;; amdgpu-corpus repo=pytorch/pytorch kind=compiled arch=gfx1250 opt=O3
	.amdgcn_target "amdgcn-amd-amdhsa--gfx1250"
	.amdhsa_code_object_version 6
	.section	.text._ZN2at6native12_GLOBAL__N_129fill_index_and_segment_kernelEP15HIP_vector_typeIiLj2EEiNS_4cuda6detail10IntDividerIjEE,"axG",@progbits,_ZN2at6native12_GLOBAL__N_129fill_index_and_segment_kernelEP15HIP_vector_typeIiLj2EEiNS_4cuda6detail10IntDividerIjEE,comdat
	.globl	_ZN2at6native12_GLOBAL__N_129fill_index_and_segment_kernelEP15HIP_vector_typeIiLj2EEiNS_4cuda6detail10IntDividerIjEE ; -- Begin function _ZN2at6native12_GLOBAL__N_129fill_index_and_segment_kernelEP15HIP_vector_typeIiLj2EEiNS_4cuda6detail10IntDividerIjEE
	.p2align	8
	.type	_ZN2at6native12_GLOBAL__N_129fill_index_and_segment_kernelEP15HIP_vector_typeIiLj2EEiNS_4cuda6detail10IntDividerIjEE,@function
_ZN2at6native12_GLOBAL__N_129fill_index_and_segment_kernelEP15HIP_vector_typeIiLj2EEiNS_4cuda6detail10IntDividerIjEE: ; @_ZN2at6native12_GLOBAL__N_129fill_index_and_segment_kernelEP15HIP_vector_typeIiLj2EEiNS_4cuda6detail10IntDividerIjEE
; %bb.0:
	s_clause 0x1
	s_load_b32 s2, s[0:1], 0x24
	s_load_b64 s[12:13], s[0:1], 0x8
	s_bfe_u32 s5, ttmp6, 0x4000c
	s_and_b32 s4, ttmp6, 15
	s_add_co_i32 s5, s5, 1
	s_getreg_b32 s6, hwreg(HW_REG_IB_STS2, 6, 4)
	s_mul_i32 s5, ttmp9, s5
	s_mov_b32 s3, 0
	s_add_co_i32 s4, s4, s5
	s_cmp_eq_u32 s6, 0
	v_mov_b32_e32 v1, 0
	s_mov_b32 s17, s3
	s_cselect_b32 s16, ttmp9, s4
	s_mov_b32 s15, s3
	s_wait_kmcnt 0x0
	s_and_b32 s14, s2, 0xffff
	s_ashr_i32 s7, s12, 31
	s_mul_u64 s[4:5], s[14:15], s[16:17]
	s_mov_b32 s6, s12
	v_add_nc_u64_e32 v[6:7], s[4:5], v[0:1]
	s_mov_b32 s2, exec_lo
	s_delay_alu instid0(VALU_DEP_1)
	v_cmpx_gt_i64_e64 s[6:7], v[6:7]
	s_cbranch_execz .LBB0_3
; %bb.1:
	s_add_nc_u64 s[18:19], s[0:1], 24
	v_mov_b64_e32 v[2:3], v[0:1]
	s_load_b32 s2, s[18:19], 0x0
	s_clause 0x1
	s_load_b64 s[8:9], s[0:1], 0x10
	s_load_b64 s[10:11], s[0:1], 0x0
	s_mul_i32 s16, s16, s14
	v_dual_mov_b32 v4, v1 :: v_dual_mov_b32 v5, v6
	v_add_nc_u32_e32 v0, s16, v0
	s_wait_xcnt 0x0
	s_mov_b32 s1, s3
	s_sub_co_i32 s15, 0, s13
	s_mov_b32 s12, s3
	s_wait_kmcnt 0x0
	s_mul_i32 s0, s2, s14
	s_mov_b32 s2, s8
	s_mov_b32 s13, s0
	;; [unrolled: 1-line block ×3, first 2 shown]
.LBB0_2:                                ; =>This Inner Loop Header: Depth=1
	v_mul_u64_e32 v[6:7], s[2:3], v[0:1]
	v_add_nc_u32_e32 v9, s16, v2
	v_add_nc_u64_e32 v[2:3], s[0:1], v[2:3]
	v_ashrrev_i64 v[10:11], 29, v[4:5]
	v_add_nc_u64_e32 v[4:5], s[12:13], v[4:5]
	s_delay_alu instid0(VALU_DEP_4) | instskip(NEXT) | instid1(VALU_DEP_4)
	v_dual_add_nc_u32 v0, s0, v0 :: v_dual_add_nc_u32 v8, v9, v7
	v_add_nc_u64_e32 v[6:7], s[4:5], v[2:3]
	s_delay_alu instid0(VALU_DEP_2) | instskip(NEXT) | instid1(VALU_DEP_2)
	v_lshrrev_b32_e32 v8, s9, v8
	v_cmp_le_i64_e32 vcc_lo, s[6:7], v[6:7]
	v_add_nc_u64_e32 v[6:7], s[10:11], v[10:11]
	s_delay_alu instid0(VALU_DEP_3)
	v_mad_u32 v9, s15, v8, v9
	s_or_b32 s8, vcc_lo, s8
	global_store_b64 v[6:7], v[8:9], off
	s_wait_xcnt 0x0
	s_and_not1_b32 exec_lo, exec_lo, s8
	s_cbranch_execnz .LBB0_2
.LBB0_3:
	s_endpgm
	.section	.rodata,"a",@progbits
	.p2align	6, 0x0
	.amdhsa_kernel _ZN2at6native12_GLOBAL__N_129fill_index_and_segment_kernelEP15HIP_vector_typeIiLj2EEiNS_4cuda6detail10IntDividerIjEE
		.amdhsa_group_segment_fixed_size 0
		.amdhsa_private_segment_fixed_size 0
		.amdhsa_kernarg_size 280
		.amdhsa_user_sgpr_count 2
		.amdhsa_user_sgpr_dispatch_ptr 0
		.amdhsa_user_sgpr_queue_ptr 0
		.amdhsa_user_sgpr_kernarg_segment_ptr 1
		.amdhsa_user_sgpr_dispatch_id 0
		.amdhsa_user_sgpr_kernarg_preload_length 0
		.amdhsa_user_sgpr_kernarg_preload_offset 0
		.amdhsa_user_sgpr_private_segment_size 0
		.amdhsa_wavefront_size32 1
		.amdhsa_uses_dynamic_stack 0
		.amdhsa_enable_private_segment 0
		.amdhsa_system_sgpr_workgroup_id_x 1
		.amdhsa_system_sgpr_workgroup_id_y 0
		.amdhsa_system_sgpr_workgroup_id_z 0
		.amdhsa_system_sgpr_workgroup_info 0
		.amdhsa_system_vgpr_workitem_id 0
		.amdhsa_next_free_vgpr 12
		.amdhsa_next_free_sgpr 20
		.amdhsa_named_barrier_count 0
		.amdhsa_reserve_vcc 1
		.amdhsa_float_round_mode_32 0
		.amdhsa_float_round_mode_16_64 0
		.amdhsa_float_denorm_mode_32 3
		.amdhsa_float_denorm_mode_16_64 3
		.amdhsa_fp16_overflow 0
		.amdhsa_memory_ordered 1
		.amdhsa_forward_progress 1
		.amdhsa_inst_pref_size 3
		.amdhsa_round_robin_scheduling 0
		.amdhsa_exception_fp_ieee_invalid_op 0
		.amdhsa_exception_fp_denorm_src 0
		.amdhsa_exception_fp_ieee_div_zero 0
		.amdhsa_exception_fp_ieee_overflow 0
		.amdhsa_exception_fp_ieee_underflow 0
		.amdhsa_exception_fp_ieee_inexact 0
		.amdhsa_exception_int_div_zero 0
	.end_amdhsa_kernel
	.section	.text._ZN2at6native12_GLOBAL__N_129fill_index_and_segment_kernelEP15HIP_vector_typeIiLj2EEiNS_4cuda6detail10IntDividerIjEE,"axG",@progbits,_ZN2at6native12_GLOBAL__N_129fill_index_and_segment_kernelEP15HIP_vector_typeIiLj2EEiNS_4cuda6detail10IntDividerIjEE,comdat
.Lfunc_end0:
	.size	_ZN2at6native12_GLOBAL__N_129fill_index_and_segment_kernelEP15HIP_vector_typeIiLj2EEiNS_4cuda6detail10IntDividerIjEE, .Lfunc_end0-_ZN2at6native12_GLOBAL__N_129fill_index_and_segment_kernelEP15HIP_vector_typeIiLj2EEiNS_4cuda6detail10IntDividerIjEE
                                        ; -- End function
	.set _ZN2at6native12_GLOBAL__N_129fill_index_and_segment_kernelEP15HIP_vector_typeIiLj2EEiNS_4cuda6detail10IntDividerIjEE.num_vgpr, 12
	.set _ZN2at6native12_GLOBAL__N_129fill_index_and_segment_kernelEP15HIP_vector_typeIiLj2EEiNS_4cuda6detail10IntDividerIjEE.num_agpr, 0
	.set _ZN2at6native12_GLOBAL__N_129fill_index_and_segment_kernelEP15HIP_vector_typeIiLj2EEiNS_4cuda6detail10IntDividerIjEE.numbered_sgpr, 20
	.set _ZN2at6native12_GLOBAL__N_129fill_index_and_segment_kernelEP15HIP_vector_typeIiLj2EEiNS_4cuda6detail10IntDividerIjEE.num_named_barrier, 0
	.set _ZN2at6native12_GLOBAL__N_129fill_index_and_segment_kernelEP15HIP_vector_typeIiLj2EEiNS_4cuda6detail10IntDividerIjEE.private_seg_size, 0
	.set _ZN2at6native12_GLOBAL__N_129fill_index_and_segment_kernelEP15HIP_vector_typeIiLj2EEiNS_4cuda6detail10IntDividerIjEE.uses_vcc, 1
	.set _ZN2at6native12_GLOBAL__N_129fill_index_and_segment_kernelEP15HIP_vector_typeIiLj2EEiNS_4cuda6detail10IntDividerIjEE.uses_flat_scratch, 0
	.set _ZN2at6native12_GLOBAL__N_129fill_index_and_segment_kernelEP15HIP_vector_typeIiLj2EEiNS_4cuda6detail10IntDividerIjEE.has_dyn_sized_stack, 0
	.set _ZN2at6native12_GLOBAL__N_129fill_index_and_segment_kernelEP15HIP_vector_typeIiLj2EEiNS_4cuda6detail10IntDividerIjEE.has_recursion, 0
	.set _ZN2at6native12_GLOBAL__N_129fill_index_and_segment_kernelEP15HIP_vector_typeIiLj2EEiNS_4cuda6detail10IntDividerIjEE.has_indirect_call, 0
	.section	.AMDGPU.csdata,"",@progbits
; Kernel info:
; codeLenInByte = 312
; TotalNumSgprs: 22
; NumVgprs: 12
; ScratchSize: 0
; MemoryBound: 0
; FloatMode: 240
; IeeeMode: 1
; LDSByteSize: 0 bytes/workgroup (compile time only)
; SGPRBlocks: 0
; VGPRBlocks: 0
; NumSGPRsForWavesPerEU: 22
; NumVGPRsForWavesPerEU: 12
; NamedBarCnt: 0
; Occupancy: 16
; WaveLimiterHint : 0
; COMPUTE_PGM_RSRC2:SCRATCH_EN: 0
; COMPUTE_PGM_RSRC2:USER_SGPR: 2
; COMPUTE_PGM_RSRC2:TRAP_HANDLER: 0
; COMPUTE_PGM_RSRC2:TGID_X_EN: 1
; COMPUTE_PGM_RSRC2:TGID_Y_EN: 0
; COMPUTE_PGM_RSRC2:TGID_Z_EN: 0
; COMPUTE_PGM_RSRC2:TIDIG_COMP_CNT: 0
	.section	.text._ZN2at6native12_GLOBAL__N_127fill_reverse_indices_kernelEPliNS_4cuda6detail10IntDividerIjEE,"axG",@progbits,_ZN2at6native12_GLOBAL__N_127fill_reverse_indices_kernelEPliNS_4cuda6detail10IntDividerIjEE,comdat
	.globl	_ZN2at6native12_GLOBAL__N_127fill_reverse_indices_kernelEPliNS_4cuda6detail10IntDividerIjEE ; -- Begin function _ZN2at6native12_GLOBAL__N_127fill_reverse_indices_kernelEPliNS_4cuda6detail10IntDividerIjEE
	.p2align	8
	.type	_ZN2at6native12_GLOBAL__N_127fill_reverse_indices_kernelEPliNS_4cuda6detail10IntDividerIjEE,@function
_ZN2at6native12_GLOBAL__N_127fill_reverse_indices_kernelEPliNS_4cuda6detail10IntDividerIjEE: ; @_ZN2at6native12_GLOBAL__N_127fill_reverse_indices_kernelEPliNS_4cuda6detail10IntDividerIjEE
; %bb.0:
	s_clause 0x1
	s_load_b32 s2, s[0:1], 0x24
	s_load_b64 s[12:13], s[0:1], 0x8
	s_bfe_u32 s5, ttmp6, 0x4000c
	s_and_b32 s4, ttmp6, 15
	s_add_co_i32 s5, s5, 1
	s_getreg_b32 s6, hwreg(HW_REG_IB_STS2, 6, 4)
	s_mul_i32 s5, ttmp9, s5
	s_mov_b32 s3, 0
	s_add_co_i32 s4, s4, s5
	s_cmp_eq_u32 s6, 0
	v_mov_b32_e32 v1, 0
	s_mov_b32 s17, s3
	s_cselect_b32 s16, ttmp9, s4
	s_mov_b32 s15, s3
	s_wait_kmcnt 0x0
	s_and_b32 s14, s2, 0xffff
	s_ashr_i32 s7, s12, 31
	s_mul_u64 s[4:5], s[14:15], s[16:17]
	s_mov_b32 s6, s12
	v_add_nc_u64_e32 v[6:7], s[4:5], v[0:1]
	s_mov_b32 s2, exec_lo
	s_delay_alu instid0(VALU_DEP_1)
	v_cmpx_gt_i64_e64 s[6:7], v[6:7]
	s_cbranch_execz .LBB1_3
; %bb.1:
	s_add_nc_u64 s[18:19], s[0:1], 24
	v_mov_b64_e32 v[2:3], v[0:1]
	s_load_b32 s2, s[18:19], 0x0
	s_clause 0x1
	s_load_b64 s[8:9], s[0:1], 0x10
	s_load_b64 s[10:11], s[0:1], 0x0
	s_mul_i32 s16, s16, s14
	v_dual_mov_b32 v4, v1 :: v_dual_mov_b32 v5, v6
	v_add_nc_u32_e32 v0, s16, v0
	s_wait_xcnt 0x0
	s_mov_b32 s1, s3
	s_sub_co_i32 s15, 0, s13
	s_mov_b32 s12, s3
	s_wait_kmcnt 0x0
	s_mul_i32 s0, s2, s14
	s_mov_b32 s2, s8
	s_mov_b32 s13, s0
	;; [unrolled: 1-line block ×3, first 2 shown]
.LBB1_2:                                ; =>This Inner Loop Header: Depth=1
	v_mul_u64_e32 v[6:7], s[2:3], v[0:1]
	v_add_nc_u32_e32 v10, s16, v2
	v_add_nc_u64_e32 v[2:3], s[0:1], v[2:3]
	s_delay_alu instid0(VALU_DEP_2) | instskip(NEXT) | instid1(VALU_DEP_2)
	v_dual_add_nc_u32 v0, s0, v0 :: v_dual_add_nc_u32 v8, v10, v7
	v_add_nc_u64_e32 v[6:7], s[4:5], v[2:3]
	s_delay_alu instid0(VALU_DEP_2) | instskip(SKIP_2) | instid1(VALU_DEP_4)
	v_lshrrev_b32_e32 v11, s9, v8
	v_ashrrev_i64 v[8:9], 29, v[4:5]
	v_add_nc_u64_e32 v[4:5], s[12:13], v[4:5]
	v_cmp_le_i64_e32 vcc_lo, s[6:7], v[6:7]
	s_delay_alu instid0(VALU_DEP_4)
	v_mad_u32 v10, s15, v11, v10
	v_mov_b32_e32 v11, v1
	v_add_nc_u64_e32 v[6:7], s[10:11], v[8:9]
	s_or_b32 s8, vcc_lo, s8
	global_store_b64 v[6:7], v[10:11], off
	s_wait_xcnt 0x0
	s_and_not1_b32 exec_lo, exec_lo, s8
	s_cbranch_execnz .LBB1_2
.LBB1_3:
	s_endpgm
	.section	.rodata,"a",@progbits
	.p2align	6, 0x0
	.amdhsa_kernel _ZN2at6native12_GLOBAL__N_127fill_reverse_indices_kernelEPliNS_4cuda6detail10IntDividerIjEE
		.amdhsa_group_segment_fixed_size 0
		.amdhsa_private_segment_fixed_size 0
		.amdhsa_kernarg_size 280
		.amdhsa_user_sgpr_count 2
		.amdhsa_user_sgpr_dispatch_ptr 0
		.amdhsa_user_sgpr_queue_ptr 0
		.amdhsa_user_sgpr_kernarg_segment_ptr 1
		.amdhsa_user_sgpr_dispatch_id 0
		.amdhsa_user_sgpr_kernarg_preload_length 0
		.amdhsa_user_sgpr_kernarg_preload_offset 0
		.amdhsa_user_sgpr_private_segment_size 0
		.amdhsa_wavefront_size32 1
		.amdhsa_uses_dynamic_stack 0
		.amdhsa_enable_private_segment 0
		.amdhsa_system_sgpr_workgroup_id_x 1
		.amdhsa_system_sgpr_workgroup_id_y 0
		.amdhsa_system_sgpr_workgroup_id_z 0
		.amdhsa_system_sgpr_workgroup_info 0
		.amdhsa_system_vgpr_workitem_id 0
		.amdhsa_next_free_vgpr 12
		.amdhsa_next_free_sgpr 20
		.amdhsa_named_barrier_count 0
		.amdhsa_reserve_vcc 1
		.amdhsa_float_round_mode_32 0
		.amdhsa_float_round_mode_16_64 0
		.amdhsa_float_denorm_mode_32 3
		.amdhsa_float_denorm_mode_16_64 3
		.amdhsa_fp16_overflow 0
		.amdhsa_memory_ordered 1
		.amdhsa_forward_progress 1
		.amdhsa_inst_pref_size 3
		.amdhsa_round_robin_scheduling 0
		.amdhsa_exception_fp_ieee_invalid_op 0
		.amdhsa_exception_fp_denorm_src 0
		.amdhsa_exception_fp_ieee_div_zero 0
		.amdhsa_exception_fp_ieee_overflow 0
		.amdhsa_exception_fp_ieee_underflow 0
		.amdhsa_exception_fp_ieee_inexact 0
		.amdhsa_exception_int_div_zero 0
	.end_amdhsa_kernel
	.section	.text._ZN2at6native12_GLOBAL__N_127fill_reverse_indices_kernelEPliNS_4cuda6detail10IntDividerIjEE,"axG",@progbits,_ZN2at6native12_GLOBAL__N_127fill_reverse_indices_kernelEPliNS_4cuda6detail10IntDividerIjEE,comdat
.Lfunc_end1:
	.size	_ZN2at6native12_GLOBAL__N_127fill_reverse_indices_kernelEPliNS_4cuda6detail10IntDividerIjEE, .Lfunc_end1-_ZN2at6native12_GLOBAL__N_127fill_reverse_indices_kernelEPliNS_4cuda6detail10IntDividerIjEE
                                        ; -- End function
	.set _ZN2at6native12_GLOBAL__N_127fill_reverse_indices_kernelEPliNS_4cuda6detail10IntDividerIjEE.num_vgpr, 12
	.set _ZN2at6native12_GLOBAL__N_127fill_reverse_indices_kernelEPliNS_4cuda6detail10IntDividerIjEE.num_agpr, 0
	.set _ZN2at6native12_GLOBAL__N_127fill_reverse_indices_kernelEPliNS_4cuda6detail10IntDividerIjEE.numbered_sgpr, 20
	.set _ZN2at6native12_GLOBAL__N_127fill_reverse_indices_kernelEPliNS_4cuda6detail10IntDividerIjEE.num_named_barrier, 0
	.set _ZN2at6native12_GLOBAL__N_127fill_reverse_indices_kernelEPliNS_4cuda6detail10IntDividerIjEE.private_seg_size, 0
	.set _ZN2at6native12_GLOBAL__N_127fill_reverse_indices_kernelEPliNS_4cuda6detail10IntDividerIjEE.uses_vcc, 1
	.set _ZN2at6native12_GLOBAL__N_127fill_reverse_indices_kernelEPliNS_4cuda6detail10IntDividerIjEE.uses_flat_scratch, 0
	.set _ZN2at6native12_GLOBAL__N_127fill_reverse_indices_kernelEPliNS_4cuda6detail10IntDividerIjEE.has_dyn_sized_stack, 0
	.set _ZN2at6native12_GLOBAL__N_127fill_reverse_indices_kernelEPliNS_4cuda6detail10IntDividerIjEE.has_recursion, 0
	.set _ZN2at6native12_GLOBAL__N_127fill_reverse_indices_kernelEPliNS_4cuda6detail10IntDividerIjEE.has_indirect_call, 0
	.section	.AMDGPU.csdata,"",@progbits
; Kernel info:
; codeLenInByte = 316
; TotalNumSgprs: 22
; NumVgprs: 12
; ScratchSize: 0
; MemoryBound: 0
; FloatMode: 240
; IeeeMode: 1
; LDSByteSize: 0 bytes/workgroup (compile time only)
; SGPRBlocks: 0
; VGPRBlocks: 0
; NumSGPRsForWavesPerEU: 22
; NumVGPRsForWavesPerEU: 12
; NamedBarCnt: 0
; Occupancy: 16
; WaveLimiterHint : 0
; COMPUTE_PGM_RSRC2:SCRATCH_EN: 0
; COMPUTE_PGM_RSRC2:USER_SGPR: 2
; COMPUTE_PGM_RSRC2:TRAP_HANDLER: 0
; COMPUTE_PGM_RSRC2:TGID_X_EN: 1
; COMPUTE_PGM_RSRC2:TGID_Y_EN: 0
; COMPUTE_PGM_RSRC2:TGID_Z_EN: 0
; COMPUTE_PGM_RSRC2:TIDIG_COMP_CNT: 0
	.section	.text._ZN2at6native12_GLOBAL__N_123sort_postprocess_kernelIhEEvPKT_PS3_PlPK15HIP_vector_typeIiLj2EEii,"axG",@progbits,_ZN2at6native12_GLOBAL__N_123sort_postprocess_kernelIhEEvPKT_PS3_PlPK15HIP_vector_typeIiLj2EEii,comdat
	.globl	_ZN2at6native12_GLOBAL__N_123sort_postprocess_kernelIhEEvPKT_PS3_PlPK15HIP_vector_typeIiLj2EEii ; -- Begin function _ZN2at6native12_GLOBAL__N_123sort_postprocess_kernelIhEEvPKT_PS3_PlPK15HIP_vector_typeIiLj2EEii
	.p2align	8
	.type	_ZN2at6native12_GLOBAL__N_123sort_postprocess_kernelIhEEvPKT_PS3_PlPK15HIP_vector_typeIiLj2EEii,@function
_ZN2at6native12_GLOBAL__N_123sort_postprocess_kernelIhEEvPKT_PS3_PlPK15HIP_vector_typeIiLj2EEii: ; @_ZN2at6native12_GLOBAL__N_123sort_postprocess_kernelIhEEvPKT_PS3_PlPK15HIP_vector_typeIiLj2EEii
; %bb.0:
	s_clause 0x1
	s_load_b32 s2, s[0:1], 0x34
	s_load_b64 s[4:5], s[0:1], 0x20
	s_bfe_u32 s7, ttmp6, 0x4000c
	s_and_b32 s6, ttmp6, 15
	s_add_co_i32 s7, s7, 1
	s_getreg_b32 s8, hwreg(HW_REG_IB_STS2, 6, 4)
	s_mul_i32 s7, ttmp9, s7
	s_mov_b32 s3, 0
	s_add_co_i32 s6, s6, s7
	s_cmp_eq_u32 s8, 0
	v_mov_b32_e32 v1, 0
	s_mov_b32 s19, s3
	s_cselect_b32 s18, ttmp9, s6
	s_mov_b32 s17, s3
	s_wait_kmcnt 0x0
	s_and_b32 s16, s2, 0xffff
	s_mul_i32 s14, s5, s4
	s_mul_u64 s[12:13], s[16:17], s[18:19]
	s_ashr_i32 s15, s14, 31
	v_add_nc_u64_e32 v[2:3], s[12:13], v[0:1]
	s_mov_b32 s2, exec_lo
	s_delay_alu instid0(VALU_DEP_1)
	v_cmpx_gt_i64_e64 s[14:15], v[2:3]
	s_cbranch_execz .LBB2_3
; %bb.1:
	s_abs_i32 s17, s5
	s_add_nc_u64 s[20:21], s[0:1], 40
	s_cvt_f32_u32 s2, s17
	s_sub_co_i32 s19, 0, s17
	s_mul_i32 s18, s18, s16
	s_delay_alu instid0(SALU_CYCLE_1)
	v_rcp_iflag_f32_e32 v2, s2
	s_load_b32 s2, s[20:21], 0x0
	s_load_b256 s[4:11], s[0:1], 0x0
	s_wait_xcnt 0x0
	s_mov_b32 s1, s3
	v_nop
	s_delay_alu instid0(TRANS32_DEP_1) | instskip(SKIP_2) | instid1(SALU_CYCLE_3)
	v_readfirstlane_b32 s0, v2
	v_mov_b64_e32 v[2:3], v[0:1]
	s_mul_f32 s0, s0, 0x4f7ffffe
	s_cvt_u32_f32 s0, s0
	s_wait_kmcnt 0x0
	s_mul_i32 s2, s2, s16
	s_delay_alu instid0(SALU_CYCLE_1) | instskip(SKIP_2) | instid1(SALU_CYCLE_1)
	s_mul_i32 s19, s19, s0
	s_mov_b32 s16, s3
	s_mul_hi_u32 s19, s0, s19
	s_add_co_i32 s0, s0, s19
.LBB2_2:                                ; =>This Inner Loop Header: Depth=1
	v_add_nc_u32_e32 v6, s18, v2
	v_add_nc_u64_e32 v[2:3], s[2:3], v[2:3]
	s_delay_alu instid0(VALU_DEP_2) | instskip(NEXT) | instid1(VALU_DEP_1)
	v_sub_nc_u32_e32 v0, 0, v6
	v_max_i32_e32 v0, v6, v0
	s_delay_alu instid0(VALU_DEP_1) | instskip(NEXT) | instid1(VALU_DEP_1)
	v_mul_u64_e32 v[4:5], s[0:1], v[0:1]
	v_mul_lo_u32 v4, v5, s17
	s_delay_alu instid0(VALU_DEP_1) | instskip(NEXT) | instid1(VALU_DEP_1)
	v_dual_sub_nc_u32 v0, v0, v4 :: v_dual_ashrrev_i32 v7, 31, v6
	v_subrev_nc_u32_e32 v4, s17, v0
	v_cmp_le_u32_e32 vcc_lo, s17, v0
	s_delay_alu instid0(VALU_DEP_2) | instskip(NEXT) | instid1(VALU_DEP_1)
	v_cndmask_b32_e32 v0, v0, v4, vcc_lo
	v_subrev_nc_u32_e32 v4, s17, v0
	v_cmp_le_u32_e32 vcc_lo, s17, v0
	s_delay_alu instid0(VALU_DEP_2) | instskip(NEXT) | instid1(VALU_DEP_1)
	v_dual_cndmask_b32 v0, v0, v4, vcc_lo :: v_dual_add_nc_u32 v4, v6, v7
	v_xor_b32_e32 v0, v0, v7
	s_delay_alu instid0(VALU_DEP_1) | instskip(NEXT) | instid1(VALU_DEP_1)
	v_sub_nc_u32_e32 v4, v4, v0
	v_dual_sub_nc_u32 v6, v0, v7 :: v_dual_ashrrev_i32 v5, 31, v4
	s_delay_alu instid0(VALU_DEP_1) | instskip(NEXT) | instid1(VALU_DEP_2)
	v_ashrrev_i32_e32 v7, 31, v6
	v_lshlrev_b64_e32 v[8:9], 3, v[4:5]
	s_delay_alu instid0(VALU_DEP_2) | instskip(SKIP_2) | instid1(VALU_DEP_4)
	v_lshlrev_b64_e32 v[10:11], 3, v[6:7]
	v_add_nc_u64_e32 v[14:15], s[4:5], v[4:5]
	v_add_nc_u64_e32 v[4:5], s[6:7], v[4:5]
	;; [unrolled: 1-line block ×4, first 2 shown]
	s_delay_alu instid0(VALU_DEP_3) | instskip(NEXT) | instid1(VALU_DEP_3)
	v_add_nc_u64_e32 v[4:5], v[4:5], v[6:7]
	v_add_nc_u64_e32 v[12:13], v[12:13], v[10:11]
	s_delay_alu instid0(VALU_DEP_3) | instskip(SKIP_4) | instid1(VALU_DEP_1)
	v_add_nc_u64_e32 v[8:9], v[8:9], v[10:11]
	global_load_b32 v12, v[12:13], off offset:4
	s_wait_loadcnt 0x0
	s_wait_xcnt 0x0
	v_ashrrev_i32_e32 v13, 31, v12
	v_add_nc_u64_e32 v[10:11], v[14:15], v[12:13]
	global_store_b64 v[8:9], v[12:13], off
	s_wait_xcnt 0x0
	v_add_nc_u64_e32 v[8:9], s[12:13], v[2:3]
	global_load_u8 v0, v[10:11], off
	v_cmp_le_i64_e32 vcc_lo, s[14:15], v[8:9]
	s_or_b32 s16, vcc_lo, s16
	s_wait_loadcnt 0x0
	global_store_b8 v[4:5], v0, off
	s_wait_xcnt 0x0
	s_and_not1_b32 exec_lo, exec_lo, s16
	s_cbranch_execnz .LBB2_2
.LBB2_3:
	s_endpgm
	.section	.rodata,"a",@progbits
	.p2align	6, 0x0
	.amdhsa_kernel _ZN2at6native12_GLOBAL__N_123sort_postprocess_kernelIhEEvPKT_PS3_PlPK15HIP_vector_typeIiLj2EEii
		.amdhsa_group_segment_fixed_size 0
		.amdhsa_private_segment_fixed_size 0
		.amdhsa_kernarg_size 296
		.amdhsa_user_sgpr_count 2
		.amdhsa_user_sgpr_dispatch_ptr 0
		.amdhsa_user_sgpr_queue_ptr 0
		.amdhsa_user_sgpr_kernarg_segment_ptr 1
		.amdhsa_user_sgpr_dispatch_id 0
		.amdhsa_user_sgpr_kernarg_preload_length 0
		.amdhsa_user_sgpr_kernarg_preload_offset 0
		.amdhsa_user_sgpr_private_segment_size 0
		.amdhsa_wavefront_size32 1
		.amdhsa_uses_dynamic_stack 0
		.amdhsa_enable_private_segment 0
		.amdhsa_system_sgpr_workgroup_id_x 1
		.amdhsa_system_sgpr_workgroup_id_y 0
		.amdhsa_system_sgpr_workgroup_id_z 0
		.amdhsa_system_sgpr_workgroup_info 0
		.amdhsa_system_vgpr_workitem_id 0
		.amdhsa_next_free_vgpr 16
		.amdhsa_next_free_sgpr 22
		.amdhsa_named_barrier_count 0
		.amdhsa_reserve_vcc 1
		.amdhsa_float_round_mode_32 0
		.amdhsa_float_round_mode_16_64 0
		.amdhsa_float_denorm_mode_32 3
		.amdhsa_float_denorm_mode_16_64 3
		.amdhsa_fp16_overflow 0
		.amdhsa_memory_ordered 1
		.amdhsa_forward_progress 1
		.amdhsa_inst_pref_size 4
		.amdhsa_round_robin_scheduling 0
		.amdhsa_exception_fp_ieee_invalid_op 0
		.amdhsa_exception_fp_denorm_src 0
		.amdhsa_exception_fp_ieee_div_zero 0
		.amdhsa_exception_fp_ieee_overflow 0
		.amdhsa_exception_fp_ieee_underflow 0
		.amdhsa_exception_fp_ieee_inexact 0
		.amdhsa_exception_int_div_zero 0
	.end_amdhsa_kernel
	.section	.text._ZN2at6native12_GLOBAL__N_123sort_postprocess_kernelIhEEvPKT_PS3_PlPK15HIP_vector_typeIiLj2EEii,"axG",@progbits,_ZN2at6native12_GLOBAL__N_123sort_postprocess_kernelIhEEvPKT_PS3_PlPK15HIP_vector_typeIiLj2EEii,comdat
.Lfunc_end2:
	.size	_ZN2at6native12_GLOBAL__N_123sort_postprocess_kernelIhEEvPKT_PS3_PlPK15HIP_vector_typeIiLj2EEii, .Lfunc_end2-_ZN2at6native12_GLOBAL__N_123sort_postprocess_kernelIhEEvPKT_PS3_PlPK15HIP_vector_typeIiLj2EEii
                                        ; -- End function
	.set _ZN2at6native12_GLOBAL__N_123sort_postprocess_kernelIhEEvPKT_PS3_PlPK15HIP_vector_typeIiLj2EEii.num_vgpr, 16
	.set _ZN2at6native12_GLOBAL__N_123sort_postprocess_kernelIhEEvPKT_PS3_PlPK15HIP_vector_typeIiLj2EEii.num_agpr, 0
	.set _ZN2at6native12_GLOBAL__N_123sort_postprocess_kernelIhEEvPKT_PS3_PlPK15HIP_vector_typeIiLj2EEii.numbered_sgpr, 22
	.set _ZN2at6native12_GLOBAL__N_123sort_postprocess_kernelIhEEvPKT_PS3_PlPK15HIP_vector_typeIiLj2EEii.num_named_barrier, 0
	.set _ZN2at6native12_GLOBAL__N_123sort_postprocess_kernelIhEEvPKT_PS3_PlPK15HIP_vector_typeIiLj2EEii.private_seg_size, 0
	.set _ZN2at6native12_GLOBAL__N_123sort_postprocess_kernelIhEEvPKT_PS3_PlPK15HIP_vector_typeIiLj2EEii.uses_vcc, 1
	.set _ZN2at6native12_GLOBAL__N_123sort_postprocess_kernelIhEEvPKT_PS3_PlPK15HIP_vector_typeIiLj2EEii.uses_flat_scratch, 0
	.set _ZN2at6native12_GLOBAL__N_123sort_postprocess_kernelIhEEvPKT_PS3_PlPK15HIP_vector_typeIiLj2EEii.has_dyn_sized_stack, 0
	.set _ZN2at6native12_GLOBAL__N_123sort_postprocess_kernelIhEEvPKT_PS3_PlPK15HIP_vector_typeIiLj2EEii.has_recursion, 0
	.set _ZN2at6native12_GLOBAL__N_123sort_postprocess_kernelIhEEvPKT_PS3_PlPK15HIP_vector_typeIiLj2EEii.has_indirect_call, 0
	.section	.AMDGPU.csdata,"",@progbits
; Kernel info:
; codeLenInByte = 500
; TotalNumSgprs: 24
; NumVgprs: 16
; ScratchSize: 0
; MemoryBound: 0
; FloatMode: 240
; IeeeMode: 1
; LDSByteSize: 0 bytes/workgroup (compile time only)
; SGPRBlocks: 0
; VGPRBlocks: 0
; NumSGPRsForWavesPerEU: 24
; NumVGPRsForWavesPerEU: 16
; NamedBarCnt: 0
; Occupancy: 16
; WaveLimiterHint : 1
; COMPUTE_PGM_RSRC2:SCRATCH_EN: 0
; COMPUTE_PGM_RSRC2:USER_SGPR: 2
; COMPUTE_PGM_RSRC2:TRAP_HANDLER: 0
; COMPUTE_PGM_RSRC2:TGID_X_EN: 1
; COMPUTE_PGM_RSRC2:TGID_Y_EN: 0
; COMPUTE_PGM_RSRC2:TGID_Z_EN: 0
; COMPUTE_PGM_RSRC2:TIDIG_COMP_CNT: 0
	.section	.text._ZN7rocprim17ROCPRIM_400000_NS6detail31init_lookback_scan_state_kernelINS1_19lookback_scan_stateI15HIP_vector_typeIjLj2EELb0ELb1EEENS1_16block_id_wrapperIjLb0EEEEEvT_jT0_jPNS9_10value_typeE,"axG",@progbits,_ZN7rocprim17ROCPRIM_400000_NS6detail31init_lookback_scan_state_kernelINS1_19lookback_scan_stateI15HIP_vector_typeIjLj2EELb0ELb1EEENS1_16block_id_wrapperIjLb0EEEEEvT_jT0_jPNS9_10value_typeE,comdat
	.protected	_ZN7rocprim17ROCPRIM_400000_NS6detail31init_lookback_scan_state_kernelINS1_19lookback_scan_stateI15HIP_vector_typeIjLj2EELb0ELb1EEENS1_16block_id_wrapperIjLb0EEEEEvT_jT0_jPNS9_10value_typeE ; -- Begin function _ZN7rocprim17ROCPRIM_400000_NS6detail31init_lookback_scan_state_kernelINS1_19lookback_scan_stateI15HIP_vector_typeIjLj2EELb0ELb1EEENS1_16block_id_wrapperIjLb0EEEEEvT_jT0_jPNS9_10value_typeE
	.globl	_ZN7rocprim17ROCPRIM_400000_NS6detail31init_lookback_scan_state_kernelINS1_19lookback_scan_stateI15HIP_vector_typeIjLj2EELb0ELb1EEENS1_16block_id_wrapperIjLb0EEEEEvT_jT0_jPNS9_10value_typeE
	.p2align	8
	.type	_ZN7rocprim17ROCPRIM_400000_NS6detail31init_lookback_scan_state_kernelINS1_19lookback_scan_stateI15HIP_vector_typeIjLj2EELb0ELb1EEENS1_16block_id_wrapperIjLb0EEEEEvT_jT0_jPNS9_10value_typeE,@function
_ZN7rocprim17ROCPRIM_400000_NS6detail31init_lookback_scan_state_kernelINS1_19lookback_scan_stateI15HIP_vector_typeIjLj2EELb0ELb1EEENS1_16block_id_wrapperIjLb0EEEEEvT_jT0_jPNS9_10value_typeE: ; @_ZN7rocprim17ROCPRIM_400000_NS6detail31init_lookback_scan_state_kernelINS1_19lookback_scan_stateI15HIP_vector_typeIjLj2EELb0ELb1EEENS1_16block_id_wrapperIjLb0EEEEEvT_jT0_jPNS9_10value_typeE
; %bb.0:
	s_clause 0x2
	s_load_b32 s7, s[0:1], 0x2c
	s_load_b96 s[4:6], s[0:1], 0x0
	s_load_b64 s[2:3], s[0:1], 0x18
	s_bfe_u32 s8, ttmp6, 0x4000c
	s_and_b32 s9, ttmp6, 15
	s_add_co_i32 s8, s8, 1
	s_getreg_b32 s10, hwreg(HW_REG_IB_STS2, 6, 4)
	s_mul_i32 s8, ttmp9, s8
	s_delay_alu instid0(SALU_CYCLE_1)
	s_add_co_i32 s9, s9, s8
	s_wait_kmcnt 0x0
	s_and_b32 s7, s7, 0xffff
	s_cmp_eq_u32 s10, 0
	s_cselect_b32 s8, ttmp9, s9
	s_cmp_eq_u64 s[2:3], 0
	v_mad_u32 v8, s8, s7, v0
	s_cbranch_scc1 .LBB3_8
; %bb.1:
	s_load_b32 s0, s[0:1], 0x10
	s_mov_b32 s7, exec_lo
	s_wait_kmcnt 0x0
	s_cmp_lt_u32 s0, s6
	s_cselect_b32 s1, s0, 0
	s_delay_alu instid0(VALU_DEP_1) | instid1(SALU_CYCLE_1)
	v_cmpx_eq_u32_e64 s1, v8
	s_cbranch_execz .LBB3_7
; %bb.2:
	s_add_co_i32 s0, s0, 32
	s_mov_b32 s1, 0
	v_mov_b32_e32 v5, 0
	s_lshl_b64 s[8:9], s[0:1], 4
	s_mov_b32 s0, exec_lo
	s_add_nc_u64 s[8:9], s[4:5], s[8:9]
	s_delay_alu instid0(SALU_CYCLE_1) | instskip(SKIP_2) | instid1(VALU_DEP_1)
	v_mov_b64_e32 v[0:1], s[8:9]
	;;#ASMSTART
	global_load_b128 v[0:3], v[0:1] off scope:SCOPE_DEV	
s_wait_loadcnt 0x0
	;;#ASMEND
	v_and_b32_e32 v4, 0xff, v2
	v_cmpx_eq_u64_e32 0, v[4:5]
	s_cbranch_execz .LBB3_6
; %bb.3:
	v_mov_b64_e32 v[6:7], s[8:9]
.LBB3_4:                                ; =>This Inner Loop Header: Depth=1
	;;#ASMSTART
	global_load_b128 v[0:3], v[6:7] off scope:SCOPE_DEV	
s_wait_loadcnt 0x0
	;;#ASMEND
	v_and_b32_e32 v4, 0xff, v2
	s_delay_alu instid0(VALU_DEP_1) | instskip(SKIP_1) | instid1(SALU_CYCLE_1)
	v_cmp_ne_u64_e32 vcc_lo, 0, v[4:5]
	s_or_b32 s1, vcc_lo, s1
	s_and_not1_b32 exec_lo, exec_lo, s1
	s_cbranch_execnz .LBB3_4
; %bb.5:
	s_or_b32 exec_lo, exec_lo, s1
.LBB3_6:
	s_delay_alu instid0(SALU_CYCLE_1)
	s_or_b32 exec_lo, exec_lo, s0
	v_mov_b32_e32 v2, 0
	global_store_b64 v2, v[0:1], s[2:3]
.LBB3_7:
	s_wait_xcnt 0x0
	s_or_b32 exec_lo, exec_lo, s7
.LBB3_8:
	s_delay_alu instid0(SALU_CYCLE_1) | instskip(NEXT) | instid1(VALU_DEP_1)
	s_mov_b32 s0, exec_lo
	v_cmpx_gt_u32_e64 s6, v8
	s_cbranch_execz .LBB3_10
; %bb.9:
	v_dual_mov_b32 v0, 0 :: v_dual_add_nc_u32 v4, 32, v8
	s_delay_alu instid0(VALU_DEP_1)
	v_dual_mov_b32 v1, v0 :: v_dual_mov_b32 v2, v0
	v_mov_b32_e32 v3, v0
	global_store_b128 v4, v[0:3], s[4:5] scale_offset
.LBB3_10:
	s_wait_xcnt 0x0
	s_or_b32 exec_lo, exec_lo, s0
	s_delay_alu instid0(SALU_CYCLE_1)
	s_mov_b32 s0, exec_lo
	v_cmpx_gt_u32_e32 32, v8
	s_cbranch_execz .LBB3_12
; %bb.11:
	v_mov_b32_e32 v0, 0
	s_delay_alu instid0(VALU_DEP_1)
	v_dual_mov_b32 v2, 0xff :: v_dual_mov_b32 v1, v0
	v_mov_b32_e32 v3, v0
	global_store_b128 v8, v[0:3], s[4:5] scale_offset
.LBB3_12:
	s_endpgm
	.section	.rodata,"a",@progbits
	.p2align	6, 0x0
	.amdhsa_kernel _ZN7rocprim17ROCPRIM_400000_NS6detail31init_lookback_scan_state_kernelINS1_19lookback_scan_stateI15HIP_vector_typeIjLj2EELb0ELb1EEENS1_16block_id_wrapperIjLb0EEEEEvT_jT0_jPNS9_10value_typeE
		.amdhsa_group_segment_fixed_size 0
		.amdhsa_private_segment_fixed_size 0
		.amdhsa_kernarg_size 288
		.amdhsa_user_sgpr_count 2
		.amdhsa_user_sgpr_dispatch_ptr 0
		.amdhsa_user_sgpr_queue_ptr 0
		.amdhsa_user_sgpr_kernarg_segment_ptr 1
		.amdhsa_user_sgpr_dispatch_id 0
		.amdhsa_user_sgpr_kernarg_preload_length 0
		.amdhsa_user_sgpr_kernarg_preload_offset 0
		.amdhsa_user_sgpr_private_segment_size 0
		.amdhsa_wavefront_size32 1
		.amdhsa_uses_dynamic_stack 0
		.amdhsa_enable_private_segment 0
		.amdhsa_system_sgpr_workgroup_id_x 1
		.amdhsa_system_sgpr_workgroup_id_y 0
		.amdhsa_system_sgpr_workgroup_id_z 0
		.amdhsa_system_sgpr_workgroup_info 0
		.amdhsa_system_vgpr_workitem_id 0
		.amdhsa_next_free_vgpr 9
		.amdhsa_next_free_sgpr 11
		.amdhsa_named_barrier_count 0
		.amdhsa_reserve_vcc 1
		.amdhsa_float_round_mode_32 0
		.amdhsa_float_round_mode_16_64 0
		.amdhsa_float_denorm_mode_32 3
		.amdhsa_float_denorm_mode_16_64 3
		.amdhsa_fp16_overflow 0
		.amdhsa_memory_ordered 1
		.amdhsa_forward_progress 1
		.amdhsa_inst_pref_size 3
		.amdhsa_round_robin_scheduling 0
		.amdhsa_exception_fp_ieee_invalid_op 0
		.amdhsa_exception_fp_denorm_src 0
		.amdhsa_exception_fp_ieee_div_zero 0
		.amdhsa_exception_fp_ieee_overflow 0
		.amdhsa_exception_fp_ieee_underflow 0
		.amdhsa_exception_fp_ieee_inexact 0
		.amdhsa_exception_int_div_zero 0
	.end_amdhsa_kernel
	.section	.text._ZN7rocprim17ROCPRIM_400000_NS6detail31init_lookback_scan_state_kernelINS1_19lookback_scan_stateI15HIP_vector_typeIjLj2EELb0ELb1EEENS1_16block_id_wrapperIjLb0EEEEEvT_jT0_jPNS9_10value_typeE,"axG",@progbits,_ZN7rocprim17ROCPRIM_400000_NS6detail31init_lookback_scan_state_kernelINS1_19lookback_scan_stateI15HIP_vector_typeIjLj2EELb0ELb1EEENS1_16block_id_wrapperIjLb0EEEEEvT_jT0_jPNS9_10value_typeE,comdat
.Lfunc_end3:
	.size	_ZN7rocprim17ROCPRIM_400000_NS6detail31init_lookback_scan_state_kernelINS1_19lookback_scan_stateI15HIP_vector_typeIjLj2EELb0ELb1EEENS1_16block_id_wrapperIjLb0EEEEEvT_jT0_jPNS9_10value_typeE, .Lfunc_end3-_ZN7rocprim17ROCPRIM_400000_NS6detail31init_lookback_scan_state_kernelINS1_19lookback_scan_stateI15HIP_vector_typeIjLj2EELb0ELb1EEENS1_16block_id_wrapperIjLb0EEEEEvT_jT0_jPNS9_10value_typeE
                                        ; -- End function
	.set _ZN7rocprim17ROCPRIM_400000_NS6detail31init_lookback_scan_state_kernelINS1_19lookback_scan_stateI15HIP_vector_typeIjLj2EELb0ELb1EEENS1_16block_id_wrapperIjLb0EEEEEvT_jT0_jPNS9_10value_typeE.num_vgpr, 9
	.set _ZN7rocprim17ROCPRIM_400000_NS6detail31init_lookback_scan_state_kernelINS1_19lookback_scan_stateI15HIP_vector_typeIjLj2EELb0ELb1EEENS1_16block_id_wrapperIjLb0EEEEEvT_jT0_jPNS9_10value_typeE.num_agpr, 0
	.set _ZN7rocprim17ROCPRIM_400000_NS6detail31init_lookback_scan_state_kernelINS1_19lookback_scan_stateI15HIP_vector_typeIjLj2EELb0ELb1EEENS1_16block_id_wrapperIjLb0EEEEEvT_jT0_jPNS9_10value_typeE.numbered_sgpr, 11
	.set _ZN7rocprim17ROCPRIM_400000_NS6detail31init_lookback_scan_state_kernelINS1_19lookback_scan_stateI15HIP_vector_typeIjLj2EELb0ELb1EEENS1_16block_id_wrapperIjLb0EEEEEvT_jT0_jPNS9_10value_typeE.num_named_barrier, 0
	.set _ZN7rocprim17ROCPRIM_400000_NS6detail31init_lookback_scan_state_kernelINS1_19lookback_scan_stateI15HIP_vector_typeIjLj2EELb0ELb1EEENS1_16block_id_wrapperIjLb0EEEEEvT_jT0_jPNS9_10value_typeE.private_seg_size, 0
	.set _ZN7rocprim17ROCPRIM_400000_NS6detail31init_lookback_scan_state_kernelINS1_19lookback_scan_stateI15HIP_vector_typeIjLj2EELb0ELb1EEENS1_16block_id_wrapperIjLb0EEEEEvT_jT0_jPNS9_10value_typeE.uses_vcc, 1
	.set _ZN7rocprim17ROCPRIM_400000_NS6detail31init_lookback_scan_state_kernelINS1_19lookback_scan_stateI15HIP_vector_typeIjLj2EELb0ELb1EEENS1_16block_id_wrapperIjLb0EEEEEvT_jT0_jPNS9_10value_typeE.uses_flat_scratch, 0
	.set _ZN7rocprim17ROCPRIM_400000_NS6detail31init_lookback_scan_state_kernelINS1_19lookback_scan_stateI15HIP_vector_typeIjLj2EELb0ELb1EEENS1_16block_id_wrapperIjLb0EEEEEvT_jT0_jPNS9_10value_typeE.has_dyn_sized_stack, 0
	.set _ZN7rocprim17ROCPRIM_400000_NS6detail31init_lookback_scan_state_kernelINS1_19lookback_scan_stateI15HIP_vector_typeIjLj2EELb0ELb1EEENS1_16block_id_wrapperIjLb0EEEEEvT_jT0_jPNS9_10value_typeE.has_recursion, 0
	.set _ZN7rocprim17ROCPRIM_400000_NS6detail31init_lookback_scan_state_kernelINS1_19lookback_scan_stateI15HIP_vector_typeIjLj2EELb0ELb1EEENS1_16block_id_wrapperIjLb0EEEEEvT_jT0_jPNS9_10value_typeE.has_indirect_call, 0
	.section	.AMDGPU.csdata,"",@progbits
; Kernel info:
; codeLenInByte = 376
; TotalNumSgprs: 13
; NumVgprs: 9
; ScratchSize: 0
; MemoryBound: 0
; FloatMode: 240
; IeeeMode: 1
; LDSByteSize: 0 bytes/workgroup (compile time only)
; SGPRBlocks: 0
; VGPRBlocks: 0
; NumSGPRsForWavesPerEU: 13
; NumVGPRsForWavesPerEU: 9
; NamedBarCnt: 0
; Occupancy: 16
; WaveLimiterHint : 0
; COMPUTE_PGM_RSRC2:SCRATCH_EN: 0
; COMPUTE_PGM_RSRC2:USER_SGPR: 2
; COMPUTE_PGM_RSRC2:TRAP_HANDLER: 0
; COMPUTE_PGM_RSRC2:TGID_X_EN: 1
; COMPUTE_PGM_RSRC2:TGID_Y_EN: 0
; COMPUTE_PGM_RSRC2:TGID_Z_EN: 0
; COMPUTE_PGM_RSRC2:TIDIG_COMP_CNT: 0
	.section	.text._ZN7rocprim17ROCPRIM_400000_NS6detail17trampoline_kernelINS0_13select_configILj256ELj13ELNS0_17block_load_methodE3ELS4_3ELS4_3ELNS0_20block_scan_algorithmE0ELj4294967295EEENS1_25partition_config_selectorILNS1_17partition_subalgoE4EjNS0_10empty_typeEbEEZZNS1_14partition_implILS8_4ELb0ES6_15HIP_vector_typeIjLj2EENS0_17counting_iteratorIjlEEPS9_SG_NS0_5tupleIJPjSI_NS0_16reverse_iteratorISI_EEEEENSH_IJSG_SG_SG_EEES9_SI_JZNS1_25segmented_radix_sort_implINS0_14default_configELb1EPKhPhPKlPlN2at6native12_GLOBAL__N_18offset_tEEE10hipError_tPvRmT1_PNSt15iterator_traitsIS12_E10value_typeET2_T3_PNS13_IS18_E10value_typeET4_jRbjT5_S1E_jjP12ihipStream_tbEUljE_ZNSN_ISO_Lb1ESQ_SR_ST_SU_SY_EESZ_S10_S11_S12_S16_S17_S18_S1B_S1C_jS1D_jS1E_S1E_jjS1G_bEUljE0_EEESZ_S10_S11_S18_S1C_S1E_T6_T7_T9_mT8_S1G_bDpT10_ENKUlT_T0_E_clISt17integral_constantIbLb0EES1U_EEDaS1P_S1Q_EUlS1P_E_NS1_11comp_targetILNS1_3genE0ELNS1_11target_archE4294967295ELNS1_3gpuE0ELNS1_3repE0EEENS1_30default_config_static_selectorELNS0_4arch9wavefront6targetE0EEEvS12_,"axG",@progbits,_ZN7rocprim17ROCPRIM_400000_NS6detail17trampoline_kernelINS0_13select_configILj256ELj13ELNS0_17block_load_methodE3ELS4_3ELS4_3ELNS0_20block_scan_algorithmE0ELj4294967295EEENS1_25partition_config_selectorILNS1_17partition_subalgoE4EjNS0_10empty_typeEbEEZZNS1_14partition_implILS8_4ELb0ES6_15HIP_vector_typeIjLj2EENS0_17counting_iteratorIjlEEPS9_SG_NS0_5tupleIJPjSI_NS0_16reverse_iteratorISI_EEEEENSH_IJSG_SG_SG_EEES9_SI_JZNS1_25segmented_radix_sort_implINS0_14default_configELb1EPKhPhPKlPlN2at6native12_GLOBAL__N_18offset_tEEE10hipError_tPvRmT1_PNSt15iterator_traitsIS12_E10value_typeET2_T3_PNS13_IS18_E10value_typeET4_jRbjT5_S1E_jjP12ihipStream_tbEUljE_ZNSN_ISO_Lb1ESQ_SR_ST_SU_SY_EESZ_S10_S11_S12_S16_S17_S18_S1B_S1C_jS1D_jS1E_S1E_jjS1G_bEUljE0_EEESZ_S10_S11_S18_S1C_S1E_T6_T7_T9_mT8_S1G_bDpT10_ENKUlT_T0_E_clISt17integral_constantIbLb0EES1U_EEDaS1P_S1Q_EUlS1P_E_NS1_11comp_targetILNS1_3genE0ELNS1_11target_archE4294967295ELNS1_3gpuE0ELNS1_3repE0EEENS1_30default_config_static_selectorELNS0_4arch9wavefront6targetE0EEEvS12_,comdat
	.globl	_ZN7rocprim17ROCPRIM_400000_NS6detail17trampoline_kernelINS0_13select_configILj256ELj13ELNS0_17block_load_methodE3ELS4_3ELS4_3ELNS0_20block_scan_algorithmE0ELj4294967295EEENS1_25partition_config_selectorILNS1_17partition_subalgoE4EjNS0_10empty_typeEbEEZZNS1_14partition_implILS8_4ELb0ES6_15HIP_vector_typeIjLj2EENS0_17counting_iteratorIjlEEPS9_SG_NS0_5tupleIJPjSI_NS0_16reverse_iteratorISI_EEEEENSH_IJSG_SG_SG_EEES9_SI_JZNS1_25segmented_radix_sort_implINS0_14default_configELb1EPKhPhPKlPlN2at6native12_GLOBAL__N_18offset_tEEE10hipError_tPvRmT1_PNSt15iterator_traitsIS12_E10value_typeET2_T3_PNS13_IS18_E10value_typeET4_jRbjT5_S1E_jjP12ihipStream_tbEUljE_ZNSN_ISO_Lb1ESQ_SR_ST_SU_SY_EESZ_S10_S11_S12_S16_S17_S18_S1B_S1C_jS1D_jS1E_S1E_jjS1G_bEUljE0_EEESZ_S10_S11_S18_S1C_S1E_T6_T7_T9_mT8_S1G_bDpT10_ENKUlT_T0_E_clISt17integral_constantIbLb0EES1U_EEDaS1P_S1Q_EUlS1P_E_NS1_11comp_targetILNS1_3genE0ELNS1_11target_archE4294967295ELNS1_3gpuE0ELNS1_3repE0EEENS1_30default_config_static_selectorELNS0_4arch9wavefront6targetE0EEEvS12_ ; -- Begin function _ZN7rocprim17ROCPRIM_400000_NS6detail17trampoline_kernelINS0_13select_configILj256ELj13ELNS0_17block_load_methodE3ELS4_3ELS4_3ELNS0_20block_scan_algorithmE0ELj4294967295EEENS1_25partition_config_selectorILNS1_17partition_subalgoE4EjNS0_10empty_typeEbEEZZNS1_14partition_implILS8_4ELb0ES6_15HIP_vector_typeIjLj2EENS0_17counting_iteratorIjlEEPS9_SG_NS0_5tupleIJPjSI_NS0_16reverse_iteratorISI_EEEEENSH_IJSG_SG_SG_EEES9_SI_JZNS1_25segmented_radix_sort_implINS0_14default_configELb1EPKhPhPKlPlN2at6native12_GLOBAL__N_18offset_tEEE10hipError_tPvRmT1_PNSt15iterator_traitsIS12_E10value_typeET2_T3_PNS13_IS18_E10value_typeET4_jRbjT5_S1E_jjP12ihipStream_tbEUljE_ZNSN_ISO_Lb1ESQ_SR_ST_SU_SY_EESZ_S10_S11_S12_S16_S17_S18_S1B_S1C_jS1D_jS1E_S1E_jjS1G_bEUljE0_EEESZ_S10_S11_S18_S1C_S1E_T6_T7_T9_mT8_S1G_bDpT10_ENKUlT_T0_E_clISt17integral_constantIbLb0EES1U_EEDaS1P_S1Q_EUlS1P_E_NS1_11comp_targetILNS1_3genE0ELNS1_11target_archE4294967295ELNS1_3gpuE0ELNS1_3repE0EEENS1_30default_config_static_selectorELNS0_4arch9wavefront6targetE0EEEvS12_
	.p2align	8
	.type	_ZN7rocprim17ROCPRIM_400000_NS6detail17trampoline_kernelINS0_13select_configILj256ELj13ELNS0_17block_load_methodE3ELS4_3ELS4_3ELNS0_20block_scan_algorithmE0ELj4294967295EEENS1_25partition_config_selectorILNS1_17partition_subalgoE4EjNS0_10empty_typeEbEEZZNS1_14partition_implILS8_4ELb0ES6_15HIP_vector_typeIjLj2EENS0_17counting_iteratorIjlEEPS9_SG_NS0_5tupleIJPjSI_NS0_16reverse_iteratorISI_EEEEENSH_IJSG_SG_SG_EEES9_SI_JZNS1_25segmented_radix_sort_implINS0_14default_configELb1EPKhPhPKlPlN2at6native12_GLOBAL__N_18offset_tEEE10hipError_tPvRmT1_PNSt15iterator_traitsIS12_E10value_typeET2_T3_PNS13_IS18_E10value_typeET4_jRbjT5_S1E_jjP12ihipStream_tbEUljE_ZNSN_ISO_Lb1ESQ_SR_ST_SU_SY_EESZ_S10_S11_S12_S16_S17_S18_S1B_S1C_jS1D_jS1E_S1E_jjS1G_bEUljE0_EEESZ_S10_S11_S18_S1C_S1E_T6_T7_T9_mT8_S1G_bDpT10_ENKUlT_T0_E_clISt17integral_constantIbLb0EES1U_EEDaS1P_S1Q_EUlS1P_E_NS1_11comp_targetILNS1_3genE0ELNS1_11target_archE4294967295ELNS1_3gpuE0ELNS1_3repE0EEENS1_30default_config_static_selectorELNS0_4arch9wavefront6targetE0EEEvS12_,@function
_ZN7rocprim17ROCPRIM_400000_NS6detail17trampoline_kernelINS0_13select_configILj256ELj13ELNS0_17block_load_methodE3ELS4_3ELS4_3ELNS0_20block_scan_algorithmE0ELj4294967295EEENS1_25partition_config_selectorILNS1_17partition_subalgoE4EjNS0_10empty_typeEbEEZZNS1_14partition_implILS8_4ELb0ES6_15HIP_vector_typeIjLj2EENS0_17counting_iteratorIjlEEPS9_SG_NS0_5tupleIJPjSI_NS0_16reverse_iteratorISI_EEEEENSH_IJSG_SG_SG_EEES9_SI_JZNS1_25segmented_radix_sort_implINS0_14default_configELb1EPKhPhPKlPlN2at6native12_GLOBAL__N_18offset_tEEE10hipError_tPvRmT1_PNSt15iterator_traitsIS12_E10value_typeET2_T3_PNS13_IS18_E10value_typeET4_jRbjT5_S1E_jjP12ihipStream_tbEUljE_ZNSN_ISO_Lb1ESQ_SR_ST_SU_SY_EESZ_S10_S11_S12_S16_S17_S18_S1B_S1C_jS1D_jS1E_S1E_jjS1G_bEUljE0_EEESZ_S10_S11_S18_S1C_S1E_T6_T7_T9_mT8_S1G_bDpT10_ENKUlT_T0_E_clISt17integral_constantIbLb0EES1U_EEDaS1P_S1Q_EUlS1P_E_NS1_11comp_targetILNS1_3genE0ELNS1_11target_archE4294967295ELNS1_3gpuE0ELNS1_3repE0EEENS1_30default_config_static_selectorELNS0_4arch9wavefront6targetE0EEEvS12_: ; @_ZN7rocprim17ROCPRIM_400000_NS6detail17trampoline_kernelINS0_13select_configILj256ELj13ELNS0_17block_load_methodE3ELS4_3ELS4_3ELNS0_20block_scan_algorithmE0ELj4294967295EEENS1_25partition_config_selectorILNS1_17partition_subalgoE4EjNS0_10empty_typeEbEEZZNS1_14partition_implILS8_4ELb0ES6_15HIP_vector_typeIjLj2EENS0_17counting_iteratorIjlEEPS9_SG_NS0_5tupleIJPjSI_NS0_16reverse_iteratorISI_EEEEENSH_IJSG_SG_SG_EEES9_SI_JZNS1_25segmented_radix_sort_implINS0_14default_configELb1EPKhPhPKlPlN2at6native12_GLOBAL__N_18offset_tEEE10hipError_tPvRmT1_PNSt15iterator_traitsIS12_E10value_typeET2_T3_PNS13_IS18_E10value_typeET4_jRbjT5_S1E_jjP12ihipStream_tbEUljE_ZNSN_ISO_Lb1ESQ_SR_ST_SU_SY_EESZ_S10_S11_S12_S16_S17_S18_S1B_S1C_jS1D_jS1E_S1E_jjS1G_bEUljE0_EEESZ_S10_S11_S18_S1C_S1E_T6_T7_T9_mT8_S1G_bDpT10_ENKUlT_T0_E_clISt17integral_constantIbLb0EES1U_EEDaS1P_S1Q_EUlS1P_E_NS1_11comp_targetILNS1_3genE0ELNS1_11target_archE4294967295ELNS1_3gpuE0ELNS1_3repE0EEENS1_30default_config_static_selectorELNS0_4arch9wavefront6targetE0EEEvS12_
; %bb.0:
	s_clause 0x4
	s_load_b128 s[24:27], s[0:1], 0x58
	s_load_b32 s4, s[0:1], 0x80
	s_load_b64 s[34:35], s[0:1], 0x10
	s_load_b64 s[2:3], s[0:1], 0x68
	s_load_b32 s8, s[0:1], 0x8
	s_bfe_u32 s5, ttmp6, 0x4000c
	s_and_b32 s6, ttmp6, 15
	s_add_co_i32 s5, s5, 1
	s_getreg_b32 s7, hwreg(HW_REG_IB_STS2, 6, 4)
	s_mul_i32 s5, ttmp9, s5
	s_load_b64 s[42:43], s[0:1], 0xa8
	s_add_co_i32 s6, s6, s5
	s_cmp_eq_u32 s7, 0
	s_load_b256 s[16:23], s[0:1], 0x88
	s_cselect_b32 s33, ttmp9, s6
	s_mov_b32 s5, 0
	s_mul_i32 s40, s33, 0xd00
	s_wait_kmcnt 0x0
	s_add_co_i32 s9, s4, -1
	s_mulk_i32 s4, 0xd00
	s_load_b128 s[28:31], s[26:27], 0x0
	s_cmp_eq_u32 s33, s9
	s_add_nc_u64 s[6:7], s[34:35], s[4:5]
	s_cselect_b32 s15, -1, 0
	s_cmp_lg_u32 s33, s9
	v_cmp_gt_u64_e64 s3, s[2:3], s[6:7]
	s_cselect_b32 s5, -1, 0
	s_add_co_i32 s6, s8, s40
	s_delay_alu instid0(SALU_CYCLE_1) | instskip(NEXT) | instid1(SALU_CYCLE_1)
	s_add_co_i32 s6, s6, s34
	v_add_nc_u32_e32 v1, s6, v0
	s_or_b32 s3, s5, s3
	s_mov_b32 s5, -1
	s_and_b32 vcc_lo, exec_lo, s3
	s_delay_alu instid0(VALU_DEP_1)
	v_add_nc_u32_e32 v2, 0x100, v1
	v_add_nc_u32_e32 v3, 0x200, v1
	;; [unrolled: 1-line block ×12, first 2 shown]
	s_cbranch_vccz .LBB4_2
; %bb.1:
	v_lshlrev_b32_e32 v14, 2, v0
	s_mov_b32 s5, 0
	ds_store_2addr_stride64_b32 v14, v1, v2 offset1:4
	ds_store_2addr_stride64_b32 v14, v3, v4 offset0:8 offset1:12
	ds_store_2addr_stride64_b32 v14, v5, v6 offset0:16 offset1:20
	;; [unrolled: 1-line block ×5, first 2 shown]
	ds_store_b32 v14, v13 offset:12288
	s_wait_dscnt 0x0
	s_barrier_signal -1
	s_barrier_wait -1
.LBB4_2:
	s_and_not1_b32 vcc_lo, exec_lo, s5
	s_add_co_i32 s4, s4, s34
	s_cbranch_vccnz .LBB4_4
; %bb.3:
	v_lshlrev_b32_e32 v14, 2, v0
	ds_store_2addr_stride64_b32 v14, v1, v2 offset1:4
	ds_store_2addr_stride64_b32 v14, v3, v4 offset0:8 offset1:12
	ds_store_2addr_stride64_b32 v14, v5, v6 offset0:16 offset1:20
	;; [unrolled: 1-line block ×5, first 2 shown]
	ds_store_b32 v14, v13 offset:12288
	s_wait_dscnt 0x0
	s_barrier_signal -1
	s_barrier_wait -1
.LBB4_4:
	v_mul_u32_u24_e32 v30, 13, v0
	s_load_b128 s[36:39], s[0:1], 0x28
	s_wait_xcnt 0x0
	s_load_b64 s[26:27], s[0:1], 0x38
	v_cndmask_b32_e64 v29, 0, 1, s3
	s_sub_co_i32 s41, s2, s4
	v_lshlrev_b32_e32 v1, 2, v30
	s_and_not1_b32 vcc_lo, exec_lo, s3
	ds_load_b32 v28, v1 offset:48
	ds_load_2addr_b32 v[10:11], v1 offset0:10 offset1:11
	ds_load_2addr_b32 v[12:13], v1 offset0:8 offset1:9
	;; [unrolled: 1-line block ×4, first 2 shown]
	ds_load_2addr_b32 v[20:21], v1 offset1:1
	ds_load_2addr_b32 v[18:19], v1 offset0:2 offset1:3
	s_wait_dscnt 0x0
	s_barrier_signal -1
	s_barrier_wait -1
	s_cbranch_vccnz .LBB4_32
; %bb.5:
	v_dual_add_nc_u32 v1, s17, v20 :: v_dual_add_nc_u32 v2, s19, v20
	s_mov_b32 s45, 0
	s_mov_b32 s44, 0
	s_mov_b32 s3, exec_lo
	s_delay_alu instid0(VALU_DEP_1) | instskip(SKIP_1) | instid1(VALU_DEP_1)
	v_mul_lo_u32 v1, v1, s16
	v_mul_lo_u32 v2, v2, s18
	v_sub_nc_u32_e32 v1, v1, v2
	s_delay_alu instid0(VALU_DEP_1)
	v_cmp_lt_u32_e32 vcc_lo, s20, v1
	v_cmpx_ge_u32_e64 s20, v1
	s_cbranch_execz .LBB4_7
; %bb.6:
	v_dual_add_nc_u32 v1, s22, v20 :: v_dual_add_nc_u32 v2, s42, v20
	s_delay_alu instid0(VALU_DEP_1) | instskip(NEXT) | instid1(VALU_DEP_2)
	v_mul_lo_u32 v1, v1, s21
	v_mul_lo_u32 v2, v2, s23
	s_delay_alu instid0(VALU_DEP_1) | instskip(NEXT) | instid1(VALU_DEP_1)
	v_sub_nc_u32_e32 v1, v1, v2
	v_cmp_lt_u32_e64 s2, s43, v1
	s_and_b32 s44, s2, exec_lo
.LBB4_7:
	s_or_b32 exec_lo, exec_lo, s3
	v_dual_add_nc_u32 v1, s17, v21 :: v_dual_add_nc_u32 v2, s19, v21
	s_mov_b32 s4, exec_lo
	s_delay_alu instid0(VALU_DEP_1) | instskip(NEXT) | instid1(VALU_DEP_2)
	v_mul_lo_u32 v1, v1, s16
	v_mul_lo_u32 v2, v2, s18
	s_delay_alu instid0(VALU_DEP_1) | instskip(NEXT) | instid1(VALU_DEP_1)
	v_sub_nc_u32_e32 v1, v1, v2
	v_cmp_lt_u32_e64 s2, s20, v1
	v_cmpx_ge_u32_e64 s20, v1
	s_cbranch_execz .LBB4_9
; %bb.8:
	v_dual_add_nc_u32 v1, s22, v21 :: v_dual_add_nc_u32 v2, s42, v21
	s_delay_alu instid0(VALU_DEP_1) | instskip(NEXT) | instid1(VALU_DEP_2)
	v_mul_lo_u32 v1, v1, s21
	v_mul_lo_u32 v2, v2, s23
	s_delay_alu instid0(VALU_DEP_1) | instskip(NEXT) | instid1(VALU_DEP_1)
	v_sub_nc_u32_e32 v1, v1, v2
	v_cmp_lt_u32_e64 s3, s43, v1
	s_and_b32 s45, s3, exec_lo
.LBB4_9:
	s_or_b32 exec_lo, exec_lo, s4
	v_dual_add_nc_u32 v1, s17, v18 :: v_dual_add_nc_u32 v2, s19, v18
	s_mov_b32 s47, 0
	s_mov_b32 s46, 0
	s_mov_b32 s5, exec_lo
	s_delay_alu instid0(VALU_DEP_1) | instskip(SKIP_1) | instid1(VALU_DEP_1)
	v_mul_lo_u32 v1, v1, s16
	v_mul_lo_u32 v2, v2, s18
	v_sub_nc_u32_e32 v1, v1, v2
	s_delay_alu instid0(VALU_DEP_1)
	v_cmp_lt_u32_e64 s3, s20, v1
	v_cmpx_ge_u32_e64 s20, v1
	s_cbranch_execz .LBB4_11
; %bb.10:
	v_dual_add_nc_u32 v1, s22, v18 :: v_dual_add_nc_u32 v2, s42, v18
	s_delay_alu instid0(VALU_DEP_1) | instskip(NEXT) | instid1(VALU_DEP_2)
	v_mul_lo_u32 v1, v1, s21
	v_mul_lo_u32 v2, v2, s23
	s_delay_alu instid0(VALU_DEP_1) | instskip(NEXT) | instid1(VALU_DEP_1)
	v_sub_nc_u32_e32 v1, v1, v2
	v_cmp_lt_u32_e64 s4, s43, v1
	s_and_b32 s46, s4, exec_lo
.LBB4_11:
	s_or_b32 exec_lo, exec_lo, s5
	v_dual_add_nc_u32 v1, s17, v19 :: v_dual_add_nc_u32 v2, s19, v19
	s_mov_b32 s6, exec_lo
	s_delay_alu instid0(VALU_DEP_1) | instskip(NEXT) | instid1(VALU_DEP_2)
	v_mul_lo_u32 v1, v1, s16
	v_mul_lo_u32 v2, v2, s18
	s_delay_alu instid0(VALU_DEP_1) | instskip(NEXT) | instid1(VALU_DEP_1)
	v_sub_nc_u32_e32 v1, v1, v2
	v_cmp_lt_u32_e64 s4, s20, v1
	v_cmpx_ge_u32_e64 s20, v1
	s_cbranch_execz .LBB4_13
; %bb.12:
	v_dual_add_nc_u32 v1, s22, v19 :: v_dual_add_nc_u32 v2, s42, v19
	s_delay_alu instid0(VALU_DEP_1) | instskip(NEXT) | instid1(VALU_DEP_2)
	v_mul_lo_u32 v1, v1, s21
	v_mul_lo_u32 v2, v2, s23
	s_delay_alu instid0(VALU_DEP_1) | instskip(NEXT) | instid1(VALU_DEP_1)
	v_sub_nc_u32_e32 v1, v1, v2
	v_cmp_lt_u32_e64 s5, s43, v1
	s_and_b32 s47, s5, exec_lo
.LBB4_13:
	s_or_b32 exec_lo, exec_lo, s6
	v_dual_add_nc_u32 v1, s17, v16 :: v_dual_add_nc_u32 v2, s19, v16
	s_mov_b32 s49, 0
	s_mov_b32 s48, 0
	s_mov_b32 s7, exec_lo
	s_delay_alu instid0(VALU_DEP_1) | instskip(SKIP_1) | instid1(VALU_DEP_1)
	v_mul_lo_u32 v1, v1, s16
	v_mul_lo_u32 v2, v2, s18
	v_sub_nc_u32_e32 v1, v1, v2
	s_delay_alu instid0(VALU_DEP_1)
	v_cmp_lt_u32_e64 s5, s20, v1
	;; [unrolled: 44-line block ×6, first 2 shown]
	v_cmpx_ge_u32_e64 s20, v1
	s_cbranch_execz .LBB4_31
; %bb.30:
	v_dual_add_nc_u32 v1, s22, v28 :: v_dual_add_nc_u32 v2, s42, v28
	s_delay_alu instid0(VALU_DEP_1) | instskip(NEXT) | instid1(VALU_DEP_2)
	v_mul_lo_u32 v1, v1, s21
	v_mul_lo_u32 v2, v2, s23
	s_delay_alu instid0(VALU_DEP_1) | instskip(NEXT) | instid1(VALU_DEP_1)
	v_sub_nc_u32_e32 v1, v1, v2
	v_cmp_lt_u32_e64 s14, s43, v1
	s_and_b32 s57, s14, exec_lo
.LBB4_31:
	s_or_b32 exec_lo, exec_lo, s58
	v_cndmask_b32_e64 v2, 0, 1, s2
	v_cndmask_b32_e64 v4, 0, 1, s4
	v_cndmask_b32_e64 v1, 0, 1, vcc_lo
	v_cndmask_b32_e64 v3, 0, 1, s3
	v_cndmask_b32_e64 v6, 0, 1, s6
	v_lshlrev_b16 v2, 8, v2
	v_lshlrev_b16 v4, 8, v4
	v_cndmask_b32_e64 v8, 0, 1, s8
	v_cndmask_b32_e64 v22, 0, 1, s10
	;; [unrolled: 1-line block ×3, first 2 shown]
	v_or_b32_e32 v1, v1, v2
	v_or_b32_e32 v2, v3, v4
	v_cndmask_b32_e64 v4, 0, 1, s46
	v_cndmask_b32_e64 v5, 0, 1, s5
	;; [unrolled: 1-line block ×4, first 2 shown]
	v_lshlrev_b32_e32 v2, 16, v2
	v_and_b32_e32 v1, 0xffff, v1
	v_cndmask_b32_e64 v33, 0, 1, s50
	v_cndmask_b32_e64 v36, 0, 1, s48
	;; [unrolled: 1-line block ×4, first 2 shown]
	v_or_b32_e32 v31, v1, v2
	v_lshlrev_b16 v1, 8, v6
	v_lshlrev_b16 v2, 8, v8
	;; [unrolled: 1-line block ×5, first 2 shown]
	v_cndmask_b32_e64 v7, 0, 1, s7
	v_cndmask_b32_e64 v24, 0, 1, s56
	;; [unrolled: 1-line block ×6, first 2 shown]
	v_lshlrev_b16 v22, 8, v39
	v_or_b32_e32 v4, v37, v4
	v_or_b32_e32 v1, v5, v1
	;; [unrolled: 1-line block ×4, first 2 shown]
	v_lshlrev_b16 v8, 8, v36
	v_lshlrev_b16 v9, 8, v33
	v_cndmask_b32_e64 v26, 0, 1, s54
	v_cndmask_b32_e64 v32, 0, 1, s51
	v_lshlrev_b16 v23, 8, v24
	v_or_b32_e32 v3, v3, v8
	v_or_b32_e32 v8, v35, v9
	v_or_b32_e32 v2, v7, v2
	v_or_b32_e32 v7, v40, v22
	v_lshlrev_b16 v22, 8, v27
	v_and_b32_e32 v5, 0xffff, v5
	v_lshlrev_b32_e32 v4, 16, v4
	v_and_b32_e32 v1, 0xffff, v1
	v_and_b32_e32 v7, 0xffff, v7
	v_or_b32_e32 v9, v32, v22
	v_or_b32_e32 v22, v26, v23
	v_and_b32_e32 v3, 0xffff, v3
	v_dual_lshlrev_b32 v8, 16, v8 :: v_dual_lshlrev_b32 v2, 16, v2
	s_delay_alu instid0(VALU_DEP_4) | instskip(NEXT) | instid1(VALU_DEP_4)
	v_and_b32_e32 v9, 0xffff, v9
	v_lshlrev_b32_e32 v22, 16, v22
	v_lshlrev_b32_e32 v6, 16, v6
	v_cndmask_b32_e64 v34, 0, 1, s55
	v_cndmask_b32_e64 v38, 0, 1, s57
	v_or_b32_e32 v33, v1, v2
	v_or_b32_e32 v37, v7, v4
	v_or_b32_e32 v36, v5, v6
	v_or_b32_e32 v32, v3, v8
	v_or_b32_e32 v35, v9, v22
	s_load_b64 s[4:5], s[0:1], 0x78
	s_and_b32 vcc_lo, exec_lo, s52
	s_add_co_i32 s6, s41, 0xd00
	s_cbranch_vccnz .LBB4_33
	s_branch .LBB4_110
.LBB4_32:
                                        ; implicit-def: $vgpr38
                                        ; implicit-def: $vgpr34
                                        ; implicit-def: $vgpr35
                                        ; implicit-def: $vgpr32
                                        ; implicit-def: $vgpr37
                                        ; implicit-def: $vgpr36
                                        ; implicit-def: $vgpr33
                                        ; implicit-def: $vgpr31
	s_load_b64 s[4:5], s[0:1], 0x78
	s_add_co_i32 s6, s41, 0xd00
	s_cbranch_execz .LBB4_110
.LBB4_33:
	v_dual_mov_b32 v2, 0 :: v_dual_mov_b32 v1, 0
	s_wait_xcnt 0x0
	s_mov_b32 s1, exec_lo
	v_cmpx_gt_u32_e64 s6, v30
	s_cbranch_execz .LBB4_37
; %bb.34:
	v_dual_add_nc_u32 v1, s17, v20 :: v_dual_add_nc_u32 v2, s19, v20
	s_mov_b32 s3, 0
	s_mov_b32 s2, exec_lo
	s_delay_alu instid0(VALU_DEP_1) | instskip(NEXT) | instid1(VALU_DEP_2)
	v_mul_lo_u32 v1, v1, s16
	v_mul_lo_u32 v2, v2, s18
	s_delay_alu instid0(VALU_DEP_1) | instskip(NEXT) | instid1(VALU_DEP_1)
	v_sub_nc_u32_e32 v1, v1, v2
	v_cmp_lt_u32_e32 vcc_lo, s20, v1
	v_cmpx_ge_u32_e64 s20, v1
	s_cbranch_execz .LBB4_36
; %bb.35:
	v_dual_add_nc_u32 v1, s22, v20 :: v_dual_add_nc_u32 v2, s42, v20
	s_delay_alu instid0(VALU_DEP_1) | instskip(NEXT) | instid1(VALU_DEP_2)
	v_mul_lo_u32 v1, v1, s21
	v_mul_lo_u32 v2, v2, s23
	s_delay_alu instid0(VALU_DEP_1) | instskip(NEXT) | instid1(VALU_DEP_1)
	v_sub_nc_u32_e32 v1, v1, v2
	v_cmp_lt_u32_e64 s0, s43, v1
	s_and_b32 s3, s0, exec_lo
.LBB4_36:
	s_or_b32 exec_lo, exec_lo, s2
	v_cndmask_b32_e64 v2, 0, 1, s3
	v_cndmask_b32_e64 v1, 0, 1, vcc_lo
.LBB4_37:
	s_or_b32 exec_lo, exec_lo, s1
	s_delay_alu instid0(VALU_DEP_2) | instskip(SKIP_2) | instid1(VALU_DEP_3)
	v_lshlrev_b16 v2, 8, v2
	v_add_nc_u32_e32 v3, 1, v30
	v_lshlrev_b16 v9, 8, 0
                                        ; implicit-def: $vgpr5
                                        ; implicit-def: $vgpr7
                                        ; implicit-def: $vgpr4
                                        ; implicit-def: $vgpr8
	v_and_b32_e32 v6, 0xffff, v2
	s_delay_alu instid0(VALU_DEP_3) | instskip(NEXT) | instid1(VALU_DEP_2)
	v_cmp_le_u32_e32 vcc_lo, s6, v3
                                        ; implicit-def: $vgpr3
                                        ; implicit-def: $vgpr2
	v_lshrrev_b32_e32 v22, 8, v6
	s_and_saveexec_b32 s0, vcc_lo
	s_delay_alu instid0(SALU_CYCLE_1)
	s_xor_b32 s0, exec_lo, s0
	s_cbranch_execz .LBB4_39
; %bb.38:
	s_delay_alu instid0(VALU_DEP_1) | instskip(SKIP_3) | instid1(VALU_DEP_4)
	v_lshlrev_b16 v2, 8, v22
	v_bitop3_b16 v3, 0, v9, 0xff bitop3:0xec
	v_and_b32_e32 v8, 0xff, v1
                                        ; implicit-def: $vgpr1
                                        ; implicit-def: $vgpr9
                                        ; implicit-def: $vgpr22
	v_mov_b32_e32 v5, 0
	v_bitop3_b16 v6, v6, v2, 0xff bitop3:0xec
	v_mov_b32_e32 v2, 0
	v_and_b32_e32 v4, 0xffff, v3
	v_and_b32_e32 v3, 0xffff, v3
	s_delay_alu instid0(VALU_DEP_4)
	v_and_b32_e32 v7, 0xffff, v6
                                        ; implicit-def: $vgpr6
.LBB4_39:
	s_and_not1_saveexec_b32 s1, s0
	s_cbranch_execz .LBB4_43
; %bb.40:
	v_dual_add_nc_u32 v2, s17, v21 :: v_dual_add_nc_u32 v3, s19, v21
	s_mov_b32 s2, 0
	s_mov_b32 s3, exec_lo
	s_delay_alu instid0(VALU_DEP_1) | instskip(NEXT) | instid1(VALU_DEP_2)
	v_mul_lo_u32 v2, v2, s16
	v_mul_lo_u32 v3, v3, s18
	s_delay_alu instid0(VALU_DEP_1) | instskip(NEXT) | instid1(VALU_DEP_1)
	v_sub_nc_u32_e32 v2, v2, v3
	v_cmp_lt_u32_e32 vcc_lo, s20, v2
	v_cmpx_ge_u32_e64 s20, v2
	s_cbranch_execz .LBB4_42
; %bb.41:
	v_dual_add_nc_u32 v2, s22, v21 :: v_dual_add_nc_u32 v3, s42, v21
	s_delay_alu instid0(VALU_DEP_1) | instskip(NEXT) | instid1(VALU_DEP_2)
	v_mul_lo_u32 v2, v2, s21
	v_mul_lo_u32 v3, v3, s23
	s_delay_alu instid0(VALU_DEP_1) | instskip(NEXT) | instid1(VALU_DEP_1)
	v_sub_nc_u32_e32 v2, v2, v3
	v_cmp_lt_u32_e64 s0, s43, v2
	s_and_b32 s2, s0, exec_lo
.LBB4_42:
	s_or_b32 exec_lo, exec_lo, s3
	v_cndmask_b32_e64 v2, 0, 1, vcc_lo
	v_lshlrev_b16 v3, 8, v22
	v_cndmask_b32_e64 v7, 0, 1, s2
	v_mov_b32_e32 v5, 0
	s_delay_alu instid0(VALU_DEP_4) | instskip(NEXT) | instid1(VALU_DEP_4)
	v_lshlrev_b16 v2, 8, v2
	v_bitop3_b16 v3, v6, v3, 0xff bitop3:0xec
	v_bitop3_b16 v6, 0, v9, 0xff bitop3:0xec
	s_delay_alu instid0(VALU_DEP_3) | instskip(NEXT) | instid1(VALU_DEP_3)
	v_bitop3_b16 v1, v1, v2, 0xff bitop3:0xec
	v_and_b32_e32 v3, 0xffff, v3
	v_mov_b32_e32 v2, 0
	s_delay_alu instid0(VALU_DEP_4) | instskip(NEXT) | instid1(VALU_DEP_4)
	v_and_b32_e32 v4, 0xffff, v6
	v_and_b32_e32 v8, 0xffff, v1
	s_delay_alu instid0(VALU_DEP_4)
	v_lshl_or_b32 v7, v7, 16, v3
	v_and_b32_e32 v3, 0xffff, v6
.LBB4_43:
	s_or_b32 exec_lo, exec_lo, s1
	s_delay_alu instid0(VALU_DEP_3) | instskip(NEXT) | instid1(VALU_DEP_1)
	v_dual_add_nc_u32 v1, 2, v30 :: v_dual_lshrrev_b32 v9, 8, v8
                                        ; implicit-def: $vgpr6
	v_cmp_le_u32_e32 vcc_lo, s6, v1
                                        ; implicit-def: $vgpr1
	s_and_saveexec_b32 s0, vcc_lo
	s_delay_alu instid0(SALU_CYCLE_1)
	s_xor_b32 s0, exec_lo, s0
	s_cbranch_execz .LBB4_45
; %bb.44:
	v_lshlrev_b16 v1, 8, v9
	v_and_b32_e32 v9, 0xff0000, v7
	v_perm_b32 v4, v4, v4, 0x3060504
	s_delay_alu instid0(VALU_DEP_3) | instskip(NEXT) | instid1(VALU_DEP_1)
	v_bitop3_b16 v1, v8, v1, 0xff bitop3:0xec
	v_and_b32_e32 v1, 0xffff, v1
	s_delay_alu instid0(VALU_DEP_1)
	v_and_or_b32 v6, 0xff000000, v8, v1
	v_perm_b32 v1, v7, v9, 0x3020504
                                        ; implicit-def: $vgpr9
                                        ; implicit-def: $vgpr8
                                        ; implicit-def: $vgpr7
.LBB4_45:
	s_and_not1_saveexec_b32 s1, s0
	s_cbranch_execz .LBB4_49
; %bb.46:
	v_dual_add_nc_u32 v1, s17, v18 :: v_dual_add_nc_u32 v6, s19, v18
	s_mov_b32 s2, 0
	s_mov_b32 s3, exec_lo
	s_delay_alu instid0(VALU_DEP_1) | instskip(NEXT) | instid1(VALU_DEP_2)
	v_mul_lo_u32 v1, v1, s16
	v_mul_lo_u32 v6, v6, s18
	s_delay_alu instid0(VALU_DEP_1) | instskip(NEXT) | instid1(VALU_DEP_1)
	v_sub_nc_u32_e32 v1, v1, v6
	v_cmp_lt_u32_e32 vcc_lo, s20, v1
	v_cmpx_ge_u32_e64 s20, v1
	s_cbranch_execz .LBB4_48
; %bb.47:
	v_dual_add_nc_u32 v1, s22, v18 :: v_dual_add_nc_u32 v6, s42, v18
	s_delay_alu instid0(VALU_DEP_1) | instskip(NEXT) | instid1(VALU_DEP_2)
	v_mul_lo_u32 v1, v1, s21
	v_mul_lo_u32 v6, v6, s23
	s_delay_alu instid0(VALU_DEP_1) | instskip(NEXT) | instid1(VALU_DEP_1)
	v_sub_nc_u32_e32 v1, v1, v6
	v_cmp_lt_u32_e64 s0, s43, v1
	s_and_b32 s2, s0, exec_lo
.LBB4_48:
	s_or_b32 exec_lo, exec_lo, s3
	v_dual_lshrrev_b32 v1, 24, v8 :: v_dual_lshrrev_b32 v23, 8, v7
	v_cndmask_b32_e64 v6, 0, 1, s2
	v_cndmask_b32_e64 v22, 0, 1, vcc_lo
	v_lshlrev_b16 v9, 8, v9
	s_delay_alu instid0(VALU_DEP_4)
	v_lshlrev_b16 v1, 8, v1
	v_lshrrev_b32_e32 v24, 16, v7
	v_lshlrev_b16 v6, 8, v6
	v_lshlrev_b16 v23, 8, v23
	v_bitop3_b16 v8, v8, v9, 0xff bitop3:0xec
	v_or_b32_e32 v1, v22, v1
	s_delay_alu instid0(VALU_DEP_4) | instskip(NEXT) | instid1(VALU_DEP_4)
	v_bitop3_b16 v6, v24, v6, 0xff bitop3:0xec
	v_bitop3_b16 v7, v7, v23, 0xff bitop3:0xec
	s_delay_alu instid0(VALU_DEP_4) | instskip(NEXT) | instid1(VALU_DEP_3)
	v_and_b32_e32 v8, 0xffff, v8
	v_dual_lshlrev_b32 v1, 16, v1 :: v_dual_lshlrev_b32 v9, 16, v6
	s_delay_alu instid0(VALU_DEP_3) | instskip(NEXT) | instid1(VALU_DEP_2)
	v_and_b32_e32 v7, 0xffff, v7
	v_or_b32_e32 v6, v8, v1
	s_delay_alu instid0(VALU_DEP_2)
	v_or_b32_e32 v1, v7, v9
.LBB4_49:
	s_or_b32 exec_lo, exec_lo, s1
	v_dual_add_nc_u32 v8, 3, v30 :: v_dual_lshrrev_b32 v9, 24, v5
	v_lshrrev_b32_e32 v7, 16, v5
                                        ; implicit-def: $vgpr31
	s_delay_alu instid0(VALU_DEP_2) | instskip(SKIP_2) | instid1(SALU_CYCLE_1)
	v_cmp_le_u32_e32 vcc_lo, s6, v8
	v_lshrrev_b32_e32 v8, 8, v5
                                        ; implicit-def: $vgpr5
	s_and_saveexec_b32 s0, vcc_lo
	s_xor_b32 s0, exec_lo, s0
	s_cbranch_execz .LBB4_51
; %bb.50:
	v_lshlrev_b16 v5, 8, v9
	v_lshlrev_b16 v8, 8, v8
	v_perm_b32 v4, v4, v4, 0x3060504
	v_perm_b32 v3, v3, v3, 0x3060504
                                        ; implicit-def: $vgpr9
	s_delay_alu instid0(VALU_DEP_4) | instskip(SKIP_2) | instid1(VALU_DEP_3)
	v_bitop3_b16 v5, v7, v5, 0xff bitop3:0xec
	v_and_b32_e32 v7, 0xff0000, v6
	v_and_b32_e32 v8, 0xffff, v8
	v_lshlrev_b32_e32 v5, 16, v5
	s_delay_alu instid0(VALU_DEP_3) | instskip(NEXT) | instid1(VALU_DEP_2)
	v_perm_b32 v31, v6, v7, 0x3020504
                                        ; implicit-def: $vgpr6
                                        ; implicit-def: $vgpr7
	v_or_b32_e32 v5, v8, v5
                                        ; implicit-def: $vgpr8
.LBB4_51:
	s_and_not1_saveexec_b32 s1, s0
	s_cbranch_execz .LBB4_55
; %bb.52:
	v_dual_add_nc_u32 v5, s17, v19 :: v_dual_add_nc_u32 v22, s19, v19
	s_mov_b32 s2, 0
	s_mov_b32 s3, exec_lo
	s_delay_alu instid0(VALU_DEP_1) | instskip(NEXT) | instid1(VALU_DEP_2)
	v_mul_lo_u32 v5, v5, s16
	v_mul_lo_u32 v22, v22, s18
	s_delay_alu instid0(VALU_DEP_1) | instskip(NEXT) | instid1(VALU_DEP_1)
	v_sub_nc_u32_e32 v5, v5, v22
	v_cmp_lt_u32_e32 vcc_lo, s20, v5
	v_cmpx_ge_u32_e64 s20, v5
	s_cbranch_execz .LBB4_54
; %bb.53:
	v_dual_add_nc_u32 v5, s22, v19 :: v_dual_add_nc_u32 v22, s42, v19
	s_delay_alu instid0(VALU_DEP_1) | instskip(NEXT) | instid1(VALU_DEP_2)
	v_mul_lo_u32 v5, v5, s21
	v_mul_lo_u32 v22, v22, s23
	s_delay_alu instid0(VALU_DEP_1) | instskip(NEXT) | instid1(VALU_DEP_1)
	v_sub_nc_u32_e32 v5, v5, v22
	v_cmp_lt_u32_e64 s0, s43, v5
	s_and_b32 s2, s0, exec_lo
.LBB4_54:
	s_or_b32 exec_lo, exec_lo, s3
	v_cndmask_b32_e64 v5, 0, 1, vcc_lo
	v_dual_lshrrev_b32 v22, 8, v6 :: v_dual_lshrrev_b32 v24, 16, v6
	v_cndmask_b32_e64 v23, 0, 1, s2
	v_lshlrev_b16 v9, 8, v9
	s_delay_alu instid0(VALU_DEP_4) | instskip(NEXT) | instid1(VALU_DEP_4)
	v_lshlrev_b16 v5, 8, v5
	v_lshlrev_b16 v22, 8, v22
	;; [unrolled: 1-line block ×3, first 2 shown]
	s_delay_alu instid0(VALU_DEP_4) | instskip(NEXT) | instid1(VALU_DEP_4)
	v_bitop3_b16 v7, v7, v9, 0xff bitop3:0xec
	v_bitop3_b16 v5, v24, v5, 0xff bitop3:0xec
	s_delay_alu instid0(VALU_DEP_4) | instskip(NEXT) | instid1(VALU_DEP_3)
	v_bitop3_b16 v6, v6, v22, 0xff bitop3:0xec
	v_dual_lshlrev_b32 v7, 16, v7 :: v_dual_bitop2_b32 v8, v23, v8 bitop3:0x54
	s_delay_alu instid0(VALU_DEP_3) | instskip(NEXT) | instid1(VALU_DEP_3)
	v_lshlrev_b32_e32 v5, 16, v5
	v_and_b32_e32 v6, 0xffff, v6
	s_delay_alu instid0(VALU_DEP_3) | instskip(NEXT) | instid1(VALU_DEP_2)
	v_and_b32_e32 v8, 0xffff, v8
	v_or_b32_e32 v31, v6, v5
	s_delay_alu instid0(VALU_DEP_2)
	v_or_b32_e32 v5, v8, v7
.LBB4_55:
	s_or_b32 exec_lo, exec_lo, s1
	v_dual_add_nc_u32 v6, 4, v30 :: v_dual_lshrrev_b32 v22, 8, v4
	v_dual_lshrrev_b32 v7, 16, v4 :: v_dual_lshrrev_b32 v23, 24, v4
	s_delay_alu instid0(VALU_DEP_3) | instskip(NEXT) | instid1(VALU_DEP_3)
	v_dual_lshrrev_b32 v9, 24, v5 :: v_dual_lshrrev_b32 v8, 16, v5
	v_cmp_le_u32_e32 vcc_lo, s6, v6
                                        ; implicit-def: $vgpr4
                                        ; implicit-def: $vgpr6
	s_and_saveexec_b32 s0, vcc_lo
	s_delay_alu instid0(SALU_CYCLE_1)
	s_xor_b32 s0, exec_lo, s0
	s_cbranch_execz .LBB4_57
; %bb.56:
	v_lshlrev_b16 v4, 8, v23
	v_lshlrev_b16 v6, 8, v22
	;; [unrolled: 1-line block ×3, first 2 shown]
	v_perm_b32 v3, v3, v3, 0x3060504
                                        ; implicit-def: $vgpr22
                                        ; implicit-def: $vgpr23
	s_delay_alu instid0(VALU_DEP_4) | instskip(NEXT) | instid1(VALU_DEP_4)
	v_bitop3_b16 v4, v7, v4, 0xff bitop3:0xec
	v_and_b32_e32 v6, 0xffff, v6
	s_delay_alu instid0(VALU_DEP_4) | instskip(NEXT) | instid1(VALU_DEP_3)
	v_bitop3_b16 v7, v8, v9, 0xff bitop3:0xec
                                        ; implicit-def: $vgpr9
	v_lshlrev_b32_e32 v8, 16, v4
	s_delay_alu instid0(VALU_DEP_2) | instskip(NEXT) | instid1(VALU_DEP_2)
	v_perm_b32 v4, v7, v5, 0x5040c00
                                        ; implicit-def: $vgpr5
                                        ; implicit-def: $vgpr7
	v_or_b32_e32 v6, v6, v8
                                        ; implicit-def: $vgpr8
.LBB4_57:
	s_and_not1_saveexec_b32 s1, s0
	s_cbranch_execz .LBB4_61
; %bb.58:
	v_dual_add_nc_u32 v4, s17, v16 :: v_dual_add_nc_u32 v6, s19, v16
	s_mov_b32 s2, 0
	s_mov_b32 s3, exec_lo
	s_delay_alu instid0(VALU_DEP_1) | instskip(NEXT) | instid1(VALU_DEP_2)
	v_mul_lo_u32 v4, v4, s16
	v_mul_lo_u32 v6, v6, s18
	s_delay_alu instid0(VALU_DEP_1) | instskip(NEXT) | instid1(VALU_DEP_1)
	v_sub_nc_u32_e32 v4, v4, v6
	v_cmp_lt_u32_e32 vcc_lo, s20, v4
	v_cmpx_ge_u32_e64 s20, v4
	s_cbranch_execz .LBB4_60
; %bb.59:
	v_dual_add_nc_u32 v4, s22, v16 :: v_dual_add_nc_u32 v6, s42, v16
	s_delay_alu instid0(VALU_DEP_1) | instskip(NEXT) | instid1(VALU_DEP_2)
	v_mul_lo_u32 v4, v4, s21
	v_mul_lo_u32 v6, v6, s23
	s_delay_alu instid0(VALU_DEP_1) | instskip(NEXT) | instid1(VALU_DEP_1)
	v_sub_nc_u32_e32 v4, v4, v6
	v_cmp_lt_u32_e64 s0, s43, v4
	s_and_b32 s2, s0, exec_lo
.LBB4_60:
	s_or_b32 exec_lo, exec_lo, s3
	v_cndmask_b32_e64 v4, 0, 1, s2
	v_cndmask_b32_e64 v6, 0, 1, vcc_lo
	v_lshlrev_b16 v23, 8, v23
	v_lshlrev_b16 v22, 8, v22
	;; [unrolled: 1-line block ×4, first 2 shown]
	s_delay_alu instid0(VALU_DEP_4) | instskip(NEXT) | instid1(VALU_DEP_4)
	v_bitop3_b16 v7, v7, v23, 0xff bitop3:0xec
	v_or_b32_e32 v6, v6, v22
	s_delay_alu instid0(VALU_DEP_4) | instskip(NEXT) | instid1(VALU_DEP_4)
	v_bitop3_b16 v8, v8, v9, 0xff bitop3:0xec
	v_bitop3_b16 v4, v5, v4, 0xff bitop3:0xec
	s_delay_alu instid0(VALU_DEP_4) | instskip(NEXT) | instid1(VALU_DEP_4)
	v_lshlrev_b32_e32 v5, 16, v7
	v_and_b32_e32 v6, 0xffff, v6
	s_delay_alu instid0(VALU_DEP_4) | instskip(NEXT) | instid1(VALU_DEP_4)
	v_lshlrev_b32_e32 v7, 16, v8
	v_and_b32_e32 v4, 0xffff, v4
	s_delay_alu instid0(VALU_DEP_3) | instskip(NEXT) | instid1(VALU_DEP_2)
	v_or_b32_e32 v6, v6, v5
	v_or_b32_e32 v4, v4, v7
.LBB4_61:
	s_or_b32 exec_lo, exec_lo, s1
	s_delay_alu instid0(VALU_DEP_1) | instskip(NEXT) | instid1(VALU_DEP_2)
	v_dual_add_nc_u32 v5, 5, v30 :: v_dual_lshrrev_b32 v22, 8, v4
	v_dual_lshrrev_b32 v8, 16, v6 :: v_dual_lshrrev_b32 v9, 24, v6
                                        ; implicit-def: $vgpr7
	s_delay_alu instid0(VALU_DEP_2) | instskip(SKIP_1) | instid1(SALU_CYCLE_1)
	v_cmp_le_u32_e32 vcc_lo, s6, v5
                                        ; implicit-def: $vgpr5
	s_and_saveexec_b32 s0, vcc_lo
	s_xor_b32 s0, exec_lo, s0
	s_cbranch_execz .LBB4_63
; %bb.62:
	v_lshlrev_b16 v5, 8, v22
	v_lshlrev_b16 v7, 8, v9
	v_perm_b32 v3, v3, v3, 0x3060504
                                        ; implicit-def: $vgpr9
                                        ; implicit-def: $vgpr22
	s_delay_alu instid0(VALU_DEP_3) | instskip(NEXT) | instid1(VALU_DEP_3)
	v_bitop3_b16 v5, v4, v5, 0xff bitop3:0xec
	v_bitop3_b16 v7, v8, v7, 0xff bitop3:0xec
                                        ; implicit-def: $vgpr8
	s_delay_alu instid0(VALU_DEP_2) | instskip(NEXT) | instid1(VALU_DEP_2)
	v_and_b32_e32 v5, 0xffff, v5
	v_perm_b32 v7, v7, v6, 0x5040c00
                                        ; implicit-def: $vgpr6
	s_delay_alu instid0(VALU_DEP_2)
	v_and_or_b32 v5, 0xff000000, v4, v5
                                        ; implicit-def: $vgpr4
.LBB4_63:
	s_and_not1_saveexec_b32 s1, s0
	s_cbranch_execz .LBB4_67
; %bb.64:
	v_dual_add_nc_u32 v5, s17, v17 :: v_dual_add_nc_u32 v7, s19, v17
	s_mov_b32 s2, 0
	s_mov_b32 s3, exec_lo
	s_delay_alu instid0(VALU_DEP_1) | instskip(NEXT) | instid1(VALU_DEP_2)
	v_mul_lo_u32 v5, v5, s16
	v_mul_lo_u32 v7, v7, s18
	s_delay_alu instid0(VALU_DEP_1) | instskip(NEXT) | instid1(VALU_DEP_1)
	v_sub_nc_u32_e32 v5, v5, v7
	v_cmp_lt_u32_e32 vcc_lo, s20, v5
	v_cmpx_ge_u32_e64 s20, v5
	s_cbranch_execz .LBB4_66
; %bb.65:
	v_dual_add_nc_u32 v5, s22, v17 :: v_dual_add_nc_u32 v7, s42, v17
	s_delay_alu instid0(VALU_DEP_1) | instskip(NEXT) | instid1(VALU_DEP_2)
	v_mul_lo_u32 v5, v5, s21
	v_mul_lo_u32 v7, v7, s23
	s_delay_alu instid0(VALU_DEP_1) | instskip(NEXT) | instid1(VALU_DEP_1)
	v_sub_nc_u32_e32 v5, v5, v7
	v_cmp_lt_u32_e64 s0, s43, v5
	s_and_b32 s2, s0, exec_lo
.LBB4_66:
	s_or_b32 exec_lo, exec_lo, s3
	v_cndmask_b32_e64 v5, 0, 1, vcc_lo
	v_lshrrev_b32_e32 v7, 24, v4
	v_cndmask_b32_e64 v23, 0, 1, s2
	v_lshlrev_b16 v9, 8, v9
	v_lshlrev_b16 v22, 8, v22
	;; [unrolled: 1-line block ×4, first 2 shown]
	s_delay_alu instid0(VALU_DEP_4) | instskip(NEXT) | instid1(VALU_DEP_4)
	v_bitop3_b16 v8, v8, v9, 0xff bitop3:0xec
	v_bitop3_b16 v4, v4, v22, 0xff bitop3:0xec
	s_delay_alu instid0(VALU_DEP_4) | instskip(NEXT) | instid1(VALU_DEP_3)
	v_bitop3_b16 v5, v6, v5, 0xff bitop3:0xec
	v_dual_lshlrev_b32 v7, 16, v8 :: v_dual_bitop2_b32 v6, v23, v7 bitop3:0x54
	s_delay_alu instid0(VALU_DEP_3) | instskip(NEXT) | instid1(VALU_DEP_3)
	v_and_b32_e32 v4, 0xffff, v4
	v_and_b32_e32 v5, 0xffff, v5
	s_delay_alu instid0(VALU_DEP_1) | instskip(NEXT) | instid1(VALU_DEP_1)
	v_dual_lshlrev_b32 v6, 16, v6 :: v_dual_bitop2_b32 v7, v5, v7 bitop3:0x54
	v_or_b32_e32 v5, v4, v6
.LBB4_67:
	s_or_b32 exec_lo, exec_lo, s1
	s_delay_alu instid0(VALU_DEP_2) | instskip(NEXT) | instid1(VALU_DEP_1)
	v_dual_add_nc_u32 v4, 6, v30 :: v_dual_lshrrev_b32 v6, 8, v7
                                        ; implicit-def: $vgpr32
	v_cmp_le_u32_e32 vcc_lo, s6, v4
                                        ; implicit-def: $vgpr4
	s_and_saveexec_b32 s0, vcc_lo
	s_delay_alu instid0(SALU_CYCLE_1)
	s_xor_b32 s0, exec_lo, s0
	s_cbranch_execz .LBB4_69
; %bb.68:
	v_lshlrev_b16 v4, 8, v6
	v_and_b32_e32 v6, 0xff0000, v5
	v_perm_b32 v3, v3, v3, 0x3060504
	s_delay_alu instid0(VALU_DEP_3) | instskip(NEXT) | instid1(VALU_DEP_3)
	v_bitop3_b16 v4, v7, v4, 0xff bitop3:0xec
	v_perm_b32 v32, v5, v6, 0x3020504
                                        ; implicit-def: $vgpr6
                                        ; implicit-def: $vgpr5
	s_delay_alu instid0(VALU_DEP_2) | instskip(NEXT) | instid1(VALU_DEP_1)
	v_and_b32_e32 v4, 0xffff, v4
	v_and_or_b32 v4, 0xff000000, v7, v4
                                        ; implicit-def: $vgpr7
.LBB4_69:
	s_and_not1_saveexec_b32 s1, s0
	s_cbranch_execz .LBB4_73
; %bb.70:
	v_dual_add_nc_u32 v4, s17, v14 :: v_dual_add_nc_u32 v8, s19, v14
	s_mov_b32 s2, 0
	s_mov_b32 s3, exec_lo
	s_delay_alu instid0(VALU_DEP_1) | instskip(NEXT) | instid1(VALU_DEP_2)
	v_mul_lo_u32 v4, v4, s16
	v_mul_lo_u32 v8, v8, s18
	s_delay_alu instid0(VALU_DEP_1) | instskip(NEXT) | instid1(VALU_DEP_1)
	v_sub_nc_u32_e32 v4, v4, v8
	v_cmp_lt_u32_e32 vcc_lo, s20, v4
	v_cmpx_ge_u32_e64 s20, v4
	s_cbranch_execz .LBB4_72
; %bb.71:
	v_dual_add_nc_u32 v4, s22, v14 :: v_dual_add_nc_u32 v8, s42, v14
	s_delay_alu instid0(VALU_DEP_1) | instskip(NEXT) | instid1(VALU_DEP_2)
	v_mul_lo_u32 v4, v4, s21
	v_mul_lo_u32 v8, v8, s23
	s_delay_alu instid0(VALU_DEP_1) | instskip(NEXT) | instid1(VALU_DEP_1)
	v_sub_nc_u32_e32 v4, v4, v8
	v_cmp_lt_u32_e64 s0, s43, v4
	s_and_b32 s2, s0, exec_lo
.LBB4_72:
	s_or_b32 exec_lo, exec_lo, s3
	v_dual_lshrrev_b32 v4, 24, v7 :: v_dual_lshrrev_b32 v22, 8, v5
	v_cndmask_b32_e64 v8, 0, 1, s2
	v_cndmask_b32_e64 v9, 0, 1, vcc_lo
	v_lshlrev_b16 v6, 8, v6
	s_delay_alu instid0(VALU_DEP_4)
	v_lshlrev_b16 v4, 8, v4
	v_lshrrev_b32_e32 v23, 16, v5
	v_lshlrev_b16 v8, 8, v8
	v_lshlrev_b16 v22, 8, v22
	v_bitop3_b16 v6, v7, v6, 0xff bitop3:0xec
	v_or_b32_e32 v4, v9, v4
	s_delay_alu instid0(VALU_DEP_4) | instskip(NEXT) | instid1(VALU_DEP_4)
	v_bitop3_b16 v7, v23, v8, 0xff bitop3:0xec
	v_bitop3_b16 v5, v5, v22, 0xff bitop3:0xec
	s_delay_alu instid0(VALU_DEP_4) | instskip(NEXT) | instid1(VALU_DEP_3)
	v_and_b32_e32 v6, 0xffff, v6
	v_dual_lshlrev_b32 v4, 16, v4 :: v_dual_lshlrev_b32 v7, 16, v7
	s_delay_alu instid0(VALU_DEP_3) | instskip(NEXT) | instid1(VALU_DEP_2)
	v_and_b32_e32 v5, 0xffff, v5
	v_or_b32_e32 v4, v6, v4
	s_delay_alu instid0(VALU_DEP_2)
	v_or_b32_e32 v32, v5, v7
.LBB4_73:
	s_or_b32 exec_lo, exec_lo, s1
	v_dual_add_nc_u32 v7, 7, v30 :: v_dual_lshrrev_b32 v5, 8, v3
	v_lshrrev_b32_e32 v6, 16, v3
                                        ; implicit-def: $vgpr33
	s_delay_alu instid0(VALU_DEP_2) | instskip(SKIP_2) | instid1(SALU_CYCLE_1)
	v_cmp_le_u32_e32 vcc_lo, s6, v7
	v_lshrrev_b32_e32 v7, 24, v3
                                        ; implicit-def: $vgpr3
	s_and_saveexec_b32 s0, vcc_lo
	s_xor_b32 s0, exec_lo, s0
	s_cbranch_execz .LBB4_75
; %bb.74:
	s_delay_alu instid0(VALU_DEP_1) | instskip(SKIP_1) | instid1(VALU_DEP_2)
	v_lshlrev_b16 v3, 8, v7
	v_lshlrev_b16 v5, 8, v5
                                        ; implicit-def: $vgpr7
	v_bitop3_b16 v3, v6, v3, 0xff bitop3:0xec
	v_and_b32_e32 v6, 0xff0000, v4
	s_delay_alu instid0(VALU_DEP_3) | instskip(NEXT) | instid1(VALU_DEP_3)
	v_and_b32_e32 v5, 0xffff, v5
	v_lshlrev_b32_e32 v3, 16, v3
	s_delay_alu instid0(VALU_DEP_3) | instskip(NEXT) | instid1(VALU_DEP_2)
	v_perm_b32 v33, v4, v6, 0x3020504
                                        ; implicit-def: $vgpr4
                                        ; implicit-def: $vgpr6
	v_or_b32_e32 v3, v5, v3
                                        ; implicit-def: $vgpr5
.LBB4_75:
	s_and_not1_saveexec_b32 s1, s0
	s_cbranch_execz .LBB4_79
; %bb.76:
	v_dual_add_nc_u32 v3, s17, v15 :: v_dual_add_nc_u32 v8, s19, v15
	s_mov_b32 s2, 0
	s_mov_b32 s3, exec_lo
	s_delay_alu instid0(VALU_DEP_1) | instskip(NEXT) | instid1(VALU_DEP_2)
	v_mul_lo_u32 v3, v3, s16
	v_mul_lo_u32 v8, v8, s18
	s_delay_alu instid0(VALU_DEP_1) | instskip(NEXT) | instid1(VALU_DEP_1)
	v_sub_nc_u32_e32 v3, v3, v8
	v_cmp_lt_u32_e32 vcc_lo, s20, v3
	v_cmpx_ge_u32_e64 s20, v3
	s_cbranch_execz .LBB4_78
; %bb.77:
	v_dual_add_nc_u32 v3, s22, v15 :: v_dual_add_nc_u32 v8, s42, v15
	s_delay_alu instid0(VALU_DEP_1) | instskip(NEXT) | instid1(VALU_DEP_2)
	v_mul_lo_u32 v3, v3, s21
	v_mul_lo_u32 v8, v8, s23
	s_delay_alu instid0(VALU_DEP_1) | instskip(NEXT) | instid1(VALU_DEP_1)
	v_sub_nc_u32_e32 v3, v3, v8
	v_cmp_lt_u32_e64 s0, s43, v3
	s_and_b32 s2, s0, exec_lo
.LBB4_78:
	s_or_b32 exec_lo, exec_lo, s3
	v_cndmask_b32_e64 v3, 0, 1, vcc_lo
	v_dual_lshrrev_b32 v8, 8, v4 :: v_dual_lshrrev_b32 v22, 16, v4
	v_cndmask_b32_e64 v9, 0, 1, s2
	v_lshlrev_b16 v7, 8, v7
	s_delay_alu instid0(VALU_DEP_4) | instskip(NEXT) | instid1(VALU_DEP_4)
	v_lshlrev_b16 v3, 8, v3
	v_lshlrev_b16 v8, 8, v8
	;; [unrolled: 1-line block ×3, first 2 shown]
	s_delay_alu instid0(VALU_DEP_4) | instskip(NEXT) | instid1(VALU_DEP_4)
	v_bitop3_b16 v6, v6, v7, 0xff bitop3:0xec
	v_bitop3_b16 v3, v22, v3, 0xff bitop3:0xec
	s_delay_alu instid0(VALU_DEP_4) | instskip(NEXT) | instid1(VALU_DEP_3)
	v_bitop3_b16 v4, v4, v8, 0xff bitop3:0xec
	v_dual_lshlrev_b32 v6, 16, v6 :: v_dual_bitop2_b32 v5, v9, v5 bitop3:0x54
	s_delay_alu instid0(VALU_DEP_3) | instskip(NEXT) | instid1(VALU_DEP_3)
	v_lshlrev_b32_e32 v3, 16, v3
	v_and_b32_e32 v4, 0xffff, v4
	s_delay_alu instid0(VALU_DEP_3) | instskip(NEXT) | instid1(VALU_DEP_2)
	v_and_b32_e32 v5, 0xffff, v5
	v_or_b32_e32 v33, v4, v3
	s_delay_alu instid0(VALU_DEP_2)
	v_or_b32_e32 v3, v5, v6
.LBB4_79:
	s_or_b32 exec_lo, exec_lo, s1
	s_delay_alu instid0(VALU_DEP_1) | instskip(SKIP_2) | instid1(VALU_DEP_3)
	v_dual_add_nc_u32 v4, 8, v30 :: v_dual_lshrrev_b32 v5, 16, v3
	v_dual_lshrrev_b32 v6, 24, v3 :: v_dual_lshrrev_b32 v9, 24, v2
	v_dual_lshrrev_b32 v7, 16, v2 :: v_dual_lshrrev_b32 v8, 8, v2
	v_cmp_le_u32_e32 vcc_lo, s6, v4
                                        ; implicit-def: $vgpr2
                                        ; implicit-def: $vgpr4
	s_and_saveexec_b32 s0, vcc_lo
	s_delay_alu instid0(SALU_CYCLE_1)
	s_xor_b32 s0, exec_lo, s0
	s_cbranch_execz .LBB4_81
; %bb.80:
	v_lshlrev_b16 v2, 8, v9
	v_lshlrev_b16 v4, 8, v8
	;; [unrolled: 1-line block ×3, first 2 shown]
	v_perm_b32 v1, v1, v1, 0x3060504
                                        ; implicit-def: $vgpr9
                                        ; implicit-def: $vgpr8
	s_delay_alu instid0(VALU_DEP_4) | instskip(NEXT) | instid1(VALU_DEP_4)
	v_bitop3_b16 v2, v7, v2, 0xff bitop3:0xec
	v_and_b32_e32 v4, 0xffff, v4
	s_delay_alu instid0(VALU_DEP_4) | instskip(NEXT) | instid1(VALU_DEP_3)
	v_bitop3_b16 v5, v5, v6, 0xff bitop3:0xec
                                        ; implicit-def: $vgpr6
                                        ; implicit-def: $vgpr7
	v_lshlrev_b32_e32 v2, 16, v2
	s_delay_alu instid0(VALU_DEP_1) | instskip(NEXT) | instid1(VALU_DEP_3)
	v_or_b32_e32 v4, v4, v2
	v_perm_b32 v2, v5, v3, 0x5040c00
                                        ; implicit-def: $vgpr3
                                        ; implicit-def: $vgpr5
.LBB4_81:
	s_and_not1_saveexec_b32 s1, s0
	s_cbranch_execz .LBB4_85
; %bb.82:
	v_dual_add_nc_u32 v2, s17, v12 :: v_dual_add_nc_u32 v4, s19, v12
	s_mov_b32 s2, 0
	s_mov_b32 s3, exec_lo
	s_delay_alu instid0(VALU_DEP_1) | instskip(NEXT) | instid1(VALU_DEP_2)
	v_mul_lo_u32 v2, v2, s16
	v_mul_lo_u32 v4, v4, s18
	s_delay_alu instid0(VALU_DEP_1) | instskip(NEXT) | instid1(VALU_DEP_1)
	v_sub_nc_u32_e32 v2, v2, v4
	v_cmp_lt_u32_e32 vcc_lo, s20, v2
	v_cmpx_ge_u32_e64 s20, v2
	s_cbranch_execz .LBB4_84
; %bb.83:
	v_dual_add_nc_u32 v2, s22, v12 :: v_dual_add_nc_u32 v4, s42, v12
	s_delay_alu instid0(VALU_DEP_1) | instskip(NEXT) | instid1(VALU_DEP_2)
	v_mul_lo_u32 v2, v2, s21
	v_mul_lo_u32 v4, v4, s23
	s_delay_alu instid0(VALU_DEP_1) | instskip(NEXT) | instid1(VALU_DEP_1)
	v_sub_nc_u32_e32 v2, v2, v4
	v_cmp_lt_u32_e64 s0, s43, v2
	s_and_b32 s2, s0, exec_lo
.LBB4_84:
	s_or_b32 exec_lo, exec_lo, s3
	v_cndmask_b32_e64 v2, 0, 1, s2
	v_cndmask_b32_e64 v4, 0, 1, vcc_lo
	v_lshlrev_b16 v9, 8, v9
	v_lshlrev_b16 v8, 8, v8
	;; [unrolled: 1-line block ×4, first 2 shown]
	s_delay_alu instid0(VALU_DEP_4) | instskip(NEXT) | instid1(VALU_DEP_4)
	v_bitop3_b16 v7, v7, v9, 0xff bitop3:0xec
	v_or_b32_e32 v4, v4, v8
	s_delay_alu instid0(VALU_DEP_4) | instskip(NEXT) | instid1(VALU_DEP_4)
	v_bitop3_b16 v5, v5, v6, 0xff bitop3:0xec
	v_bitop3_b16 v2, v3, v2, 0xff bitop3:0xec
	s_delay_alu instid0(VALU_DEP_4) | instskip(NEXT) | instid1(VALU_DEP_4)
	v_lshlrev_b32_e32 v3, 16, v7
	v_and_b32_e32 v4, 0xffff, v4
	s_delay_alu instid0(VALU_DEP_4) | instskip(NEXT) | instid1(VALU_DEP_4)
	v_lshlrev_b32_e32 v5, 16, v5
	v_and_b32_e32 v2, 0xffff, v2
	s_delay_alu instid0(VALU_DEP_3) | instskip(NEXT) | instid1(VALU_DEP_2)
	v_or_b32_e32 v4, v4, v3
	v_or_b32_e32 v2, v2, v5
.LBB4_85:
	s_or_b32 exec_lo, exec_lo, s1
	s_delay_alu instid0(VALU_DEP_2) | instskip(NEXT) | instid1(VALU_DEP_2)
	v_dual_add_nc_u32 v3, 9, v30 :: v_dual_lshrrev_b32 v8, 24, v4
	v_dual_lshrrev_b32 v7, 8, v2 :: v_dual_lshrrev_b32 v6, 16, v4
                                        ; implicit-def: $vgpr5
	s_delay_alu instid0(VALU_DEP_2) | instskip(SKIP_1) | instid1(SALU_CYCLE_1)
	v_cmp_le_u32_e32 vcc_lo, s6, v3
                                        ; implicit-def: $vgpr3
	s_and_saveexec_b32 s0, vcc_lo
	s_xor_b32 s0, exec_lo, s0
	s_cbranch_execz .LBB4_87
; %bb.86:
	v_lshlrev_b16 v3, 8, v7
	v_lshlrev_b16 v5, 8, v8
	v_perm_b32 v1, v1, v1, 0x3060504
                                        ; implicit-def: $vgpr7
                                        ; implicit-def: $vgpr8
	s_delay_alu instid0(VALU_DEP_3) | instskip(NEXT) | instid1(VALU_DEP_3)
	v_bitop3_b16 v3, v2, v3, 0xff bitop3:0xec
	v_bitop3_b16 v5, v6, v5, 0xff bitop3:0xec
                                        ; implicit-def: $vgpr6
	s_delay_alu instid0(VALU_DEP_2) | instskip(NEXT) | instid1(VALU_DEP_2)
	v_and_b32_e32 v3, 0xffff, v3
	v_perm_b32 v5, v5, v4, 0x5040c00
                                        ; implicit-def: $vgpr4
	s_delay_alu instid0(VALU_DEP_2)
	v_and_or_b32 v3, 0xff000000, v2, v3
                                        ; implicit-def: $vgpr2
.LBB4_87:
	s_and_not1_saveexec_b32 s1, s0
	s_cbranch_execz .LBB4_91
; %bb.88:
	v_dual_add_nc_u32 v3, s17, v13 :: v_dual_add_nc_u32 v5, s19, v13
	s_mov_b32 s2, 0
	s_mov_b32 s3, exec_lo
	s_delay_alu instid0(VALU_DEP_1) | instskip(NEXT) | instid1(VALU_DEP_2)
	v_mul_lo_u32 v3, v3, s16
	v_mul_lo_u32 v5, v5, s18
	s_delay_alu instid0(VALU_DEP_1) | instskip(NEXT) | instid1(VALU_DEP_1)
	v_sub_nc_u32_e32 v3, v3, v5
	v_cmp_lt_u32_e32 vcc_lo, s20, v3
	v_cmpx_ge_u32_e64 s20, v3
	s_cbranch_execz .LBB4_90
; %bb.89:
	v_dual_add_nc_u32 v3, s22, v13 :: v_dual_add_nc_u32 v5, s42, v13
	s_delay_alu instid0(VALU_DEP_1) | instskip(NEXT) | instid1(VALU_DEP_2)
	v_mul_lo_u32 v3, v3, s21
	v_mul_lo_u32 v5, v5, s23
	s_delay_alu instid0(VALU_DEP_1) | instskip(NEXT) | instid1(VALU_DEP_1)
	v_sub_nc_u32_e32 v3, v3, v5
	v_cmp_lt_u32_e64 s0, s43, v3
	s_and_b32 s2, s0, exec_lo
.LBB4_90:
	s_or_b32 exec_lo, exec_lo, s3
	v_cndmask_b32_e64 v3, 0, 1, vcc_lo
	v_lshrrev_b32_e32 v5, 24, v2
	v_cndmask_b32_e64 v9, 0, 1, s2
	v_lshlrev_b16 v8, 8, v8
	v_lshlrev_b16 v7, 8, v7
	;; [unrolled: 1-line block ×4, first 2 shown]
	s_delay_alu instid0(VALU_DEP_4) | instskip(NEXT) | instid1(VALU_DEP_4)
	v_bitop3_b16 v6, v6, v8, 0xff bitop3:0xec
	v_bitop3_b16 v2, v2, v7, 0xff bitop3:0xec
	s_delay_alu instid0(VALU_DEP_4) | instskip(NEXT) | instid1(VALU_DEP_3)
	v_bitop3_b16 v3, v4, v3, 0xff bitop3:0xec
	v_dual_lshlrev_b32 v5, 16, v6 :: v_dual_bitop2_b32 v4, v9, v5 bitop3:0x54
	s_delay_alu instid0(VALU_DEP_3) | instskip(NEXT) | instid1(VALU_DEP_3)
	v_and_b32_e32 v2, 0xffff, v2
	v_and_b32_e32 v3, 0xffff, v3
	s_delay_alu instid0(VALU_DEP_1) | instskip(NEXT) | instid1(VALU_DEP_1)
	v_dual_lshlrev_b32 v4, 16, v4 :: v_dual_bitop2_b32 v5, v3, v5 bitop3:0x54
	v_or_b32_e32 v3, v2, v4
.LBB4_91:
	s_or_b32 exec_lo, exec_lo, s1
	s_delay_alu instid0(VALU_DEP_2) | instskip(NEXT) | instid1(VALU_DEP_1)
	v_dual_add_nc_u32 v2, 10, v30 :: v_dual_lshrrev_b32 v4, 8, v5
                                        ; implicit-def: $vgpr35
	v_cmp_le_u32_e32 vcc_lo, s6, v2
                                        ; implicit-def: $vgpr2
	s_and_saveexec_b32 s0, vcc_lo
	s_delay_alu instid0(SALU_CYCLE_1)
	s_xor_b32 s0, exec_lo, s0
	s_cbranch_execz .LBB4_93
; %bb.92:
	v_lshlrev_b16 v2, 8, v4
	v_and_b32_e32 v4, 0xff0000, v3
	v_perm_b32 v1, v1, v1, 0x3060504
	s_delay_alu instid0(VALU_DEP_3) | instskip(NEXT) | instid1(VALU_DEP_3)
	v_bitop3_b16 v2, v5, v2, 0xff bitop3:0xec
	v_perm_b32 v35, v3, v4, 0x3020504
                                        ; implicit-def: $vgpr4
                                        ; implicit-def: $vgpr3
	s_delay_alu instid0(VALU_DEP_2) | instskip(NEXT) | instid1(VALU_DEP_1)
	v_and_b32_e32 v2, 0xffff, v2
	v_and_or_b32 v2, 0xff000000, v5, v2
                                        ; implicit-def: $vgpr5
.LBB4_93:
	s_and_not1_saveexec_b32 s1, s0
	s_cbranch_execz .LBB4_97
; %bb.94:
	v_dual_add_nc_u32 v2, s17, v10 :: v_dual_add_nc_u32 v6, s19, v10
	s_mov_b32 s2, 0
	s_mov_b32 s3, exec_lo
	s_delay_alu instid0(VALU_DEP_1) | instskip(NEXT) | instid1(VALU_DEP_2)
	v_mul_lo_u32 v2, v2, s16
	v_mul_lo_u32 v6, v6, s18
	s_delay_alu instid0(VALU_DEP_1) | instskip(NEXT) | instid1(VALU_DEP_1)
	v_sub_nc_u32_e32 v2, v2, v6
	v_cmp_lt_u32_e32 vcc_lo, s20, v2
	v_cmpx_ge_u32_e64 s20, v2
	s_cbranch_execz .LBB4_96
; %bb.95:
	v_dual_add_nc_u32 v2, s22, v10 :: v_dual_add_nc_u32 v6, s42, v10
	s_delay_alu instid0(VALU_DEP_1) | instskip(NEXT) | instid1(VALU_DEP_2)
	v_mul_lo_u32 v2, v2, s21
	v_mul_lo_u32 v6, v6, s23
	s_delay_alu instid0(VALU_DEP_1) | instskip(NEXT) | instid1(VALU_DEP_1)
	v_sub_nc_u32_e32 v2, v2, v6
	v_cmp_lt_u32_e64 s0, s43, v2
	s_and_b32 s2, s0, exec_lo
.LBB4_96:
	s_or_b32 exec_lo, exec_lo, s3
	v_dual_lshrrev_b32 v2, 24, v5 :: v_dual_lshrrev_b32 v8, 8, v3
	v_cndmask_b32_e64 v6, 0, 1, s2
	v_cndmask_b32_e64 v7, 0, 1, vcc_lo
	v_lshlrev_b16 v4, 8, v4
	s_delay_alu instid0(VALU_DEP_4)
	v_lshlrev_b16 v2, 8, v2
	v_lshrrev_b32_e32 v9, 16, v3
	v_lshlrev_b16 v6, 8, v6
	v_lshlrev_b16 v8, 8, v8
	v_bitop3_b16 v4, v5, v4, 0xff bitop3:0xec
	v_or_b32_e32 v2, v7, v2
	s_delay_alu instid0(VALU_DEP_4) | instskip(NEXT) | instid1(VALU_DEP_4)
	v_bitop3_b16 v5, v9, v6, 0xff bitop3:0xec
	v_bitop3_b16 v3, v3, v8, 0xff bitop3:0xec
	s_delay_alu instid0(VALU_DEP_4) | instskip(NEXT) | instid1(VALU_DEP_3)
	v_and_b32_e32 v4, 0xffff, v4
	v_dual_lshlrev_b32 v2, 16, v2 :: v_dual_lshlrev_b32 v5, 16, v5
	s_delay_alu instid0(VALU_DEP_3) | instskip(NEXT) | instid1(VALU_DEP_2)
	v_and_b32_e32 v3, 0xffff, v3
	v_or_b32_e32 v2, v4, v2
	s_delay_alu instid0(VALU_DEP_2)
	v_or_b32_e32 v35, v3, v5
.LBB4_97:
	s_or_b32 exec_lo, exec_lo, s1
	v_dual_mov_b32 v34, 0 :: v_dual_add_nc_u32 v3, 11, v30
	s_mov_b32 s0, exec_lo
                                        ; implicit-def: $vgpr36
	s_delay_alu instid0(VALU_DEP_1)
	v_cmpx_le_u32_e64 s6, v3
	s_xor_b32 s0, exec_lo, s0
; %bb.98:
	v_and_b32_e32 v3, 0xff0000, v2
	v_perm_b32 v1, v1, v1, 0x3060504
	s_delay_alu instid0(VALU_DEP_2)
	v_perm_b32 v36, v2, v3, 0x3020504
                                        ; implicit-def: $vgpr2
; %bb.99:
	s_and_not1_saveexec_b32 s1, s0
	s_cbranch_execz .LBB4_103
; %bb.100:
	v_dual_add_nc_u32 v3, s17, v11 :: v_dual_add_nc_u32 v4, s19, v11
	s_mov_b32 s2, 0
	s_mov_b32 s3, exec_lo
	s_delay_alu instid0(VALU_DEP_1) | instskip(NEXT) | instid1(VALU_DEP_2)
	v_mul_lo_u32 v3, v3, s16
	v_mul_lo_u32 v4, v4, s18
	s_delay_alu instid0(VALU_DEP_1) | instskip(NEXT) | instid1(VALU_DEP_1)
	v_sub_nc_u32_e32 v3, v3, v4
	v_cmp_lt_u32_e32 vcc_lo, s20, v3
	v_cmpx_ge_u32_e64 s20, v3
	s_cbranch_execz .LBB4_102
; %bb.101:
	v_dual_add_nc_u32 v3, s22, v11 :: v_dual_add_nc_u32 v4, s42, v11
	s_delay_alu instid0(VALU_DEP_1) | instskip(NEXT) | instid1(VALU_DEP_2)
	v_mul_lo_u32 v3, v3, s21
	v_mul_lo_u32 v4, v4, s23
	s_delay_alu instid0(VALU_DEP_1) | instskip(NEXT) | instid1(VALU_DEP_1)
	v_sub_nc_u32_e32 v3, v3, v4
	v_cmp_lt_u32_e64 s0, s43, v3
	s_and_b32 s2, s0, exec_lo
.LBB4_102:
	s_or_b32 exec_lo, exec_lo, s3
	v_cndmask_b32_e64 v3, 0, 1, vcc_lo
	v_dual_lshrrev_b32 v4, 8, v2 :: v_dual_lshrrev_b32 v5, 16, v2
	v_cndmask_b32_e64 v34, 0, 1, s2
	s_delay_alu instid0(VALU_DEP_3) | instskip(NEXT) | instid1(VALU_DEP_3)
	v_lshlrev_b16 v3, 8, v3
	v_lshlrev_b16 v4, 8, v4
	s_delay_alu instid0(VALU_DEP_2) | instskip(NEXT) | instid1(VALU_DEP_2)
	v_bitop3_b16 v3, v5, v3, 0xff bitop3:0xec
	v_bitop3_b16 v2, v2, v4, 0xff bitop3:0xec
	s_delay_alu instid0(VALU_DEP_2) | instskip(NEXT) | instid1(VALU_DEP_2)
	v_lshlrev_b32_e32 v3, 16, v3
	v_and_b32_e32 v2, 0xffff, v2
	s_delay_alu instid0(VALU_DEP_1)
	v_or_b32_e32 v36, v2, v3
.LBB4_103:
	s_or_b32 exec_lo, exec_lo, s1
	v_dual_add_nc_u32 v4, 12, v30 :: v_dual_lshrrev_b32 v2, 8, v1
	v_dual_lshrrev_b32 v3, 16, v1 :: v_dual_lshrrev_b32 v1, 24, v1
	s_mov_b32 s0, exec_lo
                                        ; implicit-def: $vgpr37
	s_delay_alu instid0(VALU_DEP_2)
	v_cmpx_le_u32_e64 s6, v4
	s_xor_b32 s0, exec_lo, s0
; %bb.104:
	s_delay_alu instid0(VALU_DEP_2) | instskip(SKIP_1) | instid1(VALU_DEP_2)
	v_lshlrev_b16 v1, 8, v1
	v_lshlrev_b16 v2, 8, v2
	v_bitop3_b16 v1, v3, v1, 0xff bitop3:0xec
	s_delay_alu instid0(VALU_DEP_2) | instskip(NEXT) | instid1(VALU_DEP_2)
	v_and_b32_e32 v2, 0xffff, v2
                                        ; implicit-def: $vgpr3
	v_lshlrev_b32_e32 v1, 16, v1
	s_delay_alu instid0(VALU_DEP_1)
	v_or_b32_e32 v37, v2, v1
                                        ; implicit-def: $vgpr1
                                        ; implicit-def: $vgpr2
; %bb.105:
	s_or_saveexec_b32 s1, s0
	v_mov_b32_e32 v38, 0
	s_xor_b32 exec_lo, exec_lo, s1
	s_cbranch_execz .LBB4_109
; %bb.106:
	v_dual_add_nc_u32 v4, s19, v28 :: v_dual_add_nc_u32 v5, s17, v28
	s_mov_b32 s2, 0
	s_mov_b32 s3, exec_lo
	s_delay_alu instid0(VALU_DEP_1) | instskip(NEXT) | instid1(VALU_DEP_2)
	v_mul_lo_u32 v4, v4, s18
	v_mul_lo_u32 v5, v5, s16
	s_delay_alu instid0(VALU_DEP_1) | instskip(NEXT) | instid1(VALU_DEP_1)
	v_sub_nc_u32_e32 v4, v5, v4
	v_cmp_lt_u32_e32 vcc_lo, s20, v4
	v_cmpx_ge_u32_e64 s20, v4
	s_cbranch_execz .LBB4_108
; %bb.107:
	v_dual_add_nc_u32 v4, s42, v28 :: v_dual_add_nc_u32 v5, s22, v28
	s_delay_alu instid0(VALU_DEP_1) | instskip(NEXT) | instid1(VALU_DEP_2)
	v_mul_lo_u32 v4, v4, s23
	v_mul_lo_u32 v5, v5, s21
	s_delay_alu instid0(VALU_DEP_1) | instskip(NEXT) | instid1(VALU_DEP_1)
	v_sub_nc_u32_e32 v4, v5, v4
	v_cmp_lt_u32_e64 s0, s43, v4
	s_and_b32 s2, s0, exec_lo
.LBB4_108:
	s_or_b32 exec_lo, exec_lo, s3
	v_cndmask_b32_e64 v4, 0, 1, vcc_lo
	v_lshlrev_b16 v1, 8, v1
	v_lshlrev_b16 v2, 8, v2
	v_cndmask_b32_e64 v38, 0, 1, s2
	s_delay_alu instid0(VALU_DEP_3) | instskip(NEXT) | instid1(VALU_DEP_1)
	v_bitop3_b16 v1, v3, v1, 0xff bitop3:0xec
	v_dual_lshlrev_b32 v1, 16, v1 :: v_dual_bitop2_b32 v2, v4, v2 bitop3:0x54
	s_delay_alu instid0(VALU_DEP_1) | instskip(NEXT) | instid1(VALU_DEP_1)
	v_and_b32_e32 v2, 0xffff, v2
	v_or_b32_e32 v37, v2, v1
.LBB4_109:
	s_or_b32 exec_lo, exec_lo, s1
.LBB4_110:
	v_and_b32_e32 v61, 0xff, v31
	s_delay_alu instid0(VALU_DEP_2)
	v_bfe_u32 v62, v37, 8, 8
	v_bfe_u32 v59, v31, 8, 8
	;; [unrolled: 1-line block ×4, first 2 shown]
	v_dual_lshrrev_b32 v44, 24, v37 :: v_dual_lshrrev_b32 v43, 24, v31
	v_and_b32_e32 v57, 0xff, v32
	v_and_b32_e32 v55, 0xff, v33
	v_bfe_u32 v56, v32, 8, 8
	v_add3_u32 v1, v59, v61, v58
	v_add3_u32 v2, v60, v62, v44
	v_bfe_u32 v53, v33, 8, 8
	v_bfe_u32 v54, v32, 16, 8
	;; [unrolled: 1-line block ×3, first 2 shown]
	v_dual_lshrrev_b32 v42, 24, v32 :: v_dual_lshrrev_b32 v41, 24, v33
	v_add3_u32 v1, v1, v43, v55
	v_add3_u32 v2, v2, v57, v56
	v_and_b32_e32 v52, 0xff, v35
	v_and_b32_e32 v48, 0xff, v36
	v_bfe_u32 v50, v35, 8, 8
	v_add3_u32 v1, v1, v53, v51
	v_add3_u32 v2, v2, v54, v42
	v_bfe_u32 v47, v36, 8, 8
	v_bfe_u32 v49, v35, 16, 8
	;; [unrolled: 1-line block ×3, first 2 shown]
	v_dual_lshrrev_b32 v40, 24, v35 :: v_dual_lshrrev_b32 v39, 24, v36
	v_add3_u32 v1, v1, v41, v48
	v_add3_u32 v2, v2, v52, v50
	v_mbcnt_lo_u32_b32 v63, -1, 0
	v_and_b32_e32 v45, 0xff, v34
	v_and_b32_e32 v3, 0xff, v37
	;; [unrolled: 1-line block ×3, first 2 shown]
	v_add3_u32 v1, v1, v47, v46
	v_add3_u32 v2, v2, v49, v40
	v_dual_lshrrev_b32 v64, 5, v0 :: v_dual_bitop2_b32 v65, 15, v63 bitop3:0x40
	v_and_b32_e32 v67, 16, v63
	s_delay_alu instid0(VALU_DEP_4) | instskip(NEXT) | instid1(VALU_DEP_4)
	v_add3_u32 v68, v1, v39, v3
	v_add3_u32 v69, v2, v45, v4
	s_wait_xcnt 0x0
	v_cmp_eq_u32_e64 s1, 0, v65
	v_cmp_lt_u32_e64 s0, 1, v65
	v_cmp_lt_u32_e64 s2, 3, v65
	v_or_b32_e32 v66, 31, v0
	s_cmp_lg_u32 s33, 0
	s_mov_b32 s3, -1
	v_cmp_lt_u32_e32 vcc_lo, 7, v65
	s_cbranch_scc0 .LBB4_131
; %bb.111:
	v_mov_b32_dpp v1, v69 row_shr:1 row_mask:0xf bank_mask:0xf
	v_mov_b32_dpp v2, v68 row_shr:1 row_mask:0xf bank_mask:0xf
	s_mov_b32 s3, exec_lo
	s_delay_alu instid0(VALU_DEP_1) | instskip(NEXT) | instid1(VALU_DEP_1)
	v_dual_add_nc_u32 v1, v1, v69 :: v_dual_add_nc_u32 v2, v2, v68
	v_dual_cndmask_b32 v1, v1, v69, s1 :: v_dual_cndmask_b32 v2, v2, v68, s1
	s_delay_alu instid0(VALU_DEP_1) | instskip(NEXT) | instid1(VALU_DEP_2)
	v_mov_b32_dpp v3, v1 row_shr:2 row_mask:0xf bank_mask:0xf
	v_mov_b32_dpp v4, v2 row_shr:2 row_mask:0xf bank_mask:0xf
	s_delay_alu instid0(VALU_DEP_1) | instskip(NEXT) | instid1(VALU_DEP_1)
	v_dual_add_nc_u32 v3, v1, v3 :: v_dual_add_nc_u32 v4, v2, v4
	v_dual_cndmask_b32 v1, v1, v3, s0 :: v_dual_cndmask_b32 v2, v2, v4, s0
	s_delay_alu instid0(VALU_DEP_1) | instskip(NEXT) | instid1(VALU_DEP_2)
	v_mov_b32_dpp v3, v1 row_shr:4 row_mask:0xf bank_mask:0xf
	v_mov_b32_dpp v4, v2 row_shr:4 row_mask:0xf bank_mask:0xf
	;; [unrolled: 6-line block ×3, first 2 shown]
	s_delay_alu instid0(VALU_DEP_1) | instskip(NEXT) | instid1(VALU_DEP_1)
	v_dual_add_nc_u32 v3, v1, v3 :: v_dual_add_nc_u32 v4, v2, v4
	v_dual_cndmask_b32 v1, v1, v3 :: v_dual_cndmask_b32 v2, v2, v4
	v_cmp_eq_u32_e32 vcc_lo, 0, v67
	ds_swizzle_b32 v3, v1 offset:swizzle(BROADCAST,32,15)
	ds_swizzle_b32 v4, v2 offset:swizzle(BROADCAST,32,15)
	s_wait_dscnt 0x0
	v_dual_add_nc_u32 v3, v1, v3 :: v_dual_add_nc_u32 v4, v2, v4
	v_cmpx_eq_u32_e64 v0, v66
; %bb.112:
	s_delay_alu instid0(VALU_DEP_2) | instskip(NEXT) | instid1(VALU_DEP_3)
	v_dual_lshlrev_b32 v5, 3, v64 :: v_dual_cndmask_b32 v7, v3, v1, vcc_lo
	v_cndmask_b32_e32 v6, v4, v2, vcc_lo
	ds_store_b64 v5, v[6:7]
; %bb.113:
	s_or_b32 exec_lo, exec_lo, s3
	s_delay_alu instid0(SALU_CYCLE_1)
	s_mov_b32 s3, exec_lo
	s_wait_dscnt 0x0
	s_barrier_signal -1
	s_barrier_wait -1
	v_cmpx_gt_u32_e32 8, v0
	s_cbranch_execz .LBB4_115
; %bb.114:
	v_dual_lshlrev_b32 v5, 3, v0 :: v_dual_bitop2_b32 v22, 7, v63 bitop3:0x40
	ds_load_b64 v[6:7], v5
	v_cmp_eq_u32_e64 s2, 0, v22
	s_wait_dscnt 0x0
	v_mov_b32_dpp v8, v6 row_shr:1 row_mask:0xf bank_mask:0xf
	v_mov_b32_dpp v9, v7 row_shr:1 row_mask:0xf bank_mask:0xf
	s_delay_alu instid0(VALU_DEP_1) | instskip(NEXT) | instid1(VALU_DEP_1)
	v_dual_add_nc_u32 v8, v8, v6 :: v_dual_add_nc_u32 v9, v9, v7
	v_dual_cndmask_b32 v6, v8, v6, s2 :: v_dual_cndmask_b32 v7, v9, v7, s2
	v_cmp_lt_u32_e64 s2, 1, v22
	s_delay_alu instid0(VALU_DEP_2) | instskip(NEXT) | instid1(VALU_DEP_3)
	v_mov_b32_dpp v8, v6 row_shr:2 row_mask:0xf bank_mask:0xf
	v_mov_b32_dpp v9, v7 row_shr:2 row_mask:0xf bank_mask:0xf
	s_delay_alu instid0(VALU_DEP_1) | instskip(NEXT) | instid1(VALU_DEP_1)
	v_dual_add_nc_u32 v8, v6, v8 :: v_dual_add_nc_u32 v9, v7, v9
	v_dual_cndmask_b32 v6, v6, v8, s2 :: v_dual_cndmask_b32 v7, v7, v9, s2
	v_cmp_lt_u32_e64 s2, 3, v22
	s_delay_alu instid0(VALU_DEP_2) | instskip(NEXT) | instid1(VALU_DEP_3)
	v_mov_b32_dpp v8, v6 row_shr:4 row_mask:0xf bank_mask:0xf
	v_mov_b32_dpp v9, v7 row_shr:4 row_mask:0xf bank_mask:0xf
	s_delay_alu instid0(VALU_DEP_1) | instskip(NEXT) | instid1(VALU_DEP_1)
	v_dual_cndmask_b32 v8, 0, v8, s2 :: v_dual_cndmask_b32 v9, 0, v9, s2
	v_dual_add_nc_u32 v6, v8, v6 :: v_dual_add_nc_u32 v7, v9, v7
	ds_store_b64 v5, v[6:7]
.LBB4_115:
	s_or_b32 exec_lo, exec_lo, s3
	v_dual_cndmask_b32 v1, v3, v1 :: v_dual_cndmask_b32 v2, v4, v2
	s_mov_b32 s3, exec_lo
	v_cmp_gt_u32_e32 vcc_lo, 32, v0
	s_wait_dscnt 0x0
	s_barrier_signal -1
	s_barrier_wait -1
                                        ; implicit-def: $vgpr22
	v_cmpx_lt_u32_e32 31, v0
	s_cbranch_execz .LBB4_117
; %bb.116:
	v_lshl_add_u32 v3, v64, 3, -8
	ds_load_b64 v[22:23], v3
	s_wait_dscnt 0x0
	v_dual_add_nc_u32 v1, v23, v1 :: v_dual_add_nc_u32 v2, v22, v2
.LBB4_117:
	s_or_b32 exec_lo, exec_lo, s3
	v_sub_co_u32 v3, s2, v63, 1
	s_delay_alu instid0(VALU_DEP_1) | instskip(NEXT) | instid1(VALU_DEP_1)
	v_cmp_gt_i32_e64 s3, 0, v3
	v_cndmask_b32_e64 v3, v3, v63, s3
	s_delay_alu instid0(VALU_DEP_1)
	v_lshlrev_b32_e32 v3, 2, v3
	ds_bpermute_b32 v70, v3, v2
	ds_bpermute_b32 v1, v3, v1
	s_and_saveexec_b32 s3, vcc_lo
	s_cbranch_execz .LBB4_136
; %bb.118:
	v_mov_b32_e32 v5, 0
	ds_load_b64 v[2:3], v5 offset:56
	s_and_saveexec_b32 s7, s2
	s_cbranch_execz .LBB4_120
; %bb.119:
	s_add_co_i32 s8, s33, 32
	s_mov_b32 s9, 0
	v_mov_b32_e32 v4, 1
	s_lshl_b64 s[8:9], s[8:9], 4
	s_wait_kmcnt 0x0
	s_add_nc_u64 s[8:9], s[4:5], s[8:9]
	s_delay_alu instid0(SALU_CYCLE_1)
	v_mov_b64_e32 v[6:7], s[8:9]
	s_wait_dscnt 0x0
	;;#ASMSTART
	global_store_b128 v[6:7], v[2:5] off scope:SCOPE_DEV	
s_wait_storecnt 0x0
	;;#ASMEND
.LBB4_120:
	s_or_b32 exec_lo, exec_lo, s7
	v_xad_u32 v24, v63, -1, s33
	s_mov_b32 s8, 0
	s_mov_b32 s7, exec_lo
	s_delay_alu instid0(VALU_DEP_1) | instskip(SKIP_1) | instid1(VALU_DEP_1)
	v_add_nc_u32_e32 v4, 32, v24
	s_wait_kmcnt 0x0
	v_lshl_add_u64 v[4:5], v[4:5], 4, s[4:5]
	;;#ASMSTART
	global_load_b128 v[6:9], v[4:5] off scope:SCOPE_DEV	
s_wait_loadcnt 0x0
	;;#ASMEND
	v_and_b32_e32 v9, 0xff, v8
	s_delay_alu instid0(VALU_DEP_1)
	v_cmpx_eq_u16_e32 0, v9
	s_cbranch_execz .LBB4_123
.LBB4_121:                              ; =>This Inner Loop Header: Depth=1
	;;#ASMSTART
	global_load_b128 v[6:9], v[4:5] off scope:SCOPE_DEV	
s_wait_loadcnt 0x0
	;;#ASMEND
	v_and_b32_e32 v9, 0xff, v8
	s_delay_alu instid0(VALU_DEP_1) | instskip(SKIP_1) | instid1(SALU_CYCLE_1)
	v_cmp_ne_u16_e32 vcc_lo, 0, v9
	s_or_b32 s8, vcc_lo, s8
	s_and_not1_b32 exec_lo, exec_lo, s8
	s_cbranch_execnz .LBB4_121
; %bb.122:
	s_or_b32 exec_lo, exec_lo, s8
.LBB4_123:
	s_delay_alu instid0(SALU_CYCLE_1)
	s_or_b32 exec_lo, exec_lo, s7
	v_cmp_ne_u32_e32 vcc_lo, 31, v63
	v_lshlrev_b32_e64 v72, v63, -1
	v_lshl_or_b32 v79, v63, 2, 64
	v_dual_add_nc_u32 v76, 4, v63 :: v_dual_add_nc_u32 v80, 16, v63
	v_add_co_ci_u32_e64 v4, null, 0, v63, vcc_lo
	s_delay_alu instid0(VALU_DEP_1)
	v_lshlrev_b32_e32 v71, 2, v4
	v_and_b32_e32 v4, 0xff, v8
	ds_bpermute_b32 v5, v71, v7
	v_cmp_eq_u16_e32 vcc_lo, 2, v4
	s_wait_dscnt 0x0
	v_add_nc_u32_e32 v5, v5, v7
	ds_bpermute_b32 v4, v71, v6
	v_and_b32_e32 v9, vcc_lo, v72
	v_cmp_gt_u32_e32 vcc_lo, 30, v63
	v_cndmask_b32_e64 v25, 0, 2, vcc_lo
	s_delay_alu instid0(VALU_DEP_1) | instskip(SKIP_3) | instid1(VALU_DEP_1)
	v_add_lshl_u32 v73, v25, v63, 2
	s_wait_dscnt 0x0
	v_add_nc_u32_e32 v4, v4, v6
	v_or_b32_e32 v9, 0x80000000, v9
	v_ctz_i32_b32_e32 v9, v9
	s_delay_alu instid0(VALU_DEP_1) | instskip(NEXT) | instid1(VALU_DEP_4)
	v_cmp_lt_u32_e32 vcc_lo, v63, v9
	v_dual_cndmask_b32 v5, v7, v5 :: v_dual_cndmask_b32 v4, v6, v4
	v_cmp_gt_u32_e32 vcc_lo, 28, v63
	ds_bpermute_b32 v6, v73, v5
	ds_bpermute_b32 v7, v73, v4
	v_add_nc_u32_e32 v74, 2, v63
	v_cndmask_b32_e64 v25, 0, 4, vcc_lo
	s_delay_alu instid0(VALU_DEP_1) | instskip(SKIP_4) | instid1(VALU_DEP_2)
	v_add_lshl_u32 v75, v25, v63, 2
	s_wait_dscnt 0x1
	v_add_nc_u32_e32 v6, v5, v6
	v_cmp_gt_u32_e32 vcc_lo, v74, v9
	s_wait_dscnt 0x0
	v_dual_add_nc_u32 v7, v4, v7 :: v_dual_cndmask_b32 v5, v6, v5, vcc_lo
	s_delay_alu instid0(VALU_DEP_1)
	v_cndmask_b32_e32 v4, v7, v4, vcc_lo
	v_cmp_gt_u32_e32 vcc_lo, 24, v63
	ds_bpermute_b32 v6, v75, v5
	ds_bpermute_b32 v7, v75, v4
	v_cndmask_b32_e64 v25, 0, 8, vcc_lo
	v_cmp_gt_u32_e32 vcc_lo, v76, v9
	s_delay_alu instid0(VALU_DEP_2) | instskip(SKIP_3) | instid1(VALU_DEP_1)
	v_add_lshl_u32 v77, v25, v63, 2
	s_wait_dscnt 0x1
	v_dual_mov_b32 v25, 0 :: v_dual_add_nc_u32 v6, v5, v6
	s_wait_dscnt 0x0
	v_dual_add_nc_u32 v7, v4, v7 :: v_dual_cndmask_b32 v5, v6, v5, vcc_lo
	s_delay_alu instid0(VALU_DEP_1) | instskip(SKIP_4) | instid1(VALU_DEP_1)
	v_cndmask_b32_e32 v4, v7, v4, vcc_lo
	ds_bpermute_b32 v6, v77, v5
	ds_bpermute_b32 v7, v77, v4
	s_wait_dscnt 0x1
	v_dual_add_nc_u32 v78, 8, v63 :: v_dual_add_nc_u32 v6, v5, v6
	v_cmp_gt_u32_e32 vcc_lo, v78, v9
	s_wait_dscnt 0x0
	s_delay_alu instid0(VALU_DEP_2) | instskip(NEXT) | instid1(VALU_DEP_1)
	v_dual_add_nc_u32 v7, v4, v7 :: v_dual_cndmask_b32 v5, v6, v5, vcc_lo
	v_cndmask_b32_e32 v4, v7, v4, vcc_lo
	v_cmp_le_u32_e32 vcc_lo, v80, v9
	ds_bpermute_b32 v7, v79, v5
	ds_bpermute_b32 v6, v79, v4
	s_wait_dscnt 0x0
	v_dual_cndmask_b32 v7, 0, v7 :: v_dual_cndmask_b32 v6, 0, v6
	s_delay_alu instid0(VALU_DEP_1)
	v_dual_add_nc_u32 v7, v7, v5 :: v_dual_add_nc_u32 v6, v6, v4
	s_branch .LBB4_127
.LBB4_124:                              ;   in Loop: Header=BB4_127 Depth=1
	s_or_b32 exec_lo, exec_lo, s8
.LBB4_125:                              ;   in Loop: Header=BB4_127 Depth=1
	s_delay_alu instid0(SALU_CYCLE_1)
	s_or_b32 exec_lo, exec_lo, s7
	ds_bpermute_b32 v9, v71, v6
	ds_bpermute_b32 v26, v71, v7
	v_and_b32_e32 v27, 0xff, v8
	v_subrev_nc_u32_e32 v24, 32, v24
	s_mov_b32 s7, 0
	s_delay_alu instid0(VALU_DEP_2) | instskip(SKIP_1) | instid1(VALU_DEP_1)
	v_cmp_eq_u16_e32 vcc_lo, 2, v27
	v_and_or_b32 v27, vcc_lo, v72, 0x80000000
	v_ctz_i32_b32_e32 v27, v27
	s_wait_dscnt 0x0
	v_dual_add_nc_u32 v9, v9, v6 :: v_dual_add_nc_u32 v26, v26, v7
	s_delay_alu instid0(VALU_DEP_2) | instskip(NEXT) | instid1(VALU_DEP_2)
	v_cmp_lt_u32_e32 vcc_lo, v63, v27
	v_dual_cndmask_b32 v7, v7, v26 :: v_dual_cndmask_b32 v6, v6, v9
	v_cmp_gt_u32_e32 vcc_lo, v74, v27
	ds_bpermute_b32 v26, v73, v7
	ds_bpermute_b32 v9, v73, v6
	s_wait_dscnt 0x0
	v_dual_add_nc_u32 v26, v7, v26 :: v_dual_add_nc_u32 v9, v6, v9
	s_delay_alu instid0(VALU_DEP_1)
	v_dual_cndmask_b32 v7, v26, v7 :: v_dual_cndmask_b32 v6, v9, v6
	v_cmp_gt_u32_e32 vcc_lo, v76, v27
	ds_bpermute_b32 v26, v75, v7
	ds_bpermute_b32 v9, v75, v6
	s_wait_dscnt 0x0
	v_dual_add_nc_u32 v26, v7, v26 :: v_dual_add_nc_u32 v9, v6, v9
	s_delay_alu instid0(VALU_DEP_1)
	;; [unrolled: 7-line block ×3, first 2 shown]
	v_dual_cndmask_b32 v7, v26, v7 :: v_dual_cndmask_b32 v6, v9, v6
	v_cmp_le_u32_e32 vcc_lo, v80, v27
	ds_bpermute_b32 v26, v79, v7
	ds_bpermute_b32 v9, v79, v6
	s_wait_dscnt 0x0
	v_dual_cndmask_b32 v26, 0, v26 :: v_dual_cndmask_b32 v9, 0, v9
	s_delay_alu instid0(VALU_DEP_1) | instskip(NEXT) | instid1(VALU_DEP_2)
	v_add3_u32 v7, v7, v5, v26
	v_add3_u32 v6, v6, v4, v9
.LBB4_126:                              ;   in Loop: Header=BB4_127 Depth=1
	s_and_b32 vcc_lo, exec_lo, s7
	s_cbranch_vccnz .LBB4_132
.LBB4_127:                              ; =>This Loop Header: Depth=1
                                        ;     Child Loop BB4_130 Depth 2
	v_and_b32_e32 v4, 0xff, v8
	s_mov_b32 s7, -1
                                        ; implicit-def: $vgpr8
	s_delay_alu instid0(VALU_DEP_1)
	v_cmp_ne_u16_e32 vcc_lo, 2, v4
	v_mov_b64_e32 v[4:5], v[6:7]
                                        ; implicit-def: $vgpr6_vgpr7
	s_cmp_lg_u32 vcc_lo, exec_lo
	s_cbranch_scc1 .LBB4_126
; %bb.128:                              ;   in Loop: Header=BB4_127 Depth=1
	v_lshl_add_u64 v[26:27], v[24:25], 4, s[4:5]
	;;#ASMSTART
	global_load_b128 v[6:9], v[26:27] off scope:SCOPE_DEV	
s_wait_loadcnt 0x0
	;;#ASMEND
	v_and_b32_e32 v9, 0xff, v8
	s_mov_b32 s7, exec_lo
	s_delay_alu instid0(VALU_DEP_1)
	v_cmpx_eq_u16_e32 0, v9
	s_cbranch_execz .LBB4_125
; %bb.129:                              ;   in Loop: Header=BB4_127 Depth=1
	s_mov_b32 s8, 0
.LBB4_130:                              ;   Parent Loop BB4_127 Depth=1
                                        ; =>  This Inner Loop Header: Depth=2
	;;#ASMSTART
	global_load_b128 v[6:9], v[26:27] off scope:SCOPE_DEV	
s_wait_loadcnt 0x0
	;;#ASMEND
	v_and_b32_e32 v9, 0xff, v8
	s_delay_alu instid0(VALU_DEP_1) | instskip(SKIP_1) | instid1(SALU_CYCLE_1)
	v_cmp_ne_u16_e32 vcc_lo, 0, v9
	s_or_b32 s8, vcc_lo, s8
	s_and_not1_b32 exec_lo, exec_lo, s8
	s_cbranch_execnz .LBB4_130
	s_branch .LBB4_124
.LBB4_131:
                                        ; implicit-def: $vgpr1
                                        ; implicit-def: $vgpr4
                                        ; implicit-def: $vgpr6
                                        ; implicit-def: $vgpr8
                                        ; implicit-def: $vgpr22
	s_and_b32 vcc_lo, exec_lo, s3
	s_cbranch_vccnz .LBB4_137
	s_branch .LBB4_146
.LBB4_132:
	s_and_saveexec_b32 s7, s2
	s_cbranch_execz .LBB4_134
; %bb.133:
	s_add_co_i32 s8, s33, 32
	s_mov_b32 s9, 0
	v_dual_mov_b32 v8, 2 :: v_dual_mov_b32 v9, 0
	s_lshl_b64 s[8:9], s[8:9], 4
	v_dual_add_nc_u32 v7, v5, v3 :: v_dual_add_nc_u32 v6, v4, v2
	s_add_nc_u64 s[8:9], s[4:5], s[8:9]
	s_delay_alu instid0(SALU_CYCLE_1)
	v_mov_b64_e32 v[24:25], s[8:9]
	;;#ASMSTART
	global_store_b128 v[24:25], v[6:9] off scope:SCOPE_DEV	
s_wait_storecnt 0x0
	;;#ASMEND
	ds_store_b128 v9, v[2:5] offset:13312
.LBB4_134:
	s_or_b32 exec_lo, exec_lo, s7
	v_cmp_eq_u32_e32 vcc_lo, 0, v0
	s_and_b32 exec_lo, exec_lo, vcc_lo
; %bb.135:
	v_mov_b32_e32 v2, 0
	ds_store_b64 v2, v[4:5] offset:56
.LBB4_136:
	s_or_b32 exec_lo, exec_lo, s3
	s_wait_dscnt 0x0
	v_dual_mov_b32 v2, 0 :: v_dual_cndmask_b32 v1, v1, v23, s2
	s_barrier_signal -1
	s_barrier_wait -1
	ds_load_b64 v[8:9], v2 offset:56
	s_wait_dscnt 0x0
	s_barrier_signal -1
	s_barrier_wait -1
	ds_load_b128 v[2:5], v2 offset:13312
	v_cndmask_b32_e64 v6, v70, v22, s2
	v_cmp_eq_u32_e32 vcc_lo, 0, v0
	s_delay_alu instid0(VALU_DEP_2) | instskip(SKIP_2) | instid1(VALU_DEP_2)
	v_dual_add_nc_u32 v1, v9, v1 :: v_dual_add_nc_u32 v7, v8, v6
	s_wait_dscnt 0x0
	v_mov_b32_e32 v6, v5
	v_dual_cndmask_b32 v1, v1, v9 :: v_dual_cndmask_b32 v22, v7, v8
	v_mov_b32_e32 v8, v3
	s_branch .LBB4_146
.LBB4_137:
	v_mov_b32_dpp v1, v68 row_shr:1 row_mask:0xf bank_mask:0xf
	v_mov_b32_dpp v2, v69 row_shr:1 row_mask:0xf bank_mask:0xf
	v_cmp_lt_u32_e32 vcc_lo, 3, v65
	s_delay_alu instid0(VALU_DEP_2) | instskip(NEXT) | instid1(VALU_DEP_1)
	v_dual_add_nc_u32 v1, v1, v68 :: v_dual_add_nc_u32 v2, v2, v69
	v_dual_cndmask_b32 v1, v1, v68, s1 :: v_dual_cndmask_b32 v2, v2, v69, s1
	s_mov_b32 s1, exec_lo
	s_delay_alu instid0(VALU_DEP_1) | instskip(NEXT) | instid1(VALU_DEP_2)
	v_mov_b32_dpp v3, v1 row_shr:2 row_mask:0xf bank_mask:0xf
	v_mov_b32_dpp v4, v2 row_shr:2 row_mask:0xf bank_mask:0xf
	s_delay_alu instid0(VALU_DEP_1) | instskip(NEXT) | instid1(VALU_DEP_1)
	v_dual_add_nc_u32 v3, v1, v3 :: v_dual_add_nc_u32 v4, v2, v4
	v_dual_cndmask_b32 v1, v1, v3, s0 :: v_dual_cndmask_b32 v2, v2, v4, s0
	s_delay_alu instid0(VALU_DEP_1) | instskip(NEXT) | instid1(VALU_DEP_2)
	v_mov_b32_dpp v3, v1 row_shr:4 row_mask:0xf bank_mask:0xf
	v_mov_b32_dpp v4, v2 row_shr:4 row_mask:0xf bank_mask:0xf
	s_delay_alu instid0(VALU_DEP_1) | instskip(NEXT) | instid1(VALU_DEP_1)
	v_dual_add_nc_u32 v3, v1, v3 :: v_dual_add_nc_u32 v4, v2, v4
	v_dual_cndmask_b32 v3, v1, v3 :: v_dual_cndmask_b32 v2, v2, v4
	v_cmp_lt_u32_e32 vcc_lo, 7, v65
	s_delay_alu instid0(VALU_DEP_2) | instskip(NEXT) | instid1(VALU_DEP_3)
	v_mov_b32_dpp v1, v3 row_shr:8 row_mask:0xf bank_mask:0xf
	v_mov_b32_dpp v4, v2 row_shr:8 row_mask:0xf bank_mask:0xf
	s_delay_alu instid0(VALU_DEP_1) | instskip(NEXT) | instid1(VALU_DEP_1)
	v_dual_add_nc_u32 v5, v3, v1 :: v_dual_add_nc_u32 v1, v2, v4
	v_cndmask_b32_e32 v1, v2, v1, vcc_lo
	s_delay_alu instid0(VALU_DEP_2)
	v_cndmask_b32_e32 v2, v3, v5, vcc_lo
	v_cmp_eq_u32_e32 vcc_lo, 0, v67
	ds_swizzle_b32 v4, v2 offset:swizzle(BROADCAST,32,15)
	s_wait_dscnt 0x0
	v_add_nc_u32_e32 v4, v2, v4
	ds_swizzle_b32 v3, v1 offset:swizzle(BROADCAST,32,15)
	s_wait_dscnt 0x0
	v_add_nc_u32_e32 v3, v1, v3
	v_cmpx_eq_u32_e64 v0, v66
; %bb.138:
	s_delay_alu instid0(VALU_DEP_2)
	v_dual_cndmask_b32 v6, v4, v2 :: v_dual_cndmask_b32 v7, v3, v1
	v_lshlrev_b32_e32 v5, 3, v64
	ds_store_b64 v5, v[6:7]
; %bb.139:
	s_or_b32 exec_lo, exec_lo, s1
	s_delay_alu instid0(SALU_CYCLE_1)
	s_mov_b32 s1, exec_lo
	s_wait_dscnt 0x0
	s_barrier_signal -1
	s_barrier_wait -1
	v_cmpx_gt_u32_e32 8, v0
	s_cbranch_execz .LBB4_141
; %bb.140:
	v_dual_lshlrev_b32 v5, 3, v0 :: v_dual_bitop2_b32 v22, 7, v63 bitop3:0x40
	ds_load_b64 v[6:7], v5
	v_cmp_eq_u32_e64 s0, 0, v22
	s_wait_dscnt 0x0
	v_mov_b32_dpp v8, v6 row_shr:1 row_mask:0xf bank_mask:0xf
	v_mov_b32_dpp v9, v7 row_shr:1 row_mask:0xf bank_mask:0xf
	s_delay_alu instid0(VALU_DEP_1) | instskip(NEXT) | instid1(VALU_DEP_1)
	v_dual_add_nc_u32 v8, v8, v6 :: v_dual_add_nc_u32 v9, v9, v7
	v_dual_cndmask_b32 v6, v8, v6, s0 :: v_dual_cndmask_b32 v7, v9, v7, s0
	v_cmp_lt_u32_e64 s0, 1, v22
	s_delay_alu instid0(VALU_DEP_2) | instskip(NEXT) | instid1(VALU_DEP_3)
	v_mov_b32_dpp v8, v6 row_shr:2 row_mask:0xf bank_mask:0xf
	v_mov_b32_dpp v9, v7 row_shr:2 row_mask:0xf bank_mask:0xf
	s_delay_alu instid0(VALU_DEP_1) | instskip(NEXT) | instid1(VALU_DEP_1)
	v_dual_add_nc_u32 v8, v6, v8 :: v_dual_add_nc_u32 v9, v7, v9
	v_dual_cndmask_b32 v6, v6, v8, s0 :: v_dual_cndmask_b32 v7, v7, v9, s0
	v_cmp_lt_u32_e64 s0, 3, v22
	s_delay_alu instid0(VALU_DEP_2) | instskip(NEXT) | instid1(VALU_DEP_3)
	v_mov_b32_dpp v8, v6 row_shr:4 row_mask:0xf bank_mask:0xf
	v_mov_b32_dpp v9, v7 row_shr:4 row_mask:0xf bank_mask:0xf
	s_delay_alu instid0(VALU_DEP_1) | instskip(NEXT) | instid1(VALU_DEP_1)
	v_dual_cndmask_b32 v8, 0, v8, s0 :: v_dual_cndmask_b32 v9, 0, v9, s0
	v_dual_add_nc_u32 v6, v8, v6 :: v_dual_add_nc_u32 v7, v9, v7
	ds_store_b64 v5, v[6:7]
.LBB4_141:
	s_or_b32 exec_lo, exec_lo, s1
	v_dual_mov_b32 v5, 0 :: v_dual_mov_b32 v6, 0
	v_mov_b32_e32 v7, 0
	s_mov_b32 s1, exec_lo
	s_wait_dscnt 0x0
	s_barrier_signal -1
	s_barrier_wait -1
	v_cmpx_lt_u32_e32 31, v0
; %bb.142:
	v_lshl_add_u32 v6, v64, 3, -8
	ds_load_b64 v[6:7], v6
; %bb.143:
	s_or_b32 exec_lo, exec_lo, s1
	v_sub_co_u32 v8, s0, v63, 1
	v_dual_cndmask_b32 v2, v4, v2 :: v_dual_cndmask_b32 v1, v3, v1
	v_cmp_eq_u32_e32 vcc_lo, 0, v0
	s_delay_alu instid0(VALU_DEP_3) | instskip(SKIP_1) | instid1(VALU_DEP_1)
	v_cmp_gt_i32_e64 s1, 0, v8
	s_wait_dscnt 0x0
	v_dual_add_nc_u32 v2, v6, v2 :: v_dual_cndmask_b32 v4, v8, v63, s1
	s_delay_alu instid0(VALU_DEP_1)
	v_dual_lshlrev_b32 v3, 2, v4 :: v_dual_add_nc_u32 v4, v7, v1
	ds_bpermute_b32 v1, v3, v2
	ds_bpermute_b32 v8, v3, v4
	ds_load_b64 v[2:3], v5 offset:56
	s_and_saveexec_b32 s1, vcc_lo
	s_cbranch_execz .LBB4_145
; %bb.144:
	s_wait_kmcnt 0x0
	s_add_nc_u64 s[2:3], s[4:5], 0x200
	v_dual_mov_b32 v4, 2 :: v_dual_mov_b32 v5, 0
	v_mov_b64_e32 v[22:23], s[2:3]
	s_wait_dscnt 0x0
	;;#ASMSTART
	global_store_b128 v[22:23], v[2:5] off scope:SCOPE_DEV	
s_wait_storecnt 0x0
	;;#ASMEND
.LBB4_145:
	s_or_b32 exec_lo, exec_lo, s1
	s_wait_dscnt 0x1
	v_dual_cndmask_b32 v5, v8, v7, s0 :: v_dual_cndmask_b32 v7, v1, v6, s0
	v_dual_mov_b32 v6, 0 :: v_dual_mov_b32 v4, 0
	s_wait_dscnt 0x0
	v_mov_b32_e32 v8, v3
	s_delay_alu instid0(VALU_DEP_3)
	v_cndmask_b32_e64 v1, v5, 0, vcc_lo
	v_cndmask_b32_e64 v22, v7, 0, vcc_lo
	s_barrier_signal -1
	s_barrier_wait -1
.LBB4_146:
	s_delay_alu instid0(VALU_DEP_1) | instskip(SKIP_1) | instid1(VALU_DEP_2)
	v_dual_add_nc_u32 v62, v1, v62 :: v_dual_add_nc_u32 v70, v22, v61
	v_dual_mov_b32 v5, 0 :: v_dual_lshrrev_b32 v68, 16, v37
	v_dual_lshrrev_b32 v3, 8, v37 :: v_dual_add_nc_u32 v71, v62, v60
	s_delay_alu instid0(VALU_DEP_3) | instskip(SKIP_1) | instid1(VALU_DEP_3)
	v_dual_add_nc_u32 v59, v70, v59 :: v_dual_lshlrev_b32 v60, 1, v2
	v_dual_sub_nc_u32 v72, v22, v4 :: v_dual_sub_nc_u32 v1, v1, v6
	v_dual_add_nc_u32 v73, v71, v44 :: v_dual_bitop2_b32 v74, 1, v31 bitop3:0x40
	s_delay_alu instid0(VALU_DEP_3) | instskip(NEXT) | instid1(VALU_DEP_3)
	v_dual_add_nc_u32 v58, v59, v58 :: v_dual_bitop2_b32 v75, 1, v3 bitop3:0x40
	v_dual_add_nc_u32 v1, v1, v2 :: v_dual_sub_nc_u32 v70, v70, v4
	s_delay_alu instid0(VALU_DEP_2)
	v_dual_add_nc_u32 v57, v73, v57 :: v_dual_add_nc_u32 v76, v58, v43
	v_mov_b32_e32 v61, v5
	s_wait_kmcnt 0x0
	v_add_nc_u64_e32 v[22:23], s[28:29], v[4:5]
	v_dual_mov_b32 v3, v5 :: v_dual_mov_b32 v7, v5
	v_dual_add_nc_u32 v55, v76, v55 :: v_dual_add_nc_u32 v56, v57, v56
	v_cmp_eq_u32_e32 vcc_lo, 1, v75
	v_dual_lshrrev_b32 v69, 8, v31 :: v_dual_lshrrev_b32 v67, 16, v31
	s_delay_alu instid0(VALU_DEP_3) | instskip(NEXT) | instid1(VALU_DEP_4)
	v_dual_add_nc_u32 v53, v55, v53 :: v_dual_mov_b32 v9, v5
	v_add_nc_u32_e32 v54, v56, v54
	v_add3_u32 v5, v60, v8, v30
	s_delay_alu instid0(VALU_DEP_3) | instskip(NEXT) | instid1(VALU_DEP_3)
	v_dual_sub_nc_u32 v62, v62, v6 :: v_dual_add_nc_u32 v51, v53, v51
	v_dual_add_nc_u32 v78, v72, v1 :: v_dual_add_nc_u32 v77, v54, v42
	s_delay_alu instid0(VALU_DEP_2) | instskip(NEXT) | instid1(VALU_DEP_2)
	v_dual_sub_nc_u32 v59, v59, v4 :: v_dual_add_nc_u32 v62, v62, v2
	v_dual_add_nc_u32 v79, v51, v41 :: v_dual_sub_nc_u32 v78, v5, v78
	s_delay_alu instid0(VALU_DEP_3) | instskip(SKIP_1) | instid1(VALU_DEP_3)
	v_add_nc_u32_e32 v52, v77, v52
	v_dual_sub_nc_u32 v73, v73, v6 :: v_dual_sub_nc_u32 v58, v58, v4
	v_add_nc_u32_e32 v48, v79, v48
	s_delay_alu instid0(VALU_DEP_4) | instskip(SKIP_2) | instid1(VALU_DEP_4)
	v_dual_sub_nc_u32 v71, v71, v6 :: v_dual_cndmask_b32 v1, v78, v1, vcc_lo
	v_cmp_eq_u32_e32 vcc_lo, 1, v74
	v_add_nc_u32_e32 v50, v52, v50
	v_dual_add_nc_u32 v80, v62, v70 :: v_dual_add_nc_u32 v47, v48, v47
	v_dual_lshrrev_b32 v66, 8, v32 :: v_dual_lshrrev_b32 v65, 16, v32
	v_dual_cndmask_b32 v1, v1, v72, vcc_lo :: v_dual_add_nc_u32 v71, v71, v2
	s_delay_alu instid0(VALU_DEP_3) | instskip(NEXT) | instid1(VALU_DEP_4)
	v_dual_add_nc_u32 v49, v50, v49 :: v_dual_add_nc_u32 v46, v47, v46
	v_sub_nc_u32_e32 v74, v5, v80
	s_delay_alu instid0(VALU_DEP_3) | instskip(NEXT) | instid1(VALU_DEP_3)
	v_dual_add_nc_u32 v75, v71, v59 :: v_dual_bitop2_b32 v68, 1, v68 bitop3:0x40
	v_dual_add_nc_u32 v72, v49, v40 :: v_dual_bitop2_b32 v69, 1, v69 bitop3:0x40
	s_delay_alu instid0(VALU_DEP_3) | instskip(NEXT) | instid1(VALU_DEP_3)
	v_add_nc_u32_e32 v74, 1, v74
	v_cmp_eq_u32_e32 vcc_lo, 1, v68
	s_delay_alu instid0(VALU_DEP_3) | instskip(SKIP_1) | instid1(VALU_DEP_4)
	v_dual_sub_nc_u32 v75, v5, v75 :: v_dual_add_nc_u32 v45, v72, v45
	v_dual_add_nc_u32 v68, v73, v2 :: v_dual_bitop2_b32 v44, 1, v44 bitop3:0x40
	v_cndmask_b32_e32 v62, v74, v62, vcc_lo
	v_cmp_eq_u32_e32 vcc_lo, 1, v69
	s_delay_alu instid0(VALU_DEP_3)
	v_dual_add_nc_u32 v73, 2, v75 :: v_dual_add_nc_u32 v69, v58, v68
	v_dual_lshlrev_b32 v1, 2, v1 :: v_dual_bitop2_b32 v67, 1, v67 bitop3:0x40
	v_add_nc_u32_e32 v78, v46, v39
	v_cndmask_b32_e32 v62, v62, v70, vcc_lo
	v_cmp_eq_u32_e32 vcc_lo, 1, v44
	v_dual_sub_nc_u32 v57, v57, v6 :: v_dual_bitop2_b32 v43, 1, v43 bitop3:0x40
	ds_store_b32 v1, v20
	v_dual_lshlrev_b32 v20, 2, v62 :: v_dual_cndmask_b32 v44, v73, v71, vcc_lo
	v_cmp_eq_u32_e32 vcc_lo, 1, v67
	v_sub_nc_u32_e32 v1, v5, v69
	v_dual_lshrrev_b32 v63, 16, v33 :: v_dual_lshrrev_b32 v64, 8, v33
	ds_store_b32 v20, v21
	v_dual_cndmask_b32 v44, v44, v59, vcc_lo :: v_dual_bitop2_b32 v32, 1, v32 bitop3:0x40
	v_dual_add_nc_u32 v1, 3, v1 :: v_dual_add_nc_u32 v57, v57, v2
	v_dual_sub_nc_u32 v54, v54, v6 :: v_dual_lshrrev_b32 v25, 16, v35
	v_lshrrev_b32_e32 v27, 8, v35
	s_delay_alu instid0(VALU_DEP_4)
	v_cmp_eq_u32_e32 vcc_lo, 1, v32
	v_sub_nc_u32_e32 v56, v56, v6
	v_sub_nc_u32_e32 v32, v76, v4
	v_dual_lshrrev_b32 v26, 8, v36 :: v_dual_lshrrev_b32 v24, 16, v36
	v_cndmask_b32_e32 v1, v1, v68, vcc_lo
	v_cmp_eq_u32_e32 vcc_lo, 1, v43
	v_dual_sub_nc_u32 v55, v55, v4 :: v_dual_add_nc_u32 v56, v56, v2
	v_dual_add_nc_u32 v43, v32, v57 :: v_dual_lshlrev_b32 v21, 2, v44
	s_delay_alu instid0(VALU_DEP_4) | instskip(NEXT) | instid1(VALU_DEP_2)
	v_dual_cndmask_b32 v1, v1, v58, vcc_lo :: v_dual_bitop2_b32 v58, 1, v65 bitop3:0x40
	v_dual_add_nc_u32 v20, v55, v56 :: v_dual_sub_nc_u32 v43, v5, v43
	s_delay_alu instid0(VALU_DEP_2) | instskip(NEXT) | instid1(VALU_DEP_2)
	v_dual_lshlrev_b32 v1, 2, v1 :: v_dual_bitop2_b32 v44, 1, v66 bitop3:0x40
	v_dual_sub_nc_u32 v20, v5, v20 :: v_dual_bitop2_b32 v33, 1, v33 bitop3:0x40
	s_delay_alu instid0(VALU_DEP_3) | instskip(NEXT) | instid1(VALU_DEP_3)
	v_add_nc_u32_e32 v43, 4, v43
	v_cmp_eq_u32_e32 vcc_lo, 1, v44
	v_dual_sub_nc_u32 v53, v53, v4 :: v_dual_add_nc_u32 v54, v54, v2
	s_delay_alu instid0(VALU_DEP_4)
	v_add_nc_u32_e32 v20, 5, v20
	ds_store_b32 v21, v18
	v_cndmask_b32_e32 v43, v43, v57, vcc_lo
	v_cmp_eq_u32_e32 vcc_lo, 1, v58
	v_and_b32_e32 v44, 1, v64
	ds_store_b32 v1, v19
	v_and_b32_e32 v21, 1, v63
	v_sub_nc_u64_e32 v[30:31], s[30:31], v[2:3]
	v_dual_cndmask_b32 v20, v20, v56, vcc_lo :: v_dual_add_nc_u32 v56, v53, v54
	v_cmp_eq_u32_e32 vcc_lo, 1, v33
	v_sub_nc_u32_e32 v33, v52, v6
	s_mov_b32 s41, 0
	s_delay_alu instid0(VALU_DEP_3)
	v_dual_sub_nc_u32 v18, v5, v56 :: v_dual_bitop2_b32 v27, 1, v27 bitop3:0x40
	v_cndmask_b32_e32 v32, v43, v32, vcc_lo
	v_cmp_eq_u32_e32 vcc_lo, 1, v44
	v_add_nc_u64_e32 v[30:31], v[30:31], v[6:7]
	s_add_nc_u64 s[0:1], s[34:35], s[40:41]
	v_dual_add_nc_u32 v18, 6, v18 :: v_dual_cndmask_b32 v20, v20, v55, vcc_lo
	v_dual_lshlrev_b32 v1, 2, v32 :: v_dual_sub_nc_u32 v32, v77, v6
	s_delay_alu instid0(VALU_DEP_2)
	v_dual_lshlrev_b32 v19, 2, v20 :: v_dual_bitop2_b32 v20, 1, v42 bitop3:0x40
	v_sub_nc_u32_e32 v42, v79, v4
	ds_store_b32 v1, v16
	ds_store_b32 v19, v17
	v_cmp_eq_u32_e32 vcc_lo, 1, v20
	v_dual_sub_nc_u32 v20, v51, v4 :: v_dual_add_nc_u32 v32, v32, v2
	v_dual_add_nc_u32 v33, v33, v2 :: v_dual_bitop2_b32 v19, 1, v35 bitop3:0x40
	v_cndmask_b32_e32 v18, v18, v54, vcc_lo
	v_cmp_eq_u32_e32 vcc_lo, 1, v21
	s_delay_alu instid0(VALU_DEP_4) | instskip(NEXT) | instid1(VALU_DEP_3)
	v_add_nc_u32_e32 v21, v20, v32
	v_dual_cndmask_b32 v18, v18, v53 :: v_dual_sub_nc_u32 v35, v48, v4
	v_add_nc_u32_e32 v1, v42, v33
	s_delay_alu instid0(VALU_DEP_3) | instskip(SKIP_1) | instid1(VALU_DEP_4)
	v_dual_sub_nc_u32 v17, v5, v21 :: v_dual_sub_nc_u32 v21, v50, v6
	v_cmp_eq_u32_e32 vcc_lo, 1, v19
	v_dual_lshlrev_b32 v16, 2, v18 :: v_dual_bitop2_b32 v18, 1, v41 bitop3:0x40
	s_delay_alu instid0(VALU_DEP_4) | instskip(NEXT) | instid1(VALU_DEP_4)
	v_sub_nc_u32_e32 v1, v5, v1
	v_dual_add_nc_u32 v17, 7, v17 :: v_dual_add_nc_u32 v21, v21, v2
	ds_store_b32 v16, v14
	v_dual_add_nc_u32 v1, 8, v1 :: v_dual_cndmask_b32 v17, v17, v32, vcc_lo
	v_cmp_eq_u32_e32 vcc_lo, 1, v27
	v_dual_add_nc_u32 v27, v35, v21 :: v_dual_bitop2_b32 v19, 1, v36 bitop3:0x40
	s_delay_alu instid0(VALU_DEP_3) | instskip(SKIP_1) | instid1(VALU_DEP_3)
	v_cndmask_b32_e32 v1, v1, v33, vcc_lo
	v_cmp_eq_u32_e32 vcc_lo, 1, v18
	v_dual_sub_nc_u32 v14, v5, v27 :: v_dual_bitop2_b32 v18, 1, v25 bitop3:0x40
	v_cndmask_b32_e32 v17, v17, v20, vcc_lo
	v_cmp_eq_u32_e32 vcc_lo, 1, v19
	v_dual_sub_nc_u32 v19, v47, v4 :: v_dual_cndmask_b32 v1, v1, v42, vcc_lo
	s_delay_alu instid0(VALU_DEP_4) | instskip(NEXT) | instid1(VALU_DEP_2)
	v_cmp_eq_u32_e32 vcc_lo, 1, v18
	v_lshlrev_b32_e32 v1, 2, v1
	v_dual_lshlrev_b32 v16, 2, v17 :: v_dual_sub_nc_u32 v17, v49, v6
	ds_store_b32 v16, v15
	v_add_nc_u32_e32 v17, v17, v2
	v_add_nc_u32_e32 v14, 9, v14
	ds_store_b32 v1, v12
	v_dual_sub_nc_u32 v16, v45, v6 :: v_dual_add_nc_u32 v15, v19, v17
	v_dual_cndmask_b32 v14, v14, v21, vcc_lo :: v_dual_bitop2_b32 v20, 1, v26 bitop3:0x40
	v_sub_nc_u32_e32 v12, v72, v6
	s_delay_alu instid0(VALU_DEP_3) | instskip(NEXT) | instid1(VALU_DEP_3)
	v_add_nc_u32_e32 v16, v16, v2
	v_cmp_eq_u32_e32 vcc_lo, 1, v20
	v_sub_nc_u32_e32 v20, v78, v4
	v_cndmask_b32_e32 v1, v14, v35, vcc_lo
	v_dual_sub_nc_u32 v14, v5, v15 :: v_dual_bitop2_b32 v15, 1, v40 bitop3:0x40
	v_dual_sub_nc_u32 v18, v46, v4 :: v_dual_add_nc_u32 v12, v12, v2
	s_delay_alu instid0(VALU_DEP_2) | instskip(NEXT) | instid1(VALU_DEP_3)
	v_dual_add_nc_u32 v14, 10, v14 :: v_dual_bitop2_b32 v4, 1, v24 bitop3:0x40
	v_cmp_eq_u32_e32 vcc_lo, 1, v15
	v_add_nc_u32_e32 v15, v20, v16
	s_delay_alu instid0(VALU_DEP_4) | instskip(NEXT) | instid1(VALU_DEP_4)
	v_dual_add_nc_u32 v21, v18, v12 :: v_dual_lshlrev_b32 v1, 2, v1
	v_cndmask_b32_e32 v14, v14, v17, vcc_lo
	v_cmp_eq_u32_e32 vcc_lo, 1, v4
	s_delay_alu instid0(VALU_DEP_3) | instskip(SKIP_4) | instid1(VALU_DEP_3)
	v_dual_sub_nc_u32 v17, v5, v21 :: v_dual_sub_nc_u32 v4, v5, v15
	ds_store_b32 v1, v13
	v_dual_cndmask_b32 v14, v14, v19, vcc_lo :: v_dual_bitop2_b32 v19, 1, v34 bitop3:0x40
	v_dual_add_nc_u32 v17, 11, v17 :: v_dual_bitop2_b32 v15, 1, v39 bitop3:0x40
	v_dual_add_nc_u32 v24, 12, v4 :: v_dual_bitop2_b32 v21, 1, v38 bitop3:0x40
	v_cmp_eq_u32_e32 vcc_lo, 1, v19
	v_add_nc_u64_e32 v[4:5], v[8:9], v[60:61]
	s_delay_alu instid0(VALU_DEP_4) | instskip(SKIP_2) | instid1(VALU_DEP_4)
	v_dual_lshlrev_b32 v14, 2, v14 :: v_dual_cndmask_b32 v12, v17, v12, vcc_lo
	v_and_b32_e32 v17, 1, v37
	v_cmp_eq_u32_e32 vcc_lo, 1, v21
	v_add_nc_u64_e32 v[4:5], v[4:5], v[30:31]
	ds_store_b32 v14, v10
	v_cndmask_b32_e32 v16, v24, v16, vcc_lo
	v_cmp_eq_u32_e32 vcc_lo, 1, v15
	v_add_nc_u64_e32 v[4:5], v[4:5], v[22:23]
	v_cndmask_b32_e32 v12, v12, v18, vcc_lo
	v_cmp_eq_u32_e32 vcc_lo, 1, v17
	v_cndmask_b32_e32 v15, v16, v20, vcc_lo
	v_cmp_ne_u32_e32 vcc_lo, 1, v29
	s_delay_alu instid0(VALU_DEP_2)
	v_dual_lshlrev_b32 v10, 2, v15 :: v_dual_lshlrev_b32 v1, 2, v12
	v_lshlrev_b64_e32 v[12:13], 2, v[30:31]
	v_lshlrev_b64_e32 v[14:15], 2, v[22:23]
	s_and_b32 vcc_lo, exec_lo, vcc_lo
	ds_store_b32 v1, v11
	ds_store_b32 v10, v28
	v_sub_nc_u64_e32 v[10:11], s[0:1], v[4:5]
	v_add_nc_u64_e32 v[4:5], s[38:39], v[12:13]
	v_add_nc_u64_e32 v[12:13], s[36:37], v[14:15]
	v_add_nc_u32_e32 v14, v2, v8
	s_mov_b32 s0, -1
	s_wait_dscnt 0x0
	s_barrier_signal -1
	s_barrier_wait -1
	s_cbranch_vccz .LBB4_150
; %bb.147:
	s_and_b32 vcc_lo, exec_lo, s0
	s_cbranch_vccnz .LBB4_255
.LBB4_148:
	v_cmp_eq_u32_e32 vcc_lo, 0, v0
	s_and_b32 s0, vcc_lo, s15
	s_delay_alu instid0(SALU_CYCLE_1)
	s_and_saveexec_b32 s1, s0
	s_cbranch_execnz .LBB4_373
.LBB4_149:
	s_sendmsg sendmsg(MSG_DEALLOC_VGPRS)
	s_endpgm
.LBB4_150:
	s_mov_b32 s0, exec_lo
	v_cmpx_ge_u32_e64 v0, v2
	s_xor_b32 s0, exec_lo, s0
	s_cbranch_execz .LBB4_156
; %bb.151:
	v_mov_b32_e32 v1, 0
	s_mov_b32 s1, exec_lo
	v_cmpx_ge_u32_e64 v0, v14
	s_xor_b32 s1, exec_lo, s1
	s_cbranch_execz .LBB4_153
; %bb.152:
	v_lshlrev_b32_e32 v15, 2, v0
	v_add_nc_u64_e32 v[16:17], v[10:11], v[0:1]
	ds_load_b32 v1, v15
	v_lshlrev_b64_e32 v[16:17], 2, v[16:17]
	s_delay_alu instid0(VALU_DEP_1)
	v_sub_nc_u64_e32 v[16:17], s[26:27], v[16:17]
	s_wait_dscnt 0x0
	global_store_b32 v[16:17], v1, off offset:-4
.LBB4_153:
	s_wait_xcnt 0x0
	s_and_not1_saveexec_b32 s1, s1
	s_cbranch_execz .LBB4_155
; %bb.154:
	v_lshlrev_b32_e32 v1, 2, v0
	v_readfirstlane_b32 s2, v4
	v_readfirstlane_b32 s3, v5
	ds_load_b32 v1, v1
	s_wait_dscnt 0x0
	global_store_b32 v0, v1, s[2:3] scale_offset
.LBB4_155:
	s_wait_xcnt 0x0
	s_or_b32 exec_lo, exec_lo, s1
.LBB4_156:
	s_and_not1_saveexec_b32 s0, s0
	s_cbranch_execz .LBB4_158
; %bb.157:
	v_lshlrev_b32_e32 v1, 2, v0
	v_readfirstlane_b32 s2, v12
	v_readfirstlane_b32 s3, v13
	ds_load_b32 v1, v1
	s_wait_dscnt 0x0
	global_store_b32 v0, v1, s[2:3] scale_offset
.LBB4_158:
	s_wait_xcnt 0x0
	s_or_b32 exec_lo, exec_lo, s0
	v_or_b32_e32 v1, 0x100, v0
	s_mov_b32 s0, exec_lo
	s_delay_alu instid0(VALU_DEP_1)
	v_cmpx_ge_u32_e64 v1, v2
	s_xor_b32 s0, exec_lo, s0
	s_cbranch_execz .LBB4_164
; %bb.159:
	s_mov_b32 s1, exec_lo
	v_cmpx_ge_u32_e64 v1, v14
	s_xor_b32 s1, exec_lo, s1
	s_cbranch_execz .LBB4_161
; %bb.160:
	v_dual_mov_b32 v1, 0 :: v_dual_lshlrev_b32 v15, 2, v0
	s_delay_alu instid0(VALU_DEP_1) | instskip(SKIP_2) | instid1(VALU_DEP_1)
	v_add_nc_u64_e32 v[16:17], v[10:11], v[0:1]
	ds_load_b32 v1, v15 offset:1024
	v_lshlrev_b64_e32 v[16:17], 2, v[16:17]
	v_sub_nc_u64_e32 v[16:17], s[26:27], v[16:17]
	s_wait_dscnt 0x0
	global_store_b32 v[16:17], v1, off offset:-1028
.LBB4_161:
	s_wait_xcnt 0x0
	s_and_not1_saveexec_b32 s1, s1
	s_cbranch_execz .LBB4_163
; %bb.162:
	v_lshlrev_b32_e32 v1, 2, v0
	v_readfirstlane_b32 s2, v4
	v_readfirstlane_b32 s3, v5
	ds_load_b32 v1, v1 offset:1024
	s_wait_dscnt 0x0
	global_store_b32 v0, v1, s[2:3] offset:1024 scale_offset
.LBB4_163:
	s_wait_xcnt 0x0
	s_or_b32 exec_lo, exec_lo, s1
.LBB4_164:
	s_and_not1_saveexec_b32 s0, s0
	s_cbranch_execz .LBB4_166
; %bb.165:
	v_lshlrev_b32_e32 v1, 2, v0
	v_readfirstlane_b32 s2, v12
	v_readfirstlane_b32 s3, v13
	ds_load_b32 v1, v1 offset:1024
	s_wait_dscnt 0x0
	global_store_b32 v0, v1, s[2:3] offset:1024 scale_offset
.LBB4_166:
	s_wait_xcnt 0x0
	s_or_b32 exec_lo, exec_lo, s0
	v_or_b32_e32 v1, 0x200, v0
	s_mov_b32 s0, exec_lo
	s_delay_alu instid0(VALU_DEP_1)
	v_cmpx_ge_u32_e64 v1, v2
	s_xor_b32 s0, exec_lo, s0
	s_cbranch_execz .LBB4_172
; %bb.167:
	s_mov_b32 s1, exec_lo
	v_cmpx_ge_u32_e64 v1, v14
	s_xor_b32 s1, exec_lo, s1
	s_cbranch_execz .LBB4_169
; %bb.168:
	v_dual_mov_b32 v1, 0 :: v_dual_lshlrev_b32 v15, 2, v0
	s_delay_alu instid0(VALU_DEP_1) | instskip(SKIP_2) | instid1(VALU_DEP_1)
	v_add_nc_u64_e32 v[16:17], v[10:11], v[0:1]
	ds_load_b32 v1, v15 offset:2048
	v_lshlrev_b64_e32 v[16:17], 2, v[16:17]
	v_sub_nc_u64_e32 v[16:17], s[26:27], v[16:17]
	s_wait_dscnt 0x0
	global_store_b32 v[16:17], v1, off offset:-2052
.LBB4_169:
	s_wait_xcnt 0x0
	s_and_not1_saveexec_b32 s1, s1
	s_cbranch_execz .LBB4_171
; %bb.170:
	v_lshlrev_b32_e32 v1, 2, v0
	v_readfirstlane_b32 s2, v4
	v_readfirstlane_b32 s3, v5
	ds_load_b32 v1, v1 offset:2048
	s_wait_dscnt 0x0
	global_store_b32 v0, v1, s[2:3] offset:2048 scale_offset
.LBB4_171:
	s_wait_xcnt 0x0
	s_or_b32 exec_lo, exec_lo, s1
.LBB4_172:
	s_and_not1_saveexec_b32 s0, s0
	s_cbranch_execz .LBB4_174
; %bb.173:
	v_lshlrev_b32_e32 v1, 2, v0
	v_readfirstlane_b32 s2, v12
	v_readfirstlane_b32 s3, v13
	ds_load_b32 v1, v1 offset:2048
	s_wait_dscnt 0x0
	global_store_b32 v0, v1, s[2:3] offset:2048 scale_offset
.LBB4_174:
	;; [unrolled: 47-line block ×12, first 2 shown]
	s_wait_xcnt 0x0
	s_or_b32 exec_lo, exec_lo, s0
	s_branch .LBB4_148
.LBB4_255:
	s_mov_b32 s0, exec_lo
	v_cmpx_gt_u32_e64 s6, v0
	s_cbranch_execz .LBB4_264
; %bb.256:
	s_mov_b32 s1, exec_lo
	v_cmpx_ge_u32_e64 v0, v2
	s_xor_b32 s1, exec_lo, s1
	s_cbranch_execz .LBB4_262
; %bb.257:
	v_mov_b32_e32 v1, 0
	s_mov_b32 s2, exec_lo
	v_cmpx_ge_u32_e64 v0, v14
	s_xor_b32 s2, exec_lo, s2
	s_cbranch_execz .LBB4_259
; %bb.258:
	v_lshlrev_b32_e32 v15, 2, v0
	v_add_nc_u64_e32 v[16:17], v[10:11], v[0:1]
	ds_load_b32 v1, v15
	v_lshlrev_b64_e32 v[16:17], 2, v[16:17]
	s_delay_alu instid0(VALU_DEP_1)
	v_sub_nc_u64_e32 v[16:17], s[26:27], v[16:17]
	s_wait_dscnt 0x0
	global_store_b32 v[16:17], v1, off offset:-4
.LBB4_259:
	s_wait_xcnt 0x0
	s_and_not1_saveexec_b32 s2, s2
	s_cbranch_execz .LBB4_261
; %bb.260:
	v_lshlrev_b32_e32 v1, 2, v0
	v_readfirstlane_b32 s4, v4
	v_readfirstlane_b32 s5, v5
	ds_load_b32 v1, v1
	s_wait_dscnt 0x0
	global_store_b32 v0, v1, s[4:5] scale_offset
.LBB4_261:
	s_wait_xcnt 0x0
	s_or_b32 exec_lo, exec_lo, s2
.LBB4_262:
	s_and_not1_saveexec_b32 s1, s1
	s_cbranch_execz .LBB4_264
; %bb.263:
	v_lshlrev_b32_e32 v1, 2, v0
	v_readfirstlane_b32 s2, v12
	v_readfirstlane_b32 s3, v13
	ds_load_b32 v1, v1
	s_wait_dscnt 0x0
	global_store_b32 v0, v1, s[2:3] scale_offset
.LBB4_264:
	s_wait_xcnt 0x0
	s_or_b32 exec_lo, exec_lo, s0
	v_or_b32_e32 v1, 0x100, v0
	s_mov_b32 s0, exec_lo
	s_delay_alu instid0(VALU_DEP_1)
	v_cmpx_gt_u32_e64 s6, v1
	s_cbranch_execz .LBB4_273
; %bb.265:
	s_mov_b32 s1, exec_lo
	v_cmpx_ge_u32_e64 v1, v2
	s_xor_b32 s1, exec_lo, s1
	s_cbranch_execz .LBB4_271
; %bb.266:
	s_mov_b32 s2, exec_lo
	v_cmpx_ge_u32_e64 v1, v14
	s_xor_b32 s2, exec_lo, s2
	s_cbranch_execz .LBB4_268
; %bb.267:
	v_dual_mov_b32 v1, 0 :: v_dual_lshlrev_b32 v15, 2, v0
	s_delay_alu instid0(VALU_DEP_1) | instskip(SKIP_2) | instid1(VALU_DEP_1)
	v_add_nc_u64_e32 v[16:17], v[10:11], v[0:1]
	ds_load_b32 v1, v15 offset:1024
	v_lshlrev_b64_e32 v[16:17], 2, v[16:17]
	v_sub_nc_u64_e32 v[16:17], s[26:27], v[16:17]
	s_wait_dscnt 0x0
	global_store_b32 v[16:17], v1, off offset:-1028
.LBB4_268:
	s_wait_xcnt 0x0
	s_and_not1_saveexec_b32 s2, s2
	s_cbranch_execz .LBB4_270
; %bb.269:
	v_lshlrev_b32_e32 v1, 2, v0
	v_readfirstlane_b32 s4, v4
	v_readfirstlane_b32 s5, v5
	ds_load_b32 v1, v1 offset:1024
	s_wait_dscnt 0x0
	global_store_b32 v0, v1, s[4:5] offset:1024 scale_offset
.LBB4_270:
	s_wait_xcnt 0x0
	s_or_b32 exec_lo, exec_lo, s2
.LBB4_271:
	s_and_not1_saveexec_b32 s1, s1
	s_cbranch_execz .LBB4_273
; %bb.272:
	v_lshlrev_b32_e32 v1, 2, v0
	v_readfirstlane_b32 s2, v12
	v_readfirstlane_b32 s3, v13
	ds_load_b32 v1, v1 offset:1024
	s_wait_dscnt 0x0
	global_store_b32 v0, v1, s[2:3] offset:1024 scale_offset
.LBB4_273:
	s_wait_xcnt 0x0
	s_or_b32 exec_lo, exec_lo, s0
	v_or_b32_e32 v1, 0x200, v0
	s_mov_b32 s0, exec_lo
	s_delay_alu instid0(VALU_DEP_1)
	v_cmpx_gt_u32_e64 s6, v1
	s_cbranch_execz .LBB4_282
; %bb.274:
	s_mov_b32 s1, exec_lo
	v_cmpx_ge_u32_e64 v1, v2
	s_xor_b32 s1, exec_lo, s1
	s_cbranch_execz .LBB4_280
; %bb.275:
	s_mov_b32 s2, exec_lo
	v_cmpx_ge_u32_e64 v1, v14
	s_xor_b32 s2, exec_lo, s2
	s_cbranch_execz .LBB4_277
; %bb.276:
	v_dual_mov_b32 v1, 0 :: v_dual_lshlrev_b32 v15, 2, v0
	s_delay_alu instid0(VALU_DEP_1) | instskip(SKIP_2) | instid1(VALU_DEP_1)
	v_add_nc_u64_e32 v[16:17], v[10:11], v[0:1]
	ds_load_b32 v1, v15 offset:2048
	v_lshlrev_b64_e32 v[16:17], 2, v[16:17]
	v_sub_nc_u64_e32 v[16:17], s[26:27], v[16:17]
	s_wait_dscnt 0x0
	global_store_b32 v[16:17], v1, off offset:-2052
.LBB4_277:
	s_wait_xcnt 0x0
	s_and_not1_saveexec_b32 s2, s2
	s_cbranch_execz .LBB4_279
; %bb.278:
	v_lshlrev_b32_e32 v1, 2, v0
	v_readfirstlane_b32 s4, v4
	v_readfirstlane_b32 s5, v5
	ds_load_b32 v1, v1 offset:2048
	s_wait_dscnt 0x0
	global_store_b32 v0, v1, s[4:5] offset:2048 scale_offset
.LBB4_279:
	s_wait_xcnt 0x0
	s_or_b32 exec_lo, exec_lo, s2
.LBB4_280:
	s_and_not1_saveexec_b32 s1, s1
	s_cbranch_execz .LBB4_282
; %bb.281:
	v_lshlrev_b32_e32 v1, 2, v0
	v_readfirstlane_b32 s2, v12
	v_readfirstlane_b32 s3, v13
	ds_load_b32 v1, v1 offset:2048
	s_wait_dscnt 0x0
	global_store_b32 v0, v1, s[2:3] offset:2048 scale_offset
.LBB4_282:
	;; [unrolled: 51-line block ×11, first 2 shown]
	s_wait_xcnt 0x0
	s_or_b32 exec_lo, exec_lo, s0
	v_or_b32_e32 v1, 0xc00, v0
	s_mov_b32 s0, exec_lo
	s_delay_alu instid0(VALU_DEP_1)
	v_cmpx_gt_u32_e64 s6, v1
	s_cbranch_execz .LBB4_372
; %bb.364:
	s_mov_b32 s1, exec_lo
	v_cmpx_ge_u32_e64 v1, v2
	s_xor_b32 s1, exec_lo, s1
	s_cbranch_execz .LBB4_370
; %bb.365:
	s_mov_b32 s2, exec_lo
	v_cmpx_ge_u32_e64 v1, v14
	s_xor_b32 s2, exec_lo, s2
	s_cbranch_execz .LBB4_367
; %bb.366:
	v_dual_mov_b32 v1, 0 :: v_dual_lshlrev_b32 v12, 2, v0
	s_delay_alu instid0(VALU_DEP_1) | instskip(SKIP_2) | instid1(VALU_DEP_1)
	v_add_nc_u64_e32 v[4:5], v[10:11], v[0:1]
	ds_load_b32 v1, v12 offset:12288
	v_lshlrev_b64_e32 v[4:5], 2, v[4:5]
	v_sub_nc_u64_e32 v[4:5], s[26:27], v[4:5]
	s_wait_dscnt 0x0
	global_store_b32 v[4:5], v1, off offset:-12292
                                        ; implicit-def: $vgpr4_vgpr5
.LBB4_367:
	s_wait_xcnt 0x0
	s_and_not1_saveexec_b32 s2, s2
	s_cbranch_execz .LBB4_369
; %bb.368:
	v_lshlrev_b32_e32 v1, 2, v0
	v_readfirstlane_b32 s4, v4
	v_readfirstlane_b32 s5, v5
	ds_load_b32 v1, v1 offset:12288
	s_wait_dscnt 0x0
	global_store_b32 v0, v1, s[4:5] offset:12288 scale_offset
.LBB4_369:
	s_wait_xcnt 0x0
	s_or_b32 exec_lo, exec_lo, s2
                                        ; implicit-def: $vgpr12_vgpr13
.LBB4_370:
	s_and_not1_saveexec_b32 s1, s1
	s_cbranch_execz .LBB4_372
; %bb.371:
	v_lshlrev_b32_e32 v1, 2, v0
	v_readfirstlane_b32 s2, v12
	v_readfirstlane_b32 s3, v13
	ds_load_b32 v1, v1 offset:12288
	s_wait_dscnt 0x0
	global_store_b32 v0, v1, s[2:3] offset:12288 scale_offset
.LBB4_372:
	s_wait_xcnt 0x0
	s_or_b32 exec_lo, exec_lo, s0
	v_cmp_eq_u32_e32 vcc_lo, 0, v0
	s_and_b32 s0, vcc_lo, s15
	s_delay_alu instid0(SALU_CYCLE_1)
	s_and_saveexec_b32 s1, s0
	s_cbranch_execz .LBB4_149
.LBB4_373:
	v_add_nc_u64_e32 v[0:1], s[30:31], v[8:9]
	v_add_nc_u64_e32 v[2:3], v[22:23], v[2:3]
	s_delay_alu instid0(VALU_DEP_2)
	v_add_nc_u64_e32 v[4:5], v[0:1], v[6:7]
	v_mov_b32_e32 v0, 0
	global_store_b128 v0, v[2:5], s[24:25]
	s_sendmsg sendmsg(MSG_DEALLOC_VGPRS)
	s_endpgm
	.section	.rodata,"a",@progbits
	.p2align	6, 0x0
	.amdhsa_kernel _ZN7rocprim17ROCPRIM_400000_NS6detail17trampoline_kernelINS0_13select_configILj256ELj13ELNS0_17block_load_methodE3ELS4_3ELS4_3ELNS0_20block_scan_algorithmE0ELj4294967295EEENS1_25partition_config_selectorILNS1_17partition_subalgoE4EjNS0_10empty_typeEbEEZZNS1_14partition_implILS8_4ELb0ES6_15HIP_vector_typeIjLj2EENS0_17counting_iteratorIjlEEPS9_SG_NS0_5tupleIJPjSI_NS0_16reverse_iteratorISI_EEEEENSH_IJSG_SG_SG_EEES9_SI_JZNS1_25segmented_radix_sort_implINS0_14default_configELb1EPKhPhPKlPlN2at6native12_GLOBAL__N_18offset_tEEE10hipError_tPvRmT1_PNSt15iterator_traitsIS12_E10value_typeET2_T3_PNS13_IS18_E10value_typeET4_jRbjT5_S1E_jjP12ihipStream_tbEUljE_ZNSN_ISO_Lb1ESQ_SR_ST_SU_SY_EESZ_S10_S11_S12_S16_S17_S18_S1B_S1C_jS1D_jS1E_S1E_jjS1G_bEUljE0_EEESZ_S10_S11_S18_S1C_S1E_T6_T7_T9_mT8_S1G_bDpT10_ENKUlT_T0_E_clISt17integral_constantIbLb0EES1U_EEDaS1P_S1Q_EUlS1P_E_NS1_11comp_targetILNS1_3genE0ELNS1_11target_archE4294967295ELNS1_3gpuE0ELNS1_3repE0EEENS1_30default_config_static_selectorELNS0_4arch9wavefront6targetE0EEEvS12_
		.amdhsa_group_segment_fixed_size 13328
		.amdhsa_private_segment_fixed_size 0
		.amdhsa_kernarg_size 176
		.amdhsa_user_sgpr_count 2
		.amdhsa_user_sgpr_dispatch_ptr 0
		.amdhsa_user_sgpr_queue_ptr 0
		.amdhsa_user_sgpr_kernarg_segment_ptr 1
		.amdhsa_user_sgpr_dispatch_id 0
		.amdhsa_user_sgpr_kernarg_preload_length 0
		.amdhsa_user_sgpr_kernarg_preload_offset 0
		.amdhsa_user_sgpr_private_segment_size 0
		.amdhsa_wavefront_size32 1
		.amdhsa_uses_dynamic_stack 0
		.amdhsa_enable_private_segment 0
		.amdhsa_system_sgpr_workgroup_id_x 1
		.amdhsa_system_sgpr_workgroup_id_y 0
		.amdhsa_system_sgpr_workgroup_id_z 0
		.amdhsa_system_sgpr_workgroup_info 0
		.amdhsa_system_vgpr_workitem_id 0
		.amdhsa_next_free_vgpr 81
		.amdhsa_next_free_sgpr 59
		.amdhsa_named_barrier_count 0
		.amdhsa_reserve_vcc 1
		.amdhsa_float_round_mode_32 0
		.amdhsa_float_round_mode_16_64 0
		.amdhsa_float_denorm_mode_32 3
		.amdhsa_float_denorm_mode_16_64 3
		.amdhsa_fp16_overflow 0
		.amdhsa_memory_ordered 1
		.amdhsa_forward_progress 1
		.amdhsa_inst_pref_size 139
		.amdhsa_round_robin_scheduling 0
		.amdhsa_exception_fp_ieee_invalid_op 0
		.amdhsa_exception_fp_denorm_src 0
		.amdhsa_exception_fp_ieee_div_zero 0
		.amdhsa_exception_fp_ieee_overflow 0
		.amdhsa_exception_fp_ieee_underflow 0
		.amdhsa_exception_fp_ieee_inexact 0
		.amdhsa_exception_int_div_zero 0
	.end_amdhsa_kernel
	.section	.text._ZN7rocprim17ROCPRIM_400000_NS6detail17trampoline_kernelINS0_13select_configILj256ELj13ELNS0_17block_load_methodE3ELS4_3ELS4_3ELNS0_20block_scan_algorithmE0ELj4294967295EEENS1_25partition_config_selectorILNS1_17partition_subalgoE4EjNS0_10empty_typeEbEEZZNS1_14partition_implILS8_4ELb0ES6_15HIP_vector_typeIjLj2EENS0_17counting_iteratorIjlEEPS9_SG_NS0_5tupleIJPjSI_NS0_16reverse_iteratorISI_EEEEENSH_IJSG_SG_SG_EEES9_SI_JZNS1_25segmented_radix_sort_implINS0_14default_configELb1EPKhPhPKlPlN2at6native12_GLOBAL__N_18offset_tEEE10hipError_tPvRmT1_PNSt15iterator_traitsIS12_E10value_typeET2_T3_PNS13_IS18_E10value_typeET4_jRbjT5_S1E_jjP12ihipStream_tbEUljE_ZNSN_ISO_Lb1ESQ_SR_ST_SU_SY_EESZ_S10_S11_S12_S16_S17_S18_S1B_S1C_jS1D_jS1E_S1E_jjS1G_bEUljE0_EEESZ_S10_S11_S18_S1C_S1E_T6_T7_T9_mT8_S1G_bDpT10_ENKUlT_T0_E_clISt17integral_constantIbLb0EES1U_EEDaS1P_S1Q_EUlS1P_E_NS1_11comp_targetILNS1_3genE0ELNS1_11target_archE4294967295ELNS1_3gpuE0ELNS1_3repE0EEENS1_30default_config_static_selectorELNS0_4arch9wavefront6targetE0EEEvS12_,"axG",@progbits,_ZN7rocprim17ROCPRIM_400000_NS6detail17trampoline_kernelINS0_13select_configILj256ELj13ELNS0_17block_load_methodE3ELS4_3ELS4_3ELNS0_20block_scan_algorithmE0ELj4294967295EEENS1_25partition_config_selectorILNS1_17partition_subalgoE4EjNS0_10empty_typeEbEEZZNS1_14partition_implILS8_4ELb0ES6_15HIP_vector_typeIjLj2EENS0_17counting_iteratorIjlEEPS9_SG_NS0_5tupleIJPjSI_NS0_16reverse_iteratorISI_EEEEENSH_IJSG_SG_SG_EEES9_SI_JZNS1_25segmented_radix_sort_implINS0_14default_configELb1EPKhPhPKlPlN2at6native12_GLOBAL__N_18offset_tEEE10hipError_tPvRmT1_PNSt15iterator_traitsIS12_E10value_typeET2_T3_PNS13_IS18_E10value_typeET4_jRbjT5_S1E_jjP12ihipStream_tbEUljE_ZNSN_ISO_Lb1ESQ_SR_ST_SU_SY_EESZ_S10_S11_S12_S16_S17_S18_S1B_S1C_jS1D_jS1E_S1E_jjS1G_bEUljE0_EEESZ_S10_S11_S18_S1C_S1E_T6_T7_T9_mT8_S1G_bDpT10_ENKUlT_T0_E_clISt17integral_constantIbLb0EES1U_EEDaS1P_S1Q_EUlS1P_E_NS1_11comp_targetILNS1_3genE0ELNS1_11target_archE4294967295ELNS1_3gpuE0ELNS1_3repE0EEENS1_30default_config_static_selectorELNS0_4arch9wavefront6targetE0EEEvS12_,comdat
.Lfunc_end4:
	.size	_ZN7rocprim17ROCPRIM_400000_NS6detail17trampoline_kernelINS0_13select_configILj256ELj13ELNS0_17block_load_methodE3ELS4_3ELS4_3ELNS0_20block_scan_algorithmE0ELj4294967295EEENS1_25partition_config_selectorILNS1_17partition_subalgoE4EjNS0_10empty_typeEbEEZZNS1_14partition_implILS8_4ELb0ES6_15HIP_vector_typeIjLj2EENS0_17counting_iteratorIjlEEPS9_SG_NS0_5tupleIJPjSI_NS0_16reverse_iteratorISI_EEEEENSH_IJSG_SG_SG_EEES9_SI_JZNS1_25segmented_radix_sort_implINS0_14default_configELb1EPKhPhPKlPlN2at6native12_GLOBAL__N_18offset_tEEE10hipError_tPvRmT1_PNSt15iterator_traitsIS12_E10value_typeET2_T3_PNS13_IS18_E10value_typeET4_jRbjT5_S1E_jjP12ihipStream_tbEUljE_ZNSN_ISO_Lb1ESQ_SR_ST_SU_SY_EESZ_S10_S11_S12_S16_S17_S18_S1B_S1C_jS1D_jS1E_S1E_jjS1G_bEUljE0_EEESZ_S10_S11_S18_S1C_S1E_T6_T7_T9_mT8_S1G_bDpT10_ENKUlT_T0_E_clISt17integral_constantIbLb0EES1U_EEDaS1P_S1Q_EUlS1P_E_NS1_11comp_targetILNS1_3genE0ELNS1_11target_archE4294967295ELNS1_3gpuE0ELNS1_3repE0EEENS1_30default_config_static_selectorELNS0_4arch9wavefront6targetE0EEEvS12_, .Lfunc_end4-_ZN7rocprim17ROCPRIM_400000_NS6detail17trampoline_kernelINS0_13select_configILj256ELj13ELNS0_17block_load_methodE3ELS4_3ELS4_3ELNS0_20block_scan_algorithmE0ELj4294967295EEENS1_25partition_config_selectorILNS1_17partition_subalgoE4EjNS0_10empty_typeEbEEZZNS1_14partition_implILS8_4ELb0ES6_15HIP_vector_typeIjLj2EENS0_17counting_iteratorIjlEEPS9_SG_NS0_5tupleIJPjSI_NS0_16reverse_iteratorISI_EEEEENSH_IJSG_SG_SG_EEES9_SI_JZNS1_25segmented_radix_sort_implINS0_14default_configELb1EPKhPhPKlPlN2at6native12_GLOBAL__N_18offset_tEEE10hipError_tPvRmT1_PNSt15iterator_traitsIS12_E10value_typeET2_T3_PNS13_IS18_E10value_typeET4_jRbjT5_S1E_jjP12ihipStream_tbEUljE_ZNSN_ISO_Lb1ESQ_SR_ST_SU_SY_EESZ_S10_S11_S12_S16_S17_S18_S1B_S1C_jS1D_jS1E_S1E_jjS1G_bEUljE0_EEESZ_S10_S11_S18_S1C_S1E_T6_T7_T9_mT8_S1G_bDpT10_ENKUlT_T0_E_clISt17integral_constantIbLb0EES1U_EEDaS1P_S1Q_EUlS1P_E_NS1_11comp_targetILNS1_3genE0ELNS1_11target_archE4294967295ELNS1_3gpuE0ELNS1_3repE0EEENS1_30default_config_static_selectorELNS0_4arch9wavefront6targetE0EEEvS12_
                                        ; -- End function
	.set _ZN7rocprim17ROCPRIM_400000_NS6detail17trampoline_kernelINS0_13select_configILj256ELj13ELNS0_17block_load_methodE3ELS4_3ELS4_3ELNS0_20block_scan_algorithmE0ELj4294967295EEENS1_25partition_config_selectorILNS1_17partition_subalgoE4EjNS0_10empty_typeEbEEZZNS1_14partition_implILS8_4ELb0ES6_15HIP_vector_typeIjLj2EENS0_17counting_iteratorIjlEEPS9_SG_NS0_5tupleIJPjSI_NS0_16reverse_iteratorISI_EEEEENSH_IJSG_SG_SG_EEES9_SI_JZNS1_25segmented_radix_sort_implINS0_14default_configELb1EPKhPhPKlPlN2at6native12_GLOBAL__N_18offset_tEEE10hipError_tPvRmT1_PNSt15iterator_traitsIS12_E10value_typeET2_T3_PNS13_IS18_E10value_typeET4_jRbjT5_S1E_jjP12ihipStream_tbEUljE_ZNSN_ISO_Lb1ESQ_SR_ST_SU_SY_EESZ_S10_S11_S12_S16_S17_S18_S1B_S1C_jS1D_jS1E_S1E_jjS1G_bEUljE0_EEESZ_S10_S11_S18_S1C_S1E_T6_T7_T9_mT8_S1G_bDpT10_ENKUlT_T0_E_clISt17integral_constantIbLb0EES1U_EEDaS1P_S1Q_EUlS1P_E_NS1_11comp_targetILNS1_3genE0ELNS1_11target_archE4294967295ELNS1_3gpuE0ELNS1_3repE0EEENS1_30default_config_static_selectorELNS0_4arch9wavefront6targetE0EEEvS12_.num_vgpr, 81
	.set _ZN7rocprim17ROCPRIM_400000_NS6detail17trampoline_kernelINS0_13select_configILj256ELj13ELNS0_17block_load_methodE3ELS4_3ELS4_3ELNS0_20block_scan_algorithmE0ELj4294967295EEENS1_25partition_config_selectorILNS1_17partition_subalgoE4EjNS0_10empty_typeEbEEZZNS1_14partition_implILS8_4ELb0ES6_15HIP_vector_typeIjLj2EENS0_17counting_iteratorIjlEEPS9_SG_NS0_5tupleIJPjSI_NS0_16reverse_iteratorISI_EEEEENSH_IJSG_SG_SG_EEES9_SI_JZNS1_25segmented_radix_sort_implINS0_14default_configELb1EPKhPhPKlPlN2at6native12_GLOBAL__N_18offset_tEEE10hipError_tPvRmT1_PNSt15iterator_traitsIS12_E10value_typeET2_T3_PNS13_IS18_E10value_typeET4_jRbjT5_S1E_jjP12ihipStream_tbEUljE_ZNSN_ISO_Lb1ESQ_SR_ST_SU_SY_EESZ_S10_S11_S12_S16_S17_S18_S1B_S1C_jS1D_jS1E_S1E_jjS1G_bEUljE0_EEESZ_S10_S11_S18_S1C_S1E_T6_T7_T9_mT8_S1G_bDpT10_ENKUlT_T0_E_clISt17integral_constantIbLb0EES1U_EEDaS1P_S1Q_EUlS1P_E_NS1_11comp_targetILNS1_3genE0ELNS1_11target_archE4294967295ELNS1_3gpuE0ELNS1_3repE0EEENS1_30default_config_static_selectorELNS0_4arch9wavefront6targetE0EEEvS12_.num_agpr, 0
	.set _ZN7rocprim17ROCPRIM_400000_NS6detail17trampoline_kernelINS0_13select_configILj256ELj13ELNS0_17block_load_methodE3ELS4_3ELS4_3ELNS0_20block_scan_algorithmE0ELj4294967295EEENS1_25partition_config_selectorILNS1_17partition_subalgoE4EjNS0_10empty_typeEbEEZZNS1_14partition_implILS8_4ELb0ES6_15HIP_vector_typeIjLj2EENS0_17counting_iteratorIjlEEPS9_SG_NS0_5tupleIJPjSI_NS0_16reverse_iteratorISI_EEEEENSH_IJSG_SG_SG_EEES9_SI_JZNS1_25segmented_radix_sort_implINS0_14default_configELb1EPKhPhPKlPlN2at6native12_GLOBAL__N_18offset_tEEE10hipError_tPvRmT1_PNSt15iterator_traitsIS12_E10value_typeET2_T3_PNS13_IS18_E10value_typeET4_jRbjT5_S1E_jjP12ihipStream_tbEUljE_ZNSN_ISO_Lb1ESQ_SR_ST_SU_SY_EESZ_S10_S11_S12_S16_S17_S18_S1B_S1C_jS1D_jS1E_S1E_jjS1G_bEUljE0_EEESZ_S10_S11_S18_S1C_S1E_T6_T7_T9_mT8_S1G_bDpT10_ENKUlT_T0_E_clISt17integral_constantIbLb0EES1U_EEDaS1P_S1Q_EUlS1P_E_NS1_11comp_targetILNS1_3genE0ELNS1_11target_archE4294967295ELNS1_3gpuE0ELNS1_3repE0EEENS1_30default_config_static_selectorELNS0_4arch9wavefront6targetE0EEEvS12_.numbered_sgpr, 59
	.set _ZN7rocprim17ROCPRIM_400000_NS6detail17trampoline_kernelINS0_13select_configILj256ELj13ELNS0_17block_load_methodE3ELS4_3ELS4_3ELNS0_20block_scan_algorithmE0ELj4294967295EEENS1_25partition_config_selectorILNS1_17partition_subalgoE4EjNS0_10empty_typeEbEEZZNS1_14partition_implILS8_4ELb0ES6_15HIP_vector_typeIjLj2EENS0_17counting_iteratorIjlEEPS9_SG_NS0_5tupleIJPjSI_NS0_16reverse_iteratorISI_EEEEENSH_IJSG_SG_SG_EEES9_SI_JZNS1_25segmented_radix_sort_implINS0_14default_configELb1EPKhPhPKlPlN2at6native12_GLOBAL__N_18offset_tEEE10hipError_tPvRmT1_PNSt15iterator_traitsIS12_E10value_typeET2_T3_PNS13_IS18_E10value_typeET4_jRbjT5_S1E_jjP12ihipStream_tbEUljE_ZNSN_ISO_Lb1ESQ_SR_ST_SU_SY_EESZ_S10_S11_S12_S16_S17_S18_S1B_S1C_jS1D_jS1E_S1E_jjS1G_bEUljE0_EEESZ_S10_S11_S18_S1C_S1E_T6_T7_T9_mT8_S1G_bDpT10_ENKUlT_T0_E_clISt17integral_constantIbLb0EES1U_EEDaS1P_S1Q_EUlS1P_E_NS1_11comp_targetILNS1_3genE0ELNS1_11target_archE4294967295ELNS1_3gpuE0ELNS1_3repE0EEENS1_30default_config_static_selectorELNS0_4arch9wavefront6targetE0EEEvS12_.num_named_barrier, 0
	.set _ZN7rocprim17ROCPRIM_400000_NS6detail17trampoline_kernelINS0_13select_configILj256ELj13ELNS0_17block_load_methodE3ELS4_3ELS4_3ELNS0_20block_scan_algorithmE0ELj4294967295EEENS1_25partition_config_selectorILNS1_17partition_subalgoE4EjNS0_10empty_typeEbEEZZNS1_14partition_implILS8_4ELb0ES6_15HIP_vector_typeIjLj2EENS0_17counting_iteratorIjlEEPS9_SG_NS0_5tupleIJPjSI_NS0_16reverse_iteratorISI_EEEEENSH_IJSG_SG_SG_EEES9_SI_JZNS1_25segmented_radix_sort_implINS0_14default_configELb1EPKhPhPKlPlN2at6native12_GLOBAL__N_18offset_tEEE10hipError_tPvRmT1_PNSt15iterator_traitsIS12_E10value_typeET2_T3_PNS13_IS18_E10value_typeET4_jRbjT5_S1E_jjP12ihipStream_tbEUljE_ZNSN_ISO_Lb1ESQ_SR_ST_SU_SY_EESZ_S10_S11_S12_S16_S17_S18_S1B_S1C_jS1D_jS1E_S1E_jjS1G_bEUljE0_EEESZ_S10_S11_S18_S1C_S1E_T6_T7_T9_mT8_S1G_bDpT10_ENKUlT_T0_E_clISt17integral_constantIbLb0EES1U_EEDaS1P_S1Q_EUlS1P_E_NS1_11comp_targetILNS1_3genE0ELNS1_11target_archE4294967295ELNS1_3gpuE0ELNS1_3repE0EEENS1_30default_config_static_selectorELNS0_4arch9wavefront6targetE0EEEvS12_.private_seg_size, 0
	.set _ZN7rocprim17ROCPRIM_400000_NS6detail17trampoline_kernelINS0_13select_configILj256ELj13ELNS0_17block_load_methodE3ELS4_3ELS4_3ELNS0_20block_scan_algorithmE0ELj4294967295EEENS1_25partition_config_selectorILNS1_17partition_subalgoE4EjNS0_10empty_typeEbEEZZNS1_14partition_implILS8_4ELb0ES6_15HIP_vector_typeIjLj2EENS0_17counting_iteratorIjlEEPS9_SG_NS0_5tupleIJPjSI_NS0_16reverse_iteratorISI_EEEEENSH_IJSG_SG_SG_EEES9_SI_JZNS1_25segmented_radix_sort_implINS0_14default_configELb1EPKhPhPKlPlN2at6native12_GLOBAL__N_18offset_tEEE10hipError_tPvRmT1_PNSt15iterator_traitsIS12_E10value_typeET2_T3_PNS13_IS18_E10value_typeET4_jRbjT5_S1E_jjP12ihipStream_tbEUljE_ZNSN_ISO_Lb1ESQ_SR_ST_SU_SY_EESZ_S10_S11_S12_S16_S17_S18_S1B_S1C_jS1D_jS1E_S1E_jjS1G_bEUljE0_EEESZ_S10_S11_S18_S1C_S1E_T6_T7_T9_mT8_S1G_bDpT10_ENKUlT_T0_E_clISt17integral_constantIbLb0EES1U_EEDaS1P_S1Q_EUlS1P_E_NS1_11comp_targetILNS1_3genE0ELNS1_11target_archE4294967295ELNS1_3gpuE0ELNS1_3repE0EEENS1_30default_config_static_selectorELNS0_4arch9wavefront6targetE0EEEvS12_.uses_vcc, 1
	.set _ZN7rocprim17ROCPRIM_400000_NS6detail17trampoline_kernelINS0_13select_configILj256ELj13ELNS0_17block_load_methodE3ELS4_3ELS4_3ELNS0_20block_scan_algorithmE0ELj4294967295EEENS1_25partition_config_selectorILNS1_17partition_subalgoE4EjNS0_10empty_typeEbEEZZNS1_14partition_implILS8_4ELb0ES6_15HIP_vector_typeIjLj2EENS0_17counting_iteratorIjlEEPS9_SG_NS0_5tupleIJPjSI_NS0_16reverse_iteratorISI_EEEEENSH_IJSG_SG_SG_EEES9_SI_JZNS1_25segmented_radix_sort_implINS0_14default_configELb1EPKhPhPKlPlN2at6native12_GLOBAL__N_18offset_tEEE10hipError_tPvRmT1_PNSt15iterator_traitsIS12_E10value_typeET2_T3_PNS13_IS18_E10value_typeET4_jRbjT5_S1E_jjP12ihipStream_tbEUljE_ZNSN_ISO_Lb1ESQ_SR_ST_SU_SY_EESZ_S10_S11_S12_S16_S17_S18_S1B_S1C_jS1D_jS1E_S1E_jjS1G_bEUljE0_EEESZ_S10_S11_S18_S1C_S1E_T6_T7_T9_mT8_S1G_bDpT10_ENKUlT_T0_E_clISt17integral_constantIbLb0EES1U_EEDaS1P_S1Q_EUlS1P_E_NS1_11comp_targetILNS1_3genE0ELNS1_11target_archE4294967295ELNS1_3gpuE0ELNS1_3repE0EEENS1_30default_config_static_selectorELNS0_4arch9wavefront6targetE0EEEvS12_.uses_flat_scratch, 0
	.set _ZN7rocprim17ROCPRIM_400000_NS6detail17trampoline_kernelINS0_13select_configILj256ELj13ELNS0_17block_load_methodE3ELS4_3ELS4_3ELNS0_20block_scan_algorithmE0ELj4294967295EEENS1_25partition_config_selectorILNS1_17partition_subalgoE4EjNS0_10empty_typeEbEEZZNS1_14partition_implILS8_4ELb0ES6_15HIP_vector_typeIjLj2EENS0_17counting_iteratorIjlEEPS9_SG_NS0_5tupleIJPjSI_NS0_16reverse_iteratorISI_EEEEENSH_IJSG_SG_SG_EEES9_SI_JZNS1_25segmented_radix_sort_implINS0_14default_configELb1EPKhPhPKlPlN2at6native12_GLOBAL__N_18offset_tEEE10hipError_tPvRmT1_PNSt15iterator_traitsIS12_E10value_typeET2_T3_PNS13_IS18_E10value_typeET4_jRbjT5_S1E_jjP12ihipStream_tbEUljE_ZNSN_ISO_Lb1ESQ_SR_ST_SU_SY_EESZ_S10_S11_S12_S16_S17_S18_S1B_S1C_jS1D_jS1E_S1E_jjS1G_bEUljE0_EEESZ_S10_S11_S18_S1C_S1E_T6_T7_T9_mT8_S1G_bDpT10_ENKUlT_T0_E_clISt17integral_constantIbLb0EES1U_EEDaS1P_S1Q_EUlS1P_E_NS1_11comp_targetILNS1_3genE0ELNS1_11target_archE4294967295ELNS1_3gpuE0ELNS1_3repE0EEENS1_30default_config_static_selectorELNS0_4arch9wavefront6targetE0EEEvS12_.has_dyn_sized_stack, 0
	.set _ZN7rocprim17ROCPRIM_400000_NS6detail17trampoline_kernelINS0_13select_configILj256ELj13ELNS0_17block_load_methodE3ELS4_3ELS4_3ELNS0_20block_scan_algorithmE0ELj4294967295EEENS1_25partition_config_selectorILNS1_17partition_subalgoE4EjNS0_10empty_typeEbEEZZNS1_14partition_implILS8_4ELb0ES6_15HIP_vector_typeIjLj2EENS0_17counting_iteratorIjlEEPS9_SG_NS0_5tupleIJPjSI_NS0_16reverse_iteratorISI_EEEEENSH_IJSG_SG_SG_EEES9_SI_JZNS1_25segmented_radix_sort_implINS0_14default_configELb1EPKhPhPKlPlN2at6native12_GLOBAL__N_18offset_tEEE10hipError_tPvRmT1_PNSt15iterator_traitsIS12_E10value_typeET2_T3_PNS13_IS18_E10value_typeET4_jRbjT5_S1E_jjP12ihipStream_tbEUljE_ZNSN_ISO_Lb1ESQ_SR_ST_SU_SY_EESZ_S10_S11_S12_S16_S17_S18_S1B_S1C_jS1D_jS1E_S1E_jjS1G_bEUljE0_EEESZ_S10_S11_S18_S1C_S1E_T6_T7_T9_mT8_S1G_bDpT10_ENKUlT_T0_E_clISt17integral_constantIbLb0EES1U_EEDaS1P_S1Q_EUlS1P_E_NS1_11comp_targetILNS1_3genE0ELNS1_11target_archE4294967295ELNS1_3gpuE0ELNS1_3repE0EEENS1_30default_config_static_selectorELNS0_4arch9wavefront6targetE0EEEvS12_.has_recursion, 0
	.set _ZN7rocprim17ROCPRIM_400000_NS6detail17trampoline_kernelINS0_13select_configILj256ELj13ELNS0_17block_load_methodE3ELS4_3ELS4_3ELNS0_20block_scan_algorithmE0ELj4294967295EEENS1_25partition_config_selectorILNS1_17partition_subalgoE4EjNS0_10empty_typeEbEEZZNS1_14partition_implILS8_4ELb0ES6_15HIP_vector_typeIjLj2EENS0_17counting_iteratorIjlEEPS9_SG_NS0_5tupleIJPjSI_NS0_16reverse_iteratorISI_EEEEENSH_IJSG_SG_SG_EEES9_SI_JZNS1_25segmented_radix_sort_implINS0_14default_configELb1EPKhPhPKlPlN2at6native12_GLOBAL__N_18offset_tEEE10hipError_tPvRmT1_PNSt15iterator_traitsIS12_E10value_typeET2_T3_PNS13_IS18_E10value_typeET4_jRbjT5_S1E_jjP12ihipStream_tbEUljE_ZNSN_ISO_Lb1ESQ_SR_ST_SU_SY_EESZ_S10_S11_S12_S16_S17_S18_S1B_S1C_jS1D_jS1E_S1E_jjS1G_bEUljE0_EEESZ_S10_S11_S18_S1C_S1E_T6_T7_T9_mT8_S1G_bDpT10_ENKUlT_T0_E_clISt17integral_constantIbLb0EES1U_EEDaS1P_S1Q_EUlS1P_E_NS1_11comp_targetILNS1_3genE0ELNS1_11target_archE4294967295ELNS1_3gpuE0ELNS1_3repE0EEENS1_30default_config_static_selectorELNS0_4arch9wavefront6targetE0EEEvS12_.has_indirect_call, 0
	.section	.AMDGPU.csdata,"",@progbits
; Kernel info:
; codeLenInByte = 17784
; TotalNumSgprs: 61
; NumVgprs: 81
; ScratchSize: 0
; MemoryBound: 0
; FloatMode: 240
; IeeeMode: 1
; LDSByteSize: 13328 bytes/workgroup (compile time only)
; SGPRBlocks: 0
; VGPRBlocks: 5
; NumSGPRsForWavesPerEU: 61
; NumVGPRsForWavesPerEU: 81
; NamedBarCnt: 0
; Occupancy: 10
; WaveLimiterHint : 1
; COMPUTE_PGM_RSRC2:SCRATCH_EN: 0
; COMPUTE_PGM_RSRC2:USER_SGPR: 2
; COMPUTE_PGM_RSRC2:TRAP_HANDLER: 0
; COMPUTE_PGM_RSRC2:TGID_X_EN: 1
; COMPUTE_PGM_RSRC2:TGID_Y_EN: 0
; COMPUTE_PGM_RSRC2:TGID_Z_EN: 0
; COMPUTE_PGM_RSRC2:TIDIG_COMP_CNT: 0
	.section	.text._ZN7rocprim17ROCPRIM_400000_NS6detail17trampoline_kernelINS0_13select_configILj256ELj13ELNS0_17block_load_methodE3ELS4_3ELS4_3ELNS0_20block_scan_algorithmE0ELj4294967295EEENS1_25partition_config_selectorILNS1_17partition_subalgoE4EjNS0_10empty_typeEbEEZZNS1_14partition_implILS8_4ELb0ES6_15HIP_vector_typeIjLj2EENS0_17counting_iteratorIjlEEPS9_SG_NS0_5tupleIJPjSI_NS0_16reverse_iteratorISI_EEEEENSH_IJSG_SG_SG_EEES9_SI_JZNS1_25segmented_radix_sort_implINS0_14default_configELb1EPKhPhPKlPlN2at6native12_GLOBAL__N_18offset_tEEE10hipError_tPvRmT1_PNSt15iterator_traitsIS12_E10value_typeET2_T3_PNS13_IS18_E10value_typeET4_jRbjT5_S1E_jjP12ihipStream_tbEUljE_ZNSN_ISO_Lb1ESQ_SR_ST_SU_SY_EESZ_S10_S11_S12_S16_S17_S18_S1B_S1C_jS1D_jS1E_S1E_jjS1G_bEUljE0_EEESZ_S10_S11_S18_S1C_S1E_T6_T7_T9_mT8_S1G_bDpT10_ENKUlT_T0_E_clISt17integral_constantIbLb0EES1U_EEDaS1P_S1Q_EUlS1P_E_NS1_11comp_targetILNS1_3genE5ELNS1_11target_archE942ELNS1_3gpuE9ELNS1_3repE0EEENS1_30default_config_static_selectorELNS0_4arch9wavefront6targetE0EEEvS12_,"axG",@progbits,_ZN7rocprim17ROCPRIM_400000_NS6detail17trampoline_kernelINS0_13select_configILj256ELj13ELNS0_17block_load_methodE3ELS4_3ELS4_3ELNS0_20block_scan_algorithmE0ELj4294967295EEENS1_25partition_config_selectorILNS1_17partition_subalgoE4EjNS0_10empty_typeEbEEZZNS1_14partition_implILS8_4ELb0ES6_15HIP_vector_typeIjLj2EENS0_17counting_iteratorIjlEEPS9_SG_NS0_5tupleIJPjSI_NS0_16reverse_iteratorISI_EEEEENSH_IJSG_SG_SG_EEES9_SI_JZNS1_25segmented_radix_sort_implINS0_14default_configELb1EPKhPhPKlPlN2at6native12_GLOBAL__N_18offset_tEEE10hipError_tPvRmT1_PNSt15iterator_traitsIS12_E10value_typeET2_T3_PNS13_IS18_E10value_typeET4_jRbjT5_S1E_jjP12ihipStream_tbEUljE_ZNSN_ISO_Lb1ESQ_SR_ST_SU_SY_EESZ_S10_S11_S12_S16_S17_S18_S1B_S1C_jS1D_jS1E_S1E_jjS1G_bEUljE0_EEESZ_S10_S11_S18_S1C_S1E_T6_T7_T9_mT8_S1G_bDpT10_ENKUlT_T0_E_clISt17integral_constantIbLb0EES1U_EEDaS1P_S1Q_EUlS1P_E_NS1_11comp_targetILNS1_3genE5ELNS1_11target_archE942ELNS1_3gpuE9ELNS1_3repE0EEENS1_30default_config_static_selectorELNS0_4arch9wavefront6targetE0EEEvS12_,comdat
	.globl	_ZN7rocprim17ROCPRIM_400000_NS6detail17trampoline_kernelINS0_13select_configILj256ELj13ELNS0_17block_load_methodE3ELS4_3ELS4_3ELNS0_20block_scan_algorithmE0ELj4294967295EEENS1_25partition_config_selectorILNS1_17partition_subalgoE4EjNS0_10empty_typeEbEEZZNS1_14partition_implILS8_4ELb0ES6_15HIP_vector_typeIjLj2EENS0_17counting_iteratorIjlEEPS9_SG_NS0_5tupleIJPjSI_NS0_16reverse_iteratorISI_EEEEENSH_IJSG_SG_SG_EEES9_SI_JZNS1_25segmented_radix_sort_implINS0_14default_configELb1EPKhPhPKlPlN2at6native12_GLOBAL__N_18offset_tEEE10hipError_tPvRmT1_PNSt15iterator_traitsIS12_E10value_typeET2_T3_PNS13_IS18_E10value_typeET4_jRbjT5_S1E_jjP12ihipStream_tbEUljE_ZNSN_ISO_Lb1ESQ_SR_ST_SU_SY_EESZ_S10_S11_S12_S16_S17_S18_S1B_S1C_jS1D_jS1E_S1E_jjS1G_bEUljE0_EEESZ_S10_S11_S18_S1C_S1E_T6_T7_T9_mT8_S1G_bDpT10_ENKUlT_T0_E_clISt17integral_constantIbLb0EES1U_EEDaS1P_S1Q_EUlS1P_E_NS1_11comp_targetILNS1_3genE5ELNS1_11target_archE942ELNS1_3gpuE9ELNS1_3repE0EEENS1_30default_config_static_selectorELNS0_4arch9wavefront6targetE0EEEvS12_ ; -- Begin function _ZN7rocprim17ROCPRIM_400000_NS6detail17trampoline_kernelINS0_13select_configILj256ELj13ELNS0_17block_load_methodE3ELS4_3ELS4_3ELNS0_20block_scan_algorithmE0ELj4294967295EEENS1_25partition_config_selectorILNS1_17partition_subalgoE4EjNS0_10empty_typeEbEEZZNS1_14partition_implILS8_4ELb0ES6_15HIP_vector_typeIjLj2EENS0_17counting_iteratorIjlEEPS9_SG_NS0_5tupleIJPjSI_NS0_16reverse_iteratorISI_EEEEENSH_IJSG_SG_SG_EEES9_SI_JZNS1_25segmented_radix_sort_implINS0_14default_configELb1EPKhPhPKlPlN2at6native12_GLOBAL__N_18offset_tEEE10hipError_tPvRmT1_PNSt15iterator_traitsIS12_E10value_typeET2_T3_PNS13_IS18_E10value_typeET4_jRbjT5_S1E_jjP12ihipStream_tbEUljE_ZNSN_ISO_Lb1ESQ_SR_ST_SU_SY_EESZ_S10_S11_S12_S16_S17_S18_S1B_S1C_jS1D_jS1E_S1E_jjS1G_bEUljE0_EEESZ_S10_S11_S18_S1C_S1E_T6_T7_T9_mT8_S1G_bDpT10_ENKUlT_T0_E_clISt17integral_constantIbLb0EES1U_EEDaS1P_S1Q_EUlS1P_E_NS1_11comp_targetILNS1_3genE5ELNS1_11target_archE942ELNS1_3gpuE9ELNS1_3repE0EEENS1_30default_config_static_selectorELNS0_4arch9wavefront6targetE0EEEvS12_
	.p2align	8
	.type	_ZN7rocprim17ROCPRIM_400000_NS6detail17trampoline_kernelINS0_13select_configILj256ELj13ELNS0_17block_load_methodE3ELS4_3ELS4_3ELNS0_20block_scan_algorithmE0ELj4294967295EEENS1_25partition_config_selectorILNS1_17partition_subalgoE4EjNS0_10empty_typeEbEEZZNS1_14partition_implILS8_4ELb0ES6_15HIP_vector_typeIjLj2EENS0_17counting_iteratorIjlEEPS9_SG_NS0_5tupleIJPjSI_NS0_16reverse_iteratorISI_EEEEENSH_IJSG_SG_SG_EEES9_SI_JZNS1_25segmented_radix_sort_implINS0_14default_configELb1EPKhPhPKlPlN2at6native12_GLOBAL__N_18offset_tEEE10hipError_tPvRmT1_PNSt15iterator_traitsIS12_E10value_typeET2_T3_PNS13_IS18_E10value_typeET4_jRbjT5_S1E_jjP12ihipStream_tbEUljE_ZNSN_ISO_Lb1ESQ_SR_ST_SU_SY_EESZ_S10_S11_S12_S16_S17_S18_S1B_S1C_jS1D_jS1E_S1E_jjS1G_bEUljE0_EEESZ_S10_S11_S18_S1C_S1E_T6_T7_T9_mT8_S1G_bDpT10_ENKUlT_T0_E_clISt17integral_constantIbLb0EES1U_EEDaS1P_S1Q_EUlS1P_E_NS1_11comp_targetILNS1_3genE5ELNS1_11target_archE942ELNS1_3gpuE9ELNS1_3repE0EEENS1_30default_config_static_selectorELNS0_4arch9wavefront6targetE0EEEvS12_,@function
_ZN7rocprim17ROCPRIM_400000_NS6detail17trampoline_kernelINS0_13select_configILj256ELj13ELNS0_17block_load_methodE3ELS4_3ELS4_3ELNS0_20block_scan_algorithmE0ELj4294967295EEENS1_25partition_config_selectorILNS1_17partition_subalgoE4EjNS0_10empty_typeEbEEZZNS1_14partition_implILS8_4ELb0ES6_15HIP_vector_typeIjLj2EENS0_17counting_iteratorIjlEEPS9_SG_NS0_5tupleIJPjSI_NS0_16reverse_iteratorISI_EEEEENSH_IJSG_SG_SG_EEES9_SI_JZNS1_25segmented_radix_sort_implINS0_14default_configELb1EPKhPhPKlPlN2at6native12_GLOBAL__N_18offset_tEEE10hipError_tPvRmT1_PNSt15iterator_traitsIS12_E10value_typeET2_T3_PNS13_IS18_E10value_typeET4_jRbjT5_S1E_jjP12ihipStream_tbEUljE_ZNSN_ISO_Lb1ESQ_SR_ST_SU_SY_EESZ_S10_S11_S12_S16_S17_S18_S1B_S1C_jS1D_jS1E_S1E_jjS1G_bEUljE0_EEESZ_S10_S11_S18_S1C_S1E_T6_T7_T9_mT8_S1G_bDpT10_ENKUlT_T0_E_clISt17integral_constantIbLb0EES1U_EEDaS1P_S1Q_EUlS1P_E_NS1_11comp_targetILNS1_3genE5ELNS1_11target_archE942ELNS1_3gpuE9ELNS1_3repE0EEENS1_30default_config_static_selectorELNS0_4arch9wavefront6targetE0EEEvS12_: ; @_ZN7rocprim17ROCPRIM_400000_NS6detail17trampoline_kernelINS0_13select_configILj256ELj13ELNS0_17block_load_methodE3ELS4_3ELS4_3ELNS0_20block_scan_algorithmE0ELj4294967295EEENS1_25partition_config_selectorILNS1_17partition_subalgoE4EjNS0_10empty_typeEbEEZZNS1_14partition_implILS8_4ELb0ES6_15HIP_vector_typeIjLj2EENS0_17counting_iteratorIjlEEPS9_SG_NS0_5tupleIJPjSI_NS0_16reverse_iteratorISI_EEEEENSH_IJSG_SG_SG_EEES9_SI_JZNS1_25segmented_radix_sort_implINS0_14default_configELb1EPKhPhPKlPlN2at6native12_GLOBAL__N_18offset_tEEE10hipError_tPvRmT1_PNSt15iterator_traitsIS12_E10value_typeET2_T3_PNS13_IS18_E10value_typeET4_jRbjT5_S1E_jjP12ihipStream_tbEUljE_ZNSN_ISO_Lb1ESQ_SR_ST_SU_SY_EESZ_S10_S11_S12_S16_S17_S18_S1B_S1C_jS1D_jS1E_S1E_jjS1G_bEUljE0_EEESZ_S10_S11_S18_S1C_S1E_T6_T7_T9_mT8_S1G_bDpT10_ENKUlT_T0_E_clISt17integral_constantIbLb0EES1U_EEDaS1P_S1Q_EUlS1P_E_NS1_11comp_targetILNS1_3genE5ELNS1_11target_archE942ELNS1_3gpuE9ELNS1_3repE0EEENS1_30default_config_static_selectorELNS0_4arch9wavefront6targetE0EEEvS12_
; %bb.0:
	.section	.rodata,"a",@progbits
	.p2align	6, 0x0
	.amdhsa_kernel _ZN7rocprim17ROCPRIM_400000_NS6detail17trampoline_kernelINS0_13select_configILj256ELj13ELNS0_17block_load_methodE3ELS4_3ELS4_3ELNS0_20block_scan_algorithmE0ELj4294967295EEENS1_25partition_config_selectorILNS1_17partition_subalgoE4EjNS0_10empty_typeEbEEZZNS1_14partition_implILS8_4ELb0ES6_15HIP_vector_typeIjLj2EENS0_17counting_iteratorIjlEEPS9_SG_NS0_5tupleIJPjSI_NS0_16reverse_iteratorISI_EEEEENSH_IJSG_SG_SG_EEES9_SI_JZNS1_25segmented_radix_sort_implINS0_14default_configELb1EPKhPhPKlPlN2at6native12_GLOBAL__N_18offset_tEEE10hipError_tPvRmT1_PNSt15iterator_traitsIS12_E10value_typeET2_T3_PNS13_IS18_E10value_typeET4_jRbjT5_S1E_jjP12ihipStream_tbEUljE_ZNSN_ISO_Lb1ESQ_SR_ST_SU_SY_EESZ_S10_S11_S12_S16_S17_S18_S1B_S1C_jS1D_jS1E_S1E_jjS1G_bEUljE0_EEESZ_S10_S11_S18_S1C_S1E_T6_T7_T9_mT8_S1G_bDpT10_ENKUlT_T0_E_clISt17integral_constantIbLb0EES1U_EEDaS1P_S1Q_EUlS1P_E_NS1_11comp_targetILNS1_3genE5ELNS1_11target_archE942ELNS1_3gpuE9ELNS1_3repE0EEENS1_30default_config_static_selectorELNS0_4arch9wavefront6targetE0EEEvS12_
		.amdhsa_group_segment_fixed_size 0
		.amdhsa_private_segment_fixed_size 0
		.amdhsa_kernarg_size 176
		.amdhsa_user_sgpr_count 2
		.amdhsa_user_sgpr_dispatch_ptr 0
		.amdhsa_user_sgpr_queue_ptr 0
		.amdhsa_user_sgpr_kernarg_segment_ptr 1
		.amdhsa_user_sgpr_dispatch_id 0
		.amdhsa_user_sgpr_kernarg_preload_length 0
		.amdhsa_user_sgpr_kernarg_preload_offset 0
		.amdhsa_user_sgpr_private_segment_size 0
		.amdhsa_wavefront_size32 1
		.amdhsa_uses_dynamic_stack 0
		.amdhsa_enable_private_segment 0
		.amdhsa_system_sgpr_workgroup_id_x 1
		.amdhsa_system_sgpr_workgroup_id_y 0
		.amdhsa_system_sgpr_workgroup_id_z 0
		.amdhsa_system_sgpr_workgroup_info 0
		.amdhsa_system_vgpr_workitem_id 0
		.amdhsa_next_free_vgpr 1
		.amdhsa_next_free_sgpr 1
		.amdhsa_named_barrier_count 0
		.amdhsa_reserve_vcc 0
		.amdhsa_float_round_mode_32 0
		.amdhsa_float_round_mode_16_64 0
		.amdhsa_float_denorm_mode_32 3
		.amdhsa_float_denorm_mode_16_64 3
		.amdhsa_fp16_overflow 0
		.amdhsa_memory_ordered 1
		.amdhsa_forward_progress 1
		.amdhsa_inst_pref_size 0
		.amdhsa_round_robin_scheduling 0
		.amdhsa_exception_fp_ieee_invalid_op 0
		.amdhsa_exception_fp_denorm_src 0
		.amdhsa_exception_fp_ieee_div_zero 0
		.amdhsa_exception_fp_ieee_overflow 0
		.amdhsa_exception_fp_ieee_underflow 0
		.amdhsa_exception_fp_ieee_inexact 0
		.amdhsa_exception_int_div_zero 0
	.end_amdhsa_kernel
	.section	.text._ZN7rocprim17ROCPRIM_400000_NS6detail17trampoline_kernelINS0_13select_configILj256ELj13ELNS0_17block_load_methodE3ELS4_3ELS4_3ELNS0_20block_scan_algorithmE0ELj4294967295EEENS1_25partition_config_selectorILNS1_17partition_subalgoE4EjNS0_10empty_typeEbEEZZNS1_14partition_implILS8_4ELb0ES6_15HIP_vector_typeIjLj2EENS0_17counting_iteratorIjlEEPS9_SG_NS0_5tupleIJPjSI_NS0_16reverse_iteratorISI_EEEEENSH_IJSG_SG_SG_EEES9_SI_JZNS1_25segmented_radix_sort_implINS0_14default_configELb1EPKhPhPKlPlN2at6native12_GLOBAL__N_18offset_tEEE10hipError_tPvRmT1_PNSt15iterator_traitsIS12_E10value_typeET2_T3_PNS13_IS18_E10value_typeET4_jRbjT5_S1E_jjP12ihipStream_tbEUljE_ZNSN_ISO_Lb1ESQ_SR_ST_SU_SY_EESZ_S10_S11_S12_S16_S17_S18_S1B_S1C_jS1D_jS1E_S1E_jjS1G_bEUljE0_EEESZ_S10_S11_S18_S1C_S1E_T6_T7_T9_mT8_S1G_bDpT10_ENKUlT_T0_E_clISt17integral_constantIbLb0EES1U_EEDaS1P_S1Q_EUlS1P_E_NS1_11comp_targetILNS1_3genE5ELNS1_11target_archE942ELNS1_3gpuE9ELNS1_3repE0EEENS1_30default_config_static_selectorELNS0_4arch9wavefront6targetE0EEEvS12_,"axG",@progbits,_ZN7rocprim17ROCPRIM_400000_NS6detail17trampoline_kernelINS0_13select_configILj256ELj13ELNS0_17block_load_methodE3ELS4_3ELS4_3ELNS0_20block_scan_algorithmE0ELj4294967295EEENS1_25partition_config_selectorILNS1_17partition_subalgoE4EjNS0_10empty_typeEbEEZZNS1_14partition_implILS8_4ELb0ES6_15HIP_vector_typeIjLj2EENS0_17counting_iteratorIjlEEPS9_SG_NS0_5tupleIJPjSI_NS0_16reverse_iteratorISI_EEEEENSH_IJSG_SG_SG_EEES9_SI_JZNS1_25segmented_radix_sort_implINS0_14default_configELb1EPKhPhPKlPlN2at6native12_GLOBAL__N_18offset_tEEE10hipError_tPvRmT1_PNSt15iterator_traitsIS12_E10value_typeET2_T3_PNS13_IS18_E10value_typeET4_jRbjT5_S1E_jjP12ihipStream_tbEUljE_ZNSN_ISO_Lb1ESQ_SR_ST_SU_SY_EESZ_S10_S11_S12_S16_S17_S18_S1B_S1C_jS1D_jS1E_S1E_jjS1G_bEUljE0_EEESZ_S10_S11_S18_S1C_S1E_T6_T7_T9_mT8_S1G_bDpT10_ENKUlT_T0_E_clISt17integral_constantIbLb0EES1U_EEDaS1P_S1Q_EUlS1P_E_NS1_11comp_targetILNS1_3genE5ELNS1_11target_archE942ELNS1_3gpuE9ELNS1_3repE0EEENS1_30default_config_static_selectorELNS0_4arch9wavefront6targetE0EEEvS12_,comdat
.Lfunc_end5:
	.size	_ZN7rocprim17ROCPRIM_400000_NS6detail17trampoline_kernelINS0_13select_configILj256ELj13ELNS0_17block_load_methodE3ELS4_3ELS4_3ELNS0_20block_scan_algorithmE0ELj4294967295EEENS1_25partition_config_selectorILNS1_17partition_subalgoE4EjNS0_10empty_typeEbEEZZNS1_14partition_implILS8_4ELb0ES6_15HIP_vector_typeIjLj2EENS0_17counting_iteratorIjlEEPS9_SG_NS0_5tupleIJPjSI_NS0_16reverse_iteratorISI_EEEEENSH_IJSG_SG_SG_EEES9_SI_JZNS1_25segmented_radix_sort_implINS0_14default_configELb1EPKhPhPKlPlN2at6native12_GLOBAL__N_18offset_tEEE10hipError_tPvRmT1_PNSt15iterator_traitsIS12_E10value_typeET2_T3_PNS13_IS18_E10value_typeET4_jRbjT5_S1E_jjP12ihipStream_tbEUljE_ZNSN_ISO_Lb1ESQ_SR_ST_SU_SY_EESZ_S10_S11_S12_S16_S17_S18_S1B_S1C_jS1D_jS1E_S1E_jjS1G_bEUljE0_EEESZ_S10_S11_S18_S1C_S1E_T6_T7_T9_mT8_S1G_bDpT10_ENKUlT_T0_E_clISt17integral_constantIbLb0EES1U_EEDaS1P_S1Q_EUlS1P_E_NS1_11comp_targetILNS1_3genE5ELNS1_11target_archE942ELNS1_3gpuE9ELNS1_3repE0EEENS1_30default_config_static_selectorELNS0_4arch9wavefront6targetE0EEEvS12_, .Lfunc_end5-_ZN7rocprim17ROCPRIM_400000_NS6detail17trampoline_kernelINS0_13select_configILj256ELj13ELNS0_17block_load_methodE3ELS4_3ELS4_3ELNS0_20block_scan_algorithmE0ELj4294967295EEENS1_25partition_config_selectorILNS1_17partition_subalgoE4EjNS0_10empty_typeEbEEZZNS1_14partition_implILS8_4ELb0ES6_15HIP_vector_typeIjLj2EENS0_17counting_iteratorIjlEEPS9_SG_NS0_5tupleIJPjSI_NS0_16reverse_iteratorISI_EEEEENSH_IJSG_SG_SG_EEES9_SI_JZNS1_25segmented_radix_sort_implINS0_14default_configELb1EPKhPhPKlPlN2at6native12_GLOBAL__N_18offset_tEEE10hipError_tPvRmT1_PNSt15iterator_traitsIS12_E10value_typeET2_T3_PNS13_IS18_E10value_typeET4_jRbjT5_S1E_jjP12ihipStream_tbEUljE_ZNSN_ISO_Lb1ESQ_SR_ST_SU_SY_EESZ_S10_S11_S12_S16_S17_S18_S1B_S1C_jS1D_jS1E_S1E_jjS1G_bEUljE0_EEESZ_S10_S11_S18_S1C_S1E_T6_T7_T9_mT8_S1G_bDpT10_ENKUlT_T0_E_clISt17integral_constantIbLb0EES1U_EEDaS1P_S1Q_EUlS1P_E_NS1_11comp_targetILNS1_3genE5ELNS1_11target_archE942ELNS1_3gpuE9ELNS1_3repE0EEENS1_30default_config_static_selectorELNS0_4arch9wavefront6targetE0EEEvS12_
                                        ; -- End function
	.set _ZN7rocprim17ROCPRIM_400000_NS6detail17trampoline_kernelINS0_13select_configILj256ELj13ELNS0_17block_load_methodE3ELS4_3ELS4_3ELNS0_20block_scan_algorithmE0ELj4294967295EEENS1_25partition_config_selectorILNS1_17partition_subalgoE4EjNS0_10empty_typeEbEEZZNS1_14partition_implILS8_4ELb0ES6_15HIP_vector_typeIjLj2EENS0_17counting_iteratorIjlEEPS9_SG_NS0_5tupleIJPjSI_NS0_16reverse_iteratorISI_EEEEENSH_IJSG_SG_SG_EEES9_SI_JZNS1_25segmented_radix_sort_implINS0_14default_configELb1EPKhPhPKlPlN2at6native12_GLOBAL__N_18offset_tEEE10hipError_tPvRmT1_PNSt15iterator_traitsIS12_E10value_typeET2_T3_PNS13_IS18_E10value_typeET4_jRbjT5_S1E_jjP12ihipStream_tbEUljE_ZNSN_ISO_Lb1ESQ_SR_ST_SU_SY_EESZ_S10_S11_S12_S16_S17_S18_S1B_S1C_jS1D_jS1E_S1E_jjS1G_bEUljE0_EEESZ_S10_S11_S18_S1C_S1E_T6_T7_T9_mT8_S1G_bDpT10_ENKUlT_T0_E_clISt17integral_constantIbLb0EES1U_EEDaS1P_S1Q_EUlS1P_E_NS1_11comp_targetILNS1_3genE5ELNS1_11target_archE942ELNS1_3gpuE9ELNS1_3repE0EEENS1_30default_config_static_selectorELNS0_4arch9wavefront6targetE0EEEvS12_.num_vgpr, 0
	.set _ZN7rocprim17ROCPRIM_400000_NS6detail17trampoline_kernelINS0_13select_configILj256ELj13ELNS0_17block_load_methodE3ELS4_3ELS4_3ELNS0_20block_scan_algorithmE0ELj4294967295EEENS1_25partition_config_selectorILNS1_17partition_subalgoE4EjNS0_10empty_typeEbEEZZNS1_14partition_implILS8_4ELb0ES6_15HIP_vector_typeIjLj2EENS0_17counting_iteratorIjlEEPS9_SG_NS0_5tupleIJPjSI_NS0_16reverse_iteratorISI_EEEEENSH_IJSG_SG_SG_EEES9_SI_JZNS1_25segmented_radix_sort_implINS0_14default_configELb1EPKhPhPKlPlN2at6native12_GLOBAL__N_18offset_tEEE10hipError_tPvRmT1_PNSt15iterator_traitsIS12_E10value_typeET2_T3_PNS13_IS18_E10value_typeET4_jRbjT5_S1E_jjP12ihipStream_tbEUljE_ZNSN_ISO_Lb1ESQ_SR_ST_SU_SY_EESZ_S10_S11_S12_S16_S17_S18_S1B_S1C_jS1D_jS1E_S1E_jjS1G_bEUljE0_EEESZ_S10_S11_S18_S1C_S1E_T6_T7_T9_mT8_S1G_bDpT10_ENKUlT_T0_E_clISt17integral_constantIbLb0EES1U_EEDaS1P_S1Q_EUlS1P_E_NS1_11comp_targetILNS1_3genE5ELNS1_11target_archE942ELNS1_3gpuE9ELNS1_3repE0EEENS1_30default_config_static_selectorELNS0_4arch9wavefront6targetE0EEEvS12_.num_agpr, 0
	.set _ZN7rocprim17ROCPRIM_400000_NS6detail17trampoline_kernelINS0_13select_configILj256ELj13ELNS0_17block_load_methodE3ELS4_3ELS4_3ELNS0_20block_scan_algorithmE0ELj4294967295EEENS1_25partition_config_selectorILNS1_17partition_subalgoE4EjNS0_10empty_typeEbEEZZNS1_14partition_implILS8_4ELb0ES6_15HIP_vector_typeIjLj2EENS0_17counting_iteratorIjlEEPS9_SG_NS0_5tupleIJPjSI_NS0_16reverse_iteratorISI_EEEEENSH_IJSG_SG_SG_EEES9_SI_JZNS1_25segmented_radix_sort_implINS0_14default_configELb1EPKhPhPKlPlN2at6native12_GLOBAL__N_18offset_tEEE10hipError_tPvRmT1_PNSt15iterator_traitsIS12_E10value_typeET2_T3_PNS13_IS18_E10value_typeET4_jRbjT5_S1E_jjP12ihipStream_tbEUljE_ZNSN_ISO_Lb1ESQ_SR_ST_SU_SY_EESZ_S10_S11_S12_S16_S17_S18_S1B_S1C_jS1D_jS1E_S1E_jjS1G_bEUljE0_EEESZ_S10_S11_S18_S1C_S1E_T6_T7_T9_mT8_S1G_bDpT10_ENKUlT_T0_E_clISt17integral_constantIbLb0EES1U_EEDaS1P_S1Q_EUlS1P_E_NS1_11comp_targetILNS1_3genE5ELNS1_11target_archE942ELNS1_3gpuE9ELNS1_3repE0EEENS1_30default_config_static_selectorELNS0_4arch9wavefront6targetE0EEEvS12_.numbered_sgpr, 0
	.set _ZN7rocprim17ROCPRIM_400000_NS6detail17trampoline_kernelINS0_13select_configILj256ELj13ELNS0_17block_load_methodE3ELS4_3ELS4_3ELNS0_20block_scan_algorithmE0ELj4294967295EEENS1_25partition_config_selectorILNS1_17partition_subalgoE4EjNS0_10empty_typeEbEEZZNS1_14partition_implILS8_4ELb0ES6_15HIP_vector_typeIjLj2EENS0_17counting_iteratorIjlEEPS9_SG_NS0_5tupleIJPjSI_NS0_16reverse_iteratorISI_EEEEENSH_IJSG_SG_SG_EEES9_SI_JZNS1_25segmented_radix_sort_implINS0_14default_configELb1EPKhPhPKlPlN2at6native12_GLOBAL__N_18offset_tEEE10hipError_tPvRmT1_PNSt15iterator_traitsIS12_E10value_typeET2_T3_PNS13_IS18_E10value_typeET4_jRbjT5_S1E_jjP12ihipStream_tbEUljE_ZNSN_ISO_Lb1ESQ_SR_ST_SU_SY_EESZ_S10_S11_S12_S16_S17_S18_S1B_S1C_jS1D_jS1E_S1E_jjS1G_bEUljE0_EEESZ_S10_S11_S18_S1C_S1E_T6_T7_T9_mT8_S1G_bDpT10_ENKUlT_T0_E_clISt17integral_constantIbLb0EES1U_EEDaS1P_S1Q_EUlS1P_E_NS1_11comp_targetILNS1_3genE5ELNS1_11target_archE942ELNS1_3gpuE9ELNS1_3repE0EEENS1_30default_config_static_selectorELNS0_4arch9wavefront6targetE0EEEvS12_.num_named_barrier, 0
	.set _ZN7rocprim17ROCPRIM_400000_NS6detail17trampoline_kernelINS0_13select_configILj256ELj13ELNS0_17block_load_methodE3ELS4_3ELS4_3ELNS0_20block_scan_algorithmE0ELj4294967295EEENS1_25partition_config_selectorILNS1_17partition_subalgoE4EjNS0_10empty_typeEbEEZZNS1_14partition_implILS8_4ELb0ES6_15HIP_vector_typeIjLj2EENS0_17counting_iteratorIjlEEPS9_SG_NS0_5tupleIJPjSI_NS0_16reverse_iteratorISI_EEEEENSH_IJSG_SG_SG_EEES9_SI_JZNS1_25segmented_radix_sort_implINS0_14default_configELb1EPKhPhPKlPlN2at6native12_GLOBAL__N_18offset_tEEE10hipError_tPvRmT1_PNSt15iterator_traitsIS12_E10value_typeET2_T3_PNS13_IS18_E10value_typeET4_jRbjT5_S1E_jjP12ihipStream_tbEUljE_ZNSN_ISO_Lb1ESQ_SR_ST_SU_SY_EESZ_S10_S11_S12_S16_S17_S18_S1B_S1C_jS1D_jS1E_S1E_jjS1G_bEUljE0_EEESZ_S10_S11_S18_S1C_S1E_T6_T7_T9_mT8_S1G_bDpT10_ENKUlT_T0_E_clISt17integral_constantIbLb0EES1U_EEDaS1P_S1Q_EUlS1P_E_NS1_11comp_targetILNS1_3genE5ELNS1_11target_archE942ELNS1_3gpuE9ELNS1_3repE0EEENS1_30default_config_static_selectorELNS0_4arch9wavefront6targetE0EEEvS12_.private_seg_size, 0
	.set _ZN7rocprim17ROCPRIM_400000_NS6detail17trampoline_kernelINS0_13select_configILj256ELj13ELNS0_17block_load_methodE3ELS4_3ELS4_3ELNS0_20block_scan_algorithmE0ELj4294967295EEENS1_25partition_config_selectorILNS1_17partition_subalgoE4EjNS0_10empty_typeEbEEZZNS1_14partition_implILS8_4ELb0ES6_15HIP_vector_typeIjLj2EENS0_17counting_iteratorIjlEEPS9_SG_NS0_5tupleIJPjSI_NS0_16reverse_iteratorISI_EEEEENSH_IJSG_SG_SG_EEES9_SI_JZNS1_25segmented_radix_sort_implINS0_14default_configELb1EPKhPhPKlPlN2at6native12_GLOBAL__N_18offset_tEEE10hipError_tPvRmT1_PNSt15iterator_traitsIS12_E10value_typeET2_T3_PNS13_IS18_E10value_typeET4_jRbjT5_S1E_jjP12ihipStream_tbEUljE_ZNSN_ISO_Lb1ESQ_SR_ST_SU_SY_EESZ_S10_S11_S12_S16_S17_S18_S1B_S1C_jS1D_jS1E_S1E_jjS1G_bEUljE0_EEESZ_S10_S11_S18_S1C_S1E_T6_T7_T9_mT8_S1G_bDpT10_ENKUlT_T0_E_clISt17integral_constantIbLb0EES1U_EEDaS1P_S1Q_EUlS1P_E_NS1_11comp_targetILNS1_3genE5ELNS1_11target_archE942ELNS1_3gpuE9ELNS1_3repE0EEENS1_30default_config_static_selectorELNS0_4arch9wavefront6targetE0EEEvS12_.uses_vcc, 0
	.set _ZN7rocprim17ROCPRIM_400000_NS6detail17trampoline_kernelINS0_13select_configILj256ELj13ELNS0_17block_load_methodE3ELS4_3ELS4_3ELNS0_20block_scan_algorithmE0ELj4294967295EEENS1_25partition_config_selectorILNS1_17partition_subalgoE4EjNS0_10empty_typeEbEEZZNS1_14partition_implILS8_4ELb0ES6_15HIP_vector_typeIjLj2EENS0_17counting_iteratorIjlEEPS9_SG_NS0_5tupleIJPjSI_NS0_16reverse_iteratorISI_EEEEENSH_IJSG_SG_SG_EEES9_SI_JZNS1_25segmented_radix_sort_implINS0_14default_configELb1EPKhPhPKlPlN2at6native12_GLOBAL__N_18offset_tEEE10hipError_tPvRmT1_PNSt15iterator_traitsIS12_E10value_typeET2_T3_PNS13_IS18_E10value_typeET4_jRbjT5_S1E_jjP12ihipStream_tbEUljE_ZNSN_ISO_Lb1ESQ_SR_ST_SU_SY_EESZ_S10_S11_S12_S16_S17_S18_S1B_S1C_jS1D_jS1E_S1E_jjS1G_bEUljE0_EEESZ_S10_S11_S18_S1C_S1E_T6_T7_T9_mT8_S1G_bDpT10_ENKUlT_T0_E_clISt17integral_constantIbLb0EES1U_EEDaS1P_S1Q_EUlS1P_E_NS1_11comp_targetILNS1_3genE5ELNS1_11target_archE942ELNS1_3gpuE9ELNS1_3repE0EEENS1_30default_config_static_selectorELNS0_4arch9wavefront6targetE0EEEvS12_.uses_flat_scratch, 0
	.set _ZN7rocprim17ROCPRIM_400000_NS6detail17trampoline_kernelINS0_13select_configILj256ELj13ELNS0_17block_load_methodE3ELS4_3ELS4_3ELNS0_20block_scan_algorithmE0ELj4294967295EEENS1_25partition_config_selectorILNS1_17partition_subalgoE4EjNS0_10empty_typeEbEEZZNS1_14partition_implILS8_4ELb0ES6_15HIP_vector_typeIjLj2EENS0_17counting_iteratorIjlEEPS9_SG_NS0_5tupleIJPjSI_NS0_16reverse_iteratorISI_EEEEENSH_IJSG_SG_SG_EEES9_SI_JZNS1_25segmented_radix_sort_implINS0_14default_configELb1EPKhPhPKlPlN2at6native12_GLOBAL__N_18offset_tEEE10hipError_tPvRmT1_PNSt15iterator_traitsIS12_E10value_typeET2_T3_PNS13_IS18_E10value_typeET4_jRbjT5_S1E_jjP12ihipStream_tbEUljE_ZNSN_ISO_Lb1ESQ_SR_ST_SU_SY_EESZ_S10_S11_S12_S16_S17_S18_S1B_S1C_jS1D_jS1E_S1E_jjS1G_bEUljE0_EEESZ_S10_S11_S18_S1C_S1E_T6_T7_T9_mT8_S1G_bDpT10_ENKUlT_T0_E_clISt17integral_constantIbLb0EES1U_EEDaS1P_S1Q_EUlS1P_E_NS1_11comp_targetILNS1_3genE5ELNS1_11target_archE942ELNS1_3gpuE9ELNS1_3repE0EEENS1_30default_config_static_selectorELNS0_4arch9wavefront6targetE0EEEvS12_.has_dyn_sized_stack, 0
	.set _ZN7rocprim17ROCPRIM_400000_NS6detail17trampoline_kernelINS0_13select_configILj256ELj13ELNS0_17block_load_methodE3ELS4_3ELS4_3ELNS0_20block_scan_algorithmE0ELj4294967295EEENS1_25partition_config_selectorILNS1_17partition_subalgoE4EjNS0_10empty_typeEbEEZZNS1_14partition_implILS8_4ELb0ES6_15HIP_vector_typeIjLj2EENS0_17counting_iteratorIjlEEPS9_SG_NS0_5tupleIJPjSI_NS0_16reverse_iteratorISI_EEEEENSH_IJSG_SG_SG_EEES9_SI_JZNS1_25segmented_radix_sort_implINS0_14default_configELb1EPKhPhPKlPlN2at6native12_GLOBAL__N_18offset_tEEE10hipError_tPvRmT1_PNSt15iterator_traitsIS12_E10value_typeET2_T3_PNS13_IS18_E10value_typeET4_jRbjT5_S1E_jjP12ihipStream_tbEUljE_ZNSN_ISO_Lb1ESQ_SR_ST_SU_SY_EESZ_S10_S11_S12_S16_S17_S18_S1B_S1C_jS1D_jS1E_S1E_jjS1G_bEUljE0_EEESZ_S10_S11_S18_S1C_S1E_T6_T7_T9_mT8_S1G_bDpT10_ENKUlT_T0_E_clISt17integral_constantIbLb0EES1U_EEDaS1P_S1Q_EUlS1P_E_NS1_11comp_targetILNS1_3genE5ELNS1_11target_archE942ELNS1_3gpuE9ELNS1_3repE0EEENS1_30default_config_static_selectorELNS0_4arch9wavefront6targetE0EEEvS12_.has_recursion, 0
	.set _ZN7rocprim17ROCPRIM_400000_NS6detail17trampoline_kernelINS0_13select_configILj256ELj13ELNS0_17block_load_methodE3ELS4_3ELS4_3ELNS0_20block_scan_algorithmE0ELj4294967295EEENS1_25partition_config_selectorILNS1_17partition_subalgoE4EjNS0_10empty_typeEbEEZZNS1_14partition_implILS8_4ELb0ES6_15HIP_vector_typeIjLj2EENS0_17counting_iteratorIjlEEPS9_SG_NS0_5tupleIJPjSI_NS0_16reverse_iteratorISI_EEEEENSH_IJSG_SG_SG_EEES9_SI_JZNS1_25segmented_radix_sort_implINS0_14default_configELb1EPKhPhPKlPlN2at6native12_GLOBAL__N_18offset_tEEE10hipError_tPvRmT1_PNSt15iterator_traitsIS12_E10value_typeET2_T3_PNS13_IS18_E10value_typeET4_jRbjT5_S1E_jjP12ihipStream_tbEUljE_ZNSN_ISO_Lb1ESQ_SR_ST_SU_SY_EESZ_S10_S11_S12_S16_S17_S18_S1B_S1C_jS1D_jS1E_S1E_jjS1G_bEUljE0_EEESZ_S10_S11_S18_S1C_S1E_T6_T7_T9_mT8_S1G_bDpT10_ENKUlT_T0_E_clISt17integral_constantIbLb0EES1U_EEDaS1P_S1Q_EUlS1P_E_NS1_11comp_targetILNS1_3genE5ELNS1_11target_archE942ELNS1_3gpuE9ELNS1_3repE0EEENS1_30default_config_static_selectorELNS0_4arch9wavefront6targetE0EEEvS12_.has_indirect_call, 0
	.section	.AMDGPU.csdata,"",@progbits
; Kernel info:
; codeLenInByte = 0
; TotalNumSgprs: 0
; NumVgprs: 0
; ScratchSize: 0
; MemoryBound: 0
; FloatMode: 240
; IeeeMode: 1
; LDSByteSize: 0 bytes/workgroup (compile time only)
; SGPRBlocks: 0
; VGPRBlocks: 0
; NumSGPRsForWavesPerEU: 1
; NumVGPRsForWavesPerEU: 1
; NamedBarCnt: 0
; Occupancy: 16
; WaveLimiterHint : 0
; COMPUTE_PGM_RSRC2:SCRATCH_EN: 0
; COMPUTE_PGM_RSRC2:USER_SGPR: 2
; COMPUTE_PGM_RSRC2:TRAP_HANDLER: 0
; COMPUTE_PGM_RSRC2:TGID_X_EN: 1
; COMPUTE_PGM_RSRC2:TGID_Y_EN: 0
; COMPUTE_PGM_RSRC2:TGID_Z_EN: 0
; COMPUTE_PGM_RSRC2:TIDIG_COMP_CNT: 0
	.section	.text._ZN7rocprim17ROCPRIM_400000_NS6detail17trampoline_kernelINS0_13select_configILj256ELj13ELNS0_17block_load_methodE3ELS4_3ELS4_3ELNS0_20block_scan_algorithmE0ELj4294967295EEENS1_25partition_config_selectorILNS1_17partition_subalgoE4EjNS0_10empty_typeEbEEZZNS1_14partition_implILS8_4ELb0ES6_15HIP_vector_typeIjLj2EENS0_17counting_iteratorIjlEEPS9_SG_NS0_5tupleIJPjSI_NS0_16reverse_iteratorISI_EEEEENSH_IJSG_SG_SG_EEES9_SI_JZNS1_25segmented_radix_sort_implINS0_14default_configELb1EPKhPhPKlPlN2at6native12_GLOBAL__N_18offset_tEEE10hipError_tPvRmT1_PNSt15iterator_traitsIS12_E10value_typeET2_T3_PNS13_IS18_E10value_typeET4_jRbjT5_S1E_jjP12ihipStream_tbEUljE_ZNSN_ISO_Lb1ESQ_SR_ST_SU_SY_EESZ_S10_S11_S12_S16_S17_S18_S1B_S1C_jS1D_jS1E_S1E_jjS1G_bEUljE0_EEESZ_S10_S11_S18_S1C_S1E_T6_T7_T9_mT8_S1G_bDpT10_ENKUlT_T0_E_clISt17integral_constantIbLb0EES1U_EEDaS1P_S1Q_EUlS1P_E_NS1_11comp_targetILNS1_3genE4ELNS1_11target_archE910ELNS1_3gpuE8ELNS1_3repE0EEENS1_30default_config_static_selectorELNS0_4arch9wavefront6targetE0EEEvS12_,"axG",@progbits,_ZN7rocprim17ROCPRIM_400000_NS6detail17trampoline_kernelINS0_13select_configILj256ELj13ELNS0_17block_load_methodE3ELS4_3ELS4_3ELNS0_20block_scan_algorithmE0ELj4294967295EEENS1_25partition_config_selectorILNS1_17partition_subalgoE4EjNS0_10empty_typeEbEEZZNS1_14partition_implILS8_4ELb0ES6_15HIP_vector_typeIjLj2EENS0_17counting_iteratorIjlEEPS9_SG_NS0_5tupleIJPjSI_NS0_16reverse_iteratorISI_EEEEENSH_IJSG_SG_SG_EEES9_SI_JZNS1_25segmented_radix_sort_implINS0_14default_configELb1EPKhPhPKlPlN2at6native12_GLOBAL__N_18offset_tEEE10hipError_tPvRmT1_PNSt15iterator_traitsIS12_E10value_typeET2_T3_PNS13_IS18_E10value_typeET4_jRbjT5_S1E_jjP12ihipStream_tbEUljE_ZNSN_ISO_Lb1ESQ_SR_ST_SU_SY_EESZ_S10_S11_S12_S16_S17_S18_S1B_S1C_jS1D_jS1E_S1E_jjS1G_bEUljE0_EEESZ_S10_S11_S18_S1C_S1E_T6_T7_T9_mT8_S1G_bDpT10_ENKUlT_T0_E_clISt17integral_constantIbLb0EES1U_EEDaS1P_S1Q_EUlS1P_E_NS1_11comp_targetILNS1_3genE4ELNS1_11target_archE910ELNS1_3gpuE8ELNS1_3repE0EEENS1_30default_config_static_selectorELNS0_4arch9wavefront6targetE0EEEvS12_,comdat
	.globl	_ZN7rocprim17ROCPRIM_400000_NS6detail17trampoline_kernelINS0_13select_configILj256ELj13ELNS0_17block_load_methodE3ELS4_3ELS4_3ELNS0_20block_scan_algorithmE0ELj4294967295EEENS1_25partition_config_selectorILNS1_17partition_subalgoE4EjNS0_10empty_typeEbEEZZNS1_14partition_implILS8_4ELb0ES6_15HIP_vector_typeIjLj2EENS0_17counting_iteratorIjlEEPS9_SG_NS0_5tupleIJPjSI_NS0_16reverse_iteratorISI_EEEEENSH_IJSG_SG_SG_EEES9_SI_JZNS1_25segmented_radix_sort_implINS0_14default_configELb1EPKhPhPKlPlN2at6native12_GLOBAL__N_18offset_tEEE10hipError_tPvRmT1_PNSt15iterator_traitsIS12_E10value_typeET2_T3_PNS13_IS18_E10value_typeET4_jRbjT5_S1E_jjP12ihipStream_tbEUljE_ZNSN_ISO_Lb1ESQ_SR_ST_SU_SY_EESZ_S10_S11_S12_S16_S17_S18_S1B_S1C_jS1D_jS1E_S1E_jjS1G_bEUljE0_EEESZ_S10_S11_S18_S1C_S1E_T6_T7_T9_mT8_S1G_bDpT10_ENKUlT_T0_E_clISt17integral_constantIbLb0EES1U_EEDaS1P_S1Q_EUlS1P_E_NS1_11comp_targetILNS1_3genE4ELNS1_11target_archE910ELNS1_3gpuE8ELNS1_3repE0EEENS1_30default_config_static_selectorELNS0_4arch9wavefront6targetE0EEEvS12_ ; -- Begin function _ZN7rocprim17ROCPRIM_400000_NS6detail17trampoline_kernelINS0_13select_configILj256ELj13ELNS0_17block_load_methodE3ELS4_3ELS4_3ELNS0_20block_scan_algorithmE0ELj4294967295EEENS1_25partition_config_selectorILNS1_17partition_subalgoE4EjNS0_10empty_typeEbEEZZNS1_14partition_implILS8_4ELb0ES6_15HIP_vector_typeIjLj2EENS0_17counting_iteratorIjlEEPS9_SG_NS0_5tupleIJPjSI_NS0_16reverse_iteratorISI_EEEEENSH_IJSG_SG_SG_EEES9_SI_JZNS1_25segmented_radix_sort_implINS0_14default_configELb1EPKhPhPKlPlN2at6native12_GLOBAL__N_18offset_tEEE10hipError_tPvRmT1_PNSt15iterator_traitsIS12_E10value_typeET2_T3_PNS13_IS18_E10value_typeET4_jRbjT5_S1E_jjP12ihipStream_tbEUljE_ZNSN_ISO_Lb1ESQ_SR_ST_SU_SY_EESZ_S10_S11_S12_S16_S17_S18_S1B_S1C_jS1D_jS1E_S1E_jjS1G_bEUljE0_EEESZ_S10_S11_S18_S1C_S1E_T6_T7_T9_mT8_S1G_bDpT10_ENKUlT_T0_E_clISt17integral_constantIbLb0EES1U_EEDaS1P_S1Q_EUlS1P_E_NS1_11comp_targetILNS1_3genE4ELNS1_11target_archE910ELNS1_3gpuE8ELNS1_3repE0EEENS1_30default_config_static_selectorELNS0_4arch9wavefront6targetE0EEEvS12_
	.p2align	8
	.type	_ZN7rocprim17ROCPRIM_400000_NS6detail17trampoline_kernelINS0_13select_configILj256ELj13ELNS0_17block_load_methodE3ELS4_3ELS4_3ELNS0_20block_scan_algorithmE0ELj4294967295EEENS1_25partition_config_selectorILNS1_17partition_subalgoE4EjNS0_10empty_typeEbEEZZNS1_14partition_implILS8_4ELb0ES6_15HIP_vector_typeIjLj2EENS0_17counting_iteratorIjlEEPS9_SG_NS0_5tupleIJPjSI_NS0_16reverse_iteratorISI_EEEEENSH_IJSG_SG_SG_EEES9_SI_JZNS1_25segmented_radix_sort_implINS0_14default_configELb1EPKhPhPKlPlN2at6native12_GLOBAL__N_18offset_tEEE10hipError_tPvRmT1_PNSt15iterator_traitsIS12_E10value_typeET2_T3_PNS13_IS18_E10value_typeET4_jRbjT5_S1E_jjP12ihipStream_tbEUljE_ZNSN_ISO_Lb1ESQ_SR_ST_SU_SY_EESZ_S10_S11_S12_S16_S17_S18_S1B_S1C_jS1D_jS1E_S1E_jjS1G_bEUljE0_EEESZ_S10_S11_S18_S1C_S1E_T6_T7_T9_mT8_S1G_bDpT10_ENKUlT_T0_E_clISt17integral_constantIbLb0EES1U_EEDaS1P_S1Q_EUlS1P_E_NS1_11comp_targetILNS1_3genE4ELNS1_11target_archE910ELNS1_3gpuE8ELNS1_3repE0EEENS1_30default_config_static_selectorELNS0_4arch9wavefront6targetE0EEEvS12_,@function
_ZN7rocprim17ROCPRIM_400000_NS6detail17trampoline_kernelINS0_13select_configILj256ELj13ELNS0_17block_load_methodE3ELS4_3ELS4_3ELNS0_20block_scan_algorithmE0ELj4294967295EEENS1_25partition_config_selectorILNS1_17partition_subalgoE4EjNS0_10empty_typeEbEEZZNS1_14partition_implILS8_4ELb0ES6_15HIP_vector_typeIjLj2EENS0_17counting_iteratorIjlEEPS9_SG_NS0_5tupleIJPjSI_NS0_16reverse_iteratorISI_EEEEENSH_IJSG_SG_SG_EEES9_SI_JZNS1_25segmented_radix_sort_implINS0_14default_configELb1EPKhPhPKlPlN2at6native12_GLOBAL__N_18offset_tEEE10hipError_tPvRmT1_PNSt15iterator_traitsIS12_E10value_typeET2_T3_PNS13_IS18_E10value_typeET4_jRbjT5_S1E_jjP12ihipStream_tbEUljE_ZNSN_ISO_Lb1ESQ_SR_ST_SU_SY_EESZ_S10_S11_S12_S16_S17_S18_S1B_S1C_jS1D_jS1E_S1E_jjS1G_bEUljE0_EEESZ_S10_S11_S18_S1C_S1E_T6_T7_T9_mT8_S1G_bDpT10_ENKUlT_T0_E_clISt17integral_constantIbLb0EES1U_EEDaS1P_S1Q_EUlS1P_E_NS1_11comp_targetILNS1_3genE4ELNS1_11target_archE910ELNS1_3gpuE8ELNS1_3repE0EEENS1_30default_config_static_selectorELNS0_4arch9wavefront6targetE0EEEvS12_: ; @_ZN7rocprim17ROCPRIM_400000_NS6detail17trampoline_kernelINS0_13select_configILj256ELj13ELNS0_17block_load_methodE3ELS4_3ELS4_3ELNS0_20block_scan_algorithmE0ELj4294967295EEENS1_25partition_config_selectorILNS1_17partition_subalgoE4EjNS0_10empty_typeEbEEZZNS1_14partition_implILS8_4ELb0ES6_15HIP_vector_typeIjLj2EENS0_17counting_iteratorIjlEEPS9_SG_NS0_5tupleIJPjSI_NS0_16reverse_iteratorISI_EEEEENSH_IJSG_SG_SG_EEES9_SI_JZNS1_25segmented_radix_sort_implINS0_14default_configELb1EPKhPhPKlPlN2at6native12_GLOBAL__N_18offset_tEEE10hipError_tPvRmT1_PNSt15iterator_traitsIS12_E10value_typeET2_T3_PNS13_IS18_E10value_typeET4_jRbjT5_S1E_jjP12ihipStream_tbEUljE_ZNSN_ISO_Lb1ESQ_SR_ST_SU_SY_EESZ_S10_S11_S12_S16_S17_S18_S1B_S1C_jS1D_jS1E_S1E_jjS1G_bEUljE0_EEESZ_S10_S11_S18_S1C_S1E_T6_T7_T9_mT8_S1G_bDpT10_ENKUlT_T0_E_clISt17integral_constantIbLb0EES1U_EEDaS1P_S1Q_EUlS1P_E_NS1_11comp_targetILNS1_3genE4ELNS1_11target_archE910ELNS1_3gpuE8ELNS1_3repE0EEENS1_30default_config_static_selectorELNS0_4arch9wavefront6targetE0EEEvS12_
; %bb.0:
	.section	.rodata,"a",@progbits
	.p2align	6, 0x0
	.amdhsa_kernel _ZN7rocprim17ROCPRIM_400000_NS6detail17trampoline_kernelINS0_13select_configILj256ELj13ELNS0_17block_load_methodE3ELS4_3ELS4_3ELNS0_20block_scan_algorithmE0ELj4294967295EEENS1_25partition_config_selectorILNS1_17partition_subalgoE4EjNS0_10empty_typeEbEEZZNS1_14partition_implILS8_4ELb0ES6_15HIP_vector_typeIjLj2EENS0_17counting_iteratorIjlEEPS9_SG_NS0_5tupleIJPjSI_NS0_16reverse_iteratorISI_EEEEENSH_IJSG_SG_SG_EEES9_SI_JZNS1_25segmented_radix_sort_implINS0_14default_configELb1EPKhPhPKlPlN2at6native12_GLOBAL__N_18offset_tEEE10hipError_tPvRmT1_PNSt15iterator_traitsIS12_E10value_typeET2_T3_PNS13_IS18_E10value_typeET4_jRbjT5_S1E_jjP12ihipStream_tbEUljE_ZNSN_ISO_Lb1ESQ_SR_ST_SU_SY_EESZ_S10_S11_S12_S16_S17_S18_S1B_S1C_jS1D_jS1E_S1E_jjS1G_bEUljE0_EEESZ_S10_S11_S18_S1C_S1E_T6_T7_T9_mT8_S1G_bDpT10_ENKUlT_T0_E_clISt17integral_constantIbLb0EES1U_EEDaS1P_S1Q_EUlS1P_E_NS1_11comp_targetILNS1_3genE4ELNS1_11target_archE910ELNS1_3gpuE8ELNS1_3repE0EEENS1_30default_config_static_selectorELNS0_4arch9wavefront6targetE0EEEvS12_
		.amdhsa_group_segment_fixed_size 0
		.amdhsa_private_segment_fixed_size 0
		.amdhsa_kernarg_size 176
		.amdhsa_user_sgpr_count 2
		.amdhsa_user_sgpr_dispatch_ptr 0
		.amdhsa_user_sgpr_queue_ptr 0
		.amdhsa_user_sgpr_kernarg_segment_ptr 1
		.amdhsa_user_sgpr_dispatch_id 0
		.amdhsa_user_sgpr_kernarg_preload_length 0
		.amdhsa_user_sgpr_kernarg_preload_offset 0
		.amdhsa_user_sgpr_private_segment_size 0
		.amdhsa_wavefront_size32 1
		.amdhsa_uses_dynamic_stack 0
		.amdhsa_enable_private_segment 0
		.amdhsa_system_sgpr_workgroup_id_x 1
		.amdhsa_system_sgpr_workgroup_id_y 0
		.amdhsa_system_sgpr_workgroup_id_z 0
		.amdhsa_system_sgpr_workgroup_info 0
		.amdhsa_system_vgpr_workitem_id 0
		.amdhsa_next_free_vgpr 1
		.amdhsa_next_free_sgpr 1
		.amdhsa_named_barrier_count 0
		.amdhsa_reserve_vcc 0
		.amdhsa_float_round_mode_32 0
		.amdhsa_float_round_mode_16_64 0
		.amdhsa_float_denorm_mode_32 3
		.amdhsa_float_denorm_mode_16_64 3
		.amdhsa_fp16_overflow 0
		.amdhsa_memory_ordered 1
		.amdhsa_forward_progress 1
		.amdhsa_inst_pref_size 0
		.amdhsa_round_robin_scheduling 0
		.amdhsa_exception_fp_ieee_invalid_op 0
		.amdhsa_exception_fp_denorm_src 0
		.amdhsa_exception_fp_ieee_div_zero 0
		.amdhsa_exception_fp_ieee_overflow 0
		.amdhsa_exception_fp_ieee_underflow 0
		.amdhsa_exception_fp_ieee_inexact 0
		.amdhsa_exception_int_div_zero 0
	.end_amdhsa_kernel
	.section	.text._ZN7rocprim17ROCPRIM_400000_NS6detail17trampoline_kernelINS0_13select_configILj256ELj13ELNS0_17block_load_methodE3ELS4_3ELS4_3ELNS0_20block_scan_algorithmE0ELj4294967295EEENS1_25partition_config_selectorILNS1_17partition_subalgoE4EjNS0_10empty_typeEbEEZZNS1_14partition_implILS8_4ELb0ES6_15HIP_vector_typeIjLj2EENS0_17counting_iteratorIjlEEPS9_SG_NS0_5tupleIJPjSI_NS0_16reverse_iteratorISI_EEEEENSH_IJSG_SG_SG_EEES9_SI_JZNS1_25segmented_radix_sort_implINS0_14default_configELb1EPKhPhPKlPlN2at6native12_GLOBAL__N_18offset_tEEE10hipError_tPvRmT1_PNSt15iterator_traitsIS12_E10value_typeET2_T3_PNS13_IS18_E10value_typeET4_jRbjT5_S1E_jjP12ihipStream_tbEUljE_ZNSN_ISO_Lb1ESQ_SR_ST_SU_SY_EESZ_S10_S11_S12_S16_S17_S18_S1B_S1C_jS1D_jS1E_S1E_jjS1G_bEUljE0_EEESZ_S10_S11_S18_S1C_S1E_T6_T7_T9_mT8_S1G_bDpT10_ENKUlT_T0_E_clISt17integral_constantIbLb0EES1U_EEDaS1P_S1Q_EUlS1P_E_NS1_11comp_targetILNS1_3genE4ELNS1_11target_archE910ELNS1_3gpuE8ELNS1_3repE0EEENS1_30default_config_static_selectorELNS0_4arch9wavefront6targetE0EEEvS12_,"axG",@progbits,_ZN7rocprim17ROCPRIM_400000_NS6detail17trampoline_kernelINS0_13select_configILj256ELj13ELNS0_17block_load_methodE3ELS4_3ELS4_3ELNS0_20block_scan_algorithmE0ELj4294967295EEENS1_25partition_config_selectorILNS1_17partition_subalgoE4EjNS0_10empty_typeEbEEZZNS1_14partition_implILS8_4ELb0ES6_15HIP_vector_typeIjLj2EENS0_17counting_iteratorIjlEEPS9_SG_NS0_5tupleIJPjSI_NS0_16reverse_iteratorISI_EEEEENSH_IJSG_SG_SG_EEES9_SI_JZNS1_25segmented_radix_sort_implINS0_14default_configELb1EPKhPhPKlPlN2at6native12_GLOBAL__N_18offset_tEEE10hipError_tPvRmT1_PNSt15iterator_traitsIS12_E10value_typeET2_T3_PNS13_IS18_E10value_typeET4_jRbjT5_S1E_jjP12ihipStream_tbEUljE_ZNSN_ISO_Lb1ESQ_SR_ST_SU_SY_EESZ_S10_S11_S12_S16_S17_S18_S1B_S1C_jS1D_jS1E_S1E_jjS1G_bEUljE0_EEESZ_S10_S11_S18_S1C_S1E_T6_T7_T9_mT8_S1G_bDpT10_ENKUlT_T0_E_clISt17integral_constantIbLb0EES1U_EEDaS1P_S1Q_EUlS1P_E_NS1_11comp_targetILNS1_3genE4ELNS1_11target_archE910ELNS1_3gpuE8ELNS1_3repE0EEENS1_30default_config_static_selectorELNS0_4arch9wavefront6targetE0EEEvS12_,comdat
.Lfunc_end6:
	.size	_ZN7rocprim17ROCPRIM_400000_NS6detail17trampoline_kernelINS0_13select_configILj256ELj13ELNS0_17block_load_methodE3ELS4_3ELS4_3ELNS0_20block_scan_algorithmE0ELj4294967295EEENS1_25partition_config_selectorILNS1_17partition_subalgoE4EjNS0_10empty_typeEbEEZZNS1_14partition_implILS8_4ELb0ES6_15HIP_vector_typeIjLj2EENS0_17counting_iteratorIjlEEPS9_SG_NS0_5tupleIJPjSI_NS0_16reverse_iteratorISI_EEEEENSH_IJSG_SG_SG_EEES9_SI_JZNS1_25segmented_radix_sort_implINS0_14default_configELb1EPKhPhPKlPlN2at6native12_GLOBAL__N_18offset_tEEE10hipError_tPvRmT1_PNSt15iterator_traitsIS12_E10value_typeET2_T3_PNS13_IS18_E10value_typeET4_jRbjT5_S1E_jjP12ihipStream_tbEUljE_ZNSN_ISO_Lb1ESQ_SR_ST_SU_SY_EESZ_S10_S11_S12_S16_S17_S18_S1B_S1C_jS1D_jS1E_S1E_jjS1G_bEUljE0_EEESZ_S10_S11_S18_S1C_S1E_T6_T7_T9_mT8_S1G_bDpT10_ENKUlT_T0_E_clISt17integral_constantIbLb0EES1U_EEDaS1P_S1Q_EUlS1P_E_NS1_11comp_targetILNS1_3genE4ELNS1_11target_archE910ELNS1_3gpuE8ELNS1_3repE0EEENS1_30default_config_static_selectorELNS0_4arch9wavefront6targetE0EEEvS12_, .Lfunc_end6-_ZN7rocprim17ROCPRIM_400000_NS6detail17trampoline_kernelINS0_13select_configILj256ELj13ELNS0_17block_load_methodE3ELS4_3ELS4_3ELNS0_20block_scan_algorithmE0ELj4294967295EEENS1_25partition_config_selectorILNS1_17partition_subalgoE4EjNS0_10empty_typeEbEEZZNS1_14partition_implILS8_4ELb0ES6_15HIP_vector_typeIjLj2EENS0_17counting_iteratorIjlEEPS9_SG_NS0_5tupleIJPjSI_NS0_16reverse_iteratorISI_EEEEENSH_IJSG_SG_SG_EEES9_SI_JZNS1_25segmented_radix_sort_implINS0_14default_configELb1EPKhPhPKlPlN2at6native12_GLOBAL__N_18offset_tEEE10hipError_tPvRmT1_PNSt15iterator_traitsIS12_E10value_typeET2_T3_PNS13_IS18_E10value_typeET4_jRbjT5_S1E_jjP12ihipStream_tbEUljE_ZNSN_ISO_Lb1ESQ_SR_ST_SU_SY_EESZ_S10_S11_S12_S16_S17_S18_S1B_S1C_jS1D_jS1E_S1E_jjS1G_bEUljE0_EEESZ_S10_S11_S18_S1C_S1E_T6_T7_T9_mT8_S1G_bDpT10_ENKUlT_T0_E_clISt17integral_constantIbLb0EES1U_EEDaS1P_S1Q_EUlS1P_E_NS1_11comp_targetILNS1_3genE4ELNS1_11target_archE910ELNS1_3gpuE8ELNS1_3repE0EEENS1_30default_config_static_selectorELNS0_4arch9wavefront6targetE0EEEvS12_
                                        ; -- End function
	.set _ZN7rocprim17ROCPRIM_400000_NS6detail17trampoline_kernelINS0_13select_configILj256ELj13ELNS0_17block_load_methodE3ELS4_3ELS4_3ELNS0_20block_scan_algorithmE0ELj4294967295EEENS1_25partition_config_selectorILNS1_17partition_subalgoE4EjNS0_10empty_typeEbEEZZNS1_14partition_implILS8_4ELb0ES6_15HIP_vector_typeIjLj2EENS0_17counting_iteratorIjlEEPS9_SG_NS0_5tupleIJPjSI_NS0_16reverse_iteratorISI_EEEEENSH_IJSG_SG_SG_EEES9_SI_JZNS1_25segmented_radix_sort_implINS0_14default_configELb1EPKhPhPKlPlN2at6native12_GLOBAL__N_18offset_tEEE10hipError_tPvRmT1_PNSt15iterator_traitsIS12_E10value_typeET2_T3_PNS13_IS18_E10value_typeET4_jRbjT5_S1E_jjP12ihipStream_tbEUljE_ZNSN_ISO_Lb1ESQ_SR_ST_SU_SY_EESZ_S10_S11_S12_S16_S17_S18_S1B_S1C_jS1D_jS1E_S1E_jjS1G_bEUljE0_EEESZ_S10_S11_S18_S1C_S1E_T6_T7_T9_mT8_S1G_bDpT10_ENKUlT_T0_E_clISt17integral_constantIbLb0EES1U_EEDaS1P_S1Q_EUlS1P_E_NS1_11comp_targetILNS1_3genE4ELNS1_11target_archE910ELNS1_3gpuE8ELNS1_3repE0EEENS1_30default_config_static_selectorELNS0_4arch9wavefront6targetE0EEEvS12_.num_vgpr, 0
	.set _ZN7rocprim17ROCPRIM_400000_NS6detail17trampoline_kernelINS0_13select_configILj256ELj13ELNS0_17block_load_methodE3ELS4_3ELS4_3ELNS0_20block_scan_algorithmE0ELj4294967295EEENS1_25partition_config_selectorILNS1_17partition_subalgoE4EjNS0_10empty_typeEbEEZZNS1_14partition_implILS8_4ELb0ES6_15HIP_vector_typeIjLj2EENS0_17counting_iteratorIjlEEPS9_SG_NS0_5tupleIJPjSI_NS0_16reverse_iteratorISI_EEEEENSH_IJSG_SG_SG_EEES9_SI_JZNS1_25segmented_radix_sort_implINS0_14default_configELb1EPKhPhPKlPlN2at6native12_GLOBAL__N_18offset_tEEE10hipError_tPvRmT1_PNSt15iterator_traitsIS12_E10value_typeET2_T3_PNS13_IS18_E10value_typeET4_jRbjT5_S1E_jjP12ihipStream_tbEUljE_ZNSN_ISO_Lb1ESQ_SR_ST_SU_SY_EESZ_S10_S11_S12_S16_S17_S18_S1B_S1C_jS1D_jS1E_S1E_jjS1G_bEUljE0_EEESZ_S10_S11_S18_S1C_S1E_T6_T7_T9_mT8_S1G_bDpT10_ENKUlT_T0_E_clISt17integral_constantIbLb0EES1U_EEDaS1P_S1Q_EUlS1P_E_NS1_11comp_targetILNS1_3genE4ELNS1_11target_archE910ELNS1_3gpuE8ELNS1_3repE0EEENS1_30default_config_static_selectorELNS0_4arch9wavefront6targetE0EEEvS12_.num_agpr, 0
	.set _ZN7rocprim17ROCPRIM_400000_NS6detail17trampoline_kernelINS0_13select_configILj256ELj13ELNS0_17block_load_methodE3ELS4_3ELS4_3ELNS0_20block_scan_algorithmE0ELj4294967295EEENS1_25partition_config_selectorILNS1_17partition_subalgoE4EjNS0_10empty_typeEbEEZZNS1_14partition_implILS8_4ELb0ES6_15HIP_vector_typeIjLj2EENS0_17counting_iteratorIjlEEPS9_SG_NS0_5tupleIJPjSI_NS0_16reverse_iteratorISI_EEEEENSH_IJSG_SG_SG_EEES9_SI_JZNS1_25segmented_radix_sort_implINS0_14default_configELb1EPKhPhPKlPlN2at6native12_GLOBAL__N_18offset_tEEE10hipError_tPvRmT1_PNSt15iterator_traitsIS12_E10value_typeET2_T3_PNS13_IS18_E10value_typeET4_jRbjT5_S1E_jjP12ihipStream_tbEUljE_ZNSN_ISO_Lb1ESQ_SR_ST_SU_SY_EESZ_S10_S11_S12_S16_S17_S18_S1B_S1C_jS1D_jS1E_S1E_jjS1G_bEUljE0_EEESZ_S10_S11_S18_S1C_S1E_T6_T7_T9_mT8_S1G_bDpT10_ENKUlT_T0_E_clISt17integral_constantIbLb0EES1U_EEDaS1P_S1Q_EUlS1P_E_NS1_11comp_targetILNS1_3genE4ELNS1_11target_archE910ELNS1_3gpuE8ELNS1_3repE0EEENS1_30default_config_static_selectorELNS0_4arch9wavefront6targetE0EEEvS12_.numbered_sgpr, 0
	.set _ZN7rocprim17ROCPRIM_400000_NS6detail17trampoline_kernelINS0_13select_configILj256ELj13ELNS0_17block_load_methodE3ELS4_3ELS4_3ELNS0_20block_scan_algorithmE0ELj4294967295EEENS1_25partition_config_selectorILNS1_17partition_subalgoE4EjNS0_10empty_typeEbEEZZNS1_14partition_implILS8_4ELb0ES6_15HIP_vector_typeIjLj2EENS0_17counting_iteratorIjlEEPS9_SG_NS0_5tupleIJPjSI_NS0_16reverse_iteratorISI_EEEEENSH_IJSG_SG_SG_EEES9_SI_JZNS1_25segmented_radix_sort_implINS0_14default_configELb1EPKhPhPKlPlN2at6native12_GLOBAL__N_18offset_tEEE10hipError_tPvRmT1_PNSt15iterator_traitsIS12_E10value_typeET2_T3_PNS13_IS18_E10value_typeET4_jRbjT5_S1E_jjP12ihipStream_tbEUljE_ZNSN_ISO_Lb1ESQ_SR_ST_SU_SY_EESZ_S10_S11_S12_S16_S17_S18_S1B_S1C_jS1D_jS1E_S1E_jjS1G_bEUljE0_EEESZ_S10_S11_S18_S1C_S1E_T6_T7_T9_mT8_S1G_bDpT10_ENKUlT_T0_E_clISt17integral_constantIbLb0EES1U_EEDaS1P_S1Q_EUlS1P_E_NS1_11comp_targetILNS1_3genE4ELNS1_11target_archE910ELNS1_3gpuE8ELNS1_3repE0EEENS1_30default_config_static_selectorELNS0_4arch9wavefront6targetE0EEEvS12_.num_named_barrier, 0
	.set _ZN7rocprim17ROCPRIM_400000_NS6detail17trampoline_kernelINS0_13select_configILj256ELj13ELNS0_17block_load_methodE3ELS4_3ELS4_3ELNS0_20block_scan_algorithmE0ELj4294967295EEENS1_25partition_config_selectorILNS1_17partition_subalgoE4EjNS0_10empty_typeEbEEZZNS1_14partition_implILS8_4ELb0ES6_15HIP_vector_typeIjLj2EENS0_17counting_iteratorIjlEEPS9_SG_NS0_5tupleIJPjSI_NS0_16reverse_iteratorISI_EEEEENSH_IJSG_SG_SG_EEES9_SI_JZNS1_25segmented_radix_sort_implINS0_14default_configELb1EPKhPhPKlPlN2at6native12_GLOBAL__N_18offset_tEEE10hipError_tPvRmT1_PNSt15iterator_traitsIS12_E10value_typeET2_T3_PNS13_IS18_E10value_typeET4_jRbjT5_S1E_jjP12ihipStream_tbEUljE_ZNSN_ISO_Lb1ESQ_SR_ST_SU_SY_EESZ_S10_S11_S12_S16_S17_S18_S1B_S1C_jS1D_jS1E_S1E_jjS1G_bEUljE0_EEESZ_S10_S11_S18_S1C_S1E_T6_T7_T9_mT8_S1G_bDpT10_ENKUlT_T0_E_clISt17integral_constantIbLb0EES1U_EEDaS1P_S1Q_EUlS1P_E_NS1_11comp_targetILNS1_3genE4ELNS1_11target_archE910ELNS1_3gpuE8ELNS1_3repE0EEENS1_30default_config_static_selectorELNS0_4arch9wavefront6targetE0EEEvS12_.private_seg_size, 0
	.set _ZN7rocprim17ROCPRIM_400000_NS6detail17trampoline_kernelINS0_13select_configILj256ELj13ELNS0_17block_load_methodE3ELS4_3ELS4_3ELNS0_20block_scan_algorithmE0ELj4294967295EEENS1_25partition_config_selectorILNS1_17partition_subalgoE4EjNS0_10empty_typeEbEEZZNS1_14partition_implILS8_4ELb0ES6_15HIP_vector_typeIjLj2EENS0_17counting_iteratorIjlEEPS9_SG_NS0_5tupleIJPjSI_NS0_16reverse_iteratorISI_EEEEENSH_IJSG_SG_SG_EEES9_SI_JZNS1_25segmented_radix_sort_implINS0_14default_configELb1EPKhPhPKlPlN2at6native12_GLOBAL__N_18offset_tEEE10hipError_tPvRmT1_PNSt15iterator_traitsIS12_E10value_typeET2_T3_PNS13_IS18_E10value_typeET4_jRbjT5_S1E_jjP12ihipStream_tbEUljE_ZNSN_ISO_Lb1ESQ_SR_ST_SU_SY_EESZ_S10_S11_S12_S16_S17_S18_S1B_S1C_jS1D_jS1E_S1E_jjS1G_bEUljE0_EEESZ_S10_S11_S18_S1C_S1E_T6_T7_T9_mT8_S1G_bDpT10_ENKUlT_T0_E_clISt17integral_constantIbLb0EES1U_EEDaS1P_S1Q_EUlS1P_E_NS1_11comp_targetILNS1_3genE4ELNS1_11target_archE910ELNS1_3gpuE8ELNS1_3repE0EEENS1_30default_config_static_selectorELNS0_4arch9wavefront6targetE0EEEvS12_.uses_vcc, 0
	.set _ZN7rocprim17ROCPRIM_400000_NS6detail17trampoline_kernelINS0_13select_configILj256ELj13ELNS0_17block_load_methodE3ELS4_3ELS4_3ELNS0_20block_scan_algorithmE0ELj4294967295EEENS1_25partition_config_selectorILNS1_17partition_subalgoE4EjNS0_10empty_typeEbEEZZNS1_14partition_implILS8_4ELb0ES6_15HIP_vector_typeIjLj2EENS0_17counting_iteratorIjlEEPS9_SG_NS0_5tupleIJPjSI_NS0_16reverse_iteratorISI_EEEEENSH_IJSG_SG_SG_EEES9_SI_JZNS1_25segmented_radix_sort_implINS0_14default_configELb1EPKhPhPKlPlN2at6native12_GLOBAL__N_18offset_tEEE10hipError_tPvRmT1_PNSt15iterator_traitsIS12_E10value_typeET2_T3_PNS13_IS18_E10value_typeET4_jRbjT5_S1E_jjP12ihipStream_tbEUljE_ZNSN_ISO_Lb1ESQ_SR_ST_SU_SY_EESZ_S10_S11_S12_S16_S17_S18_S1B_S1C_jS1D_jS1E_S1E_jjS1G_bEUljE0_EEESZ_S10_S11_S18_S1C_S1E_T6_T7_T9_mT8_S1G_bDpT10_ENKUlT_T0_E_clISt17integral_constantIbLb0EES1U_EEDaS1P_S1Q_EUlS1P_E_NS1_11comp_targetILNS1_3genE4ELNS1_11target_archE910ELNS1_3gpuE8ELNS1_3repE0EEENS1_30default_config_static_selectorELNS0_4arch9wavefront6targetE0EEEvS12_.uses_flat_scratch, 0
	.set _ZN7rocprim17ROCPRIM_400000_NS6detail17trampoline_kernelINS0_13select_configILj256ELj13ELNS0_17block_load_methodE3ELS4_3ELS4_3ELNS0_20block_scan_algorithmE0ELj4294967295EEENS1_25partition_config_selectorILNS1_17partition_subalgoE4EjNS0_10empty_typeEbEEZZNS1_14partition_implILS8_4ELb0ES6_15HIP_vector_typeIjLj2EENS0_17counting_iteratorIjlEEPS9_SG_NS0_5tupleIJPjSI_NS0_16reverse_iteratorISI_EEEEENSH_IJSG_SG_SG_EEES9_SI_JZNS1_25segmented_radix_sort_implINS0_14default_configELb1EPKhPhPKlPlN2at6native12_GLOBAL__N_18offset_tEEE10hipError_tPvRmT1_PNSt15iterator_traitsIS12_E10value_typeET2_T3_PNS13_IS18_E10value_typeET4_jRbjT5_S1E_jjP12ihipStream_tbEUljE_ZNSN_ISO_Lb1ESQ_SR_ST_SU_SY_EESZ_S10_S11_S12_S16_S17_S18_S1B_S1C_jS1D_jS1E_S1E_jjS1G_bEUljE0_EEESZ_S10_S11_S18_S1C_S1E_T6_T7_T9_mT8_S1G_bDpT10_ENKUlT_T0_E_clISt17integral_constantIbLb0EES1U_EEDaS1P_S1Q_EUlS1P_E_NS1_11comp_targetILNS1_3genE4ELNS1_11target_archE910ELNS1_3gpuE8ELNS1_3repE0EEENS1_30default_config_static_selectorELNS0_4arch9wavefront6targetE0EEEvS12_.has_dyn_sized_stack, 0
	.set _ZN7rocprim17ROCPRIM_400000_NS6detail17trampoline_kernelINS0_13select_configILj256ELj13ELNS0_17block_load_methodE3ELS4_3ELS4_3ELNS0_20block_scan_algorithmE0ELj4294967295EEENS1_25partition_config_selectorILNS1_17partition_subalgoE4EjNS0_10empty_typeEbEEZZNS1_14partition_implILS8_4ELb0ES6_15HIP_vector_typeIjLj2EENS0_17counting_iteratorIjlEEPS9_SG_NS0_5tupleIJPjSI_NS0_16reverse_iteratorISI_EEEEENSH_IJSG_SG_SG_EEES9_SI_JZNS1_25segmented_radix_sort_implINS0_14default_configELb1EPKhPhPKlPlN2at6native12_GLOBAL__N_18offset_tEEE10hipError_tPvRmT1_PNSt15iterator_traitsIS12_E10value_typeET2_T3_PNS13_IS18_E10value_typeET4_jRbjT5_S1E_jjP12ihipStream_tbEUljE_ZNSN_ISO_Lb1ESQ_SR_ST_SU_SY_EESZ_S10_S11_S12_S16_S17_S18_S1B_S1C_jS1D_jS1E_S1E_jjS1G_bEUljE0_EEESZ_S10_S11_S18_S1C_S1E_T6_T7_T9_mT8_S1G_bDpT10_ENKUlT_T0_E_clISt17integral_constantIbLb0EES1U_EEDaS1P_S1Q_EUlS1P_E_NS1_11comp_targetILNS1_3genE4ELNS1_11target_archE910ELNS1_3gpuE8ELNS1_3repE0EEENS1_30default_config_static_selectorELNS0_4arch9wavefront6targetE0EEEvS12_.has_recursion, 0
	.set _ZN7rocprim17ROCPRIM_400000_NS6detail17trampoline_kernelINS0_13select_configILj256ELj13ELNS0_17block_load_methodE3ELS4_3ELS4_3ELNS0_20block_scan_algorithmE0ELj4294967295EEENS1_25partition_config_selectorILNS1_17partition_subalgoE4EjNS0_10empty_typeEbEEZZNS1_14partition_implILS8_4ELb0ES6_15HIP_vector_typeIjLj2EENS0_17counting_iteratorIjlEEPS9_SG_NS0_5tupleIJPjSI_NS0_16reverse_iteratorISI_EEEEENSH_IJSG_SG_SG_EEES9_SI_JZNS1_25segmented_radix_sort_implINS0_14default_configELb1EPKhPhPKlPlN2at6native12_GLOBAL__N_18offset_tEEE10hipError_tPvRmT1_PNSt15iterator_traitsIS12_E10value_typeET2_T3_PNS13_IS18_E10value_typeET4_jRbjT5_S1E_jjP12ihipStream_tbEUljE_ZNSN_ISO_Lb1ESQ_SR_ST_SU_SY_EESZ_S10_S11_S12_S16_S17_S18_S1B_S1C_jS1D_jS1E_S1E_jjS1G_bEUljE0_EEESZ_S10_S11_S18_S1C_S1E_T6_T7_T9_mT8_S1G_bDpT10_ENKUlT_T0_E_clISt17integral_constantIbLb0EES1U_EEDaS1P_S1Q_EUlS1P_E_NS1_11comp_targetILNS1_3genE4ELNS1_11target_archE910ELNS1_3gpuE8ELNS1_3repE0EEENS1_30default_config_static_selectorELNS0_4arch9wavefront6targetE0EEEvS12_.has_indirect_call, 0
	.section	.AMDGPU.csdata,"",@progbits
; Kernel info:
; codeLenInByte = 0
; TotalNumSgprs: 0
; NumVgprs: 0
; ScratchSize: 0
; MemoryBound: 0
; FloatMode: 240
; IeeeMode: 1
; LDSByteSize: 0 bytes/workgroup (compile time only)
; SGPRBlocks: 0
; VGPRBlocks: 0
; NumSGPRsForWavesPerEU: 1
; NumVGPRsForWavesPerEU: 1
; NamedBarCnt: 0
; Occupancy: 16
; WaveLimiterHint : 0
; COMPUTE_PGM_RSRC2:SCRATCH_EN: 0
; COMPUTE_PGM_RSRC2:USER_SGPR: 2
; COMPUTE_PGM_RSRC2:TRAP_HANDLER: 0
; COMPUTE_PGM_RSRC2:TGID_X_EN: 1
; COMPUTE_PGM_RSRC2:TGID_Y_EN: 0
; COMPUTE_PGM_RSRC2:TGID_Z_EN: 0
; COMPUTE_PGM_RSRC2:TIDIG_COMP_CNT: 0
	.section	.text._ZN7rocprim17ROCPRIM_400000_NS6detail17trampoline_kernelINS0_13select_configILj256ELj13ELNS0_17block_load_methodE3ELS4_3ELS4_3ELNS0_20block_scan_algorithmE0ELj4294967295EEENS1_25partition_config_selectorILNS1_17partition_subalgoE4EjNS0_10empty_typeEbEEZZNS1_14partition_implILS8_4ELb0ES6_15HIP_vector_typeIjLj2EENS0_17counting_iteratorIjlEEPS9_SG_NS0_5tupleIJPjSI_NS0_16reverse_iteratorISI_EEEEENSH_IJSG_SG_SG_EEES9_SI_JZNS1_25segmented_radix_sort_implINS0_14default_configELb1EPKhPhPKlPlN2at6native12_GLOBAL__N_18offset_tEEE10hipError_tPvRmT1_PNSt15iterator_traitsIS12_E10value_typeET2_T3_PNS13_IS18_E10value_typeET4_jRbjT5_S1E_jjP12ihipStream_tbEUljE_ZNSN_ISO_Lb1ESQ_SR_ST_SU_SY_EESZ_S10_S11_S12_S16_S17_S18_S1B_S1C_jS1D_jS1E_S1E_jjS1G_bEUljE0_EEESZ_S10_S11_S18_S1C_S1E_T6_T7_T9_mT8_S1G_bDpT10_ENKUlT_T0_E_clISt17integral_constantIbLb0EES1U_EEDaS1P_S1Q_EUlS1P_E_NS1_11comp_targetILNS1_3genE3ELNS1_11target_archE908ELNS1_3gpuE7ELNS1_3repE0EEENS1_30default_config_static_selectorELNS0_4arch9wavefront6targetE0EEEvS12_,"axG",@progbits,_ZN7rocprim17ROCPRIM_400000_NS6detail17trampoline_kernelINS0_13select_configILj256ELj13ELNS0_17block_load_methodE3ELS4_3ELS4_3ELNS0_20block_scan_algorithmE0ELj4294967295EEENS1_25partition_config_selectorILNS1_17partition_subalgoE4EjNS0_10empty_typeEbEEZZNS1_14partition_implILS8_4ELb0ES6_15HIP_vector_typeIjLj2EENS0_17counting_iteratorIjlEEPS9_SG_NS0_5tupleIJPjSI_NS0_16reverse_iteratorISI_EEEEENSH_IJSG_SG_SG_EEES9_SI_JZNS1_25segmented_radix_sort_implINS0_14default_configELb1EPKhPhPKlPlN2at6native12_GLOBAL__N_18offset_tEEE10hipError_tPvRmT1_PNSt15iterator_traitsIS12_E10value_typeET2_T3_PNS13_IS18_E10value_typeET4_jRbjT5_S1E_jjP12ihipStream_tbEUljE_ZNSN_ISO_Lb1ESQ_SR_ST_SU_SY_EESZ_S10_S11_S12_S16_S17_S18_S1B_S1C_jS1D_jS1E_S1E_jjS1G_bEUljE0_EEESZ_S10_S11_S18_S1C_S1E_T6_T7_T9_mT8_S1G_bDpT10_ENKUlT_T0_E_clISt17integral_constantIbLb0EES1U_EEDaS1P_S1Q_EUlS1P_E_NS1_11comp_targetILNS1_3genE3ELNS1_11target_archE908ELNS1_3gpuE7ELNS1_3repE0EEENS1_30default_config_static_selectorELNS0_4arch9wavefront6targetE0EEEvS12_,comdat
	.globl	_ZN7rocprim17ROCPRIM_400000_NS6detail17trampoline_kernelINS0_13select_configILj256ELj13ELNS0_17block_load_methodE3ELS4_3ELS4_3ELNS0_20block_scan_algorithmE0ELj4294967295EEENS1_25partition_config_selectorILNS1_17partition_subalgoE4EjNS0_10empty_typeEbEEZZNS1_14partition_implILS8_4ELb0ES6_15HIP_vector_typeIjLj2EENS0_17counting_iteratorIjlEEPS9_SG_NS0_5tupleIJPjSI_NS0_16reverse_iteratorISI_EEEEENSH_IJSG_SG_SG_EEES9_SI_JZNS1_25segmented_radix_sort_implINS0_14default_configELb1EPKhPhPKlPlN2at6native12_GLOBAL__N_18offset_tEEE10hipError_tPvRmT1_PNSt15iterator_traitsIS12_E10value_typeET2_T3_PNS13_IS18_E10value_typeET4_jRbjT5_S1E_jjP12ihipStream_tbEUljE_ZNSN_ISO_Lb1ESQ_SR_ST_SU_SY_EESZ_S10_S11_S12_S16_S17_S18_S1B_S1C_jS1D_jS1E_S1E_jjS1G_bEUljE0_EEESZ_S10_S11_S18_S1C_S1E_T6_T7_T9_mT8_S1G_bDpT10_ENKUlT_T0_E_clISt17integral_constantIbLb0EES1U_EEDaS1P_S1Q_EUlS1P_E_NS1_11comp_targetILNS1_3genE3ELNS1_11target_archE908ELNS1_3gpuE7ELNS1_3repE0EEENS1_30default_config_static_selectorELNS0_4arch9wavefront6targetE0EEEvS12_ ; -- Begin function _ZN7rocprim17ROCPRIM_400000_NS6detail17trampoline_kernelINS0_13select_configILj256ELj13ELNS0_17block_load_methodE3ELS4_3ELS4_3ELNS0_20block_scan_algorithmE0ELj4294967295EEENS1_25partition_config_selectorILNS1_17partition_subalgoE4EjNS0_10empty_typeEbEEZZNS1_14partition_implILS8_4ELb0ES6_15HIP_vector_typeIjLj2EENS0_17counting_iteratorIjlEEPS9_SG_NS0_5tupleIJPjSI_NS0_16reverse_iteratorISI_EEEEENSH_IJSG_SG_SG_EEES9_SI_JZNS1_25segmented_radix_sort_implINS0_14default_configELb1EPKhPhPKlPlN2at6native12_GLOBAL__N_18offset_tEEE10hipError_tPvRmT1_PNSt15iterator_traitsIS12_E10value_typeET2_T3_PNS13_IS18_E10value_typeET4_jRbjT5_S1E_jjP12ihipStream_tbEUljE_ZNSN_ISO_Lb1ESQ_SR_ST_SU_SY_EESZ_S10_S11_S12_S16_S17_S18_S1B_S1C_jS1D_jS1E_S1E_jjS1G_bEUljE0_EEESZ_S10_S11_S18_S1C_S1E_T6_T7_T9_mT8_S1G_bDpT10_ENKUlT_T0_E_clISt17integral_constantIbLb0EES1U_EEDaS1P_S1Q_EUlS1P_E_NS1_11comp_targetILNS1_3genE3ELNS1_11target_archE908ELNS1_3gpuE7ELNS1_3repE0EEENS1_30default_config_static_selectorELNS0_4arch9wavefront6targetE0EEEvS12_
	.p2align	8
	.type	_ZN7rocprim17ROCPRIM_400000_NS6detail17trampoline_kernelINS0_13select_configILj256ELj13ELNS0_17block_load_methodE3ELS4_3ELS4_3ELNS0_20block_scan_algorithmE0ELj4294967295EEENS1_25partition_config_selectorILNS1_17partition_subalgoE4EjNS0_10empty_typeEbEEZZNS1_14partition_implILS8_4ELb0ES6_15HIP_vector_typeIjLj2EENS0_17counting_iteratorIjlEEPS9_SG_NS0_5tupleIJPjSI_NS0_16reverse_iteratorISI_EEEEENSH_IJSG_SG_SG_EEES9_SI_JZNS1_25segmented_radix_sort_implINS0_14default_configELb1EPKhPhPKlPlN2at6native12_GLOBAL__N_18offset_tEEE10hipError_tPvRmT1_PNSt15iterator_traitsIS12_E10value_typeET2_T3_PNS13_IS18_E10value_typeET4_jRbjT5_S1E_jjP12ihipStream_tbEUljE_ZNSN_ISO_Lb1ESQ_SR_ST_SU_SY_EESZ_S10_S11_S12_S16_S17_S18_S1B_S1C_jS1D_jS1E_S1E_jjS1G_bEUljE0_EEESZ_S10_S11_S18_S1C_S1E_T6_T7_T9_mT8_S1G_bDpT10_ENKUlT_T0_E_clISt17integral_constantIbLb0EES1U_EEDaS1P_S1Q_EUlS1P_E_NS1_11comp_targetILNS1_3genE3ELNS1_11target_archE908ELNS1_3gpuE7ELNS1_3repE0EEENS1_30default_config_static_selectorELNS0_4arch9wavefront6targetE0EEEvS12_,@function
_ZN7rocprim17ROCPRIM_400000_NS6detail17trampoline_kernelINS0_13select_configILj256ELj13ELNS0_17block_load_methodE3ELS4_3ELS4_3ELNS0_20block_scan_algorithmE0ELj4294967295EEENS1_25partition_config_selectorILNS1_17partition_subalgoE4EjNS0_10empty_typeEbEEZZNS1_14partition_implILS8_4ELb0ES6_15HIP_vector_typeIjLj2EENS0_17counting_iteratorIjlEEPS9_SG_NS0_5tupleIJPjSI_NS0_16reverse_iteratorISI_EEEEENSH_IJSG_SG_SG_EEES9_SI_JZNS1_25segmented_radix_sort_implINS0_14default_configELb1EPKhPhPKlPlN2at6native12_GLOBAL__N_18offset_tEEE10hipError_tPvRmT1_PNSt15iterator_traitsIS12_E10value_typeET2_T3_PNS13_IS18_E10value_typeET4_jRbjT5_S1E_jjP12ihipStream_tbEUljE_ZNSN_ISO_Lb1ESQ_SR_ST_SU_SY_EESZ_S10_S11_S12_S16_S17_S18_S1B_S1C_jS1D_jS1E_S1E_jjS1G_bEUljE0_EEESZ_S10_S11_S18_S1C_S1E_T6_T7_T9_mT8_S1G_bDpT10_ENKUlT_T0_E_clISt17integral_constantIbLb0EES1U_EEDaS1P_S1Q_EUlS1P_E_NS1_11comp_targetILNS1_3genE3ELNS1_11target_archE908ELNS1_3gpuE7ELNS1_3repE0EEENS1_30default_config_static_selectorELNS0_4arch9wavefront6targetE0EEEvS12_: ; @_ZN7rocprim17ROCPRIM_400000_NS6detail17trampoline_kernelINS0_13select_configILj256ELj13ELNS0_17block_load_methodE3ELS4_3ELS4_3ELNS0_20block_scan_algorithmE0ELj4294967295EEENS1_25partition_config_selectorILNS1_17partition_subalgoE4EjNS0_10empty_typeEbEEZZNS1_14partition_implILS8_4ELb0ES6_15HIP_vector_typeIjLj2EENS0_17counting_iteratorIjlEEPS9_SG_NS0_5tupleIJPjSI_NS0_16reverse_iteratorISI_EEEEENSH_IJSG_SG_SG_EEES9_SI_JZNS1_25segmented_radix_sort_implINS0_14default_configELb1EPKhPhPKlPlN2at6native12_GLOBAL__N_18offset_tEEE10hipError_tPvRmT1_PNSt15iterator_traitsIS12_E10value_typeET2_T3_PNS13_IS18_E10value_typeET4_jRbjT5_S1E_jjP12ihipStream_tbEUljE_ZNSN_ISO_Lb1ESQ_SR_ST_SU_SY_EESZ_S10_S11_S12_S16_S17_S18_S1B_S1C_jS1D_jS1E_S1E_jjS1G_bEUljE0_EEESZ_S10_S11_S18_S1C_S1E_T6_T7_T9_mT8_S1G_bDpT10_ENKUlT_T0_E_clISt17integral_constantIbLb0EES1U_EEDaS1P_S1Q_EUlS1P_E_NS1_11comp_targetILNS1_3genE3ELNS1_11target_archE908ELNS1_3gpuE7ELNS1_3repE0EEENS1_30default_config_static_selectorELNS0_4arch9wavefront6targetE0EEEvS12_
; %bb.0:
	.section	.rodata,"a",@progbits
	.p2align	6, 0x0
	.amdhsa_kernel _ZN7rocprim17ROCPRIM_400000_NS6detail17trampoline_kernelINS0_13select_configILj256ELj13ELNS0_17block_load_methodE3ELS4_3ELS4_3ELNS0_20block_scan_algorithmE0ELj4294967295EEENS1_25partition_config_selectorILNS1_17partition_subalgoE4EjNS0_10empty_typeEbEEZZNS1_14partition_implILS8_4ELb0ES6_15HIP_vector_typeIjLj2EENS0_17counting_iteratorIjlEEPS9_SG_NS0_5tupleIJPjSI_NS0_16reverse_iteratorISI_EEEEENSH_IJSG_SG_SG_EEES9_SI_JZNS1_25segmented_radix_sort_implINS0_14default_configELb1EPKhPhPKlPlN2at6native12_GLOBAL__N_18offset_tEEE10hipError_tPvRmT1_PNSt15iterator_traitsIS12_E10value_typeET2_T3_PNS13_IS18_E10value_typeET4_jRbjT5_S1E_jjP12ihipStream_tbEUljE_ZNSN_ISO_Lb1ESQ_SR_ST_SU_SY_EESZ_S10_S11_S12_S16_S17_S18_S1B_S1C_jS1D_jS1E_S1E_jjS1G_bEUljE0_EEESZ_S10_S11_S18_S1C_S1E_T6_T7_T9_mT8_S1G_bDpT10_ENKUlT_T0_E_clISt17integral_constantIbLb0EES1U_EEDaS1P_S1Q_EUlS1P_E_NS1_11comp_targetILNS1_3genE3ELNS1_11target_archE908ELNS1_3gpuE7ELNS1_3repE0EEENS1_30default_config_static_selectorELNS0_4arch9wavefront6targetE0EEEvS12_
		.amdhsa_group_segment_fixed_size 0
		.amdhsa_private_segment_fixed_size 0
		.amdhsa_kernarg_size 176
		.amdhsa_user_sgpr_count 2
		.amdhsa_user_sgpr_dispatch_ptr 0
		.amdhsa_user_sgpr_queue_ptr 0
		.amdhsa_user_sgpr_kernarg_segment_ptr 1
		.amdhsa_user_sgpr_dispatch_id 0
		.amdhsa_user_sgpr_kernarg_preload_length 0
		.amdhsa_user_sgpr_kernarg_preload_offset 0
		.amdhsa_user_sgpr_private_segment_size 0
		.amdhsa_wavefront_size32 1
		.amdhsa_uses_dynamic_stack 0
		.amdhsa_enable_private_segment 0
		.amdhsa_system_sgpr_workgroup_id_x 1
		.amdhsa_system_sgpr_workgroup_id_y 0
		.amdhsa_system_sgpr_workgroup_id_z 0
		.amdhsa_system_sgpr_workgroup_info 0
		.amdhsa_system_vgpr_workitem_id 0
		.amdhsa_next_free_vgpr 1
		.amdhsa_next_free_sgpr 1
		.amdhsa_named_barrier_count 0
		.amdhsa_reserve_vcc 0
		.amdhsa_float_round_mode_32 0
		.amdhsa_float_round_mode_16_64 0
		.amdhsa_float_denorm_mode_32 3
		.amdhsa_float_denorm_mode_16_64 3
		.amdhsa_fp16_overflow 0
		.amdhsa_memory_ordered 1
		.amdhsa_forward_progress 1
		.amdhsa_inst_pref_size 0
		.amdhsa_round_robin_scheduling 0
		.amdhsa_exception_fp_ieee_invalid_op 0
		.amdhsa_exception_fp_denorm_src 0
		.amdhsa_exception_fp_ieee_div_zero 0
		.amdhsa_exception_fp_ieee_overflow 0
		.amdhsa_exception_fp_ieee_underflow 0
		.amdhsa_exception_fp_ieee_inexact 0
		.amdhsa_exception_int_div_zero 0
	.end_amdhsa_kernel
	.section	.text._ZN7rocprim17ROCPRIM_400000_NS6detail17trampoline_kernelINS0_13select_configILj256ELj13ELNS0_17block_load_methodE3ELS4_3ELS4_3ELNS0_20block_scan_algorithmE0ELj4294967295EEENS1_25partition_config_selectorILNS1_17partition_subalgoE4EjNS0_10empty_typeEbEEZZNS1_14partition_implILS8_4ELb0ES6_15HIP_vector_typeIjLj2EENS0_17counting_iteratorIjlEEPS9_SG_NS0_5tupleIJPjSI_NS0_16reverse_iteratorISI_EEEEENSH_IJSG_SG_SG_EEES9_SI_JZNS1_25segmented_radix_sort_implINS0_14default_configELb1EPKhPhPKlPlN2at6native12_GLOBAL__N_18offset_tEEE10hipError_tPvRmT1_PNSt15iterator_traitsIS12_E10value_typeET2_T3_PNS13_IS18_E10value_typeET4_jRbjT5_S1E_jjP12ihipStream_tbEUljE_ZNSN_ISO_Lb1ESQ_SR_ST_SU_SY_EESZ_S10_S11_S12_S16_S17_S18_S1B_S1C_jS1D_jS1E_S1E_jjS1G_bEUljE0_EEESZ_S10_S11_S18_S1C_S1E_T6_T7_T9_mT8_S1G_bDpT10_ENKUlT_T0_E_clISt17integral_constantIbLb0EES1U_EEDaS1P_S1Q_EUlS1P_E_NS1_11comp_targetILNS1_3genE3ELNS1_11target_archE908ELNS1_3gpuE7ELNS1_3repE0EEENS1_30default_config_static_selectorELNS0_4arch9wavefront6targetE0EEEvS12_,"axG",@progbits,_ZN7rocprim17ROCPRIM_400000_NS6detail17trampoline_kernelINS0_13select_configILj256ELj13ELNS0_17block_load_methodE3ELS4_3ELS4_3ELNS0_20block_scan_algorithmE0ELj4294967295EEENS1_25partition_config_selectorILNS1_17partition_subalgoE4EjNS0_10empty_typeEbEEZZNS1_14partition_implILS8_4ELb0ES6_15HIP_vector_typeIjLj2EENS0_17counting_iteratorIjlEEPS9_SG_NS0_5tupleIJPjSI_NS0_16reverse_iteratorISI_EEEEENSH_IJSG_SG_SG_EEES9_SI_JZNS1_25segmented_radix_sort_implINS0_14default_configELb1EPKhPhPKlPlN2at6native12_GLOBAL__N_18offset_tEEE10hipError_tPvRmT1_PNSt15iterator_traitsIS12_E10value_typeET2_T3_PNS13_IS18_E10value_typeET4_jRbjT5_S1E_jjP12ihipStream_tbEUljE_ZNSN_ISO_Lb1ESQ_SR_ST_SU_SY_EESZ_S10_S11_S12_S16_S17_S18_S1B_S1C_jS1D_jS1E_S1E_jjS1G_bEUljE0_EEESZ_S10_S11_S18_S1C_S1E_T6_T7_T9_mT8_S1G_bDpT10_ENKUlT_T0_E_clISt17integral_constantIbLb0EES1U_EEDaS1P_S1Q_EUlS1P_E_NS1_11comp_targetILNS1_3genE3ELNS1_11target_archE908ELNS1_3gpuE7ELNS1_3repE0EEENS1_30default_config_static_selectorELNS0_4arch9wavefront6targetE0EEEvS12_,comdat
.Lfunc_end7:
	.size	_ZN7rocprim17ROCPRIM_400000_NS6detail17trampoline_kernelINS0_13select_configILj256ELj13ELNS0_17block_load_methodE3ELS4_3ELS4_3ELNS0_20block_scan_algorithmE0ELj4294967295EEENS1_25partition_config_selectorILNS1_17partition_subalgoE4EjNS0_10empty_typeEbEEZZNS1_14partition_implILS8_4ELb0ES6_15HIP_vector_typeIjLj2EENS0_17counting_iteratorIjlEEPS9_SG_NS0_5tupleIJPjSI_NS0_16reverse_iteratorISI_EEEEENSH_IJSG_SG_SG_EEES9_SI_JZNS1_25segmented_radix_sort_implINS0_14default_configELb1EPKhPhPKlPlN2at6native12_GLOBAL__N_18offset_tEEE10hipError_tPvRmT1_PNSt15iterator_traitsIS12_E10value_typeET2_T3_PNS13_IS18_E10value_typeET4_jRbjT5_S1E_jjP12ihipStream_tbEUljE_ZNSN_ISO_Lb1ESQ_SR_ST_SU_SY_EESZ_S10_S11_S12_S16_S17_S18_S1B_S1C_jS1D_jS1E_S1E_jjS1G_bEUljE0_EEESZ_S10_S11_S18_S1C_S1E_T6_T7_T9_mT8_S1G_bDpT10_ENKUlT_T0_E_clISt17integral_constantIbLb0EES1U_EEDaS1P_S1Q_EUlS1P_E_NS1_11comp_targetILNS1_3genE3ELNS1_11target_archE908ELNS1_3gpuE7ELNS1_3repE0EEENS1_30default_config_static_selectorELNS0_4arch9wavefront6targetE0EEEvS12_, .Lfunc_end7-_ZN7rocprim17ROCPRIM_400000_NS6detail17trampoline_kernelINS0_13select_configILj256ELj13ELNS0_17block_load_methodE3ELS4_3ELS4_3ELNS0_20block_scan_algorithmE0ELj4294967295EEENS1_25partition_config_selectorILNS1_17partition_subalgoE4EjNS0_10empty_typeEbEEZZNS1_14partition_implILS8_4ELb0ES6_15HIP_vector_typeIjLj2EENS0_17counting_iteratorIjlEEPS9_SG_NS0_5tupleIJPjSI_NS0_16reverse_iteratorISI_EEEEENSH_IJSG_SG_SG_EEES9_SI_JZNS1_25segmented_radix_sort_implINS0_14default_configELb1EPKhPhPKlPlN2at6native12_GLOBAL__N_18offset_tEEE10hipError_tPvRmT1_PNSt15iterator_traitsIS12_E10value_typeET2_T3_PNS13_IS18_E10value_typeET4_jRbjT5_S1E_jjP12ihipStream_tbEUljE_ZNSN_ISO_Lb1ESQ_SR_ST_SU_SY_EESZ_S10_S11_S12_S16_S17_S18_S1B_S1C_jS1D_jS1E_S1E_jjS1G_bEUljE0_EEESZ_S10_S11_S18_S1C_S1E_T6_T7_T9_mT8_S1G_bDpT10_ENKUlT_T0_E_clISt17integral_constantIbLb0EES1U_EEDaS1P_S1Q_EUlS1P_E_NS1_11comp_targetILNS1_3genE3ELNS1_11target_archE908ELNS1_3gpuE7ELNS1_3repE0EEENS1_30default_config_static_selectorELNS0_4arch9wavefront6targetE0EEEvS12_
                                        ; -- End function
	.set _ZN7rocprim17ROCPRIM_400000_NS6detail17trampoline_kernelINS0_13select_configILj256ELj13ELNS0_17block_load_methodE3ELS4_3ELS4_3ELNS0_20block_scan_algorithmE0ELj4294967295EEENS1_25partition_config_selectorILNS1_17partition_subalgoE4EjNS0_10empty_typeEbEEZZNS1_14partition_implILS8_4ELb0ES6_15HIP_vector_typeIjLj2EENS0_17counting_iteratorIjlEEPS9_SG_NS0_5tupleIJPjSI_NS0_16reverse_iteratorISI_EEEEENSH_IJSG_SG_SG_EEES9_SI_JZNS1_25segmented_radix_sort_implINS0_14default_configELb1EPKhPhPKlPlN2at6native12_GLOBAL__N_18offset_tEEE10hipError_tPvRmT1_PNSt15iterator_traitsIS12_E10value_typeET2_T3_PNS13_IS18_E10value_typeET4_jRbjT5_S1E_jjP12ihipStream_tbEUljE_ZNSN_ISO_Lb1ESQ_SR_ST_SU_SY_EESZ_S10_S11_S12_S16_S17_S18_S1B_S1C_jS1D_jS1E_S1E_jjS1G_bEUljE0_EEESZ_S10_S11_S18_S1C_S1E_T6_T7_T9_mT8_S1G_bDpT10_ENKUlT_T0_E_clISt17integral_constantIbLb0EES1U_EEDaS1P_S1Q_EUlS1P_E_NS1_11comp_targetILNS1_3genE3ELNS1_11target_archE908ELNS1_3gpuE7ELNS1_3repE0EEENS1_30default_config_static_selectorELNS0_4arch9wavefront6targetE0EEEvS12_.num_vgpr, 0
	.set _ZN7rocprim17ROCPRIM_400000_NS6detail17trampoline_kernelINS0_13select_configILj256ELj13ELNS0_17block_load_methodE3ELS4_3ELS4_3ELNS0_20block_scan_algorithmE0ELj4294967295EEENS1_25partition_config_selectorILNS1_17partition_subalgoE4EjNS0_10empty_typeEbEEZZNS1_14partition_implILS8_4ELb0ES6_15HIP_vector_typeIjLj2EENS0_17counting_iteratorIjlEEPS9_SG_NS0_5tupleIJPjSI_NS0_16reverse_iteratorISI_EEEEENSH_IJSG_SG_SG_EEES9_SI_JZNS1_25segmented_radix_sort_implINS0_14default_configELb1EPKhPhPKlPlN2at6native12_GLOBAL__N_18offset_tEEE10hipError_tPvRmT1_PNSt15iterator_traitsIS12_E10value_typeET2_T3_PNS13_IS18_E10value_typeET4_jRbjT5_S1E_jjP12ihipStream_tbEUljE_ZNSN_ISO_Lb1ESQ_SR_ST_SU_SY_EESZ_S10_S11_S12_S16_S17_S18_S1B_S1C_jS1D_jS1E_S1E_jjS1G_bEUljE0_EEESZ_S10_S11_S18_S1C_S1E_T6_T7_T9_mT8_S1G_bDpT10_ENKUlT_T0_E_clISt17integral_constantIbLb0EES1U_EEDaS1P_S1Q_EUlS1P_E_NS1_11comp_targetILNS1_3genE3ELNS1_11target_archE908ELNS1_3gpuE7ELNS1_3repE0EEENS1_30default_config_static_selectorELNS0_4arch9wavefront6targetE0EEEvS12_.num_agpr, 0
	.set _ZN7rocprim17ROCPRIM_400000_NS6detail17trampoline_kernelINS0_13select_configILj256ELj13ELNS0_17block_load_methodE3ELS4_3ELS4_3ELNS0_20block_scan_algorithmE0ELj4294967295EEENS1_25partition_config_selectorILNS1_17partition_subalgoE4EjNS0_10empty_typeEbEEZZNS1_14partition_implILS8_4ELb0ES6_15HIP_vector_typeIjLj2EENS0_17counting_iteratorIjlEEPS9_SG_NS0_5tupleIJPjSI_NS0_16reverse_iteratorISI_EEEEENSH_IJSG_SG_SG_EEES9_SI_JZNS1_25segmented_radix_sort_implINS0_14default_configELb1EPKhPhPKlPlN2at6native12_GLOBAL__N_18offset_tEEE10hipError_tPvRmT1_PNSt15iterator_traitsIS12_E10value_typeET2_T3_PNS13_IS18_E10value_typeET4_jRbjT5_S1E_jjP12ihipStream_tbEUljE_ZNSN_ISO_Lb1ESQ_SR_ST_SU_SY_EESZ_S10_S11_S12_S16_S17_S18_S1B_S1C_jS1D_jS1E_S1E_jjS1G_bEUljE0_EEESZ_S10_S11_S18_S1C_S1E_T6_T7_T9_mT8_S1G_bDpT10_ENKUlT_T0_E_clISt17integral_constantIbLb0EES1U_EEDaS1P_S1Q_EUlS1P_E_NS1_11comp_targetILNS1_3genE3ELNS1_11target_archE908ELNS1_3gpuE7ELNS1_3repE0EEENS1_30default_config_static_selectorELNS0_4arch9wavefront6targetE0EEEvS12_.numbered_sgpr, 0
	.set _ZN7rocprim17ROCPRIM_400000_NS6detail17trampoline_kernelINS0_13select_configILj256ELj13ELNS0_17block_load_methodE3ELS4_3ELS4_3ELNS0_20block_scan_algorithmE0ELj4294967295EEENS1_25partition_config_selectorILNS1_17partition_subalgoE4EjNS0_10empty_typeEbEEZZNS1_14partition_implILS8_4ELb0ES6_15HIP_vector_typeIjLj2EENS0_17counting_iteratorIjlEEPS9_SG_NS0_5tupleIJPjSI_NS0_16reverse_iteratorISI_EEEEENSH_IJSG_SG_SG_EEES9_SI_JZNS1_25segmented_radix_sort_implINS0_14default_configELb1EPKhPhPKlPlN2at6native12_GLOBAL__N_18offset_tEEE10hipError_tPvRmT1_PNSt15iterator_traitsIS12_E10value_typeET2_T3_PNS13_IS18_E10value_typeET4_jRbjT5_S1E_jjP12ihipStream_tbEUljE_ZNSN_ISO_Lb1ESQ_SR_ST_SU_SY_EESZ_S10_S11_S12_S16_S17_S18_S1B_S1C_jS1D_jS1E_S1E_jjS1G_bEUljE0_EEESZ_S10_S11_S18_S1C_S1E_T6_T7_T9_mT8_S1G_bDpT10_ENKUlT_T0_E_clISt17integral_constantIbLb0EES1U_EEDaS1P_S1Q_EUlS1P_E_NS1_11comp_targetILNS1_3genE3ELNS1_11target_archE908ELNS1_3gpuE7ELNS1_3repE0EEENS1_30default_config_static_selectorELNS0_4arch9wavefront6targetE0EEEvS12_.num_named_barrier, 0
	.set _ZN7rocprim17ROCPRIM_400000_NS6detail17trampoline_kernelINS0_13select_configILj256ELj13ELNS0_17block_load_methodE3ELS4_3ELS4_3ELNS0_20block_scan_algorithmE0ELj4294967295EEENS1_25partition_config_selectorILNS1_17partition_subalgoE4EjNS0_10empty_typeEbEEZZNS1_14partition_implILS8_4ELb0ES6_15HIP_vector_typeIjLj2EENS0_17counting_iteratorIjlEEPS9_SG_NS0_5tupleIJPjSI_NS0_16reverse_iteratorISI_EEEEENSH_IJSG_SG_SG_EEES9_SI_JZNS1_25segmented_radix_sort_implINS0_14default_configELb1EPKhPhPKlPlN2at6native12_GLOBAL__N_18offset_tEEE10hipError_tPvRmT1_PNSt15iterator_traitsIS12_E10value_typeET2_T3_PNS13_IS18_E10value_typeET4_jRbjT5_S1E_jjP12ihipStream_tbEUljE_ZNSN_ISO_Lb1ESQ_SR_ST_SU_SY_EESZ_S10_S11_S12_S16_S17_S18_S1B_S1C_jS1D_jS1E_S1E_jjS1G_bEUljE0_EEESZ_S10_S11_S18_S1C_S1E_T6_T7_T9_mT8_S1G_bDpT10_ENKUlT_T0_E_clISt17integral_constantIbLb0EES1U_EEDaS1P_S1Q_EUlS1P_E_NS1_11comp_targetILNS1_3genE3ELNS1_11target_archE908ELNS1_3gpuE7ELNS1_3repE0EEENS1_30default_config_static_selectorELNS0_4arch9wavefront6targetE0EEEvS12_.private_seg_size, 0
	.set _ZN7rocprim17ROCPRIM_400000_NS6detail17trampoline_kernelINS0_13select_configILj256ELj13ELNS0_17block_load_methodE3ELS4_3ELS4_3ELNS0_20block_scan_algorithmE0ELj4294967295EEENS1_25partition_config_selectorILNS1_17partition_subalgoE4EjNS0_10empty_typeEbEEZZNS1_14partition_implILS8_4ELb0ES6_15HIP_vector_typeIjLj2EENS0_17counting_iteratorIjlEEPS9_SG_NS0_5tupleIJPjSI_NS0_16reverse_iteratorISI_EEEEENSH_IJSG_SG_SG_EEES9_SI_JZNS1_25segmented_radix_sort_implINS0_14default_configELb1EPKhPhPKlPlN2at6native12_GLOBAL__N_18offset_tEEE10hipError_tPvRmT1_PNSt15iterator_traitsIS12_E10value_typeET2_T3_PNS13_IS18_E10value_typeET4_jRbjT5_S1E_jjP12ihipStream_tbEUljE_ZNSN_ISO_Lb1ESQ_SR_ST_SU_SY_EESZ_S10_S11_S12_S16_S17_S18_S1B_S1C_jS1D_jS1E_S1E_jjS1G_bEUljE0_EEESZ_S10_S11_S18_S1C_S1E_T6_T7_T9_mT8_S1G_bDpT10_ENKUlT_T0_E_clISt17integral_constantIbLb0EES1U_EEDaS1P_S1Q_EUlS1P_E_NS1_11comp_targetILNS1_3genE3ELNS1_11target_archE908ELNS1_3gpuE7ELNS1_3repE0EEENS1_30default_config_static_selectorELNS0_4arch9wavefront6targetE0EEEvS12_.uses_vcc, 0
	.set _ZN7rocprim17ROCPRIM_400000_NS6detail17trampoline_kernelINS0_13select_configILj256ELj13ELNS0_17block_load_methodE3ELS4_3ELS4_3ELNS0_20block_scan_algorithmE0ELj4294967295EEENS1_25partition_config_selectorILNS1_17partition_subalgoE4EjNS0_10empty_typeEbEEZZNS1_14partition_implILS8_4ELb0ES6_15HIP_vector_typeIjLj2EENS0_17counting_iteratorIjlEEPS9_SG_NS0_5tupleIJPjSI_NS0_16reverse_iteratorISI_EEEEENSH_IJSG_SG_SG_EEES9_SI_JZNS1_25segmented_radix_sort_implINS0_14default_configELb1EPKhPhPKlPlN2at6native12_GLOBAL__N_18offset_tEEE10hipError_tPvRmT1_PNSt15iterator_traitsIS12_E10value_typeET2_T3_PNS13_IS18_E10value_typeET4_jRbjT5_S1E_jjP12ihipStream_tbEUljE_ZNSN_ISO_Lb1ESQ_SR_ST_SU_SY_EESZ_S10_S11_S12_S16_S17_S18_S1B_S1C_jS1D_jS1E_S1E_jjS1G_bEUljE0_EEESZ_S10_S11_S18_S1C_S1E_T6_T7_T9_mT8_S1G_bDpT10_ENKUlT_T0_E_clISt17integral_constantIbLb0EES1U_EEDaS1P_S1Q_EUlS1P_E_NS1_11comp_targetILNS1_3genE3ELNS1_11target_archE908ELNS1_3gpuE7ELNS1_3repE0EEENS1_30default_config_static_selectorELNS0_4arch9wavefront6targetE0EEEvS12_.uses_flat_scratch, 0
	.set _ZN7rocprim17ROCPRIM_400000_NS6detail17trampoline_kernelINS0_13select_configILj256ELj13ELNS0_17block_load_methodE3ELS4_3ELS4_3ELNS0_20block_scan_algorithmE0ELj4294967295EEENS1_25partition_config_selectorILNS1_17partition_subalgoE4EjNS0_10empty_typeEbEEZZNS1_14partition_implILS8_4ELb0ES6_15HIP_vector_typeIjLj2EENS0_17counting_iteratorIjlEEPS9_SG_NS0_5tupleIJPjSI_NS0_16reverse_iteratorISI_EEEEENSH_IJSG_SG_SG_EEES9_SI_JZNS1_25segmented_radix_sort_implINS0_14default_configELb1EPKhPhPKlPlN2at6native12_GLOBAL__N_18offset_tEEE10hipError_tPvRmT1_PNSt15iterator_traitsIS12_E10value_typeET2_T3_PNS13_IS18_E10value_typeET4_jRbjT5_S1E_jjP12ihipStream_tbEUljE_ZNSN_ISO_Lb1ESQ_SR_ST_SU_SY_EESZ_S10_S11_S12_S16_S17_S18_S1B_S1C_jS1D_jS1E_S1E_jjS1G_bEUljE0_EEESZ_S10_S11_S18_S1C_S1E_T6_T7_T9_mT8_S1G_bDpT10_ENKUlT_T0_E_clISt17integral_constantIbLb0EES1U_EEDaS1P_S1Q_EUlS1P_E_NS1_11comp_targetILNS1_3genE3ELNS1_11target_archE908ELNS1_3gpuE7ELNS1_3repE0EEENS1_30default_config_static_selectorELNS0_4arch9wavefront6targetE0EEEvS12_.has_dyn_sized_stack, 0
	.set _ZN7rocprim17ROCPRIM_400000_NS6detail17trampoline_kernelINS0_13select_configILj256ELj13ELNS0_17block_load_methodE3ELS4_3ELS4_3ELNS0_20block_scan_algorithmE0ELj4294967295EEENS1_25partition_config_selectorILNS1_17partition_subalgoE4EjNS0_10empty_typeEbEEZZNS1_14partition_implILS8_4ELb0ES6_15HIP_vector_typeIjLj2EENS0_17counting_iteratorIjlEEPS9_SG_NS0_5tupleIJPjSI_NS0_16reverse_iteratorISI_EEEEENSH_IJSG_SG_SG_EEES9_SI_JZNS1_25segmented_radix_sort_implINS0_14default_configELb1EPKhPhPKlPlN2at6native12_GLOBAL__N_18offset_tEEE10hipError_tPvRmT1_PNSt15iterator_traitsIS12_E10value_typeET2_T3_PNS13_IS18_E10value_typeET4_jRbjT5_S1E_jjP12ihipStream_tbEUljE_ZNSN_ISO_Lb1ESQ_SR_ST_SU_SY_EESZ_S10_S11_S12_S16_S17_S18_S1B_S1C_jS1D_jS1E_S1E_jjS1G_bEUljE0_EEESZ_S10_S11_S18_S1C_S1E_T6_T7_T9_mT8_S1G_bDpT10_ENKUlT_T0_E_clISt17integral_constantIbLb0EES1U_EEDaS1P_S1Q_EUlS1P_E_NS1_11comp_targetILNS1_3genE3ELNS1_11target_archE908ELNS1_3gpuE7ELNS1_3repE0EEENS1_30default_config_static_selectorELNS0_4arch9wavefront6targetE0EEEvS12_.has_recursion, 0
	.set _ZN7rocprim17ROCPRIM_400000_NS6detail17trampoline_kernelINS0_13select_configILj256ELj13ELNS0_17block_load_methodE3ELS4_3ELS4_3ELNS0_20block_scan_algorithmE0ELj4294967295EEENS1_25partition_config_selectorILNS1_17partition_subalgoE4EjNS0_10empty_typeEbEEZZNS1_14partition_implILS8_4ELb0ES6_15HIP_vector_typeIjLj2EENS0_17counting_iteratorIjlEEPS9_SG_NS0_5tupleIJPjSI_NS0_16reverse_iteratorISI_EEEEENSH_IJSG_SG_SG_EEES9_SI_JZNS1_25segmented_radix_sort_implINS0_14default_configELb1EPKhPhPKlPlN2at6native12_GLOBAL__N_18offset_tEEE10hipError_tPvRmT1_PNSt15iterator_traitsIS12_E10value_typeET2_T3_PNS13_IS18_E10value_typeET4_jRbjT5_S1E_jjP12ihipStream_tbEUljE_ZNSN_ISO_Lb1ESQ_SR_ST_SU_SY_EESZ_S10_S11_S12_S16_S17_S18_S1B_S1C_jS1D_jS1E_S1E_jjS1G_bEUljE0_EEESZ_S10_S11_S18_S1C_S1E_T6_T7_T9_mT8_S1G_bDpT10_ENKUlT_T0_E_clISt17integral_constantIbLb0EES1U_EEDaS1P_S1Q_EUlS1P_E_NS1_11comp_targetILNS1_3genE3ELNS1_11target_archE908ELNS1_3gpuE7ELNS1_3repE0EEENS1_30default_config_static_selectorELNS0_4arch9wavefront6targetE0EEEvS12_.has_indirect_call, 0
	.section	.AMDGPU.csdata,"",@progbits
; Kernel info:
; codeLenInByte = 0
; TotalNumSgprs: 0
; NumVgprs: 0
; ScratchSize: 0
; MemoryBound: 0
; FloatMode: 240
; IeeeMode: 1
; LDSByteSize: 0 bytes/workgroup (compile time only)
; SGPRBlocks: 0
; VGPRBlocks: 0
; NumSGPRsForWavesPerEU: 1
; NumVGPRsForWavesPerEU: 1
; NamedBarCnt: 0
; Occupancy: 16
; WaveLimiterHint : 0
; COMPUTE_PGM_RSRC2:SCRATCH_EN: 0
; COMPUTE_PGM_RSRC2:USER_SGPR: 2
; COMPUTE_PGM_RSRC2:TRAP_HANDLER: 0
; COMPUTE_PGM_RSRC2:TGID_X_EN: 1
; COMPUTE_PGM_RSRC2:TGID_Y_EN: 0
; COMPUTE_PGM_RSRC2:TGID_Z_EN: 0
; COMPUTE_PGM_RSRC2:TIDIG_COMP_CNT: 0
	.section	.text._ZN7rocprim17ROCPRIM_400000_NS6detail17trampoline_kernelINS0_13select_configILj256ELj13ELNS0_17block_load_methodE3ELS4_3ELS4_3ELNS0_20block_scan_algorithmE0ELj4294967295EEENS1_25partition_config_selectorILNS1_17partition_subalgoE4EjNS0_10empty_typeEbEEZZNS1_14partition_implILS8_4ELb0ES6_15HIP_vector_typeIjLj2EENS0_17counting_iteratorIjlEEPS9_SG_NS0_5tupleIJPjSI_NS0_16reverse_iteratorISI_EEEEENSH_IJSG_SG_SG_EEES9_SI_JZNS1_25segmented_radix_sort_implINS0_14default_configELb1EPKhPhPKlPlN2at6native12_GLOBAL__N_18offset_tEEE10hipError_tPvRmT1_PNSt15iterator_traitsIS12_E10value_typeET2_T3_PNS13_IS18_E10value_typeET4_jRbjT5_S1E_jjP12ihipStream_tbEUljE_ZNSN_ISO_Lb1ESQ_SR_ST_SU_SY_EESZ_S10_S11_S12_S16_S17_S18_S1B_S1C_jS1D_jS1E_S1E_jjS1G_bEUljE0_EEESZ_S10_S11_S18_S1C_S1E_T6_T7_T9_mT8_S1G_bDpT10_ENKUlT_T0_E_clISt17integral_constantIbLb0EES1U_EEDaS1P_S1Q_EUlS1P_E_NS1_11comp_targetILNS1_3genE2ELNS1_11target_archE906ELNS1_3gpuE6ELNS1_3repE0EEENS1_30default_config_static_selectorELNS0_4arch9wavefront6targetE0EEEvS12_,"axG",@progbits,_ZN7rocprim17ROCPRIM_400000_NS6detail17trampoline_kernelINS0_13select_configILj256ELj13ELNS0_17block_load_methodE3ELS4_3ELS4_3ELNS0_20block_scan_algorithmE0ELj4294967295EEENS1_25partition_config_selectorILNS1_17partition_subalgoE4EjNS0_10empty_typeEbEEZZNS1_14partition_implILS8_4ELb0ES6_15HIP_vector_typeIjLj2EENS0_17counting_iteratorIjlEEPS9_SG_NS0_5tupleIJPjSI_NS0_16reverse_iteratorISI_EEEEENSH_IJSG_SG_SG_EEES9_SI_JZNS1_25segmented_radix_sort_implINS0_14default_configELb1EPKhPhPKlPlN2at6native12_GLOBAL__N_18offset_tEEE10hipError_tPvRmT1_PNSt15iterator_traitsIS12_E10value_typeET2_T3_PNS13_IS18_E10value_typeET4_jRbjT5_S1E_jjP12ihipStream_tbEUljE_ZNSN_ISO_Lb1ESQ_SR_ST_SU_SY_EESZ_S10_S11_S12_S16_S17_S18_S1B_S1C_jS1D_jS1E_S1E_jjS1G_bEUljE0_EEESZ_S10_S11_S18_S1C_S1E_T6_T7_T9_mT8_S1G_bDpT10_ENKUlT_T0_E_clISt17integral_constantIbLb0EES1U_EEDaS1P_S1Q_EUlS1P_E_NS1_11comp_targetILNS1_3genE2ELNS1_11target_archE906ELNS1_3gpuE6ELNS1_3repE0EEENS1_30default_config_static_selectorELNS0_4arch9wavefront6targetE0EEEvS12_,comdat
	.globl	_ZN7rocprim17ROCPRIM_400000_NS6detail17trampoline_kernelINS0_13select_configILj256ELj13ELNS0_17block_load_methodE3ELS4_3ELS4_3ELNS0_20block_scan_algorithmE0ELj4294967295EEENS1_25partition_config_selectorILNS1_17partition_subalgoE4EjNS0_10empty_typeEbEEZZNS1_14partition_implILS8_4ELb0ES6_15HIP_vector_typeIjLj2EENS0_17counting_iteratorIjlEEPS9_SG_NS0_5tupleIJPjSI_NS0_16reverse_iteratorISI_EEEEENSH_IJSG_SG_SG_EEES9_SI_JZNS1_25segmented_radix_sort_implINS0_14default_configELb1EPKhPhPKlPlN2at6native12_GLOBAL__N_18offset_tEEE10hipError_tPvRmT1_PNSt15iterator_traitsIS12_E10value_typeET2_T3_PNS13_IS18_E10value_typeET4_jRbjT5_S1E_jjP12ihipStream_tbEUljE_ZNSN_ISO_Lb1ESQ_SR_ST_SU_SY_EESZ_S10_S11_S12_S16_S17_S18_S1B_S1C_jS1D_jS1E_S1E_jjS1G_bEUljE0_EEESZ_S10_S11_S18_S1C_S1E_T6_T7_T9_mT8_S1G_bDpT10_ENKUlT_T0_E_clISt17integral_constantIbLb0EES1U_EEDaS1P_S1Q_EUlS1P_E_NS1_11comp_targetILNS1_3genE2ELNS1_11target_archE906ELNS1_3gpuE6ELNS1_3repE0EEENS1_30default_config_static_selectorELNS0_4arch9wavefront6targetE0EEEvS12_ ; -- Begin function _ZN7rocprim17ROCPRIM_400000_NS6detail17trampoline_kernelINS0_13select_configILj256ELj13ELNS0_17block_load_methodE3ELS4_3ELS4_3ELNS0_20block_scan_algorithmE0ELj4294967295EEENS1_25partition_config_selectorILNS1_17partition_subalgoE4EjNS0_10empty_typeEbEEZZNS1_14partition_implILS8_4ELb0ES6_15HIP_vector_typeIjLj2EENS0_17counting_iteratorIjlEEPS9_SG_NS0_5tupleIJPjSI_NS0_16reverse_iteratorISI_EEEEENSH_IJSG_SG_SG_EEES9_SI_JZNS1_25segmented_radix_sort_implINS0_14default_configELb1EPKhPhPKlPlN2at6native12_GLOBAL__N_18offset_tEEE10hipError_tPvRmT1_PNSt15iterator_traitsIS12_E10value_typeET2_T3_PNS13_IS18_E10value_typeET4_jRbjT5_S1E_jjP12ihipStream_tbEUljE_ZNSN_ISO_Lb1ESQ_SR_ST_SU_SY_EESZ_S10_S11_S12_S16_S17_S18_S1B_S1C_jS1D_jS1E_S1E_jjS1G_bEUljE0_EEESZ_S10_S11_S18_S1C_S1E_T6_T7_T9_mT8_S1G_bDpT10_ENKUlT_T0_E_clISt17integral_constantIbLb0EES1U_EEDaS1P_S1Q_EUlS1P_E_NS1_11comp_targetILNS1_3genE2ELNS1_11target_archE906ELNS1_3gpuE6ELNS1_3repE0EEENS1_30default_config_static_selectorELNS0_4arch9wavefront6targetE0EEEvS12_
	.p2align	8
	.type	_ZN7rocprim17ROCPRIM_400000_NS6detail17trampoline_kernelINS0_13select_configILj256ELj13ELNS0_17block_load_methodE3ELS4_3ELS4_3ELNS0_20block_scan_algorithmE0ELj4294967295EEENS1_25partition_config_selectorILNS1_17partition_subalgoE4EjNS0_10empty_typeEbEEZZNS1_14partition_implILS8_4ELb0ES6_15HIP_vector_typeIjLj2EENS0_17counting_iteratorIjlEEPS9_SG_NS0_5tupleIJPjSI_NS0_16reverse_iteratorISI_EEEEENSH_IJSG_SG_SG_EEES9_SI_JZNS1_25segmented_radix_sort_implINS0_14default_configELb1EPKhPhPKlPlN2at6native12_GLOBAL__N_18offset_tEEE10hipError_tPvRmT1_PNSt15iterator_traitsIS12_E10value_typeET2_T3_PNS13_IS18_E10value_typeET4_jRbjT5_S1E_jjP12ihipStream_tbEUljE_ZNSN_ISO_Lb1ESQ_SR_ST_SU_SY_EESZ_S10_S11_S12_S16_S17_S18_S1B_S1C_jS1D_jS1E_S1E_jjS1G_bEUljE0_EEESZ_S10_S11_S18_S1C_S1E_T6_T7_T9_mT8_S1G_bDpT10_ENKUlT_T0_E_clISt17integral_constantIbLb0EES1U_EEDaS1P_S1Q_EUlS1P_E_NS1_11comp_targetILNS1_3genE2ELNS1_11target_archE906ELNS1_3gpuE6ELNS1_3repE0EEENS1_30default_config_static_selectorELNS0_4arch9wavefront6targetE0EEEvS12_,@function
_ZN7rocprim17ROCPRIM_400000_NS6detail17trampoline_kernelINS0_13select_configILj256ELj13ELNS0_17block_load_methodE3ELS4_3ELS4_3ELNS0_20block_scan_algorithmE0ELj4294967295EEENS1_25partition_config_selectorILNS1_17partition_subalgoE4EjNS0_10empty_typeEbEEZZNS1_14partition_implILS8_4ELb0ES6_15HIP_vector_typeIjLj2EENS0_17counting_iteratorIjlEEPS9_SG_NS0_5tupleIJPjSI_NS0_16reverse_iteratorISI_EEEEENSH_IJSG_SG_SG_EEES9_SI_JZNS1_25segmented_radix_sort_implINS0_14default_configELb1EPKhPhPKlPlN2at6native12_GLOBAL__N_18offset_tEEE10hipError_tPvRmT1_PNSt15iterator_traitsIS12_E10value_typeET2_T3_PNS13_IS18_E10value_typeET4_jRbjT5_S1E_jjP12ihipStream_tbEUljE_ZNSN_ISO_Lb1ESQ_SR_ST_SU_SY_EESZ_S10_S11_S12_S16_S17_S18_S1B_S1C_jS1D_jS1E_S1E_jjS1G_bEUljE0_EEESZ_S10_S11_S18_S1C_S1E_T6_T7_T9_mT8_S1G_bDpT10_ENKUlT_T0_E_clISt17integral_constantIbLb0EES1U_EEDaS1P_S1Q_EUlS1P_E_NS1_11comp_targetILNS1_3genE2ELNS1_11target_archE906ELNS1_3gpuE6ELNS1_3repE0EEENS1_30default_config_static_selectorELNS0_4arch9wavefront6targetE0EEEvS12_: ; @_ZN7rocprim17ROCPRIM_400000_NS6detail17trampoline_kernelINS0_13select_configILj256ELj13ELNS0_17block_load_methodE3ELS4_3ELS4_3ELNS0_20block_scan_algorithmE0ELj4294967295EEENS1_25partition_config_selectorILNS1_17partition_subalgoE4EjNS0_10empty_typeEbEEZZNS1_14partition_implILS8_4ELb0ES6_15HIP_vector_typeIjLj2EENS0_17counting_iteratorIjlEEPS9_SG_NS0_5tupleIJPjSI_NS0_16reverse_iteratorISI_EEEEENSH_IJSG_SG_SG_EEES9_SI_JZNS1_25segmented_radix_sort_implINS0_14default_configELb1EPKhPhPKlPlN2at6native12_GLOBAL__N_18offset_tEEE10hipError_tPvRmT1_PNSt15iterator_traitsIS12_E10value_typeET2_T3_PNS13_IS18_E10value_typeET4_jRbjT5_S1E_jjP12ihipStream_tbEUljE_ZNSN_ISO_Lb1ESQ_SR_ST_SU_SY_EESZ_S10_S11_S12_S16_S17_S18_S1B_S1C_jS1D_jS1E_S1E_jjS1G_bEUljE0_EEESZ_S10_S11_S18_S1C_S1E_T6_T7_T9_mT8_S1G_bDpT10_ENKUlT_T0_E_clISt17integral_constantIbLb0EES1U_EEDaS1P_S1Q_EUlS1P_E_NS1_11comp_targetILNS1_3genE2ELNS1_11target_archE906ELNS1_3gpuE6ELNS1_3repE0EEENS1_30default_config_static_selectorELNS0_4arch9wavefront6targetE0EEEvS12_
; %bb.0:
	.section	.rodata,"a",@progbits
	.p2align	6, 0x0
	.amdhsa_kernel _ZN7rocprim17ROCPRIM_400000_NS6detail17trampoline_kernelINS0_13select_configILj256ELj13ELNS0_17block_load_methodE3ELS4_3ELS4_3ELNS0_20block_scan_algorithmE0ELj4294967295EEENS1_25partition_config_selectorILNS1_17partition_subalgoE4EjNS0_10empty_typeEbEEZZNS1_14partition_implILS8_4ELb0ES6_15HIP_vector_typeIjLj2EENS0_17counting_iteratorIjlEEPS9_SG_NS0_5tupleIJPjSI_NS0_16reverse_iteratorISI_EEEEENSH_IJSG_SG_SG_EEES9_SI_JZNS1_25segmented_radix_sort_implINS0_14default_configELb1EPKhPhPKlPlN2at6native12_GLOBAL__N_18offset_tEEE10hipError_tPvRmT1_PNSt15iterator_traitsIS12_E10value_typeET2_T3_PNS13_IS18_E10value_typeET4_jRbjT5_S1E_jjP12ihipStream_tbEUljE_ZNSN_ISO_Lb1ESQ_SR_ST_SU_SY_EESZ_S10_S11_S12_S16_S17_S18_S1B_S1C_jS1D_jS1E_S1E_jjS1G_bEUljE0_EEESZ_S10_S11_S18_S1C_S1E_T6_T7_T9_mT8_S1G_bDpT10_ENKUlT_T0_E_clISt17integral_constantIbLb0EES1U_EEDaS1P_S1Q_EUlS1P_E_NS1_11comp_targetILNS1_3genE2ELNS1_11target_archE906ELNS1_3gpuE6ELNS1_3repE0EEENS1_30default_config_static_selectorELNS0_4arch9wavefront6targetE0EEEvS12_
		.amdhsa_group_segment_fixed_size 0
		.amdhsa_private_segment_fixed_size 0
		.amdhsa_kernarg_size 176
		.amdhsa_user_sgpr_count 2
		.amdhsa_user_sgpr_dispatch_ptr 0
		.amdhsa_user_sgpr_queue_ptr 0
		.amdhsa_user_sgpr_kernarg_segment_ptr 1
		.amdhsa_user_sgpr_dispatch_id 0
		.amdhsa_user_sgpr_kernarg_preload_length 0
		.amdhsa_user_sgpr_kernarg_preload_offset 0
		.amdhsa_user_sgpr_private_segment_size 0
		.amdhsa_wavefront_size32 1
		.amdhsa_uses_dynamic_stack 0
		.amdhsa_enable_private_segment 0
		.amdhsa_system_sgpr_workgroup_id_x 1
		.amdhsa_system_sgpr_workgroup_id_y 0
		.amdhsa_system_sgpr_workgroup_id_z 0
		.amdhsa_system_sgpr_workgroup_info 0
		.amdhsa_system_vgpr_workitem_id 0
		.amdhsa_next_free_vgpr 1
		.amdhsa_next_free_sgpr 1
		.amdhsa_named_barrier_count 0
		.amdhsa_reserve_vcc 0
		.amdhsa_float_round_mode_32 0
		.amdhsa_float_round_mode_16_64 0
		.amdhsa_float_denorm_mode_32 3
		.amdhsa_float_denorm_mode_16_64 3
		.amdhsa_fp16_overflow 0
		.amdhsa_memory_ordered 1
		.amdhsa_forward_progress 1
		.amdhsa_inst_pref_size 0
		.amdhsa_round_robin_scheduling 0
		.amdhsa_exception_fp_ieee_invalid_op 0
		.amdhsa_exception_fp_denorm_src 0
		.amdhsa_exception_fp_ieee_div_zero 0
		.amdhsa_exception_fp_ieee_overflow 0
		.amdhsa_exception_fp_ieee_underflow 0
		.amdhsa_exception_fp_ieee_inexact 0
		.amdhsa_exception_int_div_zero 0
	.end_amdhsa_kernel
	.section	.text._ZN7rocprim17ROCPRIM_400000_NS6detail17trampoline_kernelINS0_13select_configILj256ELj13ELNS0_17block_load_methodE3ELS4_3ELS4_3ELNS0_20block_scan_algorithmE0ELj4294967295EEENS1_25partition_config_selectorILNS1_17partition_subalgoE4EjNS0_10empty_typeEbEEZZNS1_14partition_implILS8_4ELb0ES6_15HIP_vector_typeIjLj2EENS0_17counting_iteratorIjlEEPS9_SG_NS0_5tupleIJPjSI_NS0_16reverse_iteratorISI_EEEEENSH_IJSG_SG_SG_EEES9_SI_JZNS1_25segmented_radix_sort_implINS0_14default_configELb1EPKhPhPKlPlN2at6native12_GLOBAL__N_18offset_tEEE10hipError_tPvRmT1_PNSt15iterator_traitsIS12_E10value_typeET2_T3_PNS13_IS18_E10value_typeET4_jRbjT5_S1E_jjP12ihipStream_tbEUljE_ZNSN_ISO_Lb1ESQ_SR_ST_SU_SY_EESZ_S10_S11_S12_S16_S17_S18_S1B_S1C_jS1D_jS1E_S1E_jjS1G_bEUljE0_EEESZ_S10_S11_S18_S1C_S1E_T6_T7_T9_mT8_S1G_bDpT10_ENKUlT_T0_E_clISt17integral_constantIbLb0EES1U_EEDaS1P_S1Q_EUlS1P_E_NS1_11comp_targetILNS1_3genE2ELNS1_11target_archE906ELNS1_3gpuE6ELNS1_3repE0EEENS1_30default_config_static_selectorELNS0_4arch9wavefront6targetE0EEEvS12_,"axG",@progbits,_ZN7rocprim17ROCPRIM_400000_NS6detail17trampoline_kernelINS0_13select_configILj256ELj13ELNS0_17block_load_methodE3ELS4_3ELS4_3ELNS0_20block_scan_algorithmE0ELj4294967295EEENS1_25partition_config_selectorILNS1_17partition_subalgoE4EjNS0_10empty_typeEbEEZZNS1_14partition_implILS8_4ELb0ES6_15HIP_vector_typeIjLj2EENS0_17counting_iteratorIjlEEPS9_SG_NS0_5tupleIJPjSI_NS0_16reverse_iteratorISI_EEEEENSH_IJSG_SG_SG_EEES9_SI_JZNS1_25segmented_radix_sort_implINS0_14default_configELb1EPKhPhPKlPlN2at6native12_GLOBAL__N_18offset_tEEE10hipError_tPvRmT1_PNSt15iterator_traitsIS12_E10value_typeET2_T3_PNS13_IS18_E10value_typeET4_jRbjT5_S1E_jjP12ihipStream_tbEUljE_ZNSN_ISO_Lb1ESQ_SR_ST_SU_SY_EESZ_S10_S11_S12_S16_S17_S18_S1B_S1C_jS1D_jS1E_S1E_jjS1G_bEUljE0_EEESZ_S10_S11_S18_S1C_S1E_T6_T7_T9_mT8_S1G_bDpT10_ENKUlT_T0_E_clISt17integral_constantIbLb0EES1U_EEDaS1P_S1Q_EUlS1P_E_NS1_11comp_targetILNS1_3genE2ELNS1_11target_archE906ELNS1_3gpuE6ELNS1_3repE0EEENS1_30default_config_static_selectorELNS0_4arch9wavefront6targetE0EEEvS12_,comdat
.Lfunc_end8:
	.size	_ZN7rocprim17ROCPRIM_400000_NS6detail17trampoline_kernelINS0_13select_configILj256ELj13ELNS0_17block_load_methodE3ELS4_3ELS4_3ELNS0_20block_scan_algorithmE0ELj4294967295EEENS1_25partition_config_selectorILNS1_17partition_subalgoE4EjNS0_10empty_typeEbEEZZNS1_14partition_implILS8_4ELb0ES6_15HIP_vector_typeIjLj2EENS0_17counting_iteratorIjlEEPS9_SG_NS0_5tupleIJPjSI_NS0_16reverse_iteratorISI_EEEEENSH_IJSG_SG_SG_EEES9_SI_JZNS1_25segmented_radix_sort_implINS0_14default_configELb1EPKhPhPKlPlN2at6native12_GLOBAL__N_18offset_tEEE10hipError_tPvRmT1_PNSt15iterator_traitsIS12_E10value_typeET2_T3_PNS13_IS18_E10value_typeET4_jRbjT5_S1E_jjP12ihipStream_tbEUljE_ZNSN_ISO_Lb1ESQ_SR_ST_SU_SY_EESZ_S10_S11_S12_S16_S17_S18_S1B_S1C_jS1D_jS1E_S1E_jjS1G_bEUljE0_EEESZ_S10_S11_S18_S1C_S1E_T6_T7_T9_mT8_S1G_bDpT10_ENKUlT_T0_E_clISt17integral_constantIbLb0EES1U_EEDaS1P_S1Q_EUlS1P_E_NS1_11comp_targetILNS1_3genE2ELNS1_11target_archE906ELNS1_3gpuE6ELNS1_3repE0EEENS1_30default_config_static_selectorELNS0_4arch9wavefront6targetE0EEEvS12_, .Lfunc_end8-_ZN7rocprim17ROCPRIM_400000_NS6detail17trampoline_kernelINS0_13select_configILj256ELj13ELNS0_17block_load_methodE3ELS4_3ELS4_3ELNS0_20block_scan_algorithmE0ELj4294967295EEENS1_25partition_config_selectorILNS1_17partition_subalgoE4EjNS0_10empty_typeEbEEZZNS1_14partition_implILS8_4ELb0ES6_15HIP_vector_typeIjLj2EENS0_17counting_iteratorIjlEEPS9_SG_NS0_5tupleIJPjSI_NS0_16reverse_iteratorISI_EEEEENSH_IJSG_SG_SG_EEES9_SI_JZNS1_25segmented_radix_sort_implINS0_14default_configELb1EPKhPhPKlPlN2at6native12_GLOBAL__N_18offset_tEEE10hipError_tPvRmT1_PNSt15iterator_traitsIS12_E10value_typeET2_T3_PNS13_IS18_E10value_typeET4_jRbjT5_S1E_jjP12ihipStream_tbEUljE_ZNSN_ISO_Lb1ESQ_SR_ST_SU_SY_EESZ_S10_S11_S12_S16_S17_S18_S1B_S1C_jS1D_jS1E_S1E_jjS1G_bEUljE0_EEESZ_S10_S11_S18_S1C_S1E_T6_T7_T9_mT8_S1G_bDpT10_ENKUlT_T0_E_clISt17integral_constantIbLb0EES1U_EEDaS1P_S1Q_EUlS1P_E_NS1_11comp_targetILNS1_3genE2ELNS1_11target_archE906ELNS1_3gpuE6ELNS1_3repE0EEENS1_30default_config_static_selectorELNS0_4arch9wavefront6targetE0EEEvS12_
                                        ; -- End function
	.set _ZN7rocprim17ROCPRIM_400000_NS6detail17trampoline_kernelINS0_13select_configILj256ELj13ELNS0_17block_load_methodE3ELS4_3ELS4_3ELNS0_20block_scan_algorithmE0ELj4294967295EEENS1_25partition_config_selectorILNS1_17partition_subalgoE4EjNS0_10empty_typeEbEEZZNS1_14partition_implILS8_4ELb0ES6_15HIP_vector_typeIjLj2EENS0_17counting_iteratorIjlEEPS9_SG_NS0_5tupleIJPjSI_NS0_16reverse_iteratorISI_EEEEENSH_IJSG_SG_SG_EEES9_SI_JZNS1_25segmented_radix_sort_implINS0_14default_configELb1EPKhPhPKlPlN2at6native12_GLOBAL__N_18offset_tEEE10hipError_tPvRmT1_PNSt15iterator_traitsIS12_E10value_typeET2_T3_PNS13_IS18_E10value_typeET4_jRbjT5_S1E_jjP12ihipStream_tbEUljE_ZNSN_ISO_Lb1ESQ_SR_ST_SU_SY_EESZ_S10_S11_S12_S16_S17_S18_S1B_S1C_jS1D_jS1E_S1E_jjS1G_bEUljE0_EEESZ_S10_S11_S18_S1C_S1E_T6_T7_T9_mT8_S1G_bDpT10_ENKUlT_T0_E_clISt17integral_constantIbLb0EES1U_EEDaS1P_S1Q_EUlS1P_E_NS1_11comp_targetILNS1_3genE2ELNS1_11target_archE906ELNS1_3gpuE6ELNS1_3repE0EEENS1_30default_config_static_selectorELNS0_4arch9wavefront6targetE0EEEvS12_.num_vgpr, 0
	.set _ZN7rocprim17ROCPRIM_400000_NS6detail17trampoline_kernelINS0_13select_configILj256ELj13ELNS0_17block_load_methodE3ELS4_3ELS4_3ELNS0_20block_scan_algorithmE0ELj4294967295EEENS1_25partition_config_selectorILNS1_17partition_subalgoE4EjNS0_10empty_typeEbEEZZNS1_14partition_implILS8_4ELb0ES6_15HIP_vector_typeIjLj2EENS0_17counting_iteratorIjlEEPS9_SG_NS0_5tupleIJPjSI_NS0_16reverse_iteratorISI_EEEEENSH_IJSG_SG_SG_EEES9_SI_JZNS1_25segmented_radix_sort_implINS0_14default_configELb1EPKhPhPKlPlN2at6native12_GLOBAL__N_18offset_tEEE10hipError_tPvRmT1_PNSt15iterator_traitsIS12_E10value_typeET2_T3_PNS13_IS18_E10value_typeET4_jRbjT5_S1E_jjP12ihipStream_tbEUljE_ZNSN_ISO_Lb1ESQ_SR_ST_SU_SY_EESZ_S10_S11_S12_S16_S17_S18_S1B_S1C_jS1D_jS1E_S1E_jjS1G_bEUljE0_EEESZ_S10_S11_S18_S1C_S1E_T6_T7_T9_mT8_S1G_bDpT10_ENKUlT_T0_E_clISt17integral_constantIbLb0EES1U_EEDaS1P_S1Q_EUlS1P_E_NS1_11comp_targetILNS1_3genE2ELNS1_11target_archE906ELNS1_3gpuE6ELNS1_3repE0EEENS1_30default_config_static_selectorELNS0_4arch9wavefront6targetE0EEEvS12_.num_agpr, 0
	.set _ZN7rocprim17ROCPRIM_400000_NS6detail17trampoline_kernelINS0_13select_configILj256ELj13ELNS0_17block_load_methodE3ELS4_3ELS4_3ELNS0_20block_scan_algorithmE0ELj4294967295EEENS1_25partition_config_selectorILNS1_17partition_subalgoE4EjNS0_10empty_typeEbEEZZNS1_14partition_implILS8_4ELb0ES6_15HIP_vector_typeIjLj2EENS0_17counting_iteratorIjlEEPS9_SG_NS0_5tupleIJPjSI_NS0_16reverse_iteratorISI_EEEEENSH_IJSG_SG_SG_EEES9_SI_JZNS1_25segmented_radix_sort_implINS0_14default_configELb1EPKhPhPKlPlN2at6native12_GLOBAL__N_18offset_tEEE10hipError_tPvRmT1_PNSt15iterator_traitsIS12_E10value_typeET2_T3_PNS13_IS18_E10value_typeET4_jRbjT5_S1E_jjP12ihipStream_tbEUljE_ZNSN_ISO_Lb1ESQ_SR_ST_SU_SY_EESZ_S10_S11_S12_S16_S17_S18_S1B_S1C_jS1D_jS1E_S1E_jjS1G_bEUljE0_EEESZ_S10_S11_S18_S1C_S1E_T6_T7_T9_mT8_S1G_bDpT10_ENKUlT_T0_E_clISt17integral_constantIbLb0EES1U_EEDaS1P_S1Q_EUlS1P_E_NS1_11comp_targetILNS1_3genE2ELNS1_11target_archE906ELNS1_3gpuE6ELNS1_3repE0EEENS1_30default_config_static_selectorELNS0_4arch9wavefront6targetE0EEEvS12_.numbered_sgpr, 0
	.set _ZN7rocprim17ROCPRIM_400000_NS6detail17trampoline_kernelINS0_13select_configILj256ELj13ELNS0_17block_load_methodE3ELS4_3ELS4_3ELNS0_20block_scan_algorithmE0ELj4294967295EEENS1_25partition_config_selectorILNS1_17partition_subalgoE4EjNS0_10empty_typeEbEEZZNS1_14partition_implILS8_4ELb0ES6_15HIP_vector_typeIjLj2EENS0_17counting_iteratorIjlEEPS9_SG_NS0_5tupleIJPjSI_NS0_16reverse_iteratorISI_EEEEENSH_IJSG_SG_SG_EEES9_SI_JZNS1_25segmented_radix_sort_implINS0_14default_configELb1EPKhPhPKlPlN2at6native12_GLOBAL__N_18offset_tEEE10hipError_tPvRmT1_PNSt15iterator_traitsIS12_E10value_typeET2_T3_PNS13_IS18_E10value_typeET4_jRbjT5_S1E_jjP12ihipStream_tbEUljE_ZNSN_ISO_Lb1ESQ_SR_ST_SU_SY_EESZ_S10_S11_S12_S16_S17_S18_S1B_S1C_jS1D_jS1E_S1E_jjS1G_bEUljE0_EEESZ_S10_S11_S18_S1C_S1E_T6_T7_T9_mT8_S1G_bDpT10_ENKUlT_T0_E_clISt17integral_constantIbLb0EES1U_EEDaS1P_S1Q_EUlS1P_E_NS1_11comp_targetILNS1_3genE2ELNS1_11target_archE906ELNS1_3gpuE6ELNS1_3repE0EEENS1_30default_config_static_selectorELNS0_4arch9wavefront6targetE0EEEvS12_.num_named_barrier, 0
	.set _ZN7rocprim17ROCPRIM_400000_NS6detail17trampoline_kernelINS0_13select_configILj256ELj13ELNS0_17block_load_methodE3ELS4_3ELS4_3ELNS0_20block_scan_algorithmE0ELj4294967295EEENS1_25partition_config_selectorILNS1_17partition_subalgoE4EjNS0_10empty_typeEbEEZZNS1_14partition_implILS8_4ELb0ES6_15HIP_vector_typeIjLj2EENS0_17counting_iteratorIjlEEPS9_SG_NS0_5tupleIJPjSI_NS0_16reverse_iteratorISI_EEEEENSH_IJSG_SG_SG_EEES9_SI_JZNS1_25segmented_radix_sort_implINS0_14default_configELb1EPKhPhPKlPlN2at6native12_GLOBAL__N_18offset_tEEE10hipError_tPvRmT1_PNSt15iterator_traitsIS12_E10value_typeET2_T3_PNS13_IS18_E10value_typeET4_jRbjT5_S1E_jjP12ihipStream_tbEUljE_ZNSN_ISO_Lb1ESQ_SR_ST_SU_SY_EESZ_S10_S11_S12_S16_S17_S18_S1B_S1C_jS1D_jS1E_S1E_jjS1G_bEUljE0_EEESZ_S10_S11_S18_S1C_S1E_T6_T7_T9_mT8_S1G_bDpT10_ENKUlT_T0_E_clISt17integral_constantIbLb0EES1U_EEDaS1P_S1Q_EUlS1P_E_NS1_11comp_targetILNS1_3genE2ELNS1_11target_archE906ELNS1_3gpuE6ELNS1_3repE0EEENS1_30default_config_static_selectorELNS0_4arch9wavefront6targetE0EEEvS12_.private_seg_size, 0
	.set _ZN7rocprim17ROCPRIM_400000_NS6detail17trampoline_kernelINS0_13select_configILj256ELj13ELNS0_17block_load_methodE3ELS4_3ELS4_3ELNS0_20block_scan_algorithmE0ELj4294967295EEENS1_25partition_config_selectorILNS1_17partition_subalgoE4EjNS0_10empty_typeEbEEZZNS1_14partition_implILS8_4ELb0ES6_15HIP_vector_typeIjLj2EENS0_17counting_iteratorIjlEEPS9_SG_NS0_5tupleIJPjSI_NS0_16reverse_iteratorISI_EEEEENSH_IJSG_SG_SG_EEES9_SI_JZNS1_25segmented_radix_sort_implINS0_14default_configELb1EPKhPhPKlPlN2at6native12_GLOBAL__N_18offset_tEEE10hipError_tPvRmT1_PNSt15iterator_traitsIS12_E10value_typeET2_T3_PNS13_IS18_E10value_typeET4_jRbjT5_S1E_jjP12ihipStream_tbEUljE_ZNSN_ISO_Lb1ESQ_SR_ST_SU_SY_EESZ_S10_S11_S12_S16_S17_S18_S1B_S1C_jS1D_jS1E_S1E_jjS1G_bEUljE0_EEESZ_S10_S11_S18_S1C_S1E_T6_T7_T9_mT8_S1G_bDpT10_ENKUlT_T0_E_clISt17integral_constantIbLb0EES1U_EEDaS1P_S1Q_EUlS1P_E_NS1_11comp_targetILNS1_3genE2ELNS1_11target_archE906ELNS1_3gpuE6ELNS1_3repE0EEENS1_30default_config_static_selectorELNS0_4arch9wavefront6targetE0EEEvS12_.uses_vcc, 0
	.set _ZN7rocprim17ROCPRIM_400000_NS6detail17trampoline_kernelINS0_13select_configILj256ELj13ELNS0_17block_load_methodE3ELS4_3ELS4_3ELNS0_20block_scan_algorithmE0ELj4294967295EEENS1_25partition_config_selectorILNS1_17partition_subalgoE4EjNS0_10empty_typeEbEEZZNS1_14partition_implILS8_4ELb0ES6_15HIP_vector_typeIjLj2EENS0_17counting_iteratorIjlEEPS9_SG_NS0_5tupleIJPjSI_NS0_16reverse_iteratorISI_EEEEENSH_IJSG_SG_SG_EEES9_SI_JZNS1_25segmented_radix_sort_implINS0_14default_configELb1EPKhPhPKlPlN2at6native12_GLOBAL__N_18offset_tEEE10hipError_tPvRmT1_PNSt15iterator_traitsIS12_E10value_typeET2_T3_PNS13_IS18_E10value_typeET4_jRbjT5_S1E_jjP12ihipStream_tbEUljE_ZNSN_ISO_Lb1ESQ_SR_ST_SU_SY_EESZ_S10_S11_S12_S16_S17_S18_S1B_S1C_jS1D_jS1E_S1E_jjS1G_bEUljE0_EEESZ_S10_S11_S18_S1C_S1E_T6_T7_T9_mT8_S1G_bDpT10_ENKUlT_T0_E_clISt17integral_constantIbLb0EES1U_EEDaS1P_S1Q_EUlS1P_E_NS1_11comp_targetILNS1_3genE2ELNS1_11target_archE906ELNS1_3gpuE6ELNS1_3repE0EEENS1_30default_config_static_selectorELNS0_4arch9wavefront6targetE0EEEvS12_.uses_flat_scratch, 0
	.set _ZN7rocprim17ROCPRIM_400000_NS6detail17trampoline_kernelINS0_13select_configILj256ELj13ELNS0_17block_load_methodE3ELS4_3ELS4_3ELNS0_20block_scan_algorithmE0ELj4294967295EEENS1_25partition_config_selectorILNS1_17partition_subalgoE4EjNS0_10empty_typeEbEEZZNS1_14partition_implILS8_4ELb0ES6_15HIP_vector_typeIjLj2EENS0_17counting_iteratorIjlEEPS9_SG_NS0_5tupleIJPjSI_NS0_16reverse_iteratorISI_EEEEENSH_IJSG_SG_SG_EEES9_SI_JZNS1_25segmented_radix_sort_implINS0_14default_configELb1EPKhPhPKlPlN2at6native12_GLOBAL__N_18offset_tEEE10hipError_tPvRmT1_PNSt15iterator_traitsIS12_E10value_typeET2_T3_PNS13_IS18_E10value_typeET4_jRbjT5_S1E_jjP12ihipStream_tbEUljE_ZNSN_ISO_Lb1ESQ_SR_ST_SU_SY_EESZ_S10_S11_S12_S16_S17_S18_S1B_S1C_jS1D_jS1E_S1E_jjS1G_bEUljE0_EEESZ_S10_S11_S18_S1C_S1E_T6_T7_T9_mT8_S1G_bDpT10_ENKUlT_T0_E_clISt17integral_constantIbLb0EES1U_EEDaS1P_S1Q_EUlS1P_E_NS1_11comp_targetILNS1_3genE2ELNS1_11target_archE906ELNS1_3gpuE6ELNS1_3repE0EEENS1_30default_config_static_selectorELNS0_4arch9wavefront6targetE0EEEvS12_.has_dyn_sized_stack, 0
	.set _ZN7rocprim17ROCPRIM_400000_NS6detail17trampoline_kernelINS0_13select_configILj256ELj13ELNS0_17block_load_methodE3ELS4_3ELS4_3ELNS0_20block_scan_algorithmE0ELj4294967295EEENS1_25partition_config_selectorILNS1_17partition_subalgoE4EjNS0_10empty_typeEbEEZZNS1_14partition_implILS8_4ELb0ES6_15HIP_vector_typeIjLj2EENS0_17counting_iteratorIjlEEPS9_SG_NS0_5tupleIJPjSI_NS0_16reverse_iteratorISI_EEEEENSH_IJSG_SG_SG_EEES9_SI_JZNS1_25segmented_radix_sort_implINS0_14default_configELb1EPKhPhPKlPlN2at6native12_GLOBAL__N_18offset_tEEE10hipError_tPvRmT1_PNSt15iterator_traitsIS12_E10value_typeET2_T3_PNS13_IS18_E10value_typeET4_jRbjT5_S1E_jjP12ihipStream_tbEUljE_ZNSN_ISO_Lb1ESQ_SR_ST_SU_SY_EESZ_S10_S11_S12_S16_S17_S18_S1B_S1C_jS1D_jS1E_S1E_jjS1G_bEUljE0_EEESZ_S10_S11_S18_S1C_S1E_T6_T7_T9_mT8_S1G_bDpT10_ENKUlT_T0_E_clISt17integral_constantIbLb0EES1U_EEDaS1P_S1Q_EUlS1P_E_NS1_11comp_targetILNS1_3genE2ELNS1_11target_archE906ELNS1_3gpuE6ELNS1_3repE0EEENS1_30default_config_static_selectorELNS0_4arch9wavefront6targetE0EEEvS12_.has_recursion, 0
	.set _ZN7rocprim17ROCPRIM_400000_NS6detail17trampoline_kernelINS0_13select_configILj256ELj13ELNS0_17block_load_methodE3ELS4_3ELS4_3ELNS0_20block_scan_algorithmE0ELj4294967295EEENS1_25partition_config_selectorILNS1_17partition_subalgoE4EjNS0_10empty_typeEbEEZZNS1_14partition_implILS8_4ELb0ES6_15HIP_vector_typeIjLj2EENS0_17counting_iteratorIjlEEPS9_SG_NS0_5tupleIJPjSI_NS0_16reverse_iteratorISI_EEEEENSH_IJSG_SG_SG_EEES9_SI_JZNS1_25segmented_radix_sort_implINS0_14default_configELb1EPKhPhPKlPlN2at6native12_GLOBAL__N_18offset_tEEE10hipError_tPvRmT1_PNSt15iterator_traitsIS12_E10value_typeET2_T3_PNS13_IS18_E10value_typeET4_jRbjT5_S1E_jjP12ihipStream_tbEUljE_ZNSN_ISO_Lb1ESQ_SR_ST_SU_SY_EESZ_S10_S11_S12_S16_S17_S18_S1B_S1C_jS1D_jS1E_S1E_jjS1G_bEUljE0_EEESZ_S10_S11_S18_S1C_S1E_T6_T7_T9_mT8_S1G_bDpT10_ENKUlT_T0_E_clISt17integral_constantIbLb0EES1U_EEDaS1P_S1Q_EUlS1P_E_NS1_11comp_targetILNS1_3genE2ELNS1_11target_archE906ELNS1_3gpuE6ELNS1_3repE0EEENS1_30default_config_static_selectorELNS0_4arch9wavefront6targetE0EEEvS12_.has_indirect_call, 0
	.section	.AMDGPU.csdata,"",@progbits
; Kernel info:
; codeLenInByte = 0
; TotalNumSgprs: 0
; NumVgprs: 0
; ScratchSize: 0
; MemoryBound: 0
; FloatMode: 240
; IeeeMode: 1
; LDSByteSize: 0 bytes/workgroup (compile time only)
; SGPRBlocks: 0
; VGPRBlocks: 0
; NumSGPRsForWavesPerEU: 1
; NumVGPRsForWavesPerEU: 1
; NamedBarCnt: 0
; Occupancy: 16
; WaveLimiterHint : 0
; COMPUTE_PGM_RSRC2:SCRATCH_EN: 0
; COMPUTE_PGM_RSRC2:USER_SGPR: 2
; COMPUTE_PGM_RSRC2:TRAP_HANDLER: 0
; COMPUTE_PGM_RSRC2:TGID_X_EN: 1
; COMPUTE_PGM_RSRC2:TGID_Y_EN: 0
; COMPUTE_PGM_RSRC2:TGID_Z_EN: 0
; COMPUTE_PGM_RSRC2:TIDIG_COMP_CNT: 0
	.section	.text._ZN7rocprim17ROCPRIM_400000_NS6detail17trampoline_kernelINS0_13select_configILj256ELj13ELNS0_17block_load_methodE3ELS4_3ELS4_3ELNS0_20block_scan_algorithmE0ELj4294967295EEENS1_25partition_config_selectorILNS1_17partition_subalgoE4EjNS0_10empty_typeEbEEZZNS1_14partition_implILS8_4ELb0ES6_15HIP_vector_typeIjLj2EENS0_17counting_iteratorIjlEEPS9_SG_NS0_5tupleIJPjSI_NS0_16reverse_iteratorISI_EEEEENSH_IJSG_SG_SG_EEES9_SI_JZNS1_25segmented_radix_sort_implINS0_14default_configELb1EPKhPhPKlPlN2at6native12_GLOBAL__N_18offset_tEEE10hipError_tPvRmT1_PNSt15iterator_traitsIS12_E10value_typeET2_T3_PNS13_IS18_E10value_typeET4_jRbjT5_S1E_jjP12ihipStream_tbEUljE_ZNSN_ISO_Lb1ESQ_SR_ST_SU_SY_EESZ_S10_S11_S12_S16_S17_S18_S1B_S1C_jS1D_jS1E_S1E_jjS1G_bEUljE0_EEESZ_S10_S11_S18_S1C_S1E_T6_T7_T9_mT8_S1G_bDpT10_ENKUlT_T0_E_clISt17integral_constantIbLb0EES1U_EEDaS1P_S1Q_EUlS1P_E_NS1_11comp_targetILNS1_3genE10ELNS1_11target_archE1200ELNS1_3gpuE4ELNS1_3repE0EEENS1_30default_config_static_selectorELNS0_4arch9wavefront6targetE0EEEvS12_,"axG",@progbits,_ZN7rocprim17ROCPRIM_400000_NS6detail17trampoline_kernelINS0_13select_configILj256ELj13ELNS0_17block_load_methodE3ELS4_3ELS4_3ELNS0_20block_scan_algorithmE0ELj4294967295EEENS1_25partition_config_selectorILNS1_17partition_subalgoE4EjNS0_10empty_typeEbEEZZNS1_14partition_implILS8_4ELb0ES6_15HIP_vector_typeIjLj2EENS0_17counting_iteratorIjlEEPS9_SG_NS0_5tupleIJPjSI_NS0_16reverse_iteratorISI_EEEEENSH_IJSG_SG_SG_EEES9_SI_JZNS1_25segmented_radix_sort_implINS0_14default_configELb1EPKhPhPKlPlN2at6native12_GLOBAL__N_18offset_tEEE10hipError_tPvRmT1_PNSt15iterator_traitsIS12_E10value_typeET2_T3_PNS13_IS18_E10value_typeET4_jRbjT5_S1E_jjP12ihipStream_tbEUljE_ZNSN_ISO_Lb1ESQ_SR_ST_SU_SY_EESZ_S10_S11_S12_S16_S17_S18_S1B_S1C_jS1D_jS1E_S1E_jjS1G_bEUljE0_EEESZ_S10_S11_S18_S1C_S1E_T6_T7_T9_mT8_S1G_bDpT10_ENKUlT_T0_E_clISt17integral_constantIbLb0EES1U_EEDaS1P_S1Q_EUlS1P_E_NS1_11comp_targetILNS1_3genE10ELNS1_11target_archE1200ELNS1_3gpuE4ELNS1_3repE0EEENS1_30default_config_static_selectorELNS0_4arch9wavefront6targetE0EEEvS12_,comdat
	.globl	_ZN7rocprim17ROCPRIM_400000_NS6detail17trampoline_kernelINS0_13select_configILj256ELj13ELNS0_17block_load_methodE3ELS4_3ELS4_3ELNS0_20block_scan_algorithmE0ELj4294967295EEENS1_25partition_config_selectorILNS1_17partition_subalgoE4EjNS0_10empty_typeEbEEZZNS1_14partition_implILS8_4ELb0ES6_15HIP_vector_typeIjLj2EENS0_17counting_iteratorIjlEEPS9_SG_NS0_5tupleIJPjSI_NS0_16reverse_iteratorISI_EEEEENSH_IJSG_SG_SG_EEES9_SI_JZNS1_25segmented_radix_sort_implINS0_14default_configELb1EPKhPhPKlPlN2at6native12_GLOBAL__N_18offset_tEEE10hipError_tPvRmT1_PNSt15iterator_traitsIS12_E10value_typeET2_T3_PNS13_IS18_E10value_typeET4_jRbjT5_S1E_jjP12ihipStream_tbEUljE_ZNSN_ISO_Lb1ESQ_SR_ST_SU_SY_EESZ_S10_S11_S12_S16_S17_S18_S1B_S1C_jS1D_jS1E_S1E_jjS1G_bEUljE0_EEESZ_S10_S11_S18_S1C_S1E_T6_T7_T9_mT8_S1G_bDpT10_ENKUlT_T0_E_clISt17integral_constantIbLb0EES1U_EEDaS1P_S1Q_EUlS1P_E_NS1_11comp_targetILNS1_3genE10ELNS1_11target_archE1200ELNS1_3gpuE4ELNS1_3repE0EEENS1_30default_config_static_selectorELNS0_4arch9wavefront6targetE0EEEvS12_ ; -- Begin function _ZN7rocprim17ROCPRIM_400000_NS6detail17trampoline_kernelINS0_13select_configILj256ELj13ELNS0_17block_load_methodE3ELS4_3ELS4_3ELNS0_20block_scan_algorithmE0ELj4294967295EEENS1_25partition_config_selectorILNS1_17partition_subalgoE4EjNS0_10empty_typeEbEEZZNS1_14partition_implILS8_4ELb0ES6_15HIP_vector_typeIjLj2EENS0_17counting_iteratorIjlEEPS9_SG_NS0_5tupleIJPjSI_NS0_16reverse_iteratorISI_EEEEENSH_IJSG_SG_SG_EEES9_SI_JZNS1_25segmented_radix_sort_implINS0_14default_configELb1EPKhPhPKlPlN2at6native12_GLOBAL__N_18offset_tEEE10hipError_tPvRmT1_PNSt15iterator_traitsIS12_E10value_typeET2_T3_PNS13_IS18_E10value_typeET4_jRbjT5_S1E_jjP12ihipStream_tbEUljE_ZNSN_ISO_Lb1ESQ_SR_ST_SU_SY_EESZ_S10_S11_S12_S16_S17_S18_S1B_S1C_jS1D_jS1E_S1E_jjS1G_bEUljE0_EEESZ_S10_S11_S18_S1C_S1E_T6_T7_T9_mT8_S1G_bDpT10_ENKUlT_T0_E_clISt17integral_constantIbLb0EES1U_EEDaS1P_S1Q_EUlS1P_E_NS1_11comp_targetILNS1_3genE10ELNS1_11target_archE1200ELNS1_3gpuE4ELNS1_3repE0EEENS1_30default_config_static_selectorELNS0_4arch9wavefront6targetE0EEEvS12_
	.p2align	8
	.type	_ZN7rocprim17ROCPRIM_400000_NS6detail17trampoline_kernelINS0_13select_configILj256ELj13ELNS0_17block_load_methodE3ELS4_3ELS4_3ELNS0_20block_scan_algorithmE0ELj4294967295EEENS1_25partition_config_selectorILNS1_17partition_subalgoE4EjNS0_10empty_typeEbEEZZNS1_14partition_implILS8_4ELb0ES6_15HIP_vector_typeIjLj2EENS0_17counting_iteratorIjlEEPS9_SG_NS0_5tupleIJPjSI_NS0_16reverse_iteratorISI_EEEEENSH_IJSG_SG_SG_EEES9_SI_JZNS1_25segmented_radix_sort_implINS0_14default_configELb1EPKhPhPKlPlN2at6native12_GLOBAL__N_18offset_tEEE10hipError_tPvRmT1_PNSt15iterator_traitsIS12_E10value_typeET2_T3_PNS13_IS18_E10value_typeET4_jRbjT5_S1E_jjP12ihipStream_tbEUljE_ZNSN_ISO_Lb1ESQ_SR_ST_SU_SY_EESZ_S10_S11_S12_S16_S17_S18_S1B_S1C_jS1D_jS1E_S1E_jjS1G_bEUljE0_EEESZ_S10_S11_S18_S1C_S1E_T6_T7_T9_mT8_S1G_bDpT10_ENKUlT_T0_E_clISt17integral_constantIbLb0EES1U_EEDaS1P_S1Q_EUlS1P_E_NS1_11comp_targetILNS1_3genE10ELNS1_11target_archE1200ELNS1_3gpuE4ELNS1_3repE0EEENS1_30default_config_static_selectorELNS0_4arch9wavefront6targetE0EEEvS12_,@function
_ZN7rocprim17ROCPRIM_400000_NS6detail17trampoline_kernelINS0_13select_configILj256ELj13ELNS0_17block_load_methodE3ELS4_3ELS4_3ELNS0_20block_scan_algorithmE0ELj4294967295EEENS1_25partition_config_selectorILNS1_17partition_subalgoE4EjNS0_10empty_typeEbEEZZNS1_14partition_implILS8_4ELb0ES6_15HIP_vector_typeIjLj2EENS0_17counting_iteratorIjlEEPS9_SG_NS0_5tupleIJPjSI_NS0_16reverse_iteratorISI_EEEEENSH_IJSG_SG_SG_EEES9_SI_JZNS1_25segmented_radix_sort_implINS0_14default_configELb1EPKhPhPKlPlN2at6native12_GLOBAL__N_18offset_tEEE10hipError_tPvRmT1_PNSt15iterator_traitsIS12_E10value_typeET2_T3_PNS13_IS18_E10value_typeET4_jRbjT5_S1E_jjP12ihipStream_tbEUljE_ZNSN_ISO_Lb1ESQ_SR_ST_SU_SY_EESZ_S10_S11_S12_S16_S17_S18_S1B_S1C_jS1D_jS1E_S1E_jjS1G_bEUljE0_EEESZ_S10_S11_S18_S1C_S1E_T6_T7_T9_mT8_S1G_bDpT10_ENKUlT_T0_E_clISt17integral_constantIbLb0EES1U_EEDaS1P_S1Q_EUlS1P_E_NS1_11comp_targetILNS1_3genE10ELNS1_11target_archE1200ELNS1_3gpuE4ELNS1_3repE0EEENS1_30default_config_static_selectorELNS0_4arch9wavefront6targetE0EEEvS12_: ; @_ZN7rocprim17ROCPRIM_400000_NS6detail17trampoline_kernelINS0_13select_configILj256ELj13ELNS0_17block_load_methodE3ELS4_3ELS4_3ELNS0_20block_scan_algorithmE0ELj4294967295EEENS1_25partition_config_selectorILNS1_17partition_subalgoE4EjNS0_10empty_typeEbEEZZNS1_14partition_implILS8_4ELb0ES6_15HIP_vector_typeIjLj2EENS0_17counting_iteratorIjlEEPS9_SG_NS0_5tupleIJPjSI_NS0_16reverse_iteratorISI_EEEEENSH_IJSG_SG_SG_EEES9_SI_JZNS1_25segmented_radix_sort_implINS0_14default_configELb1EPKhPhPKlPlN2at6native12_GLOBAL__N_18offset_tEEE10hipError_tPvRmT1_PNSt15iterator_traitsIS12_E10value_typeET2_T3_PNS13_IS18_E10value_typeET4_jRbjT5_S1E_jjP12ihipStream_tbEUljE_ZNSN_ISO_Lb1ESQ_SR_ST_SU_SY_EESZ_S10_S11_S12_S16_S17_S18_S1B_S1C_jS1D_jS1E_S1E_jjS1G_bEUljE0_EEESZ_S10_S11_S18_S1C_S1E_T6_T7_T9_mT8_S1G_bDpT10_ENKUlT_T0_E_clISt17integral_constantIbLb0EES1U_EEDaS1P_S1Q_EUlS1P_E_NS1_11comp_targetILNS1_3genE10ELNS1_11target_archE1200ELNS1_3gpuE4ELNS1_3repE0EEENS1_30default_config_static_selectorELNS0_4arch9wavefront6targetE0EEEvS12_
; %bb.0:
	.section	.rodata,"a",@progbits
	.p2align	6, 0x0
	.amdhsa_kernel _ZN7rocprim17ROCPRIM_400000_NS6detail17trampoline_kernelINS0_13select_configILj256ELj13ELNS0_17block_load_methodE3ELS4_3ELS4_3ELNS0_20block_scan_algorithmE0ELj4294967295EEENS1_25partition_config_selectorILNS1_17partition_subalgoE4EjNS0_10empty_typeEbEEZZNS1_14partition_implILS8_4ELb0ES6_15HIP_vector_typeIjLj2EENS0_17counting_iteratorIjlEEPS9_SG_NS0_5tupleIJPjSI_NS0_16reverse_iteratorISI_EEEEENSH_IJSG_SG_SG_EEES9_SI_JZNS1_25segmented_radix_sort_implINS0_14default_configELb1EPKhPhPKlPlN2at6native12_GLOBAL__N_18offset_tEEE10hipError_tPvRmT1_PNSt15iterator_traitsIS12_E10value_typeET2_T3_PNS13_IS18_E10value_typeET4_jRbjT5_S1E_jjP12ihipStream_tbEUljE_ZNSN_ISO_Lb1ESQ_SR_ST_SU_SY_EESZ_S10_S11_S12_S16_S17_S18_S1B_S1C_jS1D_jS1E_S1E_jjS1G_bEUljE0_EEESZ_S10_S11_S18_S1C_S1E_T6_T7_T9_mT8_S1G_bDpT10_ENKUlT_T0_E_clISt17integral_constantIbLb0EES1U_EEDaS1P_S1Q_EUlS1P_E_NS1_11comp_targetILNS1_3genE10ELNS1_11target_archE1200ELNS1_3gpuE4ELNS1_3repE0EEENS1_30default_config_static_selectorELNS0_4arch9wavefront6targetE0EEEvS12_
		.amdhsa_group_segment_fixed_size 0
		.amdhsa_private_segment_fixed_size 0
		.amdhsa_kernarg_size 176
		.amdhsa_user_sgpr_count 2
		.amdhsa_user_sgpr_dispatch_ptr 0
		.amdhsa_user_sgpr_queue_ptr 0
		.amdhsa_user_sgpr_kernarg_segment_ptr 1
		.amdhsa_user_sgpr_dispatch_id 0
		.amdhsa_user_sgpr_kernarg_preload_length 0
		.amdhsa_user_sgpr_kernarg_preload_offset 0
		.amdhsa_user_sgpr_private_segment_size 0
		.amdhsa_wavefront_size32 1
		.amdhsa_uses_dynamic_stack 0
		.amdhsa_enable_private_segment 0
		.amdhsa_system_sgpr_workgroup_id_x 1
		.amdhsa_system_sgpr_workgroup_id_y 0
		.amdhsa_system_sgpr_workgroup_id_z 0
		.amdhsa_system_sgpr_workgroup_info 0
		.amdhsa_system_vgpr_workitem_id 0
		.amdhsa_next_free_vgpr 1
		.amdhsa_next_free_sgpr 1
		.amdhsa_named_barrier_count 0
		.amdhsa_reserve_vcc 0
		.amdhsa_float_round_mode_32 0
		.amdhsa_float_round_mode_16_64 0
		.amdhsa_float_denorm_mode_32 3
		.amdhsa_float_denorm_mode_16_64 3
		.amdhsa_fp16_overflow 0
		.amdhsa_memory_ordered 1
		.amdhsa_forward_progress 1
		.amdhsa_inst_pref_size 0
		.amdhsa_round_robin_scheduling 0
		.amdhsa_exception_fp_ieee_invalid_op 0
		.amdhsa_exception_fp_denorm_src 0
		.amdhsa_exception_fp_ieee_div_zero 0
		.amdhsa_exception_fp_ieee_overflow 0
		.amdhsa_exception_fp_ieee_underflow 0
		.amdhsa_exception_fp_ieee_inexact 0
		.amdhsa_exception_int_div_zero 0
	.end_amdhsa_kernel
	.section	.text._ZN7rocprim17ROCPRIM_400000_NS6detail17trampoline_kernelINS0_13select_configILj256ELj13ELNS0_17block_load_methodE3ELS4_3ELS4_3ELNS0_20block_scan_algorithmE0ELj4294967295EEENS1_25partition_config_selectorILNS1_17partition_subalgoE4EjNS0_10empty_typeEbEEZZNS1_14partition_implILS8_4ELb0ES6_15HIP_vector_typeIjLj2EENS0_17counting_iteratorIjlEEPS9_SG_NS0_5tupleIJPjSI_NS0_16reverse_iteratorISI_EEEEENSH_IJSG_SG_SG_EEES9_SI_JZNS1_25segmented_radix_sort_implINS0_14default_configELb1EPKhPhPKlPlN2at6native12_GLOBAL__N_18offset_tEEE10hipError_tPvRmT1_PNSt15iterator_traitsIS12_E10value_typeET2_T3_PNS13_IS18_E10value_typeET4_jRbjT5_S1E_jjP12ihipStream_tbEUljE_ZNSN_ISO_Lb1ESQ_SR_ST_SU_SY_EESZ_S10_S11_S12_S16_S17_S18_S1B_S1C_jS1D_jS1E_S1E_jjS1G_bEUljE0_EEESZ_S10_S11_S18_S1C_S1E_T6_T7_T9_mT8_S1G_bDpT10_ENKUlT_T0_E_clISt17integral_constantIbLb0EES1U_EEDaS1P_S1Q_EUlS1P_E_NS1_11comp_targetILNS1_3genE10ELNS1_11target_archE1200ELNS1_3gpuE4ELNS1_3repE0EEENS1_30default_config_static_selectorELNS0_4arch9wavefront6targetE0EEEvS12_,"axG",@progbits,_ZN7rocprim17ROCPRIM_400000_NS6detail17trampoline_kernelINS0_13select_configILj256ELj13ELNS0_17block_load_methodE3ELS4_3ELS4_3ELNS0_20block_scan_algorithmE0ELj4294967295EEENS1_25partition_config_selectorILNS1_17partition_subalgoE4EjNS0_10empty_typeEbEEZZNS1_14partition_implILS8_4ELb0ES6_15HIP_vector_typeIjLj2EENS0_17counting_iteratorIjlEEPS9_SG_NS0_5tupleIJPjSI_NS0_16reverse_iteratorISI_EEEEENSH_IJSG_SG_SG_EEES9_SI_JZNS1_25segmented_radix_sort_implINS0_14default_configELb1EPKhPhPKlPlN2at6native12_GLOBAL__N_18offset_tEEE10hipError_tPvRmT1_PNSt15iterator_traitsIS12_E10value_typeET2_T3_PNS13_IS18_E10value_typeET4_jRbjT5_S1E_jjP12ihipStream_tbEUljE_ZNSN_ISO_Lb1ESQ_SR_ST_SU_SY_EESZ_S10_S11_S12_S16_S17_S18_S1B_S1C_jS1D_jS1E_S1E_jjS1G_bEUljE0_EEESZ_S10_S11_S18_S1C_S1E_T6_T7_T9_mT8_S1G_bDpT10_ENKUlT_T0_E_clISt17integral_constantIbLb0EES1U_EEDaS1P_S1Q_EUlS1P_E_NS1_11comp_targetILNS1_3genE10ELNS1_11target_archE1200ELNS1_3gpuE4ELNS1_3repE0EEENS1_30default_config_static_selectorELNS0_4arch9wavefront6targetE0EEEvS12_,comdat
.Lfunc_end9:
	.size	_ZN7rocprim17ROCPRIM_400000_NS6detail17trampoline_kernelINS0_13select_configILj256ELj13ELNS0_17block_load_methodE3ELS4_3ELS4_3ELNS0_20block_scan_algorithmE0ELj4294967295EEENS1_25partition_config_selectorILNS1_17partition_subalgoE4EjNS0_10empty_typeEbEEZZNS1_14partition_implILS8_4ELb0ES6_15HIP_vector_typeIjLj2EENS0_17counting_iteratorIjlEEPS9_SG_NS0_5tupleIJPjSI_NS0_16reverse_iteratorISI_EEEEENSH_IJSG_SG_SG_EEES9_SI_JZNS1_25segmented_radix_sort_implINS0_14default_configELb1EPKhPhPKlPlN2at6native12_GLOBAL__N_18offset_tEEE10hipError_tPvRmT1_PNSt15iterator_traitsIS12_E10value_typeET2_T3_PNS13_IS18_E10value_typeET4_jRbjT5_S1E_jjP12ihipStream_tbEUljE_ZNSN_ISO_Lb1ESQ_SR_ST_SU_SY_EESZ_S10_S11_S12_S16_S17_S18_S1B_S1C_jS1D_jS1E_S1E_jjS1G_bEUljE0_EEESZ_S10_S11_S18_S1C_S1E_T6_T7_T9_mT8_S1G_bDpT10_ENKUlT_T0_E_clISt17integral_constantIbLb0EES1U_EEDaS1P_S1Q_EUlS1P_E_NS1_11comp_targetILNS1_3genE10ELNS1_11target_archE1200ELNS1_3gpuE4ELNS1_3repE0EEENS1_30default_config_static_selectorELNS0_4arch9wavefront6targetE0EEEvS12_, .Lfunc_end9-_ZN7rocprim17ROCPRIM_400000_NS6detail17trampoline_kernelINS0_13select_configILj256ELj13ELNS0_17block_load_methodE3ELS4_3ELS4_3ELNS0_20block_scan_algorithmE0ELj4294967295EEENS1_25partition_config_selectorILNS1_17partition_subalgoE4EjNS0_10empty_typeEbEEZZNS1_14partition_implILS8_4ELb0ES6_15HIP_vector_typeIjLj2EENS0_17counting_iteratorIjlEEPS9_SG_NS0_5tupleIJPjSI_NS0_16reverse_iteratorISI_EEEEENSH_IJSG_SG_SG_EEES9_SI_JZNS1_25segmented_radix_sort_implINS0_14default_configELb1EPKhPhPKlPlN2at6native12_GLOBAL__N_18offset_tEEE10hipError_tPvRmT1_PNSt15iterator_traitsIS12_E10value_typeET2_T3_PNS13_IS18_E10value_typeET4_jRbjT5_S1E_jjP12ihipStream_tbEUljE_ZNSN_ISO_Lb1ESQ_SR_ST_SU_SY_EESZ_S10_S11_S12_S16_S17_S18_S1B_S1C_jS1D_jS1E_S1E_jjS1G_bEUljE0_EEESZ_S10_S11_S18_S1C_S1E_T6_T7_T9_mT8_S1G_bDpT10_ENKUlT_T0_E_clISt17integral_constantIbLb0EES1U_EEDaS1P_S1Q_EUlS1P_E_NS1_11comp_targetILNS1_3genE10ELNS1_11target_archE1200ELNS1_3gpuE4ELNS1_3repE0EEENS1_30default_config_static_selectorELNS0_4arch9wavefront6targetE0EEEvS12_
                                        ; -- End function
	.set _ZN7rocprim17ROCPRIM_400000_NS6detail17trampoline_kernelINS0_13select_configILj256ELj13ELNS0_17block_load_methodE3ELS4_3ELS4_3ELNS0_20block_scan_algorithmE0ELj4294967295EEENS1_25partition_config_selectorILNS1_17partition_subalgoE4EjNS0_10empty_typeEbEEZZNS1_14partition_implILS8_4ELb0ES6_15HIP_vector_typeIjLj2EENS0_17counting_iteratorIjlEEPS9_SG_NS0_5tupleIJPjSI_NS0_16reverse_iteratorISI_EEEEENSH_IJSG_SG_SG_EEES9_SI_JZNS1_25segmented_radix_sort_implINS0_14default_configELb1EPKhPhPKlPlN2at6native12_GLOBAL__N_18offset_tEEE10hipError_tPvRmT1_PNSt15iterator_traitsIS12_E10value_typeET2_T3_PNS13_IS18_E10value_typeET4_jRbjT5_S1E_jjP12ihipStream_tbEUljE_ZNSN_ISO_Lb1ESQ_SR_ST_SU_SY_EESZ_S10_S11_S12_S16_S17_S18_S1B_S1C_jS1D_jS1E_S1E_jjS1G_bEUljE0_EEESZ_S10_S11_S18_S1C_S1E_T6_T7_T9_mT8_S1G_bDpT10_ENKUlT_T0_E_clISt17integral_constantIbLb0EES1U_EEDaS1P_S1Q_EUlS1P_E_NS1_11comp_targetILNS1_3genE10ELNS1_11target_archE1200ELNS1_3gpuE4ELNS1_3repE0EEENS1_30default_config_static_selectorELNS0_4arch9wavefront6targetE0EEEvS12_.num_vgpr, 0
	.set _ZN7rocprim17ROCPRIM_400000_NS6detail17trampoline_kernelINS0_13select_configILj256ELj13ELNS0_17block_load_methodE3ELS4_3ELS4_3ELNS0_20block_scan_algorithmE0ELj4294967295EEENS1_25partition_config_selectorILNS1_17partition_subalgoE4EjNS0_10empty_typeEbEEZZNS1_14partition_implILS8_4ELb0ES6_15HIP_vector_typeIjLj2EENS0_17counting_iteratorIjlEEPS9_SG_NS0_5tupleIJPjSI_NS0_16reverse_iteratorISI_EEEEENSH_IJSG_SG_SG_EEES9_SI_JZNS1_25segmented_radix_sort_implINS0_14default_configELb1EPKhPhPKlPlN2at6native12_GLOBAL__N_18offset_tEEE10hipError_tPvRmT1_PNSt15iterator_traitsIS12_E10value_typeET2_T3_PNS13_IS18_E10value_typeET4_jRbjT5_S1E_jjP12ihipStream_tbEUljE_ZNSN_ISO_Lb1ESQ_SR_ST_SU_SY_EESZ_S10_S11_S12_S16_S17_S18_S1B_S1C_jS1D_jS1E_S1E_jjS1G_bEUljE0_EEESZ_S10_S11_S18_S1C_S1E_T6_T7_T9_mT8_S1G_bDpT10_ENKUlT_T0_E_clISt17integral_constantIbLb0EES1U_EEDaS1P_S1Q_EUlS1P_E_NS1_11comp_targetILNS1_3genE10ELNS1_11target_archE1200ELNS1_3gpuE4ELNS1_3repE0EEENS1_30default_config_static_selectorELNS0_4arch9wavefront6targetE0EEEvS12_.num_agpr, 0
	.set _ZN7rocprim17ROCPRIM_400000_NS6detail17trampoline_kernelINS0_13select_configILj256ELj13ELNS0_17block_load_methodE3ELS4_3ELS4_3ELNS0_20block_scan_algorithmE0ELj4294967295EEENS1_25partition_config_selectorILNS1_17partition_subalgoE4EjNS0_10empty_typeEbEEZZNS1_14partition_implILS8_4ELb0ES6_15HIP_vector_typeIjLj2EENS0_17counting_iteratorIjlEEPS9_SG_NS0_5tupleIJPjSI_NS0_16reverse_iteratorISI_EEEEENSH_IJSG_SG_SG_EEES9_SI_JZNS1_25segmented_radix_sort_implINS0_14default_configELb1EPKhPhPKlPlN2at6native12_GLOBAL__N_18offset_tEEE10hipError_tPvRmT1_PNSt15iterator_traitsIS12_E10value_typeET2_T3_PNS13_IS18_E10value_typeET4_jRbjT5_S1E_jjP12ihipStream_tbEUljE_ZNSN_ISO_Lb1ESQ_SR_ST_SU_SY_EESZ_S10_S11_S12_S16_S17_S18_S1B_S1C_jS1D_jS1E_S1E_jjS1G_bEUljE0_EEESZ_S10_S11_S18_S1C_S1E_T6_T7_T9_mT8_S1G_bDpT10_ENKUlT_T0_E_clISt17integral_constantIbLb0EES1U_EEDaS1P_S1Q_EUlS1P_E_NS1_11comp_targetILNS1_3genE10ELNS1_11target_archE1200ELNS1_3gpuE4ELNS1_3repE0EEENS1_30default_config_static_selectorELNS0_4arch9wavefront6targetE0EEEvS12_.numbered_sgpr, 0
	.set _ZN7rocprim17ROCPRIM_400000_NS6detail17trampoline_kernelINS0_13select_configILj256ELj13ELNS0_17block_load_methodE3ELS4_3ELS4_3ELNS0_20block_scan_algorithmE0ELj4294967295EEENS1_25partition_config_selectorILNS1_17partition_subalgoE4EjNS0_10empty_typeEbEEZZNS1_14partition_implILS8_4ELb0ES6_15HIP_vector_typeIjLj2EENS0_17counting_iteratorIjlEEPS9_SG_NS0_5tupleIJPjSI_NS0_16reverse_iteratorISI_EEEEENSH_IJSG_SG_SG_EEES9_SI_JZNS1_25segmented_radix_sort_implINS0_14default_configELb1EPKhPhPKlPlN2at6native12_GLOBAL__N_18offset_tEEE10hipError_tPvRmT1_PNSt15iterator_traitsIS12_E10value_typeET2_T3_PNS13_IS18_E10value_typeET4_jRbjT5_S1E_jjP12ihipStream_tbEUljE_ZNSN_ISO_Lb1ESQ_SR_ST_SU_SY_EESZ_S10_S11_S12_S16_S17_S18_S1B_S1C_jS1D_jS1E_S1E_jjS1G_bEUljE0_EEESZ_S10_S11_S18_S1C_S1E_T6_T7_T9_mT8_S1G_bDpT10_ENKUlT_T0_E_clISt17integral_constantIbLb0EES1U_EEDaS1P_S1Q_EUlS1P_E_NS1_11comp_targetILNS1_3genE10ELNS1_11target_archE1200ELNS1_3gpuE4ELNS1_3repE0EEENS1_30default_config_static_selectorELNS0_4arch9wavefront6targetE0EEEvS12_.num_named_barrier, 0
	.set _ZN7rocprim17ROCPRIM_400000_NS6detail17trampoline_kernelINS0_13select_configILj256ELj13ELNS0_17block_load_methodE3ELS4_3ELS4_3ELNS0_20block_scan_algorithmE0ELj4294967295EEENS1_25partition_config_selectorILNS1_17partition_subalgoE4EjNS0_10empty_typeEbEEZZNS1_14partition_implILS8_4ELb0ES6_15HIP_vector_typeIjLj2EENS0_17counting_iteratorIjlEEPS9_SG_NS0_5tupleIJPjSI_NS0_16reverse_iteratorISI_EEEEENSH_IJSG_SG_SG_EEES9_SI_JZNS1_25segmented_radix_sort_implINS0_14default_configELb1EPKhPhPKlPlN2at6native12_GLOBAL__N_18offset_tEEE10hipError_tPvRmT1_PNSt15iterator_traitsIS12_E10value_typeET2_T3_PNS13_IS18_E10value_typeET4_jRbjT5_S1E_jjP12ihipStream_tbEUljE_ZNSN_ISO_Lb1ESQ_SR_ST_SU_SY_EESZ_S10_S11_S12_S16_S17_S18_S1B_S1C_jS1D_jS1E_S1E_jjS1G_bEUljE0_EEESZ_S10_S11_S18_S1C_S1E_T6_T7_T9_mT8_S1G_bDpT10_ENKUlT_T0_E_clISt17integral_constantIbLb0EES1U_EEDaS1P_S1Q_EUlS1P_E_NS1_11comp_targetILNS1_3genE10ELNS1_11target_archE1200ELNS1_3gpuE4ELNS1_3repE0EEENS1_30default_config_static_selectorELNS0_4arch9wavefront6targetE0EEEvS12_.private_seg_size, 0
	.set _ZN7rocprim17ROCPRIM_400000_NS6detail17trampoline_kernelINS0_13select_configILj256ELj13ELNS0_17block_load_methodE3ELS4_3ELS4_3ELNS0_20block_scan_algorithmE0ELj4294967295EEENS1_25partition_config_selectorILNS1_17partition_subalgoE4EjNS0_10empty_typeEbEEZZNS1_14partition_implILS8_4ELb0ES6_15HIP_vector_typeIjLj2EENS0_17counting_iteratorIjlEEPS9_SG_NS0_5tupleIJPjSI_NS0_16reverse_iteratorISI_EEEEENSH_IJSG_SG_SG_EEES9_SI_JZNS1_25segmented_radix_sort_implINS0_14default_configELb1EPKhPhPKlPlN2at6native12_GLOBAL__N_18offset_tEEE10hipError_tPvRmT1_PNSt15iterator_traitsIS12_E10value_typeET2_T3_PNS13_IS18_E10value_typeET4_jRbjT5_S1E_jjP12ihipStream_tbEUljE_ZNSN_ISO_Lb1ESQ_SR_ST_SU_SY_EESZ_S10_S11_S12_S16_S17_S18_S1B_S1C_jS1D_jS1E_S1E_jjS1G_bEUljE0_EEESZ_S10_S11_S18_S1C_S1E_T6_T7_T9_mT8_S1G_bDpT10_ENKUlT_T0_E_clISt17integral_constantIbLb0EES1U_EEDaS1P_S1Q_EUlS1P_E_NS1_11comp_targetILNS1_3genE10ELNS1_11target_archE1200ELNS1_3gpuE4ELNS1_3repE0EEENS1_30default_config_static_selectorELNS0_4arch9wavefront6targetE0EEEvS12_.uses_vcc, 0
	.set _ZN7rocprim17ROCPRIM_400000_NS6detail17trampoline_kernelINS0_13select_configILj256ELj13ELNS0_17block_load_methodE3ELS4_3ELS4_3ELNS0_20block_scan_algorithmE0ELj4294967295EEENS1_25partition_config_selectorILNS1_17partition_subalgoE4EjNS0_10empty_typeEbEEZZNS1_14partition_implILS8_4ELb0ES6_15HIP_vector_typeIjLj2EENS0_17counting_iteratorIjlEEPS9_SG_NS0_5tupleIJPjSI_NS0_16reverse_iteratorISI_EEEEENSH_IJSG_SG_SG_EEES9_SI_JZNS1_25segmented_radix_sort_implINS0_14default_configELb1EPKhPhPKlPlN2at6native12_GLOBAL__N_18offset_tEEE10hipError_tPvRmT1_PNSt15iterator_traitsIS12_E10value_typeET2_T3_PNS13_IS18_E10value_typeET4_jRbjT5_S1E_jjP12ihipStream_tbEUljE_ZNSN_ISO_Lb1ESQ_SR_ST_SU_SY_EESZ_S10_S11_S12_S16_S17_S18_S1B_S1C_jS1D_jS1E_S1E_jjS1G_bEUljE0_EEESZ_S10_S11_S18_S1C_S1E_T6_T7_T9_mT8_S1G_bDpT10_ENKUlT_T0_E_clISt17integral_constantIbLb0EES1U_EEDaS1P_S1Q_EUlS1P_E_NS1_11comp_targetILNS1_3genE10ELNS1_11target_archE1200ELNS1_3gpuE4ELNS1_3repE0EEENS1_30default_config_static_selectorELNS0_4arch9wavefront6targetE0EEEvS12_.uses_flat_scratch, 0
	.set _ZN7rocprim17ROCPRIM_400000_NS6detail17trampoline_kernelINS0_13select_configILj256ELj13ELNS0_17block_load_methodE3ELS4_3ELS4_3ELNS0_20block_scan_algorithmE0ELj4294967295EEENS1_25partition_config_selectorILNS1_17partition_subalgoE4EjNS0_10empty_typeEbEEZZNS1_14partition_implILS8_4ELb0ES6_15HIP_vector_typeIjLj2EENS0_17counting_iteratorIjlEEPS9_SG_NS0_5tupleIJPjSI_NS0_16reverse_iteratorISI_EEEEENSH_IJSG_SG_SG_EEES9_SI_JZNS1_25segmented_radix_sort_implINS0_14default_configELb1EPKhPhPKlPlN2at6native12_GLOBAL__N_18offset_tEEE10hipError_tPvRmT1_PNSt15iterator_traitsIS12_E10value_typeET2_T3_PNS13_IS18_E10value_typeET4_jRbjT5_S1E_jjP12ihipStream_tbEUljE_ZNSN_ISO_Lb1ESQ_SR_ST_SU_SY_EESZ_S10_S11_S12_S16_S17_S18_S1B_S1C_jS1D_jS1E_S1E_jjS1G_bEUljE0_EEESZ_S10_S11_S18_S1C_S1E_T6_T7_T9_mT8_S1G_bDpT10_ENKUlT_T0_E_clISt17integral_constantIbLb0EES1U_EEDaS1P_S1Q_EUlS1P_E_NS1_11comp_targetILNS1_3genE10ELNS1_11target_archE1200ELNS1_3gpuE4ELNS1_3repE0EEENS1_30default_config_static_selectorELNS0_4arch9wavefront6targetE0EEEvS12_.has_dyn_sized_stack, 0
	.set _ZN7rocprim17ROCPRIM_400000_NS6detail17trampoline_kernelINS0_13select_configILj256ELj13ELNS0_17block_load_methodE3ELS4_3ELS4_3ELNS0_20block_scan_algorithmE0ELj4294967295EEENS1_25partition_config_selectorILNS1_17partition_subalgoE4EjNS0_10empty_typeEbEEZZNS1_14partition_implILS8_4ELb0ES6_15HIP_vector_typeIjLj2EENS0_17counting_iteratorIjlEEPS9_SG_NS0_5tupleIJPjSI_NS0_16reverse_iteratorISI_EEEEENSH_IJSG_SG_SG_EEES9_SI_JZNS1_25segmented_radix_sort_implINS0_14default_configELb1EPKhPhPKlPlN2at6native12_GLOBAL__N_18offset_tEEE10hipError_tPvRmT1_PNSt15iterator_traitsIS12_E10value_typeET2_T3_PNS13_IS18_E10value_typeET4_jRbjT5_S1E_jjP12ihipStream_tbEUljE_ZNSN_ISO_Lb1ESQ_SR_ST_SU_SY_EESZ_S10_S11_S12_S16_S17_S18_S1B_S1C_jS1D_jS1E_S1E_jjS1G_bEUljE0_EEESZ_S10_S11_S18_S1C_S1E_T6_T7_T9_mT8_S1G_bDpT10_ENKUlT_T0_E_clISt17integral_constantIbLb0EES1U_EEDaS1P_S1Q_EUlS1P_E_NS1_11comp_targetILNS1_3genE10ELNS1_11target_archE1200ELNS1_3gpuE4ELNS1_3repE0EEENS1_30default_config_static_selectorELNS0_4arch9wavefront6targetE0EEEvS12_.has_recursion, 0
	.set _ZN7rocprim17ROCPRIM_400000_NS6detail17trampoline_kernelINS0_13select_configILj256ELj13ELNS0_17block_load_methodE3ELS4_3ELS4_3ELNS0_20block_scan_algorithmE0ELj4294967295EEENS1_25partition_config_selectorILNS1_17partition_subalgoE4EjNS0_10empty_typeEbEEZZNS1_14partition_implILS8_4ELb0ES6_15HIP_vector_typeIjLj2EENS0_17counting_iteratorIjlEEPS9_SG_NS0_5tupleIJPjSI_NS0_16reverse_iteratorISI_EEEEENSH_IJSG_SG_SG_EEES9_SI_JZNS1_25segmented_radix_sort_implINS0_14default_configELb1EPKhPhPKlPlN2at6native12_GLOBAL__N_18offset_tEEE10hipError_tPvRmT1_PNSt15iterator_traitsIS12_E10value_typeET2_T3_PNS13_IS18_E10value_typeET4_jRbjT5_S1E_jjP12ihipStream_tbEUljE_ZNSN_ISO_Lb1ESQ_SR_ST_SU_SY_EESZ_S10_S11_S12_S16_S17_S18_S1B_S1C_jS1D_jS1E_S1E_jjS1G_bEUljE0_EEESZ_S10_S11_S18_S1C_S1E_T6_T7_T9_mT8_S1G_bDpT10_ENKUlT_T0_E_clISt17integral_constantIbLb0EES1U_EEDaS1P_S1Q_EUlS1P_E_NS1_11comp_targetILNS1_3genE10ELNS1_11target_archE1200ELNS1_3gpuE4ELNS1_3repE0EEENS1_30default_config_static_selectorELNS0_4arch9wavefront6targetE0EEEvS12_.has_indirect_call, 0
	.section	.AMDGPU.csdata,"",@progbits
; Kernel info:
; codeLenInByte = 0
; TotalNumSgprs: 0
; NumVgprs: 0
; ScratchSize: 0
; MemoryBound: 0
; FloatMode: 240
; IeeeMode: 1
; LDSByteSize: 0 bytes/workgroup (compile time only)
; SGPRBlocks: 0
; VGPRBlocks: 0
; NumSGPRsForWavesPerEU: 1
; NumVGPRsForWavesPerEU: 1
; NamedBarCnt: 0
; Occupancy: 16
; WaveLimiterHint : 0
; COMPUTE_PGM_RSRC2:SCRATCH_EN: 0
; COMPUTE_PGM_RSRC2:USER_SGPR: 2
; COMPUTE_PGM_RSRC2:TRAP_HANDLER: 0
; COMPUTE_PGM_RSRC2:TGID_X_EN: 1
; COMPUTE_PGM_RSRC2:TGID_Y_EN: 0
; COMPUTE_PGM_RSRC2:TGID_Z_EN: 0
; COMPUTE_PGM_RSRC2:TIDIG_COMP_CNT: 0
	.section	.text._ZN7rocprim17ROCPRIM_400000_NS6detail17trampoline_kernelINS0_13select_configILj256ELj13ELNS0_17block_load_methodE3ELS4_3ELS4_3ELNS0_20block_scan_algorithmE0ELj4294967295EEENS1_25partition_config_selectorILNS1_17partition_subalgoE4EjNS0_10empty_typeEbEEZZNS1_14partition_implILS8_4ELb0ES6_15HIP_vector_typeIjLj2EENS0_17counting_iteratorIjlEEPS9_SG_NS0_5tupleIJPjSI_NS0_16reverse_iteratorISI_EEEEENSH_IJSG_SG_SG_EEES9_SI_JZNS1_25segmented_radix_sort_implINS0_14default_configELb1EPKhPhPKlPlN2at6native12_GLOBAL__N_18offset_tEEE10hipError_tPvRmT1_PNSt15iterator_traitsIS12_E10value_typeET2_T3_PNS13_IS18_E10value_typeET4_jRbjT5_S1E_jjP12ihipStream_tbEUljE_ZNSN_ISO_Lb1ESQ_SR_ST_SU_SY_EESZ_S10_S11_S12_S16_S17_S18_S1B_S1C_jS1D_jS1E_S1E_jjS1G_bEUljE0_EEESZ_S10_S11_S18_S1C_S1E_T6_T7_T9_mT8_S1G_bDpT10_ENKUlT_T0_E_clISt17integral_constantIbLb0EES1U_EEDaS1P_S1Q_EUlS1P_E_NS1_11comp_targetILNS1_3genE9ELNS1_11target_archE1100ELNS1_3gpuE3ELNS1_3repE0EEENS1_30default_config_static_selectorELNS0_4arch9wavefront6targetE0EEEvS12_,"axG",@progbits,_ZN7rocprim17ROCPRIM_400000_NS6detail17trampoline_kernelINS0_13select_configILj256ELj13ELNS0_17block_load_methodE3ELS4_3ELS4_3ELNS0_20block_scan_algorithmE0ELj4294967295EEENS1_25partition_config_selectorILNS1_17partition_subalgoE4EjNS0_10empty_typeEbEEZZNS1_14partition_implILS8_4ELb0ES6_15HIP_vector_typeIjLj2EENS0_17counting_iteratorIjlEEPS9_SG_NS0_5tupleIJPjSI_NS0_16reverse_iteratorISI_EEEEENSH_IJSG_SG_SG_EEES9_SI_JZNS1_25segmented_radix_sort_implINS0_14default_configELb1EPKhPhPKlPlN2at6native12_GLOBAL__N_18offset_tEEE10hipError_tPvRmT1_PNSt15iterator_traitsIS12_E10value_typeET2_T3_PNS13_IS18_E10value_typeET4_jRbjT5_S1E_jjP12ihipStream_tbEUljE_ZNSN_ISO_Lb1ESQ_SR_ST_SU_SY_EESZ_S10_S11_S12_S16_S17_S18_S1B_S1C_jS1D_jS1E_S1E_jjS1G_bEUljE0_EEESZ_S10_S11_S18_S1C_S1E_T6_T7_T9_mT8_S1G_bDpT10_ENKUlT_T0_E_clISt17integral_constantIbLb0EES1U_EEDaS1P_S1Q_EUlS1P_E_NS1_11comp_targetILNS1_3genE9ELNS1_11target_archE1100ELNS1_3gpuE3ELNS1_3repE0EEENS1_30default_config_static_selectorELNS0_4arch9wavefront6targetE0EEEvS12_,comdat
	.globl	_ZN7rocprim17ROCPRIM_400000_NS6detail17trampoline_kernelINS0_13select_configILj256ELj13ELNS0_17block_load_methodE3ELS4_3ELS4_3ELNS0_20block_scan_algorithmE0ELj4294967295EEENS1_25partition_config_selectorILNS1_17partition_subalgoE4EjNS0_10empty_typeEbEEZZNS1_14partition_implILS8_4ELb0ES6_15HIP_vector_typeIjLj2EENS0_17counting_iteratorIjlEEPS9_SG_NS0_5tupleIJPjSI_NS0_16reverse_iteratorISI_EEEEENSH_IJSG_SG_SG_EEES9_SI_JZNS1_25segmented_radix_sort_implINS0_14default_configELb1EPKhPhPKlPlN2at6native12_GLOBAL__N_18offset_tEEE10hipError_tPvRmT1_PNSt15iterator_traitsIS12_E10value_typeET2_T3_PNS13_IS18_E10value_typeET4_jRbjT5_S1E_jjP12ihipStream_tbEUljE_ZNSN_ISO_Lb1ESQ_SR_ST_SU_SY_EESZ_S10_S11_S12_S16_S17_S18_S1B_S1C_jS1D_jS1E_S1E_jjS1G_bEUljE0_EEESZ_S10_S11_S18_S1C_S1E_T6_T7_T9_mT8_S1G_bDpT10_ENKUlT_T0_E_clISt17integral_constantIbLb0EES1U_EEDaS1P_S1Q_EUlS1P_E_NS1_11comp_targetILNS1_3genE9ELNS1_11target_archE1100ELNS1_3gpuE3ELNS1_3repE0EEENS1_30default_config_static_selectorELNS0_4arch9wavefront6targetE0EEEvS12_ ; -- Begin function _ZN7rocprim17ROCPRIM_400000_NS6detail17trampoline_kernelINS0_13select_configILj256ELj13ELNS0_17block_load_methodE3ELS4_3ELS4_3ELNS0_20block_scan_algorithmE0ELj4294967295EEENS1_25partition_config_selectorILNS1_17partition_subalgoE4EjNS0_10empty_typeEbEEZZNS1_14partition_implILS8_4ELb0ES6_15HIP_vector_typeIjLj2EENS0_17counting_iteratorIjlEEPS9_SG_NS0_5tupleIJPjSI_NS0_16reverse_iteratorISI_EEEEENSH_IJSG_SG_SG_EEES9_SI_JZNS1_25segmented_radix_sort_implINS0_14default_configELb1EPKhPhPKlPlN2at6native12_GLOBAL__N_18offset_tEEE10hipError_tPvRmT1_PNSt15iterator_traitsIS12_E10value_typeET2_T3_PNS13_IS18_E10value_typeET4_jRbjT5_S1E_jjP12ihipStream_tbEUljE_ZNSN_ISO_Lb1ESQ_SR_ST_SU_SY_EESZ_S10_S11_S12_S16_S17_S18_S1B_S1C_jS1D_jS1E_S1E_jjS1G_bEUljE0_EEESZ_S10_S11_S18_S1C_S1E_T6_T7_T9_mT8_S1G_bDpT10_ENKUlT_T0_E_clISt17integral_constantIbLb0EES1U_EEDaS1P_S1Q_EUlS1P_E_NS1_11comp_targetILNS1_3genE9ELNS1_11target_archE1100ELNS1_3gpuE3ELNS1_3repE0EEENS1_30default_config_static_selectorELNS0_4arch9wavefront6targetE0EEEvS12_
	.p2align	8
	.type	_ZN7rocprim17ROCPRIM_400000_NS6detail17trampoline_kernelINS0_13select_configILj256ELj13ELNS0_17block_load_methodE3ELS4_3ELS4_3ELNS0_20block_scan_algorithmE0ELj4294967295EEENS1_25partition_config_selectorILNS1_17partition_subalgoE4EjNS0_10empty_typeEbEEZZNS1_14partition_implILS8_4ELb0ES6_15HIP_vector_typeIjLj2EENS0_17counting_iteratorIjlEEPS9_SG_NS0_5tupleIJPjSI_NS0_16reverse_iteratorISI_EEEEENSH_IJSG_SG_SG_EEES9_SI_JZNS1_25segmented_radix_sort_implINS0_14default_configELb1EPKhPhPKlPlN2at6native12_GLOBAL__N_18offset_tEEE10hipError_tPvRmT1_PNSt15iterator_traitsIS12_E10value_typeET2_T3_PNS13_IS18_E10value_typeET4_jRbjT5_S1E_jjP12ihipStream_tbEUljE_ZNSN_ISO_Lb1ESQ_SR_ST_SU_SY_EESZ_S10_S11_S12_S16_S17_S18_S1B_S1C_jS1D_jS1E_S1E_jjS1G_bEUljE0_EEESZ_S10_S11_S18_S1C_S1E_T6_T7_T9_mT8_S1G_bDpT10_ENKUlT_T0_E_clISt17integral_constantIbLb0EES1U_EEDaS1P_S1Q_EUlS1P_E_NS1_11comp_targetILNS1_3genE9ELNS1_11target_archE1100ELNS1_3gpuE3ELNS1_3repE0EEENS1_30default_config_static_selectorELNS0_4arch9wavefront6targetE0EEEvS12_,@function
_ZN7rocprim17ROCPRIM_400000_NS6detail17trampoline_kernelINS0_13select_configILj256ELj13ELNS0_17block_load_methodE3ELS4_3ELS4_3ELNS0_20block_scan_algorithmE0ELj4294967295EEENS1_25partition_config_selectorILNS1_17partition_subalgoE4EjNS0_10empty_typeEbEEZZNS1_14partition_implILS8_4ELb0ES6_15HIP_vector_typeIjLj2EENS0_17counting_iteratorIjlEEPS9_SG_NS0_5tupleIJPjSI_NS0_16reverse_iteratorISI_EEEEENSH_IJSG_SG_SG_EEES9_SI_JZNS1_25segmented_radix_sort_implINS0_14default_configELb1EPKhPhPKlPlN2at6native12_GLOBAL__N_18offset_tEEE10hipError_tPvRmT1_PNSt15iterator_traitsIS12_E10value_typeET2_T3_PNS13_IS18_E10value_typeET4_jRbjT5_S1E_jjP12ihipStream_tbEUljE_ZNSN_ISO_Lb1ESQ_SR_ST_SU_SY_EESZ_S10_S11_S12_S16_S17_S18_S1B_S1C_jS1D_jS1E_S1E_jjS1G_bEUljE0_EEESZ_S10_S11_S18_S1C_S1E_T6_T7_T9_mT8_S1G_bDpT10_ENKUlT_T0_E_clISt17integral_constantIbLb0EES1U_EEDaS1P_S1Q_EUlS1P_E_NS1_11comp_targetILNS1_3genE9ELNS1_11target_archE1100ELNS1_3gpuE3ELNS1_3repE0EEENS1_30default_config_static_selectorELNS0_4arch9wavefront6targetE0EEEvS12_: ; @_ZN7rocprim17ROCPRIM_400000_NS6detail17trampoline_kernelINS0_13select_configILj256ELj13ELNS0_17block_load_methodE3ELS4_3ELS4_3ELNS0_20block_scan_algorithmE0ELj4294967295EEENS1_25partition_config_selectorILNS1_17partition_subalgoE4EjNS0_10empty_typeEbEEZZNS1_14partition_implILS8_4ELb0ES6_15HIP_vector_typeIjLj2EENS0_17counting_iteratorIjlEEPS9_SG_NS0_5tupleIJPjSI_NS0_16reverse_iteratorISI_EEEEENSH_IJSG_SG_SG_EEES9_SI_JZNS1_25segmented_radix_sort_implINS0_14default_configELb1EPKhPhPKlPlN2at6native12_GLOBAL__N_18offset_tEEE10hipError_tPvRmT1_PNSt15iterator_traitsIS12_E10value_typeET2_T3_PNS13_IS18_E10value_typeET4_jRbjT5_S1E_jjP12ihipStream_tbEUljE_ZNSN_ISO_Lb1ESQ_SR_ST_SU_SY_EESZ_S10_S11_S12_S16_S17_S18_S1B_S1C_jS1D_jS1E_S1E_jjS1G_bEUljE0_EEESZ_S10_S11_S18_S1C_S1E_T6_T7_T9_mT8_S1G_bDpT10_ENKUlT_T0_E_clISt17integral_constantIbLb0EES1U_EEDaS1P_S1Q_EUlS1P_E_NS1_11comp_targetILNS1_3genE9ELNS1_11target_archE1100ELNS1_3gpuE3ELNS1_3repE0EEENS1_30default_config_static_selectorELNS0_4arch9wavefront6targetE0EEEvS12_
; %bb.0:
	.section	.rodata,"a",@progbits
	.p2align	6, 0x0
	.amdhsa_kernel _ZN7rocprim17ROCPRIM_400000_NS6detail17trampoline_kernelINS0_13select_configILj256ELj13ELNS0_17block_load_methodE3ELS4_3ELS4_3ELNS0_20block_scan_algorithmE0ELj4294967295EEENS1_25partition_config_selectorILNS1_17partition_subalgoE4EjNS0_10empty_typeEbEEZZNS1_14partition_implILS8_4ELb0ES6_15HIP_vector_typeIjLj2EENS0_17counting_iteratorIjlEEPS9_SG_NS0_5tupleIJPjSI_NS0_16reverse_iteratorISI_EEEEENSH_IJSG_SG_SG_EEES9_SI_JZNS1_25segmented_radix_sort_implINS0_14default_configELb1EPKhPhPKlPlN2at6native12_GLOBAL__N_18offset_tEEE10hipError_tPvRmT1_PNSt15iterator_traitsIS12_E10value_typeET2_T3_PNS13_IS18_E10value_typeET4_jRbjT5_S1E_jjP12ihipStream_tbEUljE_ZNSN_ISO_Lb1ESQ_SR_ST_SU_SY_EESZ_S10_S11_S12_S16_S17_S18_S1B_S1C_jS1D_jS1E_S1E_jjS1G_bEUljE0_EEESZ_S10_S11_S18_S1C_S1E_T6_T7_T9_mT8_S1G_bDpT10_ENKUlT_T0_E_clISt17integral_constantIbLb0EES1U_EEDaS1P_S1Q_EUlS1P_E_NS1_11comp_targetILNS1_3genE9ELNS1_11target_archE1100ELNS1_3gpuE3ELNS1_3repE0EEENS1_30default_config_static_selectorELNS0_4arch9wavefront6targetE0EEEvS12_
		.amdhsa_group_segment_fixed_size 0
		.amdhsa_private_segment_fixed_size 0
		.amdhsa_kernarg_size 176
		.amdhsa_user_sgpr_count 2
		.amdhsa_user_sgpr_dispatch_ptr 0
		.amdhsa_user_sgpr_queue_ptr 0
		.amdhsa_user_sgpr_kernarg_segment_ptr 1
		.amdhsa_user_sgpr_dispatch_id 0
		.amdhsa_user_sgpr_kernarg_preload_length 0
		.amdhsa_user_sgpr_kernarg_preload_offset 0
		.amdhsa_user_sgpr_private_segment_size 0
		.amdhsa_wavefront_size32 1
		.amdhsa_uses_dynamic_stack 0
		.amdhsa_enable_private_segment 0
		.amdhsa_system_sgpr_workgroup_id_x 1
		.amdhsa_system_sgpr_workgroup_id_y 0
		.amdhsa_system_sgpr_workgroup_id_z 0
		.amdhsa_system_sgpr_workgroup_info 0
		.amdhsa_system_vgpr_workitem_id 0
		.amdhsa_next_free_vgpr 1
		.amdhsa_next_free_sgpr 1
		.amdhsa_named_barrier_count 0
		.amdhsa_reserve_vcc 0
		.amdhsa_float_round_mode_32 0
		.amdhsa_float_round_mode_16_64 0
		.amdhsa_float_denorm_mode_32 3
		.amdhsa_float_denorm_mode_16_64 3
		.amdhsa_fp16_overflow 0
		.amdhsa_memory_ordered 1
		.amdhsa_forward_progress 1
		.amdhsa_inst_pref_size 0
		.amdhsa_round_robin_scheduling 0
		.amdhsa_exception_fp_ieee_invalid_op 0
		.amdhsa_exception_fp_denorm_src 0
		.amdhsa_exception_fp_ieee_div_zero 0
		.amdhsa_exception_fp_ieee_overflow 0
		.amdhsa_exception_fp_ieee_underflow 0
		.amdhsa_exception_fp_ieee_inexact 0
		.amdhsa_exception_int_div_zero 0
	.end_amdhsa_kernel
	.section	.text._ZN7rocprim17ROCPRIM_400000_NS6detail17trampoline_kernelINS0_13select_configILj256ELj13ELNS0_17block_load_methodE3ELS4_3ELS4_3ELNS0_20block_scan_algorithmE0ELj4294967295EEENS1_25partition_config_selectorILNS1_17partition_subalgoE4EjNS0_10empty_typeEbEEZZNS1_14partition_implILS8_4ELb0ES6_15HIP_vector_typeIjLj2EENS0_17counting_iteratorIjlEEPS9_SG_NS0_5tupleIJPjSI_NS0_16reverse_iteratorISI_EEEEENSH_IJSG_SG_SG_EEES9_SI_JZNS1_25segmented_radix_sort_implINS0_14default_configELb1EPKhPhPKlPlN2at6native12_GLOBAL__N_18offset_tEEE10hipError_tPvRmT1_PNSt15iterator_traitsIS12_E10value_typeET2_T3_PNS13_IS18_E10value_typeET4_jRbjT5_S1E_jjP12ihipStream_tbEUljE_ZNSN_ISO_Lb1ESQ_SR_ST_SU_SY_EESZ_S10_S11_S12_S16_S17_S18_S1B_S1C_jS1D_jS1E_S1E_jjS1G_bEUljE0_EEESZ_S10_S11_S18_S1C_S1E_T6_T7_T9_mT8_S1G_bDpT10_ENKUlT_T0_E_clISt17integral_constantIbLb0EES1U_EEDaS1P_S1Q_EUlS1P_E_NS1_11comp_targetILNS1_3genE9ELNS1_11target_archE1100ELNS1_3gpuE3ELNS1_3repE0EEENS1_30default_config_static_selectorELNS0_4arch9wavefront6targetE0EEEvS12_,"axG",@progbits,_ZN7rocprim17ROCPRIM_400000_NS6detail17trampoline_kernelINS0_13select_configILj256ELj13ELNS0_17block_load_methodE3ELS4_3ELS4_3ELNS0_20block_scan_algorithmE0ELj4294967295EEENS1_25partition_config_selectorILNS1_17partition_subalgoE4EjNS0_10empty_typeEbEEZZNS1_14partition_implILS8_4ELb0ES6_15HIP_vector_typeIjLj2EENS0_17counting_iteratorIjlEEPS9_SG_NS0_5tupleIJPjSI_NS0_16reverse_iteratorISI_EEEEENSH_IJSG_SG_SG_EEES9_SI_JZNS1_25segmented_radix_sort_implINS0_14default_configELb1EPKhPhPKlPlN2at6native12_GLOBAL__N_18offset_tEEE10hipError_tPvRmT1_PNSt15iterator_traitsIS12_E10value_typeET2_T3_PNS13_IS18_E10value_typeET4_jRbjT5_S1E_jjP12ihipStream_tbEUljE_ZNSN_ISO_Lb1ESQ_SR_ST_SU_SY_EESZ_S10_S11_S12_S16_S17_S18_S1B_S1C_jS1D_jS1E_S1E_jjS1G_bEUljE0_EEESZ_S10_S11_S18_S1C_S1E_T6_T7_T9_mT8_S1G_bDpT10_ENKUlT_T0_E_clISt17integral_constantIbLb0EES1U_EEDaS1P_S1Q_EUlS1P_E_NS1_11comp_targetILNS1_3genE9ELNS1_11target_archE1100ELNS1_3gpuE3ELNS1_3repE0EEENS1_30default_config_static_selectorELNS0_4arch9wavefront6targetE0EEEvS12_,comdat
.Lfunc_end10:
	.size	_ZN7rocprim17ROCPRIM_400000_NS6detail17trampoline_kernelINS0_13select_configILj256ELj13ELNS0_17block_load_methodE3ELS4_3ELS4_3ELNS0_20block_scan_algorithmE0ELj4294967295EEENS1_25partition_config_selectorILNS1_17partition_subalgoE4EjNS0_10empty_typeEbEEZZNS1_14partition_implILS8_4ELb0ES6_15HIP_vector_typeIjLj2EENS0_17counting_iteratorIjlEEPS9_SG_NS0_5tupleIJPjSI_NS0_16reverse_iteratorISI_EEEEENSH_IJSG_SG_SG_EEES9_SI_JZNS1_25segmented_radix_sort_implINS0_14default_configELb1EPKhPhPKlPlN2at6native12_GLOBAL__N_18offset_tEEE10hipError_tPvRmT1_PNSt15iterator_traitsIS12_E10value_typeET2_T3_PNS13_IS18_E10value_typeET4_jRbjT5_S1E_jjP12ihipStream_tbEUljE_ZNSN_ISO_Lb1ESQ_SR_ST_SU_SY_EESZ_S10_S11_S12_S16_S17_S18_S1B_S1C_jS1D_jS1E_S1E_jjS1G_bEUljE0_EEESZ_S10_S11_S18_S1C_S1E_T6_T7_T9_mT8_S1G_bDpT10_ENKUlT_T0_E_clISt17integral_constantIbLb0EES1U_EEDaS1P_S1Q_EUlS1P_E_NS1_11comp_targetILNS1_3genE9ELNS1_11target_archE1100ELNS1_3gpuE3ELNS1_3repE0EEENS1_30default_config_static_selectorELNS0_4arch9wavefront6targetE0EEEvS12_, .Lfunc_end10-_ZN7rocprim17ROCPRIM_400000_NS6detail17trampoline_kernelINS0_13select_configILj256ELj13ELNS0_17block_load_methodE3ELS4_3ELS4_3ELNS0_20block_scan_algorithmE0ELj4294967295EEENS1_25partition_config_selectorILNS1_17partition_subalgoE4EjNS0_10empty_typeEbEEZZNS1_14partition_implILS8_4ELb0ES6_15HIP_vector_typeIjLj2EENS0_17counting_iteratorIjlEEPS9_SG_NS0_5tupleIJPjSI_NS0_16reverse_iteratorISI_EEEEENSH_IJSG_SG_SG_EEES9_SI_JZNS1_25segmented_radix_sort_implINS0_14default_configELb1EPKhPhPKlPlN2at6native12_GLOBAL__N_18offset_tEEE10hipError_tPvRmT1_PNSt15iterator_traitsIS12_E10value_typeET2_T3_PNS13_IS18_E10value_typeET4_jRbjT5_S1E_jjP12ihipStream_tbEUljE_ZNSN_ISO_Lb1ESQ_SR_ST_SU_SY_EESZ_S10_S11_S12_S16_S17_S18_S1B_S1C_jS1D_jS1E_S1E_jjS1G_bEUljE0_EEESZ_S10_S11_S18_S1C_S1E_T6_T7_T9_mT8_S1G_bDpT10_ENKUlT_T0_E_clISt17integral_constantIbLb0EES1U_EEDaS1P_S1Q_EUlS1P_E_NS1_11comp_targetILNS1_3genE9ELNS1_11target_archE1100ELNS1_3gpuE3ELNS1_3repE0EEENS1_30default_config_static_selectorELNS0_4arch9wavefront6targetE0EEEvS12_
                                        ; -- End function
	.set _ZN7rocprim17ROCPRIM_400000_NS6detail17trampoline_kernelINS0_13select_configILj256ELj13ELNS0_17block_load_methodE3ELS4_3ELS4_3ELNS0_20block_scan_algorithmE0ELj4294967295EEENS1_25partition_config_selectorILNS1_17partition_subalgoE4EjNS0_10empty_typeEbEEZZNS1_14partition_implILS8_4ELb0ES6_15HIP_vector_typeIjLj2EENS0_17counting_iteratorIjlEEPS9_SG_NS0_5tupleIJPjSI_NS0_16reverse_iteratorISI_EEEEENSH_IJSG_SG_SG_EEES9_SI_JZNS1_25segmented_radix_sort_implINS0_14default_configELb1EPKhPhPKlPlN2at6native12_GLOBAL__N_18offset_tEEE10hipError_tPvRmT1_PNSt15iterator_traitsIS12_E10value_typeET2_T3_PNS13_IS18_E10value_typeET4_jRbjT5_S1E_jjP12ihipStream_tbEUljE_ZNSN_ISO_Lb1ESQ_SR_ST_SU_SY_EESZ_S10_S11_S12_S16_S17_S18_S1B_S1C_jS1D_jS1E_S1E_jjS1G_bEUljE0_EEESZ_S10_S11_S18_S1C_S1E_T6_T7_T9_mT8_S1G_bDpT10_ENKUlT_T0_E_clISt17integral_constantIbLb0EES1U_EEDaS1P_S1Q_EUlS1P_E_NS1_11comp_targetILNS1_3genE9ELNS1_11target_archE1100ELNS1_3gpuE3ELNS1_3repE0EEENS1_30default_config_static_selectorELNS0_4arch9wavefront6targetE0EEEvS12_.num_vgpr, 0
	.set _ZN7rocprim17ROCPRIM_400000_NS6detail17trampoline_kernelINS0_13select_configILj256ELj13ELNS0_17block_load_methodE3ELS4_3ELS4_3ELNS0_20block_scan_algorithmE0ELj4294967295EEENS1_25partition_config_selectorILNS1_17partition_subalgoE4EjNS0_10empty_typeEbEEZZNS1_14partition_implILS8_4ELb0ES6_15HIP_vector_typeIjLj2EENS0_17counting_iteratorIjlEEPS9_SG_NS0_5tupleIJPjSI_NS0_16reverse_iteratorISI_EEEEENSH_IJSG_SG_SG_EEES9_SI_JZNS1_25segmented_radix_sort_implINS0_14default_configELb1EPKhPhPKlPlN2at6native12_GLOBAL__N_18offset_tEEE10hipError_tPvRmT1_PNSt15iterator_traitsIS12_E10value_typeET2_T3_PNS13_IS18_E10value_typeET4_jRbjT5_S1E_jjP12ihipStream_tbEUljE_ZNSN_ISO_Lb1ESQ_SR_ST_SU_SY_EESZ_S10_S11_S12_S16_S17_S18_S1B_S1C_jS1D_jS1E_S1E_jjS1G_bEUljE0_EEESZ_S10_S11_S18_S1C_S1E_T6_T7_T9_mT8_S1G_bDpT10_ENKUlT_T0_E_clISt17integral_constantIbLb0EES1U_EEDaS1P_S1Q_EUlS1P_E_NS1_11comp_targetILNS1_3genE9ELNS1_11target_archE1100ELNS1_3gpuE3ELNS1_3repE0EEENS1_30default_config_static_selectorELNS0_4arch9wavefront6targetE0EEEvS12_.num_agpr, 0
	.set _ZN7rocprim17ROCPRIM_400000_NS6detail17trampoline_kernelINS0_13select_configILj256ELj13ELNS0_17block_load_methodE3ELS4_3ELS4_3ELNS0_20block_scan_algorithmE0ELj4294967295EEENS1_25partition_config_selectorILNS1_17partition_subalgoE4EjNS0_10empty_typeEbEEZZNS1_14partition_implILS8_4ELb0ES6_15HIP_vector_typeIjLj2EENS0_17counting_iteratorIjlEEPS9_SG_NS0_5tupleIJPjSI_NS0_16reverse_iteratorISI_EEEEENSH_IJSG_SG_SG_EEES9_SI_JZNS1_25segmented_radix_sort_implINS0_14default_configELb1EPKhPhPKlPlN2at6native12_GLOBAL__N_18offset_tEEE10hipError_tPvRmT1_PNSt15iterator_traitsIS12_E10value_typeET2_T3_PNS13_IS18_E10value_typeET4_jRbjT5_S1E_jjP12ihipStream_tbEUljE_ZNSN_ISO_Lb1ESQ_SR_ST_SU_SY_EESZ_S10_S11_S12_S16_S17_S18_S1B_S1C_jS1D_jS1E_S1E_jjS1G_bEUljE0_EEESZ_S10_S11_S18_S1C_S1E_T6_T7_T9_mT8_S1G_bDpT10_ENKUlT_T0_E_clISt17integral_constantIbLb0EES1U_EEDaS1P_S1Q_EUlS1P_E_NS1_11comp_targetILNS1_3genE9ELNS1_11target_archE1100ELNS1_3gpuE3ELNS1_3repE0EEENS1_30default_config_static_selectorELNS0_4arch9wavefront6targetE0EEEvS12_.numbered_sgpr, 0
	.set _ZN7rocprim17ROCPRIM_400000_NS6detail17trampoline_kernelINS0_13select_configILj256ELj13ELNS0_17block_load_methodE3ELS4_3ELS4_3ELNS0_20block_scan_algorithmE0ELj4294967295EEENS1_25partition_config_selectorILNS1_17partition_subalgoE4EjNS0_10empty_typeEbEEZZNS1_14partition_implILS8_4ELb0ES6_15HIP_vector_typeIjLj2EENS0_17counting_iteratorIjlEEPS9_SG_NS0_5tupleIJPjSI_NS0_16reverse_iteratorISI_EEEEENSH_IJSG_SG_SG_EEES9_SI_JZNS1_25segmented_radix_sort_implINS0_14default_configELb1EPKhPhPKlPlN2at6native12_GLOBAL__N_18offset_tEEE10hipError_tPvRmT1_PNSt15iterator_traitsIS12_E10value_typeET2_T3_PNS13_IS18_E10value_typeET4_jRbjT5_S1E_jjP12ihipStream_tbEUljE_ZNSN_ISO_Lb1ESQ_SR_ST_SU_SY_EESZ_S10_S11_S12_S16_S17_S18_S1B_S1C_jS1D_jS1E_S1E_jjS1G_bEUljE0_EEESZ_S10_S11_S18_S1C_S1E_T6_T7_T9_mT8_S1G_bDpT10_ENKUlT_T0_E_clISt17integral_constantIbLb0EES1U_EEDaS1P_S1Q_EUlS1P_E_NS1_11comp_targetILNS1_3genE9ELNS1_11target_archE1100ELNS1_3gpuE3ELNS1_3repE0EEENS1_30default_config_static_selectorELNS0_4arch9wavefront6targetE0EEEvS12_.num_named_barrier, 0
	.set _ZN7rocprim17ROCPRIM_400000_NS6detail17trampoline_kernelINS0_13select_configILj256ELj13ELNS0_17block_load_methodE3ELS4_3ELS4_3ELNS0_20block_scan_algorithmE0ELj4294967295EEENS1_25partition_config_selectorILNS1_17partition_subalgoE4EjNS0_10empty_typeEbEEZZNS1_14partition_implILS8_4ELb0ES6_15HIP_vector_typeIjLj2EENS0_17counting_iteratorIjlEEPS9_SG_NS0_5tupleIJPjSI_NS0_16reverse_iteratorISI_EEEEENSH_IJSG_SG_SG_EEES9_SI_JZNS1_25segmented_radix_sort_implINS0_14default_configELb1EPKhPhPKlPlN2at6native12_GLOBAL__N_18offset_tEEE10hipError_tPvRmT1_PNSt15iterator_traitsIS12_E10value_typeET2_T3_PNS13_IS18_E10value_typeET4_jRbjT5_S1E_jjP12ihipStream_tbEUljE_ZNSN_ISO_Lb1ESQ_SR_ST_SU_SY_EESZ_S10_S11_S12_S16_S17_S18_S1B_S1C_jS1D_jS1E_S1E_jjS1G_bEUljE0_EEESZ_S10_S11_S18_S1C_S1E_T6_T7_T9_mT8_S1G_bDpT10_ENKUlT_T0_E_clISt17integral_constantIbLb0EES1U_EEDaS1P_S1Q_EUlS1P_E_NS1_11comp_targetILNS1_3genE9ELNS1_11target_archE1100ELNS1_3gpuE3ELNS1_3repE0EEENS1_30default_config_static_selectorELNS0_4arch9wavefront6targetE0EEEvS12_.private_seg_size, 0
	.set _ZN7rocprim17ROCPRIM_400000_NS6detail17trampoline_kernelINS0_13select_configILj256ELj13ELNS0_17block_load_methodE3ELS4_3ELS4_3ELNS0_20block_scan_algorithmE0ELj4294967295EEENS1_25partition_config_selectorILNS1_17partition_subalgoE4EjNS0_10empty_typeEbEEZZNS1_14partition_implILS8_4ELb0ES6_15HIP_vector_typeIjLj2EENS0_17counting_iteratorIjlEEPS9_SG_NS0_5tupleIJPjSI_NS0_16reverse_iteratorISI_EEEEENSH_IJSG_SG_SG_EEES9_SI_JZNS1_25segmented_radix_sort_implINS0_14default_configELb1EPKhPhPKlPlN2at6native12_GLOBAL__N_18offset_tEEE10hipError_tPvRmT1_PNSt15iterator_traitsIS12_E10value_typeET2_T3_PNS13_IS18_E10value_typeET4_jRbjT5_S1E_jjP12ihipStream_tbEUljE_ZNSN_ISO_Lb1ESQ_SR_ST_SU_SY_EESZ_S10_S11_S12_S16_S17_S18_S1B_S1C_jS1D_jS1E_S1E_jjS1G_bEUljE0_EEESZ_S10_S11_S18_S1C_S1E_T6_T7_T9_mT8_S1G_bDpT10_ENKUlT_T0_E_clISt17integral_constantIbLb0EES1U_EEDaS1P_S1Q_EUlS1P_E_NS1_11comp_targetILNS1_3genE9ELNS1_11target_archE1100ELNS1_3gpuE3ELNS1_3repE0EEENS1_30default_config_static_selectorELNS0_4arch9wavefront6targetE0EEEvS12_.uses_vcc, 0
	.set _ZN7rocprim17ROCPRIM_400000_NS6detail17trampoline_kernelINS0_13select_configILj256ELj13ELNS0_17block_load_methodE3ELS4_3ELS4_3ELNS0_20block_scan_algorithmE0ELj4294967295EEENS1_25partition_config_selectorILNS1_17partition_subalgoE4EjNS0_10empty_typeEbEEZZNS1_14partition_implILS8_4ELb0ES6_15HIP_vector_typeIjLj2EENS0_17counting_iteratorIjlEEPS9_SG_NS0_5tupleIJPjSI_NS0_16reverse_iteratorISI_EEEEENSH_IJSG_SG_SG_EEES9_SI_JZNS1_25segmented_radix_sort_implINS0_14default_configELb1EPKhPhPKlPlN2at6native12_GLOBAL__N_18offset_tEEE10hipError_tPvRmT1_PNSt15iterator_traitsIS12_E10value_typeET2_T3_PNS13_IS18_E10value_typeET4_jRbjT5_S1E_jjP12ihipStream_tbEUljE_ZNSN_ISO_Lb1ESQ_SR_ST_SU_SY_EESZ_S10_S11_S12_S16_S17_S18_S1B_S1C_jS1D_jS1E_S1E_jjS1G_bEUljE0_EEESZ_S10_S11_S18_S1C_S1E_T6_T7_T9_mT8_S1G_bDpT10_ENKUlT_T0_E_clISt17integral_constantIbLb0EES1U_EEDaS1P_S1Q_EUlS1P_E_NS1_11comp_targetILNS1_3genE9ELNS1_11target_archE1100ELNS1_3gpuE3ELNS1_3repE0EEENS1_30default_config_static_selectorELNS0_4arch9wavefront6targetE0EEEvS12_.uses_flat_scratch, 0
	.set _ZN7rocprim17ROCPRIM_400000_NS6detail17trampoline_kernelINS0_13select_configILj256ELj13ELNS0_17block_load_methodE3ELS4_3ELS4_3ELNS0_20block_scan_algorithmE0ELj4294967295EEENS1_25partition_config_selectorILNS1_17partition_subalgoE4EjNS0_10empty_typeEbEEZZNS1_14partition_implILS8_4ELb0ES6_15HIP_vector_typeIjLj2EENS0_17counting_iteratorIjlEEPS9_SG_NS0_5tupleIJPjSI_NS0_16reverse_iteratorISI_EEEEENSH_IJSG_SG_SG_EEES9_SI_JZNS1_25segmented_radix_sort_implINS0_14default_configELb1EPKhPhPKlPlN2at6native12_GLOBAL__N_18offset_tEEE10hipError_tPvRmT1_PNSt15iterator_traitsIS12_E10value_typeET2_T3_PNS13_IS18_E10value_typeET4_jRbjT5_S1E_jjP12ihipStream_tbEUljE_ZNSN_ISO_Lb1ESQ_SR_ST_SU_SY_EESZ_S10_S11_S12_S16_S17_S18_S1B_S1C_jS1D_jS1E_S1E_jjS1G_bEUljE0_EEESZ_S10_S11_S18_S1C_S1E_T6_T7_T9_mT8_S1G_bDpT10_ENKUlT_T0_E_clISt17integral_constantIbLb0EES1U_EEDaS1P_S1Q_EUlS1P_E_NS1_11comp_targetILNS1_3genE9ELNS1_11target_archE1100ELNS1_3gpuE3ELNS1_3repE0EEENS1_30default_config_static_selectorELNS0_4arch9wavefront6targetE0EEEvS12_.has_dyn_sized_stack, 0
	.set _ZN7rocprim17ROCPRIM_400000_NS6detail17trampoline_kernelINS0_13select_configILj256ELj13ELNS0_17block_load_methodE3ELS4_3ELS4_3ELNS0_20block_scan_algorithmE0ELj4294967295EEENS1_25partition_config_selectorILNS1_17partition_subalgoE4EjNS0_10empty_typeEbEEZZNS1_14partition_implILS8_4ELb0ES6_15HIP_vector_typeIjLj2EENS0_17counting_iteratorIjlEEPS9_SG_NS0_5tupleIJPjSI_NS0_16reverse_iteratorISI_EEEEENSH_IJSG_SG_SG_EEES9_SI_JZNS1_25segmented_radix_sort_implINS0_14default_configELb1EPKhPhPKlPlN2at6native12_GLOBAL__N_18offset_tEEE10hipError_tPvRmT1_PNSt15iterator_traitsIS12_E10value_typeET2_T3_PNS13_IS18_E10value_typeET4_jRbjT5_S1E_jjP12ihipStream_tbEUljE_ZNSN_ISO_Lb1ESQ_SR_ST_SU_SY_EESZ_S10_S11_S12_S16_S17_S18_S1B_S1C_jS1D_jS1E_S1E_jjS1G_bEUljE0_EEESZ_S10_S11_S18_S1C_S1E_T6_T7_T9_mT8_S1G_bDpT10_ENKUlT_T0_E_clISt17integral_constantIbLb0EES1U_EEDaS1P_S1Q_EUlS1P_E_NS1_11comp_targetILNS1_3genE9ELNS1_11target_archE1100ELNS1_3gpuE3ELNS1_3repE0EEENS1_30default_config_static_selectorELNS0_4arch9wavefront6targetE0EEEvS12_.has_recursion, 0
	.set _ZN7rocprim17ROCPRIM_400000_NS6detail17trampoline_kernelINS0_13select_configILj256ELj13ELNS0_17block_load_methodE3ELS4_3ELS4_3ELNS0_20block_scan_algorithmE0ELj4294967295EEENS1_25partition_config_selectorILNS1_17partition_subalgoE4EjNS0_10empty_typeEbEEZZNS1_14partition_implILS8_4ELb0ES6_15HIP_vector_typeIjLj2EENS0_17counting_iteratorIjlEEPS9_SG_NS0_5tupleIJPjSI_NS0_16reverse_iteratorISI_EEEEENSH_IJSG_SG_SG_EEES9_SI_JZNS1_25segmented_radix_sort_implINS0_14default_configELb1EPKhPhPKlPlN2at6native12_GLOBAL__N_18offset_tEEE10hipError_tPvRmT1_PNSt15iterator_traitsIS12_E10value_typeET2_T3_PNS13_IS18_E10value_typeET4_jRbjT5_S1E_jjP12ihipStream_tbEUljE_ZNSN_ISO_Lb1ESQ_SR_ST_SU_SY_EESZ_S10_S11_S12_S16_S17_S18_S1B_S1C_jS1D_jS1E_S1E_jjS1G_bEUljE0_EEESZ_S10_S11_S18_S1C_S1E_T6_T7_T9_mT8_S1G_bDpT10_ENKUlT_T0_E_clISt17integral_constantIbLb0EES1U_EEDaS1P_S1Q_EUlS1P_E_NS1_11comp_targetILNS1_3genE9ELNS1_11target_archE1100ELNS1_3gpuE3ELNS1_3repE0EEENS1_30default_config_static_selectorELNS0_4arch9wavefront6targetE0EEEvS12_.has_indirect_call, 0
	.section	.AMDGPU.csdata,"",@progbits
; Kernel info:
; codeLenInByte = 0
; TotalNumSgprs: 0
; NumVgprs: 0
; ScratchSize: 0
; MemoryBound: 0
; FloatMode: 240
; IeeeMode: 1
; LDSByteSize: 0 bytes/workgroup (compile time only)
; SGPRBlocks: 0
; VGPRBlocks: 0
; NumSGPRsForWavesPerEU: 1
; NumVGPRsForWavesPerEU: 1
; NamedBarCnt: 0
; Occupancy: 16
; WaveLimiterHint : 0
; COMPUTE_PGM_RSRC2:SCRATCH_EN: 0
; COMPUTE_PGM_RSRC2:USER_SGPR: 2
; COMPUTE_PGM_RSRC2:TRAP_HANDLER: 0
; COMPUTE_PGM_RSRC2:TGID_X_EN: 1
; COMPUTE_PGM_RSRC2:TGID_Y_EN: 0
; COMPUTE_PGM_RSRC2:TGID_Z_EN: 0
; COMPUTE_PGM_RSRC2:TIDIG_COMP_CNT: 0
	.section	.text._ZN7rocprim17ROCPRIM_400000_NS6detail17trampoline_kernelINS0_13select_configILj256ELj13ELNS0_17block_load_methodE3ELS4_3ELS4_3ELNS0_20block_scan_algorithmE0ELj4294967295EEENS1_25partition_config_selectorILNS1_17partition_subalgoE4EjNS0_10empty_typeEbEEZZNS1_14partition_implILS8_4ELb0ES6_15HIP_vector_typeIjLj2EENS0_17counting_iteratorIjlEEPS9_SG_NS0_5tupleIJPjSI_NS0_16reverse_iteratorISI_EEEEENSH_IJSG_SG_SG_EEES9_SI_JZNS1_25segmented_radix_sort_implINS0_14default_configELb1EPKhPhPKlPlN2at6native12_GLOBAL__N_18offset_tEEE10hipError_tPvRmT1_PNSt15iterator_traitsIS12_E10value_typeET2_T3_PNS13_IS18_E10value_typeET4_jRbjT5_S1E_jjP12ihipStream_tbEUljE_ZNSN_ISO_Lb1ESQ_SR_ST_SU_SY_EESZ_S10_S11_S12_S16_S17_S18_S1B_S1C_jS1D_jS1E_S1E_jjS1G_bEUljE0_EEESZ_S10_S11_S18_S1C_S1E_T6_T7_T9_mT8_S1G_bDpT10_ENKUlT_T0_E_clISt17integral_constantIbLb0EES1U_EEDaS1P_S1Q_EUlS1P_E_NS1_11comp_targetILNS1_3genE8ELNS1_11target_archE1030ELNS1_3gpuE2ELNS1_3repE0EEENS1_30default_config_static_selectorELNS0_4arch9wavefront6targetE0EEEvS12_,"axG",@progbits,_ZN7rocprim17ROCPRIM_400000_NS6detail17trampoline_kernelINS0_13select_configILj256ELj13ELNS0_17block_load_methodE3ELS4_3ELS4_3ELNS0_20block_scan_algorithmE0ELj4294967295EEENS1_25partition_config_selectorILNS1_17partition_subalgoE4EjNS0_10empty_typeEbEEZZNS1_14partition_implILS8_4ELb0ES6_15HIP_vector_typeIjLj2EENS0_17counting_iteratorIjlEEPS9_SG_NS0_5tupleIJPjSI_NS0_16reverse_iteratorISI_EEEEENSH_IJSG_SG_SG_EEES9_SI_JZNS1_25segmented_radix_sort_implINS0_14default_configELb1EPKhPhPKlPlN2at6native12_GLOBAL__N_18offset_tEEE10hipError_tPvRmT1_PNSt15iterator_traitsIS12_E10value_typeET2_T3_PNS13_IS18_E10value_typeET4_jRbjT5_S1E_jjP12ihipStream_tbEUljE_ZNSN_ISO_Lb1ESQ_SR_ST_SU_SY_EESZ_S10_S11_S12_S16_S17_S18_S1B_S1C_jS1D_jS1E_S1E_jjS1G_bEUljE0_EEESZ_S10_S11_S18_S1C_S1E_T6_T7_T9_mT8_S1G_bDpT10_ENKUlT_T0_E_clISt17integral_constantIbLb0EES1U_EEDaS1P_S1Q_EUlS1P_E_NS1_11comp_targetILNS1_3genE8ELNS1_11target_archE1030ELNS1_3gpuE2ELNS1_3repE0EEENS1_30default_config_static_selectorELNS0_4arch9wavefront6targetE0EEEvS12_,comdat
	.globl	_ZN7rocprim17ROCPRIM_400000_NS6detail17trampoline_kernelINS0_13select_configILj256ELj13ELNS0_17block_load_methodE3ELS4_3ELS4_3ELNS0_20block_scan_algorithmE0ELj4294967295EEENS1_25partition_config_selectorILNS1_17partition_subalgoE4EjNS0_10empty_typeEbEEZZNS1_14partition_implILS8_4ELb0ES6_15HIP_vector_typeIjLj2EENS0_17counting_iteratorIjlEEPS9_SG_NS0_5tupleIJPjSI_NS0_16reverse_iteratorISI_EEEEENSH_IJSG_SG_SG_EEES9_SI_JZNS1_25segmented_radix_sort_implINS0_14default_configELb1EPKhPhPKlPlN2at6native12_GLOBAL__N_18offset_tEEE10hipError_tPvRmT1_PNSt15iterator_traitsIS12_E10value_typeET2_T3_PNS13_IS18_E10value_typeET4_jRbjT5_S1E_jjP12ihipStream_tbEUljE_ZNSN_ISO_Lb1ESQ_SR_ST_SU_SY_EESZ_S10_S11_S12_S16_S17_S18_S1B_S1C_jS1D_jS1E_S1E_jjS1G_bEUljE0_EEESZ_S10_S11_S18_S1C_S1E_T6_T7_T9_mT8_S1G_bDpT10_ENKUlT_T0_E_clISt17integral_constantIbLb0EES1U_EEDaS1P_S1Q_EUlS1P_E_NS1_11comp_targetILNS1_3genE8ELNS1_11target_archE1030ELNS1_3gpuE2ELNS1_3repE0EEENS1_30default_config_static_selectorELNS0_4arch9wavefront6targetE0EEEvS12_ ; -- Begin function _ZN7rocprim17ROCPRIM_400000_NS6detail17trampoline_kernelINS0_13select_configILj256ELj13ELNS0_17block_load_methodE3ELS4_3ELS4_3ELNS0_20block_scan_algorithmE0ELj4294967295EEENS1_25partition_config_selectorILNS1_17partition_subalgoE4EjNS0_10empty_typeEbEEZZNS1_14partition_implILS8_4ELb0ES6_15HIP_vector_typeIjLj2EENS0_17counting_iteratorIjlEEPS9_SG_NS0_5tupleIJPjSI_NS0_16reverse_iteratorISI_EEEEENSH_IJSG_SG_SG_EEES9_SI_JZNS1_25segmented_radix_sort_implINS0_14default_configELb1EPKhPhPKlPlN2at6native12_GLOBAL__N_18offset_tEEE10hipError_tPvRmT1_PNSt15iterator_traitsIS12_E10value_typeET2_T3_PNS13_IS18_E10value_typeET4_jRbjT5_S1E_jjP12ihipStream_tbEUljE_ZNSN_ISO_Lb1ESQ_SR_ST_SU_SY_EESZ_S10_S11_S12_S16_S17_S18_S1B_S1C_jS1D_jS1E_S1E_jjS1G_bEUljE0_EEESZ_S10_S11_S18_S1C_S1E_T6_T7_T9_mT8_S1G_bDpT10_ENKUlT_T0_E_clISt17integral_constantIbLb0EES1U_EEDaS1P_S1Q_EUlS1P_E_NS1_11comp_targetILNS1_3genE8ELNS1_11target_archE1030ELNS1_3gpuE2ELNS1_3repE0EEENS1_30default_config_static_selectorELNS0_4arch9wavefront6targetE0EEEvS12_
	.p2align	8
	.type	_ZN7rocprim17ROCPRIM_400000_NS6detail17trampoline_kernelINS0_13select_configILj256ELj13ELNS0_17block_load_methodE3ELS4_3ELS4_3ELNS0_20block_scan_algorithmE0ELj4294967295EEENS1_25partition_config_selectorILNS1_17partition_subalgoE4EjNS0_10empty_typeEbEEZZNS1_14partition_implILS8_4ELb0ES6_15HIP_vector_typeIjLj2EENS0_17counting_iteratorIjlEEPS9_SG_NS0_5tupleIJPjSI_NS0_16reverse_iteratorISI_EEEEENSH_IJSG_SG_SG_EEES9_SI_JZNS1_25segmented_radix_sort_implINS0_14default_configELb1EPKhPhPKlPlN2at6native12_GLOBAL__N_18offset_tEEE10hipError_tPvRmT1_PNSt15iterator_traitsIS12_E10value_typeET2_T3_PNS13_IS18_E10value_typeET4_jRbjT5_S1E_jjP12ihipStream_tbEUljE_ZNSN_ISO_Lb1ESQ_SR_ST_SU_SY_EESZ_S10_S11_S12_S16_S17_S18_S1B_S1C_jS1D_jS1E_S1E_jjS1G_bEUljE0_EEESZ_S10_S11_S18_S1C_S1E_T6_T7_T9_mT8_S1G_bDpT10_ENKUlT_T0_E_clISt17integral_constantIbLb0EES1U_EEDaS1P_S1Q_EUlS1P_E_NS1_11comp_targetILNS1_3genE8ELNS1_11target_archE1030ELNS1_3gpuE2ELNS1_3repE0EEENS1_30default_config_static_selectorELNS0_4arch9wavefront6targetE0EEEvS12_,@function
_ZN7rocprim17ROCPRIM_400000_NS6detail17trampoline_kernelINS0_13select_configILj256ELj13ELNS0_17block_load_methodE3ELS4_3ELS4_3ELNS0_20block_scan_algorithmE0ELj4294967295EEENS1_25partition_config_selectorILNS1_17partition_subalgoE4EjNS0_10empty_typeEbEEZZNS1_14partition_implILS8_4ELb0ES6_15HIP_vector_typeIjLj2EENS0_17counting_iteratorIjlEEPS9_SG_NS0_5tupleIJPjSI_NS0_16reverse_iteratorISI_EEEEENSH_IJSG_SG_SG_EEES9_SI_JZNS1_25segmented_radix_sort_implINS0_14default_configELb1EPKhPhPKlPlN2at6native12_GLOBAL__N_18offset_tEEE10hipError_tPvRmT1_PNSt15iterator_traitsIS12_E10value_typeET2_T3_PNS13_IS18_E10value_typeET4_jRbjT5_S1E_jjP12ihipStream_tbEUljE_ZNSN_ISO_Lb1ESQ_SR_ST_SU_SY_EESZ_S10_S11_S12_S16_S17_S18_S1B_S1C_jS1D_jS1E_S1E_jjS1G_bEUljE0_EEESZ_S10_S11_S18_S1C_S1E_T6_T7_T9_mT8_S1G_bDpT10_ENKUlT_T0_E_clISt17integral_constantIbLb0EES1U_EEDaS1P_S1Q_EUlS1P_E_NS1_11comp_targetILNS1_3genE8ELNS1_11target_archE1030ELNS1_3gpuE2ELNS1_3repE0EEENS1_30default_config_static_selectorELNS0_4arch9wavefront6targetE0EEEvS12_: ; @_ZN7rocprim17ROCPRIM_400000_NS6detail17trampoline_kernelINS0_13select_configILj256ELj13ELNS0_17block_load_methodE3ELS4_3ELS4_3ELNS0_20block_scan_algorithmE0ELj4294967295EEENS1_25partition_config_selectorILNS1_17partition_subalgoE4EjNS0_10empty_typeEbEEZZNS1_14partition_implILS8_4ELb0ES6_15HIP_vector_typeIjLj2EENS0_17counting_iteratorIjlEEPS9_SG_NS0_5tupleIJPjSI_NS0_16reverse_iteratorISI_EEEEENSH_IJSG_SG_SG_EEES9_SI_JZNS1_25segmented_radix_sort_implINS0_14default_configELb1EPKhPhPKlPlN2at6native12_GLOBAL__N_18offset_tEEE10hipError_tPvRmT1_PNSt15iterator_traitsIS12_E10value_typeET2_T3_PNS13_IS18_E10value_typeET4_jRbjT5_S1E_jjP12ihipStream_tbEUljE_ZNSN_ISO_Lb1ESQ_SR_ST_SU_SY_EESZ_S10_S11_S12_S16_S17_S18_S1B_S1C_jS1D_jS1E_S1E_jjS1G_bEUljE0_EEESZ_S10_S11_S18_S1C_S1E_T6_T7_T9_mT8_S1G_bDpT10_ENKUlT_T0_E_clISt17integral_constantIbLb0EES1U_EEDaS1P_S1Q_EUlS1P_E_NS1_11comp_targetILNS1_3genE8ELNS1_11target_archE1030ELNS1_3gpuE2ELNS1_3repE0EEENS1_30default_config_static_selectorELNS0_4arch9wavefront6targetE0EEEvS12_
; %bb.0:
	.section	.rodata,"a",@progbits
	.p2align	6, 0x0
	.amdhsa_kernel _ZN7rocprim17ROCPRIM_400000_NS6detail17trampoline_kernelINS0_13select_configILj256ELj13ELNS0_17block_load_methodE3ELS4_3ELS4_3ELNS0_20block_scan_algorithmE0ELj4294967295EEENS1_25partition_config_selectorILNS1_17partition_subalgoE4EjNS0_10empty_typeEbEEZZNS1_14partition_implILS8_4ELb0ES6_15HIP_vector_typeIjLj2EENS0_17counting_iteratorIjlEEPS9_SG_NS0_5tupleIJPjSI_NS0_16reverse_iteratorISI_EEEEENSH_IJSG_SG_SG_EEES9_SI_JZNS1_25segmented_radix_sort_implINS0_14default_configELb1EPKhPhPKlPlN2at6native12_GLOBAL__N_18offset_tEEE10hipError_tPvRmT1_PNSt15iterator_traitsIS12_E10value_typeET2_T3_PNS13_IS18_E10value_typeET4_jRbjT5_S1E_jjP12ihipStream_tbEUljE_ZNSN_ISO_Lb1ESQ_SR_ST_SU_SY_EESZ_S10_S11_S12_S16_S17_S18_S1B_S1C_jS1D_jS1E_S1E_jjS1G_bEUljE0_EEESZ_S10_S11_S18_S1C_S1E_T6_T7_T9_mT8_S1G_bDpT10_ENKUlT_T0_E_clISt17integral_constantIbLb0EES1U_EEDaS1P_S1Q_EUlS1P_E_NS1_11comp_targetILNS1_3genE8ELNS1_11target_archE1030ELNS1_3gpuE2ELNS1_3repE0EEENS1_30default_config_static_selectorELNS0_4arch9wavefront6targetE0EEEvS12_
		.amdhsa_group_segment_fixed_size 0
		.amdhsa_private_segment_fixed_size 0
		.amdhsa_kernarg_size 176
		.amdhsa_user_sgpr_count 2
		.amdhsa_user_sgpr_dispatch_ptr 0
		.amdhsa_user_sgpr_queue_ptr 0
		.amdhsa_user_sgpr_kernarg_segment_ptr 1
		.amdhsa_user_sgpr_dispatch_id 0
		.amdhsa_user_sgpr_kernarg_preload_length 0
		.amdhsa_user_sgpr_kernarg_preload_offset 0
		.amdhsa_user_sgpr_private_segment_size 0
		.amdhsa_wavefront_size32 1
		.amdhsa_uses_dynamic_stack 0
		.amdhsa_enable_private_segment 0
		.amdhsa_system_sgpr_workgroup_id_x 1
		.amdhsa_system_sgpr_workgroup_id_y 0
		.amdhsa_system_sgpr_workgroup_id_z 0
		.amdhsa_system_sgpr_workgroup_info 0
		.amdhsa_system_vgpr_workitem_id 0
		.amdhsa_next_free_vgpr 1
		.amdhsa_next_free_sgpr 1
		.amdhsa_named_barrier_count 0
		.amdhsa_reserve_vcc 0
		.amdhsa_float_round_mode_32 0
		.amdhsa_float_round_mode_16_64 0
		.amdhsa_float_denorm_mode_32 3
		.amdhsa_float_denorm_mode_16_64 3
		.amdhsa_fp16_overflow 0
		.amdhsa_memory_ordered 1
		.amdhsa_forward_progress 1
		.amdhsa_inst_pref_size 0
		.amdhsa_round_robin_scheduling 0
		.amdhsa_exception_fp_ieee_invalid_op 0
		.amdhsa_exception_fp_denorm_src 0
		.amdhsa_exception_fp_ieee_div_zero 0
		.amdhsa_exception_fp_ieee_overflow 0
		.amdhsa_exception_fp_ieee_underflow 0
		.amdhsa_exception_fp_ieee_inexact 0
		.amdhsa_exception_int_div_zero 0
	.end_amdhsa_kernel
	.section	.text._ZN7rocprim17ROCPRIM_400000_NS6detail17trampoline_kernelINS0_13select_configILj256ELj13ELNS0_17block_load_methodE3ELS4_3ELS4_3ELNS0_20block_scan_algorithmE0ELj4294967295EEENS1_25partition_config_selectorILNS1_17partition_subalgoE4EjNS0_10empty_typeEbEEZZNS1_14partition_implILS8_4ELb0ES6_15HIP_vector_typeIjLj2EENS0_17counting_iteratorIjlEEPS9_SG_NS0_5tupleIJPjSI_NS0_16reverse_iteratorISI_EEEEENSH_IJSG_SG_SG_EEES9_SI_JZNS1_25segmented_radix_sort_implINS0_14default_configELb1EPKhPhPKlPlN2at6native12_GLOBAL__N_18offset_tEEE10hipError_tPvRmT1_PNSt15iterator_traitsIS12_E10value_typeET2_T3_PNS13_IS18_E10value_typeET4_jRbjT5_S1E_jjP12ihipStream_tbEUljE_ZNSN_ISO_Lb1ESQ_SR_ST_SU_SY_EESZ_S10_S11_S12_S16_S17_S18_S1B_S1C_jS1D_jS1E_S1E_jjS1G_bEUljE0_EEESZ_S10_S11_S18_S1C_S1E_T6_T7_T9_mT8_S1G_bDpT10_ENKUlT_T0_E_clISt17integral_constantIbLb0EES1U_EEDaS1P_S1Q_EUlS1P_E_NS1_11comp_targetILNS1_3genE8ELNS1_11target_archE1030ELNS1_3gpuE2ELNS1_3repE0EEENS1_30default_config_static_selectorELNS0_4arch9wavefront6targetE0EEEvS12_,"axG",@progbits,_ZN7rocprim17ROCPRIM_400000_NS6detail17trampoline_kernelINS0_13select_configILj256ELj13ELNS0_17block_load_methodE3ELS4_3ELS4_3ELNS0_20block_scan_algorithmE0ELj4294967295EEENS1_25partition_config_selectorILNS1_17partition_subalgoE4EjNS0_10empty_typeEbEEZZNS1_14partition_implILS8_4ELb0ES6_15HIP_vector_typeIjLj2EENS0_17counting_iteratorIjlEEPS9_SG_NS0_5tupleIJPjSI_NS0_16reverse_iteratorISI_EEEEENSH_IJSG_SG_SG_EEES9_SI_JZNS1_25segmented_radix_sort_implINS0_14default_configELb1EPKhPhPKlPlN2at6native12_GLOBAL__N_18offset_tEEE10hipError_tPvRmT1_PNSt15iterator_traitsIS12_E10value_typeET2_T3_PNS13_IS18_E10value_typeET4_jRbjT5_S1E_jjP12ihipStream_tbEUljE_ZNSN_ISO_Lb1ESQ_SR_ST_SU_SY_EESZ_S10_S11_S12_S16_S17_S18_S1B_S1C_jS1D_jS1E_S1E_jjS1G_bEUljE0_EEESZ_S10_S11_S18_S1C_S1E_T6_T7_T9_mT8_S1G_bDpT10_ENKUlT_T0_E_clISt17integral_constantIbLb0EES1U_EEDaS1P_S1Q_EUlS1P_E_NS1_11comp_targetILNS1_3genE8ELNS1_11target_archE1030ELNS1_3gpuE2ELNS1_3repE0EEENS1_30default_config_static_selectorELNS0_4arch9wavefront6targetE0EEEvS12_,comdat
.Lfunc_end11:
	.size	_ZN7rocprim17ROCPRIM_400000_NS6detail17trampoline_kernelINS0_13select_configILj256ELj13ELNS0_17block_load_methodE3ELS4_3ELS4_3ELNS0_20block_scan_algorithmE0ELj4294967295EEENS1_25partition_config_selectorILNS1_17partition_subalgoE4EjNS0_10empty_typeEbEEZZNS1_14partition_implILS8_4ELb0ES6_15HIP_vector_typeIjLj2EENS0_17counting_iteratorIjlEEPS9_SG_NS0_5tupleIJPjSI_NS0_16reverse_iteratorISI_EEEEENSH_IJSG_SG_SG_EEES9_SI_JZNS1_25segmented_radix_sort_implINS0_14default_configELb1EPKhPhPKlPlN2at6native12_GLOBAL__N_18offset_tEEE10hipError_tPvRmT1_PNSt15iterator_traitsIS12_E10value_typeET2_T3_PNS13_IS18_E10value_typeET4_jRbjT5_S1E_jjP12ihipStream_tbEUljE_ZNSN_ISO_Lb1ESQ_SR_ST_SU_SY_EESZ_S10_S11_S12_S16_S17_S18_S1B_S1C_jS1D_jS1E_S1E_jjS1G_bEUljE0_EEESZ_S10_S11_S18_S1C_S1E_T6_T7_T9_mT8_S1G_bDpT10_ENKUlT_T0_E_clISt17integral_constantIbLb0EES1U_EEDaS1P_S1Q_EUlS1P_E_NS1_11comp_targetILNS1_3genE8ELNS1_11target_archE1030ELNS1_3gpuE2ELNS1_3repE0EEENS1_30default_config_static_selectorELNS0_4arch9wavefront6targetE0EEEvS12_, .Lfunc_end11-_ZN7rocprim17ROCPRIM_400000_NS6detail17trampoline_kernelINS0_13select_configILj256ELj13ELNS0_17block_load_methodE3ELS4_3ELS4_3ELNS0_20block_scan_algorithmE0ELj4294967295EEENS1_25partition_config_selectorILNS1_17partition_subalgoE4EjNS0_10empty_typeEbEEZZNS1_14partition_implILS8_4ELb0ES6_15HIP_vector_typeIjLj2EENS0_17counting_iteratorIjlEEPS9_SG_NS0_5tupleIJPjSI_NS0_16reverse_iteratorISI_EEEEENSH_IJSG_SG_SG_EEES9_SI_JZNS1_25segmented_radix_sort_implINS0_14default_configELb1EPKhPhPKlPlN2at6native12_GLOBAL__N_18offset_tEEE10hipError_tPvRmT1_PNSt15iterator_traitsIS12_E10value_typeET2_T3_PNS13_IS18_E10value_typeET4_jRbjT5_S1E_jjP12ihipStream_tbEUljE_ZNSN_ISO_Lb1ESQ_SR_ST_SU_SY_EESZ_S10_S11_S12_S16_S17_S18_S1B_S1C_jS1D_jS1E_S1E_jjS1G_bEUljE0_EEESZ_S10_S11_S18_S1C_S1E_T6_T7_T9_mT8_S1G_bDpT10_ENKUlT_T0_E_clISt17integral_constantIbLb0EES1U_EEDaS1P_S1Q_EUlS1P_E_NS1_11comp_targetILNS1_3genE8ELNS1_11target_archE1030ELNS1_3gpuE2ELNS1_3repE0EEENS1_30default_config_static_selectorELNS0_4arch9wavefront6targetE0EEEvS12_
                                        ; -- End function
	.set _ZN7rocprim17ROCPRIM_400000_NS6detail17trampoline_kernelINS0_13select_configILj256ELj13ELNS0_17block_load_methodE3ELS4_3ELS4_3ELNS0_20block_scan_algorithmE0ELj4294967295EEENS1_25partition_config_selectorILNS1_17partition_subalgoE4EjNS0_10empty_typeEbEEZZNS1_14partition_implILS8_4ELb0ES6_15HIP_vector_typeIjLj2EENS0_17counting_iteratorIjlEEPS9_SG_NS0_5tupleIJPjSI_NS0_16reverse_iteratorISI_EEEEENSH_IJSG_SG_SG_EEES9_SI_JZNS1_25segmented_radix_sort_implINS0_14default_configELb1EPKhPhPKlPlN2at6native12_GLOBAL__N_18offset_tEEE10hipError_tPvRmT1_PNSt15iterator_traitsIS12_E10value_typeET2_T3_PNS13_IS18_E10value_typeET4_jRbjT5_S1E_jjP12ihipStream_tbEUljE_ZNSN_ISO_Lb1ESQ_SR_ST_SU_SY_EESZ_S10_S11_S12_S16_S17_S18_S1B_S1C_jS1D_jS1E_S1E_jjS1G_bEUljE0_EEESZ_S10_S11_S18_S1C_S1E_T6_T7_T9_mT8_S1G_bDpT10_ENKUlT_T0_E_clISt17integral_constantIbLb0EES1U_EEDaS1P_S1Q_EUlS1P_E_NS1_11comp_targetILNS1_3genE8ELNS1_11target_archE1030ELNS1_3gpuE2ELNS1_3repE0EEENS1_30default_config_static_selectorELNS0_4arch9wavefront6targetE0EEEvS12_.num_vgpr, 0
	.set _ZN7rocprim17ROCPRIM_400000_NS6detail17trampoline_kernelINS0_13select_configILj256ELj13ELNS0_17block_load_methodE3ELS4_3ELS4_3ELNS0_20block_scan_algorithmE0ELj4294967295EEENS1_25partition_config_selectorILNS1_17partition_subalgoE4EjNS0_10empty_typeEbEEZZNS1_14partition_implILS8_4ELb0ES6_15HIP_vector_typeIjLj2EENS0_17counting_iteratorIjlEEPS9_SG_NS0_5tupleIJPjSI_NS0_16reverse_iteratorISI_EEEEENSH_IJSG_SG_SG_EEES9_SI_JZNS1_25segmented_radix_sort_implINS0_14default_configELb1EPKhPhPKlPlN2at6native12_GLOBAL__N_18offset_tEEE10hipError_tPvRmT1_PNSt15iterator_traitsIS12_E10value_typeET2_T3_PNS13_IS18_E10value_typeET4_jRbjT5_S1E_jjP12ihipStream_tbEUljE_ZNSN_ISO_Lb1ESQ_SR_ST_SU_SY_EESZ_S10_S11_S12_S16_S17_S18_S1B_S1C_jS1D_jS1E_S1E_jjS1G_bEUljE0_EEESZ_S10_S11_S18_S1C_S1E_T6_T7_T9_mT8_S1G_bDpT10_ENKUlT_T0_E_clISt17integral_constantIbLb0EES1U_EEDaS1P_S1Q_EUlS1P_E_NS1_11comp_targetILNS1_3genE8ELNS1_11target_archE1030ELNS1_3gpuE2ELNS1_3repE0EEENS1_30default_config_static_selectorELNS0_4arch9wavefront6targetE0EEEvS12_.num_agpr, 0
	.set _ZN7rocprim17ROCPRIM_400000_NS6detail17trampoline_kernelINS0_13select_configILj256ELj13ELNS0_17block_load_methodE3ELS4_3ELS4_3ELNS0_20block_scan_algorithmE0ELj4294967295EEENS1_25partition_config_selectorILNS1_17partition_subalgoE4EjNS0_10empty_typeEbEEZZNS1_14partition_implILS8_4ELb0ES6_15HIP_vector_typeIjLj2EENS0_17counting_iteratorIjlEEPS9_SG_NS0_5tupleIJPjSI_NS0_16reverse_iteratorISI_EEEEENSH_IJSG_SG_SG_EEES9_SI_JZNS1_25segmented_radix_sort_implINS0_14default_configELb1EPKhPhPKlPlN2at6native12_GLOBAL__N_18offset_tEEE10hipError_tPvRmT1_PNSt15iterator_traitsIS12_E10value_typeET2_T3_PNS13_IS18_E10value_typeET4_jRbjT5_S1E_jjP12ihipStream_tbEUljE_ZNSN_ISO_Lb1ESQ_SR_ST_SU_SY_EESZ_S10_S11_S12_S16_S17_S18_S1B_S1C_jS1D_jS1E_S1E_jjS1G_bEUljE0_EEESZ_S10_S11_S18_S1C_S1E_T6_T7_T9_mT8_S1G_bDpT10_ENKUlT_T0_E_clISt17integral_constantIbLb0EES1U_EEDaS1P_S1Q_EUlS1P_E_NS1_11comp_targetILNS1_3genE8ELNS1_11target_archE1030ELNS1_3gpuE2ELNS1_3repE0EEENS1_30default_config_static_selectorELNS0_4arch9wavefront6targetE0EEEvS12_.numbered_sgpr, 0
	.set _ZN7rocprim17ROCPRIM_400000_NS6detail17trampoline_kernelINS0_13select_configILj256ELj13ELNS0_17block_load_methodE3ELS4_3ELS4_3ELNS0_20block_scan_algorithmE0ELj4294967295EEENS1_25partition_config_selectorILNS1_17partition_subalgoE4EjNS0_10empty_typeEbEEZZNS1_14partition_implILS8_4ELb0ES6_15HIP_vector_typeIjLj2EENS0_17counting_iteratorIjlEEPS9_SG_NS0_5tupleIJPjSI_NS0_16reverse_iteratorISI_EEEEENSH_IJSG_SG_SG_EEES9_SI_JZNS1_25segmented_radix_sort_implINS0_14default_configELb1EPKhPhPKlPlN2at6native12_GLOBAL__N_18offset_tEEE10hipError_tPvRmT1_PNSt15iterator_traitsIS12_E10value_typeET2_T3_PNS13_IS18_E10value_typeET4_jRbjT5_S1E_jjP12ihipStream_tbEUljE_ZNSN_ISO_Lb1ESQ_SR_ST_SU_SY_EESZ_S10_S11_S12_S16_S17_S18_S1B_S1C_jS1D_jS1E_S1E_jjS1G_bEUljE0_EEESZ_S10_S11_S18_S1C_S1E_T6_T7_T9_mT8_S1G_bDpT10_ENKUlT_T0_E_clISt17integral_constantIbLb0EES1U_EEDaS1P_S1Q_EUlS1P_E_NS1_11comp_targetILNS1_3genE8ELNS1_11target_archE1030ELNS1_3gpuE2ELNS1_3repE0EEENS1_30default_config_static_selectorELNS0_4arch9wavefront6targetE0EEEvS12_.num_named_barrier, 0
	.set _ZN7rocprim17ROCPRIM_400000_NS6detail17trampoline_kernelINS0_13select_configILj256ELj13ELNS0_17block_load_methodE3ELS4_3ELS4_3ELNS0_20block_scan_algorithmE0ELj4294967295EEENS1_25partition_config_selectorILNS1_17partition_subalgoE4EjNS0_10empty_typeEbEEZZNS1_14partition_implILS8_4ELb0ES6_15HIP_vector_typeIjLj2EENS0_17counting_iteratorIjlEEPS9_SG_NS0_5tupleIJPjSI_NS0_16reverse_iteratorISI_EEEEENSH_IJSG_SG_SG_EEES9_SI_JZNS1_25segmented_radix_sort_implINS0_14default_configELb1EPKhPhPKlPlN2at6native12_GLOBAL__N_18offset_tEEE10hipError_tPvRmT1_PNSt15iterator_traitsIS12_E10value_typeET2_T3_PNS13_IS18_E10value_typeET4_jRbjT5_S1E_jjP12ihipStream_tbEUljE_ZNSN_ISO_Lb1ESQ_SR_ST_SU_SY_EESZ_S10_S11_S12_S16_S17_S18_S1B_S1C_jS1D_jS1E_S1E_jjS1G_bEUljE0_EEESZ_S10_S11_S18_S1C_S1E_T6_T7_T9_mT8_S1G_bDpT10_ENKUlT_T0_E_clISt17integral_constantIbLb0EES1U_EEDaS1P_S1Q_EUlS1P_E_NS1_11comp_targetILNS1_3genE8ELNS1_11target_archE1030ELNS1_3gpuE2ELNS1_3repE0EEENS1_30default_config_static_selectorELNS0_4arch9wavefront6targetE0EEEvS12_.private_seg_size, 0
	.set _ZN7rocprim17ROCPRIM_400000_NS6detail17trampoline_kernelINS0_13select_configILj256ELj13ELNS0_17block_load_methodE3ELS4_3ELS4_3ELNS0_20block_scan_algorithmE0ELj4294967295EEENS1_25partition_config_selectorILNS1_17partition_subalgoE4EjNS0_10empty_typeEbEEZZNS1_14partition_implILS8_4ELb0ES6_15HIP_vector_typeIjLj2EENS0_17counting_iteratorIjlEEPS9_SG_NS0_5tupleIJPjSI_NS0_16reverse_iteratorISI_EEEEENSH_IJSG_SG_SG_EEES9_SI_JZNS1_25segmented_radix_sort_implINS0_14default_configELb1EPKhPhPKlPlN2at6native12_GLOBAL__N_18offset_tEEE10hipError_tPvRmT1_PNSt15iterator_traitsIS12_E10value_typeET2_T3_PNS13_IS18_E10value_typeET4_jRbjT5_S1E_jjP12ihipStream_tbEUljE_ZNSN_ISO_Lb1ESQ_SR_ST_SU_SY_EESZ_S10_S11_S12_S16_S17_S18_S1B_S1C_jS1D_jS1E_S1E_jjS1G_bEUljE0_EEESZ_S10_S11_S18_S1C_S1E_T6_T7_T9_mT8_S1G_bDpT10_ENKUlT_T0_E_clISt17integral_constantIbLb0EES1U_EEDaS1P_S1Q_EUlS1P_E_NS1_11comp_targetILNS1_3genE8ELNS1_11target_archE1030ELNS1_3gpuE2ELNS1_3repE0EEENS1_30default_config_static_selectorELNS0_4arch9wavefront6targetE0EEEvS12_.uses_vcc, 0
	.set _ZN7rocprim17ROCPRIM_400000_NS6detail17trampoline_kernelINS0_13select_configILj256ELj13ELNS0_17block_load_methodE3ELS4_3ELS4_3ELNS0_20block_scan_algorithmE0ELj4294967295EEENS1_25partition_config_selectorILNS1_17partition_subalgoE4EjNS0_10empty_typeEbEEZZNS1_14partition_implILS8_4ELb0ES6_15HIP_vector_typeIjLj2EENS0_17counting_iteratorIjlEEPS9_SG_NS0_5tupleIJPjSI_NS0_16reverse_iteratorISI_EEEEENSH_IJSG_SG_SG_EEES9_SI_JZNS1_25segmented_radix_sort_implINS0_14default_configELb1EPKhPhPKlPlN2at6native12_GLOBAL__N_18offset_tEEE10hipError_tPvRmT1_PNSt15iterator_traitsIS12_E10value_typeET2_T3_PNS13_IS18_E10value_typeET4_jRbjT5_S1E_jjP12ihipStream_tbEUljE_ZNSN_ISO_Lb1ESQ_SR_ST_SU_SY_EESZ_S10_S11_S12_S16_S17_S18_S1B_S1C_jS1D_jS1E_S1E_jjS1G_bEUljE0_EEESZ_S10_S11_S18_S1C_S1E_T6_T7_T9_mT8_S1G_bDpT10_ENKUlT_T0_E_clISt17integral_constantIbLb0EES1U_EEDaS1P_S1Q_EUlS1P_E_NS1_11comp_targetILNS1_3genE8ELNS1_11target_archE1030ELNS1_3gpuE2ELNS1_3repE0EEENS1_30default_config_static_selectorELNS0_4arch9wavefront6targetE0EEEvS12_.uses_flat_scratch, 0
	.set _ZN7rocprim17ROCPRIM_400000_NS6detail17trampoline_kernelINS0_13select_configILj256ELj13ELNS0_17block_load_methodE3ELS4_3ELS4_3ELNS0_20block_scan_algorithmE0ELj4294967295EEENS1_25partition_config_selectorILNS1_17partition_subalgoE4EjNS0_10empty_typeEbEEZZNS1_14partition_implILS8_4ELb0ES6_15HIP_vector_typeIjLj2EENS0_17counting_iteratorIjlEEPS9_SG_NS0_5tupleIJPjSI_NS0_16reverse_iteratorISI_EEEEENSH_IJSG_SG_SG_EEES9_SI_JZNS1_25segmented_radix_sort_implINS0_14default_configELb1EPKhPhPKlPlN2at6native12_GLOBAL__N_18offset_tEEE10hipError_tPvRmT1_PNSt15iterator_traitsIS12_E10value_typeET2_T3_PNS13_IS18_E10value_typeET4_jRbjT5_S1E_jjP12ihipStream_tbEUljE_ZNSN_ISO_Lb1ESQ_SR_ST_SU_SY_EESZ_S10_S11_S12_S16_S17_S18_S1B_S1C_jS1D_jS1E_S1E_jjS1G_bEUljE0_EEESZ_S10_S11_S18_S1C_S1E_T6_T7_T9_mT8_S1G_bDpT10_ENKUlT_T0_E_clISt17integral_constantIbLb0EES1U_EEDaS1P_S1Q_EUlS1P_E_NS1_11comp_targetILNS1_3genE8ELNS1_11target_archE1030ELNS1_3gpuE2ELNS1_3repE0EEENS1_30default_config_static_selectorELNS0_4arch9wavefront6targetE0EEEvS12_.has_dyn_sized_stack, 0
	.set _ZN7rocprim17ROCPRIM_400000_NS6detail17trampoline_kernelINS0_13select_configILj256ELj13ELNS0_17block_load_methodE3ELS4_3ELS4_3ELNS0_20block_scan_algorithmE0ELj4294967295EEENS1_25partition_config_selectorILNS1_17partition_subalgoE4EjNS0_10empty_typeEbEEZZNS1_14partition_implILS8_4ELb0ES6_15HIP_vector_typeIjLj2EENS0_17counting_iteratorIjlEEPS9_SG_NS0_5tupleIJPjSI_NS0_16reverse_iteratorISI_EEEEENSH_IJSG_SG_SG_EEES9_SI_JZNS1_25segmented_radix_sort_implINS0_14default_configELb1EPKhPhPKlPlN2at6native12_GLOBAL__N_18offset_tEEE10hipError_tPvRmT1_PNSt15iterator_traitsIS12_E10value_typeET2_T3_PNS13_IS18_E10value_typeET4_jRbjT5_S1E_jjP12ihipStream_tbEUljE_ZNSN_ISO_Lb1ESQ_SR_ST_SU_SY_EESZ_S10_S11_S12_S16_S17_S18_S1B_S1C_jS1D_jS1E_S1E_jjS1G_bEUljE0_EEESZ_S10_S11_S18_S1C_S1E_T6_T7_T9_mT8_S1G_bDpT10_ENKUlT_T0_E_clISt17integral_constantIbLb0EES1U_EEDaS1P_S1Q_EUlS1P_E_NS1_11comp_targetILNS1_3genE8ELNS1_11target_archE1030ELNS1_3gpuE2ELNS1_3repE0EEENS1_30default_config_static_selectorELNS0_4arch9wavefront6targetE0EEEvS12_.has_recursion, 0
	.set _ZN7rocprim17ROCPRIM_400000_NS6detail17trampoline_kernelINS0_13select_configILj256ELj13ELNS0_17block_load_methodE3ELS4_3ELS4_3ELNS0_20block_scan_algorithmE0ELj4294967295EEENS1_25partition_config_selectorILNS1_17partition_subalgoE4EjNS0_10empty_typeEbEEZZNS1_14partition_implILS8_4ELb0ES6_15HIP_vector_typeIjLj2EENS0_17counting_iteratorIjlEEPS9_SG_NS0_5tupleIJPjSI_NS0_16reverse_iteratorISI_EEEEENSH_IJSG_SG_SG_EEES9_SI_JZNS1_25segmented_radix_sort_implINS0_14default_configELb1EPKhPhPKlPlN2at6native12_GLOBAL__N_18offset_tEEE10hipError_tPvRmT1_PNSt15iterator_traitsIS12_E10value_typeET2_T3_PNS13_IS18_E10value_typeET4_jRbjT5_S1E_jjP12ihipStream_tbEUljE_ZNSN_ISO_Lb1ESQ_SR_ST_SU_SY_EESZ_S10_S11_S12_S16_S17_S18_S1B_S1C_jS1D_jS1E_S1E_jjS1G_bEUljE0_EEESZ_S10_S11_S18_S1C_S1E_T6_T7_T9_mT8_S1G_bDpT10_ENKUlT_T0_E_clISt17integral_constantIbLb0EES1U_EEDaS1P_S1Q_EUlS1P_E_NS1_11comp_targetILNS1_3genE8ELNS1_11target_archE1030ELNS1_3gpuE2ELNS1_3repE0EEENS1_30default_config_static_selectorELNS0_4arch9wavefront6targetE0EEEvS12_.has_indirect_call, 0
	.section	.AMDGPU.csdata,"",@progbits
; Kernel info:
; codeLenInByte = 0
; TotalNumSgprs: 0
; NumVgprs: 0
; ScratchSize: 0
; MemoryBound: 0
; FloatMode: 240
; IeeeMode: 1
; LDSByteSize: 0 bytes/workgroup (compile time only)
; SGPRBlocks: 0
; VGPRBlocks: 0
; NumSGPRsForWavesPerEU: 1
; NumVGPRsForWavesPerEU: 1
; NamedBarCnt: 0
; Occupancy: 16
; WaveLimiterHint : 0
; COMPUTE_PGM_RSRC2:SCRATCH_EN: 0
; COMPUTE_PGM_RSRC2:USER_SGPR: 2
; COMPUTE_PGM_RSRC2:TRAP_HANDLER: 0
; COMPUTE_PGM_RSRC2:TGID_X_EN: 1
; COMPUTE_PGM_RSRC2:TGID_Y_EN: 0
; COMPUTE_PGM_RSRC2:TGID_Z_EN: 0
; COMPUTE_PGM_RSRC2:TIDIG_COMP_CNT: 0
	.section	.text._ZN7rocprim17ROCPRIM_400000_NS6detail17trampoline_kernelINS0_14default_configENS1_25transform_config_selectorImLb1EEEZNS1_14transform_implILb1ES3_S5_PmPjNS0_8identityIvEEEE10hipError_tT2_T3_mT4_P12ihipStream_tbEUlT_E_NS1_11comp_targetILNS1_3genE0ELNS1_11target_archE4294967295ELNS1_3gpuE0ELNS1_3repE0EEENS1_30default_config_static_selectorELNS0_4arch9wavefront6targetE0EEEvT1_,"axG",@progbits,_ZN7rocprim17ROCPRIM_400000_NS6detail17trampoline_kernelINS0_14default_configENS1_25transform_config_selectorImLb1EEEZNS1_14transform_implILb1ES3_S5_PmPjNS0_8identityIvEEEE10hipError_tT2_T3_mT4_P12ihipStream_tbEUlT_E_NS1_11comp_targetILNS1_3genE0ELNS1_11target_archE4294967295ELNS1_3gpuE0ELNS1_3repE0EEENS1_30default_config_static_selectorELNS0_4arch9wavefront6targetE0EEEvT1_,comdat
	.protected	_ZN7rocprim17ROCPRIM_400000_NS6detail17trampoline_kernelINS0_14default_configENS1_25transform_config_selectorImLb1EEEZNS1_14transform_implILb1ES3_S5_PmPjNS0_8identityIvEEEE10hipError_tT2_T3_mT4_P12ihipStream_tbEUlT_E_NS1_11comp_targetILNS1_3genE0ELNS1_11target_archE4294967295ELNS1_3gpuE0ELNS1_3repE0EEENS1_30default_config_static_selectorELNS0_4arch9wavefront6targetE0EEEvT1_ ; -- Begin function _ZN7rocprim17ROCPRIM_400000_NS6detail17trampoline_kernelINS0_14default_configENS1_25transform_config_selectorImLb1EEEZNS1_14transform_implILb1ES3_S5_PmPjNS0_8identityIvEEEE10hipError_tT2_T3_mT4_P12ihipStream_tbEUlT_E_NS1_11comp_targetILNS1_3genE0ELNS1_11target_archE4294967295ELNS1_3gpuE0ELNS1_3repE0EEENS1_30default_config_static_selectorELNS0_4arch9wavefront6targetE0EEEvT1_
	.globl	_ZN7rocprim17ROCPRIM_400000_NS6detail17trampoline_kernelINS0_14default_configENS1_25transform_config_selectorImLb1EEEZNS1_14transform_implILb1ES3_S5_PmPjNS0_8identityIvEEEE10hipError_tT2_T3_mT4_P12ihipStream_tbEUlT_E_NS1_11comp_targetILNS1_3genE0ELNS1_11target_archE4294967295ELNS1_3gpuE0ELNS1_3repE0EEENS1_30default_config_static_selectorELNS0_4arch9wavefront6targetE0EEEvT1_
	.p2align	8
	.type	_ZN7rocprim17ROCPRIM_400000_NS6detail17trampoline_kernelINS0_14default_configENS1_25transform_config_selectorImLb1EEEZNS1_14transform_implILb1ES3_S5_PmPjNS0_8identityIvEEEE10hipError_tT2_T3_mT4_P12ihipStream_tbEUlT_E_NS1_11comp_targetILNS1_3genE0ELNS1_11target_archE4294967295ELNS1_3gpuE0ELNS1_3repE0EEENS1_30default_config_static_selectorELNS0_4arch9wavefront6targetE0EEEvT1_,@function
_ZN7rocprim17ROCPRIM_400000_NS6detail17trampoline_kernelINS0_14default_configENS1_25transform_config_selectorImLb1EEEZNS1_14transform_implILb1ES3_S5_PmPjNS0_8identityIvEEEE10hipError_tT2_T3_mT4_P12ihipStream_tbEUlT_E_NS1_11comp_targetILNS1_3genE0ELNS1_11target_archE4294967295ELNS1_3gpuE0ELNS1_3repE0EEENS1_30default_config_static_selectorELNS0_4arch9wavefront6targetE0EEEvT1_: ; @_ZN7rocprim17ROCPRIM_400000_NS6detail17trampoline_kernelINS0_14default_configENS1_25transform_config_selectorImLb1EEEZNS1_14transform_implILb1ES3_S5_PmPjNS0_8identityIvEEEE10hipError_tT2_T3_mT4_P12ihipStream_tbEUlT_E_NS1_11comp_targetILNS1_3genE0ELNS1_11target_archE4294967295ELNS1_3gpuE0ELNS1_3repE0EEENS1_30default_config_static_selectorELNS0_4arch9wavefront6targetE0EEEvT1_
; %bb.0:
	s_clause 0x1
	s_load_b32 s2, s[0:1], 0x28
	s_load_b32 s3, s[0:1], 0x10
	s_bfe_u32 s4, ttmp6, 0x4000c
	s_and_b32 s5, ttmp6, 15
	s_add_co_i32 s4, s4, 1
	s_getreg_b32 s6, hwreg(HW_REG_IB_STS2, 6, 4)
	s_mul_i32 s4, ttmp9, s4
	s_delay_alu instid0(SALU_CYCLE_1)
	s_add_co_i32 s5, s5, s4
	s_cmp_eq_u32 s6, 0
	s_cselect_b32 s4, ttmp9, s5
	s_wait_kmcnt 0x0
	s_add_co_i32 s5, s2, -1
	s_lshl_b32 s2, s4, 7
	s_cmp_lg_u32 s4, s5
	s_cselect_b32 s4, -1, 0
	s_sub_co_i32 s3, s3, s2
	s_delay_alu instid0(SALU_CYCLE_1) | instskip(SKIP_2) | instid1(SALU_CYCLE_1)
	v_cmp_gt_u32_e32 vcc_lo, s3, v0
	s_mov_b32 s3, 0
	s_or_b32 s4, vcc_lo, s4
	s_and_saveexec_b32 s5, s4
	s_cbranch_execz .LBB12_2
; %bb.1:
	s_clause 0x1
	s_load_b128 s[4:7], s[0:1], 0x0
	s_load_b64 s[8:9], s[0:1], 0x18
	v_lshlrev_b32_e32 v1, 3, v0
	s_wait_kmcnt 0x0
	s_lshl_b64 s[0:1], s[6:7], 3
	s_delay_alu instid0(SALU_CYCLE_1)
	s_add_nc_u64 s[0:1], s[4:5], s[0:1]
	s_lshl_b64 s[4:5], s[2:3], 3
	s_lshl_b64 s[2:3], s[2:3], 2
	s_add_nc_u64 s[0:1], s[0:1], s[4:5]
	global_load_b32 v1, v1, s[0:1]
	s_wait_xcnt 0x0
	s_lshl_b64 s[0:1], s[6:7], 2
	s_delay_alu instid0(SALU_CYCLE_1) | instskip(NEXT) | instid1(SALU_CYCLE_1)
	s_add_nc_u64 s[0:1], s[8:9], s[0:1]
	s_add_nc_u64 s[0:1], s[0:1], s[2:3]
	s_wait_loadcnt 0x0
	global_store_b32 v0, v1, s[0:1] scale_offset
.LBB12_2:
	s_endpgm
	.section	.rodata,"a",@progbits
	.p2align	6, 0x0
	.amdhsa_kernel _ZN7rocprim17ROCPRIM_400000_NS6detail17trampoline_kernelINS0_14default_configENS1_25transform_config_selectorImLb1EEEZNS1_14transform_implILb1ES3_S5_PmPjNS0_8identityIvEEEE10hipError_tT2_T3_mT4_P12ihipStream_tbEUlT_E_NS1_11comp_targetILNS1_3genE0ELNS1_11target_archE4294967295ELNS1_3gpuE0ELNS1_3repE0EEENS1_30default_config_static_selectorELNS0_4arch9wavefront6targetE0EEEvT1_
		.amdhsa_group_segment_fixed_size 0
		.amdhsa_private_segment_fixed_size 0
		.amdhsa_kernarg_size 296
		.amdhsa_user_sgpr_count 2
		.amdhsa_user_sgpr_dispatch_ptr 0
		.amdhsa_user_sgpr_queue_ptr 0
		.amdhsa_user_sgpr_kernarg_segment_ptr 1
		.amdhsa_user_sgpr_dispatch_id 0
		.amdhsa_user_sgpr_kernarg_preload_length 0
		.amdhsa_user_sgpr_kernarg_preload_offset 0
		.amdhsa_user_sgpr_private_segment_size 0
		.amdhsa_wavefront_size32 1
		.amdhsa_uses_dynamic_stack 0
		.amdhsa_enable_private_segment 0
		.amdhsa_system_sgpr_workgroup_id_x 1
		.amdhsa_system_sgpr_workgroup_id_y 0
		.amdhsa_system_sgpr_workgroup_id_z 0
		.amdhsa_system_sgpr_workgroup_info 0
		.amdhsa_system_vgpr_workitem_id 0
		.amdhsa_next_free_vgpr 2
		.amdhsa_next_free_sgpr 10
		.amdhsa_named_barrier_count 0
		.amdhsa_reserve_vcc 1
		.amdhsa_float_round_mode_32 0
		.amdhsa_float_round_mode_16_64 0
		.amdhsa_float_denorm_mode_32 3
		.amdhsa_float_denorm_mode_16_64 3
		.amdhsa_fp16_overflow 0
		.amdhsa_memory_ordered 1
		.amdhsa_forward_progress 1
		.amdhsa_inst_pref_size 2
		.amdhsa_round_robin_scheduling 0
		.amdhsa_exception_fp_ieee_invalid_op 0
		.amdhsa_exception_fp_denorm_src 0
		.amdhsa_exception_fp_ieee_div_zero 0
		.amdhsa_exception_fp_ieee_overflow 0
		.amdhsa_exception_fp_ieee_underflow 0
		.amdhsa_exception_fp_ieee_inexact 0
		.amdhsa_exception_int_div_zero 0
	.end_amdhsa_kernel
	.section	.text._ZN7rocprim17ROCPRIM_400000_NS6detail17trampoline_kernelINS0_14default_configENS1_25transform_config_selectorImLb1EEEZNS1_14transform_implILb1ES3_S5_PmPjNS0_8identityIvEEEE10hipError_tT2_T3_mT4_P12ihipStream_tbEUlT_E_NS1_11comp_targetILNS1_3genE0ELNS1_11target_archE4294967295ELNS1_3gpuE0ELNS1_3repE0EEENS1_30default_config_static_selectorELNS0_4arch9wavefront6targetE0EEEvT1_,"axG",@progbits,_ZN7rocprim17ROCPRIM_400000_NS6detail17trampoline_kernelINS0_14default_configENS1_25transform_config_selectorImLb1EEEZNS1_14transform_implILb1ES3_S5_PmPjNS0_8identityIvEEEE10hipError_tT2_T3_mT4_P12ihipStream_tbEUlT_E_NS1_11comp_targetILNS1_3genE0ELNS1_11target_archE4294967295ELNS1_3gpuE0ELNS1_3repE0EEENS1_30default_config_static_selectorELNS0_4arch9wavefront6targetE0EEEvT1_,comdat
.Lfunc_end12:
	.size	_ZN7rocprim17ROCPRIM_400000_NS6detail17trampoline_kernelINS0_14default_configENS1_25transform_config_selectorImLb1EEEZNS1_14transform_implILb1ES3_S5_PmPjNS0_8identityIvEEEE10hipError_tT2_T3_mT4_P12ihipStream_tbEUlT_E_NS1_11comp_targetILNS1_3genE0ELNS1_11target_archE4294967295ELNS1_3gpuE0ELNS1_3repE0EEENS1_30default_config_static_selectorELNS0_4arch9wavefront6targetE0EEEvT1_, .Lfunc_end12-_ZN7rocprim17ROCPRIM_400000_NS6detail17trampoline_kernelINS0_14default_configENS1_25transform_config_selectorImLb1EEEZNS1_14transform_implILb1ES3_S5_PmPjNS0_8identityIvEEEE10hipError_tT2_T3_mT4_P12ihipStream_tbEUlT_E_NS1_11comp_targetILNS1_3genE0ELNS1_11target_archE4294967295ELNS1_3gpuE0ELNS1_3repE0EEENS1_30default_config_static_selectorELNS0_4arch9wavefront6targetE0EEEvT1_
                                        ; -- End function
	.set _ZN7rocprim17ROCPRIM_400000_NS6detail17trampoline_kernelINS0_14default_configENS1_25transform_config_selectorImLb1EEEZNS1_14transform_implILb1ES3_S5_PmPjNS0_8identityIvEEEE10hipError_tT2_T3_mT4_P12ihipStream_tbEUlT_E_NS1_11comp_targetILNS1_3genE0ELNS1_11target_archE4294967295ELNS1_3gpuE0ELNS1_3repE0EEENS1_30default_config_static_selectorELNS0_4arch9wavefront6targetE0EEEvT1_.num_vgpr, 2
	.set _ZN7rocprim17ROCPRIM_400000_NS6detail17trampoline_kernelINS0_14default_configENS1_25transform_config_selectorImLb1EEEZNS1_14transform_implILb1ES3_S5_PmPjNS0_8identityIvEEEE10hipError_tT2_T3_mT4_P12ihipStream_tbEUlT_E_NS1_11comp_targetILNS1_3genE0ELNS1_11target_archE4294967295ELNS1_3gpuE0ELNS1_3repE0EEENS1_30default_config_static_selectorELNS0_4arch9wavefront6targetE0EEEvT1_.num_agpr, 0
	.set _ZN7rocprim17ROCPRIM_400000_NS6detail17trampoline_kernelINS0_14default_configENS1_25transform_config_selectorImLb1EEEZNS1_14transform_implILb1ES3_S5_PmPjNS0_8identityIvEEEE10hipError_tT2_T3_mT4_P12ihipStream_tbEUlT_E_NS1_11comp_targetILNS1_3genE0ELNS1_11target_archE4294967295ELNS1_3gpuE0ELNS1_3repE0EEENS1_30default_config_static_selectorELNS0_4arch9wavefront6targetE0EEEvT1_.numbered_sgpr, 10
	.set _ZN7rocprim17ROCPRIM_400000_NS6detail17trampoline_kernelINS0_14default_configENS1_25transform_config_selectorImLb1EEEZNS1_14transform_implILb1ES3_S5_PmPjNS0_8identityIvEEEE10hipError_tT2_T3_mT4_P12ihipStream_tbEUlT_E_NS1_11comp_targetILNS1_3genE0ELNS1_11target_archE4294967295ELNS1_3gpuE0ELNS1_3repE0EEENS1_30default_config_static_selectorELNS0_4arch9wavefront6targetE0EEEvT1_.num_named_barrier, 0
	.set _ZN7rocprim17ROCPRIM_400000_NS6detail17trampoline_kernelINS0_14default_configENS1_25transform_config_selectorImLb1EEEZNS1_14transform_implILb1ES3_S5_PmPjNS0_8identityIvEEEE10hipError_tT2_T3_mT4_P12ihipStream_tbEUlT_E_NS1_11comp_targetILNS1_3genE0ELNS1_11target_archE4294967295ELNS1_3gpuE0ELNS1_3repE0EEENS1_30default_config_static_selectorELNS0_4arch9wavefront6targetE0EEEvT1_.private_seg_size, 0
	.set _ZN7rocprim17ROCPRIM_400000_NS6detail17trampoline_kernelINS0_14default_configENS1_25transform_config_selectorImLb1EEEZNS1_14transform_implILb1ES3_S5_PmPjNS0_8identityIvEEEE10hipError_tT2_T3_mT4_P12ihipStream_tbEUlT_E_NS1_11comp_targetILNS1_3genE0ELNS1_11target_archE4294967295ELNS1_3gpuE0ELNS1_3repE0EEENS1_30default_config_static_selectorELNS0_4arch9wavefront6targetE0EEEvT1_.uses_vcc, 1
	.set _ZN7rocprim17ROCPRIM_400000_NS6detail17trampoline_kernelINS0_14default_configENS1_25transform_config_selectorImLb1EEEZNS1_14transform_implILb1ES3_S5_PmPjNS0_8identityIvEEEE10hipError_tT2_T3_mT4_P12ihipStream_tbEUlT_E_NS1_11comp_targetILNS1_3genE0ELNS1_11target_archE4294967295ELNS1_3gpuE0ELNS1_3repE0EEENS1_30default_config_static_selectorELNS0_4arch9wavefront6targetE0EEEvT1_.uses_flat_scratch, 0
	.set _ZN7rocprim17ROCPRIM_400000_NS6detail17trampoline_kernelINS0_14default_configENS1_25transform_config_selectorImLb1EEEZNS1_14transform_implILb1ES3_S5_PmPjNS0_8identityIvEEEE10hipError_tT2_T3_mT4_P12ihipStream_tbEUlT_E_NS1_11comp_targetILNS1_3genE0ELNS1_11target_archE4294967295ELNS1_3gpuE0ELNS1_3repE0EEENS1_30default_config_static_selectorELNS0_4arch9wavefront6targetE0EEEvT1_.has_dyn_sized_stack, 0
	.set _ZN7rocprim17ROCPRIM_400000_NS6detail17trampoline_kernelINS0_14default_configENS1_25transform_config_selectorImLb1EEEZNS1_14transform_implILb1ES3_S5_PmPjNS0_8identityIvEEEE10hipError_tT2_T3_mT4_P12ihipStream_tbEUlT_E_NS1_11comp_targetILNS1_3genE0ELNS1_11target_archE4294967295ELNS1_3gpuE0ELNS1_3repE0EEENS1_30default_config_static_selectorELNS0_4arch9wavefront6targetE0EEEvT1_.has_recursion, 0
	.set _ZN7rocprim17ROCPRIM_400000_NS6detail17trampoline_kernelINS0_14default_configENS1_25transform_config_selectorImLb1EEEZNS1_14transform_implILb1ES3_S5_PmPjNS0_8identityIvEEEE10hipError_tT2_T3_mT4_P12ihipStream_tbEUlT_E_NS1_11comp_targetILNS1_3genE0ELNS1_11target_archE4294967295ELNS1_3gpuE0ELNS1_3repE0EEENS1_30default_config_static_selectorELNS0_4arch9wavefront6targetE0EEEvT1_.has_indirect_call, 0
	.section	.AMDGPU.csdata,"",@progbits
; Kernel info:
; codeLenInByte = 212
; TotalNumSgprs: 12
; NumVgprs: 2
; ScratchSize: 0
; MemoryBound: 0
; FloatMode: 240
; IeeeMode: 1
; LDSByteSize: 0 bytes/workgroup (compile time only)
; SGPRBlocks: 0
; VGPRBlocks: 0
; NumSGPRsForWavesPerEU: 12
; NumVGPRsForWavesPerEU: 2
; NamedBarCnt: 0
; Occupancy: 16
; WaveLimiterHint : 0
; COMPUTE_PGM_RSRC2:SCRATCH_EN: 0
; COMPUTE_PGM_RSRC2:USER_SGPR: 2
; COMPUTE_PGM_RSRC2:TRAP_HANDLER: 0
; COMPUTE_PGM_RSRC2:TGID_X_EN: 1
; COMPUTE_PGM_RSRC2:TGID_Y_EN: 0
; COMPUTE_PGM_RSRC2:TGID_Z_EN: 0
; COMPUTE_PGM_RSRC2:TIDIG_COMP_CNT: 0
	.section	.text._ZN7rocprim17ROCPRIM_400000_NS6detail17trampoline_kernelINS0_14default_configENS1_25transform_config_selectorImLb1EEEZNS1_14transform_implILb1ES3_S5_PmPjNS0_8identityIvEEEE10hipError_tT2_T3_mT4_P12ihipStream_tbEUlT_E_NS1_11comp_targetILNS1_3genE10ELNS1_11target_archE1201ELNS1_3gpuE5ELNS1_3repE0EEENS1_30default_config_static_selectorELNS0_4arch9wavefront6targetE0EEEvT1_,"axG",@progbits,_ZN7rocprim17ROCPRIM_400000_NS6detail17trampoline_kernelINS0_14default_configENS1_25transform_config_selectorImLb1EEEZNS1_14transform_implILb1ES3_S5_PmPjNS0_8identityIvEEEE10hipError_tT2_T3_mT4_P12ihipStream_tbEUlT_E_NS1_11comp_targetILNS1_3genE10ELNS1_11target_archE1201ELNS1_3gpuE5ELNS1_3repE0EEENS1_30default_config_static_selectorELNS0_4arch9wavefront6targetE0EEEvT1_,comdat
	.protected	_ZN7rocprim17ROCPRIM_400000_NS6detail17trampoline_kernelINS0_14default_configENS1_25transform_config_selectorImLb1EEEZNS1_14transform_implILb1ES3_S5_PmPjNS0_8identityIvEEEE10hipError_tT2_T3_mT4_P12ihipStream_tbEUlT_E_NS1_11comp_targetILNS1_3genE10ELNS1_11target_archE1201ELNS1_3gpuE5ELNS1_3repE0EEENS1_30default_config_static_selectorELNS0_4arch9wavefront6targetE0EEEvT1_ ; -- Begin function _ZN7rocprim17ROCPRIM_400000_NS6detail17trampoline_kernelINS0_14default_configENS1_25transform_config_selectorImLb1EEEZNS1_14transform_implILb1ES3_S5_PmPjNS0_8identityIvEEEE10hipError_tT2_T3_mT4_P12ihipStream_tbEUlT_E_NS1_11comp_targetILNS1_3genE10ELNS1_11target_archE1201ELNS1_3gpuE5ELNS1_3repE0EEENS1_30default_config_static_selectorELNS0_4arch9wavefront6targetE0EEEvT1_
	.globl	_ZN7rocprim17ROCPRIM_400000_NS6detail17trampoline_kernelINS0_14default_configENS1_25transform_config_selectorImLb1EEEZNS1_14transform_implILb1ES3_S5_PmPjNS0_8identityIvEEEE10hipError_tT2_T3_mT4_P12ihipStream_tbEUlT_E_NS1_11comp_targetILNS1_3genE10ELNS1_11target_archE1201ELNS1_3gpuE5ELNS1_3repE0EEENS1_30default_config_static_selectorELNS0_4arch9wavefront6targetE0EEEvT1_
	.p2align	8
	.type	_ZN7rocprim17ROCPRIM_400000_NS6detail17trampoline_kernelINS0_14default_configENS1_25transform_config_selectorImLb1EEEZNS1_14transform_implILb1ES3_S5_PmPjNS0_8identityIvEEEE10hipError_tT2_T3_mT4_P12ihipStream_tbEUlT_E_NS1_11comp_targetILNS1_3genE10ELNS1_11target_archE1201ELNS1_3gpuE5ELNS1_3repE0EEENS1_30default_config_static_selectorELNS0_4arch9wavefront6targetE0EEEvT1_,@function
_ZN7rocprim17ROCPRIM_400000_NS6detail17trampoline_kernelINS0_14default_configENS1_25transform_config_selectorImLb1EEEZNS1_14transform_implILb1ES3_S5_PmPjNS0_8identityIvEEEE10hipError_tT2_T3_mT4_P12ihipStream_tbEUlT_E_NS1_11comp_targetILNS1_3genE10ELNS1_11target_archE1201ELNS1_3gpuE5ELNS1_3repE0EEENS1_30default_config_static_selectorELNS0_4arch9wavefront6targetE0EEEvT1_: ; @_ZN7rocprim17ROCPRIM_400000_NS6detail17trampoline_kernelINS0_14default_configENS1_25transform_config_selectorImLb1EEEZNS1_14transform_implILb1ES3_S5_PmPjNS0_8identityIvEEEE10hipError_tT2_T3_mT4_P12ihipStream_tbEUlT_E_NS1_11comp_targetILNS1_3genE10ELNS1_11target_archE1201ELNS1_3gpuE5ELNS1_3repE0EEENS1_30default_config_static_selectorELNS0_4arch9wavefront6targetE0EEEvT1_
; %bb.0:
	.section	.rodata,"a",@progbits
	.p2align	6, 0x0
	.amdhsa_kernel _ZN7rocprim17ROCPRIM_400000_NS6detail17trampoline_kernelINS0_14default_configENS1_25transform_config_selectorImLb1EEEZNS1_14transform_implILb1ES3_S5_PmPjNS0_8identityIvEEEE10hipError_tT2_T3_mT4_P12ihipStream_tbEUlT_E_NS1_11comp_targetILNS1_3genE10ELNS1_11target_archE1201ELNS1_3gpuE5ELNS1_3repE0EEENS1_30default_config_static_selectorELNS0_4arch9wavefront6targetE0EEEvT1_
		.amdhsa_group_segment_fixed_size 0
		.amdhsa_private_segment_fixed_size 0
		.amdhsa_kernarg_size 40
		.amdhsa_user_sgpr_count 2
		.amdhsa_user_sgpr_dispatch_ptr 0
		.amdhsa_user_sgpr_queue_ptr 0
		.amdhsa_user_sgpr_kernarg_segment_ptr 1
		.amdhsa_user_sgpr_dispatch_id 0
		.amdhsa_user_sgpr_kernarg_preload_length 0
		.amdhsa_user_sgpr_kernarg_preload_offset 0
		.amdhsa_user_sgpr_private_segment_size 0
		.amdhsa_wavefront_size32 1
		.amdhsa_uses_dynamic_stack 0
		.amdhsa_enable_private_segment 0
		.amdhsa_system_sgpr_workgroup_id_x 1
		.amdhsa_system_sgpr_workgroup_id_y 0
		.amdhsa_system_sgpr_workgroup_id_z 0
		.amdhsa_system_sgpr_workgroup_info 0
		.amdhsa_system_vgpr_workitem_id 0
		.amdhsa_next_free_vgpr 1
		.amdhsa_next_free_sgpr 1
		.amdhsa_named_barrier_count 0
		.amdhsa_reserve_vcc 0
		.amdhsa_float_round_mode_32 0
		.amdhsa_float_round_mode_16_64 0
		.amdhsa_float_denorm_mode_32 3
		.amdhsa_float_denorm_mode_16_64 3
		.amdhsa_fp16_overflow 0
		.amdhsa_memory_ordered 1
		.amdhsa_forward_progress 1
		.amdhsa_inst_pref_size 0
		.amdhsa_round_robin_scheduling 0
		.amdhsa_exception_fp_ieee_invalid_op 0
		.amdhsa_exception_fp_denorm_src 0
		.amdhsa_exception_fp_ieee_div_zero 0
		.amdhsa_exception_fp_ieee_overflow 0
		.amdhsa_exception_fp_ieee_underflow 0
		.amdhsa_exception_fp_ieee_inexact 0
		.amdhsa_exception_int_div_zero 0
	.end_amdhsa_kernel
	.section	.text._ZN7rocprim17ROCPRIM_400000_NS6detail17trampoline_kernelINS0_14default_configENS1_25transform_config_selectorImLb1EEEZNS1_14transform_implILb1ES3_S5_PmPjNS0_8identityIvEEEE10hipError_tT2_T3_mT4_P12ihipStream_tbEUlT_E_NS1_11comp_targetILNS1_3genE10ELNS1_11target_archE1201ELNS1_3gpuE5ELNS1_3repE0EEENS1_30default_config_static_selectorELNS0_4arch9wavefront6targetE0EEEvT1_,"axG",@progbits,_ZN7rocprim17ROCPRIM_400000_NS6detail17trampoline_kernelINS0_14default_configENS1_25transform_config_selectorImLb1EEEZNS1_14transform_implILb1ES3_S5_PmPjNS0_8identityIvEEEE10hipError_tT2_T3_mT4_P12ihipStream_tbEUlT_E_NS1_11comp_targetILNS1_3genE10ELNS1_11target_archE1201ELNS1_3gpuE5ELNS1_3repE0EEENS1_30default_config_static_selectorELNS0_4arch9wavefront6targetE0EEEvT1_,comdat
.Lfunc_end13:
	.size	_ZN7rocprim17ROCPRIM_400000_NS6detail17trampoline_kernelINS0_14default_configENS1_25transform_config_selectorImLb1EEEZNS1_14transform_implILb1ES3_S5_PmPjNS0_8identityIvEEEE10hipError_tT2_T3_mT4_P12ihipStream_tbEUlT_E_NS1_11comp_targetILNS1_3genE10ELNS1_11target_archE1201ELNS1_3gpuE5ELNS1_3repE0EEENS1_30default_config_static_selectorELNS0_4arch9wavefront6targetE0EEEvT1_, .Lfunc_end13-_ZN7rocprim17ROCPRIM_400000_NS6detail17trampoline_kernelINS0_14default_configENS1_25transform_config_selectorImLb1EEEZNS1_14transform_implILb1ES3_S5_PmPjNS0_8identityIvEEEE10hipError_tT2_T3_mT4_P12ihipStream_tbEUlT_E_NS1_11comp_targetILNS1_3genE10ELNS1_11target_archE1201ELNS1_3gpuE5ELNS1_3repE0EEENS1_30default_config_static_selectorELNS0_4arch9wavefront6targetE0EEEvT1_
                                        ; -- End function
	.set _ZN7rocprim17ROCPRIM_400000_NS6detail17trampoline_kernelINS0_14default_configENS1_25transform_config_selectorImLb1EEEZNS1_14transform_implILb1ES3_S5_PmPjNS0_8identityIvEEEE10hipError_tT2_T3_mT4_P12ihipStream_tbEUlT_E_NS1_11comp_targetILNS1_3genE10ELNS1_11target_archE1201ELNS1_3gpuE5ELNS1_3repE0EEENS1_30default_config_static_selectorELNS0_4arch9wavefront6targetE0EEEvT1_.num_vgpr, 0
	.set _ZN7rocprim17ROCPRIM_400000_NS6detail17trampoline_kernelINS0_14default_configENS1_25transform_config_selectorImLb1EEEZNS1_14transform_implILb1ES3_S5_PmPjNS0_8identityIvEEEE10hipError_tT2_T3_mT4_P12ihipStream_tbEUlT_E_NS1_11comp_targetILNS1_3genE10ELNS1_11target_archE1201ELNS1_3gpuE5ELNS1_3repE0EEENS1_30default_config_static_selectorELNS0_4arch9wavefront6targetE0EEEvT1_.num_agpr, 0
	.set _ZN7rocprim17ROCPRIM_400000_NS6detail17trampoline_kernelINS0_14default_configENS1_25transform_config_selectorImLb1EEEZNS1_14transform_implILb1ES3_S5_PmPjNS0_8identityIvEEEE10hipError_tT2_T3_mT4_P12ihipStream_tbEUlT_E_NS1_11comp_targetILNS1_3genE10ELNS1_11target_archE1201ELNS1_3gpuE5ELNS1_3repE0EEENS1_30default_config_static_selectorELNS0_4arch9wavefront6targetE0EEEvT1_.numbered_sgpr, 0
	.set _ZN7rocprim17ROCPRIM_400000_NS6detail17trampoline_kernelINS0_14default_configENS1_25transform_config_selectorImLb1EEEZNS1_14transform_implILb1ES3_S5_PmPjNS0_8identityIvEEEE10hipError_tT2_T3_mT4_P12ihipStream_tbEUlT_E_NS1_11comp_targetILNS1_3genE10ELNS1_11target_archE1201ELNS1_3gpuE5ELNS1_3repE0EEENS1_30default_config_static_selectorELNS0_4arch9wavefront6targetE0EEEvT1_.num_named_barrier, 0
	.set _ZN7rocprim17ROCPRIM_400000_NS6detail17trampoline_kernelINS0_14default_configENS1_25transform_config_selectorImLb1EEEZNS1_14transform_implILb1ES3_S5_PmPjNS0_8identityIvEEEE10hipError_tT2_T3_mT4_P12ihipStream_tbEUlT_E_NS1_11comp_targetILNS1_3genE10ELNS1_11target_archE1201ELNS1_3gpuE5ELNS1_3repE0EEENS1_30default_config_static_selectorELNS0_4arch9wavefront6targetE0EEEvT1_.private_seg_size, 0
	.set _ZN7rocprim17ROCPRIM_400000_NS6detail17trampoline_kernelINS0_14default_configENS1_25transform_config_selectorImLb1EEEZNS1_14transform_implILb1ES3_S5_PmPjNS0_8identityIvEEEE10hipError_tT2_T3_mT4_P12ihipStream_tbEUlT_E_NS1_11comp_targetILNS1_3genE10ELNS1_11target_archE1201ELNS1_3gpuE5ELNS1_3repE0EEENS1_30default_config_static_selectorELNS0_4arch9wavefront6targetE0EEEvT1_.uses_vcc, 0
	.set _ZN7rocprim17ROCPRIM_400000_NS6detail17trampoline_kernelINS0_14default_configENS1_25transform_config_selectorImLb1EEEZNS1_14transform_implILb1ES3_S5_PmPjNS0_8identityIvEEEE10hipError_tT2_T3_mT4_P12ihipStream_tbEUlT_E_NS1_11comp_targetILNS1_3genE10ELNS1_11target_archE1201ELNS1_3gpuE5ELNS1_3repE0EEENS1_30default_config_static_selectorELNS0_4arch9wavefront6targetE0EEEvT1_.uses_flat_scratch, 0
	.set _ZN7rocprim17ROCPRIM_400000_NS6detail17trampoline_kernelINS0_14default_configENS1_25transform_config_selectorImLb1EEEZNS1_14transform_implILb1ES3_S5_PmPjNS0_8identityIvEEEE10hipError_tT2_T3_mT4_P12ihipStream_tbEUlT_E_NS1_11comp_targetILNS1_3genE10ELNS1_11target_archE1201ELNS1_3gpuE5ELNS1_3repE0EEENS1_30default_config_static_selectorELNS0_4arch9wavefront6targetE0EEEvT1_.has_dyn_sized_stack, 0
	.set _ZN7rocprim17ROCPRIM_400000_NS6detail17trampoline_kernelINS0_14default_configENS1_25transform_config_selectorImLb1EEEZNS1_14transform_implILb1ES3_S5_PmPjNS0_8identityIvEEEE10hipError_tT2_T3_mT4_P12ihipStream_tbEUlT_E_NS1_11comp_targetILNS1_3genE10ELNS1_11target_archE1201ELNS1_3gpuE5ELNS1_3repE0EEENS1_30default_config_static_selectorELNS0_4arch9wavefront6targetE0EEEvT1_.has_recursion, 0
	.set _ZN7rocprim17ROCPRIM_400000_NS6detail17trampoline_kernelINS0_14default_configENS1_25transform_config_selectorImLb1EEEZNS1_14transform_implILb1ES3_S5_PmPjNS0_8identityIvEEEE10hipError_tT2_T3_mT4_P12ihipStream_tbEUlT_E_NS1_11comp_targetILNS1_3genE10ELNS1_11target_archE1201ELNS1_3gpuE5ELNS1_3repE0EEENS1_30default_config_static_selectorELNS0_4arch9wavefront6targetE0EEEvT1_.has_indirect_call, 0
	.section	.AMDGPU.csdata,"",@progbits
; Kernel info:
; codeLenInByte = 0
; TotalNumSgprs: 0
; NumVgprs: 0
; ScratchSize: 0
; MemoryBound: 0
; FloatMode: 240
; IeeeMode: 1
; LDSByteSize: 0 bytes/workgroup (compile time only)
; SGPRBlocks: 0
; VGPRBlocks: 0
; NumSGPRsForWavesPerEU: 1
; NumVGPRsForWavesPerEU: 1
; NamedBarCnt: 0
; Occupancy: 16
; WaveLimiterHint : 0
; COMPUTE_PGM_RSRC2:SCRATCH_EN: 0
; COMPUTE_PGM_RSRC2:USER_SGPR: 2
; COMPUTE_PGM_RSRC2:TRAP_HANDLER: 0
; COMPUTE_PGM_RSRC2:TGID_X_EN: 1
; COMPUTE_PGM_RSRC2:TGID_Y_EN: 0
; COMPUTE_PGM_RSRC2:TGID_Z_EN: 0
; COMPUTE_PGM_RSRC2:TIDIG_COMP_CNT: 0
	.section	.text._ZN7rocprim17ROCPRIM_400000_NS6detail17trampoline_kernelINS0_14default_configENS1_25transform_config_selectorImLb1EEEZNS1_14transform_implILb1ES3_S5_PmPjNS0_8identityIvEEEE10hipError_tT2_T3_mT4_P12ihipStream_tbEUlT_E_NS1_11comp_targetILNS1_3genE5ELNS1_11target_archE942ELNS1_3gpuE9ELNS1_3repE0EEENS1_30default_config_static_selectorELNS0_4arch9wavefront6targetE0EEEvT1_,"axG",@progbits,_ZN7rocprim17ROCPRIM_400000_NS6detail17trampoline_kernelINS0_14default_configENS1_25transform_config_selectorImLb1EEEZNS1_14transform_implILb1ES3_S5_PmPjNS0_8identityIvEEEE10hipError_tT2_T3_mT4_P12ihipStream_tbEUlT_E_NS1_11comp_targetILNS1_3genE5ELNS1_11target_archE942ELNS1_3gpuE9ELNS1_3repE0EEENS1_30default_config_static_selectorELNS0_4arch9wavefront6targetE0EEEvT1_,comdat
	.protected	_ZN7rocprim17ROCPRIM_400000_NS6detail17trampoline_kernelINS0_14default_configENS1_25transform_config_selectorImLb1EEEZNS1_14transform_implILb1ES3_S5_PmPjNS0_8identityIvEEEE10hipError_tT2_T3_mT4_P12ihipStream_tbEUlT_E_NS1_11comp_targetILNS1_3genE5ELNS1_11target_archE942ELNS1_3gpuE9ELNS1_3repE0EEENS1_30default_config_static_selectorELNS0_4arch9wavefront6targetE0EEEvT1_ ; -- Begin function _ZN7rocprim17ROCPRIM_400000_NS6detail17trampoline_kernelINS0_14default_configENS1_25transform_config_selectorImLb1EEEZNS1_14transform_implILb1ES3_S5_PmPjNS0_8identityIvEEEE10hipError_tT2_T3_mT4_P12ihipStream_tbEUlT_E_NS1_11comp_targetILNS1_3genE5ELNS1_11target_archE942ELNS1_3gpuE9ELNS1_3repE0EEENS1_30default_config_static_selectorELNS0_4arch9wavefront6targetE0EEEvT1_
	.globl	_ZN7rocprim17ROCPRIM_400000_NS6detail17trampoline_kernelINS0_14default_configENS1_25transform_config_selectorImLb1EEEZNS1_14transform_implILb1ES3_S5_PmPjNS0_8identityIvEEEE10hipError_tT2_T3_mT4_P12ihipStream_tbEUlT_E_NS1_11comp_targetILNS1_3genE5ELNS1_11target_archE942ELNS1_3gpuE9ELNS1_3repE0EEENS1_30default_config_static_selectorELNS0_4arch9wavefront6targetE0EEEvT1_
	.p2align	8
	.type	_ZN7rocprim17ROCPRIM_400000_NS6detail17trampoline_kernelINS0_14default_configENS1_25transform_config_selectorImLb1EEEZNS1_14transform_implILb1ES3_S5_PmPjNS0_8identityIvEEEE10hipError_tT2_T3_mT4_P12ihipStream_tbEUlT_E_NS1_11comp_targetILNS1_3genE5ELNS1_11target_archE942ELNS1_3gpuE9ELNS1_3repE0EEENS1_30default_config_static_selectorELNS0_4arch9wavefront6targetE0EEEvT1_,@function
_ZN7rocprim17ROCPRIM_400000_NS6detail17trampoline_kernelINS0_14default_configENS1_25transform_config_selectorImLb1EEEZNS1_14transform_implILb1ES3_S5_PmPjNS0_8identityIvEEEE10hipError_tT2_T3_mT4_P12ihipStream_tbEUlT_E_NS1_11comp_targetILNS1_3genE5ELNS1_11target_archE942ELNS1_3gpuE9ELNS1_3repE0EEENS1_30default_config_static_selectorELNS0_4arch9wavefront6targetE0EEEvT1_: ; @_ZN7rocprim17ROCPRIM_400000_NS6detail17trampoline_kernelINS0_14default_configENS1_25transform_config_selectorImLb1EEEZNS1_14transform_implILb1ES3_S5_PmPjNS0_8identityIvEEEE10hipError_tT2_T3_mT4_P12ihipStream_tbEUlT_E_NS1_11comp_targetILNS1_3genE5ELNS1_11target_archE942ELNS1_3gpuE9ELNS1_3repE0EEENS1_30default_config_static_selectorELNS0_4arch9wavefront6targetE0EEEvT1_
; %bb.0:
	.section	.rodata,"a",@progbits
	.p2align	6, 0x0
	.amdhsa_kernel _ZN7rocprim17ROCPRIM_400000_NS6detail17trampoline_kernelINS0_14default_configENS1_25transform_config_selectorImLb1EEEZNS1_14transform_implILb1ES3_S5_PmPjNS0_8identityIvEEEE10hipError_tT2_T3_mT4_P12ihipStream_tbEUlT_E_NS1_11comp_targetILNS1_3genE5ELNS1_11target_archE942ELNS1_3gpuE9ELNS1_3repE0EEENS1_30default_config_static_selectorELNS0_4arch9wavefront6targetE0EEEvT1_
		.amdhsa_group_segment_fixed_size 0
		.amdhsa_private_segment_fixed_size 0
		.amdhsa_kernarg_size 40
		.amdhsa_user_sgpr_count 2
		.amdhsa_user_sgpr_dispatch_ptr 0
		.amdhsa_user_sgpr_queue_ptr 0
		.amdhsa_user_sgpr_kernarg_segment_ptr 1
		.amdhsa_user_sgpr_dispatch_id 0
		.amdhsa_user_sgpr_kernarg_preload_length 0
		.amdhsa_user_sgpr_kernarg_preload_offset 0
		.amdhsa_user_sgpr_private_segment_size 0
		.amdhsa_wavefront_size32 1
		.amdhsa_uses_dynamic_stack 0
		.amdhsa_enable_private_segment 0
		.amdhsa_system_sgpr_workgroup_id_x 1
		.amdhsa_system_sgpr_workgroup_id_y 0
		.amdhsa_system_sgpr_workgroup_id_z 0
		.amdhsa_system_sgpr_workgroup_info 0
		.amdhsa_system_vgpr_workitem_id 0
		.amdhsa_next_free_vgpr 1
		.amdhsa_next_free_sgpr 1
		.amdhsa_named_barrier_count 0
		.amdhsa_reserve_vcc 0
		.amdhsa_float_round_mode_32 0
		.amdhsa_float_round_mode_16_64 0
		.amdhsa_float_denorm_mode_32 3
		.amdhsa_float_denorm_mode_16_64 3
		.amdhsa_fp16_overflow 0
		.amdhsa_memory_ordered 1
		.amdhsa_forward_progress 1
		.amdhsa_inst_pref_size 0
		.amdhsa_round_robin_scheduling 0
		.amdhsa_exception_fp_ieee_invalid_op 0
		.amdhsa_exception_fp_denorm_src 0
		.amdhsa_exception_fp_ieee_div_zero 0
		.amdhsa_exception_fp_ieee_overflow 0
		.amdhsa_exception_fp_ieee_underflow 0
		.amdhsa_exception_fp_ieee_inexact 0
		.amdhsa_exception_int_div_zero 0
	.end_amdhsa_kernel
	.section	.text._ZN7rocprim17ROCPRIM_400000_NS6detail17trampoline_kernelINS0_14default_configENS1_25transform_config_selectorImLb1EEEZNS1_14transform_implILb1ES3_S5_PmPjNS0_8identityIvEEEE10hipError_tT2_T3_mT4_P12ihipStream_tbEUlT_E_NS1_11comp_targetILNS1_3genE5ELNS1_11target_archE942ELNS1_3gpuE9ELNS1_3repE0EEENS1_30default_config_static_selectorELNS0_4arch9wavefront6targetE0EEEvT1_,"axG",@progbits,_ZN7rocprim17ROCPRIM_400000_NS6detail17trampoline_kernelINS0_14default_configENS1_25transform_config_selectorImLb1EEEZNS1_14transform_implILb1ES3_S5_PmPjNS0_8identityIvEEEE10hipError_tT2_T3_mT4_P12ihipStream_tbEUlT_E_NS1_11comp_targetILNS1_3genE5ELNS1_11target_archE942ELNS1_3gpuE9ELNS1_3repE0EEENS1_30default_config_static_selectorELNS0_4arch9wavefront6targetE0EEEvT1_,comdat
.Lfunc_end14:
	.size	_ZN7rocprim17ROCPRIM_400000_NS6detail17trampoline_kernelINS0_14default_configENS1_25transform_config_selectorImLb1EEEZNS1_14transform_implILb1ES3_S5_PmPjNS0_8identityIvEEEE10hipError_tT2_T3_mT4_P12ihipStream_tbEUlT_E_NS1_11comp_targetILNS1_3genE5ELNS1_11target_archE942ELNS1_3gpuE9ELNS1_3repE0EEENS1_30default_config_static_selectorELNS0_4arch9wavefront6targetE0EEEvT1_, .Lfunc_end14-_ZN7rocprim17ROCPRIM_400000_NS6detail17trampoline_kernelINS0_14default_configENS1_25transform_config_selectorImLb1EEEZNS1_14transform_implILb1ES3_S5_PmPjNS0_8identityIvEEEE10hipError_tT2_T3_mT4_P12ihipStream_tbEUlT_E_NS1_11comp_targetILNS1_3genE5ELNS1_11target_archE942ELNS1_3gpuE9ELNS1_3repE0EEENS1_30default_config_static_selectorELNS0_4arch9wavefront6targetE0EEEvT1_
                                        ; -- End function
	.set _ZN7rocprim17ROCPRIM_400000_NS6detail17trampoline_kernelINS0_14default_configENS1_25transform_config_selectorImLb1EEEZNS1_14transform_implILb1ES3_S5_PmPjNS0_8identityIvEEEE10hipError_tT2_T3_mT4_P12ihipStream_tbEUlT_E_NS1_11comp_targetILNS1_3genE5ELNS1_11target_archE942ELNS1_3gpuE9ELNS1_3repE0EEENS1_30default_config_static_selectorELNS0_4arch9wavefront6targetE0EEEvT1_.num_vgpr, 0
	.set _ZN7rocprim17ROCPRIM_400000_NS6detail17trampoline_kernelINS0_14default_configENS1_25transform_config_selectorImLb1EEEZNS1_14transform_implILb1ES3_S5_PmPjNS0_8identityIvEEEE10hipError_tT2_T3_mT4_P12ihipStream_tbEUlT_E_NS1_11comp_targetILNS1_3genE5ELNS1_11target_archE942ELNS1_3gpuE9ELNS1_3repE0EEENS1_30default_config_static_selectorELNS0_4arch9wavefront6targetE0EEEvT1_.num_agpr, 0
	.set _ZN7rocprim17ROCPRIM_400000_NS6detail17trampoline_kernelINS0_14default_configENS1_25transform_config_selectorImLb1EEEZNS1_14transform_implILb1ES3_S5_PmPjNS0_8identityIvEEEE10hipError_tT2_T3_mT4_P12ihipStream_tbEUlT_E_NS1_11comp_targetILNS1_3genE5ELNS1_11target_archE942ELNS1_3gpuE9ELNS1_3repE0EEENS1_30default_config_static_selectorELNS0_4arch9wavefront6targetE0EEEvT1_.numbered_sgpr, 0
	.set _ZN7rocprim17ROCPRIM_400000_NS6detail17trampoline_kernelINS0_14default_configENS1_25transform_config_selectorImLb1EEEZNS1_14transform_implILb1ES3_S5_PmPjNS0_8identityIvEEEE10hipError_tT2_T3_mT4_P12ihipStream_tbEUlT_E_NS1_11comp_targetILNS1_3genE5ELNS1_11target_archE942ELNS1_3gpuE9ELNS1_3repE0EEENS1_30default_config_static_selectorELNS0_4arch9wavefront6targetE0EEEvT1_.num_named_barrier, 0
	.set _ZN7rocprim17ROCPRIM_400000_NS6detail17trampoline_kernelINS0_14default_configENS1_25transform_config_selectorImLb1EEEZNS1_14transform_implILb1ES3_S5_PmPjNS0_8identityIvEEEE10hipError_tT2_T3_mT4_P12ihipStream_tbEUlT_E_NS1_11comp_targetILNS1_3genE5ELNS1_11target_archE942ELNS1_3gpuE9ELNS1_3repE0EEENS1_30default_config_static_selectorELNS0_4arch9wavefront6targetE0EEEvT1_.private_seg_size, 0
	.set _ZN7rocprim17ROCPRIM_400000_NS6detail17trampoline_kernelINS0_14default_configENS1_25transform_config_selectorImLb1EEEZNS1_14transform_implILb1ES3_S5_PmPjNS0_8identityIvEEEE10hipError_tT2_T3_mT4_P12ihipStream_tbEUlT_E_NS1_11comp_targetILNS1_3genE5ELNS1_11target_archE942ELNS1_3gpuE9ELNS1_3repE0EEENS1_30default_config_static_selectorELNS0_4arch9wavefront6targetE0EEEvT1_.uses_vcc, 0
	.set _ZN7rocprim17ROCPRIM_400000_NS6detail17trampoline_kernelINS0_14default_configENS1_25transform_config_selectorImLb1EEEZNS1_14transform_implILb1ES3_S5_PmPjNS0_8identityIvEEEE10hipError_tT2_T3_mT4_P12ihipStream_tbEUlT_E_NS1_11comp_targetILNS1_3genE5ELNS1_11target_archE942ELNS1_3gpuE9ELNS1_3repE0EEENS1_30default_config_static_selectorELNS0_4arch9wavefront6targetE0EEEvT1_.uses_flat_scratch, 0
	.set _ZN7rocprim17ROCPRIM_400000_NS6detail17trampoline_kernelINS0_14default_configENS1_25transform_config_selectorImLb1EEEZNS1_14transform_implILb1ES3_S5_PmPjNS0_8identityIvEEEE10hipError_tT2_T3_mT4_P12ihipStream_tbEUlT_E_NS1_11comp_targetILNS1_3genE5ELNS1_11target_archE942ELNS1_3gpuE9ELNS1_3repE0EEENS1_30default_config_static_selectorELNS0_4arch9wavefront6targetE0EEEvT1_.has_dyn_sized_stack, 0
	.set _ZN7rocprim17ROCPRIM_400000_NS6detail17trampoline_kernelINS0_14default_configENS1_25transform_config_selectorImLb1EEEZNS1_14transform_implILb1ES3_S5_PmPjNS0_8identityIvEEEE10hipError_tT2_T3_mT4_P12ihipStream_tbEUlT_E_NS1_11comp_targetILNS1_3genE5ELNS1_11target_archE942ELNS1_3gpuE9ELNS1_3repE0EEENS1_30default_config_static_selectorELNS0_4arch9wavefront6targetE0EEEvT1_.has_recursion, 0
	.set _ZN7rocprim17ROCPRIM_400000_NS6detail17trampoline_kernelINS0_14default_configENS1_25transform_config_selectorImLb1EEEZNS1_14transform_implILb1ES3_S5_PmPjNS0_8identityIvEEEE10hipError_tT2_T3_mT4_P12ihipStream_tbEUlT_E_NS1_11comp_targetILNS1_3genE5ELNS1_11target_archE942ELNS1_3gpuE9ELNS1_3repE0EEENS1_30default_config_static_selectorELNS0_4arch9wavefront6targetE0EEEvT1_.has_indirect_call, 0
	.section	.AMDGPU.csdata,"",@progbits
; Kernel info:
; codeLenInByte = 0
; TotalNumSgprs: 0
; NumVgprs: 0
; ScratchSize: 0
; MemoryBound: 0
; FloatMode: 240
; IeeeMode: 1
; LDSByteSize: 0 bytes/workgroup (compile time only)
; SGPRBlocks: 0
; VGPRBlocks: 0
; NumSGPRsForWavesPerEU: 1
; NumVGPRsForWavesPerEU: 1
; NamedBarCnt: 0
; Occupancy: 16
; WaveLimiterHint : 0
; COMPUTE_PGM_RSRC2:SCRATCH_EN: 0
; COMPUTE_PGM_RSRC2:USER_SGPR: 2
; COMPUTE_PGM_RSRC2:TRAP_HANDLER: 0
; COMPUTE_PGM_RSRC2:TGID_X_EN: 1
; COMPUTE_PGM_RSRC2:TGID_Y_EN: 0
; COMPUTE_PGM_RSRC2:TGID_Z_EN: 0
; COMPUTE_PGM_RSRC2:TIDIG_COMP_CNT: 0
	.section	.text._ZN7rocprim17ROCPRIM_400000_NS6detail17trampoline_kernelINS0_14default_configENS1_25transform_config_selectorImLb1EEEZNS1_14transform_implILb1ES3_S5_PmPjNS0_8identityIvEEEE10hipError_tT2_T3_mT4_P12ihipStream_tbEUlT_E_NS1_11comp_targetILNS1_3genE4ELNS1_11target_archE910ELNS1_3gpuE8ELNS1_3repE0EEENS1_30default_config_static_selectorELNS0_4arch9wavefront6targetE0EEEvT1_,"axG",@progbits,_ZN7rocprim17ROCPRIM_400000_NS6detail17trampoline_kernelINS0_14default_configENS1_25transform_config_selectorImLb1EEEZNS1_14transform_implILb1ES3_S5_PmPjNS0_8identityIvEEEE10hipError_tT2_T3_mT4_P12ihipStream_tbEUlT_E_NS1_11comp_targetILNS1_3genE4ELNS1_11target_archE910ELNS1_3gpuE8ELNS1_3repE0EEENS1_30default_config_static_selectorELNS0_4arch9wavefront6targetE0EEEvT1_,comdat
	.protected	_ZN7rocprim17ROCPRIM_400000_NS6detail17trampoline_kernelINS0_14default_configENS1_25transform_config_selectorImLb1EEEZNS1_14transform_implILb1ES3_S5_PmPjNS0_8identityIvEEEE10hipError_tT2_T3_mT4_P12ihipStream_tbEUlT_E_NS1_11comp_targetILNS1_3genE4ELNS1_11target_archE910ELNS1_3gpuE8ELNS1_3repE0EEENS1_30default_config_static_selectorELNS0_4arch9wavefront6targetE0EEEvT1_ ; -- Begin function _ZN7rocprim17ROCPRIM_400000_NS6detail17trampoline_kernelINS0_14default_configENS1_25transform_config_selectorImLb1EEEZNS1_14transform_implILb1ES3_S5_PmPjNS0_8identityIvEEEE10hipError_tT2_T3_mT4_P12ihipStream_tbEUlT_E_NS1_11comp_targetILNS1_3genE4ELNS1_11target_archE910ELNS1_3gpuE8ELNS1_3repE0EEENS1_30default_config_static_selectorELNS0_4arch9wavefront6targetE0EEEvT1_
	.globl	_ZN7rocprim17ROCPRIM_400000_NS6detail17trampoline_kernelINS0_14default_configENS1_25transform_config_selectorImLb1EEEZNS1_14transform_implILb1ES3_S5_PmPjNS0_8identityIvEEEE10hipError_tT2_T3_mT4_P12ihipStream_tbEUlT_E_NS1_11comp_targetILNS1_3genE4ELNS1_11target_archE910ELNS1_3gpuE8ELNS1_3repE0EEENS1_30default_config_static_selectorELNS0_4arch9wavefront6targetE0EEEvT1_
	.p2align	8
	.type	_ZN7rocprim17ROCPRIM_400000_NS6detail17trampoline_kernelINS0_14default_configENS1_25transform_config_selectorImLb1EEEZNS1_14transform_implILb1ES3_S5_PmPjNS0_8identityIvEEEE10hipError_tT2_T3_mT4_P12ihipStream_tbEUlT_E_NS1_11comp_targetILNS1_3genE4ELNS1_11target_archE910ELNS1_3gpuE8ELNS1_3repE0EEENS1_30default_config_static_selectorELNS0_4arch9wavefront6targetE0EEEvT1_,@function
_ZN7rocprim17ROCPRIM_400000_NS6detail17trampoline_kernelINS0_14default_configENS1_25transform_config_selectorImLb1EEEZNS1_14transform_implILb1ES3_S5_PmPjNS0_8identityIvEEEE10hipError_tT2_T3_mT4_P12ihipStream_tbEUlT_E_NS1_11comp_targetILNS1_3genE4ELNS1_11target_archE910ELNS1_3gpuE8ELNS1_3repE0EEENS1_30default_config_static_selectorELNS0_4arch9wavefront6targetE0EEEvT1_: ; @_ZN7rocprim17ROCPRIM_400000_NS6detail17trampoline_kernelINS0_14default_configENS1_25transform_config_selectorImLb1EEEZNS1_14transform_implILb1ES3_S5_PmPjNS0_8identityIvEEEE10hipError_tT2_T3_mT4_P12ihipStream_tbEUlT_E_NS1_11comp_targetILNS1_3genE4ELNS1_11target_archE910ELNS1_3gpuE8ELNS1_3repE0EEENS1_30default_config_static_selectorELNS0_4arch9wavefront6targetE0EEEvT1_
; %bb.0:
	.section	.rodata,"a",@progbits
	.p2align	6, 0x0
	.amdhsa_kernel _ZN7rocprim17ROCPRIM_400000_NS6detail17trampoline_kernelINS0_14default_configENS1_25transform_config_selectorImLb1EEEZNS1_14transform_implILb1ES3_S5_PmPjNS0_8identityIvEEEE10hipError_tT2_T3_mT4_P12ihipStream_tbEUlT_E_NS1_11comp_targetILNS1_3genE4ELNS1_11target_archE910ELNS1_3gpuE8ELNS1_3repE0EEENS1_30default_config_static_selectorELNS0_4arch9wavefront6targetE0EEEvT1_
		.amdhsa_group_segment_fixed_size 0
		.amdhsa_private_segment_fixed_size 0
		.amdhsa_kernarg_size 40
		.amdhsa_user_sgpr_count 2
		.amdhsa_user_sgpr_dispatch_ptr 0
		.amdhsa_user_sgpr_queue_ptr 0
		.amdhsa_user_sgpr_kernarg_segment_ptr 1
		.amdhsa_user_sgpr_dispatch_id 0
		.amdhsa_user_sgpr_kernarg_preload_length 0
		.amdhsa_user_sgpr_kernarg_preload_offset 0
		.amdhsa_user_sgpr_private_segment_size 0
		.amdhsa_wavefront_size32 1
		.amdhsa_uses_dynamic_stack 0
		.amdhsa_enable_private_segment 0
		.amdhsa_system_sgpr_workgroup_id_x 1
		.amdhsa_system_sgpr_workgroup_id_y 0
		.amdhsa_system_sgpr_workgroup_id_z 0
		.amdhsa_system_sgpr_workgroup_info 0
		.amdhsa_system_vgpr_workitem_id 0
		.amdhsa_next_free_vgpr 1
		.amdhsa_next_free_sgpr 1
		.amdhsa_named_barrier_count 0
		.amdhsa_reserve_vcc 0
		.amdhsa_float_round_mode_32 0
		.amdhsa_float_round_mode_16_64 0
		.amdhsa_float_denorm_mode_32 3
		.amdhsa_float_denorm_mode_16_64 3
		.amdhsa_fp16_overflow 0
		.amdhsa_memory_ordered 1
		.amdhsa_forward_progress 1
		.amdhsa_inst_pref_size 0
		.amdhsa_round_robin_scheduling 0
		.amdhsa_exception_fp_ieee_invalid_op 0
		.amdhsa_exception_fp_denorm_src 0
		.amdhsa_exception_fp_ieee_div_zero 0
		.amdhsa_exception_fp_ieee_overflow 0
		.amdhsa_exception_fp_ieee_underflow 0
		.amdhsa_exception_fp_ieee_inexact 0
		.amdhsa_exception_int_div_zero 0
	.end_amdhsa_kernel
	.section	.text._ZN7rocprim17ROCPRIM_400000_NS6detail17trampoline_kernelINS0_14default_configENS1_25transform_config_selectorImLb1EEEZNS1_14transform_implILb1ES3_S5_PmPjNS0_8identityIvEEEE10hipError_tT2_T3_mT4_P12ihipStream_tbEUlT_E_NS1_11comp_targetILNS1_3genE4ELNS1_11target_archE910ELNS1_3gpuE8ELNS1_3repE0EEENS1_30default_config_static_selectorELNS0_4arch9wavefront6targetE0EEEvT1_,"axG",@progbits,_ZN7rocprim17ROCPRIM_400000_NS6detail17trampoline_kernelINS0_14default_configENS1_25transform_config_selectorImLb1EEEZNS1_14transform_implILb1ES3_S5_PmPjNS0_8identityIvEEEE10hipError_tT2_T3_mT4_P12ihipStream_tbEUlT_E_NS1_11comp_targetILNS1_3genE4ELNS1_11target_archE910ELNS1_3gpuE8ELNS1_3repE0EEENS1_30default_config_static_selectorELNS0_4arch9wavefront6targetE0EEEvT1_,comdat
.Lfunc_end15:
	.size	_ZN7rocprim17ROCPRIM_400000_NS6detail17trampoline_kernelINS0_14default_configENS1_25transform_config_selectorImLb1EEEZNS1_14transform_implILb1ES3_S5_PmPjNS0_8identityIvEEEE10hipError_tT2_T3_mT4_P12ihipStream_tbEUlT_E_NS1_11comp_targetILNS1_3genE4ELNS1_11target_archE910ELNS1_3gpuE8ELNS1_3repE0EEENS1_30default_config_static_selectorELNS0_4arch9wavefront6targetE0EEEvT1_, .Lfunc_end15-_ZN7rocprim17ROCPRIM_400000_NS6detail17trampoline_kernelINS0_14default_configENS1_25transform_config_selectorImLb1EEEZNS1_14transform_implILb1ES3_S5_PmPjNS0_8identityIvEEEE10hipError_tT2_T3_mT4_P12ihipStream_tbEUlT_E_NS1_11comp_targetILNS1_3genE4ELNS1_11target_archE910ELNS1_3gpuE8ELNS1_3repE0EEENS1_30default_config_static_selectorELNS0_4arch9wavefront6targetE0EEEvT1_
                                        ; -- End function
	.set _ZN7rocprim17ROCPRIM_400000_NS6detail17trampoline_kernelINS0_14default_configENS1_25transform_config_selectorImLb1EEEZNS1_14transform_implILb1ES3_S5_PmPjNS0_8identityIvEEEE10hipError_tT2_T3_mT4_P12ihipStream_tbEUlT_E_NS1_11comp_targetILNS1_3genE4ELNS1_11target_archE910ELNS1_3gpuE8ELNS1_3repE0EEENS1_30default_config_static_selectorELNS0_4arch9wavefront6targetE0EEEvT1_.num_vgpr, 0
	.set _ZN7rocprim17ROCPRIM_400000_NS6detail17trampoline_kernelINS0_14default_configENS1_25transform_config_selectorImLb1EEEZNS1_14transform_implILb1ES3_S5_PmPjNS0_8identityIvEEEE10hipError_tT2_T3_mT4_P12ihipStream_tbEUlT_E_NS1_11comp_targetILNS1_3genE4ELNS1_11target_archE910ELNS1_3gpuE8ELNS1_3repE0EEENS1_30default_config_static_selectorELNS0_4arch9wavefront6targetE0EEEvT1_.num_agpr, 0
	.set _ZN7rocprim17ROCPRIM_400000_NS6detail17trampoline_kernelINS0_14default_configENS1_25transform_config_selectorImLb1EEEZNS1_14transform_implILb1ES3_S5_PmPjNS0_8identityIvEEEE10hipError_tT2_T3_mT4_P12ihipStream_tbEUlT_E_NS1_11comp_targetILNS1_3genE4ELNS1_11target_archE910ELNS1_3gpuE8ELNS1_3repE0EEENS1_30default_config_static_selectorELNS0_4arch9wavefront6targetE0EEEvT1_.numbered_sgpr, 0
	.set _ZN7rocprim17ROCPRIM_400000_NS6detail17trampoline_kernelINS0_14default_configENS1_25transform_config_selectorImLb1EEEZNS1_14transform_implILb1ES3_S5_PmPjNS0_8identityIvEEEE10hipError_tT2_T3_mT4_P12ihipStream_tbEUlT_E_NS1_11comp_targetILNS1_3genE4ELNS1_11target_archE910ELNS1_3gpuE8ELNS1_3repE0EEENS1_30default_config_static_selectorELNS0_4arch9wavefront6targetE0EEEvT1_.num_named_barrier, 0
	.set _ZN7rocprim17ROCPRIM_400000_NS6detail17trampoline_kernelINS0_14default_configENS1_25transform_config_selectorImLb1EEEZNS1_14transform_implILb1ES3_S5_PmPjNS0_8identityIvEEEE10hipError_tT2_T3_mT4_P12ihipStream_tbEUlT_E_NS1_11comp_targetILNS1_3genE4ELNS1_11target_archE910ELNS1_3gpuE8ELNS1_3repE0EEENS1_30default_config_static_selectorELNS0_4arch9wavefront6targetE0EEEvT1_.private_seg_size, 0
	.set _ZN7rocprim17ROCPRIM_400000_NS6detail17trampoline_kernelINS0_14default_configENS1_25transform_config_selectorImLb1EEEZNS1_14transform_implILb1ES3_S5_PmPjNS0_8identityIvEEEE10hipError_tT2_T3_mT4_P12ihipStream_tbEUlT_E_NS1_11comp_targetILNS1_3genE4ELNS1_11target_archE910ELNS1_3gpuE8ELNS1_3repE0EEENS1_30default_config_static_selectorELNS0_4arch9wavefront6targetE0EEEvT1_.uses_vcc, 0
	.set _ZN7rocprim17ROCPRIM_400000_NS6detail17trampoline_kernelINS0_14default_configENS1_25transform_config_selectorImLb1EEEZNS1_14transform_implILb1ES3_S5_PmPjNS0_8identityIvEEEE10hipError_tT2_T3_mT4_P12ihipStream_tbEUlT_E_NS1_11comp_targetILNS1_3genE4ELNS1_11target_archE910ELNS1_3gpuE8ELNS1_3repE0EEENS1_30default_config_static_selectorELNS0_4arch9wavefront6targetE0EEEvT1_.uses_flat_scratch, 0
	.set _ZN7rocprim17ROCPRIM_400000_NS6detail17trampoline_kernelINS0_14default_configENS1_25transform_config_selectorImLb1EEEZNS1_14transform_implILb1ES3_S5_PmPjNS0_8identityIvEEEE10hipError_tT2_T3_mT4_P12ihipStream_tbEUlT_E_NS1_11comp_targetILNS1_3genE4ELNS1_11target_archE910ELNS1_3gpuE8ELNS1_3repE0EEENS1_30default_config_static_selectorELNS0_4arch9wavefront6targetE0EEEvT1_.has_dyn_sized_stack, 0
	.set _ZN7rocprim17ROCPRIM_400000_NS6detail17trampoline_kernelINS0_14default_configENS1_25transform_config_selectorImLb1EEEZNS1_14transform_implILb1ES3_S5_PmPjNS0_8identityIvEEEE10hipError_tT2_T3_mT4_P12ihipStream_tbEUlT_E_NS1_11comp_targetILNS1_3genE4ELNS1_11target_archE910ELNS1_3gpuE8ELNS1_3repE0EEENS1_30default_config_static_selectorELNS0_4arch9wavefront6targetE0EEEvT1_.has_recursion, 0
	.set _ZN7rocprim17ROCPRIM_400000_NS6detail17trampoline_kernelINS0_14default_configENS1_25transform_config_selectorImLb1EEEZNS1_14transform_implILb1ES3_S5_PmPjNS0_8identityIvEEEE10hipError_tT2_T3_mT4_P12ihipStream_tbEUlT_E_NS1_11comp_targetILNS1_3genE4ELNS1_11target_archE910ELNS1_3gpuE8ELNS1_3repE0EEENS1_30default_config_static_selectorELNS0_4arch9wavefront6targetE0EEEvT1_.has_indirect_call, 0
	.section	.AMDGPU.csdata,"",@progbits
; Kernel info:
; codeLenInByte = 0
; TotalNumSgprs: 0
; NumVgprs: 0
; ScratchSize: 0
; MemoryBound: 0
; FloatMode: 240
; IeeeMode: 1
; LDSByteSize: 0 bytes/workgroup (compile time only)
; SGPRBlocks: 0
; VGPRBlocks: 0
; NumSGPRsForWavesPerEU: 1
; NumVGPRsForWavesPerEU: 1
; NamedBarCnt: 0
; Occupancy: 16
; WaveLimiterHint : 0
; COMPUTE_PGM_RSRC2:SCRATCH_EN: 0
; COMPUTE_PGM_RSRC2:USER_SGPR: 2
; COMPUTE_PGM_RSRC2:TRAP_HANDLER: 0
; COMPUTE_PGM_RSRC2:TGID_X_EN: 1
; COMPUTE_PGM_RSRC2:TGID_Y_EN: 0
; COMPUTE_PGM_RSRC2:TGID_Z_EN: 0
; COMPUTE_PGM_RSRC2:TIDIG_COMP_CNT: 0
	.section	.text._ZN7rocprim17ROCPRIM_400000_NS6detail17trampoline_kernelINS0_14default_configENS1_25transform_config_selectorImLb1EEEZNS1_14transform_implILb1ES3_S5_PmPjNS0_8identityIvEEEE10hipError_tT2_T3_mT4_P12ihipStream_tbEUlT_E_NS1_11comp_targetILNS1_3genE3ELNS1_11target_archE908ELNS1_3gpuE7ELNS1_3repE0EEENS1_30default_config_static_selectorELNS0_4arch9wavefront6targetE0EEEvT1_,"axG",@progbits,_ZN7rocprim17ROCPRIM_400000_NS6detail17trampoline_kernelINS0_14default_configENS1_25transform_config_selectorImLb1EEEZNS1_14transform_implILb1ES3_S5_PmPjNS0_8identityIvEEEE10hipError_tT2_T3_mT4_P12ihipStream_tbEUlT_E_NS1_11comp_targetILNS1_3genE3ELNS1_11target_archE908ELNS1_3gpuE7ELNS1_3repE0EEENS1_30default_config_static_selectorELNS0_4arch9wavefront6targetE0EEEvT1_,comdat
	.protected	_ZN7rocprim17ROCPRIM_400000_NS6detail17trampoline_kernelINS0_14default_configENS1_25transform_config_selectorImLb1EEEZNS1_14transform_implILb1ES3_S5_PmPjNS0_8identityIvEEEE10hipError_tT2_T3_mT4_P12ihipStream_tbEUlT_E_NS1_11comp_targetILNS1_3genE3ELNS1_11target_archE908ELNS1_3gpuE7ELNS1_3repE0EEENS1_30default_config_static_selectorELNS0_4arch9wavefront6targetE0EEEvT1_ ; -- Begin function _ZN7rocprim17ROCPRIM_400000_NS6detail17trampoline_kernelINS0_14default_configENS1_25transform_config_selectorImLb1EEEZNS1_14transform_implILb1ES3_S5_PmPjNS0_8identityIvEEEE10hipError_tT2_T3_mT4_P12ihipStream_tbEUlT_E_NS1_11comp_targetILNS1_3genE3ELNS1_11target_archE908ELNS1_3gpuE7ELNS1_3repE0EEENS1_30default_config_static_selectorELNS0_4arch9wavefront6targetE0EEEvT1_
	.globl	_ZN7rocprim17ROCPRIM_400000_NS6detail17trampoline_kernelINS0_14default_configENS1_25transform_config_selectorImLb1EEEZNS1_14transform_implILb1ES3_S5_PmPjNS0_8identityIvEEEE10hipError_tT2_T3_mT4_P12ihipStream_tbEUlT_E_NS1_11comp_targetILNS1_3genE3ELNS1_11target_archE908ELNS1_3gpuE7ELNS1_3repE0EEENS1_30default_config_static_selectorELNS0_4arch9wavefront6targetE0EEEvT1_
	.p2align	8
	.type	_ZN7rocprim17ROCPRIM_400000_NS6detail17trampoline_kernelINS0_14default_configENS1_25transform_config_selectorImLb1EEEZNS1_14transform_implILb1ES3_S5_PmPjNS0_8identityIvEEEE10hipError_tT2_T3_mT4_P12ihipStream_tbEUlT_E_NS1_11comp_targetILNS1_3genE3ELNS1_11target_archE908ELNS1_3gpuE7ELNS1_3repE0EEENS1_30default_config_static_selectorELNS0_4arch9wavefront6targetE0EEEvT1_,@function
_ZN7rocprim17ROCPRIM_400000_NS6detail17trampoline_kernelINS0_14default_configENS1_25transform_config_selectorImLb1EEEZNS1_14transform_implILb1ES3_S5_PmPjNS0_8identityIvEEEE10hipError_tT2_T3_mT4_P12ihipStream_tbEUlT_E_NS1_11comp_targetILNS1_3genE3ELNS1_11target_archE908ELNS1_3gpuE7ELNS1_3repE0EEENS1_30default_config_static_selectorELNS0_4arch9wavefront6targetE0EEEvT1_: ; @_ZN7rocprim17ROCPRIM_400000_NS6detail17trampoline_kernelINS0_14default_configENS1_25transform_config_selectorImLb1EEEZNS1_14transform_implILb1ES3_S5_PmPjNS0_8identityIvEEEE10hipError_tT2_T3_mT4_P12ihipStream_tbEUlT_E_NS1_11comp_targetILNS1_3genE3ELNS1_11target_archE908ELNS1_3gpuE7ELNS1_3repE0EEENS1_30default_config_static_selectorELNS0_4arch9wavefront6targetE0EEEvT1_
; %bb.0:
	.section	.rodata,"a",@progbits
	.p2align	6, 0x0
	.amdhsa_kernel _ZN7rocprim17ROCPRIM_400000_NS6detail17trampoline_kernelINS0_14default_configENS1_25transform_config_selectorImLb1EEEZNS1_14transform_implILb1ES3_S5_PmPjNS0_8identityIvEEEE10hipError_tT2_T3_mT4_P12ihipStream_tbEUlT_E_NS1_11comp_targetILNS1_3genE3ELNS1_11target_archE908ELNS1_3gpuE7ELNS1_3repE0EEENS1_30default_config_static_selectorELNS0_4arch9wavefront6targetE0EEEvT1_
		.amdhsa_group_segment_fixed_size 0
		.amdhsa_private_segment_fixed_size 0
		.amdhsa_kernarg_size 40
		.amdhsa_user_sgpr_count 2
		.amdhsa_user_sgpr_dispatch_ptr 0
		.amdhsa_user_sgpr_queue_ptr 0
		.amdhsa_user_sgpr_kernarg_segment_ptr 1
		.amdhsa_user_sgpr_dispatch_id 0
		.amdhsa_user_sgpr_kernarg_preload_length 0
		.amdhsa_user_sgpr_kernarg_preload_offset 0
		.amdhsa_user_sgpr_private_segment_size 0
		.amdhsa_wavefront_size32 1
		.amdhsa_uses_dynamic_stack 0
		.amdhsa_enable_private_segment 0
		.amdhsa_system_sgpr_workgroup_id_x 1
		.amdhsa_system_sgpr_workgroup_id_y 0
		.amdhsa_system_sgpr_workgroup_id_z 0
		.amdhsa_system_sgpr_workgroup_info 0
		.amdhsa_system_vgpr_workitem_id 0
		.amdhsa_next_free_vgpr 1
		.amdhsa_next_free_sgpr 1
		.amdhsa_named_barrier_count 0
		.amdhsa_reserve_vcc 0
		.amdhsa_float_round_mode_32 0
		.amdhsa_float_round_mode_16_64 0
		.amdhsa_float_denorm_mode_32 3
		.amdhsa_float_denorm_mode_16_64 3
		.amdhsa_fp16_overflow 0
		.amdhsa_memory_ordered 1
		.amdhsa_forward_progress 1
		.amdhsa_inst_pref_size 0
		.amdhsa_round_robin_scheduling 0
		.amdhsa_exception_fp_ieee_invalid_op 0
		.amdhsa_exception_fp_denorm_src 0
		.amdhsa_exception_fp_ieee_div_zero 0
		.amdhsa_exception_fp_ieee_overflow 0
		.amdhsa_exception_fp_ieee_underflow 0
		.amdhsa_exception_fp_ieee_inexact 0
		.amdhsa_exception_int_div_zero 0
	.end_amdhsa_kernel
	.section	.text._ZN7rocprim17ROCPRIM_400000_NS6detail17trampoline_kernelINS0_14default_configENS1_25transform_config_selectorImLb1EEEZNS1_14transform_implILb1ES3_S5_PmPjNS0_8identityIvEEEE10hipError_tT2_T3_mT4_P12ihipStream_tbEUlT_E_NS1_11comp_targetILNS1_3genE3ELNS1_11target_archE908ELNS1_3gpuE7ELNS1_3repE0EEENS1_30default_config_static_selectorELNS0_4arch9wavefront6targetE0EEEvT1_,"axG",@progbits,_ZN7rocprim17ROCPRIM_400000_NS6detail17trampoline_kernelINS0_14default_configENS1_25transform_config_selectorImLb1EEEZNS1_14transform_implILb1ES3_S5_PmPjNS0_8identityIvEEEE10hipError_tT2_T3_mT4_P12ihipStream_tbEUlT_E_NS1_11comp_targetILNS1_3genE3ELNS1_11target_archE908ELNS1_3gpuE7ELNS1_3repE0EEENS1_30default_config_static_selectorELNS0_4arch9wavefront6targetE0EEEvT1_,comdat
.Lfunc_end16:
	.size	_ZN7rocprim17ROCPRIM_400000_NS6detail17trampoline_kernelINS0_14default_configENS1_25transform_config_selectorImLb1EEEZNS1_14transform_implILb1ES3_S5_PmPjNS0_8identityIvEEEE10hipError_tT2_T3_mT4_P12ihipStream_tbEUlT_E_NS1_11comp_targetILNS1_3genE3ELNS1_11target_archE908ELNS1_3gpuE7ELNS1_3repE0EEENS1_30default_config_static_selectorELNS0_4arch9wavefront6targetE0EEEvT1_, .Lfunc_end16-_ZN7rocprim17ROCPRIM_400000_NS6detail17trampoline_kernelINS0_14default_configENS1_25transform_config_selectorImLb1EEEZNS1_14transform_implILb1ES3_S5_PmPjNS0_8identityIvEEEE10hipError_tT2_T3_mT4_P12ihipStream_tbEUlT_E_NS1_11comp_targetILNS1_3genE3ELNS1_11target_archE908ELNS1_3gpuE7ELNS1_3repE0EEENS1_30default_config_static_selectorELNS0_4arch9wavefront6targetE0EEEvT1_
                                        ; -- End function
	.set _ZN7rocprim17ROCPRIM_400000_NS6detail17trampoline_kernelINS0_14default_configENS1_25transform_config_selectorImLb1EEEZNS1_14transform_implILb1ES3_S5_PmPjNS0_8identityIvEEEE10hipError_tT2_T3_mT4_P12ihipStream_tbEUlT_E_NS1_11comp_targetILNS1_3genE3ELNS1_11target_archE908ELNS1_3gpuE7ELNS1_3repE0EEENS1_30default_config_static_selectorELNS0_4arch9wavefront6targetE0EEEvT1_.num_vgpr, 0
	.set _ZN7rocprim17ROCPRIM_400000_NS6detail17trampoline_kernelINS0_14default_configENS1_25transform_config_selectorImLb1EEEZNS1_14transform_implILb1ES3_S5_PmPjNS0_8identityIvEEEE10hipError_tT2_T3_mT4_P12ihipStream_tbEUlT_E_NS1_11comp_targetILNS1_3genE3ELNS1_11target_archE908ELNS1_3gpuE7ELNS1_3repE0EEENS1_30default_config_static_selectorELNS0_4arch9wavefront6targetE0EEEvT1_.num_agpr, 0
	.set _ZN7rocprim17ROCPRIM_400000_NS6detail17trampoline_kernelINS0_14default_configENS1_25transform_config_selectorImLb1EEEZNS1_14transform_implILb1ES3_S5_PmPjNS0_8identityIvEEEE10hipError_tT2_T3_mT4_P12ihipStream_tbEUlT_E_NS1_11comp_targetILNS1_3genE3ELNS1_11target_archE908ELNS1_3gpuE7ELNS1_3repE0EEENS1_30default_config_static_selectorELNS0_4arch9wavefront6targetE0EEEvT1_.numbered_sgpr, 0
	.set _ZN7rocprim17ROCPRIM_400000_NS6detail17trampoline_kernelINS0_14default_configENS1_25transform_config_selectorImLb1EEEZNS1_14transform_implILb1ES3_S5_PmPjNS0_8identityIvEEEE10hipError_tT2_T3_mT4_P12ihipStream_tbEUlT_E_NS1_11comp_targetILNS1_3genE3ELNS1_11target_archE908ELNS1_3gpuE7ELNS1_3repE0EEENS1_30default_config_static_selectorELNS0_4arch9wavefront6targetE0EEEvT1_.num_named_barrier, 0
	.set _ZN7rocprim17ROCPRIM_400000_NS6detail17trampoline_kernelINS0_14default_configENS1_25transform_config_selectorImLb1EEEZNS1_14transform_implILb1ES3_S5_PmPjNS0_8identityIvEEEE10hipError_tT2_T3_mT4_P12ihipStream_tbEUlT_E_NS1_11comp_targetILNS1_3genE3ELNS1_11target_archE908ELNS1_3gpuE7ELNS1_3repE0EEENS1_30default_config_static_selectorELNS0_4arch9wavefront6targetE0EEEvT1_.private_seg_size, 0
	.set _ZN7rocprim17ROCPRIM_400000_NS6detail17trampoline_kernelINS0_14default_configENS1_25transform_config_selectorImLb1EEEZNS1_14transform_implILb1ES3_S5_PmPjNS0_8identityIvEEEE10hipError_tT2_T3_mT4_P12ihipStream_tbEUlT_E_NS1_11comp_targetILNS1_3genE3ELNS1_11target_archE908ELNS1_3gpuE7ELNS1_3repE0EEENS1_30default_config_static_selectorELNS0_4arch9wavefront6targetE0EEEvT1_.uses_vcc, 0
	.set _ZN7rocprim17ROCPRIM_400000_NS6detail17trampoline_kernelINS0_14default_configENS1_25transform_config_selectorImLb1EEEZNS1_14transform_implILb1ES3_S5_PmPjNS0_8identityIvEEEE10hipError_tT2_T3_mT4_P12ihipStream_tbEUlT_E_NS1_11comp_targetILNS1_3genE3ELNS1_11target_archE908ELNS1_3gpuE7ELNS1_3repE0EEENS1_30default_config_static_selectorELNS0_4arch9wavefront6targetE0EEEvT1_.uses_flat_scratch, 0
	.set _ZN7rocprim17ROCPRIM_400000_NS6detail17trampoline_kernelINS0_14default_configENS1_25transform_config_selectorImLb1EEEZNS1_14transform_implILb1ES3_S5_PmPjNS0_8identityIvEEEE10hipError_tT2_T3_mT4_P12ihipStream_tbEUlT_E_NS1_11comp_targetILNS1_3genE3ELNS1_11target_archE908ELNS1_3gpuE7ELNS1_3repE0EEENS1_30default_config_static_selectorELNS0_4arch9wavefront6targetE0EEEvT1_.has_dyn_sized_stack, 0
	.set _ZN7rocprim17ROCPRIM_400000_NS6detail17trampoline_kernelINS0_14default_configENS1_25transform_config_selectorImLb1EEEZNS1_14transform_implILb1ES3_S5_PmPjNS0_8identityIvEEEE10hipError_tT2_T3_mT4_P12ihipStream_tbEUlT_E_NS1_11comp_targetILNS1_3genE3ELNS1_11target_archE908ELNS1_3gpuE7ELNS1_3repE0EEENS1_30default_config_static_selectorELNS0_4arch9wavefront6targetE0EEEvT1_.has_recursion, 0
	.set _ZN7rocprim17ROCPRIM_400000_NS6detail17trampoline_kernelINS0_14default_configENS1_25transform_config_selectorImLb1EEEZNS1_14transform_implILb1ES3_S5_PmPjNS0_8identityIvEEEE10hipError_tT2_T3_mT4_P12ihipStream_tbEUlT_E_NS1_11comp_targetILNS1_3genE3ELNS1_11target_archE908ELNS1_3gpuE7ELNS1_3repE0EEENS1_30default_config_static_selectorELNS0_4arch9wavefront6targetE0EEEvT1_.has_indirect_call, 0
	.section	.AMDGPU.csdata,"",@progbits
; Kernel info:
; codeLenInByte = 0
; TotalNumSgprs: 0
; NumVgprs: 0
; ScratchSize: 0
; MemoryBound: 0
; FloatMode: 240
; IeeeMode: 1
; LDSByteSize: 0 bytes/workgroup (compile time only)
; SGPRBlocks: 0
; VGPRBlocks: 0
; NumSGPRsForWavesPerEU: 1
; NumVGPRsForWavesPerEU: 1
; NamedBarCnt: 0
; Occupancy: 16
; WaveLimiterHint : 0
; COMPUTE_PGM_RSRC2:SCRATCH_EN: 0
; COMPUTE_PGM_RSRC2:USER_SGPR: 2
; COMPUTE_PGM_RSRC2:TRAP_HANDLER: 0
; COMPUTE_PGM_RSRC2:TGID_X_EN: 1
; COMPUTE_PGM_RSRC2:TGID_Y_EN: 0
; COMPUTE_PGM_RSRC2:TGID_Z_EN: 0
; COMPUTE_PGM_RSRC2:TIDIG_COMP_CNT: 0
	.section	.text._ZN7rocprim17ROCPRIM_400000_NS6detail17trampoline_kernelINS0_14default_configENS1_25transform_config_selectorImLb1EEEZNS1_14transform_implILb1ES3_S5_PmPjNS0_8identityIvEEEE10hipError_tT2_T3_mT4_P12ihipStream_tbEUlT_E_NS1_11comp_targetILNS1_3genE2ELNS1_11target_archE906ELNS1_3gpuE6ELNS1_3repE0EEENS1_30default_config_static_selectorELNS0_4arch9wavefront6targetE0EEEvT1_,"axG",@progbits,_ZN7rocprim17ROCPRIM_400000_NS6detail17trampoline_kernelINS0_14default_configENS1_25transform_config_selectorImLb1EEEZNS1_14transform_implILb1ES3_S5_PmPjNS0_8identityIvEEEE10hipError_tT2_T3_mT4_P12ihipStream_tbEUlT_E_NS1_11comp_targetILNS1_3genE2ELNS1_11target_archE906ELNS1_3gpuE6ELNS1_3repE0EEENS1_30default_config_static_selectorELNS0_4arch9wavefront6targetE0EEEvT1_,comdat
	.protected	_ZN7rocprim17ROCPRIM_400000_NS6detail17trampoline_kernelINS0_14default_configENS1_25transform_config_selectorImLb1EEEZNS1_14transform_implILb1ES3_S5_PmPjNS0_8identityIvEEEE10hipError_tT2_T3_mT4_P12ihipStream_tbEUlT_E_NS1_11comp_targetILNS1_3genE2ELNS1_11target_archE906ELNS1_3gpuE6ELNS1_3repE0EEENS1_30default_config_static_selectorELNS0_4arch9wavefront6targetE0EEEvT1_ ; -- Begin function _ZN7rocprim17ROCPRIM_400000_NS6detail17trampoline_kernelINS0_14default_configENS1_25transform_config_selectorImLb1EEEZNS1_14transform_implILb1ES3_S5_PmPjNS0_8identityIvEEEE10hipError_tT2_T3_mT4_P12ihipStream_tbEUlT_E_NS1_11comp_targetILNS1_3genE2ELNS1_11target_archE906ELNS1_3gpuE6ELNS1_3repE0EEENS1_30default_config_static_selectorELNS0_4arch9wavefront6targetE0EEEvT1_
	.globl	_ZN7rocprim17ROCPRIM_400000_NS6detail17trampoline_kernelINS0_14default_configENS1_25transform_config_selectorImLb1EEEZNS1_14transform_implILb1ES3_S5_PmPjNS0_8identityIvEEEE10hipError_tT2_T3_mT4_P12ihipStream_tbEUlT_E_NS1_11comp_targetILNS1_3genE2ELNS1_11target_archE906ELNS1_3gpuE6ELNS1_3repE0EEENS1_30default_config_static_selectorELNS0_4arch9wavefront6targetE0EEEvT1_
	.p2align	8
	.type	_ZN7rocprim17ROCPRIM_400000_NS6detail17trampoline_kernelINS0_14default_configENS1_25transform_config_selectorImLb1EEEZNS1_14transform_implILb1ES3_S5_PmPjNS0_8identityIvEEEE10hipError_tT2_T3_mT4_P12ihipStream_tbEUlT_E_NS1_11comp_targetILNS1_3genE2ELNS1_11target_archE906ELNS1_3gpuE6ELNS1_3repE0EEENS1_30default_config_static_selectorELNS0_4arch9wavefront6targetE0EEEvT1_,@function
_ZN7rocprim17ROCPRIM_400000_NS6detail17trampoline_kernelINS0_14default_configENS1_25transform_config_selectorImLb1EEEZNS1_14transform_implILb1ES3_S5_PmPjNS0_8identityIvEEEE10hipError_tT2_T3_mT4_P12ihipStream_tbEUlT_E_NS1_11comp_targetILNS1_3genE2ELNS1_11target_archE906ELNS1_3gpuE6ELNS1_3repE0EEENS1_30default_config_static_selectorELNS0_4arch9wavefront6targetE0EEEvT1_: ; @_ZN7rocprim17ROCPRIM_400000_NS6detail17trampoline_kernelINS0_14default_configENS1_25transform_config_selectorImLb1EEEZNS1_14transform_implILb1ES3_S5_PmPjNS0_8identityIvEEEE10hipError_tT2_T3_mT4_P12ihipStream_tbEUlT_E_NS1_11comp_targetILNS1_3genE2ELNS1_11target_archE906ELNS1_3gpuE6ELNS1_3repE0EEENS1_30default_config_static_selectorELNS0_4arch9wavefront6targetE0EEEvT1_
; %bb.0:
	.section	.rodata,"a",@progbits
	.p2align	6, 0x0
	.amdhsa_kernel _ZN7rocprim17ROCPRIM_400000_NS6detail17trampoline_kernelINS0_14default_configENS1_25transform_config_selectorImLb1EEEZNS1_14transform_implILb1ES3_S5_PmPjNS0_8identityIvEEEE10hipError_tT2_T3_mT4_P12ihipStream_tbEUlT_E_NS1_11comp_targetILNS1_3genE2ELNS1_11target_archE906ELNS1_3gpuE6ELNS1_3repE0EEENS1_30default_config_static_selectorELNS0_4arch9wavefront6targetE0EEEvT1_
		.amdhsa_group_segment_fixed_size 0
		.amdhsa_private_segment_fixed_size 0
		.amdhsa_kernarg_size 40
		.amdhsa_user_sgpr_count 2
		.amdhsa_user_sgpr_dispatch_ptr 0
		.amdhsa_user_sgpr_queue_ptr 0
		.amdhsa_user_sgpr_kernarg_segment_ptr 1
		.amdhsa_user_sgpr_dispatch_id 0
		.amdhsa_user_sgpr_kernarg_preload_length 0
		.amdhsa_user_sgpr_kernarg_preload_offset 0
		.amdhsa_user_sgpr_private_segment_size 0
		.amdhsa_wavefront_size32 1
		.amdhsa_uses_dynamic_stack 0
		.amdhsa_enable_private_segment 0
		.amdhsa_system_sgpr_workgroup_id_x 1
		.amdhsa_system_sgpr_workgroup_id_y 0
		.amdhsa_system_sgpr_workgroup_id_z 0
		.amdhsa_system_sgpr_workgroup_info 0
		.amdhsa_system_vgpr_workitem_id 0
		.amdhsa_next_free_vgpr 1
		.amdhsa_next_free_sgpr 1
		.amdhsa_named_barrier_count 0
		.amdhsa_reserve_vcc 0
		.amdhsa_float_round_mode_32 0
		.amdhsa_float_round_mode_16_64 0
		.amdhsa_float_denorm_mode_32 3
		.amdhsa_float_denorm_mode_16_64 3
		.amdhsa_fp16_overflow 0
		.amdhsa_memory_ordered 1
		.amdhsa_forward_progress 1
		.amdhsa_inst_pref_size 0
		.amdhsa_round_robin_scheduling 0
		.amdhsa_exception_fp_ieee_invalid_op 0
		.amdhsa_exception_fp_denorm_src 0
		.amdhsa_exception_fp_ieee_div_zero 0
		.amdhsa_exception_fp_ieee_overflow 0
		.amdhsa_exception_fp_ieee_underflow 0
		.amdhsa_exception_fp_ieee_inexact 0
		.amdhsa_exception_int_div_zero 0
	.end_amdhsa_kernel
	.section	.text._ZN7rocprim17ROCPRIM_400000_NS6detail17trampoline_kernelINS0_14default_configENS1_25transform_config_selectorImLb1EEEZNS1_14transform_implILb1ES3_S5_PmPjNS0_8identityIvEEEE10hipError_tT2_T3_mT4_P12ihipStream_tbEUlT_E_NS1_11comp_targetILNS1_3genE2ELNS1_11target_archE906ELNS1_3gpuE6ELNS1_3repE0EEENS1_30default_config_static_selectorELNS0_4arch9wavefront6targetE0EEEvT1_,"axG",@progbits,_ZN7rocprim17ROCPRIM_400000_NS6detail17trampoline_kernelINS0_14default_configENS1_25transform_config_selectorImLb1EEEZNS1_14transform_implILb1ES3_S5_PmPjNS0_8identityIvEEEE10hipError_tT2_T3_mT4_P12ihipStream_tbEUlT_E_NS1_11comp_targetILNS1_3genE2ELNS1_11target_archE906ELNS1_3gpuE6ELNS1_3repE0EEENS1_30default_config_static_selectorELNS0_4arch9wavefront6targetE0EEEvT1_,comdat
.Lfunc_end17:
	.size	_ZN7rocprim17ROCPRIM_400000_NS6detail17trampoline_kernelINS0_14default_configENS1_25transform_config_selectorImLb1EEEZNS1_14transform_implILb1ES3_S5_PmPjNS0_8identityIvEEEE10hipError_tT2_T3_mT4_P12ihipStream_tbEUlT_E_NS1_11comp_targetILNS1_3genE2ELNS1_11target_archE906ELNS1_3gpuE6ELNS1_3repE0EEENS1_30default_config_static_selectorELNS0_4arch9wavefront6targetE0EEEvT1_, .Lfunc_end17-_ZN7rocprim17ROCPRIM_400000_NS6detail17trampoline_kernelINS0_14default_configENS1_25transform_config_selectorImLb1EEEZNS1_14transform_implILb1ES3_S5_PmPjNS0_8identityIvEEEE10hipError_tT2_T3_mT4_P12ihipStream_tbEUlT_E_NS1_11comp_targetILNS1_3genE2ELNS1_11target_archE906ELNS1_3gpuE6ELNS1_3repE0EEENS1_30default_config_static_selectorELNS0_4arch9wavefront6targetE0EEEvT1_
                                        ; -- End function
	.set _ZN7rocprim17ROCPRIM_400000_NS6detail17trampoline_kernelINS0_14default_configENS1_25transform_config_selectorImLb1EEEZNS1_14transform_implILb1ES3_S5_PmPjNS0_8identityIvEEEE10hipError_tT2_T3_mT4_P12ihipStream_tbEUlT_E_NS1_11comp_targetILNS1_3genE2ELNS1_11target_archE906ELNS1_3gpuE6ELNS1_3repE0EEENS1_30default_config_static_selectorELNS0_4arch9wavefront6targetE0EEEvT1_.num_vgpr, 0
	.set _ZN7rocprim17ROCPRIM_400000_NS6detail17trampoline_kernelINS0_14default_configENS1_25transform_config_selectorImLb1EEEZNS1_14transform_implILb1ES3_S5_PmPjNS0_8identityIvEEEE10hipError_tT2_T3_mT4_P12ihipStream_tbEUlT_E_NS1_11comp_targetILNS1_3genE2ELNS1_11target_archE906ELNS1_3gpuE6ELNS1_3repE0EEENS1_30default_config_static_selectorELNS0_4arch9wavefront6targetE0EEEvT1_.num_agpr, 0
	.set _ZN7rocprim17ROCPRIM_400000_NS6detail17trampoline_kernelINS0_14default_configENS1_25transform_config_selectorImLb1EEEZNS1_14transform_implILb1ES3_S5_PmPjNS0_8identityIvEEEE10hipError_tT2_T3_mT4_P12ihipStream_tbEUlT_E_NS1_11comp_targetILNS1_3genE2ELNS1_11target_archE906ELNS1_3gpuE6ELNS1_3repE0EEENS1_30default_config_static_selectorELNS0_4arch9wavefront6targetE0EEEvT1_.numbered_sgpr, 0
	.set _ZN7rocprim17ROCPRIM_400000_NS6detail17trampoline_kernelINS0_14default_configENS1_25transform_config_selectorImLb1EEEZNS1_14transform_implILb1ES3_S5_PmPjNS0_8identityIvEEEE10hipError_tT2_T3_mT4_P12ihipStream_tbEUlT_E_NS1_11comp_targetILNS1_3genE2ELNS1_11target_archE906ELNS1_3gpuE6ELNS1_3repE0EEENS1_30default_config_static_selectorELNS0_4arch9wavefront6targetE0EEEvT1_.num_named_barrier, 0
	.set _ZN7rocprim17ROCPRIM_400000_NS6detail17trampoline_kernelINS0_14default_configENS1_25transform_config_selectorImLb1EEEZNS1_14transform_implILb1ES3_S5_PmPjNS0_8identityIvEEEE10hipError_tT2_T3_mT4_P12ihipStream_tbEUlT_E_NS1_11comp_targetILNS1_3genE2ELNS1_11target_archE906ELNS1_3gpuE6ELNS1_3repE0EEENS1_30default_config_static_selectorELNS0_4arch9wavefront6targetE0EEEvT1_.private_seg_size, 0
	.set _ZN7rocprim17ROCPRIM_400000_NS6detail17trampoline_kernelINS0_14default_configENS1_25transform_config_selectorImLb1EEEZNS1_14transform_implILb1ES3_S5_PmPjNS0_8identityIvEEEE10hipError_tT2_T3_mT4_P12ihipStream_tbEUlT_E_NS1_11comp_targetILNS1_3genE2ELNS1_11target_archE906ELNS1_3gpuE6ELNS1_3repE0EEENS1_30default_config_static_selectorELNS0_4arch9wavefront6targetE0EEEvT1_.uses_vcc, 0
	.set _ZN7rocprim17ROCPRIM_400000_NS6detail17trampoline_kernelINS0_14default_configENS1_25transform_config_selectorImLb1EEEZNS1_14transform_implILb1ES3_S5_PmPjNS0_8identityIvEEEE10hipError_tT2_T3_mT4_P12ihipStream_tbEUlT_E_NS1_11comp_targetILNS1_3genE2ELNS1_11target_archE906ELNS1_3gpuE6ELNS1_3repE0EEENS1_30default_config_static_selectorELNS0_4arch9wavefront6targetE0EEEvT1_.uses_flat_scratch, 0
	.set _ZN7rocprim17ROCPRIM_400000_NS6detail17trampoline_kernelINS0_14default_configENS1_25transform_config_selectorImLb1EEEZNS1_14transform_implILb1ES3_S5_PmPjNS0_8identityIvEEEE10hipError_tT2_T3_mT4_P12ihipStream_tbEUlT_E_NS1_11comp_targetILNS1_3genE2ELNS1_11target_archE906ELNS1_3gpuE6ELNS1_3repE0EEENS1_30default_config_static_selectorELNS0_4arch9wavefront6targetE0EEEvT1_.has_dyn_sized_stack, 0
	.set _ZN7rocprim17ROCPRIM_400000_NS6detail17trampoline_kernelINS0_14default_configENS1_25transform_config_selectorImLb1EEEZNS1_14transform_implILb1ES3_S5_PmPjNS0_8identityIvEEEE10hipError_tT2_T3_mT4_P12ihipStream_tbEUlT_E_NS1_11comp_targetILNS1_3genE2ELNS1_11target_archE906ELNS1_3gpuE6ELNS1_3repE0EEENS1_30default_config_static_selectorELNS0_4arch9wavefront6targetE0EEEvT1_.has_recursion, 0
	.set _ZN7rocprim17ROCPRIM_400000_NS6detail17trampoline_kernelINS0_14default_configENS1_25transform_config_selectorImLb1EEEZNS1_14transform_implILb1ES3_S5_PmPjNS0_8identityIvEEEE10hipError_tT2_T3_mT4_P12ihipStream_tbEUlT_E_NS1_11comp_targetILNS1_3genE2ELNS1_11target_archE906ELNS1_3gpuE6ELNS1_3repE0EEENS1_30default_config_static_selectorELNS0_4arch9wavefront6targetE0EEEvT1_.has_indirect_call, 0
	.section	.AMDGPU.csdata,"",@progbits
; Kernel info:
; codeLenInByte = 0
; TotalNumSgprs: 0
; NumVgprs: 0
; ScratchSize: 0
; MemoryBound: 0
; FloatMode: 240
; IeeeMode: 1
; LDSByteSize: 0 bytes/workgroup (compile time only)
; SGPRBlocks: 0
; VGPRBlocks: 0
; NumSGPRsForWavesPerEU: 1
; NumVGPRsForWavesPerEU: 1
; NamedBarCnt: 0
; Occupancy: 16
; WaveLimiterHint : 0
; COMPUTE_PGM_RSRC2:SCRATCH_EN: 0
; COMPUTE_PGM_RSRC2:USER_SGPR: 2
; COMPUTE_PGM_RSRC2:TRAP_HANDLER: 0
; COMPUTE_PGM_RSRC2:TGID_X_EN: 1
; COMPUTE_PGM_RSRC2:TGID_Y_EN: 0
; COMPUTE_PGM_RSRC2:TGID_Z_EN: 0
; COMPUTE_PGM_RSRC2:TIDIG_COMP_CNT: 0
	.section	.text._ZN7rocprim17ROCPRIM_400000_NS6detail17trampoline_kernelINS0_14default_configENS1_25transform_config_selectorImLb1EEEZNS1_14transform_implILb1ES3_S5_PmPjNS0_8identityIvEEEE10hipError_tT2_T3_mT4_P12ihipStream_tbEUlT_E_NS1_11comp_targetILNS1_3genE9ELNS1_11target_archE1100ELNS1_3gpuE3ELNS1_3repE0EEENS1_30default_config_static_selectorELNS0_4arch9wavefront6targetE0EEEvT1_,"axG",@progbits,_ZN7rocprim17ROCPRIM_400000_NS6detail17trampoline_kernelINS0_14default_configENS1_25transform_config_selectorImLb1EEEZNS1_14transform_implILb1ES3_S5_PmPjNS0_8identityIvEEEE10hipError_tT2_T3_mT4_P12ihipStream_tbEUlT_E_NS1_11comp_targetILNS1_3genE9ELNS1_11target_archE1100ELNS1_3gpuE3ELNS1_3repE0EEENS1_30default_config_static_selectorELNS0_4arch9wavefront6targetE0EEEvT1_,comdat
	.protected	_ZN7rocprim17ROCPRIM_400000_NS6detail17trampoline_kernelINS0_14default_configENS1_25transform_config_selectorImLb1EEEZNS1_14transform_implILb1ES3_S5_PmPjNS0_8identityIvEEEE10hipError_tT2_T3_mT4_P12ihipStream_tbEUlT_E_NS1_11comp_targetILNS1_3genE9ELNS1_11target_archE1100ELNS1_3gpuE3ELNS1_3repE0EEENS1_30default_config_static_selectorELNS0_4arch9wavefront6targetE0EEEvT1_ ; -- Begin function _ZN7rocprim17ROCPRIM_400000_NS6detail17trampoline_kernelINS0_14default_configENS1_25transform_config_selectorImLb1EEEZNS1_14transform_implILb1ES3_S5_PmPjNS0_8identityIvEEEE10hipError_tT2_T3_mT4_P12ihipStream_tbEUlT_E_NS1_11comp_targetILNS1_3genE9ELNS1_11target_archE1100ELNS1_3gpuE3ELNS1_3repE0EEENS1_30default_config_static_selectorELNS0_4arch9wavefront6targetE0EEEvT1_
	.globl	_ZN7rocprim17ROCPRIM_400000_NS6detail17trampoline_kernelINS0_14default_configENS1_25transform_config_selectorImLb1EEEZNS1_14transform_implILb1ES3_S5_PmPjNS0_8identityIvEEEE10hipError_tT2_T3_mT4_P12ihipStream_tbEUlT_E_NS1_11comp_targetILNS1_3genE9ELNS1_11target_archE1100ELNS1_3gpuE3ELNS1_3repE0EEENS1_30default_config_static_selectorELNS0_4arch9wavefront6targetE0EEEvT1_
	.p2align	8
	.type	_ZN7rocprim17ROCPRIM_400000_NS6detail17trampoline_kernelINS0_14default_configENS1_25transform_config_selectorImLb1EEEZNS1_14transform_implILb1ES3_S5_PmPjNS0_8identityIvEEEE10hipError_tT2_T3_mT4_P12ihipStream_tbEUlT_E_NS1_11comp_targetILNS1_3genE9ELNS1_11target_archE1100ELNS1_3gpuE3ELNS1_3repE0EEENS1_30default_config_static_selectorELNS0_4arch9wavefront6targetE0EEEvT1_,@function
_ZN7rocprim17ROCPRIM_400000_NS6detail17trampoline_kernelINS0_14default_configENS1_25transform_config_selectorImLb1EEEZNS1_14transform_implILb1ES3_S5_PmPjNS0_8identityIvEEEE10hipError_tT2_T3_mT4_P12ihipStream_tbEUlT_E_NS1_11comp_targetILNS1_3genE9ELNS1_11target_archE1100ELNS1_3gpuE3ELNS1_3repE0EEENS1_30default_config_static_selectorELNS0_4arch9wavefront6targetE0EEEvT1_: ; @_ZN7rocprim17ROCPRIM_400000_NS6detail17trampoline_kernelINS0_14default_configENS1_25transform_config_selectorImLb1EEEZNS1_14transform_implILb1ES3_S5_PmPjNS0_8identityIvEEEE10hipError_tT2_T3_mT4_P12ihipStream_tbEUlT_E_NS1_11comp_targetILNS1_3genE9ELNS1_11target_archE1100ELNS1_3gpuE3ELNS1_3repE0EEENS1_30default_config_static_selectorELNS0_4arch9wavefront6targetE0EEEvT1_
; %bb.0:
	.section	.rodata,"a",@progbits
	.p2align	6, 0x0
	.amdhsa_kernel _ZN7rocprim17ROCPRIM_400000_NS6detail17trampoline_kernelINS0_14default_configENS1_25transform_config_selectorImLb1EEEZNS1_14transform_implILb1ES3_S5_PmPjNS0_8identityIvEEEE10hipError_tT2_T3_mT4_P12ihipStream_tbEUlT_E_NS1_11comp_targetILNS1_3genE9ELNS1_11target_archE1100ELNS1_3gpuE3ELNS1_3repE0EEENS1_30default_config_static_selectorELNS0_4arch9wavefront6targetE0EEEvT1_
		.amdhsa_group_segment_fixed_size 0
		.amdhsa_private_segment_fixed_size 0
		.amdhsa_kernarg_size 40
		.amdhsa_user_sgpr_count 2
		.amdhsa_user_sgpr_dispatch_ptr 0
		.amdhsa_user_sgpr_queue_ptr 0
		.amdhsa_user_sgpr_kernarg_segment_ptr 1
		.amdhsa_user_sgpr_dispatch_id 0
		.amdhsa_user_sgpr_kernarg_preload_length 0
		.amdhsa_user_sgpr_kernarg_preload_offset 0
		.amdhsa_user_sgpr_private_segment_size 0
		.amdhsa_wavefront_size32 1
		.amdhsa_uses_dynamic_stack 0
		.amdhsa_enable_private_segment 0
		.amdhsa_system_sgpr_workgroup_id_x 1
		.amdhsa_system_sgpr_workgroup_id_y 0
		.amdhsa_system_sgpr_workgroup_id_z 0
		.amdhsa_system_sgpr_workgroup_info 0
		.amdhsa_system_vgpr_workitem_id 0
		.amdhsa_next_free_vgpr 1
		.amdhsa_next_free_sgpr 1
		.amdhsa_named_barrier_count 0
		.amdhsa_reserve_vcc 0
		.amdhsa_float_round_mode_32 0
		.amdhsa_float_round_mode_16_64 0
		.amdhsa_float_denorm_mode_32 3
		.amdhsa_float_denorm_mode_16_64 3
		.amdhsa_fp16_overflow 0
		.amdhsa_memory_ordered 1
		.amdhsa_forward_progress 1
		.amdhsa_inst_pref_size 0
		.amdhsa_round_robin_scheduling 0
		.amdhsa_exception_fp_ieee_invalid_op 0
		.amdhsa_exception_fp_denorm_src 0
		.amdhsa_exception_fp_ieee_div_zero 0
		.amdhsa_exception_fp_ieee_overflow 0
		.amdhsa_exception_fp_ieee_underflow 0
		.amdhsa_exception_fp_ieee_inexact 0
		.amdhsa_exception_int_div_zero 0
	.end_amdhsa_kernel
	.section	.text._ZN7rocprim17ROCPRIM_400000_NS6detail17trampoline_kernelINS0_14default_configENS1_25transform_config_selectorImLb1EEEZNS1_14transform_implILb1ES3_S5_PmPjNS0_8identityIvEEEE10hipError_tT2_T3_mT4_P12ihipStream_tbEUlT_E_NS1_11comp_targetILNS1_3genE9ELNS1_11target_archE1100ELNS1_3gpuE3ELNS1_3repE0EEENS1_30default_config_static_selectorELNS0_4arch9wavefront6targetE0EEEvT1_,"axG",@progbits,_ZN7rocprim17ROCPRIM_400000_NS6detail17trampoline_kernelINS0_14default_configENS1_25transform_config_selectorImLb1EEEZNS1_14transform_implILb1ES3_S5_PmPjNS0_8identityIvEEEE10hipError_tT2_T3_mT4_P12ihipStream_tbEUlT_E_NS1_11comp_targetILNS1_3genE9ELNS1_11target_archE1100ELNS1_3gpuE3ELNS1_3repE0EEENS1_30default_config_static_selectorELNS0_4arch9wavefront6targetE0EEEvT1_,comdat
.Lfunc_end18:
	.size	_ZN7rocprim17ROCPRIM_400000_NS6detail17trampoline_kernelINS0_14default_configENS1_25transform_config_selectorImLb1EEEZNS1_14transform_implILb1ES3_S5_PmPjNS0_8identityIvEEEE10hipError_tT2_T3_mT4_P12ihipStream_tbEUlT_E_NS1_11comp_targetILNS1_3genE9ELNS1_11target_archE1100ELNS1_3gpuE3ELNS1_3repE0EEENS1_30default_config_static_selectorELNS0_4arch9wavefront6targetE0EEEvT1_, .Lfunc_end18-_ZN7rocprim17ROCPRIM_400000_NS6detail17trampoline_kernelINS0_14default_configENS1_25transform_config_selectorImLb1EEEZNS1_14transform_implILb1ES3_S5_PmPjNS0_8identityIvEEEE10hipError_tT2_T3_mT4_P12ihipStream_tbEUlT_E_NS1_11comp_targetILNS1_3genE9ELNS1_11target_archE1100ELNS1_3gpuE3ELNS1_3repE0EEENS1_30default_config_static_selectorELNS0_4arch9wavefront6targetE0EEEvT1_
                                        ; -- End function
	.set _ZN7rocprim17ROCPRIM_400000_NS6detail17trampoline_kernelINS0_14default_configENS1_25transform_config_selectorImLb1EEEZNS1_14transform_implILb1ES3_S5_PmPjNS0_8identityIvEEEE10hipError_tT2_T3_mT4_P12ihipStream_tbEUlT_E_NS1_11comp_targetILNS1_3genE9ELNS1_11target_archE1100ELNS1_3gpuE3ELNS1_3repE0EEENS1_30default_config_static_selectorELNS0_4arch9wavefront6targetE0EEEvT1_.num_vgpr, 0
	.set _ZN7rocprim17ROCPRIM_400000_NS6detail17trampoline_kernelINS0_14default_configENS1_25transform_config_selectorImLb1EEEZNS1_14transform_implILb1ES3_S5_PmPjNS0_8identityIvEEEE10hipError_tT2_T3_mT4_P12ihipStream_tbEUlT_E_NS1_11comp_targetILNS1_3genE9ELNS1_11target_archE1100ELNS1_3gpuE3ELNS1_3repE0EEENS1_30default_config_static_selectorELNS0_4arch9wavefront6targetE0EEEvT1_.num_agpr, 0
	.set _ZN7rocprim17ROCPRIM_400000_NS6detail17trampoline_kernelINS0_14default_configENS1_25transform_config_selectorImLb1EEEZNS1_14transform_implILb1ES3_S5_PmPjNS0_8identityIvEEEE10hipError_tT2_T3_mT4_P12ihipStream_tbEUlT_E_NS1_11comp_targetILNS1_3genE9ELNS1_11target_archE1100ELNS1_3gpuE3ELNS1_3repE0EEENS1_30default_config_static_selectorELNS0_4arch9wavefront6targetE0EEEvT1_.numbered_sgpr, 0
	.set _ZN7rocprim17ROCPRIM_400000_NS6detail17trampoline_kernelINS0_14default_configENS1_25transform_config_selectorImLb1EEEZNS1_14transform_implILb1ES3_S5_PmPjNS0_8identityIvEEEE10hipError_tT2_T3_mT4_P12ihipStream_tbEUlT_E_NS1_11comp_targetILNS1_3genE9ELNS1_11target_archE1100ELNS1_3gpuE3ELNS1_3repE0EEENS1_30default_config_static_selectorELNS0_4arch9wavefront6targetE0EEEvT1_.num_named_barrier, 0
	.set _ZN7rocprim17ROCPRIM_400000_NS6detail17trampoline_kernelINS0_14default_configENS1_25transform_config_selectorImLb1EEEZNS1_14transform_implILb1ES3_S5_PmPjNS0_8identityIvEEEE10hipError_tT2_T3_mT4_P12ihipStream_tbEUlT_E_NS1_11comp_targetILNS1_3genE9ELNS1_11target_archE1100ELNS1_3gpuE3ELNS1_3repE0EEENS1_30default_config_static_selectorELNS0_4arch9wavefront6targetE0EEEvT1_.private_seg_size, 0
	.set _ZN7rocprim17ROCPRIM_400000_NS6detail17trampoline_kernelINS0_14default_configENS1_25transform_config_selectorImLb1EEEZNS1_14transform_implILb1ES3_S5_PmPjNS0_8identityIvEEEE10hipError_tT2_T3_mT4_P12ihipStream_tbEUlT_E_NS1_11comp_targetILNS1_3genE9ELNS1_11target_archE1100ELNS1_3gpuE3ELNS1_3repE0EEENS1_30default_config_static_selectorELNS0_4arch9wavefront6targetE0EEEvT1_.uses_vcc, 0
	.set _ZN7rocprim17ROCPRIM_400000_NS6detail17trampoline_kernelINS0_14default_configENS1_25transform_config_selectorImLb1EEEZNS1_14transform_implILb1ES3_S5_PmPjNS0_8identityIvEEEE10hipError_tT2_T3_mT4_P12ihipStream_tbEUlT_E_NS1_11comp_targetILNS1_3genE9ELNS1_11target_archE1100ELNS1_3gpuE3ELNS1_3repE0EEENS1_30default_config_static_selectorELNS0_4arch9wavefront6targetE0EEEvT1_.uses_flat_scratch, 0
	.set _ZN7rocprim17ROCPRIM_400000_NS6detail17trampoline_kernelINS0_14default_configENS1_25transform_config_selectorImLb1EEEZNS1_14transform_implILb1ES3_S5_PmPjNS0_8identityIvEEEE10hipError_tT2_T3_mT4_P12ihipStream_tbEUlT_E_NS1_11comp_targetILNS1_3genE9ELNS1_11target_archE1100ELNS1_3gpuE3ELNS1_3repE0EEENS1_30default_config_static_selectorELNS0_4arch9wavefront6targetE0EEEvT1_.has_dyn_sized_stack, 0
	.set _ZN7rocprim17ROCPRIM_400000_NS6detail17trampoline_kernelINS0_14default_configENS1_25transform_config_selectorImLb1EEEZNS1_14transform_implILb1ES3_S5_PmPjNS0_8identityIvEEEE10hipError_tT2_T3_mT4_P12ihipStream_tbEUlT_E_NS1_11comp_targetILNS1_3genE9ELNS1_11target_archE1100ELNS1_3gpuE3ELNS1_3repE0EEENS1_30default_config_static_selectorELNS0_4arch9wavefront6targetE0EEEvT1_.has_recursion, 0
	.set _ZN7rocprim17ROCPRIM_400000_NS6detail17trampoline_kernelINS0_14default_configENS1_25transform_config_selectorImLb1EEEZNS1_14transform_implILb1ES3_S5_PmPjNS0_8identityIvEEEE10hipError_tT2_T3_mT4_P12ihipStream_tbEUlT_E_NS1_11comp_targetILNS1_3genE9ELNS1_11target_archE1100ELNS1_3gpuE3ELNS1_3repE0EEENS1_30default_config_static_selectorELNS0_4arch9wavefront6targetE0EEEvT1_.has_indirect_call, 0
	.section	.AMDGPU.csdata,"",@progbits
; Kernel info:
; codeLenInByte = 0
; TotalNumSgprs: 0
; NumVgprs: 0
; ScratchSize: 0
; MemoryBound: 0
; FloatMode: 240
; IeeeMode: 1
; LDSByteSize: 0 bytes/workgroup (compile time only)
; SGPRBlocks: 0
; VGPRBlocks: 0
; NumSGPRsForWavesPerEU: 1
; NumVGPRsForWavesPerEU: 1
; NamedBarCnt: 0
; Occupancy: 16
; WaveLimiterHint : 0
; COMPUTE_PGM_RSRC2:SCRATCH_EN: 0
; COMPUTE_PGM_RSRC2:USER_SGPR: 2
; COMPUTE_PGM_RSRC2:TRAP_HANDLER: 0
; COMPUTE_PGM_RSRC2:TGID_X_EN: 1
; COMPUTE_PGM_RSRC2:TGID_Y_EN: 0
; COMPUTE_PGM_RSRC2:TGID_Z_EN: 0
; COMPUTE_PGM_RSRC2:TIDIG_COMP_CNT: 0
	.section	.text._ZN7rocprim17ROCPRIM_400000_NS6detail17trampoline_kernelINS0_14default_configENS1_25transform_config_selectorImLb1EEEZNS1_14transform_implILb1ES3_S5_PmPjNS0_8identityIvEEEE10hipError_tT2_T3_mT4_P12ihipStream_tbEUlT_E_NS1_11comp_targetILNS1_3genE8ELNS1_11target_archE1030ELNS1_3gpuE2ELNS1_3repE0EEENS1_30default_config_static_selectorELNS0_4arch9wavefront6targetE0EEEvT1_,"axG",@progbits,_ZN7rocprim17ROCPRIM_400000_NS6detail17trampoline_kernelINS0_14default_configENS1_25transform_config_selectorImLb1EEEZNS1_14transform_implILb1ES3_S5_PmPjNS0_8identityIvEEEE10hipError_tT2_T3_mT4_P12ihipStream_tbEUlT_E_NS1_11comp_targetILNS1_3genE8ELNS1_11target_archE1030ELNS1_3gpuE2ELNS1_3repE0EEENS1_30default_config_static_selectorELNS0_4arch9wavefront6targetE0EEEvT1_,comdat
	.protected	_ZN7rocprim17ROCPRIM_400000_NS6detail17trampoline_kernelINS0_14default_configENS1_25transform_config_selectorImLb1EEEZNS1_14transform_implILb1ES3_S5_PmPjNS0_8identityIvEEEE10hipError_tT2_T3_mT4_P12ihipStream_tbEUlT_E_NS1_11comp_targetILNS1_3genE8ELNS1_11target_archE1030ELNS1_3gpuE2ELNS1_3repE0EEENS1_30default_config_static_selectorELNS0_4arch9wavefront6targetE0EEEvT1_ ; -- Begin function _ZN7rocprim17ROCPRIM_400000_NS6detail17trampoline_kernelINS0_14default_configENS1_25transform_config_selectorImLb1EEEZNS1_14transform_implILb1ES3_S5_PmPjNS0_8identityIvEEEE10hipError_tT2_T3_mT4_P12ihipStream_tbEUlT_E_NS1_11comp_targetILNS1_3genE8ELNS1_11target_archE1030ELNS1_3gpuE2ELNS1_3repE0EEENS1_30default_config_static_selectorELNS0_4arch9wavefront6targetE0EEEvT1_
	.globl	_ZN7rocprim17ROCPRIM_400000_NS6detail17trampoline_kernelINS0_14default_configENS1_25transform_config_selectorImLb1EEEZNS1_14transform_implILb1ES3_S5_PmPjNS0_8identityIvEEEE10hipError_tT2_T3_mT4_P12ihipStream_tbEUlT_E_NS1_11comp_targetILNS1_3genE8ELNS1_11target_archE1030ELNS1_3gpuE2ELNS1_3repE0EEENS1_30default_config_static_selectorELNS0_4arch9wavefront6targetE0EEEvT1_
	.p2align	8
	.type	_ZN7rocprim17ROCPRIM_400000_NS6detail17trampoline_kernelINS0_14default_configENS1_25transform_config_selectorImLb1EEEZNS1_14transform_implILb1ES3_S5_PmPjNS0_8identityIvEEEE10hipError_tT2_T3_mT4_P12ihipStream_tbEUlT_E_NS1_11comp_targetILNS1_3genE8ELNS1_11target_archE1030ELNS1_3gpuE2ELNS1_3repE0EEENS1_30default_config_static_selectorELNS0_4arch9wavefront6targetE0EEEvT1_,@function
_ZN7rocprim17ROCPRIM_400000_NS6detail17trampoline_kernelINS0_14default_configENS1_25transform_config_selectorImLb1EEEZNS1_14transform_implILb1ES3_S5_PmPjNS0_8identityIvEEEE10hipError_tT2_T3_mT4_P12ihipStream_tbEUlT_E_NS1_11comp_targetILNS1_3genE8ELNS1_11target_archE1030ELNS1_3gpuE2ELNS1_3repE0EEENS1_30default_config_static_selectorELNS0_4arch9wavefront6targetE0EEEvT1_: ; @_ZN7rocprim17ROCPRIM_400000_NS6detail17trampoline_kernelINS0_14default_configENS1_25transform_config_selectorImLb1EEEZNS1_14transform_implILb1ES3_S5_PmPjNS0_8identityIvEEEE10hipError_tT2_T3_mT4_P12ihipStream_tbEUlT_E_NS1_11comp_targetILNS1_3genE8ELNS1_11target_archE1030ELNS1_3gpuE2ELNS1_3repE0EEENS1_30default_config_static_selectorELNS0_4arch9wavefront6targetE0EEEvT1_
; %bb.0:
	.section	.rodata,"a",@progbits
	.p2align	6, 0x0
	.amdhsa_kernel _ZN7rocprim17ROCPRIM_400000_NS6detail17trampoline_kernelINS0_14default_configENS1_25transform_config_selectorImLb1EEEZNS1_14transform_implILb1ES3_S5_PmPjNS0_8identityIvEEEE10hipError_tT2_T3_mT4_P12ihipStream_tbEUlT_E_NS1_11comp_targetILNS1_3genE8ELNS1_11target_archE1030ELNS1_3gpuE2ELNS1_3repE0EEENS1_30default_config_static_selectorELNS0_4arch9wavefront6targetE0EEEvT1_
		.amdhsa_group_segment_fixed_size 0
		.amdhsa_private_segment_fixed_size 0
		.amdhsa_kernarg_size 40
		.amdhsa_user_sgpr_count 2
		.amdhsa_user_sgpr_dispatch_ptr 0
		.amdhsa_user_sgpr_queue_ptr 0
		.amdhsa_user_sgpr_kernarg_segment_ptr 1
		.amdhsa_user_sgpr_dispatch_id 0
		.amdhsa_user_sgpr_kernarg_preload_length 0
		.amdhsa_user_sgpr_kernarg_preload_offset 0
		.amdhsa_user_sgpr_private_segment_size 0
		.amdhsa_wavefront_size32 1
		.amdhsa_uses_dynamic_stack 0
		.amdhsa_enable_private_segment 0
		.amdhsa_system_sgpr_workgroup_id_x 1
		.amdhsa_system_sgpr_workgroup_id_y 0
		.amdhsa_system_sgpr_workgroup_id_z 0
		.amdhsa_system_sgpr_workgroup_info 0
		.amdhsa_system_vgpr_workitem_id 0
		.amdhsa_next_free_vgpr 1
		.amdhsa_next_free_sgpr 1
		.amdhsa_named_barrier_count 0
		.amdhsa_reserve_vcc 0
		.amdhsa_float_round_mode_32 0
		.amdhsa_float_round_mode_16_64 0
		.amdhsa_float_denorm_mode_32 3
		.amdhsa_float_denorm_mode_16_64 3
		.amdhsa_fp16_overflow 0
		.amdhsa_memory_ordered 1
		.amdhsa_forward_progress 1
		.amdhsa_inst_pref_size 0
		.amdhsa_round_robin_scheduling 0
		.amdhsa_exception_fp_ieee_invalid_op 0
		.amdhsa_exception_fp_denorm_src 0
		.amdhsa_exception_fp_ieee_div_zero 0
		.amdhsa_exception_fp_ieee_overflow 0
		.amdhsa_exception_fp_ieee_underflow 0
		.amdhsa_exception_fp_ieee_inexact 0
		.amdhsa_exception_int_div_zero 0
	.end_amdhsa_kernel
	.section	.text._ZN7rocprim17ROCPRIM_400000_NS6detail17trampoline_kernelINS0_14default_configENS1_25transform_config_selectorImLb1EEEZNS1_14transform_implILb1ES3_S5_PmPjNS0_8identityIvEEEE10hipError_tT2_T3_mT4_P12ihipStream_tbEUlT_E_NS1_11comp_targetILNS1_3genE8ELNS1_11target_archE1030ELNS1_3gpuE2ELNS1_3repE0EEENS1_30default_config_static_selectorELNS0_4arch9wavefront6targetE0EEEvT1_,"axG",@progbits,_ZN7rocprim17ROCPRIM_400000_NS6detail17trampoline_kernelINS0_14default_configENS1_25transform_config_selectorImLb1EEEZNS1_14transform_implILb1ES3_S5_PmPjNS0_8identityIvEEEE10hipError_tT2_T3_mT4_P12ihipStream_tbEUlT_E_NS1_11comp_targetILNS1_3genE8ELNS1_11target_archE1030ELNS1_3gpuE2ELNS1_3repE0EEENS1_30default_config_static_selectorELNS0_4arch9wavefront6targetE0EEEvT1_,comdat
.Lfunc_end19:
	.size	_ZN7rocprim17ROCPRIM_400000_NS6detail17trampoline_kernelINS0_14default_configENS1_25transform_config_selectorImLb1EEEZNS1_14transform_implILb1ES3_S5_PmPjNS0_8identityIvEEEE10hipError_tT2_T3_mT4_P12ihipStream_tbEUlT_E_NS1_11comp_targetILNS1_3genE8ELNS1_11target_archE1030ELNS1_3gpuE2ELNS1_3repE0EEENS1_30default_config_static_selectorELNS0_4arch9wavefront6targetE0EEEvT1_, .Lfunc_end19-_ZN7rocprim17ROCPRIM_400000_NS6detail17trampoline_kernelINS0_14default_configENS1_25transform_config_selectorImLb1EEEZNS1_14transform_implILb1ES3_S5_PmPjNS0_8identityIvEEEE10hipError_tT2_T3_mT4_P12ihipStream_tbEUlT_E_NS1_11comp_targetILNS1_3genE8ELNS1_11target_archE1030ELNS1_3gpuE2ELNS1_3repE0EEENS1_30default_config_static_selectorELNS0_4arch9wavefront6targetE0EEEvT1_
                                        ; -- End function
	.set _ZN7rocprim17ROCPRIM_400000_NS6detail17trampoline_kernelINS0_14default_configENS1_25transform_config_selectorImLb1EEEZNS1_14transform_implILb1ES3_S5_PmPjNS0_8identityIvEEEE10hipError_tT2_T3_mT4_P12ihipStream_tbEUlT_E_NS1_11comp_targetILNS1_3genE8ELNS1_11target_archE1030ELNS1_3gpuE2ELNS1_3repE0EEENS1_30default_config_static_selectorELNS0_4arch9wavefront6targetE0EEEvT1_.num_vgpr, 0
	.set _ZN7rocprim17ROCPRIM_400000_NS6detail17trampoline_kernelINS0_14default_configENS1_25transform_config_selectorImLb1EEEZNS1_14transform_implILb1ES3_S5_PmPjNS0_8identityIvEEEE10hipError_tT2_T3_mT4_P12ihipStream_tbEUlT_E_NS1_11comp_targetILNS1_3genE8ELNS1_11target_archE1030ELNS1_3gpuE2ELNS1_3repE0EEENS1_30default_config_static_selectorELNS0_4arch9wavefront6targetE0EEEvT1_.num_agpr, 0
	.set _ZN7rocprim17ROCPRIM_400000_NS6detail17trampoline_kernelINS0_14default_configENS1_25transform_config_selectorImLb1EEEZNS1_14transform_implILb1ES3_S5_PmPjNS0_8identityIvEEEE10hipError_tT2_T3_mT4_P12ihipStream_tbEUlT_E_NS1_11comp_targetILNS1_3genE8ELNS1_11target_archE1030ELNS1_3gpuE2ELNS1_3repE0EEENS1_30default_config_static_selectorELNS0_4arch9wavefront6targetE0EEEvT1_.numbered_sgpr, 0
	.set _ZN7rocprim17ROCPRIM_400000_NS6detail17trampoline_kernelINS0_14default_configENS1_25transform_config_selectorImLb1EEEZNS1_14transform_implILb1ES3_S5_PmPjNS0_8identityIvEEEE10hipError_tT2_T3_mT4_P12ihipStream_tbEUlT_E_NS1_11comp_targetILNS1_3genE8ELNS1_11target_archE1030ELNS1_3gpuE2ELNS1_3repE0EEENS1_30default_config_static_selectorELNS0_4arch9wavefront6targetE0EEEvT1_.num_named_barrier, 0
	.set _ZN7rocprim17ROCPRIM_400000_NS6detail17trampoline_kernelINS0_14default_configENS1_25transform_config_selectorImLb1EEEZNS1_14transform_implILb1ES3_S5_PmPjNS0_8identityIvEEEE10hipError_tT2_T3_mT4_P12ihipStream_tbEUlT_E_NS1_11comp_targetILNS1_3genE8ELNS1_11target_archE1030ELNS1_3gpuE2ELNS1_3repE0EEENS1_30default_config_static_selectorELNS0_4arch9wavefront6targetE0EEEvT1_.private_seg_size, 0
	.set _ZN7rocprim17ROCPRIM_400000_NS6detail17trampoline_kernelINS0_14default_configENS1_25transform_config_selectorImLb1EEEZNS1_14transform_implILb1ES3_S5_PmPjNS0_8identityIvEEEE10hipError_tT2_T3_mT4_P12ihipStream_tbEUlT_E_NS1_11comp_targetILNS1_3genE8ELNS1_11target_archE1030ELNS1_3gpuE2ELNS1_3repE0EEENS1_30default_config_static_selectorELNS0_4arch9wavefront6targetE0EEEvT1_.uses_vcc, 0
	.set _ZN7rocprim17ROCPRIM_400000_NS6detail17trampoline_kernelINS0_14default_configENS1_25transform_config_selectorImLb1EEEZNS1_14transform_implILb1ES3_S5_PmPjNS0_8identityIvEEEE10hipError_tT2_T3_mT4_P12ihipStream_tbEUlT_E_NS1_11comp_targetILNS1_3genE8ELNS1_11target_archE1030ELNS1_3gpuE2ELNS1_3repE0EEENS1_30default_config_static_selectorELNS0_4arch9wavefront6targetE0EEEvT1_.uses_flat_scratch, 0
	.set _ZN7rocprim17ROCPRIM_400000_NS6detail17trampoline_kernelINS0_14default_configENS1_25transform_config_selectorImLb1EEEZNS1_14transform_implILb1ES3_S5_PmPjNS0_8identityIvEEEE10hipError_tT2_T3_mT4_P12ihipStream_tbEUlT_E_NS1_11comp_targetILNS1_3genE8ELNS1_11target_archE1030ELNS1_3gpuE2ELNS1_3repE0EEENS1_30default_config_static_selectorELNS0_4arch9wavefront6targetE0EEEvT1_.has_dyn_sized_stack, 0
	.set _ZN7rocprim17ROCPRIM_400000_NS6detail17trampoline_kernelINS0_14default_configENS1_25transform_config_selectorImLb1EEEZNS1_14transform_implILb1ES3_S5_PmPjNS0_8identityIvEEEE10hipError_tT2_T3_mT4_P12ihipStream_tbEUlT_E_NS1_11comp_targetILNS1_3genE8ELNS1_11target_archE1030ELNS1_3gpuE2ELNS1_3repE0EEENS1_30default_config_static_selectorELNS0_4arch9wavefront6targetE0EEEvT1_.has_recursion, 0
	.set _ZN7rocprim17ROCPRIM_400000_NS6detail17trampoline_kernelINS0_14default_configENS1_25transform_config_selectorImLb1EEEZNS1_14transform_implILb1ES3_S5_PmPjNS0_8identityIvEEEE10hipError_tT2_T3_mT4_P12ihipStream_tbEUlT_E_NS1_11comp_targetILNS1_3genE8ELNS1_11target_archE1030ELNS1_3gpuE2ELNS1_3repE0EEENS1_30default_config_static_selectorELNS0_4arch9wavefront6targetE0EEEvT1_.has_indirect_call, 0
	.section	.AMDGPU.csdata,"",@progbits
; Kernel info:
; codeLenInByte = 0
; TotalNumSgprs: 0
; NumVgprs: 0
; ScratchSize: 0
; MemoryBound: 0
; FloatMode: 240
; IeeeMode: 1
; LDSByteSize: 0 bytes/workgroup (compile time only)
; SGPRBlocks: 0
; VGPRBlocks: 0
; NumSGPRsForWavesPerEU: 1
; NumVGPRsForWavesPerEU: 1
; NamedBarCnt: 0
; Occupancy: 16
; WaveLimiterHint : 0
; COMPUTE_PGM_RSRC2:SCRATCH_EN: 0
; COMPUTE_PGM_RSRC2:USER_SGPR: 2
; COMPUTE_PGM_RSRC2:TRAP_HANDLER: 0
; COMPUTE_PGM_RSRC2:TGID_X_EN: 1
; COMPUTE_PGM_RSRC2:TGID_Y_EN: 0
; COMPUTE_PGM_RSRC2:TGID_Z_EN: 0
; COMPUTE_PGM_RSRC2:TIDIG_COMP_CNT: 0
	.section	.text._ZN7rocprim17ROCPRIM_400000_NS6detail31init_lookback_scan_state_kernelINS1_19lookback_scan_stateI15HIP_vector_typeIjLj2EELb1ELb1EEENS1_16block_id_wrapperIjLb1EEEEEvT_jT0_jPNS9_10value_typeE,"axG",@progbits,_ZN7rocprim17ROCPRIM_400000_NS6detail31init_lookback_scan_state_kernelINS1_19lookback_scan_stateI15HIP_vector_typeIjLj2EELb1ELb1EEENS1_16block_id_wrapperIjLb1EEEEEvT_jT0_jPNS9_10value_typeE,comdat
	.protected	_ZN7rocprim17ROCPRIM_400000_NS6detail31init_lookback_scan_state_kernelINS1_19lookback_scan_stateI15HIP_vector_typeIjLj2EELb1ELb1EEENS1_16block_id_wrapperIjLb1EEEEEvT_jT0_jPNS9_10value_typeE ; -- Begin function _ZN7rocprim17ROCPRIM_400000_NS6detail31init_lookback_scan_state_kernelINS1_19lookback_scan_stateI15HIP_vector_typeIjLj2EELb1ELb1EEENS1_16block_id_wrapperIjLb1EEEEEvT_jT0_jPNS9_10value_typeE
	.globl	_ZN7rocprim17ROCPRIM_400000_NS6detail31init_lookback_scan_state_kernelINS1_19lookback_scan_stateI15HIP_vector_typeIjLj2EELb1ELb1EEENS1_16block_id_wrapperIjLb1EEEEEvT_jT0_jPNS9_10value_typeE
	.p2align	8
	.type	_ZN7rocprim17ROCPRIM_400000_NS6detail31init_lookback_scan_state_kernelINS1_19lookback_scan_stateI15HIP_vector_typeIjLj2EELb1ELb1EEENS1_16block_id_wrapperIjLb1EEEEEvT_jT0_jPNS9_10value_typeE,@function
_ZN7rocprim17ROCPRIM_400000_NS6detail31init_lookback_scan_state_kernelINS1_19lookback_scan_stateI15HIP_vector_typeIjLj2EELb1ELb1EEENS1_16block_id_wrapperIjLb1EEEEEvT_jT0_jPNS9_10value_typeE: ; @_ZN7rocprim17ROCPRIM_400000_NS6detail31init_lookback_scan_state_kernelINS1_19lookback_scan_stateI15HIP_vector_typeIjLj2EELb1ELb1EEENS1_16block_id_wrapperIjLb1EEEEEvT_jT0_jPNS9_10value_typeE
; %bb.0:
	s_clause 0x2
	s_load_b32 s7, s[0:1], 0x34
	s_load_b96 s[4:6], s[0:1], 0x0
	s_load_b64 s[2:3], s[0:1], 0x20
	s_bfe_u32 s8, ttmp6, 0x4000c
	s_and_b32 s9, ttmp6, 15
	s_add_co_i32 s8, s8, 1
	s_getreg_b32 s10, hwreg(HW_REG_IB_STS2, 6, 4)
	s_mul_i32 s8, ttmp9, s8
	s_delay_alu instid0(SALU_CYCLE_1)
	s_add_co_i32 s9, s9, s8
	s_wait_kmcnt 0x0
	s_and_b32 s7, s7, 0xffff
	s_cmp_eq_u32 s10, 0
	s_cselect_b32 s8, ttmp9, s9
	s_cmp_eq_u64 s[2:3], 0
	v_mad_u32 v8, s8, s7, v0
	s_cbranch_scc1 .LBB20_10
; %bb.1:
	s_load_b32 s8, s[0:1], 0x18
	s_wait_kmcnt 0x0
	s_cmp_lt_u32 s8, s6
	s_cselect_b32 s7, s8, 0
	s_delay_alu instid0(VALU_DEP_1) | instid1(SALU_CYCLE_1)
	v_cmp_eq_u32_e32 vcc_lo, s7, v8
	s_and_saveexec_b32 s7, vcc_lo
	s_cbranch_execz .LBB20_9
; %bb.2:
	s_add_co_i32 s8, s8, 32
	s_mov_b32 s9, 0
	v_mov_b32_e32 v5, 0
	s_lshl_b64 s[10:11], s[8:9], 4
	s_mov_b32 s8, exec_lo
	s_add_nc_u64 s[10:11], s[4:5], s[10:11]
	s_delay_alu instid0(SALU_CYCLE_1) | instskip(SKIP_2) | instid1(VALU_DEP_1)
	v_mov_b64_e32 v[0:1], s[10:11]
	;;#ASMSTART
	global_load_b128 v[0:3], v[0:1] off scope:SCOPE_DEV	
s_wait_loadcnt 0x0
	;;#ASMEND
	v_and_b32_e32 v4, 0xff, v2
	v_cmpx_eq_u64_e32 0, v[4:5]
	s_cbranch_execz .LBB20_8
; %bb.3:
	v_mov_b64_e32 v[6:7], s[10:11]
	s_mov_b32 s10, 1
.LBB20_4:                               ; =>This Loop Header: Depth=1
                                        ;     Child Loop BB20_5 Depth 2
	s_delay_alu instid0(SALU_CYCLE_1)
	s_mov_b32 s11, s10
.LBB20_5:                               ;   Parent Loop BB20_4 Depth=1
                                        ; =>  This Inner Loop Header: Depth=2
	s_delay_alu instid0(SALU_CYCLE_1)
	s_add_co_i32 s11, s11, -1
	s_sleep 1
	s_cmp_eq_u32 s11, 0
	s_cbranch_scc0 .LBB20_5
; %bb.6:                                ;   in Loop: Header=BB20_4 Depth=1
	;;#ASMSTART
	global_load_b128 v[0:3], v[6:7] off scope:SCOPE_DEV	
s_wait_loadcnt 0x0
	;;#ASMEND
	v_and_b32_e32 v4, 0xff, v2
	s_cmp_lt_u32 s10, 32
	s_cselect_b32 s11, -1, 0
	s_delay_alu instid0(VALU_DEP_1) | instskip(SKIP_3) | instid1(SALU_CYCLE_1)
	v_cmp_ne_u64_e32 vcc_lo, 0, v[4:5]
	s_cmp_lg_u32 s11, 0
	s_add_co_ci_u32 s10, s10, 0
	s_or_b32 s9, vcc_lo, s9
	s_and_not1_b32 exec_lo, exec_lo, s9
	s_cbranch_execnz .LBB20_4
; %bb.7:
	s_or_b32 exec_lo, exec_lo, s9
.LBB20_8:
	s_delay_alu instid0(SALU_CYCLE_1)
	s_or_b32 exec_lo, exec_lo, s8
	v_mov_b32_e32 v2, 0
	global_store_b64 v2, v[0:1], s[2:3]
.LBB20_9:
	s_wait_xcnt 0x0
	s_or_b32 exec_lo, exec_lo, s7
.LBB20_10:
	s_delay_alu instid0(SALU_CYCLE_1) | instskip(NEXT) | instid1(VALU_DEP_1)
	s_mov_b32 s2, exec_lo
	v_cmpx_eq_u32_e32 0, v8
	s_cbranch_execz .LBB20_12
; %bb.11:
	s_load_b64 s[0:1], s[0:1], 0x10
	v_mov_b32_e32 v0, 0
	s_wait_kmcnt 0x0
	global_store_b32 v0, v0, s[0:1]
.LBB20_12:
	s_wait_xcnt 0x0
	s_or_b32 exec_lo, exec_lo, s2
	s_delay_alu instid0(SALU_CYCLE_1)
	s_mov_b32 s0, exec_lo
	v_cmpx_gt_u32_e64 s6, v8
	s_cbranch_execz .LBB20_14
; %bb.13:
	v_dual_mov_b32 v0, 0 :: v_dual_add_nc_u32 v4, 32, v8
	s_delay_alu instid0(VALU_DEP_1)
	v_dual_mov_b32 v1, v0 :: v_dual_mov_b32 v2, v0
	v_mov_b32_e32 v3, v0
	global_store_b128 v4, v[0:3], s[4:5] scale_offset
.LBB20_14:
	s_wait_xcnt 0x0
	s_or_b32 exec_lo, exec_lo, s0
	s_delay_alu instid0(SALU_CYCLE_1)
	s_mov_b32 s0, exec_lo
	v_cmpx_gt_u32_e32 32, v8
	s_cbranch_execz .LBB20_16
; %bb.15:
	v_mov_b32_e32 v0, 0
	s_delay_alu instid0(VALU_DEP_1)
	v_dual_mov_b32 v2, 0xff :: v_dual_mov_b32 v1, v0
	v_mov_b32_e32 v3, v0
	global_store_b128 v8, v[0:3], s[4:5] scale_offset
.LBB20_16:
	s_endpgm
	.section	.rodata,"a",@progbits
	.p2align	6, 0x0
	.amdhsa_kernel _ZN7rocprim17ROCPRIM_400000_NS6detail31init_lookback_scan_state_kernelINS1_19lookback_scan_stateI15HIP_vector_typeIjLj2EELb1ELb1EEENS1_16block_id_wrapperIjLb1EEEEEvT_jT0_jPNS9_10value_typeE
		.amdhsa_group_segment_fixed_size 0
		.amdhsa_private_segment_fixed_size 0
		.amdhsa_kernarg_size 296
		.amdhsa_user_sgpr_count 2
		.amdhsa_user_sgpr_dispatch_ptr 0
		.amdhsa_user_sgpr_queue_ptr 0
		.amdhsa_user_sgpr_kernarg_segment_ptr 1
		.amdhsa_user_sgpr_dispatch_id 0
		.amdhsa_user_sgpr_kernarg_preload_length 0
		.amdhsa_user_sgpr_kernarg_preload_offset 0
		.amdhsa_user_sgpr_private_segment_size 0
		.amdhsa_wavefront_size32 1
		.amdhsa_uses_dynamic_stack 0
		.amdhsa_enable_private_segment 0
		.amdhsa_system_sgpr_workgroup_id_x 1
		.amdhsa_system_sgpr_workgroup_id_y 0
		.amdhsa_system_sgpr_workgroup_id_z 0
		.amdhsa_system_sgpr_workgroup_info 0
		.amdhsa_system_vgpr_workitem_id 0
		.amdhsa_next_free_vgpr 9
		.amdhsa_next_free_sgpr 12
		.amdhsa_named_barrier_count 0
		.amdhsa_reserve_vcc 1
		.amdhsa_float_round_mode_32 0
		.amdhsa_float_round_mode_16_64 0
		.amdhsa_float_denorm_mode_32 3
		.amdhsa_float_denorm_mode_16_64 3
		.amdhsa_fp16_overflow 0
		.amdhsa_memory_ordered 1
		.amdhsa_forward_progress 1
		.amdhsa_inst_pref_size 4
		.amdhsa_round_robin_scheduling 0
		.amdhsa_exception_fp_ieee_invalid_op 0
		.amdhsa_exception_fp_denorm_src 0
		.amdhsa_exception_fp_ieee_div_zero 0
		.amdhsa_exception_fp_ieee_overflow 0
		.amdhsa_exception_fp_ieee_underflow 0
		.amdhsa_exception_fp_ieee_inexact 0
		.amdhsa_exception_int_div_zero 0
	.end_amdhsa_kernel
	.section	.text._ZN7rocprim17ROCPRIM_400000_NS6detail31init_lookback_scan_state_kernelINS1_19lookback_scan_stateI15HIP_vector_typeIjLj2EELb1ELb1EEENS1_16block_id_wrapperIjLb1EEEEEvT_jT0_jPNS9_10value_typeE,"axG",@progbits,_ZN7rocprim17ROCPRIM_400000_NS6detail31init_lookback_scan_state_kernelINS1_19lookback_scan_stateI15HIP_vector_typeIjLj2EELb1ELb1EEENS1_16block_id_wrapperIjLb1EEEEEvT_jT0_jPNS9_10value_typeE,comdat
.Lfunc_end20:
	.size	_ZN7rocprim17ROCPRIM_400000_NS6detail31init_lookback_scan_state_kernelINS1_19lookback_scan_stateI15HIP_vector_typeIjLj2EELb1ELb1EEENS1_16block_id_wrapperIjLb1EEEEEvT_jT0_jPNS9_10value_typeE, .Lfunc_end20-_ZN7rocprim17ROCPRIM_400000_NS6detail31init_lookback_scan_state_kernelINS1_19lookback_scan_stateI15HIP_vector_typeIjLj2EELb1ELb1EEENS1_16block_id_wrapperIjLb1EEEEEvT_jT0_jPNS9_10value_typeE
                                        ; -- End function
	.set _ZN7rocprim17ROCPRIM_400000_NS6detail31init_lookback_scan_state_kernelINS1_19lookback_scan_stateI15HIP_vector_typeIjLj2EELb1ELb1EEENS1_16block_id_wrapperIjLb1EEEEEvT_jT0_jPNS9_10value_typeE.num_vgpr, 9
	.set _ZN7rocprim17ROCPRIM_400000_NS6detail31init_lookback_scan_state_kernelINS1_19lookback_scan_stateI15HIP_vector_typeIjLj2EELb1ELb1EEENS1_16block_id_wrapperIjLb1EEEEEvT_jT0_jPNS9_10value_typeE.num_agpr, 0
	.set _ZN7rocprim17ROCPRIM_400000_NS6detail31init_lookback_scan_state_kernelINS1_19lookback_scan_stateI15HIP_vector_typeIjLj2EELb1ELb1EEENS1_16block_id_wrapperIjLb1EEEEEvT_jT0_jPNS9_10value_typeE.numbered_sgpr, 12
	.set _ZN7rocprim17ROCPRIM_400000_NS6detail31init_lookback_scan_state_kernelINS1_19lookback_scan_stateI15HIP_vector_typeIjLj2EELb1ELb1EEENS1_16block_id_wrapperIjLb1EEEEEvT_jT0_jPNS9_10value_typeE.num_named_barrier, 0
	.set _ZN7rocprim17ROCPRIM_400000_NS6detail31init_lookback_scan_state_kernelINS1_19lookback_scan_stateI15HIP_vector_typeIjLj2EELb1ELb1EEENS1_16block_id_wrapperIjLb1EEEEEvT_jT0_jPNS9_10value_typeE.private_seg_size, 0
	.set _ZN7rocprim17ROCPRIM_400000_NS6detail31init_lookback_scan_state_kernelINS1_19lookback_scan_stateI15HIP_vector_typeIjLj2EELb1ELb1EEENS1_16block_id_wrapperIjLb1EEEEEvT_jT0_jPNS9_10value_typeE.uses_vcc, 1
	.set _ZN7rocprim17ROCPRIM_400000_NS6detail31init_lookback_scan_state_kernelINS1_19lookback_scan_stateI15HIP_vector_typeIjLj2EELb1ELb1EEENS1_16block_id_wrapperIjLb1EEEEEvT_jT0_jPNS9_10value_typeE.uses_flat_scratch, 0
	.set _ZN7rocprim17ROCPRIM_400000_NS6detail31init_lookback_scan_state_kernelINS1_19lookback_scan_stateI15HIP_vector_typeIjLj2EELb1ELb1EEENS1_16block_id_wrapperIjLb1EEEEEvT_jT0_jPNS9_10value_typeE.has_dyn_sized_stack, 0
	.set _ZN7rocprim17ROCPRIM_400000_NS6detail31init_lookback_scan_state_kernelINS1_19lookback_scan_stateI15HIP_vector_typeIjLj2EELb1ELb1EEENS1_16block_id_wrapperIjLb1EEEEEvT_jT0_jPNS9_10value_typeE.has_recursion, 0
	.set _ZN7rocprim17ROCPRIM_400000_NS6detail31init_lookback_scan_state_kernelINS1_19lookback_scan_stateI15HIP_vector_typeIjLj2EELb1ELb1EEENS1_16block_id_wrapperIjLb1EEEEEvT_jT0_jPNS9_10value_typeE.has_indirect_call, 0
	.section	.AMDGPU.csdata,"",@progbits
; Kernel info:
; codeLenInByte = 472
; TotalNumSgprs: 14
; NumVgprs: 9
; ScratchSize: 0
; MemoryBound: 0
; FloatMode: 240
; IeeeMode: 1
; LDSByteSize: 0 bytes/workgroup (compile time only)
; SGPRBlocks: 0
; VGPRBlocks: 0
; NumSGPRsForWavesPerEU: 14
; NumVGPRsForWavesPerEU: 9
; NamedBarCnt: 0
; Occupancy: 16
; WaveLimiterHint : 0
; COMPUTE_PGM_RSRC2:SCRATCH_EN: 0
; COMPUTE_PGM_RSRC2:USER_SGPR: 2
; COMPUTE_PGM_RSRC2:TRAP_HANDLER: 0
; COMPUTE_PGM_RSRC2:TGID_X_EN: 1
; COMPUTE_PGM_RSRC2:TGID_Y_EN: 0
; COMPUTE_PGM_RSRC2:TGID_Z_EN: 0
; COMPUTE_PGM_RSRC2:TIDIG_COMP_CNT: 0
	.section	.text._ZN7rocprim17ROCPRIM_400000_NS6detail17trampoline_kernelINS0_13select_configILj256ELj13ELNS0_17block_load_methodE3ELS4_3ELS4_3ELNS0_20block_scan_algorithmE0ELj4294967295EEENS1_25partition_config_selectorILNS1_17partition_subalgoE4EjNS0_10empty_typeEbEEZZNS1_14partition_implILS8_4ELb0ES6_15HIP_vector_typeIjLj2EENS0_17counting_iteratorIjlEEPS9_SG_NS0_5tupleIJPjSI_NS0_16reverse_iteratorISI_EEEEENSH_IJSG_SG_SG_EEES9_SI_JZNS1_25segmented_radix_sort_implINS0_14default_configELb1EPKhPhPKlPlN2at6native12_GLOBAL__N_18offset_tEEE10hipError_tPvRmT1_PNSt15iterator_traitsIS12_E10value_typeET2_T3_PNS13_IS18_E10value_typeET4_jRbjT5_S1E_jjP12ihipStream_tbEUljE_ZNSN_ISO_Lb1ESQ_SR_ST_SU_SY_EESZ_S10_S11_S12_S16_S17_S18_S1B_S1C_jS1D_jS1E_S1E_jjS1G_bEUljE0_EEESZ_S10_S11_S18_S1C_S1E_T6_T7_T9_mT8_S1G_bDpT10_ENKUlT_T0_E_clISt17integral_constantIbLb1EES1U_EEDaS1P_S1Q_EUlS1P_E_NS1_11comp_targetILNS1_3genE0ELNS1_11target_archE4294967295ELNS1_3gpuE0ELNS1_3repE0EEENS1_30default_config_static_selectorELNS0_4arch9wavefront6targetE0EEEvS12_,"axG",@progbits,_ZN7rocprim17ROCPRIM_400000_NS6detail17trampoline_kernelINS0_13select_configILj256ELj13ELNS0_17block_load_methodE3ELS4_3ELS4_3ELNS0_20block_scan_algorithmE0ELj4294967295EEENS1_25partition_config_selectorILNS1_17partition_subalgoE4EjNS0_10empty_typeEbEEZZNS1_14partition_implILS8_4ELb0ES6_15HIP_vector_typeIjLj2EENS0_17counting_iteratorIjlEEPS9_SG_NS0_5tupleIJPjSI_NS0_16reverse_iteratorISI_EEEEENSH_IJSG_SG_SG_EEES9_SI_JZNS1_25segmented_radix_sort_implINS0_14default_configELb1EPKhPhPKlPlN2at6native12_GLOBAL__N_18offset_tEEE10hipError_tPvRmT1_PNSt15iterator_traitsIS12_E10value_typeET2_T3_PNS13_IS18_E10value_typeET4_jRbjT5_S1E_jjP12ihipStream_tbEUljE_ZNSN_ISO_Lb1ESQ_SR_ST_SU_SY_EESZ_S10_S11_S12_S16_S17_S18_S1B_S1C_jS1D_jS1E_S1E_jjS1G_bEUljE0_EEESZ_S10_S11_S18_S1C_S1E_T6_T7_T9_mT8_S1G_bDpT10_ENKUlT_T0_E_clISt17integral_constantIbLb1EES1U_EEDaS1P_S1Q_EUlS1P_E_NS1_11comp_targetILNS1_3genE0ELNS1_11target_archE4294967295ELNS1_3gpuE0ELNS1_3repE0EEENS1_30default_config_static_selectorELNS0_4arch9wavefront6targetE0EEEvS12_,comdat
	.globl	_ZN7rocprim17ROCPRIM_400000_NS6detail17trampoline_kernelINS0_13select_configILj256ELj13ELNS0_17block_load_methodE3ELS4_3ELS4_3ELNS0_20block_scan_algorithmE0ELj4294967295EEENS1_25partition_config_selectorILNS1_17partition_subalgoE4EjNS0_10empty_typeEbEEZZNS1_14partition_implILS8_4ELb0ES6_15HIP_vector_typeIjLj2EENS0_17counting_iteratorIjlEEPS9_SG_NS0_5tupleIJPjSI_NS0_16reverse_iteratorISI_EEEEENSH_IJSG_SG_SG_EEES9_SI_JZNS1_25segmented_radix_sort_implINS0_14default_configELb1EPKhPhPKlPlN2at6native12_GLOBAL__N_18offset_tEEE10hipError_tPvRmT1_PNSt15iterator_traitsIS12_E10value_typeET2_T3_PNS13_IS18_E10value_typeET4_jRbjT5_S1E_jjP12ihipStream_tbEUljE_ZNSN_ISO_Lb1ESQ_SR_ST_SU_SY_EESZ_S10_S11_S12_S16_S17_S18_S1B_S1C_jS1D_jS1E_S1E_jjS1G_bEUljE0_EEESZ_S10_S11_S18_S1C_S1E_T6_T7_T9_mT8_S1G_bDpT10_ENKUlT_T0_E_clISt17integral_constantIbLb1EES1U_EEDaS1P_S1Q_EUlS1P_E_NS1_11comp_targetILNS1_3genE0ELNS1_11target_archE4294967295ELNS1_3gpuE0ELNS1_3repE0EEENS1_30default_config_static_selectorELNS0_4arch9wavefront6targetE0EEEvS12_ ; -- Begin function _ZN7rocprim17ROCPRIM_400000_NS6detail17trampoline_kernelINS0_13select_configILj256ELj13ELNS0_17block_load_methodE3ELS4_3ELS4_3ELNS0_20block_scan_algorithmE0ELj4294967295EEENS1_25partition_config_selectorILNS1_17partition_subalgoE4EjNS0_10empty_typeEbEEZZNS1_14partition_implILS8_4ELb0ES6_15HIP_vector_typeIjLj2EENS0_17counting_iteratorIjlEEPS9_SG_NS0_5tupleIJPjSI_NS0_16reverse_iteratorISI_EEEEENSH_IJSG_SG_SG_EEES9_SI_JZNS1_25segmented_radix_sort_implINS0_14default_configELb1EPKhPhPKlPlN2at6native12_GLOBAL__N_18offset_tEEE10hipError_tPvRmT1_PNSt15iterator_traitsIS12_E10value_typeET2_T3_PNS13_IS18_E10value_typeET4_jRbjT5_S1E_jjP12ihipStream_tbEUljE_ZNSN_ISO_Lb1ESQ_SR_ST_SU_SY_EESZ_S10_S11_S12_S16_S17_S18_S1B_S1C_jS1D_jS1E_S1E_jjS1G_bEUljE0_EEESZ_S10_S11_S18_S1C_S1E_T6_T7_T9_mT8_S1G_bDpT10_ENKUlT_T0_E_clISt17integral_constantIbLb1EES1U_EEDaS1P_S1Q_EUlS1P_E_NS1_11comp_targetILNS1_3genE0ELNS1_11target_archE4294967295ELNS1_3gpuE0ELNS1_3repE0EEENS1_30default_config_static_selectorELNS0_4arch9wavefront6targetE0EEEvS12_
	.p2align	8
	.type	_ZN7rocprim17ROCPRIM_400000_NS6detail17trampoline_kernelINS0_13select_configILj256ELj13ELNS0_17block_load_methodE3ELS4_3ELS4_3ELNS0_20block_scan_algorithmE0ELj4294967295EEENS1_25partition_config_selectorILNS1_17partition_subalgoE4EjNS0_10empty_typeEbEEZZNS1_14partition_implILS8_4ELb0ES6_15HIP_vector_typeIjLj2EENS0_17counting_iteratorIjlEEPS9_SG_NS0_5tupleIJPjSI_NS0_16reverse_iteratorISI_EEEEENSH_IJSG_SG_SG_EEES9_SI_JZNS1_25segmented_radix_sort_implINS0_14default_configELb1EPKhPhPKlPlN2at6native12_GLOBAL__N_18offset_tEEE10hipError_tPvRmT1_PNSt15iterator_traitsIS12_E10value_typeET2_T3_PNS13_IS18_E10value_typeET4_jRbjT5_S1E_jjP12ihipStream_tbEUljE_ZNSN_ISO_Lb1ESQ_SR_ST_SU_SY_EESZ_S10_S11_S12_S16_S17_S18_S1B_S1C_jS1D_jS1E_S1E_jjS1G_bEUljE0_EEESZ_S10_S11_S18_S1C_S1E_T6_T7_T9_mT8_S1G_bDpT10_ENKUlT_T0_E_clISt17integral_constantIbLb1EES1U_EEDaS1P_S1Q_EUlS1P_E_NS1_11comp_targetILNS1_3genE0ELNS1_11target_archE4294967295ELNS1_3gpuE0ELNS1_3repE0EEENS1_30default_config_static_selectorELNS0_4arch9wavefront6targetE0EEEvS12_,@function
_ZN7rocprim17ROCPRIM_400000_NS6detail17trampoline_kernelINS0_13select_configILj256ELj13ELNS0_17block_load_methodE3ELS4_3ELS4_3ELNS0_20block_scan_algorithmE0ELj4294967295EEENS1_25partition_config_selectorILNS1_17partition_subalgoE4EjNS0_10empty_typeEbEEZZNS1_14partition_implILS8_4ELb0ES6_15HIP_vector_typeIjLj2EENS0_17counting_iteratorIjlEEPS9_SG_NS0_5tupleIJPjSI_NS0_16reverse_iteratorISI_EEEEENSH_IJSG_SG_SG_EEES9_SI_JZNS1_25segmented_radix_sort_implINS0_14default_configELb1EPKhPhPKlPlN2at6native12_GLOBAL__N_18offset_tEEE10hipError_tPvRmT1_PNSt15iterator_traitsIS12_E10value_typeET2_T3_PNS13_IS18_E10value_typeET4_jRbjT5_S1E_jjP12ihipStream_tbEUljE_ZNSN_ISO_Lb1ESQ_SR_ST_SU_SY_EESZ_S10_S11_S12_S16_S17_S18_S1B_S1C_jS1D_jS1E_S1E_jjS1G_bEUljE0_EEESZ_S10_S11_S18_S1C_S1E_T6_T7_T9_mT8_S1G_bDpT10_ENKUlT_T0_E_clISt17integral_constantIbLb1EES1U_EEDaS1P_S1Q_EUlS1P_E_NS1_11comp_targetILNS1_3genE0ELNS1_11target_archE4294967295ELNS1_3gpuE0ELNS1_3repE0EEENS1_30default_config_static_selectorELNS0_4arch9wavefront6targetE0EEEvS12_: ; @_ZN7rocprim17ROCPRIM_400000_NS6detail17trampoline_kernelINS0_13select_configILj256ELj13ELNS0_17block_load_methodE3ELS4_3ELS4_3ELNS0_20block_scan_algorithmE0ELj4294967295EEENS1_25partition_config_selectorILNS1_17partition_subalgoE4EjNS0_10empty_typeEbEEZZNS1_14partition_implILS8_4ELb0ES6_15HIP_vector_typeIjLj2EENS0_17counting_iteratorIjlEEPS9_SG_NS0_5tupleIJPjSI_NS0_16reverse_iteratorISI_EEEEENSH_IJSG_SG_SG_EEES9_SI_JZNS1_25segmented_radix_sort_implINS0_14default_configELb1EPKhPhPKlPlN2at6native12_GLOBAL__N_18offset_tEEE10hipError_tPvRmT1_PNSt15iterator_traitsIS12_E10value_typeET2_T3_PNS13_IS18_E10value_typeET4_jRbjT5_S1E_jjP12ihipStream_tbEUljE_ZNSN_ISO_Lb1ESQ_SR_ST_SU_SY_EESZ_S10_S11_S12_S16_S17_S18_S1B_S1C_jS1D_jS1E_S1E_jjS1G_bEUljE0_EEESZ_S10_S11_S18_S1C_S1E_T6_T7_T9_mT8_S1G_bDpT10_ENKUlT_T0_E_clISt17integral_constantIbLb1EES1U_EEDaS1P_S1Q_EUlS1P_E_NS1_11comp_targetILNS1_3genE0ELNS1_11target_archE4294967295ELNS1_3gpuE0ELNS1_3repE0EEENS1_30default_config_static_selectorELNS0_4arch9wavefront6targetE0EEEvS12_
; %bb.0:
	s_endpgm
	.section	.rodata,"a",@progbits
	.p2align	6, 0x0
	.amdhsa_kernel _ZN7rocprim17ROCPRIM_400000_NS6detail17trampoline_kernelINS0_13select_configILj256ELj13ELNS0_17block_load_methodE3ELS4_3ELS4_3ELNS0_20block_scan_algorithmE0ELj4294967295EEENS1_25partition_config_selectorILNS1_17partition_subalgoE4EjNS0_10empty_typeEbEEZZNS1_14partition_implILS8_4ELb0ES6_15HIP_vector_typeIjLj2EENS0_17counting_iteratorIjlEEPS9_SG_NS0_5tupleIJPjSI_NS0_16reverse_iteratorISI_EEEEENSH_IJSG_SG_SG_EEES9_SI_JZNS1_25segmented_radix_sort_implINS0_14default_configELb1EPKhPhPKlPlN2at6native12_GLOBAL__N_18offset_tEEE10hipError_tPvRmT1_PNSt15iterator_traitsIS12_E10value_typeET2_T3_PNS13_IS18_E10value_typeET4_jRbjT5_S1E_jjP12ihipStream_tbEUljE_ZNSN_ISO_Lb1ESQ_SR_ST_SU_SY_EESZ_S10_S11_S12_S16_S17_S18_S1B_S1C_jS1D_jS1E_S1E_jjS1G_bEUljE0_EEESZ_S10_S11_S18_S1C_S1E_T6_T7_T9_mT8_S1G_bDpT10_ENKUlT_T0_E_clISt17integral_constantIbLb1EES1U_EEDaS1P_S1Q_EUlS1P_E_NS1_11comp_targetILNS1_3genE0ELNS1_11target_archE4294967295ELNS1_3gpuE0ELNS1_3repE0EEENS1_30default_config_static_selectorELNS0_4arch9wavefront6targetE0EEEvS12_
		.amdhsa_group_segment_fixed_size 0
		.amdhsa_private_segment_fixed_size 0
		.amdhsa_kernarg_size 184
		.amdhsa_user_sgpr_count 2
		.amdhsa_user_sgpr_dispatch_ptr 0
		.amdhsa_user_sgpr_queue_ptr 0
		.amdhsa_user_sgpr_kernarg_segment_ptr 1
		.amdhsa_user_sgpr_dispatch_id 0
		.amdhsa_user_sgpr_kernarg_preload_length 0
		.amdhsa_user_sgpr_kernarg_preload_offset 0
		.amdhsa_user_sgpr_private_segment_size 0
		.amdhsa_wavefront_size32 1
		.amdhsa_uses_dynamic_stack 0
		.amdhsa_enable_private_segment 0
		.amdhsa_system_sgpr_workgroup_id_x 1
		.amdhsa_system_sgpr_workgroup_id_y 0
		.amdhsa_system_sgpr_workgroup_id_z 0
		.amdhsa_system_sgpr_workgroup_info 0
		.amdhsa_system_vgpr_workitem_id 0
		.amdhsa_next_free_vgpr 1
		.amdhsa_next_free_sgpr 1
		.amdhsa_named_barrier_count 0
		.amdhsa_reserve_vcc 0
		.amdhsa_float_round_mode_32 0
		.amdhsa_float_round_mode_16_64 0
		.amdhsa_float_denorm_mode_32 3
		.amdhsa_float_denorm_mode_16_64 3
		.amdhsa_fp16_overflow 0
		.amdhsa_memory_ordered 1
		.amdhsa_forward_progress 1
		.amdhsa_inst_pref_size 1
		.amdhsa_round_robin_scheduling 0
		.amdhsa_exception_fp_ieee_invalid_op 0
		.amdhsa_exception_fp_denorm_src 0
		.amdhsa_exception_fp_ieee_div_zero 0
		.amdhsa_exception_fp_ieee_overflow 0
		.amdhsa_exception_fp_ieee_underflow 0
		.amdhsa_exception_fp_ieee_inexact 0
		.amdhsa_exception_int_div_zero 0
	.end_amdhsa_kernel
	.section	.text._ZN7rocprim17ROCPRIM_400000_NS6detail17trampoline_kernelINS0_13select_configILj256ELj13ELNS0_17block_load_methodE3ELS4_3ELS4_3ELNS0_20block_scan_algorithmE0ELj4294967295EEENS1_25partition_config_selectorILNS1_17partition_subalgoE4EjNS0_10empty_typeEbEEZZNS1_14partition_implILS8_4ELb0ES6_15HIP_vector_typeIjLj2EENS0_17counting_iteratorIjlEEPS9_SG_NS0_5tupleIJPjSI_NS0_16reverse_iteratorISI_EEEEENSH_IJSG_SG_SG_EEES9_SI_JZNS1_25segmented_radix_sort_implINS0_14default_configELb1EPKhPhPKlPlN2at6native12_GLOBAL__N_18offset_tEEE10hipError_tPvRmT1_PNSt15iterator_traitsIS12_E10value_typeET2_T3_PNS13_IS18_E10value_typeET4_jRbjT5_S1E_jjP12ihipStream_tbEUljE_ZNSN_ISO_Lb1ESQ_SR_ST_SU_SY_EESZ_S10_S11_S12_S16_S17_S18_S1B_S1C_jS1D_jS1E_S1E_jjS1G_bEUljE0_EEESZ_S10_S11_S18_S1C_S1E_T6_T7_T9_mT8_S1G_bDpT10_ENKUlT_T0_E_clISt17integral_constantIbLb1EES1U_EEDaS1P_S1Q_EUlS1P_E_NS1_11comp_targetILNS1_3genE0ELNS1_11target_archE4294967295ELNS1_3gpuE0ELNS1_3repE0EEENS1_30default_config_static_selectorELNS0_4arch9wavefront6targetE0EEEvS12_,"axG",@progbits,_ZN7rocprim17ROCPRIM_400000_NS6detail17trampoline_kernelINS0_13select_configILj256ELj13ELNS0_17block_load_methodE3ELS4_3ELS4_3ELNS0_20block_scan_algorithmE0ELj4294967295EEENS1_25partition_config_selectorILNS1_17partition_subalgoE4EjNS0_10empty_typeEbEEZZNS1_14partition_implILS8_4ELb0ES6_15HIP_vector_typeIjLj2EENS0_17counting_iteratorIjlEEPS9_SG_NS0_5tupleIJPjSI_NS0_16reverse_iteratorISI_EEEEENSH_IJSG_SG_SG_EEES9_SI_JZNS1_25segmented_radix_sort_implINS0_14default_configELb1EPKhPhPKlPlN2at6native12_GLOBAL__N_18offset_tEEE10hipError_tPvRmT1_PNSt15iterator_traitsIS12_E10value_typeET2_T3_PNS13_IS18_E10value_typeET4_jRbjT5_S1E_jjP12ihipStream_tbEUljE_ZNSN_ISO_Lb1ESQ_SR_ST_SU_SY_EESZ_S10_S11_S12_S16_S17_S18_S1B_S1C_jS1D_jS1E_S1E_jjS1G_bEUljE0_EEESZ_S10_S11_S18_S1C_S1E_T6_T7_T9_mT8_S1G_bDpT10_ENKUlT_T0_E_clISt17integral_constantIbLb1EES1U_EEDaS1P_S1Q_EUlS1P_E_NS1_11comp_targetILNS1_3genE0ELNS1_11target_archE4294967295ELNS1_3gpuE0ELNS1_3repE0EEENS1_30default_config_static_selectorELNS0_4arch9wavefront6targetE0EEEvS12_,comdat
.Lfunc_end21:
	.size	_ZN7rocprim17ROCPRIM_400000_NS6detail17trampoline_kernelINS0_13select_configILj256ELj13ELNS0_17block_load_methodE3ELS4_3ELS4_3ELNS0_20block_scan_algorithmE0ELj4294967295EEENS1_25partition_config_selectorILNS1_17partition_subalgoE4EjNS0_10empty_typeEbEEZZNS1_14partition_implILS8_4ELb0ES6_15HIP_vector_typeIjLj2EENS0_17counting_iteratorIjlEEPS9_SG_NS0_5tupleIJPjSI_NS0_16reverse_iteratorISI_EEEEENSH_IJSG_SG_SG_EEES9_SI_JZNS1_25segmented_radix_sort_implINS0_14default_configELb1EPKhPhPKlPlN2at6native12_GLOBAL__N_18offset_tEEE10hipError_tPvRmT1_PNSt15iterator_traitsIS12_E10value_typeET2_T3_PNS13_IS18_E10value_typeET4_jRbjT5_S1E_jjP12ihipStream_tbEUljE_ZNSN_ISO_Lb1ESQ_SR_ST_SU_SY_EESZ_S10_S11_S12_S16_S17_S18_S1B_S1C_jS1D_jS1E_S1E_jjS1G_bEUljE0_EEESZ_S10_S11_S18_S1C_S1E_T6_T7_T9_mT8_S1G_bDpT10_ENKUlT_T0_E_clISt17integral_constantIbLb1EES1U_EEDaS1P_S1Q_EUlS1P_E_NS1_11comp_targetILNS1_3genE0ELNS1_11target_archE4294967295ELNS1_3gpuE0ELNS1_3repE0EEENS1_30default_config_static_selectorELNS0_4arch9wavefront6targetE0EEEvS12_, .Lfunc_end21-_ZN7rocprim17ROCPRIM_400000_NS6detail17trampoline_kernelINS0_13select_configILj256ELj13ELNS0_17block_load_methodE3ELS4_3ELS4_3ELNS0_20block_scan_algorithmE0ELj4294967295EEENS1_25partition_config_selectorILNS1_17partition_subalgoE4EjNS0_10empty_typeEbEEZZNS1_14partition_implILS8_4ELb0ES6_15HIP_vector_typeIjLj2EENS0_17counting_iteratorIjlEEPS9_SG_NS0_5tupleIJPjSI_NS0_16reverse_iteratorISI_EEEEENSH_IJSG_SG_SG_EEES9_SI_JZNS1_25segmented_radix_sort_implINS0_14default_configELb1EPKhPhPKlPlN2at6native12_GLOBAL__N_18offset_tEEE10hipError_tPvRmT1_PNSt15iterator_traitsIS12_E10value_typeET2_T3_PNS13_IS18_E10value_typeET4_jRbjT5_S1E_jjP12ihipStream_tbEUljE_ZNSN_ISO_Lb1ESQ_SR_ST_SU_SY_EESZ_S10_S11_S12_S16_S17_S18_S1B_S1C_jS1D_jS1E_S1E_jjS1G_bEUljE0_EEESZ_S10_S11_S18_S1C_S1E_T6_T7_T9_mT8_S1G_bDpT10_ENKUlT_T0_E_clISt17integral_constantIbLb1EES1U_EEDaS1P_S1Q_EUlS1P_E_NS1_11comp_targetILNS1_3genE0ELNS1_11target_archE4294967295ELNS1_3gpuE0ELNS1_3repE0EEENS1_30default_config_static_selectorELNS0_4arch9wavefront6targetE0EEEvS12_
                                        ; -- End function
	.set _ZN7rocprim17ROCPRIM_400000_NS6detail17trampoline_kernelINS0_13select_configILj256ELj13ELNS0_17block_load_methodE3ELS4_3ELS4_3ELNS0_20block_scan_algorithmE0ELj4294967295EEENS1_25partition_config_selectorILNS1_17partition_subalgoE4EjNS0_10empty_typeEbEEZZNS1_14partition_implILS8_4ELb0ES6_15HIP_vector_typeIjLj2EENS0_17counting_iteratorIjlEEPS9_SG_NS0_5tupleIJPjSI_NS0_16reverse_iteratorISI_EEEEENSH_IJSG_SG_SG_EEES9_SI_JZNS1_25segmented_radix_sort_implINS0_14default_configELb1EPKhPhPKlPlN2at6native12_GLOBAL__N_18offset_tEEE10hipError_tPvRmT1_PNSt15iterator_traitsIS12_E10value_typeET2_T3_PNS13_IS18_E10value_typeET4_jRbjT5_S1E_jjP12ihipStream_tbEUljE_ZNSN_ISO_Lb1ESQ_SR_ST_SU_SY_EESZ_S10_S11_S12_S16_S17_S18_S1B_S1C_jS1D_jS1E_S1E_jjS1G_bEUljE0_EEESZ_S10_S11_S18_S1C_S1E_T6_T7_T9_mT8_S1G_bDpT10_ENKUlT_T0_E_clISt17integral_constantIbLb1EES1U_EEDaS1P_S1Q_EUlS1P_E_NS1_11comp_targetILNS1_3genE0ELNS1_11target_archE4294967295ELNS1_3gpuE0ELNS1_3repE0EEENS1_30default_config_static_selectorELNS0_4arch9wavefront6targetE0EEEvS12_.num_vgpr, 0
	.set _ZN7rocprim17ROCPRIM_400000_NS6detail17trampoline_kernelINS0_13select_configILj256ELj13ELNS0_17block_load_methodE3ELS4_3ELS4_3ELNS0_20block_scan_algorithmE0ELj4294967295EEENS1_25partition_config_selectorILNS1_17partition_subalgoE4EjNS0_10empty_typeEbEEZZNS1_14partition_implILS8_4ELb0ES6_15HIP_vector_typeIjLj2EENS0_17counting_iteratorIjlEEPS9_SG_NS0_5tupleIJPjSI_NS0_16reverse_iteratorISI_EEEEENSH_IJSG_SG_SG_EEES9_SI_JZNS1_25segmented_radix_sort_implINS0_14default_configELb1EPKhPhPKlPlN2at6native12_GLOBAL__N_18offset_tEEE10hipError_tPvRmT1_PNSt15iterator_traitsIS12_E10value_typeET2_T3_PNS13_IS18_E10value_typeET4_jRbjT5_S1E_jjP12ihipStream_tbEUljE_ZNSN_ISO_Lb1ESQ_SR_ST_SU_SY_EESZ_S10_S11_S12_S16_S17_S18_S1B_S1C_jS1D_jS1E_S1E_jjS1G_bEUljE0_EEESZ_S10_S11_S18_S1C_S1E_T6_T7_T9_mT8_S1G_bDpT10_ENKUlT_T0_E_clISt17integral_constantIbLb1EES1U_EEDaS1P_S1Q_EUlS1P_E_NS1_11comp_targetILNS1_3genE0ELNS1_11target_archE4294967295ELNS1_3gpuE0ELNS1_3repE0EEENS1_30default_config_static_selectorELNS0_4arch9wavefront6targetE0EEEvS12_.num_agpr, 0
	.set _ZN7rocprim17ROCPRIM_400000_NS6detail17trampoline_kernelINS0_13select_configILj256ELj13ELNS0_17block_load_methodE3ELS4_3ELS4_3ELNS0_20block_scan_algorithmE0ELj4294967295EEENS1_25partition_config_selectorILNS1_17partition_subalgoE4EjNS0_10empty_typeEbEEZZNS1_14partition_implILS8_4ELb0ES6_15HIP_vector_typeIjLj2EENS0_17counting_iteratorIjlEEPS9_SG_NS0_5tupleIJPjSI_NS0_16reverse_iteratorISI_EEEEENSH_IJSG_SG_SG_EEES9_SI_JZNS1_25segmented_radix_sort_implINS0_14default_configELb1EPKhPhPKlPlN2at6native12_GLOBAL__N_18offset_tEEE10hipError_tPvRmT1_PNSt15iterator_traitsIS12_E10value_typeET2_T3_PNS13_IS18_E10value_typeET4_jRbjT5_S1E_jjP12ihipStream_tbEUljE_ZNSN_ISO_Lb1ESQ_SR_ST_SU_SY_EESZ_S10_S11_S12_S16_S17_S18_S1B_S1C_jS1D_jS1E_S1E_jjS1G_bEUljE0_EEESZ_S10_S11_S18_S1C_S1E_T6_T7_T9_mT8_S1G_bDpT10_ENKUlT_T0_E_clISt17integral_constantIbLb1EES1U_EEDaS1P_S1Q_EUlS1P_E_NS1_11comp_targetILNS1_3genE0ELNS1_11target_archE4294967295ELNS1_3gpuE0ELNS1_3repE0EEENS1_30default_config_static_selectorELNS0_4arch9wavefront6targetE0EEEvS12_.numbered_sgpr, 0
	.set _ZN7rocprim17ROCPRIM_400000_NS6detail17trampoline_kernelINS0_13select_configILj256ELj13ELNS0_17block_load_methodE3ELS4_3ELS4_3ELNS0_20block_scan_algorithmE0ELj4294967295EEENS1_25partition_config_selectorILNS1_17partition_subalgoE4EjNS0_10empty_typeEbEEZZNS1_14partition_implILS8_4ELb0ES6_15HIP_vector_typeIjLj2EENS0_17counting_iteratorIjlEEPS9_SG_NS0_5tupleIJPjSI_NS0_16reverse_iteratorISI_EEEEENSH_IJSG_SG_SG_EEES9_SI_JZNS1_25segmented_radix_sort_implINS0_14default_configELb1EPKhPhPKlPlN2at6native12_GLOBAL__N_18offset_tEEE10hipError_tPvRmT1_PNSt15iterator_traitsIS12_E10value_typeET2_T3_PNS13_IS18_E10value_typeET4_jRbjT5_S1E_jjP12ihipStream_tbEUljE_ZNSN_ISO_Lb1ESQ_SR_ST_SU_SY_EESZ_S10_S11_S12_S16_S17_S18_S1B_S1C_jS1D_jS1E_S1E_jjS1G_bEUljE0_EEESZ_S10_S11_S18_S1C_S1E_T6_T7_T9_mT8_S1G_bDpT10_ENKUlT_T0_E_clISt17integral_constantIbLb1EES1U_EEDaS1P_S1Q_EUlS1P_E_NS1_11comp_targetILNS1_3genE0ELNS1_11target_archE4294967295ELNS1_3gpuE0ELNS1_3repE0EEENS1_30default_config_static_selectorELNS0_4arch9wavefront6targetE0EEEvS12_.num_named_barrier, 0
	.set _ZN7rocprim17ROCPRIM_400000_NS6detail17trampoline_kernelINS0_13select_configILj256ELj13ELNS0_17block_load_methodE3ELS4_3ELS4_3ELNS0_20block_scan_algorithmE0ELj4294967295EEENS1_25partition_config_selectorILNS1_17partition_subalgoE4EjNS0_10empty_typeEbEEZZNS1_14partition_implILS8_4ELb0ES6_15HIP_vector_typeIjLj2EENS0_17counting_iteratorIjlEEPS9_SG_NS0_5tupleIJPjSI_NS0_16reverse_iteratorISI_EEEEENSH_IJSG_SG_SG_EEES9_SI_JZNS1_25segmented_radix_sort_implINS0_14default_configELb1EPKhPhPKlPlN2at6native12_GLOBAL__N_18offset_tEEE10hipError_tPvRmT1_PNSt15iterator_traitsIS12_E10value_typeET2_T3_PNS13_IS18_E10value_typeET4_jRbjT5_S1E_jjP12ihipStream_tbEUljE_ZNSN_ISO_Lb1ESQ_SR_ST_SU_SY_EESZ_S10_S11_S12_S16_S17_S18_S1B_S1C_jS1D_jS1E_S1E_jjS1G_bEUljE0_EEESZ_S10_S11_S18_S1C_S1E_T6_T7_T9_mT8_S1G_bDpT10_ENKUlT_T0_E_clISt17integral_constantIbLb1EES1U_EEDaS1P_S1Q_EUlS1P_E_NS1_11comp_targetILNS1_3genE0ELNS1_11target_archE4294967295ELNS1_3gpuE0ELNS1_3repE0EEENS1_30default_config_static_selectorELNS0_4arch9wavefront6targetE0EEEvS12_.private_seg_size, 0
	.set _ZN7rocprim17ROCPRIM_400000_NS6detail17trampoline_kernelINS0_13select_configILj256ELj13ELNS0_17block_load_methodE3ELS4_3ELS4_3ELNS0_20block_scan_algorithmE0ELj4294967295EEENS1_25partition_config_selectorILNS1_17partition_subalgoE4EjNS0_10empty_typeEbEEZZNS1_14partition_implILS8_4ELb0ES6_15HIP_vector_typeIjLj2EENS0_17counting_iteratorIjlEEPS9_SG_NS0_5tupleIJPjSI_NS0_16reverse_iteratorISI_EEEEENSH_IJSG_SG_SG_EEES9_SI_JZNS1_25segmented_radix_sort_implINS0_14default_configELb1EPKhPhPKlPlN2at6native12_GLOBAL__N_18offset_tEEE10hipError_tPvRmT1_PNSt15iterator_traitsIS12_E10value_typeET2_T3_PNS13_IS18_E10value_typeET4_jRbjT5_S1E_jjP12ihipStream_tbEUljE_ZNSN_ISO_Lb1ESQ_SR_ST_SU_SY_EESZ_S10_S11_S12_S16_S17_S18_S1B_S1C_jS1D_jS1E_S1E_jjS1G_bEUljE0_EEESZ_S10_S11_S18_S1C_S1E_T6_T7_T9_mT8_S1G_bDpT10_ENKUlT_T0_E_clISt17integral_constantIbLb1EES1U_EEDaS1P_S1Q_EUlS1P_E_NS1_11comp_targetILNS1_3genE0ELNS1_11target_archE4294967295ELNS1_3gpuE0ELNS1_3repE0EEENS1_30default_config_static_selectorELNS0_4arch9wavefront6targetE0EEEvS12_.uses_vcc, 0
	.set _ZN7rocprim17ROCPRIM_400000_NS6detail17trampoline_kernelINS0_13select_configILj256ELj13ELNS0_17block_load_methodE3ELS4_3ELS4_3ELNS0_20block_scan_algorithmE0ELj4294967295EEENS1_25partition_config_selectorILNS1_17partition_subalgoE4EjNS0_10empty_typeEbEEZZNS1_14partition_implILS8_4ELb0ES6_15HIP_vector_typeIjLj2EENS0_17counting_iteratorIjlEEPS9_SG_NS0_5tupleIJPjSI_NS0_16reverse_iteratorISI_EEEEENSH_IJSG_SG_SG_EEES9_SI_JZNS1_25segmented_radix_sort_implINS0_14default_configELb1EPKhPhPKlPlN2at6native12_GLOBAL__N_18offset_tEEE10hipError_tPvRmT1_PNSt15iterator_traitsIS12_E10value_typeET2_T3_PNS13_IS18_E10value_typeET4_jRbjT5_S1E_jjP12ihipStream_tbEUljE_ZNSN_ISO_Lb1ESQ_SR_ST_SU_SY_EESZ_S10_S11_S12_S16_S17_S18_S1B_S1C_jS1D_jS1E_S1E_jjS1G_bEUljE0_EEESZ_S10_S11_S18_S1C_S1E_T6_T7_T9_mT8_S1G_bDpT10_ENKUlT_T0_E_clISt17integral_constantIbLb1EES1U_EEDaS1P_S1Q_EUlS1P_E_NS1_11comp_targetILNS1_3genE0ELNS1_11target_archE4294967295ELNS1_3gpuE0ELNS1_3repE0EEENS1_30default_config_static_selectorELNS0_4arch9wavefront6targetE0EEEvS12_.uses_flat_scratch, 0
	.set _ZN7rocprim17ROCPRIM_400000_NS6detail17trampoline_kernelINS0_13select_configILj256ELj13ELNS0_17block_load_methodE3ELS4_3ELS4_3ELNS0_20block_scan_algorithmE0ELj4294967295EEENS1_25partition_config_selectorILNS1_17partition_subalgoE4EjNS0_10empty_typeEbEEZZNS1_14partition_implILS8_4ELb0ES6_15HIP_vector_typeIjLj2EENS0_17counting_iteratorIjlEEPS9_SG_NS0_5tupleIJPjSI_NS0_16reverse_iteratorISI_EEEEENSH_IJSG_SG_SG_EEES9_SI_JZNS1_25segmented_radix_sort_implINS0_14default_configELb1EPKhPhPKlPlN2at6native12_GLOBAL__N_18offset_tEEE10hipError_tPvRmT1_PNSt15iterator_traitsIS12_E10value_typeET2_T3_PNS13_IS18_E10value_typeET4_jRbjT5_S1E_jjP12ihipStream_tbEUljE_ZNSN_ISO_Lb1ESQ_SR_ST_SU_SY_EESZ_S10_S11_S12_S16_S17_S18_S1B_S1C_jS1D_jS1E_S1E_jjS1G_bEUljE0_EEESZ_S10_S11_S18_S1C_S1E_T6_T7_T9_mT8_S1G_bDpT10_ENKUlT_T0_E_clISt17integral_constantIbLb1EES1U_EEDaS1P_S1Q_EUlS1P_E_NS1_11comp_targetILNS1_3genE0ELNS1_11target_archE4294967295ELNS1_3gpuE0ELNS1_3repE0EEENS1_30default_config_static_selectorELNS0_4arch9wavefront6targetE0EEEvS12_.has_dyn_sized_stack, 0
	.set _ZN7rocprim17ROCPRIM_400000_NS6detail17trampoline_kernelINS0_13select_configILj256ELj13ELNS0_17block_load_methodE3ELS4_3ELS4_3ELNS0_20block_scan_algorithmE0ELj4294967295EEENS1_25partition_config_selectorILNS1_17partition_subalgoE4EjNS0_10empty_typeEbEEZZNS1_14partition_implILS8_4ELb0ES6_15HIP_vector_typeIjLj2EENS0_17counting_iteratorIjlEEPS9_SG_NS0_5tupleIJPjSI_NS0_16reverse_iteratorISI_EEEEENSH_IJSG_SG_SG_EEES9_SI_JZNS1_25segmented_radix_sort_implINS0_14default_configELb1EPKhPhPKlPlN2at6native12_GLOBAL__N_18offset_tEEE10hipError_tPvRmT1_PNSt15iterator_traitsIS12_E10value_typeET2_T3_PNS13_IS18_E10value_typeET4_jRbjT5_S1E_jjP12ihipStream_tbEUljE_ZNSN_ISO_Lb1ESQ_SR_ST_SU_SY_EESZ_S10_S11_S12_S16_S17_S18_S1B_S1C_jS1D_jS1E_S1E_jjS1G_bEUljE0_EEESZ_S10_S11_S18_S1C_S1E_T6_T7_T9_mT8_S1G_bDpT10_ENKUlT_T0_E_clISt17integral_constantIbLb1EES1U_EEDaS1P_S1Q_EUlS1P_E_NS1_11comp_targetILNS1_3genE0ELNS1_11target_archE4294967295ELNS1_3gpuE0ELNS1_3repE0EEENS1_30default_config_static_selectorELNS0_4arch9wavefront6targetE0EEEvS12_.has_recursion, 0
	.set _ZN7rocprim17ROCPRIM_400000_NS6detail17trampoline_kernelINS0_13select_configILj256ELj13ELNS0_17block_load_methodE3ELS4_3ELS4_3ELNS0_20block_scan_algorithmE0ELj4294967295EEENS1_25partition_config_selectorILNS1_17partition_subalgoE4EjNS0_10empty_typeEbEEZZNS1_14partition_implILS8_4ELb0ES6_15HIP_vector_typeIjLj2EENS0_17counting_iteratorIjlEEPS9_SG_NS0_5tupleIJPjSI_NS0_16reverse_iteratorISI_EEEEENSH_IJSG_SG_SG_EEES9_SI_JZNS1_25segmented_radix_sort_implINS0_14default_configELb1EPKhPhPKlPlN2at6native12_GLOBAL__N_18offset_tEEE10hipError_tPvRmT1_PNSt15iterator_traitsIS12_E10value_typeET2_T3_PNS13_IS18_E10value_typeET4_jRbjT5_S1E_jjP12ihipStream_tbEUljE_ZNSN_ISO_Lb1ESQ_SR_ST_SU_SY_EESZ_S10_S11_S12_S16_S17_S18_S1B_S1C_jS1D_jS1E_S1E_jjS1G_bEUljE0_EEESZ_S10_S11_S18_S1C_S1E_T6_T7_T9_mT8_S1G_bDpT10_ENKUlT_T0_E_clISt17integral_constantIbLb1EES1U_EEDaS1P_S1Q_EUlS1P_E_NS1_11comp_targetILNS1_3genE0ELNS1_11target_archE4294967295ELNS1_3gpuE0ELNS1_3repE0EEENS1_30default_config_static_selectorELNS0_4arch9wavefront6targetE0EEEvS12_.has_indirect_call, 0
	.section	.AMDGPU.csdata,"",@progbits
; Kernel info:
; codeLenInByte = 4
; TotalNumSgprs: 0
; NumVgprs: 0
; ScratchSize: 0
; MemoryBound: 0
; FloatMode: 240
; IeeeMode: 1
; LDSByteSize: 0 bytes/workgroup (compile time only)
; SGPRBlocks: 0
; VGPRBlocks: 0
; NumSGPRsForWavesPerEU: 1
; NumVGPRsForWavesPerEU: 1
; NamedBarCnt: 0
; Occupancy: 16
; WaveLimiterHint : 0
; COMPUTE_PGM_RSRC2:SCRATCH_EN: 0
; COMPUTE_PGM_RSRC2:USER_SGPR: 2
; COMPUTE_PGM_RSRC2:TRAP_HANDLER: 0
; COMPUTE_PGM_RSRC2:TGID_X_EN: 1
; COMPUTE_PGM_RSRC2:TGID_Y_EN: 0
; COMPUTE_PGM_RSRC2:TGID_Z_EN: 0
; COMPUTE_PGM_RSRC2:TIDIG_COMP_CNT: 0
	.section	.text._ZN7rocprim17ROCPRIM_400000_NS6detail17trampoline_kernelINS0_13select_configILj256ELj13ELNS0_17block_load_methodE3ELS4_3ELS4_3ELNS0_20block_scan_algorithmE0ELj4294967295EEENS1_25partition_config_selectorILNS1_17partition_subalgoE4EjNS0_10empty_typeEbEEZZNS1_14partition_implILS8_4ELb0ES6_15HIP_vector_typeIjLj2EENS0_17counting_iteratorIjlEEPS9_SG_NS0_5tupleIJPjSI_NS0_16reverse_iteratorISI_EEEEENSH_IJSG_SG_SG_EEES9_SI_JZNS1_25segmented_radix_sort_implINS0_14default_configELb1EPKhPhPKlPlN2at6native12_GLOBAL__N_18offset_tEEE10hipError_tPvRmT1_PNSt15iterator_traitsIS12_E10value_typeET2_T3_PNS13_IS18_E10value_typeET4_jRbjT5_S1E_jjP12ihipStream_tbEUljE_ZNSN_ISO_Lb1ESQ_SR_ST_SU_SY_EESZ_S10_S11_S12_S16_S17_S18_S1B_S1C_jS1D_jS1E_S1E_jjS1G_bEUljE0_EEESZ_S10_S11_S18_S1C_S1E_T6_T7_T9_mT8_S1G_bDpT10_ENKUlT_T0_E_clISt17integral_constantIbLb1EES1U_EEDaS1P_S1Q_EUlS1P_E_NS1_11comp_targetILNS1_3genE5ELNS1_11target_archE942ELNS1_3gpuE9ELNS1_3repE0EEENS1_30default_config_static_selectorELNS0_4arch9wavefront6targetE0EEEvS12_,"axG",@progbits,_ZN7rocprim17ROCPRIM_400000_NS6detail17trampoline_kernelINS0_13select_configILj256ELj13ELNS0_17block_load_methodE3ELS4_3ELS4_3ELNS0_20block_scan_algorithmE0ELj4294967295EEENS1_25partition_config_selectorILNS1_17partition_subalgoE4EjNS0_10empty_typeEbEEZZNS1_14partition_implILS8_4ELb0ES6_15HIP_vector_typeIjLj2EENS0_17counting_iteratorIjlEEPS9_SG_NS0_5tupleIJPjSI_NS0_16reverse_iteratorISI_EEEEENSH_IJSG_SG_SG_EEES9_SI_JZNS1_25segmented_radix_sort_implINS0_14default_configELb1EPKhPhPKlPlN2at6native12_GLOBAL__N_18offset_tEEE10hipError_tPvRmT1_PNSt15iterator_traitsIS12_E10value_typeET2_T3_PNS13_IS18_E10value_typeET4_jRbjT5_S1E_jjP12ihipStream_tbEUljE_ZNSN_ISO_Lb1ESQ_SR_ST_SU_SY_EESZ_S10_S11_S12_S16_S17_S18_S1B_S1C_jS1D_jS1E_S1E_jjS1G_bEUljE0_EEESZ_S10_S11_S18_S1C_S1E_T6_T7_T9_mT8_S1G_bDpT10_ENKUlT_T0_E_clISt17integral_constantIbLb1EES1U_EEDaS1P_S1Q_EUlS1P_E_NS1_11comp_targetILNS1_3genE5ELNS1_11target_archE942ELNS1_3gpuE9ELNS1_3repE0EEENS1_30default_config_static_selectorELNS0_4arch9wavefront6targetE0EEEvS12_,comdat
	.globl	_ZN7rocprim17ROCPRIM_400000_NS6detail17trampoline_kernelINS0_13select_configILj256ELj13ELNS0_17block_load_methodE3ELS4_3ELS4_3ELNS0_20block_scan_algorithmE0ELj4294967295EEENS1_25partition_config_selectorILNS1_17partition_subalgoE4EjNS0_10empty_typeEbEEZZNS1_14partition_implILS8_4ELb0ES6_15HIP_vector_typeIjLj2EENS0_17counting_iteratorIjlEEPS9_SG_NS0_5tupleIJPjSI_NS0_16reverse_iteratorISI_EEEEENSH_IJSG_SG_SG_EEES9_SI_JZNS1_25segmented_radix_sort_implINS0_14default_configELb1EPKhPhPKlPlN2at6native12_GLOBAL__N_18offset_tEEE10hipError_tPvRmT1_PNSt15iterator_traitsIS12_E10value_typeET2_T3_PNS13_IS18_E10value_typeET4_jRbjT5_S1E_jjP12ihipStream_tbEUljE_ZNSN_ISO_Lb1ESQ_SR_ST_SU_SY_EESZ_S10_S11_S12_S16_S17_S18_S1B_S1C_jS1D_jS1E_S1E_jjS1G_bEUljE0_EEESZ_S10_S11_S18_S1C_S1E_T6_T7_T9_mT8_S1G_bDpT10_ENKUlT_T0_E_clISt17integral_constantIbLb1EES1U_EEDaS1P_S1Q_EUlS1P_E_NS1_11comp_targetILNS1_3genE5ELNS1_11target_archE942ELNS1_3gpuE9ELNS1_3repE0EEENS1_30default_config_static_selectorELNS0_4arch9wavefront6targetE0EEEvS12_ ; -- Begin function _ZN7rocprim17ROCPRIM_400000_NS6detail17trampoline_kernelINS0_13select_configILj256ELj13ELNS0_17block_load_methodE3ELS4_3ELS4_3ELNS0_20block_scan_algorithmE0ELj4294967295EEENS1_25partition_config_selectorILNS1_17partition_subalgoE4EjNS0_10empty_typeEbEEZZNS1_14partition_implILS8_4ELb0ES6_15HIP_vector_typeIjLj2EENS0_17counting_iteratorIjlEEPS9_SG_NS0_5tupleIJPjSI_NS0_16reverse_iteratorISI_EEEEENSH_IJSG_SG_SG_EEES9_SI_JZNS1_25segmented_radix_sort_implINS0_14default_configELb1EPKhPhPKlPlN2at6native12_GLOBAL__N_18offset_tEEE10hipError_tPvRmT1_PNSt15iterator_traitsIS12_E10value_typeET2_T3_PNS13_IS18_E10value_typeET4_jRbjT5_S1E_jjP12ihipStream_tbEUljE_ZNSN_ISO_Lb1ESQ_SR_ST_SU_SY_EESZ_S10_S11_S12_S16_S17_S18_S1B_S1C_jS1D_jS1E_S1E_jjS1G_bEUljE0_EEESZ_S10_S11_S18_S1C_S1E_T6_T7_T9_mT8_S1G_bDpT10_ENKUlT_T0_E_clISt17integral_constantIbLb1EES1U_EEDaS1P_S1Q_EUlS1P_E_NS1_11comp_targetILNS1_3genE5ELNS1_11target_archE942ELNS1_3gpuE9ELNS1_3repE0EEENS1_30default_config_static_selectorELNS0_4arch9wavefront6targetE0EEEvS12_
	.p2align	8
	.type	_ZN7rocprim17ROCPRIM_400000_NS6detail17trampoline_kernelINS0_13select_configILj256ELj13ELNS0_17block_load_methodE3ELS4_3ELS4_3ELNS0_20block_scan_algorithmE0ELj4294967295EEENS1_25partition_config_selectorILNS1_17partition_subalgoE4EjNS0_10empty_typeEbEEZZNS1_14partition_implILS8_4ELb0ES6_15HIP_vector_typeIjLj2EENS0_17counting_iteratorIjlEEPS9_SG_NS0_5tupleIJPjSI_NS0_16reverse_iteratorISI_EEEEENSH_IJSG_SG_SG_EEES9_SI_JZNS1_25segmented_radix_sort_implINS0_14default_configELb1EPKhPhPKlPlN2at6native12_GLOBAL__N_18offset_tEEE10hipError_tPvRmT1_PNSt15iterator_traitsIS12_E10value_typeET2_T3_PNS13_IS18_E10value_typeET4_jRbjT5_S1E_jjP12ihipStream_tbEUljE_ZNSN_ISO_Lb1ESQ_SR_ST_SU_SY_EESZ_S10_S11_S12_S16_S17_S18_S1B_S1C_jS1D_jS1E_S1E_jjS1G_bEUljE0_EEESZ_S10_S11_S18_S1C_S1E_T6_T7_T9_mT8_S1G_bDpT10_ENKUlT_T0_E_clISt17integral_constantIbLb1EES1U_EEDaS1P_S1Q_EUlS1P_E_NS1_11comp_targetILNS1_3genE5ELNS1_11target_archE942ELNS1_3gpuE9ELNS1_3repE0EEENS1_30default_config_static_selectorELNS0_4arch9wavefront6targetE0EEEvS12_,@function
_ZN7rocprim17ROCPRIM_400000_NS6detail17trampoline_kernelINS0_13select_configILj256ELj13ELNS0_17block_load_methodE3ELS4_3ELS4_3ELNS0_20block_scan_algorithmE0ELj4294967295EEENS1_25partition_config_selectorILNS1_17partition_subalgoE4EjNS0_10empty_typeEbEEZZNS1_14partition_implILS8_4ELb0ES6_15HIP_vector_typeIjLj2EENS0_17counting_iteratorIjlEEPS9_SG_NS0_5tupleIJPjSI_NS0_16reverse_iteratorISI_EEEEENSH_IJSG_SG_SG_EEES9_SI_JZNS1_25segmented_radix_sort_implINS0_14default_configELb1EPKhPhPKlPlN2at6native12_GLOBAL__N_18offset_tEEE10hipError_tPvRmT1_PNSt15iterator_traitsIS12_E10value_typeET2_T3_PNS13_IS18_E10value_typeET4_jRbjT5_S1E_jjP12ihipStream_tbEUljE_ZNSN_ISO_Lb1ESQ_SR_ST_SU_SY_EESZ_S10_S11_S12_S16_S17_S18_S1B_S1C_jS1D_jS1E_S1E_jjS1G_bEUljE0_EEESZ_S10_S11_S18_S1C_S1E_T6_T7_T9_mT8_S1G_bDpT10_ENKUlT_T0_E_clISt17integral_constantIbLb1EES1U_EEDaS1P_S1Q_EUlS1P_E_NS1_11comp_targetILNS1_3genE5ELNS1_11target_archE942ELNS1_3gpuE9ELNS1_3repE0EEENS1_30default_config_static_selectorELNS0_4arch9wavefront6targetE0EEEvS12_: ; @_ZN7rocprim17ROCPRIM_400000_NS6detail17trampoline_kernelINS0_13select_configILj256ELj13ELNS0_17block_load_methodE3ELS4_3ELS4_3ELNS0_20block_scan_algorithmE0ELj4294967295EEENS1_25partition_config_selectorILNS1_17partition_subalgoE4EjNS0_10empty_typeEbEEZZNS1_14partition_implILS8_4ELb0ES6_15HIP_vector_typeIjLj2EENS0_17counting_iteratorIjlEEPS9_SG_NS0_5tupleIJPjSI_NS0_16reverse_iteratorISI_EEEEENSH_IJSG_SG_SG_EEES9_SI_JZNS1_25segmented_radix_sort_implINS0_14default_configELb1EPKhPhPKlPlN2at6native12_GLOBAL__N_18offset_tEEE10hipError_tPvRmT1_PNSt15iterator_traitsIS12_E10value_typeET2_T3_PNS13_IS18_E10value_typeET4_jRbjT5_S1E_jjP12ihipStream_tbEUljE_ZNSN_ISO_Lb1ESQ_SR_ST_SU_SY_EESZ_S10_S11_S12_S16_S17_S18_S1B_S1C_jS1D_jS1E_S1E_jjS1G_bEUljE0_EEESZ_S10_S11_S18_S1C_S1E_T6_T7_T9_mT8_S1G_bDpT10_ENKUlT_T0_E_clISt17integral_constantIbLb1EES1U_EEDaS1P_S1Q_EUlS1P_E_NS1_11comp_targetILNS1_3genE5ELNS1_11target_archE942ELNS1_3gpuE9ELNS1_3repE0EEENS1_30default_config_static_selectorELNS0_4arch9wavefront6targetE0EEEvS12_
; %bb.0:
	.section	.rodata,"a",@progbits
	.p2align	6, 0x0
	.amdhsa_kernel _ZN7rocprim17ROCPRIM_400000_NS6detail17trampoline_kernelINS0_13select_configILj256ELj13ELNS0_17block_load_methodE3ELS4_3ELS4_3ELNS0_20block_scan_algorithmE0ELj4294967295EEENS1_25partition_config_selectorILNS1_17partition_subalgoE4EjNS0_10empty_typeEbEEZZNS1_14partition_implILS8_4ELb0ES6_15HIP_vector_typeIjLj2EENS0_17counting_iteratorIjlEEPS9_SG_NS0_5tupleIJPjSI_NS0_16reverse_iteratorISI_EEEEENSH_IJSG_SG_SG_EEES9_SI_JZNS1_25segmented_radix_sort_implINS0_14default_configELb1EPKhPhPKlPlN2at6native12_GLOBAL__N_18offset_tEEE10hipError_tPvRmT1_PNSt15iterator_traitsIS12_E10value_typeET2_T3_PNS13_IS18_E10value_typeET4_jRbjT5_S1E_jjP12ihipStream_tbEUljE_ZNSN_ISO_Lb1ESQ_SR_ST_SU_SY_EESZ_S10_S11_S12_S16_S17_S18_S1B_S1C_jS1D_jS1E_S1E_jjS1G_bEUljE0_EEESZ_S10_S11_S18_S1C_S1E_T6_T7_T9_mT8_S1G_bDpT10_ENKUlT_T0_E_clISt17integral_constantIbLb1EES1U_EEDaS1P_S1Q_EUlS1P_E_NS1_11comp_targetILNS1_3genE5ELNS1_11target_archE942ELNS1_3gpuE9ELNS1_3repE0EEENS1_30default_config_static_selectorELNS0_4arch9wavefront6targetE0EEEvS12_
		.amdhsa_group_segment_fixed_size 0
		.amdhsa_private_segment_fixed_size 0
		.amdhsa_kernarg_size 184
		.amdhsa_user_sgpr_count 2
		.amdhsa_user_sgpr_dispatch_ptr 0
		.amdhsa_user_sgpr_queue_ptr 0
		.amdhsa_user_sgpr_kernarg_segment_ptr 1
		.amdhsa_user_sgpr_dispatch_id 0
		.amdhsa_user_sgpr_kernarg_preload_length 0
		.amdhsa_user_sgpr_kernarg_preload_offset 0
		.amdhsa_user_sgpr_private_segment_size 0
		.amdhsa_wavefront_size32 1
		.amdhsa_uses_dynamic_stack 0
		.amdhsa_enable_private_segment 0
		.amdhsa_system_sgpr_workgroup_id_x 1
		.amdhsa_system_sgpr_workgroup_id_y 0
		.amdhsa_system_sgpr_workgroup_id_z 0
		.amdhsa_system_sgpr_workgroup_info 0
		.amdhsa_system_vgpr_workitem_id 0
		.amdhsa_next_free_vgpr 1
		.amdhsa_next_free_sgpr 1
		.amdhsa_named_barrier_count 0
		.amdhsa_reserve_vcc 0
		.amdhsa_float_round_mode_32 0
		.amdhsa_float_round_mode_16_64 0
		.amdhsa_float_denorm_mode_32 3
		.amdhsa_float_denorm_mode_16_64 3
		.amdhsa_fp16_overflow 0
		.amdhsa_memory_ordered 1
		.amdhsa_forward_progress 1
		.amdhsa_inst_pref_size 0
		.amdhsa_round_robin_scheduling 0
		.amdhsa_exception_fp_ieee_invalid_op 0
		.amdhsa_exception_fp_denorm_src 0
		.amdhsa_exception_fp_ieee_div_zero 0
		.amdhsa_exception_fp_ieee_overflow 0
		.amdhsa_exception_fp_ieee_underflow 0
		.amdhsa_exception_fp_ieee_inexact 0
		.amdhsa_exception_int_div_zero 0
	.end_amdhsa_kernel
	.section	.text._ZN7rocprim17ROCPRIM_400000_NS6detail17trampoline_kernelINS0_13select_configILj256ELj13ELNS0_17block_load_methodE3ELS4_3ELS4_3ELNS0_20block_scan_algorithmE0ELj4294967295EEENS1_25partition_config_selectorILNS1_17partition_subalgoE4EjNS0_10empty_typeEbEEZZNS1_14partition_implILS8_4ELb0ES6_15HIP_vector_typeIjLj2EENS0_17counting_iteratorIjlEEPS9_SG_NS0_5tupleIJPjSI_NS0_16reverse_iteratorISI_EEEEENSH_IJSG_SG_SG_EEES9_SI_JZNS1_25segmented_radix_sort_implINS0_14default_configELb1EPKhPhPKlPlN2at6native12_GLOBAL__N_18offset_tEEE10hipError_tPvRmT1_PNSt15iterator_traitsIS12_E10value_typeET2_T3_PNS13_IS18_E10value_typeET4_jRbjT5_S1E_jjP12ihipStream_tbEUljE_ZNSN_ISO_Lb1ESQ_SR_ST_SU_SY_EESZ_S10_S11_S12_S16_S17_S18_S1B_S1C_jS1D_jS1E_S1E_jjS1G_bEUljE0_EEESZ_S10_S11_S18_S1C_S1E_T6_T7_T9_mT8_S1G_bDpT10_ENKUlT_T0_E_clISt17integral_constantIbLb1EES1U_EEDaS1P_S1Q_EUlS1P_E_NS1_11comp_targetILNS1_3genE5ELNS1_11target_archE942ELNS1_3gpuE9ELNS1_3repE0EEENS1_30default_config_static_selectorELNS0_4arch9wavefront6targetE0EEEvS12_,"axG",@progbits,_ZN7rocprim17ROCPRIM_400000_NS6detail17trampoline_kernelINS0_13select_configILj256ELj13ELNS0_17block_load_methodE3ELS4_3ELS4_3ELNS0_20block_scan_algorithmE0ELj4294967295EEENS1_25partition_config_selectorILNS1_17partition_subalgoE4EjNS0_10empty_typeEbEEZZNS1_14partition_implILS8_4ELb0ES6_15HIP_vector_typeIjLj2EENS0_17counting_iteratorIjlEEPS9_SG_NS0_5tupleIJPjSI_NS0_16reverse_iteratorISI_EEEEENSH_IJSG_SG_SG_EEES9_SI_JZNS1_25segmented_radix_sort_implINS0_14default_configELb1EPKhPhPKlPlN2at6native12_GLOBAL__N_18offset_tEEE10hipError_tPvRmT1_PNSt15iterator_traitsIS12_E10value_typeET2_T3_PNS13_IS18_E10value_typeET4_jRbjT5_S1E_jjP12ihipStream_tbEUljE_ZNSN_ISO_Lb1ESQ_SR_ST_SU_SY_EESZ_S10_S11_S12_S16_S17_S18_S1B_S1C_jS1D_jS1E_S1E_jjS1G_bEUljE0_EEESZ_S10_S11_S18_S1C_S1E_T6_T7_T9_mT8_S1G_bDpT10_ENKUlT_T0_E_clISt17integral_constantIbLb1EES1U_EEDaS1P_S1Q_EUlS1P_E_NS1_11comp_targetILNS1_3genE5ELNS1_11target_archE942ELNS1_3gpuE9ELNS1_3repE0EEENS1_30default_config_static_selectorELNS0_4arch9wavefront6targetE0EEEvS12_,comdat
.Lfunc_end22:
	.size	_ZN7rocprim17ROCPRIM_400000_NS6detail17trampoline_kernelINS0_13select_configILj256ELj13ELNS0_17block_load_methodE3ELS4_3ELS4_3ELNS0_20block_scan_algorithmE0ELj4294967295EEENS1_25partition_config_selectorILNS1_17partition_subalgoE4EjNS0_10empty_typeEbEEZZNS1_14partition_implILS8_4ELb0ES6_15HIP_vector_typeIjLj2EENS0_17counting_iteratorIjlEEPS9_SG_NS0_5tupleIJPjSI_NS0_16reverse_iteratorISI_EEEEENSH_IJSG_SG_SG_EEES9_SI_JZNS1_25segmented_radix_sort_implINS0_14default_configELb1EPKhPhPKlPlN2at6native12_GLOBAL__N_18offset_tEEE10hipError_tPvRmT1_PNSt15iterator_traitsIS12_E10value_typeET2_T3_PNS13_IS18_E10value_typeET4_jRbjT5_S1E_jjP12ihipStream_tbEUljE_ZNSN_ISO_Lb1ESQ_SR_ST_SU_SY_EESZ_S10_S11_S12_S16_S17_S18_S1B_S1C_jS1D_jS1E_S1E_jjS1G_bEUljE0_EEESZ_S10_S11_S18_S1C_S1E_T6_T7_T9_mT8_S1G_bDpT10_ENKUlT_T0_E_clISt17integral_constantIbLb1EES1U_EEDaS1P_S1Q_EUlS1P_E_NS1_11comp_targetILNS1_3genE5ELNS1_11target_archE942ELNS1_3gpuE9ELNS1_3repE0EEENS1_30default_config_static_selectorELNS0_4arch9wavefront6targetE0EEEvS12_, .Lfunc_end22-_ZN7rocprim17ROCPRIM_400000_NS6detail17trampoline_kernelINS0_13select_configILj256ELj13ELNS0_17block_load_methodE3ELS4_3ELS4_3ELNS0_20block_scan_algorithmE0ELj4294967295EEENS1_25partition_config_selectorILNS1_17partition_subalgoE4EjNS0_10empty_typeEbEEZZNS1_14partition_implILS8_4ELb0ES6_15HIP_vector_typeIjLj2EENS0_17counting_iteratorIjlEEPS9_SG_NS0_5tupleIJPjSI_NS0_16reverse_iteratorISI_EEEEENSH_IJSG_SG_SG_EEES9_SI_JZNS1_25segmented_radix_sort_implINS0_14default_configELb1EPKhPhPKlPlN2at6native12_GLOBAL__N_18offset_tEEE10hipError_tPvRmT1_PNSt15iterator_traitsIS12_E10value_typeET2_T3_PNS13_IS18_E10value_typeET4_jRbjT5_S1E_jjP12ihipStream_tbEUljE_ZNSN_ISO_Lb1ESQ_SR_ST_SU_SY_EESZ_S10_S11_S12_S16_S17_S18_S1B_S1C_jS1D_jS1E_S1E_jjS1G_bEUljE0_EEESZ_S10_S11_S18_S1C_S1E_T6_T7_T9_mT8_S1G_bDpT10_ENKUlT_T0_E_clISt17integral_constantIbLb1EES1U_EEDaS1P_S1Q_EUlS1P_E_NS1_11comp_targetILNS1_3genE5ELNS1_11target_archE942ELNS1_3gpuE9ELNS1_3repE0EEENS1_30default_config_static_selectorELNS0_4arch9wavefront6targetE0EEEvS12_
                                        ; -- End function
	.set _ZN7rocprim17ROCPRIM_400000_NS6detail17trampoline_kernelINS0_13select_configILj256ELj13ELNS0_17block_load_methodE3ELS4_3ELS4_3ELNS0_20block_scan_algorithmE0ELj4294967295EEENS1_25partition_config_selectorILNS1_17partition_subalgoE4EjNS0_10empty_typeEbEEZZNS1_14partition_implILS8_4ELb0ES6_15HIP_vector_typeIjLj2EENS0_17counting_iteratorIjlEEPS9_SG_NS0_5tupleIJPjSI_NS0_16reverse_iteratorISI_EEEEENSH_IJSG_SG_SG_EEES9_SI_JZNS1_25segmented_radix_sort_implINS0_14default_configELb1EPKhPhPKlPlN2at6native12_GLOBAL__N_18offset_tEEE10hipError_tPvRmT1_PNSt15iterator_traitsIS12_E10value_typeET2_T3_PNS13_IS18_E10value_typeET4_jRbjT5_S1E_jjP12ihipStream_tbEUljE_ZNSN_ISO_Lb1ESQ_SR_ST_SU_SY_EESZ_S10_S11_S12_S16_S17_S18_S1B_S1C_jS1D_jS1E_S1E_jjS1G_bEUljE0_EEESZ_S10_S11_S18_S1C_S1E_T6_T7_T9_mT8_S1G_bDpT10_ENKUlT_T0_E_clISt17integral_constantIbLb1EES1U_EEDaS1P_S1Q_EUlS1P_E_NS1_11comp_targetILNS1_3genE5ELNS1_11target_archE942ELNS1_3gpuE9ELNS1_3repE0EEENS1_30default_config_static_selectorELNS0_4arch9wavefront6targetE0EEEvS12_.num_vgpr, 0
	.set _ZN7rocprim17ROCPRIM_400000_NS6detail17trampoline_kernelINS0_13select_configILj256ELj13ELNS0_17block_load_methodE3ELS4_3ELS4_3ELNS0_20block_scan_algorithmE0ELj4294967295EEENS1_25partition_config_selectorILNS1_17partition_subalgoE4EjNS0_10empty_typeEbEEZZNS1_14partition_implILS8_4ELb0ES6_15HIP_vector_typeIjLj2EENS0_17counting_iteratorIjlEEPS9_SG_NS0_5tupleIJPjSI_NS0_16reverse_iteratorISI_EEEEENSH_IJSG_SG_SG_EEES9_SI_JZNS1_25segmented_radix_sort_implINS0_14default_configELb1EPKhPhPKlPlN2at6native12_GLOBAL__N_18offset_tEEE10hipError_tPvRmT1_PNSt15iterator_traitsIS12_E10value_typeET2_T3_PNS13_IS18_E10value_typeET4_jRbjT5_S1E_jjP12ihipStream_tbEUljE_ZNSN_ISO_Lb1ESQ_SR_ST_SU_SY_EESZ_S10_S11_S12_S16_S17_S18_S1B_S1C_jS1D_jS1E_S1E_jjS1G_bEUljE0_EEESZ_S10_S11_S18_S1C_S1E_T6_T7_T9_mT8_S1G_bDpT10_ENKUlT_T0_E_clISt17integral_constantIbLb1EES1U_EEDaS1P_S1Q_EUlS1P_E_NS1_11comp_targetILNS1_3genE5ELNS1_11target_archE942ELNS1_3gpuE9ELNS1_3repE0EEENS1_30default_config_static_selectorELNS0_4arch9wavefront6targetE0EEEvS12_.num_agpr, 0
	.set _ZN7rocprim17ROCPRIM_400000_NS6detail17trampoline_kernelINS0_13select_configILj256ELj13ELNS0_17block_load_methodE3ELS4_3ELS4_3ELNS0_20block_scan_algorithmE0ELj4294967295EEENS1_25partition_config_selectorILNS1_17partition_subalgoE4EjNS0_10empty_typeEbEEZZNS1_14partition_implILS8_4ELb0ES6_15HIP_vector_typeIjLj2EENS0_17counting_iteratorIjlEEPS9_SG_NS0_5tupleIJPjSI_NS0_16reverse_iteratorISI_EEEEENSH_IJSG_SG_SG_EEES9_SI_JZNS1_25segmented_radix_sort_implINS0_14default_configELb1EPKhPhPKlPlN2at6native12_GLOBAL__N_18offset_tEEE10hipError_tPvRmT1_PNSt15iterator_traitsIS12_E10value_typeET2_T3_PNS13_IS18_E10value_typeET4_jRbjT5_S1E_jjP12ihipStream_tbEUljE_ZNSN_ISO_Lb1ESQ_SR_ST_SU_SY_EESZ_S10_S11_S12_S16_S17_S18_S1B_S1C_jS1D_jS1E_S1E_jjS1G_bEUljE0_EEESZ_S10_S11_S18_S1C_S1E_T6_T7_T9_mT8_S1G_bDpT10_ENKUlT_T0_E_clISt17integral_constantIbLb1EES1U_EEDaS1P_S1Q_EUlS1P_E_NS1_11comp_targetILNS1_3genE5ELNS1_11target_archE942ELNS1_3gpuE9ELNS1_3repE0EEENS1_30default_config_static_selectorELNS0_4arch9wavefront6targetE0EEEvS12_.numbered_sgpr, 0
	.set _ZN7rocprim17ROCPRIM_400000_NS6detail17trampoline_kernelINS0_13select_configILj256ELj13ELNS0_17block_load_methodE3ELS4_3ELS4_3ELNS0_20block_scan_algorithmE0ELj4294967295EEENS1_25partition_config_selectorILNS1_17partition_subalgoE4EjNS0_10empty_typeEbEEZZNS1_14partition_implILS8_4ELb0ES6_15HIP_vector_typeIjLj2EENS0_17counting_iteratorIjlEEPS9_SG_NS0_5tupleIJPjSI_NS0_16reverse_iteratorISI_EEEEENSH_IJSG_SG_SG_EEES9_SI_JZNS1_25segmented_radix_sort_implINS0_14default_configELb1EPKhPhPKlPlN2at6native12_GLOBAL__N_18offset_tEEE10hipError_tPvRmT1_PNSt15iterator_traitsIS12_E10value_typeET2_T3_PNS13_IS18_E10value_typeET4_jRbjT5_S1E_jjP12ihipStream_tbEUljE_ZNSN_ISO_Lb1ESQ_SR_ST_SU_SY_EESZ_S10_S11_S12_S16_S17_S18_S1B_S1C_jS1D_jS1E_S1E_jjS1G_bEUljE0_EEESZ_S10_S11_S18_S1C_S1E_T6_T7_T9_mT8_S1G_bDpT10_ENKUlT_T0_E_clISt17integral_constantIbLb1EES1U_EEDaS1P_S1Q_EUlS1P_E_NS1_11comp_targetILNS1_3genE5ELNS1_11target_archE942ELNS1_3gpuE9ELNS1_3repE0EEENS1_30default_config_static_selectorELNS0_4arch9wavefront6targetE0EEEvS12_.num_named_barrier, 0
	.set _ZN7rocprim17ROCPRIM_400000_NS6detail17trampoline_kernelINS0_13select_configILj256ELj13ELNS0_17block_load_methodE3ELS4_3ELS4_3ELNS0_20block_scan_algorithmE0ELj4294967295EEENS1_25partition_config_selectorILNS1_17partition_subalgoE4EjNS0_10empty_typeEbEEZZNS1_14partition_implILS8_4ELb0ES6_15HIP_vector_typeIjLj2EENS0_17counting_iteratorIjlEEPS9_SG_NS0_5tupleIJPjSI_NS0_16reverse_iteratorISI_EEEEENSH_IJSG_SG_SG_EEES9_SI_JZNS1_25segmented_radix_sort_implINS0_14default_configELb1EPKhPhPKlPlN2at6native12_GLOBAL__N_18offset_tEEE10hipError_tPvRmT1_PNSt15iterator_traitsIS12_E10value_typeET2_T3_PNS13_IS18_E10value_typeET4_jRbjT5_S1E_jjP12ihipStream_tbEUljE_ZNSN_ISO_Lb1ESQ_SR_ST_SU_SY_EESZ_S10_S11_S12_S16_S17_S18_S1B_S1C_jS1D_jS1E_S1E_jjS1G_bEUljE0_EEESZ_S10_S11_S18_S1C_S1E_T6_T7_T9_mT8_S1G_bDpT10_ENKUlT_T0_E_clISt17integral_constantIbLb1EES1U_EEDaS1P_S1Q_EUlS1P_E_NS1_11comp_targetILNS1_3genE5ELNS1_11target_archE942ELNS1_3gpuE9ELNS1_3repE0EEENS1_30default_config_static_selectorELNS0_4arch9wavefront6targetE0EEEvS12_.private_seg_size, 0
	.set _ZN7rocprim17ROCPRIM_400000_NS6detail17trampoline_kernelINS0_13select_configILj256ELj13ELNS0_17block_load_methodE3ELS4_3ELS4_3ELNS0_20block_scan_algorithmE0ELj4294967295EEENS1_25partition_config_selectorILNS1_17partition_subalgoE4EjNS0_10empty_typeEbEEZZNS1_14partition_implILS8_4ELb0ES6_15HIP_vector_typeIjLj2EENS0_17counting_iteratorIjlEEPS9_SG_NS0_5tupleIJPjSI_NS0_16reverse_iteratorISI_EEEEENSH_IJSG_SG_SG_EEES9_SI_JZNS1_25segmented_radix_sort_implINS0_14default_configELb1EPKhPhPKlPlN2at6native12_GLOBAL__N_18offset_tEEE10hipError_tPvRmT1_PNSt15iterator_traitsIS12_E10value_typeET2_T3_PNS13_IS18_E10value_typeET4_jRbjT5_S1E_jjP12ihipStream_tbEUljE_ZNSN_ISO_Lb1ESQ_SR_ST_SU_SY_EESZ_S10_S11_S12_S16_S17_S18_S1B_S1C_jS1D_jS1E_S1E_jjS1G_bEUljE0_EEESZ_S10_S11_S18_S1C_S1E_T6_T7_T9_mT8_S1G_bDpT10_ENKUlT_T0_E_clISt17integral_constantIbLb1EES1U_EEDaS1P_S1Q_EUlS1P_E_NS1_11comp_targetILNS1_3genE5ELNS1_11target_archE942ELNS1_3gpuE9ELNS1_3repE0EEENS1_30default_config_static_selectorELNS0_4arch9wavefront6targetE0EEEvS12_.uses_vcc, 0
	.set _ZN7rocprim17ROCPRIM_400000_NS6detail17trampoline_kernelINS0_13select_configILj256ELj13ELNS0_17block_load_methodE3ELS4_3ELS4_3ELNS0_20block_scan_algorithmE0ELj4294967295EEENS1_25partition_config_selectorILNS1_17partition_subalgoE4EjNS0_10empty_typeEbEEZZNS1_14partition_implILS8_4ELb0ES6_15HIP_vector_typeIjLj2EENS0_17counting_iteratorIjlEEPS9_SG_NS0_5tupleIJPjSI_NS0_16reverse_iteratorISI_EEEEENSH_IJSG_SG_SG_EEES9_SI_JZNS1_25segmented_radix_sort_implINS0_14default_configELb1EPKhPhPKlPlN2at6native12_GLOBAL__N_18offset_tEEE10hipError_tPvRmT1_PNSt15iterator_traitsIS12_E10value_typeET2_T3_PNS13_IS18_E10value_typeET4_jRbjT5_S1E_jjP12ihipStream_tbEUljE_ZNSN_ISO_Lb1ESQ_SR_ST_SU_SY_EESZ_S10_S11_S12_S16_S17_S18_S1B_S1C_jS1D_jS1E_S1E_jjS1G_bEUljE0_EEESZ_S10_S11_S18_S1C_S1E_T6_T7_T9_mT8_S1G_bDpT10_ENKUlT_T0_E_clISt17integral_constantIbLb1EES1U_EEDaS1P_S1Q_EUlS1P_E_NS1_11comp_targetILNS1_3genE5ELNS1_11target_archE942ELNS1_3gpuE9ELNS1_3repE0EEENS1_30default_config_static_selectorELNS0_4arch9wavefront6targetE0EEEvS12_.uses_flat_scratch, 0
	.set _ZN7rocprim17ROCPRIM_400000_NS6detail17trampoline_kernelINS0_13select_configILj256ELj13ELNS0_17block_load_methodE3ELS4_3ELS4_3ELNS0_20block_scan_algorithmE0ELj4294967295EEENS1_25partition_config_selectorILNS1_17partition_subalgoE4EjNS0_10empty_typeEbEEZZNS1_14partition_implILS8_4ELb0ES6_15HIP_vector_typeIjLj2EENS0_17counting_iteratorIjlEEPS9_SG_NS0_5tupleIJPjSI_NS0_16reverse_iteratorISI_EEEEENSH_IJSG_SG_SG_EEES9_SI_JZNS1_25segmented_radix_sort_implINS0_14default_configELb1EPKhPhPKlPlN2at6native12_GLOBAL__N_18offset_tEEE10hipError_tPvRmT1_PNSt15iterator_traitsIS12_E10value_typeET2_T3_PNS13_IS18_E10value_typeET4_jRbjT5_S1E_jjP12ihipStream_tbEUljE_ZNSN_ISO_Lb1ESQ_SR_ST_SU_SY_EESZ_S10_S11_S12_S16_S17_S18_S1B_S1C_jS1D_jS1E_S1E_jjS1G_bEUljE0_EEESZ_S10_S11_S18_S1C_S1E_T6_T7_T9_mT8_S1G_bDpT10_ENKUlT_T0_E_clISt17integral_constantIbLb1EES1U_EEDaS1P_S1Q_EUlS1P_E_NS1_11comp_targetILNS1_3genE5ELNS1_11target_archE942ELNS1_3gpuE9ELNS1_3repE0EEENS1_30default_config_static_selectorELNS0_4arch9wavefront6targetE0EEEvS12_.has_dyn_sized_stack, 0
	.set _ZN7rocprim17ROCPRIM_400000_NS6detail17trampoline_kernelINS0_13select_configILj256ELj13ELNS0_17block_load_methodE3ELS4_3ELS4_3ELNS0_20block_scan_algorithmE0ELj4294967295EEENS1_25partition_config_selectorILNS1_17partition_subalgoE4EjNS0_10empty_typeEbEEZZNS1_14partition_implILS8_4ELb0ES6_15HIP_vector_typeIjLj2EENS0_17counting_iteratorIjlEEPS9_SG_NS0_5tupleIJPjSI_NS0_16reverse_iteratorISI_EEEEENSH_IJSG_SG_SG_EEES9_SI_JZNS1_25segmented_radix_sort_implINS0_14default_configELb1EPKhPhPKlPlN2at6native12_GLOBAL__N_18offset_tEEE10hipError_tPvRmT1_PNSt15iterator_traitsIS12_E10value_typeET2_T3_PNS13_IS18_E10value_typeET4_jRbjT5_S1E_jjP12ihipStream_tbEUljE_ZNSN_ISO_Lb1ESQ_SR_ST_SU_SY_EESZ_S10_S11_S12_S16_S17_S18_S1B_S1C_jS1D_jS1E_S1E_jjS1G_bEUljE0_EEESZ_S10_S11_S18_S1C_S1E_T6_T7_T9_mT8_S1G_bDpT10_ENKUlT_T0_E_clISt17integral_constantIbLb1EES1U_EEDaS1P_S1Q_EUlS1P_E_NS1_11comp_targetILNS1_3genE5ELNS1_11target_archE942ELNS1_3gpuE9ELNS1_3repE0EEENS1_30default_config_static_selectorELNS0_4arch9wavefront6targetE0EEEvS12_.has_recursion, 0
	.set _ZN7rocprim17ROCPRIM_400000_NS6detail17trampoline_kernelINS0_13select_configILj256ELj13ELNS0_17block_load_methodE3ELS4_3ELS4_3ELNS0_20block_scan_algorithmE0ELj4294967295EEENS1_25partition_config_selectorILNS1_17partition_subalgoE4EjNS0_10empty_typeEbEEZZNS1_14partition_implILS8_4ELb0ES6_15HIP_vector_typeIjLj2EENS0_17counting_iteratorIjlEEPS9_SG_NS0_5tupleIJPjSI_NS0_16reverse_iteratorISI_EEEEENSH_IJSG_SG_SG_EEES9_SI_JZNS1_25segmented_radix_sort_implINS0_14default_configELb1EPKhPhPKlPlN2at6native12_GLOBAL__N_18offset_tEEE10hipError_tPvRmT1_PNSt15iterator_traitsIS12_E10value_typeET2_T3_PNS13_IS18_E10value_typeET4_jRbjT5_S1E_jjP12ihipStream_tbEUljE_ZNSN_ISO_Lb1ESQ_SR_ST_SU_SY_EESZ_S10_S11_S12_S16_S17_S18_S1B_S1C_jS1D_jS1E_S1E_jjS1G_bEUljE0_EEESZ_S10_S11_S18_S1C_S1E_T6_T7_T9_mT8_S1G_bDpT10_ENKUlT_T0_E_clISt17integral_constantIbLb1EES1U_EEDaS1P_S1Q_EUlS1P_E_NS1_11comp_targetILNS1_3genE5ELNS1_11target_archE942ELNS1_3gpuE9ELNS1_3repE0EEENS1_30default_config_static_selectorELNS0_4arch9wavefront6targetE0EEEvS12_.has_indirect_call, 0
	.section	.AMDGPU.csdata,"",@progbits
; Kernel info:
; codeLenInByte = 0
; TotalNumSgprs: 0
; NumVgprs: 0
; ScratchSize: 0
; MemoryBound: 0
; FloatMode: 240
; IeeeMode: 1
; LDSByteSize: 0 bytes/workgroup (compile time only)
; SGPRBlocks: 0
; VGPRBlocks: 0
; NumSGPRsForWavesPerEU: 1
; NumVGPRsForWavesPerEU: 1
; NamedBarCnt: 0
; Occupancy: 16
; WaveLimiterHint : 0
; COMPUTE_PGM_RSRC2:SCRATCH_EN: 0
; COMPUTE_PGM_RSRC2:USER_SGPR: 2
; COMPUTE_PGM_RSRC2:TRAP_HANDLER: 0
; COMPUTE_PGM_RSRC2:TGID_X_EN: 1
; COMPUTE_PGM_RSRC2:TGID_Y_EN: 0
; COMPUTE_PGM_RSRC2:TGID_Z_EN: 0
; COMPUTE_PGM_RSRC2:TIDIG_COMP_CNT: 0
	.section	.text._ZN7rocprim17ROCPRIM_400000_NS6detail17trampoline_kernelINS0_13select_configILj256ELj13ELNS0_17block_load_methodE3ELS4_3ELS4_3ELNS0_20block_scan_algorithmE0ELj4294967295EEENS1_25partition_config_selectorILNS1_17partition_subalgoE4EjNS0_10empty_typeEbEEZZNS1_14partition_implILS8_4ELb0ES6_15HIP_vector_typeIjLj2EENS0_17counting_iteratorIjlEEPS9_SG_NS0_5tupleIJPjSI_NS0_16reverse_iteratorISI_EEEEENSH_IJSG_SG_SG_EEES9_SI_JZNS1_25segmented_radix_sort_implINS0_14default_configELb1EPKhPhPKlPlN2at6native12_GLOBAL__N_18offset_tEEE10hipError_tPvRmT1_PNSt15iterator_traitsIS12_E10value_typeET2_T3_PNS13_IS18_E10value_typeET4_jRbjT5_S1E_jjP12ihipStream_tbEUljE_ZNSN_ISO_Lb1ESQ_SR_ST_SU_SY_EESZ_S10_S11_S12_S16_S17_S18_S1B_S1C_jS1D_jS1E_S1E_jjS1G_bEUljE0_EEESZ_S10_S11_S18_S1C_S1E_T6_T7_T9_mT8_S1G_bDpT10_ENKUlT_T0_E_clISt17integral_constantIbLb1EES1U_EEDaS1P_S1Q_EUlS1P_E_NS1_11comp_targetILNS1_3genE4ELNS1_11target_archE910ELNS1_3gpuE8ELNS1_3repE0EEENS1_30default_config_static_selectorELNS0_4arch9wavefront6targetE0EEEvS12_,"axG",@progbits,_ZN7rocprim17ROCPRIM_400000_NS6detail17trampoline_kernelINS0_13select_configILj256ELj13ELNS0_17block_load_methodE3ELS4_3ELS4_3ELNS0_20block_scan_algorithmE0ELj4294967295EEENS1_25partition_config_selectorILNS1_17partition_subalgoE4EjNS0_10empty_typeEbEEZZNS1_14partition_implILS8_4ELb0ES6_15HIP_vector_typeIjLj2EENS0_17counting_iteratorIjlEEPS9_SG_NS0_5tupleIJPjSI_NS0_16reverse_iteratorISI_EEEEENSH_IJSG_SG_SG_EEES9_SI_JZNS1_25segmented_radix_sort_implINS0_14default_configELb1EPKhPhPKlPlN2at6native12_GLOBAL__N_18offset_tEEE10hipError_tPvRmT1_PNSt15iterator_traitsIS12_E10value_typeET2_T3_PNS13_IS18_E10value_typeET4_jRbjT5_S1E_jjP12ihipStream_tbEUljE_ZNSN_ISO_Lb1ESQ_SR_ST_SU_SY_EESZ_S10_S11_S12_S16_S17_S18_S1B_S1C_jS1D_jS1E_S1E_jjS1G_bEUljE0_EEESZ_S10_S11_S18_S1C_S1E_T6_T7_T9_mT8_S1G_bDpT10_ENKUlT_T0_E_clISt17integral_constantIbLb1EES1U_EEDaS1P_S1Q_EUlS1P_E_NS1_11comp_targetILNS1_3genE4ELNS1_11target_archE910ELNS1_3gpuE8ELNS1_3repE0EEENS1_30default_config_static_selectorELNS0_4arch9wavefront6targetE0EEEvS12_,comdat
	.globl	_ZN7rocprim17ROCPRIM_400000_NS6detail17trampoline_kernelINS0_13select_configILj256ELj13ELNS0_17block_load_methodE3ELS4_3ELS4_3ELNS0_20block_scan_algorithmE0ELj4294967295EEENS1_25partition_config_selectorILNS1_17partition_subalgoE4EjNS0_10empty_typeEbEEZZNS1_14partition_implILS8_4ELb0ES6_15HIP_vector_typeIjLj2EENS0_17counting_iteratorIjlEEPS9_SG_NS0_5tupleIJPjSI_NS0_16reverse_iteratorISI_EEEEENSH_IJSG_SG_SG_EEES9_SI_JZNS1_25segmented_radix_sort_implINS0_14default_configELb1EPKhPhPKlPlN2at6native12_GLOBAL__N_18offset_tEEE10hipError_tPvRmT1_PNSt15iterator_traitsIS12_E10value_typeET2_T3_PNS13_IS18_E10value_typeET4_jRbjT5_S1E_jjP12ihipStream_tbEUljE_ZNSN_ISO_Lb1ESQ_SR_ST_SU_SY_EESZ_S10_S11_S12_S16_S17_S18_S1B_S1C_jS1D_jS1E_S1E_jjS1G_bEUljE0_EEESZ_S10_S11_S18_S1C_S1E_T6_T7_T9_mT8_S1G_bDpT10_ENKUlT_T0_E_clISt17integral_constantIbLb1EES1U_EEDaS1P_S1Q_EUlS1P_E_NS1_11comp_targetILNS1_3genE4ELNS1_11target_archE910ELNS1_3gpuE8ELNS1_3repE0EEENS1_30default_config_static_selectorELNS0_4arch9wavefront6targetE0EEEvS12_ ; -- Begin function _ZN7rocprim17ROCPRIM_400000_NS6detail17trampoline_kernelINS0_13select_configILj256ELj13ELNS0_17block_load_methodE3ELS4_3ELS4_3ELNS0_20block_scan_algorithmE0ELj4294967295EEENS1_25partition_config_selectorILNS1_17partition_subalgoE4EjNS0_10empty_typeEbEEZZNS1_14partition_implILS8_4ELb0ES6_15HIP_vector_typeIjLj2EENS0_17counting_iteratorIjlEEPS9_SG_NS0_5tupleIJPjSI_NS0_16reverse_iteratorISI_EEEEENSH_IJSG_SG_SG_EEES9_SI_JZNS1_25segmented_radix_sort_implINS0_14default_configELb1EPKhPhPKlPlN2at6native12_GLOBAL__N_18offset_tEEE10hipError_tPvRmT1_PNSt15iterator_traitsIS12_E10value_typeET2_T3_PNS13_IS18_E10value_typeET4_jRbjT5_S1E_jjP12ihipStream_tbEUljE_ZNSN_ISO_Lb1ESQ_SR_ST_SU_SY_EESZ_S10_S11_S12_S16_S17_S18_S1B_S1C_jS1D_jS1E_S1E_jjS1G_bEUljE0_EEESZ_S10_S11_S18_S1C_S1E_T6_T7_T9_mT8_S1G_bDpT10_ENKUlT_T0_E_clISt17integral_constantIbLb1EES1U_EEDaS1P_S1Q_EUlS1P_E_NS1_11comp_targetILNS1_3genE4ELNS1_11target_archE910ELNS1_3gpuE8ELNS1_3repE0EEENS1_30default_config_static_selectorELNS0_4arch9wavefront6targetE0EEEvS12_
	.p2align	8
	.type	_ZN7rocprim17ROCPRIM_400000_NS6detail17trampoline_kernelINS0_13select_configILj256ELj13ELNS0_17block_load_methodE3ELS4_3ELS4_3ELNS0_20block_scan_algorithmE0ELj4294967295EEENS1_25partition_config_selectorILNS1_17partition_subalgoE4EjNS0_10empty_typeEbEEZZNS1_14partition_implILS8_4ELb0ES6_15HIP_vector_typeIjLj2EENS0_17counting_iteratorIjlEEPS9_SG_NS0_5tupleIJPjSI_NS0_16reverse_iteratorISI_EEEEENSH_IJSG_SG_SG_EEES9_SI_JZNS1_25segmented_radix_sort_implINS0_14default_configELb1EPKhPhPKlPlN2at6native12_GLOBAL__N_18offset_tEEE10hipError_tPvRmT1_PNSt15iterator_traitsIS12_E10value_typeET2_T3_PNS13_IS18_E10value_typeET4_jRbjT5_S1E_jjP12ihipStream_tbEUljE_ZNSN_ISO_Lb1ESQ_SR_ST_SU_SY_EESZ_S10_S11_S12_S16_S17_S18_S1B_S1C_jS1D_jS1E_S1E_jjS1G_bEUljE0_EEESZ_S10_S11_S18_S1C_S1E_T6_T7_T9_mT8_S1G_bDpT10_ENKUlT_T0_E_clISt17integral_constantIbLb1EES1U_EEDaS1P_S1Q_EUlS1P_E_NS1_11comp_targetILNS1_3genE4ELNS1_11target_archE910ELNS1_3gpuE8ELNS1_3repE0EEENS1_30default_config_static_selectorELNS0_4arch9wavefront6targetE0EEEvS12_,@function
_ZN7rocprim17ROCPRIM_400000_NS6detail17trampoline_kernelINS0_13select_configILj256ELj13ELNS0_17block_load_methodE3ELS4_3ELS4_3ELNS0_20block_scan_algorithmE0ELj4294967295EEENS1_25partition_config_selectorILNS1_17partition_subalgoE4EjNS0_10empty_typeEbEEZZNS1_14partition_implILS8_4ELb0ES6_15HIP_vector_typeIjLj2EENS0_17counting_iteratorIjlEEPS9_SG_NS0_5tupleIJPjSI_NS0_16reverse_iteratorISI_EEEEENSH_IJSG_SG_SG_EEES9_SI_JZNS1_25segmented_radix_sort_implINS0_14default_configELb1EPKhPhPKlPlN2at6native12_GLOBAL__N_18offset_tEEE10hipError_tPvRmT1_PNSt15iterator_traitsIS12_E10value_typeET2_T3_PNS13_IS18_E10value_typeET4_jRbjT5_S1E_jjP12ihipStream_tbEUljE_ZNSN_ISO_Lb1ESQ_SR_ST_SU_SY_EESZ_S10_S11_S12_S16_S17_S18_S1B_S1C_jS1D_jS1E_S1E_jjS1G_bEUljE0_EEESZ_S10_S11_S18_S1C_S1E_T6_T7_T9_mT8_S1G_bDpT10_ENKUlT_T0_E_clISt17integral_constantIbLb1EES1U_EEDaS1P_S1Q_EUlS1P_E_NS1_11comp_targetILNS1_3genE4ELNS1_11target_archE910ELNS1_3gpuE8ELNS1_3repE0EEENS1_30default_config_static_selectorELNS0_4arch9wavefront6targetE0EEEvS12_: ; @_ZN7rocprim17ROCPRIM_400000_NS6detail17trampoline_kernelINS0_13select_configILj256ELj13ELNS0_17block_load_methodE3ELS4_3ELS4_3ELNS0_20block_scan_algorithmE0ELj4294967295EEENS1_25partition_config_selectorILNS1_17partition_subalgoE4EjNS0_10empty_typeEbEEZZNS1_14partition_implILS8_4ELb0ES6_15HIP_vector_typeIjLj2EENS0_17counting_iteratorIjlEEPS9_SG_NS0_5tupleIJPjSI_NS0_16reverse_iteratorISI_EEEEENSH_IJSG_SG_SG_EEES9_SI_JZNS1_25segmented_radix_sort_implINS0_14default_configELb1EPKhPhPKlPlN2at6native12_GLOBAL__N_18offset_tEEE10hipError_tPvRmT1_PNSt15iterator_traitsIS12_E10value_typeET2_T3_PNS13_IS18_E10value_typeET4_jRbjT5_S1E_jjP12ihipStream_tbEUljE_ZNSN_ISO_Lb1ESQ_SR_ST_SU_SY_EESZ_S10_S11_S12_S16_S17_S18_S1B_S1C_jS1D_jS1E_S1E_jjS1G_bEUljE0_EEESZ_S10_S11_S18_S1C_S1E_T6_T7_T9_mT8_S1G_bDpT10_ENKUlT_T0_E_clISt17integral_constantIbLb1EES1U_EEDaS1P_S1Q_EUlS1P_E_NS1_11comp_targetILNS1_3genE4ELNS1_11target_archE910ELNS1_3gpuE8ELNS1_3repE0EEENS1_30default_config_static_selectorELNS0_4arch9wavefront6targetE0EEEvS12_
; %bb.0:
	.section	.rodata,"a",@progbits
	.p2align	6, 0x0
	.amdhsa_kernel _ZN7rocprim17ROCPRIM_400000_NS6detail17trampoline_kernelINS0_13select_configILj256ELj13ELNS0_17block_load_methodE3ELS4_3ELS4_3ELNS0_20block_scan_algorithmE0ELj4294967295EEENS1_25partition_config_selectorILNS1_17partition_subalgoE4EjNS0_10empty_typeEbEEZZNS1_14partition_implILS8_4ELb0ES6_15HIP_vector_typeIjLj2EENS0_17counting_iteratorIjlEEPS9_SG_NS0_5tupleIJPjSI_NS0_16reverse_iteratorISI_EEEEENSH_IJSG_SG_SG_EEES9_SI_JZNS1_25segmented_radix_sort_implINS0_14default_configELb1EPKhPhPKlPlN2at6native12_GLOBAL__N_18offset_tEEE10hipError_tPvRmT1_PNSt15iterator_traitsIS12_E10value_typeET2_T3_PNS13_IS18_E10value_typeET4_jRbjT5_S1E_jjP12ihipStream_tbEUljE_ZNSN_ISO_Lb1ESQ_SR_ST_SU_SY_EESZ_S10_S11_S12_S16_S17_S18_S1B_S1C_jS1D_jS1E_S1E_jjS1G_bEUljE0_EEESZ_S10_S11_S18_S1C_S1E_T6_T7_T9_mT8_S1G_bDpT10_ENKUlT_T0_E_clISt17integral_constantIbLb1EES1U_EEDaS1P_S1Q_EUlS1P_E_NS1_11comp_targetILNS1_3genE4ELNS1_11target_archE910ELNS1_3gpuE8ELNS1_3repE0EEENS1_30default_config_static_selectorELNS0_4arch9wavefront6targetE0EEEvS12_
		.amdhsa_group_segment_fixed_size 0
		.amdhsa_private_segment_fixed_size 0
		.amdhsa_kernarg_size 184
		.amdhsa_user_sgpr_count 2
		.amdhsa_user_sgpr_dispatch_ptr 0
		.amdhsa_user_sgpr_queue_ptr 0
		.amdhsa_user_sgpr_kernarg_segment_ptr 1
		.amdhsa_user_sgpr_dispatch_id 0
		.amdhsa_user_sgpr_kernarg_preload_length 0
		.amdhsa_user_sgpr_kernarg_preload_offset 0
		.amdhsa_user_sgpr_private_segment_size 0
		.amdhsa_wavefront_size32 1
		.amdhsa_uses_dynamic_stack 0
		.amdhsa_enable_private_segment 0
		.amdhsa_system_sgpr_workgroup_id_x 1
		.amdhsa_system_sgpr_workgroup_id_y 0
		.amdhsa_system_sgpr_workgroup_id_z 0
		.amdhsa_system_sgpr_workgroup_info 0
		.amdhsa_system_vgpr_workitem_id 0
		.amdhsa_next_free_vgpr 1
		.amdhsa_next_free_sgpr 1
		.amdhsa_named_barrier_count 0
		.amdhsa_reserve_vcc 0
		.amdhsa_float_round_mode_32 0
		.amdhsa_float_round_mode_16_64 0
		.amdhsa_float_denorm_mode_32 3
		.amdhsa_float_denorm_mode_16_64 3
		.amdhsa_fp16_overflow 0
		.amdhsa_memory_ordered 1
		.amdhsa_forward_progress 1
		.amdhsa_inst_pref_size 0
		.amdhsa_round_robin_scheduling 0
		.amdhsa_exception_fp_ieee_invalid_op 0
		.amdhsa_exception_fp_denorm_src 0
		.amdhsa_exception_fp_ieee_div_zero 0
		.amdhsa_exception_fp_ieee_overflow 0
		.amdhsa_exception_fp_ieee_underflow 0
		.amdhsa_exception_fp_ieee_inexact 0
		.amdhsa_exception_int_div_zero 0
	.end_amdhsa_kernel
	.section	.text._ZN7rocprim17ROCPRIM_400000_NS6detail17trampoline_kernelINS0_13select_configILj256ELj13ELNS0_17block_load_methodE3ELS4_3ELS4_3ELNS0_20block_scan_algorithmE0ELj4294967295EEENS1_25partition_config_selectorILNS1_17partition_subalgoE4EjNS0_10empty_typeEbEEZZNS1_14partition_implILS8_4ELb0ES6_15HIP_vector_typeIjLj2EENS0_17counting_iteratorIjlEEPS9_SG_NS0_5tupleIJPjSI_NS0_16reverse_iteratorISI_EEEEENSH_IJSG_SG_SG_EEES9_SI_JZNS1_25segmented_radix_sort_implINS0_14default_configELb1EPKhPhPKlPlN2at6native12_GLOBAL__N_18offset_tEEE10hipError_tPvRmT1_PNSt15iterator_traitsIS12_E10value_typeET2_T3_PNS13_IS18_E10value_typeET4_jRbjT5_S1E_jjP12ihipStream_tbEUljE_ZNSN_ISO_Lb1ESQ_SR_ST_SU_SY_EESZ_S10_S11_S12_S16_S17_S18_S1B_S1C_jS1D_jS1E_S1E_jjS1G_bEUljE0_EEESZ_S10_S11_S18_S1C_S1E_T6_T7_T9_mT8_S1G_bDpT10_ENKUlT_T0_E_clISt17integral_constantIbLb1EES1U_EEDaS1P_S1Q_EUlS1P_E_NS1_11comp_targetILNS1_3genE4ELNS1_11target_archE910ELNS1_3gpuE8ELNS1_3repE0EEENS1_30default_config_static_selectorELNS0_4arch9wavefront6targetE0EEEvS12_,"axG",@progbits,_ZN7rocprim17ROCPRIM_400000_NS6detail17trampoline_kernelINS0_13select_configILj256ELj13ELNS0_17block_load_methodE3ELS4_3ELS4_3ELNS0_20block_scan_algorithmE0ELj4294967295EEENS1_25partition_config_selectorILNS1_17partition_subalgoE4EjNS0_10empty_typeEbEEZZNS1_14partition_implILS8_4ELb0ES6_15HIP_vector_typeIjLj2EENS0_17counting_iteratorIjlEEPS9_SG_NS0_5tupleIJPjSI_NS0_16reverse_iteratorISI_EEEEENSH_IJSG_SG_SG_EEES9_SI_JZNS1_25segmented_radix_sort_implINS0_14default_configELb1EPKhPhPKlPlN2at6native12_GLOBAL__N_18offset_tEEE10hipError_tPvRmT1_PNSt15iterator_traitsIS12_E10value_typeET2_T3_PNS13_IS18_E10value_typeET4_jRbjT5_S1E_jjP12ihipStream_tbEUljE_ZNSN_ISO_Lb1ESQ_SR_ST_SU_SY_EESZ_S10_S11_S12_S16_S17_S18_S1B_S1C_jS1D_jS1E_S1E_jjS1G_bEUljE0_EEESZ_S10_S11_S18_S1C_S1E_T6_T7_T9_mT8_S1G_bDpT10_ENKUlT_T0_E_clISt17integral_constantIbLb1EES1U_EEDaS1P_S1Q_EUlS1P_E_NS1_11comp_targetILNS1_3genE4ELNS1_11target_archE910ELNS1_3gpuE8ELNS1_3repE0EEENS1_30default_config_static_selectorELNS0_4arch9wavefront6targetE0EEEvS12_,comdat
.Lfunc_end23:
	.size	_ZN7rocprim17ROCPRIM_400000_NS6detail17trampoline_kernelINS0_13select_configILj256ELj13ELNS0_17block_load_methodE3ELS4_3ELS4_3ELNS0_20block_scan_algorithmE0ELj4294967295EEENS1_25partition_config_selectorILNS1_17partition_subalgoE4EjNS0_10empty_typeEbEEZZNS1_14partition_implILS8_4ELb0ES6_15HIP_vector_typeIjLj2EENS0_17counting_iteratorIjlEEPS9_SG_NS0_5tupleIJPjSI_NS0_16reverse_iteratorISI_EEEEENSH_IJSG_SG_SG_EEES9_SI_JZNS1_25segmented_radix_sort_implINS0_14default_configELb1EPKhPhPKlPlN2at6native12_GLOBAL__N_18offset_tEEE10hipError_tPvRmT1_PNSt15iterator_traitsIS12_E10value_typeET2_T3_PNS13_IS18_E10value_typeET4_jRbjT5_S1E_jjP12ihipStream_tbEUljE_ZNSN_ISO_Lb1ESQ_SR_ST_SU_SY_EESZ_S10_S11_S12_S16_S17_S18_S1B_S1C_jS1D_jS1E_S1E_jjS1G_bEUljE0_EEESZ_S10_S11_S18_S1C_S1E_T6_T7_T9_mT8_S1G_bDpT10_ENKUlT_T0_E_clISt17integral_constantIbLb1EES1U_EEDaS1P_S1Q_EUlS1P_E_NS1_11comp_targetILNS1_3genE4ELNS1_11target_archE910ELNS1_3gpuE8ELNS1_3repE0EEENS1_30default_config_static_selectorELNS0_4arch9wavefront6targetE0EEEvS12_, .Lfunc_end23-_ZN7rocprim17ROCPRIM_400000_NS6detail17trampoline_kernelINS0_13select_configILj256ELj13ELNS0_17block_load_methodE3ELS4_3ELS4_3ELNS0_20block_scan_algorithmE0ELj4294967295EEENS1_25partition_config_selectorILNS1_17partition_subalgoE4EjNS0_10empty_typeEbEEZZNS1_14partition_implILS8_4ELb0ES6_15HIP_vector_typeIjLj2EENS0_17counting_iteratorIjlEEPS9_SG_NS0_5tupleIJPjSI_NS0_16reverse_iteratorISI_EEEEENSH_IJSG_SG_SG_EEES9_SI_JZNS1_25segmented_radix_sort_implINS0_14default_configELb1EPKhPhPKlPlN2at6native12_GLOBAL__N_18offset_tEEE10hipError_tPvRmT1_PNSt15iterator_traitsIS12_E10value_typeET2_T3_PNS13_IS18_E10value_typeET4_jRbjT5_S1E_jjP12ihipStream_tbEUljE_ZNSN_ISO_Lb1ESQ_SR_ST_SU_SY_EESZ_S10_S11_S12_S16_S17_S18_S1B_S1C_jS1D_jS1E_S1E_jjS1G_bEUljE0_EEESZ_S10_S11_S18_S1C_S1E_T6_T7_T9_mT8_S1G_bDpT10_ENKUlT_T0_E_clISt17integral_constantIbLb1EES1U_EEDaS1P_S1Q_EUlS1P_E_NS1_11comp_targetILNS1_3genE4ELNS1_11target_archE910ELNS1_3gpuE8ELNS1_3repE0EEENS1_30default_config_static_selectorELNS0_4arch9wavefront6targetE0EEEvS12_
                                        ; -- End function
	.set _ZN7rocprim17ROCPRIM_400000_NS6detail17trampoline_kernelINS0_13select_configILj256ELj13ELNS0_17block_load_methodE3ELS4_3ELS4_3ELNS0_20block_scan_algorithmE0ELj4294967295EEENS1_25partition_config_selectorILNS1_17partition_subalgoE4EjNS0_10empty_typeEbEEZZNS1_14partition_implILS8_4ELb0ES6_15HIP_vector_typeIjLj2EENS0_17counting_iteratorIjlEEPS9_SG_NS0_5tupleIJPjSI_NS0_16reverse_iteratorISI_EEEEENSH_IJSG_SG_SG_EEES9_SI_JZNS1_25segmented_radix_sort_implINS0_14default_configELb1EPKhPhPKlPlN2at6native12_GLOBAL__N_18offset_tEEE10hipError_tPvRmT1_PNSt15iterator_traitsIS12_E10value_typeET2_T3_PNS13_IS18_E10value_typeET4_jRbjT5_S1E_jjP12ihipStream_tbEUljE_ZNSN_ISO_Lb1ESQ_SR_ST_SU_SY_EESZ_S10_S11_S12_S16_S17_S18_S1B_S1C_jS1D_jS1E_S1E_jjS1G_bEUljE0_EEESZ_S10_S11_S18_S1C_S1E_T6_T7_T9_mT8_S1G_bDpT10_ENKUlT_T0_E_clISt17integral_constantIbLb1EES1U_EEDaS1P_S1Q_EUlS1P_E_NS1_11comp_targetILNS1_3genE4ELNS1_11target_archE910ELNS1_3gpuE8ELNS1_3repE0EEENS1_30default_config_static_selectorELNS0_4arch9wavefront6targetE0EEEvS12_.num_vgpr, 0
	.set _ZN7rocprim17ROCPRIM_400000_NS6detail17trampoline_kernelINS0_13select_configILj256ELj13ELNS0_17block_load_methodE3ELS4_3ELS4_3ELNS0_20block_scan_algorithmE0ELj4294967295EEENS1_25partition_config_selectorILNS1_17partition_subalgoE4EjNS0_10empty_typeEbEEZZNS1_14partition_implILS8_4ELb0ES6_15HIP_vector_typeIjLj2EENS0_17counting_iteratorIjlEEPS9_SG_NS0_5tupleIJPjSI_NS0_16reverse_iteratorISI_EEEEENSH_IJSG_SG_SG_EEES9_SI_JZNS1_25segmented_radix_sort_implINS0_14default_configELb1EPKhPhPKlPlN2at6native12_GLOBAL__N_18offset_tEEE10hipError_tPvRmT1_PNSt15iterator_traitsIS12_E10value_typeET2_T3_PNS13_IS18_E10value_typeET4_jRbjT5_S1E_jjP12ihipStream_tbEUljE_ZNSN_ISO_Lb1ESQ_SR_ST_SU_SY_EESZ_S10_S11_S12_S16_S17_S18_S1B_S1C_jS1D_jS1E_S1E_jjS1G_bEUljE0_EEESZ_S10_S11_S18_S1C_S1E_T6_T7_T9_mT8_S1G_bDpT10_ENKUlT_T0_E_clISt17integral_constantIbLb1EES1U_EEDaS1P_S1Q_EUlS1P_E_NS1_11comp_targetILNS1_3genE4ELNS1_11target_archE910ELNS1_3gpuE8ELNS1_3repE0EEENS1_30default_config_static_selectorELNS0_4arch9wavefront6targetE0EEEvS12_.num_agpr, 0
	.set _ZN7rocprim17ROCPRIM_400000_NS6detail17trampoline_kernelINS0_13select_configILj256ELj13ELNS0_17block_load_methodE3ELS4_3ELS4_3ELNS0_20block_scan_algorithmE0ELj4294967295EEENS1_25partition_config_selectorILNS1_17partition_subalgoE4EjNS0_10empty_typeEbEEZZNS1_14partition_implILS8_4ELb0ES6_15HIP_vector_typeIjLj2EENS0_17counting_iteratorIjlEEPS9_SG_NS0_5tupleIJPjSI_NS0_16reverse_iteratorISI_EEEEENSH_IJSG_SG_SG_EEES9_SI_JZNS1_25segmented_radix_sort_implINS0_14default_configELb1EPKhPhPKlPlN2at6native12_GLOBAL__N_18offset_tEEE10hipError_tPvRmT1_PNSt15iterator_traitsIS12_E10value_typeET2_T3_PNS13_IS18_E10value_typeET4_jRbjT5_S1E_jjP12ihipStream_tbEUljE_ZNSN_ISO_Lb1ESQ_SR_ST_SU_SY_EESZ_S10_S11_S12_S16_S17_S18_S1B_S1C_jS1D_jS1E_S1E_jjS1G_bEUljE0_EEESZ_S10_S11_S18_S1C_S1E_T6_T7_T9_mT8_S1G_bDpT10_ENKUlT_T0_E_clISt17integral_constantIbLb1EES1U_EEDaS1P_S1Q_EUlS1P_E_NS1_11comp_targetILNS1_3genE4ELNS1_11target_archE910ELNS1_3gpuE8ELNS1_3repE0EEENS1_30default_config_static_selectorELNS0_4arch9wavefront6targetE0EEEvS12_.numbered_sgpr, 0
	.set _ZN7rocprim17ROCPRIM_400000_NS6detail17trampoline_kernelINS0_13select_configILj256ELj13ELNS0_17block_load_methodE3ELS4_3ELS4_3ELNS0_20block_scan_algorithmE0ELj4294967295EEENS1_25partition_config_selectorILNS1_17partition_subalgoE4EjNS0_10empty_typeEbEEZZNS1_14partition_implILS8_4ELb0ES6_15HIP_vector_typeIjLj2EENS0_17counting_iteratorIjlEEPS9_SG_NS0_5tupleIJPjSI_NS0_16reverse_iteratorISI_EEEEENSH_IJSG_SG_SG_EEES9_SI_JZNS1_25segmented_radix_sort_implINS0_14default_configELb1EPKhPhPKlPlN2at6native12_GLOBAL__N_18offset_tEEE10hipError_tPvRmT1_PNSt15iterator_traitsIS12_E10value_typeET2_T3_PNS13_IS18_E10value_typeET4_jRbjT5_S1E_jjP12ihipStream_tbEUljE_ZNSN_ISO_Lb1ESQ_SR_ST_SU_SY_EESZ_S10_S11_S12_S16_S17_S18_S1B_S1C_jS1D_jS1E_S1E_jjS1G_bEUljE0_EEESZ_S10_S11_S18_S1C_S1E_T6_T7_T9_mT8_S1G_bDpT10_ENKUlT_T0_E_clISt17integral_constantIbLb1EES1U_EEDaS1P_S1Q_EUlS1P_E_NS1_11comp_targetILNS1_3genE4ELNS1_11target_archE910ELNS1_3gpuE8ELNS1_3repE0EEENS1_30default_config_static_selectorELNS0_4arch9wavefront6targetE0EEEvS12_.num_named_barrier, 0
	.set _ZN7rocprim17ROCPRIM_400000_NS6detail17trampoline_kernelINS0_13select_configILj256ELj13ELNS0_17block_load_methodE3ELS4_3ELS4_3ELNS0_20block_scan_algorithmE0ELj4294967295EEENS1_25partition_config_selectorILNS1_17partition_subalgoE4EjNS0_10empty_typeEbEEZZNS1_14partition_implILS8_4ELb0ES6_15HIP_vector_typeIjLj2EENS0_17counting_iteratorIjlEEPS9_SG_NS0_5tupleIJPjSI_NS0_16reverse_iteratorISI_EEEEENSH_IJSG_SG_SG_EEES9_SI_JZNS1_25segmented_radix_sort_implINS0_14default_configELb1EPKhPhPKlPlN2at6native12_GLOBAL__N_18offset_tEEE10hipError_tPvRmT1_PNSt15iterator_traitsIS12_E10value_typeET2_T3_PNS13_IS18_E10value_typeET4_jRbjT5_S1E_jjP12ihipStream_tbEUljE_ZNSN_ISO_Lb1ESQ_SR_ST_SU_SY_EESZ_S10_S11_S12_S16_S17_S18_S1B_S1C_jS1D_jS1E_S1E_jjS1G_bEUljE0_EEESZ_S10_S11_S18_S1C_S1E_T6_T7_T9_mT8_S1G_bDpT10_ENKUlT_T0_E_clISt17integral_constantIbLb1EES1U_EEDaS1P_S1Q_EUlS1P_E_NS1_11comp_targetILNS1_3genE4ELNS1_11target_archE910ELNS1_3gpuE8ELNS1_3repE0EEENS1_30default_config_static_selectorELNS0_4arch9wavefront6targetE0EEEvS12_.private_seg_size, 0
	.set _ZN7rocprim17ROCPRIM_400000_NS6detail17trampoline_kernelINS0_13select_configILj256ELj13ELNS0_17block_load_methodE3ELS4_3ELS4_3ELNS0_20block_scan_algorithmE0ELj4294967295EEENS1_25partition_config_selectorILNS1_17partition_subalgoE4EjNS0_10empty_typeEbEEZZNS1_14partition_implILS8_4ELb0ES6_15HIP_vector_typeIjLj2EENS0_17counting_iteratorIjlEEPS9_SG_NS0_5tupleIJPjSI_NS0_16reverse_iteratorISI_EEEEENSH_IJSG_SG_SG_EEES9_SI_JZNS1_25segmented_radix_sort_implINS0_14default_configELb1EPKhPhPKlPlN2at6native12_GLOBAL__N_18offset_tEEE10hipError_tPvRmT1_PNSt15iterator_traitsIS12_E10value_typeET2_T3_PNS13_IS18_E10value_typeET4_jRbjT5_S1E_jjP12ihipStream_tbEUljE_ZNSN_ISO_Lb1ESQ_SR_ST_SU_SY_EESZ_S10_S11_S12_S16_S17_S18_S1B_S1C_jS1D_jS1E_S1E_jjS1G_bEUljE0_EEESZ_S10_S11_S18_S1C_S1E_T6_T7_T9_mT8_S1G_bDpT10_ENKUlT_T0_E_clISt17integral_constantIbLb1EES1U_EEDaS1P_S1Q_EUlS1P_E_NS1_11comp_targetILNS1_3genE4ELNS1_11target_archE910ELNS1_3gpuE8ELNS1_3repE0EEENS1_30default_config_static_selectorELNS0_4arch9wavefront6targetE0EEEvS12_.uses_vcc, 0
	.set _ZN7rocprim17ROCPRIM_400000_NS6detail17trampoline_kernelINS0_13select_configILj256ELj13ELNS0_17block_load_methodE3ELS4_3ELS4_3ELNS0_20block_scan_algorithmE0ELj4294967295EEENS1_25partition_config_selectorILNS1_17partition_subalgoE4EjNS0_10empty_typeEbEEZZNS1_14partition_implILS8_4ELb0ES6_15HIP_vector_typeIjLj2EENS0_17counting_iteratorIjlEEPS9_SG_NS0_5tupleIJPjSI_NS0_16reverse_iteratorISI_EEEEENSH_IJSG_SG_SG_EEES9_SI_JZNS1_25segmented_radix_sort_implINS0_14default_configELb1EPKhPhPKlPlN2at6native12_GLOBAL__N_18offset_tEEE10hipError_tPvRmT1_PNSt15iterator_traitsIS12_E10value_typeET2_T3_PNS13_IS18_E10value_typeET4_jRbjT5_S1E_jjP12ihipStream_tbEUljE_ZNSN_ISO_Lb1ESQ_SR_ST_SU_SY_EESZ_S10_S11_S12_S16_S17_S18_S1B_S1C_jS1D_jS1E_S1E_jjS1G_bEUljE0_EEESZ_S10_S11_S18_S1C_S1E_T6_T7_T9_mT8_S1G_bDpT10_ENKUlT_T0_E_clISt17integral_constantIbLb1EES1U_EEDaS1P_S1Q_EUlS1P_E_NS1_11comp_targetILNS1_3genE4ELNS1_11target_archE910ELNS1_3gpuE8ELNS1_3repE0EEENS1_30default_config_static_selectorELNS0_4arch9wavefront6targetE0EEEvS12_.uses_flat_scratch, 0
	.set _ZN7rocprim17ROCPRIM_400000_NS6detail17trampoline_kernelINS0_13select_configILj256ELj13ELNS0_17block_load_methodE3ELS4_3ELS4_3ELNS0_20block_scan_algorithmE0ELj4294967295EEENS1_25partition_config_selectorILNS1_17partition_subalgoE4EjNS0_10empty_typeEbEEZZNS1_14partition_implILS8_4ELb0ES6_15HIP_vector_typeIjLj2EENS0_17counting_iteratorIjlEEPS9_SG_NS0_5tupleIJPjSI_NS0_16reverse_iteratorISI_EEEEENSH_IJSG_SG_SG_EEES9_SI_JZNS1_25segmented_radix_sort_implINS0_14default_configELb1EPKhPhPKlPlN2at6native12_GLOBAL__N_18offset_tEEE10hipError_tPvRmT1_PNSt15iterator_traitsIS12_E10value_typeET2_T3_PNS13_IS18_E10value_typeET4_jRbjT5_S1E_jjP12ihipStream_tbEUljE_ZNSN_ISO_Lb1ESQ_SR_ST_SU_SY_EESZ_S10_S11_S12_S16_S17_S18_S1B_S1C_jS1D_jS1E_S1E_jjS1G_bEUljE0_EEESZ_S10_S11_S18_S1C_S1E_T6_T7_T9_mT8_S1G_bDpT10_ENKUlT_T0_E_clISt17integral_constantIbLb1EES1U_EEDaS1P_S1Q_EUlS1P_E_NS1_11comp_targetILNS1_3genE4ELNS1_11target_archE910ELNS1_3gpuE8ELNS1_3repE0EEENS1_30default_config_static_selectorELNS0_4arch9wavefront6targetE0EEEvS12_.has_dyn_sized_stack, 0
	.set _ZN7rocprim17ROCPRIM_400000_NS6detail17trampoline_kernelINS0_13select_configILj256ELj13ELNS0_17block_load_methodE3ELS4_3ELS4_3ELNS0_20block_scan_algorithmE0ELj4294967295EEENS1_25partition_config_selectorILNS1_17partition_subalgoE4EjNS0_10empty_typeEbEEZZNS1_14partition_implILS8_4ELb0ES6_15HIP_vector_typeIjLj2EENS0_17counting_iteratorIjlEEPS9_SG_NS0_5tupleIJPjSI_NS0_16reverse_iteratorISI_EEEEENSH_IJSG_SG_SG_EEES9_SI_JZNS1_25segmented_radix_sort_implINS0_14default_configELb1EPKhPhPKlPlN2at6native12_GLOBAL__N_18offset_tEEE10hipError_tPvRmT1_PNSt15iterator_traitsIS12_E10value_typeET2_T3_PNS13_IS18_E10value_typeET4_jRbjT5_S1E_jjP12ihipStream_tbEUljE_ZNSN_ISO_Lb1ESQ_SR_ST_SU_SY_EESZ_S10_S11_S12_S16_S17_S18_S1B_S1C_jS1D_jS1E_S1E_jjS1G_bEUljE0_EEESZ_S10_S11_S18_S1C_S1E_T6_T7_T9_mT8_S1G_bDpT10_ENKUlT_T0_E_clISt17integral_constantIbLb1EES1U_EEDaS1P_S1Q_EUlS1P_E_NS1_11comp_targetILNS1_3genE4ELNS1_11target_archE910ELNS1_3gpuE8ELNS1_3repE0EEENS1_30default_config_static_selectorELNS0_4arch9wavefront6targetE0EEEvS12_.has_recursion, 0
	.set _ZN7rocprim17ROCPRIM_400000_NS6detail17trampoline_kernelINS0_13select_configILj256ELj13ELNS0_17block_load_methodE3ELS4_3ELS4_3ELNS0_20block_scan_algorithmE0ELj4294967295EEENS1_25partition_config_selectorILNS1_17partition_subalgoE4EjNS0_10empty_typeEbEEZZNS1_14partition_implILS8_4ELb0ES6_15HIP_vector_typeIjLj2EENS0_17counting_iteratorIjlEEPS9_SG_NS0_5tupleIJPjSI_NS0_16reverse_iteratorISI_EEEEENSH_IJSG_SG_SG_EEES9_SI_JZNS1_25segmented_radix_sort_implINS0_14default_configELb1EPKhPhPKlPlN2at6native12_GLOBAL__N_18offset_tEEE10hipError_tPvRmT1_PNSt15iterator_traitsIS12_E10value_typeET2_T3_PNS13_IS18_E10value_typeET4_jRbjT5_S1E_jjP12ihipStream_tbEUljE_ZNSN_ISO_Lb1ESQ_SR_ST_SU_SY_EESZ_S10_S11_S12_S16_S17_S18_S1B_S1C_jS1D_jS1E_S1E_jjS1G_bEUljE0_EEESZ_S10_S11_S18_S1C_S1E_T6_T7_T9_mT8_S1G_bDpT10_ENKUlT_T0_E_clISt17integral_constantIbLb1EES1U_EEDaS1P_S1Q_EUlS1P_E_NS1_11comp_targetILNS1_3genE4ELNS1_11target_archE910ELNS1_3gpuE8ELNS1_3repE0EEENS1_30default_config_static_selectorELNS0_4arch9wavefront6targetE0EEEvS12_.has_indirect_call, 0
	.section	.AMDGPU.csdata,"",@progbits
; Kernel info:
; codeLenInByte = 0
; TotalNumSgprs: 0
; NumVgprs: 0
; ScratchSize: 0
; MemoryBound: 0
; FloatMode: 240
; IeeeMode: 1
; LDSByteSize: 0 bytes/workgroup (compile time only)
; SGPRBlocks: 0
; VGPRBlocks: 0
; NumSGPRsForWavesPerEU: 1
; NumVGPRsForWavesPerEU: 1
; NamedBarCnt: 0
; Occupancy: 16
; WaveLimiterHint : 0
; COMPUTE_PGM_RSRC2:SCRATCH_EN: 0
; COMPUTE_PGM_RSRC2:USER_SGPR: 2
; COMPUTE_PGM_RSRC2:TRAP_HANDLER: 0
; COMPUTE_PGM_RSRC2:TGID_X_EN: 1
; COMPUTE_PGM_RSRC2:TGID_Y_EN: 0
; COMPUTE_PGM_RSRC2:TGID_Z_EN: 0
; COMPUTE_PGM_RSRC2:TIDIG_COMP_CNT: 0
	.section	.text._ZN7rocprim17ROCPRIM_400000_NS6detail17trampoline_kernelINS0_13select_configILj256ELj13ELNS0_17block_load_methodE3ELS4_3ELS4_3ELNS0_20block_scan_algorithmE0ELj4294967295EEENS1_25partition_config_selectorILNS1_17partition_subalgoE4EjNS0_10empty_typeEbEEZZNS1_14partition_implILS8_4ELb0ES6_15HIP_vector_typeIjLj2EENS0_17counting_iteratorIjlEEPS9_SG_NS0_5tupleIJPjSI_NS0_16reverse_iteratorISI_EEEEENSH_IJSG_SG_SG_EEES9_SI_JZNS1_25segmented_radix_sort_implINS0_14default_configELb1EPKhPhPKlPlN2at6native12_GLOBAL__N_18offset_tEEE10hipError_tPvRmT1_PNSt15iterator_traitsIS12_E10value_typeET2_T3_PNS13_IS18_E10value_typeET4_jRbjT5_S1E_jjP12ihipStream_tbEUljE_ZNSN_ISO_Lb1ESQ_SR_ST_SU_SY_EESZ_S10_S11_S12_S16_S17_S18_S1B_S1C_jS1D_jS1E_S1E_jjS1G_bEUljE0_EEESZ_S10_S11_S18_S1C_S1E_T6_T7_T9_mT8_S1G_bDpT10_ENKUlT_T0_E_clISt17integral_constantIbLb1EES1U_EEDaS1P_S1Q_EUlS1P_E_NS1_11comp_targetILNS1_3genE3ELNS1_11target_archE908ELNS1_3gpuE7ELNS1_3repE0EEENS1_30default_config_static_selectorELNS0_4arch9wavefront6targetE0EEEvS12_,"axG",@progbits,_ZN7rocprim17ROCPRIM_400000_NS6detail17trampoline_kernelINS0_13select_configILj256ELj13ELNS0_17block_load_methodE3ELS4_3ELS4_3ELNS0_20block_scan_algorithmE0ELj4294967295EEENS1_25partition_config_selectorILNS1_17partition_subalgoE4EjNS0_10empty_typeEbEEZZNS1_14partition_implILS8_4ELb0ES6_15HIP_vector_typeIjLj2EENS0_17counting_iteratorIjlEEPS9_SG_NS0_5tupleIJPjSI_NS0_16reverse_iteratorISI_EEEEENSH_IJSG_SG_SG_EEES9_SI_JZNS1_25segmented_radix_sort_implINS0_14default_configELb1EPKhPhPKlPlN2at6native12_GLOBAL__N_18offset_tEEE10hipError_tPvRmT1_PNSt15iterator_traitsIS12_E10value_typeET2_T3_PNS13_IS18_E10value_typeET4_jRbjT5_S1E_jjP12ihipStream_tbEUljE_ZNSN_ISO_Lb1ESQ_SR_ST_SU_SY_EESZ_S10_S11_S12_S16_S17_S18_S1B_S1C_jS1D_jS1E_S1E_jjS1G_bEUljE0_EEESZ_S10_S11_S18_S1C_S1E_T6_T7_T9_mT8_S1G_bDpT10_ENKUlT_T0_E_clISt17integral_constantIbLb1EES1U_EEDaS1P_S1Q_EUlS1P_E_NS1_11comp_targetILNS1_3genE3ELNS1_11target_archE908ELNS1_3gpuE7ELNS1_3repE0EEENS1_30default_config_static_selectorELNS0_4arch9wavefront6targetE0EEEvS12_,comdat
	.globl	_ZN7rocprim17ROCPRIM_400000_NS6detail17trampoline_kernelINS0_13select_configILj256ELj13ELNS0_17block_load_methodE3ELS4_3ELS4_3ELNS0_20block_scan_algorithmE0ELj4294967295EEENS1_25partition_config_selectorILNS1_17partition_subalgoE4EjNS0_10empty_typeEbEEZZNS1_14partition_implILS8_4ELb0ES6_15HIP_vector_typeIjLj2EENS0_17counting_iteratorIjlEEPS9_SG_NS0_5tupleIJPjSI_NS0_16reverse_iteratorISI_EEEEENSH_IJSG_SG_SG_EEES9_SI_JZNS1_25segmented_radix_sort_implINS0_14default_configELb1EPKhPhPKlPlN2at6native12_GLOBAL__N_18offset_tEEE10hipError_tPvRmT1_PNSt15iterator_traitsIS12_E10value_typeET2_T3_PNS13_IS18_E10value_typeET4_jRbjT5_S1E_jjP12ihipStream_tbEUljE_ZNSN_ISO_Lb1ESQ_SR_ST_SU_SY_EESZ_S10_S11_S12_S16_S17_S18_S1B_S1C_jS1D_jS1E_S1E_jjS1G_bEUljE0_EEESZ_S10_S11_S18_S1C_S1E_T6_T7_T9_mT8_S1G_bDpT10_ENKUlT_T0_E_clISt17integral_constantIbLb1EES1U_EEDaS1P_S1Q_EUlS1P_E_NS1_11comp_targetILNS1_3genE3ELNS1_11target_archE908ELNS1_3gpuE7ELNS1_3repE0EEENS1_30default_config_static_selectorELNS0_4arch9wavefront6targetE0EEEvS12_ ; -- Begin function _ZN7rocprim17ROCPRIM_400000_NS6detail17trampoline_kernelINS0_13select_configILj256ELj13ELNS0_17block_load_methodE3ELS4_3ELS4_3ELNS0_20block_scan_algorithmE0ELj4294967295EEENS1_25partition_config_selectorILNS1_17partition_subalgoE4EjNS0_10empty_typeEbEEZZNS1_14partition_implILS8_4ELb0ES6_15HIP_vector_typeIjLj2EENS0_17counting_iteratorIjlEEPS9_SG_NS0_5tupleIJPjSI_NS0_16reverse_iteratorISI_EEEEENSH_IJSG_SG_SG_EEES9_SI_JZNS1_25segmented_radix_sort_implINS0_14default_configELb1EPKhPhPKlPlN2at6native12_GLOBAL__N_18offset_tEEE10hipError_tPvRmT1_PNSt15iterator_traitsIS12_E10value_typeET2_T3_PNS13_IS18_E10value_typeET4_jRbjT5_S1E_jjP12ihipStream_tbEUljE_ZNSN_ISO_Lb1ESQ_SR_ST_SU_SY_EESZ_S10_S11_S12_S16_S17_S18_S1B_S1C_jS1D_jS1E_S1E_jjS1G_bEUljE0_EEESZ_S10_S11_S18_S1C_S1E_T6_T7_T9_mT8_S1G_bDpT10_ENKUlT_T0_E_clISt17integral_constantIbLb1EES1U_EEDaS1P_S1Q_EUlS1P_E_NS1_11comp_targetILNS1_3genE3ELNS1_11target_archE908ELNS1_3gpuE7ELNS1_3repE0EEENS1_30default_config_static_selectorELNS0_4arch9wavefront6targetE0EEEvS12_
	.p2align	8
	.type	_ZN7rocprim17ROCPRIM_400000_NS6detail17trampoline_kernelINS0_13select_configILj256ELj13ELNS0_17block_load_methodE3ELS4_3ELS4_3ELNS0_20block_scan_algorithmE0ELj4294967295EEENS1_25partition_config_selectorILNS1_17partition_subalgoE4EjNS0_10empty_typeEbEEZZNS1_14partition_implILS8_4ELb0ES6_15HIP_vector_typeIjLj2EENS0_17counting_iteratorIjlEEPS9_SG_NS0_5tupleIJPjSI_NS0_16reverse_iteratorISI_EEEEENSH_IJSG_SG_SG_EEES9_SI_JZNS1_25segmented_radix_sort_implINS0_14default_configELb1EPKhPhPKlPlN2at6native12_GLOBAL__N_18offset_tEEE10hipError_tPvRmT1_PNSt15iterator_traitsIS12_E10value_typeET2_T3_PNS13_IS18_E10value_typeET4_jRbjT5_S1E_jjP12ihipStream_tbEUljE_ZNSN_ISO_Lb1ESQ_SR_ST_SU_SY_EESZ_S10_S11_S12_S16_S17_S18_S1B_S1C_jS1D_jS1E_S1E_jjS1G_bEUljE0_EEESZ_S10_S11_S18_S1C_S1E_T6_T7_T9_mT8_S1G_bDpT10_ENKUlT_T0_E_clISt17integral_constantIbLb1EES1U_EEDaS1P_S1Q_EUlS1P_E_NS1_11comp_targetILNS1_3genE3ELNS1_11target_archE908ELNS1_3gpuE7ELNS1_3repE0EEENS1_30default_config_static_selectorELNS0_4arch9wavefront6targetE0EEEvS12_,@function
_ZN7rocprim17ROCPRIM_400000_NS6detail17trampoline_kernelINS0_13select_configILj256ELj13ELNS0_17block_load_methodE3ELS4_3ELS4_3ELNS0_20block_scan_algorithmE0ELj4294967295EEENS1_25partition_config_selectorILNS1_17partition_subalgoE4EjNS0_10empty_typeEbEEZZNS1_14partition_implILS8_4ELb0ES6_15HIP_vector_typeIjLj2EENS0_17counting_iteratorIjlEEPS9_SG_NS0_5tupleIJPjSI_NS0_16reverse_iteratorISI_EEEEENSH_IJSG_SG_SG_EEES9_SI_JZNS1_25segmented_radix_sort_implINS0_14default_configELb1EPKhPhPKlPlN2at6native12_GLOBAL__N_18offset_tEEE10hipError_tPvRmT1_PNSt15iterator_traitsIS12_E10value_typeET2_T3_PNS13_IS18_E10value_typeET4_jRbjT5_S1E_jjP12ihipStream_tbEUljE_ZNSN_ISO_Lb1ESQ_SR_ST_SU_SY_EESZ_S10_S11_S12_S16_S17_S18_S1B_S1C_jS1D_jS1E_S1E_jjS1G_bEUljE0_EEESZ_S10_S11_S18_S1C_S1E_T6_T7_T9_mT8_S1G_bDpT10_ENKUlT_T0_E_clISt17integral_constantIbLb1EES1U_EEDaS1P_S1Q_EUlS1P_E_NS1_11comp_targetILNS1_3genE3ELNS1_11target_archE908ELNS1_3gpuE7ELNS1_3repE0EEENS1_30default_config_static_selectorELNS0_4arch9wavefront6targetE0EEEvS12_: ; @_ZN7rocprim17ROCPRIM_400000_NS6detail17trampoline_kernelINS0_13select_configILj256ELj13ELNS0_17block_load_methodE3ELS4_3ELS4_3ELNS0_20block_scan_algorithmE0ELj4294967295EEENS1_25partition_config_selectorILNS1_17partition_subalgoE4EjNS0_10empty_typeEbEEZZNS1_14partition_implILS8_4ELb0ES6_15HIP_vector_typeIjLj2EENS0_17counting_iteratorIjlEEPS9_SG_NS0_5tupleIJPjSI_NS0_16reverse_iteratorISI_EEEEENSH_IJSG_SG_SG_EEES9_SI_JZNS1_25segmented_radix_sort_implINS0_14default_configELb1EPKhPhPKlPlN2at6native12_GLOBAL__N_18offset_tEEE10hipError_tPvRmT1_PNSt15iterator_traitsIS12_E10value_typeET2_T3_PNS13_IS18_E10value_typeET4_jRbjT5_S1E_jjP12ihipStream_tbEUljE_ZNSN_ISO_Lb1ESQ_SR_ST_SU_SY_EESZ_S10_S11_S12_S16_S17_S18_S1B_S1C_jS1D_jS1E_S1E_jjS1G_bEUljE0_EEESZ_S10_S11_S18_S1C_S1E_T6_T7_T9_mT8_S1G_bDpT10_ENKUlT_T0_E_clISt17integral_constantIbLb1EES1U_EEDaS1P_S1Q_EUlS1P_E_NS1_11comp_targetILNS1_3genE3ELNS1_11target_archE908ELNS1_3gpuE7ELNS1_3repE0EEENS1_30default_config_static_selectorELNS0_4arch9wavefront6targetE0EEEvS12_
; %bb.0:
	.section	.rodata,"a",@progbits
	.p2align	6, 0x0
	.amdhsa_kernel _ZN7rocprim17ROCPRIM_400000_NS6detail17trampoline_kernelINS0_13select_configILj256ELj13ELNS0_17block_load_methodE3ELS4_3ELS4_3ELNS0_20block_scan_algorithmE0ELj4294967295EEENS1_25partition_config_selectorILNS1_17partition_subalgoE4EjNS0_10empty_typeEbEEZZNS1_14partition_implILS8_4ELb0ES6_15HIP_vector_typeIjLj2EENS0_17counting_iteratorIjlEEPS9_SG_NS0_5tupleIJPjSI_NS0_16reverse_iteratorISI_EEEEENSH_IJSG_SG_SG_EEES9_SI_JZNS1_25segmented_radix_sort_implINS0_14default_configELb1EPKhPhPKlPlN2at6native12_GLOBAL__N_18offset_tEEE10hipError_tPvRmT1_PNSt15iterator_traitsIS12_E10value_typeET2_T3_PNS13_IS18_E10value_typeET4_jRbjT5_S1E_jjP12ihipStream_tbEUljE_ZNSN_ISO_Lb1ESQ_SR_ST_SU_SY_EESZ_S10_S11_S12_S16_S17_S18_S1B_S1C_jS1D_jS1E_S1E_jjS1G_bEUljE0_EEESZ_S10_S11_S18_S1C_S1E_T6_T7_T9_mT8_S1G_bDpT10_ENKUlT_T0_E_clISt17integral_constantIbLb1EES1U_EEDaS1P_S1Q_EUlS1P_E_NS1_11comp_targetILNS1_3genE3ELNS1_11target_archE908ELNS1_3gpuE7ELNS1_3repE0EEENS1_30default_config_static_selectorELNS0_4arch9wavefront6targetE0EEEvS12_
		.amdhsa_group_segment_fixed_size 0
		.amdhsa_private_segment_fixed_size 0
		.amdhsa_kernarg_size 184
		.amdhsa_user_sgpr_count 2
		.amdhsa_user_sgpr_dispatch_ptr 0
		.amdhsa_user_sgpr_queue_ptr 0
		.amdhsa_user_sgpr_kernarg_segment_ptr 1
		.amdhsa_user_sgpr_dispatch_id 0
		.amdhsa_user_sgpr_kernarg_preload_length 0
		.amdhsa_user_sgpr_kernarg_preload_offset 0
		.amdhsa_user_sgpr_private_segment_size 0
		.amdhsa_wavefront_size32 1
		.amdhsa_uses_dynamic_stack 0
		.amdhsa_enable_private_segment 0
		.amdhsa_system_sgpr_workgroup_id_x 1
		.amdhsa_system_sgpr_workgroup_id_y 0
		.amdhsa_system_sgpr_workgroup_id_z 0
		.amdhsa_system_sgpr_workgroup_info 0
		.amdhsa_system_vgpr_workitem_id 0
		.amdhsa_next_free_vgpr 1
		.amdhsa_next_free_sgpr 1
		.amdhsa_named_barrier_count 0
		.amdhsa_reserve_vcc 0
		.amdhsa_float_round_mode_32 0
		.amdhsa_float_round_mode_16_64 0
		.amdhsa_float_denorm_mode_32 3
		.amdhsa_float_denorm_mode_16_64 3
		.amdhsa_fp16_overflow 0
		.amdhsa_memory_ordered 1
		.amdhsa_forward_progress 1
		.amdhsa_inst_pref_size 0
		.amdhsa_round_robin_scheduling 0
		.amdhsa_exception_fp_ieee_invalid_op 0
		.amdhsa_exception_fp_denorm_src 0
		.amdhsa_exception_fp_ieee_div_zero 0
		.amdhsa_exception_fp_ieee_overflow 0
		.amdhsa_exception_fp_ieee_underflow 0
		.amdhsa_exception_fp_ieee_inexact 0
		.amdhsa_exception_int_div_zero 0
	.end_amdhsa_kernel
	.section	.text._ZN7rocprim17ROCPRIM_400000_NS6detail17trampoline_kernelINS0_13select_configILj256ELj13ELNS0_17block_load_methodE3ELS4_3ELS4_3ELNS0_20block_scan_algorithmE0ELj4294967295EEENS1_25partition_config_selectorILNS1_17partition_subalgoE4EjNS0_10empty_typeEbEEZZNS1_14partition_implILS8_4ELb0ES6_15HIP_vector_typeIjLj2EENS0_17counting_iteratorIjlEEPS9_SG_NS0_5tupleIJPjSI_NS0_16reverse_iteratorISI_EEEEENSH_IJSG_SG_SG_EEES9_SI_JZNS1_25segmented_radix_sort_implINS0_14default_configELb1EPKhPhPKlPlN2at6native12_GLOBAL__N_18offset_tEEE10hipError_tPvRmT1_PNSt15iterator_traitsIS12_E10value_typeET2_T3_PNS13_IS18_E10value_typeET4_jRbjT5_S1E_jjP12ihipStream_tbEUljE_ZNSN_ISO_Lb1ESQ_SR_ST_SU_SY_EESZ_S10_S11_S12_S16_S17_S18_S1B_S1C_jS1D_jS1E_S1E_jjS1G_bEUljE0_EEESZ_S10_S11_S18_S1C_S1E_T6_T7_T9_mT8_S1G_bDpT10_ENKUlT_T0_E_clISt17integral_constantIbLb1EES1U_EEDaS1P_S1Q_EUlS1P_E_NS1_11comp_targetILNS1_3genE3ELNS1_11target_archE908ELNS1_3gpuE7ELNS1_3repE0EEENS1_30default_config_static_selectorELNS0_4arch9wavefront6targetE0EEEvS12_,"axG",@progbits,_ZN7rocprim17ROCPRIM_400000_NS6detail17trampoline_kernelINS0_13select_configILj256ELj13ELNS0_17block_load_methodE3ELS4_3ELS4_3ELNS0_20block_scan_algorithmE0ELj4294967295EEENS1_25partition_config_selectorILNS1_17partition_subalgoE4EjNS0_10empty_typeEbEEZZNS1_14partition_implILS8_4ELb0ES6_15HIP_vector_typeIjLj2EENS0_17counting_iteratorIjlEEPS9_SG_NS0_5tupleIJPjSI_NS0_16reverse_iteratorISI_EEEEENSH_IJSG_SG_SG_EEES9_SI_JZNS1_25segmented_radix_sort_implINS0_14default_configELb1EPKhPhPKlPlN2at6native12_GLOBAL__N_18offset_tEEE10hipError_tPvRmT1_PNSt15iterator_traitsIS12_E10value_typeET2_T3_PNS13_IS18_E10value_typeET4_jRbjT5_S1E_jjP12ihipStream_tbEUljE_ZNSN_ISO_Lb1ESQ_SR_ST_SU_SY_EESZ_S10_S11_S12_S16_S17_S18_S1B_S1C_jS1D_jS1E_S1E_jjS1G_bEUljE0_EEESZ_S10_S11_S18_S1C_S1E_T6_T7_T9_mT8_S1G_bDpT10_ENKUlT_T0_E_clISt17integral_constantIbLb1EES1U_EEDaS1P_S1Q_EUlS1P_E_NS1_11comp_targetILNS1_3genE3ELNS1_11target_archE908ELNS1_3gpuE7ELNS1_3repE0EEENS1_30default_config_static_selectorELNS0_4arch9wavefront6targetE0EEEvS12_,comdat
.Lfunc_end24:
	.size	_ZN7rocprim17ROCPRIM_400000_NS6detail17trampoline_kernelINS0_13select_configILj256ELj13ELNS0_17block_load_methodE3ELS4_3ELS4_3ELNS0_20block_scan_algorithmE0ELj4294967295EEENS1_25partition_config_selectorILNS1_17partition_subalgoE4EjNS0_10empty_typeEbEEZZNS1_14partition_implILS8_4ELb0ES6_15HIP_vector_typeIjLj2EENS0_17counting_iteratorIjlEEPS9_SG_NS0_5tupleIJPjSI_NS0_16reverse_iteratorISI_EEEEENSH_IJSG_SG_SG_EEES9_SI_JZNS1_25segmented_radix_sort_implINS0_14default_configELb1EPKhPhPKlPlN2at6native12_GLOBAL__N_18offset_tEEE10hipError_tPvRmT1_PNSt15iterator_traitsIS12_E10value_typeET2_T3_PNS13_IS18_E10value_typeET4_jRbjT5_S1E_jjP12ihipStream_tbEUljE_ZNSN_ISO_Lb1ESQ_SR_ST_SU_SY_EESZ_S10_S11_S12_S16_S17_S18_S1B_S1C_jS1D_jS1E_S1E_jjS1G_bEUljE0_EEESZ_S10_S11_S18_S1C_S1E_T6_T7_T9_mT8_S1G_bDpT10_ENKUlT_T0_E_clISt17integral_constantIbLb1EES1U_EEDaS1P_S1Q_EUlS1P_E_NS1_11comp_targetILNS1_3genE3ELNS1_11target_archE908ELNS1_3gpuE7ELNS1_3repE0EEENS1_30default_config_static_selectorELNS0_4arch9wavefront6targetE0EEEvS12_, .Lfunc_end24-_ZN7rocprim17ROCPRIM_400000_NS6detail17trampoline_kernelINS0_13select_configILj256ELj13ELNS0_17block_load_methodE3ELS4_3ELS4_3ELNS0_20block_scan_algorithmE0ELj4294967295EEENS1_25partition_config_selectorILNS1_17partition_subalgoE4EjNS0_10empty_typeEbEEZZNS1_14partition_implILS8_4ELb0ES6_15HIP_vector_typeIjLj2EENS0_17counting_iteratorIjlEEPS9_SG_NS0_5tupleIJPjSI_NS0_16reverse_iteratorISI_EEEEENSH_IJSG_SG_SG_EEES9_SI_JZNS1_25segmented_radix_sort_implINS0_14default_configELb1EPKhPhPKlPlN2at6native12_GLOBAL__N_18offset_tEEE10hipError_tPvRmT1_PNSt15iterator_traitsIS12_E10value_typeET2_T3_PNS13_IS18_E10value_typeET4_jRbjT5_S1E_jjP12ihipStream_tbEUljE_ZNSN_ISO_Lb1ESQ_SR_ST_SU_SY_EESZ_S10_S11_S12_S16_S17_S18_S1B_S1C_jS1D_jS1E_S1E_jjS1G_bEUljE0_EEESZ_S10_S11_S18_S1C_S1E_T6_T7_T9_mT8_S1G_bDpT10_ENKUlT_T0_E_clISt17integral_constantIbLb1EES1U_EEDaS1P_S1Q_EUlS1P_E_NS1_11comp_targetILNS1_3genE3ELNS1_11target_archE908ELNS1_3gpuE7ELNS1_3repE0EEENS1_30default_config_static_selectorELNS0_4arch9wavefront6targetE0EEEvS12_
                                        ; -- End function
	.set _ZN7rocprim17ROCPRIM_400000_NS6detail17trampoline_kernelINS0_13select_configILj256ELj13ELNS0_17block_load_methodE3ELS4_3ELS4_3ELNS0_20block_scan_algorithmE0ELj4294967295EEENS1_25partition_config_selectorILNS1_17partition_subalgoE4EjNS0_10empty_typeEbEEZZNS1_14partition_implILS8_4ELb0ES6_15HIP_vector_typeIjLj2EENS0_17counting_iteratorIjlEEPS9_SG_NS0_5tupleIJPjSI_NS0_16reverse_iteratorISI_EEEEENSH_IJSG_SG_SG_EEES9_SI_JZNS1_25segmented_radix_sort_implINS0_14default_configELb1EPKhPhPKlPlN2at6native12_GLOBAL__N_18offset_tEEE10hipError_tPvRmT1_PNSt15iterator_traitsIS12_E10value_typeET2_T3_PNS13_IS18_E10value_typeET4_jRbjT5_S1E_jjP12ihipStream_tbEUljE_ZNSN_ISO_Lb1ESQ_SR_ST_SU_SY_EESZ_S10_S11_S12_S16_S17_S18_S1B_S1C_jS1D_jS1E_S1E_jjS1G_bEUljE0_EEESZ_S10_S11_S18_S1C_S1E_T6_T7_T9_mT8_S1G_bDpT10_ENKUlT_T0_E_clISt17integral_constantIbLb1EES1U_EEDaS1P_S1Q_EUlS1P_E_NS1_11comp_targetILNS1_3genE3ELNS1_11target_archE908ELNS1_3gpuE7ELNS1_3repE0EEENS1_30default_config_static_selectorELNS0_4arch9wavefront6targetE0EEEvS12_.num_vgpr, 0
	.set _ZN7rocprim17ROCPRIM_400000_NS6detail17trampoline_kernelINS0_13select_configILj256ELj13ELNS0_17block_load_methodE3ELS4_3ELS4_3ELNS0_20block_scan_algorithmE0ELj4294967295EEENS1_25partition_config_selectorILNS1_17partition_subalgoE4EjNS0_10empty_typeEbEEZZNS1_14partition_implILS8_4ELb0ES6_15HIP_vector_typeIjLj2EENS0_17counting_iteratorIjlEEPS9_SG_NS0_5tupleIJPjSI_NS0_16reverse_iteratorISI_EEEEENSH_IJSG_SG_SG_EEES9_SI_JZNS1_25segmented_radix_sort_implINS0_14default_configELb1EPKhPhPKlPlN2at6native12_GLOBAL__N_18offset_tEEE10hipError_tPvRmT1_PNSt15iterator_traitsIS12_E10value_typeET2_T3_PNS13_IS18_E10value_typeET4_jRbjT5_S1E_jjP12ihipStream_tbEUljE_ZNSN_ISO_Lb1ESQ_SR_ST_SU_SY_EESZ_S10_S11_S12_S16_S17_S18_S1B_S1C_jS1D_jS1E_S1E_jjS1G_bEUljE0_EEESZ_S10_S11_S18_S1C_S1E_T6_T7_T9_mT8_S1G_bDpT10_ENKUlT_T0_E_clISt17integral_constantIbLb1EES1U_EEDaS1P_S1Q_EUlS1P_E_NS1_11comp_targetILNS1_3genE3ELNS1_11target_archE908ELNS1_3gpuE7ELNS1_3repE0EEENS1_30default_config_static_selectorELNS0_4arch9wavefront6targetE0EEEvS12_.num_agpr, 0
	.set _ZN7rocprim17ROCPRIM_400000_NS6detail17trampoline_kernelINS0_13select_configILj256ELj13ELNS0_17block_load_methodE3ELS4_3ELS4_3ELNS0_20block_scan_algorithmE0ELj4294967295EEENS1_25partition_config_selectorILNS1_17partition_subalgoE4EjNS0_10empty_typeEbEEZZNS1_14partition_implILS8_4ELb0ES6_15HIP_vector_typeIjLj2EENS0_17counting_iteratorIjlEEPS9_SG_NS0_5tupleIJPjSI_NS0_16reverse_iteratorISI_EEEEENSH_IJSG_SG_SG_EEES9_SI_JZNS1_25segmented_radix_sort_implINS0_14default_configELb1EPKhPhPKlPlN2at6native12_GLOBAL__N_18offset_tEEE10hipError_tPvRmT1_PNSt15iterator_traitsIS12_E10value_typeET2_T3_PNS13_IS18_E10value_typeET4_jRbjT5_S1E_jjP12ihipStream_tbEUljE_ZNSN_ISO_Lb1ESQ_SR_ST_SU_SY_EESZ_S10_S11_S12_S16_S17_S18_S1B_S1C_jS1D_jS1E_S1E_jjS1G_bEUljE0_EEESZ_S10_S11_S18_S1C_S1E_T6_T7_T9_mT8_S1G_bDpT10_ENKUlT_T0_E_clISt17integral_constantIbLb1EES1U_EEDaS1P_S1Q_EUlS1P_E_NS1_11comp_targetILNS1_3genE3ELNS1_11target_archE908ELNS1_3gpuE7ELNS1_3repE0EEENS1_30default_config_static_selectorELNS0_4arch9wavefront6targetE0EEEvS12_.numbered_sgpr, 0
	.set _ZN7rocprim17ROCPRIM_400000_NS6detail17trampoline_kernelINS0_13select_configILj256ELj13ELNS0_17block_load_methodE3ELS4_3ELS4_3ELNS0_20block_scan_algorithmE0ELj4294967295EEENS1_25partition_config_selectorILNS1_17partition_subalgoE4EjNS0_10empty_typeEbEEZZNS1_14partition_implILS8_4ELb0ES6_15HIP_vector_typeIjLj2EENS0_17counting_iteratorIjlEEPS9_SG_NS0_5tupleIJPjSI_NS0_16reverse_iteratorISI_EEEEENSH_IJSG_SG_SG_EEES9_SI_JZNS1_25segmented_radix_sort_implINS0_14default_configELb1EPKhPhPKlPlN2at6native12_GLOBAL__N_18offset_tEEE10hipError_tPvRmT1_PNSt15iterator_traitsIS12_E10value_typeET2_T3_PNS13_IS18_E10value_typeET4_jRbjT5_S1E_jjP12ihipStream_tbEUljE_ZNSN_ISO_Lb1ESQ_SR_ST_SU_SY_EESZ_S10_S11_S12_S16_S17_S18_S1B_S1C_jS1D_jS1E_S1E_jjS1G_bEUljE0_EEESZ_S10_S11_S18_S1C_S1E_T6_T7_T9_mT8_S1G_bDpT10_ENKUlT_T0_E_clISt17integral_constantIbLb1EES1U_EEDaS1P_S1Q_EUlS1P_E_NS1_11comp_targetILNS1_3genE3ELNS1_11target_archE908ELNS1_3gpuE7ELNS1_3repE0EEENS1_30default_config_static_selectorELNS0_4arch9wavefront6targetE0EEEvS12_.num_named_barrier, 0
	.set _ZN7rocprim17ROCPRIM_400000_NS6detail17trampoline_kernelINS0_13select_configILj256ELj13ELNS0_17block_load_methodE3ELS4_3ELS4_3ELNS0_20block_scan_algorithmE0ELj4294967295EEENS1_25partition_config_selectorILNS1_17partition_subalgoE4EjNS0_10empty_typeEbEEZZNS1_14partition_implILS8_4ELb0ES6_15HIP_vector_typeIjLj2EENS0_17counting_iteratorIjlEEPS9_SG_NS0_5tupleIJPjSI_NS0_16reverse_iteratorISI_EEEEENSH_IJSG_SG_SG_EEES9_SI_JZNS1_25segmented_radix_sort_implINS0_14default_configELb1EPKhPhPKlPlN2at6native12_GLOBAL__N_18offset_tEEE10hipError_tPvRmT1_PNSt15iterator_traitsIS12_E10value_typeET2_T3_PNS13_IS18_E10value_typeET4_jRbjT5_S1E_jjP12ihipStream_tbEUljE_ZNSN_ISO_Lb1ESQ_SR_ST_SU_SY_EESZ_S10_S11_S12_S16_S17_S18_S1B_S1C_jS1D_jS1E_S1E_jjS1G_bEUljE0_EEESZ_S10_S11_S18_S1C_S1E_T6_T7_T9_mT8_S1G_bDpT10_ENKUlT_T0_E_clISt17integral_constantIbLb1EES1U_EEDaS1P_S1Q_EUlS1P_E_NS1_11comp_targetILNS1_3genE3ELNS1_11target_archE908ELNS1_3gpuE7ELNS1_3repE0EEENS1_30default_config_static_selectorELNS0_4arch9wavefront6targetE0EEEvS12_.private_seg_size, 0
	.set _ZN7rocprim17ROCPRIM_400000_NS6detail17trampoline_kernelINS0_13select_configILj256ELj13ELNS0_17block_load_methodE3ELS4_3ELS4_3ELNS0_20block_scan_algorithmE0ELj4294967295EEENS1_25partition_config_selectorILNS1_17partition_subalgoE4EjNS0_10empty_typeEbEEZZNS1_14partition_implILS8_4ELb0ES6_15HIP_vector_typeIjLj2EENS0_17counting_iteratorIjlEEPS9_SG_NS0_5tupleIJPjSI_NS0_16reverse_iteratorISI_EEEEENSH_IJSG_SG_SG_EEES9_SI_JZNS1_25segmented_radix_sort_implINS0_14default_configELb1EPKhPhPKlPlN2at6native12_GLOBAL__N_18offset_tEEE10hipError_tPvRmT1_PNSt15iterator_traitsIS12_E10value_typeET2_T3_PNS13_IS18_E10value_typeET4_jRbjT5_S1E_jjP12ihipStream_tbEUljE_ZNSN_ISO_Lb1ESQ_SR_ST_SU_SY_EESZ_S10_S11_S12_S16_S17_S18_S1B_S1C_jS1D_jS1E_S1E_jjS1G_bEUljE0_EEESZ_S10_S11_S18_S1C_S1E_T6_T7_T9_mT8_S1G_bDpT10_ENKUlT_T0_E_clISt17integral_constantIbLb1EES1U_EEDaS1P_S1Q_EUlS1P_E_NS1_11comp_targetILNS1_3genE3ELNS1_11target_archE908ELNS1_3gpuE7ELNS1_3repE0EEENS1_30default_config_static_selectorELNS0_4arch9wavefront6targetE0EEEvS12_.uses_vcc, 0
	.set _ZN7rocprim17ROCPRIM_400000_NS6detail17trampoline_kernelINS0_13select_configILj256ELj13ELNS0_17block_load_methodE3ELS4_3ELS4_3ELNS0_20block_scan_algorithmE0ELj4294967295EEENS1_25partition_config_selectorILNS1_17partition_subalgoE4EjNS0_10empty_typeEbEEZZNS1_14partition_implILS8_4ELb0ES6_15HIP_vector_typeIjLj2EENS0_17counting_iteratorIjlEEPS9_SG_NS0_5tupleIJPjSI_NS0_16reverse_iteratorISI_EEEEENSH_IJSG_SG_SG_EEES9_SI_JZNS1_25segmented_radix_sort_implINS0_14default_configELb1EPKhPhPKlPlN2at6native12_GLOBAL__N_18offset_tEEE10hipError_tPvRmT1_PNSt15iterator_traitsIS12_E10value_typeET2_T3_PNS13_IS18_E10value_typeET4_jRbjT5_S1E_jjP12ihipStream_tbEUljE_ZNSN_ISO_Lb1ESQ_SR_ST_SU_SY_EESZ_S10_S11_S12_S16_S17_S18_S1B_S1C_jS1D_jS1E_S1E_jjS1G_bEUljE0_EEESZ_S10_S11_S18_S1C_S1E_T6_T7_T9_mT8_S1G_bDpT10_ENKUlT_T0_E_clISt17integral_constantIbLb1EES1U_EEDaS1P_S1Q_EUlS1P_E_NS1_11comp_targetILNS1_3genE3ELNS1_11target_archE908ELNS1_3gpuE7ELNS1_3repE0EEENS1_30default_config_static_selectorELNS0_4arch9wavefront6targetE0EEEvS12_.uses_flat_scratch, 0
	.set _ZN7rocprim17ROCPRIM_400000_NS6detail17trampoline_kernelINS0_13select_configILj256ELj13ELNS0_17block_load_methodE3ELS4_3ELS4_3ELNS0_20block_scan_algorithmE0ELj4294967295EEENS1_25partition_config_selectorILNS1_17partition_subalgoE4EjNS0_10empty_typeEbEEZZNS1_14partition_implILS8_4ELb0ES6_15HIP_vector_typeIjLj2EENS0_17counting_iteratorIjlEEPS9_SG_NS0_5tupleIJPjSI_NS0_16reverse_iteratorISI_EEEEENSH_IJSG_SG_SG_EEES9_SI_JZNS1_25segmented_radix_sort_implINS0_14default_configELb1EPKhPhPKlPlN2at6native12_GLOBAL__N_18offset_tEEE10hipError_tPvRmT1_PNSt15iterator_traitsIS12_E10value_typeET2_T3_PNS13_IS18_E10value_typeET4_jRbjT5_S1E_jjP12ihipStream_tbEUljE_ZNSN_ISO_Lb1ESQ_SR_ST_SU_SY_EESZ_S10_S11_S12_S16_S17_S18_S1B_S1C_jS1D_jS1E_S1E_jjS1G_bEUljE0_EEESZ_S10_S11_S18_S1C_S1E_T6_T7_T9_mT8_S1G_bDpT10_ENKUlT_T0_E_clISt17integral_constantIbLb1EES1U_EEDaS1P_S1Q_EUlS1P_E_NS1_11comp_targetILNS1_3genE3ELNS1_11target_archE908ELNS1_3gpuE7ELNS1_3repE0EEENS1_30default_config_static_selectorELNS0_4arch9wavefront6targetE0EEEvS12_.has_dyn_sized_stack, 0
	.set _ZN7rocprim17ROCPRIM_400000_NS6detail17trampoline_kernelINS0_13select_configILj256ELj13ELNS0_17block_load_methodE3ELS4_3ELS4_3ELNS0_20block_scan_algorithmE0ELj4294967295EEENS1_25partition_config_selectorILNS1_17partition_subalgoE4EjNS0_10empty_typeEbEEZZNS1_14partition_implILS8_4ELb0ES6_15HIP_vector_typeIjLj2EENS0_17counting_iteratorIjlEEPS9_SG_NS0_5tupleIJPjSI_NS0_16reverse_iteratorISI_EEEEENSH_IJSG_SG_SG_EEES9_SI_JZNS1_25segmented_radix_sort_implINS0_14default_configELb1EPKhPhPKlPlN2at6native12_GLOBAL__N_18offset_tEEE10hipError_tPvRmT1_PNSt15iterator_traitsIS12_E10value_typeET2_T3_PNS13_IS18_E10value_typeET4_jRbjT5_S1E_jjP12ihipStream_tbEUljE_ZNSN_ISO_Lb1ESQ_SR_ST_SU_SY_EESZ_S10_S11_S12_S16_S17_S18_S1B_S1C_jS1D_jS1E_S1E_jjS1G_bEUljE0_EEESZ_S10_S11_S18_S1C_S1E_T6_T7_T9_mT8_S1G_bDpT10_ENKUlT_T0_E_clISt17integral_constantIbLb1EES1U_EEDaS1P_S1Q_EUlS1P_E_NS1_11comp_targetILNS1_3genE3ELNS1_11target_archE908ELNS1_3gpuE7ELNS1_3repE0EEENS1_30default_config_static_selectorELNS0_4arch9wavefront6targetE0EEEvS12_.has_recursion, 0
	.set _ZN7rocprim17ROCPRIM_400000_NS6detail17trampoline_kernelINS0_13select_configILj256ELj13ELNS0_17block_load_methodE3ELS4_3ELS4_3ELNS0_20block_scan_algorithmE0ELj4294967295EEENS1_25partition_config_selectorILNS1_17partition_subalgoE4EjNS0_10empty_typeEbEEZZNS1_14partition_implILS8_4ELb0ES6_15HIP_vector_typeIjLj2EENS0_17counting_iteratorIjlEEPS9_SG_NS0_5tupleIJPjSI_NS0_16reverse_iteratorISI_EEEEENSH_IJSG_SG_SG_EEES9_SI_JZNS1_25segmented_radix_sort_implINS0_14default_configELb1EPKhPhPKlPlN2at6native12_GLOBAL__N_18offset_tEEE10hipError_tPvRmT1_PNSt15iterator_traitsIS12_E10value_typeET2_T3_PNS13_IS18_E10value_typeET4_jRbjT5_S1E_jjP12ihipStream_tbEUljE_ZNSN_ISO_Lb1ESQ_SR_ST_SU_SY_EESZ_S10_S11_S12_S16_S17_S18_S1B_S1C_jS1D_jS1E_S1E_jjS1G_bEUljE0_EEESZ_S10_S11_S18_S1C_S1E_T6_T7_T9_mT8_S1G_bDpT10_ENKUlT_T0_E_clISt17integral_constantIbLb1EES1U_EEDaS1P_S1Q_EUlS1P_E_NS1_11comp_targetILNS1_3genE3ELNS1_11target_archE908ELNS1_3gpuE7ELNS1_3repE0EEENS1_30default_config_static_selectorELNS0_4arch9wavefront6targetE0EEEvS12_.has_indirect_call, 0
	.section	.AMDGPU.csdata,"",@progbits
; Kernel info:
; codeLenInByte = 0
; TotalNumSgprs: 0
; NumVgprs: 0
; ScratchSize: 0
; MemoryBound: 0
; FloatMode: 240
; IeeeMode: 1
; LDSByteSize: 0 bytes/workgroup (compile time only)
; SGPRBlocks: 0
; VGPRBlocks: 0
; NumSGPRsForWavesPerEU: 1
; NumVGPRsForWavesPerEU: 1
; NamedBarCnt: 0
; Occupancy: 16
; WaveLimiterHint : 0
; COMPUTE_PGM_RSRC2:SCRATCH_EN: 0
; COMPUTE_PGM_RSRC2:USER_SGPR: 2
; COMPUTE_PGM_RSRC2:TRAP_HANDLER: 0
; COMPUTE_PGM_RSRC2:TGID_X_EN: 1
; COMPUTE_PGM_RSRC2:TGID_Y_EN: 0
; COMPUTE_PGM_RSRC2:TGID_Z_EN: 0
; COMPUTE_PGM_RSRC2:TIDIG_COMP_CNT: 0
	.section	.text._ZN7rocprim17ROCPRIM_400000_NS6detail17trampoline_kernelINS0_13select_configILj256ELj13ELNS0_17block_load_methodE3ELS4_3ELS4_3ELNS0_20block_scan_algorithmE0ELj4294967295EEENS1_25partition_config_selectorILNS1_17partition_subalgoE4EjNS0_10empty_typeEbEEZZNS1_14partition_implILS8_4ELb0ES6_15HIP_vector_typeIjLj2EENS0_17counting_iteratorIjlEEPS9_SG_NS0_5tupleIJPjSI_NS0_16reverse_iteratorISI_EEEEENSH_IJSG_SG_SG_EEES9_SI_JZNS1_25segmented_radix_sort_implINS0_14default_configELb1EPKhPhPKlPlN2at6native12_GLOBAL__N_18offset_tEEE10hipError_tPvRmT1_PNSt15iterator_traitsIS12_E10value_typeET2_T3_PNS13_IS18_E10value_typeET4_jRbjT5_S1E_jjP12ihipStream_tbEUljE_ZNSN_ISO_Lb1ESQ_SR_ST_SU_SY_EESZ_S10_S11_S12_S16_S17_S18_S1B_S1C_jS1D_jS1E_S1E_jjS1G_bEUljE0_EEESZ_S10_S11_S18_S1C_S1E_T6_T7_T9_mT8_S1G_bDpT10_ENKUlT_T0_E_clISt17integral_constantIbLb1EES1U_EEDaS1P_S1Q_EUlS1P_E_NS1_11comp_targetILNS1_3genE2ELNS1_11target_archE906ELNS1_3gpuE6ELNS1_3repE0EEENS1_30default_config_static_selectorELNS0_4arch9wavefront6targetE0EEEvS12_,"axG",@progbits,_ZN7rocprim17ROCPRIM_400000_NS6detail17trampoline_kernelINS0_13select_configILj256ELj13ELNS0_17block_load_methodE3ELS4_3ELS4_3ELNS0_20block_scan_algorithmE0ELj4294967295EEENS1_25partition_config_selectorILNS1_17partition_subalgoE4EjNS0_10empty_typeEbEEZZNS1_14partition_implILS8_4ELb0ES6_15HIP_vector_typeIjLj2EENS0_17counting_iteratorIjlEEPS9_SG_NS0_5tupleIJPjSI_NS0_16reverse_iteratorISI_EEEEENSH_IJSG_SG_SG_EEES9_SI_JZNS1_25segmented_radix_sort_implINS0_14default_configELb1EPKhPhPKlPlN2at6native12_GLOBAL__N_18offset_tEEE10hipError_tPvRmT1_PNSt15iterator_traitsIS12_E10value_typeET2_T3_PNS13_IS18_E10value_typeET4_jRbjT5_S1E_jjP12ihipStream_tbEUljE_ZNSN_ISO_Lb1ESQ_SR_ST_SU_SY_EESZ_S10_S11_S12_S16_S17_S18_S1B_S1C_jS1D_jS1E_S1E_jjS1G_bEUljE0_EEESZ_S10_S11_S18_S1C_S1E_T6_T7_T9_mT8_S1G_bDpT10_ENKUlT_T0_E_clISt17integral_constantIbLb1EES1U_EEDaS1P_S1Q_EUlS1P_E_NS1_11comp_targetILNS1_3genE2ELNS1_11target_archE906ELNS1_3gpuE6ELNS1_3repE0EEENS1_30default_config_static_selectorELNS0_4arch9wavefront6targetE0EEEvS12_,comdat
	.globl	_ZN7rocprim17ROCPRIM_400000_NS6detail17trampoline_kernelINS0_13select_configILj256ELj13ELNS0_17block_load_methodE3ELS4_3ELS4_3ELNS0_20block_scan_algorithmE0ELj4294967295EEENS1_25partition_config_selectorILNS1_17partition_subalgoE4EjNS0_10empty_typeEbEEZZNS1_14partition_implILS8_4ELb0ES6_15HIP_vector_typeIjLj2EENS0_17counting_iteratorIjlEEPS9_SG_NS0_5tupleIJPjSI_NS0_16reverse_iteratorISI_EEEEENSH_IJSG_SG_SG_EEES9_SI_JZNS1_25segmented_radix_sort_implINS0_14default_configELb1EPKhPhPKlPlN2at6native12_GLOBAL__N_18offset_tEEE10hipError_tPvRmT1_PNSt15iterator_traitsIS12_E10value_typeET2_T3_PNS13_IS18_E10value_typeET4_jRbjT5_S1E_jjP12ihipStream_tbEUljE_ZNSN_ISO_Lb1ESQ_SR_ST_SU_SY_EESZ_S10_S11_S12_S16_S17_S18_S1B_S1C_jS1D_jS1E_S1E_jjS1G_bEUljE0_EEESZ_S10_S11_S18_S1C_S1E_T6_T7_T9_mT8_S1G_bDpT10_ENKUlT_T0_E_clISt17integral_constantIbLb1EES1U_EEDaS1P_S1Q_EUlS1P_E_NS1_11comp_targetILNS1_3genE2ELNS1_11target_archE906ELNS1_3gpuE6ELNS1_3repE0EEENS1_30default_config_static_selectorELNS0_4arch9wavefront6targetE0EEEvS12_ ; -- Begin function _ZN7rocprim17ROCPRIM_400000_NS6detail17trampoline_kernelINS0_13select_configILj256ELj13ELNS0_17block_load_methodE3ELS4_3ELS4_3ELNS0_20block_scan_algorithmE0ELj4294967295EEENS1_25partition_config_selectorILNS1_17partition_subalgoE4EjNS0_10empty_typeEbEEZZNS1_14partition_implILS8_4ELb0ES6_15HIP_vector_typeIjLj2EENS0_17counting_iteratorIjlEEPS9_SG_NS0_5tupleIJPjSI_NS0_16reverse_iteratorISI_EEEEENSH_IJSG_SG_SG_EEES9_SI_JZNS1_25segmented_radix_sort_implINS0_14default_configELb1EPKhPhPKlPlN2at6native12_GLOBAL__N_18offset_tEEE10hipError_tPvRmT1_PNSt15iterator_traitsIS12_E10value_typeET2_T3_PNS13_IS18_E10value_typeET4_jRbjT5_S1E_jjP12ihipStream_tbEUljE_ZNSN_ISO_Lb1ESQ_SR_ST_SU_SY_EESZ_S10_S11_S12_S16_S17_S18_S1B_S1C_jS1D_jS1E_S1E_jjS1G_bEUljE0_EEESZ_S10_S11_S18_S1C_S1E_T6_T7_T9_mT8_S1G_bDpT10_ENKUlT_T0_E_clISt17integral_constantIbLb1EES1U_EEDaS1P_S1Q_EUlS1P_E_NS1_11comp_targetILNS1_3genE2ELNS1_11target_archE906ELNS1_3gpuE6ELNS1_3repE0EEENS1_30default_config_static_selectorELNS0_4arch9wavefront6targetE0EEEvS12_
	.p2align	8
	.type	_ZN7rocprim17ROCPRIM_400000_NS6detail17trampoline_kernelINS0_13select_configILj256ELj13ELNS0_17block_load_methodE3ELS4_3ELS4_3ELNS0_20block_scan_algorithmE0ELj4294967295EEENS1_25partition_config_selectorILNS1_17partition_subalgoE4EjNS0_10empty_typeEbEEZZNS1_14partition_implILS8_4ELb0ES6_15HIP_vector_typeIjLj2EENS0_17counting_iteratorIjlEEPS9_SG_NS0_5tupleIJPjSI_NS0_16reverse_iteratorISI_EEEEENSH_IJSG_SG_SG_EEES9_SI_JZNS1_25segmented_radix_sort_implINS0_14default_configELb1EPKhPhPKlPlN2at6native12_GLOBAL__N_18offset_tEEE10hipError_tPvRmT1_PNSt15iterator_traitsIS12_E10value_typeET2_T3_PNS13_IS18_E10value_typeET4_jRbjT5_S1E_jjP12ihipStream_tbEUljE_ZNSN_ISO_Lb1ESQ_SR_ST_SU_SY_EESZ_S10_S11_S12_S16_S17_S18_S1B_S1C_jS1D_jS1E_S1E_jjS1G_bEUljE0_EEESZ_S10_S11_S18_S1C_S1E_T6_T7_T9_mT8_S1G_bDpT10_ENKUlT_T0_E_clISt17integral_constantIbLb1EES1U_EEDaS1P_S1Q_EUlS1P_E_NS1_11comp_targetILNS1_3genE2ELNS1_11target_archE906ELNS1_3gpuE6ELNS1_3repE0EEENS1_30default_config_static_selectorELNS0_4arch9wavefront6targetE0EEEvS12_,@function
_ZN7rocprim17ROCPRIM_400000_NS6detail17trampoline_kernelINS0_13select_configILj256ELj13ELNS0_17block_load_methodE3ELS4_3ELS4_3ELNS0_20block_scan_algorithmE0ELj4294967295EEENS1_25partition_config_selectorILNS1_17partition_subalgoE4EjNS0_10empty_typeEbEEZZNS1_14partition_implILS8_4ELb0ES6_15HIP_vector_typeIjLj2EENS0_17counting_iteratorIjlEEPS9_SG_NS0_5tupleIJPjSI_NS0_16reverse_iteratorISI_EEEEENSH_IJSG_SG_SG_EEES9_SI_JZNS1_25segmented_radix_sort_implINS0_14default_configELb1EPKhPhPKlPlN2at6native12_GLOBAL__N_18offset_tEEE10hipError_tPvRmT1_PNSt15iterator_traitsIS12_E10value_typeET2_T3_PNS13_IS18_E10value_typeET4_jRbjT5_S1E_jjP12ihipStream_tbEUljE_ZNSN_ISO_Lb1ESQ_SR_ST_SU_SY_EESZ_S10_S11_S12_S16_S17_S18_S1B_S1C_jS1D_jS1E_S1E_jjS1G_bEUljE0_EEESZ_S10_S11_S18_S1C_S1E_T6_T7_T9_mT8_S1G_bDpT10_ENKUlT_T0_E_clISt17integral_constantIbLb1EES1U_EEDaS1P_S1Q_EUlS1P_E_NS1_11comp_targetILNS1_3genE2ELNS1_11target_archE906ELNS1_3gpuE6ELNS1_3repE0EEENS1_30default_config_static_selectorELNS0_4arch9wavefront6targetE0EEEvS12_: ; @_ZN7rocprim17ROCPRIM_400000_NS6detail17trampoline_kernelINS0_13select_configILj256ELj13ELNS0_17block_load_methodE3ELS4_3ELS4_3ELNS0_20block_scan_algorithmE0ELj4294967295EEENS1_25partition_config_selectorILNS1_17partition_subalgoE4EjNS0_10empty_typeEbEEZZNS1_14partition_implILS8_4ELb0ES6_15HIP_vector_typeIjLj2EENS0_17counting_iteratorIjlEEPS9_SG_NS0_5tupleIJPjSI_NS0_16reverse_iteratorISI_EEEEENSH_IJSG_SG_SG_EEES9_SI_JZNS1_25segmented_radix_sort_implINS0_14default_configELb1EPKhPhPKlPlN2at6native12_GLOBAL__N_18offset_tEEE10hipError_tPvRmT1_PNSt15iterator_traitsIS12_E10value_typeET2_T3_PNS13_IS18_E10value_typeET4_jRbjT5_S1E_jjP12ihipStream_tbEUljE_ZNSN_ISO_Lb1ESQ_SR_ST_SU_SY_EESZ_S10_S11_S12_S16_S17_S18_S1B_S1C_jS1D_jS1E_S1E_jjS1G_bEUljE0_EEESZ_S10_S11_S18_S1C_S1E_T6_T7_T9_mT8_S1G_bDpT10_ENKUlT_T0_E_clISt17integral_constantIbLb1EES1U_EEDaS1P_S1Q_EUlS1P_E_NS1_11comp_targetILNS1_3genE2ELNS1_11target_archE906ELNS1_3gpuE6ELNS1_3repE0EEENS1_30default_config_static_selectorELNS0_4arch9wavefront6targetE0EEEvS12_
; %bb.0:
	.section	.rodata,"a",@progbits
	.p2align	6, 0x0
	.amdhsa_kernel _ZN7rocprim17ROCPRIM_400000_NS6detail17trampoline_kernelINS0_13select_configILj256ELj13ELNS0_17block_load_methodE3ELS4_3ELS4_3ELNS0_20block_scan_algorithmE0ELj4294967295EEENS1_25partition_config_selectorILNS1_17partition_subalgoE4EjNS0_10empty_typeEbEEZZNS1_14partition_implILS8_4ELb0ES6_15HIP_vector_typeIjLj2EENS0_17counting_iteratorIjlEEPS9_SG_NS0_5tupleIJPjSI_NS0_16reverse_iteratorISI_EEEEENSH_IJSG_SG_SG_EEES9_SI_JZNS1_25segmented_radix_sort_implINS0_14default_configELb1EPKhPhPKlPlN2at6native12_GLOBAL__N_18offset_tEEE10hipError_tPvRmT1_PNSt15iterator_traitsIS12_E10value_typeET2_T3_PNS13_IS18_E10value_typeET4_jRbjT5_S1E_jjP12ihipStream_tbEUljE_ZNSN_ISO_Lb1ESQ_SR_ST_SU_SY_EESZ_S10_S11_S12_S16_S17_S18_S1B_S1C_jS1D_jS1E_S1E_jjS1G_bEUljE0_EEESZ_S10_S11_S18_S1C_S1E_T6_T7_T9_mT8_S1G_bDpT10_ENKUlT_T0_E_clISt17integral_constantIbLb1EES1U_EEDaS1P_S1Q_EUlS1P_E_NS1_11comp_targetILNS1_3genE2ELNS1_11target_archE906ELNS1_3gpuE6ELNS1_3repE0EEENS1_30default_config_static_selectorELNS0_4arch9wavefront6targetE0EEEvS12_
		.amdhsa_group_segment_fixed_size 0
		.amdhsa_private_segment_fixed_size 0
		.amdhsa_kernarg_size 184
		.amdhsa_user_sgpr_count 2
		.amdhsa_user_sgpr_dispatch_ptr 0
		.amdhsa_user_sgpr_queue_ptr 0
		.amdhsa_user_sgpr_kernarg_segment_ptr 1
		.amdhsa_user_sgpr_dispatch_id 0
		.amdhsa_user_sgpr_kernarg_preload_length 0
		.amdhsa_user_sgpr_kernarg_preload_offset 0
		.amdhsa_user_sgpr_private_segment_size 0
		.amdhsa_wavefront_size32 1
		.amdhsa_uses_dynamic_stack 0
		.amdhsa_enable_private_segment 0
		.amdhsa_system_sgpr_workgroup_id_x 1
		.amdhsa_system_sgpr_workgroup_id_y 0
		.amdhsa_system_sgpr_workgroup_id_z 0
		.amdhsa_system_sgpr_workgroup_info 0
		.amdhsa_system_vgpr_workitem_id 0
		.amdhsa_next_free_vgpr 1
		.amdhsa_next_free_sgpr 1
		.amdhsa_named_barrier_count 0
		.amdhsa_reserve_vcc 0
		.amdhsa_float_round_mode_32 0
		.amdhsa_float_round_mode_16_64 0
		.amdhsa_float_denorm_mode_32 3
		.amdhsa_float_denorm_mode_16_64 3
		.amdhsa_fp16_overflow 0
		.amdhsa_memory_ordered 1
		.amdhsa_forward_progress 1
		.amdhsa_inst_pref_size 0
		.amdhsa_round_robin_scheduling 0
		.amdhsa_exception_fp_ieee_invalid_op 0
		.amdhsa_exception_fp_denorm_src 0
		.amdhsa_exception_fp_ieee_div_zero 0
		.amdhsa_exception_fp_ieee_overflow 0
		.amdhsa_exception_fp_ieee_underflow 0
		.amdhsa_exception_fp_ieee_inexact 0
		.amdhsa_exception_int_div_zero 0
	.end_amdhsa_kernel
	.section	.text._ZN7rocprim17ROCPRIM_400000_NS6detail17trampoline_kernelINS0_13select_configILj256ELj13ELNS0_17block_load_methodE3ELS4_3ELS4_3ELNS0_20block_scan_algorithmE0ELj4294967295EEENS1_25partition_config_selectorILNS1_17partition_subalgoE4EjNS0_10empty_typeEbEEZZNS1_14partition_implILS8_4ELb0ES6_15HIP_vector_typeIjLj2EENS0_17counting_iteratorIjlEEPS9_SG_NS0_5tupleIJPjSI_NS0_16reverse_iteratorISI_EEEEENSH_IJSG_SG_SG_EEES9_SI_JZNS1_25segmented_radix_sort_implINS0_14default_configELb1EPKhPhPKlPlN2at6native12_GLOBAL__N_18offset_tEEE10hipError_tPvRmT1_PNSt15iterator_traitsIS12_E10value_typeET2_T3_PNS13_IS18_E10value_typeET4_jRbjT5_S1E_jjP12ihipStream_tbEUljE_ZNSN_ISO_Lb1ESQ_SR_ST_SU_SY_EESZ_S10_S11_S12_S16_S17_S18_S1B_S1C_jS1D_jS1E_S1E_jjS1G_bEUljE0_EEESZ_S10_S11_S18_S1C_S1E_T6_T7_T9_mT8_S1G_bDpT10_ENKUlT_T0_E_clISt17integral_constantIbLb1EES1U_EEDaS1P_S1Q_EUlS1P_E_NS1_11comp_targetILNS1_3genE2ELNS1_11target_archE906ELNS1_3gpuE6ELNS1_3repE0EEENS1_30default_config_static_selectorELNS0_4arch9wavefront6targetE0EEEvS12_,"axG",@progbits,_ZN7rocprim17ROCPRIM_400000_NS6detail17trampoline_kernelINS0_13select_configILj256ELj13ELNS0_17block_load_methodE3ELS4_3ELS4_3ELNS0_20block_scan_algorithmE0ELj4294967295EEENS1_25partition_config_selectorILNS1_17partition_subalgoE4EjNS0_10empty_typeEbEEZZNS1_14partition_implILS8_4ELb0ES6_15HIP_vector_typeIjLj2EENS0_17counting_iteratorIjlEEPS9_SG_NS0_5tupleIJPjSI_NS0_16reverse_iteratorISI_EEEEENSH_IJSG_SG_SG_EEES9_SI_JZNS1_25segmented_radix_sort_implINS0_14default_configELb1EPKhPhPKlPlN2at6native12_GLOBAL__N_18offset_tEEE10hipError_tPvRmT1_PNSt15iterator_traitsIS12_E10value_typeET2_T3_PNS13_IS18_E10value_typeET4_jRbjT5_S1E_jjP12ihipStream_tbEUljE_ZNSN_ISO_Lb1ESQ_SR_ST_SU_SY_EESZ_S10_S11_S12_S16_S17_S18_S1B_S1C_jS1D_jS1E_S1E_jjS1G_bEUljE0_EEESZ_S10_S11_S18_S1C_S1E_T6_T7_T9_mT8_S1G_bDpT10_ENKUlT_T0_E_clISt17integral_constantIbLb1EES1U_EEDaS1P_S1Q_EUlS1P_E_NS1_11comp_targetILNS1_3genE2ELNS1_11target_archE906ELNS1_3gpuE6ELNS1_3repE0EEENS1_30default_config_static_selectorELNS0_4arch9wavefront6targetE0EEEvS12_,comdat
.Lfunc_end25:
	.size	_ZN7rocprim17ROCPRIM_400000_NS6detail17trampoline_kernelINS0_13select_configILj256ELj13ELNS0_17block_load_methodE3ELS4_3ELS4_3ELNS0_20block_scan_algorithmE0ELj4294967295EEENS1_25partition_config_selectorILNS1_17partition_subalgoE4EjNS0_10empty_typeEbEEZZNS1_14partition_implILS8_4ELb0ES6_15HIP_vector_typeIjLj2EENS0_17counting_iteratorIjlEEPS9_SG_NS0_5tupleIJPjSI_NS0_16reverse_iteratorISI_EEEEENSH_IJSG_SG_SG_EEES9_SI_JZNS1_25segmented_radix_sort_implINS0_14default_configELb1EPKhPhPKlPlN2at6native12_GLOBAL__N_18offset_tEEE10hipError_tPvRmT1_PNSt15iterator_traitsIS12_E10value_typeET2_T3_PNS13_IS18_E10value_typeET4_jRbjT5_S1E_jjP12ihipStream_tbEUljE_ZNSN_ISO_Lb1ESQ_SR_ST_SU_SY_EESZ_S10_S11_S12_S16_S17_S18_S1B_S1C_jS1D_jS1E_S1E_jjS1G_bEUljE0_EEESZ_S10_S11_S18_S1C_S1E_T6_T7_T9_mT8_S1G_bDpT10_ENKUlT_T0_E_clISt17integral_constantIbLb1EES1U_EEDaS1P_S1Q_EUlS1P_E_NS1_11comp_targetILNS1_3genE2ELNS1_11target_archE906ELNS1_3gpuE6ELNS1_3repE0EEENS1_30default_config_static_selectorELNS0_4arch9wavefront6targetE0EEEvS12_, .Lfunc_end25-_ZN7rocprim17ROCPRIM_400000_NS6detail17trampoline_kernelINS0_13select_configILj256ELj13ELNS0_17block_load_methodE3ELS4_3ELS4_3ELNS0_20block_scan_algorithmE0ELj4294967295EEENS1_25partition_config_selectorILNS1_17partition_subalgoE4EjNS0_10empty_typeEbEEZZNS1_14partition_implILS8_4ELb0ES6_15HIP_vector_typeIjLj2EENS0_17counting_iteratorIjlEEPS9_SG_NS0_5tupleIJPjSI_NS0_16reverse_iteratorISI_EEEEENSH_IJSG_SG_SG_EEES9_SI_JZNS1_25segmented_radix_sort_implINS0_14default_configELb1EPKhPhPKlPlN2at6native12_GLOBAL__N_18offset_tEEE10hipError_tPvRmT1_PNSt15iterator_traitsIS12_E10value_typeET2_T3_PNS13_IS18_E10value_typeET4_jRbjT5_S1E_jjP12ihipStream_tbEUljE_ZNSN_ISO_Lb1ESQ_SR_ST_SU_SY_EESZ_S10_S11_S12_S16_S17_S18_S1B_S1C_jS1D_jS1E_S1E_jjS1G_bEUljE0_EEESZ_S10_S11_S18_S1C_S1E_T6_T7_T9_mT8_S1G_bDpT10_ENKUlT_T0_E_clISt17integral_constantIbLb1EES1U_EEDaS1P_S1Q_EUlS1P_E_NS1_11comp_targetILNS1_3genE2ELNS1_11target_archE906ELNS1_3gpuE6ELNS1_3repE0EEENS1_30default_config_static_selectorELNS0_4arch9wavefront6targetE0EEEvS12_
                                        ; -- End function
	.set _ZN7rocprim17ROCPRIM_400000_NS6detail17trampoline_kernelINS0_13select_configILj256ELj13ELNS0_17block_load_methodE3ELS4_3ELS4_3ELNS0_20block_scan_algorithmE0ELj4294967295EEENS1_25partition_config_selectorILNS1_17partition_subalgoE4EjNS0_10empty_typeEbEEZZNS1_14partition_implILS8_4ELb0ES6_15HIP_vector_typeIjLj2EENS0_17counting_iteratorIjlEEPS9_SG_NS0_5tupleIJPjSI_NS0_16reverse_iteratorISI_EEEEENSH_IJSG_SG_SG_EEES9_SI_JZNS1_25segmented_radix_sort_implINS0_14default_configELb1EPKhPhPKlPlN2at6native12_GLOBAL__N_18offset_tEEE10hipError_tPvRmT1_PNSt15iterator_traitsIS12_E10value_typeET2_T3_PNS13_IS18_E10value_typeET4_jRbjT5_S1E_jjP12ihipStream_tbEUljE_ZNSN_ISO_Lb1ESQ_SR_ST_SU_SY_EESZ_S10_S11_S12_S16_S17_S18_S1B_S1C_jS1D_jS1E_S1E_jjS1G_bEUljE0_EEESZ_S10_S11_S18_S1C_S1E_T6_T7_T9_mT8_S1G_bDpT10_ENKUlT_T0_E_clISt17integral_constantIbLb1EES1U_EEDaS1P_S1Q_EUlS1P_E_NS1_11comp_targetILNS1_3genE2ELNS1_11target_archE906ELNS1_3gpuE6ELNS1_3repE0EEENS1_30default_config_static_selectorELNS0_4arch9wavefront6targetE0EEEvS12_.num_vgpr, 0
	.set _ZN7rocprim17ROCPRIM_400000_NS6detail17trampoline_kernelINS0_13select_configILj256ELj13ELNS0_17block_load_methodE3ELS4_3ELS4_3ELNS0_20block_scan_algorithmE0ELj4294967295EEENS1_25partition_config_selectorILNS1_17partition_subalgoE4EjNS0_10empty_typeEbEEZZNS1_14partition_implILS8_4ELb0ES6_15HIP_vector_typeIjLj2EENS0_17counting_iteratorIjlEEPS9_SG_NS0_5tupleIJPjSI_NS0_16reverse_iteratorISI_EEEEENSH_IJSG_SG_SG_EEES9_SI_JZNS1_25segmented_radix_sort_implINS0_14default_configELb1EPKhPhPKlPlN2at6native12_GLOBAL__N_18offset_tEEE10hipError_tPvRmT1_PNSt15iterator_traitsIS12_E10value_typeET2_T3_PNS13_IS18_E10value_typeET4_jRbjT5_S1E_jjP12ihipStream_tbEUljE_ZNSN_ISO_Lb1ESQ_SR_ST_SU_SY_EESZ_S10_S11_S12_S16_S17_S18_S1B_S1C_jS1D_jS1E_S1E_jjS1G_bEUljE0_EEESZ_S10_S11_S18_S1C_S1E_T6_T7_T9_mT8_S1G_bDpT10_ENKUlT_T0_E_clISt17integral_constantIbLb1EES1U_EEDaS1P_S1Q_EUlS1P_E_NS1_11comp_targetILNS1_3genE2ELNS1_11target_archE906ELNS1_3gpuE6ELNS1_3repE0EEENS1_30default_config_static_selectorELNS0_4arch9wavefront6targetE0EEEvS12_.num_agpr, 0
	.set _ZN7rocprim17ROCPRIM_400000_NS6detail17trampoline_kernelINS0_13select_configILj256ELj13ELNS0_17block_load_methodE3ELS4_3ELS4_3ELNS0_20block_scan_algorithmE0ELj4294967295EEENS1_25partition_config_selectorILNS1_17partition_subalgoE4EjNS0_10empty_typeEbEEZZNS1_14partition_implILS8_4ELb0ES6_15HIP_vector_typeIjLj2EENS0_17counting_iteratorIjlEEPS9_SG_NS0_5tupleIJPjSI_NS0_16reverse_iteratorISI_EEEEENSH_IJSG_SG_SG_EEES9_SI_JZNS1_25segmented_radix_sort_implINS0_14default_configELb1EPKhPhPKlPlN2at6native12_GLOBAL__N_18offset_tEEE10hipError_tPvRmT1_PNSt15iterator_traitsIS12_E10value_typeET2_T3_PNS13_IS18_E10value_typeET4_jRbjT5_S1E_jjP12ihipStream_tbEUljE_ZNSN_ISO_Lb1ESQ_SR_ST_SU_SY_EESZ_S10_S11_S12_S16_S17_S18_S1B_S1C_jS1D_jS1E_S1E_jjS1G_bEUljE0_EEESZ_S10_S11_S18_S1C_S1E_T6_T7_T9_mT8_S1G_bDpT10_ENKUlT_T0_E_clISt17integral_constantIbLb1EES1U_EEDaS1P_S1Q_EUlS1P_E_NS1_11comp_targetILNS1_3genE2ELNS1_11target_archE906ELNS1_3gpuE6ELNS1_3repE0EEENS1_30default_config_static_selectorELNS0_4arch9wavefront6targetE0EEEvS12_.numbered_sgpr, 0
	.set _ZN7rocprim17ROCPRIM_400000_NS6detail17trampoline_kernelINS0_13select_configILj256ELj13ELNS0_17block_load_methodE3ELS4_3ELS4_3ELNS0_20block_scan_algorithmE0ELj4294967295EEENS1_25partition_config_selectorILNS1_17partition_subalgoE4EjNS0_10empty_typeEbEEZZNS1_14partition_implILS8_4ELb0ES6_15HIP_vector_typeIjLj2EENS0_17counting_iteratorIjlEEPS9_SG_NS0_5tupleIJPjSI_NS0_16reverse_iteratorISI_EEEEENSH_IJSG_SG_SG_EEES9_SI_JZNS1_25segmented_radix_sort_implINS0_14default_configELb1EPKhPhPKlPlN2at6native12_GLOBAL__N_18offset_tEEE10hipError_tPvRmT1_PNSt15iterator_traitsIS12_E10value_typeET2_T3_PNS13_IS18_E10value_typeET4_jRbjT5_S1E_jjP12ihipStream_tbEUljE_ZNSN_ISO_Lb1ESQ_SR_ST_SU_SY_EESZ_S10_S11_S12_S16_S17_S18_S1B_S1C_jS1D_jS1E_S1E_jjS1G_bEUljE0_EEESZ_S10_S11_S18_S1C_S1E_T6_T7_T9_mT8_S1G_bDpT10_ENKUlT_T0_E_clISt17integral_constantIbLb1EES1U_EEDaS1P_S1Q_EUlS1P_E_NS1_11comp_targetILNS1_3genE2ELNS1_11target_archE906ELNS1_3gpuE6ELNS1_3repE0EEENS1_30default_config_static_selectorELNS0_4arch9wavefront6targetE0EEEvS12_.num_named_barrier, 0
	.set _ZN7rocprim17ROCPRIM_400000_NS6detail17trampoline_kernelINS0_13select_configILj256ELj13ELNS0_17block_load_methodE3ELS4_3ELS4_3ELNS0_20block_scan_algorithmE0ELj4294967295EEENS1_25partition_config_selectorILNS1_17partition_subalgoE4EjNS0_10empty_typeEbEEZZNS1_14partition_implILS8_4ELb0ES6_15HIP_vector_typeIjLj2EENS0_17counting_iteratorIjlEEPS9_SG_NS0_5tupleIJPjSI_NS0_16reverse_iteratorISI_EEEEENSH_IJSG_SG_SG_EEES9_SI_JZNS1_25segmented_radix_sort_implINS0_14default_configELb1EPKhPhPKlPlN2at6native12_GLOBAL__N_18offset_tEEE10hipError_tPvRmT1_PNSt15iterator_traitsIS12_E10value_typeET2_T3_PNS13_IS18_E10value_typeET4_jRbjT5_S1E_jjP12ihipStream_tbEUljE_ZNSN_ISO_Lb1ESQ_SR_ST_SU_SY_EESZ_S10_S11_S12_S16_S17_S18_S1B_S1C_jS1D_jS1E_S1E_jjS1G_bEUljE0_EEESZ_S10_S11_S18_S1C_S1E_T6_T7_T9_mT8_S1G_bDpT10_ENKUlT_T0_E_clISt17integral_constantIbLb1EES1U_EEDaS1P_S1Q_EUlS1P_E_NS1_11comp_targetILNS1_3genE2ELNS1_11target_archE906ELNS1_3gpuE6ELNS1_3repE0EEENS1_30default_config_static_selectorELNS0_4arch9wavefront6targetE0EEEvS12_.private_seg_size, 0
	.set _ZN7rocprim17ROCPRIM_400000_NS6detail17trampoline_kernelINS0_13select_configILj256ELj13ELNS0_17block_load_methodE3ELS4_3ELS4_3ELNS0_20block_scan_algorithmE0ELj4294967295EEENS1_25partition_config_selectorILNS1_17partition_subalgoE4EjNS0_10empty_typeEbEEZZNS1_14partition_implILS8_4ELb0ES6_15HIP_vector_typeIjLj2EENS0_17counting_iteratorIjlEEPS9_SG_NS0_5tupleIJPjSI_NS0_16reverse_iteratorISI_EEEEENSH_IJSG_SG_SG_EEES9_SI_JZNS1_25segmented_radix_sort_implINS0_14default_configELb1EPKhPhPKlPlN2at6native12_GLOBAL__N_18offset_tEEE10hipError_tPvRmT1_PNSt15iterator_traitsIS12_E10value_typeET2_T3_PNS13_IS18_E10value_typeET4_jRbjT5_S1E_jjP12ihipStream_tbEUljE_ZNSN_ISO_Lb1ESQ_SR_ST_SU_SY_EESZ_S10_S11_S12_S16_S17_S18_S1B_S1C_jS1D_jS1E_S1E_jjS1G_bEUljE0_EEESZ_S10_S11_S18_S1C_S1E_T6_T7_T9_mT8_S1G_bDpT10_ENKUlT_T0_E_clISt17integral_constantIbLb1EES1U_EEDaS1P_S1Q_EUlS1P_E_NS1_11comp_targetILNS1_3genE2ELNS1_11target_archE906ELNS1_3gpuE6ELNS1_3repE0EEENS1_30default_config_static_selectorELNS0_4arch9wavefront6targetE0EEEvS12_.uses_vcc, 0
	.set _ZN7rocprim17ROCPRIM_400000_NS6detail17trampoline_kernelINS0_13select_configILj256ELj13ELNS0_17block_load_methodE3ELS4_3ELS4_3ELNS0_20block_scan_algorithmE0ELj4294967295EEENS1_25partition_config_selectorILNS1_17partition_subalgoE4EjNS0_10empty_typeEbEEZZNS1_14partition_implILS8_4ELb0ES6_15HIP_vector_typeIjLj2EENS0_17counting_iteratorIjlEEPS9_SG_NS0_5tupleIJPjSI_NS0_16reverse_iteratorISI_EEEEENSH_IJSG_SG_SG_EEES9_SI_JZNS1_25segmented_radix_sort_implINS0_14default_configELb1EPKhPhPKlPlN2at6native12_GLOBAL__N_18offset_tEEE10hipError_tPvRmT1_PNSt15iterator_traitsIS12_E10value_typeET2_T3_PNS13_IS18_E10value_typeET4_jRbjT5_S1E_jjP12ihipStream_tbEUljE_ZNSN_ISO_Lb1ESQ_SR_ST_SU_SY_EESZ_S10_S11_S12_S16_S17_S18_S1B_S1C_jS1D_jS1E_S1E_jjS1G_bEUljE0_EEESZ_S10_S11_S18_S1C_S1E_T6_T7_T9_mT8_S1G_bDpT10_ENKUlT_T0_E_clISt17integral_constantIbLb1EES1U_EEDaS1P_S1Q_EUlS1P_E_NS1_11comp_targetILNS1_3genE2ELNS1_11target_archE906ELNS1_3gpuE6ELNS1_3repE0EEENS1_30default_config_static_selectorELNS0_4arch9wavefront6targetE0EEEvS12_.uses_flat_scratch, 0
	.set _ZN7rocprim17ROCPRIM_400000_NS6detail17trampoline_kernelINS0_13select_configILj256ELj13ELNS0_17block_load_methodE3ELS4_3ELS4_3ELNS0_20block_scan_algorithmE0ELj4294967295EEENS1_25partition_config_selectorILNS1_17partition_subalgoE4EjNS0_10empty_typeEbEEZZNS1_14partition_implILS8_4ELb0ES6_15HIP_vector_typeIjLj2EENS0_17counting_iteratorIjlEEPS9_SG_NS0_5tupleIJPjSI_NS0_16reverse_iteratorISI_EEEEENSH_IJSG_SG_SG_EEES9_SI_JZNS1_25segmented_radix_sort_implINS0_14default_configELb1EPKhPhPKlPlN2at6native12_GLOBAL__N_18offset_tEEE10hipError_tPvRmT1_PNSt15iterator_traitsIS12_E10value_typeET2_T3_PNS13_IS18_E10value_typeET4_jRbjT5_S1E_jjP12ihipStream_tbEUljE_ZNSN_ISO_Lb1ESQ_SR_ST_SU_SY_EESZ_S10_S11_S12_S16_S17_S18_S1B_S1C_jS1D_jS1E_S1E_jjS1G_bEUljE0_EEESZ_S10_S11_S18_S1C_S1E_T6_T7_T9_mT8_S1G_bDpT10_ENKUlT_T0_E_clISt17integral_constantIbLb1EES1U_EEDaS1P_S1Q_EUlS1P_E_NS1_11comp_targetILNS1_3genE2ELNS1_11target_archE906ELNS1_3gpuE6ELNS1_3repE0EEENS1_30default_config_static_selectorELNS0_4arch9wavefront6targetE0EEEvS12_.has_dyn_sized_stack, 0
	.set _ZN7rocprim17ROCPRIM_400000_NS6detail17trampoline_kernelINS0_13select_configILj256ELj13ELNS0_17block_load_methodE3ELS4_3ELS4_3ELNS0_20block_scan_algorithmE0ELj4294967295EEENS1_25partition_config_selectorILNS1_17partition_subalgoE4EjNS0_10empty_typeEbEEZZNS1_14partition_implILS8_4ELb0ES6_15HIP_vector_typeIjLj2EENS0_17counting_iteratorIjlEEPS9_SG_NS0_5tupleIJPjSI_NS0_16reverse_iteratorISI_EEEEENSH_IJSG_SG_SG_EEES9_SI_JZNS1_25segmented_radix_sort_implINS0_14default_configELb1EPKhPhPKlPlN2at6native12_GLOBAL__N_18offset_tEEE10hipError_tPvRmT1_PNSt15iterator_traitsIS12_E10value_typeET2_T3_PNS13_IS18_E10value_typeET4_jRbjT5_S1E_jjP12ihipStream_tbEUljE_ZNSN_ISO_Lb1ESQ_SR_ST_SU_SY_EESZ_S10_S11_S12_S16_S17_S18_S1B_S1C_jS1D_jS1E_S1E_jjS1G_bEUljE0_EEESZ_S10_S11_S18_S1C_S1E_T6_T7_T9_mT8_S1G_bDpT10_ENKUlT_T0_E_clISt17integral_constantIbLb1EES1U_EEDaS1P_S1Q_EUlS1P_E_NS1_11comp_targetILNS1_3genE2ELNS1_11target_archE906ELNS1_3gpuE6ELNS1_3repE0EEENS1_30default_config_static_selectorELNS0_4arch9wavefront6targetE0EEEvS12_.has_recursion, 0
	.set _ZN7rocprim17ROCPRIM_400000_NS6detail17trampoline_kernelINS0_13select_configILj256ELj13ELNS0_17block_load_methodE3ELS4_3ELS4_3ELNS0_20block_scan_algorithmE0ELj4294967295EEENS1_25partition_config_selectorILNS1_17partition_subalgoE4EjNS0_10empty_typeEbEEZZNS1_14partition_implILS8_4ELb0ES6_15HIP_vector_typeIjLj2EENS0_17counting_iteratorIjlEEPS9_SG_NS0_5tupleIJPjSI_NS0_16reverse_iteratorISI_EEEEENSH_IJSG_SG_SG_EEES9_SI_JZNS1_25segmented_radix_sort_implINS0_14default_configELb1EPKhPhPKlPlN2at6native12_GLOBAL__N_18offset_tEEE10hipError_tPvRmT1_PNSt15iterator_traitsIS12_E10value_typeET2_T3_PNS13_IS18_E10value_typeET4_jRbjT5_S1E_jjP12ihipStream_tbEUljE_ZNSN_ISO_Lb1ESQ_SR_ST_SU_SY_EESZ_S10_S11_S12_S16_S17_S18_S1B_S1C_jS1D_jS1E_S1E_jjS1G_bEUljE0_EEESZ_S10_S11_S18_S1C_S1E_T6_T7_T9_mT8_S1G_bDpT10_ENKUlT_T0_E_clISt17integral_constantIbLb1EES1U_EEDaS1P_S1Q_EUlS1P_E_NS1_11comp_targetILNS1_3genE2ELNS1_11target_archE906ELNS1_3gpuE6ELNS1_3repE0EEENS1_30default_config_static_selectorELNS0_4arch9wavefront6targetE0EEEvS12_.has_indirect_call, 0
	.section	.AMDGPU.csdata,"",@progbits
; Kernel info:
; codeLenInByte = 0
; TotalNumSgprs: 0
; NumVgprs: 0
; ScratchSize: 0
; MemoryBound: 0
; FloatMode: 240
; IeeeMode: 1
; LDSByteSize: 0 bytes/workgroup (compile time only)
; SGPRBlocks: 0
; VGPRBlocks: 0
; NumSGPRsForWavesPerEU: 1
; NumVGPRsForWavesPerEU: 1
; NamedBarCnt: 0
; Occupancy: 16
; WaveLimiterHint : 0
; COMPUTE_PGM_RSRC2:SCRATCH_EN: 0
; COMPUTE_PGM_RSRC2:USER_SGPR: 2
; COMPUTE_PGM_RSRC2:TRAP_HANDLER: 0
; COMPUTE_PGM_RSRC2:TGID_X_EN: 1
; COMPUTE_PGM_RSRC2:TGID_Y_EN: 0
; COMPUTE_PGM_RSRC2:TGID_Z_EN: 0
; COMPUTE_PGM_RSRC2:TIDIG_COMP_CNT: 0
	.section	.text._ZN7rocprim17ROCPRIM_400000_NS6detail17trampoline_kernelINS0_13select_configILj256ELj13ELNS0_17block_load_methodE3ELS4_3ELS4_3ELNS0_20block_scan_algorithmE0ELj4294967295EEENS1_25partition_config_selectorILNS1_17partition_subalgoE4EjNS0_10empty_typeEbEEZZNS1_14partition_implILS8_4ELb0ES6_15HIP_vector_typeIjLj2EENS0_17counting_iteratorIjlEEPS9_SG_NS0_5tupleIJPjSI_NS0_16reverse_iteratorISI_EEEEENSH_IJSG_SG_SG_EEES9_SI_JZNS1_25segmented_radix_sort_implINS0_14default_configELb1EPKhPhPKlPlN2at6native12_GLOBAL__N_18offset_tEEE10hipError_tPvRmT1_PNSt15iterator_traitsIS12_E10value_typeET2_T3_PNS13_IS18_E10value_typeET4_jRbjT5_S1E_jjP12ihipStream_tbEUljE_ZNSN_ISO_Lb1ESQ_SR_ST_SU_SY_EESZ_S10_S11_S12_S16_S17_S18_S1B_S1C_jS1D_jS1E_S1E_jjS1G_bEUljE0_EEESZ_S10_S11_S18_S1C_S1E_T6_T7_T9_mT8_S1G_bDpT10_ENKUlT_T0_E_clISt17integral_constantIbLb1EES1U_EEDaS1P_S1Q_EUlS1P_E_NS1_11comp_targetILNS1_3genE10ELNS1_11target_archE1200ELNS1_3gpuE4ELNS1_3repE0EEENS1_30default_config_static_selectorELNS0_4arch9wavefront6targetE0EEEvS12_,"axG",@progbits,_ZN7rocprim17ROCPRIM_400000_NS6detail17trampoline_kernelINS0_13select_configILj256ELj13ELNS0_17block_load_methodE3ELS4_3ELS4_3ELNS0_20block_scan_algorithmE0ELj4294967295EEENS1_25partition_config_selectorILNS1_17partition_subalgoE4EjNS0_10empty_typeEbEEZZNS1_14partition_implILS8_4ELb0ES6_15HIP_vector_typeIjLj2EENS0_17counting_iteratorIjlEEPS9_SG_NS0_5tupleIJPjSI_NS0_16reverse_iteratorISI_EEEEENSH_IJSG_SG_SG_EEES9_SI_JZNS1_25segmented_radix_sort_implINS0_14default_configELb1EPKhPhPKlPlN2at6native12_GLOBAL__N_18offset_tEEE10hipError_tPvRmT1_PNSt15iterator_traitsIS12_E10value_typeET2_T3_PNS13_IS18_E10value_typeET4_jRbjT5_S1E_jjP12ihipStream_tbEUljE_ZNSN_ISO_Lb1ESQ_SR_ST_SU_SY_EESZ_S10_S11_S12_S16_S17_S18_S1B_S1C_jS1D_jS1E_S1E_jjS1G_bEUljE0_EEESZ_S10_S11_S18_S1C_S1E_T6_T7_T9_mT8_S1G_bDpT10_ENKUlT_T0_E_clISt17integral_constantIbLb1EES1U_EEDaS1P_S1Q_EUlS1P_E_NS1_11comp_targetILNS1_3genE10ELNS1_11target_archE1200ELNS1_3gpuE4ELNS1_3repE0EEENS1_30default_config_static_selectorELNS0_4arch9wavefront6targetE0EEEvS12_,comdat
	.globl	_ZN7rocprim17ROCPRIM_400000_NS6detail17trampoline_kernelINS0_13select_configILj256ELj13ELNS0_17block_load_methodE3ELS4_3ELS4_3ELNS0_20block_scan_algorithmE0ELj4294967295EEENS1_25partition_config_selectorILNS1_17partition_subalgoE4EjNS0_10empty_typeEbEEZZNS1_14partition_implILS8_4ELb0ES6_15HIP_vector_typeIjLj2EENS0_17counting_iteratorIjlEEPS9_SG_NS0_5tupleIJPjSI_NS0_16reverse_iteratorISI_EEEEENSH_IJSG_SG_SG_EEES9_SI_JZNS1_25segmented_radix_sort_implINS0_14default_configELb1EPKhPhPKlPlN2at6native12_GLOBAL__N_18offset_tEEE10hipError_tPvRmT1_PNSt15iterator_traitsIS12_E10value_typeET2_T3_PNS13_IS18_E10value_typeET4_jRbjT5_S1E_jjP12ihipStream_tbEUljE_ZNSN_ISO_Lb1ESQ_SR_ST_SU_SY_EESZ_S10_S11_S12_S16_S17_S18_S1B_S1C_jS1D_jS1E_S1E_jjS1G_bEUljE0_EEESZ_S10_S11_S18_S1C_S1E_T6_T7_T9_mT8_S1G_bDpT10_ENKUlT_T0_E_clISt17integral_constantIbLb1EES1U_EEDaS1P_S1Q_EUlS1P_E_NS1_11comp_targetILNS1_3genE10ELNS1_11target_archE1200ELNS1_3gpuE4ELNS1_3repE0EEENS1_30default_config_static_selectorELNS0_4arch9wavefront6targetE0EEEvS12_ ; -- Begin function _ZN7rocprim17ROCPRIM_400000_NS6detail17trampoline_kernelINS0_13select_configILj256ELj13ELNS0_17block_load_methodE3ELS4_3ELS4_3ELNS0_20block_scan_algorithmE0ELj4294967295EEENS1_25partition_config_selectorILNS1_17partition_subalgoE4EjNS0_10empty_typeEbEEZZNS1_14partition_implILS8_4ELb0ES6_15HIP_vector_typeIjLj2EENS0_17counting_iteratorIjlEEPS9_SG_NS0_5tupleIJPjSI_NS0_16reverse_iteratorISI_EEEEENSH_IJSG_SG_SG_EEES9_SI_JZNS1_25segmented_radix_sort_implINS0_14default_configELb1EPKhPhPKlPlN2at6native12_GLOBAL__N_18offset_tEEE10hipError_tPvRmT1_PNSt15iterator_traitsIS12_E10value_typeET2_T3_PNS13_IS18_E10value_typeET4_jRbjT5_S1E_jjP12ihipStream_tbEUljE_ZNSN_ISO_Lb1ESQ_SR_ST_SU_SY_EESZ_S10_S11_S12_S16_S17_S18_S1B_S1C_jS1D_jS1E_S1E_jjS1G_bEUljE0_EEESZ_S10_S11_S18_S1C_S1E_T6_T7_T9_mT8_S1G_bDpT10_ENKUlT_T0_E_clISt17integral_constantIbLb1EES1U_EEDaS1P_S1Q_EUlS1P_E_NS1_11comp_targetILNS1_3genE10ELNS1_11target_archE1200ELNS1_3gpuE4ELNS1_3repE0EEENS1_30default_config_static_selectorELNS0_4arch9wavefront6targetE0EEEvS12_
	.p2align	8
	.type	_ZN7rocprim17ROCPRIM_400000_NS6detail17trampoline_kernelINS0_13select_configILj256ELj13ELNS0_17block_load_methodE3ELS4_3ELS4_3ELNS0_20block_scan_algorithmE0ELj4294967295EEENS1_25partition_config_selectorILNS1_17partition_subalgoE4EjNS0_10empty_typeEbEEZZNS1_14partition_implILS8_4ELb0ES6_15HIP_vector_typeIjLj2EENS0_17counting_iteratorIjlEEPS9_SG_NS0_5tupleIJPjSI_NS0_16reverse_iteratorISI_EEEEENSH_IJSG_SG_SG_EEES9_SI_JZNS1_25segmented_radix_sort_implINS0_14default_configELb1EPKhPhPKlPlN2at6native12_GLOBAL__N_18offset_tEEE10hipError_tPvRmT1_PNSt15iterator_traitsIS12_E10value_typeET2_T3_PNS13_IS18_E10value_typeET4_jRbjT5_S1E_jjP12ihipStream_tbEUljE_ZNSN_ISO_Lb1ESQ_SR_ST_SU_SY_EESZ_S10_S11_S12_S16_S17_S18_S1B_S1C_jS1D_jS1E_S1E_jjS1G_bEUljE0_EEESZ_S10_S11_S18_S1C_S1E_T6_T7_T9_mT8_S1G_bDpT10_ENKUlT_T0_E_clISt17integral_constantIbLb1EES1U_EEDaS1P_S1Q_EUlS1P_E_NS1_11comp_targetILNS1_3genE10ELNS1_11target_archE1200ELNS1_3gpuE4ELNS1_3repE0EEENS1_30default_config_static_selectorELNS0_4arch9wavefront6targetE0EEEvS12_,@function
_ZN7rocprim17ROCPRIM_400000_NS6detail17trampoline_kernelINS0_13select_configILj256ELj13ELNS0_17block_load_methodE3ELS4_3ELS4_3ELNS0_20block_scan_algorithmE0ELj4294967295EEENS1_25partition_config_selectorILNS1_17partition_subalgoE4EjNS0_10empty_typeEbEEZZNS1_14partition_implILS8_4ELb0ES6_15HIP_vector_typeIjLj2EENS0_17counting_iteratorIjlEEPS9_SG_NS0_5tupleIJPjSI_NS0_16reverse_iteratorISI_EEEEENSH_IJSG_SG_SG_EEES9_SI_JZNS1_25segmented_radix_sort_implINS0_14default_configELb1EPKhPhPKlPlN2at6native12_GLOBAL__N_18offset_tEEE10hipError_tPvRmT1_PNSt15iterator_traitsIS12_E10value_typeET2_T3_PNS13_IS18_E10value_typeET4_jRbjT5_S1E_jjP12ihipStream_tbEUljE_ZNSN_ISO_Lb1ESQ_SR_ST_SU_SY_EESZ_S10_S11_S12_S16_S17_S18_S1B_S1C_jS1D_jS1E_S1E_jjS1G_bEUljE0_EEESZ_S10_S11_S18_S1C_S1E_T6_T7_T9_mT8_S1G_bDpT10_ENKUlT_T0_E_clISt17integral_constantIbLb1EES1U_EEDaS1P_S1Q_EUlS1P_E_NS1_11comp_targetILNS1_3genE10ELNS1_11target_archE1200ELNS1_3gpuE4ELNS1_3repE0EEENS1_30default_config_static_selectorELNS0_4arch9wavefront6targetE0EEEvS12_: ; @_ZN7rocprim17ROCPRIM_400000_NS6detail17trampoline_kernelINS0_13select_configILj256ELj13ELNS0_17block_load_methodE3ELS4_3ELS4_3ELNS0_20block_scan_algorithmE0ELj4294967295EEENS1_25partition_config_selectorILNS1_17partition_subalgoE4EjNS0_10empty_typeEbEEZZNS1_14partition_implILS8_4ELb0ES6_15HIP_vector_typeIjLj2EENS0_17counting_iteratorIjlEEPS9_SG_NS0_5tupleIJPjSI_NS0_16reverse_iteratorISI_EEEEENSH_IJSG_SG_SG_EEES9_SI_JZNS1_25segmented_radix_sort_implINS0_14default_configELb1EPKhPhPKlPlN2at6native12_GLOBAL__N_18offset_tEEE10hipError_tPvRmT1_PNSt15iterator_traitsIS12_E10value_typeET2_T3_PNS13_IS18_E10value_typeET4_jRbjT5_S1E_jjP12ihipStream_tbEUljE_ZNSN_ISO_Lb1ESQ_SR_ST_SU_SY_EESZ_S10_S11_S12_S16_S17_S18_S1B_S1C_jS1D_jS1E_S1E_jjS1G_bEUljE0_EEESZ_S10_S11_S18_S1C_S1E_T6_T7_T9_mT8_S1G_bDpT10_ENKUlT_T0_E_clISt17integral_constantIbLb1EES1U_EEDaS1P_S1Q_EUlS1P_E_NS1_11comp_targetILNS1_3genE10ELNS1_11target_archE1200ELNS1_3gpuE4ELNS1_3repE0EEENS1_30default_config_static_selectorELNS0_4arch9wavefront6targetE0EEEvS12_
; %bb.0:
	.section	.rodata,"a",@progbits
	.p2align	6, 0x0
	.amdhsa_kernel _ZN7rocprim17ROCPRIM_400000_NS6detail17trampoline_kernelINS0_13select_configILj256ELj13ELNS0_17block_load_methodE3ELS4_3ELS4_3ELNS0_20block_scan_algorithmE0ELj4294967295EEENS1_25partition_config_selectorILNS1_17partition_subalgoE4EjNS0_10empty_typeEbEEZZNS1_14partition_implILS8_4ELb0ES6_15HIP_vector_typeIjLj2EENS0_17counting_iteratorIjlEEPS9_SG_NS0_5tupleIJPjSI_NS0_16reverse_iteratorISI_EEEEENSH_IJSG_SG_SG_EEES9_SI_JZNS1_25segmented_radix_sort_implINS0_14default_configELb1EPKhPhPKlPlN2at6native12_GLOBAL__N_18offset_tEEE10hipError_tPvRmT1_PNSt15iterator_traitsIS12_E10value_typeET2_T3_PNS13_IS18_E10value_typeET4_jRbjT5_S1E_jjP12ihipStream_tbEUljE_ZNSN_ISO_Lb1ESQ_SR_ST_SU_SY_EESZ_S10_S11_S12_S16_S17_S18_S1B_S1C_jS1D_jS1E_S1E_jjS1G_bEUljE0_EEESZ_S10_S11_S18_S1C_S1E_T6_T7_T9_mT8_S1G_bDpT10_ENKUlT_T0_E_clISt17integral_constantIbLb1EES1U_EEDaS1P_S1Q_EUlS1P_E_NS1_11comp_targetILNS1_3genE10ELNS1_11target_archE1200ELNS1_3gpuE4ELNS1_3repE0EEENS1_30default_config_static_selectorELNS0_4arch9wavefront6targetE0EEEvS12_
		.amdhsa_group_segment_fixed_size 0
		.amdhsa_private_segment_fixed_size 0
		.amdhsa_kernarg_size 184
		.amdhsa_user_sgpr_count 2
		.amdhsa_user_sgpr_dispatch_ptr 0
		.amdhsa_user_sgpr_queue_ptr 0
		.amdhsa_user_sgpr_kernarg_segment_ptr 1
		.amdhsa_user_sgpr_dispatch_id 0
		.amdhsa_user_sgpr_kernarg_preload_length 0
		.amdhsa_user_sgpr_kernarg_preload_offset 0
		.amdhsa_user_sgpr_private_segment_size 0
		.amdhsa_wavefront_size32 1
		.amdhsa_uses_dynamic_stack 0
		.amdhsa_enable_private_segment 0
		.amdhsa_system_sgpr_workgroup_id_x 1
		.amdhsa_system_sgpr_workgroup_id_y 0
		.amdhsa_system_sgpr_workgroup_id_z 0
		.amdhsa_system_sgpr_workgroup_info 0
		.amdhsa_system_vgpr_workitem_id 0
		.amdhsa_next_free_vgpr 1
		.amdhsa_next_free_sgpr 1
		.amdhsa_named_barrier_count 0
		.amdhsa_reserve_vcc 0
		.amdhsa_float_round_mode_32 0
		.amdhsa_float_round_mode_16_64 0
		.amdhsa_float_denorm_mode_32 3
		.amdhsa_float_denorm_mode_16_64 3
		.amdhsa_fp16_overflow 0
		.amdhsa_memory_ordered 1
		.amdhsa_forward_progress 1
		.amdhsa_inst_pref_size 0
		.amdhsa_round_robin_scheduling 0
		.amdhsa_exception_fp_ieee_invalid_op 0
		.amdhsa_exception_fp_denorm_src 0
		.amdhsa_exception_fp_ieee_div_zero 0
		.amdhsa_exception_fp_ieee_overflow 0
		.amdhsa_exception_fp_ieee_underflow 0
		.amdhsa_exception_fp_ieee_inexact 0
		.amdhsa_exception_int_div_zero 0
	.end_amdhsa_kernel
	.section	.text._ZN7rocprim17ROCPRIM_400000_NS6detail17trampoline_kernelINS0_13select_configILj256ELj13ELNS0_17block_load_methodE3ELS4_3ELS4_3ELNS0_20block_scan_algorithmE0ELj4294967295EEENS1_25partition_config_selectorILNS1_17partition_subalgoE4EjNS0_10empty_typeEbEEZZNS1_14partition_implILS8_4ELb0ES6_15HIP_vector_typeIjLj2EENS0_17counting_iteratorIjlEEPS9_SG_NS0_5tupleIJPjSI_NS0_16reverse_iteratorISI_EEEEENSH_IJSG_SG_SG_EEES9_SI_JZNS1_25segmented_radix_sort_implINS0_14default_configELb1EPKhPhPKlPlN2at6native12_GLOBAL__N_18offset_tEEE10hipError_tPvRmT1_PNSt15iterator_traitsIS12_E10value_typeET2_T3_PNS13_IS18_E10value_typeET4_jRbjT5_S1E_jjP12ihipStream_tbEUljE_ZNSN_ISO_Lb1ESQ_SR_ST_SU_SY_EESZ_S10_S11_S12_S16_S17_S18_S1B_S1C_jS1D_jS1E_S1E_jjS1G_bEUljE0_EEESZ_S10_S11_S18_S1C_S1E_T6_T7_T9_mT8_S1G_bDpT10_ENKUlT_T0_E_clISt17integral_constantIbLb1EES1U_EEDaS1P_S1Q_EUlS1P_E_NS1_11comp_targetILNS1_3genE10ELNS1_11target_archE1200ELNS1_3gpuE4ELNS1_3repE0EEENS1_30default_config_static_selectorELNS0_4arch9wavefront6targetE0EEEvS12_,"axG",@progbits,_ZN7rocprim17ROCPRIM_400000_NS6detail17trampoline_kernelINS0_13select_configILj256ELj13ELNS0_17block_load_methodE3ELS4_3ELS4_3ELNS0_20block_scan_algorithmE0ELj4294967295EEENS1_25partition_config_selectorILNS1_17partition_subalgoE4EjNS0_10empty_typeEbEEZZNS1_14partition_implILS8_4ELb0ES6_15HIP_vector_typeIjLj2EENS0_17counting_iteratorIjlEEPS9_SG_NS0_5tupleIJPjSI_NS0_16reverse_iteratorISI_EEEEENSH_IJSG_SG_SG_EEES9_SI_JZNS1_25segmented_radix_sort_implINS0_14default_configELb1EPKhPhPKlPlN2at6native12_GLOBAL__N_18offset_tEEE10hipError_tPvRmT1_PNSt15iterator_traitsIS12_E10value_typeET2_T3_PNS13_IS18_E10value_typeET4_jRbjT5_S1E_jjP12ihipStream_tbEUljE_ZNSN_ISO_Lb1ESQ_SR_ST_SU_SY_EESZ_S10_S11_S12_S16_S17_S18_S1B_S1C_jS1D_jS1E_S1E_jjS1G_bEUljE0_EEESZ_S10_S11_S18_S1C_S1E_T6_T7_T9_mT8_S1G_bDpT10_ENKUlT_T0_E_clISt17integral_constantIbLb1EES1U_EEDaS1P_S1Q_EUlS1P_E_NS1_11comp_targetILNS1_3genE10ELNS1_11target_archE1200ELNS1_3gpuE4ELNS1_3repE0EEENS1_30default_config_static_selectorELNS0_4arch9wavefront6targetE0EEEvS12_,comdat
.Lfunc_end26:
	.size	_ZN7rocprim17ROCPRIM_400000_NS6detail17trampoline_kernelINS0_13select_configILj256ELj13ELNS0_17block_load_methodE3ELS4_3ELS4_3ELNS0_20block_scan_algorithmE0ELj4294967295EEENS1_25partition_config_selectorILNS1_17partition_subalgoE4EjNS0_10empty_typeEbEEZZNS1_14partition_implILS8_4ELb0ES6_15HIP_vector_typeIjLj2EENS0_17counting_iteratorIjlEEPS9_SG_NS0_5tupleIJPjSI_NS0_16reverse_iteratorISI_EEEEENSH_IJSG_SG_SG_EEES9_SI_JZNS1_25segmented_radix_sort_implINS0_14default_configELb1EPKhPhPKlPlN2at6native12_GLOBAL__N_18offset_tEEE10hipError_tPvRmT1_PNSt15iterator_traitsIS12_E10value_typeET2_T3_PNS13_IS18_E10value_typeET4_jRbjT5_S1E_jjP12ihipStream_tbEUljE_ZNSN_ISO_Lb1ESQ_SR_ST_SU_SY_EESZ_S10_S11_S12_S16_S17_S18_S1B_S1C_jS1D_jS1E_S1E_jjS1G_bEUljE0_EEESZ_S10_S11_S18_S1C_S1E_T6_T7_T9_mT8_S1G_bDpT10_ENKUlT_T0_E_clISt17integral_constantIbLb1EES1U_EEDaS1P_S1Q_EUlS1P_E_NS1_11comp_targetILNS1_3genE10ELNS1_11target_archE1200ELNS1_3gpuE4ELNS1_3repE0EEENS1_30default_config_static_selectorELNS0_4arch9wavefront6targetE0EEEvS12_, .Lfunc_end26-_ZN7rocprim17ROCPRIM_400000_NS6detail17trampoline_kernelINS0_13select_configILj256ELj13ELNS0_17block_load_methodE3ELS4_3ELS4_3ELNS0_20block_scan_algorithmE0ELj4294967295EEENS1_25partition_config_selectorILNS1_17partition_subalgoE4EjNS0_10empty_typeEbEEZZNS1_14partition_implILS8_4ELb0ES6_15HIP_vector_typeIjLj2EENS0_17counting_iteratorIjlEEPS9_SG_NS0_5tupleIJPjSI_NS0_16reverse_iteratorISI_EEEEENSH_IJSG_SG_SG_EEES9_SI_JZNS1_25segmented_radix_sort_implINS0_14default_configELb1EPKhPhPKlPlN2at6native12_GLOBAL__N_18offset_tEEE10hipError_tPvRmT1_PNSt15iterator_traitsIS12_E10value_typeET2_T3_PNS13_IS18_E10value_typeET4_jRbjT5_S1E_jjP12ihipStream_tbEUljE_ZNSN_ISO_Lb1ESQ_SR_ST_SU_SY_EESZ_S10_S11_S12_S16_S17_S18_S1B_S1C_jS1D_jS1E_S1E_jjS1G_bEUljE0_EEESZ_S10_S11_S18_S1C_S1E_T6_T7_T9_mT8_S1G_bDpT10_ENKUlT_T0_E_clISt17integral_constantIbLb1EES1U_EEDaS1P_S1Q_EUlS1P_E_NS1_11comp_targetILNS1_3genE10ELNS1_11target_archE1200ELNS1_3gpuE4ELNS1_3repE0EEENS1_30default_config_static_selectorELNS0_4arch9wavefront6targetE0EEEvS12_
                                        ; -- End function
	.set _ZN7rocprim17ROCPRIM_400000_NS6detail17trampoline_kernelINS0_13select_configILj256ELj13ELNS0_17block_load_methodE3ELS4_3ELS4_3ELNS0_20block_scan_algorithmE0ELj4294967295EEENS1_25partition_config_selectorILNS1_17partition_subalgoE4EjNS0_10empty_typeEbEEZZNS1_14partition_implILS8_4ELb0ES6_15HIP_vector_typeIjLj2EENS0_17counting_iteratorIjlEEPS9_SG_NS0_5tupleIJPjSI_NS0_16reverse_iteratorISI_EEEEENSH_IJSG_SG_SG_EEES9_SI_JZNS1_25segmented_radix_sort_implINS0_14default_configELb1EPKhPhPKlPlN2at6native12_GLOBAL__N_18offset_tEEE10hipError_tPvRmT1_PNSt15iterator_traitsIS12_E10value_typeET2_T3_PNS13_IS18_E10value_typeET4_jRbjT5_S1E_jjP12ihipStream_tbEUljE_ZNSN_ISO_Lb1ESQ_SR_ST_SU_SY_EESZ_S10_S11_S12_S16_S17_S18_S1B_S1C_jS1D_jS1E_S1E_jjS1G_bEUljE0_EEESZ_S10_S11_S18_S1C_S1E_T6_T7_T9_mT8_S1G_bDpT10_ENKUlT_T0_E_clISt17integral_constantIbLb1EES1U_EEDaS1P_S1Q_EUlS1P_E_NS1_11comp_targetILNS1_3genE10ELNS1_11target_archE1200ELNS1_3gpuE4ELNS1_3repE0EEENS1_30default_config_static_selectorELNS0_4arch9wavefront6targetE0EEEvS12_.num_vgpr, 0
	.set _ZN7rocprim17ROCPRIM_400000_NS6detail17trampoline_kernelINS0_13select_configILj256ELj13ELNS0_17block_load_methodE3ELS4_3ELS4_3ELNS0_20block_scan_algorithmE0ELj4294967295EEENS1_25partition_config_selectorILNS1_17partition_subalgoE4EjNS0_10empty_typeEbEEZZNS1_14partition_implILS8_4ELb0ES6_15HIP_vector_typeIjLj2EENS0_17counting_iteratorIjlEEPS9_SG_NS0_5tupleIJPjSI_NS0_16reverse_iteratorISI_EEEEENSH_IJSG_SG_SG_EEES9_SI_JZNS1_25segmented_radix_sort_implINS0_14default_configELb1EPKhPhPKlPlN2at6native12_GLOBAL__N_18offset_tEEE10hipError_tPvRmT1_PNSt15iterator_traitsIS12_E10value_typeET2_T3_PNS13_IS18_E10value_typeET4_jRbjT5_S1E_jjP12ihipStream_tbEUljE_ZNSN_ISO_Lb1ESQ_SR_ST_SU_SY_EESZ_S10_S11_S12_S16_S17_S18_S1B_S1C_jS1D_jS1E_S1E_jjS1G_bEUljE0_EEESZ_S10_S11_S18_S1C_S1E_T6_T7_T9_mT8_S1G_bDpT10_ENKUlT_T0_E_clISt17integral_constantIbLb1EES1U_EEDaS1P_S1Q_EUlS1P_E_NS1_11comp_targetILNS1_3genE10ELNS1_11target_archE1200ELNS1_3gpuE4ELNS1_3repE0EEENS1_30default_config_static_selectorELNS0_4arch9wavefront6targetE0EEEvS12_.num_agpr, 0
	.set _ZN7rocprim17ROCPRIM_400000_NS6detail17trampoline_kernelINS0_13select_configILj256ELj13ELNS0_17block_load_methodE3ELS4_3ELS4_3ELNS0_20block_scan_algorithmE0ELj4294967295EEENS1_25partition_config_selectorILNS1_17partition_subalgoE4EjNS0_10empty_typeEbEEZZNS1_14partition_implILS8_4ELb0ES6_15HIP_vector_typeIjLj2EENS0_17counting_iteratorIjlEEPS9_SG_NS0_5tupleIJPjSI_NS0_16reverse_iteratorISI_EEEEENSH_IJSG_SG_SG_EEES9_SI_JZNS1_25segmented_radix_sort_implINS0_14default_configELb1EPKhPhPKlPlN2at6native12_GLOBAL__N_18offset_tEEE10hipError_tPvRmT1_PNSt15iterator_traitsIS12_E10value_typeET2_T3_PNS13_IS18_E10value_typeET4_jRbjT5_S1E_jjP12ihipStream_tbEUljE_ZNSN_ISO_Lb1ESQ_SR_ST_SU_SY_EESZ_S10_S11_S12_S16_S17_S18_S1B_S1C_jS1D_jS1E_S1E_jjS1G_bEUljE0_EEESZ_S10_S11_S18_S1C_S1E_T6_T7_T9_mT8_S1G_bDpT10_ENKUlT_T0_E_clISt17integral_constantIbLb1EES1U_EEDaS1P_S1Q_EUlS1P_E_NS1_11comp_targetILNS1_3genE10ELNS1_11target_archE1200ELNS1_3gpuE4ELNS1_3repE0EEENS1_30default_config_static_selectorELNS0_4arch9wavefront6targetE0EEEvS12_.numbered_sgpr, 0
	.set _ZN7rocprim17ROCPRIM_400000_NS6detail17trampoline_kernelINS0_13select_configILj256ELj13ELNS0_17block_load_methodE3ELS4_3ELS4_3ELNS0_20block_scan_algorithmE0ELj4294967295EEENS1_25partition_config_selectorILNS1_17partition_subalgoE4EjNS0_10empty_typeEbEEZZNS1_14partition_implILS8_4ELb0ES6_15HIP_vector_typeIjLj2EENS0_17counting_iteratorIjlEEPS9_SG_NS0_5tupleIJPjSI_NS0_16reverse_iteratorISI_EEEEENSH_IJSG_SG_SG_EEES9_SI_JZNS1_25segmented_radix_sort_implINS0_14default_configELb1EPKhPhPKlPlN2at6native12_GLOBAL__N_18offset_tEEE10hipError_tPvRmT1_PNSt15iterator_traitsIS12_E10value_typeET2_T3_PNS13_IS18_E10value_typeET4_jRbjT5_S1E_jjP12ihipStream_tbEUljE_ZNSN_ISO_Lb1ESQ_SR_ST_SU_SY_EESZ_S10_S11_S12_S16_S17_S18_S1B_S1C_jS1D_jS1E_S1E_jjS1G_bEUljE0_EEESZ_S10_S11_S18_S1C_S1E_T6_T7_T9_mT8_S1G_bDpT10_ENKUlT_T0_E_clISt17integral_constantIbLb1EES1U_EEDaS1P_S1Q_EUlS1P_E_NS1_11comp_targetILNS1_3genE10ELNS1_11target_archE1200ELNS1_3gpuE4ELNS1_3repE0EEENS1_30default_config_static_selectorELNS0_4arch9wavefront6targetE0EEEvS12_.num_named_barrier, 0
	.set _ZN7rocprim17ROCPRIM_400000_NS6detail17trampoline_kernelINS0_13select_configILj256ELj13ELNS0_17block_load_methodE3ELS4_3ELS4_3ELNS0_20block_scan_algorithmE0ELj4294967295EEENS1_25partition_config_selectorILNS1_17partition_subalgoE4EjNS0_10empty_typeEbEEZZNS1_14partition_implILS8_4ELb0ES6_15HIP_vector_typeIjLj2EENS0_17counting_iteratorIjlEEPS9_SG_NS0_5tupleIJPjSI_NS0_16reverse_iteratorISI_EEEEENSH_IJSG_SG_SG_EEES9_SI_JZNS1_25segmented_radix_sort_implINS0_14default_configELb1EPKhPhPKlPlN2at6native12_GLOBAL__N_18offset_tEEE10hipError_tPvRmT1_PNSt15iterator_traitsIS12_E10value_typeET2_T3_PNS13_IS18_E10value_typeET4_jRbjT5_S1E_jjP12ihipStream_tbEUljE_ZNSN_ISO_Lb1ESQ_SR_ST_SU_SY_EESZ_S10_S11_S12_S16_S17_S18_S1B_S1C_jS1D_jS1E_S1E_jjS1G_bEUljE0_EEESZ_S10_S11_S18_S1C_S1E_T6_T7_T9_mT8_S1G_bDpT10_ENKUlT_T0_E_clISt17integral_constantIbLb1EES1U_EEDaS1P_S1Q_EUlS1P_E_NS1_11comp_targetILNS1_3genE10ELNS1_11target_archE1200ELNS1_3gpuE4ELNS1_3repE0EEENS1_30default_config_static_selectorELNS0_4arch9wavefront6targetE0EEEvS12_.private_seg_size, 0
	.set _ZN7rocprim17ROCPRIM_400000_NS6detail17trampoline_kernelINS0_13select_configILj256ELj13ELNS0_17block_load_methodE3ELS4_3ELS4_3ELNS0_20block_scan_algorithmE0ELj4294967295EEENS1_25partition_config_selectorILNS1_17partition_subalgoE4EjNS0_10empty_typeEbEEZZNS1_14partition_implILS8_4ELb0ES6_15HIP_vector_typeIjLj2EENS0_17counting_iteratorIjlEEPS9_SG_NS0_5tupleIJPjSI_NS0_16reverse_iteratorISI_EEEEENSH_IJSG_SG_SG_EEES9_SI_JZNS1_25segmented_radix_sort_implINS0_14default_configELb1EPKhPhPKlPlN2at6native12_GLOBAL__N_18offset_tEEE10hipError_tPvRmT1_PNSt15iterator_traitsIS12_E10value_typeET2_T3_PNS13_IS18_E10value_typeET4_jRbjT5_S1E_jjP12ihipStream_tbEUljE_ZNSN_ISO_Lb1ESQ_SR_ST_SU_SY_EESZ_S10_S11_S12_S16_S17_S18_S1B_S1C_jS1D_jS1E_S1E_jjS1G_bEUljE0_EEESZ_S10_S11_S18_S1C_S1E_T6_T7_T9_mT8_S1G_bDpT10_ENKUlT_T0_E_clISt17integral_constantIbLb1EES1U_EEDaS1P_S1Q_EUlS1P_E_NS1_11comp_targetILNS1_3genE10ELNS1_11target_archE1200ELNS1_3gpuE4ELNS1_3repE0EEENS1_30default_config_static_selectorELNS0_4arch9wavefront6targetE0EEEvS12_.uses_vcc, 0
	.set _ZN7rocprim17ROCPRIM_400000_NS6detail17trampoline_kernelINS0_13select_configILj256ELj13ELNS0_17block_load_methodE3ELS4_3ELS4_3ELNS0_20block_scan_algorithmE0ELj4294967295EEENS1_25partition_config_selectorILNS1_17partition_subalgoE4EjNS0_10empty_typeEbEEZZNS1_14partition_implILS8_4ELb0ES6_15HIP_vector_typeIjLj2EENS0_17counting_iteratorIjlEEPS9_SG_NS0_5tupleIJPjSI_NS0_16reverse_iteratorISI_EEEEENSH_IJSG_SG_SG_EEES9_SI_JZNS1_25segmented_radix_sort_implINS0_14default_configELb1EPKhPhPKlPlN2at6native12_GLOBAL__N_18offset_tEEE10hipError_tPvRmT1_PNSt15iterator_traitsIS12_E10value_typeET2_T3_PNS13_IS18_E10value_typeET4_jRbjT5_S1E_jjP12ihipStream_tbEUljE_ZNSN_ISO_Lb1ESQ_SR_ST_SU_SY_EESZ_S10_S11_S12_S16_S17_S18_S1B_S1C_jS1D_jS1E_S1E_jjS1G_bEUljE0_EEESZ_S10_S11_S18_S1C_S1E_T6_T7_T9_mT8_S1G_bDpT10_ENKUlT_T0_E_clISt17integral_constantIbLb1EES1U_EEDaS1P_S1Q_EUlS1P_E_NS1_11comp_targetILNS1_3genE10ELNS1_11target_archE1200ELNS1_3gpuE4ELNS1_3repE0EEENS1_30default_config_static_selectorELNS0_4arch9wavefront6targetE0EEEvS12_.uses_flat_scratch, 0
	.set _ZN7rocprim17ROCPRIM_400000_NS6detail17trampoline_kernelINS0_13select_configILj256ELj13ELNS0_17block_load_methodE3ELS4_3ELS4_3ELNS0_20block_scan_algorithmE0ELj4294967295EEENS1_25partition_config_selectorILNS1_17partition_subalgoE4EjNS0_10empty_typeEbEEZZNS1_14partition_implILS8_4ELb0ES6_15HIP_vector_typeIjLj2EENS0_17counting_iteratorIjlEEPS9_SG_NS0_5tupleIJPjSI_NS0_16reverse_iteratorISI_EEEEENSH_IJSG_SG_SG_EEES9_SI_JZNS1_25segmented_radix_sort_implINS0_14default_configELb1EPKhPhPKlPlN2at6native12_GLOBAL__N_18offset_tEEE10hipError_tPvRmT1_PNSt15iterator_traitsIS12_E10value_typeET2_T3_PNS13_IS18_E10value_typeET4_jRbjT5_S1E_jjP12ihipStream_tbEUljE_ZNSN_ISO_Lb1ESQ_SR_ST_SU_SY_EESZ_S10_S11_S12_S16_S17_S18_S1B_S1C_jS1D_jS1E_S1E_jjS1G_bEUljE0_EEESZ_S10_S11_S18_S1C_S1E_T6_T7_T9_mT8_S1G_bDpT10_ENKUlT_T0_E_clISt17integral_constantIbLb1EES1U_EEDaS1P_S1Q_EUlS1P_E_NS1_11comp_targetILNS1_3genE10ELNS1_11target_archE1200ELNS1_3gpuE4ELNS1_3repE0EEENS1_30default_config_static_selectorELNS0_4arch9wavefront6targetE0EEEvS12_.has_dyn_sized_stack, 0
	.set _ZN7rocprim17ROCPRIM_400000_NS6detail17trampoline_kernelINS0_13select_configILj256ELj13ELNS0_17block_load_methodE3ELS4_3ELS4_3ELNS0_20block_scan_algorithmE0ELj4294967295EEENS1_25partition_config_selectorILNS1_17partition_subalgoE4EjNS0_10empty_typeEbEEZZNS1_14partition_implILS8_4ELb0ES6_15HIP_vector_typeIjLj2EENS0_17counting_iteratorIjlEEPS9_SG_NS0_5tupleIJPjSI_NS0_16reverse_iteratorISI_EEEEENSH_IJSG_SG_SG_EEES9_SI_JZNS1_25segmented_radix_sort_implINS0_14default_configELb1EPKhPhPKlPlN2at6native12_GLOBAL__N_18offset_tEEE10hipError_tPvRmT1_PNSt15iterator_traitsIS12_E10value_typeET2_T3_PNS13_IS18_E10value_typeET4_jRbjT5_S1E_jjP12ihipStream_tbEUljE_ZNSN_ISO_Lb1ESQ_SR_ST_SU_SY_EESZ_S10_S11_S12_S16_S17_S18_S1B_S1C_jS1D_jS1E_S1E_jjS1G_bEUljE0_EEESZ_S10_S11_S18_S1C_S1E_T6_T7_T9_mT8_S1G_bDpT10_ENKUlT_T0_E_clISt17integral_constantIbLb1EES1U_EEDaS1P_S1Q_EUlS1P_E_NS1_11comp_targetILNS1_3genE10ELNS1_11target_archE1200ELNS1_3gpuE4ELNS1_3repE0EEENS1_30default_config_static_selectorELNS0_4arch9wavefront6targetE0EEEvS12_.has_recursion, 0
	.set _ZN7rocprim17ROCPRIM_400000_NS6detail17trampoline_kernelINS0_13select_configILj256ELj13ELNS0_17block_load_methodE3ELS4_3ELS4_3ELNS0_20block_scan_algorithmE0ELj4294967295EEENS1_25partition_config_selectorILNS1_17partition_subalgoE4EjNS0_10empty_typeEbEEZZNS1_14partition_implILS8_4ELb0ES6_15HIP_vector_typeIjLj2EENS0_17counting_iteratorIjlEEPS9_SG_NS0_5tupleIJPjSI_NS0_16reverse_iteratorISI_EEEEENSH_IJSG_SG_SG_EEES9_SI_JZNS1_25segmented_radix_sort_implINS0_14default_configELb1EPKhPhPKlPlN2at6native12_GLOBAL__N_18offset_tEEE10hipError_tPvRmT1_PNSt15iterator_traitsIS12_E10value_typeET2_T3_PNS13_IS18_E10value_typeET4_jRbjT5_S1E_jjP12ihipStream_tbEUljE_ZNSN_ISO_Lb1ESQ_SR_ST_SU_SY_EESZ_S10_S11_S12_S16_S17_S18_S1B_S1C_jS1D_jS1E_S1E_jjS1G_bEUljE0_EEESZ_S10_S11_S18_S1C_S1E_T6_T7_T9_mT8_S1G_bDpT10_ENKUlT_T0_E_clISt17integral_constantIbLb1EES1U_EEDaS1P_S1Q_EUlS1P_E_NS1_11comp_targetILNS1_3genE10ELNS1_11target_archE1200ELNS1_3gpuE4ELNS1_3repE0EEENS1_30default_config_static_selectorELNS0_4arch9wavefront6targetE0EEEvS12_.has_indirect_call, 0
	.section	.AMDGPU.csdata,"",@progbits
; Kernel info:
; codeLenInByte = 0
; TotalNumSgprs: 0
; NumVgprs: 0
; ScratchSize: 0
; MemoryBound: 0
; FloatMode: 240
; IeeeMode: 1
; LDSByteSize: 0 bytes/workgroup (compile time only)
; SGPRBlocks: 0
; VGPRBlocks: 0
; NumSGPRsForWavesPerEU: 1
; NumVGPRsForWavesPerEU: 1
; NamedBarCnt: 0
; Occupancy: 16
; WaveLimiterHint : 0
; COMPUTE_PGM_RSRC2:SCRATCH_EN: 0
; COMPUTE_PGM_RSRC2:USER_SGPR: 2
; COMPUTE_PGM_RSRC2:TRAP_HANDLER: 0
; COMPUTE_PGM_RSRC2:TGID_X_EN: 1
; COMPUTE_PGM_RSRC2:TGID_Y_EN: 0
; COMPUTE_PGM_RSRC2:TGID_Z_EN: 0
; COMPUTE_PGM_RSRC2:TIDIG_COMP_CNT: 0
	.section	.text._ZN7rocprim17ROCPRIM_400000_NS6detail17trampoline_kernelINS0_13select_configILj256ELj13ELNS0_17block_load_methodE3ELS4_3ELS4_3ELNS0_20block_scan_algorithmE0ELj4294967295EEENS1_25partition_config_selectorILNS1_17partition_subalgoE4EjNS0_10empty_typeEbEEZZNS1_14partition_implILS8_4ELb0ES6_15HIP_vector_typeIjLj2EENS0_17counting_iteratorIjlEEPS9_SG_NS0_5tupleIJPjSI_NS0_16reverse_iteratorISI_EEEEENSH_IJSG_SG_SG_EEES9_SI_JZNS1_25segmented_radix_sort_implINS0_14default_configELb1EPKhPhPKlPlN2at6native12_GLOBAL__N_18offset_tEEE10hipError_tPvRmT1_PNSt15iterator_traitsIS12_E10value_typeET2_T3_PNS13_IS18_E10value_typeET4_jRbjT5_S1E_jjP12ihipStream_tbEUljE_ZNSN_ISO_Lb1ESQ_SR_ST_SU_SY_EESZ_S10_S11_S12_S16_S17_S18_S1B_S1C_jS1D_jS1E_S1E_jjS1G_bEUljE0_EEESZ_S10_S11_S18_S1C_S1E_T6_T7_T9_mT8_S1G_bDpT10_ENKUlT_T0_E_clISt17integral_constantIbLb1EES1U_EEDaS1P_S1Q_EUlS1P_E_NS1_11comp_targetILNS1_3genE9ELNS1_11target_archE1100ELNS1_3gpuE3ELNS1_3repE0EEENS1_30default_config_static_selectorELNS0_4arch9wavefront6targetE0EEEvS12_,"axG",@progbits,_ZN7rocprim17ROCPRIM_400000_NS6detail17trampoline_kernelINS0_13select_configILj256ELj13ELNS0_17block_load_methodE3ELS4_3ELS4_3ELNS0_20block_scan_algorithmE0ELj4294967295EEENS1_25partition_config_selectorILNS1_17partition_subalgoE4EjNS0_10empty_typeEbEEZZNS1_14partition_implILS8_4ELb0ES6_15HIP_vector_typeIjLj2EENS0_17counting_iteratorIjlEEPS9_SG_NS0_5tupleIJPjSI_NS0_16reverse_iteratorISI_EEEEENSH_IJSG_SG_SG_EEES9_SI_JZNS1_25segmented_radix_sort_implINS0_14default_configELb1EPKhPhPKlPlN2at6native12_GLOBAL__N_18offset_tEEE10hipError_tPvRmT1_PNSt15iterator_traitsIS12_E10value_typeET2_T3_PNS13_IS18_E10value_typeET4_jRbjT5_S1E_jjP12ihipStream_tbEUljE_ZNSN_ISO_Lb1ESQ_SR_ST_SU_SY_EESZ_S10_S11_S12_S16_S17_S18_S1B_S1C_jS1D_jS1E_S1E_jjS1G_bEUljE0_EEESZ_S10_S11_S18_S1C_S1E_T6_T7_T9_mT8_S1G_bDpT10_ENKUlT_T0_E_clISt17integral_constantIbLb1EES1U_EEDaS1P_S1Q_EUlS1P_E_NS1_11comp_targetILNS1_3genE9ELNS1_11target_archE1100ELNS1_3gpuE3ELNS1_3repE0EEENS1_30default_config_static_selectorELNS0_4arch9wavefront6targetE0EEEvS12_,comdat
	.globl	_ZN7rocprim17ROCPRIM_400000_NS6detail17trampoline_kernelINS0_13select_configILj256ELj13ELNS0_17block_load_methodE3ELS4_3ELS4_3ELNS0_20block_scan_algorithmE0ELj4294967295EEENS1_25partition_config_selectorILNS1_17partition_subalgoE4EjNS0_10empty_typeEbEEZZNS1_14partition_implILS8_4ELb0ES6_15HIP_vector_typeIjLj2EENS0_17counting_iteratorIjlEEPS9_SG_NS0_5tupleIJPjSI_NS0_16reverse_iteratorISI_EEEEENSH_IJSG_SG_SG_EEES9_SI_JZNS1_25segmented_radix_sort_implINS0_14default_configELb1EPKhPhPKlPlN2at6native12_GLOBAL__N_18offset_tEEE10hipError_tPvRmT1_PNSt15iterator_traitsIS12_E10value_typeET2_T3_PNS13_IS18_E10value_typeET4_jRbjT5_S1E_jjP12ihipStream_tbEUljE_ZNSN_ISO_Lb1ESQ_SR_ST_SU_SY_EESZ_S10_S11_S12_S16_S17_S18_S1B_S1C_jS1D_jS1E_S1E_jjS1G_bEUljE0_EEESZ_S10_S11_S18_S1C_S1E_T6_T7_T9_mT8_S1G_bDpT10_ENKUlT_T0_E_clISt17integral_constantIbLb1EES1U_EEDaS1P_S1Q_EUlS1P_E_NS1_11comp_targetILNS1_3genE9ELNS1_11target_archE1100ELNS1_3gpuE3ELNS1_3repE0EEENS1_30default_config_static_selectorELNS0_4arch9wavefront6targetE0EEEvS12_ ; -- Begin function _ZN7rocprim17ROCPRIM_400000_NS6detail17trampoline_kernelINS0_13select_configILj256ELj13ELNS0_17block_load_methodE3ELS4_3ELS4_3ELNS0_20block_scan_algorithmE0ELj4294967295EEENS1_25partition_config_selectorILNS1_17partition_subalgoE4EjNS0_10empty_typeEbEEZZNS1_14partition_implILS8_4ELb0ES6_15HIP_vector_typeIjLj2EENS0_17counting_iteratorIjlEEPS9_SG_NS0_5tupleIJPjSI_NS0_16reverse_iteratorISI_EEEEENSH_IJSG_SG_SG_EEES9_SI_JZNS1_25segmented_radix_sort_implINS0_14default_configELb1EPKhPhPKlPlN2at6native12_GLOBAL__N_18offset_tEEE10hipError_tPvRmT1_PNSt15iterator_traitsIS12_E10value_typeET2_T3_PNS13_IS18_E10value_typeET4_jRbjT5_S1E_jjP12ihipStream_tbEUljE_ZNSN_ISO_Lb1ESQ_SR_ST_SU_SY_EESZ_S10_S11_S12_S16_S17_S18_S1B_S1C_jS1D_jS1E_S1E_jjS1G_bEUljE0_EEESZ_S10_S11_S18_S1C_S1E_T6_T7_T9_mT8_S1G_bDpT10_ENKUlT_T0_E_clISt17integral_constantIbLb1EES1U_EEDaS1P_S1Q_EUlS1P_E_NS1_11comp_targetILNS1_3genE9ELNS1_11target_archE1100ELNS1_3gpuE3ELNS1_3repE0EEENS1_30default_config_static_selectorELNS0_4arch9wavefront6targetE0EEEvS12_
	.p2align	8
	.type	_ZN7rocprim17ROCPRIM_400000_NS6detail17trampoline_kernelINS0_13select_configILj256ELj13ELNS0_17block_load_methodE3ELS4_3ELS4_3ELNS0_20block_scan_algorithmE0ELj4294967295EEENS1_25partition_config_selectorILNS1_17partition_subalgoE4EjNS0_10empty_typeEbEEZZNS1_14partition_implILS8_4ELb0ES6_15HIP_vector_typeIjLj2EENS0_17counting_iteratorIjlEEPS9_SG_NS0_5tupleIJPjSI_NS0_16reverse_iteratorISI_EEEEENSH_IJSG_SG_SG_EEES9_SI_JZNS1_25segmented_radix_sort_implINS0_14default_configELb1EPKhPhPKlPlN2at6native12_GLOBAL__N_18offset_tEEE10hipError_tPvRmT1_PNSt15iterator_traitsIS12_E10value_typeET2_T3_PNS13_IS18_E10value_typeET4_jRbjT5_S1E_jjP12ihipStream_tbEUljE_ZNSN_ISO_Lb1ESQ_SR_ST_SU_SY_EESZ_S10_S11_S12_S16_S17_S18_S1B_S1C_jS1D_jS1E_S1E_jjS1G_bEUljE0_EEESZ_S10_S11_S18_S1C_S1E_T6_T7_T9_mT8_S1G_bDpT10_ENKUlT_T0_E_clISt17integral_constantIbLb1EES1U_EEDaS1P_S1Q_EUlS1P_E_NS1_11comp_targetILNS1_3genE9ELNS1_11target_archE1100ELNS1_3gpuE3ELNS1_3repE0EEENS1_30default_config_static_selectorELNS0_4arch9wavefront6targetE0EEEvS12_,@function
_ZN7rocprim17ROCPRIM_400000_NS6detail17trampoline_kernelINS0_13select_configILj256ELj13ELNS0_17block_load_methodE3ELS4_3ELS4_3ELNS0_20block_scan_algorithmE0ELj4294967295EEENS1_25partition_config_selectorILNS1_17partition_subalgoE4EjNS0_10empty_typeEbEEZZNS1_14partition_implILS8_4ELb0ES6_15HIP_vector_typeIjLj2EENS0_17counting_iteratorIjlEEPS9_SG_NS0_5tupleIJPjSI_NS0_16reverse_iteratorISI_EEEEENSH_IJSG_SG_SG_EEES9_SI_JZNS1_25segmented_radix_sort_implINS0_14default_configELb1EPKhPhPKlPlN2at6native12_GLOBAL__N_18offset_tEEE10hipError_tPvRmT1_PNSt15iterator_traitsIS12_E10value_typeET2_T3_PNS13_IS18_E10value_typeET4_jRbjT5_S1E_jjP12ihipStream_tbEUljE_ZNSN_ISO_Lb1ESQ_SR_ST_SU_SY_EESZ_S10_S11_S12_S16_S17_S18_S1B_S1C_jS1D_jS1E_S1E_jjS1G_bEUljE0_EEESZ_S10_S11_S18_S1C_S1E_T6_T7_T9_mT8_S1G_bDpT10_ENKUlT_T0_E_clISt17integral_constantIbLb1EES1U_EEDaS1P_S1Q_EUlS1P_E_NS1_11comp_targetILNS1_3genE9ELNS1_11target_archE1100ELNS1_3gpuE3ELNS1_3repE0EEENS1_30default_config_static_selectorELNS0_4arch9wavefront6targetE0EEEvS12_: ; @_ZN7rocprim17ROCPRIM_400000_NS6detail17trampoline_kernelINS0_13select_configILj256ELj13ELNS0_17block_load_methodE3ELS4_3ELS4_3ELNS0_20block_scan_algorithmE0ELj4294967295EEENS1_25partition_config_selectorILNS1_17partition_subalgoE4EjNS0_10empty_typeEbEEZZNS1_14partition_implILS8_4ELb0ES6_15HIP_vector_typeIjLj2EENS0_17counting_iteratorIjlEEPS9_SG_NS0_5tupleIJPjSI_NS0_16reverse_iteratorISI_EEEEENSH_IJSG_SG_SG_EEES9_SI_JZNS1_25segmented_radix_sort_implINS0_14default_configELb1EPKhPhPKlPlN2at6native12_GLOBAL__N_18offset_tEEE10hipError_tPvRmT1_PNSt15iterator_traitsIS12_E10value_typeET2_T3_PNS13_IS18_E10value_typeET4_jRbjT5_S1E_jjP12ihipStream_tbEUljE_ZNSN_ISO_Lb1ESQ_SR_ST_SU_SY_EESZ_S10_S11_S12_S16_S17_S18_S1B_S1C_jS1D_jS1E_S1E_jjS1G_bEUljE0_EEESZ_S10_S11_S18_S1C_S1E_T6_T7_T9_mT8_S1G_bDpT10_ENKUlT_T0_E_clISt17integral_constantIbLb1EES1U_EEDaS1P_S1Q_EUlS1P_E_NS1_11comp_targetILNS1_3genE9ELNS1_11target_archE1100ELNS1_3gpuE3ELNS1_3repE0EEENS1_30default_config_static_selectorELNS0_4arch9wavefront6targetE0EEEvS12_
; %bb.0:
	.section	.rodata,"a",@progbits
	.p2align	6, 0x0
	.amdhsa_kernel _ZN7rocprim17ROCPRIM_400000_NS6detail17trampoline_kernelINS0_13select_configILj256ELj13ELNS0_17block_load_methodE3ELS4_3ELS4_3ELNS0_20block_scan_algorithmE0ELj4294967295EEENS1_25partition_config_selectorILNS1_17partition_subalgoE4EjNS0_10empty_typeEbEEZZNS1_14partition_implILS8_4ELb0ES6_15HIP_vector_typeIjLj2EENS0_17counting_iteratorIjlEEPS9_SG_NS0_5tupleIJPjSI_NS0_16reverse_iteratorISI_EEEEENSH_IJSG_SG_SG_EEES9_SI_JZNS1_25segmented_radix_sort_implINS0_14default_configELb1EPKhPhPKlPlN2at6native12_GLOBAL__N_18offset_tEEE10hipError_tPvRmT1_PNSt15iterator_traitsIS12_E10value_typeET2_T3_PNS13_IS18_E10value_typeET4_jRbjT5_S1E_jjP12ihipStream_tbEUljE_ZNSN_ISO_Lb1ESQ_SR_ST_SU_SY_EESZ_S10_S11_S12_S16_S17_S18_S1B_S1C_jS1D_jS1E_S1E_jjS1G_bEUljE0_EEESZ_S10_S11_S18_S1C_S1E_T6_T7_T9_mT8_S1G_bDpT10_ENKUlT_T0_E_clISt17integral_constantIbLb1EES1U_EEDaS1P_S1Q_EUlS1P_E_NS1_11comp_targetILNS1_3genE9ELNS1_11target_archE1100ELNS1_3gpuE3ELNS1_3repE0EEENS1_30default_config_static_selectorELNS0_4arch9wavefront6targetE0EEEvS12_
		.amdhsa_group_segment_fixed_size 0
		.amdhsa_private_segment_fixed_size 0
		.amdhsa_kernarg_size 184
		.amdhsa_user_sgpr_count 2
		.amdhsa_user_sgpr_dispatch_ptr 0
		.amdhsa_user_sgpr_queue_ptr 0
		.amdhsa_user_sgpr_kernarg_segment_ptr 1
		.amdhsa_user_sgpr_dispatch_id 0
		.amdhsa_user_sgpr_kernarg_preload_length 0
		.amdhsa_user_sgpr_kernarg_preload_offset 0
		.amdhsa_user_sgpr_private_segment_size 0
		.amdhsa_wavefront_size32 1
		.amdhsa_uses_dynamic_stack 0
		.amdhsa_enable_private_segment 0
		.amdhsa_system_sgpr_workgroup_id_x 1
		.amdhsa_system_sgpr_workgroup_id_y 0
		.amdhsa_system_sgpr_workgroup_id_z 0
		.amdhsa_system_sgpr_workgroup_info 0
		.amdhsa_system_vgpr_workitem_id 0
		.amdhsa_next_free_vgpr 1
		.amdhsa_next_free_sgpr 1
		.amdhsa_named_barrier_count 0
		.amdhsa_reserve_vcc 0
		.amdhsa_float_round_mode_32 0
		.amdhsa_float_round_mode_16_64 0
		.amdhsa_float_denorm_mode_32 3
		.amdhsa_float_denorm_mode_16_64 3
		.amdhsa_fp16_overflow 0
		.amdhsa_memory_ordered 1
		.amdhsa_forward_progress 1
		.amdhsa_inst_pref_size 0
		.amdhsa_round_robin_scheduling 0
		.amdhsa_exception_fp_ieee_invalid_op 0
		.amdhsa_exception_fp_denorm_src 0
		.amdhsa_exception_fp_ieee_div_zero 0
		.amdhsa_exception_fp_ieee_overflow 0
		.amdhsa_exception_fp_ieee_underflow 0
		.amdhsa_exception_fp_ieee_inexact 0
		.amdhsa_exception_int_div_zero 0
	.end_amdhsa_kernel
	.section	.text._ZN7rocprim17ROCPRIM_400000_NS6detail17trampoline_kernelINS0_13select_configILj256ELj13ELNS0_17block_load_methodE3ELS4_3ELS4_3ELNS0_20block_scan_algorithmE0ELj4294967295EEENS1_25partition_config_selectorILNS1_17partition_subalgoE4EjNS0_10empty_typeEbEEZZNS1_14partition_implILS8_4ELb0ES6_15HIP_vector_typeIjLj2EENS0_17counting_iteratorIjlEEPS9_SG_NS0_5tupleIJPjSI_NS0_16reverse_iteratorISI_EEEEENSH_IJSG_SG_SG_EEES9_SI_JZNS1_25segmented_radix_sort_implINS0_14default_configELb1EPKhPhPKlPlN2at6native12_GLOBAL__N_18offset_tEEE10hipError_tPvRmT1_PNSt15iterator_traitsIS12_E10value_typeET2_T3_PNS13_IS18_E10value_typeET4_jRbjT5_S1E_jjP12ihipStream_tbEUljE_ZNSN_ISO_Lb1ESQ_SR_ST_SU_SY_EESZ_S10_S11_S12_S16_S17_S18_S1B_S1C_jS1D_jS1E_S1E_jjS1G_bEUljE0_EEESZ_S10_S11_S18_S1C_S1E_T6_T7_T9_mT8_S1G_bDpT10_ENKUlT_T0_E_clISt17integral_constantIbLb1EES1U_EEDaS1P_S1Q_EUlS1P_E_NS1_11comp_targetILNS1_3genE9ELNS1_11target_archE1100ELNS1_3gpuE3ELNS1_3repE0EEENS1_30default_config_static_selectorELNS0_4arch9wavefront6targetE0EEEvS12_,"axG",@progbits,_ZN7rocprim17ROCPRIM_400000_NS6detail17trampoline_kernelINS0_13select_configILj256ELj13ELNS0_17block_load_methodE3ELS4_3ELS4_3ELNS0_20block_scan_algorithmE0ELj4294967295EEENS1_25partition_config_selectorILNS1_17partition_subalgoE4EjNS0_10empty_typeEbEEZZNS1_14partition_implILS8_4ELb0ES6_15HIP_vector_typeIjLj2EENS0_17counting_iteratorIjlEEPS9_SG_NS0_5tupleIJPjSI_NS0_16reverse_iteratorISI_EEEEENSH_IJSG_SG_SG_EEES9_SI_JZNS1_25segmented_radix_sort_implINS0_14default_configELb1EPKhPhPKlPlN2at6native12_GLOBAL__N_18offset_tEEE10hipError_tPvRmT1_PNSt15iterator_traitsIS12_E10value_typeET2_T3_PNS13_IS18_E10value_typeET4_jRbjT5_S1E_jjP12ihipStream_tbEUljE_ZNSN_ISO_Lb1ESQ_SR_ST_SU_SY_EESZ_S10_S11_S12_S16_S17_S18_S1B_S1C_jS1D_jS1E_S1E_jjS1G_bEUljE0_EEESZ_S10_S11_S18_S1C_S1E_T6_T7_T9_mT8_S1G_bDpT10_ENKUlT_T0_E_clISt17integral_constantIbLb1EES1U_EEDaS1P_S1Q_EUlS1P_E_NS1_11comp_targetILNS1_3genE9ELNS1_11target_archE1100ELNS1_3gpuE3ELNS1_3repE0EEENS1_30default_config_static_selectorELNS0_4arch9wavefront6targetE0EEEvS12_,comdat
.Lfunc_end27:
	.size	_ZN7rocprim17ROCPRIM_400000_NS6detail17trampoline_kernelINS0_13select_configILj256ELj13ELNS0_17block_load_methodE3ELS4_3ELS4_3ELNS0_20block_scan_algorithmE0ELj4294967295EEENS1_25partition_config_selectorILNS1_17partition_subalgoE4EjNS0_10empty_typeEbEEZZNS1_14partition_implILS8_4ELb0ES6_15HIP_vector_typeIjLj2EENS0_17counting_iteratorIjlEEPS9_SG_NS0_5tupleIJPjSI_NS0_16reverse_iteratorISI_EEEEENSH_IJSG_SG_SG_EEES9_SI_JZNS1_25segmented_radix_sort_implINS0_14default_configELb1EPKhPhPKlPlN2at6native12_GLOBAL__N_18offset_tEEE10hipError_tPvRmT1_PNSt15iterator_traitsIS12_E10value_typeET2_T3_PNS13_IS18_E10value_typeET4_jRbjT5_S1E_jjP12ihipStream_tbEUljE_ZNSN_ISO_Lb1ESQ_SR_ST_SU_SY_EESZ_S10_S11_S12_S16_S17_S18_S1B_S1C_jS1D_jS1E_S1E_jjS1G_bEUljE0_EEESZ_S10_S11_S18_S1C_S1E_T6_T7_T9_mT8_S1G_bDpT10_ENKUlT_T0_E_clISt17integral_constantIbLb1EES1U_EEDaS1P_S1Q_EUlS1P_E_NS1_11comp_targetILNS1_3genE9ELNS1_11target_archE1100ELNS1_3gpuE3ELNS1_3repE0EEENS1_30default_config_static_selectorELNS0_4arch9wavefront6targetE0EEEvS12_, .Lfunc_end27-_ZN7rocprim17ROCPRIM_400000_NS6detail17trampoline_kernelINS0_13select_configILj256ELj13ELNS0_17block_load_methodE3ELS4_3ELS4_3ELNS0_20block_scan_algorithmE0ELj4294967295EEENS1_25partition_config_selectorILNS1_17partition_subalgoE4EjNS0_10empty_typeEbEEZZNS1_14partition_implILS8_4ELb0ES6_15HIP_vector_typeIjLj2EENS0_17counting_iteratorIjlEEPS9_SG_NS0_5tupleIJPjSI_NS0_16reverse_iteratorISI_EEEEENSH_IJSG_SG_SG_EEES9_SI_JZNS1_25segmented_radix_sort_implINS0_14default_configELb1EPKhPhPKlPlN2at6native12_GLOBAL__N_18offset_tEEE10hipError_tPvRmT1_PNSt15iterator_traitsIS12_E10value_typeET2_T3_PNS13_IS18_E10value_typeET4_jRbjT5_S1E_jjP12ihipStream_tbEUljE_ZNSN_ISO_Lb1ESQ_SR_ST_SU_SY_EESZ_S10_S11_S12_S16_S17_S18_S1B_S1C_jS1D_jS1E_S1E_jjS1G_bEUljE0_EEESZ_S10_S11_S18_S1C_S1E_T6_T7_T9_mT8_S1G_bDpT10_ENKUlT_T0_E_clISt17integral_constantIbLb1EES1U_EEDaS1P_S1Q_EUlS1P_E_NS1_11comp_targetILNS1_3genE9ELNS1_11target_archE1100ELNS1_3gpuE3ELNS1_3repE0EEENS1_30default_config_static_selectorELNS0_4arch9wavefront6targetE0EEEvS12_
                                        ; -- End function
	.set _ZN7rocprim17ROCPRIM_400000_NS6detail17trampoline_kernelINS0_13select_configILj256ELj13ELNS0_17block_load_methodE3ELS4_3ELS4_3ELNS0_20block_scan_algorithmE0ELj4294967295EEENS1_25partition_config_selectorILNS1_17partition_subalgoE4EjNS0_10empty_typeEbEEZZNS1_14partition_implILS8_4ELb0ES6_15HIP_vector_typeIjLj2EENS0_17counting_iteratorIjlEEPS9_SG_NS0_5tupleIJPjSI_NS0_16reverse_iteratorISI_EEEEENSH_IJSG_SG_SG_EEES9_SI_JZNS1_25segmented_radix_sort_implINS0_14default_configELb1EPKhPhPKlPlN2at6native12_GLOBAL__N_18offset_tEEE10hipError_tPvRmT1_PNSt15iterator_traitsIS12_E10value_typeET2_T3_PNS13_IS18_E10value_typeET4_jRbjT5_S1E_jjP12ihipStream_tbEUljE_ZNSN_ISO_Lb1ESQ_SR_ST_SU_SY_EESZ_S10_S11_S12_S16_S17_S18_S1B_S1C_jS1D_jS1E_S1E_jjS1G_bEUljE0_EEESZ_S10_S11_S18_S1C_S1E_T6_T7_T9_mT8_S1G_bDpT10_ENKUlT_T0_E_clISt17integral_constantIbLb1EES1U_EEDaS1P_S1Q_EUlS1P_E_NS1_11comp_targetILNS1_3genE9ELNS1_11target_archE1100ELNS1_3gpuE3ELNS1_3repE0EEENS1_30default_config_static_selectorELNS0_4arch9wavefront6targetE0EEEvS12_.num_vgpr, 0
	.set _ZN7rocprim17ROCPRIM_400000_NS6detail17trampoline_kernelINS0_13select_configILj256ELj13ELNS0_17block_load_methodE3ELS4_3ELS4_3ELNS0_20block_scan_algorithmE0ELj4294967295EEENS1_25partition_config_selectorILNS1_17partition_subalgoE4EjNS0_10empty_typeEbEEZZNS1_14partition_implILS8_4ELb0ES6_15HIP_vector_typeIjLj2EENS0_17counting_iteratorIjlEEPS9_SG_NS0_5tupleIJPjSI_NS0_16reverse_iteratorISI_EEEEENSH_IJSG_SG_SG_EEES9_SI_JZNS1_25segmented_radix_sort_implINS0_14default_configELb1EPKhPhPKlPlN2at6native12_GLOBAL__N_18offset_tEEE10hipError_tPvRmT1_PNSt15iterator_traitsIS12_E10value_typeET2_T3_PNS13_IS18_E10value_typeET4_jRbjT5_S1E_jjP12ihipStream_tbEUljE_ZNSN_ISO_Lb1ESQ_SR_ST_SU_SY_EESZ_S10_S11_S12_S16_S17_S18_S1B_S1C_jS1D_jS1E_S1E_jjS1G_bEUljE0_EEESZ_S10_S11_S18_S1C_S1E_T6_T7_T9_mT8_S1G_bDpT10_ENKUlT_T0_E_clISt17integral_constantIbLb1EES1U_EEDaS1P_S1Q_EUlS1P_E_NS1_11comp_targetILNS1_3genE9ELNS1_11target_archE1100ELNS1_3gpuE3ELNS1_3repE0EEENS1_30default_config_static_selectorELNS0_4arch9wavefront6targetE0EEEvS12_.num_agpr, 0
	.set _ZN7rocprim17ROCPRIM_400000_NS6detail17trampoline_kernelINS0_13select_configILj256ELj13ELNS0_17block_load_methodE3ELS4_3ELS4_3ELNS0_20block_scan_algorithmE0ELj4294967295EEENS1_25partition_config_selectorILNS1_17partition_subalgoE4EjNS0_10empty_typeEbEEZZNS1_14partition_implILS8_4ELb0ES6_15HIP_vector_typeIjLj2EENS0_17counting_iteratorIjlEEPS9_SG_NS0_5tupleIJPjSI_NS0_16reverse_iteratorISI_EEEEENSH_IJSG_SG_SG_EEES9_SI_JZNS1_25segmented_radix_sort_implINS0_14default_configELb1EPKhPhPKlPlN2at6native12_GLOBAL__N_18offset_tEEE10hipError_tPvRmT1_PNSt15iterator_traitsIS12_E10value_typeET2_T3_PNS13_IS18_E10value_typeET4_jRbjT5_S1E_jjP12ihipStream_tbEUljE_ZNSN_ISO_Lb1ESQ_SR_ST_SU_SY_EESZ_S10_S11_S12_S16_S17_S18_S1B_S1C_jS1D_jS1E_S1E_jjS1G_bEUljE0_EEESZ_S10_S11_S18_S1C_S1E_T6_T7_T9_mT8_S1G_bDpT10_ENKUlT_T0_E_clISt17integral_constantIbLb1EES1U_EEDaS1P_S1Q_EUlS1P_E_NS1_11comp_targetILNS1_3genE9ELNS1_11target_archE1100ELNS1_3gpuE3ELNS1_3repE0EEENS1_30default_config_static_selectorELNS0_4arch9wavefront6targetE0EEEvS12_.numbered_sgpr, 0
	.set _ZN7rocprim17ROCPRIM_400000_NS6detail17trampoline_kernelINS0_13select_configILj256ELj13ELNS0_17block_load_methodE3ELS4_3ELS4_3ELNS0_20block_scan_algorithmE0ELj4294967295EEENS1_25partition_config_selectorILNS1_17partition_subalgoE4EjNS0_10empty_typeEbEEZZNS1_14partition_implILS8_4ELb0ES6_15HIP_vector_typeIjLj2EENS0_17counting_iteratorIjlEEPS9_SG_NS0_5tupleIJPjSI_NS0_16reverse_iteratorISI_EEEEENSH_IJSG_SG_SG_EEES9_SI_JZNS1_25segmented_radix_sort_implINS0_14default_configELb1EPKhPhPKlPlN2at6native12_GLOBAL__N_18offset_tEEE10hipError_tPvRmT1_PNSt15iterator_traitsIS12_E10value_typeET2_T3_PNS13_IS18_E10value_typeET4_jRbjT5_S1E_jjP12ihipStream_tbEUljE_ZNSN_ISO_Lb1ESQ_SR_ST_SU_SY_EESZ_S10_S11_S12_S16_S17_S18_S1B_S1C_jS1D_jS1E_S1E_jjS1G_bEUljE0_EEESZ_S10_S11_S18_S1C_S1E_T6_T7_T9_mT8_S1G_bDpT10_ENKUlT_T0_E_clISt17integral_constantIbLb1EES1U_EEDaS1P_S1Q_EUlS1P_E_NS1_11comp_targetILNS1_3genE9ELNS1_11target_archE1100ELNS1_3gpuE3ELNS1_3repE0EEENS1_30default_config_static_selectorELNS0_4arch9wavefront6targetE0EEEvS12_.num_named_barrier, 0
	.set _ZN7rocprim17ROCPRIM_400000_NS6detail17trampoline_kernelINS0_13select_configILj256ELj13ELNS0_17block_load_methodE3ELS4_3ELS4_3ELNS0_20block_scan_algorithmE0ELj4294967295EEENS1_25partition_config_selectorILNS1_17partition_subalgoE4EjNS0_10empty_typeEbEEZZNS1_14partition_implILS8_4ELb0ES6_15HIP_vector_typeIjLj2EENS0_17counting_iteratorIjlEEPS9_SG_NS0_5tupleIJPjSI_NS0_16reverse_iteratorISI_EEEEENSH_IJSG_SG_SG_EEES9_SI_JZNS1_25segmented_radix_sort_implINS0_14default_configELb1EPKhPhPKlPlN2at6native12_GLOBAL__N_18offset_tEEE10hipError_tPvRmT1_PNSt15iterator_traitsIS12_E10value_typeET2_T3_PNS13_IS18_E10value_typeET4_jRbjT5_S1E_jjP12ihipStream_tbEUljE_ZNSN_ISO_Lb1ESQ_SR_ST_SU_SY_EESZ_S10_S11_S12_S16_S17_S18_S1B_S1C_jS1D_jS1E_S1E_jjS1G_bEUljE0_EEESZ_S10_S11_S18_S1C_S1E_T6_T7_T9_mT8_S1G_bDpT10_ENKUlT_T0_E_clISt17integral_constantIbLb1EES1U_EEDaS1P_S1Q_EUlS1P_E_NS1_11comp_targetILNS1_3genE9ELNS1_11target_archE1100ELNS1_3gpuE3ELNS1_3repE0EEENS1_30default_config_static_selectorELNS0_4arch9wavefront6targetE0EEEvS12_.private_seg_size, 0
	.set _ZN7rocprim17ROCPRIM_400000_NS6detail17trampoline_kernelINS0_13select_configILj256ELj13ELNS0_17block_load_methodE3ELS4_3ELS4_3ELNS0_20block_scan_algorithmE0ELj4294967295EEENS1_25partition_config_selectorILNS1_17partition_subalgoE4EjNS0_10empty_typeEbEEZZNS1_14partition_implILS8_4ELb0ES6_15HIP_vector_typeIjLj2EENS0_17counting_iteratorIjlEEPS9_SG_NS0_5tupleIJPjSI_NS0_16reverse_iteratorISI_EEEEENSH_IJSG_SG_SG_EEES9_SI_JZNS1_25segmented_radix_sort_implINS0_14default_configELb1EPKhPhPKlPlN2at6native12_GLOBAL__N_18offset_tEEE10hipError_tPvRmT1_PNSt15iterator_traitsIS12_E10value_typeET2_T3_PNS13_IS18_E10value_typeET4_jRbjT5_S1E_jjP12ihipStream_tbEUljE_ZNSN_ISO_Lb1ESQ_SR_ST_SU_SY_EESZ_S10_S11_S12_S16_S17_S18_S1B_S1C_jS1D_jS1E_S1E_jjS1G_bEUljE0_EEESZ_S10_S11_S18_S1C_S1E_T6_T7_T9_mT8_S1G_bDpT10_ENKUlT_T0_E_clISt17integral_constantIbLb1EES1U_EEDaS1P_S1Q_EUlS1P_E_NS1_11comp_targetILNS1_3genE9ELNS1_11target_archE1100ELNS1_3gpuE3ELNS1_3repE0EEENS1_30default_config_static_selectorELNS0_4arch9wavefront6targetE0EEEvS12_.uses_vcc, 0
	.set _ZN7rocprim17ROCPRIM_400000_NS6detail17trampoline_kernelINS0_13select_configILj256ELj13ELNS0_17block_load_methodE3ELS4_3ELS4_3ELNS0_20block_scan_algorithmE0ELj4294967295EEENS1_25partition_config_selectorILNS1_17partition_subalgoE4EjNS0_10empty_typeEbEEZZNS1_14partition_implILS8_4ELb0ES6_15HIP_vector_typeIjLj2EENS0_17counting_iteratorIjlEEPS9_SG_NS0_5tupleIJPjSI_NS0_16reverse_iteratorISI_EEEEENSH_IJSG_SG_SG_EEES9_SI_JZNS1_25segmented_radix_sort_implINS0_14default_configELb1EPKhPhPKlPlN2at6native12_GLOBAL__N_18offset_tEEE10hipError_tPvRmT1_PNSt15iterator_traitsIS12_E10value_typeET2_T3_PNS13_IS18_E10value_typeET4_jRbjT5_S1E_jjP12ihipStream_tbEUljE_ZNSN_ISO_Lb1ESQ_SR_ST_SU_SY_EESZ_S10_S11_S12_S16_S17_S18_S1B_S1C_jS1D_jS1E_S1E_jjS1G_bEUljE0_EEESZ_S10_S11_S18_S1C_S1E_T6_T7_T9_mT8_S1G_bDpT10_ENKUlT_T0_E_clISt17integral_constantIbLb1EES1U_EEDaS1P_S1Q_EUlS1P_E_NS1_11comp_targetILNS1_3genE9ELNS1_11target_archE1100ELNS1_3gpuE3ELNS1_3repE0EEENS1_30default_config_static_selectorELNS0_4arch9wavefront6targetE0EEEvS12_.uses_flat_scratch, 0
	.set _ZN7rocprim17ROCPRIM_400000_NS6detail17trampoline_kernelINS0_13select_configILj256ELj13ELNS0_17block_load_methodE3ELS4_3ELS4_3ELNS0_20block_scan_algorithmE0ELj4294967295EEENS1_25partition_config_selectorILNS1_17partition_subalgoE4EjNS0_10empty_typeEbEEZZNS1_14partition_implILS8_4ELb0ES6_15HIP_vector_typeIjLj2EENS0_17counting_iteratorIjlEEPS9_SG_NS0_5tupleIJPjSI_NS0_16reverse_iteratorISI_EEEEENSH_IJSG_SG_SG_EEES9_SI_JZNS1_25segmented_radix_sort_implINS0_14default_configELb1EPKhPhPKlPlN2at6native12_GLOBAL__N_18offset_tEEE10hipError_tPvRmT1_PNSt15iterator_traitsIS12_E10value_typeET2_T3_PNS13_IS18_E10value_typeET4_jRbjT5_S1E_jjP12ihipStream_tbEUljE_ZNSN_ISO_Lb1ESQ_SR_ST_SU_SY_EESZ_S10_S11_S12_S16_S17_S18_S1B_S1C_jS1D_jS1E_S1E_jjS1G_bEUljE0_EEESZ_S10_S11_S18_S1C_S1E_T6_T7_T9_mT8_S1G_bDpT10_ENKUlT_T0_E_clISt17integral_constantIbLb1EES1U_EEDaS1P_S1Q_EUlS1P_E_NS1_11comp_targetILNS1_3genE9ELNS1_11target_archE1100ELNS1_3gpuE3ELNS1_3repE0EEENS1_30default_config_static_selectorELNS0_4arch9wavefront6targetE0EEEvS12_.has_dyn_sized_stack, 0
	.set _ZN7rocprim17ROCPRIM_400000_NS6detail17trampoline_kernelINS0_13select_configILj256ELj13ELNS0_17block_load_methodE3ELS4_3ELS4_3ELNS0_20block_scan_algorithmE0ELj4294967295EEENS1_25partition_config_selectorILNS1_17partition_subalgoE4EjNS0_10empty_typeEbEEZZNS1_14partition_implILS8_4ELb0ES6_15HIP_vector_typeIjLj2EENS0_17counting_iteratorIjlEEPS9_SG_NS0_5tupleIJPjSI_NS0_16reverse_iteratorISI_EEEEENSH_IJSG_SG_SG_EEES9_SI_JZNS1_25segmented_radix_sort_implINS0_14default_configELb1EPKhPhPKlPlN2at6native12_GLOBAL__N_18offset_tEEE10hipError_tPvRmT1_PNSt15iterator_traitsIS12_E10value_typeET2_T3_PNS13_IS18_E10value_typeET4_jRbjT5_S1E_jjP12ihipStream_tbEUljE_ZNSN_ISO_Lb1ESQ_SR_ST_SU_SY_EESZ_S10_S11_S12_S16_S17_S18_S1B_S1C_jS1D_jS1E_S1E_jjS1G_bEUljE0_EEESZ_S10_S11_S18_S1C_S1E_T6_T7_T9_mT8_S1G_bDpT10_ENKUlT_T0_E_clISt17integral_constantIbLb1EES1U_EEDaS1P_S1Q_EUlS1P_E_NS1_11comp_targetILNS1_3genE9ELNS1_11target_archE1100ELNS1_3gpuE3ELNS1_3repE0EEENS1_30default_config_static_selectorELNS0_4arch9wavefront6targetE0EEEvS12_.has_recursion, 0
	.set _ZN7rocprim17ROCPRIM_400000_NS6detail17trampoline_kernelINS0_13select_configILj256ELj13ELNS0_17block_load_methodE3ELS4_3ELS4_3ELNS0_20block_scan_algorithmE0ELj4294967295EEENS1_25partition_config_selectorILNS1_17partition_subalgoE4EjNS0_10empty_typeEbEEZZNS1_14partition_implILS8_4ELb0ES6_15HIP_vector_typeIjLj2EENS0_17counting_iteratorIjlEEPS9_SG_NS0_5tupleIJPjSI_NS0_16reverse_iteratorISI_EEEEENSH_IJSG_SG_SG_EEES9_SI_JZNS1_25segmented_radix_sort_implINS0_14default_configELb1EPKhPhPKlPlN2at6native12_GLOBAL__N_18offset_tEEE10hipError_tPvRmT1_PNSt15iterator_traitsIS12_E10value_typeET2_T3_PNS13_IS18_E10value_typeET4_jRbjT5_S1E_jjP12ihipStream_tbEUljE_ZNSN_ISO_Lb1ESQ_SR_ST_SU_SY_EESZ_S10_S11_S12_S16_S17_S18_S1B_S1C_jS1D_jS1E_S1E_jjS1G_bEUljE0_EEESZ_S10_S11_S18_S1C_S1E_T6_T7_T9_mT8_S1G_bDpT10_ENKUlT_T0_E_clISt17integral_constantIbLb1EES1U_EEDaS1P_S1Q_EUlS1P_E_NS1_11comp_targetILNS1_3genE9ELNS1_11target_archE1100ELNS1_3gpuE3ELNS1_3repE0EEENS1_30default_config_static_selectorELNS0_4arch9wavefront6targetE0EEEvS12_.has_indirect_call, 0
	.section	.AMDGPU.csdata,"",@progbits
; Kernel info:
; codeLenInByte = 0
; TotalNumSgprs: 0
; NumVgprs: 0
; ScratchSize: 0
; MemoryBound: 0
; FloatMode: 240
; IeeeMode: 1
; LDSByteSize: 0 bytes/workgroup (compile time only)
; SGPRBlocks: 0
; VGPRBlocks: 0
; NumSGPRsForWavesPerEU: 1
; NumVGPRsForWavesPerEU: 1
; NamedBarCnt: 0
; Occupancy: 16
; WaveLimiterHint : 0
; COMPUTE_PGM_RSRC2:SCRATCH_EN: 0
; COMPUTE_PGM_RSRC2:USER_SGPR: 2
; COMPUTE_PGM_RSRC2:TRAP_HANDLER: 0
; COMPUTE_PGM_RSRC2:TGID_X_EN: 1
; COMPUTE_PGM_RSRC2:TGID_Y_EN: 0
; COMPUTE_PGM_RSRC2:TGID_Z_EN: 0
; COMPUTE_PGM_RSRC2:TIDIG_COMP_CNT: 0
	.section	.text._ZN7rocprim17ROCPRIM_400000_NS6detail17trampoline_kernelINS0_13select_configILj256ELj13ELNS0_17block_load_methodE3ELS4_3ELS4_3ELNS0_20block_scan_algorithmE0ELj4294967295EEENS1_25partition_config_selectorILNS1_17partition_subalgoE4EjNS0_10empty_typeEbEEZZNS1_14partition_implILS8_4ELb0ES6_15HIP_vector_typeIjLj2EENS0_17counting_iteratorIjlEEPS9_SG_NS0_5tupleIJPjSI_NS0_16reverse_iteratorISI_EEEEENSH_IJSG_SG_SG_EEES9_SI_JZNS1_25segmented_radix_sort_implINS0_14default_configELb1EPKhPhPKlPlN2at6native12_GLOBAL__N_18offset_tEEE10hipError_tPvRmT1_PNSt15iterator_traitsIS12_E10value_typeET2_T3_PNS13_IS18_E10value_typeET4_jRbjT5_S1E_jjP12ihipStream_tbEUljE_ZNSN_ISO_Lb1ESQ_SR_ST_SU_SY_EESZ_S10_S11_S12_S16_S17_S18_S1B_S1C_jS1D_jS1E_S1E_jjS1G_bEUljE0_EEESZ_S10_S11_S18_S1C_S1E_T6_T7_T9_mT8_S1G_bDpT10_ENKUlT_T0_E_clISt17integral_constantIbLb1EES1U_EEDaS1P_S1Q_EUlS1P_E_NS1_11comp_targetILNS1_3genE8ELNS1_11target_archE1030ELNS1_3gpuE2ELNS1_3repE0EEENS1_30default_config_static_selectorELNS0_4arch9wavefront6targetE0EEEvS12_,"axG",@progbits,_ZN7rocprim17ROCPRIM_400000_NS6detail17trampoline_kernelINS0_13select_configILj256ELj13ELNS0_17block_load_methodE3ELS4_3ELS4_3ELNS0_20block_scan_algorithmE0ELj4294967295EEENS1_25partition_config_selectorILNS1_17partition_subalgoE4EjNS0_10empty_typeEbEEZZNS1_14partition_implILS8_4ELb0ES6_15HIP_vector_typeIjLj2EENS0_17counting_iteratorIjlEEPS9_SG_NS0_5tupleIJPjSI_NS0_16reverse_iteratorISI_EEEEENSH_IJSG_SG_SG_EEES9_SI_JZNS1_25segmented_radix_sort_implINS0_14default_configELb1EPKhPhPKlPlN2at6native12_GLOBAL__N_18offset_tEEE10hipError_tPvRmT1_PNSt15iterator_traitsIS12_E10value_typeET2_T3_PNS13_IS18_E10value_typeET4_jRbjT5_S1E_jjP12ihipStream_tbEUljE_ZNSN_ISO_Lb1ESQ_SR_ST_SU_SY_EESZ_S10_S11_S12_S16_S17_S18_S1B_S1C_jS1D_jS1E_S1E_jjS1G_bEUljE0_EEESZ_S10_S11_S18_S1C_S1E_T6_T7_T9_mT8_S1G_bDpT10_ENKUlT_T0_E_clISt17integral_constantIbLb1EES1U_EEDaS1P_S1Q_EUlS1P_E_NS1_11comp_targetILNS1_3genE8ELNS1_11target_archE1030ELNS1_3gpuE2ELNS1_3repE0EEENS1_30default_config_static_selectorELNS0_4arch9wavefront6targetE0EEEvS12_,comdat
	.globl	_ZN7rocprim17ROCPRIM_400000_NS6detail17trampoline_kernelINS0_13select_configILj256ELj13ELNS0_17block_load_methodE3ELS4_3ELS4_3ELNS0_20block_scan_algorithmE0ELj4294967295EEENS1_25partition_config_selectorILNS1_17partition_subalgoE4EjNS0_10empty_typeEbEEZZNS1_14partition_implILS8_4ELb0ES6_15HIP_vector_typeIjLj2EENS0_17counting_iteratorIjlEEPS9_SG_NS0_5tupleIJPjSI_NS0_16reverse_iteratorISI_EEEEENSH_IJSG_SG_SG_EEES9_SI_JZNS1_25segmented_radix_sort_implINS0_14default_configELb1EPKhPhPKlPlN2at6native12_GLOBAL__N_18offset_tEEE10hipError_tPvRmT1_PNSt15iterator_traitsIS12_E10value_typeET2_T3_PNS13_IS18_E10value_typeET4_jRbjT5_S1E_jjP12ihipStream_tbEUljE_ZNSN_ISO_Lb1ESQ_SR_ST_SU_SY_EESZ_S10_S11_S12_S16_S17_S18_S1B_S1C_jS1D_jS1E_S1E_jjS1G_bEUljE0_EEESZ_S10_S11_S18_S1C_S1E_T6_T7_T9_mT8_S1G_bDpT10_ENKUlT_T0_E_clISt17integral_constantIbLb1EES1U_EEDaS1P_S1Q_EUlS1P_E_NS1_11comp_targetILNS1_3genE8ELNS1_11target_archE1030ELNS1_3gpuE2ELNS1_3repE0EEENS1_30default_config_static_selectorELNS0_4arch9wavefront6targetE0EEEvS12_ ; -- Begin function _ZN7rocprim17ROCPRIM_400000_NS6detail17trampoline_kernelINS0_13select_configILj256ELj13ELNS0_17block_load_methodE3ELS4_3ELS4_3ELNS0_20block_scan_algorithmE0ELj4294967295EEENS1_25partition_config_selectorILNS1_17partition_subalgoE4EjNS0_10empty_typeEbEEZZNS1_14partition_implILS8_4ELb0ES6_15HIP_vector_typeIjLj2EENS0_17counting_iteratorIjlEEPS9_SG_NS0_5tupleIJPjSI_NS0_16reverse_iteratorISI_EEEEENSH_IJSG_SG_SG_EEES9_SI_JZNS1_25segmented_radix_sort_implINS0_14default_configELb1EPKhPhPKlPlN2at6native12_GLOBAL__N_18offset_tEEE10hipError_tPvRmT1_PNSt15iterator_traitsIS12_E10value_typeET2_T3_PNS13_IS18_E10value_typeET4_jRbjT5_S1E_jjP12ihipStream_tbEUljE_ZNSN_ISO_Lb1ESQ_SR_ST_SU_SY_EESZ_S10_S11_S12_S16_S17_S18_S1B_S1C_jS1D_jS1E_S1E_jjS1G_bEUljE0_EEESZ_S10_S11_S18_S1C_S1E_T6_T7_T9_mT8_S1G_bDpT10_ENKUlT_T0_E_clISt17integral_constantIbLb1EES1U_EEDaS1P_S1Q_EUlS1P_E_NS1_11comp_targetILNS1_3genE8ELNS1_11target_archE1030ELNS1_3gpuE2ELNS1_3repE0EEENS1_30default_config_static_selectorELNS0_4arch9wavefront6targetE0EEEvS12_
	.p2align	8
	.type	_ZN7rocprim17ROCPRIM_400000_NS6detail17trampoline_kernelINS0_13select_configILj256ELj13ELNS0_17block_load_methodE3ELS4_3ELS4_3ELNS0_20block_scan_algorithmE0ELj4294967295EEENS1_25partition_config_selectorILNS1_17partition_subalgoE4EjNS0_10empty_typeEbEEZZNS1_14partition_implILS8_4ELb0ES6_15HIP_vector_typeIjLj2EENS0_17counting_iteratorIjlEEPS9_SG_NS0_5tupleIJPjSI_NS0_16reverse_iteratorISI_EEEEENSH_IJSG_SG_SG_EEES9_SI_JZNS1_25segmented_radix_sort_implINS0_14default_configELb1EPKhPhPKlPlN2at6native12_GLOBAL__N_18offset_tEEE10hipError_tPvRmT1_PNSt15iterator_traitsIS12_E10value_typeET2_T3_PNS13_IS18_E10value_typeET4_jRbjT5_S1E_jjP12ihipStream_tbEUljE_ZNSN_ISO_Lb1ESQ_SR_ST_SU_SY_EESZ_S10_S11_S12_S16_S17_S18_S1B_S1C_jS1D_jS1E_S1E_jjS1G_bEUljE0_EEESZ_S10_S11_S18_S1C_S1E_T6_T7_T9_mT8_S1G_bDpT10_ENKUlT_T0_E_clISt17integral_constantIbLb1EES1U_EEDaS1P_S1Q_EUlS1P_E_NS1_11comp_targetILNS1_3genE8ELNS1_11target_archE1030ELNS1_3gpuE2ELNS1_3repE0EEENS1_30default_config_static_selectorELNS0_4arch9wavefront6targetE0EEEvS12_,@function
_ZN7rocprim17ROCPRIM_400000_NS6detail17trampoline_kernelINS0_13select_configILj256ELj13ELNS0_17block_load_methodE3ELS4_3ELS4_3ELNS0_20block_scan_algorithmE0ELj4294967295EEENS1_25partition_config_selectorILNS1_17partition_subalgoE4EjNS0_10empty_typeEbEEZZNS1_14partition_implILS8_4ELb0ES6_15HIP_vector_typeIjLj2EENS0_17counting_iteratorIjlEEPS9_SG_NS0_5tupleIJPjSI_NS0_16reverse_iteratorISI_EEEEENSH_IJSG_SG_SG_EEES9_SI_JZNS1_25segmented_radix_sort_implINS0_14default_configELb1EPKhPhPKlPlN2at6native12_GLOBAL__N_18offset_tEEE10hipError_tPvRmT1_PNSt15iterator_traitsIS12_E10value_typeET2_T3_PNS13_IS18_E10value_typeET4_jRbjT5_S1E_jjP12ihipStream_tbEUljE_ZNSN_ISO_Lb1ESQ_SR_ST_SU_SY_EESZ_S10_S11_S12_S16_S17_S18_S1B_S1C_jS1D_jS1E_S1E_jjS1G_bEUljE0_EEESZ_S10_S11_S18_S1C_S1E_T6_T7_T9_mT8_S1G_bDpT10_ENKUlT_T0_E_clISt17integral_constantIbLb1EES1U_EEDaS1P_S1Q_EUlS1P_E_NS1_11comp_targetILNS1_3genE8ELNS1_11target_archE1030ELNS1_3gpuE2ELNS1_3repE0EEENS1_30default_config_static_selectorELNS0_4arch9wavefront6targetE0EEEvS12_: ; @_ZN7rocprim17ROCPRIM_400000_NS6detail17trampoline_kernelINS0_13select_configILj256ELj13ELNS0_17block_load_methodE3ELS4_3ELS4_3ELNS0_20block_scan_algorithmE0ELj4294967295EEENS1_25partition_config_selectorILNS1_17partition_subalgoE4EjNS0_10empty_typeEbEEZZNS1_14partition_implILS8_4ELb0ES6_15HIP_vector_typeIjLj2EENS0_17counting_iteratorIjlEEPS9_SG_NS0_5tupleIJPjSI_NS0_16reverse_iteratorISI_EEEEENSH_IJSG_SG_SG_EEES9_SI_JZNS1_25segmented_radix_sort_implINS0_14default_configELb1EPKhPhPKlPlN2at6native12_GLOBAL__N_18offset_tEEE10hipError_tPvRmT1_PNSt15iterator_traitsIS12_E10value_typeET2_T3_PNS13_IS18_E10value_typeET4_jRbjT5_S1E_jjP12ihipStream_tbEUljE_ZNSN_ISO_Lb1ESQ_SR_ST_SU_SY_EESZ_S10_S11_S12_S16_S17_S18_S1B_S1C_jS1D_jS1E_S1E_jjS1G_bEUljE0_EEESZ_S10_S11_S18_S1C_S1E_T6_T7_T9_mT8_S1G_bDpT10_ENKUlT_T0_E_clISt17integral_constantIbLb1EES1U_EEDaS1P_S1Q_EUlS1P_E_NS1_11comp_targetILNS1_3genE8ELNS1_11target_archE1030ELNS1_3gpuE2ELNS1_3repE0EEENS1_30default_config_static_selectorELNS0_4arch9wavefront6targetE0EEEvS12_
; %bb.0:
	.section	.rodata,"a",@progbits
	.p2align	6, 0x0
	.amdhsa_kernel _ZN7rocprim17ROCPRIM_400000_NS6detail17trampoline_kernelINS0_13select_configILj256ELj13ELNS0_17block_load_methodE3ELS4_3ELS4_3ELNS0_20block_scan_algorithmE0ELj4294967295EEENS1_25partition_config_selectorILNS1_17partition_subalgoE4EjNS0_10empty_typeEbEEZZNS1_14partition_implILS8_4ELb0ES6_15HIP_vector_typeIjLj2EENS0_17counting_iteratorIjlEEPS9_SG_NS0_5tupleIJPjSI_NS0_16reverse_iteratorISI_EEEEENSH_IJSG_SG_SG_EEES9_SI_JZNS1_25segmented_radix_sort_implINS0_14default_configELb1EPKhPhPKlPlN2at6native12_GLOBAL__N_18offset_tEEE10hipError_tPvRmT1_PNSt15iterator_traitsIS12_E10value_typeET2_T3_PNS13_IS18_E10value_typeET4_jRbjT5_S1E_jjP12ihipStream_tbEUljE_ZNSN_ISO_Lb1ESQ_SR_ST_SU_SY_EESZ_S10_S11_S12_S16_S17_S18_S1B_S1C_jS1D_jS1E_S1E_jjS1G_bEUljE0_EEESZ_S10_S11_S18_S1C_S1E_T6_T7_T9_mT8_S1G_bDpT10_ENKUlT_T0_E_clISt17integral_constantIbLb1EES1U_EEDaS1P_S1Q_EUlS1P_E_NS1_11comp_targetILNS1_3genE8ELNS1_11target_archE1030ELNS1_3gpuE2ELNS1_3repE0EEENS1_30default_config_static_selectorELNS0_4arch9wavefront6targetE0EEEvS12_
		.amdhsa_group_segment_fixed_size 0
		.amdhsa_private_segment_fixed_size 0
		.amdhsa_kernarg_size 184
		.amdhsa_user_sgpr_count 2
		.amdhsa_user_sgpr_dispatch_ptr 0
		.amdhsa_user_sgpr_queue_ptr 0
		.amdhsa_user_sgpr_kernarg_segment_ptr 1
		.amdhsa_user_sgpr_dispatch_id 0
		.amdhsa_user_sgpr_kernarg_preload_length 0
		.amdhsa_user_sgpr_kernarg_preload_offset 0
		.amdhsa_user_sgpr_private_segment_size 0
		.amdhsa_wavefront_size32 1
		.amdhsa_uses_dynamic_stack 0
		.amdhsa_enable_private_segment 0
		.amdhsa_system_sgpr_workgroup_id_x 1
		.amdhsa_system_sgpr_workgroup_id_y 0
		.amdhsa_system_sgpr_workgroup_id_z 0
		.amdhsa_system_sgpr_workgroup_info 0
		.amdhsa_system_vgpr_workitem_id 0
		.amdhsa_next_free_vgpr 1
		.amdhsa_next_free_sgpr 1
		.amdhsa_named_barrier_count 0
		.amdhsa_reserve_vcc 0
		.amdhsa_float_round_mode_32 0
		.amdhsa_float_round_mode_16_64 0
		.amdhsa_float_denorm_mode_32 3
		.amdhsa_float_denorm_mode_16_64 3
		.amdhsa_fp16_overflow 0
		.amdhsa_memory_ordered 1
		.amdhsa_forward_progress 1
		.amdhsa_inst_pref_size 0
		.amdhsa_round_robin_scheduling 0
		.amdhsa_exception_fp_ieee_invalid_op 0
		.amdhsa_exception_fp_denorm_src 0
		.amdhsa_exception_fp_ieee_div_zero 0
		.amdhsa_exception_fp_ieee_overflow 0
		.amdhsa_exception_fp_ieee_underflow 0
		.amdhsa_exception_fp_ieee_inexact 0
		.amdhsa_exception_int_div_zero 0
	.end_amdhsa_kernel
	.section	.text._ZN7rocprim17ROCPRIM_400000_NS6detail17trampoline_kernelINS0_13select_configILj256ELj13ELNS0_17block_load_methodE3ELS4_3ELS4_3ELNS0_20block_scan_algorithmE0ELj4294967295EEENS1_25partition_config_selectorILNS1_17partition_subalgoE4EjNS0_10empty_typeEbEEZZNS1_14partition_implILS8_4ELb0ES6_15HIP_vector_typeIjLj2EENS0_17counting_iteratorIjlEEPS9_SG_NS0_5tupleIJPjSI_NS0_16reverse_iteratorISI_EEEEENSH_IJSG_SG_SG_EEES9_SI_JZNS1_25segmented_radix_sort_implINS0_14default_configELb1EPKhPhPKlPlN2at6native12_GLOBAL__N_18offset_tEEE10hipError_tPvRmT1_PNSt15iterator_traitsIS12_E10value_typeET2_T3_PNS13_IS18_E10value_typeET4_jRbjT5_S1E_jjP12ihipStream_tbEUljE_ZNSN_ISO_Lb1ESQ_SR_ST_SU_SY_EESZ_S10_S11_S12_S16_S17_S18_S1B_S1C_jS1D_jS1E_S1E_jjS1G_bEUljE0_EEESZ_S10_S11_S18_S1C_S1E_T6_T7_T9_mT8_S1G_bDpT10_ENKUlT_T0_E_clISt17integral_constantIbLb1EES1U_EEDaS1P_S1Q_EUlS1P_E_NS1_11comp_targetILNS1_3genE8ELNS1_11target_archE1030ELNS1_3gpuE2ELNS1_3repE0EEENS1_30default_config_static_selectorELNS0_4arch9wavefront6targetE0EEEvS12_,"axG",@progbits,_ZN7rocprim17ROCPRIM_400000_NS6detail17trampoline_kernelINS0_13select_configILj256ELj13ELNS0_17block_load_methodE3ELS4_3ELS4_3ELNS0_20block_scan_algorithmE0ELj4294967295EEENS1_25partition_config_selectorILNS1_17partition_subalgoE4EjNS0_10empty_typeEbEEZZNS1_14partition_implILS8_4ELb0ES6_15HIP_vector_typeIjLj2EENS0_17counting_iteratorIjlEEPS9_SG_NS0_5tupleIJPjSI_NS0_16reverse_iteratorISI_EEEEENSH_IJSG_SG_SG_EEES9_SI_JZNS1_25segmented_radix_sort_implINS0_14default_configELb1EPKhPhPKlPlN2at6native12_GLOBAL__N_18offset_tEEE10hipError_tPvRmT1_PNSt15iterator_traitsIS12_E10value_typeET2_T3_PNS13_IS18_E10value_typeET4_jRbjT5_S1E_jjP12ihipStream_tbEUljE_ZNSN_ISO_Lb1ESQ_SR_ST_SU_SY_EESZ_S10_S11_S12_S16_S17_S18_S1B_S1C_jS1D_jS1E_S1E_jjS1G_bEUljE0_EEESZ_S10_S11_S18_S1C_S1E_T6_T7_T9_mT8_S1G_bDpT10_ENKUlT_T0_E_clISt17integral_constantIbLb1EES1U_EEDaS1P_S1Q_EUlS1P_E_NS1_11comp_targetILNS1_3genE8ELNS1_11target_archE1030ELNS1_3gpuE2ELNS1_3repE0EEENS1_30default_config_static_selectorELNS0_4arch9wavefront6targetE0EEEvS12_,comdat
.Lfunc_end28:
	.size	_ZN7rocprim17ROCPRIM_400000_NS6detail17trampoline_kernelINS0_13select_configILj256ELj13ELNS0_17block_load_methodE3ELS4_3ELS4_3ELNS0_20block_scan_algorithmE0ELj4294967295EEENS1_25partition_config_selectorILNS1_17partition_subalgoE4EjNS0_10empty_typeEbEEZZNS1_14partition_implILS8_4ELb0ES6_15HIP_vector_typeIjLj2EENS0_17counting_iteratorIjlEEPS9_SG_NS0_5tupleIJPjSI_NS0_16reverse_iteratorISI_EEEEENSH_IJSG_SG_SG_EEES9_SI_JZNS1_25segmented_radix_sort_implINS0_14default_configELb1EPKhPhPKlPlN2at6native12_GLOBAL__N_18offset_tEEE10hipError_tPvRmT1_PNSt15iterator_traitsIS12_E10value_typeET2_T3_PNS13_IS18_E10value_typeET4_jRbjT5_S1E_jjP12ihipStream_tbEUljE_ZNSN_ISO_Lb1ESQ_SR_ST_SU_SY_EESZ_S10_S11_S12_S16_S17_S18_S1B_S1C_jS1D_jS1E_S1E_jjS1G_bEUljE0_EEESZ_S10_S11_S18_S1C_S1E_T6_T7_T9_mT8_S1G_bDpT10_ENKUlT_T0_E_clISt17integral_constantIbLb1EES1U_EEDaS1P_S1Q_EUlS1P_E_NS1_11comp_targetILNS1_3genE8ELNS1_11target_archE1030ELNS1_3gpuE2ELNS1_3repE0EEENS1_30default_config_static_selectorELNS0_4arch9wavefront6targetE0EEEvS12_, .Lfunc_end28-_ZN7rocprim17ROCPRIM_400000_NS6detail17trampoline_kernelINS0_13select_configILj256ELj13ELNS0_17block_load_methodE3ELS4_3ELS4_3ELNS0_20block_scan_algorithmE0ELj4294967295EEENS1_25partition_config_selectorILNS1_17partition_subalgoE4EjNS0_10empty_typeEbEEZZNS1_14partition_implILS8_4ELb0ES6_15HIP_vector_typeIjLj2EENS0_17counting_iteratorIjlEEPS9_SG_NS0_5tupleIJPjSI_NS0_16reverse_iteratorISI_EEEEENSH_IJSG_SG_SG_EEES9_SI_JZNS1_25segmented_radix_sort_implINS0_14default_configELb1EPKhPhPKlPlN2at6native12_GLOBAL__N_18offset_tEEE10hipError_tPvRmT1_PNSt15iterator_traitsIS12_E10value_typeET2_T3_PNS13_IS18_E10value_typeET4_jRbjT5_S1E_jjP12ihipStream_tbEUljE_ZNSN_ISO_Lb1ESQ_SR_ST_SU_SY_EESZ_S10_S11_S12_S16_S17_S18_S1B_S1C_jS1D_jS1E_S1E_jjS1G_bEUljE0_EEESZ_S10_S11_S18_S1C_S1E_T6_T7_T9_mT8_S1G_bDpT10_ENKUlT_T0_E_clISt17integral_constantIbLb1EES1U_EEDaS1P_S1Q_EUlS1P_E_NS1_11comp_targetILNS1_3genE8ELNS1_11target_archE1030ELNS1_3gpuE2ELNS1_3repE0EEENS1_30default_config_static_selectorELNS0_4arch9wavefront6targetE0EEEvS12_
                                        ; -- End function
	.set _ZN7rocprim17ROCPRIM_400000_NS6detail17trampoline_kernelINS0_13select_configILj256ELj13ELNS0_17block_load_methodE3ELS4_3ELS4_3ELNS0_20block_scan_algorithmE0ELj4294967295EEENS1_25partition_config_selectorILNS1_17partition_subalgoE4EjNS0_10empty_typeEbEEZZNS1_14partition_implILS8_4ELb0ES6_15HIP_vector_typeIjLj2EENS0_17counting_iteratorIjlEEPS9_SG_NS0_5tupleIJPjSI_NS0_16reverse_iteratorISI_EEEEENSH_IJSG_SG_SG_EEES9_SI_JZNS1_25segmented_radix_sort_implINS0_14default_configELb1EPKhPhPKlPlN2at6native12_GLOBAL__N_18offset_tEEE10hipError_tPvRmT1_PNSt15iterator_traitsIS12_E10value_typeET2_T3_PNS13_IS18_E10value_typeET4_jRbjT5_S1E_jjP12ihipStream_tbEUljE_ZNSN_ISO_Lb1ESQ_SR_ST_SU_SY_EESZ_S10_S11_S12_S16_S17_S18_S1B_S1C_jS1D_jS1E_S1E_jjS1G_bEUljE0_EEESZ_S10_S11_S18_S1C_S1E_T6_T7_T9_mT8_S1G_bDpT10_ENKUlT_T0_E_clISt17integral_constantIbLb1EES1U_EEDaS1P_S1Q_EUlS1P_E_NS1_11comp_targetILNS1_3genE8ELNS1_11target_archE1030ELNS1_3gpuE2ELNS1_3repE0EEENS1_30default_config_static_selectorELNS0_4arch9wavefront6targetE0EEEvS12_.num_vgpr, 0
	.set _ZN7rocprim17ROCPRIM_400000_NS6detail17trampoline_kernelINS0_13select_configILj256ELj13ELNS0_17block_load_methodE3ELS4_3ELS4_3ELNS0_20block_scan_algorithmE0ELj4294967295EEENS1_25partition_config_selectorILNS1_17partition_subalgoE4EjNS0_10empty_typeEbEEZZNS1_14partition_implILS8_4ELb0ES6_15HIP_vector_typeIjLj2EENS0_17counting_iteratorIjlEEPS9_SG_NS0_5tupleIJPjSI_NS0_16reverse_iteratorISI_EEEEENSH_IJSG_SG_SG_EEES9_SI_JZNS1_25segmented_radix_sort_implINS0_14default_configELb1EPKhPhPKlPlN2at6native12_GLOBAL__N_18offset_tEEE10hipError_tPvRmT1_PNSt15iterator_traitsIS12_E10value_typeET2_T3_PNS13_IS18_E10value_typeET4_jRbjT5_S1E_jjP12ihipStream_tbEUljE_ZNSN_ISO_Lb1ESQ_SR_ST_SU_SY_EESZ_S10_S11_S12_S16_S17_S18_S1B_S1C_jS1D_jS1E_S1E_jjS1G_bEUljE0_EEESZ_S10_S11_S18_S1C_S1E_T6_T7_T9_mT8_S1G_bDpT10_ENKUlT_T0_E_clISt17integral_constantIbLb1EES1U_EEDaS1P_S1Q_EUlS1P_E_NS1_11comp_targetILNS1_3genE8ELNS1_11target_archE1030ELNS1_3gpuE2ELNS1_3repE0EEENS1_30default_config_static_selectorELNS0_4arch9wavefront6targetE0EEEvS12_.num_agpr, 0
	.set _ZN7rocprim17ROCPRIM_400000_NS6detail17trampoline_kernelINS0_13select_configILj256ELj13ELNS0_17block_load_methodE3ELS4_3ELS4_3ELNS0_20block_scan_algorithmE0ELj4294967295EEENS1_25partition_config_selectorILNS1_17partition_subalgoE4EjNS0_10empty_typeEbEEZZNS1_14partition_implILS8_4ELb0ES6_15HIP_vector_typeIjLj2EENS0_17counting_iteratorIjlEEPS9_SG_NS0_5tupleIJPjSI_NS0_16reverse_iteratorISI_EEEEENSH_IJSG_SG_SG_EEES9_SI_JZNS1_25segmented_radix_sort_implINS0_14default_configELb1EPKhPhPKlPlN2at6native12_GLOBAL__N_18offset_tEEE10hipError_tPvRmT1_PNSt15iterator_traitsIS12_E10value_typeET2_T3_PNS13_IS18_E10value_typeET4_jRbjT5_S1E_jjP12ihipStream_tbEUljE_ZNSN_ISO_Lb1ESQ_SR_ST_SU_SY_EESZ_S10_S11_S12_S16_S17_S18_S1B_S1C_jS1D_jS1E_S1E_jjS1G_bEUljE0_EEESZ_S10_S11_S18_S1C_S1E_T6_T7_T9_mT8_S1G_bDpT10_ENKUlT_T0_E_clISt17integral_constantIbLb1EES1U_EEDaS1P_S1Q_EUlS1P_E_NS1_11comp_targetILNS1_3genE8ELNS1_11target_archE1030ELNS1_3gpuE2ELNS1_3repE0EEENS1_30default_config_static_selectorELNS0_4arch9wavefront6targetE0EEEvS12_.numbered_sgpr, 0
	.set _ZN7rocprim17ROCPRIM_400000_NS6detail17trampoline_kernelINS0_13select_configILj256ELj13ELNS0_17block_load_methodE3ELS4_3ELS4_3ELNS0_20block_scan_algorithmE0ELj4294967295EEENS1_25partition_config_selectorILNS1_17partition_subalgoE4EjNS0_10empty_typeEbEEZZNS1_14partition_implILS8_4ELb0ES6_15HIP_vector_typeIjLj2EENS0_17counting_iteratorIjlEEPS9_SG_NS0_5tupleIJPjSI_NS0_16reverse_iteratorISI_EEEEENSH_IJSG_SG_SG_EEES9_SI_JZNS1_25segmented_radix_sort_implINS0_14default_configELb1EPKhPhPKlPlN2at6native12_GLOBAL__N_18offset_tEEE10hipError_tPvRmT1_PNSt15iterator_traitsIS12_E10value_typeET2_T3_PNS13_IS18_E10value_typeET4_jRbjT5_S1E_jjP12ihipStream_tbEUljE_ZNSN_ISO_Lb1ESQ_SR_ST_SU_SY_EESZ_S10_S11_S12_S16_S17_S18_S1B_S1C_jS1D_jS1E_S1E_jjS1G_bEUljE0_EEESZ_S10_S11_S18_S1C_S1E_T6_T7_T9_mT8_S1G_bDpT10_ENKUlT_T0_E_clISt17integral_constantIbLb1EES1U_EEDaS1P_S1Q_EUlS1P_E_NS1_11comp_targetILNS1_3genE8ELNS1_11target_archE1030ELNS1_3gpuE2ELNS1_3repE0EEENS1_30default_config_static_selectorELNS0_4arch9wavefront6targetE0EEEvS12_.num_named_barrier, 0
	.set _ZN7rocprim17ROCPRIM_400000_NS6detail17trampoline_kernelINS0_13select_configILj256ELj13ELNS0_17block_load_methodE3ELS4_3ELS4_3ELNS0_20block_scan_algorithmE0ELj4294967295EEENS1_25partition_config_selectorILNS1_17partition_subalgoE4EjNS0_10empty_typeEbEEZZNS1_14partition_implILS8_4ELb0ES6_15HIP_vector_typeIjLj2EENS0_17counting_iteratorIjlEEPS9_SG_NS0_5tupleIJPjSI_NS0_16reverse_iteratorISI_EEEEENSH_IJSG_SG_SG_EEES9_SI_JZNS1_25segmented_radix_sort_implINS0_14default_configELb1EPKhPhPKlPlN2at6native12_GLOBAL__N_18offset_tEEE10hipError_tPvRmT1_PNSt15iterator_traitsIS12_E10value_typeET2_T3_PNS13_IS18_E10value_typeET4_jRbjT5_S1E_jjP12ihipStream_tbEUljE_ZNSN_ISO_Lb1ESQ_SR_ST_SU_SY_EESZ_S10_S11_S12_S16_S17_S18_S1B_S1C_jS1D_jS1E_S1E_jjS1G_bEUljE0_EEESZ_S10_S11_S18_S1C_S1E_T6_T7_T9_mT8_S1G_bDpT10_ENKUlT_T0_E_clISt17integral_constantIbLb1EES1U_EEDaS1P_S1Q_EUlS1P_E_NS1_11comp_targetILNS1_3genE8ELNS1_11target_archE1030ELNS1_3gpuE2ELNS1_3repE0EEENS1_30default_config_static_selectorELNS0_4arch9wavefront6targetE0EEEvS12_.private_seg_size, 0
	.set _ZN7rocprim17ROCPRIM_400000_NS6detail17trampoline_kernelINS0_13select_configILj256ELj13ELNS0_17block_load_methodE3ELS4_3ELS4_3ELNS0_20block_scan_algorithmE0ELj4294967295EEENS1_25partition_config_selectorILNS1_17partition_subalgoE4EjNS0_10empty_typeEbEEZZNS1_14partition_implILS8_4ELb0ES6_15HIP_vector_typeIjLj2EENS0_17counting_iteratorIjlEEPS9_SG_NS0_5tupleIJPjSI_NS0_16reverse_iteratorISI_EEEEENSH_IJSG_SG_SG_EEES9_SI_JZNS1_25segmented_radix_sort_implINS0_14default_configELb1EPKhPhPKlPlN2at6native12_GLOBAL__N_18offset_tEEE10hipError_tPvRmT1_PNSt15iterator_traitsIS12_E10value_typeET2_T3_PNS13_IS18_E10value_typeET4_jRbjT5_S1E_jjP12ihipStream_tbEUljE_ZNSN_ISO_Lb1ESQ_SR_ST_SU_SY_EESZ_S10_S11_S12_S16_S17_S18_S1B_S1C_jS1D_jS1E_S1E_jjS1G_bEUljE0_EEESZ_S10_S11_S18_S1C_S1E_T6_T7_T9_mT8_S1G_bDpT10_ENKUlT_T0_E_clISt17integral_constantIbLb1EES1U_EEDaS1P_S1Q_EUlS1P_E_NS1_11comp_targetILNS1_3genE8ELNS1_11target_archE1030ELNS1_3gpuE2ELNS1_3repE0EEENS1_30default_config_static_selectorELNS0_4arch9wavefront6targetE0EEEvS12_.uses_vcc, 0
	.set _ZN7rocprim17ROCPRIM_400000_NS6detail17trampoline_kernelINS0_13select_configILj256ELj13ELNS0_17block_load_methodE3ELS4_3ELS4_3ELNS0_20block_scan_algorithmE0ELj4294967295EEENS1_25partition_config_selectorILNS1_17partition_subalgoE4EjNS0_10empty_typeEbEEZZNS1_14partition_implILS8_4ELb0ES6_15HIP_vector_typeIjLj2EENS0_17counting_iteratorIjlEEPS9_SG_NS0_5tupleIJPjSI_NS0_16reverse_iteratorISI_EEEEENSH_IJSG_SG_SG_EEES9_SI_JZNS1_25segmented_radix_sort_implINS0_14default_configELb1EPKhPhPKlPlN2at6native12_GLOBAL__N_18offset_tEEE10hipError_tPvRmT1_PNSt15iterator_traitsIS12_E10value_typeET2_T3_PNS13_IS18_E10value_typeET4_jRbjT5_S1E_jjP12ihipStream_tbEUljE_ZNSN_ISO_Lb1ESQ_SR_ST_SU_SY_EESZ_S10_S11_S12_S16_S17_S18_S1B_S1C_jS1D_jS1E_S1E_jjS1G_bEUljE0_EEESZ_S10_S11_S18_S1C_S1E_T6_T7_T9_mT8_S1G_bDpT10_ENKUlT_T0_E_clISt17integral_constantIbLb1EES1U_EEDaS1P_S1Q_EUlS1P_E_NS1_11comp_targetILNS1_3genE8ELNS1_11target_archE1030ELNS1_3gpuE2ELNS1_3repE0EEENS1_30default_config_static_selectorELNS0_4arch9wavefront6targetE0EEEvS12_.uses_flat_scratch, 0
	.set _ZN7rocprim17ROCPRIM_400000_NS6detail17trampoline_kernelINS0_13select_configILj256ELj13ELNS0_17block_load_methodE3ELS4_3ELS4_3ELNS0_20block_scan_algorithmE0ELj4294967295EEENS1_25partition_config_selectorILNS1_17partition_subalgoE4EjNS0_10empty_typeEbEEZZNS1_14partition_implILS8_4ELb0ES6_15HIP_vector_typeIjLj2EENS0_17counting_iteratorIjlEEPS9_SG_NS0_5tupleIJPjSI_NS0_16reverse_iteratorISI_EEEEENSH_IJSG_SG_SG_EEES9_SI_JZNS1_25segmented_radix_sort_implINS0_14default_configELb1EPKhPhPKlPlN2at6native12_GLOBAL__N_18offset_tEEE10hipError_tPvRmT1_PNSt15iterator_traitsIS12_E10value_typeET2_T3_PNS13_IS18_E10value_typeET4_jRbjT5_S1E_jjP12ihipStream_tbEUljE_ZNSN_ISO_Lb1ESQ_SR_ST_SU_SY_EESZ_S10_S11_S12_S16_S17_S18_S1B_S1C_jS1D_jS1E_S1E_jjS1G_bEUljE0_EEESZ_S10_S11_S18_S1C_S1E_T6_T7_T9_mT8_S1G_bDpT10_ENKUlT_T0_E_clISt17integral_constantIbLb1EES1U_EEDaS1P_S1Q_EUlS1P_E_NS1_11comp_targetILNS1_3genE8ELNS1_11target_archE1030ELNS1_3gpuE2ELNS1_3repE0EEENS1_30default_config_static_selectorELNS0_4arch9wavefront6targetE0EEEvS12_.has_dyn_sized_stack, 0
	.set _ZN7rocprim17ROCPRIM_400000_NS6detail17trampoline_kernelINS0_13select_configILj256ELj13ELNS0_17block_load_methodE3ELS4_3ELS4_3ELNS0_20block_scan_algorithmE0ELj4294967295EEENS1_25partition_config_selectorILNS1_17partition_subalgoE4EjNS0_10empty_typeEbEEZZNS1_14partition_implILS8_4ELb0ES6_15HIP_vector_typeIjLj2EENS0_17counting_iteratorIjlEEPS9_SG_NS0_5tupleIJPjSI_NS0_16reverse_iteratorISI_EEEEENSH_IJSG_SG_SG_EEES9_SI_JZNS1_25segmented_radix_sort_implINS0_14default_configELb1EPKhPhPKlPlN2at6native12_GLOBAL__N_18offset_tEEE10hipError_tPvRmT1_PNSt15iterator_traitsIS12_E10value_typeET2_T3_PNS13_IS18_E10value_typeET4_jRbjT5_S1E_jjP12ihipStream_tbEUljE_ZNSN_ISO_Lb1ESQ_SR_ST_SU_SY_EESZ_S10_S11_S12_S16_S17_S18_S1B_S1C_jS1D_jS1E_S1E_jjS1G_bEUljE0_EEESZ_S10_S11_S18_S1C_S1E_T6_T7_T9_mT8_S1G_bDpT10_ENKUlT_T0_E_clISt17integral_constantIbLb1EES1U_EEDaS1P_S1Q_EUlS1P_E_NS1_11comp_targetILNS1_3genE8ELNS1_11target_archE1030ELNS1_3gpuE2ELNS1_3repE0EEENS1_30default_config_static_selectorELNS0_4arch9wavefront6targetE0EEEvS12_.has_recursion, 0
	.set _ZN7rocprim17ROCPRIM_400000_NS6detail17trampoline_kernelINS0_13select_configILj256ELj13ELNS0_17block_load_methodE3ELS4_3ELS4_3ELNS0_20block_scan_algorithmE0ELj4294967295EEENS1_25partition_config_selectorILNS1_17partition_subalgoE4EjNS0_10empty_typeEbEEZZNS1_14partition_implILS8_4ELb0ES6_15HIP_vector_typeIjLj2EENS0_17counting_iteratorIjlEEPS9_SG_NS0_5tupleIJPjSI_NS0_16reverse_iteratorISI_EEEEENSH_IJSG_SG_SG_EEES9_SI_JZNS1_25segmented_radix_sort_implINS0_14default_configELb1EPKhPhPKlPlN2at6native12_GLOBAL__N_18offset_tEEE10hipError_tPvRmT1_PNSt15iterator_traitsIS12_E10value_typeET2_T3_PNS13_IS18_E10value_typeET4_jRbjT5_S1E_jjP12ihipStream_tbEUljE_ZNSN_ISO_Lb1ESQ_SR_ST_SU_SY_EESZ_S10_S11_S12_S16_S17_S18_S1B_S1C_jS1D_jS1E_S1E_jjS1G_bEUljE0_EEESZ_S10_S11_S18_S1C_S1E_T6_T7_T9_mT8_S1G_bDpT10_ENKUlT_T0_E_clISt17integral_constantIbLb1EES1U_EEDaS1P_S1Q_EUlS1P_E_NS1_11comp_targetILNS1_3genE8ELNS1_11target_archE1030ELNS1_3gpuE2ELNS1_3repE0EEENS1_30default_config_static_selectorELNS0_4arch9wavefront6targetE0EEEvS12_.has_indirect_call, 0
	.section	.AMDGPU.csdata,"",@progbits
; Kernel info:
; codeLenInByte = 0
; TotalNumSgprs: 0
; NumVgprs: 0
; ScratchSize: 0
; MemoryBound: 0
; FloatMode: 240
; IeeeMode: 1
; LDSByteSize: 0 bytes/workgroup (compile time only)
; SGPRBlocks: 0
; VGPRBlocks: 0
; NumSGPRsForWavesPerEU: 1
; NumVGPRsForWavesPerEU: 1
; NamedBarCnt: 0
; Occupancy: 16
; WaveLimiterHint : 0
; COMPUTE_PGM_RSRC2:SCRATCH_EN: 0
; COMPUTE_PGM_RSRC2:USER_SGPR: 2
; COMPUTE_PGM_RSRC2:TRAP_HANDLER: 0
; COMPUTE_PGM_RSRC2:TGID_X_EN: 1
; COMPUTE_PGM_RSRC2:TGID_Y_EN: 0
; COMPUTE_PGM_RSRC2:TGID_Z_EN: 0
; COMPUTE_PGM_RSRC2:TIDIG_COMP_CNT: 0
	.section	.text._ZN7rocprim17ROCPRIM_400000_NS6detail31init_lookback_scan_state_kernelINS1_19lookback_scan_stateI15HIP_vector_typeIjLj2EELb1ELb1EEENS1_16block_id_wrapperIjLb0EEEEEvT_jT0_jPNS9_10value_typeE,"axG",@progbits,_ZN7rocprim17ROCPRIM_400000_NS6detail31init_lookback_scan_state_kernelINS1_19lookback_scan_stateI15HIP_vector_typeIjLj2EELb1ELb1EEENS1_16block_id_wrapperIjLb0EEEEEvT_jT0_jPNS9_10value_typeE,comdat
	.protected	_ZN7rocprim17ROCPRIM_400000_NS6detail31init_lookback_scan_state_kernelINS1_19lookback_scan_stateI15HIP_vector_typeIjLj2EELb1ELb1EEENS1_16block_id_wrapperIjLb0EEEEEvT_jT0_jPNS9_10value_typeE ; -- Begin function _ZN7rocprim17ROCPRIM_400000_NS6detail31init_lookback_scan_state_kernelINS1_19lookback_scan_stateI15HIP_vector_typeIjLj2EELb1ELb1EEENS1_16block_id_wrapperIjLb0EEEEEvT_jT0_jPNS9_10value_typeE
	.globl	_ZN7rocprim17ROCPRIM_400000_NS6detail31init_lookback_scan_state_kernelINS1_19lookback_scan_stateI15HIP_vector_typeIjLj2EELb1ELb1EEENS1_16block_id_wrapperIjLb0EEEEEvT_jT0_jPNS9_10value_typeE
	.p2align	8
	.type	_ZN7rocprim17ROCPRIM_400000_NS6detail31init_lookback_scan_state_kernelINS1_19lookback_scan_stateI15HIP_vector_typeIjLj2EELb1ELb1EEENS1_16block_id_wrapperIjLb0EEEEEvT_jT0_jPNS9_10value_typeE,@function
_ZN7rocprim17ROCPRIM_400000_NS6detail31init_lookback_scan_state_kernelINS1_19lookback_scan_stateI15HIP_vector_typeIjLj2EELb1ELb1EEENS1_16block_id_wrapperIjLb0EEEEEvT_jT0_jPNS9_10value_typeE: ; @_ZN7rocprim17ROCPRIM_400000_NS6detail31init_lookback_scan_state_kernelINS1_19lookback_scan_stateI15HIP_vector_typeIjLj2EELb1ELb1EEENS1_16block_id_wrapperIjLb0EEEEEvT_jT0_jPNS9_10value_typeE
; %bb.0:
	s_clause 0x2
	s_load_b32 s7, s[0:1], 0x2c
	s_load_b96 s[4:6], s[0:1], 0x0
	s_load_b64 s[2:3], s[0:1], 0x18
	s_bfe_u32 s8, ttmp6, 0x4000c
	s_and_b32 s9, ttmp6, 15
	s_add_co_i32 s8, s8, 1
	s_getreg_b32 s10, hwreg(HW_REG_IB_STS2, 6, 4)
	s_mul_i32 s8, ttmp9, s8
	s_delay_alu instid0(SALU_CYCLE_1)
	s_add_co_i32 s9, s9, s8
	s_wait_kmcnt 0x0
	s_and_b32 s7, s7, 0xffff
	s_cmp_eq_u32 s10, 0
	s_cselect_b32 s8, ttmp9, s9
	s_cmp_eq_u64 s[2:3], 0
	v_mad_u32 v8, s8, s7, v0
	s_cbranch_scc1 .LBB29_10
; %bb.1:
	s_load_b32 s0, s[0:1], 0x10
	s_mov_b32 s7, exec_lo
	s_wait_kmcnt 0x0
	s_cmp_lt_u32 s0, s6
	s_cselect_b32 s1, s0, 0
	s_delay_alu instid0(VALU_DEP_1) | instid1(SALU_CYCLE_1)
	v_cmpx_eq_u32_e64 s1, v8
	s_cbranch_execz .LBB29_9
; %bb.2:
	s_add_co_i32 s0, s0, 32
	s_mov_b32 s1, 0
	v_mov_b32_e32 v5, 0
	s_lshl_b64 s[8:9], s[0:1], 4
	s_mov_b32 s0, exec_lo
	s_add_nc_u64 s[8:9], s[4:5], s[8:9]
	s_delay_alu instid0(SALU_CYCLE_1) | instskip(SKIP_2) | instid1(VALU_DEP_1)
	v_mov_b64_e32 v[0:1], s[8:9]
	;;#ASMSTART
	global_load_b128 v[0:3], v[0:1] off scope:SCOPE_DEV	
s_wait_loadcnt 0x0
	;;#ASMEND
	v_and_b32_e32 v4, 0xff, v2
	v_cmpx_eq_u64_e32 0, v[4:5]
	s_cbranch_execz .LBB29_8
; %bb.3:
	v_mov_b64_e32 v[6:7], s[8:9]
	s_mov_b32 s8, 1
.LBB29_4:                               ; =>This Loop Header: Depth=1
                                        ;     Child Loop BB29_5 Depth 2
	s_delay_alu instid0(SALU_CYCLE_1)
	s_mov_b32 s9, s8
.LBB29_5:                               ;   Parent Loop BB29_4 Depth=1
                                        ; =>  This Inner Loop Header: Depth=2
	s_delay_alu instid0(SALU_CYCLE_1)
	s_add_co_i32 s9, s9, -1
	s_sleep 1
	s_cmp_eq_u32 s9, 0
	s_cbranch_scc0 .LBB29_5
; %bb.6:                                ;   in Loop: Header=BB29_4 Depth=1
	;;#ASMSTART
	global_load_b128 v[0:3], v[6:7] off scope:SCOPE_DEV	
s_wait_loadcnt 0x0
	;;#ASMEND
	v_and_b32_e32 v4, 0xff, v2
	s_cmp_lt_u32 s8, 32
	s_cselect_b32 s9, -1, 0
	s_delay_alu instid0(VALU_DEP_1) | instskip(SKIP_3) | instid1(SALU_CYCLE_1)
	v_cmp_ne_u64_e32 vcc_lo, 0, v[4:5]
	s_cmp_lg_u32 s9, 0
	s_add_co_ci_u32 s8, s8, 0
	s_or_b32 s1, vcc_lo, s1
	s_and_not1_b32 exec_lo, exec_lo, s1
	s_cbranch_execnz .LBB29_4
; %bb.7:
	s_or_b32 exec_lo, exec_lo, s1
.LBB29_8:
	s_delay_alu instid0(SALU_CYCLE_1)
	s_or_b32 exec_lo, exec_lo, s0
	v_mov_b32_e32 v2, 0
	global_store_b64 v2, v[0:1], s[2:3]
.LBB29_9:
	s_wait_xcnt 0x0
	s_or_b32 exec_lo, exec_lo, s7
.LBB29_10:
	s_delay_alu instid0(SALU_CYCLE_1) | instskip(NEXT) | instid1(VALU_DEP_1)
	s_mov_b32 s0, exec_lo
	v_cmpx_gt_u32_e64 s6, v8
	s_cbranch_execz .LBB29_12
; %bb.11:
	v_dual_mov_b32 v0, 0 :: v_dual_add_nc_u32 v4, 32, v8
	s_delay_alu instid0(VALU_DEP_1)
	v_dual_mov_b32 v1, v0 :: v_dual_mov_b32 v2, v0
	v_mov_b32_e32 v3, v0
	global_store_b128 v4, v[0:3], s[4:5] scale_offset
.LBB29_12:
	s_wait_xcnt 0x0
	s_or_b32 exec_lo, exec_lo, s0
	s_delay_alu instid0(SALU_CYCLE_1)
	s_mov_b32 s0, exec_lo
	v_cmpx_gt_u32_e32 32, v8
	s_cbranch_execz .LBB29_14
; %bb.13:
	v_mov_b32_e32 v0, 0
	s_delay_alu instid0(VALU_DEP_1)
	v_dual_mov_b32 v2, 0xff :: v_dual_mov_b32 v1, v0
	v_mov_b32_e32 v3, v0
	global_store_b128 v8, v[0:3], s[4:5] scale_offset
.LBB29_14:
	s_endpgm
	.section	.rodata,"a",@progbits
	.p2align	6, 0x0
	.amdhsa_kernel _ZN7rocprim17ROCPRIM_400000_NS6detail31init_lookback_scan_state_kernelINS1_19lookback_scan_stateI15HIP_vector_typeIjLj2EELb1ELb1EEENS1_16block_id_wrapperIjLb0EEEEEvT_jT0_jPNS9_10value_typeE
		.amdhsa_group_segment_fixed_size 0
		.amdhsa_private_segment_fixed_size 0
		.amdhsa_kernarg_size 288
		.amdhsa_user_sgpr_count 2
		.amdhsa_user_sgpr_dispatch_ptr 0
		.amdhsa_user_sgpr_queue_ptr 0
		.amdhsa_user_sgpr_kernarg_segment_ptr 1
		.amdhsa_user_sgpr_dispatch_id 0
		.amdhsa_user_sgpr_kernarg_preload_length 0
		.amdhsa_user_sgpr_kernarg_preload_offset 0
		.amdhsa_user_sgpr_private_segment_size 0
		.amdhsa_wavefront_size32 1
		.amdhsa_uses_dynamic_stack 0
		.amdhsa_enable_private_segment 0
		.amdhsa_system_sgpr_workgroup_id_x 1
		.amdhsa_system_sgpr_workgroup_id_y 0
		.amdhsa_system_sgpr_workgroup_id_z 0
		.amdhsa_system_sgpr_workgroup_info 0
		.amdhsa_system_vgpr_workitem_id 0
		.amdhsa_next_free_vgpr 9
		.amdhsa_next_free_sgpr 11
		.amdhsa_named_barrier_count 0
		.amdhsa_reserve_vcc 1
		.amdhsa_float_round_mode_32 0
		.amdhsa_float_round_mode_16_64 0
		.amdhsa_float_denorm_mode_32 3
		.amdhsa_float_denorm_mode_16_64 3
		.amdhsa_fp16_overflow 0
		.amdhsa_memory_ordered 1
		.amdhsa_forward_progress 1
		.amdhsa_inst_pref_size 4
		.amdhsa_round_robin_scheduling 0
		.amdhsa_exception_fp_ieee_invalid_op 0
		.amdhsa_exception_fp_denorm_src 0
		.amdhsa_exception_fp_ieee_div_zero 0
		.amdhsa_exception_fp_ieee_overflow 0
		.amdhsa_exception_fp_ieee_underflow 0
		.amdhsa_exception_fp_ieee_inexact 0
		.amdhsa_exception_int_div_zero 0
	.end_amdhsa_kernel
	.section	.text._ZN7rocprim17ROCPRIM_400000_NS6detail31init_lookback_scan_state_kernelINS1_19lookback_scan_stateI15HIP_vector_typeIjLj2EELb1ELb1EEENS1_16block_id_wrapperIjLb0EEEEEvT_jT0_jPNS9_10value_typeE,"axG",@progbits,_ZN7rocprim17ROCPRIM_400000_NS6detail31init_lookback_scan_state_kernelINS1_19lookback_scan_stateI15HIP_vector_typeIjLj2EELb1ELb1EEENS1_16block_id_wrapperIjLb0EEEEEvT_jT0_jPNS9_10value_typeE,comdat
.Lfunc_end29:
	.size	_ZN7rocprim17ROCPRIM_400000_NS6detail31init_lookback_scan_state_kernelINS1_19lookback_scan_stateI15HIP_vector_typeIjLj2EELb1ELb1EEENS1_16block_id_wrapperIjLb0EEEEEvT_jT0_jPNS9_10value_typeE, .Lfunc_end29-_ZN7rocprim17ROCPRIM_400000_NS6detail31init_lookback_scan_state_kernelINS1_19lookback_scan_stateI15HIP_vector_typeIjLj2EELb1ELb1EEENS1_16block_id_wrapperIjLb0EEEEEvT_jT0_jPNS9_10value_typeE
                                        ; -- End function
	.set _ZN7rocprim17ROCPRIM_400000_NS6detail31init_lookback_scan_state_kernelINS1_19lookback_scan_stateI15HIP_vector_typeIjLj2EELb1ELb1EEENS1_16block_id_wrapperIjLb0EEEEEvT_jT0_jPNS9_10value_typeE.num_vgpr, 9
	.set _ZN7rocprim17ROCPRIM_400000_NS6detail31init_lookback_scan_state_kernelINS1_19lookback_scan_stateI15HIP_vector_typeIjLj2EELb1ELb1EEENS1_16block_id_wrapperIjLb0EEEEEvT_jT0_jPNS9_10value_typeE.num_agpr, 0
	.set _ZN7rocprim17ROCPRIM_400000_NS6detail31init_lookback_scan_state_kernelINS1_19lookback_scan_stateI15HIP_vector_typeIjLj2EELb1ELb1EEENS1_16block_id_wrapperIjLb0EEEEEvT_jT0_jPNS9_10value_typeE.numbered_sgpr, 11
	.set _ZN7rocprim17ROCPRIM_400000_NS6detail31init_lookback_scan_state_kernelINS1_19lookback_scan_stateI15HIP_vector_typeIjLj2EELb1ELb1EEENS1_16block_id_wrapperIjLb0EEEEEvT_jT0_jPNS9_10value_typeE.num_named_barrier, 0
	.set _ZN7rocprim17ROCPRIM_400000_NS6detail31init_lookback_scan_state_kernelINS1_19lookback_scan_stateI15HIP_vector_typeIjLj2EELb1ELb1EEENS1_16block_id_wrapperIjLb0EEEEEvT_jT0_jPNS9_10value_typeE.private_seg_size, 0
	.set _ZN7rocprim17ROCPRIM_400000_NS6detail31init_lookback_scan_state_kernelINS1_19lookback_scan_stateI15HIP_vector_typeIjLj2EELb1ELb1EEENS1_16block_id_wrapperIjLb0EEEEEvT_jT0_jPNS9_10value_typeE.uses_vcc, 1
	.set _ZN7rocprim17ROCPRIM_400000_NS6detail31init_lookback_scan_state_kernelINS1_19lookback_scan_stateI15HIP_vector_typeIjLj2EELb1ELb1EEENS1_16block_id_wrapperIjLb0EEEEEvT_jT0_jPNS9_10value_typeE.uses_flat_scratch, 0
	.set _ZN7rocprim17ROCPRIM_400000_NS6detail31init_lookback_scan_state_kernelINS1_19lookback_scan_stateI15HIP_vector_typeIjLj2EELb1ELb1EEENS1_16block_id_wrapperIjLb0EEEEEvT_jT0_jPNS9_10value_typeE.has_dyn_sized_stack, 0
	.set _ZN7rocprim17ROCPRIM_400000_NS6detail31init_lookback_scan_state_kernelINS1_19lookback_scan_stateI15HIP_vector_typeIjLj2EELb1ELb1EEENS1_16block_id_wrapperIjLb0EEEEEvT_jT0_jPNS9_10value_typeE.has_recursion, 0
	.set _ZN7rocprim17ROCPRIM_400000_NS6detail31init_lookback_scan_state_kernelINS1_19lookback_scan_stateI15HIP_vector_typeIjLj2EELb1ELb1EEENS1_16block_id_wrapperIjLb0EEEEEvT_jT0_jPNS9_10value_typeE.has_indirect_call, 0
	.section	.AMDGPU.csdata,"",@progbits
; Kernel info:
; codeLenInByte = 424
; TotalNumSgprs: 13
; NumVgprs: 9
; ScratchSize: 0
; MemoryBound: 0
; FloatMode: 240
; IeeeMode: 1
; LDSByteSize: 0 bytes/workgroup (compile time only)
; SGPRBlocks: 0
; VGPRBlocks: 0
; NumSGPRsForWavesPerEU: 13
; NumVGPRsForWavesPerEU: 9
; NamedBarCnt: 0
; Occupancy: 16
; WaveLimiterHint : 0
; COMPUTE_PGM_RSRC2:SCRATCH_EN: 0
; COMPUTE_PGM_RSRC2:USER_SGPR: 2
; COMPUTE_PGM_RSRC2:TRAP_HANDLER: 0
; COMPUTE_PGM_RSRC2:TGID_X_EN: 1
; COMPUTE_PGM_RSRC2:TGID_Y_EN: 0
; COMPUTE_PGM_RSRC2:TGID_Z_EN: 0
; COMPUTE_PGM_RSRC2:TIDIG_COMP_CNT: 0
	.section	.text._ZN7rocprim17ROCPRIM_400000_NS6detail17trampoline_kernelINS0_13select_configILj256ELj13ELNS0_17block_load_methodE3ELS4_3ELS4_3ELNS0_20block_scan_algorithmE0ELj4294967295EEENS1_25partition_config_selectorILNS1_17partition_subalgoE4EjNS0_10empty_typeEbEEZZNS1_14partition_implILS8_4ELb0ES6_15HIP_vector_typeIjLj2EENS0_17counting_iteratorIjlEEPS9_SG_NS0_5tupleIJPjSI_NS0_16reverse_iteratorISI_EEEEENSH_IJSG_SG_SG_EEES9_SI_JZNS1_25segmented_radix_sort_implINS0_14default_configELb1EPKhPhPKlPlN2at6native12_GLOBAL__N_18offset_tEEE10hipError_tPvRmT1_PNSt15iterator_traitsIS12_E10value_typeET2_T3_PNS13_IS18_E10value_typeET4_jRbjT5_S1E_jjP12ihipStream_tbEUljE_ZNSN_ISO_Lb1ESQ_SR_ST_SU_SY_EESZ_S10_S11_S12_S16_S17_S18_S1B_S1C_jS1D_jS1E_S1E_jjS1G_bEUljE0_EEESZ_S10_S11_S18_S1C_S1E_T6_T7_T9_mT8_S1G_bDpT10_ENKUlT_T0_E_clISt17integral_constantIbLb1EES1T_IbLb0EEEEDaS1P_S1Q_EUlS1P_E_NS1_11comp_targetILNS1_3genE0ELNS1_11target_archE4294967295ELNS1_3gpuE0ELNS1_3repE0EEENS1_30default_config_static_selectorELNS0_4arch9wavefront6targetE0EEEvS12_,"axG",@progbits,_ZN7rocprim17ROCPRIM_400000_NS6detail17trampoline_kernelINS0_13select_configILj256ELj13ELNS0_17block_load_methodE3ELS4_3ELS4_3ELNS0_20block_scan_algorithmE0ELj4294967295EEENS1_25partition_config_selectorILNS1_17partition_subalgoE4EjNS0_10empty_typeEbEEZZNS1_14partition_implILS8_4ELb0ES6_15HIP_vector_typeIjLj2EENS0_17counting_iteratorIjlEEPS9_SG_NS0_5tupleIJPjSI_NS0_16reverse_iteratorISI_EEEEENSH_IJSG_SG_SG_EEES9_SI_JZNS1_25segmented_radix_sort_implINS0_14default_configELb1EPKhPhPKlPlN2at6native12_GLOBAL__N_18offset_tEEE10hipError_tPvRmT1_PNSt15iterator_traitsIS12_E10value_typeET2_T3_PNS13_IS18_E10value_typeET4_jRbjT5_S1E_jjP12ihipStream_tbEUljE_ZNSN_ISO_Lb1ESQ_SR_ST_SU_SY_EESZ_S10_S11_S12_S16_S17_S18_S1B_S1C_jS1D_jS1E_S1E_jjS1G_bEUljE0_EEESZ_S10_S11_S18_S1C_S1E_T6_T7_T9_mT8_S1G_bDpT10_ENKUlT_T0_E_clISt17integral_constantIbLb1EES1T_IbLb0EEEEDaS1P_S1Q_EUlS1P_E_NS1_11comp_targetILNS1_3genE0ELNS1_11target_archE4294967295ELNS1_3gpuE0ELNS1_3repE0EEENS1_30default_config_static_selectorELNS0_4arch9wavefront6targetE0EEEvS12_,comdat
	.globl	_ZN7rocprim17ROCPRIM_400000_NS6detail17trampoline_kernelINS0_13select_configILj256ELj13ELNS0_17block_load_methodE3ELS4_3ELS4_3ELNS0_20block_scan_algorithmE0ELj4294967295EEENS1_25partition_config_selectorILNS1_17partition_subalgoE4EjNS0_10empty_typeEbEEZZNS1_14partition_implILS8_4ELb0ES6_15HIP_vector_typeIjLj2EENS0_17counting_iteratorIjlEEPS9_SG_NS0_5tupleIJPjSI_NS0_16reverse_iteratorISI_EEEEENSH_IJSG_SG_SG_EEES9_SI_JZNS1_25segmented_radix_sort_implINS0_14default_configELb1EPKhPhPKlPlN2at6native12_GLOBAL__N_18offset_tEEE10hipError_tPvRmT1_PNSt15iterator_traitsIS12_E10value_typeET2_T3_PNS13_IS18_E10value_typeET4_jRbjT5_S1E_jjP12ihipStream_tbEUljE_ZNSN_ISO_Lb1ESQ_SR_ST_SU_SY_EESZ_S10_S11_S12_S16_S17_S18_S1B_S1C_jS1D_jS1E_S1E_jjS1G_bEUljE0_EEESZ_S10_S11_S18_S1C_S1E_T6_T7_T9_mT8_S1G_bDpT10_ENKUlT_T0_E_clISt17integral_constantIbLb1EES1T_IbLb0EEEEDaS1P_S1Q_EUlS1P_E_NS1_11comp_targetILNS1_3genE0ELNS1_11target_archE4294967295ELNS1_3gpuE0ELNS1_3repE0EEENS1_30default_config_static_selectorELNS0_4arch9wavefront6targetE0EEEvS12_ ; -- Begin function _ZN7rocprim17ROCPRIM_400000_NS6detail17trampoline_kernelINS0_13select_configILj256ELj13ELNS0_17block_load_methodE3ELS4_3ELS4_3ELNS0_20block_scan_algorithmE0ELj4294967295EEENS1_25partition_config_selectorILNS1_17partition_subalgoE4EjNS0_10empty_typeEbEEZZNS1_14partition_implILS8_4ELb0ES6_15HIP_vector_typeIjLj2EENS0_17counting_iteratorIjlEEPS9_SG_NS0_5tupleIJPjSI_NS0_16reverse_iteratorISI_EEEEENSH_IJSG_SG_SG_EEES9_SI_JZNS1_25segmented_radix_sort_implINS0_14default_configELb1EPKhPhPKlPlN2at6native12_GLOBAL__N_18offset_tEEE10hipError_tPvRmT1_PNSt15iterator_traitsIS12_E10value_typeET2_T3_PNS13_IS18_E10value_typeET4_jRbjT5_S1E_jjP12ihipStream_tbEUljE_ZNSN_ISO_Lb1ESQ_SR_ST_SU_SY_EESZ_S10_S11_S12_S16_S17_S18_S1B_S1C_jS1D_jS1E_S1E_jjS1G_bEUljE0_EEESZ_S10_S11_S18_S1C_S1E_T6_T7_T9_mT8_S1G_bDpT10_ENKUlT_T0_E_clISt17integral_constantIbLb1EES1T_IbLb0EEEEDaS1P_S1Q_EUlS1P_E_NS1_11comp_targetILNS1_3genE0ELNS1_11target_archE4294967295ELNS1_3gpuE0ELNS1_3repE0EEENS1_30default_config_static_selectorELNS0_4arch9wavefront6targetE0EEEvS12_
	.p2align	8
	.type	_ZN7rocprim17ROCPRIM_400000_NS6detail17trampoline_kernelINS0_13select_configILj256ELj13ELNS0_17block_load_methodE3ELS4_3ELS4_3ELNS0_20block_scan_algorithmE0ELj4294967295EEENS1_25partition_config_selectorILNS1_17partition_subalgoE4EjNS0_10empty_typeEbEEZZNS1_14partition_implILS8_4ELb0ES6_15HIP_vector_typeIjLj2EENS0_17counting_iteratorIjlEEPS9_SG_NS0_5tupleIJPjSI_NS0_16reverse_iteratorISI_EEEEENSH_IJSG_SG_SG_EEES9_SI_JZNS1_25segmented_radix_sort_implINS0_14default_configELb1EPKhPhPKlPlN2at6native12_GLOBAL__N_18offset_tEEE10hipError_tPvRmT1_PNSt15iterator_traitsIS12_E10value_typeET2_T3_PNS13_IS18_E10value_typeET4_jRbjT5_S1E_jjP12ihipStream_tbEUljE_ZNSN_ISO_Lb1ESQ_SR_ST_SU_SY_EESZ_S10_S11_S12_S16_S17_S18_S1B_S1C_jS1D_jS1E_S1E_jjS1G_bEUljE0_EEESZ_S10_S11_S18_S1C_S1E_T6_T7_T9_mT8_S1G_bDpT10_ENKUlT_T0_E_clISt17integral_constantIbLb1EES1T_IbLb0EEEEDaS1P_S1Q_EUlS1P_E_NS1_11comp_targetILNS1_3genE0ELNS1_11target_archE4294967295ELNS1_3gpuE0ELNS1_3repE0EEENS1_30default_config_static_selectorELNS0_4arch9wavefront6targetE0EEEvS12_,@function
_ZN7rocprim17ROCPRIM_400000_NS6detail17trampoline_kernelINS0_13select_configILj256ELj13ELNS0_17block_load_methodE3ELS4_3ELS4_3ELNS0_20block_scan_algorithmE0ELj4294967295EEENS1_25partition_config_selectorILNS1_17partition_subalgoE4EjNS0_10empty_typeEbEEZZNS1_14partition_implILS8_4ELb0ES6_15HIP_vector_typeIjLj2EENS0_17counting_iteratorIjlEEPS9_SG_NS0_5tupleIJPjSI_NS0_16reverse_iteratorISI_EEEEENSH_IJSG_SG_SG_EEES9_SI_JZNS1_25segmented_radix_sort_implINS0_14default_configELb1EPKhPhPKlPlN2at6native12_GLOBAL__N_18offset_tEEE10hipError_tPvRmT1_PNSt15iterator_traitsIS12_E10value_typeET2_T3_PNS13_IS18_E10value_typeET4_jRbjT5_S1E_jjP12ihipStream_tbEUljE_ZNSN_ISO_Lb1ESQ_SR_ST_SU_SY_EESZ_S10_S11_S12_S16_S17_S18_S1B_S1C_jS1D_jS1E_S1E_jjS1G_bEUljE0_EEESZ_S10_S11_S18_S1C_S1E_T6_T7_T9_mT8_S1G_bDpT10_ENKUlT_T0_E_clISt17integral_constantIbLb1EES1T_IbLb0EEEEDaS1P_S1Q_EUlS1P_E_NS1_11comp_targetILNS1_3genE0ELNS1_11target_archE4294967295ELNS1_3gpuE0ELNS1_3repE0EEENS1_30default_config_static_selectorELNS0_4arch9wavefront6targetE0EEEvS12_: ; @_ZN7rocprim17ROCPRIM_400000_NS6detail17trampoline_kernelINS0_13select_configILj256ELj13ELNS0_17block_load_methodE3ELS4_3ELS4_3ELNS0_20block_scan_algorithmE0ELj4294967295EEENS1_25partition_config_selectorILNS1_17partition_subalgoE4EjNS0_10empty_typeEbEEZZNS1_14partition_implILS8_4ELb0ES6_15HIP_vector_typeIjLj2EENS0_17counting_iteratorIjlEEPS9_SG_NS0_5tupleIJPjSI_NS0_16reverse_iteratorISI_EEEEENSH_IJSG_SG_SG_EEES9_SI_JZNS1_25segmented_radix_sort_implINS0_14default_configELb1EPKhPhPKlPlN2at6native12_GLOBAL__N_18offset_tEEE10hipError_tPvRmT1_PNSt15iterator_traitsIS12_E10value_typeET2_T3_PNS13_IS18_E10value_typeET4_jRbjT5_S1E_jjP12ihipStream_tbEUljE_ZNSN_ISO_Lb1ESQ_SR_ST_SU_SY_EESZ_S10_S11_S12_S16_S17_S18_S1B_S1C_jS1D_jS1E_S1E_jjS1G_bEUljE0_EEESZ_S10_S11_S18_S1C_S1E_T6_T7_T9_mT8_S1G_bDpT10_ENKUlT_T0_E_clISt17integral_constantIbLb1EES1T_IbLb0EEEEDaS1P_S1Q_EUlS1P_E_NS1_11comp_targetILNS1_3genE0ELNS1_11target_archE4294967295ELNS1_3gpuE0ELNS1_3repE0EEENS1_30default_config_static_selectorELNS0_4arch9wavefront6targetE0EEEvS12_
; %bb.0:
	s_endpgm
	.section	.rodata,"a",@progbits
	.p2align	6, 0x0
	.amdhsa_kernel _ZN7rocprim17ROCPRIM_400000_NS6detail17trampoline_kernelINS0_13select_configILj256ELj13ELNS0_17block_load_methodE3ELS4_3ELS4_3ELNS0_20block_scan_algorithmE0ELj4294967295EEENS1_25partition_config_selectorILNS1_17partition_subalgoE4EjNS0_10empty_typeEbEEZZNS1_14partition_implILS8_4ELb0ES6_15HIP_vector_typeIjLj2EENS0_17counting_iteratorIjlEEPS9_SG_NS0_5tupleIJPjSI_NS0_16reverse_iteratorISI_EEEEENSH_IJSG_SG_SG_EEES9_SI_JZNS1_25segmented_radix_sort_implINS0_14default_configELb1EPKhPhPKlPlN2at6native12_GLOBAL__N_18offset_tEEE10hipError_tPvRmT1_PNSt15iterator_traitsIS12_E10value_typeET2_T3_PNS13_IS18_E10value_typeET4_jRbjT5_S1E_jjP12ihipStream_tbEUljE_ZNSN_ISO_Lb1ESQ_SR_ST_SU_SY_EESZ_S10_S11_S12_S16_S17_S18_S1B_S1C_jS1D_jS1E_S1E_jjS1G_bEUljE0_EEESZ_S10_S11_S18_S1C_S1E_T6_T7_T9_mT8_S1G_bDpT10_ENKUlT_T0_E_clISt17integral_constantIbLb1EES1T_IbLb0EEEEDaS1P_S1Q_EUlS1P_E_NS1_11comp_targetILNS1_3genE0ELNS1_11target_archE4294967295ELNS1_3gpuE0ELNS1_3repE0EEENS1_30default_config_static_selectorELNS0_4arch9wavefront6targetE0EEEvS12_
		.amdhsa_group_segment_fixed_size 0
		.amdhsa_private_segment_fixed_size 0
		.amdhsa_kernarg_size 176
		.amdhsa_user_sgpr_count 2
		.amdhsa_user_sgpr_dispatch_ptr 0
		.amdhsa_user_sgpr_queue_ptr 0
		.amdhsa_user_sgpr_kernarg_segment_ptr 1
		.amdhsa_user_sgpr_dispatch_id 0
		.amdhsa_user_sgpr_kernarg_preload_length 0
		.amdhsa_user_sgpr_kernarg_preload_offset 0
		.amdhsa_user_sgpr_private_segment_size 0
		.amdhsa_wavefront_size32 1
		.amdhsa_uses_dynamic_stack 0
		.amdhsa_enable_private_segment 0
		.amdhsa_system_sgpr_workgroup_id_x 1
		.amdhsa_system_sgpr_workgroup_id_y 0
		.amdhsa_system_sgpr_workgroup_id_z 0
		.amdhsa_system_sgpr_workgroup_info 0
		.amdhsa_system_vgpr_workitem_id 0
		.amdhsa_next_free_vgpr 1
		.amdhsa_next_free_sgpr 1
		.amdhsa_named_barrier_count 0
		.amdhsa_reserve_vcc 0
		.amdhsa_float_round_mode_32 0
		.amdhsa_float_round_mode_16_64 0
		.amdhsa_float_denorm_mode_32 3
		.amdhsa_float_denorm_mode_16_64 3
		.amdhsa_fp16_overflow 0
		.amdhsa_memory_ordered 1
		.amdhsa_forward_progress 1
		.amdhsa_inst_pref_size 1
		.amdhsa_round_robin_scheduling 0
		.amdhsa_exception_fp_ieee_invalid_op 0
		.amdhsa_exception_fp_denorm_src 0
		.amdhsa_exception_fp_ieee_div_zero 0
		.amdhsa_exception_fp_ieee_overflow 0
		.amdhsa_exception_fp_ieee_underflow 0
		.amdhsa_exception_fp_ieee_inexact 0
		.amdhsa_exception_int_div_zero 0
	.end_amdhsa_kernel
	.section	.text._ZN7rocprim17ROCPRIM_400000_NS6detail17trampoline_kernelINS0_13select_configILj256ELj13ELNS0_17block_load_methodE3ELS4_3ELS4_3ELNS0_20block_scan_algorithmE0ELj4294967295EEENS1_25partition_config_selectorILNS1_17partition_subalgoE4EjNS0_10empty_typeEbEEZZNS1_14partition_implILS8_4ELb0ES6_15HIP_vector_typeIjLj2EENS0_17counting_iteratorIjlEEPS9_SG_NS0_5tupleIJPjSI_NS0_16reverse_iteratorISI_EEEEENSH_IJSG_SG_SG_EEES9_SI_JZNS1_25segmented_radix_sort_implINS0_14default_configELb1EPKhPhPKlPlN2at6native12_GLOBAL__N_18offset_tEEE10hipError_tPvRmT1_PNSt15iterator_traitsIS12_E10value_typeET2_T3_PNS13_IS18_E10value_typeET4_jRbjT5_S1E_jjP12ihipStream_tbEUljE_ZNSN_ISO_Lb1ESQ_SR_ST_SU_SY_EESZ_S10_S11_S12_S16_S17_S18_S1B_S1C_jS1D_jS1E_S1E_jjS1G_bEUljE0_EEESZ_S10_S11_S18_S1C_S1E_T6_T7_T9_mT8_S1G_bDpT10_ENKUlT_T0_E_clISt17integral_constantIbLb1EES1T_IbLb0EEEEDaS1P_S1Q_EUlS1P_E_NS1_11comp_targetILNS1_3genE0ELNS1_11target_archE4294967295ELNS1_3gpuE0ELNS1_3repE0EEENS1_30default_config_static_selectorELNS0_4arch9wavefront6targetE0EEEvS12_,"axG",@progbits,_ZN7rocprim17ROCPRIM_400000_NS6detail17trampoline_kernelINS0_13select_configILj256ELj13ELNS0_17block_load_methodE3ELS4_3ELS4_3ELNS0_20block_scan_algorithmE0ELj4294967295EEENS1_25partition_config_selectorILNS1_17partition_subalgoE4EjNS0_10empty_typeEbEEZZNS1_14partition_implILS8_4ELb0ES6_15HIP_vector_typeIjLj2EENS0_17counting_iteratorIjlEEPS9_SG_NS0_5tupleIJPjSI_NS0_16reverse_iteratorISI_EEEEENSH_IJSG_SG_SG_EEES9_SI_JZNS1_25segmented_radix_sort_implINS0_14default_configELb1EPKhPhPKlPlN2at6native12_GLOBAL__N_18offset_tEEE10hipError_tPvRmT1_PNSt15iterator_traitsIS12_E10value_typeET2_T3_PNS13_IS18_E10value_typeET4_jRbjT5_S1E_jjP12ihipStream_tbEUljE_ZNSN_ISO_Lb1ESQ_SR_ST_SU_SY_EESZ_S10_S11_S12_S16_S17_S18_S1B_S1C_jS1D_jS1E_S1E_jjS1G_bEUljE0_EEESZ_S10_S11_S18_S1C_S1E_T6_T7_T9_mT8_S1G_bDpT10_ENKUlT_T0_E_clISt17integral_constantIbLb1EES1T_IbLb0EEEEDaS1P_S1Q_EUlS1P_E_NS1_11comp_targetILNS1_3genE0ELNS1_11target_archE4294967295ELNS1_3gpuE0ELNS1_3repE0EEENS1_30default_config_static_selectorELNS0_4arch9wavefront6targetE0EEEvS12_,comdat
.Lfunc_end30:
	.size	_ZN7rocprim17ROCPRIM_400000_NS6detail17trampoline_kernelINS0_13select_configILj256ELj13ELNS0_17block_load_methodE3ELS4_3ELS4_3ELNS0_20block_scan_algorithmE0ELj4294967295EEENS1_25partition_config_selectorILNS1_17partition_subalgoE4EjNS0_10empty_typeEbEEZZNS1_14partition_implILS8_4ELb0ES6_15HIP_vector_typeIjLj2EENS0_17counting_iteratorIjlEEPS9_SG_NS0_5tupleIJPjSI_NS0_16reverse_iteratorISI_EEEEENSH_IJSG_SG_SG_EEES9_SI_JZNS1_25segmented_radix_sort_implINS0_14default_configELb1EPKhPhPKlPlN2at6native12_GLOBAL__N_18offset_tEEE10hipError_tPvRmT1_PNSt15iterator_traitsIS12_E10value_typeET2_T3_PNS13_IS18_E10value_typeET4_jRbjT5_S1E_jjP12ihipStream_tbEUljE_ZNSN_ISO_Lb1ESQ_SR_ST_SU_SY_EESZ_S10_S11_S12_S16_S17_S18_S1B_S1C_jS1D_jS1E_S1E_jjS1G_bEUljE0_EEESZ_S10_S11_S18_S1C_S1E_T6_T7_T9_mT8_S1G_bDpT10_ENKUlT_T0_E_clISt17integral_constantIbLb1EES1T_IbLb0EEEEDaS1P_S1Q_EUlS1P_E_NS1_11comp_targetILNS1_3genE0ELNS1_11target_archE4294967295ELNS1_3gpuE0ELNS1_3repE0EEENS1_30default_config_static_selectorELNS0_4arch9wavefront6targetE0EEEvS12_, .Lfunc_end30-_ZN7rocprim17ROCPRIM_400000_NS6detail17trampoline_kernelINS0_13select_configILj256ELj13ELNS0_17block_load_methodE3ELS4_3ELS4_3ELNS0_20block_scan_algorithmE0ELj4294967295EEENS1_25partition_config_selectorILNS1_17partition_subalgoE4EjNS0_10empty_typeEbEEZZNS1_14partition_implILS8_4ELb0ES6_15HIP_vector_typeIjLj2EENS0_17counting_iteratorIjlEEPS9_SG_NS0_5tupleIJPjSI_NS0_16reverse_iteratorISI_EEEEENSH_IJSG_SG_SG_EEES9_SI_JZNS1_25segmented_radix_sort_implINS0_14default_configELb1EPKhPhPKlPlN2at6native12_GLOBAL__N_18offset_tEEE10hipError_tPvRmT1_PNSt15iterator_traitsIS12_E10value_typeET2_T3_PNS13_IS18_E10value_typeET4_jRbjT5_S1E_jjP12ihipStream_tbEUljE_ZNSN_ISO_Lb1ESQ_SR_ST_SU_SY_EESZ_S10_S11_S12_S16_S17_S18_S1B_S1C_jS1D_jS1E_S1E_jjS1G_bEUljE0_EEESZ_S10_S11_S18_S1C_S1E_T6_T7_T9_mT8_S1G_bDpT10_ENKUlT_T0_E_clISt17integral_constantIbLb1EES1T_IbLb0EEEEDaS1P_S1Q_EUlS1P_E_NS1_11comp_targetILNS1_3genE0ELNS1_11target_archE4294967295ELNS1_3gpuE0ELNS1_3repE0EEENS1_30default_config_static_selectorELNS0_4arch9wavefront6targetE0EEEvS12_
                                        ; -- End function
	.set _ZN7rocprim17ROCPRIM_400000_NS6detail17trampoline_kernelINS0_13select_configILj256ELj13ELNS0_17block_load_methodE3ELS4_3ELS4_3ELNS0_20block_scan_algorithmE0ELj4294967295EEENS1_25partition_config_selectorILNS1_17partition_subalgoE4EjNS0_10empty_typeEbEEZZNS1_14partition_implILS8_4ELb0ES6_15HIP_vector_typeIjLj2EENS0_17counting_iteratorIjlEEPS9_SG_NS0_5tupleIJPjSI_NS0_16reverse_iteratorISI_EEEEENSH_IJSG_SG_SG_EEES9_SI_JZNS1_25segmented_radix_sort_implINS0_14default_configELb1EPKhPhPKlPlN2at6native12_GLOBAL__N_18offset_tEEE10hipError_tPvRmT1_PNSt15iterator_traitsIS12_E10value_typeET2_T3_PNS13_IS18_E10value_typeET4_jRbjT5_S1E_jjP12ihipStream_tbEUljE_ZNSN_ISO_Lb1ESQ_SR_ST_SU_SY_EESZ_S10_S11_S12_S16_S17_S18_S1B_S1C_jS1D_jS1E_S1E_jjS1G_bEUljE0_EEESZ_S10_S11_S18_S1C_S1E_T6_T7_T9_mT8_S1G_bDpT10_ENKUlT_T0_E_clISt17integral_constantIbLb1EES1T_IbLb0EEEEDaS1P_S1Q_EUlS1P_E_NS1_11comp_targetILNS1_3genE0ELNS1_11target_archE4294967295ELNS1_3gpuE0ELNS1_3repE0EEENS1_30default_config_static_selectorELNS0_4arch9wavefront6targetE0EEEvS12_.num_vgpr, 0
	.set _ZN7rocprim17ROCPRIM_400000_NS6detail17trampoline_kernelINS0_13select_configILj256ELj13ELNS0_17block_load_methodE3ELS4_3ELS4_3ELNS0_20block_scan_algorithmE0ELj4294967295EEENS1_25partition_config_selectorILNS1_17partition_subalgoE4EjNS0_10empty_typeEbEEZZNS1_14partition_implILS8_4ELb0ES6_15HIP_vector_typeIjLj2EENS0_17counting_iteratorIjlEEPS9_SG_NS0_5tupleIJPjSI_NS0_16reverse_iteratorISI_EEEEENSH_IJSG_SG_SG_EEES9_SI_JZNS1_25segmented_radix_sort_implINS0_14default_configELb1EPKhPhPKlPlN2at6native12_GLOBAL__N_18offset_tEEE10hipError_tPvRmT1_PNSt15iterator_traitsIS12_E10value_typeET2_T3_PNS13_IS18_E10value_typeET4_jRbjT5_S1E_jjP12ihipStream_tbEUljE_ZNSN_ISO_Lb1ESQ_SR_ST_SU_SY_EESZ_S10_S11_S12_S16_S17_S18_S1B_S1C_jS1D_jS1E_S1E_jjS1G_bEUljE0_EEESZ_S10_S11_S18_S1C_S1E_T6_T7_T9_mT8_S1G_bDpT10_ENKUlT_T0_E_clISt17integral_constantIbLb1EES1T_IbLb0EEEEDaS1P_S1Q_EUlS1P_E_NS1_11comp_targetILNS1_3genE0ELNS1_11target_archE4294967295ELNS1_3gpuE0ELNS1_3repE0EEENS1_30default_config_static_selectorELNS0_4arch9wavefront6targetE0EEEvS12_.num_agpr, 0
	.set _ZN7rocprim17ROCPRIM_400000_NS6detail17trampoline_kernelINS0_13select_configILj256ELj13ELNS0_17block_load_methodE3ELS4_3ELS4_3ELNS0_20block_scan_algorithmE0ELj4294967295EEENS1_25partition_config_selectorILNS1_17partition_subalgoE4EjNS0_10empty_typeEbEEZZNS1_14partition_implILS8_4ELb0ES6_15HIP_vector_typeIjLj2EENS0_17counting_iteratorIjlEEPS9_SG_NS0_5tupleIJPjSI_NS0_16reverse_iteratorISI_EEEEENSH_IJSG_SG_SG_EEES9_SI_JZNS1_25segmented_radix_sort_implINS0_14default_configELb1EPKhPhPKlPlN2at6native12_GLOBAL__N_18offset_tEEE10hipError_tPvRmT1_PNSt15iterator_traitsIS12_E10value_typeET2_T3_PNS13_IS18_E10value_typeET4_jRbjT5_S1E_jjP12ihipStream_tbEUljE_ZNSN_ISO_Lb1ESQ_SR_ST_SU_SY_EESZ_S10_S11_S12_S16_S17_S18_S1B_S1C_jS1D_jS1E_S1E_jjS1G_bEUljE0_EEESZ_S10_S11_S18_S1C_S1E_T6_T7_T9_mT8_S1G_bDpT10_ENKUlT_T0_E_clISt17integral_constantIbLb1EES1T_IbLb0EEEEDaS1P_S1Q_EUlS1P_E_NS1_11comp_targetILNS1_3genE0ELNS1_11target_archE4294967295ELNS1_3gpuE0ELNS1_3repE0EEENS1_30default_config_static_selectorELNS0_4arch9wavefront6targetE0EEEvS12_.numbered_sgpr, 0
	.set _ZN7rocprim17ROCPRIM_400000_NS6detail17trampoline_kernelINS0_13select_configILj256ELj13ELNS0_17block_load_methodE3ELS4_3ELS4_3ELNS0_20block_scan_algorithmE0ELj4294967295EEENS1_25partition_config_selectorILNS1_17partition_subalgoE4EjNS0_10empty_typeEbEEZZNS1_14partition_implILS8_4ELb0ES6_15HIP_vector_typeIjLj2EENS0_17counting_iteratorIjlEEPS9_SG_NS0_5tupleIJPjSI_NS0_16reverse_iteratorISI_EEEEENSH_IJSG_SG_SG_EEES9_SI_JZNS1_25segmented_radix_sort_implINS0_14default_configELb1EPKhPhPKlPlN2at6native12_GLOBAL__N_18offset_tEEE10hipError_tPvRmT1_PNSt15iterator_traitsIS12_E10value_typeET2_T3_PNS13_IS18_E10value_typeET4_jRbjT5_S1E_jjP12ihipStream_tbEUljE_ZNSN_ISO_Lb1ESQ_SR_ST_SU_SY_EESZ_S10_S11_S12_S16_S17_S18_S1B_S1C_jS1D_jS1E_S1E_jjS1G_bEUljE0_EEESZ_S10_S11_S18_S1C_S1E_T6_T7_T9_mT8_S1G_bDpT10_ENKUlT_T0_E_clISt17integral_constantIbLb1EES1T_IbLb0EEEEDaS1P_S1Q_EUlS1P_E_NS1_11comp_targetILNS1_3genE0ELNS1_11target_archE4294967295ELNS1_3gpuE0ELNS1_3repE0EEENS1_30default_config_static_selectorELNS0_4arch9wavefront6targetE0EEEvS12_.num_named_barrier, 0
	.set _ZN7rocprim17ROCPRIM_400000_NS6detail17trampoline_kernelINS0_13select_configILj256ELj13ELNS0_17block_load_methodE3ELS4_3ELS4_3ELNS0_20block_scan_algorithmE0ELj4294967295EEENS1_25partition_config_selectorILNS1_17partition_subalgoE4EjNS0_10empty_typeEbEEZZNS1_14partition_implILS8_4ELb0ES6_15HIP_vector_typeIjLj2EENS0_17counting_iteratorIjlEEPS9_SG_NS0_5tupleIJPjSI_NS0_16reverse_iteratorISI_EEEEENSH_IJSG_SG_SG_EEES9_SI_JZNS1_25segmented_radix_sort_implINS0_14default_configELb1EPKhPhPKlPlN2at6native12_GLOBAL__N_18offset_tEEE10hipError_tPvRmT1_PNSt15iterator_traitsIS12_E10value_typeET2_T3_PNS13_IS18_E10value_typeET4_jRbjT5_S1E_jjP12ihipStream_tbEUljE_ZNSN_ISO_Lb1ESQ_SR_ST_SU_SY_EESZ_S10_S11_S12_S16_S17_S18_S1B_S1C_jS1D_jS1E_S1E_jjS1G_bEUljE0_EEESZ_S10_S11_S18_S1C_S1E_T6_T7_T9_mT8_S1G_bDpT10_ENKUlT_T0_E_clISt17integral_constantIbLb1EES1T_IbLb0EEEEDaS1P_S1Q_EUlS1P_E_NS1_11comp_targetILNS1_3genE0ELNS1_11target_archE4294967295ELNS1_3gpuE0ELNS1_3repE0EEENS1_30default_config_static_selectorELNS0_4arch9wavefront6targetE0EEEvS12_.private_seg_size, 0
	.set _ZN7rocprim17ROCPRIM_400000_NS6detail17trampoline_kernelINS0_13select_configILj256ELj13ELNS0_17block_load_methodE3ELS4_3ELS4_3ELNS0_20block_scan_algorithmE0ELj4294967295EEENS1_25partition_config_selectorILNS1_17partition_subalgoE4EjNS0_10empty_typeEbEEZZNS1_14partition_implILS8_4ELb0ES6_15HIP_vector_typeIjLj2EENS0_17counting_iteratorIjlEEPS9_SG_NS0_5tupleIJPjSI_NS0_16reverse_iteratorISI_EEEEENSH_IJSG_SG_SG_EEES9_SI_JZNS1_25segmented_radix_sort_implINS0_14default_configELb1EPKhPhPKlPlN2at6native12_GLOBAL__N_18offset_tEEE10hipError_tPvRmT1_PNSt15iterator_traitsIS12_E10value_typeET2_T3_PNS13_IS18_E10value_typeET4_jRbjT5_S1E_jjP12ihipStream_tbEUljE_ZNSN_ISO_Lb1ESQ_SR_ST_SU_SY_EESZ_S10_S11_S12_S16_S17_S18_S1B_S1C_jS1D_jS1E_S1E_jjS1G_bEUljE0_EEESZ_S10_S11_S18_S1C_S1E_T6_T7_T9_mT8_S1G_bDpT10_ENKUlT_T0_E_clISt17integral_constantIbLb1EES1T_IbLb0EEEEDaS1P_S1Q_EUlS1P_E_NS1_11comp_targetILNS1_3genE0ELNS1_11target_archE4294967295ELNS1_3gpuE0ELNS1_3repE0EEENS1_30default_config_static_selectorELNS0_4arch9wavefront6targetE0EEEvS12_.uses_vcc, 0
	.set _ZN7rocprim17ROCPRIM_400000_NS6detail17trampoline_kernelINS0_13select_configILj256ELj13ELNS0_17block_load_methodE3ELS4_3ELS4_3ELNS0_20block_scan_algorithmE0ELj4294967295EEENS1_25partition_config_selectorILNS1_17partition_subalgoE4EjNS0_10empty_typeEbEEZZNS1_14partition_implILS8_4ELb0ES6_15HIP_vector_typeIjLj2EENS0_17counting_iteratorIjlEEPS9_SG_NS0_5tupleIJPjSI_NS0_16reverse_iteratorISI_EEEEENSH_IJSG_SG_SG_EEES9_SI_JZNS1_25segmented_radix_sort_implINS0_14default_configELb1EPKhPhPKlPlN2at6native12_GLOBAL__N_18offset_tEEE10hipError_tPvRmT1_PNSt15iterator_traitsIS12_E10value_typeET2_T3_PNS13_IS18_E10value_typeET4_jRbjT5_S1E_jjP12ihipStream_tbEUljE_ZNSN_ISO_Lb1ESQ_SR_ST_SU_SY_EESZ_S10_S11_S12_S16_S17_S18_S1B_S1C_jS1D_jS1E_S1E_jjS1G_bEUljE0_EEESZ_S10_S11_S18_S1C_S1E_T6_T7_T9_mT8_S1G_bDpT10_ENKUlT_T0_E_clISt17integral_constantIbLb1EES1T_IbLb0EEEEDaS1P_S1Q_EUlS1P_E_NS1_11comp_targetILNS1_3genE0ELNS1_11target_archE4294967295ELNS1_3gpuE0ELNS1_3repE0EEENS1_30default_config_static_selectorELNS0_4arch9wavefront6targetE0EEEvS12_.uses_flat_scratch, 0
	.set _ZN7rocprim17ROCPRIM_400000_NS6detail17trampoline_kernelINS0_13select_configILj256ELj13ELNS0_17block_load_methodE3ELS4_3ELS4_3ELNS0_20block_scan_algorithmE0ELj4294967295EEENS1_25partition_config_selectorILNS1_17partition_subalgoE4EjNS0_10empty_typeEbEEZZNS1_14partition_implILS8_4ELb0ES6_15HIP_vector_typeIjLj2EENS0_17counting_iteratorIjlEEPS9_SG_NS0_5tupleIJPjSI_NS0_16reverse_iteratorISI_EEEEENSH_IJSG_SG_SG_EEES9_SI_JZNS1_25segmented_radix_sort_implINS0_14default_configELb1EPKhPhPKlPlN2at6native12_GLOBAL__N_18offset_tEEE10hipError_tPvRmT1_PNSt15iterator_traitsIS12_E10value_typeET2_T3_PNS13_IS18_E10value_typeET4_jRbjT5_S1E_jjP12ihipStream_tbEUljE_ZNSN_ISO_Lb1ESQ_SR_ST_SU_SY_EESZ_S10_S11_S12_S16_S17_S18_S1B_S1C_jS1D_jS1E_S1E_jjS1G_bEUljE0_EEESZ_S10_S11_S18_S1C_S1E_T6_T7_T9_mT8_S1G_bDpT10_ENKUlT_T0_E_clISt17integral_constantIbLb1EES1T_IbLb0EEEEDaS1P_S1Q_EUlS1P_E_NS1_11comp_targetILNS1_3genE0ELNS1_11target_archE4294967295ELNS1_3gpuE0ELNS1_3repE0EEENS1_30default_config_static_selectorELNS0_4arch9wavefront6targetE0EEEvS12_.has_dyn_sized_stack, 0
	.set _ZN7rocprim17ROCPRIM_400000_NS6detail17trampoline_kernelINS0_13select_configILj256ELj13ELNS0_17block_load_methodE3ELS4_3ELS4_3ELNS0_20block_scan_algorithmE0ELj4294967295EEENS1_25partition_config_selectorILNS1_17partition_subalgoE4EjNS0_10empty_typeEbEEZZNS1_14partition_implILS8_4ELb0ES6_15HIP_vector_typeIjLj2EENS0_17counting_iteratorIjlEEPS9_SG_NS0_5tupleIJPjSI_NS0_16reverse_iteratorISI_EEEEENSH_IJSG_SG_SG_EEES9_SI_JZNS1_25segmented_radix_sort_implINS0_14default_configELb1EPKhPhPKlPlN2at6native12_GLOBAL__N_18offset_tEEE10hipError_tPvRmT1_PNSt15iterator_traitsIS12_E10value_typeET2_T3_PNS13_IS18_E10value_typeET4_jRbjT5_S1E_jjP12ihipStream_tbEUljE_ZNSN_ISO_Lb1ESQ_SR_ST_SU_SY_EESZ_S10_S11_S12_S16_S17_S18_S1B_S1C_jS1D_jS1E_S1E_jjS1G_bEUljE0_EEESZ_S10_S11_S18_S1C_S1E_T6_T7_T9_mT8_S1G_bDpT10_ENKUlT_T0_E_clISt17integral_constantIbLb1EES1T_IbLb0EEEEDaS1P_S1Q_EUlS1P_E_NS1_11comp_targetILNS1_3genE0ELNS1_11target_archE4294967295ELNS1_3gpuE0ELNS1_3repE0EEENS1_30default_config_static_selectorELNS0_4arch9wavefront6targetE0EEEvS12_.has_recursion, 0
	.set _ZN7rocprim17ROCPRIM_400000_NS6detail17trampoline_kernelINS0_13select_configILj256ELj13ELNS0_17block_load_methodE3ELS4_3ELS4_3ELNS0_20block_scan_algorithmE0ELj4294967295EEENS1_25partition_config_selectorILNS1_17partition_subalgoE4EjNS0_10empty_typeEbEEZZNS1_14partition_implILS8_4ELb0ES6_15HIP_vector_typeIjLj2EENS0_17counting_iteratorIjlEEPS9_SG_NS0_5tupleIJPjSI_NS0_16reverse_iteratorISI_EEEEENSH_IJSG_SG_SG_EEES9_SI_JZNS1_25segmented_radix_sort_implINS0_14default_configELb1EPKhPhPKlPlN2at6native12_GLOBAL__N_18offset_tEEE10hipError_tPvRmT1_PNSt15iterator_traitsIS12_E10value_typeET2_T3_PNS13_IS18_E10value_typeET4_jRbjT5_S1E_jjP12ihipStream_tbEUljE_ZNSN_ISO_Lb1ESQ_SR_ST_SU_SY_EESZ_S10_S11_S12_S16_S17_S18_S1B_S1C_jS1D_jS1E_S1E_jjS1G_bEUljE0_EEESZ_S10_S11_S18_S1C_S1E_T6_T7_T9_mT8_S1G_bDpT10_ENKUlT_T0_E_clISt17integral_constantIbLb1EES1T_IbLb0EEEEDaS1P_S1Q_EUlS1P_E_NS1_11comp_targetILNS1_3genE0ELNS1_11target_archE4294967295ELNS1_3gpuE0ELNS1_3repE0EEENS1_30default_config_static_selectorELNS0_4arch9wavefront6targetE0EEEvS12_.has_indirect_call, 0
	.section	.AMDGPU.csdata,"",@progbits
; Kernel info:
; codeLenInByte = 4
; TotalNumSgprs: 0
; NumVgprs: 0
; ScratchSize: 0
; MemoryBound: 0
; FloatMode: 240
; IeeeMode: 1
; LDSByteSize: 0 bytes/workgroup (compile time only)
; SGPRBlocks: 0
; VGPRBlocks: 0
; NumSGPRsForWavesPerEU: 1
; NumVGPRsForWavesPerEU: 1
; NamedBarCnt: 0
; Occupancy: 16
; WaveLimiterHint : 0
; COMPUTE_PGM_RSRC2:SCRATCH_EN: 0
; COMPUTE_PGM_RSRC2:USER_SGPR: 2
; COMPUTE_PGM_RSRC2:TRAP_HANDLER: 0
; COMPUTE_PGM_RSRC2:TGID_X_EN: 1
; COMPUTE_PGM_RSRC2:TGID_Y_EN: 0
; COMPUTE_PGM_RSRC2:TGID_Z_EN: 0
; COMPUTE_PGM_RSRC2:TIDIG_COMP_CNT: 0
	.section	.text._ZN7rocprim17ROCPRIM_400000_NS6detail17trampoline_kernelINS0_13select_configILj256ELj13ELNS0_17block_load_methodE3ELS4_3ELS4_3ELNS0_20block_scan_algorithmE0ELj4294967295EEENS1_25partition_config_selectorILNS1_17partition_subalgoE4EjNS0_10empty_typeEbEEZZNS1_14partition_implILS8_4ELb0ES6_15HIP_vector_typeIjLj2EENS0_17counting_iteratorIjlEEPS9_SG_NS0_5tupleIJPjSI_NS0_16reverse_iteratorISI_EEEEENSH_IJSG_SG_SG_EEES9_SI_JZNS1_25segmented_radix_sort_implINS0_14default_configELb1EPKhPhPKlPlN2at6native12_GLOBAL__N_18offset_tEEE10hipError_tPvRmT1_PNSt15iterator_traitsIS12_E10value_typeET2_T3_PNS13_IS18_E10value_typeET4_jRbjT5_S1E_jjP12ihipStream_tbEUljE_ZNSN_ISO_Lb1ESQ_SR_ST_SU_SY_EESZ_S10_S11_S12_S16_S17_S18_S1B_S1C_jS1D_jS1E_S1E_jjS1G_bEUljE0_EEESZ_S10_S11_S18_S1C_S1E_T6_T7_T9_mT8_S1G_bDpT10_ENKUlT_T0_E_clISt17integral_constantIbLb1EES1T_IbLb0EEEEDaS1P_S1Q_EUlS1P_E_NS1_11comp_targetILNS1_3genE5ELNS1_11target_archE942ELNS1_3gpuE9ELNS1_3repE0EEENS1_30default_config_static_selectorELNS0_4arch9wavefront6targetE0EEEvS12_,"axG",@progbits,_ZN7rocprim17ROCPRIM_400000_NS6detail17trampoline_kernelINS0_13select_configILj256ELj13ELNS0_17block_load_methodE3ELS4_3ELS4_3ELNS0_20block_scan_algorithmE0ELj4294967295EEENS1_25partition_config_selectorILNS1_17partition_subalgoE4EjNS0_10empty_typeEbEEZZNS1_14partition_implILS8_4ELb0ES6_15HIP_vector_typeIjLj2EENS0_17counting_iteratorIjlEEPS9_SG_NS0_5tupleIJPjSI_NS0_16reverse_iteratorISI_EEEEENSH_IJSG_SG_SG_EEES9_SI_JZNS1_25segmented_radix_sort_implINS0_14default_configELb1EPKhPhPKlPlN2at6native12_GLOBAL__N_18offset_tEEE10hipError_tPvRmT1_PNSt15iterator_traitsIS12_E10value_typeET2_T3_PNS13_IS18_E10value_typeET4_jRbjT5_S1E_jjP12ihipStream_tbEUljE_ZNSN_ISO_Lb1ESQ_SR_ST_SU_SY_EESZ_S10_S11_S12_S16_S17_S18_S1B_S1C_jS1D_jS1E_S1E_jjS1G_bEUljE0_EEESZ_S10_S11_S18_S1C_S1E_T6_T7_T9_mT8_S1G_bDpT10_ENKUlT_T0_E_clISt17integral_constantIbLb1EES1T_IbLb0EEEEDaS1P_S1Q_EUlS1P_E_NS1_11comp_targetILNS1_3genE5ELNS1_11target_archE942ELNS1_3gpuE9ELNS1_3repE0EEENS1_30default_config_static_selectorELNS0_4arch9wavefront6targetE0EEEvS12_,comdat
	.globl	_ZN7rocprim17ROCPRIM_400000_NS6detail17trampoline_kernelINS0_13select_configILj256ELj13ELNS0_17block_load_methodE3ELS4_3ELS4_3ELNS0_20block_scan_algorithmE0ELj4294967295EEENS1_25partition_config_selectorILNS1_17partition_subalgoE4EjNS0_10empty_typeEbEEZZNS1_14partition_implILS8_4ELb0ES6_15HIP_vector_typeIjLj2EENS0_17counting_iteratorIjlEEPS9_SG_NS0_5tupleIJPjSI_NS0_16reverse_iteratorISI_EEEEENSH_IJSG_SG_SG_EEES9_SI_JZNS1_25segmented_radix_sort_implINS0_14default_configELb1EPKhPhPKlPlN2at6native12_GLOBAL__N_18offset_tEEE10hipError_tPvRmT1_PNSt15iterator_traitsIS12_E10value_typeET2_T3_PNS13_IS18_E10value_typeET4_jRbjT5_S1E_jjP12ihipStream_tbEUljE_ZNSN_ISO_Lb1ESQ_SR_ST_SU_SY_EESZ_S10_S11_S12_S16_S17_S18_S1B_S1C_jS1D_jS1E_S1E_jjS1G_bEUljE0_EEESZ_S10_S11_S18_S1C_S1E_T6_T7_T9_mT8_S1G_bDpT10_ENKUlT_T0_E_clISt17integral_constantIbLb1EES1T_IbLb0EEEEDaS1P_S1Q_EUlS1P_E_NS1_11comp_targetILNS1_3genE5ELNS1_11target_archE942ELNS1_3gpuE9ELNS1_3repE0EEENS1_30default_config_static_selectorELNS0_4arch9wavefront6targetE0EEEvS12_ ; -- Begin function _ZN7rocprim17ROCPRIM_400000_NS6detail17trampoline_kernelINS0_13select_configILj256ELj13ELNS0_17block_load_methodE3ELS4_3ELS4_3ELNS0_20block_scan_algorithmE0ELj4294967295EEENS1_25partition_config_selectorILNS1_17partition_subalgoE4EjNS0_10empty_typeEbEEZZNS1_14partition_implILS8_4ELb0ES6_15HIP_vector_typeIjLj2EENS0_17counting_iteratorIjlEEPS9_SG_NS0_5tupleIJPjSI_NS0_16reverse_iteratorISI_EEEEENSH_IJSG_SG_SG_EEES9_SI_JZNS1_25segmented_radix_sort_implINS0_14default_configELb1EPKhPhPKlPlN2at6native12_GLOBAL__N_18offset_tEEE10hipError_tPvRmT1_PNSt15iterator_traitsIS12_E10value_typeET2_T3_PNS13_IS18_E10value_typeET4_jRbjT5_S1E_jjP12ihipStream_tbEUljE_ZNSN_ISO_Lb1ESQ_SR_ST_SU_SY_EESZ_S10_S11_S12_S16_S17_S18_S1B_S1C_jS1D_jS1E_S1E_jjS1G_bEUljE0_EEESZ_S10_S11_S18_S1C_S1E_T6_T7_T9_mT8_S1G_bDpT10_ENKUlT_T0_E_clISt17integral_constantIbLb1EES1T_IbLb0EEEEDaS1P_S1Q_EUlS1P_E_NS1_11comp_targetILNS1_3genE5ELNS1_11target_archE942ELNS1_3gpuE9ELNS1_3repE0EEENS1_30default_config_static_selectorELNS0_4arch9wavefront6targetE0EEEvS12_
	.p2align	8
	.type	_ZN7rocprim17ROCPRIM_400000_NS6detail17trampoline_kernelINS0_13select_configILj256ELj13ELNS0_17block_load_methodE3ELS4_3ELS4_3ELNS0_20block_scan_algorithmE0ELj4294967295EEENS1_25partition_config_selectorILNS1_17partition_subalgoE4EjNS0_10empty_typeEbEEZZNS1_14partition_implILS8_4ELb0ES6_15HIP_vector_typeIjLj2EENS0_17counting_iteratorIjlEEPS9_SG_NS0_5tupleIJPjSI_NS0_16reverse_iteratorISI_EEEEENSH_IJSG_SG_SG_EEES9_SI_JZNS1_25segmented_radix_sort_implINS0_14default_configELb1EPKhPhPKlPlN2at6native12_GLOBAL__N_18offset_tEEE10hipError_tPvRmT1_PNSt15iterator_traitsIS12_E10value_typeET2_T3_PNS13_IS18_E10value_typeET4_jRbjT5_S1E_jjP12ihipStream_tbEUljE_ZNSN_ISO_Lb1ESQ_SR_ST_SU_SY_EESZ_S10_S11_S12_S16_S17_S18_S1B_S1C_jS1D_jS1E_S1E_jjS1G_bEUljE0_EEESZ_S10_S11_S18_S1C_S1E_T6_T7_T9_mT8_S1G_bDpT10_ENKUlT_T0_E_clISt17integral_constantIbLb1EES1T_IbLb0EEEEDaS1P_S1Q_EUlS1P_E_NS1_11comp_targetILNS1_3genE5ELNS1_11target_archE942ELNS1_3gpuE9ELNS1_3repE0EEENS1_30default_config_static_selectorELNS0_4arch9wavefront6targetE0EEEvS12_,@function
_ZN7rocprim17ROCPRIM_400000_NS6detail17trampoline_kernelINS0_13select_configILj256ELj13ELNS0_17block_load_methodE3ELS4_3ELS4_3ELNS0_20block_scan_algorithmE0ELj4294967295EEENS1_25partition_config_selectorILNS1_17partition_subalgoE4EjNS0_10empty_typeEbEEZZNS1_14partition_implILS8_4ELb0ES6_15HIP_vector_typeIjLj2EENS0_17counting_iteratorIjlEEPS9_SG_NS0_5tupleIJPjSI_NS0_16reverse_iteratorISI_EEEEENSH_IJSG_SG_SG_EEES9_SI_JZNS1_25segmented_radix_sort_implINS0_14default_configELb1EPKhPhPKlPlN2at6native12_GLOBAL__N_18offset_tEEE10hipError_tPvRmT1_PNSt15iterator_traitsIS12_E10value_typeET2_T3_PNS13_IS18_E10value_typeET4_jRbjT5_S1E_jjP12ihipStream_tbEUljE_ZNSN_ISO_Lb1ESQ_SR_ST_SU_SY_EESZ_S10_S11_S12_S16_S17_S18_S1B_S1C_jS1D_jS1E_S1E_jjS1G_bEUljE0_EEESZ_S10_S11_S18_S1C_S1E_T6_T7_T9_mT8_S1G_bDpT10_ENKUlT_T0_E_clISt17integral_constantIbLb1EES1T_IbLb0EEEEDaS1P_S1Q_EUlS1P_E_NS1_11comp_targetILNS1_3genE5ELNS1_11target_archE942ELNS1_3gpuE9ELNS1_3repE0EEENS1_30default_config_static_selectorELNS0_4arch9wavefront6targetE0EEEvS12_: ; @_ZN7rocprim17ROCPRIM_400000_NS6detail17trampoline_kernelINS0_13select_configILj256ELj13ELNS0_17block_load_methodE3ELS4_3ELS4_3ELNS0_20block_scan_algorithmE0ELj4294967295EEENS1_25partition_config_selectorILNS1_17partition_subalgoE4EjNS0_10empty_typeEbEEZZNS1_14partition_implILS8_4ELb0ES6_15HIP_vector_typeIjLj2EENS0_17counting_iteratorIjlEEPS9_SG_NS0_5tupleIJPjSI_NS0_16reverse_iteratorISI_EEEEENSH_IJSG_SG_SG_EEES9_SI_JZNS1_25segmented_radix_sort_implINS0_14default_configELb1EPKhPhPKlPlN2at6native12_GLOBAL__N_18offset_tEEE10hipError_tPvRmT1_PNSt15iterator_traitsIS12_E10value_typeET2_T3_PNS13_IS18_E10value_typeET4_jRbjT5_S1E_jjP12ihipStream_tbEUljE_ZNSN_ISO_Lb1ESQ_SR_ST_SU_SY_EESZ_S10_S11_S12_S16_S17_S18_S1B_S1C_jS1D_jS1E_S1E_jjS1G_bEUljE0_EEESZ_S10_S11_S18_S1C_S1E_T6_T7_T9_mT8_S1G_bDpT10_ENKUlT_T0_E_clISt17integral_constantIbLb1EES1T_IbLb0EEEEDaS1P_S1Q_EUlS1P_E_NS1_11comp_targetILNS1_3genE5ELNS1_11target_archE942ELNS1_3gpuE9ELNS1_3repE0EEENS1_30default_config_static_selectorELNS0_4arch9wavefront6targetE0EEEvS12_
; %bb.0:
	.section	.rodata,"a",@progbits
	.p2align	6, 0x0
	.amdhsa_kernel _ZN7rocprim17ROCPRIM_400000_NS6detail17trampoline_kernelINS0_13select_configILj256ELj13ELNS0_17block_load_methodE3ELS4_3ELS4_3ELNS0_20block_scan_algorithmE0ELj4294967295EEENS1_25partition_config_selectorILNS1_17partition_subalgoE4EjNS0_10empty_typeEbEEZZNS1_14partition_implILS8_4ELb0ES6_15HIP_vector_typeIjLj2EENS0_17counting_iteratorIjlEEPS9_SG_NS0_5tupleIJPjSI_NS0_16reverse_iteratorISI_EEEEENSH_IJSG_SG_SG_EEES9_SI_JZNS1_25segmented_radix_sort_implINS0_14default_configELb1EPKhPhPKlPlN2at6native12_GLOBAL__N_18offset_tEEE10hipError_tPvRmT1_PNSt15iterator_traitsIS12_E10value_typeET2_T3_PNS13_IS18_E10value_typeET4_jRbjT5_S1E_jjP12ihipStream_tbEUljE_ZNSN_ISO_Lb1ESQ_SR_ST_SU_SY_EESZ_S10_S11_S12_S16_S17_S18_S1B_S1C_jS1D_jS1E_S1E_jjS1G_bEUljE0_EEESZ_S10_S11_S18_S1C_S1E_T6_T7_T9_mT8_S1G_bDpT10_ENKUlT_T0_E_clISt17integral_constantIbLb1EES1T_IbLb0EEEEDaS1P_S1Q_EUlS1P_E_NS1_11comp_targetILNS1_3genE5ELNS1_11target_archE942ELNS1_3gpuE9ELNS1_3repE0EEENS1_30default_config_static_selectorELNS0_4arch9wavefront6targetE0EEEvS12_
		.amdhsa_group_segment_fixed_size 0
		.amdhsa_private_segment_fixed_size 0
		.amdhsa_kernarg_size 176
		.amdhsa_user_sgpr_count 2
		.amdhsa_user_sgpr_dispatch_ptr 0
		.amdhsa_user_sgpr_queue_ptr 0
		.amdhsa_user_sgpr_kernarg_segment_ptr 1
		.amdhsa_user_sgpr_dispatch_id 0
		.amdhsa_user_sgpr_kernarg_preload_length 0
		.amdhsa_user_sgpr_kernarg_preload_offset 0
		.amdhsa_user_sgpr_private_segment_size 0
		.amdhsa_wavefront_size32 1
		.amdhsa_uses_dynamic_stack 0
		.amdhsa_enable_private_segment 0
		.amdhsa_system_sgpr_workgroup_id_x 1
		.amdhsa_system_sgpr_workgroup_id_y 0
		.amdhsa_system_sgpr_workgroup_id_z 0
		.amdhsa_system_sgpr_workgroup_info 0
		.amdhsa_system_vgpr_workitem_id 0
		.amdhsa_next_free_vgpr 1
		.amdhsa_next_free_sgpr 1
		.amdhsa_named_barrier_count 0
		.amdhsa_reserve_vcc 0
		.amdhsa_float_round_mode_32 0
		.amdhsa_float_round_mode_16_64 0
		.amdhsa_float_denorm_mode_32 3
		.amdhsa_float_denorm_mode_16_64 3
		.amdhsa_fp16_overflow 0
		.amdhsa_memory_ordered 1
		.amdhsa_forward_progress 1
		.amdhsa_inst_pref_size 0
		.amdhsa_round_robin_scheduling 0
		.amdhsa_exception_fp_ieee_invalid_op 0
		.amdhsa_exception_fp_denorm_src 0
		.amdhsa_exception_fp_ieee_div_zero 0
		.amdhsa_exception_fp_ieee_overflow 0
		.amdhsa_exception_fp_ieee_underflow 0
		.amdhsa_exception_fp_ieee_inexact 0
		.amdhsa_exception_int_div_zero 0
	.end_amdhsa_kernel
	.section	.text._ZN7rocprim17ROCPRIM_400000_NS6detail17trampoline_kernelINS0_13select_configILj256ELj13ELNS0_17block_load_methodE3ELS4_3ELS4_3ELNS0_20block_scan_algorithmE0ELj4294967295EEENS1_25partition_config_selectorILNS1_17partition_subalgoE4EjNS0_10empty_typeEbEEZZNS1_14partition_implILS8_4ELb0ES6_15HIP_vector_typeIjLj2EENS0_17counting_iteratorIjlEEPS9_SG_NS0_5tupleIJPjSI_NS0_16reverse_iteratorISI_EEEEENSH_IJSG_SG_SG_EEES9_SI_JZNS1_25segmented_radix_sort_implINS0_14default_configELb1EPKhPhPKlPlN2at6native12_GLOBAL__N_18offset_tEEE10hipError_tPvRmT1_PNSt15iterator_traitsIS12_E10value_typeET2_T3_PNS13_IS18_E10value_typeET4_jRbjT5_S1E_jjP12ihipStream_tbEUljE_ZNSN_ISO_Lb1ESQ_SR_ST_SU_SY_EESZ_S10_S11_S12_S16_S17_S18_S1B_S1C_jS1D_jS1E_S1E_jjS1G_bEUljE0_EEESZ_S10_S11_S18_S1C_S1E_T6_T7_T9_mT8_S1G_bDpT10_ENKUlT_T0_E_clISt17integral_constantIbLb1EES1T_IbLb0EEEEDaS1P_S1Q_EUlS1P_E_NS1_11comp_targetILNS1_3genE5ELNS1_11target_archE942ELNS1_3gpuE9ELNS1_3repE0EEENS1_30default_config_static_selectorELNS0_4arch9wavefront6targetE0EEEvS12_,"axG",@progbits,_ZN7rocprim17ROCPRIM_400000_NS6detail17trampoline_kernelINS0_13select_configILj256ELj13ELNS0_17block_load_methodE3ELS4_3ELS4_3ELNS0_20block_scan_algorithmE0ELj4294967295EEENS1_25partition_config_selectorILNS1_17partition_subalgoE4EjNS0_10empty_typeEbEEZZNS1_14partition_implILS8_4ELb0ES6_15HIP_vector_typeIjLj2EENS0_17counting_iteratorIjlEEPS9_SG_NS0_5tupleIJPjSI_NS0_16reverse_iteratorISI_EEEEENSH_IJSG_SG_SG_EEES9_SI_JZNS1_25segmented_radix_sort_implINS0_14default_configELb1EPKhPhPKlPlN2at6native12_GLOBAL__N_18offset_tEEE10hipError_tPvRmT1_PNSt15iterator_traitsIS12_E10value_typeET2_T3_PNS13_IS18_E10value_typeET4_jRbjT5_S1E_jjP12ihipStream_tbEUljE_ZNSN_ISO_Lb1ESQ_SR_ST_SU_SY_EESZ_S10_S11_S12_S16_S17_S18_S1B_S1C_jS1D_jS1E_S1E_jjS1G_bEUljE0_EEESZ_S10_S11_S18_S1C_S1E_T6_T7_T9_mT8_S1G_bDpT10_ENKUlT_T0_E_clISt17integral_constantIbLb1EES1T_IbLb0EEEEDaS1P_S1Q_EUlS1P_E_NS1_11comp_targetILNS1_3genE5ELNS1_11target_archE942ELNS1_3gpuE9ELNS1_3repE0EEENS1_30default_config_static_selectorELNS0_4arch9wavefront6targetE0EEEvS12_,comdat
.Lfunc_end31:
	.size	_ZN7rocprim17ROCPRIM_400000_NS6detail17trampoline_kernelINS0_13select_configILj256ELj13ELNS0_17block_load_methodE3ELS4_3ELS4_3ELNS0_20block_scan_algorithmE0ELj4294967295EEENS1_25partition_config_selectorILNS1_17partition_subalgoE4EjNS0_10empty_typeEbEEZZNS1_14partition_implILS8_4ELb0ES6_15HIP_vector_typeIjLj2EENS0_17counting_iteratorIjlEEPS9_SG_NS0_5tupleIJPjSI_NS0_16reverse_iteratorISI_EEEEENSH_IJSG_SG_SG_EEES9_SI_JZNS1_25segmented_radix_sort_implINS0_14default_configELb1EPKhPhPKlPlN2at6native12_GLOBAL__N_18offset_tEEE10hipError_tPvRmT1_PNSt15iterator_traitsIS12_E10value_typeET2_T3_PNS13_IS18_E10value_typeET4_jRbjT5_S1E_jjP12ihipStream_tbEUljE_ZNSN_ISO_Lb1ESQ_SR_ST_SU_SY_EESZ_S10_S11_S12_S16_S17_S18_S1B_S1C_jS1D_jS1E_S1E_jjS1G_bEUljE0_EEESZ_S10_S11_S18_S1C_S1E_T6_T7_T9_mT8_S1G_bDpT10_ENKUlT_T0_E_clISt17integral_constantIbLb1EES1T_IbLb0EEEEDaS1P_S1Q_EUlS1P_E_NS1_11comp_targetILNS1_3genE5ELNS1_11target_archE942ELNS1_3gpuE9ELNS1_3repE0EEENS1_30default_config_static_selectorELNS0_4arch9wavefront6targetE0EEEvS12_, .Lfunc_end31-_ZN7rocprim17ROCPRIM_400000_NS6detail17trampoline_kernelINS0_13select_configILj256ELj13ELNS0_17block_load_methodE3ELS4_3ELS4_3ELNS0_20block_scan_algorithmE0ELj4294967295EEENS1_25partition_config_selectorILNS1_17partition_subalgoE4EjNS0_10empty_typeEbEEZZNS1_14partition_implILS8_4ELb0ES6_15HIP_vector_typeIjLj2EENS0_17counting_iteratorIjlEEPS9_SG_NS0_5tupleIJPjSI_NS0_16reverse_iteratorISI_EEEEENSH_IJSG_SG_SG_EEES9_SI_JZNS1_25segmented_radix_sort_implINS0_14default_configELb1EPKhPhPKlPlN2at6native12_GLOBAL__N_18offset_tEEE10hipError_tPvRmT1_PNSt15iterator_traitsIS12_E10value_typeET2_T3_PNS13_IS18_E10value_typeET4_jRbjT5_S1E_jjP12ihipStream_tbEUljE_ZNSN_ISO_Lb1ESQ_SR_ST_SU_SY_EESZ_S10_S11_S12_S16_S17_S18_S1B_S1C_jS1D_jS1E_S1E_jjS1G_bEUljE0_EEESZ_S10_S11_S18_S1C_S1E_T6_T7_T9_mT8_S1G_bDpT10_ENKUlT_T0_E_clISt17integral_constantIbLb1EES1T_IbLb0EEEEDaS1P_S1Q_EUlS1P_E_NS1_11comp_targetILNS1_3genE5ELNS1_11target_archE942ELNS1_3gpuE9ELNS1_3repE0EEENS1_30default_config_static_selectorELNS0_4arch9wavefront6targetE0EEEvS12_
                                        ; -- End function
	.set _ZN7rocprim17ROCPRIM_400000_NS6detail17trampoline_kernelINS0_13select_configILj256ELj13ELNS0_17block_load_methodE3ELS4_3ELS4_3ELNS0_20block_scan_algorithmE0ELj4294967295EEENS1_25partition_config_selectorILNS1_17partition_subalgoE4EjNS0_10empty_typeEbEEZZNS1_14partition_implILS8_4ELb0ES6_15HIP_vector_typeIjLj2EENS0_17counting_iteratorIjlEEPS9_SG_NS0_5tupleIJPjSI_NS0_16reverse_iteratorISI_EEEEENSH_IJSG_SG_SG_EEES9_SI_JZNS1_25segmented_radix_sort_implINS0_14default_configELb1EPKhPhPKlPlN2at6native12_GLOBAL__N_18offset_tEEE10hipError_tPvRmT1_PNSt15iterator_traitsIS12_E10value_typeET2_T3_PNS13_IS18_E10value_typeET4_jRbjT5_S1E_jjP12ihipStream_tbEUljE_ZNSN_ISO_Lb1ESQ_SR_ST_SU_SY_EESZ_S10_S11_S12_S16_S17_S18_S1B_S1C_jS1D_jS1E_S1E_jjS1G_bEUljE0_EEESZ_S10_S11_S18_S1C_S1E_T6_T7_T9_mT8_S1G_bDpT10_ENKUlT_T0_E_clISt17integral_constantIbLb1EES1T_IbLb0EEEEDaS1P_S1Q_EUlS1P_E_NS1_11comp_targetILNS1_3genE5ELNS1_11target_archE942ELNS1_3gpuE9ELNS1_3repE0EEENS1_30default_config_static_selectorELNS0_4arch9wavefront6targetE0EEEvS12_.num_vgpr, 0
	.set _ZN7rocprim17ROCPRIM_400000_NS6detail17trampoline_kernelINS0_13select_configILj256ELj13ELNS0_17block_load_methodE3ELS4_3ELS4_3ELNS0_20block_scan_algorithmE0ELj4294967295EEENS1_25partition_config_selectorILNS1_17partition_subalgoE4EjNS0_10empty_typeEbEEZZNS1_14partition_implILS8_4ELb0ES6_15HIP_vector_typeIjLj2EENS0_17counting_iteratorIjlEEPS9_SG_NS0_5tupleIJPjSI_NS0_16reverse_iteratorISI_EEEEENSH_IJSG_SG_SG_EEES9_SI_JZNS1_25segmented_radix_sort_implINS0_14default_configELb1EPKhPhPKlPlN2at6native12_GLOBAL__N_18offset_tEEE10hipError_tPvRmT1_PNSt15iterator_traitsIS12_E10value_typeET2_T3_PNS13_IS18_E10value_typeET4_jRbjT5_S1E_jjP12ihipStream_tbEUljE_ZNSN_ISO_Lb1ESQ_SR_ST_SU_SY_EESZ_S10_S11_S12_S16_S17_S18_S1B_S1C_jS1D_jS1E_S1E_jjS1G_bEUljE0_EEESZ_S10_S11_S18_S1C_S1E_T6_T7_T9_mT8_S1G_bDpT10_ENKUlT_T0_E_clISt17integral_constantIbLb1EES1T_IbLb0EEEEDaS1P_S1Q_EUlS1P_E_NS1_11comp_targetILNS1_3genE5ELNS1_11target_archE942ELNS1_3gpuE9ELNS1_3repE0EEENS1_30default_config_static_selectorELNS0_4arch9wavefront6targetE0EEEvS12_.num_agpr, 0
	.set _ZN7rocprim17ROCPRIM_400000_NS6detail17trampoline_kernelINS0_13select_configILj256ELj13ELNS0_17block_load_methodE3ELS4_3ELS4_3ELNS0_20block_scan_algorithmE0ELj4294967295EEENS1_25partition_config_selectorILNS1_17partition_subalgoE4EjNS0_10empty_typeEbEEZZNS1_14partition_implILS8_4ELb0ES6_15HIP_vector_typeIjLj2EENS0_17counting_iteratorIjlEEPS9_SG_NS0_5tupleIJPjSI_NS0_16reverse_iteratorISI_EEEEENSH_IJSG_SG_SG_EEES9_SI_JZNS1_25segmented_radix_sort_implINS0_14default_configELb1EPKhPhPKlPlN2at6native12_GLOBAL__N_18offset_tEEE10hipError_tPvRmT1_PNSt15iterator_traitsIS12_E10value_typeET2_T3_PNS13_IS18_E10value_typeET4_jRbjT5_S1E_jjP12ihipStream_tbEUljE_ZNSN_ISO_Lb1ESQ_SR_ST_SU_SY_EESZ_S10_S11_S12_S16_S17_S18_S1B_S1C_jS1D_jS1E_S1E_jjS1G_bEUljE0_EEESZ_S10_S11_S18_S1C_S1E_T6_T7_T9_mT8_S1G_bDpT10_ENKUlT_T0_E_clISt17integral_constantIbLb1EES1T_IbLb0EEEEDaS1P_S1Q_EUlS1P_E_NS1_11comp_targetILNS1_3genE5ELNS1_11target_archE942ELNS1_3gpuE9ELNS1_3repE0EEENS1_30default_config_static_selectorELNS0_4arch9wavefront6targetE0EEEvS12_.numbered_sgpr, 0
	.set _ZN7rocprim17ROCPRIM_400000_NS6detail17trampoline_kernelINS0_13select_configILj256ELj13ELNS0_17block_load_methodE3ELS4_3ELS4_3ELNS0_20block_scan_algorithmE0ELj4294967295EEENS1_25partition_config_selectorILNS1_17partition_subalgoE4EjNS0_10empty_typeEbEEZZNS1_14partition_implILS8_4ELb0ES6_15HIP_vector_typeIjLj2EENS0_17counting_iteratorIjlEEPS9_SG_NS0_5tupleIJPjSI_NS0_16reverse_iteratorISI_EEEEENSH_IJSG_SG_SG_EEES9_SI_JZNS1_25segmented_radix_sort_implINS0_14default_configELb1EPKhPhPKlPlN2at6native12_GLOBAL__N_18offset_tEEE10hipError_tPvRmT1_PNSt15iterator_traitsIS12_E10value_typeET2_T3_PNS13_IS18_E10value_typeET4_jRbjT5_S1E_jjP12ihipStream_tbEUljE_ZNSN_ISO_Lb1ESQ_SR_ST_SU_SY_EESZ_S10_S11_S12_S16_S17_S18_S1B_S1C_jS1D_jS1E_S1E_jjS1G_bEUljE0_EEESZ_S10_S11_S18_S1C_S1E_T6_T7_T9_mT8_S1G_bDpT10_ENKUlT_T0_E_clISt17integral_constantIbLb1EES1T_IbLb0EEEEDaS1P_S1Q_EUlS1P_E_NS1_11comp_targetILNS1_3genE5ELNS1_11target_archE942ELNS1_3gpuE9ELNS1_3repE0EEENS1_30default_config_static_selectorELNS0_4arch9wavefront6targetE0EEEvS12_.num_named_barrier, 0
	.set _ZN7rocprim17ROCPRIM_400000_NS6detail17trampoline_kernelINS0_13select_configILj256ELj13ELNS0_17block_load_methodE3ELS4_3ELS4_3ELNS0_20block_scan_algorithmE0ELj4294967295EEENS1_25partition_config_selectorILNS1_17partition_subalgoE4EjNS0_10empty_typeEbEEZZNS1_14partition_implILS8_4ELb0ES6_15HIP_vector_typeIjLj2EENS0_17counting_iteratorIjlEEPS9_SG_NS0_5tupleIJPjSI_NS0_16reverse_iteratorISI_EEEEENSH_IJSG_SG_SG_EEES9_SI_JZNS1_25segmented_radix_sort_implINS0_14default_configELb1EPKhPhPKlPlN2at6native12_GLOBAL__N_18offset_tEEE10hipError_tPvRmT1_PNSt15iterator_traitsIS12_E10value_typeET2_T3_PNS13_IS18_E10value_typeET4_jRbjT5_S1E_jjP12ihipStream_tbEUljE_ZNSN_ISO_Lb1ESQ_SR_ST_SU_SY_EESZ_S10_S11_S12_S16_S17_S18_S1B_S1C_jS1D_jS1E_S1E_jjS1G_bEUljE0_EEESZ_S10_S11_S18_S1C_S1E_T6_T7_T9_mT8_S1G_bDpT10_ENKUlT_T0_E_clISt17integral_constantIbLb1EES1T_IbLb0EEEEDaS1P_S1Q_EUlS1P_E_NS1_11comp_targetILNS1_3genE5ELNS1_11target_archE942ELNS1_3gpuE9ELNS1_3repE0EEENS1_30default_config_static_selectorELNS0_4arch9wavefront6targetE0EEEvS12_.private_seg_size, 0
	.set _ZN7rocprim17ROCPRIM_400000_NS6detail17trampoline_kernelINS0_13select_configILj256ELj13ELNS0_17block_load_methodE3ELS4_3ELS4_3ELNS0_20block_scan_algorithmE0ELj4294967295EEENS1_25partition_config_selectorILNS1_17partition_subalgoE4EjNS0_10empty_typeEbEEZZNS1_14partition_implILS8_4ELb0ES6_15HIP_vector_typeIjLj2EENS0_17counting_iteratorIjlEEPS9_SG_NS0_5tupleIJPjSI_NS0_16reverse_iteratorISI_EEEEENSH_IJSG_SG_SG_EEES9_SI_JZNS1_25segmented_radix_sort_implINS0_14default_configELb1EPKhPhPKlPlN2at6native12_GLOBAL__N_18offset_tEEE10hipError_tPvRmT1_PNSt15iterator_traitsIS12_E10value_typeET2_T3_PNS13_IS18_E10value_typeET4_jRbjT5_S1E_jjP12ihipStream_tbEUljE_ZNSN_ISO_Lb1ESQ_SR_ST_SU_SY_EESZ_S10_S11_S12_S16_S17_S18_S1B_S1C_jS1D_jS1E_S1E_jjS1G_bEUljE0_EEESZ_S10_S11_S18_S1C_S1E_T6_T7_T9_mT8_S1G_bDpT10_ENKUlT_T0_E_clISt17integral_constantIbLb1EES1T_IbLb0EEEEDaS1P_S1Q_EUlS1P_E_NS1_11comp_targetILNS1_3genE5ELNS1_11target_archE942ELNS1_3gpuE9ELNS1_3repE0EEENS1_30default_config_static_selectorELNS0_4arch9wavefront6targetE0EEEvS12_.uses_vcc, 0
	.set _ZN7rocprim17ROCPRIM_400000_NS6detail17trampoline_kernelINS0_13select_configILj256ELj13ELNS0_17block_load_methodE3ELS4_3ELS4_3ELNS0_20block_scan_algorithmE0ELj4294967295EEENS1_25partition_config_selectorILNS1_17partition_subalgoE4EjNS0_10empty_typeEbEEZZNS1_14partition_implILS8_4ELb0ES6_15HIP_vector_typeIjLj2EENS0_17counting_iteratorIjlEEPS9_SG_NS0_5tupleIJPjSI_NS0_16reverse_iteratorISI_EEEEENSH_IJSG_SG_SG_EEES9_SI_JZNS1_25segmented_radix_sort_implINS0_14default_configELb1EPKhPhPKlPlN2at6native12_GLOBAL__N_18offset_tEEE10hipError_tPvRmT1_PNSt15iterator_traitsIS12_E10value_typeET2_T3_PNS13_IS18_E10value_typeET4_jRbjT5_S1E_jjP12ihipStream_tbEUljE_ZNSN_ISO_Lb1ESQ_SR_ST_SU_SY_EESZ_S10_S11_S12_S16_S17_S18_S1B_S1C_jS1D_jS1E_S1E_jjS1G_bEUljE0_EEESZ_S10_S11_S18_S1C_S1E_T6_T7_T9_mT8_S1G_bDpT10_ENKUlT_T0_E_clISt17integral_constantIbLb1EES1T_IbLb0EEEEDaS1P_S1Q_EUlS1P_E_NS1_11comp_targetILNS1_3genE5ELNS1_11target_archE942ELNS1_3gpuE9ELNS1_3repE0EEENS1_30default_config_static_selectorELNS0_4arch9wavefront6targetE0EEEvS12_.uses_flat_scratch, 0
	.set _ZN7rocprim17ROCPRIM_400000_NS6detail17trampoline_kernelINS0_13select_configILj256ELj13ELNS0_17block_load_methodE3ELS4_3ELS4_3ELNS0_20block_scan_algorithmE0ELj4294967295EEENS1_25partition_config_selectorILNS1_17partition_subalgoE4EjNS0_10empty_typeEbEEZZNS1_14partition_implILS8_4ELb0ES6_15HIP_vector_typeIjLj2EENS0_17counting_iteratorIjlEEPS9_SG_NS0_5tupleIJPjSI_NS0_16reverse_iteratorISI_EEEEENSH_IJSG_SG_SG_EEES9_SI_JZNS1_25segmented_radix_sort_implINS0_14default_configELb1EPKhPhPKlPlN2at6native12_GLOBAL__N_18offset_tEEE10hipError_tPvRmT1_PNSt15iterator_traitsIS12_E10value_typeET2_T3_PNS13_IS18_E10value_typeET4_jRbjT5_S1E_jjP12ihipStream_tbEUljE_ZNSN_ISO_Lb1ESQ_SR_ST_SU_SY_EESZ_S10_S11_S12_S16_S17_S18_S1B_S1C_jS1D_jS1E_S1E_jjS1G_bEUljE0_EEESZ_S10_S11_S18_S1C_S1E_T6_T7_T9_mT8_S1G_bDpT10_ENKUlT_T0_E_clISt17integral_constantIbLb1EES1T_IbLb0EEEEDaS1P_S1Q_EUlS1P_E_NS1_11comp_targetILNS1_3genE5ELNS1_11target_archE942ELNS1_3gpuE9ELNS1_3repE0EEENS1_30default_config_static_selectorELNS0_4arch9wavefront6targetE0EEEvS12_.has_dyn_sized_stack, 0
	.set _ZN7rocprim17ROCPRIM_400000_NS6detail17trampoline_kernelINS0_13select_configILj256ELj13ELNS0_17block_load_methodE3ELS4_3ELS4_3ELNS0_20block_scan_algorithmE0ELj4294967295EEENS1_25partition_config_selectorILNS1_17partition_subalgoE4EjNS0_10empty_typeEbEEZZNS1_14partition_implILS8_4ELb0ES6_15HIP_vector_typeIjLj2EENS0_17counting_iteratorIjlEEPS9_SG_NS0_5tupleIJPjSI_NS0_16reverse_iteratorISI_EEEEENSH_IJSG_SG_SG_EEES9_SI_JZNS1_25segmented_radix_sort_implINS0_14default_configELb1EPKhPhPKlPlN2at6native12_GLOBAL__N_18offset_tEEE10hipError_tPvRmT1_PNSt15iterator_traitsIS12_E10value_typeET2_T3_PNS13_IS18_E10value_typeET4_jRbjT5_S1E_jjP12ihipStream_tbEUljE_ZNSN_ISO_Lb1ESQ_SR_ST_SU_SY_EESZ_S10_S11_S12_S16_S17_S18_S1B_S1C_jS1D_jS1E_S1E_jjS1G_bEUljE0_EEESZ_S10_S11_S18_S1C_S1E_T6_T7_T9_mT8_S1G_bDpT10_ENKUlT_T0_E_clISt17integral_constantIbLb1EES1T_IbLb0EEEEDaS1P_S1Q_EUlS1P_E_NS1_11comp_targetILNS1_3genE5ELNS1_11target_archE942ELNS1_3gpuE9ELNS1_3repE0EEENS1_30default_config_static_selectorELNS0_4arch9wavefront6targetE0EEEvS12_.has_recursion, 0
	.set _ZN7rocprim17ROCPRIM_400000_NS6detail17trampoline_kernelINS0_13select_configILj256ELj13ELNS0_17block_load_methodE3ELS4_3ELS4_3ELNS0_20block_scan_algorithmE0ELj4294967295EEENS1_25partition_config_selectorILNS1_17partition_subalgoE4EjNS0_10empty_typeEbEEZZNS1_14partition_implILS8_4ELb0ES6_15HIP_vector_typeIjLj2EENS0_17counting_iteratorIjlEEPS9_SG_NS0_5tupleIJPjSI_NS0_16reverse_iteratorISI_EEEEENSH_IJSG_SG_SG_EEES9_SI_JZNS1_25segmented_radix_sort_implINS0_14default_configELb1EPKhPhPKlPlN2at6native12_GLOBAL__N_18offset_tEEE10hipError_tPvRmT1_PNSt15iterator_traitsIS12_E10value_typeET2_T3_PNS13_IS18_E10value_typeET4_jRbjT5_S1E_jjP12ihipStream_tbEUljE_ZNSN_ISO_Lb1ESQ_SR_ST_SU_SY_EESZ_S10_S11_S12_S16_S17_S18_S1B_S1C_jS1D_jS1E_S1E_jjS1G_bEUljE0_EEESZ_S10_S11_S18_S1C_S1E_T6_T7_T9_mT8_S1G_bDpT10_ENKUlT_T0_E_clISt17integral_constantIbLb1EES1T_IbLb0EEEEDaS1P_S1Q_EUlS1P_E_NS1_11comp_targetILNS1_3genE5ELNS1_11target_archE942ELNS1_3gpuE9ELNS1_3repE0EEENS1_30default_config_static_selectorELNS0_4arch9wavefront6targetE0EEEvS12_.has_indirect_call, 0
	.section	.AMDGPU.csdata,"",@progbits
; Kernel info:
; codeLenInByte = 0
; TotalNumSgprs: 0
; NumVgprs: 0
; ScratchSize: 0
; MemoryBound: 0
; FloatMode: 240
; IeeeMode: 1
; LDSByteSize: 0 bytes/workgroup (compile time only)
; SGPRBlocks: 0
; VGPRBlocks: 0
; NumSGPRsForWavesPerEU: 1
; NumVGPRsForWavesPerEU: 1
; NamedBarCnt: 0
; Occupancy: 16
; WaveLimiterHint : 0
; COMPUTE_PGM_RSRC2:SCRATCH_EN: 0
; COMPUTE_PGM_RSRC2:USER_SGPR: 2
; COMPUTE_PGM_RSRC2:TRAP_HANDLER: 0
; COMPUTE_PGM_RSRC2:TGID_X_EN: 1
; COMPUTE_PGM_RSRC2:TGID_Y_EN: 0
; COMPUTE_PGM_RSRC2:TGID_Z_EN: 0
; COMPUTE_PGM_RSRC2:TIDIG_COMP_CNT: 0
	.section	.text._ZN7rocprim17ROCPRIM_400000_NS6detail17trampoline_kernelINS0_13select_configILj256ELj13ELNS0_17block_load_methodE3ELS4_3ELS4_3ELNS0_20block_scan_algorithmE0ELj4294967295EEENS1_25partition_config_selectorILNS1_17partition_subalgoE4EjNS0_10empty_typeEbEEZZNS1_14partition_implILS8_4ELb0ES6_15HIP_vector_typeIjLj2EENS0_17counting_iteratorIjlEEPS9_SG_NS0_5tupleIJPjSI_NS0_16reverse_iteratorISI_EEEEENSH_IJSG_SG_SG_EEES9_SI_JZNS1_25segmented_radix_sort_implINS0_14default_configELb1EPKhPhPKlPlN2at6native12_GLOBAL__N_18offset_tEEE10hipError_tPvRmT1_PNSt15iterator_traitsIS12_E10value_typeET2_T3_PNS13_IS18_E10value_typeET4_jRbjT5_S1E_jjP12ihipStream_tbEUljE_ZNSN_ISO_Lb1ESQ_SR_ST_SU_SY_EESZ_S10_S11_S12_S16_S17_S18_S1B_S1C_jS1D_jS1E_S1E_jjS1G_bEUljE0_EEESZ_S10_S11_S18_S1C_S1E_T6_T7_T9_mT8_S1G_bDpT10_ENKUlT_T0_E_clISt17integral_constantIbLb1EES1T_IbLb0EEEEDaS1P_S1Q_EUlS1P_E_NS1_11comp_targetILNS1_3genE4ELNS1_11target_archE910ELNS1_3gpuE8ELNS1_3repE0EEENS1_30default_config_static_selectorELNS0_4arch9wavefront6targetE0EEEvS12_,"axG",@progbits,_ZN7rocprim17ROCPRIM_400000_NS6detail17trampoline_kernelINS0_13select_configILj256ELj13ELNS0_17block_load_methodE3ELS4_3ELS4_3ELNS0_20block_scan_algorithmE0ELj4294967295EEENS1_25partition_config_selectorILNS1_17partition_subalgoE4EjNS0_10empty_typeEbEEZZNS1_14partition_implILS8_4ELb0ES6_15HIP_vector_typeIjLj2EENS0_17counting_iteratorIjlEEPS9_SG_NS0_5tupleIJPjSI_NS0_16reverse_iteratorISI_EEEEENSH_IJSG_SG_SG_EEES9_SI_JZNS1_25segmented_radix_sort_implINS0_14default_configELb1EPKhPhPKlPlN2at6native12_GLOBAL__N_18offset_tEEE10hipError_tPvRmT1_PNSt15iterator_traitsIS12_E10value_typeET2_T3_PNS13_IS18_E10value_typeET4_jRbjT5_S1E_jjP12ihipStream_tbEUljE_ZNSN_ISO_Lb1ESQ_SR_ST_SU_SY_EESZ_S10_S11_S12_S16_S17_S18_S1B_S1C_jS1D_jS1E_S1E_jjS1G_bEUljE0_EEESZ_S10_S11_S18_S1C_S1E_T6_T7_T9_mT8_S1G_bDpT10_ENKUlT_T0_E_clISt17integral_constantIbLb1EES1T_IbLb0EEEEDaS1P_S1Q_EUlS1P_E_NS1_11comp_targetILNS1_3genE4ELNS1_11target_archE910ELNS1_3gpuE8ELNS1_3repE0EEENS1_30default_config_static_selectorELNS0_4arch9wavefront6targetE0EEEvS12_,comdat
	.globl	_ZN7rocprim17ROCPRIM_400000_NS6detail17trampoline_kernelINS0_13select_configILj256ELj13ELNS0_17block_load_methodE3ELS4_3ELS4_3ELNS0_20block_scan_algorithmE0ELj4294967295EEENS1_25partition_config_selectorILNS1_17partition_subalgoE4EjNS0_10empty_typeEbEEZZNS1_14partition_implILS8_4ELb0ES6_15HIP_vector_typeIjLj2EENS0_17counting_iteratorIjlEEPS9_SG_NS0_5tupleIJPjSI_NS0_16reverse_iteratorISI_EEEEENSH_IJSG_SG_SG_EEES9_SI_JZNS1_25segmented_radix_sort_implINS0_14default_configELb1EPKhPhPKlPlN2at6native12_GLOBAL__N_18offset_tEEE10hipError_tPvRmT1_PNSt15iterator_traitsIS12_E10value_typeET2_T3_PNS13_IS18_E10value_typeET4_jRbjT5_S1E_jjP12ihipStream_tbEUljE_ZNSN_ISO_Lb1ESQ_SR_ST_SU_SY_EESZ_S10_S11_S12_S16_S17_S18_S1B_S1C_jS1D_jS1E_S1E_jjS1G_bEUljE0_EEESZ_S10_S11_S18_S1C_S1E_T6_T7_T9_mT8_S1G_bDpT10_ENKUlT_T0_E_clISt17integral_constantIbLb1EES1T_IbLb0EEEEDaS1P_S1Q_EUlS1P_E_NS1_11comp_targetILNS1_3genE4ELNS1_11target_archE910ELNS1_3gpuE8ELNS1_3repE0EEENS1_30default_config_static_selectorELNS0_4arch9wavefront6targetE0EEEvS12_ ; -- Begin function _ZN7rocprim17ROCPRIM_400000_NS6detail17trampoline_kernelINS0_13select_configILj256ELj13ELNS0_17block_load_methodE3ELS4_3ELS4_3ELNS0_20block_scan_algorithmE0ELj4294967295EEENS1_25partition_config_selectorILNS1_17partition_subalgoE4EjNS0_10empty_typeEbEEZZNS1_14partition_implILS8_4ELb0ES6_15HIP_vector_typeIjLj2EENS0_17counting_iteratorIjlEEPS9_SG_NS0_5tupleIJPjSI_NS0_16reverse_iteratorISI_EEEEENSH_IJSG_SG_SG_EEES9_SI_JZNS1_25segmented_radix_sort_implINS0_14default_configELb1EPKhPhPKlPlN2at6native12_GLOBAL__N_18offset_tEEE10hipError_tPvRmT1_PNSt15iterator_traitsIS12_E10value_typeET2_T3_PNS13_IS18_E10value_typeET4_jRbjT5_S1E_jjP12ihipStream_tbEUljE_ZNSN_ISO_Lb1ESQ_SR_ST_SU_SY_EESZ_S10_S11_S12_S16_S17_S18_S1B_S1C_jS1D_jS1E_S1E_jjS1G_bEUljE0_EEESZ_S10_S11_S18_S1C_S1E_T6_T7_T9_mT8_S1G_bDpT10_ENKUlT_T0_E_clISt17integral_constantIbLb1EES1T_IbLb0EEEEDaS1P_S1Q_EUlS1P_E_NS1_11comp_targetILNS1_3genE4ELNS1_11target_archE910ELNS1_3gpuE8ELNS1_3repE0EEENS1_30default_config_static_selectorELNS0_4arch9wavefront6targetE0EEEvS12_
	.p2align	8
	.type	_ZN7rocprim17ROCPRIM_400000_NS6detail17trampoline_kernelINS0_13select_configILj256ELj13ELNS0_17block_load_methodE3ELS4_3ELS4_3ELNS0_20block_scan_algorithmE0ELj4294967295EEENS1_25partition_config_selectorILNS1_17partition_subalgoE4EjNS0_10empty_typeEbEEZZNS1_14partition_implILS8_4ELb0ES6_15HIP_vector_typeIjLj2EENS0_17counting_iteratorIjlEEPS9_SG_NS0_5tupleIJPjSI_NS0_16reverse_iteratorISI_EEEEENSH_IJSG_SG_SG_EEES9_SI_JZNS1_25segmented_radix_sort_implINS0_14default_configELb1EPKhPhPKlPlN2at6native12_GLOBAL__N_18offset_tEEE10hipError_tPvRmT1_PNSt15iterator_traitsIS12_E10value_typeET2_T3_PNS13_IS18_E10value_typeET4_jRbjT5_S1E_jjP12ihipStream_tbEUljE_ZNSN_ISO_Lb1ESQ_SR_ST_SU_SY_EESZ_S10_S11_S12_S16_S17_S18_S1B_S1C_jS1D_jS1E_S1E_jjS1G_bEUljE0_EEESZ_S10_S11_S18_S1C_S1E_T6_T7_T9_mT8_S1G_bDpT10_ENKUlT_T0_E_clISt17integral_constantIbLb1EES1T_IbLb0EEEEDaS1P_S1Q_EUlS1P_E_NS1_11comp_targetILNS1_3genE4ELNS1_11target_archE910ELNS1_3gpuE8ELNS1_3repE0EEENS1_30default_config_static_selectorELNS0_4arch9wavefront6targetE0EEEvS12_,@function
_ZN7rocprim17ROCPRIM_400000_NS6detail17trampoline_kernelINS0_13select_configILj256ELj13ELNS0_17block_load_methodE3ELS4_3ELS4_3ELNS0_20block_scan_algorithmE0ELj4294967295EEENS1_25partition_config_selectorILNS1_17partition_subalgoE4EjNS0_10empty_typeEbEEZZNS1_14partition_implILS8_4ELb0ES6_15HIP_vector_typeIjLj2EENS0_17counting_iteratorIjlEEPS9_SG_NS0_5tupleIJPjSI_NS0_16reverse_iteratorISI_EEEEENSH_IJSG_SG_SG_EEES9_SI_JZNS1_25segmented_radix_sort_implINS0_14default_configELb1EPKhPhPKlPlN2at6native12_GLOBAL__N_18offset_tEEE10hipError_tPvRmT1_PNSt15iterator_traitsIS12_E10value_typeET2_T3_PNS13_IS18_E10value_typeET4_jRbjT5_S1E_jjP12ihipStream_tbEUljE_ZNSN_ISO_Lb1ESQ_SR_ST_SU_SY_EESZ_S10_S11_S12_S16_S17_S18_S1B_S1C_jS1D_jS1E_S1E_jjS1G_bEUljE0_EEESZ_S10_S11_S18_S1C_S1E_T6_T7_T9_mT8_S1G_bDpT10_ENKUlT_T0_E_clISt17integral_constantIbLb1EES1T_IbLb0EEEEDaS1P_S1Q_EUlS1P_E_NS1_11comp_targetILNS1_3genE4ELNS1_11target_archE910ELNS1_3gpuE8ELNS1_3repE0EEENS1_30default_config_static_selectorELNS0_4arch9wavefront6targetE0EEEvS12_: ; @_ZN7rocprim17ROCPRIM_400000_NS6detail17trampoline_kernelINS0_13select_configILj256ELj13ELNS0_17block_load_methodE3ELS4_3ELS4_3ELNS0_20block_scan_algorithmE0ELj4294967295EEENS1_25partition_config_selectorILNS1_17partition_subalgoE4EjNS0_10empty_typeEbEEZZNS1_14partition_implILS8_4ELb0ES6_15HIP_vector_typeIjLj2EENS0_17counting_iteratorIjlEEPS9_SG_NS0_5tupleIJPjSI_NS0_16reverse_iteratorISI_EEEEENSH_IJSG_SG_SG_EEES9_SI_JZNS1_25segmented_radix_sort_implINS0_14default_configELb1EPKhPhPKlPlN2at6native12_GLOBAL__N_18offset_tEEE10hipError_tPvRmT1_PNSt15iterator_traitsIS12_E10value_typeET2_T3_PNS13_IS18_E10value_typeET4_jRbjT5_S1E_jjP12ihipStream_tbEUljE_ZNSN_ISO_Lb1ESQ_SR_ST_SU_SY_EESZ_S10_S11_S12_S16_S17_S18_S1B_S1C_jS1D_jS1E_S1E_jjS1G_bEUljE0_EEESZ_S10_S11_S18_S1C_S1E_T6_T7_T9_mT8_S1G_bDpT10_ENKUlT_T0_E_clISt17integral_constantIbLb1EES1T_IbLb0EEEEDaS1P_S1Q_EUlS1P_E_NS1_11comp_targetILNS1_3genE4ELNS1_11target_archE910ELNS1_3gpuE8ELNS1_3repE0EEENS1_30default_config_static_selectorELNS0_4arch9wavefront6targetE0EEEvS12_
; %bb.0:
	.section	.rodata,"a",@progbits
	.p2align	6, 0x0
	.amdhsa_kernel _ZN7rocprim17ROCPRIM_400000_NS6detail17trampoline_kernelINS0_13select_configILj256ELj13ELNS0_17block_load_methodE3ELS4_3ELS4_3ELNS0_20block_scan_algorithmE0ELj4294967295EEENS1_25partition_config_selectorILNS1_17partition_subalgoE4EjNS0_10empty_typeEbEEZZNS1_14partition_implILS8_4ELb0ES6_15HIP_vector_typeIjLj2EENS0_17counting_iteratorIjlEEPS9_SG_NS0_5tupleIJPjSI_NS0_16reverse_iteratorISI_EEEEENSH_IJSG_SG_SG_EEES9_SI_JZNS1_25segmented_radix_sort_implINS0_14default_configELb1EPKhPhPKlPlN2at6native12_GLOBAL__N_18offset_tEEE10hipError_tPvRmT1_PNSt15iterator_traitsIS12_E10value_typeET2_T3_PNS13_IS18_E10value_typeET4_jRbjT5_S1E_jjP12ihipStream_tbEUljE_ZNSN_ISO_Lb1ESQ_SR_ST_SU_SY_EESZ_S10_S11_S12_S16_S17_S18_S1B_S1C_jS1D_jS1E_S1E_jjS1G_bEUljE0_EEESZ_S10_S11_S18_S1C_S1E_T6_T7_T9_mT8_S1G_bDpT10_ENKUlT_T0_E_clISt17integral_constantIbLb1EES1T_IbLb0EEEEDaS1P_S1Q_EUlS1P_E_NS1_11comp_targetILNS1_3genE4ELNS1_11target_archE910ELNS1_3gpuE8ELNS1_3repE0EEENS1_30default_config_static_selectorELNS0_4arch9wavefront6targetE0EEEvS12_
		.amdhsa_group_segment_fixed_size 0
		.amdhsa_private_segment_fixed_size 0
		.amdhsa_kernarg_size 176
		.amdhsa_user_sgpr_count 2
		.amdhsa_user_sgpr_dispatch_ptr 0
		.amdhsa_user_sgpr_queue_ptr 0
		.amdhsa_user_sgpr_kernarg_segment_ptr 1
		.amdhsa_user_sgpr_dispatch_id 0
		.amdhsa_user_sgpr_kernarg_preload_length 0
		.amdhsa_user_sgpr_kernarg_preload_offset 0
		.amdhsa_user_sgpr_private_segment_size 0
		.amdhsa_wavefront_size32 1
		.amdhsa_uses_dynamic_stack 0
		.amdhsa_enable_private_segment 0
		.amdhsa_system_sgpr_workgroup_id_x 1
		.amdhsa_system_sgpr_workgroup_id_y 0
		.amdhsa_system_sgpr_workgroup_id_z 0
		.amdhsa_system_sgpr_workgroup_info 0
		.amdhsa_system_vgpr_workitem_id 0
		.amdhsa_next_free_vgpr 1
		.amdhsa_next_free_sgpr 1
		.amdhsa_named_barrier_count 0
		.amdhsa_reserve_vcc 0
		.amdhsa_float_round_mode_32 0
		.amdhsa_float_round_mode_16_64 0
		.amdhsa_float_denorm_mode_32 3
		.amdhsa_float_denorm_mode_16_64 3
		.amdhsa_fp16_overflow 0
		.amdhsa_memory_ordered 1
		.amdhsa_forward_progress 1
		.amdhsa_inst_pref_size 0
		.amdhsa_round_robin_scheduling 0
		.amdhsa_exception_fp_ieee_invalid_op 0
		.amdhsa_exception_fp_denorm_src 0
		.amdhsa_exception_fp_ieee_div_zero 0
		.amdhsa_exception_fp_ieee_overflow 0
		.amdhsa_exception_fp_ieee_underflow 0
		.amdhsa_exception_fp_ieee_inexact 0
		.amdhsa_exception_int_div_zero 0
	.end_amdhsa_kernel
	.section	.text._ZN7rocprim17ROCPRIM_400000_NS6detail17trampoline_kernelINS0_13select_configILj256ELj13ELNS0_17block_load_methodE3ELS4_3ELS4_3ELNS0_20block_scan_algorithmE0ELj4294967295EEENS1_25partition_config_selectorILNS1_17partition_subalgoE4EjNS0_10empty_typeEbEEZZNS1_14partition_implILS8_4ELb0ES6_15HIP_vector_typeIjLj2EENS0_17counting_iteratorIjlEEPS9_SG_NS0_5tupleIJPjSI_NS0_16reverse_iteratorISI_EEEEENSH_IJSG_SG_SG_EEES9_SI_JZNS1_25segmented_radix_sort_implINS0_14default_configELb1EPKhPhPKlPlN2at6native12_GLOBAL__N_18offset_tEEE10hipError_tPvRmT1_PNSt15iterator_traitsIS12_E10value_typeET2_T3_PNS13_IS18_E10value_typeET4_jRbjT5_S1E_jjP12ihipStream_tbEUljE_ZNSN_ISO_Lb1ESQ_SR_ST_SU_SY_EESZ_S10_S11_S12_S16_S17_S18_S1B_S1C_jS1D_jS1E_S1E_jjS1G_bEUljE0_EEESZ_S10_S11_S18_S1C_S1E_T6_T7_T9_mT8_S1G_bDpT10_ENKUlT_T0_E_clISt17integral_constantIbLb1EES1T_IbLb0EEEEDaS1P_S1Q_EUlS1P_E_NS1_11comp_targetILNS1_3genE4ELNS1_11target_archE910ELNS1_3gpuE8ELNS1_3repE0EEENS1_30default_config_static_selectorELNS0_4arch9wavefront6targetE0EEEvS12_,"axG",@progbits,_ZN7rocprim17ROCPRIM_400000_NS6detail17trampoline_kernelINS0_13select_configILj256ELj13ELNS0_17block_load_methodE3ELS4_3ELS4_3ELNS0_20block_scan_algorithmE0ELj4294967295EEENS1_25partition_config_selectorILNS1_17partition_subalgoE4EjNS0_10empty_typeEbEEZZNS1_14partition_implILS8_4ELb0ES6_15HIP_vector_typeIjLj2EENS0_17counting_iteratorIjlEEPS9_SG_NS0_5tupleIJPjSI_NS0_16reverse_iteratorISI_EEEEENSH_IJSG_SG_SG_EEES9_SI_JZNS1_25segmented_radix_sort_implINS0_14default_configELb1EPKhPhPKlPlN2at6native12_GLOBAL__N_18offset_tEEE10hipError_tPvRmT1_PNSt15iterator_traitsIS12_E10value_typeET2_T3_PNS13_IS18_E10value_typeET4_jRbjT5_S1E_jjP12ihipStream_tbEUljE_ZNSN_ISO_Lb1ESQ_SR_ST_SU_SY_EESZ_S10_S11_S12_S16_S17_S18_S1B_S1C_jS1D_jS1E_S1E_jjS1G_bEUljE0_EEESZ_S10_S11_S18_S1C_S1E_T6_T7_T9_mT8_S1G_bDpT10_ENKUlT_T0_E_clISt17integral_constantIbLb1EES1T_IbLb0EEEEDaS1P_S1Q_EUlS1P_E_NS1_11comp_targetILNS1_3genE4ELNS1_11target_archE910ELNS1_3gpuE8ELNS1_3repE0EEENS1_30default_config_static_selectorELNS0_4arch9wavefront6targetE0EEEvS12_,comdat
.Lfunc_end32:
	.size	_ZN7rocprim17ROCPRIM_400000_NS6detail17trampoline_kernelINS0_13select_configILj256ELj13ELNS0_17block_load_methodE3ELS4_3ELS4_3ELNS0_20block_scan_algorithmE0ELj4294967295EEENS1_25partition_config_selectorILNS1_17partition_subalgoE4EjNS0_10empty_typeEbEEZZNS1_14partition_implILS8_4ELb0ES6_15HIP_vector_typeIjLj2EENS0_17counting_iteratorIjlEEPS9_SG_NS0_5tupleIJPjSI_NS0_16reverse_iteratorISI_EEEEENSH_IJSG_SG_SG_EEES9_SI_JZNS1_25segmented_radix_sort_implINS0_14default_configELb1EPKhPhPKlPlN2at6native12_GLOBAL__N_18offset_tEEE10hipError_tPvRmT1_PNSt15iterator_traitsIS12_E10value_typeET2_T3_PNS13_IS18_E10value_typeET4_jRbjT5_S1E_jjP12ihipStream_tbEUljE_ZNSN_ISO_Lb1ESQ_SR_ST_SU_SY_EESZ_S10_S11_S12_S16_S17_S18_S1B_S1C_jS1D_jS1E_S1E_jjS1G_bEUljE0_EEESZ_S10_S11_S18_S1C_S1E_T6_T7_T9_mT8_S1G_bDpT10_ENKUlT_T0_E_clISt17integral_constantIbLb1EES1T_IbLb0EEEEDaS1P_S1Q_EUlS1P_E_NS1_11comp_targetILNS1_3genE4ELNS1_11target_archE910ELNS1_3gpuE8ELNS1_3repE0EEENS1_30default_config_static_selectorELNS0_4arch9wavefront6targetE0EEEvS12_, .Lfunc_end32-_ZN7rocprim17ROCPRIM_400000_NS6detail17trampoline_kernelINS0_13select_configILj256ELj13ELNS0_17block_load_methodE3ELS4_3ELS4_3ELNS0_20block_scan_algorithmE0ELj4294967295EEENS1_25partition_config_selectorILNS1_17partition_subalgoE4EjNS0_10empty_typeEbEEZZNS1_14partition_implILS8_4ELb0ES6_15HIP_vector_typeIjLj2EENS0_17counting_iteratorIjlEEPS9_SG_NS0_5tupleIJPjSI_NS0_16reverse_iteratorISI_EEEEENSH_IJSG_SG_SG_EEES9_SI_JZNS1_25segmented_radix_sort_implINS0_14default_configELb1EPKhPhPKlPlN2at6native12_GLOBAL__N_18offset_tEEE10hipError_tPvRmT1_PNSt15iterator_traitsIS12_E10value_typeET2_T3_PNS13_IS18_E10value_typeET4_jRbjT5_S1E_jjP12ihipStream_tbEUljE_ZNSN_ISO_Lb1ESQ_SR_ST_SU_SY_EESZ_S10_S11_S12_S16_S17_S18_S1B_S1C_jS1D_jS1E_S1E_jjS1G_bEUljE0_EEESZ_S10_S11_S18_S1C_S1E_T6_T7_T9_mT8_S1G_bDpT10_ENKUlT_T0_E_clISt17integral_constantIbLb1EES1T_IbLb0EEEEDaS1P_S1Q_EUlS1P_E_NS1_11comp_targetILNS1_3genE4ELNS1_11target_archE910ELNS1_3gpuE8ELNS1_3repE0EEENS1_30default_config_static_selectorELNS0_4arch9wavefront6targetE0EEEvS12_
                                        ; -- End function
	.set _ZN7rocprim17ROCPRIM_400000_NS6detail17trampoline_kernelINS0_13select_configILj256ELj13ELNS0_17block_load_methodE3ELS4_3ELS4_3ELNS0_20block_scan_algorithmE0ELj4294967295EEENS1_25partition_config_selectorILNS1_17partition_subalgoE4EjNS0_10empty_typeEbEEZZNS1_14partition_implILS8_4ELb0ES6_15HIP_vector_typeIjLj2EENS0_17counting_iteratorIjlEEPS9_SG_NS0_5tupleIJPjSI_NS0_16reverse_iteratorISI_EEEEENSH_IJSG_SG_SG_EEES9_SI_JZNS1_25segmented_radix_sort_implINS0_14default_configELb1EPKhPhPKlPlN2at6native12_GLOBAL__N_18offset_tEEE10hipError_tPvRmT1_PNSt15iterator_traitsIS12_E10value_typeET2_T3_PNS13_IS18_E10value_typeET4_jRbjT5_S1E_jjP12ihipStream_tbEUljE_ZNSN_ISO_Lb1ESQ_SR_ST_SU_SY_EESZ_S10_S11_S12_S16_S17_S18_S1B_S1C_jS1D_jS1E_S1E_jjS1G_bEUljE0_EEESZ_S10_S11_S18_S1C_S1E_T6_T7_T9_mT8_S1G_bDpT10_ENKUlT_T0_E_clISt17integral_constantIbLb1EES1T_IbLb0EEEEDaS1P_S1Q_EUlS1P_E_NS1_11comp_targetILNS1_3genE4ELNS1_11target_archE910ELNS1_3gpuE8ELNS1_3repE0EEENS1_30default_config_static_selectorELNS0_4arch9wavefront6targetE0EEEvS12_.num_vgpr, 0
	.set _ZN7rocprim17ROCPRIM_400000_NS6detail17trampoline_kernelINS0_13select_configILj256ELj13ELNS0_17block_load_methodE3ELS4_3ELS4_3ELNS0_20block_scan_algorithmE0ELj4294967295EEENS1_25partition_config_selectorILNS1_17partition_subalgoE4EjNS0_10empty_typeEbEEZZNS1_14partition_implILS8_4ELb0ES6_15HIP_vector_typeIjLj2EENS0_17counting_iteratorIjlEEPS9_SG_NS0_5tupleIJPjSI_NS0_16reverse_iteratorISI_EEEEENSH_IJSG_SG_SG_EEES9_SI_JZNS1_25segmented_radix_sort_implINS0_14default_configELb1EPKhPhPKlPlN2at6native12_GLOBAL__N_18offset_tEEE10hipError_tPvRmT1_PNSt15iterator_traitsIS12_E10value_typeET2_T3_PNS13_IS18_E10value_typeET4_jRbjT5_S1E_jjP12ihipStream_tbEUljE_ZNSN_ISO_Lb1ESQ_SR_ST_SU_SY_EESZ_S10_S11_S12_S16_S17_S18_S1B_S1C_jS1D_jS1E_S1E_jjS1G_bEUljE0_EEESZ_S10_S11_S18_S1C_S1E_T6_T7_T9_mT8_S1G_bDpT10_ENKUlT_T0_E_clISt17integral_constantIbLb1EES1T_IbLb0EEEEDaS1P_S1Q_EUlS1P_E_NS1_11comp_targetILNS1_3genE4ELNS1_11target_archE910ELNS1_3gpuE8ELNS1_3repE0EEENS1_30default_config_static_selectorELNS0_4arch9wavefront6targetE0EEEvS12_.num_agpr, 0
	.set _ZN7rocprim17ROCPRIM_400000_NS6detail17trampoline_kernelINS0_13select_configILj256ELj13ELNS0_17block_load_methodE3ELS4_3ELS4_3ELNS0_20block_scan_algorithmE0ELj4294967295EEENS1_25partition_config_selectorILNS1_17partition_subalgoE4EjNS0_10empty_typeEbEEZZNS1_14partition_implILS8_4ELb0ES6_15HIP_vector_typeIjLj2EENS0_17counting_iteratorIjlEEPS9_SG_NS0_5tupleIJPjSI_NS0_16reverse_iteratorISI_EEEEENSH_IJSG_SG_SG_EEES9_SI_JZNS1_25segmented_radix_sort_implINS0_14default_configELb1EPKhPhPKlPlN2at6native12_GLOBAL__N_18offset_tEEE10hipError_tPvRmT1_PNSt15iterator_traitsIS12_E10value_typeET2_T3_PNS13_IS18_E10value_typeET4_jRbjT5_S1E_jjP12ihipStream_tbEUljE_ZNSN_ISO_Lb1ESQ_SR_ST_SU_SY_EESZ_S10_S11_S12_S16_S17_S18_S1B_S1C_jS1D_jS1E_S1E_jjS1G_bEUljE0_EEESZ_S10_S11_S18_S1C_S1E_T6_T7_T9_mT8_S1G_bDpT10_ENKUlT_T0_E_clISt17integral_constantIbLb1EES1T_IbLb0EEEEDaS1P_S1Q_EUlS1P_E_NS1_11comp_targetILNS1_3genE4ELNS1_11target_archE910ELNS1_3gpuE8ELNS1_3repE0EEENS1_30default_config_static_selectorELNS0_4arch9wavefront6targetE0EEEvS12_.numbered_sgpr, 0
	.set _ZN7rocprim17ROCPRIM_400000_NS6detail17trampoline_kernelINS0_13select_configILj256ELj13ELNS0_17block_load_methodE3ELS4_3ELS4_3ELNS0_20block_scan_algorithmE0ELj4294967295EEENS1_25partition_config_selectorILNS1_17partition_subalgoE4EjNS0_10empty_typeEbEEZZNS1_14partition_implILS8_4ELb0ES6_15HIP_vector_typeIjLj2EENS0_17counting_iteratorIjlEEPS9_SG_NS0_5tupleIJPjSI_NS0_16reverse_iteratorISI_EEEEENSH_IJSG_SG_SG_EEES9_SI_JZNS1_25segmented_radix_sort_implINS0_14default_configELb1EPKhPhPKlPlN2at6native12_GLOBAL__N_18offset_tEEE10hipError_tPvRmT1_PNSt15iterator_traitsIS12_E10value_typeET2_T3_PNS13_IS18_E10value_typeET4_jRbjT5_S1E_jjP12ihipStream_tbEUljE_ZNSN_ISO_Lb1ESQ_SR_ST_SU_SY_EESZ_S10_S11_S12_S16_S17_S18_S1B_S1C_jS1D_jS1E_S1E_jjS1G_bEUljE0_EEESZ_S10_S11_S18_S1C_S1E_T6_T7_T9_mT8_S1G_bDpT10_ENKUlT_T0_E_clISt17integral_constantIbLb1EES1T_IbLb0EEEEDaS1P_S1Q_EUlS1P_E_NS1_11comp_targetILNS1_3genE4ELNS1_11target_archE910ELNS1_3gpuE8ELNS1_3repE0EEENS1_30default_config_static_selectorELNS0_4arch9wavefront6targetE0EEEvS12_.num_named_barrier, 0
	.set _ZN7rocprim17ROCPRIM_400000_NS6detail17trampoline_kernelINS0_13select_configILj256ELj13ELNS0_17block_load_methodE3ELS4_3ELS4_3ELNS0_20block_scan_algorithmE0ELj4294967295EEENS1_25partition_config_selectorILNS1_17partition_subalgoE4EjNS0_10empty_typeEbEEZZNS1_14partition_implILS8_4ELb0ES6_15HIP_vector_typeIjLj2EENS0_17counting_iteratorIjlEEPS9_SG_NS0_5tupleIJPjSI_NS0_16reverse_iteratorISI_EEEEENSH_IJSG_SG_SG_EEES9_SI_JZNS1_25segmented_radix_sort_implINS0_14default_configELb1EPKhPhPKlPlN2at6native12_GLOBAL__N_18offset_tEEE10hipError_tPvRmT1_PNSt15iterator_traitsIS12_E10value_typeET2_T3_PNS13_IS18_E10value_typeET4_jRbjT5_S1E_jjP12ihipStream_tbEUljE_ZNSN_ISO_Lb1ESQ_SR_ST_SU_SY_EESZ_S10_S11_S12_S16_S17_S18_S1B_S1C_jS1D_jS1E_S1E_jjS1G_bEUljE0_EEESZ_S10_S11_S18_S1C_S1E_T6_T7_T9_mT8_S1G_bDpT10_ENKUlT_T0_E_clISt17integral_constantIbLb1EES1T_IbLb0EEEEDaS1P_S1Q_EUlS1P_E_NS1_11comp_targetILNS1_3genE4ELNS1_11target_archE910ELNS1_3gpuE8ELNS1_3repE0EEENS1_30default_config_static_selectorELNS0_4arch9wavefront6targetE0EEEvS12_.private_seg_size, 0
	.set _ZN7rocprim17ROCPRIM_400000_NS6detail17trampoline_kernelINS0_13select_configILj256ELj13ELNS0_17block_load_methodE3ELS4_3ELS4_3ELNS0_20block_scan_algorithmE0ELj4294967295EEENS1_25partition_config_selectorILNS1_17partition_subalgoE4EjNS0_10empty_typeEbEEZZNS1_14partition_implILS8_4ELb0ES6_15HIP_vector_typeIjLj2EENS0_17counting_iteratorIjlEEPS9_SG_NS0_5tupleIJPjSI_NS0_16reverse_iteratorISI_EEEEENSH_IJSG_SG_SG_EEES9_SI_JZNS1_25segmented_radix_sort_implINS0_14default_configELb1EPKhPhPKlPlN2at6native12_GLOBAL__N_18offset_tEEE10hipError_tPvRmT1_PNSt15iterator_traitsIS12_E10value_typeET2_T3_PNS13_IS18_E10value_typeET4_jRbjT5_S1E_jjP12ihipStream_tbEUljE_ZNSN_ISO_Lb1ESQ_SR_ST_SU_SY_EESZ_S10_S11_S12_S16_S17_S18_S1B_S1C_jS1D_jS1E_S1E_jjS1G_bEUljE0_EEESZ_S10_S11_S18_S1C_S1E_T6_T7_T9_mT8_S1G_bDpT10_ENKUlT_T0_E_clISt17integral_constantIbLb1EES1T_IbLb0EEEEDaS1P_S1Q_EUlS1P_E_NS1_11comp_targetILNS1_3genE4ELNS1_11target_archE910ELNS1_3gpuE8ELNS1_3repE0EEENS1_30default_config_static_selectorELNS0_4arch9wavefront6targetE0EEEvS12_.uses_vcc, 0
	.set _ZN7rocprim17ROCPRIM_400000_NS6detail17trampoline_kernelINS0_13select_configILj256ELj13ELNS0_17block_load_methodE3ELS4_3ELS4_3ELNS0_20block_scan_algorithmE0ELj4294967295EEENS1_25partition_config_selectorILNS1_17partition_subalgoE4EjNS0_10empty_typeEbEEZZNS1_14partition_implILS8_4ELb0ES6_15HIP_vector_typeIjLj2EENS0_17counting_iteratorIjlEEPS9_SG_NS0_5tupleIJPjSI_NS0_16reverse_iteratorISI_EEEEENSH_IJSG_SG_SG_EEES9_SI_JZNS1_25segmented_radix_sort_implINS0_14default_configELb1EPKhPhPKlPlN2at6native12_GLOBAL__N_18offset_tEEE10hipError_tPvRmT1_PNSt15iterator_traitsIS12_E10value_typeET2_T3_PNS13_IS18_E10value_typeET4_jRbjT5_S1E_jjP12ihipStream_tbEUljE_ZNSN_ISO_Lb1ESQ_SR_ST_SU_SY_EESZ_S10_S11_S12_S16_S17_S18_S1B_S1C_jS1D_jS1E_S1E_jjS1G_bEUljE0_EEESZ_S10_S11_S18_S1C_S1E_T6_T7_T9_mT8_S1G_bDpT10_ENKUlT_T0_E_clISt17integral_constantIbLb1EES1T_IbLb0EEEEDaS1P_S1Q_EUlS1P_E_NS1_11comp_targetILNS1_3genE4ELNS1_11target_archE910ELNS1_3gpuE8ELNS1_3repE0EEENS1_30default_config_static_selectorELNS0_4arch9wavefront6targetE0EEEvS12_.uses_flat_scratch, 0
	.set _ZN7rocprim17ROCPRIM_400000_NS6detail17trampoline_kernelINS0_13select_configILj256ELj13ELNS0_17block_load_methodE3ELS4_3ELS4_3ELNS0_20block_scan_algorithmE0ELj4294967295EEENS1_25partition_config_selectorILNS1_17partition_subalgoE4EjNS0_10empty_typeEbEEZZNS1_14partition_implILS8_4ELb0ES6_15HIP_vector_typeIjLj2EENS0_17counting_iteratorIjlEEPS9_SG_NS0_5tupleIJPjSI_NS0_16reverse_iteratorISI_EEEEENSH_IJSG_SG_SG_EEES9_SI_JZNS1_25segmented_radix_sort_implINS0_14default_configELb1EPKhPhPKlPlN2at6native12_GLOBAL__N_18offset_tEEE10hipError_tPvRmT1_PNSt15iterator_traitsIS12_E10value_typeET2_T3_PNS13_IS18_E10value_typeET4_jRbjT5_S1E_jjP12ihipStream_tbEUljE_ZNSN_ISO_Lb1ESQ_SR_ST_SU_SY_EESZ_S10_S11_S12_S16_S17_S18_S1B_S1C_jS1D_jS1E_S1E_jjS1G_bEUljE0_EEESZ_S10_S11_S18_S1C_S1E_T6_T7_T9_mT8_S1G_bDpT10_ENKUlT_T0_E_clISt17integral_constantIbLb1EES1T_IbLb0EEEEDaS1P_S1Q_EUlS1P_E_NS1_11comp_targetILNS1_3genE4ELNS1_11target_archE910ELNS1_3gpuE8ELNS1_3repE0EEENS1_30default_config_static_selectorELNS0_4arch9wavefront6targetE0EEEvS12_.has_dyn_sized_stack, 0
	.set _ZN7rocprim17ROCPRIM_400000_NS6detail17trampoline_kernelINS0_13select_configILj256ELj13ELNS0_17block_load_methodE3ELS4_3ELS4_3ELNS0_20block_scan_algorithmE0ELj4294967295EEENS1_25partition_config_selectorILNS1_17partition_subalgoE4EjNS0_10empty_typeEbEEZZNS1_14partition_implILS8_4ELb0ES6_15HIP_vector_typeIjLj2EENS0_17counting_iteratorIjlEEPS9_SG_NS0_5tupleIJPjSI_NS0_16reverse_iteratorISI_EEEEENSH_IJSG_SG_SG_EEES9_SI_JZNS1_25segmented_radix_sort_implINS0_14default_configELb1EPKhPhPKlPlN2at6native12_GLOBAL__N_18offset_tEEE10hipError_tPvRmT1_PNSt15iterator_traitsIS12_E10value_typeET2_T3_PNS13_IS18_E10value_typeET4_jRbjT5_S1E_jjP12ihipStream_tbEUljE_ZNSN_ISO_Lb1ESQ_SR_ST_SU_SY_EESZ_S10_S11_S12_S16_S17_S18_S1B_S1C_jS1D_jS1E_S1E_jjS1G_bEUljE0_EEESZ_S10_S11_S18_S1C_S1E_T6_T7_T9_mT8_S1G_bDpT10_ENKUlT_T0_E_clISt17integral_constantIbLb1EES1T_IbLb0EEEEDaS1P_S1Q_EUlS1P_E_NS1_11comp_targetILNS1_3genE4ELNS1_11target_archE910ELNS1_3gpuE8ELNS1_3repE0EEENS1_30default_config_static_selectorELNS0_4arch9wavefront6targetE0EEEvS12_.has_recursion, 0
	.set _ZN7rocprim17ROCPRIM_400000_NS6detail17trampoline_kernelINS0_13select_configILj256ELj13ELNS0_17block_load_methodE3ELS4_3ELS4_3ELNS0_20block_scan_algorithmE0ELj4294967295EEENS1_25partition_config_selectorILNS1_17partition_subalgoE4EjNS0_10empty_typeEbEEZZNS1_14partition_implILS8_4ELb0ES6_15HIP_vector_typeIjLj2EENS0_17counting_iteratorIjlEEPS9_SG_NS0_5tupleIJPjSI_NS0_16reverse_iteratorISI_EEEEENSH_IJSG_SG_SG_EEES9_SI_JZNS1_25segmented_radix_sort_implINS0_14default_configELb1EPKhPhPKlPlN2at6native12_GLOBAL__N_18offset_tEEE10hipError_tPvRmT1_PNSt15iterator_traitsIS12_E10value_typeET2_T3_PNS13_IS18_E10value_typeET4_jRbjT5_S1E_jjP12ihipStream_tbEUljE_ZNSN_ISO_Lb1ESQ_SR_ST_SU_SY_EESZ_S10_S11_S12_S16_S17_S18_S1B_S1C_jS1D_jS1E_S1E_jjS1G_bEUljE0_EEESZ_S10_S11_S18_S1C_S1E_T6_T7_T9_mT8_S1G_bDpT10_ENKUlT_T0_E_clISt17integral_constantIbLb1EES1T_IbLb0EEEEDaS1P_S1Q_EUlS1P_E_NS1_11comp_targetILNS1_3genE4ELNS1_11target_archE910ELNS1_3gpuE8ELNS1_3repE0EEENS1_30default_config_static_selectorELNS0_4arch9wavefront6targetE0EEEvS12_.has_indirect_call, 0
	.section	.AMDGPU.csdata,"",@progbits
; Kernel info:
; codeLenInByte = 0
; TotalNumSgprs: 0
; NumVgprs: 0
; ScratchSize: 0
; MemoryBound: 0
; FloatMode: 240
; IeeeMode: 1
; LDSByteSize: 0 bytes/workgroup (compile time only)
; SGPRBlocks: 0
; VGPRBlocks: 0
; NumSGPRsForWavesPerEU: 1
; NumVGPRsForWavesPerEU: 1
; NamedBarCnt: 0
; Occupancy: 16
; WaveLimiterHint : 0
; COMPUTE_PGM_RSRC2:SCRATCH_EN: 0
; COMPUTE_PGM_RSRC2:USER_SGPR: 2
; COMPUTE_PGM_RSRC2:TRAP_HANDLER: 0
; COMPUTE_PGM_RSRC2:TGID_X_EN: 1
; COMPUTE_PGM_RSRC2:TGID_Y_EN: 0
; COMPUTE_PGM_RSRC2:TGID_Z_EN: 0
; COMPUTE_PGM_RSRC2:TIDIG_COMP_CNT: 0
	.section	.text._ZN7rocprim17ROCPRIM_400000_NS6detail17trampoline_kernelINS0_13select_configILj256ELj13ELNS0_17block_load_methodE3ELS4_3ELS4_3ELNS0_20block_scan_algorithmE0ELj4294967295EEENS1_25partition_config_selectorILNS1_17partition_subalgoE4EjNS0_10empty_typeEbEEZZNS1_14partition_implILS8_4ELb0ES6_15HIP_vector_typeIjLj2EENS0_17counting_iteratorIjlEEPS9_SG_NS0_5tupleIJPjSI_NS0_16reverse_iteratorISI_EEEEENSH_IJSG_SG_SG_EEES9_SI_JZNS1_25segmented_radix_sort_implINS0_14default_configELb1EPKhPhPKlPlN2at6native12_GLOBAL__N_18offset_tEEE10hipError_tPvRmT1_PNSt15iterator_traitsIS12_E10value_typeET2_T3_PNS13_IS18_E10value_typeET4_jRbjT5_S1E_jjP12ihipStream_tbEUljE_ZNSN_ISO_Lb1ESQ_SR_ST_SU_SY_EESZ_S10_S11_S12_S16_S17_S18_S1B_S1C_jS1D_jS1E_S1E_jjS1G_bEUljE0_EEESZ_S10_S11_S18_S1C_S1E_T6_T7_T9_mT8_S1G_bDpT10_ENKUlT_T0_E_clISt17integral_constantIbLb1EES1T_IbLb0EEEEDaS1P_S1Q_EUlS1P_E_NS1_11comp_targetILNS1_3genE3ELNS1_11target_archE908ELNS1_3gpuE7ELNS1_3repE0EEENS1_30default_config_static_selectorELNS0_4arch9wavefront6targetE0EEEvS12_,"axG",@progbits,_ZN7rocprim17ROCPRIM_400000_NS6detail17trampoline_kernelINS0_13select_configILj256ELj13ELNS0_17block_load_methodE3ELS4_3ELS4_3ELNS0_20block_scan_algorithmE0ELj4294967295EEENS1_25partition_config_selectorILNS1_17partition_subalgoE4EjNS0_10empty_typeEbEEZZNS1_14partition_implILS8_4ELb0ES6_15HIP_vector_typeIjLj2EENS0_17counting_iteratorIjlEEPS9_SG_NS0_5tupleIJPjSI_NS0_16reverse_iteratorISI_EEEEENSH_IJSG_SG_SG_EEES9_SI_JZNS1_25segmented_radix_sort_implINS0_14default_configELb1EPKhPhPKlPlN2at6native12_GLOBAL__N_18offset_tEEE10hipError_tPvRmT1_PNSt15iterator_traitsIS12_E10value_typeET2_T3_PNS13_IS18_E10value_typeET4_jRbjT5_S1E_jjP12ihipStream_tbEUljE_ZNSN_ISO_Lb1ESQ_SR_ST_SU_SY_EESZ_S10_S11_S12_S16_S17_S18_S1B_S1C_jS1D_jS1E_S1E_jjS1G_bEUljE0_EEESZ_S10_S11_S18_S1C_S1E_T6_T7_T9_mT8_S1G_bDpT10_ENKUlT_T0_E_clISt17integral_constantIbLb1EES1T_IbLb0EEEEDaS1P_S1Q_EUlS1P_E_NS1_11comp_targetILNS1_3genE3ELNS1_11target_archE908ELNS1_3gpuE7ELNS1_3repE0EEENS1_30default_config_static_selectorELNS0_4arch9wavefront6targetE0EEEvS12_,comdat
	.globl	_ZN7rocprim17ROCPRIM_400000_NS6detail17trampoline_kernelINS0_13select_configILj256ELj13ELNS0_17block_load_methodE3ELS4_3ELS4_3ELNS0_20block_scan_algorithmE0ELj4294967295EEENS1_25partition_config_selectorILNS1_17partition_subalgoE4EjNS0_10empty_typeEbEEZZNS1_14partition_implILS8_4ELb0ES6_15HIP_vector_typeIjLj2EENS0_17counting_iteratorIjlEEPS9_SG_NS0_5tupleIJPjSI_NS0_16reverse_iteratorISI_EEEEENSH_IJSG_SG_SG_EEES9_SI_JZNS1_25segmented_radix_sort_implINS0_14default_configELb1EPKhPhPKlPlN2at6native12_GLOBAL__N_18offset_tEEE10hipError_tPvRmT1_PNSt15iterator_traitsIS12_E10value_typeET2_T3_PNS13_IS18_E10value_typeET4_jRbjT5_S1E_jjP12ihipStream_tbEUljE_ZNSN_ISO_Lb1ESQ_SR_ST_SU_SY_EESZ_S10_S11_S12_S16_S17_S18_S1B_S1C_jS1D_jS1E_S1E_jjS1G_bEUljE0_EEESZ_S10_S11_S18_S1C_S1E_T6_T7_T9_mT8_S1G_bDpT10_ENKUlT_T0_E_clISt17integral_constantIbLb1EES1T_IbLb0EEEEDaS1P_S1Q_EUlS1P_E_NS1_11comp_targetILNS1_3genE3ELNS1_11target_archE908ELNS1_3gpuE7ELNS1_3repE0EEENS1_30default_config_static_selectorELNS0_4arch9wavefront6targetE0EEEvS12_ ; -- Begin function _ZN7rocprim17ROCPRIM_400000_NS6detail17trampoline_kernelINS0_13select_configILj256ELj13ELNS0_17block_load_methodE3ELS4_3ELS4_3ELNS0_20block_scan_algorithmE0ELj4294967295EEENS1_25partition_config_selectorILNS1_17partition_subalgoE4EjNS0_10empty_typeEbEEZZNS1_14partition_implILS8_4ELb0ES6_15HIP_vector_typeIjLj2EENS0_17counting_iteratorIjlEEPS9_SG_NS0_5tupleIJPjSI_NS0_16reverse_iteratorISI_EEEEENSH_IJSG_SG_SG_EEES9_SI_JZNS1_25segmented_radix_sort_implINS0_14default_configELb1EPKhPhPKlPlN2at6native12_GLOBAL__N_18offset_tEEE10hipError_tPvRmT1_PNSt15iterator_traitsIS12_E10value_typeET2_T3_PNS13_IS18_E10value_typeET4_jRbjT5_S1E_jjP12ihipStream_tbEUljE_ZNSN_ISO_Lb1ESQ_SR_ST_SU_SY_EESZ_S10_S11_S12_S16_S17_S18_S1B_S1C_jS1D_jS1E_S1E_jjS1G_bEUljE0_EEESZ_S10_S11_S18_S1C_S1E_T6_T7_T9_mT8_S1G_bDpT10_ENKUlT_T0_E_clISt17integral_constantIbLb1EES1T_IbLb0EEEEDaS1P_S1Q_EUlS1P_E_NS1_11comp_targetILNS1_3genE3ELNS1_11target_archE908ELNS1_3gpuE7ELNS1_3repE0EEENS1_30default_config_static_selectorELNS0_4arch9wavefront6targetE0EEEvS12_
	.p2align	8
	.type	_ZN7rocprim17ROCPRIM_400000_NS6detail17trampoline_kernelINS0_13select_configILj256ELj13ELNS0_17block_load_methodE3ELS4_3ELS4_3ELNS0_20block_scan_algorithmE0ELj4294967295EEENS1_25partition_config_selectorILNS1_17partition_subalgoE4EjNS0_10empty_typeEbEEZZNS1_14partition_implILS8_4ELb0ES6_15HIP_vector_typeIjLj2EENS0_17counting_iteratorIjlEEPS9_SG_NS0_5tupleIJPjSI_NS0_16reverse_iteratorISI_EEEEENSH_IJSG_SG_SG_EEES9_SI_JZNS1_25segmented_radix_sort_implINS0_14default_configELb1EPKhPhPKlPlN2at6native12_GLOBAL__N_18offset_tEEE10hipError_tPvRmT1_PNSt15iterator_traitsIS12_E10value_typeET2_T3_PNS13_IS18_E10value_typeET4_jRbjT5_S1E_jjP12ihipStream_tbEUljE_ZNSN_ISO_Lb1ESQ_SR_ST_SU_SY_EESZ_S10_S11_S12_S16_S17_S18_S1B_S1C_jS1D_jS1E_S1E_jjS1G_bEUljE0_EEESZ_S10_S11_S18_S1C_S1E_T6_T7_T9_mT8_S1G_bDpT10_ENKUlT_T0_E_clISt17integral_constantIbLb1EES1T_IbLb0EEEEDaS1P_S1Q_EUlS1P_E_NS1_11comp_targetILNS1_3genE3ELNS1_11target_archE908ELNS1_3gpuE7ELNS1_3repE0EEENS1_30default_config_static_selectorELNS0_4arch9wavefront6targetE0EEEvS12_,@function
_ZN7rocprim17ROCPRIM_400000_NS6detail17trampoline_kernelINS0_13select_configILj256ELj13ELNS0_17block_load_methodE3ELS4_3ELS4_3ELNS0_20block_scan_algorithmE0ELj4294967295EEENS1_25partition_config_selectorILNS1_17partition_subalgoE4EjNS0_10empty_typeEbEEZZNS1_14partition_implILS8_4ELb0ES6_15HIP_vector_typeIjLj2EENS0_17counting_iteratorIjlEEPS9_SG_NS0_5tupleIJPjSI_NS0_16reverse_iteratorISI_EEEEENSH_IJSG_SG_SG_EEES9_SI_JZNS1_25segmented_radix_sort_implINS0_14default_configELb1EPKhPhPKlPlN2at6native12_GLOBAL__N_18offset_tEEE10hipError_tPvRmT1_PNSt15iterator_traitsIS12_E10value_typeET2_T3_PNS13_IS18_E10value_typeET4_jRbjT5_S1E_jjP12ihipStream_tbEUljE_ZNSN_ISO_Lb1ESQ_SR_ST_SU_SY_EESZ_S10_S11_S12_S16_S17_S18_S1B_S1C_jS1D_jS1E_S1E_jjS1G_bEUljE0_EEESZ_S10_S11_S18_S1C_S1E_T6_T7_T9_mT8_S1G_bDpT10_ENKUlT_T0_E_clISt17integral_constantIbLb1EES1T_IbLb0EEEEDaS1P_S1Q_EUlS1P_E_NS1_11comp_targetILNS1_3genE3ELNS1_11target_archE908ELNS1_3gpuE7ELNS1_3repE0EEENS1_30default_config_static_selectorELNS0_4arch9wavefront6targetE0EEEvS12_: ; @_ZN7rocprim17ROCPRIM_400000_NS6detail17trampoline_kernelINS0_13select_configILj256ELj13ELNS0_17block_load_methodE3ELS4_3ELS4_3ELNS0_20block_scan_algorithmE0ELj4294967295EEENS1_25partition_config_selectorILNS1_17partition_subalgoE4EjNS0_10empty_typeEbEEZZNS1_14partition_implILS8_4ELb0ES6_15HIP_vector_typeIjLj2EENS0_17counting_iteratorIjlEEPS9_SG_NS0_5tupleIJPjSI_NS0_16reverse_iteratorISI_EEEEENSH_IJSG_SG_SG_EEES9_SI_JZNS1_25segmented_radix_sort_implINS0_14default_configELb1EPKhPhPKlPlN2at6native12_GLOBAL__N_18offset_tEEE10hipError_tPvRmT1_PNSt15iterator_traitsIS12_E10value_typeET2_T3_PNS13_IS18_E10value_typeET4_jRbjT5_S1E_jjP12ihipStream_tbEUljE_ZNSN_ISO_Lb1ESQ_SR_ST_SU_SY_EESZ_S10_S11_S12_S16_S17_S18_S1B_S1C_jS1D_jS1E_S1E_jjS1G_bEUljE0_EEESZ_S10_S11_S18_S1C_S1E_T6_T7_T9_mT8_S1G_bDpT10_ENKUlT_T0_E_clISt17integral_constantIbLb1EES1T_IbLb0EEEEDaS1P_S1Q_EUlS1P_E_NS1_11comp_targetILNS1_3genE3ELNS1_11target_archE908ELNS1_3gpuE7ELNS1_3repE0EEENS1_30default_config_static_selectorELNS0_4arch9wavefront6targetE0EEEvS12_
; %bb.0:
	.section	.rodata,"a",@progbits
	.p2align	6, 0x0
	.amdhsa_kernel _ZN7rocprim17ROCPRIM_400000_NS6detail17trampoline_kernelINS0_13select_configILj256ELj13ELNS0_17block_load_methodE3ELS4_3ELS4_3ELNS0_20block_scan_algorithmE0ELj4294967295EEENS1_25partition_config_selectorILNS1_17partition_subalgoE4EjNS0_10empty_typeEbEEZZNS1_14partition_implILS8_4ELb0ES6_15HIP_vector_typeIjLj2EENS0_17counting_iteratorIjlEEPS9_SG_NS0_5tupleIJPjSI_NS0_16reverse_iteratorISI_EEEEENSH_IJSG_SG_SG_EEES9_SI_JZNS1_25segmented_radix_sort_implINS0_14default_configELb1EPKhPhPKlPlN2at6native12_GLOBAL__N_18offset_tEEE10hipError_tPvRmT1_PNSt15iterator_traitsIS12_E10value_typeET2_T3_PNS13_IS18_E10value_typeET4_jRbjT5_S1E_jjP12ihipStream_tbEUljE_ZNSN_ISO_Lb1ESQ_SR_ST_SU_SY_EESZ_S10_S11_S12_S16_S17_S18_S1B_S1C_jS1D_jS1E_S1E_jjS1G_bEUljE0_EEESZ_S10_S11_S18_S1C_S1E_T6_T7_T9_mT8_S1G_bDpT10_ENKUlT_T0_E_clISt17integral_constantIbLb1EES1T_IbLb0EEEEDaS1P_S1Q_EUlS1P_E_NS1_11comp_targetILNS1_3genE3ELNS1_11target_archE908ELNS1_3gpuE7ELNS1_3repE0EEENS1_30default_config_static_selectorELNS0_4arch9wavefront6targetE0EEEvS12_
		.amdhsa_group_segment_fixed_size 0
		.amdhsa_private_segment_fixed_size 0
		.amdhsa_kernarg_size 176
		.amdhsa_user_sgpr_count 2
		.amdhsa_user_sgpr_dispatch_ptr 0
		.amdhsa_user_sgpr_queue_ptr 0
		.amdhsa_user_sgpr_kernarg_segment_ptr 1
		.amdhsa_user_sgpr_dispatch_id 0
		.amdhsa_user_sgpr_kernarg_preload_length 0
		.amdhsa_user_sgpr_kernarg_preload_offset 0
		.amdhsa_user_sgpr_private_segment_size 0
		.amdhsa_wavefront_size32 1
		.amdhsa_uses_dynamic_stack 0
		.amdhsa_enable_private_segment 0
		.amdhsa_system_sgpr_workgroup_id_x 1
		.amdhsa_system_sgpr_workgroup_id_y 0
		.amdhsa_system_sgpr_workgroup_id_z 0
		.amdhsa_system_sgpr_workgroup_info 0
		.amdhsa_system_vgpr_workitem_id 0
		.amdhsa_next_free_vgpr 1
		.amdhsa_next_free_sgpr 1
		.amdhsa_named_barrier_count 0
		.amdhsa_reserve_vcc 0
		.amdhsa_float_round_mode_32 0
		.amdhsa_float_round_mode_16_64 0
		.amdhsa_float_denorm_mode_32 3
		.amdhsa_float_denorm_mode_16_64 3
		.amdhsa_fp16_overflow 0
		.amdhsa_memory_ordered 1
		.amdhsa_forward_progress 1
		.amdhsa_inst_pref_size 0
		.amdhsa_round_robin_scheduling 0
		.amdhsa_exception_fp_ieee_invalid_op 0
		.amdhsa_exception_fp_denorm_src 0
		.amdhsa_exception_fp_ieee_div_zero 0
		.amdhsa_exception_fp_ieee_overflow 0
		.amdhsa_exception_fp_ieee_underflow 0
		.amdhsa_exception_fp_ieee_inexact 0
		.amdhsa_exception_int_div_zero 0
	.end_amdhsa_kernel
	.section	.text._ZN7rocprim17ROCPRIM_400000_NS6detail17trampoline_kernelINS0_13select_configILj256ELj13ELNS0_17block_load_methodE3ELS4_3ELS4_3ELNS0_20block_scan_algorithmE0ELj4294967295EEENS1_25partition_config_selectorILNS1_17partition_subalgoE4EjNS0_10empty_typeEbEEZZNS1_14partition_implILS8_4ELb0ES6_15HIP_vector_typeIjLj2EENS0_17counting_iteratorIjlEEPS9_SG_NS0_5tupleIJPjSI_NS0_16reverse_iteratorISI_EEEEENSH_IJSG_SG_SG_EEES9_SI_JZNS1_25segmented_radix_sort_implINS0_14default_configELb1EPKhPhPKlPlN2at6native12_GLOBAL__N_18offset_tEEE10hipError_tPvRmT1_PNSt15iterator_traitsIS12_E10value_typeET2_T3_PNS13_IS18_E10value_typeET4_jRbjT5_S1E_jjP12ihipStream_tbEUljE_ZNSN_ISO_Lb1ESQ_SR_ST_SU_SY_EESZ_S10_S11_S12_S16_S17_S18_S1B_S1C_jS1D_jS1E_S1E_jjS1G_bEUljE0_EEESZ_S10_S11_S18_S1C_S1E_T6_T7_T9_mT8_S1G_bDpT10_ENKUlT_T0_E_clISt17integral_constantIbLb1EES1T_IbLb0EEEEDaS1P_S1Q_EUlS1P_E_NS1_11comp_targetILNS1_3genE3ELNS1_11target_archE908ELNS1_3gpuE7ELNS1_3repE0EEENS1_30default_config_static_selectorELNS0_4arch9wavefront6targetE0EEEvS12_,"axG",@progbits,_ZN7rocprim17ROCPRIM_400000_NS6detail17trampoline_kernelINS0_13select_configILj256ELj13ELNS0_17block_load_methodE3ELS4_3ELS4_3ELNS0_20block_scan_algorithmE0ELj4294967295EEENS1_25partition_config_selectorILNS1_17partition_subalgoE4EjNS0_10empty_typeEbEEZZNS1_14partition_implILS8_4ELb0ES6_15HIP_vector_typeIjLj2EENS0_17counting_iteratorIjlEEPS9_SG_NS0_5tupleIJPjSI_NS0_16reverse_iteratorISI_EEEEENSH_IJSG_SG_SG_EEES9_SI_JZNS1_25segmented_radix_sort_implINS0_14default_configELb1EPKhPhPKlPlN2at6native12_GLOBAL__N_18offset_tEEE10hipError_tPvRmT1_PNSt15iterator_traitsIS12_E10value_typeET2_T3_PNS13_IS18_E10value_typeET4_jRbjT5_S1E_jjP12ihipStream_tbEUljE_ZNSN_ISO_Lb1ESQ_SR_ST_SU_SY_EESZ_S10_S11_S12_S16_S17_S18_S1B_S1C_jS1D_jS1E_S1E_jjS1G_bEUljE0_EEESZ_S10_S11_S18_S1C_S1E_T6_T7_T9_mT8_S1G_bDpT10_ENKUlT_T0_E_clISt17integral_constantIbLb1EES1T_IbLb0EEEEDaS1P_S1Q_EUlS1P_E_NS1_11comp_targetILNS1_3genE3ELNS1_11target_archE908ELNS1_3gpuE7ELNS1_3repE0EEENS1_30default_config_static_selectorELNS0_4arch9wavefront6targetE0EEEvS12_,comdat
.Lfunc_end33:
	.size	_ZN7rocprim17ROCPRIM_400000_NS6detail17trampoline_kernelINS0_13select_configILj256ELj13ELNS0_17block_load_methodE3ELS4_3ELS4_3ELNS0_20block_scan_algorithmE0ELj4294967295EEENS1_25partition_config_selectorILNS1_17partition_subalgoE4EjNS0_10empty_typeEbEEZZNS1_14partition_implILS8_4ELb0ES6_15HIP_vector_typeIjLj2EENS0_17counting_iteratorIjlEEPS9_SG_NS0_5tupleIJPjSI_NS0_16reverse_iteratorISI_EEEEENSH_IJSG_SG_SG_EEES9_SI_JZNS1_25segmented_radix_sort_implINS0_14default_configELb1EPKhPhPKlPlN2at6native12_GLOBAL__N_18offset_tEEE10hipError_tPvRmT1_PNSt15iterator_traitsIS12_E10value_typeET2_T3_PNS13_IS18_E10value_typeET4_jRbjT5_S1E_jjP12ihipStream_tbEUljE_ZNSN_ISO_Lb1ESQ_SR_ST_SU_SY_EESZ_S10_S11_S12_S16_S17_S18_S1B_S1C_jS1D_jS1E_S1E_jjS1G_bEUljE0_EEESZ_S10_S11_S18_S1C_S1E_T6_T7_T9_mT8_S1G_bDpT10_ENKUlT_T0_E_clISt17integral_constantIbLb1EES1T_IbLb0EEEEDaS1P_S1Q_EUlS1P_E_NS1_11comp_targetILNS1_3genE3ELNS1_11target_archE908ELNS1_3gpuE7ELNS1_3repE0EEENS1_30default_config_static_selectorELNS0_4arch9wavefront6targetE0EEEvS12_, .Lfunc_end33-_ZN7rocprim17ROCPRIM_400000_NS6detail17trampoline_kernelINS0_13select_configILj256ELj13ELNS0_17block_load_methodE3ELS4_3ELS4_3ELNS0_20block_scan_algorithmE0ELj4294967295EEENS1_25partition_config_selectorILNS1_17partition_subalgoE4EjNS0_10empty_typeEbEEZZNS1_14partition_implILS8_4ELb0ES6_15HIP_vector_typeIjLj2EENS0_17counting_iteratorIjlEEPS9_SG_NS0_5tupleIJPjSI_NS0_16reverse_iteratorISI_EEEEENSH_IJSG_SG_SG_EEES9_SI_JZNS1_25segmented_radix_sort_implINS0_14default_configELb1EPKhPhPKlPlN2at6native12_GLOBAL__N_18offset_tEEE10hipError_tPvRmT1_PNSt15iterator_traitsIS12_E10value_typeET2_T3_PNS13_IS18_E10value_typeET4_jRbjT5_S1E_jjP12ihipStream_tbEUljE_ZNSN_ISO_Lb1ESQ_SR_ST_SU_SY_EESZ_S10_S11_S12_S16_S17_S18_S1B_S1C_jS1D_jS1E_S1E_jjS1G_bEUljE0_EEESZ_S10_S11_S18_S1C_S1E_T6_T7_T9_mT8_S1G_bDpT10_ENKUlT_T0_E_clISt17integral_constantIbLb1EES1T_IbLb0EEEEDaS1P_S1Q_EUlS1P_E_NS1_11comp_targetILNS1_3genE3ELNS1_11target_archE908ELNS1_3gpuE7ELNS1_3repE0EEENS1_30default_config_static_selectorELNS0_4arch9wavefront6targetE0EEEvS12_
                                        ; -- End function
	.set _ZN7rocprim17ROCPRIM_400000_NS6detail17trampoline_kernelINS0_13select_configILj256ELj13ELNS0_17block_load_methodE3ELS4_3ELS4_3ELNS0_20block_scan_algorithmE0ELj4294967295EEENS1_25partition_config_selectorILNS1_17partition_subalgoE4EjNS0_10empty_typeEbEEZZNS1_14partition_implILS8_4ELb0ES6_15HIP_vector_typeIjLj2EENS0_17counting_iteratorIjlEEPS9_SG_NS0_5tupleIJPjSI_NS0_16reverse_iteratorISI_EEEEENSH_IJSG_SG_SG_EEES9_SI_JZNS1_25segmented_radix_sort_implINS0_14default_configELb1EPKhPhPKlPlN2at6native12_GLOBAL__N_18offset_tEEE10hipError_tPvRmT1_PNSt15iterator_traitsIS12_E10value_typeET2_T3_PNS13_IS18_E10value_typeET4_jRbjT5_S1E_jjP12ihipStream_tbEUljE_ZNSN_ISO_Lb1ESQ_SR_ST_SU_SY_EESZ_S10_S11_S12_S16_S17_S18_S1B_S1C_jS1D_jS1E_S1E_jjS1G_bEUljE0_EEESZ_S10_S11_S18_S1C_S1E_T6_T7_T9_mT8_S1G_bDpT10_ENKUlT_T0_E_clISt17integral_constantIbLb1EES1T_IbLb0EEEEDaS1P_S1Q_EUlS1P_E_NS1_11comp_targetILNS1_3genE3ELNS1_11target_archE908ELNS1_3gpuE7ELNS1_3repE0EEENS1_30default_config_static_selectorELNS0_4arch9wavefront6targetE0EEEvS12_.num_vgpr, 0
	.set _ZN7rocprim17ROCPRIM_400000_NS6detail17trampoline_kernelINS0_13select_configILj256ELj13ELNS0_17block_load_methodE3ELS4_3ELS4_3ELNS0_20block_scan_algorithmE0ELj4294967295EEENS1_25partition_config_selectorILNS1_17partition_subalgoE4EjNS0_10empty_typeEbEEZZNS1_14partition_implILS8_4ELb0ES6_15HIP_vector_typeIjLj2EENS0_17counting_iteratorIjlEEPS9_SG_NS0_5tupleIJPjSI_NS0_16reverse_iteratorISI_EEEEENSH_IJSG_SG_SG_EEES9_SI_JZNS1_25segmented_radix_sort_implINS0_14default_configELb1EPKhPhPKlPlN2at6native12_GLOBAL__N_18offset_tEEE10hipError_tPvRmT1_PNSt15iterator_traitsIS12_E10value_typeET2_T3_PNS13_IS18_E10value_typeET4_jRbjT5_S1E_jjP12ihipStream_tbEUljE_ZNSN_ISO_Lb1ESQ_SR_ST_SU_SY_EESZ_S10_S11_S12_S16_S17_S18_S1B_S1C_jS1D_jS1E_S1E_jjS1G_bEUljE0_EEESZ_S10_S11_S18_S1C_S1E_T6_T7_T9_mT8_S1G_bDpT10_ENKUlT_T0_E_clISt17integral_constantIbLb1EES1T_IbLb0EEEEDaS1P_S1Q_EUlS1P_E_NS1_11comp_targetILNS1_3genE3ELNS1_11target_archE908ELNS1_3gpuE7ELNS1_3repE0EEENS1_30default_config_static_selectorELNS0_4arch9wavefront6targetE0EEEvS12_.num_agpr, 0
	.set _ZN7rocprim17ROCPRIM_400000_NS6detail17trampoline_kernelINS0_13select_configILj256ELj13ELNS0_17block_load_methodE3ELS4_3ELS4_3ELNS0_20block_scan_algorithmE0ELj4294967295EEENS1_25partition_config_selectorILNS1_17partition_subalgoE4EjNS0_10empty_typeEbEEZZNS1_14partition_implILS8_4ELb0ES6_15HIP_vector_typeIjLj2EENS0_17counting_iteratorIjlEEPS9_SG_NS0_5tupleIJPjSI_NS0_16reverse_iteratorISI_EEEEENSH_IJSG_SG_SG_EEES9_SI_JZNS1_25segmented_radix_sort_implINS0_14default_configELb1EPKhPhPKlPlN2at6native12_GLOBAL__N_18offset_tEEE10hipError_tPvRmT1_PNSt15iterator_traitsIS12_E10value_typeET2_T3_PNS13_IS18_E10value_typeET4_jRbjT5_S1E_jjP12ihipStream_tbEUljE_ZNSN_ISO_Lb1ESQ_SR_ST_SU_SY_EESZ_S10_S11_S12_S16_S17_S18_S1B_S1C_jS1D_jS1E_S1E_jjS1G_bEUljE0_EEESZ_S10_S11_S18_S1C_S1E_T6_T7_T9_mT8_S1G_bDpT10_ENKUlT_T0_E_clISt17integral_constantIbLb1EES1T_IbLb0EEEEDaS1P_S1Q_EUlS1P_E_NS1_11comp_targetILNS1_3genE3ELNS1_11target_archE908ELNS1_3gpuE7ELNS1_3repE0EEENS1_30default_config_static_selectorELNS0_4arch9wavefront6targetE0EEEvS12_.numbered_sgpr, 0
	.set _ZN7rocprim17ROCPRIM_400000_NS6detail17trampoline_kernelINS0_13select_configILj256ELj13ELNS0_17block_load_methodE3ELS4_3ELS4_3ELNS0_20block_scan_algorithmE0ELj4294967295EEENS1_25partition_config_selectorILNS1_17partition_subalgoE4EjNS0_10empty_typeEbEEZZNS1_14partition_implILS8_4ELb0ES6_15HIP_vector_typeIjLj2EENS0_17counting_iteratorIjlEEPS9_SG_NS0_5tupleIJPjSI_NS0_16reverse_iteratorISI_EEEEENSH_IJSG_SG_SG_EEES9_SI_JZNS1_25segmented_radix_sort_implINS0_14default_configELb1EPKhPhPKlPlN2at6native12_GLOBAL__N_18offset_tEEE10hipError_tPvRmT1_PNSt15iterator_traitsIS12_E10value_typeET2_T3_PNS13_IS18_E10value_typeET4_jRbjT5_S1E_jjP12ihipStream_tbEUljE_ZNSN_ISO_Lb1ESQ_SR_ST_SU_SY_EESZ_S10_S11_S12_S16_S17_S18_S1B_S1C_jS1D_jS1E_S1E_jjS1G_bEUljE0_EEESZ_S10_S11_S18_S1C_S1E_T6_T7_T9_mT8_S1G_bDpT10_ENKUlT_T0_E_clISt17integral_constantIbLb1EES1T_IbLb0EEEEDaS1P_S1Q_EUlS1P_E_NS1_11comp_targetILNS1_3genE3ELNS1_11target_archE908ELNS1_3gpuE7ELNS1_3repE0EEENS1_30default_config_static_selectorELNS0_4arch9wavefront6targetE0EEEvS12_.num_named_barrier, 0
	.set _ZN7rocprim17ROCPRIM_400000_NS6detail17trampoline_kernelINS0_13select_configILj256ELj13ELNS0_17block_load_methodE3ELS4_3ELS4_3ELNS0_20block_scan_algorithmE0ELj4294967295EEENS1_25partition_config_selectorILNS1_17partition_subalgoE4EjNS0_10empty_typeEbEEZZNS1_14partition_implILS8_4ELb0ES6_15HIP_vector_typeIjLj2EENS0_17counting_iteratorIjlEEPS9_SG_NS0_5tupleIJPjSI_NS0_16reverse_iteratorISI_EEEEENSH_IJSG_SG_SG_EEES9_SI_JZNS1_25segmented_radix_sort_implINS0_14default_configELb1EPKhPhPKlPlN2at6native12_GLOBAL__N_18offset_tEEE10hipError_tPvRmT1_PNSt15iterator_traitsIS12_E10value_typeET2_T3_PNS13_IS18_E10value_typeET4_jRbjT5_S1E_jjP12ihipStream_tbEUljE_ZNSN_ISO_Lb1ESQ_SR_ST_SU_SY_EESZ_S10_S11_S12_S16_S17_S18_S1B_S1C_jS1D_jS1E_S1E_jjS1G_bEUljE0_EEESZ_S10_S11_S18_S1C_S1E_T6_T7_T9_mT8_S1G_bDpT10_ENKUlT_T0_E_clISt17integral_constantIbLb1EES1T_IbLb0EEEEDaS1P_S1Q_EUlS1P_E_NS1_11comp_targetILNS1_3genE3ELNS1_11target_archE908ELNS1_3gpuE7ELNS1_3repE0EEENS1_30default_config_static_selectorELNS0_4arch9wavefront6targetE0EEEvS12_.private_seg_size, 0
	.set _ZN7rocprim17ROCPRIM_400000_NS6detail17trampoline_kernelINS0_13select_configILj256ELj13ELNS0_17block_load_methodE3ELS4_3ELS4_3ELNS0_20block_scan_algorithmE0ELj4294967295EEENS1_25partition_config_selectorILNS1_17partition_subalgoE4EjNS0_10empty_typeEbEEZZNS1_14partition_implILS8_4ELb0ES6_15HIP_vector_typeIjLj2EENS0_17counting_iteratorIjlEEPS9_SG_NS0_5tupleIJPjSI_NS0_16reverse_iteratorISI_EEEEENSH_IJSG_SG_SG_EEES9_SI_JZNS1_25segmented_radix_sort_implINS0_14default_configELb1EPKhPhPKlPlN2at6native12_GLOBAL__N_18offset_tEEE10hipError_tPvRmT1_PNSt15iterator_traitsIS12_E10value_typeET2_T3_PNS13_IS18_E10value_typeET4_jRbjT5_S1E_jjP12ihipStream_tbEUljE_ZNSN_ISO_Lb1ESQ_SR_ST_SU_SY_EESZ_S10_S11_S12_S16_S17_S18_S1B_S1C_jS1D_jS1E_S1E_jjS1G_bEUljE0_EEESZ_S10_S11_S18_S1C_S1E_T6_T7_T9_mT8_S1G_bDpT10_ENKUlT_T0_E_clISt17integral_constantIbLb1EES1T_IbLb0EEEEDaS1P_S1Q_EUlS1P_E_NS1_11comp_targetILNS1_3genE3ELNS1_11target_archE908ELNS1_3gpuE7ELNS1_3repE0EEENS1_30default_config_static_selectorELNS0_4arch9wavefront6targetE0EEEvS12_.uses_vcc, 0
	.set _ZN7rocprim17ROCPRIM_400000_NS6detail17trampoline_kernelINS0_13select_configILj256ELj13ELNS0_17block_load_methodE3ELS4_3ELS4_3ELNS0_20block_scan_algorithmE0ELj4294967295EEENS1_25partition_config_selectorILNS1_17partition_subalgoE4EjNS0_10empty_typeEbEEZZNS1_14partition_implILS8_4ELb0ES6_15HIP_vector_typeIjLj2EENS0_17counting_iteratorIjlEEPS9_SG_NS0_5tupleIJPjSI_NS0_16reverse_iteratorISI_EEEEENSH_IJSG_SG_SG_EEES9_SI_JZNS1_25segmented_radix_sort_implINS0_14default_configELb1EPKhPhPKlPlN2at6native12_GLOBAL__N_18offset_tEEE10hipError_tPvRmT1_PNSt15iterator_traitsIS12_E10value_typeET2_T3_PNS13_IS18_E10value_typeET4_jRbjT5_S1E_jjP12ihipStream_tbEUljE_ZNSN_ISO_Lb1ESQ_SR_ST_SU_SY_EESZ_S10_S11_S12_S16_S17_S18_S1B_S1C_jS1D_jS1E_S1E_jjS1G_bEUljE0_EEESZ_S10_S11_S18_S1C_S1E_T6_T7_T9_mT8_S1G_bDpT10_ENKUlT_T0_E_clISt17integral_constantIbLb1EES1T_IbLb0EEEEDaS1P_S1Q_EUlS1P_E_NS1_11comp_targetILNS1_3genE3ELNS1_11target_archE908ELNS1_3gpuE7ELNS1_3repE0EEENS1_30default_config_static_selectorELNS0_4arch9wavefront6targetE0EEEvS12_.uses_flat_scratch, 0
	.set _ZN7rocprim17ROCPRIM_400000_NS6detail17trampoline_kernelINS0_13select_configILj256ELj13ELNS0_17block_load_methodE3ELS4_3ELS4_3ELNS0_20block_scan_algorithmE0ELj4294967295EEENS1_25partition_config_selectorILNS1_17partition_subalgoE4EjNS0_10empty_typeEbEEZZNS1_14partition_implILS8_4ELb0ES6_15HIP_vector_typeIjLj2EENS0_17counting_iteratorIjlEEPS9_SG_NS0_5tupleIJPjSI_NS0_16reverse_iteratorISI_EEEEENSH_IJSG_SG_SG_EEES9_SI_JZNS1_25segmented_radix_sort_implINS0_14default_configELb1EPKhPhPKlPlN2at6native12_GLOBAL__N_18offset_tEEE10hipError_tPvRmT1_PNSt15iterator_traitsIS12_E10value_typeET2_T3_PNS13_IS18_E10value_typeET4_jRbjT5_S1E_jjP12ihipStream_tbEUljE_ZNSN_ISO_Lb1ESQ_SR_ST_SU_SY_EESZ_S10_S11_S12_S16_S17_S18_S1B_S1C_jS1D_jS1E_S1E_jjS1G_bEUljE0_EEESZ_S10_S11_S18_S1C_S1E_T6_T7_T9_mT8_S1G_bDpT10_ENKUlT_T0_E_clISt17integral_constantIbLb1EES1T_IbLb0EEEEDaS1P_S1Q_EUlS1P_E_NS1_11comp_targetILNS1_3genE3ELNS1_11target_archE908ELNS1_3gpuE7ELNS1_3repE0EEENS1_30default_config_static_selectorELNS0_4arch9wavefront6targetE0EEEvS12_.has_dyn_sized_stack, 0
	.set _ZN7rocprim17ROCPRIM_400000_NS6detail17trampoline_kernelINS0_13select_configILj256ELj13ELNS0_17block_load_methodE3ELS4_3ELS4_3ELNS0_20block_scan_algorithmE0ELj4294967295EEENS1_25partition_config_selectorILNS1_17partition_subalgoE4EjNS0_10empty_typeEbEEZZNS1_14partition_implILS8_4ELb0ES6_15HIP_vector_typeIjLj2EENS0_17counting_iteratorIjlEEPS9_SG_NS0_5tupleIJPjSI_NS0_16reverse_iteratorISI_EEEEENSH_IJSG_SG_SG_EEES9_SI_JZNS1_25segmented_radix_sort_implINS0_14default_configELb1EPKhPhPKlPlN2at6native12_GLOBAL__N_18offset_tEEE10hipError_tPvRmT1_PNSt15iterator_traitsIS12_E10value_typeET2_T3_PNS13_IS18_E10value_typeET4_jRbjT5_S1E_jjP12ihipStream_tbEUljE_ZNSN_ISO_Lb1ESQ_SR_ST_SU_SY_EESZ_S10_S11_S12_S16_S17_S18_S1B_S1C_jS1D_jS1E_S1E_jjS1G_bEUljE0_EEESZ_S10_S11_S18_S1C_S1E_T6_T7_T9_mT8_S1G_bDpT10_ENKUlT_T0_E_clISt17integral_constantIbLb1EES1T_IbLb0EEEEDaS1P_S1Q_EUlS1P_E_NS1_11comp_targetILNS1_3genE3ELNS1_11target_archE908ELNS1_3gpuE7ELNS1_3repE0EEENS1_30default_config_static_selectorELNS0_4arch9wavefront6targetE0EEEvS12_.has_recursion, 0
	.set _ZN7rocprim17ROCPRIM_400000_NS6detail17trampoline_kernelINS0_13select_configILj256ELj13ELNS0_17block_load_methodE3ELS4_3ELS4_3ELNS0_20block_scan_algorithmE0ELj4294967295EEENS1_25partition_config_selectorILNS1_17partition_subalgoE4EjNS0_10empty_typeEbEEZZNS1_14partition_implILS8_4ELb0ES6_15HIP_vector_typeIjLj2EENS0_17counting_iteratorIjlEEPS9_SG_NS0_5tupleIJPjSI_NS0_16reverse_iteratorISI_EEEEENSH_IJSG_SG_SG_EEES9_SI_JZNS1_25segmented_radix_sort_implINS0_14default_configELb1EPKhPhPKlPlN2at6native12_GLOBAL__N_18offset_tEEE10hipError_tPvRmT1_PNSt15iterator_traitsIS12_E10value_typeET2_T3_PNS13_IS18_E10value_typeET4_jRbjT5_S1E_jjP12ihipStream_tbEUljE_ZNSN_ISO_Lb1ESQ_SR_ST_SU_SY_EESZ_S10_S11_S12_S16_S17_S18_S1B_S1C_jS1D_jS1E_S1E_jjS1G_bEUljE0_EEESZ_S10_S11_S18_S1C_S1E_T6_T7_T9_mT8_S1G_bDpT10_ENKUlT_T0_E_clISt17integral_constantIbLb1EES1T_IbLb0EEEEDaS1P_S1Q_EUlS1P_E_NS1_11comp_targetILNS1_3genE3ELNS1_11target_archE908ELNS1_3gpuE7ELNS1_3repE0EEENS1_30default_config_static_selectorELNS0_4arch9wavefront6targetE0EEEvS12_.has_indirect_call, 0
	.section	.AMDGPU.csdata,"",@progbits
; Kernel info:
; codeLenInByte = 0
; TotalNumSgprs: 0
; NumVgprs: 0
; ScratchSize: 0
; MemoryBound: 0
; FloatMode: 240
; IeeeMode: 1
; LDSByteSize: 0 bytes/workgroup (compile time only)
; SGPRBlocks: 0
; VGPRBlocks: 0
; NumSGPRsForWavesPerEU: 1
; NumVGPRsForWavesPerEU: 1
; NamedBarCnt: 0
; Occupancy: 16
; WaveLimiterHint : 0
; COMPUTE_PGM_RSRC2:SCRATCH_EN: 0
; COMPUTE_PGM_RSRC2:USER_SGPR: 2
; COMPUTE_PGM_RSRC2:TRAP_HANDLER: 0
; COMPUTE_PGM_RSRC2:TGID_X_EN: 1
; COMPUTE_PGM_RSRC2:TGID_Y_EN: 0
; COMPUTE_PGM_RSRC2:TGID_Z_EN: 0
; COMPUTE_PGM_RSRC2:TIDIG_COMP_CNT: 0
	.section	.text._ZN7rocprim17ROCPRIM_400000_NS6detail17trampoline_kernelINS0_13select_configILj256ELj13ELNS0_17block_load_methodE3ELS4_3ELS4_3ELNS0_20block_scan_algorithmE0ELj4294967295EEENS1_25partition_config_selectorILNS1_17partition_subalgoE4EjNS0_10empty_typeEbEEZZNS1_14partition_implILS8_4ELb0ES6_15HIP_vector_typeIjLj2EENS0_17counting_iteratorIjlEEPS9_SG_NS0_5tupleIJPjSI_NS0_16reverse_iteratorISI_EEEEENSH_IJSG_SG_SG_EEES9_SI_JZNS1_25segmented_radix_sort_implINS0_14default_configELb1EPKhPhPKlPlN2at6native12_GLOBAL__N_18offset_tEEE10hipError_tPvRmT1_PNSt15iterator_traitsIS12_E10value_typeET2_T3_PNS13_IS18_E10value_typeET4_jRbjT5_S1E_jjP12ihipStream_tbEUljE_ZNSN_ISO_Lb1ESQ_SR_ST_SU_SY_EESZ_S10_S11_S12_S16_S17_S18_S1B_S1C_jS1D_jS1E_S1E_jjS1G_bEUljE0_EEESZ_S10_S11_S18_S1C_S1E_T6_T7_T9_mT8_S1G_bDpT10_ENKUlT_T0_E_clISt17integral_constantIbLb1EES1T_IbLb0EEEEDaS1P_S1Q_EUlS1P_E_NS1_11comp_targetILNS1_3genE2ELNS1_11target_archE906ELNS1_3gpuE6ELNS1_3repE0EEENS1_30default_config_static_selectorELNS0_4arch9wavefront6targetE0EEEvS12_,"axG",@progbits,_ZN7rocprim17ROCPRIM_400000_NS6detail17trampoline_kernelINS0_13select_configILj256ELj13ELNS0_17block_load_methodE3ELS4_3ELS4_3ELNS0_20block_scan_algorithmE0ELj4294967295EEENS1_25partition_config_selectorILNS1_17partition_subalgoE4EjNS0_10empty_typeEbEEZZNS1_14partition_implILS8_4ELb0ES6_15HIP_vector_typeIjLj2EENS0_17counting_iteratorIjlEEPS9_SG_NS0_5tupleIJPjSI_NS0_16reverse_iteratorISI_EEEEENSH_IJSG_SG_SG_EEES9_SI_JZNS1_25segmented_radix_sort_implINS0_14default_configELb1EPKhPhPKlPlN2at6native12_GLOBAL__N_18offset_tEEE10hipError_tPvRmT1_PNSt15iterator_traitsIS12_E10value_typeET2_T3_PNS13_IS18_E10value_typeET4_jRbjT5_S1E_jjP12ihipStream_tbEUljE_ZNSN_ISO_Lb1ESQ_SR_ST_SU_SY_EESZ_S10_S11_S12_S16_S17_S18_S1B_S1C_jS1D_jS1E_S1E_jjS1G_bEUljE0_EEESZ_S10_S11_S18_S1C_S1E_T6_T7_T9_mT8_S1G_bDpT10_ENKUlT_T0_E_clISt17integral_constantIbLb1EES1T_IbLb0EEEEDaS1P_S1Q_EUlS1P_E_NS1_11comp_targetILNS1_3genE2ELNS1_11target_archE906ELNS1_3gpuE6ELNS1_3repE0EEENS1_30default_config_static_selectorELNS0_4arch9wavefront6targetE0EEEvS12_,comdat
	.globl	_ZN7rocprim17ROCPRIM_400000_NS6detail17trampoline_kernelINS0_13select_configILj256ELj13ELNS0_17block_load_methodE3ELS4_3ELS4_3ELNS0_20block_scan_algorithmE0ELj4294967295EEENS1_25partition_config_selectorILNS1_17partition_subalgoE4EjNS0_10empty_typeEbEEZZNS1_14partition_implILS8_4ELb0ES6_15HIP_vector_typeIjLj2EENS0_17counting_iteratorIjlEEPS9_SG_NS0_5tupleIJPjSI_NS0_16reverse_iteratorISI_EEEEENSH_IJSG_SG_SG_EEES9_SI_JZNS1_25segmented_radix_sort_implINS0_14default_configELb1EPKhPhPKlPlN2at6native12_GLOBAL__N_18offset_tEEE10hipError_tPvRmT1_PNSt15iterator_traitsIS12_E10value_typeET2_T3_PNS13_IS18_E10value_typeET4_jRbjT5_S1E_jjP12ihipStream_tbEUljE_ZNSN_ISO_Lb1ESQ_SR_ST_SU_SY_EESZ_S10_S11_S12_S16_S17_S18_S1B_S1C_jS1D_jS1E_S1E_jjS1G_bEUljE0_EEESZ_S10_S11_S18_S1C_S1E_T6_T7_T9_mT8_S1G_bDpT10_ENKUlT_T0_E_clISt17integral_constantIbLb1EES1T_IbLb0EEEEDaS1P_S1Q_EUlS1P_E_NS1_11comp_targetILNS1_3genE2ELNS1_11target_archE906ELNS1_3gpuE6ELNS1_3repE0EEENS1_30default_config_static_selectorELNS0_4arch9wavefront6targetE0EEEvS12_ ; -- Begin function _ZN7rocprim17ROCPRIM_400000_NS6detail17trampoline_kernelINS0_13select_configILj256ELj13ELNS0_17block_load_methodE3ELS4_3ELS4_3ELNS0_20block_scan_algorithmE0ELj4294967295EEENS1_25partition_config_selectorILNS1_17partition_subalgoE4EjNS0_10empty_typeEbEEZZNS1_14partition_implILS8_4ELb0ES6_15HIP_vector_typeIjLj2EENS0_17counting_iteratorIjlEEPS9_SG_NS0_5tupleIJPjSI_NS0_16reverse_iteratorISI_EEEEENSH_IJSG_SG_SG_EEES9_SI_JZNS1_25segmented_radix_sort_implINS0_14default_configELb1EPKhPhPKlPlN2at6native12_GLOBAL__N_18offset_tEEE10hipError_tPvRmT1_PNSt15iterator_traitsIS12_E10value_typeET2_T3_PNS13_IS18_E10value_typeET4_jRbjT5_S1E_jjP12ihipStream_tbEUljE_ZNSN_ISO_Lb1ESQ_SR_ST_SU_SY_EESZ_S10_S11_S12_S16_S17_S18_S1B_S1C_jS1D_jS1E_S1E_jjS1G_bEUljE0_EEESZ_S10_S11_S18_S1C_S1E_T6_T7_T9_mT8_S1G_bDpT10_ENKUlT_T0_E_clISt17integral_constantIbLb1EES1T_IbLb0EEEEDaS1P_S1Q_EUlS1P_E_NS1_11comp_targetILNS1_3genE2ELNS1_11target_archE906ELNS1_3gpuE6ELNS1_3repE0EEENS1_30default_config_static_selectorELNS0_4arch9wavefront6targetE0EEEvS12_
	.p2align	8
	.type	_ZN7rocprim17ROCPRIM_400000_NS6detail17trampoline_kernelINS0_13select_configILj256ELj13ELNS0_17block_load_methodE3ELS4_3ELS4_3ELNS0_20block_scan_algorithmE0ELj4294967295EEENS1_25partition_config_selectorILNS1_17partition_subalgoE4EjNS0_10empty_typeEbEEZZNS1_14partition_implILS8_4ELb0ES6_15HIP_vector_typeIjLj2EENS0_17counting_iteratorIjlEEPS9_SG_NS0_5tupleIJPjSI_NS0_16reverse_iteratorISI_EEEEENSH_IJSG_SG_SG_EEES9_SI_JZNS1_25segmented_radix_sort_implINS0_14default_configELb1EPKhPhPKlPlN2at6native12_GLOBAL__N_18offset_tEEE10hipError_tPvRmT1_PNSt15iterator_traitsIS12_E10value_typeET2_T3_PNS13_IS18_E10value_typeET4_jRbjT5_S1E_jjP12ihipStream_tbEUljE_ZNSN_ISO_Lb1ESQ_SR_ST_SU_SY_EESZ_S10_S11_S12_S16_S17_S18_S1B_S1C_jS1D_jS1E_S1E_jjS1G_bEUljE0_EEESZ_S10_S11_S18_S1C_S1E_T6_T7_T9_mT8_S1G_bDpT10_ENKUlT_T0_E_clISt17integral_constantIbLb1EES1T_IbLb0EEEEDaS1P_S1Q_EUlS1P_E_NS1_11comp_targetILNS1_3genE2ELNS1_11target_archE906ELNS1_3gpuE6ELNS1_3repE0EEENS1_30default_config_static_selectorELNS0_4arch9wavefront6targetE0EEEvS12_,@function
_ZN7rocprim17ROCPRIM_400000_NS6detail17trampoline_kernelINS0_13select_configILj256ELj13ELNS0_17block_load_methodE3ELS4_3ELS4_3ELNS0_20block_scan_algorithmE0ELj4294967295EEENS1_25partition_config_selectorILNS1_17partition_subalgoE4EjNS0_10empty_typeEbEEZZNS1_14partition_implILS8_4ELb0ES6_15HIP_vector_typeIjLj2EENS0_17counting_iteratorIjlEEPS9_SG_NS0_5tupleIJPjSI_NS0_16reverse_iteratorISI_EEEEENSH_IJSG_SG_SG_EEES9_SI_JZNS1_25segmented_radix_sort_implINS0_14default_configELb1EPKhPhPKlPlN2at6native12_GLOBAL__N_18offset_tEEE10hipError_tPvRmT1_PNSt15iterator_traitsIS12_E10value_typeET2_T3_PNS13_IS18_E10value_typeET4_jRbjT5_S1E_jjP12ihipStream_tbEUljE_ZNSN_ISO_Lb1ESQ_SR_ST_SU_SY_EESZ_S10_S11_S12_S16_S17_S18_S1B_S1C_jS1D_jS1E_S1E_jjS1G_bEUljE0_EEESZ_S10_S11_S18_S1C_S1E_T6_T7_T9_mT8_S1G_bDpT10_ENKUlT_T0_E_clISt17integral_constantIbLb1EES1T_IbLb0EEEEDaS1P_S1Q_EUlS1P_E_NS1_11comp_targetILNS1_3genE2ELNS1_11target_archE906ELNS1_3gpuE6ELNS1_3repE0EEENS1_30default_config_static_selectorELNS0_4arch9wavefront6targetE0EEEvS12_: ; @_ZN7rocprim17ROCPRIM_400000_NS6detail17trampoline_kernelINS0_13select_configILj256ELj13ELNS0_17block_load_methodE3ELS4_3ELS4_3ELNS0_20block_scan_algorithmE0ELj4294967295EEENS1_25partition_config_selectorILNS1_17partition_subalgoE4EjNS0_10empty_typeEbEEZZNS1_14partition_implILS8_4ELb0ES6_15HIP_vector_typeIjLj2EENS0_17counting_iteratorIjlEEPS9_SG_NS0_5tupleIJPjSI_NS0_16reverse_iteratorISI_EEEEENSH_IJSG_SG_SG_EEES9_SI_JZNS1_25segmented_radix_sort_implINS0_14default_configELb1EPKhPhPKlPlN2at6native12_GLOBAL__N_18offset_tEEE10hipError_tPvRmT1_PNSt15iterator_traitsIS12_E10value_typeET2_T3_PNS13_IS18_E10value_typeET4_jRbjT5_S1E_jjP12ihipStream_tbEUljE_ZNSN_ISO_Lb1ESQ_SR_ST_SU_SY_EESZ_S10_S11_S12_S16_S17_S18_S1B_S1C_jS1D_jS1E_S1E_jjS1G_bEUljE0_EEESZ_S10_S11_S18_S1C_S1E_T6_T7_T9_mT8_S1G_bDpT10_ENKUlT_T0_E_clISt17integral_constantIbLb1EES1T_IbLb0EEEEDaS1P_S1Q_EUlS1P_E_NS1_11comp_targetILNS1_3genE2ELNS1_11target_archE906ELNS1_3gpuE6ELNS1_3repE0EEENS1_30default_config_static_selectorELNS0_4arch9wavefront6targetE0EEEvS12_
; %bb.0:
	.section	.rodata,"a",@progbits
	.p2align	6, 0x0
	.amdhsa_kernel _ZN7rocprim17ROCPRIM_400000_NS6detail17trampoline_kernelINS0_13select_configILj256ELj13ELNS0_17block_load_methodE3ELS4_3ELS4_3ELNS0_20block_scan_algorithmE0ELj4294967295EEENS1_25partition_config_selectorILNS1_17partition_subalgoE4EjNS0_10empty_typeEbEEZZNS1_14partition_implILS8_4ELb0ES6_15HIP_vector_typeIjLj2EENS0_17counting_iteratorIjlEEPS9_SG_NS0_5tupleIJPjSI_NS0_16reverse_iteratorISI_EEEEENSH_IJSG_SG_SG_EEES9_SI_JZNS1_25segmented_radix_sort_implINS0_14default_configELb1EPKhPhPKlPlN2at6native12_GLOBAL__N_18offset_tEEE10hipError_tPvRmT1_PNSt15iterator_traitsIS12_E10value_typeET2_T3_PNS13_IS18_E10value_typeET4_jRbjT5_S1E_jjP12ihipStream_tbEUljE_ZNSN_ISO_Lb1ESQ_SR_ST_SU_SY_EESZ_S10_S11_S12_S16_S17_S18_S1B_S1C_jS1D_jS1E_S1E_jjS1G_bEUljE0_EEESZ_S10_S11_S18_S1C_S1E_T6_T7_T9_mT8_S1G_bDpT10_ENKUlT_T0_E_clISt17integral_constantIbLb1EES1T_IbLb0EEEEDaS1P_S1Q_EUlS1P_E_NS1_11comp_targetILNS1_3genE2ELNS1_11target_archE906ELNS1_3gpuE6ELNS1_3repE0EEENS1_30default_config_static_selectorELNS0_4arch9wavefront6targetE0EEEvS12_
		.amdhsa_group_segment_fixed_size 0
		.amdhsa_private_segment_fixed_size 0
		.amdhsa_kernarg_size 176
		.amdhsa_user_sgpr_count 2
		.amdhsa_user_sgpr_dispatch_ptr 0
		.amdhsa_user_sgpr_queue_ptr 0
		.amdhsa_user_sgpr_kernarg_segment_ptr 1
		.amdhsa_user_sgpr_dispatch_id 0
		.amdhsa_user_sgpr_kernarg_preload_length 0
		.amdhsa_user_sgpr_kernarg_preload_offset 0
		.amdhsa_user_sgpr_private_segment_size 0
		.amdhsa_wavefront_size32 1
		.amdhsa_uses_dynamic_stack 0
		.amdhsa_enable_private_segment 0
		.amdhsa_system_sgpr_workgroup_id_x 1
		.amdhsa_system_sgpr_workgroup_id_y 0
		.amdhsa_system_sgpr_workgroup_id_z 0
		.amdhsa_system_sgpr_workgroup_info 0
		.amdhsa_system_vgpr_workitem_id 0
		.amdhsa_next_free_vgpr 1
		.amdhsa_next_free_sgpr 1
		.amdhsa_named_barrier_count 0
		.amdhsa_reserve_vcc 0
		.amdhsa_float_round_mode_32 0
		.amdhsa_float_round_mode_16_64 0
		.amdhsa_float_denorm_mode_32 3
		.amdhsa_float_denorm_mode_16_64 3
		.amdhsa_fp16_overflow 0
		.amdhsa_memory_ordered 1
		.amdhsa_forward_progress 1
		.amdhsa_inst_pref_size 0
		.amdhsa_round_robin_scheduling 0
		.amdhsa_exception_fp_ieee_invalid_op 0
		.amdhsa_exception_fp_denorm_src 0
		.amdhsa_exception_fp_ieee_div_zero 0
		.amdhsa_exception_fp_ieee_overflow 0
		.amdhsa_exception_fp_ieee_underflow 0
		.amdhsa_exception_fp_ieee_inexact 0
		.amdhsa_exception_int_div_zero 0
	.end_amdhsa_kernel
	.section	.text._ZN7rocprim17ROCPRIM_400000_NS6detail17trampoline_kernelINS0_13select_configILj256ELj13ELNS0_17block_load_methodE3ELS4_3ELS4_3ELNS0_20block_scan_algorithmE0ELj4294967295EEENS1_25partition_config_selectorILNS1_17partition_subalgoE4EjNS0_10empty_typeEbEEZZNS1_14partition_implILS8_4ELb0ES6_15HIP_vector_typeIjLj2EENS0_17counting_iteratorIjlEEPS9_SG_NS0_5tupleIJPjSI_NS0_16reverse_iteratorISI_EEEEENSH_IJSG_SG_SG_EEES9_SI_JZNS1_25segmented_radix_sort_implINS0_14default_configELb1EPKhPhPKlPlN2at6native12_GLOBAL__N_18offset_tEEE10hipError_tPvRmT1_PNSt15iterator_traitsIS12_E10value_typeET2_T3_PNS13_IS18_E10value_typeET4_jRbjT5_S1E_jjP12ihipStream_tbEUljE_ZNSN_ISO_Lb1ESQ_SR_ST_SU_SY_EESZ_S10_S11_S12_S16_S17_S18_S1B_S1C_jS1D_jS1E_S1E_jjS1G_bEUljE0_EEESZ_S10_S11_S18_S1C_S1E_T6_T7_T9_mT8_S1G_bDpT10_ENKUlT_T0_E_clISt17integral_constantIbLb1EES1T_IbLb0EEEEDaS1P_S1Q_EUlS1P_E_NS1_11comp_targetILNS1_3genE2ELNS1_11target_archE906ELNS1_3gpuE6ELNS1_3repE0EEENS1_30default_config_static_selectorELNS0_4arch9wavefront6targetE0EEEvS12_,"axG",@progbits,_ZN7rocprim17ROCPRIM_400000_NS6detail17trampoline_kernelINS0_13select_configILj256ELj13ELNS0_17block_load_methodE3ELS4_3ELS4_3ELNS0_20block_scan_algorithmE0ELj4294967295EEENS1_25partition_config_selectorILNS1_17partition_subalgoE4EjNS0_10empty_typeEbEEZZNS1_14partition_implILS8_4ELb0ES6_15HIP_vector_typeIjLj2EENS0_17counting_iteratorIjlEEPS9_SG_NS0_5tupleIJPjSI_NS0_16reverse_iteratorISI_EEEEENSH_IJSG_SG_SG_EEES9_SI_JZNS1_25segmented_radix_sort_implINS0_14default_configELb1EPKhPhPKlPlN2at6native12_GLOBAL__N_18offset_tEEE10hipError_tPvRmT1_PNSt15iterator_traitsIS12_E10value_typeET2_T3_PNS13_IS18_E10value_typeET4_jRbjT5_S1E_jjP12ihipStream_tbEUljE_ZNSN_ISO_Lb1ESQ_SR_ST_SU_SY_EESZ_S10_S11_S12_S16_S17_S18_S1B_S1C_jS1D_jS1E_S1E_jjS1G_bEUljE0_EEESZ_S10_S11_S18_S1C_S1E_T6_T7_T9_mT8_S1G_bDpT10_ENKUlT_T0_E_clISt17integral_constantIbLb1EES1T_IbLb0EEEEDaS1P_S1Q_EUlS1P_E_NS1_11comp_targetILNS1_3genE2ELNS1_11target_archE906ELNS1_3gpuE6ELNS1_3repE0EEENS1_30default_config_static_selectorELNS0_4arch9wavefront6targetE0EEEvS12_,comdat
.Lfunc_end34:
	.size	_ZN7rocprim17ROCPRIM_400000_NS6detail17trampoline_kernelINS0_13select_configILj256ELj13ELNS0_17block_load_methodE3ELS4_3ELS4_3ELNS0_20block_scan_algorithmE0ELj4294967295EEENS1_25partition_config_selectorILNS1_17partition_subalgoE4EjNS0_10empty_typeEbEEZZNS1_14partition_implILS8_4ELb0ES6_15HIP_vector_typeIjLj2EENS0_17counting_iteratorIjlEEPS9_SG_NS0_5tupleIJPjSI_NS0_16reverse_iteratorISI_EEEEENSH_IJSG_SG_SG_EEES9_SI_JZNS1_25segmented_radix_sort_implINS0_14default_configELb1EPKhPhPKlPlN2at6native12_GLOBAL__N_18offset_tEEE10hipError_tPvRmT1_PNSt15iterator_traitsIS12_E10value_typeET2_T3_PNS13_IS18_E10value_typeET4_jRbjT5_S1E_jjP12ihipStream_tbEUljE_ZNSN_ISO_Lb1ESQ_SR_ST_SU_SY_EESZ_S10_S11_S12_S16_S17_S18_S1B_S1C_jS1D_jS1E_S1E_jjS1G_bEUljE0_EEESZ_S10_S11_S18_S1C_S1E_T6_T7_T9_mT8_S1G_bDpT10_ENKUlT_T0_E_clISt17integral_constantIbLb1EES1T_IbLb0EEEEDaS1P_S1Q_EUlS1P_E_NS1_11comp_targetILNS1_3genE2ELNS1_11target_archE906ELNS1_3gpuE6ELNS1_3repE0EEENS1_30default_config_static_selectorELNS0_4arch9wavefront6targetE0EEEvS12_, .Lfunc_end34-_ZN7rocprim17ROCPRIM_400000_NS6detail17trampoline_kernelINS0_13select_configILj256ELj13ELNS0_17block_load_methodE3ELS4_3ELS4_3ELNS0_20block_scan_algorithmE0ELj4294967295EEENS1_25partition_config_selectorILNS1_17partition_subalgoE4EjNS0_10empty_typeEbEEZZNS1_14partition_implILS8_4ELb0ES6_15HIP_vector_typeIjLj2EENS0_17counting_iteratorIjlEEPS9_SG_NS0_5tupleIJPjSI_NS0_16reverse_iteratorISI_EEEEENSH_IJSG_SG_SG_EEES9_SI_JZNS1_25segmented_radix_sort_implINS0_14default_configELb1EPKhPhPKlPlN2at6native12_GLOBAL__N_18offset_tEEE10hipError_tPvRmT1_PNSt15iterator_traitsIS12_E10value_typeET2_T3_PNS13_IS18_E10value_typeET4_jRbjT5_S1E_jjP12ihipStream_tbEUljE_ZNSN_ISO_Lb1ESQ_SR_ST_SU_SY_EESZ_S10_S11_S12_S16_S17_S18_S1B_S1C_jS1D_jS1E_S1E_jjS1G_bEUljE0_EEESZ_S10_S11_S18_S1C_S1E_T6_T7_T9_mT8_S1G_bDpT10_ENKUlT_T0_E_clISt17integral_constantIbLb1EES1T_IbLb0EEEEDaS1P_S1Q_EUlS1P_E_NS1_11comp_targetILNS1_3genE2ELNS1_11target_archE906ELNS1_3gpuE6ELNS1_3repE0EEENS1_30default_config_static_selectorELNS0_4arch9wavefront6targetE0EEEvS12_
                                        ; -- End function
	.set _ZN7rocprim17ROCPRIM_400000_NS6detail17trampoline_kernelINS0_13select_configILj256ELj13ELNS0_17block_load_methodE3ELS4_3ELS4_3ELNS0_20block_scan_algorithmE0ELj4294967295EEENS1_25partition_config_selectorILNS1_17partition_subalgoE4EjNS0_10empty_typeEbEEZZNS1_14partition_implILS8_4ELb0ES6_15HIP_vector_typeIjLj2EENS0_17counting_iteratorIjlEEPS9_SG_NS0_5tupleIJPjSI_NS0_16reverse_iteratorISI_EEEEENSH_IJSG_SG_SG_EEES9_SI_JZNS1_25segmented_radix_sort_implINS0_14default_configELb1EPKhPhPKlPlN2at6native12_GLOBAL__N_18offset_tEEE10hipError_tPvRmT1_PNSt15iterator_traitsIS12_E10value_typeET2_T3_PNS13_IS18_E10value_typeET4_jRbjT5_S1E_jjP12ihipStream_tbEUljE_ZNSN_ISO_Lb1ESQ_SR_ST_SU_SY_EESZ_S10_S11_S12_S16_S17_S18_S1B_S1C_jS1D_jS1E_S1E_jjS1G_bEUljE0_EEESZ_S10_S11_S18_S1C_S1E_T6_T7_T9_mT8_S1G_bDpT10_ENKUlT_T0_E_clISt17integral_constantIbLb1EES1T_IbLb0EEEEDaS1P_S1Q_EUlS1P_E_NS1_11comp_targetILNS1_3genE2ELNS1_11target_archE906ELNS1_3gpuE6ELNS1_3repE0EEENS1_30default_config_static_selectorELNS0_4arch9wavefront6targetE0EEEvS12_.num_vgpr, 0
	.set _ZN7rocprim17ROCPRIM_400000_NS6detail17trampoline_kernelINS0_13select_configILj256ELj13ELNS0_17block_load_methodE3ELS4_3ELS4_3ELNS0_20block_scan_algorithmE0ELj4294967295EEENS1_25partition_config_selectorILNS1_17partition_subalgoE4EjNS0_10empty_typeEbEEZZNS1_14partition_implILS8_4ELb0ES6_15HIP_vector_typeIjLj2EENS0_17counting_iteratorIjlEEPS9_SG_NS0_5tupleIJPjSI_NS0_16reverse_iteratorISI_EEEEENSH_IJSG_SG_SG_EEES9_SI_JZNS1_25segmented_radix_sort_implINS0_14default_configELb1EPKhPhPKlPlN2at6native12_GLOBAL__N_18offset_tEEE10hipError_tPvRmT1_PNSt15iterator_traitsIS12_E10value_typeET2_T3_PNS13_IS18_E10value_typeET4_jRbjT5_S1E_jjP12ihipStream_tbEUljE_ZNSN_ISO_Lb1ESQ_SR_ST_SU_SY_EESZ_S10_S11_S12_S16_S17_S18_S1B_S1C_jS1D_jS1E_S1E_jjS1G_bEUljE0_EEESZ_S10_S11_S18_S1C_S1E_T6_T7_T9_mT8_S1G_bDpT10_ENKUlT_T0_E_clISt17integral_constantIbLb1EES1T_IbLb0EEEEDaS1P_S1Q_EUlS1P_E_NS1_11comp_targetILNS1_3genE2ELNS1_11target_archE906ELNS1_3gpuE6ELNS1_3repE0EEENS1_30default_config_static_selectorELNS0_4arch9wavefront6targetE0EEEvS12_.num_agpr, 0
	.set _ZN7rocprim17ROCPRIM_400000_NS6detail17trampoline_kernelINS0_13select_configILj256ELj13ELNS0_17block_load_methodE3ELS4_3ELS4_3ELNS0_20block_scan_algorithmE0ELj4294967295EEENS1_25partition_config_selectorILNS1_17partition_subalgoE4EjNS0_10empty_typeEbEEZZNS1_14partition_implILS8_4ELb0ES6_15HIP_vector_typeIjLj2EENS0_17counting_iteratorIjlEEPS9_SG_NS0_5tupleIJPjSI_NS0_16reverse_iteratorISI_EEEEENSH_IJSG_SG_SG_EEES9_SI_JZNS1_25segmented_radix_sort_implINS0_14default_configELb1EPKhPhPKlPlN2at6native12_GLOBAL__N_18offset_tEEE10hipError_tPvRmT1_PNSt15iterator_traitsIS12_E10value_typeET2_T3_PNS13_IS18_E10value_typeET4_jRbjT5_S1E_jjP12ihipStream_tbEUljE_ZNSN_ISO_Lb1ESQ_SR_ST_SU_SY_EESZ_S10_S11_S12_S16_S17_S18_S1B_S1C_jS1D_jS1E_S1E_jjS1G_bEUljE0_EEESZ_S10_S11_S18_S1C_S1E_T6_T7_T9_mT8_S1G_bDpT10_ENKUlT_T0_E_clISt17integral_constantIbLb1EES1T_IbLb0EEEEDaS1P_S1Q_EUlS1P_E_NS1_11comp_targetILNS1_3genE2ELNS1_11target_archE906ELNS1_3gpuE6ELNS1_3repE0EEENS1_30default_config_static_selectorELNS0_4arch9wavefront6targetE0EEEvS12_.numbered_sgpr, 0
	.set _ZN7rocprim17ROCPRIM_400000_NS6detail17trampoline_kernelINS0_13select_configILj256ELj13ELNS0_17block_load_methodE3ELS4_3ELS4_3ELNS0_20block_scan_algorithmE0ELj4294967295EEENS1_25partition_config_selectorILNS1_17partition_subalgoE4EjNS0_10empty_typeEbEEZZNS1_14partition_implILS8_4ELb0ES6_15HIP_vector_typeIjLj2EENS0_17counting_iteratorIjlEEPS9_SG_NS0_5tupleIJPjSI_NS0_16reverse_iteratorISI_EEEEENSH_IJSG_SG_SG_EEES9_SI_JZNS1_25segmented_radix_sort_implINS0_14default_configELb1EPKhPhPKlPlN2at6native12_GLOBAL__N_18offset_tEEE10hipError_tPvRmT1_PNSt15iterator_traitsIS12_E10value_typeET2_T3_PNS13_IS18_E10value_typeET4_jRbjT5_S1E_jjP12ihipStream_tbEUljE_ZNSN_ISO_Lb1ESQ_SR_ST_SU_SY_EESZ_S10_S11_S12_S16_S17_S18_S1B_S1C_jS1D_jS1E_S1E_jjS1G_bEUljE0_EEESZ_S10_S11_S18_S1C_S1E_T6_T7_T9_mT8_S1G_bDpT10_ENKUlT_T0_E_clISt17integral_constantIbLb1EES1T_IbLb0EEEEDaS1P_S1Q_EUlS1P_E_NS1_11comp_targetILNS1_3genE2ELNS1_11target_archE906ELNS1_3gpuE6ELNS1_3repE0EEENS1_30default_config_static_selectorELNS0_4arch9wavefront6targetE0EEEvS12_.num_named_barrier, 0
	.set _ZN7rocprim17ROCPRIM_400000_NS6detail17trampoline_kernelINS0_13select_configILj256ELj13ELNS0_17block_load_methodE3ELS4_3ELS4_3ELNS0_20block_scan_algorithmE0ELj4294967295EEENS1_25partition_config_selectorILNS1_17partition_subalgoE4EjNS0_10empty_typeEbEEZZNS1_14partition_implILS8_4ELb0ES6_15HIP_vector_typeIjLj2EENS0_17counting_iteratorIjlEEPS9_SG_NS0_5tupleIJPjSI_NS0_16reverse_iteratorISI_EEEEENSH_IJSG_SG_SG_EEES9_SI_JZNS1_25segmented_radix_sort_implINS0_14default_configELb1EPKhPhPKlPlN2at6native12_GLOBAL__N_18offset_tEEE10hipError_tPvRmT1_PNSt15iterator_traitsIS12_E10value_typeET2_T3_PNS13_IS18_E10value_typeET4_jRbjT5_S1E_jjP12ihipStream_tbEUljE_ZNSN_ISO_Lb1ESQ_SR_ST_SU_SY_EESZ_S10_S11_S12_S16_S17_S18_S1B_S1C_jS1D_jS1E_S1E_jjS1G_bEUljE0_EEESZ_S10_S11_S18_S1C_S1E_T6_T7_T9_mT8_S1G_bDpT10_ENKUlT_T0_E_clISt17integral_constantIbLb1EES1T_IbLb0EEEEDaS1P_S1Q_EUlS1P_E_NS1_11comp_targetILNS1_3genE2ELNS1_11target_archE906ELNS1_3gpuE6ELNS1_3repE0EEENS1_30default_config_static_selectorELNS0_4arch9wavefront6targetE0EEEvS12_.private_seg_size, 0
	.set _ZN7rocprim17ROCPRIM_400000_NS6detail17trampoline_kernelINS0_13select_configILj256ELj13ELNS0_17block_load_methodE3ELS4_3ELS4_3ELNS0_20block_scan_algorithmE0ELj4294967295EEENS1_25partition_config_selectorILNS1_17partition_subalgoE4EjNS0_10empty_typeEbEEZZNS1_14partition_implILS8_4ELb0ES6_15HIP_vector_typeIjLj2EENS0_17counting_iteratorIjlEEPS9_SG_NS0_5tupleIJPjSI_NS0_16reverse_iteratorISI_EEEEENSH_IJSG_SG_SG_EEES9_SI_JZNS1_25segmented_radix_sort_implINS0_14default_configELb1EPKhPhPKlPlN2at6native12_GLOBAL__N_18offset_tEEE10hipError_tPvRmT1_PNSt15iterator_traitsIS12_E10value_typeET2_T3_PNS13_IS18_E10value_typeET4_jRbjT5_S1E_jjP12ihipStream_tbEUljE_ZNSN_ISO_Lb1ESQ_SR_ST_SU_SY_EESZ_S10_S11_S12_S16_S17_S18_S1B_S1C_jS1D_jS1E_S1E_jjS1G_bEUljE0_EEESZ_S10_S11_S18_S1C_S1E_T6_T7_T9_mT8_S1G_bDpT10_ENKUlT_T0_E_clISt17integral_constantIbLb1EES1T_IbLb0EEEEDaS1P_S1Q_EUlS1P_E_NS1_11comp_targetILNS1_3genE2ELNS1_11target_archE906ELNS1_3gpuE6ELNS1_3repE0EEENS1_30default_config_static_selectorELNS0_4arch9wavefront6targetE0EEEvS12_.uses_vcc, 0
	.set _ZN7rocprim17ROCPRIM_400000_NS6detail17trampoline_kernelINS0_13select_configILj256ELj13ELNS0_17block_load_methodE3ELS4_3ELS4_3ELNS0_20block_scan_algorithmE0ELj4294967295EEENS1_25partition_config_selectorILNS1_17partition_subalgoE4EjNS0_10empty_typeEbEEZZNS1_14partition_implILS8_4ELb0ES6_15HIP_vector_typeIjLj2EENS0_17counting_iteratorIjlEEPS9_SG_NS0_5tupleIJPjSI_NS0_16reverse_iteratorISI_EEEEENSH_IJSG_SG_SG_EEES9_SI_JZNS1_25segmented_radix_sort_implINS0_14default_configELb1EPKhPhPKlPlN2at6native12_GLOBAL__N_18offset_tEEE10hipError_tPvRmT1_PNSt15iterator_traitsIS12_E10value_typeET2_T3_PNS13_IS18_E10value_typeET4_jRbjT5_S1E_jjP12ihipStream_tbEUljE_ZNSN_ISO_Lb1ESQ_SR_ST_SU_SY_EESZ_S10_S11_S12_S16_S17_S18_S1B_S1C_jS1D_jS1E_S1E_jjS1G_bEUljE0_EEESZ_S10_S11_S18_S1C_S1E_T6_T7_T9_mT8_S1G_bDpT10_ENKUlT_T0_E_clISt17integral_constantIbLb1EES1T_IbLb0EEEEDaS1P_S1Q_EUlS1P_E_NS1_11comp_targetILNS1_3genE2ELNS1_11target_archE906ELNS1_3gpuE6ELNS1_3repE0EEENS1_30default_config_static_selectorELNS0_4arch9wavefront6targetE0EEEvS12_.uses_flat_scratch, 0
	.set _ZN7rocprim17ROCPRIM_400000_NS6detail17trampoline_kernelINS0_13select_configILj256ELj13ELNS0_17block_load_methodE3ELS4_3ELS4_3ELNS0_20block_scan_algorithmE0ELj4294967295EEENS1_25partition_config_selectorILNS1_17partition_subalgoE4EjNS0_10empty_typeEbEEZZNS1_14partition_implILS8_4ELb0ES6_15HIP_vector_typeIjLj2EENS0_17counting_iteratorIjlEEPS9_SG_NS0_5tupleIJPjSI_NS0_16reverse_iteratorISI_EEEEENSH_IJSG_SG_SG_EEES9_SI_JZNS1_25segmented_radix_sort_implINS0_14default_configELb1EPKhPhPKlPlN2at6native12_GLOBAL__N_18offset_tEEE10hipError_tPvRmT1_PNSt15iterator_traitsIS12_E10value_typeET2_T3_PNS13_IS18_E10value_typeET4_jRbjT5_S1E_jjP12ihipStream_tbEUljE_ZNSN_ISO_Lb1ESQ_SR_ST_SU_SY_EESZ_S10_S11_S12_S16_S17_S18_S1B_S1C_jS1D_jS1E_S1E_jjS1G_bEUljE0_EEESZ_S10_S11_S18_S1C_S1E_T6_T7_T9_mT8_S1G_bDpT10_ENKUlT_T0_E_clISt17integral_constantIbLb1EES1T_IbLb0EEEEDaS1P_S1Q_EUlS1P_E_NS1_11comp_targetILNS1_3genE2ELNS1_11target_archE906ELNS1_3gpuE6ELNS1_3repE0EEENS1_30default_config_static_selectorELNS0_4arch9wavefront6targetE0EEEvS12_.has_dyn_sized_stack, 0
	.set _ZN7rocprim17ROCPRIM_400000_NS6detail17trampoline_kernelINS0_13select_configILj256ELj13ELNS0_17block_load_methodE3ELS4_3ELS4_3ELNS0_20block_scan_algorithmE0ELj4294967295EEENS1_25partition_config_selectorILNS1_17partition_subalgoE4EjNS0_10empty_typeEbEEZZNS1_14partition_implILS8_4ELb0ES6_15HIP_vector_typeIjLj2EENS0_17counting_iteratorIjlEEPS9_SG_NS0_5tupleIJPjSI_NS0_16reverse_iteratorISI_EEEEENSH_IJSG_SG_SG_EEES9_SI_JZNS1_25segmented_radix_sort_implINS0_14default_configELb1EPKhPhPKlPlN2at6native12_GLOBAL__N_18offset_tEEE10hipError_tPvRmT1_PNSt15iterator_traitsIS12_E10value_typeET2_T3_PNS13_IS18_E10value_typeET4_jRbjT5_S1E_jjP12ihipStream_tbEUljE_ZNSN_ISO_Lb1ESQ_SR_ST_SU_SY_EESZ_S10_S11_S12_S16_S17_S18_S1B_S1C_jS1D_jS1E_S1E_jjS1G_bEUljE0_EEESZ_S10_S11_S18_S1C_S1E_T6_T7_T9_mT8_S1G_bDpT10_ENKUlT_T0_E_clISt17integral_constantIbLb1EES1T_IbLb0EEEEDaS1P_S1Q_EUlS1P_E_NS1_11comp_targetILNS1_3genE2ELNS1_11target_archE906ELNS1_3gpuE6ELNS1_3repE0EEENS1_30default_config_static_selectorELNS0_4arch9wavefront6targetE0EEEvS12_.has_recursion, 0
	.set _ZN7rocprim17ROCPRIM_400000_NS6detail17trampoline_kernelINS0_13select_configILj256ELj13ELNS0_17block_load_methodE3ELS4_3ELS4_3ELNS0_20block_scan_algorithmE0ELj4294967295EEENS1_25partition_config_selectorILNS1_17partition_subalgoE4EjNS0_10empty_typeEbEEZZNS1_14partition_implILS8_4ELb0ES6_15HIP_vector_typeIjLj2EENS0_17counting_iteratorIjlEEPS9_SG_NS0_5tupleIJPjSI_NS0_16reverse_iteratorISI_EEEEENSH_IJSG_SG_SG_EEES9_SI_JZNS1_25segmented_radix_sort_implINS0_14default_configELb1EPKhPhPKlPlN2at6native12_GLOBAL__N_18offset_tEEE10hipError_tPvRmT1_PNSt15iterator_traitsIS12_E10value_typeET2_T3_PNS13_IS18_E10value_typeET4_jRbjT5_S1E_jjP12ihipStream_tbEUljE_ZNSN_ISO_Lb1ESQ_SR_ST_SU_SY_EESZ_S10_S11_S12_S16_S17_S18_S1B_S1C_jS1D_jS1E_S1E_jjS1G_bEUljE0_EEESZ_S10_S11_S18_S1C_S1E_T6_T7_T9_mT8_S1G_bDpT10_ENKUlT_T0_E_clISt17integral_constantIbLb1EES1T_IbLb0EEEEDaS1P_S1Q_EUlS1P_E_NS1_11comp_targetILNS1_3genE2ELNS1_11target_archE906ELNS1_3gpuE6ELNS1_3repE0EEENS1_30default_config_static_selectorELNS0_4arch9wavefront6targetE0EEEvS12_.has_indirect_call, 0
	.section	.AMDGPU.csdata,"",@progbits
; Kernel info:
; codeLenInByte = 0
; TotalNumSgprs: 0
; NumVgprs: 0
; ScratchSize: 0
; MemoryBound: 0
; FloatMode: 240
; IeeeMode: 1
; LDSByteSize: 0 bytes/workgroup (compile time only)
; SGPRBlocks: 0
; VGPRBlocks: 0
; NumSGPRsForWavesPerEU: 1
; NumVGPRsForWavesPerEU: 1
; NamedBarCnt: 0
; Occupancy: 16
; WaveLimiterHint : 0
; COMPUTE_PGM_RSRC2:SCRATCH_EN: 0
; COMPUTE_PGM_RSRC2:USER_SGPR: 2
; COMPUTE_PGM_RSRC2:TRAP_HANDLER: 0
; COMPUTE_PGM_RSRC2:TGID_X_EN: 1
; COMPUTE_PGM_RSRC2:TGID_Y_EN: 0
; COMPUTE_PGM_RSRC2:TGID_Z_EN: 0
; COMPUTE_PGM_RSRC2:TIDIG_COMP_CNT: 0
	.section	.text._ZN7rocprim17ROCPRIM_400000_NS6detail17trampoline_kernelINS0_13select_configILj256ELj13ELNS0_17block_load_methodE3ELS4_3ELS4_3ELNS0_20block_scan_algorithmE0ELj4294967295EEENS1_25partition_config_selectorILNS1_17partition_subalgoE4EjNS0_10empty_typeEbEEZZNS1_14partition_implILS8_4ELb0ES6_15HIP_vector_typeIjLj2EENS0_17counting_iteratorIjlEEPS9_SG_NS0_5tupleIJPjSI_NS0_16reverse_iteratorISI_EEEEENSH_IJSG_SG_SG_EEES9_SI_JZNS1_25segmented_radix_sort_implINS0_14default_configELb1EPKhPhPKlPlN2at6native12_GLOBAL__N_18offset_tEEE10hipError_tPvRmT1_PNSt15iterator_traitsIS12_E10value_typeET2_T3_PNS13_IS18_E10value_typeET4_jRbjT5_S1E_jjP12ihipStream_tbEUljE_ZNSN_ISO_Lb1ESQ_SR_ST_SU_SY_EESZ_S10_S11_S12_S16_S17_S18_S1B_S1C_jS1D_jS1E_S1E_jjS1G_bEUljE0_EEESZ_S10_S11_S18_S1C_S1E_T6_T7_T9_mT8_S1G_bDpT10_ENKUlT_T0_E_clISt17integral_constantIbLb1EES1T_IbLb0EEEEDaS1P_S1Q_EUlS1P_E_NS1_11comp_targetILNS1_3genE10ELNS1_11target_archE1200ELNS1_3gpuE4ELNS1_3repE0EEENS1_30default_config_static_selectorELNS0_4arch9wavefront6targetE0EEEvS12_,"axG",@progbits,_ZN7rocprim17ROCPRIM_400000_NS6detail17trampoline_kernelINS0_13select_configILj256ELj13ELNS0_17block_load_methodE3ELS4_3ELS4_3ELNS0_20block_scan_algorithmE0ELj4294967295EEENS1_25partition_config_selectorILNS1_17partition_subalgoE4EjNS0_10empty_typeEbEEZZNS1_14partition_implILS8_4ELb0ES6_15HIP_vector_typeIjLj2EENS0_17counting_iteratorIjlEEPS9_SG_NS0_5tupleIJPjSI_NS0_16reverse_iteratorISI_EEEEENSH_IJSG_SG_SG_EEES9_SI_JZNS1_25segmented_radix_sort_implINS0_14default_configELb1EPKhPhPKlPlN2at6native12_GLOBAL__N_18offset_tEEE10hipError_tPvRmT1_PNSt15iterator_traitsIS12_E10value_typeET2_T3_PNS13_IS18_E10value_typeET4_jRbjT5_S1E_jjP12ihipStream_tbEUljE_ZNSN_ISO_Lb1ESQ_SR_ST_SU_SY_EESZ_S10_S11_S12_S16_S17_S18_S1B_S1C_jS1D_jS1E_S1E_jjS1G_bEUljE0_EEESZ_S10_S11_S18_S1C_S1E_T6_T7_T9_mT8_S1G_bDpT10_ENKUlT_T0_E_clISt17integral_constantIbLb1EES1T_IbLb0EEEEDaS1P_S1Q_EUlS1P_E_NS1_11comp_targetILNS1_3genE10ELNS1_11target_archE1200ELNS1_3gpuE4ELNS1_3repE0EEENS1_30default_config_static_selectorELNS0_4arch9wavefront6targetE0EEEvS12_,comdat
	.globl	_ZN7rocprim17ROCPRIM_400000_NS6detail17trampoline_kernelINS0_13select_configILj256ELj13ELNS0_17block_load_methodE3ELS4_3ELS4_3ELNS0_20block_scan_algorithmE0ELj4294967295EEENS1_25partition_config_selectorILNS1_17partition_subalgoE4EjNS0_10empty_typeEbEEZZNS1_14partition_implILS8_4ELb0ES6_15HIP_vector_typeIjLj2EENS0_17counting_iteratorIjlEEPS9_SG_NS0_5tupleIJPjSI_NS0_16reverse_iteratorISI_EEEEENSH_IJSG_SG_SG_EEES9_SI_JZNS1_25segmented_radix_sort_implINS0_14default_configELb1EPKhPhPKlPlN2at6native12_GLOBAL__N_18offset_tEEE10hipError_tPvRmT1_PNSt15iterator_traitsIS12_E10value_typeET2_T3_PNS13_IS18_E10value_typeET4_jRbjT5_S1E_jjP12ihipStream_tbEUljE_ZNSN_ISO_Lb1ESQ_SR_ST_SU_SY_EESZ_S10_S11_S12_S16_S17_S18_S1B_S1C_jS1D_jS1E_S1E_jjS1G_bEUljE0_EEESZ_S10_S11_S18_S1C_S1E_T6_T7_T9_mT8_S1G_bDpT10_ENKUlT_T0_E_clISt17integral_constantIbLb1EES1T_IbLb0EEEEDaS1P_S1Q_EUlS1P_E_NS1_11comp_targetILNS1_3genE10ELNS1_11target_archE1200ELNS1_3gpuE4ELNS1_3repE0EEENS1_30default_config_static_selectorELNS0_4arch9wavefront6targetE0EEEvS12_ ; -- Begin function _ZN7rocprim17ROCPRIM_400000_NS6detail17trampoline_kernelINS0_13select_configILj256ELj13ELNS0_17block_load_methodE3ELS4_3ELS4_3ELNS0_20block_scan_algorithmE0ELj4294967295EEENS1_25partition_config_selectorILNS1_17partition_subalgoE4EjNS0_10empty_typeEbEEZZNS1_14partition_implILS8_4ELb0ES6_15HIP_vector_typeIjLj2EENS0_17counting_iteratorIjlEEPS9_SG_NS0_5tupleIJPjSI_NS0_16reverse_iteratorISI_EEEEENSH_IJSG_SG_SG_EEES9_SI_JZNS1_25segmented_radix_sort_implINS0_14default_configELb1EPKhPhPKlPlN2at6native12_GLOBAL__N_18offset_tEEE10hipError_tPvRmT1_PNSt15iterator_traitsIS12_E10value_typeET2_T3_PNS13_IS18_E10value_typeET4_jRbjT5_S1E_jjP12ihipStream_tbEUljE_ZNSN_ISO_Lb1ESQ_SR_ST_SU_SY_EESZ_S10_S11_S12_S16_S17_S18_S1B_S1C_jS1D_jS1E_S1E_jjS1G_bEUljE0_EEESZ_S10_S11_S18_S1C_S1E_T6_T7_T9_mT8_S1G_bDpT10_ENKUlT_T0_E_clISt17integral_constantIbLb1EES1T_IbLb0EEEEDaS1P_S1Q_EUlS1P_E_NS1_11comp_targetILNS1_3genE10ELNS1_11target_archE1200ELNS1_3gpuE4ELNS1_3repE0EEENS1_30default_config_static_selectorELNS0_4arch9wavefront6targetE0EEEvS12_
	.p2align	8
	.type	_ZN7rocprim17ROCPRIM_400000_NS6detail17trampoline_kernelINS0_13select_configILj256ELj13ELNS0_17block_load_methodE3ELS4_3ELS4_3ELNS0_20block_scan_algorithmE0ELj4294967295EEENS1_25partition_config_selectorILNS1_17partition_subalgoE4EjNS0_10empty_typeEbEEZZNS1_14partition_implILS8_4ELb0ES6_15HIP_vector_typeIjLj2EENS0_17counting_iteratorIjlEEPS9_SG_NS0_5tupleIJPjSI_NS0_16reverse_iteratorISI_EEEEENSH_IJSG_SG_SG_EEES9_SI_JZNS1_25segmented_radix_sort_implINS0_14default_configELb1EPKhPhPKlPlN2at6native12_GLOBAL__N_18offset_tEEE10hipError_tPvRmT1_PNSt15iterator_traitsIS12_E10value_typeET2_T3_PNS13_IS18_E10value_typeET4_jRbjT5_S1E_jjP12ihipStream_tbEUljE_ZNSN_ISO_Lb1ESQ_SR_ST_SU_SY_EESZ_S10_S11_S12_S16_S17_S18_S1B_S1C_jS1D_jS1E_S1E_jjS1G_bEUljE0_EEESZ_S10_S11_S18_S1C_S1E_T6_T7_T9_mT8_S1G_bDpT10_ENKUlT_T0_E_clISt17integral_constantIbLb1EES1T_IbLb0EEEEDaS1P_S1Q_EUlS1P_E_NS1_11comp_targetILNS1_3genE10ELNS1_11target_archE1200ELNS1_3gpuE4ELNS1_3repE0EEENS1_30default_config_static_selectorELNS0_4arch9wavefront6targetE0EEEvS12_,@function
_ZN7rocprim17ROCPRIM_400000_NS6detail17trampoline_kernelINS0_13select_configILj256ELj13ELNS0_17block_load_methodE3ELS4_3ELS4_3ELNS0_20block_scan_algorithmE0ELj4294967295EEENS1_25partition_config_selectorILNS1_17partition_subalgoE4EjNS0_10empty_typeEbEEZZNS1_14partition_implILS8_4ELb0ES6_15HIP_vector_typeIjLj2EENS0_17counting_iteratorIjlEEPS9_SG_NS0_5tupleIJPjSI_NS0_16reverse_iteratorISI_EEEEENSH_IJSG_SG_SG_EEES9_SI_JZNS1_25segmented_radix_sort_implINS0_14default_configELb1EPKhPhPKlPlN2at6native12_GLOBAL__N_18offset_tEEE10hipError_tPvRmT1_PNSt15iterator_traitsIS12_E10value_typeET2_T3_PNS13_IS18_E10value_typeET4_jRbjT5_S1E_jjP12ihipStream_tbEUljE_ZNSN_ISO_Lb1ESQ_SR_ST_SU_SY_EESZ_S10_S11_S12_S16_S17_S18_S1B_S1C_jS1D_jS1E_S1E_jjS1G_bEUljE0_EEESZ_S10_S11_S18_S1C_S1E_T6_T7_T9_mT8_S1G_bDpT10_ENKUlT_T0_E_clISt17integral_constantIbLb1EES1T_IbLb0EEEEDaS1P_S1Q_EUlS1P_E_NS1_11comp_targetILNS1_3genE10ELNS1_11target_archE1200ELNS1_3gpuE4ELNS1_3repE0EEENS1_30default_config_static_selectorELNS0_4arch9wavefront6targetE0EEEvS12_: ; @_ZN7rocprim17ROCPRIM_400000_NS6detail17trampoline_kernelINS0_13select_configILj256ELj13ELNS0_17block_load_methodE3ELS4_3ELS4_3ELNS0_20block_scan_algorithmE0ELj4294967295EEENS1_25partition_config_selectorILNS1_17partition_subalgoE4EjNS0_10empty_typeEbEEZZNS1_14partition_implILS8_4ELb0ES6_15HIP_vector_typeIjLj2EENS0_17counting_iteratorIjlEEPS9_SG_NS0_5tupleIJPjSI_NS0_16reverse_iteratorISI_EEEEENSH_IJSG_SG_SG_EEES9_SI_JZNS1_25segmented_radix_sort_implINS0_14default_configELb1EPKhPhPKlPlN2at6native12_GLOBAL__N_18offset_tEEE10hipError_tPvRmT1_PNSt15iterator_traitsIS12_E10value_typeET2_T3_PNS13_IS18_E10value_typeET4_jRbjT5_S1E_jjP12ihipStream_tbEUljE_ZNSN_ISO_Lb1ESQ_SR_ST_SU_SY_EESZ_S10_S11_S12_S16_S17_S18_S1B_S1C_jS1D_jS1E_S1E_jjS1G_bEUljE0_EEESZ_S10_S11_S18_S1C_S1E_T6_T7_T9_mT8_S1G_bDpT10_ENKUlT_T0_E_clISt17integral_constantIbLb1EES1T_IbLb0EEEEDaS1P_S1Q_EUlS1P_E_NS1_11comp_targetILNS1_3genE10ELNS1_11target_archE1200ELNS1_3gpuE4ELNS1_3repE0EEENS1_30default_config_static_selectorELNS0_4arch9wavefront6targetE0EEEvS12_
; %bb.0:
	.section	.rodata,"a",@progbits
	.p2align	6, 0x0
	.amdhsa_kernel _ZN7rocprim17ROCPRIM_400000_NS6detail17trampoline_kernelINS0_13select_configILj256ELj13ELNS0_17block_load_methodE3ELS4_3ELS4_3ELNS0_20block_scan_algorithmE0ELj4294967295EEENS1_25partition_config_selectorILNS1_17partition_subalgoE4EjNS0_10empty_typeEbEEZZNS1_14partition_implILS8_4ELb0ES6_15HIP_vector_typeIjLj2EENS0_17counting_iteratorIjlEEPS9_SG_NS0_5tupleIJPjSI_NS0_16reverse_iteratorISI_EEEEENSH_IJSG_SG_SG_EEES9_SI_JZNS1_25segmented_radix_sort_implINS0_14default_configELb1EPKhPhPKlPlN2at6native12_GLOBAL__N_18offset_tEEE10hipError_tPvRmT1_PNSt15iterator_traitsIS12_E10value_typeET2_T3_PNS13_IS18_E10value_typeET4_jRbjT5_S1E_jjP12ihipStream_tbEUljE_ZNSN_ISO_Lb1ESQ_SR_ST_SU_SY_EESZ_S10_S11_S12_S16_S17_S18_S1B_S1C_jS1D_jS1E_S1E_jjS1G_bEUljE0_EEESZ_S10_S11_S18_S1C_S1E_T6_T7_T9_mT8_S1G_bDpT10_ENKUlT_T0_E_clISt17integral_constantIbLb1EES1T_IbLb0EEEEDaS1P_S1Q_EUlS1P_E_NS1_11comp_targetILNS1_3genE10ELNS1_11target_archE1200ELNS1_3gpuE4ELNS1_3repE0EEENS1_30default_config_static_selectorELNS0_4arch9wavefront6targetE0EEEvS12_
		.amdhsa_group_segment_fixed_size 0
		.amdhsa_private_segment_fixed_size 0
		.amdhsa_kernarg_size 176
		.amdhsa_user_sgpr_count 2
		.amdhsa_user_sgpr_dispatch_ptr 0
		.amdhsa_user_sgpr_queue_ptr 0
		.amdhsa_user_sgpr_kernarg_segment_ptr 1
		.amdhsa_user_sgpr_dispatch_id 0
		.amdhsa_user_sgpr_kernarg_preload_length 0
		.amdhsa_user_sgpr_kernarg_preload_offset 0
		.amdhsa_user_sgpr_private_segment_size 0
		.amdhsa_wavefront_size32 1
		.amdhsa_uses_dynamic_stack 0
		.amdhsa_enable_private_segment 0
		.amdhsa_system_sgpr_workgroup_id_x 1
		.amdhsa_system_sgpr_workgroup_id_y 0
		.amdhsa_system_sgpr_workgroup_id_z 0
		.amdhsa_system_sgpr_workgroup_info 0
		.amdhsa_system_vgpr_workitem_id 0
		.amdhsa_next_free_vgpr 1
		.amdhsa_next_free_sgpr 1
		.amdhsa_named_barrier_count 0
		.amdhsa_reserve_vcc 0
		.amdhsa_float_round_mode_32 0
		.amdhsa_float_round_mode_16_64 0
		.amdhsa_float_denorm_mode_32 3
		.amdhsa_float_denorm_mode_16_64 3
		.amdhsa_fp16_overflow 0
		.amdhsa_memory_ordered 1
		.amdhsa_forward_progress 1
		.amdhsa_inst_pref_size 0
		.amdhsa_round_robin_scheduling 0
		.amdhsa_exception_fp_ieee_invalid_op 0
		.amdhsa_exception_fp_denorm_src 0
		.amdhsa_exception_fp_ieee_div_zero 0
		.amdhsa_exception_fp_ieee_overflow 0
		.amdhsa_exception_fp_ieee_underflow 0
		.amdhsa_exception_fp_ieee_inexact 0
		.amdhsa_exception_int_div_zero 0
	.end_amdhsa_kernel
	.section	.text._ZN7rocprim17ROCPRIM_400000_NS6detail17trampoline_kernelINS0_13select_configILj256ELj13ELNS0_17block_load_methodE3ELS4_3ELS4_3ELNS0_20block_scan_algorithmE0ELj4294967295EEENS1_25partition_config_selectorILNS1_17partition_subalgoE4EjNS0_10empty_typeEbEEZZNS1_14partition_implILS8_4ELb0ES6_15HIP_vector_typeIjLj2EENS0_17counting_iteratorIjlEEPS9_SG_NS0_5tupleIJPjSI_NS0_16reverse_iteratorISI_EEEEENSH_IJSG_SG_SG_EEES9_SI_JZNS1_25segmented_radix_sort_implINS0_14default_configELb1EPKhPhPKlPlN2at6native12_GLOBAL__N_18offset_tEEE10hipError_tPvRmT1_PNSt15iterator_traitsIS12_E10value_typeET2_T3_PNS13_IS18_E10value_typeET4_jRbjT5_S1E_jjP12ihipStream_tbEUljE_ZNSN_ISO_Lb1ESQ_SR_ST_SU_SY_EESZ_S10_S11_S12_S16_S17_S18_S1B_S1C_jS1D_jS1E_S1E_jjS1G_bEUljE0_EEESZ_S10_S11_S18_S1C_S1E_T6_T7_T9_mT8_S1G_bDpT10_ENKUlT_T0_E_clISt17integral_constantIbLb1EES1T_IbLb0EEEEDaS1P_S1Q_EUlS1P_E_NS1_11comp_targetILNS1_3genE10ELNS1_11target_archE1200ELNS1_3gpuE4ELNS1_3repE0EEENS1_30default_config_static_selectorELNS0_4arch9wavefront6targetE0EEEvS12_,"axG",@progbits,_ZN7rocprim17ROCPRIM_400000_NS6detail17trampoline_kernelINS0_13select_configILj256ELj13ELNS0_17block_load_methodE3ELS4_3ELS4_3ELNS0_20block_scan_algorithmE0ELj4294967295EEENS1_25partition_config_selectorILNS1_17partition_subalgoE4EjNS0_10empty_typeEbEEZZNS1_14partition_implILS8_4ELb0ES6_15HIP_vector_typeIjLj2EENS0_17counting_iteratorIjlEEPS9_SG_NS0_5tupleIJPjSI_NS0_16reverse_iteratorISI_EEEEENSH_IJSG_SG_SG_EEES9_SI_JZNS1_25segmented_radix_sort_implINS0_14default_configELb1EPKhPhPKlPlN2at6native12_GLOBAL__N_18offset_tEEE10hipError_tPvRmT1_PNSt15iterator_traitsIS12_E10value_typeET2_T3_PNS13_IS18_E10value_typeET4_jRbjT5_S1E_jjP12ihipStream_tbEUljE_ZNSN_ISO_Lb1ESQ_SR_ST_SU_SY_EESZ_S10_S11_S12_S16_S17_S18_S1B_S1C_jS1D_jS1E_S1E_jjS1G_bEUljE0_EEESZ_S10_S11_S18_S1C_S1E_T6_T7_T9_mT8_S1G_bDpT10_ENKUlT_T0_E_clISt17integral_constantIbLb1EES1T_IbLb0EEEEDaS1P_S1Q_EUlS1P_E_NS1_11comp_targetILNS1_3genE10ELNS1_11target_archE1200ELNS1_3gpuE4ELNS1_3repE0EEENS1_30default_config_static_selectorELNS0_4arch9wavefront6targetE0EEEvS12_,comdat
.Lfunc_end35:
	.size	_ZN7rocprim17ROCPRIM_400000_NS6detail17trampoline_kernelINS0_13select_configILj256ELj13ELNS0_17block_load_methodE3ELS4_3ELS4_3ELNS0_20block_scan_algorithmE0ELj4294967295EEENS1_25partition_config_selectorILNS1_17partition_subalgoE4EjNS0_10empty_typeEbEEZZNS1_14partition_implILS8_4ELb0ES6_15HIP_vector_typeIjLj2EENS0_17counting_iteratorIjlEEPS9_SG_NS0_5tupleIJPjSI_NS0_16reverse_iteratorISI_EEEEENSH_IJSG_SG_SG_EEES9_SI_JZNS1_25segmented_radix_sort_implINS0_14default_configELb1EPKhPhPKlPlN2at6native12_GLOBAL__N_18offset_tEEE10hipError_tPvRmT1_PNSt15iterator_traitsIS12_E10value_typeET2_T3_PNS13_IS18_E10value_typeET4_jRbjT5_S1E_jjP12ihipStream_tbEUljE_ZNSN_ISO_Lb1ESQ_SR_ST_SU_SY_EESZ_S10_S11_S12_S16_S17_S18_S1B_S1C_jS1D_jS1E_S1E_jjS1G_bEUljE0_EEESZ_S10_S11_S18_S1C_S1E_T6_T7_T9_mT8_S1G_bDpT10_ENKUlT_T0_E_clISt17integral_constantIbLb1EES1T_IbLb0EEEEDaS1P_S1Q_EUlS1P_E_NS1_11comp_targetILNS1_3genE10ELNS1_11target_archE1200ELNS1_3gpuE4ELNS1_3repE0EEENS1_30default_config_static_selectorELNS0_4arch9wavefront6targetE0EEEvS12_, .Lfunc_end35-_ZN7rocprim17ROCPRIM_400000_NS6detail17trampoline_kernelINS0_13select_configILj256ELj13ELNS0_17block_load_methodE3ELS4_3ELS4_3ELNS0_20block_scan_algorithmE0ELj4294967295EEENS1_25partition_config_selectorILNS1_17partition_subalgoE4EjNS0_10empty_typeEbEEZZNS1_14partition_implILS8_4ELb0ES6_15HIP_vector_typeIjLj2EENS0_17counting_iteratorIjlEEPS9_SG_NS0_5tupleIJPjSI_NS0_16reverse_iteratorISI_EEEEENSH_IJSG_SG_SG_EEES9_SI_JZNS1_25segmented_radix_sort_implINS0_14default_configELb1EPKhPhPKlPlN2at6native12_GLOBAL__N_18offset_tEEE10hipError_tPvRmT1_PNSt15iterator_traitsIS12_E10value_typeET2_T3_PNS13_IS18_E10value_typeET4_jRbjT5_S1E_jjP12ihipStream_tbEUljE_ZNSN_ISO_Lb1ESQ_SR_ST_SU_SY_EESZ_S10_S11_S12_S16_S17_S18_S1B_S1C_jS1D_jS1E_S1E_jjS1G_bEUljE0_EEESZ_S10_S11_S18_S1C_S1E_T6_T7_T9_mT8_S1G_bDpT10_ENKUlT_T0_E_clISt17integral_constantIbLb1EES1T_IbLb0EEEEDaS1P_S1Q_EUlS1P_E_NS1_11comp_targetILNS1_3genE10ELNS1_11target_archE1200ELNS1_3gpuE4ELNS1_3repE0EEENS1_30default_config_static_selectorELNS0_4arch9wavefront6targetE0EEEvS12_
                                        ; -- End function
	.set _ZN7rocprim17ROCPRIM_400000_NS6detail17trampoline_kernelINS0_13select_configILj256ELj13ELNS0_17block_load_methodE3ELS4_3ELS4_3ELNS0_20block_scan_algorithmE0ELj4294967295EEENS1_25partition_config_selectorILNS1_17partition_subalgoE4EjNS0_10empty_typeEbEEZZNS1_14partition_implILS8_4ELb0ES6_15HIP_vector_typeIjLj2EENS0_17counting_iteratorIjlEEPS9_SG_NS0_5tupleIJPjSI_NS0_16reverse_iteratorISI_EEEEENSH_IJSG_SG_SG_EEES9_SI_JZNS1_25segmented_radix_sort_implINS0_14default_configELb1EPKhPhPKlPlN2at6native12_GLOBAL__N_18offset_tEEE10hipError_tPvRmT1_PNSt15iterator_traitsIS12_E10value_typeET2_T3_PNS13_IS18_E10value_typeET4_jRbjT5_S1E_jjP12ihipStream_tbEUljE_ZNSN_ISO_Lb1ESQ_SR_ST_SU_SY_EESZ_S10_S11_S12_S16_S17_S18_S1B_S1C_jS1D_jS1E_S1E_jjS1G_bEUljE0_EEESZ_S10_S11_S18_S1C_S1E_T6_T7_T9_mT8_S1G_bDpT10_ENKUlT_T0_E_clISt17integral_constantIbLb1EES1T_IbLb0EEEEDaS1P_S1Q_EUlS1P_E_NS1_11comp_targetILNS1_3genE10ELNS1_11target_archE1200ELNS1_3gpuE4ELNS1_3repE0EEENS1_30default_config_static_selectorELNS0_4arch9wavefront6targetE0EEEvS12_.num_vgpr, 0
	.set _ZN7rocprim17ROCPRIM_400000_NS6detail17trampoline_kernelINS0_13select_configILj256ELj13ELNS0_17block_load_methodE3ELS4_3ELS4_3ELNS0_20block_scan_algorithmE0ELj4294967295EEENS1_25partition_config_selectorILNS1_17partition_subalgoE4EjNS0_10empty_typeEbEEZZNS1_14partition_implILS8_4ELb0ES6_15HIP_vector_typeIjLj2EENS0_17counting_iteratorIjlEEPS9_SG_NS0_5tupleIJPjSI_NS0_16reverse_iteratorISI_EEEEENSH_IJSG_SG_SG_EEES9_SI_JZNS1_25segmented_radix_sort_implINS0_14default_configELb1EPKhPhPKlPlN2at6native12_GLOBAL__N_18offset_tEEE10hipError_tPvRmT1_PNSt15iterator_traitsIS12_E10value_typeET2_T3_PNS13_IS18_E10value_typeET4_jRbjT5_S1E_jjP12ihipStream_tbEUljE_ZNSN_ISO_Lb1ESQ_SR_ST_SU_SY_EESZ_S10_S11_S12_S16_S17_S18_S1B_S1C_jS1D_jS1E_S1E_jjS1G_bEUljE0_EEESZ_S10_S11_S18_S1C_S1E_T6_T7_T9_mT8_S1G_bDpT10_ENKUlT_T0_E_clISt17integral_constantIbLb1EES1T_IbLb0EEEEDaS1P_S1Q_EUlS1P_E_NS1_11comp_targetILNS1_3genE10ELNS1_11target_archE1200ELNS1_3gpuE4ELNS1_3repE0EEENS1_30default_config_static_selectorELNS0_4arch9wavefront6targetE0EEEvS12_.num_agpr, 0
	.set _ZN7rocprim17ROCPRIM_400000_NS6detail17trampoline_kernelINS0_13select_configILj256ELj13ELNS0_17block_load_methodE3ELS4_3ELS4_3ELNS0_20block_scan_algorithmE0ELj4294967295EEENS1_25partition_config_selectorILNS1_17partition_subalgoE4EjNS0_10empty_typeEbEEZZNS1_14partition_implILS8_4ELb0ES6_15HIP_vector_typeIjLj2EENS0_17counting_iteratorIjlEEPS9_SG_NS0_5tupleIJPjSI_NS0_16reverse_iteratorISI_EEEEENSH_IJSG_SG_SG_EEES9_SI_JZNS1_25segmented_radix_sort_implINS0_14default_configELb1EPKhPhPKlPlN2at6native12_GLOBAL__N_18offset_tEEE10hipError_tPvRmT1_PNSt15iterator_traitsIS12_E10value_typeET2_T3_PNS13_IS18_E10value_typeET4_jRbjT5_S1E_jjP12ihipStream_tbEUljE_ZNSN_ISO_Lb1ESQ_SR_ST_SU_SY_EESZ_S10_S11_S12_S16_S17_S18_S1B_S1C_jS1D_jS1E_S1E_jjS1G_bEUljE0_EEESZ_S10_S11_S18_S1C_S1E_T6_T7_T9_mT8_S1G_bDpT10_ENKUlT_T0_E_clISt17integral_constantIbLb1EES1T_IbLb0EEEEDaS1P_S1Q_EUlS1P_E_NS1_11comp_targetILNS1_3genE10ELNS1_11target_archE1200ELNS1_3gpuE4ELNS1_3repE0EEENS1_30default_config_static_selectorELNS0_4arch9wavefront6targetE0EEEvS12_.numbered_sgpr, 0
	.set _ZN7rocprim17ROCPRIM_400000_NS6detail17trampoline_kernelINS0_13select_configILj256ELj13ELNS0_17block_load_methodE3ELS4_3ELS4_3ELNS0_20block_scan_algorithmE0ELj4294967295EEENS1_25partition_config_selectorILNS1_17partition_subalgoE4EjNS0_10empty_typeEbEEZZNS1_14partition_implILS8_4ELb0ES6_15HIP_vector_typeIjLj2EENS0_17counting_iteratorIjlEEPS9_SG_NS0_5tupleIJPjSI_NS0_16reverse_iteratorISI_EEEEENSH_IJSG_SG_SG_EEES9_SI_JZNS1_25segmented_radix_sort_implINS0_14default_configELb1EPKhPhPKlPlN2at6native12_GLOBAL__N_18offset_tEEE10hipError_tPvRmT1_PNSt15iterator_traitsIS12_E10value_typeET2_T3_PNS13_IS18_E10value_typeET4_jRbjT5_S1E_jjP12ihipStream_tbEUljE_ZNSN_ISO_Lb1ESQ_SR_ST_SU_SY_EESZ_S10_S11_S12_S16_S17_S18_S1B_S1C_jS1D_jS1E_S1E_jjS1G_bEUljE0_EEESZ_S10_S11_S18_S1C_S1E_T6_T7_T9_mT8_S1G_bDpT10_ENKUlT_T0_E_clISt17integral_constantIbLb1EES1T_IbLb0EEEEDaS1P_S1Q_EUlS1P_E_NS1_11comp_targetILNS1_3genE10ELNS1_11target_archE1200ELNS1_3gpuE4ELNS1_3repE0EEENS1_30default_config_static_selectorELNS0_4arch9wavefront6targetE0EEEvS12_.num_named_barrier, 0
	.set _ZN7rocprim17ROCPRIM_400000_NS6detail17trampoline_kernelINS0_13select_configILj256ELj13ELNS0_17block_load_methodE3ELS4_3ELS4_3ELNS0_20block_scan_algorithmE0ELj4294967295EEENS1_25partition_config_selectorILNS1_17partition_subalgoE4EjNS0_10empty_typeEbEEZZNS1_14partition_implILS8_4ELb0ES6_15HIP_vector_typeIjLj2EENS0_17counting_iteratorIjlEEPS9_SG_NS0_5tupleIJPjSI_NS0_16reverse_iteratorISI_EEEEENSH_IJSG_SG_SG_EEES9_SI_JZNS1_25segmented_radix_sort_implINS0_14default_configELb1EPKhPhPKlPlN2at6native12_GLOBAL__N_18offset_tEEE10hipError_tPvRmT1_PNSt15iterator_traitsIS12_E10value_typeET2_T3_PNS13_IS18_E10value_typeET4_jRbjT5_S1E_jjP12ihipStream_tbEUljE_ZNSN_ISO_Lb1ESQ_SR_ST_SU_SY_EESZ_S10_S11_S12_S16_S17_S18_S1B_S1C_jS1D_jS1E_S1E_jjS1G_bEUljE0_EEESZ_S10_S11_S18_S1C_S1E_T6_T7_T9_mT8_S1G_bDpT10_ENKUlT_T0_E_clISt17integral_constantIbLb1EES1T_IbLb0EEEEDaS1P_S1Q_EUlS1P_E_NS1_11comp_targetILNS1_3genE10ELNS1_11target_archE1200ELNS1_3gpuE4ELNS1_3repE0EEENS1_30default_config_static_selectorELNS0_4arch9wavefront6targetE0EEEvS12_.private_seg_size, 0
	.set _ZN7rocprim17ROCPRIM_400000_NS6detail17trampoline_kernelINS0_13select_configILj256ELj13ELNS0_17block_load_methodE3ELS4_3ELS4_3ELNS0_20block_scan_algorithmE0ELj4294967295EEENS1_25partition_config_selectorILNS1_17partition_subalgoE4EjNS0_10empty_typeEbEEZZNS1_14partition_implILS8_4ELb0ES6_15HIP_vector_typeIjLj2EENS0_17counting_iteratorIjlEEPS9_SG_NS0_5tupleIJPjSI_NS0_16reverse_iteratorISI_EEEEENSH_IJSG_SG_SG_EEES9_SI_JZNS1_25segmented_radix_sort_implINS0_14default_configELb1EPKhPhPKlPlN2at6native12_GLOBAL__N_18offset_tEEE10hipError_tPvRmT1_PNSt15iterator_traitsIS12_E10value_typeET2_T3_PNS13_IS18_E10value_typeET4_jRbjT5_S1E_jjP12ihipStream_tbEUljE_ZNSN_ISO_Lb1ESQ_SR_ST_SU_SY_EESZ_S10_S11_S12_S16_S17_S18_S1B_S1C_jS1D_jS1E_S1E_jjS1G_bEUljE0_EEESZ_S10_S11_S18_S1C_S1E_T6_T7_T9_mT8_S1G_bDpT10_ENKUlT_T0_E_clISt17integral_constantIbLb1EES1T_IbLb0EEEEDaS1P_S1Q_EUlS1P_E_NS1_11comp_targetILNS1_3genE10ELNS1_11target_archE1200ELNS1_3gpuE4ELNS1_3repE0EEENS1_30default_config_static_selectorELNS0_4arch9wavefront6targetE0EEEvS12_.uses_vcc, 0
	.set _ZN7rocprim17ROCPRIM_400000_NS6detail17trampoline_kernelINS0_13select_configILj256ELj13ELNS0_17block_load_methodE3ELS4_3ELS4_3ELNS0_20block_scan_algorithmE0ELj4294967295EEENS1_25partition_config_selectorILNS1_17partition_subalgoE4EjNS0_10empty_typeEbEEZZNS1_14partition_implILS8_4ELb0ES6_15HIP_vector_typeIjLj2EENS0_17counting_iteratorIjlEEPS9_SG_NS0_5tupleIJPjSI_NS0_16reverse_iteratorISI_EEEEENSH_IJSG_SG_SG_EEES9_SI_JZNS1_25segmented_radix_sort_implINS0_14default_configELb1EPKhPhPKlPlN2at6native12_GLOBAL__N_18offset_tEEE10hipError_tPvRmT1_PNSt15iterator_traitsIS12_E10value_typeET2_T3_PNS13_IS18_E10value_typeET4_jRbjT5_S1E_jjP12ihipStream_tbEUljE_ZNSN_ISO_Lb1ESQ_SR_ST_SU_SY_EESZ_S10_S11_S12_S16_S17_S18_S1B_S1C_jS1D_jS1E_S1E_jjS1G_bEUljE0_EEESZ_S10_S11_S18_S1C_S1E_T6_T7_T9_mT8_S1G_bDpT10_ENKUlT_T0_E_clISt17integral_constantIbLb1EES1T_IbLb0EEEEDaS1P_S1Q_EUlS1P_E_NS1_11comp_targetILNS1_3genE10ELNS1_11target_archE1200ELNS1_3gpuE4ELNS1_3repE0EEENS1_30default_config_static_selectorELNS0_4arch9wavefront6targetE0EEEvS12_.uses_flat_scratch, 0
	.set _ZN7rocprim17ROCPRIM_400000_NS6detail17trampoline_kernelINS0_13select_configILj256ELj13ELNS0_17block_load_methodE3ELS4_3ELS4_3ELNS0_20block_scan_algorithmE0ELj4294967295EEENS1_25partition_config_selectorILNS1_17partition_subalgoE4EjNS0_10empty_typeEbEEZZNS1_14partition_implILS8_4ELb0ES6_15HIP_vector_typeIjLj2EENS0_17counting_iteratorIjlEEPS9_SG_NS0_5tupleIJPjSI_NS0_16reverse_iteratorISI_EEEEENSH_IJSG_SG_SG_EEES9_SI_JZNS1_25segmented_radix_sort_implINS0_14default_configELb1EPKhPhPKlPlN2at6native12_GLOBAL__N_18offset_tEEE10hipError_tPvRmT1_PNSt15iterator_traitsIS12_E10value_typeET2_T3_PNS13_IS18_E10value_typeET4_jRbjT5_S1E_jjP12ihipStream_tbEUljE_ZNSN_ISO_Lb1ESQ_SR_ST_SU_SY_EESZ_S10_S11_S12_S16_S17_S18_S1B_S1C_jS1D_jS1E_S1E_jjS1G_bEUljE0_EEESZ_S10_S11_S18_S1C_S1E_T6_T7_T9_mT8_S1G_bDpT10_ENKUlT_T0_E_clISt17integral_constantIbLb1EES1T_IbLb0EEEEDaS1P_S1Q_EUlS1P_E_NS1_11comp_targetILNS1_3genE10ELNS1_11target_archE1200ELNS1_3gpuE4ELNS1_3repE0EEENS1_30default_config_static_selectorELNS0_4arch9wavefront6targetE0EEEvS12_.has_dyn_sized_stack, 0
	.set _ZN7rocprim17ROCPRIM_400000_NS6detail17trampoline_kernelINS0_13select_configILj256ELj13ELNS0_17block_load_methodE3ELS4_3ELS4_3ELNS0_20block_scan_algorithmE0ELj4294967295EEENS1_25partition_config_selectorILNS1_17partition_subalgoE4EjNS0_10empty_typeEbEEZZNS1_14partition_implILS8_4ELb0ES6_15HIP_vector_typeIjLj2EENS0_17counting_iteratorIjlEEPS9_SG_NS0_5tupleIJPjSI_NS0_16reverse_iteratorISI_EEEEENSH_IJSG_SG_SG_EEES9_SI_JZNS1_25segmented_radix_sort_implINS0_14default_configELb1EPKhPhPKlPlN2at6native12_GLOBAL__N_18offset_tEEE10hipError_tPvRmT1_PNSt15iterator_traitsIS12_E10value_typeET2_T3_PNS13_IS18_E10value_typeET4_jRbjT5_S1E_jjP12ihipStream_tbEUljE_ZNSN_ISO_Lb1ESQ_SR_ST_SU_SY_EESZ_S10_S11_S12_S16_S17_S18_S1B_S1C_jS1D_jS1E_S1E_jjS1G_bEUljE0_EEESZ_S10_S11_S18_S1C_S1E_T6_T7_T9_mT8_S1G_bDpT10_ENKUlT_T0_E_clISt17integral_constantIbLb1EES1T_IbLb0EEEEDaS1P_S1Q_EUlS1P_E_NS1_11comp_targetILNS1_3genE10ELNS1_11target_archE1200ELNS1_3gpuE4ELNS1_3repE0EEENS1_30default_config_static_selectorELNS0_4arch9wavefront6targetE0EEEvS12_.has_recursion, 0
	.set _ZN7rocprim17ROCPRIM_400000_NS6detail17trampoline_kernelINS0_13select_configILj256ELj13ELNS0_17block_load_methodE3ELS4_3ELS4_3ELNS0_20block_scan_algorithmE0ELj4294967295EEENS1_25partition_config_selectorILNS1_17partition_subalgoE4EjNS0_10empty_typeEbEEZZNS1_14partition_implILS8_4ELb0ES6_15HIP_vector_typeIjLj2EENS0_17counting_iteratorIjlEEPS9_SG_NS0_5tupleIJPjSI_NS0_16reverse_iteratorISI_EEEEENSH_IJSG_SG_SG_EEES9_SI_JZNS1_25segmented_radix_sort_implINS0_14default_configELb1EPKhPhPKlPlN2at6native12_GLOBAL__N_18offset_tEEE10hipError_tPvRmT1_PNSt15iterator_traitsIS12_E10value_typeET2_T3_PNS13_IS18_E10value_typeET4_jRbjT5_S1E_jjP12ihipStream_tbEUljE_ZNSN_ISO_Lb1ESQ_SR_ST_SU_SY_EESZ_S10_S11_S12_S16_S17_S18_S1B_S1C_jS1D_jS1E_S1E_jjS1G_bEUljE0_EEESZ_S10_S11_S18_S1C_S1E_T6_T7_T9_mT8_S1G_bDpT10_ENKUlT_T0_E_clISt17integral_constantIbLb1EES1T_IbLb0EEEEDaS1P_S1Q_EUlS1P_E_NS1_11comp_targetILNS1_3genE10ELNS1_11target_archE1200ELNS1_3gpuE4ELNS1_3repE0EEENS1_30default_config_static_selectorELNS0_4arch9wavefront6targetE0EEEvS12_.has_indirect_call, 0
	.section	.AMDGPU.csdata,"",@progbits
; Kernel info:
; codeLenInByte = 0
; TotalNumSgprs: 0
; NumVgprs: 0
; ScratchSize: 0
; MemoryBound: 0
; FloatMode: 240
; IeeeMode: 1
; LDSByteSize: 0 bytes/workgroup (compile time only)
; SGPRBlocks: 0
; VGPRBlocks: 0
; NumSGPRsForWavesPerEU: 1
; NumVGPRsForWavesPerEU: 1
; NamedBarCnt: 0
; Occupancy: 16
; WaveLimiterHint : 0
; COMPUTE_PGM_RSRC2:SCRATCH_EN: 0
; COMPUTE_PGM_RSRC2:USER_SGPR: 2
; COMPUTE_PGM_RSRC2:TRAP_HANDLER: 0
; COMPUTE_PGM_RSRC2:TGID_X_EN: 1
; COMPUTE_PGM_RSRC2:TGID_Y_EN: 0
; COMPUTE_PGM_RSRC2:TGID_Z_EN: 0
; COMPUTE_PGM_RSRC2:TIDIG_COMP_CNT: 0
	.section	.text._ZN7rocprim17ROCPRIM_400000_NS6detail17trampoline_kernelINS0_13select_configILj256ELj13ELNS0_17block_load_methodE3ELS4_3ELS4_3ELNS0_20block_scan_algorithmE0ELj4294967295EEENS1_25partition_config_selectorILNS1_17partition_subalgoE4EjNS0_10empty_typeEbEEZZNS1_14partition_implILS8_4ELb0ES6_15HIP_vector_typeIjLj2EENS0_17counting_iteratorIjlEEPS9_SG_NS0_5tupleIJPjSI_NS0_16reverse_iteratorISI_EEEEENSH_IJSG_SG_SG_EEES9_SI_JZNS1_25segmented_radix_sort_implINS0_14default_configELb1EPKhPhPKlPlN2at6native12_GLOBAL__N_18offset_tEEE10hipError_tPvRmT1_PNSt15iterator_traitsIS12_E10value_typeET2_T3_PNS13_IS18_E10value_typeET4_jRbjT5_S1E_jjP12ihipStream_tbEUljE_ZNSN_ISO_Lb1ESQ_SR_ST_SU_SY_EESZ_S10_S11_S12_S16_S17_S18_S1B_S1C_jS1D_jS1E_S1E_jjS1G_bEUljE0_EEESZ_S10_S11_S18_S1C_S1E_T6_T7_T9_mT8_S1G_bDpT10_ENKUlT_T0_E_clISt17integral_constantIbLb1EES1T_IbLb0EEEEDaS1P_S1Q_EUlS1P_E_NS1_11comp_targetILNS1_3genE9ELNS1_11target_archE1100ELNS1_3gpuE3ELNS1_3repE0EEENS1_30default_config_static_selectorELNS0_4arch9wavefront6targetE0EEEvS12_,"axG",@progbits,_ZN7rocprim17ROCPRIM_400000_NS6detail17trampoline_kernelINS0_13select_configILj256ELj13ELNS0_17block_load_methodE3ELS4_3ELS4_3ELNS0_20block_scan_algorithmE0ELj4294967295EEENS1_25partition_config_selectorILNS1_17partition_subalgoE4EjNS0_10empty_typeEbEEZZNS1_14partition_implILS8_4ELb0ES6_15HIP_vector_typeIjLj2EENS0_17counting_iteratorIjlEEPS9_SG_NS0_5tupleIJPjSI_NS0_16reverse_iteratorISI_EEEEENSH_IJSG_SG_SG_EEES9_SI_JZNS1_25segmented_radix_sort_implINS0_14default_configELb1EPKhPhPKlPlN2at6native12_GLOBAL__N_18offset_tEEE10hipError_tPvRmT1_PNSt15iterator_traitsIS12_E10value_typeET2_T3_PNS13_IS18_E10value_typeET4_jRbjT5_S1E_jjP12ihipStream_tbEUljE_ZNSN_ISO_Lb1ESQ_SR_ST_SU_SY_EESZ_S10_S11_S12_S16_S17_S18_S1B_S1C_jS1D_jS1E_S1E_jjS1G_bEUljE0_EEESZ_S10_S11_S18_S1C_S1E_T6_T7_T9_mT8_S1G_bDpT10_ENKUlT_T0_E_clISt17integral_constantIbLb1EES1T_IbLb0EEEEDaS1P_S1Q_EUlS1P_E_NS1_11comp_targetILNS1_3genE9ELNS1_11target_archE1100ELNS1_3gpuE3ELNS1_3repE0EEENS1_30default_config_static_selectorELNS0_4arch9wavefront6targetE0EEEvS12_,comdat
	.globl	_ZN7rocprim17ROCPRIM_400000_NS6detail17trampoline_kernelINS0_13select_configILj256ELj13ELNS0_17block_load_methodE3ELS4_3ELS4_3ELNS0_20block_scan_algorithmE0ELj4294967295EEENS1_25partition_config_selectorILNS1_17partition_subalgoE4EjNS0_10empty_typeEbEEZZNS1_14partition_implILS8_4ELb0ES6_15HIP_vector_typeIjLj2EENS0_17counting_iteratorIjlEEPS9_SG_NS0_5tupleIJPjSI_NS0_16reverse_iteratorISI_EEEEENSH_IJSG_SG_SG_EEES9_SI_JZNS1_25segmented_radix_sort_implINS0_14default_configELb1EPKhPhPKlPlN2at6native12_GLOBAL__N_18offset_tEEE10hipError_tPvRmT1_PNSt15iterator_traitsIS12_E10value_typeET2_T3_PNS13_IS18_E10value_typeET4_jRbjT5_S1E_jjP12ihipStream_tbEUljE_ZNSN_ISO_Lb1ESQ_SR_ST_SU_SY_EESZ_S10_S11_S12_S16_S17_S18_S1B_S1C_jS1D_jS1E_S1E_jjS1G_bEUljE0_EEESZ_S10_S11_S18_S1C_S1E_T6_T7_T9_mT8_S1G_bDpT10_ENKUlT_T0_E_clISt17integral_constantIbLb1EES1T_IbLb0EEEEDaS1P_S1Q_EUlS1P_E_NS1_11comp_targetILNS1_3genE9ELNS1_11target_archE1100ELNS1_3gpuE3ELNS1_3repE0EEENS1_30default_config_static_selectorELNS0_4arch9wavefront6targetE0EEEvS12_ ; -- Begin function _ZN7rocprim17ROCPRIM_400000_NS6detail17trampoline_kernelINS0_13select_configILj256ELj13ELNS0_17block_load_methodE3ELS4_3ELS4_3ELNS0_20block_scan_algorithmE0ELj4294967295EEENS1_25partition_config_selectorILNS1_17partition_subalgoE4EjNS0_10empty_typeEbEEZZNS1_14partition_implILS8_4ELb0ES6_15HIP_vector_typeIjLj2EENS0_17counting_iteratorIjlEEPS9_SG_NS0_5tupleIJPjSI_NS0_16reverse_iteratorISI_EEEEENSH_IJSG_SG_SG_EEES9_SI_JZNS1_25segmented_radix_sort_implINS0_14default_configELb1EPKhPhPKlPlN2at6native12_GLOBAL__N_18offset_tEEE10hipError_tPvRmT1_PNSt15iterator_traitsIS12_E10value_typeET2_T3_PNS13_IS18_E10value_typeET4_jRbjT5_S1E_jjP12ihipStream_tbEUljE_ZNSN_ISO_Lb1ESQ_SR_ST_SU_SY_EESZ_S10_S11_S12_S16_S17_S18_S1B_S1C_jS1D_jS1E_S1E_jjS1G_bEUljE0_EEESZ_S10_S11_S18_S1C_S1E_T6_T7_T9_mT8_S1G_bDpT10_ENKUlT_T0_E_clISt17integral_constantIbLb1EES1T_IbLb0EEEEDaS1P_S1Q_EUlS1P_E_NS1_11comp_targetILNS1_3genE9ELNS1_11target_archE1100ELNS1_3gpuE3ELNS1_3repE0EEENS1_30default_config_static_selectorELNS0_4arch9wavefront6targetE0EEEvS12_
	.p2align	8
	.type	_ZN7rocprim17ROCPRIM_400000_NS6detail17trampoline_kernelINS0_13select_configILj256ELj13ELNS0_17block_load_methodE3ELS4_3ELS4_3ELNS0_20block_scan_algorithmE0ELj4294967295EEENS1_25partition_config_selectorILNS1_17partition_subalgoE4EjNS0_10empty_typeEbEEZZNS1_14partition_implILS8_4ELb0ES6_15HIP_vector_typeIjLj2EENS0_17counting_iteratorIjlEEPS9_SG_NS0_5tupleIJPjSI_NS0_16reverse_iteratorISI_EEEEENSH_IJSG_SG_SG_EEES9_SI_JZNS1_25segmented_radix_sort_implINS0_14default_configELb1EPKhPhPKlPlN2at6native12_GLOBAL__N_18offset_tEEE10hipError_tPvRmT1_PNSt15iterator_traitsIS12_E10value_typeET2_T3_PNS13_IS18_E10value_typeET4_jRbjT5_S1E_jjP12ihipStream_tbEUljE_ZNSN_ISO_Lb1ESQ_SR_ST_SU_SY_EESZ_S10_S11_S12_S16_S17_S18_S1B_S1C_jS1D_jS1E_S1E_jjS1G_bEUljE0_EEESZ_S10_S11_S18_S1C_S1E_T6_T7_T9_mT8_S1G_bDpT10_ENKUlT_T0_E_clISt17integral_constantIbLb1EES1T_IbLb0EEEEDaS1P_S1Q_EUlS1P_E_NS1_11comp_targetILNS1_3genE9ELNS1_11target_archE1100ELNS1_3gpuE3ELNS1_3repE0EEENS1_30default_config_static_selectorELNS0_4arch9wavefront6targetE0EEEvS12_,@function
_ZN7rocprim17ROCPRIM_400000_NS6detail17trampoline_kernelINS0_13select_configILj256ELj13ELNS0_17block_load_methodE3ELS4_3ELS4_3ELNS0_20block_scan_algorithmE0ELj4294967295EEENS1_25partition_config_selectorILNS1_17partition_subalgoE4EjNS0_10empty_typeEbEEZZNS1_14partition_implILS8_4ELb0ES6_15HIP_vector_typeIjLj2EENS0_17counting_iteratorIjlEEPS9_SG_NS0_5tupleIJPjSI_NS0_16reverse_iteratorISI_EEEEENSH_IJSG_SG_SG_EEES9_SI_JZNS1_25segmented_radix_sort_implINS0_14default_configELb1EPKhPhPKlPlN2at6native12_GLOBAL__N_18offset_tEEE10hipError_tPvRmT1_PNSt15iterator_traitsIS12_E10value_typeET2_T3_PNS13_IS18_E10value_typeET4_jRbjT5_S1E_jjP12ihipStream_tbEUljE_ZNSN_ISO_Lb1ESQ_SR_ST_SU_SY_EESZ_S10_S11_S12_S16_S17_S18_S1B_S1C_jS1D_jS1E_S1E_jjS1G_bEUljE0_EEESZ_S10_S11_S18_S1C_S1E_T6_T7_T9_mT8_S1G_bDpT10_ENKUlT_T0_E_clISt17integral_constantIbLb1EES1T_IbLb0EEEEDaS1P_S1Q_EUlS1P_E_NS1_11comp_targetILNS1_3genE9ELNS1_11target_archE1100ELNS1_3gpuE3ELNS1_3repE0EEENS1_30default_config_static_selectorELNS0_4arch9wavefront6targetE0EEEvS12_: ; @_ZN7rocprim17ROCPRIM_400000_NS6detail17trampoline_kernelINS0_13select_configILj256ELj13ELNS0_17block_load_methodE3ELS4_3ELS4_3ELNS0_20block_scan_algorithmE0ELj4294967295EEENS1_25partition_config_selectorILNS1_17partition_subalgoE4EjNS0_10empty_typeEbEEZZNS1_14partition_implILS8_4ELb0ES6_15HIP_vector_typeIjLj2EENS0_17counting_iteratorIjlEEPS9_SG_NS0_5tupleIJPjSI_NS0_16reverse_iteratorISI_EEEEENSH_IJSG_SG_SG_EEES9_SI_JZNS1_25segmented_radix_sort_implINS0_14default_configELb1EPKhPhPKlPlN2at6native12_GLOBAL__N_18offset_tEEE10hipError_tPvRmT1_PNSt15iterator_traitsIS12_E10value_typeET2_T3_PNS13_IS18_E10value_typeET4_jRbjT5_S1E_jjP12ihipStream_tbEUljE_ZNSN_ISO_Lb1ESQ_SR_ST_SU_SY_EESZ_S10_S11_S12_S16_S17_S18_S1B_S1C_jS1D_jS1E_S1E_jjS1G_bEUljE0_EEESZ_S10_S11_S18_S1C_S1E_T6_T7_T9_mT8_S1G_bDpT10_ENKUlT_T0_E_clISt17integral_constantIbLb1EES1T_IbLb0EEEEDaS1P_S1Q_EUlS1P_E_NS1_11comp_targetILNS1_3genE9ELNS1_11target_archE1100ELNS1_3gpuE3ELNS1_3repE0EEENS1_30default_config_static_selectorELNS0_4arch9wavefront6targetE0EEEvS12_
; %bb.0:
	.section	.rodata,"a",@progbits
	.p2align	6, 0x0
	.amdhsa_kernel _ZN7rocprim17ROCPRIM_400000_NS6detail17trampoline_kernelINS0_13select_configILj256ELj13ELNS0_17block_load_methodE3ELS4_3ELS4_3ELNS0_20block_scan_algorithmE0ELj4294967295EEENS1_25partition_config_selectorILNS1_17partition_subalgoE4EjNS0_10empty_typeEbEEZZNS1_14partition_implILS8_4ELb0ES6_15HIP_vector_typeIjLj2EENS0_17counting_iteratorIjlEEPS9_SG_NS0_5tupleIJPjSI_NS0_16reverse_iteratorISI_EEEEENSH_IJSG_SG_SG_EEES9_SI_JZNS1_25segmented_radix_sort_implINS0_14default_configELb1EPKhPhPKlPlN2at6native12_GLOBAL__N_18offset_tEEE10hipError_tPvRmT1_PNSt15iterator_traitsIS12_E10value_typeET2_T3_PNS13_IS18_E10value_typeET4_jRbjT5_S1E_jjP12ihipStream_tbEUljE_ZNSN_ISO_Lb1ESQ_SR_ST_SU_SY_EESZ_S10_S11_S12_S16_S17_S18_S1B_S1C_jS1D_jS1E_S1E_jjS1G_bEUljE0_EEESZ_S10_S11_S18_S1C_S1E_T6_T7_T9_mT8_S1G_bDpT10_ENKUlT_T0_E_clISt17integral_constantIbLb1EES1T_IbLb0EEEEDaS1P_S1Q_EUlS1P_E_NS1_11comp_targetILNS1_3genE9ELNS1_11target_archE1100ELNS1_3gpuE3ELNS1_3repE0EEENS1_30default_config_static_selectorELNS0_4arch9wavefront6targetE0EEEvS12_
		.amdhsa_group_segment_fixed_size 0
		.amdhsa_private_segment_fixed_size 0
		.amdhsa_kernarg_size 176
		.amdhsa_user_sgpr_count 2
		.amdhsa_user_sgpr_dispatch_ptr 0
		.amdhsa_user_sgpr_queue_ptr 0
		.amdhsa_user_sgpr_kernarg_segment_ptr 1
		.amdhsa_user_sgpr_dispatch_id 0
		.amdhsa_user_sgpr_kernarg_preload_length 0
		.amdhsa_user_sgpr_kernarg_preload_offset 0
		.amdhsa_user_sgpr_private_segment_size 0
		.amdhsa_wavefront_size32 1
		.amdhsa_uses_dynamic_stack 0
		.amdhsa_enable_private_segment 0
		.amdhsa_system_sgpr_workgroup_id_x 1
		.amdhsa_system_sgpr_workgroup_id_y 0
		.amdhsa_system_sgpr_workgroup_id_z 0
		.amdhsa_system_sgpr_workgroup_info 0
		.amdhsa_system_vgpr_workitem_id 0
		.amdhsa_next_free_vgpr 1
		.amdhsa_next_free_sgpr 1
		.amdhsa_named_barrier_count 0
		.amdhsa_reserve_vcc 0
		.amdhsa_float_round_mode_32 0
		.amdhsa_float_round_mode_16_64 0
		.amdhsa_float_denorm_mode_32 3
		.amdhsa_float_denorm_mode_16_64 3
		.amdhsa_fp16_overflow 0
		.amdhsa_memory_ordered 1
		.amdhsa_forward_progress 1
		.amdhsa_inst_pref_size 0
		.amdhsa_round_robin_scheduling 0
		.amdhsa_exception_fp_ieee_invalid_op 0
		.amdhsa_exception_fp_denorm_src 0
		.amdhsa_exception_fp_ieee_div_zero 0
		.amdhsa_exception_fp_ieee_overflow 0
		.amdhsa_exception_fp_ieee_underflow 0
		.amdhsa_exception_fp_ieee_inexact 0
		.amdhsa_exception_int_div_zero 0
	.end_amdhsa_kernel
	.section	.text._ZN7rocprim17ROCPRIM_400000_NS6detail17trampoline_kernelINS0_13select_configILj256ELj13ELNS0_17block_load_methodE3ELS4_3ELS4_3ELNS0_20block_scan_algorithmE0ELj4294967295EEENS1_25partition_config_selectorILNS1_17partition_subalgoE4EjNS0_10empty_typeEbEEZZNS1_14partition_implILS8_4ELb0ES6_15HIP_vector_typeIjLj2EENS0_17counting_iteratorIjlEEPS9_SG_NS0_5tupleIJPjSI_NS0_16reverse_iteratorISI_EEEEENSH_IJSG_SG_SG_EEES9_SI_JZNS1_25segmented_radix_sort_implINS0_14default_configELb1EPKhPhPKlPlN2at6native12_GLOBAL__N_18offset_tEEE10hipError_tPvRmT1_PNSt15iterator_traitsIS12_E10value_typeET2_T3_PNS13_IS18_E10value_typeET4_jRbjT5_S1E_jjP12ihipStream_tbEUljE_ZNSN_ISO_Lb1ESQ_SR_ST_SU_SY_EESZ_S10_S11_S12_S16_S17_S18_S1B_S1C_jS1D_jS1E_S1E_jjS1G_bEUljE0_EEESZ_S10_S11_S18_S1C_S1E_T6_T7_T9_mT8_S1G_bDpT10_ENKUlT_T0_E_clISt17integral_constantIbLb1EES1T_IbLb0EEEEDaS1P_S1Q_EUlS1P_E_NS1_11comp_targetILNS1_3genE9ELNS1_11target_archE1100ELNS1_3gpuE3ELNS1_3repE0EEENS1_30default_config_static_selectorELNS0_4arch9wavefront6targetE0EEEvS12_,"axG",@progbits,_ZN7rocprim17ROCPRIM_400000_NS6detail17trampoline_kernelINS0_13select_configILj256ELj13ELNS0_17block_load_methodE3ELS4_3ELS4_3ELNS0_20block_scan_algorithmE0ELj4294967295EEENS1_25partition_config_selectorILNS1_17partition_subalgoE4EjNS0_10empty_typeEbEEZZNS1_14partition_implILS8_4ELb0ES6_15HIP_vector_typeIjLj2EENS0_17counting_iteratorIjlEEPS9_SG_NS0_5tupleIJPjSI_NS0_16reverse_iteratorISI_EEEEENSH_IJSG_SG_SG_EEES9_SI_JZNS1_25segmented_radix_sort_implINS0_14default_configELb1EPKhPhPKlPlN2at6native12_GLOBAL__N_18offset_tEEE10hipError_tPvRmT1_PNSt15iterator_traitsIS12_E10value_typeET2_T3_PNS13_IS18_E10value_typeET4_jRbjT5_S1E_jjP12ihipStream_tbEUljE_ZNSN_ISO_Lb1ESQ_SR_ST_SU_SY_EESZ_S10_S11_S12_S16_S17_S18_S1B_S1C_jS1D_jS1E_S1E_jjS1G_bEUljE0_EEESZ_S10_S11_S18_S1C_S1E_T6_T7_T9_mT8_S1G_bDpT10_ENKUlT_T0_E_clISt17integral_constantIbLb1EES1T_IbLb0EEEEDaS1P_S1Q_EUlS1P_E_NS1_11comp_targetILNS1_3genE9ELNS1_11target_archE1100ELNS1_3gpuE3ELNS1_3repE0EEENS1_30default_config_static_selectorELNS0_4arch9wavefront6targetE0EEEvS12_,comdat
.Lfunc_end36:
	.size	_ZN7rocprim17ROCPRIM_400000_NS6detail17trampoline_kernelINS0_13select_configILj256ELj13ELNS0_17block_load_methodE3ELS4_3ELS4_3ELNS0_20block_scan_algorithmE0ELj4294967295EEENS1_25partition_config_selectorILNS1_17partition_subalgoE4EjNS0_10empty_typeEbEEZZNS1_14partition_implILS8_4ELb0ES6_15HIP_vector_typeIjLj2EENS0_17counting_iteratorIjlEEPS9_SG_NS0_5tupleIJPjSI_NS0_16reverse_iteratorISI_EEEEENSH_IJSG_SG_SG_EEES9_SI_JZNS1_25segmented_radix_sort_implINS0_14default_configELb1EPKhPhPKlPlN2at6native12_GLOBAL__N_18offset_tEEE10hipError_tPvRmT1_PNSt15iterator_traitsIS12_E10value_typeET2_T3_PNS13_IS18_E10value_typeET4_jRbjT5_S1E_jjP12ihipStream_tbEUljE_ZNSN_ISO_Lb1ESQ_SR_ST_SU_SY_EESZ_S10_S11_S12_S16_S17_S18_S1B_S1C_jS1D_jS1E_S1E_jjS1G_bEUljE0_EEESZ_S10_S11_S18_S1C_S1E_T6_T7_T9_mT8_S1G_bDpT10_ENKUlT_T0_E_clISt17integral_constantIbLb1EES1T_IbLb0EEEEDaS1P_S1Q_EUlS1P_E_NS1_11comp_targetILNS1_3genE9ELNS1_11target_archE1100ELNS1_3gpuE3ELNS1_3repE0EEENS1_30default_config_static_selectorELNS0_4arch9wavefront6targetE0EEEvS12_, .Lfunc_end36-_ZN7rocprim17ROCPRIM_400000_NS6detail17trampoline_kernelINS0_13select_configILj256ELj13ELNS0_17block_load_methodE3ELS4_3ELS4_3ELNS0_20block_scan_algorithmE0ELj4294967295EEENS1_25partition_config_selectorILNS1_17partition_subalgoE4EjNS0_10empty_typeEbEEZZNS1_14partition_implILS8_4ELb0ES6_15HIP_vector_typeIjLj2EENS0_17counting_iteratorIjlEEPS9_SG_NS0_5tupleIJPjSI_NS0_16reverse_iteratorISI_EEEEENSH_IJSG_SG_SG_EEES9_SI_JZNS1_25segmented_radix_sort_implINS0_14default_configELb1EPKhPhPKlPlN2at6native12_GLOBAL__N_18offset_tEEE10hipError_tPvRmT1_PNSt15iterator_traitsIS12_E10value_typeET2_T3_PNS13_IS18_E10value_typeET4_jRbjT5_S1E_jjP12ihipStream_tbEUljE_ZNSN_ISO_Lb1ESQ_SR_ST_SU_SY_EESZ_S10_S11_S12_S16_S17_S18_S1B_S1C_jS1D_jS1E_S1E_jjS1G_bEUljE0_EEESZ_S10_S11_S18_S1C_S1E_T6_T7_T9_mT8_S1G_bDpT10_ENKUlT_T0_E_clISt17integral_constantIbLb1EES1T_IbLb0EEEEDaS1P_S1Q_EUlS1P_E_NS1_11comp_targetILNS1_3genE9ELNS1_11target_archE1100ELNS1_3gpuE3ELNS1_3repE0EEENS1_30default_config_static_selectorELNS0_4arch9wavefront6targetE0EEEvS12_
                                        ; -- End function
	.set _ZN7rocprim17ROCPRIM_400000_NS6detail17trampoline_kernelINS0_13select_configILj256ELj13ELNS0_17block_load_methodE3ELS4_3ELS4_3ELNS0_20block_scan_algorithmE0ELj4294967295EEENS1_25partition_config_selectorILNS1_17partition_subalgoE4EjNS0_10empty_typeEbEEZZNS1_14partition_implILS8_4ELb0ES6_15HIP_vector_typeIjLj2EENS0_17counting_iteratorIjlEEPS9_SG_NS0_5tupleIJPjSI_NS0_16reverse_iteratorISI_EEEEENSH_IJSG_SG_SG_EEES9_SI_JZNS1_25segmented_radix_sort_implINS0_14default_configELb1EPKhPhPKlPlN2at6native12_GLOBAL__N_18offset_tEEE10hipError_tPvRmT1_PNSt15iterator_traitsIS12_E10value_typeET2_T3_PNS13_IS18_E10value_typeET4_jRbjT5_S1E_jjP12ihipStream_tbEUljE_ZNSN_ISO_Lb1ESQ_SR_ST_SU_SY_EESZ_S10_S11_S12_S16_S17_S18_S1B_S1C_jS1D_jS1E_S1E_jjS1G_bEUljE0_EEESZ_S10_S11_S18_S1C_S1E_T6_T7_T9_mT8_S1G_bDpT10_ENKUlT_T0_E_clISt17integral_constantIbLb1EES1T_IbLb0EEEEDaS1P_S1Q_EUlS1P_E_NS1_11comp_targetILNS1_3genE9ELNS1_11target_archE1100ELNS1_3gpuE3ELNS1_3repE0EEENS1_30default_config_static_selectorELNS0_4arch9wavefront6targetE0EEEvS12_.num_vgpr, 0
	.set _ZN7rocprim17ROCPRIM_400000_NS6detail17trampoline_kernelINS0_13select_configILj256ELj13ELNS0_17block_load_methodE3ELS4_3ELS4_3ELNS0_20block_scan_algorithmE0ELj4294967295EEENS1_25partition_config_selectorILNS1_17partition_subalgoE4EjNS0_10empty_typeEbEEZZNS1_14partition_implILS8_4ELb0ES6_15HIP_vector_typeIjLj2EENS0_17counting_iteratorIjlEEPS9_SG_NS0_5tupleIJPjSI_NS0_16reverse_iteratorISI_EEEEENSH_IJSG_SG_SG_EEES9_SI_JZNS1_25segmented_radix_sort_implINS0_14default_configELb1EPKhPhPKlPlN2at6native12_GLOBAL__N_18offset_tEEE10hipError_tPvRmT1_PNSt15iterator_traitsIS12_E10value_typeET2_T3_PNS13_IS18_E10value_typeET4_jRbjT5_S1E_jjP12ihipStream_tbEUljE_ZNSN_ISO_Lb1ESQ_SR_ST_SU_SY_EESZ_S10_S11_S12_S16_S17_S18_S1B_S1C_jS1D_jS1E_S1E_jjS1G_bEUljE0_EEESZ_S10_S11_S18_S1C_S1E_T6_T7_T9_mT8_S1G_bDpT10_ENKUlT_T0_E_clISt17integral_constantIbLb1EES1T_IbLb0EEEEDaS1P_S1Q_EUlS1P_E_NS1_11comp_targetILNS1_3genE9ELNS1_11target_archE1100ELNS1_3gpuE3ELNS1_3repE0EEENS1_30default_config_static_selectorELNS0_4arch9wavefront6targetE0EEEvS12_.num_agpr, 0
	.set _ZN7rocprim17ROCPRIM_400000_NS6detail17trampoline_kernelINS0_13select_configILj256ELj13ELNS0_17block_load_methodE3ELS4_3ELS4_3ELNS0_20block_scan_algorithmE0ELj4294967295EEENS1_25partition_config_selectorILNS1_17partition_subalgoE4EjNS0_10empty_typeEbEEZZNS1_14partition_implILS8_4ELb0ES6_15HIP_vector_typeIjLj2EENS0_17counting_iteratorIjlEEPS9_SG_NS0_5tupleIJPjSI_NS0_16reverse_iteratorISI_EEEEENSH_IJSG_SG_SG_EEES9_SI_JZNS1_25segmented_radix_sort_implINS0_14default_configELb1EPKhPhPKlPlN2at6native12_GLOBAL__N_18offset_tEEE10hipError_tPvRmT1_PNSt15iterator_traitsIS12_E10value_typeET2_T3_PNS13_IS18_E10value_typeET4_jRbjT5_S1E_jjP12ihipStream_tbEUljE_ZNSN_ISO_Lb1ESQ_SR_ST_SU_SY_EESZ_S10_S11_S12_S16_S17_S18_S1B_S1C_jS1D_jS1E_S1E_jjS1G_bEUljE0_EEESZ_S10_S11_S18_S1C_S1E_T6_T7_T9_mT8_S1G_bDpT10_ENKUlT_T0_E_clISt17integral_constantIbLb1EES1T_IbLb0EEEEDaS1P_S1Q_EUlS1P_E_NS1_11comp_targetILNS1_3genE9ELNS1_11target_archE1100ELNS1_3gpuE3ELNS1_3repE0EEENS1_30default_config_static_selectorELNS0_4arch9wavefront6targetE0EEEvS12_.numbered_sgpr, 0
	.set _ZN7rocprim17ROCPRIM_400000_NS6detail17trampoline_kernelINS0_13select_configILj256ELj13ELNS0_17block_load_methodE3ELS4_3ELS4_3ELNS0_20block_scan_algorithmE0ELj4294967295EEENS1_25partition_config_selectorILNS1_17partition_subalgoE4EjNS0_10empty_typeEbEEZZNS1_14partition_implILS8_4ELb0ES6_15HIP_vector_typeIjLj2EENS0_17counting_iteratorIjlEEPS9_SG_NS0_5tupleIJPjSI_NS0_16reverse_iteratorISI_EEEEENSH_IJSG_SG_SG_EEES9_SI_JZNS1_25segmented_radix_sort_implINS0_14default_configELb1EPKhPhPKlPlN2at6native12_GLOBAL__N_18offset_tEEE10hipError_tPvRmT1_PNSt15iterator_traitsIS12_E10value_typeET2_T3_PNS13_IS18_E10value_typeET4_jRbjT5_S1E_jjP12ihipStream_tbEUljE_ZNSN_ISO_Lb1ESQ_SR_ST_SU_SY_EESZ_S10_S11_S12_S16_S17_S18_S1B_S1C_jS1D_jS1E_S1E_jjS1G_bEUljE0_EEESZ_S10_S11_S18_S1C_S1E_T6_T7_T9_mT8_S1G_bDpT10_ENKUlT_T0_E_clISt17integral_constantIbLb1EES1T_IbLb0EEEEDaS1P_S1Q_EUlS1P_E_NS1_11comp_targetILNS1_3genE9ELNS1_11target_archE1100ELNS1_3gpuE3ELNS1_3repE0EEENS1_30default_config_static_selectorELNS0_4arch9wavefront6targetE0EEEvS12_.num_named_barrier, 0
	.set _ZN7rocprim17ROCPRIM_400000_NS6detail17trampoline_kernelINS0_13select_configILj256ELj13ELNS0_17block_load_methodE3ELS4_3ELS4_3ELNS0_20block_scan_algorithmE0ELj4294967295EEENS1_25partition_config_selectorILNS1_17partition_subalgoE4EjNS0_10empty_typeEbEEZZNS1_14partition_implILS8_4ELb0ES6_15HIP_vector_typeIjLj2EENS0_17counting_iteratorIjlEEPS9_SG_NS0_5tupleIJPjSI_NS0_16reverse_iteratorISI_EEEEENSH_IJSG_SG_SG_EEES9_SI_JZNS1_25segmented_radix_sort_implINS0_14default_configELb1EPKhPhPKlPlN2at6native12_GLOBAL__N_18offset_tEEE10hipError_tPvRmT1_PNSt15iterator_traitsIS12_E10value_typeET2_T3_PNS13_IS18_E10value_typeET4_jRbjT5_S1E_jjP12ihipStream_tbEUljE_ZNSN_ISO_Lb1ESQ_SR_ST_SU_SY_EESZ_S10_S11_S12_S16_S17_S18_S1B_S1C_jS1D_jS1E_S1E_jjS1G_bEUljE0_EEESZ_S10_S11_S18_S1C_S1E_T6_T7_T9_mT8_S1G_bDpT10_ENKUlT_T0_E_clISt17integral_constantIbLb1EES1T_IbLb0EEEEDaS1P_S1Q_EUlS1P_E_NS1_11comp_targetILNS1_3genE9ELNS1_11target_archE1100ELNS1_3gpuE3ELNS1_3repE0EEENS1_30default_config_static_selectorELNS0_4arch9wavefront6targetE0EEEvS12_.private_seg_size, 0
	.set _ZN7rocprim17ROCPRIM_400000_NS6detail17trampoline_kernelINS0_13select_configILj256ELj13ELNS0_17block_load_methodE3ELS4_3ELS4_3ELNS0_20block_scan_algorithmE0ELj4294967295EEENS1_25partition_config_selectorILNS1_17partition_subalgoE4EjNS0_10empty_typeEbEEZZNS1_14partition_implILS8_4ELb0ES6_15HIP_vector_typeIjLj2EENS0_17counting_iteratorIjlEEPS9_SG_NS0_5tupleIJPjSI_NS0_16reverse_iteratorISI_EEEEENSH_IJSG_SG_SG_EEES9_SI_JZNS1_25segmented_radix_sort_implINS0_14default_configELb1EPKhPhPKlPlN2at6native12_GLOBAL__N_18offset_tEEE10hipError_tPvRmT1_PNSt15iterator_traitsIS12_E10value_typeET2_T3_PNS13_IS18_E10value_typeET4_jRbjT5_S1E_jjP12ihipStream_tbEUljE_ZNSN_ISO_Lb1ESQ_SR_ST_SU_SY_EESZ_S10_S11_S12_S16_S17_S18_S1B_S1C_jS1D_jS1E_S1E_jjS1G_bEUljE0_EEESZ_S10_S11_S18_S1C_S1E_T6_T7_T9_mT8_S1G_bDpT10_ENKUlT_T0_E_clISt17integral_constantIbLb1EES1T_IbLb0EEEEDaS1P_S1Q_EUlS1P_E_NS1_11comp_targetILNS1_3genE9ELNS1_11target_archE1100ELNS1_3gpuE3ELNS1_3repE0EEENS1_30default_config_static_selectorELNS0_4arch9wavefront6targetE0EEEvS12_.uses_vcc, 0
	.set _ZN7rocprim17ROCPRIM_400000_NS6detail17trampoline_kernelINS0_13select_configILj256ELj13ELNS0_17block_load_methodE3ELS4_3ELS4_3ELNS0_20block_scan_algorithmE0ELj4294967295EEENS1_25partition_config_selectorILNS1_17partition_subalgoE4EjNS0_10empty_typeEbEEZZNS1_14partition_implILS8_4ELb0ES6_15HIP_vector_typeIjLj2EENS0_17counting_iteratorIjlEEPS9_SG_NS0_5tupleIJPjSI_NS0_16reverse_iteratorISI_EEEEENSH_IJSG_SG_SG_EEES9_SI_JZNS1_25segmented_radix_sort_implINS0_14default_configELb1EPKhPhPKlPlN2at6native12_GLOBAL__N_18offset_tEEE10hipError_tPvRmT1_PNSt15iterator_traitsIS12_E10value_typeET2_T3_PNS13_IS18_E10value_typeET4_jRbjT5_S1E_jjP12ihipStream_tbEUljE_ZNSN_ISO_Lb1ESQ_SR_ST_SU_SY_EESZ_S10_S11_S12_S16_S17_S18_S1B_S1C_jS1D_jS1E_S1E_jjS1G_bEUljE0_EEESZ_S10_S11_S18_S1C_S1E_T6_T7_T9_mT8_S1G_bDpT10_ENKUlT_T0_E_clISt17integral_constantIbLb1EES1T_IbLb0EEEEDaS1P_S1Q_EUlS1P_E_NS1_11comp_targetILNS1_3genE9ELNS1_11target_archE1100ELNS1_3gpuE3ELNS1_3repE0EEENS1_30default_config_static_selectorELNS0_4arch9wavefront6targetE0EEEvS12_.uses_flat_scratch, 0
	.set _ZN7rocprim17ROCPRIM_400000_NS6detail17trampoline_kernelINS0_13select_configILj256ELj13ELNS0_17block_load_methodE3ELS4_3ELS4_3ELNS0_20block_scan_algorithmE0ELj4294967295EEENS1_25partition_config_selectorILNS1_17partition_subalgoE4EjNS0_10empty_typeEbEEZZNS1_14partition_implILS8_4ELb0ES6_15HIP_vector_typeIjLj2EENS0_17counting_iteratorIjlEEPS9_SG_NS0_5tupleIJPjSI_NS0_16reverse_iteratorISI_EEEEENSH_IJSG_SG_SG_EEES9_SI_JZNS1_25segmented_radix_sort_implINS0_14default_configELb1EPKhPhPKlPlN2at6native12_GLOBAL__N_18offset_tEEE10hipError_tPvRmT1_PNSt15iterator_traitsIS12_E10value_typeET2_T3_PNS13_IS18_E10value_typeET4_jRbjT5_S1E_jjP12ihipStream_tbEUljE_ZNSN_ISO_Lb1ESQ_SR_ST_SU_SY_EESZ_S10_S11_S12_S16_S17_S18_S1B_S1C_jS1D_jS1E_S1E_jjS1G_bEUljE0_EEESZ_S10_S11_S18_S1C_S1E_T6_T7_T9_mT8_S1G_bDpT10_ENKUlT_T0_E_clISt17integral_constantIbLb1EES1T_IbLb0EEEEDaS1P_S1Q_EUlS1P_E_NS1_11comp_targetILNS1_3genE9ELNS1_11target_archE1100ELNS1_3gpuE3ELNS1_3repE0EEENS1_30default_config_static_selectorELNS0_4arch9wavefront6targetE0EEEvS12_.has_dyn_sized_stack, 0
	.set _ZN7rocprim17ROCPRIM_400000_NS6detail17trampoline_kernelINS0_13select_configILj256ELj13ELNS0_17block_load_methodE3ELS4_3ELS4_3ELNS0_20block_scan_algorithmE0ELj4294967295EEENS1_25partition_config_selectorILNS1_17partition_subalgoE4EjNS0_10empty_typeEbEEZZNS1_14partition_implILS8_4ELb0ES6_15HIP_vector_typeIjLj2EENS0_17counting_iteratorIjlEEPS9_SG_NS0_5tupleIJPjSI_NS0_16reverse_iteratorISI_EEEEENSH_IJSG_SG_SG_EEES9_SI_JZNS1_25segmented_radix_sort_implINS0_14default_configELb1EPKhPhPKlPlN2at6native12_GLOBAL__N_18offset_tEEE10hipError_tPvRmT1_PNSt15iterator_traitsIS12_E10value_typeET2_T3_PNS13_IS18_E10value_typeET4_jRbjT5_S1E_jjP12ihipStream_tbEUljE_ZNSN_ISO_Lb1ESQ_SR_ST_SU_SY_EESZ_S10_S11_S12_S16_S17_S18_S1B_S1C_jS1D_jS1E_S1E_jjS1G_bEUljE0_EEESZ_S10_S11_S18_S1C_S1E_T6_T7_T9_mT8_S1G_bDpT10_ENKUlT_T0_E_clISt17integral_constantIbLb1EES1T_IbLb0EEEEDaS1P_S1Q_EUlS1P_E_NS1_11comp_targetILNS1_3genE9ELNS1_11target_archE1100ELNS1_3gpuE3ELNS1_3repE0EEENS1_30default_config_static_selectorELNS0_4arch9wavefront6targetE0EEEvS12_.has_recursion, 0
	.set _ZN7rocprim17ROCPRIM_400000_NS6detail17trampoline_kernelINS0_13select_configILj256ELj13ELNS0_17block_load_methodE3ELS4_3ELS4_3ELNS0_20block_scan_algorithmE0ELj4294967295EEENS1_25partition_config_selectorILNS1_17partition_subalgoE4EjNS0_10empty_typeEbEEZZNS1_14partition_implILS8_4ELb0ES6_15HIP_vector_typeIjLj2EENS0_17counting_iteratorIjlEEPS9_SG_NS0_5tupleIJPjSI_NS0_16reverse_iteratorISI_EEEEENSH_IJSG_SG_SG_EEES9_SI_JZNS1_25segmented_radix_sort_implINS0_14default_configELb1EPKhPhPKlPlN2at6native12_GLOBAL__N_18offset_tEEE10hipError_tPvRmT1_PNSt15iterator_traitsIS12_E10value_typeET2_T3_PNS13_IS18_E10value_typeET4_jRbjT5_S1E_jjP12ihipStream_tbEUljE_ZNSN_ISO_Lb1ESQ_SR_ST_SU_SY_EESZ_S10_S11_S12_S16_S17_S18_S1B_S1C_jS1D_jS1E_S1E_jjS1G_bEUljE0_EEESZ_S10_S11_S18_S1C_S1E_T6_T7_T9_mT8_S1G_bDpT10_ENKUlT_T0_E_clISt17integral_constantIbLb1EES1T_IbLb0EEEEDaS1P_S1Q_EUlS1P_E_NS1_11comp_targetILNS1_3genE9ELNS1_11target_archE1100ELNS1_3gpuE3ELNS1_3repE0EEENS1_30default_config_static_selectorELNS0_4arch9wavefront6targetE0EEEvS12_.has_indirect_call, 0
	.section	.AMDGPU.csdata,"",@progbits
; Kernel info:
; codeLenInByte = 0
; TotalNumSgprs: 0
; NumVgprs: 0
; ScratchSize: 0
; MemoryBound: 0
; FloatMode: 240
; IeeeMode: 1
; LDSByteSize: 0 bytes/workgroup (compile time only)
; SGPRBlocks: 0
; VGPRBlocks: 0
; NumSGPRsForWavesPerEU: 1
; NumVGPRsForWavesPerEU: 1
; NamedBarCnt: 0
; Occupancy: 16
; WaveLimiterHint : 0
; COMPUTE_PGM_RSRC2:SCRATCH_EN: 0
; COMPUTE_PGM_RSRC2:USER_SGPR: 2
; COMPUTE_PGM_RSRC2:TRAP_HANDLER: 0
; COMPUTE_PGM_RSRC2:TGID_X_EN: 1
; COMPUTE_PGM_RSRC2:TGID_Y_EN: 0
; COMPUTE_PGM_RSRC2:TGID_Z_EN: 0
; COMPUTE_PGM_RSRC2:TIDIG_COMP_CNT: 0
	.section	.text._ZN7rocprim17ROCPRIM_400000_NS6detail17trampoline_kernelINS0_13select_configILj256ELj13ELNS0_17block_load_methodE3ELS4_3ELS4_3ELNS0_20block_scan_algorithmE0ELj4294967295EEENS1_25partition_config_selectorILNS1_17partition_subalgoE4EjNS0_10empty_typeEbEEZZNS1_14partition_implILS8_4ELb0ES6_15HIP_vector_typeIjLj2EENS0_17counting_iteratorIjlEEPS9_SG_NS0_5tupleIJPjSI_NS0_16reverse_iteratorISI_EEEEENSH_IJSG_SG_SG_EEES9_SI_JZNS1_25segmented_radix_sort_implINS0_14default_configELb1EPKhPhPKlPlN2at6native12_GLOBAL__N_18offset_tEEE10hipError_tPvRmT1_PNSt15iterator_traitsIS12_E10value_typeET2_T3_PNS13_IS18_E10value_typeET4_jRbjT5_S1E_jjP12ihipStream_tbEUljE_ZNSN_ISO_Lb1ESQ_SR_ST_SU_SY_EESZ_S10_S11_S12_S16_S17_S18_S1B_S1C_jS1D_jS1E_S1E_jjS1G_bEUljE0_EEESZ_S10_S11_S18_S1C_S1E_T6_T7_T9_mT8_S1G_bDpT10_ENKUlT_T0_E_clISt17integral_constantIbLb1EES1T_IbLb0EEEEDaS1P_S1Q_EUlS1P_E_NS1_11comp_targetILNS1_3genE8ELNS1_11target_archE1030ELNS1_3gpuE2ELNS1_3repE0EEENS1_30default_config_static_selectorELNS0_4arch9wavefront6targetE0EEEvS12_,"axG",@progbits,_ZN7rocprim17ROCPRIM_400000_NS6detail17trampoline_kernelINS0_13select_configILj256ELj13ELNS0_17block_load_methodE3ELS4_3ELS4_3ELNS0_20block_scan_algorithmE0ELj4294967295EEENS1_25partition_config_selectorILNS1_17partition_subalgoE4EjNS0_10empty_typeEbEEZZNS1_14partition_implILS8_4ELb0ES6_15HIP_vector_typeIjLj2EENS0_17counting_iteratorIjlEEPS9_SG_NS0_5tupleIJPjSI_NS0_16reverse_iteratorISI_EEEEENSH_IJSG_SG_SG_EEES9_SI_JZNS1_25segmented_radix_sort_implINS0_14default_configELb1EPKhPhPKlPlN2at6native12_GLOBAL__N_18offset_tEEE10hipError_tPvRmT1_PNSt15iterator_traitsIS12_E10value_typeET2_T3_PNS13_IS18_E10value_typeET4_jRbjT5_S1E_jjP12ihipStream_tbEUljE_ZNSN_ISO_Lb1ESQ_SR_ST_SU_SY_EESZ_S10_S11_S12_S16_S17_S18_S1B_S1C_jS1D_jS1E_S1E_jjS1G_bEUljE0_EEESZ_S10_S11_S18_S1C_S1E_T6_T7_T9_mT8_S1G_bDpT10_ENKUlT_T0_E_clISt17integral_constantIbLb1EES1T_IbLb0EEEEDaS1P_S1Q_EUlS1P_E_NS1_11comp_targetILNS1_3genE8ELNS1_11target_archE1030ELNS1_3gpuE2ELNS1_3repE0EEENS1_30default_config_static_selectorELNS0_4arch9wavefront6targetE0EEEvS12_,comdat
	.globl	_ZN7rocprim17ROCPRIM_400000_NS6detail17trampoline_kernelINS0_13select_configILj256ELj13ELNS0_17block_load_methodE3ELS4_3ELS4_3ELNS0_20block_scan_algorithmE0ELj4294967295EEENS1_25partition_config_selectorILNS1_17partition_subalgoE4EjNS0_10empty_typeEbEEZZNS1_14partition_implILS8_4ELb0ES6_15HIP_vector_typeIjLj2EENS0_17counting_iteratorIjlEEPS9_SG_NS0_5tupleIJPjSI_NS0_16reverse_iteratorISI_EEEEENSH_IJSG_SG_SG_EEES9_SI_JZNS1_25segmented_radix_sort_implINS0_14default_configELb1EPKhPhPKlPlN2at6native12_GLOBAL__N_18offset_tEEE10hipError_tPvRmT1_PNSt15iterator_traitsIS12_E10value_typeET2_T3_PNS13_IS18_E10value_typeET4_jRbjT5_S1E_jjP12ihipStream_tbEUljE_ZNSN_ISO_Lb1ESQ_SR_ST_SU_SY_EESZ_S10_S11_S12_S16_S17_S18_S1B_S1C_jS1D_jS1E_S1E_jjS1G_bEUljE0_EEESZ_S10_S11_S18_S1C_S1E_T6_T7_T9_mT8_S1G_bDpT10_ENKUlT_T0_E_clISt17integral_constantIbLb1EES1T_IbLb0EEEEDaS1P_S1Q_EUlS1P_E_NS1_11comp_targetILNS1_3genE8ELNS1_11target_archE1030ELNS1_3gpuE2ELNS1_3repE0EEENS1_30default_config_static_selectorELNS0_4arch9wavefront6targetE0EEEvS12_ ; -- Begin function _ZN7rocprim17ROCPRIM_400000_NS6detail17trampoline_kernelINS0_13select_configILj256ELj13ELNS0_17block_load_methodE3ELS4_3ELS4_3ELNS0_20block_scan_algorithmE0ELj4294967295EEENS1_25partition_config_selectorILNS1_17partition_subalgoE4EjNS0_10empty_typeEbEEZZNS1_14partition_implILS8_4ELb0ES6_15HIP_vector_typeIjLj2EENS0_17counting_iteratorIjlEEPS9_SG_NS0_5tupleIJPjSI_NS0_16reverse_iteratorISI_EEEEENSH_IJSG_SG_SG_EEES9_SI_JZNS1_25segmented_radix_sort_implINS0_14default_configELb1EPKhPhPKlPlN2at6native12_GLOBAL__N_18offset_tEEE10hipError_tPvRmT1_PNSt15iterator_traitsIS12_E10value_typeET2_T3_PNS13_IS18_E10value_typeET4_jRbjT5_S1E_jjP12ihipStream_tbEUljE_ZNSN_ISO_Lb1ESQ_SR_ST_SU_SY_EESZ_S10_S11_S12_S16_S17_S18_S1B_S1C_jS1D_jS1E_S1E_jjS1G_bEUljE0_EEESZ_S10_S11_S18_S1C_S1E_T6_T7_T9_mT8_S1G_bDpT10_ENKUlT_T0_E_clISt17integral_constantIbLb1EES1T_IbLb0EEEEDaS1P_S1Q_EUlS1P_E_NS1_11comp_targetILNS1_3genE8ELNS1_11target_archE1030ELNS1_3gpuE2ELNS1_3repE0EEENS1_30default_config_static_selectorELNS0_4arch9wavefront6targetE0EEEvS12_
	.p2align	8
	.type	_ZN7rocprim17ROCPRIM_400000_NS6detail17trampoline_kernelINS0_13select_configILj256ELj13ELNS0_17block_load_methodE3ELS4_3ELS4_3ELNS0_20block_scan_algorithmE0ELj4294967295EEENS1_25partition_config_selectorILNS1_17partition_subalgoE4EjNS0_10empty_typeEbEEZZNS1_14partition_implILS8_4ELb0ES6_15HIP_vector_typeIjLj2EENS0_17counting_iteratorIjlEEPS9_SG_NS0_5tupleIJPjSI_NS0_16reverse_iteratorISI_EEEEENSH_IJSG_SG_SG_EEES9_SI_JZNS1_25segmented_radix_sort_implINS0_14default_configELb1EPKhPhPKlPlN2at6native12_GLOBAL__N_18offset_tEEE10hipError_tPvRmT1_PNSt15iterator_traitsIS12_E10value_typeET2_T3_PNS13_IS18_E10value_typeET4_jRbjT5_S1E_jjP12ihipStream_tbEUljE_ZNSN_ISO_Lb1ESQ_SR_ST_SU_SY_EESZ_S10_S11_S12_S16_S17_S18_S1B_S1C_jS1D_jS1E_S1E_jjS1G_bEUljE0_EEESZ_S10_S11_S18_S1C_S1E_T6_T7_T9_mT8_S1G_bDpT10_ENKUlT_T0_E_clISt17integral_constantIbLb1EES1T_IbLb0EEEEDaS1P_S1Q_EUlS1P_E_NS1_11comp_targetILNS1_3genE8ELNS1_11target_archE1030ELNS1_3gpuE2ELNS1_3repE0EEENS1_30default_config_static_selectorELNS0_4arch9wavefront6targetE0EEEvS12_,@function
_ZN7rocprim17ROCPRIM_400000_NS6detail17trampoline_kernelINS0_13select_configILj256ELj13ELNS0_17block_load_methodE3ELS4_3ELS4_3ELNS0_20block_scan_algorithmE0ELj4294967295EEENS1_25partition_config_selectorILNS1_17partition_subalgoE4EjNS0_10empty_typeEbEEZZNS1_14partition_implILS8_4ELb0ES6_15HIP_vector_typeIjLj2EENS0_17counting_iteratorIjlEEPS9_SG_NS0_5tupleIJPjSI_NS0_16reverse_iteratorISI_EEEEENSH_IJSG_SG_SG_EEES9_SI_JZNS1_25segmented_radix_sort_implINS0_14default_configELb1EPKhPhPKlPlN2at6native12_GLOBAL__N_18offset_tEEE10hipError_tPvRmT1_PNSt15iterator_traitsIS12_E10value_typeET2_T3_PNS13_IS18_E10value_typeET4_jRbjT5_S1E_jjP12ihipStream_tbEUljE_ZNSN_ISO_Lb1ESQ_SR_ST_SU_SY_EESZ_S10_S11_S12_S16_S17_S18_S1B_S1C_jS1D_jS1E_S1E_jjS1G_bEUljE0_EEESZ_S10_S11_S18_S1C_S1E_T6_T7_T9_mT8_S1G_bDpT10_ENKUlT_T0_E_clISt17integral_constantIbLb1EES1T_IbLb0EEEEDaS1P_S1Q_EUlS1P_E_NS1_11comp_targetILNS1_3genE8ELNS1_11target_archE1030ELNS1_3gpuE2ELNS1_3repE0EEENS1_30default_config_static_selectorELNS0_4arch9wavefront6targetE0EEEvS12_: ; @_ZN7rocprim17ROCPRIM_400000_NS6detail17trampoline_kernelINS0_13select_configILj256ELj13ELNS0_17block_load_methodE3ELS4_3ELS4_3ELNS0_20block_scan_algorithmE0ELj4294967295EEENS1_25partition_config_selectorILNS1_17partition_subalgoE4EjNS0_10empty_typeEbEEZZNS1_14partition_implILS8_4ELb0ES6_15HIP_vector_typeIjLj2EENS0_17counting_iteratorIjlEEPS9_SG_NS0_5tupleIJPjSI_NS0_16reverse_iteratorISI_EEEEENSH_IJSG_SG_SG_EEES9_SI_JZNS1_25segmented_radix_sort_implINS0_14default_configELb1EPKhPhPKlPlN2at6native12_GLOBAL__N_18offset_tEEE10hipError_tPvRmT1_PNSt15iterator_traitsIS12_E10value_typeET2_T3_PNS13_IS18_E10value_typeET4_jRbjT5_S1E_jjP12ihipStream_tbEUljE_ZNSN_ISO_Lb1ESQ_SR_ST_SU_SY_EESZ_S10_S11_S12_S16_S17_S18_S1B_S1C_jS1D_jS1E_S1E_jjS1G_bEUljE0_EEESZ_S10_S11_S18_S1C_S1E_T6_T7_T9_mT8_S1G_bDpT10_ENKUlT_T0_E_clISt17integral_constantIbLb1EES1T_IbLb0EEEEDaS1P_S1Q_EUlS1P_E_NS1_11comp_targetILNS1_3genE8ELNS1_11target_archE1030ELNS1_3gpuE2ELNS1_3repE0EEENS1_30default_config_static_selectorELNS0_4arch9wavefront6targetE0EEEvS12_
; %bb.0:
	.section	.rodata,"a",@progbits
	.p2align	6, 0x0
	.amdhsa_kernel _ZN7rocprim17ROCPRIM_400000_NS6detail17trampoline_kernelINS0_13select_configILj256ELj13ELNS0_17block_load_methodE3ELS4_3ELS4_3ELNS0_20block_scan_algorithmE0ELj4294967295EEENS1_25partition_config_selectorILNS1_17partition_subalgoE4EjNS0_10empty_typeEbEEZZNS1_14partition_implILS8_4ELb0ES6_15HIP_vector_typeIjLj2EENS0_17counting_iteratorIjlEEPS9_SG_NS0_5tupleIJPjSI_NS0_16reverse_iteratorISI_EEEEENSH_IJSG_SG_SG_EEES9_SI_JZNS1_25segmented_radix_sort_implINS0_14default_configELb1EPKhPhPKlPlN2at6native12_GLOBAL__N_18offset_tEEE10hipError_tPvRmT1_PNSt15iterator_traitsIS12_E10value_typeET2_T3_PNS13_IS18_E10value_typeET4_jRbjT5_S1E_jjP12ihipStream_tbEUljE_ZNSN_ISO_Lb1ESQ_SR_ST_SU_SY_EESZ_S10_S11_S12_S16_S17_S18_S1B_S1C_jS1D_jS1E_S1E_jjS1G_bEUljE0_EEESZ_S10_S11_S18_S1C_S1E_T6_T7_T9_mT8_S1G_bDpT10_ENKUlT_T0_E_clISt17integral_constantIbLb1EES1T_IbLb0EEEEDaS1P_S1Q_EUlS1P_E_NS1_11comp_targetILNS1_3genE8ELNS1_11target_archE1030ELNS1_3gpuE2ELNS1_3repE0EEENS1_30default_config_static_selectorELNS0_4arch9wavefront6targetE0EEEvS12_
		.amdhsa_group_segment_fixed_size 0
		.amdhsa_private_segment_fixed_size 0
		.amdhsa_kernarg_size 176
		.amdhsa_user_sgpr_count 2
		.amdhsa_user_sgpr_dispatch_ptr 0
		.amdhsa_user_sgpr_queue_ptr 0
		.amdhsa_user_sgpr_kernarg_segment_ptr 1
		.amdhsa_user_sgpr_dispatch_id 0
		.amdhsa_user_sgpr_kernarg_preload_length 0
		.amdhsa_user_sgpr_kernarg_preload_offset 0
		.amdhsa_user_sgpr_private_segment_size 0
		.amdhsa_wavefront_size32 1
		.amdhsa_uses_dynamic_stack 0
		.amdhsa_enable_private_segment 0
		.amdhsa_system_sgpr_workgroup_id_x 1
		.amdhsa_system_sgpr_workgroup_id_y 0
		.amdhsa_system_sgpr_workgroup_id_z 0
		.amdhsa_system_sgpr_workgroup_info 0
		.amdhsa_system_vgpr_workitem_id 0
		.amdhsa_next_free_vgpr 1
		.amdhsa_next_free_sgpr 1
		.amdhsa_named_barrier_count 0
		.amdhsa_reserve_vcc 0
		.amdhsa_float_round_mode_32 0
		.amdhsa_float_round_mode_16_64 0
		.amdhsa_float_denorm_mode_32 3
		.amdhsa_float_denorm_mode_16_64 3
		.amdhsa_fp16_overflow 0
		.amdhsa_memory_ordered 1
		.amdhsa_forward_progress 1
		.amdhsa_inst_pref_size 0
		.amdhsa_round_robin_scheduling 0
		.amdhsa_exception_fp_ieee_invalid_op 0
		.amdhsa_exception_fp_denorm_src 0
		.amdhsa_exception_fp_ieee_div_zero 0
		.amdhsa_exception_fp_ieee_overflow 0
		.amdhsa_exception_fp_ieee_underflow 0
		.amdhsa_exception_fp_ieee_inexact 0
		.amdhsa_exception_int_div_zero 0
	.end_amdhsa_kernel
	.section	.text._ZN7rocprim17ROCPRIM_400000_NS6detail17trampoline_kernelINS0_13select_configILj256ELj13ELNS0_17block_load_methodE3ELS4_3ELS4_3ELNS0_20block_scan_algorithmE0ELj4294967295EEENS1_25partition_config_selectorILNS1_17partition_subalgoE4EjNS0_10empty_typeEbEEZZNS1_14partition_implILS8_4ELb0ES6_15HIP_vector_typeIjLj2EENS0_17counting_iteratorIjlEEPS9_SG_NS0_5tupleIJPjSI_NS0_16reverse_iteratorISI_EEEEENSH_IJSG_SG_SG_EEES9_SI_JZNS1_25segmented_radix_sort_implINS0_14default_configELb1EPKhPhPKlPlN2at6native12_GLOBAL__N_18offset_tEEE10hipError_tPvRmT1_PNSt15iterator_traitsIS12_E10value_typeET2_T3_PNS13_IS18_E10value_typeET4_jRbjT5_S1E_jjP12ihipStream_tbEUljE_ZNSN_ISO_Lb1ESQ_SR_ST_SU_SY_EESZ_S10_S11_S12_S16_S17_S18_S1B_S1C_jS1D_jS1E_S1E_jjS1G_bEUljE0_EEESZ_S10_S11_S18_S1C_S1E_T6_T7_T9_mT8_S1G_bDpT10_ENKUlT_T0_E_clISt17integral_constantIbLb1EES1T_IbLb0EEEEDaS1P_S1Q_EUlS1P_E_NS1_11comp_targetILNS1_3genE8ELNS1_11target_archE1030ELNS1_3gpuE2ELNS1_3repE0EEENS1_30default_config_static_selectorELNS0_4arch9wavefront6targetE0EEEvS12_,"axG",@progbits,_ZN7rocprim17ROCPRIM_400000_NS6detail17trampoline_kernelINS0_13select_configILj256ELj13ELNS0_17block_load_methodE3ELS4_3ELS4_3ELNS0_20block_scan_algorithmE0ELj4294967295EEENS1_25partition_config_selectorILNS1_17partition_subalgoE4EjNS0_10empty_typeEbEEZZNS1_14partition_implILS8_4ELb0ES6_15HIP_vector_typeIjLj2EENS0_17counting_iteratorIjlEEPS9_SG_NS0_5tupleIJPjSI_NS0_16reverse_iteratorISI_EEEEENSH_IJSG_SG_SG_EEES9_SI_JZNS1_25segmented_radix_sort_implINS0_14default_configELb1EPKhPhPKlPlN2at6native12_GLOBAL__N_18offset_tEEE10hipError_tPvRmT1_PNSt15iterator_traitsIS12_E10value_typeET2_T3_PNS13_IS18_E10value_typeET4_jRbjT5_S1E_jjP12ihipStream_tbEUljE_ZNSN_ISO_Lb1ESQ_SR_ST_SU_SY_EESZ_S10_S11_S12_S16_S17_S18_S1B_S1C_jS1D_jS1E_S1E_jjS1G_bEUljE0_EEESZ_S10_S11_S18_S1C_S1E_T6_T7_T9_mT8_S1G_bDpT10_ENKUlT_T0_E_clISt17integral_constantIbLb1EES1T_IbLb0EEEEDaS1P_S1Q_EUlS1P_E_NS1_11comp_targetILNS1_3genE8ELNS1_11target_archE1030ELNS1_3gpuE2ELNS1_3repE0EEENS1_30default_config_static_selectorELNS0_4arch9wavefront6targetE0EEEvS12_,comdat
.Lfunc_end37:
	.size	_ZN7rocprim17ROCPRIM_400000_NS6detail17trampoline_kernelINS0_13select_configILj256ELj13ELNS0_17block_load_methodE3ELS4_3ELS4_3ELNS0_20block_scan_algorithmE0ELj4294967295EEENS1_25partition_config_selectorILNS1_17partition_subalgoE4EjNS0_10empty_typeEbEEZZNS1_14partition_implILS8_4ELb0ES6_15HIP_vector_typeIjLj2EENS0_17counting_iteratorIjlEEPS9_SG_NS0_5tupleIJPjSI_NS0_16reverse_iteratorISI_EEEEENSH_IJSG_SG_SG_EEES9_SI_JZNS1_25segmented_radix_sort_implINS0_14default_configELb1EPKhPhPKlPlN2at6native12_GLOBAL__N_18offset_tEEE10hipError_tPvRmT1_PNSt15iterator_traitsIS12_E10value_typeET2_T3_PNS13_IS18_E10value_typeET4_jRbjT5_S1E_jjP12ihipStream_tbEUljE_ZNSN_ISO_Lb1ESQ_SR_ST_SU_SY_EESZ_S10_S11_S12_S16_S17_S18_S1B_S1C_jS1D_jS1E_S1E_jjS1G_bEUljE0_EEESZ_S10_S11_S18_S1C_S1E_T6_T7_T9_mT8_S1G_bDpT10_ENKUlT_T0_E_clISt17integral_constantIbLb1EES1T_IbLb0EEEEDaS1P_S1Q_EUlS1P_E_NS1_11comp_targetILNS1_3genE8ELNS1_11target_archE1030ELNS1_3gpuE2ELNS1_3repE0EEENS1_30default_config_static_selectorELNS0_4arch9wavefront6targetE0EEEvS12_, .Lfunc_end37-_ZN7rocprim17ROCPRIM_400000_NS6detail17trampoline_kernelINS0_13select_configILj256ELj13ELNS0_17block_load_methodE3ELS4_3ELS4_3ELNS0_20block_scan_algorithmE0ELj4294967295EEENS1_25partition_config_selectorILNS1_17partition_subalgoE4EjNS0_10empty_typeEbEEZZNS1_14partition_implILS8_4ELb0ES6_15HIP_vector_typeIjLj2EENS0_17counting_iteratorIjlEEPS9_SG_NS0_5tupleIJPjSI_NS0_16reverse_iteratorISI_EEEEENSH_IJSG_SG_SG_EEES9_SI_JZNS1_25segmented_radix_sort_implINS0_14default_configELb1EPKhPhPKlPlN2at6native12_GLOBAL__N_18offset_tEEE10hipError_tPvRmT1_PNSt15iterator_traitsIS12_E10value_typeET2_T3_PNS13_IS18_E10value_typeET4_jRbjT5_S1E_jjP12ihipStream_tbEUljE_ZNSN_ISO_Lb1ESQ_SR_ST_SU_SY_EESZ_S10_S11_S12_S16_S17_S18_S1B_S1C_jS1D_jS1E_S1E_jjS1G_bEUljE0_EEESZ_S10_S11_S18_S1C_S1E_T6_T7_T9_mT8_S1G_bDpT10_ENKUlT_T0_E_clISt17integral_constantIbLb1EES1T_IbLb0EEEEDaS1P_S1Q_EUlS1P_E_NS1_11comp_targetILNS1_3genE8ELNS1_11target_archE1030ELNS1_3gpuE2ELNS1_3repE0EEENS1_30default_config_static_selectorELNS0_4arch9wavefront6targetE0EEEvS12_
                                        ; -- End function
	.set _ZN7rocprim17ROCPRIM_400000_NS6detail17trampoline_kernelINS0_13select_configILj256ELj13ELNS0_17block_load_methodE3ELS4_3ELS4_3ELNS0_20block_scan_algorithmE0ELj4294967295EEENS1_25partition_config_selectorILNS1_17partition_subalgoE4EjNS0_10empty_typeEbEEZZNS1_14partition_implILS8_4ELb0ES6_15HIP_vector_typeIjLj2EENS0_17counting_iteratorIjlEEPS9_SG_NS0_5tupleIJPjSI_NS0_16reverse_iteratorISI_EEEEENSH_IJSG_SG_SG_EEES9_SI_JZNS1_25segmented_radix_sort_implINS0_14default_configELb1EPKhPhPKlPlN2at6native12_GLOBAL__N_18offset_tEEE10hipError_tPvRmT1_PNSt15iterator_traitsIS12_E10value_typeET2_T3_PNS13_IS18_E10value_typeET4_jRbjT5_S1E_jjP12ihipStream_tbEUljE_ZNSN_ISO_Lb1ESQ_SR_ST_SU_SY_EESZ_S10_S11_S12_S16_S17_S18_S1B_S1C_jS1D_jS1E_S1E_jjS1G_bEUljE0_EEESZ_S10_S11_S18_S1C_S1E_T6_T7_T9_mT8_S1G_bDpT10_ENKUlT_T0_E_clISt17integral_constantIbLb1EES1T_IbLb0EEEEDaS1P_S1Q_EUlS1P_E_NS1_11comp_targetILNS1_3genE8ELNS1_11target_archE1030ELNS1_3gpuE2ELNS1_3repE0EEENS1_30default_config_static_selectorELNS0_4arch9wavefront6targetE0EEEvS12_.num_vgpr, 0
	.set _ZN7rocprim17ROCPRIM_400000_NS6detail17trampoline_kernelINS0_13select_configILj256ELj13ELNS0_17block_load_methodE3ELS4_3ELS4_3ELNS0_20block_scan_algorithmE0ELj4294967295EEENS1_25partition_config_selectorILNS1_17partition_subalgoE4EjNS0_10empty_typeEbEEZZNS1_14partition_implILS8_4ELb0ES6_15HIP_vector_typeIjLj2EENS0_17counting_iteratorIjlEEPS9_SG_NS0_5tupleIJPjSI_NS0_16reverse_iteratorISI_EEEEENSH_IJSG_SG_SG_EEES9_SI_JZNS1_25segmented_radix_sort_implINS0_14default_configELb1EPKhPhPKlPlN2at6native12_GLOBAL__N_18offset_tEEE10hipError_tPvRmT1_PNSt15iterator_traitsIS12_E10value_typeET2_T3_PNS13_IS18_E10value_typeET4_jRbjT5_S1E_jjP12ihipStream_tbEUljE_ZNSN_ISO_Lb1ESQ_SR_ST_SU_SY_EESZ_S10_S11_S12_S16_S17_S18_S1B_S1C_jS1D_jS1E_S1E_jjS1G_bEUljE0_EEESZ_S10_S11_S18_S1C_S1E_T6_T7_T9_mT8_S1G_bDpT10_ENKUlT_T0_E_clISt17integral_constantIbLb1EES1T_IbLb0EEEEDaS1P_S1Q_EUlS1P_E_NS1_11comp_targetILNS1_3genE8ELNS1_11target_archE1030ELNS1_3gpuE2ELNS1_3repE0EEENS1_30default_config_static_selectorELNS0_4arch9wavefront6targetE0EEEvS12_.num_agpr, 0
	.set _ZN7rocprim17ROCPRIM_400000_NS6detail17trampoline_kernelINS0_13select_configILj256ELj13ELNS0_17block_load_methodE3ELS4_3ELS4_3ELNS0_20block_scan_algorithmE0ELj4294967295EEENS1_25partition_config_selectorILNS1_17partition_subalgoE4EjNS0_10empty_typeEbEEZZNS1_14partition_implILS8_4ELb0ES6_15HIP_vector_typeIjLj2EENS0_17counting_iteratorIjlEEPS9_SG_NS0_5tupleIJPjSI_NS0_16reverse_iteratorISI_EEEEENSH_IJSG_SG_SG_EEES9_SI_JZNS1_25segmented_radix_sort_implINS0_14default_configELb1EPKhPhPKlPlN2at6native12_GLOBAL__N_18offset_tEEE10hipError_tPvRmT1_PNSt15iterator_traitsIS12_E10value_typeET2_T3_PNS13_IS18_E10value_typeET4_jRbjT5_S1E_jjP12ihipStream_tbEUljE_ZNSN_ISO_Lb1ESQ_SR_ST_SU_SY_EESZ_S10_S11_S12_S16_S17_S18_S1B_S1C_jS1D_jS1E_S1E_jjS1G_bEUljE0_EEESZ_S10_S11_S18_S1C_S1E_T6_T7_T9_mT8_S1G_bDpT10_ENKUlT_T0_E_clISt17integral_constantIbLb1EES1T_IbLb0EEEEDaS1P_S1Q_EUlS1P_E_NS1_11comp_targetILNS1_3genE8ELNS1_11target_archE1030ELNS1_3gpuE2ELNS1_3repE0EEENS1_30default_config_static_selectorELNS0_4arch9wavefront6targetE0EEEvS12_.numbered_sgpr, 0
	.set _ZN7rocprim17ROCPRIM_400000_NS6detail17trampoline_kernelINS0_13select_configILj256ELj13ELNS0_17block_load_methodE3ELS4_3ELS4_3ELNS0_20block_scan_algorithmE0ELj4294967295EEENS1_25partition_config_selectorILNS1_17partition_subalgoE4EjNS0_10empty_typeEbEEZZNS1_14partition_implILS8_4ELb0ES6_15HIP_vector_typeIjLj2EENS0_17counting_iteratorIjlEEPS9_SG_NS0_5tupleIJPjSI_NS0_16reverse_iteratorISI_EEEEENSH_IJSG_SG_SG_EEES9_SI_JZNS1_25segmented_radix_sort_implINS0_14default_configELb1EPKhPhPKlPlN2at6native12_GLOBAL__N_18offset_tEEE10hipError_tPvRmT1_PNSt15iterator_traitsIS12_E10value_typeET2_T3_PNS13_IS18_E10value_typeET4_jRbjT5_S1E_jjP12ihipStream_tbEUljE_ZNSN_ISO_Lb1ESQ_SR_ST_SU_SY_EESZ_S10_S11_S12_S16_S17_S18_S1B_S1C_jS1D_jS1E_S1E_jjS1G_bEUljE0_EEESZ_S10_S11_S18_S1C_S1E_T6_T7_T9_mT8_S1G_bDpT10_ENKUlT_T0_E_clISt17integral_constantIbLb1EES1T_IbLb0EEEEDaS1P_S1Q_EUlS1P_E_NS1_11comp_targetILNS1_3genE8ELNS1_11target_archE1030ELNS1_3gpuE2ELNS1_3repE0EEENS1_30default_config_static_selectorELNS0_4arch9wavefront6targetE0EEEvS12_.num_named_barrier, 0
	.set _ZN7rocprim17ROCPRIM_400000_NS6detail17trampoline_kernelINS0_13select_configILj256ELj13ELNS0_17block_load_methodE3ELS4_3ELS4_3ELNS0_20block_scan_algorithmE0ELj4294967295EEENS1_25partition_config_selectorILNS1_17partition_subalgoE4EjNS0_10empty_typeEbEEZZNS1_14partition_implILS8_4ELb0ES6_15HIP_vector_typeIjLj2EENS0_17counting_iteratorIjlEEPS9_SG_NS0_5tupleIJPjSI_NS0_16reverse_iteratorISI_EEEEENSH_IJSG_SG_SG_EEES9_SI_JZNS1_25segmented_radix_sort_implINS0_14default_configELb1EPKhPhPKlPlN2at6native12_GLOBAL__N_18offset_tEEE10hipError_tPvRmT1_PNSt15iterator_traitsIS12_E10value_typeET2_T3_PNS13_IS18_E10value_typeET4_jRbjT5_S1E_jjP12ihipStream_tbEUljE_ZNSN_ISO_Lb1ESQ_SR_ST_SU_SY_EESZ_S10_S11_S12_S16_S17_S18_S1B_S1C_jS1D_jS1E_S1E_jjS1G_bEUljE0_EEESZ_S10_S11_S18_S1C_S1E_T6_T7_T9_mT8_S1G_bDpT10_ENKUlT_T0_E_clISt17integral_constantIbLb1EES1T_IbLb0EEEEDaS1P_S1Q_EUlS1P_E_NS1_11comp_targetILNS1_3genE8ELNS1_11target_archE1030ELNS1_3gpuE2ELNS1_3repE0EEENS1_30default_config_static_selectorELNS0_4arch9wavefront6targetE0EEEvS12_.private_seg_size, 0
	.set _ZN7rocprim17ROCPRIM_400000_NS6detail17trampoline_kernelINS0_13select_configILj256ELj13ELNS0_17block_load_methodE3ELS4_3ELS4_3ELNS0_20block_scan_algorithmE0ELj4294967295EEENS1_25partition_config_selectorILNS1_17partition_subalgoE4EjNS0_10empty_typeEbEEZZNS1_14partition_implILS8_4ELb0ES6_15HIP_vector_typeIjLj2EENS0_17counting_iteratorIjlEEPS9_SG_NS0_5tupleIJPjSI_NS0_16reverse_iteratorISI_EEEEENSH_IJSG_SG_SG_EEES9_SI_JZNS1_25segmented_radix_sort_implINS0_14default_configELb1EPKhPhPKlPlN2at6native12_GLOBAL__N_18offset_tEEE10hipError_tPvRmT1_PNSt15iterator_traitsIS12_E10value_typeET2_T3_PNS13_IS18_E10value_typeET4_jRbjT5_S1E_jjP12ihipStream_tbEUljE_ZNSN_ISO_Lb1ESQ_SR_ST_SU_SY_EESZ_S10_S11_S12_S16_S17_S18_S1B_S1C_jS1D_jS1E_S1E_jjS1G_bEUljE0_EEESZ_S10_S11_S18_S1C_S1E_T6_T7_T9_mT8_S1G_bDpT10_ENKUlT_T0_E_clISt17integral_constantIbLb1EES1T_IbLb0EEEEDaS1P_S1Q_EUlS1P_E_NS1_11comp_targetILNS1_3genE8ELNS1_11target_archE1030ELNS1_3gpuE2ELNS1_3repE0EEENS1_30default_config_static_selectorELNS0_4arch9wavefront6targetE0EEEvS12_.uses_vcc, 0
	.set _ZN7rocprim17ROCPRIM_400000_NS6detail17trampoline_kernelINS0_13select_configILj256ELj13ELNS0_17block_load_methodE3ELS4_3ELS4_3ELNS0_20block_scan_algorithmE0ELj4294967295EEENS1_25partition_config_selectorILNS1_17partition_subalgoE4EjNS0_10empty_typeEbEEZZNS1_14partition_implILS8_4ELb0ES6_15HIP_vector_typeIjLj2EENS0_17counting_iteratorIjlEEPS9_SG_NS0_5tupleIJPjSI_NS0_16reverse_iteratorISI_EEEEENSH_IJSG_SG_SG_EEES9_SI_JZNS1_25segmented_radix_sort_implINS0_14default_configELb1EPKhPhPKlPlN2at6native12_GLOBAL__N_18offset_tEEE10hipError_tPvRmT1_PNSt15iterator_traitsIS12_E10value_typeET2_T3_PNS13_IS18_E10value_typeET4_jRbjT5_S1E_jjP12ihipStream_tbEUljE_ZNSN_ISO_Lb1ESQ_SR_ST_SU_SY_EESZ_S10_S11_S12_S16_S17_S18_S1B_S1C_jS1D_jS1E_S1E_jjS1G_bEUljE0_EEESZ_S10_S11_S18_S1C_S1E_T6_T7_T9_mT8_S1G_bDpT10_ENKUlT_T0_E_clISt17integral_constantIbLb1EES1T_IbLb0EEEEDaS1P_S1Q_EUlS1P_E_NS1_11comp_targetILNS1_3genE8ELNS1_11target_archE1030ELNS1_3gpuE2ELNS1_3repE0EEENS1_30default_config_static_selectorELNS0_4arch9wavefront6targetE0EEEvS12_.uses_flat_scratch, 0
	.set _ZN7rocprim17ROCPRIM_400000_NS6detail17trampoline_kernelINS0_13select_configILj256ELj13ELNS0_17block_load_methodE3ELS4_3ELS4_3ELNS0_20block_scan_algorithmE0ELj4294967295EEENS1_25partition_config_selectorILNS1_17partition_subalgoE4EjNS0_10empty_typeEbEEZZNS1_14partition_implILS8_4ELb0ES6_15HIP_vector_typeIjLj2EENS0_17counting_iteratorIjlEEPS9_SG_NS0_5tupleIJPjSI_NS0_16reverse_iteratorISI_EEEEENSH_IJSG_SG_SG_EEES9_SI_JZNS1_25segmented_radix_sort_implINS0_14default_configELb1EPKhPhPKlPlN2at6native12_GLOBAL__N_18offset_tEEE10hipError_tPvRmT1_PNSt15iterator_traitsIS12_E10value_typeET2_T3_PNS13_IS18_E10value_typeET4_jRbjT5_S1E_jjP12ihipStream_tbEUljE_ZNSN_ISO_Lb1ESQ_SR_ST_SU_SY_EESZ_S10_S11_S12_S16_S17_S18_S1B_S1C_jS1D_jS1E_S1E_jjS1G_bEUljE0_EEESZ_S10_S11_S18_S1C_S1E_T6_T7_T9_mT8_S1G_bDpT10_ENKUlT_T0_E_clISt17integral_constantIbLb1EES1T_IbLb0EEEEDaS1P_S1Q_EUlS1P_E_NS1_11comp_targetILNS1_3genE8ELNS1_11target_archE1030ELNS1_3gpuE2ELNS1_3repE0EEENS1_30default_config_static_selectorELNS0_4arch9wavefront6targetE0EEEvS12_.has_dyn_sized_stack, 0
	.set _ZN7rocprim17ROCPRIM_400000_NS6detail17trampoline_kernelINS0_13select_configILj256ELj13ELNS0_17block_load_methodE3ELS4_3ELS4_3ELNS0_20block_scan_algorithmE0ELj4294967295EEENS1_25partition_config_selectorILNS1_17partition_subalgoE4EjNS0_10empty_typeEbEEZZNS1_14partition_implILS8_4ELb0ES6_15HIP_vector_typeIjLj2EENS0_17counting_iteratorIjlEEPS9_SG_NS0_5tupleIJPjSI_NS0_16reverse_iteratorISI_EEEEENSH_IJSG_SG_SG_EEES9_SI_JZNS1_25segmented_radix_sort_implINS0_14default_configELb1EPKhPhPKlPlN2at6native12_GLOBAL__N_18offset_tEEE10hipError_tPvRmT1_PNSt15iterator_traitsIS12_E10value_typeET2_T3_PNS13_IS18_E10value_typeET4_jRbjT5_S1E_jjP12ihipStream_tbEUljE_ZNSN_ISO_Lb1ESQ_SR_ST_SU_SY_EESZ_S10_S11_S12_S16_S17_S18_S1B_S1C_jS1D_jS1E_S1E_jjS1G_bEUljE0_EEESZ_S10_S11_S18_S1C_S1E_T6_T7_T9_mT8_S1G_bDpT10_ENKUlT_T0_E_clISt17integral_constantIbLb1EES1T_IbLb0EEEEDaS1P_S1Q_EUlS1P_E_NS1_11comp_targetILNS1_3genE8ELNS1_11target_archE1030ELNS1_3gpuE2ELNS1_3repE0EEENS1_30default_config_static_selectorELNS0_4arch9wavefront6targetE0EEEvS12_.has_recursion, 0
	.set _ZN7rocprim17ROCPRIM_400000_NS6detail17trampoline_kernelINS0_13select_configILj256ELj13ELNS0_17block_load_methodE3ELS4_3ELS4_3ELNS0_20block_scan_algorithmE0ELj4294967295EEENS1_25partition_config_selectorILNS1_17partition_subalgoE4EjNS0_10empty_typeEbEEZZNS1_14partition_implILS8_4ELb0ES6_15HIP_vector_typeIjLj2EENS0_17counting_iteratorIjlEEPS9_SG_NS0_5tupleIJPjSI_NS0_16reverse_iteratorISI_EEEEENSH_IJSG_SG_SG_EEES9_SI_JZNS1_25segmented_radix_sort_implINS0_14default_configELb1EPKhPhPKlPlN2at6native12_GLOBAL__N_18offset_tEEE10hipError_tPvRmT1_PNSt15iterator_traitsIS12_E10value_typeET2_T3_PNS13_IS18_E10value_typeET4_jRbjT5_S1E_jjP12ihipStream_tbEUljE_ZNSN_ISO_Lb1ESQ_SR_ST_SU_SY_EESZ_S10_S11_S12_S16_S17_S18_S1B_S1C_jS1D_jS1E_S1E_jjS1G_bEUljE0_EEESZ_S10_S11_S18_S1C_S1E_T6_T7_T9_mT8_S1G_bDpT10_ENKUlT_T0_E_clISt17integral_constantIbLb1EES1T_IbLb0EEEEDaS1P_S1Q_EUlS1P_E_NS1_11comp_targetILNS1_3genE8ELNS1_11target_archE1030ELNS1_3gpuE2ELNS1_3repE0EEENS1_30default_config_static_selectorELNS0_4arch9wavefront6targetE0EEEvS12_.has_indirect_call, 0
	.section	.AMDGPU.csdata,"",@progbits
; Kernel info:
; codeLenInByte = 0
; TotalNumSgprs: 0
; NumVgprs: 0
; ScratchSize: 0
; MemoryBound: 0
; FloatMode: 240
; IeeeMode: 1
; LDSByteSize: 0 bytes/workgroup (compile time only)
; SGPRBlocks: 0
; VGPRBlocks: 0
; NumSGPRsForWavesPerEU: 1
; NumVGPRsForWavesPerEU: 1
; NamedBarCnt: 0
; Occupancy: 16
; WaveLimiterHint : 0
; COMPUTE_PGM_RSRC2:SCRATCH_EN: 0
; COMPUTE_PGM_RSRC2:USER_SGPR: 2
; COMPUTE_PGM_RSRC2:TRAP_HANDLER: 0
; COMPUTE_PGM_RSRC2:TGID_X_EN: 1
; COMPUTE_PGM_RSRC2:TGID_Y_EN: 0
; COMPUTE_PGM_RSRC2:TGID_Z_EN: 0
; COMPUTE_PGM_RSRC2:TIDIG_COMP_CNT: 0
	.section	.text._ZN7rocprim17ROCPRIM_400000_NS6detail31init_lookback_scan_state_kernelINS1_19lookback_scan_stateI15HIP_vector_typeIjLj2EELb0ELb1EEENS1_16block_id_wrapperIjLb1EEEEEvT_jT0_jPNS9_10value_typeE,"axG",@progbits,_ZN7rocprim17ROCPRIM_400000_NS6detail31init_lookback_scan_state_kernelINS1_19lookback_scan_stateI15HIP_vector_typeIjLj2EELb0ELb1EEENS1_16block_id_wrapperIjLb1EEEEEvT_jT0_jPNS9_10value_typeE,comdat
	.protected	_ZN7rocprim17ROCPRIM_400000_NS6detail31init_lookback_scan_state_kernelINS1_19lookback_scan_stateI15HIP_vector_typeIjLj2EELb0ELb1EEENS1_16block_id_wrapperIjLb1EEEEEvT_jT0_jPNS9_10value_typeE ; -- Begin function _ZN7rocprim17ROCPRIM_400000_NS6detail31init_lookback_scan_state_kernelINS1_19lookback_scan_stateI15HIP_vector_typeIjLj2EELb0ELb1EEENS1_16block_id_wrapperIjLb1EEEEEvT_jT0_jPNS9_10value_typeE
	.globl	_ZN7rocprim17ROCPRIM_400000_NS6detail31init_lookback_scan_state_kernelINS1_19lookback_scan_stateI15HIP_vector_typeIjLj2EELb0ELb1EEENS1_16block_id_wrapperIjLb1EEEEEvT_jT0_jPNS9_10value_typeE
	.p2align	8
	.type	_ZN7rocprim17ROCPRIM_400000_NS6detail31init_lookback_scan_state_kernelINS1_19lookback_scan_stateI15HIP_vector_typeIjLj2EELb0ELb1EEENS1_16block_id_wrapperIjLb1EEEEEvT_jT0_jPNS9_10value_typeE,@function
_ZN7rocprim17ROCPRIM_400000_NS6detail31init_lookback_scan_state_kernelINS1_19lookback_scan_stateI15HIP_vector_typeIjLj2EELb0ELb1EEENS1_16block_id_wrapperIjLb1EEEEEvT_jT0_jPNS9_10value_typeE: ; @_ZN7rocprim17ROCPRIM_400000_NS6detail31init_lookback_scan_state_kernelINS1_19lookback_scan_stateI15HIP_vector_typeIjLj2EELb0ELb1EEENS1_16block_id_wrapperIjLb1EEEEEvT_jT0_jPNS9_10value_typeE
; %bb.0:
	s_clause 0x2
	s_load_b32 s7, s[0:1], 0x34
	s_load_b96 s[4:6], s[0:1], 0x0
	s_load_b64 s[2:3], s[0:1], 0x20
	s_bfe_u32 s8, ttmp6, 0x4000c
	s_and_b32 s9, ttmp6, 15
	s_add_co_i32 s8, s8, 1
	s_getreg_b32 s10, hwreg(HW_REG_IB_STS2, 6, 4)
	s_mul_i32 s8, ttmp9, s8
	s_delay_alu instid0(SALU_CYCLE_1)
	s_add_co_i32 s9, s9, s8
	s_wait_kmcnt 0x0
	s_and_b32 s7, s7, 0xffff
	s_cmp_eq_u32 s10, 0
	s_cselect_b32 s8, ttmp9, s9
	s_cmp_eq_u64 s[2:3], 0
	v_mad_u32 v8, s8, s7, v0
	s_cbranch_scc1 .LBB38_8
; %bb.1:
	s_load_b32 s8, s[0:1], 0x18
	s_wait_kmcnt 0x0
	s_cmp_lt_u32 s8, s6
	s_cselect_b32 s7, s8, 0
	s_delay_alu instid0(VALU_DEP_1) | instid1(SALU_CYCLE_1)
	v_cmp_eq_u32_e32 vcc_lo, s7, v8
	s_and_saveexec_b32 s7, vcc_lo
	s_cbranch_execz .LBB38_7
; %bb.2:
	s_add_co_i32 s8, s8, 32
	s_mov_b32 s9, 0
	v_mov_b32_e32 v5, 0
	s_lshl_b64 s[10:11], s[8:9], 4
	s_mov_b32 s8, exec_lo
	s_add_nc_u64 s[10:11], s[4:5], s[10:11]
	s_delay_alu instid0(SALU_CYCLE_1) | instskip(SKIP_2) | instid1(VALU_DEP_1)
	v_mov_b64_e32 v[0:1], s[10:11]
	;;#ASMSTART
	global_load_b128 v[0:3], v[0:1] off scope:SCOPE_DEV	
s_wait_loadcnt 0x0
	;;#ASMEND
	v_and_b32_e32 v4, 0xff, v2
	v_cmpx_eq_u64_e32 0, v[4:5]
	s_cbranch_execz .LBB38_6
; %bb.3:
	v_mov_b64_e32 v[6:7], s[10:11]
.LBB38_4:                               ; =>This Inner Loop Header: Depth=1
	;;#ASMSTART
	global_load_b128 v[0:3], v[6:7] off scope:SCOPE_DEV	
s_wait_loadcnt 0x0
	;;#ASMEND
	v_and_b32_e32 v4, 0xff, v2
	s_delay_alu instid0(VALU_DEP_1) | instskip(SKIP_1) | instid1(SALU_CYCLE_1)
	v_cmp_ne_u64_e32 vcc_lo, 0, v[4:5]
	s_or_b32 s9, vcc_lo, s9
	s_and_not1_b32 exec_lo, exec_lo, s9
	s_cbranch_execnz .LBB38_4
; %bb.5:
	s_or_b32 exec_lo, exec_lo, s9
.LBB38_6:
	s_delay_alu instid0(SALU_CYCLE_1)
	s_or_b32 exec_lo, exec_lo, s8
	v_mov_b32_e32 v2, 0
	global_store_b64 v2, v[0:1], s[2:3]
.LBB38_7:
	s_wait_xcnt 0x0
	s_or_b32 exec_lo, exec_lo, s7
.LBB38_8:
	s_delay_alu instid0(SALU_CYCLE_1) | instskip(NEXT) | instid1(VALU_DEP_1)
	s_mov_b32 s2, exec_lo
	v_cmpx_eq_u32_e32 0, v8
	s_cbranch_execz .LBB38_10
; %bb.9:
	s_load_b64 s[0:1], s[0:1], 0x10
	v_mov_b32_e32 v0, 0
	s_wait_kmcnt 0x0
	global_store_b32 v0, v0, s[0:1]
.LBB38_10:
	s_wait_xcnt 0x0
	s_or_b32 exec_lo, exec_lo, s2
	s_delay_alu instid0(SALU_CYCLE_1)
	s_mov_b32 s0, exec_lo
	v_cmpx_gt_u32_e64 s6, v8
	s_cbranch_execz .LBB38_12
; %bb.11:
	v_dual_mov_b32 v0, 0 :: v_dual_add_nc_u32 v4, 32, v8
	s_delay_alu instid0(VALU_DEP_1)
	v_dual_mov_b32 v1, v0 :: v_dual_mov_b32 v2, v0
	v_mov_b32_e32 v3, v0
	global_store_b128 v4, v[0:3], s[4:5] scale_offset
.LBB38_12:
	s_wait_xcnt 0x0
	s_or_b32 exec_lo, exec_lo, s0
	s_delay_alu instid0(SALU_CYCLE_1)
	s_mov_b32 s0, exec_lo
	v_cmpx_gt_u32_e32 32, v8
	s_cbranch_execz .LBB38_14
; %bb.13:
	v_mov_b32_e32 v0, 0
	s_delay_alu instid0(VALU_DEP_1)
	v_dual_mov_b32 v2, 0xff :: v_dual_mov_b32 v1, v0
	v_mov_b32_e32 v3, v0
	global_store_b128 v8, v[0:3], s[4:5] scale_offset
.LBB38_14:
	s_endpgm
	.section	.rodata,"a",@progbits
	.p2align	6, 0x0
	.amdhsa_kernel _ZN7rocprim17ROCPRIM_400000_NS6detail31init_lookback_scan_state_kernelINS1_19lookback_scan_stateI15HIP_vector_typeIjLj2EELb0ELb1EEENS1_16block_id_wrapperIjLb1EEEEEvT_jT0_jPNS9_10value_typeE
		.amdhsa_group_segment_fixed_size 0
		.amdhsa_private_segment_fixed_size 0
		.amdhsa_kernarg_size 296
		.amdhsa_user_sgpr_count 2
		.amdhsa_user_sgpr_dispatch_ptr 0
		.amdhsa_user_sgpr_queue_ptr 0
		.amdhsa_user_sgpr_kernarg_segment_ptr 1
		.amdhsa_user_sgpr_dispatch_id 0
		.amdhsa_user_sgpr_kernarg_preload_length 0
		.amdhsa_user_sgpr_kernarg_preload_offset 0
		.amdhsa_user_sgpr_private_segment_size 0
		.amdhsa_wavefront_size32 1
		.amdhsa_uses_dynamic_stack 0
		.amdhsa_enable_private_segment 0
		.amdhsa_system_sgpr_workgroup_id_x 1
		.amdhsa_system_sgpr_workgroup_id_y 0
		.amdhsa_system_sgpr_workgroup_id_z 0
		.amdhsa_system_sgpr_workgroup_info 0
		.amdhsa_system_vgpr_workitem_id 0
		.amdhsa_next_free_vgpr 9
		.amdhsa_next_free_sgpr 12
		.amdhsa_named_barrier_count 0
		.amdhsa_reserve_vcc 1
		.amdhsa_float_round_mode_32 0
		.amdhsa_float_round_mode_16_64 0
		.amdhsa_float_denorm_mode_32 3
		.amdhsa_float_denorm_mode_16_64 3
		.amdhsa_fp16_overflow 0
		.amdhsa_memory_ordered 1
		.amdhsa_forward_progress 1
		.amdhsa_inst_pref_size 4
		.amdhsa_round_robin_scheduling 0
		.amdhsa_exception_fp_ieee_invalid_op 0
		.amdhsa_exception_fp_denorm_src 0
		.amdhsa_exception_fp_ieee_div_zero 0
		.amdhsa_exception_fp_ieee_overflow 0
		.amdhsa_exception_fp_ieee_underflow 0
		.amdhsa_exception_fp_ieee_inexact 0
		.amdhsa_exception_int_div_zero 0
	.end_amdhsa_kernel
	.section	.text._ZN7rocprim17ROCPRIM_400000_NS6detail31init_lookback_scan_state_kernelINS1_19lookback_scan_stateI15HIP_vector_typeIjLj2EELb0ELb1EEENS1_16block_id_wrapperIjLb1EEEEEvT_jT0_jPNS9_10value_typeE,"axG",@progbits,_ZN7rocprim17ROCPRIM_400000_NS6detail31init_lookback_scan_state_kernelINS1_19lookback_scan_stateI15HIP_vector_typeIjLj2EELb0ELb1EEENS1_16block_id_wrapperIjLb1EEEEEvT_jT0_jPNS9_10value_typeE,comdat
.Lfunc_end38:
	.size	_ZN7rocprim17ROCPRIM_400000_NS6detail31init_lookback_scan_state_kernelINS1_19lookback_scan_stateI15HIP_vector_typeIjLj2EELb0ELb1EEENS1_16block_id_wrapperIjLb1EEEEEvT_jT0_jPNS9_10value_typeE, .Lfunc_end38-_ZN7rocprim17ROCPRIM_400000_NS6detail31init_lookback_scan_state_kernelINS1_19lookback_scan_stateI15HIP_vector_typeIjLj2EELb0ELb1EEENS1_16block_id_wrapperIjLb1EEEEEvT_jT0_jPNS9_10value_typeE
                                        ; -- End function
	.set _ZN7rocprim17ROCPRIM_400000_NS6detail31init_lookback_scan_state_kernelINS1_19lookback_scan_stateI15HIP_vector_typeIjLj2EELb0ELb1EEENS1_16block_id_wrapperIjLb1EEEEEvT_jT0_jPNS9_10value_typeE.num_vgpr, 9
	.set _ZN7rocprim17ROCPRIM_400000_NS6detail31init_lookback_scan_state_kernelINS1_19lookback_scan_stateI15HIP_vector_typeIjLj2EELb0ELb1EEENS1_16block_id_wrapperIjLb1EEEEEvT_jT0_jPNS9_10value_typeE.num_agpr, 0
	.set _ZN7rocprim17ROCPRIM_400000_NS6detail31init_lookback_scan_state_kernelINS1_19lookback_scan_stateI15HIP_vector_typeIjLj2EELb0ELb1EEENS1_16block_id_wrapperIjLb1EEEEEvT_jT0_jPNS9_10value_typeE.numbered_sgpr, 12
	.set _ZN7rocprim17ROCPRIM_400000_NS6detail31init_lookback_scan_state_kernelINS1_19lookback_scan_stateI15HIP_vector_typeIjLj2EELb0ELb1EEENS1_16block_id_wrapperIjLb1EEEEEvT_jT0_jPNS9_10value_typeE.num_named_barrier, 0
	.set _ZN7rocprim17ROCPRIM_400000_NS6detail31init_lookback_scan_state_kernelINS1_19lookback_scan_stateI15HIP_vector_typeIjLj2EELb0ELb1EEENS1_16block_id_wrapperIjLb1EEEEEvT_jT0_jPNS9_10value_typeE.private_seg_size, 0
	.set _ZN7rocprim17ROCPRIM_400000_NS6detail31init_lookback_scan_state_kernelINS1_19lookback_scan_stateI15HIP_vector_typeIjLj2EELb0ELb1EEENS1_16block_id_wrapperIjLb1EEEEEvT_jT0_jPNS9_10value_typeE.uses_vcc, 1
	.set _ZN7rocprim17ROCPRIM_400000_NS6detail31init_lookback_scan_state_kernelINS1_19lookback_scan_stateI15HIP_vector_typeIjLj2EELb0ELb1EEENS1_16block_id_wrapperIjLb1EEEEEvT_jT0_jPNS9_10value_typeE.uses_flat_scratch, 0
	.set _ZN7rocprim17ROCPRIM_400000_NS6detail31init_lookback_scan_state_kernelINS1_19lookback_scan_stateI15HIP_vector_typeIjLj2EELb0ELb1EEENS1_16block_id_wrapperIjLb1EEEEEvT_jT0_jPNS9_10value_typeE.has_dyn_sized_stack, 0
	.set _ZN7rocprim17ROCPRIM_400000_NS6detail31init_lookback_scan_state_kernelINS1_19lookback_scan_stateI15HIP_vector_typeIjLj2EELb0ELb1EEENS1_16block_id_wrapperIjLb1EEEEEvT_jT0_jPNS9_10value_typeE.has_recursion, 0
	.set _ZN7rocprim17ROCPRIM_400000_NS6detail31init_lookback_scan_state_kernelINS1_19lookback_scan_stateI15HIP_vector_typeIjLj2EELb0ELb1EEENS1_16block_id_wrapperIjLb1EEEEEvT_jT0_jPNS9_10value_typeE.has_indirect_call, 0
	.section	.AMDGPU.csdata,"",@progbits
; Kernel info:
; codeLenInByte = 424
; TotalNumSgprs: 14
; NumVgprs: 9
; ScratchSize: 0
; MemoryBound: 0
; FloatMode: 240
; IeeeMode: 1
; LDSByteSize: 0 bytes/workgroup (compile time only)
; SGPRBlocks: 0
; VGPRBlocks: 0
; NumSGPRsForWavesPerEU: 14
; NumVGPRsForWavesPerEU: 9
; NamedBarCnt: 0
; Occupancy: 16
; WaveLimiterHint : 0
; COMPUTE_PGM_RSRC2:SCRATCH_EN: 0
; COMPUTE_PGM_RSRC2:USER_SGPR: 2
; COMPUTE_PGM_RSRC2:TRAP_HANDLER: 0
; COMPUTE_PGM_RSRC2:TGID_X_EN: 1
; COMPUTE_PGM_RSRC2:TGID_Y_EN: 0
; COMPUTE_PGM_RSRC2:TGID_Z_EN: 0
; COMPUTE_PGM_RSRC2:TIDIG_COMP_CNT: 0
	.section	.text._ZN7rocprim17ROCPRIM_400000_NS6detail17trampoline_kernelINS0_13select_configILj256ELj13ELNS0_17block_load_methodE3ELS4_3ELS4_3ELNS0_20block_scan_algorithmE0ELj4294967295EEENS1_25partition_config_selectorILNS1_17partition_subalgoE4EjNS0_10empty_typeEbEEZZNS1_14partition_implILS8_4ELb0ES6_15HIP_vector_typeIjLj2EENS0_17counting_iteratorIjlEEPS9_SG_NS0_5tupleIJPjSI_NS0_16reverse_iteratorISI_EEEEENSH_IJSG_SG_SG_EEES9_SI_JZNS1_25segmented_radix_sort_implINS0_14default_configELb1EPKhPhPKlPlN2at6native12_GLOBAL__N_18offset_tEEE10hipError_tPvRmT1_PNSt15iterator_traitsIS12_E10value_typeET2_T3_PNS13_IS18_E10value_typeET4_jRbjT5_S1E_jjP12ihipStream_tbEUljE_ZNSN_ISO_Lb1ESQ_SR_ST_SU_SY_EESZ_S10_S11_S12_S16_S17_S18_S1B_S1C_jS1D_jS1E_S1E_jjS1G_bEUljE0_EEESZ_S10_S11_S18_S1C_S1E_T6_T7_T9_mT8_S1G_bDpT10_ENKUlT_T0_E_clISt17integral_constantIbLb0EES1T_IbLb1EEEEDaS1P_S1Q_EUlS1P_E_NS1_11comp_targetILNS1_3genE0ELNS1_11target_archE4294967295ELNS1_3gpuE0ELNS1_3repE0EEENS1_30default_config_static_selectorELNS0_4arch9wavefront6targetE0EEEvS12_,"axG",@progbits,_ZN7rocprim17ROCPRIM_400000_NS6detail17trampoline_kernelINS0_13select_configILj256ELj13ELNS0_17block_load_methodE3ELS4_3ELS4_3ELNS0_20block_scan_algorithmE0ELj4294967295EEENS1_25partition_config_selectorILNS1_17partition_subalgoE4EjNS0_10empty_typeEbEEZZNS1_14partition_implILS8_4ELb0ES6_15HIP_vector_typeIjLj2EENS0_17counting_iteratorIjlEEPS9_SG_NS0_5tupleIJPjSI_NS0_16reverse_iteratorISI_EEEEENSH_IJSG_SG_SG_EEES9_SI_JZNS1_25segmented_radix_sort_implINS0_14default_configELb1EPKhPhPKlPlN2at6native12_GLOBAL__N_18offset_tEEE10hipError_tPvRmT1_PNSt15iterator_traitsIS12_E10value_typeET2_T3_PNS13_IS18_E10value_typeET4_jRbjT5_S1E_jjP12ihipStream_tbEUljE_ZNSN_ISO_Lb1ESQ_SR_ST_SU_SY_EESZ_S10_S11_S12_S16_S17_S18_S1B_S1C_jS1D_jS1E_S1E_jjS1G_bEUljE0_EEESZ_S10_S11_S18_S1C_S1E_T6_T7_T9_mT8_S1G_bDpT10_ENKUlT_T0_E_clISt17integral_constantIbLb0EES1T_IbLb1EEEEDaS1P_S1Q_EUlS1P_E_NS1_11comp_targetILNS1_3genE0ELNS1_11target_archE4294967295ELNS1_3gpuE0ELNS1_3repE0EEENS1_30default_config_static_selectorELNS0_4arch9wavefront6targetE0EEEvS12_,comdat
	.globl	_ZN7rocprim17ROCPRIM_400000_NS6detail17trampoline_kernelINS0_13select_configILj256ELj13ELNS0_17block_load_methodE3ELS4_3ELS4_3ELNS0_20block_scan_algorithmE0ELj4294967295EEENS1_25partition_config_selectorILNS1_17partition_subalgoE4EjNS0_10empty_typeEbEEZZNS1_14partition_implILS8_4ELb0ES6_15HIP_vector_typeIjLj2EENS0_17counting_iteratorIjlEEPS9_SG_NS0_5tupleIJPjSI_NS0_16reverse_iteratorISI_EEEEENSH_IJSG_SG_SG_EEES9_SI_JZNS1_25segmented_radix_sort_implINS0_14default_configELb1EPKhPhPKlPlN2at6native12_GLOBAL__N_18offset_tEEE10hipError_tPvRmT1_PNSt15iterator_traitsIS12_E10value_typeET2_T3_PNS13_IS18_E10value_typeET4_jRbjT5_S1E_jjP12ihipStream_tbEUljE_ZNSN_ISO_Lb1ESQ_SR_ST_SU_SY_EESZ_S10_S11_S12_S16_S17_S18_S1B_S1C_jS1D_jS1E_S1E_jjS1G_bEUljE0_EEESZ_S10_S11_S18_S1C_S1E_T6_T7_T9_mT8_S1G_bDpT10_ENKUlT_T0_E_clISt17integral_constantIbLb0EES1T_IbLb1EEEEDaS1P_S1Q_EUlS1P_E_NS1_11comp_targetILNS1_3genE0ELNS1_11target_archE4294967295ELNS1_3gpuE0ELNS1_3repE0EEENS1_30default_config_static_selectorELNS0_4arch9wavefront6targetE0EEEvS12_ ; -- Begin function _ZN7rocprim17ROCPRIM_400000_NS6detail17trampoline_kernelINS0_13select_configILj256ELj13ELNS0_17block_load_methodE3ELS4_3ELS4_3ELNS0_20block_scan_algorithmE0ELj4294967295EEENS1_25partition_config_selectorILNS1_17partition_subalgoE4EjNS0_10empty_typeEbEEZZNS1_14partition_implILS8_4ELb0ES6_15HIP_vector_typeIjLj2EENS0_17counting_iteratorIjlEEPS9_SG_NS0_5tupleIJPjSI_NS0_16reverse_iteratorISI_EEEEENSH_IJSG_SG_SG_EEES9_SI_JZNS1_25segmented_radix_sort_implINS0_14default_configELb1EPKhPhPKlPlN2at6native12_GLOBAL__N_18offset_tEEE10hipError_tPvRmT1_PNSt15iterator_traitsIS12_E10value_typeET2_T3_PNS13_IS18_E10value_typeET4_jRbjT5_S1E_jjP12ihipStream_tbEUljE_ZNSN_ISO_Lb1ESQ_SR_ST_SU_SY_EESZ_S10_S11_S12_S16_S17_S18_S1B_S1C_jS1D_jS1E_S1E_jjS1G_bEUljE0_EEESZ_S10_S11_S18_S1C_S1E_T6_T7_T9_mT8_S1G_bDpT10_ENKUlT_T0_E_clISt17integral_constantIbLb0EES1T_IbLb1EEEEDaS1P_S1Q_EUlS1P_E_NS1_11comp_targetILNS1_3genE0ELNS1_11target_archE4294967295ELNS1_3gpuE0ELNS1_3repE0EEENS1_30default_config_static_selectorELNS0_4arch9wavefront6targetE0EEEvS12_
	.p2align	8
	.type	_ZN7rocprim17ROCPRIM_400000_NS6detail17trampoline_kernelINS0_13select_configILj256ELj13ELNS0_17block_load_methodE3ELS4_3ELS4_3ELNS0_20block_scan_algorithmE0ELj4294967295EEENS1_25partition_config_selectorILNS1_17partition_subalgoE4EjNS0_10empty_typeEbEEZZNS1_14partition_implILS8_4ELb0ES6_15HIP_vector_typeIjLj2EENS0_17counting_iteratorIjlEEPS9_SG_NS0_5tupleIJPjSI_NS0_16reverse_iteratorISI_EEEEENSH_IJSG_SG_SG_EEES9_SI_JZNS1_25segmented_radix_sort_implINS0_14default_configELb1EPKhPhPKlPlN2at6native12_GLOBAL__N_18offset_tEEE10hipError_tPvRmT1_PNSt15iterator_traitsIS12_E10value_typeET2_T3_PNS13_IS18_E10value_typeET4_jRbjT5_S1E_jjP12ihipStream_tbEUljE_ZNSN_ISO_Lb1ESQ_SR_ST_SU_SY_EESZ_S10_S11_S12_S16_S17_S18_S1B_S1C_jS1D_jS1E_S1E_jjS1G_bEUljE0_EEESZ_S10_S11_S18_S1C_S1E_T6_T7_T9_mT8_S1G_bDpT10_ENKUlT_T0_E_clISt17integral_constantIbLb0EES1T_IbLb1EEEEDaS1P_S1Q_EUlS1P_E_NS1_11comp_targetILNS1_3genE0ELNS1_11target_archE4294967295ELNS1_3gpuE0ELNS1_3repE0EEENS1_30default_config_static_selectorELNS0_4arch9wavefront6targetE0EEEvS12_,@function
_ZN7rocprim17ROCPRIM_400000_NS6detail17trampoline_kernelINS0_13select_configILj256ELj13ELNS0_17block_load_methodE3ELS4_3ELS4_3ELNS0_20block_scan_algorithmE0ELj4294967295EEENS1_25partition_config_selectorILNS1_17partition_subalgoE4EjNS0_10empty_typeEbEEZZNS1_14partition_implILS8_4ELb0ES6_15HIP_vector_typeIjLj2EENS0_17counting_iteratorIjlEEPS9_SG_NS0_5tupleIJPjSI_NS0_16reverse_iteratorISI_EEEEENSH_IJSG_SG_SG_EEES9_SI_JZNS1_25segmented_radix_sort_implINS0_14default_configELb1EPKhPhPKlPlN2at6native12_GLOBAL__N_18offset_tEEE10hipError_tPvRmT1_PNSt15iterator_traitsIS12_E10value_typeET2_T3_PNS13_IS18_E10value_typeET4_jRbjT5_S1E_jjP12ihipStream_tbEUljE_ZNSN_ISO_Lb1ESQ_SR_ST_SU_SY_EESZ_S10_S11_S12_S16_S17_S18_S1B_S1C_jS1D_jS1E_S1E_jjS1G_bEUljE0_EEESZ_S10_S11_S18_S1C_S1E_T6_T7_T9_mT8_S1G_bDpT10_ENKUlT_T0_E_clISt17integral_constantIbLb0EES1T_IbLb1EEEEDaS1P_S1Q_EUlS1P_E_NS1_11comp_targetILNS1_3genE0ELNS1_11target_archE4294967295ELNS1_3gpuE0ELNS1_3repE0EEENS1_30default_config_static_selectorELNS0_4arch9wavefront6targetE0EEEvS12_: ; @_ZN7rocprim17ROCPRIM_400000_NS6detail17trampoline_kernelINS0_13select_configILj256ELj13ELNS0_17block_load_methodE3ELS4_3ELS4_3ELNS0_20block_scan_algorithmE0ELj4294967295EEENS1_25partition_config_selectorILNS1_17partition_subalgoE4EjNS0_10empty_typeEbEEZZNS1_14partition_implILS8_4ELb0ES6_15HIP_vector_typeIjLj2EENS0_17counting_iteratorIjlEEPS9_SG_NS0_5tupleIJPjSI_NS0_16reverse_iteratorISI_EEEEENSH_IJSG_SG_SG_EEES9_SI_JZNS1_25segmented_radix_sort_implINS0_14default_configELb1EPKhPhPKlPlN2at6native12_GLOBAL__N_18offset_tEEE10hipError_tPvRmT1_PNSt15iterator_traitsIS12_E10value_typeET2_T3_PNS13_IS18_E10value_typeET4_jRbjT5_S1E_jjP12ihipStream_tbEUljE_ZNSN_ISO_Lb1ESQ_SR_ST_SU_SY_EESZ_S10_S11_S12_S16_S17_S18_S1B_S1C_jS1D_jS1E_S1E_jjS1G_bEUljE0_EEESZ_S10_S11_S18_S1C_S1E_T6_T7_T9_mT8_S1G_bDpT10_ENKUlT_T0_E_clISt17integral_constantIbLb0EES1T_IbLb1EEEEDaS1P_S1Q_EUlS1P_E_NS1_11comp_targetILNS1_3genE0ELNS1_11target_archE4294967295ELNS1_3gpuE0ELNS1_3repE0EEENS1_30default_config_static_selectorELNS0_4arch9wavefront6targetE0EEEvS12_
; %bb.0:
	s_clause 0x7
	s_load_b64 s[34:35], s[0:1], 0x10
	s_load_b128 s[28:31], s[0:1], 0x28
	s_load_b64 s[14:15], s[0:1], 0x38
	s_load_b128 s[24:27], s[0:1], 0x58
	s_load_b64 s[4:5], s[0:1], 0x68
	s_load_b64 s[36:37], s[0:1], 0x78
	;; [unrolled: 1-line block ×3, first 2 shown]
	s_load_b256 s[16:23], s[0:1], 0x90
	v_cmp_eq_u32_e64 s2, 0, v0
	s_and_saveexec_b32 s3, s2
	s_cbranch_execz .LBB39_4
; %bb.1:
	s_mov_b32 s7, exec_lo
	s_mov_b32 s6, exec_lo
	v_mbcnt_lo_u32_b32 v1, s7, 0
                                        ; implicit-def: $vgpr2
	s_delay_alu instid0(VALU_DEP_1)
	v_cmpx_eq_u32_e32 0, v1
	s_cbranch_execz .LBB39_3
; %bb.2:
	s_load_b64 s[8:9], s[0:1], 0x88
	s_bcnt1_i32_b32 s7, s7
	s_delay_alu instid0(SALU_CYCLE_1)
	v_dual_mov_b32 v2, 0 :: v_dual_mov_b32 v3, s7
	s_wait_xcnt 0x0
	s_wait_kmcnt 0x0
	global_atomic_add_u32 v2, v2, v3, s[8:9] th:TH_ATOMIC_RETURN scope:SCOPE_DEV
.LBB39_3:
	s_wait_xcnt 0x0
	s_or_b32 exec_lo, exec_lo, s6
	s_wait_loadcnt 0x0
	v_readfirstlane_b32 s6, v2
	s_delay_alu instid0(VALU_DEP_1)
	v_dual_mov_b32 v2, 0 :: v_dual_add_nc_u32 v1, s6, v1
	ds_store_b32 v2, v1
.LBB39_4:
	s_or_b32 exec_lo, exec_lo, s3
	v_mov_b32_e32 v1, 0
	s_clause 0x1
	s_load_b32 s3, s[0:1], 0x8
	s_load_b32 s6, s[0:1], 0x80
	s_wait_dscnt 0x0
	s_barrier_signal -1
	s_barrier_wait -1
	ds_load_b32 v6, v1
	s_wait_dscnt 0x0
	s_barrier_signal -1
	s_barrier_wait -1
	s_wait_kmcnt 0x0
	global_load_b128 v[2:5], v1, s[26:27]
	s_mov_b32 s1, 0
	s_add_co_i32 s3, s3, s34
	s_mul_i32 s0, s6, 0xd00
	s_add_co_i32 s6, s6, -1
	s_add_nc_u64 s[8:9], s[34:35], s[0:1]
	s_delay_alu instid0(SALU_CYCLE_1)
	v_cmp_gt_u64_e64 s1, s[4:5], s[8:9]
	v_mul_lo_u32 v14, 0xd00, v6
	s_wait_xcnt 0x0
	v_readfirstlane_b32 s27, v6
	v_cmp_ne_u32_e32 vcc_lo, s6, v6
	s_cmp_eq_u32 s27, s6
	s_cselect_b32 s26, -1, 0
	s_or_b32 s1, s1, vcc_lo
	v_add3_u32 v1, v14, s3, v0
	s_and_b32 vcc_lo, exec_lo, s1
	s_mov_b32 s3, -1
	s_delay_alu instid0(VALU_DEP_1)
	v_add_nc_u32_e32 v6, 0x100, v1
	v_add_nc_u32_e32 v7, 0x200, v1
	;; [unrolled: 1-line block ×12, first 2 shown]
	s_cbranch_vccz .LBB39_6
; %bb.5:
	v_lshlrev_b32_e32 v19, 2, v0
	s_mov_b32 s3, 0
	ds_store_2addr_stride64_b32 v19, v1, v6 offset1:4
	ds_store_2addr_stride64_b32 v19, v7, v8 offset0:8 offset1:12
	ds_store_2addr_stride64_b32 v19, v9, v10 offset0:16 offset1:20
	;; [unrolled: 1-line block ×5, first 2 shown]
	ds_store_b32 v19, v18 offset:12288
	s_wait_loadcnt_dscnt 0x0
	s_barrier_signal -1
	s_barrier_wait -1
.LBB39_6:
	s_and_not1_b32 vcc_lo, exec_lo, s3
	s_add_co_i32 s0, s0, s34
	s_cbranch_vccnz .LBB39_8
; %bb.7:
	v_lshlrev_b32_e32 v19, 2, v0
	ds_store_2addr_stride64_b32 v19, v1, v6 offset1:4
	ds_store_2addr_stride64_b32 v19, v7, v8 offset0:8 offset1:12
	ds_store_2addr_stride64_b32 v19, v9, v10 offset0:16 offset1:20
	ds_store_2addr_stride64_b32 v19, v11, v12 offset0:24 offset1:28
	ds_store_2addr_stride64_b32 v19, v13, v15 offset0:32 offset1:36
	ds_store_2addr_stride64_b32 v19, v16, v17 offset0:40 offset1:44
	ds_store_b32 v19, v18 offset:12288
	s_wait_loadcnt_dscnt 0x0
	s_barrier_signal -1
	s_barrier_wait -1
.LBB39_8:
	v_mul_u32_u24_e32 v15, 13, v0
	s_wait_loadcnt 0x0
	v_cndmask_b32_e64 v35, 0, 1, s1
	s_sub_co_i32 s33, s4, s0
	s_and_not1_b32 vcc_lo, exec_lo, s1
	v_lshlrev_b32_e32 v1, 2, v15
	ds_load_b32 v34, v1 offset:48
	ds_load_2addr_b32 v[16:17], v1 offset0:10 offset1:11
	ds_load_2addr_b32 v[18:19], v1 offset0:8 offset1:9
	;; [unrolled: 1-line block ×4, first 2 shown]
	ds_load_2addr_b32 v[26:27], v1 offset1:1
	ds_load_2addr_b32 v[24:25], v1 offset0:2 offset1:3
	s_wait_dscnt 0x0
	s_barrier_signal -1
	s_barrier_wait -1
	s_cbranch_vccnz .LBB39_36
; %bb.9:
	v_dual_add_nc_u32 v1, s17, v26 :: v_dual_add_nc_u32 v6, s19, v26
	s_mov_b32 s41, 0
	s_mov_b32 s40, 0
	s_mov_b32 s1, exec_lo
	s_delay_alu instid0(VALU_DEP_1) | instskip(SKIP_1) | instid1(VALU_DEP_1)
	v_mul_lo_u32 v1, v1, s16
	v_mul_lo_u32 v6, v6, s18
	v_sub_nc_u32_e32 v1, v1, v6
	s_delay_alu instid0(VALU_DEP_1)
	v_cmp_lt_u32_e32 vcc_lo, s20, v1
	v_cmpx_ge_u32_e64 s20, v1
	s_cbranch_execz .LBB39_11
; %bb.10:
	v_dual_add_nc_u32 v1, s22, v26 :: v_dual_add_nc_u32 v6, s38, v26
	s_delay_alu instid0(VALU_DEP_1) | instskip(NEXT) | instid1(VALU_DEP_2)
	v_mul_lo_u32 v1, v1, s21
	v_mul_lo_u32 v6, v6, s23
	s_delay_alu instid0(VALU_DEP_1) | instskip(NEXT) | instid1(VALU_DEP_1)
	v_sub_nc_u32_e32 v1, v1, v6
	v_cmp_lt_u32_e64 s0, s39, v1
	s_and_b32 s40, s0, exec_lo
.LBB39_11:
	s_or_b32 exec_lo, exec_lo, s1
	v_dual_add_nc_u32 v1, s17, v27 :: v_dual_add_nc_u32 v6, s19, v27
	s_mov_b32 s3, exec_lo
	s_delay_alu instid0(VALU_DEP_1) | instskip(NEXT) | instid1(VALU_DEP_2)
	v_mul_lo_u32 v1, v1, s16
	v_mul_lo_u32 v6, v6, s18
	s_delay_alu instid0(VALU_DEP_1) | instskip(NEXT) | instid1(VALU_DEP_1)
	v_sub_nc_u32_e32 v1, v1, v6
	v_cmp_lt_u32_e64 s0, s20, v1
	v_cmpx_ge_u32_e64 s20, v1
	s_cbranch_execz .LBB39_13
; %bb.12:
	v_dual_add_nc_u32 v1, s22, v27 :: v_dual_add_nc_u32 v6, s38, v27
	s_delay_alu instid0(VALU_DEP_1) | instskip(NEXT) | instid1(VALU_DEP_2)
	v_mul_lo_u32 v1, v1, s21
	v_mul_lo_u32 v6, v6, s23
	s_delay_alu instid0(VALU_DEP_1) | instskip(NEXT) | instid1(VALU_DEP_1)
	v_sub_nc_u32_e32 v1, v1, v6
	v_cmp_lt_u32_e64 s1, s39, v1
	s_and_b32 s41, s1, exec_lo
.LBB39_13:
	s_or_b32 exec_lo, exec_lo, s3
	v_dual_add_nc_u32 v1, s17, v24 :: v_dual_add_nc_u32 v6, s19, v24
	s_mov_b32 s43, 0
	s_mov_b32 s42, 0
	s_mov_b32 s4, exec_lo
	s_delay_alu instid0(VALU_DEP_1) | instskip(SKIP_1) | instid1(VALU_DEP_1)
	v_mul_lo_u32 v1, v1, s16
	v_mul_lo_u32 v6, v6, s18
	v_sub_nc_u32_e32 v1, v1, v6
	s_delay_alu instid0(VALU_DEP_1)
	v_cmp_lt_u32_e64 s1, s20, v1
	v_cmpx_ge_u32_e64 s20, v1
	s_cbranch_execz .LBB39_15
; %bb.14:
	v_dual_add_nc_u32 v1, s22, v24 :: v_dual_add_nc_u32 v6, s38, v24
	s_delay_alu instid0(VALU_DEP_1) | instskip(NEXT) | instid1(VALU_DEP_2)
	v_mul_lo_u32 v1, v1, s21
	v_mul_lo_u32 v6, v6, s23
	s_delay_alu instid0(VALU_DEP_1) | instskip(NEXT) | instid1(VALU_DEP_1)
	v_sub_nc_u32_e32 v1, v1, v6
	v_cmp_lt_u32_e64 s3, s39, v1
	s_and_b32 s42, s3, exec_lo
.LBB39_15:
	s_or_b32 exec_lo, exec_lo, s4
	v_dual_add_nc_u32 v1, s17, v25 :: v_dual_add_nc_u32 v6, s19, v25
	s_mov_b32 s5, exec_lo
	s_delay_alu instid0(VALU_DEP_1) | instskip(NEXT) | instid1(VALU_DEP_2)
	v_mul_lo_u32 v1, v1, s16
	v_mul_lo_u32 v6, v6, s18
	s_delay_alu instid0(VALU_DEP_1) | instskip(NEXT) | instid1(VALU_DEP_1)
	v_sub_nc_u32_e32 v1, v1, v6
	v_cmp_lt_u32_e64 s3, s20, v1
	v_cmpx_ge_u32_e64 s20, v1
	s_cbranch_execz .LBB39_17
; %bb.16:
	v_dual_add_nc_u32 v1, s22, v25 :: v_dual_add_nc_u32 v6, s38, v25
	s_delay_alu instid0(VALU_DEP_1) | instskip(NEXT) | instid1(VALU_DEP_2)
	v_mul_lo_u32 v1, v1, s21
	v_mul_lo_u32 v6, v6, s23
	s_delay_alu instid0(VALU_DEP_1) | instskip(NEXT) | instid1(VALU_DEP_1)
	v_sub_nc_u32_e32 v1, v1, v6
	v_cmp_lt_u32_e64 s4, s39, v1
	s_and_b32 s43, s4, exec_lo
.LBB39_17:
	s_or_b32 exec_lo, exec_lo, s5
	v_dual_add_nc_u32 v1, s17, v22 :: v_dual_add_nc_u32 v6, s19, v22
	s_mov_b32 s45, 0
	s_mov_b32 s44, 0
	s_mov_b32 s6, exec_lo
	s_delay_alu instid0(VALU_DEP_1) | instskip(SKIP_1) | instid1(VALU_DEP_1)
	v_mul_lo_u32 v1, v1, s16
	v_mul_lo_u32 v6, v6, s18
	v_sub_nc_u32_e32 v1, v1, v6
	s_delay_alu instid0(VALU_DEP_1)
	v_cmp_lt_u32_e64 s4, s20, v1
	;; [unrolled: 44-line block ×6, first 2 shown]
	v_cmpx_ge_u32_e64 s20, v1
	s_cbranch_execz .LBB39_35
; %bb.34:
	v_dual_add_nc_u32 v1, s22, v34 :: v_dual_add_nc_u32 v6, s38, v34
	s_delay_alu instid0(VALU_DEP_1) | instskip(NEXT) | instid1(VALU_DEP_2)
	v_mul_lo_u32 v1, v1, s21
	v_mul_lo_u32 v6, v6, s23
	s_delay_alu instid0(VALU_DEP_1) | instskip(NEXT) | instid1(VALU_DEP_1)
	v_sub_nc_u32_e32 v1, v1, v6
	v_cmp_lt_u32_e64 s13, s39, v1
	s_and_b32 s53, s13, exec_lo
.LBB39_35:
	s_or_b32 exec_lo, exec_lo, s54
	v_cndmask_b32_e64 v6, 0, 1, s0
	v_cndmask_b32_e64 v8, 0, 1, s3
	v_cndmask_b32_e64 v1, 0, 1, vcc_lo
	v_cndmask_b32_e64 v7, 0, 1, s1
	v_cndmask_b32_e64 v10, 0, 1, s5
	v_lshlrev_b16 v6, 8, v6
	v_lshlrev_b16 v8, 8, v8
	v_cndmask_b32_e64 v12, 0, 1, s7
	v_cndmask_b32_e64 v28, 0, 1, s9
	;; [unrolled: 1-line block ×3, first 2 shown]
	v_or_b32_e32 v1, v1, v6
	v_or_b32_e32 v6, v7, v8
	v_cndmask_b32_e64 v8, 0, 1, s42
	v_cndmask_b32_e64 v9, 0, 1, s4
	;; [unrolled: 1-line block ×4, first 2 shown]
	v_lshlrev_b32_e32 v6, 16, v6
	v_and_b32_e32 v1, 0xffff, v1
	v_cndmask_b32_e64 v38, 0, 1, s46
	v_cndmask_b32_e64 v41, 0, 1, s44
	;; [unrolled: 1-line block ×4, first 2 shown]
	v_or_b32_e32 v36, v1, v6
	v_lshlrev_b16 v1, 8, v10
	v_lshlrev_b16 v6, 8, v12
	;; [unrolled: 1-line block ×5, first 2 shown]
	v_cndmask_b32_e64 v11, 0, 1, s6
	v_cndmask_b32_e64 v30, 0, 1, s52
	;; [unrolled: 1-line block ×6, first 2 shown]
	v_lshlrev_b16 v28, 8, v44
	v_or_b32_e32 v8, v42, v8
	v_or_b32_e32 v1, v9, v1
	;; [unrolled: 1-line block ×4, first 2 shown]
	v_lshlrev_b16 v12, 8, v41
	v_lshlrev_b16 v13, 8, v38
	v_cndmask_b32_e64 v32, 0, 1, s50
	v_cndmask_b32_e64 v37, 0, 1, s47
	v_lshlrev_b16 v29, 8, v30
	v_or_b32_e32 v7, v7, v12
	v_or_b32_e32 v12, v40, v13
	;; [unrolled: 1-line block ×4, first 2 shown]
	v_lshlrev_b16 v28, 8, v33
	v_dual_lshlrev_b32 v10, 16, v10 :: v_dual_lshlrev_b32 v8, 16, v8
	v_and_b32_e32 v1, 0xffff, v1
	s_delay_alu instid0(VALU_DEP_4) | instskip(NEXT) | instid1(VALU_DEP_4)
	v_and_b32_e32 v11, 0xffff, v11
	v_or_b32_e32 v13, v37, v28
	v_or_b32_e32 v28, v32, v29
	v_and_b32_e32 v7, 0xffff, v7
	v_dual_lshlrev_b32 v12, 16, v12 :: v_dual_lshlrev_b32 v6, 16, v6
	s_delay_alu instid0(VALU_DEP_4) | instskip(NEXT) | instid1(VALU_DEP_4)
	v_and_b32_e32 v13, 0xffff, v13
	v_lshlrev_b32_e32 v28, 16, v28
	v_and_b32_e32 v9, 0xffff, v9
	v_cndmask_b32_e64 v39, 0, 1, s51
	v_cndmask_b32_e64 v43, 0, 1, s53
	v_or_b32_e32 v38, v1, v6
	v_or_b32_e32 v42, v11, v8
	;; [unrolled: 1-line block ×5, first 2 shown]
	s_and_b32 vcc_lo, exec_lo, s48
	s_add_co_i32 s5, s33, 0xd00
	s_cbranch_vccnz .LBB39_37
	s_branch .LBB39_114
.LBB39_36:
                                        ; implicit-def: $vgpr43
                                        ; implicit-def: $vgpr39
                                        ; implicit-def: $vgpr40
                                        ; implicit-def: $vgpr37
                                        ; implicit-def: $vgpr42
                                        ; implicit-def: $vgpr41
                                        ; implicit-def: $vgpr38
                                        ; implicit-def: $vgpr36
	s_add_co_i32 s5, s33, 0xd00
	s_cbranch_execz .LBB39_114
.LBB39_37:
	v_dual_mov_b32 v6, 0 :: v_dual_mov_b32 v1, 0
	s_mov_b32 s1, exec_lo
	v_cmpx_gt_u32_e64 s5, v15
	s_cbranch_execz .LBB39_41
; %bb.38:
	v_dual_add_nc_u32 v1, s17, v26 :: v_dual_add_nc_u32 v6, s19, v26
	s_mov_b32 s4, 0
	s_mov_b32 s3, exec_lo
	s_delay_alu instid0(VALU_DEP_1) | instskip(NEXT) | instid1(VALU_DEP_2)
	v_mul_lo_u32 v1, v1, s16
	v_mul_lo_u32 v6, v6, s18
	s_delay_alu instid0(VALU_DEP_1) | instskip(NEXT) | instid1(VALU_DEP_1)
	v_sub_nc_u32_e32 v1, v1, v6
	v_cmp_lt_u32_e32 vcc_lo, s20, v1
	v_cmpx_ge_u32_e64 s20, v1
	s_cbranch_execz .LBB39_40
; %bb.39:
	v_dual_add_nc_u32 v1, s22, v26 :: v_dual_add_nc_u32 v6, s38, v26
	s_delay_alu instid0(VALU_DEP_1) | instskip(NEXT) | instid1(VALU_DEP_2)
	v_mul_lo_u32 v1, v1, s21
	v_mul_lo_u32 v6, v6, s23
	s_delay_alu instid0(VALU_DEP_1) | instskip(NEXT) | instid1(VALU_DEP_1)
	v_sub_nc_u32_e32 v1, v1, v6
	v_cmp_lt_u32_e64 s0, s39, v1
	s_and_b32 s4, s0, exec_lo
.LBB39_40:
	s_or_b32 exec_lo, exec_lo, s3
	v_cndmask_b32_e64 v6, 0, 1, s4
	v_cndmask_b32_e64 v1, 0, 1, vcc_lo
.LBB39_41:
	s_or_b32 exec_lo, exec_lo, s1
	s_delay_alu instid0(VALU_DEP_2) | instskip(SKIP_1) | instid1(VALU_DEP_2)
	v_lshlrev_b16 v6, 8, v6
	v_lshlrev_b16 v13, 8, 0
                                        ; implicit-def: $vgpr9
                                        ; implicit-def: $vgpr11
                                        ; implicit-def: $vgpr8
                                        ; implicit-def: $vgpr12
	v_and_b32_e32 v10, 0xffff, v6
	v_add_nc_u32_e32 v7, 1, v15
                                        ; implicit-def: $vgpr6
	s_delay_alu instid0(VALU_DEP_2) | instskip(NEXT) | instid1(VALU_DEP_2)
	v_lshrrev_b32_e32 v28, 8, v10
	v_cmp_le_u32_e32 vcc_lo, s5, v7
                                        ; implicit-def: $vgpr7
	s_and_saveexec_b32 s0, vcc_lo
	s_delay_alu instid0(SALU_CYCLE_1)
	s_xor_b32 s0, exec_lo, s0
	s_cbranch_execz .LBB39_43
; %bb.42:
	v_lshlrev_b16 v6, 8, v28
	v_bitop3_b16 v7, 0, v13, 0xff bitop3:0xec
	v_and_b32_e32 v12, 0xff, v1
                                        ; implicit-def: $vgpr1
                                        ; implicit-def: $vgpr13
                                        ; implicit-def: $vgpr28
	v_mov_b32_e32 v9, 0
	s_delay_alu instid0(VALU_DEP_4) | instskip(SKIP_3) | instid1(VALU_DEP_4)
	v_bitop3_b16 v10, v10, v6, 0xff bitop3:0xec
	v_mov_b32_e32 v6, 0
	v_and_b32_e32 v8, 0xffff, v7
	v_and_b32_e32 v7, 0xffff, v7
	;; [unrolled: 1-line block ×3, first 2 shown]
                                        ; implicit-def: $vgpr10
.LBB39_43:
	s_and_not1_saveexec_b32 s1, s0
	s_cbranch_execz .LBB39_47
; %bb.44:
	v_dual_add_nc_u32 v6, s17, v27 :: v_dual_add_nc_u32 v7, s19, v27
	s_mov_b32 s3, 0
	s_mov_b32 s4, exec_lo
	s_delay_alu instid0(VALU_DEP_1) | instskip(NEXT) | instid1(VALU_DEP_2)
	v_mul_lo_u32 v6, v6, s16
	v_mul_lo_u32 v7, v7, s18
	s_delay_alu instid0(VALU_DEP_1) | instskip(NEXT) | instid1(VALU_DEP_1)
	v_sub_nc_u32_e32 v6, v6, v7
	v_cmp_lt_u32_e32 vcc_lo, s20, v6
	v_cmpx_ge_u32_e64 s20, v6
	s_cbranch_execz .LBB39_46
; %bb.45:
	v_dual_add_nc_u32 v6, s22, v27 :: v_dual_add_nc_u32 v7, s38, v27
	s_delay_alu instid0(VALU_DEP_1) | instskip(NEXT) | instid1(VALU_DEP_2)
	v_mul_lo_u32 v6, v6, s21
	v_mul_lo_u32 v7, v7, s23
	s_delay_alu instid0(VALU_DEP_1) | instskip(NEXT) | instid1(VALU_DEP_1)
	v_sub_nc_u32_e32 v6, v6, v7
	v_cmp_lt_u32_e64 s0, s39, v6
	s_and_b32 s3, s0, exec_lo
.LBB39_46:
	s_or_b32 exec_lo, exec_lo, s4
	v_cndmask_b32_e64 v6, 0, 1, vcc_lo
	v_lshlrev_b16 v7, 8, v28
	v_cndmask_b32_e64 v11, 0, 1, s3
	v_mov_b32_e32 v9, 0
	s_delay_alu instid0(VALU_DEP_4) | instskip(NEXT) | instid1(VALU_DEP_4)
	v_lshlrev_b16 v6, 8, v6
	v_bitop3_b16 v7, v10, v7, 0xff bitop3:0xec
	v_bitop3_b16 v10, 0, v13, 0xff bitop3:0xec
	s_delay_alu instid0(VALU_DEP_3) | instskip(NEXT) | instid1(VALU_DEP_3)
	v_bitop3_b16 v1, v1, v6, 0xff bitop3:0xec
	v_and_b32_e32 v7, 0xffff, v7
	v_mov_b32_e32 v6, 0
	s_delay_alu instid0(VALU_DEP_4) | instskip(NEXT) | instid1(VALU_DEP_4)
	v_and_b32_e32 v8, 0xffff, v10
	v_and_b32_e32 v12, 0xffff, v1
	s_delay_alu instid0(VALU_DEP_4)
	v_lshl_or_b32 v11, v11, 16, v7
	v_and_b32_e32 v7, 0xffff, v10
.LBB39_47:
	s_or_b32 exec_lo, exec_lo, s1
	s_delay_alu instid0(VALU_DEP_3) | instskip(NEXT) | instid1(VALU_DEP_1)
	v_dual_add_nc_u32 v1, 2, v15 :: v_dual_lshrrev_b32 v13, 8, v12
                                        ; implicit-def: $vgpr10
	v_cmp_le_u32_e32 vcc_lo, s5, v1
                                        ; implicit-def: $vgpr1
	s_and_saveexec_b32 s0, vcc_lo
	s_delay_alu instid0(SALU_CYCLE_1)
	s_xor_b32 s0, exec_lo, s0
	s_cbranch_execz .LBB39_49
; %bb.48:
	v_lshlrev_b16 v1, 8, v13
	v_and_b32_e32 v13, 0xff0000, v11
	v_perm_b32 v8, v8, v8, 0x3060504
	s_delay_alu instid0(VALU_DEP_3) | instskip(NEXT) | instid1(VALU_DEP_1)
	v_bitop3_b16 v1, v12, v1, 0xff bitop3:0xec
	v_and_b32_e32 v1, 0xffff, v1
	s_delay_alu instid0(VALU_DEP_1)
	v_and_or_b32 v10, 0xff000000, v12, v1
	v_perm_b32 v1, v11, v13, 0x3020504
                                        ; implicit-def: $vgpr13
                                        ; implicit-def: $vgpr12
                                        ; implicit-def: $vgpr11
.LBB39_49:
	s_and_not1_saveexec_b32 s1, s0
	s_cbranch_execz .LBB39_53
; %bb.50:
	v_dual_add_nc_u32 v1, s17, v24 :: v_dual_add_nc_u32 v10, s19, v24
	s_mov_b32 s3, 0
	s_mov_b32 s4, exec_lo
	s_delay_alu instid0(VALU_DEP_1) | instskip(NEXT) | instid1(VALU_DEP_2)
	v_mul_lo_u32 v1, v1, s16
	v_mul_lo_u32 v10, v10, s18
	s_delay_alu instid0(VALU_DEP_1) | instskip(NEXT) | instid1(VALU_DEP_1)
	v_sub_nc_u32_e32 v1, v1, v10
	v_cmp_lt_u32_e32 vcc_lo, s20, v1
	v_cmpx_ge_u32_e64 s20, v1
	s_cbranch_execz .LBB39_52
; %bb.51:
	v_dual_add_nc_u32 v1, s22, v24 :: v_dual_add_nc_u32 v10, s38, v24
	s_delay_alu instid0(VALU_DEP_1) | instskip(NEXT) | instid1(VALU_DEP_2)
	v_mul_lo_u32 v1, v1, s21
	v_mul_lo_u32 v10, v10, s23
	s_delay_alu instid0(VALU_DEP_1) | instskip(NEXT) | instid1(VALU_DEP_1)
	v_sub_nc_u32_e32 v1, v1, v10
	v_cmp_lt_u32_e64 s0, s39, v1
	s_and_b32 s3, s0, exec_lo
.LBB39_52:
	s_or_b32 exec_lo, exec_lo, s4
	v_dual_lshrrev_b32 v1, 24, v12 :: v_dual_lshrrev_b32 v29, 8, v11
	v_cndmask_b32_e64 v10, 0, 1, s3
	v_cndmask_b32_e64 v28, 0, 1, vcc_lo
	v_lshlrev_b16 v13, 8, v13
	s_delay_alu instid0(VALU_DEP_4)
	v_lshlrev_b16 v1, 8, v1
	v_lshrrev_b32_e32 v30, 16, v11
	v_lshlrev_b16 v10, 8, v10
	v_lshlrev_b16 v29, 8, v29
	v_bitop3_b16 v12, v12, v13, 0xff bitop3:0xec
	v_or_b32_e32 v1, v28, v1
	s_delay_alu instid0(VALU_DEP_4) | instskip(NEXT) | instid1(VALU_DEP_4)
	v_bitop3_b16 v10, v30, v10, 0xff bitop3:0xec
	v_bitop3_b16 v11, v11, v29, 0xff bitop3:0xec
	s_delay_alu instid0(VALU_DEP_4) | instskip(NEXT) | instid1(VALU_DEP_3)
	v_and_b32_e32 v12, 0xffff, v12
	v_dual_lshlrev_b32 v1, 16, v1 :: v_dual_lshlrev_b32 v13, 16, v10
	s_delay_alu instid0(VALU_DEP_3) | instskip(NEXT) | instid1(VALU_DEP_2)
	v_and_b32_e32 v11, 0xffff, v11
	v_or_b32_e32 v10, v12, v1
	s_delay_alu instid0(VALU_DEP_2)
	v_or_b32_e32 v1, v11, v13
.LBB39_53:
	s_or_b32 exec_lo, exec_lo, s1
	v_dual_add_nc_u32 v12, 3, v15 :: v_dual_lshrrev_b32 v13, 24, v9
	v_lshrrev_b32_e32 v11, 16, v9
                                        ; implicit-def: $vgpr36
	s_delay_alu instid0(VALU_DEP_2) | instskip(SKIP_2) | instid1(SALU_CYCLE_1)
	v_cmp_le_u32_e32 vcc_lo, s5, v12
	v_lshrrev_b32_e32 v12, 8, v9
                                        ; implicit-def: $vgpr9
	s_and_saveexec_b32 s0, vcc_lo
	s_xor_b32 s0, exec_lo, s0
	s_cbranch_execz .LBB39_55
; %bb.54:
	v_lshlrev_b16 v9, 8, v13
	v_lshlrev_b16 v12, 8, v12
	v_perm_b32 v8, v8, v8, 0x3060504
	v_perm_b32 v7, v7, v7, 0x3060504
                                        ; implicit-def: $vgpr13
	s_delay_alu instid0(VALU_DEP_4) | instskip(SKIP_2) | instid1(VALU_DEP_3)
	v_bitop3_b16 v9, v11, v9, 0xff bitop3:0xec
	v_and_b32_e32 v11, 0xff0000, v10
	v_and_b32_e32 v12, 0xffff, v12
	v_lshlrev_b32_e32 v9, 16, v9
	s_delay_alu instid0(VALU_DEP_3) | instskip(NEXT) | instid1(VALU_DEP_2)
	v_perm_b32 v36, v10, v11, 0x3020504
                                        ; implicit-def: $vgpr10
                                        ; implicit-def: $vgpr11
	v_or_b32_e32 v9, v12, v9
                                        ; implicit-def: $vgpr12
.LBB39_55:
	s_and_not1_saveexec_b32 s1, s0
	s_cbranch_execz .LBB39_59
; %bb.56:
	v_dual_add_nc_u32 v9, s17, v25 :: v_dual_add_nc_u32 v28, s19, v25
	s_mov_b32 s3, 0
	s_mov_b32 s4, exec_lo
	s_delay_alu instid0(VALU_DEP_1) | instskip(NEXT) | instid1(VALU_DEP_2)
	v_mul_lo_u32 v9, v9, s16
	v_mul_lo_u32 v28, v28, s18
	s_delay_alu instid0(VALU_DEP_1) | instskip(NEXT) | instid1(VALU_DEP_1)
	v_sub_nc_u32_e32 v9, v9, v28
	v_cmp_lt_u32_e32 vcc_lo, s20, v9
	v_cmpx_ge_u32_e64 s20, v9
	s_cbranch_execz .LBB39_58
; %bb.57:
	v_dual_add_nc_u32 v9, s22, v25 :: v_dual_add_nc_u32 v28, s38, v25
	s_delay_alu instid0(VALU_DEP_1) | instskip(NEXT) | instid1(VALU_DEP_2)
	v_mul_lo_u32 v9, v9, s21
	v_mul_lo_u32 v28, v28, s23
	s_delay_alu instid0(VALU_DEP_1) | instskip(NEXT) | instid1(VALU_DEP_1)
	v_sub_nc_u32_e32 v9, v9, v28
	v_cmp_lt_u32_e64 s0, s39, v9
	s_and_b32 s3, s0, exec_lo
.LBB39_58:
	s_or_b32 exec_lo, exec_lo, s4
	v_cndmask_b32_e64 v9, 0, 1, vcc_lo
	v_dual_lshrrev_b32 v28, 8, v10 :: v_dual_lshrrev_b32 v30, 16, v10
	v_cndmask_b32_e64 v29, 0, 1, s3
	v_lshlrev_b16 v13, 8, v13
	s_delay_alu instid0(VALU_DEP_4) | instskip(NEXT) | instid1(VALU_DEP_4)
	v_lshlrev_b16 v9, 8, v9
	v_lshlrev_b16 v28, 8, v28
	;; [unrolled: 1-line block ×3, first 2 shown]
	s_delay_alu instid0(VALU_DEP_4) | instskip(NEXT) | instid1(VALU_DEP_4)
	v_bitop3_b16 v11, v11, v13, 0xff bitop3:0xec
	v_bitop3_b16 v9, v30, v9, 0xff bitop3:0xec
	s_delay_alu instid0(VALU_DEP_4) | instskip(NEXT) | instid1(VALU_DEP_3)
	v_bitop3_b16 v10, v10, v28, 0xff bitop3:0xec
	v_dual_lshlrev_b32 v11, 16, v11 :: v_dual_bitop2_b32 v12, v29, v12 bitop3:0x54
	s_delay_alu instid0(VALU_DEP_3) | instskip(NEXT) | instid1(VALU_DEP_3)
	v_lshlrev_b32_e32 v9, 16, v9
	v_and_b32_e32 v10, 0xffff, v10
	s_delay_alu instid0(VALU_DEP_3) | instskip(NEXT) | instid1(VALU_DEP_2)
	v_and_b32_e32 v12, 0xffff, v12
	v_or_b32_e32 v36, v10, v9
	s_delay_alu instid0(VALU_DEP_2)
	v_or_b32_e32 v9, v12, v11
.LBB39_59:
	s_or_b32 exec_lo, exec_lo, s1
	v_dual_add_nc_u32 v10, 4, v15 :: v_dual_lshrrev_b32 v28, 8, v8
	v_dual_lshrrev_b32 v11, 16, v8 :: v_dual_lshrrev_b32 v29, 24, v8
	s_delay_alu instid0(VALU_DEP_3) | instskip(NEXT) | instid1(VALU_DEP_3)
	v_dual_lshrrev_b32 v13, 24, v9 :: v_dual_lshrrev_b32 v12, 16, v9
	v_cmp_le_u32_e32 vcc_lo, s5, v10
                                        ; implicit-def: $vgpr8
                                        ; implicit-def: $vgpr10
	s_and_saveexec_b32 s0, vcc_lo
	s_delay_alu instid0(SALU_CYCLE_1)
	s_xor_b32 s0, exec_lo, s0
	s_cbranch_execz .LBB39_61
; %bb.60:
	v_lshlrev_b16 v8, 8, v29
	v_lshlrev_b16 v10, 8, v28
	;; [unrolled: 1-line block ×3, first 2 shown]
	v_perm_b32 v7, v7, v7, 0x3060504
                                        ; implicit-def: $vgpr28
                                        ; implicit-def: $vgpr29
	s_delay_alu instid0(VALU_DEP_4) | instskip(NEXT) | instid1(VALU_DEP_4)
	v_bitop3_b16 v8, v11, v8, 0xff bitop3:0xec
	v_and_b32_e32 v10, 0xffff, v10
	s_delay_alu instid0(VALU_DEP_4) | instskip(NEXT) | instid1(VALU_DEP_3)
	v_bitop3_b16 v11, v12, v13, 0xff bitop3:0xec
                                        ; implicit-def: $vgpr13
	v_lshlrev_b32_e32 v12, 16, v8
	s_delay_alu instid0(VALU_DEP_2) | instskip(NEXT) | instid1(VALU_DEP_2)
	v_perm_b32 v8, v11, v9, 0x5040c00
                                        ; implicit-def: $vgpr9
                                        ; implicit-def: $vgpr11
	v_or_b32_e32 v10, v10, v12
                                        ; implicit-def: $vgpr12
.LBB39_61:
	s_and_not1_saveexec_b32 s1, s0
	s_cbranch_execz .LBB39_65
; %bb.62:
	v_dual_add_nc_u32 v8, s17, v22 :: v_dual_add_nc_u32 v10, s19, v22
	s_mov_b32 s3, 0
	s_mov_b32 s4, exec_lo
	s_delay_alu instid0(VALU_DEP_1) | instskip(NEXT) | instid1(VALU_DEP_2)
	v_mul_lo_u32 v8, v8, s16
	v_mul_lo_u32 v10, v10, s18
	s_delay_alu instid0(VALU_DEP_1) | instskip(NEXT) | instid1(VALU_DEP_1)
	v_sub_nc_u32_e32 v8, v8, v10
	v_cmp_lt_u32_e32 vcc_lo, s20, v8
	v_cmpx_ge_u32_e64 s20, v8
	s_cbranch_execz .LBB39_64
; %bb.63:
	v_dual_add_nc_u32 v8, s22, v22 :: v_dual_add_nc_u32 v10, s38, v22
	s_delay_alu instid0(VALU_DEP_1) | instskip(NEXT) | instid1(VALU_DEP_2)
	v_mul_lo_u32 v8, v8, s21
	v_mul_lo_u32 v10, v10, s23
	s_delay_alu instid0(VALU_DEP_1) | instskip(NEXT) | instid1(VALU_DEP_1)
	v_sub_nc_u32_e32 v8, v8, v10
	v_cmp_lt_u32_e64 s0, s39, v8
	s_and_b32 s3, s0, exec_lo
.LBB39_64:
	s_or_b32 exec_lo, exec_lo, s4
	v_cndmask_b32_e64 v8, 0, 1, s3
	v_cndmask_b32_e64 v10, 0, 1, vcc_lo
	v_lshlrev_b16 v29, 8, v29
	v_lshlrev_b16 v28, 8, v28
	;; [unrolled: 1-line block ×4, first 2 shown]
	s_delay_alu instid0(VALU_DEP_4) | instskip(NEXT) | instid1(VALU_DEP_4)
	v_bitop3_b16 v11, v11, v29, 0xff bitop3:0xec
	v_or_b32_e32 v10, v10, v28
	s_delay_alu instid0(VALU_DEP_4) | instskip(NEXT) | instid1(VALU_DEP_4)
	v_bitop3_b16 v12, v12, v13, 0xff bitop3:0xec
	v_bitop3_b16 v8, v9, v8, 0xff bitop3:0xec
	s_delay_alu instid0(VALU_DEP_4) | instskip(NEXT) | instid1(VALU_DEP_4)
	v_lshlrev_b32_e32 v9, 16, v11
	v_and_b32_e32 v10, 0xffff, v10
	s_delay_alu instid0(VALU_DEP_4) | instskip(NEXT) | instid1(VALU_DEP_4)
	v_lshlrev_b32_e32 v11, 16, v12
	v_and_b32_e32 v8, 0xffff, v8
	s_delay_alu instid0(VALU_DEP_3) | instskip(NEXT) | instid1(VALU_DEP_2)
	v_or_b32_e32 v10, v10, v9
	v_or_b32_e32 v8, v8, v11
.LBB39_65:
	s_or_b32 exec_lo, exec_lo, s1
	s_delay_alu instid0(VALU_DEP_1) | instskip(NEXT) | instid1(VALU_DEP_2)
	v_dual_add_nc_u32 v9, 5, v15 :: v_dual_lshrrev_b32 v12, 16, v10
	v_dual_lshrrev_b32 v13, 24, v10 :: v_dual_lshrrev_b32 v28, 8, v8
                                        ; implicit-def: $vgpr11
	s_delay_alu instid0(VALU_DEP_2) | instskip(SKIP_1) | instid1(SALU_CYCLE_1)
	v_cmp_le_u32_e32 vcc_lo, s5, v9
                                        ; implicit-def: $vgpr9
	s_and_saveexec_b32 s0, vcc_lo
	s_xor_b32 s0, exec_lo, s0
	s_cbranch_execz .LBB39_67
; %bb.66:
	v_lshlrev_b16 v9, 8, v28
	v_lshlrev_b16 v11, 8, v13
	v_perm_b32 v7, v7, v7, 0x3060504
                                        ; implicit-def: $vgpr13
                                        ; implicit-def: $vgpr28
	s_delay_alu instid0(VALU_DEP_3) | instskip(NEXT) | instid1(VALU_DEP_3)
	v_bitop3_b16 v9, v8, v9, 0xff bitop3:0xec
	v_bitop3_b16 v11, v12, v11, 0xff bitop3:0xec
                                        ; implicit-def: $vgpr12
	s_delay_alu instid0(VALU_DEP_2) | instskip(NEXT) | instid1(VALU_DEP_2)
	v_and_b32_e32 v9, 0xffff, v9
	v_perm_b32 v11, v11, v10, 0x5040c00
                                        ; implicit-def: $vgpr10
	s_delay_alu instid0(VALU_DEP_2)
	v_and_or_b32 v9, 0xff000000, v8, v9
                                        ; implicit-def: $vgpr8
.LBB39_67:
	s_and_not1_saveexec_b32 s1, s0
	s_cbranch_execz .LBB39_71
; %bb.68:
	v_dual_add_nc_u32 v9, s17, v23 :: v_dual_add_nc_u32 v11, s19, v23
	s_mov_b32 s3, 0
	s_mov_b32 s4, exec_lo
	s_delay_alu instid0(VALU_DEP_1) | instskip(NEXT) | instid1(VALU_DEP_2)
	v_mul_lo_u32 v9, v9, s16
	v_mul_lo_u32 v11, v11, s18
	s_delay_alu instid0(VALU_DEP_1) | instskip(NEXT) | instid1(VALU_DEP_1)
	v_sub_nc_u32_e32 v9, v9, v11
	v_cmp_lt_u32_e32 vcc_lo, s20, v9
	v_cmpx_ge_u32_e64 s20, v9
	s_cbranch_execz .LBB39_70
; %bb.69:
	v_dual_add_nc_u32 v9, s22, v23 :: v_dual_add_nc_u32 v11, s38, v23
	s_delay_alu instid0(VALU_DEP_1) | instskip(NEXT) | instid1(VALU_DEP_2)
	v_mul_lo_u32 v9, v9, s21
	v_mul_lo_u32 v11, v11, s23
	s_delay_alu instid0(VALU_DEP_1) | instskip(NEXT) | instid1(VALU_DEP_1)
	v_sub_nc_u32_e32 v9, v9, v11
	v_cmp_lt_u32_e64 s0, s39, v9
	s_and_b32 s3, s0, exec_lo
.LBB39_70:
	s_or_b32 exec_lo, exec_lo, s4
	v_cndmask_b32_e64 v9, 0, 1, vcc_lo
	v_lshrrev_b32_e32 v11, 24, v8
	v_cndmask_b32_e64 v29, 0, 1, s3
	v_lshlrev_b16 v13, 8, v13
	v_lshlrev_b16 v28, 8, v28
	;; [unrolled: 1-line block ×4, first 2 shown]
	s_delay_alu instid0(VALU_DEP_4) | instskip(NEXT) | instid1(VALU_DEP_4)
	v_bitop3_b16 v12, v12, v13, 0xff bitop3:0xec
	v_bitop3_b16 v8, v8, v28, 0xff bitop3:0xec
	s_delay_alu instid0(VALU_DEP_4) | instskip(NEXT) | instid1(VALU_DEP_3)
	v_bitop3_b16 v9, v10, v9, 0xff bitop3:0xec
	v_dual_lshlrev_b32 v11, 16, v12 :: v_dual_bitop2_b32 v10, v29, v11 bitop3:0x54
	s_delay_alu instid0(VALU_DEP_3) | instskip(NEXT) | instid1(VALU_DEP_3)
	v_and_b32_e32 v8, 0xffff, v8
	v_and_b32_e32 v9, 0xffff, v9
	s_delay_alu instid0(VALU_DEP_1) | instskip(NEXT) | instid1(VALU_DEP_1)
	v_dual_lshlrev_b32 v10, 16, v10 :: v_dual_bitop2_b32 v11, v9, v11 bitop3:0x54
	v_or_b32_e32 v9, v8, v10
.LBB39_71:
	s_or_b32 exec_lo, exec_lo, s1
	v_add_nc_u32_e32 v8, 6, v15
	s_delay_alu instid0(VALU_DEP_3) | instskip(NEXT) | instid1(VALU_DEP_2)
	v_lshrrev_b32_e32 v10, 8, v11
                                        ; implicit-def: $vgpr37
	v_cmp_le_u32_e32 vcc_lo, s5, v8
                                        ; implicit-def: $vgpr8
	s_and_saveexec_b32 s0, vcc_lo
	s_delay_alu instid0(SALU_CYCLE_1)
	s_xor_b32 s0, exec_lo, s0
	s_cbranch_execz .LBB39_73
; %bb.72:
	v_lshlrev_b16 v8, 8, v10
	v_and_b32_e32 v10, 0xff0000, v9
	v_perm_b32 v7, v7, v7, 0x3060504
	s_delay_alu instid0(VALU_DEP_3) | instskip(NEXT) | instid1(VALU_DEP_3)
	v_bitop3_b16 v8, v11, v8, 0xff bitop3:0xec
	v_perm_b32 v37, v9, v10, 0x3020504
                                        ; implicit-def: $vgpr10
                                        ; implicit-def: $vgpr9
	s_delay_alu instid0(VALU_DEP_2) | instskip(NEXT) | instid1(VALU_DEP_1)
	v_and_b32_e32 v8, 0xffff, v8
	v_and_or_b32 v8, 0xff000000, v11, v8
                                        ; implicit-def: $vgpr11
.LBB39_73:
	s_and_not1_saveexec_b32 s1, s0
	s_cbranch_execz .LBB39_77
; %bb.74:
	v_dual_add_nc_u32 v8, s17, v20 :: v_dual_add_nc_u32 v12, s19, v20
	s_mov_b32 s3, 0
	s_mov_b32 s4, exec_lo
	s_delay_alu instid0(VALU_DEP_1) | instskip(NEXT) | instid1(VALU_DEP_2)
	v_mul_lo_u32 v8, v8, s16
	v_mul_lo_u32 v12, v12, s18
	s_delay_alu instid0(VALU_DEP_1) | instskip(NEXT) | instid1(VALU_DEP_1)
	v_sub_nc_u32_e32 v8, v8, v12
	v_cmp_lt_u32_e32 vcc_lo, s20, v8
	v_cmpx_ge_u32_e64 s20, v8
	s_cbranch_execz .LBB39_76
; %bb.75:
	v_dual_add_nc_u32 v8, s22, v20 :: v_dual_add_nc_u32 v12, s38, v20
	s_delay_alu instid0(VALU_DEP_1) | instskip(NEXT) | instid1(VALU_DEP_2)
	v_mul_lo_u32 v8, v8, s21
	v_mul_lo_u32 v12, v12, s23
	s_delay_alu instid0(VALU_DEP_1) | instskip(NEXT) | instid1(VALU_DEP_1)
	v_sub_nc_u32_e32 v8, v8, v12
	v_cmp_lt_u32_e64 s0, s39, v8
	s_and_b32 s3, s0, exec_lo
.LBB39_76:
	s_or_b32 exec_lo, exec_lo, s4
	v_dual_lshrrev_b32 v8, 24, v11 :: v_dual_lshrrev_b32 v28, 8, v9
	v_cndmask_b32_e64 v12, 0, 1, s3
	v_cndmask_b32_e64 v13, 0, 1, vcc_lo
	v_lshlrev_b16 v10, 8, v10
	s_delay_alu instid0(VALU_DEP_4)
	v_lshlrev_b16 v8, 8, v8
	v_lshrrev_b32_e32 v29, 16, v9
	v_lshlrev_b16 v12, 8, v12
	v_lshlrev_b16 v28, 8, v28
	v_bitop3_b16 v10, v11, v10, 0xff bitop3:0xec
	v_or_b32_e32 v8, v13, v8
	s_delay_alu instid0(VALU_DEP_4) | instskip(NEXT) | instid1(VALU_DEP_4)
	v_bitop3_b16 v11, v29, v12, 0xff bitop3:0xec
	v_bitop3_b16 v9, v9, v28, 0xff bitop3:0xec
	s_delay_alu instid0(VALU_DEP_4) | instskip(NEXT) | instid1(VALU_DEP_3)
	v_and_b32_e32 v10, 0xffff, v10
	v_dual_lshlrev_b32 v8, 16, v8 :: v_dual_lshlrev_b32 v11, 16, v11
	s_delay_alu instid0(VALU_DEP_3) | instskip(NEXT) | instid1(VALU_DEP_2)
	v_and_b32_e32 v9, 0xffff, v9
	v_or_b32_e32 v8, v10, v8
	s_delay_alu instid0(VALU_DEP_2)
	v_or_b32_e32 v37, v9, v11
.LBB39_77:
	s_or_b32 exec_lo, exec_lo, s1
	v_add_nc_u32_e32 v11, 7, v15
	v_dual_lshrrev_b32 v9, 8, v7 :: v_dual_lshrrev_b32 v10, 16, v7
                                        ; implicit-def: $vgpr38
	s_delay_alu instid0(VALU_DEP_2) | instskip(SKIP_2) | instid1(SALU_CYCLE_1)
	v_cmp_le_u32_e32 vcc_lo, s5, v11
	v_lshrrev_b32_e32 v11, 24, v7
                                        ; implicit-def: $vgpr7
	s_and_saveexec_b32 s0, vcc_lo
	s_xor_b32 s0, exec_lo, s0
	s_cbranch_execz .LBB39_79
; %bb.78:
	s_delay_alu instid0(VALU_DEP_1) | instskip(SKIP_1) | instid1(VALU_DEP_2)
	v_lshlrev_b16 v7, 8, v11
	v_lshlrev_b16 v9, 8, v9
                                        ; implicit-def: $vgpr11
	v_bitop3_b16 v7, v10, v7, 0xff bitop3:0xec
	v_and_b32_e32 v10, 0xff0000, v8
	s_delay_alu instid0(VALU_DEP_3) | instskip(NEXT) | instid1(VALU_DEP_3)
	v_and_b32_e32 v9, 0xffff, v9
	v_lshlrev_b32_e32 v7, 16, v7
	s_delay_alu instid0(VALU_DEP_3) | instskip(NEXT) | instid1(VALU_DEP_2)
	v_perm_b32 v38, v8, v10, 0x3020504
                                        ; implicit-def: $vgpr8
                                        ; implicit-def: $vgpr10
	v_or_b32_e32 v7, v9, v7
                                        ; implicit-def: $vgpr9
.LBB39_79:
	s_and_not1_saveexec_b32 s1, s0
	s_cbranch_execz .LBB39_83
; %bb.80:
	v_dual_add_nc_u32 v7, s17, v21 :: v_dual_add_nc_u32 v12, s19, v21
	s_mov_b32 s3, 0
	s_mov_b32 s4, exec_lo
	s_delay_alu instid0(VALU_DEP_1) | instskip(NEXT) | instid1(VALU_DEP_2)
	v_mul_lo_u32 v7, v7, s16
	v_mul_lo_u32 v12, v12, s18
	s_delay_alu instid0(VALU_DEP_1) | instskip(NEXT) | instid1(VALU_DEP_1)
	v_sub_nc_u32_e32 v7, v7, v12
	v_cmp_lt_u32_e32 vcc_lo, s20, v7
	v_cmpx_ge_u32_e64 s20, v7
	s_cbranch_execz .LBB39_82
; %bb.81:
	v_dual_add_nc_u32 v7, s22, v21 :: v_dual_add_nc_u32 v12, s38, v21
	s_delay_alu instid0(VALU_DEP_1) | instskip(NEXT) | instid1(VALU_DEP_2)
	v_mul_lo_u32 v7, v7, s21
	v_mul_lo_u32 v12, v12, s23
	s_delay_alu instid0(VALU_DEP_1) | instskip(NEXT) | instid1(VALU_DEP_1)
	v_sub_nc_u32_e32 v7, v7, v12
	v_cmp_lt_u32_e64 s0, s39, v7
	s_and_b32 s3, s0, exec_lo
.LBB39_82:
	s_or_b32 exec_lo, exec_lo, s4
	v_cndmask_b32_e64 v7, 0, 1, vcc_lo
	v_dual_lshrrev_b32 v12, 8, v8 :: v_dual_lshrrev_b32 v28, 16, v8
	v_cndmask_b32_e64 v13, 0, 1, s3
	v_lshlrev_b16 v11, 8, v11
	s_delay_alu instid0(VALU_DEP_4) | instskip(NEXT) | instid1(VALU_DEP_4)
	v_lshlrev_b16 v7, 8, v7
	v_lshlrev_b16 v12, 8, v12
	;; [unrolled: 1-line block ×3, first 2 shown]
	s_delay_alu instid0(VALU_DEP_4) | instskip(NEXT) | instid1(VALU_DEP_4)
	v_bitop3_b16 v10, v10, v11, 0xff bitop3:0xec
	v_bitop3_b16 v7, v28, v7, 0xff bitop3:0xec
	s_delay_alu instid0(VALU_DEP_4) | instskip(NEXT) | instid1(VALU_DEP_3)
	v_bitop3_b16 v8, v8, v12, 0xff bitop3:0xec
	v_dual_lshlrev_b32 v10, 16, v10 :: v_dual_bitop2_b32 v9, v13, v9 bitop3:0x54
	s_delay_alu instid0(VALU_DEP_3) | instskip(NEXT) | instid1(VALU_DEP_3)
	v_lshlrev_b32_e32 v7, 16, v7
	v_and_b32_e32 v8, 0xffff, v8
	s_delay_alu instid0(VALU_DEP_3) | instskip(NEXT) | instid1(VALU_DEP_2)
	v_and_b32_e32 v9, 0xffff, v9
	v_or_b32_e32 v38, v8, v7
	s_delay_alu instid0(VALU_DEP_2)
	v_or_b32_e32 v7, v9, v10
.LBB39_83:
	s_or_b32 exec_lo, exec_lo, s1
	v_dual_add_nc_u32 v8, 8, v15 :: v_dual_lshrrev_b32 v13, 24, v6
	s_delay_alu instid0(VALU_DEP_2) | instskip(SKIP_1) | instid1(VALU_DEP_3)
	v_dual_lshrrev_b32 v9, 16, v7 :: v_dual_lshrrev_b32 v10, 24, v7
	v_dual_lshrrev_b32 v11, 16, v6 :: v_dual_lshrrev_b32 v12, 8, v6
	v_cmp_le_u32_e32 vcc_lo, s5, v8
                                        ; implicit-def: $vgpr6
                                        ; implicit-def: $vgpr8
	s_and_saveexec_b32 s0, vcc_lo
	s_delay_alu instid0(SALU_CYCLE_1)
	s_xor_b32 s0, exec_lo, s0
	s_cbranch_execz .LBB39_85
; %bb.84:
	v_lshlrev_b16 v6, 8, v13
	v_lshlrev_b16 v8, 8, v12
	;; [unrolled: 1-line block ×3, first 2 shown]
	v_perm_b32 v1, v1, v1, 0x3060504
                                        ; implicit-def: $vgpr13
                                        ; implicit-def: $vgpr12
	s_delay_alu instid0(VALU_DEP_4) | instskip(NEXT) | instid1(VALU_DEP_4)
	v_bitop3_b16 v6, v11, v6, 0xff bitop3:0xec
	v_and_b32_e32 v8, 0xffff, v8
	s_delay_alu instid0(VALU_DEP_4) | instskip(NEXT) | instid1(VALU_DEP_3)
	v_bitop3_b16 v9, v9, v10, 0xff bitop3:0xec
                                        ; implicit-def: $vgpr10
                                        ; implicit-def: $vgpr11
	v_lshlrev_b32_e32 v6, 16, v6
	s_delay_alu instid0(VALU_DEP_1) | instskip(NEXT) | instid1(VALU_DEP_3)
	v_or_b32_e32 v8, v8, v6
	v_perm_b32 v6, v9, v7, 0x5040c00
                                        ; implicit-def: $vgpr7
                                        ; implicit-def: $vgpr9
.LBB39_85:
	s_and_not1_saveexec_b32 s1, s0
	s_cbranch_execz .LBB39_89
; %bb.86:
	v_dual_add_nc_u32 v6, s17, v18 :: v_dual_add_nc_u32 v8, s19, v18
	s_mov_b32 s3, 0
	s_mov_b32 s4, exec_lo
	s_delay_alu instid0(VALU_DEP_1) | instskip(NEXT) | instid1(VALU_DEP_2)
	v_mul_lo_u32 v6, v6, s16
	v_mul_lo_u32 v8, v8, s18
	s_delay_alu instid0(VALU_DEP_1) | instskip(NEXT) | instid1(VALU_DEP_1)
	v_sub_nc_u32_e32 v6, v6, v8
	v_cmp_lt_u32_e32 vcc_lo, s20, v6
	v_cmpx_ge_u32_e64 s20, v6
	s_cbranch_execz .LBB39_88
; %bb.87:
	v_dual_add_nc_u32 v6, s22, v18 :: v_dual_add_nc_u32 v8, s38, v18
	s_delay_alu instid0(VALU_DEP_1) | instskip(NEXT) | instid1(VALU_DEP_2)
	v_mul_lo_u32 v6, v6, s21
	v_mul_lo_u32 v8, v8, s23
	s_delay_alu instid0(VALU_DEP_1) | instskip(NEXT) | instid1(VALU_DEP_1)
	v_sub_nc_u32_e32 v6, v6, v8
	v_cmp_lt_u32_e64 s0, s39, v6
	s_and_b32 s3, s0, exec_lo
.LBB39_88:
	s_or_b32 exec_lo, exec_lo, s4
	v_cndmask_b32_e64 v6, 0, 1, s3
	v_cndmask_b32_e64 v8, 0, 1, vcc_lo
	v_lshlrev_b16 v13, 8, v13
	v_lshlrev_b16 v12, 8, v12
	;; [unrolled: 1-line block ×4, first 2 shown]
	s_delay_alu instid0(VALU_DEP_4) | instskip(NEXT) | instid1(VALU_DEP_4)
	v_bitop3_b16 v11, v11, v13, 0xff bitop3:0xec
	v_or_b32_e32 v8, v8, v12
	s_delay_alu instid0(VALU_DEP_4) | instskip(NEXT) | instid1(VALU_DEP_4)
	v_bitop3_b16 v9, v9, v10, 0xff bitop3:0xec
	v_bitop3_b16 v6, v7, v6, 0xff bitop3:0xec
	s_delay_alu instid0(VALU_DEP_4) | instskip(NEXT) | instid1(VALU_DEP_4)
	v_lshlrev_b32_e32 v7, 16, v11
	v_and_b32_e32 v8, 0xffff, v8
	s_delay_alu instid0(VALU_DEP_4) | instskip(NEXT) | instid1(VALU_DEP_4)
	v_lshlrev_b32_e32 v9, 16, v9
	v_and_b32_e32 v6, 0xffff, v6
	s_delay_alu instid0(VALU_DEP_3) | instskip(NEXT) | instid1(VALU_DEP_2)
	v_or_b32_e32 v8, v8, v7
	v_or_b32_e32 v6, v6, v9
.LBB39_89:
	s_or_b32 exec_lo, exec_lo, s1
	s_delay_alu instid0(VALU_DEP_1) | instskip(NEXT) | instid1(VALU_DEP_3)
	v_dual_add_nc_u32 v7, 9, v15 :: v_dual_lshrrev_b32 v11, 8, v6
	v_dual_lshrrev_b32 v12, 24, v8 :: v_dual_lshrrev_b32 v10, 16, v8
                                        ; implicit-def: $vgpr9
	s_delay_alu instid0(VALU_DEP_2) | instskip(SKIP_1) | instid1(SALU_CYCLE_1)
	v_cmp_le_u32_e32 vcc_lo, s5, v7
                                        ; implicit-def: $vgpr7
	s_and_saveexec_b32 s0, vcc_lo
	s_xor_b32 s0, exec_lo, s0
	s_cbranch_execz .LBB39_91
; %bb.90:
	v_lshlrev_b16 v7, 8, v11
	v_lshlrev_b16 v9, 8, v12
	v_perm_b32 v1, v1, v1, 0x3060504
                                        ; implicit-def: $vgpr11
                                        ; implicit-def: $vgpr12
	s_delay_alu instid0(VALU_DEP_3) | instskip(NEXT) | instid1(VALU_DEP_3)
	v_bitop3_b16 v7, v6, v7, 0xff bitop3:0xec
	v_bitop3_b16 v9, v10, v9, 0xff bitop3:0xec
                                        ; implicit-def: $vgpr10
	s_delay_alu instid0(VALU_DEP_2) | instskip(NEXT) | instid1(VALU_DEP_2)
	v_and_b32_e32 v7, 0xffff, v7
	v_perm_b32 v9, v9, v8, 0x5040c00
                                        ; implicit-def: $vgpr8
	s_delay_alu instid0(VALU_DEP_2)
	v_and_or_b32 v7, 0xff000000, v6, v7
                                        ; implicit-def: $vgpr6
.LBB39_91:
	s_and_not1_saveexec_b32 s1, s0
	s_cbranch_execz .LBB39_95
; %bb.92:
	v_dual_add_nc_u32 v7, s17, v19 :: v_dual_add_nc_u32 v9, s19, v19
	s_mov_b32 s3, 0
	s_mov_b32 s4, exec_lo
	s_delay_alu instid0(VALU_DEP_1) | instskip(NEXT) | instid1(VALU_DEP_2)
	v_mul_lo_u32 v7, v7, s16
	v_mul_lo_u32 v9, v9, s18
	s_delay_alu instid0(VALU_DEP_1) | instskip(NEXT) | instid1(VALU_DEP_1)
	v_sub_nc_u32_e32 v7, v7, v9
	v_cmp_lt_u32_e32 vcc_lo, s20, v7
	v_cmpx_ge_u32_e64 s20, v7
	s_cbranch_execz .LBB39_94
; %bb.93:
	v_dual_add_nc_u32 v7, s22, v19 :: v_dual_add_nc_u32 v9, s38, v19
	s_delay_alu instid0(VALU_DEP_1) | instskip(NEXT) | instid1(VALU_DEP_2)
	v_mul_lo_u32 v7, v7, s21
	v_mul_lo_u32 v9, v9, s23
	s_delay_alu instid0(VALU_DEP_1) | instskip(NEXT) | instid1(VALU_DEP_1)
	v_sub_nc_u32_e32 v7, v7, v9
	v_cmp_lt_u32_e64 s0, s39, v7
	s_and_b32 s3, s0, exec_lo
.LBB39_94:
	s_or_b32 exec_lo, exec_lo, s4
	v_cndmask_b32_e64 v7, 0, 1, vcc_lo
	v_lshrrev_b32_e32 v9, 24, v6
	v_cndmask_b32_e64 v13, 0, 1, s3
	v_lshlrev_b16 v12, 8, v12
	v_lshlrev_b16 v11, 8, v11
	;; [unrolled: 1-line block ×4, first 2 shown]
	s_delay_alu instid0(VALU_DEP_4) | instskip(NEXT) | instid1(VALU_DEP_4)
	v_bitop3_b16 v10, v10, v12, 0xff bitop3:0xec
	v_bitop3_b16 v6, v6, v11, 0xff bitop3:0xec
	s_delay_alu instid0(VALU_DEP_4) | instskip(NEXT) | instid1(VALU_DEP_3)
	v_bitop3_b16 v7, v8, v7, 0xff bitop3:0xec
	v_dual_lshlrev_b32 v9, 16, v10 :: v_dual_bitop2_b32 v8, v13, v9 bitop3:0x54
	s_delay_alu instid0(VALU_DEP_3) | instskip(NEXT) | instid1(VALU_DEP_3)
	v_and_b32_e32 v6, 0xffff, v6
	v_and_b32_e32 v7, 0xffff, v7
	s_delay_alu instid0(VALU_DEP_1) | instskip(NEXT) | instid1(VALU_DEP_1)
	v_dual_lshlrev_b32 v8, 16, v8 :: v_dual_bitop2_b32 v9, v7, v9 bitop3:0x54
	v_or_b32_e32 v7, v6, v8
.LBB39_95:
	s_or_b32 exec_lo, exec_lo, s1
	s_delay_alu instid0(VALU_DEP_2) | instskip(NEXT) | instid1(VALU_DEP_1)
	v_dual_add_nc_u32 v6, 10, v15 :: v_dual_lshrrev_b32 v8, 8, v9
                                        ; implicit-def: $vgpr40
	v_cmp_le_u32_e32 vcc_lo, s5, v6
                                        ; implicit-def: $vgpr6
	s_and_saveexec_b32 s0, vcc_lo
	s_delay_alu instid0(SALU_CYCLE_1)
	s_xor_b32 s0, exec_lo, s0
	s_cbranch_execz .LBB39_97
; %bb.96:
	v_lshlrev_b16 v6, 8, v8
	v_and_b32_e32 v8, 0xff0000, v7
	v_perm_b32 v1, v1, v1, 0x3060504
	s_delay_alu instid0(VALU_DEP_3) | instskip(NEXT) | instid1(VALU_DEP_3)
	v_bitop3_b16 v6, v9, v6, 0xff bitop3:0xec
	v_perm_b32 v40, v7, v8, 0x3020504
                                        ; implicit-def: $vgpr8
                                        ; implicit-def: $vgpr7
	s_delay_alu instid0(VALU_DEP_2) | instskip(NEXT) | instid1(VALU_DEP_1)
	v_and_b32_e32 v6, 0xffff, v6
	v_and_or_b32 v6, 0xff000000, v9, v6
                                        ; implicit-def: $vgpr9
.LBB39_97:
	s_and_not1_saveexec_b32 s1, s0
	s_cbranch_execz .LBB39_101
; %bb.98:
	v_dual_add_nc_u32 v6, s17, v16 :: v_dual_add_nc_u32 v10, s19, v16
	s_mov_b32 s3, 0
	s_mov_b32 s4, exec_lo
	s_delay_alu instid0(VALU_DEP_1) | instskip(NEXT) | instid1(VALU_DEP_2)
	v_mul_lo_u32 v6, v6, s16
	v_mul_lo_u32 v10, v10, s18
	s_delay_alu instid0(VALU_DEP_1) | instskip(NEXT) | instid1(VALU_DEP_1)
	v_sub_nc_u32_e32 v6, v6, v10
	v_cmp_lt_u32_e32 vcc_lo, s20, v6
	v_cmpx_ge_u32_e64 s20, v6
	s_cbranch_execz .LBB39_100
; %bb.99:
	v_dual_add_nc_u32 v6, s22, v16 :: v_dual_add_nc_u32 v10, s38, v16
	s_delay_alu instid0(VALU_DEP_1) | instskip(NEXT) | instid1(VALU_DEP_2)
	v_mul_lo_u32 v6, v6, s21
	v_mul_lo_u32 v10, v10, s23
	s_delay_alu instid0(VALU_DEP_1) | instskip(NEXT) | instid1(VALU_DEP_1)
	v_sub_nc_u32_e32 v6, v6, v10
	v_cmp_lt_u32_e64 s0, s39, v6
	s_and_b32 s3, s0, exec_lo
.LBB39_100:
	s_or_b32 exec_lo, exec_lo, s4
	v_dual_lshrrev_b32 v6, 24, v9 :: v_dual_lshrrev_b32 v12, 8, v7
	v_cndmask_b32_e64 v10, 0, 1, s3
	v_cndmask_b32_e64 v11, 0, 1, vcc_lo
	v_lshlrev_b16 v8, 8, v8
	s_delay_alu instid0(VALU_DEP_4)
	v_lshlrev_b16 v6, 8, v6
	v_lshrrev_b32_e32 v13, 16, v7
	v_lshlrev_b16 v10, 8, v10
	v_lshlrev_b16 v12, 8, v12
	v_bitop3_b16 v8, v9, v8, 0xff bitop3:0xec
	v_or_b32_e32 v6, v11, v6
	s_delay_alu instid0(VALU_DEP_4) | instskip(NEXT) | instid1(VALU_DEP_4)
	v_bitop3_b16 v9, v13, v10, 0xff bitop3:0xec
	v_bitop3_b16 v7, v7, v12, 0xff bitop3:0xec
	s_delay_alu instid0(VALU_DEP_4) | instskip(NEXT) | instid1(VALU_DEP_3)
	v_and_b32_e32 v8, 0xffff, v8
	v_dual_lshlrev_b32 v6, 16, v6 :: v_dual_lshlrev_b32 v9, 16, v9
	s_delay_alu instid0(VALU_DEP_3) | instskip(NEXT) | instid1(VALU_DEP_2)
	v_and_b32_e32 v7, 0xffff, v7
	v_or_b32_e32 v6, v8, v6
	s_delay_alu instid0(VALU_DEP_2)
	v_or_b32_e32 v40, v7, v9
.LBB39_101:
	s_or_b32 exec_lo, exec_lo, s1
	v_dual_add_nc_u32 v7, 11, v15 :: v_dual_mov_b32 v39, 0
	s_mov_b32 s0, exec_lo
                                        ; implicit-def: $vgpr41
	s_delay_alu instid0(VALU_DEP_1)
	v_cmpx_le_u32_e64 s5, v7
	s_xor_b32 s0, exec_lo, s0
; %bb.102:
	v_and_b32_e32 v7, 0xff0000, v6
	v_perm_b32 v1, v1, v1, 0x3060504
	s_delay_alu instid0(VALU_DEP_2)
	v_perm_b32 v41, v6, v7, 0x3020504
                                        ; implicit-def: $vgpr6
; %bb.103:
	s_and_not1_saveexec_b32 s1, s0
	s_cbranch_execz .LBB39_107
; %bb.104:
	v_dual_add_nc_u32 v7, s17, v17 :: v_dual_add_nc_u32 v8, s19, v17
	s_mov_b32 s3, 0
	s_mov_b32 s4, exec_lo
	s_delay_alu instid0(VALU_DEP_1) | instskip(NEXT) | instid1(VALU_DEP_2)
	v_mul_lo_u32 v7, v7, s16
	v_mul_lo_u32 v8, v8, s18
	s_delay_alu instid0(VALU_DEP_1) | instskip(NEXT) | instid1(VALU_DEP_1)
	v_sub_nc_u32_e32 v7, v7, v8
	v_cmp_lt_u32_e32 vcc_lo, s20, v7
	v_cmpx_ge_u32_e64 s20, v7
	s_cbranch_execz .LBB39_106
; %bb.105:
	v_dual_add_nc_u32 v7, s22, v17 :: v_dual_add_nc_u32 v8, s38, v17
	s_delay_alu instid0(VALU_DEP_1) | instskip(NEXT) | instid1(VALU_DEP_2)
	v_mul_lo_u32 v7, v7, s21
	v_mul_lo_u32 v8, v8, s23
	s_delay_alu instid0(VALU_DEP_1) | instskip(NEXT) | instid1(VALU_DEP_1)
	v_sub_nc_u32_e32 v7, v7, v8
	v_cmp_lt_u32_e64 s0, s39, v7
	s_and_b32 s3, s0, exec_lo
.LBB39_106:
	s_or_b32 exec_lo, exec_lo, s4
	v_cndmask_b32_e64 v7, 0, 1, vcc_lo
	v_dual_lshrrev_b32 v8, 8, v6 :: v_dual_lshrrev_b32 v9, 16, v6
	v_cndmask_b32_e64 v39, 0, 1, s3
	s_delay_alu instid0(VALU_DEP_3) | instskip(NEXT) | instid1(VALU_DEP_3)
	v_lshlrev_b16 v7, 8, v7
	v_lshlrev_b16 v8, 8, v8
	s_delay_alu instid0(VALU_DEP_2) | instskip(NEXT) | instid1(VALU_DEP_2)
	v_bitop3_b16 v7, v9, v7, 0xff bitop3:0xec
	v_bitop3_b16 v6, v6, v8, 0xff bitop3:0xec
	s_delay_alu instid0(VALU_DEP_2) | instskip(NEXT) | instid1(VALU_DEP_2)
	v_lshlrev_b32_e32 v7, 16, v7
	v_and_b32_e32 v6, 0xffff, v6
	s_delay_alu instid0(VALU_DEP_1)
	v_or_b32_e32 v41, v6, v7
.LBB39_107:
	s_or_b32 exec_lo, exec_lo, s1
	v_dual_add_nc_u32 v8, 12, v15 :: v_dual_lshrrev_b32 v6, 8, v1
	v_dual_lshrrev_b32 v7, 16, v1 :: v_dual_lshrrev_b32 v1, 24, v1
	s_mov_b32 s0, exec_lo
                                        ; implicit-def: $vgpr42
	s_delay_alu instid0(VALU_DEP_2)
	v_cmpx_le_u32_e64 s5, v8
	s_xor_b32 s0, exec_lo, s0
; %bb.108:
	s_delay_alu instid0(VALU_DEP_2) | instskip(SKIP_1) | instid1(VALU_DEP_2)
	v_lshlrev_b16 v1, 8, v1
	v_lshlrev_b16 v6, 8, v6
	v_bitop3_b16 v1, v7, v1, 0xff bitop3:0xec
	s_delay_alu instid0(VALU_DEP_2) | instskip(NEXT) | instid1(VALU_DEP_2)
	v_and_b32_e32 v6, 0xffff, v6
                                        ; implicit-def: $vgpr7
	v_lshlrev_b32_e32 v1, 16, v1
	s_delay_alu instid0(VALU_DEP_1)
	v_or_b32_e32 v42, v6, v1
                                        ; implicit-def: $vgpr1
                                        ; implicit-def: $vgpr6
; %bb.109:
	s_or_saveexec_b32 s1, s0
	v_mov_b32_e32 v43, 0
	s_xor_b32 exec_lo, exec_lo, s1
	s_cbranch_execz .LBB39_113
; %bb.110:
	v_dual_add_nc_u32 v8, s19, v34 :: v_dual_add_nc_u32 v9, s17, v34
	s_mov_b32 s3, 0
	s_mov_b32 s4, exec_lo
	s_delay_alu instid0(VALU_DEP_1) | instskip(NEXT) | instid1(VALU_DEP_2)
	v_mul_lo_u32 v8, v8, s18
	v_mul_lo_u32 v9, v9, s16
	s_delay_alu instid0(VALU_DEP_1) | instskip(NEXT) | instid1(VALU_DEP_1)
	v_sub_nc_u32_e32 v8, v9, v8
	v_cmp_lt_u32_e32 vcc_lo, s20, v8
	v_cmpx_ge_u32_e64 s20, v8
	s_cbranch_execz .LBB39_112
; %bb.111:
	v_dual_add_nc_u32 v8, s38, v34 :: v_dual_add_nc_u32 v9, s22, v34
	s_delay_alu instid0(VALU_DEP_1) | instskip(NEXT) | instid1(VALU_DEP_2)
	v_mul_lo_u32 v8, v8, s23
	v_mul_lo_u32 v9, v9, s21
	s_delay_alu instid0(VALU_DEP_1) | instskip(NEXT) | instid1(VALU_DEP_1)
	v_sub_nc_u32_e32 v8, v9, v8
	v_cmp_lt_u32_e64 s0, s39, v8
	s_and_b32 s3, s0, exec_lo
.LBB39_112:
	s_or_b32 exec_lo, exec_lo, s4
	v_cndmask_b32_e64 v8, 0, 1, vcc_lo
	v_lshlrev_b16 v1, 8, v1
	v_lshlrev_b16 v6, 8, v6
	v_cndmask_b32_e64 v43, 0, 1, s3
	s_delay_alu instid0(VALU_DEP_3) | instskip(NEXT) | instid1(VALU_DEP_1)
	v_bitop3_b16 v1, v7, v1, 0xff bitop3:0xec
	v_dual_lshlrev_b32 v1, 16, v1 :: v_dual_bitop2_b32 v6, v8, v6 bitop3:0x54
	s_delay_alu instid0(VALU_DEP_1) | instskip(NEXT) | instid1(VALU_DEP_1)
	v_and_b32_e32 v6, 0xffff, v6
	v_or_b32_e32 v42, v6, v1
.LBB39_113:
	s_or_b32 exec_lo, exec_lo, s1
.LBB39_114:
	v_and_b32_e32 v66, 0xff, v36
	s_delay_alu instid0(VALU_DEP_2)
	v_bfe_u32 v67, v42, 8, 8
	v_bfe_u32 v64, v36, 8, 8
	;; [unrolled: 1-line block ×4, first 2 shown]
	v_dual_lshrrev_b32 v49, 24, v42 :: v_dual_lshrrev_b32 v48, 24, v36
	v_and_b32_e32 v62, 0xff, v37
	v_and_b32_e32 v60, 0xff, v38
	v_bfe_u32 v61, v37, 8, 8
	v_add3_u32 v1, v64, v66, v63
	v_add3_u32 v6, v65, v67, v49
	v_bfe_u32 v58, v38, 8, 8
	v_bfe_u32 v59, v37, 16, 8
	;; [unrolled: 1-line block ×3, first 2 shown]
	v_dual_lshrrev_b32 v47, 24, v37 :: v_dual_lshrrev_b32 v46, 24, v38
	v_add3_u32 v1, v1, v48, v60
	v_add3_u32 v6, v6, v62, v61
	v_and_b32_e32 v57, 0xff, v40
	v_and_b32_e32 v53, 0xff, v41
	v_bfe_u32 v55, v40, 8, 8
	v_add3_u32 v1, v1, v58, v56
	v_add3_u32 v6, v6, v59, v47
	v_bfe_u32 v52, v41, 8, 8
	v_bfe_u32 v54, v40, 16, 8
	;; [unrolled: 1-line block ×3, first 2 shown]
	v_dual_lshrrev_b32 v45, 24, v40 :: v_dual_lshrrev_b32 v44, 24, v41
	v_add3_u32 v1, v1, v46, v53
	v_add3_u32 v6, v6, v57, v55
	v_mbcnt_lo_u32_b32 v68, -1, 0
	v_and_b32_e32 v50, 0xff, v39
	v_and_b32_e32 v7, 0xff, v42
	;; [unrolled: 1-line block ×3, first 2 shown]
	v_add3_u32 v1, v1, v52, v51
	v_add3_u32 v6, v6, v54, v45
	v_and_b32_e32 v70, 15, v68
	v_and_b32_e32 v72, 16, v68
	v_dual_lshrrev_b32 v69, 5, v0 :: v_dual_bitop2_b32 v71, 31, v0 bitop3:0x54
	v_add3_u32 v73, v1, v44, v7
	v_add3_u32 v74, v6, v50, v8
	v_cmp_eq_u32_e64 s1, 0, v70
	v_cmp_lt_u32_e64 s0, 1, v70
	v_cmp_lt_u32_e64 s3, 3, v70
	s_cmp_lg_u32 s27, 0
	s_mov_b32 s4, -1
	v_cmp_lt_u32_e32 vcc_lo, 7, v70
	s_cbranch_scc0 .LBB39_135
; %bb.115:
	v_mov_b32_dpp v1, v74 row_shr:1 row_mask:0xf bank_mask:0xf
	v_mov_b32_dpp v6, v73 row_shr:1 row_mask:0xf bank_mask:0xf
	s_mov_b32 s4, exec_lo
	s_delay_alu instid0(VALU_DEP_1) | instskip(NEXT) | instid1(VALU_DEP_1)
	v_dual_add_nc_u32 v1, v1, v74 :: v_dual_add_nc_u32 v6, v6, v73
	v_dual_cndmask_b32 v1, v1, v74, s1 :: v_dual_cndmask_b32 v6, v6, v73, s1
	s_delay_alu instid0(VALU_DEP_1) | instskip(NEXT) | instid1(VALU_DEP_2)
	v_mov_b32_dpp v7, v1 row_shr:2 row_mask:0xf bank_mask:0xf
	v_mov_b32_dpp v8, v6 row_shr:2 row_mask:0xf bank_mask:0xf
	s_delay_alu instid0(VALU_DEP_1) | instskip(NEXT) | instid1(VALU_DEP_1)
	v_dual_add_nc_u32 v7, v1, v7 :: v_dual_add_nc_u32 v8, v6, v8
	v_dual_cndmask_b32 v1, v1, v7, s0 :: v_dual_cndmask_b32 v6, v6, v8, s0
	s_delay_alu instid0(VALU_DEP_1) | instskip(NEXT) | instid1(VALU_DEP_2)
	v_mov_b32_dpp v7, v1 row_shr:4 row_mask:0xf bank_mask:0xf
	v_mov_b32_dpp v8, v6 row_shr:4 row_mask:0xf bank_mask:0xf
	;; [unrolled: 6-line block ×3, first 2 shown]
	s_delay_alu instid0(VALU_DEP_1) | instskip(NEXT) | instid1(VALU_DEP_1)
	v_dual_add_nc_u32 v7, v1, v7 :: v_dual_add_nc_u32 v8, v6, v8
	v_dual_cndmask_b32 v1, v1, v7 :: v_dual_cndmask_b32 v6, v6, v8
	v_cmp_eq_u32_e32 vcc_lo, 0, v72
	ds_swizzle_b32 v7, v1 offset:swizzle(BROADCAST,32,15)
	ds_swizzle_b32 v8, v6 offset:swizzle(BROADCAST,32,15)
	s_wait_dscnt 0x0
	v_dual_add_nc_u32 v7, v1, v7 :: v_dual_add_nc_u32 v8, v6, v8
	v_cmpx_eq_u32_e64 v0, v71
; %bb.116:
	s_delay_alu instid0(VALU_DEP_2) | instskip(NEXT) | instid1(VALU_DEP_3)
	v_dual_cndmask_b32 v10, v8, v6 :: v_dual_lshlrev_b32 v9, 3, v69
	v_cndmask_b32_e32 v11, v7, v1, vcc_lo
	ds_store_b64 v9, v[10:11]
; %bb.117:
	s_or_b32 exec_lo, exec_lo, s4
	s_delay_alu instid0(SALU_CYCLE_1)
	s_mov_b32 s4, exec_lo
	s_wait_dscnt 0x0
	s_barrier_signal -1
	s_barrier_wait -1
	v_cmpx_gt_u32_e32 8, v0
	s_cbranch_execz .LBB39_119
; %bb.118:
	v_lshlrev_b32_e32 v9, 3, v0
	ds_load_b64 v[10:11], v9
	s_wait_dscnt 0x0
	v_mov_b32_dpp v12, v10 row_shr:1 row_mask:0xf bank_mask:0xf
	v_mov_b32_dpp v13, v11 row_shr:1 row_mask:0xf bank_mask:0xf
	s_delay_alu instid0(VALU_DEP_2) | instskip(NEXT) | instid1(VALU_DEP_2)
	v_dual_add_nc_u32 v12, v12, v10 :: v_dual_bitop2_b32 v28, 7, v68 bitop3:0x40
	v_add_nc_u32_e32 v13, v13, v11
	s_delay_alu instid0(VALU_DEP_2) | instskip(NEXT) | instid1(VALU_DEP_1)
	v_cmp_eq_u32_e64 s3, 0, v28
	v_dual_cndmask_b32 v11, v13, v11, s3 :: v_dual_cndmask_b32 v10, v12, v10, s3
	v_cmp_lt_u32_e64 s3, 1, v28
	s_delay_alu instid0(VALU_DEP_2) | instskip(NEXT) | instid1(VALU_DEP_3)
	v_mov_b32_dpp v13, v11 row_shr:2 row_mask:0xf bank_mask:0xf
	v_mov_b32_dpp v12, v10 row_shr:2 row_mask:0xf bank_mask:0xf
	s_delay_alu instid0(VALU_DEP_1) | instskip(NEXT) | instid1(VALU_DEP_1)
	v_dual_add_nc_u32 v13, v11, v13 :: v_dual_add_nc_u32 v12, v10, v12
	v_dual_cndmask_b32 v11, v11, v13, s3 :: v_dual_cndmask_b32 v10, v10, v12, s3
	v_cmp_lt_u32_e64 s3, 3, v28
	s_delay_alu instid0(VALU_DEP_2) | instskip(NEXT) | instid1(VALU_DEP_3)
	v_mov_b32_dpp v13, v11 row_shr:4 row_mask:0xf bank_mask:0xf
	v_mov_b32_dpp v12, v10 row_shr:4 row_mask:0xf bank_mask:0xf
	s_delay_alu instid0(VALU_DEP_1) | instskip(NEXT) | instid1(VALU_DEP_1)
	v_dual_cndmask_b32 v13, 0, v13, s3 :: v_dual_cndmask_b32 v12, 0, v12, s3
	v_dual_add_nc_u32 v11, v13, v11 :: v_dual_add_nc_u32 v10, v12, v10
	ds_store_b64 v9, v[10:11]
.LBB39_119:
	s_or_b32 exec_lo, exec_lo, s4
	v_dual_cndmask_b32 v1, v7, v1 :: v_dual_cndmask_b32 v6, v8, v6
	s_mov_b32 s4, exec_lo
	v_cmp_gt_u32_e32 vcc_lo, 32, v0
	s_wait_dscnt 0x0
	s_barrier_signal -1
	s_barrier_wait -1
                                        ; implicit-def: $vgpr28
	v_cmpx_lt_u32_e32 31, v0
	s_cbranch_execz .LBB39_121
; %bb.120:
	v_lshl_add_u32 v7, v69, 3, -8
	ds_load_b64 v[28:29], v7
	s_wait_dscnt 0x0
	v_dual_add_nc_u32 v1, v29, v1 :: v_dual_add_nc_u32 v6, v28, v6
.LBB39_121:
	s_or_b32 exec_lo, exec_lo, s4
	v_sub_co_u32 v7, s3, v68, 1
	s_delay_alu instid0(VALU_DEP_1) | instskip(NEXT) | instid1(VALU_DEP_1)
	v_cmp_gt_i32_e64 s4, 0, v7
	v_cndmask_b32_e64 v7, v7, v68, s4
	s_delay_alu instid0(VALU_DEP_1)
	v_lshlrev_b32_e32 v7, 2, v7
	ds_bpermute_b32 v75, v7, v6
	ds_bpermute_b32 v1, v7, v1
	s_and_saveexec_b32 s4, vcc_lo
	s_cbranch_execz .LBB39_140
; %bb.122:
	v_mov_b32_e32 v9, 0
	ds_load_b64 v[6:7], v9 offset:56
	s_and_saveexec_b32 s6, s3
	s_cbranch_execz .LBB39_124
; %bb.123:
	s_add_co_i32 s8, s27, 32
	s_mov_b32 s9, 0
	v_mov_b32_e32 v8, 1
	s_lshl_b64 s[8:9], s[8:9], 4
	s_delay_alu instid0(SALU_CYCLE_1) | instskip(NEXT) | instid1(SALU_CYCLE_1)
	s_add_nc_u64 s[8:9], s[36:37], s[8:9]
	v_mov_b64_e32 v[10:11], s[8:9]
	s_wait_dscnt 0x0
	;;#ASMSTART
	global_store_b128 v[10:11], v[6:9] off scope:SCOPE_DEV	
s_wait_storecnt 0x0
	;;#ASMEND
.LBB39_124:
	s_or_b32 exec_lo, exec_lo, s6
	v_xad_u32 v30, v68, -1, s27
	s_mov_b32 s7, 0
	s_mov_b32 s6, exec_lo
	s_delay_alu instid0(VALU_DEP_1) | instskip(NEXT) | instid1(VALU_DEP_1)
	v_add_nc_u32_e32 v8, 32, v30
	v_lshl_add_u64 v[8:9], v[8:9], 4, s[36:37]
	;;#ASMSTART
	global_load_b128 v[10:13], v[8:9] off scope:SCOPE_DEV	
s_wait_loadcnt 0x0
	;;#ASMEND
	v_and_b32_e32 v13, 0xff, v12
	s_delay_alu instid0(VALU_DEP_1)
	v_cmpx_eq_u16_e32 0, v13
	s_cbranch_execz .LBB39_127
.LBB39_125:                             ; =>This Inner Loop Header: Depth=1
	;;#ASMSTART
	global_load_b128 v[10:13], v[8:9] off scope:SCOPE_DEV	
s_wait_loadcnt 0x0
	;;#ASMEND
	v_and_b32_e32 v13, 0xff, v12
	s_delay_alu instid0(VALU_DEP_1) | instskip(SKIP_1) | instid1(SALU_CYCLE_1)
	v_cmp_ne_u16_e32 vcc_lo, 0, v13
	s_or_b32 s7, vcc_lo, s7
	s_and_not1_b32 exec_lo, exec_lo, s7
	s_cbranch_execnz .LBB39_125
; %bb.126:
	s_or_b32 exec_lo, exec_lo, s7
.LBB39_127:
	s_delay_alu instid0(SALU_CYCLE_1) | instskip(SKIP_4) | instid1(VALU_DEP_1)
	s_or_b32 exec_lo, exec_lo, s6
	v_cmp_ne_u32_e32 vcc_lo, 31, v68
	v_lshlrev_b32_e64 v77, v68, -1
	v_lshl_or_b32 v84, v68, 2, 64
	v_add_co_ci_u32_e64 v8, null, 0, v68, vcc_lo
	v_lshlrev_b32_e32 v76, 2, v8
	v_and_b32_e32 v8, 0xff, v12
	s_delay_alu instid0(VALU_DEP_1)
	v_cmp_eq_u16_e32 vcc_lo, 2, v8
	v_and_b32_e32 v13, vcc_lo, v77
	ds_bpermute_b32 v9, v76, v11
	ds_bpermute_b32 v8, v76, v10
	v_cmp_gt_u32_e32 vcc_lo, 30, v68
	v_or_b32_e32 v13, 0x80000000, v13
	v_cndmask_b32_e64 v31, 0, 2, vcc_lo
	s_delay_alu instid0(VALU_DEP_2) | instskip(NEXT) | instid1(VALU_DEP_2)
	v_ctz_i32_b32_e32 v13, v13
	v_add_lshl_u32 v78, v31, v68, 2
	s_delay_alu instid0(VALU_DEP_2) | instskip(SKIP_2) | instid1(VALU_DEP_1)
	v_cmp_lt_u32_e32 vcc_lo, v68, v13
	s_wait_dscnt 0x0
	v_dual_add_nc_u32 v9, v9, v11 :: v_dual_add_nc_u32 v8, v8, v10
	v_dual_cndmask_b32 v9, v11, v9 :: v_dual_cndmask_b32 v8, v10, v8
	v_cmp_gt_u32_e32 vcc_lo, 28, v68
	ds_bpermute_b32 v10, v78, v9
	ds_bpermute_b32 v11, v78, v8
	v_add_nc_u32_e32 v79, 2, v68
	v_cndmask_b32_e64 v31, 0, 4, vcc_lo
	s_delay_alu instid0(VALU_DEP_1) | instskip(SKIP_4) | instid1(VALU_DEP_2)
	v_add_lshl_u32 v80, v31, v68, 2
	s_wait_dscnt 0x1
	v_add_nc_u32_e32 v10, v9, v10
	v_cmp_gt_u32_e32 vcc_lo, v79, v13
	s_wait_dscnt 0x0
	v_dual_add_nc_u32 v11, v8, v11 :: v_dual_cndmask_b32 v9, v10, v9, vcc_lo
	ds_bpermute_b32 v10, v80, v9
	v_cndmask_b32_e32 v8, v11, v8, vcc_lo
	v_cmp_gt_u32_e32 vcc_lo, 24, v68
	v_cndmask_b32_e64 v31, 0, 8, vcc_lo
	s_delay_alu instid0(VALU_DEP_1)
	v_add_lshl_u32 v82, v31, v68, 2
	s_wait_dscnt 0x0
	v_dual_mov_b32 v31, 0 :: v_dual_add_nc_u32 v10, v9, v10
	ds_bpermute_b32 v11, v80, v8
	s_wait_dscnt 0x0
	v_dual_add_nc_u32 v81, 4, v68 :: v_dual_add_nc_u32 v11, v8, v11
	s_delay_alu instid0(VALU_DEP_1) | instskip(NEXT) | instid1(VALU_DEP_2)
	v_cmp_gt_u32_e32 vcc_lo, v81, v13
	v_dual_cndmask_b32 v9, v10, v9 :: v_dual_cndmask_b32 v8, v11, v8
	ds_bpermute_b32 v10, v82, v9
	ds_bpermute_b32 v11, v82, v8
	s_wait_dscnt 0x1
	v_dual_add_nc_u32 v83, 8, v68 :: v_dual_add_nc_u32 v10, v9, v10
	s_delay_alu instid0(VALU_DEP_1) | instskip(SKIP_1) | instid1(VALU_DEP_2)
	v_cmp_gt_u32_e32 vcc_lo, v83, v13
	s_wait_dscnt 0x0
	v_dual_add_nc_u32 v11, v8, v11 :: v_dual_cndmask_b32 v9, v10, v9, vcc_lo
	s_delay_alu instid0(VALU_DEP_1) | instskip(SKIP_3) | instid1(VALU_DEP_1)
	v_cndmask_b32_e32 v8, v11, v8, vcc_lo
	ds_bpermute_b32 v11, v84, v9
	ds_bpermute_b32 v10, v84, v8
	v_add_nc_u32_e32 v85, 16, v68
	v_cmp_le_u32_e32 vcc_lo, v85, v13
	s_wait_dscnt 0x0
	v_dual_cndmask_b32 v11, 0, v11 :: v_dual_cndmask_b32 v10, 0, v10
	s_delay_alu instid0(VALU_DEP_1)
	v_dual_add_nc_u32 v11, v11, v9 :: v_dual_add_nc_u32 v10, v10, v8
	s_branch .LBB39_131
.LBB39_128:                             ;   in Loop: Header=BB39_131 Depth=1
	s_or_b32 exec_lo, exec_lo, s7
.LBB39_129:                             ;   in Loop: Header=BB39_131 Depth=1
	s_delay_alu instid0(SALU_CYCLE_1)
	s_or_b32 exec_lo, exec_lo, s6
	ds_bpermute_b32 v13, v76, v10
	ds_bpermute_b32 v32, v76, v11
	v_and_b32_e32 v33, 0xff, v12
	v_subrev_nc_u32_e32 v30, 32, v30
	s_mov_b32 s6, 0
	s_delay_alu instid0(VALU_DEP_2) | instskip(SKIP_1) | instid1(VALU_DEP_1)
	v_cmp_eq_u16_e32 vcc_lo, 2, v33
	v_and_or_b32 v33, vcc_lo, v77, 0x80000000
	v_ctz_i32_b32_e32 v33, v33
	s_wait_dscnt 0x0
	v_dual_add_nc_u32 v13, v13, v10 :: v_dual_add_nc_u32 v32, v32, v11
	s_delay_alu instid0(VALU_DEP_2) | instskip(NEXT) | instid1(VALU_DEP_2)
	v_cmp_lt_u32_e32 vcc_lo, v68, v33
	v_dual_cndmask_b32 v11, v11, v32 :: v_dual_cndmask_b32 v10, v10, v13
	v_cmp_gt_u32_e32 vcc_lo, v79, v33
	ds_bpermute_b32 v32, v78, v11
	ds_bpermute_b32 v13, v78, v10
	s_wait_dscnt 0x0
	v_dual_add_nc_u32 v32, v11, v32 :: v_dual_add_nc_u32 v13, v10, v13
	s_delay_alu instid0(VALU_DEP_1)
	v_dual_cndmask_b32 v11, v32, v11 :: v_dual_cndmask_b32 v10, v13, v10
	v_cmp_gt_u32_e32 vcc_lo, v81, v33
	ds_bpermute_b32 v32, v80, v11
	ds_bpermute_b32 v13, v80, v10
	s_wait_dscnt 0x0
	v_dual_add_nc_u32 v32, v11, v32 :: v_dual_add_nc_u32 v13, v10, v13
	s_delay_alu instid0(VALU_DEP_1)
	;; [unrolled: 7-line block ×3, first 2 shown]
	v_dual_cndmask_b32 v11, v32, v11 :: v_dual_cndmask_b32 v10, v13, v10
	v_cmp_le_u32_e32 vcc_lo, v85, v33
	ds_bpermute_b32 v32, v84, v11
	ds_bpermute_b32 v13, v84, v10
	s_wait_dscnt 0x0
	v_dual_cndmask_b32 v32, 0, v32 :: v_dual_cndmask_b32 v13, 0, v13
	s_delay_alu instid0(VALU_DEP_1) | instskip(NEXT) | instid1(VALU_DEP_2)
	v_add3_u32 v11, v11, v9, v32
	v_add3_u32 v10, v10, v8, v13
.LBB39_130:                             ;   in Loop: Header=BB39_131 Depth=1
	s_and_b32 vcc_lo, exec_lo, s6
	s_cbranch_vccnz .LBB39_136
.LBB39_131:                             ; =>This Loop Header: Depth=1
                                        ;     Child Loop BB39_134 Depth 2
	v_and_b32_e32 v8, 0xff, v12
	s_mov_b32 s6, -1
                                        ; implicit-def: $vgpr12
	s_delay_alu instid0(VALU_DEP_1)
	v_cmp_ne_u16_e32 vcc_lo, 2, v8
	v_mov_b64_e32 v[8:9], v[10:11]
                                        ; implicit-def: $vgpr10_vgpr11
	s_cmp_lg_u32 vcc_lo, exec_lo
	s_cbranch_scc1 .LBB39_130
; %bb.132:                              ;   in Loop: Header=BB39_131 Depth=1
	v_lshl_add_u64 v[32:33], v[30:31], 4, s[36:37]
	;;#ASMSTART
	global_load_b128 v[10:13], v[32:33] off scope:SCOPE_DEV	
s_wait_loadcnt 0x0
	;;#ASMEND
	v_and_b32_e32 v13, 0xff, v12
	s_mov_b32 s6, exec_lo
	s_delay_alu instid0(VALU_DEP_1)
	v_cmpx_eq_u16_e32 0, v13
	s_cbranch_execz .LBB39_129
; %bb.133:                              ;   in Loop: Header=BB39_131 Depth=1
	s_mov_b32 s7, 0
.LBB39_134:                             ;   Parent Loop BB39_131 Depth=1
                                        ; =>  This Inner Loop Header: Depth=2
	;;#ASMSTART
	global_load_b128 v[10:13], v[32:33] off scope:SCOPE_DEV	
s_wait_loadcnt 0x0
	;;#ASMEND
	v_and_b32_e32 v13, 0xff, v12
	s_delay_alu instid0(VALU_DEP_1) | instskip(SKIP_1) | instid1(SALU_CYCLE_1)
	v_cmp_ne_u16_e32 vcc_lo, 0, v13
	s_or_b32 s7, vcc_lo, s7
	s_and_not1_b32 exec_lo, exec_lo, s7
	s_cbranch_execnz .LBB39_134
	s_branch .LBB39_128
.LBB39_135:
                                        ; implicit-def: $vgpr1
                                        ; implicit-def: $vgpr8
                                        ; implicit-def: $vgpr10
                                        ; implicit-def: $vgpr12
                                        ; implicit-def: $vgpr28
	s_and_b32 vcc_lo, exec_lo, s4
	s_cbranch_vccnz .LBB39_141
	s_branch .LBB39_150
.LBB39_136:
	s_and_saveexec_b32 s6, s3
	s_cbranch_execz .LBB39_138
; %bb.137:
	s_add_co_i32 s8, s27, 32
	s_mov_b32 s9, 0
	v_dual_mov_b32 v12, 2 :: v_dual_mov_b32 v13, 0
	s_lshl_b64 s[8:9], s[8:9], 4
	v_dual_add_nc_u32 v11, v9, v7 :: v_dual_add_nc_u32 v10, v8, v6
	s_add_nc_u64 s[8:9], s[36:37], s[8:9]
	s_delay_alu instid0(SALU_CYCLE_1)
	v_mov_b64_e32 v[30:31], s[8:9]
	;;#ASMSTART
	global_store_b128 v[30:31], v[10:13] off scope:SCOPE_DEV	
s_wait_storecnt 0x0
	;;#ASMEND
	ds_store_b128 v13, v[6:9] offset:13312
.LBB39_138:
	s_or_b32 exec_lo, exec_lo, s6
	s_delay_alu instid0(SALU_CYCLE_1)
	s_and_b32 exec_lo, exec_lo, s2
; %bb.139:
	v_mov_b32_e32 v6, 0
	ds_store_b64 v6, v[8:9] offset:56
.LBB39_140:
	s_or_b32 exec_lo, exec_lo, s4
	s_wait_dscnt 0x0
	v_dual_mov_b32 v6, 0 :: v_dual_cndmask_b32 v1, v1, v29, s3
	s_barrier_signal -1
	s_barrier_wait -1
	ds_load_b64 v[12:13], v6 offset:56
	s_wait_dscnt 0x0
	s_barrier_signal -1
	s_barrier_wait -1
	ds_load_b128 v[6:9], v6 offset:13312
	v_cndmask_b32_e64 v10, v75, v28, s3
	s_delay_alu instid0(VALU_DEP_1) | instskip(SKIP_2) | instid1(VALU_DEP_2)
	v_dual_add_nc_u32 v1, v13, v1 :: v_dual_add_nc_u32 v11, v12, v10
	s_wait_dscnt 0x0
	v_mov_b32_e32 v10, v9
	v_dual_cndmask_b32 v1, v1, v13, s2 :: v_dual_cndmask_b32 v28, v11, v12, s2
	v_mov_b32_e32 v12, v7
	s_branch .LBB39_150
.LBB39_141:
	v_mov_b32_dpp v1, v73 row_shr:1 row_mask:0xf bank_mask:0xf
	v_mov_b32_dpp v6, v74 row_shr:1 row_mask:0xf bank_mask:0xf
	v_cmp_lt_u32_e32 vcc_lo, 3, v70
	s_delay_alu instid0(VALU_DEP_2) | instskip(NEXT) | instid1(VALU_DEP_1)
	v_dual_add_nc_u32 v1, v1, v73 :: v_dual_add_nc_u32 v6, v6, v74
	v_dual_cndmask_b32 v1, v1, v73, s1 :: v_dual_cndmask_b32 v6, v6, v74, s1
	s_mov_b32 s1, exec_lo
	s_delay_alu instid0(VALU_DEP_1) | instskip(NEXT) | instid1(VALU_DEP_2)
	v_mov_b32_dpp v7, v1 row_shr:2 row_mask:0xf bank_mask:0xf
	v_mov_b32_dpp v8, v6 row_shr:2 row_mask:0xf bank_mask:0xf
	s_delay_alu instid0(VALU_DEP_1) | instskip(NEXT) | instid1(VALU_DEP_1)
	v_dual_add_nc_u32 v7, v1, v7 :: v_dual_add_nc_u32 v8, v6, v8
	v_dual_cndmask_b32 v1, v1, v7, s0 :: v_dual_cndmask_b32 v6, v6, v8, s0
	s_delay_alu instid0(VALU_DEP_1) | instskip(NEXT) | instid1(VALU_DEP_2)
	v_mov_b32_dpp v7, v1 row_shr:4 row_mask:0xf bank_mask:0xf
	v_mov_b32_dpp v8, v6 row_shr:4 row_mask:0xf bank_mask:0xf
	s_delay_alu instid0(VALU_DEP_1) | instskip(NEXT) | instid1(VALU_DEP_1)
	v_dual_add_nc_u32 v7, v1, v7 :: v_dual_add_nc_u32 v8, v6, v8
	v_dual_cndmask_b32 v7, v1, v7 :: v_dual_cndmask_b32 v6, v6, v8
	v_cmp_lt_u32_e32 vcc_lo, 7, v70
	s_delay_alu instid0(VALU_DEP_2) | instskip(NEXT) | instid1(VALU_DEP_3)
	v_mov_b32_dpp v1, v7 row_shr:8 row_mask:0xf bank_mask:0xf
	v_mov_b32_dpp v8, v6 row_shr:8 row_mask:0xf bank_mask:0xf
	s_delay_alu instid0(VALU_DEP_1) | instskip(NEXT) | instid1(VALU_DEP_1)
	v_dual_add_nc_u32 v9, v7, v1 :: v_dual_add_nc_u32 v1, v6, v8
	v_cndmask_b32_e32 v1, v6, v1, vcc_lo
	s_delay_alu instid0(VALU_DEP_2)
	v_cndmask_b32_e32 v6, v7, v9, vcc_lo
	v_cmp_eq_u32_e32 vcc_lo, 0, v72
	ds_swizzle_b32 v8, v6 offset:swizzle(BROADCAST,32,15)
	s_wait_dscnt 0x0
	v_add_nc_u32_e32 v8, v6, v8
	ds_swizzle_b32 v7, v1 offset:swizzle(BROADCAST,32,15)
	s_wait_dscnt 0x0
	v_add_nc_u32_e32 v7, v1, v7
	v_cmpx_eq_u32_e64 v0, v71
; %bb.142:
	s_delay_alu instid0(VALU_DEP_2)
	v_dual_cndmask_b32 v10, v8, v6 :: v_dual_cndmask_b32 v11, v7, v1
	v_lshlrev_b32_e32 v9, 3, v69
	ds_store_b64 v9, v[10:11]
; %bb.143:
	s_or_b32 exec_lo, exec_lo, s1
	s_delay_alu instid0(SALU_CYCLE_1)
	s_mov_b32 s1, exec_lo
	s_wait_dscnt 0x0
	s_barrier_signal -1
	s_barrier_wait -1
	v_cmpx_gt_u32_e32 8, v0
	s_cbranch_execz .LBB39_145
; %bb.144:
	v_lshlrev_b32_e32 v9, 3, v0
	ds_load_b64 v[10:11], v9
	s_wait_dscnt 0x0
	v_mov_b32_dpp v12, v10 row_shr:1 row_mask:0xf bank_mask:0xf
	v_mov_b32_dpp v13, v11 row_shr:1 row_mask:0xf bank_mask:0xf
	s_delay_alu instid0(VALU_DEP_2) | instskip(NEXT) | instid1(VALU_DEP_2)
	v_dual_add_nc_u32 v12, v12, v10 :: v_dual_bitop2_b32 v28, 7, v68 bitop3:0x40
	v_add_nc_u32_e32 v13, v13, v11
	s_delay_alu instid0(VALU_DEP_2) | instskip(NEXT) | instid1(VALU_DEP_1)
	v_cmp_eq_u32_e64 s0, 0, v28
	v_dual_cndmask_b32 v11, v13, v11, s0 :: v_dual_cndmask_b32 v10, v12, v10, s0
	v_cmp_lt_u32_e64 s0, 1, v28
	s_delay_alu instid0(VALU_DEP_2) | instskip(NEXT) | instid1(VALU_DEP_3)
	v_mov_b32_dpp v13, v11 row_shr:2 row_mask:0xf bank_mask:0xf
	v_mov_b32_dpp v12, v10 row_shr:2 row_mask:0xf bank_mask:0xf
	s_delay_alu instid0(VALU_DEP_1) | instskip(NEXT) | instid1(VALU_DEP_1)
	v_dual_add_nc_u32 v13, v11, v13 :: v_dual_add_nc_u32 v12, v10, v12
	v_dual_cndmask_b32 v11, v11, v13, s0 :: v_dual_cndmask_b32 v10, v10, v12, s0
	v_cmp_lt_u32_e64 s0, 3, v28
	s_delay_alu instid0(VALU_DEP_2) | instskip(NEXT) | instid1(VALU_DEP_3)
	v_mov_b32_dpp v13, v11 row_shr:4 row_mask:0xf bank_mask:0xf
	v_mov_b32_dpp v12, v10 row_shr:4 row_mask:0xf bank_mask:0xf
	s_delay_alu instid0(VALU_DEP_1) | instskip(NEXT) | instid1(VALU_DEP_1)
	v_dual_cndmask_b32 v13, 0, v13, s0 :: v_dual_cndmask_b32 v12, 0, v12, s0
	v_dual_add_nc_u32 v11, v13, v11 :: v_dual_add_nc_u32 v10, v12, v10
	ds_store_b64 v9, v[10:11]
.LBB39_145:
	s_or_b32 exec_lo, exec_lo, s1
	v_dual_mov_b32 v9, 0 :: v_dual_mov_b32 v10, 0
	v_mov_b32_e32 v11, 0
	s_mov_b32 s1, exec_lo
	s_wait_dscnt 0x0
	s_barrier_signal -1
	s_barrier_wait -1
	v_cmpx_lt_u32_e32 31, v0
; %bb.146:
	v_lshl_add_u32 v10, v69, 3, -8
	ds_load_b64 v[10:11], v10
; %bb.147:
	s_or_b32 exec_lo, exec_lo, s1
	v_sub_co_u32 v12, s0, v68, 1
	v_dual_cndmask_b32 v6, v8, v6 :: v_dual_cndmask_b32 v1, v7, v1
	s_delay_alu instid0(VALU_DEP_2) | instskip(SKIP_1) | instid1(VALU_DEP_1)
	v_cmp_gt_i32_e64 s1, 0, v12
	s_wait_dscnt 0x0
	v_dual_add_nc_u32 v6, v10, v6 :: v_dual_cndmask_b32 v8, v12, v68, s1
	s_delay_alu instid0(VALU_DEP_1)
	v_dual_lshlrev_b32 v7, 2, v8 :: v_dual_add_nc_u32 v8, v11, v1
	ds_bpermute_b32 v1, v7, v6
	ds_bpermute_b32 v12, v7, v8
	ds_load_b64 v[6:7], v9 offset:56
	s_and_saveexec_b32 s1, s2
	s_cbranch_execz .LBB39_149
; %bb.148:
	s_add_nc_u64 s[6:7], s[36:37], 0x200
	v_dual_mov_b32 v8, 2 :: v_dual_mov_b32 v9, 0
	v_mov_b64_e32 v[28:29], s[6:7]
	s_wait_dscnt 0x0
	;;#ASMSTART
	global_store_b128 v[28:29], v[6:9] off scope:SCOPE_DEV	
s_wait_storecnt 0x0
	;;#ASMEND
.LBB39_149:
	s_or_b32 exec_lo, exec_lo, s1
	s_wait_dscnt 0x1
	v_dual_cndmask_b32 v9, v12, v11, s0 :: v_dual_cndmask_b32 v11, v1, v10, s0
	v_dual_mov_b32 v10, 0 :: v_dual_mov_b32 v8, 0
	s_wait_dscnt 0x0
	v_mov_b32_e32 v12, v7
	s_delay_alu instid0(VALU_DEP_3)
	v_cndmask_b32_e64 v1, v9, 0, s2
	v_cndmask_b32_e64 v28, v11, 0, s2
	s_barrier_signal -1
	s_barrier_wait -1
.LBB39_150:
	s_delay_alu instid0(VALU_DEP_1) | instskip(SKIP_2) | instid1(VALU_DEP_3)
	v_dual_add_nc_u32 v74, v1, v67 :: v_dual_add_nc_u32 v75, v28, v66
	v_dual_lshrrev_b32 v72, 16, v42 :: v_dual_lshrrev_b32 v7, 8, v42
	v_dual_lshrrev_b32 v73, 8, v36 :: v_dual_lshrrev_b32 v71, 16, v36
	v_dual_add_nc_u32 v65, v74, v65 :: v_dual_add_nc_u32 v64, v75, v64
	v_dual_mov_b32 v9, 0 :: v_dual_lshlrev_b32 v66, 1, v6
	s_delay_alu instid0(VALU_DEP_2) | instskip(NEXT) | instid1(VALU_DEP_3)
	v_dual_add_nc_u32 v76, v65, v49 :: v_dual_bitop2_b32 v36, 1, v36 bitop3:0x40
	v_add_nc_u32_e32 v63, v64, v63
	v_dual_sub_nc_u32 v28, v28, v8 :: v_dual_sub_nc_u32 v1, v1, v10
	s_delay_alu instid0(VALU_DEP_3) | instskip(NEXT) | instid1(VALU_DEP_3)
	v_dual_add_nc_u32 v62, v76, v62 :: v_dual_bitop2_b32 v77, 1, v7 bitop3:0x40
	v_dual_mov_b32 v7, v9 :: v_dual_add_nc_u32 v78, v63, v48
	v_mov_b32_e32 v11, v9
	s_delay_alu instid0(VALU_DEP_3) | instskip(SKIP_1) | instid1(VALU_DEP_4)
	v_dual_add_nc_u32 v1, v1, v6 :: v_dual_add_nc_u32 v61, v62, v61
	v_add3_u32 v15, v66, v12, v15
	v_add_nc_u32_e32 v60, v78, v60
	s_delay_alu instid0(VALU_DEP_3) | instskip(NEXT) | instid1(VALU_DEP_4)
	v_dual_sub_nc_u32 v74, v74, v10 :: v_dual_add_nc_u32 v81, v28, v1
	v_dual_add_nc_u32 v79, v61, v59 :: v_dual_sub_nc_u32 v75, v75, v8
	s_delay_alu instid0(VALU_DEP_3) | instskip(SKIP_1) | instid1(VALU_DEP_4)
	v_add_nc_u32_e32 v80, v60, v58
	v_cmp_eq_u32_e32 vcc_lo, 1, v77
	v_dual_add_nc_u32 v74, v74, v6 :: v_dual_sub_nc_u32 v64, v64, v8
	s_delay_alu instid0(VALU_DEP_3) | instskip(SKIP_2) | instid1(VALU_DEP_3)
	v_dual_add_nc_u32 v82, v79, v47 :: v_dual_add_nc_u32 v56, v80, v56
	v_dual_sub_nc_u32 v81, v15, v81 :: v_dual_sub_nc_u32 v65, v65, v10
	v_sub_nc_u64_e32 v[58:59], v[4:5], v[6:7]
	v_dual_add_nc_u32 v57, v82, v57 :: v_dual_add_nc_u32 v83, v56, v46
	s_delay_alu instid0(VALU_DEP_3) | instskip(SKIP_1) | instid1(VALU_DEP_3)
	v_dual_cndmask_b32 v1, v81, v1, vcc_lo :: v_dual_add_nc_u32 v81, v74, v75
	v_cmp_eq_u32_e32 vcc_lo, 1, v36
	v_dual_add_nc_u32 v55, v57, v55 :: v_dual_add_nc_u32 v77, v83, v53
	v_and_b32_e32 v72, 1, v72
	v_dual_sub_nc_u32 v63, v63, v8 :: v_dual_bitop2_b32 v49, 1, v49 bitop3:0x40
	s_delay_alu instid0(VALU_DEP_3) | instskip(NEXT) | instid1(VALU_DEP_4)
	v_dual_cndmask_b32 v1, v1, v28 :: v_dual_add_nc_u32 v28, v55, v54
	v_add_nc_u32_e32 v36, v77, v52
	v_add_nc_u32_e32 v54, v65, v6
	v_add_nc_u64_e32 v[52:53], v[58:59], v[10:11]
	s_delay_alu instid0(VALU_DEP_4)
	v_lshlrev_b32_e32 v1, 2, v1
	v_add_nc_u32_e32 v58, v28, v45
	v_dual_add_nc_u32 v51, v36, v51 :: v_dual_sub_nc_u32 v59, v15, v81
	v_add_nc_u32_e32 v65, v54, v64
	ds_store_b32 v1, v26
	v_dual_add_nc_u32 v1, v58, v50 :: v_dual_add_nc_u32 v26, v51, v44
	v_dual_sub_nc_u32 v73, v76, v10 :: v_dual_bitop2_b32 v50, 1, v73 bitop3:0x40
	v_dual_sub_nc_u32 v65, v15, v65 :: v_dual_add_nc_u32 v59, 1, v59
	v_cmp_eq_u32_e32 vcc_lo, 1, v72
	s_delay_alu instid0(VALU_DEP_3) | instskip(NEXT) | instid1(VALU_DEP_3)
	v_dual_add_nc_u32 v73, v73, v6 :: v_dual_bitop2_b32 v71, 1, v71 bitop3:0x40
	v_add_nc_u32_e32 v65, 2, v65
	v_dual_lshrrev_b32 v70, 8, v37 :: v_dual_lshrrev_b32 v69, 16, v37
	v_cndmask_b32_e32 v59, v59, v74, vcc_lo
	v_cmp_eq_u32_e32 vcc_lo, 1, v49
	v_dual_add_nc_u32 v72, v63, v73 :: v_dual_lshrrev_b32 v33, 16, v38
	v_dual_lshrrev_b32 v68, 8, v38 :: v_dual_lshrrev_b32 v31, 16, v40
	v_dual_cndmask_b32 v49, v65, v54 :: v_dual_lshrrev_b32 v32, 8, v40
	v_cmp_eq_u32_e32 vcc_lo, 1, v50
	s_delay_alu instid0(VALU_DEP_4)
	v_dual_sub_nc_u32 v54, v15, v72 :: v_dual_lshrrev_b32 v30, 8, v41
	v_dual_lshrrev_b32 v29, 16, v41 :: v_dual_sub_nc_u32 v1, v1, v10
	v_cndmask_b32_e32 v50, v59, v75, vcc_lo
	v_cmp_eq_u32_e32 vcc_lo, 1, v71
	v_dual_sub_nc_u32 v59, v62, v10 :: v_dual_bitop2_b32 v37, 1, v37 bitop3:0x40
	v_dual_add_nc_u32 v54, 3, v54 :: v_dual_bitop2_b32 v48, 1, v48 bitop3:0x40
	v_cndmask_b32_e32 v49, v49, v64, vcc_lo
	v_dual_sub_nc_u32 v62, v78, v8 :: v_dual_lshlrev_b32 v50, 2, v50
	s_delay_alu instid0(VALU_DEP_4) | instskip(SKIP_1) | instid1(VALU_DEP_4)
	v_add_nc_u32_e32 v59, v59, v6
	v_cmp_eq_u32_e32 vcc_lo, 1, v37
	v_lshlrev_b32_e32 v49, 2, v49
	v_add_nc_u64_e32 v[2:3], v[2:3], v[8:9]
	ds_store_b32 v50, v27
	v_dual_sub_nc_u32 v27, v61, v10 :: v_dual_cndmask_b32 v37, v54, v73, vcc_lo
	v_add_nc_u32_e32 v54, v62, v59
	v_cmp_eq_u32_e32 vcc_lo, 1, v48
	ds_store_b32 v49, v24
	v_dual_sub_nc_u32 v48, v60, v8 :: v_dual_sub_nc_u32 v50, v79, v10
	v_dual_cndmask_b32 v37, v37, v63 :: v_dual_sub_nc_u32 v24, v15, v54
	v_dual_add_nc_u32 v27, v27, v6 :: v_dual_mov_b32 v67, v9
	s_delay_alu instid0(VALU_DEP_2) | instskip(NEXT) | instid1(VALU_DEP_3)
	v_dual_mov_b32 v13, v9 :: v_dual_add_nc_u32 v24, 4, v24
	v_dual_lshlrev_b32 v37, 2, v37 :: v_dual_bitop2_b32 v49, 1, v70 bitop3:0x40
	s_delay_alu instid0(VALU_DEP_3)
	v_add_nc_u32_e32 v54, v48, v27
	s_mov_b32 s0, -1
	v_and_b32_e32 v40, 1, v40
	ds_store_b32 v37, v25
	v_cmp_eq_u32_e32 vcc_lo, 1, v49
	v_dual_sub_nc_u32 v49, v80, v8 :: v_dual_bitop2_b32 v38, 1, v38 bitop3:0x40
	v_dual_add_nc_u32 v50, v50, v6 :: v_dual_bitop2_b32 v37, 1, v69 bitop3:0x40
	v_cndmask_b32_e32 v24, v24, v59, vcc_lo
	s_delay_alu instid0(VALU_DEP_3) | instskip(SKIP_1) | instid1(VALU_DEP_3)
	v_cmp_eq_u32_e32 vcc_lo, 1, v38
	v_and_b32_e32 v32, 1, v32
	v_dual_cndmask_b32 v24, v24, v62, vcc_lo :: v_dual_bitop2_b32 v31, 1, v31 bitop3:0x40
	v_sub_nc_u32_e32 v54, v15, v54
	v_cmp_eq_u32_e32 vcc_lo, 1, v37
	s_delay_alu instid0(VALU_DEP_3) | instskip(NEXT) | instid1(VALU_DEP_3)
	v_dual_sub_nc_u32 v37, v57, v10 :: v_dual_lshlrev_b32 v24, 2, v24
	v_add_nc_u32_e32 v38, 5, v54
	v_dual_add_nc_u32 v25, v49, v50 :: v_dual_bitop2_b32 v54, 1, v68 bitop3:0x40
	ds_store_b32 v24, v22
	v_dual_cndmask_b32 v27, v38, v27, vcc_lo :: v_dual_sub_nc_u32 v25, v15, v25
	v_and_b32_e32 v22, 1, v47
	v_cmp_eq_u32_e32 vcc_lo, 1, v54
	v_dual_sub_nc_u32 v38, v55, v10 :: v_dual_sub_nc_u32 v47, v77, v8
	s_delay_alu instid0(VALU_DEP_4) | instskip(SKIP_3) | instid1(VALU_DEP_3)
	v_dual_cndmask_b32 v25, v27, v48 :: v_dual_add_nc_u32 v24, 6, v25
	v_sub_nc_u32_e32 v27, v82, v10
	v_cmp_eq_u32_e32 vcc_lo, 1, v22
	v_and_b32_e32 v33, 1, v33
	v_dual_lshlrev_b32 v25, 2, v25 :: v_dual_add_nc_u32 v27, v27, v6
	v_cndmask_b32_e32 v22, v24, v50, vcc_lo
	v_sub_nc_u32_e32 v24, v56, v8
	s_delay_alu instid0(VALU_DEP_4)
	v_cmp_eq_u32_e32 vcc_lo, 1, v33
	ds_store_b32 v25, v23
	v_dual_sub_nc_u32 v23, v83, v8 :: v_dual_add_nc_u32 v25, v37, v6
	v_dual_cndmask_b32 v22, v22, v49 :: v_dual_add_nc_u32 v33, v24, v27
	v_and_b32_e32 v37, 1, v46
	v_cmp_eq_u32_e32 vcc_lo, 1, v40
	s_delay_alu instid0(VALU_DEP_4) | instskip(NEXT) | instid1(VALU_DEP_4)
	v_add_nc_u32_e32 v46, v23, v25
	v_dual_sub_nc_u32 v33, v15, v33 :: v_dual_lshlrev_b32 v22, 2, v22
	s_delay_alu instid0(VALU_DEP_1)
	v_dual_sub_nc_u32 v46, v15, v46 :: v_dual_add_nc_u32 v33, 7, v33
	v_add_nc_u32_e32 v38, v38, v6
	ds_store_b32 v22, v20
	v_dual_cndmask_b32 v27, v33, v27, vcc_lo :: v_dual_bitop2_b32 v22, 1, v45 bitop3:0x40
	v_cmp_eq_u32_e32 vcc_lo, 1, v37
	v_add_nc_u32_e32 v33, v47, v38
	s_delay_alu instid0(VALU_DEP_3) | instskip(SKIP_2) | instid1(VALU_DEP_3)
	v_dual_add_nc_u32 v40, 8, v46 :: v_dual_cndmask_b32 v24, v27, v24, vcc_lo
	v_and_b32_e32 v27, 1, v41
	v_cmp_eq_u32_e32 vcc_lo, 1, v32
	v_dual_sub_nc_u32 v33, v15, v33 :: v_dual_lshlrev_b32 v24, 2, v24
	s_delay_alu instid0(VALU_DEP_4) | instskip(NEXT) | instid1(VALU_DEP_4)
	v_cndmask_b32_e32 v25, v40, v25, vcc_lo
	v_cmp_eq_u32_e32 vcc_lo, 1, v27
	s_delay_alu instid0(VALU_DEP_3) | instskip(NEXT) | instid1(VALU_DEP_3)
	v_dual_add_nc_u32 v32, 9, v33 :: v_dual_bitop2_b32 v27, 1, v30 bitop3:0x40
	v_dual_cndmask_b32 v23, v25, v23 :: v_dual_sub_nc_u32 v30, v36, v8
	v_sub_nc_u32_e32 v25, v28, v10
	v_cmp_eq_u32_e32 vcc_lo, 1, v31
	s_delay_alu instid0(VALU_DEP_2)
	v_dual_lshlrev_b32 v23, 2, v23 :: v_dual_add_nc_u32 v25, v25, v6
	v_cndmask_b32_e32 v28, v32, v38, vcc_lo
	v_cmp_eq_u32_e32 vcc_lo, 1, v27
	ds_store_b32 v24, v21
	ds_store_b32 v23, v18
	v_sub_nc_u32_e32 v21, v58, v10
	v_dual_add_nc_u32 v20, v30, v25 :: v_dual_sub_nc_u32 v23, v51, v8
	v_dual_cndmask_b32 v27, v28, v47 :: v_dual_sub_nc_u32 v8, v26, v8
	s_delay_alu instid0(VALU_DEP_2) | instskip(NEXT) | instid1(VALU_DEP_2)
	v_dual_add_nc_u32 v1, v1, v6 :: v_dual_sub_nc_u32 v20, v15, v20
	v_dual_add_nc_u32 v21, v21, v6 :: v_dual_lshlrev_b32 v18, 2, v27
	v_cmp_eq_u32_e32 vcc_lo, 1, v22
	s_delay_alu instid0(VALU_DEP_3) | instskip(SKIP_3) | instid1(VALU_DEP_1)
	v_dual_add_nc_u32 v22, v8, v1 :: v_dual_add_nc_u32 v20, 10, v20
	ds_store_b32 v18, v19
	v_cndmask_b32_e32 v20, v20, v25, vcc_lo
	v_add_nc_u32_e32 v26, v23, v21
	v_dual_sub_nc_u32 v18, v15, v26 :: v_dual_bitop2_b32 v24, 1, v29 bitop3:0x40
	s_delay_alu instid0(VALU_DEP_1) | instskip(SKIP_1) | instid1(VALU_DEP_3)
	v_cmp_eq_u32_e32 vcc_lo, 1, v24
	v_dual_sub_nc_u32 v15, v15, v22 :: v_dual_bitop2_b32 v24, 1, v39 bitop3:0x40
	v_dual_add_nc_u32 v25, 11, v18 :: v_dual_bitop2_b32 v22, 1, v44 bitop3:0x40
	v_cndmask_b32_e32 v20, v20, v30, vcc_lo
	s_delay_alu instid0(VALU_DEP_3) | instskip(SKIP_4) | instid1(VALU_DEP_4)
	v_cmp_eq_u32_e32 vcc_lo, 1, v24
	v_and_b32_e32 v26, 1, v43
	v_dual_add_nc_u32 v15, 12, v15 :: v_dual_bitop2_b32 v24, 1, v42 bitop3:0x40
	v_add_nc_u64_e32 v[18:19], v[12:13], v[66:67]
	v_cndmask_b32_e32 v21, v25, v21, vcc_lo
	v_cmp_eq_u32_e32 vcc_lo, 1, v26
	s_delay_alu instid0(VALU_DEP_4)
	v_dual_cndmask_b32 v1, v15, v1 :: v_dual_lshlrev_b32 v20, 2, v20
	v_cmp_eq_u32_e32 vcc_lo, 1, v22
	v_add_nc_u64_e32 v[18:19], v[18:19], v[52:53]
	v_mov_b32_e32 v15, v9
	ds_store_b32 v20, v16
	v_cndmask_b32_e32 v21, v21, v23, vcc_lo
	v_cmp_eq_u32_e32 vcc_lo, 1, v24
	s_delay_alu instid0(VALU_DEP_2)
	v_dual_cndmask_b32 v1, v1, v8 :: v_dual_lshlrev_b32 v22, 2, v21
	v_add_nc_u64_e32 v[8:9], s[34:35], v[14:15]
	v_add_nc_u64_e32 v[14:15], v[18:19], v[2:3]
	v_lshlrev_b64_e32 v[18:19], 2, v[52:53]
	v_lshlrev_b64_e32 v[20:21], 2, v[2:3]
	v_lshlrev_b32_e32 v1, 2, v1
	v_cmp_ne_u32_e32 vcc_lo, 1, v35
	v_sub_nc_u64_e32 v[14:15], v[8:9], v[14:15]
	v_add_nc_u64_e32 v[8:9], s[30:31], v[18:19]
	v_add_nc_u32_e32 v18, v6, v12
	ds_store_b32 v22, v17
	ds_store_b32 v1, v34
	v_add_nc_u64_e32 v[16:17], s[28:29], v[20:21]
	s_wait_dscnt 0x0
	s_barrier_signal -1
	s_barrier_wait -1
	s_cbranch_vccz .LBB39_154
; %bb.151:
	s_and_b32 vcc_lo, exec_lo, s0
	s_cbranch_vccnz .LBB39_259
.LBB39_152:
	s_and_b32 s0, s2, s26
	s_delay_alu instid0(SALU_CYCLE_1)
	s_and_saveexec_b32 s1, s0
	s_cbranch_execnz .LBB39_377
.LBB39_153:
	s_sendmsg sendmsg(MSG_DEALLOC_VGPRS)
	s_endpgm
.LBB39_154:
	s_mov_b32 s0, exec_lo
	v_cmpx_ge_u32_e64 v0, v6
	s_xor_b32 s0, exec_lo, s0
	s_cbranch_execz .LBB39_160
; %bb.155:
	v_mov_b32_e32 v1, 0
	s_mov_b32 s1, exec_lo
	v_cmpx_ge_u32_e64 v0, v18
	s_xor_b32 s1, exec_lo, s1
	s_cbranch_execz .LBB39_157
; %bb.156:
	v_lshlrev_b32_e32 v19, 2, v0
	v_add_nc_u64_e32 v[20:21], v[14:15], v[0:1]
	ds_load_b32 v1, v19
	v_lshlrev_b64_e32 v[20:21], 2, v[20:21]
	s_delay_alu instid0(VALU_DEP_1)
	v_sub_nc_u64_e32 v[20:21], s[14:15], v[20:21]
	s_wait_dscnt 0x0
	global_store_b32 v[20:21], v1, off offset:-4
.LBB39_157:
	s_wait_xcnt 0x0
	s_and_not1_saveexec_b32 s1, s1
	s_cbranch_execz .LBB39_159
; %bb.158:
	v_lshlrev_b32_e32 v1, 2, v0
	v_readfirstlane_b32 s6, v8
	v_readfirstlane_b32 s7, v9
	ds_load_b32 v1, v1
	s_wait_dscnt 0x0
	global_store_b32 v0, v1, s[6:7] scale_offset
.LBB39_159:
	s_wait_xcnt 0x0
	s_or_b32 exec_lo, exec_lo, s1
.LBB39_160:
	s_and_not1_saveexec_b32 s0, s0
	s_cbranch_execz .LBB39_162
; %bb.161:
	v_lshlrev_b32_e32 v1, 2, v0
	v_readfirstlane_b32 s6, v16
	v_readfirstlane_b32 s7, v17
	ds_load_b32 v1, v1
	s_wait_dscnt 0x0
	global_store_b32 v0, v1, s[6:7] scale_offset
.LBB39_162:
	s_wait_xcnt 0x0
	s_or_b32 exec_lo, exec_lo, s0
	v_or_b32_e32 v1, 0x100, v0
	s_mov_b32 s0, exec_lo
	s_delay_alu instid0(VALU_DEP_1)
	v_cmpx_ge_u32_e64 v1, v6
	s_xor_b32 s0, exec_lo, s0
	s_cbranch_execz .LBB39_168
; %bb.163:
	s_mov_b32 s1, exec_lo
	v_cmpx_ge_u32_e64 v1, v18
	s_xor_b32 s1, exec_lo, s1
	s_cbranch_execz .LBB39_165
; %bb.164:
	v_dual_mov_b32 v1, 0 :: v_dual_lshlrev_b32 v19, 2, v0
	s_delay_alu instid0(VALU_DEP_1) | instskip(SKIP_2) | instid1(VALU_DEP_1)
	v_add_nc_u64_e32 v[20:21], v[14:15], v[0:1]
	ds_load_b32 v1, v19 offset:1024
	v_lshlrev_b64_e32 v[20:21], 2, v[20:21]
	v_sub_nc_u64_e32 v[20:21], s[14:15], v[20:21]
	s_wait_dscnt 0x0
	global_store_b32 v[20:21], v1, off offset:-1028
.LBB39_165:
	s_wait_xcnt 0x0
	s_and_not1_saveexec_b32 s1, s1
	s_cbranch_execz .LBB39_167
; %bb.166:
	v_lshlrev_b32_e32 v1, 2, v0
	v_readfirstlane_b32 s6, v8
	v_readfirstlane_b32 s7, v9
	ds_load_b32 v1, v1 offset:1024
	s_wait_dscnt 0x0
	global_store_b32 v0, v1, s[6:7] offset:1024 scale_offset
.LBB39_167:
	s_wait_xcnt 0x0
	s_or_b32 exec_lo, exec_lo, s1
.LBB39_168:
	s_and_not1_saveexec_b32 s0, s0
	s_cbranch_execz .LBB39_170
; %bb.169:
	v_lshlrev_b32_e32 v1, 2, v0
	v_readfirstlane_b32 s6, v16
	v_readfirstlane_b32 s7, v17
	ds_load_b32 v1, v1 offset:1024
	s_wait_dscnt 0x0
	global_store_b32 v0, v1, s[6:7] offset:1024 scale_offset
.LBB39_170:
	s_wait_xcnt 0x0
	s_or_b32 exec_lo, exec_lo, s0
	v_or_b32_e32 v1, 0x200, v0
	s_mov_b32 s0, exec_lo
	s_delay_alu instid0(VALU_DEP_1)
	v_cmpx_ge_u32_e64 v1, v6
	s_xor_b32 s0, exec_lo, s0
	s_cbranch_execz .LBB39_176
; %bb.171:
	s_mov_b32 s1, exec_lo
	v_cmpx_ge_u32_e64 v1, v18
	s_xor_b32 s1, exec_lo, s1
	s_cbranch_execz .LBB39_173
; %bb.172:
	v_dual_mov_b32 v1, 0 :: v_dual_lshlrev_b32 v19, 2, v0
	s_delay_alu instid0(VALU_DEP_1) | instskip(SKIP_2) | instid1(VALU_DEP_1)
	v_add_nc_u64_e32 v[20:21], v[14:15], v[0:1]
	ds_load_b32 v1, v19 offset:2048
	v_lshlrev_b64_e32 v[20:21], 2, v[20:21]
	v_sub_nc_u64_e32 v[20:21], s[14:15], v[20:21]
	s_wait_dscnt 0x0
	global_store_b32 v[20:21], v1, off offset:-2052
.LBB39_173:
	s_wait_xcnt 0x0
	s_and_not1_saveexec_b32 s1, s1
	s_cbranch_execz .LBB39_175
; %bb.174:
	v_lshlrev_b32_e32 v1, 2, v0
	v_readfirstlane_b32 s6, v8
	v_readfirstlane_b32 s7, v9
	ds_load_b32 v1, v1 offset:2048
	s_wait_dscnt 0x0
	global_store_b32 v0, v1, s[6:7] offset:2048 scale_offset
.LBB39_175:
	s_wait_xcnt 0x0
	s_or_b32 exec_lo, exec_lo, s1
.LBB39_176:
	s_and_not1_saveexec_b32 s0, s0
	s_cbranch_execz .LBB39_178
; %bb.177:
	v_lshlrev_b32_e32 v1, 2, v0
	v_readfirstlane_b32 s6, v16
	v_readfirstlane_b32 s7, v17
	ds_load_b32 v1, v1 offset:2048
	s_wait_dscnt 0x0
	global_store_b32 v0, v1, s[6:7] offset:2048 scale_offset
.LBB39_178:
	;; [unrolled: 47-line block ×12, first 2 shown]
	s_wait_xcnt 0x0
	s_or_b32 exec_lo, exec_lo, s0
	s_branch .LBB39_152
.LBB39_259:
	s_mov_b32 s0, exec_lo
	v_cmpx_gt_u32_e64 s5, v0
	s_cbranch_execz .LBB39_268
; %bb.260:
	s_mov_b32 s1, exec_lo
	v_cmpx_ge_u32_e64 v0, v6
	s_xor_b32 s1, exec_lo, s1
	s_cbranch_execz .LBB39_266
; %bb.261:
	v_mov_b32_e32 v1, 0
	s_mov_b32 s3, exec_lo
	v_cmpx_ge_u32_e64 v0, v18
	s_xor_b32 s3, exec_lo, s3
	s_cbranch_execz .LBB39_263
; %bb.262:
	v_lshlrev_b32_e32 v19, 2, v0
	v_add_nc_u64_e32 v[20:21], v[14:15], v[0:1]
	ds_load_b32 v1, v19
	v_lshlrev_b64_e32 v[20:21], 2, v[20:21]
	s_delay_alu instid0(VALU_DEP_1)
	v_sub_nc_u64_e32 v[20:21], s[14:15], v[20:21]
	s_wait_dscnt 0x0
	global_store_b32 v[20:21], v1, off offset:-4
.LBB39_263:
	s_wait_xcnt 0x0
	s_and_not1_saveexec_b32 s3, s3
	s_cbranch_execz .LBB39_265
; %bb.264:
	v_lshlrev_b32_e32 v1, 2, v0
	v_readfirstlane_b32 s6, v8
	v_readfirstlane_b32 s7, v9
	ds_load_b32 v1, v1
	s_wait_dscnt 0x0
	global_store_b32 v0, v1, s[6:7] scale_offset
.LBB39_265:
	s_wait_xcnt 0x0
	s_or_b32 exec_lo, exec_lo, s3
.LBB39_266:
	s_and_not1_saveexec_b32 s1, s1
	s_cbranch_execz .LBB39_268
; %bb.267:
	v_lshlrev_b32_e32 v1, 2, v0
	v_readfirstlane_b32 s6, v16
	v_readfirstlane_b32 s7, v17
	ds_load_b32 v1, v1
	s_wait_dscnt 0x0
	global_store_b32 v0, v1, s[6:7] scale_offset
.LBB39_268:
	s_wait_xcnt 0x0
	s_or_b32 exec_lo, exec_lo, s0
	v_or_b32_e32 v1, 0x100, v0
	s_mov_b32 s0, exec_lo
	s_delay_alu instid0(VALU_DEP_1)
	v_cmpx_gt_u32_e64 s5, v1
	s_cbranch_execz .LBB39_277
; %bb.269:
	s_mov_b32 s1, exec_lo
	v_cmpx_ge_u32_e64 v1, v6
	s_xor_b32 s1, exec_lo, s1
	s_cbranch_execz .LBB39_275
; %bb.270:
	s_mov_b32 s3, exec_lo
	v_cmpx_ge_u32_e64 v1, v18
	s_xor_b32 s3, exec_lo, s3
	s_cbranch_execz .LBB39_272
; %bb.271:
	v_dual_mov_b32 v1, 0 :: v_dual_lshlrev_b32 v19, 2, v0
	s_delay_alu instid0(VALU_DEP_1) | instskip(SKIP_2) | instid1(VALU_DEP_1)
	v_add_nc_u64_e32 v[20:21], v[14:15], v[0:1]
	ds_load_b32 v1, v19 offset:1024
	v_lshlrev_b64_e32 v[20:21], 2, v[20:21]
	v_sub_nc_u64_e32 v[20:21], s[14:15], v[20:21]
	s_wait_dscnt 0x0
	global_store_b32 v[20:21], v1, off offset:-1028
.LBB39_272:
	s_wait_xcnt 0x0
	s_and_not1_saveexec_b32 s3, s3
	s_cbranch_execz .LBB39_274
; %bb.273:
	v_lshlrev_b32_e32 v1, 2, v0
	v_readfirstlane_b32 s6, v8
	v_readfirstlane_b32 s7, v9
	ds_load_b32 v1, v1 offset:1024
	s_wait_dscnt 0x0
	global_store_b32 v0, v1, s[6:7] offset:1024 scale_offset
.LBB39_274:
	s_wait_xcnt 0x0
	s_or_b32 exec_lo, exec_lo, s3
.LBB39_275:
	s_and_not1_saveexec_b32 s1, s1
	s_cbranch_execz .LBB39_277
; %bb.276:
	v_lshlrev_b32_e32 v1, 2, v0
	v_readfirstlane_b32 s6, v16
	v_readfirstlane_b32 s7, v17
	ds_load_b32 v1, v1 offset:1024
	s_wait_dscnt 0x0
	global_store_b32 v0, v1, s[6:7] offset:1024 scale_offset
.LBB39_277:
	s_wait_xcnt 0x0
	s_or_b32 exec_lo, exec_lo, s0
	v_or_b32_e32 v1, 0x200, v0
	s_mov_b32 s0, exec_lo
	s_delay_alu instid0(VALU_DEP_1)
	v_cmpx_gt_u32_e64 s5, v1
	s_cbranch_execz .LBB39_286
; %bb.278:
	s_mov_b32 s1, exec_lo
	v_cmpx_ge_u32_e64 v1, v6
	s_xor_b32 s1, exec_lo, s1
	s_cbranch_execz .LBB39_284
; %bb.279:
	s_mov_b32 s3, exec_lo
	v_cmpx_ge_u32_e64 v1, v18
	s_xor_b32 s3, exec_lo, s3
	s_cbranch_execz .LBB39_281
; %bb.280:
	v_dual_mov_b32 v1, 0 :: v_dual_lshlrev_b32 v19, 2, v0
	s_delay_alu instid0(VALU_DEP_1) | instskip(SKIP_2) | instid1(VALU_DEP_1)
	v_add_nc_u64_e32 v[20:21], v[14:15], v[0:1]
	ds_load_b32 v1, v19 offset:2048
	v_lshlrev_b64_e32 v[20:21], 2, v[20:21]
	v_sub_nc_u64_e32 v[20:21], s[14:15], v[20:21]
	s_wait_dscnt 0x0
	global_store_b32 v[20:21], v1, off offset:-2052
.LBB39_281:
	s_wait_xcnt 0x0
	s_and_not1_saveexec_b32 s3, s3
	s_cbranch_execz .LBB39_283
; %bb.282:
	v_lshlrev_b32_e32 v1, 2, v0
	v_readfirstlane_b32 s6, v8
	v_readfirstlane_b32 s7, v9
	ds_load_b32 v1, v1 offset:2048
	s_wait_dscnt 0x0
	global_store_b32 v0, v1, s[6:7] offset:2048 scale_offset
.LBB39_283:
	s_wait_xcnt 0x0
	s_or_b32 exec_lo, exec_lo, s3
.LBB39_284:
	s_and_not1_saveexec_b32 s1, s1
	s_cbranch_execz .LBB39_286
; %bb.285:
	v_lshlrev_b32_e32 v1, 2, v0
	v_readfirstlane_b32 s6, v16
	v_readfirstlane_b32 s7, v17
	ds_load_b32 v1, v1 offset:2048
	s_wait_dscnt 0x0
	global_store_b32 v0, v1, s[6:7] offset:2048 scale_offset
.LBB39_286:
	;; [unrolled: 51-line block ×11, first 2 shown]
	s_wait_xcnt 0x0
	s_or_b32 exec_lo, exec_lo, s0
	v_or_b32_e32 v1, 0xc00, v0
	s_mov_b32 s0, exec_lo
	s_delay_alu instid0(VALU_DEP_1)
	v_cmpx_gt_u32_e64 s5, v1
	s_cbranch_execz .LBB39_376
; %bb.368:
	s_mov_b32 s1, exec_lo
	v_cmpx_ge_u32_e64 v1, v6
	s_xor_b32 s1, exec_lo, s1
	s_cbranch_execz .LBB39_374
; %bb.369:
	s_mov_b32 s3, exec_lo
	v_cmpx_ge_u32_e64 v1, v18
	s_xor_b32 s3, exec_lo, s3
	s_cbranch_execz .LBB39_371
; %bb.370:
	v_dual_mov_b32 v1, 0 :: v_dual_lshlrev_b32 v8, 2, v0
	s_delay_alu instid0(VALU_DEP_1) | instskip(SKIP_2) | instid1(VALU_DEP_1)
	v_add_nc_u64_e32 v[0:1], v[14:15], v[0:1]
	ds_load_b32 v8, v8 offset:12288
	v_lshlrev_b64_e32 v[0:1], 2, v[0:1]
	v_sub_nc_u64_e32 v[0:1], s[14:15], v[0:1]
	s_wait_dscnt 0x0
	global_store_b32 v[0:1], v8, off offset:-12292
                                        ; implicit-def: $vgpr0
                                        ; implicit-def: $vgpr8_vgpr9
.LBB39_371:
	s_wait_xcnt 0x0
	s_and_not1_saveexec_b32 s3, s3
	s_cbranch_execz .LBB39_373
; %bb.372:
	v_lshlrev_b32_e32 v1, 2, v0
	v_readfirstlane_b32 s4, v8
	v_readfirstlane_b32 s5, v9
	ds_load_b32 v1, v1 offset:12288
	s_wait_dscnt 0x0
	global_store_b32 v0, v1, s[4:5] offset:12288 scale_offset
.LBB39_373:
	s_wait_xcnt 0x0
	s_or_b32 exec_lo, exec_lo, s3
                                        ; implicit-def: $vgpr0
                                        ; implicit-def: $vgpr16_vgpr17
.LBB39_374:
	s_and_not1_saveexec_b32 s1, s1
	s_cbranch_execz .LBB39_376
; %bb.375:
	v_lshlrev_b32_e32 v1, 2, v0
	v_readfirstlane_b32 s4, v16
	v_readfirstlane_b32 s5, v17
	ds_load_b32 v1, v1 offset:12288
	s_wait_dscnt 0x0
	global_store_b32 v0, v1, s[4:5] offset:12288 scale_offset
.LBB39_376:
	s_wait_xcnt 0x0
	s_or_b32 exec_lo, exec_lo, s0
	s_and_b32 s0, s2, s26
	s_delay_alu instid0(SALU_CYCLE_1)
	s_and_saveexec_b32 s1, s0
	s_cbranch_execz .LBB39_153
.LBB39_377:
	v_add_nc_u64_e32 v[0:1], v[4:5], v[12:13]
	v_add_nc_u64_e32 v[2:3], v[2:3], v[6:7]
	s_delay_alu instid0(VALU_DEP_2)
	v_add_nc_u64_e32 v[4:5], v[0:1], v[10:11]
	v_mov_b32_e32 v0, 0
	global_store_b128 v0, v[2:5], s[24:25]
	s_sendmsg sendmsg(MSG_DEALLOC_VGPRS)
	s_endpgm
	.section	.rodata,"a",@progbits
	.p2align	6, 0x0
	.amdhsa_kernel _ZN7rocprim17ROCPRIM_400000_NS6detail17trampoline_kernelINS0_13select_configILj256ELj13ELNS0_17block_load_methodE3ELS4_3ELS4_3ELNS0_20block_scan_algorithmE0ELj4294967295EEENS1_25partition_config_selectorILNS1_17partition_subalgoE4EjNS0_10empty_typeEbEEZZNS1_14partition_implILS8_4ELb0ES6_15HIP_vector_typeIjLj2EENS0_17counting_iteratorIjlEEPS9_SG_NS0_5tupleIJPjSI_NS0_16reverse_iteratorISI_EEEEENSH_IJSG_SG_SG_EEES9_SI_JZNS1_25segmented_radix_sort_implINS0_14default_configELb1EPKhPhPKlPlN2at6native12_GLOBAL__N_18offset_tEEE10hipError_tPvRmT1_PNSt15iterator_traitsIS12_E10value_typeET2_T3_PNS13_IS18_E10value_typeET4_jRbjT5_S1E_jjP12ihipStream_tbEUljE_ZNSN_ISO_Lb1ESQ_SR_ST_SU_SY_EESZ_S10_S11_S12_S16_S17_S18_S1B_S1C_jS1D_jS1E_S1E_jjS1G_bEUljE0_EEESZ_S10_S11_S18_S1C_S1E_T6_T7_T9_mT8_S1G_bDpT10_ENKUlT_T0_E_clISt17integral_constantIbLb0EES1T_IbLb1EEEEDaS1P_S1Q_EUlS1P_E_NS1_11comp_targetILNS1_3genE0ELNS1_11target_archE4294967295ELNS1_3gpuE0ELNS1_3repE0EEENS1_30default_config_static_selectorELNS0_4arch9wavefront6targetE0EEEvS12_
		.amdhsa_group_segment_fixed_size 13328
		.amdhsa_private_segment_fixed_size 0
		.amdhsa_kernarg_size 184
		.amdhsa_user_sgpr_count 2
		.amdhsa_user_sgpr_dispatch_ptr 0
		.amdhsa_user_sgpr_queue_ptr 0
		.amdhsa_user_sgpr_kernarg_segment_ptr 1
		.amdhsa_user_sgpr_dispatch_id 0
		.amdhsa_user_sgpr_kernarg_preload_length 0
		.amdhsa_user_sgpr_kernarg_preload_offset 0
		.amdhsa_user_sgpr_private_segment_size 0
		.amdhsa_wavefront_size32 1
		.amdhsa_uses_dynamic_stack 0
		.amdhsa_enable_private_segment 0
		.amdhsa_system_sgpr_workgroup_id_x 1
		.amdhsa_system_sgpr_workgroup_id_y 0
		.amdhsa_system_sgpr_workgroup_id_z 0
		.amdhsa_system_sgpr_workgroup_info 0
		.amdhsa_system_vgpr_workitem_id 0
		.amdhsa_next_free_vgpr 86
		.amdhsa_next_free_sgpr 55
		.amdhsa_named_barrier_count 0
		.amdhsa_reserve_vcc 1
		.amdhsa_float_round_mode_32 0
		.amdhsa_float_round_mode_16_64 0
		.amdhsa_float_denorm_mode_32 3
		.amdhsa_float_denorm_mode_16_64 3
		.amdhsa_fp16_overflow 0
		.amdhsa_memory_ordered 1
		.amdhsa_forward_progress 1
		.amdhsa_inst_pref_size 140
		.amdhsa_round_robin_scheduling 0
		.amdhsa_exception_fp_ieee_invalid_op 0
		.amdhsa_exception_fp_denorm_src 0
		.amdhsa_exception_fp_ieee_div_zero 0
		.amdhsa_exception_fp_ieee_overflow 0
		.amdhsa_exception_fp_ieee_underflow 0
		.amdhsa_exception_fp_ieee_inexact 0
		.amdhsa_exception_int_div_zero 0
	.end_amdhsa_kernel
	.section	.text._ZN7rocprim17ROCPRIM_400000_NS6detail17trampoline_kernelINS0_13select_configILj256ELj13ELNS0_17block_load_methodE3ELS4_3ELS4_3ELNS0_20block_scan_algorithmE0ELj4294967295EEENS1_25partition_config_selectorILNS1_17partition_subalgoE4EjNS0_10empty_typeEbEEZZNS1_14partition_implILS8_4ELb0ES6_15HIP_vector_typeIjLj2EENS0_17counting_iteratorIjlEEPS9_SG_NS0_5tupleIJPjSI_NS0_16reverse_iteratorISI_EEEEENSH_IJSG_SG_SG_EEES9_SI_JZNS1_25segmented_radix_sort_implINS0_14default_configELb1EPKhPhPKlPlN2at6native12_GLOBAL__N_18offset_tEEE10hipError_tPvRmT1_PNSt15iterator_traitsIS12_E10value_typeET2_T3_PNS13_IS18_E10value_typeET4_jRbjT5_S1E_jjP12ihipStream_tbEUljE_ZNSN_ISO_Lb1ESQ_SR_ST_SU_SY_EESZ_S10_S11_S12_S16_S17_S18_S1B_S1C_jS1D_jS1E_S1E_jjS1G_bEUljE0_EEESZ_S10_S11_S18_S1C_S1E_T6_T7_T9_mT8_S1G_bDpT10_ENKUlT_T0_E_clISt17integral_constantIbLb0EES1T_IbLb1EEEEDaS1P_S1Q_EUlS1P_E_NS1_11comp_targetILNS1_3genE0ELNS1_11target_archE4294967295ELNS1_3gpuE0ELNS1_3repE0EEENS1_30default_config_static_selectorELNS0_4arch9wavefront6targetE0EEEvS12_,"axG",@progbits,_ZN7rocprim17ROCPRIM_400000_NS6detail17trampoline_kernelINS0_13select_configILj256ELj13ELNS0_17block_load_methodE3ELS4_3ELS4_3ELNS0_20block_scan_algorithmE0ELj4294967295EEENS1_25partition_config_selectorILNS1_17partition_subalgoE4EjNS0_10empty_typeEbEEZZNS1_14partition_implILS8_4ELb0ES6_15HIP_vector_typeIjLj2EENS0_17counting_iteratorIjlEEPS9_SG_NS0_5tupleIJPjSI_NS0_16reverse_iteratorISI_EEEEENSH_IJSG_SG_SG_EEES9_SI_JZNS1_25segmented_radix_sort_implINS0_14default_configELb1EPKhPhPKlPlN2at6native12_GLOBAL__N_18offset_tEEE10hipError_tPvRmT1_PNSt15iterator_traitsIS12_E10value_typeET2_T3_PNS13_IS18_E10value_typeET4_jRbjT5_S1E_jjP12ihipStream_tbEUljE_ZNSN_ISO_Lb1ESQ_SR_ST_SU_SY_EESZ_S10_S11_S12_S16_S17_S18_S1B_S1C_jS1D_jS1E_S1E_jjS1G_bEUljE0_EEESZ_S10_S11_S18_S1C_S1E_T6_T7_T9_mT8_S1G_bDpT10_ENKUlT_T0_E_clISt17integral_constantIbLb0EES1T_IbLb1EEEEDaS1P_S1Q_EUlS1P_E_NS1_11comp_targetILNS1_3genE0ELNS1_11target_archE4294967295ELNS1_3gpuE0ELNS1_3repE0EEENS1_30default_config_static_selectorELNS0_4arch9wavefront6targetE0EEEvS12_,comdat
.Lfunc_end39:
	.size	_ZN7rocprim17ROCPRIM_400000_NS6detail17trampoline_kernelINS0_13select_configILj256ELj13ELNS0_17block_load_methodE3ELS4_3ELS4_3ELNS0_20block_scan_algorithmE0ELj4294967295EEENS1_25partition_config_selectorILNS1_17partition_subalgoE4EjNS0_10empty_typeEbEEZZNS1_14partition_implILS8_4ELb0ES6_15HIP_vector_typeIjLj2EENS0_17counting_iteratorIjlEEPS9_SG_NS0_5tupleIJPjSI_NS0_16reverse_iteratorISI_EEEEENSH_IJSG_SG_SG_EEES9_SI_JZNS1_25segmented_radix_sort_implINS0_14default_configELb1EPKhPhPKlPlN2at6native12_GLOBAL__N_18offset_tEEE10hipError_tPvRmT1_PNSt15iterator_traitsIS12_E10value_typeET2_T3_PNS13_IS18_E10value_typeET4_jRbjT5_S1E_jjP12ihipStream_tbEUljE_ZNSN_ISO_Lb1ESQ_SR_ST_SU_SY_EESZ_S10_S11_S12_S16_S17_S18_S1B_S1C_jS1D_jS1E_S1E_jjS1G_bEUljE0_EEESZ_S10_S11_S18_S1C_S1E_T6_T7_T9_mT8_S1G_bDpT10_ENKUlT_T0_E_clISt17integral_constantIbLb0EES1T_IbLb1EEEEDaS1P_S1Q_EUlS1P_E_NS1_11comp_targetILNS1_3genE0ELNS1_11target_archE4294967295ELNS1_3gpuE0ELNS1_3repE0EEENS1_30default_config_static_selectorELNS0_4arch9wavefront6targetE0EEEvS12_, .Lfunc_end39-_ZN7rocprim17ROCPRIM_400000_NS6detail17trampoline_kernelINS0_13select_configILj256ELj13ELNS0_17block_load_methodE3ELS4_3ELS4_3ELNS0_20block_scan_algorithmE0ELj4294967295EEENS1_25partition_config_selectorILNS1_17partition_subalgoE4EjNS0_10empty_typeEbEEZZNS1_14partition_implILS8_4ELb0ES6_15HIP_vector_typeIjLj2EENS0_17counting_iteratorIjlEEPS9_SG_NS0_5tupleIJPjSI_NS0_16reverse_iteratorISI_EEEEENSH_IJSG_SG_SG_EEES9_SI_JZNS1_25segmented_radix_sort_implINS0_14default_configELb1EPKhPhPKlPlN2at6native12_GLOBAL__N_18offset_tEEE10hipError_tPvRmT1_PNSt15iterator_traitsIS12_E10value_typeET2_T3_PNS13_IS18_E10value_typeET4_jRbjT5_S1E_jjP12ihipStream_tbEUljE_ZNSN_ISO_Lb1ESQ_SR_ST_SU_SY_EESZ_S10_S11_S12_S16_S17_S18_S1B_S1C_jS1D_jS1E_S1E_jjS1G_bEUljE0_EEESZ_S10_S11_S18_S1C_S1E_T6_T7_T9_mT8_S1G_bDpT10_ENKUlT_T0_E_clISt17integral_constantIbLb0EES1T_IbLb1EEEEDaS1P_S1Q_EUlS1P_E_NS1_11comp_targetILNS1_3genE0ELNS1_11target_archE4294967295ELNS1_3gpuE0ELNS1_3repE0EEENS1_30default_config_static_selectorELNS0_4arch9wavefront6targetE0EEEvS12_
                                        ; -- End function
	.set _ZN7rocprim17ROCPRIM_400000_NS6detail17trampoline_kernelINS0_13select_configILj256ELj13ELNS0_17block_load_methodE3ELS4_3ELS4_3ELNS0_20block_scan_algorithmE0ELj4294967295EEENS1_25partition_config_selectorILNS1_17partition_subalgoE4EjNS0_10empty_typeEbEEZZNS1_14partition_implILS8_4ELb0ES6_15HIP_vector_typeIjLj2EENS0_17counting_iteratorIjlEEPS9_SG_NS0_5tupleIJPjSI_NS0_16reverse_iteratorISI_EEEEENSH_IJSG_SG_SG_EEES9_SI_JZNS1_25segmented_radix_sort_implINS0_14default_configELb1EPKhPhPKlPlN2at6native12_GLOBAL__N_18offset_tEEE10hipError_tPvRmT1_PNSt15iterator_traitsIS12_E10value_typeET2_T3_PNS13_IS18_E10value_typeET4_jRbjT5_S1E_jjP12ihipStream_tbEUljE_ZNSN_ISO_Lb1ESQ_SR_ST_SU_SY_EESZ_S10_S11_S12_S16_S17_S18_S1B_S1C_jS1D_jS1E_S1E_jjS1G_bEUljE0_EEESZ_S10_S11_S18_S1C_S1E_T6_T7_T9_mT8_S1G_bDpT10_ENKUlT_T0_E_clISt17integral_constantIbLb0EES1T_IbLb1EEEEDaS1P_S1Q_EUlS1P_E_NS1_11comp_targetILNS1_3genE0ELNS1_11target_archE4294967295ELNS1_3gpuE0ELNS1_3repE0EEENS1_30default_config_static_selectorELNS0_4arch9wavefront6targetE0EEEvS12_.num_vgpr, 86
	.set _ZN7rocprim17ROCPRIM_400000_NS6detail17trampoline_kernelINS0_13select_configILj256ELj13ELNS0_17block_load_methodE3ELS4_3ELS4_3ELNS0_20block_scan_algorithmE0ELj4294967295EEENS1_25partition_config_selectorILNS1_17partition_subalgoE4EjNS0_10empty_typeEbEEZZNS1_14partition_implILS8_4ELb0ES6_15HIP_vector_typeIjLj2EENS0_17counting_iteratorIjlEEPS9_SG_NS0_5tupleIJPjSI_NS0_16reverse_iteratorISI_EEEEENSH_IJSG_SG_SG_EEES9_SI_JZNS1_25segmented_radix_sort_implINS0_14default_configELb1EPKhPhPKlPlN2at6native12_GLOBAL__N_18offset_tEEE10hipError_tPvRmT1_PNSt15iterator_traitsIS12_E10value_typeET2_T3_PNS13_IS18_E10value_typeET4_jRbjT5_S1E_jjP12ihipStream_tbEUljE_ZNSN_ISO_Lb1ESQ_SR_ST_SU_SY_EESZ_S10_S11_S12_S16_S17_S18_S1B_S1C_jS1D_jS1E_S1E_jjS1G_bEUljE0_EEESZ_S10_S11_S18_S1C_S1E_T6_T7_T9_mT8_S1G_bDpT10_ENKUlT_T0_E_clISt17integral_constantIbLb0EES1T_IbLb1EEEEDaS1P_S1Q_EUlS1P_E_NS1_11comp_targetILNS1_3genE0ELNS1_11target_archE4294967295ELNS1_3gpuE0ELNS1_3repE0EEENS1_30default_config_static_selectorELNS0_4arch9wavefront6targetE0EEEvS12_.num_agpr, 0
	.set _ZN7rocprim17ROCPRIM_400000_NS6detail17trampoline_kernelINS0_13select_configILj256ELj13ELNS0_17block_load_methodE3ELS4_3ELS4_3ELNS0_20block_scan_algorithmE0ELj4294967295EEENS1_25partition_config_selectorILNS1_17partition_subalgoE4EjNS0_10empty_typeEbEEZZNS1_14partition_implILS8_4ELb0ES6_15HIP_vector_typeIjLj2EENS0_17counting_iteratorIjlEEPS9_SG_NS0_5tupleIJPjSI_NS0_16reverse_iteratorISI_EEEEENSH_IJSG_SG_SG_EEES9_SI_JZNS1_25segmented_radix_sort_implINS0_14default_configELb1EPKhPhPKlPlN2at6native12_GLOBAL__N_18offset_tEEE10hipError_tPvRmT1_PNSt15iterator_traitsIS12_E10value_typeET2_T3_PNS13_IS18_E10value_typeET4_jRbjT5_S1E_jjP12ihipStream_tbEUljE_ZNSN_ISO_Lb1ESQ_SR_ST_SU_SY_EESZ_S10_S11_S12_S16_S17_S18_S1B_S1C_jS1D_jS1E_S1E_jjS1G_bEUljE0_EEESZ_S10_S11_S18_S1C_S1E_T6_T7_T9_mT8_S1G_bDpT10_ENKUlT_T0_E_clISt17integral_constantIbLb0EES1T_IbLb1EEEEDaS1P_S1Q_EUlS1P_E_NS1_11comp_targetILNS1_3genE0ELNS1_11target_archE4294967295ELNS1_3gpuE0ELNS1_3repE0EEENS1_30default_config_static_selectorELNS0_4arch9wavefront6targetE0EEEvS12_.numbered_sgpr, 55
	.set _ZN7rocprim17ROCPRIM_400000_NS6detail17trampoline_kernelINS0_13select_configILj256ELj13ELNS0_17block_load_methodE3ELS4_3ELS4_3ELNS0_20block_scan_algorithmE0ELj4294967295EEENS1_25partition_config_selectorILNS1_17partition_subalgoE4EjNS0_10empty_typeEbEEZZNS1_14partition_implILS8_4ELb0ES6_15HIP_vector_typeIjLj2EENS0_17counting_iteratorIjlEEPS9_SG_NS0_5tupleIJPjSI_NS0_16reverse_iteratorISI_EEEEENSH_IJSG_SG_SG_EEES9_SI_JZNS1_25segmented_radix_sort_implINS0_14default_configELb1EPKhPhPKlPlN2at6native12_GLOBAL__N_18offset_tEEE10hipError_tPvRmT1_PNSt15iterator_traitsIS12_E10value_typeET2_T3_PNS13_IS18_E10value_typeET4_jRbjT5_S1E_jjP12ihipStream_tbEUljE_ZNSN_ISO_Lb1ESQ_SR_ST_SU_SY_EESZ_S10_S11_S12_S16_S17_S18_S1B_S1C_jS1D_jS1E_S1E_jjS1G_bEUljE0_EEESZ_S10_S11_S18_S1C_S1E_T6_T7_T9_mT8_S1G_bDpT10_ENKUlT_T0_E_clISt17integral_constantIbLb0EES1T_IbLb1EEEEDaS1P_S1Q_EUlS1P_E_NS1_11comp_targetILNS1_3genE0ELNS1_11target_archE4294967295ELNS1_3gpuE0ELNS1_3repE0EEENS1_30default_config_static_selectorELNS0_4arch9wavefront6targetE0EEEvS12_.num_named_barrier, 0
	.set _ZN7rocprim17ROCPRIM_400000_NS6detail17trampoline_kernelINS0_13select_configILj256ELj13ELNS0_17block_load_methodE3ELS4_3ELS4_3ELNS0_20block_scan_algorithmE0ELj4294967295EEENS1_25partition_config_selectorILNS1_17partition_subalgoE4EjNS0_10empty_typeEbEEZZNS1_14partition_implILS8_4ELb0ES6_15HIP_vector_typeIjLj2EENS0_17counting_iteratorIjlEEPS9_SG_NS0_5tupleIJPjSI_NS0_16reverse_iteratorISI_EEEEENSH_IJSG_SG_SG_EEES9_SI_JZNS1_25segmented_radix_sort_implINS0_14default_configELb1EPKhPhPKlPlN2at6native12_GLOBAL__N_18offset_tEEE10hipError_tPvRmT1_PNSt15iterator_traitsIS12_E10value_typeET2_T3_PNS13_IS18_E10value_typeET4_jRbjT5_S1E_jjP12ihipStream_tbEUljE_ZNSN_ISO_Lb1ESQ_SR_ST_SU_SY_EESZ_S10_S11_S12_S16_S17_S18_S1B_S1C_jS1D_jS1E_S1E_jjS1G_bEUljE0_EEESZ_S10_S11_S18_S1C_S1E_T6_T7_T9_mT8_S1G_bDpT10_ENKUlT_T0_E_clISt17integral_constantIbLb0EES1T_IbLb1EEEEDaS1P_S1Q_EUlS1P_E_NS1_11comp_targetILNS1_3genE0ELNS1_11target_archE4294967295ELNS1_3gpuE0ELNS1_3repE0EEENS1_30default_config_static_selectorELNS0_4arch9wavefront6targetE0EEEvS12_.private_seg_size, 0
	.set _ZN7rocprim17ROCPRIM_400000_NS6detail17trampoline_kernelINS0_13select_configILj256ELj13ELNS0_17block_load_methodE3ELS4_3ELS4_3ELNS0_20block_scan_algorithmE0ELj4294967295EEENS1_25partition_config_selectorILNS1_17partition_subalgoE4EjNS0_10empty_typeEbEEZZNS1_14partition_implILS8_4ELb0ES6_15HIP_vector_typeIjLj2EENS0_17counting_iteratorIjlEEPS9_SG_NS0_5tupleIJPjSI_NS0_16reverse_iteratorISI_EEEEENSH_IJSG_SG_SG_EEES9_SI_JZNS1_25segmented_radix_sort_implINS0_14default_configELb1EPKhPhPKlPlN2at6native12_GLOBAL__N_18offset_tEEE10hipError_tPvRmT1_PNSt15iterator_traitsIS12_E10value_typeET2_T3_PNS13_IS18_E10value_typeET4_jRbjT5_S1E_jjP12ihipStream_tbEUljE_ZNSN_ISO_Lb1ESQ_SR_ST_SU_SY_EESZ_S10_S11_S12_S16_S17_S18_S1B_S1C_jS1D_jS1E_S1E_jjS1G_bEUljE0_EEESZ_S10_S11_S18_S1C_S1E_T6_T7_T9_mT8_S1G_bDpT10_ENKUlT_T0_E_clISt17integral_constantIbLb0EES1T_IbLb1EEEEDaS1P_S1Q_EUlS1P_E_NS1_11comp_targetILNS1_3genE0ELNS1_11target_archE4294967295ELNS1_3gpuE0ELNS1_3repE0EEENS1_30default_config_static_selectorELNS0_4arch9wavefront6targetE0EEEvS12_.uses_vcc, 1
	.set _ZN7rocprim17ROCPRIM_400000_NS6detail17trampoline_kernelINS0_13select_configILj256ELj13ELNS0_17block_load_methodE3ELS4_3ELS4_3ELNS0_20block_scan_algorithmE0ELj4294967295EEENS1_25partition_config_selectorILNS1_17partition_subalgoE4EjNS0_10empty_typeEbEEZZNS1_14partition_implILS8_4ELb0ES6_15HIP_vector_typeIjLj2EENS0_17counting_iteratorIjlEEPS9_SG_NS0_5tupleIJPjSI_NS0_16reverse_iteratorISI_EEEEENSH_IJSG_SG_SG_EEES9_SI_JZNS1_25segmented_radix_sort_implINS0_14default_configELb1EPKhPhPKlPlN2at6native12_GLOBAL__N_18offset_tEEE10hipError_tPvRmT1_PNSt15iterator_traitsIS12_E10value_typeET2_T3_PNS13_IS18_E10value_typeET4_jRbjT5_S1E_jjP12ihipStream_tbEUljE_ZNSN_ISO_Lb1ESQ_SR_ST_SU_SY_EESZ_S10_S11_S12_S16_S17_S18_S1B_S1C_jS1D_jS1E_S1E_jjS1G_bEUljE0_EEESZ_S10_S11_S18_S1C_S1E_T6_T7_T9_mT8_S1G_bDpT10_ENKUlT_T0_E_clISt17integral_constantIbLb0EES1T_IbLb1EEEEDaS1P_S1Q_EUlS1P_E_NS1_11comp_targetILNS1_3genE0ELNS1_11target_archE4294967295ELNS1_3gpuE0ELNS1_3repE0EEENS1_30default_config_static_selectorELNS0_4arch9wavefront6targetE0EEEvS12_.uses_flat_scratch, 0
	.set _ZN7rocprim17ROCPRIM_400000_NS6detail17trampoline_kernelINS0_13select_configILj256ELj13ELNS0_17block_load_methodE3ELS4_3ELS4_3ELNS0_20block_scan_algorithmE0ELj4294967295EEENS1_25partition_config_selectorILNS1_17partition_subalgoE4EjNS0_10empty_typeEbEEZZNS1_14partition_implILS8_4ELb0ES6_15HIP_vector_typeIjLj2EENS0_17counting_iteratorIjlEEPS9_SG_NS0_5tupleIJPjSI_NS0_16reverse_iteratorISI_EEEEENSH_IJSG_SG_SG_EEES9_SI_JZNS1_25segmented_radix_sort_implINS0_14default_configELb1EPKhPhPKlPlN2at6native12_GLOBAL__N_18offset_tEEE10hipError_tPvRmT1_PNSt15iterator_traitsIS12_E10value_typeET2_T3_PNS13_IS18_E10value_typeET4_jRbjT5_S1E_jjP12ihipStream_tbEUljE_ZNSN_ISO_Lb1ESQ_SR_ST_SU_SY_EESZ_S10_S11_S12_S16_S17_S18_S1B_S1C_jS1D_jS1E_S1E_jjS1G_bEUljE0_EEESZ_S10_S11_S18_S1C_S1E_T6_T7_T9_mT8_S1G_bDpT10_ENKUlT_T0_E_clISt17integral_constantIbLb0EES1T_IbLb1EEEEDaS1P_S1Q_EUlS1P_E_NS1_11comp_targetILNS1_3genE0ELNS1_11target_archE4294967295ELNS1_3gpuE0ELNS1_3repE0EEENS1_30default_config_static_selectorELNS0_4arch9wavefront6targetE0EEEvS12_.has_dyn_sized_stack, 0
	.set _ZN7rocprim17ROCPRIM_400000_NS6detail17trampoline_kernelINS0_13select_configILj256ELj13ELNS0_17block_load_methodE3ELS4_3ELS4_3ELNS0_20block_scan_algorithmE0ELj4294967295EEENS1_25partition_config_selectorILNS1_17partition_subalgoE4EjNS0_10empty_typeEbEEZZNS1_14partition_implILS8_4ELb0ES6_15HIP_vector_typeIjLj2EENS0_17counting_iteratorIjlEEPS9_SG_NS0_5tupleIJPjSI_NS0_16reverse_iteratorISI_EEEEENSH_IJSG_SG_SG_EEES9_SI_JZNS1_25segmented_radix_sort_implINS0_14default_configELb1EPKhPhPKlPlN2at6native12_GLOBAL__N_18offset_tEEE10hipError_tPvRmT1_PNSt15iterator_traitsIS12_E10value_typeET2_T3_PNS13_IS18_E10value_typeET4_jRbjT5_S1E_jjP12ihipStream_tbEUljE_ZNSN_ISO_Lb1ESQ_SR_ST_SU_SY_EESZ_S10_S11_S12_S16_S17_S18_S1B_S1C_jS1D_jS1E_S1E_jjS1G_bEUljE0_EEESZ_S10_S11_S18_S1C_S1E_T6_T7_T9_mT8_S1G_bDpT10_ENKUlT_T0_E_clISt17integral_constantIbLb0EES1T_IbLb1EEEEDaS1P_S1Q_EUlS1P_E_NS1_11comp_targetILNS1_3genE0ELNS1_11target_archE4294967295ELNS1_3gpuE0ELNS1_3repE0EEENS1_30default_config_static_selectorELNS0_4arch9wavefront6targetE0EEEvS12_.has_recursion, 0
	.set _ZN7rocprim17ROCPRIM_400000_NS6detail17trampoline_kernelINS0_13select_configILj256ELj13ELNS0_17block_load_methodE3ELS4_3ELS4_3ELNS0_20block_scan_algorithmE0ELj4294967295EEENS1_25partition_config_selectorILNS1_17partition_subalgoE4EjNS0_10empty_typeEbEEZZNS1_14partition_implILS8_4ELb0ES6_15HIP_vector_typeIjLj2EENS0_17counting_iteratorIjlEEPS9_SG_NS0_5tupleIJPjSI_NS0_16reverse_iteratorISI_EEEEENSH_IJSG_SG_SG_EEES9_SI_JZNS1_25segmented_radix_sort_implINS0_14default_configELb1EPKhPhPKlPlN2at6native12_GLOBAL__N_18offset_tEEE10hipError_tPvRmT1_PNSt15iterator_traitsIS12_E10value_typeET2_T3_PNS13_IS18_E10value_typeET4_jRbjT5_S1E_jjP12ihipStream_tbEUljE_ZNSN_ISO_Lb1ESQ_SR_ST_SU_SY_EESZ_S10_S11_S12_S16_S17_S18_S1B_S1C_jS1D_jS1E_S1E_jjS1G_bEUljE0_EEESZ_S10_S11_S18_S1C_S1E_T6_T7_T9_mT8_S1G_bDpT10_ENKUlT_T0_E_clISt17integral_constantIbLb0EES1T_IbLb1EEEEDaS1P_S1Q_EUlS1P_E_NS1_11comp_targetILNS1_3genE0ELNS1_11target_archE4294967295ELNS1_3gpuE0ELNS1_3repE0EEENS1_30default_config_static_selectorELNS0_4arch9wavefront6targetE0EEEvS12_.has_indirect_call, 0
	.section	.AMDGPU.csdata,"",@progbits
; Kernel info:
; codeLenInByte = 17828
; TotalNumSgprs: 57
; NumVgprs: 86
; ScratchSize: 0
; MemoryBound: 0
; FloatMode: 240
; IeeeMode: 1
; LDSByteSize: 13328 bytes/workgroup (compile time only)
; SGPRBlocks: 0
; VGPRBlocks: 5
; NumSGPRsForWavesPerEU: 57
; NumVGPRsForWavesPerEU: 86
; NamedBarCnt: 0
; Occupancy: 10
; WaveLimiterHint : 1
; COMPUTE_PGM_RSRC2:SCRATCH_EN: 0
; COMPUTE_PGM_RSRC2:USER_SGPR: 2
; COMPUTE_PGM_RSRC2:TRAP_HANDLER: 0
; COMPUTE_PGM_RSRC2:TGID_X_EN: 1
; COMPUTE_PGM_RSRC2:TGID_Y_EN: 0
; COMPUTE_PGM_RSRC2:TGID_Z_EN: 0
; COMPUTE_PGM_RSRC2:TIDIG_COMP_CNT: 0
	.section	.text._ZN7rocprim17ROCPRIM_400000_NS6detail17trampoline_kernelINS0_13select_configILj256ELj13ELNS0_17block_load_methodE3ELS4_3ELS4_3ELNS0_20block_scan_algorithmE0ELj4294967295EEENS1_25partition_config_selectorILNS1_17partition_subalgoE4EjNS0_10empty_typeEbEEZZNS1_14partition_implILS8_4ELb0ES6_15HIP_vector_typeIjLj2EENS0_17counting_iteratorIjlEEPS9_SG_NS0_5tupleIJPjSI_NS0_16reverse_iteratorISI_EEEEENSH_IJSG_SG_SG_EEES9_SI_JZNS1_25segmented_radix_sort_implINS0_14default_configELb1EPKhPhPKlPlN2at6native12_GLOBAL__N_18offset_tEEE10hipError_tPvRmT1_PNSt15iterator_traitsIS12_E10value_typeET2_T3_PNS13_IS18_E10value_typeET4_jRbjT5_S1E_jjP12ihipStream_tbEUljE_ZNSN_ISO_Lb1ESQ_SR_ST_SU_SY_EESZ_S10_S11_S12_S16_S17_S18_S1B_S1C_jS1D_jS1E_S1E_jjS1G_bEUljE0_EEESZ_S10_S11_S18_S1C_S1E_T6_T7_T9_mT8_S1G_bDpT10_ENKUlT_T0_E_clISt17integral_constantIbLb0EES1T_IbLb1EEEEDaS1P_S1Q_EUlS1P_E_NS1_11comp_targetILNS1_3genE5ELNS1_11target_archE942ELNS1_3gpuE9ELNS1_3repE0EEENS1_30default_config_static_selectorELNS0_4arch9wavefront6targetE0EEEvS12_,"axG",@progbits,_ZN7rocprim17ROCPRIM_400000_NS6detail17trampoline_kernelINS0_13select_configILj256ELj13ELNS0_17block_load_methodE3ELS4_3ELS4_3ELNS0_20block_scan_algorithmE0ELj4294967295EEENS1_25partition_config_selectorILNS1_17partition_subalgoE4EjNS0_10empty_typeEbEEZZNS1_14partition_implILS8_4ELb0ES6_15HIP_vector_typeIjLj2EENS0_17counting_iteratorIjlEEPS9_SG_NS0_5tupleIJPjSI_NS0_16reverse_iteratorISI_EEEEENSH_IJSG_SG_SG_EEES9_SI_JZNS1_25segmented_radix_sort_implINS0_14default_configELb1EPKhPhPKlPlN2at6native12_GLOBAL__N_18offset_tEEE10hipError_tPvRmT1_PNSt15iterator_traitsIS12_E10value_typeET2_T3_PNS13_IS18_E10value_typeET4_jRbjT5_S1E_jjP12ihipStream_tbEUljE_ZNSN_ISO_Lb1ESQ_SR_ST_SU_SY_EESZ_S10_S11_S12_S16_S17_S18_S1B_S1C_jS1D_jS1E_S1E_jjS1G_bEUljE0_EEESZ_S10_S11_S18_S1C_S1E_T6_T7_T9_mT8_S1G_bDpT10_ENKUlT_T0_E_clISt17integral_constantIbLb0EES1T_IbLb1EEEEDaS1P_S1Q_EUlS1P_E_NS1_11comp_targetILNS1_3genE5ELNS1_11target_archE942ELNS1_3gpuE9ELNS1_3repE0EEENS1_30default_config_static_selectorELNS0_4arch9wavefront6targetE0EEEvS12_,comdat
	.globl	_ZN7rocprim17ROCPRIM_400000_NS6detail17trampoline_kernelINS0_13select_configILj256ELj13ELNS0_17block_load_methodE3ELS4_3ELS4_3ELNS0_20block_scan_algorithmE0ELj4294967295EEENS1_25partition_config_selectorILNS1_17partition_subalgoE4EjNS0_10empty_typeEbEEZZNS1_14partition_implILS8_4ELb0ES6_15HIP_vector_typeIjLj2EENS0_17counting_iteratorIjlEEPS9_SG_NS0_5tupleIJPjSI_NS0_16reverse_iteratorISI_EEEEENSH_IJSG_SG_SG_EEES9_SI_JZNS1_25segmented_radix_sort_implINS0_14default_configELb1EPKhPhPKlPlN2at6native12_GLOBAL__N_18offset_tEEE10hipError_tPvRmT1_PNSt15iterator_traitsIS12_E10value_typeET2_T3_PNS13_IS18_E10value_typeET4_jRbjT5_S1E_jjP12ihipStream_tbEUljE_ZNSN_ISO_Lb1ESQ_SR_ST_SU_SY_EESZ_S10_S11_S12_S16_S17_S18_S1B_S1C_jS1D_jS1E_S1E_jjS1G_bEUljE0_EEESZ_S10_S11_S18_S1C_S1E_T6_T7_T9_mT8_S1G_bDpT10_ENKUlT_T0_E_clISt17integral_constantIbLb0EES1T_IbLb1EEEEDaS1P_S1Q_EUlS1P_E_NS1_11comp_targetILNS1_3genE5ELNS1_11target_archE942ELNS1_3gpuE9ELNS1_3repE0EEENS1_30default_config_static_selectorELNS0_4arch9wavefront6targetE0EEEvS12_ ; -- Begin function _ZN7rocprim17ROCPRIM_400000_NS6detail17trampoline_kernelINS0_13select_configILj256ELj13ELNS0_17block_load_methodE3ELS4_3ELS4_3ELNS0_20block_scan_algorithmE0ELj4294967295EEENS1_25partition_config_selectorILNS1_17partition_subalgoE4EjNS0_10empty_typeEbEEZZNS1_14partition_implILS8_4ELb0ES6_15HIP_vector_typeIjLj2EENS0_17counting_iteratorIjlEEPS9_SG_NS0_5tupleIJPjSI_NS0_16reverse_iteratorISI_EEEEENSH_IJSG_SG_SG_EEES9_SI_JZNS1_25segmented_radix_sort_implINS0_14default_configELb1EPKhPhPKlPlN2at6native12_GLOBAL__N_18offset_tEEE10hipError_tPvRmT1_PNSt15iterator_traitsIS12_E10value_typeET2_T3_PNS13_IS18_E10value_typeET4_jRbjT5_S1E_jjP12ihipStream_tbEUljE_ZNSN_ISO_Lb1ESQ_SR_ST_SU_SY_EESZ_S10_S11_S12_S16_S17_S18_S1B_S1C_jS1D_jS1E_S1E_jjS1G_bEUljE0_EEESZ_S10_S11_S18_S1C_S1E_T6_T7_T9_mT8_S1G_bDpT10_ENKUlT_T0_E_clISt17integral_constantIbLb0EES1T_IbLb1EEEEDaS1P_S1Q_EUlS1P_E_NS1_11comp_targetILNS1_3genE5ELNS1_11target_archE942ELNS1_3gpuE9ELNS1_3repE0EEENS1_30default_config_static_selectorELNS0_4arch9wavefront6targetE0EEEvS12_
	.p2align	8
	.type	_ZN7rocprim17ROCPRIM_400000_NS6detail17trampoline_kernelINS0_13select_configILj256ELj13ELNS0_17block_load_methodE3ELS4_3ELS4_3ELNS0_20block_scan_algorithmE0ELj4294967295EEENS1_25partition_config_selectorILNS1_17partition_subalgoE4EjNS0_10empty_typeEbEEZZNS1_14partition_implILS8_4ELb0ES6_15HIP_vector_typeIjLj2EENS0_17counting_iteratorIjlEEPS9_SG_NS0_5tupleIJPjSI_NS0_16reverse_iteratorISI_EEEEENSH_IJSG_SG_SG_EEES9_SI_JZNS1_25segmented_radix_sort_implINS0_14default_configELb1EPKhPhPKlPlN2at6native12_GLOBAL__N_18offset_tEEE10hipError_tPvRmT1_PNSt15iterator_traitsIS12_E10value_typeET2_T3_PNS13_IS18_E10value_typeET4_jRbjT5_S1E_jjP12ihipStream_tbEUljE_ZNSN_ISO_Lb1ESQ_SR_ST_SU_SY_EESZ_S10_S11_S12_S16_S17_S18_S1B_S1C_jS1D_jS1E_S1E_jjS1G_bEUljE0_EEESZ_S10_S11_S18_S1C_S1E_T6_T7_T9_mT8_S1G_bDpT10_ENKUlT_T0_E_clISt17integral_constantIbLb0EES1T_IbLb1EEEEDaS1P_S1Q_EUlS1P_E_NS1_11comp_targetILNS1_3genE5ELNS1_11target_archE942ELNS1_3gpuE9ELNS1_3repE0EEENS1_30default_config_static_selectorELNS0_4arch9wavefront6targetE0EEEvS12_,@function
_ZN7rocprim17ROCPRIM_400000_NS6detail17trampoline_kernelINS0_13select_configILj256ELj13ELNS0_17block_load_methodE3ELS4_3ELS4_3ELNS0_20block_scan_algorithmE0ELj4294967295EEENS1_25partition_config_selectorILNS1_17partition_subalgoE4EjNS0_10empty_typeEbEEZZNS1_14partition_implILS8_4ELb0ES6_15HIP_vector_typeIjLj2EENS0_17counting_iteratorIjlEEPS9_SG_NS0_5tupleIJPjSI_NS0_16reverse_iteratorISI_EEEEENSH_IJSG_SG_SG_EEES9_SI_JZNS1_25segmented_radix_sort_implINS0_14default_configELb1EPKhPhPKlPlN2at6native12_GLOBAL__N_18offset_tEEE10hipError_tPvRmT1_PNSt15iterator_traitsIS12_E10value_typeET2_T3_PNS13_IS18_E10value_typeET4_jRbjT5_S1E_jjP12ihipStream_tbEUljE_ZNSN_ISO_Lb1ESQ_SR_ST_SU_SY_EESZ_S10_S11_S12_S16_S17_S18_S1B_S1C_jS1D_jS1E_S1E_jjS1G_bEUljE0_EEESZ_S10_S11_S18_S1C_S1E_T6_T7_T9_mT8_S1G_bDpT10_ENKUlT_T0_E_clISt17integral_constantIbLb0EES1T_IbLb1EEEEDaS1P_S1Q_EUlS1P_E_NS1_11comp_targetILNS1_3genE5ELNS1_11target_archE942ELNS1_3gpuE9ELNS1_3repE0EEENS1_30default_config_static_selectorELNS0_4arch9wavefront6targetE0EEEvS12_: ; @_ZN7rocprim17ROCPRIM_400000_NS6detail17trampoline_kernelINS0_13select_configILj256ELj13ELNS0_17block_load_methodE3ELS4_3ELS4_3ELNS0_20block_scan_algorithmE0ELj4294967295EEENS1_25partition_config_selectorILNS1_17partition_subalgoE4EjNS0_10empty_typeEbEEZZNS1_14partition_implILS8_4ELb0ES6_15HIP_vector_typeIjLj2EENS0_17counting_iteratorIjlEEPS9_SG_NS0_5tupleIJPjSI_NS0_16reverse_iteratorISI_EEEEENSH_IJSG_SG_SG_EEES9_SI_JZNS1_25segmented_radix_sort_implINS0_14default_configELb1EPKhPhPKlPlN2at6native12_GLOBAL__N_18offset_tEEE10hipError_tPvRmT1_PNSt15iterator_traitsIS12_E10value_typeET2_T3_PNS13_IS18_E10value_typeET4_jRbjT5_S1E_jjP12ihipStream_tbEUljE_ZNSN_ISO_Lb1ESQ_SR_ST_SU_SY_EESZ_S10_S11_S12_S16_S17_S18_S1B_S1C_jS1D_jS1E_S1E_jjS1G_bEUljE0_EEESZ_S10_S11_S18_S1C_S1E_T6_T7_T9_mT8_S1G_bDpT10_ENKUlT_T0_E_clISt17integral_constantIbLb0EES1T_IbLb1EEEEDaS1P_S1Q_EUlS1P_E_NS1_11comp_targetILNS1_3genE5ELNS1_11target_archE942ELNS1_3gpuE9ELNS1_3repE0EEENS1_30default_config_static_selectorELNS0_4arch9wavefront6targetE0EEEvS12_
; %bb.0:
	.section	.rodata,"a",@progbits
	.p2align	6, 0x0
	.amdhsa_kernel _ZN7rocprim17ROCPRIM_400000_NS6detail17trampoline_kernelINS0_13select_configILj256ELj13ELNS0_17block_load_methodE3ELS4_3ELS4_3ELNS0_20block_scan_algorithmE0ELj4294967295EEENS1_25partition_config_selectorILNS1_17partition_subalgoE4EjNS0_10empty_typeEbEEZZNS1_14partition_implILS8_4ELb0ES6_15HIP_vector_typeIjLj2EENS0_17counting_iteratorIjlEEPS9_SG_NS0_5tupleIJPjSI_NS0_16reverse_iteratorISI_EEEEENSH_IJSG_SG_SG_EEES9_SI_JZNS1_25segmented_radix_sort_implINS0_14default_configELb1EPKhPhPKlPlN2at6native12_GLOBAL__N_18offset_tEEE10hipError_tPvRmT1_PNSt15iterator_traitsIS12_E10value_typeET2_T3_PNS13_IS18_E10value_typeET4_jRbjT5_S1E_jjP12ihipStream_tbEUljE_ZNSN_ISO_Lb1ESQ_SR_ST_SU_SY_EESZ_S10_S11_S12_S16_S17_S18_S1B_S1C_jS1D_jS1E_S1E_jjS1G_bEUljE0_EEESZ_S10_S11_S18_S1C_S1E_T6_T7_T9_mT8_S1G_bDpT10_ENKUlT_T0_E_clISt17integral_constantIbLb0EES1T_IbLb1EEEEDaS1P_S1Q_EUlS1P_E_NS1_11comp_targetILNS1_3genE5ELNS1_11target_archE942ELNS1_3gpuE9ELNS1_3repE0EEENS1_30default_config_static_selectorELNS0_4arch9wavefront6targetE0EEEvS12_
		.amdhsa_group_segment_fixed_size 0
		.amdhsa_private_segment_fixed_size 0
		.amdhsa_kernarg_size 184
		.amdhsa_user_sgpr_count 2
		.amdhsa_user_sgpr_dispatch_ptr 0
		.amdhsa_user_sgpr_queue_ptr 0
		.amdhsa_user_sgpr_kernarg_segment_ptr 1
		.amdhsa_user_sgpr_dispatch_id 0
		.amdhsa_user_sgpr_kernarg_preload_length 0
		.amdhsa_user_sgpr_kernarg_preload_offset 0
		.amdhsa_user_sgpr_private_segment_size 0
		.amdhsa_wavefront_size32 1
		.amdhsa_uses_dynamic_stack 0
		.amdhsa_enable_private_segment 0
		.amdhsa_system_sgpr_workgroup_id_x 1
		.amdhsa_system_sgpr_workgroup_id_y 0
		.amdhsa_system_sgpr_workgroup_id_z 0
		.amdhsa_system_sgpr_workgroup_info 0
		.amdhsa_system_vgpr_workitem_id 0
		.amdhsa_next_free_vgpr 1
		.amdhsa_next_free_sgpr 1
		.amdhsa_named_barrier_count 0
		.amdhsa_reserve_vcc 0
		.amdhsa_float_round_mode_32 0
		.amdhsa_float_round_mode_16_64 0
		.amdhsa_float_denorm_mode_32 3
		.amdhsa_float_denorm_mode_16_64 3
		.amdhsa_fp16_overflow 0
		.amdhsa_memory_ordered 1
		.amdhsa_forward_progress 1
		.amdhsa_inst_pref_size 0
		.amdhsa_round_robin_scheduling 0
		.amdhsa_exception_fp_ieee_invalid_op 0
		.amdhsa_exception_fp_denorm_src 0
		.amdhsa_exception_fp_ieee_div_zero 0
		.amdhsa_exception_fp_ieee_overflow 0
		.amdhsa_exception_fp_ieee_underflow 0
		.amdhsa_exception_fp_ieee_inexact 0
		.amdhsa_exception_int_div_zero 0
	.end_amdhsa_kernel
	.section	.text._ZN7rocprim17ROCPRIM_400000_NS6detail17trampoline_kernelINS0_13select_configILj256ELj13ELNS0_17block_load_methodE3ELS4_3ELS4_3ELNS0_20block_scan_algorithmE0ELj4294967295EEENS1_25partition_config_selectorILNS1_17partition_subalgoE4EjNS0_10empty_typeEbEEZZNS1_14partition_implILS8_4ELb0ES6_15HIP_vector_typeIjLj2EENS0_17counting_iteratorIjlEEPS9_SG_NS0_5tupleIJPjSI_NS0_16reverse_iteratorISI_EEEEENSH_IJSG_SG_SG_EEES9_SI_JZNS1_25segmented_radix_sort_implINS0_14default_configELb1EPKhPhPKlPlN2at6native12_GLOBAL__N_18offset_tEEE10hipError_tPvRmT1_PNSt15iterator_traitsIS12_E10value_typeET2_T3_PNS13_IS18_E10value_typeET4_jRbjT5_S1E_jjP12ihipStream_tbEUljE_ZNSN_ISO_Lb1ESQ_SR_ST_SU_SY_EESZ_S10_S11_S12_S16_S17_S18_S1B_S1C_jS1D_jS1E_S1E_jjS1G_bEUljE0_EEESZ_S10_S11_S18_S1C_S1E_T6_T7_T9_mT8_S1G_bDpT10_ENKUlT_T0_E_clISt17integral_constantIbLb0EES1T_IbLb1EEEEDaS1P_S1Q_EUlS1P_E_NS1_11comp_targetILNS1_3genE5ELNS1_11target_archE942ELNS1_3gpuE9ELNS1_3repE0EEENS1_30default_config_static_selectorELNS0_4arch9wavefront6targetE0EEEvS12_,"axG",@progbits,_ZN7rocprim17ROCPRIM_400000_NS6detail17trampoline_kernelINS0_13select_configILj256ELj13ELNS0_17block_load_methodE3ELS4_3ELS4_3ELNS0_20block_scan_algorithmE0ELj4294967295EEENS1_25partition_config_selectorILNS1_17partition_subalgoE4EjNS0_10empty_typeEbEEZZNS1_14partition_implILS8_4ELb0ES6_15HIP_vector_typeIjLj2EENS0_17counting_iteratorIjlEEPS9_SG_NS0_5tupleIJPjSI_NS0_16reverse_iteratorISI_EEEEENSH_IJSG_SG_SG_EEES9_SI_JZNS1_25segmented_radix_sort_implINS0_14default_configELb1EPKhPhPKlPlN2at6native12_GLOBAL__N_18offset_tEEE10hipError_tPvRmT1_PNSt15iterator_traitsIS12_E10value_typeET2_T3_PNS13_IS18_E10value_typeET4_jRbjT5_S1E_jjP12ihipStream_tbEUljE_ZNSN_ISO_Lb1ESQ_SR_ST_SU_SY_EESZ_S10_S11_S12_S16_S17_S18_S1B_S1C_jS1D_jS1E_S1E_jjS1G_bEUljE0_EEESZ_S10_S11_S18_S1C_S1E_T6_T7_T9_mT8_S1G_bDpT10_ENKUlT_T0_E_clISt17integral_constantIbLb0EES1T_IbLb1EEEEDaS1P_S1Q_EUlS1P_E_NS1_11comp_targetILNS1_3genE5ELNS1_11target_archE942ELNS1_3gpuE9ELNS1_3repE0EEENS1_30default_config_static_selectorELNS0_4arch9wavefront6targetE0EEEvS12_,comdat
.Lfunc_end40:
	.size	_ZN7rocprim17ROCPRIM_400000_NS6detail17trampoline_kernelINS0_13select_configILj256ELj13ELNS0_17block_load_methodE3ELS4_3ELS4_3ELNS0_20block_scan_algorithmE0ELj4294967295EEENS1_25partition_config_selectorILNS1_17partition_subalgoE4EjNS0_10empty_typeEbEEZZNS1_14partition_implILS8_4ELb0ES6_15HIP_vector_typeIjLj2EENS0_17counting_iteratorIjlEEPS9_SG_NS0_5tupleIJPjSI_NS0_16reverse_iteratorISI_EEEEENSH_IJSG_SG_SG_EEES9_SI_JZNS1_25segmented_radix_sort_implINS0_14default_configELb1EPKhPhPKlPlN2at6native12_GLOBAL__N_18offset_tEEE10hipError_tPvRmT1_PNSt15iterator_traitsIS12_E10value_typeET2_T3_PNS13_IS18_E10value_typeET4_jRbjT5_S1E_jjP12ihipStream_tbEUljE_ZNSN_ISO_Lb1ESQ_SR_ST_SU_SY_EESZ_S10_S11_S12_S16_S17_S18_S1B_S1C_jS1D_jS1E_S1E_jjS1G_bEUljE0_EEESZ_S10_S11_S18_S1C_S1E_T6_T7_T9_mT8_S1G_bDpT10_ENKUlT_T0_E_clISt17integral_constantIbLb0EES1T_IbLb1EEEEDaS1P_S1Q_EUlS1P_E_NS1_11comp_targetILNS1_3genE5ELNS1_11target_archE942ELNS1_3gpuE9ELNS1_3repE0EEENS1_30default_config_static_selectorELNS0_4arch9wavefront6targetE0EEEvS12_, .Lfunc_end40-_ZN7rocprim17ROCPRIM_400000_NS6detail17trampoline_kernelINS0_13select_configILj256ELj13ELNS0_17block_load_methodE3ELS4_3ELS4_3ELNS0_20block_scan_algorithmE0ELj4294967295EEENS1_25partition_config_selectorILNS1_17partition_subalgoE4EjNS0_10empty_typeEbEEZZNS1_14partition_implILS8_4ELb0ES6_15HIP_vector_typeIjLj2EENS0_17counting_iteratorIjlEEPS9_SG_NS0_5tupleIJPjSI_NS0_16reverse_iteratorISI_EEEEENSH_IJSG_SG_SG_EEES9_SI_JZNS1_25segmented_radix_sort_implINS0_14default_configELb1EPKhPhPKlPlN2at6native12_GLOBAL__N_18offset_tEEE10hipError_tPvRmT1_PNSt15iterator_traitsIS12_E10value_typeET2_T3_PNS13_IS18_E10value_typeET4_jRbjT5_S1E_jjP12ihipStream_tbEUljE_ZNSN_ISO_Lb1ESQ_SR_ST_SU_SY_EESZ_S10_S11_S12_S16_S17_S18_S1B_S1C_jS1D_jS1E_S1E_jjS1G_bEUljE0_EEESZ_S10_S11_S18_S1C_S1E_T6_T7_T9_mT8_S1G_bDpT10_ENKUlT_T0_E_clISt17integral_constantIbLb0EES1T_IbLb1EEEEDaS1P_S1Q_EUlS1P_E_NS1_11comp_targetILNS1_3genE5ELNS1_11target_archE942ELNS1_3gpuE9ELNS1_3repE0EEENS1_30default_config_static_selectorELNS0_4arch9wavefront6targetE0EEEvS12_
                                        ; -- End function
	.set _ZN7rocprim17ROCPRIM_400000_NS6detail17trampoline_kernelINS0_13select_configILj256ELj13ELNS0_17block_load_methodE3ELS4_3ELS4_3ELNS0_20block_scan_algorithmE0ELj4294967295EEENS1_25partition_config_selectorILNS1_17partition_subalgoE4EjNS0_10empty_typeEbEEZZNS1_14partition_implILS8_4ELb0ES6_15HIP_vector_typeIjLj2EENS0_17counting_iteratorIjlEEPS9_SG_NS0_5tupleIJPjSI_NS0_16reverse_iteratorISI_EEEEENSH_IJSG_SG_SG_EEES9_SI_JZNS1_25segmented_radix_sort_implINS0_14default_configELb1EPKhPhPKlPlN2at6native12_GLOBAL__N_18offset_tEEE10hipError_tPvRmT1_PNSt15iterator_traitsIS12_E10value_typeET2_T3_PNS13_IS18_E10value_typeET4_jRbjT5_S1E_jjP12ihipStream_tbEUljE_ZNSN_ISO_Lb1ESQ_SR_ST_SU_SY_EESZ_S10_S11_S12_S16_S17_S18_S1B_S1C_jS1D_jS1E_S1E_jjS1G_bEUljE0_EEESZ_S10_S11_S18_S1C_S1E_T6_T7_T9_mT8_S1G_bDpT10_ENKUlT_T0_E_clISt17integral_constantIbLb0EES1T_IbLb1EEEEDaS1P_S1Q_EUlS1P_E_NS1_11comp_targetILNS1_3genE5ELNS1_11target_archE942ELNS1_3gpuE9ELNS1_3repE0EEENS1_30default_config_static_selectorELNS0_4arch9wavefront6targetE0EEEvS12_.num_vgpr, 0
	.set _ZN7rocprim17ROCPRIM_400000_NS6detail17trampoline_kernelINS0_13select_configILj256ELj13ELNS0_17block_load_methodE3ELS4_3ELS4_3ELNS0_20block_scan_algorithmE0ELj4294967295EEENS1_25partition_config_selectorILNS1_17partition_subalgoE4EjNS0_10empty_typeEbEEZZNS1_14partition_implILS8_4ELb0ES6_15HIP_vector_typeIjLj2EENS0_17counting_iteratorIjlEEPS9_SG_NS0_5tupleIJPjSI_NS0_16reverse_iteratorISI_EEEEENSH_IJSG_SG_SG_EEES9_SI_JZNS1_25segmented_radix_sort_implINS0_14default_configELb1EPKhPhPKlPlN2at6native12_GLOBAL__N_18offset_tEEE10hipError_tPvRmT1_PNSt15iterator_traitsIS12_E10value_typeET2_T3_PNS13_IS18_E10value_typeET4_jRbjT5_S1E_jjP12ihipStream_tbEUljE_ZNSN_ISO_Lb1ESQ_SR_ST_SU_SY_EESZ_S10_S11_S12_S16_S17_S18_S1B_S1C_jS1D_jS1E_S1E_jjS1G_bEUljE0_EEESZ_S10_S11_S18_S1C_S1E_T6_T7_T9_mT8_S1G_bDpT10_ENKUlT_T0_E_clISt17integral_constantIbLb0EES1T_IbLb1EEEEDaS1P_S1Q_EUlS1P_E_NS1_11comp_targetILNS1_3genE5ELNS1_11target_archE942ELNS1_3gpuE9ELNS1_3repE0EEENS1_30default_config_static_selectorELNS0_4arch9wavefront6targetE0EEEvS12_.num_agpr, 0
	.set _ZN7rocprim17ROCPRIM_400000_NS6detail17trampoline_kernelINS0_13select_configILj256ELj13ELNS0_17block_load_methodE3ELS4_3ELS4_3ELNS0_20block_scan_algorithmE0ELj4294967295EEENS1_25partition_config_selectorILNS1_17partition_subalgoE4EjNS0_10empty_typeEbEEZZNS1_14partition_implILS8_4ELb0ES6_15HIP_vector_typeIjLj2EENS0_17counting_iteratorIjlEEPS9_SG_NS0_5tupleIJPjSI_NS0_16reverse_iteratorISI_EEEEENSH_IJSG_SG_SG_EEES9_SI_JZNS1_25segmented_radix_sort_implINS0_14default_configELb1EPKhPhPKlPlN2at6native12_GLOBAL__N_18offset_tEEE10hipError_tPvRmT1_PNSt15iterator_traitsIS12_E10value_typeET2_T3_PNS13_IS18_E10value_typeET4_jRbjT5_S1E_jjP12ihipStream_tbEUljE_ZNSN_ISO_Lb1ESQ_SR_ST_SU_SY_EESZ_S10_S11_S12_S16_S17_S18_S1B_S1C_jS1D_jS1E_S1E_jjS1G_bEUljE0_EEESZ_S10_S11_S18_S1C_S1E_T6_T7_T9_mT8_S1G_bDpT10_ENKUlT_T0_E_clISt17integral_constantIbLb0EES1T_IbLb1EEEEDaS1P_S1Q_EUlS1P_E_NS1_11comp_targetILNS1_3genE5ELNS1_11target_archE942ELNS1_3gpuE9ELNS1_3repE0EEENS1_30default_config_static_selectorELNS0_4arch9wavefront6targetE0EEEvS12_.numbered_sgpr, 0
	.set _ZN7rocprim17ROCPRIM_400000_NS6detail17trampoline_kernelINS0_13select_configILj256ELj13ELNS0_17block_load_methodE3ELS4_3ELS4_3ELNS0_20block_scan_algorithmE0ELj4294967295EEENS1_25partition_config_selectorILNS1_17partition_subalgoE4EjNS0_10empty_typeEbEEZZNS1_14partition_implILS8_4ELb0ES6_15HIP_vector_typeIjLj2EENS0_17counting_iteratorIjlEEPS9_SG_NS0_5tupleIJPjSI_NS0_16reverse_iteratorISI_EEEEENSH_IJSG_SG_SG_EEES9_SI_JZNS1_25segmented_radix_sort_implINS0_14default_configELb1EPKhPhPKlPlN2at6native12_GLOBAL__N_18offset_tEEE10hipError_tPvRmT1_PNSt15iterator_traitsIS12_E10value_typeET2_T3_PNS13_IS18_E10value_typeET4_jRbjT5_S1E_jjP12ihipStream_tbEUljE_ZNSN_ISO_Lb1ESQ_SR_ST_SU_SY_EESZ_S10_S11_S12_S16_S17_S18_S1B_S1C_jS1D_jS1E_S1E_jjS1G_bEUljE0_EEESZ_S10_S11_S18_S1C_S1E_T6_T7_T9_mT8_S1G_bDpT10_ENKUlT_T0_E_clISt17integral_constantIbLb0EES1T_IbLb1EEEEDaS1P_S1Q_EUlS1P_E_NS1_11comp_targetILNS1_3genE5ELNS1_11target_archE942ELNS1_3gpuE9ELNS1_3repE0EEENS1_30default_config_static_selectorELNS0_4arch9wavefront6targetE0EEEvS12_.num_named_barrier, 0
	.set _ZN7rocprim17ROCPRIM_400000_NS6detail17trampoline_kernelINS0_13select_configILj256ELj13ELNS0_17block_load_methodE3ELS4_3ELS4_3ELNS0_20block_scan_algorithmE0ELj4294967295EEENS1_25partition_config_selectorILNS1_17partition_subalgoE4EjNS0_10empty_typeEbEEZZNS1_14partition_implILS8_4ELb0ES6_15HIP_vector_typeIjLj2EENS0_17counting_iteratorIjlEEPS9_SG_NS0_5tupleIJPjSI_NS0_16reverse_iteratorISI_EEEEENSH_IJSG_SG_SG_EEES9_SI_JZNS1_25segmented_radix_sort_implINS0_14default_configELb1EPKhPhPKlPlN2at6native12_GLOBAL__N_18offset_tEEE10hipError_tPvRmT1_PNSt15iterator_traitsIS12_E10value_typeET2_T3_PNS13_IS18_E10value_typeET4_jRbjT5_S1E_jjP12ihipStream_tbEUljE_ZNSN_ISO_Lb1ESQ_SR_ST_SU_SY_EESZ_S10_S11_S12_S16_S17_S18_S1B_S1C_jS1D_jS1E_S1E_jjS1G_bEUljE0_EEESZ_S10_S11_S18_S1C_S1E_T6_T7_T9_mT8_S1G_bDpT10_ENKUlT_T0_E_clISt17integral_constantIbLb0EES1T_IbLb1EEEEDaS1P_S1Q_EUlS1P_E_NS1_11comp_targetILNS1_3genE5ELNS1_11target_archE942ELNS1_3gpuE9ELNS1_3repE0EEENS1_30default_config_static_selectorELNS0_4arch9wavefront6targetE0EEEvS12_.private_seg_size, 0
	.set _ZN7rocprim17ROCPRIM_400000_NS6detail17trampoline_kernelINS0_13select_configILj256ELj13ELNS0_17block_load_methodE3ELS4_3ELS4_3ELNS0_20block_scan_algorithmE0ELj4294967295EEENS1_25partition_config_selectorILNS1_17partition_subalgoE4EjNS0_10empty_typeEbEEZZNS1_14partition_implILS8_4ELb0ES6_15HIP_vector_typeIjLj2EENS0_17counting_iteratorIjlEEPS9_SG_NS0_5tupleIJPjSI_NS0_16reverse_iteratorISI_EEEEENSH_IJSG_SG_SG_EEES9_SI_JZNS1_25segmented_radix_sort_implINS0_14default_configELb1EPKhPhPKlPlN2at6native12_GLOBAL__N_18offset_tEEE10hipError_tPvRmT1_PNSt15iterator_traitsIS12_E10value_typeET2_T3_PNS13_IS18_E10value_typeET4_jRbjT5_S1E_jjP12ihipStream_tbEUljE_ZNSN_ISO_Lb1ESQ_SR_ST_SU_SY_EESZ_S10_S11_S12_S16_S17_S18_S1B_S1C_jS1D_jS1E_S1E_jjS1G_bEUljE0_EEESZ_S10_S11_S18_S1C_S1E_T6_T7_T9_mT8_S1G_bDpT10_ENKUlT_T0_E_clISt17integral_constantIbLb0EES1T_IbLb1EEEEDaS1P_S1Q_EUlS1P_E_NS1_11comp_targetILNS1_3genE5ELNS1_11target_archE942ELNS1_3gpuE9ELNS1_3repE0EEENS1_30default_config_static_selectorELNS0_4arch9wavefront6targetE0EEEvS12_.uses_vcc, 0
	.set _ZN7rocprim17ROCPRIM_400000_NS6detail17trampoline_kernelINS0_13select_configILj256ELj13ELNS0_17block_load_methodE3ELS4_3ELS4_3ELNS0_20block_scan_algorithmE0ELj4294967295EEENS1_25partition_config_selectorILNS1_17partition_subalgoE4EjNS0_10empty_typeEbEEZZNS1_14partition_implILS8_4ELb0ES6_15HIP_vector_typeIjLj2EENS0_17counting_iteratorIjlEEPS9_SG_NS0_5tupleIJPjSI_NS0_16reverse_iteratorISI_EEEEENSH_IJSG_SG_SG_EEES9_SI_JZNS1_25segmented_radix_sort_implINS0_14default_configELb1EPKhPhPKlPlN2at6native12_GLOBAL__N_18offset_tEEE10hipError_tPvRmT1_PNSt15iterator_traitsIS12_E10value_typeET2_T3_PNS13_IS18_E10value_typeET4_jRbjT5_S1E_jjP12ihipStream_tbEUljE_ZNSN_ISO_Lb1ESQ_SR_ST_SU_SY_EESZ_S10_S11_S12_S16_S17_S18_S1B_S1C_jS1D_jS1E_S1E_jjS1G_bEUljE0_EEESZ_S10_S11_S18_S1C_S1E_T6_T7_T9_mT8_S1G_bDpT10_ENKUlT_T0_E_clISt17integral_constantIbLb0EES1T_IbLb1EEEEDaS1P_S1Q_EUlS1P_E_NS1_11comp_targetILNS1_3genE5ELNS1_11target_archE942ELNS1_3gpuE9ELNS1_3repE0EEENS1_30default_config_static_selectorELNS0_4arch9wavefront6targetE0EEEvS12_.uses_flat_scratch, 0
	.set _ZN7rocprim17ROCPRIM_400000_NS6detail17trampoline_kernelINS0_13select_configILj256ELj13ELNS0_17block_load_methodE3ELS4_3ELS4_3ELNS0_20block_scan_algorithmE0ELj4294967295EEENS1_25partition_config_selectorILNS1_17partition_subalgoE4EjNS0_10empty_typeEbEEZZNS1_14partition_implILS8_4ELb0ES6_15HIP_vector_typeIjLj2EENS0_17counting_iteratorIjlEEPS9_SG_NS0_5tupleIJPjSI_NS0_16reverse_iteratorISI_EEEEENSH_IJSG_SG_SG_EEES9_SI_JZNS1_25segmented_radix_sort_implINS0_14default_configELb1EPKhPhPKlPlN2at6native12_GLOBAL__N_18offset_tEEE10hipError_tPvRmT1_PNSt15iterator_traitsIS12_E10value_typeET2_T3_PNS13_IS18_E10value_typeET4_jRbjT5_S1E_jjP12ihipStream_tbEUljE_ZNSN_ISO_Lb1ESQ_SR_ST_SU_SY_EESZ_S10_S11_S12_S16_S17_S18_S1B_S1C_jS1D_jS1E_S1E_jjS1G_bEUljE0_EEESZ_S10_S11_S18_S1C_S1E_T6_T7_T9_mT8_S1G_bDpT10_ENKUlT_T0_E_clISt17integral_constantIbLb0EES1T_IbLb1EEEEDaS1P_S1Q_EUlS1P_E_NS1_11comp_targetILNS1_3genE5ELNS1_11target_archE942ELNS1_3gpuE9ELNS1_3repE0EEENS1_30default_config_static_selectorELNS0_4arch9wavefront6targetE0EEEvS12_.has_dyn_sized_stack, 0
	.set _ZN7rocprim17ROCPRIM_400000_NS6detail17trampoline_kernelINS0_13select_configILj256ELj13ELNS0_17block_load_methodE3ELS4_3ELS4_3ELNS0_20block_scan_algorithmE0ELj4294967295EEENS1_25partition_config_selectorILNS1_17partition_subalgoE4EjNS0_10empty_typeEbEEZZNS1_14partition_implILS8_4ELb0ES6_15HIP_vector_typeIjLj2EENS0_17counting_iteratorIjlEEPS9_SG_NS0_5tupleIJPjSI_NS0_16reverse_iteratorISI_EEEEENSH_IJSG_SG_SG_EEES9_SI_JZNS1_25segmented_radix_sort_implINS0_14default_configELb1EPKhPhPKlPlN2at6native12_GLOBAL__N_18offset_tEEE10hipError_tPvRmT1_PNSt15iterator_traitsIS12_E10value_typeET2_T3_PNS13_IS18_E10value_typeET4_jRbjT5_S1E_jjP12ihipStream_tbEUljE_ZNSN_ISO_Lb1ESQ_SR_ST_SU_SY_EESZ_S10_S11_S12_S16_S17_S18_S1B_S1C_jS1D_jS1E_S1E_jjS1G_bEUljE0_EEESZ_S10_S11_S18_S1C_S1E_T6_T7_T9_mT8_S1G_bDpT10_ENKUlT_T0_E_clISt17integral_constantIbLb0EES1T_IbLb1EEEEDaS1P_S1Q_EUlS1P_E_NS1_11comp_targetILNS1_3genE5ELNS1_11target_archE942ELNS1_3gpuE9ELNS1_3repE0EEENS1_30default_config_static_selectorELNS0_4arch9wavefront6targetE0EEEvS12_.has_recursion, 0
	.set _ZN7rocprim17ROCPRIM_400000_NS6detail17trampoline_kernelINS0_13select_configILj256ELj13ELNS0_17block_load_methodE3ELS4_3ELS4_3ELNS0_20block_scan_algorithmE0ELj4294967295EEENS1_25partition_config_selectorILNS1_17partition_subalgoE4EjNS0_10empty_typeEbEEZZNS1_14partition_implILS8_4ELb0ES6_15HIP_vector_typeIjLj2EENS0_17counting_iteratorIjlEEPS9_SG_NS0_5tupleIJPjSI_NS0_16reverse_iteratorISI_EEEEENSH_IJSG_SG_SG_EEES9_SI_JZNS1_25segmented_radix_sort_implINS0_14default_configELb1EPKhPhPKlPlN2at6native12_GLOBAL__N_18offset_tEEE10hipError_tPvRmT1_PNSt15iterator_traitsIS12_E10value_typeET2_T3_PNS13_IS18_E10value_typeET4_jRbjT5_S1E_jjP12ihipStream_tbEUljE_ZNSN_ISO_Lb1ESQ_SR_ST_SU_SY_EESZ_S10_S11_S12_S16_S17_S18_S1B_S1C_jS1D_jS1E_S1E_jjS1G_bEUljE0_EEESZ_S10_S11_S18_S1C_S1E_T6_T7_T9_mT8_S1G_bDpT10_ENKUlT_T0_E_clISt17integral_constantIbLb0EES1T_IbLb1EEEEDaS1P_S1Q_EUlS1P_E_NS1_11comp_targetILNS1_3genE5ELNS1_11target_archE942ELNS1_3gpuE9ELNS1_3repE0EEENS1_30default_config_static_selectorELNS0_4arch9wavefront6targetE0EEEvS12_.has_indirect_call, 0
	.section	.AMDGPU.csdata,"",@progbits
; Kernel info:
; codeLenInByte = 0
; TotalNumSgprs: 0
; NumVgprs: 0
; ScratchSize: 0
; MemoryBound: 0
; FloatMode: 240
; IeeeMode: 1
; LDSByteSize: 0 bytes/workgroup (compile time only)
; SGPRBlocks: 0
; VGPRBlocks: 0
; NumSGPRsForWavesPerEU: 1
; NumVGPRsForWavesPerEU: 1
; NamedBarCnt: 0
; Occupancy: 16
; WaveLimiterHint : 0
; COMPUTE_PGM_RSRC2:SCRATCH_EN: 0
; COMPUTE_PGM_RSRC2:USER_SGPR: 2
; COMPUTE_PGM_RSRC2:TRAP_HANDLER: 0
; COMPUTE_PGM_RSRC2:TGID_X_EN: 1
; COMPUTE_PGM_RSRC2:TGID_Y_EN: 0
; COMPUTE_PGM_RSRC2:TGID_Z_EN: 0
; COMPUTE_PGM_RSRC2:TIDIG_COMP_CNT: 0
	.section	.text._ZN7rocprim17ROCPRIM_400000_NS6detail17trampoline_kernelINS0_13select_configILj256ELj13ELNS0_17block_load_methodE3ELS4_3ELS4_3ELNS0_20block_scan_algorithmE0ELj4294967295EEENS1_25partition_config_selectorILNS1_17partition_subalgoE4EjNS0_10empty_typeEbEEZZNS1_14partition_implILS8_4ELb0ES6_15HIP_vector_typeIjLj2EENS0_17counting_iteratorIjlEEPS9_SG_NS0_5tupleIJPjSI_NS0_16reverse_iteratorISI_EEEEENSH_IJSG_SG_SG_EEES9_SI_JZNS1_25segmented_radix_sort_implINS0_14default_configELb1EPKhPhPKlPlN2at6native12_GLOBAL__N_18offset_tEEE10hipError_tPvRmT1_PNSt15iterator_traitsIS12_E10value_typeET2_T3_PNS13_IS18_E10value_typeET4_jRbjT5_S1E_jjP12ihipStream_tbEUljE_ZNSN_ISO_Lb1ESQ_SR_ST_SU_SY_EESZ_S10_S11_S12_S16_S17_S18_S1B_S1C_jS1D_jS1E_S1E_jjS1G_bEUljE0_EEESZ_S10_S11_S18_S1C_S1E_T6_T7_T9_mT8_S1G_bDpT10_ENKUlT_T0_E_clISt17integral_constantIbLb0EES1T_IbLb1EEEEDaS1P_S1Q_EUlS1P_E_NS1_11comp_targetILNS1_3genE4ELNS1_11target_archE910ELNS1_3gpuE8ELNS1_3repE0EEENS1_30default_config_static_selectorELNS0_4arch9wavefront6targetE0EEEvS12_,"axG",@progbits,_ZN7rocprim17ROCPRIM_400000_NS6detail17trampoline_kernelINS0_13select_configILj256ELj13ELNS0_17block_load_methodE3ELS4_3ELS4_3ELNS0_20block_scan_algorithmE0ELj4294967295EEENS1_25partition_config_selectorILNS1_17partition_subalgoE4EjNS0_10empty_typeEbEEZZNS1_14partition_implILS8_4ELb0ES6_15HIP_vector_typeIjLj2EENS0_17counting_iteratorIjlEEPS9_SG_NS0_5tupleIJPjSI_NS0_16reverse_iteratorISI_EEEEENSH_IJSG_SG_SG_EEES9_SI_JZNS1_25segmented_radix_sort_implINS0_14default_configELb1EPKhPhPKlPlN2at6native12_GLOBAL__N_18offset_tEEE10hipError_tPvRmT1_PNSt15iterator_traitsIS12_E10value_typeET2_T3_PNS13_IS18_E10value_typeET4_jRbjT5_S1E_jjP12ihipStream_tbEUljE_ZNSN_ISO_Lb1ESQ_SR_ST_SU_SY_EESZ_S10_S11_S12_S16_S17_S18_S1B_S1C_jS1D_jS1E_S1E_jjS1G_bEUljE0_EEESZ_S10_S11_S18_S1C_S1E_T6_T7_T9_mT8_S1G_bDpT10_ENKUlT_T0_E_clISt17integral_constantIbLb0EES1T_IbLb1EEEEDaS1P_S1Q_EUlS1P_E_NS1_11comp_targetILNS1_3genE4ELNS1_11target_archE910ELNS1_3gpuE8ELNS1_3repE0EEENS1_30default_config_static_selectorELNS0_4arch9wavefront6targetE0EEEvS12_,comdat
	.globl	_ZN7rocprim17ROCPRIM_400000_NS6detail17trampoline_kernelINS0_13select_configILj256ELj13ELNS0_17block_load_methodE3ELS4_3ELS4_3ELNS0_20block_scan_algorithmE0ELj4294967295EEENS1_25partition_config_selectorILNS1_17partition_subalgoE4EjNS0_10empty_typeEbEEZZNS1_14partition_implILS8_4ELb0ES6_15HIP_vector_typeIjLj2EENS0_17counting_iteratorIjlEEPS9_SG_NS0_5tupleIJPjSI_NS0_16reverse_iteratorISI_EEEEENSH_IJSG_SG_SG_EEES9_SI_JZNS1_25segmented_radix_sort_implINS0_14default_configELb1EPKhPhPKlPlN2at6native12_GLOBAL__N_18offset_tEEE10hipError_tPvRmT1_PNSt15iterator_traitsIS12_E10value_typeET2_T3_PNS13_IS18_E10value_typeET4_jRbjT5_S1E_jjP12ihipStream_tbEUljE_ZNSN_ISO_Lb1ESQ_SR_ST_SU_SY_EESZ_S10_S11_S12_S16_S17_S18_S1B_S1C_jS1D_jS1E_S1E_jjS1G_bEUljE0_EEESZ_S10_S11_S18_S1C_S1E_T6_T7_T9_mT8_S1G_bDpT10_ENKUlT_T0_E_clISt17integral_constantIbLb0EES1T_IbLb1EEEEDaS1P_S1Q_EUlS1P_E_NS1_11comp_targetILNS1_3genE4ELNS1_11target_archE910ELNS1_3gpuE8ELNS1_3repE0EEENS1_30default_config_static_selectorELNS0_4arch9wavefront6targetE0EEEvS12_ ; -- Begin function _ZN7rocprim17ROCPRIM_400000_NS6detail17trampoline_kernelINS0_13select_configILj256ELj13ELNS0_17block_load_methodE3ELS4_3ELS4_3ELNS0_20block_scan_algorithmE0ELj4294967295EEENS1_25partition_config_selectorILNS1_17partition_subalgoE4EjNS0_10empty_typeEbEEZZNS1_14partition_implILS8_4ELb0ES6_15HIP_vector_typeIjLj2EENS0_17counting_iteratorIjlEEPS9_SG_NS0_5tupleIJPjSI_NS0_16reverse_iteratorISI_EEEEENSH_IJSG_SG_SG_EEES9_SI_JZNS1_25segmented_radix_sort_implINS0_14default_configELb1EPKhPhPKlPlN2at6native12_GLOBAL__N_18offset_tEEE10hipError_tPvRmT1_PNSt15iterator_traitsIS12_E10value_typeET2_T3_PNS13_IS18_E10value_typeET4_jRbjT5_S1E_jjP12ihipStream_tbEUljE_ZNSN_ISO_Lb1ESQ_SR_ST_SU_SY_EESZ_S10_S11_S12_S16_S17_S18_S1B_S1C_jS1D_jS1E_S1E_jjS1G_bEUljE0_EEESZ_S10_S11_S18_S1C_S1E_T6_T7_T9_mT8_S1G_bDpT10_ENKUlT_T0_E_clISt17integral_constantIbLb0EES1T_IbLb1EEEEDaS1P_S1Q_EUlS1P_E_NS1_11comp_targetILNS1_3genE4ELNS1_11target_archE910ELNS1_3gpuE8ELNS1_3repE0EEENS1_30default_config_static_selectorELNS0_4arch9wavefront6targetE0EEEvS12_
	.p2align	8
	.type	_ZN7rocprim17ROCPRIM_400000_NS6detail17trampoline_kernelINS0_13select_configILj256ELj13ELNS0_17block_load_methodE3ELS4_3ELS4_3ELNS0_20block_scan_algorithmE0ELj4294967295EEENS1_25partition_config_selectorILNS1_17partition_subalgoE4EjNS0_10empty_typeEbEEZZNS1_14partition_implILS8_4ELb0ES6_15HIP_vector_typeIjLj2EENS0_17counting_iteratorIjlEEPS9_SG_NS0_5tupleIJPjSI_NS0_16reverse_iteratorISI_EEEEENSH_IJSG_SG_SG_EEES9_SI_JZNS1_25segmented_radix_sort_implINS0_14default_configELb1EPKhPhPKlPlN2at6native12_GLOBAL__N_18offset_tEEE10hipError_tPvRmT1_PNSt15iterator_traitsIS12_E10value_typeET2_T3_PNS13_IS18_E10value_typeET4_jRbjT5_S1E_jjP12ihipStream_tbEUljE_ZNSN_ISO_Lb1ESQ_SR_ST_SU_SY_EESZ_S10_S11_S12_S16_S17_S18_S1B_S1C_jS1D_jS1E_S1E_jjS1G_bEUljE0_EEESZ_S10_S11_S18_S1C_S1E_T6_T7_T9_mT8_S1G_bDpT10_ENKUlT_T0_E_clISt17integral_constantIbLb0EES1T_IbLb1EEEEDaS1P_S1Q_EUlS1P_E_NS1_11comp_targetILNS1_3genE4ELNS1_11target_archE910ELNS1_3gpuE8ELNS1_3repE0EEENS1_30default_config_static_selectorELNS0_4arch9wavefront6targetE0EEEvS12_,@function
_ZN7rocprim17ROCPRIM_400000_NS6detail17trampoline_kernelINS0_13select_configILj256ELj13ELNS0_17block_load_methodE3ELS4_3ELS4_3ELNS0_20block_scan_algorithmE0ELj4294967295EEENS1_25partition_config_selectorILNS1_17partition_subalgoE4EjNS0_10empty_typeEbEEZZNS1_14partition_implILS8_4ELb0ES6_15HIP_vector_typeIjLj2EENS0_17counting_iteratorIjlEEPS9_SG_NS0_5tupleIJPjSI_NS0_16reverse_iteratorISI_EEEEENSH_IJSG_SG_SG_EEES9_SI_JZNS1_25segmented_radix_sort_implINS0_14default_configELb1EPKhPhPKlPlN2at6native12_GLOBAL__N_18offset_tEEE10hipError_tPvRmT1_PNSt15iterator_traitsIS12_E10value_typeET2_T3_PNS13_IS18_E10value_typeET4_jRbjT5_S1E_jjP12ihipStream_tbEUljE_ZNSN_ISO_Lb1ESQ_SR_ST_SU_SY_EESZ_S10_S11_S12_S16_S17_S18_S1B_S1C_jS1D_jS1E_S1E_jjS1G_bEUljE0_EEESZ_S10_S11_S18_S1C_S1E_T6_T7_T9_mT8_S1G_bDpT10_ENKUlT_T0_E_clISt17integral_constantIbLb0EES1T_IbLb1EEEEDaS1P_S1Q_EUlS1P_E_NS1_11comp_targetILNS1_3genE4ELNS1_11target_archE910ELNS1_3gpuE8ELNS1_3repE0EEENS1_30default_config_static_selectorELNS0_4arch9wavefront6targetE0EEEvS12_: ; @_ZN7rocprim17ROCPRIM_400000_NS6detail17trampoline_kernelINS0_13select_configILj256ELj13ELNS0_17block_load_methodE3ELS4_3ELS4_3ELNS0_20block_scan_algorithmE0ELj4294967295EEENS1_25partition_config_selectorILNS1_17partition_subalgoE4EjNS0_10empty_typeEbEEZZNS1_14partition_implILS8_4ELb0ES6_15HIP_vector_typeIjLj2EENS0_17counting_iteratorIjlEEPS9_SG_NS0_5tupleIJPjSI_NS0_16reverse_iteratorISI_EEEEENSH_IJSG_SG_SG_EEES9_SI_JZNS1_25segmented_radix_sort_implINS0_14default_configELb1EPKhPhPKlPlN2at6native12_GLOBAL__N_18offset_tEEE10hipError_tPvRmT1_PNSt15iterator_traitsIS12_E10value_typeET2_T3_PNS13_IS18_E10value_typeET4_jRbjT5_S1E_jjP12ihipStream_tbEUljE_ZNSN_ISO_Lb1ESQ_SR_ST_SU_SY_EESZ_S10_S11_S12_S16_S17_S18_S1B_S1C_jS1D_jS1E_S1E_jjS1G_bEUljE0_EEESZ_S10_S11_S18_S1C_S1E_T6_T7_T9_mT8_S1G_bDpT10_ENKUlT_T0_E_clISt17integral_constantIbLb0EES1T_IbLb1EEEEDaS1P_S1Q_EUlS1P_E_NS1_11comp_targetILNS1_3genE4ELNS1_11target_archE910ELNS1_3gpuE8ELNS1_3repE0EEENS1_30default_config_static_selectorELNS0_4arch9wavefront6targetE0EEEvS12_
; %bb.0:
	.section	.rodata,"a",@progbits
	.p2align	6, 0x0
	.amdhsa_kernel _ZN7rocprim17ROCPRIM_400000_NS6detail17trampoline_kernelINS0_13select_configILj256ELj13ELNS0_17block_load_methodE3ELS4_3ELS4_3ELNS0_20block_scan_algorithmE0ELj4294967295EEENS1_25partition_config_selectorILNS1_17partition_subalgoE4EjNS0_10empty_typeEbEEZZNS1_14partition_implILS8_4ELb0ES6_15HIP_vector_typeIjLj2EENS0_17counting_iteratorIjlEEPS9_SG_NS0_5tupleIJPjSI_NS0_16reverse_iteratorISI_EEEEENSH_IJSG_SG_SG_EEES9_SI_JZNS1_25segmented_radix_sort_implINS0_14default_configELb1EPKhPhPKlPlN2at6native12_GLOBAL__N_18offset_tEEE10hipError_tPvRmT1_PNSt15iterator_traitsIS12_E10value_typeET2_T3_PNS13_IS18_E10value_typeET4_jRbjT5_S1E_jjP12ihipStream_tbEUljE_ZNSN_ISO_Lb1ESQ_SR_ST_SU_SY_EESZ_S10_S11_S12_S16_S17_S18_S1B_S1C_jS1D_jS1E_S1E_jjS1G_bEUljE0_EEESZ_S10_S11_S18_S1C_S1E_T6_T7_T9_mT8_S1G_bDpT10_ENKUlT_T0_E_clISt17integral_constantIbLb0EES1T_IbLb1EEEEDaS1P_S1Q_EUlS1P_E_NS1_11comp_targetILNS1_3genE4ELNS1_11target_archE910ELNS1_3gpuE8ELNS1_3repE0EEENS1_30default_config_static_selectorELNS0_4arch9wavefront6targetE0EEEvS12_
		.amdhsa_group_segment_fixed_size 0
		.amdhsa_private_segment_fixed_size 0
		.amdhsa_kernarg_size 184
		.amdhsa_user_sgpr_count 2
		.amdhsa_user_sgpr_dispatch_ptr 0
		.amdhsa_user_sgpr_queue_ptr 0
		.amdhsa_user_sgpr_kernarg_segment_ptr 1
		.amdhsa_user_sgpr_dispatch_id 0
		.amdhsa_user_sgpr_kernarg_preload_length 0
		.amdhsa_user_sgpr_kernarg_preload_offset 0
		.amdhsa_user_sgpr_private_segment_size 0
		.amdhsa_wavefront_size32 1
		.amdhsa_uses_dynamic_stack 0
		.amdhsa_enable_private_segment 0
		.amdhsa_system_sgpr_workgroup_id_x 1
		.amdhsa_system_sgpr_workgroup_id_y 0
		.amdhsa_system_sgpr_workgroup_id_z 0
		.amdhsa_system_sgpr_workgroup_info 0
		.amdhsa_system_vgpr_workitem_id 0
		.amdhsa_next_free_vgpr 1
		.amdhsa_next_free_sgpr 1
		.amdhsa_named_barrier_count 0
		.amdhsa_reserve_vcc 0
		.amdhsa_float_round_mode_32 0
		.amdhsa_float_round_mode_16_64 0
		.amdhsa_float_denorm_mode_32 3
		.amdhsa_float_denorm_mode_16_64 3
		.amdhsa_fp16_overflow 0
		.amdhsa_memory_ordered 1
		.amdhsa_forward_progress 1
		.amdhsa_inst_pref_size 0
		.amdhsa_round_robin_scheduling 0
		.amdhsa_exception_fp_ieee_invalid_op 0
		.amdhsa_exception_fp_denorm_src 0
		.amdhsa_exception_fp_ieee_div_zero 0
		.amdhsa_exception_fp_ieee_overflow 0
		.amdhsa_exception_fp_ieee_underflow 0
		.amdhsa_exception_fp_ieee_inexact 0
		.amdhsa_exception_int_div_zero 0
	.end_amdhsa_kernel
	.section	.text._ZN7rocprim17ROCPRIM_400000_NS6detail17trampoline_kernelINS0_13select_configILj256ELj13ELNS0_17block_load_methodE3ELS4_3ELS4_3ELNS0_20block_scan_algorithmE0ELj4294967295EEENS1_25partition_config_selectorILNS1_17partition_subalgoE4EjNS0_10empty_typeEbEEZZNS1_14partition_implILS8_4ELb0ES6_15HIP_vector_typeIjLj2EENS0_17counting_iteratorIjlEEPS9_SG_NS0_5tupleIJPjSI_NS0_16reverse_iteratorISI_EEEEENSH_IJSG_SG_SG_EEES9_SI_JZNS1_25segmented_radix_sort_implINS0_14default_configELb1EPKhPhPKlPlN2at6native12_GLOBAL__N_18offset_tEEE10hipError_tPvRmT1_PNSt15iterator_traitsIS12_E10value_typeET2_T3_PNS13_IS18_E10value_typeET4_jRbjT5_S1E_jjP12ihipStream_tbEUljE_ZNSN_ISO_Lb1ESQ_SR_ST_SU_SY_EESZ_S10_S11_S12_S16_S17_S18_S1B_S1C_jS1D_jS1E_S1E_jjS1G_bEUljE0_EEESZ_S10_S11_S18_S1C_S1E_T6_T7_T9_mT8_S1G_bDpT10_ENKUlT_T0_E_clISt17integral_constantIbLb0EES1T_IbLb1EEEEDaS1P_S1Q_EUlS1P_E_NS1_11comp_targetILNS1_3genE4ELNS1_11target_archE910ELNS1_3gpuE8ELNS1_3repE0EEENS1_30default_config_static_selectorELNS0_4arch9wavefront6targetE0EEEvS12_,"axG",@progbits,_ZN7rocprim17ROCPRIM_400000_NS6detail17trampoline_kernelINS0_13select_configILj256ELj13ELNS0_17block_load_methodE3ELS4_3ELS4_3ELNS0_20block_scan_algorithmE0ELj4294967295EEENS1_25partition_config_selectorILNS1_17partition_subalgoE4EjNS0_10empty_typeEbEEZZNS1_14partition_implILS8_4ELb0ES6_15HIP_vector_typeIjLj2EENS0_17counting_iteratorIjlEEPS9_SG_NS0_5tupleIJPjSI_NS0_16reverse_iteratorISI_EEEEENSH_IJSG_SG_SG_EEES9_SI_JZNS1_25segmented_radix_sort_implINS0_14default_configELb1EPKhPhPKlPlN2at6native12_GLOBAL__N_18offset_tEEE10hipError_tPvRmT1_PNSt15iterator_traitsIS12_E10value_typeET2_T3_PNS13_IS18_E10value_typeET4_jRbjT5_S1E_jjP12ihipStream_tbEUljE_ZNSN_ISO_Lb1ESQ_SR_ST_SU_SY_EESZ_S10_S11_S12_S16_S17_S18_S1B_S1C_jS1D_jS1E_S1E_jjS1G_bEUljE0_EEESZ_S10_S11_S18_S1C_S1E_T6_T7_T9_mT8_S1G_bDpT10_ENKUlT_T0_E_clISt17integral_constantIbLb0EES1T_IbLb1EEEEDaS1P_S1Q_EUlS1P_E_NS1_11comp_targetILNS1_3genE4ELNS1_11target_archE910ELNS1_3gpuE8ELNS1_3repE0EEENS1_30default_config_static_selectorELNS0_4arch9wavefront6targetE0EEEvS12_,comdat
.Lfunc_end41:
	.size	_ZN7rocprim17ROCPRIM_400000_NS6detail17trampoline_kernelINS0_13select_configILj256ELj13ELNS0_17block_load_methodE3ELS4_3ELS4_3ELNS0_20block_scan_algorithmE0ELj4294967295EEENS1_25partition_config_selectorILNS1_17partition_subalgoE4EjNS0_10empty_typeEbEEZZNS1_14partition_implILS8_4ELb0ES6_15HIP_vector_typeIjLj2EENS0_17counting_iteratorIjlEEPS9_SG_NS0_5tupleIJPjSI_NS0_16reverse_iteratorISI_EEEEENSH_IJSG_SG_SG_EEES9_SI_JZNS1_25segmented_radix_sort_implINS0_14default_configELb1EPKhPhPKlPlN2at6native12_GLOBAL__N_18offset_tEEE10hipError_tPvRmT1_PNSt15iterator_traitsIS12_E10value_typeET2_T3_PNS13_IS18_E10value_typeET4_jRbjT5_S1E_jjP12ihipStream_tbEUljE_ZNSN_ISO_Lb1ESQ_SR_ST_SU_SY_EESZ_S10_S11_S12_S16_S17_S18_S1B_S1C_jS1D_jS1E_S1E_jjS1G_bEUljE0_EEESZ_S10_S11_S18_S1C_S1E_T6_T7_T9_mT8_S1G_bDpT10_ENKUlT_T0_E_clISt17integral_constantIbLb0EES1T_IbLb1EEEEDaS1P_S1Q_EUlS1P_E_NS1_11comp_targetILNS1_3genE4ELNS1_11target_archE910ELNS1_3gpuE8ELNS1_3repE0EEENS1_30default_config_static_selectorELNS0_4arch9wavefront6targetE0EEEvS12_, .Lfunc_end41-_ZN7rocprim17ROCPRIM_400000_NS6detail17trampoline_kernelINS0_13select_configILj256ELj13ELNS0_17block_load_methodE3ELS4_3ELS4_3ELNS0_20block_scan_algorithmE0ELj4294967295EEENS1_25partition_config_selectorILNS1_17partition_subalgoE4EjNS0_10empty_typeEbEEZZNS1_14partition_implILS8_4ELb0ES6_15HIP_vector_typeIjLj2EENS0_17counting_iteratorIjlEEPS9_SG_NS0_5tupleIJPjSI_NS0_16reverse_iteratorISI_EEEEENSH_IJSG_SG_SG_EEES9_SI_JZNS1_25segmented_radix_sort_implINS0_14default_configELb1EPKhPhPKlPlN2at6native12_GLOBAL__N_18offset_tEEE10hipError_tPvRmT1_PNSt15iterator_traitsIS12_E10value_typeET2_T3_PNS13_IS18_E10value_typeET4_jRbjT5_S1E_jjP12ihipStream_tbEUljE_ZNSN_ISO_Lb1ESQ_SR_ST_SU_SY_EESZ_S10_S11_S12_S16_S17_S18_S1B_S1C_jS1D_jS1E_S1E_jjS1G_bEUljE0_EEESZ_S10_S11_S18_S1C_S1E_T6_T7_T9_mT8_S1G_bDpT10_ENKUlT_T0_E_clISt17integral_constantIbLb0EES1T_IbLb1EEEEDaS1P_S1Q_EUlS1P_E_NS1_11comp_targetILNS1_3genE4ELNS1_11target_archE910ELNS1_3gpuE8ELNS1_3repE0EEENS1_30default_config_static_selectorELNS0_4arch9wavefront6targetE0EEEvS12_
                                        ; -- End function
	.set _ZN7rocprim17ROCPRIM_400000_NS6detail17trampoline_kernelINS0_13select_configILj256ELj13ELNS0_17block_load_methodE3ELS4_3ELS4_3ELNS0_20block_scan_algorithmE0ELj4294967295EEENS1_25partition_config_selectorILNS1_17partition_subalgoE4EjNS0_10empty_typeEbEEZZNS1_14partition_implILS8_4ELb0ES6_15HIP_vector_typeIjLj2EENS0_17counting_iteratorIjlEEPS9_SG_NS0_5tupleIJPjSI_NS0_16reverse_iteratorISI_EEEEENSH_IJSG_SG_SG_EEES9_SI_JZNS1_25segmented_radix_sort_implINS0_14default_configELb1EPKhPhPKlPlN2at6native12_GLOBAL__N_18offset_tEEE10hipError_tPvRmT1_PNSt15iterator_traitsIS12_E10value_typeET2_T3_PNS13_IS18_E10value_typeET4_jRbjT5_S1E_jjP12ihipStream_tbEUljE_ZNSN_ISO_Lb1ESQ_SR_ST_SU_SY_EESZ_S10_S11_S12_S16_S17_S18_S1B_S1C_jS1D_jS1E_S1E_jjS1G_bEUljE0_EEESZ_S10_S11_S18_S1C_S1E_T6_T7_T9_mT8_S1G_bDpT10_ENKUlT_T0_E_clISt17integral_constantIbLb0EES1T_IbLb1EEEEDaS1P_S1Q_EUlS1P_E_NS1_11comp_targetILNS1_3genE4ELNS1_11target_archE910ELNS1_3gpuE8ELNS1_3repE0EEENS1_30default_config_static_selectorELNS0_4arch9wavefront6targetE0EEEvS12_.num_vgpr, 0
	.set _ZN7rocprim17ROCPRIM_400000_NS6detail17trampoline_kernelINS0_13select_configILj256ELj13ELNS0_17block_load_methodE3ELS4_3ELS4_3ELNS0_20block_scan_algorithmE0ELj4294967295EEENS1_25partition_config_selectorILNS1_17partition_subalgoE4EjNS0_10empty_typeEbEEZZNS1_14partition_implILS8_4ELb0ES6_15HIP_vector_typeIjLj2EENS0_17counting_iteratorIjlEEPS9_SG_NS0_5tupleIJPjSI_NS0_16reverse_iteratorISI_EEEEENSH_IJSG_SG_SG_EEES9_SI_JZNS1_25segmented_radix_sort_implINS0_14default_configELb1EPKhPhPKlPlN2at6native12_GLOBAL__N_18offset_tEEE10hipError_tPvRmT1_PNSt15iterator_traitsIS12_E10value_typeET2_T3_PNS13_IS18_E10value_typeET4_jRbjT5_S1E_jjP12ihipStream_tbEUljE_ZNSN_ISO_Lb1ESQ_SR_ST_SU_SY_EESZ_S10_S11_S12_S16_S17_S18_S1B_S1C_jS1D_jS1E_S1E_jjS1G_bEUljE0_EEESZ_S10_S11_S18_S1C_S1E_T6_T7_T9_mT8_S1G_bDpT10_ENKUlT_T0_E_clISt17integral_constantIbLb0EES1T_IbLb1EEEEDaS1P_S1Q_EUlS1P_E_NS1_11comp_targetILNS1_3genE4ELNS1_11target_archE910ELNS1_3gpuE8ELNS1_3repE0EEENS1_30default_config_static_selectorELNS0_4arch9wavefront6targetE0EEEvS12_.num_agpr, 0
	.set _ZN7rocprim17ROCPRIM_400000_NS6detail17trampoline_kernelINS0_13select_configILj256ELj13ELNS0_17block_load_methodE3ELS4_3ELS4_3ELNS0_20block_scan_algorithmE0ELj4294967295EEENS1_25partition_config_selectorILNS1_17partition_subalgoE4EjNS0_10empty_typeEbEEZZNS1_14partition_implILS8_4ELb0ES6_15HIP_vector_typeIjLj2EENS0_17counting_iteratorIjlEEPS9_SG_NS0_5tupleIJPjSI_NS0_16reverse_iteratorISI_EEEEENSH_IJSG_SG_SG_EEES9_SI_JZNS1_25segmented_radix_sort_implINS0_14default_configELb1EPKhPhPKlPlN2at6native12_GLOBAL__N_18offset_tEEE10hipError_tPvRmT1_PNSt15iterator_traitsIS12_E10value_typeET2_T3_PNS13_IS18_E10value_typeET4_jRbjT5_S1E_jjP12ihipStream_tbEUljE_ZNSN_ISO_Lb1ESQ_SR_ST_SU_SY_EESZ_S10_S11_S12_S16_S17_S18_S1B_S1C_jS1D_jS1E_S1E_jjS1G_bEUljE0_EEESZ_S10_S11_S18_S1C_S1E_T6_T7_T9_mT8_S1G_bDpT10_ENKUlT_T0_E_clISt17integral_constantIbLb0EES1T_IbLb1EEEEDaS1P_S1Q_EUlS1P_E_NS1_11comp_targetILNS1_3genE4ELNS1_11target_archE910ELNS1_3gpuE8ELNS1_3repE0EEENS1_30default_config_static_selectorELNS0_4arch9wavefront6targetE0EEEvS12_.numbered_sgpr, 0
	.set _ZN7rocprim17ROCPRIM_400000_NS6detail17trampoline_kernelINS0_13select_configILj256ELj13ELNS0_17block_load_methodE3ELS4_3ELS4_3ELNS0_20block_scan_algorithmE0ELj4294967295EEENS1_25partition_config_selectorILNS1_17partition_subalgoE4EjNS0_10empty_typeEbEEZZNS1_14partition_implILS8_4ELb0ES6_15HIP_vector_typeIjLj2EENS0_17counting_iteratorIjlEEPS9_SG_NS0_5tupleIJPjSI_NS0_16reverse_iteratorISI_EEEEENSH_IJSG_SG_SG_EEES9_SI_JZNS1_25segmented_radix_sort_implINS0_14default_configELb1EPKhPhPKlPlN2at6native12_GLOBAL__N_18offset_tEEE10hipError_tPvRmT1_PNSt15iterator_traitsIS12_E10value_typeET2_T3_PNS13_IS18_E10value_typeET4_jRbjT5_S1E_jjP12ihipStream_tbEUljE_ZNSN_ISO_Lb1ESQ_SR_ST_SU_SY_EESZ_S10_S11_S12_S16_S17_S18_S1B_S1C_jS1D_jS1E_S1E_jjS1G_bEUljE0_EEESZ_S10_S11_S18_S1C_S1E_T6_T7_T9_mT8_S1G_bDpT10_ENKUlT_T0_E_clISt17integral_constantIbLb0EES1T_IbLb1EEEEDaS1P_S1Q_EUlS1P_E_NS1_11comp_targetILNS1_3genE4ELNS1_11target_archE910ELNS1_3gpuE8ELNS1_3repE0EEENS1_30default_config_static_selectorELNS0_4arch9wavefront6targetE0EEEvS12_.num_named_barrier, 0
	.set _ZN7rocprim17ROCPRIM_400000_NS6detail17trampoline_kernelINS0_13select_configILj256ELj13ELNS0_17block_load_methodE3ELS4_3ELS4_3ELNS0_20block_scan_algorithmE0ELj4294967295EEENS1_25partition_config_selectorILNS1_17partition_subalgoE4EjNS0_10empty_typeEbEEZZNS1_14partition_implILS8_4ELb0ES6_15HIP_vector_typeIjLj2EENS0_17counting_iteratorIjlEEPS9_SG_NS0_5tupleIJPjSI_NS0_16reverse_iteratorISI_EEEEENSH_IJSG_SG_SG_EEES9_SI_JZNS1_25segmented_radix_sort_implINS0_14default_configELb1EPKhPhPKlPlN2at6native12_GLOBAL__N_18offset_tEEE10hipError_tPvRmT1_PNSt15iterator_traitsIS12_E10value_typeET2_T3_PNS13_IS18_E10value_typeET4_jRbjT5_S1E_jjP12ihipStream_tbEUljE_ZNSN_ISO_Lb1ESQ_SR_ST_SU_SY_EESZ_S10_S11_S12_S16_S17_S18_S1B_S1C_jS1D_jS1E_S1E_jjS1G_bEUljE0_EEESZ_S10_S11_S18_S1C_S1E_T6_T7_T9_mT8_S1G_bDpT10_ENKUlT_T0_E_clISt17integral_constantIbLb0EES1T_IbLb1EEEEDaS1P_S1Q_EUlS1P_E_NS1_11comp_targetILNS1_3genE4ELNS1_11target_archE910ELNS1_3gpuE8ELNS1_3repE0EEENS1_30default_config_static_selectorELNS0_4arch9wavefront6targetE0EEEvS12_.private_seg_size, 0
	.set _ZN7rocprim17ROCPRIM_400000_NS6detail17trampoline_kernelINS0_13select_configILj256ELj13ELNS0_17block_load_methodE3ELS4_3ELS4_3ELNS0_20block_scan_algorithmE0ELj4294967295EEENS1_25partition_config_selectorILNS1_17partition_subalgoE4EjNS0_10empty_typeEbEEZZNS1_14partition_implILS8_4ELb0ES6_15HIP_vector_typeIjLj2EENS0_17counting_iteratorIjlEEPS9_SG_NS0_5tupleIJPjSI_NS0_16reverse_iteratorISI_EEEEENSH_IJSG_SG_SG_EEES9_SI_JZNS1_25segmented_radix_sort_implINS0_14default_configELb1EPKhPhPKlPlN2at6native12_GLOBAL__N_18offset_tEEE10hipError_tPvRmT1_PNSt15iterator_traitsIS12_E10value_typeET2_T3_PNS13_IS18_E10value_typeET4_jRbjT5_S1E_jjP12ihipStream_tbEUljE_ZNSN_ISO_Lb1ESQ_SR_ST_SU_SY_EESZ_S10_S11_S12_S16_S17_S18_S1B_S1C_jS1D_jS1E_S1E_jjS1G_bEUljE0_EEESZ_S10_S11_S18_S1C_S1E_T6_T7_T9_mT8_S1G_bDpT10_ENKUlT_T0_E_clISt17integral_constantIbLb0EES1T_IbLb1EEEEDaS1P_S1Q_EUlS1P_E_NS1_11comp_targetILNS1_3genE4ELNS1_11target_archE910ELNS1_3gpuE8ELNS1_3repE0EEENS1_30default_config_static_selectorELNS0_4arch9wavefront6targetE0EEEvS12_.uses_vcc, 0
	.set _ZN7rocprim17ROCPRIM_400000_NS6detail17trampoline_kernelINS0_13select_configILj256ELj13ELNS0_17block_load_methodE3ELS4_3ELS4_3ELNS0_20block_scan_algorithmE0ELj4294967295EEENS1_25partition_config_selectorILNS1_17partition_subalgoE4EjNS0_10empty_typeEbEEZZNS1_14partition_implILS8_4ELb0ES6_15HIP_vector_typeIjLj2EENS0_17counting_iteratorIjlEEPS9_SG_NS0_5tupleIJPjSI_NS0_16reverse_iteratorISI_EEEEENSH_IJSG_SG_SG_EEES9_SI_JZNS1_25segmented_radix_sort_implINS0_14default_configELb1EPKhPhPKlPlN2at6native12_GLOBAL__N_18offset_tEEE10hipError_tPvRmT1_PNSt15iterator_traitsIS12_E10value_typeET2_T3_PNS13_IS18_E10value_typeET4_jRbjT5_S1E_jjP12ihipStream_tbEUljE_ZNSN_ISO_Lb1ESQ_SR_ST_SU_SY_EESZ_S10_S11_S12_S16_S17_S18_S1B_S1C_jS1D_jS1E_S1E_jjS1G_bEUljE0_EEESZ_S10_S11_S18_S1C_S1E_T6_T7_T9_mT8_S1G_bDpT10_ENKUlT_T0_E_clISt17integral_constantIbLb0EES1T_IbLb1EEEEDaS1P_S1Q_EUlS1P_E_NS1_11comp_targetILNS1_3genE4ELNS1_11target_archE910ELNS1_3gpuE8ELNS1_3repE0EEENS1_30default_config_static_selectorELNS0_4arch9wavefront6targetE0EEEvS12_.uses_flat_scratch, 0
	.set _ZN7rocprim17ROCPRIM_400000_NS6detail17trampoline_kernelINS0_13select_configILj256ELj13ELNS0_17block_load_methodE3ELS4_3ELS4_3ELNS0_20block_scan_algorithmE0ELj4294967295EEENS1_25partition_config_selectorILNS1_17partition_subalgoE4EjNS0_10empty_typeEbEEZZNS1_14partition_implILS8_4ELb0ES6_15HIP_vector_typeIjLj2EENS0_17counting_iteratorIjlEEPS9_SG_NS0_5tupleIJPjSI_NS0_16reverse_iteratorISI_EEEEENSH_IJSG_SG_SG_EEES9_SI_JZNS1_25segmented_radix_sort_implINS0_14default_configELb1EPKhPhPKlPlN2at6native12_GLOBAL__N_18offset_tEEE10hipError_tPvRmT1_PNSt15iterator_traitsIS12_E10value_typeET2_T3_PNS13_IS18_E10value_typeET4_jRbjT5_S1E_jjP12ihipStream_tbEUljE_ZNSN_ISO_Lb1ESQ_SR_ST_SU_SY_EESZ_S10_S11_S12_S16_S17_S18_S1B_S1C_jS1D_jS1E_S1E_jjS1G_bEUljE0_EEESZ_S10_S11_S18_S1C_S1E_T6_T7_T9_mT8_S1G_bDpT10_ENKUlT_T0_E_clISt17integral_constantIbLb0EES1T_IbLb1EEEEDaS1P_S1Q_EUlS1P_E_NS1_11comp_targetILNS1_3genE4ELNS1_11target_archE910ELNS1_3gpuE8ELNS1_3repE0EEENS1_30default_config_static_selectorELNS0_4arch9wavefront6targetE0EEEvS12_.has_dyn_sized_stack, 0
	.set _ZN7rocprim17ROCPRIM_400000_NS6detail17trampoline_kernelINS0_13select_configILj256ELj13ELNS0_17block_load_methodE3ELS4_3ELS4_3ELNS0_20block_scan_algorithmE0ELj4294967295EEENS1_25partition_config_selectorILNS1_17partition_subalgoE4EjNS0_10empty_typeEbEEZZNS1_14partition_implILS8_4ELb0ES6_15HIP_vector_typeIjLj2EENS0_17counting_iteratorIjlEEPS9_SG_NS0_5tupleIJPjSI_NS0_16reverse_iteratorISI_EEEEENSH_IJSG_SG_SG_EEES9_SI_JZNS1_25segmented_radix_sort_implINS0_14default_configELb1EPKhPhPKlPlN2at6native12_GLOBAL__N_18offset_tEEE10hipError_tPvRmT1_PNSt15iterator_traitsIS12_E10value_typeET2_T3_PNS13_IS18_E10value_typeET4_jRbjT5_S1E_jjP12ihipStream_tbEUljE_ZNSN_ISO_Lb1ESQ_SR_ST_SU_SY_EESZ_S10_S11_S12_S16_S17_S18_S1B_S1C_jS1D_jS1E_S1E_jjS1G_bEUljE0_EEESZ_S10_S11_S18_S1C_S1E_T6_T7_T9_mT8_S1G_bDpT10_ENKUlT_T0_E_clISt17integral_constantIbLb0EES1T_IbLb1EEEEDaS1P_S1Q_EUlS1P_E_NS1_11comp_targetILNS1_3genE4ELNS1_11target_archE910ELNS1_3gpuE8ELNS1_3repE0EEENS1_30default_config_static_selectorELNS0_4arch9wavefront6targetE0EEEvS12_.has_recursion, 0
	.set _ZN7rocprim17ROCPRIM_400000_NS6detail17trampoline_kernelINS0_13select_configILj256ELj13ELNS0_17block_load_methodE3ELS4_3ELS4_3ELNS0_20block_scan_algorithmE0ELj4294967295EEENS1_25partition_config_selectorILNS1_17partition_subalgoE4EjNS0_10empty_typeEbEEZZNS1_14partition_implILS8_4ELb0ES6_15HIP_vector_typeIjLj2EENS0_17counting_iteratorIjlEEPS9_SG_NS0_5tupleIJPjSI_NS0_16reverse_iteratorISI_EEEEENSH_IJSG_SG_SG_EEES9_SI_JZNS1_25segmented_radix_sort_implINS0_14default_configELb1EPKhPhPKlPlN2at6native12_GLOBAL__N_18offset_tEEE10hipError_tPvRmT1_PNSt15iterator_traitsIS12_E10value_typeET2_T3_PNS13_IS18_E10value_typeET4_jRbjT5_S1E_jjP12ihipStream_tbEUljE_ZNSN_ISO_Lb1ESQ_SR_ST_SU_SY_EESZ_S10_S11_S12_S16_S17_S18_S1B_S1C_jS1D_jS1E_S1E_jjS1G_bEUljE0_EEESZ_S10_S11_S18_S1C_S1E_T6_T7_T9_mT8_S1G_bDpT10_ENKUlT_T0_E_clISt17integral_constantIbLb0EES1T_IbLb1EEEEDaS1P_S1Q_EUlS1P_E_NS1_11comp_targetILNS1_3genE4ELNS1_11target_archE910ELNS1_3gpuE8ELNS1_3repE0EEENS1_30default_config_static_selectorELNS0_4arch9wavefront6targetE0EEEvS12_.has_indirect_call, 0
	.section	.AMDGPU.csdata,"",@progbits
; Kernel info:
; codeLenInByte = 0
; TotalNumSgprs: 0
; NumVgprs: 0
; ScratchSize: 0
; MemoryBound: 0
; FloatMode: 240
; IeeeMode: 1
; LDSByteSize: 0 bytes/workgroup (compile time only)
; SGPRBlocks: 0
; VGPRBlocks: 0
; NumSGPRsForWavesPerEU: 1
; NumVGPRsForWavesPerEU: 1
; NamedBarCnt: 0
; Occupancy: 16
; WaveLimiterHint : 0
; COMPUTE_PGM_RSRC2:SCRATCH_EN: 0
; COMPUTE_PGM_RSRC2:USER_SGPR: 2
; COMPUTE_PGM_RSRC2:TRAP_HANDLER: 0
; COMPUTE_PGM_RSRC2:TGID_X_EN: 1
; COMPUTE_PGM_RSRC2:TGID_Y_EN: 0
; COMPUTE_PGM_RSRC2:TGID_Z_EN: 0
; COMPUTE_PGM_RSRC2:TIDIG_COMP_CNT: 0
	.section	.text._ZN7rocprim17ROCPRIM_400000_NS6detail17trampoline_kernelINS0_13select_configILj256ELj13ELNS0_17block_load_methodE3ELS4_3ELS4_3ELNS0_20block_scan_algorithmE0ELj4294967295EEENS1_25partition_config_selectorILNS1_17partition_subalgoE4EjNS0_10empty_typeEbEEZZNS1_14partition_implILS8_4ELb0ES6_15HIP_vector_typeIjLj2EENS0_17counting_iteratorIjlEEPS9_SG_NS0_5tupleIJPjSI_NS0_16reverse_iteratorISI_EEEEENSH_IJSG_SG_SG_EEES9_SI_JZNS1_25segmented_radix_sort_implINS0_14default_configELb1EPKhPhPKlPlN2at6native12_GLOBAL__N_18offset_tEEE10hipError_tPvRmT1_PNSt15iterator_traitsIS12_E10value_typeET2_T3_PNS13_IS18_E10value_typeET4_jRbjT5_S1E_jjP12ihipStream_tbEUljE_ZNSN_ISO_Lb1ESQ_SR_ST_SU_SY_EESZ_S10_S11_S12_S16_S17_S18_S1B_S1C_jS1D_jS1E_S1E_jjS1G_bEUljE0_EEESZ_S10_S11_S18_S1C_S1E_T6_T7_T9_mT8_S1G_bDpT10_ENKUlT_T0_E_clISt17integral_constantIbLb0EES1T_IbLb1EEEEDaS1P_S1Q_EUlS1P_E_NS1_11comp_targetILNS1_3genE3ELNS1_11target_archE908ELNS1_3gpuE7ELNS1_3repE0EEENS1_30default_config_static_selectorELNS0_4arch9wavefront6targetE0EEEvS12_,"axG",@progbits,_ZN7rocprim17ROCPRIM_400000_NS6detail17trampoline_kernelINS0_13select_configILj256ELj13ELNS0_17block_load_methodE3ELS4_3ELS4_3ELNS0_20block_scan_algorithmE0ELj4294967295EEENS1_25partition_config_selectorILNS1_17partition_subalgoE4EjNS0_10empty_typeEbEEZZNS1_14partition_implILS8_4ELb0ES6_15HIP_vector_typeIjLj2EENS0_17counting_iteratorIjlEEPS9_SG_NS0_5tupleIJPjSI_NS0_16reverse_iteratorISI_EEEEENSH_IJSG_SG_SG_EEES9_SI_JZNS1_25segmented_radix_sort_implINS0_14default_configELb1EPKhPhPKlPlN2at6native12_GLOBAL__N_18offset_tEEE10hipError_tPvRmT1_PNSt15iterator_traitsIS12_E10value_typeET2_T3_PNS13_IS18_E10value_typeET4_jRbjT5_S1E_jjP12ihipStream_tbEUljE_ZNSN_ISO_Lb1ESQ_SR_ST_SU_SY_EESZ_S10_S11_S12_S16_S17_S18_S1B_S1C_jS1D_jS1E_S1E_jjS1G_bEUljE0_EEESZ_S10_S11_S18_S1C_S1E_T6_T7_T9_mT8_S1G_bDpT10_ENKUlT_T0_E_clISt17integral_constantIbLb0EES1T_IbLb1EEEEDaS1P_S1Q_EUlS1P_E_NS1_11comp_targetILNS1_3genE3ELNS1_11target_archE908ELNS1_3gpuE7ELNS1_3repE0EEENS1_30default_config_static_selectorELNS0_4arch9wavefront6targetE0EEEvS12_,comdat
	.globl	_ZN7rocprim17ROCPRIM_400000_NS6detail17trampoline_kernelINS0_13select_configILj256ELj13ELNS0_17block_load_methodE3ELS4_3ELS4_3ELNS0_20block_scan_algorithmE0ELj4294967295EEENS1_25partition_config_selectorILNS1_17partition_subalgoE4EjNS0_10empty_typeEbEEZZNS1_14partition_implILS8_4ELb0ES6_15HIP_vector_typeIjLj2EENS0_17counting_iteratorIjlEEPS9_SG_NS0_5tupleIJPjSI_NS0_16reverse_iteratorISI_EEEEENSH_IJSG_SG_SG_EEES9_SI_JZNS1_25segmented_radix_sort_implINS0_14default_configELb1EPKhPhPKlPlN2at6native12_GLOBAL__N_18offset_tEEE10hipError_tPvRmT1_PNSt15iterator_traitsIS12_E10value_typeET2_T3_PNS13_IS18_E10value_typeET4_jRbjT5_S1E_jjP12ihipStream_tbEUljE_ZNSN_ISO_Lb1ESQ_SR_ST_SU_SY_EESZ_S10_S11_S12_S16_S17_S18_S1B_S1C_jS1D_jS1E_S1E_jjS1G_bEUljE0_EEESZ_S10_S11_S18_S1C_S1E_T6_T7_T9_mT8_S1G_bDpT10_ENKUlT_T0_E_clISt17integral_constantIbLb0EES1T_IbLb1EEEEDaS1P_S1Q_EUlS1P_E_NS1_11comp_targetILNS1_3genE3ELNS1_11target_archE908ELNS1_3gpuE7ELNS1_3repE0EEENS1_30default_config_static_selectorELNS0_4arch9wavefront6targetE0EEEvS12_ ; -- Begin function _ZN7rocprim17ROCPRIM_400000_NS6detail17trampoline_kernelINS0_13select_configILj256ELj13ELNS0_17block_load_methodE3ELS4_3ELS4_3ELNS0_20block_scan_algorithmE0ELj4294967295EEENS1_25partition_config_selectorILNS1_17partition_subalgoE4EjNS0_10empty_typeEbEEZZNS1_14partition_implILS8_4ELb0ES6_15HIP_vector_typeIjLj2EENS0_17counting_iteratorIjlEEPS9_SG_NS0_5tupleIJPjSI_NS0_16reverse_iteratorISI_EEEEENSH_IJSG_SG_SG_EEES9_SI_JZNS1_25segmented_radix_sort_implINS0_14default_configELb1EPKhPhPKlPlN2at6native12_GLOBAL__N_18offset_tEEE10hipError_tPvRmT1_PNSt15iterator_traitsIS12_E10value_typeET2_T3_PNS13_IS18_E10value_typeET4_jRbjT5_S1E_jjP12ihipStream_tbEUljE_ZNSN_ISO_Lb1ESQ_SR_ST_SU_SY_EESZ_S10_S11_S12_S16_S17_S18_S1B_S1C_jS1D_jS1E_S1E_jjS1G_bEUljE0_EEESZ_S10_S11_S18_S1C_S1E_T6_T7_T9_mT8_S1G_bDpT10_ENKUlT_T0_E_clISt17integral_constantIbLb0EES1T_IbLb1EEEEDaS1P_S1Q_EUlS1P_E_NS1_11comp_targetILNS1_3genE3ELNS1_11target_archE908ELNS1_3gpuE7ELNS1_3repE0EEENS1_30default_config_static_selectorELNS0_4arch9wavefront6targetE0EEEvS12_
	.p2align	8
	.type	_ZN7rocprim17ROCPRIM_400000_NS6detail17trampoline_kernelINS0_13select_configILj256ELj13ELNS0_17block_load_methodE3ELS4_3ELS4_3ELNS0_20block_scan_algorithmE0ELj4294967295EEENS1_25partition_config_selectorILNS1_17partition_subalgoE4EjNS0_10empty_typeEbEEZZNS1_14partition_implILS8_4ELb0ES6_15HIP_vector_typeIjLj2EENS0_17counting_iteratorIjlEEPS9_SG_NS0_5tupleIJPjSI_NS0_16reverse_iteratorISI_EEEEENSH_IJSG_SG_SG_EEES9_SI_JZNS1_25segmented_radix_sort_implINS0_14default_configELb1EPKhPhPKlPlN2at6native12_GLOBAL__N_18offset_tEEE10hipError_tPvRmT1_PNSt15iterator_traitsIS12_E10value_typeET2_T3_PNS13_IS18_E10value_typeET4_jRbjT5_S1E_jjP12ihipStream_tbEUljE_ZNSN_ISO_Lb1ESQ_SR_ST_SU_SY_EESZ_S10_S11_S12_S16_S17_S18_S1B_S1C_jS1D_jS1E_S1E_jjS1G_bEUljE0_EEESZ_S10_S11_S18_S1C_S1E_T6_T7_T9_mT8_S1G_bDpT10_ENKUlT_T0_E_clISt17integral_constantIbLb0EES1T_IbLb1EEEEDaS1P_S1Q_EUlS1P_E_NS1_11comp_targetILNS1_3genE3ELNS1_11target_archE908ELNS1_3gpuE7ELNS1_3repE0EEENS1_30default_config_static_selectorELNS0_4arch9wavefront6targetE0EEEvS12_,@function
_ZN7rocprim17ROCPRIM_400000_NS6detail17trampoline_kernelINS0_13select_configILj256ELj13ELNS0_17block_load_methodE3ELS4_3ELS4_3ELNS0_20block_scan_algorithmE0ELj4294967295EEENS1_25partition_config_selectorILNS1_17partition_subalgoE4EjNS0_10empty_typeEbEEZZNS1_14partition_implILS8_4ELb0ES6_15HIP_vector_typeIjLj2EENS0_17counting_iteratorIjlEEPS9_SG_NS0_5tupleIJPjSI_NS0_16reverse_iteratorISI_EEEEENSH_IJSG_SG_SG_EEES9_SI_JZNS1_25segmented_radix_sort_implINS0_14default_configELb1EPKhPhPKlPlN2at6native12_GLOBAL__N_18offset_tEEE10hipError_tPvRmT1_PNSt15iterator_traitsIS12_E10value_typeET2_T3_PNS13_IS18_E10value_typeET4_jRbjT5_S1E_jjP12ihipStream_tbEUljE_ZNSN_ISO_Lb1ESQ_SR_ST_SU_SY_EESZ_S10_S11_S12_S16_S17_S18_S1B_S1C_jS1D_jS1E_S1E_jjS1G_bEUljE0_EEESZ_S10_S11_S18_S1C_S1E_T6_T7_T9_mT8_S1G_bDpT10_ENKUlT_T0_E_clISt17integral_constantIbLb0EES1T_IbLb1EEEEDaS1P_S1Q_EUlS1P_E_NS1_11comp_targetILNS1_3genE3ELNS1_11target_archE908ELNS1_3gpuE7ELNS1_3repE0EEENS1_30default_config_static_selectorELNS0_4arch9wavefront6targetE0EEEvS12_: ; @_ZN7rocprim17ROCPRIM_400000_NS6detail17trampoline_kernelINS0_13select_configILj256ELj13ELNS0_17block_load_methodE3ELS4_3ELS4_3ELNS0_20block_scan_algorithmE0ELj4294967295EEENS1_25partition_config_selectorILNS1_17partition_subalgoE4EjNS0_10empty_typeEbEEZZNS1_14partition_implILS8_4ELb0ES6_15HIP_vector_typeIjLj2EENS0_17counting_iteratorIjlEEPS9_SG_NS0_5tupleIJPjSI_NS0_16reverse_iteratorISI_EEEEENSH_IJSG_SG_SG_EEES9_SI_JZNS1_25segmented_radix_sort_implINS0_14default_configELb1EPKhPhPKlPlN2at6native12_GLOBAL__N_18offset_tEEE10hipError_tPvRmT1_PNSt15iterator_traitsIS12_E10value_typeET2_T3_PNS13_IS18_E10value_typeET4_jRbjT5_S1E_jjP12ihipStream_tbEUljE_ZNSN_ISO_Lb1ESQ_SR_ST_SU_SY_EESZ_S10_S11_S12_S16_S17_S18_S1B_S1C_jS1D_jS1E_S1E_jjS1G_bEUljE0_EEESZ_S10_S11_S18_S1C_S1E_T6_T7_T9_mT8_S1G_bDpT10_ENKUlT_T0_E_clISt17integral_constantIbLb0EES1T_IbLb1EEEEDaS1P_S1Q_EUlS1P_E_NS1_11comp_targetILNS1_3genE3ELNS1_11target_archE908ELNS1_3gpuE7ELNS1_3repE0EEENS1_30default_config_static_selectorELNS0_4arch9wavefront6targetE0EEEvS12_
; %bb.0:
	.section	.rodata,"a",@progbits
	.p2align	6, 0x0
	.amdhsa_kernel _ZN7rocprim17ROCPRIM_400000_NS6detail17trampoline_kernelINS0_13select_configILj256ELj13ELNS0_17block_load_methodE3ELS4_3ELS4_3ELNS0_20block_scan_algorithmE0ELj4294967295EEENS1_25partition_config_selectorILNS1_17partition_subalgoE4EjNS0_10empty_typeEbEEZZNS1_14partition_implILS8_4ELb0ES6_15HIP_vector_typeIjLj2EENS0_17counting_iteratorIjlEEPS9_SG_NS0_5tupleIJPjSI_NS0_16reverse_iteratorISI_EEEEENSH_IJSG_SG_SG_EEES9_SI_JZNS1_25segmented_radix_sort_implINS0_14default_configELb1EPKhPhPKlPlN2at6native12_GLOBAL__N_18offset_tEEE10hipError_tPvRmT1_PNSt15iterator_traitsIS12_E10value_typeET2_T3_PNS13_IS18_E10value_typeET4_jRbjT5_S1E_jjP12ihipStream_tbEUljE_ZNSN_ISO_Lb1ESQ_SR_ST_SU_SY_EESZ_S10_S11_S12_S16_S17_S18_S1B_S1C_jS1D_jS1E_S1E_jjS1G_bEUljE0_EEESZ_S10_S11_S18_S1C_S1E_T6_T7_T9_mT8_S1G_bDpT10_ENKUlT_T0_E_clISt17integral_constantIbLb0EES1T_IbLb1EEEEDaS1P_S1Q_EUlS1P_E_NS1_11comp_targetILNS1_3genE3ELNS1_11target_archE908ELNS1_3gpuE7ELNS1_3repE0EEENS1_30default_config_static_selectorELNS0_4arch9wavefront6targetE0EEEvS12_
		.amdhsa_group_segment_fixed_size 0
		.amdhsa_private_segment_fixed_size 0
		.amdhsa_kernarg_size 184
		.amdhsa_user_sgpr_count 2
		.amdhsa_user_sgpr_dispatch_ptr 0
		.amdhsa_user_sgpr_queue_ptr 0
		.amdhsa_user_sgpr_kernarg_segment_ptr 1
		.amdhsa_user_sgpr_dispatch_id 0
		.amdhsa_user_sgpr_kernarg_preload_length 0
		.amdhsa_user_sgpr_kernarg_preload_offset 0
		.amdhsa_user_sgpr_private_segment_size 0
		.amdhsa_wavefront_size32 1
		.amdhsa_uses_dynamic_stack 0
		.amdhsa_enable_private_segment 0
		.amdhsa_system_sgpr_workgroup_id_x 1
		.amdhsa_system_sgpr_workgroup_id_y 0
		.amdhsa_system_sgpr_workgroup_id_z 0
		.amdhsa_system_sgpr_workgroup_info 0
		.amdhsa_system_vgpr_workitem_id 0
		.amdhsa_next_free_vgpr 1
		.amdhsa_next_free_sgpr 1
		.amdhsa_named_barrier_count 0
		.amdhsa_reserve_vcc 0
		.amdhsa_float_round_mode_32 0
		.amdhsa_float_round_mode_16_64 0
		.amdhsa_float_denorm_mode_32 3
		.amdhsa_float_denorm_mode_16_64 3
		.amdhsa_fp16_overflow 0
		.amdhsa_memory_ordered 1
		.amdhsa_forward_progress 1
		.amdhsa_inst_pref_size 0
		.amdhsa_round_robin_scheduling 0
		.amdhsa_exception_fp_ieee_invalid_op 0
		.amdhsa_exception_fp_denorm_src 0
		.amdhsa_exception_fp_ieee_div_zero 0
		.amdhsa_exception_fp_ieee_overflow 0
		.amdhsa_exception_fp_ieee_underflow 0
		.amdhsa_exception_fp_ieee_inexact 0
		.amdhsa_exception_int_div_zero 0
	.end_amdhsa_kernel
	.section	.text._ZN7rocprim17ROCPRIM_400000_NS6detail17trampoline_kernelINS0_13select_configILj256ELj13ELNS0_17block_load_methodE3ELS4_3ELS4_3ELNS0_20block_scan_algorithmE0ELj4294967295EEENS1_25partition_config_selectorILNS1_17partition_subalgoE4EjNS0_10empty_typeEbEEZZNS1_14partition_implILS8_4ELb0ES6_15HIP_vector_typeIjLj2EENS0_17counting_iteratorIjlEEPS9_SG_NS0_5tupleIJPjSI_NS0_16reverse_iteratorISI_EEEEENSH_IJSG_SG_SG_EEES9_SI_JZNS1_25segmented_radix_sort_implINS0_14default_configELb1EPKhPhPKlPlN2at6native12_GLOBAL__N_18offset_tEEE10hipError_tPvRmT1_PNSt15iterator_traitsIS12_E10value_typeET2_T3_PNS13_IS18_E10value_typeET4_jRbjT5_S1E_jjP12ihipStream_tbEUljE_ZNSN_ISO_Lb1ESQ_SR_ST_SU_SY_EESZ_S10_S11_S12_S16_S17_S18_S1B_S1C_jS1D_jS1E_S1E_jjS1G_bEUljE0_EEESZ_S10_S11_S18_S1C_S1E_T6_T7_T9_mT8_S1G_bDpT10_ENKUlT_T0_E_clISt17integral_constantIbLb0EES1T_IbLb1EEEEDaS1P_S1Q_EUlS1P_E_NS1_11comp_targetILNS1_3genE3ELNS1_11target_archE908ELNS1_3gpuE7ELNS1_3repE0EEENS1_30default_config_static_selectorELNS0_4arch9wavefront6targetE0EEEvS12_,"axG",@progbits,_ZN7rocprim17ROCPRIM_400000_NS6detail17trampoline_kernelINS0_13select_configILj256ELj13ELNS0_17block_load_methodE3ELS4_3ELS4_3ELNS0_20block_scan_algorithmE0ELj4294967295EEENS1_25partition_config_selectorILNS1_17partition_subalgoE4EjNS0_10empty_typeEbEEZZNS1_14partition_implILS8_4ELb0ES6_15HIP_vector_typeIjLj2EENS0_17counting_iteratorIjlEEPS9_SG_NS0_5tupleIJPjSI_NS0_16reverse_iteratorISI_EEEEENSH_IJSG_SG_SG_EEES9_SI_JZNS1_25segmented_radix_sort_implINS0_14default_configELb1EPKhPhPKlPlN2at6native12_GLOBAL__N_18offset_tEEE10hipError_tPvRmT1_PNSt15iterator_traitsIS12_E10value_typeET2_T3_PNS13_IS18_E10value_typeET4_jRbjT5_S1E_jjP12ihipStream_tbEUljE_ZNSN_ISO_Lb1ESQ_SR_ST_SU_SY_EESZ_S10_S11_S12_S16_S17_S18_S1B_S1C_jS1D_jS1E_S1E_jjS1G_bEUljE0_EEESZ_S10_S11_S18_S1C_S1E_T6_T7_T9_mT8_S1G_bDpT10_ENKUlT_T0_E_clISt17integral_constantIbLb0EES1T_IbLb1EEEEDaS1P_S1Q_EUlS1P_E_NS1_11comp_targetILNS1_3genE3ELNS1_11target_archE908ELNS1_3gpuE7ELNS1_3repE0EEENS1_30default_config_static_selectorELNS0_4arch9wavefront6targetE0EEEvS12_,comdat
.Lfunc_end42:
	.size	_ZN7rocprim17ROCPRIM_400000_NS6detail17trampoline_kernelINS0_13select_configILj256ELj13ELNS0_17block_load_methodE3ELS4_3ELS4_3ELNS0_20block_scan_algorithmE0ELj4294967295EEENS1_25partition_config_selectorILNS1_17partition_subalgoE4EjNS0_10empty_typeEbEEZZNS1_14partition_implILS8_4ELb0ES6_15HIP_vector_typeIjLj2EENS0_17counting_iteratorIjlEEPS9_SG_NS0_5tupleIJPjSI_NS0_16reverse_iteratorISI_EEEEENSH_IJSG_SG_SG_EEES9_SI_JZNS1_25segmented_radix_sort_implINS0_14default_configELb1EPKhPhPKlPlN2at6native12_GLOBAL__N_18offset_tEEE10hipError_tPvRmT1_PNSt15iterator_traitsIS12_E10value_typeET2_T3_PNS13_IS18_E10value_typeET4_jRbjT5_S1E_jjP12ihipStream_tbEUljE_ZNSN_ISO_Lb1ESQ_SR_ST_SU_SY_EESZ_S10_S11_S12_S16_S17_S18_S1B_S1C_jS1D_jS1E_S1E_jjS1G_bEUljE0_EEESZ_S10_S11_S18_S1C_S1E_T6_T7_T9_mT8_S1G_bDpT10_ENKUlT_T0_E_clISt17integral_constantIbLb0EES1T_IbLb1EEEEDaS1P_S1Q_EUlS1P_E_NS1_11comp_targetILNS1_3genE3ELNS1_11target_archE908ELNS1_3gpuE7ELNS1_3repE0EEENS1_30default_config_static_selectorELNS0_4arch9wavefront6targetE0EEEvS12_, .Lfunc_end42-_ZN7rocprim17ROCPRIM_400000_NS6detail17trampoline_kernelINS0_13select_configILj256ELj13ELNS0_17block_load_methodE3ELS4_3ELS4_3ELNS0_20block_scan_algorithmE0ELj4294967295EEENS1_25partition_config_selectorILNS1_17partition_subalgoE4EjNS0_10empty_typeEbEEZZNS1_14partition_implILS8_4ELb0ES6_15HIP_vector_typeIjLj2EENS0_17counting_iteratorIjlEEPS9_SG_NS0_5tupleIJPjSI_NS0_16reverse_iteratorISI_EEEEENSH_IJSG_SG_SG_EEES9_SI_JZNS1_25segmented_radix_sort_implINS0_14default_configELb1EPKhPhPKlPlN2at6native12_GLOBAL__N_18offset_tEEE10hipError_tPvRmT1_PNSt15iterator_traitsIS12_E10value_typeET2_T3_PNS13_IS18_E10value_typeET4_jRbjT5_S1E_jjP12ihipStream_tbEUljE_ZNSN_ISO_Lb1ESQ_SR_ST_SU_SY_EESZ_S10_S11_S12_S16_S17_S18_S1B_S1C_jS1D_jS1E_S1E_jjS1G_bEUljE0_EEESZ_S10_S11_S18_S1C_S1E_T6_T7_T9_mT8_S1G_bDpT10_ENKUlT_T0_E_clISt17integral_constantIbLb0EES1T_IbLb1EEEEDaS1P_S1Q_EUlS1P_E_NS1_11comp_targetILNS1_3genE3ELNS1_11target_archE908ELNS1_3gpuE7ELNS1_3repE0EEENS1_30default_config_static_selectorELNS0_4arch9wavefront6targetE0EEEvS12_
                                        ; -- End function
	.set _ZN7rocprim17ROCPRIM_400000_NS6detail17trampoline_kernelINS0_13select_configILj256ELj13ELNS0_17block_load_methodE3ELS4_3ELS4_3ELNS0_20block_scan_algorithmE0ELj4294967295EEENS1_25partition_config_selectorILNS1_17partition_subalgoE4EjNS0_10empty_typeEbEEZZNS1_14partition_implILS8_4ELb0ES6_15HIP_vector_typeIjLj2EENS0_17counting_iteratorIjlEEPS9_SG_NS0_5tupleIJPjSI_NS0_16reverse_iteratorISI_EEEEENSH_IJSG_SG_SG_EEES9_SI_JZNS1_25segmented_radix_sort_implINS0_14default_configELb1EPKhPhPKlPlN2at6native12_GLOBAL__N_18offset_tEEE10hipError_tPvRmT1_PNSt15iterator_traitsIS12_E10value_typeET2_T3_PNS13_IS18_E10value_typeET4_jRbjT5_S1E_jjP12ihipStream_tbEUljE_ZNSN_ISO_Lb1ESQ_SR_ST_SU_SY_EESZ_S10_S11_S12_S16_S17_S18_S1B_S1C_jS1D_jS1E_S1E_jjS1G_bEUljE0_EEESZ_S10_S11_S18_S1C_S1E_T6_T7_T9_mT8_S1G_bDpT10_ENKUlT_T0_E_clISt17integral_constantIbLb0EES1T_IbLb1EEEEDaS1P_S1Q_EUlS1P_E_NS1_11comp_targetILNS1_3genE3ELNS1_11target_archE908ELNS1_3gpuE7ELNS1_3repE0EEENS1_30default_config_static_selectorELNS0_4arch9wavefront6targetE0EEEvS12_.num_vgpr, 0
	.set _ZN7rocprim17ROCPRIM_400000_NS6detail17trampoline_kernelINS0_13select_configILj256ELj13ELNS0_17block_load_methodE3ELS4_3ELS4_3ELNS0_20block_scan_algorithmE0ELj4294967295EEENS1_25partition_config_selectorILNS1_17partition_subalgoE4EjNS0_10empty_typeEbEEZZNS1_14partition_implILS8_4ELb0ES6_15HIP_vector_typeIjLj2EENS0_17counting_iteratorIjlEEPS9_SG_NS0_5tupleIJPjSI_NS0_16reverse_iteratorISI_EEEEENSH_IJSG_SG_SG_EEES9_SI_JZNS1_25segmented_radix_sort_implINS0_14default_configELb1EPKhPhPKlPlN2at6native12_GLOBAL__N_18offset_tEEE10hipError_tPvRmT1_PNSt15iterator_traitsIS12_E10value_typeET2_T3_PNS13_IS18_E10value_typeET4_jRbjT5_S1E_jjP12ihipStream_tbEUljE_ZNSN_ISO_Lb1ESQ_SR_ST_SU_SY_EESZ_S10_S11_S12_S16_S17_S18_S1B_S1C_jS1D_jS1E_S1E_jjS1G_bEUljE0_EEESZ_S10_S11_S18_S1C_S1E_T6_T7_T9_mT8_S1G_bDpT10_ENKUlT_T0_E_clISt17integral_constantIbLb0EES1T_IbLb1EEEEDaS1P_S1Q_EUlS1P_E_NS1_11comp_targetILNS1_3genE3ELNS1_11target_archE908ELNS1_3gpuE7ELNS1_3repE0EEENS1_30default_config_static_selectorELNS0_4arch9wavefront6targetE0EEEvS12_.num_agpr, 0
	.set _ZN7rocprim17ROCPRIM_400000_NS6detail17trampoline_kernelINS0_13select_configILj256ELj13ELNS0_17block_load_methodE3ELS4_3ELS4_3ELNS0_20block_scan_algorithmE0ELj4294967295EEENS1_25partition_config_selectorILNS1_17partition_subalgoE4EjNS0_10empty_typeEbEEZZNS1_14partition_implILS8_4ELb0ES6_15HIP_vector_typeIjLj2EENS0_17counting_iteratorIjlEEPS9_SG_NS0_5tupleIJPjSI_NS0_16reverse_iteratorISI_EEEEENSH_IJSG_SG_SG_EEES9_SI_JZNS1_25segmented_radix_sort_implINS0_14default_configELb1EPKhPhPKlPlN2at6native12_GLOBAL__N_18offset_tEEE10hipError_tPvRmT1_PNSt15iterator_traitsIS12_E10value_typeET2_T3_PNS13_IS18_E10value_typeET4_jRbjT5_S1E_jjP12ihipStream_tbEUljE_ZNSN_ISO_Lb1ESQ_SR_ST_SU_SY_EESZ_S10_S11_S12_S16_S17_S18_S1B_S1C_jS1D_jS1E_S1E_jjS1G_bEUljE0_EEESZ_S10_S11_S18_S1C_S1E_T6_T7_T9_mT8_S1G_bDpT10_ENKUlT_T0_E_clISt17integral_constantIbLb0EES1T_IbLb1EEEEDaS1P_S1Q_EUlS1P_E_NS1_11comp_targetILNS1_3genE3ELNS1_11target_archE908ELNS1_3gpuE7ELNS1_3repE0EEENS1_30default_config_static_selectorELNS0_4arch9wavefront6targetE0EEEvS12_.numbered_sgpr, 0
	.set _ZN7rocprim17ROCPRIM_400000_NS6detail17trampoline_kernelINS0_13select_configILj256ELj13ELNS0_17block_load_methodE3ELS4_3ELS4_3ELNS0_20block_scan_algorithmE0ELj4294967295EEENS1_25partition_config_selectorILNS1_17partition_subalgoE4EjNS0_10empty_typeEbEEZZNS1_14partition_implILS8_4ELb0ES6_15HIP_vector_typeIjLj2EENS0_17counting_iteratorIjlEEPS9_SG_NS0_5tupleIJPjSI_NS0_16reverse_iteratorISI_EEEEENSH_IJSG_SG_SG_EEES9_SI_JZNS1_25segmented_radix_sort_implINS0_14default_configELb1EPKhPhPKlPlN2at6native12_GLOBAL__N_18offset_tEEE10hipError_tPvRmT1_PNSt15iterator_traitsIS12_E10value_typeET2_T3_PNS13_IS18_E10value_typeET4_jRbjT5_S1E_jjP12ihipStream_tbEUljE_ZNSN_ISO_Lb1ESQ_SR_ST_SU_SY_EESZ_S10_S11_S12_S16_S17_S18_S1B_S1C_jS1D_jS1E_S1E_jjS1G_bEUljE0_EEESZ_S10_S11_S18_S1C_S1E_T6_T7_T9_mT8_S1G_bDpT10_ENKUlT_T0_E_clISt17integral_constantIbLb0EES1T_IbLb1EEEEDaS1P_S1Q_EUlS1P_E_NS1_11comp_targetILNS1_3genE3ELNS1_11target_archE908ELNS1_3gpuE7ELNS1_3repE0EEENS1_30default_config_static_selectorELNS0_4arch9wavefront6targetE0EEEvS12_.num_named_barrier, 0
	.set _ZN7rocprim17ROCPRIM_400000_NS6detail17trampoline_kernelINS0_13select_configILj256ELj13ELNS0_17block_load_methodE3ELS4_3ELS4_3ELNS0_20block_scan_algorithmE0ELj4294967295EEENS1_25partition_config_selectorILNS1_17partition_subalgoE4EjNS0_10empty_typeEbEEZZNS1_14partition_implILS8_4ELb0ES6_15HIP_vector_typeIjLj2EENS0_17counting_iteratorIjlEEPS9_SG_NS0_5tupleIJPjSI_NS0_16reverse_iteratorISI_EEEEENSH_IJSG_SG_SG_EEES9_SI_JZNS1_25segmented_radix_sort_implINS0_14default_configELb1EPKhPhPKlPlN2at6native12_GLOBAL__N_18offset_tEEE10hipError_tPvRmT1_PNSt15iterator_traitsIS12_E10value_typeET2_T3_PNS13_IS18_E10value_typeET4_jRbjT5_S1E_jjP12ihipStream_tbEUljE_ZNSN_ISO_Lb1ESQ_SR_ST_SU_SY_EESZ_S10_S11_S12_S16_S17_S18_S1B_S1C_jS1D_jS1E_S1E_jjS1G_bEUljE0_EEESZ_S10_S11_S18_S1C_S1E_T6_T7_T9_mT8_S1G_bDpT10_ENKUlT_T0_E_clISt17integral_constantIbLb0EES1T_IbLb1EEEEDaS1P_S1Q_EUlS1P_E_NS1_11comp_targetILNS1_3genE3ELNS1_11target_archE908ELNS1_3gpuE7ELNS1_3repE0EEENS1_30default_config_static_selectorELNS0_4arch9wavefront6targetE0EEEvS12_.private_seg_size, 0
	.set _ZN7rocprim17ROCPRIM_400000_NS6detail17trampoline_kernelINS0_13select_configILj256ELj13ELNS0_17block_load_methodE3ELS4_3ELS4_3ELNS0_20block_scan_algorithmE0ELj4294967295EEENS1_25partition_config_selectorILNS1_17partition_subalgoE4EjNS0_10empty_typeEbEEZZNS1_14partition_implILS8_4ELb0ES6_15HIP_vector_typeIjLj2EENS0_17counting_iteratorIjlEEPS9_SG_NS0_5tupleIJPjSI_NS0_16reverse_iteratorISI_EEEEENSH_IJSG_SG_SG_EEES9_SI_JZNS1_25segmented_radix_sort_implINS0_14default_configELb1EPKhPhPKlPlN2at6native12_GLOBAL__N_18offset_tEEE10hipError_tPvRmT1_PNSt15iterator_traitsIS12_E10value_typeET2_T3_PNS13_IS18_E10value_typeET4_jRbjT5_S1E_jjP12ihipStream_tbEUljE_ZNSN_ISO_Lb1ESQ_SR_ST_SU_SY_EESZ_S10_S11_S12_S16_S17_S18_S1B_S1C_jS1D_jS1E_S1E_jjS1G_bEUljE0_EEESZ_S10_S11_S18_S1C_S1E_T6_T7_T9_mT8_S1G_bDpT10_ENKUlT_T0_E_clISt17integral_constantIbLb0EES1T_IbLb1EEEEDaS1P_S1Q_EUlS1P_E_NS1_11comp_targetILNS1_3genE3ELNS1_11target_archE908ELNS1_3gpuE7ELNS1_3repE0EEENS1_30default_config_static_selectorELNS0_4arch9wavefront6targetE0EEEvS12_.uses_vcc, 0
	.set _ZN7rocprim17ROCPRIM_400000_NS6detail17trampoline_kernelINS0_13select_configILj256ELj13ELNS0_17block_load_methodE3ELS4_3ELS4_3ELNS0_20block_scan_algorithmE0ELj4294967295EEENS1_25partition_config_selectorILNS1_17partition_subalgoE4EjNS0_10empty_typeEbEEZZNS1_14partition_implILS8_4ELb0ES6_15HIP_vector_typeIjLj2EENS0_17counting_iteratorIjlEEPS9_SG_NS0_5tupleIJPjSI_NS0_16reverse_iteratorISI_EEEEENSH_IJSG_SG_SG_EEES9_SI_JZNS1_25segmented_radix_sort_implINS0_14default_configELb1EPKhPhPKlPlN2at6native12_GLOBAL__N_18offset_tEEE10hipError_tPvRmT1_PNSt15iterator_traitsIS12_E10value_typeET2_T3_PNS13_IS18_E10value_typeET4_jRbjT5_S1E_jjP12ihipStream_tbEUljE_ZNSN_ISO_Lb1ESQ_SR_ST_SU_SY_EESZ_S10_S11_S12_S16_S17_S18_S1B_S1C_jS1D_jS1E_S1E_jjS1G_bEUljE0_EEESZ_S10_S11_S18_S1C_S1E_T6_T7_T9_mT8_S1G_bDpT10_ENKUlT_T0_E_clISt17integral_constantIbLb0EES1T_IbLb1EEEEDaS1P_S1Q_EUlS1P_E_NS1_11comp_targetILNS1_3genE3ELNS1_11target_archE908ELNS1_3gpuE7ELNS1_3repE0EEENS1_30default_config_static_selectorELNS0_4arch9wavefront6targetE0EEEvS12_.uses_flat_scratch, 0
	.set _ZN7rocprim17ROCPRIM_400000_NS6detail17trampoline_kernelINS0_13select_configILj256ELj13ELNS0_17block_load_methodE3ELS4_3ELS4_3ELNS0_20block_scan_algorithmE0ELj4294967295EEENS1_25partition_config_selectorILNS1_17partition_subalgoE4EjNS0_10empty_typeEbEEZZNS1_14partition_implILS8_4ELb0ES6_15HIP_vector_typeIjLj2EENS0_17counting_iteratorIjlEEPS9_SG_NS0_5tupleIJPjSI_NS0_16reverse_iteratorISI_EEEEENSH_IJSG_SG_SG_EEES9_SI_JZNS1_25segmented_radix_sort_implINS0_14default_configELb1EPKhPhPKlPlN2at6native12_GLOBAL__N_18offset_tEEE10hipError_tPvRmT1_PNSt15iterator_traitsIS12_E10value_typeET2_T3_PNS13_IS18_E10value_typeET4_jRbjT5_S1E_jjP12ihipStream_tbEUljE_ZNSN_ISO_Lb1ESQ_SR_ST_SU_SY_EESZ_S10_S11_S12_S16_S17_S18_S1B_S1C_jS1D_jS1E_S1E_jjS1G_bEUljE0_EEESZ_S10_S11_S18_S1C_S1E_T6_T7_T9_mT8_S1G_bDpT10_ENKUlT_T0_E_clISt17integral_constantIbLb0EES1T_IbLb1EEEEDaS1P_S1Q_EUlS1P_E_NS1_11comp_targetILNS1_3genE3ELNS1_11target_archE908ELNS1_3gpuE7ELNS1_3repE0EEENS1_30default_config_static_selectorELNS0_4arch9wavefront6targetE0EEEvS12_.has_dyn_sized_stack, 0
	.set _ZN7rocprim17ROCPRIM_400000_NS6detail17trampoline_kernelINS0_13select_configILj256ELj13ELNS0_17block_load_methodE3ELS4_3ELS4_3ELNS0_20block_scan_algorithmE0ELj4294967295EEENS1_25partition_config_selectorILNS1_17partition_subalgoE4EjNS0_10empty_typeEbEEZZNS1_14partition_implILS8_4ELb0ES6_15HIP_vector_typeIjLj2EENS0_17counting_iteratorIjlEEPS9_SG_NS0_5tupleIJPjSI_NS0_16reverse_iteratorISI_EEEEENSH_IJSG_SG_SG_EEES9_SI_JZNS1_25segmented_radix_sort_implINS0_14default_configELb1EPKhPhPKlPlN2at6native12_GLOBAL__N_18offset_tEEE10hipError_tPvRmT1_PNSt15iterator_traitsIS12_E10value_typeET2_T3_PNS13_IS18_E10value_typeET4_jRbjT5_S1E_jjP12ihipStream_tbEUljE_ZNSN_ISO_Lb1ESQ_SR_ST_SU_SY_EESZ_S10_S11_S12_S16_S17_S18_S1B_S1C_jS1D_jS1E_S1E_jjS1G_bEUljE0_EEESZ_S10_S11_S18_S1C_S1E_T6_T7_T9_mT8_S1G_bDpT10_ENKUlT_T0_E_clISt17integral_constantIbLb0EES1T_IbLb1EEEEDaS1P_S1Q_EUlS1P_E_NS1_11comp_targetILNS1_3genE3ELNS1_11target_archE908ELNS1_3gpuE7ELNS1_3repE0EEENS1_30default_config_static_selectorELNS0_4arch9wavefront6targetE0EEEvS12_.has_recursion, 0
	.set _ZN7rocprim17ROCPRIM_400000_NS6detail17trampoline_kernelINS0_13select_configILj256ELj13ELNS0_17block_load_methodE3ELS4_3ELS4_3ELNS0_20block_scan_algorithmE0ELj4294967295EEENS1_25partition_config_selectorILNS1_17partition_subalgoE4EjNS0_10empty_typeEbEEZZNS1_14partition_implILS8_4ELb0ES6_15HIP_vector_typeIjLj2EENS0_17counting_iteratorIjlEEPS9_SG_NS0_5tupleIJPjSI_NS0_16reverse_iteratorISI_EEEEENSH_IJSG_SG_SG_EEES9_SI_JZNS1_25segmented_radix_sort_implINS0_14default_configELb1EPKhPhPKlPlN2at6native12_GLOBAL__N_18offset_tEEE10hipError_tPvRmT1_PNSt15iterator_traitsIS12_E10value_typeET2_T3_PNS13_IS18_E10value_typeET4_jRbjT5_S1E_jjP12ihipStream_tbEUljE_ZNSN_ISO_Lb1ESQ_SR_ST_SU_SY_EESZ_S10_S11_S12_S16_S17_S18_S1B_S1C_jS1D_jS1E_S1E_jjS1G_bEUljE0_EEESZ_S10_S11_S18_S1C_S1E_T6_T7_T9_mT8_S1G_bDpT10_ENKUlT_T0_E_clISt17integral_constantIbLb0EES1T_IbLb1EEEEDaS1P_S1Q_EUlS1P_E_NS1_11comp_targetILNS1_3genE3ELNS1_11target_archE908ELNS1_3gpuE7ELNS1_3repE0EEENS1_30default_config_static_selectorELNS0_4arch9wavefront6targetE0EEEvS12_.has_indirect_call, 0
	.section	.AMDGPU.csdata,"",@progbits
; Kernel info:
; codeLenInByte = 0
; TotalNumSgprs: 0
; NumVgprs: 0
; ScratchSize: 0
; MemoryBound: 0
; FloatMode: 240
; IeeeMode: 1
; LDSByteSize: 0 bytes/workgroup (compile time only)
; SGPRBlocks: 0
; VGPRBlocks: 0
; NumSGPRsForWavesPerEU: 1
; NumVGPRsForWavesPerEU: 1
; NamedBarCnt: 0
; Occupancy: 16
; WaveLimiterHint : 0
; COMPUTE_PGM_RSRC2:SCRATCH_EN: 0
; COMPUTE_PGM_RSRC2:USER_SGPR: 2
; COMPUTE_PGM_RSRC2:TRAP_HANDLER: 0
; COMPUTE_PGM_RSRC2:TGID_X_EN: 1
; COMPUTE_PGM_RSRC2:TGID_Y_EN: 0
; COMPUTE_PGM_RSRC2:TGID_Z_EN: 0
; COMPUTE_PGM_RSRC2:TIDIG_COMP_CNT: 0
	.section	.text._ZN7rocprim17ROCPRIM_400000_NS6detail17trampoline_kernelINS0_13select_configILj256ELj13ELNS0_17block_load_methodE3ELS4_3ELS4_3ELNS0_20block_scan_algorithmE0ELj4294967295EEENS1_25partition_config_selectorILNS1_17partition_subalgoE4EjNS0_10empty_typeEbEEZZNS1_14partition_implILS8_4ELb0ES6_15HIP_vector_typeIjLj2EENS0_17counting_iteratorIjlEEPS9_SG_NS0_5tupleIJPjSI_NS0_16reverse_iteratorISI_EEEEENSH_IJSG_SG_SG_EEES9_SI_JZNS1_25segmented_radix_sort_implINS0_14default_configELb1EPKhPhPKlPlN2at6native12_GLOBAL__N_18offset_tEEE10hipError_tPvRmT1_PNSt15iterator_traitsIS12_E10value_typeET2_T3_PNS13_IS18_E10value_typeET4_jRbjT5_S1E_jjP12ihipStream_tbEUljE_ZNSN_ISO_Lb1ESQ_SR_ST_SU_SY_EESZ_S10_S11_S12_S16_S17_S18_S1B_S1C_jS1D_jS1E_S1E_jjS1G_bEUljE0_EEESZ_S10_S11_S18_S1C_S1E_T6_T7_T9_mT8_S1G_bDpT10_ENKUlT_T0_E_clISt17integral_constantIbLb0EES1T_IbLb1EEEEDaS1P_S1Q_EUlS1P_E_NS1_11comp_targetILNS1_3genE2ELNS1_11target_archE906ELNS1_3gpuE6ELNS1_3repE0EEENS1_30default_config_static_selectorELNS0_4arch9wavefront6targetE0EEEvS12_,"axG",@progbits,_ZN7rocprim17ROCPRIM_400000_NS6detail17trampoline_kernelINS0_13select_configILj256ELj13ELNS0_17block_load_methodE3ELS4_3ELS4_3ELNS0_20block_scan_algorithmE0ELj4294967295EEENS1_25partition_config_selectorILNS1_17partition_subalgoE4EjNS0_10empty_typeEbEEZZNS1_14partition_implILS8_4ELb0ES6_15HIP_vector_typeIjLj2EENS0_17counting_iteratorIjlEEPS9_SG_NS0_5tupleIJPjSI_NS0_16reverse_iteratorISI_EEEEENSH_IJSG_SG_SG_EEES9_SI_JZNS1_25segmented_radix_sort_implINS0_14default_configELb1EPKhPhPKlPlN2at6native12_GLOBAL__N_18offset_tEEE10hipError_tPvRmT1_PNSt15iterator_traitsIS12_E10value_typeET2_T3_PNS13_IS18_E10value_typeET4_jRbjT5_S1E_jjP12ihipStream_tbEUljE_ZNSN_ISO_Lb1ESQ_SR_ST_SU_SY_EESZ_S10_S11_S12_S16_S17_S18_S1B_S1C_jS1D_jS1E_S1E_jjS1G_bEUljE0_EEESZ_S10_S11_S18_S1C_S1E_T6_T7_T9_mT8_S1G_bDpT10_ENKUlT_T0_E_clISt17integral_constantIbLb0EES1T_IbLb1EEEEDaS1P_S1Q_EUlS1P_E_NS1_11comp_targetILNS1_3genE2ELNS1_11target_archE906ELNS1_3gpuE6ELNS1_3repE0EEENS1_30default_config_static_selectorELNS0_4arch9wavefront6targetE0EEEvS12_,comdat
	.globl	_ZN7rocprim17ROCPRIM_400000_NS6detail17trampoline_kernelINS0_13select_configILj256ELj13ELNS0_17block_load_methodE3ELS4_3ELS4_3ELNS0_20block_scan_algorithmE0ELj4294967295EEENS1_25partition_config_selectorILNS1_17partition_subalgoE4EjNS0_10empty_typeEbEEZZNS1_14partition_implILS8_4ELb0ES6_15HIP_vector_typeIjLj2EENS0_17counting_iteratorIjlEEPS9_SG_NS0_5tupleIJPjSI_NS0_16reverse_iteratorISI_EEEEENSH_IJSG_SG_SG_EEES9_SI_JZNS1_25segmented_radix_sort_implINS0_14default_configELb1EPKhPhPKlPlN2at6native12_GLOBAL__N_18offset_tEEE10hipError_tPvRmT1_PNSt15iterator_traitsIS12_E10value_typeET2_T3_PNS13_IS18_E10value_typeET4_jRbjT5_S1E_jjP12ihipStream_tbEUljE_ZNSN_ISO_Lb1ESQ_SR_ST_SU_SY_EESZ_S10_S11_S12_S16_S17_S18_S1B_S1C_jS1D_jS1E_S1E_jjS1G_bEUljE0_EEESZ_S10_S11_S18_S1C_S1E_T6_T7_T9_mT8_S1G_bDpT10_ENKUlT_T0_E_clISt17integral_constantIbLb0EES1T_IbLb1EEEEDaS1P_S1Q_EUlS1P_E_NS1_11comp_targetILNS1_3genE2ELNS1_11target_archE906ELNS1_3gpuE6ELNS1_3repE0EEENS1_30default_config_static_selectorELNS0_4arch9wavefront6targetE0EEEvS12_ ; -- Begin function _ZN7rocprim17ROCPRIM_400000_NS6detail17trampoline_kernelINS0_13select_configILj256ELj13ELNS0_17block_load_methodE3ELS4_3ELS4_3ELNS0_20block_scan_algorithmE0ELj4294967295EEENS1_25partition_config_selectorILNS1_17partition_subalgoE4EjNS0_10empty_typeEbEEZZNS1_14partition_implILS8_4ELb0ES6_15HIP_vector_typeIjLj2EENS0_17counting_iteratorIjlEEPS9_SG_NS0_5tupleIJPjSI_NS0_16reverse_iteratorISI_EEEEENSH_IJSG_SG_SG_EEES9_SI_JZNS1_25segmented_radix_sort_implINS0_14default_configELb1EPKhPhPKlPlN2at6native12_GLOBAL__N_18offset_tEEE10hipError_tPvRmT1_PNSt15iterator_traitsIS12_E10value_typeET2_T3_PNS13_IS18_E10value_typeET4_jRbjT5_S1E_jjP12ihipStream_tbEUljE_ZNSN_ISO_Lb1ESQ_SR_ST_SU_SY_EESZ_S10_S11_S12_S16_S17_S18_S1B_S1C_jS1D_jS1E_S1E_jjS1G_bEUljE0_EEESZ_S10_S11_S18_S1C_S1E_T6_T7_T9_mT8_S1G_bDpT10_ENKUlT_T0_E_clISt17integral_constantIbLb0EES1T_IbLb1EEEEDaS1P_S1Q_EUlS1P_E_NS1_11comp_targetILNS1_3genE2ELNS1_11target_archE906ELNS1_3gpuE6ELNS1_3repE0EEENS1_30default_config_static_selectorELNS0_4arch9wavefront6targetE0EEEvS12_
	.p2align	8
	.type	_ZN7rocprim17ROCPRIM_400000_NS6detail17trampoline_kernelINS0_13select_configILj256ELj13ELNS0_17block_load_methodE3ELS4_3ELS4_3ELNS0_20block_scan_algorithmE0ELj4294967295EEENS1_25partition_config_selectorILNS1_17partition_subalgoE4EjNS0_10empty_typeEbEEZZNS1_14partition_implILS8_4ELb0ES6_15HIP_vector_typeIjLj2EENS0_17counting_iteratorIjlEEPS9_SG_NS0_5tupleIJPjSI_NS0_16reverse_iteratorISI_EEEEENSH_IJSG_SG_SG_EEES9_SI_JZNS1_25segmented_radix_sort_implINS0_14default_configELb1EPKhPhPKlPlN2at6native12_GLOBAL__N_18offset_tEEE10hipError_tPvRmT1_PNSt15iterator_traitsIS12_E10value_typeET2_T3_PNS13_IS18_E10value_typeET4_jRbjT5_S1E_jjP12ihipStream_tbEUljE_ZNSN_ISO_Lb1ESQ_SR_ST_SU_SY_EESZ_S10_S11_S12_S16_S17_S18_S1B_S1C_jS1D_jS1E_S1E_jjS1G_bEUljE0_EEESZ_S10_S11_S18_S1C_S1E_T6_T7_T9_mT8_S1G_bDpT10_ENKUlT_T0_E_clISt17integral_constantIbLb0EES1T_IbLb1EEEEDaS1P_S1Q_EUlS1P_E_NS1_11comp_targetILNS1_3genE2ELNS1_11target_archE906ELNS1_3gpuE6ELNS1_3repE0EEENS1_30default_config_static_selectorELNS0_4arch9wavefront6targetE0EEEvS12_,@function
_ZN7rocprim17ROCPRIM_400000_NS6detail17trampoline_kernelINS0_13select_configILj256ELj13ELNS0_17block_load_methodE3ELS4_3ELS4_3ELNS0_20block_scan_algorithmE0ELj4294967295EEENS1_25partition_config_selectorILNS1_17partition_subalgoE4EjNS0_10empty_typeEbEEZZNS1_14partition_implILS8_4ELb0ES6_15HIP_vector_typeIjLj2EENS0_17counting_iteratorIjlEEPS9_SG_NS0_5tupleIJPjSI_NS0_16reverse_iteratorISI_EEEEENSH_IJSG_SG_SG_EEES9_SI_JZNS1_25segmented_radix_sort_implINS0_14default_configELb1EPKhPhPKlPlN2at6native12_GLOBAL__N_18offset_tEEE10hipError_tPvRmT1_PNSt15iterator_traitsIS12_E10value_typeET2_T3_PNS13_IS18_E10value_typeET4_jRbjT5_S1E_jjP12ihipStream_tbEUljE_ZNSN_ISO_Lb1ESQ_SR_ST_SU_SY_EESZ_S10_S11_S12_S16_S17_S18_S1B_S1C_jS1D_jS1E_S1E_jjS1G_bEUljE0_EEESZ_S10_S11_S18_S1C_S1E_T6_T7_T9_mT8_S1G_bDpT10_ENKUlT_T0_E_clISt17integral_constantIbLb0EES1T_IbLb1EEEEDaS1P_S1Q_EUlS1P_E_NS1_11comp_targetILNS1_3genE2ELNS1_11target_archE906ELNS1_3gpuE6ELNS1_3repE0EEENS1_30default_config_static_selectorELNS0_4arch9wavefront6targetE0EEEvS12_: ; @_ZN7rocprim17ROCPRIM_400000_NS6detail17trampoline_kernelINS0_13select_configILj256ELj13ELNS0_17block_load_methodE3ELS4_3ELS4_3ELNS0_20block_scan_algorithmE0ELj4294967295EEENS1_25partition_config_selectorILNS1_17partition_subalgoE4EjNS0_10empty_typeEbEEZZNS1_14partition_implILS8_4ELb0ES6_15HIP_vector_typeIjLj2EENS0_17counting_iteratorIjlEEPS9_SG_NS0_5tupleIJPjSI_NS0_16reverse_iteratorISI_EEEEENSH_IJSG_SG_SG_EEES9_SI_JZNS1_25segmented_radix_sort_implINS0_14default_configELb1EPKhPhPKlPlN2at6native12_GLOBAL__N_18offset_tEEE10hipError_tPvRmT1_PNSt15iterator_traitsIS12_E10value_typeET2_T3_PNS13_IS18_E10value_typeET4_jRbjT5_S1E_jjP12ihipStream_tbEUljE_ZNSN_ISO_Lb1ESQ_SR_ST_SU_SY_EESZ_S10_S11_S12_S16_S17_S18_S1B_S1C_jS1D_jS1E_S1E_jjS1G_bEUljE0_EEESZ_S10_S11_S18_S1C_S1E_T6_T7_T9_mT8_S1G_bDpT10_ENKUlT_T0_E_clISt17integral_constantIbLb0EES1T_IbLb1EEEEDaS1P_S1Q_EUlS1P_E_NS1_11comp_targetILNS1_3genE2ELNS1_11target_archE906ELNS1_3gpuE6ELNS1_3repE0EEENS1_30default_config_static_selectorELNS0_4arch9wavefront6targetE0EEEvS12_
; %bb.0:
	.section	.rodata,"a",@progbits
	.p2align	6, 0x0
	.amdhsa_kernel _ZN7rocprim17ROCPRIM_400000_NS6detail17trampoline_kernelINS0_13select_configILj256ELj13ELNS0_17block_load_methodE3ELS4_3ELS4_3ELNS0_20block_scan_algorithmE0ELj4294967295EEENS1_25partition_config_selectorILNS1_17partition_subalgoE4EjNS0_10empty_typeEbEEZZNS1_14partition_implILS8_4ELb0ES6_15HIP_vector_typeIjLj2EENS0_17counting_iteratorIjlEEPS9_SG_NS0_5tupleIJPjSI_NS0_16reverse_iteratorISI_EEEEENSH_IJSG_SG_SG_EEES9_SI_JZNS1_25segmented_radix_sort_implINS0_14default_configELb1EPKhPhPKlPlN2at6native12_GLOBAL__N_18offset_tEEE10hipError_tPvRmT1_PNSt15iterator_traitsIS12_E10value_typeET2_T3_PNS13_IS18_E10value_typeET4_jRbjT5_S1E_jjP12ihipStream_tbEUljE_ZNSN_ISO_Lb1ESQ_SR_ST_SU_SY_EESZ_S10_S11_S12_S16_S17_S18_S1B_S1C_jS1D_jS1E_S1E_jjS1G_bEUljE0_EEESZ_S10_S11_S18_S1C_S1E_T6_T7_T9_mT8_S1G_bDpT10_ENKUlT_T0_E_clISt17integral_constantIbLb0EES1T_IbLb1EEEEDaS1P_S1Q_EUlS1P_E_NS1_11comp_targetILNS1_3genE2ELNS1_11target_archE906ELNS1_3gpuE6ELNS1_3repE0EEENS1_30default_config_static_selectorELNS0_4arch9wavefront6targetE0EEEvS12_
		.amdhsa_group_segment_fixed_size 0
		.amdhsa_private_segment_fixed_size 0
		.amdhsa_kernarg_size 184
		.amdhsa_user_sgpr_count 2
		.amdhsa_user_sgpr_dispatch_ptr 0
		.amdhsa_user_sgpr_queue_ptr 0
		.amdhsa_user_sgpr_kernarg_segment_ptr 1
		.amdhsa_user_sgpr_dispatch_id 0
		.amdhsa_user_sgpr_kernarg_preload_length 0
		.amdhsa_user_sgpr_kernarg_preload_offset 0
		.amdhsa_user_sgpr_private_segment_size 0
		.amdhsa_wavefront_size32 1
		.amdhsa_uses_dynamic_stack 0
		.amdhsa_enable_private_segment 0
		.amdhsa_system_sgpr_workgroup_id_x 1
		.amdhsa_system_sgpr_workgroup_id_y 0
		.amdhsa_system_sgpr_workgroup_id_z 0
		.amdhsa_system_sgpr_workgroup_info 0
		.amdhsa_system_vgpr_workitem_id 0
		.amdhsa_next_free_vgpr 1
		.amdhsa_next_free_sgpr 1
		.amdhsa_named_barrier_count 0
		.amdhsa_reserve_vcc 0
		.amdhsa_float_round_mode_32 0
		.amdhsa_float_round_mode_16_64 0
		.amdhsa_float_denorm_mode_32 3
		.amdhsa_float_denorm_mode_16_64 3
		.amdhsa_fp16_overflow 0
		.amdhsa_memory_ordered 1
		.amdhsa_forward_progress 1
		.amdhsa_inst_pref_size 0
		.amdhsa_round_robin_scheduling 0
		.amdhsa_exception_fp_ieee_invalid_op 0
		.amdhsa_exception_fp_denorm_src 0
		.amdhsa_exception_fp_ieee_div_zero 0
		.amdhsa_exception_fp_ieee_overflow 0
		.amdhsa_exception_fp_ieee_underflow 0
		.amdhsa_exception_fp_ieee_inexact 0
		.amdhsa_exception_int_div_zero 0
	.end_amdhsa_kernel
	.section	.text._ZN7rocprim17ROCPRIM_400000_NS6detail17trampoline_kernelINS0_13select_configILj256ELj13ELNS0_17block_load_methodE3ELS4_3ELS4_3ELNS0_20block_scan_algorithmE0ELj4294967295EEENS1_25partition_config_selectorILNS1_17partition_subalgoE4EjNS0_10empty_typeEbEEZZNS1_14partition_implILS8_4ELb0ES6_15HIP_vector_typeIjLj2EENS0_17counting_iteratorIjlEEPS9_SG_NS0_5tupleIJPjSI_NS0_16reverse_iteratorISI_EEEEENSH_IJSG_SG_SG_EEES9_SI_JZNS1_25segmented_radix_sort_implINS0_14default_configELb1EPKhPhPKlPlN2at6native12_GLOBAL__N_18offset_tEEE10hipError_tPvRmT1_PNSt15iterator_traitsIS12_E10value_typeET2_T3_PNS13_IS18_E10value_typeET4_jRbjT5_S1E_jjP12ihipStream_tbEUljE_ZNSN_ISO_Lb1ESQ_SR_ST_SU_SY_EESZ_S10_S11_S12_S16_S17_S18_S1B_S1C_jS1D_jS1E_S1E_jjS1G_bEUljE0_EEESZ_S10_S11_S18_S1C_S1E_T6_T7_T9_mT8_S1G_bDpT10_ENKUlT_T0_E_clISt17integral_constantIbLb0EES1T_IbLb1EEEEDaS1P_S1Q_EUlS1P_E_NS1_11comp_targetILNS1_3genE2ELNS1_11target_archE906ELNS1_3gpuE6ELNS1_3repE0EEENS1_30default_config_static_selectorELNS0_4arch9wavefront6targetE0EEEvS12_,"axG",@progbits,_ZN7rocprim17ROCPRIM_400000_NS6detail17trampoline_kernelINS0_13select_configILj256ELj13ELNS0_17block_load_methodE3ELS4_3ELS4_3ELNS0_20block_scan_algorithmE0ELj4294967295EEENS1_25partition_config_selectorILNS1_17partition_subalgoE4EjNS0_10empty_typeEbEEZZNS1_14partition_implILS8_4ELb0ES6_15HIP_vector_typeIjLj2EENS0_17counting_iteratorIjlEEPS9_SG_NS0_5tupleIJPjSI_NS0_16reverse_iteratorISI_EEEEENSH_IJSG_SG_SG_EEES9_SI_JZNS1_25segmented_radix_sort_implINS0_14default_configELb1EPKhPhPKlPlN2at6native12_GLOBAL__N_18offset_tEEE10hipError_tPvRmT1_PNSt15iterator_traitsIS12_E10value_typeET2_T3_PNS13_IS18_E10value_typeET4_jRbjT5_S1E_jjP12ihipStream_tbEUljE_ZNSN_ISO_Lb1ESQ_SR_ST_SU_SY_EESZ_S10_S11_S12_S16_S17_S18_S1B_S1C_jS1D_jS1E_S1E_jjS1G_bEUljE0_EEESZ_S10_S11_S18_S1C_S1E_T6_T7_T9_mT8_S1G_bDpT10_ENKUlT_T0_E_clISt17integral_constantIbLb0EES1T_IbLb1EEEEDaS1P_S1Q_EUlS1P_E_NS1_11comp_targetILNS1_3genE2ELNS1_11target_archE906ELNS1_3gpuE6ELNS1_3repE0EEENS1_30default_config_static_selectorELNS0_4arch9wavefront6targetE0EEEvS12_,comdat
.Lfunc_end43:
	.size	_ZN7rocprim17ROCPRIM_400000_NS6detail17trampoline_kernelINS0_13select_configILj256ELj13ELNS0_17block_load_methodE3ELS4_3ELS4_3ELNS0_20block_scan_algorithmE0ELj4294967295EEENS1_25partition_config_selectorILNS1_17partition_subalgoE4EjNS0_10empty_typeEbEEZZNS1_14partition_implILS8_4ELb0ES6_15HIP_vector_typeIjLj2EENS0_17counting_iteratorIjlEEPS9_SG_NS0_5tupleIJPjSI_NS0_16reverse_iteratorISI_EEEEENSH_IJSG_SG_SG_EEES9_SI_JZNS1_25segmented_radix_sort_implINS0_14default_configELb1EPKhPhPKlPlN2at6native12_GLOBAL__N_18offset_tEEE10hipError_tPvRmT1_PNSt15iterator_traitsIS12_E10value_typeET2_T3_PNS13_IS18_E10value_typeET4_jRbjT5_S1E_jjP12ihipStream_tbEUljE_ZNSN_ISO_Lb1ESQ_SR_ST_SU_SY_EESZ_S10_S11_S12_S16_S17_S18_S1B_S1C_jS1D_jS1E_S1E_jjS1G_bEUljE0_EEESZ_S10_S11_S18_S1C_S1E_T6_T7_T9_mT8_S1G_bDpT10_ENKUlT_T0_E_clISt17integral_constantIbLb0EES1T_IbLb1EEEEDaS1P_S1Q_EUlS1P_E_NS1_11comp_targetILNS1_3genE2ELNS1_11target_archE906ELNS1_3gpuE6ELNS1_3repE0EEENS1_30default_config_static_selectorELNS0_4arch9wavefront6targetE0EEEvS12_, .Lfunc_end43-_ZN7rocprim17ROCPRIM_400000_NS6detail17trampoline_kernelINS0_13select_configILj256ELj13ELNS0_17block_load_methodE3ELS4_3ELS4_3ELNS0_20block_scan_algorithmE0ELj4294967295EEENS1_25partition_config_selectorILNS1_17partition_subalgoE4EjNS0_10empty_typeEbEEZZNS1_14partition_implILS8_4ELb0ES6_15HIP_vector_typeIjLj2EENS0_17counting_iteratorIjlEEPS9_SG_NS0_5tupleIJPjSI_NS0_16reverse_iteratorISI_EEEEENSH_IJSG_SG_SG_EEES9_SI_JZNS1_25segmented_radix_sort_implINS0_14default_configELb1EPKhPhPKlPlN2at6native12_GLOBAL__N_18offset_tEEE10hipError_tPvRmT1_PNSt15iterator_traitsIS12_E10value_typeET2_T3_PNS13_IS18_E10value_typeET4_jRbjT5_S1E_jjP12ihipStream_tbEUljE_ZNSN_ISO_Lb1ESQ_SR_ST_SU_SY_EESZ_S10_S11_S12_S16_S17_S18_S1B_S1C_jS1D_jS1E_S1E_jjS1G_bEUljE0_EEESZ_S10_S11_S18_S1C_S1E_T6_T7_T9_mT8_S1G_bDpT10_ENKUlT_T0_E_clISt17integral_constantIbLb0EES1T_IbLb1EEEEDaS1P_S1Q_EUlS1P_E_NS1_11comp_targetILNS1_3genE2ELNS1_11target_archE906ELNS1_3gpuE6ELNS1_3repE0EEENS1_30default_config_static_selectorELNS0_4arch9wavefront6targetE0EEEvS12_
                                        ; -- End function
	.set _ZN7rocprim17ROCPRIM_400000_NS6detail17trampoline_kernelINS0_13select_configILj256ELj13ELNS0_17block_load_methodE3ELS4_3ELS4_3ELNS0_20block_scan_algorithmE0ELj4294967295EEENS1_25partition_config_selectorILNS1_17partition_subalgoE4EjNS0_10empty_typeEbEEZZNS1_14partition_implILS8_4ELb0ES6_15HIP_vector_typeIjLj2EENS0_17counting_iteratorIjlEEPS9_SG_NS0_5tupleIJPjSI_NS0_16reverse_iteratorISI_EEEEENSH_IJSG_SG_SG_EEES9_SI_JZNS1_25segmented_radix_sort_implINS0_14default_configELb1EPKhPhPKlPlN2at6native12_GLOBAL__N_18offset_tEEE10hipError_tPvRmT1_PNSt15iterator_traitsIS12_E10value_typeET2_T3_PNS13_IS18_E10value_typeET4_jRbjT5_S1E_jjP12ihipStream_tbEUljE_ZNSN_ISO_Lb1ESQ_SR_ST_SU_SY_EESZ_S10_S11_S12_S16_S17_S18_S1B_S1C_jS1D_jS1E_S1E_jjS1G_bEUljE0_EEESZ_S10_S11_S18_S1C_S1E_T6_T7_T9_mT8_S1G_bDpT10_ENKUlT_T0_E_clISt17integral_constantIbLb0EES1T_IbLb1EEEEDaS1P_S1Q_EUlS1P_E_NS1_11comp_targetILNS1_3genE2ELNS1_11target_archE906ELNS1_3gpuE6ELNS1_3repE0EEENS1_30default_config_static_selectorELNS0_4arch9wavefront6targetE0EEEvS12_.num_vgpr, 0
	.set _ZN7rocprim17ROCPRIM_400000_NS6detail17trampoline_kernelINS0_13select_configILj256ELj13ELNS0_17block_load_methodE3ELS4_3ELS4_3ELNS0_20block_scan_algorithmE0ELj4294967295EEENS1_25partition_config_selectorILNS1_17partition_subalgoE4EjNS0_10empty_typeEbEEZZNS1_14partition_implILS8_4ELb0ES6_15HIP_vector_typeIjLj2EENS0_17counting_iteratorIjlEEPS9_SG_NS0_5tupleIJPjSI_NS0_16reverse_iteratorISI_EEEEENSH_IJSG_SG_SG_EEES9_SI_JZNS1_25segmented_radix_sort_implINS0_14default_configELb1EPKhPhPKlPlN2at6native12_GLOBAL__N_18offset_tEEE10hipError_tPvRmT1_PNSt15iterator_traitsIS12_E10value_typeET2_T3_PNS13_IS18_E10value_typeET4_jRbjT5_S1E_jjP12ihipStream_tbEUljE_ZNSN_ISO_Lb1ESQ_SR_ST_SU_SY_EESZ_S10_S11_S12_S16_S17_S18_S1B_S1C_jS1D_jS1E_S1E_jjS1G_bEUljE0_EEESZ_S10_S11_S18_S1C_S1E_T6_T7_T9_mT8_S1G_bDpT10_ENKUlT_T0_E_clISt17integral_constantIbLb0EES1T_IbLb1EEEEDaS1P_S1Q_EUlS1P_E_NS1_11comp_targetILNS1_3genE2ELNS1_11target_archE906ELNS1_3gpuE6ELNS1_3repE0EEENS1_30default_config_static_selectorELNS0_4arch9wavefront6targetE0EEEvS12_.num_agpr, 0
	.set _ZN7rocprim17ROCPRIM_400000_NS6detail17trampoline_kernelINS0_13select_configILj256ELj13ELNS0_17block_load_methodE3ELS4_3ELS4_3ELNS0_20block_scan_algorithmE0ELj4294967295EEENS1_25partition_config_selectorILNS1_17partition_subalgoE4EjNS0_10empty_typeEbEEZZNS1_14partition_implILS8_4ELb0ES6_15HIP_vector_typeIjLj2EENS0_17counting_iteratorIjlEEPS9_SG_NS0_5tupleIJPjSI_NS0_16reverse_iteratorISI_EEEEENSH_IJSG_SG_SG_EEES9_SI_JZNS1_25segmented_radix_sort_implINS0_14default_configELb1EPKhPhPKlPlN2at6native12_GLOBAL__N_18offset_tEEE10hipError_tPvRmT1_PNSt15iterator_traitsIS12_E10value_typeET2_T3_PNS13_IS18_E10value_typeET4_jRbjT5_S1E_jjP12ihipStream_tbEUljE_ZNSN_ISO_Lb1ESQ_SR_ST_SU_SY_EESZ_S10_S11_S12_S16_S17_S18_S1B_S1C_jS1D_jS1E_S1E_jjS1G_bEUljE0_EEESZ_S10_S11_S18_S1C_S1E_T6_T7_T9_mT8_S1G_bDpT10_ENKUlT_T0_E_clISt17integral_constantIbLb0EES1T_IbLb1EEEEDaS1P_S1Q_EUlS1P_E_NS1_11comp_targetILNS1_3genE2ELNS1_11target_archE906ELNS1_3gpuE6ELNS1_3repE0EEENS1_30default_config_static_selectorELNS0_4arch9wavefront6targetE0EEEvS12_.numbered_sgpr, 0
	.set _ZN7rocprim17ROCPRIM_400000_NS6detail17trampoline_kernelINS0_13select_configILj256ELj13ELNS0_17block_load_methodE3ELS4_3ELS4_3ELNS0_20block_scan_algorithmE0ELj4294967295EEENS1_25partition_config_selectorILNS1_17partition_subalgoE4EjNS0_10empty_typeEbEEZZNS1_14partition_implILS8_4ELb0ES6_15HIP_vector_typeIjLj2EENS0_17counting_iteratorIjlEEPS9_SG_NS0_5tupleIJPjSI_NS0_16reverse_iteratorISI_EEEEENSH_IJSG_SG_SG_EEES9_SI_JZNS1_25segmented_radix_sort_implINS0_14default_configELb1EPKhPhPKlPlN2at6native12_GLOBAL__N_18offset_tEEE10hipError_tPvRmT1_PNSt15iterator_traitsIS12_E10value_typeET2_T3_PNS13_IS18_E10value_typeET4_jRbjT5_S1E_jjP12ihipStream_tbEUljE_ZNSN_ISO_Lb1ESQ_SR_ST_SU_SY_EESZ_S10_S11_S12_S16_S17_S18_S1B_S1C_jS1D_jS1E_S1E_jjS1G_bEUljE0_EEESZ_S10_S11_S18_S1C_S1E_T6_T7_T9_mT8_S1G_bDpT10_ENKUlT_T0_E_clISt17integral_constantIbLb0EES1T_IbLb1EEEEDaS1P_S1Q_EUlS1P_E_NS1_11comp_targetILNS1_3genE2ELNS1_11target_archE906ELNS1_3gpuE6ELNS1_3repE0EEENS1_30default_config_static_selectorELNS0_4arch9wavefront6targetE0EEEvS12_.num_named_barrier, 0
	.set _ZN7rocprim17ROCPRIM_400000_NS6detail17trampoline_kernelINS0_13select_configILj256ELj13ELNS0_17block_load_methodE3ELS4_3ELS4_3ELNS0_20block_scan_algorithmE0ELj4294967295EEENS1_25partition_config_selectorILNS1_17partition_subalgoE4EjNS0_10empty_typeEbEEZZNS1_14partition_implILS8_4ELb0ES6_15HIP_vector_typeIjLj2EENS0_17counting_iteratorIjlEEPS9_SG_NS0_5tupleIJPjSI_NS0_16reverse_iteratorISI_EEEEENSH_IJSG_SG_SG_EEES9_SI_JZNS1_25segmented_radix_sort_implINS0_14default_configELb1EPKhPhPKlPlN2at6native12_GLOBAL__N_18offset_tEEE10hipError_tPvRmT1_PNSt15iterator_traitsIS12_E10value_typeET2_T3_PNS13_IS18_E10value_typeET4_jRbjT5_S1E_jjP12ihipStream_tbEUljE_ZNSN_ISO_Lb1ESQ_SR_ST_SU_SY_EESZ_S10_S11_S12_S16_S17_S18_S1B_S1C_jS1D_jS1E_S1E_jjS1G_bEUljE0_EEESZ_S10_S11_S18_S1C_S1E_T6_T7_T9_mT8_S1G_bDpT10_ENKUlT_T0_E_clISt17integral_constantIbLb0EES1T_IbLb1EEEEDaS1P_S1Q_EUlS1P_E_NS1_11comp_targetILNS1_3genE2ELNS1_11target_archE906ELNS1_3gpuE6ELNS1_3repE0EEENS1_30default_config_static_selectorELNS0_4arch9wavefront6targetE0EEEvS12_.private_seg_size, 0
	.set _ZN7rocprim17ROCPRIM_400000_NS6detail17trampoline_kernelINS0_13select_configILj256ELj13ELNS0_17block_load_methodE3ELS4_3ELS4_3ELNS0_20block_scan_algorithmE0ELj4294967295EEENS1_25partition_config_selectorILNS1_17partition_subalgoE4EjNS0_10empty_typeEbEEZZNS1_14partition_implILS8_4ELb0ES6_15HIP_vector_typeIjLj2EENS0_17counting_iteratorIjlEEPS9_SG_NS0_5tupleIJPjSI_NS0_16reverse_iteratorISI_EEEEENSH_IJSG_SG_SG_EEES9_SI_JZNS1_25segmented_radix_sort_implINS0_14default_configELb1EPKhPhPKlPlN2at6native12_GLOBAL__N_18offset_tEEE10hipError_tPvRmT1_PNSt15iterator_traitsIS12_E10value_typeET2_T3_PNS13_IS18_E10value_typeET4_jRbjT5_S1E_jjP12ihipStream_tbEUljE_ZNSN_ISO_Lb1ESQ_SR_ST_SU_SY_EESZ_S10_S11_S12_S16_S17_S18_S1B_S1C_jS1D_jS1E_S1E_jjS1G_bEUljE0_EEESZ_S10_S11_S18_S1C_S1E_T6_T7_T9_mT8_S1G_bDpT10_ENKUlT_T0_E_clISt17integral_constantIbLb0EES1T_IbLb1EEEEDaS1P_S1Q_EUlS1P_E_NS1_11comp_targetILNS1_3genE2ELNS1_11target_archE906ELNS1_3gpuE6ELNS1_3repE0EEENS1_30default_config_static_selectorELNS0_4arch9wavefront6targetE0EEEvS12_.uses_vcc, 0
	.set _ZN7rocprim17ROCPRIM_400000_NS6detail17trampoline_kernelINS0_13select_configILj256ELj13ELNS0_17block_load_methodE3ELS4_3ELS4_3ELNS0_20block_scan_algorithmE0ELj4294967295EEENS1_25partition_config_selectorILNS1_17partition_subalgoE4EjNS0_10empty_typeEbEEZZNS1_14partition_implILS8_4ELb0ES6_15HIP_vector_typeIjLj2EENS0_17counting_iteratorIjlEEPS9_SG_NS0_5tupleIJPjSI_NS0_16reverse_iteratorISI_EEEEENSH_IJSG_SG_SG_EEES9_SI_JZNS1_25segmented_radix_sort_implINS0_14default_configELb1EPKhPhPKlPlN2at6native12_GLOBAL__N_18offset_tEEE10hipError_tPvRmT1_PNSt15iterator_traitsIS12_E10value_typeET2_T3_PNS13_IS18_E10value_typeET4_jRbjT5_S1E_jjP12ihipStream_tbEUljE_ZNSN_ISO_Lb1ESQ_SR_ST_SU_SY_EESZ_S10_S11_S12_S16_S17_S18_S1B_S1C_jS1D_jS1E_S1E_jjS1G_bEUljE0_EEESZ_S10_S11_S18_S1C_S1E_T6_T7_T9_mT8_S1G_bDpT10_ENKUlT_T0_E_clISt17integral_constantIbLb0EES1T_IbLb1EEEEDaS1P_S1Q_EUlS1P_E_NS1_11comp_targetILNS1_3genE2ELNS1_11target_archE906ELNS1_3gpuE6ELNS1_3repE0EEENS1_30default_config_static_selectorELNS0_4arch9wavefront6targetE0EEEvS12_.uses_flat_scratch, 0
	.set _ZN7rocprim17ROCPRIM_400000_NS6detail17trampoline_kernelINS0_13select_configILj256ELj13ELNS0_17block_load_methodE3ELS4_3ELS4_3ELNS0_20block_scan_algorithmE0ELj4294967295EEENS1_25partition_config_selectorILNS1_17partition_subalgoE4EjNS0_10empty_typeEbEEZZNS1_14partition_implILS8_4ELb0ES6_15HIP_vector_typeIjLj2EENS0_17counting_iteratorIjlEEPS9_SG_NS0_5tupleIJPjSI_NS0_16reverse_iteratorISI_EEEEENSH_IJSG_SG_SG_EEES9_SI_JZNS1_25segmented_radix_sort_implINS0_14default_configELb1EPKhPhPKlPlN2at6native12_GLOBAL__N_18offset_tEEE10hipError_tPvRmT1_PNSt15iterator_traitsIS12_E10value_typeET2_T3_PNS13_IS18_E10value_typeET4_jRbjT5_S1E_jjP12ihipStream_tbEUljE_ZNSN_ISO_Lb1ESQ_SR_ST_SU_SY_EESZ_S10_S11_S12_S16_S17_S18_S1B_S1C_jS1D_jS1E_S1E_jjS1G_bEUljE0_EEESZ_S10_S11_S18_S1C_S1E_T6_T7_T9_mT8_S1G_bDpT10_ENKUlT_T0_E_clISt17integral_constantIbLb0EES1T_IbLb1EEEEDaS1P_S1Q_EUlS1P_E_NS1_11comp_targetILNS1_3genE2ELNS1_11target_archE906ELNS1_3gpuE6ELNS1_3repE0EEENS1_30default_config_static_selectorELNS0_4arch9wavefront6targetE0EEEvS12_.has_dyn_sized_stack, 0
	.set _ZN7rocprim17ROCPRIM_400000_NS6detail17trampoline_kernelINS0_13select_configILj256ELj13ELNS0_17block_load_methodE3ELS4_3ELS4_3ELNS0_20block_scan_algorithmE0ELj4294967295EEENS1_25partition_config_selectorILNS1_17partition_subalgoE4EjNS0_10empty_typeEbEEZZNS1_14partition_implILS8_4ELb0ES6_15HIP_vector_typeIjLj2EENS0_17counting_iteratorIjlEEPS9_SG_NS0_5tupleIJPjSI_NS0_16reverse_iteratorISI_EEEEENSH_IJSG_SG_SG_EEES9_SI_JZNS1_25segmented_radix_sort_implINS0_14default_configELb1EPKhPhPKlPlN2at6native12_GLOBAL__N_18offset_tEEE10hipError_tPvRmT1_PNSt15iterator_traitsIS12_E10value_typeET2_T3_PNS13_IS18_E10value_typeET4_jRbjT5_S1E_jjP12ihipStream_tbEUljE_ZNSN_ISO_Lb1ESQ_SR_ST_SU_SY_EESZ_S10_S11_S12_S16_S17_S18_S1B_S1C_jS1D_jS1E_S1E_jjS1G_bEUljE0_EEESZ_S10_S11_S18_S1C_S1E_T6_T7_T9_mT8_S1G_bDpT10_ENKUlT_T0_E_clISt17integral_constantIbLb0EES1T_IbLb1EEEEDaS1P_S1Q_EUlS1P_E_NS1_11comp_targetILNS1_3genE2ELNS1_11target_archE906ELNS1_3gpuE6ELNS1_3repE0EEENS1_30default_config_static_selectorELNS0_4arch9wavefront6targetE0EEEvS12_.has_recursion, 0
	.set _ZN7rocprim17ROCPRIM_400000_NS6detail17trampoline_kernelINS0_13select_configILj256ELj13ELNS0_17block_load_methodE3ELS4_3ELS4_3ELNS0_20block_scan_algorithmE0ELj4294967295EEENS1_25partition_config_selectorILNS1_17partition_subalgoE4EjNS0_10empty_typeEbEEZZNS1_14partition_implILS8_4ELb0ES6_15HIP_vector_typeIjLj2EENS0_17counting_iteratorIjlEEPS9_SG_NS0_5tupleIJPjSI_NS0_16reverse_iteratorISI_EEEEENSH_IJSG_SG_SG_EEES9_SI_JZNS1_25segmented_radix_sort_implINS0_14default_configELb1EPKhPhPKlPlN2at6native12_GLOBAL__N_18offset_tEEE10hipError_tPvRmT1_PNSt15iterator_traitsIS12_E10value_typeET2_T3_PNS13_IS18_E10value_typeET4_jRbjT5_S1E_jjP12ihipStream_tbEUljE_ZNSN_ISO_Lb1ESQ_SR_ST_SU_SY_EESZ_S10_S11_S12_S16_S17_S18_S1B_S1C_jS1D_jS1E_S1E_jjS1G_bEUljE0_EEESZ_S10_S11_S18_S1C_S1E_T6_T7_T9_mT8_S1G_bDpT10_ENKUlT_T0_E_clISt17integral_constantIbLb0EES1T_IbLb1EEEEDaS1P_S1Q_EUlS1P_E_NS1_11comp_targetILNS1_3genE2ELNS1_11target_archE906ELNS1_3gpuE6ELNS1_3repE0EEENS1_30default_config_static_selectorELNS0_4arch9wavefront6targetE0EEEvS12_.has_indirect_call, 0
	.section	.AMDGPU.csdata,"",@progbits
; Kernel info:
; codeLenInByte = 0
; TotalNumSgprs: 0
; NumVgprs: 0
; ScratchSize: 0
; MemoryBound: 0
; FloatMode: 240
; IeeeMode: 1
; LDSByteSize: 0 bytes/workgroup (compile time only)
; SGPRBlocks: 0
; VGPRBlocks: 0
; NumSGPRsForWavesPerEU: 1
; NumVGPRsForWavesPerEU: 1
; NamedBarCnt: 0
; Occupancy: 16
; WaveLimiterHint : 0
; COMPUTE_PGM_RSRC2:SCRATCH_EN: 0
; COMPUTE_PGM_RSRC2:USER_SGPR: 2
; COMPUTE_PGM_RSRC2:TRAP_HANDLER: 0
; COMPUTE_PGM_RSRC2:TGID_X_EN: 1
; COMPUTE_PGM_RSRC2:TGID_Y_EN: 0
; COMPUTE_PGM_RSRC2:TGID_Z_EN: 0
; COMPUTE_PGM_RSRC2:TIDIG_COMP_CNT: 0
	.section	.text._ZN7rocprim17ROCPRIM_400000_NS6detail17trampoline_kernelINS0_13select_configILj256ELj13ELNS0_17block_load_methodE3ELS4_3ELS4_3ELNS0_20block_scan_algorithmE0ELj4294967295EEENS1_25partition_config_selectorILNS1_17partition_subalgoE4EjNS0_10empty_typeEbEEZZNS1_14partition_implILS8_4ELb0ES6_15HIP_vector_typeIjLj2EENS0_17counting_iteratorIjlEEPS9_SG_NS0_5tupleIJPjSI_NS0_16reverse_iteratorISI_EEEEENSH_IJSG_SG_SG_EEES9_SI_JZNS1_25segmented_radix_sort_implINS0_14default_configELb1EPKhPhPKlPlN2at6native12_GLOBAL__N_18offset_tEEE10hipError_tPvRmT1_PNSt15iterator_traitsIS12_E10value_typeET2_T3_PNS13_IS18_E10value_typeET4_jRbjT5_S1E_jjP12ihipStream_tbEUljE_ZNSN_ISO_Lb1ESQ_SR_ST_SU_SY_EESZ_S10_S11_S12_S16_S17_S18_S1B_S1C_jS1D_jS1E_S1E_jjS1G_bEUljE0_EEESZ_S10_S11_S18_S1C_S1E_T6_T7_T9_mT8_S1G_bDpT10_ENKUlT_T0_E_clISt17integral_constantIbLb0EES1T_IbLb1EEEEDaS1P_S1Q_EUlS1P_E_NS1_11comp_targetILNS1_3genE10ELNS1_11target_archE1200ELNS1_3gpuE4ELNS1_3repE0EEENS1_30default_config_static_selectorELNS0_4arch9wavefront6targetE0EEEvS12_,"axG",@progbits,_ZN7rocprim17ROCPRIM_400000_NS6detail17trampoline_kernelINS0_13select_configILj256ELj13ELNS0_17block_load_methodE3ELS4_3ELS4_3ELNS0_20block_scan_algorithmE0ELj4294967295EEENS1_25partition_config_selectorILNS1_17partition_subalgoE4EjNS0_10empty_typeEbEEZZNS1_14partition_implILS8_4ELb0ES6_15HIP_vector_typeIjLj2EENS0_17counting_iteratorIjlEEPS9_SG_NS0_5tupleIJPjSI_NS0_16reverse_iteratorISI_EEEEENSH_IJSG_SG_SG_EEES9_SI_JZNS1_25segmented_radix_sort_implINS0_14default_configELb1EPKhPhPKlPlN2at6native12_GLOBAL__N_18offset_tEEE10hipError_tPvRmT1_PNSt15iterator_traitsIS12_E10value_typeET2_T3_PNS13_IS18_E10value_typeET4_jRbjT5_S1E_jjP12ihipStream_tbEUljE_ZNSN_ISO_Lb1ESQ_SR_ST_SU_SY_EESZ_S10_S11_S12_S16_S17_S18_S1B_S1C_jS1D_jS1E_S1E_jjS1G_bEUljE0_EEESZ_S10_S11_S18_S1C_S1E_T6_T7_T9_mT8_S1G_bDpT10_ENKUlT_T0_E_clISt17integral_constantIbLb0EES1T_IbLb1EEEEDaS1P_S1Q_EUlS1P_E_NS1_11comp_targetILNS1_3genE10ELNS1_11target_archE1200ELNS1_3gpuE4ELNS1_3repE0EEENS1_30default_config_static_selectorELNS0_4arch9wavefront6targetE0EEEvS12_,comdat
	.globl	_ZN7rocprim17ROCPRIM_400000_NS6detail17trampoline_kernelINS0_13select_configILj256ELj13ELNS0_17block_load_methodE3ELS4_3ELS4_3ELNS0_20block_scan_algorithmE0ELj4294967295EEENS1_25partition_config_selectorILNS1_17partition_subalgoE4EjNS0_10empty_typeEbEEZZNS1_14partition_implILS8_4ELb0ES6_15HIP_vector_typeIjLj2EENS0_17counting_iteratorIjlEEPS9_SG_NS0_5tupleIJPjSI_NS0_16reverse_iteratorISI_EEEEENSH_IJSG_SG_SG_EEES9_SI_JZNS1_25segmented_radix_sort_implINS0_14default_configELb1EPKhPhPKlPlN2at6native12_GLOBAL__N_18offset_tEEE10hipError_tPvRmT1_PNSt15iterator_traitsIS12_E10value_typeET2_T3_PNS13_IS18_E10value_typeET4_jRbjT5_S1E_jjP12ihipStream_tbEUljE_ZNSN_ISO_Lb1ESQ_SR_ST_SU_SY_EESZ_S10_S11_S12_S16_S17_S18_S1B_S1C_jS1D_jS1E_S1E_jjS1G_bEUljE0_EEESZ_S10_S11_S18_S1C_S1E_T6_T7_T9_mT8_S1G_bDpT10_ENKUlT_T0_E_clISt17integral_constantIbLb0EES1T_IbLb1EEEEDaS1P_S1Q_EUlS1P_E_NS1_11comp_targetILNS1_3genE10ELNS1_11target_archE1200ELNS1_3gpuE4ELNS1_3repE0EEENS1_30default_config_static_selectorELNS0_4arch9wavefront6targetE0EEEvS12_ ; -- Begin function _ZN7rocprim17ROCPRIM_400000_NS6detail17trampoline_kernelINS0_13select_configILj256ELj13ELNS0_17block_load_methodE3ELS4_3ELS4_3ELNS0_20block_scan_algorithmE0ELj4294967295EEENS1_25partition_config_selectorILNS1_17partition_subalgoE4EjNS0_10empty_typeEbEEZZNS1_14partition_implILS8_4ELb0ES6_15HIP_vector_typeIjLj2EENS0_17counting_iteratorIjlEEPS9_SG_NS0_5tupleIJPjSI_NS0_16reverse_iteratorISI_EEEEENSH_IJSG_SG_SG_EEES9_SI_JZNS1_25segmented_radix_sort_implINS0_14default_configELb1EPKhPhPKlPlN2at6native12_GLOBAL__N_18offset_tEEE10hipError_tPvRmT1_PNSt15iterator_traitsIS12_E10value_typeET2_T3_PNS13_IS18_E10value_typeET4_jRbjT5_S1E_jjP12ihipStream_tbEUljE_ZNSN_ISO_Lb1ESQ_SR_ST_SU_SY_EESZ_S10_S11_S12_S16_S17_S18_S1B_S1C_jS1D_jS1E_S1E_jjS1G_bEUljE0_EEESZ_S10_S11_S18_S1C_S1E_T6_T7_T9_mT8_S1G_bDpT10_ENKUlT_T0_E_clISt17integral_constantIbLb0EES1T_IbLb1EEEEDaS1P_S1Q_EUlS1P_E_NS1_11comp_targetILNS1_3genE10ELNS1_11target_archE1200ELNS1_3gpuE4ELNS1_3repE0EEENS1_30default_config_static_selectorELNS0_4arch9wavefront6targetE0EEEvS12_
	.p2align	8
	.type	_ZN7rocprim17ROCPRIM_400000_NS6detail17trampoline_kernelINS0_13select_configILj256ELj13ELNS0_17block_load_methodE3ELS4_3ELS4_3ELNS0_20block_scan_algorithmE0ELj4294967295EEENS1_25partition_config_selectorILNS1_17partition_subalgoE4EjNS0_10empty_typeEbEEZZNS1_14partition_implILS8_4ELb0ES6_15HIP_vector_typeIjLj2EENS0_17counting_iteratorIjlEEPS9_SG_NS0_5tupleIJPjSI_NS0_16reverse_iteratorISI_EEEEENSH_IJSG_SG_SG_EEES9_SI_JZNS1_25segmented_radix_sort_implINS0_14default_configELb1EPKhPhPKlPlN2at6native12_GLOBAL__N_18offset_tEEE10hipError_tPvRmT1_PNSt15iterator_traitsIS12_E10value_typeET2_T3_PNS13_IS18_E10value_typeET4_jRbjT5_S1E_jjP12ihipStream_tbEUljE_ZNSN_ISO_Lb1ESQ_SR_ST_SU_SY_EESZ_S10_S11_S12_S16_S17_S18_S1B_S1C_jS1D_jS1E_S1E_jjS1G_bEUljE0_EEESZ_S10_S11_S18_S1C_S1E_T6_T7_T9_mT8_S1G_bDpT10_ENKUlT_T0_E_clISt17integral_constantIbLb0EES1T_IbLb1EEEEDaS1P_S1Q_EUlS1P_E_NS1_11comp_targetILNS1_3genE10ELNS1_11target_archE1200ELNS1_3gpuE4ELNS1_3repE0EEENS1_30default_config_static_selectorELNS0_4arch9wavefront6targetE0EEEvS12_,@function
_ZN7rocprim17ROCPRIM_400000_NS6detail17trampoline_kernelINS0_13select_configILj256ELj13ELNS0_17block_load_methodE3ELS4_3ELS4_3ELNS0_20block_scan_algorithmE0ELj4294967295EEENS1_25partition_config_selectorILNS1_17partition_subalgoE4EjNS0_10empty_typeEbEEZZNS1_14partition_implILS8_4ELb0ES6_15HIP_vector_typeIjLj2EENS0_17counting_iteratorIjlEEPS9_SG_NS0_5tupleIJPjSI_NS0_16reverse_iteratorISI_EEEEENSH_IJSG_SG_SG_EEES9_SI_JZNS1_25segmented_radix_sort_implINS0_14default_configELb1EPKhPhPKlPlN2at6native12_GLOBAL__N_18offset_tEEE10hipError_tPvRmT1_PNSt15iterator_traitsIS12_E10value_typeET2_T3_PNS13_IS18_E10value_typeET4_jRbjT5_S1E_jjP12ihipStream_tbEUljE_ZNSN_ISO_Lb1ESQ_SR_ST_SU_SY_EESZ_S10_S11_S12_S16_S17_S18_S1B_S1C_jS1D_jS1E_S1E_jjS1G_bEUljE0_EEESZ_S10_S11_S18_S1C_S1E_T6_T7_T9_mT8_S1G_bDpT10_ENKUlT_T0_E_clISt17integral_constantIbLb0EES1T_IbLb1EEEEDaS1P_S1Q_EUlS1P_E_NS1_11comp_targetILNS1_3genE10ELNS1_11target_archE1200ELNS1_3gpuE4ELNS1_3repE0EEENS1_30default_config_static_selectorELNS0_4arch9wavefront6targetE0EEEvS12_: ; @_ZN7rocprim17ROCPRIM_400000_NS6detail17trampoline_kernelINS0_13select_configILj256ELj13ELNS0_17block_load_methodE3ELS4_3ELS4_3ELNS0_20block_scan_algorithmE0ELj4294967295EEENS1_25partition_config_selectorILNS1_17partition_subalgoE4EjNS0_10empty_typeEbEEZZNS1_14partition_implILS8_4ELb0ES6_15HIP_vector_typeIjLj2EENS0_17counting_iteratorIjlEEPS9_SG_NS0_5tupleIJPjSI_NS0_16reverse_iteratorISI_EEEEENSH_IJSG_SG_SG_EEES9_SI_JZNS1_25segmented_radix_sort_implINS0_14default_configELb1EPKhPhPKlPlN2at6native12_GLOBAL__N_18offset_tEEE10hipError_tPvRmT1_PNSt15iterator_traitsIS12_E10value_typeET2_T3_PNS13_IS18_E10value_typeET4_jRbjT5_S1E_jjP12ihipStream_tbEUljE_ZNSN_ISO_Lb1ESQ_SR_ST_SU_SY_EESZ_S10_S11_S12_S16_S17_S18_S1B_S1C_jS1D_jS1E_S1E_jjS1G_bEUljE0_EEESZ_S10_S11_S18_S1C_S1E_T6_T7_T9_mT8_S1G_bDpT10_ENKUlT_T0_E_clISt17integral_constantIbLb0EES1T_IbLb1EEEEDaS1P_S1Q_EUlS1P_E_NS1_11comp_targetILNS1_3genE10ELNS1_11target_archE1200ELNS1_3gpuE4ELNS1_3repE0EEENS1_30default_config_static_selectorELNS0_4arch9wavefront6targetE0EEEvS12_
; %bb.0:
	.section	.rodata,"a",@progbits
	.p2align	6, 0x0
	.amdhsa_kernel _ZN7rocprim17ROCPRIM_400000_NS6detail17trampoline_kernelINS0_13select_configILj256ELj13ELNS0_17block_load_methodE3ELS4_3ELS4_3ELNS0_20block_scan_algorithmE0ELj4294967295EEENS1_25partition_config_selectorILNS1_17partition_subalgoE4EjNS0_10empty_typeEbEEZZNS1_14partition_implILS8_4ELb0ES6_15HIP_vector_typeIjLj2EENS0_17counting_iteratorIjlEEPS9_SG_NS0_5tupleIJPjSI_NS0_16reverse_iteratorISI_EEEEENSH_IJSG_SG_SG_EEES9_SI_JZNS1_25segmented_radix_sort_implINS0_14default_configELb1EPKhPhPKlPlN2at6native12_GLOBAL__N_18offset_tEEE10hipError_tPvRmT1_PNSt15iterator_traitsIS12_E10value_typeET2_T3_PNS13_IS18_E10value_typeET4_jRbjT5_S1E_jjP12ihipStream_tbEUljE_ZNSN_ISO_Lb1ESQ_SR_ST_SU_SY_EESZ_S10_S11_S12_S16_S17_S18_S1B_S1C_jS1D_jS1E_S1E_jjS1G_bEUljE0_EEESZ_S10_S11_S18_S1C_S1E_T6_T7_T9_mT8_S1G_bDpT10_ENKUlT_T0_E_clISt17integral_constantIbLb0EES1T_IbLb1EEEEDaS1P_S1Q_EUlS1P_E_NS1_11comp_targetILNS1_3genE10ELNS1_11target_archE1200ELNS1_3gpuE4ELNS1_3repE0EEENS1_30default_config_static_selectorELNS0_4arch9wavefront6targetE0EEEvS12_
		.amdhsa_group_segment_fixed_size 0
		.amdhsa_private_segment_fixed_size 0
		.amdhsa_kernarg_size 184
		.amdhsa_user_sgpr_count 2
		.amdhsa_user_sgpr_dispatch_ptr 0
		.amdhsa_user_sgpr_queue_ptr 0
		.amdhsa_user_sgpr_kernarg_segment_ptr 1
		.amdhsa_user_sgpr_dispatch_id 0
		.amdhsa_user_sgpr_kernarg_preload_length 0
		.amdhsa_user_sgpr_kernarg_preload_offset 0
		.amdhsa_user_sgpr_private_segment_size 0
		.amdhsa_wavefront_size32 1
		.amdhsa_uses_dynamic_stack 0
		.amdhsa_enable_private_segment 0
		.amdhsa_system_sgpr_workgroup_id_x 1
		.amdhsa_system_sgpr_workgroup_id_y 0
		.amdhsa_system_sgpr_workgroup_id_z 0
		.amdhsa_system_sgpr_workgroup_info 0
		.amdhsa_system_vgpr_workitem_id 0
		.amdhsa_next_free_vgpr 1
		.amdhsa_next_free_sgpr 1
		.amdhsa_named_barrier_count 0
		.amdhsa_reserve_vcc 0
		.amdhsa_float_round_mode_32 0
		.amdhsa_float_round_mode_16_64 0
		.amdhsa_float_denorm_mode_32 3
		.amdhsa_float_denorm_mode_16_64 3
		.amdhsa_fp16_overflow 0
		.amdhsa_memory_ordered 1
		.amdhsa_forward_progress 1
		.amdhsa_inst_pref_size 0
		.amdhsa_round_robin_scheduling 0
		.amdhsa_exception_fp_ieee_invalid_op 0
		.amdhsa_exception_fp_denorm_src 0
		.amdhsa_exception_fp_ieee_div_zero 0
		.amdhsa_exception_fp_ieee_overflow 0
		.amdhsa_exception_fp_ieee_underflow 0
		.amdhsa_exception_fp_ieee_inexact 0
		.amdhsa_exception_int_div_zero 0
	.end_amdhsa_kernel
	.section	.text._ZN7rocprim17ROCPRIM_400000_NS6detail17trampoline_kernelINS0_13select_configILj256ELj13ELNS0_17block_load_methodE3ELS4_3ELS4_3ELNS0_20block_scan_algorithmE0ELj4294967295EEENS1_25partition_config_selectorILNS1_17partition_subalgoE4EjNS0_10empty_typeEbEEZZNS1_14partition_implILS8_4ELb0ES6_15HIP_vector_typeIjLj2EENS0_17counting_iteratorIjlEEPS9_SG_NS0_5tupleIJPjSI_NS0_16reverse_iteratorISI_EEEEENSH_IJSG_SG_SG_EEES9_SI_JZNS1_25segmented_radix_sort_implINS0_14default_configELb1EPKhPhPKlPlN2at6native12_GLOBAL__N_18offset_tEEE10hipError_tPvRmT1_PNSt15iterator_traitsIS12_E10value_typeET2_T3_PNS13_IS18_E10value_typeET4_jRbjT5_S1E_jjP12ihipStream_tbEUljE_ZNSN_ISO_Lb1ESQ_SR_ST_SU_SY_EESZ_S10_S11_S12_S16_S17_S18_S1B_S1C_jS1D_jS1E_S1E_jjS1G_bEUljE0_EEESZ_S10_S11_S18_S1C_S1E_T6_T7_T9_mT8_S1G_bDpT10_ENKUlT_T0_E_clISt17integral_constantIbLb0EES1T_IbLb1EEEEDaS1P_S1Q_EUlS1P_E_NS1_11comp_targetILNS1_3genE10ELNS1_11target_archE1200ELNS1_3gpuE4ELNS1_3repE0EEENS1_30default_config_static_selectorELNS0_4arch9wavefront6targetE0EEEvS12_,"axG",@progbits,_ZN7rocprim17ROCPRIM_400000_NS6detail17trampoline_kernelINS0_13select_configILj256ELj13ELNS0_17block_load_methodE3ELS4_3ELS4_3ELNS0_20block_scan_algorithmE0ELj4294967295EEENS1_25partition_config_selectorILNS1_17partition_subalgoE4EjNS0_10empty_typeEbEEZZNS1_14partition_implILS8_4ELb0ES6_15HIP_vector_typeIjLj2EENS0_17counting_iteratorIjlEEPS9_SG_NS0_5tupleIJPjSI_NS0_16reverse_iteratorISI_EEEEENSH_IJSG_SG_SG_EEES9_SI_JZNS1_25segmented_radix_sort_implINS0_14default_configELb1EPKhPhPKlPlN2at6native12_GLOBAL__N_18offset_tEEE10hipError_tPvRmT1_PNSt15iterator_traitsIS12_E10value_typeET2_T3_PNS13_IS18_E10value_typeET4_jRbjT5_S1E_jjP12ihipStream_tbEUljE_ZNSN_ISO_Lb1ESQ_SR_ST_SU_SY_EESZ_S10_S11_S12_S16_S17_S18_S1B_S1C_jS1D_jS1E_S1E_jjS1G_bEUljE0_EEESZ_S10_S11_S18_S1C_S1E_T6_T7_T9_mT8_S1G_bDpT10_ENKUlT_T0_E_clISt17integral_constantIbLb0EES1T_IbLb1EEEEDaS1P_S1Q_EUlS1P_E_NS1_11comp_targetILNS1_3genE10ELNS1_11target_archE1200ELNS1_3gpuE4ELNS1_3repE0EEENS1_30default_config_static_selectorELNS0_4arch9wavefront6targetE0EEEvS12_,comdat
.Lfunc_end44:
	.size	_ZN7rocprim17ROCPRIM_400000_NS6detail17trampoline_kernelINS0_13select_configILj256ELj13ELNS0_17block_load_methodE3ELS4_3ELS4_3ELNS0_20block_scan_algorithmE0ELj4294967295EEENS1_25partition_config_selectorILNS1_17partition_subalgoE4EjNS0_10empty_typeEbEEZZNS1_14partition_implILS8_4ELb0ES6_15HIP_vector_typeIjLj2EENS0_17counting_iteratorIjlEEPS9_SG_NS0_5tupleIJPjSI_NS0_16reverse_iteratorISI_EEEEENSH_IJSG_SG_SG_EEES9_SI_JZNS1_25segmented_radix_sort_implINS0_14default_configELb1EPKhPhPKlPlN2at6native12_GLOBAL__N_18offset_tEEE10hipError_tPvRmT1_PNSt15iterator_traitsIS12_E10value_typeET2_T3_PNS13_IS18_E10value_typeET4_jRbjT5_S1E_jjP12ihipStream_tbEUljE_ZNSN_ISO_Lb1ESQ_SR_ST_SU_SY_EESZ_S10_S11_S12_S16_S17_S18_S1B_S1C_jS1D_jS1E_S1E_jjS1G_bEUljE0_EEESZ_S10_S11_S18_S1C_S1E_T6_T7_T9_mT8_S1G_bDpT10_ENKUlT_T0_E_clISt17integral_constantIbLb0EES1T_IbLb1EEEEDaS1P_S1Q_EUlS1P_E_NS1_11comp_targetILNS1_3genE10ELNS1_11target_archE1200ELNS1_3gpuE4ELNS1_3repE0EEENS1_30default_config_static_selectorELNS0_4arch9wavefront6targetE0EEEvS12_, .Lfunc_end44-_ZN7rocprim17ROCPRIM_400000_NS6detail17trampoline_kernelINS0_13select_configILj256ELj13ELNS0_17block_load_methodE3ELS4_3ELS4_3ELNS0_20block_scan_algorithmE0ELj4294967295EEENS1_25partition_config_selectorILNS1_17partition_subalgoE4EjNS0_10empty_typeEbEEZZNS1_14partition_implILS8_4ELb0ES6_15HIP_vector_typeIjLj2EENS0_17counting_iteratorIjlEEPS9_SG_NS0_5tupleIJPjSI_NS0_16reverse_iteratorISI_EEEEENSH_IJSG_SG_SG_EEES9_SI_JZNS1_25segmented_radix_sort_implINS0_14default_configELb1EPKhPhPKlPlN2at6native12_GLOBAL__N_18offset_tEEE10hipError_tPvRmT1_PNSt15iterator_traitsIS12_E10value_typeET2_T3_PNS13_IS18_E10value_typeET4_jRbjT5_S1E_jjP12ihipStream_tbEUljE_ZNSN_ISO_Lb1ESQ_SR_ST_SU_SY_EESZ_S10_S11_S12_S16_S17_S18_S1B_S1C_jS1D_jS1E_S1E_jjS1G_bEUljE0_EEESZ_S10_S11_S18_S1C_S1E_T6_T7_T9_mT8_S1G_bDpT10_ENKUlT_T0_E_clISt17integral_constantIbLb0EES1T_IbLb1EEEEDaS1P_S1Q_EUlS1P_E_NS1_11comp_targetILNS1_3genE10ELNS1_11target_archE1200ELNS1_3gpuE4ELNS1_3repE0EEENS1_30default_config_static_selectorELNS0_4arch9wavefront6targetE0EEEvS12_
                                        ; -- End function
	.set _ZN7rocprim17ROCPRIM_400000_NS6detail17trampoline_kernelINS0_13select_configILj256ELj13ELNS0_17block_load_methodE3ELS4_3ELS4_3ELNS0_20block_scan_algorithmE0ELj4294967295EEENS1_25partition_config_selectorILNS1_17partition_subalgoE4EjNS0_10empty_typeEbEEZZNS1_14partition_implILS8_4ELb0ES6_15HIP_vector_typeIjLj2EENS0_17counting_iteratorIjlEEPS9_SG_NS0_5tupleIJPjSI_NS0_16reverse_iteratorISI_EEEEENSH_IJSG_SG_SG_EEES9_SI_JZNS1_25segmented_radix_sort_implINS0_14default_configELb1EPKhPhPKlPlN2at6native12_GLOBAL__N_18offset_tEEE10hipError_tPvRmT1_PNSt15iterator_traitsIS12_E10value_typeET2_T3_PNS13_IS18_E10value_typeET4_jRbjT5_S1E_jjP12ihipStream_tbEUljE_ZNSN_ISO_Lb1ESQ_SR_ST_SU_SY_EESZ_S10_S11_S12_S16_S17_S18_S1B_S1C_jS1D_jS1E_S1E_jjS1G_bEUljE0_EEESZ_S10_S11_S18_S1C_S1E_T6_T7_T9_mT8_S1G_bDpT10_ENKUlT_T0_E_clISt17integral_constantIbLb0EES1T_IbLb1EEEEDaS1P_S1Q_EUlS1P_E_NS1_11comp_targetILNS1_3genE10ELNS1_11target_archE1200ELNS1_3gpuE4ELNS1_3repE0EEENS1_30default_config_static_selectorELNS0_4arch9wavefront6targetE0EEEvS12_.num_vgpr, 0
	.set _ZN7rocprim17ROCPRIM_400000_NS6detail17trampoline_kernelINS0_13select_configILj256ELj13ELNS0_17block_load_methodE3ELS4_3ELS4_3ELNS0_20block_scan_algorithmE0ELj4294967295EEENS1_25partition_config_selectorILNS1_17partition_subalgoE4EjNS0_10empty_typeEbEEZZNS1_14partition_implILS8_4ELb0ES6_15HIP_vector_typeIjLj2EENS0_17counting_iteratorIjlEEPS9_SG_NS0_5tupleIJPjSI_NS0_16reverse_iteratorISI_EEEEENSH_IJSG_SG_SG_EEES9_SI_JZNS1_25segmented_radix_sort_implINS0_14default_configELb1EPKhPhPKlPlN2at6native12_GLOBAL__N_18offset_tEEE10hipError_tPvRmT1_PNSt15iterator_traitsIS12_E10value_typeET2_T3_PNS13_IS18_E10value_typeET4_jRbjT5_S1E_jjP12ihipStream_tbEUljE_ZNSN_ISO_Lb1ESQ_SR_ST_SU_SY_EESZ_S10_S11_S12_S16_S17_S18_S1B_S1C_jS1D_jS1E_S1E_jjS1G_bEUljE0_EEESZ_S10_S11_S18_S1C_S1E_T6_T7_T9_mT8_S1G_bDpT10_ENKUlT_T0_E_clISt17integral_constantIbLb0EES1T_IbLb1EEEEDaS1P_S1Q_EUlS1P_E_NS1_11comp_targetILNS1_3genE10ELNS1_11target_archE1200ELNS1_3gpuE4ELNS1_3repE0EEENS1_30default_config_static_selectorELNS0_4arch9wavefront6targetE0EEEvS12_.num_agpr, 0
	.set _ZN7rocprim17ROCPRIM_400000_NS6detail17trampoline_kernelINS0_13select_configILj256ELj13ELNS0_17block_load_methodE3ELS4_3ELS4_3ELNS0_20block_scan_algorithmE0ELj4294967295EEENS1_25partition_config_selectorILNS1_17partition_subalgoE4EjNS0_10empty_typeEbEEZZNS1_14partition_implILS8_4ELb0ES6_15HIP_vector_typeIjLj2EENS0_17counting_iteratorIjlEEPS9_SG_NS0_5tupleIJPjSI_NS0_16reverse_iteratorISI_EEEEENSH_IJSG_SG_SG_EEES9_SI_JZNS1_25segmented_radix_sort_implINS0_14default_configELb1EPKhPhPKlPlN2at6native12_GLOBAL__N_18offset_tEEE10hipError_tPvRmT1_PNSt15iterator_traitsIS12_E10value_typeET2_T3_PNS13_IS18_E10value_typeET4_jRbjT5_S1E_jjP12ihipStream_tbEUljE_ZNSN_ISO_Lb1ESQ_SR_ST_SU_SY_EESZ_S10_S11_S12_S16_S17_S18_S1B_S1C_jS1D_jS1E_S1E_jjS1G_bEUljE0_EEESZ_S10_S11_S18_S1C_S1E_T6_T7_T9_mT8_S1G_bDpT10_ENKUlT_T0_E_clISt17integral_constantIbLb0EES1T_IbLb1EEEEDaS1P_S1Q_EUlS1P_E_NS1_11comp_targetILNS1_3genE10ELNS1_11target_archE1200ELNS1_3gpuE4ELNS1_3repE0EEENS1_30default_config_static_selectorELNS0_4arch9wavefront6targetE0EEEvS12_.numbered_sgpr, 0
	.set _ZN7rocprim17ROCPRIM_400000_NS6detail17trampoline_kernelINS0_13select_configILj256ELj13ELNS0_17block_load_methodE3ELS4_3ELS4_3ELNS0_20block_scan_algorithmE0ELj4294967295EEENS1_25partition_config_selectorILNS1_17partition_subalgoE4EjNS0_10empty_typeEbEEZZNS1_14partition_implILS8_4ELb0ES6_15HIP_vector_typeIjLj2EENS0_17counting_iteratorIjlEEPS9_SG_NS0_5tupleIJPjSI_NS0_16reverse_iteratorISI_EEEEENSH_IJSG_SG_SG_EEES9_SI_JZNS1_25segmented_radix_sort_implINS0_14default_configELb1EPKhPhPKlPlN2at6native12_GLOBAL__N_18offset_tEEE10hipError_tPvRmT1_PNSt15iterator_traitsIS12_E10value_typeET2_T3_PNS13_IS18_E10value_typeET4_jRbjT5_S1E_jjP12ihipStream_tbEUljE_ZNSN_ISO_Lb1ESQ_SR_ST_SU_SY_EESZ_S10_S11_S12_S16_S17_S18_S1B_S1C_jS1D_jS1E_S1E_jjS1G_bEUljE0_EEESZ_S10_S11_S18_S1C_S1E_T6_T7_T9_mT8_S1G_bDpT10_ENKUlT_T0_E_clISt17integral_constantIbLb0EES1T_IbLb1EEEEDaS1P_S1Q_EUlS1P_E_NS1_11comp_targetILNS1_3genE10ELNS1_11target_archE1200ELNS1_3gpuE4ELNS1_3repE0EEENS1_30default_config_static_selectorELNS0_4arch9wavefront6targetE0EEEvS12_.num_named_barrier, 0
	.set _ZN7rocprim17ROCPRIM_400000_NS6detail17trampoline_kernelINS0_13select_configILj256ELj13ELNS0_17block_load_methodE3ELS4_3ELS4_3ELNS0_20block_scan_algorithmE0ELj4294967295EEENS1_25partition_config_selectorILNS1_17partition_subalgoE4EjNS0_10empty_typeEbEEZZNS1_14partition_implILS8_4ELb0ES6_15HIP_vector_typeIjLj2EENS0_17counting_iteratorIjlEEPS9_SG_NS0_5tupleIJPjSI_NS0_16reverse_iteratorISI_EEEEENSH_IJSG_SG_SG_EEES9_SI_JZNS1_25segmented_radix_sort_implINS0_14default_configELb1EPKhPhPKlPlN2at6native12_GLOBAL__N_18offset_tEEE10hipError_tPvRmT1_PNSt15iterator_traitsIS12_E10value_typeET2_T3_PNS13_IS18_E10value_typeET4_jRbjT5_S1E_jjP12ihipStream_tbEUljE_ZNSN_ISO_Lb1ESQ_SR_ST_SU_SY_EESZ_S10_S11_S12_S16_S17_S18_S1B_S1C_jS1D_jS1E_S1E_jjS1G_bEUljE0_EEESZ_S10_S11_S18_S1C_S1E_T6_T7_T9_mT8_S1G_bDpT10_ENKUlT_T0_E_clISt17integral_constantIbLb0EES1T_IbLb1EEEEDaS1P_S1Q_EUlS1P_E_NS1_11comp_targetILNS1_3genE10ELNS1_11target_archE1200ELNS1_3gpuE4ELNS1_3repE0EEENS1_30default_config_static_selectorELNS0_4arch9wavefront6targetE0EEEvS12_.private_seg_size, 0
	.set _ZN7rocprim17ROCPRIM_400000_NS6detail17trampoline_kernelINS0_13select_configILj256ELj13ELNS0_17block_load_methodE3ELS4_3ELS4_3ELNS0_20block_scan_algorithmE0ELj4294967295EEENS1_25partition_config_selectorILNS1_17partition_subalgoE4EjNS0_10empty_typeEbEEZZNS1_14partition_implILS8_4ELb0ES6_15HIP_vector_typeIjLj2EENS0_17counting_iteratorIjlEEPS9_SG_NS0_5tupleIJPjSI_NS0_16reverse_iteratorISI_EEEEENSH_IJSG_SG_SG_EEES9_SI_JZNS1_25segmented_radix_sort_implINS0_14default_configELb1EPKhPhPKlPlN2at6native12_GLOBAL__N_18offset_tEEE10hipError_tPvRmT1_PNSt15iterator_traitsIS12_E10value_typeET2_T3_PNS13_IS18_E10value_typeET4_jRbjT5_S1E_jjP12ihipStream_tbEUljE_ZNSN_ISO_Lb1ESQ_SR_ST_SU_SY_EESZ_S10_S11_S12_S16_S17_S18_S1B_S1C_jS1D_jS1E_S1E_jjS1G_bEUljE0_EEESZ_S10_S11_S18_S1C_S1E_T6_T7_T9_mT8_S1G_bDpT10_ENKUlT_T0_E_clISt17integral_constantIbLb0EES1T_IbLb1EEEEDaS1P_S1Q_EUlS1P_E_NS1_11comp_targetILNS1_3genE10ELNS1_11target_archE1200ELNS1_3gpuE4ELNS1_3repE0EEENS1_30default_config_static_selectorELNS0_4arch9wavefront6targetE0EEEvS12_.uses_vcc, 0
	.set _ZN7rocprim17ROCPRIM_400000_NS6detail17trampoline_kernelINS0_13select_configILj256ELj13ELNS0_17block_load_methodE3ELS4_3ELS4_3ELNS0_20block_scan_algorithmE0ELj4294967295EEENS1_25partition_config_selectorILNS1_17partition_subalgoE4EjNS0_10empty_typeEbEEZZNS1_14partition_implILS8_4ELb0ES6_15HIP_vector_typeIjLj2EENS0_17counting_iteratorIjlEEPS9_SG_NS0_5tupleIJPjSI_NS0_16reverse_iteratorISI_EEEEENSH_IJSG_SG_SG_EEES9_SI_JZNS1_25segmented_radix_sort_implINS0_14default_configELb1EPKhPhPKlPlN2at6native12_GLOBAL__N_18offset_tEEE10hipError_tPvRmT1_PNSt15iterator_traitsIS12_E10value_typeET2_T3_PNS13_IS18_E10value_typeET4_jRbjT5_S1E_jjP12ihipStream_tbEUljE_ZNSN_ISO_Lb1ESQ_SR_ST_SU_SY_EESZ_S10_S11_S12_S16_S17_S18_S1B_S1C_jS1D_jS1E_S1E_jjS1G_bEUljE0_EEESZ_S10_S11_S18_S1C_S1E_T6_T7_T9_mT8_S1G_bDpT10_ENKUlT_T0_E_clISt17integral_constantIbLb0EES1T_IbLb1EEEEDaS1P_S1Q_EUlS1P_E_NS1_11comp_targetILNS1_3genE10ELNS1_11target_archE1200ELNS1_3gpuE4ELNS1_3repE0EEENS1_30default_config_static_selectorELNS0_4arch9wavefront6targetE0EEEvS12_.uses_flat_scratch, 0
	.set _ZN7rocprim17ROCPRIM_400000_NS6detail17trampoline_kernelINS0_13select_configILj256ELj13ELNS0_17block_load_methodE3ELS4_3ELS4_3ELNS0_20block_scan_algorithmE0ELj4294967295EEENS1_25partition_config_selectorILNS1_17partition_subalgoE4EjNS0_10empty_typeEbEEZZNS1_14partition_implILS8_4ELb0ES6_15HIP_vector_typeIjLj2EENS0_17counting_iteratorIjlEEPS9_SG_NS0_5tupleIJPjSI_NS0_16reverse_iteratorISI_EEEEENSH_IJSG_SG_SG_EEES9_SI_JZNS1_25segmented_radix_sort_implINS0_14default_configELb1EPKhPhPKlPlN2at6native12_GLOBAL__N_18offset_tEEE10hipError_tPvRmT1_PNSt15iterator_traitsIS12_E10value_typeET2_T3_PNS13_IS18_E10value_typeET4_jRbjT5_S1E_jjP12ihipStream_tbEUljE_ZNSN_ISO_Lb1ESQ_SR_ST_SU_SY_EESZ_S10_S11_S12_S16_S17_S18_S1B_S1C_jS1D_jS1E_S1E_jjS1G_bEUljE0_EEESZ_S10_S11_S18_S1C_S1E_T6_T7_T9_mT8_S1G_bDpT10_ENKUlT_T0_E_clISt17integral_constantIbLb0EES1T_IbLb1EEEEDaS1P_S1Q_EUlS1P_E_NS1_11comp_targetILNS1_3genE10ELNS1_11target_archE1200ELNS1_3gpuE4ELNS1_3repE0EEENS1_30default_config_static_selectorELNS0_4arch9wavefront6targetE0EEEvS12_.has_dyn_sized_stack, 0
	.set _ZN7rocprim17ROCPRIM_400000_NS6detail17trampoline_kernelINS0_13select_configILj256ELj13ELNS0_17block_load_methodE3ELS4_3ELS4_3ELNS0_20block_scan_algorithmE0ELj4294967295EEENS1_25partition_config_selectorILNS1_17partition_subalgoE4EjNS0_10empty_typeEbEEZZNS1_14partition_implILS8_4ELb0ES6_15HIP_vector_typeIjLj2EENS0_17counting_iteratorIjlEEPS9_SG_NS0_5tupleIJPjSI_NS0_16reverse_iteratorISI_EEEEENSH_IJSG_SG_SG_EEES9_SI_JZNS1_25segmented_radix_sort_implINS0_14default_configELb1EPKhPhPKlPlN2at6native12_GLOBAL__N_18offset_tEEE10hipError_tPvRmT1_PNSt15iterator_traitsIS12_E10value_typeET2_T3_PNS13_IS18_E10value_typeET4_jRbjT5_S1E_jjP12ihipStream_tbEUljE_ZNSN_ISO_Lb1ESQ_SR_ST_SU_SY_EESZ_S10_S11_S12_S16_S17_S18_S1B_S1C_jS1D_jS1E_S1E_jjS1G_bEUljE0_EEESZ_S10_S11_S18_S1C_S1E_T6_T7_T9_mT8_S1G_bDpT10_ENKUlT_T0_E_clISt17integral_constantIbLb0EES1T_IbLb1EEEEDaS1P_S1Q_EUlS1P_E_NS1_11comp_targetILNS1_3genE10ELNS1_11target_archE1200ELNS1_3gpuE4ELNS1_3repE0EEENS1_30default_config_static_selectorELNS0_4arch9wavefront6targetE0EEEvS12_.has_recursion, 0
	.set _ZN7rocprim17ROCPRIM_400000_NS6detail17trampoline_kernelINS0_13select_configILj256ELj13ELNS0_17block_load_methodE3ELS4_3ELS4_3ELNS0_20block_scan_algorithmE0ELj4294967295EEENS1_25partition_config_selectorILNS1_17partition_subalgoE4EjNS0_10empty_typeEbEEZZNS1_14partition_implILS8_4ELb0ES6_15HIP_vector_typeIjLj2EENS0_17counting_iteratorIjlEEPS9_SG_NS0_5tupleIJPjSI_NS0_16reverse_iteratorISI_EEEEENSH_IJSG_SG_SG_EEES9_SI_JZNS1_25segmented_radix_sort_implINS0_14default_configELb1EPKhPhPKlPlN2at6native12_GLOBAL__N_18offset_tEEE10hipError_tPvRmT1_PNSt15iterator_traitsIS12_E10value_typeET2_T3_PNS13_IS18_E10value_typeET4_jRbjT5_S1E_jjP12ihipStream_tbEUljE_ZNSN_ISO_Lb1ESQ_SR_ST_SU_SY_EESZ_S10_S11_S12_S16_S17_S18_S1B_S1C_jS1D_jS1E_S1E_jjS1G_bEUljE0_EEESZ_S10_S11_S18_S1C_S1E_T6_T7_T9_mT8_S1G_bDpT10_ENKUlT_T0_E_clISt17integral_constantIbLb0EES1T_IbLb1EEEEDaS1P_S1Q_EUlS1P_E_NS1_11comp_targetILNS1_3genE10ELNS1_11target_archE1200ELNS1_3gpuE4ELNS1_3repE0EEENS1_30default_config_static_selectorELNS0_4arch9wavefront6targetE0EEEvS12_.has_indirect_call, 0
	.section	.AMDGPU.csdata,"",@progbits
; Kernel info:
; codeLenInByte = 0
; TotalNumSgprs: 0
; NumVgprs: 0
; ScratchSize: 0
; MemoryBound: 0
; FloatMode: 240
; IeeeMode: 1
; LDSByteSize: 0 bytes/workgroup (compile time only)
; SGPRBlocks: 0
; VGPRBlocks: 0
; NumSGPRsForWavesPerEU: 1
; NumVGPRsForWavesPerEU: 1
; NamedBarCnt: 0
; Occupancy: 16
; WaveLimiterHint : 0
; COMPUTE_PGM_RSRC2:SCRATCH_EN: 0
; COMPUTE_PGM_RSRC2:USER_SGPR: 2
; COMPUTE_PGM_RSRC2:TRAP_HANDLER: 0
; COMPUTE_PGM_RSRC2:TGID_X_EN: 1
; COMPUTE_PGM_RSRC2:TGID_Y_EN: 0
; COMPUTE_PGM_RSRC2:TGID_Z_EN: 0
; COMPUTE_PGM_RSRC2:TIDIG_COMP_CNT: 0
	.section	.text._ZN7rocprim17ROCPRIM_400000_NS6detail17trampoline_kernelINS0_13select_configILj256ELj13ELNS0_17block_load_methodE3ELS4_3ELS4_3ELNS0_20block_scan_algorithmE0ELj4294967295EEENS1_25partition_config_selectorILNS1_17partition_subalgoE4EjNS0_10empty_typeEbEEZZNS1_14partition_implILS8_4ELb0ES6_15HIP_vector_typeIjLj2EENS0_17counting_iteratorIjlEEPS9_SG_NS0_5tupleIJPjSI_NS0_16reverse_iteratorISI_EEEEENSH_IJSG_SG_SG_EEES9_SI_JZNS1_25segmented_radix_sort_implINS0_14default_configELb1EPKhPhPKlPlN2at6native12_GLOBAL__N_18offset_tEEE10hipError_tPvRmT1_PNSt15iterator_traitsIS12_E10value_typeET2_T3_PNS13_IS18_E10value_typeET4_jRbjT5_S1E_jjP12ihipStream_tbEUljE_ZNSN_ISO_Lb1ESQ_SR_ST_SU_SY_EESZ_S10_S11_S12_S16_S17_S18_S1B_S1C_jS1D_jS1E_S1E_jjS1G_bEUljE0_EEESZ_S10_S11_S18_S1C_S1E_T6_T7_T9_mT8_S1G_bDpT10_ENKUlT_T0_E_clISt17integral_constantIbLb0EES1T_IbLb1EEEEDaS1P_S1Q_EUlS1P_E_NS1_11comp_targetILNS1_3genE9ELNS1_11target_archE1100ELNS1_3gpuE3ELNS1_3repE0EEENS1_30default_config_static_selectorELNS0_4arch9wavefront6targetE0EEEvS12_,"axG",@progbits,_ZN7rocprim17ROCPRIM_400000_NS6detail17trampoline_kernelINS0_13select_configILj256ELj13ELNS0_17block_load_methodE3ELS4_3ELS4_3ELNS0_20block_scan_algorithmE0ELj4294967295EEENS1_25partition_config_selectorILNS1_17partition_subalgoE4EjNS0_10empty_typeEbEEZZNS1_14partition_implILS8_4ELb0ES6_15HIP_vector_typeIjLj2EENS0_17counting_iteratorIjlEEPS9_SG_NS0_5tupleIJPjSI_NS0_16reverse_iteratorISI_EEEEENSH_IJSG_SG_SG_EEES9_SI_JZNS1_25segmented_radix_sort_implINS0_14default_configELb1EPKhPhPKlPlN2at6native12_GLOBAL__N_18offset_tEEE10hipError_tPvRmT1_PNSt15iterator_traitsIS12_E10value_typeET2_T3_PNS13_IS18_E10value_typeET4_jRbjT5_S1E_jjP12ihipStream_tbEUljE_ZNSN_ISO_Lb1ESQ_SR_ST_SU_SY_EESZ_S10_S11_S12_S16_S17_S18_S1B_S1C_jS1D_jS1E_S1E_jjS1G_bEUljE0_EEESZ_S10_S11_S18_S1C_S1E_T6_T7_T9_mT8_S1G_bDpT10_ENKUlT_T0_E_clISt17integral_constantIbLb0EES1T_IbLb1EEEEDaS1P_S1Q_EUlS1P_E_NS1_11comp_targetILNS1_3genE9ELNS1_11target_archE1100ELNS1_3gpuE3ELNS1_3repE0EEENS1_30default_config_static_selectorELNS0_4arch9wavefront6targetE0EEEvS12_,comdat
	.globl	_ZN7rocprim17ROCPRIM_400000_NS6detail17trampoline_kernelINS0_13select_configILj256ELj13ELNS0_17block_load_methodE3ELS4_3ELS4_3ELNS0_20block_scan_algorithmE0ELj4294967295EEENS1_25partition_config_selectorILNS1_17partition_subalgoE4EjNS0_10empty_typeEbEEZZNS1_14partition_implILS8_4ELb0ES6_15HIP_vector_typeIjLj2EENS0_17counting_iteratorIjlEEPS9_SG_NS0_5tupleIJPjSI_NS0_16reverse_iteratorISI_EEEEENSH_IJSG_SG_SG_EEES9_SI_JZNS1_25segmented_radix_sort_implINS0_14default_configELb1EPKhPhPKlPlN2at6native12_GLOBAL__N_18offset_tEEE10hipError_tPvRmT1_PNSt15iterator_traitsIS12_E10value_typeET2_T3_PNS13_IS18_E10value_typeET4_jRbjT5_S1E_jjP12ihipStream_tbEUljE_ZNSN_ISO_Lb1ESQ_SR_ST_SU_SY_EESZ_S10_S11_S12_S16_S17_S18_S1B_S1C_jS1D_jS1E_S1E_jjS1G_bEUljE0_EEESZ_S10_S11_S18_S1C_S1E_T6_T7_T9_mT8_S1G_bDpT10_ENKUlT_T0_E_clISt17integral_constantIbLb0EES1T_IbLb1EEEEDaS1P_S1Q_EUlS1P_E_NS1_11comp_targetILNS1_3genE9ELNS1_11target_archE1100ELNS1_3gpuE3ELNS1_3repE0EEENS1_30default_config_static_selectorELNS0_4arch9wavefront6targetE0EEEvS12_ ; -- Begin function _ZN7rocprim17ROCPRIM_400000_NS6detail17trampoline_kernelINS0_13select_configILj256ELj13ELNS0_17block_load_methodE3ELS4_3ELS4_3ELNS0_20block_scan_algorithmE0ELj4294967295EEENS1_25partition_config_selectorILNS1_17partition_subalgoE4EjNS0_10empty_typeEbEEZZNS1_14partition_implILS8_4ELb0ES6_15HIP_vector_typeIjLj2EENS0_17counting_iteratorIjlEEPS9_SG_NS0_5tupleIJPjSI_NS0_16reverse_iteratorISI_EEEEENSH_IJSG_SG_SG_EEES9_SI_JZNS1_25segmented_radix_sort_implINS0_14default_configELb1EPKhPhPKlPlN2at6native12_GLOBAL__N_18offset_tEEE10hipError_tPvRmT1_PNSt15iterator_traitsIS12_E10value_typeET2_T3_PNS13_IS18_E10value_typeET4_jRbjT5_S1E_jjP12ihipStream_tbEUljE_ZNSN_ISO_Lb1ESQ_SR_ST_SU_SY_EESZ_S10_S11_S12_S16_S17_S18_S1B_S1C_jS1D_jS1E_S1E_jjS1G_bEUljE0_EEESZ_S10_S11_S18_S1C_S1E_T6_T7_T9_mT8_S1G_bDpT10_ENKUlT_T0_E_clISt17integral_constantIbLb0EES1T_IbLb1EEEEDaS1P_S1Q_EUlS1P_E_NS1_11comp_targetILNS1_3genE9ELNS1_11target_archE1100ELNS1_3gpuE3ELNS1_3repE0EEENS1_30default_config_static_selectorELNS0_4arch9wavefront6targetE0EEEvS12_
	.p2align	8
	.type	_ZN7rocprim17ROCPRIM_400000_NS6detail17trampoline_kernelINS0_13select_configILj256ELj13ELNS0_17block_load_methodE3ELS4_3ELS4_3ELNS0_20block_scan_algorithmE0ELj4294967295EEENS1_25partition_config_selectorILNS1_17partition_subalgoE4EjNS0_10empty_typeEbEEZZNS1_14partition_implILS8_4ELb0ES6_15HIP_vector_typeIjLj2EENS0_17counting_iteratorIjlEEPS9_SG_NS0_5tupleIJPjSI_NS0_16reverse_iteratorISI_EEEEENSH_IJSG_SG_SG_EEES9_SI_JZNS1_25segmented_radix_sort_implINS0_14default_configELb1EPKhPhPKlPlN2at6native12_GLOBAL__N_18offset_tEEE10hipError_tPvRmT1_PNSt15iterator_traitsIS12_E10value_typeET2_T3_PNS13_IS18_E10value_typeET4_jRbjT5_S1E_jjP12ihipStream_tbEUljE_ZNSN_ISO_Lb1ESQ_SR_ST_SU_SY_EESZ_S10_S11_S12_S16_S17_S18_S1B_S1C_jS1D_jS1E_S1E_jjS1G_bEUljE0_EEESZ_S10_S11_S18_S1C_S1E_T6_T7_T9_mT8_S1G_bDpT10_ENKUlT_T0_E_clISt17integral_constantIbLb0EES1T_IbLb1EEEEDaS1P_S1Q_EUlS1P_E_NS1_11comp_targetILNS1_3genE9ELNS1_11target_archE1100ELNS1_3gpuE3ELNS1_3repE0EEENS1_30default_config_static_selectorELNS0_4arch9wavefront6targetE0EEEvS12_,@function
_ZN7rocprim17ROCPRIM_400000_NS6detail17trampoline_kernelINS0_13select_configILj256ELj13ELNS0_17block_load_methodE3ELS4_3ELS4_3ELNS0_20block_scan_algorithmE0ELj4294967295EEENS1_25partition_config_selectorILNS1_17partition_subalgoE4EjNS0_10empty_typeEbEEZZNS1_14partition_implILS8_4ELb0ES6_15HIP_vector_typeIjLj2EENS0_17counting_iteratorIjlEEPS9_SG_NS0_5tupleIJPjSI_NS0_16reverse_iteratorISI_EEEEENSH_IJSG_SG_SG_EEES9_SI_JZNS1_25segmented_radix_sort_implINS0_14default_configELb1EPKhPhPKlPlN2at6native12_GLOBAL__N_18offset_tEEE10hipError_tPvRmT1_PNSt15iterator_traitsIS12_E10value_typeET2_T3_PNS13_IS18_E10value_typeET4_jRbjT5_S1E_jjP12ihipStream_tbEUljE_ZNSN_ISO_Lb1ESQ_SR_ST_SU_SY_EESZ_S10_S11_S12_S16_S17_S18_S1B_S1C_jS1D_jS1E_S1E_jjS1G_bEUljE0_EEESZ_S10_S11_S18_S1C_S1E_T6_T7_T9_mT8_S1G_bDpT10_ENKUlT_T0_E_clISt17integral_constantIbLb0EES1T_IbLb1EEEEDaS1P_S1Q_EUlS1P_E_NS1_11comp_targetILNS1_3genE9ELNS1_11target_archE1100ELNS1_3gpuE3ELNS1_3repE0EEENS1_30default_config_static_selectorELNS0_4arch9wavefront6targetE0EEEvS12_: ; @_ZN7rocprim17ROCPRIM_400000_NS6detail17trampoline_kernelINS0_13select_configILj256ELj13ELNS0_17block_load_methodE3ELS4_3ELS4_3ELNS0_20block_scan_algorithmE0ELj4294967295EEENS1_25partition_config_selectorILNS1_17partition_subalgoE4EjNS0_10empty_typeEbEEZZNS1_14partition_implILS8_4ELb0ES6_15HIP_vector_typeIjLj2EENS0_17counting_iteratorIjlEEPS9_SG_NS0_5tupleIJPjSI_NS0_16reverse_iteratorISI_EEEEENSH_IJSG_SG_SG_EEES9_SI_JZNS1_25segmented_radix_sort_implINS0_14default_configELb1EPKhPhPKlPlN2at6native12_GLOBAL__N_18offset_tEEE10hipError_tPvRmT1_PNSt15iterator_traitsIS12_E10value_typeET2_T3_PNS13_IS18_E10value_typeET4_jRbjT5_S1E_jjP12ihipStream_tbEUljE_ZNSN_ISO_Lb1ESQ_SR_ST_SU_SY_EESZ_S10_S11_S12_S16_S17_S18_S1B_S1C_jS1D_jS1E_S1E_jjS1G_bEUljE0_EEESZ_S10_S11_S18_S1C_S1E_T6_T7_T9_mT8_S1G_bDpT10_ENKUlT_T0_E_clISt17integral_constantIbLb0EES1T_IbLb1EEEEDaS1P_S1Q_EUlS1P_E_NS1_11comp_targetILNS1_3genE9ELNS1_11target_archE1100ELNS1_3gpuE3ELNS1_3repE0EEENS1_30default_config_static_selectorELNS0_4arch9wavefront6targetE0EEEvS12_
; %bb.0:
	.section	.rodata,"a",@progbits
	.p2align	6, 0x0
	.amdhsa_kernel _ZN7rocprim17ROCPRIM_400000_NS6detail17trampoline_kernelINS0_13select_configILj256ELj13ELNS0_17block_load_methodE3ELS4_3ELS4_3ELNS0_20block_scan_algorithmE0ELj4294967295EEENS1_25partition_config_selectorILNS1_17partition_subalgoE4EjNS0_10empty_typeEbEEZZNS1_14partition_implILS8_4ELb0ES6_15HIP_vector_typeIjLj2EENS0_17counting_iteratorIjlEEPS9_SG_NS0_5tupleIJPjSI_NS0_16reverse_iteratorISI_EEEEENSH_IJSG_SG_SG_EEES9_SI_JZNS1_25segmented_radix_sort_implINS0_14default_configELb1EPKhPhPKlPlN2at6native12_GLOBAL__N_18offset_tEEE10hipError_tPvRmT1_PNSt15iterator_traitsIS12_E10value_typeET2_T3_PNS13_IS18_E10value_typeET4_jRbjT5_S1E_jjP12ihipStream_tbEUljE_ZNSN_ISO_Lb1ESQ_SR_ST_SU_SY_EESZ_S10_S11_S12_S16_S17_S18_S1B_S1C_jS1D_jS1E_S1E_jjS1G_bEUljE0_EEESZ_S10_S11_S18_S1C_S1E_T6_T7_T9_mT8_S1G_bDpT10_ENKUlT_T0_E_clISt17integral_constantIbLb0EES1T_IbLb1EEEEDaS1P_S1Q_EUlS1P_E_NS1_11comp_targetILNS1_3genE9ELNS1_11target_archE1100ELNS1_3gpuE3ELNS1_3repE0EEENS1_30default_config_static_selectorELNS0_4arch9wavefront6targetE0EEEvS12_
		.amdhsa_group_segment_fixed_size 0
		.amdhsa_private_segment_fixed_size 0
		.amdhsa_kernarg_size 184
		.amdhsa_user_sgpr_count 2
		.amdhsa_user_sgpr_dispatch_ptr 0
		.amdhsa_user_sgpr_queue_ptr 0
		.amdhsa_user_sgpr_kernarg_segment_ptr 1
		.amdhsa_user_sgpr_dispatch_id 0
		.amdhsa_user_sgpr_kernarg_preload_length 0
		.amdhsa_user_sgpr_kernarg_preload_offset 0
		.amdhsa_user_sgpr_private_segment_size 0
		.amdhsa_wavefront_size32 1
		.amdhsa_uses_dynamic_stack 0
		.amdhsa_enable_private_segment 0
		.amdhsa_system_sgpr_workgroup_id_x 1
		.amdhsa_system_sgpr_workgroup_id_y 0
		.amdhsa_system_sgpr_workgroup_id_z 0
		.amdhsa_system_sgpr_workgroup_info 0
		.amdhsa_system_vgpr_workitem_id 0
		.amdhsa_next_free_vgpr 1
		.amdhsa_next_free_sgpr 1
		.amdhsa_named_barrier_count 0
		.amdhsa_reserve_vcc 0
		.amdhsa_float_round_mode_32 0
		.amdhsa_float_round_mode_16_64 0
		.amdhsa_float_denorm_mode_32 3
		.amdhsa_float_denorm_mode_16_64 3
		.amdhsa_fp16_overflow 0
		.amdhsa_memory_ordered 1
		.amdhsa_forward_progress 1
		.amdhsa_inst_pref_size 0
		.amdhsa_round_robin_scheduling 0
		.amdhsa_exception_fp_ieee_invalid_op 0
		.amdhsa_exception_fp_denorm_src 0
		.amdhsa_exception_fp_ieee_div_zero 0
		.amdhsa_exception_fp_ieee_overflow 0
		.amdhsa_exception_fp_ieee_underflow 0
		.amdhsa_exception_fp_ieee_inexact 0
		.amdhsa_exception_int_div_zero 0
	.end_amdhsa_kernel
	.section	.text._ZN7rocprim17ROCPRIM_400000_NS6detail17trampoline_kernelINS0_13select_configILj256ELj13ELNS0_17block_load_methodE3ELS4_3ELS4_3ELNS0_20block_scan_algorithmE0ELj4294967295EEENS1_25partition_config_selectorILNS1_17partition_subalgoE4EjNS0_10empty_typeEbEEZZNS1_14partition_implILS8_4ELb0ES6_15HIP_vector_typeIjLj2EENS0_17counting_iteratorIjlEEPS9_SG_NS0_5tupleIJPjSI_NS0_16reverse_iteratorISI_EEEEENSH_IJSG_SG_SG_EEES9_SI_JZNS1_25segmented_radix_sort_implINS0_14default_configELb1EPKhPhPKlPlN2at6native12_GLOBAL__N_18offset_tEEE10hipError_tPvRmT1_PNSt15iterator_traitsIS12_E10value_typeET2_T3_PNS13_IS18_E10value_typeET4_jRbjT5_S1E_jjP12ihipStream_tbEUljE_ZNSN_ISO_Lb1ESQ_SR_ST_SU_SY_EESZ_S10_S11_S12_S16_S17_S18_S1B_S1C_jS1D_jS1E_S1E_jjS1G_bEUljE0_EEESZ_S10_S11_S18_S1C_S1E_T6_T7_T9_mT8_S1G_bDpT10_ENKUlT_T0_E_clISt17integral_constantIbLb0EES1T_IbLb1EEEEDaS1P_S1Q_EUlS1P_E_NS1_11comp_targetILNS1_3genE9ELNS1_11target_archE1100ELNS1_3gpuE3ELNS1_3repE0EEENS1_30default_config_static_selectorELNS0_4arch9wavefront6targetE0EEEvS12_,"axG",@progbits,_ZN7rocprim17ROCPRIM_400000_NS6detail17trampoline_kernelINS0_13select_configILj256ELj13ELNS0_17block_load_methodE3ELS4_3ELS4_3ELNS0_20block_scan_algorithmE0ELj4294967295EEENS1_25partition_config_selectorILNS1_17partition_subalgoE4EjNS0_10empty_typeEbEEZZNS1_14partition_implILS8_4ELb0ES6_15HIP_vector_typeIjLj2EENS0_17counting_iteratorIjlEEPS9_SG_NS0_5tupleIJPjSI_NS0_16reverse_iteratorISI_EEEEENSH_IJSG_SG_SG_EEES9_SI_JZNS1_25segmented_radix_sort_implINS0_14default_configELb1EPKhPhPKlPlN2at6native12_GLOBAL__N_18offset_tEEE10hipError_tPvRmT1_PNSt15iterator_traitsIS12_E10value_typeET2_T3_PNS13_IS18_E10value_typeET4_jRbjT5_S1E_jjP12ihipStream_tbEUljE_ZNSN_ISO_Lb1ESQ_SR_ST_SU_SY_EESZ_S10_S11_S12_S16_S17_S18_S1B_S1C_jS1D_jS1E_S1E_jjS1G_bEUljE0_EEESZ_S10_S11_S18_S1C_S1E_T6_T7_T9_mT8_S1G_bDpT10_ENKUlT_T0_E_clISt17integral_constantIbLb0EES1T_IbLb1EEEEDaS1P_S1Q_EUlS1P_E_NS1_11comp_targetILNS1_3genE9ELNS1_11target_archE1100ELNS1_3gpuE3ELNS1_3repE0EEENS1_30default_config_static_selectorELNS0_4arch9wavefront6targetE0EEEvS12_,comdat
.Lfunc_end45:
	.size	_ZN7rocprim17ROCPRIM_400000_NS6detail17trampoline_kernelINS0_13select_configILj256ELj13ELNS0_17block_load_methodE3ELS4_3ELS4_3ELNS0_20block_scan_algorithmE0ELj4294967295EEENS1_25partition_config_selectorILNS1_17partition_subalgoE4EjNS0_10empty_typeEbEEZZNS1_14partition_implILS8_4ELb0ES6_15HIP_vector_typeIjLj2EENS0_17counting_iteratorIjlEEPS9_SG_NS0_5tupleIJPjSI_NS0_16reverse_iteratorISI_EEEEENSH_IJSG_SG_SG_EEES9_SI_JZNS1_25segmented_radix_sort_implINS0_14default_configELb1EPKhPhPKlPlN2at6native12_GLOBAL__N_18offset_tEEE10hipError_tPvRmT1_PNSt15iterator_traitsIS12_E10value_typeET2_T3_PNS13_IS18_E10value_typeET4_jRbjT5_S1E_jjP12ihipStream_tbEUljE_ZNSN_ISO_Lb1ESQ_SR_ST_SU_SY_EESZ_S10_S11_S12_S16_S17_S18_S1B_S1C_jS1D_jS1E_S1E_jjS1G_bEUljE0_EEESZ_S10_S11_S18_S1C_S1E_T6_T7_T9_mT8_S1G_bDpT10_ENKUlT_T0_E_clISt17integral_constantIbLb0EES1T_IbLb1EEEEDaS1P_S1Q_EUlS1P_E_NS1_11comp_targetILNS1_3genE9ELNS1_11target_archE1100ELNS1_3gpuE3ELNS1_3repE0EEENS1_30default_config_static_selectorELNS0_4arch9wavefront6targetE0EEEvS12_, .Lfunc_end45-_ZN7rocprim17ROCPRIM_400000_NS6detail17trampoline_kernelINS0_13select_configILj256ELj13ELNS0_17block_load_methodE3ELS4_3ELS4_3ELNS0_20block_scan_algorithmE0ELj4294967295EEENS1_25partition_config_selectorILNS1_17partition_subalgoE4EjNS0_10empty_typeEbEEZZNS1_14partition_implILS8_4ELb0ES6_15HIP_vector_typeIjLj2EENS0_17counting_iteratorIjlEEPS9_SG_NS0_5tupleIJPjSI_NS0_16reverse_iteratorISI_EEEEENSH_IJSG_SG_SG_EEES9_SI_JZNS1_25segmented_radix_sort_implINS0_14default_configELb1EPKhPhPKlPlN2at6native12_GLOBAL__N_18offset_tEEE10hipError_tPvRmT1_PNSt15iterator_traitsIS12_E10value_typeET2_T3_PNS13_IS18_E10value_typeET4_jRbjT5_S1E_jjP12ihipStream_tbEUljE_ZNSN_ISO_Lb1ESQ_SR_ST_SU_SY_EESZ_S10_S11_S12_S16_S17_S18_S1B_S1C_jS1D_jS1E_S1E_jjS1G_bEUljE0_EEESZ_S10_S11_S18_S1C_S1E_T6_T7_T9_mT8_S1G_bDpT10_ENKUlT_T0_E_clISt17integral_constantIbLb0EES1T_IbLb1EEEEDaS1P_S1Q_EUlS1P_E_NS1_11comp_targetILNS1_3genE9ELNS1_11target_archE1100ELNS1_3gpuE3ELNS1_3repE0EEENS1_30default_config_static_selectorELNS0_4arch9wavefront6targetE0EEEvS12_
                                        ; -- End function
	.set _ZN7rocprim17ROCPRIM_400000_NS6detail17trampoline_kernelINS0_13select_configILj256ELj13ELNS0_17block_load_methodE3ELS4_3ELS4_3ELNS0_20block_scan_algorithmE0ELj4294967295EEENS1_25partition_config_selectorILNS1_17partition_subalgoE4EjNS0_10empty_typeEbEEZZNS1_14partition_implILS8_4ELb0ES6_15HIP_vector_typeIjLj2EENS0_17counting_iteratorIjlEEPS9_SG_NS0_5tupleIJPjSI_NS0_16reverse_iteratorISI_EEEEENSH_IJSG_SG_SG_EEES9_SI_JZNS1_25segmented_radix_sort_implINS0_14default_configELb1EPKhPhPKlPlN2at6native12_GLOBAL__N_18offset_tEEE10hipError_tPvRmT1_PNSt15iterator_traitsIS12_E10value_typeET2_T3_PNS13_IS18_E10value_typeET4_jRbjT5_S1E_jjP12ihipStream_tbEUljE_ZNSN_ISO_Lb1ESQ_SR_ST_SU_SY_EESZ_S10_S11_S12_S16_S17_S18_S1B_S1C_jS1D_jS1E_S1E_jjS1G_bEUljE0_EEESZ_S10_S11_S18_S1C_S1E_T6_T7_T9_mT8_S1G_bDpT10_ENKUlT_T0_E_clISt17integral_constantIbLb0EES1T_IbLb1EEEEDaS1P_S1Q_EUlS1P_E_NS1_11comp_targetILNS1_3genE9ELNS1_11target_archE1100ELNS1_3gpuE3ELNS1_3repE0EEENS1_30default_config_static_selectorELNS0_4arch9wavefront6targetE0EEEvS12_.num_vgpr, 0
	.set _ZN7rocprim17ROCPRIM_400000_NS6detail17trampoline_kernelINS0_13select_configILj256ELj13ELNS0_17block_load_methodE3ELS4_3ELS4_3ELNS0_20block_scan_algorithmE0ELj4294967295EEENS1_25partition_config_selectorILNS1_17partition_subalgoE4EjNS0_10empty_typeEbEEZZNS1_14partition_implILS8_4ELb0ES6_15HIP_vector_typeIjLj2EENS0_17counting_iteratorIjlEEPS9_SG_NS0_5tupleIJPjSI_NS0_16reverse_iteratorISI_EEEEENSH_IJSG_SG_SG_EEES9_SI_JZNS1_25segmented_radix_sort_implINS0_14default_configELb1EPKhPhPKlPlN2at6native12_GLOBAL__N_18offset_tEEE10hipError_tPvRmT1_PNSt15iterator_traitsIS12_E10value_typeET2_T3_PNS13_IS18_E10value_typeET4_jRbjT5_S1E_jjP12ihipStream_tbEUljE_ZNSN_ISO_Lb1ESQ_SR_ST_SU_SY_EESZ_S10_S11_S12_S16_S17_S18_S1B_S1C_jS1D_jS1E_S1E_jjS1G_bEUljE0_EEESZ_S10_S11_S18_S1C_S1E_T6_T7_T9_mT8_S1G_bDpT10_ENKUlT_T0_E_clISt17integral_constantIbLb0EES1T_IbLb1EEEEDaS1P_S1Q_EUlS1P_E_NS1_11comp_targetILNS1_3genE9ELNS1_11target_archE1100ELNS1_3gpuE3ELNS1_3repE0EEENS1_30default_config_static_selectorELNS0_4arch9wavefront6targetE0EEEvS12_.num_agpr, 0
	.set _ZN7rocprim17ROCPRIM_400000_NS6detail17trampoline_kernelINS0_13select_configILj256ELj13ELNS0_17block_load_methodE3ELS4_3ELS4_3ELNS0_20block_scan_algorithmE0ELj4294967295EEENS1_25partition_config_selectorILNS1_17partition_subalgoE4EjNS0_10empty_typeEbEEZZNS1_14partition_implILS8_4ELb0ES6_15HIP_vector_typeIjLj2EENS0_17counting_iteratorIjlEEPS9_SG_NS0_5tupleIJPjSI_NS0_16reverse_iteratorISI_EEEEENSH_IJSG_SG_SG_EEES9_SI_JZNS1_25segmented_radix_sort_implINS0_14default_configELb1EPKhPhPKlPlN2at6native12_GLOBAL__N_18offset_tEEE10hipError_tPvRmT1_PNSt15iterator_traitsIS12_E10value_typeET2_T3_PNS13_IS18_E10value_typeET4_jRbjT5_S1E_jjP12ihipStream_tbEUljE_ZNSN_ISO_Lb1ESQ_SR_ST_SU_SY_EESZ_S10_S11_S12_S16_S17_S18_S1B_S1C_jS1D_jS1E_S1E_jjS1G_bEUljE0_EEESZ_S10_S11_S18_S1C_S1E_T6_T7_T9_mT8_S1G_bDpT10_ENKUlT_T0_E_clISt17integral_constantIbLb0EES1T_IbLb1EEEEDaS1P_S1Q_EUlS1P_E_NS1_11comp_targetILNS1_3genE9ELNS1_11target_archE1100ELNS1_3gpuE3ELNS1_3repE0EEENS1_30default_config_static_selectorELNS0_4arch9wavefront6targetE0EEEvS12_.numbered_sgpr, 0
	.set _ZN7rocprim17ROCPRIM_400000_NS6detail17trampoline_kernelINS0_13select_configILj256ELj13ELNS0_17block_load_methodE3ELS4_3ELS4_3ELNS0_20block_scan_algorithmE0ELj4294967295EEENS1_25partition_config_selectorILNS1_17partition_subalgoE4EjNS0_10empty_typeEbEEZZNS1_14partition_implILS8_4ELb0ES6_15HIP_vector_typeIjLj2EENS0_17counting_iteratorIjlEEPS9_SG_NS0_5tupleIJPjSI_NS0_16reverse_iteratorISI_EEEEENSH_IJSG_SG_SG_EEES9_SI_JZNS1_25segmented_radix_sort_implINS0_14default_configELb1EPKhPhPKlPlN2at6native12_GLOBAL__N_18offset_tEEE10hipError_tPvRmT1_PNSt15iterator_traitsIS12_E10value_typeET2_T3_PNS13_IS18_E10value_typeET4_jRbjT5_S1E_jjP12ihipStream_tbEUljE_ZNSN_ISO_Lb1ESQ_SR_ST_SU_SY_EESZ_S10_S11_S12_S16_S17_S18_S1B_S1C_jS1D_jS1E_S1E_jjS1G_bEUljE0_EEESZ_S10_S11_S18_S1C_S1E_T6_T7_T9_mT8_S1G_bDpT10_ENKUlT_T0_E_clISt17integral_constantIbLb0EES1T_IbLb1EEEEDaS1P_S1Q_EUlS1P_E_NS1_11comp_targetILNS1_3genE9ELNS1_11target_archE1100ELNS1_3gpuE3ELNS1_3repE0EEENS1_30default_config_static_selectorELNS0_4arch9wavefront6targetE0EEEvS12_.num_named_barrier, 0
	.set _ZN7rocprim17ROCPRIM_400000_NS6detail17trampoline_kernelINS0_13select_configILj256ELj13ELNS0_17block_load_methodE3ELS4_3ELS4_3ELNS0_20block_scan_algorithmE0ELj4294967295EEENS1_25partition_config_selectorILNS1_17partition_subalgoE4EjNS0_10empty_typeEbEEZZNS1_14partition_implILS8_4ELb0ES6_15HIP_vector_typeIjLj2EENS0_17counting_iteratorIjlEEPS9_SG_NS0_5tupleIJPjSI_NS0_16reverse_iteratorISI_EEEEENSH_IJSG_SG_SG_EEES9_SI_JZNS1_25segmented_radix_sort_implINS0_14default_configELb1EPKhPhPKlPlN2at6native12_GLOBAL__N_18offset_tEEE10hipError_tPvRmT1_PNSt15iterator_traitsIS12_E10value_typeET2_T3_PNS13_IS18_E10value_typeET4_jRbjT5_S1E_jjP12ihipStream_tbEUljE_ZNSN_ISO_Lb1ESQ_SR_ST_SU_SY_EESZ_S10_S11_S12_S16_S17_S18_S1B_S1C_jS1D_jS1E_S1E_jjS1G_bEUljE0_EEESZ_S10_S11_S18_S1C_S1E_T6_T7_T9_mT8_S1G_bDpT10_ENKUlT_T0_E_clISt17integral_constantIbLb0EES1T_IbLb1EEEEDaS1P_S1Q_EUlS1P_E_NS1_11comp_targetILNS1_3genE9ELNS1_11target_archE1100ELNS1_3gpuE3ELNS1_3repE0EEENS1_30default_config_static_selectorELNS0_4arch9wavefront6targetE0EEEvS12_.private_seg_size, 0
	.set _ZN7rocprim17ROCPRIM_400000_NS6detail17trampoline_kernelINS0_13select_configILj256ELj13ELNS0_17block_load_methodE3ELS4_3ELS4_3ELNS0_20block_scan_algorithmE0ELj4294967295EEENS1_25partition_config_selectorILNS1_17partition_subalgoE4EjNS0_10empty_typeEbEEZZNS1_14partition_implILS8_4ELb0ES6_15HIP_vector_typeIjLj2EENS0_17counting_iteratorIjlEEPS9_SG_NS0_5tupleIJPjSI_NS0_16reverse_iteratorISI_EEEEENSH_IJSG_SG_SG_EEES9_SI_JZNS1_25segmented_radix_sort_implINS0_14default_configELb1EPKhPhPKlPlN2at6native12_GLOBAL__N_18offset_tEEE10hipError_tPvRmT1_PNSt15iterator_traitsIS12_E10value_typeET2_T3_PNS13_IS18_E10value_typeET4_jRbjT5_S1E_jjP12ihipStream_tbEUljE_ZNSN_ISO_Lb1ESQ_SR_ST_SU_SY_EESZ_S10_S11_S12_S16_S17_S18_S1B_S1C_jS1D_jS1E_S1E_jjS1G_bEUljE0_EEESZ_S10_S11_S18_S1C_S1E_T6_T7_T9_mT8_S1G_bDpT10_ENKUlT_T0_E_clISt17integral_constantIbLb0EES1T_IbLb1EEEEDaS1P_S1Q_EUlS1P_E_NS1_11comp_targetILNS1_3genE9ELNS1_11target_archE1100ELNS1_3gpuE3ELNS1_3repE0EEENS1_30default_config_static_selectorELNS0_4arch9wavefront6targetE0EEEvS12_.uses_vcc, 0
	.set _ZN7rocprim17ROCPRIM_400000_NS6detail17trampoline_kernelINS0_13select_configILj256ELj13ELNS0_17block_load_methodE3ELS4_3ELS4_3ELNS0_20block_scan_algorithmE0ELj4294967295EEENS1_25partition_config_selectorILNS1_17partition_subalgoE4EjNS0_10empty_typeEbEEZZNS1_14partition_implILS8_4ELb0ES6_15HIP_vector_typeIjLj2EENS0_17counting_iteratorIjlEEPS9_SG_NS0_5tupleIJPjSI_NS0_16reverse_iteratorISI_EEEEENSH_IJSG_SG_SG_EEES9_SI_JZNS1_25segmented_radix_sort_implINS0_14default_configELb1EPKhPhPKlPlN2at6native12_GLOBAL__N_18offset_tEEE10hipError_tPvRmT1_PNSt15iterator_traitsIS12_E10value_typeET2_T3_PNS13_IS18_E10value_typeET4_jRbjT5_S1E_jjP12ihipStream_tbEUljE_ZNSN_ISO_Lb1ESQ_SR_ST_SU_SY_EESZ_S10_S11_S12_S16_S17_S18_S1B_S1C_jS1D_jS1E_S1E_jjS1G_bEUljE0_EEESZ_S10_S11_S18_S1C_S1E_T6_T7_T9_mT8_S1G_bDpT10_ENKUlT_T0_E_clISt17integral_constantIbLb0EES1T_IbLb1EEEEDaS1P_S1Q_EUlS1P_E_NS1_11comp_targetILNS1_3genE9ELNS1_11target_archE1100ELNS1_3gpuE3ELNS1_3repE0EEENS1_30default_config_static_selectorELNS0_4arch9wavefront6targetE0EEEvS12_.uses_flat_scratch, 0
	.set _ZN7rocprim17ROCPRIM_400000_NS6detail17trampoline_kernelINS0_13select_configILj256ELj13ELNS0_17block_load_methodE3ELS4_3ELS4_3ELNS0_20block_scan_algorithmE0ELj4294967295EEENS1_25partition_config_selectorILNS1_17partition_subalgoE4EjNS0_10empty_typeEbEEZZNS1_14partition_implILS8_4ELb0ES6_15HIP_vector_typeIjLj2EENS0_17counting_iteratorIjlEEPS9_SG_NS0_5tupleIJPjSI_NS0_16reverse_iteratorISI_EEEEENSH_IJSG_SG_SG_EEES9_SI_JZNS1_25segmented_radix_sort_implINS0_14default_configELb1EPKhPhPKlPlN2at6native12_GLOBAL__N_18offset_tEEE10hipError_tPvRmT1_PNSt15iterator_traitsIS12_E10value_typeET2_T3_PNS13_IS18_E10value_typeET4_jRbjT5_S1E_jjP12ihipStream_tbEUljE_ZNSN_ISO_Lb1ESQ_SR_ST_SU_SY_EESZ_S10_S11_S12_S16_S17_S18_S1B_S1C_jS1D_jS1E_S1E_jjS1G_bEUljE0_EEESZ_S10_S11_S18_S1C_S1E_T6_T7_T9_mT8_S1G_bDpT10_ENKUlT_T0_E_clISt17integral_constantIbLb0EES1T_IbLb1EEEEDaS1P_S1Q_EUlS1P_E_NS1_11comp_targetILNS1_3genE9ELNS1_11target_archE1100ELNS1_3gpuE3ELNS1_3repE0EEENS1_30default_config_static_selectorELNS0_4arch9wavefront6targetE0EEEvS12_.has_dyn_sized_stack, 0
	.set _ZN7rocprim17ROCPRIM_400000_NS6detail17trampoline_kernelINS0_13select_configILj256ELj13ELNS0_17block_load_methodE3ELS4_3ELS4_3ELNS0_20block_scan_algorithmE0ELj4294967295EEENS1_25partition_config_selectorILNS1_17partition_subalgoE4EjNS0_10empty_typeEbEEZZNS1_14partition_implILS8_4ELb0ES6_15HIP_vector_typeIjLj2EENS0_17counting_iteratorIjlEEPS9_SG_NS0_5tupleIJPjSI_NS0_16reverse_iteratorISI_EEEEENSH_IJSG_SG_SG_EEES9_SI_JZNS1_25segmented_radix_sort_implINS0_14default_configELb1EPKhPhPKlPlN2at6native12_GLOBAL__N_18offset_tEEE10hipError_tPvRmT1_PNSt15iterator_traitsIS12_E10value_typeET2_T3_PNS13_IS18_E10value_typeET4_jRbjT5_S1E_jjP12ihipStream_tbEUljE_ZNSN_ISO_Lb1ESQ_SR_ST_SU_SY_EESZ_S10_S11_S12_S16_S17_S18_S1B_S1C_jS1D_jS1E_S1E_jjS1G_bEUljE0_EEESZ_S10_S11_S18_S1C_S1E_T6_T7_T9_mT8_S1G_bDpT10_ENKUlT_T0_E_clISt17integral_constantIbLb0EES1T_IbLb1EEEEDaS1P_S1Q_EUlS1P_E_NS1_11comp_targetILNS1_3genE9ELNS1_11target_archE1100ELNS1_3gpuE3ELNS1_3repE0EEENS1_30default_config_static_selectorELNS0_4arch9wavefront6targetE0EEEvS12_.has_recursion, 0
	.set _ZN7rocprim17ROCPRIM_400000_NS6detail17trampoline_kernelINS0_13select_configILj256ELj13ELNS0_17block_load_methodE3ELS4_3ELS4_3ELNS0_20block_scan_algorithmE0ELj4294967295EEENS1_25partition_config_selectorILNS1_17partition_subalgoE4EjNS0_10empty_typeEbEEZZNS1_14partition_implILS8_4ELb0ES6_15HIP_vector_typeIjLj2EENS0_17counting_iteratorIjlEEPS9_SG_NS0_5tupleIJPjSI_NS0_16reverse_iteratorISI_EEEEENSH_IJSG_SG_SG_EEES9_SI_JZNS1_25segmented_radix_sort_implINS0_14default_configELb1EPKhPhPKlPlN2at6native12_GLOBAL__N_18offset_tEEE10hipError_tPvRmT1_PNSt15iterator_traitsIS12_E10value_typeET2_T3_PNS13_IS18_E10value_typeET4_jRbjT5_S1E_jjP12ihipStream_tbEUljE_ZNSN_ISO_Lb1ESQ_SR_ST_SU_SY_EESZ_S10_S11_S12_S16_S17_S18_S1B_S1C_jS1D_jS1E_S1E_jjS1G_bEUljE0_EEESZ_S10_S11_S18_S1C_S1E_T6_T7_T9_mT8_S1G_bDpT10_ENKUlT_T0_E_clISt17integral_constantIbLb0EES1T_IbLb1EEEEDaS1P_S1Q_EUlS1P_E_NS1_11comp_targetILNS1_3genE9ELNS1_11target_archE1100ELNS1_3gpuE3ELNS1_3repE0EEENS1_30default_config_static_selectorELNS0_4arch9wavefront6targetE0EEEvS12_.has_indirect_call, 0
	.section	.AMDGPU.csdata,"",@progbits
; Kernel info:
; codeLenInByte = 0
; TotalNumSgprs: 0
; NumVgprs: 0
; ScratchSize: 0
; MemoryBound: 0
; FloatMode: 240
; IeeeMode: 1
; LDSByteSize: 0 bytes/workgroup (compile time only)
; SGPRBlocks: 0
; VGPRBlocks: 0
; NumSGPRsForWavesPerEU: 1
; NumVGPRsForWavesPerEU: 1
; NamedBarCnt: 0
; Occupancy: 16
; WaveLimiterHint : 0
; COMPUTE_PGM_RSRC2:SCRATCH_EN: 0
; COMPUTE_PGM_RSRC2:USER_SGPR: 2
; COMPUTE_PGM_RSRC2:TRAP_HANDLER: 0
; COMPUTE_PGM_RSRC2:TGID_X_EN: 1
; COMPUTE_PGM_RSRC2:TGID_Y_EN: 0
; COMPUTE_PGM_RSRC2:TGID_Z_EN: 0
; COMPUTE_PGM_RSRC2:TIDIG_COMP_CNT: 0
	.section	.text._ZN7rocprim17ROCPRIM_400000_NS6detail17trampoline_kernelINS0_13select_configILj256ELj13ELNS0_17block_load_methodE3ELS4_3ELS4_3ELNS0_20block_scan_algorithmE0ELj4294967295EEENS1_25partition_config_selectorILNS1_17partition_subalgoE4EjNS0_10empty_typeEbEEZZNS1_14partition_implILS8_4ELb0ES6_15HIP_vector_typeIjLj2EENS0_17counting_iteratorIjlEEPS9_SG_NS0_5tupleIJPjSI_NS0_16reverse_iteratorISI_EEEEENSH_IJSG_SG_SG_EEES9_SI_JZNS1_25segmented_radix_sort_implINS0_14default_configELb1EPKhPhPKlPlN2at6native12_GLOBAL__N_18offset_tEEE10hipError_tPvRmT1_PNSt15iterator_traitsIS12_E10value_typeET2_T3_PNS13_IS18_E10value_typeET4_jRbjT5_S1E_jjP12ihipStream_tbEUljE_ZNSN_ISO_Lb1ESQ_SR_ST_SU_SY_EESZ_S10_S11_S12_S16_S17_S18_S1B_S1C_jS1D_jS1E_S1E_jjS1G_bEUljE0_EEESZ_S10_S11_S18_S1C_S1E_T6_T7_T9_mT8_S1G_bDpT10_ENKUlT_T0_E_clISt17integral_constantIbLb0EES1T_IbLb1EEEEDaS1P_S1Q_EUlS1P_E_NS1_11comp_targetILNS1_3genE8ELNS1_11target_archE1030ELNS1_3gpuE2ELNS1_3repE0EEENS1_30default_config_static_selectorELNS0_4arch9wavefront6targetE0EEEvS12_,"axG",@progbits,_ZN7rocprim17ROCPRIM_400000_NS6detail17trampoline_kernelINS0_13select_configILj256ELj13ELNS0_17block_load_methodE3ELS4_3ELS4_3ELNS0_20block_scan_algorithmE0ELj4294967295EEENS1_25partition_config_selectorILNS1_17partition_subalgoE4EjNS0_10empty_typeEbEEZZNS1_14partition_implILS8_4ELb0ES6_15HIP_vector_typeIjLj2EENS0_17counting_iteratorIjlEEPS9_SG_NS0_5tupleIJPjSI_NS0_16reverse_iteratorISI_EEEEENSH_IJSG_SG_SG_EEES9_SI_JZNS1_25segmented_radix_sort_implINS0_14default_configELb1EPKhPhPKlPlN2at6native12_GLOBAL__N_18offset_tEEE10hipError_tPvRmT1_PNSt15iterator_traitsIS12_E10value_typeET2_T3_PNS13_IS18_E10value_typeET4_jRbjT5_S1E_jjP12ihipStream_tbEUljE_ZNSN_ISO_Lb1ESQ_SR_ST_SU_SY_EESZ_S10_S11_S12_S16_S17_S18_S1B_S1C_jS1D_jS1E_S1E_jjS1G_bEUljE0_EEESZ_S10_S11_S18_S1C_S1E_T6_T7_T9_mT8_S1G_bDpT10_ENKUlT_T0_E_clISt17integral_constantIbLb0EES1T_IbLb1EEEEDaS1P_S1Q_EUlS1P_E_NS1_11comp_targetILNS1_3genE8ELNS1_11target_archE1030ELNS1_3gpuE2ELNS1_3repE0EEENS1_30default_config_static_selectorELNS0_4arch9wavefront6targetE0EEEvS12_,comdat
	.globl	_ZN7rocprim17ROCPRIM_400000_NS6detail17trampoline_kernelINS0_13select_configILj256ELj13ELNS0_17block_load_methodE3ELS4_3ELS4_3ELNS0_20block_scan_algorithmE0ELj4294967295EEENS1_25partition_config_selectorILNS1_17partition_subalgoE4EjNS0_10empty_typeEbEEZZNS1_14partition_implILS8_4ELb0ES6_15HIP_vector_typeIjLj2EENS0_17counting_iteratorIjlEEPS9_SG_NS0_5tupleIJPjSI_NS0_16reverse_iteratorISI_EEEEENSH_IJSG_SG_SG_EEES9_SI_JZNS1_25segmented_radix_sort_implINS0_14default_configELb1EPKhPhPKlPlN2at6native12_GLOBAL__N_18offset_tEEE10hipError_tPvRmT1_PNSt15iterator_traitsIS12_E10value_typeET2_T3_PNS13_IS18_E10value_typeET4_jRbjT5_S1E_jjP12ihipStream_tbEUljE_ZNSN_ISO_Lb1ESQ_SR_ST_SU_SY_EESZ_S10_S11_S12_S16_S17_S18_S1B_S1C_jS1D_jS1E_S1E_jjS1G_bEUljE0_EEESZ_S10_S11_S18_S1C_S1E_T6_T7_T9_mT8_S1G_bDpT10_ENKUlT_T0_E_clISt17integral_constantIbLb0EES1T_IbLb1EEEEDaS1P_S1Q_EUlS1P_E_NS1_11comp_targetILNS1_3genE8ELNS1_11target_archE1030ELNS1_3gpuE2ELNS1_3repE0EEENS1_30default_config_static_selectorELNS0_4arch9wavefront6targetE0EEEvS12_ ; -- Begin function _ZN7rocprim17ROCPRIM_400000_NS6detail17trampoline_kernelINS0_13select_configILj256ELj13ELNS0_17block_load_methodE3ELS4_3ELS4_3ELNS0_20block_scan_algorithmE0ELj4294967295EEENS1_25partition_config_selectorILNS1_17partition_subalgoE4EjNS0_10empty_typeEbEEZZNS1_14partition_implILS8_4ELb0ES6_15HIP_vector_typeIjLj2EENS0_17counting_iteratorIjlEEPS9_SG_NS0_5tupleIJPjSI_NS0_16reverse_iteratorISI_EEEEENSH_IJSG_SG_SG_EEES9_SI_JZNS1_25segmented_radix_sort_implINS0_14default_configELb1EPKhPhPKlPlN2at6native12_GLOBAL__N_18offset_tEEE10hipError_tPvRmT1_PNSt15iterator_traitsIS12_E10value_typeET2_T3_PNS13_IS18_E10value_typeET4_jRbjT5_S1E_jjP12ihipStream_tbEUljE_ZNSN_ISO_Lb1ESQ_SR_ST_SU_SY_EESZ_S10_S11_S12_S16_S17_S18_S1B_S1C_jS1D_jS1E_S1E_jjS1G_bEUljE0_EEESZ_S10_S11_S18_S1C_S1E_T6_T7_T9_mT8_S1G_bDpT10_ENKUlT_T0_E_clISt17integral_constantIbLb0EES1T_IbLb1EEEEDaS1P_S1Q_EUlS1P_E_NS1_11comp_targetILNS1_3genE8ELNS1_11target_archE1030ELNS1_3gpuE2ELNS1_3repE0EEENS1_30default_config_static_selectorELNS0_4arch9wavefront6targetE0EEEvS12_
	.p2align	8
	.type	_ZN7rocprim17ROCPRIM_400000_NS6detail17trampoline_kernelINS0_13select_configILj256ELj13ELNS0_17block_load_methodE3ELS4_3ELS4_3ELNS0_20block_scan_algorithmE0ELj4294967295EEENS1_25partition_config_selectorILNS1_17partition_subalgoE4EjNS0_10empty_typeEbEEZZNS1_14partition_implILS8_4ELb0ES6_15HIP_vector_typeIjLj2EENS0_17counting_iteratorIjlEEPS9_SG_NS0_5tupleIJPjSI_NS0_16reverse_iteratorISI_EEEEENSH_IJSG_SG_SG_EEES9_SI_JZNS1_25segmented_radix_sort_implINS0_14default_configELb1EPKhPhPKlPlN2at6native12_GLOBAL__N_18offset_tEEE10hipError_tPvRmT1_PNSt15iterator_traitsIS12_E10value_typeET2_T3_PNS13_IS18_E10value_typeET4_jRbjT5_S1E_jjP12ihipStream_tbEUljE_ZNSN_ISO_Lb1ESQ_SR_ST_SU_SY_EESZ_S10_S11_S12_S16_S17_S18_S1B_S1C_jS1D_jS1E_S1E_jjS1G_bEUljE0_EEESZ_S10_S11_S18_S1C_S1E_T6_T7_T9_mT8_S1G_bDpT10_ENKUlT_T0_E_clISt17integral_constantIbLb0EES1T_IbLb1EEEEDaS1P_S1Q_EUlS1P_E_NS1_11comp_targetILNS1_3genE8ELNS1_11target_archE1030ELNS1_3gpuE2ELNS1_3repE0EEENS1_30default_config_static_selectorELNS0_4arch9wavefront6targetE0EEEvS12_,@function
_ZN7rocprim17ROCPRIM_400000_NS6detail17trampoline_kernelINS0_13select_configILj256ELj13ELNS0_17block_load_methodE3ELS4_3ELS4_3ELNS0_20block_scan_algorithmE0ELj4294967295EEENS1_25partition_config_selectorILNS1_17partition_subalgoE4EjNS0_10empty_typeEbEEZZNS1_14partition_implILS8_4ELb0ES6_15HIP_vector_typeIjLj2EENS0_17counting_iteratorIjlEEPS9_SG_NS0_5tupleIJPjSI_NS0_16reverse_iteratorISI_EEEEENSH_IJSG_SG_SG_EEES9_SI_JZNS1_25segmented_radix_sort_implINS0_14default_configELb1EPKhPhPKlPlN2at6native12_GLOBAL__N_18offset_tEEE10hipError_tPvRmT1_PNSt15iterator_traitsIS12_E10value_typeET2_T3_PNS13_IS18_E10value_typeET4_jRbjT5_S1E_jjP12ihipStream_tbEUljE_ZNSN_ISO_Lb1ESQ_SR_ST_SU_SY_EESZ_S10_S11_S12_S16_S17_S18_S1B_S1C_jS1D_jS1E_S1E_jjS1G_bEUljE0_EEESZ_S10_S11_S18_S1C_S1E_T6_T7_T9_mT8_S1G_bDpT10_ENKUlT_T0_E_clISt17integral_constantIbLb0EES1T_IbLb1EEEEDaS1P_S1Q_EUlS1P_E_NS1_11comp_targetILNS1_3genE8ELNS1_11target_archE1030ELNS1_3gpuE2ELNS1_3repE0EEENS1_30default_config_static_selectorELNS0_4arch9wavefront6targetE0EEEvS12_: ; @_ZN7rocprim17ROCPRIM_400000_NS6detail17trampoline_kernelINS0_13select_configILj256ELj13ELNS0_17block_load_methodE3ELS4_3ELS4_3ELNS0_20block_scan_algorithmE0ELj4294967295EEENS1_25partition_config_selectorILNS1_17partition_subalgoE4EjNS0_10empty_typeEbEEZZNS1_14partition_implILS8_4ELb0ES6_15HIP_vector_typeIjLj2EENS0_17counting_iteratorIjlEEPS9_SG_NS0_5tupleIJPjSI_NS0_16reverse_iteratorISI_EEEEENSH_IJSG_SG_SG_EEES9_SI_JZNS1_25segmented_radix_sort_implINS0_14default_configELb1EPKhPhPKlPlN2at6native12_GLOBAL__N_18offset_tEEE10hipError_tPvRmT1_PNSt15iterator_traitsIS12_E10value_typeET2_T3_PNS13_IS18_E10value_typeET4_jRbjT5_S1E_jjP12ihipStream_tbEUljE_ZNSN_ISO_Lb1ESQ_SR_ST_SU_SY_EESZ_S10_S11_S12_S16_S17_S18_S1B_S1C_jS1D_jS1E_S1E_jjS1G_bEUljE0_EEESZ_S10_S11_S18_S1C_S1E_T6_T7_T9_mT8_S1G_bDpT10_ENKUlT_T0_E_clISt17integral_constantIbLb0EES1T_IbLb1EEEEDaS1P_S1Q_EUlS1P_E_NS1_11comp_targetILNS1_3genE8ELNS1_11target_archE1030ELNS1_3gpuE2ELNS1_3repE0EEENS1_30default_config_static_selectorELNS0_4arch9wavefront6targetE0EEEvS12_
; %bb.0:
	.section	.rodata,"a",@progbits
	.p2align	6, 0x0
	.amdhsa_kernel _ZN7rocprim17ROCPRIM_400000_NS6detail17trampoline_kernelINS0_13select_configILj256ELj13ELNS0_17block_load_methodE3ELS4_3ELS4_3ELNS0_20block_scan_algorithmE0ELj4294967295EEENS1_25partition_config_selectorILNS1_17partition_subalgoE4EjNS0_10empty_typeEbEEZZNS1_14partition_implILS8_4ELb0ES6_15HIP_vector_typeIjLj2EENS0_17counting_iteratorIjlEEPS9_SG_NS0_5tupleIJPjSI_NS0_16reverse_iteratorISI_EEEEENSH_IJSG_SG_SG_EEES9_SI_JZNS1_25segmented_radix_sort_implINS0_14default_configELb1EPKhPhPKlPlN2at6native12_GLOBAL__N_18offset_tEEE10hipError_tPvRmT1_PNSt15iterator_traitsIS12_E10value_typeET2_T3_PNS13_IS18_E10value_typeET4_jRbjT5_S1E_jjP12ihipStream_tbEUljE_ZNSN_ISO_Lb1ESQ_SR_ST_SU_SY_EESZ_S10_S11_S12_S16_S17_S18_S1B_S1C_jS1D_jS1E_S1E_jjS1G_bEUljE0_EEESZ_S10_S11_S18_S1C_S1E_T6_T7_T9_mT8_S1G_bDpT10_ENKUlT_T0_E_clISt17integral_constantIbLb0EES1T_IbLb1EEEEDaS1P_S1Q_EUlS1P_E_NS1_11comp_targetILNS1_3genE8ELNS1_11target_archE1030ELNS1_3gpuE2ELNS1_3repE0EEENS1_30default_config_static_selectorELNS0_4arch9wavefront6targetE0EEEvS12_
		.amdhsa_group_segment_fixed_size 0
		.amdhsa_private_segment_fixed_size 0
		.amdhsa_kernarg_size 184
		.amdhsa_user_sgpr_count 2
		.amdhsa_user_sgpr_dispatch_ptr 0
		.amdhsa_user_sgpr_queue_ptr 0
		.amdhsa_user_sgpr_kernarg_segment_ptr 1
		.amdhsa_user_sgpr_dispatch_id 0
		.amdhsa_user_sgpr_kernarg_preload_length 0
		.amdhsa_user_sgpr_kernarg_preload_offset 0
		.amdhsa_user_sgpr_private_segment_size 0
		.amdhsa_wavefront_size32 1
		.amdhsa_uses_dynamic_stack 0
		.amdhsa_enable_private_segment 0
		.amdhsa_system_sgpr_workgroup_id_x 1
		.amdhsa_system_sgpr_workgroup_id_y 0
		.amdhsa_system_sgpr_workgroup_id_z 0
		.amdhsa_system_sgpr_workgroup_info 0
		.amdhsa_system_vgpr_workitem_id 0
		.amdhsa_next_free_vgpr 1
		.amdhsa_next_free_sgpr 1
		.amdhsa_named_barrier_count 0
		.amdhsa_reserve_vcc 0
		.amdhsa_float_round_mode_32 0
		.amdhsa_float_round_mode_16_64 0
		.amdhsa_float_denorm_mode_32 3
		.amdhsa_float_denorm_mode_16_64 3
		.amdhsa_fp16_overflow 0
		.amdhsa_memory_ordered 1
		.amdhsa_forward_progress 1
		.amdhsa_inst_pref_size 0
		.amdhsa_round_robin_scheduling 0
		.amdhsa_exception_fp_ieee_invalid_op 0
		.amdhsa_exception_fp_denorm_src 0
		.amdhsa_exception_fp_ieee_div_zero 0
		.amdhsa_exception_fp_ieee_overflow 0
		.amdhsa_exception_fp_ieee_underflow 0
		.amdhsa_exception_fp_ieee_inexact 0
		.amdhsa_exception_int_div_zero 0
	.end_amdhsa_kernel
	.section	.text._ZN7rocprim17ROCPRIM_400000_NS6detail17trampoline_kernelINS0_13select_configILj256ELj13ELNS0_17block_load_methodE3ELS4_3ELS4_3ELNS0_20block_scan_algorithmE0ELj4294967295EEENS1_25partition_config_selectorILNS1_17partition_subalgoE4EjNS0_10empty_typeEbEEZZNS1_14partition_implILS8_4ELb0ES6_15HIP_vector_typeIjLj2EENS0_17counting_iteratorIjlEEPS9_SG_NS0_5tupleIJPjSI_NS0_16reverse_iteratorISI_EEEEENSH_IJSG_SG_SG_EEES9_SI_JZNS1_25segmented_radix_sort_implINS0_14default_configELb1EPKhPhPKlPlN2at6native12_GLOBAL__N_18offset_tEEE10hipError_tPvRmT1_PNSt15iterator_traitsIS12_E10value_typeET2_T3_PNS13_IS18_E10value_typeET4_jRbjT5_S1E_jjP12ihipStream_tbEUljE_ZNSN_ISO_Lb1ESQ_SR_ST_SU_SY_EESZ_S10_S11_S12_S16_S17_S18_S1B_S1C_jS1D_jS1E_S1E_jjS1G_bEUljE0_EEESZ_S10_S11_S18_S1C_S1E_T6_T7_T9_mT8_S1G_bDpT10_ENKUlT_T0_E_clISt17integral_constantIbLb0EES1T_IbLb1EEEEDaS1P_S1Q_EUlS1P_E_NS1_11comp_targetILNS1_3genE8ELNS1_11target_archE1030ELNS1_3gpuE2ELNS1_3repE0EEENS1_30default_config_static_selectorELNS0_4arch9wavefront6targetE0EEEvS12_,"axG",@progbits,_ZN7rocprim17ROCPRIM_400000_NS6detail17trampoline_kernelINS0_13select_configILj256ELj13ELNS0_17block_load_methodE3ELS4_3ELS4_3ELNS0_20block_scan_algorithmE0ELj4294967295EEENS1_25partition_config_selectorILNS1_17partition_subalgoE4EjNS0_10empty_typeEbEEZZNS1_14partition_implILS8_4ELb0ES6_15HIP_vector_typeIjLj2EENS0_17counting_iteratorIjlEEPS9_SG_NS0_5tupleIJPjSI_NS0_16reverse_iteratorISI_EEEEENSH_IJSG_SG_SG_EEES9_SI_JZNS1_25segmented_radix_sort_implINS0_14default_configELb1EPKhPhPKlPlN2at6native12_GLOBAL__N_18offset_tEEE10hipError_tPvRmT1_PNSt15iterator_traitsIS12_E10value_typeET2_T3_PNS13_IS18_E10value_typeET4_jRbjT5_S1E_jjP12ihipStream_tbEUljE_ZNSN_ISO_Lb1ESQ_SR_ST_SU_SY_EESZ_S10_S11_S12_S16_S17_S18_S1B_S1C_jS1D_jS1E_S1E_jjS1G_bEUljE0_EEESZ_S10_S11_S18_S1C_S1E_T6_T7_T9_mT8_S1G_bDpT10_ENKUlT_T0_E_clISt17integral_constantIbLb0EES1T_IbLb1EEEEDaS1P_S1Q_EUlS1P_E_NS1_11comp_targetILNS1_3genE8ELNS1_11target_archE1030ELNS1_3gpuE2ELNS1_3repE0EEENS1_30default_config_static_selectorELNS0_4arch9wavefront6targetE0EEEvS12_,comdat
.Lfunc_end46:
	.size	_ZN7rocprim17ROCPRIM_400000_NS6detail17trampoline_kernelINS0_13select_configILj256ELj13ELNS0_17block_load_methodE3ELS4_3ELS4_3ELNS0_20block_scan_algorithmE0ELj4294967295EEENS1_25partition_config_selectorILNS1_17partition_subalgoE4EjNS0_10empty_typeEbEEZZNS1_14partition_implILS8_4ELb0ES6_15HIP_vector_typeIjLj2EENS0_17counting_iteratorIjlEEPS9_SG_NS0_5tupleIJPjSI_NS0_16reverse_iteratorISI_EEEEENSH_IJSG_SG_SG_EEES9_SI_JZNS1_25segmented_radix_sort_implINS0_14default_configELb1EPKhPhPKlPlN2at6native12_GLOBAL__N_18offset_tEEE10hipError_tPvRmT1_PNSt15iterator_traitsIS12_E10value_typeET2_T3_PNS13_IS18_E10value_typeET4_jRbjT5_S1E_jjP12ihipStream_tbEUljE_ZNSN_ISO_Lb1ESQ_SR_ST_SU_SY_EESZ_S10_S11_S12_S16_S17_S18_S1B_S1C_jS1D_jS1E_S1E_jjS1G_bEUljE0_EEESZ_S10_S11_S18_S1C_S1E_T6_T7_T9_mT8_S1G_bDpT10_ENKUlT_T0_E_clISt17integral_constantIbLb0EES1T_IbLb1EEEEDaS1P_S1Q_EUlS1P_E_NS1_11comp_targetILNS1_3genE8ELNS1_11target_archE1030ELNS1_3gpuE2ELNS1_3repE0EEENS1_30default_config_static_selectorELNS0_4arch9wavefront6targetE0EEEvS12_, .Lfunc_end46-_ZN7rocprim17ROCPRIM_400000_NS6detail17trampoline_kernelINS0_13select_configILj256ELj13ELNS0_17block_load_methodE3ELS4_3ELS4_3ELNS0_20block_scan_algorithmE0ELj4294967295EEENS1_25partition_config_selectorILNS1_17partition_subalgoE4EjNS0_10empty_typeEbEEZZNS1_14partition_implILS8_4ELb0ES6_15HIP_vector_typeIjLj2EENS0_17counting_iteratorIjlEEPS9_SG_NS0_5tupleIJPjSI_NS0_16reverse_iteratorISI_EEEEENSH_IJSG_SG_SG_EEES9_SI_JZNS1_25segmented_radix_sort_implINS0_14default_configELb1EPKhPhPKlPlN2at6native12_GLOBAL__N_18offset_tEEE10hipError_tPvRmT1_PNSt15iterator_traitsIS12_E10value_typeET2_T3_PNS13_IS18_E10value_typeET4_jRbjT5_S1E_jjP12ihipStream_tbEUljE_ZNSN_ISO_Lb1ESQ_SR_ST_SU_SY_EESZ_S10_S11_S12_S16_S17_S18_S1B_S1C_jS1D_jS1E_S1E_jjS1G_bEUljE0_EEESZ_S10_S11_S18_S1C_S1E_T6_T7_T9_mT8_S1G_bDpT10_ENKUlT_T0_E_clISt17integral_constantIbLb0EES1T_IbLb1EEEEDaS1P_S1Q_EUlS1P_E_NS1_11comp_targetILNS1_3genE8ELNS1_11target_archE1030ELNS1_3gpuE2ELNS1_3repE0EEENS1_30default_config_static_selectorELNS0_4arch9wavefront6targetE0EEEvS12_
                                        ; -- End function
	.set _ZN7rocprim17ROCPRIM_400000_NS6detail17trampoline_kernelINS0_13select_configILj256ELj13ELNS0_17block_load_methodE3ELS4_3ELS4_3ELNS0_20block_scan_algorithmE0ELj4294967295EEENS1_25partition_config_selectorILNS1_17partition_subalgoE4EjNS0_10empty_typeEbEEZZNS1_14partition_implILS8_4ELb0ES6_15HIP_vector_typeIjLj2EENS0_17counting_iteratorIjlEEPS9_SG_NS0_5tupleIJPjSI_NS0_16reverse_iteratorISI_EEEEENSH_IJSG_SG_SG_EEES9_SI_JZNS1_25segmented_radix_sort_implINS0_14default_configELb1EPKhPhPKlPlN2at6native12_GLOBAL__N_18offset_tEEE10hipError_tPvRmT1_PNSt15iterator_traitsIS12_E10value_typeET2_T3_PNS13_IS18_E10value_typeET4_jRbjT5_S1E_jjP12ihipStream_tbEUljE_ZNSN_ISO_Lb1ESQ_SR_ST_SU_SY_EESZ_S10_S11_S12_S16_S17_S18_S1B_S1C_jS1D_jS1E_S1E_jjS1G_bEUljE0_EEESZ_S10_S11_S18_S1C_S1E_T6_T7_T9_mT8_S1G_bDpT10_ENKUlT_T0_E_clISt17integral_constantIbLb0EES1T_IbLb1EEEEDaS1P_S1Q_EUlS1P_E_NS1_11comp_targetILNS1_3genE8ELNS1_11target_archE1030ELNS1_3gpuE2ELNS1_3repE0EEENS1_30default_config_static_selectorELNS0_4arch9wavefront6targetE0EEEvS12_.num_vgpr, 0
	.set _ZN7rocprim17ROCPRIM_400000_NS6detail17trampoline_kernelINS0_13select_configILj256ELj13ELNS0_17block_load_methodE3ELS4_3ELS4_3ELNS0_20block_scan_algorithmE0ELj4294967295EEENS1_25partition_config_selectorILNS1_17partition_subalgoE4EjNS0_10empty_typeEbEEZZNS1_14partition_implILS8_4ELb0ES6_15HIP_vector_typeIjLj2EENS0_17counting_iteratorIjlEEPS9_SG_NS0_5tupleIJPjSI_NS0_16reverse_iteratorISI_EEEEENSH_IJSG_SG_SG_EEES9_SI_JZNS1_25segmented_radix_sort_implINS0_14default_configELb1EPKhPhPKlPlN2at6native12_GLOBAL__N_18offset_tEEE10hipError_tPvRmT1_PNSt15iterator_traitsIS12_E10value_typeET2_T3_PNS13_IS18_E10value_typeET4_jRbjT5_S1E_jjP12ihipStream_tbEUljE_ZNSN_ISO_Lb1ESQ_SR_ST_SU_SY_EESZ_S10_S11_S12_S16_S17_S18_S1B_S1C_jS1D_jS1E_S1E_jjS1G_bEUljE0_EEESZ_S10_S11_S18_S1C_S1E_T6_T7_T9_mT8_S1G_bDpT10_ENKUlT_T0_E_clISt17integral_constantIbLb0EES1T_IbLb1EEEEDaS1P_S1Q_EUlS1P_E_NS1_11comp_targetILNS1_3genE8ELNS1_11target_archE1030ELNS1_3gpuE2ELNS1_3repE0EEENS1_30default_config_static_selectorELNS0_4arch9wavefront6targetE0EEEvS12_.num_agpr, 0
	.set _ZN7rocprim17ROCPRIM_400000_NS6detail17trampoline_kernelINS0_13select_configILj256ELj13ELNS0_17block_load_methodE3ELS4_3ELS4_3ELNS0_20block_scan_algorithmE0ELj4294967295EEENS1_25partition_config_selectorILNS1_17partition_subalgoE4EjNS0_10empty_typeEbEEZZNS1_14partition_implILS8_4ELb0ES6_15HIP_vector_typeIjLj2EENS0_17counting_iteratorIjlEEPS9_SG_NS0_5tupleIJPjSI_NS0_16reverse_iteratorISI_EEEEENSH_IJSG_SG_SG_EEES9_SI_JZNS1_25segmented_radix_sort_implINS0_14default_configELb1EPKhPhPKlPlN2at6native12_GLOBAL__N_18offset_tEEE10hipError_tPvRmT1_PNSt15iterator_traitsIS12_E10value_typeET2_T3_PNS13_IS18_E10value_typeET4_jRbjT5_S1E_jjP12ihipStream_tbEUljE_ZNSN_ISO_Lb1ESQ_SR_ST_SU_SY_EESZ_S10_S11_S12_S16_S17_S18_S1B_S1C_jS1D_jS1E_S1E_jjS1G_bEUljE0_EEESZ_S10_S11_S18_S1C_S1E_T6_T7_T9_mT8_S1G_bDpT10_ENKUlT_T0_E_clISt17integral_constantIbLb0EES1T_IbLb1EEEEDaS1P_S1Q_EUlS1P_E_NS1_11comp_targetILNS1_3genE8ELNS1_11target_archE1030ELNS1_3gpuE2ELNS1_3repE0EEENS1_30default_config_static_selectorELNS0_4arch9wavefront6targetE0EEEvS12_.numbered_sgpr, 0
	.set _ZN7rocprim17ROCPRIM_400000_NS6detail17trampoline_kernelINS0_13select_configILj256ELj13ELNS0_17block_load_methodE3ELS4_3ELS4_3ELNS0_20block_scan_algorithmE0ELj4294967295EEENS1_25partition_config_selectorILNS1_17partition_subalgoE4EjNS0_10empty_typeEbEEZZNS1_14partition_implILS8_4ELb0ES6_15HIP_vector_typeIjLj2EENS0_17counting_iteratorIjlEEPS9_SG_NS0_5tupleIJPjSI_NS0_16reverse_iteratorISI_EEEEENSH_IJSG_SG_SG_EEES9_SI_JZNS1_25segmented_radix_sort_implINS0_14default_configELb1EPKhPhPKlPlN2at6native12_GLOBAL__N_18offset_tEEE10hipError_tPvRmT1_PNSt15iterator_traitsIS12_E10value_typeET2_T3_PNS13_IS18_E10value_typeET4_jRbjT5_S1E_jjP12ihipStream_tbEUljE_ZNSN_ISO_Lb1ESQ_SR_ST_SU_SY_EESZ_S10_S11_S12_S16_S17_S18_S1B_S1C_jS1D_jS1E_S1E_jjS1G_bEUljE0_EEESZ_S10_S11_S18_S1C_S1E_T6_T7_T9_mT8_S1G_bDpT10_ENKUlT_T0_E_clISt17integral_constantIbLb0EES1T_IbLb1EEEEDaS1P_S1Q_EUlS1P_E_NS1_11comp_targetILNS1_3genE8ELNS1_11target_archE1030ELNS1_3gpuE2ELNS1_3repE0EEENS1_30default_config_static_selectorELNS0_4arch9wavefront6targetE0EEEvS12_.num_named_barrier, 0
	.set _ZN7rocprim17ROCPRIM_400000_NS6detail17trampoline_kernelINS0_13select_configILj256ELj13ELNS0_17block_load_methodE3ELS4_3ELS4_3ELNS0_20block_scan_algorithmE0ELj4294967295EEENS1_25partition_config_selectorILNS1_17partition_subalgoE4EjNS0_10empty_typeEbEEZZNS1_14partition_implILS8_4ELb0ES6_15HIP_vector_typeIjLj2EENS0_17counting_iteratorIjlEEPS9_SG_NS0_5tupleIJPjSI_NS0_16reverse_iteratorISI_EEEEENSH_IJSG_SG_SG_EEES9_SI_JZNS1_25segmented_radix_sort_implINS0_14default_configELb1EPKhPhPKlPlN2at6native12_GLOBAL__N_18offset_tEEE10hipError_tPvRmT1_PNSt15iterator_traitsIS12_E10value_typeET2_T3_PNS13_IS18_E10value_typeET4_jRbjT5_S1E_jjP12ihipStream_tbEUljE_ZNSN_ISO_Lb1ESQ_SR_ST_SU_SY_EESZ_S10_S11_S12_S16_S17_S18_S1B_S1C_jS1D_jS1E_S1E_jjS1G_bEUljE0_EEESZ_S10_S11_S18_S1C_S1E_T6_T7_T9_mT8_S1G_bDpT10_ENKUlT_T0_E_clISt17integral_constantIbLb0EES1T_IbLb1EEEEDaS1P_S1Q_EUlS1P_E_NS1_11comp_targetILNS1_3genE8ELNS1_11target_archE1030ELNS1_3gpuE2ELNS1_3repE0EEENS1_30default_config_static_selectorELNS0_4arch9wavefront6targetE0EEEvS12_.private_seg_size, 0
	.set _ZN7rocprim17ROCPRIM_400000_NS6detail17trampoline_kernelINS0_13select_configILj256ELj13ELNS0_17block_load_methodE3ELS4_3ELS4_3ELNS0_20block_scan_algorithmE0ELj4294967295EEENS1_25partition_config_selectorILNS1_17partition_subalgoE4EjNS0_10empty_typeEbEEZZNS1_14partition_implILS8_4ELb0ES6_15HIP_vector_typeIjLj2EENS0_17counting_iteratorIjlEEPS9_SG_NS0_5tupleIJPjSI_NS0_16reverse_iteratorISI_EEEEENSH_IJSG_SG_SG_EEES9_SI_JZNS1_25segmented_radix_sort_implINS0_14default_configELb1EPKhPhPKlPlN2at6native12_GLOBAL__N_18offset_tEEE10hipError_tPvRmT1_PNSt15iterator_traitsIS12_E10value_typeET2_T3_PNS13_IS18_E10value_typeET4_jRbjT5_S1E_jjP12ihipStream_tbEUljE_ZNSN_ISO_Lb1ESQ_SR_ST_SU_SY_EESZ_S10_S11_S12_S16_S17_S18_S1B_S1C_jS1D_jS1E_S1E_jjS1G_bEUljE0_EEESZ_S10_S11_S18_S1C_S1E_T6_T7_T9_mT8_S1G_bDpT10_ENKUlT_T0_E_clISt17integral_constantIbLb0EES1T_IbLb1EEEEDaS1P_S1Q_EUlS1P_E_NS1_11comp_targetILNS1_3genE8ELNS1_11target_archE1030ELNS1_3gpuE2ELNS1_3repE0EEENS1_30default_config_static_selectorELNS0_4arch9wavefront6targetE0EEEvS12_.uses_vcc, 0
	.set _ZN7rocprim17ROCPRIM_400000_NS6detail17trampoline_kernelINS0_13select_configILj256ELj13ELNS0_17block_load_methodE3ELS4_3ELS4_3ELNS0_20block_scan_algorithmE0ELj4294967295EEENS1_25partition_config_selectorILNS1_17partition_subalgoE4EjNS0_10empty_typeEbEEZZNS1_14partition_implILS8_4ELb0ES6_15HIP_vector_typeIjLj2EENS0_17counting_iteratorIjlEEPS9_SG_NS0_5tupleIJPjSI_NS0_16reverse_iteratorISI_EEEEENSH_IJSG_SG_SG_EEES9_SI_JZNS1_25segmented_radix_sort_implINS0_14default_configELb1EPKhPhPKlPlN2at6native12_GLOBAL__N_18offset_tEEE10hipError_tPvRmT1_PNSt15iterator_traitsIS12_E10value_typeET2_T3_PNS13_IS18_E10value_typeET4_jRbjT5_S1E_jjP12ihipStream_tbEUljE_ZNSN_ISO_Lb1ESQ_SR_ST_SU_SY_EESZ_S10_S11_S12_S16_S17_S18_S1B_S1C_jS1D_jS1E_S1E_jjS1G_bEUljE0_EEESZ_S10_S11_S18_S1C_S1E_T6_T7_T9_mT8_S1G_bDpT10_ENKUlT_T0_E_clISt17integral_constantIbLb0EES1T_IbLb1EEEEDaS1P_S1Q_EUlS1P_E_NS1_11comp_targetILNS1_3genE8ELNS1_11target_archE1030ELNS1_3gpuE2ELNS1_3repE0EEENS1_30default_config_static_selectorELNS0_4arch9wavefront6targetE0EEEvS12_.uses_flat_scratch, 0
	.set _ZN7rocprim17ROCPRIM_400000_NS6detail17trampoline_kernelINS0_13select_configILj256ELj13ELNS0_17block_load_methodE3ELS4_3ELS4_3ELNS0_20block_scan_algorithmE0ELj4294967295EEENS1_25partition_config_selectorILNS1_17partition_subalgoE4EjNS0_10empty_typeEbEEZZNS1_14partition_implILS8_4ELb0ES6_15HIP_vector_typeIjLj2EENS0_17counting_iteratorIjlEEPS9_SG_NS0_5tupleIJPjSI_NS0_16reverse_iteratorISI_EEEEENSH_IJSG_SG_SG_EEES9_SI_JZNS1_25segmented_radix_sort_implINS0_14default_configELb1EPKhPhPKlPlN2at6native12_GLOBAL__N_18offset_tEEE10hipError_tPvRmT1_PNSt15iterator_traitsIS12_E10value_typeET2_T3_PNS13_IS18_E10value_typeET4_jRbjT5_S1E_jjP12ihipStream_tbEUljE_ZNSN_ISO_Lb1ESQ_SR_ST_SU_SY_EESZ_S10_S11_S12_S16_S17_S18_S1B_S1C_jS1D_jS1E_S1E_jjS1G_bEUljE0_EEESZ_S10_S11_S18_S1C_S1E_T6_T7_T9_mT8_S1G_bDpT10_ENKUlT_T0_E_clISt17integral_constantIbLb0EES1T_IbLb1EEEEDaS1P_S1Q_EUlS1P_E_NS1_11comp_targetILNS1_3genE8ELNS1_11target_archE1030ELNS1_3gpuE2ELNS1_3repE0EEENS1_30default_config_static_selectorELNS0_4arch9wavefront6targetE0EEEvS12_.has_dyn_sized_stack, 0
	.set _ZN7rocprim17ROCPRIM_400000_NS6detail17trampoline_kernelINS0_13select_configILj256ELj13ELNS0_17block_load_methodE3ELS4_3ELS4_3ELNS0_20block_scan_algorithmE0ELj4294967295EEENS1_25partition_config_selectorILNS1_17partition_subalgoE4EjNS0_10empty_typeEbEEZZNS1_14partition_implILS8_4ELb0ES6_15HIP_vector_typeIjLj2EENS0_17counting_iteratorIjlEEPS9_SG_NS0_5tupleIJPjSI_NS0_16reverse_iteratorISI_EEEEENSH_IJSG_SG_SG_EEES9_SI_JZNS1_25segmented_radix_sort_implINS0_14default_configELb1EPKhPhPKlPlN2at6native12_GLOBAL__N_18offset_tEEE10hipError_tPvRmT1_PNSt15iterator_traitsIS12_E10value_typeET2_T3_PNS13_IS18_E10value_typeET4_jRbjT5_S1E_jjP12ihipStream_tbEUljE_ZNSN_ISO_Lb1ESQ_SR_ST_SU_SY_EESZ_S10_S11_S12_S16_S17_S18_S1B_S1C_jS1D_jS1E_S1E_jjS1G_bEUljE0_EEESZ_S10_S11_S18_S1C_S1E_T6_T7_T9_mT8_S1G_bDpT10_ENKUlT_T0_E_clISt17integral_constantIbLb0EES1T_IbLb1EEEEDaS1P_S1Q_EUlS1P_E_NS1_11comp_targetILNS1_3genE8ELNS1_11target_archE1030ELNS1_3gpuE2ELNS1_3repE0EEENS1_30default_config_static_selectorELNS0_4arch9wavefront6targetE0EEEvS12_.has_recursion, 0
	.set _ZN7rocprim17ROCPRIM_400000_NS6detail17trampoline_kernelINS0_13select_configILj256ELj13ELNS0_17block_load_methodE3ELS4_3ELS4_3ELNS0_20block_scan_algorithmE0ELj4294967295EEENS1_25partition_config_selectorILNS1_17partition_subalgoE4EjNS0_10empty_typeEbEEZZNS1_14partition_implILS8_4ELb0ES6_15HIP_vector_typeIjLj2EENS0_17counting_iteratorIjlEEPS9_SG_NS0_5tupleIJPjSI_NS0_16reverse_iteratorISI_EEEEENSH_IJSG_SG_SG_EEES9_SI_JZNS1_25segmented_radix_sort_implINS0_14default_configELb1EPKhPhPKlPlN2at6native12_GLOBAL__N_18offset_tEEE10hipError_tPvRmT1_PNSt15iterator_traitsIS12_E10value_typeET2_T3_PNS13_IS18_E10value_typeET4_jRbjT5_S1E_jjP12ihipStream_tbEUljE_ZNSN_ISO_Lb1ESQ_SR_ST_SU_SY_EESZ_S10_S11_S12_S16_S17_S18_S1B_S1C_jS1D_jS1E_S1E_jjS1G_bEUljE0_EEESZ_S10_S11_S18_S1C_S1E_T6_T7_T9_mT8_S1G_bDpT10_ENKUlT_T0_E_clISt17integral_constantIbLb0EES1T_IbLb1EEEEDaS1P_S1Q_EUlS1P_E_NS1_11comp_targetILNS1_3genE8ELNS1_11target_archE1030ELNS1_3gpuE2ELNS1_3repE0EEENS1_30default_config_static_selectorELNS0_4arch9wavefront6targetE0EEEvS12_.has_indirect_call, 0
	.section	.AMDGPU.csdata,"",@progbits
; Kernel info:
; codeLenInByte = 0
; TotalNumSgprs: 0
; NumVgprs: 0
; ScratchSize: 0
; MemoryBound: 0
; FloatMode: 240
; IeeeMode: 1
; LDSByteSize: 0 bytes/workgroup (compile time only)
; SGPRBlocks: 0
; VGPRBlocks: 0
; NumSGPRsForWavesPerEU: 1
; NumVGPRsForWavesPerEU: 1
; NamedBarCnt: 0
; Occupancy: 16
; WaveLimiterHint : 0
; COMPUTE_PGM_RSRC2:SCRATCH_EN: 0
; COMPUTE_PGM_RSRC2:USER_SGPR: 2
; COMPUTE_PGM_RSRC2:TRAP_HANDLER: 0
; COMPUTE_PGM_RSRC2:TGID_X_EN: 1
; COMPUTE_PGM_RSRC2:TGID_Y_EN: 0
; COMPUTE_PGM_RSRC2:TGID_Z_EN: 0
; COMPUTE_PGM_RSRC2:TIDIG_COMP_CNT: 0
	.section	.text._ZN7rocprim17ROCPRIM_400000_NS6detail31init_lookback_scan_state_kernelINS1_19lookback_scan_stateIjLb0ELb1EEENS1_16block_id_wrapperIjLb0EEEEEvT_jT0_jPNS7_10value_typeE,"axG",@progbits,_ZN7rocprim17ROCPRIM_400000_NS6detail31init_lookback_scan_state_kernelINS1_19lookback_scan_stateIjLb0ELb1EEENS1_16block_id_wrapperIjLb0EEEEEvT_jT0_jPNS7_10value_typeE,comdat
	.protected	_ZN7rocprim17ROCPRIM_400000_NS6detail31init_lookback_scan_state_kernelINS1_19lookback_scan_stateIjLb0ELb1EEENS1_16block_id_wrapperIjLb0EEEEEvT_jT0_jPNS7_10value_typeE ; -- Begin function _ZN7rocprim17ROCPRIM_400000_NS6detail31init_lookback_scan_state_kernelINS1_19lookback_scan_stateIjLb0ELb1EEENS1_16block_id_wrapperIjLb0EEEEEvT_jT0_jPNS7_10value_typeE
	.globl	_ZN7rocprim17ROCPRIM_400000_NS6detail31init_lookback_scan_state_kernelINS1_19lookback_scan_stateIjLb0ELb1EEENS1_16block_id_wrapperIjLb0EEEEEvT_jT0_jPNS7_10value_typeE
	.p2align	8
	.type	_ZN7rocprim17ROCPRIM_400000_NS6detail31init_lookback_scan_state_kernelINS1_19lookback_scan_stateIjLb0ELb1EEENS1_16block_id_wrapperIjLb0EEEEEvT_jT0_jPNS7_10value_typeE,@function
_ZN7rocprim17ROCPRIM_400000_NS6detail31init_lookback_scan_state_kernelINS1_19lookback_scan_stateIjLb0ELb1EEENS1_16block_id_wrapperIjLb0EEEEEvT_jT0_jPNS7_10value_typeE: ; @_ZN7rocprim17ROCPRIM_400000_NS6detail31init_lookback_scan_state_kernelINS1_19lookback_scan_stateIjLb0ELb1EEENS1_16block_id_wrapperIjLb0EEEEEvT_jT0_jPNS7_10value_typeE
; %bb.0:
	s_clause 0x2
	s_load_b32 s7, s[0:1], 0x2c
	s_load_b96 s[4:6], s[0:1], 0x0
	s_load_b64 s[2:3], s[0:1], 0x18
	s_bfe_u32 s8, ttmp6, 0x4000c
	s_and_b32 s9, ttmp6, 15
	s_add_co_i32 s8, s8, 1
	s_getreg_b32 s10, hwreg(HW_REG_IB_STS2, 6, 4)
	s_mul_i32 s8, ttmp9, s8
	s_delay_alu instid0(SALU_CYCLE_1)
	s_add_co_i32 s9, s9, s8
	s_wait_kmcnt 0x0
	s_and_b32 s7, s7, 0xffff
	s_cmp_eq_u32 s10, 0
	s_cselect_b32 s8, ttmp9, s9
	s_cmp_eq_u64 s[2:3], 0
	v_mad_u32 v4, s8, s7, v0
	s_cbranch_scc1 .LBB47_7
; %bb.1:
	s_load_b32 s0, s[0:1], 0x10
	s_mov_b32 s7, exec_lo
	s_wait_kmcnt 0x0
	s_cmp_lt_u32 s0, s6
	s_cselect_b32 s1, s0, 0
	s_delay_alu instid0(VALU_DEP_1) | instid1(SALU_CYCLE_1)
	v_cmpx_eq_u32_e64 s1, v4
	s_cbranch_execz .LBB47_6
; %bb.2:
	s_add_co_i32 s0, s0, 32
	s_delay_alu instid0(SALU_CYCLE_1) | instskip(SKIP_3) | instid1(VALU_DEP_1)
	v_dual_mov_b32 v2, 0 :: v_dual_mov_b32 v0, s0
	global_load_b64 v[0:1], v0, s[4:5] scale_offset scope:SCOPE_DEV
	s_wait_loadcnt 0x0
	v_and_b32_e32 v3, 0xff, v1
	v_cmp_ne_u64_e32 vcc_lo, 0, v[2:3]
	s_cbranch_vccnz .LBB47_5
; %bb.3:
	s_mov_b32 s1, 0
	s_delay_alu instid0(SALU_CYCLE_1) | instskip(NEXT) | instid1(SALU_CYCLE_1)
	s_lshl_b64 s[0:1], s[0:1], 3
	s_add_nc_u64 s[0:1], s[4:5], s[0:1]
.LBB47_4:                               ; =>This Inner Loop Header: Depth=1
	global_load_b64 v[0:1], v2, s[0:1] scope:SCOPE_DEV
	s_wait_loadcnt 0x0
	v_and_b32_e32 v3, 0xff, v1
	s_delay_alu instid0(VALU_DEP_1)
	v_cmp_eq_u64_e32 vcc_lo, 0, v[2:3]
	s_cbranch_vccnz .LBB47_4
.LBB47_5:
	v_mov_b32_e32 v1, 0
	global_store_b32 v1, v0, s[2:3]
.LBB47_6:
	s_wait_xcnt 0x0
	s_or_b32 exec_lo, exec_lo, s7
.LBB47_7:
	s_delay_alu instid0(SALU_CYCLE_1) | instskip(NEXT) | instid1(VALU_DEP_1)
	s_mov_b32 s0, exec_lo
	v_cmpx_gt_u32_e64 s6, v4
	s_cbranch_execz .LBB47_9
; %bb.8:
	v_mov_b64_e32 v[0:1], 0
	v_add_nc_u32_e32 v2, 32, v4
	global_store_b64 v2, v[0:1], s[4:5] scale_offset
.LBB47_9:
	s_wait_xcnt 0x0
	s_or_b32 exec_lo, exec_lo, s0
	s_delay_alu instid0(SALU_CYCLE_1)
	s_mov_b32 s0, exec_lo
	v_cmpx_gt_u32_e32 32, v4
	s_cbranch_execz .LBB47_11
; %bb.10:
	v_mov_b64_e32 v[0:1], 0xff00000000
	global_store_b64 v4, v[0:1], s[4:5] scale_offset
.LBB47_11:
	s_endpgm
	.section	.rodata,"a",@progbits
	.p2align	6, 0x0
	.amdhsa_kernel _ZN7rocprim17ROCPRIM_400000_NS6detail31init_lookback_scan_state_kernelINS1_19lookback_scan_stateIjLb0ELb1EEENS1_16block_id_wrapperIjLb0EEEEEvT_jT0_jPNS7_10value_typeE
		.amdhsa_group_segment_fixed_size 0
		.amdhsa_private_segment_fixed_size 0
		.amdhsa_kernarg_size 288
		.amdhsa_user_sgpr_count 2
		.amdhsa_user_sgpr_dispatch_ptr 0
		.amdhsa_user_sgpr_queue_ptr 0
		.amdhsa_user_sgpr_kernarg_segment_ptr 1
		.amdhsa_user_sgpr_dispatch_id 0
		.amdhsa_user_sgpr_kernarg_preload_length 0
		.amdhsa_user_sgpr_kernarg_preload_offset 0
		.amdhsa_user_sgpr_private_segment_size 0
		.amdhsa_wavefront_size32 1
		.amdhsa_uses_dynamic_stack 0
		.amdhsa_enable_private_segment 0
		.amdhsa_system_sgpr_workgroup_id_x 1
		.amdhsa_system_sgpr_workgroup_id_y 0
		.amdhsa_system_sgpr_workgroup_id_z 0
		.amdhsa_system_sgpr_workgroup_info 0
		.amdhsa_system_vgpr_workitem_id 0
		.amdhsa_next_free_vgpr 5
		.amdhsa_next_free_sgpr 11
		.amdhsa_named_barrier_count 0
		.amdhsa_reserve_vcc 1
		.amdhsa_float_round_mode_32 0
		.amdhsa_float_round_mode_16_64 0
		.amdhsa_float_denorm_mode_32 3
		.amdhsa_float_denorm_mode_16_64 3
		.amdhsa_fp16_overflow 0
		.amdhsa_memory_ordered 1
		.amdhsa_forward_progress 1
		.amdhsa_inst_pref_size 3
		.amdhsa_round_robin_scheduling 0
		.amdhsa_exception_fp_ieee_invalid_op 0
		.amdhsa_exception_fp_denorm_src 0
		.amdhsa_exception_fp_ieee_div_zero 0
		.amdhsa_exception_fp_ieee_overflow 0
		.amdhsa_exception_fp_ieee_underflow 0
		.amdhsa_exception_fp_ieee_inexact 0
		.amdhsa_exception_int_div_zero 0
	.end_amdhsa_kernel
	.section	.text._ZN7rocprim17ROCPRIM_400000_NS6detail31init_lookback_scan_state_kernelINS1_19lookback_scan_stateIjLb0ELb1EEENS1_16block_id_wrapperIjLb0EEEEEvT_jT0_jPNS7_10value_typeE,"axG",@progbits,_ZN7rocprim17ROCPRIM_400000_NS6detail31init_lookback_scan_state_kernelINS1_19lookback_scan_stateIjLb0ELb1EEENS1_16block_id_wrapperIjLb0EEEEEvT_jT0_jPNS7_10value_typeE,comdat
.Lfunc_end47:
	.size	_ZN7rocprim17ROCPRIM_400000_NS6detail31init_lookback_scan_state_kernelINS1_19lookback_scan_stateIjLb0ELb1EEENS1_16block_id_wrapperIjLb0EEEEEvT_jT0_jPNS7_10value_typeE, .Lfunc_end47-_ZN7rocprim17ROCPRIM_400000_NS6detail31init_lookback_scan_state_kernelINS1_19lookback_scan_stateIjLb0ELb1EEENS1_16block_id_wrapperIjLb0EEEEEvT_jT0_jPNS7_10value_typeE
                                        ; -- End function
	.set _ZN7rocprim17ROCPRIM_400000_NS6detail31init_lookback_scan_state_kernelINS1_19lookback_scan_stateIjLb0ELb1EEENS1_16block_id_wrapperIjLb0EEEEEvT_jT0_jPNS7_10value_typeE.num_vgpr, 5
	.set _ZN7rocprim17ROCPRIM_400000_NS6detail31init_lookback_scan_state_kernelINS1_19lookback_scan_stateIjLb0ELb1EEENS1_16block_id_wrapperIjLb0EEEEEvT_jT0_jPNS7_10value_typeE.num_agpr, 0
	.set _ZN7rocprim17ROCPRIM_400000_NS6detail31init_lookback_scan_state_kernelINS1_19lookback_scan_stateIjLb0ELb1EEENS1_16block_id_wrapperIjLb0EEEEEvT_jT0_jPNS7_10value_typeE.numbered_sgpr, 11
	.set _ZN7rocprim17ROCPRIM_400000_NS6detail31init_lookback_scan_state_kernelINS1_19lookback_scan_stateIjLb0ELb1EEENS1_16block_id_wrapperIjLb0EEEEEvT_jT0_jPNS7_10value_typeE.num_named_barrier, 0
	.set _ZN7rocprim17ROCPRIM_400000_NS6detail31init_lookback_scan_state_kernelINS1_19lookback_scan_stateIjLb0ELb1EEENS1_16block_id_wrapperIjLb0EEEEEvT_jT0_jPNS7_10value_typeE.private_seg_size, 0
	.set _ZN7rocprim17ROCPRIM_400000_NS6detail31init_lookback_scan_state_kernelINS1_19lookback_scan_stateIjLb0ELb1EEENS1_16block_id_wrapperIjLb0EEEEEvT_jT0_jPNS7_10value_typeE.uses_vcc, 1
	.set _ZN7rocprim17ROCPRIM_400000_NS6detail31init_lookback_scan_state_kernelINS1_19lookback_scan_stateIjLb0ELb1EEENS1_16block_id_wrapperIjLb0EEEEEvT_jT0_jPNS7_10value_typeE.uses_flat_scratch, 0
	.set _ZN7rocprim17ROCPRIM_400000_NS6detail31init_lookback_scan_state_kernelINS1_19lookback_scan_stateIjLb0ELb1EEENS1_16block_id_wrapperIjLb0EEEEEvT_jT0_jPNS7_10value_typeE.has_dyn_sized_stack, 0
	.set _ZN7rocprim17ROCPRIM_400000_NS6detail31init_lookback_scan_state_kernelINS1_19lookback_scan_stateIjLb0ELb1EEENS1_16block_id_wrapperIjLb0EEEEEvT_jT0_jPNS7_10value_typeE.has_recursion, 0
	.set _ZN7rocprim17ROCPRIM_400000_NS6detail31init_lookback_scan_state_kernelINS1_19lookback_scan_stateIjLb0ELb1EEENS1_16block_id_wrapperIjLb0EEEEEvT_jT0_jPNS7_10value_typeE.has_indirect_call, 0
	.section	.AMDGPU.csdata,"",@progbits
; Kernel info:
; codeLenInByte = 356
; TotalNumSgprs: 13
; NumVgprs: 5
; ScratchSize: 0
; MemoryBound: 0
; FloatMode: 240
; IeeeMode: 1
; LDSByteSize: 0 bytes/workgroup (compile time only)
; SGPRBlocks: 0
; VGPRBlocks: 0
; NumSGPRsForWavesPerEU: 13
; NumVGPRsForWavesPerEU: 5
; NamedBarCnt: 0
; Occupancy: 16
; WaveLimiterHint : 0
; COMPUTE_PGM_RSRC2:SCRATCH_EN: 0
; COMPUTE_PGM_RSRC2:USER_SGPR: 2
; COMPUTE_PGM_RSRC2:TRAP_HANDLER: 0
; COMPUTE_PGM_RSRC2:TGID_X_EN: 1
; COMPUTE_PGM_RSRC2:TGID_Y_EN: 0
; COMPUTE_PGM_RSRC2:TGID_Z_EN: 0
; COMPUTE_PGM_RSRC2:TIDIG_COMP_CNT: 0
	.section	.text._ZN7rocprim17ROCPRIM_400000_NS6detail17trampoline_kernelINS0_13select_configILj256ELj13ELNS0_17block_load_methodE3ELS4_3ELS4_3ELNS0_20block_scan_algorithmE0ELj4294967295EEENS1_25partition_config_selectorILNS1_17partition_subalgoE3EjNS0_10empty_typeEbEEZZNS1_14partition_implILS8_3ELb0ES6_jNS0_17counting_iteratorIjlEEPS9_SE_NS0_5tupleIJPjSE_EEENSF_IJSE_SE_EEES9_SG_JZNS1_25segmented_radix_sort_implINS0_14default_configELb1EPKhPhPKlPlN2at6native12_GLOBAL__N_18offset_tEEE10hipError_tPvRmT1_PNSt15iterator_traitsISY_E10value_typeET2_T3_PNSZ_IS14_E10value_typeET4_jRbjT5_S1A_jjP12ihipStream_tbEUljE_EEESV_SW_SX_S14_S18_S1A_T6_T7_T9_mT8_S1C_bDpT10_ENKUlT_T0_E_clISt17integral_constantIbLb0EES1P_EEDaS1K_S1L_EUlS1K_E_NS1_11comp_targetILNS1_3genE0ELNS1_11target_archE4294967295ELNS1_3gpuE0ELNS1_3repE0EEENS1_30default_config_static_selectorELNS0_4arch9wavefront6targetE0EEEvSY_,"axG",@progbits,_ZN7rocprim17ROCPRIM_400000_NS6detail17trampoline_kernelINS0_13select_configILj256ELj13ELNS0_17block_load_methodE3ELS4_3ELS4_3ELNS0_20block_scan_algorithmE0ELj4294967295EEENS1_25partition_config_selectorILNS1_17partition_subalgoE3EjNS0_10empty_typeEbEEZZNS1_14partition_implILS8_3ELb0ES6_jNS0_17counting_iteratorIjlEEPS9_SE_NS0_5tupleIJPjSE_EEENSF_IJSE_SE_EEES9_SG_JZNS1_25segmented_radix_sort_implINS0_14default_configELb1EPKhPhPKlPlN2at6native12_GLOBAL__N_18offset_tEEE10hipError_tPvRmT1_PNSt15iterator_traitsISY_E10value_typeET2_T3_PNSZ_IS14_E10value_typeET4_jRbjT5_S1A_jjP12ihipStream_tbEUljE_EEESV_SW_SX_S14_S18_S1A_T6_T7_T9_mT8_S1C_bDpT10_ENKUlT_T0_E_clISt17integral_constantIbLb0EES1P_EEDaS1K_S1L_EUlS1K_E_NS1_11comp_targetILNS1_3genE0ELNS1_11target_archE4294967295ELNS1_3gpuE0ELNS1_3repE0EEENS1_30default_config_static_selectorELNS0_4arch9wavefront6targetE0EEEvSY_,comdat
	.globl	_ZN7rocprim17ROCPRIM_400000_NS6detail17trampoline_kernelINS0_13select_configILj256ELj13ELNS0_17block_load_methodE3ELS4_3ELS4_3ELNS0_20block_scan_algorithmE0ELj4294967295EEENS1_25partition_config_selectorILNS1_17partition_subalgoE3EjNS0_10empty_typeEbEEZZNS1_14partition_implILS8_3ELb0ES6_jNS0_17counting_iteratorIjlEEPS9_SE_NS0_5tupleIJPjSE_EEENSF_IJSE_SE_EEES9_SG_JZNS1_25segmented_radix_sort_implINS0_14default_configELb1EPKhPhPKlPlN2at6native12_GLOBAL__N_18offset_tEEE10hipError_tPvRmT1_PNSt15iterator_traitsISY_E10value_typeET2_T3_PNSZ_IS14_E10value_typeET4_jRbjT5_S1A_jjP12ihipStream_tbEUljE_EEESV_SW_SX_S14_S18_S1A_T6_T7_T9_mT8_S1C_bDpT10_ENKUlT_T0_E_clISt17integral_constantIbLb0EES1P_EEDaS1K_S1L_EUlS1K_E_NS1_11comp_targetILNS1_3genE0ELNS1_11target_archE4294967295ELNS1_3gpuE0ELNS1_3repE0EEENS1_30default_config_static_selectorELNS0_4arch9wavefront6targetE0EEEvSY_ ; -- Begin function _ZN7rocprim17ROCPRIM_400000_NS6detail17trampoline_kernelINS0_13select_configILj256ELj13ELNS0_17block_load_methodE3ELS4_3ELS4_3ELNS0_20block_scan_algorithmE0ELj4294967295EEENS1_25partition_config_selectorILNS1_17partition_subalgoE3EjNS0_10empty_typeEbEEZZNS1_14partition_implILS8_3ELb0ES6_jNS0_17counting_iteratorIjlEEPS9_SE_NS0_5tupleIJPjSE_EEENSF_IJSE_SE_EEES9_SG_JZNS1_25segmented_radix_sort_implINS0_14default_configELb1EPKhPhPKlPlN2at6native12_GLOBAL__N_18offset_tEEE10hipError_tPvRmT1_PNSt15iterator_traitsISY_E10value_typeET2_T3_PNSZ_IS14_E10value_typeET4_jRbjT5_S1A_jjP12ihipStream_tbEUljE_EEESV_SW_SX_S14_S18_S1A_T6_T7_T9_mT8_S1C_bDpT10_ENKUlT_T0_E_clISt17integral_constantIbLb0EES1P_EEDaS1K_S1L_EUlS1K_E_NS1_11comp_targetILNS1_3genE0ELNS1_11target_archE4294967295ELNS1_3gpuE0ELNS1_3repE0EEENS1_30default_config_static_selectorELNS0_4arch9wavefront6targetE0EEEvSY_
	.p2align	8
	.type	_ZN7rocprim17ROCPRIM_400000_NS6detail17trampoline_kernelINS0_13select_configILj256ELj13ELNS0_17block_load_methodE3ELS4_3ELS4_3ELNS0_20block_scan_algorithmE0ELj4294967295EEENS1_25partition_config_selectorILNS1_17partition_subalgoE3EjNS0_10empty_typeEbEEZZNS1_14partition_implILS8_3ELb0ES6_jNS0_17counting_iteratorIjlEEPS9_SE_NS0_5tupleIJPjSE_EEENSF_IJSE_SE_EEES9_SG_JZNS1_25segmented_radix_sort_implINS0_14default_configELb1EPKhPhPKlPlN2at6native12_GLOBAL__N_18offset_tEEE10hipError_tPvRmT1_PNSt15iterator_traitsISY_E10value_typeET2_T3_PNSZ_IS14_E10value_typeET4_jRbjT5_S1A_jjP12ihipStream_tbEUljE_EEESV_SW_SX_S14_S18_S1A_T6_T7_T9_mT8_S1C_bDpT10_ENKUlT_T0_E_clISt17integral_constantIbLb0EES1P_EEDaS1K_S1L_EUlS1K_E_NS1_11comp_targetILNS1_3genE0ELNS1_11target_archE4294967295ELNS1_3gpuE0ELNS1_3repE0EEENS1_30default_config_static_selectorELNS0_4arch9wavefront6targetE0EEEvSY_,@function
_ZN7rocprim17ROCPRIM_400000_NS6detail17trampoline_kernelINS0_13select_configILj256ELj13ELNS0_17block_load_methodE3ELS4_3ELS4_3ELNS0_20block_scan_algorithmE0ELj4294967295EEENS1_25partition_config_selectorILNS1_17partition_subalgoE3EjNS0_10empty_typeEbEEZZNS1_14partition_implILS8_3ELb0ES6_jNS0_17counting_iteratorIjlEEPS9_SE_NS0_5tupleIJPjSE_EEENSF_IJSE_SE_EEES9_SG_JZNS1_25segmented_radix_sort_implINS0_14default_configELb1EPKhPhPKlPlN2at6native12_GLOBAL__N_18offset_tEEE10hipError_tPvRmT1_PNSt15iterator_traitsISY_E10value_typeET2_T3_PNSZ_IS14_E10value_typeET4_jRbjT5_S1A_jjP12ihipStream_tbEUljE_EEESV_SW_SX_S14_S18_S1A_T6_T7_T9_mT8_S1C_bDpT10_ENKUlT_T0_E_clISt17integral_constantIbLb0EES1P_EEDaS1K_S1L_EUlS1K_E_NS1_11comp_targetILNS1_3genE0ELNS1_11target_archE4294967295ELNS1_3gpuE0ELNS1_3repE0EEENS1_30default_config_static_selectorELNS0_4arch9wavefront6targetE0EEEvSY_: ; @_ZN7rocprim17ROCPRIM_400000_NS6detail17trampoline_kernelINS0_13select_configILj256ELj13ELNS0_17block_load_methodE3ELS4_3ELS4_3ELNS0_20block_scan_algorithmE0ELj4294967295EEENS1_25partition_config_selectorILNS1_17partition_subalgoE3EjNS0_10empty_typeEbEEZZNS1_14partition_implILS8_3ELb0ES6_jNS0_17counting_iteratorIjlEEPS9_SE_NS0_5tupleIJPjSE_EEENSF_IJSE_SE_EEES9_SG_JZNS1_25segmented_radix_sort_implINS0_14default_configELb1EPKhPhPKlPlN2at6native12_GLOBAL__N_18offset_tEEE10hipError_tPvRmT1_PNSt15iterator_traitsISY_E10value_typeET2_T3_PNSZ_IS14_E10value_typeET4_jRbjT5_S1A_jjP12ihipStream_tbEUljE_EEESV_SW_SX_S14_S18_S1A_T6_T7_T9_mT8_S1C_bDpT10_ENKUlT_T0_E_clISt17integral_constantIbLb0EES1P_EEDaS1K_S1L_EUlS1K_E_NS1_11comp_targetILNS1_3genE0ELNS1_11target_archE4294967295ELNS1_3gpuE0ELNS1_3repE0EEENS1_30default_config_static_selectorELNS0_4arch9wavefront6targetE0EEEvSY_
; %bb.0:
	s_clause 0x4
	s_load_b128 s[8:11], s[0:1], 0x48
	s_load_b32 s2, s[0:1], 0x70
	s_load_b64 s[12:13], s[0:1], 0x10
	s_load_b64 s[14:15], s[0:1], 0x58
	s_load_b32 s20, s[0:1], 0x8
	s_bfe_u32 s3, ttmp6, 0x4000c
	s_and_b32 s4, ttmp6, 15
	s_add_co_i32 s3, s3, 1
	s_getreg_b32 s5, hwreg(HW_REG_IB_STS2, 6, 4)
	s_mul_i32 s3, ttmp9, s3
	s_mov_b32 s17, 0
	s_add_co_i32 s16, s4, s3
	s_cmp_eq_u32 s5, 0
	s_clause 0x1
	s_load_b32 s3, s[0:1], 0x88
	s_load_b128 s[4:7], s[0:1], 0x78
	s_cselect_b32 s24, ttmp9, s16
	v_lshlrev_b32_e32 v19, 2, v0
	s_wait_kmcnt 0x0
	s_load_b64 s[18:19], s[10:11], 0x0
	s_mul_i32 s16, s2, 0xd00
	s_add_co_i32 s2, s2, -1
	s_add_co_i32 s21, s16, s12
	s_wait_xcnt 0x0
	s_add_nc_u64 s[10:11], s[12:13], s[16:17]
	s_sub_co_i32 s23, s14, s21
	v_cmp_gt_u64_e64 s11, s[14:15], s[10:11]
	s_addk_co_i32 s23, 0xd00
	s_cmp_eq_u32 s24, s2
	s_mul_i32 s10, s24, 0xd00
	s_cselect_b32 s22, -1, 0
	s_cmp_lg_u32 s24, s2
	s_mov_b32 s17, -1
	s_cselect_b32 s2, -1, 0
	s_add_co_i32 s16, s20, s10
	s_or_b32 s11, s2, s11
	s_add_co_i32 s16, s16, s12
	s_and_b32 vcc_lo, exec_lo, s11
	v_add_nc_u32_e32 v1, s16, v0
	s_cbranch_vccz .LBB48_2
; %bb.1:
	s_delay_alu instid0(VALU_DEP_1)
	v_add_nc_u32_e32 v2, 0x100, v1
	v_add_nc_u32_e32 v3, 0x200, v1
	;; [unrolled: 1-line block ×12, first 2 shown]
	ds_store_2addr_stride64_b32 v19, v1, v2 offset1:4
	ds_store_2addr_stride64_b32 v19, v3, v4 offset0:8 offset1:12
	ds_store_2addr_stride64_b32 v19, v5, v6 offset0:16 offset1:20
	;; [unrolled: 1-line block ×5, first 2 shown]
	ds_store_b32 v19, v13 offset:12288
	s_wait_dscnt 0x0
	s_barrier_signal -1
	s_mov_b32 s17, 0
	s_barrier_wait -1
.LBB48_2:
	v_cmp_gt_u32_e64 s2, s23, v0
	v_or_b32_e32 v40, 0x100, v0
	v_or_b32_e32 v38, 0x200, v0
	;; [unrolled: 1-line block ×12, first 2 shown]
	s_and_not1_b32 vcc_lo, exec_lo, s17
	s_cbranch_vccnz .LBB48_4
; %bb.3:
	v_dual_add_nc_u32 v2, s16, v40 :: v_dual_cndmask_b32 v1, 0, v1, s2
	v_cmp_gt_u32_e32 vcc_lo, s23, v40
	v_dual_add_nc_u32 v3, s16, v38 :: v_dual_add_nc_u32 v4, s16, v36
	v_dual_add_nc_u32 v7, s16, v30 :: v_dual_add_nc_u32 v8, s16, v28
	s_delay_alu instid0(VALU_DEP_4)
	v_cndmask_b32_e32 v2, 0, v2, vcc_lo
	v_cmp_gt_u32_e32 vcc_lo, s23, v38
	v_dual_add_nc_u32 v11, s16, v22 :: v_dual_add_nc_u32 v12, s16, v20
	v_cndmask_b32_e32 v3, 0, v3, vcc_lo
	v_cmp_gt_u32_e32 vcc_lo, s23, v36
	v_dual_cndmask_b32 v4, 0, v4 :: v_dual_add_nc_u32 v5, s16, v34
	v_cmp_gt_u32_e32 vcc_lo, s23, v34
	s_delay_alu instid0(VALU_DEP_2) | instskip(SKIP_1) | instid1(VALU_DEP_2)
	v_dual_cndmask_b32 v5, 0, v5 :: v_dual_add_nc_u32 v6, s16, v32
	v_cmp_gt_u32_e32 vcc_lo, s23, v32
	v_cndmask_b32_e32 v6, 0, v6, vcc_lo
	v_cmp_gt_u32_e32 vcc_lo, s23, v30
	v_cndmask_b32_e32 v7, 0, v7, vcc_lo
	v_cmp_gt_u32_e32 vcc_lo, s23, v28
	v_dual_cndmask_b32 v8, 0, v8 :: v_dual_add_nc_u32 v9, s16, v26
	v_cmp_gt_u32_e32 vcc_lo, s23, v26
	s_delay_alu instid0(VALU_DEP_2) | instskip(SKIP_1) | instid1(VALU_DEP_2)
	v_dual_cndmask_b32 v9, 0, v9 :: v_dual_add_nc_u32 v10, s16, v24
	v_cmp_gt_u32_e32 vcc_lo, s23, v24
	v_cndmask_b32_e32 v10, 0, v10, vcc_lo
	v_cmp_gt_u32_e32 vcc_lo, s23, v22
	v_cndmask_b32_e32 v11, 0, v11, vcc_lo
	v_cmp_gt_u32_e32 vcc_lo, s23, v20
	v_dual_cndmask_b32 v12, 0, v12 :: v_dual_add_nc_u32 v13, s16, v18
	v_cmp_gt_u32_e32 vcc_lo, s23, v18
	s_delay_alu instid0(VALU_DEP_2)
	v_cndmask_b32_e32 v13, 0, v13, vcc_lo
	ds_store_2addr_stride64_b32 v19, v1, v2 offset1:4
	ds_store_2addr_stride64_b32 v19, v3, v4 offset0:8 offset1:12
	ds_store_2addr_stride64_b32 v19, v5, v6 offset0:16 offset1:20
	ds_store_2addr_stride64_b32 v19, v7, v8 offset0:24 offset1:28
	ds_store_2addr_stride64_b32 v19, v9, v10 offset0:32 offset1:36
	ds_store_2addr_stride64_b32 v19, v11, v12 offset0:40 offset1:44
	ds_store_b32 v19, v13 offset:12288
	s_wait_dscnt 0x0
	s_barrier_signal -1
	s_barrier_wait -1
.LBB48_4:
	v_mul_u32_u24_e32 v23, 13, v0
	v_cndmask_b32_e64 v21, 0, 1, s11
	s_and_not1_b32 vcc_lo, exec_lo, s11
	s_delay_alu instid0(VALU_DEP_2)
	v_lshlrev_b32_e32 v2, 2, v23
	ds_load_2addr_b32 v[50:51], v2 offset0:2 offset1:3
	ds_load_2addr_b32 v[46:47], v2 offset0:6 offset1:7
	;; [unrolled: 1-line block ×3, first 2 shown]
	ds_load_2addr_b32 v[52:53], v2 offset1:1
	ds_load_2addr_b32 v[42:43], v2 offset0:10 offset1:11
	ds_load_b32 v1, v2 offset:48
	ds_load_2addr_b32 v[44:45], v2 offset0:8 offset1:9
	s_wait_dscnt 0x0
	s_barrier_signal -1
	s_barrier_wait -1
	s_cbranch_vccnz .LBB48_6
; %bb.5:
	v_dual_add_nc_u32 v2, s5, v51 :: v_dual_add_nc_u32 v3, s5, v53
	v_dual_add_nc_u32 v4, s5, v52 :: v_dual_add_nc_u32 v5, s5, v50
	;; [unrolled: 1-line block ×4, first 2 shown]
	s_delay_alu instid0(VALU_DEP_3) | instskip(NEXT) | instid1(VALU_DEP_4)
	v_mul_lo_u32 v5, v5, s4
	v_mul_lo_u32 v4, v4, s4
	;; [unrolled: 1-line block ×8, first 2 shown]
	v_dual_add_nc_u32 v10, s5, v48 :: v_dual_add_nc_u32 v11, s7, v48
	v_dual_add_nc_u32 v14, s7, v43 :: v_dual_add_nc_u32 v15, s5, v42
	;; [unrolled: 1-line block ×3, first 2 shown]
	s_delay_alu instid0(VALU_DEP_3)
	v_mul_lo_u32 v10, v10, s4
	v_dual_sub_nc_u32 v2, v2, v6 :: v_dual_sub_nc_u32 v3, v3, v7
	v_dual_sub_nc_u32 v4, v4, v8 :: v_dual_sub_nc_u32 v5, v5, v9
	v_dual_add_nc_u32 v6, s5, v49 :: v_dual_add_nc_u32 v7, s7, v49
	v_dual_add_nc_u32 v8, s5, v47 :: v_dual_add_nc_u32 v9, s7, v47
	v_mul_lo_u32 v11, v11, s6
	s_delay_alu instid0(VALU_DEP_3) | instskip(NEXT) | instid1(VALU_DEP_4)
	v_mul_lo_u32 v6, v6, s4
	v_mul_lo_u32 v7, v7, s6
	s_delay_alu instid0(VALU_DEP_4)
	v_mul_lo_u32 v8, v8, s4
	v_mul_lo_u32 v9, v9, s6
	v_cmp_lt_u32_e32 vcc_lo, s3, v2
	v_dual_add_nc_u32 v12, s5, v46 :: v_dual_add_nc_u32 v13, s5, v44
	v_mul_lo_u32 v14, v14, s6
	v_mul_lo_u32 v16, v16, s6
	v_cndmask_b32_e64 v2, 0, 1, vcc_lo
	v_cmp_lt_u32_e32 vcc_lo, s3, v3
	v_mul_lo_u32 v13, v13, s4
	v_dual_sub_nc_u32 v6, v6, v7 :: v_dual_add_nc_u32 v7, s7, v46
	v_dual_sub_nc_u32 v8, v8, v9 :: v_dual_sub_nc_u32 v9, v10, v11
	v_dual_add_nc_u32 v11, s5, v45 :: v_dual_add_nc_u32 v10, s5, v43
	v_cndmask_b32_e64 v3, 0, 1, vcc_lo
	s_delay_alu instid0(VALU_DEP_4)
	v_cmp_lt_u32_e32 vcc_lo, s3, v6
	v_mul_lo_u32 v12, v12, s4
	v_mul_lo_u32 v7, v7, s6
	;; [unrolled: 1-line block ×4, first 2 shown]
	v_cndmask_b32_e64 v6, 0, 1, vcc_lo
	v_cmp_lt_u32_e32 vcc_lo, s3, v8
	v_lshlrev_b16 v3, 8, v3
	v_add_nc_u32_e32 v25, s7, v42
	v_mul_lo_u32 v17, v17, s6
	v_lshlrev_b16 v6, 8, v6
	v_cndmask_b32_e64 v8, 0, 1, vcc_lo
	v_cmp_lt_u32_e32 vcc_lo, s3, v4
	v_dual_sub_nc_u32 v7, v12, v7 :: v_dual_sub_nc_u32 v10, v10, v14
	v_mul_lo_u32 v12, v15, s4
	v_mul_lo_u32 v15, v25, s6
	v_dual_add_nc_u32 v25, s7, v1 :: v_dual_lshrrev_b32 v3, 8, v3
	v_sub_nc_u32_e32 v11, v11, v16
	v_cndmask_b32_e64 v4, 0, 1, vcc_lo
	v_cmp_lt_u32_e32 vcc_lo, s3, v10
	v_dual_lshrrev_b32 v6, 8, v6 :: v_dual_add_nc_u32 v14, s5, v1
	v_mul_lo_u32 v16, v25, s6
	v_lshlrev_b16 v2, 8, v2
	v_cndmask_b32_e64 v10, 0, 1, vcc_lo
	v_cmp_lt_u32_e32 vcc_lo, s3, v11
	v_mul_lo_u32 v14, v14, s4
	v_dual_sub_nc_u32 v13, v13, v17 :: v_dual_sub_nc_u32 v12, v12, v15
	v_lshlrev_b16 v3, 8, v3
	v_cndmask_b32_e64 v11, 0, 1, vcc_lo
	v_cmp_lt_u32_e32 vcc_lo, s3, v5
	v_lshrrev_b32_e32 v2, 8, v2
	v_lshlrev_b16 v8, 8, v8
	v_or_b32_e32 v3, v4, v3
	v_lshlrev_b16 v4, 8, v10
	v_cndmask_b32_e64 v5, 0, 1, vcc_lo
	v_cmp_lt_u32_e32 vcc_lo, s3, v9
	v_lshlrev_b16 v10, 8, v11
	v_sub_nc_u32_e32 v11, v14, v16
	v_lshlrev_b16 v2, 8, v2
	v_lshrrev_b32_e32 v4, 8, v4
	v_cndmask_b32_e64 v9, 0, 1, vcc_lo
	v_cmp_lt_u32_e32 vcc_lo, s3, v7
	v_lshrrev_b32_e32 v10, 8, v10
	v_lshlrev_b16 v6, 8, v6
	v_or_b32_e32 v2, v5, v2
	v_lshlrev_b16 v4, 8, v4
	v_cndmask_b32_e64 v7, 0, 1, vcc_lo
	v_cmp_lt_u32_e32 vcc_lo, s3, v13
	v_lshlrev_b16 v10, 8, v10
	v_or_b32_e32 v5, v9, v6
	v_and_b32_e32 v3, 0xffff, v3
	v_dual_lshlrev_b32 v2, 16, v2 :: v_dual_bitop2_b32 v6, v7, v8 bitop3:0x54
	v_cndmask_b32_e64 v13, 0, 1, vcc_lo
	v_cmp_lt_u32_e32 vcc_lo, s3, v12
	s_delay_alu instid0(VALU_DEP_3) | instskip(SKIP_4) | instid1(VALU_DEP_4)
	v_lshlrev_b32_e32 v6, 16, v6
	v_and_b32_e32 v5, 0xffff, v5
	v_or_b32_e32 v35, v3, v2
	v_cndmask_b32_e64 v12, 0, 1, vcc_lo
	v_cmp_lt_u32_e32 vcc_lo, s3, v11
	v_or_b32_e32 v31, v5, v6
	s_delay_alu instid0(VALU_DEP_3) | instskip(SKIP_2) | instid1(VALU_DEP_3)
	v_or_b32_e32 v4, v12, v4
	v_or_b32_e32 v7, v13, v10
	v_cndmask_b32_e64 v25, 0, 1, vcc_lo
	v_lshlrev_b32_e32 v4, 16, v4
	s_delay_alu instid0(VALU_DEP_3) | instskip(NEXT) | instid1(VALU_DEP_1)
	v_and_b32_e32 v7, 0xffff, v7
	v_or_b32_e32 v27, v7, v4
	s_load_b64 s[20:21], s[0:1], 0x68
	s_cbranch_execz .LBB48_7
	s_branch .LBB48_34
.LBB48_6:
                                        ; implicit-def: $vgpr25
                                        ; implicit-def: $vgpr27
                                        ; implicit-def: $vgpr31
                                        ; implicit-def: $vgpr35
	s_load_b64 s[20:21], s[0:1], 0x68
.LBB48_7:
	v_dual_mov_b32 v3, 0 :: v_dual_mov_b32 v2, 0
	s_mov_b32 s2, exec_lo
	v_cmpx_gt_u32_e64 s23, v23
	s_cbranch_execz .LBB48_9
; %bb.8:
	v_dual_add_nc_u32 v2, s5, v52 :: v_dual_add_nc_u32 v4, s7, v52
	s_delay_alu instid0(VALU_DEP_1) | instskip(NEXT) | instid1(VALU_DEP_2)
	v_mul_lo_u32 v2, v2, s4
	v_mul_lo_u32 v4, v4, s6
	s_delay_alu instid0(VALU_DEP_1) | instskip(NEXT) | instid1(VALU_DEP_1)
	v_sub_nc_u32_e32 v2, v2, v4
	v_cmp_lt_u32_e32 vcc_lo, s3, v2
	v_cndmask_b32_e64 v2, 0, 1, vcc_lo
.LBB48_9:
	s_or_b32 exec_lo, exec_lo, s2
	v_add_nc_u32_e32 v4, 1, v23
	s_mov_b32 s2, exec_lo
	s_delay_alu instid0(VALU_DEP_1)
	v_cmpx_gt_u32_e64 s23, v4
	s_cbranch_execz .LBB48_11
; %bb.10:
	v_dual_add_nc_u32 v3, s5, v53 :: v_dual_add_nc_u32 v4, s7, v53
	s_delay_alu instid0(VALU_DEP_1) | instskip(NEXT) | instid1(VALU_DEP_2)
	v_mul_lo_u32 v3, v3, s4
	v_mul_lo_u32 v4, v4, s6
	s_delay_alu instid0(VALU_DEP_1) | instskip(NEXT) | instid1(VALU_DEP_1)
	v_sub_nc_u32_e32 v3, v3, v4
	v_cmp_lt_u32_e32 vcc_lo, s3, v3
	v_cndmask_b32_e64 v3, 0, 1, vcc_lo
.LBB48_11:
	s_or_b32 exec_lo, exec_lo, s2
	v_dual_mov_b32 v5, 0 :: v_dual_add_nc_u32 v4, 2, v23
	s_delay_alu instid0(VALU_DEP_1)
	v_cmp_gt_u32_e32 vcc_lo, s23, v4
	v_mov_b32_e32 v4, 0
	s_and_saveexec_b32 s2, vcc_lo
	s_cbranch_execz .LBB48_13
; %bb.12:
	v_dual_add_nc_u32 v4, s5, v50 :: v_dual_add_nc_u32 v6, s7, v50
	s_delay_alu instid0(VALU_DEP_1) | instskip(NEXT) | instid1(VALU_DEP_2)
	v_mul_lo_u32 v4, v4, s4
	v_mul_lo_u32 v6, v6, s6
	s_delay_alu instid0(VALU_DEP_1) | instskip(NEXT) | instid1(VALU_DEP_1)
	v_sub_nc_u32_e32 v4, v4, v6
	v_cmp_lt_u32_e32 vcc_lo, s3, v4
	v_cndmask_b32_e64 v4, 0, 1, vcc_lo
.LBB48_13:
	s_or_b32 exec_lo, exec_lo, s2
	v_add_nc_u32_e32 v6, 3, v23
	s_mov_b32 s2, exec_lo
	s_delay_alu instid0(VALU_DEP_1)
	v_cmpx_gt_u32_e64 s23, v6
	s_cbranch_execz .LBB48_15
; %bb.14:
	v_dual_add_nc_u32 v5, s5, v51 :: v_dual_add_nc_u32 v6, s7, v51
	s_delay_alu instid0(VALU_DEP_1) | instskip(NEXT) | instid1(VALU_DEP_2)
	v_mul_lo_u32 v5, v5, s4
	v_mul_lo_u32 v6, v6, s6
	s_delay_alu instid0(VALU_DEP_1) | instskip(NEXT) | instid1(VALU_DEP_1)
	v_sub_nc_u32_e32 v5, v5, v6
	v_cmp_lt_u32_e32 vcc_lo, s3, v5
	v_cndmask_b32_e64 v5, 0, 1, vcc_lo
.LBB48_15:
	s_or_b32 exec_lo, exec_lo, s2
	v_dual_mov_b32 v7, 0 :: v_dual_add_nc_u32 v6, 4, v23
	s_delay_alu instid0(VALU_DEP_1)
	v_cmp_gt_u32_e32 vcc_lo, s23, v6
	v_mov_b32_e32 v6, 0
	s_and_saveexec_b32 s2, vcc_lo
	;; [unrolled: 33-line block ×5, first 2 shown]
	s_cbranch_execz .LBB48_29
; %bb.28:
	v_dual_add_nc_u32 v12, s5, v42 :: v_dual_add_nc_u32 v14, s7, v42
	s_delay_alu instid0(VALU_DEP_1) | instskip(NEXT) | instid1(VALU_DEP_2)
	v_mul_lo_u32 v12, v12, s4
	v_mul_lo_u32 v14, v14, s6
	s_delay_alu instid0(VALU_DEP_1) | instskip(NEXT) | instid1(VALU_DEP_1)
	v_sub_nc_u32_e32 v12, v12, v14
	v_cmp_lt_u32_e32 vcc_lo, s3, v12
	v_cndmask_b32_e64 v12, 0, 1, vcc_lo
.LBB48_29:
	s_or_b32 exec_lo, exec_lo, s2
	v_add_nc_u32_e32 v14, 11, v23
	s_mov_b32 s2, exec_lo
	s_delay_alu instid0(VALU_DEP_1)
	v_cmpx_gt_u32_e64 s23, v14
	s_cbranch_execz .LBB48_31
; %bb.30:
	v_dual_add_nc_u32 v13, s5, v43 :: v_dual_add_nc_u32 v14, s7, v43
	s_delay_alu instid0(VALU_DEP_1) | instskip(NEXT) | instid1(VALU_DEP_2)
	v_mul_lo_u32 v13, v13, s4
	v_mul_lo_u32 v14, v14, s6
	s_delay_alu instid0(VALU_DEP_1) | instskip(NEXT) | instid1(VALU_DEP_1)
	v_sub_nc_u32_e32 v13, v13, v14
	v_cmp_lt_u32_e32 vcc_lo, s3, v13
	v_cndmask_b32_e64 v13, 0, 1, vcc_lo
.LBB48_31:
	s_or_b32 exec_lo, exec_lo, s2
	v_dual_mov_b32 v25, 0 :: v_dual_add_nc_u32 v14, 12, v23
	s_mov_b32 s2, exec_lo
	s_delay_alu instid0(VALU_DEP_1)
	v_cmpx_gt_u32_e64 s23, v14
	s_cbranch_execz .LBB48_33
; %bb.32:
	v_dual_add_nc_u32 v14, s7, v1 :: v_dual_add_nc_u32 v15, s5, v1
	s_delay_alu instid0(VALU_DEP_1) | instskip(NEXT) | instid1(VALU_DEP_2)
	v_mul_lo_u32 v14, v14, s6
	v_mul_lo_u32 v15, v15, s4
	s_delay_alu instid0(VALU_DEP_1) | instskip(NEXT) | instid1(VALU_DEP_1)
	v_sub_nc_u32_e32 v14, v15, v14
	v_cmp_lt_u32_e32 vcc_lo, s3, v14
	v_cndmask_b32_e64 v25, 0, 1, vcc_lo
.LBB48_33:
	s_or_b32 exec_lo, exec_lo, s2
	v_lshlrev_b16 v5, 8, v5
	v_lshlrev_b16 v7, 8, v7
	;; [unrolled: 1-line block ×5, first 2 shown]
	v_or_b32_e32 v4, v4, v5
	v_or_b32_e32 v5, v6, v7
	;; [unrolled: 1-line block ×3, first 2 shown]
	s_delay_alu instid0(VALU_DEP_4) | instskip(NEXT) | instid1(VALU_DEP_3)
	v_or_b32_e32 v7, v10, v11
	v_and_b32_e32 v5, 0xffff, v5
	s_delay_alu instid0(VALU_DEP_3) | instskip(SKIP_3) | instid1(VALU_DEP_4)
	v_dual_lshlrev_b32 v6, 16, v6 :: v_dual_bitop2_b32 v2, v2, v3 bitop3:0x54
	v_lshlrev_b32_e32 v4, 16, v4
	v_lshlrev_b16 v3, 8, v13
	v_and_b32_e32 v7, 0xffff, v7
	v_or_b32_e32 v31, v5, v6
	v_and_b32_e32 v2, 0xffff, v2
	s_delay_alu instid0(VALU_DEP_4) | instskip(NEXT) | instid1(VALU_DEP_1)
	v_or_b32_e32 v3, v12, v3
	v_dual_lshlrev_b32 v3, 16, v3 :: v_dual_bitop2_b32 v35, v2, v4 bitop3:0x54
	s_delay_alu instid0(VALU_DEP_1)
	v_or_b32_e32 v27, v7, v3
.LBB48_34:
	s_delay_alu instid0(VALU_DEP_2)
	v_bfe_u32 v39, v35, 16, 8
	v_bfe_u32 v41, v35, 8, 8
	v_and_b32_e32 v55, 0xff, v35
	v_and_b32_e32 v56, 0xff, v31
	v_mbcnt_lo_u32_b32 v62, -1, 0
	v_lshrrev_b32_e32 v37, 24, v35
	v_bfe_u32 v57, v31, 16, 8
	v_add3_u32 v2, v41, v55, v39
	v_bfe_u32 v58, v31, 8, 8
	v_and_b32_e32 v4, 15, v62
	s_load_b64 s[16:17], s[0:1], 0x28
	v_dual_lshrrev_b32 v33, 24, v31 :: v_dual_lshrrev_b32 v63, 5, v0
	v_add3_u32 v2, v2, v37, v56
	v_and_b32_e32 v59, 0xff, v27
	v_bfe_u32 v60, v27, 16, 8
	v_bfe_u32 v61, v27, 8, 8
	v_dual_lshrrev_b32 v29, 24, v27 :: v_dual_bitop2_b32 v5, 31, v0 bitop3:0x54
	v_add3_u32 v2, v2, v58, v57
	v_and_b32_e32 v3, 0xff, v25
	v_and_b32_e32 v6, 16, v62
	v_cmp_eq_u32_e64 s5, 0, v4
	v_cmp_lt_u32_e64 s4, 1, v4
	v_add3_u32 v2, v2, v33, v59
	v_cmp_lt_u32_e64 s3, 3, v4
	v_cmp_lt_u32_e64 s2, 7, v4
	s_wait_xcnt 0x0
	v_cmp_eq_u32_e64 s1, 0, v6
	v_cmp_eq_u32_e64 s0, v0, v5
	v_add3_u32 v2, v2, v61, v60
	s_cmp_lg_u32 s24, 0
	s_mov_b32 s6, -1
	s_delay_alu instid0(VALU_DEP_1)
	v_add3_u32 v64, v2, v29, v3
	s_cbranch_scc0 .LBB48_56
; %bb.35:
	s_delay_alu instid0(VALU_DEP_1) | instskip(NEXT) | instid1(VALU_DEP_1)
	v_mov_b32_dpp v2, v64 row_shr:1 row_mask:0xf bank_mask:0xf
	v_cndmask_b32_e64 v2, v2, 0, s5
	s_delay_alu instid0(VALU_DEP_1) | instskip(NEXT) | instid1(VALU_DEP_1)
	v_add_nc_u32_e32 v2, v2, v64
	v_mov_b32_dpp v3, v2 row_shr:2 row_mask:0xf bank_mask:0xf
	s_delay_alu instid0(VALU_DEP_1) | instskip(NEXT) | instid1(VALU_DEP_1)
	v_cndmask_b32_e64 v3, 0, v3, s4
	v_add_nc_u32_e32 v2, v2, v3
	s_delay_alu instid0(VALU_DEP_1) | instskip(NEXT) | instid1(VALU_DEP_1)
	v_mov_b32_dpp v3, v2 row_shr:4 row_mask:0xf bank_mask:0xf
	v_cndmask_b32_e64 v3, 0, v3, s3
	s_delay_alu instid0(VALU_DEP_1) | instskip(NEXT) | instid1(VALU_DEP_1)
	v_add_nc_u32_e32 v2, v2, v3
	v_mov_b32_dpp v3, v2 row_shr:8 row_mask:0xf bank_mask:0xf
	s_delay_alu instid0(VALU_DEP_1) | instskip(NEXT) | instid1(VALU_DEP_1)
	v_cndmask_b32_e64 v3, 0, v3, s2
	v_add_nc_u32_e32 v2, v2, v3
	ds_swizzle_b32 v3, v2 offset:swizzle(BROADCAST,32,15)
	s_wait_dscnt 0x0
	v_cndmask_b32_e64 v3, v3, 0, s1
	s_delay_alu instid0(VALU_DEP_1)
	v_add_nc_u32_e32 v2, v2, v3
	s_and_saveexec_b32 s6, s0
; %bb.36:
	v_lshlrev_b32_e32 v3, 2, v63
	ds_store_b32 v3, v2
; %bb.37:
	s_or_b32 exec_lo, exec_lo, s6
	s_delay_alu instid0(SALU_CYCLE_1)
	s_mov_b32 s6, exec_lo
	s_wait_dscnt 0x0
	s_barrier_signal -1
	s_barrier_wait -1
	v_cmpx_gt_u32_e32 8, v0
	s_cbranch_execz .LBB48_39
; %bb.38:
	ds_load_b32 v3, v19
	s_wait_dscnt 0x0
	v_mov_b32_dpp v5, v3 row_shr:1 row_mask:0xf bank_mask:0xf
	v_and_b32_e32 v4, 7, v62
	s_delay_alu instid0(VALU_DEP_1) | instskip(NEXT) | instid1(VALU_DEP_3)
	v_cmp_ne_u32_e32 vcc_lo, 0, v4
	v_cndmask_b32_e32 v5, 0, v5, vcc_lo
	v_cmp_lt_u32_e32 vcc_lo, 1, v4
	s_delay_alu instid0(VALU_DEP_2) | instskip(NEXT) | instid1(VALU_DEP_1)
	v_add_nc_u32_e32 v3, v5, v3
	v_mov_b32_dpp v5, v3 row_shr:2 row_mask:0xf bank_mask:0xf
	s_delay_alu instid0(VALU_DEP_1) | instskip(SKIP_1) | instid1(VALU_DEP_2)
	v_cndmask_b32_e32 v5, 0, v5, vcc_lo
	v_cmp_lt_u32_e32 vcc_lo, 3, v4
	v_add_nc_u32_e32 v3, v3, v5
	s_delay_alu instid0(VALU_DEP_1) | instskip(NEXT) | instid1(VALU_DEP_1)
	v_mov_b32_dpp v5, v3 row_shr:4 row_mask:0xf bank_mask:0xf
	v_cndmask_b32_e32 v4, 0, v5, vcc_lo
	s_delay_alu instid0(VALU_DEP_1)
	v_add_nc_u32_e32 v3, v3, v4
	ds_store_b32 v19, v3
.LBB48_39:
	s_or_b32 exec_lo, exec_lo, s6
	s_delay_alu instid0(SALU_CYCLE_1)
	s_mov_b32 s7, exec_lo
	v_cmp_gt_u32_e32 vcc_lo, 32, v0
	s_wait_dscnt 0x0
	s_barrier_signal -1
	s_barrier_wait -1
                                        ; implicit-def: $vgpr10
	v_cmpx_lt_u32_e32 31, v0
	s_cbranch_execz .LBB48_41
; %bb.40:
	v_lshl_add_u32 v3, v63, 2, -4
	ds_load_b32 v10, v3
	s_wait_dscnt 0x0
	v_add_nc_u32_e32 v2, v10, v2
.LBB48_41:
	s_or_b32 exec_lo, exec_lo, s7
	v_sub_co_u32 v3, s6, v62, 1
	s_delay_alu instid0(VALU_DEP_1) | instskip(NEXT) | instid1(VALU_DEP_1)
	v_cmp_gt_i32_e64 s7, 0, v3
	v_cndmask_b32_e64 v3, v3, v62, s7
	s_delay_alu instid0(VALU_DEP_1)
	v_lshlrev_b32_e32 v3, 2, v3
	ds_bpermute_b32 v11, v3, v2
	s_and_saveexec_b32 s7, vcc_lo
	s_cbranch_execz .LBB48_61
; %bb.42:
	v_mov_b32_e32 v9, 0
	ds_load_b32 v2, v9 offset:28
	s_and_saveexec_b32 s11, s6
	s_cbranch_execz .LBB48_44
; %bb.43:
	s_add_co_i32 s25, s24, 32
	s_delay_alu instid0(SALU_CYCLE_1)
	v_dual_mov_b32 v3, 1 :: v_dual_mov_b32 v4, s25
	s_wait_dscnt 0x0
	s_wait_kmcnt 0x0
	global_store_b64 v4, v[2:3], s[20:21] scale_offset scope:SCOPE_DEV
.LBB48_44:
	s_wait_xcnt 0x0
	s_or_b32 exec_lo, exec_lo, s11
	v_xad_u32 v4, v62, -1, s24
	s_mov_b32 s25, 0
	s_mov_b32 s11, exec_lo
	s_delay_alu instid0(VALU_DEP_1)
	v_add_nc_u32_e32 v8, 32, v4
	s_wait_kmcnt 0x0
	global_load_b64 v[6:7], v8, s[20:21] scale_offset scope:SCOPE_DEV
	s_wait_loadcnt 0x0
	v_and_b32_e32 v3, 0xff, v7
	s_wait_xcnt 0x0
	s_delay_alu instid0(VALU_DEP_1)
	v_cmpx_eq_u16_e32 0, v3
	s_cbranch_execz .LBB48_48
; %bb.45:
	v_lshl_add_u64 v[8:9], v[8:9], 3, s[20:21]
.LBB48_46:                              ; =>This Inner Loop Header: Depth=1
	global_load_b64 v[6:7], v[8:9], off scope:SCOPE_DEV
	s_wait_loadcnt 0x0
	v_and_b32_e32 v3, 0xff, v7
	s_delay_alu instid0(VALU_DEP_1)
	v_cmp_ne_u16_e32 vcc_lo, 0, v3
	s_or_b32 s25, vcc_lo, s25
	s_wait_xcnt 0x0
	s_and_not1_b32 exec_lo, exec_lo, s25
	s_cbranch_execnz .LBB48_46
; %bb.47:
	s_or_b32 exec_lo, exec_lo, s25
.LBB48_48:
	s_delay_alu instid0(SALU_CYCLE_1)
	s_or_b32 exec_lo, exec_lo, s11
	v_cmp_ne_u32_e32 vcc_lo, 31, v62
	v_lshlrev_b32_e64 v13, v62, -1
	v_dual_add_nc_u32 v15, 2, v62 :: v_dual_add_nc_u32 v17, 4, v62
	v_dual_add_nc_u32 v65, 8, v62 :: v_dual_add_nc_u32 v67, 16, v62
	v_add_co_ci_u32_e64 v3, null, 0, v62, vcc_lo
	v_lshl_or_b32 v66, v62, 2, 64
	s_delay_alu instid0(VALU_DEP_2)
	v_lshlrev_b32_e32 v12, 2, v3
	v_and_b32_e32 v3, 0xff, v7
	ds_bpermute_b32 v5, v12, v6
	v_cmp_eq_u16_e32 vcc_lo, 2, v3
	v_and_or_b32 v3, vcc_lo, v13, 0x80000000
	v_cmp_gt_u32_e32 vcc_lo, 30, v62
	s_delay_alu instid0(VALU_DEP_2) | instskip(SKIP_1) | instid1(VALU_DEP_2)
	v_ctz_i32_b32_e32 v3, v3
	v_cndmask_b32_e64 v8, 0, 2, vcc_lo
	v_cmp_lt_u32_e32 vcc_lo, v62, v3
	s_delay_alu instid0(VALU_DEP_2)
	v_add_lshl_u32 v14, v8, v62, 2
	s_wait_dscnt 0x0
	v_cndmask_b32_e32 v5, 0, v5, vcc_lo
	v_cmp_gt_u32_e32 vcc_lo, 28, v62
	v_cndmask_b32_e64 v8, 0, 4, vcc_lo
	v_cmp_le_u32_e32 vcc_lo, v15, v3
	s_delay_alu instid0(VALU_DEP_4) | instskip(NEXT) | instid1(VALU_DEP_3)
	v_add_nc_u32_e32 v5, v5, v6
	v_add_lshl_u32 v16, v8, v62, 2
	ds_bpermute_b32 v6, v14, v5
	s_wait_dscnt 0x0
	v_cndmask_b32_e32 v6, 0, v6, vcc_lo
	v_cmp_gt_u32_e32 vcc_lo, 24, v62
	v_cndmask_b32_e64 v8, 0, 8, vcc_lo
	v_cmp_le_u32_e32 vcc_lo, v17, v3
	s_delay_alu instid0(VALU_DEP_4) | instskip(NEXT) | instid1(VALU_DEP_3)
	v_add_nc_u32_e32 v5, v5, v6
	v_add_lshl_u32 v54, v8, v62, 2
	ds_bpermute_b32 v6, v16, v5
	s_wait_dscnt 0x0
	v_cndmask_b32_e32 v6, 0, v6, vcc_lo
	v_cmp_le_u32_e32 vcc_lo, v65, v3
	s_delay_alu instid0(VALU_DEP_2) | instskip(SKIP_4) | instid1(VALU_DEP_2)
	v_add_nc_u32_e32 v5, v5, v6
	ds_bpermute_b32 v6, v54, v5
	s_wait_dscnt 0x0
	v_cndmask_b32_e32 v6, 0, v6, vcc_lo
	v_cmp_le_u32_e32 vcc_lo, v67, v3
	v_add_nc_u32_e32 v5, v5, v6
	ds_bpermute_b32 v6, v66, v5
	s_wait_dscnt 0x0
	v_cndmask_b32_e32 v3, 0, v6, vcc_lo
	s_delay_alu instid0(VALU_DEP_1)
	v_dual_mov_b32 v5, 0 :: v_dual_add_nc_u32 v6, v5, v3
	s_branch .LBB48_52
.LBB48_49:                              ;   in Loop: Header=BB48_52 Depth=1
	s_or_b32 exec_lo, exec_lo, s25
.LBB48_50:                              ;   in Loop: Header=BB48_52 Depth=1
	s_delay_alu instid0(SALU_CYCLE_1)
	s_or_b32 exec_lo, exec_lo, s11
	v_and_b32_e32 v8, 0xff, v7
	ds_bpermute_b32 v9, v12, v6
	v_subrev_nc_u32_e32 v4, 32, v4
	s_mov_b32 s11, 0
	v_cmp_eq_u16_e32 vcc_lo, 2, v8
	v_and_or_b32 v8, vcc_lo, v13, 0x80000000
	s_delay_alu instid0(VALU_DEP_1) | instskip(NEXT) | instid1(VALU_DEP_1)
	v_ctz_i32_b32_e32 v8, v8
	v_cmp_lt_u32_e32 vcc_lo, v62, v8
	s_wait_dscnt 0x0
	v_cndmask_b32_e32 v9, 0, v9, vcc_lo
	v_cmp_le_u32_e32 vcc_lo, v15, v8
	s_delay_alu instid0(VALU_DEP_2) | instskip(SKIP_4) | instid1(VALU_DEP_2)
	v_add_nc_u32_e32 v6, v9, v6
	ds_bpermute_b32 v9, v14, v6
	s_wait_dscnt 0x0
	v_cndmask_b32_e32 v9, 0, v9, vcc_lo
	v_cmp_le_u32_e32 vcc_lo, v17, v8
	v_add_nc_u32_e32 v6, v6, v9
	ds_bpermute_b32 v9, v16, v6
	s_wait_dscnt 0x0
	v_cndmask_b32_e32 v9, 0, v9, vcc_lo
	v_cmp_le_u32_e32 vcc_lo, v65, v8
	s_delay_alu instid0(VALU_DEP_2) | instskip(SKIP_4) | instid1(VALU_DEP_2)
	v_add_nc_u32_e32 v6, v6, v9
	ds_bpermute_b32 v9, v54, v6
	s_wait_dscnt 0x0
	v_cndmask_b32_e32 v9, 0, v9, vcc_lo
	v_cmp_le_u32_e32 vcc_lo, v67, v8
	v_add_nc_u32_e32 v6, v6, v9
	ds_bpermute_b32 v9, v66, v6
	s_wait_dscnt 0x0
	v_cndmask_b32_e32 v8, 0, v9, vcc_lo
	s_delay_alu instid0(VALU_DEP_1)
	v_add3_u32 v6, v8, v3, v6
.LBB48_51:                              ;   in Loop: Header=BB48_52 Depth=1
	s_and_b32 vcc_lo, exec_lo, s11
	s_cbranch_vccnz .LBB48_57
.LBB48_52:                              ; =>This Loop Header: Depth=1
                                        ;     Child Loop BB48_55 Depth 2
	v_and_b32_e32 v3, 0xff, v7
	s_mov_b32 s11, -1
                                        ; implicit-def: $vgpr7
	s_delay_alu instid0(VALU_DEP_1)
	v_cmp_ne_u16_e32 vcc_lo, 2, v3
	v_mov_b32_e32 v3, v6
                                        ; implicit-def: $vgpr6
	s_cmp_lg_u32 vcc_lo, exec_lo
	s_cbranch_scc1 .LBB48_51
; %bb.53:                               ;   in Loop: Header=BB48_52 Depth=1
	global_load_b64 v[6:7], v4, s[20:21] scale_offset scope:SCOPE_DEV
	s_mov_b32 s11, exec_lo
	s_wait_loadcnt 0x0
	v_and_b32_e32 v8, 0xff, v7
	s_wait_xcnt 0x0
	s_delay_alu instid0(VALU_DEP_1)
	v_cmpx_eq_u16_e32 0, v8
	s_cbranch_execz .LBB48_50
; %bb.54:                               ;   in Loop: Header=BB48_52 Depth=1
	v_lshl_add_u64 v[8:9], v[4:5], 3, s[20:21]
	s_mov_b32 s25, 0
.LBB48_55:                              ;   Parent Loop BB48_52 Depth=1
                                        ; =>  This Inner Loop Header: Depth=2
	global_load_b64 v[6:7], v[8:9], off scope:SCOPE_DEV
	s_wait_loadcnt 0x0
	v_and_b32_e32 v68, 0xff, v7
	s_delay_alu instid0(VALU_DEP_1)
	v_cmp_ne_u16_e32 vcc_lo, 0, v68
	s_or_b32 s25, vcc_lo, s25
	s_wait_xcnt 0x0
	s_and_not1_b32 exec_lo, exec_lo, s25
	s_cbranch_execnz .LBB48_55
	s_branch .LBB48_49
.LBB48_56:
                                        ; implicit-def: $vgpr2_vgpr3_vgpr4_vgpr5_vgpr6_vgpr7_vgpr8_vgpr9_vgpr10_vgpr11_vgpr12_vgpr13_vgpr14_vgpr15_vgpr16_vgpr17
                                        ; implicit-def: $vgpr54
                                        ; implicit-def: $vgpr16
	s_and_b32 vcc_lo, exec_lo, s6
	s_cbranch_vccnz .LBB48_62
	s_branch .LBB48_71
.LBB48_57:
	s_and_saveexec_b32 s11, s6
	s_cbranch_execz .LBB48_59
; %bb.58:
	s_add_co_i32 s24, s24, 32
	v_dual_mov_b32 v5, 2 :: v_dual_add_nc_u32 v4, v3, v2
	v_dual_mov_b32 v6, s24 :: v_dual_mov_b32 v7, 0
	global_store_b64 v6, v[4:5], s[20:21] scale_offset scope:SCOPE_DEV
	ds_store_b64 v7, v[2:3] offset:13312
.LBB48_59:
	s_wait_xcnt 0x0
	s_or_b32 exec_lo, exec_lo, s11
	v_cmp_eq_u32_e32 vcc_lo, 0, v0
	s_and_b32 exec_lo, exec_lo, vcc_lo
; %bb.60:
	v_mov_b32_e32 v2, 0
	ds_store_b32 v2, v3 offset:28
.LBB48_61:
	s_or_b32 exec_lo, exec_lo, s7
	s_wait_dscnt 0x0
	v_dual_mov_b32 v12, 0 :: v_dual_cndmask_b32 v3, v11, v10, s6
	s_wait_storecnt 0x0
	s_barrier_signal -1
	s_barrier_wait -1
	ds_load_b32 v2, v12 offset:28
	v_cmp_ne_u32_e32 vcc_lo, 0, v0
	s_wait_dscnt 0x0
	s_barrier_signal -1
	s_barrier_wait -1
	v_cndmask_b32_e32 v3, 0, v3, vcc_lo
	ds_load_b64 v[16:17], v12 offset:13312
	v_add_nc_u32_e32 v2, v2, v3
	s_wait_dscnt 0x0
	s_delay_alu instid0(VALU_DEP_1) | instskip(NEXT) | instid1(VALU_DEP_1)
	v_dual_mov_b32 v54, v17 :: v_dual_add_nc_u32 v3, v2, v55
	v_add_nc_u32_e32 v4, v3, v41
	s_delay_alu instid0(VALU_DEP_1) | instskip(NEXT) | instid1(VALU_DEP_1)
	v_add_nc_u32_e32 v5, v4, v39
	v_add_nc_u32_e32 v6, v5, v37
	s_delay_alu instid0(VALU_DEP_1) | instskip(NEXT) | instid1(VALU_DEP_1)
	v_add_nc_u32_e32 v7, v6, v56
	;; [unrolled: 3-line block ×5, first 2 shown]
	v_add_nc_u32_e32 v14, v13, v29
	s_branch .LBB48_71
.LBB48_62:
	v_mov_b32_dpp v2, v64 row_shr:1 row_mask:0xf bank_mask:0xf
	s_delay_alu instid0(VALU_DEP_1) | instskip(NEXT) | instid1(VALU_DEP_1)
	v_cndmask_b32_e64 v2, v2, 0, s5
	v_add_nc_u32_e32 v2, v2, v64
	s_delay_alu instid0(VALU_DEP_1) | instskip(NEXT) | instid1(VALU_DEP_1)
	v_mov_b32_dpp v3, v2 row_shr:2 row_mask:0xf bank_mask:0xf
	v_cndmask_b32_e64 v3, 0, v3, s4
	s_delay_alu instid0(VALU_DEP_1) | instskip(NEXT) | instid1(VALU_DEP_1)
	v_add_nc_u32_e32 v2, v2, v3
	v_mov_b32_dpp v3, v2 row_shr:4 row_mask:0xf bank_mask:0xf
	s_delay_alu instid0(VALU_DEP_1) | instskip(NEXT) | instid1(VALU_DEP_1)
	v_cndmask_b32_e64 v3, 0, v3, s3
	v_add_nc_u32_e32 v2, v2, v3
	s_delay_alu instid0(VALU_DEP_1) | instskip(NEXT) | instid1(VALU_DEP_1)
	v_mov_b32_dpp v3, v2 row_shr:8 row_mask:0xf bank_mask:0xf
	v_cndmask_b32_e64 v3, 0, v3, s2
	s_delay_alu instid0(VALU_DEP_1) | instskip(SKIP_3) | instid1(VALU_DEP_1)
	v_add_nc_u32_e32 v2, v2, v3
	ds_swizzle_b32 v3, v2 offset:swizzle(BROADCAST,32,15)
	s_wait_dscnt 0x0
	v_cndmask_b32_e64 v3, v3, 0, s1
	v_add_nc_u32_e32 v2, v2, v3
	s_and_saveexec_b32 s1, s0
; %bb.63:
	v_lshlrev_b32_e32 v3, 2, v63
	ds_store_b32 v3, v2
; %bb.64:
	s_or_b32 exec_lo, exec_lo, s1
	s_delay_alu instid0(SALU_CYCLE_1)
	s_mov_b32 s0, exec_lo
	s_wait_dscnt 0x0
	s_barrier_signal -1
	s_barrier_wait -1
	v_cmpx_gt_u32_e32 8, v0
	s_cbranch_execz .LBB48_66
; %bb.65:
	ds_load_b32 v3, v19
	s_wait_dscnt 0x0
	v_mov_b32_dpp v5, v3 row_shr:1 row_mask:0xf bank_mask:0xf
	v_and_b32_e32 v4, 7, v62
	s_delay_alu instid0(VALU_DEP_1) | instskip(NEXT) | instid1(VALU_DEP_3)
	v_cmp_ne_u32_e32 vcc_lo, 0, v4
	v_cndmask_b32_e32 v5, 0, v5, vcc_lo
	v_cmp_lt_u32_e32 vcc_lo, 1, v4
	s_delay_alu instid0(VALU_DEP_2) | instskip(NEXT) | instid1(VALU_DEP_1)
	v_add_nc_u32_e32 v3, v5, v3
	v_mov_b32_dpp v5, v3 row_shr:2 row_mask:0xf bank_mask:0xf
	s_delay_alu instid0(VALU_DEP_1) | instskip(SKIP_1) | instid1(VALU_DEP_2)
	v_cndmask_b32_e32 v5, 0, v5, vcc_lo
	v_cmp_lt_u32_e32 vcc_lo, 3, v4
	v_add_nc_u32_e32 v3, v3, v5
	s_delay_alu instid0(VALU_DEP_1) | instskip(NEXT) | instid1(VALU_DEP_1)
	v_mov_b32_dpp v5, v3 row_shr:4 row_mask:0xf bank_mask:0xf
	v_cndmask_b32_e32 v4, 0, v5, vcc_lo
	s_delay_alu instid0(VALU_DEP_1)
	v_add_nc_u32_e32 v3, v3, v4
	ds_store_b32 v19, v3
.LBB48_66:
	s_or_b32 exec_lo, exec_lo, s0
	v_dual_mov_b32 v4, 0 :: v_dual_mov_b32 v3, 0
	s_mov_b32 s0, exec_lo
	s_wait_dscnt 0x0
	s_barrier_signal -1
	s_barrier_wait -1
	v_cmpx_lt_u32_e32 31, v0
; %bb.67:
	v_lshl_add_u32 v3, v63, 2, -4
	ds_load_b32 v3, v3
; %bb.68:
	s_or_b32 exec_lo, exec_lo, s0
	v_sub_co_u32 v5, vcc_lo, v62, 1
	ds_load_b32 v16, v4 offset:28
	v_cmp_gt_i32_e64 s0, 0, v5
	s_delay_alu instid0(VALU_DEP_1) | instskip(SKIP_3) | instid1(VALU_DEP_3)
	v_cndmask_b32_e64 v5, v5, v62, s0
	s_wait_dscnt 0x1
	v_add_nc_u32_e32 v2, v3, v2
	v_cmp_eq_u32_e64 s0, 0, v0
	v_lshlrev_b32_e32 v5, 2, v5
	ds_bpermute_b32 v2, v5, v2
	s_and_saveexec_b32 s1, s0
	s_cbranch_execz .LBB48_70
; %bb.69:
	v_dual_mov_b32 v4, 0 :: v_dual_mov_b32 v17, 2
	s_wait_dscnt 0x1
	s_wait_kmcnt 0x0
	global_store_b64 v4, v[16:17], s[20:21] offset:256 scope:SCOPE_DEV
.LBB48_70:
	s_wait_xcnt 0x0
	s_or_b32 exec_lo, exec_lo, s1
	s_wait_dscnt 0x0
	v_cndmask_b32_e32 v2, v2, v3, vcc_lo
	s_wait_storecnt 0x0
	s_barrier_signal -1
	s_barrier_wait -1
	s_delay_alu instid0(VALU_DEP_1) | instskip(NEXT) | instid1(VALU_DEP_1)
	v_cndmask_b32_e64 v2, v2, 0, s0
	v_dual_mov_b32 v54, 0 :: v_dual_add_nc_u32 v3, v2, v55
	s_delay_alu instid0(VALU_DEP_1) | instskip(NEXT) | instid1(VALU_DEP_1)
	v_add_nc_u32_e32 v4, v3, v41
	v_add_nc_u32_e32 v5, v4, v39
	s_delay_alu instid0(VALU_DEP_1) | instskip(NEXT) | instid1(VALU_DEP_1)
	v_add_nc_u32_e32 v6, v5, v37
	v_add_nc_u32_e32 v7, v6, v56
	;; [unrolled: 3-line block ×5, first 2 shown]
	s_delay_alu instid0(VALU_DEP_1)
	v_add_nc_u32_e32 v14, v13, v29
.LBB48_71:
	v_dual_lshrrev_b32 v55, 16, v35 :: v_dual_lshrrev_b32 v56, 8, v35
	v_dual_add_nc_u32 v23, v16, v23 :: v_dual_sub_nc_u32 v3, v3, v54
	v_dual_sub_nc_u32 v2, v2, v54 :: v_dual_bitop2_b32 v35, 1, v35 bitop3:0x40
	s_delay_alu instid0(VALU_DEP_3) | instskip(NEXT) | instid1(VALU_DEP_4)
	v_dual_sub_nc_u32 v4, v4, v54 :: v_dual_bitop2_b32 v56, 1, v56 bitop3:0x40
	v_and_b32_e32 v55, 1, v55
	s_delay_alu instid0(VALU_DEP_3) | instskip(NEXT) | instid1(VALU_DEP_4)
	v_dual_sub_nc_u32 v57, v23, v3 :: v_dual_sub_nc_u32 v58, v23, v2
	v_cmp_eq_u32_e32 vcc_lo, 1, v35
	s_delay_alu instid0(VALU_DEP_4) | instskip(NEXT) | instid1(VALU_DEP_3)
	v_dual_sub_nc_u32 v5, v5, v54 :: v_dual_sub_nc_u32 v59, v23, v4
	v_dual_add_nc_u32 v57, 1, v57 :: v_dual_sub_nc_u32 v6, v6, v54
	s_delay_alu instid0(VALU_DEP_4) | instskip(SKIP_1) | instid1(VALU_DEP_4)
	v_cndmask_b32_e32 v2, v58, v2, vcc_lo
	v_cmp_eq_u32_e32 vcc_lo, 1, v56
	v_dual_sub_nc_u32 v35, v23, v5 :: v_dual_add_nc_u32 v56, 2, v59
	v_dual_lshrrev_b32 v41, 8, v31 :: v_dual_lshrrev_b32 v39, 16, v31
	v_dual_cndmask_b32 v3, v57, v3, vcc_lo :: v_dual_bitop2_b32 v37, 1, v37 bitop3:0x40
	v_lshlrev_b32_e32 v2, 2, v2
	v_cmp_eq_u32_e32 vcc_lo, 1, v55
	v_add_nc_u32_e32 v35, 3, v35
	s_delay_alu instid0(VALU_DEP_4)
	v_lshlrev_b32_e32 v3, 2, v3
	v_dual_lshrrev_b32 v15, 16, v27 :: v_dual_lshrrev_b32 v17, 8, v27
	v_cndmask_b32_e32 v4, v56, v4, vcc_lo
	v_cmp_eq_u32_e32 vcc_lo, 1, v37
	ds_store_b32 v2, v52
	ds_store_b32 v3, v53
	v_dual_lshlrev_b32 v3, 2, v4 :: v_dual_cndmask_b32 v5, v35, v5, vcc_lo
	s_delay_alu instid0(VALU_DEP_1) | instskip(SKIP_1) | instid1(VALU_DEP_2)
	v_dual_sub_nc_u32 v2, v23, v6 :: v_dual_lshlrev_b32 v4, 2, v5
	v_dual_sub_nc_u32 v5, v7, v54 :: v_dual_bitop2_b32 v7, 1, v31 bitop3:0x40
	v_add_nc_u32_e32 v2, 4, v2
	ds_store_b32 v3, v50
	ds_store_b32 v4, v51
	v_sub_nc_u32_e32 v3, v23, v5
	v_cmp_eq_u32_e32 vcc_lo, 1, v7
	s_delay_alu instid0(VALU_DEP_2) | instskip(SKIP_1) | instid1(VALU_DEP_2)
	v_dual_sub_nc_u32 v4, v8, v54 :: v_dual_add_nc_u32 v3, 5, v3
	v_dual_cndmask_b32 v2, v2, v6, vcc_lo :: v_dual_bitop2_b32 v6, 1, v41 bitop3:0x40
	v_dual_sub_nc_u32 v7, v9, v54 :: v_dual_sub_nc_u32 v8, v23, v4
	s_delay_alu instid0(VALU_DEP_2) | instskip(NEXT) | instid1(VALU_DEP_2)
	v_cmp_eq_u32_e32 vcc_lo, 1, v6
	v_dual_lshlrev_b32 v2, 2, v2 :: v_dual_add_nc_u32 v8, 6, v8
	v_cndmask_b32_e32 v3, v3, v5, vcc_lo
	s_delay_alu instid0(VALU_DEP_4)
	v_sub_nc_u32_e32 v5, v23, v7
	v_and_b32_e32 v6, 1, v39
	ds_store_b32 v2, v48
	v_dual_lshlrev_b32 v3, 2, v3 :: v_dual_add_nc_u32 v5, 7, v5
	v_cmp_eq_u32_e32 vcc_lo, 1, v6
	v_dual_sub_nc_u32 v6, v11, v54 :: v_dual_bitop2_b32 v2, 1, v33 bitop3:0x40
	ds_store_b32 v3, v49
	v_cndmask_b32_e32 v4, v8, v4, vcc_lo
	v_cmp_eq_u32_e32 vcc_lo, 1, v2
	s_delay_alu instid0(VALU_DEP_2)
	v_dual_lshlrev_b32 v4, 2, v4 :: v_dual_cndmask_b32 v2, v5, v7, vcc_lo
	v_dual_sub_nc_u32 v5, v10, v54 :: v_dual_bitop2_b32 v7, 1, v17 bitop3:0x40
	v_sub_nc_u32_e32 v3, v23, v6
	ds_store_b32 v4, v46
	v_dual_sub_nc_u32 v4, v23, v5 :: v_dual_lshlrev_b32 v2, 2, v2
	v_add_nc_u32_e32 v3, 9, v3
	v_cmp_eq_u32_e32 vcc_lo, 1, v7
	s_delay_alu instid0(VALU_DEP_3) | instskip(SKIP_3) | instid1(VALU_DEP_2)
	v_dual_sub_nc_u32 v7, v12, v54 :: v_dual_add_nc_u32 v4, 8, v4
	ds_store_b32 v2, v47
	v_dual_cndmask_b32 v3, v3, v6, vcc_lo :: v_dual_bitop2_b32 v2, 1, v27 bitop3:0x40
	v_dual_sub_nc_u32 v6, v13, v54 :: v_dual_sub_nc_u32 v8, v14, v54
	v_cmp_eq_u32_e32 vcc_lo, 1, v2
	v_dual_cndmask_b32 v2, v4, v5 :: v_dual_sub_nc_u32 v5, v23, v7
	s_delay_alu instid0(VALU_DEP_3) | instskip(SKIP_1) | instid1(VALU_DEP_3)
	v_dual_sub_nc_u32 v4, v23, v6 :: v_dual_sub_nc_u32 v9, v23, v8
	v_and_b32_e32 v10, 1, v15
	v_dual_lshlrev_b32 v2, 2, v2 :: v_dual_bitop2_b32 v12, 1, v25 bitop3:0x40
	s_delay_alu instid0(VALU_DEP_3) | instskip(NEXT) | instid1(VALU_DEP_1)
	v_dual_add_nc_u32 v4, 11, v4 :: v_dual_bitop2_b32 v11, 1, v29 bitop3:0x40
	v_cmp_eq_u32_e32 vcc_lo, 1, v11
	s_delay_alu instid0(VALU_DEP_2) | instskip(SKIP_3) | instid1(VALU_DEP_1)
	v_cndmask_b32_e32 v4, v4, v6, vcc_lo
	v_cmp_eq_u32_e32 vcc_lo, 1, v10
	v_add_nc_u32_e32 v9, 12, v9
	v_add_nc_u32_e32 v5, 10, v5
	v_cndmask_b32_e32 v5, v5, v7, vcc_lo
	v_cmp_eq_u32_e32 vcc_lo, 1, v12
	s_delay_alu instid0(VALU_DEP_2) | instskip(SKIP_3) | instid1(VALU_DEP_3)
	v_dual_lshlrev_b32 v3, 2, v3 :: v_dual_lshlrev_b32 v5, 2, v5
	v_cndmask_b32_e32 v6, v9, v8, vcc_lo
	v_lshlrev_b32_e32 v4, 2, v4
	v_cmp_ne_u32_e32 vcc_lo, 1, v21
	v_lshlrev_b32_e32 v6, 2, v6
	ds_store_b32 v2, v44
	ds_store_b32 v3, v45
	;; [unrolled: 1-line block ×5, first 2 shown]
	s_wait_dscnt 0x0
	s_barrier_signal -1
	s_barrier_wait -1
	ds_load_2addr_stride64_b32 v[14:15], v19 offset1:4
	ds_load_2addr_stride64_b32 v[12:13], v19 offset0:8 offset1:12
	ds_load_2addr_stride64_b32 v[10:11], v19 offset0:16 offset1:20
	;; [unrolled: 1-line block ×5, first 2 shown]
	ds_load_b32 v46, v19 offset:12288
	v_mov_b32_e32 v1, 0
	s_and_b32 vcc_lo, exec_lo, vcc_lo
	s_delay_alu instid0(VALU_DEP_1) | instskip(SKIP_3) | instid1(VALU_DEP_3)
	v_dual_mov_b32 v29, v1 :: v_dual_mov_b32 v55, v1
	v_dual_mov_b32 v41, v1 :: v_dual_mov_b32 v39, v1
	;; [unrolled: 1-line block ×3, first 2 shown]
	s_wait_kmcnt 0x0
	v_add_nc_u64_e32 v[2:3], s[18:19], v[54:55]
	v_dual_mov_b32 v33, v1 :: v_dual_mov_b32 v31, v1
	v_dual_mov_b32 v27, v1 :: v_dual_mov_b32 v25, v1
	;; [unrolled: 1-line block ×3, first 2 shown]
	v_mov_b32_e32 v19, v1
	s_cbranch_vccnz .LBB48_125
; %bb.72:
	v_mov_b32_e32 v17, v1
	s_mov_b32 s11, 0
	v_sub_nc_u64_e64 v[42:43], v[2:3], s[12:13]
	s_sub_nc_u64 s[0:1], s[14:15], s[10:11]
	s_delay_alu instid0(VALU_DEP_2) | instid1(SALU_CYCLE_1)
	v_add_nc_u64_e32 v[44:45], s[0:1], v[16:17]
	s_mov_b32 s0, exec_lo
	s_delay_alu instid0(VALU_DEP_1)
	v_add_nc_u64_e32 v[42:43], v[44:45], v[42:43]
                                        ; implicit-def: $vgpr44_vgpr45
	v_cmpx_ge_u32_e64 v0, v16
	s_xor_b32 s0, exec_lo, s0
; %bb.73:
	v_not_b32_e32 v44, v0
	s_delay_alu instid0(VALU_DEP_1) | instskip(NEXT) | instid1(VALU_DEP_1)
	v_ashrrev_i32_e32 v45, 31, v44
	v_add_nc_u64_e32 v[44:45], v[42:43], v[44:45]
; %bb.74:
	s_and_not1_saveexec_b32 s0, s0
; %bb.75:
	v_add_nc_u64_e32 v[44:45], v[2:3], v[0:1]
; %bb.76:
	s_or_b32 exec_lo, exec_lo, s0
	s_delay_alu instid0(VALU_DEP_1)
	v_lshl_add_u64 v[44:45], v[44:45], 2, s[16:17]
	s_mov_b32 s0, exec_lo
	s_wait_dscnt 0x6
	global_store_b32 v[44:45], v14, off
                                        ; implicit-def: $vgpr44_vgpr45
	s_wait_xcnt 0x0
	v_cmpx_ge_u32_e64 v40, v16
	s_xor_b32 s0, exec_lo, s0
; %bb.77:
	v_xor_b32_e32 v44, 0xfffffeff, v0
	s_delay_alu instid0(VALU_DEP_1) | instskip(NEXT) | instid1(VALU_DEP_1)
	v_ashrrev_i32_e32 v45, 31, v44
	v_add_nc_u64_e32 v[44:45], v[42:43], v[44:45]
; %bb.78:
	s_and_not1_saveexec_b32 s0, s0
; %bb.79:
	v_add_nc_u64_e32 v[44:45], v[2:3], v[40:41]
; %bb.80:
	s_or_b32 exec_lo, exec_lo, s0
	s_delay_alu instid0(VALU_DEP_1)
	v_lshl_add_u64 v[44:45], v[44:45], 2, s[16:17]
	s_mov_b32 s0, exec_lo
	global_store_b32 v[44:45], v15, off
                                        ; implicit-def: $vgpr44_vgpr45
	s_wait_xcnt 0x0
	v_cmpx_ge_u32_e64 v38, v16
	s_xor_b32 s0, exec_lo, s0
; %bb.81:
	v_xor_b32_e32 v44, 0xfffffdff, v0
	s_delay_alu instid0(VALU_DEP_1) | instskip(NEXT) | instid1(VALU_DEP_1)
	v_ashrrev_i32_e32 v45, 31, v44
	v_add_nc_u64_e32 v[44:45], v[42:43], v[44:45]
; %bb.82:
	s_and_not1_saveexec_b32 s0, s0
; %bb.83:
	v_add_nc_u64_e32 v[44:45], v[2:3], v[38:39]
; %bb.84:
	s_or_b32 exec_lo, exec_lo, s0
	s_delay_alu instid0(VALU_DEP_1)
	v_lshl_add_u64 v[44:45], v[44:45], 2, s[16:17]
	s_mov_b32 s0, exec_lo
	s_wait_dscnt 0x5
	global_store_b32 v[44:45], v12, off
                                        ; implicit-def: $vgpr44_vgpr45
	s_wait_xcnt 0x0
	v_cmpx_ge_u32_e64 v36, v16
	s_xor_b32 s0, exec_lo, s0
; %bb.85:
	v_xor_b32_e32 v44, 0xfffffcff, v0
	s_delay_alu instid0(VALU_DEP_1) | instskip(NEXT) | instid1(VALU_DEP_1)
	v_ashrrev_i32_e32 v45, 31, v44
	v_add_nc_u64_e32 v[44:45], v[42:43], v[44:45]
; %bb.86:
	s_and_not1_saveexec_b32 s0, s0
; %bb.87:
	v_add_nc_u64_e32 v[44:45], v[2:3], v[36:37]
; %bb.88:
	s_or_b32 exec_lo, exec_lo, s0
	s_delay_alu instid0(VALU_DEP_1)
	v_lshl_add_u64 v[44:45], v[44:45], 2, s[16:17]
	s_mov_b32 s0, exec_lo
	global_store_b32 v[44:45], v13, off
                                        ; implicit-def: $vgpr44_vgpr45
	s_wait_xcnt 0x0
	v_cmpx_ge_u32_e64 v34, v16
	s_xor_b32 s0, exec_lo, s0
; %bb.89:
	v_xor_b32_e32 v44, 0xfffffbff, v0
	;; [unrolled: 39-line block ×6, first 2 shown]
	s_delay_alu instid0(VALU_DEP_1) | instskip(NEXT) | instid1(VALU_DEP_1)
	v_ashrrev_i32_e32 v45, 31, v44
	v_add_nc_u64_e32 v[44:45], v[42:43], v[44:45]
; %bb.122:
	s_and_not1_saveexec_b32 s0, s0
; %bb.123:
	v_add_nc_u64_e32 v[44:45], v[2:3], v[18:19]
; %bb.124:
	s_or_b32 exec_lo, exec_lo, s0
	s_mov_b32 s0, -1
	s_branch .LBB48_205
.LBB48_125:
	s_mov_b32 s0, 0
                                        ; implicit-def: $vgpr44_vgpr45
	s_cbranch_execz .LBB48_205
; %bb.126:
	s_mov_b32 s11, 0
	v_mov_b32_e32 v17, 0
	s_add_nc_u64 s[2:3], s[12:13], s[10:11]
	s_mov_b32 s1, exec_lo
	s_sub_nc_u64 s[2:3], s[14:15], s[2:3]
	s_delay_alu instid0(VALU_DEP_1) | instid1(SALU_CYCLE_1)
	v_add_nc_u64_e32 v[42:43], s[2:3], v[16:17]
	s_delay_alu instid0(VALU_DEP_1)
	v_add_nc_u64_e32 v[42:43], v[42:43], v[2:3]
	v_cmpx_gt_u32_e64 s23, v0
	s_cbranch_execz .LBB48_162
; %bb.127:
	s_mov_b32 s2, exec_lo
                                        ; implicit-def: $vgpr44_vgpr45
	v_cmpx_ge_u32_e64 v0, v16
	s_xor_b32 s2, exec_lo, s2
; %bb.128:
	v_not_b32_e32 v44, v0
	s_delay_alu instid0(VALU_DEP_1) | instskip(NEXT) | instid1(VALU_DEP_1)
	v_ashrrev_i32_e32 v45, 31, v44
	v_add_nc_u64_e32 v[44:45], v[42:43], v[44:45]
; %bb.129:
	s_and_not1_saveexec_b32 s2, s2
; %bb.130:
	v_add_nc_u64_e32 v[44:45], v[2:3], v[0:1]
; %bb.131:
	s_or_b32 exec_lo, exec_lo, s2
	s_delay_alu instid0(VALU_DEP_1) | instskip(SKIP_4) | instid1(SALU_CYCLE_1)
	v_lshl_add_u64 v[44:45], v[44:45], 2, s[16:17]
	s_wait_dscnt 0x6
	global_store_b32 v[44:45], v14, off
	s_wait_xcnt 0x0
	s_or_b32 exec_lo, exec_lo, s1
	s_mov_b32 s1, exec_lo
	v_cmpx_gt_u32_e64 s23, v40
	s_cbranch_execnz .LBB48_163
.LBB48_132:
	s_or_b32 exec_lo, exec_lo, s1
	s_delay_alu instid0(SALU_CYCLE_1)
	s_mov_b32 s1, exec_lo
	v_cmpx_gt_u32_e64 s23, v38
	s_cbranch_execz .LBB48_168
.LBB48_133:
	s_mov_b32 s2, exec_lo
                                        ; implicit-def: $vgpr14_vgpr15
	v_cmpx_ge_u32_e64 v38, v16
	s_xor_b32 s2, exec_lo, s2
	s_cbranch_execz .LBB48_135
; %bb.134:
	s_wait_dscnt 0x6
	v_xor_b32_e32 v14, 0xfffffdff, v0
                                        ; implicit-def: $vgpr38_vgpr39
	s_delay_alu instid0(VALU_DEP_1) | instskip(NEXT) | instid1(VALU_DEP_1)
	v_ashrrev_i32_e32 v15, 31, v14
	v_add_nc_u64_e32 v[14:15], v[42:43], v[14:15]
.LBB48_135:
	s_and_not1_saveexec_b32 s2, s2
	s_cbranch_execz .LBB48_137
; %bb.136:
	s_wait_dscnt 0x6
	v_add_nc_u64_e32 v[14:15], v[2:3], v[38:39]
.LBB48_137:
	s_or_b32 exec_lo, exec_lo, s2
	s_wait_dscnt 0x6
	s_delay_alu instid0(VALU_DEP_1) | instskip(SKIP_4) | instid1(SALU_CYCLE_1)
	v_lshl_add_u64 v[14:15], v[14:15], 2, s[16:17]
	s_wait_dscnt 0x5
	global_store_b32 v[14:15], v12, off
	s_wait_xcnt 0x0
	s_or_b32 exec_lo, exec_lo, s1
	s_mov_b32 s1, exec_lo
	v_cmpx_gt_u32_e64 s23, v36
	s_cbranch_execnz .LBB48_169
.LBB48_138:
	s_or_b32 exec_lo, exec_lo, s1
	s_delay_alu instid0(SALU_CYCLE_1)
	s_mov_b32 s1, exec_lo
	v_cmpx_gt_u32_e64 s23, v34
	s_cbranch_execz .LBB48_174
.LBB48_139:
	s_mov_b32 s2, exec_lo
                                        ; implicit-def: $vgpr12_vgpr13
	v_cmpx_ge_u32_e64 v34, v16
	s_xor_b32 s2, exec_lo, s2
	s_cbranch_execz .LBB48_141
; %bb.140:
	s_wait_dscnt 0x5
	v_xor_b32_e32 v12, 0xfffffbff, v0
                                        ; implicit-def: $vgpr34_vgpr35
	s_delay_alu instid0(VALU_DEP_1) | instskip(NEXT) | instid1(VALU_DEP_1)
	v_ashrrev_i32_e32 v13, 31, v12
	v_add_nc_u64_e32 v[12:13], v[42:43], v[12:13]
.LBB48_141:
	s_and_not1_saveexec_b32 s2, s2
	s_cbranch_execz .LBB48_143
; %bb.142:
	s_wait_dscnt 0x5
	v_add_nc_u64_e32 v[12:13], v[2:3], v[34:35]
.LBB48_143:
	s_or_b32 exec_lo, exec_lo, s2
	s_wait_dscnt 0x5
	s_delay_alu instid0(VALU_DEP_1) | instskip(SKIP_4) | instid1(SALU_CYCLE_1)
	v_lshl_add_u64 v[12:13], v[12:13], 2, s[16:17]
	s_wait_dscnt 0x4
	global_store_b32 v[12:13], v10, off
	s_wait_xcnt 0x0
	s_or_b32 exec_lo, exec_lo, s1
	s_mov_b32 s1, exec_lo
	v_cmpx_gt_u32_e64 s23, v32
	s_cbranch_execnz .LBB48_175
.LBB48_144:
	s_or_b32 exec_lo, exec_lo, s1
	s_delay_alu instid0(SALU_CYCLE_1)
	s_mov_b32 s1, exec_lo
	v_cmpx_gt_u32_e64 s23, v30
	s_cbranch_execz .LBB48_180
.LBB48_145:
	s_mov_b32 s2, exec_lo
                                        ; implicit-def: $vgpr10_vgpr11
	v_cmpx_ge_u32_e64 v30, v16
	s_xor_b32 s2, exec_lo, s2
	s_cbranch_execz .LBB48_147
; %bb.146:
	s_wait_dscnt 0x4
	v_xor_b32_e32 v10, 0xfffff9ff, v0
                                        ; implicit-def: $vgpr30_vgpr31
	s_delay_alu instid0(VALU_DEP_1) | instskip(NEXT) | instid1(VALU_DEP_1)
	v_ashrrev_i32_e32 v11, 31, v10
	v_add_nc_u64_e32 v[10:11], v[42:43], v[10:11]
.LBB48_147:
	s_and_not1_saveexec_b32 s2, s2
	s_cbranch_execz .LBB48_149
; %bb.148:
	s_wait_dscnt 0x4
	v_add_nc_u64_e32 v[10:11], v[2:3], v[30:31]
.LBB48_149:
	s_or_b32 exec_lo, exec_lo, s2
	s_wait_dscnt 0x4
	s_delay_alu instid0(VALU_DEP_1) | instskip(SKIP_4) | instid1(SALU_CYCLE_1)
	v_lshl_add_u64 v[10:11], v[10:11], 2, s[16:17]
	s_wait_dscnt 0x3
	global_store_b32 v[10:11], v8, off
	s_wait_xcnt 0x0
	s_or_b32 exec_lo, exec_lo, s1
	s_mov_b32 s1, exec_lo
	v_cmpx_gt_u32_e64 s23, v28
	s_cbranch_execnz .LBB48_181
.LBB48_150:
	s_or_b32 exec_lo, exec_lo, s1
	s_delay_alu instid0(SALU_CYCLE_1)
	s_mov_b32 s1, exec_lo
	v_cmpx_gt_u32_e64 s23, v26
	s_cbranch_execz .LBB48_186
.LBB48_151:
	s_mov_b32 s2, exec_lo
                                        ; implicit-def: $vgpr8_vgpr9
	v_cmpx_ge_u32_e64 v26, v16
	s_xor_b32 s2, exec_lo, s2
	s_cbranch_execz .LBB48_153
; %bb.152:
	s_wait_dscnt 0x3
	v_xor_b32_e32 v8, 0xfffff7ff, v0
                                        ; implicit-def: $vgpr26_vgpr27
	s_delay_alu instid0(VALU_DEP_1) | instskip(NEXT) | instid1(VALU_DEP_1)
	v_ashrrev_i32_e32 v9, 31, v8
	v_add_nc_u64_e32 v[8:9], v[42:43], v[8:9]
.LBB48_153:
	s_and_not1_saveexec_b32 s2, s2
	s_cbranch_execz .LBB48_155
; %bb.154:
	s_wait_dscnt 0x3
	v_add_nc_u64_e32 v[8:9], v[2:3], v[26:27]
.LBB48_155:
	s_or_b32 exec_lo, exec_lo, s2
	s_wait_dscnt 0x3
	s_delay_alu instid0(VALU_DEP_1) | instskip(SKIP_4) | instid1(SALU_CYCLE_1)
	v_lshl_add_u64 v[8:9], v[8:9], 2, s[16:17]
	s_wait_dscnt 0x2
	global_store_b32 v[8:9], v6, off
	s_wait_xcnt 0x0
	s_or_b32 exec_lo, exec_lo, s1
	s_mov_b32 s1, exec_lo
	v_cmpx_gt_u32_e64 s23, v24
	s_cbranch_execnz .LBB48_187
.LBB48_156:
	s_or_b32 exec_lo, exec_lo, s1
	s_delay_alu instid0(SALU_CYCLE_1)
	s_mov_b32 s1, exec_lo
	v_cmpx_gt_u32_e64 s23, v22
	s_cbranch_execz .LBB48_192
.LBB48_157:
	s_mov_b32 s2, exec_lo
                                        ; implicit-def: $vgpr6_vgpr7
	v_cmpx_ge_u32_e64 v22, v16
	s_xor_b32 s2, exec_lo, s2
	s_cbranch_execz .LBB48_159
; %bb.158:
	s_wait_dscnt 0x2
	v_xor_b32_e32 v6, 0xfffff5ff, v0
                                        ; implicit-def: $vgpr22_vgpr23
	s_delay_alu instid0(VALU_DEP_1) | instskip(NEXT) | instid1(VALU_DEP_1)
	v_ashrrev_i32_e32 v7, 31, v6
	v_add_nc_u64_e32 v[6:7], v[42:43], v[6:7]
.LBB48_159:
	s_and_not1_saveexec_b32 s2, s2
	s_cbranch_execz .LBB48_161
; %bb.160:
	s_wait_dscnt 0x2
	v_add_nc_u64_e32 v[6:7], v[2:3], v[22:23]
.LBB48_161:
	s_or_b32 exec_lo, exec_lo, s2
	s_wait_dscnt 0x2
	s_delay_alu instid0(VALU_DEP_1) | instskip(SKIP_4) | instid1(SALU_CYCLE_1)
	v_lshl_add_u64 v[6:7], v[6:7], 2, s[16:17]
	s_wait_dscnt 0x1
	global_store_b32 v[6:7], v4, off
	s_wait_xcnt 0x0
	s_or_b32 exec_lo, exec_lo, s1
	s_mov_b32 s1, exec_lo
	v_cmpx_gt_u32_e64 s23, v20
	s_cbranch_execz .LBB48_198
	s_branch .LBB48_193
.LBB48_162:
	s_or_b32 exec_lo, exec_lo, s1
	s_delay_alu instid0(SALU_CYCLE_1)
	s_mov_b32 s1, exec_lo
	v_cmpx_gt_u32_e64 s23, v40
	s_cbranch_execz .LBB48_132
.LBB48_163:
	s_mov_b32 s2, exec_lo
                                        ; implicit-def: $vgpr44_vgpr45
	v_cmpx_ge_u32_e64 v40, v16
	s_xor_b32 s2, exec_lo, s2
; %bb.164:
	v_xor_b32_e32 v40, 0xfffffeff, v0
	s_delay_alu instid0(VALU_DEP_1) | instskip(NEXT) | instid1(VALU_DEP_1)
	v_ashrrev_i32_e32 v41, 31, v40
	v_add_nc_u64_e32 v[44:45], v[42:43], v[40:41]
                                        ; implicit-def: $vgpr40_vgpr41
; %bb.165:
	s_and_not1_saveexec_b32 s2, s2
; %bb.166:
	v_add_nc_u64_e32 v[44:45], v[2:3], v[40:41]
; %bb.167:
	s_or_b32 exec_lo, exec_lo, s2
	s_delay_alu instid0(VALU_DEP_1) | instskip(SKIP_4) | instid1(SALU_CYCLE_1)
	v_lshl_add_u64 v[40:41], v[44:45], 2, s[16:17]
	s_wait_dscnt 0x6
	global_store_b32 v[40:41], v15, off
	s_wait_xcnt 0x0
	s_or_b32 exec_lo, exec_lo, s1
	s_mov_b32 s1, exec_lo
	v_cmpx_gt_u32_e64 s23, v38
	s_cbranch_execnz .LBB48_133
.LBB48_168:
	s_or_b32 exec_lo, exec_lo, s1
	s_delay_alu instid0(SALU_CYCLE_1)
	s_mov_b32 s1, exec_lo
	v_cmpx_gt_u32_e64 s23, v36
	s_cbranch_execz .LBB48_138
.LBB48_169:
	s_mov_b32 s2, exec_lo
                                        ; implicit-def: $vgpr14_vgpr15
	v_cmpx_ge_u32_e64 v36, v16
	s_xor_b32 s2, exec_lo, s2
	s_cbranch_execz .LBB48_171
; %bb.170:
	s_wait_dscnt 0x6
	v_xor_b32_e32 v14, 0xfffffcff, v0
                                        ; implicit-def: $vgpr36_vgpr37
	s_delay_alu instid0(VALU_DEP_1) | instskip(NEXT) | instid1(VALU_DEP_1)
	v_ashrrev_i32_e32 v15, 31, v14
	v_add_nc_u64_e32 v[14:15], v[42:43], v[14:15]
.LBB48_171:
	s_and_not1_saveexec_b32 s2, s2
	s_cbranch_execz .LBB48_173
; %bb.172:
	s_wait_dscnt 0x6
	v_add_nc_u64_e32 v[14:15], v[2:3], v[36:37]
.LBB48_173:
	s_or_b32 exec_lo, exec_lo, s2
	s_wait_dscnt 0x6
	s_delay_alu instid0(VALU_DEP_1) | instskip(SKIP_4) | instid1(SALU_CYCLE_1)
	v_lshl_add_u64 v[14:15], v[14:15], 2, s[16:17]
	s_wait_dscnt 0x5
	global_store_b32 v[14:15], v13, off
	s_wait_xcnt 0x0
	s_or_b32 exec_lo, exec_lo, s1
	s_mov_b32 s1, exec_lo
	v_cmpx_gt_u32_e64 s23, v34
	s_cbranch_execnz .LBB48_139
.LBB48_174:
	s_or_b32 exec_lo, exec_lo, s1
	s_delay_alu instid0(SALU_CYCLE_1)
	s_mov_b32 s1, exec_lo
	v_cmpx_gt_u32_e64 s23, v32
	s_cbranch_execz .LBB48_144
.LBB48_175:
	s_mov_b32 s2, exec_lo
                                        ; implicit-def: $vgpr12_vgpr13
	v_cmpx_ge_u32_e64 v32, v16
	s_xor_b32 s2, exec_lo, s2
	s_cbranch_execz .LBB48_177
; %bb.176:
	s_wait_dscnt 0x5
	v_xor_b32_e32 v12, 0xfffffaff, v0
                                        ; implicit-def: $vgpr32_vgpr33
	s_delay_alu instid0(VALU_DEP_1) | instskip(NEXT) | instid1(VALU_DEP_1)
	v_ashrrev_i32_e32 v13, 31, v12
	v_add_nc_u64_e32 v[12:13], v[42:43], v[12:13]
.LBB48_177:
	s_and_not1_saveexec_b32 s2, s2
	s_cbranch_execz .LBB48_179
; %bb.178:
	s_wait_dscnt 0x5
	v_add_nc_u64_e32 v[12:13], v[2:3], v[32:33]
.LBB48_179:
	s_or_b32 exec_lo, exec_lo, s2
	s_wait_dscnt 0x5
	s_delay_alu instid0(VALU_DEP_1) | instskip(SKIP_4) | instid1(SALU_CYCLE_1)
	v_lshl_add_u64 v[12:13], v[12:13], 2, s[16:17]
	s_wait_dscnt 0x4
	global_store_b32 v[12:13], v11, off
	s_wait_xcnt 0x0
	s_or_b32 exec_lo, exec_lo, s1
	s_mov_b32 s1, exec_lo
	v_cmpx_gt_u32_e64 s23, v30
	s_cbranch_execnz .LBB48_145
.LBB48_180:
	s_or_b32 exec_lo, exec_lo, s1
	s_delay_alu instid0(SALU_CYCLE_1)
	s_mov_b32 s1, exec_lo
	v_cmpx_gt_u32_e64 s23, v28
	s_cbranch_execz .LBB48_150
.LBB48_181:
	s_mov_b32 s2, exec_lo
                                        ; implicit-def: $vgpr10_vgpr11
	v_cmpx_ge_u32_e64 v28, v16
	s_xor_b32 s2, exec_lo, s2
	s_cbranch_execz .LBB48_183
; %bb.182:
	s_wait_dscnt 0x4
	v_xor_b32_e32 v10, 0xfffff8ff, v0
                                        ; implicit-def: $vgpr28_vgpr29
	s_delay_alu instid0(VALU_DEP_1) | instskip(NEXT) | instid1(VALU_DEP_1)
	v_ashrrev_i32_e32 v11, 31, v10
	v_add_nc_u64_e32 v[10:11], v[42:43], v[10:11]
.LBB48_183:
	s_and_not1_saveexec_b32 s2, s2
	s_cbranch_execz .LBB48_185
; %bb.184:
	s_wait_dscnt 0x4
	v_add_nc_u64_e32 v[10:11], v[2:3], v[28:29]
.LBB48_185:
	s_or_b32 exec_lo, exec_lo, s2
	s_wait_dscnt 0x4
	s_delay_alu instid0(VALU_DEP_1) | instskip(SKIP_4) | instid1(SALU_CYCLE_1)
	v_lshl_add_u64 v[10:11], v[10:11], 2, s[16:17]
	s_wait_dscnt 0x3
	global_store_b32 v[10:11], v9, off
	s_wait_xcnt 0x0
	s_or_b32 exec_lo, exec_lo, s1
	s_mov_b32 s1, exec_lo
	v_cmpx_gt_u32_e64 s23, v26
	s_cbranch_execnz .LBB48_151
.LBB48_186:
	s_or_b32 exec_lo, exec_lo, s1
	s_delay_alu instid0(SALU_CYCLE_1)
	s_mov_b32 s1, exec_lo
	v_cmpx_gt_u32_e64 s23, v24
	s_cbranch_execz .LBB48_156
.LBB48_187:
	s_mov_b32 s2, exec_lo
                                        ; implicit-def: $vgpr8_vgpr9
	v_cmpx_ge_u32_e64 v24, v16
	s_xor_b32 s2, exec_lo, s2
	s_cbranch_execz .LBB48_189
; %bb.188:
	s_wait_dscnt 0x3
	v_xor_b32_e32 v8, 0xfffff6ff, v0
                                        ; implicit-def: $vgpr24_vgpr25
	s_delay_alu instid0(VALU_DEP_1) | instskip(NEXT) | instid1(VALU_DEP_1)
	v_ashrrev_i32_e32 v9, 31, v8
	v_add_nc_u64_e32 v[8:9], v[42:43], v[8:9]
.LBB48_189:
	s_and_not1_saveexec_b32 s2, s2
	s_cbranch_execz .LBB48_191
; %bb.190:
	s_wait_dscnt 0x3
	v_add_nc_u64_e32 v[8:9], v[2:3], v[24:25]
.LBB48_191:
	s_or_b32 exec_lo, exec_lo, s2
	s_wait_dscnt 0x3
	s_delay_alu instid0(VALU_DEP_1) | instskip(SKIP_4) | instid1(SALU_CYCLE_1)
	v_lshl_add_u64 v[8:9], v[8:9], 2, s[16:17]
	s_wait_dscnt 0x2
	global_store_b32 v[8:9], v7, off
	s_wait_xcnt 0x0
	s_or_b32 exec_lo, exec_lo, s1
	s_mov_b32 s1, exec_lo
	v_cmpx_gt_u32_e64 s23, v22
	s_cbranch_execnz .LBB48_157
.LBB48_192:
	s_or_b32 exec_lo, exec_lo, s1
	s_delay_alu instid0(SALU_CYCLE_1)
	s_mov_b32 s1, exec_lo
	v_cmpx_gt_u32_e64 s23, v20
	s_cbranch_execz .LBB48_198
.LBB48_193:
	s_mov_b32 s2, exec_lo
                                        ; implicit-def: $vgpr6_vgpr7
	v_cmpx_ge_u32_e64 v20, v16
	s_xor_b32 s2, exec_lo, s2
	s_cbranch_execz .LBB48_195
; %bb.194:
	s_wait_dscnt 0x2
	v_xor_b32_e32 v6, 0xfffff4ff, v0
                                        ; implicit-def: $vgpr20_vgpr21
	s_delay_alu instid0(VALU_DEP_1) | instskip(NEXT) | instid1(VALU_DEP_1)
	v_ashrrev_i32_e32 v7, 31, v6
	v_add_nc_u64_e32 v[6:7], v[42:43], v[6:7]
.LBB48_195:
	s_and_not1_saveexec_b32 s2, s2
	s_cbranch_execz .LBB48_197
; %bb.196:
	s_wait_dscnt 0x2
	v_add_nc_u64_e32 v[6:7], v[2:3], v[20:21]
.LBB48_197:
	s_or_b32 exec_lo, exec_lo, s2
	s_wait_dscnt 0x2
	s_delay_alu instid0(VALU_DEP_1)
	v_lshl_add_u64 v[6:7], v[6:7], 2, s[16:17]
	s_wait_dscnt 0x1
	global_store_b32 v[6:7], v5, off
.LBB48_198:
	s_wait_xcnt 0x0
	s_or_b32 exec_lo, exec_lo, s1
	s_delay_alu instid0(SALU_CYCLE_1)
	s_mov_b32 s1, exec_lo
                                        ; implicit-def: $vgpr44_vgpr45
	v_cmpx_gt_u32_e64 s23, v18
	s_cbranch_execz .LBB48_204
; %bb.199:
	s_mov_b32 s2, exec_lo
                                        ; implicit-def: $vgpr44_vgpr45
	v_cmpx_ge_u32_e64 v18, v16
	s_xor_b32 s2, exec_lo, s2
	s_cbranch_execz .LBB48_201
; %bb.200:
	s_wait_dscnt 0x1
	v_xor_b32_e32 v4, 0xfffff3ff, v0
                                        ; implicit-def: $vgpr18_vgpr19
	s_delay_alu instid0(VALU_DEP_1) | instskip(NEXT) | instid1(VALU_DEP_1)
	v_ashrrev_i32_e32 v5, 31, v4
	v_add_nc_u64_e32 v[44:45], v[42:43], v[4:5]
.LBB48_201:
	s_and_not1_saveexec_b32 s2, s2
; %bb.202:
	v_add_nc_u64_e32 v[44:45], v[2:3], v[18:19]
; %bb.203:
	s_or_b32 exec_lo, exec_lo, s2
	s_delay_alu instid0(SALU_CYCLE_1)
	s_or_b32 s0, s0, exec_lo
.LBB48_204:
	s_or_b32 exec_lo, exec_lo, s1
.LBB48_205:
	s_and_saveexec_b32 s1, s0
	s_cbranch_execz .LBB48_207
; %bb.206:
	s_wait_dscnt 0x1
	v_lshl_add_u64 v[4:5], v[44:45], 2, s[16:17]
	s_wait_dscnt 0x0
	global_store_b32 v[4:5], v46, off
.LBB48_207:
	s_wait_xcnt 0x0
	s_or_b32 exec_lo, exec_lo, s1
	v_cmp_eq_u32_e32 vcc_lo, 0, v0
	s_and_b32 s0, vcc_lo, s22
	s_delay_alu instid0(SALU_CYCLE_1)
	s_and_saveexec_b32 s1, s0
	s_cbranch_execz .LBB48_209
; %bb.208:
	v_mov_b32_e32 v17, 0
	s_delay_alu instid0(VALU_DEP_1)
	v_add_nc_u64_e32 v[0:1], v[2:3], v[16:17]
	global_store_b64 v17, v[0:1], s[8:9]
.LBB48_209:
	s_sendmsg sendmsg(MSG_DEALLOC_VGPRS)
	s_endpgm
	.section	.rodata,"a",@progbits
	.p2align	6, 0x0
	.amdhsa_kernel _ZN7rocprim17ROCPRIM_400000_NS6detail17trampoline_kernelINS0_13select_configILj256ELj13ELNS0_17block_load_methodE3ELS4_3ELS4_3ELNS0_20block_scan_algorithmE0ELj4294967295EEENS1_25partition_config_selectorILNS1_17partition_subalgoE3EjNS0_10empty_typeEbEEZZNS1_14partition_implILS8_3ELb0ES6_jNS0_17counting_iteratorIjlEEPS9_SE_NS0_5tupleIJPjSE_EEENSF_IJSE_SE_EEES9_SG_JZNS1_25segmented_radix_sort_implINS0_14default_configELb1EPKhPhPKlPlN2at6native12_GLOBAL__N_18offset_tEEE10hipError_tPvRmT1_PNSt15iterator_traitsISY_E10value_typeET2_T3_PNSZ_IS14_E10value_typeET4_jRbjT5_S1A_jjP12ihipStream_tbEUljE_EEESV_SW_SX_S14_S18_S1A_T6_T7_T9_mT8_S1C_bDpT10_ENKUlT_T0_E_clISt17integral_constantIbLb0EES1P_EEDaS1K_S1L_EUlS1K_E_NS1_11comp_targetILNS1_3genE0ELNS1_11target_archE4294967295ELNS1_3gpuE0ELNS1_3repE0EEENS1_30default_config_static_selectorELNS0_4arch9wavefront6targetE0EEEvSY_
		.amdhsa_group_segment_fixed_size 13320
		.amdhsa_private_segment_fixed_size 0
		.amdhsa_kernarg_size 144
		.amdhsa_user_sgpr_count 2
		.amdhsa_user_sgpr_dispatch_ptr 0
		.amdhsa_user_sgpr_queue_ptr 0
		.amdhsa_user_sgpr_kernarg_segment_ptr 1
		.amdhsa_user_sgpr_dispatch_id 0
		.amdhsa_user_sgpr_kernarg_preload_length 0
		.amdhsa_user_sgpr_kernarg_preload_offset 0
		.amdhsa_user_sgpr_private_segment_size 0
		.amdhsa_wavefront_size32 1
		.amdhsa_uses_dynamic_stack 0
		.amdhsa_enable_private_segment 0
		.amdhsa_system_sgpr_workgroup_id_x 1
		.amdhsa_system_sgpr_workgroup_id_y 0
		.amdhsa_system_sgpr_workgroup_id_z 0
		.amdhsa_system_sgpr_workgroup_info 0
		.amdhsa_system_vgpr_workitem_id 0
		.amdhsa_next_free_vgpr 69
		.amdhsa_next_free_sgpr 26
		.amdhsa_named_barrier_count 0
		.amdhsa_reserve_vcc 1
		.amdhsa_float_round_mode_32 0
		.amdhsa_float_round_mode_16_64 0
		.amdhsa_float_denorm_mode_32 3
		.amdhsa_float_denorm_mode_16_64 3
		.amdhsa_fp16_overflow 0
		.amdhsa_memory_ordered 1
		.amdhsa_forward_progress 1
		.amdhsa_inst_pref_size 70
		.amdhsa_round_robin_scheduling 0
		.amdhsa_exception_fp_ieee_invalid_op 0
		.amdhsa_exception_fp_denorm_src 0
		.amdhsa_exception_fp_ieee_div_zero 0
		.amdhsa_exception_fp_ieee_overflow 0
		.amdhsa_exception_fp_ieee_underflow 0
		.amdhsa_exception_fp_ieee_inexact 0
		.amdhsa_exception_int_div_zero 0
	.end_amdhsa_kernel
	.section	.text._ZN7rocprim17ROCPRIM_400000_NS6detail17trampoline_kernelINS0_13select_configILj256ELj13ELNS0_17block_load_methodE3ELS4_3ELS4_3ELNS0_20block_scan_algorithmE0ELj4294967295EEENS1_25partition_config_selectorILNS1_17partition_subalgoE3EjNS0_10empty_typeEbEEZZNS1_14partition_implILS8_3ELb0ES6_jNS0_17counting_iteratorIjlEEPS9_SE_NS0_5tupleIJPjSE_EEENSF_IJSE_SE_EEES9_SG_JZNS1_25segmented_radix_sort_implINS0_14default_configELb1EPKhPhPKlPlN2at6native12_GLOBAL__N_18offset_tEEE10hipError_tPvRmT1_PNSt15iterator_traitsISY_E10value_typeET2_T3_PNSZ_IS14_E10value_typeET4_jRbjT5_S1A_jjP12ihipStream_tbEUljE_EEESV_SW_SX_S14_S18_S1A_T6_T7_T9_mT8_S1C_bDpT10_ENKUlT_T0_E_clISt17integral_constantIbLb0EES1P_EEDaS1K_S1L_EUlS1K_E_NS1_11comp_targetILNS1_3genE0ELNS1_11target_archE4294967295ELNS1_3gpuE0ELNS1_3repE0EEENS1_30default_config_static_selectorELNS0_4arch9wavefront6targetE0EEEvSY_,"axG",@progbits,_ZN7rocprim17ROCPRIM_400000_NS6detail17trampoline_kernelINS0_13select_configILj256ELj13ELNS0_17block_load_methodE3ELS4_3ELS4_3ELNS0_20block_scan_algorithmE0ELj4294967295EEENS1_25partition_config_selectorILNS1_17partition_subalgoE3EjNS0_10empty_typeEbEEZZNS1_14partition_implILS8_3ELb0ES6_jNS0_17counting_iteratorIjlEEPS9_SE_NS0_5tupleIJPjSE_EEENSF_IJSE_SE_EEES9_SG_JZNS1_25segmented_radix_sort_implINS0_14default_configELb1EPKhPhPKlPlN2at6native12_GLOBAL__N_18offset_tEEE10hipError_tPvRmT1_PNSt15iterator_traitsISY_E10value_typeET2_T3_PNSZ_IS14_E10value_typeET4_jRbjT5_S1A_jjP12ihipStream_tbEUljE_EEESV_SW_SX_S14_S18_S1A_T6_T7_T9_mT8_S1C_bDpT10_ENKUlT_T0_E_clISt17integral_constantIbLb0EES1P_EEDaS1K_S1L_EUlS1K_E_NS1_11comp_targetILNS1_3genE0ELNS1_11target_archE4294967295ELNS1_3gpuE0ELNS1_3repE0EEENS1_30default_config_static_selectorELNS0_4arch9wavefront6targetE0EEEvSY_,comdat
.Lfunc_end48:
	.size	_ZN7rocprim17ROCPRIM_400000_NS6detail17trampoline_kernelINS0_13select_configILj256ELj13ELNS0_17block_load_methodE3ELS4_3ELS4_3ELNS0_20block_scan_algorithmE0ELj4294967295EEENS1_25partition_config_selectorILNS1_17partition_subalgoE3EjNS0_10empty_typeEbEEZZNS1_14partition_implILS8_3ELb0ES6_jNS0_17counting_iteratorIjlEEPS9_SE_NS0_5tupleIJPjSE_EEENSF_IJSE_SE_EEES9_SG_JZNS1_25segmented_radix_sort_implINS0_14default_configELb1EPKhPhPKlPlN2at6native12_GLOBAL__N_18offset_tEEE10hipError_tPvRmT1_PNSt15iterator_traitsISY_E10value_typeET2_T3_PNSZ_IS14_E10value_typeET4_jRbjT5_S1A_jjP12ihipStream_tbEUljE_EEESV_SW_SX_S14_S18_S1A_T6_T7_T9_mT8_S1C_bDpT10_ENKUlT_T0_E_clISt17integral_constantIbLb0EES1P_EEDaS1K_S1L_EUlS1K_E_NS1_11comp_targetILNS1_3genE0ELNS1_11target_archE4294967295ELNS1_3gpuE0ELNS1_3repE0EEENS1_30default_config_static_selectorELNS0_4arch9wavefront6targetE0EEEvSY_, .Lfunc_end48-_ZN7rocprim17ROCPRIM_400000_NS6detail17trampoline_kernelINS0_13select_configILj256ELj13ELNS0_17block_load_methodE3ELS4_3ELS4_3ELNS0_20block_scan_algorithmE0ELj4294967295EEENS1_25partition_config_selectorILNS1_17partition_subalgoE3EjNS0_10empty_typeEbEEZZNS1_14partition_implILS8_3ELb0ES6_jNS0_17counting_iteratorIjlEEPS9_SE_NS0_5tupleIJPjSE_EEENSF_IJSE_SE_EEES9_SG_JZNS1_25segmented_radix_sort_implINS0_14default_configELb1EPKhPhPKlPlN2at6native12_GLOBAL__N_18offset_tEEE10hipError_tPvRmT1_PNSt15iterator_traitsISY_E10value_typeET2_T3_PNSZ_IS14_E10value_typeET4_jRbjT5_S1A_jjP12ihipStream_tbEUljE_EEESV_SW_SX_S14_S18_S1A_T6_T7_T9_mT8_S1C_bDpT10_ENKUlT_T0_E_clISt17integral_constantIbLb0EES1P_EEDaS1K_S1L_EUlS1K_E_NS1_11comp_targetILNS1_3genE0ELNS1_11target_archE4294967295ELNS1_3gpuE0ELNS1_3repE0EEENS1_30default_config_static_selectorELNS0_4arch9wavefront6targetE0EEEvSY_
                                        ; -- End function
	.set _ZN7rocprim17ROCPRIM_400000_NS6detail17trampoline_kernelINS0_13select_configILj256ELj13ELNS0_17block_load_methodE3ELS4_3ELS4_3ELNS0_20block_scan_algorithmE0ELj4294967295EEENS1_25partition_config_selectorILNS1_17partition_subalgoE3EjNS0_10empty_typeEbEEZZNS1_14partition_implILS8_3ELb0ES6_jNS0_17counting_iteratorIjlEEPS9_SE_NS0_5tupleIJPjSE_EEENSF_IJSE_SE_EEES9_SG_JZNS1_25segmented_radix_sort_implINS0_14default_configELb1EPKhPhPKlPlN2at6native12_GLOBAL__N_18offset_tEEE10hipError_tPvRmT1_PNSt15iterator_traitsISY_E10value_typeET2_T3_PNSZ_IS14_E10value_typeET4_jRbjT5_S1A_jjP12ihipStream_tbEUljE_EEESV_SW_SX_S14_S18_S1A_T6_T7_T9_mT8_S1C_bDpT10_ENKUlT_T0_E_clISt17integral_constantIbLb0EES1P_EEDaS1K_S1L_EUlS1K_E_NS1_11comp_targetILNS1_3genE0ELNS1_11target_archE4294967295ELNS1_3gpuE0ELNS1_3repE0EEENS1_30default_config_static_selectorELNS0_4arch9wavefront6targetE0EEEvSY_.num_vgpr, 69
	.set _ZN7rocprim17ROCPRIM_400000_NS6detail17trampoline_kernelINS0_13select_configILj256ELj13ELNS0_17block_load_methodE3ELS4_3ELS4_3ELNS0_20block_scan_algorithmE0ELj4294967295EEENS1_25partition_config_selectorILNS1_17partition_subalgoE3EjNS0_10empty_typeEbEEZZNS1_14partition_implILS8_3ELb0ES6_jNS0_17counting_iteratorIjlEEPS9_SE_NS0_5tupleIJPjSE_EEENSF_IJSE_SE_EEES9_SG_JZNS1_25segmented_radix_sort_implINS0_14default_configELb1EPKhPhPKlPlN2at6native12_GLOBAL__N_18offset_tEEE10hipError_tPvRmT1_PNSt15iterator_traitsISY_E10value_typeET2_T3_PNSZ_IS14_E10value_typeET4_jRbjT5_S1A_jjP12ihipStream_tbEUljE_EEESV_SW_SX_S14_S18_S1A_T6_T7_T9_mT8_S1C_bDpT10_ENKUlT_T0_E_clISt17integral_constantIbLb0EES1P_EEDaS1K_S1L_EUlS1K_E_NS1_11comp_targetILNS1_3genE0ELNS1_11target_archE4294967295ELNS1_3gpuE0ELNS1_3repE0EEENS1_30default_config_static_selectorELNS0_4arch9wavefront6targetE0EEEvSY_.num_agpr, 0
	.set _ZN7rocprim17ROCPRIM_400000_NS6detail17trampoline_kernelINS0_13select_configILj256ELj13ELNS0_17block_load_methodE3ELS4_3ELS4_3ELNS0_20block_scan_algorithmE0ELj4294967295EEENS1_25partition_config_selectorILNS1_17partition_subalgoE3EjNS0_10empty_typeEbEEZZNS1_14partition_implILS8_3ELb0ES6_jNS0_17counting_iteratorIjlEEPS9_SE_NS0_5tupleIJPjSE_EEENSF_IJSE_SE_EEES9_SG_JZNS1_25segmented_radix_sort_implINS0_14default_configELb1EPKhPhPKlPlN2at6native12_GLOBAL__N_18offset_tEEE10hipError_tPvRmT1_PNSt15iterator_traitsISY_E10value_typeET2_T3_PNSZ_IS14_E10value_typeET4_jRbjT5_S1A_jjP12ihipStream_tbEUljE_EEESV_SW_SX_S14_S18_S1A_T6_T7_T9_mT8_S1C_bDpT10_ENKUlT_T0_E_clISt17integral_constantIbLb0EES1P_EEDaS1K_S1L_EUlS1K_E_NS1_11comp_targetILNS1_3genE0ELNS1_11target_archE4294967295ELNS1_3gpuE0ELNS1_3repE0EEENS1_30default_config_static_selectorELNS0_4arch9wavefront6targetE0EEEvSY_.numbered_sgpr, 26
	.set _ZN7rocprim17ROCPRIM_400000_NS6detail17trampoline_kernelINS0_13select_configILj256ELj13ELNS0_17block_load_methodE3ELS4_3ELS4_3ELNS0_20block_scan_algorithmE0ELj4294967295EEENS1_25partition_config_selectorILNS1_17partition_subalgoE3EjNS0_10empty_typeEbEEZZNS1_14partition_implILS8_3ELb0ES6_jNS0_17counting_iteratorIjlEEPS9_SE_NS0_5tupleIJPjSE_EEENSF_IJSE_SE_EEES9_SG_JZNS1_25segmented_radix_sort_implINS0_14default_configELb1EPKhPhPKlPlN2at6native12_GLOBAL__N_18offset_tEEE10hipError_tPvRmT1_PNSt15iterator_traitsISY_E10value_typeET2_T3_PNSZ_IS14_E10value_typeET4_jRbjT5_S1A_jjP12ihipStream_tbEUljE_EEESV_SW_SX_S14_S18_S1A_T6_T7_T9_mT8_S1C_bDpT10_ENKUlT_T0_E_clISt17integral_constantIbLb0EES1P_EEDaS1K_S1L_EUlS1K_E_NS1_11comp_targetILNS1_3genE0ELNS1_11target_archE4294967295ELNS1_3gpuE0ELNS1_3repE0EEENS1_30default_config_static_selectorELNS0_4arch9wavefront6targetE0EEEvSY_.num_named_barrier, 0
	.set _ZN7rocprim17ROCPRIM_400000_NS6detail17trampoline_kernelINS0_13select_configILj256ELj13ELNS0_17block_load_methodE3ELS4_3ELS4_3ELNS0_20block_scan_algorithmE0ELj4294967295EEENS1_25partition_config_selectorILNS1_17partition_subalgoE3EjNS0_10empty_typeEbEEZZNS1_14partition_implILS8_3ELb0ES6_jNS0_17counting_iteratorIjlEEPS9_SE_NS0_5tupleIJPjSE_EEENSF_IJSE_SE_EEES9_SG_JZNS1_25segmented_radix_sort_implINS0_14default_configELb1EPKhPhPKlPlN2at6native12_GLOBAL__N_18offset_tEEE10hipError_tPvRmT1_PNSt15iterator_traitsISY_E10value_typeET2_T3_PNSZ_IS14_E10value_typeET4_jRbjT5_S1A_jjP12ihipStream_tbEUljE_EEESV_SW_SX_S14_S18_S1A_T6_T7_T9_mT8_S1C_bDpT10_ENKUlT_T0_E_clISt17integral_constantIbLb0EES1P_EEDaS1K_S1L_EUlS1K_E_NS1_11comp_targetILNS1_3genE0ELNS1_11target_archE4294967295ELNS1_3gpuE0ELNS1_3repE0EEENS1_30default_config_static_selectorELNS0_4arch9wavefront6targetE0EEEvSY_.private_seg_size, 0
	.set _ZN7rocprim17ROCPRIM_400000_NS6detail17trampoline_kernelINS0_13select_configILj256ELj13ELNS0_17block_load_methodE3ELS4_3ELS4_3ELNS0_20block_scan_algorithmE0ELj4294967295EEENS1_25partition_config_selectorILNS1_17partition_subalgoE3EjNS0_10empty_typeEbEEZZNS1_14partition_implILS8_3ELb0ES6_jNS0_17counting_iteratorIjlEEPS9_SE_NS0_5tupleIJPjSE_EEENSF_IJSE_SE_EEES9_SG_JZNS1_25segmented_radix_sort_implINS0_14default_configELb1EPKhPhPKlPlN2at6native12_GLOBAL__N_18offset_tEEE10hipError_tPvRmT1_PNSt15iterator_traitsISY_E10value_typeET2_T3_PNSZ_IS14_E10value_typeET4_jRbjT5_S1A_jjP12ihipStream_tbEUljE_EEESV_SW_SX_S14_S18_S1A_T6_T7_T9_mT8_S1C_bDpT10_ENKUlT_T0_E_clISt17integral_constantIbLb0EES1P_EEDaS1K_S1L_EUlS1K_E_NS1_11comp_targetILNS1_3genE0ELNS1_11target_archE4294967295ELNS1_3gpuE0ELNS1_3repE0EEENS1_30default_config_static_selectorELNS0_4arch9wavefront6targetE0EEEvSY_.uses_vcc, 1
	.set _ZN7rocprim17ROCPRIM_400000_NS6detail17trampoline_kernelINS0_13select_configILj256ELj13ELNS0_17block_load_methodE3ELS4_3ELS4_3ELNS0_20block_scan_algorithmE0ELj4294967295EEENS1_25partition_config_selectorILNS1_17partition_subalgoE3EjNS0_10empty_typeEbEEZZNS1_14partition_implILS8_3ELb0ES6_jNS0_17counting_iteratorIjlEEPS9_SE_NS0_5tupleIJPjSE_EEENSF_IJSE_SE_EEES9_SG_JZNS1_25segmented_radix_sort_implINS0_14default_configELb1EPKhPhPKlPlN2at6native12_GLOBAL__N_18offset_tEEE10hipError_tPvRmT1_PNSt15iterator_traitsISY_E10value_typeET2_T3_PNSZ_IS14_E10value_typeET4_jRbjT5_S1A_jjP12ihipStream_tbEUljE_EEESV_SW_SX_S14_S18_S1A_T6_T7_T9_mT8_S1C_bDpT10_ENKUlT_T0_E_clISt17integral_constantIbLb0EES1P_EEDaS1K_S1L_EUlS1K_E_NS1_11comp_targetILNS1_3genE0ELNS1_11target_archE4294967295ELNS1_3gpuE0ELNS1_3repE0EEENS1_30default_config_static_selectorELNS0_4arch9wavefront6targetE0EEEvSY_.uses_flat_scratch, 0
	.set _ZN7rocprim17ROCPRIM_400000_NS6detail17trampoline_kernelINS0_13select_configILj256ELj13ELNS0_17block_load_methodE3ELS4_3ELS4_3ELNS0_20block_scan_algorithmE0ELj4294967295EEENS1_25partition_config_selectorILNS1_17partition_subalgoE3EjNS0_10empty_typeEbEEZZNS1_14partition_implILS8_3ELb0ES6_jNS0_17counting_iteratorIjlEEPS9_SE_NS0_5tupleIJPjSE_EEENSF_IJSE_SE_EEES9_SG_JZNS1_25segmented_radix_sort_implINS0_14default_configELb1EPKhPhPKlPlN2at6native12_GLOBAL__N_18offset_tEEE10hipError_tPvRmT1_PNSt15iterator_traitsISY_E10value_typeET2_T3_PNSZ_IS14_E10value_typeET4_jRbjT5_S1A_jjP12ihipStream_tbEUljE_EEESV_SW_SX_S14_S18_S1A_T6_T7_T9_mT8_S1C_bDpT10_ENKUlT_T0_E_clISt17integral_constantIbLb0EES1P_EEDaS1K_S1L_EUlS1K_E_NS1_11comp_targetILNS1_3genE0ELNS1_11target_archE4294967295ELNS1_3gpuE0ELNS1_3repE0EEENS1_30default_config_static_selectorELNS0_4arch9wavefront6targetE0EEEvSY_.has_dyn_sized_stack, 0
	.set _ZN7rocprim17ROCPRIM_400000_NS6detail17trampoline_kernelINS0_13select_configILj256ELj13ELNS0_17block_load_methodE3ELS4_3ELS4_3ELNS0_20block_scan_algorithmE0ELj4294967295EEENS1_25partition_config_selectorILNS1_17partition_subalgoE3EjNS0_10empty_typeEbEEZZNS1_14partition_implILS8_3ELb0ES6_jNS0_17counting_iteratorIjlEEPS9_SE_NS0_5tupleIJPjSE_EEENSF_IJSE_SE_EEES9_SG_JZNS1_25segmented_radix_sort_implINS0_14default_configELb1EPKhPhPKlPlN2at6native12_GLOBAL__N_18offset_tEEE10hipError_tPvRmT1_PNSt15iterator_traitsISY_E10value_typeET2_T3_PNSZ_IS14_E10value_typeET4_jRbjT5_S1A_jjP12ihipStream_tbEUljE_EEESV_SW_SX_S14_S18_S1A_T6_T7_T9_mT8_S1C_bDpT10_ENKUlT_T0_E_clISt17integral_constantIbLb0EES1P_EEDaS1K_S1L_EUlS1K_E_NS1_11comp_targetILNS1_3genE0ELNS1_11target_archE4294967295ELNS1_3gpuE0ELNS1_3repE0EEENS1_30default_config_static_selectorELNS0_4arch9wavefront6targetE0EEEvSY_.has_recursion, 0
	.set _ZN7rocprim17ROCPRIM_400000_NS6detail17trampoline_kernelINS0_13select_configILj256ELj13ELNS0_17block_load_methodE3ELS4_3ELS4_3ELNS0_20block_scan_algorithmE0ELj4294967295EEENS1_25partition_config_selectorILNS1_17partition_subalgoE3EjNS0_10empty_typeEbEEZZNS1_14partition_implILS8_3ELb0ES6_jNS0_17counting_iteratorIjlEEPS9_SE_NS0_5tupleIJPjSE_EEENSF_IJSE_SE_EEES9_SG_JZNS1_25segmented_radix_sort_implINS0_14default_configELb1EPKhPhPKlPlN2at6native12_GLOBAL__N_18offset_tEEE10hipError_tPvRmT1_PNSt15iterator_traitsISY_E10value_typeET2_T3_PNSZ_IS14_E10value_typeET4_jRbjT5_S1A_jjP12ihipStream_tbEUljE_EEESV_SW_SX_S14_S18_S1A_T6_T7_T9_mT8_S1C_bDpT10_ENKUlT_T0_E_clISt17integral_constantIbLb0EES1P_EEDaS1K_S1L_EUlS1K_E_NS1_11comp_targetILNS1_3genE0ELNS1_11target_archE4294967295ELNS1_3gpuE0ELNS1_3repE0EEENS1_30default_config_static_selectorELNS0_4arch9wavefront6targetE0EEEvSY_.has_indirect_call, 0
	.section	.AMDGPU.csdata,"",@progbits
; Kernel info:
; codeLenInByte = 8920
; TotalNumSgprs: 28
; NumVgprs: 69
; ScratchSize: 0
; MemoryBound: 0
; FloatMode: 240
; IeeeMode: 1
; LDSByteSize: 13320 bytes/workgroup (compile time only)
; SGPRBlocks: 0
; VGPRBlocks: 4
; NumSGPRsForWavesPerEU: 28
; NumVGPRsForWavesPerEU: 69
; NamedBarCnt: 0
; Occupancy: 12
; WaveLimiterHint : 0
; COMPUTE_PGM_RSRC2:SCRATCH_EN: 0
; COMPUTE_PGM_RSRC2:USER_SGPR: 2
; COMPUTE_PGM_RSRC2:TRAP_HANDLER: 0
; COMPUTE_PGM_RSRC2:TGID_X_EN: 1
; COMPUTE_PGM_RSRC2:TGID_Y_EN: 0
; COMPUTE_PGM_RSRC2:TGID_Z_EN: 0
; COMPUTE_PGM_RSRC2:TIDIG_COMP_CNT: 0
	.section	.text._ZN7rocprim17ROCPRIM_400000_NS6detail17trampoline_kernelINS0_13select_configILj256ELj13ELNS0_17block_load_methodE3ELS4_3ELS4_3ELNS0_20block_scan_algorithmE0ELj4294967295EEENS1_25partition_config_selectorILNS1_17partition_subalgoE3EjNS0_10empty_typeEbEEZZNS1_14partition_implILS8_3ELb0ES6_jNS0_17counting_iteratorIjlEEPS9_SE_NS0_5tupleIJPjSE_EEENSF_IJSE_SE_EEES9_SG_JZNS1_25segmented_radix_sort_implINS0_14default_configELb1EPKhPhPKlPlN2at6native12_GLOBAL__N_18offset_tEEE10hipError_tPvRmT1_PNSt15iterator_traitsISY_E10value_typeET2_T3_PNSZ_IS14_E10value_typeET4_jRbjT5_S1A_jjP12ihipStream_tbEUljE_EEESV_SW_SX_S14_S18_S1A_T6_T7_T9_mT8_S1C_bDpT10_ENKUlT_T0_E_clISt17integral_constantIbLb0EES1P_EEDaS1K_S1L_EUlS1K_E_NS1_11comp_targetILNS1_3genE5ELNS1_11target_archE942ELNS1_3gpuE9ELNS1_3repE0EEENS1_30default_config_static_selectorELNS0_4arch9wavefront6targetE0EEEvSY_,"axG",@progbits,_ZN7rocprim17ROCPRIM_400000_NS6detail17trampoline_kernelINS0_13select_configILj256ELj13ELNS0_17block_load_methodE3ELS4_3ELS4_3ELNS0_20block_scan_algorithmE0ELj4294967295EEENS1_25partition_config_selectorILNS1_17partition_subalgoE3EjNS0_10empty_typeEbEEZZNS1_14partition_implILS8_3ELb0ES6_jNS0_17counting_iteratorIjlEEPS9_SE_NS0_5tupleIJPjSE_EEENSF_IJSE_SE_EEES9_SG_JZNS1_25segmented_radix_sort_implINS0_14default_configELb1EPKhPhPKlPlN2at6native12_GLOBAL__N_18offset_tEEE10hipError_tPvRmT1_PNSt15iterator_traitsISY_E10value_typeET2_T3_PNSZ_IS14_E10value_typeET4_jRbjT5_S1A_jjP12ihipStream_tbEUljE_EEESV_SW_SX_S14_S18_S1A_T6_T7_T9_mT8_S1C_bDpT10_ENKUlT_T0_E_clISt17integral_constantIbLb0EES1P_EEDaS1K_S1L_EUlS1K_E_NS1_11comp_targetILNS1_3genE5ELNS1_11target_archE942ELNS1_3gpuE9ELNS1_3repE0EEENS1_30default_config_static_selectorELNS0_4arch9wavefront6targetE0EEEvSY_,comdat
	.globl	_ZN7rocprim17ROCPRIM_400000_NS6detail17trampoline_kernelINS0_13select_configILj256ELj13ELNS0_17block_load_methodE3ELS4_3ELS4_3ELNS0_20block_scan_algorithmE0ELj4294967295EEENS1_25partition_config_selectorILNS1_17partition_subalgoE3EjNS0_10empty_typeEbEEZZNS1_14partition_implILS8_3ELb0ES6_jNS0_17counting_iteratorIjlEEPS9_SE_NS0_5tupleIJPjSE_EEENSF_IJSE_SE_EEES9_SG_JZNS1_25segmented_radix_sort_implINS0_14default_configELb1EPKhPhPKlPlN2at6native12_GLOBAL__N_18offset_tEEE10hipError_tPvRmT1_PNSt15iterator_traitsISY_E10value_typeET2_T3_PNSZ_IS14_E10value_typeET4_jRbjT5_S1A_jjP12ihipStream_tbEUljE_EEESV_SW_SX_S14_S18_S1A_T6_T7_T9_mT8_S1C_bDpT10_ENKUlT_T0_E_clISt17integral_constantIbLb0EES1P_EEDaS1K_S1L_EUlS1K_E_NS1_11comp_targetILNS1_3genE5ELNS1_11target_archE942ELNS1_3gpuE9ELNS1_3repE0EEENS1_30default_config_static_selectorELNS0_4arch9wavefront6targetE0EEEvSY_ ; -- Begin function _ZN7rocprim17ROCPRIM_400000_NS6detail17trampoline_kernelINS0_13select_configILj256ELj13ELNS0_17block_load_methodE3ELS4_3ELS4_3ELNS0_20block_scan_algorithmE0ELj4294967295EEENS1_25partition_config_selectorILNS1_17partition_subalgoE3EjNS0_10empty_typeEbEEZZNS1_14partition_implILS8_3ELb0ES6_jNS0_17counting_iteratorIjlEEPS9_SE_NS0_5tupleIJPjSE_EEENSF_IJSE_SE_EEES9_SG_JZNS1_25segmented_radix_sort_implINS0_14default_configELb1EPKhPhPKlPlN2at6native12_GLOBAL__N_18offset_tEEE10hipError_tPvRmT1_PNSt15iterator_traitsISY_E10value_typeET2_T3_PNSZ_IS14_E10value_typeET4_jRbjT5_S1A_jjP12ihipStream_tbEUljE_EEESV_SW_SX_S14_S18_S1A_T6_T7_T9_mT8_S1C_bDpT10_ENKUlT_T0_E_clISt17integral_constantIbLb0EES1P_EEDaS1K_S1L_EUlS1K_E_NS1_11comp_targetILNS1_3genE5ELNS1_11target_archE942ELNS1_3gpuE9ELNS1_3repE0EEENS1_30default_config_static_selectorELNS0_4arch9wavefront6targetE0EEEvSY_
	.p2align	8
	.type	_ZN7rocprim17ROCPRIM_400000_NS6detail17trampoline_kernelINS0_13select_configILj256ELj13ELNS0_17block_load_methodE3ELS4_3ELS4_3ELNS0_20block_scan_algorithmE0ELj4294967295EEENS1_25partition_config_selectorILNS1_17partition_subalgoE3EjNS0_10empty_typeEbEEZZNS1_14partition_implILS8_3ELb0ES6_jNS0_17counting_iteratorIjlEEPS9_SE_NS0_5tupleIJPjSE_EEENSF_IJSE_SE_EEES9_SG_JZNS1_25segmented_radix_sort_implINS0_14default_configELb1EPKhPhPKlPlN2at6native12_GLOBAL__N_18offset_tEEE10hipError_tPvRmT1_PNSt15iterator_traitsISY_E10value_typeET2_T3_PNSZ_IS14_E10value_typeET4_jRbjT5_S1A_jjP12ihipStream_tbEUljE_EEESV_SW_SX_S14_S18_S1A_T6_T7_T9_mT8_S1C_bDpT10_ENKUlT_T0_E_clISt17integral_constantIbLb0EES1P_EEDaS1K_S1L_EUlS1K_E_NS1_11comp_targetILNS1_3genE5ELNS1_11target_archE942ELNS1_3gpuE9ELNS1_3repE0EEENS1_30default_config_static_selectorELNS0_4arch9wavefront6targetE0EEEvSY_,@function
_ZN7rocprim17ROCPRIM_400000_NS6detail17trampoline_kernelINS0_13select_configILj256ELj13ELNS0_17block_load_methodE3ELS4_3ELS4_3ELNS0_20block_scan_algorithmE0ELj4294967295EEENS1_25partition_config_selectorILNS1_17partition_subalgoE3EjNS0_10empty_typeEbEEZZNS1_14partition_implILS8_3ELb0ES6_jNS0_17counting_iteratorIjlEEPS9_SE_NS0_5tupleIJPjSE_EEENSF_IJSE_SE_EEES9_SG_JZNS1_25segmented_radix_sort_implINS0_14default_configELb1EPKhPhPKlPlN2at6native12_GLOBAL__N_18offset_tEEE10hipError_tPvRmT1_PNSt15iterator_traitsISY_E10value_typeET2_T3_PNSZ_IS14_E10value_typeET4_jRbjT5_S1A_jjP12ihipStream_tbEUljE_EEESV_SW_SX_S14_S18_S1A_T6_T7_T9_mT8_S1C_bDpT10_ENKUlT_T0_E_clISt17integral_constantIbLb0EES1P_EEDaS1K_S1L_EUlS1K_E_NS1_11comp_targetILNS1_3genE5ELNS1_11target_archE942ELNS1_3gpuE9ELNS1_3repE0EEENS1_30default_config_static_selectorELNS0_4arch9wavefront6targetE0EEEvSY_: ; @_ZN7rocprim17ROCPRIM_400000_NS6detail17trampoline_kernelINS0_13select_configILj256ELj13ELNS0_17block_load_methodE3ELS4_3ELS4_3ELNS0_20block_scan_algorithmE0ELj4294967295EEENS1_25partition_config_selectorILNS1_17partition_subalgoE3EjNS0_10empty_typeEbEEZZNS1_14partition_implILS8_3ELb0ES6_jNS0_17counting_iteratorIjlEEPS9_SE_NS0_5tupleIJPjSE_EEENSF_IJSE_SE_EEES9_SG_JZNS1_25segmented_radix_sort_implINS0_14default_configELb1EPKhPhPKlPlN2at6native12_GLOBAL__N_18offset_tEEE10hipError_tPvRmT1_PNSt15iterator_traitsISY_E10value_typeET2_T3_PNSZ_IS14_E10value_typeET4_jRbjT5_S1A_jjP12ihipStream_tbEUljE_EEESV_SW_SX_S14_S18_S1A_T6_T7_T9_mT8_S1C_bDpT10_ENKUlT_T0_E_clISt17integral_constantIbLb0EES1P_EEDaS1K_S1L_EUlS1K_E_NS1_11comp_targetILNS1_3genE5ELNS1_11target_archE942ELNS1_3gpuE9ELNS1_3repE0EEENS1_30default_config_static_selectorELNS0_4arch9wavefront6targetE0EEEvSY_
; %bb.0:
	.section	.rodata,"a",@progbits
	.p2align	6, 0x0
	.amdhsa_kernel _ZN7rocprim17ROCPRIM_400000_NS6detail17trampoline_kernelINS0_13select_configILj256ELj13ELNS0_17block_load_methodE3ELS4_3ELS4_3ELNS0_20block_scan_algorithmE0ELj4294967295EEENS1_25partition_config_selectorILNS1_17partition_subalgoE3EjNS0_10empty_typeEbEEZZNS1_14partition_implILS8_3ELb0ES6_jNS0_17counting_iteratorIjlEEPS9_SE_NS0_5tupleIJPjSE_EEENSF_IJSE_SE_EEES9_SG_JZNS1_25segmented_radix_sort_implINS0_14default_configELb1EPKhPhPKlPlN2at6native12_GLOBAL__N_18offset_tEEE10hipError_tPvRmT1_PNSt15iterator_traitsISY_E10value_typeET2_T3_PNSZ_IS14_E10value_typeET4_jRbjT5_S1A_jjP12ihipStream_tbEUljE_EEESV_SW_SX_S14_S18_S1A_T6_T7_T9_mT8_S1C_bDpT10_ENKUlT_T0_E_clISt17integral_constantIbLb0EES1P_EEDaS1K_S1L_EUlS1K_E_NS1_11comp_targetILNS1_3genE5ELNS1_11target_archE942ELNS1_3gpuE9ELNS1_3repE0EEENS1_30default_config_static_selectorELNS0_4arch9wavefront6targetE0EEEvSY_
		.amdhsa_group_segment_fixed_size 0
		.amdhsa_private_segment_fixed_size 0
		.amdhsa_kernarg_size 144
		.amdhsa_user_sgpr_count 2
		.amdhsa_user_sgpr_dispatch_ptr 0
		.amdhsa_user_sgpr_queue_ptr 0
		.amdhsa_user_sgpr_kernarg_segment_ptr 1
		.amdhsa_user_sgpr_dispatch_id 0
		.amdhsa_user_sgpr_kernarg_preload_length 0
		.amdhsa_user_sgpr_kernarg_preload_offset 0
		.amdhsa_user_sgpr_private_segment_size 0
		.amdhsa_wavefront_size32 1
		.amdhsa_uses_dynamic_stack 0
		.amdhsa_enable_private_segment 0
		.amdhsa_system_sgpr_workgroup_id_x 1
		.amdhsa_system_sgpr_workgroup_id_y 0
		.amdhsa_system_sgpr_workgroup_id_z 0
		.amdhsa_system_sgpr_workgroup_info 0
		.amdhsa_system_vgpr_workitem_id 0
		.amdhsa_next_free_vgpr 1
		.amdhsa_next_free_sgpr 1
		.amdhsa_named_barrier_count 0
		.amdhsa_reserve_vcc 0
		.amdhsa_float_round_mode_32 0
		.amdhsa_float_round_mode_16_64 0
		.amdhsa_float_denorm_mode_32 3
		.amdhsa_float_denorm_mode_16_64 3
		.amdhsa_fp16_overflow 0
		.amdhsa_memory_ordered 1
		.amdhsa_forward_progress 1
		.amdhsa_inst_pref_size 0
		.amdhsa_round_robin_scheduling 0
		.amdhsa_exception_fp_ieee_invalid_op 0
		.amdhsa_exception_fp_denorm_src 0
		.amdhsa_exception_fp_ieee_div_zero 0
		.amdhsa_exception_fp_ieee_overflow 0
		.amdhsa_exception_fp_ieee_underflow 0
		.amdhsa_exception_fp_ieee_inexact 0
		.amdhsa_exception_int_div_zero 0
	.end_amdhsa_kernel
	.section	.text._ZN7rocprim17ROCPRIM_400000_NS6detail17trampoline_kernelINS0_13select_configILj256ELj13ELNS0_17block_load_methodE3ELS4_3ELS4_3ELNS0_20block_scan_algorithmE0ELj4294967295EEENS1_25partition_config_selectorILNS1_17partition_subalgoE3EjNS0_10empty_typeEbEEZZNS1_14partition_implILS8_3ELb0ES6_jNS0_17counting_iteratorIjlEEPS9_SE_NS0_5tupleIJPjSE_EEENSF_IJSE_SE_EEES9_SG_JZNS1_25segmented_radix_sort_implINS0_14default_configELb1EPKhPhPKlPlN2at6native12_GLOBAL__N_18offset_tEEE10hipError_tPvRmT1_PNSt15iterator_traitsISY_E10value_typeET2_T3_PNSZ_IS14_E10value_typeET4_jRbjT5_S1A_jjP12ihipStream_tbEUljE_EEESV_SW_SX_S14_S18_S1A_T6_T7_T9_mT8_S1C_bDpT10_ENKUlT_T0_E_clISt17integral_constantIbLb0EES1P_EEDaS1K_S1L_EUlS1K_E_NS1_11comp_targetILNS1_3genE5ELNS1_11target_archE942ELNS1_3gpuE9ELNS1_3repE0EEENS1_30default_config_static_selectorELNS0_4arch9wavefront6targetE0EEEvSY_,"axG",@progbits,_ZN7rocprim17ROCPRIM_400000_NS6detail17trampoline_kernelINS0_13select_configILj256ELj13ELNS0_17block_load_methodE3ELS4_3ELS4_3ELNS0_20block_scan_algorithmE0ELj4294967295EEENS1_25partition_config_selectorILNS1_17partition_subalgoE3EjNS0_10empty_typeEbEEZZNS1_14partition_implILS8_3ELb0ES6_jNS0_17counting_iteratorIjlEEPS9_SE_NS0_5tupleIJPjSE_EEENSF_IJSE_SE_EEES9_SG_JZNS1_25segmented_radix_sort_implINS0_14default_configELb1EPKhPhPKlPlN2at6native12_GLOBAL__N_18offset_tEEE10hipError_tPvRmT1_PNSt15iterator_traitsISY_E10value_typeET2_T3_PNSZ_IS14_E10value_typeET4_jRbjT5_S1A_jjP12ihipStream_tbEUljE_EEESV_SW_SX_S14_S18_S1A_T6_T7_T9_mT8_S1C_bDpT10_ENKUlT_T0_E_clISt17integral_constantIbLb0EES1P_EEDaS1K_S1L_EUlS1K_E_NS1_11comp_targetILNS1_3genE5ELNS1_11target_archE942ELNS1_3gpuE9ELNS1_3repE0EEENS1_30default_config_static_selectorELNS0_4arch9wavefront6targetE0EEEvSY_,comdat
.Lfunc_end49:
	.size	_ZN7rocprim17ROCPRIM_400000_NS6detail17trampoline_kernelINS0_13select_configILj256ELj13ELNS0_17block_load_methodE3ELS4_3ELS4_3ELNS0_20block_scan_algorithmE0ELj4294967295EEENS1_25partition_config_selectorILNS1_17partition_subalgoE3EjNS0_10empty_typeEbEEZZNS1_14partition_implILS8_3ELb0ES6_jNS0_17counting_iteratorIjlEEPS9_SE_NS0_5tupleIJPjSE_EEENSF_IJSE_SE_EEES9_SG_JZNS1_25segmented_radix_sort_implINS0_14default_configELb1EPKhPhPKlPlN2at6native12_GLOBAL__N_18offset_tEEE10hipError_tPvRmT1_PNSt15iterator_traitsISY_E10value_typeET2_T3_PNSZ_IS14_E10value_typeET4_jRbjT5_S1A_jjP12ihipStream_tbEUljE_EEESV_SW_SX_S14_S18_S1A_T6_T7_T9_mT8_S1C_bDpT10_ENKUlT_T0_E_clISt17integral_constantIbLb0EES1P_EEDaS1K_S1L_EUlS1K_E_NS1_11comp_targetILNS1_3genE5ELNS1_11target_archE942ELNS1_3gpuE9ELNS1_3repE0EEENS1_30default_config_static_selectorELNS0_4arch9wavefront6targetE0EEEvSY_, .Lfunc_end49-_ZN7rocprim17ROCPRIM_400000_NS6detail17trampoline_kernelINS0_13select_configILj256ELj13ELNS0_17block_load_methodE3ELS4_3ELS4_3ELNS0_20block_scan_algorithmE0ELj4294967295EEENS1_25partition_config_selectorILNS1_17partition_subalgoE3EjNS0_10empty_typeEbEEZZNS1_14partition_implILS8_3ELb0ES6_jNS0_17counting_iteratorIjlEEPS9_SE_NS0_5tupleIJPjSE_EEENSF_IJSE_SE_EEES9_SG_JZNS1_25segmented_radix_sort_implINS0_14default_configELb1EPKhPhPKlPlN2at6native12_GLOBAL__N_18offset_tEEE10hipError_tPvRmT1_PNSt15iterator_traitsISY_E10value_typeET2_T3_PNSZ_IS14_E10value_typeET4_jRbjT5_S1A_jjP12ihipStream_tbEUljE_EEESV_SW_SX_S14_S18_S1A_T6_T7_T9_mT8_S1C_bDpT10_ENKUlT_T0_E_clISt17integral_constantIbLb0EES1P_EEDaS1K_S1L_EUlS1K_E_NS1_11comp_targetILNS1_3genE5ELNS1_11target_archE942ELNS1_3gpuE9ELNS1_3repE0EEENS1_30default_config_static_selectorELNS0_4arch9wavefront6targetE0EEEvSY_
                                        ; -- End function
	.set _ZN7rocprim17ROCPRIM_400000_NS6detail17trampoline_kernelINS0_13select_configILj256ELj13ELNS0_17block_load_methodE3ELS4_3ELS4_3ELNS0_20block_scan_algorithmE0ELj4294967295EEENS1_25partition_config_selectorILNS1_17partition_subalgoE3EjNS0_10empty_typeEbEEZZNS1_14partition_implILS8_3ELb0ES6_jNS0_17counting_iteratorIjlEEPS9_SE_NS0_5tupleIJPjSE_EEENSF_IJSE_SE_EEES9_SG_JZNS1_25segmented_radix_sort_implINS0_14default_configELb1EPKhPhPKlPlN2at6native12_GLOBAL__N_18offset_tEEE10hipError_tPvRmT1_PNSt15iterator_traitsISY_E10value_typeET2_T3_PNSZ_IS14_E10value_typeET4_jRbjT5_S1A_jjP12ihipStream_tbEUljE_EEESV_SW_SX_S14_S18_S1A_T6_T7_T9_mT8_S1C_bDpT10_ENKUlT_T0_E_clISt17integral_constantIbLb0EES1P_EEDaS1K_S1L_EUlS1K_E_NS1_11comp_targetILNS1_3genE5ELNS1_11target_archE942ELNS1_3gpuE9ELNS1_3repE0EEENS1_30default_config_static_selectorELNS0_4arch9wavefront6targetE0EEEvSY_.num_vgpr, 0
	.set _ZN7rocprim17ROCPRIM_400000_NS6detail17trampoline_kernelINS0_13select_configILj256ELj13ELNS0_17block_load_methodE3ELS4_3ELS4_3ELNS0_20block_scan_algorithmE0ELj4294967295EEENS1_25partition_config_selectorILNS1_17partition_subalgoE3EjNS0_10empty_typeEbEEZZNS1_14partition_implILS8_3ELb0ES6_jNS0_17counting_iteratorIjlEEPS9_SE_NS0_5tupleIJPjSE_EEENSF_IJSE_SE_EEES9_SG_JZNS1_25segmented_radix_sort_implINS0_14default_configELb1EPKhPhPKlPlN2at6native12_GLOBAL__N_18offset_tEEE10hipError_tPvRmT1_PNSt15iterator_traitsISY_E10value_typeET2_T3_PNSZ_IS14_E10value_typeET4_jRbjT5_S1A_jjP12ihipStream_tbEUljE_EEESV_SW_SX_S14_S18_S1A_T6_T7_T9_mT8_S1C_bDpT10_ENKUlT_T0_E_clISt17integral_constantIbLb0EES1P_EEDaS1K_S1L_EUlS1K_E_NS1_11comp_targetILNS1_3genE5ELNS1_11target_archE942ELNS1_3gpuE9ELNS1_3repE0EEENS1_30default_config_static_selectorELNS0_4arch9wavefront6targetE0EEEvSY_.num_agpr, 0
	.set _ZN7rocprim17ROCPRIM_400000_NS6detail17trampoline_kernelINS0_13select_configILj256ELj13ELNS0_17block_load_methodE3ELS4_3ELS4_3ELNS0_20block_scan_algorithmE0ELj4294967295EEENS1_25partition_config_selectorILNS1_17partition_subalgoE3EjNS0_10empty_typeEbEEZZNS1_14partition_implILS8_3ELb0ES6_jNS0_17counting_iteratorIjlEEPS9_SE_NS0_5tupleIJPjSE_EEENSF_IJSE_SE_EEES9_SG_JZNS1_25segmented_radix_sort_implINS0_14default_configELb1EPKhPhPKlPlN2at6native12_GLOBAL__N_18offset_tEEE10hipError_tPvRmT1_PNSt15iterator_traitsISY_E10value_typeET2_T3_PNSZ_IS14_E10value_typeET4_jRbjT5_S1A_jjP12ihipStream_tbEUljE_EEESV_SW_SX_S14_S18_S1A_T6_T7_T9_mT8_S1C_bDpT10_ENKUlT_T0_E_clISt17integral_constantIbLb0EES1P_EEDaS1K_S1L_EUlS1K_E_NS1_11comp_targetILNS1_3genE5ELNS1_11target_archE942ELNS1_3gpuE9ELNS1_3repE0EEENS1_30default_config_static_selectorELNS0_4arch9wavefront6targetE0EEEvSY_.numbered_sgpr, 0
	.set _ZN7rocprim17ROCPRIM_400000_NS6detail17trampoline_kernelINS0_13select_configILj256ELj13ELNS0_17block_load_methodE3ELS4_3ELS4_3ELNS0_20block_scan_algorithmE0ELj4294967295EEENS1_25partition_config_selectorILNS1_17partition_subalgoE3EjNS0_10empty_typeEbEEZZNS1_14partition_implILS8_3ELb0ES6_jNS0_17counting_iteratorIjlEEPS9_SE_NS0_5tupleIJPjSE_EEENSF_IJSE_SE_EEES9_SG_JZNS1_25segmented_radix_sort_implINS0_14default_configELb1EPKhPhPKlPlN2at6native12_GLOBAL__N_18offset_tEEE10hipError_tPvRmT1_PNSt15iterator_traitsISY_E10value_typeET2_T3_PNSZ_IS14_E10value_typeET4_jRbjT5_S1A_jjP12ihipStream_tbEUljE_EEESV_SW_SX_S14_S18_S1A_T6_T7_T9_mT8_S1C_bDpT10_ENKUlT_T0_E_clISt17integral_constantIbLb0EES1P_EEDaS1K_S1L_EUlS1K_E_NS1_11comp_targetILNS1_3genE5ELNS1_11target_archE942ELNS1_3gpuE9ELNS1_3repE0EEENS1_30default_config_static_selectorELNS0_4arch9wavefront6targetE0EEEvSY_.num_named_barrier, 0
	.set _ZN7rocprim17ROCPRIM_400000_NS6detail17trampoline_kernelINS0_13select_configILj256ELj13ELNS0_17block_load_methodE3ELS4_3ELS4_3ELNS0_20block_scan_algorithmE0ELj4294967295EEENS1_25partition_config_selectorILNS1_17partition_subalgoE3EjNS0_10empty_typeEbEEZZNS1_14partition_implILS8_3ELb0ES6_jNS0_17counting_iteratorIjlEEPS9_SE_NS0_5tupleIJPjSE_EEENSF_IJSE_SE_EEES9_SG_JZNS1_25segmented_radix_sort_implINS0_14default_configELb1EPKhPhPKlPlN2at6native12_GLOBAL__N_18offset_tEEE10hipError_tPvRmT1_PNSt15iterator_traitsISY_E10value_typeET2_T3_PNSZ_IS14_E10value_typeET4_jRbjT5_S1A_jjP12ihipStream_tbEUljE_EEESV_SW_SX_S14_S18_S1A_T6_T7_T9_mT8_S1C_bDpT10_ENKUlT_T0_E_clISt17integral_constantIbLb0EES1P_EEDaS1K_S1L_EUlS1K_E_NS1_11comp_targetILNS1_3genE5ELNS1_11target_archE942ELNS1_3gpuE9ELNS1_3repE0EEENS1_30default_config_static_selectorELNS0_4arch9wavefront6targetE0EEEvSY_.private_seg_size, 0
	.set _ZN7rocprim17ROCPRIM_400000_NS6detail17trampoline_kernelINS0_13select_configILj256ELj13ELNS0_17block_load_methodE3ELS4_3ELS4_3ELNS0_20block_scan_algorithmE0ELj4294967295EEENS1_25partition_config_selectorILNS1_17partition_subalgoE3EjNS0_10empty_typeEbEEZZNS1_14partition_implILS8_3ELb0ES6_jNS0_17counting_iteratorIjlEEPS9_SE_NS0_5tupleIJPjSE_EEENSF_IJSE_SE_EEES9_SG_JZNS1_25segmented_radix_sort_implINS0_14default_configELb1EPKhPhPKlPlN2at6native12_GLOBAL__N_18offset_tEEE10hipError_tPvRmT1_PNSt15iterator_traitsISY_E10value_typeET2_T3_PNSZ_IS14_E10value_typeET4_jRbjT5_S1A_jjP12ihipStream_tbEUljE_EEESV_SW_SX_S14_S18_S1A_T6_T7_T9_mT8_S1C_bDpT10_ENKUlT_T0_E_clISt17integral_constantIbLb0EES1P_EEDaS1K_S1L_EUlS1K_E_NS1_11comp_targetILNS1_3genE5ELNS1_11target_archE942ELNS1_3gpuE9ELNS1_3repE0EEENS1_30default_config_static_selectorELNS0_4arch9wavefront6targetE0EEEvSY_.uses_vcc, 0
	.set _ZN7rocprim17ROCPRIM_400000_NS6detail17trampoline_kernelINS0_13select_configILj256ELj13ELNS0_17block_load_methodE3ELS4_3ELS4_3ELNS0_20block_scan_algorithmE0ELj4294967295EEENS1_25partition_config_selectorILNS1_17partition_subalgoE3EjNS0_10empty_typeEbEEZZNS1_14partition_implILS8_3ELb0ES6_jNS0_17counting_iteratorIjlEEPS9_SE_NS0_5tupleIJPjSE_EEENSF_IJSE_SE_EEES9_SG_JZNS1_25segmented_radix_sort_implINS0_14default_configELb1EPKhPhPKlPlN2at6native12_GLOBAL__N_18offset_tEEE10hipError_tPvRmT1_PNSt15iterator_traitsISY_E10value_typeET2_T3_PNSZ_IS14_E10value_typeET4_jRbjT5_S1A_jjP12ihipStream_tbEUljE_EEESV_SW_SX_S14_S18_S1A_T6_T7_T9_mT8_S1C_bDpT10_ENKUlT_T0_E_clISt17integral_constantIbLb0EES1P_EEDaS1K_S1L_EUlS1K_E_NS1_11comp_targetILNS1_3genE5ELNS1_11target_archE942ELNS1_3gpuE9ELNS1_3repE0EEENS1_30default_config_static_selectorELNS0_4arch9wavefront6targetE0EEEvSY_.uses_flat_scratch, 0
	.set _ZN7rocprim17ROCPRIM_400000_NS6detail17trampoline_kernelINS0_13select_configILj256ELj13ELNS0_17block_load_methodE3ELS4_3ELS4_3ELNS0_20block_scan_algorithmE0ELj4294967295EEENS1_25partition_config_selectorILNS1_17partition_subalgoE3EjNS0_10empty_typeEbEEZZNS1_14partition_implILS8_3ELb0ES6_jNS0_17counting_iteratorIjlEEPS9_SE_NS0_5tupleIJPjSE_EEENSF_IJSE_SE_EEES9_SG_JZNS1_25segmented_radix_sort_implINS0_14default_configELb1EPKhPhPKlPlN2at6native12_GLOBAL__N_18offset_tEEE10hipError_tPvRmT1_PNSt15iterator_traitsISY_E10value_typeET2_T3_PNSZ_IS14_E10value_typeET4_jRbjT5_S1A_jjP12ihipStream_tbEUljE_EEESV_SW_SX_S14_S18_S1A_T6_T7_T9_mT8_S1C_bDpT10_ENKUlT_T0_E_clISt17integral_constantIbLb0EES1P_EEDaS1K_S1L_EUlS1K_E_NS1_11comp_targetILNS1_3genE5ELNS1_11target_archE942ELNS1_3gpuE9ELNS1_3repE0EEENS1_30default_config_static_selectorELNS0_4arch9wavefront6targetE0EEEvSY_.has_dyn_sized_stack, 0
	.set _ZN7rocprim17ROCPRIM_400000_NS6detail17trampoline_kernelINS0_13select_configILj256ELj13ELNS0_17block_load_methodE3ELS4_3ELS4_3ELNS0_20block_scan_algorithmE0ELj4294967295EEENS1_25partition_config_selectorILNS1_17partition_subalgoE3EjNS0_10empty_typeEbEEZZNS1_14partition_implILS8_3ELb0ES6_jNS0_17counting_iteratorIjlEEPS9_SE_NS0_5tupleIJPjSE_EEENSF_IJSE_SE_EEES9_SG_JZNS1_25segmented_radix_sort_implINS0_14default_configELb1EPKhPhPKlPlN2at6native12_GLOBAL__N_18offset_tEEE10hipError_tPvRmT1_PNSt15iterator_traitsISY_E10value_typeET2_T3_PNSZ_IS14_E10value_typeET4_jRbjT5_S1A_jjP12ihipStream_tbEUljE_EEESV_SW_SX_S14_S18_S1A_T6_T7_T9_mT8_S1C_bDpT10_ENKUlT_T0_E_clISt17integral_constantIbLb0EES1P_EEDaS1K_S1L_EUlS1K_E_NS1_11comp_targetILNS1_3genE5ELNS1_11target_archE942ELNS1_3gpuE9ELNS1_3repE0EEENS1_30default_config_static_selectorELNS0_4arch9wavefront6targetE0EEEvSY_.has_recursion, 0
	.set _ZN7rocprim17ROCPRIM_400000_NS6detail17trampoline_kernelINS0_13select_configILj256ELj13ELNS0_17block_load_methodE3ELS4_3ELS4_3ELNS0_20block_scan_algorithmE0ELj4294967295EEENS1_25partition_config_selectorILNS1_17partition_subalgoE3EjNS0_10empty_typeEbEEZZNS1_14partition_implILS8_3ELb0ES6_jNS0_17counting_iteratorIjlEEPS9_SE_NS0_5tupleIJPjSE_EEENSF_IJSE_SE_EEES9_SG_JZNS1_25segmented_radix_sort_implINS0_14default_configELb1EPKhPhPKlPlN2at6native12_GLOBAL__N_18offset_tEEE10hipError_tPvRmT1_PNSt15iterator_traitsISY_E10value_typeET2_T3_PNSZ_IS14_E10value_typeET4_jRbjT5_S1A_jjP12ihipStream_tbEUljE_EEESV_SW_SX_S14_S18_S1A_T6_T7_T9_mT8_S1C_bDpT10_ENKUlT_T0_E_clISt17integral_constantIbLb0EES1P_EEDaS1K_S1L_EUlS1K_E_NS1_11comp_targetILNS1_3genE5ELNS1_11target_archE942ELNS1_3gpuE9ELNS1_3repE0EEENS1_30default_config_static_selectorELNS0_4arch9wavefront6targetE0EEEvSY_.has_indirect_call, 0
	.section	.AMDGPU.csdata,"",@progbits
; Kernel info:
; codeLenInByte = 0
; TotalNumSgprs: 0
; NumVgprs: 0
; ScratchSize: 0
; MemoryBound: 0
; FloatMode: 240
; IeeeMode: 1
; LDSByteSize: 0 bytes/workgroup (compile time only)
; SGPRBlocks: 0
; VGPRBlocks: 0
; NumSGPRsForWavesPerEU: 1
; NumVGPRsForWavesPerEU: 1
; NamedBarCnt: 0
; Occupancy: 16
; WaveLimiterHint : 0
; COMPUTE_PGM_RSRC2:SCRATCH_EN: 0
; COMPUTE_PGM_RSRC2:USER_SGPR: 2
; COMPUTE_PGM_RSRC2:TRAP_HANDLER: 0
; COMPUTE_PGM_RSRC2:TGID_X_EN: 1
; COMPUTE_PGM_RSRC2:TGID_Y_EN: 0
; COMPUTE_PGM_RSRC2:TGID_Z_EN: 0
; COMPUTE_PGM_RSRC2:TIDIG_COMP_CNT: 0
	.section	.text._ZN7rocprim17ROCPRIM_400000_NS6detail17trampoline_kernelINS0_13select_configILj256ELj13ELNS0_17block_load_methodE3ELS4_3ELS4_3ELNS0_20block_scan_algorithmE0ELj4294967295EEENS1_25partition_config_selectorILNS1_17partition_subalgoE3EjNS0_10empty_typeEbEEZZNS1_14partition_implILS8_3ELb0ES6_jNS0_17counting_iteratorIjlEEPS9_SE_NS0_5tupleIJPjSE_EEENSF_IJSE_SE_EEES9_SG_JZNS1_25segmented_radix_sort_implINS0_14default_configELb1EPKhPhPKlPlN2at6native12_GLOBAL__N_18offset_tEEE10hipError_tPvRmT1_PNSt15iterator_traitsISY_E10value_typeET2_T3_PNSZ_IS14_E10value_typeET4_jRbjT5_S1A_jjP12ihipStream_tbEUljE_EEESV_SW_SX_S14_S18_S1A_T6_T7_T9_mT8_S1C_bDpT10_ENKUlT_T0_E_clISt17integral_constantIbLb0EES1P_EEDaS1K_S1L_EUlS1K_E_NS1_11comp_targetILNS1_3genE4ELNS1_11target_archE910ELNS1_3gpuE8ELNS1_3repE0EEENS1_30default_config_static_selectorELNS0_4arch9wavefront6targetE0EEEvSY_,"axG",@progbits,_ZN7rocprim17ROCPRIM_400000_NS6detail17trampoline_kernelINS0_13select_configILj256ELj13ELNS0_17block_load_methodE3ELS4_3ELS4_3ELNS0_20block_scan_algorithmE0ELj4294967295EEENS1_25partition_config_selectorILNS1_17partition_subalgoE3EjNS0_10empty_typeEbEEZZNS1_14partition_implILS8_3ELb0ES6_jNS0_17counting_iteratorIjlEEPS9_SE_NS0_5tupleIJPjSE_EEENSF_IJSE_SE_EEES9_SG_JZNS1_25segmented_radix_sort_implINS0_14default_configELb1EPKhPhPKlPlN2at6native12_GLOBAL__N_18offset_tEEE10hipError_tPvRmT1_PNSt15iterator_traitsISY_E10value_typeET2_T3_PNSZ_IS14_E10value_typeET4_jRbjT5_S1A_jjP12ihipStream_tbEUljE_EEESV_SW_SX_S14_S18_S1A_T6_T7_T9_mT8_S1C_bDpT10_ENKUlT_T0_E_clISt17integral_constantIbLb0EES1P_EEDaS1K_S1L_EUlS1K_E_NS1_11comp_targetILNS1_3genE4ELNS1_11target_archE910ELNS1_3gpuE8ELNS1_3repE0EEENS1_30default_config_static_selectorELNS0_4arch9wavefront6targetE0EEEvSY_,comdat
	.globl	_ZN7rocprim17ROCPRIM_400000_NS6detail17trampoline_kernelINS0_13select_configILj256ELj13ELNS0_17block_load_methodE3ELS4_3ELS4_3ELNS0_20block_scan_algorithmE0ELj4294967295EEENS1_25partition_config_selectorILNS1_17partition_subalgoE3EjNS0_10empty_typeEbEEZZNS1_14partition_implILS8_3ELb0ES6_jNS0_17counting_iteratorIjlEEPS9_SE_NS0_5tupleIJPjSE_EEENSF_IJSE_SE_EEES9_SG_JZNS1_25segmented_radix_sort_implINS0_14default_configELb1EPKhPhPKlPlN2at6native12_GLOBAL__N_18offset_tEEE10hipError_tPvRmT1_PNSt15iterator_traitsISY_E10value_typeET2_T3_PNSZ_IS14_E10value_typeET4_jRbjT5_S1A_jjP12ihipStream_tbEUljE_EEESV_SW_SX_S14_S18_S1A_T6_T7_T9_mT8_S1C_bDpT10_ENKUlT_T0_E_clISt17integral_constantIbLb0EES1P_EEDaS1K_S1L_EUlS1K_E_NS1_11comp_targetILNS1_3genE4ELNS1_11target_archE910ELNS1_3gpuE8ELNS1_3repE0EEENS1_30default_config_static_selectorELNS0_4arch9wavefront6targetE0EEEvSY_ ; -- Begin function _ZN7rocprim17ROCPRIM_400000_NS6detail17trampoline_kernelINS0_13select_configILj256ELj13ELNS0_17block_load_methodE3ELS4_3ELS4_3ELNS0_20block_scan_algorithmE0ELj4294967295EEENS1_25partition_config_selectorILNS1_17partition_subalgoE3EjNS0_10empty_typeEbEEZZNS1_14partition_implILS8_3ELb0ES6_jNS0_17counting_iteratorIjlEEPS9_SE_NS0_5tupleIJPjSE_EEENSF_IJSE_SE_EEES9_SG_JZNS1_25segmented_radix_sort_implINS0_14default_configELb1EPKhPhPKlPlN2at6native12_GLOBAL__N_18offset_tEEE10hipError_tPvRmT1_PNSt15iterator_traitsISY_E10value_typeET2_T3_PNSZ_IS14_E10value_typeET4_jRbjT5_S1A_jjP12ihipStream_tbEUljE_EEESV_SW_SX_S14_S18_S1A_T6_T7_T9_mT8_S1C_bDpT10_ENKUlT_T0_E_clISt17integral_constantIbLb0EES1P_EEDaS1K_S1L_EUlS1K_E_NS1_11comp_targetILNS1_3genE4ELNS1_11target_archE910ELNS1_3gpuE8ELNS1_3repE0EEENS1_30default_config_static_selectorELNS0_4arch9wavefront6targetE0EEEvSY_
	.p2align	8
	.type	_ZN7rocprim17ROCPRIM_400000_NS6detail17trampoline_kernelINS0_13select_configILj256ELj13ELNS0_17block_load_methodE3ELS4_3ELS4_3ELNS0_20block_scan_algorithmE0ELj4294967295EEENS1_25partition_config_selectorILNS1_17partition_subalgoE3EjNS0_10empty_typeEbEEZZNS1_14partition_implILS8_3ELb0ES6_jNS0_17counting_iteratorIjlEEPS9_SE_NS0_5tupleIJPjSE_EEENSF_IJSE_SE_EEES9_SG_JZNS1_25segmented_radix_sort_implINS0_14default_configELb1EPKhPhPKlPlN2at6native12_GLOBAL__N_18offset_tEEE10hipError_tPvRmT1_PNSt15iterator_traitsISY_E10value_typeET2_T3_PNSZ_IS14_E10value_typeET4_jRbjT5_S1A_jjP12ihipStream_tbEUljE_EEESV_SW_SX_S14_S18_S1A_T6_T7_T9_mT8_S1C_bDpT10_ENKUlT_T0_E_clISt17integral_constantIbLb0EES1P_EEDaS1K_S1L_EUlS1K_E_NS1_11comp_targetILNS1_3genE4ELNS1_11target_archE910ELNS1_3gpuE8ELNS1_3repE0EEENS1_30default_config_static_selectorELNS0_4arch9wavefront6targetE0EEEvSY_,@function
_ZN7rocprim17ROCPRIM_400000_NS6detail17trampoline_kernelINS0_13select_configILj256ELj13ELNS0_17block_load_methodE3ELS4_3ELS4_3ELNS0_20block_scan_algorithmE0ELj4294967295EEENS1_25partition_config_selectorILNS1_17partition_subalgoE3EjNS0_10empty_typeEbEEZZNS1_14partition_implILS8_3ELb0ES6_jNS0_17counting_iteratorIjlEEPS9_SE_NS0_5tupleIJPjSE_EEENSF_IJSE_SE_EEES9_SG_JZNS1_25segmented_radix_sort_implINS0_14default_configELb1EPKhPhPKlPlN2at6native12_GLOBAL__N_18offset_tEEE10hipError_tPvRmT1_PNSt15iterator_traitsISY_E10value_typeET2_T3_PNSZ_IS14_E10value_typeET4_jRbjT5_S1A_jjP12ihipStream_tbEUljE_EEESV_SW_SX_S14_S18_S1A_T6_T7_T9_mT8_S1C_bDpT10_ENKUlT_T0_E_clISt17integral_constantIbLb0EES1P_EEDaS1K_S1L_EUlS1K_E_NS1_11comp_targetILNS1_3genE4ELNS1_11target_archE910ELNS1_3gpuE8ELNS1_3repE0EEENS1_30default_config_static_selectorELNS0_4arch9wavefront6targetE0EEEvSY_: ; @_ZN7rocprim17ROCPRIM_400000_NS6detail17trampoline_kernelINS0_13select_configILj256ELj13ELNS0_17block_load_methodE3ELS4_3ELS4_3ELNS0_20block_scan_algorithmE0ELj4294967295EEENS1_25partition_config_selectorILNS1_17partition_subalgoE3EjNS0_10empty_typeEbEEZZNS1_14partition_implILS8_3ELb0ES6_jNS0_17counting_iteratorIjlEEPS9_SE_NS0_5tupleIJPjSE_EEENSF_IJSE_SE_EEES9_SG_JZNS1_25segmented_radix_sort_implINS0_14default_configELb1EPKhPhPKlPlN2at6native12_GLOBAL__N_18offset_tEEE10hipError_tPvRmT1_PNSt15iterator_traitsISY_E10value_typeET2_T3_PNSZ_IS14_E10value_typeET4_jRbjT5_S1A_jjP12ihipStream_tbEUljE_EEESV_SW_SX_S14_S18_S1A_T6_T7_T9_mT8_S1C_bDpT10_ENKUlT_T0_E_clISt17integral_constantIbLb0EES1P_EEDaS1K_S1L_EUlS1K_E_NS1_11comp_targetILNS1_3genE4ELNS1_11target_archE910ELNS1_3gpuE8ELNS1_3repE0EEENS1_30default_config_static_selectorELNS0_4arch9wavefront6targetE0EEEvSY_
; %bb.0:
	.section	.rodata,"a",@progbits
	.p2align	6, 0x0
	.amdhsa_kernel _ZN7rocprim17ROCPRIM_400000_NS6detail17trampoline_kernelINS0_13select_configILj256ELj13ELNS0_17block_load_methodE3ELS4_3ELS4_3ELNS0_20block_scan_algorithmE0ELj4294967295EEENS1_25partition_config_selectorILNS1_17partition_subalgoE3EjNS0_10empty_typeEbEEZZNS1_14partition_implILS8_3ELb0ES6_jNS0_17counting_iteratorIjlEEPS9_SE_NS0_5tupleIJPjSE_EEENSF_IJSE_SE_EEES9_SG_JZNS1_25segmented_radix_sort_implINS0_14default_configELb1EPKhPhPKlPlN2at6native12_GLOBAL__N_18offset_tEEE10hipError_tPvRmT1_PNSt15iterator_traitsISY_E10value_typeET2_T3_PNSZ_IS14_E10value_typeET4_jRbjT5_S1A_jjP12ihipStream_tbEUljE_EEESV_SW_SX_S14_S18_S1A_T6_T7_T9_mT8_S1C_bDpT10_ENKUlT_T0_E_clISt17integral_constantIbLb0EES1P_EEDaS1K_S1L_EUlS1K_E_NS1_11comp_targetILNS1_3genE4ELNS1_11target_archE910ELNS1_3gpuE8ELNS1_3repE0EEENS1_30default_config_static_selectorELNS0_4arch9wavefront6targetE0EEEvSY_
		.amdhsa_group_segment_fixed_size 0
		.amdhsa_private_segment_fixed_size 0
		.amdhsa_kernarg_size 144
		.amdhsa_user_sgpr_count 2
		.amdhsa_user_sgpr_dispatch_ptr 0
		.amdhsa_user_sgpr_queue_ptr 0
		.amdhsa_user_sgpr_kernarg_segment_ptr 1
		.amdhsa_user_sgpr_dispatch_id 0
		.amdhsa_user_sgpr_kernarg_preload_length 0
		.amdhsa_user_sgpr_kernarg_preload_offset 0
		.amdhsa_user_sgpr_private_segment_size 0
		.amdhsa_wavefront_size32 1
		.amdhsa_uses_dynamic_stack 0
		.amdhsa_enable_private_segment 0
		.amdhsa_system_sgpr_workgroup_id_x 1
		.amdhsa_system_sgpr_workgroup_id_y 0
		.amdhsa_system_sgpr_workgroup_id_z 0
		.amdhsa_system_sgpr_workgroup_info 0
		.amdhsa_system_vgpr_workitem_id 0
		.amdhsa_next_free_vgpr 1
		.amdhsa_next_free_sgpr 1
		.amdhsa_named_barrier_count 0
		.amdhsa_reserve_vcc 0
		.amdhsa_float_round_mode_32 0
		.amdhsa_float_round_mode_16_64 0
		.amdhsa_float_denorm_mode_32 3
		.amdhsa_float_denorm_mode_16_64 3
		.amdhsa_fp16_overflow 0
		.amdhsa_memory_ordered 1
		.amdhsa_forward_progress 1
		.amdhsa_inst_pref_size 0
		.amdhsa_round_robin_scheduling 0
		.amdhsa_exception_fp_ieee_invalid_op 0
		.amdhsa_exception_fp_denorm_src 0
		.amdhsa_exception_fp_ieee_div_zero 0
		.amdhsa_exception_fp_ieee_overflow 0
		.amdhsa_exception_fp_ieee_underflow 0
		.amdhsa_exception_fp_ieee_inexact 0
		.amdhsa_exception_int_div_zero 0
	.end_amdhsa_kernel
	.section	.text._ZN7rocprim17ROCPRIM_400000_NS6detail17trampoline_kernelINS0_13select_configILj256ELj13ELNS0_17block_load_methodE3ELS4_3ELS4_3ELNS0_20block_scan_algorithmE0ELj4294967295EEENS1_25partition_config_selectorILNS1_17partition_subalgoE3EjNS0_10empty_typeEbEEZZNS1_14partition_implILS8_3ELb0ES6_jNS0_17counting_iteratorIjlEEPS9_SE_NS0_5tupleIJPjSE_EEENSF_IJSE_SE_EEES9_SG_JZNS1_25segmented_radix_sort_implINS0_14default_configELb1EPKhPhPKlPlN2at6native12_GLOBAL__N_18offset_tEEE10hipError_tPvRmT1_PNSt15iterator_traitsISY_E10value_typeET2_T3_PNSZ_IS14_E10value_typeET4_jRbjT5_S1A_jjP12ihipStream_tbEUljE_EEESV_SW_SX_S14_S18_S1A_T6_T7_T9_mT8_S1C_bDpT10_ENKUlT_T0_E_clISt17integral_constantIbLb0EES1P_EEDaS1K_S1L_EUlS1K_E_NS1_11comp_targetILNS1_3genE4ELNS1_11target_archE910ELNS1_3gpuE8ELNS1_3repE0EEENS1_30default_config_static_selectorELNS0_4arch9wavefront6targetE0EEEvSY_,"axG",@progbits,_ZN7rocprim17ROCPRIM_400000_NS6detail17trampoline_kernelINS0_13select_configILj256ELj13ELNS0_17block_load_methodE3ELS4_3ELS4_3ELNS0_20block_scan_algorithmE0ELj4294967295EEENS1_25partition_config_selectorILNS1_17partition_subalgoE3EjNS0_10empty_typeEbEEZZNS1_14partition_implILS8_3ELb0ES6_jNS0_17counting_iteratorIjlEEPS9_SE_NS0_5tupleIJPjSE_EEENSF_IJSE_SE_EEES9_SG_JZNS1_25segmented_radix_sort_implINS0_14default_configELb1EPKhPhPKlPlN2at6native12_GLOBAL__N_18offset_tEEE10hipError_tPvRmT1_PNSt15iterator_traitsISY_E10value_typeET2_T3_PNSZ_IS14_E10value_typeET4_jRbjT5_S1A_jjP12ihipStream_tbEUljE_EEESV_SW_SX_S14_S18_S1A_T6_T7_T9_mT8_S1C_bDpT10_ENKUlT_T0_E_clISt17integral_constantIbLb0EES1P_EEDaS1K_S1L_EUlS1K_E_NS1_11comp_targetILNS1_3genE4ELNS1_11target_archE910ELNS1_3gpuE8ELNS1_3repE0EEENS1_30default_config_static_selectorELNS0_4arch9wavefront6targetE0EEEvSY_,comdat
.Lfunc_end50:
	.size	_ZN7rocprim17ROCPRIM_400000_NS6detail17trampoline_kernelINS0_13select_configILj256ELj13ELNS0_17block_load_methodE3ELS4_3ELS4_3ELNS0_20block_scan_algorithmE0ELj4294967295EEENS1_25partition_config_selectorILNS1_17partition_subalgoE3EjNS0_10empty_typeEbEEZZNS1_14partition_implILS8_3ELb0ES6_jNS0_17counting_iteratorIjlEEPS9_SE_NS0_5tupleIJPjSE_EEENSF_IJSE_SE_EEES9_SG_JZNS1_25segmented_radix_sort_implINS0_14default_configELb1EPKhPhPKlPlN2at6native12_GLOBAL__N_18offset_tEEE10hipError_tPvRmT1_PNSt15iterator_traitsISY_E10value_typeET2_T3_PNSZ_IS14_E10value_typeET4_jRbjT5_S1A_jjP12ihipStream_tbEUljE_EEESV_SW_SX_S14_S18_S1A_T6_T7_T9_mT8_S1C_bDpT10_ENKUlT_T0_E_clISt17integral_constantIbLb0EES1P_EEDaS1K_S1L_EUlS1K_E_NS1_11comp_targetILNS1_3genE4ELNS1_11target_archE910ELNS1_3gpuE8ELNS1_3repE0EEENS1_30default_config_static_selectorELNS0_4arch9wavefront6targetE0EEEvSY_, .Lfunc_end50-_ZN7rocprim17ROCPRIM_400000_NS6detail17trampoline_kernelINS0_13select_configILj256ELj13ELNS0_17block_load_methodE3ELS4_3ELS4_3ELNS0_20block_scan_algorithmE0ELj4294967295EEENS1_25partition_config_selectorILNS1_17partition_subalgoE3EjNS0_10empty_typeEbEEZZNS1_14partition_implILS8_3ELb0ES6_jNS0_17counting_iteratorIjlEEPS9_SE_NS0_5tupleIJPjSE_EEENSF_IJSE_SE_EEES9_SG_JZNS1_25segmented_radix_sort_implINS0_14default_configELb1EPKhPhPKlPlN2at6native12_GLOBAL__N_18offset_tEEE10hipError_tPvRmT1_PNSt15iterator_traitsISY_E10value_typeET2_T3_PNSZ_IS14_E10value_typeET4_jRbjT5_S1A_jjP12ihipStream_tbEUljE_EEESV_SW_SX_S14_S18_S1A_T6_T7_T9_mT8_S1C_bDpT10_ENKUlT_T0_E_clISt17integral_constantIbLb0EES1P_EEDaS1K_S1L_EUlS1K_E_NS1_11comp_targetILNS1_3genE4ELNS1_11target_archE910ELNS1_3gpuE8ELNS1_3repE0EEENS1_30default_config_static_selectorELNS0_4arch9wavefront6targetE0EEEvSY_
                                        ; -- End function
	.set _ZN7rocprim17ROCPRIM_400000_NS6detail17trampoline_kernelINS0_13select_configILj256ELj13ELNS0_17block_load_methodE3ELS4_3ELS4_3ELNS0_20block_scan_algorithmE0ELj4294967295EEENS1_25partition_config_selectorILNS1_17partition_subalgoE3EjNS0_10empty_typeEbEEZZNS1_14partition_implILS8_3ELb0ES6_jNS0_17counting_iteratorIjlEEPS9_SE_NS0_5tupleIJPjSE_EEENSF_IJSE_SE_EEES9_SG_JZNS1_25segmented_radix_sort_implINS0_14default_configELb1EPKhPhPKlPlN2at6native12_GLOBAL__N_18offset_tEEE10hipError_tPvRmT1_PNSt15iterator_traitsISY_E10value_typeET2_T3_PNSZ_IS14_E10value_typeET4_jRbjT5_S1A_jjP12ihipStream_tbEUljE_EEESV_SW_SX_S14_S18_S1A_T6_T7_T9_mT8_S1C_bDpT10_ENKUlT_T0_E_clISt17integral_constantIbLb0EES1P_EEDaS1K_S1L_EUlS1K_E_NS1_11comp_targetILNS1_3genE4ELNS1_11target_archE910ELNS1_3gpuE8ELNS1_3repE0EEENS1_30default_config_static_selectorELNS0_4arch9wavefront6targetE0EEEvSY_.num_vgpr, 0
	.set _ZN7rocprim17ROCPRIM_400000_NS6detail17trampoline_kernelINS0_13select_configILj256ELj13ELNS0_17block_load_methodE3ELS4_3ELS4_3ELNS0_20block_scan_algorithmE0ELj4294967295EEENS1_25partition_config_selectorILNS1_17partition_subalgoE3EjNS0_10empty_typeEbEEZZNS1_14partition_implILS8_3ELb0ES6_jNS0_17counting_iteratorIjlEEPS9_SE_NS0_5tupleIJPjSE_EEENSF_IJSE_SE_EEES9_SG_JZNS1_25segmented_radix_sort_implINS0_14default_configELb1EPKhPhPKlPlN2at6native12_GLOBAL__N_18offset_tEEE10hipError_tPvRmT1_PNSt15iterator_traitsISY_E10value_typeET2_T3_PNSZ_IS14_E10value_typeET4_jRbjT5_S1A_jjP12ihipStream_tbEUljE_EEESV_SW_SX_S14_S18_S1A_T6_T7_T9_mT8_S1C_bDpT10_ENKUlT_T0_E_clISt17integral_constantIbLb0EES1P_EEDaS1K_S1L_EUlS1K_E_NS1_11comp_targetILNS1_3genE4ELNS1_11target_archE910ELNS1_3gpuE8ELNS1_3repE0EEENS1_30default_config_static_selectorELNS0_4arch9wavefront6targetE0EEEvSY_.num_agpr, 0
	.set _ZN7rocprim17ROCPRIM_400000_NS6detail17trampoline_kernelINS0_13select_configILj256ELj13ELNS0_17block_load_methodE3ELS4_3ELS4_3ELNS0_20block_scan_algorithmE0ELj4294967295EEENS1_25partition_config_selectorILNS1_17partition_subalgoE3EjNS0_10empty_typeEbEEZZNS1_14partition_implILS8_3ELb0ES6_jNS0_17counting_iteratorIjlEEPS9_SE_NS0_5tupleIJPjSE_EEENSF_IJSE_SE_EEES9_SG_JZNS1_25segmented_radix_sort_implINS0_14default_configELb1EPKhPhPKlPlN2at6native12_GLOBAL__N_18offset_tEEE10hipError_tPvRmT1_PNSt15iterator_traitsISY_E10value_typeET2_T3_PNSZ_IS14_E10value_typeET4_jRbjT5_S1A_jjP12ihipStream_tbEUljE_EEESV_SW_SX_S14_S18_S1A_T6_T7_T9_mT8_S1C_bDpT10_ENKUlT_T0_E_clISt17integral_constantIbLb0EES1P_EEDaS1K_S1L_EUlS1K_E_NS1_11comp_targetILNS1_3genE4ELNS1_11target_archE910ELNS1_3gpuE8ELNS1_3repE0EEENS1_30default_config_static_selectorELNS0_4arch9wavefront6targetE0EEEvSY_.numbered_sgpr, 0
	.set _ZN7rocprim17ROCPRIM_400000_NS6detail17trampoline_kernelINS0_13select_configILj256ELj13ELNS0_17block_load_methodE3ELS4_3ELS4_3ELNS0_20block_scan_algorithmE0ELj4294967295EEENS1_25partition_config_selectorILNS1_17partition_subalgoE3EjNS0_10empty_typeEbEEZZNS1_14partition_implILS8_3ELb0ES6_jNS0_17counting_iteratorIjlEEPS9_SE_NS0_5tupleIJPjSE_EEENSF_IJSE_SE_EEES9_SG_JZNS1_25segmented_radix_sort_implINS0_14default_configELb1EPKhPhPKlPlN2at6native12_GLOBAL__N_18offset_tEEE10hipError_tPvRmT1_PNSt15iterator_traitsISY_E10value_typeET2_T3_PNSZ_IS14_E10value_typeET4_jRbjT5_S1A_jjP12ihipStream_tbEUljE_EEESV_SW_SX_S14_S18_S1A_T6_T7_T9_mT8_S1C_bDpT10_ENKUlT_T0_E_clISt17integral_constantIbLb0EES1P_EEDaS1K_S1L_EUlS1K_E_NS1_11comp_targetILNS1_3genE4ELNS1_11target_archE910ELNS1_3gpuE8ELNS1_3repE0EEENS1_30default_config_static_selectorELNS0_4arch9wavefront6targetE0EEEvSY_.num_named_barrier, 0
	.set _ZN7rocprim17ROCPRIM_400000_NS6detail17trampoline_kernelINS0_13select_configILj256ELj13ELNS0_17block_load_methodE3ELS4_3ELS4_3ELNS0_20block_scan_algorithmE0ELj4294967295EEENS1_25partition_config_selectorILNS1_17partition_subalgoE3EjNS0_10empty_typeEbEEZZNS1_14partition_implILS8_3ELb0ES6_jNS0_17counting_iteratorIjlEEPS9_SE_NS0_5tupleIJPjSE_EEENSF_IJSE_SE_EEES9_SG_JZNS1_25segmented_radix_sort_implINS0_14default_configELb1EPKhPhPKlPlN2at6native12_GLOBAL__N_18offset_tEEE10hipError_tPvRmT1_PNSt15iterator_traitsISY_E10value_typeET2_T3_PNSZ_IS14_E10value_typeET4_jRbjT5_S1A_jjP12ihipStream_tbEUljE_EEESV_SW_SX_S14_S18_S1A_T6_T7_T9_mT8_S1C_bDpT10_ENKUlT_T0_E_clISt17integral_constantIbLb0EES1P_EEDaS1K_S1L_EUlS1K_E_NS1_11comp_targetILNS1_3genE4ELNS1_11target_archE910ELNS1_3gpuE8ELNS1_3repE0EEENS1_30default_config_static_selectorELNS0_4arch9wavefront6targetE0EEEvSY_.private_seg_size, 0
	.set _ZN7rocprim17ROCPRIM_400000_NS6detail17trampoline_kernelINS0_13select_configILj256ELj13ELNS0_17block_load_methodE3ELS4_3ELS4_3ELNS0_20block_scan_algorithmE0ELj4294967295EEENS1_25partition_config_selectorILNS1_17partition_subalgoE3EjNS0_10empty_typeEbEEZZNS1_14partition_implILS8_3ELb0ES6_jNS0_17counting_iteratorIjlEEPS9_SE_NS0_5tupleIJPjSE_EEENSF_IJSE_SE_EEES9_SG_JZNS1_25segmented_radix_sort_implINS0_14default_configELb1EPKhPhPKlPlN2at6native12_GLOBAL__N_18offset_tEEE10hipError_tPvRmT1_PNSt15iterator_traitsISY_E10value_typeET2_T3_PNSZ_IS14_E10value_typeET4_jRbjT5_S1A_jjP12ihipStream_tbEUljE_EEESV_SW_SX_S14_S18_S1A_T6_T7_T9_mT8_S1C_bDpT10_ENKUlT_T0_E_clISt17integral_constantIbLb0EES1P_EEDaS1K_S1L_EUlS1K_E_NS1_11comp_targetILNS1_3genE4ELNS1_11target_archE910ELNS1_3gpuE8ELNS1_3repE0EEENS1_30default_config_static_selectorELNS0_4arch9wavefront6targetE0EEEvSY_.uses_vcc, 0
	.set _ZN7rocprim17ROCPRIM_400000_NS6detail17trampoline_kernelINS0_13select_configILj256ELj13ELNS0_17block_load_methodE3ELS4_3ELS4_3ELNS0_20block_scan_algorithmE0ELj4294967295EEENS1_25partition_config_selectorILNS1_17partition_subalgoE3EjNS0_10empty_typeEbEEZZNS1_14partition_implILS8_3ELb0ES6_jNS0_17counting_iteratorIjlEEPS9_SE_NS0_5tupleIJPjSE_EEENSF_IJSE_SE_EEES9_SG_JZNS1_25segmented_radix_sort_implINS0_14default_configELb1EPKhPhPKlPlN2at6native12_GLOBAL__N_18offset_tEEE10hipError_tPvRmT1_PNSt15iterator_traitsISY_E10value_typeET2_T3_PNSZ_IS14_E10value_typeET4_jRbjT5_S1A_jjP12ihipStream_tbEUljE_EEESV_SW_SX_S14_S18_S1A_T6_T7_T9_mT8_S1C_bDpT10_ENKUlT_T0_E_clISt17integral_constantIbLb0EES1P_EEDaS1K_S1L_EUlS1K_E_NS1_11comp_targetILNS1_3genE4ELNS1_11target_archE910ELNS1_3gpuE8ELNS1_3repE0EEENS1_30default_config_static_selectorELNS0_4arch9wavefront6targetE0EEEvSY_.uses_flat_scratch, 0
	.set _ZN7rocprim17ROCPRIM_400000_NS6detail17trampoline_kernelINS0_13select_configILj256ELj13ELNS0_17block_load_methodE3ELS4_3ELS4_3ELNS0_20block_scan_algorithmE0ELj4294967295EEENS1_25partition_config_selectorILNS1_17partition_subalgoE3EjNS0_10empty_typeEbEEZZNS1_14partition_implILS8_3ELb0ES6_jNS0_17counting_iteratorIjlEEPS9_SE_NS0_5tupleIJPjSE_EEENSF_IJSE_SE_EEES9_SG_JZNS1_25segmented_radix_sort_implINS0_14default_configELb1EPKhPhPKlPlN2at6native12_GLOBAL__N_18offset_tEEE10hipError_tPvRmT1_PNSt15iterator_traitsISY_E10value_typeET2_T3_PNSZ_IS14_E10value_typeET4_jRbjT5_S1A_jjP12ihipStream_tbEUljE_EEESV_SW_SX_S14_S18_S1A_T6_T7_T9_mT8_S1C_bDpT10_ENKUlT_T0_E_clISt17integral_constantIbLb0EES1P_EEDaS1K_S1L_EUlS1K_E_NS1_11comp_targetILNS1_3genE4ELNS1_11target_archE910ELNS1_3gpuE8ELNS1_3repE0EEENS1_30default_config_static_selectorELNS0_4arch9wavefront6targetE0EEEvSY_.has_dyn_sized_stack, 0
	.set _ZN7rocprim17ROCPRIM_400000_NS6detail17trampoline_kernelINS0_13select_configILj256ELj13ELNS0_17block_load_methodE3ELS4_3ELS4_3ELNS0_20block_scan_algorithmE0ELj4294967295EEENS1_25partition_config_selectorILNS1_17partition_subalgoE3EjNS0_10empty_typeEbEEZZNS1_14partition_implILS8_3ELb0ES6_jNS0_17counting_iteratorIjlEEPS9_SE_NS0_5tupleIJPjSE_EEENSF_IJSE_SE_EEES9_SG_JZNS1_25segmented_radix_sort_implINS0_14default_configELb1EPKhPhPKlPlN2at6native12_GLOBAL__N_18offset_tEEE10hipError_tPvRmT1_PNSt15iterator_traitsISY_E10value_typeET2_T3_PNSZ_IS14_E10value_typeET4_jRbjT5_S1A_jjP12ihipStream_tbEUljE_EEESV_SW_SX_S14_S18_S1A_T6_T7_T9_mT8_S1C_bDpT10_ENKUlT_T0_E_clISt17integral_constantIbLb0EES1P_EEDaS1K_S1L_EUlS1K_E_NS1_11comp_targetILNS1_3genE4ELNS1_11target_archE910ELNS1_3gpuE8ELNS1_3repE0EEENS1_30default_config_static_selectorELNS0_4arch9wavefront6targetE0EEEvSY_.has_recursion, 0
	.set _ZN7rocprim17ROCPRIM_400000_NS6detail17trampoline_kernelINS0_13select_configILj256ELj13ELNS0_17block_load_methodE3ELS4_3ELS4_3ELNS0_20block_scan_algorithmE0ELj4294967295EEENS1_25partition_config_selectorILNS1_17partition_subalgoE3EjNS0_10empty_typeEbEEZZNS1_14partition_implILS8_3ELb0ES6_jNS0_17counting_iteratorIjlEEPS9_SE_NS0_5tupleIJPjSE_EEENSF_IJSE_SE_EEES9_SG_JZNS1_25segmented_radix_sort_implINS0_14default_configELb1EPKhPhPKlPlN2at6native12_GLOBAL__N_18offset_tEEE10hipError_tPvRmT1_PNSt15iterator_traitsISY_E10value_typeET2_T3_PNSZ_IS14_E10value_typeET4_jRbjT5_S1A_jjP12ihipStream_tbEUljE_EEESV_SW_SX_S14_S18_S1A_T6_T7_T9_mT8_S1C_bDpT10_ENKUlT_T0_E_clISt17integral_constantIbLb0EES1P_EEDaS1K_S1L_EUlS1K_E_NS1_11comp_targetILNS1_3genE4ELNS1_11target_archE910ELNS1_3gpuE8ELNS1_3repE0EEENS1_30default_config_static_selectorELNS0_4arch9wavefront6targetE0EEEvSY_.has_indirect_call, 0
	.section	.AMDGPU.csdata,"",@progbits
; Kernel info:
; codeLenInByte = 0
; TotalNumSgprs: 0
; NumVgprs: 0
; ScratchSize: 0
; MemoryBound: 0
; FloatMode: 240
; IeeeMode: 1
; LDSByteSize: 0 bytes/workgroup (compile time only)
; SGPRBlocks: 0
; VGPRBlocks: 0
; NumSGPRsForWavesPerEU: 1
; NumVGPRsForWavesPerEU: 1
; NamedBarCnt: 0
; Occupancy: 16
; WaveLimiterHint : 0
; COMPUTE_PGM_RSRC2:SCRATCH_EN: 0
; COMPUTE_PGM_RSRC2:USER_SGPR: 2
; COMPUTE_PGM_RSRC2:TRAP_HANDLER: 0
; COMPUTE_PGM_RSRC2:TGID_X_EN: 1
; COMPUTE_PGM_RSRC2:TGID_Y_EN: 0
; COMPUTE_PGM_RSRC2:TGID_Z_EN: 0
; COMPUTE_PGM_RSRC2:TIDIG_COMP_CNT: 0
	.section	.text._ZN7rocprim17ROCPRIM_400000_NS6detail17trampoline_kernelINS0_13select_configILj256ELj13ELNS0_17block_load_methodE3ELS4_3ELS4_3ELNS0_20block_scan_algorithmE0ELj4294967295EEENS1_25partition_config_selectorILNS1_17partition_subalgoE3EjNS0_10empty_typeEbEEZZNS1_14partition_implILS8_3ELb0ES6_jNS0_17counting_iteratorIjlEEPS9_SE_NS0_5tupleIJPjSE_EEENSF_IJSE_SE_EEES9_SG_JZNS1_25segmented_radix_sort_implINS0_14default_configELb1EPKhPhPKlPlN2at6native12_GLOBAL__N_18offset_tEEE10hipError_tPvRmT1_PNSt15iterator_traitsISY_E10value_typeET2_T3_PNSZ_IS14_E10value_typeET4_jRbjT5_S1A_jjP12ihipStream_tbEUljE_EEESV_SW_SX_S14_S18_S1A_T6_T7_T9_mT8_S1C_bDpT10_ENKUlT_T0_E_clISt17integral_constantIbLb0EES1P_EEDaS1K_S1L_EUlS1K_E_NS1_11comp_targetILNS1_3genE3ELNS1_11target_archE908ELNS1_3gpuE7ELNS1_3repE0EEENS1_30default_config_static_selectorELNS0_4arch9wavefront6targetE0EEEvSY_,"axG",@progbits,_ZN7rocprim17ROCPRIM_400000_NS6detail17trampoline_kernelINS0_13select_configILj256ELj13ELNS0_17block_load_methodE3ELS4_3ELS4_3ELNS0_20block_scan_algorithmE0ELj4294967295EEENS1_25partition_config_selectorILNS1_17partition_subalgoE3EjNS0_10empty_typeEbEEZZNS1_14partition_implILS8_3ELb0ES6_jNS0_17counting_iteratorIjlEEPS9_SE_NS0_5tupleIJPjSE_EEENSF_IJSE_SE_EEES9_SG_JZNS1_25segmented_radix_sort_implINS0_14default_configELb1EPKhPhPKlPlN2at6native12_GLOBAL__N_18offset_tEEE10hipError_tPvRmT1_PNSt15iterator_traitsISY_E10value_typeET2_T3_PNSZ_IS14_E10value_typeET4_jRbjT5_S1A_jjP12ihipStream_tbEUljE_EEESV_SW_SX_S14_S18_S1A_T6_T7_T9_mT8_S1C_bDpT10_ENKUlT_T0_E_clISt17integral_constantIbLb0EES1P_EEDaS1K_S1L_EUlS1K_E_NS1_11comp_targetILNS1_3genE3ELNS1_11target_archE908ELNS1_3gpuE7ELNS1_3repE0EEENS1_30default_config_static_selectorELNS0_4arch9wavefront6targetE0EEEvSY_,comdat
	.globl	_ZN7rocprim17ROCPRIM_400000_NS6detail17trampoline_kernelINS0_13select_configILj256ELj13ELNS0_17block_load_methodE3ELS4_3ELS4_3ELNS0_20block_scan_algorithmE0ELj4294967295EEENS1_25partition_config_selectorILNS1_17partition_subalgoE3EjNS0_10empty_typeEbEEZZNS1_14partition_implILS8_3ELb0ES6_jNS0_17counting_iteratorIjlEEPS9_SE_NS0_5tupleIJPjSE_EEENSF_IJSE_SE_EEES9_SG_JZNS1_25segmented_radix_sort_implINS0_14default_configELb1EPKhPhPKlPlN2at6native12_GLOBAL__N_18offset_tEEE10hipError_tPvRmT1_PNSt15iterator_traitsISY_E10value_typeET2_T3_PNSZ_IS14_E10value_typeET4_jRbjT5_S1A_jjP12ihipStream_tbEUljE_EEESV_SW_SX_S14_S18_S1A_T6_T7_T9_mT8_S1C_bDpT10_ENKUlT_T0_E_clISt17integral_constantIbLb0EES1P_EEDaS1K_S1L_EUlS1K_E_NS1_11comp_targetILNS1_3genE3ELNS1_11target_archE908ELNS1_3gpuE7ELNS1_3repE0EEENS1_30default_config_static_selectorELNS0_4arch9wavefront6targetE0EEEvSY_ ; -- Begin function _ZN7rocprim17ROCPRIM_400000_NS6detail17trampoline_kernelINS0_13select_configILj256ELj13ELNS0_17block_load_methodE3ELS4_3ELS4_3ELNS0_20block_scan_algorithmE0ELj4294967295EEENS1_25partition_config_selectorILNS1_17partition_subalgoE3EjNS0_10empty_typeEbEEZZNS1_14partition_implILS8_3ELb0ES6_jNS0_17counting_iteratorIjlEEPS9_SE_NS0_5tupleIJPjSE_EEENSF_IJSE_SE_EEES9_SG_JZNS1_25segmented_radix_sort_implINS0_14default_configELb1EPKhPhPKlPlN2at6native12_GLOBAL__N_18offset_tEEE10hipError_tPvRmT1_PNSt15iterator_traitsISY_E10value_typeET2_T3_PNSZ_IS14_E10value_typeET4_jRbjT5_S1A_jjP12ihipStream_tbEUljE_EEESV_SW_SX_S14_S18_S1A_T6_T7_T9_mT8_S1C_bDpT10_ENKUlT_T0_E_clISt17integral_constantIbLb0EES1P_EEDaS1K_S1L_EUlS1K_E_NS1_11comp_targetILNS1_3genE3ELNS1_11target_archE908ELNS1_3gpuE7ELNS1_3repE0EEENS1_30default_config_static_selectorELNS0_4arch9wavefront6targetE0EEEvSY_
	.p2align	8
	.type	_ZN7rocprim17ROCPRIM_400000_NS6detail17trampoline_kernelINS0_13select_configILj256ELj13ELNS0_17block_load_methodE3ELS4_3ELS4_3ELNS0_20block_scan_algorithmE0ELj4294967295EEENS1_25partition_config_selectorILNS1_17partition_subalgoE3EjNS0_10empty_typeEbEEZZNS1_14partition_implILS8_3ELb0ES6_jNS0_17counting_iteratorIjlEEPS9_SE_NS0_5tupleIJPjSE_EEENSF_IJSE_SE_EEES9_SG_JZNS1_25segmented_radix_sort_implINS0_14default_configELb1EPKhPhPKlPlN2at6native12_GLOBAL__N_18offset_tEEE10hipError_tPvRmT1_PNSt15iterator_traitsISY_E10value_typeET2_T3_PNSZ_IS14_E10value_typeET4_jRbjT5_S1A_jjP12ihipStream_tbEUljE_EEESV_SW_SX_S14_S18_S1A_T6_T7_T9_mT8_S1C_bDpT10_ENKUlT_T0_E_clISt17integral_constantIbLb0EES1P_EEDaS1K_S1L_EUlS1K_E_NS1_11comp_targetILNS1_3genE3ELNS1_11target_archE908ELNS1_3gpuE7ELNS1_3repE0EEENS1_30default_config_static_selectorELNS0_4arch9wavefront6targetE0EEEvSY_,@function
_ZN7rocprim17ROCPRIM_400000_NS6detail17trampoline_kernelINS0_13select_configILj256ELj13ELNS0_17block_load_methodE3ELS4_3ELS4_3ELNS0_20block_scan_algorithmE0ELj4294967295EEENS1_25partition_config_selectorILNS1_17partition_subalgoE3EjNS0_10empty_typeEbEEZZNS1_14partition_implILS8_3ELb0ES6_jNS0_17counting_iteratorIjlEEPS9_SE_NS0_5tupleIJPjSE_EEENSF_IJSE_SE_EEES9_SG_JZNS1_25segmented_radix_sort_implINS0_14default_configELb1EPKhPhPKlPlN2at6native12_GLOBAL__N_18offset_tEEE10hipError_tPvRmT1_PNSt15iterator_traitsISY_E10value_typeET2_T3_PNSZ_IS14_E10value_typeET4_jRbjT5_S1A_jjP12ihipStream_tbEUljE_EEESV_SW_SX_S14_S18_S1A_T6_T7_T9_mT8_S1C_bDpT10_ENKUlT_T0_E_clISt17integral_constantIbLb0EES1P_EEDaS1K_S1L_EUlS1K_E_NS1_11comp_targetILNS1_3genE3ELNS1_11target_archE908ELNS1_3gpuE7ELNS1_3repE0EEENS1_30default_config_static_selectorELNS0_4arch9wavefront6targetE0EEEvSY_: ; @_ZN7rocprim17ROCPRIM_400000_NS6detail17trampoline_kernelINS0_13select_configILj256ELj13ELNS0_17block_load_methodE3ELS4_3ELS4_3ELNS0_20block_scan_algorithmE0ELj4294967295EEENS1_25partition_config_selectorILNS1_17partition_subalgoE3EjNS0_10empty_typeEbEEZZNS1_14partition_implILS8_3ELb0ES6_jNS0_17counting_iteratorIjlEEPS9_SE_NS0_5tupleIJPjSE_EEENSF_IJSE_SE_EEES9_SG_JZNS1_25segmented_radix_sort_implINS0_14default_configELb1EPKhPhPKlPlN2at6native12_GLOBAL__N_18offset_tEEE10hipError_tPvRmT1_PNSt15iterator_traitsISY_E10value_typeET2_T3_PNSZ_IS14_E10value_typeET4_jRbjT5_S1A_jjP12ihipStream_tbEUljE_EEESV_SW_SX_S14_S18_S1A_T6_T7_T9_mT8_S1C_bDpT10_ENKUlT_T0_E_clISt17integral_constantIbLb0EES1P_EEDaS1K_S1L_EUlS1K_E_NS1_11comp_targetILNS1_3genE3ELNS1_11target_archE908ELNS1_3gpuE7ELNS1_3repE0EEENS1_30default_config_static_selectorELNS0_4arch9wavefront6targetE0EEEvSY_
; %bb.0:
	.section	.rodata,"a",@progbits
	.p2align	6, 0x0
	.amdhsa_kernel _ZN7rocprim17ROCPRIM_400000_NS6detail17trampoline_kernelINS0_13select_configILj256ELj13ELNS0_17block_load_methodE3ELS4_3ELS4_3ELNS0_20block_scan_algorithmE0ELj4294967295EEENS1_25partition_config_selectorILNS1_17partition_subalgoE3EjNS0_10empty_typeEbEEZZNS1_14partition_implILS8_3ELb0ES6_jNS0_17counting_iteratorIjlEEPS9_SE_NS0_5tupleIJPjSE_EEENSF_IJSE_SE_EEES9_SG_JZNS1_25segmented_radix_sort_implINS0_14default_configELb1EPKhPhPKlPlN2at6native12_GLOBAL__N_18offset_tEEE10hipError_tPvRmT1_PNSt15iterator_traitsISY_E10value_typeET2_T3_PNSZ_IS14_E10value_typeET4_jRbjT5_S1A_jjP12ihipStream_tbEUljE_EEESV_SW_SX_S14_S18_S1A_T6_T7_T9_mT8_S1C_bDpT10_ENKUlT_T0_E_clISt17integral_constantIbLb0EES1P_EEDaS1K_S1L_EUlS1K_E_NS1_11comp_targetILNS1_3genE3ELNS1_11target_archE908ELNS1_3gpuE7ELNS1_3repE0EEENS1_30default_config_static_selectorELNS0_4arch9wavefront6targetE0EEEvSY_
		.amdhsa_group_segment_fixed_size 0
		.amdhsa_private_segment_fixed_size 0
		.amdhsa_kernarg_size 144
		.amdhsa_user_sgpr_count 2
		.amdhsa_user_sgpr_dispatch_ptr 0
		.amdhsa_user_sgpr_queue_ptr 0
		.amdhsa_user_sgpr_kernarg_segment_ptr 1
		.amdhsa_user_sgpr_dispatch_id 0
		.amdhsa_user_sgpr_kernarg_preload_length 0
		.amdhsa_user_sgpr_kernarg_preload_offset 0
		.amdhsa_user_sgpr_private_segment_size 0
		.amdhsa_wavefront_size32 1
		.amdhsa_uses_dynamic_stack 0
		.amdhsa_enable_private_segment 0
		.amdhsa_system_sgpr_workgroup_id_x 1
		.amdhsa_system_sgpr_workgroup_id_y 0
		.amdhsa_system_sgpr_workgroup_id_z 0
		.amdhsa_system_sgpr_workgroup_info 0
		.amdhsa_system_vgpr_workitem_id 0
		.amdhsa_next_free_vgpr 1
		.amdhsa_next_free_sgpr 1
		.amdhsa_named_barrier_count 0
		.amdhsa_reserve_vcc 0
		.amdhsa_float_round_mode_32 0
		.amdhsa_float_round_mode_16_64 0
		.amdhsa_float_denorm_mode_32 3
		.amdhsa_float_denorm_mode_16_64 3
		.amdhsa_fp16_overflow 0
		.amdhsa_memory_ordered 1
		.amdhsa_forward_progress 1
		.amdhsa_inst_pref_size 0
		.amdhsa_round_robin_scheduling 0
		.amdhsa_exception_fp_ieee_invalid_op 0
		.amdhsa_exception_fp_denorm_src 0
		.amdhsa_exception_fp_ieee_div_zero 0
		.amdhsa_exception_fp_ieee_overflow 0
		.amdhsa_exception_fp_ieee_underflow 0
		.amdhsa_exception_fp_ieee_inexact 0
		.amdhsa_exception_int_div_zero 0
	.end_amdhsa_kernel
	.section	.text._ZN7rocprim17ROCPRIM_400000_NS6detail17trampoline_kernelINS0_13select_configILj256ELj13ELNS0_17block_load_methodE3ELS4_3ELS4_3ELNS0_20block_scan_algorithmE0ELj4294967295EEENS1_25partition_config_selectorILNS1_17partition_subalgoE3EjNS0_10empty_typeEbEEZZNS1_14partition_implILS8_3ELb0ES6_jNS0_17counting_iteratorIjlEEPS9_SE_NS0_5tupleIJPjSE_EEENSF_IJSE_SE_EEES9_SG_JZNS1_25segmented_radix_sort_implINS0_14default_configELb1EPKhPhPKlPlN2at6native12_GLOBAL__N_18offset_tEEE10hipError_tPvRmT1_PNSt15iterator_traitsISY_E10value_typeET2_T3_PNSZ_IS14_E10value_typeET4_jRbjT5_S1A_jjP12ihipStream_tbEUljE_EEESV_SW_SX_S14_S18_S1A_T6_T7_T9_mT8_S1C_bDpT10_ENKUlT_T0_E_clISt17integral_constantIbLb0EES1P_EEDaS1K_S1L_EUlS1K_E_NS1_11comp_targetILNS1_3genE3ELNS1_11target_archE908ELNS1_3gpuE7ELNS1_3repE0EEENS1_30default_config_static_selectorELNS0_4arch9wavefront6targetE0EEEvSY_,"axG",@progbits,_ZN7rocprim17ROCPRIM_400000_NS6detail17trampoline_kernelINS0_13select_configILj256ELj13ELNS0_17block_load_methodE3ELS4_3ELS4_3ELNS0_20block_scan_algorithmE0ELj4294967295EEENS1_25partition_config_selectorILNS1_17partition_subalgoE3EjNS0_10empty_typeEbEEZZNS1_14partition_implILS8_3ELb0ES6_jNS0_17counting_iteratorIjlEEPS9_SE_NS0_5tupleIJPjSE_EEENSF_IJSE_SE_EEES9_SG_JZNS1_25segmented_radix_sort_implINS0_14default_configELb1EPKhPhPKlPlN2at6native12_GLOBAL__N_18offset_tEEE10hipError_tPvRmT1_PNSt15iterator_traitsISY_E10value_typeET2_T3_PNSZ_IS14_E10value_typeET4_jRbjT5_S1A_jjP12ihipStream_tbEUljE_EEESV_SW_SX_S14_S18_S1A_T6_T7_T9_mT8_S1C_bDpT10_ENKUlT_T0_E_clISt17integral_constantIbLb0EES1P_EEDaS1K_S1L_EUlS1K_E_NS1_11comp_targetILNS1_3genE3ELNS1_11target_archE908ELNS1_3gpuE7ELNS1_3repE0EEENS1_30default_config_static_selectorELNS0_4arch9wavefront6targetE0EEEvSY_,comdat
.Lfunc_end51:
	.size	_ZN7rocprim17ROCPRIM_400000_NS6detail17trampoline_kernelINS0_13select_configILj256ELj13ELNS0_17block_load_methodE3ELS4_3ELS4_3ELNS0_20block_scan_algorithmE0ELj4294967295EEENS1_25partition_config_selectorILNS1_17partition_subalgoE3EjNS0_10empty_typeEbEEZZNS1_14partition_implILS8_3ELb0ES6_jNS0_17counting_iteratorIjlEEPS9_SE_NS0_5tupleIJPjSE_EEENSF_IJSE_SE_EEES9_SG_JZNS1_25segmented_radix_sort_implINS0_14default_configELb1EPKhPhPKlPlN2at6native12_GLOBAL__N_18offset_tEEE10hipError_tPvRmT1_PNSt15iterator_traitsISY_E10value_typeET2_T3_PNSZ_IS14_E10value_typeET4_jRbjT5_S1A_jjP12ihipStream_tbEUljE_EEESV_SW_SX_S14_S18_S1A_T6_T7_T9_mT8_S1C_bDpT10_ENKUlT_T0_E_clISt17integral_constantIbLb0EES1P_EEDaS1K_S1L_EUlS1K_E_NS1_11comp_targetILNS1_3genE3ELNS1_11target_archE908ELNS1_3gpuE7ELNS1_3repE0EEENS1_30default_config_static_selectorELNS0_4arch9wavefront6targetE0EEEvSY_, .Lfunc_end51-_ZN7rocprim17ROCPRIM_400000_NS6detail17trampoline_kernelINS0_13select_configILj256ELj13ELNS0_17block_load_methodE3ELS4_3ELS4_3ELNS0_20block_scan_algorithmE0ELj4294967295EEENS1_25partition_config_selectorILNS1_17partition_subalgoE3EjNS0_10empty_typeEbEEZZNS1_14partition_implILS8_3ELb0ES6_jNS0_17counting_iteratorIjlEEPS9_SE_NS0_5tupleIJPjSE_EEENSF_IJSE_SE_EEES9_SG_JZNS1_25segmented_radix_sort_implINS0_14default_configELb1EPKhPhPKlPlN2at6native12_GLOBAL__N_18offset_tEEE10hipError_tPvRmT1_PNSt15iterator_traitsISY_E10value_typeET2_T3_PNSZ_IS14_E10value_typeET4_jRbjT5_S1A_jjP12ihipStream_tbEUljE_EEESV_SW_SX_S14_S18_S1A_T6_T7_T9_mT8_S1C_bDpT10_ENKUlT_T0_E_clISt17integral_constantIbLb0EES1P_EEDaS1K_S1L_EUlS1K_E_NS1_11comp_targetILNS1_3genE3ELNS1_11target_archE908ELNS1_3gpuE7ELNS1_3repE0EEENS1_30default_config_static_selectorELNS0_4arch9wavefront6targetE0EEEvSY_
                                        ; -- End function
	.set _ZN7rocprim17ROCPRIM_400000_NS6detail17trampoline_kernelINS0_13select_configILj256ELj13ELNS0_17block_load_methodE3ELS4_3ELS4_3ELNS0_20block_scan_algorithmE0ELj4294967295EEENS1_25partition_config_selectorILNS1_17partition_subalgoE3EjNS0_10empty_typeEbEEZZNS1_14partition_implILS8_3ELb0ES6_jNS0_17counting_iteratorIjlEEPS9_SE_NS0_5tupleIJPjSE_EEENSF_IJSE_SE_EEES9_SG_JZNS1_25segmented_radix_sort_implINS0_14default_configELb1EPKhPhPKlPlN2at6native12_GLOBAL__N_18offset_tEEE10hipError_tPvRmT1_PNSt15iterator_traitsISY_E10value_typeET2_T3_PNSZ_IS14_E10value_typeET4_jRbjT5_S1A_jjP12ihipStream_tbEUljE_EEESV_SW_SX_S14_S18_S1A_T6_T7_T9_mT8_S1C_bDpT10_ENKUlT_T0_E_clISt17integral_constantIbLb0EES1P_EEDaS1K_S1L_EUlS1K_E_NS1_11comp_targetILNS1_3genE3ELNS1_11target_archE908ELNS1_3gpuE7ELNS1_3repE0EEENS1_30default_config_static_selectorELNS0_4arch9wavefront6targetE0EEEvSY_.num_vgpr, 0
	.set _ZN7rocprim17ROCPRIM_400000_NS6detail17trampoline_kernelINS0_13select_configILj256ELj13ELNS0_17block_load_methodE3ELS4_3ELS4_3ELNS0_20block_scan_algorithmE0ELj4294967295EEENS1_25partition_config_selectorILNS1_17partition_subalgoE3EjNS0_10empty_typeEbEEZZNS1_14partition_implILS8_3ELb0ES6_jNS0_17counting_iteratorIjlEEPS9_SE_NS0_5tupleIJPjSE_EEENSF_IJSE_SE_EEES9_SG_JZNS1_25segmented_radix_sort_implINS0_14default_configELb1EPKhPhPKlPlN2at6native12_GLOBAL__N_18offset_tEEE10hipError_tPvRmT1_PNSt15iterator_traitsISY_E10value_typeET2_T3_PNSZ_IS14_E10value_typeET4_jRbjT5_S1A_jjP12ihipStream_tbEUljE_EEESV_SW_SX_S14_S18_S1A_T6_T7_T9_mT8_S1C_bDpT10_ENKUlT_T0_E_clISt17integral_constantIbLb0EES1P_EEDaS1K_S1L_EUlS1K_E_NS1_11comp_targetILNS1_3genE3ELNS1_11target_archE908ELNS1_3gpuE7ELNS1_3repE0EEENS1_30default_config_static_selectorELNS0_4arch9wavefront6targetE0EEEvSY_.num_agpr, 0
	.set _ZN7rocprim17ROCPRIM_400000_NS6detail17trampoline_kernelINS0_13select_configILj256ELj13ELNS0_17block_load_methodE3ELS4_3ELS4_3ELNS0_20block_scan_algorithmE0ELj4294967295EEENS1_25partition_config_selectorILNS1_17partition_subalgoE3EjNS0_10empty_typeEbEEZZNS1_14partition_implILS8_3ELb0ES6_jNS0_17counting_iteratorIjlEEPS9_SE_NS0_5tupleIJPjSE_EEENSF_IJSE_SE_EEES9_SG_JZNS1_25segmented_radix_sort_implINS0_14default_configELb1EPKhPhPKlPlN2at6native12_GLOBAL__N_18offset_tEEE10hipError_tPvRmT1_PNSt15iterator_traitsISY_E10value_typeET2_T3_PNSZ_IS14_E10value_typeET4_jRbjT5_S1A_jjP12ihipStream_tbEUljE_EEESV_SW_SX_S14_S18_S1A_T6_T7_T9_mT8_S1C_bDpT10_ENKUlT_T0_E_clISt17integral_constantIbLb0EES1P_EEDaS1K_S1L_EUlS1K_E_NS1_11comp_targetILNS1_3genE3ELNS1_11target_archE908ELNS1_3gpuE7ELNS1_3repE0EEENS1_30default_config_static_selectorELNS0_4arch9wavefront6targetE0EEEvSY_.numbered_sgpr, 0
	.set _ZN7rocprim17ROCPRIM_400000_NS6detail17trampoline_kernelINS0_13select_configILj256ELj13ELNS0_17block_load_methodE3ELS4_3ELS4_3ELNS0_20block_scan_algorithmE0ELj4294967295EEENS1_25partition_config_selectorILNS1_17partition_subalgoE3EjNS0_10empty_typeEbEEZZNS1_14partition_implILS8_3ELb0ES6_jNS0_17counting_iteratorIjlEEPS9_SE_NS0_5tupleIJPjSE_EEENSF_IJSE_SE_EEES9_SG_JZNS1_25segmented_radix_sort_implINS0_14default_configELb1EPKhPhPKlPlN2at6native12_GLOBAL__N_18offset_tEEE10hipError_tPvRmT1_PNSt15iterator_traitsISY_E10value_typeET2_T3_PNSZ_IS14_E10value_typeET4_jRbjT5_S1A_jjP12ihipStream_tbEUljE_EEESV_SW_SX_S14_S18_S1A_T6_T7_T9_mT8_S1C_bDpT10_ENKUlT_T0_E_clISt17integral_constantIbLb0EES1P_EEDaS1K_S1L_EUlS1K_E_NS1_11comp_targetILNS1_3genE3ELNS1_11target_archE908ELNS1_3gpuE7ELNS1_3repE0EEENS1_30default_config_static_selectorELNS0_4arch9wavefront6targetE0EEEvSY_.num_named_barrier, 0
	.set _ZN7rocprim17ROCPRIM_400000_NS6detail17trampoline_kernelINS0_13select_configILj256ELj13ELNS0_17block_load_methodE3ELS4_3ELS4_3ELNS0_20block_scan_algorithmE0ELj4294967295EEENS1_25partition_config_selectorILNS1_17partition_subalgoE3EjNS0_10empty_typeEbEEZZNS1_14partition_implILS8_3ELb0ES6_jNS0_17counting_iteratorIjlEEPS9_SE_NS0_5tupleIJPjSE_EEENSF_IJSE_SE_EEES9_SG_JZNS1_25segmented_radix_sort_implINS0_14default_configELb1EPKhPhPKlPlN2at6native12_GLOBAL__N_18offset_tEEE10hipError_tPvRmT1_PNSt15iterator_traitsISY_E10value_typeET2_T3_PNSZ_IS14_E10value_typeET4_jRbjT5_S1A_jjP12ihipStream_tbEUljE_EEESV_SW_SX_S14_S18_S1A_T6_T7_T9_mT8_S1C_bDpT10_ENKUlT_T0_E_clISt17integral_constantIbLb0EES1P_EEDaS1K_S1L_EUlS1K_E_NS1_11comp_targetILNS1_3genE3ELNS1_11target_archE908ELNS1_3gpuE7ELNS1_3repE0EEENS1_30default_config_static_selectorELNS0_4arch9wavefront6targetE0EEEvSY_.private_seg_size, 0
	.set _ZN7rocprim17ROCPRIM_400000_NS6detail17trampoline_kernelINS0_13select_configILj256ELj13ELNS0_17block_load_methodE3ELS4_3ELS4_3ELNS0_20block_scan_algorithmE0ELj4294967295EEENS1_25partition_config_selectorILNS1_17partition_subalgoE3EjNS0_10empty_typeEbEEZZNS1_14partition_implILS8_3ELb0ES6_jNS0_17counting_iteratorIjlEEPS9_SE_NS0_5tupleIJPjSE_EEENSF_IJSE_SE_EEES9_SG_JZNS1_25segmented_radix_sort_implINS0_14default_configELb1EPKhPhPKlPlN2at6native12_GLOBAL__N_18offset_tEEE10hipError_tPvRmT1_PNSt15iterator_traitsISY_E10value_typeET2_T3_PNSZ_IS14_E10value_typeET4_jRbjT5_S1A_jjP12ihipStream_tbEUljE_EEESV_SW_SX_S14_S18_S1A_T6_T7_T9_mT8_S1C_bDpT10_ENKUlT_T0_E_clISt17integral_constantIbLb0EES1P_EEDaS1K_S1L_EUlS1K_E_NS1_11comp_targetILNS1_3genE3ELNS1_11target_archE908ELNS1_3gpuE7ELNS1_3repE0EEENS1_30default_config_static_selectorELNS0_4arch9wavefront6targetE0EEEvSY_.uses_vcc, 0
	.set _ZN7rocprim17ROCPRIM_400000_NS6detail17trampoline_kernelINS0_13select_configILj256ELj13ELNS0_17block_load_methodE3ELS4_3ELS4_3ELNS0_20block_scan_algorithmE0ELj4294967295EEENS1_25partition_config_selectorILNS1_17partition_subalgoE3EjNS0_10empty_typeEbEEZZNS1_14partition_implILS8_3ELb0ES6_jNS0_17counting_iteratorIjlEEPS9_SE_NS0_5tupleIJPjSE_EEENSF_IJSE_SE_EEES9_SG_JZNS1_25segmented_radix_sort_implINS0_14default_configELb1EPKhPhPKlPlN2at6native12_GLOBAL__N_18offset_tEEE10hipError_tPvRmT1_PNSt15iterator_traitsISY_E10value_typeET2_T3_PNSZ_IS14_E10value_typeET4_jRbjT5_S1A_jjP12ihipStream_tbEUljE_EEESV_SW_SX_S14_S18_S1A_T6_T7_T9_mT8_S1C_bDpT10_ENKUlT_T0_E_clISt17integral_constantIbLb0EES1P_EEDaS1K_S1L_EUlS1K_E_NS1_11comp_targetILNS1_3genE3ELNS1_11target_archE908ELNS1_3gpuE7ELNS1_3repE0EEENS1_30default_config_static_selectorELNS0_4arch9wavefront6targetE0EEEvSY_.uses_flat_scratch, 0
	.set _ZN7rocprim17ROCPRIM_400000_NS6detail17trampoline_kernelINS0_13select_configILj256ELj13ELNS0_17block_load_methodE3ELS4_3ELS4_3ELNS0_20block_scan_algorithmE0ELj4294967295EEENS1_25partition_config_selectorILNS1_17partition_subalgoE3EjNS0_10empty_typeEbEEZZNS1_14partition_implILS8_3ELb0ES6_jNS0_17counting_iteratorIjlEEPS9_SE_NS0_5tupleIJPjSE_EEENSF_IJSE_SE_EEES9_SG_JZNS1_25segmented_radix_sort_implINS0_14default_configELb1EPKhPhPKlPlN2at6native12_GLOBAL__N_18offset_tEEE10hipError_tPvRmT1_PNSt15iterator_traitsISY_E10value_typeET2_T3_PNSZ_IS14_E10value_typeET4_jRbjT5_S1A_jjP12ihipStream_tbEUljE_EEESV_SW_SX_S14_S18_S1A_T6_T7_T9_mT8_S1C_bDpT10_ENKUlT_T0_E_clISt17integral_constantIbLb0EES1P_EEDaS1K_S1L_EUlS1K_E_NS1_11comp_targetILNS1_3genE3ELNS1_11target_archE908ELNS1_3gpuE7ELNS1_3repE0EEENS1_30default_config_static_selectorELNS0_4arch9wavefront6targetE0EEEvSY_.has_dyn_sized_stack, 0
	.set _ZN7rocprim17ROCPRIM_400000_NS6detail17trampoline_kernelINS0_13select_configILj256ELj13ELNS0_17block_load_methodE3ELS4_3ELS4_3ELNS0_20block_scan_algorithmE0ELj4294967295EEENS1_25partition_config_selectorILNS1_17partition_subalgoE3EjNS0_10empty_typeEbEEZZNS1_14partition_implILS8_3ELb0ES6_jNS0_17counting_iteratorIjlEEPS9_SE_NS0_5tupleIJPjSE_EEENSF_IJSE_SE_EEES9_SG_JZNS1_25segmented_radix_sort_implINS0_14default_configELb1EPKhPhPKlPlN2at6native12_GLOBAL__N_18offset_tEEE10hipError_tPvRmT1_PNSt15iterator_traitsISY_E10value_typeET2_T3_PNSZ_IS14_E10value_typeET4_jRbjT5_S1A_jjP12ihipStream_tbEUljE_EEESV_SW_SX_S14_S18_S1A_T6_T7_T9_mT8_S1C_bDpT10_ENKUlT_T0_E_clISt17integral_constantIbLb0EES1P_EEDaS1K_S1L_EUlS1K_E_NS1_11comp_targetILNS1_3genE3ELNS1_11target_archE908ELNS1_3gpuE7ELNS1_3repE0EEENS1_30default_config_static_selectorELNS0_4arch9wavefront6targetE0EEEvSY_.has_recursion, 0
	.set _ZN7rocprim17ROCPRIM_400000_NS6detail17trampoline_kernelINS0_13select_configILj256ELj13ELNS0_17block_load_methodE3ELS4_3ELS4_3ELNS0_20block_scan_algorithmE0ELj4294967295EEENS1_25partition_config_selectorILNS1_17partition_subalgoE3EjNS0_10empty_typeEbEEZZNS1_14partition_implILS8_3ELb0ES6_jNS0_17counting_iteratorIjlEEPS9_SE_NS0_5tupleIJPjSE_EEENSF_IJSE_SE_EEES9_SG_JZNS1_25segmented_radix_sort_implINS0_14default_configELb1EPKhPhPKlPlN2at6native12_GLOBAL__N_18offset_tEEE10hipError_tPvRmT1_PNSt15iterator_traitsISY_E10value_typeET2_T3_PNSZ_IS14_E10value_typeET4_jRbjT5_S1A_jjP12ihipStream_tbEUljE_EEESV_SW_SX_S14_S18_S1A_T6_T7_T9_mT8_S1C_bDpT10_ENKUlT_T0_E_clISt17integral_constantIbLb0EES1P_EEDaS1K_S1L_EUlS1K_E_NS1_11comp_targetILNS1_3genE3ELNS1_11target_archE908ELNS1_3gpuE7ELNS1_3repE0EEENS1_30default_config_static_selectorELNS0_4arch9wavefront6targetE0EEEvSY_.has_indirect_call, 0
	.section	.AMDGPU.csdata,"",@progbits
; Kernel info:
; codeLenInByte = 0
; TotalNumSgprs: 0
; NumVgprs: 0
; ScratchSize: 0
; MemoryBound: 0
; FloatMode: 240
; IeeeMode: 1
; LDSByteSize: 0 bytes/workgroup (compile time only)
; SGPRBlocks: 0
; VGPRBlocks: 0
; NumSGPRsForWavesPerEU: 1
; NumVGPRsForWavesPerEU: 1
; NamedBarCnt: 0
; Occupancy: 16
; WaveLimiterHint : 0
; COMPUTE_PGM_RSRC2:SCRATCH_EN: 0
; COMPUTE_PGM_RSRC2:USER_SGPR: 2
; COMPUTE_PGM_RSRC2:TRAP_HANDLER: 0
; COMPUTE_PGM_RSRC2:TGID_X_EN: 1
; COMPUTE_PGM_RSRC2:TGID_Y_EN: 0
; COMPUTE_PGM_RSRC2:TGID_Z_EN: 0
; COMPUTE_PGM_RSRC2:TIDIG_COMP_CNT: 0
	.section	.text._ZN7rocprim17ROCPRIM_400000_NS6detail17trampoline_kernelINS0_13select_configILj256ELj13ELNS0_17block_load_methodE3ELS4_3ELS4_3ELNS0_20block_scan_algorithmE0ELj4294967295EEENS1_25partition_config_selectorILNS1_17partition_subalgoE3EjNS0_10empty_typeEbEEZZNS1_14partition_implILS8_3ELb0ES6_jNS0_17counting_iteratorIjlEEPS9_SE_NS0_5tupleIJPjSE_EEENSF_IJSE_SE_EEES9_SG_JZNS1_25segmented_radix_sort_implINS0_14default_configELb1EPKhPhPKlPlN2at6native12_GLOBAL__N_18offset_tEEE10hipError_tPvRmT1_PNSt15iterator_traitsISY_E10value_typeET2_T3_PNSZ_IS14_E10value_typeET4_jRbjT5_S1A_jjP12ihipStream_tbEUljE_EEESV_SW_SX_S14_S18_S1A_T6_T7_T9_mT8_S1C_bDpT10_ENKUlT_T0_E_clISt17integral_constantIbLb0EES1P_EEDaS1K_S1L_EUlS1K_E_NS1_11comp_targetILNS1_3genE2ELNS1_11target_archE906ELNS1_3gpuE6ELNS1_3repE0EEENS1_30default_config_static_selectorELNS0_4arch9wavefront6targetE0EEEvSY_,"axG",@progbits,_ZN7rocprim17ROCPRIM_400000_NS6detail17trampoline_kernelINS0_13select_configILj256ELj13ELNS0_17block_load_methodE3ELS4_3ELS4_3ELNS0_20block_scan_algorithmE0ELj4294967295EEENS1_25partition_config_selectorILNS1_17partition_subalgoE3EjNS0_10empty_typeEbEEZZNS1_14partition_implILS8_3ELb0ES6_jNS0_17counting_iteratorIjlEEPS9_SE_NS0_5tupleIJPjSE_EEENSF_IJSE_SE_EEES9_SG_JZNS1_25segmented_radix_sort_implINS0_14default_configELb1EPKhPhPKlPlN2at6native12_GLOBAL__N_18offset_tEEE10hipError_tPvRmT1_PNSt15iterator_traitsISY_E10value_typeET2_T3_PNSZ_IS14_E10value_typeET4_jRbjT5_S1A_jjP12ihipStream_tbEUljE_EEESV_SW_SX_S14_S18_S1A_T6_T7_T9_mT8_S1C_bDpT10_ENKUlT_T0_E_clISt17integral_constantIbLb0EES1P_EEDaS1K_S1L_EUlS1K_E_NS1_11comp_targetILNS1_3genE2ELNS1_11target_archE906ELNS1_3gpuE6ELNS1_3repE0EEENS1_30default_config_static_selectorELNS0_4arch9wavefront6targetE0EEEvSY_,comdat
	.globl	_ZN7rocprim17ROCPRIM_400000_NS6detail17trampoline_kernelINS0_13select_configILj256ELj13ELNS0_17block_load_methodE3ELS4_3ELS4_3ELNS0_20block_scan_algorithmE0ELj4294967295EEENS1_25partition_config_selectorILNS1_17partition_subalgoE3EjNS0_10empty_typeEbEEZZNS1_14partition_implILS8_3ELb0ES6_jNS0_17counting_iteratorIjlEEPS9_SE_NS0_5tupleIJPjSE_EEENSF_IJSE_SE_EEES9_SG_JZNS1_25segmented_radix_sort_implINS0_14default_configELb1EPKhPhPKlPlN2at6native12_GLOBAL__N_18offset_tEEE10hipError_tPvRmT1_PNSt15iterator_traitsISY_E10value_typeET2_T3_PNSZ_IS14_E10value_typeET4_jRbjT5_S1A_jjP12ihipStream_tbEUljE_EEESV_SW_SX_S14_S18_S1A_T6_T7_T9_mT8_S1C_bDpT10_ENKUlT_T0_E_clISt17integral_constantIbLb0EES1P_EEDaS1K_S1L_EUlS1K_E_NS1_11comp_targetILNS1_3genE2ELNS1_11target_archE906ELNS1_3gpuE6ELNS1_3repE0EEENS1_30default_config_static_selectorELNS0_4arch9wavefront6targetE0EEEvSY_ ; -- Begin function _ZN7rocprim17ROCPRIM_400000_NS6detail17trampoline_kernelINS0_13select_configILj256ELj13ELNS0_17block_load_methodE3ELS4_3ELS4_3ELNS0_20block_scan_algorithmE0ELj4294967295EEENS1_25partition_config_selectorILNS1_17partition_subalgoE3EjNS0_10empty_typeEbEEZZNS1_14partition_implILS8_3ELb0ES6_jNS0_17counting_iteratorIjlEEPS9_SE_NS0_5tupleIJPjSE_EEENSF_IJSE_SE_EEES9_SG_JZNS1_25segmented_radix_sort_implINS0_14default_configELb1EPKhPhPKlPlN2at6native12_GLOBAL__N_18offset_tEEE10hipError_tPvRmT1_PNSt15iterator_traitsISY_E10value_typeET2_T3_PNSZ_IS14_E10value_typeET4_jRbjT5_S1A_jjP12ihipStream_tbEUljE_EEESV_SW_SX_S14_S18_S1A_T6_T7_T9_mT8_S1C_bDpT10_ENKUlT_T0_E_clISt17integral_constantIbLb0EES1P_EEDaS1K_S1L_EUlS1K_E_NS1_11comp_targetILNS1_3genE2ELNS1_11target_archE906ELNS1_3gpuE6ELNS1_3repE0EEENS1_30default_config_static_selectorELNS0_4arch9wavefront6targetE0EEEvSY_
	.p2align	8
	.type	_ZN7rocprim17ROCPRIM_400000_NS6detail17trampoline_kernelINS0_13select_configILj256ELj13ELNS0_17block_load_methodE3ELS4_3ELS4_3ELNS0_20block_scan_algorithmE0ELj4294967295EEENS1_25partition_config_selectorILNS1_17partition_subalgoE3EjNS0_10empty_typeEbEEZZNS1_14partition_implILS8_3ELb0ES6_jNS0_17counting_iteratorIjlEEPS9_SE_NS0_5tupleIJPjSE_EEENSF_IJSE_SE_EEES9_SG_JZNS1_25segmented_radix_sort_implINS0_14default_configELb1EPKhPhPKlPlN2at6native12_GLOBAL__N_18offset_tEEE10hipError_tPvRmT1_PNSt15iterator_traitsISY_E10value_typeET2_T3_PNSZ_IS14_E10value_typeET4_jRbjT5_S1A_jjP12ihipStream_tbEUljE_EEESV_SW_SX_S14_S18_S1A_T6_T7_T9_mT8_S1C_bDpT10_ENKUlT_T0_E_clISt17integral_constantIbLb0EES1P_EEDaS1K_S1L_EUlS1K_E_NS1_11comp_targetILNS1_3genE2ELNS1_11target_archE906ELNS1_3gpuE6ELNS1_3repE0EEENS1_30default_config_static_selectorELNS0_4arch9wavefront6targetE0EEEvSY_,@function
_ZN7rocprim17ROCPRIM_400000_NS6detail17trampoline_kernelINS0_13select_configILj256ELj13ELNS0_17block_load_methodE3ELS4_3ELS4_3ELNS0_20block_scan_algorithmE0ELj4294967295EEENS1_25partition_config_selectorILNS1_17partition_subalgoE3EjNS0_10empty_typeEbEEZZNS1_14partition_implILS8_3ELb0ES6_jNS0_17counting_iteratorIjlEEPS9_SE_NS0_5tupleIJPjSE_EEENSF_IJSE_SE_EEES9_SG_JZNS1_25segmented_radix_sort_implINS0_14default_configELb1EPKhPhPKlPlN2at6native12_GLOBAL__N_18offset_tEEE10hipError_tPvRmT1_PNSt15iterator_traitsISY_E10value_typeET2_T3_PNSZ_IS14_E10value_typeET4_jRbjT5_S1A_jjP12ihipStream_tbEUljE_EEESV_SW_SX_S14_S18_S1A_T6_T7_T9_mT8_S1C_bDpT10_ENKUlT_T0_E_clISt17integral_constantIbLb0EES1P_EEDaS1K_S1L_EUlS1K_E_NS1_11comp_targetILNS1_3genE2ELNS1_11target_archE906ELNS1_3gpuE6ELNS1_3repE0EEENS1_30default_config_static_selectorELNS0_4arch9wavefront6targetE0EEEvSY_: ; @_ZN7rocprim17ROCPRIM_400000_NS6detail17trampoline_kernelINS0_13select_configILj256ELj13ELNS0_17block_load_methodE3ELS4_3ELS4_3ELNS0_20block_scan_algorithmE0ELj4294967295EEENS1_25partition_config_selectorILNS1_17partition_subalgoE3EjNS0_10empty_typeEbEEZZNS1_14partition_implILS8_3ELb0ES6_jNS0_17counting_iteratorIjlEEPS9_SE_NS0_5tupleIJPjSE_EEENSF_IJSE_SE_EEES9_SG_JZNS1_25segmented_radix_sort_implINS0_14default_configELb1EPKhPhPKlPlN2at6native12_GLOBAL__N_18offset_tEEE10hipError_tPvRmT1_PNSt15iterator_traitsISY_E10value_typeET2_T3_PNSZ_IS14_E10value_typeET4_jRbjT5_S1A_jjP12ihipStream_tbEUljE_EEESV_SW_SX_S14_S18_S1A_T6_T7_T9_mT8_S1C_bDpT10_ENKUlT_T0_E_clISt17integral_constantIbLb0EES1P_EEDaS1K_S1L_EUlS1K_E_NS1_11comp_targetILNS1_3genE2ELNS1_11target_archE906ELNS1_3gpuE6ELNS1_3repE0EEENS1_30default_config_static_selectorELNS0_4arch9wavefront6targetE0EEEvSY_
; %bb.0:
	.section	.rodata,"a",@progbits
	.p2align	6, 0x0
	.amdhsa_kernel _ZN7rocprim17ROCPRIM_400000_NS6detail17trampoline_kernelINS0_13select_configILj256ELj13ELNS0_17block_load_methodE3ELS4_3ELS4_3ELNS0_20block_scan_algorithmE0ELj4294967295EEENS1_25partition_config_selectorILNS1_17partition_subalgoE3EjNS0_10empty_typeEbEEZZNS1_14partition_implILS8_3ELb0ES6_jNS0_17counting_iteratorIjlEEPS9_SE_NS0_5tupleIJPjSE_EEENSF_IJSE_SE_EEES9_SG_JZNS1_25segmented_radix_sort_implINS0_14default_configELb1EPKhPhPKlPlN2at6native12_GLOBAL__N_18offset_tEEE10hipError_tPvRmT1_PNSt15iterator_traitsISY_E10value_typeET2_T3_PNSZ_IS14_E10value_typeET4_jRbjT5_S1A_jjP12ihipStream_tbEUljE_EEESV_SW_SX_S14_S18_S1A_T6_T7_T9_mT8_S1C_bDpT10_ENKUlT_T0_E_clISt17integral_constantIbLb0EES1P_EEDaS1K_S1L_EUlS1K_E_NS1_11comp_targetILNS1_3genE2ELNS1_11target_archE906ELNS1_3gpuE6ELNS1_3repE0EEENS1_30default_config_static_selectorELNS0_4arch9wavefront6targetE0EEEvSY_
		.amdhsa_group_segment_fixed_size 0
		.amdhsa_private_segment_fixed_size 0
		.amdhsa_kernarg_size 144
		.amdhsa_user_sgpr_count 2
		.amdhsa_user_sgpr_dispatch_ptr 0
		.amdhsa_user_sgpr_queue_ptr 0
		.amdhsa_user_sgpr_kernarg_segment_ptr 1
		.amdhsa_user_sgpr_dispatch_id 0
		.amdhsa_user_sgpr_kernarg_preload_length 0
		.amdhsa_user_sgpr_kernarg_preload_offset 0
		.amdhsa_user_sgpr_private_segment_size 0
		.amdhsa_wavefront_size32 1
		.amdhsa_uses_dynamic_stack 0
		.amdhsa_enable_private_segment 0
		.amdhsa_system_sgpr_workgroup_id_x 1
		.amdhsa_system_sgpr_workgroup_id_y 0
		.amdhsa_system_sgpr_workgroup_id_z 0
		.amdhsa_system_sgpr_workgroup_info 0
		.amdhsa_system_vgpr_workitem_id 0
		.amdhsa_next_free_vgpr 1
		.amdhsa_next_free_sgpr 1
		.amdhsa_named_barrier_count 0
		.amdhsa_reserve_vcc 0
		.amdhsa_float_round_mode_32 0
		.amdhsa_float_round_mode_16_64 0
		.amdhsa_float_denorm_mode_32 3
		.amdhsa_float_denorm_mode_16_64 3
		.amdhsa_fp16_overflow 0
		.amdhsa_memory_ordered 1
		.amdhsa_forward_progress 1
		.amdhsa_inst_pref_size 0
		.amdhsa_round_robin_scheduling 0
		.amdhsa_exception_fp_ieee_invalid_op 0
		.amdhsa_exception_fp_denorm_src 0
		.amdhsa_exception_fp_ieee_div_zero 0
		.amdhsa_exception_fp_ieee_overflow 0
		.amdhsa_exception_fp_ieee_underflow 0
		.amdhsa_exception_fp_ieee_inexact 0
		.amdhsa_exception_int_div_zero 0
	.end_amdhsa_kernel
	.section	.text._ZN7rocprim17ROCPRIM_400000_NS6detail17trampoline_kernelINS0_13select_configILj256ELj13ELNS0_17block_load_methodE3ELS4_3ELS4_3ELNS0_20block_scan_algorithmE0ELj4294967295EEENS1_25partition_config_selectorILNS1_17partition_subalgoE3EjNS0_10empty_typeEbEEZZNS1_14partition_implILS8_3ELb0ES6_jNS0_17counting_iteratorIjlEEPS9_SE_NS0_5tupleIJPjSE_EEENSF_IJSE_SE_EEES9_SG_JZNS1_25segmented_radix_sort_implINS0_14default_configELb1EPKhPhPKlPlN2at6native12_GLOBAL__N_18offset_tEEE10hipError_tPvRmT1_PNSt15iterator_traitsISY_E10value_typeET2_T3_PNSZ_IS14_E10value_typeET4_jRbjT5_S1A_jjP12ihipStream_tbEUljE_EEESV_SW_SX_S14_S18_S1A_T6_T7_T9_mT8_S1C_bDpT10_ENKUlT_T0_E_clISt17integral_constantIbLb0EES1P_EEDaS1K_S1L_EUlS1K_E_NS1_11comp_targetILNS1_3genE2ELNS1_11target_archE906ELNS1_3gpuE6ELNS1_3repE0EEENS1_30default_config_static_selectorELNS0_4arch9wavefront6targetE0EEEvSY_,"axG",@progbits,_ZN7rocprim17ROCPRIM_400000_NS6detail17trampoline_kernelINS0_13select_configILj256ELj13ELNS0_17block_load_methodE3ELS4_3ELS4_3ELNS0_20block_scan_algorithmE0ELj4294967295EEENS1_25partition_config_selectorILNS1_17partition_subalgoE3EjNS0_10empty_typeEbEEZZNS1_14partition_implILS8_3ELb0ES6_jNS0_17counting_iteratorIjlEEPS9_SE_NS0_5tupleIJPjSE_EEENSF_IJSE_SE_EEES9_SG_JZNS1_25segmented_radix_sort_implINS0_14default_configELb1EPKhPhPKlPlN2at6native12_GLOBAL__N_18offset_tEEE10hipError_tPvRmT1_PNSt15iterator_traitsISY_E10value_typeET2_T3_PNSZ_IS14_E10value_typeET4_jRbjT5_S1A_jjP12ihipStream_tbEUljE_EEESV_SW_SX_S14_S18_S1A_T6_T7_T9_mT8_S1C_bDpT10_ENKUlT_T0_E_clISt17integral_constantIbLb0EES1P_EEDaS1K_S1L_EUlS1K_E_NS1_11comp_targetILNS1_3genE2ELNS1_11target_archE906ELNS1_3gpuE6ELNS1_3repE0EEENS1_30default_config_static_selectorELNS0_4arch9wavefront6targetE0EEEvSY_,comdat
.Lfunc_end52:
	.size	_ZN7rocprim17ROCPRIM_400000_NS6detail17trampoline_kernelINS0_13select_configILj256ELj13ELNS0_17block_load_methodE3ELS4_3ELS4_3ELNS0_20block_scan_algorithmE0ELj4294967295EEENS1_25partition_config_selectorILNS1_17partition_subalgoE3EjNS0_10empty_typeEbEEZZNS1_14partition_implILS8_3ELb0ES6_jNS0_17counting_iteratorIjlEEPS9_SE_NS0_5tupleIJPjSE_EEENSF_IJSE_SE_EEES9_SG_JZNS1_25segmented_radix_sort_implINS0_14default_configELb1EPKhPhPKlPlN2at6native12_GLOBAL__N_18offset_tEEE10hipError_tPvRmT1_PNSt15iterator_traitsISY_E10value_typeET2_T3_PNSZ_IS14_E10value_typeET4_jRbjT5_S1A_jjP12ihipStream_tbEUljE_EEESV_SW_SX_S14_S18_S1A_T6_T7_T9_mT8_S1C_bDpT10_ENKUlT_T0_E_clISt17integral_constantIbLb0EES1P_EEDaS1K_S1L_EUlS1K_E_NS1_11comp_targetILNS1_3genE2ELNS1_11target_archE906ELNS1_3gpuE6ELNS1_3repE0EEENS1_30default_config_static_selectorELNS0_4arch9wavefront6targetE0EEEvSY_, .Lfunc_end52-_ZN7rocprim17ROCPRIM_400000_NS6detail17trampoline_kernelINS0_13select_configILj256ELj13ELNS0_17block_load_methodE3ELS4_3ELS4_3ELNS0_20block_scan_algorithmE0ELj4294967295EEENS1_25partition_config_selectorILNS1_17partition_subalgoE3EjNS0_10empty_typeEbEEZZNS1_14partition_implILS8_3ELb0ES6_jNS0_17counting_iteratorIjlEEPS9_SE_NS0_5tupleIJPjSE_EEENSF_IJSE_SE_EEES9_SG_JZNS1_25segmented_radix_sort_implINS0_14default_configELb1EPKhPhPKlPlN2at6native12_GLOBAL__N_18offset_tEEE10hipError_tPvRmT1_PNSt15iterator_traitsISY_E10value_typeET2_T3_PNSZ_IS14_E10value_typeET4_jRbjT5_S1A_jjP12ihipStream_tbEUljE_EEESV_SW_SX_S14_S18_S1A_T6_T7_T9_mT8_S1C_bDpT10_ENKUlT_T0_E_clISt17integral_constantIbLb0EES1P_EEDaS1K_S1L_EUlS1K_E_NS1_11comp_targetILNS1_3genE2ELNS1_11target_archE906ELNS1_3gpuE6ELNS1_3repE0EEENS1_30default_config_static_selectorELNS0_4arch9wavefront6targetE0EEEvSY_
                                        ; -- End function
	.set _ZN7rocprim17ROCPRIM_400000_NS6detail17trampoline_kernelINS0_13select_configILj256ELj13ELNS0_17block_load_methodE3ELS4_3ELS4_3ELNS0_20block_scan_algorithmE0ELj4294967295EEENS1_25partition_config_selectorILNS1_17partition_subalgoE3EjNS0_10empty_typeEbEEZZNS1_14partition_implILS8_3ELb0ES6_jNS0_17counting_iteratorIjlEEPS9_SE_NS0_5tupleIJPjSE_EEENSF_IJSE_SE_EEES9_SG_JZNS1_25segmented_radix_sort_implINS0_14default_configELb1EPKhPhPKlPlN2at6native12_GLOBAL__N_18offset_tEEE10hipError_tPvRmT1_PNSt15iterator_traitsISY_E10value_typeET2_T3_PNSZ_IS14_E10value_typeET4_jRbjT5_S1A_jjP12ihipStream_tbEUljE_EEESV_SW_SX_S14_S18_S1A_T6_T7_T9_mT8_S1C_bDpT10_ENKUlT_T0_E_clISt17integral_constantIbLb0EES1P_EEDaS1K_S1L_EUlS1K_E_NS1_11comp_targetILNS1_3genE2ELNS1_11target_archE906ELNS1_3gpuE6ELNS1_3repE0EEENS1_30default_config_static_selectorELNS0_4arch9wavefront6targetE0EEEvSY_.num_vgpr, 0
	.set _ZN7rocprim17ROCPRIM_400000_NS6detail17trampoline_kernelINS0_13select_configILj256ELj13ELNS0_17block_load_methodE3ELS4_3ELS4_3ELNS0_20block_scan_algorithmE0ELj4294967295EEENS1_25partition_config_selectorILNS1_17partition_subalgoE3EjNS0_10empty_typeEbEEZZNS1_14partition_implILS8_3ELb0ES6_jNS0_17counting_iteratorIjlEEPS9_SE_NS0_5tupleIJPjSE_EEENSF_IJSE_SE_EEES9_SG_JZNS1_25segmented_radix_sort_implINS0_14default_configELb1EPKhPhPKlPlN2at6native12_GLOBAL__N_18offset_tEEE10hipError_tPvRmT1_PNSt15iterator_traitsISY_E10value_typeET2_T3_PNSZ_IS14_E10value_typeET4_jRbjT5_S1A_jjP12ihipStream_tbEUljE_EEESV_SW_SX_S14_S18_S1A_T6_T7_T9_mT8_S1C_bDpT10_ENKUlT_T0_E_clISt17integral_constantIbLb0EES1P_EEDaS1K_S1L_EUlS1K_E_NS1_11comp_targetILNS1_3genE2ELNS1_11target_archE906ELNS1_3gpuE6ELNS1_3repE0EEENS1_30default_config_static_selectorELNS0_4arch9wavefront6targetE0EEEvSY_.num_agpr, 0
	.set _ZN7rocprim17ROCPRIM_400000_NS6detail17trampoline_kernelINS0_13select_configILj256ELj13ELNS0_17block_load_methodE3ELS4_3ELS4_3ELNS0_20block_scan_algorithmE0ELj4294967295EEENS1_25partition_config_selectorILNS1_17partition_subalgoE3EjNS0_10empty_typeEbEEZZNS1_14partition_implILS8_3ELb0ES6_jNS0_17counting_iteratorIjlEEPS9_SE_NS0_5tupleIJPjSE_EEENSF_IJSE_SE_EEES9_SG_JZNS1_25segmented_radix_sort_implINS0_14default_configELb1EPKhPhPKlPlN2at6native12_GLOBAL__N_18offset_tEEE10hipError_tPvRmT1_PNSt15iterator_traitsISY_E10value_typeET2_T3_PNSZ_IS14_E10value_typeET4_jRbjT5_S1A_jjP12ihipStream_tbEUljE_EEESV_SW_SX_S14_S18_S1A_T6_T7_T9_mT8_S1C_bDpT10_ENKUlT_T0_E_clISt17integral_constantIbLb0EES1P_EEDaS1K_S1L_EUlS1K_E_NS1_11comp_targetILNS1_3genE2ELNS1_11target_archE906ELNS1_3gpuE6ELNS1_3repE0EEENS1_30default_config_static_selectorELNS0_4arch9wavefront6targetE0EEEvSY_.numbered_sgpr, 0
	.set _ZN7rocprim17ROCPRIM_400000_NS6detail17trampoline_kernelINS0_13select_configILj256ELj13ELNS0_17block_load_methodE3ELS4_3ELS4_3ELNS0_20block_scan_algorithmE0ELj4294967295EEENS1_25partition_config_selectorILNS1_17partition_subalgoE3EjNS0_10empty_typeEbEEZZNS1_14partition_implILS8_3ELb0ES6_jNS0_17counting_iteratorIjlEEPS9_SE_NS0_5tupleIJPjSE_EEENSF_IJSE_SE_EEES9_SG_JZNS1_25segmented_radix_sort_implINS0_14default_configELb1EPKhPhPKlPlN2at6native12_GLOBAL__N_18offset_tEEE10hipError_tPvRmT1_PNSt15iterator_traitsISY_E10value_typeET2_T3_PNSZ_IS14_E10value_typeET4_jRbjT5_S1A_jjP12ihipStream_tbEUljE_EEESV_SW_SX_S14_S18_S1A_T6_T7_T9_mT8_S1C_bDpT10_ENKUlT_T0_E_clISt17integral_constantIbLb0EES1P_EEDaS1K_S1L_EUlS1K_E_NS1_11comp_targetILNS1_3genE2ELNS1_11target_archE906ELNS1_3gpuE6ELNS1_3repE0EEENS1_30default_config_static_selectorELNS0_4arch9wavefront6targetE0EEEvSY_.num_named_barrier, 0
	.set _ZN7rocprim17ROCPRIM_400000_NS6detail17trampoline_kernelINS0_13select_configILj256ELj13ELNS0_17block_load_methodE3ELS4_3ELS4_3ELNS0_20block_scan_algorithmE0ELj4294967295EEENS1_25partition_config_selectorILNS1_17partition_subalgoE3EjNS0_10empty_typeEbEEZZNS1_14partition_implILS8_3ELb0ES6_jNS0_17counting_iteratorIjlEEPS9_SE_NS0_5tupleIJPjSE_EEENSF_IJSE_SE_EEES9_SG_JZNS1_25segmented_radix_sort_implINS0_14default_configELb1EPKhPhPKlPlN2at6native12_GLOBAL__N_18offset_tEEE10hipError_tPvRmT1_PNSt15iterator_traitsISY_E10value_typeET2_T3_PNSZ_IS14_E10value_typeET4_jRbjT5_S1A_jjP12ihipStream_tbEUljE_EEESV_SW_SX_S14_S18_S1A_T6_T7_T9_mT8_S1C_bDpT10_ENKUlT_T0_E_clISt17integral_constantIbLb0EES1P_EEDaS1K_S1L_EUlS1K_E_NS1_11comp_targetILNS1_3genE2ELNS1_11target_archE906ELNS1_3gpuE6ELNS1_3repE0EEENS1_30default_config_static_selectorELNS0_4arch9wavefront6targetE0EEEvSY_.private_seg_size, 0
	.set _ZN7rocprim17ROCPRIM_400000_NS6detail17trampoline_kernelINS0_13select_configILj256ELj13ELNS0_17block_load_methodE3ELS4_3ELS4_3ELNS0_20block_scan_algorithmE0ELj4294967295EEENS1_25partition_config_selectorILNS1_17partition_subalgoE3EjNS0_10empty_typeEbEEZZNS1_14partition_implILS8_3ELb0ES6_jNS0_17counting_iteratorIjlEEPS9_SE_NS0_5tupleIJPjSE_EEENSF_IJSE_SE_EEES9_SG_JZNS1_25segmented_radix_sort_implINS0_14default_configELb1EPKhPhPKlPlN2at6native12_GLOBAL__N_18offset_tEEE10hipError_tPvRmT1_PNSt15iterator_traitsISY_E10value_typeET2_T3_PNSZ_IS14_E10value_typeET4_jRbjT5_S1A_jjP12ihipStream_tbEUljE_EEESV_SW_SX_S14_S18_S1A_T6_T7_T9_mT8_S1C_bDpT10_ENKUlT_T0_E_clISt17integral_constantIbLb0EES1P_EEDaS1K_S1L_EUlS1K_E_NS1_11comp_targetILNS1_3genE2ELNS1_11target_archE906ELNS1_3gpuE6ELNS1_3repE0EEENS1_30default_config_static_selectorELNS0_4arch9wavefront6targetE0EEEvSY_.uses_vcc, 0
	.set _ZN7rocprim17ROCPRIM_400000_NS6detail17trampoline_kernelINS0_13select_configILj256ELj13ELNS0_17block_load_methodE3ELS4_3ELS4_3ELNS0_20block_scan_algorithmE0ELj4294967295EEENS1_25partition_config_selectorILNS1_17partition_subalgoE3EjNS0_10empty_typeEbEEZZNS1_14partition_implILS8_3ELb0ES6_jNS0_17counting_iteratorIjlEEPS9_SE_NS0_5tupleIJPjSE_EEENSF_IJSE_SE_EEES9_SG_JZNS1_25segmented_radix_sort_implINS0_14default_configELb1EPKhPhPKlPlN2at6native12_GLOBAL__N_18offset_tEEE10hipError_tPvRmT1_PNSt15iterator_traitsISY_E10value_typeET2_T3_PNSZ_IS14_E10value_typeET4_jRbjT5_S1A_jjP12ihipStream_tbEUljE_EEESV_SW_SX_S14_S18_S1A_T6_T7_T9_mT8_S1C_bDpT10_ENKUlT_T0_E_clISt17integral_constantIbLb0EES1P_EEDaS1K_S1L_EUlS1K_E_NS1_11comp_targetILNS1_3genE2ELNS1_11target_archE906ELNS1_3gpuE6ELNS1_3repE0EEENS1_30default_config_static_selectorELNS0_4arch9wavefront6targetE0EEEvSY_.uses_flat_scratch, 0
	.set _ZN7rocprim17ROCPRIM_400000_NS6detail17trampoline_kernelINS0_13select_configILj256ELj13ELNS0_17block_load_methodE3ELS4_3ELS4_3ELNS0_20block_scan_algorithmE0ELj4294967295EEENS1_25partition_config_selectorILNS1_17partition_subalgoE3EjNS0_10empty_typeEbEEZZNS1_14partition_implILS8_3ELb0ES6_jNS0_17counting_iteratorIjlEEPS9_SE_NS0_5tupleIJPjSE_EEENSF_IJSE_SE_EEES9_SG_JZNS1_25segmented_radix_sort_implINS0_14default_configELb1EPKhPhPKlPlN2at6native12_GLOBAL__N_18offset_tEEE10hipError_tPvRmT1_PNSt15iterator_traitsISY_E10value_typeET2_T3_PNSZ_IS14_E10value_typeET4_jRbjT5_S1A_jjP12ihipStream_tbEUljE_EEESV_SW_SX_S14_S18_S1A_T6_T7_T9_mT8_S1C_bDpT10_ENKUlT_T0_E_clISt17integral_constantIbLb0EES1P_EEDaS1K_S1L_EUlS1K_E_NS1_11comp_targetILNS1_3genE2ELNS1_11target_archE906ELNS1_3gpuE6ELNS1_3repE0EEENS1_30default_config_static_selectorELNS0_4arch9wavefront6targetE0EEEvSY_.has_dyn_sized_stack, 0
	.set _ZN7rocprim17ROCPRIM_400000_NS6detail17trampoline_kernelINS0_13select_configILj256ELj13ELNS0_17block_load_methodE3ELS4_3ELS4_3ELNS0_20block_scan_algorithmE0ELj4294967295EEENS1_25partition_config_selectorILNS1_17partition_subalgoE3EjNS0_10empty_typeEbEEZZNS1_14partition_implILS8_3ELb0ES6_jNS0_17counting_iteratorIjlEEPS9_SE_NS0_5tupleIJPjSE_EEENSF_IJSE_SE_EEES9_SG_JZNS1_25segmented_radix_sort_implINS0_14default_configELb1EPKhPhPKlPlN2at6native12_GLOBAL__N_18offset_tEEE10hipError_tPvRmT1_PNSt15iterator_traitsISY_E10value_typeET2_T3_PNSZ_IS14_E10value_typeET4_jRbjT5_S1A_jjP12ihipStream_tbEUljE_EEESV_SW_SX_S14_S18_S1A_T6_T7_T9_mT8_S1C_bDpT10_ENKUlT_T0_E_clISt17integral_constantIbLb0EES1P_EEDaS1K_S1L_EUlS1K_E_NS1_11comp_targetILNS1_3genE2ELNS1_11target_archE906ELNS1_3gpuE6ELNS1_3repE0EEENS1_30default_config_static_selectorELNS0_4arch9wavefront6targetE0EEEvSY_.has_recursion, 0
	.set _ZN7rocprim17ROCPRIM_400000_NS6detail17trampoline_kernelINS0_13select_configILj256ELj13ELNS0_17block_load_methodE3ELS4_3ELS4_3ELNS0_20block_scan_algorithmE0ELj4294967295EEENS1_25partition_config_selectorILNS1_17partition_subalgoE3EjNS0_10empty_typeEbEEZZNS1_14partition_implILS8_3ELb0ES6_jNS0_17counting_iteratorIjlEEPS9_SE_NS0_5tupleIJPjSE_EEENSF_IJSE_SE_EEES9_SG_JZNS1_25segmented_radix_sort_implINS0_14default_configELb1EPKhPhPKlPlN2at6native12_GLOBAL__N_18offset_tEEE10hipError_tPvRmT1_PNSt15iterator_traitsISY_E10value_typeET2_T3_PNSZ_IS14_E10value_typeET4_jRbjT5_S1A_jjP12ihipStream_tbEUljE_EEESV_SW_SX_S14_S18_S1A_T6_T7_T9_mT8_S1C_bDpT10_ENKUlT_T0_E_clISt17integral_constantIbLb0EES1P_EEDaS1K_S1L_EUlS1K_E_NS1_11comp_targetILNS1_3genE2ELNS1_11target_archE906ELNS1_3gpuE6ELNS1_3repE0EEENS1_30default_config_static_selectorELNS0_4arch9wavefront6targetE0EEEvSY_.has_indirect_call, 0
	.section	.AMDGPU.csdata,"",@progbits
; Kernel info:
; codeLenInByte = 0
; TotalNumSgprs: 0
; NumVgprs: 0
; ScratchSize: 0
; MemoryBound: 0
; FloatMode: 240
; IeeeMode: 1
; LDSByteSize: 0 bytes/workgroup (compile time only)
; SGPRBlocks: 0
; VGPRBlocks: 0
; NumSGPRsForWavesPerEU: 1
; NumVGPRsForWavesPerEU: 1
; NamedBarCnt: 0
; Occupancy: 16
; WaveLimiterHint : 0
; COMPUTE_PGM_RSRC2:SCRATCH_EN: 0
; COMPUTE_PGM_RSRC2:USER_SGPR: 2
; COMPUTE_PGM_RSRC2:TRAP_HANDLER: 0
; COMPUTE_PGM_RSRC2:TGID_X_EN: 1
; COMPUTE_PGM_RSRC2:TGID_Y_EN: 0
; COMPUTE_PGM_RSRC2:TGID_Z_EN: 0
; COMPUTE_PGM_RSRC2:TIDIG_COMP_CNT: 0
	.section	.text._ZN7rocprim17ROCPRIM_400000_NS6detail17trampoline_kernelINS0_13select_configILj256ELj13ELNS0_17block_load_methodE3ELS4_3ELS4_3ELNS0_20block_scan_algorithmE0ELj4294967295EEENS1_25partition_config_selectorILNS1_17partition_subalgoE3EjNS0_10empty_typeEbEEZZNS1_14partition_implILS8_3ELb0ES6_jNS0_17counting_iteratorIjlEEPS9_SE_NS0_5tupleIJPjSE_EEENSF_IJSE_SE_EEES9_SG_JZNS1_25segmented_radix_sort_implINS0_14default_configELb1EPKhPhPKlPlN2at6native12_GLOBAL__N_18offset_tEEE10hipError_tPvRmT1_PNSt15iterator_traitsISY_E10value_typeET2_T3_PNSZ_IS14_E10value_typeET4_jRbjT5_S1A_jjP12ihipStream_tbEUljE_EEESV_SW_SX_S14_S18_S1A_T6_T7_T9_mT8_S1C_bDpT10_ENKUlT_T0_E_clISt17integral_constantIbLb0EES1P_EEDaS1K_S1L_EUlS1K_E_NS1_11comp_targetILNS1_3genE10ELNS1_11target_archE1200ELNS1_3gpuE4ELNS1_3repE0EEENS1_30default_config_static_selectorELNS0_4arch9wavefront6targetE0EEEvSY_,"axG",@progbits,_ZN7rocprim17ROCPRIM_400000_NS6detail17trampoline_kernelINS0_13select_configILj256ELj13ELNS0_17block_load_methodE3ELS4_3ELS4_3ELNS0_20block_scan_algorithmE0ELj4294967295EEENS1_25partition_config_selectorILNS1_17partition_subalgoE3EjNS0_10empty_typeEbEEZZNS1_14partition_implILS8_3ELb0ES6_jNS0_17counting_iteratorIjlEEPS9_SE_NS0_5tupleIJPjSE_EEENSF_IJSE_SE_EEES9_SG_JZNS1_25segmented_radix_sort_implINS0_14default_configELb1EPKhPhPKlPlN2at6native12_GLOBAL__N_18offset_tEEE10hipError_tPvRmT1_PNSt15iterator_traitsISY_E10value_typeET2_T3_PNSZ_IS14_E10value_typeET4_jRbjT5_S1A_jjP12ihipStream_tbEUljE_EEESV_SW_SX_S14_S18_S1A_T6_T7_T9_mT8_S1C_bDpT10_ENKUlT_T0_E_clISt17integral_constantIbLb0EES1P_EEDaS1K_S1L_EUlS1K_E_NS1_11comp_targetILNS1_3genE10ELNS1_11target_archE1200ELNS1_3gpuE4ELNS1_3repE0EEENS1_30default_config_static_selectorELNS0_4arch9wavefront6targetE0EEEvSY_,comdat
	.globl	_ZN7rocprim17ROCPRIM_400000_NS6detail17trampoline_kernelINS0_13select_configILj256ELj13ELNS0_17block_load_methodE3ELS4_3ELS4_3ELNS0_20block_scan_algorithmE0ELj4294967295EEENS1_25partition_config_selectorILNS1_17partition_subalgoE3EjNS0_10empty_typeEbEEZZNS1_14partition_implILS8_3ELb0ES6_jNS0_17counting_iteratorIjlEEPS9_SE_NS0_5tupleIJPjSE_EEENSF_IJSE_SE_EEES9_SG_JZNS1_25segmented_radix_sort_implINS0_14default_configELb1EPKhPhPKlPlN2at6native12_GLOBAL__N_18offset_tEEE10hipError_tPvRmT1_PNSt15iterator_traitsISY_E10value_typeET2_T3_PNSZ_IS14_E10value_typeET4_jRbjT5_S1A_jjP12ihipStream_tbEUljE_EEESV_SW_SX_S14_S18_S1A_T6_T7_T9_mT8_S1C_bDpT10_ENKUlT_T0_E_clISt17integral_constantIbLb0EES1P_EEDaS1K_S1L_EUlS1K_E_NS1_11comp_targetILNS1_3genE10ELNS1_11target_archE1200ELNS1_3gpuE4ELNS1_3repE0EEENS1_30default_config_static_selectorELNS0_4arch9wavefront6targetE0EEEvSY_ ; -- Begin function _ZN7rocprim17ROCPRIM_400000_NS6detail17trampoline_kernelINS0_13select_configILj256ELj13ELNS0_17block_load_methodE3ELS4_3ELS4_3ELNS0_20block_scan_algorithmE0ELj4294967295EEENS1_25partition_config_selectorILNS1_17partition_subalgoE3EjNS0_10empty_typeEbEEZZNS1_14partition_implILS8_3ELb0ES6_jNS0_17counting_iteratorIjlEEPS9_SE_NS0_5tupleIJPjSE_EEENSF_IJSE_SE_EEES9_SG_JZNS1_25segmented_radix_sort_implINS0_14default_configELb1EPKhPhPKlPlN2at6native12_GLOBAL__N_18offset_tEEE10hipError_tPvRmT1_PNSt15iterator_traitsISY_E10value_typeET2_T3_PNSZ_IS14_E10value_typeET4_jRbjT5_S1A_jjP12ihipStream_tbEUljE_EEESV_SW_SX_S14_S18_S1A_T6_T7_T9_mT8_S1C_bDpT10_ENKUlT_T0_E_clISt17integral_constantIbLb0EES1P_EEDaS1K_S1L_EUlS1K_E_NS1_11comp_targetILNS1_3genE10ELNS1_11target_archE1200ELNS1_3gpuE4ELNS1_3repE0EEENS1_30default_config_static_selectorELNS0_4arch9wavefront6targetE0EEEvSY_
	.p2align	8
	.type	_ZN7rocprim17ROCPRIM_400000_NS6detail17trampoline_kernelINS0_13select_configILj256ELj13ELNS0_17block_load_methodE3ELS4_3ELS4_3ELNS0_20block_scan_algorithmE0ELj4294967295EEENS1_25partition_config_selectorILNS1_17partition_subalgoE3EjNS0_10empty_typeEbEEZZNS1_14partition_implILS8_3ELb0ES6_jNS0_17counting_iteratorIjlEEPS9_SE_NS0_5tupleIJPjSE_EEENSF_IJSE_SE_EEES9_SG_JZNS1_25segmented_radix_sort_implINS0_14default_configELb1EPKhPhPKlPlN2at6native12_GLOBAL__N_18offset_tEEE10hipError_tPvRmT1_PNSt15iterator_traitsISY_E10value_typeET2_T3_PNSZ_IS14_E10value_typeET4_jRbjT5_S1A_jjP12ihipStream_tbEUljE_EEESV_SW_SX_S14_S18_S1A_T6_T7_T9_mT8_S1C_bDpT10_ENKUlT_T0_E_clISt17integral_constantIbLb0EES1P_EEDaS1K_S1L_EUlS1K_E_NS1_11comp_targetILNS1_3genE10ELNS1_11target_archE1200ELNS1_3gpuE4ELNS1_3repE0EEENS1_30default_config_static_selectorELNS0_4arch9wavefront6targetE0EEEvSY_,@function
_ZN7rocprim17ROCPRIM_400000_NS6detail17trampoline_kernelINS0_13select_configILj256ELj13ELNS0_17block_load_methodE3ELS4_3ELS4_3ELNS0_20block_scan_algorithmE0ELj4294967295EEENS1_25partition_config_selectorILNS1_17partition_subalgoE3EjNS0_10empty_typeEbEEZZNS1_14partition_implILS8_3ELb0ES6_jNS0_17counting_iteratorIjlEEPS9_SE_NS0_5tupleIJPjSE_EEENSF_IJSE_SE_EEES9_SG_JZNS1_25segmented_radix_sort_implINS0_14default_configELb1EPKhPhPKlPlN2at6native12_GLOBAL__N_18offset_tEEE10hipError_tPvRmT1_PNSt15iterator_traitsISY_E10value_typeET2_T3_PNSZ_IS14_E10value_typeET4_jRbjT5_S1A_jjP12ihipStream_tbEUljE_EEESV_SW_SX_S14_S18_S1A_T6_T7_T9_mT8_S1C_bDpT10_ENKUlT_T0_E_clISt17integral_constantIbLb0EES1P_EEDaS1K_S1L_EUlS1K_E_NS1_11comp_targetILNS1_3genE10ELNS1_11target_archE1200ELNS1_3gpuE4ELNS1_3repE0EEENS1_30default_config_static_selectorELNS0_4arch9wavefront6targetE0EEEvSY_: ; @_ZN7rocprim17ROCPRIM_400000_NS6detail17trampoline_kernelINS0_13select_configILj256ELj13ELNS0_17block_load_methodE3ELS4_3ELS4_3ELNS0_20block_scan_algorithmE0ELj4294967295EEENS1_25partition_config_selectorILNS1_17partition_subalgoE3EjNS0_10empty_typeEbEEZZNS1_14partition_implILS8_3ELb0ES6_jNS0_17counting_iteratorIjlEEPS9_SE_NS0_5tupleIJPjSE_EEENSF_IJSE_SE_EEES9_SG_JZNS1_25segmented_radix_sort_implINS0_14default_configELb1EPKhPhPKlPlN2at6native12_GLOBAL__N_18offset_tEEE10hipError_tPvRmT1_PNSt15iterator_traitsISY_E10value_typeET2_T3_PNSZ_IS14_E10value_typeET4_jRbjT5_S1A_jjP12ihipStream_tbEUljE_EEESV_SW_SX_S14_S18_S1A_T6_T7_T9_mT8_S1C_bDpT10_ENKUlT_T0_E_clISt17integral_constantIbLb0EES1P_EEDaS1K_S1L_EUlS1K_E_NS1_11comp_targetILNS1_3genE10ELNS1_11target_archE1200ELNS1_3gpuE4ELNS1_3repE0EEENS1_30default_config_static_selectorELNS0_4arch9wavefront6targetE0EEEvSY_
; %bb.0:
	.section	.rodata,"a",@progbits
	.p2align	6, 0x0
	.amdhsa_kernel _ZN7rocprim17ROCPRIM_400000_NS6detail17trampoline_kernelINS0_13select_configILj256ELj13ELNS0_17block_load_methodE3ELS4_3ELS4_3ELNS0_20block_scan_algorithmE0ELj4294967295EEENS1_25partition_config_selectorILNS1_17partition_subalgoE3EjNS0_10empty_typeEbEEZZNS1_14partition_implILS8_3ELb0ES6_jNS0_17counting_iteratorIjlEEPS9_SE_NS0_5tupleIJPjSE_EEENSF_IJSE_SE_EEES9_SG_JZNS1_25segmented_radix_sort_implINS0_14default_configELb1EPKhPhPKlPlN2at6native12_GLOBAL__N_18offset_tEEE10hipError_tPvRmT1_PNSt15iterator_traitsISY_E10value_typeET2_T3_PNSZ_IS14_E10value_typeET4_jRbjT5_S1A_jjP12ihipStream_tbEUljE_EEESV_SW_SX_S14_S18_S1A_T6_T7_T9_mT8_S1C_bDpT10_ENKUlT_T0_E_clISt17integral_constantIbLb0EES1P_EEDaS1K_S1L_EUlS1K_E_NS1_11comp_targetILNS1_3genE10ELNS1_11target_archE1200ELNS1_3gpuE4ELNS1_3repE0EEENS1_30default_config_static_selectorELNS0_4arch9wavefront6targetE0EEEvSY_
		.amdhsa_group_segment_fixed_size 0
		.amdhsa_private_segment_fixed_size 0
		.amdhsa_kernarg_size 144
		.amdhsa_user_sgpr_count 2
		.amdhsa_user_sgpr_dispatch_ptr 0
		.amdhsa_user_sgpr_queue_ptr 0
		.amdhsa_user_sgpr_kernarg_segment_ptr 1
		.amdhsa_user_sgpr_dispatch_id 0
		.amdhsa_user_sgpr_kernarg_preload_length 0
		.amdhsa_user_sgpr_kernarg_preload_offset 0
		.amdhsa_user_sgpr_private_segment_size 0
		.amdhsa_wavefront_size32 1
		.amdhsa_uses_dynamic_stack 0
		.amdhsa_enable_private_segment 0
		.amdhsa_system_sgpr_workgroup_id_x 1
		.amdhsa_system_sgpr_workgroup_id_y 0
		.amdhsa_system_sgpr_workgroup_id_z 0
		.amdhsa_system_sgpr_workgroup_info 0
		.amdhsa_system_vgpr_workitem_id 0
		.amdhsa_next_free_vgpr 1
		.amdhsa_next_free_sgpr 1
		.amdhsa_named_barrier_count 0
		.amdhsa_reserve_vcc 0
		.amdhsa_float_round_mode_32 0
		.amdhsa_float_round_mode_16_64 0
		.amdhsa_float_denorm_mode_32 3
		.amdhsa_float_denorm_mode_16_64 3
		.amdhsa_fp16_overflow 0
		.amdhsa_memory_ordered 1
		.amdhsa_forward_progress 1
		.amdhsa_inst_pref_size 0
		.amdhsa_round_robin_scheduling 0
		.amdhsa_exception_fp_ieee_invalid_op 0
		.amdhsa_exception_fp_denorm_src 0
		.amdhsa_exception_fp_ieee_div_zero 0
		.amdhsa_exception_fp_ieee_overflow 0
		.amdhsa_exception_fp_ieee_underflow 0
		.amdhsa_exception_fp_ieee_inexact 0
		.amdhsa_exception_int_div_zero 0
	.end_amdhsa_kernel
	.section	.text._ZN7rocprim17ROCPRIM_400000_NS6detail17trampoline_kernelINS0_13select_configILj256ELj13ELNS0_17block_load_methodE3ELS4_3ELS4_3ELNS0_20block_scan_algorithmE0ELj4294967295EEENS1_25partition_config_selectorILNS1_17partition_subalgoE3EjNS0_10empty_typeEbEEZZNS1_14partition_implILS8_3ELb0ES6_jNS0_17counting_iteratorIjlEEPS9_SE_NS0_5tupleIJPjSE_EEENSF_IJSE_SE_EEES9_SG_JZNS1_25segmented_radix_sort_implINS0_14default_configELb1EPKhPhPKlPlN2at6native12_GLOBAL__N_18offset_tEEE10hipError_tPvRmT1_PNSt15iterator_traitsISY_E10value_typeET2_T3_PNSZ_IS14_E10value_typeET4_jRbjT5_S1A_jjP12ihipStream_tbEUljE_EEESV_SW_SX_S14_S18_S1A_T6_T7_T9_mT8_S1C_bDpT10_ENKUlT_T0_E_clISt17integral_constantIbLb0EES1P_EEDaS1K_S1L_EUlS1K_E_NS1_11comp_targetILNS1_3genE10ELNS1_11target_archE1200ELNS1_3gpuE4ELNS1_3repE0EEENS1_30default_config_static_selectorELNS0_4arch9wavefront6targetE0EEEvSY_,"axG",@progbits,_ZN7rocprim17ROCPRIM_400000_NS6detail17trampoline_kernelINS0_13select_configILj256ELj13ELNS0_17block_load_methodE3ELS4_3ELS4_3ELNS0_20block_scan_algorithmE0ELj4294967295EEENS1_25partition_config_selectorILNS1_17partition_subalgoE3EjNS0_10empty_typeEbEEZZNS1_14partition_implILS8_3ELb0ES6_jNS0_17counting_iteratorIjlEEPS9_SE_NS0_5tupleIJPjSE_EEENSF_IJSE_SE_EEES9_SG_JZNS1_25segmented_radix_sort_implINS0_14default_configELb1EPKhPhPKlPlN2at6native12_GLOBAL__N_18offset_tEEE10hipError_tPvRmT1_PNSt15iterator_traitsISY_E10value_typeET2_T3_PNSZ_IS14_E10value_typeET4_jRbjT5_S1A_jjP12ihipStream_tbEUljE_EEESV_SW_SX_S14_S18_S1A_T6_T7_T9_mT8_S1C_bDpT10_ENKUlT_T0_E_clISt17integral_constantIbLb0EES1P_EEDaS1K_S1L_EUlS1K_E_NS1_11comp_targetILNS1_3genE10ELNS1_11target_archE1200ELNS1_3gpuE4ELNS1_3repE0EEENS1_30default_config_static_selectorELNS0_4arch9wavefront6targetE0EEEvSY_,comdat
.Lfunc_end53:
	.size	_ZN7rocprim17ROCPRIM_400000_NS6detail17trampoline_kernelINS0_13select_configILj256ELj13ELNS0_17block_load_methodE3ELS4_3ELS4_3ELNS0_20block_scan_algorithmE0ELj4294967295EEENS1_25partition_config_selectorILNS1_17partition_subalgoE3EjNS0_10empty_typeEbEEZZNS1_14partition_implILS8_3ELb0ES6_jNS0_17counting_iteratorIjlEEPS9_SE_NS0_5tupleIJPjSE_EEENSF_IJSE_SE_EEES9_SG_JZNS1_25segmented_radix_sort_implINS0_14default_configELb1EPKhPhPKlPlN2at6native12_GLOBAL__N_18offset_tEEE10hipError_tPvRmT1_PNSt15iterator_traitsISY_E10value_typeET2_T3_PNSZ_IS14_E10value_typeET4_jRbjT5_S1A_jjP12ihipStream_tbEUljE_EEESV_SW_SX_S14_S18_S1A_T6_T7_T9_mT8_S1C_bDpT10_ENKUlT_T0_E_clISt17integral_constantIbLb0EES1P_EEDaS1K_S1L_EUlS1K_E_NS1_11comp_targetILNS1_3genE10ELNS1_11target_archE1200ELNS1_3gpuE4ELNS1_3repE0EEENS1_30default_config_static_selectorELNS0_4arch9wavefront6targetE0EEEvSY_, .Lfunc_end53-_ZN7rocprim17ROCPRIM_400000_NS6detail17trampoline_kernelINS0_13select_configILj256ELj13ELNS0_17block_load_methodE3ELS4_3ELS4_3ELNS0_20block_scan_algorithmE0ELj4294967295EEENS1_25partition_config_selectorILNS1_17partition_subalgoE3EjNS0_10empty_typeEbEEZZNS1_14partition_implILS8_3ELb0ES6_jNS0_17counting_iteratorIjlEEPS9_SE_NS0_5tupleIJPjSE_EEENSF_IJSE_SE_EEES9_SG_JZNS1_25segmented_radix_sort_implINS0_14default_configELb1EPKhPhPKlPlN2at6native12_GLOBAL__N_18offset_tEEE10hipError_tPvRmT1_PNSt15iterator_traitsISY_E10value_typeET2_T3_PNSZ_IS14_E10value_typeET4_jRbjT5_S1A_jjP12ihipStream_tbEUljE_EEESV_SW_SX_S14_S18_S1A_T6_T7_T9_mT8_S1C_bDpT10_ENKUlT_T0_E_clISt17integral_constantIbLb0EES1P_EEDaS1K_S1L_EUlS1K_E_NS1_11comp_targetILNS1_3genE10ELNS1_11target_archE1200ELNS1_3gpuE4ELNS1_3repE0EEENS1_30default_config_static_selectorELNS0_4arch9wavefront6targetE0EEEvSY_
                                        ; -- End function
	.set _ZN7rocprim17ROCPRIM_400000_NS6detail17trampoline_kernelINS0_13select_configILj256ELj13ELNS0_17block_load_methodE3ELS4_3ELS4_3ELNS0_20block_scan_algorithmE0ELj4294967295EEENS1_25partition_config_selectorILNS1_17partition_subalgoE3EjNS0_10empty_typeEbEEZZNS1_14partition_implILS8_3ELb0ES6_jNS0_17counting_iteratorIjlEEPS9_SE_NS0_5tupleIJPjSE_EEENSF_IJSE_SE_EEES9_SG_JZNS1_25segmented_radix_sort_implINS0_14default_configELb1EPKhPhPKlPlN2at6native12_GLOBAL__N_18offset_tEEE10hipError_tPvRmT1_PNSt15iterator_traitsISY_E10value_typeET2_T3_PNSZ_IS14_E10value_typeET4_jRbjT5_S1A_jjP12ihipStream_tbEUljE_EEESV_SW_SX_S14_S18_S1A_T6_T7_T9_mT8_S1C_bDpT10_ENKUlT_T0_E_clISt17integral_constantIbLb0EES1P_EEDaS1K_S1L_EUlS1K_E_NS1_11comp_targetILNS1_3genE10ELNS1_11target_archE1200ELNS1_3gpuE4ELNS1_3repE0EEENS1_30default_config_static_selectorELNS0_4arch9wavefront6targetE0EEEvSY_.num_vgpr, 0
	.set _ZN7rocprim17ROCPRIM_400000_NS6detail17trampoline_kernelINS0_13select_configILj256ELj13ELNS0_17block_load_methodE3ELS4_3ELS4_3ELNS0_20block_scan_algorithmE0ELj4294967295EEENS1_25partition_config_selectorILNS1_17partition_subalgoE3EjNS0_10empty_typeEbEEZZNS1_14partition_implILS8_3ELb0ES6_jNS0_17counting_iteratorIjlEEPS9_SE_NS0_5tupleIJPjSE_EEENSF_IJSE_SE_EEES9_SG_JZNS1_25segmented_radix_sort_implINS0_14default_configELb1EPKhPhPKlPlN2at6native12_GLOBAL__N_18offset_tEEE10hipError_tPvRmT1_PNSt15iterator_traitsISY_E10value_typeET2_T3_PNSZ_IS14_E10value_typeET4_jRbjT5_S1A_jjP12ihipStream_tbEUljE_EEESV_SW_SX_S14_S18_S1A_T6_T7_T9_mT8_S1C_bDpT10_ENKUlT_T0_E_clISt17integral_constantIbLb0EES1P_EEDaS1K_S1L_EUlS1K_E_NS1_11comp_targetILNS1_3genE10ELNS1_11target_archE1200ELNS1_3gpuE4ELNS1_3repE0EEENS1_30default_config_static_selectorELNS0_4arch9wavefront6targetE0EEEvSY_.num_agpr, 0
	.set _ZN7rocprim17ROCPRIM_400000_NS6detail17trampoline_kernelINS0_13select_configILj256ELj13ELNS0_17block_load_methodE3ELS4_3ELS4_3ELNS0_20block_scan_algorithmE0ELj4294967295EEENS1_25partition_config_selectorILNS1_17partition_subalgoE3EjNS0_10empty_typeEbEEZZNS1_14partition_implILS8_3ELb0ES6_jNS0_17counting_iteratorIjlEEPS9_SE_NS0_5tupleIJPjSE_EEENSF_IJSE_SE_EEES9_SG_JZNS1_25segmented_radix_sort_implINS0_14default_configELb1EPKhPhPKlPlN2at6native12_GLOBAL__N_18offset_tEEE10hipError_tPvRmT1_PNSt15iterator_traitsISY_E10value_typeET2_T3_PNSZ_IS14_E10value_typeET4_jRbjT5_S1A_jjP12ihipStream_tbEUljE_EEESV_SW_SX_S14_S18_S1A_T6_T7_T9_mT8_S1C_bDpT10_ENKUlT_T0_E_clISt17integral_constantIbLb0EES1P_EEDaS1K_S1L_EUlS1K_E_NS1_11comp_targetILNS1_3genE10ELNS1_11target_archE1200ELNS1_3gpuE4ELNS1_3repE0EEENS1_30default_config_static_selectorELNS0_4arch9wavefront6targetE0EEEvSY_.numbered_sgpr, 0
	.set _ZN7rocprim17ROCPRIM_400000_NS6detail17trampoline_kernelINS0_13select_configILj256ELj13ELNS0_17block_load_methodE3ELS4_3ELS4_3ELNS0_20block_scan_algorithmE0ELj4294967295EEENS1_25partition_config_selectorILNS1_17partition_subalgoE3EjNS0_10empty_typeEbEEZZNS1_14partition_implILS8_3ELb0ES6_jNS0_17counting_iteratorIjlEEPS9_SE_NS0_5tupleIJPjSE_EEENSF_IJSE_SE_EEES9_SG_JZNS1_25segmented_radix_sort_implINS0_14default_configELb1EPKhPhPKlPlN2at6native12_GLOBAL__N_18offset_tEEE10hipError_tPvRmT1_PNSt15iterator_traitsISY_E10value_typeET2_T3_PNSZ_IS14_E10value_typeET4_jRbjT5_S1A_jjP12ihipStream_tbEUljE_EEESV_SW_SX_S14_S18_S1A_T6_T7_T9_mT8_S1C_bDpT10_ENKUlT_T0_E_clISt17integral_constantIbLb0EES1P_EEDaS1K_S1L_EUlS1K_E_NS1_11comp_targetILNS1_3genE10ELNS1_11target_archE1200ELNS1_3gpuE4ELNS1_3repE0EEENS1_30default_config_static_selectorELNS0_4arch9wavefront6targetE0EEEvSY_.num_named_barrier, 0
	.set _ZN7rocprim17ROCPRIM_400000_NS6detail17trampoline_kernelINS0_13select_configILj256ELj13ELNS0_17block_load_methodE3ELS4_3ELS4_3ELNS0_20block_scan_algorithmE0ELj4294967295EEENS1_25partition_config_selectorILNS1_17partition_subalgoE3EjNS0_10empty_typeEbEEZZNS1_14partition_implILS8_3ELb0ES6_jNS0_17counting_iteratorIjlEEPS9_SE_NS0_5tupleIJPjSE_EEENSF_IJSE_SE_EEES9_SG_JZNS1_25segmented_radix_sort_implINS0_14default_configELb1EPKhPhPKlPlN2at6native12_GLOBAL__N_18offset_tEEE10hipError_tPvRmT1_PNSt15iterator_traitsISY_E10value_typeET2_T3_PNSZ_IS14_E10value_typeET4_jRbjT5_S1A_jjP12ihipStream_tbEUljE_EEESV_SW_SX_S14_S18_S1A_T6_T7_T9_mT8_S1C_bDpT10_ENKUlT_T0_E_clISt17integral_constantIbLb0EES1P_EEDaS1K_S1L_EUlS1K_E_NS1_11comp_targetILNS1_3genE10ELNS1_11target_archE1200ELNS1_3gpuE4ELNS1_3repE0EEENS1_30default_config_static_selectorELNS0_4arch9wavefront6targetE0EEEvSY_.private_seg_size, 0
	.set _ZN7rocprim17ROCPRIM_400000_NS6detail17trampoline_kernelINS0_13select_configILj256ELj13ELNS0_17block_load_methodE3ELS4_3ELS4_3ELNS0_20block_scan_algorithmE0ELj4294967295EEENS1_25partition_config_selectorILNS1_17partition_subalgoE3EjNS0_10empty_typeEbEEZZNS1_14partition_implILS8_3ELb0ES6_jNS0_17counting_iteratorIjlEEPS9_SE_NS0_5tupleIJPjSE_EEENSF_IJSE_SE_EEES9_SG_JZNS1_25segmented_radix_sort_implINS0_14default_configELb1EPKhPhPKlPlN2at6native12_GLOBAL__N_18offset_tEEE10hipError_tPvRmT1_PNSt15iterator_traitsISY_E10value_typeET2_T3_PNSZ_IS14_E10value_typeET4_jRbjT5_S1A_jjP12ihipStream_tbEUljE_EEESV_SW_SX_S14_S18_S1A_T6_T7_T9_mT8_S1C_bDpT10_ENKUlT_T0_E_clISt17integral_constantIbLb0EES1P_EEDaS1K_S1L_EUlS1K_E_NS1_11comp_targetILNS1_3genE10ELNS1_11target_archE1200ELNS1_3gpuE4ELNS1_3repE0EEENS1_30default_config_static_selectorELNS0_4arch9wavefront6targetE0EEEvSY_.uses_vcc, 0
	.set _ZN7rocprim17ROCPRIM_400000_NS6detail17trampoline_kernelINS0_13select_configILj256ELj13ELNS0_17block_load_methodE3ELS4_3ELS4_3ELNS0_20block_scan_algorithmE0ELj4294967295EEENS1_25partition_config_selectorILNS1_17partition_subalgoE3EjNS0_10empty_typeEbEEZZNS1_14partition_implILS8_3ELb0ES6_jNS0_17counting_iteratorIjlEEPS9_SE_NS0_5tupleIJPjSE_EEENSF_IJSE_SE_EEES9_SG_JZNS1_25segmented_radix_sort_implINS0_14default_configELb1EPKhPhPKlPlN2at6native12_GLOBAL__N_18offset_tEEE10hipError_tPvRmT1_PNSt15iterator_traitsISY_E10value_typeET2_T3_PNSZ_IS14_E10value_typeET4_jRbjT5_S1A_jjP12ihipStream_tbEUljE_EEESV_SW_SX_S14_S18_S1A_T6_T7_T9_mT8_S1C_bDpT10_ENKUlT_T0_E_clISt17integral_constantIbLb0EES1P_EEDaS1K_S1L_EUlS1K_E_NS1_11comp_targetILNS1_3genE10ELNS1_11target_archE1200ELNS1_3gpuE4ELNS1_3repE0EEENS1_30default_config_static_selectorELNS0_4arch9wavefront6targetE0EEEvSY_.uses_flat_scratch, 0
	.set _ZN7rocprim17ROCPRIM_400000_NS6detail17trampoline_kernelINS0_13select_configILj256ELj13ELNS0_17block_load_methodE3ELS4_3ELS4_3ELNS0_20block_scan_algorithmE0ELj4294967295EEENS1_25partition_config_selectorILNS1_17partition_subalgoE3EjNS0_10empty_typeEbEEZZNS1_14partition_implILS8_3ELb0ES6_jNS0_17counting_iteratorIjlEEPS9_SE_NS0_5tupleIJPjSE_EEENSF_IJSE_SE_EEES9_SG_JZNS1_25segmented_radix_sort_implINS0_14default_configELb1EPKhPhPKlPlN2at6native12_GLOBAL__N_18offset_tEEE10hipError_tPvRmT1_PNSt15iterator_traitsISY_E10value_typeET2_T3_PNSZ_IS14_E10value_typeET4_jRbjT5_S1A_jjP12ihipStream_tbEUljE_EEESV_SW_SX_S14_S18_S1A_T6_T7_T9_mT8_S1C_bDpT10_ENKUlT_T0_E_clISt17integral_constantIbLb0EES1P_EEDaS1K_S1L_EUlS1K_E_NS1_11comp_targetILNS1_3genE10ELNS1_11target_archE1200ELNS1_3gpuE4ELNS1_3repE0EEENS1_30default_config_static_selectorELNS0_4arch9wavefront6targetE0EEEvSY_.has_dyn_sized_stack, 0
	.set _ZN7rocprim17ROCPRIM_400000_NS6detail17trampoline_kernelINS0_13select_configILj256ELj13ELNS0_17block_load_methodE3ELS4_3ELS4_3ELNS0_20block_scan_algorithmE0ELj4294967295EEENS1_25partition_config_selectorILNS1_17partition_subalgoE3EjNS0_10empty_typeEbEEZZNS1_14partition_implILS8_3ELb0ES6_jNS0_17counting_iteratorIjlEEPS9_SE_NS0_5tupleIJPjSE_EEENSF_IJSE_SE_EEES9_SG_JZNS1_25segmented_radix_sort_implINS0_14default_configELb1EPKhPhPKlPlN2at6native12_GLOBAL__N_18offset_tEEE10hipError_tPvRmT1_PNSt15iterator_traitsISY_E10value_typeET2_T3_PNSZ_IS14_E10value_typeET4_jRbjT5_S1A_jjP12ihipStream_tbEUljE_EEESV_SW_SX_S14_S18_S1A_T6_T7_T9_mT8_S1C_bDpT10_ENKUlT_T0_E_clISt17integral_constantIbLb0EES1P_EEDaS1K_S1L_EUlS1K_E_NS1_11comp_targetILNS1_3genE10ELNS1_11target_archE1200ELNS1_3gpuE4ELNS1_3repE0EEENS1_30default_config_static_selectorELNS0_4arch9wavefront6targetE0EEEvSY_.has_recursion, 0
	.set _ZN7rocprim17ROCPRIM_400000_NS6detail17trampoline_kernelINS0_13select_configILj256ELj13ELNS0_17block_load_methodE3ELS4_3ELS4_3ELNS0_20block_scan_algorithmE0ELj4294967295EEENS1_25partition_config_selectorILNS1_17partition_subalgoE3EjNS0_10empty_typeEbEEZZNS1_14partition_implILS8_3ELb0ES6_jNS0_17counting_iteratorIjlEEPS9_SE_NS0_5tupleIJPjSE_EEENSF_IJSE_SE_EEES9_SG_JZNS1_25segmented_radix_sort_implINS0_14default_configELb1EPKhPhPKlPlN2at6native12_GLOBAL__N_18offset_tEEE10hipError_tPvRmT1_PNSt15iterator_traitsISY_E10value_typeET2_T3_PNSZ_IS14_E10value_typeET4_jRbjT5_S1A_jjP12ihipStream_tbEUljE_EEESV_SW_SX_S14_S18_S1A_T6_T7_T9_mT8_S1C_bDpT10_ENKUlT_T0_E_clISt17integral_constantIbLb0EES1P_EEDaS1K_S1L_EUlS1K_E_NS1_11comp_targetILNS1_3genE10ELNS1_11target_archE1200ELNS1_3gpuE4ELNS1_3repE0EEENS1_30default_config_static_selectorELNS0_4arch9wavefront6targetE0EEEvSY_.has_indirect_call, 0
	.section	.AMDGPU.csdata,"",@progbits
; Kernel info:
; codeLenInByte = 0
; TotalNumSgprs: 0
; NumVgprs: 0
; ScratchSize: 0
; MemoryBound: 0
; FloatMode: 240
; IeeeMode: 1
; LDSByteSize: 0 bytes/workgroup (compile time only)
; SGPRBlocks: 0
; VGPRBlocks: 0
; NumSGPRsForWavesPerEU: 1
; NumVGPRsForWavesPerEU: 1
; NamedBarCnt: 0
; Occupancy: 16
; WaveLimiterHint : 0
; COMPUTE_PGM_RSRC2:SCRATCH_EN: 0
; COMPUTE_PGM_RSRC2:USER_SGPR: 2
; COMPUTE_PGM_RSRC2:TRAP_HANDLER: 0
; COMPUTE_PGM_RSRC2:TGID_X_EN: 1
; COMPUTE_PGM_RSRC2:TGID_Y_EN: 0
; COMPUTE_PGM_RSRC2:TGID_Z_EN: 0
; COMPUTE_PGM_RSRC2:TIDIG_COMP_CNT: 0
	.section	.text._ZN7rocprim17ROCPRIM_400000_NS6detail17trampoline_kernelINS0_13select_configILj256ELj13ELNS0_17block_load_methodE3ELS4_3ELS4_3ELNS0_20block_scan_algorithmE0ELj4294967295EEENS1_25partition_config_selectorILNS1_17partition_subalgoE3EjNS0_10empty_typeEbEEZZNS1_14partition_implILS8_3ELb0ES6_jNS0_17counting_iteratorIjlEEPS9_SE_NS0_5tupleIJPjSE_EEENSF_IJSE_SE_EEES9_SG_JZNS1_25segmented_radix_sort_implINS0_14default_configELb1EPKhPhPKlPlN2at6native12_GLOBAL__N_18offset_tEEE10hipError_tPvRmT1_PNSt15iterator_traitsISY_E10value_typeET2_T3_PNSZ_IS14_E10value_typeET4_jRbjT5_S1A_jjP12ihipStream_tbEUljE_EEESV_SW_SX_S14_S18_S1A_T6_T7_T9_mT8_S1C_bDpT10_ENKUlT_T0_E_clISt17integral_constantIbLb0EES1P_EEDaS1K_S1L_EUlS1K_E_NS1_11comp_targetILNS1_3genE9ELNS1_11target_archE1100ELNS1_3gpuE3ELNS1_3repE0EEENS1_30default_config_static_selectorELNS0_4arch9wavefront6targetE0EEEvSY_,"axG",@progbits,_ZN7rocprim17ROCPRIM_400000_NS6detail17trampoline_kernelINS0_13select_configILj256ELj13ELNS0_17block_load_methodE3ELS4_3ELS4_3ELNS0_20block_scan_algorithmE0ELj4294967295EEENS1_25partition_config_selectorILNS1_17partition_subalgoE3EjNS0_10empty_typeEbEEZZNS1_14partition_implILS8_3ELb0ES6_jNS0_17counting_iteratorIjlEEPS9_SE_NS0_5tupleIJPjSE_EEENSF_IJSE_SE_EEES9_SG_JZNS1_25segmented_radix_sort_implINS0_14default_configELb1EPKhPhPKlPlN2at6native12_GLOBAL__N_18offset_tEEE10hipError_tPvRmT1_PNSt15iterator_traitsISY_E10value_typeET2_T3_PNSZ_IS14_E10value_typeET4_jRbjT5_S1A_jjP12ihipStream_tbEUljE_EEESV_SW_SX_S14_S18_S1A_T6_T7_T9_mT8_S1C_bDpT10_ENKUlT_T0_E_clISt17integral_constantIbLb0EES1P_EEDaS1K_S1L_EUlS1K_E_NS1_11comp_targetILNS1_3genE9ELNS1_11target_archE1100ELNS1_3gpuE3ELNS1_3repE0EEENS1_30default_config_static_selectorELNS0_4arch9wavefront6targetE0EEEvSY_,comdat
	.globl	_ZN7rocprim17ROCPRIM_400000_NS6detail17trampoline_kernelINS0_13select_configILj256ELj13ELNS0_17block_load_methodE3ELS4_3ELS4_3ELNS0_20block_scan_algorithmE0ELj4294967295EEENS1_25partition_config_selectorILNS1_17partition_subalgoE3EjNS0_10empty_typeEbEEZZNS1_14partition_implILS8_3ELb0ES6_jNS0_17counting_iteratorIjlEEPS9_SE_NS0_5tupleIJPjSE_EEENSF_IJSE_SE_EEES9_SG_JZNS1_25segmented_radix_sort_implINS0_14default_configELb1EPKhPhPKlPlN2at6native12_GLOBAL__N_18offset_tEEE10hipError_tPvRmT1_PNSt15iterator_traitsISY_E10value_typeET2_T3_PNSZ_IS14_E10value_typeET4_jRbjT5_S1A_jjP12ihipStream_tbEUljE_EEESV_SW_SX_S14_S18_S1A_T6_T7_T9_mT8_S1C_bDpT10_ENKUlT_T0_E_clISt17integral_constantIbLb0EES1P_EEDaS1K_S1L_EUlS1K_E_NS1_11comp_targetILNS1_3genE9ELNS1_11target_archE1100ELNS1_3gpuE3ELNS1_3repE0EEENS1_30default_config_static_selectorELNS0_4arch9wavefront6targetE0EEEvSY_ ; -- Begin function _ZN7rocprim17ROCPRIM_400000_NS6detail17trampoline_kernelINS0_13select_configILj256ELj13ELNS0_17block_load_methodE3ELS4_3ELS4_3ELNS0_20block_scan_algorithmE0ELj4294967295EEENS1_25partition_config_selectorILNS1_17partition_subalgoE3EjNS0_10empty_typeEbEEZZNS1_14partition_implILS8_3ELb0ES6_jNS0_17counting_iteratorIjlEEPS9_SE_NS0_5tupleIJPjSE_EEENSF_IJSE_SE_EEES9_SG_JZNS1_25segmented_radix_sort_implINS0_14default_configELb1EPKhPhPKlPlN2at6native12_GLOBAL__N_18offset_tEEE10hipError_tPvRmT1_PNSt15iterator_traitsISY_E10value_typeET2_T3_PNSZ_IS14_E10value_typeET4_jRbjT5_S1A_jjP12ihipStream_tbEUljE_EEESV_SW_SX_S14_S18_S1A_T6_T7_T9_mT8_S1C_bDpT10_ENKUlT_T0_E_clISt17integral_constantIbLb0EES1P_EEDaS1K_S1L_EUlS1K_E_NS1_11comp_targetILNS1_3genE9ELNS1_11target_archE1100ELNS1_3gpuE3ELNS1_3repE0EEENS1_30default_config_static_selectorELNS0_4arch9wavefront6targetE0EEEvSY_
	.p2align	8
	.type	_ZN7rocprim17ROCPRIM_400000_NS6detail17trampoline_kernelINS0_13select_configILj256ELj13ELNS0_17block_load_methodE3ELS4_3ELS4_3ELNS0_20block_scan_algorithmE0ELj4294967295EEENS1_25partition_config_selectorILNS1_17partition_subalgoE3EjNS0_10empty_typeEbEEZZNS1_14partition_implILS8_3ELb0ES6_jNS0_17counting_iteratorIjlEEPS9_SE_NS0_5tupleIJPjSE_EEENSF_IJSE_SE_EEES9_SG_JZNS1_25segmented_radix_sort_implINS0_14default_configELb1EPKhPhPKlPlN2at6native12_GLOBAL__N_18offset_tEEE10hipError_tPvRmT1_PNSt15iterator_traitsISY_E10value_typeET2_T3_PNSZ_IS14_E10value_typeET4_jRbjT5_S1A_jjP12ihipStream_tbEUljE_EEESV_SW_SX_S14_S18_S1A_T6_T7_T9_mT8_S1C_bDpT10_ENKUlT_T0_E_clISt17integral_constantIbLb0EES1P_EEDaS1K_S1L_EUlS1K_E_NS1_11comp_targetILNS1_3genE9ELNS1_11target_archE1100ELNS1_3gpuE3ELNS1_3repE0EEENS1_30default_config_static_selectorELNS0_4arch9wavefront6targetE0EEEvSY_,@function
_ZN7rocprim17ROCPRIM_400000_NS6detail17trampoline_kernelINS0_13select_configILj256ELj13ELNS0_17block_load_methodE3ELS4_3ELS4_3ELNS0_20block_scan_algorithmE0ELj4294967295EEENS1_25partition_config_selectorILNS1_17partition_subalgoE3EjNS0_10empty_typeEbEEZZNS1_14partition_implILS8_3ELb0ES6_jNS0_17counting_iteratorIjlEEPS9_SE_NS0_5tupleIJPjSE_EEENSF_IJSE_SE_EEES9_SG_JZNS1_25segmented_radix_sort_implINS0_14default_configELb1EPKhPhPKlPlN2at6native12_GLOBAL__N_18offset_tEEE10hipError_tPvRmT1_PNSt15iterator_traitsISY_E10value_typeET2_T3_PNSZ_IS14_E10value_typeET4_jRbjT5_S1A_jjP12ihipStream_tbEUljE_EEESV_SW_SX_S14_S18_S1A_T6_T7_T9_mT8_S1C_bDpT10_ENKUlT_T0_E_clISt17integral_constantIbLb0EES1P_EEDaS1K_S1L_EUlS1K_E_NS1_11comp_targetILNS1_3genE9ELNS1_11target_archE1100ELNS1_3gpuE3ELNS1_3repE0EEENS1_30default_config_static_selectorELNS0_4arch9wavefront6targetE0EEEvSY_: ; @_ZN7rocprim17ROCPRIM_400000_NS6detail17trampoline_kernelINS0_13select_configILj256ELj13ELNS0_17block_load_methodE3ELS4_3ELS4_3ELNS0_20block_scan_algorithmE0ELj4294967295EEENS1_25partition_config_selectorILNS1_17partition_subalgoE3EjNS0_10empty_typeEbEEZZNS1_14partition_implILS8_3ELb0ES6_jNS0_17counting_iteratorIjlEEPS9_SE_NS0_5tupleIJPjSE_EEENSF_IJSE_SE_EEES9_SG_JZNS1_25segmented_radix_sort_implINS0_14default_configELb1EPKhPhPKlPlN2at6native12_GLOBAL__N_18offset_tEEE10hipError_tPvRmT1_PNSt15iterator_traitsISY_E10value_typeET2_T3_PNSZ_IS14_E10value_typeET4_jRbjT5_S1A_jjP12ihipStream_tbEUljE_EEESV_SW_SX_S14_S18_S1A_T6_T7_T9_mT8_S1C_bDpT10_ENKUlT_T0_E_clISt17integral_constantIbLb0EES1P_EEDaS1K_S1L_EUlS1K_E_NS1_11comp_targetILNS1_3genE9ELNS1_11target_archE1100ELNS1_3gpuE3ELNS1_3repE0EEENS1_30default_config_static_selectorELNS0_4arch9wavefront6targetE0EEEvSY_
; %bb.0:
	.section	.rodata,"a",@progbits
	.p2align	6, 0x0
	.amdhsa_kernel _ZN7rocprim17ROCPRIM_400000_NS6detail17trampoline_kernelINS0_13select_configILj256ELj13ELNS0_17block_load_methodE3ELS4_3ELS4_3ELNS0_20block_scan_algorithmE0ELj4294967295EEENS1_25partition_config_selectorILNS1_17partition_subalgoE3EjNS0_10empty_typeEbEEZZNS1_14partition_implILS8_3ELb0ES6_jNS0_17counting_iteratorIjlEEPS9_SE_NS0_5tupleIJPjSE_EEENSF_IJSE_SE_EEES9_SG_JZNS1_25segmented_radix_sort_implINS0_14default_configELb1EPKhPhPKlPlN2at6native12_GLOBAL__N_18offset_tEEE10hipError_tPvRmT1_PNSt15iterator_traitsISY_E10value_typeET2_T3_PNSZ_IS14_E10value_typeET4_jRbjT5_S1A_jjP12ihipStream_tbEUljE_EEESV_SW_SX_S14_S18_S1A_T6_T7_T9_mT8_S1C_bDpT10_ENKUlT_T0_E_clISt17integral_constantIbLb0EES1P_EEDaS1K_S1L_EUlS1K_E_NS1_11comp_targetILNS1_3genE9ELNS1_11target_archE1100ELNS1_3gpuE3ELNS1_3repE0EEENS1_30default_config_static_selectorELNS0_4arch9wavefront6targetE0EEEvSY_
		.amdhsa_group_segment_fixed_size 0
		.amdhsa_private_segment_fixed_size 0
		.amdhsa_kernarg_size 144
		.amdhsa_user_sgpr_count 2
		.amdhsa_user_sgpr_dispatch_ptr 0
		.amdhsa_user_sgpr_queue_ptr 0
		.amdhsa_user_sgpr_kernarg_segment_ptr 1
		.amdhsa_user_sgpr_dispatch_id 0
		.amdhsa_user_sgpr_kernarg_preload_length 0
		.amdhsa_user_sgpr_kernarg_preload_offset 0
		.amdhsa_user_sgpr_private_segment_size 0
		.amdhsa_wavefront_size32 1
		.amdhsa_uses_dynamic_stack 0
		.amdhsa_enable_private_segment 0
		.amdhsa_system_sgpr_workgroup_id_x 1
		.amdhsa_system_sgpr_workgroup_id_y 0
		.amdhsa_system_sgpr_workgroup_id_z 0
		.amdhsa_system_sgpr_workgroup_info 0
		.amdhsa_system_vgpr_workitem_id 0
		.amdhsa_next_free_vgpr 1
		.amdhsa_next_free_sgpr 1
		.amdhsa_named_barrier_count 0
		.amdhsa_reserve_vcc 0
		.amdhsa_float_round_mode_32 0
		.amdhsa_float_round_mode_16_64 0
		.amdhsa_float_denorm_mode_32 3
		.amdhsa_float_denorm_mode_16_64 3
		.amdhsa_fp16_overflow 0
		.amdhsa_memory_ordered 1
		.amdhsa_forward_progress 1
		.amdhsa_inst_pref_size 0
		.amdhsa_round_robin_scheduling 0
		.amdhsa_exception_fp_ieee_invalid_op 0
		.amdhsa_exception_fp_denorm_src 0
		.amdhsa_exception_fp_ieee_div_zero 0
		.amdhsa_exception_fp_ieee_overflow 0
		.amdhsa_exception_fp_ieee_underflow 0
		.amdhsa_exception_fp_ieee_inexact 0
		.amdhsa_exception_int_div_zero 0
	.end_amdhsa_kernel
	.section	.text._ZN7rocprim17ROCPRIM_400000_NS6detail17trampoline_kernelINS0_13select_configILj256ELj13ELNS0_17block_load_methodE3ELS4_3ELS4_3ELNS0_20block_scan_algorithmE0ELj4294967295EEENS1_25partition_config_selectorILNS1_17partition_subalgoE3EjNS0_10empty_typeEbEEZZNS1_14partition_implILS8_3ELb0ES6_jNS0_17counting_iteratorIjlEEPS9_SE_NS0_5tupleIJPjSE_EEENSF_IJSE_SE_EEES9_SG_JZNS1_25segmented_radix_sort_implINS0_14default_configELb1EPKhPhPKlPlN2at6native12_GLOBAL__N_18offset_tEEE10hipError_tPvRmT1_PNSt15iterator_traitsISY_E10value_typeET2_T3_PNSZ_IS14_E10value_typeET4_jRbjT5_S1A_jjP12ihipStream_tbEUljE_EEESV_SW_SX_S14_S18_S1A_T6_T7_T9_mT8_S1C_bDpT10_ENKUlT_T0_E_clISt17integral_constantIbLb0EES1P_EEDaS1K_S1L_EUlS1K_E_NS1_11comp_targetILNS1_3genE9ELNS1_11target_archE1100ELNS1_3gpuE3ELNS1_3repE0EEENS1_30default_config_static_selectorELNS0_4arch9wavefront6targetE0EEEvSY_,"axG",@progbits,_ZN7rocprim17ROCPRIM_400000_NS6detail17trampoline_kernelINS0_13select_configILj256ELj13ELNS0_17block_load_methodE3ELS4_3ELS4_3ELNS0_20block_scan_algorithmE0ELj4294967295EEENS1_25partition_config_selectorILNS1_17partition_subalgoE3EjNS0_10empty_typeEbEEZZNS1_14partition_implILS8_3ELb0ES6_jNS0_17counting_iteratorIjlEEPS9_SE_NS0_5tupleIJPjSE_EEENSF_IJSE_SE_EEES9_SG_JZNS1_25segmented_radix_sort_implINS0_14default_configELb1EPKhPhPKlPlN2at6native12_GLOBAL__N_18offset_tEEE10hipError_tPvRmT1_PNSt15iterator_traitsISY_E10value_typeET2_T3_PNSZ_IS14_E10value_typeET4_jRbjT5_S1A_jjP12ihipStream_tbEUljE_EEESV_SW_SX_S14_S18_S1A_T6_T7_T9_mT8_S1C_bDpT10_ENKUlT_T0_E_clISt17integral_constantIbLb0EES1P_EEDaS1K_S1L_EUlS1K_E_NS1_11comp_targetILNS1_3genE9ELNS1_11target_archE1100ELNS1_3gpuE3ELNS1_3repE0EEENS1_30default_config_static_selectorELNS0_4arch9wavefront6targetE0EEEvSY_,comdat
.Lfunc_end54:
	.size	_ZN7rocprim17ROCPRIM_400000_NS6detail17trampoline_kernelINS0_13select_configILj256ELj13ELNS0_17block_load_methodE3ELS4_3ELS4_3ELNS0_20block_scan_algorithmE0ELj4294967295EEENS1_25partition_config_selectorILNS1_17partition_subalgoE3EjNS0_10empty_typeEbEEZZNS1_14partition_implILS8_3ELb0ES6_jNS0_17counting_iteratorIjlEEPS9_SE_NS0_5tupleIJPjSE_EEENSF_IJSE_SE_EEES9_SG_JZNS1_25segmented_radix_sort_implINS0_14default_configELb1EPKhPhPKlPlN2at6native12_GLOBAL__N_18offset_tEEE10hipError_tPvRmT1_PNSt15iterator_traitsISY_E10value_typeET2_T3_PNSZ_IS14_E10value_typeET4_jRbjT5_S1A_jjP12ihipStream_tbEUljE_EEESV_SW_SX_S14_S18_S1A_T6_T7_T9_mT8_S1C_bDpT10_ENKUlT_T0_E_clISt17integral_constantIbLb0EES1P_EEDaS1K_S1L_EUlS1K_E_NS1_11comp_targetILNS1_3genE9ELNS1_11target_archE1100ELNS1_3gpuE3ELNS1_3repE0EEENS1_30default_config_static_selectorELNS0_4arch9wavefront6targetE0EEEvSY_, .Lfunc_end54-_ZN7rocprim17ROCPRIM_400000_NS6detail17trampoline_kernelINS0_13select_configILj256ELj13ELNS0_17block_load_methodE3ELS4_3ELS4_3ELNS0_20block_scan_algorithmE0ELj4294967295EEENS1_25partition_config_selectorILNS1_17partition_subalgoE3EjNS0_10empty_typeEbEEZZNS1_14partition_implILS8_3ELb0ES6_jNS0_17counting_iteratorIjlEEPS9_SE_NS0_5tupleIJPjSE_EEENSF_IJSE_SE_EEES9_SG_JZNS1_25segmented_radix_sort_implINS0_14default_configELb1EPKhPhPKlPlN2at6native12_GLOBAL__N_18offset_tEEE10hipError_tPvRmT1_PNSt15iterator_traitsISY_E10value_typeET2_T3_PNSZ_IS14_E10value_typeET4_jRbjT5_S1A_jjP12ihipStream_tbEUljE_EEESV_SW_SX_S14_S18_S1A_T6_T7_T9_mT8_S1C_bDpT10_ENKUlT_T0_E_clISt17integral_constantIbLb0EES1P_EEDaS1K_S1L_EUlS1K_E_NS1_11comp_targetILNS1_3genE9ELNS1_11target_archE1100ELNS1_3gpuE3ELNS1_3repE0EEENS1_30default_config_static_selectorELNS0_4arch9wavefront6targetE0EEEvSY_
                                        ; -- End function
	.set _ZN7rocprim17ROCPRIM_400000_NS6detail17trampoline_kernelINS0_13select_configILj256ELj13ELNS0_17block_load_methodE3ELS4_3ELS4_3ELNS0_20block_scan_algorithmE0ELj4294967295EEENS1_25partition_config_selectorILNS1_17partition_subalgoE3EjNS0_10empty_typeEbEEZZNS1_14partition_implILS8_3ELb0ES6_jNS0_17counting_iteratorIjlEEPS9_SE_NS0_5tupleIJPjSE_EEENSF_IJSE_SE_EEES9_SG_JZNS1_25segmented_radix_sort_implINS0_14default_configELb1EPKhPhPKlPlN2at6native12_GLOBAL__N_18offset_tEEE10hipError_tPvRmT1_PNSt15iterator_traitsISY_E10value_typeET2_T3_PNSZ_IS14_E10value_typeET4_jRbjT5_S1A_jjP12ihipStream_tbEUljE_EEESV_SW_SX_S14_S18_S1A_T6_T7_T9_mT8_S1C_bDpT10_ENKUlT_T0_E_clISt17integral_constantIbLb0EES1P_EEDaS1K_S1L_EUlS1K_E_NS1_11comp_targetILNS1_3genE9ELNS1_11target_archE1100ELNS1_3gpuE3ELNS1_3repE0EEENS1_30default_config_static_selectorELNS0_4arch9wavefront6targetE0EEEvSY_.num_vgpr, 0
	.set _ZN7rocprim17ROCPRIM_400000_NS6detail17trampoline_kernelINS0_13select_configILj256ELj13ELNS0_17block_load_methodE3ELS4_3ELS4_3ELNS0_20block_scan_algorithmE0ELj4294967295EEENS1_25partition_config_selectorILNS1_17partition_subalgoE3EjNS0_10empty_typeEbEEZZNS1_14partition_implILS8_3ELb0ES6_jNS0_17counting_iteratorIjlEEPS9_SE_NS0_5tupleIJPjSE_EEENSF_IJSE_SE_EEES9_SG_JZNS1_25segmented_radix_sort_implINS0_14default_configELb1EPKhPhPKlPlN2at6native12_GLOBAL__N_18offset_tEEE10hipError_tPvRmT1_PNSt15iterator_traitsISY_E10value_typeET2_T3_PNSZ_IS14_E10value_typeET4_jRbjT5_S1A_jjP12ihipStream_tbEUljE_EEESV_SW_SX_S14_S18_S1A_T6_T7_T9_mT8_S1C_bDpT10_ENKUlT_T0_E_clISt17integral_constantIbLb0EES1P_EEDaS1K_S1L_EUlS1K_E_NS1_11comp_targetILNS1_3genE9ELNS1_11target_archE1100ELNS1_3gpuE3ELNS1_3repE0EEENS1_30default_config_static_selectorELNS0_4arch9wavefront6targetE0EEEvSY_.num_agpr, 0
	.set _ZN7rocprim17ROCPRIM_400000_NS6detail17trampoline_kernelINS0_13select_configILj256ELj13ELNS0_17block_load_methodE3ELS4_3ELS4_3ELNS0_20block_scan_algorithmE0ELj4294967295EEENS1_25partition_config_selectorILNS1_17partition_subalgoE3EjNS0_10empty_typeEbEEZZNS1_14partition_implILS8_3ELb0ES6_jNS0_17counting_iteratorIjlEEPS9_SE_NS0_5tupleIJPjSE_EEENSF_IJSE_SE_EEES9_SG_JZNS1_25segmented_radix_sort_implINS0_14default_configELb1EPKhPhPKlPlN2at6native12_GLOBAL__N_18offset_tEEE10hipError_tPvRmT1_PNSt15iterator_traitsISY_E10value_typeET2_T3_PNSZ_IS14_E10value_typeET4_jRbjT5_S1A_jjP12ihipStream_tbEUljE_EEESV_SW_SX_S14_S18_S1A_T6_T7_T9_mT8_S1C_bDpT10_ENKUlT_T0_E_clISt17integral_constantIbLb0EES1P_EEDaS1K_S1L_EUlS1K_E_NS1_11comp_targetILNS1_3genE9ELNS1_11target_archE1100ELNS1_3gpuE3ELNS1_3repE0EEENS1_30default_config_static_selectorELNS0_4arch9wavefront6targetE0EEEvSY_.numbered_sgpr, 0
	.set _ZN7rocprim17ROCPRIM_400000_NS6detail17trampoline_kernelINS0_13select_configILj256ELj13ELNS0_17block_load_methodE3ELS4_3ELS4_3ELNS0_20block_scan_algorithmE0ELj4294967295EEENS1_25partition_config_selectorILNS1_17partition_subalgoE3EjNS0_10empty_typeEbEEZZNS1_14partition_implILS8_3ELb0ES6_jNS0_17counting_iteratorIjlEEPS9_SE_NS0_5tupleIJPjSE_EEENSF_IJSE_SE_EEES9_SG_JZNS1_25segmented_radix_sort_implINS0_14default_configELb1EPKhPhPKlPlN2at6native12_GLOBAL__N_18offset_tEEE10hipError_tPvRmT1_PNSt15iterator_traitsISY_E10value_typeET2_T3_PNSZ_IS14_E10value_typeET4_jRbjT5_S1A_jjP12ihipStream_tbEUljE_EEESV_SW_SX_S14_S18_S1A_T6_T7_T9_mT8_S1C_bDpT10_ENKUlT_T0_E_clISt17integral_constantIbLb0EES1P_EEDaS1K_S1L_EUlS1K_E_NS1_11comp_targetILNS1_3genE9ELNS1_11target_archE1100ELNS1_3gpuE3ELNS1_3repE0EEENS1_30default_config_static_selectorELNS0_4arch9wavefront6targetE0EEEvSY_.num_named_barrier, 0
	.set _ZN7rocprim17ROCPRIM_400000_NS6detail17trampoline_kernelINS0_13select_configILj256ELj13ELNS0_17block_load_methodE3ELS4_3ELS4_3ELNS0_20block_scan_algorithmE0ELj4294967295EEENS1_25partition_config_selectorILNS1_17partition_subalgoE3EjNS0_10empty_typeEbEEZZNS1_14partition_implILS8_3ELb0ES6_jNS0_17counting_iteratorIjlEEPS9_SE_NS0_5tupleIJPjSE_EEENSF_IJSE_SE_EEES9_SG_JZNS1_25segmented_radix_sort_implINS0_14default_configELb1EPKhPhPKlPlN2at6native12_GLOBAL__N_18offset_tEEE10hipError_tPvRmT1_PNSt15iterator_traitsISY_E10value_typeET2_T3_PNSZ_IS14_E10value_typeET4_jRbjT5_S1A_jjP12ihipStream_tbEUljE_EEESV_SW_SX_S14_S18_S1A_T6_T7_T9_mT8_S1C_bDpT10_ENKUlT_T0_E_clISt17integral_constantIbLb0EES1P_EEDaS1K_S1L_EUlS1K_E_NS1_11comp_targetILNS1_3genE9ELNS1_11target_archE1100ELNS1_3gpuE3ELNS1_3repE0EEENS1_30default_config_static_selectorELNS0_4arch9wavefront6targetE0EEEvSY_.private_seg_size, 0
	.set _ZN7rocprim17ROCPRIM_400000_NS6detail17trampoline_kernelINS0_13select_configILj256ELj13ELNS0_17block_load_methodE3ELS4_3ELS4_3ELNS0_20block_scan_algorithmE0ELj4294967295EEENS1_25partition_config_selectorILNS1_17partition_subalgoE3EjNS0_10empty_typeEbEEZZNS1_14partition_implILS8_3ELb0ES6_jNS0_17counting_iteratorIjlEEPS9_SE_NS0_5tupleIJPjSE_EEENSF_IJSE_SE_EEES9_SG_JZNS1_25segmented_radix_sort_implINS0_14default_configELb1EPKhPhPKlPlN2at6native12_GLOBAL__N_18offset_tEEE10hipError_tPvRmT1_PNSt15iterator_traitsISY_E10value_typeET2_T3_PNSZ_IS14_E10value_typeET4_jRbjT5_S1A_jjP12ihipStream_tbEUljE_EEESV_SW_SX_S14_S18_S1A_T6_T7_T9_mT8_S1C_bDpT10_ENKUlT_T0_E_clISt17integral_constantIbLb0EES1P_EEDaS1K_S1L_EUlS1K_E_NS1_11comp_targetILNS1_3genE9ELNS1_11target_archE1100ELNS1_3gpuE3ELNS1_3repE0EEENS1_30default_config_static_selectorELNS0_4arch9wavefront6targetE0EEEvSY_.uses_vcc, 0
	.set _ZN7rocprim17ROCPRIM_400000_NS6detail17trampoline_kernelINS0_13select_configILj256ELj13ELNS0_17block_load_methodE3ELS4_3ELS4_3ELNS0_20block_scan_algorithmE0ELj4294967295EEENS1_25partition_config_selectorILNS1_17partition_subalgoE3EjNS0_10empty_typeEbEEZZNS1_14partition_implILS8_3ELb0ES6_jNS0_17counting_iteratorIjlEEPS9_SE_NS0_5tupleIJPjSE_EEENSF_IJSE_SE_EEES9_SG_JZNS1_25segmented_radix_sort_implINS0_14default_configELb1EPKhPhPKlPlN2at6native12_GLOBAL__N_18offset_tEEE10hipError_tPvRmT1_PNSt15iterator_traitsISY_E10value_typeET2_T3_PNSZ_IS14_E10value_typeET4_jRbjT5_S1A_jjP12ihipStream_tbEUljE_EEESV_SW_SX_S14_S18_S1A_T6_T7_T9_mT8_S1C_bDpT10_ENKUlT_T0_E_clISt17integral_constantIbLb0EES1P_EEDaS1K_S1L_EUlS1K_E_NS1_11comp_targetILNS1_3genE9ELNS1_11target_archE1100ELNS1_3gpuE3ELNS1_3repE0EEENS1_30default_config_static_selectorELNS0_4arch9wavefront6targetE0EEEvSY_.uses_flat_scratch, 0
	.set _ZN7rocprim17ROCPRIM_400000_NS6detail17trampoline_kernelINS0_13select_configILj256ELj13ELNS0_17block_load_methodE3ELS4_3ELS4_3ELNS0_20block_scan_algorithmE0ELj4294967295EEENS1_25partition_config_selectorILNS1_17partition_subalgoE3EjNS0_10empty_typeEbEEZZNS1_14partition_implILS8_3ELb0ES6_jNS0_17counting_iteratorIjlEEPS9_SE_NS0_5tupleIJPjSE_EEENSF_IJSE_SE_EEES9_SG_JZNS1_25segmented_radix_sort_implINS0_14default_configELb1EPKhPhPKlPlN2at6native12_GLOBAL__N_18offset_tEEE10hipError_tPvRmT1_PNSt15iterator_traitsISY_E10value_typeET2_T3_PNSZ_IS14_E10value_typeET4_jRbjT5_S1A_jjP12ihipStream_tbEUljE_EEESV_SW_SX_S14_S18_S1A_T6_T7_T9_mT8_S1C_bDpT10_ENKUlT_T0_E_clISt17integral_constantIbLb0EES1P_EEDaS1K_S1L_EUlS1K_E_NS1_11comp_targetILNS1_3genE9ELNS1_11target_archE1100ELNS1_3gpuE3ELNS1_3repE0EEENS1_30default_config_static_selectorELNS0_4arch9wavefront6targetE0EEEvSY_.has_dyn_sized_stack, 0
	.set _ZN7rocprim17ROCPRIM_400000_NS6detail17trampoline_kernelINS0_13select_configILj256ELj13ELNS0_17block_load_methodE3ELS4_3ELS4_3ELNS0_20block_scan_algorithmE0ELj4294967295EEENS1_25partition_config_selectorILNS1_17partition_subalgoE3EjNS0_10empty_typeEbEEZZNS1_14partition_implILS8_3ELb0ES6_jNS0_17counting_iteratorIjlEEPS9_SE_NS0_5tupleIJPjSE_EEENSF_IJSE_SE_EEES9_SG_JZNS1_25segmented_radix_sort_implINS0_14default_configELb1EPKhPhPKlPlN2at6native12_GLOBAL__N_18offset_tEEE10hipError_tPvRmT1_PNSt15iterator_traitsISY_E10value_typeET2_T3_PNSZ_IS14_E10value_typeET4_jRbjT5_S1A_jjP12ihipStream_tbEUljE_EEESV_SW_SX_S14_S18_S1A_T6_T7_T9_mT8_S1C_bDpT10_ENKUlT_T0_E_clISt17integral_constantIbLb0EES1P_EEDaS1K_S1L_EUlS1K_E_NS1_11comp_targetILNS1_3genE9ELNS1_11target_archE1100ELNS1_3gpuE3ELNS1_3repE0EEENS1_30default_config_static_selectorELNS0_4arch9wavefront6targetE0EEEvSY_.has_recursion, 0
	.set _ZN7rocprim17ROCPRIM_400000_NS6detail17trampoline_kernelINS0_13select_configILj256ELj13ELNS0_17block_load_methodE3ELS4_3ELS4_3ELNS0_20block_scan_algorithmE0ELj4294967295EEENS1_25partition_config_selectorILNS1_17partition_subalgoE3EjNS0_10empty_typeEbEEZZNS1_14partition_implILS8_3ELb0ES6_jNS0_17counting_iteratorIjlEEPS9_SE_NS0_5tupleIJPjSE_EEENSF_IJSE_SE_EEES9_SG_JZNS1_25segmented_radix_sort_implINS0_14default_configELb1EPKhPhPKlPlN2at6native12_GLOBAL__N_18offset_tEEE10hipError_tPvRmT1_PNSt15iterator_traitsISY_E10value_typeET2_T3_PNSZ_IS14_E10value_typeET4_jRbjT5_S1A_jjP12ihipStream_tbEUljE_EEESV_SW_SX_S14_S18_S1A_T6_T7_T9_mT8_S1C_bDpT10_ENKUlT_T0_E_clISt17integral_constantIbLb0EES1P_EEDaS1K_S1L_EUlS1K_E_NS1_11comp_targetILNS1_3genE9ELNS1_11target_archE1100ELNS1_3gpuE3ELNS1_3repE0EEENS1_30default_config_static_selectorELNS0_4arch9wavefront6targetE0EEEvSY_.has_indirect_call, 0
	.section	.AMDGPU.csdata,"",@progbits
; Kernel info:
; codeLenInByte = 0
; TotalNumSgprs: 0
; NumVgprs: 0
; ScratchSize: 0
; MemoryBound: 0
; FloatMode: 240
; IeeeMode: 1
; LDSByteSize: 0 bytes/workgroup (compile time only)
; SGPRBlocks: 0
; VGPRBlocks: 0
; NumSGPRsForWavesPerEU: 1
; NumVGPRsForWavesPerEU: 1
; NamedBarCnt: 0
; Occupancy: 16
; WaveLimiterHint : 0
; COMPUTE_PGM_RSRC2:SCRATCH_EN: 0
; COMPUTE_PGM_RSRC2:USER_SGPR: 2
; COMPUTE_PGM_RSRC2:TRAP_HANDLER: 0
; COMPUTE_PGM_RSRC2:TGID_X_EN: 1
; COMPUTE_PGM_RSRC2:TGID_Y_EN: 0
; COMPUTE_PGM_RSRC2:TGID_Z_EN: 0
; COMPUTE_PGM_RSRC2:TIDIG_COMP_CNT: 0
	.section	.text._ZN7rocprim17ROCPRIM_400000_NS6detail17trampoline_kernelINS0_13select_configILj256ELj13ELNS0_17block_load_methodE3ELS4_3ELS4_3ELNS0_20block_scan_algorithmE0ELj4294967295EEENS1_25partition_config_selectorILNS1_17partition_subalgoE3EjNS0_10empty_typeEbEEZZNS1_14partition_implILS8_3ELb0ES6_jNS0_17counting_iteratorIjlEEPS9_SE_NS0_5tupleIJPjSE_EEENSF_IJSE_SE_EEES9_SG_JZNS1_25segmented_radix_sort_implINS0_14default_configELb1EPKhPhPKlPlN2at6native12_GLOBAL__N_18offset_tEEE10hipError_tPvRmT1_PNSt15iterator_traitsISY_E10value_typeET2_T3_PNSZ_IS14_E10value_typeET4_jRbjT5_S1A_jjP12ihipStream_tbEUljE_EEESV_SW_SX_S14_S18_S1A_T6_T7_T9_mT8_S1C_bDpT10_ENKUlT_T0_E_clISt17integral_constantIbLb0EES1P_EEDaS1K_S1L_EUlS1K_E_NS1_11comp_targetILNS1_3genE8ELNS1_11target_archE1030ELNS1_3gpuE2ELNS1_3repE0EEENS1_30default_config_static_selectorELNS0_4arch9wavefront6targetE0EEEvSY_,"axG",@progbits,_ZN7rocprim17ROCPRIM_400000_NS6detail17trampoline_kernelINS0_13select_configILj256ELj13ELNS0_17block_load_methodE3ELS4_3ELS4_3ELNS0_20block_scan_algorithmE0ELj4294967295EEENS1_25partition_config_selectorILNS1_17partition_subalgoE3EjNS0_10empty_typeEbEEZZNS1_14partition_implILS8_3ELb0ES6_jNS0_17counting_iteratorIjlEEPS9_SE_NS0_5tupleIJPjSE_EEENSF_IJSE_SE_EEES9_SG_JZNS1_25segmented_radix_sort_implINS0_14default_configELb1EPKhPhPKlPlN2at6native12_GLOBAL__N_18offset_tEEE10hipError_tPvRmT1_PNSt15iterator_traitsISY_E10value_typeET2_T3_PNSZ_IS14_E10value_typeET4_jRbjT5_S1A_jjP12ihipStream_tbEUljE_EEESV_SW_SX_S14_S18_S1A_T6_T7_T9_mT8_S1C_bDpT10_ENKUlT_T0_E_clISt17integral_constantIbLb0EES1P_EEDaS1K_S1L_EUlS1K_E_NS1_11comp_targetILNS1_3genE8ELNS1_11target_archE1030ELNS1_3gpuE2ELNS1_3repE0EEENS1_30default_config_static_selectorELNS0_4arch9wavefront6targetE0EEEvSY_,comdat
	.globl	_ZN7rocprim17ROCPRIM_400000_NS6detail17trampoline_kernelINS0_13select_configILj256ELj13ELNS0_17block_load_methodE3ELS4_3ELS4_3ELNS0_20block_scan_algorithmE0ELj4294967295EEENS1_25partition_config_selectorILNS1_17partition_subalgoE3EjNS0_10empty_typeEbEEZZNS1_14partition_implILS8_3ELb0ES6_jNS0_17counting_iteratorIjlEEPS9_SE_NS0_5tupleIJPjSE_EEENSF_IJSE_SE_EEES9_SG_JZNS1_25segmented_radix_sort_implINS0_14default_configELb1EPKhPhPKlPlN2at6native12_GLOBAL__N_18offset_tEEE10hipError_tPvRmT1_PNSt15iterator_traitsISY_E10value_typeET2_T3_PNSZ_IS14_E10value_typeET4_jRbjT5_S1A_jjP12ihipStream_tbEUljE_EEESV_SW_SX_S14_S18_S1A_T6_T7_T9_mT8_S1C_bDpT10_ENKUlT_T0_E_clISt17integral_constantIbLb0EES1P_EEDaS1K_S1L_EUlS1K_E_NS1_11comp_targetILNS1_3genE8ELNS1_11target_archE1030ELNS1_3gpuE2ELNS1_3repE0EEENS1_30default_config_static_selectorELNS0_4arch9wavefront6targetE0EEEvSY_ ; -- Begin function _ZN7rocprim17ROCPRIM_400000_NS6detail17trampoline_kernelINS0_13select_configILj256ELj13ELNS0_17block_load_methodE3ELS4_3ELS4_3ELNS0_20block_scan_algorithmE0ELj4294967295EEENS1_25partition_config_selectorILNS1_17partition_subalgoE3EjNS0_10empty_typeEbEEZZNS1_14partition_implILS8_3ELb0ES6_jNS0_17counting_iteratorIjlEEPS9_SE_NS0_5tupleIJPjSE_EEENSF_IJSE_SE_EEES9_SG_JZNS1_25segmented_radix_sort_implINS0_14default_configELb1EPKhPhPKlPlN2at6native12_GLOBAL__N_18offset_tEEE10hipError_tPvRmT1_PNSt15iterator_traitsISY_E10value_typeET2_T3_PNSZ_IS14_E10value_typeET4_jRbjT5_S1A_jjP12ihipStream_tbEUljE_EEESV_SW_SX_S14_S18_S1A_T6_T7_T9_mT8_S1C_bDpT10_ENKUlT_T0_E_clISt17integral_constantIbLb0EES1P_EEDaS1K_S1L_EUlS1K_E_NS1_11comp_targetILNS1_3genE8ELNS1_11target_archE1030ELNS1_3gpuE2ELNS1_3repE0EEENS1_30default_config_static_selectorELNS0_4arch9wavefront6targetE0EEEvSY_
	.p2align	8
	.type	_ZN7rocprim17ROCPRIM_400000_NS6detail17trampoline_kernelINS0_13select_configILj256ELj13ELNS0_17block_load_methodE3ELS4_3ELS4_3ELNS0_20block_scan_algorithmE0ELj4294967295EEENS1_25partition_config_selectorILNS1_17partition_subalgoE3EjNS0_10empty_typeEbEEZZNS1_14partition_implILS8_3ELb0ES6_jNS0_17counting_iteratorIjlEEPS9_SE_NS0_5tupleIJPjSE_EEENSF_IJSE_SE_EEES9_SG_JZNS1_25segmented_radix_sort_implINS0_14default_configELb1EPKhPhPKlPlN2at6native12_GLOBAL__N_18offset_tEEE10hipError_tPvRmT1_PNSt15iterator_traitsISY_E10value_typeET2_T3_PNSZ_IS14_E10value_typeET4_jRbjT5_S1A_jjP12ihipStream_tbEUljE_EEESV_SW_SX_S14_S18_S1A_T6_T7_T9_mT8_S1C_bDpT10_ENKUlT_T0_E_clISt17integral_constantIbLb0EES1P_EEDaS1K_S1L_EUlS1K_E_NS1_11comp_targetILNS1_3genE8ELNS1_11target_archE1030ELNS1_3gpuE2ELNS1_3repE0EEENS1_30default_config_static_selectorELNS0_4arch9wavefront6targetE0EEEvSY_,@function
_ZN7rocprim17ROCPRIM_400000_NS6detail17trampoline_kernelINS0_13select_configILj256ELj13ELNS0_17block_load_methodE3ELS4_3ELS4_3ELNS0_20block_scan_algorithmE0ELj4294967295EEENS1_25partition_config_selectorILNS1_17partition_subalgoE3EjNS0_10empty_typeEbEEZZNS1_14partition_implILS8_3ELb0ES6_jNS0_17counting_iteratorIjlEEPS9_SE_NS0_5tupleIJPjSE_EEENSF_IJSE_SE_EEES9_SG_JZNS1_25segmented_radix_sort_implINS0_14default_configELb1EPKhPhPKlPlN2at6native12_GLOBAL__N_18offset_tEEE10hipError_tPvRmT1_PNSt15iterator_traitsISY_E10value_typeET2_T3_PNSZ_IS14_E10value_typeET4_jRbjT5_S1A_jjP12ihipStream_tbEUljE_EEESV_SW_SX_S14_S18_S1A_T6_T7_T9_mT8_S1C_bDpT10_ENKUlT_T0_E_clISt17integral_constantIbLb0EES1P_EEDaS1K_S1L_EUlS1K_E_NS1_11comp_targetILNS1_3genE8ELNS1_11target_archE1030ELNS1_3gpuE2ELNS1_3repE0EEENS1_30default_config_static_selectorELNS0_4arch9wavefront6targetE0EEEvSY_: ; @_ZN7rocprim17ROCPRIM_400000_NS6detail17trampoline_kernelINS0_13select_configILj256ELj13ELNS0_17block_load_methodE3ELS4_3ELS4_3ELNS0_20block_scan_algorithmE0ELj4294967295EEENS1_25partition_config_selectorILNS1_17partition_subalgoE3EjNS0_10empty_typeEbEEZZNS1_14partition_implILS8_3ELb0ES6_jNS0_17counting_iteratorIjlEEPS9_SE_NS0_5tupleIJPjSE_EEENSF_IJSE_SE_EEES9_SG_JZNS1_25segmented_radix_sort_implINS0_14default_configELb1EPKhPhPKlPlN2at6native12_GLOBAL__N_18offset_tEEE10hipError_tPvRmT1_PNSt15iterator_traitsISY_E10value_typeET2_T3_PNSZ_IS14_E10value_typeET4_jRbjT5_S1A_jjP12ihipStream_tbEUljE_EEESV_SW_SX_S14_S18_S1A_T6_T7_T9_mT8_S1C_bDpT10_ENKUlT_T0_E_clISt17integral_constantIbLb0EES1P_EEDaS1K_S1L_EUlS1K_E_NS1_11comp_targetILNS1_3genE8ELNS1_11target_archE1030ELNS1_3gpuE2ELNS1_3repE0EEENS1_30default_config_static_selectorELNS0_4arch9wavefront6targetE0EEEvSY_
; %bb.0:
	.section	.rodata,"a",@progbits
	.p2align	6, 0x0
	.amdhsa_kernel _ZN7rocprim17ROCPRIM_400000_NS6detail17trampoline_kernelINS0_13select_configILj256ELj13ELNS0_17block_load_methodE3ELS4_3ELS4_3ELNS0_20block_scan_algorithmE0ELj4294967295EEENS1_25partition_config_selectorILNS1_17partition_subalgoE3EjNS0_10empty_typeEbEEZZNS1_14partition_implILS8_3ELb0ES6_jNS0_17counting_iteratorIjlEEPS9_SE_NS0_5tupleIJPjSE_EEENSF_IJSE_SE_EEES9_SG_JZNS1_25segmented_radix_sort_implINS0_14default_configELb1EPKhPhPKlPlN2at6native12_GLOBAL__N_18offset_tEEE10hipError_tPvRmT1_PNSt15iterator_traitsISY_E10value_typeET2_T3_PNSZ_IS14_E10value_typeET4_jRbjT5_S1A_jjP12ihipStream_tbEUljE_EEESV_SW_SX_S14_S18_S1A_T6_T7_T9_mT8_S1C_bDpT10_ENKUlT_T0_E_clISt17integral_constantIbLb0EES1P_EEDaS1K_S1L_EUlS1K_E_NS1_11comp_targetILNS1_3genE8ELNS1_11target_archE1030ELNS1_3gpuE2ELNS1_3repE0EEENS1_30default_config_static_selectorELNS0_4arch9wavefront6targetE0EEEvSY_
		.amdhsa_group_segment_fixed_size 0
		.amdhsa_private_segment_fixed_size 0
		.amdhsa_kernarg_size 144
		.amdhsa_user_sgpr_count 2
		.amdhsa_user_sgpr_dispatch_ptr 0
		.amdhsa_user_sgpr_queue_ptr 0
		.amdhsa_user_sgpr_kernarg_segment_ptr 1
		.amdhsa_user_sgpr_dispatch_id 0
		.amdhsa_user_sgpr_kernarg_preload_length 0
		.amdhsa_user_sgpr_kernarg_preload_offset 0
		.amdhsa_user_sgpr_private_segment_size 0
		.amdhsa_wavefront_size32 1
		.amdhsa_uses_dynamic_stack 0
		.amdhsa_enable_private_segment 0
		.amdhsa_system_sgpr_workgroup_id_x 1
		.amdhsa_system_sgpr_workgroup_id_y 0
		.amdhsa_system_sgpr_workgroup_id_z 0
		.amdhsa_system_sgpr_workgroup_info 0
		.amdhsa_system_vgpr_workitem_id 0
		.amdhsa_next_free_vgpr 1
		.amdhsa_next_free_sgpr 1
		.amdhsa_named_barrier_count 0
		.amdhsa_reserve_vcc 0
		.amdhsa_float_round_mode_32 0
		.amdhsa_float_round_mode_16_64 0
		.amdhsa_float_denorm_mode_32 3
		.amdhsa_float_denorm_mode_16_64 3
		.amdhsa_fp16_overflow 0
		.amdhsa_memory_ordered 1
		.amdhsa_forward_progress 1
		.amdhsa_inst_pref_size 0
		.amdhsa_round_robin_scheduling 0
		.amdhsa_exception_fp_ieee_invalid_op 0
		.amdhsa_exception_fp_denorm_src 0
		.amdhsa_exception_fp_ieee_div_zero 0
		.amdhsa_exception_fp_ieee_overflow 0
		.amdhsa_exception_fp_ieee_underflow 0
		.amdhsa_exception_fp_ieee_inexact 0
		.amdhsa_exception_int_div_zero 0
	.end_amdhsa_kernel
	.section	.text._ZN7rocprim17ROCPRIM_400000_NS6detail17trampoline_kernelINS0_13select_configILj256ELj13ELNS0_17block_load_methodE3ELS4_3ELS4_3ELNS0_20block_scan_algorithmE0ELj4294967295EEENS1_25partition_config_selectorILNS1_17partition_subalgoE3EjNS0_10empty_typeEbEEZZNS1_14partition_implILS8_3ELb0ES6_jNS0_17counting_iteratorIjlEEPS9_SE_NS0_5tupleIJPjSE_EEENSF_IJSE_SE_EEES9_SG_JZNS1_25segmented_radix_sort_implINS0_14default_configELb1EPKhPhPKlPlN2at6native12_GLOBAL__N_18offset_tEEE10hipError_tPvRmT1_PNSt15iterator_traitsISY_E10value_typeET2_T3_PNSZ_IS14_E10value_typeET4_jRbjT5_S1A_jjP12ihipStream_tbEUljE_EEESV_SW_SX_S14_S18_S1A_T6_T7_T9_mT8_S1C_bDpT10_ENKUlT_T0_E_clISt17integral_constantIbLb0EES1P_EEDaS1K_S1L_EUlS1K_E_NS1_11comp_targetILNS1_3genE8ELNS1_11target_archE1030ELNS1_3gpuE2ELNS1_3repE0EEENS1_30default_config_static_selectorELNS0_4arch9wavefront6targetE0EEEvSY_,"axG",@progbits,_ZN7rocprim17ROCPRIM_400000_NS6detail17trampoline_kernelINS0_13select_configILj256ELj13ELNS0_17block_load_methodE3ELS4_3ELS4_3ELNS0_20block_scan_algorithmE0ELj4294967295EEENS1_25partition_config_selectorILNS1_17partition_subalgoE3EjNS0_10empty_typeEbEEZZNS1_14partition_implILS8_3ELb0ES6_jNS0_17counting_iteratorIjlEEPS9_SE_NS0_5tupleIJPjSE_EEENSF_IJSE_SE_EEES9_SG_JZNS1_25segmented_radix_sort_implINS0_14default_configELb1EPKhPhPKlPlN2at6native12_GLOBAL__N_18offset_tEEE10hipError_tPvRmT1_PNSt15iterator_traitsISY_E10value_typeET2_T3_PNSZ_IS14_E10value_typeET4_jRbjT5_S1A_jjP12ihipStream_tbEUljE_EEESV_SW_SX_S14_S18_S1A_T6_T7_T9_mT8_S1C_bDpT10_ENKUlT_T0_E_clISt17integral_constantIbLb0EES1P_EEDaS1K_S1L_EUlS1K_E_NS1_11comp_targetILNS1_3genE8ELNS1_11target_archE1030ELNS1_3gpuE2ELNS1_3repE0EEENS1_30default_config_static_selectorELNS0_4arch9wavefront6targetE0EEEvSY_,comdat
.Lfunc_end55:
	.size	_ZN7rocprim17ROCPRIM_400000_NS6detail17trampoline_kernelINS0_13select_configILj256ELj13ELNS0_17block_load_methodE3ELS4_3ELS4_3ELNS0_20block_scan_algorithmE0ELj4294967295EEENS1_25partition_config_selectorILNS1_17partition_subalgoE3EjNS0_10empty_typeEbEEZZNS1_14partition_implILS8_3ELb0ES6_jNS0_17counting_iteratorIjlEEPS9_SE_NS0_5tupleIJPjSE_EEENSF_IJSE_SE_EEES9_SG_JZNS1_25segmented_radix_sort_implINS0_14default_configELb1EPKhPhPKlPlN2at6native12_GLOBAL__N_18offset_tEEE10hipError_tPvRmT1_PNSt15iterator_traitsISY_E10value_typeET2_T3_PNSZ_IS14_E10value_typeET4_jRbjT5_S1A_jjP12ihipStream_tbEUljE_EEESV_SW_SX_S14_S18_S1A_T6_T7_T9_mT8_S1C_bDpT10_ENKUlT_T0_E_clISt17integral_constantIbLb0EES1P_EEDaS1K_S1L_EUlS1K_E_NS1_11comp_targetILNS1_3genE8ELNS1_11target_archE1030ELNS1_3gpuE2ELNS1_3repE0EEENS1_30default_config_static_selectorELNS0_4arch9wavefront6targetE0EEEvSY_, .Lfunc_end55-_ZN7rocprim17ROCPRIM_400000_NS6detail17trampoline_kernelINS0_13select_configILj256ELj13ELNS0_17block_load_methodE3ELS4_3ELS4_3ELNS0_20block_scan_algorithmE0ELj4294967295EEENS1_25partition_config_selectorILNS1_17partition_subalgoE3EjNS0_10empty_typeEbEEZZNS1_14partition_implILS8_3ELb0ES6_jNS0_17counting_iteratorIjlEEPS9_SE_NS0_5tupleIJPjSE_EEENSF_IJSE_SE_EEES9_SG_JZNS1_25segmented_radix_sort_implINS0_14default_configELb1EPKhPhPKlPlN2at6native12_GLOBAL__N_18offset_tEEE10hipError_tPvRmT1_PNSt15iterator_traitsISY_E10value_typeET2_T3_PNSZ_IS14_E10value_typeET4_jRbjT5_S1A_jjP12ihipStream_tbEUljE_EEESV_SW_SX_S14_S18_S1A_T6_T7_T9_mT8_S1C_bDpT10_ENKUlT_T0_E_clISt17integral_constantIbLb0EES1P_EEDaS1K_S1L_EUlS1K_E_NS1_11comp_targetILNS1_3genE8ELNS1_11target_archE1030ELNS1_3gpuE2ELNS1_3repE0EEENS1_30default_config_static_selectorELNS0_4arch9wavefront6targetE0EEEvSY_
                                        ; -- End function
	.set _ZN7rocprim17ROCPRIM_400000_NS6detail17trampoline_kernelINS0_13select_configILj256ELj13ELNS0_17block_load_methodE3ELS4_3ELS4_3ELNS0_20block_scan_algorithmE0ELj4294967295EEENS1_25partition_config_selectorILNS1_17partition_subalgoE3EjNS0_10empty_typeEbEEZZNS1_14partition_implILS8_3ELb0ES6_jNS0_17counting_iteratorIjlEEPS9_SE_NS0_5tupleIJPjSE_EEENSF_IJSE_SE_EEES9_SG_JZNS1_25segmented_radix_sort_implINS0_14default_configELb1EPKhPhPKlPlN2at6native12_GLOBAL__N_18offset_tEEE10hipError_tPvRmT1_PNSt15iterator_traitsISY_E10value_typeET2_T3_PNSZ_IS14_E10value_typeET4_jRbjT5_S1A_jjP12ihipStream_tbEUljE_EEESV_SW_SX_S14_S18_S1A_T6_T7_T9_mT8_S1C_bDpT10_ENKUlT_T0_E_clISt17integral_constantIbLb0EES1P_EEDaS1K_S1L_EUlS1K_E_NS1_11comp_targetILNS1_3genE8ELNS1_11target_archE1030ELNS1_3gpuE2ELNS1_3repE0EEENS1_30default_config_static_selectorELNS0_4arch9wavefront6targetE0EEEvSY_.num_vgpr, 0
	.set _ZN7rocprim17ROCPRIM_400000_NS6detail17trampoline_kernelINS0_13select_configILj256ELj13ELNS0_17block_load_methodE3ELS4_3ELS4_3ELNS0_20block_scan_algorithmE0ELj4294967295EEENS1_25partition_config_selectorILNS1_17partition_subalgoE3EjNS0_10empty_typeEbEEZZNS1_14partition_implILS8_3ELb0ES6_jNS0_17counting_iteratorIjlEEPS9_SE_NS0_5tupleIJPjSE_EEENSF_IJSE_SE_EEES9_SG_JZNS1_25segmented_radix_sort_implINS0_14default_configELb1EPKhPhPKlPlN2at6native12_GLOBAL__N_18offset_tEEE10hipError_tPvRmT1_PNSt15iterator_traitsISY_E10value_typeET2_T3_PNSZ_IS14_E10value_typeET4_jRbjT5_S1A_jjP12ihipStream_tbEUljE_EEESV_SW_SX_S14_S18_S1A_T6_T7_T9_mT8_S1C_bDpT10_ENKUlT_T0_E_clISt17integral_constantIbLb0EES1P_EEDaS1K_S1L_EUlS1K_E_NS1_11comp_targetILNS1_3genE8ELNS1_11target_archE1030ELNS1_3gpuE2ELNS1_3repE0EEENS1_30default_config_static_selectorELNS0_4arch9wavefront6targetE0EEEvSY_.num_agpr, 0
	.set _ZN7rocprim17ROCPRIM_400000_NS6detail17trampoline_kernelINS0_13select_configILj256ELj13ELNS0_17block_load_methodE3ELS4_3ELS4_3ELNS0_20block_scan_algorithmE0ELj4294967295EEENS1_25partition_config_selectorILNS1_17partition_subalgoE3EjNS0_10empty_typeEbEEZZNS1_14partition_implILS8_3ELb0ES6_jNS0_17counting_iteratorIjlEEPS9_SE_NS0_5tupleIJPjSE_EEENSF_IJSE_SE_EEES9_SG_JZNS1_25segmented_radix_sort_implINS0_14default_configELb1EPKhPhPKlPlN2at6native12_GLOBAL__N_18offset_tEEE10hipError_tPvRmT1_PNSt15iterator_traitsISY_E10value_typeET2_T3_PNSZ_IS14_E10value_typeET4_jRbjT5_S1A_jjP12ihipStream_tbEUljE_EEESV_SW_SX_S14_S18_S1A_T6_T7_T9_mT8_S1C_bDpT10_ENKUlT_T0_E_clISt17integral_constantIbLb0EES1P_EEDaS1K_S1L_EUlS1K_E_NS1_11comp_targetILNS1_3genE8ELNS1_11target_archE1030ELNS1_3gpuE2ELNS1_3repE0EEENS1_30default_config_static_selectorELNS0_4arch9wavefront6targetE0EEEvSY_.numbered_sgpr, 0
	.set _ZN7rocprim17ROCPRIM_400000_NS6detail17trampoline_kernelINS0_13select_configILj256ELj13ELNS0_17block_load_methodE3ELS4_3ELS4_3ELNS0_20block_scan_algorithmE0ELj4294967295EEENS1_25partition_config_selectorILNS1_17partition_subalgoE3EjNS0_10empty_typeEbEEZZNS1_14partition_implILS8_3ELb0ES6_jNS0_17counting_iteratorIjlEEPS9_SE_NS0_5tupleIJPjSE_EEENSF_IJSE_SE_EEES9_SG_JZNS1_25segmented_radix_sort_implINS0_14default_configELb1EPKhPhPKlPlN2at6native12_GLOBAL__N_18offset_tEEE10hipError_tPvRmT1_PNSt15iterator_traitsISY_E10value_typeET2_T3_PNSZ_IS14_E10value_typeET4_jRbjT5_S1A_jjP12ihipStream_tbEUljE_EEESV_SW_SX_S14_S18_S1A_T6_T7_T9_mT8_S1C_bDpT10_ENKUlT_T0_E_clISt17integral_constantIbLb0EES1P_EEDaS1K_S1L_EUlS1K_E_NS1_11comp_targetILNS1_3genE8ELNS1_11target_archE1030ELNS1_3gpuE2ELNS1_3repE0EEENS1_30default_config_static_selectorELNS0_4arch9wavefront6targetE0EEEvSY_.num_named_barrier, 0
	.set _ZN7rocprim17ROCPRIM_400000_NS6detail17trampoline_kernelINS0_13select_configILj256ELj13ELNS0_17block_load_methodE3ELS4_3ELS4_3ELNS0_20block_scan_algorithmE0ELj4294967295EEENS1_25partition_config_selectorILNS1_17partition_subalgoE3EjNS0_10empty_typeEbEEZZNS1_14partition_implILS8_3ELb0ES6_jNS0_17counting_iteratorIjlEEPS9_SE_NS0_5tupleIJPjSE_EEENSF_IJSE_SE_EEES9_SG_JZNS1_25segmented_radix_sort_implINS0_14default_configELb1EPKhPhPKlPlN2at6native12_GLOBAL__N_18offset_tEEE10hipError_tPvRmT1_PNSt15iterator_traitsISY_E10value_typeET2_T3_PNSZ_IS14_E10value_typeET4_jRbjT5_S1A_jjP12ihipStream_tbEUljE_EEESV_SW_SX_S14_S18_S1A_T6_T7_T9_mT8_S1C_bDpT10_ENKUlT_T0_E_clISt17integral_constantIbLb0EES1P_EEDaS1K_S1L_EUlS1K_E_NS1_11comp_targetILNS1_3genE8ELNS1_11target_archE1030ELNS1_3gpuE2ELNS1_3repE0EEENS1_30default_config_static_selectorELNS0_4arch9wavefront6targetE0EEEvSY_.private_seg_size, 0
	.set _ZN7rocprim17ROCPRIM_400000_NS6detail17trampoline_kernelINS0_13select_configILj256ELj13ELNS0_17block_load_methodE3ELS4_3ELS4_3ELNS0_20block_scan_algorithmE0ELj4294967295EEENS1_25partition_config_selectorILNS1_17partition_subalgoE3EjNS0_10empty_typeEbEEZZNS1_14partition_implILS8_3ELb0ES6_jNS0_17counting_iteratorIjlEEPS9_SE_NS0_5tupleIJPjSE_EEENSF_IJSE_SE_EEES9_SG_JZNS1_25segmented_radix_sort_implINS0_14default_configELb1EPKhPhPKlPlN2at6native12_GLOBAL__N_18offset_tEEE10hipError_tPvRmT1_PNSt15iterator_traitsISY_E10value_typeET2_T3_PNSZ_IS14_E10value_typeET4_jRbjT5_S1A_jjP12ihipStream_tbEUljE_EEESV_SW_SX_S14_S18_S1A_T6_T7_T9_mT8_S1C_bDpT10_ENKUlT_T0_E_clISt17integral_constantIbLb0EES1P_EEDaS1K_S1L_EUlS1K_E_NS1_11comp_targetILNS1_3genE8ELNS1_11target_archE1030ELNS1_3gpuE2ELNS1_3repE0EEENS1_30default_config_static_selectorELNS0_4arch9wavefront6targetE0EEEvSY_.uses_vcc, 0
	.set _ZN7rocprim17ROCPRIM_400000_NS6detail17trampoline_kernelINS0_13select_configILj256ELj13ELNS0_17block_load_methodE3ELS4_3ELS4_3ELNS0_20block_scan_algorithmE0ELj4294967295EEENS1_25partition_config_selectorILNS1_17partition_subalgoE3EjNS0_10empty_typeEbEEZZNS1_14partition_implILS8_3ELb0ES6_jNS0_17counting_iteratorIjlEEPS9_SE_NS0_5tupleIJPjSE_EEENSF_IJSE_SE_EEES9_SG_JZNS1_25segmented_radix_sort_implINS0_14default_configELb1EPKhPhPKlPlN2at6native12_GLOBAL__N_18offset_tEEE10hipError_tPvRmT1_PNSt15iterator_traitsISY_E10value_typeET2_T3_PNSZ_IS14_E10value_typeET4_jRbjT5_S1A_jjP12ihipStream_tbEUljE_EEESV_SW_SX_S14_S18_S1A_T6_T7_T9_mT8_S1C_bDpT10_ENKUlT_T0_E_clISt17integral_constantIbLb0EES1P_EEDaS1K_S1L_EUlS1K_E_NS1_11comp_targetILNS1_3genE8ELNS1_11target_archE1030ELNS1_3gpuE2ELNS1_3repE0EEENS1_30default_config_static_selectorELNS0_4arch9wavefront6targetE0EEEvSY_.uses_flat_scratch, 0
	.set _ZN7rocprim17ROCPRIM_400000_NS6detail17trampoline_kernelINS0_13select_configILj256ELj13ELNS0_17block_load_methodE3ELS4_3ELS4_3ELNS0_20block_scan_algorithmE0ELj4294967295EEENS1_25partition_config_selectorILNS1_17partition_subalgoE3EjNS0_10empty_typeEbEEZZNS1_14partition_implILS8_3ELb0ES6_jNS0_17counting_iteratorIjlEEPS9_SE_NS0_5tupleIJPjSE_EEENSF_IJSE_SE_EEES9_SG_JZNS1_25segmented_radix_sort_implINS0_14default_configELb1EPKhPhPKlPlN2at6native12_GLOBAL__N_18offset_tEEE10hipError_tPvRmT1_PNSt15iterator_traitsISY_E10value_typeET2_T3_PNSZ_IS14_E10value_typeET4_jRbjT5_S1A_jjP12ihipStream_tbEUljE_EEESV_SW_SX_S14_S18_S1A_T6_T7_T9_mT8_S1C_bDpT10_ENKUlT_T0_E_clISt17integral_constantIbLb0EES1P_EEDaS1K_S1L_EUlS1K_E_NS1_11comp_targetILNS1_3genE8ELNS1_11target_archE1030ELNS1_3gpuE2ELNS1_3repE0EEENS1_30default_config_static_selectorELNS0_4arch9wavefront6targetE0EEEvSY_.has_dyn_sized_stack, 0
	.set _ZN7rocprim17ROCPRIM_400000_NS6detail17trampoline_kernelINS0_13select_configILj256ELj13ELNS0_17block_load_methodE3ELS4_3ELS4_3ELNS0_20block_scan_algorithmE0ELj4294967295EEENS1_25partition_config_selectorILNS1_17partition_subalgoE3EjNS0_10empty_typeEbEEZZNS1_14partition_implILS8_3ELb0ES6_jNS0_17counting_iteratorIjlEEPS9_SE_NS0_5tupleIJPjSE_EEENSF_IJSE_SE_EEES9_SG_JZNS1_25segmented_radix_sort_implINS0_14default_configELb1EPKhPhPKlPlN2at6native12_GLOBAL__N_18offset_tEEE10hipError_tPvRmT1_PNSt15iterator_traitsISY_E10value_typeET2_T3_PNSZ_IS14_E10value_typeET4_jRbjT5_S1A_jjP12ihipStream_tbEUljE_EEESV_SW_SX_S14_S18_S1A_T6_T7_T9_mT8_S1C_bDpT10_ENKUlT_T0_E_clISt17integral_constantIbLb0EES1P_EEDaS1K_S1L_EUlS1K_E_NS1_11comp_targetILNS1_3genE8ELNS1_11target_archE1030ELNS1_3gpuE2ELNS1_3repE0EEENS1_30default_config_static_selectorELNS0_4arch9wavefront6targetE0EEEvSY_.has_recursion, 0
	.set _ZN7rocprim17ROCPRIM_400000_NS6detail17trampoline_kernelINS0_13select_configILj256ELj13ELNS0_17block_load_methodE3ELS4_3ELS4_3ELNS0_20block_scan_algorithmE0ELj4294967295EEENS1_25partition_config_selectorILNS1_17partition_subalgoE3EjNS0_10empty_typeEbEEZZNS1_14partition_implILS8_3ELb0ES6_jNS0_17counting_iteratorIjlEEPS9_SE_NS0_5tupleIJPjSE_EEENSF_IJSE_SE_EEES9_SG_JZNS1_25segmented_radix_sort_implINS0_14default_configELb1EPKhPhPKlPlN2at6native12_GLOBAL__N_18offset_tEEE10hipError_tPvRmT1_PNSt15iterator_traitsISY_E10value_typeET2_T3_PNSZ_IS14_E10value_typeET4_jRbjT5_S1A_jjP12ihipStream_tbEUljE_EEESV_SW_SX_S14_S18_S1A_T6_T7_T9_mT8_S1C_bDpT10_ENKUlT_T0_E_clISt17integral_constantIbLb0EES1P_EEDaS1K_S1L_EUlS1K_E_NS1_11comp_targetILNS1_3genE8ELNS1_11target_archE1030ELNS1_3gpuE2ELNS1_3repE0EEENS1_30default_config_static_selectorELNS0_4arch9wavefront6targetE0EEEvSY_.has_indirect_call, 0
	.section	.AMDGPU.csdata,"",@progbits
; Kernel info:
; codeLenInByte = 0
; TotalNumSgprs: 0
; NumVgprs: 0
; ScratchSize: 0
; MemoryBound: 0
; FloatMode: 240
; IeeeMode: 1
; LDSByteSize: 0 bytes/workgroup (compile time only)
; SGPRBlocks: 0
; VGPRBlocks: 0
; NumSGPRsForWavesPerEU: 1
; NumVGPRsForWavesPerEU: 1
; NamedBarCnt: 0
; Occupancy: 16
; WaveLimiterHint : 0
; COMPUTE_PGM_RSRC2:SCRATCH_EN: 0
; COMPUTE_PGM_RSRC2:USER_SGPR: 2
; COMPUTE_PGM_RSRC2:TRAP_HANDLER: 0
; COMPUTE_PGM_RSRC2:TGID_X_EN: 1
; COMPUTE_PGM_RSRC2:TGID_Y_EN: 0
; COMPUTE_PGM_RSRC2:TGID_Z_EN: 0
; COMPUTE_PGM_RSRC2:TIDIG_COMP_CNT: 0
	.section	.text._ZN7rocprim17ROCPRIM_400000_NS6detail31init_lookback_scan_state_kernelINS1_19lookback_scan_stateIjLb1ELb1EEENS1_16block_id_wrapperIjLb1EEEEEvT_jT0_jPNS7_10value_typeE,"axG",@progbits,_ZN7rocprim17ROCPRIM_400000_NS6detail31init_lookback_scan_state_kernelINS1_19lookback_scan_stateIjLb1ELb1EEENS1_16block_id_wrapperIjLb1EEEEEvT_jT0_jPNS7_10value_typeE,comdat
	.protected	_ZN7rocprim17ROCPRIM_400000_NS6detail31init_lookback_scan_state_kernelINS1_19lookback_scan_stateIjLb1ELb1EEENS1_16block_id_wrapperIjLb1EEEEEvT_jT0_jPNS7_10value_typeE ; -- Begin function _ZN7rocprim17ROCPRIM_400000_NS6detail31init_lookback_scan_state_kernelINS1_19lookback_scan_stateIjLb1ELb1EEENS1_16block_id_wrapperIjLb1EEEEEvT_jT0_jPNS7_10value_typeE
	.globl	_ZN7rocprim17ROCPRIM_400000_NS6detail31init_lookback_scan_state_kernelINS1_19lookback_scan_stateIjLb1ELb1EEENS1_16block_id_wrapperIjLb1EEEEEvT_jT0_jPNS7_10value_typeE
	.p2align	8
	.type	_ZN7rocprim17ROCPRIM_400000_NS6detail31init_lookback_scan_state_kernelINS1_19lookback_scan_stateIjLb1ELb1EEENS1_16block_id_wrapperIjLb1EEEEEvT_jT0_jPNS7_10value_typeE,@function
_ZN7rocprim17ROCPRIM_400000_NS6detail31init_lookback_scan_state_kernelINS1_19lookback_scan_stateIjLb1ELb1EEENS1_16block_id_wrapperIjLb1EEEEEvT_jT0_jPNS7_10value_typeE: ; @_ZN7rocprim17ROCPRIM_400000_NS6detail31init_lookback_scan_state_kernelINS1_19lookback_scan_stateIjLb1ELb1EEENS1_16block_id_wrapperIjLb1EEEEEvT_jT0_jPNS7_10value_typeE
; %bb.0:
	s_clause 0x2
	s_load_b32 s7, s[0:1], 0x34
	s_load_b96 s[4:6], s[0:1], 0x0
	s_load_b64 s[2:3], s[0:1], 0x20
	s_bfe_u32 s8, ttmp6, 0x4000c
	s_and_b32 s9, ttmp6, 15
	s_add_co_i32 s8, s8, 1
	s_getreg_b32 s10, hwreg(HW_REG_IB_STS2, 6, 4)
	s_mul_i32 s8, ttmp9, s8
	s_delay_alu instid0(SALU_CYCLE_1)
	s_add_co_i32 s9, s9, s8
	s_wait_kmcnt 0x0
	s_and_b32 s7, s7, 0xffff
	s_cmp_eq_u32 s10, 0
	s_cselect_b32 s8, ttmp9, s9
	s_cmp_eq_u64 s[2:3], 0
	v_mad_u32 v4, s8, s7, v0
	s_cbranch_scc1 .LBB56_9
; %bb.1:
	s_load_b32 s8, s[0:1], 0x18
	s_wait_kmcnt 0x0
	s_cmp_lt_u32 s8, s6
	s_cselect_b32 s7, s8, 0
	s_delay_alu instid0(VALU_DEP_1) | instid1(SALU_CYCLE_1)
	v_cmp_eq_u32_e32 vcc_lo, s7, v4
	s_and_saveexec_b32 s7, vcc_lo
	s_cbranch_execz .LBB56_8
; %bb.2:
	s_add_co_i32 s8, s8, 32
	s_delay_alu instid0(SALU_CYCLE_1)
	v_mov_b32_e32 v0, s8
	global_load_b64 v[2:3], v0, s[4:5] scale_offset scope:SCOPE_DEV
	s_wait_xcnt 0x0
	v_mov_b32_e32 v0, 0
	s_wait_loadcnt 0x0
	v_and_b32_e32 v1, 0xff, v3
	s_delay_alu instid0(VALU_DEP_1)
	v_cmp_ne_u64_e32 vcc_lo, 0, v[0:1]
	s_cbranch_vccnz .LBB56_7
; %bb.3:
	s_mov_b32 s9, 0
	s_mov_b32 s10, 1
	s_lshl_b64 s[8:9], s[8:9], 3
	s_delay_alu instid0(SALU_CYCLE_1)
	s_add_nc_u64 s[8:9], s[4:5], s[8:9]
.LBB56_4:                               ; =>This Loop Header: Depth=1
                                        ;     Child Loop BB56_5 Depth 2
	s_mov_b32 s11, s10
.LBB56_5:                               ;   Parent Loop BB56_4 Depth=1
                                        ; =>  This Inner Loop Header: Depth=2
	s_delay_alu instid0(SALU_CYCLE_1)
	s_add_co_i32 s11, s11, -1
	s_sleep 1
	s_cmp_eq_u32 s11, 0
	s_cbranch_scc0 .LBB56_5
; %bb.6:                                ;   in Loop: Header=BB56_4 Depth=1
	global_load_b64 v[2:3], v0, s[8:9] scope:SCOPE_DEV
	s_cmp_lt_u32 s10, 32
	s_cselect_b32 s11, -1, 0
	s_delay_alu instid0(SALU_CYCLE_1) | instskip(SKIP_3) | instid1(VALU_DEP_1)
	s_cmp_lg_u32 s11, 0
	s_add_co_ci_u32 s10, s10, 0
	s_wait_loadcnt 0x0
	v_and_b32_e32 v1, 0xff, v3
	v_cmp_ne_u64_e32 vcc_lo, 0, v[0:1]
	s_cbranch_vccz .LBB56_4
.LBB56_7:
	v_mov_b32_e32 v0, 0
	global_store_b32 v0, v2, s[2:3]
.LBB56_8:
	s_wait_xcnt 0x0
	s_or_b32 exec_lo, exec_lo, s7
.LBB56_9:
	s_delay_alu instid0(SALU_CYCLE_1) | instskip(NEXT) | instid1(VALU_DEP_1)
	s_mov_b32 s2, exec_lo
	v_cmpx_eq_u32_e32 0, v4
	s_cbranch_execz .LBB56_11
; %bb.10:
	s_load_b64 s[0:1], s[0:1], 0x10
	v_mov_b32_e32 v0, 0
	s_wait_kmcnt 0x0
	global_store_b32 v0, v0, s[0:1]
.LBB56_11:
	s_wait_xcnt 0x0
	s_or_b32 exec_lo, exec_lo, s2
	s_delay_alu instid0(SALU_CYCLE_1)
	s_mov_b32 s0, exec_lo
	v_cmpx_gt_u32_e64 s6, v4
	s_cbranch_execz .LBB56_13
; %bb.12:
	v_mov_b64_e32 v[0:1], 0
	v_add_nc_u32_e32 v2, 32, v4
	global_store_b64 v2, v[0:1], s[4:5] scale_offset
.LBB56_13:
	s_wait_xcnt 0x0
	s_or_b32 exec_lo, exec_lo, s0
	s_delay_alu instid0(SALU_CYCLE_1)
	s_mov_b32 s0, exec_lo
	v_cmpx_gt_u32_e32 32, v4
	s_cbranch_execz .LBB56_15
; %bb.14:
	v_mov_b64_e32 v[0:1], 0xff00000000
	global_store_b64 v4, v[0:1], s[4:5] scale_offset
.LBB56_15:
	s_endpgm
	.section	.rodata,"a",@progbits
	.p2align	6, 0x0
	.amdhsa_kernel _ZN7rocprim17ROCPRIM_400000_NS6detail31init_lookback_scan_state_kernelINS1_19lookback_scan_stateIjLb1ELb1EEENS1_16block_id_wrapperIjLb1EEEEEvT_jT0_jPNS7_10value_typeE
		.amdhsa_group_segment_fixed_size 0
		.amdhsa_private_segment_fixed_size 0
		.amdhsa_kernarg_size 296
		.amdhsa_user_sgpr_count 2
		.amdhsa_user_sgpr_dispatch_ptr 0
		.amdhsa_user_sgpr_queue_ptr 0
		.amdhsa_user_sgpr_kernarg_segment_ptr 1
		.amdhsa_user_sgpr_dispatch_id 0
		.amdhsa_user_sgpr_kernarg_preload_length 0
		.amdhsa_user_sgpr_kernarg_preload_offset 0
		.amdhsa_user_sgpr_private_segment_size 0
		.amdhsa_wavefront_size32 1
		.amdhsa_uses_dynamic_stack 0
		.amdhsa_enable_private_segment 0
		.amdhsa_system_sgpr_workgroup_id_x 1
		.amdhsa_system_sgpr_workgroup_id_y 0
		.amdhsa_system_sgpr_workgroup_id_z 0
		.amdhsa_system_sgpr_workgroup_info 0
		.amdhsa_system_vgpr_workitem_id 0
		.amdhsa_next_free_vgpr 5
		.amdhsa_next_free_sgpr 12
		.amdhsa_named_barrier_count 0
		.amdhsa_reserve_vcc 1
		.amdhsa_float_round_mode_32 0
		.amdhsa_float_round_mode_16_64 0
		.amdhsa_float_denorm_mode_32 3
		.amdhsa_float_denorm_mode_16_64 3
		.amdhsa_fp16_overflow 0
		.amdhsa_memory_ordered 1
		.amdhsa_forward_progress 1
		.amdhsa_inst_pref_size 4
		.amdhsa_round_robin_scheduling 0
		.amdhsa_exception_fp_ieee_invalid_op 0
		.amdhsa_exception_fp_denorm_src 0
		.amdhsa_exception_fp_ieee_div_zero 0
		.amdhsa_exception_fp_ieee_overflow 0
		.amdhsa_exception_fp_ieee_underflow 0
		.amdhsa_exception_fp_ieee_inexact 0
		.amdhsa_exception_int_div_zero 0
	.end_amdhsa_kernel
	.section	.text._ZN7rocprim17ROCPRIM_400000_NS6detail31init_lookback_scan_state_kernelINS1_19lookback_scan_stateIjLb1ELb1EEENS1_16block_id_wrapperIjLb1EEEEEvT_jT0_jPNS7_10value_typeE,"axG",@progbits,_ZN7rocprim17ROCPRIM_400000_NS6detail31init_lookback_scan_state_kernelINS1_19lookback_scan_stateIjLb1ELb1EEENS1_16block_id_wrapperIjLb1EEEEEvT_jT0_jPNS7_10value_typeE,comdat
.Lfunc_end56:
	.size	_ZN7rocprim17ROCPRIM_400000_NS6detail31init_lookback_scan_state_kernelINS1_19lookback_scan_stateIjLb1ELb1EEENS1_16block_id_wrapperIjLb1EEEEEvT_jT0_jPNS7_10value_typeE, .Lfunc_end56-_ZN7rocprim17ROCPRIM_400000_NS6detail31init_lookback_scan_state_kernelINS1_19lookback_scan_stateIjLb1ELb1EEENS1_16block_id_wrapperIjLb1EEEEEvT_jT0_jPNS7_10value_typeE
                                        ; -- End function
	.set _ZN7rocprim17ROCPRIM_400000_NS6detail31init_lookback_scan_state_kernelINS1_19lookback_scan_stateIjLb1ELb1EEENS1_16block_id_wrapperIjLb1EEEEEvT_jT0_jPNS7_10value_typeE.num_vgpr, 5
	.set _ZN7rocprim17ROCPRIM_400000_NS6detail31init_lookback_scan_state_kernelINS1_19lookback_scan_stateIjLb1ELb1EEENS1_16block_id_wrapperIjLb1EEEEEvT_jT0_jPNS7_10value_typeE.num_agpr, 0
	.set _ZN7rocprim17ROCPRIM_400000_NS6detail31init_lookback_scan_state_kernelINS1_19lookback_scan_stateIjLb1ELb1EEENS1_16block_id_wrapperIjLb1EEEEEvT_jT0_jPNS7_10value_typeE.numbered_sgpr, 12
	.set _ZN7rocprim17ROCPRIM_400000_NS6detail31init_lookback_scan_state_kernelINS1_19lookback_scan_stateIjLb1ELb1EEENS1_16block_id_wrapperIjLb1EEEEEvT_jT0_jPNS7_10value_typeE.num_named_barrier, 0
	.set _ZN7rocprim17ROCPRIM_400000_NS6detail31init_lookback_scan_state_kernelINS1_19lookback_scan_stateIjLb1ELb1EEENS1_16block_id_wrapperIjLb1EEEEEvT_jT0_jPNS7_10value_typeE.private_seg_size, 0
	.set _ZN7rocprim17ROCPRIM_400000_NS6detail31init_lookback_scan_state_kernelINS1_19lookback_scan_stateIjLb1ELb1EEENS1_16block_id_wrapperIjLb1EEEEEvT_jT0_jPNS7_10value_typeE.uses_vcc, 1
	.set _ZN7rocprim17ROCPRIM_400000_NS6detail31init_lookback_scan_state_kernelINS1_19lookback_scan_stateIjLb1ELb1EEENS1_16block_id_wrapperIjLb1EEEEEvT_jT0_jPNS7_10value_typeE.uses_flat_scratch, 0
	.set _ZN7rocprim17ROCPRIM_400000_NS6detail31init_lookback_scan_state_kernelINS1_19lookback_scan_stateIjLb1ELb1EEENS1_16block_id_wrapperIjLb1EEEEEvT_jT0_jPNS7_10value_typeE.has_dyn_sized_stack, 0
	.set _ZN7rocprim17ROCPRIM_400000_NS6detail31init_lookback_scan_state_kernelINS1_19lookback_scan_stateIjLb1ELb1EEENS1_16block_id_wrapperIjLb1EEEEEvT_jT0_jPNS7_10value_typeE.has_recursion, 0
	.set _ZN7rocprim17ROCPRIM_400000_NS6detail31init_lookback_scan_state_kernelINS1_19lookback_scan_stateIjLb1ELb1EEENS1_16block_id_wrapperIjLb1EEEEEvT_jT0_jPNS7_10value_typeE.has_indirect_call, 0
	.section	.AMDGPU.csdata,"",@progbits
; Kernel info:
; codeLenInByte = 452
; TotalNumSgprs: 14
; NumVgprs: 5
; ScratchSize: 0
; MemoryBound: 0
; FloatMode: 240
; IeeeMode: 1
; LDSByteSize: 0 bytes/workgroup (compile time only)
; SGPRBlocks: 0
; VGPRBlocks: 0
; NumSGPRsForWavesPerEU: 14
; NumVGPRsForWavesPerEU: 5
; NamedBarCnt: 0
; Occupancy: 16
; WaveLimiterHint : 0
; COMPUTE_PGM_RSRC2:SCRATCH_EN: 0
; COMPUTE_PGM_RSRC2:USER_SGPR: 2
; COMPUTE_PGM_RSRC2:TRAP_HANDLER: 0
; COMPUTE_PGM_RSRC2:TGID_X_EN: 1
; COMPUTE_PGM_RSRC2:TGID_Y_EN: 0
; COMPUTE_PGM_RSRC2:TGID_Z_EN: 0
; COMPUTE_PGM_RSRC2:TIDIG_COMP_CNT: 0
	.section	.text._ZN7rocprim17ROCPRIM_400000_NS6detail17trampoline_kernelINS0_13select_configILj256ELj13ELNS0_17block_load_methodE3ELS4_3ELS4_3ELNS0_20block_scan_algorithmE0ELj4294967295EEENS1_25partition_config_selectorILNS1_17partition_subalgoE3EjNS0_10empty_typeEbEEZZNS1_14partition_implILS8_3ELb0ES6_jNS0_17counting_iteratorIjlEEPS9_SE_NS0_5tupleIJPjSE_EEENSF_IJSE_SE_EEES9_SG_JZNS1_25segmented_radix_sort_implINS0_14default_configELb1EPKhPhPKlPlN2at6native12_GLOBAL__N_18offset_tEEE10hipError_tPvRmT1_PNSt15iterator_traitsISY_E10value_typeET2_T3_PNSZ_IS14_E10value_typeET4_jRbjT5_S1A_jjP12ihipStream_tbEUljE_EEESV_SW_SX_S14_S18_S1A_T6_T7_T9_mT8_S1C_bDpT10_ENKUlT_T0_E_clISt17integral_constantIbLb1EES1P_EEDaS1K_S1L_EUlS1K_E_NS1_11comp_targetILNS1_3genE0ELNS1_11target_archE4294967295ELNS1_3gpuE0ELNS1_3repE0EEENS1_30default_config_static_selectorELNS0_4arch9wavefront6targetE0EEEvSY_,"axG",@progbits,_ZN7rocprim17ROCPRIM_400000_NS6detail17trampoline_kernelINS0_13select_configILj256ELj13ELNS0_17block_load_methodE3ELS4_3ELS4_3ELNS0_20block_scan_algorithmE0ELj4294967295EEENS1_25partition_config_selectorILNS1_17partition_subalgoE3EjNS0_10empty_typeEbEEZZNS1_14partition_implILS8_3ELb0ES6_jNS0_17counting_iteratorIjlEEPS9_SE_NS0_5tupleIJPjSE_EEENSF_IJSE_SE_EEES9_SG_JZNS1_25segmented_radix_sort_implINS0_14default_configELb1EPKhPhPKlPlN2at6native12_GLOBAL__N_18offset_tEEE10hipError_tPvRmT1_PNSt15iterator_traitsISY_E10value_typeET2_T3_PNSZ_IS14_E10value_typeET4_jRbjT5_S1A_jjP12ihipStream_tbEUljE_EEESV_SW_SX_S14_S18_S1A_T6_T7_T9_mT8_S1C_bDpT10_ENKUlT_T0_E_clISt17integral_constantIbLb1EES1P_EEDaS1K_S1L_EUlS1K_E_NS1_11comp_targetILNS1_3genE0ELNS1_11target_archE4294967295ELNS1_3gpuE0ELNS1_3repE0EEENS1_30default_config_static_selectorELNS0_4arch9wavefront6targetE0EEEvSY_,comdat
	.globl	_ZN7rocprim17ROCPRIM_400000_NS6detail17trampoline_kernelINS0_13select_configILj256ELj13ELNS0_17block_load_methodE3ELS4_3ELS4_3ELNS0_20block_scan_algorithmE0ELj4294967295EEENS1_25partition_config_selectorILNS1_17partition_subalgoE3EjNS0_10empty_typeEbEEZZNS1_14partition_implILS8_3ELb0ES6_jNS0_17counting_iteratorIjlEEPS9_SE_NS0_5tupleIJPjSE_EEENSF_IJSE_SE_EEES9_SG_JZNS1_25segmented_radix_sort_implINS0_14default_configELb1EPKhPhPKlPlN2at6native12_GLOBAL__N_18offset_tEEE10hipError_tPvRmT1_PNSt15iterator_traitsISY_E10value_typeET2_T3_PNSZ_IS14_E10value_typeET4_jRbjT5_S1A_jjP12ihipStream_tbEUljE_EEESV_SW_SX_S14_S18_S1A_T6_T7_T9_mT8_S1C_bDpT10_ENKUlT_T0_E_clISt17integral_constantIbLb1EES1P_EEDaS1K_S1L_EUlS1K_E_NS1_11comp_targetILNS1_3genE0ELNS1_11target_archE4294967295ELNS1_3gpuE0ELNS1_3repE0EEENS1_30default_config_static_selectorELNS0_4arch9wavefront6targetE0EEEvSY_ ; -- Begin function _ZN7rocprim17ROCPRIM_400000_NS6detail17trampoline_kernelINS0_13select_configILj256ELj13ELNS0_17block_load_methodE3ELS4_3ELS4_3ELNS0_20block_scan_algorithmE0ELj4294967295EEENS1_25partition_config_selectorILNS1_17partition_subalgoE3EjNS0_10empty_typeEbEEZZNS1_14partition_implILS8_3ELb0ES6_jNS0_17counting_iteratorIjlEEPS9_SE_NS0_5tupleIJPjSE_EEENSF_IJSE_SE_EEES9_SG_JZNS1_25segmented_radix_sort_implINS0_14default_configELb1EPKhPhPKlPlN2at6native12_GLOBAL__N_18offset_tEEE10hipError_tPvRmT1_PNSt15iterator_traitsISY_E10value_typeET2_T3_PNSZ_IS14_E10value_typeET4_jRbjT5_S1A_jjP12ihipStream_tbEUljE_EEESV_SW_SX_S14_S18_S1A_T6_T7_T9_mT8_S1C_bDpT10_ENKUlT_T0_E_clISt17integral_constantIbLb1EES1P_EEDaS1K_S1L_EUlS1K_E_NS1_11comp_targetILNS1_3genE0ELNS1_11target_archE4294967295ELNS1_3gpuE0ELNS1_3repE0EEENS1_30default_config_static_selectorELNS0_4arch9wavefront6targetE0EEEvSY_
	.p2align	8
	.type	_ZN7rocprim17ROCPRIM_400000_NS6detail17trampoline_kernelINS0_13select_configILj256ELj13ELNS0_17block_load_methodE3ELS4_3ELS4_3ELNS0_20block_scan_algorithmE0ELj4294967295EEENS1_25partition_config_selectorILNS1_17partition_subalgoE3EjNS0_10empty_typeEbEEZZNS1_14partition_implILS8_3ELb0ES6_jNS0_17counting_iteratorIjlEEPS9_SE_NS0_5tupleIJPjSE_EEENSF_IJSE_SE_EEES9_SG_JZNS1_25segmented_radix_sort_implINS0_14default_configELb1EPKhPhPKlPlN2at6native12_GLOBAL__N_18offset_tEEE10hipError_tPvRmT1_PNSt15iterator_traitsISY_E10value_typeET2_T3_PNSZ_IS14_E10value_typeET4_jRbjT5_S1A_jjP12ihipStream_tbEUljE_EEESV_SW_SX_S14_S18_S1A_T6_T7_T9_mT8_S1C_bDpT10_ENKUlT_T0_E_clISt17integral_constantIbLb1EES1P_EEDaS1K_S1L_EUlS1K_E_NS1_11comp_targetILNS1_3genE0ELNS1_11target_archE4294967295ELNS1_3gpuE0ELNS1_3repE0EEENS1_30default_config_static_selectorELNS0_4arch9wavefront6targetE0EEEvSY_,@function
_ZN7rocprim17ROCPRIM_400000_NS6detail17trampoline_kernelINS0_13select_configILj256ELj13ELNS0_17block_load_methodE3ELS4_3ELS4_3ELNS0_20block_scan_algorithmE0ELj4294967295EEENS1_25partition_config_selectorILNS1_17partition_subalgoE3EjNS0_10empty_typeEbEEZZNS1_14partition_implILS8_3ELb0ES6_jNS0_17counting_iteratorIjlEEPS9_SE_NS0_5tupleIJPjSE_EEENSF_IJSE_SE_EEES9_SG_JZNS1_25segmented_radix_sort_implINS0_14default_configELb1EPKhPhPKlPlN2at6native12_GLOBAL__N_18offset_tEEE10hipError_tPvRmT1_PNSt15iterator_traitsISY_E10value_typeET2_T3_PNSZ_IS14_E10value_typeET4_jRbjT5_S1A_jjP12ihipStream_tbEUljE_EEESV_SW_SX_S14_S18_S1A_T6_T7_T9_mT8_S1C_bDpT10_ENKUlT_T0_E_clISt17integral_constantIbLb1EES1P_EEDaS1K_S1L_EUlS1K_E_NS1_11comp_targetILNS1_3genE0ELNS1_11target_archE4294967295ELNS1_3gpuE0ELNS1_3repE0EEENS1_30default_config_static_selectorELNS0_4arch9wavefront6targetE0EEEvSY_: ; @_ZN7rocprim17ROCPRIM_400000_NS6detail17trampoline_kernelINS0_13select_configILj256ELj13ELNS0_17block_load_methodE3ELS4_3ELS4_3ELNS0_20block_scan_algorithmE0ELj4294967295EEENS1_25partition_config_selectorILNS1_17partition_subalgoE3EjNS0_10empty_typeEbEEZZNS1_14partition_implILS8_3ELb0ES6_jNS0_17counting_iteratorIjlEEPS9_SE_NS0_5tupleIJPjSE_EEENSF_IJSE_SE_EEES9_SG_JZNS1_25segmented_radix_sort_implINS0_14default_configELb1EPKhPhPKlPlN2at6native12_GLOBAL__N_18offset_tEEE10hipError_tPvRmT1_PNSt15iterator_traitsISY_E10value_typeET2_T3_PNSZ_IS14_E10value_typeET4_jRbjT5_S1A_jjP12ihipStream_tbEUljE_EEESV_SW_SX_S14_S18_S1A_T6_T7_T9_mT8_S1C_bDpT10_ENKUlT_T0_E_clISt17integral_constantIbLb1EES1P_EEDaS1K_S1L_EUlS1K_E_NS1_11comp_targetILNS1_3genE0ELNS1_11target_archE4294967295ELNS1_3gpuE0ELNS1_3repE0EEENS1_30default_config_static_selectorELNS0_4arch9wavefront6targetE0EEEvSY_
; %bb.0:
	s_endpgm
	.section	.rodata,"a",@progbits
	.p2align	6, 0x0
	.amdhsa_kernel _ZN7rocprim17ROCPRIM_400000_NS6detail17trampoline_kernelINS0_13select_configILj256ELj13ELNS0_17block_load_methodE3ELS4_3ELS4_3ELNS0_20block_scan_algorithmE0ELj4294967295EEENS1_25partition_config_selectorILNS1_17partition_subalgoE3EjNS0_10empty_typeEbEEZZNS1_14partition_implILS8_3ELb0ES6_jNS0_17counting_iteratorIjlEEPS9_SE_NS0_5tupleIJPjSE_EEENSF_IJSE_SE_EEES9_SG_JZNS1_25segmented_radix_sort_implINS0_14default_configELb1EPKhPhPKlPlN2at6native12_GLOBAL__N_18offset_tEEE10hipError_tPvRmT1_PNSt15iterator_traitsISY_E10value_typeET2_T3_PNSZ_IS14_E10value_typeET4_jRbjT5_S1A_jjP12ihipStream_tbEUljE_EEESV_SW_SX_S14_S18_S1A_T6_T7_T9_mT8_S1C_bDpT10_ENKUlT_T0_E_clISt17integral_constantIbLb1EES1P_EEDaS1K_S1L_EUlS1K_E_NS1_11comp_targetILNS1_3genE0ELNS1_11target_archE4294967295ELNS1_3gpuE0ELNS1_3repE0EEENS1_30default_config_static_selectorELNS0_4arch9wavefront6targetE0EEEvSY_
		.amdhsa_group_segment_fixed_size 0
		.amdhsa_private_segment_fixed_size 0
		.amdhsa_kernarg_size 152
		.amdhsa_user_sgpr_count 2
		.amdhsa_user_sgpr_dispatch_ptr 0
		.amdhsa_user_sgpr_queue_ptr 0
		.amdhsa_user_sgpr_kernarg_segment_ptr 1
		.amdhsa_user_sgpr_dispatch_id 0
		.amdhsa_user_sgpr_kernarg_preload_length 0
		.amdhsa_user_sgpr_kernarg_preload_offset 0
		.amdhsa_user_sgpr_private_segment_size 0
		.amdhsa_wavefront_size32 1
		.amdhsa_uses_dynamic_stack 0
		.amdhsa_enable_private_segment 0
		.amdhsa_system_sgpr_workgroup_id_x 1
		.amdhsa_system_sgpr_workgroup_id_y 0
		.amdhsa_system_sgpr_workgroup_id_z 0
		.amdhsa_system_sgpr_workgroup_info 0
		.amdhsa_system_vgpr_workitem_id 0
		.amdhsa_next_free_vgpr 1
		.amdhsa_next_free_sgpr 1
		.amdhsa_named_barrier_count 0
		.amdhsa_reserve_vcc 0
		.amdhsa_float_round_mode_32 0
		.amdhsa_float_round_mode_16_64 0
		.amdhsa_float_denorm_mode_32 3
		.amdhsa_float_denorm_mode_16_64 3
		.amdhsa_fp16_overflow 0
		.amdhsa_memory_ordered 1
		.amdhsa_forward_progress 1
		.amdhsa_inst_pref_size 1
		.amdhsa_round_robin_scheduling 0
		.amdhsa_exception_fp_ieee_invalid_op 0
		.amdhsa_exception_fp_denorm_src 0
		.amdhsa_exception_fp_ieee_div_zero 0
		.amdhsa_exception_fp_ieee_overflow 0
		.amdhsa_exception_fp_ieee_underflow 0
		.amdhsa_exception_fp_ieee_inexact 0
		.amdhsa_exception_int_div_zero 0
	.end_amdhsa_kernel
	.section	.text._ZN7rocprim17ROCPRIM_400000_NS6detail17trampoline_kernelINS0_13select_configILj256ELj13ELNS0_17block_load_methodE3ELS4_3ELS4_3ELNS0_20block_scan_algorithmE0ELj4294967295EEENS1_25partition_config_selectorILNS1_17partition_subalgoE3EjNS0_10empty_typeEbEEZZNS1_14partition_implILS8_3ELb0ES6_jNS0_17counting_iteratorIjlEEPS9_SE_NS0_5tupleIJPjSE_EEENSF_IJSE_SE_EEES9_SG_JZNS1_25segmented_radix_sort_implINS0_14default_configELb1EPKhPhPKlPlN2at6native12_GLOBAL__N_18offset_tEEE10hipError_tPvRmT1_PNSt15iterator_traitsISY_E10value_typeET2_T3_PNSZ_IS14_E10value_typeET4_jRbjT5_S1A_jjP12ihipStream_tbEUljE_EEESV_SW_SX_S14_S18_S1A_T6_T7_T9_mT8_S1C_bDpT10_ENKUlT_T0_E_clISt17integral_constantIbLb1EES1P_EEDaS1K_S1L_EUlS1K_E_NS1_11comp_targetILNS1_3genE0ELNS1_11target_archE4294967295ELNS1_3gpuE0ELNS1_3repE0EEENS1_30default_config_static_selectorELNS0_4arch9wavefront6targetE0EEEvSY_,"axG",@progbits,_ZN7rocprim17ROCPRIM_400000_NS6detail17trampoline_kernelINS0_13select_configILj256ELj13ELNS0_17block_load_methodE3ELS4_3ELS4_3ELNS0_20block_scan_algorithmE0ELj4294967295EEENS1_25partition_config_selectorILNS1_17partition_subalgoE3EjNS0_10empty_typeEbEEZZNS1_14partition_implILS8_3ELb0ES6_jNS0_17counting_iteratorIjlEEPS9_SE_NS0_5tupleIJPjSE_EEENSF_IJSE_SE_EEES9_SG_JZNS1_25segmented_radix_sort_implINS0_14default_configELb1EPKhPhPKlPlN2at6native12_GLOBAL__N_18offset_tEEE10hipError_tPvRmT1_PNSt15iterator_traitsISY_E10value_typeET2_T3_PNSZ_IS14_E10value_typeET4_jRbjT5_S1A_jjP12ihipStream_tbEUljE_EEESV_SW_SX_S14_S18_S1A_T6_T7_T9_mT8_S1C_bDpT10_ENKUlT_T0_E_clISt17integral_constantIbLb1EES1P_EEDaS1K_S1L_EUlS1K_E_NS1_11comp_targetILNS1_3genE0ELNS1_11target_archE4294967295ELNS1_3gpuE0ELNS1_3repE0EEENS1_30default_config_static_selectorELNS0_4arch9wavefront6targetE0EEEvSY_,comdat
.Lfunc_end57:
	.size	_ZN7rocprim17ROCPRIM_400000_NS6detail17trampoline_kernelINS0_13select_configILj256ELj13ELNS0_17block_load_methodE3ELS4_3ELS4_3ELNS0_20block_scan_algorithmE0ELj4294967295EEENS1_25partition_config_selectorILNS1_17partition_subalgoE3EjNS0_10empty_typeEbEEZZNS1_14partition_implILS8_3ELb0ES6_jNS0_17counting_iteratorIjlEEPS9_SE_NS0_5tupleIJPjSE_EEENSF_IJSE_SE_EEES9_SG_JZNS1_25segmented_radix_sort_implINS0_14default_configELb1EPKhPhPKlPlN2at6native12_GLOBAL__N_18offset_tEEE10hipError_tPvRmT1_PNSt15iterator_traitsISY_E10value_typeET2_T3_PNSZ_IS14_E10value_typeET4_jRbjT5_S1A_jjP12ihipStream_tbEUljE_EEESV_SW_SX_S14_S18_S1A_T6_T7_T9_mT8_S1C_bDpT10_ENKUlT_T0_E_clISt17integral_constantIbLb1EES1P_EEDaS1K_S1L_EUlS1K_E_NS1_11comp_targetILNS1_3genE0ELNS1_11target_archE4294967295ELNS1_3gpuE0ELNS1_3repE0EEENS1_30default_config_static_selectorELNS0_4arch9wavefront6targetE0EEEvSY_, .Lfunc_end57-_ZN7rocprim17ROCPRIM_400000_NS6detail17trampoline_kernelINS0_13select_configILj256ELj13ELNS0_17block_load_methodE3ELS4_3ELS4_3ELNS0_20block_scan_algorithmE0ELj4294967295EEENS1_25partition_config_selectorILNS1_17partition_subalgoE3EjNS0_10empty_typeEbEEZZNS1_14partition_implILS8_3ELb0ES6_jNS0_17counting_iteratorIjlEEPS9_SE_NS0_5tupleIJPjSE_EEENSF_IJSE_SE_EEES9_SG_JZNS1_25segmented_radix_sort_implINS0_14default_configELb1EPKhPhPKlPlN2at6native12_GLOBAL__N_18offset_tEEE10hipError_tPvRmT1_PNSt15iterator_traitsISY_E10value_typeET2_T3_PNSZ_IS14_E10value_typeET4_jRbjT5_S1A_jjP12ihipStream_tbEUljE_EEESV_SW_SX_S14_S18_S1A_T6_T7_T9_mT8_S1C_bDpT10_ENKUlT_T0_E_clISt17integral_constantIbLb1EES1P_EEDaS1K_S1L_EUlS1K_E_NS1_11comp_targetILNS1_3genE0ELNS1_11target_archE4294967295ELNS1_3gpuE0ELNS1_3repE0EEENS1_30default_config_static_selectorELNS0_4arch9wavefront6targetE0EEEvSY_
                                        ; -- End function
	.set _ZN7rocprim17ROCPRIM_400000_NS6detail17trampoline_kernelINS0_13select_configILj256ELj13ELNS0_17block_load_methodE3ELS4_3ELS4_3ELNS0_20block_scan_algorithmE0ELj4294967295EEENS1_25partition_config_selectorILNS1_17partition_subalgoE3EjNS0_10empty_typeEbEEZZNS1_14partition_implILS8_3ELb0ES6_jNS0_17counting_iteratorIjlEEPS9_SE_NS0_5tupleIJPjSE_EEENSF_IJSE_SE_EEES9_SG_JZNS1_25segmented_radix_sort_implINS0_14default_configELb1EPKhPhPKlPlN2at6native12_GLOBAL__N_18offset_tEEE10hipError_tPvRmT1_PNSt15iterator_traitsISY_E10value_typeET2_T3_PNSZ_IS14_E10value_typeET4_jRbjT5_S1A_jjP12ihipStream_tbEUljE_EEESV_SW_SX_S14_S18_S1A_T6_T7_T9_mT8_S1C_bDpT10_ENKUlT_T0_E_clISt17integral_constantIbLb1EES1P_EEDaS1K_S1L_EUlS1K_E_NS1_11comp_targetILNS1_3genE0ELNS1_11target_archE4294967295ELNS1_3gpuE0ELNS1_3repE0EEENS1_30default_config_static_selectorELNS0_4arch9wavefront6targetE0EEEvSY_.num_vgpr, 0
	.set _ZN7rocprim17ROCPRIM_400000_NS6detail17trampoline_kernelINS0_13select_configILj256ELj13ELNS0_17block_load_methodE3ELS4_3ELS4_3ELNS0_20block_scan_algorithmE0ELj4294967295EEENS1_25partition_config_selectorILNS1_17partition_subalgoE3EjNS0_10empty_typeEbEEZZNS1_14partition_implILS8_3ELb0ES6_jNS0_17counting_iteratorIjlEEPS9_SE_NS0_5tupleIJPjSE_EEENSF_IJSE_SE_EEES9_SG_JZNS1_25segmented_radix_sort_implINS0_14default_configELb1EPKhPhPKlPlN2at6native12_GLOBAL__N_18offset_tEEE10hipError_tPvRmT1_PNSt15iterator_traitsISY_E10value_typeET2_T3_PNSZ_IS14_E10value_typeET4_jRbjT5_S1A_jjP12ihipStream_tbEUljE_EEESV_SW_SX_S14_S18_S1A_T6_T7_T9_mT8_S1C_bDpT10_ENKUlT_T0_E_clISt17integral_constantIbLb1EES1P_EEDaS1K_S1L_EUlS1K_E_NS1_11comp_targetILNS1_3genE0ELNS1_11target_archE4294967295ELNS1_3gpuE0ELNS1_3repE0EEENS1_30default_config_static_selectorELNS0_4arch9wavefront6targetE0EEEvSY_.num_agpr, 0
	.set _ZN7rocprim17ROCPRIM_400000_NS6detail17trampoline_kernelINS0_13select_configILj256ELj13ELNS0_17block_load_methodE3ELS4_3ELS4_3ELNS0_20block_scan_algorithmE0ELj4294967295EEENS1_25partition_config_selectorILNS1_17partition_subalgoE3EjNS0_10empty_typeEbEEZZNS1_14partition_implILS8_3ELb0ES6_jNS0_17counting_iteratorIjlEEPS9_SE_NS0_5tupleIJPjSE_EEENSF_IJSE_SE_EEES9_SG_JZNS1_25segmented_radix_sort_implINS0_14default_configELb1EPKhPhPKlPlN2at6native12_GLOBAL__N_18offset_tEEE10hipError_tPvRmT1_PNSt15iterator_traitsISY_E10value_typeET2_T3_PNSZ_IS14_E10value_typeET4_jRbjT5_S1A_jjP12ihipStream_tbEUljE_EEESV_SW_SX_S14_S18_S1A_T6_T7_T9_mT8_S1C_bDpT10_ENKUlT_T0_E_clISt17integral_constantIbLb1EES1P_EEDaS1K_S1L_EUlS1K_E_NS1_11comp_targetILNS1_3genE0ELNS1_11target_archE4294967295ELNS1_3gpuE0ELNS1_3repE0EEENS1_30default_config_static_selectorELNS0_4arch9wavefront6targetE0EEEvSY_.numbered_sgpr, 0
	.set _ZN7rocprim17ROCPRIM_400000_NS6detail17trampoline_kernelINS0_13select_configILj256ELj13ELNS0_17block_load_methodE3ELS4_3ELS4_3ELNS0_20block_scan_algorithmE0ELj4294967295EEENS1_25partition_config_selectorILNS1_17partition_subalgoE3EjNS0_10empty_typeEbEEZZNS1_14partition_implILS8_3ELb0ES6_jNS0_17counting_iteratorIjlEEPS9_SE_NS0_5tupleIJPjSE_EEENSF_IJSE_SE_EEES9_SG_JZNS1_25segmented_radix_sort_implINS0_14default_configELb1EPKhPhPKlPlN2at6native12_GLOBAL__N_18offset_tEEE10hipError_tPvRmT1_PNSt15iterator_traitsISY_E10value_typeET2_T3_PNSZ_IS14_E10value_typeET4_jRbjT5_S1A_jjP12ihipStream_tbEUljE_EEESV_SW_SX_S14_S18_S1A_T6_T7_T9_mT8_S1C_bDpT10_ENKUlT_T0_E_clISt17integral_constantIbLb1EES1P_EEDaS1K_S1L_EUlS1K_E_NS1_11comp_targetILNS1_3genE0ELNS1_11target_archE4294967295ELNS1_3gpuE0ELNS1_3repE0EEENS1_30default_config_static_selectorELNS0_4arch9wavefront6targetE0EEEvSY_.num_named_barrier, 0
	.set _ZN7rocprim17ROCPRIM_400000_NS6detail17trampoline_kernelINS0_13select_configILj256ELj13ELNS0_17block_load_methodE3ELS4_3ELS4_3ELNS0_20block_scan_algorithmE0ELj4294967295EEENS1_25partition_config_selectorILNS1_17partition_subalgoE3EjNS0_10empty_typeEbEEZZNS1_14partition_implILS8_3ELb0ES6_jNS0_17counting_iteratorIjlEEPS9_SE_NS0_5tupleIJPjSE_EEENSF_IJSE_SE_EEES9_SG_JZNS1_25segmented_radix_sort_implINS0_14default_configELb1EPKhPhPKlPlN2at6native12_GLOBAL__N_18offset_tEEE10hipError_tPvRmT1_PNSt15iterator_traitsISY_E10value_typeET2_T3_PNSZ_IS14_E10value_typeET4_jRbjT5_S1A_jjP12ihipStream_tbEUljE_EEESV_SW_SX_S14_S18_S1A_T6_T7_T9_mT8_S1C_bDpT10_ENKUlT_T0_E_clISt17integral_constantIbLb1EES1P_EEDaS1K_S1L_EUlS1K_E_NS1_11comp_targetILNS1_3genE0ELNS1_11target_archE4294967295ELNS1_3gpuE0ELNS1_3repE0EEENS1_30default_config_static_selectorELNS0_4arch9wavefront6targetE0EEEvSY_.private_seg_size, 0
	.set _ZN7rocprim17ROCPRIM_400000_NS6detail17trampoline_kernelINS0_13select_configILj256ELj13ELNS0_17block_load_methodE3ELS4_3ELS4_3ELNS0_20block_scan_algorithmE0ELj4294967295EEENS1_25partition_config_selectorILNS1_17partition_subalgoE3EjNS0_10empty_typeEbEEZZNS1_14partition_implILS8_3ELb0ES6_jNS0_17counting_iteratorIjlEEPS9_SE_NS0_5tupleIJPjSE_EEENSF_IJSE_SE_EEES9_SG_JZNS1_25segmented_radix_sort_implINS0_14default_configELb1EPKhPhPKlPlN2at6native12_GLOBAL__N_18offset_tEEE10hipError_tPvRmT1_PNSt15iterator_traitsISY_E10value_typeET2_T3_PNSZ_IS14_E10value_typeET4_jRbjT5_S1A_jjP12ihipStream_tbEUljE_EEESV_SW_SX_S14_S18_S1A_T6_T7_T9_mT8_S1C_bDpT10_ENKUlT_T0_E_clISt17integral_constantIbLb1EES1P_EEDaS1K_S1L_EUlS1K_E_NS1_11comp_targetILNS1_3genE0ELNS1_11target_archE4294967295ELNS1_3gpuE0ELNS1_3repE0EEENS1_30default_config_static_selectorELNS0_4arch9wavefront6targetE0EEEvSY_.uses_vcc, 0
	.set _ZN7rocprim17ROCPRIM_400000_NS6detail17trampoline_kernelINS0_13select_configILj256ELj13ELNS0_17block_load_methodE3ELS4_3ELS4_3ELNS0_20block_scan_algorithmE0ELj4294967295EEENS1_25partition_config_selectorILNS1_17partition_subalgoE3EjNS0_10empty_typeEbEEZZNS1_14partition_implILS8_3ELb0ES6_jNS0_17counting_iteratorIjlEEPS9_SE_NS0_5tupleIJPjSE_EEENSF_IJSE_SE_EEES9_SG_JZNS1_25segmented_radix_sort_implINS0_14default_configELb1EPKhPhPKlPlN2at6native12_GLOBAL__N_18offset_tEEE10hipError_tPvRmT1_PNSt15iterator_traitsISY_E10value_typeET2_T3_PNSZ_IS14_E10value_typeET4_jRbjT5_S1A_jjP12ihipStream_tbEUljE_EEESV_SW_SX_S14_S18_S1A_T6_T7_T9_mT8_S1C_bDpT10_ENKUlT_T0_E_clISt17integral_constantIbLb1EES1P_EEDaS1K_S1L_EUlS1K_E_NS1_11comp_targetILNS1_3genE0ELNS1_11target_archE4294967295ELNS1_3gpuE0ELNS1_3repE0EEENS1_30default_config_static_selectorELNS0_4arch9wavefront6targetE0EEEvSY_.uses_flat_scratch, 0
	.set _ZN7rocprim17ROCPRIM_400000_NS6detail17trampoline_kernelINS0_13select_configILj256ELj13ELNS0_17block_load_methodE3ELS4_3ELS4_3ELNS0_20block_scan_algorithmE0ELj4294967295EEENS1_25partition_config_selectorILNS1_17partition_subalgoE3EjNS0_10empty_typeEbEEZZNS1_14partition_implILS8_3ELb0ES6_jNS0_17counting_iteratorIjlEEPS9_SE_NS0_5tupleIJPjSE_EEENSF_IJSE_SE_EEES9_SG_JZNS1_25segmented_radix_sort_implINS0_14default_configELb1EPKhPhPKlPlN2at6native12_GLOBAL__N_18offset_tEEE10hipError_tPvRmT1_PNSt15iterator_traitsISY_E10value_typeET2_T3_PNSZ_IS14_E10value_typeET4_jRbjT5_S1A_jjP12ihipStream_tbEUljE_EEESV_SW_SX_S14_S18_S1A_T6_T7_T9_mT8_S1C_bDpT10_ENKUlT_T0_E_clISt17integral_constantIbLb1EES1P_EEDaS1K_S1L_EUlS1K_E_NS1_11comp_targetILNS1_3genE0ELNS1_11target_archE4294967295ELNS1_3gpuE0ELNS1_3repE0EEENS1_30default_config_static_selectorELNS0_4arch9wavefront6targetE0EEEvSY_.has_dyn_sized_stack, 0
	.set _ZN7rocprim17ROCPRIM_400000_NS6detail17trampoline_kernelINS0_13select_configILj256ELj13ELNS0_17block_load_methodE3ELS4_3ELS4_3ELNS0_20block_scan_algorithmE0ELj4294967295EEENS1_25partition_config_selectorILNS1_17partition_subalgoE3EjNS0_10empty_typeEbEEZZNS1_14partition_implILS8_3ELb0ES6_jNS0_17counting_iteratorIjlEEPS9_SE_NS0_5tupleIJPjSE_EEENSF_IJSE_SE_EEES9_SG_JZNS1_25segmented_radix_sort_implINS0_14default_configELb1EPKhPhPKlPlN2at6native12_GLOBAL__N_18offset_tEEE10hipError_tPvRmT1_PNSt15iterator_traitsISY_E10value_typeET2_T3_PNSZ_IS14_E10value_typeET4_jRbjT5_S1A_jjP12ihipStream_tbEUljE_EEESV_SW_SX_S14_S18_S1A_T6_T7_T9_mT8_S1C_bDpT10_ENKUlT_T0_E_clISt17integral_constantIbLb1EES1P_EEDaS1K_S1L_EUlS1K_E_NS1_11comp_targetILNS1_3genE0ELNS1_11target_archE4294967295ELNS1_3gpuE0ELNS1_3repE0EEENS1_30default_config_static_selectorELNS0_4arch9wavefront6targetE0EEEvSY_.has_recursion, 0
	.set _ZN7rocprim17ROCPRIM_400000_NS6detail17trampoline_kernelINS0_13select_configILj256ELj13ELNS0_17block_load_methodE3ELS4_3ELS4_3ELNS0_20block_scan_algorithmE0ELj4294967295EEENS1_25partition_config_selectorILNS1_17partition_subalgoE3EjNS0_10empty_typeEbEEZZNS1_14partition_implILS8_3ELb0ES6_jNS0_17counting_iteratorIjlEEPS9_SE_NS0_5tupleIJPjSE_EEENSF_IJSE_SE_EEES9_SG_JZNS1_25segmented_radix_sort_implINS0_14default_configELb1EPKhPhPKlPlN2at6native12_GLOBAL__N_18offset_tEEE10hipError_tPvRmT1_PNSt15iterator_traitsISY_E10value_typeET2_T3_PNSZ_IS14_E10value_typeET4_jRbjT5_S1A_jjP12ihipStream_tbEUljE_EEESV_SW_SX_S14_S18_S1A_T6_T7_T9_mT8_S1C_bDpT10_ENKUlT_T0_E_clISt17integral_constantIbLb1EES1P_EEDaS1K_S1L_EUlS1K_E_NS1_11comp_targetILNS1_3genE0ELNS1_11target_archE4294967295ELNS1_3gpuE0ELNS1_3repE0EEENS1_30default_config_static_selectorELNS0_4arch9wavefront6targetE0EEEvSY_.has_indirect_call, 0
	.section	.AMDGPU.csdata,"",@progbits
; Kernel info:
; codeLenInByte = 4
; TotalNumSgprs: 0
; NumVgprs: 0
; ScratchSize: 0
; MemoryBound: 0
; FloatMode: 240
; IeeeMode: 1
; LDSByteSize: 0 bytes/workgroup (compile time only)
; SGPRBlocks: 0
; VGPRBlocks: 0
; NumSGPRsForWavesPerEU: 1
; NumVGPRsForWavesPerEU: 1
; NamedBarCnt: 0
; Occupancy: 16
; WaveLimiterHint : 0
; COMPUTE_PGM_RSRC2:SCRATCH_EN: 0
; COMPUTE_PGM_RSRC2:USER_SGPR: 2
; COMPUTE_PGM_RSRC2:TRAP_HANDLER: 0
; COMPUTE_PGM_RSRC2:TGID_X_EN: 1
; COMPUTE_PGM_RSRC2:TGID_Y_EN: 0
; COMPUTE_PGM_RSRC2:TGID_Z_EN: 0
; COMPUTE_PGM_RSRC2:TIDIG_COMP_CNT: 0
	.section	.text._ZN7rocprim17ROCPRIM_400000_NS6detail17trampoline_kernelINS0_13select_configILj256ELj13ELNS0_17block_load_methodE3ELS4_3ELS4_3ELNS0_20block_scan_algorithmE0ELj4294967295EEENS1_25partition_config_selectorILNS1_17partition_subalgoE3EjNS0_10empty_typeEbEEZZNS1_14partition_implILS8_3ELb0ES6_jNS0_17counting_iteratorIjlEEPS9_SE_NS0_5tupleIJPjSE_EEENSF_IJSE_SE_EEES9_SG_JZNS1_25segmented_radix_sort_implINS0_14default_configELb1EPKhPhPKlPlN2at6native12_GLOBAL__N_18offset_tEEE10hipError_tPvRmT1_PNSt15iterator_traitsISY_E10value_typeET2_T3_PNSZ_IS14_E10value_typeET4_jRbjT5_S1A_jjP12ihipStream_tbEUljE_EEESV_SW_SX_S14_S18_S1A_T6_T7_T9_mT8_S1C_bDpT10_ENKUlT_T0_E_clISt17integral_constantIbLb1EES1P_EEDaS1K_S1L_EUlS1K_E_NS1_11comp_targetILNS1_3genE5ELNS1_11target_archE942ELNS1_3gpuE9ELNS1_3repE0EEENS1_30default_config_static_selectorELNS0_4arch9wavefront6targetE0EEEvSY_,"axG",@progbits,_ZN7rocprim17ROCPRIM_400000_NS6detail17trampoline_kernelINS0_13select_configILj256ELj13ELNS0_17block_load_methodE3ELS4_3ELS4_3ELNS0_20block_scan_algorithmE0ELj4294967295EEENS1_25partition_config_selectorILNS1_17partition_subalgoE3EjNS0_10empty_typeEbEEZZNS1_14partition_implILS8_3ELb0ES6_jNS0_17counting_iteratorIjlEEPS9_SE_NS0_5tupleIJPjSE_EEENSF_IJSE_SE_EEES9_SG_JZNS1_25segmented_radix_sort_implINS0_14default_configELb1EPKhPhPKlPlN2at6native12_GLOBAL__N_18offset_tEEE10hipError_tPvRmT1_PNSt15iterator_traitsISY_E10value_typeET2_T3_PNSZ_IS14_E10value_typeET4_jRbjT5_S1A_jjP12ihipStream_tbEUljE_EEESV_SW_SX_S14_S18_S1A_T6_T7_T9_mT8_S1C_bDpT10_ENKUlT_T0_E_clISt17integral_constantIbLb1EES1P_EEDaS1K_S1L_EUlS1K_E_NS1_11comp_targetILNS1_3genE5ELNS1_11target_archE942ELNS1_3gpuE9ELNS1_3repE0EEENS1_30default_config_static_selectorELNS0_4arch9wavefront6targetE0EEEvSY_,comdat
	.globl	_ZN7rocprim17ROCPRIM_400000_NS6detail17trampoline_kernelINS0_13select_configILj256ELj13ELNS0_17block_load_methodE3ELS4_3ELS4_3ELNS0_20block_scan_algorithmE0ELj4294967295EEENS1_25partition_config_selectorILNS1_17partition_subalgoE3EjNS0_10empty_typeEbEEZZNS1_14partition_implILS8_3ELb0ES6_jNS0_17counting_iteratorIjlEEPS9_SE_NS0_5tupleIJPjSE_EEENSF_IJSE_SE_EEES9_SG_JZNS1_25segmented_radix_sort_implINS0_14default_configELb1EPKhPhPKlPlN2at6native12_GLOBAL__N_18offset_tEEE10hipError_tPvRmT1_PNSt15iterator_traitsISY_E10value_typeET2_T3_PNSZ_IS14_E10value_typeET4_jRbjT5_S1A_jjP12ihipStream_tbEUljE_EEESV_SW_SX_S14_S18_S1A_T6_T7_T9_mT8_S1C_bDpT10_ENKUlT_T0_E_clISt17integral_constantIbLb1EES1P_EEDaS1K_S1L_EUlS1K_E_NS1_11comp_targetILNS1_3genE5ELNS1_11target_archE942ELNS1_3gpuE9ELNS1_3repE0EEENS1_30default_config_static_selectorELNS0_4arch9wavefront6targetE0EEEvSY_ ; -- Begin function _ZN7rocprim17ROCPRIM_400000_NS6detail17trampoline_kernelINS0_13select_configILj256ELj13ELNS0_17block_load_methodE3ELS4_3ELS4_3ELNS0_20block_scan_algorithmE0ELj4294967295EEENS1_25partition_config_selectorILNS1_17partition_subalgoE3EjNS0_10empty_typeEbEEZZNS1_14partition_implILS8_3ELb0ES6_jNS0_17counting_iteratorIjlEEPS9_SE_NS0_5tupleIJPjSE_EEENSF_IJSE_SE_EEES9_SG_JZNS1_25segmented_radix_sort_implINS0_14default_configELb1EPKhPhPKlPlN2at6native12_GLOBAL__N_18offset_tEEE10hipError_tPvRmT1_PNSt15iterator_traitsISY_E10value_typeET2_T3_PNSZ_IS14_E10value_typeET4_jRbjT5_S1A_jjP12ihipStream_tbEUljE_EEESV_SW_SX_S14_S18_S1A_T6_T7_T9_mT8_S1C_bDpT10_ENKUlT_T0_E_clISt17integral_constantIbLb1EES1P_EEDaS1K_S1L_EUlS1K_E_NS1_11comp_targetILNS1_3genE5ELNS1_11target_archE942ELNS1_3gpuE9ELNS1_3repE0EEENS1_30default_config_static_selectorELNS0_4arch9wavefront6targetE0EEEvSY_
	.p2align	8
	.type	_ZN7rocprim17ROCPRIM_400000_NS6detail17trampoline_kernelINS0_13select_configILj256ELj13ELNS0_17block_load_methodE3ELS4_3ELS4_3ELNS0_20block_scan_algorithmE0ELj4294967295EEENS1_25partition_config_selectorILNS1_17partition_subalgoE3EjNS0_10empty_typeEbEEZZNS1_14partition_implILS8_3ELb0ES6_jNS0_17counting_iteratorIjlEEPS9_SE_NS0_5tupleIJPjSE_EEENSF_IJSE_SE_EEES9_SG_JZNS1_25segmented_radix_sort_implINS0_14default_configELb1EPKhPhPKlPlN2at6native12_GLOBAL__N_18offset_tEEE10hipError_tPvRmT1_PNSt15iterator_traitsISY_E10value_typeET2_T3_PNSZ_IS14_E10value_typeET4_jRbjT5_S1A_jjP12ihipStream_tbEUljE_EEESV_SW_SX_S14_S18_S1A_T6_T7_T9_mT8_S1C_bDpT10_ENKUlT_T0_E_clISt17integral_constantIbLb1EES1P_EEDaS1K_S1L_EUlS1K_E_NS1_11comp_targetILNS1_3genE5ELNS1_11target_archE942ELNS1_3gpuE9ELNS1_3repE0EEENS1_30default_config_static_selectorELNS0_4arch9wavefront6targetE0EEEvSY_,@function
_ZN7rocprim17ROCPRIM_400000_NS6detail17trampoline_kernelINS0_13select_configILj256ELj13ELNS0_17block_load_methodE3ELS4_3ELS4_3ELNS0_20block_scan_algorithmE0ELj4294967295EEENS1_25partition_config_selectorILNS1_17partition_subalgoE3EjNS0_10empty_typeEbEEZZNS1_14partition_implILS8_3ELb0ES6_jNS0_17counting_iteratorIjlEEPS9_SE_NS0_5tupleIJPjSE_EEENSF_IJSE_SE_EEES9_SG_JZNS1_25segmented_radix_sort_implINS0_14default_configELb1EPKhPhPKlPlN2at6native12_GLOBAL__N_18offset_tEEE10hipError_tPvRmT1_PNSt15iterator_traitsISY_E10value_typeET2_T3_PNSZ_IS14_E10value_typeET4_jRbjT5_S1A_jjP12ihipStream_tbEUljE_EEESV_SW_SX_S14_S18_S1A_T6_T7_T9_mT8_S1C_bDpT10_ENKUlT_T0_E_clISt17integral_constantIbLb1EES1P_EEDaS1K_S1L_EUlS1K_E_NS1_11comp_targetILNS1_3genE5ELNS1_11target_archE942ELNS1_3gpuE9ELNS1_3repE0EEENS1_30default_config_static_selectorELNS0_4arch9wavefront6targetE0EEEvSY_: ; @_ZN7rocprim17ROCPRIM_400000_NS6detail17trampoline_kernelINS0_13select_configILj256ELj13ELNS0_17block_load_methodE3ELS4_3ELS4_3ELNS0_20block_scan_algorithmE0ELj4294967295EEENS1_25partition_config_selectorILNS1_17partition_subalgoE3EjNS0_10empty_typeEbEEZZNS1_14partition_implILS8_3ELb0ES6_jNS0_17counting_iteratorIjlEEPS9_SE_NS0_5tupleIJPjSE_EEENSF_IJSE_SE_EEES9_SG_JZNS1_25segmented_radix_sort_implINS0_14default_configELb1EPKhPhPKlPlN2at6native12_GLOBAL__N_18offset_tEEE10hipError_tPvRmT1_PNSt15iterator_traitsISY_E10value_typeET2_T3_PNSZ_IS14_E10value_typeET4_jRbjT5_S1A_jjP12ihipStream_tbEUljE_EEESV_SW_SX_S14_S18_S1A_T6_T7_T9_mT8_S1C_bDpT10_ENKUlT_T0_E_clISt17integral_constantIbLb1EES1P_EEDaS1K_S1L_EUlS1K_E_NS1_11comp_targetILNS1_3genE5ELNS1_11target_archE942ELNS1_3gpuE9ELNS1_3repE0EEENS1_30default_config_static_selectorELNS0_4arch9wavefront6targetE0EEEvSY_
; %bb.0:
	.section	.rodata,"a",@progbits
	.p2align	6, 0x0
	.amdhsa_kernel _ZN7rocprim17ROCPRIM_400000_NS6detail17trampoline_kernelINS0_13select_configILj256ELj13ELNS0_17block_load_methodE3ELS4_3ELS4_3ELNS0_20block_scan_algorithmE0ELj4294967295EEENS1_25partition_config_selectorILNS1_17partition_subalgoE3EjNS0_10empty_typeEbEEZZNS1_14partition_implILS8_3ELb0ES6_jNS0_17counting_iteratorIjlEEPS9_SE_NS0_5tupleIJPjSE_EEENSF_IJSE_SE_EEES9_SG_JZNS1_25segmented_radix_sort_implINS0_14default_configELb1EPKhPhPKlPlN2at6native12_GLOBAL__N_18offset_tEEE10hipError_tPvRmT1_PNSt15iterator_traitsISY_E10value_typeET2_T3_PNSZ_IS14_E10value_typeET4_jRbjT5_S1A_jjP12ihipStream_tbEUljE_EEESV_SW_SX_S14_S18_S1A_T6_T7_T9_mT8_S1C_bDpT10_ENKUlT_T0_E_clISt17integral_constantIbLb1EES1P_EEDaS1K_S1L_EUlS1K_E_NS1_11comp_targetILNS1_3genE5ELNS1_11target_archE942ELNS1_3gpuE9ELNS1_3repE0EEENS1_30default_config_static_selectorELNS0_4arch9wavefront6targetE0EEEvSY_
		.amdhsa_group_segment_fixed_size 0
		.amdhsa_private_segment_fixed_size 0
		.amdhsa_kernarg_size 152
		.amdhsa_user_sgpr_count 2
		.amdhsa_user_sgpr_dispatch_ptr 0
		.amdhsa_user_sgpr_queue_ptr 0
		.amdhsa_user_sgpr_kernarg_segment_ptr 1
		.amdhsa_user_sgpr_dispatch_id 0
		.amdhsa_user_sgpr_kernarg_preload_length 0
		.amdhsa_user_sgpr_kernarg_preload_offset 0
		.amdhsa_user_sgpr_private_segment_size 0
		.amdhsa_wavefront_size32 1
		.amdhsa_uses_dynamic_stack 0
		.amdhsa_enable_private_segment 0
		.amdhsa_system_sgpr_workgroup_id_x 1
		.amdhsa_system_sgpr_workgroup_id_y 0
		.amdhsa_system_sgpr_workgroup_id_z 0
		.amdhsa_system_sgpr_workgroup_info 0
		.amdhsa_system_vgpr_workitem_id 0
		.amdhsa_next_free_vgpr 1
		.amdhsa_next_free_sgpr 1
		.amdhsa_named_barrier_count 0
		.amdhsa_reserve_vcc 0
		.amdhsa_float_round_mode_32 0
		.amdhsa_float_round_mode_16_64 0
		.amdhsa_float_denorm_mode_32 3
		.amdhsa_float_denorm_mode_16_64 3
		.amdhsa_fp16_overflow 0
		.amdhsa_memory_ordered 1
		.amdhsa_forward_progress 1
		.amdhsa_inst_pref_size 0
		.amdhsa_round_robin_scheduling 0
		.amdhsa_exception_fp_ieee_invalid_op 0
		.amdhsa_exception_fp_denorm_src 0
		.amdhsa_exception_fp_ieee_div_zero 0
		.amdhsa_exception_fp_ieee_overflow 0
		.amdhsa_exception_fp_ieee_underflow 0
		.amdhsa_exception_fp_ieee_inexact 0
		.amdhsa_exception_int_div_zero 0
	.end_amdhsa_kernel
	.section	.text._ZN7rocprim17ROCPRIM_400000_NS6detail17trampoline_kernelINS0_13select_configILj256ELj13ELNS0_17block_load_methodE3ELS4_3ELS4_3ELNS0_20block_scan_algorithmE0ELj4294967295EEENS1_25partition_config_selectorILNS1_17partition_subalgoE3EjNS0_10empty_typeEbEEZZNS1_14partition_implILS8_3ELb0ES6_jNS0_17counting_iteratorIjlEEPS9_SE_NS0_5tupleIJPjSE_EEENSF_IJSE_SE_EEES9_SG_JZNS1_25segmented_radix_sort_implINS0_14default_configELb1EPKhPhPKlPlN2at6native12_GLOBAL__N_18offset_tEEE10hipError_tPvRmT1_PNSt15iterator_traitsISY_E10value_typeET2_T3_PNSZ_IS14_E10value_typeET4_jRbjT5_S1A_jjP12ihipStream_tbEUljE_EEESV_SW_SX_S14_S18_S1A_T6_T7_T9_mT8_S1C_bDpT10_ENKUlT_T0_E_clISt17integral_constantIbLb1EES1P_EEDaS1K_S1L_EUlS1K_E_NS1_11comp_targetILNS1_3genE5ELNS1_11target_archE942ELNS1_3gpuE9ELNS1_3repE0EEENS1_30default_config_static_selectorELNS0_4arch9wavefront6targetE0EEEvSY_,"axG",@progbits,_ZN7rocprim17ROCPRIM_400000_NS6detail17trampoline_kernelINS0_13select_configILj256ELj13ELNS0_17block_load_methodE3ELS4_3ELS4_3ELNS0_20block_scan_algorithmE0ELj4294967295EEENS1_25partition_config_selectorILNS1_17partition_subalgoE3EjNS0_10empty_typeEbEEZZNS1_14partition_implILS8_3ELb0ES6_jNS0_17counting_iteratorIjlEEPS9_SE_NS0_5tupleIJPjSE_EEENSF_IJSE_SE_EEES9_SG_JZNS1_25segmented_radix_sort_implINS0_14default_configELb1EPKhPhPKlPlN2at6native12_GLOBAL__N_18offset_tEEE10hipError_tPvRmT1_PNSt15iterator_traitsISY_E10value_typeET2_T3_PNSZ_IS14_E10value_typeET4_jRbjT5_S1A_jjP12ihipStream_tbEUljE_EEESV_SW_SX_S14_S18_S1A_T6_T7_T9_mT8_S1C_bDpT10_ENKUlT_T0_E_clISt17integral_constantIbLb1EES1P_EEDaS1K_S1L_EUlS1K_E_NS1_11comp_targetILNS1_3genE5ELNS1_11target_archE942ELNS1_3gpuE9ELNS1_3repE0EEENS1_30default_config_static_selectorELNS0_4arch9wavefront6targetE0EEEvSY_,comdat
.Lfunc_end58:
	.size	_ZN7rocprim17ROCPRIM_400000_NS6detail17trampoline_kernelINS0_13select_configILj256ELj13ELNS0_17block_load_methodE3ELS4_3ELS4_3ELNS0_20block_scan_algorithmE0ELj4294967295EEENS1_25partition_config_selectorILNS1_17partition_subalgoE3EjNS0_10empty_typeEbEEZZNS1_14partition_implILS8_3ELb0ES6_jNS0_17counting_iteratorIjlEEPS9_SE_NS0_5tupleIJPjSE_EEENSF_IJSE_SE_EEES9_SG_JZNS1_25segmented_radix_sort_implINS0_14default_configELb1EPKhPhPKlPlN2at6native12_GLOBAL__N_18offset_tEEE10hipError_tPvRmT1_PNSt15iterator_traitsISY_E10value_typeET2_T3_PNSZ_IS14_E10value_typeET4_jRbjT5_S1A_jjP12ihipStream_tbEUljE_EEESV_SW_SX_S14_S18_S1A_T6_T7_T9_mT8_S1C_bDpT10_ENKUlT_T0_E_clISt17integral_constantIbLb1EES1P_EEDaS1K_S1L_EUlS1K_E_NS1_11comp_targetILNS1_3genE5ELNS1_11target_archE942ELNS1_3gpuE9ELNS1_3repE0EEENS1_30default_config_static_selectorELNS0_4arch9wavefront6targetE0EEEvSY_, .Lfunc_end58-_ZN7rocprim17ROCPRIM_400000_NS6detail17trampoline_kernelINS0_13select_configILj256ELj13ELNS0_17block_load_methodE3ELS4_3ELS4_3ELNS0_20block_scan_algorithmE0ELj4294967295EEENS1_25partition_config_selectorILNS1_17partition_subalgoE3EjNS0_10empty_typeEbEEZZNS1_14partition_implILS8_3ELb0ES6_jNS0_17counting_iteratorIjlEEPS9_SE_NS0_5tupleIJPjSE_EEENSF_IJSE_SE_EEES9_SG_JZNS1_25segmented_radix_sort_implINS0_14default_configELb1EPKhPhPKlPlN2at6native12_GLOBAL__N_18offset_tEEE10hipError_tPvRmT1_PNSt15iterator_traitsISY_E10value_typeET2_T3_PNSZ_IS14_E10value_typeET4_jRbjT5_S1A_jjP12ihipStream_tbEUljE_EEESV_SW_SX_S14_S18_S1A_T6_T7_T9_mT8_S1C_bDpT10_ENKUlT_T0_E_clISt17integral_constantIbLb1EES1P_EEDaS1K_S1L_EUlS1K_E_NS1_11comp_targetILNS1_3genE5ELNS1_11target_archE942ELNS1_3gpuE9ELNS1_3repE0EEENS1_30default_config_static_selectorELNS0_4arch9wavefront6targetE0EEEvSY_
                                        ; -- End function
	.set _ZN7rocprim17ROCPRIM_400000_NS6detail17trampoline_kernelINS0_13select_configILj256ELj13ELNS0_17block_load_methodE3ELS4_3ELS4_3ELNS0_20block_scan_algorithmE0ELj4294967295EEENS1_25partition_config_selectorILNS1_17partition_subalgoE3EjNS0_10empty_typeEbEEZZNS1_14partition_implILS8_3ELb0ES6_jNS0_17counting_iteratorIjlEEPS9_SE_NS0_5tupleIJPjSE_EEENSF_IJSE_SE_EEES9_SG_JZNS1_25segmented_radix_sort_implINS0_14default_configELb1EPKhPhPKlPlN2at6native12_GLOBAL__N_18offset_tEEE10hipError_tPvRmT1_PNSt15iterator_traitsISY_E10value_typeET2_T3_PNSZ_IS14_E10value_typeET4_jRbjT5_S1A_jjP12ihipStream_tbEUljE_EEESV_SW_SX_S14_S18_S1A_T6_T7_T9_mT8_S1C_bDpT10_ENKUlT_T0_E_clISt17integral_constantIbLb1EES1P_EEDaS1K_S1L_EUlS1K_E_NS1_11comp_targetILNS1_3genE5ELNS1_11target_archE942ELNS1_3gpuE9ELNS1_3repE0EEENS1_30default_config_static_selectorELNS0_4arch9wavefront6targetE0EEEvSY_.num_vgpr, 0
	.set _ZN7rocprim17ROCPRIM_400000_NS6detail17trampoline_kernelINS0_13select_configILj256ELj13ELNS0_17block_load_methodE3ELS4_3ELS4_3ELNS0_20block_scan_algorithmE0ELj4294967295EEENS1_25partition_config_selectorILNS1_17partition_subalgoE3EjNS0_10empty_typeEbEEZZNS1_14partition_implILS8_3ELb0ES6_jNS0_17counting_iteratorIjlEEPS9_SE_NS0_5tupleIJPjSE_EEENSF_IJSE_SE_EEES9_SG_JZNS1_25segmented_radix_sort_implINS0_14default_configELb1EPKhPhPKlPlN2at6native12_GLOBAL__N_18offset_tEEE10hipError_tPvRmT1_PNSt15iterator_traitsISY_E10value_typeET2_T3_PNSZ_IS14_E10value_typeET4_jRbjT5_S1A_jjP12ihipStream_tbEUljE_EEESV_SW_SX_S14_S18_S1A_T6_T7_T9_mT8_S1C_bDpT10_ENKUlT_T0_E_clISt17integral_constantIbLb1EES1P_EEDaS1K_S1L_EUlS1K_E_NS1_11comp_targetILNS1_3genE5ELNS1_11target_archE942ELNS1_3gpuE9ELNS1_3repE0EEENS1_30default_config_static_selectorELNS0_4arch9wavefront6targetE0EEEvSY_.num_agpr, 0
	.set _ZN7rocprim17ROCPRIM_400000_NS6detail17trampoline_kernelINS0_13select_configILj256ELj13ELNS0_17block_load_methodE3ELS4_3ELS4_3ELNS0_20block_scan_algorithmE0ELj4294967295EEENS1_25partition_config_selectorILNS1_17partition_subalgoE3EjNS0_10empty_typeEbEEZZNS1_14partition_implILS8_3ELb0ES6_jNS0_17counting_iteratorIjlEEPS9_SE_NS0_5tupleIJPjSE_EEENSF_IJSE_SE_EEES9_SG_JZNS1_25segmented_radix_sort_implINS0_14default_configELb1EPKhPhPKlPlN2at6native12_GLOBAL__N_18offset_tEEE10hipError_tPvRmT1_PNSt15iterator_traitsISY_E10value_typeET2_T3_PNSZ_IS14_E10value_typeET4_jRbjT5_S1A_jjP12ihipStream_tbEUljE_EEESV_SW_SX_S14_S18_S1A_T6_T7_T9_mT8_S1C_bDpT10_ENKUlT_T0_E_clISt17integral_constantIbLb1EES1P_EEDaS1K_S1L_EUlS1K_E_NS1_11comp_targetILNS1_3genE5ELNS1_11target_archE942ELNS1_3gpuE9ELNS1_3repE0EEENS1_30default_config_static_selectorELNS0_4arch9wavefront6targetE0EEEvSY_.numbered_sgpr, 0
	.set _ZN7rocprim17ROCPRIM_400000_NS6detail17trampoline_kernelINS0_13select_configILj256ELj13ELNS0_17block_load_methodE3ELS4_3ELS4_3ELNS0_20block_scan_algorithmE0ELj4294967295EEENS1_25partition_config_selectorILNS1_17partition_subalgoE3EjNS0_10empty_typeEbEEZZNS1_14partition_implILS8_3ELb0ES6_jNS0_17counting_iteratorIjlEEPS9_SE_NS0_5tupleIJPjSE_EEENSF_IJSE_SE_EEES9_SG_JZNS1_25segmented_radix_sort_implINS0_14default_configELb1EPKhPhPKlPlN2at6native12_GLOBAL__N_18offset_tEEE10hipError_tPvRmT1_PNSt15iterator_traitsISY_E10value_typeET2_T3_PNSZ_IS14_E10value_typeET4_jRbjT5_S1A_jjP12ihipStream_tbEUljE_EEESV_SW_SX_S14_S18_S1A_T6_T7_T9_mT8_S1C_bDpT10_ENKUlT_T0_E_clISt17integral_constantIbLb1EES1P_EEDaS1K_S1L_EUlS1K_E_NS1_11comp_targetILNS1_3genE5ELNS1_11target_archE942ELNS1_3gpuE9ELNS1_3repE0EEENS1_30default_config_static_selectorELNS0_4arch9wavefront6targetE0EEEvSY_.num_named_barrier, 0
	.set _ZN7rocprim17ROCPRIM_400000_NS6detail17trampoline_kernelINS0_13select_configILj256ELj13ELNS0_17block_load_methodE3ELS4_3ELS4_3ELNS0_20block_scan_algorithmE0ELj4294967295EEENS1_25partition_config_selectorILNS1_17partition_subalgoE3EjNS0_10empty_typeEbEEZZNS1_14partition_implILS8_3ELb0ES6_jNS0_17counting_iteratorIjlEEPS9_SE_NS0_5tupleIJPjSE_EEENSF_IJSE_SE_EEES9_SG_JZNS1_25segmented_radix_sort_implINS0_14default_configELb1EPKhPhPKlPlN2at6native12_GLOBAL__N_18offset_tEEE10hipError_tPvRmT1_PNSt15iterator_traitsISY_E10value_typeET2_T3_PNSZ_IS14_E10value_typeET4_jRbjT5_S1A_jjP12ihipStream_tbEUljE_EEESV_SW_SX_S14_S18_S1A_T6_T7_T9_mT8_S1C_bDpT10_ENKUlT_T0_E_clISt17integral_constantIbLb1EES1P_EEDaS1K_S1L_EUlS1K_E_NS1_11comp_targetILNS1_3genE5ELNS1_11target_archE942ELNS1_3gpuE9ELNS1_3repE0EEENS1_30default_config_static_selectorELNS0_4arch9wavefront6targetE0EEEvSY_.private_seg_size, 0
	.set _ZN7rocprim17ROCPRIM_400000_NS6detail17trampoline_kernelINS0_13select_configILj256ELj13ELNS0_17block_load_methodE3ELS4_3ELS4_3ELNS0_20block_scan_algorithmE0ELj4294967295EEENS1_25partition_config_selectorILNS1_17partition_subalgoE3EjNS0_10empty_typeEbEEZZNS1_14partition_implILS8_3ELb0ES6_jNS0_17counting_iteratorIjlEEPS9_SE_NS0_5tupleIJPjSE_EEENSF_IJSE_SE_EEES9_SG_JZNS1_25segmented_radix_sort_implINS0_14default_configELb1EPKhPhPKlPlN2at6native12_GLOBAL__N_18offset_tEEE10hipError_tPvRmT1_PNSt15iterator_traitsISY_E10value_typeET2_T3_PNSZ_IS14_E10value_typeET4_jRbjT5_S1A_jjP12ihipStream_tbEUljE_EEESV_SW_SX_S14_S18_S1A_T6_T7_T9_mT8_S1C_bDpT10_ENKUlT_T0_E_clISt17integral_constantIbLb1EES1P_EEDaS1K_S1L_EUlS1K_E_NS1_11comp_targetILNS1_3genE5ELNS1_11target_archE942ELNS1_3gpuE9ELNS1_3repE0EEENS1_30default_config_static_selectorELNS0_4arch9wavefront6targetE0EEEvSY_.uses_vcc, 0
	.set _ZN7rocprim17ROCPRIM_400000_NS6detail17trampoline_kernelINS0_13select_configILj256ELj13ELNS0_17block_load_methodE3ELS4_3ELS4_3ELNS0_20block_scan_algorithmE0ELj4294967295EEENS1_25partition_config_selectorILNS1_17partition_subalgoE3EjNS0_10empty_typeEbEEZZNS1_14partition_implILS8_3ELb0ES6_jNS0_17counting_iteratorIjlEEPS9_SE_NS0_5tupleIJPjSE_EEENSF_IJSE_SE_EEES9_SG_JZNS1_25segmented_radix_sort_implINS0_14default_configELb1EPKhPhPKlPlN2at6native12_GLOBAL__N_18offset_tEEE10hipError_tPvRmT1_PNSt15iterator_traitsISY_E10value_typeET2_T3_PNSZ_IS14_E10value_typeET4_jRbjT5_S1A_jjP12ihipStream_tbEUljE_EEESV_SW_SX_S14_S18_S1A_T6_T7_T9_mT8_S1C_bDpT10_ENKUlT_T0_E_clISt17integral_constantIbLb1EES1P_EEDaS1K_S1L_EUlS1K_E_NS1_11comp_targetILNS1_3genE5ELNS1_11target_archE942ELNS1_3gpuE9ELNS1_3repE0EEENS1_30default_config_static_selectorELNS0_4arch9wavefront6targetE0EEEvSY_.uses_flat_scratch, 0
	.set _ZN7rocprim17ROCPRIM_400000_NS6detail17trampoline_kernelINS0_13select_configILj256ELj13ELNS0_17block_load_methodE3ELS4_3ELS4_3ELNS0_20block_scan_algorithmE0ELj4294967295EEENS1_25partition_config_selectorILNS1_17partition_subalgoE3EjNS0_10empty_typeEbEEZZNS1_14partition_implILS8_3ELb0ES6_jNS0_17counting_iteratorIjlEEPS9_SE_NS0_5tupleIJPjSE_EEENSF_IJSE_SE_EEES9_SG_JZNS1_25segmented_radix_sort_implINS0_14default_configELb1EPKhPhPKlPlN2at6native12_GLOBAL__N_18offset_tEEE10hipError_tPvRmT1_PNSt15iterator_traitsISY_E10value_typeET2_T3_PNSZ_IS14_E10value_typeET4_jRbjT5_S1A_jjP12ihipStream_tbEUljE_EEESV_SW_SX_S14_S18_S1A_T6_T7_T9_mT8_S1C_bDpT10_ENKUlT_T0_E_clISt17integral_constantIbLb1EES1P_EEDaS1K_S1L_EUlS1K_E_NS1_11comp_targetILNS1_3genE5ELNS1_11target_archE942ELNS1_3gpuE9ELNS1_3repE0EEENS1_30default_config_static_selectorELNS0_4arch9wavefront6targetE0EEEvSY_.has_dyn_sized_stack, 0
	.set _ZN7rocprim17ROCPRIM_400000_NS6detail17trampoline_kernelINS0_13select_configILj256ELj13ELNS0_17block_load_methodE3ELS4_3ELS4_3ELNS0_20block_scan_algorithmE0ELj4294967295EEENS1_25partition_config_selectorILNS1_17partition_subalgoE3EjNS0_10empty_typeEbEEZZNS1_14partition_implILS8_3ELb0ES6_jNS0_17counting_iteratorIjlEEPS9_SE_NS0_5tupleIJPjSE_EEENSF_IJSE_SE_EEES9_SG_JZNS1_25segmented_radix_sort_implINS0_14default_configELb1EPKhPhPKlPlN2at6native12_GLOBAL__N_18offset_tEEE10hipError_tPvRmT1_PNSt15iterator_traitsISY_E10value_typeET2_T3_PNSZ_IS14_E10value_typeET4_jRbjT5_S1A_jjP12ihipStream_tbEUljE_EEESV_SW_SX_S14_S18_S1A_T6_T7_T9_mT8_S1C_bDpT10_ENKUlT_T0_E_clISt17integral_constantIbLb1EES1P_EEDaS1K_S1L_EUlS1K_E_NS1_11comp_targetILNS1_3genE5ELNS1_11target_archE942ELNS1_3gpuE9ELNS1_3repE0EEENS1_30default_config_static_selectorELNS0_4arch9wavefront6targetE0EEEvSY_.has_recursion, 0
	.set _ZN7rocprim17ROCPRIM_400000_NS6detail17trampoline_kernelINS0_13select_configILj256ELj13ELNS0_17block_load_methodE3ELS4_3ELS4_3ELNS0_20block_scan_algorithmE0ELj4294967295EEENS1_25partition_config_selectorILNS1_17partition_subalgoE3EjNS0_10empty_typeEbEEZZNS1_14partition_implILS8_3ELb0ES6_jNS0_17counting_iteratorIjlEEPS9_SE_NS0_5tupleIJPjSE_EEENSF_IJSE_SE_EEES9_SG_JZNS1_25segmented_radix_sort_implINS0_14default_configELb1EPKhPhPKlPlN2at6native12_GLOBAL__N_18offset_tEEE10hipError_tPvRmT1_PNSt15iterator_traitsISY_E10value_typeET2_T3_PNSZ_IS14_E10value_typeET4_jRbjT5_S1A_jjP12ihipStream_tbEUljE_EEESV_SW_SX_S14_S18_S1A_T6_T7_T9_mT8_S1C_bDpT10_ENKUlT_T0_E_clISt17integral_constantIbLb1EES1P_EEDaS1K_S1L_EUlS1K_E_NS1_11comp_targetILNS1_3genE5ELNS1_11target_archE942ELNS1_3gpuE9ELNS1_3repE0EEENS1_30default_config_static_selectorELNS0_4arch9wavefront6targetE0EEEvSY_.has_indirect_call, 0
	.section	.AMDGPU.csdata,"",@progbits
; Kernel info:
; codeLenInByte = 0
; TotalNumSgprs: 0
; NumVgprs: 0
; ScratchSize: 0
; MemoryBound: 0
; FloatMode: 240
; IeeeMode: 1
; LDSByteSize: 0 bytes/workgroup (compile time only)
; SGPRBlocks: 0
; VGPRBlocks: 0
; NumSGPRsForWavesPerEU: 1
; NumVGPRsForWavesPerEU: 1
; NamedBarCnt: 0
; Occupancy: 16
; WaveLimiterHint : 0
; COMPUTE_PGM_RSRC2:SCRATCH_EN: 0
; COMPUTE_PGM_RSRC2:USER_SGPR: 2
; COMPUTE_PGM_RSRC2:TRAP_HANDLER: 0
; COMPUTE_PGM_RSRC2:TGID_X_EN: 1
; COMPUTE_PGM_RSRC2:TGID_Y_EN: 0
; COMPUTE_PGM_RSRC2:TGID_Z_EN: 0
; COMPUTE_PGM_RSRC2:TIDIG_COMP_CNT: 0
	.section	.text._ZN7rocprim17ROCPRIM_400000_NS6detail17trampoline_kernelINS0_13select_configILj256ELj13ELNS0_17block_load_methodE3ELS4_3ELS4_3ELNS0_20block_scan_algorithmE0ELj4294967295EEENS1_25partition_config_selectorILNS1_17partition_subalgoE3EjNS0_10empty_typeEbEEZZNS1_14partition_implILS8_3ELb0ES6_jNS0_17counting_iteratorIjlEEPS9_SE_NS0_5tupleIJPjSE_EEENSF_IJSE_SE_EEES9_SG_JZNS1_25segmented_radix_sort_implINS0_14default_configELb1EPKhPhPKlPlN2at6native12_GLOBAL__N_18offset_tEEE10hipError_tPvRmT1_PNSt15iterator_traitsISY_E10value_typeET2_T3_PNSZ_IS14_E10value_typeET4_jRbjT5_S1A_jjP12ihipStream_tbEUljE_EEESV_SW_SX_S14_S18_S1A_T6_T7_T9_mT8_S1C_bDpT10_ENKUlT_T0_E_clISt17integral_constantIbLb1EES1P_EEDaS1K_S1L_EUlS1K_E_NS1_11comp_targetILNS1_3genE4ELNS1_11target_archE910ELNS1_3gpuE8ELNS1_3repE0EEENS1_30default_config_static_selectorELNS0_4arch9wavefront6targetE0EEEvSY_,"axG",@progbits,_ZN7rocprim17ROCPRIM_400000_NS6detail17trampoline_kernelINS0_13select_configILj256ELj13ELNS0_17block_load_methodE3ELS4_3ELS4_3ELNS0_20block_scan_algorithmE0ELj4294967295EEENS1_25partition_config_selectorILNS1_17partition_subalgoE3EjNS0_10empty_typeEbEEZZNS1_14partition_implILS8_3ELb0ES6_jNS0_17counting_iteratorIjlEEPS9_SE_NS0_5tupleIJPjSE_EEENSF_IJSE_SE_EEES9_SG_JZNS1_25segmented_radix_sort_implINS0_14default_configELb1EPKhPhPKlPlN2at6native12_GLOBAL__N_18offset_tEEE10hipError_tPvRmT1_PNSt15iterator_traitsISY_E10value_typeET2_T3_PNSZ_IS14_E10value_typeET4_jRbjT5_S1A_jjP12ihipStream_tbEUljE_EEESV_SW_SX_S14_S18_S1A_T6_T7_T9_mT8_S1C_bDpT10_ENKUlT_T0_E_clISt17integral_constantIbLb1EES1P_EEDaS1K_S1L_EUlS1K_E_NS1_11comp_targetILNS1_3genE4ELNS1_11target_archE910ELNS1_3gpuE8ELNS1_3repE0EEENS1_30default_config_static_selectorELNS0_4arch9wavefront6targetE0EEEvSY_,comdat
	.globl	_ZN7rocprim17ROCPRIM_400000_NS6detail17trampoline_kernelINS0_13select_configILj256ELj13ELNS0_17block_load_methodE3ELS4_3ELS4_3ELNS0_20block_scan_algorithmE0ELj4294967295EEENS1_25partition_config_selectorILNS1_17partition_subalgoE3EjNS0_10empty_typeEbEEZZNS1_14partition_implILS8_3ELb0ES6_jNS0_17counting_iteratorIjlEEPS9_SE_NS0_5tupleIJPjSE_EEENSF_IJSE_SE_EEES9_SG_JZNS1_25segmented_radix_sort_implINS0_14default_configELb1EPKhPhPKlPlN2at6native12_GLOBAL__N_18offset_tEEE10hipError_tPvRmT1_PNSt15iterator_traitsISY_E10value_typeET2_T3_PNSZ_IS14_E10value_typeET4_jRbjT5_S1A_jjP12ihipStream_tbEUljE_EEESV_SW_SX_S14_S18_S1A_T6_T7_T9_mT8_S1C_bDpT10_ENKUlT_T0_E_clISt17integral_constantIbLb1EES1P_EEDaS1K_S1L_EUlS1K_E_NS1_11comp_targetILNS1_3genE4ELNS1_11target_archE910ELNS1_3gpuE8ELNS1_3repE0EEENS1_30default_config_static_selectorELNS0_4arch9wavefront6targetE0EEEvSY_ ; -- Begin function _ZN7rocprim17ROCPRIM_400000_NS6detail17trampoline_kernelINS0_13select_configILj256ELj13ELNS0_17block_load_methodE3ELS4_3ELS4_3ELNS0_20block_scan_algorithmE0ELj4294967295EEENS1_25partition_config_selectorILNS1_17partition_subalgoE3EjNS0_10empty_typeEbEEZZNS1_14partition_implILS8_3ELb0ES6_jNS0_17counting_iteratorIjlEEPS9_SE_NS0_5tupleIJPjSE_EEENSF_IJSE_SE_EEES9_SG_JZNS1_25segmented_radix_sort_implINS0_14default_configELb1EPKhPhPKlPlN2at6native12_GLOBAL__N_18offset_tEEE10hipError_tPvRmT1_PNSt15iterator_traitsISY_E10value_typeET2_T3_PNSZ_IS14_E10value_typeET4_jRbjT5_S1A_jjP12ihipStream_tbEUljE_EEESV_SW_SX_S14_S18_S1A_T6_T7_T9_mT8_S1C_bDpT10_ENKUlT_T0_E_clISt17integral_constantIbLb1EES1P_EEDaS1K_S1L_EUlS1K_E_NS1_11comp_targetILNS1_3genE4ELNS1_11target_archE910ELNS1_3gpuE8ELNS1_3repE0EEENS1_30default_config_static_selectorELNS0_4arch9wavefront6targetE0EEEvSY_
	.p2align	8
	.type	_ZN7rocprim17ROCPRIM_400000_NS6detail17trampoline_kernelINS0_13select_configILj256ELj13ELNS0_17block_load_methodE3ELS4_3ELS4_3ELNS0_20block_scan_algorithmE0ELj4294967295EEENS1_25partition_config_selectorILNS1_17partition_subalgoE3EjNS0_10empty_typeEbEEZZNS1_14partition_implILS8_3ELb0ES6_jNS0_17counting_iteratorIjlEEPS9_SE_NS0_5tupleIJPjSE_EEENSF_IJSE_SE_EEES9_SG_JZNS1_25segmented_radix_sort_implINS0_14default_configELb1EPKhPhPKlPlN2at6native12_GLOBAL__N_18offset_tEEE10hipError_tPvRmT1_PNSt15iterator_traitsISY_E10value_typeET2_T3_PNSZ_IS14_E10value_typeET4_jRbjT5_S1A_jjP12ihipStream_tbEUljE_EEESV_SW_SX_S14_S18_S1A_T6_T7_T9_mT8_S1C_bDpT10_ENKUlT_T0_E_clISt17integral_constantIbLb1EES1P_EEDaS1K_S1L_EUlS1K_E_NS1_11comp_targetILNS1_3genE4ELNS1_11target_archE910ELNS1_3gpuE8ELNS1_3repE0EEENS1_30default_config_static_selectorELNS0_4arch9wavefront6targetE0EEEvSY_,@function
_ZN7rocprim17ROCPRIM_400000_NS6detail17trampoline_kernelINS0_13select_configILj256ELj13ELNS0_17block_load_methodE3ELS4_3ELS4_3ELNS0_20block_scan_algorithmE0ELj4294967295EEENS1_25partition_config_selectorILNS1_17partition_subalgoE3EjNS0_10empty_typeEbEEZZNS1_14partition_implILS8_3ELb0ES6_jNS0_17counting_iteratorIjlEEPS9_SE_NS0_5tupleIJPjSE_EEENSF_IJSE_SE_EEES9_SG_JZNS1_25segmented_radix_sort_implINS0_14default_configELb1EPKhPhPKlPlN2at6native12_GLOBAL__N_18offset_tEEE10hipError_tPvRmT1_PNSt15iterator_traitsISY_E10value_typeET2_T3_PNSZ_IS14_E10value_typeET4_jRbjT5_S1A_jjP12ihipStream_tbEUljE_EEESV_SW_SX_S14_S18_S1A_T6_T7_T9_mT8_S1C_bDpT10_ENKUlT_T0_E_clISt17integral_constantIbLb1EES1P_EEDaS1K_S1L_EUlS1K_E_NS1_11comp_targetILNS1_3genE4ELNS1_11target_archE910ELNS1_3gpuE8ELNS1_3repE0EEENS1_30default_config_static_selectorELNS0_4arch9wavefront6targetE0EEEvSY_: ; @_ZN7rocprim17ROCPRIM_400000_NS6detail17trampoline_kernelINS0_13select_configILj256ELj13ELNS0_17block_load_methodE3ELS4_3ELS4_3ELNS0_20block_scan_algorithmE0ELj4294967295EEENS1_25partition_config_selectorILNS1_17partition_subalgoE3EjNS0_10empty_typeEbEEZZNS1_14partition_implILS8_3ELb0ES6_jNS0_17counting_iteratorIjlEEPS9_SE_NS0_5tupleIJPjSE_EEENSF_IJSE_SE_EEES9_SG_JZNS1_25segmented_radix_sort_implINS0_14default_configELb1EPKhPhPKlPlN2at6native12_GLOBAL__N_18offset_tEEE10hipError_tPvRmT1_PNSt15iterator_traitsISY_E10value_typeET2_T3_PNSZ_IS14_E10value_typeET4_jRbjT5_S1A_jjP12ihipStream_tbEUljE_EEESV_SW_SX_S14_S18_S1A_T6_T7_T9_mT8_S1C_bDpT10_ENKUlT_T0_E_clISt17integral_constantIbLb1EES1P_EEDaS1K_S1L_EUlS1K_E_NS1_11comp_targetILNS1_3genE4ELNS1_11target_archE910ELNS1_3gpuE8ELNS1_3repE0EEENS1_30default_config_static_selectorELNS0_4arch9wavefront6targetE0EEEvSY_
; %bb.0:
	.section	.rodata,"a",@progbits
	.p2align	6, 0x0
	.amdhsa_kernel _ZN7rocprim17ROCPRIM_400000_NS6detail17trampoline_kernelINS0_13select_configILj256ELj13ELNS0_17block_load_methodE3ELS4_3ELS4_3ELNS0_20block_scan_algorithmE0ELj4294967295EEENS1_25partition_config_selectorILNS1_17partition_subalgoE3EjNS0_10empty_typeEbEEZZNS1_14partition_implILS8_3ELb0ES6_jNS0_17counting_iteratorIjlEEPS9_SE_NS0_5tupleIJPjSE_EEENSF_IJSE_SE_EEES9_SG_JZNS1_25segmented_radix_sort_implINS0_14default_configELb1EPKhPhPKlPlN2at6native12_GLOBAL__N_18offset_tEEE10hipError_tPvRmT1_PNSt15iterator_traitsISY_E10value_typeET2_T3_PNSZ_IS14_E10value_typeET4_jRbjT5_S1A_jjP12ihipStream_tbEUljE_EEESV_SW_SX_S14_S18_S1A_T6_T7_T9_mT8_S1C_bDpT10_ENKUlT_T0_E_clISt17integral_constantIbLb1EES1P_EEDaS1K_S1L_EUlS1K_E_NS1_11comp_targetILNS1_3genE4ELNS1_11target_archE910ELNS1_3gpuE8ELNS1_3repE0EEENS1_30default_config_static_selectorELNS0_4arch9wavefront6targetE0EEEvSY_
		.amdhsa_group_segment_fixed_size 0
		.amdhsa_private_segment_fixed_size 0
		.amdhsa_kernarg_size 152
		.amdhsa_user_sgpr_count 2
		.amdhsa_user_sgpr_dispatch_ptr 0
		.amdhsa_user_sgpr_queue_ptr 0
		.amdhsa_user_sgpr_kernarg_segment_ptr 1
		.amdhsa_user_sgpr_dispatch_id 0
		.amdhsa_user_sgpr_kernarg_preload_length 0
		.amdhsa_user_sgpr_kernarg_preload_offset 0
		.amdhsa_user_sgpr_private_segment_size 0
		.amdhsa_wavefront_size32 1
		.amdhsa_uses_dynamic_stack 0
		.amdhsa_enable_private_segment 0
		.amdhsa_system_sgpr_workgroup_id_x 1
		.amdhsa_system_sgpr_workgroup_id_y 0
		.amdhsa_system_sgpr_workgroup_id_z 0
		.amdhsa_system_sgpr_workgroup_info 0
		.amdhsa_system_vgpr_workitem_id 0
		.amdhsa_next_free_vgpr 1
		.amdhsa_next_free_sgpr 1
		.amdhsa_named_barrier_count 0
		.amdhsa_reserve_vcc 0
		.amdhsa_float_round_mode_32 0
		.amdhsa_float_round_mode_16_64 0
		.amdhsa_float_denorm_mode_32 3
		.amdhsa_float_denorm_mode_16_64 3
		.amdhsa_fp16_overflow 0
		.amdhsa_memory_ordered 1
		.amdhsa_forward_progress 1
		.amdhsa_inst_pref_size 0
		.amdhsa_round_robin_scheduling 0
		.amdhsa_exception_fp_ieee_invalid_op 0
		.amdhsa_exception_fp_denorm_src 0
		.amdhsa_exception_fp_ieee_div_zero 0
		.amdhsa_exception_fp_ieee_overflow 0
		.amdhsa_exception_fp_ieee_underflow 0
		.amdhsa_exception_fp_ieee_inexact 0
		.amdhsa_exception_int_div_zero 0
	.end_amdhsa_kernel
	.section	.text._ZN7rocprim17ROCPRIM_400000_NS6detail17trampoline_kernelINS0_13select_configILj256ELj13ELNS0_17block_load_methodE3ELS4_3ELS4_3ELNS0_20block_scan_algorithmE0ELj4294967295EEENS1_25partition_config_selectorILNS1_17partition_subalgoE3EjNS0_10empty_typeEbEEZZNS1_14partition_implILS8_3ELb0ES6_jNS0_17counting_iteratorIjlEEPS9_SE_NS0_5tupleIJPjSE_EEENSF_IJSE_SE_EEES9_SG_JZNS1_25segmented_radix_sort_implINS0_14default_configELb1EPKhPhPKlPlN2at6native12_GLOBAL__N_18offset_tEEE10hipError_tPvRmT1_PNSt15iterator_traitsISY_E10value_typeET2_T3_PNSZ_IS14_E10value_typeET4_jRbjT5_S1A_jjP12ihipStream_tbEUljE_EEESV_SW_SX_S14_S18_S1A_T6_T7_T9_mT8_S1C_bDpT10_ENKUlT_T0_E_clISt17integral_constantIbLb1EES1P_EEDaS1K_S1L_EUlS1K_E_NS1_11comp_targetILNS1_3genE4ELNS1_11target_archE910ELNS1_3gpuE8ELNS1_3repE0EEENS1_30default_config_static_selectorELNS0_4arch9wavefront6targetE0EEEvSY_,"axG",@progbits,_ZN7rocprim17ROCPRIM_400000_NS6detail17trampoline_kernelINS0_13select_configILj256ELj13ELNS0_17block_load_methodE3ELS4_3ELS4_3ELNS0_20block_scan_algorithmE0ELj4294967295EEENS1_25partition_config_selectorILNS1_17partition_subalgoE3EjNS0_10empty_typeEbEEZZNS1_14partition_implILS8_3ELb0ES6_jNS0_17counting_iteratorIjlEEPS9_SE_NS0_5tupleIJPjSE_EEENSF_IJSE_SE_EEES9_SG_JZNS1_25segmented_radix_sort_implINS0_14default_configELb1EPKhPhPKlPlN2at6native12_GLOBAL__N_18offset_tEEE10hipError_tPvRmT1_PNSt15iterator_traitsISY_E10value_typeET2_T3_PNSZ_IS14_E10value_typeET4_jRbjT5_S1A_jjP12ihipStream_tbEUljE_EEESV_SW_SX_S14_S18_S1A_T6_T7_T9_mT8_S1C_bDpT10_ENKUlT_T0_E_clISt17integral_constantIbLb1EES1P_EEDaS1K_S1L_EUlS1K_E_NS1_11comp_targetILNS1_3genE4ELNS1_11target_archE910ELNS1_3gpuE8ELNS1_3repE0EEENS1_30default_config_static_selectorELNS0_4arch9wavefront6targetE0EEEvSY_,comdat
.Lfunc_end59:
	.size	_ZN7rocprim17ROCPRIM_400000_NS6detail17trampoline_kernelINS0_13select_configILj256ELj13ELNS0_17block_load_methodE3ELS4_3ELS4_3ELNS0_20block_scan_algorithmE0ELj4294967295EEENS1_25partition_config_selectorILNS1_17partition_subalgoE3EjNS0_10empty_typeEbEEZZNS1_14partition_implILS8_3ELb0ES6_jNS0_17counting_iteratorIjlEEPS9_SE_NS0_5tupleIJPjSE_EEENSF_IJSE_SE_EEES9_SG_JZNS1_25segmented_radix_sort_implINS0_14default_configELb1EPKhPhPKlPlN2at6native12_GLOBAL__N_18offset_tEEE10hipError_tPvRmT1_PNSt15iterator_traitsISY_E10value_typeET2_T3_PNSZ_IS14_E10value_typeET4_jRbjT5_S1A_jjP12ihipStream_tbEUljE_EEESV_SW_SX_S14_S18_S1A_T6_T7_T9_mT8_S1C_bDpT10_ENKUlT_T0_E_clISt17integral_constantIbLb1EES1P_EEDaS1K_S1L_EUlS1K_E_NS1_11comp_targetILNS1_3genE4ELNS1_11target_archE910ELNS1_3gpuE8ELNS1_3repE0EEENS1_30default_config_static_selectorELNS0_4arch9wavefront6targetE0EEEvSY_, .Lfunc_end59-_ZN7rocprim17ROCPRIM_400000_NS6detail17trampoline_kernelINS0_13select_configILj256ELj13ELNS0_17block_load_methodE3ELS4_3ELS4_3ELNS0_20block_scan_algorithmE0ELj4294967295EEENS1_25partition_config_selectorILNS1_17partition_subalgoE3EjNS0_10empty_typeEbEEZZNS1_14partition_implILS8_3ELb0ES6_jNS0_17counting_iteratorIjlEEPS9_SE_NS0_5tupleIJPjSE_EEENSF_IJSE_SE_EEES9_SG_JZNS1_25segmented_radix_sort_implINS0_14default_configELb1EPKhPhPKlPlN2at6native12_GLOBAL__N_18offset_tEEE10hipError_tPvRmT1_PNSt15iterator_traitsISY_E10value_typeET2_T3_PNSZ_IS14_E10value_typeET4_jRbjT5_S1A_jjP12ihipStream_tbEUljE_EEESV_SW_SX_S14_S18_S1A_T6_T7_T9_mT8_S1C_bDpT10_ENKUlT_T0_E_clISt17integral_constantIbLb1EES1P_EEDaS1K_S1L_EUlS1K_E_NS1_11comp_targetILNS1_3genE4ELNS1_11target_archE910ELNS1_3gpuE8ELNS1_3repE0EEENS1_30default_config_static_selectorELNS0_4arch9wavefront6targetE0EEEvSY_
                                        ; -- End function
	.set _ZN7rocprim17ROCPRIM_400000_NS6detail17trampoline_kernelINS0_13select_configILj256ELj13ELNS0_17block_load_methodE3ELS4_3ELS4_3ELNS0_20block_scan_algorithmE0ELj4294967295EEENS1_25partition_config_selectorILNS1_17partition_subalgoE3EjNS0_10empty_typeEbEEZZNS1_14partition_implILS8_3ELb0ES6_jNS0_17counting_iteratorIjlEEPS9_SE_NS0_5tupleIJPjSE_EEENSF_IJSE_SE_EEES9_SG_JZNS1_25segmented_radix_sort_implINS0_14default_configELb1EPKhPhPKlPlN2at6native12_GLOBAL__N_18offset_tEEE10hipError_tPvRmT1_PNSt15iterator_traitsISY_E10value_typeET2_T3_PNSZ_IS14_E10value_typeET4_jRbjT5_S1A_jjP12ihipStream_tbEUljE_EEESV_SW_SX_S14_S18_S1A_T6_T7_T9_mT8_S1C_bDpT10_ENKUlT_T0_E_clISt17integral_constantIbLb1EES1P_EEDaS1K_S1L_EUlS1K_E_NS1_11comp_targetILNS1_3genE4ELNS1_11target_archE910ELNS1_3gpuE8ELNS1_3repE0EEENS1_30default_config_static_selectorELNS0_4arch9wavefront6targetE0EEEvSY_.num_vgpr, 0
	.set _ZN7rocprim17ROCPRIM_400000_NS6detail17trampoline_kernelINS0_13select_configILj256ELj13ELNS0_17block_load_methodE3ELS4_3ELS4_3ELNS0_20block_scan_algorithmE0ELj4294967295EEENS1_25partition_config_selectorILNS1_17partition_subalgoE3EjNS0_10empty_typeEbEEZZNS1_14partition_implILS8_3ELb0ES6_jNS0_17counting_iteratorIjlEEPS9_SE_NS0_5tupleIJPjSE_EEENSF_IJSE_SE_EEES9_SG_JZNS1_25segmented_radix_sort_implINS0_14default_configELb1EPKhPhPKlPlN2at6native12_GLOBAL__N_18offset_tEEE10hipError_tPvRmT1_PNSt15iterator_traitsISY_E10value_typeET2_T3_PNSZ_IS14_E10value_typeET4_jRbjT5_S1A_jjP12ihipStream_tbEUljE_EEESV_SW_SX_S14_S18_S1A_T6_T7_T9_mT8_S1C_bDpT10_ENKUlT_T0_E_clISt17integral_constantIbLb1EES1P_EEDaS1K_S1L_EUlS1K_E_NS1_11comp_targetILNS1_3genE4ELNS1_11target_archE910ELNS1_3gpuE8ELNS1_3repE0EEENS1_30default_config_static_selectorELNS0_4arch9wavefront6targetE0EEEvSY_.num_agpr, 0
	.set _ZN7rocprim17ROCPRIM_400000_NS6detail17trampoline_kernelINS0_13select_configILj256ELj13ELNS0_17block_load_methodE3ELS4_3ELS4_3ELNS0_20block_scan_algorithmE0ELj4294967295EEENS1_25partition_config_selectorILNS1_17partition_subalgoE3EjNS0_10empty_typeEbEEZZNS1_14partition_implILS8_3ELb0ES6_jNS0_17counting_iteratorIjlEEPS9_SE_NS0_5tupleIJPjSE_EEENSF_IJSE_SE_EEES9_SG_JZNS1_25segmented_radix_sort_implINS0_14default_configELb1EPKhPhPKlPlN2at6native12_GLOBAL__N_18offset_tEEE10hipError_tPvRmT1_PNSt15iterator_traitsISY_E10value_typeET2_T3_PNSZ_IS14_E10value_typeET4_jRbjT5_S1A_jjP12ihipStream_tbEUljE_EEESV_SW_SX_S14_S18_S1A_T6_T7_T9_mT8_S1C_bDpT10_ENKUlT_T0_E_clISt17integral_constantIbLb1EES1P_EEDaS1K_S1L_EUlS1K_E_NS1_11comp_targetILNS1_3genE4ELNS1_11target_archE910ELNS1_3gpuE8ELNS1_3repE0EEENS1_30default_config_static_selectorELNS0_4arch9wavefront6targetE0EEEvSY_.numbered_sgpr, 0
	.set _ZN7rocprim17ROCPRIM_400000_NS6detail17trampoline_kernelINS0_13select_configILj256ELj13ELNS0_17block_load_methodE3ELS4_3ELS4_3ELNS0_20block_scan_algorithmE0ELj4294967295EEENS1_25partition_config_selectorILNS1_17partition_subalgoE3EjNS0_10empty_typeEbEEZZNS1_14partition_implILS8_3ELb0ES6_jNS0_17counting_iteratorIjlEEPS9_SE_NS0_5tupleIJPjSE_EEENSF_IJSE_SE_EEES9_SG_JZNS1_25segmented_radix_sort_implINS0_14default_configELb1EPKhPhPKlPlN2at6native12_GLOBAL__N_18offset_tEEE10hipError_tPvRmT1_PNSt15iterator_traitsISY_E10value_typeET2_T3_PNSZ_IS14_E10value_typeET4_jRbjT5_S1A_jjP12ihipStream_tbEUljE_EEESV_SW_SX_S14_S18_S1A_T6_T7_T9_mT8_S1C_bDpT10_ENKUlT_T0_E_clISt17integral_constantIbLb1EES1P_EEDaS1K_S1L_EUlS1K_E_NS1_11comp_targetILNS1_3genE4ELNS1_11target_archE910ELNS1_3gpuE8ELNS1_3repE0EEENS1_30default_config_static_selectorELNS0_4arch9wavefront6targetE0EEEvSY_.num_named_barrier, 0
	.set _ZN7rocprim17ROCPRIM_400000_NS6detail17trampoline_kernelINS0_13select_configILj256ELj13ELNS0_17block_load_methodE3ELS4_3ELS4_3ELNS0_20block_scan_algorithmE0ELj4294967295EEENS1_25partition_config_selectorILNS1_17partition_subalgoE3EjNS0_10empty_typeEbEEZZNS1_14partition_implILS8_3ELb0ES6_jNS0_17counting_iteratorIjlEEPS9_SE_NS0_5tupleIJPjSE_EEENSF_IJSE_SE_EEES9_SG_JZNS1_25segmented_radix_sort_implINS0_14default_configELb1EPKhPhPKlPlN2at6native12_GLOBAL__N_18offset_tEEE10hipError_tPvRmT1_PNSt15iterator_traitsISY_E10value_typeET2_T3_PNSZ_IS14_E10value_typeET4_jRbjT5_S1A_jjP12ihipStream_tbEUljE_EEESV_SW_SX_S14_S18_S1A_T6_T7_T9_mT8_S1C_bDpT10_ENKUlT_T0_E_clISt17integral_constantIbLb1EES1P_EEDaS1K_S1L_EUlS1K_E_NS1_11comp_targetILNS1_3genE4ELNS1_11target_archE910ELNS1_3gpuE8ELNS1_3repE0EEENS1_30default_config_static_selectorELNS0_4arch9wavefront6targetE0EEEvSY_.private_seg_size, 0
	.set _ZN7rocprim17ROCPRIM_400000_NS6detail17trampoline_kernelINS0_13select_configILj256ELj13ELNS0_17block_load_methodE3ELS4_3ELS4_3ELNS0_20block_scan_algorithmE0ELj4294967295EEENS1_25partition_config_selectorILNS1_17partition_subalgoE3EjNS0_10empty_typeEbEEZZNS1_14partition_implILS8_3ELb0ES6_jNS0_17counting_iteratorIjlEEPS9_SE_NS0_5tupleIJPjSE_EEENSF_IJSE_SE_EEES9_SG_JZNS1_25segmented_radix_sort_implINS0_14default_configELb1EPKhPhPKlPlN2at6native12_GLOBAL__N_18offset_tEEE10hipError_tPvRmT1_PNSt15iterator_traitsISY_E10value_typeET2_T3_PNSZ_IS14_E10value_typeET4_jRbjT5_S1A_jjP12ihipStream_tbEUljE_EEESV_SW_SX_S14_S18_S1A_T6_T7_T9_mT8_S1C_bDpT10_ENKUlT_T0_E_clISt17integral_constantIbLb1EES1P_EEDaS1K_S1L_EUlS1K_E_NS1_11comp_targetILNS1_3genE4ELNS1_11target_archE910ELNS1_3gpuE8ELNS1_3repE0EEENS1_30default_config_static_selectorELNS0_4arch9wavefront6targetE0EEEvSY_.uses_vcc, 0
	.set _ZN7rocprim17ROCPRIM_400000_NS6detail17trampoline_kernelINS0_13select_configILj256ELj13ELNS0_17block_load_methodE3ELS4_3ELS4_3ELNS0_20block_scan_algorithmE0ELj4294967295EEENS1_25partition_config_selectorILNS1_17partition_subalgoE3EjNS0_10empty_typeEbEEZZNS1_14partition_implILS8_3ELb0ES6_jNS0_17counting_iteratorIjlEEPS9_SE_NS0_5tupleIJPjSE_EEENSF_IJSE_SE_EEES9_SG_JZNS1_25segmented_radix_sort_implINS0_14default_configELb1EPKhPhPKlPlN2at6native12_GLOBAL__N_18offset_tEEE10hipError_tPvRmT1_PNSt15iterator_traitsISY_E10value_typeET2_T3_PNSZ_IS14_E10value_typeET4_jRbjT5_S1A_jjP12ihipStream_tbEUljE_EEESV_SW_SX_S14_S18_S1A_T6_T7_T9_mT8_S1C_bDpT10_ENKUlT_T0_E_clISt17integral_constantIbLb1EES1P_EEDaS1K_S1L_EUlS1K_E_NS1_11comp_targetILNS1_3genE4ELNS1_11target_archE910ELNS1_3gpuE8ELNS1_3repE0EEENS1_30default_config_static_selectorELNS0_4arch9wavefront6targetE0EEEvSY_.uses_flat_scratch, 0
	.set _ZN7rocprim17ROCPRIM_400000_NS6detail17trampoline_kernelINS0_13select_configILj256ELj13ELNS0_17block_load_methodE3ELS4_3ELS4_3ELNS0_20block_scan_algorithmE0ELj4294967295EEENS1_25partition_config_selectorILNS1_17partition_subalgoE3EjNS0_10empty_typeEbEEZZNS1_14partition_implILS8_3ELb0ES6_jNS0_17counting_iteratorIjlEEPS9_SE_NS0_5tupleIJPjSE_EEENSF_IJSE_SE_EEES9_SG_JZNS1_25segmented_radix_sort_implINS0_14default_configELb1EPKhPhPKlPlN2at6native12_GLOBAL__N_18offset_tEEE10hipError_tPvRmT1_PNSt15iterator_traitsISY_E10value_typeET2_T3_PNSZ_IS14_E10value_typeET4_jRbjT5_S1A_jjP12ihipStream_tbEUljE_EEESV_SW_SX_S14_S18_S1A_T6_T7_T9_mT8_S1C_bDpT10_ENKUlT_T0_E_clISt17integral_constantIbLb1EES1P_EEDaS1K_S1L_EUlS1K_E_NS1_11comp_targetILNS1_3genE4ELNS1_11target_archE910ELNS1_3gpuE8ELNS1_3repE0EEENS1_30default_config_static_selectorELNS0_4arch9wavefront6targetE0EEEvSY_.has_dyn_sized_stack, 0
	.set _ZN7rocprim17ROCPRIM_400000_NS6detail17trampoline_kernelINS0_13select_configILj256ELj13ELNS0_17block_load_methodE3ELS4_3ELS4_3ELNS0_20block_scan_algorithmE0ELj4294967295EEENS1_25partition_config_selectorILNS1_17partition_subalgoE3EjNS0_10empty_typeEbEEZZNS1_14partition_implILS8_3ELb0ES6_jNS0_17counting_iteratorIjlEEPS9_SE_NS0_5tupleIJPjSE_EEENSF_IJSE_SE_EEES9_SG_JZNS1_25segmented_radix_sort_implINS0_14default_configELb1EPKhPhPKlPlN2at6native12_GLOBAL__N_18offset_tEEE10hipError_tPvRmT1_PNSt15iterator_traitsISY_E10value_typeET2_T3_PNSZ_IS14_E10value_typeET4_jRbjT5_S1A_jjP12ihipStream_tbEUljE_EEESV_SW_SX_S14_S18_S1A_T6_T7_T9_mT8_S1C_bDpT10_ENKUlT_T0_E_clISt17integral_constantIbLb1EES1P_EEDaS1K_S1L_EUlS1K_E_NS1_11comp_targetILNS1_3genE4ELNS1_11target_archE910ELNS1_3gpuE8ELNS1_3repE0EEENS1_30default_config_static_selectorELNS0_4arch9wavefront6targetE0EEEvSY_.has_recursion, 0
	.set _ZN7rocprim17ROCPRIM_400000_NS6detail17trampoline_kernelINS0_13select_configILj256ELj13ELNS0_17block_load_methodE3ELS4_3ELS4_3ELNS0_20block_scan_algorithmE0ELj4294967295EEENS1_25partition_config_selectorILNS1_17partition_subalgoE3EjNS0_10empty_typeEbEEZZNS1_14partition_implILS8_3ELb0ES6_jNS0_17counting_iteratorIjlEEPS9_SE_NS0_5tupleIJPjSE_EEENSF_IJSE_SE_EEES9_SG_JZNS1_25segmented_radix_sort_implINS0_14default_configELb1EPKhPhPKlPlN2at6native12_GLOBAL__N_18offset_tEEE10hipError_tPvRmT1_PNSt15iterator_traitsISY_E10value_typeET2_T3_PNSZ_IS14_E10value_typeET4_jRbjT5_S1A_jjP12ihipStream_tbEUljE_EEESV_SW_SX_S14_S18_S1A_T6_T7_T9_mT8_S1C_bDpT10_ENKUlT_T0_E_clISt17integral_constantIbLb1EES1P_EEDaS1K_S1L_EUlS1K_E_NS1_11comp_targetILNS1_3genE4ELNS1_11target_archE910ELNS1_3gpuE8ELNS1_3repE0EEENS1_30default_config_static_selectorELNS0_4arch9wavefront6targetE0EEEvSY_.has_indirect_call, 0
	.section	.AMDGPU.csdata,"",@progbits
; Kernel info:
; codeLenInByte = 0
; TotalNumSgprs: 0
; NumVgprs: 0
; ScratchSize: 0
; MemoryBound: 0
; FloatMode: 240
; IeeeMode: 1
; LDSByteSize: 0 bytes/workgroup (compile time only)
; SGPRBlocks: 0
; VGPRBlocks: 0
; NumSGPRsForWavesPerEU: 1
; NumVGPRsForWavesPerEU: 1
; NamedBarCnt: 0
; Occupancy: 16
; WaveLimiterHint : 0
; COMPUTE_PGM_RSRC2:SCRATCH_EN: 0
; COMPUTE_PGM_RSRC2:USER_SGPR: 2
; COMPUTE_PGM_RSRC2:TRAP_HANDLER: 0
; COMPUTE_PGM_RSRC2:TGID_X_EN: 1
; COMPUTE_PGM_RSRC2:TGID_Y_EN: 0
; COMPUTE_PGM_RSRC2:TGID_Z_EN: 0
; COMPUTE_PGM_RSRC2:TIDIG_COMP_CNT: 0
	.section	.text._ZN7rocprim17ROCPRIM_400000_NS6detail17trampoline_kernelINS0_13select_configILj256ELj13ELNS0_17block_load_methodE3ELS4_3ELS4_3ELNS0_20block_scan_algorithmE0ELj4294967295EEENS1_25partition_config_selectorILNS1_17partition_subalgoE3EjNS0_10empty_typeEbEEZZNS1_14partition_implILS8_3ELb0ES6_jNS0_17counting_iteratorIjlEEPS9_SE_NS0_5tupleIJPjSE_EEENSF_IJSE_SE_EEES9_SG_JZNS1_25segmented_radix_sort_implINS0_14default_configELb1EPKhPhPKlPlN2at6native12_GLOBAL__N_18offset_tEEE10hipError_tPvRmT1_PNSt15iterator_traitsISY_E10value_typeET2_T3_PNSZ_IS14_E10value_typeET4_jRbjT5_S1A_jjP12ihipStream_tbEUljE_EEESV_SW_SX_S14_S18_S1A_T6_T7_T9_mT8_S1C_bDpT10_ENKUlT_T0_E_clISt17integral_constantIbLb1EES1P_EEDaS1K_S1L_EUlS1K_E_NS1_11comp_targetILNS1_3genE3ELNS1_11target_archE908ELNS1_3gpuE7ELNS1_3repE0EEENS1_30default_config_static_selectorELNS0_4arch9wavefront6targetE0EEEvSY_,"axG",@progbits,_ZN7rocprim17ROCPRIM_400000_NS6detail17trampoline_kernelINS0_13select_configILj256ELj13ELNS0_17block_load_methodE3ELS4_3ELS4_3ELNS0_20block_scan_algorithmE0ELj4294967295EEENS1_25partition_config_selectorILNS1_17partition_subalgoE3EjNS0_10empty_typeEbEEZZNS1_14partition_implILS8_3ELb0ES6_jNS0_17counting_iteratorIjlEEPS9_SE_NS0_5tupleIJPjSE_EEENSF_IJSE_SE_EEES9_SG_JZNS1_25segmented_radix_sort_implINS0_14default_configELb1EPKhPhPKlPlN2at6native12_GLOBAL__N_18offset_tEEE10hipError_tPvRmT1_PNSt15iterator_traitsISY_E10value_typeET2_T3_PNSZ_IS14_E10value_typeET4_jRbjT5_S1A_jjP12ihipStream_tbEUljE_EEESV_SW_SX_S14_S18_S1A_T6_T7_T9_mT8_S1C_bDpT10_ENKUlT_T0_E_clISt17integral_constantIbLb1EES1P_EEDaS1K_S1L_EUlS1K_E_NS1_11comp_targetILNS1_3genE3ELNS1_11target_archE908ELNS1_3gpuE7ELNS1_3repE0EEENS1_30default_config_static_selectorELNS0_4arch9wavefront6targetE0EEEvSY_,comdat
	.globl	_ZN7rocprim17ROCPRIM_400000_NS6detail17trampoline_kernelINS0_13select_configILj256ELj13ELNS0_17block_load_methodE3ELS4_3ELS4_3ELNS0_20block_scan_algorithmE0ELj4294967295EEENS1_25partition_config_selectorILNS1_17partition_subalgoE3EjNS0_10empty_typeEbEEZZNS1_14partition_implILS8_3ELb0ES6_jNS0_17counting_iteratorIjlEEPS9_SE_NS0_5tupleIJPjSE_EEENSF_IJSE_SE_EEES9_SG_JZNS1_25segmented_radix_sort_implINS0_14default_configELb1EPKhPhPKlPlN2at6native12_GLOBAL__N_18offset_tEEE10hipError_tPvRmT1_PNSt15iterator_traitsISY_E10value_typeET2_T3_PNSZ_IS14_E10value_typeET4_jRbjT5_S1A_jjP12ihipStream_tbEUljE_EEESV_SW_SX_S14_S18_S1A_T6_T7_T9_mT8_S1C_bDpT10_ENKUlT_T0_E_clISt17integral_constantIbLb1EES1P_EEDaS1K_S1L_EUlS1K_E_NS1_11comp_targetILNS1_3genE3ELNS1_11target_archE908ELNS1_3gpuE7ELNS1_3repE0EEENS1_30default_config_static_selectorELNS0_4arch9wavefront6targetE0EEEvSY_ ; -- Begin function _ZN7rocprim17ROCPRIM_400000_NS6detail17trampoline_kernelINS0_13select_configILj256ELj13ELNS0_17block_load_methodE3ELS4_3ELS4_3ELNS0_20block_scan_algorithmE0ELj4294967295EEENS1_25partition_config_selectorILNS1_17partition_subalgoE3EjNS0_10empty_typeEbEEZZNS1_14partition_implILS8_3ELb0ES6_jNS0_17counting_iteratorIjlEEPS9_SE_NS0_5tupleIJPjSE_EEENSF_IJSE_SE_EEES9_SG_JZNS1_25segmented_radix_sort_implINS0_14default_configELb1EPKhPhPKlPlN2at6native12_GLOBAL__N_18offset_tEEE10hipError_tPvRmT1_PNSt15iterator_traitsISY_E10value_typeET2_T3_PNSZ_IS14_E10value_typeET4_jRbjT5_S1A_jjP12ihipStream_tbEUljE_EEESV_SW_SX_S14_S18_S1A_T6_T7_T9_mT8_S1C_bDpT10_ENKUlT_T0_E_clISt17integral_constantIbLb1EES1P_EEDaS1K_S1L_EUlS1K_E_NS1_11comp_targetILNS1_3genE3ELNS1_11target_archE908ELNS1_3gpuE7ELNS1_3repE0EEENS1_30default_config_static_selectorELNS0_4arch9wavefront6targetE0EEEvSY_
	.p2align	8
	.type	_ZN7rocprim17ROCPRIM_400000_NS6detail17trampoline_kernelINS0_13select_configILj256ELj13ELNS0_17block_load_methodE3ELS4_3ELS4_3ELNS0_20block_scan_algorithmE0ELj4294967295EEENS1_25partition_config_selectorILNS1_17partition_subalgoE3EjNS0_10empty_typeEbEEZZNS1_14partition_implILS8_3ELb0ES6_jNS0_17counting_iteratorIjlEEPS9_SE_NS0_5tupleIJPjSE_EEENSF_IJSE_SE_EEES9_SG_JZNS1_25segmented_radix_sort_implINS0_14default_configELb1EPKhPhPKlPlN2at6native12_GLOBAL__N_18offset_tEEE10hipError_tPvRmT1_PNSt15iterator_traitsISY_E10value_typeET2_T3_PNSZ_IS14_E10value_typeET4_jRbjT5_S1A_jjP12ihipStream_tbEUljE_EEESV_SW_SX_S14_S18_S1A_T6_T7_T9_mT8_S1C_bDpT10_ENKUlT_T0_E_clISt17integral_constantIbLb1EES1P_EEDaS1K_S1L_EUlS1K_E_NS1_11comp_targetILNS1_3genE3ELNS1_11target_archE908ELNS1_3gpuE7ELNS1_3repE0EEENS1_30default_config_static_selectorELNS0_4arch9wavefront6targetE0EEEvSY_,@function
_ZN7rocprim17ROCPRIM_400000_NS6detail17trampoline_kernelINS0_13select_configILj256ELj13ELNS0_17block_load_methodE3ELS4_3ELS4_3ELNS0_20block_scan_algorithmE0ELj4294967295EEENS1_25partition_config_selectorILNS1_17partition_subalgoE3EjNS0_10empty_typeEbEEZZNS1_14partition_implILS8_3ELb0ES6_jNS0_17counting_iteratorIjlEEPS9_SE_NS0_5tupleIJPjSE_EEENSF_IJSE_SE_EEES9_SG_JZNS1_25segmented_radix_sort_implINS0_14default_configELb1EPKhPhPKlPlN2at6native12_GLOBAL__N_18offset_tEEE10hipError_tPvRmT1_PNSt15iterator_traitsISY_E10value_typeET2_T3_PNSZ_IS14_E10value_typeET4_jRbjT5_S1A_jjP12ihipStream_tbEUljE_EEESV_SW_SX_S14_S18_S1A_T6_T7_T9_mT8_S1C_bDpT10_ENKUlT_T0_E_clISt17integral_constantIbLb1EES1P_EEDaS1K_S1L_EUlS1K_E_NS1_11comp_targetILNS1_3genE3ELNS1_11target_archE908ELNS1_3gpuE7ELNS1_3repE0EEENS1_30default_config_static_selectorELNS0_4arch9wavefront6targetE0EEEvSY_: ; @_ZN7rocprim17ROCPRIM_400000_NS6detail17trampoline_kernelINS0_13select_configILj256ELj13ELNS0_17block_load_methodE3ELS4_3ELS4_3ELNS0_20block_scan_algorithmE0ELj4294967295EEENS1_25partition_config_selectorILNS1_17partition_subalgoE3EjNS0_10empty_typeEbEEZZNS1_14partition_implILS8_3ELb0ES6_jNS0_17counting_iteratorIjlEEPS9_SE_NS0_5tupleIJPjSE_EEENSF_IJSE_SE_EEES9_SG_JZNS1_25segmented_radix_sort_implINS0_14default_configELb1EPKhPhPKlPlN2at6native12_GLOBAL__N_18offset_tEEE10hipError_tPvRmT1_PNSt15iterator_traitsISY_E10value_typeET2_T3_PNSZ_IS14_E10value_typeET4_jRbjT5_S1A_jjP12ihipStream_tbEUljE_EEESV_SW_SX_S14_S18_S1A_T6_T7_T9_mT8_S1C_bDpT10_ENKUlT_T0_E_clISt17integral_constantIbLb1EES1P_EEDaS1K_S1L_EUlS1K_E_NS1_11comp_targetILNS1_3genE3ELNS1_11target_archE908ELNS1_3gpuE7ELNS1_3repE0EEENS1_30default_config_static_selectorELNS0_4arch9wavefront6targetE0EEEvSY_
; %bb.0:
	.section	.rodata,"a",@progbits
	.p2align	6, 0x0
	.amdhsa_kernel _ZN7rocprim17ROCPRIM_400000_NS6detail17trampoline_kernelINS0_13select_configILj256ELj13ELNS0_17block_load_methodE3ELS4_3ELS4_3ELNS0_20block_scan_algorithmE0ELj4294967295EEENS1_25partition_config_selectorILNS1_17partition_subalgoE3EjNS0_10empty_typeEbEEZZNS1_14partition_implILS8_3ELb0ES6_jNS0_17counting_iteratorIjlEEPS9_SE_NS0_5tupleIJPjSE_EEENSF_IJSE_SE_EEES9_SG_JZNS1_25segmented_radix_sort_implINS0_14default_configELb1EPKhPhPKlPlN2at6native12_GLOBAL__N_18offset_tEEE10hipError_tPvRmT1_PNSt15iterator_traitsISY_E10value_typeET2_T3_PNSZ_IS14_E10value_typeET4_jRbjT5_S1A_jjP12ihipStream_tbEUljE_EEESV_SW_SX_S14_S18_S1A_T6_T7_T9_mT8_S1C_bDpT10_ENKUlT_T0_E_clISt17integral_constantIbLb1EES1P_EEDaS1K_S1L_EUlS1K_E_NS1_11comp_targetILNS1_3genE3ELNS1_11target_archE908ELNS1_3gpuE7ELNS1_3repE0EEENS1_30default_config_static_selectorELNS0_4arch9wavefront6targetE0EEEvSY_
		.amdhsa_group_segment_fixed_size 0
		.amdhsa_private_segment_fixed_size 0
		.amdhsa_kernarg_size 152
		.amdhsa_user_sgpr_count 2
		.amdhsa_user_sgpr_dispatch_ptr 0
		.amdhsa_user_sgpr_queue_ptr 0
		.amdhsa_user_sgpr_kernarg_segment_ptr 1
		.amdhsa_user_sgpr_dispatch_id 0
		.amdhsa_user_sgpr_kernarg_preload_length 0
		.amdhsa_user_sgpr_kernarg_preload_offset 0
		.amdhsa_user_sgpr_private_segment_size 0
		.amdhsa_wavefront_size32 1
		.amdhsa_uses_dynamic_stack 0
		.amdhsa_enable_private_segment 0
		.amdhsa_system_sgpr_workgroup_id_x 1
		.amdhsa_system_sgpr_workgroup_id_y 0
		.amdhsa_system_sgpr_workgroup_id_z 0
		.amdhsa_system_sgpr_workgroup_info 0
		.amdhsa_system_vgpr_workitem_id 0
		.amdhsa_next_free_vgpr 1
		.amdhsa_next_free_sgpr 1
		.amdhsa_named_barrier_count 0
		.amdhsa_reserve_vcc 0
		.amdhsa_float_round_mode_32 0
		.amdhsa_float_round_mode_16_64 0
		.amdhsa_float_denorm_mode_32 3
		.amdhsa_float_denorm_mode_16_64 3
		.amdhsa_fp16_overflow 0
		.amdhsa_memory_ordered 1
		.amdhsa_forward_progress 1
		.amdhsa_inst_pref_size 0
		.amdhsa_round_robin_scheduling 0
		.amdhsa_exception_fp_ieee_invalid_op 0
		.amdhsa_exception_fp_denorm_src 0
		.amdhsa_exception_fp_ieee_div_zero 0
		.amdhsa_exception_fp_ieee_overflow 0
		.amdhsa_exception_fp_ieee_underflow 0
		.amdhsa_exception_fp_ieee_inexact 0
		.amdhsa_exception_int_div_zero 0
	.end_amdhsa_kernel
	.section	.text._ZN7rocprim17ROCPRIM_400000_NS6detail17trampoline_kernelINS0_13select_configILj256ELj13ELNS0_17block_load_methodE3ELS4_3ELS4_3ELNS0_20block_scan_algorithmE0ELj4294967295EEENS1_25partition_config_selectorILNS1_17partition_subalgoE3EjNS0_10empty_typeEbEEZZNS1_14partition_implILS8_3ELb0ES6_jNS0_17counting_iteratorIjlEEPS9_SE_NS0_5tupleIJPjSE_EEENSF_IJSE_SE_EEES9_SG_JZNS1_25segmented_radix_sort_implINS0_14default_configELb1EPKhPhPKlPlN2at6native12_GLOBAL__N_18offset_tEEE10hipError_tPvRmT1_PNSt15iterator_traitsISY_E10value_typeET2_T3_PNSZ_IS14_E10value_typeET4_jRbjT5_S1A_jjP12ihipStream_tbEUljE_EEESV_SW_SX_S14_S18_S1A_T6_T7_T9_mT8_S1C_bDpT10_ENKUlT_T0_E_clISt17integral_constantIbLb1EES1P_EEDaS1K_S1L_EUlS1K_E_NS1_11comp_targetILNS1_3genE3ELNS1_11target_archE908ELNS1_3gpuE7ELNS1_3repE0EEENS1_30default_config_static_selectorELNS0_4arch9wavefront6targetE0EEEvSY_,"axG",@progbits,_ZN7rocprim17ROCPRIM_400000_NS6detail17trampoline_kernelINS0_13select_configILj256ELj13ELNS0_17block_load_methodE3ELS4_3ELS4_3ELNS0_20block_scan_algorithmE0ELj4294967295EEENS1_25partition_config_selectorILNS1_17partition_subalgoE3EjNS0_10empty_typeEbEEZZNS1_14partition_implILS8_3ELb0ES6_jNS0_17counting_iteratorIjlEEPS9_SE_NS0_5tupleIJPjSE_EEENSF_IJSE_SE_EEES9_SG_JZNS1_25segmented_radix_sort_implINS0_14default_configELb1EPKhPhPKlPlN2at6native12_GLOBAL__N_18offset_tEEE10hipError_tPvRmT1_PNSt15iterator_traitsISY_E10value_typeET2_T3_PNSZ_IS14_E10value_typeET4_jRbjT5_S1A_jjP12ihipStream_tbEUljE_EEESV_SW_SX_S14_S18_S1A_T6_T7_T9_mT8_S1C_bDpT10_ENKUlT_T0_E_clISt17integral_constantIbLb1EES1P_EEDaS1K_S1L_EUlS1K_E_NS1_11comp_targetILNS1_3genE3ELNS1_11target_archE908ELNS1_3gpuE7ELNS1_3repE0EEENS1_30default_config_static_selectorELNS0_4arch9wavefront6targetE0EEEvSY_,comdat
.Lfunc_end60:
	.size	_ZN7rocprim17ROCPRIM_400000_NS6detail17trampoline_kernelINS0_13select_configILj256ELj13ELNS0_17block_load_methodE3ELS4_3ELS4_3ELNS0_20block_scan_algorithmE0ELj4294967295EEENS1_25partition_config_selectorILNS1_17partition_subalgoE3EjNS0_10empty_typeEbEEZZNS1_14partition_implILS8_3ELb0ES6_jNS0_17counting_iteratorIjlEEPS9_SE_NS0_5tupleIJPjSE_EEENSF_IJSE_SE_EEES9_SG_JZNS1_25segmented_radix_sort_implINS0_14default_configELb1EPKhPhPKlPlN2at6native12_GLOBAL__N_18offset_tEEE10hipError_tPvRmT1_PNSt15iterator_traitsISY_E10value_typeET2_T3_PNSZ_IS14_E10value_typeET4_jRbjT5_S1A_jjP12ihipStream_tbEUljE_EEESV_SW_SX_S14_S18_S1A_T6_T7_T9_mT8_S1C_bDpT10_ENKUlT_T0_E_clISt17integral_constantIbLb1EES1P_EEDaS1K_S1L_EUlS1K_E_NS1_11comp_targetILNS1_3genE3ELNS1_11target_archE908ELNS1_3gpuE7ELNS1_3repE0EEENS1_30default_config_static_selectorELNS0_4arch9wavefront6targetE0EEEvSY_, .Lfunc_end60-_ZN7rocprim17ROCPRIM_400000_NS6detail17trampoline_kernelINS0_13select_configILj256ELj13ELNS0_17block_load_methodE3ELS4_3ELS4_3ELNS0_20block_scan_algorithmE0ELj4294967295EEENS1_25partition_config_selectorILNS1_17partition_subalgoE3EjNS0_10empty_typeEbEEZZNS1_14partition_implILS8_3ELb0ES6_jNS0_17counting_iteratorIjlEEPS9_SE_NS0_5tupleIJPjSE_EEENSF_IJSE_SE_EEES9_SG_JZNS1_25segmented_radix_sort_implINS0_14default_configELb1EPKhPhPKlPlN2at6native12_GLOBAL__N_18offset_tEEE10hipError_tPvRmT1_PNSt15iterator_traitsISY_E10value_typeET2_T3_PNSZ_IS14_E10value_typeET4_jRbjT5_S1A_jjP12ihipStream_tbEUljE_EEESV_SW_SX_S14_S18_S1A_T6_T7_T9_mT8_S1C_bDpT10_ENKUlT_T0_E_clISt17integral_constantIbLb1EES1P_EEDaS1K_S1L_EUlS1K_E_NS1_11comp_targetILNS1_3genE3ELNS1_11target_archE908ELNS1_3gpuE7ELNS1_3repE0EEENS1_30default_config_static_selectorELNS0_4arch9wavefront6targetE0EEEvSY_
                                        ; -- End function
	.set _ZN7rocprim17ROCPRIM_400000_NS6detail17trampoline_kernelINS0_13select_configILj256ELj13ELNS0_17block_load_methodE3ELS4_3ELS4_3ELNS0_20block_scan_algorithmE0ELj4294967295EEENS1_25partition_config_selectorILNS1_17partition_subalgoE3EjNS0_10empty_typeEbEEZZNS1_14partition_implILS8_3ELb0ES6_jNS0_17counting_iteratorIjlEEPS9_SE_NS0_5tupleIJPjSE_EEENSF_IJSE_SE_EEES9_SG_JZNS1_25segmented_radix_sort_implINS0_14default_configELb1EPKhPhPKlPlN2at6native12_GLOBAL__N_18offset_tEEE10hipError_tPvRmT1_PNSt15iterator_traitsISY_E10value_typeET2_T3_PNSZ_IS14_E10value_typeET4_jRbjT5_S1A_jjP12ihipStream_tbEUljE_EEESV_SW_SX_S14_S18_S1A_T6_T7_T9_mT8_S1C_bDpT10_ENKUlT_T0_E_clISt17integral_constantIbLb1EES1P_EEDaS1K_S1L_EUlS1K_E_NS1_11comp_targetILNS1_3genE3ELNS1_11target_archE908ELNS1_3gpuE7ELNS1_3repE0EEENS1_30default_config_static_selectorELNS0_4arch9wavefront6targetE0EEEvSY_.num_vgpr, 0
	.set _ZN7rocprim17ROCPRIM_400000_NS6detail17trampoline_kernelINS0_13select_configILj256ELj13ELNS0_17block_load_methodE3ELS4_3ELS4_3ELNS0_20block_scan_algorithmE0ELj4294967295EEENS1_25partition_config_selectorILNS1_17partition_subalgoE3EjNS0_10empty_typeEbEEZZNS1_14partition_implILS8_3ELb0ES6_jNS0_17counting_iteratorIjlEEPS9_SE_NS0_5tupleIJPjSE_EEENSF_IJSE_SE_EEES9_SG_JZNS1_25segmented_radix_sort_implINS0_14default_configELb1EPKhPhPKlPlN2at6native12_GLOBAL__N_18offset_tEEE10hipError_tPvRmT1_PNSt15iterator_traitsISY_E10value_typeET2_T3_PNSZ_IS14_E10value_typeET4_jRbjT5_S1A_jjP12ihipStream_tbEUljE_EEESV_SW_SX_S14_S18_S1A_T6_T7_T9_mT8_S1C_bDpT10_ENKUlT_T0_E_clISt17integral_constantIbLb1EES1P_EEDaS1K_S1L_EUlS1K_E_NS1_11comp_targetILNS1_3genE3ELNS1_11target_archE908ELNS1_3gpuE7ELNS1_3repE0EEENS1_30default_config_static_selectorELNS0_4arch9wavefront6targetE0EEEvSY_.num_agpr, 0
	.set _ZN7rocprim17ROCPRIM_400000_NS6detail17trampoline_kernelINS0_13select_configILj256ELj13ELNS0_17block_load_methodE3ELS4_3ELS4_3ELNS0_20block_scan_algorithmE0ELj4294967295EEENS1_25partition_config_selectorILNS1_17partition_subalgoE3EjNS0_10empty_typeEbEEZZNS1_14partition_implILS8_3ELb0ES6_jNS0_17counting_iteratorIjlEEPS9_SE_NS0_5tupleIJPjSE_EEENSF_IJSE_SE_EEES9_SG_JZNS1_25segmented_radix_sort_implINS0_14default_configELb1EPKhPhPKlPlN2at6native12_GLOBAL__N_18offset_tEEE10hipError_tPvRmT1_PNSt15iterator_traitsISY_E10value_typeET2_T3_PNSZ_IS14_E10value_typeET4_jRbjT5_S1A_jjP12ihipStream_tbEUljE_EEESV_SW_SX_S14_S18_S1A_T6_T7_T9_mT8_S1C_bDpT10_ENKUlT_T0_E_clISt17integral_constantIbLb1EES1P_EEDaS1K_S1L_EUlS1K_E_NS1_11comp_targetILNS1_3genE3ELNS1_11target_archE908ELNS1_3gpuE7ELNS1_3repE0EEENS1_30default_config_static_selectorELNS0_4arch9wavefront6targetE0EEEvSY_.numbered_sgpr, 0
	.set _ZN7rocprim17ROCPRIM_400000_NS6detail17trampoline_kernelINS0_13select_configILj256ELj13ELNS0_17block_load_methodE3ELS4_3ELS4_3ELNS0_20block_scan_algorithmE0ELj4294967295EEENS1_25partition_config_selectorILNS1_17partition_subalgoE3EjNS0_10empty_typeEbEEZZNS1_14partition_implILS8_3ELb0ES6_jNS0_17counting_iteratorIjlEEPS9_SE_NS0_5tupleIJPjSE_EEENSF_IJSE_SE_EEES9_SG_JZNS1_25segmented_radix_sort_implINS0_14default_configELb1EPKhPhPKlPlN2at6native12_GLOBAL__N_18offset_tEEE10hipError_tPvRmT1_PNSt15iterator_traitsISY_E10value_typeET2_T3_PNSZ_IS14_E10value_typeET4_jRbjT5_S1A_jjP12ihipStream_tbEUljE_EEESV_SW_SX_S14_S18_S1A_T6_T7_T9_mT8_S1C_bDpT10_ENKUlT_T0_E_clISt17integral_constantIbLb1EES1P_EEDaS1K_S1L_EUlS1K_E_NS1_11comp_targetILNS1_3genE3ELNS1_11target_archE908ELNS1_3gpuE7ELNS1_3repE0EEENS1_30default_config_static_selectorELNS0_4arch9wavefront6targetE0EEEvSY_.num_named_barrier, 0
	.set _ZN7rocprim17ROCPRIM_400000_NS6detail17trampoline_kernelINS0_13select_configILj256ELj13ELNS0_17block_load_methodE3ELS4_3ELS4_3ELNS0_20block_scan_algorithmE0ELj4294967295EEENS1_25partition_config_selectorILNS1_17partition_subalgoE3EjNS0_10empty_typeEbEEZZNS1_14partition_implILS8_3ELb0ES6_jNS0_17counting_iteratorIjlEEPS9_SE_NS0_5tupleIJPjSE_EEENSF_IJSE_SE_EEES9_SG_JZNS1_25segmented_radix_sort_implINS0_14default_configELb1EPKhPhPKlPlN2at6native12_GLOBAL__N_18offset_tEEE10hipError_tPvRmT1_PNSt15iterator_traitsISY_E10value_typeET2_T3_PNSZ_IS14_E10value_typeET4_jRbjT5_S1A_jjP12ihipStream_tbEUljE_EEESV_SW_SX_S14_S18_S1A_T6_T7_T9_mT8_S1C_bDpT10_ENKUlT_T0_E_clISt17integral_constantIbLb1EES1P_EEDaS1K_S1L_EUlS1K_E_NS1_11comp_targetILNS1_3genE3ELNS1_11target_archE908ELNS1_3gpuE7ELNS1_3repE0EEENS1_30default_config_static_selectorELNS0_4arch9wavefront6targetE0EEEvSY_.private_seg_size, 0
	.set _ZN7rocprim17ROCPRIM_400000_NS6detail17trampoline_kernelINS0_13select_configILj256ELj13ELNS0_17block_load_methodE3ELS4_3ELS4_3ELNS0_20block_scan_algorithmE0ELj4294967295EEENS1_25partition_config_selectorILNS1_17partition_subalgoE3EjNS0_10empty_typeEbEEZZNS1_14partition_implILS8_3ELb0ES6_jNS0_17counting_iteratorIjlEEPS9_SE_NS0_5tupleIJPjSE_EEENSF_IJSE_SE_EEES9_SG_JZNS1_25segmented_radix_sort_implINS0_14default_configELb1EPKhPhPKlPlN2at6native12_GLOBAL__N_18offset_tEEE10hipError_tPvRmT1_PNSt15iterator_traitsISY_E10value_typeET2_T3_PNSZ_IS14_E10value_typeET4_jRbjT5_S1A_jjP12ihipStream_tbEUljE_EEESV_SW_SX_S14_S18_S1A_T6_T7_T9_mT8_S1C_bDpT10_ENKUlT_T0_E_clISt17integral_constantIbLb1EES1P_EEDaS1K_S1L_EUlS1K_E_NS1_11comp_targetILNS1_3genE3ELNS1_11target_archE908ELNS1_3gpuE7ELNS1_3repE0EEENS1_30default_config_static_selectorELNS0_4arch9wavefront6targetE0EEEvSY_.uses_vcc, 0
	.set _ZN7rocprim17ROCPRIM_400000_NS6detail17trampoline_kernelINS0_13select_configILj256ELj13ELNS0_17block_load_methodE3ELS4_3ELS4_3ELNS0_20block_scan_algorithmE0ELj4294967295EEENS1_25partition_config_selectorILNS1_17partition_subalgoE3EjNS0_10empty_typeEbEEZZNS1_14partition_implILS8_3ELb0ES6_jNS0_17counting_iteratorIjlEEPS9_SE_NS0_5tupleIJPjSE_EEENSF_IJSE_SE_EEES9_SG_JZNS1_25segmented_radix_sort_implINS0_14default_configELb1EPKhPhPKlPlN2at6native12_GLOBAL__N_18offset_tEEE10hipError_tPvRmT1_PNSt15iterator_traitsISY_E10value_typeET2_T3_PNSZ_IS14_E10value_typeET4_jRbjT5_S1A_jjP12ihipStream_tbEUljE_EEESV_SW_SX_S14_S18_S1A_T6_T7_T9_mT8_S1C_bDpT10_ENKUlT_T0_E_clISt17integral_constantIbLb1EES1P_EEDaS1K_S1L_EUlS1K_E_NS1_11comp_targetILNS1_3genE3ELNS1_11target_archE908ELNS1_3gpuE7ELNS1_3repE0EEENS1_30default_config_static_selectorELNS0_4arch9wavefront6targetE0EEEvSY_.uses_flat_scratch, 0
	.set _ZN7rocprim17ROCPRIM_400000_NS6detail17trampoline_kernelINS0_13select_configILj256ELj13ELNS0_17block_load_methodE3ELS4_3ELS4_3ELNS0_20block_scan_algorithmE0ELj4294967295EEENS1_25partition_config_selectorILNS1_17partition_subalgoE3EjNS0_10empty_typeEbEEZZNS1_14partition_implILS8_3ELb0ES6_jNS0_17counting_iteratorIjlEEPS9_SE_NS0_5tupleIJPjSE_EEENSF_IJSE_SE_EEES9_SG_JZNS1_25segmented_radix_sort_implINS0_14default_configELb1EPKhPhPKlPlN2at6native12_GLOBAL__N_18offset_tEEE10hipError_tPvRmT1_PNSt15iterator_traitsISY_E10value_typeET2_T3_PNSZ_IS14_E10value_typeET4_jRbjT5_S1A_jjP12ihipStream_tbEUljE_EEESV_SW_SX_S14_S18_S1A_T6_T7_T9_mT8_S1C_bDpT10_ENKUlT_T0_E_clISt17integral_constantIbLb1EES1P_EEDaS1K_S1L_EUlS1K_E_NS1_11comp_targetILNS1_3genE3ELNS1_11target_archE908ELNS1_3gpuE7ELNS1_3repE0EEENS1_30default_config_static_selectorELNS0_4arch9wavefront6targetE0EEEvSY_.has_dyn_sized_stack, 0
	.set _ZN7rocprim17ROCPRIM_400000_NS6detail17trampoline_kernelINS0_13select_configILj256ELj13ELNS0_17block_load_methodE3ELS4_3ELS4_3ELNS0_20block_scan_algorithmE0ELj4294967295EEENS1_25partition_config_selectorILNS1_17partition_subalgoE3EjNS0_10empty_typeEbEEZZNS1_14partition_implILS8_3ELb0ES6_jNS0_17counting_iteratorIjlEEPS9_SE_NS0_5tupleIJPjSE_EEENSF_IJSE_SE_EEES9_SG_JZNS1_25segmented_radix_sort_implINS0_14default_configELb1EPKhPhPKlPlN2at6native12_GLOBAL__N_18offset_tEEE10hipError_tPvRmT1_PNSt15iterator_traitsISY_E10value_typeET2_T3_PNSZ_IS14_E10value_typeET4_jRbjT5_S1A_jjP12ihipStream_tbEUljE_EEESV_SW_SX_S14_S18_S1A_T6_T7_T9_mT8_S1C_bDpT10_ENKUlT_T0_E_clISt17integral_constantIbLb1EES1P_EEDaS1K_S1L_EUlS1K_E_NS1_11comp_targetILNS1_3genE3ELNS1_11target_archE908ELNS1_3gpuE7ELNS1_3repE0EEENS1_30default_config_static_selectorELNS0_4arch9wavefront6targetE0EEEvSY_.has_recursion, 0
	.set _ZN7rocprim17ROCPRIM_400000_NS6detail17trampoline_kernelINS0_13select_configILj256ELj13ELNS0_17block_load_methodE3ELS4_3ELS4_3ELNS0_20block_scan_algorithmE0ELj4294967295EEENS1_25partition_config_selectorILNS1_17partition_subalgoE3EjNS0_10empty_typeEbEEZZNS1_14partition_implILS8_3ELb0ES6_jNS0_17counting_iteratorIjlEEPS9_SE_NS0_5tupleIJPjSE_EEENSF_IJSE_SE_EEES9_SG_JZNS1_25segmented_radix_sort_implINS0_14default_configELb1EPKhPhPKlPlN2at6native12_GLOBAL__N_18offset_tEEE10hipError_tPvRmT1_PNSt15iterator_traitsISY_E10value_typeET2_T3_PNSZ_IS14_E10value_typeET4_jRbjT5_S1A_jjP12ihipStream_tbEUljE_EEESV_SW_SX_S14_S18_S1A_T6_T7_T9_mT8_S1C_bDpT10_ENKUlT_T0_E_clISt17integral_constantIbLb1EES1P_EEDaS1K_S1L_EUlS1K_E_NS1_11comp_targetILNS1_3genE3ELNS1_11target_archE908ELNS1_3gpuE7ELNS1_3repE0EEENS1_30default_config_static_selectorELNS0_4arch9wavefront6targetE0EEEvSY_.has_indirect_call, 0
	.section	.AMDGPU.csdata,"",@progbits
; Kernel info:
; codeLenInByte = 0
; TotalNumSgprs: 0
; NumVgprs: 0
; ScratchSize: 0
; MemoryBound: 0
; FloatMode: 240
; IeeeMode: 1
; LDSByteSize: 0 bytes/workgroup (compile time only)
; SGPRBlocks: 0
; VGPRBlocks: 0
; NumSGPRsForWavesPerEU: 1
; NumVGPRsForWavesPerEU: 1
; NamedBarCnt: 0
; Occupancy: 16
; WaveLimiterHint : 0
; COMPUTE_PGM_RSRC2:SCRATCH_EN: 0
; COMPUTE_PGM_RSRC2:USER_SGPR: 2
; COMPUTE_PGM_RSRC2:TRAP_HANDLER: 0
; COMPUTE_PGM_RSRC2:TGID_X_EN: 1
; COMPUTE_PGM_RSRC2:TGID_Y_EN: 0
; COMPUTE_PGM_RSRC2:TGID_Z_EN: 0
; COMPUTE_PGM_RSRC2:TIDIG_COMP_CNT: 0
	.section	.text._ZN7rocprim17ROCPRIM_400000_NS6detail17trampoline_kernelINS0_13select_configILj256ELj13ELNS0_17block_load_methodE3ELS4_3ELS4_3ELNS0_20block_scan_algorithmE0ELj4294967295EEENS1_25partition_config_selectorILNS1_17partition_subalgoE3EjNS0_10empty_typeEbEEZZNS1_14partition_implILS8_3ELb0ES6_jNS0_17counting_iteratorIjlEEPS9_SE_NS0_5tupleIJPjSE_EEENSF_IJSE_SE_EEES9_SG_JZNS1_25segmented_radix_sort_implINS0_14default_configELb1EPKhPhPKlPlN2at6native12_GLOBAL__N_18offset_tEEE10hipError_tPvRmT1_PNSt15iterator_traitsISY_E10value_typeET2_T3_PNSZ_IS14_E10value_typeET4_jRbjT5_S1A_jjP12ihipStream_tbEUljE_EEESV_SW_SX_S14_S18_S1A_T6_T7_T9_mT8_S1C_bDpT10_ENKUlT_T0_E_clISt17integral_constantIbLb1EES1P_EEDaS1K_S1L_EUlS1K_E_NS1_11comp_targetILNS1_3genE2ELNS1_11target_archE906ELNS1_3gpuE6ELNS1_3repE0EEENS1_30default_config_static_selectorELNS0_4arch9wavefront6targetE0EEEvSY_,"axG",@progbits,_ZN7rocprim17ROCPRIM_400000_NS6detail17trampoline_kernelINS0_13select_configILj256ELj13ELNS0_17block_load_methodE3ELS4_3ELS4_3ELNS0_20block_scan_algorithmE0ELj4294967295EEENS1_25partition_config_selectorILNS1_17partition_subalgoE3EjNS0_10empty_typeEbEEZZNS1_14partition_implILS8_3ELb0ES6_jNS0_17counting_iteratorIjlEEPS9_SE_NS0_5tupleIJPjSE_EEENSF_IJSE_SE_EEES9_SG_JZNS1_25segmented_radix_sort_implINS0_14default_configELb1EPKhPhPKlPlN2at6native12_GLOBAL__N_18offset_tEEE10hipError_tPvRmT1_PNSt15iterator_traitsISY_E10value_typeET2_T3_PNSZ_IS14_E10value_typeET4_jRbjT5_S1A_jjP12ihipStream_tbEUljE_EEESV_SW_SX_S14_S18_S1A_T6_T7_T9_mT8_S1C_bDpT10_ENKUlT_T0_E_clISt17integral_constantIbLb1EES1P_EEDaS1K_S1L_EUlS1K_E_NS1_11comp_targetILNS1_3genE2ELNS1_11target_archE906ELNS1_3gpuE6ELNS1_3repE0EEENS1_30default_config_static_selectorELNS0_4arch9wavefront6targetE0EEEvSY_,comdat
	.globl	_ZN7rocprim17ROCPRIM_400000_NS6detail17trampoline_kernelINS0_13select_configILj256ELj13ELNS0_17block_load_methodE3ELS4_3ELS4_3ELNS0_20block_scan_algorithmE0ELj4294967295EEENS1_25partition_config_selectorILNS1_17partition_subalgoE3EjNS0_10empty_typeEbEEZZNS1_14partition_implILS8_3ELb0ES6_jNS0_17counting_iteratorIjlEEPS9_SE_NS0_5tupleIJPjSE_EEENSF_IJSE_SE_EEES9_SG_JZNS1_25segmented_radix_sort_implINS0_14default_configELb1EPKhPhPKlPlN2at6native12_GLOBAL__N_18offset_tEEE10hipError_tPvRmT1_PNSt15iterator_traitsISY_E10value_typeET2_T3_PNSZ_IS14_E10value_typeET4_jRbjT5_S1A_jjP12ihipStream_tbEUljE_EEESV_SW_SX_S14_S18_S1A_T6_T7_T9_mT8_S1C_bDpT10_ENKUlT_T0_E_clISt17integral_constantIbLb1EES1P_EEDaS1K_S1L_EUlS1K_E_NS1_11comp_targetILNS1_3genE2ELNS1_11target_archE906ELNS1_3gpuE6ELNS1_3repE0EEENS1_30default_config_static_selectorELNS0_4arch9wavefront6targetE0EEEvSY_ ; -- Begin function _ZN7rocprim17ROCPRIM_400000_NS6detail17trampoline_kernelINS0_13select_configILj256ELj13ELNS0_17block_load_methodE3ELS4_3ELS4_3ELNS0_20block_scan_algorithmE0ELj4294967295EEENS1_25partition_config_selectorILNS1_17partition_subalgoE3EjNS0_10empty_typeEbEEZZNS1_14partition_implILS8_3ELb0ES6_jNS0_17counting_iteratorIjlEEPS9_SE_NS0_5tupleIJPjSE_EEENSF_IJSE_SE_EEES9_SG_JZNS1_25segmented_radix_sort_implINS0_14default_configELb1EPKhPhPKlPlN2at6native12_GLOBAL__N_18offset_tEEE10hipError_tPvRmT1_PNSt15iterator_traitsISY_E10value_typeET2_T3_PNSZ_IS14_E10value_typeET4_jRbjT5_S1A_jjP12ihipStream_tbEUljE_EEESV_SW_SX_S14_S18_S1A_T6_T7_T9_mT8_S1C_bDpT10_ENKUlT_T0_E_clISt17integral_constantIbLb1EES1P_EEDaS1K_S1L_EUlS1K_E_NS1_11comp_targetILNS1_3genE2ELNS1_11target_archE906ELNS1_3gpuE6ELNS1_3repE0EEENS1_30default_config_static_selectorELNS0_4arch9wavefront6targetE0EEEvSY_
	.p2align	8
	.type	_ZN7rocprim17ROCPRIM_400000_NS6detail17trampoline_kernelINS0_13select_configILj256ELj13ELNS0_17block_load_methodE3ELS4_3ELS4_3ELNS0_20block_scan_algorithmE0ELj4294967295EEENS1_25partition_config_selectorILNS1_17partition_subalgoE3EjNS0_10empty_typeEbEEZZNS1_14partition_implILS8_3ELb0ES6_jNS0_17counting_iteratorIjlEEPS9_SE_NS0_5tupleIJPjSE_EEENSF_IJSE_SE_EEES9_SG_JZNS1_25segmented_radix_sort_implINS0_14default_configELb1EPKhPhPKlPlN2at6native12_GLOBAL__N_18offset_tEEE10hipError_tPvRmT1_PNSt15iterator_traitsISY_E10value_typeET2_T3_PNSZ_IS14_E10value_typeET4_jRbjT5_S1A_jjP12ihipStream_tbEUljE_EEESV_SW_SX_S14_S18_S1A_T6_T7_T9_mT8_S1C_bDpT10_ENKUlT_T0_E_clISt17integral_constantIbLb1EES1P_EEDaS1K_S1L_EUlS1K_E_NS1_11comp_targetILNS1_3genE2ELNS1_11target_archE906ELNS1_3gpuE6ELNS1_3repE0EEENS1_30default_config_static_selectorELNS0_4arch9wavefront6targetE0EEEvSY_,@function
_ZN7rocprim17ROCPRIM_400000_NS6detail17trampoline_kernelINS0_13select_configILj256ELj13ELNS0_17block_load_methodE3ELS4_3ELS4_3ELNS0_20block_scan_algorithmE0ELj4294967295EEENS1_25partition_config_selectorILNS1_17partition_subalgoE3EjNS0_10empty_typeEbEEZZNS1_14partition_implILS8_3ELb0ES6_jNS0_17counting_iteratorIjlEEPS9_SE_NS0_5tupleIJPjSE_EEENSF_IJSE_SE_EEES9_SG_JZNS1_25segmented_radix_sort_implINS0_14default_configELb1EPKhPhPKlPlN2at6native12_GLOBAL__N_18offset_tEEE10hipError_tPvRmT1_PNSt15iterator_traitsISY_E10value_typeET2_T3_PNSZ_IS14_E10value_typeET4_jRbjT5_S1A_jjP12ihipStream_tbEUljE_EEESV_SW_SX_S14_S18_S1A_T6_T7_T9_mT8_S1C_bDpT10_ENKUlT_T0_E_clISt17integral_constantIbLb1EES1P_EEDaS1K_S1L_EUlS1K_E_NS1_11comp_targetILNS1_3genE2ELNS1_11target_archE906ELNS1_3gpuE6ELNS1_3repE0EEENS1_30default_config_static_selectorELNS0_4arch9wavefront6targetE0EEEvSY_: ; @_ZN7rocprim17ROCPRIM_400000_NS6detail17trampoline_kernelINS0_13select_configILj256ELj13ELNS0_17block_load_methodE3ELS4_3ELS4_3ELNS0_20block_scan_algorithmE0ELj4294967295EEENS1_25partition_config_selectorILNS1_17partition_subalgoE3EjNS0_10empty_typeEbEEZZNS1_14partition_implILS8_3ELb0ES6_jNS0_17counting_iteratorIjlEEPS9_SE_NS0_5tupleIJPjSE_EEENSF_IJSE_SE_EEES9_SG_JZNS1_25segmented_radix_sort_implINS0_14default_configELb1EPKhPhPKlPlN2at6native12_GLOBAL__N_18offset_tEEE10hipError_tPvRmT1_PNSt15iterator_traitsISY_E10value_typeET2_T3_PNSZ_IS14_E10value_typeET4_jRbjT5_S1A_jjP12ihipStream_tbEUljE_EEESV_SW_SX_S14_S18_S1A_T6_T7_T9_mT8_S1C_bDpT10_ENKUlT_T0_E_clISt17integral_constantIbLb1EES1P_EEDaS1K_S1L_EUlS1K_E_NS1_11comp_targetILNS1_3genE2ELNS1_11target_archE906ELNS1_3gpuE6ELNS1_3repE0EEENS1_30default_config_static_selectorELNS0_4arch9wavefront6targetE0EEEvSY_
; %bb.0:
	.section	.rodata,"a",@progbits
	.p2align	6, 0x0
	.amdhsa_kernel _ZN7rocprim17ROCPRIM_400000_NS6detail17trampoline_kernelINS0_13select_configILj256ELj13ELNS0_17block_load_methodE3ELS4_3ELS4_3ELNS0_20block_scan_algorithmE0ELj4294967295EEENS1_25partition_config_selectorILNS1_17partition_subalgoE3EjNS0_10empty_typeEbEEZZNS1_14partition_implILS8_3ELb0ES6_jNS0_17counting_iteratorIjlEEPS9_SE_NS0_5tupleIJPjSE_EEENSF_IJSE_SE_EEES9_SG_JZNS1_25segmented_radix_sort_implINS0_14default_configELb1EPKhPhPKlPlN2at6native12_GLOBAL__N_18offset_tEEE10hipError_tPvRmT1_PNSt15iterator_traitsISY_E10value_typeET2_T3_PNSZ_IS14_E10value_typeET4_jRbjT5_S1A_jjP12ihipStream_tbEUljE_EEESV_SW_SX_S14_S18_S1A_T6_T7_T9_mT8_S1C_bDpT10_ENKUlT_T0_E_clISt17integral_constantIbLb1EES1P_EEDaS1K_S1L_EUlS1K_E_NS1_11comp_targetILNS1_3genE2ELNS1_11target_archE906ELNS1_3gpuE6ELNS1_3repE0EEENS1_30default_config_static_selectorELNS0_4arch9wavefront6targetE0EEEvSY_
		.amdhsa_group_segment_fixed_size 0
		.amdhsa_private_segment_fixed_size 0
		.amdhsa_kernarg_size 152
		.amdhsa_user_sgpr_count 2
		.amdhsa_user_sgpr_dispatch_ptr 0
		.amdhsa_user_sgpr_queue_ptr 0
		.amdhsa_user_sgpr_kernarg_segment_ptr 1
		.amdhsa_user_sgpr_dispatch_id 0
		.amdhsa_user_sgpr_kernarg_preload_length 0
		.amdhsa_user_sgpr_kernarg_preload_offset 0
		.amdhsa_user_sgpr_private_segment_size 0
		.amdhsa_wavefront_size32 1
		.amdhsa_uses_dynamic_stack 0
		.amdhsa_enable_private_segment 0
		.amdhsa_system_sgpr_workgroup_id_x 1
		.amdhsa_system_sgpr_workgroup_id_y 0
		.amdhsa_system_sgpr_workgroup_id_z 0
		.amdhsa_system_sgpr_workgroup_info 0
		.amdhsa_system_vgpr_workitem_id 0
		.amdhsa_next_free_vgpr 1
		.amdhsa_next_free_sgpr 1
		.amdhsa_named_barrier_count 0
		.amdhsa_reserve_vcc 0
		.amdhsa_float_round_mode_32 0
		.amdhsa_float_round_mode_16_64 0
		.amdhsa_float_denorm_mode_32 3
		.amdhsa_float_denorm_mode_16_64 3
		.amdhsa_fp16_overflow 0
		.amdhsa_memory_ordered 1
		.amdhsa_forward_progress 1
		.amdhsa_inst_pref_size 0
		.amdhsa_round_robin_scheduling 0
		.amdhsa_exception_fp_ieee_invalid_op 0
		.amdhsa_exception_fp_denorm_src 0
		.amdhsa_exception_fp_ieee_div_zero 0
		.amdhsa_exception_fp_ieee_overflow 0
		.amdhsa_exception_fp_ieee_underflow 0
		.amdhsa_exception_fp_ieee_inexact 0
		.amdhsa_exception_int_div_zero 0
	.end_amdhsa_kernel
	.section	.text._ZN7rocprim17ROCPRIM_400000_NS6detail17trampoline_kernelINS0_13select_configILj256ELj13ELNS0_17block_load_methodE3ELS4_3ELS4_3ELNS0_20block_scan_algorithmE0ELj4294967295EEENS1_25partition_config_selectorILNS1_17partition_subalgoE3EjNS0_10empty_typeEbEEZZNS1_14partition_implILS8_3ELb0ES6_jNS0_17counting_iteratorIjlEEPS9_SE_NS0_5tupleIJPjSE_EEENSF_IJSE_SE_EEES9_SG_JZNS1_25segmented_radix_sort_implINS0_14default_configELb1EPKhPhPKlPlN2at6native12_GLOBAL__N_18offset_tEEE10hipError_tPvRmT1_PNSt15iterator_traitsISY_E10value_typeET2_T3_PNSZ_IS14_E10value_typeET4_jRbjT5_S1A_jjP12ihipStream_tbEUljE_EEESV_SW_SX_S14_S18_S1A_T6_T7_T9_mT8_S1C_bDpT10_ENKUlT_T0_E_clISt17integral_constantIbLb1EES1P_EEDaS1K_S1L_EUlS1K_E_NS1_11comp_targetILNS1_3genE2ELNS1_11target_archE906ELNS1_3gpuE6ELNS1_3repE0EEENS1_30default_config_static_selectorELNS0_4arch9wavefront6targetE0EEEvSY_,"axG",@progbits,_ZN7rocprim17ROCPRIM_400000_NS6detail17trampoline_kernelINS0_13select_configILj256ELj13ELNS0_17block_load_methodE3ELS4_3ELS4_3ELNS0_20block_scan_algorithmE0ELj4294967295EEENS1_25partition_config_selectorILNS1_17partition_subalgoE3EjNS0_10empty_typeEbEEZZNS1_14partition_implILS8_3ELb0ES6_jNS0_17counting_iteratorIjlEEPS9_SE_NS0_5tupleIJPjSE_EEENSF_IJSE_SE_EEES9_SG_JZNS1_25segmented_radix_sort_implINS0_14default_configELb1EPKhPhPKlPlN2at6native12_GLOBAL__N_18offset_tEEE10hipError_tPvRmT1_PNSt15iterator_traitsISY_E10value_typeET2_T3_PNSZ_IS14_E10value_typeET4_jRbjT5_S1A_jjP12ihipStream_tbEUljE_EEESV_SW_SX_S14_S18_S1A_T6_T7_T9_mT8_S1C_bDpT10_ENKUlT_T0_E_clISt17integral_constantIbLb1EES1P_EEDaS1K_S1L_EUlS1K_E_NS1_11comp_targetILNS1_3genE2ELNS1_11target_archE906ELNS1_3gpuE6ELNS1_3repE0EEENS1_30default_config_static_selectorELNS0_4arch9wavefront6targetE0EEEvSY_,comdat
.Lfunc_end61:
	.size	_ZN7rocprim17ROCPRIM_400000_NS6detail17trampoline_kernelINS0_13select_configILj256ELj13ELNS0_17block_load_methodE3ELS4_3ELS4_3ELNS0_20block_scan_algorithmE0ELj4294967295EEENS1_25partition_config_selectorILNS1_17partition_subalgoE3EjNS0_10empty_typeEbEEZZNS1_14partition_implILS8_3ELb0ES6_jNS0_17counting_iteratorIjlEEPS9_SE_NS0_5tupleIJPjSE_EEENSF_IJSE_SE_EEES9_SG_JZNS1_25segmented_radix_sort_implINS0_14default_configELb1EPKhPhPKlPlN2at6native12_GLOBAL__N_18offset_tEEE10hipError_tPvRmT1_PNSt15iterator_traitsISY_E10value_typeET2_T3_PNSZ_IS14_E10value_typeET4_jRbjT5_S1A_jjP12ihipStream_tbEUljE_EEESV_SW_SX_S14_S18_S1A_T6_T7_T9_mT8_S1C_bDpT10_ENKUlT_T0_E_clISt17integral_constantIbLb1EES1P_EEDaS1K_S1L_EUlS1K_E_NS1_11comp_targetILNS1_3genE2ELNS1_11target_archE906ELNS1_3gpuE6ELNS1_3repE0EEENS1_30default_config_static_selectorELNS0_4arch9wavefront6targetE0EEEvSY_, .Lfunc_end61-_ZN7rocprim17ROCPRIM_400000_NS6detail17trampoline_kernelINS0_13select_configILj256ELj13ELNS0_17block_load_methodE3ELS4_3ELS4_3ELNS0_20block_scan_algorithmE0ELj4294967295EEENS1_25partition_config_selectorILNS1_17partition_subalgoE3EjNS0_10empty_typeEbEEZZNS1_14partition_implILS8_3ELb0ES6_jNS0_17counting_iteratorIjlEEPS9_SE_NS0_5tupleIJPjSE_EEENSF_IJSE_SE_EEES9_SG_JZNS1_25segmented_radix_sort_implINS0_14default_configELb1EPKhPhPKlPlN2at6native12_GLOBAL__N_18offset_tEEE10hipError_tPvRmT1_PNSt15iterator_traitsISY_E10value_typeET2_T3_PNSZ_IS14_E10value_typeET4_jRbjT5_S1A_jjP12ihipStream_tbEUljE_EEESV_SW_SX_S14_S18_S1A_T6_T7_T9_mT8_S1C_bDpT10_ENKUlT_T0_E_clISt17integral_constantIbLb1EES1P_EEDaS1K_S1L_EUlS1K_E_NS1_11comp_targetILNS1_3genE2ELNS1_11target_archE906ELNS1_3gpuE6ELNS1_3repE0EEENS1_30default_config_static_selectorELNS0_4arch9wavefront6targetE0EEEvSY_
                                        ; -- End function
	.set _ZN7rocprim17ROCPRIM_400000_NS6detail17trampoline_kernelINS0_13select_configILj256ELj13ELNS0_17block_load_methodE3ELS4_3ELS4_3ELNS0_20block_scan_algorithmE0ELj4294967295EEENS1_25partition_config_selectorILNS1_17partition_subalgoE3EjNS0_10empty_typeEbEEZZNS1_14partition_implILS8_3ELb0ES6_jNS0_17counting_iteratorIjlEEPS9_SE_NS0_5tupleIJPjSE_EEENSF_IJSE_SE_EEES9_SG_JZNS1_25segmented_radix_sort_implINS0_14default_configELb1EPKhPhPKlPlN2at6native12_GLOBAL__N_18offset_tEEE10hipError_tPvRmT1_PNSt15iterator_traitsISY_E10value_typeET2_T3_PNSZ_IS14_E10value_typeET4_jRbjT5_S1A_jjP12ihipStream_tbEUljE_EEESV_SW_SX_S14_S18_S1A_T6_T7_T9_mT8_S1C_bDpT10_ENKUlT_T0_E_clISt17integral_constantIbLb1EES1P_EEDaS1K_S1L_EUlS1K_E_NS1_11comp_targetILNS1_3genE2ELNS1_11target_archE906ELNS1_3gpuE6ELNS1_3repE0EEENS1_30default_config_static_selectorELNS0_4arch9wavefront6targetE0EEEvSY_.num_vgpr, 0
	.set _ZN7rocprim17ROCPRIM_400000_NS6detail17trampoline_kernelINS0_13select_configILj256ELj13ELNS0_17block_load_methodE3ELS4_3ELS4_3ELNS0_20block_scan_algorithmE0ELj4294967295EEENS1_25partition_config_selectorILNS1_17partition_subalgoE3EjNS0_10empty_typeEbEEZZNS1_14partition_implILS8_3ELb0ES6_jNS0_17counting_iteratorIjlEEPS9_SE_NS0_5tupleIJPjSE_EEENSF_IJSE_SE_EEES9_SG_JZNS1_25segmented_radix_sort_implINS0_14default_configELb1EPKhPhPKlPlN2at6native12_GLOBAL__N_18offset_tEEE10hipError_tPvRmT1_PNSt15iterator_traitsISY_E10value_typeET2_T3_PNSZ_IS14_E10value_typeET4_jRbjT5_S1A_jjP12ihipStream_tbEUljE_EEESV_SW_SX_S14_S18_S1A_T6_T7_T9_mT8_S1C_bDpT10_ENKUlT_T0_E_clISt17integral_constantIbLb1EES1P_EEDaS1K_S1L_EUlS1K_E_NS1_11comp_targetILNS1_3genE2ELNS1_11target_archE906ELNS1_3gpuE6ELNS1_3repE0EEENS1_30default_config_static_selectorELNS0_4arch9wavefront6targetE0EEEvSY_.num_agpr, 0
	.set _ZN7rocprim17ROCPRIM_400000_NS6detail17trampoline_kernelINS0_13select_configILj256ELj13ELNS0_17block_load_methodE3ELS4_3ELS4_3ELNS0_20block_scan_algorithmE0ELj4294967295EEENS1_25partition_config_selectorILNS1_17partition_subalgoE3EjNS0_10empty_typeEbEEZZNS1_14partition_implILS8_3ELb0ES6_jNS0_17counting_iteratorIjlEEPS9_SE_NS0_5tupleIJPjSE_EEENSF_IJSE_SE_EEES9_SG_JZNS1_25segmented_radix_sort_implINS0_14default_configELb1EPKhPhPKlPlN2at6native12_GLOBAL__N_18offset_tEEE10hipError_tPvRmT1_PNSt15iterator_traitsISY_E10value_typeET2_T3_PNSZ_IS14_E10value_typeET4_jRbjT5_S1A_jjP12ihipStream_tbEUljE_EEESV_SW_SX_S14_S18_S1A_T6_T7_T9_mT8_S1C_bDpT10_ENKUlT_T0_E_clISt17integral_constantIbLb1EES1P_EEDaS1K_S1L_EUlS1K_E_NS1_11comp_targetILNS1_3genE2ELNS1_11target_archE906ELNS1_3gpuE6ELNS1_3repE0EEENS1_30default_config_static_selectorELNS0_4arch9wavefront6targetE0EEEvSY_.numbered_sgpr, 0
	.set _ZN7rocprim17ROCPRIM_400000_NS6detail17trampoline_kernelINS0_13select_configILj256ELj13ELNS0_17block_load_methodE3ELS4_3ELS4_3ELNS0_20block_scan_algorithmE0ELj4294967295EEENS1_25partition_config_selectorILNS1_17partition_subalgoE3EjNS0_10empty_typeEbEEZZNS1_14partition_implILS8_3ELb0ES6_jNS0_17counting_iteratorIjlEEPS9_SE_NS0_5tupleIJPjSE_EEENSF_IJSE_SE_EEES9_SG_JZNS1_25segmented_radix_sort_implINS0_14default_configELb1EPKhPhPKlPlN2at6native12_GLOBAL__N_18offset_tEEE10hipError_tPvRmT1_PNSt15iterator_traitsISY_E10value_typeET2_T3_PNSZ_IS14_E10value_typeET4_jRbjT5_S1A_jjP12ihipStream_tbEUljE_EEESV_SW_SX_S14_S18_S1A_T6_T7_T9_mT8_S1C_bDpT10_ENKUlT_T0_E_clISt17integral_constantIbLb1EES1P_EEDaS1K_S1L_EUlS1K_E_NS1_11comp_targetILNS1_3genE2ELNS1_11target_archE906ELNS1_3gpuE6ELNS1_3repE0EEENS1_30default_config_static_selectorELNS0_4arch9wavefront6targetE0EEEvSY_.num_named_barrier, 0
	.set _ZN7rocprim17ROCPRIM_400000_NS6detail17trampoline_kernelINS0_13select_configILj256ELj13ELNS0_17block_load_methodE3ELS4_3ELS4_3ELNS0_20block_scan_algorithmE0ELj4294967295EEENS1_25partition_config_selectorILNS1_17partition_subalgoE3EjNS0_10empty_typeEbEEZZNS1_14partition_implILS8_3ELb0ES6_jNS0_17counting_iteratorIjlEEPS9_SE_NS0_5tupleIJPjSE_EEENSF_IJSE_SE_EEES9_SG_JZNS1_25segmented_radix_sort_implINS0_14default_configELb1EPKhPhPKlPlN2at6native12_GLOBAL__N_18offset_tEEE10hipError_tPvRmT1_PNSt15iterator_traitsISY_E10value_typeET2_T3_PNSZ_IS14_E10value_typeET4_jRbjT5_S1A_jjP12ihipStream_tbEUljE_EEESV_SW_SX_S14_S18_S1A_T6_T7_T9_mT8_S1C_bDpT10_ENKUlT_T0_E_clISt17integral_constantIbLb1EES1P_EEDaS1K_S1L_EUlS1K_E_NS1_11comp_targetILNS1_3genE2ELNS1_11target_archE906ELNS1_3gpuE6ELNS1_3repE0EEENS1_30default_config_static_selectorELNS0_4arch9wavefront6targetE0EEEvSY_.private_seg_size, 0
	.set _ZN7rocprim17ROCPRIM_400000_NS6detail17trampoline_kernelINS0_13select_configILj256ELj13ELNS0_17block_load_methodE3ELS4_3ELS4_3ELNS0_20block_scan_algorithmE0ELj4294967295EEENS1_25partition_config_selectorILNS1_17partition_subalgoE3EjNS0_10empty_typeEbEEZZNS1_14partition_implILS8_3ELb0ES6_jNS0_17counting_iteratorIjlEEPS9_SE_NS0_5tupleIJPjSE_EEENSF_IJSE_SE_EEES9_SG_JZNS1_25segmented_radix_sort_implINS0_14default_configELb1EPKhPhPKlPlN2at6native12_GLOBAL__N_18offset_tEEE10hipError_tPvRmT1_PNSt15iterator_traitsISY_E10value_typeET2_T3_PNSZ_IS14_E10value_typeET4_jRbjT5_S1A_jjP12ihipStream_tbEUljE_EEESV_SW_SX_S14_S18_S1A_T6_T7_T9_mT8_S1C_bDpT10_ENKUlT_T0_E_clISt17integral_constantIbLb1EES1P_EEDaS1K_S1L_EUlS1K_E_NS1_11comp_targetILNS1_3genE2ELNS1_11target_archE906ELNS1_3gpuE6ELNS1_3repE0EEENS1_30default_config_static_selectorELNS0_4arch9wavefront6targetE0EEEvSY_.uses_vcc, 0
	.set _ZN7rocprim17ROCPRIM_400000_NS6detail17trampoline_kernelINS0_13select_configILj256ELj13ELNS0_17block_load_methodE3ELS4_3ELS4_3ELNS0_20block_scan_algorithmE0ELj4294967295EEENS1_25partition_config_selectorILNS1_17partition_subalgoE3EjNS0_10empty_typeEbEEZZNS1_14partition_implILS8_3ELb0ES6_jNS0_17counting_iteratorIjlEEPS9_SE_NS0_5tupleIJPjSE_EEENSF_IJSE_SE_EEES9_SG_JZNS1_25segmented_radix_sort_implINS0_14default_configELb1EPKhPhPKlPlN2at6native12_GLOBAL__N_18offset_tEEE10hipError_tPvRmT1_PNSt15iterator_traitsISY_E10value_typeET2_T3_PNSZ_IS14_E10value_typeET4_jRbjT5_S1A_jjP12ihipStream_tbEUljE_EEESV_SW_SX_S14_S18_S1A_T6_T7_T9_mT8_S1C_bDpT10_ENKUlT_T0_E_clISt17integral_constantIbLb1EES1P_EEDaS1K_S1L_EUlS1K_E_NS1_11comp_targetILNS1_3genE2ELNS1_11target_archE906ELNS1_3gpuE6ELNS1_3repE0EEENS1_30default_config_static_selectorELNS0_4arch9wavefront6targetE0EEEvSY_.uses_flat_scratch, 0
	.set _ZN7rocprim17ROCPRIM_400000_NS6detail17trampoline_kernelINS0_13select_configILj256ELj13ELNS0_17block_load_methodE3ELS4_3ELS4_3ELNS0_20block_scan_algorithmE0ELj4294967295EEENS1_25partition_config_selectorILNS1_17partition_subalgoE3EjNS0_10empty_typeEbEEZZNS1_14partition_implILS8_3ELb0ES6_jNS0_17counting_iteratorIjlEEPS9_SE_NS0_5tupleIJPjSE_EEENSF_IJSE_SE_EEES9_SG_JZNS1_25segmented_radix_sort_implINS0_14default_configELb1EPKhPhPKlPlN2at6native12_GLOBAL__N_18offset_tEEE10hipError_tPvRmT1_PNSt15iterator_traitsISY_E10value_typeET2_T3_PNSZ_IS14_E10value_typeET4_jRbjT5_S1A_jjP12ihipStream_tbEUljE_EEESV_SW_SX_S14_S18_S1A_T6_T7_T9_mT8_S1C_bDpT10_ENKUlT_T0_E_clISt17integral_constantIbLb1EES1P_EEDaS1K_S1L_EUlS1K_E_NS1_11comp_targetILNS1_3genE2ELNS1_11target_archE906ELNS1_3gpuE6ELNS1_3repE0EEENS1_30default_config_static_selectorELNS0_4arch9wavefront6targetE0EEEvSY_.has_dyn_sized_stack, 0
	.set _ZN7rocprim17ROCPRIM_400000_NS6detail17trampoline_kernelINS0_13select_configILj256ELj13ELNS0_17block_load_methodE3ELS4_3ELS4_3ELNS0_20block_scan_algorithmE0ELj4294967295EEENS1_25partition_config_selectorILNS1_17partition_subalgoE3EjNS0_10empty_typeEbEEZZNS1_14partition_implILS8_3ELb0ES6_jNS0_17counting_iteratorIjlEEPS9_SE_NS0_5tupleIJPjSE_EEENSF_IJSE_SE_EEES9_SG_JZNS1_25segmented_radix_sort_implINS0_14default_configELb1EPKhPhPKlPlN2at6native12_GLOBAL__N_18offset_tEEE10hipError_tPvRmT1_PNSt15iterator_traitsISY_E10value_typeET2_T3_PNSZ_IS14_E10value_typeET4_jRbjT5_S1A_jjP12ihipStream_tbEUljE_EEESV_SW_SX_S14_S18_S1A_T6_T7_T9_mT8_S1C_bDpT10_ENKUlT_T0_E_clISt17integral_constantIbLb1EES1P_EEDaS1K_S1L_EUlS1K_E_NS1_11comp_targetILNS1_3genE2ELNS1_11target_archE906ELNS1_3gpuE6ELNS1_3repE0EEENS1_30default_config_static_selectorELNS0_4arch9wavefront6targetE0EEEvSY_.has_recursion, 0
	.set _ZN7rocprim17ROCPRIM_400000_NS6detail17trampoline_kernelINS0_13select_configILj256ELj13ELNS0_17block_load_methodE3ELS4_3ELS4_3ELNS0_20block_scan_algorithmE0ELj4294967295EEENS1_25partition_config_selectorILNS1_17partition_subalgoE3EjNS0_10empty_typeEbEEZZNS1_14partition_implILS8_3ELb0ES6_jNS0_17counting_iteratorIjlEEPS9_SE_NS0_5tupleIJPjSE_EEENSF_IJSE_SE_EEES9_SG_JZNS1_25segmented_radix_sort_implINS0_14default_configELb1EPKhPhPKlPlN2at6native12_GLOBAL__N_18offset_tEEE10hipError_tPvRmT1_PNSt15iterator_traitsISY_E10value_typeET2_T3_PNSZ_IS14_E10value_typeET4_jRbjT5_S1A_jjP12ihipStream_tbEUljE_EEESV_SW_SX_S14_S18_S1A_T6_T7_T9_mT8_S1C_bDpT10_ENKUlT_T0_E_clISt17integral_constantIbLb1EES1P_EEDaS1K_S1L_EUlS1K_E_NS1_11comp_targetILNS1_3genE2ELNS1_11target_archE906ELNS1_3gpuE6ELNS1_3repE0EEENS1_30default_config_static_selectorELNS0_4arch9wavefront6targetE0EEEvSY_.has_indirect_call, 0
	.section	.AMDGPU.csdata,"",@progbits
; Kernel info:
; codeLenInByte = 0
; TotalNumSgprs: 0
; NumVgprs: 0
; ScratchSize: 0
; MemoryBound: 0
; FloatMode: 240
; IeeeMode: 1
; LDSByteSize: 0 bytes/workgroup (compile time only)
; SGPRBlocks: 0
; VGPRBlocks: 0
; NumSGPRsForWavesPerEU: 1
; NumVGPRsForWavesPerEU: 1
; NamedBarCnt: 0
; Occupancy: 16
; WaveLimiterHint : 0
; COMPUTE_PGM_RSRC2:SCRATCH_EN: 0
; COMPUTE_PGM_RSRC2:USER_SGPR: 2
; COMPUTE_PGM_RSRC2:TRAP_HANDLER: 0
; COMPUTE_PGM_RSRC2:TGID_X_EN: 1
; COMPUTE_PGM_RSRC2:TGID_Y_EN: 0
; COMPUTE_PGM_RSRC2:TGID_Z_EN: 0
; COMPUTE_PGM_RSRC2:TIDIG_COMP_CNT: 0
	.section	.text._ZN7rocprim17ROCPRIM_400000_NS6detail17trampoline_kernelINS0_13select_configILj256ELj13ELNS0_17block_load_methodE3ELS4_3ELS4_3ELNS0_20block_scan_algorithmE0ELj4294967295EEENS1_25partition_config_selectorILNS1_17partition_subalgoE3EjNS0_10empty_typeEbEEZZNS1_14partition_implILS8_3ELb0ES6_jNS0_17counting_iteratorIjlEEPS9_SE_NS0_5tupleIJPjSE_EEENSF_IJSE_SE_EEES9_SG_JZNS1_25segmented_radix_sort_implINS0_14default_configELb1EPKhPhPKlPlN2at6native12_GLOBAL__N_18offset_tEEE10hipError_tPvRmT1_PNSt15iterator_traitsISY_E10value_typeET2_T3_PNSZ_IS14_E10value_typeET4_jRbjT5_S1A_jjP12ihipStream_tbEUljE_EEESV_SW_SX_S14_S18_S1A_T6_T7_T9_mT8_S1C_bDpT10_ENKUlT_T0_E_clISt17integral_constantIbLb1EES1P_EEDaS1K_S1L_EUlS1K_E_NS1_11comp_targetILNS1_3genE10ELNS1_11target_archE1200ELNS1_3gpuE4ELNS1_3repE0EEENS1_30default_config_static_selectorELNS0_4arch9wavefront6targetE0EEEvSY_,"axG",@progbits,_ZN7rocprim17ROCPRIM_400000_NS6detail17trampoline_kernelINS0_13select_configILj256ELj13ELNS0_17block_load_methodE3ELS4_3ELS4_3ELNS0_20block_scan_algorithmE0ELj4294967295EEENS1_25partition_config_selectorILNS1_17partition_subalgoE3EjNS0_10empty_typeEbEEZZNS1_14partition_implILS8_3ELb0ES6_jNS0_17counting_iteratorIjlEEPS9_SE_NS0_5tupleIJPjSE_EEENSF_IJSE_SE_EEES9_SG_JZNS1_25segmented_radix_sort_implINS0_14default_configELb1EPKhPhPKlPlN2at6native12_GLOBAL__N_18offset_tEEE10hipError_tPvRmT1_PNSt15iterator_traitsISY_E10value_typeET2_T3_PNSZ_IS14_E10value_typeET4_jRbjT5_S1A_jjP12ihipStream_tbEUljE_EEESV_SW_SX_S14_S18_S1A_T6_T7_T9_mT8_S1C_bDpT10_ENKUlT_T0_E_clISt17integral_constantIbLb1EES1P_EEDaS1K_S1L_EUlS1K_E_NS1_11comp_targetILNS1_3genE10ELNS1_11target_archE1200ELNS1_3gpuE4ELNS1_3repE0EEENS1_30default_config_static_selectorELNS0_4arch9wavefront6targetE0EEEvSY_,comdat
	.globl	_ZN7rocprim17ROCPRIM_400000_NS6detail17trampoline_kernelINS0_13select_configILj256ELj13ELNS0_17block_load_methodE3ELS4_3ELS4_3ELNS0_20block_scan_algorithmE0ELj4294967295EEENS1_25partition_config_selectorILNS1_17partition_subalgoE3EjNS0_10empty_typeEbEEZZNS1_14partition_implILS8_3ELb0ES6_jNS0_17counting_iteratorIjlEEPS9_SE_NS0_5tupleIJPjSE_EEENSF_IJSE_SE_EEES9_SG_JZNS1_25segmented_radix_sort_implINS0_14default_configELb1EPKhPhPKlPlN2at6native12_GLOBAL__N_18offset_tEEE10hipError_tPvRmT1_PNSt15iterator_traitsISY_E10value_typeET2_T3_PNSZ_IS14_E10value_typeET4_jRbjT5_S1A_jjP12ihipStream_tbEUljE_EEESV_SW_SX_S14_S18_S1A_T6_T7_T9_mT8_S1C_bDpT10_ENKUlT_T0_E_clISt17integral_constantIbLb1EES1P_EEDaS1K_S1L_EUlS1K_E_NS1_11comp_targetILNS1_3genE10ELNS1_11target_archE1200ELNS1_3gpuE4ELNS1_3repE0EEENS1_30default_config_static_selectorELNS0_4arch9wavefront6targetE0EEEvSY_ ; -- Begin function _ZN7rocprim17ROCPRIM_400000_NS6detail17trampoline_kernelINS0_13select_configILj256ELj13ELNS0_17block_load_methodE3ELS4_3ELS4_3ELNS0_20block_scan_algorithmE0ELj4294967295EEENS1_25partition_config_selectorILNS1_17partition_subalgoE3EjNS0_10empty_typeEbEEZZNS1_14partition_implILS8_3ELb0ES6_jNS0_17counting_iteratorIjlEEPS9_SE_NS0_5tupleIJPjSE_EEENSF_IJSE_SE_EEES9_SG_JZNS1_25segmented_radix_sort_implINS0_14default_configELb1EPKhPhPKlPlN2at6native12_GLOBAL__N_18offset_tEEE10hipError_tPvRmT1_PNSt15iterator_traitsISY_E10value_typeET2_T3_PNSZ_IS14_E10value_typeET4_jRbjT5_S1A_jjP12ihipStream_tbEUljE_EEESV_SW_SX_S14_S18_S1A_T6_T7_T9_mT8_S1C_bDpT10_ENKUlT_T0_E_clISt17integral_constantIbLb1EES1P_EEDaS1K_S1L_EUlS1K_E_NS1_11comp_targetILNS1_3genE10ELNS1_11target_archE1200ELNS1_3gpuE4ELNS1_3repE0EEENS1_30default_config_static_selectorELNS0_4arch9wavefront6targetE0EEEvSY_
	.p2align	8
	.type	_ZN7rocprim17ROCPRIM_400000_NS6detail17trampoline_kernelINS0_13select_configILj256ELj13ELNS0_17block_load_methodE3ELS4_3ELS4_3ELNS0_20block_scan_algorithmE0ELj4294967295EEENS1_25partition_config_selectorILNS1_17partition_subalgoE3EjNS0_10empty_typeEbEEZZNS1_14partition_implILS8_3ELb0ES6_jNS0_17counting_iteratorIjlEEPS9_SE_NS0_5tupleIJPjSE_EEENSF_IJSE_SE_EEES9_SG_JZNS1_25segmented_radix_sort_implINS0_14default_configELb1EPKhPhPKlPlN2at6native12_GLOBAL__N_18offset_tEEE10hipError_tPvRmT1_PNSt15iterator_traitsISY_E10value_typeET2_T3_PNSZ_IS14_E10value_typeET4_jRbjT5_S1A_jjP12ihipStream_tbEUljE_EEESV_SW_SX_S14_S18_S1A_T6_T7_T9_mT8_S1C_bDpT10_ENKUlT_T0_E_clISt17integral_constantIbLb1EES1P_EEDaS1K_S1L_EUlS1K_E_NS1_11comp_targetILNS1_3genE10ELNS1_11target_archE1200ELNS1_3gpuE4ELNS1_3repE0EEENS1_30default_config_static_selectorELNS0_4arch9wavefront6targetE0EEEvSY_,@function
_ZN7rocprim17ROCPRIM_400000_NS6detail17trampoline_kernelINS0_13select_configILj256ELj13ELNS0_17block_load_methodE3ELS4_3ELS4_3ELNS0_20block_scan_algorithmE0ELj4294967295EEENS1_25partition_config_selectorILNS1_17partition_subalgoE3EjNS0_10empty_typeEbEEZZNS1_14partition_implILS8_3ELb0ES6_jNS0_17counting_iteratorIjlEEPS9_SE_NS0_5tupleIJPjSE_EEENSF_IJSE_SE_EEES9_SG_JZNS1_25segmented_radix_sort_implINS0_14default_configELb1EPKhPhPKlPlN2at6native12_GLOBAL__N_18offset_tEEE10hipError_tPvRmT1_PNSt15iterator_traitsISY_E10value_typeET2_T3_PNSZ_IS14_E10value_typeET4_jRbjT5_S1A_jjP12ihipStream_tbEUljE_EEESV_SW_SX_S14_S18_S1A_T6_T7_T9_mT8_S1C_bDpT10_ENKUlT_T0_E_clISt17integral_constantIbLb1EES1P_EEDaS1K_S1L_EUlS1K_E_NS1_11comp_targetILNS1_3genE10ELNS1_11target_archE1200ELNS1_3gpuE4ELNS1_3repE0EEENS1_30default_config_static_selectorELNS0_4arch9wavefront6targetE0EEEvSY_: ; @_ZN7rocprim17ROCPRIM_400000_NS6detail17trampoline_kernelINS0_13select_configILj256ELj13ELNS0_17block_load_methodE3ELS4_3ELS4_3ELNS0_20block_scan_algorithmE0ELj4294967295EEENS1_25partition_config_selectorILNS1_17partition_subalgoE3EjNS0_10empty_typeEbEEZZNS1_14partition_implILS8_3ELb0ES6_jNS0_17counting_iteratorIjlEEPS9_SE_NS0_5tupleIJPjSE_EEENSF_IJSE_SE_EEES9_SG_JZNS1_25segmented_radix_sort_implINS0_14default_configELb1EPKhPhPKlPlN2at6native12_GLOBAL__N_18offset_tEEE10hipError_tPvRmT1_PNSt15iterator_traitsISY_E10value_typeET2_T3_PNSZ_IS14_E10value_typeET4_jRbjT5_S1A_jjP12ihipStream_tbEUljE_EEESV_SW_SX_S14_S18_S1A_T6_T7_T9_mT8_S1C_bDpT10_ENKUlT_T0_E_clISt17integral_constantIbLb1EES1P_EEDaS1K_S1L_EUlS1K_E_NS1_11comp_targetILNS1_3genE10ELNS1_11target_archE1200ELNS1_3gpuE4ELNS1_3repE0EEENS1_30default_config_static_selectorELNS0_4arch9wavefront6targetE0EEEvSY_
; %bb.0:
	.section	.rodata,"a",@progbits
	.p2align	6, 0x0
	.amdhsa_kernel _ZN7rocprim17ROCPRIM_400000_NS6detail17trampoline_kernelINS0_13select_configILj256ELj13ELNS0_17block_load_methodE3ELS4_3ELS4_3ELNS0_20block_scan_algorithmE0ELj4294967295EEENS1_25partition_config_selectorILNS1_17partition_subalgoE3EjNS0_10empty_typeEbEEZZNS1_14partition_implILS8_3ELb0ES6_jNS0_17counting_iteratorIjlEEPS9_SE_NS0_5tupleIJPjSE_EEENSF_IJSE_SE_EEES9_SG_JZNS1_25segmented_radix_sort_implINS0_14default_configELb1EPKhPhPKlPlN2at6native12_GLOBAL__N_18offset_tEEE10hipError_tPvRmT1_PNSt15iterator_traitsISY_E10value_typeET2_T3_PNSZ_IS14_E10value_typeET4_jRbjT5_S1A_jjP12ihipStream_tbEUljE_EEESV_SW_SX_S14_S18_S1A_T6_T7_T9_mT8_S1C_bDpT10_ENKUlT_T0_E_clISt17integral_constantIbLb1EES1P_EEDaS1K_S1L_EUlS1K_E_NS1_11comp_targetILNS1_3genE10ELNS1_11target_archE1200ELNS1_3gpuE4ELNS1_3repE0EEENS1_30default_config_static_selectorELNS0_4arch9wavefront6targetE0EEEvSY_
		.amdhsa_group_segment_fixed_size 0
		.amdhsa_private_segment_fixed_size 0
		.amdhsa_kernarg_size 152
		.amdhsa_user_sgpr_count 2
		.amdhsa_user_sgpr_dispatch_ptr 0
		.amdhsa_user_sgpr_queue_ptr 0
		.amdhsa_user_sgpr_kernarg_segment_ptr 1
		.amdhsa_user_sgpr_dispatch_id 0
		.amdhsa_user_sgpr_kernarg_preload_length 0
		.amdhsa_user_sgpr_kernarg_preload_offset 0
		.amdhsa_user_sgpr_private_segment_size 0
		.amdhsa_wavefront_size32 1
		.amdhsa_uses_dynamic_stack 0
		.amdhsa_enable_private_segment 0
		.amdhsa_system_sgpr_workgroup_id_x 1
		.amdhsa_system_sgpr_workgroup_id_y 0
		.amdhsa_system_sgpr_workgroup_id_z 0
		.amdhsa_system_sgpr_workgroup_info 0
		.amdhsa_system_vgpr_workitem_id 0
		.amdhsa_next_free_vgpr 1
		.amdhsa_next_free_sgpr 1
		.amdhsa_named_barrier_count 0
		.amdhsa_reserve_vcc 0
		.amdhsa_float_round_mode_32 0
		.amdhsa_float_round_mode_16_64 0
		.amdhsa_float_denorm_mode_32 3
		.amdhsa_float_denorm_mode_16_64 3
		.amdhsa_fp16_overflow 0
		.amdhsa_memory_ordered 1
		.amdhsa_forward_progress 1
		.amdhsa_inst_pref_size 0
		.amdhsa_round_robin_scheduling 0
		.amdhsa_exception_fp_ieee_invalid_op 0
		.amdhsa_exception_fp_denorm_src 0
		.amdhsa_exception_fp_ieee_div_zero 0
		.amdhsa_exception_fp_ieee_overflow 0
		.amdhsa_exception_fp_ieee_underflow 0
		.amdhsa_exception_fp_ieee_inexact 0
		.amdhsa_exception_int_div_zero 0
	.end_amdhsa_kernel
	.section	.text._ZN7rocprim17ROCPRIM_400000_NS6detail17trampoline_kernelINS0_13select_configILj256ELj13ELNS0_17block_load_methodE3ELS4_3ELS4_3ELNS0_20block_scan_algorithmE0ELj4294967295EEENS1_25partition_config_selectorILNS1_17partition_subalgoE3EjNS0_10empty_typeEbEEZZNS1_14partition_implILS8_3ELb0ES6_jNS0_17counting_iteratorIjlEEPS9_SE_NS0_5tupleIJPjSE_EEENSF_IJSE_SE_EEES9_SG_JZNS1_25segmented_radix_sort_implINS0_14default_configELb1EPKhPhPKlPlN2at6native12_GLOBAL__N_18offset_tEEE10hipError_tPvRmT1_PNSt15iterator_traitsISY_E10value_typeET2_T3_PNSZ_IS14_E10value_typeET4_jRbjT5_S1A_jjP12ihipStream_tbEUljE_EEESV_SW_SX_S14_S18_S1A_T6_T7_T9_mT8_S1C_bDpT10_ENKUlT_T0_E_clISt17integral_constantIbLb1EES1P_EEDaS1K_S1L_EUlS1K_E_NS1_11comp_targetILNS1_3genE10ELNS1_11target_archE1200ELNS1_3gpuE4ELNS1_3repE0EEENS1_30default_config_static_selectorELNS0_4arch9wavefront6targetE0EEEvSY_,"axG",@progbits,_ZN7rocprim17ROCPRIM_400000_NS6detail17trampoline_kernelINS0_13select_configILj256ELj13ELNS0_17block_load_methodE3ELS4_3ELS4_3ELNS0_20block_scan_algorithmE0ELj4294967295EEENS1_25partition_config_selectorILNS1_17partition_subalgoE3EjNS0_10empty_typeEbEEZZNS1_14partition_implILS8_3ELb0ES6_jNS0_17counting_iteratorIjlEEPS9_SE_NS0_5tupleIJPjSE_EEENSF_IJSE_SE_EEES9_SG_JZNS1_25segmented_radix_sort_implINS0_14default_configELb1EPKhPhPKlPlN2at6native12_GLOBAL__N_18offset_tEEE10hipError_tPvRmT1_PNSt15iterator_traitsISY_E10value_typeET2_T3_PNSZ_IS14_E10value_typeET4_jRbjT5_S1A_jjP12ihipStream_tbEUljE_EEESV_SW_SX_S14_S18_S1A_T6_T7_T9_mT8_S1C_bDpT10_ENKUlT_T0_E_clISt17integral_constantIbLb1EES1P_EEDaS1K_S1L_EUlS1K_E_NS1_11comp_targetILNS1_3genE10ELNS1_11target_archE1200ELNS1_3gpuE4ELNS1_3repE0EEENS1_30default_config_static_selectorELNS0_4arch9wavefront6targetE0EEEvSY_,comdat
.Lfunc_end62:
	.size	_ZN7rocprim17ROCPRIM_400000_NS6detail17trampoline_kernelINS0_13select_configILj256ELj13ELNS0_17block_load_methodE3ELS4_3ELS4_3ELNS0_20block_scan_algorithmE0ELj4294967295EEENS1_25partition_config_selectorILNS1_17partition_subalgoE3EjNS0_10empty_typeEbEEZZNS1_14partition_implILS8_3ELb0ES6_jNS0_17counting_iteratorIjlEEPS9_SE_NS0_5tupleIJPjSE_EEENSF_IJSE_SE_EEES9_SG_JZNS1_25segmented_radix_sort_implINS0_14default_configELb1EPKhPhPKlPlN2at6native12_GLOBAL__N_18offset_tEEE10hipError_tPvRmT1_PNSt15iterator_traitsISY_E10value_typeET2_T3_PNSZ_IS14_E10value_typeET4_jRbjT5_S1A_jjP12ihipStream_tbEUljE_EEESV_SW_SX_S14_S18_S1A_T6_T7_T9_mT8_S1C_bDpT10_ENKUlT_T0_E_clISt17integral_constantIbLb1EES1P_EEDaS1K_S1L_EUlS1K_E_NS1_11comp_targetILNS1_3genE10ELNS1_11target_archE1200ELNS1_3gpuE4ELNS1_3repE0EEENS1_30default_config_static_selectorELNS0_4arch9wavefront6targetE0EEEvSY_, .Lfunc_end62-_ZN7rocprim17ROCPRIM_400000_NS6detail17trampoline_kernelINS0_13select_configILj256ELj13ELNS0_17block_load_methodE3ELS4_3ELS4_3ELNS0_20block_scan_algorithmE0ELj4294967295EEENS1_25partition_config_selectorILNS1_17partition_subalgoE3EjNS0_10empty_typeEbEEZZNS1_14partition_implILS8_3ELb0ES6_jNS0_17counting_iteratorIjlEEPS9_SE_NS0_5tupleIJPjSE_EEENSF_IJSE_SE_EEES9_SG_JZNS1_25segmented_radix_sort_implINS0_14default_configELb1EPKhPhPKlPlN2at6native12_GLOBAL__N_18offset_tEEE10hipError_tPvRmT1_PNSt15iterator_traitsISY_E10value_typeET2_T3_PNSZ_IS14_E10value_typeET4_jRbjT5_S1A_jjP12ihipStream_tbEUljE_EEESV_SW_SX_S14_S18_S1A_T6_T7_T9_mT8_S1C_bDpT10_ENKUlT_T0_E_clISt17integral_constantIbLb1EES1P_EEDaS1K_S1L_EUlS1K_E_NS1_11comp_targetILNS1_3genE10ELNS1_11target_archE1200ELNS1_3gpuE4ELNS1_3repE0EEENS1_30default_config_static_selectorELNS0_4arch9wavefront6targetE0EEEvSY_
                                        ; -- End function
	.set _ZN7rocprim17ROCPRIM_400000_NS6detail17trampoline_kernelINS0_13select_configILj256ELj13ELNS0_17block_load_methodE3ELS4_3ELS4_3ELNS0_20block_scan_algorithmE0ELj4294967295EEENS1_25partition_config_selectorILNS1_17partition_subalgoE3EjNS0_10empty_typeEbEEZZNS1_14partition_implILS8_3ELb0ES6_jNS0_17counting_iteratorIjlEEPS9_SE_NS0_5tupleIJPjSE_EEENSF_IJSE_SE_EEES9_SG_JZNS1_25segmented_radix_sort_implINS0_14default_configELb1EPKhPhPKlPlN2at6native12_GLOBAL__N_18offset_tEEE10hipError_tPvRmT1_PNSt15iterator_traitsISY_E10value_typeET2_T3_PNSZ_IS14_E10value_typeET4_jRbjT5_S1A_jjP12ihipStream_tbEUljE_EEESV_SW_SX_S14_S18_S1A_T6_T7_T9_mT8_S1C_bDpT10_ENKUlT_T0_E_clISt17integral_constantIbLb1EES1P_EEDaS1K_S1L_EUlS1K_E_NS1_11comp_targetILNS1_3genE10ELNS1_11target_archE1200ELNS1_3gpuE4ELNS1_3repE0EEENS1_30default_config_static_selectorELNS0_4arch9wavefront6targetE0EEEvSY_.num_vgpr, 0
	.set _ZN7rocprim17ROCPRIM_400000_NS6detail17trampoline_kernelINS0_13select_configILj256ELj13ELNS0_17block_load_methodE3ELS4_3ELS4_3ELNS0_20block_scan_algorithmE0ELj4294967295EEENS1_25partition_config_selectorILNS1_17partition_subalgoE3EjNS0_10empty_typeEbEEZZNS1_14partition_implILS8_3ELb0ES6_jNS0_17counting_iteratorIjlEEPS9_SE_NS0_5tupleIJPjSE_EEENSF_IJSE_SE_EEES9_SG_JZNS1_25segmented_radix_sort_implINS0_14default_configELb1EPKhPhPKlPlN2at6native12_GLOBAL__N_18offset_tEEE10hipError_tPvRmT1_PNSt15iterator_traitsISY_E10value_typeET2_T3_PNSZ_IS14_E10value_typeET4_jRbjT5_S1A_jjP12ihipStream_tbEUljE_EEESV_SW_SX_S14_S18_S1A_T6_T7_T9_mT8_S1C_bDpT10_ENKUlT_T0_E_clISt17integral_constantIbLb1EES1P_EEDaS1K_S1L_EUlS1K_E_NS1_11comp_targetILNS1_3genE10ELNS1_11target_archE1200ELNS1_3gpuE4ELNS1_3repE0EEENS1_30default_config_static_selectorELNS0_4arch9wavefront6targetE0EEEvSY_.num_agpr, 0
	.set _ZN7rocprim17ROCPRIM_400000_NS6detail17trampoline_kernelINS0_13select_configILj256ELj13ELNS0_17block_load_methodE3ELS4_3ELS4_3ELNS0_20block_scan_algorithmE0ELj4294967295EEENS1_25partition_config_selectorILNS1_17partition_subalgoE3EjNS0_10empty_typeEbEEZZNS1_14partition_implILS8_3ELb0ES6_jNS0_17counting_iteratorIjlEEPS9_SE_NS0_5tupleIJPjSE_EEENSF_IJSE_SE_EEES9_SG_JZNS1_25segmented_radix_sort_implINS0_14default_configELb1EPKhPhPKlPlN2at6native12_GLOBAL__N_18offset_tEEE10hipError_tPvRmT1_PNSt15iterator_traitsISY_E10value_typeET2_T3_PNSZ_IS14_E10value_typeET4_jRbjT5_S1A_jjP12ihipStream_tbEUljE_EEESV_SW_SX_S14_S18_S1A_T6_T7_T9_mT8_S1C_bDpT10_ENKUlT_T0_E_clISt17integral_constantIbLb1EES1P_EEDaS1K_S1L_EUlS1K_E_NS1_11comp_targetILNS1_3genE10ELNS1_11target_archE1200ELNS1_3gpuE4ELNS1_3repE0EEENS1_30default_config_static_selectorELNS0_4arch9wavefront6targetE0EEEvSY_.numbered_sgpr, 0
	.set _ZN7rocprim17ROCPRIM_400000_NS6detail17trampoline_kernelINS0_13select_configILj256ELj13ELNS0_17block_load_methodE3ELS4_3ELS4_3ELNS0_20block_scan_algorithmE0ELj4294967295EEENS1_25partition_config_selectorILNS1_17partition_subalgoE3EjNS0_10empty_typeEbEEZZNS1_14partition_implILS8_3ELb0ES6_jNS0_17counting_iteratorIjlEEPS9_SE_NS0_5tupleIJPjSE_EEENSF_IJSE_SE_EEES9_SG_JZNS1_25segmented_radix_sort_implINS0_14default_configELb1EPKhPhPKlPlN2at6native12_GLOBAL__N_18offset_tEEE10hipError_tPvRmT1_PNSt15iterator_traitsISY_E10value_typeET2_T3_PNSZ_IS14_E10value_typeET4_jRbjT5_S1A_jjP12ihipStream_tbEUljE_EEESV_SW_SX_S14_S18_S1A_T6_T7_T9_mT8_S1C_bDpT10_ENKUlT_T0_E_clISt17integral_constantIbLb1EES1P_EEDaS1K_S1L_EUlS1K_E_NS1_11comp_targetILNS1_3genE10ELNS1_11target_archE1200ELNS1_3gpuE4ELNS1_3repE0EEENS1_30default_config_static_selectorELNS0_4arch9wavefront6targetE0EEEvSY_.num_named_barrier, 0
	.set _ZN7rocprim17ROCPRIM_400000_NS6detail17trampoline_kernelINS0_13select_configILj256ELj13ELNS0_17block_load_methodE3ELS4_3ELS4_3ELNS0_20block_scan_algorithmE0ELj4294967295EEENS1_25partition_config_selectorILNS1_17partition_subalgoE3EjNS0_10empty_typeEbEEZZNS1_14partition_implILS8_3ELb0ES6_jNS0_17counting_iteratorIjlEEPS9_SE_NS0_5tupleIJPjSE_EEENSF_IJSE_SE_EEES9_SG_JZNS1_25segmented_radix_sort_implINS0_14default_configELb1EPKhPhPKlPlN2at6native12_GLOBAL__N_18offset_tEEE10hipError_tPvRmT1_PNSt15iterator_traitsISY_E10value_typeET2_T3_PNSZ_IS14_E10value_typeET4_jRbjT5_S1A_jjP12ihipStream_tbEUljE_EEESV_SW_SX_S14_S18_S1A_T6_T7_T9_mT8_S1C_bDpT10_ENKUlT_T0_E_clISt17integral_constantIbLb1EES1P_EEDaS1K_S1L_EUlS1K_E_NS1_11comp_targetILNS1_3genE10ELNS1_11target_archE1200ELNS1_3gpuE4ELNS1_3repE0EEENS1_30default_config_static_selectorELNS0_4arch9wavefront6targetE0EEEvSY_.private_seg_size, 0
	.set _ZN7rocprim17ROCPRIM_400000_NS6detail17trampoline_kernelINS0_13select_configILj256ELj13ELNS0_17block_load_methodE3ELS4_3ELS4_3ELNS0_20block_scan_algorithmE0ELj4294967295EEENS1_25partition_config_selectorILNS1_17partition_subalgoE3EjNS0_10empty_typeEbEEZZNS1_14partition_implILS8_3ELb0ES6_jNS0_17counting_iteratorIjlEEPS9_SE_NS0_5tupleIJPjSE_EEENSF_IJSE_SE_EEES9_SG_JZNS1_25segmented_radix_sort_implINS0_14default_configELb1EPKhPhPKlPlN2at6native12_GLOBAL__N_18offset_tEEE10hipError_tPvRmT1_PNSt15iterator_traitsISY_E10value_typeET2_T3_PNSZ_IS14_E10value_typeET4_jRbjT5_S1A_jjP12ihipStream_tbEUljE_EEESV_SW_SX_S14_S18_S1A_T6_T7_T9_mT8_S1C_bDpT10_ENKUlT_T0_E_clISt17integral_constantIbLb1EES1P_EEDaS1K_S1L_EUlS1K_E_NS1_11comp_targetILNS1_3genE10ELNS1_11target_archE1200ELNS1_3gpuE4ELNS1_3repE0EEENS1_30default_config_static_selectorELNS0_4arch9wavefront6targetE0EEEvSY_.uses_vcc, 0
	.set _ZN7rocprim17ROCPRIM_400000_NS6detail17trampoline_kernelINS0_13select_configILj256ELj13ELNS0_17block_load_methodE3ELS4_3ELS4_3ELNS0_20block_scan_algorithmE0ELj4294967295EEENS1_25partition_config_selectorILNS1_17partition_subalgoE3EjNS0_10empty_typeEbEEZZNS1_14partition_implILS8_3ELb0ES6_jNS0_17counting_iteratorIjlEEPS9_SE_NS0_5tupleIJPjSE_EEENSF_IJSE_SE_EEES9_SG_JZNS1_25segmented_radix_sort_implINS0_14default_configELb1EPKhPhPKlPlN2at6native12_GLOBAL__N_18offset_tEEE10hipError_tPvRmT1_PNSt15iterator_traitsISY_E10value_typeET2_T3_PNSZ_IS14_E10value_typeET4_jRbjT5_S1A_jjP12ihipStream_tbEUljE_EEESV_SW_SX_S14_S18_S1A_T6_T7_T9_mT8_S1C_bDpT10_ENKUlT_T0_E_clISt17integral_constantIbLb1EES1P_EEDaS1K_S1L_EUlS1K_E_NS1_11comp_targetILNS1_3genE10ELNS1_11target_archE1200ELNS1_3gpuE4ELNS1_3repE0EEENS1_30default_config_static_selectorELNS0_4arch9wavefront6targetE0EEEvSY_.uses_flat_scratch, 0
	.set _ZN7rocprim17ROCPRIM_400000_NS6detail17trampoline_kernelINS0_13select_configILj256ELj13ELNS0_17block_load_methodE3ELS4_3ELS4_3ELNS0_20block_scan_algorithmE0ELj4294967295EEENS1_25partition_config_selectorILNS1_17partition_subalgoE3EjNS0_10empty_typeEbEEZZNS1_14partition_implILS8_3ELb0ES6_jNS0_17counting_iteratorIjlEEPS9_SE_NS0_5tupleIJPjSE_EEENSF_IJSE_SE_EEES9_SG_JZNS1_25segmented_radix_sort_implINS0_14default_configELb1EPKhPhPKlPlN2at6native12_GLOBAL__N_18offset_tEEE10hipError_tPvRmT1_PNSt15iterator_traitsISY_E10value_typeET2_T3_PNSZ_IS14_E10value_typeET4_jRbjT5_S1A_jjP12ihipStream_tbEUljE_EEESV_SW_SX_S14_S18_S1A_T6_T7_T9_mT8_S1C_bDpT10_ENKUlT_T0_E_clISt17integral_constantIbLb1EES1P_EEDaS1K_S1L_EUlS1K_E_NS1_11comp_targetILNS1_3genE10ELNS1_11target_archE1200ELNS1_3gpuE4ELNS1_3repE0EEENS1_30default_config_static_selectorELNS0_4arch9wavefront6targetE0EEEvSY_.has_dyn_sized_stack, 0
	.set _ZN7rocprim17ROCPRIM_400000_NS6detail17trampoline_kernelINS0_13select_configILj256ELj13ELNS0_17block_load_methodE3ELS4_3ELS4_3ELNS0_20block_scan_algorithmE0ELj4294967295EEENS1_25partition_config_selectorILNS1_17partition_subalgoE3EjNS0_10empty_typeEbEEZZNS1_14partition_implILS8_3ELb0ES6_jNS0_17counting_iteratorIjlEEPS9_SE_NS0_5tupleIJPjSE_EEENSF_IJSE_SE_EEES9_SG_JZNS1_25segmented_radix_sort_implINS0_14default_configELb1EPKhPhPKlPlN2at6native12_GLOBAL__N_18offset_tEEE10hipError_tPvRmT1_PNSt15iterator_traitsISY_E10value_typeET2_T3_PNSZ_IS14_E10value_typeET4_jRbjT5_S1A_jjP12ihipStream_tbEUljE_EEESV_SW_SX_S14_S18_S1A_T6_T7_T9_mT8_S1C_bDpT10_ENKUlT_T0_E_clISt17integral_constantIbLb1EES1P_EEDaS1K_S1L_EUlS1K_E_NS1_11comp_targetILNS1_3genE10ELNS1_11target_archE1200ELNS1_3gpuE4ELNS1_3repE0EEENS1_30default_config_static_selectorELNS0_4arch9wavefront6targetE0EEEvSY_.has_recursion, 0
	.set _ZN7rocprim17ROCPRIM_400000_NS6detail17trampoline_kernelINS0_13select_configILj256ELj13ELNS0_17block_load_methodE3ELS4_3ELS4_3ELNS0_20block_scan_algorithmE0ELj4294967295EEENS1_25partition_config_selectorILNS1_17partition_subalgoE3EjNS0_10empty_typeEbEEZZNS1_14partition_implILS8_3ELb0ES6_jNS0_17counting_iteratorIjlEEPS9_SE_NS0_5tupleIJPjSE_EEENSF_IJSE_SE_EEES9_SG_JZNS1_25segmented_radix_sort_implINS0_14default_configELb1EPKhPhPKlPlN2at6native12_GLOBAL__N_18offset_tEEE10hipError_tPvRmT1_PNSt15iterator_traitsISY_E10value_typeET2_T3_PNSZ_IS14_E10value_typeET4_jRbjT5_S1A_jjP12ihipStream_tbEUljE_EEESV_SW_SX_S14_S18_S1A_T6_T7_T9_mT8_S1C_bDpT10_ENKUlT_T0_E_clISt17integral_constantIbLb1EES1P_EEDaS1K_S1L_EUlS1K_E_NS1_11comp_targetILNS1_3genE10ELNS1_11target_archE1200ELNS1_3gpuE4ELNS1_3repE0EEENS1_30default_config_static_selectorELNS0_4arch9wavefront6targetE0EEEvSY_.has_indirect_call, 0
	.section	.AMDGPU.csdata,"",@progbits
; Kernel info:
; codeLenInByte = 0
; TotalNumSgprs: 0
; NumVgprs: 0
; ScratchSize: 0
; MemoryBound: 0
; FloatMode: 240
; IeeeMode: 1
; LDSByteSize: 0 bytes/workgroup (compile time only)
; SGPRBlocks: 0
; VGPRBlocks: 0
; NumSGPRsForWavesPerEU: 1
; NumVGPRsForWavesPerEU: 1
; NamedBarCnt: 0
; Occupancy: 16
; WaveLimiterHint : 0
; COMPUTE_PGM_RSRC2:SCRATCH_EN: 0
; COMPUTE_PGM_RSRC2:USER_SGPR: 2
; COMPUTE_PGM_RSRC2:TRAP_HANDLER: 0
; COMPUTE_PGM_RSRC2:TGID_X_EN: 1
; COMPUTE_PGM_RSRC2:TGID_Y_EN: 0
; COMPUTE_PGM_RSRC2:TGID_Z_EN: 0
; COMPUTE_PGM_RSRC2:TIDIG_COMP_CNT: 0
	.section	.text._ZN7rocprim17ROCPRIM_400000_NS6detail17trampoline_kernelINS0_13select_configILj256ELj13ELNS0_17block_load_methodE3ELS4_3ELS4_3ELNS0_20block_scan_algorithmE0ELj4294967295EEENS1_25partition_config_selectorILNS1_17partition_subalgoE3EjNS0_10empty_typeEbEEZZNS1_14partition_implILS8_3ELb0ES6_jNS0_17counting_iteratorIjlEEPS9_SE_NS0_5tupleIJPjSE_EEENSF_IJSE_SE_EEES9_SG_JZNS1_25segmented_radix_sort_implINS0_14default_configELb1EPKhPhPKlPlN2at6native12_GLOBAL__N_18offset_tEEE10hipError_tPvRmT1_PNSt15iterator_traitsISY_E10value_typeET2_T3_PNSZ_IS14_E10value_typeET4_jRbjT5_S1A_jjP12ihipStream_tbEUljE_EEESV_SW_SX_S14_S18_S1A_T6_T7_T9_mT8_S1C_bDpT10_ENKUlT_T0_E_clISt17integral_constantIbLb1EES1P_EEDaS1K_S1L_EUlS1K_E_NS1_11comp_targetILNS1_3genE9ELNS1_11target_archE1100ELNS1_3gpuE3ELNS1_3repE0EEENS1_30default_config_static_selectorELNS0_4arch9wavefront6targetE0EEEvSY_,"axG",@progbits,_ZN7rocprim17ROCPRIM_400000_NS6detail17trampoline_kernelINS0_13select_configILj256ELj13ELNS0_17block_load_methodE3ELS4_3ELS4_3ELNS0_20block_scan_algorithmE0ELj4294967295EEENS1_25partition_config_selectorILNS1_17partition_subalgoE3EjNS0_10empty_typeEbEEZZNS1_14partition_implILS8_3ELb0ES6_jNS0_17counting_iteratorIjlEEPS9_SE_NS0_5tupleIJPjSE_EEENSF_IJSE_SE_EEES9_SG_JZNS1_25segmented_radix_sort_implINS0_14default_configELb1EPKhPhPKlPlN2at6native12_GLOBAL__N_18offset_tEEE10hipError_tPvRmT1_PNSt15iterator_traitsISY_E10value_typeET2_T3_PNSZ_IS14_E10value_typeET4_jRbjT5_S1A_jjP12ihipStream_tbEUljE_EEESV_SW_SX_S14_S18_S1A_T6_T7_T9_mT8_S1C_bDpT10_ENKUlT_T0_E_clISt17integral_constantIbLb1EES1P_EEDaS1K_S1L_EUlS1K_E_NS1_11comp_targetILNS1_3genE9ELNS1_11target_archE1100ELNS1_3gpuE3ELNS1_3repE0EEENS1_30default_config_static_selectorELNS0_4arch9wavefront6targetE0EEEvSY_,comdat
	.globl	_ZN7rocprim17ROCPRIM_400000_NS6detail17trampoline_kernelINS0_13select_configILj256ELj13ELNS0_17block_load_methodE3ELS4_3ELS4_3ELNS0_20block_scan_algorithmE0ELj4294967295EEENS1_25partition_config_selectorILNS1_17partition_subalgoE3EjNS0_10empty_typeEbEEZZNS1_14partition_implILS8_3ELb0ES6_jNS0_17counting_iteratorIjlEEPS9_SE_NS0_5tupleIJPjSE_EEENSF_IJSE_SE_EEES9_SG_JZNS1_25segmented_radix_sort_implINS0_14default_configELb1EPKhPhPKlPlN2at6native12_GLOBAL__N_18offset_tEEE10hipError_tPvRmT1_PNSt15iterator_traitsISY_E10value_typeET2_T3_PNSZ_IS14_E10value_typeET4_jRbjT5_S1A_jjP12ihipStream_tbEUljE_EEESV_SW_SX_S14_S18_S1A_T6_T7_T9_mT8_S1C_bDpT10_ENKUlT_T0_E_clISt17integral_constantIbLb1EES1P_EEDaS1K_S1L_EUlS1K_E_NS1_11comp_targetILNS1_3genE9ELNS1_11target_archE1100ELNS1_3gpuE3ELNS1_3repE0EEENS1_30default_config_static_selectorELNS0_4arch9wavefront6targetE0EEEvSY_ ; -- Begin function _ZN7rocprim17ROCPRIM_400000_NS6detail17trampoline_kernelINS0_13select_configILj256ELj13ELNS0_17block_load_methodE3ELS4_3ELS4_3ELNS0_20block_scan_algorithmE0ELj4294967295EEENS1_25partition_config_selectorILNS1_17partition_subalgoE3EjNS0_10empty_typeEbEEZZNS1_14partition_implILS8_3ELb0ES6_jNS0_17counting_iteratorIjlEEPS9_SE_NS0_5tupleIJPjSE_EEENSF_IJSE_SE_EEES9_SG_JZNS1_25segmented_radix_sort_implINS0_14default_configELb1EPKhPhPKlPlN2at6native12_GLOBAL__N_18offset_tEEE10hipError_tPvRmT1_PNSt15iterator_traitsISY_E10value_typeET2_T3_PNSZ_IS14_E10value_typeET4_jRbjT5_S1A_jjP12ihipStream_tbEUljE_EEESV_SW_SX_S14_S18_S1A_T6_T7_T9_mT8_S1C_bDpT10_ENKUlT_T0_E_clISt17integral_constantIbLb1EES1P_EEDaS1K_S1L_EUlS1K_E_NS1_11comp_targetILNS1_3genE9ELNS1_11target_archE1100ELNS1_3gpuE3ELNS1_3repE0EEENS1_30default_config_static_selectorELNS0_4arch9wavefront6targetE0EEEvSY_
	.p2align	8
	.type	_ZN7rocprim17ROCPRIM_400000_NS6detail17trampoline_kernelINS0_13select_configILj256ELj13ELNS0_17block_load_methodE3ELS4_3ELS4_3ELNS0_20block_scan_algorithmE0ELj4294967295EEENS1_25partition_config_selectorILNS1_17partition_subalgoE3EjNS0_10empty_typeEbEEZZNS1_14partition_implILS8_3ELb0ES6_jNS0_17counting_iteratorIjlEEPS9_SE_NS0_5tupleIJPjSE_EEENSF_IJSE_SE_EEES9_SG_JZNS1_25segmented_radix_sort_implINS0_14default_configELb1EPKhPhPKlPlN2at6native12_GLOBAL__N_18offset_tEEE10hipError_tPvRmT1_PNSt15iterator_traitsISY_E10value_typeET2_T3_PNSZ_IS14_E10value_typeET4_jRbjT5_S1A_jjP12ihipStream_tbEUljE_EEESV_SW_SX_S14_S18_S1A_T6_T7_T9_mT8_S1C_bDpT10_ENKUlT_T0_E_clISt17integral_constantIbLb1EES1P_EEDaS1K_S1L_EUlS1K_E_NS1_11comp_targetILNS1_3genE9ELNS1_11target_archE1100ELNS1_3gpuE3ELNS1_3repE0EEENS1_30default_config_static_selectorELNS0_4arch9wavefront6targetE0EEEvSY_,@function
_ZN7rocprim17ROCPRIM_400000_NS6detail17trampoline_kernelINS0_13select_configILj256ELj13ELNS0_17block_load_methodE3ELS4_3ELS4_3ELNS0_20block_scan_algorithmE0ELj4294967295EEENS1_25partition_config_selectorILNS1_17partition_subalgoE3EjNS0_10empty_typeEbEEZZNS1_14partition_implILS8_3ELb0ES6_jNS0_17counting_iteratorIjlEEPS9_SE_NS0_5tupleIJPjSE_EEENSF_IJSE_SE_EEES9_SG_JZNS1_25segmented_radix_sort_implINS0_14default_configELb1EPKhPhPKlPlN2at6native12_GLOBAL__N_18offset_tEEE10hipError_tPvRmT1_PNSt15iterator_traitsISY_E10value_typeET2_T3_PNSZ_IS14_E10value_typeET4_jRbjT5_S1A_jjP12ihipStream_tbEUljE_EEESV_SW_SX_S14_S18_S1A_T6_T7_T9_mT8_S1C_bDpT10_ENKUlT_T0_E_clISt17integral_constantIbLb1EES1P_EEDaS1K_S1L_EUlS1K_E_NS1_11comp_targetILNS1_3genE9ELNS1_11target_archE1100ELNS1_3gpuE3ELNS1_3repE0EEENS1_30default_config_static_selectorELNS0_4arch9wavefront6targetE0EEEvSY_: ; @_ZN7rocprim17ROCPRIM_400000_NS6detail17trampoline_kernelINS0_13select_configILj256ELj13ELNS0_17block_load_methodE3ELS4_3ELS4_3ELNS0_20block_scan_algorithmE0ELj4294967295EEENS1_25partition_config_selectorILNS1_17partition_subalgoE3EjNS0_10empty_typeEbEEZZNS1_14partition_implILS8_3ELb0ES6_jNS0_17counting_iteratorIjlEEPS9_SE_NS0_5tupleIJPjSE_EEENSF_IJSE_SE_EEES9_SG_JZNS1_25segmented_radix_sort_implINS0_14default_configELb1EPKhPhPKlPlN2at6native12_GLOBAL__N_18offset_tEEE10hipError_tPvRmT1_PNSt15iterator_traitsISY_E10value_typeET2_T3_PNSZ_IS14_E10value_typeET4_jRbjT5_S1A_jjP12ihipStream_tbEUljE_EEESV_SW_SX_S14_S18_S1A_T6_T7_T9_mT8_S1C_bDpT10_ENKUlT_T0_E_clISt17integral_constantIbLb1EES1P_EEDaS1K_S1L_EUlS1K_E_NS1_11comp_targetILNS1_3genE9ELNS1_11target_archE1100ELNS1_3gpuE3ELNS1_3repE0EEENS1_30default_config_static_selectorELNS0_4arch9wavefront6targetE0EEEvSY_
; %bb.0:
	.section	.rodata,"a",@progbits
	.p2align	6, 0x0
	.amdhsa_kernel _ZN7rocprim17ROCPRIM_400000_NS6detail17trampoline_kernelINS0_13select_configILj256ELj13ELNS0_17block_load_methodE3ELS4_3ELS4_3ELNS0_20block_scan_algorithmE0ELj4294967295EEENS1_25partition_config_selectorILNS1_17partition_subalgoE3EjNS0_10empty_typeEbEEZZNS1_14partition_implILS8_3ELb0ES6_jNS0_17counting_iteratorIjlEEPS9_SE_NS0_5tupleIJPjSE_EEENSF_IJSE_SE_EEES9_SG_JZNS1_25segmented_radix_sort_implINS0_14default_configELb1EPKhPhPKlPlN2at6native12_GLOBAL__N_18offset_tEEE10hipError_tPvRmT1_PNSt15iterator_traitsISY_E10value_typeET2_T3_PNSZ_IS14_E10value_typeET4_jRbjT5_S1A_jjP12ihipStream_tbEUljE_EEESV_SW_SX_S14_S18_S1A_T6_T7_T9_mT8_S1C_bDpT10_ENKUlT_T0_E_clISt17integral_constantIbLb1EES1P_EEDaS1K_S1L_EUlS1K_E_NS1_11comp_targetILNS1_3genE9ELNS1_11target_archE1100ELNS1_3gpuE3ELNS1_3repE0EEENS1_30default_config_static_selectorELNS0_4arch9wavefront6targetE0EEEvSY_
		.amdhsa_group_segment_fixed_size 0
		.amdhsa_private_segment_fixed_size 0
		.amdhsa_kernarg_size 152
		.amdhsa_user_sgpr_count 2
		.amdhsa_user_sgpr_dispatch_ptr 0
		.amdhsa_user_sgpr_queue_ptr 0
		.amdhsa_user_sgpr_kernarg_segment_ptr 1
		.amdhsa_user_sgpr_dispatch_id 0
		.amdhsa_user_sgpr_kernarg_preload_length 0
		.amdhsa_user_sgpr_kernarg_preload_offset 0
		.amdhsa_user_sgpr_private_segment_size 0
		.amdhsa_wavefront_size32 1
		.amdhsa_uses_dynamic_stack 0
		.amdhsa_enable_private_segment 0
		.amdhsa_system_sgpr_workgroup_id_x 1
		.amdhsa_system_sgpr_workgroup_id_y 0
		.amdhsa_system_sgpr_workgroup_id_z 0
		.amdhsa_system_sgpr_workgroup_info 0
		.amdhsa_system_vgpr_workitem_id 0
		.amdhsa_next_free_vgpr 1
		.amdhsa_next_free_sgpr 1
		.amdhsa_named_barrier_count 0
		.amdhsa_reserve_vcc 0
		.amdhsa_float_round_mode_32 0
		.amdhsa_float_round_mode_16_64 0
		.amdhsa_float_denorm_mode_32 3
		.amdhsa_float_denorm_mode_16_64 3
		.amdhsa_fp16_overflow 0
		.amdhsa_memory_ordered 1
		.amdhsa_forward_progress 1
		.amdhsa_inst_pref_size 0
		.amdhsa_round_robin_scheduling 0
		.amdhsa_exception_fp_ieee_invalid_op 0
		.amdhsa_exception_fp_denorm_src 0
		.amdhsa_exception_fp_ieee_div_zero 0
		.amdhsa_exception_fp_ieee_overflow 0
		.amdhsa_exception_fp_ieee_underflow 0
		.amdhsa_exception_fp_ieee_inexact 0
		.amdhsa_exception_int_div_zero 0
	.end_amdhsa_kernel
	.section	.text._ZN7rocprim17ROCPRIM_400000_NS6detail17trampoline_kernelINS0_13select_configILj256ELj13ELNS0_17block_load_methodE3ELS4_3ELS4_3ELNS0_20block_scan_algorithmE0ELj4294967295EEENS1_25partition_config_selectorILNS1_17partition_subalgoE3EjNS0_10empty_typeEbEEZZNS1_14partition_implILS8_3ELb0ES6_jNS0_17counting_iteratorIjlEEPS9_SE_NS0_5tupleIJPjSE_EEENSF_IJSE_SE_EEES9_SG_JZNS1_25segmented_radix_sort_implINS0_14default_configELb1EPKhPhPKlPlN2at6native12_GLOBAL__N_18offset_tEEE10hipError_tPvRmT1_PNSt15iterator_traitsISY_E10value_typeET2_T3_PNSZ_IS14_E10value_typeET4_jRbjT5_S1A_jjP12ihipStream_tbEUljE_EEESV_SW_SX_S14_S18_S1A_T6_T7_T9_mT8_S1C_bDpT10_ENKUlT_T0_E_clISt17integral_constantIbLb1EES1P_EEDaS1K_S1L_EUlS1K_E_NS1_11comp_targetILNS1_3genE9ELNS1_11target_archE1100ELNS1_3gpuE3ELNS1_3repE0EEENS1_30default_config_static_selectorELNS0_4arch9wavefront6targetE0EEEvSY_,"axG",@progbits,_ZN7rocprim17ROCPRIM_400000_NS6detail17trampoline_kernelINS0_13select_configILj256ELj13ELNS0_17block_load_methodE3ELS4_3ELS4_3ELNS0_20block_scan_algorithmE0ELj4294967295EEENS1_25partition_config_selectorILNS1_17partition_subalgoE3EjNS0_10empty_typeEbEEZZNS1_14partition_implILS8_3ELb0ES6_jNS0_17counting_iteratorIjlEEPS9_SE_NS0_5tupleIJPjSE_EEENSF_IJSE_SE_EEES9_SG_JZNS1_25segmented_radix_sort_implINS0_14default_configELb1EPKhPhPKlPlN2at6native12_GLOBAL__N_18offset_tEEE10hipError_tPvRmT1_PNSt15iterator_traitsISY_E10value_typeET2_T3_PNSZ_IS14_E10value_typeET4_jRbjT5_S1A_jjP12ihipStream_tbEUljE_EEESV_SW_SX_S14_S18_S1A_T6_T7_T9_mT8_S1C_bDpT10_ENKUlT_T0_E_clISt17integral_constantIbLb1EES1P_EEDaS1K_S1L_EUlS1K_E_NS1_11comp_targetILNS1_3genE9ELNS1_11target_archE1100ELNS1_3gpuE3ELNS1_3repE0EEENS1_30default_config_static_selectorELNS0_4arch9wavefront6targetE0EEEvSY_,comdat
.Lfunc_end63:
	.size	_ZN7rocprim17ROCPRIM_400000_NS6detail17trampoline_kernelINS0_13select_configILj256ELj13ELNS0_17block_load_methodE3ELS4_3ELS4_3ELNS0_20block_scan_algorithmE0ELj4294967295EEENS1_25partition_config_selectorILNS1_17partition_subalgoE3EjNS0_10empty_typeEbEEZZNS1_14partition_implILS8_3ELb0ES6_jNS0_17counting_iteratorIjlEEPS9_SE_NS0_5tupleIJPjSE_EEENSF_IJSE_SE_EEES9_SG_JZNS1_25segmented_radix_sort_implINS0_14default_configELb1EPKhPhPKlPlN2at6native12_GLOBAL__N_18offset_tEEE10hipError_tPvRmT1_PNSt15iterator_traitsISY_E10value_typeET2_T3_PNSZ_IS14_E10value_typeET4_jRbjT5_S1A_jjP12ihipStream_tbEUljE_EEESV_SW_SX_S14_S18_S1A_T6_T7_T9_mT8_S1C_bDpT10_ENKUlT_T0_E_clISt17integral_constantIbLb1EES1P_EEDaS1K_S1L_EUlS1K_E_NS1_11comp_targetILNS1_3genE9ELNS1_11target_archE1100ELNS1_3gpuE3ELNS1_3repE0EEENS1_30default_config_static_selectorELNS0_4arch9wavefront6targetE0EEEvSY_, .Lfunc_end63-_ZN7rocprim17ROCPRIM_400000_NS6detail17trampoline_kernelINS0_13select_configILj256ELj13ELNS0_17block_load_methodE3ELS4_3ELS4_3ELNS0_20block_scan_algorithmE0ELj4294967295EEENS1_25partition_config_selectorILNS1_17partition_subalgoE3EjNS0_10empty_typeEbEEZZNS1_14partition_implILS8_3ELb0ES6_jNS0_17counting_iteratorIjlEEPS9_SE_NS0_5tupleIJPjSE_EEENSF_IJSE_SE_EEES9_SG_JZNS1_25segmented_radix_sort_implINS0_14default_configELb1EPKhPhPKlPlN2at6native12_GLOBAL__N_18offset_tEEE10hipError_tPvRmT1_PNSt15iterator_traitsISY_E10value_typeET2_T3_PNSZ_IS14_E10value_typeET4_jRbjT5_S1A_jjP12ihipStream_tbEUljE_EEESV_SW_SX_S14_S18_S1A_T6_T7_T9_mT8_S1C_bDpT10_ENKUlT_T0_E_clISt17integral_constantIbLb1EES1P_EEDaS1K_S1L_EUlS1K_E_NS1_11comp_targetILNS1_3genE9ELNS1_11target_archE1100ELNS1_3gpuE3ELNS1_3repE0EEENS1_30default_config_static_selectorELNS0_4arch9wavefront6targetE0EEEvSY_
                                        ; -- End function
	.set _ZN7rocprim17ROCPRIM_400000_NS6detail17trampoline_kernelINS0_13select_configILj256ELj13ELNS0_17block_load_methodE3ELS4_3ELS4_3ELNS0_20block_scan_algorithmE0ELj4294967295EEENS1_25partition_config_selectorILNS1_17partition_subalgoE3EjNS0_10empty_typeEbEEZZNS1_14partition_implILS8_3ELb0ES6_jNS0_17counting_iteratorIjlEEPS9_SE_NS0_5tupleIJPjSE_EEENSF_IJSE_SE_EEES9_SG_JZNS1_25segmented_radix_sort_implINS0_14default_configELb1EPKhPhPKlPlN2at6native12_GLOBAL__N_18offset_tEEE10hipError_tPvRmT1_PNSt15iterator_traitsISY_E10value_typeET2_T3_PNSZ_IS14_E10value_typeET4_jRbjT5_S1A_jjP12ihipStream_tbEUljE_EEESV_SW_SX_S14_S18_S1A_T6_T7_T9_mT8_S1C_bDpT10_ENKUlT_T0_E_clISt17integral_constantIbLb1EES1P_EEDaS1K_S1L_EUlS1K_E_NS1_11comp_targetILNS1_3genE9ELNS1_11target_archE1100ELNS1_3gpuE3ELNS1_3repE0EEENS1_30default_config_static_selectorELNS0_4arch9wavefront6targetE0EEEvSY_.num_vgpr, 0
	.set _ZN7rocprim17ROCPRIM_400000_NS6detail17trampoline_kernelINS0_13select_configILj256ELj13ELNS0_17block_load_methodE3ELS4_3ELS4_3ELNS0_20block_scan_algorithmE0ELj4294967295EEENS1_25partition_config_selectorILNS1_17partition_subalgoE3EjNS0_10empty_typeEbEEZZNS1_14partition_implILS8_3ELb0ES6_jNS0_17counting_iteratorIjlEEPS9_SE_NS0_5tupleIJPjSE_EEENSF_IJSE_SE_EEES9_SG_JZNS1_25segmented_radix_sort_implINS0_14default_configELb1EPKhPhPKlPlN2at6native12_GLOBAL__N_18offset_tEEE10hipError_tPvRmT1_PNSt15iterator_traitsISY_E10value_typeET2_T3_PNSZ_IS14_E10value_typeET4_jRbjT5_S1A_jjP12ihipStream_tbEUljE_EEESV_SW_SX_S14_S18_S1A_T6_T7_T9_mT8_S1C_bDpT10_ENKUlT_T0_E_clISt17integral_constantIbLb1EES1P_EEDaS1K_S1L_EUlS1K_E_NS1_11comp_targetILNS1_3genE9ELNS1_11target_archE1100ELNS1_3gpuE3ELNS1_3repE0EEENS1_30default_config_static_selectorELNS0_4arch9wavefront6targetE0EEEvSY_.num_agpr, 0
	.set _ZN7rocprim17ROCPRIM_400000_NS6detail17trampoline_kernelINS0_13select_configILj256ELj13ELNS0_17block_load_methodE3ELS4_3ELS4_3ELNS0_20block_scan_algorithmE0ELj4294967295EEENS1_25partition_config_selectorILNS1_17partition_subalgoE3EjNS0_10empty_typeEbEEZZNS1_14partition_implILS8_3ELb0ES6_jNS0_17counting_iteratorIjlEEPS9_SE_NS0_5tupleIJPjSE_EEENSF_IJSE_SE_EEES9_SG_JZNS1_25segmented_radix_sort_implINS0_14default_configELb1EPKhPhPKlPlN2at6native12_GLOBAL__N_18offset_tEEE10hipError_tPvRmT1_PNSt15iterator_traitsISY_E10value_typeET2_T3_PNSZ_IS14_E10value_typeET4_jRbjT5_S1A_jjP12ihipStream_tbEUljE_EEESV_SW_SX_S14_S18_S1A_T6_T7_T9_mT8_S1C_bDpT10_ENKUlT_T0_E_clISt17integral_constantIbLb1EES1P_EEDaS1K_S1L_EUlS1K_E_NS1_11comp_targetILNS1_3genE9ELNS1_11target_archE1100ELNS1_3gpuE3ELNS1_3repE0EEENS1_30default_config_static_selectorELNS0_4arch9wavefront6targetE0EEEvSY_.numbered_sgpr, 0
	.set _ZN7rocprim17ROCPRIM_400000_NS6detail17trampoline_kernelINS0_13select_configILj256ELj13ELNS0_17block_load_methodE3ELS4_3ELS4_3ELNS0_20block_scan_algorithmE0ELj4294967295EEENS1_25partition_config_selectorILNS1_17partition_subalgoE3EjNS0_10empty_typeEbEEZZNS1_14partition_implILS8_3ELb0ES6_jNS0_17counting_iteratorIjlEEPS9_SE_NS0_5tupleIJPjSE_EEENSF_IJSE_SE_EEES9_SG_JZNS1_25segmented_radix_sort_implINS0_14default_configELb1EPKhPhPKlPlN2at6native12_GLOBAL__N_18offset_tEEE10hipError_tPvRmT1_PNSt15iterator_traitsISY_E10value_typeET2_T3_PNSZ_IS14_E10value_typeET4_jRbjT5_S1A_jjP12ihipStream_tbEUljE_EEESV_SW_SX_S14_S18_S1A_T6_T7_T9_mT8_S1C_bDpT10_ENKUlT_T0_E_clISt17integral_constantIbLb1EES1P_EEDaS1K_S1L_EUlS1K_E_NS1_11comp_targetILNS1_3genE9ELNS1_11target_archE1100ELNS1_3gpuE3ELNS1_3repE0EEENS1_30default_config_static_selectorELNS0_4arch9wavefront6targetE0EEEvSY_.num_named_barrier, 0
	.set _ZN7rocprim17ROCPRIM_400000_NS6detail17trampoline_kernelINS0_13select_configILj256ELj13ELNS0_17block_load_methodE3ELS4_3ELS4_3ELNS0_20block_scan_algorithmE0ELj4294967295EEENS1_25partition_config_selectorILNS1_17partition_subalgoE3EjNS0_10empty_typeEbEEZZNS1_14partition_implILS8_3ELb0ES6_jNS0_17counting_iteratorIjlEEPS9_SE_NS0_5tupleIJPjSE_EEENSF_IJSE_SE_EEES9_SG_JZNS1_25segmented_radix_sort_implINS0_14default_configELb1EPKhPhPKlPlN2at6native12_GLOBAL__N_18offset_tEEE10hipError_tPvRmT1_PNSt15iterator_traitsISY_E10value_typeET2_T3_PNSZ_IS14_E10value_typeET4_jRbjT5_S1A_jjP12ihipStream_tbEUljE_EEESV_SW_SX_S14_S18_S1A_T6_T7_T9_mT8_S1C_bDpT10_ENKUlT_T0_E_clISt17integral_constantIbLb1EES1P_EEDaS1K_S1L_EUlS1K_E_NS1_11comp_targetILNS1_3genE9ELNS1_11target_archE1100ELNS1_3gpuE3ELNS1_3repE0EEENS1_30default_config_static_selectorELNS0_4arch9wavefront6targetE0EEEvSY_.private_seg_size, 0
	.set _ZN7rocprim17ROCPRIM_400000_NS6detail17trampoline_kernelINS0_13select_configILj256ELj13ELNS0_17block_load_methodE3ELS4_3ELS4_3ELNS0_20block_scan_algorithmE0ELj4294967295EEENS1_25partition_config_selectorILNS1_17partition_subalgoE3EjNS0_10empty_typeEbEEZZNS1_14partition_implILS8_3ELb0ES6_jNS0_17counting_iteratorIjlEEPS9_SE_NS0_5tupleIJPjSE_EEENSF_IJSE_SE_EEES9_SG_JZNS1_25segmented_radix_sort_implINS0_14default_configELb1EPKhPhPKlPlN2at6native12_GLOBAL__N_18offset_tEEE10hipError_tPvRmT1_PNSt15iterator_traitsISY_E10value_typeET2_T3_PNSZ_IS14_E10value_typeET4_jRbjT5_S1A_jjP12ihipStream_tbEUljE_EEESV_SW_SX_S14_S18_S1A_T6_T7_T9_mT8_S1C_bDpT10_ENKUlT_T0_E_clISt17integral_constantIbLb1EES1P_EEDaS1K_S1L_EUlS1K_E_NS1_11comp_targetILNS1_3genE9ELNS1_11target_archE1100ELNS1_3gpuE3ELNS1_3repE0EEENS1_30default_config_static_selectorELNS0_4arch9wavefront6targetE0EEEvSY_.uses_vcc, 0
	.set _ZN7rocprim17ROCPRIM_400000_NS6detail17trampoline_kernelINS0_13select_configILj256ELj13ELNS0_17block_load_methodE3ELS4_3ELS4_3ELNS0_20block_scan_algorithmE0ELj4294967295EEENS1_25partition_config_selectorILNS1_17partition_subalgoE3EjNS0_10empty_typeEbEEZZNS1_14partition_implILS8_3ELb0ES6_jNS0_17counting_iteratorIjlEEPS9_SE_NS0_5tupleIJPjSE_EEENSF_IJSE_SE_EEES9_SG_JZNS1_25segmented_radix_sort_implINS0_14default_configELb1EPKhPhPKlPlN2at6native12_GLOBAL__N_18offset_tEEE10hipError_tPvRmT1_PNSt15iterator_traitsISY_E10value_typeET2_T3_PNSZ_IS14_E10value_typeET4_jRbjT5_S1A_jjP12ihipStream_tbEUljE_EEESV_SW_SX_S14_S18_S1A_T6_T7_T9_mT8_S1C_bDpT10_ENKUlT_T0_E_clISt17integral_constantIbLb1EES1P_EEDaS1K_S1L_EUlS1K_E_NS1_11comp_targetILNS1_3genE9ELNS1_11target_archE1100ELNS1_3gpuE3ELNS1_3repE0EEENS1_30default_config_static_selectorELNS0_4arch9wavefront6targetE0EEEvSY_.uses_flat_scratch, 0
	.set _ZN7rocprim17ROCPRIM_400000_NS6detail17trampoline_kernelINS0_13select_configILj256ELj13ELNS0_17block_load_methodE3ELS4_3ELS4_3ELNS0_20block_scan_algorithmE0ELj4294967295EEENS1_25partition_config_selectorILNS1_17partition_subalgoE3EjNS0_10empty_typeEbEEZZNS1_14partition_implILS8_3ELb0ES6_jNS0_17counting_iteratorIjlEEPS9_SE_NS0_5tupleIJPjSE_EEENSF_IJSE_SE_EEES9_SG_JZNS1_25segmented_radix_sort_implINS0_14default_configELb1EPKhPhPKlPlN2at6native12_GLOBAL__N_18offset_tEEE10hipError_tPvRmT1_PNSt15iterator_traitsISY_E10value_typeET2_T3_PNSZ_IS14_E10value_typeET4_jRbjT5_S1A_jjP12ihipStream_tbEUljE_EEESV_SW_SX_S14_S18_S1A_T6_T7_T9_mT8_S1C_bDpT10_ENKUlT_T0_E_clISt17integral_constantIbLb1EES1P_EEDaS1K_S1L_EUlS1K_E_NS1_11comp_targetILNS1_3genE9ELNS1_11target_archE1100ELNS1_3gpuE3ELNS1_3repE0EEENS1_30default_config_static_selectorELNS0_4arch9wavefront6targetE0EEEvSY_.has_dyn_sized_stack, 0
	.set _ZN7rocprim17ROCPRIM_400000_NS6detail17trampoline_kernelINS0_13select_configILj256ELj13ELNS0_17block_load_methodE3ELS4_3ELS4_3ELNS0_20block_scan_algorithmE0ELj4294967295EEENS1_25partition_config_selectorILNS1_17partition_subalgoE3EjNS0_10empty_typeEbEEZZNS1_14partition_implILS8_3ELb0ES6_jNS0_17counting_iteratorIjlEEPS9_SE_NS0_5tupleIJPjSE_EEENSF_IJSE_SE_EEES9_SG_JZNS1_25segmented_radix_sort_implINS0_14default_configELb1EPKhPhPKlPlN2at6native12_GLOBAL__N_18offset_tEEE10hipError_tPvRmT1_PNSt15iterator_traitsISY_E10value_typeET2_T3_PNSZ_IS14_E10value_typeET4_jRbjT5_S1A_jjP12ihipStream_tbEUljE_EEESV_SW_SX_S14_S18_S1A_T6_T7_T9_mT8_S1C_bDpT10_ENKUlT_T0_E_clISt17integral_constantIbLb1EES1P_EEDaS1K_S1L_EUlS1K_E_NS1_11comp_targetILNS1_3genE9ELNS1_11target_archE1100ELNS1_3gpuE3ELNS1_3repE0EEENS1_30default_config_static_selectorELNS0_4arch9wavefront6targetE0EEEvSY_.has_recursion, 0
	.set _ZN7rocprim17ROCPRIM_400000_NS6detail17trampoline_kernelINS0_13select_configILj256ELj13ELNS0_17block_load_methodE3ELS4_3ELS4_3ELNS0_20block_scan_algorithmE0ELj4294967295EEENS1_25partition_config_selectorILNS1_17partition_subalgoE3EjNS0_10empty_typeEbEEZZNS1_14partition_implILS8_3ELb0ES6_jNS0_17counting_iteratorIjlEEPS9_SE_NS0_5tupleIJPjSE_EEENSF_IJSE_SE_EEES9_SG_JZNS1_25segmented_radix_sort_implINS0_14default_configELb1EPKhPhPKlPlN2at6native12_GLOBAL__N_18offset_tEEE10hipError_tPvRmT1_PNSt15iterator_traitsISY_E10value_typeET2_T3_PNSZ_IS14_E10value_typeET4_jRbjT5_S1A_jjP12ihipStream_tbEUljE_EEESV_SW_SX_S14_S18_S1A_T6_T7_T9_mT8_S1C_bDpT10_ENKUlT_T0_E_clISt17integral_constantIbLb1EES1P_EEDaS1K_S1L_EUlS1K_E_NS1_11comp_targetILNS1_3genE9ELNS1_11target_archE1100ELNS1_3gpuE3ELNS1_3repE0EEENS1_30default_config_static_selectorELNS0_4arch9wavefront6targetE0EEEvSY_.has_indirect_call, 0
	.section	.AMDGPU.csdata,"",@progbits
; Kernel info:
; codeLenInByte = 0
; TotalNumSgprs: 0
; NumVgprs: 0
; ScratchSize: 0
; MemoryBound: 0
; FloatMode: 240
; IeeeMode: 1
; LDSByteSize: 0 bytes/workgroup (compile time only)
; SGPRBlocks: 0
; VGPRBlocks: 0
; NumSGPRsForWavesPerEU: 1
; NumVGPRsForWavesPerEU: 1
; NamedBarCnt: 0
; Occupancy: 16
; WaveLimiterHint : 0
; COMPUTE_PGM_RSRC2:SCRATCH_EN: 0
; COMPUTE_PGM_RSRC2:USER_SGPR: 2
; COMPUTE_PGM_RSRC2:TRAP_HANDLER: 0
; COMPUTE_PGM_RSRC2:TGID_X_EN: 1
; COMPUTE_PGM_RSRC2:TGID_Y_EN: 0
; COMPUTE_PGM_RSRC2:TGID_Z_EN: 0
; COMPUTE_PGM_RSRC2:TIDIG_COMP_CNT: 0
	.section	.text._ZN7rocprim17ROCPRIM_400000_NS6detail17trampoline_kernelINS0_13select_configILj256ELj13ELNS0_17block_load_methodE3ELS4_3ELS4_3ELNS0_20block_scan_algorithmE0ELj4294967295EEENS1_25partition_config_selectorILNS1_17partition_subalgoE3EjNS0_10empty_typeEbEEZZNS1_14partition_implILS8_3ELb0ES6_jNS0_17counting_iteratorIjlEEPS9_SE_NS0_5tupleIJPjSE_EEENSF_IJSE_SE_EEES9_SG_JZNS1_25segmented_radix_sort_implINS0_14default_configELb1EPKhPhPKlPlN2at6native12_GLOBAL__N_18offset_tEEE10hipError_tPvRmT1_PNSt15iterator_traitsISY_E10value_typeET2_T3_PNSZ_IS14_E10value_typeET4_jRbjT5_S1A_jjP12ihipStream_tbEUljE_EEESV_SW_SX_S14_S18_S1A_T6_T7_T9_mT8_S1C_bDpT10_ENKUlT_T0_E_clISt17integral_constantIbLb1EES1P_EEDaS1K_S1L_EUlS1K_E_NS1_11comp_targetILNS1_3genE8ELNS1_11target_archE1030ELNS1_3gpuE2ELNS1_3repE0EEENS1_30default_config_static_selectorELNS0_4arch9wavefront6targetE0EEEvSY_,"axG",@progbits,_ZN7rocprim17ROCPRIM_400000_NS6detail17trampoline_kernelINS0_13select_configILj256ELj13ELNS0_17block_load_methodE3ELS4_3ELS4_3ELNS0_20block_scan_algorithmE0ELj4294967295EEENS1_25partition_config_selectorILNS1_17partition_subalgoE3EjNS0_10empty_typeEbEEZZNS1_14partition_implILS8_3ELb0ES6_jNS0_17counting_iteratorIjlEEPS9_SE_NS0_5tupleIJPjSE_EEENSF_IJSE_SE_EEES9_SG_JZNS1_25segmented_radix_sort_implINS0_14default_configELb1EPKhPhPKlPlN2at6native12_GLOBAL__N_18offset_tEEE10hipError_tPvRmT1_PNSt15iterator_traitsISY_E10value_typeET2_T3_PNSZ_IS14_E10value_typeET4_jRbjT5_S1A_jjP12ihipStream_tbEUljE_EEESV_SW_SX_S14_S18_S1A_T6_T7_T9_mT8_S1C_bDpT10_ENKUlT_T0_E_clISt17integral_constantIbLb1EES1P_EEDaS1K_S1L_EUlS1K_E_NS1_11comp_targetILNS1_3genE8ELNS1_11target_archE1030ELNS1_3gpuE2ELNS1_3repE0EEENS1_30default_config_static_selectorELNS0_4arch9wavefront6targetE0EEEvSY_,comdat
	.globl	_ZN7rocprim17ROCPRIM_400000_NS6detail17trampoline_kernelINS0_13select_configILj256ELj13ELNS0_17block_load_methodE3ELS4_3ELS4_3ELNS0_20block_scan_algorithmE0ELj4294967295EEENS1_25partition_config_selectorILNS1_17partition_subalgoE3EjNS0_10empty_typeEbEEZZNS1_14partition_implILS8_3ELb0ES6_jNS0_17counting_iteratorIjlEEPS9_SE_NS0_5tupleIJPjSE_EEENSF_IJSE_SE_EEES9_SG_JZNS1_25segmented_radix_sort_implINS0_14default_configELb1EPKhPhPKlPlN2at6native12_GLOBAL__N_18offset_tEEE10hipError_tPvRmT1_PNSt15iterator_traitsISY_E10value_typeET2_T3_PNSZ_IS14_E10value_typeET4_jRbjT5_S1A_jjP12ihipStream_tbEUljE_EEESV_SW_SX_S14_S18_S1A_T6_T7_T9_mT8_S1C_bDpT10_ENKUlT_T0_E_clISt17integral_constantIbLb1EES1P_EEDaS1K_S1L_EUlS1K_E_NS1_11comp_targetILNS1_3genE8ELNS1_11target_archE1030ELNS1_3gpuE2ELNS1_3repE0EEENS1_30default_config_static_selectorELNS0_4arch9wavefront6targetE0EEEvSY_ ; -- Begin function _ZN7rocprim17ROCPRIM_400000_NS6detail17trampoline_kernelINS0_13select_configILj256ELj13ELNS0_17block_load_methodE3ELS4_3ELS4_3ELNS0_20block_scan_algorithmE0ELj4294967295EEENS1_25partition_config_selectorILNS1_17partition_subalgoE3EjNS0_10empty_typeEbEEZZNS1_14partition_implILS8_3ELb0ES6_jNS0_17counting_iteratorIjlEEPS9_SE_NS0_5tupleIJPjSE_EEENSF_IJSE_SE_EEES9_SG_JZNS1_25segmented_radix_sort_implINS0_14default_configELb1EPKhPhPKlPlN2at6native12_GLOBAL__N_18offset_tEEE10hipError_tPvRmT1_PNSt15iterator_traitsISY_E10value_typeET2_T3_PNSZ_IS14_E10value_typeET4_jRbjT5_S1A_jjP12ihipStream_tbEUljE_EEESV_SW_SX_S14_S18_S1A_T6_T7_T9_mT8_S1C_bDpT10_ENKUlT_T0_E_clISt17integral_constantIbLb1EES1P_EEDaS1K_S1L_EUlS1K_E_NS1_11comp_targetILNS1_3genE8ELNS1_11target_archE1030ELNS1_3gpuE2ELNS1_3repE0EEENS1_30default_config_static_selectorELNS0_4arch9wavefront6targetE0EEEvSY_
	.p2align	8
	.type	_ZN7rocprim17ROCPRIM_400000_NS6detail17trampoline_kernelINS0_13select_configILj256ELj13ELNS0_17block_load_methodE3ELS4_3ELS4_3ELNS0_20block_scan_algorithmE0ELj4294967295EEENS1_25partition_config_selectorILNS1_17partition_subalgoE3EjNS0_10empty_typeEbEEZZNS1_14partition_implILS8_3ELb0ES6_jNS0_17counting_iteratorIjlEEPS9_SE_NS0_5tupleIJPjSE_EEENSF_IJSE_SE_EEES9_SG_JZNS1_25segmented_radix_sort_implINS0_14default_configELb1EPKhPhPKlPlN2at6native12_GLOBAL__N_18offset_tEEE10hipError_tPvRmT1_PNSt15iterator_traitsISY_E10value_typeET2_T3_PNSZ_IS14_E10value_typeET4_jRbjT5_S1A_jjP12ihipStream_tbEUljE_EEESV_SW_SX_S14_S18_S1A_T6_T7_T9_mT8_S1C_bDpT10_ENKUlT_T0_E_clISt17integral_constantIbLb1EES1P_EEDaS1K_S1L_EUlS1K_E_NS1_11comp_targetILNS1_3genE8ELNS1_11target_archE1030ELNS1_3gpuE2ELNS1_3repE0EEENS1_30default_config_static_selectorELNS0_4arch9wavefront6targetE0EEEvSY_,@function
_ZN7rocprim17ROCPRIM_400000_NS6detail17trampoline_kernelINS0_13select_configILj256ELj13ELNS0_17block_load_methodE3ELS4_3ELS4_3ELNS0_20block_scan_algorithmE0ELj4294967295EEENS1_25partition_config_selectorILNS1_17partition_subalgoE3EjNS0_10empty_typeEbEEZZNS1_14partition_implILS8_3ELb0ES6_jNS0_17counting_iteratorIjlEEPS9_SE_NS0_5tupleIJPjSE_EEENSF_IJSE_SE_EEES9_SG_JZNS1_25segmented_radix_sort_implINS0_14default_configELb1EPKhPhPKlPlN2at6native12_GLOBAL__N_18offset_tEEE10hipError_tPvRmT1_PNSt15iterator_traitsISY_E10value_typeET2_T3_PNSZ_IS14_E10value_typeET4_jRbjT5_S1A_jjP12ihipStream_tbEUljE_EEESV_SW_SX_S14_S18_S1A_T6_T7_T9_mT8_S1C_bDpT10_ENKUlT_T0_E_clISt17integral_constantIbLb1EES1P_EEDaS1K_S1L_EUlS1K_E_NS1_11comp_targetILNS1_3genE8ELNS1_11target_archE1030ELNS1_3gpuE2ELNS1_3repE0EEENS1_30default_config_static_selectorELNS0_4arch9wavefront6targetE0EEEvSY_: ; @_ZN7rocprim17ROCPRIM_400000_NS6detail17trampoline_kernelINS0_13select_configILj256ELj13ELNS0_17block_load_methodE3ELS4_3ELS4_3ELNS0_20block_scan_algorithmE0ELj4294967295EEENS1_25partition_config_selectorILNS1_17partition_subalgoE3EjNS0_10empty_typeEbEEZZNS1_14partition_implILS8_3ELb0ES6_jNS0_17counting_iteratorIjlEEPS9_SE_NS0_5tupleIJPjSE_EEENSF_IJSE_SE_EEES9_SG_JZNS1_25segmented_radix_sort_implINS0_14default_configELb1EPKhPhPKlPlN2at6native12_GLOBAL__N_18offset_tEEE10hipError_tPvRmT1_PNSt15iterator_traitsISY_E10value_typeET2_T3_PNSZ_IS14_E10value_typeET4_jRbjT5_S1A_jjP12ihipStream_tbEUljE_EEESV_SW_SX_S14_S18_S1A_T6_T7_T9_mT8_S1C_bDpT10_ENKUlT_T0_E_clISt17integral_constantIbLb1EES1P_EEDaS1K_S1L_EUlS1K_E_NS1_11comp_targetILNS1_3genE8ELNS1_11target_archE1030ELNS1_3gpuE2ELNS1_3repE0EEENS1_30default_config_static_selectorELNS0_4arch9wavefront6targetE0EEEvSY_
; %bb.0:
	.section	.rodata,"a",@progbits
	.p2align	6, 0x0
	.amdhsa_kernel _ZN7rocprim17ROCPRIM_400000_NS6detail17trampoline_kernelINS0_13select_configILj256ELj13ELNS0_17block_load_methodE3ELS4_3ELS4_3ELNS0_20block_scan_algorithmE0ELj4294967295EEENS1_25partition_config_selectorILNS1_17partition_subalgoE3EjNS0_10empty_typeEbEEZZNS1_14partition_implILS8_3ELb0ES6_jNS0_17counting_iteratorIjlEEPS9_SE_NS0_5tupleIJPjSE_EEENSF_IJSE_SE_EEES9_SG_JZNS1_25segmented_radix_sort_implINS0_14default_configELb1EPKhPhPKlPlN2at6native12_GLOBAL__N_18offset_tEEE10hipError_tPvRmT1_PNSt15iterator_traitsISY_E10value_typeET2_T3_PNSZ_IS14_E10value_typeET4_jRbjT5_S1A_jjP12ihipStream_tbEUljE_EEESV_SW_SX_S14_S18_S1A_T6_T7_T9_mT8_S1C_bDpT10_ENKUlT_T0_E_clISt17integral_constantIbLb1EES1P_EEDaS1K_S1L_EUlS1K_E_NS1_11comp_targetILNS1_3genE8ELNS1_11target_archE1030ELNS1_3gpuE2ELNS1_3repE0EEENS1_30default_config_static_selectorELNS0_4arch9wavefront6targetE0EEEvSY_
		.amdhsa_group_segment_fixed_size 0
		.amdhsa_private_segment_fixed_size 0
		.amdhsa_kernarg_size 152
		.amdhsa_user_sgpr_count 2
		.amdhsa_user_sgpr_dispatch_ptr 0
		.amdhsa_user_sgpr_queue_ptr 0
		.amdhsa_user_sgpr_kernarg_segment_ptr 1
		.amdhsa_user_sgpr_dispatch_id 0
		.amdhsa_user_sgpr_kernarg_preload_length 0
		.amdhsa_user_sgpr_kernarg_preload_offset 0
		.amdhsa_user_sgpr_private_segment_size 0
		.amdhsa_wavefront_size32 1
		.amdhsa_uses_dynamic_stack 0
		.amdhsa_enable_private_segment 0
		.amdhsa_system_sgpr_workgroup_id_x 1
		.amdhsa_system_sgpr_workgroup_id_y 0
		.amdhsa_system_sgpr_workgroup_id_z 0
		.amdhsa_system_sgpr_workgroup_info 0
		.amdhsa_system_vgpr_workitem_id 0
		.amdhsa_next_free_vgpr 1
		.amdhsa_next_free_sgpr 1
		.amdhsa_named_barrier_count 0
		.amdhsa_reserve_vcc 0
		.amdhsa_float_round_mode_32 0
		.amdhsa_float_round_mode_16_64 0
		.amdhsa_float_denorm_mode_32 3
		.amdhsa_float_denorm_mode_16_64 3
		.amdhsa_fp16_overflow 0
		.amdhsa_memory_ordered 1
		.amdhsa_forward_progress 1
		.amdhsa_inst_pref_size 0
		.amdhsa_round_robin_scheduling 0
		.amdhsa_exception_fp_ieee_invalid_op 0
		.amdhsa_exception_fp_denorm_src 0
		.amdhsa_exception_fp_ieee_div_zero 0
		.amdhsa_exception_fp_ieee_overflow 0
		.amdhsa_exception_fp_ieee_underflow 0
		.amdhsa_exception_fp_ieee_inexact 0
		.amdhsa_exception_int_div_zero 0
	.end_amdhsa_kernel
	.section	.text._ZN7rocprim17ROCPRIM_400000_NS6detail17trampoline_kernelINS0_13select_configILj256ELj13ELNS0_17block_load_methodE3ELS4_3ELS4_3ELNS0_20block_scan_algorithmE0ELj4294967295EEENS1_25partition_config_selectorILNS1_17partition_subalgoE3EjNS0_10empty_typeEbEEZZNS1_14partition_implILS8_3ELb0ES6_jNS0_17counting_iteratorIjlEEPS9_SE_NS0_5tupleIJPjSE_EEENSF_IJSE_SE_EEES9_SG_JZNS1_25segmented_radix_sort_implINS0_14default_configELb1EPKhPhPKlPlN2at6native12_GLOBAL__N_18offset_tEEE10hipError_tPvRmT1_PNSt15iterator_traitsISY_E10value_typeET2_T3_PNSZ_IS14_E10value_typeET4_jRbjT5_S1A_jjP12ihipStream_tbEUljE_EEESV_SW_SX_S14_S18_S1A_T6_T7_T9_mT8_S1C_bDpT10_ENKUlT_T0_E_clISt17integral_constantIbLb1EES1P_EEDaS1K_S1L_EUlS1K_E_NS1_11comp_targetILNS1_3genE8ELNS1_11target_archE1030ELNS1_3gpuE2ELNS1_3repE0EEENS1_30default_config_static_selectorELNS0_4arch9wavefront6targetE0EEEvSY_,"axG",@progbits,_ZN7rocprim17ROCPRIM_400000_NS6detail17trampoline_kernelINS0_13select_configILj256ELj13ELNS0_17block_load_methodE3ELS4_3ELS4_3ELNS0_20block_scan_algorithmE0ELj4294967295EEENS1_25partition_config_selectorILNS1_17partition_subalgoE3EjNS0_10empty_typeEbEEZZNS1_14partition_implILS8_3ELb0ES6_jNS0_17counting_iteratorIjlEEPS9_SE_NS0_5tupleIJPjSE_EEENSF_IJSE_SE_EEES9_SG_JZNS1_25segmented_radix_sort_implINS0_14default_configELb1EPKhPhPKlPlN2at6native12_GLOBAL__N_18offset_tEEE10hipError_tPvRmT1_PNSt15iterator_traitsISY_E10value_typeET2_T3_PNSZ_IS14_E10value_typeET4_jRbjT5_S1A_jjP12ihipStream_tbEUljE_EEESV_SW_SX_S14_S18_S1A_T6_T7_T9_mT8_S1C_bDpT10_ENKUlT_T0_E_clISt17integral_constantIbLb1EES1P_EEDaS1K_S1L_EUlS1K_E_NS1_11comp_targetILNS1_3genE8ELNS1_11target_archE1030ELNS1_3gpuE2ELNS1_3repE0EEENS1_30default_config_static_selectorELNS0_4arch9wavefront6targetE0EEEvSY_,comdat
.Lfunc_end64:
	.size	_ZN7rocprim17ROCPRIM_400000_NS6detail17trampoline_kernelINS0_13select_configILj256ELj13ELNS0_17block_load_methodE3ELS4_3ELS4_3ELNS0_20block_scan_algorithmE0ELj4294967295EEENS1_25partition_config_selectorILNS1_17partition_subalgoE3EjNS0_10empty_typeEbEEZZNS1_14partition_implILS8_3ELb0ES6_jNS0_17counting_iteratorIjlEEPS9_SE_NS0_5tupleIJPjSE_EEENSF_IJSE_SE_EEES9_SG_JZNS1_25segmented_radix_sort_implINS0_14default_configELb1EPKhPhPKlPlN2at6native12_GLOBAL__N_18offset_tEEE10hipError_tPvRmT1_PNSt15iterator_traitsISY_E10value_typeET2_T3_PNSZ_IS14_E10value_typeET4_jRbjT5_S1A_jjP12ihipStream_tbEUljE_EEESV_SW_SX_S14_S18_S1A_T6_T7_T9_mT8_S1C_bDpT10_ENKUlT_T0_E_clISt17integral_constantIbLb1EES1P_EEDaS1K_S1L_EUlS1K_E_NS1_11comp_targetILNS1_3genE8ELNS1_11target_archE1030ELNS1_3gpuE2ELNS1_3repE0EEENS1_30default_config_static_selectorELNS0_4arch9wavefront6targetE0EEEvSY_, .Lfunc_end64-_ZN7rocprim17ROCPRIM_400000_NS6detail17trampoline_kernelINS0_13select_configILj256ELj13ELNS0_17block_load_methodE3ELS4_3ELS4_3ELNS0_20block_scan_algorithmE0ELj4294967295EEENS1_25partition_config_selectorILNS1_17partition_subalgoE3EjNS0_10empty_typeEbEEZZNS1_14partition_implILS8_3ELb0ES6_jNS0_17counting_iteratorIjlEEPS9_SE_NS0_5tupleIJPjSE_EEENSF_IJSE_SE_EEES9_SG_JZNS1_25segmented_radix_sort_implINS0_14default_configELb1EPKhPhPKlPlN2at6native12_GLOBAL__N_18offset_tEEE10hipError_tPvRmT1_PNSt15iterator_traitsISY_E10value_typeET2_T3_PNSZ_IS14_E10value_typeET4_jRbjT5_S1A_jjP12ihipStream_tbEUljE_EEESV_SW_SX_S14_S18_S1A_T6_T7_T9_mT8_S1C_bDpT10_ENKUlT_T0_E_clISt17integral_constantIbLb1EES1P_EEDaS1K_S1L_EUlS1K_E_NS1_11comp_targetILNS1_3genE8ELNS1_11target_archE1030ELNS1_3gpuE2ELNS1_3repE0EEENS1_30default_config_static_selectorELNS0_4arch9wavefront6targetE0EEEvSY_
                                        ; -- End function
	.set _ZN7rocprim17ROCPRIM_400000_NS6detail17trampoline_kernelINS0_13select_configILj256ELj13ELNS0_17block_load_methodE3ELS4_3ELS4_3ELNS0_20block_scan_algorithmE0ELj4294967295EEENS1_25partition_config_selectorILNS1_17partition_subalgoE3EjNS0_10empty_typeEbEEZZNS1_14partition_implILS8_3ELb0ES6_jNS0_17counting_iteratorIjlEEPS9_SE_NS0_5tupleIJPjSE_EEENSF_IJSE_SE_EEES9_SG_JZNS1_25segmented_radix_sort_implINS0_14default_configELb1EPKhPhPKlPlN2at6native12_GLOBAL__N_18offset_tEEE10hipError_tPvRmT1_PNSt15iterator_traitsISY_E10value_typeET2_T3_PNSZ_IS14_E10value_typeET4_jRbjT5_S1A_jjP12ihipStream_tbEUljE_EEESV_SW_SX_S14_S18_S1A_T6_T7_T9_mT8_S1C_bDpT10_ENKUlT_T0_E_clISt17integral_constantIbLb1EES1P_EEDaS1K_S1L_EUlS1K_E_NS1_11comp_targetILNS1_3genE8ELNS1_11target_archE1030ELNS1_3gpuE2ELNS1_3repE0EEENS1_30default_config_static_selectorELNS0_4arch9wavefront6targetE0EEEvSY_.num_vgpr, 0
	.set _ZN7rocprim17ROCPRIM_400000_NS6detail17trampoline_kernelINS0_13select_configILj256ELj13ELNS0_17block_load_methodE3ELS4_3ELS4_3ELNS0_20block_scan_algorithmE0ELj4294967295EEENS1_25partition_config_selectorILNS1_17partition_subalgoE3EjNS0_10empty_typeEbEEZZNS1_14partition_implILS8_3ELb0ES6_jNS0_17counting_iteratorIjlEEPS9_SE_NS0_5tupleIJPjSE_EEENSF_IJSE_SE_EEES9_SG_JZNS1_25segmented_radix_sort_implINS0_14default_configELb1EPKhPhPKlPlN2at6native12_GLOBAL__N_18offset_tEEE10hipError_tPvRmT1_PNSt15iterator_traitsISY_E10value_typeET2_T3_PNSZ_IS14_E10value_typeET4_jRbjT5_S1A_jjP12ihipStream_tbEUljE_EEESV_SW_SX_S14_S18_S1A_T6_T7_T9_mT8_S1C_bDpT10_ENKUlT_T0_E_clISt17integral_constantIbLb1EES1P_EEDaS1K_S1L_EUlS1K_E_NS1_11comp_targetILNS1_3genE8ELNS1_11target_archE1030ELNS1_3gpuE2ELNS1_3repE0EEENS1_30default_config_static_selectorELNS0_4arch9wavefront6targetE0EEEvSY_.num_agpr, 0
	.set _ZN7rocprim17ROCPRIM_400000_NS6detail17trampoline_kernelINS0_13select_configILj256ELj13ELNS0_17block_load_methodE3ELS4_3ELS4_3ELNS0_20block_scan_algorithmE0ELj4294967295EEENS1_25partition_config_selectorILNS1_17partition_subalgoE3EjNS0_10empty_typeEbEEZZNS1_14partition_implILS8_3ELb0ES6_jNS0_17counting_iteratorIjlEEPS9_SE_NS0_5tupleIJPjSE_EEENSF_IJSE_SE_EEES9_SG_JZNS1_25segmented_radix_sort_implINS0_14default_configELb1EPKhPhPKlPlN2at6native12_GLOBAL__N_18offset_tEEE10hipError_tPvRmT1_PNSt15iterator_traitsISY_E10value_typeET2_T3_PNSZ_IS14_E10value_typeET4_jRbjT5_S1A_jjP12ihipStream_tbEUljE_EEESV_SW_SX_S14_S18_S1A_T6_T7_T9_mT8_S1C_bDpT10_ENKUlT_T0_E_clISt17integral_constantIbLb1EES1P_EEDaS1K_S1L_EUlS1K_E_NS1_11comp_targetILNS1_3genE8ELNS1_11target_archE1030ELNS1_3gpuE2ELNS1_3repE0EEENS1_30default_config_static_selectorELNS0_4arch9wavefront6targetE0EEEvSY_.numbered_sgpr, 0
	.set _ZN7rocprim17ROCPRIM_400000_NS6detail17trampoline_kernelINS0_13select_configILj256ELj13ELNS0_17block_load_methodE3ELS4_3ELS4_3ELNS0_20block_scan_algorithmE0ELj4294967295EEENS1_25partition_config_selectorILNS1_17partition_subalgoE3EjNS0_10empty_typeEbEEZZNS1_14partition_implILS8_3ELb0ES6_jNS0_17counting_iteratorIjlEEPS9_SE_NS0_5tupleIJPjSE_EEENSF_IJSE_SE_EEES9_SG_JZNS1_25segmented_radix_sort_implINS0_14default_configELb1EPKhPhPKlPlN2at6native12_GLOBAL__N_18offset_tEEE10hipError_tPvRmT1_PNSt15iterator_traitsISY_E10value_typeET2_T3_PNSZ_IS14_E10value_typeET4_jRbjT5_S1A_jjP12ihipStream_tbEUljE_EEESV_SW_SX_S14_S18_S1A_T6_T7_T9_mT8_S1C_bDpT10_ENKUlT_T0_E_clISt17integral_constantIbLb1EES1P_EEDaS1K_S1L_EUlS1K_E_NS1_11comp_targetILNS1_3genE8ELNS1_11target_archE1030ELNS1_3gpuE2ELNS1_3repE0EEENS1_30default_config_static_selectorELNS0_4arch9wavefront6targetE0EEEvSY_.num_named_barrier, 0
	.set _ZN7rocprim17ROCPRIM_400000_NS6detail17trampoline_kernelINS0_13select_configILj256ELj13ELNS0_17block_load_methodE3ELS4_3ELS4_3ELNS0_20block_scan_algorithmE0ELj4294967295EEENS1_25partition_config_selectorILNS1_17partition_subalgoE3EjNS0_10empty_typeEbEEZZNS1_14partition_implILS8_3ELb0ES6_jNS0_17counting_iteratorIjlEEPS9_SE_NS0_5tupleIJPjSE_EEENSF_IJSE_SE_EEES9_SG_JZNS1_25segmented_radix_sort_implINS0_14default_configELb1EPKhPhPKlPlN2at6native12_GLOBAL__N_18offset_tEEE10hipError_tPvRmT1_PNSt15iterator_traitsISY_E10value_typeET2_T3_PNSZ_IS14_E10value_typeET4_jRbjT5_S1A_jjP12ihipStream_tbEUljE_EEESV_SW_SX_S14_S18_S1A_T6_T7_T9_mT8_S1C_bDpT10_ENKUlT_T0_E_clISt17integral_constantIbLb1EES1P_EEDaS1K_S1L_EUlS1K_E_NS1_11comp_targetILNS1_3genE8ELNS1_11target_archE1030ELNS1_3gpuE2ELNS1_3repE0EEENS1_30default_config_static_selectorELNS0_4arch9wavefront6targetE0EEEvSY_.private_seg_size, 0
	.set _ZN7rocprim17ROCPRIM_400000_NS6detail17trampoline_kernelINS0_13select_configILj256ELj13ELNS0_17block_load_methodE3ELS4_3ELS4_3ELNS0_20block_scan_algorithmE0ELj4294967295EEENS1_25partition_config_selectorILNS1_17partition_subalgoE3EjNS0_10empty_typeEbEEZZNS1_14partition_implILS8_3ELb0ES6_jNS0_17counting_iteratorIjlEEPS9_SE_NS0_5tupleIJPjSE_EEENSF_IJSE_SE_EEES9_SG_JZNS1_25segmented_radix_sort_implINS0_14default_configELb1EPKhPhPKlPlN2at6native12_GLOBAL__N_18offset_tEEE10hipError_tPvRmT1_PNSt15iterator_traitsISY_E10value_typeET2_T3_PNSZ_IS14_E10value_typeET4_jRbjT5_S1A_jjP12ihipStream_tbEUljE_EEESV_SW_SX_S14_S18_S1A_T6_T7_T9_mT8_S1C_bDpT10_ENKUlT_T0_E_clISt17integral_constantIbLb1EES1P_EEDaS1K_S1L_EUlS1K_E_NS1_11comp_targetILNS1_3genE8ELNS1_11target_archE1030ELNS1_3gpuE2ELNS1_3repE0EEENS1_30default_config_static_selectorELNS0_4arch9wavefront6targetE0EEEvSY_.uses_vcc, 0
	.set _ZN7rocprim17ROCPRIM_400000_NS6detail17trampoline_kernelINS0_13select_configILj256ELj13ELNS0_17block_load_methodE3ELS4_3ELS4_3ELNS0_20block_scan_algorithmE0ELj4294967295EEENS1_25partition_config_selectorILNS1_17partition_subalgoE3EjNS0_10empty_typeEbEEZZNS1_14partition_implILS8_3ELb0ES6_jNS0_17counting_iteratorIjlEEPS9_SE_NS0_5tupleIJPjSE_EEENSF_IJSE_SE_EEES9_SG_JZNS1_25segmented_radix_sort_implINS0_14default_configELb1EPKhPhPKlPlN2at6native12_GLOBAL__N_18offset_tEEE10hipError_tPvRmT1_PNSt15iterator_traitsISY_E10value_typeET2_T3_PNSZ_IS14_E10value_typeET4_jRbjT5_S1A_jjP12ihipStream_tbEUljE_EEESV_SW_SX_S14_S18_S1A_T6_T7_T9_mT8_S1C_bDpT10_ENKUlT_T0_E_clISt17integral_constantIbLb1EES1P_EEDaS1K_S1L_EUlS1K_E_NS1_11comp_targetILNS1_3genE8ELNS1_11target_archE1030ELNS1_3gpuE2ELNS1_3repE0EEENS1_30default_config_static_selectorELNS0_4arch9wavefront6targetE0EEEvSY_.uses_flat_scratch, 0
	.set _ZN7rocprim17ROCPRIM_400000_NS6detail17trampoline_kernelINS0_13select_configILj256ELj13ELNS0_17block_load_methodE3ELS4_3ELS4_3ELNS0_20block_scan_algorithmE0ELj4294967295EEENS1_25partition_config_selectorILNS1_17partition_subalgoE3EjNS0_10empty_typeEbEEZZNS1_14partition_implILS8_3ELb0ES6_jNS0_17counting_iteratorIjlEEPS9_SE_NS0_5tupleIJPjSE_EEENSF_IJSE_SE_EEES9_SG_JZNS1_25segmented_radix_sort_implINS0_14default_configELb1EPKhPhPKlPlN2at6native12_GLOBAL__N_18offset_tEEE10hipError_tPvRmT1_PNSt15iterator_traitsISY_E10value_typeET2_T3_PNSZ_IS14_E10value_typeET4_jRbjT5_S1A_jjP12ihipStream_tbEUljE_EEESV_SW_SX_S14_S18_S1A_T6_T7_T9_mT8_S1C_bDpT10_ENKUlT_T0_E_clISt17integral_constantIbLb1EES1P_EEDaS1K_S1L_EUlS1K_E_NS1_11comp_targetILNS1_3genE8ELNS1_11target_archE1030ELNS1_3gpuE2ELNS1_3repE0EEENS1_30default_config_static_selectorELNS0_4arch9wavefront6targetE0EEEvSY_.has_dyn_sized_stack, 0
	.set _ZN7rocprim17ROCPRIM_400000_NS6detail17trampoline_kernelINS0_13select_configILj256ELj13ELNS0_17block_load_methodE3ELS4_3ELS4_3ELNS0_20block_scan_algorithmE0ELj4294967295EEENS1_25partition_config_selectorILNS1_17partition_subalgoE3EjNS0_10empty_typeEbEEZZNS1_14partition_implILS8_3ELb0ES6_jNS0_17counting_iteratorIjlEEPS9_SE_NS0_5tupleIJPjSE_EEENSF_IJSE_SE_EEES9_SG_JZNS1_25segmented_radix_sort_implINS0_14default_configELb1EPKhPhPKlPlN2at6native12_GLOBAL__N_18offset_tEEE10hipError_tPvRmT1_PNSt15iterator_traitsISY_E10value_typeET2_T3_PNSZ_IS14_E10value_typeET4_jRbjT5_S1A_jjP12ihipStream_tbEUljE_EEESV_SW_SX_S14_S18_S1A_T6_T7_T9_mT8_S1C_bDpT10_ENKUlT_T0_E_clISt17integral_constantIbLb1EES1P_EEDaS1K_S1L_EUlS1K_E_NS1_11comp_targetILNS1_3genE8ELNS1_11target_archE1030ELNS1_3gpuE2ELNS1_3repE0EEENS1_30default_config_static_selectorELNS0_4arch9wavefront6targetE0EEEvSY_.has_recursion, 0
	.set _ZN7rocprim17ROCPRIM_400000_NS6detail17trampoline_kernelINS0_13select_configILj256ELj13ELNS0_17block_load_methodE3ELS4_3ELS4_3ELNS0_20block_scan_algorithmE0ELj4294967295EEENS1_25partition_config_selectorILNS1_17partition_subalgoE3EjNS0_10empty_typeEbEEZZNS1_14partition_implILS8_3ELb0ES6_jNS0_17counting_iteratorIjlEEPS9_SE_NS0_5tupleIJPjSE_EEENSF_IJSE_SE_EEES9_SG_JZNS1_25segmented_radix_sort_implINS0_14default_configELb1EPKhPhPKlPlN2at6native12_GLOBAL__N_18offset_tEEE10hipError_tPvRmT1_PNSt15iterator_traitsISY_E10value_typeET2_T3_PNSZ_IS14_E10value_typeET4_jRbjT5_S1A_jjP12ihipStream_tbEUljE_EEESV_SW_SX_S14_S18_S1A_T6_T7_T9_mT8_S1C_bDpT10_ENKUlT_T0_E_clISt17integral_constantIbLb1EES1P_EEDaS1K_S1L_EUlS1K_E_NS1_11comp_targetILNS1_3genE8ELNS1_11target_archE1030ELNS1_3gpuE2ELNS1_3repE0EEENS1_30default_config_static_selectorELNS0_4arch9wavefront6targetE0EEEvSY_.has_indirect_call, 0
	.section	.AMDGPU.csdata,"",@progbits
; Kernel info:
; codeLenInByte = 0
; TotalNumSgprs: 0
; NumVgprs: 0
; ScratchSize: 0
; MemoryBound: 0
; FloatMode: 240
; IeeeMode: 1
; LDSByteSize: 0 bytes/workgroup (compile time only)
; SGPRBlocks: 0
; VGPRBlocks: 0
; NumSGPRsForWavesPerEU: 1
; NumVGPRsForWavesPerEU: 1
; NamedBarCnt: 0
; Occupancy: 16
; WaveLimiterHint : 0
; COMPUTE_PGM_RSRC2:SCRATCH_EN: 0
; COMPUTE_PGM_RSRC2:USER_SGPR: 2
; COMPUTE_PGM_RSRC2:TRAP_HANDLER: 0
; COMPUTE_PGM_RSRC2:TGID_X_EN: 1
; COMPUTE_PGM_RSRC2:TGID_Y_EN: 0
; COMPUTE_PGM_RSRC2:TGID_Z_EN: 0
; COMPUTE_PGM_RSRC2:TIDIG_COMP_CNT: 0
	.section	.text._ZN7rocprim17ROCPRIM_400000_NS6detail31init_lookback_scan_state_kernelINS1_19lookback_scan_stateIjLb1ELb1EEENS1_16block_id_wrapperIjLb0EEEEEvT_jT0_jPNS7_10value_typeE,"axG",@progbits,_ZN7rocprim17ROCPRIM_400000_NS6detail31init_lookback_scan_state_kernelINS1_19lookback_scan_stateIjLb1ELb1EEENS1_16block_id_wrapperIjLb0EEEEEvT_jT0_jPNS7_10value_typeE,comdat
	.protected	_ZN7rocprim17ROCPRIM_400000_NS6detail31init_lookback_scan_state_kernelINS1_19lookback_scan_stateIjLb1ELb1EEENS1_16block_id_wrapperIjLb0EEEEEvT_jT0_jPNS7_10value_typeE ; -- Begin function _ZN7rocprim17ROCPRIM_400000_NS6detail31init_lookback_scan_state_kernelINS1_19lookback_scan_stateIjLb1ELb1EEENS1_16block_id_wrapperIjLb0EEEEEvT_jT0_jPNS7_10value_typeE
	.globl	_ZN7rocprim17ROCPRIM_400000_NS6detail31init_lookback_scan_state_kernelINS1_19lookback_scan_stateIjLb1ELb1EEENS1_16block_id_wrapperIjLb0EEEEEvT_jT0_jPNS7_10value_typeE
	.p2align	8
	.type	_ZN7rocprim17ROCPRIM_400000_NS6detail31init_lookback_scan_state_kernelINS1_19lookback_scan_stateIjLb1ELb1EEENS1_16block_id_wrapperIjLb0EEEEEvT_jT0_jPNS7_10value_typeE,@function
_ZN7rocprim17ROCPRIM_400000_NS6detail31init_lookback_scan_state_kernelINS1_19lookback_scan_stateIjLb1ELb1EEENS1_16block_id_wrapperIjLb0EEEEEvT_jT0_jPNS7_10value_typeE: ; @_ZN7rocprim17ROCPRIM_400000_NS6detail31init_lookback_scan_state_kernelINS1_19lookback_scan_stateIjLb1ELb1EEENS1_16block_id_wrapperIjLb0EEEEEvT_jT0_jPNS7_10value_typeE
; %bb.0:
	s_clause 0x2
	s_load_b32 s7, s[0:1], 0x2c
	s_load_b96 s[4:6], s[0:1], 0x0
	s_load_b64 s[2:3], s[0:1], 0x18
	s_bfe_u32 s8, ttmp6, 0x4000c
	s_and_b32 s9, ttmp6, 15
	s_add_co_i32 s8, s8, 1
	s_getreg_b32 s10, hwreg(HW_REG_IB_STS2, 6, 4)
	s_mul_i32 s8, ttmp9, s8
	s_delay_alu instid0(SALU_CYCLE_1)
	s_add_co_i32 s9, s9, s8
	s_wait_kmcnt 0x0
	s_and_b32 s7, s7, 0xffff
	s_cmp_eq_u32 s10, 0
	s_cselect_b32 s8, ttmp9, s9
	s_cmp_eq_u64 s[2:3], 0
	v_mad_u32 v4, s8, s7, v0
	s_cbranch_scc1 .LBB65_9
; %bb.1:
	s_load_b32 s0, s[0:1], 0x10
	s_mov_b32 s7, exec_lo
	s_wait_kmcnt 0x0
	s_cmp_lt_u32 s0, s6
	s_cselect_b32 s1, s0, 0
	s_delay_alu instid0(VALU_DEP_1) | instid1(SALU_CYCLE_1)
	v_cmpx_eq_u32_e64 s1, v4
	s_cbranch_execz .LBB65_8
; %bb.2:
	s_add_co_i32 s0, s0, 32
	s_delay_alu instid0(SALU_CYCLE_1)
	v_mov_b32_e32 v0, s0
	global_load_b64 v[2:3], v0, s[4:5] scale_offset scope:SCOPE_DEV
	s_wait_xcnt 0x0
	v_mov_b32_e32 v0, 0
	s_wait_loadcnt 0x0
	v_and_b32_e32 v1, 0xff, v3
	s_delay_alu instid0(VALU_DEP_1)
	v_cmp_ne_u64_e32 vcc_lo, 0, v[0:1]
	s_cbranch_vccnz .LBB65_7
; %bb.3:
	s_mov_b32 s1, 0
	s_mov_b32 s8, 1
	s_lshl_b64 s[0:1], s[0:1], 3
	s_delay_alu instid0(SALU_CYCLE_1)
	s_add_nc_u64 s[0:1], s[4:5], s[0:1]
.LBB65_4:                               ; =>This Loop Header: Depth=1
                                        ;     Child Loop BB65_5 Depth 2
	s_mov_b32 s9, s8
.LBB65_5:                               ;   Parent Loop BB65_4 Depth=1
                                        ; =>  This Inner Loop Header: Depth=2
	s_delay_alu instid0(SALU_CYCLE_1)
	s_add_co_i32 s9, s9, -1
	s_sleep 1
	s_cmp_eq_u32 s9, 0
	s_cbranch_scc0 .LBB65_5
; %bb.6:                                ;   in Loop: Header=BB65_4 Depth=1
	global_load_b64 v[2:3], v0, s[0:1] scope:SCOPE_DEV
	s_cmp_lt_u32 s8, 32
	s_cselect_b32 s9, -1, 0
	s_delay_alu instid0(SALU_CYCLE_1) | instskip(SKIP_3) | instid1(VALU_DEP_1)
	s_cmp_lg_u32 s9, 0
	s_add_co_ci_u32 s8, s8, 0
	s_wait_loadcnt 0x0
	v_and_b32_e32 v1, 0xff, v3
	v_cmp_ne_u64_e32 vcc_lo, 0, v[0:1]
	s_cbranch_vccz .LBB65_4
.LBB65_7:
	v_mov_b32_e32 v0, 0
	global_store_b32 v0, v2, s[2:3]
.LBB65_8:
	s_wait_xcnt 0x0
	s_or_b32 exec_lo, exec_lo, s7
.LBB65_9:
	s_delay_alu instid0(SALU_CYCLE_1) | instskip(NEXT) | instid1(VALU_DEP_1)
	s_mov_b32 s0, exec_lo
	v_cmpx_gt_u32_e64 s6, v4
	s_cbranch_execz .LBB65_11
; %bb.10:
	v_mov_b64_e32 v[0:1], 0
	v_add_nc_u32_e32 v2, 32, v4
	global_store_b64 v2, v[0:1], s[4:5] scale_offset
.LBB65_11:
	s_wait_xcnt 0x0
	s_or_b32 exec_lo, exec_lo, s0
	s_delay_alu instid0(SALU_CYCLE_1)
	s_mov_b32 s0, exec_lo
	v_cmpx_gt_u32_e32 32, v4
	s_cbranch_execz .LBB65_13
; %bb.12:
	v_mov_b64_e32 v[0:1], 0xff00000000
	global_store_b64 v4, v[0:1], s[4:5] scale_offset
.LBB65_13:
	s_endpgm
	.section	.rodata,"a",@progbits
	.p2align	6, 0x0
	.amdhsa_kernel _ZN7rocprim17ROCPRIM_400000_NS6detail31init_lookback_scan_state_kernelINS1_19lookback_scan_stateIjLb1ELb1EEENS1_16block_id_wrapperIjLb0EEEEEvT_jT0_jPNS7_10value_typeE
		.amdhsa_group_segment_fixed_size 0
		.amdhsa_private_segment_fixed_size 0
		.amdhsa_kernarg_size 288
		.amdhsa_user_sgpr_count 2
		.amdhsa_user_sgpr_dispatch_ptr 0
		.amdhsa_user_sgpr_queue_ptr 0
		.amdhsa_user_sgpr_kernarg_segment_ptr 1
		.amdhsa_user_sgpr_dispatch_id 0
		.amdhsa_user_sgpr_kernarg_preload_length 0
		.amdhsa_user_sgpr_kernarg_preload_offset 0
		.amdhsa_user_sgpr_private_segment_size 0
		.amdhsa_wavefront_size32 1
		.amdhsa_uses_dynamic_stack 0
		.amdhsa_enable_private_segment 0
		.amdhsa_system_sgpr_workgroup_id_x 1
		.amdhsa_system_sgpr_workgroup_id_y 0
		.amdhsa_system_sgpr_workgroup_id_z 0
		.amdhsa_system_sgpr_workgroup_info 0
		.amdhsa_system_vgpr_workitem_id 0
		.amdhsa_next_free_vgpr 5
		.amdhsa_next_free_sgpr 11
		.amdhsa_named_barrier_count 0
		.amdhsa_reserve_vcc 1
		.amdhsa_float_round_mode_32 0
		.amdhsa_float_round_mode_16_64 0
		.amdhsa_float_denorm_mode_32 3
		.amdhsa_float_denorm_mode_16_64 3
		.amdhsa_fp16_overflow 0
		.amdhsa_memory_ordered 1
		.amdhsa_forward_progress 1
		.amdhsa_inst_pref_size 4
		.amdhsa_round_robin_scheduling 0
		.amdhsa_exception_fp_ieee_invalid_op 0
		.amdhsa_exception_fp_denorm_src 0
		.amdhsa_exception_fp_ieee_div_zero 0
		.amdhsa_exception_fp_ieee_overflow 0
		.amdhsa_exception_fp_ieee_underflow 0
		.amdhsa_exception_fp_ieee_inexact 0
		.amdhsa_exception_int_div_zero 0
	.end_amdhsa_kernel
	.section	.text._ZN7rocprim17ROCPRIM_400000_NS6detail31init_lookback_scan_state_kernelINS1_19lookback_scan_stateIjLb1ELb1EEENS1_16block_id_wrapperIjLb0EEEEEvT_jT0_jPNS7_10value_typeE,"axG",@progbits,_ZN7rocprim17ROCPRIM_400000_NS6detail31init_lookback_scan_state_kernelINS1_19lookback_scan_stateIjLb1ELb1EEENS1_16block_id_wrapperIjLb0EEEEEvT_jT0_jPNS7_10value_typeE,comdat
.Lfunc_end65:
	.size	_ZN7rocprim17ROCPRIM_400000_NS6detail31init_lookback_scan_state_kernelINS1_19lookback_scan_stateIjLb1ELb1EEENS1_16block_id_wrapperIjLb0EEEEEvT_jT0_jPNS7_10value_typeE, .Lfunc_end65-_ZN7rocprim17ROCPRIM_400000_NS6detail31init_lookback_scan_state_kernelINS1_19lookback_scan_stateIjLb1ELb1EEENS1_16block_id_wrapperIjLb0EEEEEvT_jT0_jPNS7_10value_typeE
                                        ; -- End function
	.set _ZN7rocprim17ROCPRIM_400000_NS6detail31init_lookback_scan_state_kernelINS1_19lookback_scan_stateIjLb1ELb1EEENS1_16block_id_wrapperIjLb0EEEEEvT_jT0_jPNS7_10value_typeE.num_vgpr, 5
	.set _ZN7rocprim17ROCPRIM_400000_NS6detail31init_lookback_scan_state_kernelINS1_19lookback_scan_stateIjLb1ELb1EEENS1_16block_id_wrapperIjLb0EEEEEvT_jT0_jPNS7_10value_typeE.num_agpr, 0
	.set _ZN7rocprim17ROCPRIM_400000_NS6detail31init_lookback_scan_state_kernelINS1_19lookback_scan_stateIjLb1ELb1EEENS1_16block_id_wrapperIjLb0EEEEEvT_jT0_jPNS7_10value_typeE.numbered_sgpr, 11
	.set _ZN7rocprim17ROCPRIM_400000_NS6detail31init_lookback_scan_state_kernelINS1_19lookback_scan_stateIjLb1ELb1EEENS1_16block_id_wrapperIjLb0EEEEEvT_jT0_jPNS7_10value_typeE.num_named_barrier, 0
	.set _ZN7rocprim17ROCPRIM_400000_NS6detail31init_lookback_scan_state_kernelINS1_19lookback_scan_stateIjLb1ELb1EEENS1_16block_id_wrapperIjLb0EEEEEvT_jT0_jPNS7_10value_typeE.private_seg_size, 0
	.set _ZN7rocprim17ROCPRIM_400000_NS6detail31init_lookback_scan_state_kernelINS1_19lookback_scan_stateIjLb1ELb1EEENS1_16block_id_wrapperIjLb0EEEEEvT_jT0_jPNS7_10value_typeE.uses_vcc, 1
	.set _ZN7rocprim17ROCPRIM_400000_NS6detail31init_lookback_scan_state_kernelINS1_19lookback_scan_stateIjLb1ELb1EEENS1_16block_id_wrapperIjLb0EEEEEvT_jT0_jPNS7_10value_typeE.uses_flat_scratch, 0
	.set _ZN7rocprim17ROCPRIM_400000_NS6detail31init_lookback_scan_state_kernelINS1_19lookback_scan_stateIjLb1ELb1EEENS1_16block_id_wrapperIjLb0EEEEEvT_jT0_jPNS7_10value_typeE.has_dyn_sized_stack, 0
	.set _ZN7rocprim17ROCPRIM_400000_NS6detail31init_lookback_scan_state_kernelINS1_19lookback_scan_stateIjLb1ELb1EEENS1_16block_id_wrapperIjLb0EEEEEvT_jT0_jPNS7_10value_typeE.has_recursion, 0
	.set _ZN7rocprim17ROCPRIM_400000_NS6detail31init_lookback_scan_state_kernelINS1_19lookback_scan_stateIjLb1ELb1EEENS1_16block_id_wrapperIjLb0EEEEEvT_jT0_jPNS7_10value_typeE.has_indirect_call, 0
	.section	.AMDGPU.csdata,"",@progbits
; Kernel info:
; codeLenInByte = 404
; TotalNumSgprs: 13
; NumVgprs: 5
; ScratchSize: 0
; MemoryBound: 0
; FloatMode: 240
; IeeeMode: 1
; LDSByteSize: 0 bytes/workgroup (compile time only)
; SGPRBlocks: 0
; VGPRBlocks: 0
; NumSGPRsForWavesPerEU: 13
; NumVGPRsForWavesPerEU: 5
; NamedBarCnt: 0
; Occupancy: 16
; WaveLimiterHint : 0
; COMPUTE_PGM_RSRC2:SCRATCH_EN: 0
; COMPUTE_PGM_RSRC2:USER_SGPR: 2
; COMPUTE_PGM_RSRC2:TRAP_HANDLER: 0
; COMPUTE_PGM_RSRC2:TGID_X_EN: 1
; COMPUTE_PGM_RSRC2:TGID_Y_EN: 0
; COMPUTE_PGM_RSRC2:TGID_Z_EN: 0
; COMPUTE_PGM_RSRC2:TIDIG_COMP_CNT: 0
	.section	.text._ZN7rocprim17ROCPRIM_400000_NS6detail17trampoline_kernelINS0_13select_configILj256ELj13ELNS0_17block_load_methodE3ELS4_3ELS4_3ELNS0_20block_scan_algorithmE0ELj4294967295EEENS1_25partition_config_selectorILNS1_17partition_subalgoE3EjNS0_10empty_typeEbEEZZNS1_14partition_implILS8_3ELb0ES6_jNS0_17counting_iteratorIjlEEPS9_SE_NS0_5tupleIJPjSE_EEENSF_IJSE_SE_EEES9_SG_JZNS1_25segmented_radix_sort_implINS0_14default_configELb1EPKhPhPKlPlN2at6native12_GLOBAL__N_18offset_tEEE10hipError_tPvRmT1_PNSt15iterator_traitsISY_E10value_typeET2_T3_PNSZ_IS14_E10value_typeET4_jRbjT5_S1A_jjP12ihipStream_tbEUljE_EEESV_SW_SX_S14_S18_S1A_T6_T7_T9_mT8_S1C_bDpT10_ENKUlT_T0_E_clISt17integral_constantIbLb1EES1O_IbLb0EEEEDaS1K_S1L_EUlS1K_E_NS1_11comp_targetILNS1_3genE0ELNS1_11target_archE4294967295ELNS1_3gpuE0ELNS1_3repE0EEENS1_30default_config_static_selectorELNS0_4arch9wavefront6targetE0EEEvSY_,"axG",@progbits,_ZN7rocprim17ROCPRIM_400000_NS6detail17trampoline_kernelINS0_13select_configILj256ELj13ELNS0_17block_load_methodE3ELS4_3ELS4_3ELNS0_20block_scan_algorithmE0ELj4294967295EEENS1_25partition_config_selectorILNS1_17partition_subalgoE3EjNS0_10empty_typeEbEEZZNS1_14partition_implILS8_3ELb0ES6_jNS0_17counting_iteratorIjlEEPS9_SE_NS0_5tupleIJPjSE_EEENSF_IJSE_SE_EEES9_SG_JZNS1_25segmented_radix_sort_implINS0_14default_configELb1EPKhPhPKlPlN2at6native12_GLOBAL__N_18offset_tEEE10hipError_tPvRmT1_PNSt15iterator_traitsISY_E10value_typeET2_T3_PNSZ_IS14_E10value_typeET4_jRbjT5_S1A_jjP12ihipStream_tbEUljE_EEESV_SW_SX_S14_S18_S1A_T6_T7_T9_mT8_S1C_bDpT10_ENKUlT_T0_E_clISt17integral_constantIbLb1EES1O_IbLb0EEEEDaS1K_S1L_EUlS1K_E_NS1_11comp_targetILNS1_3genE0ELNS1_11target_archE4294967295ELNS1_3gpuE0ELNS1_3repE0EEENS1_30default_config_static_selectorELNS0_4arch9wavefront6targetE0EEEvSY_,comdat
	.globl	_ZN7rocprim17ROCPRIM_400000_NS6detail17trampoline_kernelINS0_13select_configILj256ELj13ELNS0_17block_load_methodE3ELS4_3ELS4_3ELNS0_20block_scan_algorithmE0ELj4294967295EEENS1_25partition_config_selectorILNS1_17partition_subalgoE3EjNS0_10empty_typeEbEEZZNS1_14partition_implILS8_3ELb0ES6_jNS0_17counting_iteratorIjlEEPS9_SE_NS0_5tupleIJPjSE_EEENSF_IJSE_SE_EEES9_SG_JZNS1_25segmented_radix_sort_implINS0_14default_configELb1EPKhPhPKlPlN2at6native12_GLOBAL__N_18offset_tEEE10hipError_tPvRmT1_PNSt15iterator_traitsISY_E10value_typeET2_T3_PNSZ_IS14_E10value_typeET4_jRbjT5_S1A_jjP12ihipStream_tbEUljE_EEESV_SW_SX_S14_S18_S1A_T6_T7_T9_mT8_S1C_bDpT10_ENKUlT_T0_E_clISt17integral_constantIbLb1EES1O_IbLb0EEEEDaS1K_S1L_EUlS1K_E_NS1_11comp_targetILNS1_3genE0ELNS1_11target_archE4294967295ELNS1_3gpuE0ELNS1_3repE0EEENS1_30default_config_static_selectorELNS0_4arch9wavefront6targetE0EEEvSY_ ; -- Begin function _ZN7rocprim17ROCPRIM_400000_NS6detail17trampoline_kernelINS0_13select_configILj256ELj13ELNS0_17block_load_methodE3ELS4_3ELS4_3ELNS0_20block_scan_algorithmE0ELj4294967295EEENS1_25partition_config_selectorILNS1_17partition_subalgoE3EjNS0_10empty_typeEbEEZZNS1_14partition_implILS8_3ELb0ES6_jNS0_17counting_iteratorIjlEEPS9_SE_NS0_5tupleIJPjSE_EEENSF_IJSE_SE_EEES9_SG_JZNS1_25segmented_radix_sort_implINS0_14default_configELb1EPKhPhPKlPlN2at6native12_GLOBAL__N_18offset_tEEE10hipError_tPvRmT1_PNSt15iterator_traitsISY_E10value_typeET2_T3_PNSZ_IS14_E10value_typeET4_jRbjT5_S1A_jjP12ihipStream_tbEUljE_EEESV_SW_SX_S14_S18_S1A_T6_T7_T9_mT8_S1C_bDpT10_ENKUlT_T0_E_clISt17integral_constantIbLb1EES1O_IbLb0EEEEDaS1K_S1L_EUlS1K_E_NS1_11comp_targetILNS1_3genE0ELNS1_11target_archE4294967295ELNS1_3gpuE0ELNS1_3repE0EEENS1_30default_config_static_selectorELNS0_4arch9wavefront6targetE0EEEvSY_
	.p2align	8
	.type	_ZN7rocprim17ROCPRIM_400000_NS6detail17trampoline_kernelINS0_13select_configILj256ELj13ELNS0_17block_load_methodE3ELS4_3ELS4_3ELNS0_20block_scan_algorithmE0ELj4294967295EEENS1_25partition_config_selectorILNS1_17partition_subalgoE3EjNS0_10empty_typeEbEEZZNS1_14partition_implILS8_3ELb0ES6_jNS0_17counting_iteratorIjlEEPS9_SE_NS0_5tupleIJPjSE_EEENSF_IJSE_SE_EEES9_SG_JZNS1_25segmented_radix_sort_implINS0_14default_configELb1EPKhPhPKlPlN2at6native12_GLOBAL__N_18offset_tEEE10hipError_tPvRmT1_PNSt15iterator_traitsISY_E10value_typeET2_T3_PNSZ_IS14_E10value_typeET4_jRbjT5_S1A_jjP12ihipStream_tbEUljE_EEESV_SW_SX_S14_S18_S1A_T6_T7_T9_mT8_S1C_bDpT10_ENKUlT_T0_E_clISt17integral_constantIbLb1EES1O_IbLb0EEEEDaS1K_S1L_EUlS1K_E_NS1_11comp_targetILNS1_3genE0ELNS1_11target_archE4294967295ELNS1_3gpuE0ELNS1_3repE0EEENS1_30default_config_static_selectorELNS0_4arch9wavefront6targetE0EEEvSY_,@function
_ZN7rocprim17ROCPRIM_400000_NS6detail17trampoline_kernelINS0_13select_configILj256ELj13ELNS0_17block_load_methodE3ELS4_3ELS4_3ELNS0_20block_scan_algorithmE0ELj4294967295EEENS1_25partition_config_selectorILNS1_17partition_subalgoE3EjNS0_10empty_typeEbEEZZNS1_14partition_implILS8_3ELb0ES6_jNS0_17counting_iteratorIjlEEPS9_SE_NS0_5tupleIJPjSE_EEENSF_IJSE_SE_EEES9_SG_JZNS1_25segmented_radix_sort_implINS0_14default_configELb1EPKhPhPKlPlN2at6native12_GLOBAL__N_18offset_tEEE10hipError_tPvRmT1_PNSt15iterator_traitsISY_E10value_typeET2_T3_PNSZ_IS14_E10value_typeET4_jRbjT5_S1A_jjP12ihipStream_tbEUljE_EEESV_SW_SX_S14_S18_S1A_T6_T7_T9_mT8_S1C_bDpT10_ENKUlT_T0_E_clISt17integral_constantIbLb1EES1O_IbLb0EEEEDaS1K_S1L_EUlS1K_E_NS1_11comp_targetILNS1_3genE0ELNS1_11target_archE4294967295ELNS1_3gpuE0ELNS1_3repE0EEENS1_30default_config_static_selectorELNS0_4arch9wavefront6targetE0EEEvSY_: ; @_ZN7rocprim17ROCPRIM_400000_NS6detail17trampoline_kernelINS0_13select_configILj256ELj13ELNS0_17block_load_methodE3ELS4_3ELS4_3ELNS0_20block_scan_algorithmE0ELj4294967295EEENS1_25partition_config_selectorILNS1_17partition_subalgoE3EjNS0_10empty_typeEbEEZZNS1_14partition_implILS8_3ELb0ES6_jNS0_17counting_iteratorIjlEEPS9_SE_NS0_5tupleIJPjSE_EEENSF_IJSE_SE_EEES9_SG_JZNS1_25segmented_radix_sort_implINS0_14default_configELb1EPKhPhPKlPlN2at6native12_GLOBAL__N_18offset_tEEE10hipError_tPvRmT1_PNSt15iterator_traitsISY_E10value_typeET2_T3_PNSZ_IS14_E10value_typeET4_jRbjT5_S1A_jjP12ihipStream_tbEUljE_EEESV_SW_SX_S14_S18_S1A_T6_T7_T9_mT8_S1C_bDpT10_ENKUlT_T0_E_clISt17integral_constantIbLb1EES1O_IbLb0EEEEDaS1K_S1L_EUlS1K_E_NS1_11comp_targetILNS1_3genE0ELNS1_11target_archE4294967295ELNS1_3gpuE0ELNS1_3repE0EEENS1_30default_config_static_selectorELNS0_4arch9wavefront6targetE0EEEvSY_
; %bb.0:
	s_endpgm
	.section	.rodata,"a",@progbits
	.p2align	6, 0x0
	.amdhsa_kernel _ZN7rocprim17ROCPRIM_400000_NS6detail17trampoline_kernelINS0_13select_configILj256ELj13ELNS0_17block_load_methodE3ELS4_3ELS4_3ELNS0_20block_scan_algorithmE0ELj4294967295EEENS1_25partition_config_selectorILNS1_17partition_subalgoE3EjNS0_10empty_typeEbEEZZNS1_14partition_implILS8_3ELb0ES6_jNS0_17counting_iteratorIjlEEPS9_SE_NS0_5tupleIJPjSE_EEENSF_IJSE_SE_EEES9_SG_JZNS1_25segmented_radix_sort_implINS0_14default_configELb1EPKhPhPKlPlN2at6native12_GLOBAL__N_18offset_tEEE10hipError_tPvRmT1_PNSt15iterator_traitsISY_E10value_typeET2_T3_PNSZ_IS14_E10value_typeET4_jRbjT5_S1A_jjP12ihipStream_tbEUljE_EEESV_SW_SX_S14_S18_S1A_T6_T7_T9_mT8_S1C_bDpT10_ENKUlT_T0_E_clISt17integral_constantIbLb1EES1O_IbLb0EEEEDaS1K_S1L_EUlS1K_E_NS1_11comp_targetILNS1_3genE0ELNS1_11target_archE4294967295ELNS1_3gpuE0ELNS1_3repE0EEENS1_30default_config_static_selectorELNS0_4arch9wavefront6targetE0EEEvSY_
		.amdhsa_group_segment_fixed_size 0
		.amdhsa_private_segment_fixed_size 0
		.amdhsa_kernarg_size 144
		.amdhsa_user_sgpr_count 2
		.amdhsa_user_sgpr_dispatch_ptr 0
		.amdhsa_user_sgpr_queue_ptr 0
		.amdhsa_user_sgpr_kernarg_segment_ptr 1
		.amdhsa_user_sgpr_dispatch_id 0
		.amdhsa_user_sgpr_kernarg_preload_length 0
		.amdhsa_user_sgpr_kernarg_preload_offset 0
		.amdhsa_user_sgpr_private_segment_size 0
		.amdhsa_wavefront_size32 1
		.amdhsa_uses_dynamic_stack 0
		.amdhsa_enable_private_segment 0
		.amdhsa_system_sgpr_workgroup_id_x 1
		.amdhsa_system_sgpr_workgroup_id_y 0
		.amdhsa_system_sgpr_workgroup_id_z 0
		.amdhsa_system_sgpr_workgroup_info 0
		.amdhsa_system_vgpr_workitem_id 0
		.amdhsa_next_free_vgpr 1
		.amdhsa_next_free_sgpr 1
		.amdhsa_named_barrier_count 0
		.amdhsa_reserve_vcc 0
		.amdhsa_float_round_mode_32 0
		.amdhsa_float_round_mode_16_64 0
		.amdhsa_float_denorm_mode_32 3
		.amdhsa_float_denorm_mode_16_64 3
		.amdhsa_fp16_overflow 0
		.amdhsa_memory_ordered 1
		.amdhsa_forward_progress 1
		.amdhsa_inst_pref_size 1
		.amdhsa_round_robin_scheduling 0
		.amdhsa_exception_fp_ieee_invalid_op 0
		.amdhsa_exception_fp_denorm_src 0
		.amdhsa_exception_fp_ieee_div_zero 0
		.amdhsa_exception_fp_ieee_overflow 0
		.amdhsa_exception_fp_ieee_underflow 0
		.amdhsa_exception_fp_ieee_inexact 0
		.amdhsa_exception_int_div_zero 0
	.end_amdhsa_kernel
	.section	.text._ZN7rocprim17ROCPRIM_400000_NS6detail17trampoline_kernelINS0_13select_configILj256ELj13ELNS0_17block_load_methodE3ELS4_3ELS4_3ELNS0_20block_scan_algorithmE0ELj4294967295EEENS1_25partition_config_selectorILNS1_17partition_subalgoE3EjNS0_10empty_typeEbEEZZNS1_14partition_implILS8_3ELb0ES6_jNS0_17counting_iteratorIjlEEPS9_SE_NS0_5tupleIJPjSE_EEENSF_IJSE_SE_EEES9_SG_JZNS1_25segmented_radix_sort_implINS0_14default_configELb1EPKhPhPKlPlN2at6native12_GLOBAL__N_18offset_tEEE10hipError_tPvRmT1_PNSt15iterator_traitsISY_E10value_typeET2_T3_PNSZ_IS14_E10value_typeET4_jRbjT5_S1A_jjP12ihipStream_tbEUljE_EEESV_SW_SX_S14_S18_S1A_T6_T7_T9_mT8_S1C_bDpT10_ENKUlT_T0_E_clISt17integral_constantIbLb1EES1O_IbLb0EEEEDaS1K_S1L_EUlS1K_E_NS1_11comp_targetILNS1_3genE0ELNS1_11target_archE4294967295ELNS1_3gpuE0ELNS1_3repE0EEENS1_30default_config_static_selectorELNS0_4arch9wavefront6targetE0EEEvSY_,"axG",@progbits,_ZN7rocprim17ROCPRIM_400000_NS6detail17trampoline_kernelINS0_13select_configILj256ELj13ELNS0_17block_load_methodE3ELS4_3ELS4_3ELNS0_20block_scan_algorithmE0ELj4294967295EEENS1_25partition_config_selectorILNS1_17partition_subalgoE3EjNS0_10empty_typeEbEEZZNS1_14partition_implILS8_3ELb0ES6_jNS0_17counting_iteratorIjlEEPS9_SE_NS0_5tupleIJPjSE_EEENSF_IJSE_SE_EEES9_SG_JZNS1_25segmented_radix_sort_implINS0_14default_configELb1EPKhPhPKlPlN2at6native12_GLOBAL__N_18offset_tEEE10hipError_tPvRmT1_PNSt15iterator_traitsISY_E10value_typeET2_T3_PNSZ_IS14_E10value_typeET4_jRbjT5_S1A_jjP12ihipStream_tbEUljE_EEESV_SW_SX_S14_S18_S1A_T6_T7_T9_mT8_S1C_bDpT10_ENKUlT_T0_E_clISt17integral_constantIbLb1EES1O_IbLb0EEEEDaS1K_S1L_EUlS1K_E_NS1_11comp_targetILNS1_3genE0ELNS1_11target_archE4294967295ELNS1_3gpuE0ELNS1_3repE0EEENS1_30default_config_static_selectorELNS0_4arch9wavefront6targetE0EEEvSY_,comdat
.Lfunc_end66:
	.size	_ZN7rocprim17ROCPRIM_400000_NS6detail17trampoline_kernelINS0_13select_configILj256ELj13ELNS0_17block_load_methodE3ELS4_3ELS4_3ELNS0_20block_scan_algorithmE0ELj4294967295EEENS1_25partition_config_selectorILNS1_17partition_subalgoE3EjNS0_10empty_typeEbEEZZNS1_14partition_implILS8_3ELb0ES6_jNS0_17counting_iteratorIjlEEPS9_SE_NS0_5tupleIJPjSE_EEENSF_IJSE_SE_EEES9_SG_JZNS1_25segmented_radix_sort_implINS0_14default_configELb1EPKhPhPKlPlN2at6native12_GLOBAL__N_18offset_tEEE10hipError_tPvRmT1_PNSt15iterator_traitsISY_E10value_typeET2_T3_PNSZ_IS14_E10value_typeET4_jRbjT5_S1A_jjP12ihipStream_tbEUljE_EEESV_SW_SX_S14_S18_S1A_T6_T7_T9_mT8_S1C_bDpT10_ENKUlT_T0_E_clISt17integral_constantIbLb1EES1O_IbLb0EEEEDaS1K_S1L_EUlS1K_E_NS1_11comp_targetILNS1_3genE0ELNS1_11target_archE4294967295ELNS1_3gpuE0ELNS1_3repE0EEENS1_30default_config_static_selectorELNS0_4arch9wavefront6targetE0EEEvSY_, .Lfunc_end66-_ZN7rocprim17ROCPRIM_400000_NS6detail17trampoline_kernelINS0_13select_configILj256ELj13ELNS0_17block_load_methodE3ELS4_3ELS4_3ELNS0_20block_scan_algorithmE0ELj4294967295EEENS1_25partition_config_selectorILNS1_17partition_subalgoE3EjNS0_10empty_typeEbEEZZNS1_14partition_implILS8_3ELb0ES6_jNS0_17counting_iteratorIjlEEPS9_SE_NS0_5tupleIJPjSE_EEENSF_IJSE_SE_EEES9_SG_JZNS1_25segmented_radix_sort_implINS0_14default_configELb1EPKhPhPKlPlN2at6native12_GLOBAL__N_18offset_tEEE10hipError_tPvRmT1_PNSt15iterator_traitsISY_E10value_typeET2_T3_PNSZ_IS14_E10value_typeET4_jRbjT5_S1A_jjP12ihipStream_tbEUljE_EEESV_SW_SX_S14_S18_S1A_T6_T7_T9_mT8_S1C_bDpT10_ENKUlT_T0_E_clISt17integral_constantIbLb1EES1O_IbLb0EEEEDaS1K_S1L_EUlS1K_E_NS1_11comp_targetILNS1_3genE0ELNS1_11target_archE4294967295ELNS1_3gpuE0ELNS1_3repE0EEENS1_30default_config_static_selectorELNS0_4arch9wavefront6targetE0EEEvSY_
                                        ; -- End function
	.set _ZN7rocprim17ROCPRIM_400000_NS6detail17trampoline_kernelINS0_13select_configILj256ELj13ELNS0_17block_load_methodE3ELS4_3ELS4_3ELNS0_20block_scan_algorithmE0ELj4294967295EEENS1_25partition_config_selectorILNS1_17partition_subalgoE3EjNS0_10empty_typeEbEEZZNS1_14partition_implILS8_3ELb0ES6_jNS0_17counting_iteratorIjlEEPS9_SE_NS0_5tupleIJPjSE_EEENSF_IJSE_SE_EEES9_SG_JZNS1_25segmented_radix_sort_implINS0_14default_configELb1EPKhPhPKlPlN2at6native12_GLOBAL__N_18offset_tEEE10hipError_tPvRmT1_PNSt15iterator_traitsISY_E10value_typeET2_T3_PNSZ_IS14_E10value_typeET4_jRbjT5_S1A_jjP12ihipStream_tbEUljE_EEESV_SW_SX_S14_S18_S1A_T6_T7_T9_mT8_S1C_bDpT10_ENKUlT_T0_E_clISt17integral_constantIbLb1EES1O_IbLb0EEEEDaS1K_S1L_EUlS1K_E_NS1_11comp_targetILNS1_3genE0ELNS1_11target_archE4294967295ELNS1_3gpuE0ELNS1_3repE0EEENS1_30default_config_static_selectorELNS0_4arch9wavefront6targetE0EEEvSY_.num_vgpr, 0
	.set _ZN7rocprim17ROCPRIM_400000_NS6detail17trampoline_kernelINS0_13select_configILj256ELj13ELNS0_17block_load_methodE3ELS4_3ELS4_3ELNS0_20block_scan_algorithmE0ELj4294967295EEENS1_25partition_config_selectorILNS1_17partition_subalgoE3EjNS0_10empty_typeEbEEZZNS1_14partition_implILS8_3ELb0ES6_jNS0_17counting_iteratorIjlEEPS9_SE_NS0_5tupleIJPjSE_EEENSF_IJSE_SE_EEES9_SG_JZNS1_25segmented_radix_sort_implINS0_14default_configELb1EPKhPhPKlPlN2at6native12_GLOBAL__N_18offset_tEEE10hipError_tPvRmT1_PNSt15iterator_traitsISY_E10value_typeET2_T3_PNSZ_IS14_E10value_typeET4_jRbjT5_S1A_jjP12ihipStream_tbEUljE_EEESV_SW_SX_S14_S18_S1A_T6_T7_T9_mT8_S1C_bDpT10_ENKUlT_T0_E_clISt17integral_constantIbLb1EES1O_IbLb0EEEEDaS1K_S1L_EUlS1K_E_NS1_11comp_targetILNS1_3genE0ELNS1_11target_archE4294967295ELNS1_3gpuE0ELNS1_3repE0EEENS1_30default_config_static_selectorELNS0_4arch9wavefront6targetE0EEEvSY_.num_agpr, 0
	.set _ZN7rocprim17ROCPRIM_400000_NS6detail17trampoline_kernelINS0_13select_configILj256ELj13ELNS0_17block_load_methodE3ELS4_3ELS4_3ELNS0_20block_scan_algorithmE0ELj4294967295EEENS1_25partition_config_selectorILNS1_17partition_subalgoE3EjNS0_10empty_typeEbEEZZNS1_14partition_implILS8_3ELb0ES6_jNS0_17counting_iteratorIjlEEPS9_SE_NS0_5tupleIJPjSE_EEENSF_IJSE_SE_EEES9_SG_JZNS1_25segmented_radix_sort_implINS0_14default_configELb1EPKhPhPKlPlN2at6native12_GLOBAL__N_18offset_tEEE10hipError_tPvRmT1_PNSt15iterator_traitsISY_E10value_typeET2_T3_PNSZ_IS14_E10value_typeET4_jRbjT5_S1A_jjP12ihipStream_tbEUljE_EEESV_SW_SX_S14_S18_S1A_T6_T7_T9_mT8_S1C_bDpT10_ENKUlT_T0_E_clISt17integral_constantIbLb1EES1O_IbLb0EEEEDaS1K_S1L_EUlS1K_E_NS1_11comp_targetILNS1_3genE0ELNS1_11target_archE4294967295ELNS1_3gpuE0ELNS1_3repE0EEENS1_30default_config_static_selectorELNS0_4arch9wavefront6targetE0EEEvSY_.numbered_sgpr, 0
	.set _ZN7rocprim17ROCPRIM_400000_NS6detail17trampoline_kernelINS0_13select_configILj256ELj13ELNS0_17block_load_methodE3ELS4_3ELS4_3ELNS0_20block_scan_algorithmE0ELj4294967295EEENS1_25partition_config_selectorILNS1_17partition_subalgoE3EjNS0_10empty_typeEbEEZZNS1_14partition_implILS8_3ELb0ES6_jNS0_17counting_iteratorIjlEEPS9_SE_NS0_5tupleIJPjSE_EEENSF_IJSE_SE_EEES9_SG_JZNS1_25segmented_radix_sort_implINS0_14default_configELb1EPKhPhPKlPlN2at6native12_GLOBAL__N_18offset_tEEE10hipError_tPvRmT1_PNSt15iterator_traitsISY_E10value_typeET2_T3_PNSZ_IS14_E10value_typeET4_jRbjT5_S1A_jjP12ihipStream_tbEUljE_EEESV_SW_SX_S14_S18_S1A_T6_T7_T9_mT8_S1C_bDpT10_ENKUlT_T0_E_clISt17integral_constantIbLb1EES1O_IbLb0EEEEDaS1K_S1L_EUlS1K_E_NS1_11comp_targetILNS1_3genE0ELNS1_11target_archE4294967295ELNS1_3gpuE0ELNS1_3repE0EEENS1_30default_config_static_selectorELNS0_4arch9wavefront6targetE0EEEvSY_.num_named_barrier, 0
	.set _ZN7rocprim17ROCPRIM_400000_NS6detail17trampoline_kernelINS0_13select_configILj256ELj13ELNS0_17block_load_methodE3ELS4_3ELS4_3ELNS0_20block_scan_algorithmE0ELj4294967295EEENS1_25partition_config_selectorILNS1_17partition_subalgoE3EjNS0_10empty_typeEbEEZZNS1_14partition_implILS8_3ELb0ES6_jNS0_17counting_iteratorIjlEEPS9_SE_NS0_5tupleIJPjSE_EEENSF_IJSE_SE_EEES9_SG_JZNS1_25segmented_radix_sort_implINS0_14default_configELb1EPKhPhPKlPlN2at6native12_GLOBAL__N_18offset_tEEE10hipError_tPvRmT1_PNSt15iterator_traitsISY_E10value_typeET2_T3_PNSZ_IS14_E10value_typeET4_jRbjT5_S1A_jjP12ihipStream_tbEUljE_EEESV_SW_SX_S14_S18_S1A_T6_T7_T9_mT8_S1C_bDpT10_ENKUlT_T0_E_clISt17integral_constantIbLb1EES1O_IbLb0EEEEDaS1K_S1L_EUlS1K_E_NS1_11comp_targetILNS1_3genE0ELNS1_11target_archE4294967295ELNS1_3gpuE0ELNS1_3repE0EEENS1_30default_config_static_selectorELNS0_4arch9wavefront6targetE0EEEvSY_.private_seg_size, 0
	.set _ZN7rocprim17ROCPRIM_400000_NS6detail17trampoline_kernelINS0_13select_configILj256ELj13ELNS0_17block_load_methodE3ELS4_3ELS4_3ELNS0_20block_scan_algorithmE0ELj4294967295EEENS1_25partition_config_selectorILNS1_17partition_subalgoE3EjNS0_10empty_typeEbEEZZNS1_14partition_implILS8_3ELb0ES6_jNS0_17counting_iteratorIjlEEPS9_SE_NS0_5tupleIJPjSE_EEENSF_IJSE_SE_EEES9_SG_JZNS1_25segmented_radix_sort_implINS0_14default_configELb1EPKhPhPKlPlN2at6native12_GLOBAL__N_18offset_tEEE10hipError_tPvRmT1_PNSt15iterator_traitsISY_E10value_typeET2_T3_PNSZ_IS14_E10value_typeET4_jRbjT5_S1A_jjP12ihipStream_tbEUljE_EEESV_SW_SX_S14_S18_S1A_T6_T7_T9_mT8_S1C_bDpT10_ENKUlT_T0_E_clISt17integral_constantIbLb1EES1O_IbLb0EEEEDaS1K_S1L_EUlS1K_E_NS1_11comp_targetILNS1_3genE0ELNS1_11target_archE4294967295ELNS1_3gpuE0ELNS1_3repE0EEENS1_30default_config_static_selectorELNS0_4arch9wavefront6targetE0EEEvSY_.uses_vcc, 0
	.set _ZN7rocprim17ROCPRIM_400000_NS6detail17trampoline_kernelINS0_13select_configILj256ELj13ELNS0_17block_load_methodE3ELS4_3ELS4_3ELNS0_20block_scan_algorithmE0ELj4294967295EEENS1_25partition_config_selectorILNS1_17partition_subalgoE3EjNS0_10empty_typeEbEEZZNS1_14partition_implILS8_3ELb0ES6_jNS0_17counting_iteratorIjlEEPS9_SE_NS0_5tupleIJPjSE_EEENSF_IJSE_SE_EEES9_SG_JZNS1_25segmented_radix_sort_implINS0_14default_configELb1EPKhPhPKlPlN2at6native12_GLOBAL__N_18offset_tEEE10hipError_tPvRmT1_PNSt15iterator_traitsISY_E10value_typeET2_T3_PNSZ_IS14_E10value_typeET4_jRbjT5_S1A_jjP12ihipStream_tbEUljE_EEESV_SW_SX_S14_S18_S1A_T6_T7_T9_mT8_S1C_bDpT10_ENKUlT_T0_E_clISt17integral_constantIbLb1EES1O_IbLb0EEEEDaS1K_S1L_EUlS1K_E_NS1_11comp_targetILNS1_3genE0ELNS1_11target_archE4294967295ELNS1_3gpuE0ELNS1_3repE0EEENS1_30default_config_static_selectorELNS0_4arch9wavefront6targetE0EEEvSY_.uses_flat_scratch, 0
	.set _ZN7rocprim17ROCPRIM_400000_NS6detail17trampoline_kernelINS0_13select_configILj256ELj13ELNS0_17block_load_methodE3ELS4_3ELS4_3ELNS0_20block_scan_algorithmE0ELj4294967295EEENS1_25partition_config_selectorILNS1_17partition_subalgoE3EjNS0_10empty_typeEbEEZZNS1_14partition_implILS8_3ELb0ES6_jNS0_17counting_iteratorIjlEEPS9_SE_NS0_5tupleIJPjSE_EEENSF_IJSE_SE_EEES9_SG_JZNS1_25segmented_radix_sort_implINS0_14default_configELb1EPKhPhPKlPlN2at6native12_GLOBAL__N_18offset_tEEE10hipError_tPvRmT1_PNSt15iterator_traitsISY_E10value_typeET2_T3_PNSZ_IS14_E10value_typeET4_jRbjT5_S1A_jjP12ihipStream_tbEUljE_EEESV_SW_SX_S14_S18_S1A_T6_T7_T9_mT8_S1C_bDpT10_ENKUlT_T0_E_clISt17integral_constantIbLb1EES1O_IbLb0EEEEDaS1K_S1L_EUlS1K_E_NS1_11comp_targetILNS1_3genE0ELNS1_11target_archE4294967295ELNS1_3gpuE0ELNS1_3repE0EEENS1_30default_config_static_selectorELNS0_4arch9wavefront6targetE0EEEvSY_.has_dyn_sized_stack, 0
	.set _ZN7rocprim17ROCPRIM_400000_NS6detail17trampoline_kernelINS0_13select_configILj256ELj13ELNS0_17block_load_methodE3ELS4_3ELS4_3ELNS0_20block_scan_algorithmE0ELj4294967295EEENS1_25partition_config_selectorILNS1_17partition_subalgoE3EjNS0_10empty_typeEbEEZZNS1_14partition_implILS8_3ELb0ES6_jNS0_17counting_iteratorIjlEEPS9_SE_NS0_5tupleIJPjSE_EEENSF_IJSE_SE_EEES9_SG_JZNS1_25segmented_radix_sort_implINS0_14default_configELb1EPKhPhPKlPlN2at6native12_GLOBAL__N_18offset_tEEE10hipError_tPvRmT1_PNSt15iterator_traitsISY_E10value_typeET2_T3_PNSZ_IS14_E10value_typeET4_jRbjT5_S1A_jjP12ihipStream_tbEUljE_EEESV_SW_SX_S14_S18_S1A_T6_T7_T9_mT8_S1C_bDpT10_ENKUlT_T0_E_clISt17integral_constantIbLb1EES1O_IbLb0EEEEDaS1K_S1L_EUlS1K_E_NS1_11comp_targetILNS1_3genE0ELNS1_11target_archE4294967295ELNS1_3gpuE0ELNS1_3repE0EEENS1_30default_config_static_selectorELNS0_4arch9wavefront6targetE0EEEvSY_.has_recursion, 0
	.set _ZN7rocprim17ROCPRIM_400000_NS6detail17trampoline_kernelINS0_13select_configILj256ELj13ELNS0_17block_load_methodE3ELS4_3ELS4_3ELNS0_20block_scan_algorithmE0ELj4294967295EEENS1_25partition_config_selectorILNS1_17partition_subalgoE3EjNS0_10empty_typeEbEEZZNS1_14partition_implILS8_3ELb0ES6_jNS0_17counting_iteratorIjlEEPS9_SE_NS0_5tupleIJPjSE_EEENSF_IJSE_SE_EEES9_SG_JZNS1_25segmented_radix_sort_implINS0_14default_configELb1EPKhPhPKlPlN2at6native12_GLOBAL__N_18offset_tEEE10hipError_tPvRmT1_PNSt15iterator_traitsISY_E10value_typeET2_T3_PNSZ_IS14_E10value_typeET4_jRbjT5_S1A_jjP12ihipStream_tbEUljE_EEESV_SW_SX_S14_S18_S1A_T6_T7_T9_mT8_S1C_bDpT10_ENKUlT_T0_E_clISt17integral_constantIbLb1EES1O_IbLb0EEEEDaS1K_S1L_EUlS1K_E_NS1_11comp_targetILNS1_3genE0ELNS1_11target_archE4294967295ELNS1_3gpuE0ELNS1_3repE0EEENS1_30default_config_static_selectorELNS0_4arch9wavefront6targetE0EEEvSY_.has_indirect_call, 0
	.section	.AMDGPU.csdata,"",@progbits
; Kernel info:
; codeLenInByte = 4
; TotalNumSgprs: 0
; NumVgprs: 0
; ScratchSize: 0
; MemoryBound: 0
; FloatMode: 240
; IeeeMode: 1
; LDSByteSize: 0 bytes/workgroup (compile time only)
; SGPRBlocks: 0
; VGPRBlocks: 0
; NumSGPRsForWavesPerEU: 1
; NumVGPRsForWavesPerEU: 1
; NamedBarCnt: 0
; Occupancy: 16
; WaveLimiterHint : 0
; COMPUTE_PGM_RSRC2:SCRATCH_EN: 0
; COMPUTE_PGM_RSRC2:USER_SGPR: 2
; COMPUTE_PGM_RSRC2:TRAP_HANDLER: 0
; COMPUTE_PGM_RSRC2:TGID_X_EN: 1
; COMPUTE_PGM_RSRC2:TGID_Y_EN: 0
; COMPUTE_PGM_RSRC2:TGID_Z_EN: 0
; COMPUTE_PGM_RSRC2:TIDIG_COMP_CNT: 0
	.section	.text._ZN7rocprim17ROCPRIM_400000_NS6detail17trampoline_kernelINS0_13select_configILj256ELj13ELNS0_17block_load_methodE3ELS4_3ELS4_3ELNS0_20block_scan_algorithmE0ELj4294967295EEENS1_25partition_config_selectorILNS1_17partition_subalgoE3EjNS0_10empty_typeEbEEZZNS1_14partition_implILS8_3ELb0ES6_jNS0_17counting_iteratorIjlEEPS9_SE_NS0_5tupleIJPjSE_EEENSF_IJSE_SE_EEES9_SG_JZNS1_25segmented_radix_sort_implINS0_14default_configELb1EPKhPhPKlPlN2at6native12_GLOBAL__N_18offset_tEEE10hipError_tPvRmT1_PNSt15iterator_traitsISY_E10value_typeET2_T3_PNSZ_IS14_E10value_typeET4_jRbjT5_S1A_jjP12ihipStream_tbEUljE_EEESV_SW_SX_S14_S18_S1A_T6_T7_T9_mT8_S1C_bDpT10_ENKUlT_T0_E_clISt17integral_constantIbLb1EES1O_IbLb0EEEEDaS1K_S1L_EUlS1K_E_NS1_11comp_targetILNS1_3genE5ELNS1_11target_archE942ELNS1_3gpuE9ELNS1_3repE0EEENS1_30default_config_static_selectorELNS0_4arch9wavefront6targetE0EEEvSY_,"axG",@progbits,_ZN7rocprim17ROCPRIM_400000_NS6detail17trampoline_kernelINS0_13select_configILj256ELj13ELNS0_17block_load_methodE3ELS4_3ELS4_3ELNS0_20block_scan_algorithmE0ELj4294967295EEENS1_25partition_config_selectorILNS1_17partition_subalgoE3EjNS0_10empty_typeEbEEZZNS1_14partition_implILS8_3ELb0ES6_jNS0_17counting_iteratorIjlEEPS9_SE_NS0_5tupleIJPjSE_EEENSF_IJSE_SE_EEES9_SG_JZNS1_25segmented_radix_sort_implINS0_14default_configELb1EPKhPhPKlPlN2at6native12_GLOBAL__N_18offset_tEEE10hipError_tPvRmT1_PNSt15iterator_traitsISY_E10value_typeET2_T3_PNSZ_IS14_E10value_typeET4_jRbjT5_S1A_jjP12ihipStream_tbEUljE_EEESV_SW_SX_S14_S18_S1A_T6_T7_T9_mT8_S1C_bDpT10_ENKUlT_T0_E_clISt17integral_constantIbLb1EES1O_IbLb0EEEEDaS1K_S1L_EUlS1K_E_NS1_11comp_targetILNS1_3genE5ELNS1_11target_archE942ELNS1_3gpuE9ELNS1_3repE0EEENS1_30default_config_static_selectorELNS0_4arch9wavefront6targetE0EEEvSY_,comdat
	.globl	_ZN7rocprim17ROCPRIM_400000_NS6detail17trampoline_kernelINS0_13select_configILj256ELj13ELNS0_17block_load_methodE3ELS4_3ELS4_3ELNS0_20block_scan_algorithmE0ELj4294967295EEENS1_25partition_config_selectorILNS1_17partition_subalgoE3EjNS0_10empty_typeEbEEZZNS1_14partition_implILS8_3ELb0ES6_jNS0_17counting_iteratorIjlEEPS9_SE_NS0_5tupleIJPjSE_EEENSF_IJSE_SE_EEES9_SG_JZNS1_25segmented_radix_sort_implINS0_14default_configELb1EPKhPhPKlPlN2at6native12_GLOBAL__N_18offset_tEEE10hipError_tPvRmT1_PNSt15iterator_traitsISY_E10value_typeET2_T3_PNSZ_IS14_E10value_typeET4_jRbjT5_S1A_jjP12ihipStream_tbEUljE_EEESV_SW_SX_S14_S18_S1A_T6_T7_T9_mT8_S1C_bDpT10_ENKUlT_T0_E_clISt17integral_constantIbLb1EES1O_IbLb0EEEEDaS1K_S1L_EUlS1K_E_NS1_11comp_targetILNS1_3genE5ELNS1_11target_archE942ELNS1_3gpuE9ELNS1_3repE0EEENS1_30default_config_static_selectorELNS0_4arch9wavefront6targetE0EEEvSY_ ; -- Begin function _ZN7rocprim17ROCPRIM_400000_NS6detail17trampoline_kernelINS0_13select_configILj256ELj13ELNS0_17block_load_methodE3ELS4_3ELS4_3ELNS0_20block_scan_algorithmE0ELj4294967295EEENS1_25partition_config_selectorILNS1_17partition_subalgoE3EjNS0_10empty_typeEbEEZZNS1_14partition_implILS8_3ELb0ES6_jNS0_17counting_iteratorIjlEEPS9_SE_NS0_5tupleIJPjSE_EEENSF_IJSE_SE_EEES9_SG_JZNS1_25segmented_radix_sort_implINS0_14default_configELb1EPKhPhPKlPlN2at6native12_GLOBAL__N_18offset_tEEE10hipError_tPvRmT1_PNSt15iterator_traitsISY_E10value_typeET2_T3_PNSZ_IS14_E10value_typeET4_jRbjT5_S1A_jjP12ihipStream_tbEUljE_EEESV_SW_SX_S14_S18_S1A_T6_T7_T9_mT8_S1C_bDpT10_ENKUlT_T0_E_clISt17integral_constantIbLb1EES1O_IbLb0EEEEDaS1K_S1L_EUlS1K_E_NS1_11comp_targetILNS1_3genE5ELNS1_11target_archE942ELNS1_3gpuE9ELNS1_3repE0EEENS1_30default_config_static_selectorELNS0_4arch9wavefront6targetE0EEEvSY_
	.p2align	8
	.type	_ZN7rocprim17ROCPRIM_400000_NS6detail17trampoline_kernelINS0_13select_configILj256ELj13ELNS0_17block_load_methodE3ELS4_3ELS4_3ELNS0_20block_scan_algorithmE0ELj4294967295EEENS1_25partition_config_selectorILNS1_17partition_subalgoE3EjNS0_10empty_typeEbEEZZNS1_14partition_implILS8_3ELb0ES6_jNS0_17counting_iteratorIjlEEPS9_SE_NS0_5tupleIJPjSE_EEENSF_IJSE_SE_EEES9_SG_JZNS1_25segmented_radix_sort_implINS0_14default_configELb1EPKhPhPKlPlN2at6native12_GLOBAL__N_18offset_tEEE10hipError_tPvRmT1_PNSt15iterator_traitsISY_E10value_typeET2_T3_PNSZ_IS14_E10value_typeET4_jRbjT5_S1A_jjP12ihipStream_tbEUljE_EEESV_SW_SX_S14_S18_S1A_T6_T7_T9_mT8_S1C_bDpT10_ENKUlT_T0_E_clISt17integral_constantIbLb1EES1O_IbLb0EEEEDaS1K_S1L_EUlS1K_E_NS1_11comp_targetILNS1_3genE5ELNS1_11target_archE942ELNS1_3gpuE9ELNS1_3repE0EEENS1_30default_config_static_selectorELNS0_4arch9wavefront6targetE0EEEvSY_,@function
_ZN7rocprim17ROCPRIM_400000_NS6detail17trampoline_kernelINS0_13select_configILj256ELj13ELNS0_17block_load_methodE3ELS4_3ELS4_3ELNS0_20block_scan_algorithmE0ELj4294967295EEENS1_25partition_config_selectorILNS1_17partition_subalgoE3EjNS0_10empty_typeEbEEZZNS1_14partition_implILS8_3ELb0ES6_jNS0_17counting_iteratorIjlEEPS9_SE_NS0_5tupleIJPjSE_EEENSF_IJSE_SE_EEES9_SG_JZNS1_25segmented_radix_sort_implINS0_14default_configELb1EPKhPhPKlPlN2at6native12_GLOBAL__N_18offset_tEEE10hipError_tPvRmT1_PNSt15iterator_traitsISY_E10value_typeET2_T3_PNSZ_IS14_E10value_typeET4_jRbjT5_S1A_jjP12ihipStream_tbEUljE_EEESV_SW_SX_S14_S18_S1A_T6_T7_T9_mT8_S1C_bDpT10_ENKUlT_T0_E_clISt17integral_constantIbLb1EES1O_IbLb0EEEEDaS1K_S1L_EUlS1K_E_NS1_11comp_targetILNS1_3genE5ELNS1_11target_archE942ELNS1_3gpuE9ELNS1_3repE0EEENS1_30default_config_static_selectorELNS0_4arch9wavefront6targetE0EEEvSY_: ; @_ZN7rocprim17ROCPRIM_400000_NS6detail17trampoline_kernelINS0_13select_configILj256ELj13ELNS0_17block_load_methodE3ELS4_3ELS4_3ELNS0_20block_scan_algorithmE0ELj4294967295EEENS1_25partition_config_selectorILNS1_17partition_subalgoE3EjNS0_10empty_typeEbEEZZNS1_14partition_implILS8_3ELb0ES6_jNS0_17counting_iteratorIjlEEPS9_SE_NS0_5tupleIJPjSE_EEENSF_IJSE_SE_EEES9_SG_JZNS1_25segmented_radix_sort_implINS0_14default_configELb1EPKhPhPKlPlN2at6native12_GLOBAL__N_18offset_tEEE10hipError_tPvRmT1_PNSt15iterator_traitsISY_E10value_typeET2_T3_PNSZ_IS14_E10value_typeET4_jRbjT5_S1A_jjP12ihipStream_tbEUljE_EEESV_SW_SX_S14_S18_S1A_T6_T7_T9_mT8_S1C_bDpT10_ENKUlT_T0_E_clISt17integral_constantIbLb1EES1O_IbLb0EEEEDaS1K_S1L_EUlS1K_E_NS1_11comp_targetILNS1_3genE5ELNS1_11target_archE942ELNS1_3gpuE9ELNS1_3repE0EEENS1_30default_config_static_selectorELNS0_4arch9wavefront6targetE0EEEvSY_
; %bb.0:
	.section	.rodata,"a",@progbits
	.p2align	6, 0x0
	.amdhsa_kernel _ZN7rocprim17ROCPRIM_400000_NS6detail17trampoline_kernelINS0_13select_configILj256ELj13ELNS0_17block_load_methodE3ELS4_3ELS4_3ELNS0_20block_scan_algorithmE0ELj4294967295EEENS1_25partition_config_selectorILNS1_17partition_subalgoE3EjNS0_10empty_typeEbEEZZNS1_14partition_implILS8_3ELb0ES6_jNS0_17counting_iteratorIjlEEPS9_SE_NS0_5tupleIJPjSE_EEENSF_IJSE_SE_EEES9_SG_JZNS1_25segmented_radix_sort_implINS0_14default_configELb1EPKhPhPKlPlN2at6native12_GLOBAL__N_18offset_tEEE10hipError_tPvRmT1_PNSt15iterator_traitsISY_E10value_typeET2_T3_PNSZ_IS14_E10value_typeET4_jRbjT5_S1A_jjP12ihipStream_tbEUljE_EEESV_SW_SX_S14_S18_S1A_T6_T7_T9_mT8_S1C_bDpT10_ENKUlT_T0_E_clISt17integral_constantIbLb1EES1O_IbLb0EEEEDaS1K_S1L_EUlS1K_E_NS1_11comp_targetILNS1_3genE5ELNS1_11target_archE942ELNS1_3gpuE9ELNS1_3repE0EEENS1_30default_config_static_selectorELNS0_4arch9wavefront6targetE0EEEvSY_
		.amdhsa_group_segment_fixed_size 0
		.amdhsa_private_segment_fixed_size 0
		.amdhsa_kernarg_size 144
		.amdhsa_user_sgpr_count 2
		.amdhsa_user_sgpr_dispatch_ptr 0
		.amdhsa_user_sgpr_queue_ptr 0
		.amdhsa_user_sgpr_kernarg_segment_ptr 1
		.amdhsa_user_sgpr_dispatch_id 0
		.amdhsa_user_sgpr_kernarg_preload_length 0
		.amdhsa_user_sgpr_kernarg_preload_offset 0
		.amdhsa_user_sgpr_private_segment_size 0
		.amdhsa_wavefront_size32 1
		.amdhsa_uses_dynamic_stack 0
		.amdhsa_enable_private_segment 0
		.amdhsa_system_sgpr_workgroup_id_x 1
		.amdhsa_system_sgpr_workgroup_id_y 0
		.amdhsa_system_sgpr_workgroup_id_z 0
		.amdhsa_system_sgpr_workgroup_info 0
		.amdhsa_system_vgpr_workitem_id 0
		.amdhsa_next_free_vgpr 1
		.amdhsa_next_free_sgpr 1
		.amdhsa_named_barrier_count 0
		.amdhsa_reserve_vcc 0
		.amdhsa_float_round_mode_32 0
		.amdhsa_float_round_mode_16_64 0
		.amdhsa_float_denorm_mode_32 3
		.amdhsa_float_denorm_mode_16_64 3
		.amdhsa_fp16_overflow 0
		.amdhsa_memory_ordered 1
		.amdhsa_forward_progress 1
		.amdhsa_inst_pref_size 0
		.amdhsa_round_robin_scheduling 0
		.amdhsa_exception_fp_ieee_invalid_op 0
		.amdhsa_exception_fp_denorm_src 0
		.amdhsa_exception_fp_ieee_div_zero 0
		.amdhsa_exception_fp_ieee_overflow 0
		.amdhsa_exception_fp_ieee_underflow 0
		.amdhsa_exception_fp_ieee_inexact 0
		.amdhsa_exception_int_div_zero 0
	.end_amdhsa_kernel
	.section	.text._ZN7rocprim17ROCPRIM_400000_NS6detail17trampoline_kernelINS0_13select_configILj256ELj13ELNS0_17block_load_methodE3ELS4_3ELS4_3ELNS0_20block_scan_algorithmE0ELj4294967295EEENS1_25partition_config_selectorILNS1_17partition_subalgoE3EjNS0_10empty_typeEbEEZZNS1_14partition_implILS8_3ELb0ES6_jNS0_17counting_iteratorIjlEEPS9_SE_NS0_5tupleIJPjSE_EEENSF_IJSE_SE_EEES9_SG_JZNS1_25segmented_radix_sort_implINS0_14default_configELb1EPKhPhPKlPlN2at6native12_GLOBAL__N_18offset_tEEE10hipError_tPvRmT1_PNSt15iterator_traitsISY_E10value_typeET2_T3_PNSZ_IS14_E10value_typeET4_jRbjT5_S1A_jjP12ihipStream_tbEUljE_EEESV_SW_SX_S14_S18_S1A_T6_T7_T9_mT8_S1C_bDpT10_ENKUlT_T0_E_clISt17integral_constantIbLb1EES1O_IbLb0EEEEDaS1K_S1L_EUlS1K_E_NS1_11comp_targetILNS1_3genE5ELNS1_11target_archE942ELNS1_3gpuE9ELNS1_3repE0EEENS1_30default_config_static_selectorELNS0_4arch9wavefront6targetE0EEEvSY_,"axG",@progbits,_ZN7rocprim17ROCPRIM_400000_NS6detail17trampoline_kernelINS0_13select_configILj256ELj13ELNS0_17block_load_methodE3ELS4_3ELS4_3ELNS0_20block_scan_algorithmE0ELj4294967295EEENS1_25partition_config_selectorILNS1_17partition_subalgoE3EjNS0_10empty_typeEbEEZZNS1_14partition_implILS8_3ELb0ES6_jNS0_17counting_iteratorIjlEEPS9_SE_NS0_5tupleIJPjSE_EEENSF_IJSE_SE_EEES9_SG_JZNS1_25segmented_radix_sort_implINS0_14default_configELb1EPKhPhPKlPlN2at6native12_GLOBAL__N_18offset_tEEE10hipError_tPvRmT1_PNSt15iterator_traitsISY_E10value_typeET2_T3_PNSZ_IS14_E10value_typeET4_jRbjT5_S1A_jjP12ihipStream_tbEUljE_EEESV_SW_SX_S14_S18_S1A_T6_T7_T9_mT8_S1C_bDpT10_ENKUlT_T0_E_clISt17integral_constantIbLb1EES1O_IbLb0EEEEDaS1K_S1L_EUlS1K_E_NS1_11comp_targetILNS1_3genE5ELNS1_11target_archE942ELNS1_3gpuE9ELNS1_3repE0EEENS1_30default_config_static_selectorELNS0_4arch9wavefront6targetE0EEEvSY_,comdat
.Lfunc_end67:
	.size	_ZN7rocprim17ROCPRIM_400000_NS6detail17trampoline_kernelINS0_13select_configILj256ELj13ELNS0_17block_load_methodE3ELS4_3ELS4_3ELNS0_20block_scan_algorithmE0ELj4294967295EEENS1_25partition_config_selectorILNS1_17partition_subalgoE3EjNS0_10empty_typeEbEEZZNS1_14partition_implILS8_3ELb0ES6_jNS0_17counting_iteratorIjlEEPS9_SE_NS0_5tupleIJPjSE_EEENSF_IJSE_SE_EEES9_SG_JZNS1_25segmented_radix_sort_implINS0_14default_configELb1EPKhPhPKlPlN2at6native12_GLOBAL__N_18offset_tEEE10hipError_tPvRmT1_PNSt15iterator_traitsISY_E10value_typeET2_T3_PNSZ_IS14_E10value_typeET4_jRbjT5_S1A_jjP12ihipStream_tbEUljE_EEESV_SW_SX_S14_S18_S1A_T6_T7_T9_mT8_S1C_bDpT10_ENKUlT_T0_E_clISt17integral_constantIbLb1EES1O_IbLb0EEEEDaS1K_S1L_EUlS1K_E_NS1_11comp_targetILNS1_3genE5ELNS1_11target_archE942ELNS1_3gpuE9ELNS1_3repE0EEENS1_30default_config_static_selectorELNS0_4arch9wavefront6targetE0EEEvSY_, .Lfunc_end67-_ZN7rocprim17ROCPRIM_400000_NS6detail17trampoline_kernelINS0_13select_configILj256ELj13ELNS0_17block_load_methodE3ELS4_3ELS4_3ELNS0_20block_scan_algorithmE0ELj4294967295EEENS1_25partition_config_selectorILNS1_17partition_subalgoE3EjNS0_10empty_typeEbEEZZNS1_14partition_implILS8_3ELb0ES6_jNS0_17counting_iteratorIjlEEPS9_SE_NS0_5tupleIJPjSE_EEENSF_IJSE_SE_EEES9_SG_JZNS1_25segmented_radix_sort_implINS0_14default_configELb1EPKhPhPKlPlN2at6native12_GLOBAL__N_18offset_tEEE10hipError_tPvRmT1_PNSt15iterator_traitsISY_E10value_typeET2_T3_PNSZ_IS14_E10value_typeET4_jRbjT5_S1A_jjP12ihipStream_tbEUljE_EEESV_SW_SX_S14_S18_S1A_T6_T7_T9_mT8_S1C_bDpT10_ENKUlT_T0_E_clISt17integral_constantIbLb1EES1O_IbLb0EEEEDaS1K_S1L_EUlS1K_E_NS1_11comp_targetILNS1_3genE5ELNS1_11target_archE942ELNS1_3gpuE9ELNS1_3repE0EEENS1_30default_config_static_selectorELNS0_4arch9wavefront6targetE0EEEvSY_
                                        ; -- End function
	.set _ZN7rocprim17ROCPRIM_400000_NS6detail17trampoline_kernelINS0_13select_configILj256ELj13ELNS0_17block_load_methodE3ELS4_3ELS4_3ELNS0_20block_scan_algorithmE0ELj4294967295EEENS1_25partition_config_selectorILNS1_17partition_subalgoE3EjNS0_10empty_typeEbEEZZNS1_14partition_implILS8_3ELb0ES6_jNS0_17counting_iteratorIjlEEPS9_SE_NS0_5tupleIJPjSE_EEENSF_IJSE_SE_EEES9_SG_JZNS1_25segmented_radix_sort_implINS0_14default_configELb1EPKhPhPKlPlN2at6native12_GLOBAL__N_18offset_tEEE10hipError_tPvRmT1_PNSt15iterator_traitsISY_E10value_typeET2_T3_PNSZ_IS14_E10value_typeET4_jRbjT5_S1A_jjP12ihipStream_tbEUljE_EEESV_SW_SX_S14_S18_S1A_T6_T7_T9_mT8_S1C_bDpT10_ENKUlT_T0_E_clISt17integral_constantIbLb1EES1O_IbLb0EEEEDaS1K_S1L_EUlS1K_E_NS1_11comp_targetILNS1_3genE5ELNS1_11target_archE942ELNS1_3gpuE9ELNS1_3repE0EEENS1_30default_config_static_selectorELNS0_4arch9wavefront6targetE0EEEvSY_.num_vgpr, 0
	.set _ZN7rocprim17ROCPRIM_400000_NS6detail17trampoline_kernelINS0_13select_configILj256ELj13ELNS0_17block_load_methodE3ELS4_3ELS4_3ELNS0_20block_scan_algorithmE0ELj4294967295EEENS1_25partition_config_selectorILNS1_17partition_subalgoE3EjNS0_10empty_typeEbEEZZNS1_14partition_implILS8_3ELb0ES6_jNS0_17counting_iteratorIjlEEPS9_SE_NS0_5tupleIJPjSE_EEENSF_IJSE_SE_EEES9_SG_JZNS1_25segmented_radix_sort_implINS0_14default_configELb1EPKhPhPKlPlN2at6native12_GLOBAL__N_18offset_tEEE10hipError_tPvRmT1_PNSt15iterator_traitsISY_E10value_typeET2_T3_PNSZ_IS14_E10value_typeET4_jRbjT5_S1A_jjP12ihipStream_tbEUljE_EEESV_SW_SX_S14_S18_S1A_T6_T7_T9_mT8_S1C_bDpT10_ENKUlT_T0_E_clISt17integral_constantIbLb1EES1O_IbLb0EEEEDaS1K_S1L_EUlS1K_E_NS1_11comp_targetILNS1_3genE5ELNS1_11target_archE942ELNS1_3gpuE9ELNS1_3repE0EEENS1_30default_config_static_selectorELNS0_4arch9wavefront6targetE0EEEvSY_.num_agpr, 0
	.set _ZN7rocprim17ROCPRIM_400000_NS6detail17trampoline_kernelINS0_13select_configILj256ELj13ELNS0_17block_load_methodE3ELS4_3ELS4_3ELNS0_20block_scan_algorithmE0ELj4294967295EEENS1_25partition_config_selectorILNS1_17partition_subalgoE3EjNS0_10empty_typeEbEEZZNS1_14partition_implILS8_3ELb0ES6_jNS0_17counting_iteratorIjlEEPS9_SE_NS0_5tupleIJPjSE_EEENSF_IJSE_SE_EEES9_SG_JZNS1_25segmented_radix_sort_implINS0_14default_configELb1EPKhPhPKlPlN2at6native12_GLOBAL__N_18offset_tEEE10hipError_tPvRmT1_PNSt15iterator_traitsISY_E10value_typeET2_T3_PNSZ_IS14_E10value_typeET4_jRbjT5_S1A_jjP12ihipStream_tbEUljE_EEESV_SW_SX_S14_S18_S1A_T6_T7_T9_mT8_S1C_bDpT10_ENKUlT_T0_E_clISt17integral_constantIbLb1EES1O_IbLb0EEEEDaS1K_S1L_EUlS1K_E_NS1_11comp_targetILNS1_3genE5ELNS1_11target_archE942ELNS1_3gpuE9ELNS1_3repE0EEENS1_30default_config_static_selectorELNS0_4arch9wavefront6targetE0EEEvSY_.numbered_sgpr, 0
	.set _ZN7rocprim17ROCPRIM_400000_NS6detail17trampoline_kernelINS0_13select_configILj256ELj13ELNS0_17block_load_methodE3ELS4_3ELS4_3ELNS0_20block_scan_algorithmE0ELj4294967295EEENS1_25partition_config_selectorILNS1_17partition_subalgoE3EjNS0_10empty_typeEbEEZZNS1_14partition_implILS8_3ELb0ES6_jNS0_17counting_iteratorIjlEEPS9_SE_NS0_5tupleIJPjSE_EEENSF_IJSE_SE_EEES9_SG_JZNS1_25segmented_radix_sort_implINS0_14default_configELb1EPKhPhPKlPlN2at6native12_GLOBAL__N_18offset_tEEE10hipError_tPvRmT1_PNSt15iterator_traitsISY_E10value_typeET2_T3_PNSZ_IS14_E10value_typeET4_jRbjT5_S1A_jjP12ihipStream_tbEUljE_EEESV_SW_SX_S14_S18_S1A_T6_T7_T9_mT8_S1C_bDpT10_ENKUlT_T0_E_clISt17integral_constantIbLb1EES1O_IbLb0EEEEDaS1K_S1L_EUlS1K_E_NS1_11comp_targetILNS1_3genE5ELNS1_11target_archE942ELNS1_3gpuE9ELNS1_3repE0EEENS1_30default_config_static_selectorELNS0_4arch9wavefront6targetE0EEEvSY_.num_named_barrier, 0
	.set _ZN7rocprim17ROCPRIM_400000_NS6detail17trampoline_kernelINS0_13select_configILj256ELj13ELNS0_17block_load_methodE3ELS4_3ELS4_3ELNS0_20block_scan_algorithmE0ELj4294967295EEENS1_25partition_config_selectorILNS1_17partition_subalgoE3EjNS0_10empty_typeEbEEZZNS1_14partition_implILS8_3ELb0ES6_jNS0_17counting_iteratorIjlEEPS9_SE_NS0_5tupleIJPjSE_EEENSF_IJSE_SE_EEES9_SG_JZNS1_25segmented_radix_sort_implINS0_14default_configELb1EPKhPhPKlPlN2at6native12_GLOBAL__N_18offset_tEEE10hipError_tPvRmT1_PNSt15iterator_traitsISY_E10value_typeET2_T3_PNSZ_IS14_E10value_typeET4_jRbjT5_S1A_jjP12ihipStream_tbEUljE_EEESV_SW_SX_S14_S18_S1A_T6_T7_T9_mT8_S1C_bDpT10_ENKUlT_T0_E_clISt17integral_constantIbLb1EES1O_IbLb0EEEEDaS1K_S1L_EUlS1K_E_NS1_11comp_targetILNS1_3genE5ELNS1_11target_archE942ELNS1_3gpuE9ELNS1_3repE0EEENS1_30default_config_static_selectorELNS0_4arch9wavefront6targetE0EEEvSY_.private_seg_size, 0
	.set _ZN7rocprim17ROCPRIM_400000_NS6detail17trampoline_kernelINS0_13select_configILj256ELj13ELNS0_17block_load_methodE3ELS4_3ELS4_3ELNS0_20block_scan_algorithmE0ELj4294967295EEENS1_25partition_config_selectorILNS1_17partition_subalgoE3EjNS0_10empty_typeEbEEZZNS1_14partition_implILS8_3ELb0ES6_jNS0_17counting_iteratorIjlEEPS9_SE_NS0_5tupleIJPjSE_EEENSF_IJSE_SE_EEES9_SG_JZNS1_25segmented_radix_sort_implINS0_14default_configELb1EPKhPhPKlPlN2at6native12_GLOBAL__N_18offset_tEEE10hipError_tPvRmT1_PNSt15iterator_traitsISY_E10value_typeET2_T3_PNSZ_IS14_E10value_typeET4_jRbjT5_S1A_jjP12ihipStream_tbEUljE_EEESV_SW_SX_S14_S18_S1A_T6_T7_T9_mT8_S1C_bDpT10_ENKUlT_T0_E_clISt17integral_constantIbLb1EES1O_IbLb0EEEEDaS1K_S1L_EUlS1K_E_NS1_11comp_targetILNS1_3genE5ELNS1_11target_archE942ELNS1_3gpuE9ELNS1_3repE0EEENS1_30default_config_static_selectorELNS0_4arch9wavefront6targetE0EEEvSY_.uses_vcc, 0
	.set _ZN7rocprim17ROCPRIM_400000_NS6detail17trampoline_kernelINS0_13select_configILj256ELj13ELNS0_17block_load_methodE3ELS4_3ELS4_3ELNS0_20block_scan_algorithmE0ELj4294967295EEENS1_25partition_config_selectorILNS1_17partition_subalgoE3EjNS0_10empty_typeEbEEZZNS1_14partition_implILS8_3ELb0ES6_jNS0_17counting_iteratorIjlEEPS9_SE_NS0_5tupleIJPjSE_EEENSF_IJSE_SE_EEES9_SG_JZNS1_25segmented_radix_sort_implINS0_14default_configELb1EPKhPhPKlPlN2at6native12_GLOBAL__N_18offset_tEEE10hipError_tPvRmT1_PNSt15iterator_traitsISY_E10value_typeET2_T3_PNSZ_IS14_E10value_typeET4_jRbjT5_S1A_jjP12ihipStream_tbEUljE_EEESV_SW_SX_S14_S18_S1A_T6_T7_T9_mT8_S1C_bDpT10_ENKUlT_T0_E_clISt17integral_constantIbLb1EES1O_IbLb0EEEEDaS1K_S1L_EUlS1K_E_NS1_11comp_targetILNS1_3genE5ELNS1_11target_archE942ELNS1_3gpuE9ELNS1_3repE0EEENS1_30default_config_static_selectorELNS0_4arch9wavefront6targetE0EEEvSY_.uses_flat_scratch, 0
	.set _ZN7rocprim17ROCPRIM_400000_NS6detail17trampoline_kernelINS0_13select_configILj256ELj13ELNS0_17block_load_methodE3ELS4_3ELS4_3ELNS0_20block_scan_algorithmE0ELj4294967295EEENS1_25partition_config_selectorILNS1_17partition_subalgoE3EjNS0_10empty_typeEbEEZZNS1_14partition_implILS8_3ELb0ES6_jNS0_17counting_iteratorIjlEEPS9_SE_NS0_5tupleIJPjSE_EEENSF_IJSE_SE_EEES9_SG_JZNS1_25segmented_radix_sort_implINS0_14default_configELb1EPKhPhPKlPlN2at6native12_GLOBAL__N_18offset_tEEE10hipError_tPvRmT1_PNSt15iterator_traitsISY_E10value_typeET2_T3_PNSZ_IS14_E10value_typeET4_jRbjT5_S1A_jjP12ihipStream_tbEUljE_EEESV_SW_SX_S14_S18_S1A_T6_T7_T9_mT8_S1C_bDpT10_ENKUlT_T0_E_clISt17integral_constantIbLb1EES1O_IbLb0EEEEDaS1K_S1L_EUlS1K_E_NS1_11comp_targetILNS1_3genE5ELNS1_11target_archE942ELNS1_3gpuE9ELNS1_3repE0EEENS1_30default_config_static_selectorELNS0_4arch9wavefront6targetE0EEEvSY_.has_dyn_sized_stack, 0
	.set _ZN7rocprim17ROCPRIM_400000_NS6detail17trampoline_kernelINS0_13select_configILj256ELj13ELNS0_17block_load_methodE3ELS4_3ELS4_3ELNS0_20block_scan_algorithmE0ELj4294967295EEENS1_25partition_config_selectorILNS1_17partition_subalgoE3EjNS0_10empty_typeEbEEZZNS1_14partition_implILS8_3ELb0ES6_jNS0_17counting_iteratorIjlEEPS9_SE_NS0_5tupleIJPjSE_EEENSF_IJSE_SE_EEES9_SG_JZNS1_25segmented_radix_sort_implINS0_14default_configELb1EPKhPhPKlPlN2at6native12_GLOBAL__N_18offset_tEEE10hipError_tPvRmT1_PNSt15iterator_traitsISY_E10value_typeET2_T3_PNSZ_IS14_E10value_typeET4_jRbjT5_S1A_jjP12ihipStream_tbEUljE_EEESV_SW_SX_S14_S18_S1A_T6_T7_T9_mT8_S1C_bDpT10_ENKUlT_T0_E_clISt17integral_constantIbLb1EES1O_IbLb0EEEEDaS1K_S1L_EUlS1K_E_NS1_11comp_targetILNS1_3genE5ELNS1_11target_archE942ELNS1_3gpuE9ELNS1_3repE0EEENS1_30default_config_static_selectorELNS0_4arch9wavefront6targetE0EEEvSY_.has_recursion, 0
	.set _ZN7rocprim17ROCPRIM_400000_NS6detail17trampoline_kernelINS0_13select_configILj256ELj13ELNS0_17block_load_methodE3ELS4_3ELS4_3ELNS0_20block_scan_algorithmE0ELj4294967295EEENS1_25partition_config_selectorILNS1_17partition_subalgoE3EjNS0_10empty_typeEbEEZZNS1_14partition_implILS8_3ELb0ES6_jNS0_17counting_iteratorIjlEEPS9_SE_NS0_5tupleIJPjSE_EEENSF_IJSE_SE_EEES9_SG_JZNS1_25segmented_radix_sort_implINS0_14default_configELb1EPKhPhPKlPlN2at6native12_GLOBAL__N_18offset_tEEE10hipError_tPvRmT1_PNSt15iterator_traitsISY_E10value_typeET2_T3_PNSZ_IS14_E10value_typeET4_jRbjT5_S1A_jjP12ihipStream_tbEUljE_EEESV_SW_SX_S14_S18_S1A_T6_T7_T9_mT8_S1C_bDpT10_ENKUlT_T0_E_clISt17integral_constantIbLb1EES1O_IbLb0EEEEDaS1K_S1L_EUlS1K_E_NS1_11comp_targetILNS1_3genE5ELNS1_11target_archE942ELNS1_3gpuE9ELNS1_3repE0EEENS1_30default_config_static_selectorELNS0_4arch9wavefront6targetE0EEEvSY_.has_indirect_call, 0
	.section	.AMDGPU.csdata,"",@progbits
; Kernel info:
; codeLenInByte = 0
; TotalNumSgprs: 0
; NumVgprs: 0
; ScratchSize: 0
; MemoryBound: 0
; FloatMode: 240
; IeeeMode: 1
; LDSByteSize: 0 bytes/workgroup (compile time only)
; SGPRBlocks: 0
; VGPRBlocks: 0
; NumSGPRsForWavesPerEU: 1
; NumVGPRsForWavesPerEU: 1
; NamedBarCnt: 0
; Occupancy: 16
; WaveLimiterHint : 0
; COMPUTE_PGM_RSRC2:SCRATCH_EN: 0
; COMPUTE_PGM_RSRC2:USER_SGPR: 2
; COMPUTE_PGM_RSRC2:TRAP_HANDLER: 0
; COMPUTE_PGM_RSRC2:TGID_X_EN: 1
; COMPUTE_PGM_RSRC2:TGID_Y_EN: 0
; COMPUTE_PGM_RSRC2:TGID_Z_EN: 0
; COMPUTE_PGM_RSRC2:TIDIG_COMP_CNT: 0
	.section	.text._ZN7rocprim17ROCPRIM_400000_NS6detail17trampoline_kernelINS0_13select_configILj256ELj13ELNS0_17block_load_methodE3ELS4_3ELS4_3ELNS0_20block_scan_algorithmE0ELj4294967295EEENS1_25partition_config_selectorILNS1_17partition_subalgoE3EjNS0_10empty_typeEbEEZZNS1_14partition_implILS8_3ELb0ES6_jNS0_17counting_iteratorIjlEEPS9_SE_NS0_5tupleIJPjSE_EEENSF_IJSE_SE_EEES9_SG_JZNS1_25segmented_radix_sort_implINS0_14default_configELb1EPKhPhPKlPlN2at6native12_GLOBAL__N_18offset_tEEE10hipError_tPvRmT1_PNSt15iterator_traitsISY_E10value_typeET2_T3_PNSZ_IS14_E10value_typeET4_jRbjT5_S1A_jjP12ihipStream_tbEUljE_EEESV_SW_SX_S14_S18_S1A_T6_T7_T9_mT8_S1C_bDpT10_ENKUlT_T0_E_clISt17integral_constantIbLb1EES1O_IbLb0EEEEDaS1K_S1L_EUlS1K_E_NS1_11comp_targetILNS1_3genE4ELNS1_11target_archE910ELNS1_3gpuE8ELNS1_3repE0EEENS1_30default_config_static_selectorELNS0_4arch9wavefront6targetE0EEEvSY_,"axG",@progbits,_ZN7rocprim17ROCPRIM_400000_NS6detail17trampoline_kernelINS0_13select_configILj256ELj13ELNS0_17block_load_methodE3ELS4_3ELS4_3ELNS0_20block_scan_algorithmE0ELj4294967295EEENS1_25partition_config_selectorILNS1_17partition_subalgoE3EjNS0_10empty_typeEbEEZZNS1_14partition_implILS8_3ELb0ES6_jNS0_17counting_iteratorIjlEEPS9_SE_NS0_5tupleIJPjSE_EEENSF_IJSE_SE_EEES9_SG_JZNS1_25segmented_radix_sort_implINS0_14default_configELb1EPKhPhPKlPlN2at6native12_GLOBAL__N_18offset_tEEE10hipError_tPvRmT1_PNSt15iterator_traitsISY_E10value_typeET2_T3_PNSZ_IS14_E10value_typeET4_jRbjT5_S1A_jjP12ihipStream_tbEUljE_EEESV_SW_SX_S14_S18_S1A_T6_T7_T9_mT8_S1C_bDpT10_ENKUlT_T0_E_clISt17integral_constantIbLb1EES1O_IbLb0EEEEDaS1K_S1L_EUlS1K_E_NS1_11comp_targetILNS1_3genE4ELNS1_11target_archE910ELNS1_3gpuE8ELNS1_3repE0EEENS1_30default_config_static_selectorELNS0_4arch9wavefront6targetE0EEEvSY_,comdat
	.globl	_ZN7rocprim17ROCPRIM_400000_NS6detail17trampoline_kernelINS0_13select_configILj256ELj13ELNS0_17block_load_methodE3ELS4_3ELS4_3ELNS0_20block_scan_algorithmE0ELj4294967295EEENS1_25partition_config_selectorILNS1_17partition_subalgoE3EjNS0_10empty_typeEbEEZZNS1_14partition_implILS8_3ELb0ES6_jNS0_17counting_iteratorIjlEEPS9_SE_NS0_5tupleIJPjSE_EEENSF_IJSE_SE_EEES9_SG_JZNS1_25segmented_radix_sort_implINS0_14default_configELb1EPKhPhPKlPlN2at6native12_GLOBAL__N_18offset_tEEE10hipError_tPvRmT1_PNSt15iterator_traitsISY_E10value_typeET2_T3_PNSZ_IS14_E10value_typeET4_jRbjT5_S1A_jjP12ihipStream_tbEUljE_EEESV_SW_SX_S14_S18_S1A_T6_T7_T9_mT8_S1C_bDpT10_ENKUlT_T0_E_clISt17integral_constantIbLb1EES1O_IbLb0EEEEDaS1K_S1L_EUlS1K_E_NS1_11comp_targetILNS1_3genE4ELNS1_11target_archE910ELNS1_3gpuE8ELNS1_3repE0EEENS1_30default_config_static_selectorELNS0_4arch9wavefront6targetE0EEEvSY_ ; -- Begin function _ZN7rocprim17ROCPRIM_400000_NS6detail17trampoline_kernelINS0_13select_configILj256ELj13ELNS0_17block_load_methodE3ELS4_3ELS4_3ELNS0_20block_scan_algorithmE0ELj4294967295EEENS1_25partition_config_selectorILNS1_17partition_subalgoE3EjNS0_10empty_typeEbEEZZNS1_14partition_implILS8_3ELb0ES6_jNS0_17counting_iteratorIjlEEPS9_SE_NS0_5tupleIJPjSE_EEENSF_IJSE_SE_EEES9_SG_JZNS1_25segmented_radix_sort_implINS0_14default_configELb1EPKhPhPKlPlN2at6native12_GLOBAL__N_18offset_tEEE10hipError_tPvRmT1_PNSt15iterator_traitsISY_E10value_typeET2_T3_PNSZ_IS14_E10value_typeET4_jRbjT5_S1A_jjP12ihipStream_tbEUljE_EEESV_SW_SX_S14_S18_S1A_T6_T7_T9_mT8_S1C_bDpT10_ENKUlT_T0_E_clISt17integral_constantIbLb1EES1O_IbLb0EEEEDaS1K_S1L_EUlS1K_E_NS1_11comp_targetILNS1_3genE4ELNS1_11target_archE910ELNS1_3gpuE8ELNS1_3repE0EEENS1_30default_config_static_selectorELNS0_4arch9wavefront6targetE0EEEvSY_
	.p2align	8
	.type	_ZN7rocprim17ROCPRIM_400000_NS6detail17trampoline_kernelINS0_13select_configILj256ELj13ELNS0_17block_load_methodE3ELS4_3ELS4_3ELNS0_20block_scan_algorithmE0ELj4294967295EEENS1_25partition_config_selectorILNS1_17partition_subalgoE3EjNS0_10empty_typeEbEEZZNS1_14partition_implILS8_3ELb0ES6_jNS0_17counting_iteratorIjlEEPS9_SE_NS0_5tupleIJPjSE_EEENSF_IJSE_SE_EEES9_SG_JZNS1_25segmented_radix_sort_implINS0_14default_configELb1EPKhPhPKlPlN2at6native12_GLOBAL__N_18offset_tEEE10hipError_tPvRmT1_PNSt15iterator_traitsISY_E10value_typeET2_T3_PNSZ_IS14_E10value_typeET4_jRbjT5_S1A_jjP12ihipStream_tbEUljE_EEESV_SW_SX_S14_S18_S1A_T6_T7_T9_mT8_S1C_bDpT10_ENKUlT_T0_E_clISt17integral_constantIbLb1EES1O_IbLb0EEEEDaS1K_S1L_EUlS1K_E_NS1_11comp_targetILNS1_3genE4ELNS1_11target_archE910ELNS1_3gpuE8ELNS1_3repE0EEENS1_30default_config_static_selectorELNS0_4arch9wavefront6targetE0EEEvSY_,@function
_ZN7rocprim17ROCPRIM_400000_NS6detail17trampoline_kernelINS0_13select_configILj256ELj13ELNS0_17block_load_methodE3ELS4_3ELS4_3ELNS0_20block_scan_algorithmE0ELj4294967295EEENS1_25partition_config_selectorILNS1_17partition_subalgoE3EjNS0_10empty_typeEbEEZZNS1_14partition_implILS8_3ELb0ES6_jNS0_17counting_iteratorIjlEEPS9_SE_NS0_5tupleIJPjSE_EEENSF_IJSE_SE_EEES9_SG_JZNS1_25segmented_radix_sort_implINS0_14default_configELb1EPKhPhPKlPlN2at6native12_GLOBAL__N_18offset_tEEE10hipError_tPvRmT1_PNSt15iterator_traitsISY_E10value_typeET2_T3_PNSZ_IS14_E10value_typeET4_jRbjT5_S1A_jjP12ihipStream_tbEUljE_EEESV_SW_SX_S14_S18_S1A_T6_T7_T9_mT8_S1C_bDpT10_ENKUlT_T0_E_clISt17integral_constantIbLb1EES1O_IbLb0EEEEDaS1K_S1L_EUlS1K_E_NS1_11comp_targetILNS1_3genE4ELNS1_11target_archE910ELNS1_3gpuE8ELNS1_3repE0EEENS1_30default_config_static_selectorELNS0_4arch9wavefront6targetE0EEEvSY_: ; @_ZN7rocprim17ROCPRIM_400000_NS6detail17trampoline_kernelINS0_13select_configILj256ELj13ELNS0_17block_load_methodE3ELS4_3ELS4_3ELNS0_20block_scan_algorithmE0ELj4294967295EEENS1_25partition_config_selectorILNS1_17partition_subalgoE3EjNS0_10empty_typeEbEEZZNS1_14partition_implILS8_3ELb0ES6_jNS0_17counting_iteratorIjlEEPS9_SE_NS0_5tupleIJPjSE_EEENSF_IJSE_SE_EEES9_SG_JZNS1_25segmented_radix_sort_implINS0_14default_configELb1EPKhPhPKlPlN2at6native12_GLOBAL__N_18offset_tEEE10hipError_tPvRmT1_PNSt15iterator_traitsISY_E10value_typeET2_T3_PNSZ_IS14_E10value_typeET4_jRbjT5_S1A_jjP12ihipStream_tbEUljE_EEESV_SW_SX_S14_S18_S1A_T6_T7_T9_mT8_S1C_bDpT10_ENKUlT_T0_E_clISt17integral_constantIbLb1EES1O_IbLb0EEEEDaS1K_S1L_EUlS1K_E_NS1_11comp_targetILNS1_3genE4ELNS1_11target_archE910ELNS1_3gpuE8ELNS1_3repE0EEENS1_30default_config_static_selectorELNS0_4arch9wavefront6targetE0EEEvSY_
; %bb.0:
	.section	.rodata,"a",@progbits
	.p2align	6, 0x0
	.amdhsa_kernel _ZN7rocprim17ROCPRIM_400000_NS6detail17trampoline_kernelINS0_13select_configILj256ELj13ELNS0_17block_load_methodE3ELS4_3ELS4_3ELNS0_20block_scan_algorithmE0ELj4294967295EEENS1_25partition_config_selectorILNS1_17partition_subalgoE3EjNS0_10empty_typeEbEEZZNS1_14partition_implILS8_3ELb0ES6_jNS0_17counting_iteratorIjlEEPS9_SE_NS0_5tupleIJPjSE_EEENSF_IJSE_SE_EEES9_SG_JZNS1_25segmented_radix_sort_implINS0_14default_configELb1EPKhPhPKlPlN2at6native12_GLOBAL__N_18offset_tEEE10hipError_tPvRmT1_PNSt15iterator_traitsISY_E10value_typeET2_T3_PNSZ_IS14_E10value_typeET4_jRbjT5_S1A_jjP12ihipStream_tbEUljE_EEESV_SW_SX_S14_S18_S1A_T6_T7_T9_mT8_S1C_bDpT10_ENKUlT_T0_E_clISt17integral_constantIbLb1EES1O_IbLb0EEEEDaS1K_S1L_EUlS1K_E_NS1_11comp_targetILNS1_3genE4ELNS1_11target_archE910ELNS1_3gpuE8ELNS1_3repE0EEENS1_30default_config_static_selectorELNS0_4arch9wavefront6targetE0EEEvSY_
		.amdhsa_group_segment_fixed_size 0
		.amdhsa_private_segment_fixed_size 0
		.amdhsa_kernarg_size 144
		.amdhsa_user_sgpr_count 2
		.amdhsa_user_sgpr_dispatch_ptr 0
		.amdhsa_user_sgpr_queue_ptr 0
		.amdhsa_user_sgpr_kernarg_segment_ptr 1
		.amdhsa_user_sgpr_dispatch_id 0
		.amdhsa_user_sgpr_kernarg_preload_length 0
		.amdhsa_user_sgpr_kernarg_preload_offset 0
		.amdhsa_user_sgpr_private_segment_size 0
		.amdhsa_wavefront_size32 1
		.amdhsa_uses_dynamic_stack 0
		.amdhsa_enable_private_segment 0
		.amdhsa_system_sgpr_workgroup_id_x 1
		.amdhsa_system_sgpr_workgroup_id_y 0
		.amdhsa_system_sgpr_workgroup_id_z 0
		.amdhsa_system_sgpr_workgroup_info 0
		.amdhsa_system_vgpr_workitem_id 0
		.amdhsa_next_free_vgpr 1
		.amdhsa_next_free_sgpr 1
		.amdhsa_named_barrier_count 0
		.amdhsa_reserve_vcc 0
		.amdhsa_float_round_mode_32 0
		.amdhsa_float_round_mode_16_64 0
		.amdhsa_float_denorm_mode_32 3
		.amdhsa_float_denorm_mode_16_64 3
		.amdhsa_fp16_overflow 0
		.amdhsa_memory_ordered 1
		.amdhsa_forward_progress 1
		.amdhsa_inst_pref_size 0
		.amdhsa_round_robin_scheduling 0
		.amdhsa_exception_fp_ieee_invalid_op 0
		.amdhsa_exception_fp_denorm_src 0
		.amdhsa_exception_fp_ieee_div_zero 0
		.amdhsa_exception_fp_ieee_overflow 0
		.amdhsa_exception_fp_ieee_underflow 0
		.amdhsa_exception_fp_ieee_inexact 0
		.amdhsa_exception_int_div_zero 0
	.end_amdhsa_kernel
	.section	.text._ZN7rocprim17ROCPRIM_400000_NS6detail17trampoline_kernelINS0_13select_configILj256ELj13ELNS0_17block_load_methodE3ELS4_3ELS4_3ELNS0_20block_scan_algorithmE0ELj4294967295EEENS1_25partition_config_selectorILNS1_17partition_subalgoE3EjNS0_10empty_typeEbEEZZNS1_14partition_implILS8_3ELb0ES6_jNS0_17counting_iteratorIjlEEPS9_SE_NS0_5tupleIJPjSE_EEENSF_IJSE_SE_EEES9_SG_JZNS1_25segmented_radix_sort_implINS0_14default_configELb1EPKhPhPKlPlN2at6native12_GLOBAL__N_18offset_tEEE10hipError_tPvRmT1_PNSt15iterator_traitsISY_E10value_typeET2_T3_PNSZ_IS14_E10value_typeET4_jRbjT5_S1A_jjP12ihipStream_tbEUljE_EEESV_SW_SX_S14_S18_S1A_T6_T7_T9_mT8_S1C_bDpT10_ENKUlT_T0_E_clISt17integral_constantIbLb1EES1O_IbLb0EEEEDaS1K_S1L_EUlS1K_E_NS1_11comp_targetILNS1_3genE4ELNS1_11target_archE910ELNS1_3gpuE8ELNS1_3repE0EEENS1_30default_config_static_selectorELNS0_4arch9wavefront6targetE0EEEvSY_,"axG",@progbits,_ZN7rocprim17ROCPRIM_400000_NS6detail17trampoline_kernelINS0_13select_configILj256ELj13ELNS0_17block_load_methodE3ELS4_3ELS4_3ELNS0_20block_scan_algorithmE0ELj4294967295EEENS1_25partition_config_selectorILNS1_17partition_subalgoE3EjNS0_10empty_typeEbEEZZNS1_14partition_implILS8_3ELb0ES6_jNS0_17counting_iteratorIjlEEPS9_SE_NS0_5tupleIJPjSE_EEENSF_IJSE_SE_EEES9_SG_JZNS1_25segmented_radix_sort_implINS0_14default_configELb1EPKhPhPKlPlN2at6native12_GLOBAL__N_18offset_tEEE10hipError_tPvRmT1_PNSt15iterator_traitsISY_E10value_typeET2_T3_PNSZ_IS14_E10value_typeET4_jRbjT5_S1A_jjP12ihipStream_tbEUljE_EEESV_SW_SX_S14_S18_S1A_T6_T7_T9_mT8_S1C_bDpT10_ENKUlT_T0_E_clISt17integral_constantIbLb1EES1O_IbLb0EEEEDaS1K_S1L_EUlS1K_E_NS1_11comp_targetILNS1_3genE4ELNS1_11target_archE910ELNS1_3gpuE8ELNS1_3repE0EEENS1_30default_config_static_selectorELNS0_4arch9wavefront6targetE0EEEvSY_,comdat
.Lfunc_end68:
	.size	_ZN7rocprim17ROCPRIM_400000_NS6detail17trampoline_kernelINS0_13select_configILj256ELj13ELNS0_17block_load_methodE3ELS4_3ELS4_3ELNS0_20block_scan_algorithmE0ELj4294967295EEENS1_25partition_config_selectorILNS1_17partition_subalgoE3EjNS0_10empty_typeEbEEZZNS1_14partition_implILS8_3ELb0ES6_jNS0_17counting_iteratorIjlEEPS9_SE_NS0_5tupleIJPjSE_EEENSF_IJSE_SE_EEES9_SG_JZNS1_25segmented_radix_sort_implINS0_14default_configELb1EPKhPhPKlPlN2at6native12_GLOBAL__N_18offset_tEEE10hipError_tPvRmT1_PNSt15iterator_traitsISY_E10value_typeET2_T3_PNSZ_IS14_E10value_typeET4_jRbjT5_S1A_jjP12ihipStream_tbEUljE_EEESV_SW_SX_S14_S18_S1A_T6_T7_T9_mT8_S1C_bDpT10_ENKUlT_T0_E_clISt17integral_constantIbLb1EES1O_IbLb0EEEEDaS1K_S1L_EUlS1K_E_NS1_11comp_targetILNS1_3genE4ELNS1_11target_archE910ELNS1_3gpuE8ELNS1_3repE0EEENS1_30default_config_static_selectorELNS0_4arch9wavefront6targetE0EEEvSY_, .Lfunc_end68-_ZN7rocprim17ROCPRIM_400000_NS6detail17trampoline_kernelINS0_13select_configILj256ELj13ELNS0_17block_load_methodE3ELS4_3ELS4_3ELNS0_20block_scan_algorithmE0ELj4294967295EEENS1_25partition_config_selectorILNS1_17partition_subalgoE3EjNS0_10empty_typeEbEEZZNS1_14partition_implILS8_3ELb0ES6_jNS0_17counting_iteratorIjlEEPS9_SE_NS0_5tupleIJPjSE_EEENSF_IJSE_SE_EEES9_SG_JZNS1_25segmented_radix_sort_implINS0_14default_configELb1EPKhPhPKlPlN2at6native12_GLOBAL__N_18offset_tEEE10hipError_tPvRmT1_PNSt15iterator_traitsISY_E10value_typeET2_T3_PNSZ_IS14_E10value_typeET4_jRbjT5_S1A_jjP12ihipStream_tbEUljE_EEESV_SW_SX_S14_S18_S1A_T6_T7_T9_mT8_S1C_bDpT10_ENKUlT_T0_E_clISt17integral_constantIbLb1EES1O_IbLb0EEEEDaS1K_S1L_EUlS1K_E_NS1_11comp_targetILNS1_3genE4ELNS1_11target_archE910ELNS1_3gpuE8ELNS1_3repE0EEENS1_30default_config_static_selectorELNS0_4arch9wavefront6targetE0EEEvSY_
                                        ; -- End function
	.set _ZN7rocprim17ROCPRIM_400000_NS6detail17trampoline_kernelINS0_13select_configILj256ELj13ELNS0_17block_load_methodE3ELS4_3ELS4_3ELNS0_20block_scan_algorithmE0ELj4294967295EEENS1_25partition_config_selectorILNS1_17partition_subalgoE3EjNS0_10empty_typeEbEEZZNS1_14partition_implILS8_3ELb0ES6_jNS0_17counting_iteratorIjlEEPS9_SE_NS0_5tupleIJPjSE_EEENSF_IJSE_SE_EEES9_SG_JZNS1_25segmented_radix_sort_implINS0_14default_configELb1EPKhPhPKlPlN2at6native12_GLOBAL__N_18offset_tEEE10hipError_tPvRmT1_PNSt15iterator_traitsISY_E10value_typeET2_T3_PNSZ_IS14_E10value_typeET4_jRbjT5_S1A_jjP12ihipStream_tbEUljE_EEESV_SW_SX_S14_S18_S1A_T6_T7_T9_mT8_S1C_bDpT10_ENKUlT_T0_E_clISt17integral_constantIbLb1EES1O_IbLb0EEEEDaS1K_S1L_EUlS1K_E_NS1_11comp_targetILNS1_3genE4ELNS1_11target_archE910ELNS1_3gpuE8ELNS1_3repE0EEENS1_30default_config_static_selectorELNS0_4arch9wavefront6targetE0EEEvSY_.num_vgpr, 0
	.set _ZN7rocprim17ROCPRIM_400000_NS6detail17trampoline_kernelINS0_13select_configILj256ELj13ELNS0_17block_load_methodE3ELS4_3ELS4_3ELNS0_20block_scan_algorithmE0ELj4294967295EEENS1_25partition_config_selectorILNS1_17partition_subalgoE3EjNS0_10empty_typeEbEEZZNS1_14partition_implILS8_3ELb0ES6_jNS0_17counting_iteratorIjlEEPS9_SE_NS0_5tupleIJPjSE_EEENSF_IJSE_SE_EEES9_SG_JZNS1_25segmented_radix_sort_implINS0_14default_configELb1EPKhPhPKlPlN2at6native12_GLOBAL__N_18offset_tEEE10hipError_tPvRmT1_PNSt15iterator_traitsISY_E10value_typeET2_T3_PNSZ_IS14_E10value_typeET4_jRbjT5_S1A_jjP12ihipStream_tbEUljE_EEESV_SW_SX_S14_S18_S1A_T6_T7_T9_mT8_S1C_bDpT10_ENKUlT_T0_E_clISt17integral_constantIbLb1EES1O_IbLb0EEEEDaS1K_S1L_EUlS1K_E_NS1_11comp_targetILNS1_3genE4ELNS1_11target_archE910ELNS1_3gpuE8ELNS1_3repE0EEENS1_30default_config_static_selectorELNS0_4arch9wavefront6targetE0EEEvSY_.num_agpr, 0
	.set _ZN7rocprim17ROCPRIM_400000_NS6detail17trampoline_kernelINS0_13select_configILj256ELj13ELNS0_17block_load_methodE3ELS4_3ELS4_3ELNS0_20block_scan_algorithmE0ELj4294967295EEENS1_25partition_config_selectorILNS1_17partition_subalgoE3EjNS0_10empty_typeEbEEZZNS1_14partition_implILS8_3ELb0ES6_jNS0_17counting_iteratorIjlEEPS9_SE_NS0_5tupleIJPjSE_EEENSF_IJSE_SE_EEES9_SG_JZNS1_25segmented_radix_sort_implINS0_14default_configELb1EPKhPhPKlPlN2at6native12_GLOBAL__N_18offset_tEEE10hipError_tPvRmT1_PNSt15iterator_traitsISY_E10value_typeET2_T3_PNSZ_IS14_E10value_typeET4_jRbjT5_S1A_jjP12ihipStream_tbEUljE_EEESV_SW_SX_S14_S18_S1A_T6_T7_T9_mT8_S1C_bDpT10_ENKUlT_T0_E_clISt17integral_constantIbLb1EES1O_IbLb0EEEEDaS1K_S1L_EUlS1K_E_NS1_11comp_targetILNS1_3genE4ELNS1_11target_archE910ELNS1_3gpuE8ELNS1_3repE0EEENS1_30default_config_static_selectorELNS0_4arch9wavefront6targetE0EEEvSY_.numbered_sgpr, 0
	.set _ZN7rocprim17ROCPRIM_400000_NS6detail17trampoline_kernelINS0_13select_configILj256ELj13ELNS0_17block_load_methodE3ELS4_3ELS4_3ELNS0_20block_scan_algorithmE0ELj4294967295EEENS1_25partition_config_selectorILNS1_17partition_subalgoE3EjNS0_10empty_typeEbEEZZNS1_14partition_implILS8_3ELb0ES6_jNS0_17counting_iteratorIjlEEPS9_SE_NS0_5tupleIJPjSE_EEENSF_IJSE_SE_EEES9_SG_JZNS1_25segmented_radix_sort_implINS0_14default_configELb1EPKhPhPKlPlN2at6native12_GLOBAL__N_18offset_tEEE10hipError_tPvRmT1_PNSt15iterator_traitsISY_E10value_typeET2_T3_PNSZ_IS14_E10value_typeET4_jRbjT5_S1A_jjP12ihipStream_tbEUljE_EEESV_SW_SX_S14_S18_S1A_T6_T7_T9_mT8_S1C_bDpT10_ENKUlT_T0_E_clISt17integral_constantIbLb1EES1O_IbLb0EEEEDaS1K_S1L_EUlS1K_E_NS1_11comp_targetILNS1_3genE4ELNS1_11target_archE910ELNS1_3gpuE8ELNS1_3repE0EEENS1_30default_config_static_selectorELNS0_4arch9wavefront6targetE0EEEvSY_.num_named_barrier, 0
	.set _ZN7rocprim17ROCPRIM_400000_NS6detail17trampoline_kernelINS0_13select_configILj256ELj13ELNS0_17block_load_methodE3ELS4_3ELS4_3ELNS0_20block_scan_algorithmE0ELj4294967295EEENS1_25partition_config_selectorILNS1_17partition_subalgoE3EjNS0_10empty_typeEbEEZZNS1_14partition_implILS8_3ELb0ES6_jNS0_17counting_iteratorIjlEEPS9_SE_NS0_5tupleIJPjSE_EEENSF_IJSE_SE_EEES9_SG_JZNS1_25segmented_radix_sort_implINS0_14default_configELb1EPKhPhPKlPlN2at6native12_GLOBAL__N_18offset_tEEE10hipError_tPvRmT1_PNSt15iterator_traitsISY_E10value_typeET2_T3_PNSZ_IS14_E10value_typeET4_jRbjT5_S1A_jjP12ihipStream_tbEUljE_EEESV_SW_SX_S14_S18_S1A_T6_T7_T9_mT8_S1C_bDpT10_ENKUlT_T0_E_clISt17integral_constantIbLb1EES1O_IbLb0EEEEDaS1K_S1L_EUlS1K_E_NS1_11comp_targetILNS1_3genE4ELNS1_11target_archE910ELNS1_3gpuE8ELNS1_3repE0EEENS1_30default_config_static_selectorELNS0_4arch9wavefront6targetE0EEEvSY_.private_seg_size, 0
	.set _ZN7rocprim17ROCPRIM_400000_NS6detail17trampoline_kernelINS0_13select_configILj256ELj13ELNS0_17block_load_methodE3ELS4_3ELS4_3ELNS0_20block_scan_algorithmE0ELj4294967295EEENS1_25partition_config_selectorILNS1_17partition_subalgoE3EjNS0_10empty_typeEbEEZZNS1_14partition_implILS8_3ELb0ES6_jNS0_17counting_iteratorIjlEEPS9_SE_NS0_5tupleIJPjSE_EEENSF_IJSE_SE_EEES9_SG_JZNS1_25segmented_radix_sort_implINS0_14default_configELb1EPKhPhPKlPlN2at6native12_GLOBAL__N_18offset_tEEE10hipError_tPvRmT1_PNSt15iterator_traitsISY_E10value_typeET2_T3_PNSZ_IS14_E10value_typeET4_jRbjT5_S1A_jjP12ihipStream_tbEUljE_EEESV_SW_SX_S14_S18_S1A_T6_T7_T9_mT8_S1C_bDpT10_ENKUlT_T0_E_clISt17integral_constantIbLb1EES1O_IbLb0EEEEDaS1K_S1L_EUlS1K_E_NS1_11comp_targetILNS1_3genE4ELNS1_11target_archE910ELNS1_3gpuE8ELNS1_3repE0EEENS1_30default_config_static_selectorELNS0_4arch9wavefront6targetE0EEEvSY_.uses_vcc, 0
	.set _ZN7rocprim17ROCPRIM_400000_NS6detail17trampoline_kernelINS0_13select_configILj256ELj13ELNS0_17block_load_methodE3ELS4_3ELS4_3ELNS0_20block_scan_algorithmE0ELj4294967295EEENS1_25partition_config_selectorILNS1_17partition_subalgoE3EjNS0_10empty_typeEbEEZZNS1_14partition_implILS8_3ELb0ES6_jNS0_17counting_iteratorIjlEEPS9_SE_NS0_5tupleIJPjSE_EEENSF_IJSE_SE_EEES9_SG_JZNS1_25segmented_radix_sort_implINS0_14default_configELb1EPKhPhPKlPlN2at6native12_GLOBAL__N_18offset_tEEE10hipError_tPvRmT1_PNSt15iterator_traitsISY_E10value_typeET2_T3_PNSZ_IS14_E10value_typeET4_jRbjT5_S1A_jjP12ihipStream_tbEUljE_EEESV_SW_SX_S14_S18_S1A_T6_T7_T9_mT8_S1C_bDpT10_ENKUlT_T0_E_clISt17integral_constantIbLb1EES1O_IbLb0EEEEDaS1K_S1L_EUlS1K_E_NS1_11comp_targetILNS1_3genE4ELNS1_11target_archE910ELNS1_3gpuE8ELNS1_3repE0EEENS1_30default_config_static_selectorELNS0_4arch9wavefront6targetE0EEEvSY_.uses_flat_scratch, 0
	.set _ZN7rocprim17ROCPRIM_400000_NS6detail17trampoline_kernelINS0_13select_configILj256ELj13ELNS0_17block_load_methodE3ELS4_3ELS4_3ELNS0_20block_scan_algorithmE0ELj4294967295EEENS1_25partition_config_selectorILNS1_17partition_subalgoE3EjNS0_10empty_typeEbEEZZNS1_14partition_implILS8_3ELb0ES6_jNS0_17counting_iteratorIjlEEPS9_SE_NS0_5tupleIJPjSE_EEENSF_IJSE_SE_EEES9_SG_JZNS1_25segmented_radix_sort_implINS0_14default_configELb1EPKhPhPKlPlN2at6native12_GLOBAL__N_18offset_tEEE10hipError_tPvRmT1_PNSt15iterator_traitsISY_E10value_typeET2_T3_PNSZ_IS14_E10value_typeET4_jRbjT5_S1A_jjP12ihipStream_tbEUljE_EEESV_SW_SX_S14_S18_S1A_T6_T7_T9_mT8_S1C_bDpT10_ENKUlT_T0_E_clISt17integral_constantIbLb1EES1O_IbLb0EEEEDaS1K_S1L_EUlS1K_E_NS1_11comp_targetILNS1_3genE4ELNS1_11target_archE910ELNS1_3gpuE8ELNS1_3repE0EEENS1_30default_config_static_selectorELNS0_4arch9wavefront6targetE0EEEvSY_.has_dyn_sized_stack, 0
	.set _ZN7rocprim17ROCPRIM_400000_NS6detail17trampoline_kernelINS0_13select_configILj256ELj13ELNS0_17block_load_methodE3ELS4_3ELS4_3ELNS0_20block_scan_algorithmE0ELj4294967295EEENS1_25partition_config_selectorILNS1_17partition_subalgoE3EjNS0_10empty_typeEbEEZZNS1_14partition_implILS8_3ELb0ES6_jNS0_17counting_iteratorIjlEEPS9_SE_NS0_5tupleIJPjSE_EEENSF_IJSE_SE_EEES9_SG_JZNS1_25segmented_radix_sort_implINS0_14default_configELb1EPKhPhPKlPlN2at6native12_GLOBAL__N_18offset_tEEE10hipError_tPvRmT1_PNSt15iterator_traitsISY_E10value_typeET2_T3_PNSZ_IS14_E10value_typeET4_jRbjT5_S1A_jjP12ihipStream_tbEUljE_EEESV_SW_SX_S14_S18_S1A_T6_T7_T9_mT8_S1C_bDpT10_ENKUlT_T0_E_clISt17integral_constantIbLb1EES1O_IbLb0EEEEDaS1K_S1L_EUlS1K_E_NS1_11comp_targetILNS1_3genE4ELNS1_11target_archE910ELNS1_3gpuE8ELNS1_3repE0EEENS1_30default_config_static_selectorELNS0_4arch9wavefront6targetE0EEEvSY_.has_recursion, 0
	.set _ZN7rocprim17ROCPRIM_400000_NS6detail17trampoline_kernelINS0_13select_configILj256ELj13ELNS0_17block_load_methodE3ELS4_3ELS4_3ELNS0_20block_scan_algorithmE0ELj4294967295EEENS1_25partition_config_selectorILNS1_17partition_subalgoE3EjNS0_10empty_typeEbEEZZNS1_14partition_implILS8_3ELb0ES6_jNS0_17counting_iteratorIjlEEPS9_SE_NS0_5tupleIJPjSE_EEENSF_IJSE_SE_EEES9_SG_JZNS1_25segmented_radix_sort_implINS0_14default_configELb1EPKhPhPKlPlN2at6native12_GLOBAL__N_18offset_tEEE10hipError_tPvRmT1_PNSt15iterator_traitsISY_E10value_typeET2_T3_PNSZ_IS14_E10value_typeET4_jRbjT5_S1A_jjP12ihipStream_tbEUljE_EEESV_SW_SX_S14_S18_S1A_T6_T7_T9_mT8_S1C_bDpT10_ENKUlT_T0_E_clISt17integral_constantIbLb1EES1O_IbLb0EEEEDaS1K_S1L_EUlS1K_E_NS1_11comp_targetILNS1_3genE4ELNS1_11target_archE910ELNS1_3gpuE8ELNS1_3repE0EEENS1_30default_config_static_selectorELNS0_4arch9wavefront6targetE0EEEvSY_.has_indirect_call, 0
	.section	.AMDGPU.csdata,"",@progbits
; Kernel info:
; codeLenInByte = 0
; TotalNumSgprs: 0
; NumVgprs: 0
; ScratchSize: 0
; MemoryBound: 0
; FloatMode: 240
; IeeeMode: 1
; LDSByteSize: 0 bytes/workgroup (compile time only)
; SGPRBlocks: 0
; VGPRBlocks: 0
; NumSGPRsForWavesPerEU: 1
; NumVGPRsForWavesPerEU: 1
; NamedBarCnt: 0
; Occupancy: 16
; WaveLimiterHint : 0
; COMPUTE_PGM_RSRC2:SCRATCH_EN: 0
; COMPUTE_PGM_RSRC2:USER_SGPR: 2
; COMPUTE_PGM_RSRC2:TRAP_HANDLER: 0
; COMPUTE_PGM_RSRC2:TGID_X_EN: 1
; COMPUTE_PGM_RSRC2:TGID_Y_EN: 0
; COMPUTE_PGM_RSRC2:TGID_Z_EN: 0
; COMPUTE_PGM_RSRC2:TIDIG_COMP_CNT: 0
	.section	.text._ZN7rocprim17ROCPRIM_400000_NS6detail17trampoline_kernelINS0_13select_configILj256ELj13ELNS0_17block_load_methodE3ELS4_3ELS4_3ELNS0_20block_scan_algorithmE0ELj4294967295EEENS1_25partition_config_selectorILNS1_17partition_subalgoE3EjNS0_10empty_typeEbEEZZNS1_14partition_implILS8_3ELb0ES6_jNS0_17counting_iteratorIjlEEPS9_SE_NS0_5tupleIJPjSE_EEENSF_IJSE_SE_EEES9_SG_JZNS1_25segmented_radix_sort_implINS0_14default_configELb1EPKhPhPKlPlN2at6native12_GLOBAL__N_18offset_tEEE10hipError_tPvRmT1_PNSt15iterator_traitsISY_E10value_typeET2_T3_PNSZ_IS14_E10value_typeET4_jRbjT5_S1A_jjP12ihipStream_tbEUljE_EEESV_SW_SX_S14_S18_S1A_T6_T7_T9_mT8_S1C_bDpT10_ENKUlT_T0_E_clISt17integral_constantIbLb1EES1O_IbLb0EEEEDaS1K_S1L_EUlS1K_E_NS1_11comp_targetILNS1_3genE3ELNS1_11target_archE908ELNS1_3gpuE7ELNS1_3repE0EEENS1_30default_config_static_selectorELNS0_4arch9wavefront6targetE0EEEvSY_,"axG",@progbits,_ZN7rocprim17ROCPRIM_400000_NS6detail17trampoline_kernelINS0_13select_configILj256ELj13ELNS0_17block_load_methodE3ELS4_3ELS4_3ELNS0_20block_scan_algorithmE0ELj4294967295EEENS1_25partition_config_selectorILNS1_17partition_subalgoE3EjNS0_10empty_typeEbEEZZNS1_14partition_implILS8_3ELb0ES6_jNS0_17counting_iteratorIjlEEPS9_SE_NS0_5tupleIJPjSE_EEENSF_IJSE_SE_EEES9_SG_JZNS1_25segmented_radix_sort_implINS0_14default_configELb1EPKhPhPKlPlN2at6native12_GLOBAL__N_18offset_tEEE10hipError_tPvRmT1_PNSt15iterator_traitsISY_E10value_typeET2_T3_PNSZ_IS14_E10value_typeET4_jRbjT5_S1A_jjP12ihipStream_tbEUljE_EEESV_SW_SX_S14_S18_S1A_T6_T7_T9_mT8_S1C_bDpT10_ENKUlT_T0_E_clISt17integral_constantIbLb1EES1O_IbLb0EEEEDaS1K_S1L_EUlS1K_E_NS1_11comp_targetILNS1_3genE3ELNS1_11target_archE908ELNS1_3gpuE7ELNS1_3repE0EEENS1_30default_config_static_selectorELNS0_4arch9wavefront6targetE0EEEvSY_,comdat
	.globl	_ZN7rocprim17ROCPRIM_400000_NS6detail17trampoline_kernelINS0_13select_configILj256ELj13ELNS0_17block_load_methodE3ELS4_3ELS4_3ELNS0_20block_scan_algorithmE0ELj4294967295EEENS1_25partition_config_selectorILNS1_17partition_subalgoE3EjNS0_10empty_typeEbEEZZNS1_14partition_implILS8_3ELb0ES6_jNS0_17counting_iteratorIjlEEPS9_SE_NS0_5tupleIJPjSE_EEENSF_IJSE_SE_EEES9_SG_JZNS1_25segmented_radix_sort_implINS0_14default_configELb1EPKhPhPKlPlN2at6native12_GLOBAL__N_18offset_tEEE10hipError_tPvRmT1_PNSt15iterator_traitsISY_E10value_typeET2_T3_PNSZ_IS14_E10value_typeET4_jRbjT5_S1A_jjP12ihipStream_tbEUljE_EEESV_SW_SX_S14_S18_S1A_T6_T7_T9_mT8_S1C_bDpT10_ENKUlT_T0_E_clISt17integral_constantIbLb1EES1O_IbLb0EEEEDaS1K_S1L_EUlS1K_E_NS1_11comp_targetILNS1_3genE3ELNS1_11target_archE908ELNS1_3gpuE7ELNS1_3repE0EEENS1_30default_config_static_selectorELNS0_4arch9wavefront6targetE0EEEvSY_ ; -- Begin function _ZN7rocprim17ROCPRIM_400000_NS6detail17trampoline_kernelINS0_13select_configILj256ELj13ELNS0_17block_load_methodE3ELS4_3ELS4_3ELNS0_20block_scan_algorithmE0ELj4294967295EEENS1_25partition_config_selectorILNS1_17partition_subalgoE3EjNS0_10empty_typeEbEEZZNS1_14partition_implILS8_3ELb0ES6_jNS0_17counting_iteratorIjlEEPS9_SE_NS0_5tupleIJPjSE_EEENSF_IJSE_SE_EEES9_SG_JZNS1_25segmented_radix_sort_implINS0_14default_configELb1EPKhPhPKlPlN2at6native12_GLOBAL__N_18offset_tEEE10hipError_tPvRmT1_PNSt15iterator_traitsISY_E10value_typeET2_T3_PNSZ_IS14_E10value_typeET4_jRbjT5_S1A_jjP12ihipStream_tbEUljE_EEESV_SW_SX_S14_S18_S1A_T6_T7_T9_mT8_S1C_bDpT10_ENKUlT_T0_E_clISt17integral_constantIbLb1EES1O_IbLb0EEEEDaS1K_S1L_EUlS1K_E_NS1_11comp_targetILNS1_3genE3ELNS1_11target_archE908ELNS1_3gpuE7ELNS1_3repE0EEENS1_30default_config_static_selectorELNS0_4arch9wavefront6targetE0EEEvSY_
	.p2align	8
	.type	_ZN7rocprim17ROCPRIM_400000_NS6detail17trampoline_kernelINS0_13select_configILj256ELj13ELNS0_17block_load_methodE3ELS4_3ELS4_3ELNS0_20block_scan_algorithmE0ELj4294967295EEENS1_25partition_config_selectorILNS1_17partition_subalgoE3EjNS0_10empty_typeEbEEZZNS1_14partition_implILS8_3ELb0ES6_jNS0_17counting_iteratorIjlEEPS9_SE_NS0_5tupleIJPjSE_EEENSF_IJSE_SE_EEES9_SG_JZNS1_25segmented_radix_sort_implINS0_14default_configELb1EPKhPhPKlPlN2at6native12_GLOBAL__N_18offset_tEEE10hipError_tPvRmT1_PNSt15iterator_traitsISY_E10value_typeET2_T3_PNSZ_IS14_E10value_typeET4_jRbjT5_S1A_jjP12ihipStream_tbEUljE_EEESV_SW_SX_S14_S18_S1A_T6_T7_T9_mT8_S1C_bDpT10_ENKUlT_T0_E_clISt17integral_constantIbLb1EES1O_IbLb0EEEEDaS1K_S1L_EUlS1K_E_NS1_11comp_targetILNS1_3genE3ELNS1_11target_archE908ELNS1_3gpuE7ELNS1_3repE0EEENS1_30default_config_static_selectorELNS0_4arch9wavefront6targetE0EEEvSY_,@function
_ZN7rocprim17ROCPRIM_400000_NS6detail17trampoline_kernelINS0_13select_configILj256ELj13ELNS0_17block_load_methodE3ELS4_3ELS4_3ELNS0_20block_scan_algorithmE0ELj4294967295EEENS1_25partition_config_selectorILNS1_17partition_subalgoE3EjNS0_10empty_typeEbEEZZNS1_14partition_implILS8_3ELb0ES6_jNS0_17counting_iteratorIjlEEPS9_SE_NS0_5tupleIJPjSE_EEENSF_IJSE_SE_EEES9_SG_JZNS1_25segmented_radix_sort_implINS0_14default_configELb1EPKhPhPKlPlN2at6native12_GLOBAL__N_18offset_tEEE10hipError_tPvRmT1_PNSt15iterator_traitsISY_E10value_typeET2_T3_PNSZ_IS14_E10value_typeET4_jRbjT5_S1A_jjP12ihipStream_tbEUljE_EEESV_SW_SX_S14_S18_S1A_T6_T7_T9_mT8_S1C_bDpT10_ENKUlT_T0_E_clISt17integral_constantIbLb1EES1O_IbLb0EEEEDaS1K_S1L_EUlS1K_E_NS1_11comp_targetILNS1_3genE3ELNS1_11target_archE908ELNS1_3gpuE7ELNS1_3repE0EEENS1_30default_config_static_selectorELNS0_4arch9wavefront6targetE0EEEvSY_: ; @_ZN7rocprim17ROCPRIM_400000_NS6detail17trampoline_kernelINS0_13select_configILj256ELj13ELNS0_17block_load_methodE3ELS4_3ELS4_3ELNS0_20block_scan_algorithmE0ELj4294967295EEENS1_25partition_config_selectorILNS1_17partition_subalgoE3EjNS0_10empty_typeEbEEZZNS1_14partition_implILS8_3ELb0ES6_jNS0_17counting_iteratorIjlEEPS9_SE_NS0_5tupleIJPjSE_EEENSF_IJSE_SE_EEES9_SG_JZNS1_25segmented_radix_sort_implINS0_14default_configELb1EPKhPhPKlPlN2at6native12_GLOBAL__N_18offset_tEEE10hipError_tPvRmT1_PNSt15iterator_traitsISY_E10value_typeET2_T3_PNSZ_IS14_E10value_typeET4_jRbjT5_S1A_jjP12ihipStream_tbEUljE_EEESV_SW_SX_S14_S18_S1A_T6_T7_T9_mT8_S1C_bDpT10_ENKUlT_T0_E_clISt17integral_constantIbLb1EES1O_IbLb0EEEEDaS1K_S1L_EUlS1K_E_NS1_11comp_targetILNS1_3genE3ELNS1_11target_archE908ELNS1_3gpuE7ELNS1_3repE0EEENS1_30default_config_static_selectorELNS0_4arch9wavefront6targetE0EEEvSY_
; %bb.0:
	.section	.rodata,"a",@progbits
	.p2align	6, 0x0
	.amdhsa_kernel _ZN7rocprim17ROCPRIM_400000_NS6detail17trampoline_kernelINS0_13select_configILj256ELj13ELNS0_17block_load_methodE3ELS4_3ELS4_3ELNS0_20block_scan_algorithmE0ELj4294967295EEENS1_25partition_config_selectorILNS1_17partition_subalgoE3EjNS0_10empty_typeEbEEZZNS1_14partition_implILS8_3ELb0ES6_jNS0_17counting_iteratorIjlEEPS9_SE_NS0_5tupleIJPjSE_EEENSF_IJSE_SE_EEES9_SG_JZNS1_25segmented_radix_sort_implINS0_14default_configELb1EPKhPhPKlPlN2at6native12_GLOBAL__N_18offset_tEEE10hipError_tPvRmT1_PNSt15iterator_traitsISY_E10value_typeET2_T3_PNSZ_IS14_E10value_typeET4_jRbjT5_S1A_jjP12ihipStream_tbEUljE_EEESV_SW_SX_S14_S18_S1A_T6_T7_T9_mT8_S1C_bDpT10_ENKUlT_T0_E_clISt17integral_constantIbLb1EES1O_IbLb0EEEEDaS1K_S1L_EUlS1K_E_NS1_11comp_targetILNS1_3genE3ELNS1_11target_archE908ELNS1_3gpuE7ELNS1_3repE0EEENS1_30default_config_static_selectorELNS0_4arch9wavefront6targetE0EEEvSY_
		.amdhsa_group_segment_fixed_size 0
		.amdhsa_private_segment_fixed_size 0
		.amdhsa_kernarg_size 144
		.amdhsa_user_sgpr_count 2
		.amdhsa_user_sgpr_dispatch_ptr 0
		.amdhsa_user_sgpr_queue_ptr 0
		.amdhsa_user_sgpr_kernarg_segment_ptr 1
		.amdhsa_user_sgpr_dispatch_id 0
		.amdhsa_user_sgpr_kernarg_preload_length 0
		.amdhsa_user_sgpr_kernarg_preload_offset 0
		.amdhsa_user_sgpr_private_segment_size 0
		.amdhsa_wavefront_size32 1
		.amdhsa_uses_dynamic_stack 0
		.amdhsa_enable_private_segment 0
		.amdhsa_system_sgpr_workgroup_id_x 1
		.amdhsa_system_sgpr_workgroup_id_y 0
		.amdhsa_system_sgpr_workgroup_id_z 0
		.amdhsa_system_sgpr_workgroup_info 0
		.amdhsa_system_vgpr_workitem_id 0
		.amdhsa_next_free_vgpr 1
		.amdhsa_next_free_sgpr 1
		.amdhsa_named_barrier_count 0
		.amdhsa_reserve_vcc 0
		.amdhsa_float_round_mode_32 0
		.amdhsa_float_round_mode_16_64 0
		.amdhsa_float_denorm_mode_32 3
		.amdhsa_float_denorm_mode_16_64 3
		.amdhsa_fp16_overflow 0
		.amdhsa_memory_ordered 1
		.amdhsa_forward_progress 1
		.amdhsa_inst_pref_size 0
		.amdhsa_round_robin_scheduling 0
		.amdhsa_exception_fp_ieee_invalid_op 0
		.amdhsa_exception_fp_denorm_src 0
		.amdhsa_exception_fp_ieee_div_zero 0
		.amdhsa_exception_fp_ieee_overflow 0
		.amdhsa_exception_fp_ieee_underflow 0
		.amdhsa_exception_fp_ieee_inexact 0
		.amdhsa_exception_int_div_zero 0
	.end_amdhsa_kernel
	.section	.text._ZN7rocprim17ROCPRIM_400000_NS6detail17trampoline_kernelINS0_13select_configILj256ELj13ELNS0_17block_load_methodE3ELS4_3ELS4_3ELNS0_20block_scan_algorithmE0ELj4294967295EEENS1_25partition_config_selectorILNS1_17partition_subalgoE3EjNS0_10empty_typeEbEEZZNS1_14partition_implILS8_3ELb0ES6_jNS0_17counting_iteratorIjlEEPS9_SE_NS0_5tupleIJPjSE_EEENSF_IJSE_SE_EEES9_SG_JZNS1_25segmented_radix_sort_implINS0_14default_configELb1EPKhPhPKlPlN2at6native12_GLOBAL__N_18offset_tEEE10hipError_tPvRmT1_PNSt15iterator_traitsISY_E10value_typeET2_T3_PNSZ_IS14_E10value_typeET4_jRbjT5_S1A_jjP12ihipStream_tbEUljE_EEESV_SW_SX_S14_S18_S1A_T6_T7_T9_mT8_S1C_bDpT10_ENKUlT_T0_E_clISt17integral_constantIbLb1EES1O_IbLb0EEEEDaS1K_S1L_EUlS1K_E_NS1_11comp_targetILNS1_3genE3ELNS1_11target_archE908ELNS1_3gpuE7ELNS1_3repE0EEENS1_30default_config_static_selectorELNS0_4arch9wavefront6targetE0EEEvSY_,"axG",@progbits,_ZN7rocprim17ROCPRIM_400000_NS6detail17trampoline_kernelINS0_13select_configILj256ELj13ELNS0_17block_load_methodE3ELS4_3ELS4_3ELNS0_20block_scan_algorithmE0ELj4294967295EEENS1_25partition_config_selectorILNS1_17partition_subalgoE3EjNS0_10empty_typeEbEEZZNS1_14partition_implILS8_3ELb0ES6_jNS0_17counting_iteratorIjlEEPS9_SE_NS0_5tupleIJPjSE_EEENSF_IJSE_SE_EEES9_SG_JZNS1_25segmented_radix_sort_implINS0_14default_configELb1EPKhPhPKlPlN2at6native12_GLOBAL__N_18offset_tEEE10hipError_tPvRmT1_PNSt15iterator_traitsISY_E10value_typeET2_T3_PNSZ_IS14_E10value_typeET4_jRbjT5_S1A_jjP12ihipStream_tbEUljE_EEESV_SW_SX_S14_S18_S1A_T6_T7_T9_mT8_S1C_bDpT10_ENKUlT_T0_E_clISt17integral_constantIbLb1EES1O_IbLb0EEEEDaS1K_S1L_EUlS1K_E_NS1_11comp_targetILNS1_3genE3ELNS1_11target_archE908ELNS1_3gpuE7ELNS1_3repE0EEENS1_30default_config_static_selectorELNS0_4arch9wavefront6targetE0EEEvSY_,comdat
.Lfunc_end69:
	.size	_ZN7rocprim17ROCPRIM_400000_NS6detail17trampoline_kernelINS0_13select_configILj256ELj13ELNS0_17block_load_methodE3ELS4_3ELS4_3ELNS0_20block_scan_algorithmE0ELj4294967295EEENS1_25partition_config_selectorILNS1_17partition_subalgoE3EjNS0_10empty_typeEbEEZZNS1_14partition_implILS8_3ELb0ES6_jNS0_17counting_iteratorIjlEEPS9_SE_NS0_5tupleIJPjSE_EEENSF_IJSE_SE_EEES9_SG_JZNS1_25segmented_radix_sort_implINS0_14default_configELb1EPKhPhPKlPlN2at6native12_GLOBAL__N_18offset_tEEE10hipError_tPvRmT1_PNSt15iterator_traitsISY_E10value_typeET2_T3_PNSZ_IS14_E10value_typeET4_jRbjT5_S1A_jjP12ihipStream_tbEUljE_EEESV_SW_SX_S14_S18_S1A_T6_T7_T9_mT8_S1C_bDpT10_ENKUlT_T0_E_clISt17integral_constantIbLb1EES1O_IbLb0EEEEDaS1K_S1L_EUlS1K_E_NS1_11comp_targetILNS1_3genE3ELNS1_11target_archE908ELNS1_3gpuE7ELNS1_3repE0EEENS1_30default_config_static_selectorELNS0_4arch9wavefront6targetE0EEEvSY_, .Lfunc_end69-_ZN7rocprim17ROCPRIM_400000_NS6detail17trampoline_kernelINS0_13select_configILj256ELj13ELNS0_17block_load_methodE3ELS4_3ELS4_3ELNS0_20block_scan_algorithmE0ELj4294967295EEENS1_25partition_config_selectorILNS1_17partition_subalgoE3EjNS0_10empty_typeEbEEZZNS1_14partition_implILS8_3ELb0ES6_jNS0_17counting_iteratorIjlEEPS9_SE_NS0_5tupleIJPjSE_EEENSF_IJSE_SE_EEES9_SG_JZNS1_25segmented_radix_sort_implINS0_14default_configELb1EPKhPhPKlPlN2at6native12_GLOBAL__N_18offset_tEEE10hipError_tPvRmT1_PNSt15iterator_traitsISY_E10value_typeET2_T3_PNSZ_IS14_E10value_typeET4_jRbjT5_S1A_jjP12ihipStream_tbEUljE_EEESV_SW_SX_S14_S18_S1A_T6_T7_T9_mT8_S1C_bDpT10_ENKUlT_T0_E_clISt17integral_constantIbLb1EES1O_IbLb0EEEEDaS1K_S1L_EUlS1K_E_NS1_11comp_targetILNS1_3genE3ELNS1_11target_archE908ELNS1_3gpuE7ELNS1_3repE0EEENS1_30default_config_static_selectorELNS0_4arch9wavefront6targetE0EEEvSY_
                                        ; -- End function
	.set _ZN7rocprim17ROCPRIM_400000_NS6detail17trampoline_kernelINS0_13select_configILj256ELj13ELNS0_17block_load_methodE3ELS4_3ELS4_3ELNS0_20block_scan_algorithmE0ELj4294967295EEENS1_25partition_config_selectorILNS1_17partition_subalgoE3EjNS0_10empty_typeEbEEZZNS1_14partition_implILS8_3ELb0ES6_jNS0_17counting_iteratorIjlEEPS9_SE_NS0_5tupleIJPjSE_EEENSF_IJSE_SE_EEES9_SG_JZNS1_25segmented_radix_sort_implINS0_14default_configELb1EPKhPhPKlPlN2at6native12_GLOBAL__N_18offset_tEEE10hipError_tPvRmT1_PNSt15iterator_traitsISY_E10value_typeET2_T3_PNSZ_IS14_E10value_typeET4_jRbjT5_S1A_jjP12ihipStream_tbEUljE_EEESV_SW_SX_S14_S18_S1A_T6_T7_T9_mT8_S1C_bDpT10_ENKUlT_T0_E_clISt17integral_constantIbLb1EES1O_IbLb0EEEEDaS1K_S1L_EUlS1K_E_NS1_11comp_targetILNS1_3genE3ELNS1_11target_archE908ELNS1_3gpuE7ELNS1_3repE0EEENS1_30default_config_static_selectorELNS0_4arch9wavefront6targetE0EEEvSY_.num_vgpr, 0
	.set _ZN7rocprim17ROCPRIM_400000_NS6detail17trampoline_kernelINS0_13select_configILj256ELj13ELNS0_17block_load_methodE3ELS4_3ELS4_3ELNS0_20block_scan_algorithmE0ELj4294967295EEENS1_25partition_config_selectorILNS1_17partition_subalgoE3EjNS0_10empty_typeEbEEZZNS1_14partition_implILS8_3ELb0ES6_jNS0_17counting_iteratorIjlEEPS9_SE_NS0_5tupleIJPjSE_EEENSF_IJSE_SE_EEES9_SG_JZNS1_25segmented_radix_sort_implINS0_14default_configELb1EPKhPhPKlPlN2at6native12_GLOBAL__N_18offset_tEEE10hipError_tPvRmT1_PNSt15iterator_traitsISY_E10value_typeET2_T3_PNSZ_IS14_E10value_typeET4_jRbjT5_S1A_jjP12ihipStream_tbEUljE_EEESV_SW_SX_S14_S18_S1A_T6_T7_T9_mT8_S1C_bDpT10_ENKUlT_T0_E_clISt17integral_constantIbLb1EES1O_IbLb0EEEEDaS1K_S1L_EUlS1K_E_NS1_11comp_targetILNS1_3genE3ELNS1_11target_archE908ELNS1_3gpuE7ELNS1_3repE0EEENS1_30default_config_static_selectorELNS0_4arch9wavefront6targetE0EEEvSY_.num_agpr, 0
	.set _ZN7rocprim17ROCPRIM_400000_NS6detail17trampoline_kernelINS0_13select_configILj256ELj13ELNS0_17block_load_methodE3ELS4_3ELS4_3ELNS0_20block_scan_algorithmE0ELj4294967295EEENS1_25partition_config_selectorILNS1_17partition_subalgoE3EjNS0_10empty_typeEbEEZZNS1_14partition_implILS8_3ELb0ES6_jNS0_17counting_iteratorIjlEEPS9_SE_NS0_5tupleIJPjSE_EEENSF_IJSE_SE_EEES9_SG_JZNS1_25segmented_radix_sort_implINS0_14default_configELb1EPKhPhPKlPlN2at6native12_GLOBAL__N_18offset_tEEE10hipError_tPvRmT1_PNSt15iterator_traitsISY_E10value_typeET2_T3_PNSZ_IS14_E10value_typeET4_jRbjT5_S1A_jjP12ihipStream_tbEUljE_EEESV_SW_SX_S14_S18_S1A_T6_T7_T9_mT8_S1C_bDpT10_ENKUlT_T0_E_clISt17integral_constantIbLb1EES1O_IbLb0EEEEDaS1K_S1L_EUlS1K_E_NS1_11comp_targetILNS1_3genE3ELNS1_11target_archE908ELNS1_3gpuE7ELNS1_3repE0EEENS1_30default_config_static_selectorELNS0_4arch9wavefront6targetE0EEEvSY_.numbered_sgpr, 0
	.set _ZN7rocprim17ROCPRIM_400000_NS6detail17trampoline_kernelINS0_13select_configILj256ELj13ELNS0_17block_load_methodE3ELS4_3ELS4_3ELNS0_20block_scan_algorithmE0ELj4294967295EEENS1_25partition_config_selectorILNS1_17partition_subalgoE3EjNS0_10empty_typeEbEEZZNS1_14partition_implILS8_3ELb0ES6_jNS0_17counting_iteratorIjlEEPS9_SE_NS0_5tupleIJPjSE_EEENSF_IJSE_SE_EEES9_SG_JZNS1_25segmented_radix_sort_implINS0_14default_configELb1EPKhPhPKlPlN2at6native12_GLOBAL__N_18offset_tEEE10hipError_tPvRmT1_PNSt15iterator_traitsISY_E10value_typeET2_T3_PNSZ_IS14_E10value_typeET4_jRbjT5_S1A_jjP12ihipStream_tbEUljE_EEESV_SW_SX_S14_S18_S1A_T6_T7_T9_mT8_S1C_bDpT10_ENKUlT_T0_E_clISt17integral_constantIbLb1EES1O_IbLb0EEEEDaS1K_S1L_EUlS1K_E_NS1_11comp_targetILNS1_3genE3ELNS1_11target_archE908ELNS1_3gpuE7ELNS1_3repE0EEENS1_30default_config_static_selectorELNS0_4arch9wavefront6targetE0EEEvSY_.num_named_barrier, 0
	.set _ZN7rocprim17ROCPRIM_400000_NS6detail17trampoline_kernelINS0_13select_configILj256ELj13ELNS0_17block_load_methodE3ELS4_3ELS4_3ELNS0_20block_scan_algorithmE0ELj4294967295EEENS1_25partition_config_selectorILNS1_17partition_subalgoE3EjNS0_10empty_typeEbEEZZNS1_14partition_implILS8_3ELb0ES6_jNS0_17counting_iteratorIjlEEPS9_SE_NS0_5tupleIJPjSE_EEENSF_IJSE_SE_EEES9_SG_JZNS1_25segmented_radix_sort_implINS0_14default_configELb1EPKhPhPKlPlN2at6native12_GLOBAL__N_18offset_tEEE10hipError_tPvRmT1_PNSt15iterator_traitsISY_E10value_typeET2_T3_PNSZ_IS14_E10value_typeET4_jRbjT5_S1A_jjP12ihipStream_tbEUljE_EEESV_SW_SX_S14_S18_S1A_T6_T7_T9_mT8_S1C_bDpT10_ENKUlT_T0_E_clISt17integral_constantIbLb1EES1O_IbLb0EEEEDaS1K_S1L_EUlS1K_E_NS1_11comp_targetILNS1_3genE3ELNS1_11target_archE908ELNS1_3gpuE7ELNS1_3repE0EEENS1_30default_config_static_selectorELNS0_4arch9wavefront6targetE0EEEvSY_.private_seg_size, 0
	.set _ZN7rocprim17ROCPRIM_400000_NS6detail17trampoline_kernelINS0_13select_configILj256ELj13ELNS0_17block_load_methodE3ELS4_3ELS4_3ELNS0_20block_scan_algorithmE0ELj4294967295EEENS1_25partition_config_selectorILNS1_17partition_subalgoE3EjNS0_10empty_typeEbEEZZNS1_14partition_implILS8_3ELb0ES6_jNS0_17counting_iteratorIjlEEPS9_SE_NS0_5tupleIJPjSE_EEENSF_IJSE_SE_EEES9_SG_JZNS1_25segmented_radix_sort_implINS0_14default_configELb1EPKhPhPKlPlN2at6native12_GLOBAL__N_18offset_tEEE10hipError_tPvRmT1_PNSt15iterator_traitsISY_E10value_typeET2_T3_PNSZ_IS14_E10value_typeET4_jRbjT5_S1A_jjP12ihipStream_tbEUljE_EEESV_SW_SX_S14_S18_S1A_T6_T7_T9_mT8_S1C_bDpT10_ENKUlT_T0_E_clISt17integral_constantIbLb1EES1O_IbLb0EEEEDaS1K_S1L_EUlS1K_E_NS1_11comp_targetILNS1_3genE3ELNS1_11target_archE908ELNS1_3gpuE7ELNS1_3repE0EEENS1_30default_config_static_selectorELNS0_4arch9wavefront6targetE0EEEvSY_.uses_vcc, 0
	.set _ZN7rocprim17ROCPRIM_400000_NS6detail17trampoline_kernelINS0_13select_configILj256ELj13ELNS0_17block_load_methodE3ELS4_3ELS4_3ELNS0_20block_scan_algorithmE0ELj4294967295EEENS1_25partition_config_selectorILNS1_17partition_subalgoE3EjNS0_10empty_typeEbEEZZNS1_14partition_implILS8_3ELb0ES6_jNS0_17counting_iteratorIjlEEPS9_SE_NS0_5tupleIJPjSE_EEENSF_IJSE_SE_EEES9_SG_JZNS1_25segmented_radix_sort_implINS0_14default_configELb1EPKhPhPKlPlN2at6native12_GLOBAL__N_18offset_tEEE10hipError_tPvRmT1_PNSt15iterator_traitsISY_E10value_typeET2_T3_PNSZ_IS14_E10value_typeET4_jRbjT5_S1A_jjP12ihipStream_tbEUljE_EEESV_SW_SX_S14_S18_S1A_T6_T7_T9_mT8_S1C_bDpT10_ENKUlT_T0_E_clISt17integral_constantIbLb1EES1O_IbLb0EEEEDaS1K_S1L_EUlS1K_E_NS1_11comp_targetILNS1_3genE3ELNS1_11target_archE908ELNS1_3gpuE7ELNS1_3repE0EEENS1_30default_config_static_selectorELNS0_4arch9wavefront6targetE0EEEvSY_.uses_flat_scratch, 0
	.set _ZN7rocprim17ROCPRIM_400000_NS6detail17trampoline_kernelINS0_13select_configILj256ELj13ELNS0_17block_load_methodE3ELS4_3ELS4_3ELNS0_20block_scan_algorithmE0ELj4294967295EEENS1_25partition_config_selectorILNS1_17partition_subalgoE3EjNS0_10empty_typeEbEEZZNS1_14partition_implILS8_3ELb0ES6_jNS0_17counting_iteratorIjlEEPS9_SE_NS0_5tupleIJPjSE_EEENSF_IJSE_SE_EEES9_SG_JZNS1_25segmented_radix_sort_implINS0_14default_configELb1EPKhPhPKlPlN2at6native12_GLOBAL__N_18offset_tEEE10hipError_tPvRmT1_PNSt15iterator_traitsISY_E10value_typeET2_T3_PNSZ_IS14_E10value_typeET4_jRbjT5_S1A_jjP12ihipStream_tbEUljE_EEESV_SW_SX_S14_S18_S1A_T6_T7_T9_mT8_S1C_bDpT10_ENKUlT_T0_E_clISt17integral_constantIbLb1EES1O_IbLb0EEEEDaS1K_S1L_EUlS1K_E_NS1_11comp_targetILNS1_3genE3ELNS1_11target_archE908ELNS1_3gpuE7ELNS1_3repE0EEENS1_30default_config_static_selectorELNS0_4arch9wavefront6targetE0EEEvSY_.has_dyn_sized_stack, 0
	.set _ZN7rocprim17ROCPRIM_400000_NS6detail17trampoline_kernelINS0_13select_configILj256ELj13ELNS0_17block_load_methodE3ELS4_3ELS4_3ELNS0_20block_scan_algorithmE0ELj4294967295EEENS1_25partition_config_selectorILNS1_17partition_subalgoE3EjNS0_10empty_typeEbEEZZNS1_14partition_implILS8_3ELb0ES6_jNS0_17counting_iteratorIjlEEPS9_SE_NS0_5tupleIJPjSE_EEENSF_IJSE_SE_EEES9_SG_JZNS1_25segmented_radix_sort_implINS0_14default_configELb1EPKhPhPKlPlN2at6native12_GLOBAL__N_18offset_tEEE10hipError_tPvRmT1_PNSt15iterator_traitsISY_E10value_typeET2_T3_PNSZ_IS14_E10value_typeET4_jRbjT5_S1A_jjP12ihipStream_tbEUljE_EEESV_SW_SX_S14_S18_S1A_T6_T7_T9_mT8_S1C_bDpT10_ENKUlT_T0_E_clISt17integral_constantIbLb1EES1O_IbLb0EEEEDaS1K_S1L_EUlS1K_E_NS1_11comp_targetILNS1_3genE3ELNS1_11target_archE908ELNS1_3gpuE7ELNS1_3repE0EEENS1_30default_config_static_selectorELNS0_4arch9wavefront6targetE0EEEvSY_.has_recursion, 0
	.set _ZN7rocprim17ROCPRIM_400000_NS6detail17trampoline_kernelINS0_13select_configILj256ELj13ELNS0_17block_load_methodE3ELS4_3ELS4_3ELNS0_20block_scan_algorithmE0ELj4294967295EEENS1_25partition_config_selectorILNS1_17partition_subalgoE3EjNS0_10empty_typeEbEEZZNS1_14partition_implILS8_3ELb0ES6_jNS0_17counting_iteratorIjlEEPS9_SE_NS0_5tupleIJPjSE_EEENSF_IJSE_SE_EEES9_SG_JZNS1_25segmented_radix_sort_implINS0_14default_configELb1EPKhPhPKlPlN2at6native12_GLOBAL__N_18offset_tEEE10hipError_tPvRmT1_PNSt15iterator_traitsISY_E10value_typeET2_T3_PNSZ_IS14_E10value_typeET4_jRbjT5_S1A_jjP12ihipStream_tbEUljE_EEESV_SW_SX_S14_S18_S1A_T6_T7_T9_mT8_S1C_bDpT10_ENKUlT_T0_E_clISt17integral_constantIbLb1EES1O_IbLb0EEEEDaS1K_S1L_EUlS1K_E_NS1_11comp_targetILNS1_3genE3ELNS1_11target_archE908ELNS1_3gpuE7ELNS1_3repE0EEENS1_30default_config_static_selectorELNS0_4arch9wavefront6targetE0EEEvSY_.has_indirect_call, 0
	.section	.AMDGPU.csdata,"",@progbits
; Kernel info:
; codeLenInByte = 0
; TotalNumSgprs: 0
; NumVgprs: 0
; ScratchSize: 0
; MemoryBound: 0
; FloatMode: 240
; IeeeMode: 1
; LDSByteSize: 0 bytes/workgroup (compile time only)
; SGPRBlocks: 0
; VGPRBlocks: 0
; NumSGPRsForWavesPerEU: 1
; NumVGPRsForWavesPerEU: 1
; NamedBarCnt: 0
; Occupancy: 16
; WaveLimiterHint : 0
; COMPUTE_PGM_RSRC2:SCRATCH_EN: 0
; COMPUTE_PGM_RSRC2:USER_SGPR: 2
; COMPUTE_PGM_RSRC2:TRAP_HANDLER: 0
; COMPUTE_PGM_RSRC2:TGID_X_EN: 1
; COMPUTE_PGM_RSRC2:TGID_Y_EN: 0
; COMPUTE_PGM_RSRC2:TGID_Z_EN: 0
; COMPUTE_PGM_RSRC2:TIDIG_COMP_CNT: 0
	.section	.text._ZN7rocprim17ROCPRIM_400000_NS6detail17trampoline_kernelINS0_13select_configILj256ELj13ELNS0_17block_load_methodE3ELS4_3ELS4_3ELNS0_20block_scan_algorithmE0ELj4294967295EEENS1_25partition_config_selectorILNS1_17partition_subalgoE3EjNS0_10empty_typeEbEEZZNS1_14partition_implILS8_3ELb0ES6_jNS0_17counting_iteratorIjlEEPS9_SE_NS0_5tupleIJPjSE_EEENSF_IJSE_SE_EEES9_SG_JZNS1_25segmented_radix_sort_implINS0_14default_configELb1EPKhPhPKlPlN2at6native12_GLOBAL__N_18offset_tEEE10hipError_tPvRmT1_PNSt15iterator_traitsISY_E10value_typeET2_T3_PNSZ_IS14_E10value_typeET4_jRbjT5_S1A_jjP12ihipStream_tbEUljE_EEESV_SW_SX_S14_S18_S1A_T6_T7_T9_mT8_S1C_bDpT10_ENKUlT_T0_E_clISt17integral_constantIbLb1EES1O_IbLb0EEEEDaS1K_S1L_EUlS1K_E_NS1_11comp_targetILNS1_3genE2ELNS1_11target_archE906ELNS1_3gpuE6ELNS1_3repE0EEENS1_30default_config_static_selectorELNS0_4arch9wavefront6targetE0EEEvSY_,"axG",@progbits,_ZN7rocprim17ROCPRIM_400000_NS6detail17trampoline_kernelINS0_13select_configILj256ELj13ELNS0_17block_load_methodE3ELS4_3ELS4_3ELNS0_20block_scan_algorithmE0ELj4294967295EEENS1_25partition_config_selectorILNS1_17partition_subalgoE3EjNS0_10empty_typeEbEEZZNS1_14partition_implILS8_3ELb0ES6_jNS0_17counting_iteratorIjlEEPS9_SE_NS0_5tupleIJPjSE_EEENSF_IJSE_SE_EEES9_SG_JZNS1_25segmented_radix_sort_implINS0_14default_configELb1EPKhPhPKlPlN2at6native12_GLOBAL__N_18offset_tEEE10hipError_tPvRmT1_PNSt15iterator_traitsISY_E10value_typeET2_T3_PNSZ_IS14_E10value_typeET4_jRbjT5_S1A_jjP12ihipStream_tbEUljE_EEESV_SW_SX_S14_S18_S1A_T6_T7_T9_mT8_S1C_bDpT10_ENKUlT_T0_E_clISt17integral_constantIbLb1EES1O_IbLb0EEEEDaS1K_S1L_EUlS1K_E_NS1_11comp_targetILNS1_3genE2ELNS1_11target_archE906ELNS1_3gpuE6ELNS1_3repE0EEENS1_30default_config_static_selectorELNS0_4arch9wavefront6targetE0EEEvSY_,comdat
	.globl	_ZN7rocprim17ROCPRIM_400000_NS6detail17trampoline_kernelINS0_13select_configILj256ELj13ELNS0_17block_load_methodE3ELS4_3ELS4_3ELNS0_20block_scan_algorithmE0ELj4294967295EEENS1_25partition_config_selectorILNS1_17partition_subalgoE3EjNS0_10empty_typeEbEEZZNS1_14partition_implILS8_3ELb0ES6_jNS0_17counting_iteratorIjlEEPS9_SE_NS0_5tupleIJPjSE_EEENSF_IJSE_SE_EEES9_SG_JZNS1_25segmented_radix_sort_implINS0_14default_configELb1EPKhPhPKlPlN2at6native12_GLOBAL__N_18offset_tEEE10hipError_tPvRmT1_PNSt15iterator_traitsISY_E10value_typeET2_T3_PNSZ_IS14_E10value_typeET4_jRbjT5_S1A_jjP12ihipStream_tbEUljE_EEESV_SW_SX_S14_S18_S1A_T6_T7_T9_mT8_S1C_bDpT10_ENKUlT_T0_E_clISt17integral_constantIbLb1EES1O_IbLb0EEEEDaS1K_S1L_EUlS1K_E_NS1_11comp_targetILNS1_3genE2ELNS1_11target_archE906ELNS1_3gpuE6ELNS1_3repE0EEENS1_30default_config_static_selectorELNS0_4arch9wavefront6targetE0EEEvSY_ ; -- Begin function _ZN7rocprim17ROCPRIM_400000_NS6detail17trampoline_kernelINS0_13select_configILj256ELj13ELNS0_17block_load_methodE3ELS4_3ELS4_3ELNS0_20block_scan_algorithmE0ELj4294967295EEENS1_25partition_config_selectorILNS1_17partition_subalgoE3EjNS0_10empty_typeEbEEZZNS1_14partition_implILS8_3ELb0ES6_jNS0_17counting_iteratorIjlEEPS9_SE_NS0_5tupleIJPjSE_EEENSF_IJSE_SE_EEES9_SG_JZNS1_25segmented_radix_sort_implINS0_14default_configELb1EPKhPhPKlPlN2at6native12_GLOBAL__N_18offset_tEEE10hipError_tPvRmT1_PNSt15iterator_traitsISY_E10value_typeET2_T3_PNSZ_IS14_E10value_typeET4_jRbjT5_S1A_jjP12ihipStream_tbEUljE_EEESV_SW_SX_S14_S18_S1A_T6_T7_T9_mT8_S1C_bDpT10_ENKUlT_T0_E_clISt17integral_constantIbLb1EES1O_IbLb0EEEEDaS1K_S1L_EUlS1K_E_NS1_11comp_targetILNS1_3genE2ELNS1_11target_archE906ELNS1_3gpuE6ELNS1_3repE0EEENS1_30default_config_static_selectorELNS0_4arch9wavefront6targetE0EEEvSY_
	.p2align	8
	.type	_ZN7rocprim17ROCPRIM_400000_NS6detail17trampoline_kernelINS0_13select_configILj256ELj13ELNS0_17block_load_methodE3ELS4_3ELS4_3ELNS0_20block_scan_algorithmE0ELj4294967295EEENS1_25partition_config_selectorILNS1_17partition_subalgoE3EjNS0_10empty_typeEbEEZZNS1_14partition_implILS8_3ELb0ES6_jNS0_17counting_iteratorIjlEEPS9_SE_NS0_5tupleIJPjSE_EEENSF_IJSE_SE_EEES9_SG_JZNS1_25segmented_radix_sort_implINS0_14default_configELb1EPKhPhPKlPlN2at6native12_GLOBAL__N_18offset_tEEE10hipError_tPvRmT1_PNSt15iterator_traitsISY_E10value_typeET2_T3_PNSZ_IS14_E10value_typeET4_jRbjT5_S1A_jjP12ihipStream_tbEUljE_EEESV_SW_SX_S14_S18_S1A_T6_T7_T9_mT8_S1C_bDpT10_ENKUlT_T0_E_clISt17integral_constantIbLb1EES1O_IbLb0EEEEDaS1K_S1L_EUlS1K_E_NS1_11comp_targetILNS1_3genE2ELNS1_11target_archE906ELNS1_3gpuE6ELNS1_3repE0EEENS1_30default_config_static_selectorELNS0_4arch9wavefront6targetE0EEEvSY_,@function
_ZN7rocprim17ROCPRIM_400000_NS6detail17trampoline_kernelINS0_13select_configILj256ELj13ELNS0_17block_load_methodE3ELS4_3ELS4_3ELNS0_20block_scan_algorithmE0ELj4294967295EEENS1_25partition_config_selectorILNS1_17partition_subalgoE3EjNS0_10empty_typeEbEEZZNS1_14partition_implILS8_3ELb0ES6_jNS0_17counting_iteratorIjlEEPS9_SE_NS0_5tupleIJPjSE_EEENSF_IJSE_SE_EEES9_SG_JZNS1_25segmented_radix_sort_implINS0_14default_configELb1EPKhPhPKlPlN2at6native12_GLOBAL__N_18offset_tEEE10hipError_tPvRmT1_PNSt15iterator_traitsISY_E10value_typeET2_T3_PNSZ_IS14_E10value_typeET4_jRbjT5_S1A_jjP12ihipStream_tbEUljE_EEESV_SW_SX_S14_S18_S1A_T6_T7_T9_mT8_S1C_bDpT10_ENKUlT_T0_E_clISt17integral_constantIbLb1EES1O_IbLb0EEEEDaS1K_S1L_EUlS1K_E_NS1_11comp_targetILNS1_3genE2ELNS1_11target_archE906ELNS1_3gpuE6ELNS1_3repE0EEENS1_30default_config_static_selectorELNS0_4arch9wavefront6targetE0EEEvSY_: ; @_ZN7rocprim17ROCPRIM_400000_NS6detail17trampoline_kernelINS0_13select_configILj256ELj13ELNS0_17block_load_methodE3ELS4_3ELS4_3ELNS0_20block_scan_algorithmE0ELj4294967295EEENS1_25partition_config_selectorILNS1_17partition_subalgoE3EjNS0_10empty_typeEbEEZZNS1_14partition_implILS8_3ELb0ES6_jNS0_17counting_iteratorIjlEEPS9_SE_NS0_5tupleIJPjSE_EEENSF_IJSE_SE_EEES9_SG_JZNS1_25segmented_radix_sort_implINS0_14default_configELb1EPKhPhPKlPlN2at6native12_GLOBAL__N_18offset_tEEE10hipError_tPvRmT1_PNSt15iterator_traitsISY_E10value_typeET2_T3_PNSZ_IS14_E10value_typeET4_jRbjT5_S1A_jjP12ihipStream_tbEUljE_EEESV_SW_SX_S14_S18_S1A_T6_T7_T9_mT8_S1C_bDpT10_ENKUlT_T0_E_clISt17integral_constantIbLb1EES1O_IbLb0EEEEDaS1K_S1L_EUlS1K_E_NS1_11comp_targetILNS1_3genE2ELNS1_11target_archE906ELNS1_3gpuE6ELNS1_3repE0EEENS1_30default_config_static_selectorELNS0_4arch9wavefront6targetE0EEEvSY_
; %bb.0:
	.section	.rodata,"a",@progbits
	.p2align	6, 0x0
	.amdhsa_kernel _ZN7rocprim17ROCPRIM_400000_NS6detail17trampoline_kernelINS0_13select_configILj256ELj13ELNS0_17block_load_methodE3ELS4_3ELS4_3ELNS0_20block_scan_algorithmE0ELj4294967295EEENS1_25partition_config_selectorILNS1_17partition_subalgoE3EjNS0_10empty_typeEbEEZZNS1_14partition_implILS8_3ELb0ES6_jNS0_17counting_iteratorIjlEEPS9_SE_NS0_5tupleIJPjSE_EEENSF_IJSE_SE_EEES9_SG_JZNS1_25segmented_radix_sort_implINS0_14default_configELb1EPKhPhPKlPlN2at6native12_GLOBAL__N_18offset_tEEE10hipError_tPvRmT1_PNSt15iterator_traitsISY_E10value_typeET2_T3_PNSZ_IS14_E10value_typeET4_jRbjT5_S1A_jjP12ihipStream_tbEUljE_EEESV_SW_SX_S14_S18_S1A_T6_T7_T9_mT8_S1C_bDpT10_ENKUlT_T0_E_clISt17integral_constantIbLb1EES1O_IbLb0EEEEDaS1K_S1L_EUlS1K_E_NS1_11comp_targetILNS1_3genE2ELNS1_11target_archE906ELNS1_3gpuE6ELNS1_3repE0EEENS1_30default_config_static_selectorELNS0_4arch9wavefront6targetE0EEEvSY_
		.amdhsa_group_segment_fixed_size 0
		.amdhsa_private_segment_fixed_size 0
		.amdhsa_kernarg_size 144
		.amdhsa_user_sgpr_count 2
		.amdhsa_user_sgpr_dispatch_ptr 0
		.amdhsa_user_sgpr_queue_ptr 0
		.amdhsa_user_sgpr_kernarg_segment_ptr 1
		.amdhsa_user_sgpr_dispatch_id 0
		.amdhsa_user_sgpr_kernarg_preload_length 0
		.amdhsa_user_sgpr_kernarg_preload_offset 0
		.amdhsa_user_sgpr_private_segment_size 0
		.amdhsa_wavefront_size32 1
		.amdhsa_uses_dynamic_stack 0
		.amdhsa_enable_private_segment 0
		.amdhsa_system_sgpr_workgroup_id_x 1
		.amdhsa_system_sgpr_workgroup_id_y 0
		.amdhsa_system_sgpr_workgroup_id_z 0
		.amdhsa_system_sgpr_workgroup_info 0
		.amdhsa_system_vgpr_workitem_id 0
		.amdhsa_next_free_vgpr 1
		.amdhsa_next_free_sgpr 1
		.amdhsa_named_barrier_count 0
		.amdhsa_reserve_vcc 0
		.amdhsa_float_round_mode_32 0
		.amdhsa_float_round_mode_16_64 0
		.amdhsa_float_denorm_mode_32 3
		.amdhsa_float_denorm_mode_16_64 3
		.amdhsa_fp16_overflow 0
		.amdhsa_memory_ordered 1
		.amdhsa_forward_progress 1
		.amdhsa_inst_pref_size 0
		.amdhsa_round_robin_scheduling 0
		.amdhsa_exception_fp_ieee_invalid_op 0
		.amdhsa_exception_fp_denorm_src 0
		.amdhsa_exception_fp_ieee_div_zero 0
		.amdhsa_exception_fp_ieee_overflow 0
		.amdhsa_exception_fp_ieee_underflow 0
		.amdhsa_exception_fp_ieee_inexact 0
		.amdhsa_exception_int_div_zero 0
	.end_amdhsa_kernel
	.section	.text._ZN7rocprim17ROCPRIM_400000_NS6detail17trampoline_kernelINS0_13select_configILj256ELj13ELNS0_17block_load_methodE3ELS4_3ELS4_3ELNS0_20block_scan_algorithmE0ELj4294967295EEENS1_25partition_config_selectorILNS1_17partition_subalgoE3EjNS0_10empty_typeEbEEZZNS1_14partition_implILS8_3ELb0ES6_jNS0_17counting_iteratorIjlEEPS9_SE_NS0_5tupleIJPjSE_EEENSF_IJSE_SE_EEES9_SG_JZNS1_25segmented_radix_sort_implINS0_14default_configELb1EPKhPhPKlPlN2at6native12_GLOBAL__N_18offset_tEEE10hipError_tPvRmT1_PNSt15iterator_traitsISY_E10value_typeET2_T3_PNSZ_IS14_E10value_typeET4_jRbjT5_S1A_jjP12ihipStream_tbEUljE_EEESV_SW_SX_S14_S18_S1A_T6_T7_T9_mT8_S1C_bDpT10_ENKUlT_T0_E_clISt17integral_constantIbLb1EES1O_IbLb0EEEEDaS1K_S1L_EUlS1K_E_NS1_11comp_targetILNS1_3genE2ELNS1_11target_archE906ELNS1_3gpuE6ELNS1_3repE0EEENS1_30default_config_static_selectorELNS0_4arch9wavefront6targetE0EEEvSY_,"axG",@progbits,_ZN7rocprim17ROCPRIM_400000_NS6detail17trampoline_kernelINS0_13select_configILj256ELj13ELNS0_17block_load_methodE3ELS4_3ELS4_3ELNS0_20block_scan_algorithmE0ELj4294967295EEENS1_25partition_config_selectorILNS1_17partition_subalgoE3EjNS0_10empty_typeEbEEZZNS1_14partition_implILS8_3ELb0ES6_jNS0_17counting_iteratorIjlEEPS9_SE_NS0_5tupleIJPjSE_EEENSF_IJSE_SE_EEES9_SG_JZNS1_25segmented_radix_sort_implINS0_14default_configELb1EPKhPhPKlPlN2at6native12_GLOBAL__N_18offset_tEEE10hipError_tPvRmT1_PNSt15iterator_traitsISY_E10value_typeET2_T3_PNSZ_IS14_E10value_typeET4_jRbjT5_S1A_jjP12ihipStream_tbEUljE_EEESV_SW_SX_S14_S18_S1A_T6_T7_T9_mT8_S1C_bDpT10_ENKUlT_T0_E_clISt17integral_constantIbLb1EES1O_IbLb0EEEEDaS1K_S1L_EUlS1K_E_NS1_11comp_targetILNS1_3genE2ELNS1_11target_archE906ELNS1_3gpuE6ELNS1_3repE0EEENS1_30default_config_static_selectorELNS0_4arch9wavefront6targetE0EEEvSY_,comdat
.Lfunc_end70:
	.size	_ZN7rocprim17ROCPRIM_400000_NS6detail17trampoline_kernelINS0_13select_configILj256ELj13ELNS0_17block_load_methodE3ELS4_3ELS4_3ELNS0_20block_scan_algorithmE0ELj4294967295EEENS1_25partition_config_selectorILNS1_17partition_subalgoE3EjNS0_10empty_typeEbEEZZNS1_14partition_implILS8_3ELb0ES6_jNS0_17counting_iteratorIjlEEPS9_SE_NS0_5tupleIJPjSE_EEENSF_IJSE_SE_EEES9_SG_JZNS1_25segmented_radix_sort_implINS0_14default_configELb1EPKhPhPKlPlN2at6native12_GLOBAL__N_18offset_tEEE10hipError_tPvRmT1_PNSt15iterator_traitsISY_E10value_typeET2_T3_PNSZ_IS14_E10value_typeET4_jRbjT5_S1A_jjP12ihipStream_tbEUljE_EEESV_SW_SX_S14_S18_S1A_T6_T7_T9_mT8_S1C_bDpT10_ENKUlT_T0_E_clISt17integral_constantIbLb1EES1O_IbLb0EEEEDaS1K_S1L_EUlS1K_E_NS1_11comp_targetILNS1_3genE2ELNS1_11target_archE906ELNS1_3gpuE6ELNS1_3repE0EEENS1_30default_config_static_selectorELNS0_4arch9wavefront6targetE0EEEvSY_, .Lfunc_end70-_ZN7rocprim17ROCPRIM_400000_NS6detail17trampoline_kernelINS0_13select_configILj256ELj13ELNS0_17block_load_methodE3ELS4_3ELS4_3ELNS0_20block_scan_algorithmE0ELj4294967295EEENS1_25partition_config_selectorILNS1_17partition_subalgoE3EjNS0_10empty_typeEbEEZZNS1_14partition_implILS8_3ELb0ES6_jNS0_17counting_iteratorIjlEEPS9_SE_NS0_5tupleIJPjSE_EEENSF_IJSE_SE_EEES9_SG_JZNS1_25segmented_radix_sort_implINS0_14default_configELb1EPKhPhPKlPlN2at6native12_GLOBAL__N_18offset_tEEE10hipError_tPvRmT1_PNSt15iterator_traitsISY_E10value_typeET2_T3_PNSZ_IS14_E10value_typeET4_jRbjT5_S1A_jjP12ihipStream_tbEUljE_EEESV_SW_SX_S14_S18_S1A_T6_T7_T9_mT8_S1C_bDpT10_ENKUlT_T0_E_clISt17integral_constantIbLb1EES1O_IbLb0EEEEDaS1K_S1L_EUlS1K_E_NS1_11comp_targetILNS1_3genE2ELNS1_11target_archE906ELNS1_3gpuE6ELNS1_3repE0EEENS1_30default_config_static_selectorELNS0_4arch9wavefront6targetE0EEEvSY_
                                        ; -- End function
	.set _ZN7rocprim17ROCPRIM_400000_NS6detail17trampoline_kernelINS0_13select_configILj256ELj13ELNS0_17block_load_methodE3ELS4_3ELS4_3ELNS0_20block_scan_algorithmE0ELj4294967295EEENS1_25partition_config_selectorILNS1_17partition_subalgoE3EjNS0_10empty_typeEbEEZZNS1_14partition_implILS8_3ELb0ES6_jNS0_17counting_iteratorIjlEEPS9_SE_NS0_5tupleIJPjSE_EEENSF_IJSE_SE_EEES9_SG_JZNS1_25segmented_radix_sort_implINS0_14default_configELb1EPKhPhPKlPlN2at6native12_GLOBAL__N_18offset_tEEE10hipError_tPvRmT1_PNSt15iterator_traitsISY_E10value_typeET2_T3_PNSZ_IS14_E10value_typeET4_jRbjT5_S1A_jjP12ihipStream_tbEUljE_EEESV_SW_SX_S14_S18_S1A_T6_T7_T9_mT8_S1C_bDpT10_ENKUlT_T0_E_clISt17integral_constantIbLb1EES1O_IbLb0EEEEDaS1K_S1L_EUlS1K_E_NS1_11comp_targetILNS1_3genE2ELNS1_11target_archE906ELNS1_3gpuE6ELNS1_3repE0EEENS1_30default_config_static_selectorELNS0_4arch9wavefront6targetE0EEEvSY_.num_vgpr, 0
	.set _ZN7rocprim17ROCPRIM_400000_NS6detail17trampoline_kernelINS0_13select_configILj256ELj13ELNS0_17block_load_methodE3ELS4_3ELS4_3ELNS0_20block_scan_algorithmE0ELj4294967295EEENS1_25partition_config_selectorILNS1_17partition_subalgoE3EjNS0_10empty_typeEbEEZZNS1_14partition_implILS8_3ELb0ES6_jNS0_17counting_iteratorIjlEEPS9_SE_NS0_5tupleIJPjSE_EEENSF_IJSE_SE_EEES9_SG_JZNS1_25segmented_radix_sort_implINS0_14default_configELb1EPKhPhPKlPlN2at6native12_GLOBAL__N_18offset_tEEE10hipError_tPvRmT1_PNSt15iterator_traitsISY_E10value_typeET2_T3_PNSZ_IS14_E10value_typeET4_jRbjT5_S1A_jjP12ihipStream_tbEUljE_EEESV_SW_SX_S14_S18_S1A_T6_T7_T9_mT8_S1C_bDpT10_ENKUlT_T0_E_clISt17integral_constantIbLb1EES1O_IbLb0EEEEDaS1K_S1L_EUlS1K_E_NS1_11comp_targetILNS1_3genE2ELNS1_11target_archE906ELNS1_3gpuE6ELNS1_3repE0EEENS1_30default_config_static_selectorELNS0_4arch9wavefront6targetE0EEEvSY_.num_agpr, 0
	.set _ZN7rocprim17ROCPRIM_400000_NS6detail17trampoline_kernelINS0_13select_configILj256ELj13ELNS0_17block_load_methodE3ELS4_3ELS4_3ELNS0_20block_scan_algorithmE0ELj4294967295EEENS1_25partition_config_selectorILNS1_17partition_subalgoE3EjNS0_10empty_typeEbEEZZNS1_14partition_implILS8_3ELb0ES6_jNS0_17counting_iteratorIjlEEPS9_SE_NS0_5tupleIJPjSE_EEENSF_IJSE_SE_EEES9_SG_JZNS1_25segmented_radix_sort_implINS0_14default_configELb1EPKhPhPKlPlN2at6native12_GLOBAL__N_18offset_tEEE10hipError_tPvRmT1_PNSt15iterator_traitsISY_E10value_typeET2_T3_PNSZ_IS14_E10value_typeET4_jRbjT5_S1A_jjP12ihipStream_tbEUljE_EEESV_SW_SX_S14_S18_S1A_T6_T7_T9_mT8_S1C_bDpT10_ENKUlT_T0_E_clISt17integral_constantIbLb1EES1O_IbLb0EEEEDaS1K_S1L_EUlS1K_E_NS1_11comp_targetILNS1_3genE2ELNS1_11target_archE906ELNS1_3gpuE6ELNS1_3repE0EEENS1_30default_config_static_selectorELNS0_4arch9wavefront6targetE0EEEvSY_.numbered_sgpr, 0
	.set _ZN7rocprim17ROCPRIM_400000_NS6detail17trampoline_kernelINS0_13select_configILj256ELj13ELNS0_17block_load_methodE3ELS4_3ELS4_3ELNS0_20block_scan_algorithmE0ELj4294967295EEENS1_25partition_config_selectorILNS1_17partition_subalgoE3EjNS0_10empty_typeEbEEZZNS1_14partition_implILS8_3ELb0ES6_jNS0_17counting_iteratorIjlEEPS9_SE_NS0_5tupleIJPjSE_EEENSF_IJSE_SE_EEES9_SG_JZNS1_25segmented_radix_sort_implINS0_14default_configELb1EPKhPhPKlPlN2at6native12_GLOBAL__N_18offset_tEEE10hipError_tPvRmT1_PNSt15iterator_traitsISY_E10value_typeET2_T3_PNSZ_IS14_E10value_typeET4_jRbjT5_S1A_jjP12ihipStream_tbEUljE_EEESV_SW_SX_S14_S18_S1A_T6_T7_T9_mT8_S1C_bDpT10_ENKUlT_T0_E_clISt17integral_constantIbLb1EES1O_IbLb0EEEEDaS1K_S1L_EUlS1K_E_NS1_11comp_targetILNS1_3genE2ELNS1_11target_archE906ELNS1_3gpuE6ELNS1_3repE0EEENS1_30default_config_static_selectorELNS0_4arch9wavefront6targetE0EEEvSY_.num_named_barrier, 0
	.set _ZN7rocprim17ROCPRIM_400000_NS6detail17trampoline_kernelINS0_13select_configILj256ELj13ELNS0_17block_load_methodE3ELS4_3ELS4_3ELNS0_20block_scan_algorithmE0ELj4294967295EEENS1_25partition_config_selectorILNS1_17partition_subalgoE3EjNS0_10empty_typeEbEEZZNS1_14partition_implILS8_3ELb0ES6_jNS0_17counting_iteratorIjlEEPS9_SE_NS0_5tupleIJPjSE_EEENSF_IJSE_SE_EEES9_SG_JZNS1_25segmented_radix_sort_implINS0_14default_configELb1EPKhPhPKlPlN2at6native12_GLOBAL__N_18offset_tEEE10hipError_tPvRmT1_PNSt15iterator_traitsISY_E10value_typeET2_T3_PNSZ_IS14_E10value_typeET4_jRbjT5_S1A_jjP12ihipStream_tbEUljE_EEESV_SW_SX_S14_S18_S1A_T6_T7_T9_mT8_S1C_bDpT10_ENKUlT_T0_E_clISt17integral_constantIbLb1EES1O_IbLb0EEEEDaS1K_S1L_EUlS1K_E_NS1_11comp_targetILNS1_3genE2ELNS1_11target_archE906ELNS1_3gpuE6ELNS1_3repE0EEENS1_30default_config_static_selectorELNS0_4arch9wavefront6targetE0EEEvSY_.private_seg_size, 0
	.set _ZN7rocprim17ROCPRIM_400000_NS6detail17trampoline_kernelINS0_13select_configILj256ELj13ELNS0_17block_load_methodE3ELS4_3ELS4_3ELNS0_20block_scan_algorithmE0ELj4294967295EEENS1_25partition_config_selectorILNS1_17partition_subalgoE3EjNS0_10empty_typeEbEEZZNS1_14partition_implILS8_3ELb0ES6_jNS0_17counting_iteratorIjlEEPS9_SE_NS0_5tupleIJPjSE_EEENSF_IJSE_SE_EEES9_SG_JZNS1_25segmented_radix_sort_implINS0_14default_configELb1EPKhPhPKlPlN2at6native12_GLOBAL__N_18offset_tEEE10hipError_tPvRmT1_PNSt15iterator_traitsISY_E10value_typeET2_T3_PNSZ_IS14_E10value_typeET4_jRbjT5_S1A_jjP12ihipStream_tbEUljE_EEESV_SW_SX_S14_S18_S1A_T6_T7_T9_mT8_S1C_bDpT10_ENKUlT_T0_E_clISt17integral_constantIbLb1EES1O_IbLb0EEEEDaS1K_S1L_EUlS1K_E_NS1_11comp_targetILNS1_3genE2ELNS1_11target_archE906ELNS1_3gpuE6ELNS1_3repE0EEENS1_30default_config_static_selectorELNS0_4arch9wavefront6targetE0EEEvSY_.uses_vcc, 0
	.set _ZN7rocprim17ROCPRIM_400000_NS6detail17trampoline_kernelINS0_13select_configILj256ELj13ELNS0_17block_load_methodE3ELS4_3ELS4_3ELNS0_20block_scan_algorithmE0ELj4294967295EEENS1_25partition_config_selectorILNS1_17partition_subalgoE3EjNS0_10empty_typeEbEEZZNS1_14partition_implILS8_3ELb0ES6_jNS0_17counting_iteratorIjlEEPS9_SE_NS0_5tupleIJPjSE_EEENSF_IJSE_SE_EEES9_SG_JZNS1_25segmented_radix_sort_implINS0_14default_configELb1EPKhPhPKlPlN2at6native12_GLOBAL__N_18offset_tEEE10hipError_tPvRmT1_PNSt15iterator_traitsISY_E10value_typeET2_T3_PNSZ_IS14_E10value_typeET4_jRbjT5_S1A_jjP12ihipStream_tbEUljE_EEESV_SW_SX_S14_S18_S1A_T6_T7_T9_mT8_S1C_bDpT10_ENKUlT_T0_E_clISt17integral_constantIbLb1EES1O_IbLb0EEEEDaS1K_S1L_EUlS1K_E_NS1_11comp_targetILNS1_3genE2ELNS1_11target_archE906ELNS1_3gpuE6ELNS1_3repE0EEENS1_30default_config_static_selectorELNS0_4arch9wavefront6targetE0EEEvSY_.uses_flat_scratch, 0
	.set _ZN7rocprim17ROCPRIM_400000_NS6detail17trampoline_kernelINS0_13select_configILj256ELj13ELNS0_17block_load_methodE3ELS4_3ELS4_3ELNS0_20block_scan_algorithmE0ELj4294967295EEENS1_25partition_config_selectorILNS1_17partition_subalgoE3EjNS0_10empty_typeEbEEZZNS1_14partition_implILS8_3ELb0ES6_jNS0_17counting_iteratorIjlEEPS9_SE_NS0_5tupleIJPjSE_EEENSF_IJSE_SE_EEES9_SG_JZNS1_25segmented_radix_sort_implINS0_14default_configELb1EPKhPhPKlPlN2at6native12_GLOBAL__N_18offset_tEEE10hipError_tPvRmT1_PNSt15iterator_traitsISY_E10value_typeET2_T3_PNSZ_IS14_E10value_typeET4_jRbjT5_S1A_jjP12ihipStream_tbEUljE_EEESV_SW_SX_S14_S18_S1A_T6_T7_T9_mT8_S1C_bDpT10_ENKUlT_T0_E_clISt17integral_constantIbLb1EES1O_IbLb0EEEEDaS1K_S1L_EUlS1K_E_NS1_11comp_targetILNS1_3genE2ELNS1_11target_archE906ELNS1_3gpuE6ELNS1_3repE0EEENS1_30default_config_static_selectorELNS0_4arch9wavefront6targetE0EEEvSY_.has_dyn_sized_stack, 0
	.set _ZN7rocprim17ROCPRIM_400000_NS6detail17trampoline_kernelINS0_13select_configILj256ELj13ELNS0_17block_load_methodE3ELS4_3ELS4_3ELNS0_20block_scan_algorithmE0ELj4294967295EEENS1_25partition_config_selectorILNS1_17partition_subalgoE3EjNS0_10empty_typeEbEEZZNS1_14partition_implILS8_3ELb0ES6_jNS0_17counting_iteratorIjlEEPS9_SE_NS0_5tupleIJPjSE_EEENSF_IJSE_SE_EEES9_SG_JZNS1_25segmented_radix_sort_implINS0_14default_configELb1EPKhPhPKlPlN2at6native12_GLOBAL__N_18offset_tEEE10hipError_tPvRmT1_PNSt15iterator_traitsISY_E10value_typeET2_T3_PNSZ_IS14_E10value_typeET4_jRbjT5_S1A_jjP12ihipStream_tbEUljE_EEESV_SW_SX_S14_S18_S1A_T6_T7_T9_mT8_S1C_bDpT10_ENKUlT_T0_E_clISt17integral_constantIbLb1EES1O_IbLb0EEEEDaS1K_S1L_EUlS1K_E_NS1_11comp_targetILNS1_3genE2ELNS1_11target_archE906ELNS1_3gpuE6ELNS1_3repE0EEENS1_30default_config_static_selectorELNS0_4arch9wavefront6targetE0EEEvSY_.has_recursion, 0
	.set _ZN7rocprim17ROCPRIM_400000_NS6detail17trampoline_kernelINS0_13select_configILj256ELj13ELNS0_17block_load_methodE3ELS4_3ELS4_3ELNS0_20block_scan_algorithmE0ELj4294967295EEENS1_25partition_config_selectorILNS1_17partition_subalgoE3EjNS0_10empty_typeEbEEZZNS1_14partition_implILS8_3ELb0ES6_jNS0_17counting_iteratorIjlEEPS9_SE_NS0_5tupleIJPjSE_EEENSF_IJSE_SE_EEES9_SG_JZNS1_25segmented_radix_sort_implINS0_14default_configELb1EPKhPhPKlPlN2at6native12_GLOBAL__N_18offset_tEEE10hipError_tPvRmT1_PNSt15iterator_traitsISY_E10value_typeET2_T3_PNSZ_IS14_E10value_typeET4_jRbjT5_S1A_jjP12ihipStream_tbEUljE_EEESV_SW_SX_S14_S18_S1A_T6_T7_T9_mT8_S1C_bDpT10_ENKUlT_T0_E_clISt17integral_constantIbLb1EES1O_IbLb0EEEEDaS1K_S1L_EUlS1K_E_NS1_11comp_targetILNS1_3genE2ELNS1_11target_archE906ELNS1_3gpuE6ELNS1_3repE0EEENS1_30default_config_static_selectorELNS0_4arch9wavefront6targetE0EEEvSY_.has_indirect_call, 0
	.section	.AMDGPU.csdata,"",@progbits
; Kernel info:
; codeLenInByte = 0
; TotalNumSgprs: 0
; NumVgprs: 0
; ScratchSize: 0
; MemoryBound: 0
; FloatMode: 240
; IeeeMode: 1
; LDSByteSize: 0 bytes/workgroup (compile time only)
; SGPRBlocks: 0
; VGPRBlocks: 0
; NumSGPRsForWavesPerEU: 1
; NumVGPRsForWavesPerEU: 1
; NamedBarCnt: 0
; Occupancy: 16
; WaveLimiterHint : 0
; COMPUTE_PGM_RSRC2:SCRATCH_EN: 0
; COMPUTE_PGM_RSRC2:USER_SGPR: 2
; COMPUTE_PGM_RSRC2:TRAP_HANDLER: 0
; COMPUTE_PGM_RSRC2:TGID_X_EN: 1
; COMPUTE_PGM_RSRC2:TGID_Y_EN: 0
; COMPUTE_PGM_RSRC2:TGID_Z_EN: 0
; COMPUTE_PGM_RSRC2:TIDIG_COMP_CNT: 0
	.section	.text._ZN7rocprim17ROCPRIM_400000_NS6detail17trampoline_kernelINS0_13select_configILj256ELj13ELNS0_17block_load_methodE3ELS4_3ELS4_3ELNS0_20block_scan_algorithmE0ELj4294967295EEENS1_25partition_config_selectorILNS1_17partition_subalgoE3EjNS0_10empty_typeEbEEZZNS1_14partition_implILS8_3ELb0ES6_jNS0_17counting_iteratorIjlEEPS9_SE_NS0_5tupleIJPjSE_EEENSF_IJSE_SE_EEES9_SG_JZNS1_25segmented_radix_sort_implINS0_14default_configELb1EPKhPhPKlPlN2at6native12_GLOBAL__N_18offset_tEEE10hipError_tPvRmT1_PNSt15iterator_traitsISY_E10value_typeET2_T3_PNSZ_IS14_E10value_typeET4_jRbjT5_S1A_jjP12ihipStream_tbEUljE_EEESV_SW_SX_S14_S18_S1A_T6_T7_T9_mT8_S1C_bDpT10_ENKUlT_T0_E_clISt17integral_constantIbLb1EES1O_IbLb0EEEEDaS1K_S1L_EUlS1K_E_NS1_11comp_targetILNS1_3genE10ELNS1_11target_archE1200ELNS1_3gpuE4ELNS1_3repE0EEENS1_30default_config_static_selectorELNS0_4arch9wavefront6targetE0EEEvSY_,"axG",@progbits,_ZN7rocprim17ROCPRIM_400000_NS6detail17trampoline_kernelINS0_13select_configILj256ELj13ELNS0_17block_load_methodE3ELS4_3ELS4_3ELNS0_20block_scan_algorithmE0ELj4294967295EEENS1_25partition_config_selectorILNS1_17partition_subalgoE3EjNS0_10empty_typeEbEEZZNS1_14partition_implILS8_3ELb0ES6_jNS0_17counting_iteratorIjlEEPS9_SE_NS0_5tupleIJPjSE_EEENSF_IJSE_SE_EEES9_SG_JZNS1_25segmented_radix_sort_implINS0_14default_configELb1EPKhPhPKlPlN2at6native12_GLOBAL__N_18offset_tEEE10hipError_tPvRmT1_PNSt15iterator_traitsISY_E10value_typeET2_T3_PNSZ_IS14_E10value_typeET4_jRbjT5_S1A_jjP12ihipStream_tbEUljE_EEESV_SW_SX_S14_S18_S1A_T6_T7_T9_mT8_S1C_bDpT10_ENKUlT_T0_E_clISt17integral_constantIbLb1EES1O_IbLb0EEEEDaS1K_S1L_EUlS1K_E_NS1_11comp_targetILNS1_3genE10ELNS1_11target_archE1200ELNS1_3gpuE4ELNS1_3repE0EEENS1_30default_config_static_selectorELNS0_4arch9wavefront6targetE0EEEvSY_,comdat
	.globl	_ZN7rocprim17ROCPRIM_400000_NS6detail17trampoline_kernelINS0_13select_configILj256ELj13ELNS0_17block_load_methodE3ELS4_3ELS4_3ELNS0_20block_scan_algorithmE0ELj4294967295EEENS1_25partition_config_selectorILNS1_17partition_subalgoE3EjNS0_10empty_typeEbEEZZNS1_14partition_implILS8_3ELb0ES6_jNS0_17counting_iteratorIjlEEPS9_SE_NS0_5tupleIJPjSE_EEENSF_IJSE_SE_EEES9_SG_JZNS1_25segmented_radix_sort_implINS0_14default_configELb1EPKhPhPKlPlN2at6native12_GLOBAL__N_18offset_tEEE10hipError_tPvRmT1_PNSt15iterator_traitsISY_E10value_typeET2_T3_PNSZ_IS14_E10value_typeET4_jRbjT5_S1A_jjP12ihipStream_tbEUljE_EEESV_SW_SX_S14_S18_S1A_T6_T7_T9_mT8_S1C_bDpT10_ENKUlT_T0_E_clISt17integral_constantIbLb1EES1O_IbLb0EEEEDaS1K_S1L_EUlS1K_E_NS1_11comp_targetILNS1_3genE10ELNS1_11target_archE1200ELNS1_3gpuE4ELNS1_3repE0EEENS1_30default_config_static_selectorELNS0_4arch9wavefront6targetE0EEEvSY_ ; -- Begin function _ZN7rocprim17ROCPRIM_400000_NS6detail17trampoline_kernelINS0_13select_configILj256ELj13ELNS0_17block_load_methodE3ELS4_3ELS4_3ELNS0_20block_scan_algorithmE0ELj4294967295EEENS1_25partition_config_selectorILNS1_17partition_subalgoE3EjNS0_10empty_typeEbEEZZNS1_14partition_implILS8_3ELb0ES6_jNS0_17counting_iteratorIjlEEPS9_SE_NS0_5tupleIJPjSE_EEENSF_IJSE_SE_EEES9_SG_JZNS1_25segmented_radix_sort_implINS0_14default_configELb1EPKhPhPKlPlN2at6native12_GLOBAL__N_18offset_tEEE10hipError_tPvRmT1_PNSt15iterator_traitsISY_E10value_typeET2_T3_PNSZ_IS14_E10value_typeET4_jRbjT5_S1A_jjP12ihipStream_tbEUljE_EEESV_SW_SX_S14_S18_S1A_T6_T7_T9_mT8_S1C_bDpT10_ENKUlT_T0_E_clISt17integral_constantIbLb1EES1O_IbLb0EEEEDaS1K_S1L_EUlS1K_E_NS1_11comp_targetILNS1_3genE10ELNS1_11target_archE1200ELNS1_3gpuE4ELNS1_3repE0EEENS1_30default_config_static_selectorELNS0_4arch9wavefront6targetE0EEEvSY_
	.p2align	8
	.type	_ZN7rocprim17ROCPRIM_400000_NS6detail17trampoline_kernelINS0_13select_configILj256ELj13ELNS0_17block_load_methodE3ELS4_3ELS4_3ELNS0_20block_scan_algorithmE0ELj4294967295EEENS1_25partition_config_selectorILNS1_17partition_subalgoE3EjNS0_10empty_typeEbEEZZNS1_14partition_implILS8_3ELb0ES6_jNS0_17counting_iteratorIjlEEPS9_SE_NS0_5tupleIJPjSE_EEENSF_IJSE_SE_EEES9_SG_JZNS1_25segmented_radix_sort_implINS0_14default_configELb1EPKhPhPKlPlN2at6native12_GLOBAL__N_18offset_tEEE10hipError_tPvRmT1_PNSt15iterator_traitsISY_E10value_typeET2_T3_PNSZ_IS14_E10value_typeET4_jRbjT5_S1A_jjP12ihipStream_tbEUljE_EEESV_SW_SX_S14_S18_S1A_T6_T7_T9_mT8_S1C_bDpT10_ENKUlT_T0_E_clISt17integral_constantIbLb1EES1O_IbLb0EEEEDaS1K_S1L_EUlS1K_E_NS1_11comp_targetILNS1_3genE10ELNS1_11target_archE1200ELNS1_3gpuE4ELNS1_3repE0EEENS1_30default_config_static_selectorELNS0_4arch9wavefront6targetE0EEEvSY_,@function
_ZN7rocprim17ROCPRIM_400000_NS6detail17trampoline_kernelINS0_13select_configILj256ELj13ELNS0_17block_load_methodE3ELS4_3ELS4_3ELNS0_20block_scan_algorithmE0ELj4294967295EEENS1_25partition_config_selectorILNS1_17partition_subalgoE3EjNS0_10empty_typeEbEEZZNS1_14partition_implILS8_3ELb0ES6_jNS0_17counting_iteratorIjlEEPS9_SE_NS0_5tupleIJPjSE_EEENSF_IJSE_SE_EEES9_SG_JZNS1_25segmented_radix_sort_implINS0_14default_configELb1EPKhPhPKlPlN2at6native12_GLOBAL__N_18offset_tEEE10hipError_tPvRmT1_PNSt15iterator_traitsISY_E10value_typeET2_T3_PNSZ_IS14_E10value_typeET4_jRbjT5_S1A_jjP12ihipStream_tbEUljE_EEESV_SW_SX_S14_S18_S1A_T6_T7_T9_mT8_S1C_bDpT10_ENKUlT_T0_E_clISt17integral_constantIbLb1EES1O_IbLb0EEEEDaS1K_S1L_EUlS1K_E_NS1_11comp_targetILNS1_3genE10ELNS1_11target_archE1200ELNS1_3gpuE4ELNS1_3repE0EEENS1_30default_config_static_selectorELNS0_4arch9wavefront6targetE0EEEvSY_: ; @_ZN7rocprim17ROCPRIM_400000_NS6detail17trampoline_kernelINS0_13select_configILj256ELj13ELNS0_17block_load_methodE3ELS4_3ELS4_3ELNS0_20block_scan_algorithmE0ELj4294967295EEENS1_25partition_config_selectorILNS1_17partition_subalgoE3EjNS0_10empty_typeEbEEZZNS1_14partition_implILS8_3ELb0ES6_jNS0_17counting_iteratorIjlEEPS9_SE_NS0_5tupleIJPjSE_EEENSF_IJSE_SE_EEES9_SG_JZNS1_25segmented_radix_sort_implINS0_14default_configELb1EPKhPhPKlPlN2at6native12_GLOBAL__N_18offset_tEEE10hipError_tPvRmT1_PNSt15iterator_traitsISY_E10value_typeET2_T3_PNSZ_IS14_E10value_typeET4_jRbjT5_S1A_jjP12ihipStream_tbEUljE_EEESV_SW_SX_S14_S18_S1A_T6_T7_T9_mT8_S1C_bDpT10_ENKUlT_T0_E_clISt17integral_constantIbLb1EES1O_IbLb0EEEEDaS1K_S1L_EUlS1K_E_NS1_11comp_targetILNS1_3genE10ELNS1_11target_archE1200ELNS1_3gpuE4ELNS1_3repE0EEENS1_30default_config_static_selectorELNS0_4arch9wavefront6targetE0EEEvSY_
; %bb.0:
	.section	.rodata,"a",@progbits
	.p2align	6, 0x0
	.amdhsa_kernel _ZN7rocprim17ROCPRIM_400000_NS6detail17trampoline_kernelINS0_13select_configILj256ELj13ELNS0_17block_load_methodE3ELS4_3ELS4_3ELNS0_20block_scan_algorithmE0ELj4294967295EEENS1_25partition_config_selectorILNS1_17partition_subalgoE3EjNS0_10empty_typeEbEEZZNS1_14partition_implILS8_3ELb0ES6_jNS0_17counting_iteratorIjlEEPS9_SE_NS0_5tupleIJPjSE_EEENSF_IJSE_SE_EEES9_SG_JZNS1_25segmented_radix_sort_implINS0_14default_configELb1EPKhPhPKlPlN2at6native12_GLOBAL__N_18offset_tEEE10hipError_tPvRmT1_PNSt15iterator_traitsISY_E10value_typeET2_T3_PNSZ_IS14_E10value_typeET4_jRbjT5_S1A_jjP12ihipStream_tbEUljE_EEESV_SW_SX_S14_S18_S1A_T6_T7_T9_mT8_S1C_bDpT10_ENKUlT_T0_E_clISt17integral_constantIbLb1EES1O_IbLb0EEEEDaS1K_S1L_EUlS1K_E_NS1_11comp_targetILNS1_3genE10ELNS1_11target_archE1200ELNS1_3gpuE4ELNS1_3repE0EEENS1_30default_config_static_selectorELNS0_4arch9wavefront6targetE0EEEvSY_
		.amdhsa_group_segment_fixed_size 0
		.amdhsa_private_segment_fixed_size 0
		.amdhsa_kernarg_size 144
		.amdhsa_user_sgpr_count 2
		.amdhsa_user_sgpr_dispatch_ptr 0
		.amdhsa_user_sgpr_queue_ptr 0
		.amdhsa_user_sgpr_kernarg_segment_ptr 1
		.amdhsa_user_sgpr_dispatch_id 0
		.amdhsa_user_sgpr_kernarg_preload_length 0
		.amdhsa_user_sgpr_kernarg_preload_offset 0
		.amdhsa_user_sgpr_private_segment_size 0
		.amdhsa_wavefront_size32 1
		.amdhsa_uses_dynamic_stack 0
		.amdhsa_enable_private_segment 0
		.amdhsa_system_sgpr_workgroup_id_x 1
		.amdhsa_system_sgpr_workgroup_id_y 0
		.amdhsa_system_sgpr_workgroup_id_z 0
		.amdhsa_system_sgpr_workgroup_info 0
		.amdhsa_system_vgpr_workitem_id 0
		.amdhsa_next_free_vgpr 1
		.amdhsa_next_free_sgpr 1
		.amdhsa_named_barrier_count 0
		.amdhsa_reserve_vcc 0
		.amdhsa_float_round_mode_32 0
		.amdhsa_float_round_mode_16_64 0
		.amdhsa_float_denorm_mode_32 3
		.amdhsa_float_denorm_mode_16_64 3
		.amdhsa_fp16_overflow 0
		.amdhsa_memory_ordered 1
		.amdhsa_forward_progress 1
		.amdhsa_inst_pref_size 0
		.amdhsa_round_robin_scheduling 0
		.amdhsa_exception_fp_ieee_invalid_op 0
		.amdhsa_exception_fp_denorm_src 0
		.amdhsa_exception_fp_ieee_div_zero 0
		.amdhsa_exception_fp_ieee_overflow 0
		.amdhsa_exception_fp_ieee_underflow 0
		.amdhsa_exception_fp_ieee_inexact 0
		.amdhsa_exception_int_div_zero 0
	.end_amdhsa_kernel
	.section	.text._ZN7rocprim17ROCPRIM_400000_NS6detail17trampoline_kernelINS0_13select_configILj256ELj13ELNS0_17block_load_methodE3ELS4_3ELS4_3ELNS0_20block_scan_algorithmE0ELj4294967295EEENS1_25partition_config_selectorILNS1_17partition_subalgoE3EjNS0_10empty_typeEbEEZZNS1_14partition_implILS8_3ELb0ES6_jNS0_17counting_iteratorIjlEEPS9_SE_NS0_5tupleIJPjSE_EEENSF_IJSE_SE_EEES9_SG_JZNS1_25segmented_radix_sort_implINS0_14default_configELb1EPKhPhPKlPlN2at6native12_GLOBAL__N_18offset_tEEE10hipError_tPvRmT1_PNSt15iterator_traitsISY_E10value_typeET2_T3_PNSZ_IS14_E10value_typeET4_jRbjT5_S1A_jjP12ihipStream_tbEUljE_EEESV_SW_SX_S14_S18_S1A_T6_T7_T9_mT8_S1C_bDpT10_ENKUlT_T0_E_clISt17integral_constantIbLb1EES1O_IbLb0EEEEDaS1K_S1L_EUlS1K_E_NS1_11comp_targetILNS1_3genE10ELNS1_11target_archE1200ELNS1_3gpuE4ELNS1_3repE0EEENS1_30default_config_static_selectorELNS0_4arch9wavefront6targetE0EEEvSY_,"axG",@progbits,_ZN7rocprim17ROCPRIM_400000_NS6detail17trampoline_kernelINS0_13select_configILj256ELj13ELNS0_17block_load_methodE3ELS4_3ELS4_3ELNS0_20block_scan_algorithmE0ELj4294967295EEENS1_25partition_config_selectorILNS1_17partition_subalgoE3EjNS0_10empty_typeEbEEZZNS1_14partition_implILS8_3ELb0ES6_jNS0_17counting_iteratorIjlEEPS9_SE_NS0_5tupleIJPjSE_EEENSF_IJSE_SE_EEES9_SG_JZNS1_25segmented_radix_sort_implINS0_14default_configELb1EPKhPhPKlPlN2at6native12_GLOBAL__N_18offset_tEEE10hipError_tPvRmT1_PNSt15iterator_traitsISY_E10value_typeET2_T3_PNSZ_IS14_E10value_typeET4_jRbjT5_S1A_jjP12ihipStream_tbEUljE_EEESV_SW_SX_S14_S18_S1A_T6_T7_T9_mT8_S1C_bDpT10_ENKUlT_T0_E_clISt17integral_constantIbLb1EES1O_IbLb0EEEEDaS1K_S1L_EUlS1K_E_NS1_11comp_targetILNS1_3genE10ELNS1_11target_archE1200ELNS1_3gpuE4ELNS1_3repE0EEENS1_30default_config_static_selectorELNS0_4arch9wavefront6targetE0EEEvSY_,comdat
.Lfunc_end71:
	.size	_ZN7rocprim17ROCPRIM_400000_NS6detail17trampoline_kernelINS0_13select_configILj256ELj13ELNS0_17block_load_methodE3ELS4_3ELS4_3ELNS0_20block_scan_algorithmE0ELj4294967295EEENS1_25partition_config_selectorILNS1_17partition_subalgoE3EjNS0_10empty_typeEbEEZZNS1_14partition_implILS8_3ELb0ES6_jNS0_17counting_iteratorIjlEEPS9_SE_NS0_5tupleIJPjSE_EEENSF_IJSE_SE_EEES9_SG_JZNS1_25segmented_radix_sort_implINS0_14default_configELb1EPKhPhPKlPlN2at6native12_GLOBAL__N_18offset_tEEE10hipError_tPvRmT1_PNSt15iterator_traitsISY_E10value_typeET2_T3_PNSZ_IS14_E10value_typeET4_jRbjT5_S1A_jjP12ihipStream_tbEUljE_EEESV_SW_SX_S14_S18_S1A_T6_T7_T9_mT8_S1C_bDpT10_ENKUlT_T0_E_clISt17integral_constantIbLb1EES1O_IbLb0EEEEDaS1K_S1L_EUlS1K_E_NS1_11comp_targetILNS1_3genE10ELNS1_11target_archE1200ELNS1_3gpuE4ELNS1_3repE0EEENS1_30default_config_static_selectorELNS0_4arch9wavefront6targetE0EEEvSY_, .Lfunc_end71-_ZN7rocprim17ROCPRIM_400000_NS6detail17trampoline_kernelINS0_13select_configILj256ELj13ELNS0_17block_load_methodE3ELS4_3ELS4_3ELNS0_20block_scan_algorithmE0ELj4294967295EEENS1_25partition_config_selectorILNS1_17partition_subalgoE3EjNS0_10empty_typeEbEEZZNS1_14partition_implILS8_3ELb0ES6_jNS0_17counting_iteratorIjlEEPS9_SE_NS0_5tupleIJPjSE_EEENSF_IJSE_SE_EEES9_SG_JZNS1_25segmented_radix_sort_implINS0_14default_configELb1EPKhPhPKlPlN2at6native12_GLOBAL__N_18offset_tEEE10hipError_tPvRmT1_PNSt15iterator_traitsISY_E10value_typeET2_T3_PNSZ_IS14_E10value_typeET4_jRbjT5_S1A_jjP12ihipStream_tbEUljE_EEESV_SW_SX_S14_S18_S1A_T6_T7_T9_mT8_S1C_bDpT10_ENKUlT_T0_E_clISt17integral_constantIbLb1EES1O_IbLb0EEEEDaS1K_S1L_EUlS1K_E_NS1_11comp_targetILNS1_3genE10ELNS1_11target_archE1200ELNS1_3gpuE4ELNS1_3repE0EEENS1_30default_config_static_selectorELNS0_4arch9wavefront6targetE0EEEvSY_
                                        ; -- End function
	.set _ZN7rocprim17ROCPRIM_400000_NS6detail17trampoline_kernelINS0_13select_configILj256ELj13ELNS0_17block_load_methodE3ELS4_3ELS4_3ELNS0_20block_scan_algorithmE0ELj4294967295EEENS1_25partition_config_selectorILNS1_17partition_subalgoE3EjNS0_10empty_typeEbEEZZNS1_14partition_implILS8_3ELb0ES6_jNS0_17counting_iteratorIjlEEPS9_SE_NS0_5tupleIJPjSE_EEENSF_IJSE_SE_EEES9_SG_JZNS1_25segmented_radix_sort_implINS0_14default_configELb1EPKhPhPKlPlN2at6native12_GLOBAL__N_18offset_tEEE10hipError_tPvRmT1_PNSt15iterator_traitsISY_E10value_typeET2_T3_PNSZ_IS14_E10value_typeET4_jRbjT5_S1A_jjP12ihipStream_tbEUljE_EEESV_SW_SX_S14_S18_S1A_T6_T7_T9_mT8_S1C_bDpT10_ENKUlT_T0_E_clISt17integral_constantIbLb1EES1O_IbLb0EEEEDaS1K_S1L_EUlS1K_E_NS1_11comp_targetILNS1_3genE10ELNS1_11target_archE1200ELNS1_3gpuE4ELNS1_3repE0EEENS1_30default_config_static_selectorELNS0_4arch9wavefront6targetE0EEEvSY_.num_vgpr, 0
	.set _ZN7rocprim17ROCPRIM_400000_NS6detail17trampoline_kernelINS0_13select_configILj256ELj13ELNS0_17block_load_methodE3ELS4_3ELS4_3ELNS0_20block_scan_algorithmE0ELj4294967295EEENS1_25partition_config_selectorILNS1_17partition_subalgoE3EjNS0_10empty_typeEbEEZZNS1_14partition_implILS8_3ELb0ES6_jNS0_17counting_iteratorIjlEEPS9_SE_NS0_5tupleIJPjSE_EEENSF_IJSE_SE_EEES9_SG_JZNS1_25segmented_radix_sort_implINS0_14default_configELb1EPKhPhPKlPlN2at6native12_GLOBAL__N_18offset_tEEE10hipError_tPvRmT1_PNSt15iterator_traitsISY_E10value_typeET2_T3_PNSZ_IS14_E10value_typeET4_jRbjT5_S1A_jjP12ihipStream_tbEUljE_EEESV_SW_SX_S14_S18_S1A_T6_T7_T9_mT8_S1C_bDpT10_ENKUlT_T0_E_clISt17integral_constantIbLb1EES1O_IbLb0EEEEDaS1K_S1L_EUlS1K_E_NS1_11comp_targetILNS1_3genE10ELNS1_11target_archE1200ELNS1_3gpuE4ELNS1_3repE0EEENS1_30default_config_static_selectorELNS0_4arch9wavefront6targetE0EEEvSY_.num_agpr, 0
	.set _ZN7rocprim17ROCPRIM_400000_NS6detail17trampoline_kernelINS0_13select_configILj256ELj13ELNS0_17block_load_methodE3ELS4_3ELS4_3ELNS0_20block_scan_algorithmE0ELj4294967295EEENS1_25partition_config_selectorILNS1_17partition_subalgoE3EjNS0_10empty_typeEbEEZZNS1_14partition_implILS8_3ELb0ES6_jNS0_17counting_iteratorIjlEEPS9_SE_NS0_5tupleIJPjSE_EEENSF_IJSE_SE_EEES9_SG_JZNS1_25segmented_radix_sort_implINS0_14default_configELb1EPKhPhPKlPlN2at6native12_GLOBAL__N_18offset_tEEE10hipError_tPvRmT1_PNSt15iterator_traitsISY_E10value_typeET2_T3_PNSZ_IS14_E10value_typeET4_jRbjT5_S1A_jjP12ihipStream_tbEUljE_EEESV_SW_SX_S14_S18_S1A_T6_T7_T9_mT8_S1C_bDpT10_ENKUlT_T0_E_clISt17integral_constantIbLb1EES1O_IbLb0EEEEDaS1K_S1L_EUlS1K_E_NS1_11comp_targetILNS1_3genE10ELNS1_11target_archE1200ELNS1_3gpuE4ELNS1_3repE0EEENS1_30default_config_static_selectorELNS0_4arch9wavefront6targetE0EEEvSY_.numbered_sgpr, 0
	.set _ZN7rocprim17ROCPRIM_400000_NS6detail17trampoline_kernelINS0_13select_configILj256ELj13ELNS0_17block_load_methodE3ELS4_3ELS4_3ELNS0_20block_scan_algorithmE0ELj4294967295EEENS1_25partition_config_selectorILNS1_17partition_subalgoE3EjNS0_10empty_typeEbEEZZNS1_14partition_implILS8_3ELb0ES6_jNS0_17counting_iteratorIjlEEPS9_SE_NS0_5tupleIJPjSE_EEENSF_IJSE_SE_EEES9_SG_JZNS1_25segmented_radix_sort_implINS0_14default_configELb1EPKhPhPKlPlN2at6native12_GLOBAL__N_18offset_tEEE10hipError_tPvRmT1_PNSt15iterator_traitsISY_E10value_typeET2_T3_PNSZ_IS14_E10value_typeET4_jRbjT5_S1A_jjP12ihipStream_tbEUljE_EEESV_SW_SX_S14_S18_S1A_T6_T7_T9_mT8_S1C_bDpT10_ENKUlT_T0_E_clISt17integral_constantIbLb1EES1O_IbLb0EEEEDaS1K_S1L_EUlS1K_E_NS1_11comp_targetILNS1_3genE10ELNS1_11target_archE1200ELNS1_3gpuE4ELNS1_3repE0EEENS1_30default_config_static_selectorELNS0_4arch9wavefront6targetE0EEEvSY_.num_named_barrier, 0
	.set _ZN7rocprim17ROCPRIM_400000_NS6detail17trampoline_kernelINS0_13select_configILj256ELj13ELNS0_17block_load_methodE3ELS4_3ELS4_3ELNS0_20block_scan_algorithmE0ELj4294967295EEENS1_25partition_config_selectorILNS1_17partition_subalgoE3EjNS0_10empty_typeEbEEZZNS1_14partition_implILS8_3ELb0ES6_jNS0_17counting_iteratorIjlEEPS9_SE_NS0_5tupleIJPjSE_EEENSF_IJSE_SE_EEES9_SG_JZNS1_25segmented_radix_sort_implINS0_14default_configELb1EPKhPhPKlPlN2at6native12_GLOBAL__N_18offset_tEEE10hipError_tPvRmT1_PNSt15iterator_traitsISY_E10value_typeET2_T3_PNSZ_IS14_E10value_typeET4_jRbjT5_S1A_jjP12ihipStream_tbEUljE_EEESV_SW_SX_S14_S18_S1A_T6_T7_T9_mT8_S1C_bDpT10_ENKUlT_T0_E_clISt17integral_constantIbLb1EES1O_IbLb0EEEEDaS1K_S1L_EUlS1K_E_NS1_11comp_targetILNS1_3genE10ELNS1_11target_archE1200ELNS1_3gpuE4ELNS1_3repE0EEENS1_30default_config_static_selectorELNS0_4arch9wavefront6targetE0EEEvSY_.private_seg_size, 0
	.set _ZN7rocprim17ROCPRIM_400000_NS6detail17trampoline_kernelINS0_13select_configILj256ELj13ELNS0_17block_load_methodE3ELS4_3ELS4_3ELNS0_20block_scan_algorithmE0ELj4294967295EEENS1_25partition_config_selectorILNS1_17partition_subalgoE3EjNS0_10empty_typeEbEEZZNS1_14partition_implILS8_3ELb0ES6_jNS0_17counting_iteratorIjlEEPS9_SE_NS0_5tupleIJPjSE_EEENSF_IJSE_SE_EEES9_SG_JZNS1_25segmented_radix_sort_implINS0_14default_configELb1EPKhPhPKlPlN2at6native12_GLOBAL__N_18offset_tEEE10hipError_tPvRmT1_PNSt15iterator_traitsISY_E10value_typeET2_T3_PNSZ_IS14_E10value_typeET4_jRbjT5_S1A_jjP12ihipStream_tbEUljE_EEESV_SW_SX_S14_S18_S1A_T6_T7_T9_mT8_S1C_bDpT10_ENKUlT_T0_E_clISt17integral_constantIbLb1EES1O_IbLb0EEEEDaS1K_S1L_EUlS1K_E_NS1_11comp_targetILNS1_3genE10ELNS1_11target_archE1200ELNS1_3gpuE4ELNS1_3repE0EEENS1_30default_config_static_selectorELNS0_4arch9wavefront6targetE0EEEvSY_.uses_vcc, 0
	.set _ZN7rocprim17ROCPRIM_400000_NS6detail17trampoline_kernelINS0_13select_configILj256ELj13ELNS0_17block_load_methodE3ELS4_3ELS4_3ELNS0_20block_scan_algorithmE0ELj4294967295EEENS1_25partition_config_selectorILNS1_17partition_subalgoE3EjNS0_10empty_typeEbEEZZNS1_14partition_implILS8_3ELb0ES6_jNS0_17counting_iteratorIjlEEPS9_SE_NS0_5tupleIJPjSE_EEENSF_IJSE_SE_EEES9_SG_JZNS1_25segmented_radix_sort_implINS0_14default_configELb1EPKhPhPKlPlN2at6native12_GLOBAL__N_18offset_tEEE10hipError_tPvRmT1_PNSt15iterator_traitsISY_E10value_typeET2_T3_PNSZ_IS14_E10value_typeET4_jRbjT5_S1A_jjP12ihipStream_tbEUljE_EEESV_SW_SX_S14_S18_S1A_T6_T7_T9_mT8_S1C_bDpT10_ENKUlT_T0_E_clISt17integral_constantIbLb1EES1O_IbLb0EEEEDaS1K_S1L_EUlS1K_E_NS1_11comp_targetILNS1_3genE10ELNS1_11target_archE1200ELNS1_3gpuE4ELNS1_3repE0EEENS1_30default_config_static_selectorELNS0_4arch9wavefront6targetE0EEEvSY_.uses_flat_scratch, 0
	.set _ZN7rocprim17ROCPRIM_400000_NS6detail17trampoline_kernelINS0_13select_configILj256ELj13ELNS0_17block_load_methodE3ELS4_3ELS4_3ELNS0_20block_scan_algorithmE0ELj4294967295EEENS1_25partition_config_selectorILNS1_17partition_subalgoE3EjNS0_10empty_typeEbEEZZNS1_14partition_implILS8_3ELb0ES6_jNS0_17counting_iteratorIjlEEPS9_SE_NS0_5tupleIJPjSE_EEENSF_IJSE_SE_EEES9_SG_JZNS1_25segmented_radix_sort_implINS0_14default_configELb1EPKhPhPKlPlN2at6native12_GLOBAL__N_18offset_tEEE10hipError_tPvRmT1_PNSt15iterator_traitsISY_E10value_typeET2_T3_PNSZ_IS14_E10value_typeET4_jRbjT5_S1A_jjP12ihipStream_tbEUljE_EEESV_SW_SX_S14_S18_S1A_T6_T7_T9_mT8_S1C_bDpT10_ENKUlT_T0_E_clISt17integral_constantIbLb1EES1O_IbLb0EEEEDaS1K_S1L_EUlS1K_E_NS1_11comp_targetILNS1_3genE10ELNS1_11target_archE1200ELNS1_3gpuE4ELNS1_3repE0EEENS1_30default_config_static_selectorELNS0_4arch9wavefront6targetE0EEEvSY_.has_dyn_sized_stack, 0
	.set _ZN7rocprim17ROCPRIM_400000_NS6detail17trampoline_kernelINS0_13select_configILj256ELj13ELNS0_17block_load_methodE3ELS4_3ELS4_3ELNS0_20block_scan_algorithmE0ELj4294967295EEENS1_25partition_config_selectorILNS1_17partition_subalgoE3EjNS0_10empty_typeEbEEZZNS1_14partition_implILS8_3ELb0ES6_jNS0_17counting_iteratorIjlEEPS9_SE_NS0_5tupleIJPjSE_EEENSF_IJSE_SE_EEES9_SG_JZNS1_25segmented_radix_sort_implINS0_14default_configELb1EPKhPhPKlPlN2at6native12_GLOBAL__N_18offset_tEEE10hipError_tPvRmT1_PNSt15iterator_traitsISY_E10value_typeET2_T3_PNSZ_IS14_E10value_typeET4_jRbjT5_S1A_jjP12ihipStream_tbEUljE_EEESV_SW_SX_S14_S18_S1A_T6_T7_T9_mT8_S1C_bDpT10_ENKUlT_T0_E_clISt17integral_constantIbLb1EES1O_IbLb0EEEEDaS1K_S1L_EUlS1K_E_NS1_11comp_targetILNS1_3genE10ELNS1_11target_archE1200ELNS1_3gpuE4ELNS1_3repE0EEENS1_30default_config_static_selectorELNS0_4arch9wavefront6targetE0EEEvSY_.has_recursion, 0
	.set _ZN7rocprim17ROCPRIM_400000_NS6detail17trampoline_kernelINS0_13select_configILj256ELj13ELNS0_17block_load_methodE3ELS4_3ELS4_3ELNS0_20block_scan_algorithmE0ELj4294967295EEENS1_25partition_config_selectorILNS1_17partition_subalgoE3EjNS0_10empty_typeEbEEZZNS1_14partition_implILS8_3ELb0ES6_jNS0_17counting_iteratorIjlEEPS9_SE_NS0_5tupleIJPjSE_EEENSF_IJSE_SE_EEES9_SG_JZNS1_25segmented_radix_sort_implINS0_14default_configELb1EPKhPhPKlPlN2at6native12_GLOBAL__N_18offset_tEEE10hipError_tPvRmT1_PNSt15iterator_traitsISY_E10value_typeET2_T3_PNSZ_IS14_E10value_typeET4_jRbjT5_S1A_jjP12ihipStream_tbEUljE_EEESV_SW_SX_S14_S18_S1A_T6_T7_T9_mT8_S1C_bDpT10_ENKUlT_T0_E_clISt17integral_constantIbLb1EES1O_IbLb0EEEEDaS1K_S1L_EUlS1K_E_NS1_11comp_targetILNS1_3genE10ELNS1_11target_archE1200ELNS1_3gpuE4ELNS1_3repE0EEENS1_30default_config_static_selectorELNS0_4arch9wavefront6targetE0EEEvSY_.has_indirect_call, 0
	.section	.AMDGPU.csdata,"",@progbits
; Kernel info:
; codeLenInByte = 0
; TotalNumSgprs: 0
; NumVgprs: 0
; ScratchSize: 0
; MemoryBound: 0
; FloatMode: 240
; IeeeMode: 1
; LDSByteSize: 0 bytes/workgroup (compile time only)
; SGPRBlocks: 0
; VGPRBlocks: 0
; NumSGPRsForWavesPerEU: 1
; NumVGPRsForWavesPerEU: 1
; NamedBarCnt: 0
; Occupancy: 16
; WaveLimiterHint : 0
; COMPUTE_PGM_RSRC2:SCRATCH_EN: 0
; COMPUTE_PGM_RSRC2:USER_SGPR: 2
; COMPUTE_PGM_RSRC2:TRAP_HANDLER: 0
; COMPUTE_PGM_RSRC2:TGID_X_EN: 1
; COMPUTE_PGM_RSRC2:TGID_Y_EN: 0
; COMPUTE_PGM_RSRC2:TGID_Z_EN: 0
; COMPUTE_PGM_RSRC2:TIDIG_COMP_CNT: 0
	.section	.text._ZN7rocprim17ROCPRIM_400000_NS6detail17trampoline_kernelINS0_13select_configILj256ELj13ELNS0_17block_load_methodE3ELS4_3ELS4_3ELNS0_20block_scan_algorithmE0ELj4294967295EEENS1_25partition_config_selectorILNS1_17partition_subalgoE3EjNS0_10empty_typeEbEEZZNS1_14partition_implILS8_3ELb0ES6_jNS0_17counting_iteratorIjlEEPS9_SE_NS0_5tupleIJPjSE_EEENSF_IJSE_SE_EEES9_SG_JZNS1_25segmented_radix_sort_implINS0_14default_configELb1EPKhPhPKlPlN2at6native12_GLOBAL__N_18offset_tEEE10hipError_tPvRmT1_PNSt15iterator_traitsISY_E10value_typeET2_T3_PNSZ_IS14_E10value_typeET4_jRbjT5_S1A_jjP12ihipStream_tbEUljE_EEESV_SW_SX_S14_S18_S1A_T6_T7_T9_mT8_S1C_bDpT10_ENKUlT_T0_E_clISt17integral_constantIbLb1EES1O_IbLb0EEEEDaS1K_S1L_EUlS1K_E_NS1_11comp_targetILNS1_3genE9ELNS1_11target_archE1100ELNS1_3gpuE3ELNS1_3repE0EEENS1_30default_config_static_selectorELNS0_4arch9wavefront6targetE0EEEvSY_,"axG",@progbits,_ZN7rocprim17ROCPRIM_400000_NS6detail17trampoline_kernelINS0_13select_configILj256ELj13ELNS0_17block_load_methodE3ELS4_3ELS4_3ELNS0_20block_scan_algorithmE0ELj4294967295EEENS1_25partition_config_selectorILNS1_17partition_subalgoE3EjNS0_10empty_typeEbEEZZNS1_14partition_implILS8_3ELb0ES6_jNS0_17counting_iteratorIjlEEPS9_SE_NS0_5tupleIJPjSE_EEENSF_IJSE_SE_EEES9_SG_JZNS1_25segmented_radix_sort_implINS0_14default_configELb1EPKhPhPKlPlN2at6native12_GLOBAL__N_18offset_tEEE10hipError_tPvRmT1_PNSt15iterator_traitsISY_E10value_typeET2_T3_PNSZ_IS14_E10value_typeET4_jRbjT5_S1A_jjP12ihipStream_tbEUljE_EEESV_SW_SX_S14_S18_S1A_T6_T7_T9_mT8_S1C_bDpT10_ENKUlT_T0_E_clISt17integral_constantIbLb1EES1O_IbLb0EEEEDaS1K_S1L_EUlS1K_E_NS1_11comp_targetILNS1_3genE9ELNS1_11target_archE1100ELNS1_3gpuE3ELNS1_3repE0EEENS1_30default_config_static_selectorELNS0_4arch9wavefront6targetE0EEEvSY_,comdat
	.globl	_ZN7rocprim17ROCPRIM_400000_NS6detail17trampoline_kernelINS0_13select_configILj256ELj13ELNS0_17block_load_methodE3ELS4_3ELS4_3ELNS0_20block_scan_algorithmE0ELj4294967295EEENS1_25partition_config_selectorILNS1_17partition_subalgoE3EjNS0_10empty_typeEbEEZZNS1_14partition_implILS8_3ELb0ES6_jNS0_17counting_iteratorIjlEEPS9_SE_NS0_5tupleIJPjSE_EEENSF_IJSE_SE_EEES9_SG_JZNS1_25segmented_radix_sort_implINS0_14default_configELb1EPKhPhPKlPlN2at6native12_GLOBAL__N_18offset_tEEE10hipError_tPvRmT1_PNSt15iterator_traitsISY_E10value_typeET2_T3_PNSZ_IS14_E10value_typeET4_jRbjT5_S1A_jjP12ihipStream_tbEUljE_EEESV_SW_SX_S14_S18_S1A_T6_T7_T9_mT8_S1C_bDpT10_ENKUlT_T0_E_clISt17integral_constantIbLb1EES1O_IbLb0EEEEDaS1K_S1L_EUlS1K_E_NS1_11comp_targetILNS1_3genE9ELNS1_11target_archE1100ELNS1_3gpuE3ELNS1_3repE0EEENS1_30default_config_static_selectorELNS0_4arch9wavefront6targetE0EEEvSY_ ; -- Begin function _ZN7rocprim17ROCPRIM_400000_NS6detail17trampoline_kernelINS0_13select_configILj256ELj13ELNS0_17block_load_methodE3ELS4_3ELS4_3ELNS0_20block_scan_algorithmE0ELj4294967295EEENS1_25partition_config_selectorILNS1_17partition_subalgoE3EjNS0_10empty_typeEbEEZZNS1_14partition_implILS8_3ELb0ES6_jNS0_17counting_iteratorIjlEEPS9_SE_NS0_5tupleIJPjSE_EEENSF_IJSE_SE_EEES9_SG_JZNS1_25segmented_radix_sort_implINS0_14default_configELb1EPKhPhPKlPlN2at6native12_GLOBAL__N_18offset_tEEE10hipError_tPvRmT1_PNSt15iterator_traitsISY_E10value_typeET2_T3_PNSZ_IS14_E10value_typeET4_jRbjT5_S1A_jjP12ihipStream_tbEUljE_EEESV_SW_SX_S14_S18_S1A_T6_T7_T9_mT8_S1C_bDpT10_ENKUlT_T0_E_clISt17integral_constantIbLb1EES1O_IbLb0EEEEDaS1K_S1L_EUlS1K_E_NS1_11comp_targetILNS1_3genE9ELNS1_11target_archE1100ELNS1_3gpuE3ELNS1_3repE0EEENS1_30default_config_static_selectorELNS0_4arch9wavefront6targetE0EEEvSY_
	.p2align	8
	.type	_ZN7rocprim17ROCPRIM_400000_NS6detail17trampoline_kernelINS0_13select_configILj256ELj13ELNS0_17block_load_methodE3ELS4_3ELS4_3ELNS0_20block_scan_algorithmE0ELj4294967295EEENS1_25partition_config_selectorILNS1_17partition_subalgoE3EjNS0_10empty_typeEbEEZZNS1_14partition_implILS8_3ELb0ES6_jNS0_17counting_iteratorIjlEEPS9_SE_NS0_5tupleIJPjSE_EEENSF_IJSE_SE_EEES9_SG_JZNS1_25segmented_radix_sort_implINS0_14default_configELb1EPKhPhPKlPlN2at6native12_GLOBAL__N_18offset_tEEE10hipError_tPvRmT1_PNSt15iterator_traitsISY_E10value_typeET2_T3_PNSZ_IS14_E10value_typeET4_jRbjT5_S1A_jjP12ihipStream_tbEUljE_EEESV_SW_SX_S14_S18_S1A_T6_T7_T9_mT8_S1C_bDpT10_ENKUlT_T0_E_clISt17integral_constantIbLb1EES1O_IbLb0EEEEDaS1K_S1L_EUlS1K_E_NS1_11comp_targetILNS1_3genE9ELNS1_11target_archE1100ELNS1_3gpuE3ELNS1_3repE0EEENS1_30default_config_static_selectorELNS0_4arch9wavefront6targetE0EEEvSY_,@function
_ZN7rocprim17ROCPRIM_400000_NS6detail17trampoline_kernelINS0_13select_configILj256ELj13ELNS0_17block_load_methodE3ELS4_3ELS4_3ELNS0_20block_scan_algorithmE0ELj4294967295EEENS1_25partition_config_selectorILNS1_17partition_subalgoE3EjNS0_10empty_typeEbEEZZNS1_14partition_implILS8_3ELb0ES6_jNS0_17counting_iteratorIjlEEPS9_SE_NS0_5tupleIJPjSE_EEENSF_IJSE_SE_EEES9_SG_JZNS1_25segmented_radix_sort_implINS0_14default_configELb1EPKhPhPKlPlN2at6native12_GLOBAL__N_18offset_tEEE10hipError_tPvRmT1_PNSt15iterator_traitsISY_E10value_typeET2_T3_PNSZ_IS14_E10value_typeET4_jRbjT5_S1A_jjP12ihipStream_tbEUljE_EEESV_SW_SX_S14_S18_S1A_T6_T7_T9_mT8_S1C_bDpT10_ENKUlT_T0_E_clISt17integral_constantIbLb1EES1O_IbLb0EEEEDaS1K_S1L_EUlS1K_E_NS1_11comp_targetILNS1_3genE9ELNS1_11target_archE1100ELNS1_3gpuE3ELNS1_3repE0EEENS1_30default_config_static_selectorELNS0_4arch9wavefront6targetE0EEEvSY_: ; @_ZN7rocprim17ROCPRIM_400000_NS6detail17trampoline_kernelINS0_13select_configILj256ELj13ELNS0_17block_load_methodE3ELS4_3ELS4_3ELNS0_20block_scan_algorithmE0ELj4294967295EEENS1_25partition_config_selectorILNS1_17partition_subalgoE3EjNS0_10empty_typeEbEEZZNS1_14partition_implILS8_3ELb0ES6_jNS0_17counting_iteratorIjlEEPS9_SE_NS0_5tupleIJPjSE_EEENSF_IJSE_SE_EEES9_SG_JZNS1_25segmented_radix_sort_implINS0_14default_configELb1EPKhPhPKlPlN2at6native12_GLOBAL__N_18offset_tEEE10hipError_tPvRmT1_PNSt15iterator_traitsISY_E10value_typeET2_T3_PNSZ_IS14_E10value_typeET4_jRbjT5_S1A_jjP12ihipStream_tbEUljE_EEESV_SW_SX_S14_S18_S1A_T6_T7_T9_mT8_S1C_bDpT10_ENKUlT_T0_E_clISt17integral_constantIbLb1EES1O_IbLb0EEEEDaS1K_S1L_EUlS1K_E_NS1_11comp_targetILNS1_3genE9ELNS1_11target_archE1100ELNS1_3gpuE3ELNS1_3repE0EEENS1_30default_config_static_selectorELNS0_4arch9wavefront6targetE0EEEvSY_
; %bb.0:
	.section	.rodata,"a",@progbits
	.p2align	6, 0x0
	.amdhsa_kernel _ZN7rocprim17ROCPRIM_400000_NS6detail17trampoline_kernelINS0_13select_configILj256ELj13ELNS0_17block_load_methodE3ELS4_3ELS4_3ELNS0_20block_scan_algorithmE0ELj4294967295EEENS1_25partition_config_selectorILNS1_17partition_subalgoE3EjNS0_10empty_typeEbEEZZNS1_14partition_implILS8_3ELb0ES6_jNS0_17counting_iteratorIjlEEPS9_SE_NS0_5tupleIJPjSE_EEENSF_IJSE_SE_EEES9_SG_JZNS1_25segmented_radix_sort_implINS0_14default_configELb1EPKhPhPKlPlN2at6native12_GLOBAL__N_18offset_tEEE10hipError_tPvRmT1_PNSt15iterator_traitsISY_E10value_typeET2_T3_PNSZ_IS14_E10value_typeET4_jRbjT5_S1A_jjP12ihipStream_tbEUljE_EEESV_SW_SX_S14_S18_S1A_T6_T7_T9_mT8_S1C_bDpT10_ENKUlT_T0_E_clISt17integral_constantIbLb1EES1O_IbLb0EEEEDaS1K_S1L_EUlS1K_E_NS1_11comp_targetILNS1_3genE9ELNS1_11target_archE1100ELNS1_3gpuE3ELNS1_3repE0EEENS1_30default_config_static_selectorELNS0_4arch9wavefront6targetE0EEEvSY_
		.amdhsa_group_segment_fixed_size 0
		.amdhsa_private_segment_fixed_size 0
		.amdhsa_kernarg_size 144
		.amdhsa_user_sgpr_count 2
		.amdhsa_user_sgpr_dispatch_ptr 0
		.amdhsa_user_sgpr_queue_ptr 0
		.amdhsa_user_sgpr_kernarg_segment_ptr 1
		.amdhsa_user_sgpr_dispatch_id 0
		.amdhsa_user_sgpr_kernarg_preload_length 0
		.amdhsa_user_sgpr_kernarg_preload_offset 0
		.amdhsa_user_sgpr_private_segment_size 0
		.amdhsa_wavefront_size32 1
		.amdhsa_uses_dynamic_stack 0
		.amdhsa_enable_private_segment 0
		.amdhsa_system_sgpr_workgroup_id_x 1
		.amdhsa_system_sgpr_workgroup_id_y 0
		.amdhsa_system_sgpr_workgroup_id_z 0
		.amdhsa_system_sgpr_workgroup_info 0
		.amdhsa_system_vgpr_workitem_id 0
		.amdhsa_next_free_vgpr 1
		.amdhsa_next_free_sgpr 1
		.amdhsa_named_barrier_count 0
		.amdhsa_reserve_vcc 0
		.amdhsa_float_round_mode_32 0
		.amdhsa_float_round_mode_16_64 0
		.amdhsa_float_denorm_mode_32 3
		.amdhsa_float_denorm_mode_16_64 3
		.amdhsa_fp16_overflow 0
		.amdhsa_memory_ordered 1
		.amdhsa_forward_progress 1
		.amdhsa_inst_pref_size 0
		.amdhsa_round_robin_scheduling 0
		.amdhsa_exception_fp_ieee_invalid_op 0
		.amdhsa_exception_fp_denorm_src 0
		.amdhsa_exception_fp_ieee_div_zero 0
		.amdhsa_exception_fp_ieee_overflow 0
		.amdhsa_exception_fp_ieee_underflow 0
		.amdhsa_exception_fp_ieee_inexact 0
		.amdhsa_exception_int_div_zero 0
	.end_amdhsa_kernel
	.section	.text._ZN7rocprim17ROCPRIM_400000_NS6detail17trampoline_kernelINS0_13select_configILj256ELj13ELNS0_17block_load_methodE3ELS4_3ELS4_3ELNS0_20block_scan_algorithmE0ELj4294967295EEENS1_25partition_config_selectorILNS1_17partition_subalgoE3EjNS0_10empty_typeEbEEZZNS1_14partition_implILS8_3ELb0ES6_jNS0_17counting_iteratorIjlEEPS9_SE_NS0_5tupleIJPjSE_EEENSF_IJSE_SE_EEES9_SG_JZNS1_25segmented_radix_sort_implINS0_14default_configELb1EPKhPhPKlPlN2at6native12_GLOBAL__N_18offset_tEEE10hipError_tPvRmT1_PNSt15iterator_traitsISY_E10value_typeET2_T3_PNSZ_IS14_E10value_typeET4_jRbjT5_S1A_jjP12ihipStream_tbEUljE_EEESV_SW_SX_S14_S18_S1A_T6_T7_T9_mT8_S1C_bDpT10_ENKUlT_T0_E_clISt17integral_constantIbLb1EES1O_IbLb0EEEEDaS1K_S1L_EUlS1K_E_NS1_11comp_targetILNS1_3genE9ELNS1_11target_archE1100ELNS1_3gpuE3ELNS1_3repE0EEENS1_30default_config_static_selectorELNS0_4arch9wavefront6targetE0EEEvSY_,"axG",@progbits,_ZN7rocprim17ROCPRIM_400000_NS6detail17trampoline_kernelINS0_13select_configILj256ELj13ELNS0_17block_load_methodE3ELS4_3ELS4_3ELNS0_20block_scan_algorithmE0ELj4294967295EEENS1_25partition_config_selectorILNS1_17partition_subalgoE3EjNS0_10empty_typeEbEEZZNS1_14partition_implILS8_3ELb0ES6_jNS0_17counting_iteratorIjlEEPS9_SE_NS0_5tupleIJPjSE_EEENSF_IJSE_SE_EEES9_SG_JZNS1_25segmented_radix_sort_implINS0_14default_configELb1EPKhPhPKlPlN2at6native12_GLOBAL__N_18offset_tEEE10hipError_tPvRmT1_PNSt15iterator_traitsISY_E10value_typeET2_T3_PNSZ_IS14_E10value_typeET4_jRbjT5_S1A_jjP12ihipStream_tbEUljE_EEESV_SW_SX_S14_S18_S1A_T6_T7_T9_mT8_S1C_bDpT10_ENKUlT_T0_E_clISt17integral_constantIbLb1EES1O_IbLb0EEEEDaS1K_S1L_EUlS1K_E_NS1_11comp_targetILNS1_3genE9ELNS1_11target_archE1100ELNS1_3gpuE3ELNS1_3repE0EEENS1_30default_config_static_selectorELNS0_4arch9wavefront6targetE0EEEvSY_,comdat
.Lfunc_end72:
	.size	_ZN7rocprim17ROCPRIM_400000_NS6detail17trampoline_kernelINS0_13select_configILj256ELj13ELNS0_17block_load_methodE3ELS4_3ELS4_3ELNS0_20block_scan_algorithmE0ELj4294967295EEENS1_25partition_config_selectorILNS1_17partition_subalgoE3EjNS0_10empty_typeEbEEZZNS1_14partition_implILS8_3ELb0ES6_jNS0_17counting_iteratorIjlEEPS9_SE_NS0_5tupleIJPjSE_EEENSF_IJSE_SE_EEES9_SG_JZNS1_25segmented_radix_sort_implINS0_14default_configELb1EPKhPhPKlPlN2at6native12_GLOBAL__N_18offset_tEEE10hipError_tPvRmT1_PNSt15iterator_traitsISY_E10value_typeET2_T3_PNSZ_IS14_E10value_typeET4_jRbjT5_S1A_jjP12ihipStream_tbEUljE_EEESV_SW_SX_S14_S18_S1A_T6_T7_T9_mT8_S1C_bDpT10_ENKUlT_T0_E_clISt17integral_constantIbLb1EES1O_IbLb0EEEEDaS1K_S1L_EUlS1K_E_NS1_11comp_targetILNS1_3genE9ELNS1_11target_archE1100ELNS1_3gpuE3ELNS1_3repE0EEENS1_30default_config_static_selectorELNS0_4arch9wavefront6targetE0EEEvSY_, .Lfunc_end72-_ZN7rocprim17ROCPRIM_400000_NS6detail17trampoline_kernelINS0_13select_configILj256ELj13ELNS0_17block_load_methodE3ELS4_3ELS4_3ELNS0_20block_scan_algorithmE0ELj4294967295EEENS1_25partition_config_selectorILNS1_17partition_subalgoE3EjNS0_10empty_typeEbEEZZNS1_14partition_implILS8_3ELb0ES6_jNS0_17counting_iteratorIjlEEPS9_SE_NS0_5tupleIJPjSE_EEENSF_IJSE_SE_EEES9_SG_JZNS1_25segmented_radix_sort_implINS0_14default_configELb1EPKhPhPKlPlN2at6native12_GLOBAL__N_18offset_tEEE10hipError_tPvRmT1_PNSt15iterator_traitsISY_E10value_typeET2_T3_PNSZ_IS14_E10value_typeET4_jRbjT5_S1A_jjP12ihipStream_tbEUljE_EEESV_SW_SX_S14_S18_S1A_T6_T7_T9_mT8_S1C_bDpT10_ENKUlT_T0_E_clISt17integral_constantIbLb1EES1O_IbLb0EEEEDaS1K_S1L_EUlS1K_E_NS1_11comp_targetILNS1_3genE9ELNS1_11target_archE1100ELNS1_3gpuE3ELNS1_3repE0EEENS1_30default_config_static_selectorELNS0_4arch9wavefront6targetE0EEEvSY_
                                        ; -- End function
	.set _ZN7rocprim17ROCPRIM_400000_NS6detail17trampoline_kernelINS0_13select_configILj256ELj13ELNS0_17block_load_methodE3ELS4_3ELS4_3ELNS0_20block_scan_algorithmE0ELj4294967295EEENS1_25partition_config_selectorILNS1_17partition_subalgoE3EjNS0_10empty_typeEbEEZZNS1_14partition_implILS8_3ELb0ES6_jNS0_17counting_iteratorIjlEEPS9_SE_NS0_5tupleIJPjSE_EEENSF_IJSE_SE_EEES9_SG_JZNS1_25segmented_radix_sort_implINS0_14default_configELb1EPKhPhPKlPlN2at6native12_GLOBAL__N_18offset_tEEE10hipError_tPvRmT1_PNSt15iterator_traitsISY_E10value_typeET2_T3_PNSZ_IS14_E10value_typeET4_jRbjT5_S1A_jjP12ihipStream_tbEUljE_EEESV_SW_SX_S14_S18_S1A_T6_T7_T9_mT8_S1C_bDpT10_ENKUlT_T0_E_clISt17integral_constantIbLb1EES1O_IbLb0EEEEDaS1K_S1L_EUlS1K_E_NS1_11comp_targetILNS1_3genE9ELNS1_11target_archE1100ELNS1_3gpuE3ELNS1_3repE0EEENS1_30default_config_static_selectorELNS0_4arch9wavefront6targetE0EEEvSY_.num_vgpr, 0
	.set _ZN7rocprim17ROCPRIM_400000_NS6detail17trampoline_kernelINS0_13select_configILj256ELj13ELNS0_17block_load_methodE3ELS4_3ELS4_3ELNS0_20block_scan_algorithmE0ELj4294967295EEENS1_25partition_config_selectorILNS1_17partition_subalgoE3EjNS0_10empty_typeEbEEZZNS1_14partition_implILS8_3ELb0ES6_jNS0_17counting_iteratorIjlEEPS9_SE_NS0_5tupleIJPjSE_EEENSF_IJSE_SE_EEES9_SG_JZNS1_25segmented_radix_sort_implINS0_14default_configELb1EPKhPhPKlPlN2at6native12_GLOBAL__N_18offset_tEEE10hipError_tPvRmT1_PNSt15iterator_traitsISY_E10value_typeET2_T3_PNSZ_IS14_E10value_typeET4_jRbjT5_S1A_jjP12ihipStream_tbEUljE_EEESV_SW_SX_S14_S18_S1A_T6_T7_T9_mT8_S1C_bDpT10_ENKUlT_T0_E_clISt17integral_constantIbLb1EES1O_IbLb0EEEEDaS1K_S1L_EUlS1K_E_NS1_11comp_targetILNS1_3genE9ELNS1_11target_archE1100ELNS1_3gpuE3ELNS1_3repE0EEENS1_30default_config_static_selectorELNS0_4arch9wavefront6targetE0EEEvSY_.num_agpr, 0
	.set _ZN7rocprim17ROCPRIM_400000_NS6detail17trampoline_kernelINS0_13select_configILj256ELj13ELNS0_17block_load_methodE3ELS4_3ELS4_3ELNS0_20block_scan_algorithmE0ELj4294967295EEENS1_25partition_config_selectorILNS1_17partition_subalgoE3EjNS0_10empty_typeEbEEZZNS1_14partition_implILS8_3ELb0ES6_jNS0_17counting_iteratorIjlEEPS9_SE_NS0_5tupleIJPjSE_EEENSF_IJSE_SE_EEES9_SG_JZNS1_25segmented_radix_sort_implINS0_14default_configELb1EPKhPhPKlPlN2at6native12_GLOBAL__N_18offset_tEEE10hipError_tPvRmT1_PNSt15iterator_traitsISY_E10value_typeET2_T3_PNSZ_IS14_E10value_typeET4_jRbjT5_S1A_jjP12ihipStream_tbEUljE_EEESV_SW_SX_S14_S18_S1A_T6_T7_T9_mT8_S1C_bDpT10_ENKUlT_T0_E_clISt17integral_constantIbLb1EES1O_IbLb0EEEEDaS1K_S1L_EUlS1K_E_NS1_11comp_targetILNS1_3genE9ELNS1_11target_archE1100ELNS1_3gpuE3ELNS1_3repE0EEENS1_30default_config_static_selectorELNS0_4arch9wavefront6targetE0EEEvSY_.numbered_sgpr, 0
	.set _ZN7rocprim17ROCPRIM_400000_NS6detail17trampoline_kernelINS0_13select_configILj256ELj13ELNS0_17block_load_methodE3ELS4_3ELS4_3ELNS0_20block_scan_algorithmE0ELj4294967295EEENS1_25partition_config_selectorILNS1_17partition_subalgoE3EjNS0_10empty_typeEbEEZZNS1_14partition_implILS8_3ELb0ES6_jNS0_17counting_iteratorIjlEEPS9_SE_NS0_5tupleIJPjSE_EEENSF_IJSE_SE_EEES9_SG_JZNS1_25segmented_radix_sort_implINS0_14default_configELb1EPKhPhPKlPlN2at6native12_GLOBAL__N_18offset_tEEE10hipError_tPvRmT1_PNSt15iterator_traitsISY_E10value_typeET2_T3_PNSZ_IS14_E10value_typeET4_jRbjT5_S1A_jjP12ihipStream_tbEUljE_EEESV_SW_SX_S14_S18_S1A_T6_T7_T9_mT8_S1C_bDpT10_ENKUlT_T0_E_clISt17integral_constantIbLb1EES1O_IbLb0EEEEDaS1K_S1L_EUlS1K_E_NS1_11comp_targetILNS1_3genE9ELNS1_11target_archE1100ELNS1_3gpuE3ELNS1_3repE0EEENS1_30default_config_static_selectorELNS0_4arch9wavefront6targetE0EEEvSY_.num_named_barrier, 0
	.set _ZN7rocprim17ROCPRIM_400000_NS6detail17trampoline_kernelINS0_13select_configILj256ELj13ELNS0_17block_load_methodE3ELS4_3ELS4_3ELNS0_20block_scan_algorithmE0ELj4294967295EEENS1_25partition_config_selectorILNS1_17partition_subalgoE3EjNS0_10empty_typeEbEEZZNS1_14partition_implILS8_3ELb0ES6_jNS0_17counting_iteratorIjlEEPS9_SE_NS0_5tupleIJPjSE_EEENSF_IJSE_SE_EEES9_SG_JZNS1_25segmented_radix_sort_implINS0_14default_configELb1EPKhPhPKlPlN2at6native12_GLOBAL__N_18offset_tEEE10hipError_tPvRmT1_PNSt15iterator_traitsISY_E10value_typeET2_T3_PNSZ_IS14_E10value_typeET4_jRbjT5_S1A_jjP12ihipStream_tbEUljE_EEESV_SW_SX_S14_S18_S1A_T6_T7_T9_mT8_S1C_bDpT10_ENKUlT_T0_E_clISt17integral_constantIbLb1EES1O_IbLb0EEEEDaS1K_S1L_EUlS1K_E_NS1_11comp_targetILNS1_3genE9ELNS1_11target_archE1100ELNS1_3gpuE3ELNS1_3repE0EEENS1_30default_config_static_selectorELNS0_4arch9wavefront6targetE0EEEvSY_.private_seg_size, 0
	.set _ZN7rocprim17ROCPRIM_400000_NS6detail17trampoline_kernelINS0_13select_configILj256ELj13ELNS0_17block_load_methodE3ELS4_3ELS4_3ELNS0_20block_scan_algorithmE0ELj4294967295EEENS1_25partition_config_selectorILNS1_17partition_subalgoE3EjNS0_10empty_typeEbEEZZNS1_14partition_implILS8_3ELb0ES6_jNS0_17counting_iteratorIjlEEPS9_SE_NS0_5tupleIJPjSE_EEENSF_IJSE_SE_EEES9_SG_JZNS1_25segmented_radix_sort_implINS0_14default_configELb1EPKhPhPKlPlN2at6native12_GLOBAL__N_18offset_tEEE10hipError_tPvRmT1_PNSt15iterator_traitsISY_E10value_typeET2_T3_PNSZ_IS14_E10value_typeET4_jRbjT5_S1A_jjP12ihipStream_tbEUljE_EEESV_SW_SX_S14_S18_S1A_T6_T7_T9_mT8_S1C_bDpT10_ENKUlT_T0_E_clISt17integral_constantIbLb1EES1O_IbLb0EEEEDaS1K_S1L_EUlS1K_E_NS1_11comp_targetILNS1_3genE9ELNS1_11target_archE1100ELNS1_3gpuE3ELNS1_3repE0EEENS1_30default_config_static_selectorELNS0_4arch9wavefront6targetE0EEEvSY_.uses_vcc, 0
	.set _ZN7rocprim17ROCPRIM_400000_NS6detail17trampoline_kernelINS0_13select_configILj256ELj13ELNS0_17block_load_methodE3ELS4_3ELS4_3ELNS0_20block_scan_algorithmE0ELj4294967295EEENS1_25partition_config_selectorILNS1_17partition_subalgoE3EjNS0_10empty_typeEbEEZZNS1_14partition_implILS8_3ELb0ES6_jNS0_17counting_iteratorIjlEEPS9_SE_NS0_5tupleIJPjSE_EEENSF_IJSE_SE_EEES9_SG_JZNS1_25segmented_radix_sort_implINS0_14default_configELb1EPKhPhPKlPlN2at6native12_GLOBAL__N_18offset_tEEE10hipError_tPvRmT1_PNSt15iterator_traitsISY_E10value_typeET2_T3_PNSZ_IS14_E10value_typeET4_jRbjT5_S1A_jjP12ihipStream_tbEUljE_EEESV_SW_SX_S14_S18_S1A_T6_T7_T9_mT8_S1C_bDpT10_ENKUlT_T0_E_clISt17integral_constantIbLb1EES1O_IbLb0EEEEDaS1K_S1L_EUlS1K_E_NS1_11comp_targetILNS1_3genE9ELNS1_11target_archE1100ELNS1_3gpuE3ELNS1_3repE0EEENS1_30default_config_static_selectorELNS0_4arch9wavefront6targetE0EEEvSY_.uses_flat_scratch, 0
	.set _ZN7rocprim17ROCPRIM_400000_NS6detail17trampoline_kernelINS0_13select_configILj256ELj13ELNS0_17block_load_methodE3ELS4_3ELS4_3ELNS0_20block_scan_algorithmE0ELj4294967295EEENS1_25partition_config_selectorILNS1_17partition_subalgoE3EjNS0_10empty_typeEbEEZZNS1_14partition_implILS8_3ELb0ES6_jNS0_17counting_iteratorIjlEEPS9_SE_NS0_5tupleIJPjSE_EEENSF_IJSE_SE_EEES9_SG_JZNS1_25segmented_radix_sort_implINS0_14default_configELb1EPKhPhPKlPlN2at6native12_GLOBAL__N_18offset_tEEE10hipError_tPvRmT1_PNSt15iterator_traitsISY_E10value_typeET2_T3_PNSZ_IS14_E10value_typeET4_jRbjT5_S1A_jjP12ihipStream_tbEUljE_EEESV_SW_SX_S14_S18_S1A_T6_T7_T9_mT8_S1C_bDpT10_ENKUlT_T0_E_clISt17integral_constantIbLb1EES1O_IbLb0EEEEDaS1K_S1L_EUlS1K_E_NS1_11comp_targetILNS1_3genE9ELNS1_11target_archE1100ELNS1_3gpuE3ELNS1_3repE0EEENS1_30default_config_static_selectorELNS0_4arch9wavefront6targetE0EEEvSY_.has_dyn_sized_stack, 0
	.set _ZN7rocprim17ROCPRIM_400000_NS6detail17trampoline_kernelINS0_13select_configILj256ELj13ELNS0_17block_load_methodE3ELS4_3ELS4_3ELNS0_20block_scan_algorithmE0ELj4294967295EEENS1_25partition_config_selectorILNS1_17partition_subalgoE3EjNS0_10empty_typeEbEEZZNS1_14partition_implILS8_3ELb0ES6_jNS0_17counting_iteratorIjlEEPS9_SE_NS0_5tupleIJPjSE_EEENSF_IJSE_SE_EEES9_SG_JZNS1_25segmented_radix_sort_implINS0_14default_configELb1EPKhPhPKlPlN2at6native12_GLOBAL__N_18offset_tEEE10hipError_tPvRmT1_PNSt15iterator_traitsISY_E10value_typeET2_T3_PNSZ_IS14_E10value_typeET4_jRbjT5_S1A_jjP12ihipStream_tbEUljE_EEESV_SW_SX_S14_S18_S1A_T6_T7_T9_mT8_S1C_bDpT10_ENKUlT_T0_E_clISt17integral_constantIbLb1EES1O_IbLb0EEEEDaS1K_S1L_EUlS1K_E_NS1_11comp_targetILNS1_3genE9ELNS1_11target_archE1100ELNS1_3gpuE3ELNS1_3repE0EEENS1_30default_config_static_selectorELNS0_4arch9wavefront6targetE0EEEvSY_.has_recursion, 0
	.set _ZN7rocprim17ROCPRIM_400000_NS6detail17trampoline_kernelINS0_13select_configILj256ELj13ELNS0_17block_load_methodE3ELS4_3ELS4_3ELNS0_20block_scan_algorithmE0ELj4294967295EEENS1_25partition_config_selectorILNS1_17partition_subalgoE3EjNS0_10empty_typeEbEEZZNS1_14partition_implILS8_3ELb0ES6_jNS0_17counting_iteratorIjlEEPS9_SE_NS0_5tupleIJPjSE_EEENSF_IJSE_SE_EEES9_SG_JZNS1_25segmented_radix_sort_implINS0_14default_configELb1EPKhPhPKlPlN2at6native12_GLOBAL__N_18offset_tEEE10hipError_tPvRmT1_PNSt15iterator_traitsISY_E10value_typeET2_T3_PNSZ_IS14_E10value_typeET4_jRbjT5_S1A_jjP12ihipStream_tbEUljE_EEESV_SW_SX_S14_S18_S1A_T6_T7_T9_mT8_S1C_bDpT10_ENKUlT_T0_E_clISt17integral_constantIbLb1EES1O_IbLb0EEEEDaS1K_S1L_EUlS1K_E_NS1_11comp_targetILNS1_3genE9ELNS1_11target_archE1100ELNS1_3gpuE3ELNS1_3repE0EEENS1_30default_config_static_selectorELNS0_4arch9wavefront6targetE0EEEvSY_.has_indirect_call, 0
	.section	.AMDGPU.csdata,"",@progbits
; Kernel info:
; codeLenInByte = 0
; TotalNumSgprs: 0
; NumVgprs: 0
; ScratchSize: 0
; MemoryBound: 0
; FloatMode: 240
; IeeeMode: 1
; LDSByteSize: 0 bytes/workgroup (compile time only)
; SGPRBlocks: 0
; VGPRBlocks: 0
; NumSGPRsForWavesPerEU: 1
; NumVGPRsForWavesPerEU: 1
; NamedBarCnt: 0
; Occupancy: 16
; WaveLimiterHint : 0
; COMPUTE_PGM_RSRC2:SCRATCH_EN: 0
; COMPUTE_PGM_RSRC2:USER_SGPR: 2
; COMPUTE_PGM_RSRC2:TRAP_HANDLER: 0
; COMPUTE_PGM_RSRC2:TGID_X_EN: 1
; COMPUTE_PGM_RSRC2:TGID_Y_EN: 0
; COMPUTE_PGM_RSRC2:TGID_Z_EN: 0
; COMPUTE_PGM_RSRC2:TIDIG_COMP_CNT: 0
	.section	.text._ZN7rocprim17ROCPRIM_400000_NS6detail17trampoline_kernelINS0_13select_configILj256ELj13ELNS0_17block_load_methodE3ELS4_3ELS4_3ELNS0_20block_scan_algorithmE0ELj4294967295EEENS1_25partition_config_selectorILNS1_17partition_subalgoE3EjNS0_10empty_typeEbEEZZNS1_14partition_implILS8_3ELb0ES6_jNS0_17counting_iteratorIjlEEPS9_SE_NS0_5tupleIJPjSE_EEENSF_IJSE_SE_EEES9_SG_JZNS1_25segmented_radix_sort_implINS0_14default_configELb1EPKhPhPKlPlN2at6native12_GLOBAL__N_18offset_tEEE10hipError_tPvRmT1_PNSt15iterator_traitsISY_E10value_typeET2_T3_PNSZ_IS14_E10value_typeET4_jRbjT5_S1A_jjP12ihipStream_tbEUljE_EEESV_SW_SX_S14_S18_S1A_T6_T7_T9_mT8_S1C_bDpT10_ENKUlT_T0_E_clISt17integral_constantIbLb1EES1O_IbLb0EEEEDaS1K_S1L_EUlS1K_E_NS1_11comp_targetILNS1_3genE8ELNS1_11target_archE1030ELNS1_3gpuE2ELNS1_3repE0EEENS1_30default_config_static_selectorELNS0_4arch9wavefront6targetE0EEEvSY_,"axG",@progbits,_ZN7rocprim17ROCPRIM_400000_NS6detail17trampoline_kernelINS0_13select_configILj256ELj13ELNS0_17block_load_methodE3ELS4_3ELS4_3ELNS0_20block_scan_algorithmE0ELj4294967295EEENS1_25partition_config_selectorILNS1_17partition_subalgoE3EjNS0_10empty_typeEbEEZZNS1_14partition_implILS8_3ELb0ES6_jNS0_17counting_iteratorIjlEEPS9_SE_NS0_5tupleIJPjSE_EEENSF_IJSE_SE_EEES9_SG_JZNS1_25segmented_radix_sort_implINS0_14default_configELb1EPKhPhPKlPlN2at6native12_GLOBAL__N_18offset_tEEE10hipError_tPvRmT1_PNSt15iterator_traitsISY_E10value_typeET2_T3_PNSZ_IS14_E10value_typeET4_jRbjT5_S1A_jjP12ihipStream_tbEUljE_EEESV_SW_SX_S14_S18_S1A_T6_T7_T9_mT8_S1C_bDpT10_ENKUlT_T0_E_clISt17integral_constantIbLb1EES1O_IbLb0EEEEDaS1K_S1L_EUlS1K_E_NS1_11comp_targetILNS1_3genE8ELNS1_11target_archE1030ELNS1_3gpuE2ELNS1_3repE0EEENS1_30default_config_static_selectorELNS0_4arch9wavefront6targetE0EEEvSY_,comdat
	.globl	_ZN7rocprim17ROCPRIM_400000_NS6detail17trampoline_kernelINS0_13select_configILj256ELj13ELNS0_17block_load_methodE3ELS4_3ELS4_3ELNS0_20block_scan_algorithmE0ELj4294967295EEENS1_25partition_config_selectorILNS1_17partition_subalgoE3EjNS0_10empty_typeEbEEZZNS1_14partition_implILS8_3ELb0ES6_jNS0_17counting_iteratorIjlEEPS9_SE_NS0_5tupleIJPjSE_EEENSF_IJSE_SE_EEES9_SG_JZNS1_25segmented_radix_sort_implINS0_14default_configELb1EPKhPhPKlPlN2at6native12_GLOBAL__N_18offset_tEEE10hipError_tPvRmT1_PNSt15iterator_traitsISY_E10value_typeET2_T3_PNSZ_IS14_E10value_typeET4_jRbjT5_S1A_jjP12ihipStream_tbEUljE_EEESV_SW_SX_S14_S18_S1A_T6_T7_T9_mT8_S1C_bDpT10_ENKUlT_T0_E_clISt17integral_constantIbLb1EES1O_IbLb0EEEEDaS1K_S1L_EUlS1K_E_NS1_11comp_targetILNS1_3genE8ELNS1_11target_archE1030ELNS1_3gpuE2ELNS1_3repE0EEENS1_30default_config_static_selectorELNS0_4arch9wavefront6targetE0EEEvSY_ ; -- Begin function _ZN7rocprim17ROCPRIM_400000_NS6detail17trampoline_kernelINS0_13select_configILj256ELj13ELNS0_17block_load_methodE3ELS4_3ELS4_3ELNS0_20block_scan_algorithmE0ELj4294967295EEENS1_25partition_config_selectorILNS1_17partition_subalgoE3EjNS0_10empty_typeEbEEZZNS1_14partition_implILS8_3ELb0ES6_jNS0_17counting_iteratorIjlEEPS9_SE_NS0_5tupleIJPjSE_EEENSF_IJSE_SE_EEES9_SG_JZNS1_25segmented_radix_sort_implINS0_14default_configELb1EPKhPhPKlPlN2at6native12_GLOBAL__N_18offset_tEEE10hipError_tPvRmT1_PNSt15iterator_traitsISY_E10value_typeET2_T3_PNSZ_IS14_E10value_typeET4_jRbjT5_S1A_jjP12ihipStream_tbEUljE_EEESV_SW_SX_S14_S18_S1A_T6_T7_T9_mT8_S1C_bDpT10_ENKUlT_T0_E_clISt17integral_constantIbLb1EES1O_IbLb0EEEEDaS1K_S1L_EUlS1K_E_NS1_11comp_targetILNS1_3genE8ELNS1_11target_archE1030ELNS1_3gpuE2ELNS1_3repE0EEENS1_30default_config_static_selectorELNS0_4arch9wavefront6targetE0EEEvSY_
	.p2align	8
	.type	_ZN7rocprim17ROCPRIM_400000_NS6detail17trampoline_kernelINS0_13select_configILj256ELj13ELNS0_17block_load_methodE3ELS4_3ELS4_3ELNS0_20block_scan_algorithmE0ELj4294967295EEENS1_25partition_config_selectorILNS1_17partition_subalgoE3EjNS0_10empty_typeEbEEZZNS1_14partition_implILS8_3ELb0ES6_jNS0_17counting_iteratorIjlEEPS9_SE_NS0_5tupleIJPjSE_EEENSF_IJSE_SE_EEES9_SG_JZNS1_25segmented_radix_sort_implINS0_14default_configELb1EPKhPhPKlPlN2at6native12_GLOBAL__N_18offset_tEEE10hipError_tPvRmT1_PNSt15iterator_traitsISY_E10value_typeET2_T3_PNSZ_IS14_E10value_typeET4_jRbjT5_S1A_jjP12ihipStream_tbEUljE_EEESV_SW_SX_S14_S18_S1A_T6_T7_T9_mT8_S1C_bDpT10_ENKUlT_T0_E_clISt17integral_constantIbLb1EES1O_IbLb0EEEEDaS1K_S1L_EUlS1K_E_NS1_11comp_targetILNS1_3genE8ELNS1_11target_archE1030ELNS1_3gpuE2ELNS1_3repE0EEENS1_30default_config_static_selectorELNS0_4arch9wavefront6targetE0EEEvSY_,@function
_ZN7rocprim17ROCPRIM_400000_NS6detail17trampoline_kernelINS0_13select_configILj256ELj13ELNS0_17block_load_methodE3ELS4_3ELS4_3ELNS0_20block_scan_algorithmE0ELj4294967295EEENS1_25partition_config_selectorILNS1_17partition_subalgoE3EjNS0_10empty_typeEbEEZZNS1_14partition_implILS8_3ELb0ES6_jNS0_17counting_iteratorIjlEEPS9_SE_NS0_5tupleIJPjSE_EEENSF_IJSE_SE_EEES9_SG_JZNS1_25segmented_radix_sort_implINS0_14default_configELb1EPKhPhPKlPlN2at6native12_GLOBAL__N_18offset_tEEE10hipError_tPvRmT1_PNSt15iterator_traitsISY_E10value_typeET2_T3_PNSZ_IS14_E10value_typeET4_jRbjT5_S1A_jjP12ihipStream_tbEUljE_EEESV_SW_SX_S14_S18_S1A_T6_T7_T9_mT8_S1C_bDpT10_ENKUlT_T0_E_clISt17integral_constantIbLb1EES1O_IbLb0EEEEDaS1K_S1L_EUlS1K_E_NS1_11comp_targetILNS1_3genE8ELNS1_11target_archE1030ELNS1_3gpuE2ELNS1_3repE0EEENS1_30default_config_static_selectorELNS0_4arch9wavefront6targetE0EEEvSY_: ; @_ZN7rocprim17ROCPRIM_400000_NS6detail17trampoline_kernelINS0_13select_configILj256ELj13ELNS0_17block_load_methodE3ELS4_3ELS4_3ELNS0_20block_scan_algorithmE0ELj4294967295EEENS1_25partition_config_selectorILNS1_17partition_subalgoE3EjNS0_10empty_typeEbEEZZNS1_14partition_implILS8_3ELb0ES6_jNS0_17counting_iteratorIjlEEPS9_SE_NS0_5tupleIJPjSE_EEENSF_IJSE_SE_EEES9_SG_JZNS1_25segmented_radix_sort_implINS0_14default_configELb1EPKhPhPKlPlN2at6native12_GLOBAL__N_18offset_tEEE10hipError_tPvRmT1_PNSt15iterator_traitsISY_E10value_typeET2_T3_PNSZ_IS14_E10value_typeET4_jRbjT5_S1A_jjP12ihipStream_tbEUljE_EEESV_SW_SX_S14_S18_S1A_T6_T7_T9_mT8_S1C_bDpT10_ENKUlT_T0_E_clISt17integral_constantIbLb1EES1O_IbLb0EEEEDaS1K_S1L_EUlS1K_E_NS1_11comp_targetILNS1_3genE8ELNS1_11target_archE1030ELNS1_3gpuE2ELNS1_3repE0EEENS1_30default_config_static_selectorELNS0_4arch9wavefront6targetE0EEEvSY_
; %bb.0:
	.section	.rodata,"a",@progbits
	.p2align	6, 0x0
	.amdhsa_kernel _ZN7rocprim17ROCPRIM_400000_NS6detail17trampoline_kernelINS0_13select_configILj256ELj13ELNS0_17block_load_methodE3ELS4_3ELS4_3ELNS0_20block_scan_algorithmE0ELj4294967295EEENS1_25partition_config_selectorILNS1_17partition_subalgoE3EjNS0_10empty_typeEbEEZZNS1_14partition_implILS8_3ELb0ES6_jNS0_17counting_iteratorIjlEEPS9_SE_NS0_5tupleIJPjSE_EEENSF_IJSE_SE_EEES9_SG_JZNS1_25segmented_radix_sort_implINS0_14default_configELb1EPKhPhPKlPlN2at6native12_GLOBAL__N_18offset_tEEE10hipError_tPvRmT1_PNSt15iterator_traitsISY_E10value_typeET2_T3_PNSZ_IS14_E10value_typeET4_jRbjT5_S1A_jjP12ihipStream_tbEUljE_EEESV_SW_SX_S14_S18_S1A_T6_T7_T9_mT8_S1C_bDpT10_ENKUlT_T0_E_clISt17integral_constantIbLb1EES1O_IbLb0EEEEDaS1K_S1L_EUlS1K_E_NS1_11comp_targetILNS1_3genE8ELNS1_11target_archE1030ELNS1_3gpuE2ELNS1_3repE0EEENS1_30default_config_static_selectorELNS0_4arch9wavefront6targetE0EEEvSY_
		.amdhsa_group_segment_fixed_size 0
		.amdhsa_private_segment_fixed_size 0
		.amdhsa_kernarg_size 144
		.amdhsa_user_sgpr_count 2
		.amdhsa_user_sgpr_dispatch_ptr 0
		.amdhsa_user_sgpr_queue_ptr 0
		.amdhsa_user_sgpr_kernarg_segment_ptr 1
		.amdhsa_user_sgpr_dispatch_id 0
		.amdhsa_user_sgpr_kernarg_preload_length 0
		.amdhsa_user_sgpr_kernarg_preload_offset 0
		.amdhsa_user_sgpr_private_segment_size 0
		.amdhsa_wavefront_size32 1
		.amdhsa_uses_dynamic_stack 0
		.amdhsa_enable_private_segment 0
		.amdhsa_system_sgpr_workgroup_id_x 1
		.amdhsa_system_sgpr_workgroup_id_y 0
		.amdhsa_system_sgpr_workgroup_id_z 0
		.amdhsa_system_sgpr_workgroup_info 0
		.amdhsa_system_vgpr_workitem_id 0
		.amdhsa_next_free_vgpr 1
		.amdhsa_next_free_sgpr 1
		.amdhsa_named_barrier_count 0
		.amdhsa_reserve_vcc 0
		.amdhsa_float_round_mode_32 0
		.amdhsa_float_round_mode_16_64 0
		.amdhsa_float_denorm_mode_32 3
		.amdhsa_float_denorm_mode_16_64 3
		.amdhsa_fp16_overflow 0
		.amdhsa_memory_ordered 1
		.amdhsa_forward_progress 1
		.amdhsa_inst_pref_size 0
		.amdhsa_round_robin_scheduling 0
		.amdhsa_exception_fp_ieee_invalid_op 0
		.amdhsa_exception_fp_denorm_src 0
		.amdhsa_exception_fp_ieee_div_zero 0
		.amdhsa_exception_fp_ieee_overflow 0
		.amdhsa_exception_fp_ieee_underflow 0
		.amdhsa_exception_fp_ieee_inexact 0
		.amdhsa_exception_int_div_zero 0
	.end_amdhsa_kernel
	.section	.text._ZN7rocprim17ROCPRIM_400000_NS6detail17trampoline_kernelINS0_13select_configILj256ELj13ELNS0_17block_load_methodE3ELS4_3ELS4_3ELNS0_20block_scan_algorithmE0ELj4294967295EEENS1_25partition_config_selectorILNS1_17partition_subalgoE3EjNS0_10empty_typeEbEEZZNS1_14partition_implILS8_3ELb0ES6_jNS0_17counting_iteratorIjlEEPS9_SE_NS0_5tupleIJPjSE_EEENSF_IJSE_SE_EEES9_SG_JZNS1_25segmented_radix_sort_implINS0_14default_configELb1EPKhPhPKlPlN2at6native12_GLOBAL__N_18offset_tEEE10hipError_tPvRmT1_PNSt15iterator_traitsISY_E10value_typeET2_T3_PNSZ_IS14_E10value_typeET4_jRbjT5_S1A_jjP12ihipStream_tbEUljE_EEESV_SW_SX_S14_S18_S1A_T6_T7_T9_mT8_S1C_bDpT10_ENKUlT_T0_E_clISt17integral_constantIbLb1EES1O_IbLb0EEEEDaS1K_S1L_EUlS1K_E_NS1_11comp_targetILNS1_3genE8ELNS1_11target_archE1030ELNS1_3gpuE2ELNS1_3repE0EEENS1_30default_config_static_selectorELNS0_4arch9wavefront6targetE0EEEvSY_,"axG",@progbits,_ZN7rocprim17ROCPRIM_400000_NS6detail17trampoline_kernelINS0_13select_configILj256ELj13ELNS0_17block_load_methodE3ELS4_3ELS4_3ELNS0_20block_scan_algorithmE0ELj4294967295EEENS1_25partition_config_selectorILNS1_17partition_subalgoE3EjNS0_10empty_typeEbEEZZNS1_14partition_implILS8_3ELb0ES6_jNS0_17counting_iteratorIjlEEPS9_SE_NS0_5tupleIJPjSE_EEENSF_IJSE_SE_EEES9_SG_JZNS1_25segmented_radix_sort_implINS0_14default_configELb1EPKhPhPKlPlN2at6native12_GLOBAL__N_18offset_tEEE10hipError_tPvRmT1_PNSt15iterator_traitsISY_E10value_typeET2_T3_PNSZ_IS14_E10value_typeET4_jRbjT5_S1A_jjP12ihipStream_tbEUljE_EEESV_SW_SX_S14_S18_S1A_T6_T7_T9_mT8_S1C_bDpT10_ENKUlT_T0_E_clISt17integral_constantIbLb1EES1O_IbLb0EEEEDaS1K_S1L_EUlS1K_E_NS1_11comp_targetILNS1_3genE8ELNS1_11target_archE1030ELNS1_3gpuE2ELNS1_3repE0EEENS1_30default_config_static_selectorELNS0_4arch9wavefront6targetE0EEEvSY_,comdat
.Lfunc_end73:
	.size	_ZN7rocprim17ROCPRIM_400000_NS6detail17trampoline_kernelINS0_13select_configILj256ELj13ELNS0_17block_load_methodE3ELS4_3ELS4_3ELNS0_20block_scan_algorithmE0ELj4294967295EEENS1_25partition_config_selectorILNS1_17partition_subalgoE3EjNS0_10empty_typeEbEEZZNS1_14partition_implILS8_3ELb0ES6_jNS0_17counting_iteratorIjlEEPS9_SE_NS0_5tupleIJPjSE_EEENSF_IJSE_SE_EEES9_SG_JZNS1_25segmented_radix_sort_implINS0_14default_configELb1EPKhPhPKlPlN2at6native12_GLOBAL__N_18offset_tEEE10hipError_tPvRmT1_PNSt15iterator_traitsISY_E10value_typeET2_T3_PNSZ_IS14_E10value_typeET4_jRbjT5_S1A_jjP12ihipStream_tbEUljE_EEESV_SW_SX_S14_S18_S1A_T6_T7_T9_mT8_S1C_bDpT10_ENKUlT_T0_E_clISt17integral_constantIbLb1EES1O_IbLb0EEEEDaS1K_S1L_EUlS1K_E_NS1_11comp_targetILNS1_3genE8ELNS1_11target_archE1030ELNS1_3gpuE2ELNS1_3repE0EEENS1_30default_config_static_selectorELNS0_4arch9wavefront6targetE0EEEvSY_, .Lfunc_end73-_ZN7rocprim17ROCPRIM_400000_NS6detail17trampoline_kernelINS0_13select_configILj256ELj13ELNS0_17block_load_methodE3ELS4_3ELS4_3ELNS0_20block_scan_algorithmE0ELj4294967295EEENS1_25partition_config_selectorILNS1_17partition_subalgoE3EjNS0_10empty_typeEbEEZZNS1_14partition_implILS8_3ELb0ES6_jNS0_17counting_iteratorIjlEEPS9_SE_NS0_5tupleIJPjSE_EEENSF_IJSE_SE_EEES9_SG_JZNS1_25segmented_radix_sort_implINS0_14default_configELb1EPKhPhPKlPlN2at6native12_GLOBAL__N_18offset_tEEE10hipError_tPvRmT1_PNSt15iterator_traitsISY_E10value_typeET2_T3_PNSZ_IS14_E10value_typeET4_jRbjT5_S1A_jjP12ihipStream_tbEUljE_EEESV_SW_SX_S14_S18_S1A_T6_T7_T9_mT8_S1C_bDpT10_ENKUlT_T0_E_clISt17integral_constantIbLb1EES1O_IbLb0EEEEDaS1K_S1L_EUlS1K_E_NS1_11comp_targetILNS1_3genE8ELNS1_11target_archE1030ELNS1_3gpuE2ELNS1_3repE0EEENS1_30default_config_static_selectorELNS0_4arch9wavefront6targetE0EEEvSY_
                                        ; -- End function
	.set _ZN7rocprim17ROCPRIM_400000_NS6detail17trampoline_kernelINS0_13select_configILj256ELj13ELNS0_17block_load_methodE3ELS4_3ELS4_3ELNS0_20block_scan_algorithmE0ELj4294967295EEENS1_25partition_config_selectorILNS1_17partition_subalgoE3EjNS0_10empty_typeEbEEZZNS1_14partition_implILS8_3ELb0ES6_jNS0_17counting_iteratorIjlEEPS9_SE_NS0_5tupleIJPjSE_EEENSF_IJSE_SE_EEES9_SG_JZNS1_25segmented_radix_sort_implINS0_14default_configELb1EPKhPhPKlPlN2at6native12_GLOBAL__N_18offset_tEEE10hipError_tPvRmT1_PNSt15iterator_traitsISY_E10value_typeET2_T3_PNSZ_IS14_E10value_typeET4_jRbjT5_S1A_jjP12ihipStream_tbEUljE_EEESV_SW_SX_S14_S18_S1A_T6_T7_T9_mT8_S1C_bDpT10_ENKUlT_T0_E_clISt17integral_constantIbLb1EES1O_IbLb0EEEEDaS1K_S1L_EUlS1K_E_NS1_11comp_targetILNS1_3genE8ELNS1_11target_archE1030ELNS1_3gpuE2ELNS1_3repE0EEENS1_30default_config_static_selectorELNS0_4arch9wavefront6targetE0EEEvSY_.num_vgpr, 0
	.set _ZN7rocprim17ROCPRIM_400000_NS6detail17trampoline_kernelINS0_13select_configILj256ELj13ELNS0_17block_load_methodE3ELS4_3ELS4_3ELNS0_20block_scan_algorithmE0ELj4294967295EEENS1_25partition_config_selectorILNS1_17partition_subalgoE3EjNS0_10empty_typeEbEEZZNS1_14partition_implILS8_3ELb0ES6_jNS0_17counting_iteratorIjlEEPS9_SE_NS0_5tupleIJPjSE_EEENSF_IJSE_SE_EEES9_SG_JZNS1_25segmented_radix_sort_implINS0_14default_configELb1EPKhPhPKlPlN2at6native12_GLOBAL__N_18offset_tEEE10hipError_tPvRmT1_PNSt15iterator_traitsISY_E10value_typeET2_T3_PNSZ_IS14_E10value_typeET4_jRbjT5_S1A_jjP12ihipStream_tbEUljE_EEESV_SW_SX_S14_S18_S1A_T6_T7_T9_mT8_S1C_bDpT10_ENKUlT_T0_E_clISt17integral_constantIbLb1EES1O_IbLb0EEEEDaS1K_S1L_EUlS1K_E_NS1_11comp_targetILNS1_3genE8ELNS1_11target_archE1030ELNS1_3gpuE2ELNS1_3repE0EEENS1_30default_config_static_selectorELNS0_4arch9wavefront6targetE0EEEvSY_.num_agpr, 0
	.set _ZN7rocprim17ROCPRIM_400000_NS6detail17trampoline_kernelINS0_13select_configILj256ELj13ELNS0_17block_load_methodE3ELS4_3ELS4_3ELNS0_20block_scan_algorithmE0ELj4294967295EEENS1_25partition_config_selectorILNS1_17partition_subalgoE3EjNS0_10empty_typeEbEEZZNS1_14partition_implILS8_3ELb0ES6_jNS0_17counting_iteratorIjlEEPS9_SE_NS0_5tupleIJPjSE_EEENSF_IJSE_SE_EEES9_SG_JZNS1_25segmented_radix_sort_implINS0_14default_configELb1EPKhPhPKlPlN2at6native12_GLOBAL__N_18offset_tEEE10hipError_tPvRmT1_PNSt15iterator_traitsISY_E10value_typeET2_T3_PNSZ_IS14_E10value_typeET4_jRbjT5_S1A_jjP12ihipStream_tbEUljE_EEESV_SW_SX_S14_S18_S1A_T6_T7_T9_mT8_S1C_bDpT10_ENKUlT_T0_E_clISt17integral_constantIbLb1EES1O_IbLb0EEEEDaS1K_S1L_EUlS1K_E_NS1_11comp_targetILNS1_3genE8ELNS1_11target_archE1030ELNS1_3gpuE2ELNS1_3repE0EEENS1_30default_config_static_selectorELNS0_4arch9wavefront6targetE0EEEvSY_.numbered_sgpr, 0
	.set _ZN7rocprim17ROCPRIM_400000_NS6detail17trampoline_kernelINS0_13select_configILj256ELj13ELNS0_17block_load_methodE3ELS4_3ELS4_3ELNS0_20block_scan_algorithmE0ELj4294967295EEENS1_25partition_config_selectorILNS1_17partition_subalgoE3EjNS0_10empty_typeEbEEZZNS1_14partition_implILS8_3ELb0ES6_jNS0_17counting_iteratorIjlEEPS9_SE_NS0_5tupleIJPjSE_EEENSF_IJSE_SE_EEES9_SG_JZNS1_25segmented_radix_sort_implINS0_14default_configELb1EPKhPhPKlPlN2at6native12_GLOBAL__N_18offset_tEEE10hipError_tPvRmT1_PNSt15iterator_traitsISY_E10value_typeET2_T3_PNSZ_IS14_E10value_typeET4_jRbjT5_S1A_jjP12ihipStream_tbEUljE_EEESV_SW_SX_S14_S18_S1A_T6_T7_T9_mT8_S1C_bDpT10_ENKUlT_T0_E_clISt17integral_constantIbLb1EES1O_IbLb0EEEEDaS1K_S1L_EUlS1K_E_NS1_11comp_targetILNS1_3genE8ELNS1_11target_archE1030ELNS1_3gpuE2ELNS1_3repE0EEENS1_30default_config_static_selectorELNS0_4arch9wavefront6targetE0EEEvSY_.num_named_barrier, 0
	.set _ZN7rocprim17ROCPRIM_400000_NS6detail17trampoline_kernelINS0_13select_configILj256ELj13ELNS0_17block_load_methodE3ELS4_3ELS4_3ELNS0_20block_scan_algorithmE0ELj4294967295EEENS1_25partition_config_selectorILNS1_17partition_subalgoE3EjNS0_10empty_typeEbEEZZNS1_14partition_implILS8_3ELb0ES6_jNS0_17counting_iteratorIjlEEPS9_SE_NS0_5tupleIJPjSE_EEENSF_IJSE_SE_EEES9_SG_JZNS1_25segmented_radix_sort_implINS0_14default_configELb1EPKhPhPKlPlN2at6native12_GLOBAL__N_18offset_tEEE10hipError_tPvRmT1_PNSt15iterator_traitsISY_E10value_typeET2_T3_PNSZ_IS14_E10value_typeET4_jRbjT5_S1A_jjP12ihipStream_tbEUljE_EEESV_SW_SX_S14_S18_S1A_T6_T7_T9_mT8_S1C_bDpT10_ENKUlT_T0_E_clISt17integral_constantIbLb1EES1O_IbLb0EEEEDaS1K_S1L_EUlS1K_E_NS1_11comp_targetILNS1_3genE8ELNS1_11target_archE1030ELNS1_3gpuE2ELNS1_3repE0EEENS1_30default_config_static_selectorELNS0_4arch9wavefront6targetE0EEEvSY_.private_seg_size, 0
	.set _ZN7rocprim17ROCPRIM_400000_NS6detail17trampoline_kernelINS0_13select_configILj256ELj13ELNS0_17block_load_methodE3ELS4_3ELS4_3ELNS0_20block_scan_algorithmE0ELj4294967295EEENS1_25partition_config_selectorILNS1_17partition_subalgoE3EjNS0_10empty_typeEbEEZZNS1_14partition_implILS8_3ELb0ES6_jNS0_17counting_iteratorIjlEEPS9_SE_NS0_5tupleIJPjSE_EEENSF_IJSE_SE_EEES9_SG_JZNS1_25segmented_radix_sort_implINS0_14default_configELb1EPKhPhPKlPlN2at6native12_GLOBAL__N_18offset_tEEE10hipError_tPvRmT1_PNSt15iterator_traitsISY_E10value_typeET2_T3_PNSZ_IS14_E10value_typeET4_jRbjT5_S1A_jjP12ihipStream_tbEUljE_EEESV_SW_SX_S14_S18_S1A_T6_T7_T9_mT8_S1C_bDpT10_ENKUlT_T0_E_clISt17integral_constantIbLb1EES1O_IbLb0EEEEDaS1K_S1L_EUlS1K_E_NS1_11comp_targetILNS1_3genE8ELNS1_11target_archE1030ELNS1_3gpuE2ELNS1_3repE0EEENS1_30default_config_static_selectorELNS0_4arch9wavefront6targetE0EEEvSY_.uses_vcc, 0
	.set _ZN7rocprim17ROCPRIM_400000_NS6detail17trampoline_kernelINS0_13select_configILj256ELj13ELNS0_17block_load_methodE3ELS4_3ELS4_3ELNS0_20block_scan_algorithmE0ELj4294967295EEENS1_25partition_config_selectorILNS1_17partition_subalgoE3EjNS0_10empty_typeEbEEZZNS1_14partition_implILS8_3ELb0ES6_jNS0_17counting_iteratorIjlEEPS9_SE_NS0_5tupleIJPjSE_EEENSF_IJSE_SE_EEES9_SG_JZNS1_25segmented_radix_sort_implINS0_14default_configELb1EPKhPhPKlPlN2at6native12_GLOBAL__N_18offset_tEEE10hipError_tPvRmT1_PNSt15iterator_traitsISY_E10value_typeET2_T3_PNSZ_IS14_E10value_typeET4_jRbjT5_S1A_jjP12ihipStream_tbEUljE_EEESV_SW_SX_S14_S18_S1A_T6_T7_T9_mT8_S1C_bDpT10_ENKUlT_T0_E_clISt17integral_constantIbLb1EES1O_IbLb0EEEEDaS1K_S1L_EUlS1K_E_NS1_11comp_targetILNS1_3genE8ELNS1_11target_archE1030ELNS1_3gpuE2ELNS1_3repE0EEENS1_30default_config_static_selectorELNS0_4arch9wavefront6targetE0EEEvSY_.uses_flat_scratch, 0
	.set _ZN7rocprim17ROCPRIM_400000_NS6detail17trampoline_kernelINS0_13select_configILj256ELj13ELNS0_17block_load_methodE3ELS4_3ELS4_3ELNS0_20block_scan_algorithmE0ELj4294967295EEENS1_25partition_config_selectorILNS1_17partition_subalgoE3EjNS0_10empty_typeEbEEZZNS1_14partition_implILS8_3ELb0ES6_jNS0_17counting_iteratorIjlEEPS9_SE_NS0_5tupleIJPjSE_EEENSF_IJSE_SE_EEES9_SG_JZNS1_25segmented_radix_sort_implINS0_14default_configELb1EPKhPhPKlPlN2at6native12_GLOBAL__N_18offset_tEEE10hipError_tPvRmT1_PNSt15iterator_traitsISY_E10value_typeET2_T3_PNSZ_IS14_E10value_typeET4_jRbjT5_S1A_jjP12ihipStream_tbEUljE_EEESV_SW_SX_S14_S18_S1A_T6_T7_T9_mT8_S1C_bDpT10_ENKUlT_T0_E_clISt17integral_constantIbLb1EES1O_IbLb0EEEEDaS1K_S1L_EUlS1K_E_NS1_11comp_targetILNS1_3genE8ELNS1_11target_archE1030ELNS1_3gpuE2ELNS1_3repE0EEENS1_30default_config_static_selectorELNS0_4arch9wavefront6targetE0EEEvSY_.has_dyn_sized_stack, 0
	.set _ZN7rocprim17ROCPRIM_400000_NS6detail17trampoline_kernelINS0_13select_configILj256ELj13ELNS0_17block_load_methodE3ELS4_3ELS4_3ELNS0_20block_scan_algorithmE0ELj4294967295EEENS1_25partition_config_selectorILNS1_17partition_subalgoE3EjNS0_10empty_typeEbEEZZNS1_14partition_implILS8_3ELb0ES6_jNS0_17counting_iteratorIjlEEPS9_SE_NS0_5tupleIJPjSE_EEENSF_IJSE_SE_EEES9_SG_JZNS1_25segmented_radix_sort_implINS0_14default_configELb1EPKhPhPKlPlN2at6native12_GLOBAL__N_18offset_tEEE10hipError_tPvRmT1_PNSt15iterator_traitsISY_E10value_typeET2_T3_PNSZ_IS14_E10value_typeET4_jRbjT5_S1A_jjP12ihipStream_tbEUljE_EEESV_SW_SX_S14_S18_S1A_T6_T7_T9_mT8_S1C_bDpT10_ENKUlT_T0_E_clISt17integral_constantIbLb1EES1O_IbLb0EEEEDaS1K_S1L_EUlS1K_E_NS1_11comp_targetILNS1_3genE8ELNS1_11target_archE1030ELNS1_3gpuE2ELNS1_3repE0EEENS1_30default_config_static_selectorELNS0_4arch9wavefront6targetE0EEEvSY_.has_recursion, 0
	.set _ZN7rocprim17ROCPRIM_400000_NS6detail17trampoline_kernelINS0_13select_configILj256ELj13ELNS0_17block_load_methodE3ELS4_3ELS4_3ELNS0_20block_scan_algorithmE0ELj4294967295EEENS1_25partition_config_selectorILNS1_17partition_subalgoE3EjNS0_10empty_typeEbEEZZNS1_14partition_implILS8_3ELb0ES6_jNS0_17counting_iteratorIjlEEPS9_SE_NS0_5tupleIJPjSE_EEENSF_IJSE_SE_EEES9_SG_JZNS1_25segmented_radix_sort_implINS0_14default_configELb1EPKhPhPKlPlN2at6native12_GLOBAL__N_18offset_tEEE10hipError_tPvRmT1_PNSt15iterator_traitsISY_E10value_typeET2_T3_PNSZ_IS14_E10value_typeET4_jRbjT5_S1A_jjP12ihipStream_tbEUljE_EEESV_SW_SX_S14_S18_S1A_T6_T7_T9_mT8_S1C_bDpT10_ENKUlT_T0_E_clISt17integral_constantIbLb1EES1O_IbLb0EEEEDaS1K_S1L_EUlS1K_E_NS1_11comp_targetILNS1_3genE8ELNS1_11target_archE1030ELNS1_3gpuE2ELNS1_3repE0EEENS1_30default_config_static_selectorELNS0_4arch9wavefront6targetE0EEEvSY_.has_indirect_call, 0
	.section	.AMDGPU.csdata,"",@progbits
; Kernel info:
; codeLenInByte = 0
; TotalNumSgprs: 0
; NumVgprs: 0
; ScratchSize: 0
; MemoryBound: 0
; FloatMode: 240
; IeeeMode: 1
; LDSByteSize: 0 bytes/workgroup (compile time only)
; SGPRBlocks: 0
; VGPRBlocks: 0
; NumSGPRsForWavesPerEU: 1
; NumVGPRsForWavesPerEU: 1
; NamedBarCnt: 0
; Occupancy: 16
; WaveLimiterHint : 0
; COMPUTE_PGM_RSRC2:SCRATCH_EN: 0
; COMPUTE_PGM_RSRC2:USER_SGPR: 2
; COMPUTE_PGM_RSRC2:TRAP_HANDLER: 0
; COMPUTE_PGM_RSRC2:TGID_X_EN: 1
; COMPUTE_PGM_RSRC2:TGID_Y_EN: 0
; COMPUTE_PGM_RSRC2:TGID_Z_EN: 0
; COMPUTE_PGM_RSRC2:TIDIG_COMP_CNT: 0
	.section	.text._ZN7rocprim17ROCPRIM_400000_NS6detail31init_lookback_scan_state_kernelINS1_19lookback_scan_stateIjLb0ELb1EEENS1_16block_id_wrapperIjLb1EEEEEvT_jT0_jPNS7_10value_typeE,"axG",@progbits,_ZN7rocprim17ROCPRIM_400000_NS6detail31init_lookback_scan_state_kernelINS1_19lookback_scan_stateIjLb0ELb1EEENS1_16block_id_wrapperIjLb1EEEEEvT_jT0_jPNS7_10value_typeE,comdat
	.protected	_ZN7rocprim17ROCPRIM_400000_NS6detail31init_lookback_scan_state_kernelINS1_19lookback_scan_stateIjLb0ELb1EEENS1_16block_id_wrapperIjLb1EEEEEvT_jT0_jPNS7_10value_typeE ; -- Begin function _ZN7rocprim17ROCPRIM_400000_NS6detail31init_lookback_scan_state_kernelINS1_19lookback_scan_stateIjLb0ELb1EEENS1_16block_id_wrapperIjLb1EEEEEvT_jT0_jPNS7_10value_typeE
	.globl	_ZN7rocprim17ROCPRIM_400000_NS6detail31init_lookback_scan_state_kernelINS1_19lookback_scan_stateIjLb0ELb1EEENS1_16block_id_wrapperIjLb1EEEEEvT_jT0_jPNS7_10value_typeE
	.p2align	8
	.type	_ZN7rocprim17ROCPRIM_400000_NS6detail31init_lookback_scan_state_kernelINS1_19lookback_scan_stateIjLb0ELb1EEENS1_16block_id_wrapperIjLb1EEEEEvT_jT0_jPNS7_10value_typeE,@function
_ZN7rocprim17ROCPRIM_400000_NS6detail31init_lookback_scan_state_kernelINS1_19lookback_scan_stateIjLb0ELb1EEENS1_16block_id_wrapperIjLb1EEEEEvT_jT0_jPNS7_10value_typeE: ; @_ZN7rocprim17ROCPRIM_400000_NS6detail31init_lookback_scan_state_kernelINS1_19lookback_scan_stateIjLb0ELb1EEENS1_16block_id_wrapperIjLb1EEEEEvT_jT0_jPNS7_10value_typeE
; %bb.0:
	s_clause 0x2
	s_load_b32 s7, s[0:1], 0x34
	s_load_b96 s[4:6], s[0:1], 0x0
	s_load_b64 s[2:3], s[0:1], 0x20
	s_bfe_u32 s8, ttmp6, 0x4000c
	s_and_b32 s9, ttmp6, 15
	s_add_co_i32 s8, s8, 1
	s_getreg_b32 s10, hwreg(HW_REG_IB_STS2, 6, 4)
	s_mul_i32 s8, ttmp9, s8
	s_delay_alu instid0(SALU_CYCLE_1)
	s_add_co_i32 s9, s9, s8
	s_wait_kmcnt 0x0
	s_and_b32 s7, s7, 0xffff
	s_cmp_eq_u32 s10, 0
	s_cselect_b32 s8, ttmp9, s9
	s_cmp_eq_u64 s[2:3], 0
	v_mad_u32 v4, s8, s7, v0
	s_cbranch_scc1 .LBB74_7
; %bb.1:
	s_load_b32 s8, s[0:1], 0x18
	s_wait_kmcnt 0x0
	s_cmp_lt_u32 s8, s6
	s_cselect_b32 s7, s8, 0
	s_delay_alu instid0(VALU_DEP_1) | instid1(SALU_CYCLE_1)
	v_cmp_eq_u32_e32 vcc_lo, s7, v4
	s_and_saveexec_b32 s7, vcc_lo
	s_cbranch_execz .LBB74_6
; %bb.2:
	s_add_co_i32 s8, s8, 32
	s_delay_alu instid0(SALU_CYCLE_1) | instskip(SKIP_3) | instid1(VALU_DEP_1)
	v_dual_mov_b32 v2, 0 :: v_dual_mov_b32 v0, s8
	global_load_b64 v[0:1], v0, s[4:5] scale_offset scope:SCOPE_DEV
	s_wait_loadcnt 0x0
	v_and_b32_e32 v3, 0xff, v1
	v_cmp_ne_u64_e32 vcc_lo, 0, v[2:3]
	s_cbranch_vccnz .LBB74_5
; %bb.3:
	s_mov_b32 s9, 0
	s_delay_alu instid0(SALU_CYCLE_1) | instskip(NEXT) | instid1(SALU_CYCLE_1)
	s_lshl_b64 s[8:9], s[8:9], 3
	s_add_nc_u64 s[8:9], s[4:5], s[8:9]
.LBB74_4:                               ; =>This Inner Loop Header: Depth=1
	global_load_b64 v[0:1], v2, s[8:9] scope:SCOPE_DEV
	s_wait_loadcnt 0x0
	v_and_b32_e32 v3, 0xff, v1
	s_delay_alu instid0(VALU_DEP_1)
	v_cmp_eq_u64_e32 vcc_lo, 0, v[2:3]
	s_cbranch_vccnz .LBB74_4
.LBB74_5:
	v_mov_b32_e32 v1, 0
	global_store_b32 v1, v0, s[2:3]
.LBB74_6:
	s_wait_xcnt 0x0
	s_or_b32 exec_lo, exec_lo, s7
.LBB74_7:
	s_delay_alu instid0(SALU_CYCLE_1) | instskip(NEXT) | instid1(VALU_DEP_1)
	s_mov_b32 s2, exec_lo
	v_cmpx_eq_u32_e32 0, v4
	s_cbranch_execz .LBB74_9
; %bb.8:
	s_load_b64 s[0:1], s[0:1], 0x10
	v_mov_b32_e32 v0, 0
	s_wait_kmcnt 0x0
	global_store_b32 v0, v0, s[0:1]
.LBB74_9:
	s_wait_xcnt 0x0
	s_or_b32 exec_lo, exec_lo, s2
	s_delay_alu instid0(SALU_CYCLE_1)
	s_mov_b32 s0, exec_lo
	v_cmpx_gt_u32_e64 s6, v4
	s_cbranch_execz .LBB74_11
; %bb.10:
	v_mov_b64_e32 v[0:1], 0
	v_add_nc_u32_e32 v2, 32, v4
	global_store_b64 v2, v[0:1], s[4:5] scale_offset
.LBB74_11:
	s_wait_xcnt 0x0
	s_or_b32 exec_lo, exec_lo, s0
	s_delay_alu instid0(SALU_CYCLE_1)
	s_mov_b32 s0, exec_lo
	v_cmpx_gt_u32_e32 32, v4
	s_cbranch_execz .LBB74_13
; %bb.12:
	v_mov_b64_e32 v[0:1], 0xff00000000
	global_store_b64 v4, v[0:1], s[4:5] scale_offset
.LBB74_13:
	s_endpgm
	.section	.rodata,"a",@progbits
	.p2align	6, 0x0
	.amdhsa_kernel _ZN7rocprim17ROCPRIM_400000_NS6detail31init_lookback_scan_state_kernelINS1_19lookback_scan_stateIjLb0ELb1EEENS1_16block_id_wrapperIjLb1EEEEEvT_jT0_jPNS7_10value_typeE
		.amdhsa_group_segment_fixed_size 0
		.amdhsa_private_segment_fixed_size 0
		.amdhsa_kernarg_size 296
		.amdhsa_user_sgpr_count 2
		.amdhsa_user_sgpr_dispatch_ptr 0
		.amdhsa_user_sgpr_queue_ptr 0
		.amdhsa_user_sgpr_kernarg_segment_ptr 1
		.amdhsa_user_sgpr_dispatch_id 0
		.amdhsa_user_sgpr_kernarg_preload_length 0
		.amdhsa_user_sgpr_kernarg_preload_offset 0
		.amdhsa_user_sgpr_private_segment_size 0
		.amdhsa_wavefront_size32 1
		.amdhsa_uses_dynamic_stack 0
		.amdhsa_enable_private_segment 0
		.amdhsa_system_sgpr_workgroup_id_x 1
		.amdhsa_system_sgpr_workgroup_id_y 0
		.amdhsa_system_sgpr_workgroup_id_z 0
		.amdhsa_system_sgpr_workgroup_info 0
		.amdhsa_system_vgpr_workitem_id 0
		.amdhsa_next_free_vgpr 5
		.amdhsa_next_free_sgpr 11
		.amdhsa_named_barrier_count 0
		.amdhsa_reserve_vcc 1
		.amdhsa_float_round_mode_32 0
		.amdhsa_float_round_mode_16_64 0
		.amdhsa_float_denorm_mode_32 3
		.amdhsa_float_denorm_mode_16_64 3
		.amdhsa_fp16_overflow 0
		.amdhsa_memory_ordered 1
		.amdhsa_forward_progress 1
		.amdhsa_inst_pref_size 4
		.amdhsa_round_robin_scheduling 0
		.amdhsa_exception_fp_ieee_invalid_op 0
		.amdhsa_exception_fp_denorm_src 0
		.amdhsa_exception_fp_ieee_div_zero 0
		.amdhsa_exception_fp_ieee_overflow 0
		.amdhsa_exception_fp_ieee_underflow 0
		.amdhsa_exception_fp_ieee_inexact 0
		.amdhsa_exception_int_div_zero 0
	.end_amdhsa_kernel
	.section	.text._ZN7rocprim17ROCPRIM_400000_NS6detail31init_lookback_scan_state_kernelINS1_19lookback_scan_stateIjLb0ELb1EEENS1_16block_id_wrapperIjLb1EEEEEvT_jT0_jPNS7_10value_typeE,"axG",@progbits,_ZN7rocprim17ROCPRIM_400000_NS6detail31init_lookback_scan_state_kernelINS1_19lookback_scan_stateIjLb0ELb1EEENS1_16block_id_wrapperIjLb1EEEEEvT_jT0_jPNS7_10value_typeE,comdat
.Lfunc_end74:
	.size	_ZN7rocprim17ROCPRIM_400000_NS6detail31init_lookback_scan_state_kernelINS1_19lookback_scan_stateIjLb0ELb1EEENS1_16block_id_wrapperIjLb1EEEEEvT_jT0_jPNS7_10value_typeE, .Lfunc_end74-_ZN7rocprim17ROCPRIM_400000_NS6detail31init_lookback_scan_state_kernelINS1_19lookback_scan_stateIjLb0ELb1EEENS1_16block_id_wrapperIjLb1EEEEEvT_jT0_jPNS7_10value_typeE
                                        ; -- End function
	.set _ZN7rocprim17ROCPRIM_400000_NS6detail31init_lookback_scan_state_kernelINS1_19lookback_scan_stateIjLb0ELb1EEENS1_16block_id_wrapperIjLb1EEEEEvT_jT0_jPNS7_10value_typeE.num_vgpr, 5
	.set _ZN7rocprim17ROCPRIM_400000_NS6detail31init_lookback_scan_state_kernelINS1_19lookback_scan_stateIjLb0ELb1EEENS1_16block_id_wrapperIjLb1EEEEEvT_jT0_jPNS7_10value_typeE.num_agpr, 0
	.set _ZN7rocprim17ROCPRIM_400000_NS6detail31init_lookback_scan_state_kernelINS1_19lookback_scan_stateIjLb0ELb1EEENS1_16block_id_wrapperIjLb1EEEEEvT_jT0_jPNS7_10value_typeE.numbered_sgpr, 11
	.set _ZN7rocprim17ROCPRIM_400000_NS6detail31init_lookback_scan_state_kernelINS1_19lookback_scan_stateIjLb0ELb1EEENS1_16block_id_wrapperIjLb1EEEEEvT_jT0_jPNS7_10value_typeE.num_named_barrier, 0
	.set _ZN7rocprim17ROCPRIM_400000_NS6detail31init_lookback_scan_state_kernelINS1_19lookback_scan_stateIjLb0ELb1EEENS1_16block_id_wrapperIjLb1EEEEEvT_jT0_jPNS7_10value_typeE.private_seg_size, 0
	.set _ZN7rocprim17ROCPRIM_400000_NS6detail31init_lookback_scan_state_kernelINS1_19lookback_scan_stateIjLb0ELb1EEENS1_16block_id_wrapperIjLb1EEEEEvT_jT0_jPNS7_10value_typeE.uses_vcc, 1
	.set _ZN7rocprim17ROCPRIM_400000_NS6detail31init_lookback_scan_state_kernelINS1_19lookback_scan_stateIjLb0ELb1EEENS1_16block_id_wrapperIjLb1EEEEEvT_jT0_jPNS7_10value_typeE.uses_flat_scratch, 0
	.set _ZN7rocprim17ROCPRIM_400000_NS6detail31init_lookback_scan_state_kernelINS1_19lookback_scan_stateIjLb0ELb1EEENS1_16block_id_wrapperIjLb1EEEEEvT_jT0_jPNS7_10value_typeE.has_dyn_sized_stack, 0
	.set _ZN7rocprim17ROCPRIM_400000_NS6detail31init_lookback_scan_state_kernelINS1_19lookback_scan_stateIjLb0ELb1EEENS1_16block_id_wrapperIjLb1EEEEEvT_jT0_jPNS7_10value_typeE.has_recursion, 0
	.set _ZN7rocprim17ROCPRIM_400000_NS6detail31init_lookback_scan_state_kernelINS1_19lookback_scan_stateIjLb0ELb1EEENS1_16block_id_wrapperIjLb1EEEEEvT_jT0_jPNS7_10value_typeE.has_indirect_call, 0
	.section	.AMDGPU.csdata,"",@progbits
; Kernel info:
; codeLenInByte = 404
; TotalNumSgprs: 13
; NumVgprs: 5
; ScratchSize: 0
; MemoryBound: 0
; FloatMode: 240
; IeeeMode: 1
; LDSByteSize: 0 bytes/workgroup (compile time only)
; SGPRBlocks: 0
; VGPRBlocks: 0
; NumSGPRsForWavesPerEU: 13
; NumVGPRsForWavesPerEU: 5
; NamedBarCnt: 0
; Occupancy: 16
; WaveLimiterHint : 0
; COMPUTE_PGM_RSRC2:SCRATCH_EN: 0
; COMPUTE_PGM_RSRC2:USER_SGPR: 2
; COMPUTE_PGM_RSRC2:TRAP_HANDLER: 0
; COMPUTE_PGM_RSRC2:TGID_X_EN: 1
; COMPUTE_PGM_RSRC2:TGID_Y_EN: 0
; COMPUTE_PGM_RSRC2:TGID_Z_EN: 0
; COMPUTE_PGM_RSRC2:TIDIG_COMP_CNT: 0
	.section	.text._ZN7rocprim17ROCPRIM_400000_NS6detail17trampoline_kernelINS0_13select_configILj256ELj13ELNS0_17block_load_methodE3ELS4_3ELS4_3ELNS0_20block_scan_algorithmE0ELj4294967295EEENS1_25partition_config_selectorILNS1_17partition_subalgoE3EjNS0_10empty_typeEbEEZZNS1_14partition_implILS8_3ELb0ES6_jNS0_17counting_iteratorIjlEEPS9_SE_NS0_5tupleIJPjSE_EEENSF_IJSE_SE_EEES9_SG_JZNS1_25segmented_radix_sort_implINS0_14default_configELb1EPKhPhPKlPlN2at6native12_GLOBAL__N_18offset_tEEE10hipError_tPvRmT1_PNSt15iterator_traitsISY_E10value_typeET2_T3_PNSZ_IS14_E10value_typeET4_jRbjT5_S1A_jjP12ihipStream_tbEUljE_EEESV_SW_SX_S14_S18_S1A_T6_T7_T9_mT8_S1C_bDpT10_ENKUlT_T0_E_clISt17integral_constantIbLb0EES1O_IbLb1EEEEDaS1K_S1L_EUlS1K_E_NS1_11comp_targetILNS1_3genE0ELNS1_11target_archE4294967295ELNS1_3gpuE0ELNS1_3repE0EEENS1_30default_config_static_selectorELNS0_4arch9wavefront6targetE0EEEvSY_,"axG",@progbits,_ZN7rocprim17ROCPRIM_400000_NS6detail17trampoline_kernelINS0_13select_configILj256ELj13ELNS0_17block_load_methodE3ELS4_3ELS4_3ELNS0_20block_scan_algorithmE0ELj4294967295EEENS1_25partition_config_selectorILNS1_17partition_subalgoE3EjNS0_10empty_typeEbEEZZNS1_14partition_implILS8_3ELb0ES6_jNS0_17counting_iteratorIjlEEPS9_SE_NS0_5tupleIJPjSE_EEENSF_IJSE_SE_EEES9_SG_JZNS1_25segmented_radix_sort_implINS0_14default_configELb1EPKhPhPKlPlN2at6native12_GLOBAL__N_18offset_tEEE10hipError_tPvRmT1_PNSt15iterator_traitsISY_E10value_typeET2_T3_PNSZ_IS14_E10value_typeET4_jRbjT5_S1A_jjP12ihipStream_tbEUljE_EEESV_SW_SX_S14_S18_S1A_T6_T7_T9_mT8_S1C_bDpT10_ENKUlT_T0_E_clISt17integral_constantIbLb0EES1O_IbLb1EEEEDaS1K_S1L_EUlS1K_E_NS1_11comp_targetILNS1_3genE0ELNS1_11target_archE4294967295ELNS1_3gpuE0ELNS1_3repE0EEENS1_30default_config_static_selectorELNS0_4arch9wavefront6targetE0EEEvSY_,comdat
	.globl	_ZN7rocprim17ROCPRIM_400000_NS6detail17trampoline_kernelINS0_13select_configILj256ELj13ELNS0_17block_load_methodE3ELS4_3ELS4_3ELNS0_20block_scan_algorithmE0ELj4294967295EEENS1_25partition_config_selectorILNS1_17partition_subalgoE3EjNS0_10empty_typeEbEEZZNS1_14partition_implILS8_3ELb0ES6_jNS0_17counting_iteratorIjlEEPS9_SE_NS0_5tupleIJPjSE_EEENSF_IJSE_SE_EEES9_SG_JZNS1_25segmented_radix_sort_implINS0_14default_configELb1EPKhPhPKlPlN2at6native12_GLOBAL__N_18offset_tEEE10hipError_tPvRmT1_PNSt15iterator_traitsISY_E10value_typeET2_T3_PNSZ_IS14_E10value_typeET4_jRbjT5_S1A_jjP12ihipStream_tbEUljE_EEESV_SW_SX_S14_S18_S1A_T6_T7_T9_mT8_S1C_bDpT10_ENKUlT_T0_E_clISt17integral_constantIbLb0EES1O_IbLb1EEEEDaS1K_S1L_EUlS1K_E_NS1_11comp_targetILNS1_3genE0ELNS1_11target_archE4294967295ELNS1_3gpuE0ELNS1_3repE0EEENS1_30default_config_static_selectorELNS0_4arch9wavefront6targetE0EEEvSY_ ; -- Begin function _ZN7rocprim17ROCPRIM_400000_NS6detail17trampoline_kernelINS0_13select_configILj256ELj13ELNS0_17block_load_methodE3ELS4_3ELS4_3ELNS0_20block_scan_algorithmE0ELj4294967295EEENS1_25partition_config_selectorILNS1_17partition_subalgoE3EjNS0_10empty_typeEbEEZZNS1_14partition_implILS8_3ELb0ES6_jNS0_17counting_iteratorIjlEEPS9_SE_NS0_5tupleIJPjSE_EEENSF_IJSE_SE_EEES9_SG_JZNS1_25segmented_radix_sort_implINS0_14default_configELb1EPKhPhPKlPlN2at6native12_GLOBAL__N_18offset_tEEE10hipError_tPvRmT1_PNSt15iterator_traitsISY_E10value_typeET2_T3_PNSZ_IS14_E10value_typeET4_jRbjT5_S1A_jjP12ihipStream_tbEUljE_EEESV_SW_SX_S14_S18_S1A_T6_T7_T9_mT8_S1C_bDpT10_ENKUlT_T0_E_clISt17integral_constantIbLb0EES1O_IbLb1EEEEDaS1K_S1L_EUlS1K_E_NS1_11comp_targetILNS1_3genE0ELNS1_11target_archE4294967295ELNS1_3gpuE0ELNS1_3repE0EEENS1_30default_config_static_selectorELNS0_4arch9wavefront6targetE0EEEvSY_
	.p2align	8
	.type	_ZN7rocprim17ROCPRIM_400000_NS6detail17trampoline_kernelINS0_13select_configILj256ELj13ELNS0_17block_load_methodE3ELS4_3ELS4_3ELNS0_20block_scan_algorithmE0ELj4294967295EEENS1_25partition_config_selectorILNS1_17partition_subalgoE3EjNS0_10empty_typeEbEEZZNS1_14partition_implILS8_3ELb0ES6_jNS0_17counting_iteratorIjlEEPS9_SE_NS0_5tupleIJPjSE_EEENSF_IJSE_SE_EEES9_SG_JZNS1_25segmented_radix_sort_implINS0_14default_configELb1EPKhPhPKlPlN2at6native12_GLOBAL__N_18offset_tEEE10hipError_tPvRmT1_PNSt15iterator_traitsISY_E10value_typeET2_T3_PNSZ_IS14_E10value_typeET4_jRbjT5_S1A_jjP12ihipStream_tbEUljE_EEESV_SW_SX_S14_S18_S1A_T6_T7_T9_mT8_S1C_bDpT10_ENKUlT_T0_E_clISt17integral_constantIbLb0EES1O_IbLb1EEEEDaS1K_S1L_EUlS1K_E_NS1_11comp_targetILNS1_3genE0ELNS1_11target_archE4294967295ELNS1_3gpuE0ELNS1_3repE0EEENS1_30default_config_static_selectorELNS0_4arch9wavefront6targetE0EEEvSY_,@function
_ZN7rocprim17ROCPRIM_400000_NS6detail17trampoline_kernelINS0_13select_configILj256ELj13ELNS0_17block_load_methodE3ELS4_3ELS4_3ELNS0_20block_scan_algorithmE0ELj4294967295EEENS1_25partition_config_selectorILNS1_17partition_subalgoE3EjNS0_10empty_typeEbEEZZNS1_14partition_implILS8_3ELb0ES6_jNS0_17counting_iteratorIjlEEPS9_SE_NS0_5tupleIJPjSE_EEENSF_IJSE_SE_EEES9_SG_JZNS1_25segmented_radix_sort_implINS0_14default_configELb1EPKhPhPKlPlN2at6native12_GLOBAL__N_18offset_tEEE10hipError_tPvRmT1_PNSt15iterator_traitsISY_E10value_typeET2_T3_PNSZ_IS14_E10value_typeET4_jRbjT5_S1A_jjP12ihipStream_tbEUljE_EEESV_SW_SX_S14_S18_S1A_T6_T7_T9_mT8_S1C_bDpT10_ENKUlT_T0_E_clISt17integral_constantIbLb0EES1O_IbLb1EEEEDaS1K_S1L_EUlS1K_E_NS1_11comp_targetILNS1_3genE0ELNS1_11target_archE4294967295ELNS1_3gpuE0ELNS1_3repE0EEENS1_30default_config_static_selectorELNS0_4arch9wavefront6targetE0EEEvSY_: ; @_ZN7rocprim17ROCPRIM_400000_NS6detail17trampoline_kernelINS0_13select_configILj256ELj13ELNS0_17block_load_methodE3ELS4_3ELS4_3ELNS0_20block_scan_algorithmE0ELj4294967295EEENS1_25partition_config_selectorILNS1_17partition_subalgoE3EjNS0_10empty_typeEbEEZZNS1_14partition_implILS8_3ELb0ES6_jNS0_17counting_iteratorIjlEEPS9_SE_NS0_5tupleIJPjSE_EEENSF_IJSE_SE_EEES9_SG_JZNS1_25segmented_radix_sort_implINS0_14default_configELb1EPKhPhPKlPlN2at6native12_GLOBAL__N_18offset_tEEE10hipError_tPvRmT1_PNSt15iterator_traitsISY_E10value_typeET2_T3_PNSZ_IS14_E10value_typeET4_jRbjT5_S1A_jjP12ihipStream_tbEUljE_EEESV_SW_SX_S14_S18_S1A_T6_T7_T9_mT8_S1C_bDpT10_ENKUlT_T0_E_clISt17integral_constantIbLb0EES1O_IbLb1EEEEDaS1K_S1L_EUlS1K_E_NS1_11comp_targetILNS1_3genE0ELNS1_11target_archE4294967295ELNS1_3gpuE0ELNS1_3repE0EEENS1_30default_config_static_selectorELNS0_4arch9wavefront6targetE0EEEvSY_
; %bb.0:
	s_clause 0x5
	s_load_b64 s[16:17], s[0:1], 0x10
	s_load_b128 s[12:15], s[0:1], 0x48
	s_load_b64 s[18:19], s[0:1], 0x58
	s_load_b64 s[20:21], s[0:1], 0x68
	s_load_b32 s3, s[0:1], 0x90
	s_load_b128 s[4:7], s[0:1], 0x80
	v_cmp_eq_u32_e64 s2, 0, v0
	s_and_saveexec_b32 s8, s2
	s_cbranch_execz .LBB75_4
; %bb.1:
	s_mov_b32 s10, exec_lo
	s_mov_b32 s9, exec_lo
	v_mbcnt_lo_u32_b32 v1, s10, 0
                                        ; implicit-def: $vgpr2
	s_delay_alu instid0(VALU_DEP_1)
	v_cmpx_eq_u32_e32 0, v1
	s_cbranch_execz .LBB75_3
; %bb.2:
	s_load_b64 s[22:23], s[0:1], 0x78
	s_bcnt1_i32_b32 s10, s10
	s_delay_alu instid0(SALU_CYCLE_1)
	v_dual_mov_b32 v2, 0 :: v_dual_mov_b32 v3, s10
	s_wait_xcnt 0x0
	s_wait_kmcnt 0x0
	global_atomic_add_u32 v2, v2, v3, s[22:23] th:TH_ATOMIC_RETURN scope:SCOPE_DEV
.LBB75_3:
	s_wait_xcnt 0x0
	s_or_b32 exec_lo, exec_lo, s9
	s_wait_loadcnt 0x0
	v_readfirstlane_b32 s9, v2
	s_delay_alu instid0(VALU_DEP_1)
	v_dual_mov_b32 v2, 0 :: v_dual_add_nc_u32 v1, s9, v1
	ds_store_b32 v2, v1
.LBB75_4:
	s_or_b32 exec_lo, exec_lo, s8
	v_dual_mov_b32 v1, 0 :: v_dual_lshlrev_b32 v19, 2, v0
	s_clause 0x2
	s_load_b32 s8, s[0:1], 0x8
	s_load_b64 s[10:11], s[0:1], 0x28
	s_load_b32 s9, s[0:1], 0x70
	s_wait_dscnt 0x0
	s_barrier_signal -1
	s_barrier_wait -1
	ds_load_b32 v4, v1
	s_wait_dscnt 0x0
	s_barrier_signal -1
	s_barrier_wait -1
	s_wait_kmcnt 0x0
	global_load_b64 v[42:43], v1, s[14:15]
	s_mov_b32 s1, 0
	s_add_co_i32 s8, s8, s16
	s_mul_i32 s0, s9, 0xd00
	s_add_co_i32 s9, s9, -1
	s_wait_xcnt 0x0
	s_add_nc_u64 s[14:15], s[16:17], s[0:1]
	s_add_co_i32 s0, s0, s16
	v_cmp_gt_u64_e64 s1, s[18:19], s[14:15]
	v_readfirstlane_b32 s23, v4
	s_sub_co_i32 s22, s18, s0
	v_cmp_ne_u32_e32 vcc_lo, s9, v4
	s_addk_co_i32 s22, 0xd00
	s_mov_b32 s15, -1
	s_cmp_eq_u32 s23, s9
	s_mul_i32 s14, s23, 0xd00
	s_cselect_b32 s9, -1, 0
	s_or_b32 s1, s1, vcc_lo
	s_delay_alu instid0(SALU_CYCLE_1)
	s_and_b32 vcc_lo, exec_lo, s1
	s_cbranch_vccz .LBB75_6
; %bb.5:
	v_add3_u32 v1, s14, s8, v0
	s_mov_b32 s15, 0
	s_delay_alu instid0(VALU_DEP_1)
	v_add_nc_u32_e32 v2, 0x100, v1
	v_add_nc_u32_e32 v3, 0x200, v1
	;; [unrolled: 1-line block ×12, first 2 shown]
	ds_store_2addr_stride64_b32 v19, v1, v2 offset1:4
	ds_store_2addr_stride64_b32 v19, v3, v5 offset0:8 offset1:12
	ds_store_2addr_stride64_b32 v19, v6, v7 offset0:16 offset1:20
	;; [unrolled: 1-line block ×5, first 2 shown]
	ds_store_b32 v19, v14 offset:12288
	s_wait_loadcnt_dscnt 0x0
	s_barrier_signal -1
	s_barrier_wait -1
.LBB75_6:
	v_cmp_gt_u32_e64 s0, s22, v0
	v_or_b32_e32 v40, 0x100, v0
	v_or_b32_e32 v38, 0x200, v0
	;; [unrolled: 1-line block ×12, first 2 shown]
	s_and_not1_b32 vcc_lo, exec_lo, s15
	s_cbranch_vccnz .LBB75_8
; %bb.7:
	s_add_co_i32 s8, s14, s8
	v_cmp_gt_u32_e32 vcc_lo, s22, v40
	v_dual_add_nc_u32 v1, s8, v0 :: v_dual_add_nc_u32 v3, s8, v38
	v_dual_add_nc_u32 v2, s8, v40 :: v_dual_add_nc_u32 v8, s8, v30
	s_delay_alu instid0(VALU_DEP_2) | instskip(NEXT) | instid1(VALU_DEP_2)
	v_dual_add_nc_u32 v9, s8, v28 :: v_dual_cndmask_b32 v1, 0, v1, s0
	v_dual_cndmask_b32 v2, 0, v2 :: v_dual_add_nc_u32 v5, s8, v36
	v_cmp_gt_u32_e32 vcc_lo, s22, v38
	v_dual_add_nc_u32 v12, s8, v22 :: v_dual_add_nc_u32 v13, s8, v20
	v_dual_add_nc_u32 v6, s8, v34 :: v_dual_add_nc_u32 v7, s8, v32
	v_cndmask_b32_e32 v3, 0, v3, vcc_lo
	v_cmp_gt_u32_e32 vcc_lo, s22, v36
	v_dual_add_nc_u32 v10, s8, v26 :: v_dual_add_nc_u32 v11, s8, v24
	v_cndmask_b32_e32 v5, 0, v5, vcc_lo
	v_cmp_gt_u32_e32 vcc_lo, s22, v34
	v_cndmask_b32_e32 v6, 0, v6, vcc_lo
	v_cmp_gt_u32_e32 vcc_lo, s22, v32
	v_cndmask_b32_e32 v7, 0, v7, vcc_lo
	v_cmp_gt_u32_e32 vcc_lo, s22, v30
	v_cndmask_b32_e32 v8, 0, v8, vcc_lo
	v_cmp_gt_u32_e32 vcc_lo, s22, v28
	v_cndmask_b32_e32 v9, 0, v9, vcc_lo
	v_cmp_gt_u32_e32 vcc_lo, s22, v26
	v_cndmask_b32_e32 v10, 0, v10, vcc_lo
	v_cmp_gt_u32_e32 vcc_lo, s22, v24
	v_cndmask_b32_e32 v11, 0, v11, vcc_lo
	v_cmp_gt_u32_e32 vcc_lo, s22, v22
	v_dual_add_nc_u32 v14, s8, v18 :: v_dual_cndmask_b32 v12, 0, v12, vcc_lo
	v_cmp_gt_u32_e32 vcc_lo, s22, v20
	v_cndmask_b32_e32 v13, 0, v13, vcc_lo
	v_cmp_gt_u32_e32 vcc_lo, s22, v18
	s_delay_alu instid0(VALU_DEP_4)
	v_cndmask_b32_e32 v14, 0, v14, vcc_lo
	ds_store_2addr_stride64_b32 v19, v1, v2 offset1:4
	ds_store_2addr_stride64_b32 v19, v3, v5 offset0:8 offset1:12
	ds_store_2addr_stride64_b32 v19, v6, v7 offset0:16 offset1:20
	;; [unrolled: 1-line block ×5, first 2 shown]
	ds_store_b32 v19, v14 offset:12288
	s_wait_loadcnt_dscnt 0x0
	s_barrier_signal -1
	s_barrier_wait -1
.LBB75_8:
	v_mul_u32_u24_e32 v23, 13, v0
	s_wait_loadcnt 0x0
	v_cndmask_b32_e64 v21, 0, 1, s1
	s_and_not1_b32 vcc_lo, exec_lo, s1
	s_delay_alu instid0(VALU_DEP_2)
	v_lshlrev_b32_e32 v2, 2, v23
	ds_load_2addr_b32 v[52:53], v2 offset0:2 offset1:3
	ds_load_2addr_b32 v[48:49], v2 offset0:6 offset1:7
	;; [unrolled: 1-line block ×3, first 2 shown]
	ds_load_2addr_b32 v[54:55], v2 offset1:1
	ds_load_2addr_b32 v[44:45], v2 offset0:10 offset1:11
	ds_load_b32 v1, v2 offset:48
	ds_load_2addr_b32 v[46:47], v2 offset0:8 offset1:9
	s_wait_dscnt 0x0
	s_barrier_signal -1
	s_barrier_wait -1
	s_cbranch_vccnz .LBB75_10
; %bb.9:
	v_dual_add_nc_u32 v2, s5, v53 :: v_dual_add_nc_u32 v3, s5, v55
	v_dual_add_nc_u32 v5, s5, v54 :: v_dual_add_nc_u32 v6, s5, v52
	;; [unrolled: 1-line block ×4, first 2 shown]
	s_delay_alu instid0(VALU_DEP_3) | instskip(NEXT) | instid1(VALU_DEP_4)
	v_mul_lo_u32 v6, v6, s4
	v_mul_lo_u32 v5, v5, s4
	;; [unrolled: 1-line block ×8, first 2 shown]
	v_dual_add_nc_u32 v11, s5, v50 :: v_dual_add_nc_u32 v12, s7, v50
	v_dual_add_nc_u32 v13, s5, v48 :: v_dual_add_nc_u32 v15, s7, v45
	v_add_nc_u32_e32 v16, s5, v44
	s_delay_alu instid0(VALU_DEP_3) | instskip(NEXT) | instid1(VALU_DEP_4)
	v_mul_lo_u32 v11, v11, s4
	v_mul_lo_u32 v12, v12, s6
	v_dual_sub_nc_u32 v2, v2, v7 :: v_dual_sub_nc_u32 v3, v3, v8
	v_dual_sub_nc_u32 v5, v5, v9 :: v_dual_sub_nc_u32 v6, v6, v10
	v_dual_add_nc_u32 v7, s5, v51 :: v_dual_add_nc_u32 v8, s7, v51
	v_dual_add_nc_u32 v9, s5, v49 :: v_dual_add_nc_u32 v10, s7, v49
	s_delay_alu instid0(VALU_DEP_4) | instskip(NEXT) | instid1(VALU_DEP_3)
	v_cmp_lt_u32_e32 vcc_lo, s3, v2
	v_mul_lo_u32 v7, v7, s4
	s_delay_alu instid0(VALU_DEP_4) | instskip(NEXT) | instid1(VALU_DEP_4)
	v_mul_lo_u32 v8, v8, s6
	v_mul_lo_u32 v9, v9, s4
	;; [unrolled: 1-line block ×3, first 2 shown]
	v_cndmask_b32_e64 v2, 0, 1, vcc_lo
	v_cmp_lt_u32_e32 vcc_lo, s3, v3
	v_dual_add_nc_u32 v17, s7, v47 :: v_dual_add_nc_u32 v25, s7, v46
	v_mul_lo_u32 v15, v15, s6
	v_add_nc_u32_e32 v14, s5, v46
	v_cndmask_b32_e64 v3, 0, 1, vcc_lo
	s_delay_alu instid0(VALU_DEP_4) | instskip(SKIP_4) | instid1(VALU_DEP_3)
	v_mul_lo_u32 v17, v17, s6
	v_sub_nc_u32_e32 v7, v7, v8
	v_dual_add_nc_u32 v8, s7, v48 :: v_dual_sub_nc_u32 v9, v9, v10
	v_dual_sub_nc_u32 v10, v11, v12 :: v_dual_add_nc_u32 v11, s5, v45
	v_mul_lo_u32 v13, v13, s4
	v_mul_lo_u32 v8, v8, s6
	v_add_nc_u32_e32 v12, s5, v47
	v_cmp_lt_u32_e32 vcc_lo, s3, v7
	v_mul_lo_u32 v11, v11, s4
	v_lshlrev_b16 v3, 8, v3
	v_mul_lo_u32 v14, v14, s4
	v_mul_lo_u32 v12, v12, s4
	v_cndmask_b32_e64 v7, 0, 1, vcc_lo
	v_cmp_lt_u32_e32 vcc_lo, s3, v9
	v_lshrrev_b32_e32 v3, 8, v3
	v_mul_lo_u32 v25, v25, s6
	v_sub_nc_u32_e32 v8, v13, v8
	v_lshlrev_b16 v7, 8, v7
	v_cndmask_b32_e64 v9, 0, 1, vcc_lo
	v_sub_nc_u32_e32 v11, v11, v15
	v_cmp_lt_u32_e32 vcc_lo, s3, v5
	s_delay_alu instid0(VALU_DEP_4)
	v_dual_add_nc_u32 v27, s7, v44 :: v_dual_lshrrev_b32 v7, 8, v7
	v_sub_nc_u32_e32 v12, v12, v17
	v_mul_lo_u32 v13, v16, s4
	v_cndmask_b32_e64 v5, 0, 1, vcc_lo
	v_cmp_lt_u32_e32 vcc_lo, s3, v11
	v_mul_lo_u32 v16, v27, s6
	v_dual_add_nc_u32 v15, s5, v1 :: v_dual_add_nc_u32 v27, s7, v1
	v_lshlrev_b16 v2, 8, v2
	v_cndmask_b32_e64 v11, 0, 1, vcc_lo
	v_cmp_lt_u32_e32 vcc_lo, s3, v12
	s_delay_alu instid0(VALU_DEP_4)
	v_mul_lo_u32 v15, v15, s4
	v_mul_lo_u32 v17, v27, s6
	v_sub_nc_u32_e32 v14, v14, v25
	v_lshlrev_b16 v3, 8, v3
	v_cndmask_b32_e64 v12, 0, 1, vcc_lo
	v_cmp_lt_u32_e32 vcc_lo, s3, v6
	v_dual_sub_nc_u32 v13, v13, v16 :: v_dual_lshrrev_b32 v2, 8, v2
	s_delay_alu instid0(VALU_DEP_4)
	v_or_b32_e32 v3, v5, v3
	v_lshlrev_b16 v5, 8, v11
	v_cndmask_b32_e64 v6, 0, 1, vcc_lo
	v_cmp_lt_u32_e32 vcc_lo, s3, v10
	v_lshlrev_b16 v11, 8, v12
	v_lshlrev_b16 v9, 8, v9
	v_sub_nc_u32_e32 v12, v15, v17
	v_lshlrev_b16 v2, 8, v2
	v_cndmask_b32_e64 v10, 0, 1, vcc_lo
	v_cmp_lt_u32_e32 vcc_lo, s3, v8
	v_lshlrev_b16 v7, 8, v7
	v_dual_lshrrev_b32 v11, 8, v11 :: v_dual_lshrrev_b32 v5, 8, v5
	v_or_b32_e32 v2, v6, v2
	v_cndmask_b32_e64 v8, 0, 1, vcc_lo
	v_cmp_lt_u32_e32 vcc_lo, s3, v14
	s_delay_alu instid0(VALU_DEP_4)
	v_lshlrev_b16 v11, 8, v11
	v_lshlrev_b16 v5, 8, v5
	v_dual_lshlrev_b32 v2, 16, v2 :: v_dual_bitop2_b32 v6, v10, v7 bitop3:0x54
	v_cndmask_b32_e64 v14, 0, 1, vcc_lo
	v_cmp_lt_u32_e32 vcc_lo, s3, v13
	v_or_b32_e32 v7, v8, v9
	v_and_b32_e32 v3, 0xffff, v3
	v_and_b32_e32 v6, 0xffff, v6
	v_cndmask_b32_e64 v13, 0, 1, vcc_lo
	s_delay_alu instid0(VALU_DEP_4) | instskip(SKIP_2) | instid1(VALU_DEP_4)
	v_lshlrev_b32_e32 v7, 16, v7
	v_cmp_lt_u32_e32 vcc_lo, s3, v12
	v_or_b32_e32 v35, v3, v2
	v_or_b32_e32 v5, v13, v5
	;; [unrolled: 1-line block ×3, first 2 shown]
	v_cndmask_b32_e64 v25, 0, 1, vcc_lo
	s_delay_alu instid0(VALU_DEP_3) | instskip(NEXT) | instid1(VALU_DEP_3)
	v_dual_lshlrev_b32 v5, 16, v5 :: v_dual_bitop2_b32 v31, v6, v7 bitop3:0x54
	v_and_b32_e32 v8, 0xffff, v8
	s_delay_alu instid0(VALU_DEP_1)
	v_or_b32_e32 v27, v8, v5
	s_cbranch_execz .LBB75_11
	s_branch .LBB75_38
.LBB75_10:
                                        ; implicit-def: $vgpr25
                                        ; implicit-def: $vgpr27
                                        ; implicit-def: $vgpr31
                                        ; implicit-def: $vgpr35
.LBB75_11:
	v_dual_mov_b32 v3, 0 :: v_dual_mov_b32 v2, 0
	s_mov_b32 s0, exec_lo
	v_cmpx_gt_u32_e64 s22, v23
	s_cbranch_execz .LBB75_13
; %bb.12:
	v_dual_add_nc_u32 v2, s5, v54 :: v_dual_add_nc_u32 v5, s7, v54
	s_delay_alu instid0(VALU_DEP_1) | instskip(NEXT) | instid1(VALU_DEP_2)
	v_mul_lo_u32 v2, v2, s4
	v_mul_lo_u32 v5, v5, s6
	s_delay_alu instid0(VALU_DEP_1) | instskip(NEXT) | instid1(VALU_DEP_1)
	v_sub_nc_u32_e32 v2, v2, v5
	v_cmp_lt_u32_e32 vcc_lo, s3, v2
	v_cndmask_b32_e64 v2, 0, 1, vcc_lo
.LBB75_13:
	s_or_b32 exec_lo, exec_lo, s0
	v_add_nc_u32_e32 v5, 1, v23
	s_mov_b32 s0, exec_lo
	s_delay_alu instid0(VALU_DEP_1)
	v_cmpx_gt_u32_e64 s22, v5
	s_cbranch_execz .LBB75_15
; %bb.14:
	v_dual_add_nc_u32 v3, s5, v55 :: v_dual_add_nc_u32 v5, s7, v55
	s_delay_alu instid0(VALU_DEP_1) | instskip(NEXT) | instid1(VALU_DEP_2)
	v_mul_lo_u32 v3, v3, s4
	v_mul_lo_u32 v5, v5, s6
	s_delay_alu instid0(VALU_DEP_1) | instskip(NEXT) | instid1(VALU_DEP_1)
	v_sub_nc_u32_e32 v3, v3, v5
	v_cmp_lt_u32_e32 vcc_lo, s3, v3
	v_cndmask_b32_e64 v3, 0, 1, vcc_lo
.LBB75_15:
	s_or_b32 exec_lo, exec_lo, s0
	v_dual_mov_b32 v6, 0 :: v_dual_add_nc_u32 v5, 2, v23
	s_delay_alu instid0(VALU_DEP_1)
	v_cmp_gt_u32_e32 vcc_lo, s22, v5
	v_mov_b32_e32 v5, 0
	s_and_saveexec_b32 s0, vcc_lo
	s_cbranch_execz .LBB75_17
; %bb.16:
	v_dual_add_nc_u32 v5, s5, v52 :: v_dual_add_nc_u32 v7, s7, v52
	s_delay_alu instid0(VALU_DEP_1) | instskip(NEXT) | instid1(VALU_DEP_2)
	v_mul_lo_u32 v5, v5, s4
	v_mul_lo_u32 v7, v7, s6
	s_delay_alu instid0(VALU_DEP_1) | instskip(NEXT) | instid1(VALU_DEP_1)
	v_sub_nc_u32_e32 v5, v5, v7
	v_cmp_lt_u32_e32 vcc_lo, s3, v5
	v_cndmask_b32_e64 v5, 0, 1, vcc_lo
.LBB75_17:
	s_or_b32 exec_lo, exec_lo, s0
	v_add_nc_u32_e32 v7, 3, v23
	s_mov_b32 s0, exec_lo
	s_delay_alu instid0(VALU_DEP_1)
	v_cmpx_gt_u32_e64 s22, v7
	s_cbranch_execz .LBB75_19
; %bb.18:
	v_dual_add_nc_u32 v6, s5, v53 :: v_dual_add_nc_u32 v7, s7, v53
	s_delay_alu instid0(VALU_DEP_1) | instskip(NEXT) | instid1(VALU_DEP_2)
	v_mul_lo_u32 v6, v6, s4
	v_mul_lo_u32 v7, v7, s6
	s_delay_alu instid0(VALU_DEP_1) | instskip(NEXT) | instid1(VALU_DEP_1)
	v_sub_nc_u32_e32 v6, v6, v7
	v_cmp_lt_u32_e32 vcc_lo, s3, v6
	v_cndmask_b32_e64 v6, 0, 1, vcc_lo
.LBB75_19:
	s_or_b32 exec_lo, exec_lo, s0
	v_dual_mov_b32 v8, 0 :: v_dual_add_nc_u32 v7, 4, v23
	s_delay_alu instid0(VALU_DEP_1)
	v_cmp_gt_u32_e32 vcc_lo, s22, v7
	v_mov_b32_e32 v7, 0
	s_and_saveexec_b32 s0, vcc_lo
	;; [unrolled: 33-line block ×5, first 2 shown]
	s_cbranch_execz .LBB75_33
; %bb.32:
	v_dual_add_nc_u32 v13, s5, v44 :: v_dual_add_nc_u32 v15, s7, v44
	s_delay_alu instid0(VALU_DEP_1) | instskip(NEXT) | instid1(VALU_DEP_2)
	v_mul_lo_u32 v13, v13, s4
	v_mul_lo_u32 v15, v15, s6
	s_delay_alu instid0(VALU_DEP_1) | instskip(NEXT) | instid1(VALU_DEP_1)
	v_sub_nc_u32_e32 v13, v13, v15
	v_cmp_lt_u32_e32 vcc_lo, s3, v13
	v_cndmask_b32_e64 v13, 0, 1, vcc_lo
.LBB75_33:
	s_or_b32 exec_lo, exec_lo, s0
	v_add_nc_u32_e32 v15, 11, v23
	s_mov_b32 s0, exec_lo
	s_delay_alu instid0(VALU_DEP_1)
	v_cmpx_gt_u32_e64 s22, v15
	s_cbranch_execz .LBB75_35
; %bb.34:
	v_dual_add_nc_u32 v14, s5, v45 :: v_dual_add_nc_u32 v15, s7, v45
	s_delay_alu instid0(VALU_DEP_1) | instskip(NEXT) | instid1(VALU_DEP_2)
	v_mul_lo_u32 v14, v14, s4
	v_mul_lo_u32 v15, v15, s6
	s_delay_alu instid0(VALU_DEP_1) | instskip(NEXT) | instid1(VALU_DEP_1)
	v_sub_nc_u32_e32 v14, v14, v15
	v_cmp_lt_u32_e32 vcc_lo, s3, v14
	v_cndmask_b32_e64 v14, 0, 1, vcc_lo
.LBB75_35:
	s_or_b32 exec_lo, exec_lo, s0
	v_dual_add_nc_u32 v15, 12, v23 :: v_dual_mov_b32 v25, 0
	s_mov_b32 s0, exec_lo
	s_delay_alu instid0(VALU_DEP_1)
	v_cmpx_gt_u32_e64 s22, v15
	s_cbranch_execz .LBB75_37
; %bb.36:
	v_dual_add_nc_u32 v15, s7, v1 :: v_dual_add_nc_u32 v16, s5, v1
	s_delay_alu instid0(VALU_DEP_1) | instskip(NEXT) | instid1(VALU_DEP_2)
	v_mul_lo_u32 v15, v15, s6
	v_mul_lo_u32 v16, v16, s4
	s_delay_alu instid0(VALU_DEP_1) | instskip(NEXT) | instid1(VALU_DEP_1)
	v_sub_nc_u32_e32 v15, v16, v15
	v_cmp_lt_u32_e32 vcc_lo, s3, v15
	v_cndmask_b32_e64 v25, 0, 1, vcc_lo
.LBB75_37:
	s_or_b32 exec_lo, exec_lo, s0
	v_lshlrev_b16 v6, 8, v6
	v_lshlrev_b16 v8, 8, v8
	;; [unrolled: 1-line block ×5, first 2 shown]
	v_or_b32_e32 v5, v5, v6
	v_or_b32_e32 v6, v7, v8
	;; [unrolled: 1-line block ×3, first 2 shown]
	s_delay_alu instid0(VALU_DEP_1) | instskip(NEXT) | instid1(VALU_DEP_4)
	v_dual_lshlrev_b32 v7, 16, v7 :: v_dual_bitop2_b32 v8, v11, v12 bitop3:0x54
	v_dual_lshlrev_b32 v5, 16, v5 :: v_dual_bitop2_b32 v2, v2, v3 bitop3:0x54
	v_lshlrev_b16 v3, 8, v14
	s_delay_alu instid0(VALU_DEP_3) | instskip(NEXT) | instid1(VALU_DEP_3)
	v_and_b32_e32 v8, 0xffff, v8
	v_and_b32_e32 v2, 0xffff, v2
	s_delay_alu instid0(VALU_DEP_3) | instskip(NEXT) | instid1(VALU_DEP_1)
	v_or_b32_e32 v3, v13, v3
	v_dual_lshlrev_b32 v3, 16, v3 :: v_dual_bitop2_b32 v35, v2, v5 bitop3:0x54
	v_and_b32_e32 v6, 0xffff, v6
	s_delay_alu instid0(VALU_DEP_2) | instskip(NEXT) | instid1(VALU_DEP_2)
	v_or_b32_e32 v27, v8, v3
	v_or_b32_e32 v31, v6, v7
.LBB75_38:
	s_delay_alu instid0(VALU_DEP_4) | instskip(SKIP_2) | instid1(VALU_DEP_4)
	v_bfe_u32 v39, v35, 16, 8
	v_bfe_u32 v41, v35, 8, 8
	v_and_b32_e32 v57, 0xff, v35
	v_and_b32_e32 v58, 0xff, v31
	v_mbcnt_lo_u32_b32 v64, -1, 0
	v_lshrrev_b32_e32 v37, 24, v35
	v_bfe_u32 v59, v31, 16, 8
	v_add3_u32 v2, v41, v57, v39
	v_bfe_u32 v60, v31, 8, 8
	v_dual_lshrrev_b32 v33, 24, v31 :: v_dual_bitop2_b32 v5, 15, v64 bitop3:0x40
	v_lshrrev_b32_e32 v65, 5, v0
	s_delay_alu instid0(VALU_DEP_4)
	v_add3_u32 v2, v2, v37, v58
	v_and_b32_e32 v61, 0xff, v27
	v_bfe_u32 v62, v27, 16, 8
	v_bfe_u32 v63, v27, 8, 8
	v_dual_lshrrev_b32 v29, 24, v27 :: v_dual_bitop2_b32 v6, 31, v0 bitop3:0x54
	v_add3_u32 v2, v2, v60, v59
	v_and_b32_e32 v3, 0xff, v25
	v_and_b32_e32 v7, 16, v64
	v_cmp_ne_u32_e32 vcc_lo, 0, v4
	v_cmp_eq_u32_e64 s6, 0, v5
	v_add3_u32 v2, v2, v33, v61
	v_cmp_lt_u32_e64 s5, 1, v5
	v_cmp_lt_u32_e64 s4, 3, v5
	;; [unrolled: 1-line block ×3, first 2 shown]
	v_cmp_eq_u32_e64 s1, 0, v7
	v_add3_u32 v2, v2, v63, v62
	v_cmp_eq_u32_e64 s0, v0, v6
	s_mov_b32 s7, -1
	v_add3_u32 v66, v2, v29, v3
	s_cbranch_vccz .LBB75_60
; %bb.39:
	s_delay_alu instid0(VALU_DEP_1) | instskip(NEXT) | instid1(VALU_DEP_1)
	v_mov_b32_dpp v2, v66 row_shr:1 row_mask:0xf bank_mask:0xf
	v_cndmask_b32_e64 v2, v2, 0, s6
	s_delay_alu instid0(VALU_DEP_1) | instskip(NEXT) | instid1(VALU_DEP_1)
	v_add_nc_u32_e32 v2, v2, v66
	v_mov_b32_dpp v3, v2 row_shr:2 row_mask:0xf bank_mask:0xf
	s_delay_alu instid0(VALU_DEP_1) | instskip(NEXT) | instid1(VALU_DEP_1)
	v_cndmask_b32_e64 v3, 0, v3, s5
	v_add_nc_u32_e32 v2, v2, v3
	s_delay_alu instid0(VALU_DEP_1) | instskip(NEXT) | instid1(VALU_DEP_1)
	v_mov_b32_dpp v3, v2 row_shr:4 row_mask:0xf bank_mask:0xf
	v_cndmask_b32_e64 v3, 0, v3, s4
	s_delay_alu instid0(VALU_DEP_1) | instskip(NEXT) | instid1(VALU_DEP_1)
	v_add_nc_u32_e32 v2, v2, v3
	v_mov_b32_dpp v3, v2 row_shr:8 row_mask:0xf bank_mask:0xf
	s_delay_alu instid0(VALU_DEP_1) | instskip(NEXT) | instid1(VALU_DEP_1)
	v_cndmask_b32_e64 v3, 0, v3, s3
	v_add_nc_u32_e32 v2, v2, v3
	ds_swizzle_b32 v3, v2 offset:swizzle(BROADCAST,32,15)
	s_wait_dscnt 0x0
	v_cndmask_b32_e64 v3, v3, 0, s1
	s_delay_alu instid0(VALU_DEP_1)
	v_add_nc_u32_e32 v2, v2, v3
	s_and_saveexec_b32 s7, s0
; %bb.40:
	v_lshlrev_b32_e32 v3, 2, v65
	ds_store_b32 v3, v2
; %bb.41:
	s_or_b32 exec_lo, exec_lo, s7
	s_delay_alu instid0(SALU_CYCLE_1)
	s_mov_b32 s7, exec_lo
	s_wait_dscnt 0x0
	s_barrier_signal -1
	s_barrier_wait -1
	v_cmpx_gt_u32_e32 8, v0
	s_cbranch_execz .LBB75_43
; %bb.42:
	ds_load_b32 v3, v19
	s_wait_dscnt 0x0
	v_mov_b32_dpp v6, v3 row_shr:1 row_mask:0xf bank_mask:0xf
	v_and_b32_e32 v5, 7, v64
	s_delay_alu instid0(VALU_DEP_1) | instskip(NEXT) | instid1(VALU_DEP_3)
	v_cmp_ne_u32_e32 vcc_lo, 0, v5
	v_cndmask_b32_e32 v6, 0, v6, vcc_lo
	v_cmp_lt_u32_e32 vcc_lo, 1, v5
	s_delay_alu instid0(VALU_DEP_2) | instskip(NEXT) | instid1(VALU_DEP_1)
	v_add_nc_u32_e32 v3, v6, v3
	v_mov_b32_dpp v6, v3 row_shr:2 row_mask:0xf bank_mask:0xf
	s_delay_alu instid0(VALU_DEP_1) | instskip(SKIP_1) | instid1(VALU_DEP_2)
	v_cndmask_b32_e32 v6, 0, v6, vcc_lo
	v_cmp_lt_u32_e32 vcc_lo, 3, v5
	v_add_nc_u32_e32 v3, v3, v6
	s_delay_alu instid0(VALU_DEP_1) | instskip(NEXT) | instid1(VALU_DEP_1)
	v_mov_b32_dpp v6, v3 row_shr:4 row_mask:0xf bank_mask:0xf
	v_cndmask_b32_e32 v5, 0, v6, vcc_lo
	s_delay_alu instid0(VALU_DEP_1)
	v_add_nc_u32_e32 v3, v3, v5
	ds_store_b32 v19, v3
.LBB75_43:
	s_or_b32 exec_lo, exec_lo, s7
	s_delay_alu instid0(SALU_CYCLE_1)
	s_mov_b32 s8, exec_lo
	v_cmp_gt_u32_e32 vcc_lo, 32, v0
	s_wait_dscnt 0x0
	s_barrier_signal -1
	s_barrier_wait -1
                                        ; implicit-def: $vgpr10
	v_cmpx_lt_u32_e32 31, v0
	s_cbranch_execz .LBB75_45
; %bb.44:
	v_lshl_add_u32 v3, v65, 2, -4
	ds_load_b32 v10, v3
	s_wait_dscnt 0x0
	v_add_nc_u32_e32 v2, v10, v2
.LBB75_45:
	s_or_b32 exec_lo, exec_lo, s8
	v_sub_co_u32 v3, s7, v64, 1
	s_delay_alu instid0(VALU_DEP_1) | instskip(NEXT) | instid1(VALU_DEP_1)
	v_cmp_gt_i32_e64 s8, 0, v3
	v_cndmask_b32_e64 v3, v3, v64, s8
	s_delay_alu instid0(VALU_DEP_1)
	v_lshlrev_b32_e32 v3, 2, v3
	ds_bpermute_b32 v11, v3, v2
	s_and_saveexec_b32 s8, vcc_lo
	s_cbranch_execz .LBB75_65
; %bb.46:
	v_dual_mov_b32 v9, 0 :: v_dual_add_nc_u32 v12, 32, v4
	ds_load_b32 v2, v9 offset:28
	s_and_saveexec_b32 s15, s7
	s_cbranch_execz .LBB75_48
; %bb.47:
	v_mov_b32_e32 v3, 1
	s_wait_dscnt 0x0
	global_store_b64 v12, v[2:3], s[20:21] scale_offset scope:SCOPE_DEV
.LBB75_48:
	s_wait_xcnt 0x0
	s_or_b32 exec_lo, exec_lo, s15
	v_xad_u32 v4, v64, -1, v4
	s_mov_b32 s23, 0
	s_mov_b32 s15, exec_lo
	s_delay_alu instid0(VALU_DEP_1) | instskip(SKIP_4) | instid1(VALU_DEP_1)
	v_add_nc_u32_e32 v8, 32, v4
	global_load_b64 v[6:7], v8, s[20:21] scale_offset scope:SCOPE_DEV
	s_wait_loadcnt 0x0
	v_and_b32_e32 v3, 0xff, v7
	s_wait_xcnt 0x0
	v_cmpx_eq_u16_e32 0, v3
	s_cbranch_execz .LBB75_52
; %bb.49:
	v_lshl_add_u64 v[8:9], v[8:9], 3, s[20:21]
.LBB75_50:                              ; =>This Inner Loop Header: Depth=1
	global_load_b64 v[6:7], v[8:9], off scope:SCOPE_DEV
	s_wait_loadcnt 0x0
	v_and_b32_e32 v3, 0xff, v7
	s_delay_alu instid0(VALU_DEP_1)
	v_cmp_ne_u16_e32 vcc_lo, 0, v3
	s_or_b32 s23, vcc_lo, s23
	s_wait_xcnt 0x0
	s_and_not1_b32 exec_lo, exec_lo, s23
	s_cbranch_execnz .LBB75_50
; %bb.51:
	s_or_b32 exec_lo, exec_lo, s23
.LBB75_52:
	s_delay_alu instid0(SALU_CYCLE_1)
	s_or_b32 exec_lo, exec_lo, s15
	v_cmp_ne_u32_e32 vcc_lo, 31, v64
	v_lshlrev_b32_e64 v14, v64, -1
	v_lshl_or_b32 v69, v64, 2, 64
	v_dual_add_nc_u32 v16, 2, v64 :: v_dual_add_nc_u32 v56, 4, v64
	v_add_co_ci_u32_e64 v3, null, 0, v64, vcc_lo
	v_dual_add_nc_u32 v68, 8, v64 :: v_dual_add_nc_u32 v70, 16, v64
	s_delay_alu instid0(VALU_DEP_2)
	v_lshlrev_b32_e32 v13, 2, v3
	v_and_b32_e32 v3, 0xff, v7
	ds_bpermute_b32 v5, v13, v6
	v_cmp_eq_u16_e32 vcc_lo, 2, v3
	v_and_or_b32 v3, vcc_lo, v14, 0x80000000
	v_cmp_gt_u32_e32 vcc_lo, 30, v64
	s_delay_alu instid0(VALU_DEP_2) | instskip(SKIP_1) | instid1(VALU_DEP_2)
	v_ctz_i32_b32_e32 v3, v3
	v_cndmask_b32_e64 v8, 0, 2, vcc_lo
	v_cmp_lt_u32_e32 vcc_lo, v64, v3
	s_delay_alu instid0(VALU_DEP_2) | instskip(SKIP_3) | instid1(VALU_DEP_2)
	v_add_lshl_u32 v15, v8, v64, 2
	s_wait_dscnt 0x0
	v_cndmask_b32_e32 v5, 0, v5, vcc_lo
	v_cmp_gt_u32_e32 vcc_lo, 28, v64
	v_add_nc_u32_e32 v5, v5, v6
	v_cndmask_b32_e64 v8, 0, 4, vcc_lo
	v_cmp_le_u32_e32 vcc_lo, v16, v3
	ds_bpermute_b32 v6, v15, v5
	v_add_lshl_u32 v17, v8, v64, 2
	s_wait_dscnt 0x0
	v_cndmask_b32_e32 v6, 0, v6, vcc_lo
	v_cmp_gt_u32_e32 vcc_lo, 24, v64
	v_cndmask_b32_e64 v8, 0, 8, vcc_lo
	v_cmp_le_u32_e32 vcc_lo, v56, v3
	s_delay_alu instid0(VALU_DEP_4) | instskip(NEXT) | instid1(VALU_DEP_3)
	v_add_nc_u32_e32 v5, v5, v6
	v_add_lshl_u32 v67, v8, v64, 2
	ds_bpermute_b32 v6, v17, v5
	s_wait_dscnt 0x0
	v_cndmask_b32_e32 v6, 0, v6, vcc_lo
	v_cmp_le_u32_e32 vcc_lo, v68, v3
	s_delay_alu instid0(VALU_DEP_2) | instskip(SKIP_4) | instid1(VALU_DEP_2)
	v_add_nc_u32_e32 v5, v5, v6
	ds_bpermute_b32 v6, v67, v5
	s_wait_dscnt 0x0
	v_cndmask_b32_e32 v6, 0, v6, vcc_lo
	v_cmp_le_u32_e32 vcc_lo, v70, v3
	v_add_nc_u32_e32 v5, v5, v6
	ds_bpermute_b32 v6, v69, v5
	s_wait_dscnt 0x0
	v_cndmask_b32_e32 v3, 0, v6, vcc_lo
	s_delay_alu instid0(VALU_DEP_1)
	v_dual_mov_b32 v5, 0 :: v_dual_add_nc_u32 v6, v5, v3
	s_branch .LBB75_56
.LBB75_53:                              ;   in Loop: Header=BB75_56 Depth=1
	s_or_b32 exec_lo, exec_lo, s23
.LBB75_54:                              ;   in Loop: Header=BB75_56 Depth=1
	s_delay_alu instid0(SALU_CYCLE_1)
	s_or_b32 exec_lo, exec_lo, s15
	v_and_b32_e32 v8, 0xff, v7
	ds_bpermute_b32 v9, v13, v6
	v_subrev_nc_u32_e32 v4, 32, v4
	s_mov_b32 s15, 0
	v_cmp_eq_u16_e32 vcc_lo, 2, v8
	v_and_or_b32 v8, vcc_lo, v14, 0x80000000
	s_delay_alu instid0(VALU_DEP_1) | instskip(NEXT) | instid1(VALU_DEP_1)
	v_ctz_i32_b32_e32 v8, v8
	v_cmp_lt_u32_e32 vcc_lo, v64, v8
	s_wait_dscnt 0x0
	v_cndmask_b32_e32 v9, 0, v9, vcc_lo
	v_cmp_le_u32_e32 vcc_lo, v16, v8
	s_delay_alu instid0(VALU_DEP_2) | instskip(SKIP_4) | instid1(VALU_DEP_2)
	v_add_nc_u32_e32 v6, v9, v6
	ds_bpermute_b32 v9, v15, v6
	s_wait_dscnt 0x0
	v_cndmask_b32_e32 v9, 0, v9, vcc_lo
	v_cmp_le_u32_e32 vcc_lo, v56, v8
	v_add_nc_u32_e32 v6, v6, v9
	ds_bpermute_b32 v9, v17, v6
	s_wait_dscnt 0x0
	v_cndmask_b32_e32 v9, 0, v9, vcc_lo
	v_cmp_le_u32_e32 vcc_lo, v68, v8
	s_delay_alu instid0(VALU_DEP_2) | instskip(SKIP_4) | instid1(VALU_DEP_2)
	v_add_nc_u32_e32 v6, v6, v9
	ds_bpermute_b32 v9, v67, v6
	s_wait_dscnt 0x0
	v_cndmask_b32_e32 v9, 0, v9, vcc_lo
	v_cmp_le_u32_e32 vcc_lo, v70, v8
	v_add_nc_u32_e32 v6, v6, v9
	ds_bpermute_b32 v9, v69, v6
	s_wait_dscnt 0x0
	v_cndmask_b32_e32 v8, 0, v9, vcc_lo
	s_delay_alu instid0(VALU_DEP_1)
	v_add3_u32 v6, v8, v3, v6
.LBB75_55:                              ;   in Loop: Header=BB75_56 Depth=1
	s_and_b32 vcc_lo, exec_lo, s15
	s_cbranch_vccnz .LBB75_61
.LBB75_56:                              ; =>This Loop Header: Depth=1
                                        ;     Child Loop BB75_59 Depth 2
	v_and_b32_e32 v3, 0xff, v7
	s_mov_b32 s15, -1
                                        ; implicit-def: $vgpr7
	s_delay_alu instid0(VALU_DEP_1)
	v_cmp_ne_u16_e32 vcc_lo, 2, v3
	v_mov_b32_e32 v3, v6
                                        ; implicit-def: $vgpr6
	s_cmp_lg_u32 vcc_lo, exec_lo
	s_cbranch_scc1 .LBB75_55
; %bb.57:                               ;   in Loop: Header=BB75_56 Depth=1
	global_load_b64 v[6:7], v4, s[20:21] scale_offset scope:SCOPE_DEV
	s_mov_b32 s15, exec_lo
	s_wait_loadcnt 0x0
	v_and_b32_e32 v8, 0xff, v7
	s_wait_xcnt 0x0
	s_delay_alu instid0(VALU_DEP_1)
	v_cmpx_eq_u16_e32 0, v8
	s_cbranch_execz .LBB75_54
; %bb.58:                               ;   in Loop: Header=BB75_56 Depth=1
	v_lshl_add_u64 v[8:9], v[4:5], 3, s[20:21]
	s_mov_b32 s23, 0
.LBB75_59:                              ;   Parent Loop BB75_56 Depth=1
                                        ; =>  This Inner Loop Header: Depth=2
	global_load_b64 v[6:7], v[8:9], off scope:SCOPE_DEV
	s_wait_loadcnt 0x0
	v_and_b32_e32 v71, 0xff, v7
	s_delay_alu instid0(VALU_DEP_1)
	v_cmp_ne_u16_e32 vcc_lo, 0, v71
	s_or_b32 s23, vcc_lo, s23
	s_wait_xcnt 0x0
	s_and_not1_b32 exec_lo, exec_lo, s23
	s_cbranch_execnz .LBB75_59
	s_branch .LBB75_53
.LBB75_60:
                                        ; implicit-def: $vgpr2_vgpr3_vgpr4_vgpr5_vgpr6_vgpr7_vgpr8_vgpr9_vgpr10_vgpr11_vgpr12_vgpr13_vgpr14_vgpr15_vgpr16_vgpr17
                                        ; implicit-def: $vgpr56
                                        ; implicit-def: $vgpr16
	s_and_b32 vcc_lo, exec_lo, s7
	s_cbranch_vccnz .LBB75_66
	s_branch .LBB75_75
.LBB75_61:
	s_and_saveexec_b32 s15, s7
	s_cbranch_execz .LBB75_63
; %bb.62:
	v_dual_mov_b32 v5, 2 :: v_dual_add_nc_u32 v4, v3, v2
	v_mov_b32_e32 v6, 0
	global_store_b64 v12, v[4:5], s[20:21] scale_offset scope:SCOPE_DEV
	ds_store_b64 v6, v[2:3] offset:13312
.LBB75_63:
	s_wait_xcnt 0x0
	s_or_b32 exec_lo, exec_lo, s15
	s_delay_alu instid0(SALU_CYCLE_1)
	s_and_b32 exec_lo, exec_lo, s2
; %bb.64:
	v_mov_b32_e32 v2, 0
	ds_store_b32 v2, v3 offset:28
.LBB75_65:
	s_or_b32 exec_lo, exec_lo, s8
	s_wait_dscnt 0x0
	v_dual_mov_b32 v12, 0 :: v_dual_cndmask_b32 v3, v11, v10, s7
	s_wait_storecnt 0x0
	s_barrier_signal -1
	s_barrier_wait -1
	ds_load_b32 v2, v12 offset:28
	v_cndmask_b32_e64 v3, v3, 0, s2
	s_wait_dscnt 0x0
	s_barrier_signal -1
	s_barrier_wait -1
	ds_load_b64 v[16:17], v12 offset:13312
	v_add_nc_u32_e32 v2, v2, v3
	s_wait_dscnt 0x0
	s_delay_alu instid0(VALU_DEP_1) | instskip(NEXT) | instid1(VALU_DEP_1)
	v_dual_mov_b32 v56, v17 :: v_dual_add_nc_u32 v3, v2, v57
	v_add_nc_u32_e32 v4, v3, v41
	s_delay_alu instid0(VALU_DEP_1) | instskip(NEXT) | instid1(VALU_DEP_1)
	v_add_nc_u32_e32 v5, v4, v39
	v_add_nc_u32_e32 v6, v5, v37
	s_delay_alu instid0(VALU_DEP_1) | instskip(NEXT) | instid1(VALU_DEP_1)
	v_add_nc_u32_e32 v7, v6, v58
	;; [unrolled: 3-line block ×5, first 2 shown]
	v_add_nc_u32_e32 v14, v13, v29
	s_branch .LBB75_75
.LBB75_66:
	v_mov_b32_dpp v2, v66 row_shr:1 row_mask:0xf bank_mask:0xf
	s_delay_alu instid0(VALU_DEP_1) | instskip(NEXT) | instid1(VALU_DEP_1)
	v_cndmask_b32_e64 v2, v2, 0, s6
	v_add_nc_u32_e32 v2, v2, v66
	s_delay_alu instid0(VALU_DEP_1) | instskip(NEXT) | instid1(VALU_DEP_1)
	v_mov_b32_dpp v3, v2 row_shr:2 row_mask:0xf bank_mask:0xf
	v_cndmask_b32_e64 v3, 0, v3, s5
	s_delay_alu instid0(VALU_DEP_1) | instskip(NEXT) | instid1(VALU_DEP_1)
	v_add_nc_u32_e32 v2, v2, v3
	v_mov_b32_dpp v3, v2 row_shr:4 row_mask:0xf bank_mask:0xf
	s_delay_alu instid0(VALU_DEP_1) | instskip(NEXT) | instid1(VALU_DEP_1)
	v_cndmask_b32_e64 v3, 0, v3, s4
	v_add_nc_u32_e32 v2, v2, v3
	s_delay_alu instid0(VALU_DEP_1) | instskip(NEXT) | instid1(VALU_DEP_1)
	v_mov_b32_dpp v3, v2 row_shr:8 row_mask:0xf bank_mask:0xf
	v_cndmask_b32_e64 v3, 0, v3, s3
	s_delay_alu instid0(VALU_DEP_1) | instskip(SKIP_3) | instid1(VALU_DEP_1)
	v_add_nc_u32_e32 v2, v2, v3
	ds_swizzle_b32 v3, v2 offset:swizzle(BROADCAST,32,15)
	s_wait_dscnt 0x0
	v_cndmask_b32_e64 v3, v3, 0, s1
	v_add_nc_u32_e32 v2, v2, v3
	s_and_saveexec_b32 s1, s0
; %bb.67:
	v_lshlrev_b32_e32 v3, 2, v65
	ds_store_b32 v3, v2
; %bb.68:
	s_or_b32 exec_lo, exec_lo, s1
	s_delay_alu instid0(SALU_CYCLE_1)
	s_mov_b32 s0, exec_lo
	s_wait_dscnt 0x0
	s_barrier_signal -1
	s_barrier_wait -1
	v_cmpx_gt_u32_e32 8, v0
	s_cbranch_execz .LBB75_70
; %bb.69:
	ds_load_b32 v3, v19
	s_wait_dscnt 0x0
	v_mov_b32_dpp v5, v3 row_shr:1 row_mask:0xf bank_mask:0xf
	v_and_b32_e32 v4, 7, v64
	s_delay_alu instid0(VALU_DEP_1) | instskip(NEXT) | instid1(VALU_DEP_3)
	v_cmp_ne_u32_e32 vcc_lo, 0, v4
	v_cndmask_b32_e32 v5, 0, v5, vcc_lo
	v_cmp_lt_u32_e32 vcc_lo, 1, v4
	s_delay_alu instid0(VALU_DEP_2) | instskip(NEXT) | instid1(VALU_DEP_1)
	v_add_nc_u32_e32 v3, v5, v3
	v_mov_b32_dpp v5, v3 row_shr:2 row_mask:0xf bank_mask:0xf
	s_delay_alu instid0(VALU_DEP_1) | instskip(SKIP_1) | instid1(VALU_DEP_2)
	v_cndmask_b32_e32 v5, 0, v5, vcc_lo
	v_cmp_lt_u32_e32 vcc_lo, 3, v4
	v_add_nc_u32_e32 v3, v3, v5
	s_delay_alu instid0(VALU_DEP_1) | instskip(NEXT) | instid1(VALU_DEP_1)
	v_mov_b32_dpp v5, v3 row_shr:4 row_mask:0xf bank_mask:0xf
	v_cndmask_b32_e32 v4, 0, v5, vcc_lo
	s_delay_alu instid0(VALU_DEP_1)
	v_add_nc_u32_e32 v3, v3, v4
	ds_store_b32 v19, v3
.LBB75_70:
	s_or_b32 exec_lo, exec_lo, s0
	v_dual_mov_b32 v4, 0 :: v_dual_mov_b32 v3, 0
	s_mov_b32 s0, exec_lo
	s_wait_dscnt 0x0
	s_barrier_signal -1
	s_barrier_wait -1
	v_cmpx_lt_u32_e32 31, v0
; %bb.71:
	v_lshl_add_u32 v3, v65, 2, -4
	ds_load_b32 v3, v3
; %bb.72:
	s_or_b32 exec_lo, exec_lo, s0
	v_sub_co_u32 v5, vcc_lo, v64, 1
	ds_load_b32 v16, v4 offset:28
	s_wait_dscnt 0x1
	v_add_nc_u32_e32 v2, v3, v2
	v_cmp_gt_i32_e64 s0, 0, v5
	s_delay_alu instid0(VALU_DEP_1) | instskip(NEXT) | instid1(VALU_DEP_1)
	v_cndmask_b32_e64 v5, v5, v64, s0
	v_lshlrev_b32_e32 v5, 2, v5
	ds_bpermute_b32 v2, v5, v2
	s_and_saveexec_b32 s0, s2
	s_cbranch_execz .LBB75_74
; %bb.73:
	v_dual_mov_b32 v4, 0 :: v_dual_mov_b32 v17, 2
	s_wait_dscnt 0x1
	global_store_b64 v4, v[16:17], s[20:21] offset:256 scope:SCOPE_DEV
.LBB75_74:
	s_wait_xcnt 0x0
	s_or_b32 exec_lo, exec_lo, s0
	s_wait_dscnt 0x0
	v_cndmask_b32_e32 v2, v2, v3, vcc_lo
	s_wait_storecnt 0x0
	s_barrier_signal -1
	s_barrier_wait -1
	s_delay_alu instid0(VALU_DEP_1) | instskip(NEXT) | instid1(VALU_DEP_1)
	v_cndmask_b32_e64 v2, v2, 0, s2
	v_dual_mov_b32 v56, 0 :: v_dual_add_nc_u32 v3, v2, v57
	s_delay_alu instid0(VALU_DEP_1) | instskip(NEXT) | instid1(VALU_DEP_1)
	v_add_nc_u32_e32 v4, v3, v41
	v_add_nc_u32_e32 v5, v4, v39
	s_delay_alu instid0(VALU_DEP_1) | instskip(NEXT) | instid1(VALU_DEP_1)
	v_add_nc_u32_e32 v6, v5, v37
	v_add_nc_u32_e32 v7, v6, v58
	;; [unrolled: 3-line block ×5, first 2 shown]
	s_delay_alu instid0(VALU_DEP_1)
	v_add_nc_u32_e32 v14, v13, v29
.LBB75_75:
	v_dual_lshrrev_b32 v57, 16, v35 :: v_dual_lshrrev_b32 v58, 8, v35
	v_dual_add_nc_u32 v23, v16, v23 :: v_dual_sub_nc_u32 v3, v3, v56
	v_dual_sub_nc_u32 v2, v2, v56 :: v_dual_bitop2_b32 v35, 1, v35 bitop3:0x40
	s_delay_alu instid0(VALU_DEP_3) | instskip(NEXT) | instid1(VALU_DEP_3)
	v_dual_sub_nc_u32 v4, v4, v56 :: v_dual_bitop2_b32 v58, 1, v58 bitop3:0x40
	v_dual_sub_nc_u32 v59, v23, v3 :: v_dual_bitop2_b32 v57, 1, v57 bitop3:0x40
	s_delay_alu instid0(VALU_DEP_3) | instskip(NEXT) | instid1(VALU_DEP_4)
	v_dual_sub_nc_u32 v60, v23, v2 :: v_dual_sub_nc_u32 v5, v5, v56
	v_cmp_eq_u32_e32 vcc_lo, 1, v35
	s_delay_alu instid0(VALU_DEP_3) | instskip(SKIP_1) | instid1(VALU_DEP_4)
	v_dual_sub_nc_u32 v61, v23, v4 :: v_dual_add_nc_u32 v59, 1, v59
	v_dual_lshrrev_b32 v41, 8, v31 :: v_dual_lshrrev_b32 v39, 16, v31
	v_cndmask_b32_e32 v2, v60, v2, vcc_lo
	v_cmp_eq_u32_e32 vcc_lo, 1, v58
	v_dual_lshrrev_b32 v15, 16, v27 :: v_dual_lshrrev_b32 v17, 8, v27
	v_cndmask_b32_e32 v3, v59, v3, vcc_lo
	s_delay_alu instid0(VALU_DEP_4)
	v_dual_sub_nc_u32 v35, v23, v5 :: v_dual_lshlrev_b32 v2, 2, v2
	v_and_b32_e32 v37, 1, v37
	v_add_nc_u32_e32 v58, 2, v61
	v_cmp_eq_u32_e32 vcc_lo, 1, v57
	v_lshlrev_b32_e32 v3, 2, v3
	v_add_nc_u32_e32 v35, 3, v35
	ds_store_b32 v2, v54
	ds_store_b32 v3, v55
	v_cndmask_b32_e32 v4, v58, v4, vcc_lo
	v_cmp_eq_u32_e32 vcc_lo, 1, v37
	v_dual_cndmask_b32 v5, v35, v5 :: v_dual_sub_nc_u32 v6, v6, v56
	s_delay_alu instid0(VALU_DEP_1) | instskip(NEXT) | instid1(VALU_DEP_2)
	v_dual_lshlrev_b32 v3, 2, v4 :: v_dual_lshlrev_b32 v4, 2, v5
	v_sub_nc_u32_e32 v2, v23, v6
	v_dual_sub_nc_u32 v5, v7, v56 :: v_dual_bitop2_b32 v7, 1, v31 bitop3:0x40
	s_delay_alu instid0(VALU_DEP_2)
	v_add_nc_u32_e32 v2, 4, v2
	ds_store_b32 v3, v52
	ds_store_b32 v4, v53
	v_cmp_eq_u32_e32 vcc_lo, 1, v7
	v_dual_sub_nc_u32 v4, v8, v56 :: v_dual_cndmask_b32 v2, v2, v6, vcc_lo
	v_sub_nc_u32_e32 v3, v23, v5
	v_dual_sub_nc_u32 v7, v9, v56 :: v_dual_bitop2_b32 v6, 1, v41 bitop3:0x40
	s_delay_alu instid0(VALU_DEP_2) | instskip(NEXT) | instid1(VALU_DEP_2)
	v_dual_lshlrev_b32 v2, 2, v2 :: v_dual_add_nc_u32 v3, 5, v3
	v_cmp_eq_u32_e32 vcc_lo, 1, v6
	v_dual_sub_nc_u32 v8, v23, v4 :: v_dual_bitop2_b32 v6, 1, v39 bitop3:0x40
	ds_store_b32 v2, v50
	v_and_b32_e32 v2, 1, v33
	v_cndmask_b32_e32 v3, v3, v5, vcc_lo
	v_dual_sub_nc_u32 v5, v23, v7 :: v_dual_add_nc_u32 v8, 6, v8
	v_cmp_eq_u32_e32 vcc_lo, 1, v6
	s_delay_alu instid0(VALU_DEP_3) | instskip(NEXT) | instid1(VALU_DEP_3)
	v_dual_sub_nc_u32 v6, v11, v56 :: v_dual_lshlrev_b32 v3, 2, v3
	v_dual_cndmask_b32 v4, v8, v4 :: v_dual_add_nc_u32 v5, 7, v5
	v_cmp_eq_u32_e32 vcc_lo, 1, v2
	ds_store_b32 v3, v51
	v_dual_sub_nc_u32 v3, v23, v6 :: v_dual_sub_nc_u32 v8, v14, v56
	v_dual_lshlrev_b32 v4, 2, v4 :: v_dual_cndmask_b32 v2, v5, v7, vcc_lo
	v_dual_sub_nc_u32 v5, v10, v56 :: v_dual_bitop2_b32 v7, 1, v17 bitop3:0x40
	s_delay_alu instid0(VALU_DEP_3)
	v_add_nc_u32_e32 v3, 9, v3
	ds_store_b32 v4, v48
	v_dual_lshlrev_b32 v2, 2, v2 :: v_dual_sub_nc_u32 v4, v23, v5
	v_cmp_eq_u32_e32 vcc_lo, 1, v7
	v_sub_nc_u32_e32 v7, v12, v56
	v_sub_nc_u32_e32 v9, v23, v8
	ds_store_b32 v2, v49
	v_dual_add_nc_u32 v4, 8, v4 :: v_dual_bitop2_b32 v2, 1, v27 bitop3:0x40
	v_dual_cndmask_b32 v3, v3, v6 :: v_dual_sub_nc_u32 v6, v13, v56
	s_delay_alu instid0(VALU_DEP_2) | instskip(NEXT) | instid1(VALU_DEP_2)
	v_cmp_eq_u32_e32 vcc_lo, 1, v2
	v_dual_cndmask_b32 v2, v4, v5, vcc_lo :: v_dual_sub_nc_u32 v4, v23, v6
	v_and_b32_e32 v10, 1, v15
	v_dual_sub_nc_u32 v5, v23, v7 :: v_dual_bitop2_b32 v12, 1, v25 bitop3:0x40
	s_delay_alu instid0(VALU_DEP_3) | instskip(SKIP_1) | instid1(VALU_DEP_1)
	v_dual_lshlrev_b32 v2, 2, v2 :: v_dual_add_nc_u32 v4, 11, v4
	v_and_b32_e32 v11, 1, v29
	v_cmp_eq_u32_e32 vcc_lo, 1, v11
	s_delay_alu instid0(VALU_DEP_3) | instskip(SKIP_3) | instid1(VALU_DEP_1)
	v_cndmask_b32_e32 v4, v4, v6, vcc_lo
	v_cmp_eq_u32_e32 vcc_lo, 1, v10
	v_add_nc_u32_e32 v9, 12, v9
	v_add_nc_u32_e32 v5, 10, v5
	v_cndmask_b32_e32 v5, v5, v7, vcc_lo
	v_cmp_eq_u32_e32 vcc_lo, 1, v12
	s_delay_alu instid0(VALU_DEP_2) | instskip(SKIP_3) | instid1(VALU_DEP_3)
	v_dual_lshlrev_b32 v3, 2, v3 :: v_dual_lshlrev_b32 v5, 2, v5
	v_cndmask_b32_e32 v6, v9, v8, vcc_lo
	v_lshlrev_b32_e32 v4, 2, v4
	v_cmp_ne_u32_e32 vcc_lo, 1, v21
	v_lshlrev_b32_e32 v6, 2, v6
	ds_store_b32 v2, v46
	ds_store_b32 v3, v47
	;; [unrolled: 1-line block ×5, first 2 shown]
	s_wait_dscnt 0x0
	s_barrier_signal -1
	s_barrier_wait -1
	ds_load_2addr_stride64_b32 v[14:15], v19 offset1:4
	ds_load_2addr_stride64_b32 v[12:13], v19 offset0:8 offset1:12
	ds_load_2addr_stride64_b32 v[10:11], v19 offset0:16 offset1:20
	;; [unrolled: 1-line block ×5, first 2 shown]
	ds_load_b32 v46, v19 offset:12288
	v_mov_b32_e32 v1, 0
	s_and_b32 vcc_lo, exec_lo, vcc_lo
	s_delay_alu instid0(VALU_DEP_1) | instskip(SKIP_2) | instid1(VALU_DEP_3)
	v_dual_mov_b32 v29, v1 :: v_dual_mov_b32 v57, v1
	v_dual_mov_b32 v41, v1 :: v_dual_mov_b32 v39, v1
	;; [unrolled: 1-line block ×3, first 2 shown]
	v_add_nc_u64_e32 v[2:3], v[42:43], v[56:57]
	v_dual_mov_b32 v33, v1 :: v_dual_mov_b32 v31, v1
	v_dual_mov_b32 v27, v1 :: v_dual_mov_b32 v25, v1
	;; [unrolled: 1-line block ×3, first 2 shown]
	v_mov_b32_e32 v19, v1
	s_cbranch_vccnz .LBB75_132
; %bb.76:
	v_mov_b32_e32 v17, v1
	s_mov_b32 s15, 0
	v_sub_nc_u64_e64 v[42:43], v[2:3], s[16:17]
	s_sub_nc_u64 s[0:1], s[18:19], s[14:15]
	s_delay_alu instid0(VALU_DEP_2) | instid1(SALU_CYCLE_1)
	v_add_nc_u64_e32 v[44:45], s[0:1], v[16:17]
	s_mov_b32 s0, exec_lo
	s_delay_alu instid0(VALU_DEP_1)
	v_add_nc_u64_e32 v[42:43], v[44:45], v[42:43]
                                        ; implicit-def: $vgpr44_vgpr45
	v_cmpx_ge_u32_e64 v0, v16
	s_xor_b32 s0, exec_lo, s0
; %bb.77:
	v_not_b32_e32 v44, v0
	s_delay_alu instid0(VALU_DEP_1) | instskip(NEXT) | instid1(VALU_DEP_1)
	v_ashrrev_i32_e32 v45, 31, v44
	v_add_nc_u64_e32 v[44:45], v[42:43], v[44:45]
; %bb.78:
	s_and_not1_saveexec_b32 s0, s0
; %bb.79:
	v_add_nc_u64_e32 v[44:45], v[2:3], v[0:1]
; %bb.80:
	s_or_b32 exec_lo, exec_lo, s0
	s_delay_alu instid0(VALU_DEP_1)
	v_lshl_add_u64 v[44:45], v[44:45], 2, s[10:11]
	s_mov_b32 s0, exec_lo
	s_wait_dscnt 0x6
	global_store_b32 v[44:45], v14, off
                                        ; implicit-def: $vgpr44_vgpr45
	s_wait_xcnt 0x0
	v_cmpx_ge_u32_e64 v40, v16
	s_xor_b32 s0, exec_lo, s0
; %bb.81:
	v_xor_b32_e32 v44, 0xfffffeff, v0
	s_delay_alu instid0(VALU_DEP_1) | instskip(NEXT) | instid1(VALU_DEP_1)
	v_ashrrev_i32_e32 v45, 31, v44
	v_add_nc_u64_e32 v[44:45], v[42:43], v[44:45]
; %bb.82:
	s_and_not1_saveexec_b32 s0, s0
; %bb.83:
	v_add_nc_u64_e32 v[44:45], v[2:3], v[40:41]
; %bb.84:
	s_or_b32 exec_lo, exec_lo, s0
	s_delay_alu instid0(VALU_DEP_1)
	v_lshl_add_u64 v[44:45], v[44:45], 2, s[10:11]
	s_mov_b32 s0, exec_lo
	global_store_b32 v[44:45], v15, off
                                        ; implicit-def: $vgpr44_vgpr45
	s_wait_xcnt 0x0
	v_cmpx_ge_u32_e64 v38, v16
	s_xor_b32 s0, exec_lo, s0
; %bb.85:
	v_xor_b32_e32 v44, 0xfffffdff, v0
	s_delay_alu instid0(VALU_DEP_1) | instskip(NEXT) | instid1(VALU_DEP_1)
	v_ashrrev_i32_e32 v45, 31, v44
	v_add_nc_u64_e32 v[44:45], v[42:43], v[44:45]
; %bb.86:
	s_and_not1_saveexec_b32 s0, s0
; %bb.87:
	v_add_nc_u64_e32 v[44:45], v[2:3], v[38:39]
; %bb.88:
	s_or_b32 exec_lo, exec_lo, s0
	s_delay_alu instid0(VALU_DEP_1)
	v_lshl_add_u64 v[44:45], v[44:45], 2, s[10:11]
	s_mov_b32 s0, exec_lo
	s_wait_dscnt 0x5
	global_store_b32 v[44:45], v12, off
                                        ; implicit-def: $vgpr44_vgpr45
	s_wait_xcnt 0x0
	v_cmpx_ge_u32_e64 v36, v16
	s_xor_b32 s0, exec_lo, s0
; %bb.89:
	v_xor_b32_e32 v44, 0xfffffcff, v0
	s_delay_alu instid0(VALU_DEP_1) | instskip(NEXT) | instid1(VALU_DEP_1)
	v_ashrrev_i32_e32 v45, 31, v44
	v_add_nc_u64_e32 v[44:45], v[42:43], v[44:45]
; %bb.90:
	s_and_not1_saveexec_b32 s0, s0
; %bb.91:
	v_add_nc_u64_e32 v[44:45], v[2:3], v[36:37]
; %bb.92:
	s_or_b32 exec_lo, exec_lo, s0
	s_delay_alu instid0(VALU_DEP_1)
	v_lshl_add_u64 v[44:45], v[44:45], 2, s[10:11]
	s_mov_b32 s0, exec_lo
	global_store_b32 v[44:45], v13, off
                                        ; implicit-def: $vgpr44_vgpr45
	s_wait_xcnt 0x0
	v_cmpx_ge_u32_e64 v34, v16
	s_xor_b32 s0, exec_lo, s0
; %bb.93:
	v_xor_b32_e32 v44, 0xfffffbff, v0
	;; [unrolled: 39-line block ×6, first 2 shown]
	s_delay_alu instid0(VALU_DEP_1) | instskip(NEXT) | instid1(VALU_DEP_1)
	v_ashrrev_i32_e32 v45, 31, v44
	v_add_nc_u64_e32 v[44:45], v[42:43], v[44:45]
; %bb.126:
	s_and_not1_saveexec_b32 s0, s0
; %bb.127:
	v_add_nc_u64_e32 v[44:45], v[2:3], v[18:19]
; %bb.128:
	s_or_b32 exec_lo, exec_lo, s0
	s_mov_b32 s0, -1
.LBB75_129:
	s_delay_alu instid0(SALU_CYCLE_1)
	s_and_saveexec_b32 s1, s0
	s_cbranch_execz .LBB75_212
.LBB75_130:
	s_delay_alu instid0(VALU_DEP_1)
	v_lshl_add_u64 v[0:1], v[44:45], 2, s[10:11]
	s_wait_dscnt 0x0
	global_store_b32 v[0:1], v46, off
	s_wait_xcnt 0x0
	s_or_b32 exec_lo, exec_lo, s1
	s_and_b32 s0, s2, s9
	s_delay_alu instid0(SALU_CYCLE_1)
	s_and_saveexec_b32 s1, s0
	s_cbranch_execnz .LBB75_213
.LBB75_131:
	s_sendmsg sendmsg(MSG_DEALLOC_VGPRS)
	s_endpgm
.LBB75_132:
	s_mov_b32 s0, 0
                                        ; implicit-def: $vgpr44_vgpr45
	s_cbranch_execz .LBB75_129
; %bb.133:
	s_mov_b32 s15, 0
	v_mov_b32_e32 v17, 0
	s_add_nc_u64 s[4:5], s[16:17], s[14:15]
	s_mov_b32 s1, exec_lo
	s_sub_nc_u64 s[4:5], s[18:19], s[4:5]
	s_delay_alu instid0(VALU_DEP_1) | instid1(SALU_CYCLE_1)
	v_add_nc_u64_e32 v[42:43], s[4:5], v[16:17]
	s_delay_alu instid0(VALU_DEP_1)
	v_add_nc_u64_e32 v[42:43], v[42:43], v[2:3]
	v_cmpx_gt_u32_e64 s22, v0
	s_cbranch_execz .LBB75_169
; %bb.134:
	s_mov_b32 s3, exec_lo
                                        ; implicit-def: $vgpr44_vgpr45
	v_cmpx_ge_u32_e64 v0, v16
	s_xor_b32 s3, exec_lo, s3
; %bb.135:
	v_not_b32_e32 v44, v0
	s_delay_alu instid0(VALU_DEP_1) | instskip(NEXT) | instid1(VALU_DEP_1)
	v_ashrrev_i32_e32 v45, 31, v44
	v_add_nc_u64_e32 v[44:45], v[42:43], v[44:45]
; %bb.136:
	s_and_not1_saveexec_b32 s3, s3
; %bb.137:
	v_add_nc_u64_e32 v[44:45], v[2:3], v[0:1]
; %bb.138:
	s_or_b32 exec_lo, exec_lo, s3
	s_delay_alu instid0(VALU_DEP_1) | instskip(SKIP_4) | instid1(SALU_CYCLE_1)
	v_lshl_add_u64 v[44:45], v[44:45], 2, s[10:11]
	s_wait_dscnt 0x6
	global_store_b32 v[44:45], v14, off
	s_wait_xcnt 0x0
	s_or_b32 exec_lo, exec_lo, s1
	s_mov_b32 s1, exec_lo
	v_cmpx_gt_u32_e64 s22, v40
	s_cbranch_execnz .LBB75_170
.LBB75_139:
	s_or_b32 exec_lo, exec_lo, s1
	s_delay_alu instid0(SALU_CYCLE_1)
	s_mov_b32 s1, exec_lo
	v_cmpx_gt_u32_e64 s22, v38
	s_cbranch_execz .LBB75_175
.LBB75_140:
	s_mov_b32 s3, exec_lo
                                        ; implicit-def: $vgpr14_vgpr15
	v_cmpx_ge_u32_e64 v38, v16
	s_xor_b32 s3, exec_lo, s3
	s_cbranch_execz .LBB75_142
; %bb.141:
	s_wait_dscnt 0x6
	v_xor_b32_e32 v14, 0xfffffdff, v0
                                        ; implicit-def: $vgpr38_vgpr39
	s_delay_alu instid0(VALU_DEP_1) | instskip(NEXT) | instid1(VALU_DEP_1)
	v_ashrrev_i32_e32 v15, 31, v14
	v_add_nc_u64_e32 v[14:15], v[42:43], v[14:15]
.LBB75_142:
	s_and_not1_saveexec_b32 s3, s3
	s_cbranch_execz .LBB75_144
; %bb.143:
	s_wait_dscnt 0x6
	v_add_nc_u64_e32 v[14:15], v[2:3], v[38:39]
.LBB75_144:
	s_or_b32 exec_lo, exec_lo, s3
	s_wait_dscnt 0x6
	s_delay_alu instid0(VALU_DEP_1) | instskip(SKIP_4) | instid1(SALU_CYCLE_1)
	v_lshl_add_u64 v[14:15], v[14:15], 2, s[10:11]
	s_wait_dscnt 0x5
	global_store_b32 v[14:15], v12, off
	s_wait_xcnt 0x0
	s_or_b32 exec_lo, exec_lo, s1
	s_mov_b32 s1, exec_lo
	v_cmpx_gt_u32_e64 s22, v36
	s_cbranch_execnz .LBB75_176
.LBB75_145:
	s_or_b32 exec_lo, exec_lo, s1
	s_delay_alu instid0(SALU_CYCLE_1)
	s_mov_b32 s1, exec_lo
	v_cmpx_gt_u32_e64 s22, v34
	s_cbranch_execz .LBB75_181
.LBB75_146:
	s_mov_b32 s3, exec_lo
                                        ; implicit-def: $vgpr12_vgpr13
	v_cmpx_ge_u32_e64 v34, v16
	s_xor_b32 s3, exec_lo, s3
	s_cbranch_execz .LBB75_148
; %bb.147:
	s_wait_dscnt 0x5
	v_xor_b32_e32 v12, 0xfffffbff, v0
                                        ; implicit-def: $vgpr34_vgpr35
	s_delay_alu instid0(VALU_DEP_1) | instskip(NEXT) | instid1(VALU_DEP_1)
	v_ashrrev_i32_e32 v13, 31, v12
	v_add_nc_u64_e32 v[12:13], v[42:43], v[12:13]
.LBB75_148:
	s_and_not1_saveexec_b32 s3, s3
	s_cbranch_execz .LBB75_150
; %bb.149:
	s_wait_dscnt 0x5
	v_add_nc_u64_e32 v[12:13], v[2:3], v[34:35]
.LBB75_150:
	s_or_b32 exec_lo, exec_lo, s3
	s_wait_dscnt 0x5
	s_delay_alu instid0(VALU_DEP_1) | instskip(SKIP_4) | instid1(SALU_CYCLE_1)
	v_lshl_add_u64 v[12:13], v[12:13], 2, s[10:11]
	s_wait_dscnt 0x4
	global_store_b32 v[12:13], v10, off
	s_wait_xcnt 0x0
	s_or_b32 exec_lo, exec_lo, s1
	s_mov_b32 s1, exec_lo
	v_cmpx_gt_u32_e64 s22, v32
	s_cbranch_execnz .LBB75_182
.LBB75_151:
	s_or_b32 exec_lo, exec_lo, s1
	s_delay_alu instid0(SALU_CYCLE_1)
	s_mov_b32 s1, exec_lo
	v_cmpx_gt_u32_e64 s22, v30
	s_cbranch_execz .LBB75_187
.LBB75_152:
	s_mov_b32 s3, exec_lo
                                        ; implicit-def: $vgpr10_vgpr11
	v_cmpx_ge_u32_e64 v30, v16
	s_xor_b32 s3, exec_lo, s3
	s_cbranch_execz .LBB75_154
; %bb.153:
	s_wait_dscnt 0x4
	v_xor_b32_e32 v10, 0xfffff9ff, v0
                                        ; implicit-def: $vgpr30_vgpr31
	s_delay_alu instid0(VALU_DEP_1) | instskip(NEXT) | instid1(VALU_DEP_1)
	v_ashrrev_i32_e32 v11, 31, v10
	v_add_nc_u64_e32 v[10:11], v[42:43], v[10:11]
.LBB75_154:
	s_and_not1_saveexec_b32 s3, s3
	s_cbranch_execz .LBB75_156
; %bb.155:
	s_wait_dscnt 0x4
	v_add_nc_u64_e32 v[10:11], v[2:3], v[30:31]
.LBB75_156:
	s_or_b32 exec_lo, exec_lo, s3
	s_wait_dscnt 0x4
	s_delay_alu instid0(VALU_DEP_1) | instskip(SKIP_4) | instid1(SALU_CYCLE_1)
	v_lshl_add_u64 v[10:11], v[10:11], 2, s[10:11]
	s_wait_dscnt 0x3
	global_store_b32 v[10:11], v8, off
	s_wait_xcnt 0x0
	s_or_b32 exec_lo, exec_lo, s1
	s_mov_b32 s1, exec_lo
	v_cmpx_gt_u32_e64 s22, v28
	s_cbranch_execnz .LBB75_188
.LBB75_157:
	s_or_b32 exec_lo, exec_lo, s1
	s_delay_alu instid0(SALU_CYCLE_1)
	s_mov_b32 s1, exec_lo
	v_cmpx_gt_u32_e64 s22, v26
	s_cbranch_execz .LBB75_193
.LBB75_158:
	s_mov_b32 s3, exec_lo
                                        ; implicit-def: $vgpr8_vgpr9
	v_cmpx_ge_u32_e64 v26, v16
	s_xor_b32 s3, exec_lo, s3
	s_cbranch_execz .LBB75_160
; %bb.159:
	s_wait_dscnt 0x3
	v_xor_b32_e32 v8, 0xfffff7ff, v0
                                        ; implicit-def: $vgpr26_vgpr27
	s_delay_alu instid0(VALU_DEP_1) | instskip(NEXT) | instid1(VALU_DEP_1)
	v_ashrrev_i32_e32 v9, 31, v8
	v_add_nc_u64_e32 v[8:9], v[42:43], v[8:9]
.LBB75_160:
	s_and_not1_saveexec_b32 s3, s3
	s_cbranch_execz .LBB75_162
; %bb.161:
	s_wait_dscnt 0x3
	v_add_nc_u64_e32 v[8:9], v[2:3], v[26:27]
.LBB75_162:
	s_or_b32 exec_lo, exec_lo, s3
	s_wait_dscnt 0x3
	s_delay_alu instid0(VALU_DEP_1) | instskip(SKIP_4) | instid1(SALU_CYCLE_1)
	v_lshl_add_u64 v[8:9], v[8:9], 2, s[10:11]
	s_wait_dscnt 0x2
	global_store_b32 v[8:9], v6, off
	s_wait_xcnt 0x0
	s_or_b32 exec_lo, exec_lo, s1
	s_mov_b32 s1, exec_lo
	v_cmpx_gt_u32_e64 s22, v24
	s_cbranch_execnz .LBB75_194
.LBB75_163:
	s_or_b32 exec_lo, exec_lo, s1
	s_delay_alu instid0(SALU_CYCLE_1)
	s_mov_b32 s1, exec_lo
	v_cmpx_gt_u32_e64 s22, v22
	s_cbranch_execz .LBB75_199
.LBB75_164:
	s_mov_b32 s3, exec_lo
                                        ; implicit-def: $vgpr6_vgpr7
	v_cmpx_ge_u32_e64 v22, v16
	s_xor_b32 s3, exec_lo, s3
	s_cbranch_execz .LBB75_166
; %bb.165:
	s_wait_dscnt 0x2
	v_xor_b32_e32 v6, 0xfffff5ff, v0
                                        ; implicit-def: $vgpr22_vgpr23
	s_delay_alu instid0(VALU_DEP_1) | instskip(NEXT) | instid1(VALU_DEP_1)
	v_ashrrev_i32_e32 v7, 31, v6
	v_add_nc_u64_e32 v[6:7], v[42:43], v[6:7]
.LBB75_166:
	s_and_not1_saveexec_b32 s3, s3
	s_cbranch_execz .LBB75_168
; %bb.167:
	s_wait_dscnt 0x2
	v_add_nc_u64_e32 v[6:7], v[2:3], v[22:23]
.LBB75_168:
	s_or_b32 exec_lo, exec_lo, s3
	s_wait_dscnt 0x2
	s_delay_alu instid0(VALU_DEP_1) | instskip(SKIP_4) | instid1(SALU_CYCLE_1)
	v_lshl_add_u64 v[6:7], v[6:7], 2, s[10:11]
	s_wait_dscnt 0x1
	global_store_b32 v[6:7], v4, off
	s_wait_xcnt 0x0
	s_or_b32 exec_lo, exec_lo, s1
	s_mov_b32 s1, exec_lo
	v_cmpx_gt_u32_e64 s22, v20
	s_cbranch_execz .LBB75_205
	s_branch .LBB75_200
.LBB75_169:
	s_or_b32 exec_lo, exec_lo, s1
	s_delay_alu instid0(SALU_CYCLE_1)
	s_mov_b32 s1, exec_lo
	v_cmpx_gt_u32_e64 s22, v40
	s_cbranch_execz .LBB75_139
.LBB75_170:
	s_mov_b32 s3, exec_lo
                                        ; implicit-def: $vgpr44_vgpr45
	v_cmpx_ge_u32_e64 v40, v16
	s_xor_b32 s3, exec_lo, s3
; %bb.171:
	v_xor_b32_e32 v40, 0xfffffeff, v0
	s_delay_alu instid0(VALU_DEP_1) | instskip(NEXT) | instid1(VALU_DEP_1)
	v_ashrrev_i32_e32 v41, 31, v40
	v_add_nc_u64_e32 v[44:45], v[42:43], v[40:41]
                                        ; implicit-def: $vgpr40_vgpr41
; %bb.172:
	s_and_not1_saveexec_b32 s3, s3
; %bb.173:
	v_add_nc_u64_e32 v[44:45], v[2:3], v[40:41]
; %bb.174:
	s_or_b32 exec_lo, exec_lo, s3
	s_delay_alu instid0(VALU_DEP_1) | instskip(SKIP_4) | instid1(SALU_CYCLE_1)
	v_lshl_add_u64 v[40:41], v[44:45], 2, s[10:11]
	s_wait_dscnt 0x6
	global_store_b32 v[40:41], v15, off
	s_wait_xcnt 0x0
	s_or_b32 exec_lo, exec_lo, s1
	s_mov_b32 s1, exec_lo
	v_cmpx_gt_u32_e64 s22, v38
	s_cbranch_execnz .LBB75_140
.LBB75_175:
	s_or_b32 exec_lo, exec_lo, s1
	s_delay_alu instid0(SALU_CYCLE_1)
	s_mov_b32 s1, exec_lo
	v_cmpx_gt_u32_e64 s22, v36
	s_cbranch_execz .LBB75_145
.LBB75_176:
	s_mov_b32 s3, exec_lo
                                        ; implicit-def: $vgpr14_vgpr15
	v_cmpx_ge_u32_e64 v36, v16
	s_xor_b32 s3, exec_lo, s3
	s_cbranch_execz .LBB75_178
; %bb.177:
	s_wait_dscnt 0x6
	v_xor_b32_e32 v14, 0xfffffcff, v0
                                        ; implicit-def: $vgpr36_vgpr37
	s_delay_alu instid0(VALU_DEP_1) | instskip(NEXT) | instid1(VALU_DEP_1)
	v_ashrrev_i32_e32 v15, 31, v14
	v_add_nc_u64_e32 v[14:15], v[42:43], v[14:15]
.LBB75_178:
	s_and_not1_saveexec_b32 s3, s3
	s_cbranch_execz .LBB75_180
; %bb.179:
	s_wait_dscnt 0x6
	v_add_nc_u64_e32 v[14:15], v[2:3], v[36:37]
.LBB75_180:
	s_or_b32 exec_lo, exec_lo, s3
	s_wait_dscnt 0x6
	s_delay_alu instid0(VALU_DEP_1) | instskip(SKIP_4) | instid1(SALU_CYCLE_1)
	v_lshl_add_u64 v[14:15], v[14:15], 2, s[10:11]
	s_wait_dscnt 0x5
	global_store_b32 v[14:15], v13, off
	s_wait_xcnt 0x0
	s_or_b32 exec_lo, exec_lo, s1
	s_mov_b32 s1, exec_lo
	v_cmpx_gt_u32_e64 s22, v34
	s_cbranch_execnz .LBB75_146
.LBB75_181:
	s_or_b32 exec_lo, exec_lo, s1
	s_delay_alu instid0(SALU_CYCLE_1)
	s_mov_b32 s1, exec_lo
	v_cmpx_gt_u32_e64 s22, v32
	s_cbranch_execz .LBB75_151
.LBB75_182:
	s_mov_b32 s3, exec_lo
                                        ; implicit-def: $vgpr12_vgpr13
	v_cmpx_ge_u32_e64 v32, v16
	s_xor_b32 s3, exec_lo, s3
	s_cbranch_execz .LBB75_184
; %bb.183:
	s_wait_dscnt 0x5
	v_xor_b32_e32 v12, 0xfffffaff, v0
                                        ; implicit-def: $vgpr32_vgpr33
	s_delay_alu instid0(VALU_DEP_1) | instskip(NEXT) | instid1(VALU_DEP_1)
	v_ashrrev_i32_e32 v13, 31, v12
	v_add_nc_u64_e32 v[12:13], v[42:43], v[12:13]
.LBB75_184:
	s_and_not1_saveexec_b32 s3, s3
	s_cbranch_execz .LBB75_186
; %bb.185:
	s_wait_dscnt 0x5
	v_add_nc_u64_e32 v[12:13], v[2:3], v[32:33]
.LBB75_186:
	s_or_b32 exec_lo, exec_lo, s3
	s_wait_dscnt 0x5
	s_delay_alu instid0(VALU_DEP_1) | instskip(SKIP_4) | instid1(SALU_CYCLE_1)
	v_lshl_add_u64 v[12:13], v[12:13], 2, s[10:11]
	s_wait_dscnt 0x4
	global_store_b32 v[12:13], v11, off
	s_wait_xcnt 0x0
	s_or_b32 exec_lo, exec_lo, s1
	s_mov_b32 s1, exec_lo
	v_cmpx_gt_u32_e64 s22, v30
	s_cbranch_execnz .LBB75_152
.LBB75_187:
	s_or_b32 exec_lo, exec_lo, s1
	s_delay_alu instid0(SALU_CYCLE_1)
	s_mov_b32 s1, exec_lo
	v_cmpx_gt_u32_e64 s22, v28
	s_cbranch_execz .LBB75_157
.LBB75_188:
	s_mov_b32 s3, exec_lo
                                        ; implicit-def: $vgpr10_vgpr11
	v_cmpx_ge_u32_e64 v28, v16
	s_xor_b32 s3, exec_lo, s3
	s_cbranch_execz .LBB75_190
; %bb.189:
	s_wait_dscnt 0x4
	v_xor_b32_e32 v10, 0xfffff8ff, v0
                                        ; implicit-def: $vgpr28_vgpr29
	s_delay_alu instid0(VALU_DEP_1) | instskip(NEXT) | instid1(VALU_DEP_1)
	v_ashrrev_i32_e32 v11, 31, v10
	v_add_nc_u64_e32 v[10:11], v[42:43], v[10:11]
.LBB75_190:
	s_and_not1_saveexec_b32 s3, s3
	s_cbranch_execz .LBB75_192
; %bb.191:
	s_wait_dscnt 0x4
	v_add_nc_u64_e32 v[10:11], v[2:3], v[28:29]
.LBB75_192:
	s_or_b32 exec_lo, exec_lo, s3
	s_wait_dscnt 0x4
	s_delay_alu instid0(VALU_DEP_1) | instskip(SKIP_4) | instid1(SALU_CYCLE_1)
	v_lshl_add_u64 v[10:11], v[10:11], 2, s[10:11]
	s_wait_dscnt 0x3
	global_store_b32 v[10:11], v9, off
	s_wait_xcnt 0x0
	s_or_b32 exec_lo, exec_lo, s1
	s_mov_b32 s1, exec_lo
	v_cmpx_gt_u32_e64 s22, v26
	s_cbranch_execnz .LBB75_158
.LBB75_193:
	s_or_b32 exec_lo, exec_lo, s1
	s_delay_alu instid0(SALU_CYCLE_1)
	s_mov_b32 s1, exec_lo
	v_cmpx_gt_u32_e64 s22, v24
	s_cbranch_execz .LBB75_163
.LBB75_194:
	s_mov_b32 s3, exec_lo
                                        ; implicit-def: $vgpr8_vgpr9
	v_cmpx_ge_u32_e64 v24, v16
	s_xor_b32 s3, exec_lo, s3
	s_cbranch_execz .LBB75_196
; %bb.195:
	s_wait_dscnt 0x3
	v_xor_b32_e32 v8, 0xfffff6ff, v0
                                        ; implicit-def: $vgpr24_vgpr25
	s_delay_alu instid0(VALU_DEP_1) | instskip(NEXT) | instid1(VALU_DEP_1)
	v_ashrrev_i32_e32 v9, 31, v8
	v_add_nc_u64_e32 v[8:9], v[42:43], v[8:9]
.LBB75_196:
	s_and_not1_saveexec_b32 s3, s3
	s_cbranch_execz .LBB75_198
; %bb.197:
	s_wait_dscnt 0x3
	v_add_nc_u64_e32 v[8:9], v[2:3], v[24:25]
.LBB75_198:
	s_or_b32 exec_lo, exec_lo, s3
	s_wait_dscnt 0x3
	s_delay_alu instid0(VALU_DEP_1) | instskip(SKIP_4) | instid1(SALU_CYCLE_1)
	v_lshl_add_u64 v[8:9], v[8:9], 2, s[10:11]
	s_wait_dscnt 0x2
	global_store_b32 v[8:9], v7, off
	s_wait_xcnt 0x0
	s_or_b32 exec_lo, exec_lo, s1
	s_mov_b32 s1, exec_lo
	v_cmpx_gt_u32_e64 s22, v22
	s_cbranch_execnz .LBB75_164
.LBB75_199:
	s_or_b32 exec_lo, exec_lo, s1
	s_delay_alu instid0(SALU_CYCLE_1)
	s_mov_b32 s1, exec_lo
	v_cmpx_gt_u32_e64 s22, v20
	s_cbranch_execz .LBB75_205
.LBB75_200:
	s_mov_b32 s3, exec_lo
                                        ; implicit-def: $vgpr6_vgpr7
	v_cmpx_ge_u32_e64 v20, v16
	s_xor_b32 s3, exec_lo, s3
	s_cbranch_execz .LBB75_202
; %bb.201:
	s_wait_dscnt 0x2
	v_xor_b32_e32 v6, 0xfffff4ff, v0
                                        ; implicit-def: $vgpr20_vgpr21
	s_delay_alu instid0(VALU_DEP_1) | instskip(NEXT) | instid1(VALU_DEP_1)
	v_ashrrev_i32_e32 v7, 31, v6
	v_add_nc_u64_e32 v[6:7], v[42:43], v[6:7]
.LBB75_202:
	s_and_not1_saveexec_b32 s3, s3
	s_cbranch_execz .LBB75_204
; %bb.203:
	s_wait_dscnt 0x2
	v_add_nc_u64_e32 v[6:7], v[2:3], v[20:21]
.LBB75_204:
	s_or_b32 exec_lo, exec_lo, s3
	s_wait_dscnt 0x2
	s_delay_alu instid0(VALU_DEP_1)
	v_lshl_add_u64 v[6:7], v[6:7], 2, s[10:11]
	s_wait_dscnt 0x1
	global_store_b32 v[6:7], v5, off
.LBB75_205:
	s_wait_xcnt 0x0
	s_or_b32 exec_lo, exec_lo, s1
	s_delay_alu instid0(SALU_CYCLE_1)
	s_mov_b32 s1, exec_lo
                                        ; implicit-def: $vgpr44_vgpr45
	v_cmpx_gt_u32_e64 s22, v18
	s_cbranch_execz .LBB75_211
; %bb.206:
	s_mov_b32 s3, exec_lo
                                        ; implicit-def: $vgpr44_vgpr45
	v_cmpx_ge_u32_e64 v18, v16
	s_xor_b32 s3, exec_lo, s3
; %bb.207:
	v_xor_b32_e32 v0, 0xfffff3ff, v0
                                        ; implicit-def: $vgpr18_vgpr19
	s_delay_alu instid0(VALU_DEP_1) | instskip(NEXT) | instid1(VALU_DEP_1)
	v_ashrrev_i32_e32 v1, 31, v0
	v_add_nc_u64_e32 v[44:45], v[42:43], v[0:1]
; %bb.208:
	s_and_not1_saveexec_b32 s3, s3
; %bb.209:
	v_add_nc_u64_e32 v[44:45], v[2:3], v[18:19]
; %bb.210:
	s_or_b32 exec_lo, exec_lo, s3
	s_delay_alu instid0(SALU_CYCLE_1)
	s_or_b32 s0, s0, exec_lo
.LBB75_211:
	s_or_b32 exec_lo, exec_lo, s1
	s_and_saveexec_b32 s1, s0
	s_cbranch_execnz .LBB75_130
.LBB75_212:
	s_or_b32 exec_lo, exec_lo, s1
	s_and_b32 s0, s2, s9
	s_delay_alu instid0(SALU_CYCLE_1)
	s_and_saveexec_b32 s1, s0
	s_cbranch_execz .LBB75_131
.LBB75_213:
	v_mov_b32_e32 v17, 0
	s_delay_alu instid0(VALU_DEP_1)
	v_add_nc_u64_e32 v[0:1], v[2:3], v[16:17]
	global_store_b64 v17, v[0:1], s[12:13]
	s_sendmsg sendmsg(MSG_DEALLOC_VGPRS)
	s_endpgm
	.section	.rodata,"a",@progbits
	.p2align	6, 0x0
	.amdhsa_kernel _ZN7rocprim17ROCPRIM_400000_NS6detail17trampoline_kernelINS0_13select_configILj256ELj13ELNS0_17block_load_methodE3ELS4_3ELS4_3ELNS0_20block_scan_algorithmE0ELj4294967295EEENS1_25partition_config_selectorILNS1_17partition_subalgoE3EjNS0_10empty_typeEbEEZZNS1_14partition_implILS8_3ELb0ES6_jNS0_17counting_iteratorIjlEEPS9_SE_NS0_5tupleIJPjSE_EEENSF_IJSE_SE_EEES9_SG_JZNS1_25segmented_radix_sort_implINS0_14default_configELb1EPKhPhPKlPlN2at6native12_GLOBAL__N_18offset_tEEE10hipError_tPvRmT1_PNSt15iterator_traitsISY_E10value_typeET2_T3_PNSZ_IS14_E10value_typeET4_jRbjT5_S1A_jjP12ihipStream_tbEUljE_EEESV_SW_SX_S14_S18_S1A_T6_T7_T9_mT8_S1C_bDpT10_ENKUlT_T0_E_clISt17integral_constantIbLb0EES1O_IbLb1EEEEDaS1K_S1L_EUlS1K_E_NS1_11comp_targetILNS1_3genE0ELNS1_11target_archE4294967295ELNS1_3gpuE0ELNS1_3repE0EEENS1_30default_config_static_selectorELNS0_4arch9wavefront6targetE0EEEvSY_
		.amdhsa_group_segment_fixed_size 13320
		.amdhsa_private_segment_fixed_size 0
		.amdhsa_kernarg_size 152
		.amdhsa_user_sgpr_count 2
		.amdhsa_user_sgpr_dispatch_ptr 0
		.amdhsa_user_sgpr_queue_ptr 0
		.amdhsa_user_sgpr_kernarg_segment_ptr 1
		.amdhsa_user_sgpr_dispatch_id 0
		.amdhsa_user_sgpr_kernarg_preload_length 0
		.amdhsa_user_sgpr_kernarg_preload_offset 0
		.amdhsa_user_sgpr_private_segment_size 0
		.amdhsa_wavefront_size32 1
		.amdhsa_uses_dynamic_stack 0
		.amdhsa_enable_private_segment 0
		.amdhsa_system_sgpr_workgroup_id_x 1
		.amdhsa_system_sgpr_workgroup_id_y 0
		.amdhsa_system_sgpr_workgroup_id_z 0
		.amdhsa_system_sgpr_workgroup_info 0
		.amdhsa_system_vgpr_workitem_id 0
		.amdhsa_next_free_vgpr 72
		.amdhsa_next_free_sgpr 24
		.amdhsa_named_barrier_count 0
		.amdhsa_reserve_vcc 1
		.amdhsa_float_round_mode_32 0
		.amdhsa_float_round_mode_16_64 0
		.amdhsa_float_denorm_mode_32 3
		.amdhsa_float_denorm_mode_16_64 3
		.amdhsa_fp16_overflow 0
		.amdhsa_memory_ordered 1
		.amdhsa_forward_progress 1
		.amdhsa_inst_pref_size 71
		.amdhsa_round_robin_scheduling 0
		.amdhsa_exception_fp_ieee_invalid_op 0
		.amdhsa_exception_fp_denorm_src 0
		.amdhsa_exception_fp_ieee_div_zero 0
		.amdhsa_exception_fp_ieee_overflow 0
		.amdhsa_exception_fp_ieee_underflow 0
		.amdhsa_exception_fp_ieee_inexact 0
		.amdhsa_exception_int_div_zero 0
	.end_amdhsa_kernel
	.section	.text._ZN7rocprim17ROCPRIM_400000_NS6detail17trampoline_kernelINS0_13select_configILj256ELj13ELNS0_17block_load_methodE3ELS4_3ELS4_3ELNS0_20block_scan_algorithmE0ELj4294967295EEENS1_25partition_config_selectorILNS1_17partition_subalgoE3EjNS0_10empty_typeEbEEZZNS1_14partition_implILS8_3ELb0ES6_jNS0_17counting_iteratorIjlEEPS9_SE_NS0_5tupleIJPjSE_EEENSF_IJSE_SE_EEES9_SG_JZNS1_25segmented_radix_sort_implINS0_14default_configELb1EPKhPhPKlPlN2at6native12_GLOBAL__N_18offset_tEEE10hipError_tPvRmT1_PNSt15iterator_traitsISY_E10value_typeET2_T3_PNSZ_IS14_E10value_typeET4_jRbjT5_S1A_jjP12ihipStream_tbEUljE_EEESV_SW_SX_S14_S18_S1A_T6_T7_T9_mT8_S1C_bDpT10_ENKUlT_T0_E_clISt17integral_constantIbLb0EES1O_IbLb1EEEEDaS1K_S1L_EUlS1K_E_NS1_11comp_targetILNS1_3genE0ELNS1_11target_archE4294967295ELNS1_3gpuE0ELNS1_3repE0EEENS1_30default_config_static_selectorELNS0_4arch9wavefront6targetE0EEEvSY_,"axG",@progbits,_ZN7rocprim17ROCPRIM_400000_NS6detail17trampoline_kernelINS0_13select_configILj256ELj13ELNS0_17block_load_methodE3ELS4_3ELS4_3ELNS0_20block_scan_algorithmE0ELj4294967295EEENS1_25partition_config_selectorILNS1_17partition_subalgoE3EjNS0_10empty_typeEbEEZZNS1_14partition_implILS8_3ELb0ES6_jNS0_17counting_iteratorIjlEEPS9_SE_NS0_5tupleIJPjSE_EEENSF_IJSE_SE_EEES9_SG_JZNS1_25segmented_radix_sort_implINS0_14default_configELb1EPKhPhPKlPlN2at6native12_GLOBAL__N_18offset_tEEE10hipError_tPvRmT1_PNSt15iterator_traitsISY_E10value_typeET2_T3_PNSZ_IS14_E10value_typeET4_jRbjT5_S1A_jjP12ihipStream_tbEUljE_EEESV_SW_SX_S14_S18_S1A_T6_T7_T9_mT8_S1C_bDpT10_ENKUlT_T0_E_clISt17integral_constantIbLb0EES1O_IbLb1EEEEDaS1K_S1L_EUlS1K_E_NS1_11comp_targetILNS1_3genE0ELNS1_11target_archE4294967295ELNS1_3gpuE0ELNS1_3repE0EEENS1_30default_config_static_selectorELNS0_4arch9wavefront6targetE0EEEvSY_,comdat
.Lfunc_end75:
	.size	_ZN7rocprim17ROCPRIM_400000_NS6detail17trampoline_kernelINS0_13select_configILj256ELj13ELNS0_17block_load_methodE3ELS4_3ELS4_3ELNS0_20block_scan_algorithmE0ELj4294967295EEENS1_25partition_config_selectorILNS1_17partition_subalgoE3EjNS0_10empty_typeEbEEZZNS1_14partition_implILS8_3ELb0ES6_jNS0_17counting_iteratorIjlEEPS9_SE_NS0_5tupleIJPjSE_EEENSF_IJSE_SE_EEES9_SG_JZNS1_25segmented_radix_sort_implINS0_14default_configELb1EPKhPhPKlPlN2at6native12_GLOBAL__N_18offset_tEEE10hipError_tPvRmT1_PNSt15iterator_traitsISY_E10value_typeET2_T3_PNSZ_IS14_E10value_typeET4_jRbjT5_S1A_jjP12ihipStream_tbEUljE_EEESV_SW_SX_S14_S18_S1A_T6_T7_T9_mT8_S1C_bDpT10_ENKUlT_T0_E_clISt17integral_constantIbLb0EES1O_IbLb1EEEEDaS1K_S1L_EUlS1K_E_NS1_11comp_targetILNS1_3genE0ELNS1_11target_archE4294967295ELNS1_3gpuE0ELNS1_3repE0EEENS1_30default_config_static_selectorELNS0_4arch9wavefront6targetE0EEEvSY_, .Lfunc_end75-_ZN7rocprim17ROCPRIM_400000_NS6detail17trampoline_kernelINS0_13select_configILj256ELj13ELNS0_17block_load_methodE3ELS4_3ELS4_3ELNS0_20block_scan_algorithmE0ELj4294967295EEENS1_25partition_config_selectorILNS1_17partition_subalgoE3EjNS0_10empty_typeEbEEZZNS1_14partition_implILS8_3ELb0ES6_jNS0_17counting_iteratorIjlEEPS9_SE_NS0_5tupleIJPjSE_EEENSF_IJSE_SE_EEES9_SG_JZNS1_25segmented_radix_sort_implINS0_14default_configELb1EPKhPhPKlPlN2at6native12_GLOBAL__N_18offset_tEEE10hipError_tPvRmT1_PNSt15iterator_traitsISY_E10value_typeET2_T3_PNSZ_IS14_E10value_typeET4_jRbjT5_S1A_jjP12ihipStream_tbEUljE_EEESV_SW_SX_S14_S18_S1A_T6_T7_T9_mT8_S1C_bDpT10_ENKUlT_T0_E_clISt17integral_constantIbLb0EES1O_IbLb1EEEEDaS1K_S1L_EUlS1K_E_NS1_11comp_targetILNS1_3genE0ELNS1_11target_archE4294967295ELNS1_3gpuE0ELNS1_3repE0EEENS1_30default_config_static_selectorELNS0_4arch9wavefront6targetE0EEEvSY_
                                        ; -- End function
	.set _ZN7rocprim17ROCPRIM_400000_NS6detail17trampoline_kernelINS0_13select_configILj256ELj13ELNS0_17block_load_methodE3ELS4_3ELS4_3ELNS0_20block_scan_algorithmE0ELj4294967295EEENS1_25partition_config_selectorILNS1_17partition_subalgoE3EjNS0_10empty_typeEbEEZZNS1_14partition_implILS8_3ELb0ES6_jNS0_17counting_iteratorIjlEEPS9_SE_NS0_5tupleIJPjSE_EEENSF_IJSE_SE_EEES9_SG_JZNS1_25segmented_radix_sort_implINS0_14default_configELb1EPKhPhPKlPlN2at6native12_GLOBAL__N_18offset_tEEE10hipError_tPvRmT1_PNSt15iterator_traitsISY_E10value_typeET2_T3_PNSZ_IS14_E10value_typeET4_jRbjT5_S1A_jjP12ihipStream_tbEUljE_EEESV_SW_SX_S14_S18_S1A_T6_T7_T9_mT8_S1C_bDpT10_ENKUlT_T0_E_clISt17integral_constantIbLb0EES1O_IbLb1EEEEDaS1K_S1L_EUlS1K_E_NS1_11comp_targetILNS1_3genE0ELNS1_11target_archE4294967295ELNS1_3gpuE0ELNS1_3repE0EEENS1_30default_config_static_selectorELNS0_4arch9wavefront6targetE0EEEvSY_.num_vgpr, 72
	.set _ZN7rocprim17ROCPRIM_400000_NS6detail17trampoline_kernelINS0_13select_configILj256ELj13ELNS0_17block_load_methodE3ELS4_3ELS4_3ELNS0_20block_scan_algorithmE0ELj4294967295EEENS1_25partition_config_selectorILNS1_17partition_subalgoE3EjNS0_10empty_typeEbEEZZNS1_14partition_implILS8_3ELb0ES6_jNS0_17counting_iteratorIjlEEPS9_SE_NS0_5tupleIJPjSE_EEENSF_IJSE_SE_EEES9_SG_JZNS1_25segmented_radix_sort_implINS0_14default_configELb1EPKhPhPKlPlN2at6native12_GLOBAL__N_18offset_tEEE10hipError_tPvRmT1_PNSt15iterator_traitsISY_E10value_typeET2_T3_PNSZ_IS14_E10value_typeET4_jRbjT5_S1A_jjP12ihipStream_tbEUljE_EEESV_SW_SX_S14_S18_S1A_T6_T7_T9_mT8_S1C_bDpT10_ENKUlT_T0_E_clISt17integral_constantIbLb0EES1O_IbLb1EEEEDaS1K_S1L_EUlS1K_E_NS1_11comp_targetILNS1_3genE0ELNS1_11target_archE4294967295ELNS1_3gpuE0ELNS1_3repE0EEENS1_30default_config_static_selectorELNS0_4arch9wavefront6targetE0EEEvSY_.num_agpr, 0
	.set _ZN7rocprim17ROCPRIM_400000_NS6detail17trampoline_kernelINS0_13select_configILj256ELj13ELNS0_17block_load_methodE3ELS4_3ELS4_3ELNS0_20block_scan_algorithmE0ELj4294967295EEENS1_25partition_config_selectorILNS1_17partition_subalgoE3EjNS0_10empty_typeEbEEZZNS1_14partition_implILS8_3ELb0ES6_jNS0_17counting_iteratorIjlEEPS9_SE_NS0_5tupleIJPjSE_EEENSF_IJSE_SE_EEES9_SG_JZNS1_25segmented_radix_sort_implINS0_14default_configELb1EPKhPhPKlPlN2at6native12_GLOBAL__N_18offset_tEEE10hipError_tPvRmT1_PNSt15iterator_traitsISY_E10value_typeET2_T3_PNSZ_IS14_E10value_typeET4_jRbjT5_S1A_jjP12ihipStream_tbEUljE_EEESV_SW_SX_S14_S18_S1A_T6_T7_T9_mT8_S1C_bDpT10_ENKUlT_T0_E_clISt17integral_constantIbLb0EES1O_IbLb1EEEEDaS1K_S1L_EUlS1K_E_NS1_11comp_targetILNS1_3genE0ELNS1_11target_archE4294967295ELNS1_3gpuE0ELNS1_3repE0EEENS1_30default_config_static_selectorELNS0_4arch9wavefront6targetE0EEEvSY_.numbered_sgpr, 24
	.set _ZN7rocprim17ROCPRIM_400000_NS6detail17trampoline_kernelINS0_13select_configILj256ELj13ELNS0_17block_load_methodE3ELS4_3ELS4_3ELNS0_20block_scan_algorithmE0ELj4294967295EEENS1_25partition_config_selectorILNS1_17partition_subalgoE3EjNS0_10empty_typeEbEEZZNS1_14partition_implILS8_3ELb0ES6_jNS0_17counting_iteratorIjlEEPS9_SE_NS0_5tupleIJPjSE_EEENSF_IJSE_SE_EEES9_SG_JZNS1_25segmented_radix_sort_implINS0_14default_configELb1EPKhPhPKlPlN2at6native12_GLOBAL__N_18offset_tEEE10hipError_tPvRmT1_PNSt15iterator_traitsISY_E10value_typeET2_T3_PNSZ_IS14_E10value_typeET4_jRbjT5_S1A_jjP12ihipStream_tbEUljE_EEESV_SW_SX_S14_S18_S1A_T6_T7_T9_mT8_S1C_bDpT10_ENKUlT_T0_E_clISt17integral_constantIbLb0EES1O_IbLb1EEEEDaS1K_S1L_EUlS1K_E_NS1_11comp_targetILNS1_3genE0ELNS1_11target_archE4294967295ELNS1_3gpuE0ELNS1_3repE0EEENS1_30default_config_static_selectorELNS0_4arch9wavefront6targetE0EEEvSY_.num_named_barrier, 0
	.set _ZN7rocprim17ROCPRIM_400000_NS6detail17trampoline_kernelINS0_13select_configILj256ELj13ELNS0_17block_load_methodE3ELS4_3ELS4_3ELNS0_20block_scan_algorithmE0ELj4294967295EEENS1_25partition_config_selectorILNS1_17partition_subalgoE3EjNS0_10empty_typeEbEEZZNS1_14partition_implILS8_3ELb0ES6_jNS0_17counting_iteratorIjlEEPS9_SE_NS0_5tupleIJPjSE_EEENSF_IJSE_SE_EEES9_SG_JZNS1_25segmented_radix_sort_implINS0_14default_configELb1EPKhPhPKlPlN2at6native12_GLOBAL__N_18offset_tEEE10hipError_tPvRmT1_PNSt15iterator_traitsISY_E10value_typeET2_T3_PNSZ_IS14_E10value_typeET4_jRbjT5_S1A_jjP12ihipStream_tbEUljE_EEESV_SW_SX_S14_S18_S1A_T6_T7_T9_mT8_S1C_bDpT10_ENKUlT_T0_E_clISt17integral_constantIbLb0EES1O_IbLb1EEEEDaS1K_S1L_EUlS1K_E_NS1_11comp_targetILNS1_3genE0ELNS1_11target_archE4294967295ELNS1_3gpuE0ELNS1_3repE0EEENS1_30default_config_static_selectorELNS0_4arch9wavefront6targetE0EEEvSY_.private_seg_size, 0
	.set _ZN7rocprim17ROCPRIM_400000_NS6detail17trampoline_kernelINS0_13select_configILj256ELj13ELNS0_17block_load_methodE3ELS4_3ELS4_3ELNS0_20block_scan_algorithmE0ELj4294967295EEENS1_25partition_config_selectorILNS1_17partition_subalgoE3EjNS0_10empty_typeEbEEZZNS1_14partition_implILS8_3ELb0ES6_jNS0_17counting_iteratorIjlEEPS9_SE_NS0_5tupleIJPjSE_EEENSF_IJSE_SE_EEES9_SG_JZNS1_25segmented_radix_sort_implINS0_14default_configELb1EPKhPhPKlPlN2at6native12_GLOBAL__N_18offset_tEEE10hipError_tPvRmT1_PNSt15iterator_traitsISY_E10value_typeET2_T3_PNSZ_IS14_E10value_typeET4_jRbjT5_S1A_jjP12ihipStream_tbEUljE_EEESV_SW_SX_S14_S18_S1A_T6_T7_T9_mT8_S1C_bDpT10_ENKUlT_T0_E_clISt17integral_constantIbLb0EES1O_IbLb1EEEEDaS1K_S1L_EUlS1K_E_NS1_11comp_targetILNS1_3genE0ELNS1_11target_archE4294967295ELNS1_3gpuE0ELNS1_3repE0EEENS1_30default_config_static_selectorELNS0_4arch9wavefront6targetE0EEEvSY_.uses_vcc, 1
	.set _ZN7rocprim17ROCPRIM_400000_NS6detail17trampoline_kernelINS0_13select_configILj256ELj13ELNS0_17block_load_methodE3ELS4_3ELS4_3ELNS0_20block_scan_algorithmE0ELj4294967295EEENS1_25partition_config_selectorILNS1_17partition_subalgoE3EjNS0_10empty_typeEbEEZZNS1_14partition_implILS8_3ELb0ES6_jNS0_17counting_iteratorIjlEEPS9_SE_NS0_5tupleIJPjSE_EEENSF_IJSE_SE_EEES9_SG_JZNS1_25segmented_radix_sort_implINS0_14default_configELb1EPKhPhPKlPlN2at6native12_GLOBAL__N_18offset_tEEE10hipError_tPvRmT1_PNSt15iterator_traitsISY_E10value_typeET2_T3_PNSZ_IS14_E10value_typeET4_jRbjT5_S1A_jjP12ihipStream_tbEUljE_EEESV_SW_SX_S14_S18_S1A_T6_T7_T9_mT8_S1C_bDpT10_ENKUlT_T0_E_clISt17integral_constantIbLb0EES1O_IbLb1EEEEDaS1K_S1L_EUlS1K_E_NS1_11comp_targetILNS1_3genE0ELNS1_11target_archE4294967295ELNS1_3gpuE0ELNS1_3repE0EEENS1_30default_config_static_selectorELNS0_4arch9wavefront6targetE0EEEvSY_.uses_flat_scratch, 0
	.set _ZN7rocprim17ROCPRIM_400000_NS6detail17trampoline_kernelINS0_13select_configILj256ELj13ELNS0_17block_load_methodE3ELS4_3ELS4_3ELNS0_20block_scan_algorithmE0ELj4294967295EEENS1_25partition_config_selectorILNS1_17partition_subalgoE3EjNS0_10empty_typeEbEEZZNS1_14partition_implILS8_3ELb0ES6_jNS0_17counting_iteratorIjlEEPS9_SE_NS0_5tupleIJPjSE_EEENSF_IJSE_SE_EEES9_SG_JZNS1_25segmented_radix_sort_implINS0_14default_configELb1EPKhPhPKlPlN2at6native12_GLOBAL__N_18offset_tEEE10hipError_tPvRmT1_PNSt15iterator_traitsISY_E10value_typeET2_T3_PNSZ_IS14_E10value_typeET4_jRbjT5_S1A_jjP12ihipStream_tbEUljE_EEESV_SW_SX_S14_S18_S1A_T6_T7_T9_mT8_S1C_bDpT10_ENKUlT_T0_E_clISt17integral_constantIbLb0EES1O_IbLb1EEEEDaS1K_S1L_EUlS1K_E_NS1_11comp_targetILNS1_3genE0ELNS1_11target_archE4294967295ELNS1_3gpuE0ELNS1_3repE0EEENS1_30default_config_static_selectorELNS0_4arch9wavefront6targetE0EEEvSY_.has_dyn_sized_stack, 0
	.set _ZN7rocprim17ROCPRIM_400000_NS6detail17trampoline_kernelINS0_13select_configILj256ELj13ELNS0_17block_load_methodE3ELS4_3ELS4_3ELNS0_20block_scan_algorithmE0ELj4294967295EEENS1_25partition_config_selectorILNS1_17partition_subalgoE3EjNS0_10empty_typeEbEEZZNS1_14partition_implILS8_3ELb0ES6_jNS0_17counting_iteratorIjlEEPS9_SE_NS0_5tupleIJPjSE_EEENSF_IJSE_SE_EEES9_SG_JZNS1_25segmented_radix_sort_implINS0_14default_configELb1EPKhPhPKlPlN2at6native12_GLOBAL__N_18offset_tEEE10hipError_tPvRmT1_PNSt15iterator_traitsISY_E10value_typeET2_T3_PNSZ_IS14_E10value_typeET4_jRbjT5_S1A_jjP12ihipStream_tbEUljE_EEESV_SW_SX_S14_S18_S1A_T6_T7_T9_mT8_S1C_bDpT10_ENKUlT_T0_E_clISt17integral_constantIbLb0EES1O_IbLb1EEEEDaS1K_S1L_EUlS1K_E_NS1_11comp_targetILNS1_3genE0ELNS1_11target_archE4294967295ELNS1_3gpuE0ELNS1_3repE0EEENS1_30default_config_static_selectorELNS0_4arch9wavefront6targetE0EEEvSY_.has_recursion, 0
	.set _ZN7rocprim17ROCPRIM_400000_NS6detail17trampoline_kernelINS0_13select_configILj256ELj13ELNS0_17block_load_methodE3ELS4_3ELS4_3ELNS0_20block_scan_algorithmE0ELj4294967295EEENS1_25partition_config_selectorILNS1_17partition_subalgoE3EjNS0_10empty_typeEbEEZZNS1_14partition_implILS8_3ELb0ES6_jNS0_17counting_iteratorIjlEEPS9_SE_NS0_5tupleIJPjSE_EEENSF_IJSE_SE_EEES9_SG_JZNS1_25segmented_radix_sort_implINS0_14default_configELb1EPKhPhPKlPlN2at6native12_GLOBAL__N_18offset_tEEE10hipError_tPvRmT1_PNSt15iterator_traitsISY_E10value_typeET2_T3_PNSZ_IS14_E10value_typeET4_jRbjT5_S1A_jjP12ihipStream_tbEUljE_EEESV_SW_SX_S14_S18_S1A_T6_T7_T9_mT8_S1C_bDpT10_ENKUlT_T0_E_clISt17integral_constantIbLb0EES1O_IbLb1EEEEDaS1K_S1L_EUlS1K_E_NS1_11comp_targetILNS1_3genE0ELNS1_11target_archE4294967295ELNS1_3gpuE0ELNS1_3repE0EEENS1_30default_config_static_selectorELNS0_4arch9wavefront6targetE0EEEvSY_.has_indirect_call, 0
	.section	.AMDGPU.csdata,"",@progbits
; Kernel info:
; codeLenInByte = 9040
; TotalNumSgprs: 26
; NumVgprs: 72
; ScratchSize: 0
; MemoryBound: 0
; FloatMode: 240
; IeeeMode: 1
; LDSByteSize: 13320 bytes/workgroup (compile time only)
; SGPRBlocks: 0
; VGPRBlocks: 4
; NumSGPRsForWavesPerEU: 26
; NumVGPRsForWavesPerEU: 72
; NamedBarCnt: 0
; Occupancy: 12
; WaveLimiterHint : 0
; COMPUTE_PGM_RSRC2:SCRATCH_EN: 0
; COMPUTE_PGM_RSRC2:USER_SGPR: 2
; COMPUTE_PGM_RSRC2:TRAP_HANDLER: 0
; COMPUTE_PGM_RSRC2:TGID_X_EN: 1
; COMPUTE_PGM_RSRC2:TGID_Y_EN: 0
; COMPUTE_PGM_RSRC2:TGID_Z_EN: 0
; COMPUTE_PGM_RSRC2:TIDIG_COMP_CNT: 0
	.section	.text._ZN7rocprim17ROCPRIM_400000_NS6detail17trampoline_kernelINS0_13select_configILj256ELj13ELNS0_17block_load_methodE3ELS4_3ELS4_3ELNS0_20block_scan_algorithmE0ELj4294967295EEENS1_25partition_config_selectorILNS1_17partition_subalgoE3EjNS0_10empty_typeEbEEZZNS1_14partition_implILS8_3ELb0ES6_jNS0_17counting_iteratorIjlEEPS9_SE_NS0_5tupleIJPjSE_EEENSF_IJSE_SE_EEES9_SG_JZNS1_25segmented_radix_sort_implINS0_14default_configELb1EPKhPhPKlPlN2at6native12_GLOBAL__N_18offset_tEEE10hipError_tPvRmT1_PNSt15iterator_traitsISY_E10value_typeET2_T3_PNSZ_IS14_E10value_typeET4_jRbjT5_S1A_jjP12ihipStream_tbEUljE_EEESV_SW_SX_S14_S18_S1A_T6_T7_T9_mT8_S1C_bDpT10_ENKUlT_T0_E_clISt17integral_constantIbLb0EES1O_IbLb1EEEEDaS1K_S1L_EUlS1K_E_NS1_11comp_targetILNS1_3genE5ELNS1_11target_archE942ELNS1_3gpuE9ELNS1_3repE0EEENS1_30default_config_static_selectorELNS0_4arch9wavefront6targetE0EEEvSY_,"axG",@progbits,_ZN7rocprim17ROCPRIM_400000_NS6detail17trampoline_kernelINS0_13select_configILj256ELj13ELNS0_17block_load_methodE3ELS4_3ELS4_3ELNS0_20block_scan_algorithmE0ELj4294967295EEENS1_25partition_config_selectorILNS1_17partition_subalgoE3EjNS0_10empty_typeEbEEZZNS1_14partition_implILS8_3ELb0ES6_jNS0_17counting_iteratorIjlEEPS9_SE_NS0_5tupleIJPjSE_EEENSF_IJSE_SE_EEES9_SG_JZNS1_25segmented_radix_sort_implINS0_14default_configELb1EPKhPhPKlPlN2at6native12_GLOBAL__N_18offset_tEEE10hipError_tPvRmT1_PNSt15iterator_traitsISY_E10value_typeET2_T3_PNSZ_IS14_E10value_typeET4_jRbjT5_S1A_jjP12ihipStream_tbEUljE_EEESV_SW_SX_S14_S18_S1A_T6_T7_T9_mT8_S1C_bDpT10_ENKUlT_T0_E_clISt17integral_constantIbLb0EES1O_IbLb1EEEEDaS1K_S1L_EUlS1K_E_NS1_11comp_targetILNS1_3genE5ELNS1_11target_archE942ELNS1_3gpuE9ELNS1_3repE0EEENS1_30default_config_static_selectorELNS0_4arch9wavefront6targetE0EEEvSY_,comdat
	.globl	_ZN7rocprim17ROCPRIM_400000_NS6detail17trampoline_kernelINS0_13select_configILj256ELj13ELNS0_17block_load_methodE3ELS4_3ELS4_3ELNS0_20block_scan_algorithmE0ELj4294967295EEENS1_25partition_config_selectorILNS1_17partition_subalgoE3EjNS0_10empty_typeEbEEZZNS1_14partition_implILS8_3ELb0ES6_jNS0_17counting_iteratorIjlEEPS9_SE_NS0_5tupleIJPjSE_EEENSF_IJSE_SE_EEES9_SG_JZNS1_25segmented_radix_sort_implINS0_14default_configELb1EPKhPhPKlPlN2at6native12_GLOBAL__N_18offset_tEEE10hipError_tPvRmT1_PNSt15iterator_traitsISY_E10value_typeET2_T3_PNSZ_IS14_E10value_typeET4_jRbjT5_S1A_jjP12ihipStream_tbEUljE_EEESV_SW_SX_S14_S18_S1A_T6_T7_T9_mT8_S1C_bDpT10_ENKUlT_T0_E_clISt17integral_constantIbLb0EES1O_IbLb1EEEEDaS1K_S1L_EUlS1K_E_NS1_11comp_targetILNS1_3genE5ELNS1_11target_archE942ELNS1_3gpuE9ELNS1_3repE0EEENS1_30default_config_static_selectorELNS0_4arch9wavefront6targetE0EEEvSY_ ; -- Begin function _ZN7rocprim17ROCPRIM_400000_NS6detail17trampoline_kernelINS0_13select_configILj256ELj13ELNS0_17block_load_methodE3ELS4_3ELS4_3ELNS0_20block_scan_algorithmE0ELj4294967295EEENS1_25partition_config_selectorILNS1_17partition_subalgoE3EjNS0_10empty_typeEbEEZZNS1_14partition_implILS8_3ELb0ES6_jNS0_17counting_iteratorIjlEEPS9_SE_NS0_5tupleIJPjSE_EEENSF_IJSE_SE_EEES9_SG_JZNS1_25segmented_radix_sort_implINS0_14default_configELb1EPKhPhPKlPlN2at6native12_GLOBAL__N_18offset_tEEE10hipError_tPvRmT1_PNSt15iterator_traitsISY_E10value_typeET2_T3_PNSZ_IS14_E10value_typeET4_jRbjT5_S1A_jjP12ihipStream_tbEUljE_EEESV_SW_SX_S14_S18_S1A_T6_T7_T9_mT8_S1C_bDpT10_ENKUlT_T0_E_clISt17integral_constantIbLb0EES1O_IbLb1EEEEDaS1K_S1L_EUlS1K_E_NS1_11comp_targetILNS1_3genE5ELNS1_11target_archE942ELNS1_3gpuE9ELNS1_3repE0EEENS1_30default_config_static_selectorELNS0_4arch9wavefront6targetE0EEEvSY_
	.p2align	8
	.type	_ZN7rocprim17ROCPRIM_400000_NS6detail17trampoline_kernelINS0_13select_configILj256ELj13ELNS0_17block_load_methodE3ELS4_3ELS4_3ELNS0_20block_scan_algorithmE0ELj4294967295EEENS1_25partition_config_selectorILNS1_17partition_subalgoE3EjNS0_10empty_typeEbEEZZNS1_14partition_implILS8_3ELb0ES6_jNS0_17counting_iteratorIjlEEPS9_SE_NS0_5tupleIJPjSE_EEENSF_IJSE_SE_EEES9_SG_JZNS1_25segmented_radix_sort_implINS0_14default_configELb1EPKhPhPKlPlN2at6native12_GLOBAL__N_18offset_tEEE10hipError_tPvRmT1_PNSt15iterator_traitsISY_E10value_typeET2_T3_PNSZ_IS14_E10value_typeET4_jRbjT5_S1A_jjP12ihipStream_tbEUljE_EEESV_SW_SX_S14_S18_S1A_T6_T7_T9_mT8_S1C_bDpT10_ENKUlT_T0_E_clISt17integral_constantIbLb0EES1O_IbLb1EEEEDaS1K_S1L_EUlS1K_E_NS1_11comp_targetILNS1_3genE5ELNS1_11target_archE942ELNS1_3gpuE9ELNS1_3repE0EEENS1_30default_config_static_selectorELNS0_4arch9wavefront6targetE0EEEvSY_,@function
_ZN7rocprim17ROCPRIM_400000_NS6detail17trampoline_kernelINS0_13select_configILj256ELj13ELNS0_17block_load_methodE3ELS4_3ELS4_3ELNS0_20block_scan_algorithmE0ELj4294967295EEENS1_25partition_config_selectorILNS1_17partition_subalgoE3EjNS0_10empty_typeEbEEZZNS1_14partition_implILS8_3ELb0ES6_jNS0_17counting_iteratorIjlEEPS9_SE_NS0_5tupleIJPjSE_EEENSF_IJSE_SE_EEES9_SG_JZNS1_25segmented_radix_sort_implINS0_14default_configELb1EPKhPhPKlPlN2at6native12_GLOBAL__N_18offset_tEEE10hipError_tPvRmT1_PNSt15iterator_traitsISY_E10value_typeET2_T3_PNSZ_IS14_E10value_typeET4_jRbjT5_S1A_jjP12ihipStream_tbEUljE_EEESV_SW_SX_S14_S18_S1A_T6_T7_T9_mT8_S1C_bDpT10_ENKUlT_T0_E_clISt17integral_constantIbLb0EES1O_IbLb1EEEEDaS1K_S1L_EUlS1K_E_NS1_11comp_targetILNS1_3genE5ELNS1_11target_archE942ELNS1_3gpuE9ELNS1_3repE0EEENS1_30default_config_static_selectorELNS0_4arch9wavefront6targetE0EEEvSY_: ; @_ZN7rocprim17ROCPRIM_400000_NS6detail17trampoline_kernelINS0_13select_configILj256ELj13ELNS0_17block_load_methodE3ELS4_3ELS4_3ELNS0_20block_scan_algorithmE0ELj4294967295EEENS1_25partition_config_selectorILNS1_17partition_subalgoE3EjNS0_10empty_typeEbEEZZNS1_14partition_implILS8_3ELb0ES6_jNS0_17counting_iteratorIjlEEPS9_SE_NS0_5tupleIJPjSE_EEENSF_IJSE_SE_EEES9_SG_JZNS1_25segmented_radix_sort_implINS0_14default_configELb1EPKhPhPKlPlN2at6native12_GLOBAL__N_18offset_tEEE10hipError_tPvRmT1_PNSt15iterator_traitsISY_E10value_typeET2_T3_PNSZ_IS14_E10value_typeET4_jRbjT5_S1A_jjP12ihipStream_tbEUljE_EEESV_SW_SX_S14_S18_S1A_T6_T7_T9_mT8_S1C_bDpT10_ENKUlT_T0_E_clISt17integral_constantIbLb0EES1O_IbLb1EEEEDaS1K_S1L_EUlS1K_E_NS1_11comp_targetILNS1_3genE5ELNS1_11target_archE942ELNS1_3gpuE9ELNS1_3repE0EEENS1_30default_config_static_selectorELNS0_4arch9wavefront6targetE0EEEvSY_
; %bb.0:
	.section	.rodata,"a",@progbits
	.p2align	6, 0x0
	.amdhsa_kernel _ZN7rocprim17ROCPRIM_400000_NS6detail17trampoline_kernelINS0_13select_configILj256ELj13ELNS0_17block_load_methodE3ELS4_3ELS4_3ELNS0_20block_scan_algorithmE0ELj4294967295EEENS1_25partition_config_selectorILNS1_17partition_subalgoE3EjNS0_10empty_typeEbEEZZNS1_14partition_implILS8_3ELb0ES6_jNS0_17counting_iteratorIjlEEPS9_SE_NS0_5tupleIJPjSE_EEENSF_IJSE_SE_EEES9_SG_JZNS1_25segmented_radix_sort_implINS0_14default_configELb1EPKhPhPKlPlN2at6native12_GLOBAL__N_18offset_tEEE10hipError_tPvRmT1_PNSt15iterator_traitsISY_E10value_typeET2_T3_PNSZ_IS14_E10value_typeET4_jRbjT5_S1A_jjP12ihipStream_tbEUljE_EEESV_SW_SX_S14_S18_S1A_T6_T7_T9_mT8_S1C_bDpT10_ENKUlT_T0_E_clISt17integral_constantIbLb0EES1O_IbLb1EEEEDaS1K_S1L_EUlS1K_E_NS1_11comp_targetILNS1_3genE5ELNS1_11target_archE942ELNS1_3gpuE9ELNS1_3repE0EEENS1_30default_config_static_selectorELNS0_4arch9wavefront6targetE0EEEvSY_
		.amdhsa_group_segment_fixed_size 0
		.amdhsa_private_segment_fixed_size 0
		.amdhsa_kernarg_size 152
		.amdhsa_user_sgpr_count 2
		.amdhsa_user_sgpr_dispatch_ptr 0
		.amdhsa_user_sgpr_queue_ptr 0
		.amdhsa_user_sgpr_kernarg_segment_ptr 1
		.amdhsa_user_sgpr_dispatch_id 0
		.amdhsa_user_sgpr_kernarg_preload_length 0
		.amdhsa_user_sgpr_kernarg_preload_offset 0
		.amdhsa_user_sgpr_private_segment_size 0
		.amdhsa_wavefront_size32 1
		.amdhsa_uses_dynamic_stack 0
		.amdhsa_enable_private_segment 0
		.amdhsa_system_sgpr_workgroup_id_x 1
		.amdhsa_system_sgpr_workgroup_id_y 0
		.amdhsa_system_sgpr_workgroup_id_z 0
		.amdhsa_system_sgpr_workgroup_info 0
		.amdhsa_system_vgpr_workitem_id 0
		.amdhsa_next_free_vgpr 1
		.amdhsa_next_free_sgpr 1
		.amdhsa_named_barrier_count 0
		.amdhsa_reserve_vcc 0
		.amdhsa_float_round_mode_32 0
		.amdhsa_float_round_mode_16_64 0
		.amdhsa_float_denorm_mode_32 3
		.amdhsa_float_denorm_mode_16_64 3
		.amdhsa_fp16_overflow 0
		.amdhsa_memory_ordered 1
		.amdhsa_forward_progress 1
		.amdhsa_inst_pref_size 0
		.amdhsa_round_robin_scheduling 0
		.amdhsa_exception_fp_ieee_invalid_op 0
		.amdhsa_exception_fp_denorm_src 0
		.amdhsa_exception_fp_ieee_div_zero 0
		.amdhsa_exception_fp_ieee_overflow 0
		.amdhsa_exception_fp_ieee_underflow 0
		.amdhsa_exception_fp_ieee_inexact 0
		.amdhsa_exception_int_div_zero 0
	.end_amdhsa_kernel
	.section	.text._ZN7rocprim17ROCPRIM_400000_NS6detail17trampoline_kernelINS0_13select_configILj256ELj13ELNS0_17block_load_methodE3ELS4_3ELS4_3ELNS0_20block_scan_algorithmE0ELj4294967295EEENS1_25partition_config_selectorILNS1_17partition_subalgoE3EjNS0_10empty_typeEbEEZZNS1_14partition_implILS8_3ELb0ES6_jNS0_17counting_iteratorIjlEEPS9_SE_NS0_5tupleIJPjSE_EEENSF_IJSE_SE_EEES9_SG_JZNS1_25segmented_radix_sort_implINS0_14default_configELb1EPKhPhPKlPlN2at6native12_GLOBAL__N_18offset_tEEE10hipError_tPvRmT1_PNSt15iterator_traitsISY_E10value_typeET2_T3_PNSZ_IS14_E10value_typeET4_jRbjT5_S1A_jjP12ihipStream_tbEUljE_EEESV_SW_SX_S14_S18_S1A_T6_T7_T9_mT8_S1C_bDpT10_ENKUlT_T0_E_clISt17integral_constantIbLb0EES1O_IbLb1EEEEDaS1K_S1L_EUlS1K_E_NS1_11comp_targetILNS1_3genE5ELNS1_11target_archE942ELNS1_3gpuE9ELNS1_3repE0EEENS1_30default_config_static_selectorELNS0_4arch9wavefront6targetE0EEEvSY_,"axG",@progbits,_ZN7rocprim17ROCPRIM_400000_NS6detail17trampoline_kernelINS0_13select_configILj256ELj13ELNS0_17block_load_methodE3ELS4_3ELS4_3ELNS0_20block_scan_algorithmE0ELj4294967295EEENS1_25partition_config_selectorILNS1_17partition_subalgoE3EjNS0_10empty_typeEbEEZZNS1_14partition_implILS8_3ELb0ES6_jNS0_17counting_iteratorIjlEEPS9_SE_NS0_5tupleIJPjSE_EEENSF_IJSE_SE_EEES9_SG_JZNS1_25segmented_radix_sort_implINS0_14default_configELb1EPKhPhPKlPlN2at6native12_GLOBAL__N_18offset_tEEE10hipError_tPvRmT1_PNSt15iterator_traitsISY_E10value_typeET2_T3_PNSZ_IS14_E10value_typeET4_jRbjT5_S1A_jjP12ihipStream_tbEUljE_EEESV_SW_SX_S14_S18_S1A_T6_T7_T9_mT8_S1C_bDpT10_ENKUlT_T0_E_clISt17integral_constantIbLb0EES1O_IbLb1EEEEDaS1K_S1L_EUlS1K_E_NS1_11comp_targetILNS1_3genE5ELNS1_11target_archE942ELNS1_3gpuE9ELNS1_3repE0EEENS1_30default_config_static_selectorELNS0_4arch9wavefront6targetE0EEEvSY_,comdat
.Lfunc_end76:
	.size	_ZN7rocprim17ROCPRIM_400000_NS6detail17trampoline_kernelINS0_13select_configILj256ELj13ELNS0_17block_load_methodE3ELS4_3ELS4_3ELNS0_20block_scan_algorithmE0ELj4294967295EEENS1_25partition_config_selectorILNS1_17partition_subalgoE3EjNS0_10empty_typeEbEEZZNS1_14partition_implILS8_3ELb0ES6_jNS0_17counting_iteratorIjlEEPS9_SE_NS0_5tupleIJPjSE_EEENSF_IJSE_SE_EEES9_SG_JZNS1_25segmented_radix_sort_implINS0_14default_configELb1EPKhPhPKlPlN2at6native12_GLOBAL__N_18offset_tEEE10hipError_tPvRmT1_PNSt15iterator_traitsISY_E10value_typeET2_T3_PNSZ_IS14_E10value_typeET4_jRbjT5_S1A_jjP12ihipStream_tbEUljE_EEESV_SW_SX_S14_S18_S1A_T6_T7_T9_mT8_S1C_bDpT10_ENKUlT_T0_E_clISt17integral_constantIbLb0EES1O_IbLb1EEEEDaS1K_S1L_EUlS1K_E_NS1_11comp_targetILNS1_3genE5ELNS1_11target_archE942ELNS1_3gpuE9ELNS1_3repE0EEENS1_30default_config_static_selectorELNS0_4arch9wavefront6targetE0EEEvSY_, .Lfunc_end76-_ZN7rocprim17ROCPRIM_400000_NS6detail17trampoline_kernelINS0_13select_configILj256ELj13ELNS0_17block_load_methodE3ELS4_3ELS4_3ELNS0_20block_scan_algorithmE0ELj4294967295EEENS1_25partition_config_selectorILNS1_17partition_subalgoE3EjNS0_10empty_typeEbEEZZNS1_14partition_implILS8_3ELb0ES6_jNS0_17counting_iteratorIjlEEPS9_SE_NS0_5tupleIJPjSE_EEENSF_IJSE_SE_EEES9_SG_JZNS1_25segmented_radix_sort_implINS0_14default_configELb1EPKhPhPKlPlN2at6native12_GLOBAL__N_18offset_tEEE10hipError_tPvRmT1_PNSt15iterator_traitsISY_E10value_typeET2_T3_PNSZ_IS14_E10value_typeET4_jRbjT5_S1A_jjP12ihipStream_tbEUljE_EEESV_SW_SX_S14_S18_S1A_T6_T7_T9_mT8_S1C_bDpT10_ENKUlT_T0_E_clISt17integral_constantIbLb0EES1O_IbLb1EEEEDaS1K_S1L_EUlS1K_E_NS1_11comp_targetILNS1_3genE5ELNS1_11target_archE942ELNS1_3gpuE9ELNS1_3repE0EEENS1_30default_config_static_selectorELNS0_4arch9wavefront6targetE0EEEvSY_
                                        ; -- End function
	.set _ZN7rocprim17ROCPRIM_400000_NS6detail17trampoline_kernelINS0_13select_configILj256ELj13ELNS0_17block_load_methodE3ELS4_3ELS4_3ELNS0_20block_scan_algorithmE0ELj4294967295EEENS1_25partition_config_selectorILNS1_17partition_subalgoE3EjNS0_10empty_typeEbEEZZNS1_14partition_implILS8_3ELb0ES6_jNS0_17counting_iteratorIjlEEPS9_SE_NS0_5tupleIJPjSE_EEENSF_IJSE_SE_EEES9_SG_JZNS1_25segmented_radix_sort_implINS0_14default_configELb1EPKhPhPKlPlN2at6native12_GLOBAL__N_18offset_tEEE10hipError_tPvRmT1_PNSt15iterator_traitsISY_E10value_typeET2_T3_PNSZ_IS14_E10value_typeET4_jRbjT5_S1A_jjP12ihipStream_tbEUljE_EEESV_SW_SX_S14_S18_S1A_T6_T7_T9_mT8_S1C_bDpT10_ENKUlT_T0_E_clISt17integral_constantIbLb0EES1O_IbLb1EEEEDaS1K_S1L_EUlS1K_E_NS1_11comp_targetILNS1_3genE5ELNS1_11target_archE942ELNS1_3gpuE9ELNS1_3repE0EEENS1_30default_config_static_selectorELNS0_4arch9wavefront6targetE0EEEvSY_.num_vgpr, 0
	.set _ZN7rocprim17ROCPRIM_400000_NS6detail17trampoline_kernelINS0_13select_configILj256ELj13ELNS0_17block_load_methodE3ELS4_3ELS4_3ELNS0_20block_scan_algorithmE0ELj4294967295EEENS1_25partition_config_selectorILNS1_17partition_subalgoE3EjNS0_10empty_typeEbEEZZNS1_14partition_implILS8_3ELb0ES6_jNS0_17counting_iteratorIjlEEPS9_SE_NS0_5tupleIJPjSE_EEENSF_IJSE_SE_EEES9_SG_JZNS1_25segmented_radix_sort_implINS0_14default_configELb1EPKhPhPKlPlN2at6native12_GLOBAL__N_18offset_tEEE10hipError_tPvRmT1_PNSt15iterator_traitsISY_E10value_typeET2_T3_PNSZ_IS14_E10value_typeET4_jRbjT5_S1A_jjP12ihipStream_tbEUljE_EEESV_SW_SX_S14_S18_S1A_T6_T7_T9_mT8_S1C_bDpT10_ENKUlT_T0_E_clISt17integral_constantIbLb0EES1O_IbLb1EEEEDaS1K_S1L_EUlS1K_E_NS1_11comp_targetILNS1_3genE5ELNS1_11target_archE942ELNS1_3gpuE9ELNS1_3repE0EEENS1_30default_config_static_selectorELNS0_4arch9wavefront6targetE0EEEvSY_.num_agpr, 0
	.set _ZN7rocprim17ROCPRIM_400000_NS6detail17trampoline_kernelINS0_13select_configILj256ELj13ELNS0_17block_load_methodE3ELS4_3ELS4_3ELNS0_20block_scan_algorithmE0ELj4294967295EEENS1_25partition_config_selectorILNS1_17partition_subalgoE3EjNS0_10empty_typeEbEEZZNS1_14partition_implILS8_3ELb0ES6_jNS0_17counting_iteratorIjlEEPS9_SE_NS0_5tupleIJPjSE_EEENSF_IJSE_SE_EEES9_SG_JZNS1_25segmented_radix_sort_implINS0_14default_configELb1EPKhPhPKlPlN2at6native12_GLOBAL__N_18offset_tEEE10hipError_tPvRmT1_PNSt15iterator_traitsISY_E10value_typeET2_T3_PNSZ_IS14_E10value_typeET4_jRbjT5_S1A_jjP12ihipStream_tbEUljE_EEESV_SW_SX_S14_S18_S1A_T6_T7_T9_mT8_S1C_bDpT10_ENKUlT_T0_E_clISt17integral_constantIbLb0EES1O_IbLb1EEEEDaS1K_S1L_EUlS1K_E_NS1_11comp_targetILNS1_3genE5ELNS1_11target_archE942ELNS1_3gpuE9ELNS1_3repE0EEENS1_30default_config_static_selectorELNS0_4arch9wavefront6targetE0EEEvSY_.numbered_sgpr, 0
	.set _ZN7rocprim17ROCPRIM_400000_NS6detail17trampoline_kernelINS0_13select_configILj256ELj13ELNS0_17block_load_methodE3ELS4_3ELS4_3ELNS0_20block_scan_algorithmE0ELj4294967295EEENS1_25partition_config_selectorILNS1_17partition_subalgoE3EjNS0_10empty_typeEbEEZZNS1_14partition_implILS8_3ELb0ES6_jNS0_17counting_iteratorIjlEEPS9_SE_NS0_5tupleIJPjSE_EEENSF_IJSE_SE_EEES9_SG_JZNS1_25segmented_radix_sort_implINS0_14default_configELb1EPKhPhPKlPlN2at6native12_GLOBAL__N_18offset_tEEE10hipError_tPvRmT1_PNSt15iterator_traitsISY_E10value_typeET2_T3_PNSZ_IS14_E10value_typeET4_jRbjT5_S1A_jjP12ihipStream_tbEUljE_EEESV_SW_SX_S14_S18_S1A_T6_T7_T9_mT8_S1C_bDpT10_ENKUlT_T0_E_clISt17integral_constantIbLb0EES1O_IbLb1EEEEDaS1K_S1L_EUlS1K_E_NS1_11comp_targetILNS1_3genE5ELNS1_11target_archE942ELNS1_3gpuE9ELNS1_3repE0EEENS1_30default_config_static_selectorELNS0_4arch9wavefront6targetE0EEEvSY_.num_named_barrier, 0
	.set _ZN7rocprim17ROCPRIM_400000_NS6detail17trampoline_kernelINS0_13select_configILj256ELj13ELNS0_17block_load_methodE3ELS4_3ELS4_3ELNS0_20block_scan_algorithmE0ELj4294967295EEENS1_25partition_config_selectorILNS1_17partition_subalgoE3EjNS0_10empty_typeEbEEZZNS1_14partition_implILS8_3ELb0ES6_jNS0_17counting_iteratorIjlEEPS9_SE_NS0_5tupleIJPjSE_EEENSF_IJSE_SE_EEES9_SG_JZNS1_25segmented_radix_sort_implINS0_14default_configELb1EPKhPhPKlPlN2at6native12_GLOBAL__N_18offset_tEEE10hipError_tPvRmT1_PNSt15iterator_traitsISY_E10value_typeET2_T3_PNSZ_IS14_E10value_typeET4_jRbjT5_S1A_jjP12ihipStream_tbEUljE_EEESV_SW_SX_S14_S18_S1A_T6_T7_T9_mT8_S1C_bDpT10_ENKUlT_T0_E_clISt17integral_constantIbLb0EES1O_IbLb1EEEEDaS1K_S1L_EUlS1K_E_NS1_11comp_targetILNS1_3genE5ELNS1_11target_archE942ELNS1_3gpuE9ELNS1_3repE0EEENS1_30default_config_static_selectorELNS0_4arch9wavefront6targetE0EEEvSY_.private_seg_size, 0
	.set _ZN7rocprim17ROCPRIM_400000_NS6detail17trampoline_kernelINS0_13select_configILj256ELj13ELNS0_17block_load_methodE3ELS4_3ELS4_3ELNS0_20block_scan_algorithmE0ELj4294967295EEENS1_25partition_config_selectorILNS1_17partition_subalgoE3EjNS0_10empty_typeEbEEZZNS1_14partition_implILS8_3ELb0ES6_jNS0_17counting_iteratorIjlEEPS9_SE_NS0_5tupleIJPjSE_EEENSF_IJSE_SE_EEES9_SG_JZNS1_25segmented_radix_sort_implINS0_14default_configELb1EPKhPhPKlPlN2at6native12_GLOBAL__N_18offset_tEEE10hipError_tPvRmT1_PNSt15iterator_traitsISY_E10value_typeET2_T3_PNSZ_IS14_E10value_typeET4_jRbjT5_S1A_jjP12ihipStream_tbEUljE_EEESV_SW_SX_S14_S18_S1A_T6_T7_T9_mT8_S1C_bDpT10_ENKUlT_T0_E_clISt17integral_constantIbLb0EES1O_IbLb1EEEEDaS1K_S1L_EUlS1K_E_NS1_11comp_targetILNS1_3genE5ELNS1_11target_archE942ELNS1_3gpuE9ELNS1_3repE0EEENS1_30default_config_static_selectorELNS0_4arch9wavefront6targetE0EEEvSY_.uses_vcc, 0
	.set _ZN7rocprim17ROCPRIM_400000_NS6detail17trampoline_kernelINS0_13select_configILj256ELj13ELNS0_17block_load_methodE3ELS4_3ELS4_3ELNS0_20block_scan_algorithmE0ELj4294967295EEENS1_25partition_config_selectorILNS1_17partition_subalgoE3EjNS0_10empty_typeEbEEZZNS1_14partition_implILS8_3ELb0ES6_jNS0_17counting_iteratorIjlEEPS9_SE_NS0_5tupleIJPjSE_EEENSF_IJSE_SE_EEES9_SG_JZNS1_25segmented_radix_sort_implINS0_14default_configELb1EPKhPhPKlPlN2at6native12_GLOBAL__N_18offset_tEEE10hipError_tPvRmT1_PNSt15iterator_traitsISY_E10value_typeET2_T3_PNSZ_IS14_E10value_typeET4_jRbjT5_S1A_jjP12ihipStream_tbEUljE_EEESV_SW_SX_S14_S18_S1A_T6_T7_T9_mT8_S1C_bDpT10_ENKUlT_T0_E_clISt17integral_constantIbLb0EES1O_IbLb1EEEEDaS1K_S1L_EUlS1K_E_NS1_11comp_targetILNS1_3genE5ELNS1_11target_archE942ELNS1_3gpuE9ELNS1_3repE0EEENS1_30default_config_static_selectorELNS0_4arch9wavefront6targetE0EEEvSY_.uses_flat_scratch, 0
	.set _ZN7rocprim17ROCPRIM_400000_NS6detail17trampoline_kernelINS0_13select_configILj256ELj13ELNS0_17block_load_methodE3ELS4_3ELS4_3ELNS0_20block_scan_algorithmE0ELj4294967295EEENS1_25partition_config_selectorILNS1_17partition_subalgoE3EjNS0_10empty_typeEbEEZZNS1_14partition_implILS8_3ELb0ES6_jNS0_17counting_iteratorIjlEEPS9_SE_NS0_5tupleIJPjSE_EEENSF_IJSE_SE_EEES9_SG_JZNS1_25segmented_radix_sort_implINS0_14default_configELb1EPKhPhPKlPlN2at6native12_GLOBAL__N_18offset_tEEE10hipError_tPvRmT1_PNSt15iterator_traitsISY_E10value_typeET2_T3_PNSZ_IS14_E10value_typeET4_jRbjT5_S1A_jjP12ihipStream_tbEUljE_EEESV_SW_SX_S14_S18_S1A_T6_T7_T9_mT8_S1C_bDpT10_ENKUlT_T0_E_clISt17integral_constantIbLb0EES1O_IbLb1EEEEDaS1K_S1L_EUlS1K_E_NS1_11comp_targetILNS1_3genE5ELNS1_11target_archE942ELNS1_3gpuE9ELNS1_3repE0EEENS1_30default_config_static_selectorELNS0_4arch9wavefront6targetE0EEEvSY_.has_dyn_sized_stack, 0
	.set _ZN7rocprim17ROCPRIM_400000_NS6detail17trampoline_kernelINS0_13select_configILj256ELj13ELNS0_17block_load_methodE3ELS4_3ELS4_3ELNS0_20block_scan_algorithmE0ELj4294967295EEENS1_25partition_config_selectorILNS1_17partition_subalgoE3EjNS0_10empty_typeEbEEZZNS1_14partition_implILS8_3ELb0ES6_jNS0_17counting_iteratorIjlEEPS9_SE_NS0_5tupleIJPjSE_EEENSF_IJSE_SE_EEES9_SG_JZNS1_25segmented_radix_sort_implINS0_14default_configELb1EPKhPhPKlPlN2at6native12_GLOBAL__N_18offset_tEEE10hipError_tPvRmT1_PNSt15iterator_traitsISY_E10value_typeET2_T3_PNSZ_IS14_E10value_typeET4_jRbjT5_S1A_jjP12ihipStream_tbEUljE_EEESV_SW_SX_S14_S18_S1A_T6_T7_T9_mT8_S1C_bDpT10_ENKUlT_T0_E_clISt17integral_constantIbLb0EES1O_IbLb1EEEEDaS1K_S1L_EUlS1K_E_NS1_11comp_targetILNS1_3genE5ELNS1_11target_archE942ELNS1_3gpuE9ELNS1_3repE0EEENS1_30default_config_static_selectorELNS0_4arch9wavefront6targetE0EEEvSY_.has_recursion, 0
	.set _ZN7rocprim17ROCPRIM_400000_NS6detail17trampoline_kernelINS0_13select_configILj256ELj13ELNS0_17block_load_methodE3ELS4_3ELS4_3ELNS0_20block_scan_algorithmE0ELj4294967295EEENS1_25partition_config_selectorILNS1_17partition_subalgoE3EjNS0_10empty_typeEbEEZZNS1_14partition_implILS8_3ELb0ES6_jNS0_17counting_iteratorIjlEEPS9_SE_NS0_5tupleIJPjSE_EEENSF_IJSE_SE_EEES9_SG_JZNS1_25segmented_radix_sort_implINS0_14default_configELb1EPKhPhPKlPlN2at6native12_GLOBAL__N_18offset_tEEE10hipError_tPvRmT1_PNSt15iterator_traitsISY_E10value_typeET2_T3_PNSZ_IS14_E10value_typeET4_jRbjT5_S1A_jjP12ihipStream_tbEUljE_EEESV_SW_SX_S14_S18_S1A_T6_T7_T9_mT8_S1C_bDpT10_ENKUlT_T0_E_clISt17integral_constantIbLb0EES1O_IbLb1EEEEDaS1K_S1L_EUlS1K_E_NS1_11comp_targetILNS1_3genE5ELNS1_11target_archE942ELNS1_3gpuE9ELNS1_3repE0EEENS1_30default_config_static_selectorELNS0_4arch9wavefront6targetE0EEEvSY_.has_indirect_call, 0
	.section	.AMDGPU.csdata,"",@progbits
; Kernel info:
; codeLenInByte = 0
; TotalNumSgprs: 0
; NumVgprs: 0
; ScratchSize: 0
; MemoryBound: 0
; FloatMode: 240
; IeeeMode: 1
; LDSByteSize: 0 bytes/workgroup (compile time only)
; SGPRBlocks: 0
; VGPRBlocks: 0
; NumSGPRsForWavesPerEU: 1
; NumVGPRsForWavesPerEU: 1
; NamedBarCnt: 0
; Occupancy: 16
; WaveLimiterHint : 0
; COMPUTE_PGM_RSRC2:SCRATCH_EN: 0
; COMPUTE_PGM_RSRC2:USER_SGPR: 2
; COMPUTE_PGM_RSRC2:TRAP_HANDLER: 0
; COMPUTE_PGM_RSRC2:TGID_X_EN: 1
; COMPUTE_PGM_RSRC2:TGID_Y_EN: 0
; COMPUTE_PGM_RSRC2:TGID_Z_EN: 0
; COMPUTE_PGM_RSRC2:TIDIG_COMP_CNT: 0
	.section	.text._ZN7rocprim17ROCPRIM_400000_NS6detail17trampoline_kernelINS0_13select_configILj256ELj13ELNS0_17block_load_methodE3ELS4_3ELS4_3ELNS0_20block_scan_algorithmE0ELj4294967295EEENS1_25partition_config_selectorILNS1_17partition_subalgoE3EjNS0_10empty_typeEbEEZZNS1_14partition_implILS8_3ELb0ES6_jNS0_17counting_iteratorIjlEEPS9_SE_NS0_5tupleIJPjSE_EEENSF_IJSE_SE_EEES9_SG_JZNS1_25segmented_radix_sort_implINS0_14default_configELb1EPKhPhPKlPlN2at6native12_GLOBAL__N_18offset_tEEE10hipError_tPvRmT1_PNSt15iterator_traitsISY_E10value_typeET2_T3_PNSZ_IS14_E10value_typeET4_jRbjT5_S1A_jjP12ihipStream_tbEUljE_EEESV_SW_SX_S14_S18_S1A_T6_T7_T9_mT8_S1C_bDpT10_ENKUlT_T0_E_clISt17integral_constantIbLb0EES1O_IbLb1EEEEDaS1K_S1L_EUlS1K_E_NS1_11comp_targetILNS1_3genE4ELNS1_11target_archE910ELNS1_3gpuE8ELNS1_3repE0EEENS1_30default_config_static_selectorELNS0_4arch9wavefront6targetE0EEEvSY_,"axG",@progbits,_ZN7rocprim17ROCPRIM_400000_NS6detail17trampoline_kernelINS0_13select_configILj256ELj13ELNS0_17block_load_methodE3ELS4_3ELS4_3ELNS0_20block_scan_algorithmE0ELj4294967295EEENS1_25partition_config_selectorILNS1_17partition_subalgoE3EjNS0_10empty_typeEbEEZZNS1_14partition_implILS8_3ELb0ES6_jNS0_17counting_iteratorIjlEEPS9_SE_NS0_5tupleIJPjSE_EEENSF_IJSE_SE_EEES9_SG_JZNS1_25segmented_radix_sort_implINS0_14default_configELb1EPKhPhPKlPlN2at6native12_GLOBAL__N_18offset_tEEE10hipError_tPvRmT1_PNSt15iterator_traitsISY_E10value_typeET2_T3_PNSZ_IS14_E10value_typeET4_jRbjT5_S1A_jjP12ihipStream_tbEUljE_EEESV_SW_SX_S14_S18_S1A_T6_T7_T9_mT8_S1C_bDpT10_ENKUlT_T0_E_clISt17integral_constantIbLb0EES1O_IbLb1EEEEDaS1K_S1L_EUlS1K_E_NS1_11comp_targetILNS1_3genE4ELNS1_11target_archE910ELNS1_3gpuE8ELNS1_3repE0EEENS1_30default_config_static_selectorELNS0_4arch9wavefront6targetE0EEEvSY_,comdat
	.globl	_ZN7rocprim17ROCPRIM_400000_NS6detail17trampoline_kernelINS0_13select_configILj256ELj13ELNS0_17block_load_methodE3ELS4_3ELS4_3ELNS0_20block_scan_algorithmE0ELj4294967295EEENS1_25partition_config_selectorILNS1_17partition_subalgoE3EjNS0_10empty_typeEbEEZZNS1_14partition_implILS8_3ELb0ES6_jNS0_17counting_iteratorIjlEEPS9_SE_NS0_5tupleIJPjSE_EEENSF_IJSE_SE_EEES9_SG_JZNS1_25segmented_radix_sort_implINS0_14default_configELb1EPKhPhPKlPlN2at6native12_GLOBAL__N_18offset_tEEE10hipError_tPvRmT1_PNSt15iterator_traitsISY_E10value_typeET2_T3_PNSZ_IS14_E10value_typeET4_jRbjT5_S1A_jjP12ihipStream_tbEUljE_EEESV_SW_SX_S14_S18_S1A_T6_T7_T9_mT8_S1C_bDpT10_ENKUlT_T0_E_clISt17integral_constantIbLb0EES1O_IbLb1EEEEDaS1K_S1L_EUlS1K_E_NS1_11comp_targetILNS1_3genE4ELNS1_11target_archE910ELNS1_3gpuE8ELNS1_3repE0EEENS1_30default_config_static_selectorELNS0_4arch9wavefront6targetE0EEEvSY_ ; -- Begin function _ZN7rocprim17ROCPRIM_400000_NS6detail17trampoline_kernelINS0_13select_configILj256ELj13ELNS0_17block_load_methodE3ELS4_3ELS4_3ELNS0_20block_scan_algorithmE0ELj4294967295EEENS1_25partition_config_selectorILNS1_17partition_subalgoE3EjNS0_10empty_typeEbEEZZNS1_14partition_implILS8_3ELb0ES6_jNS0_17counting_iteratorIjlEEPS9_SE_NS0_5tupleIJPjSE_EEENSF_IJSE_SE_EEES9_SG_JZNS1_25segmented_radix_sort_implINS0_14default_configELb1EPKhPhPKlPlN2at6native12_GLOBAL__N_18offset_tEEE10hipError_tPvRmT1_PNSt15iterator_traitsISY_E10value_typeET2_T3_PNSZ_IS14_E10value_typeET4_jRbjT5_S1A_jjP12ihipStream_tbEUljE_EEESV_SW_SX_S14_S18_S1A_T6_T7_T9_mT8_S1C_bDpT10_ENKUlT_T0_E_clISt17integral_constantIbLb0EES1O_IbLb1EEEEDaS1K_S1L_EUlS1K_E_NS1_11comp_targetILNS1_3genE4ELNS1_11target_archE910ELNS1_3gpuE8ELNS1_3repE0EEENS1_30default_config_static_selectorELNS0_4arch9wavefront6targetE0EEEvSY_
	.p2align	8
	.type	_ZN7rocprim17ROCPRIM_400000_NS6detail17trampoline_kernelINS0_13select_configILj256ELj13ELNS0_17block_load_methodE3ELS4_3ELS4_3ELNS0_20block_scan_algorithmE0ELj4294967295EEENS1_25partition_config_selectorILNS1_17partition_subalgoE3EjNS0_10empty_typeEbEEZZNS1_14partition_implILS8_3ELb0ES6_jNS0_17counting_iteratorIjlEEPS9_SE_NS0_5tupleIJPjSE_EEENSF_IJSE_SE_EEES9_SG_JZNS1_25segmented_radix_sort_implINS0_14default_configELb1EPKhPhPKlPlN2at6native12_GLOBAL__N_18offset_tEEE10hipError_tPvRmT1_PNSt15iterator_traitsISY_E10value_typeET2_T3_PNSZ_IS14_E10value_typeET4_jRbjT5_S1A_jjP12ihipStream_tbEUljE_EEESV_SW_SX_S14_S18_S1A_T6_T7_T9_mT8_S1C_bDpT10_ENKUlT_T0_E_clISt17integral_constantIbLb0EES1O_IbLb1EEEEDaS1K_S1L_EUlS1K_E_NS1_11comp_targetILNS1_3genE4ELNS1_11target_archE910ELNS1_3gpuE8ELNS1_3repE0EEENS1_30default_config_static_selectorELNS0_4arch9wavefront6targetE0EEEvSY_,@function
_ZN7rocprim17ROCPRIM_400000_NS6detail17trampoline_kernelINS0_13select_configILj256ELj13ELNS0_17block_load_methodE3ELS4_3ELS4_3ELNS0_20block_scan_algorithmE0ELj4294967295EEENS1_25partition_config_selectorILNS1_17partition_subalgoE3EjNS0_10empty_typeEbEEZZNS1_14partition_implILS8_3ELb0ES6_jNS0_17counting_iteratorIjlEEPS9_SE_NS0_5tupleIJPjSE_EEENSF_IJSE_SE_EEES9_SG_JZNS1_25segmented_radix_sort_implINS0_14default_configELb1EPKhPhPKlPlN2at6native12_GLOBAL__N_18offset_tEEE10hipError_tPvRmT1_PNSt15iterator_traitsISY_E10value_typeET2_T3_PNSZ_IS14_E10value_typeET4_jRbjT5_S1A_jjP12ihipStream_tbEUljE_EEESV_SW_SX_S14_S18_S1A_T6_T7_T9_mT8_S1C_bDpT10_ENKUlT_T0_E_clISt17integral_constantIbLb0EES1O_IbLb1EEEEDaS1K_S1L_EUlS1K_E_NS1_11comp_targetILNS1_3genE4ELNS1_11target_archE910ELNS1_3gpuE8ELNS1_3repE0EEENS1_30default_config_static_selectorELNS0_4arch9wavefront6targetE0EEEvSY_: ; @_ZN7rocprim17ROCPRIM_400000_NS6detail17trampoline_kernelINS0_13select_configILj256ELj13ELNS0_17block_load_methodE3ELS4_3ELS4_3ELNS0_20block_scan_algorithmE0ELj4294967295EEENS1_25partition_config_selectorILNS1_17partition_subalgoE3EjNS0_10empty_typeEbEEZZNS1_14partition_implILS8_3ELb0ES6_jNS0_17counting_iteratorIjlEEPS9_SE_NS0_5tupleIJPjSE_EEENSF_IJSE_SE_EEES9_SG_JZNS1_25segmented_radix_sort_implINS0_14default_configELb1EPKhPhPKlPlN2at6native12_GLOBAL__N_18offset_tEEE10hipError_tPvRmT1_PNSt15iterator_traitsISY_E10value_typeET2_T3_PNSZ_IS14_E10value_typeET4_jRbjT5_S1A_jjP12ihipStream_tbEUljE_EEESV_SW_SX_S14_S18_S1A_T6_T7_T9_mT8_S1C_bDpT10_ENKUlT_T0_E_clISt17integral_constantIbLb0EES1O_IbLb1EEEEDaS1K_S1L_EUlS1K_E_NS1_11comp_targetILNS1_3genE4ELNS1_11target_archE910ELNS1_3gpuE8ELNS1_3repE0EEENS1_30default_config_static_selectorELNS0_4arch9wavefront6targetE0EEEvSY_
; %bb.0:
	.section	.rodata,"a",@progbits
	.p2align	6, 0x0
	.amdhsa_kernel _ZN7rocprim17ROCPRIM_400000_NS6detail17trampoline_kernelINS0_13select_configILj256ELj13ELNS0_17block_load_methodE3ELS4_3ELS4_3ELNS0_20block_scan_algorithmE0ELj4294967295EEENS1_25partition_config_selectorILNS1_17partition_subalgoE3EjNS0_10empty_typeEbEEZZNS1_14partition_implILS8_3ELb0ES6_jNS0_17counting_iteratorIjlEEPS9_SE_NS0_5tupleIJPjSE_EEENSF_IJSE_SE_EEES9_SG_JZNS1_25segmented_radix_sort_implINS0_14default_configELb1EPKhPhPKlPlN2at6native12_GLOBAL__N_18offset_tEEE10hipError_tPvRmT1_PNSt15iterator_traitsISY_E10value_typeET2_T3_PNSZ_IS14_E10value_typeET4_jRbjT5_S1A_jjP12ihipStream_tbEUljE_EEESV_SW_SX_S14_S18_S1A_T6_T7_T9_mT8_S1C_bDpT10_ENKUlT_T0_E_clISt17integral_constantIbLb0EES1O_IbLb1EEEEDaS1K_S1L_EUlS1K_E_NS1_11comp_targetILNS1_3genE4ELNS1_11target_archE910ELNS1_3gpuE8ELNS1_3repE0EEENS1_30default_config_static_selectorELNS0_4arch9wavefront6targetE0EEEvSY_
		.amdhsa_group_segment_fixed_size 0
		.amdhsa_private_segment_fixed_size 0
		.amdhsa_kernarg_size 152
		.amdhsa_user_sgpr_count 2
		.amdhsa_user_sgpr_dispatch_ptr 0
		.amdhsa_user_sgpr_queue_ptr 0
		.amdhsa_user_sgpr_kernarg_segment_ptr 1
		.amdhsa_user_sgpr_dispatch_id 0
		.amdhsa_user_sgpr_kernarg_preload_length 0
		.amdhsa_user_sgpr_kernarg_preload_offset 0
		.amdhsa_user_sgpr_private_segment_size 0
		.amdhsa_wavefront_size32 1
		.amdhsa_uses_dynamic_stack 0
		.amdhsa_enable_private_segment 0
		.amdhsa_system_sgpr_workgroup_id_x 1
		.amdhsa_system_sgpr_workgroup_id_y 0
		.amdhsa_system_sgpr_workgroup_id_z 0
		.amdhsa_system_sgpr_workgroup_info 0
		.amdhsa_system_vgpr_workitem_id 0
		.amdhsa_next_free_vgpr 1
		.amdhsa_next_free_sgpr 1
		.amdhsa_named_barrier_count 0
		.amdhsa_reserve_vcc 0
		.amdhsa_float_round_mode_32 0
		.amdhsa_float_round_mode_16_64 0
		.amdhsa_float_denorm_mode_32 3
		.amdhsa_float_denorm_mode_16_64 3
		.amdhsa_fp16_overflow 0
		.amdhsa_memory_ordered 1
		.amdhsa_forward_progress 1
		.amdhsa_inst_pref_size 0
		.amdhsa_round_robin_scheduling 0
		.amdhsa_exception_fp_ieee_invalid_op 0
		.amdhsa_exception_fp_denorm_src 0
		.amdhsa_exception_fp_ieee_div_zero 0
		.amdhsa_exception_fp_ieee_overflow 0
		.amdhsa_exception_fp_ieee_underflow 0
		.amdhsa_exception_fp_ieee_inexact 0
		.amdhsa_exception_int_div_zero 0
	.end_amdhsa_kernel
	.section	.text._ZN7rocprim17ROCPRIM_400000_NS6detail17trampoline_kernelINS0_13select_configILj256ELj13ELNS0_17block_load_methodE3ELS4_3ELS4_3ELNS0_20block_scan_algorithmE0ELj4294967295EEENS1_25partition_config_selectorILNS1_17partition_subalgoE3EjNS0_10empty_typeEbEEZZNS1_14partition_implILS8_3ELb0ES6_jNS0_17counting_iteratorIjlEEPS9_SE_NS0_5tupleIJPjSE_EEENSF_IJSE_SE_EEES9_SG_JZNS1_25segmented_radix_sort_implINS0_14default_configELb1EPKhPhPKlPlN2at6native12_GLOBAL__N_18offset_tEEE10hipError_tPvRmT1_PNSt15iterator_traitsISY_E10value_typeET2_T3_PNSZ_IS14_E10value_typeET4_jRbjT5_S1A_jjP12ihipStream_tbEUljE_EEESV_SW_SX_S14_S18_S1A_T6_T7_T9_mT8_S1C_bDpT10_ENKUlT_T0_E_clISt17integral_constantIbLb0EES1O_IbLb1EEEEDaS1K_S1L_EUlS1K_E_NS1_11comp_targetILNS1_3genE4ELNS1_11target_archE910ELNS1_3gpuE8ELNS1_3repE0EEENS1_30default_config_static_selectorELNS0_4arch9wavefront6targetE0EEEvSY_,"axG",@progbits,_ZN7rocprim17ROCPRIM_400000_NS6detail17trampoline_kernelINS0_13select_configILj256ELj13ELNS0_17block_load_methodE3ELS4_3ELS4_3ELNS0_20block_scan_algorithmE0ELj4294967295EEENS1_25partition_config_selectorILNS1_17partition_subalgoE3EjNS0_10empty_typeEbEEZZNS1_14partition_implILS8_3ELb0ES6_jNS0_17counting_iteratorIjlEEPS9_SE_NS0_5tupleIJPjSE_EEENSF_IJSE_SE_EEES9_SG_JZNS1_25segmented_radix_sort_implINS0_14default_configELb1EPKhPhPKlPlN2at6native12_GLOBAL__N_18offset_tEEE10hipError_tPvRmT1_PNSt15iterator_traitsISY_E10value_typeET2_T3_PNSZ_IS14_E10value_typeET4_jRbjT5_S1A_jjP12ihipStream_tbEUljE_EEESV_SW_SX_S14_S18_S1A_T6_T7_T9_mT8_S1C_bDpT10_ENKUlT_T0_E_clISt17integral_constantIbLb0EES1O_IbLb1EEEEDaS1K_S1L_EUlS1K_E_NS1_11comp_targetILNS1_3genE4ELNS1_11target_archE910ELNS1_3gpuE8ELNS1_3repE0EEENS1_30default_config_static_selectorELNS0_4arch9wavefront6targetE0EEEvSY_,comdat
.Lfunc_end77:
	.size	_ZN7rocprim17ROCPRIM_400000_NS6detail17trampoline_kernelINS0_13select_configILj256ELj13ELNS0_17block_load_methodE3ELS4_3ELS4_3ELNS0_20block_scan_algorithmE0ELj4294967295EEENS1_25partition_config_selectorILNS1_17partition_subalgoE3EjNS0_10empty_typeEbEEZZNS1_14partition_implILS8_3ELb0ES6_jNS0_17counting_iteratorIjlEEPS9_SE_NS0_5tupleIJPjSE_EEENSF_IJSE_SE_EEES9_SG_JZNS1_25segmented_radix_sort_implINS0_14default_configELb1EPKhPhPKlPlN2at6native12_GLOBAL__N_18offset_tEEE10hipError_tPvRmT1_PNSt15iterator_traitsISY_E10value_typeET2_T3_PNSZ_IS14_E10value_typeET4_jRbjT5_S1A_jjP12ihipStream_tbEUljE_EEESV_SW_SX_S14_S18_S1A_T6_T7_T9_mT8_S1C_bDpT10_ENKUlT_T0_E_clISt17integral_constantIbLb0EES1O_IbLb1EEEEDaS1K_S1L_EUlS1K_E_NS1_11comp_targetILNS1_3genE4ELNS1_11target_archE910ELNS1_3gpuE8ELNS1_3repE0EEENS1_30default_config_static_selectorELNS0_4arch9wavefront6targetE0EEEvSY_, .Lfunc_end77-_ZN7rocprim17ROCPRIM_400000_NS6detail17trampoline_kernelINS0_13select_configILj256ELj13ELNS0_17block_load_methodE3ELS4_3ELS4_3ELNS0_20block_scan_algorithmE0ELj4294967295EEENS1_25partition_config_selectorILNS1_17partition_subalgoE3EjNS0_10empty_typeEbEEZZNS1_14partition_implILS8_3ELb0ES6_jNS0_17counting_iteratorIjlEEPS9_SE_NS0_5tupleIJPjSE_EEENSF_IJSE_SE_EEES9_SG_JZNS1_25segmented_radix_sort_implINS0_14default_configELb1EPKhPhPKlPlN2at6native12_GLOBAL__N_18offset_tEEE10hipError_tPvRmT1_PNSt15iterator_traitsISY_E10value_typeET2_T3_PNSZ_IS14_E10value_typeET4_jRbjT5_S1A_jjP12ihipStream_tbEUljE_EEESV_SW_SX_S14_S18_S1A_T6_T7_T9_mT8_S1C_bDpT10_ENKUlT_T0_E_clISt17integral_constantIbLb0EES1O_IbLb1EEEEDaS1K_S1L_EUlS1K_E_NS1_11comp_targetILNS1_3genE4ELNS1_11target_archE910ELNS1_3gpuE8ELNS1_3repE0EEENS1_30default_config_static_selectorELNS0_4arch9wavefront6targetE0EEEvSY_
                                        ; -- End function
	.set _ZN7rocprim17ROCPRIM_400000_NS6detail17trampoline_kernelINS0_13select_configILj256ELj13ELNS0_17block_load_methodE3ELS4_3ELS4_3ELNS0_20block_scan_algorithmE0ELj4294967295EEENS1_25partition_config_selectorILNS1_17partition_subalgoE3EjNS0_10empty_typeEbEEZZNS1_14partition_implILS8_3ELb0ES6_jNS0_17counting_iteratorIjlEEPS9_SE_NS0_5tupleIJPjSE_EEENSF_IJSE_SE_EEES9_SG_JZNS1_25segmented_radix_sort_implINS0_14default_configELb1EPKhPhPKlPlN2at6native12_GLOBAL__N_18offset_tEEE10hipError_tPvRmT1_PNSt15iterator_traitsISY_E10value_typeET2_T3_PNSZ_IS14_E10value_typeET4_jRbjT5_S1A_jjP12ihipStream_tbEUljE_EEESV_SW_SX_S14_S18_S1A_T6_T7_T9_mT8_S1C_bDpT10_ENKUlT_T0_E_clISt17integral_constantIbLb0EES1O_IbLb1EEEEDaS1K_S1L_EUlS1K_E_NS1_11comp_targetILNS1_3genE4ELNS1_11target_archE910ELNS1_3gpuE8ELNS1_3repE0EEENS1_30default_config_static_selectorELNS0_4arch9wavefront6targetE0EEEvSY_.num_vgpr, 0
	.set _ZN7rocprim17ROCPRIM_400000_NS6detail17trampoline_kernelINS0_13select_configILj256ELj13ELNS0_17block_load_methodE3ELS4_3ELS4_3ELNS0_20block_scan_algorithmE0ELj4294967295EEENS1_25partition_config_selectorILNS1_17partition_subalgoE3EjNS0_10empty_typeEbEEZZNS1_14partition_implILS8_3ELb0ES6_jNS0_17counting_iteratorIjlEEPS9_SE_NS0_5tupleIJPjSE_EEENSF_IJSE_SE_EEES9_SG_JZNS1_25segmented_radix_sort_implINS0_14default_configELb1EPKhPhPKlPlN2at6native12_GLOBAL__N_18offset_tEEE10hipError_tPvRmT1_PNSt15iterator_traitsISY_E10value_typeET2_T3_PNSZ_IS14_E10value_typeET4_jRbjT5_S1A_jjP12ihipStream_tbEUljE_EEESV_SW_SX_S14_S18_S1A_T6_T7_T9_mT8_S1C_bDpT10_ENKUlT_T0_E_clISt17integral_constantIbLb0EES1O_IbLb1EEEEDaS1K_S1L_EUlS1K_E_NS1_11comp_targetILNS1_3genE4ELNS1_11target_archE910ELNS1_3gpuE8ELNS1_3repE0EEENS1_30default_config_static_selectorELNS0_4arch9wavefront6targetE0EEEvSY_.num_agpr, 0
	.set _ZN7rocprim17ROCPRIM_400000_NS6detail17trampoline_kernelINS0_13select_configILj256ELj13ELNS0_17block_load_methodE3ELS4_3ELS4_3ELNS0_20block_scan_algorithmE0ELj4294967295EEENS1_25partition_config_selectorILNS1_17partition_subalgoE3EjNS0_10empty_typeEbEEZZNS1_14partition_implILS8_3ELb0ES6_jNS0_17counting_iteratorIjlEEPS9_SE_NS0_5tupleIJPjSE_EEENSF_IJSE_SE_EEES9_SG_JZNS1_25segmented_radix_sort_implINS0_14default_configELb1EPKhPhPKlPlN2at6native12_GLOBAL__N_18offset_tEEE10hipError_tPvRmT1_PNSt15iterator_traitsISY_E10value_typeET2_T3_PNSZ_IS14_E10value_typeET4_jRbjT5_S1A_jjP12ihipStream_tbEUljE_EEESV_SW_SX_S14_S18_S1A_T6_T7_T9_mT8_S1C_bDpT10_ENKUlT_T0_E_clISt17integral_constantIbLb0EES1O_IbLb1EEEEDaS1K_S1L_EUlS1K_E_NS1_11comp_targetILNS1_3genE4ELNS1_11target_archE910ELNS1_3gpuE8ELNS1_3repE0EEENS1_30default_config_static_selectorELNS0_4arch9wavefront6targetE0EEEvSY_.numbered_sgpr, 0
	.set _ZN7rocprim17ROCPRIM_400000_NS6detail17trampoline_kernelINS0_13select_configILj256ELj13ELNS0_17block_load_methodE3ELS4_3ELS4_3ELNS0_20block_scan_algorithmE0ELj4294967295EEENS1_25partition_config_selectorILNS1_17partition_subalgoE3EjNS0_10empty_typeEbEEZZNS1_14partition_implILS8_3ELb0ES6_jNS0_17counting_iteratorIjlEEPS9_SE_NS0_5tupleIJPjSE_EEENSF_IJSE_SE_EEES9_SG_JZNS1_25segmented_radix_sort_implINS0_14default_configELb1EPKhPhPKlPlN2at6native12_GLOBAL__N_18offset_tEEE10hipError_tPvRmT1_PNSt15iterator_traitsISY_E10value_typeET2_T3_PNSZ_IS14_E10value_typeET4_jRbjT5_S1A_jjP12ihipStream_tbEUljE_EEESV_SW_SX_S14_S18_S1A_T6_T7_T9_mT8_S1C_bDpT10_ENKUlT_T0_E_clISt17integral_constantIbLb0EES1O_IbLb1EEEEDaS1K_S1L_EUlS1K_E_NS1_11comp_targetILNS1_3genE4ELNS1_11target_archE910ELNS1_3gpuE8ELNS1_3repE0EEENS1_30default_config_static_selectorELNS0_4arch9wavefront6targetE0EEEvSY_.num_named_barrier, 0
	.set _ZN7rocprim17ROCPRIM_400000_NS6detail17trampoline_kernelINS0_13select_configILj256ELj13ELNS0_17block_load_methodE3ELS4_3ELS4_3ELNS0_20block_scan_algorithmE0ELj4294967295EEENS1_25partition_config_selectorILNS1_17partition_subalgoE3EjNS0_10empty_typeEbEEZZNS1_14partition_implILS8_3ELb0ES6_jNS0_17counting_iteratorIjlEEPS9_SE_NS0_5tupleIJPjSE_EEENSF_IJSE_SE_EEES9_SG_JZNS1_25segmented_radix_sort_implINS0_14default_configELb1EPKhPhPKlPlN2at6native12_GLOBAL__N_18offset_tEEE10hipError_tPvRmT1_PNSt15iterator_traitsISY_E10value_typeET2_T3_PNSZ_IS14_E10value_typeET4_jRbjT5_S1A_jjP12ihipStream_tbEUljE_EEESV_SW_SX_S14_S18_S1A_T6_T7_T9_mT8_S1C_bDpT10_ENKUlT_T0_E_clISt17integral_constantIbLb0EES1O_IbLb1EEEEDaS1K_S1L_EUlS1K_E_NS1_11comp_targetILNS1_3genE4ELNS1_11target_archE910ELNS1_3gpuE8ELNS1_3repE0EEENS1_30default_config_static_selectorELNS0_4arch9wavefront6targetE0EEEvSY_.private_seg_size, 0
	.set _ZN7rocprim17ROCPRIM_400000_NS6detail17trampoline_kernelINS0_13select_configILj256ELj13ELNS0_17block_load_methodE3ELS4_3ELS4_3ELNS0_20block_scan_algorithmE0ELj4294967295EEENS1_25partition_config_selectorILNS1_17partition_subalgoE3EjNS0_10empty_typeEbEEZZNS1_14partition_implILS8_3ELb0ES6_jNS0_17counting_iteratorIjlEEPS9_SE_NS0_5tupleIJPjSE_EEENSF_IJSE_SE_EEES9_SG_JZNS1_25segmented_radix_sort_implINS0_14default_configELb1EPKhPhPKlPlN2at6native12_GLOBAL__N_18offset_tEEE10hipError_tPvRmT1_PNSt15iterator_traitsISY_E10value_typeET2_T3_PNSZ_IS14_E10value_typeET4_jRbjT5_S1A_jjP12ihipStream_tbEUljE_EEESV_SW_SX_S14_S18_S1A_T6_T7_T9_mT8_S1C_bDpT10_ENKUlT_T0_E_clISt17integral_constantIbLb0EES1O_IbLb1EEEEDaS1K_S1L_EUlS1K_E_NS1_11comp_targetILNS1_3genE4ELNS1_11target_archE910ELNS1_3gpuE8ELNS1_3repE0EEENS1_30default_config_static_selectorELNS0_4arch9wavefront6targetE0EEEvSY_.uses_vcc, 0
	.set _ZN7rocprim17ROCPRIM_400000_NS6detail17trampoline_kernelINS0_13select_configILj256ELj13ELNS0_17block_load_methodE3ELS4_3ELS4_3ELNS0_20block_scan_algorithmE0ELj4294967295EEENS1_25partition_config_selectorILNS1_17partition_subalgoE3EjNS0_10empty_typeEbEEZZNS1_14partition_implILS8_3ELb0ES6_jNS0_17counting_iteratorIjlEEPS9_SE_NS0_5tupleIJPjSE_EEENSF_IJSE_SE_EEES9_SG_JZNS1_25segmented_radix_sort_implINS0_14default_configELb1EPKhPhPKlPlN2at6native12_GLOBAL__N_18offset_tEEE10hipError_tPvRmT1_PNSt15iterator_traitsISY_E10value_typeET2_T3_PNSZ_IS14_E10value_typeET4_jRbjT5_S1A_jjP12ihipStream_tbEUljE_EEESV_SW_SX_S14_S18_S1A_T6_T7_T9_mT8_S1C_bDpT10_ENKUlT_T0_E_clISt17integral_constantIbLb0EES1O_IbLb1EEEEDaS1K_S1L_EUlS1K_E_NS1_11comp_targetILNS1_3genE4ELNS1_11target_archE910ELNS1_3gpuE8ELNS1_3repE0EEENS1_30default_config_static_selectorELNS0_4arch9wavefront6targetE0EEEvSY_.uses_flat_scratch, 0
	.set _ZN7rocprim17ROCPRIM_400000_NS6detail17trampoline_kernelINS0_13select_configILj256ELj13ELNS0_17block_load_methodE3ELS4_3ELS4_3ELNS0_20block_scan_algorithmE0ELj4294967295EEENS1_25partition_config_selectorILNS1_17partition_subalgoE3EjNS0_10empty_typeEbEEZZNS1_14partition_implILS8_3ELb0ES6_jNS0_17counting_iteratorIjlEEPS9_SE_NS0_5tupleIJPjSE_EEENSF_IJSE_SE_EEES9_SG_JZNS1_25segmented_radix_sort_implINS0_14default_configELb1EPKhPhPKlPlN2at6native12_GLOBAL__N_18offset_tEEE10hipError_tPvRmT1_PNSt15iterator_traitsISY_E10value_typeET2_T3_PNSZ_IS14_E10value_typeET4_jRbjT5_S1A_jjP12ihipStream_tbEUljE_EEESV_SW_SX_S14_S18_S1A_T6_T7_T9_mT8_S1C_bDpT10_ENKUlT_T0_E_clISt17integral_constantIbLb0EES1O_IbLb1EEEEDaS1K_S1L_EUlS1K_E_NS1_11comp_targetILNS1_3genE4ELNS1_11target_archE910ELNS1_3gpuE8ELNS1_3repE0EEENS1_30default_config_static_selectorELNS0_4arch9wavefront6targetE0EEEvSY_.has_dyn_sized_stack, 0
	.set _ZN7rocprim17ROCPRIM_400000_NS6detail17trampoline_kernelINS0_13select_configILj256ELj13ELNS0_17block_load_methodE3ELS4_3ELS4_3ELNS0_20block_scan_algorithmE0ELj4294967295EEENS1_25partition_config_selectorILNS1_17partition_subalgoE3EjNS0_10empty_typeEbEEZZNS1_14partition_implILS8_3ELb0ES6_jNS0_17counting_iteratorIjlEEPS9_SE_NS0_5tupleIJPjSE_EEENSF_IJSE_SE_EEES9_SG_JZNS1_25segmented_radix_sort_implINS0_14default_configELb1EPKhPhPKlPlN2at6native12_GLOBAL__N_18offset_tEEE10hipError_tPvRmT1_PNSt15iterator_traitsISY_E10value_typeET2_T3_PNSZ_IS14_E10value_typeET4_jRbjT5_S1A_jjP12ihipStream_tbEUljE_EEESV_SW_SX_S14_S18_S1A_T6_T7_T9_mT8_S1C_bDpT10_ENKUlT_T0_E_clISt17integral_constantIbLb0EES1O_IbLb1EEEEDaS1K_S1L_EUlS1K_E_NS1_11comp_targetILNS1_3genE4ELNS1_11target_archE910ELNS1_3gpuE8ELNS1_3repE0EEENS1_30default_config_static_selectorELNS0_4arch9wavefront6targetE0EEEvSY_.has_recursion, 0
	.set _ZN7rocprim17ROCPRIM_400000_NS6detail17trampoline_kernelINS0_13select_configILj256ELj13ELNS0_17block_load_methodE3ELS4_3ELS4_3ELNS0_20block_scan_algorithmE0ELj4294967295EEENS1_25partition_config_selectorILNS1_17partition_subalgoE3EjNS0_10empty_typeEbEEZZNS1_14partition_implILS8_3ELb0ES6_jNS0_17counting_iteratorIjlEEPS9_SE_NS0_5tupleIJPjSE_EEENSF_IJSE_SE_EEES9_SG_JZNS1_25segmented_radix_sort_implINS0_14default_configELb1EPKhPhPKlPlN2at6native12_GLOBAL__N_18offset_tEEE10hipError_tPvRmT1_PNSt15iterator_traitsISY_E10value_typeET2_T3_PNSZ_IS14_E10value_typeET4_jRbjT5_S1A_jjP12ihipStream_tbEUljE_EEESV_SW_SX_S14_S18_S1A_T6_T7_T9_mT8_S1C_bDpT10_ENKUlT_T0_E_clISt17integral_constantIbLb0EES1O_IbLb1EEEEDaS1K_S1L_EUlS1K_E_NS1_11comp_targetILNS1_3genE4ELNS1_11target_archE910ELNS1_3gpuE8ELNS1_3repE0EEENS1_30default_config_static_selectorELNS0_4arch9wavefront6targetE0EEEvSY_.has_indirect_call, 0
	.section	.AMDGPU.csdata,"",@progbits
; Kernel info:
; codeLenInByte = 0
; TotalNumSgprs: 0
; NumVgprs: 0
; ScratchSize: 0
; MemoryBound: 0
; FloatMode: 240
; IeeeMode: 1
; LDSByteSize: 0 bytes/workgroup (compile time only)
; SGPRBlocks: 0
; VGPRBlocks: 0
; NumSGPRsForWavesPerEU: 1
; NumVGPRsForWavesPerEU: 1
; NamedBarCnt: 0
; Occupancy: 16
; WaveLimiterHint : 0
; COMPUTE_PGM_RSRC2:SCRATCH_EN: 0
; COMPUTE_PGM_RSRC2:USER_SGPR: 2
; COMPUTE_PGM_RSRC2:TRAP_HANDLER: 0
; COMPUTE_PGM_RSRC2:TGID_X_EN: 1
; COMPUTE_PGM_RSRC2:TGID_Y_EN: 0
; COMPUTE_PGM_RSRC2:TGID_Z_EN: 0
; COMPUTE_PGM_RSRC2:TIDIG_COMP_CNT: 0
	.section	.text._ZN7rocprim17ROCPRIM_400000_NS6detail17trampoline_kernelINS0_13select_configILj256ELj13ELNS0_17block_load_methodE3ELS4_3ELS4_3ELNS0_20block_scan_algorithmE0ELj4294967295EEENS1_25partition_config_selectorILNS1_17partition_subalgoE3EjNS0_10empty_typeEbEEZZNS1_14partition_implILS8_3ELb0ES6_jNS0_17counting_iteratorIjlEEPS9_SE_NS0_5tupleIJPjSE_EEENSF_IJSE_SE_EEES9_SG_JZNS1_25segmented_radix_sort_implINS0_14default_configELb1EPKhPhPKlPlN2at6native12_GLOBAL__N_18offset_tEEE10hipError_tPvRmT1_PNSt15iterator_traitsISY_E10value_typeET2_T3_PNSZ_IS14_E10value_typeET4_jRbjT5_S1A_jjP12ihipStream_tbEUljE_EEESV_SW_SX_S14_S18_S1A_T6_T7_T9_mT8_S1C_bDpT10_ENKUlT_T0_E_clISt17integral_constantIbLb0EES1O_IbLb1EEEEDaS1K_S1L_EUlS1K_E_NS1_11comp_targetILNS1_3genE3ELNS1_11target_archE908ELNS1_3gpuE7ELNS1_3repE0EEENS1_30default_config_static_selectorELNS0_4arch9wavefront6targetE0EEEvSY_,"axG",@progbits,_ZN7rocprim17ROCPRIM_400000_NS6detail17trampoline_kernelINS0_13select_configILj256ELj13ELNS0_17block_load_methodE3ELS4_3ELS4_3ELNS0_20block_scan_algorithmE0ELj4294967295EEENS1_25partition_config_selectorILNS1_17partition_subalgoE3EjNS0_10empty_typeEbEEZZNS1_14partition_implILS8_3ELb0ES6_jNS0_17counting_iteratorIjlEEPS9_SE_NS0_5tupleIJPjSE_EEENSF_IJSE_SE_EEES9_SG_JZNS1_25segmented_radix_sort_implINS0_14default_configELb1EPKhPhPKlPlN2at6native12_GLOBAL__N_18offset_tEEE10hipError_tPvRmT1_PNSt15iterator_traitsISY_E10value_typeET2_T3_PNSZ_IS14_E10value_typeET4_jRbjT5_S1A_jjP12ihipStream_tbEUljE_EEESV_SW_SX_S14_S18_S1A_T6_T7_T9_mT8_S1C_bDpT10_ENKUlT_T0_E_clISt17integral_constantIbLb0EES1O_IbLb1EEEEDaS1K_S1L_EUlS1K_E_NS1_11comp_targetILNS1_3genE3ELNS1_11target_archE908ELNS1_3gpuE7ELNS1_3repE0EEENS1_30default_config_static_selectorELNS0_4arch9wavefront6targetE0EEEvSY_,comdat
	.globl	_ZN7rocprim17ROCPRIM_400000_NS6detail17trampoline_kernelINS0_13select_configILj256ELj13ELNS0_17block_load_methodE3ELS4_3ELS4_3ELNS0_20block_scan_algorithmE0ELj4294967295EEENS1_25partition_config_selectorILNS1_17partition_subalgoE3EjNS0_10empty_typeEbEEZZNS1_14partition_implILS8_3ELb0ES6_jNS0_17counting_iteratorIjlEEPS9_SE_NS0_5tupleIJPjSE_EEENSF_IJSE_SE_EEES9_SG_JZNS1_25segmented_radix_sort_implINS0_14default_configELb1EPKhPhPKlPlN2at6native12_GLOBAL__N_18offset_tEEE10hipError_tPvRmT1_PNSt15iterator_traitsISY_E10value_typeET2_T3_PNSZ_IS14_E10value_typeET4_jRbjT5_S1A_jjP12ihipStream_tbEUljE_EEESV_SW_SX_S14_S18_S1A_T6_T7_T9_mT8_S1C_bDpT10_ENKUlT_T0_E_clISt17integral_constantIbLb0EES1O_IbLb1EEEEDaS1K_S1L_EUlS1K_E_NS1_11comp_targetILNS1_3genE3ELNS1_11target_archE908ELNS1_3gpuE7ELNS1_3repE0EEENS1_30default_config_static_selectorELNS0_4arch9wavefront6targetE0EEEvSY_ ; -- Begin function _ZN7rocprim17ROCPRIM_400000_NS6detail17trampoline_kernelINS0_13select_configILj256ELj13ELNS0_17block_load_methodE3ELS4_3ELS4_3ELNS0_20block_scan_algorithmE0ELj4294967295EEENS1_25partition_config_selectorILNS1_17partition_subalgoE3EjNS0_10empty_typeEbEEZZNS1_14partition_implILS8_3ELb0ES6_jNS0_17counting_iteratorIjlEEPS9_SE_NS0_5tupleIJPjSE_EEENSF_IJSE_SE_EEES9_SG_JZNS1_25segmented_radix_sort_implINS0_14default_configELb1EPKhPhPKlPlN2at6native12_GLOBAL__N_18offset_tEEE10hipError_tPvRmT1_PNSt15iterator_traitsISY_E10value_typeET2_T3_PNSZ_IS14_E10value_typeET4_jRbjT5_S1A_jjP12ihipStream_tbEUljE_EEESV_SW_SX_S14_S18_S1A_T6_T7_T9_mT8_S1C_bDpT10_ENKUlT_T0_E_clISt17integral_constantIbLb0EES1O_IbLb1EEEEDaS1K_S1L_EUlS1K_E_NS1_11comp_targetILNS1_3genE3ELNS1_11target_archE908ELNS1_3gpuE7ELNS1_3repE0EEENS1_30default_config_static_selectorELNS0_4arch9wavefront6targetE0EEEvSY_
	.p2align	8
	.type	_ZN7rocprim17ROCPRIM_400000_NS6detail17trampoline_kernelINS0_13select_configILj256ELj13ELNS0_17block_load_methodE3ELS4_3ELS4_3ELNS0_20block_scan_algorithmE0ELj4294967295EEENS1_25partition_config_selectorILNS1_17partition_subalgoE3EjNS0_10empty_typeEbEEZZNS1_14partition_implILS8_3ELb0ES6_jNS0_17counting_iteratorIjlEEPS9_SE_NS0_5tupleIJPjSE_EEENSF_IJSE_SE_EEES9_SG_JZNS1_25segmented_radix_sort_implINS0_14default_configELb1EPKhPhPKlPlN2at6native12_GLOBAL__N_18offset_tEEE10hipError_tPvRmT1_PNSt15iterator_traitsISY_E10value_typeET2_T3_PNSZ_IS14_E10value_typeET4_jRbjT5_S1A_jjP12ihipStream_tbEUljE_EEESV_SW_SX_S14_S18_S1A_T6_T7_T9_mT8_S1C_bDpT10_ENKUlT_T0_E_clISt17integral_constantIbLb0EES1O_IbLb1EEEEDaS1K_S1L_EUlS1K_E_NS1_11comp_targetILNS1_3genE3ELNS1_11target_archE908ELNS1_3gpuE7ELNS1_3repE0EEENS1_30default_config_static_selectorELNS0_4arch9wavefront6targetE0EEEvSY_,@function
_ZN7rocprim17ROCPRIM_400000_NS6detail17trampoline_kernelINS0_13select_configILj256ELj13ELNS0_17block_load_methodE3ELS4_3ELS4_3ELNS0_20block_scan_algorithmE0ELj4294967295EEENS1_25partition_config_selectorILNS1_17partition_subalgoE3EjNS0_10empty_typeEbEEZZNS1_14partition_implILS8_3ELb0ES6_jNS0_17counting_iteratorIjlEEPS9_SE_NS0_5tupleIJPjSE_EEENSF_IJSE_SE_EEES9_SG_JZNS1_25segmented_radix_sort_implINS0_14default_configELb1EPKhPhPKlPlN2at6native12_GLOBAL__N_18offset_tEEE10hipError_tPvRmT1_PNSt15iterator_traitsISY_E10value_typeET2_T3_PNSZ_IS14_E10value_typeET4_jRbjT5_S1A_jjP12ihipStream_tbEUljE_EEESV_SW_SX_S14_S18_S1A_T6_T7_T9_mT8_S1C_bDpT10_ENKUlT_T0_E_clISt17integral_constantIbLb0EES1O_IbLb1EEEEDaS1K_S1L_EUlS1K_E_NS1_11comp_targetILNS1_3genE3ELNS1_11target_archE908ELNS1_3gpuE7ELNS1_3repE0EEENS1_30default_config_static_selectorELNS0_4arch9wavefront6targetE0EEEvSY_: ; @_ZN7rocprim17ROCPRIM_400000_NS6detail17trampoline_kernelINS0_13select_configILj256ELj13ELNS0_17block_load_methodE3ELS4_3ELS4_3ELNS0_20block_scan_algorithmE0ELj4294967295EEENS1_25partition_config_selectorILNS1_17partition_subalgoE3EjNS0_10empty_typeEbEEZZNS1_14partition_implILS8_3ELb0ES6_jNS0_17counting_iteratorIjlEEPS9_SE_NS0_5tupleIJPjSE_EEENSF_IJSE_SE_EEES9_SG_JZNS1_25segmented_radix_sort_implINS0_14default_configELb1EPKhPhPKlPlN2at6native12_GLOBAL__N_18offset_tEEE10hipError_tPvRmT1_PNSt15iterator_traitsISY_E10value_typeET2_T3_PNSZ_IS14_E10value_typeET4_jRbjT5_S1A_jjP12ihipStream_tbEUljE_EEESV_SW_SX_S14_S18_S1A_T6_T7_T9_mT8_S1C_bDpT10_ENKUlT_T0_E_clISt17integral_constantIbLb0EES1O_IbLb1EEEEDaS1K_S1L_EUlS1K_E_NS1_11comp_targetILNS1_3genE3ELNS1_11target_archE908ELNS1_3gpuE7ELNS1_3repE0EEENS1_30default_config_static_selectorELNS0_4arch9wavefront6targetE0EEEvSY_
; %bb.0:
	.section	.rodata,"a",@progbits
	.p2align	6, 0x0
	.amdhsa_kernel _ZN7rocprim17ROCPRIM_400000_NS6detail17trampoline_kernelINS0_13select_configILj256ELj13ELNS0_17block_load_methodE3ELS4_3ELS4_3ELNS0_20block_scan_algorithmE0ELj4294967295EEENS1_25partition_config_selectorILNS1_17partition_subalgoE3EjNS0_10empty_typeEbEEZZNS1_14partition_implILS8_3ELb0ES6_jNS0_17counting_iteratorIjlEEPS9_SE_NS0_5tupleIJPjSE_EEENSF_IJSE_SE_EEES9_SG_JZNS1_25segmented_radix_sort_implINS0_14default_configELb1EPKhPhPKlPlN2at6native12_GLOBAL__N_18offset_tEEE10hipError_tPvRmT1_PNSt15iterator_traitsISY_E10value_typeET2_T3_PNSZ_IS14_E10value_typeET4_jRbjT5_S1A_jjP12ihipStream_tbEUljE_EEESV_SW_SX_S14_S18_S1A_T6_T7_T9_mT8_S1C_bDpT10_ENKUlT_T0_E_clISt17integral_constantIbLb0EES1O_IbLb1EEEEDaS1K_S1L_EUlS1K_E_NS1_11comp_targetILNS1_3genE3ELNS1_11target_archE908ELNS1_3gpuE7ELNS1_3repE0EEENS1_30default_config_static_selectorELNS0_4arch9wavefront6targetE0EEEvSY_
		.amdhsa_group_segment_fixed_size 0
		.amdhsa_private_segment_fixed_size 0
		.amdhsa_kernarg_size 152
		.amdhsa_user_sgpr_count 2
		.amdhsa_user_sgpr_dispatch_ptr 0
		.amdhsa_user_sgpr_queue_ptr 0
		.amdhsa_user_sgpr_kernarg_segment_ptr 1
		.amdhsa_user_sgpr_dispatch_id 0
		.amdhsa_user_sgpr_kernarg_preload_length 0
		.amdhsa_user_sgpr_kernarg_preload_offset 0
		.amdhsa_user_sgpr_private_segment_size 0
		.amdhsa_wavefront_size32 1
		.amdhsa_uses_dynamic_stack 0
		.amdhsa_enable_private_segment 0
		.amdhsa_system_sgpr_workgroup_id_x 1
		.amdhsa_system_sgpr_workgroup_id_y 0
		.amdhsa_system_sgpr_workgroup_id_z 0
		.amdhsa_system_sgpr_workgroup_info 0
		.amdhsa_system_vgpr_workitem_id 0
		.amdhsa_next_free_vgpr 1
		.amdhsa_next_free_sgpr 1
		.amdhsa_named_barrier_count 0
		.amdhsa_reserve_vcc 0
		.amdhsa_float_round_mode_32 0
		.amdhsa_float_round_mode_16_64 0
		.amdhsa_float_denorm_mode_32 3
		.amdhsa_float_denorm_mode_16_64 3
		.amdhsa_fp16_overflow 0
		.amdhsa_memory_ordered 1
		.amdhsa_forward_progress 1
		.amdhsa_inst_pref_size 0
		.amdhsa_round_robin_scheduling 0
		.amdhsa_exception_fp_ieee_invalid_op 0
		.amdhsa_exception_fp_denorm_src 0
		.amdhsa_exception_fp_ieee_div_zero 0
		.amdhsa_exception_fp_ieee_overflow 0
		.amdhsa_exception_fp_ieee_underflow 0
		.amdhsa_exception_fp_ieee_inexact 0
		.amdhsa_exception_int_div_zero 0
	.end_amdhsa_kernel
	.section	.text._ZN7rocprim17ROCPRIM_400000_NS6detail17trampoline_kernelINS0_13select_configILj256ELj13ELNS0_17block_load_methodE3ELS4_3ELS4_3ELNS0_20block_scan_algorithmE0ELj4294967295EEENS1_25partition_config_selectorILNS1_17partition_subalgoE3EjNS0_10empty_typeEbEEZZNS1_14partition_implILS8_3ELb0ES6_jNS0_17counting_iteratorIjlEEPS9_SE_NS0_5tupleIJPjSE_EEENSF_IJSE_SE_EEES9_SG_JZNS1_25segmented_radix_sort_implINS0_14default_configELb1EPKhPhPKlPlN2at6native12_GLOBAL__N_18offset_tEEE10hipError_tPvRmT1_PNSt15iterator_traitsISY_E10value_typeET2_T3_PNSZ_IS14_E10value_typeET4_jRbjT5_S1A_jjP12ihipStream_tbEUljE_EEESV_SW_SX_S14_S18_S1A_T6_T7_T9_mT8_S1C_bDpT10_ENKUlT_T0_E_clISt17integral_constantIbLb0EES1O_IbLb1EEEEDaS1K_S1L_EUlS1K_E_NS1_11comp_targetILNS1_3genE3ELNS1_11target_archE908ELNS1_3gpuE7ELNS1_3repE0EEENS1_30default_config_static_selectorELNS0_4arch9wavefront6targetE0EEEvSY_,"axG",@progbits,_ZN7rocprim17ROCPRIM_400000_NS6detail17trampoline_kernelINS0_13select_configILj256ELj13ELNS0_17block_load_methodE3ELS4_3ELS4_3ELNS0_20block_scan_algorithmE0ELj4294967295EEENS1_25partition_config_selectorILNS1_17partition_subalgoE3EjNS0_10empty_typeEbEEZZNS1_14partition_implILS8_3ELb0ES6_jNS0_17counting_iteratorIjlEEPS9_SE_NS0_5tupleIJPjSE_EEENSF_IJSE_SE_EEES9_SG_JZNS1_25segmented_radix_sort_implINS0_14default_configELb1EPKhPhPKlPlN2at6native12_GLOBAL__N_18offset_tEEE10hipError_tPvRmT1_PNSt15iterator_traitsISY_E10value_typeET2_T3_PNSZ_IS14_E10value_typeET4_jRbjT5_S1A_jjP12ihipStream_tbEUljE_EEESV_SW_SX_S14_S18_S1A_T6_T7_T9_mT8_S1C_bDpT10_ENKUlT_T0_E_clISt17integral_constantIbLb0EES1O_IbLb1EEEEDaS1K_S1L_EUlS1K_E_NS1_11comp_targetILNS1_3genE3ELNS1_11target_archE908ELNS1_3gpuE7ELNS1_3repE0EEENS1_30default_config_static_selectorELNS0_4arch9wavefront6targetE0EEEvSY_,comdat
.Lfunc_end78:
	.size	_ZN7rocprim17ROCPRIM_400000_NS6detail17trampoline_kernelINS0_13select_configILj256ELj13ELNS0_17block_load_methodE3ELS4_3ELS4_3ELNS0_20block_scan_algorithmE0ELj4294967295EEENS1_25partition_config_selectorILNS1_17partition_subalgoE3EjNS0_10empty_typeEbEEZZNS1_14partition_implILS8_3ELb0ES6_jNS0_17counting_iteratorIjlEEPS9_SE_NS0_5tupleIJPjSE_EEENSF_IJSE_SE_EEES9_SG_JZNS1_25segmented_radix_sort_implINS0_14default_configELb1EPKhPhPKlPlN2at6native12_GLOBAL__N_18offset_tEEE10hipError_tPvRmT1_PNSt15iterator_traitsISY_E10value_typeET2_T3_PNSZ_IS14_E10value_typeET4_jRbjT5_S1A_jjP12ihipStream_tbEUljE_EEESV_SW_SX_S14_S18_S1A_T6_T7_T9_mT8_S1C_bDpT10_ENKUlT_T0_E_clISt17integral_constantIbLb0EES1O_IbLb1EEEEDaS1K_S1L_EUlS1K_E_NS1_11comp_targetILNS1_3genE3ELNS1_11target_archE908ELNS1_3gpuE7ELNS1_3repE0EEENS1_30default_config_static_selectorELNS0_4arch9wavefront6targetE0EEEvSY_, .Lfunc_end78-_ZN7rocprim17ROCPRIM_400000_NS6detail17trampoline_kernelINS0_13select_configILj256ELj13ELNS0_17block_load_methodE3ELS4_3ELS4_3ELNS0_20block_scan_algorithmE0ELj4294967295EEENS1_25partition_config_selectorILNS1_17partition_subalgoE3EjNS0_10empty_typeEbEEZZNS1_14partition_implILS8_3ELb0ES6_jNS0_17counting_iteratorIjlEEPS9_SE_NS0_5tupleIJPjSE_EEENSF_IJSE_SE_EEES9_SG_JZNS1_25segmented_radix_sort_implINS0_14default_configELb1EPKhPhPKlPlN2at6native12_GLOBAL__N_18offset_tEEE10hipError_tPvRmT1_PNSt15iterator_traitsISY_E10value_typeET2_T3_PNSZ_IS14_E10value_typeET4_jRbjT5_S1A_jjP12ihipStream_tbEUljE_EEESV_SW_SX_S14_S18_S1A_T6_T7_T9_mT8_S1C_bDpT10_ENKUlT_T0_E_clISt17integral_constantIbLb0EES1O_IbLb1EEEEDaS1K_S1L_EUlS1K_E_NS1_11comp_targetILNS1_3genE3ELNS1_11target_archE908ELNS1_3gpuE7ELNS1_3repE0EEENS1_30default_config_static_selectorELNS0_4arch9wavefront6targetE0EEEvSY_
                                        ; -- End function
	.set _ZN7rocprim17ROCPRIM_400000_NS6detail17trampoline_kernelINS0_13select_configILj256ELj13ELNS0_17block_load_methodE3ELS4_3ELS4_3ELNS0_20block_scan_algorithmE0ELj4294967295EEENS1_25partition_config_selectorILNS1_17partition_subalgoE3EjNS0_10empty_typeEbEEZZNS1_14partition_implILS8_3ELb0ES6_jNS0_17counting_iteratorIjlEEPS9_SE_NS0_5tupleIJPjSE_EEENSF_IJSE_SE_EEES9_SG_JZNS1_25segmented_radix_sort_implINS0_14default_configELb1EPKhPhPKlPlN2at6native12_GLOBAL__N_18offset_tEEE10hipError_tPvRmT1_PNSt15iterator_traitsISY_E10value_typeET2_T3_PNSZ_IS14_E10value_typeET4_jRbjT5_S1A_jjP12ihipStream_tbEUljE_EEESV_SW_SX_S14_S18_S1A_T6_T7_T9_mT8_S1C_bDpT10_ENKUlT_T0_E_clISt17integral_constantIbLb0EES1O_IbLb1EEEEDaS1K_S1L_EUlS1K_E_NS1_11comp_targetILNS1_3genE3ELNS1_11target_archE908ELNS1_3gpuE7ELNS1_3repE0EEENS1_30default_config_static_selectorELNS0_4arch9wavefront6targetE0EEEvSY_.num_vgpr, 0
	.set _ZN7rocprim17ROCPRIM_400000_NS6detail17trampoline_kernelINS0_13select_configILj256ELj13ELNS0_17block_load_methodE3ELS4_3ELS4_3ELNS0_20block_scan_algorithmE0ELj4294967295EEENS1_25partition_config_selectorILNS1_17partition_subalgoE3EjNS0_10empty_typeEbEEZZNS1_14partition_implILS8_3ELb0ES6_jNS0_17counting_iteratorIjlEEPS9_SE_NS0_5tupleIJPjSE_EEENSF_IJSE_SE_EEES9_SG_JZNS1_25segmented_radix_sort_implINS0_14default_configELb1EPKhPhPKlPlN2at6native12_GLOBAL__N_18offset_tEEE10hipError_tPvRmT1_PNSt15iterator_traitsISY_E10value_typeET2_T3_PNSZ_IS14_E10value_typeET4_jRbjT5_S1A_jjP12ihipStream_tbEUljE_EEESV_SW_SX_S14_S18_S1A_T6_T7_T9_mT8_S1C_bDpT10_ENKUlT_T0_E_clISt17integral_constantIbLb0EES1O_IbLb1EEEEDaS1K_S1L_EUlS1K_E_NS1_11comp_targetILNS1_3genE3ELNS1_11target_archE908ELNS1_3gpuE7ELNS1_3repE0EEENS1_30default_config_static_selectorELNS0_4arch9wavefront6targetE0EEEvSY_.num_agpr, 0
	.set _ZN7rocprim17ROCPRIM_400000_NS6detail17trampoline_kernelINS0_13select_configILj256ELj13ELNS0_17block_load_methodE3ELS4_3ELS4_3ELNS0_20block_scan_algorithmE0ELj4294967295EEENS1_25partition_config_selectorILNS1_17partition_subalgoE3EjNS0_10empty_typeEbEEZZNS1_14partition_implILS8_3ELb0ES6_jNS0_17counting_iteratorIjlEEPS9_SE_NS0_5tupleIJPjSE_EEENSF_IJSE_SE_EEES9_SG_JZNS1_25segmented_radix_sort_implINS0_14default_configELb1EPKhPhPKlPlN2at6native12_GLOBAL__N_18offset_tEEE10hipError_tPvRmT1_PNSt15iterator_traitsISY_E10value_typeET2_T3_PNSZ_IS14_E10value_typeET4_jRbjT5_S1A_jjP12ihipStream_tbEUljE_EEESV_SW_SX_S14_S18_S1A_T6_T7_T9_mT8_S1C_bDpT10_ENKUlT_T0_E_clISt17integral_constantIbLb0EES1O_IbLb1EEEEDaS1K_S1L_EUlS1K_E_NS1_11comp_targetILNS1_3genE3ELNS1_11target_archE908ELNS1_3gpuE7ELNS1_3repE0EEENS1_30default_config_static_selectorELNS0_4arch9wavefront6targetE0EEEvSY_.numbered_sgpr, 0
	.set _ZN7rocprim17ROCPRIM_400000_NS6detail17trampoline_kernelINS0_13select_configILj256ELj13ELNS0_17block_load_methodE3ELS4_3ELS4_3ELNS0_20block_scan_algorithmE0ELj4294967295EEENS1_25partition_config_selectorILNS1_17partition_subalgoE3EjNS0_10empty_typeEbEEZZNS1_14partition_implILS8_3ELb0ES6_jNS0_17counting_iteratorIjlEEPS9_SE_NS0_5tupleIJPjSE_EEENSF_IJSE_SE_EEES9_SG_JZNS1_25segmented_radix_sort_implINS0_14default_configELb1EPKhPhPKlPlN2at6native12_GLOBAL__N_18offset_tEEE10hipError_tPvRmT1_PNSt15iterator_traitsISY_E10value_typeET2_T3_PNSZ_IS14_E10value_typeET4_jRbjT5_S1A_jjP12ihipStream_tbEUljE_EEESV_SW_SX_S14_S18_S1A_T6_T7_T9_mT8_S1C_bDpT10_ENKUlT_T0_E_clISt17integral_constantIbLb0EES1O_IbLb1EEEEDaS1K_S1L_EUlS1K_E_NS1_11comp_targetILNS1_3genE3ELNS1_11target_archE908ELNS1_3gpuE7ELNS1_3repE0EEENS1_30default_config_static_selectorELNS0_4arch9wavefront6targetE0EEEvSY_.num_named_barrier, 0
	.set _ZN7rocprim17ROCPRIM_400000_NS6detail17trampoline_kernelINS0_13select_configILj256ELj13ELNS0_17block_load_methodE3ELS4_3ELS4_3ELNS0_20block_scan_algorithmE0ELj4294967295EEENS1_25partition_config_selectorILNS1_17partition_subalgoE3EjNS0_10empty_typeEbEEZZNS1_14partition_implILS8_3ELb0ES6_jNS0_17counting_iteratorIjlEEPS9_SE_NS0_5tupleIJPjSE_EEENSF_IJSE_SE_EEES9_SG_JZNS1_25segmented_radix_sort_implINS0_14default_configELb1EPKhPhPKlPlN2at6native12_GLOBAL__N_18offset_tEEE10hipError_tPvRmT1_PNSt15iterator_traitsISY_E10value_typeET2_T3_PNSZ_IS14_E10value_typeET4_jRbjT5_S1A_jjP12ihipStream_tbEUljE_EEESV_SW_SX_S14_S18_S1A_T6_T7_T9_mT8_S1C_bDpT10_ENKUlT_T0_E_clISt17integral_constantIbLb0EES1O_IbLb1EEEEDaS1K_S1L_EUlS1K_E_NS1_11comp_targetILNS1_3genE3ELNS1_11target_archE908ELNS1_3gpuE7ELNS1_3repE0EEENS1_30default_config_static_selectorELNS0_4arch9wavefront6targetE0EEEvSY_.private_seg_size, 0
	.set _ZN7rocprim17ROCPRIM_400000_NS6detail17trampoline_kernelINS0_13select_configILj256ELj13ELNS0_17block_load_methodE3ELS4_3ELS4_3ELNS0_20block_scan_algorithmE0ELj4294967295EEENS1_25partition_config_selectorILNS1_17partition_subalgoE3EjNS0_10empty_typeEbEEZZNS1_14partition_implILS8_3ELb0ES6_jNS0_17counting_iteratorIjlEEPS9_SE_NS0_5tupleIJPjSE_EEENSF_IJSE_SE_EEES9_SG_JZNS1_25segmented_radix_sort_implINS0_14default_configELb1EPKhPhPKlPlN2at6native12_GLOBAL__N_18offset_tEEE10hipError_tPvRmT1_PNSt15iterator_traitsISY_E10value_typeET2_T3_PNSZ_IS14_E10value_typeET4_jRbjT5_S1A_jjP12ihipStream_tbEUljE_EEESV_SW_SX_S14_S18_S1A_T6_T7_T9_mT8_S1C_bDpT10_ENKUlT_T0_E_clISt17integral_constantIbLb0EES1O_IbLb1EEEEDaS1K_S1L_EUlS1K_E_NS1_11comp_targetILNS1_3genE3ELNS1_11target_archE908ELNS1_3gpuE7ELNS1_3repE0EEENS1_30default_config_static_selectorELNS0_4arch9wavefront6targetE0EEEvSY_.uses_vcc, 0
	.set _ZN7rocprim17ROCPRIM_400000_NS6detail17trampoline_kernelINS0_13select_configILj256ELj13ELNS0_17block_load_methodE3ELS4_3ELS4_3ELNS0_20block_scan_algorithmE0ELj4294967295EEENS1_25partition_config_selectorILNS1_17partition_subalgoE3EjNS0_10empty_typeEbEEZZNS1_14partition_implILS8_3ELb0ES6_jNS0_17counting_iteratorIjlEEPS9_SE_NS0_5tupleIJPjSE_EEENSF_IJSE_SE_EEES9_SG_JZNS1_25segmented_radix_sort_implINS0_14default_configELb1EPKhPhPKlPlN2at6native12_GLOBAL__N_18offset_tEEE10hipError_tPvRmT1_PNSt15iterator_traitsISY_E10value_typeET2_T3_PNSZ_IS14_E10value_typeET4_jRbjT5_S1A_jjP12ihipStream_tbEUljE_EEESV_SW_SX_S14_S18_S1A_T6_T7_T9_mT8_S1C_bDpT10_ENKUlT_T0_E_clISt17integral_constantIbLb0EES1O_IbLb1EEEEDaS1K_S1L_EUlS1K_E_NS1_11comp_targetILNS1_3genE3ELNS1_11target_archE908ELNS1_3gpuE7ELNS1_3repE0EEENS1_30default_config_static_selectorELNS0_4arch9wavefront6targetE0EEEvSY_.uses_flat_scratch, 0
	.set _ZN7rocprim17ROCPRIM_400000_NS6detail17trampoline_kernelINS0_13select_configILj256ELj13ELNS0_17block_load_methodE3ELS4_3ELS4_3ELNS0_20block_scan_algorithmE0ELj4294967295EEENS1_25partition_config_selectorILNS1_17partition_subalgoE3EjNS0_10empty_typeEbEEZZNS1_14partition_implILS8_3ELb0ES6_jNS0_17counting_iteratorIjlEEPS9_SE_NS0_5tupleIJPjSE_EEENSF_IJSE_SE_EEES9_SG_JZNS1_25segmented_radix_sort_implINS0_14default_configELb1EPKhPhPKlPlN2at6native12_GLOBAL__N_18offset_tEEE10hipError_tPvRmT1_PNSt15iterator_traitsISY_E10value_typeET2_T3_PNSZ_IS14_E10value_typeET4_jRbjT5_S1A_jjP12ihipStream_tbEUljE_EEESV_SW_SX_S14_S18_S1A_T6_T7_T9_mT8_S1C_bDpT10_ENKUlT_T0_E_clISt17integral_constantIbLb0EES1O_IbLb1EEEEDaS1K_S1L_EUlS1K_E_NS1_11comp_targetILNS1_3genE3ELNS1_11target_archE908ELNS1_3gpuE7ELNS1_3repE0EEENS1_30default_config_static_selectorELNS0_4arch9wavefront6targetE0EEEvSY_.has_dyn_sized_stack, 0
	.set _ZN7rocprim17ROCPRIM_400000_NS6detail17trampoline_kernelINS0_13select_configILj256ELj13ELNS0_17block_load_methodE3ELS4_3ELS4_3ELNS0_20block_scan_algorithmE0ELj4294967295EEENS1_25partition_config_selectorILNS1_17partition_subalgoE3EjNS0_10empty_typeEbEEZZNS1_14partition_implILS8_3ELb0ES6_jNS0_17counting_iteratorIjlEEPS9_SE_NS0_5tupleIJPjSE_EEENSF_IJSE_SE_EEES9_SG_JZNS1_25segmented_radix_sort_implINS0_14default_configELb1EPKhPhPKlPlN2at6native12_GLOBAL__N_18offset_tEEE10hipError_tPvRmT1_PNSt15iterator_traitsISY_E10value_typeET2_T3_PNSZ_IS14_E10value_typeET4_jRbjT5_S1A_jjP12ihipStream_tbEUljE_EEESV_SW_SX_S14_S18_S1A_T6_T7_T9_mT8_S1C_bDpT10_ENKUlT_T0_E_clISt17integral_constantIbLb0EES1O_IbLb1EEEEDaS1K_S1L_EUlS1K_E_NS1_11comp_targetILNS1_3genE3ELNS1_11target_archE908ELNS1_3gpuE7ELNS1_3repE0EEENS1_30default_config_static_selectorELNS0_4arch9wavefront6targetE0EEEvSY_.has_recursion, 0
	.set _ZN7rocprim17ROCPRIM_400000_NS6detail17trampoline_kernelINS0_13select_configILj256ELj13ELNS0_17block_load_methodE3ELS4_3ELS4_3ELNS0_20block_scan_algorithmE0ELj4294967295EEENS1_25partition_config_selectorILNS1_17partition_subalgoE3EjNS0_10empty_typeEbEEZZNS1_14partition_implILS8_3ELb0ES6_jNS0_17counting_iteratorIjlEEPS9_SE_NS0_5tupleIJPjSE_EEENSF_IJSE_SE_EEES9_SG_JZNS1_25segmented_radix_sort_implINS0_14default_configELb1EPKhPhPKlPlN2at6native12_GLOBAL__N_18offset_tEEE10hipError_tPvRmT1_PNSt15iterator_traitsISY_E10value_typeET2_T3_PNSZ_IS14_E10value_typeET4_jRbjT5_S1A_jjP12ihipStream_tbEUljE_EEESV_SW_SX_S14_S18_S1A_T6_T7_T9_mT8_S1C_bDpT10_ENKUlT_T0_E_clISt17integral_constantIbLb0EES1O_IbLb1EEEEDaS1K_S1L_EUlS1K_E_NS1_11comp_targetILNS1_3genE3ELNS1_11target_archE908ELNS1_3gpuE7ELNS1_3repE0EEENS1_30default_config_static_selectorELNS0_4arch9wavefront6targetE0EEEvSY_.has_indirect_call, 0
	.section	.AMDGPU.csdata,"",@progbits
; Kernel info:
; codeLenInByte = 0
; TotalNumSgprs: 0
; NumVgprs: 0
; ScratchSize: 0
; MemoryBound: 0
; FloatMode: 240
; IeeeMode: 1
; LDSByteSize: 0 bytes/workgroup (compile time only)
; SGPRBlocks: 0
; VGPRBlocks: 0
; NumSGPRsForWavesPerEU: 1
; NumVGPRsForWavesPerEU: 1
; NamedBarCnt: 0
; Occupancy: 16
; WaveLimiterHint : 0
; COMPUTE_PGM_RSRC2:SCRATCH_EN: 0
; COMPUTE_PGM_RSRC2:USER_SGPR: 2
; COMPUTE_PGM_RSRC2:TRAP_HANDLER: 0
; COMPUTE_PGM_RSRC2:TGID_X_EN: 1
; COMPUTE_PGM_RSRC2:TGID_Y_EN: 0
; COMPUTE_PGM_RSRC2:TGID_Z_EN: 0
; COMPUTE_PGM_RSRC2:TIDIG_COMP_CNT: 0
	.section	.text._ZN7rocprim17ROCPRIM_400000_NS6detail17trampoline_kernelINS0_13select_configILj256ELj13ELNS0_17block_load_methodE3ELS4_3ELS4_3ELNS0_20block_scan_algorithmE0ELj4294967295EEENS1_25partition_config_selectorILNS1_17partition_subalgoE3EjNS0_10empty_typeEbEEZZNS1_14partition_implILS8_3ELb0ES6_jNS0_17counting_iteratorIjlEEPS9_SE_NS0_5tupleIJPjSE_EEENSF_IJSE_SE_EEES9_SG_JZNS1_25segmented_radix_sort_implINS0_14default_configELb1EPKhPhPKlPlN2at6native12_GLOBAL__N_18offset_tEEE10hipError_tPvRmT1_PNSt15iterator_traitsISY_E10value_typeET2_T3_PNSZ_IS14_E10value_typeET4_jRbjT5_S1A_jjP12ihipStream_tbEUljE_EEESV_SW_SX_S14_S18_S1A_T6_T7_T9_mT8_S1C_bDpT10_ENKUlT_T0_E_clISt17integral_constantIbLb0EES1O_IbLb1EEEEDaS1K_S1L_EUlS1K_E_NS1_11comp_targetILNS1_3genE2ELNS1_11target_archE906ELNS1_3gpuE6ELNS1_3repE0EEENS1_30default_config_static_selectorELNS0_4arch9wavefront6targetE0EEEvSY_,"axG",@progbits,_ZN7rocprim17ROCPRIM_400000_NS6detail17trampoline_kernelINS0_13select_configILj256ELj13ELNS0_17block_load_methodE3ELS4_3ELS4_3ELNS0_20block_scan_algorithmE0ELj4294967295EEENS1_25partition_config_selectorILNS1_17partition_subalgoE3EjNS0_10empty_typeEbEEZZNS1_14partition_implILS8_3ELb0ES6_jNS0_17counting_iteratorIjlEEPS9_SE_NS0_5tupleIJPjSE_EEENSF_IJSE_SE_EEES9_SG_JZNS1_25segmented_radix_sort_implINS0_14default_configELb1EPKhPhPKlPlN2at6native12_GLOBAL__N_18offset_tEEE10hipError_tPvRmT1_PNSt15iterator_traitsISY_E10value_typeET2_T3_PNSZ_IS14_E10value_typeET4_jRbjT5_S1A_jjP12ihipStream_tbEUljE_EEESV_SW_SX_S14_S18_S1A_T6_T7_T9_mT8_S1C_bDpT10_ENKUlT_T0_E_clISt17integral_constantIbLb0EES1O_IbLb1EEEEDaS1K_S1L_EUlS1K_E_NS1_11comp_targetILNS1_3genE2ELNS1_11target_archE906ELNS1_3gpuE6ELNS1_3repE0EEENS1_30default_config_static_selectorELNS0_4arch9wavefront6targetE0EEEvSY_,comdat
	.globl	_ZN7rocprim17ROCPRIM_400000_NS6detail17trampoline_kernelINS0_13select_configILj256ELj13ELNS0_17block_load_methodE3ELS4_3ELS4_3ELNS0_20block_scan_algorithmE0ELj4294967295EEENS1_25partition_config_selectorILNS1_17partition_subalgoE3EjNS0_10empty_typeEbEEZZNS1_14partition_implILS8_3ELb0ES6_jNS0_17counting_iteratorIjlEEPS9_SE_NS0_5tupleIJPjSE_EEENSF_IJSE_SE_EEES9_SG_JZNS1_25segmented_radix_sort_implINS0_14default_configELb1EPKhPhPKlPlN2at6native12_GLOBAL__N_18offset_tEEE10hipError_tPvRmT1_PNSt15iterator_traitsISY_E10value_typeET2_T3_PNSZ_IS14_E10value_typeET4_jRbjT5_S1A_jjP12ihipStream_tbEUljE_EEESV_SW_SX_S14_S18_S1A_T6_T7_T9_mT8_S1C_bDpT10_ENKUlT_T0_E_clISt17integral_constantIbLb0EES1O_IbLb1EEEEDaS1K_S1L_EUlS1K_E_NS1_11comp_targetILNS1_3genE2ELNS1_11target_archE906ELNS1_3gpuE6ELNS1_3repE0EEENS1_30default_config_static_selectorELNS0_4arch9wavefront6targetE0EEEvSY_ ; -- Begin function _ZN7rocprim17ROCPRIM_400000_NS6detail17trampoline_kernelINS0_13select_configILj256ELj13ELNS0_17block_load_methodE3ELS4_3ELS4_3ELNS0_20block_scan_algorithmE0ELj4294967295EEENS1_25partition_config_selectorILNS1_17partition_subalgoE3EjNS0_10empty_typeEbEEZZNS1_14partition_implILS8_3ELb0ES6_jNS0_17counting_iteratorIjlEEPS9_SE_NS0_5tupleIJPjSE_EEENSF_IJSE_SE_EEES9_SG_JZNS1_25segmented_radix_sort_implINS0_14default_configELb1EPKhPhPKlPlN2at6native12_GLOBAL__N_18offset_tEEE10hipError_tPvRmT1_PNSt15iterator_traitsISY_E10value_typeET2_T3_PNSZ_IS14_E10value_typeET4_jRbjT5_S1A_jjP12ihipStream_tbEUljE_EEESV_SW_SX_S14_S18_S1A_T6_T7_T9_mT8_S1C_bDpT10_ENKUlT_T0_E_clISt17integral_constantIbLb0EES1O_IbLb1EEEEDaS1K_S1L_EUlS1K_E_NS1_11comp_targetILNS1_3genE2ELNS1_11target_archE906ELNS1_3gpuE6ELNS1_3repE0EEENS1_30default_config_static_selectorELNS0_4arch9wavefront6targetE0EEEvSY_
	.p2align	8
	.type	_ZN7rocprim17ROCPRIM_400000_NS6detail17trampoline_kernelINS0_13select_configILj256ELj13ELNS0_17block_load_methodE3ELS4_3ELS4_3ELNS0_20block_scan_algorithmE0ELj4294967295EEENS1_25partition_config_selectorILNS1_17partition_subalgoE3EjNS0_10empty_typeEbEEZZNS1_14partition_implILS8_3ELb0ES6_jNS0_17counting_iteratorIjlEEPS9_SE_NS0_5tupleIJPjSE_EEENSF_IJSE_SE_EEES9_SG_JZNS1_25segmented_radix_sort_implINS0_14default_configELb1EPKhPhPKlPlN2at6native12_GLOBAL__N_18offset_tEEE10hipError_tPvRmT1_PNSt15iterator_traitsISY_E10value_typeET2_T3_PNSZ_IS14_E10value_typeET4_jRbjT5_S1A_jjP12ihipStream_tbEUljE_EEESV_SW_SX_S14_S18_S1A_T6_T7_T9_mT8_S1C_bDpT10_ENKUlT_T0_E_clISt17integral_constantIbLb0EES1O_IbLb1EEEEDaS1K_S1L_EUlS1K_E_NS1_11comp_targetILNS1_3genE2ELNS1_11target_archE906ELNS1_3gpuE6ELNS1_3repE0EEENS1_30default_config_static_selectorELNS0_4arch9wavefront6targetE0EEEvSY_,@function
_ZN7rocprim17ROCPRIM_400000_NS6detail17trampoline_kernelINS0_13select_configILj256ELj13ELNS0_17block_load_methodE3ELS4_3ELS4_3ELNS0_20block_scan_algorithmE0ELj4294967295EEENS1_25partition_config_selectorILNS1_17partition_subalgoE3EjNS0_10empty_typeEbEEZZNS1_14partition_implILS8_3ELb0ES6_jNS0_17counting_iteratorIjlEEPS9_SE_NS0_5tupleIJPjSE_EEENSF_IJSE_SE_EEES9_SG_JZNS1_25segmented_radix_sort_implINS0_14default_configELb1EPKhPhPKlPlN2at6native12_GLOBAL__N_18offset_tEEE10hipError_tPvRmT1_PNSt15iterator_traitsISY_E10value_typeET2_T3_PNSZ_IS14_E10value_typeET4_jRbjT5_S1A_jjP12ihipStream_tbEUljE_EEESV_SW_SX_S14_S18_S1A_T6_T7_T9_mT8_S1C_bDpT10_ENKUlT_T0_E_clISt17integral_constantIbLb0EES1O_IbLb1EEEEDaS1K_S1L_EUlS1K_E_NS1_11comp_targetILNS1_3genE2ELNS1_11target_archE906ELNS1_3gpuE6ELNS1_3repE0EEENS1_30default_config_static_selectorELNS0_4arch9wavefront6targetE0EEEvSY_: ; @_ZN7rocprim17ROCPRIM_400000_NS6detail17trampoline_kernelINS0_13select_configILj256ELj13ELNS0_17block_load_methodE3ELS4_3ELS4_3ELNS0_20block_scan_algorithmE0ELj4294967295EEENS1_25partition_config_selectorILNS1_17partition_subalgoE3EjNS0_10empty_typeEbEEZZNS1_14partition_implILS8_3ELb0ES6_jNS0_17counting_iteratorIjlEEPS9_SE_NS0_5tupleIJPjSE_EEENSF_IJSE_SE_EEES9_SG_JZNS1_25segmented_radix_sort_implINS0_14default_configELb1EPKhPhPKlPlN2at6native12_GLOBAL__N_18offset_tEEE10hipError_tPvRmT1_PNSt15iterator_traitsISY_E10value_typeET2_T3_PNSZ_IS14_E10value_typeET4_jRbjT5_S1A_jjP12ihipStream_tbEUljE_EEESV_SW_SX_S14_S18_S1A_T6_T7_T9_mT8_S1C_bDpT10_ENKUlT_T0_E_clISt17integral_constantIbLb0EES1O_IbLb1EEEEDaS1K_S1L_EUlS1K_E_NS1_11comp_targetILNS1_3genE2ELNS1_11target_archE906ELNS1_3gpuE6ELNS1_3repE0EEENS1_30default_config_static_selectorELNS0_4arch9wavefront6targetE0EEEvSY_
; %bb.0:
	.section	.rodata,"a",@progbits
	.p2align	6, 0x0
	.amdhsa_kernel _ZN7rocprim17ROCPRIM_400000_NS6detail17trampoline_kernelINS0_13select_configILj256ELj13ELNS0_17block_load_methodE3ELS4_3ELS4_3ELNS0_20block_scan_algorithmE0ELj4294967295EEENS1_25partition_config_selectorILNS1_17partition_subalgoE3EjNS0_10empty_typeEbEEZZNS1_14partition_implILS8_3ELb0ES6_jNS0_17counting_iteratorIjlEEPS9_SE_NS0_5tupleIJPjSE_EEENSF_IJSE_SE_EEES9_SG_JZNS1_25segmented_radix_sort_implINS0_14default_configELb1EPKhPhPKlPlN2at6native12_GLOBAL__N_18offset_tEEE10hipError_tPvRmT1_PNSt15iterator_traitsISY_E10value_typeET2_T3_PNSZ_IS14_E10value_typeET4_jRbjT5_S1A_jjP12ihipStream_tbEUljE_EEESV_SW_SX_S14_S18_S1A_T6_T7_T9_mT8_S1C_bDpT10_ENKUlT_T0_E_clISt17integral_constantIbLb0EES1O_IbLb1EEEEDaS1K_S1L_EUlS1K_E_NS1_11comp_targetILNS1_3genE2ELNS1_11target_archE906ELNS1_3gpuE6ELNS1_3repE0EEENS1_30default_config_static_selectorELNS0_4arch9wavefront6targetE0EEEvSY_
		.amdhsa_group_segment_fixed_size 0
		.amdhsa_private_segment_fixed_size 0
		.amdhsa_kernarg_size 152
		.amdhsa_user_sgpr_count 2
		.amdhsa_user_sgpr_dispatch_ptr 0
		.amdhsa_user_sgpr_queue_ptr 0
		.amdhsa_user_sgpr_kernarg_segment_ptr 1
		.amdhsa_user_sgpr_dispatch_id 0
		.amdhsa_user_sgpr_kernarg_preload_length 0
		.amdhsa_user_sgpr_kernarg_preload_offset 0
		.amdhsa_user_sgpr_private_segment_size 0
		.amdhsa_wavefront_size32 1
		.amdhsa_uses_dynamic_stack 0
		.amdhsa_enable_private_segment 0
		.amdhsa_system_sgpr_workgroup_id_x 1
		.amdhsa_system_sgpr_workgroup_id_y 0
		.amdhsa_system_sgpr_workgroup_id_z 0
		.amdhsa_system_sgpr_workgroup_info 0
		.amdhsa_system_vgpr_workitem_id 0
		.amdhsa_next_free_vgpr 1
		.amdhsa_next_free_sgpr 1
		.amdhsa_named_barrier_count 0
		.amdhsa_reserve_vcc 0
		.amdhsa_float_round_mode_32 0
		.amdhsa_float_round_mode_16_64 0
		.amdhsa_float_denorm_mode_32 3
		.amdhsa_float_denorm_mode_16_64 3
		.amdhsa_fp16_overflow 0
		.amdhsa_memory_ordered 1
		.amdhsa_forward_progress 1
		.amdhsa_inst_pref_size 0
		.amdhsa_round_robin_scheduling 0
		.amdhsa_exception_fp_ieee_invalid_op 0
		.amdhsa_exception_fp_denorm_src 0
		.amdhsa_exception_fp_ieee_div_zero 0
		.amdhsa_exception_fp_ieee_overflow 0
		.amdhsa_exception_fp_ieee_underflow 0
		.amdhsa_exception_fp_ieee_inexact 0
		.amdhsa_exception_int_div_zero 0
	.end_amdhsa_kernel
	.section	.text._ZN7rocprim17ROCPRIM_400000_NS6detail17trampoline_kernelINS0_13select_configILj256ELj13ELNS0_17block_load_methodE3ELS4_3ELS4_3ELNS0_20block_scan_algorithmE0ELj4294967295EEENS1_25partition_config_selectorILNS1_17partition_subalgoE3EjNS0_10empty_typeEbEEZZNS1_14partition_implILS8_3ELb0ES6_jNS0_17counting_iteratorIjlEEPS9_SE_NS0_5tupleIJPjSE_EEENSF_IJSE_SE_EEES9_SG_JZNS1_25segmented_radix_sort_implINS0_14default_configELb1EPKhPhPKlPlN2at6native12_GLOBAL__N_18offset_tEEE10hipError_tPvRmT1_PNSt15iterator_traitsISY_E10value_typeET2_T3_PNSZ_IS14_E10value_typeET4_jRbjT5_S1A_jjP12ihipStream_tbEUljE_EEESV_SW_SX_S14_S18_S1A_T6_T7_T9_mT8_S1C_bDpT10_ENKUlT_T0_E_clISt17integral_constantIbLb0EES1O_IbLb1EEEEDaS1K_S1L_EUlS1K_E_NS1_11comp_targetILNS1_3genE2ELNS1_11target_archE906ELNS1_3gpuE6ELNS1_3repE0EEENS1_30default_config_static_selectorELNS0_4arch9wavefront6targetE0EEEvSY_,"axG",@progbits,_ZN7rocprim17ROCPRIM_400000_NS6detail17trampoline_kernelINS0_13select_configILj256ELj13ELNS0_17block_load_methodE3ELS4_3ELS4_3ELNS0_20block_scan_algorithmE0ELj4294967295EEENS1_25partition_config_selectorILNS1_17partition_subalgoE3EjNS0_10empty_typeEbEEZZNS1_14partition_implILS8_3ELb0ES6_jNS0_17counting_iteratorIjlEEPS9_SE_NS0_5tupleIJPjSE_EEENSF_IJSE_SE_EEES9_SG_JZNS1_25segmented_radix_sort_implINS0_14default_configELb1EPKhPhPKlPlN2at6native12_GLOBAL__N_18offset_tEEE10hipError_tPvRmT1_PNSt15iterator_traitsISY_E10value_typeET2_T3_PNSZ_IS14_E10value_typeET4_jRbjT5_S1A_jjP12ihipStream_tbEUljE_EEESV_SW_SX_S14_S18_S1A_T6_T7_T9_mT8_S1C_bDpT10_ENKUlT_T0_E_clISt17integral_constantIbLb0EES1O_IbLb1EEEEDaS1K_S1L_EUlS1K_E_NS1_11comp_targetILNS1_3genE2ELNS1_11target_archE906ELNS1_3gpuE6ELNS1_3repE0EEENS1_30default_config_static_selectorELNS0_4arch9wavefront6targetE0EEEvSY_,comdat
.Lfunc_end79:
	.size	_ZN7rocprim17ROCPRIM_400000_NS6detail17trampoline_kernelINS0_13select_configILj256ELj13ELNS0_17block_load_methodE3ELS4_3ELS4_3ELNS0_20block_scan_algorithmE0ELj4294967295EEENS1_25partition_config_selectorILNS1_17partition_subalgoE3EjNS0_10empty_typeEbEEZZNS1_14partition_implILS8_3ELb0ES6_jNS0_17counting_iteratorIjlEEPS9_SE_NS0_5tupleIJPjSE_EEENSF_IJSE_SE_EEES9_SG_JZNS1_25segmented_radix_sort_implINS0_14default_configELb1EPKhPhPKlPlN2at6native12_GLOBAL__N_18offset_tEEE10hipError_tPvRmT1_PNSt15iterator_traitsISY_E10value_typeET2_T3_PNSZ_IS14_E10value_typeET4_jRbjT5_S1A_jjP12ihipStream_tbEUljE_EEESV_SW_SX_S14_S18_S1A_T6_T7_T9_mT8_S1C_bDpT10_ENKUlT_T0_E_clISt17integral_constantIbLb0EES1O_IbLb1EEEEDaS1K_S1L_EUlS1K_E_NS1_11comp_targetILNS1_3genE2ELNS1_11target_archE906ELNS1_3gpuE6ELNS1_3repE0EEENS1_30default_config_static_selectorELNS0_4arch9wavefront6targetE0EEEvSY_, .Lfunc_end79-_ZN7rocprim17ROCPRIM_400000_NS6detail17trampoline_kernelINS0_13select_configILj256ELj13ELNS0_17block_load_methodE3ELS4_3ELS4_3ELNS0_20block_scan_algorithmE0ELj4294967295EEENS1_25partition_config_selectorILNS1_17partition_subalgoE3EjNS0_10empty_typeEbEEZZNS1_14partition_implILS8_3ELb0ES6_jNS0_17counting_iteratorIjlEEPS9_SE_NS0_5tupleIJPjSE_EEENSF_IJSE_SE_EEES9_SG_JZNS1_25segmented_radix_sort_implINS0_14default_configELb1EPKhPhPKlPlN2at6native12_GLOBAL__N_18offset_tEEE10hipError_tPvRmT1_PNSt15iterator_traitsISY_E10value_typeET2_T3_PNSZ_IS14_E10value_typeET4_jRbjT5_S1A_jjP12ihipStream_tbEUljE_EEESV_SW_SX_S14_S18_S1A_T6_T7_T9_mT8_S1C_bDpT10_ENKUlT_T0_E_clISt17integral_constantIbLb0EES1O_IbLb1EEEEDaS1K_S1L_EUlS1K_E_NS1_11comp_targetILNS1_3genE2ELNS1_11target_archE906ELNS1_3gpuE6ELNS1_3repE0EEENS1_30default_config_static_selectorELNS0_4arch9wavefront6targetE0EEEvSY_
                                        ; -- End function
	.set _ZN7rocprim17ROCPRIM_400000_NS6detail17trampoline_kernelINS0_13select_configILj256ELj13ELNS0_17block_load_methodE3ELS4_3ELS4_3ELNS0_20block_scan_algorithmE0ELj4294967295EEENS1_25partition_config_selectorILNS1_17partition_subalgoE3EjNS0_10empty_typeEbEEZZNS1_14partition_implILS8_3ELb0ES6_jNS0_17counting_iteratorIjlEEPS9_SE_NS0_5tupleIJPjSE_EEENSF_IJSE_SE_EEES9_SG_JZNS1_25segmented_radix_sort_implINS0_14default_configELb1EPKhPhPKlPlN2at6native12_GLOBAL__N_18offset_tEEE10hipError_tPvRmT1_PNSt15iterator_traitsISY_E10value_typeET2_T3_PNSZ_IS14_E10value_typeET4_jRbjT5_S1A_jjP12ihipStream_tbEUljE_EEESV_SW_SX_S14_S18_S1A_T6_T7_T9_mT8_S1C_bDpT10_ENKUlT_T0_E_clISt17integral_constantIbLb0EES1O_IbLb1EEEEDaS1K_S1L_EUlS1K_E_NS1_11comp_targetILNS1_3genE2ELNS1_11target_archE906ELNS1_3gpuE6ELNS1_3repE0EEENS1_30default_config_static_selectorELNS0_4arch9wavefront6targetE0EEEvSY_.num_vgpr, 0
	.set _ZN7rocprim17ROCPRIM_400000_NS6detail17trampoline_kernelINS0_13select_configILj256ELj13ELNS0_17block_load_methodE3ELS4_3ELS4_3ELNS0_20block_scan_algorithmE0ELj4294967295EEENS1_25partition_config_selectorILNS1_17partition_subalgoE3EjNS0_10empty_typeEbEEZZNS1_14partition_implILS8_3ELb0ES6_jNS0_17counting_iteratorIjlEEPS9_SE_NS0_5tupleIJPjSE_EEENSF_IJSE_SE_EEES9_SG_JZNS1_25segmented_radix_sort_implINS0_14default_configELb1EPKhPhPKlPlN2at6native12_GLOBAL__N_18offset_tEEE10hipError_tPvRmT1_PNSt15iterator_traitsISY_E10value_typeET2_T3_PNSZ_IS14_E10value_typeET4_jRbjT5_S1A_jjP12ihipStream_tbEUljE_EEESV_SW_SX_S14_S18_S1A_T6_T7_T9_mT8_S1C_bDpT10_ENKUlT_T0_E_clISt17integral_constantIbLb0EES1O_IbLb1EEEEDaS1K_S1L_EUlS1K_E_NS1_11comp_targetILNS1_3genE2ELNS1_11target_archE906ELNS1_3gpuE6ELNS1_3repE0EEENS1_30default_config_static_selectorELNS0_4arch9wavefront6targetE0EEEvSY_.num_agpr, 0
	.set _ZN7rocprim17ROCPRIM_400000_NS6detail17trampoline_kernelINS0_13select_configILj256ELj13ELNS0_17block_load_methodE3ELS4_3ELS4_3ELNS0_20block_scan_algorithmE0ELj4294967295EEENS1_25partition_config_selectorILNS1_17partition_subalgoE3EjNS0_10empty_typeEbEEZZNS1_14partition_implILS8_3ELb0ES6_jNS0_17counting_iteratorIjlEEPS9_SE_NS0_5tupleIJPjSE_EEENSF_IJSE_SE_EEES9_SG_JZNS1_25segmented_radix_sort_implINS0_14default_configELb1EPKhPhPKlPlN2at6native12_GLOBAL__N_18offset_tEEE10hipError_tPvRmT1_PNSt15iterator_traitsISY_E10value_typeET2_T3_PNSZ_IS14_E10value_typeET4_jRbjT5_S1A_jjP12ihipStream_tbEUljE_EEESV_SW_SX_S14_S18_S1A_T6_T7_T9_mT8_S1C_bDpT10_ENKUlT_T0_E_clISt17integral_constantIbLb0EES1O_IbLb1EEEEDaS1K_S1L_EUlS1K_E_NS1_11comp_targetILNS1_3genE2ELNS1_11target_archE906ELNS1_3gpuE6ELNS1_3repE0EEENS1_30default_config_static_selectorELNS0_4arch9wavefront6targetE0EEEvSY_.numbered_sgpr, 0
	.set _ZN7rocprim17ROCPRIM_400000_NS6detail17trampoline_kernelINS0_13select_configILj256ELj13ELNS0_17block_load_methodE3ELS4_3ELS4_3ELNS0_20block_scan_algorithmE0ELj4294967295EEENS1_25partition_config_selectorILNS1_17partition_subalgoE3EjNS0_10empty_typeEbEEZZNS1_14partition_implILS8_3ELb0ES6_jNS0_17counting_iteratorIjlEEPS9_SE_NS0_5tupleIJPjSE_EEENSF_IJSE_SE_EEES9_SG_JZNS1_25segmented_radix_sort_implINS0_14default_configELb1EPKhPhPKlPlN2at6native12_GLOBAL__N_18offset_tEEE10hipError_tPvRmT1_PNSt15iterator_traitsISY_E10value_typeET2_T3_PNSZ_IS14_E10value_typeET4_jRbjT5_S1A_jjP12ihipStream_tbEUljE_EEESV_SW_SX_S14_S18_S1A_T6_T7_T9_mT8_S1C_bDpT10_ENKUlT_T0_E_clISt17integral_constantIbLb0EES1O_IbLb1EEEEDaS1K_S1L_EUlS1K_E_NS1_11comp_targetILNS1_3genE2ELNS1_11target_archE906ELNS1_3gpuE6ELNS1_3repE0EEENS1_30default_config_static_selectorELNS0_4arch9wavefront6targetE0EEEvSY_.num_named_barrier, 0
	.set _ZN7rocprim17ROCPRIM_400000_NS6detail17trampoline_kernelINS0_13select_configILj256ELj13ELNS0_17block_load_methodE3ELS4_3ELS4_3ELNS0_20block_scan_algorithmE0ELj4294967295EEENS1_25partition_config_selectorILNS1_17partition_subalgoE3EjNS0_10empty_typeEbEEZZNS1_14partition_implILS8_3ELb0ES6_jNS0_17counting_iteratorIjlEEPS9_SE_NS0_5tupleIJPjSE_EEENSF_IJSE_SE_EEES9_SG_JZNS1_25segmented_radix_sort_implINS0_14default_configELb1EPKhPhPKlPlN2at6native12_GLOBAL__N_18offset_tEEE10hipError_tPvRmT1_PNSt15iterator_traitsISY_E10value_typeET2_T3_PNSZ_IS14_E10value_typeET4_jRbjT5_S1A_jjP12ihipStream_tbEUljE_EEESV_SW_SX_S14_S18_S1A_T6_T7_T9_mT8_S1C_bDpT10_ENKUlT_T0_E_clISt17integral_constantIbLb0EES1O_IbLb1EEEEDaS1K_S1L_EUlS1K_E_NS1_11comp_targetILNS1_3genE2ELNS1_11target_archE906ELNS1_3gpuE6ELNS1_3repE0EEENS1_30default_config_static_selectorELNS0_4arch9wavefront6targetE0EEEvSY_.private_seg_size, 0
	.set _ZN7rocprim17ROCPRIM_400000_NS6detail17trampoline_kernelINS0_13select_configILj256ELj13ELNS0_17block_load_methodE3ELS4_3ELS4_3ELNS0_20block_scan_algorithmE0ELj4294967295EEENS1_25partition_config_selectorILNS1_17partition_subalgoE3EjNS0_10empty_typeEbEEZZNS1_14partition_implILS8_3ELb0ES6_jNS0_17counting_iteratorIjlEEPS9_SE_NS0_5tupleIJPjSE_EEENSF_IJSE_SE_EEES9_SG_JZNS1_25segmented_radix_sort_implINS0_14default_configELb1EPKhPhPKlPlN2at6native12_GLOBAL__N_18offset_tEEE10hipError_tPvRmT1_PNSt15iterator_traitsISY_E10value_typeET2_T3_PNSZ_IS14_E10value_typeET4_jRbjT5_S1A_jjP12ihipStream_tbEUljE_EEESV_SW_SX_S14_S18_S1A_T6_T7_T9_mT8_S1C_bDpT10_ENKUlT_T0_E_clISt17integral_constantIbLb0EES1O_IbLb1EEEEDaS1K_S1L_EUlS1K_E_NS1_11comp_targetILNS1_3genE2ELNS1_11target_archE906ELNS1_3gpuE6ELNS1_3repE0EEENS1_30default_config_static_selectorELNS0_4arch9wavefront6targetE0EEEvSY_.uses_vcc, 0
	.set _ZN7rocprim17ROCPRIM_400000_NS6detail17trampoline_kernelINS0_13select_configILj256ELj13ELNS0_17block_load_methodE3ELS4_3ELS4_3ELNS0_20block_scan_algorithmE0ELj4294967295EEENS1_25partition_config_selectorILNS1_17partition_subalgoE3EjNS0_10empty_typeEbEEZZNS1_14partition_implILS8_3ELb0ES6_jNS0_17counting_iteratorIjlEEPS9_SE_NS0_5tupleIJPjSE_EEENSF_IJSE_SE_EEES9_SG_JZNS1_25segmented_radix_sort_implINS0_14default_configELb1EPKhPhPKlPlN2at6native12_GLOBAL__N_18offset_tEEE10hipError_tPvRmT1_PNSt15iterator_traitsISY_E10value_typeET2_T3_PNSZ_IS14_E10value_typeET4_jRbjT5_S1A_jjP12ihipStream_tbEUljE_EEESV_SW_SX_S14_S18_S1A_T6_T7_T9_mT8_S1C_bDpT10_ENKUlT_T0_E_clISt17integral_constantIbLb0EES1O_IbLb1EEEEDaS1K_S1L_EUlS1K_E_NS1_11comp_targetILNS1_3genE2ELNS1_11target_archE906ELNS1_3gpuE6ELNS1_3repE0EEENS1_30default_config_static_selectorELNS0_4arch9wavefront6targetE0EEEvSY_.uses_flat_scratch, 0
	.set _ZN7rocprim17ROCPRIM_400000_NS6detail17trampoline_kernelINS0_13select_configILj256ELj13ELNS0_17block_load_methodE3ELS4_3ELS4_3ELNS0_20block_scan_algorithmE0ELj4294967295EEENS1_25partition_config_selectorILNS1_17partition_subalgoE3EjNS0_10empty_typeEbEEZZNS1_14partition_implILS8_3ELb0ES6_jNS0_17counting_iteratorIjlEEPS9_SE_NS0_5tupleIJPjSE_EEENSF_IJSE_SE_EEES9_SG_JZNS1_25segmented_radix_sort_implINS0_14default_configELb1EPKhPhPKlPlN2at6native12_GLOBAL__N_18offset_tEEE10hipError_tPvRmT1_PNSt15iterator_traitsISY_E10value_typeET2_T3_PNSZ_IS14_E10value_typeET4_jRbjT5_S1A_jjP12ihipStream_tbEUljE_EEESV_SW_SX_S14_S18_S1A_T6_T7_T9_mT8_S1C_bDpT10_ENKUlT_T0_E_clISt17integral_constantIbLb0EES1O_IbLb1EEEEDaS1K_S1L_EUlS1K_E_NS1_11comp_targetILNS1_3genE2ELNS1_11target_archE906ELNS1_3gpuE6ELNS1_3repE0EEENS1_30default_config_static_selectorELNS0_4arch9wavefront6targetE0EEEvSY_.has_dyn_sized_stack, 0
	.set _ZN7rocprim17ROCPRIM_400000_NS6detail17trampoline_kernelINS0_13select_configILj256ELj13ELNS0_17block_load_methodE3ELS4_3ELS4_3ELNS0_20block_scan_algorithmE0ELj4294967295EEENS1_25partition_config_selectorILNS1_17partition_subalgoE3EjNS0_10empty_typeEbEEZZNS1_14partition_implILS8_3ELb0ES6_jNS0_17counting_iteratorIjlEEPS9_SE_NS0_5tupleIJPjSE_EEENSF_IJSE_SE_EEES9_SG_JZNS1_25segmented_radix_sort_implINS0_14default_configELb1EPKhPhPKlPlN2at6native12_GLOBAL__N_18offset_tEEE10hipError_tPvRmT1_PNSt15iterator_traitsISY_E10value_typeET2_T3_PNSZ_IS14_E10value_typeET4_jRbjT5_S1A_jjP12ihipStream_tbEUljE_EEESV_SW_SX_S14_S18_S1A_T6_T7_T9_mT8_S1C_bDpT10_ENKUlT_T0_E_clISt17integral_constantIbLb0EES1O_IbLb1EEEEDaS1K_S1L_EUlS1K_E_NS1_11comp_targetILNS1_3genE2ELNS1_11target_archE906ELNS1_3gpuE6ELNS1_3repE0EEENS1_30default_config_static_selectorELNS0_4arch9wavefront6targetE0EEEvSY_.has_recursion, 0
	.set _ZN7rocprim17ROCPRIM_400000_NS6detail17trampoline_kernelINS0_13select_configILj256ELj13ELNS0_17block_load_methodE3ELS4_3ELS4_3ELNS0_20block_scan_algorithmE0ELj4294967295EEENS1_25partition_config_selectorILNS1_17partition_subalgoE3EjNS0_10empty_typeEbEEZZNS1_14partition_implILS8_3ELb0ES6_jNS0_17counting_iteratorIjlEEPS9_SE_NS0_5tupleIJPjSE_EEENSF_IJSE_SE_EEES9_SG_JZNS1_25segmented_radix_sort_implINS0_14default_configELb1EPKhPhPKlPlN2at6native12_GLOBAL__N_18offset_tEEE10hipError_tPvRmT1_PNSt15iterator_traitsISY_E10value_typeET2_T3_PNSZ_IS14_E10value_typeET4_jRbjT5_S1A_jjP12ihipStream_tbEUljE_EEESV_SW_SX_S14_S18_S1A_T6_T7_T9_mT8_S1C_bDpT10_ENKUlT_T0_E_clISt17integral_constantIbLb0EES1O_IbLb1EEEEDaS1K_S1L_EUlS1K_E_NS1_11comp_targetILNS1_3genE2ELNS1_11target_archE906ELNS1_3gpuE6ELNS1_3repE0EEENS1_30default_config_static_selectorELNS0_4arch9wavefront6targetE0EEEvSY_.has_indirect_call, 0
	.section	.AMDGPU.csdata,"",@progbits
; Kernel info:
; codeLenInByte = 0
; TotalNumSgprs: 0
; NumVgprs: 0
; ScratchSize: 0
; MemoryBound: 0
; FloatMode: 240
; IeeeMode: 1
; LDSByteSize: 0 bytes/workgroup (compile time only)
; SGPRBlocks: 0
; VGPRBlocks: 0
; NumSGPRsForWavesPerEU: 1
; NumVGPRsForWavesPerEU: 1
; NamedBarCnt: 0
; Occupancy: 16
; WaveLimiterHint : 0
; COMPUTE_PGM_RSRC2:SCRATCH_EN: 0
; COMPUTE_PGM_RSRC2:USER_SGPR: 2
; COMPUTE_PGM_RSRC2:TRAP_HANDLER: 0
; COMPUTE_PGM_RSRC2:TGID_X_EN: 1
; COMPUTE_PGM_RSRC2:TGID_Y_EN: 0
; COMPUTE_PGM_RSRC2:TGID_Z_EN: 0
; COMPUTE_PGM_RSRC2:TIDIG_COMP_CNT: 0
	.section	.text._ZN7rocprim17ROCPRIM_400000_NS6detail17trampoline_kernelINS0_13select_configILj256ELj13ELNS0_17block_load_methodE3ELS4_3ELS4_3ELNS0_20block_scan_algorithmE0ELj4294967295EEENS1_25partition_config_selectorILNS1_17partition_subalgoE3EjNS0_10empty_typeEbEEZZNS1_14partition_implILS8_3ELb0ES6_jNS0_17counting_iteratorIjlEEPS9_SE_NS0_5tupleIJPjSE_EEENSF_IJSE_SE_EEES9_SG_JZNS1_25segmented_radix_sort_implINS0_14default_configELb1EPKhPhPKlPlN2at6native12_GLOBAL__N_18offset_tEEE10hipError_tPvRmT1_PNSt15iterator_traitsISY_E10value_typeET2_T3_PNSZ_IS14_E10value_typeET4_jRbjT5_S1A_jjP12ihipStream_tbEUljE_EEESV_SW_SX_S14_S18_S1A_T6_T7_T9_mT8_S1C_bDpT10_ENKUlT_T0_E_clISt17integral_constantIbLb0EES1O_IbLb1EEEEDaS1K_S1L_EUlS1K_E_NS1_11comp_targetILNS1_3genE10ELNS1_11target_archE1200ELNS1_3gpuE4ELNS1_3repE0EEENS1_30default_config_static_selectorELNS0_4arch9wavefront6targetE0EEEvSY_,"axG",@progbits,_ZN7rocprim17ROCPRIM_400000_NS6detail17trampoline_kernelINS0_13select_configILj256ELj13ELNS0_17block_load_methodE3ELS4_3ELS4_3ELNS0_20block_scan_algorithmE0ELj4294967295EEENS1_25partition_config_selectorILNS1_17partition_subalgoE3EjNS0_10empty_typeEbEEZZNS1_14partition_implILS8_3ELb0ES6_jNS0_17counting_iteratorIjlEEPS9_SE_NS0_5tupleIJPjSE_EEENSF_IJSE_SE_EEES9_SG_JZNS1_25segmented_radix_sort_implINS0_14default_configELb1EPKhPhPKlPlN2at6native12_GLOBAL__N_18offset_tEEE10hipError_tPvRmT1_PNSt15iterator_traitsISY_E10value_typeET2_T3_PNSZ_IS14_E10value_typeET4_jRbjT5_S1A_jjP12ihipStream_tbEUljE_EEESV_SW_SX_S14_S18_S1A_T6_T7_T9_mT8_S1C_bDpT10_ENKUlT_T0_E_clISt17integral_constantIbLb0EES1O_IbLb1EEEEDaS1K_S1L_EUlS1K_E_NS1_11comp_targetILNS1_3genE10ELNS1_11target_archE1200ELNS1_3gpuE4ELNS1_3repE0EEENS1_30default_config_static_selectorELNS0_4arch9wavefront6targetE0EEEvSY_,comdat
	.globl	_ZN7rocprim17ROCPRIM_400000_NS6detail17trampoline_kernelINS0_13select_configILj256ELj13ELNS0_17block_load_methodE3ELS4_3ELS4_3ELNS0_20block_scan_algorithmE0ELj4294967295EEENS1_25partition_config_selectorILNS1_17partition_subalgoE3EjNS0_10empty_typeEbEEZZNS1_14partition_implILS8_3ELb0ES6_jNS0_17counting_iteratorIjlEEPS9_SE_NS0_5tupleIJPjSE_EEENSF_IJSE_SE_EEES9_SG_JZNS1_25segmented_radix_sort_implINS0_14default_configELb1EPKhPhPKlPlN2at6native12_GLOBAL__N_18offset_tEEE10hipError_tPvRmT1_PNSt15iterator_traitsISY_E10value_typeET2_T3_PNSZ_IS14_E10value_typeET4_jRbjT5_S1A_jjP12ihipStream_tbEUljE_EEESV_SW_SX_S14_S18_S1A_T6_T7_T9_mT8_S1C_bDpT10_ENKUlT_T0_E_clISt17integral_constantIbLb0EES1O_IbLb1EEEEDaS1K_S1L_EUlS1K_E_NS1_11comp_targetILNS1_3genE10ELNS1_11target_archE1200ELNS1_3gpuE4ELNS1_3repE0EEENS1_30default_config_static_selectorELNS0_4arch9wavefront6targetE0EEEvSY_ ; -- Begin function _ZN7rocprim17ROCPRIM_400000_NS6detail17trampoline_kernelINS0_13select_configILj256ELj13ELNS0_17block_load_methodE3ELS4_3ELS4_3ELNS0_20block_scan_algorithmE0ELj4294967295EEENS1_25partition_config_selectorILNS1_17partition_subalgoE3EjNS0_10empty_typeEbEEZZNS1_14partition_implILS8_3ELb0ES6_jNS0_17counting_iteratorIjlEEPS9_SE_NS0_5tupleIJPjSE_EEENSF_IJSE_SE_EEES9_SG_JZNS1_25segmented_radix_sort_implINS0_14default_configELb1EPKhPhPKlPlN2at6native12_GLOBAL__N_18offset_tEEE10hipError_tPvRmT1_PNSt15iterator_traitsISY_E10value_typeET2_T3_PNSZ_IS14_E10value_typeET4_jRbjT5_S1A_jjP12ihipStream_tbEUljE_EEESV_SW_SX_S14_S18_S1A_T6_T7_T9_mT8_S1C_bDpT10_ENKUlT_T0_E_clISt17integral_constantIbLb0EES1O_IbLb1EEEEDaS1K_S1L_EUlS1K_E_NS1_11comp_targetILNS1_3genE10ELNS1_11target_archE1200ELNS1_3gpuE4ELNS1_3repE0EEENS1_30default_config_static_selectorELNS0_4arch9wavefront6targetE0EEEvSY_
	.p2align	8
	.type	_ZN7rocprim17ROCPRIM_400000_NS6detail17trampoline_kernelINS0_13select_configILj256ELj13ELNS0_17block_load_methodE3ELS4_3ELS4_3ELNS0_20block_scan_algorithmE0ELj4294967295EEENS1_25partition_config_selectorILNS1_17partition_subalgoE3EjNS0_10empty_typeEbEEZZNS1_14partition_implILS8_3ELb0ES6_jNS0_17counting_iteratorIjlEEPS9_SE_NS0_5tupleIJPjSE_EEENSF_IJSE_SE_EEES9_SG_JZNS1_25segmented_radix_sort_implINS0_14default_configELb1EPKhPhPKlPlN2at6native12_GLOBAL__N_18offset_tEEE10hipError_tPvRmT1_PNSt15iterator_traitsISY_E10value_typeET2_T3_PNSZ_IS14_E10value_typeET4_jRbjT5_S1A_jjP12ihipStream_tbEUljE_EEESV_SW_SX_S14_S18_S1A_T6_T7_T9_mT8_S1C_bDpT10_ENKUlT_T0_E_clISt17integral_constantIbLb0EES1O_IbLb1EEEEDaS1K_S1L_EUlS1K_E_NS1_11comp_targetILNS1_3genE10ELNS1_11target_archE1200ELNS1_3gpuE4ELNS1_3repE0EEENS1_30default_config_static_selectorELNS0_4arch9wavefront6targetE0EEEvSY_,@function
_ZN7rocprim17ROCPRIM_400000_NS6detail17trampoline_kernelINS0_13select_configILj256ELj13ELNS0_17block_load_methodE3ELS4_3ELS4_3ELNS0_20block_scan_algorithmE0ELj4294967295EEENS1_25partition_config_selectorILNS1_17partition_subalgoE3EjNS0_10empty_typeEbEEZZNS1_14partition_implILS8_3ELb0ES6_jNS0_17counting_iteratorIjlEEPS9_SE_NS0_5tupleIJPjSE_EEENSF_IJSE_SE_EEES9_SG_JZNS1_25segmented_radix_sort_implINS0_14default_configELb1EPKhPhPKlPlN2at6native12_GLOBAL__N_18offset_tEEE10hipError_tPvRmT1_PNSt15iterator_traitsISY_E10value_typeET2_T3_PNSZ_IS14_E10value_typeET4_jRbjT5_S1A_jjP12ihipStream_tbEUljE_EEESV_SW_SX_S14_S18_S1A_T6_T7_T9_mT8_S1C_bDpT10_ENKUlT_T0_E_clISt17integral_constantIbLb0EES1O_IbLb1EEEEDaS1K_S1L_EUlS1K_E_NS1_11comp_targetILNS1_3genE10ELNS1_11target_archE1200ELNS1_3gpuE4ELNS1_3repE0EEENS1_30default_config_static_selectorELNS0_4arch9wavefront6targetE0EEEvSY_: ; @_ZN7rocprim17ROCPRIM_400000_NS6detail17trampoline_kernelINS0_13select_configILj256ELj13ELNS0_17block_load_methodE3ELS4_3ELS4_3ELNS0_20block_scan_algorithmE0ELj4294967295EEENS1_25partition_config_selectorILNS1_17partition_subalgoE3EjNS0_10empty_typeEbEEZZNS1_14partition_implILS8_3ELb0ES6_jNS0_17counting_iteratorIjlEEPS9_SE_NS0_5tupleIJPjSE_EEENSF_IJSE_SE_EEES9_SG_JZNS1_25segmented_radix_sort_implINS0_14default_configELb1EPKhPhPKlPlN2at6native12_GLOBAL__N_18offset_tEEE10hipError_tPvRmT1_PNSt15iterator_traitsISY_E10value_typeET2_T3_PNSZ_IS14_E10value_typeET4_jRbjT5_S1A_jjP12ihipStream_tbEUljE_EEESV_SW_SX_S14_S18_S1A_T6_T7_T9_mT8_S1C_bDpT10_ENKUlT_T0_E_clISt17integral_constantIbLb0EES1O_IbLb1EEEEDaS1K_S1L_EUlS1K_E_NS1_11comp_targetILNS1_3genE10ELNS1_11target_archE1200ELNS1_3gpuE4ELNS1_3repE0EEENS1_30default_config_static_selectorELNS0_4arch9wavefront6targetE0EEEvSY_
; %bb.0:
	.section	.rodata,"a",@progbits
	.p2align	6, 0x0
	.amdhsa_kernel _ZN7rocprim17ROCPRIM_400000_NS6detail17trampoline_kernelINS0_13select_configILj256ELj13ELNS0_17block_load_methodE3ELS4_3ELS4_3ELNS0_20block_scan_algorithmE0ELj4294967295EEENS1_25partition_config_selectorILNS1_17partition_subalgoE3EjNS0_10empty_typeEbEEZZNS1_14partition_implILS8_3ELb0ES6_jNS0_17counting_iteratorIjlEEPS9_SE_NS0_5tupleIJPjSE_EEENSF_IJSE_SE_EEES9_SG_JZNS1_25segmented_radix_sort_implINS0_14default_configELb1EPKhPhPKlPlN2at6native12_GLOBAL__N_18offset_tEEE10hipError_tPvRmT1_PNSt15iterator_traitsISY_E10value_typeET2_T3_PNSZ_IS14_E10value_typeET4_jRbjT5_S1A_jjP12ihipStream_tbEUljE_EEESV_SW_SX_S14_S18_S1A_T6_T7_T9_mT8_S1C_bDpT10_ENKUlT_T0_E_clISt17integral_constantIbLb0EES1O_IbLb1EEEEDaS1K_S1L_EUlS1K_E_NS1_11comp_targetILNS1_3genE10ELNS1_11target_archE1200ELNS1_3gpuE4ELNS1_3repE0EEENS1_30default_config_static_selectorELNS0_4arch9wavefront6targetE0EEEvSY_
		.amdhsa_group_segment_fixed_size 0
		.amdhsa_private_segment_fixed_size 0
		.amdhsa_kernarg_size 152
		.amdhsa_user_sgpr_count 2
		.amdhsa_user_sgpr_dispatch_ptr 0
		.amdhsa_user_sgpr_queue_ptr 0
		.amdhsa_user_sgpr_kernarg_segment_ptr 1
		.amdhsa_user_sgpr_dispatch_id 0
		.amdhsa_user_sgpr_kernarg_preload_length 0
		.amdhsa_user_sgpr_kernarg_preload_offset 0
		.amdhsa_user_sgpr_private_segment_size 0
		.amdhsa_wavefront_size32 1
		.amdhsa_uses_dynamic_stack 0
		.amdhsa_enable_private_segment 0
		.amdhsa_system_sgpr_workgroup_id_x 1
		.amdhsa_system_sgpr_workgroup_id_y 0
		.amdhsa_system_sgpr_workgroup_id_z 0
		.amdhsa_system_sgpr_workgroup_info 0
		.amdhsa_system_vgpr_workitem_id 0
		.amdhsa_next_free_vgpr 1
		.amdhsa_next_free_sgpr 1
		.amdhsa_named_barrier_count 0
		.amdhsa_reserve_vcc 0
		.amdhsa_float_round_mode_32 0
		.amdhsa_float_round_mode_16_64 0
		.amdhsa_float_denorm_mode_32 3
		.amdhsa_float_denorm_mode_16_64 3
		.amdhsa_fp16_overflow 0
		.amdhsa_memory_ordered 1
		.amdhsa_forward_progress 1
		.amdhsa_inst_pref_size 0
		.amdhsa_round_robin_scheduling 0
		.amdhsa_exception_fp_ieee_invalid_op 0
		.amdhsa_exception_fp_denorm_src 0
		.amdhsa_exception_fp_ieee_div_zero 0
		.amdhsa_exception_fp_ieee_overflow 0
		.amdhsa_exception_fp_ieee_underflow 0
		.amdhsa_exception_fp_ieee_inexact 0
		.amdhsa_exception_int_div_zero 0
	.end_amdhsa_kernel
	.section	.text._ZN7rocprim17ROCPRIM_400000_NS6detail17trampoline_kernelINS0_13select_configILj256ELj13ELNS0_17block_load_methodE3ELS4_3ELS4_3ELNS0_20block_scan_algorithmE0ELj4294967295EEENS1_25partition_config_selectorILNS1_17partition_subalgoE3EjNS0_10empty_typeEbEEZZNS1_14partition_implILS8_3ELb0ES6_jNS0_17counting_iteratorIjlEEPS9_SE_NS0_5tupleIJPjSE_EEENSF_IJSE_SE_EEES9_SG_JZNS1_25segmented_radix_sort_implINS0_14default_configELb1EPKhPhPKlPlN2at6native12_GLOBAL__N_18offset_tEEE10hipError_tPvRmT1_PNSt15iterator_traitsISY_E10value_typeET2_T3_PNSZ_IS14_E10value_typeET4_jRbjT5_S1A_jjP12ihipStream_tbEUljE_EEESV_SW_SX_S14_S18_S1A_T6_T7_T9_mT8_S1C_bDpT10_ENKUlT_T0_E_clISt17integral_constantIbLb0EES1O_IbLb1EEEEDaS1K_S1L_EUlS1K_E_NS1_11comp_targetILNS1_3genE10ELNS1_11target_archE1200ELNS1_3gpuE4ELNS1_3repE0EEENS1_30default_config_static_selectorELNS0_4arch9wavefront6targetE0EEEvSY_,"axG",@progbits,_ZN7rocprim17ROCPRIM_400000_NS6detail17trampoline_kernelINS0_13select_configILj256ELj13ELNS0_17block_load_methodE3ELS4_3ELS4_3ELNS0_20block_scan_algorithmE0ELj4294967295EEENS1_25partition_config_selectorILNS1_17partition_subalgoE3EjNS0_10empty_typeEbEEZZNS1_14partition_implILS8_3ELb0ES6_jNS0_17counting_iteratorIjlEEPS9_SE_NS0_5tupleIJPjSE_EEENSF_IJSE_SE_EEES9_SG_JZNS1_25segmented_radix_sort_implINS0_14default_configELb1EPKhPhPKlPlN2at6native12_GLOBAL__N_18offset_tEEE10hipError_tPvRmT1_PNSt15iterator_traitsISY_E10value_typeET2_T3_PNSZ_IS14_E10value_typeET4_jRbjT5_S1A_jjP12ihipStream_tbEUljE_EEESV_SW_SX_S14_S18_S1A_T6_T7_T9_mT8_S1C_bDpT10_ENKUlT_T0_E_clISt17integral_constantIbLb0EES1O_IbLb1EEEEDaS1K_S1L_EUlS1K_E_NS1_11comp_targetILNS1_3genE10ELNS1_11target_archE1200ELNS1_3gpuE4ELNS1_3repE0EEENS1_30default_config_static_selectorELNS0_4arch9wavefront6targetE0EEEvSY_,comdat
.Lfunc_end80:
	.size	_ZN7rocprim17ROCPRIM_400000_NS6detail17trampoline_kernelINS0_13select_configILj256ELj13ELNS0_17block_load_methodE3ELS4_3ELS4_3ELNS0_20block_scan_algorithmE0ELj4294967295EEENS1_25partition_config_selectorILNS1_17partition_subalgoE3EjNS0_10empty_typeEbEEZZNS1_14partition_implILS8_3ELb0ES6_jNS0_17counting_iteratorIjlEEPS9_SE_NS0_5tupleIJPjSE_EEENSF_IJSE_SE_EEES9_SG_JZNS1_25segmented_radix_sort_implINS0_14default_configELb1EPKhPhPKlPlN2at6native12_GLOBAL__N_18offset_tEEE10hipError_tPvRmT1_PNSt15iterator_traitsISY_E10value_typeET2_T3_PNSZ_IS14_E10value_typeET4_jRbjT5_S1A_jjP12ihipStream_tbEUljE_EEESV_SW_SX_S14_S18_S1A_T6_T7_T9_mT8_S1C_bDpT10_ENKUlT_T0_E_clISt17integral_constantIbLb0EES1O_IbLb1EEEEDaS1K_S1L_EUlS1K_E_NS1_11comp_targetILNS1_3genE10ELNS1_11target_archE1200ELNS1_3gpuE4ELNS1_3repE0EEENS1_30default_config_static_selectorELNS0_4arch9wavefront6targetE0EEEvSY_, .Lfunc_end80-_ZN7rocprim17ROCPRIM_400000_NS6detail17trampoline_kernelINS0_13select_configILj256ELj13ELNS0_17block_load_methodE3ELS4_3ELS4_3ELNS0_20block_scan_algorithmE0ELj4294967295EEENS1_25partition_config_selectorILNS1_17partition_subalgoE3EjNS0_10empty_typeEbEEZZNS1_14partition_implILS8_3ELb0ES6_jNS0_17counting_iteratorIjlEEPS9_SE_NS0_5tupleIJPjSE_EEENSF_IJSE_SE_EEES9_SG_JZNS1_25segmented_radix_sort_implINS0_14default_configELb1EPKhPhPKlPlN2at6native12_GLOBAL__N_18offset_tEEE10hipError_tPvRmT1_PNSt15iterator_traitsISY_E10value_typeET2_T3_PNSZ_IS14_E10value_typeET4_jRbjT5_S1A_jjP12ihipStream_tbEUljE_EEESV_SW_SX_S14_S18_S1A_T6_T7_T9_mT8_S1C_bDpT10_ENKUlT_T0_E_clISt17integral_constantIbLb0EES1O_IbLb1EEEEDaS1K_S1L_EUlS1K_E_NS1_11comp_targetILNS1_3genE10ELNS1_11target_archE1200ELNS1_3gpuE4ELNS1_3repE0EEENS1_30default_config_static_selectorELNS0_4arch9wavefront6targetE0EEEvSY_
                                        ; -- End function
	.set _ZN7rocprim17ROCPRIM_400000_NS6detail17trampoline_kernelINS0_13select_configILj256ELj13ELNS0_17block_load_methodE3ELS4_3ELS4_3ELNS0_20block_scan_algorithmE0ELj4294967295EEENS1_25partition_config_selectorILNS1_17partition_subalgoE3EjNS0_10empty_typeEbEEZZNS1_14partition_implILS8_3ELb0ES6_jNS0_17counting_iteratorIjlEEPS9_SE_NS0_5tupleIJPjSE_EEENSF_IJSE_SE_EEES9_SG_JZNS1_25segmented_radix_sort_implINS0_14default_configELb1EPKhPhPKlPlN2at6native12_GLOBAL__N_18offset_tEEE10hipError_tPvRmT1_PNSt15iterator_traitsISY_E10value_typeET2_T3_PNSZ_IS14_E10value_typeET4_jRbjT5_S1A_jjP12ihipStream_tbEUljE_EEESV_SW_SX_S14_S18_S1A_T6_T7_T9_mT8_S1C_bDpT10_ENKUlT_T0_E_clISt17integral_constantIbLb0EES1O_IbLb1EEEEDaS1K_S1L_EUlS1K_E_NS1_11comp_targetILNS1_3genE10ELNS1_11target_archE1200ELNS1_3gpuE4ELNS1_3repE0EEENS1_30default_config_static_selectorELNS0_4arch9wavefront6targetE0EEEvSY_.num_vgpr, 0
	.set _ZN7rocprim17ROCPRIM_400000_NS6detail17trampoline_kernelINS0_13select_configILj256ELj13ELNS0_17block_load_methodE3ELS4_3ELS4_3ELNS0_20block_scan_algorithmE0ELj4294967295EEENS1_25partition_config_selectorILNS1_17partition_subalgoE3EjNS0_10empty_typeEbEEZZNS1_14partition_implILS8_3ELb0ES6_jNS0_17counting_iteratorIjlEEPS9_SE_NS0_5tupleIJPjSE_EEENSF_IJSE_SE_EEES9_SG_JZNS1_25segmented_radix_sort_implINS0_14default_configELb1EPKhPhPKlPlN2at6native12_GLOBAL__N_18offset_tEEE10hipError_tPvRmT1_PNSt15iterator_traitsISY_E10value_typeET2_T3_PNSZ_IS14_E10value_typeET4_jRbjT5_S1A_jjP12ihipStream_tbEUljE_EEESV_SW_SX_S14_S18_S1A_T6_T7_T9_mT8_S1C_bDpT10_ENKUlT_T0_E_clISt17integral_constantIbLb0EES1O_IbLb1EEEEDaS1K_S1L_EUlS1K_E_NS1_11comp_targetILNS1_3genE10ELNS1_11target_archE1200ELNS1_3gpuE4ELNS1_3repE0EEENS1_30default_config_static_selectorELNS0_4arch9wavefront6targetE0EEEvSY_.num_agpr, 0
	.set _ZN7rocprim17ROCPRIM_400000_NS6detail17trampoline_kernelINS0_13select_configILj256ELj13ELNS0_17block_load_methodE3ELS4_3ELS4_3ELNS0_20block_scan_algorithmE0ELj4294967295EEENS1_25partition_config_selectorILNS1_17partition_subalgoE3EjNS0_10empty_typeEbEEZZNS1_14partition_implILS8_3ELb0ES6_jNS0_17counting_iteratorIjlEEPS9_SE_NS0_5tupleIJPjSE_EEENSF_IJSE_SE_EEES9_SG_JZNS1_25segmented_radix_sort_implINS0_14default_configELb1EPKhPhPKlPlN2at6native12_GLOBAL__N_18offset_tEEE10hipError_tPvRmT1_PNSt15iterator_traitsISY_E10value_typeET2_T3_PNSZ_IS14_E10value_typeET4_jRbjT5_S1A_jjP12ihipStream_tbEUljE_EEESV_SW_SX_S14_S18_S1A_T6_T7_T9_mT8_S1C_bDpT10_ENKUlT_T0_E_clISt17integral_constantIbLb0EES1O_IbLb1EEEEDaS1K_S1L_EUlS1K_E_NS1_11comp_targetILNS1_3genE10ELNS1_11target_archE1200ELNS1_3gpuE4ELNS1_3repE0EEENS1_30default_config_static_selectorELNS0_4arch9wavefront6targetE0EEEvSY_.numbered_sgpr, 0
	.set _ZN7rocprim17ROCPRIM_400000_NS6detail17trampoline_kernelINS0_13select_configILj256ELj13ELNS0_17block_load_methodE3ELS4_3ELS4_3ELNS0_20block_scan_algorithmE0ELj4294967295EEENS1_25partition_config_selectorILNS1_17partition_subalgoE3EjNS0_10empty_typeEbEEZZNS1_14partition_implILS8_3ELb0ES6_jNS0_17counting_iteratorIjlEEPS9_SE_NS0_5tupleIJPjSE_EEENSF_IJSE_SE_EEES9_SG_JZNS1_25segmented_radix_sort_implINS0_14default_configELb1EPKhPhPKlPlN2at6native12_GLOBAL__N_18offset_tEEE10hipError_tPvRmT1_PNSt15iterator_traitsISY_E10value_typeET2_T3_PNSZ_IS14_E10value_typeET4_jRbjT5_S1A_jjP12ihipStream_tbEUljE_EEESV_SW_SX_S14_S18_S1A_T6_T7_T9_mT8_S1C_bDpT10_ENKUlT_T0_E_clISt17integral_constantIbLb0EES1O_IbLb1EEEEDaS1K_S1L_EUlS1K_E_NS1_11comp_targetILNS1_3genE10ELNS1_11target_archE1200ELNS1_3gpuE4ELNS1_3repE0EEENS1_30default_config_static_selectorELNS0_4arch9wavefront6targetE0EEEvSY_.num_named_barrier, 0
	.set _ZN7rocprim17ROCPRIM_400000_NS6detail17trampoline_kernelINS0_13select_configILj256ELj13ELNS0_17block_load_methodE3ELS4_3ELS4_3ELNS0_20block_scan_algorithmE0ELj4294967295EEENS1_25partition_config_selectorILNS1_17partition_subalgoE3EjNS0_10empty_typeEbEEZZNS1_14partition_implILS8_3ELb0ES6_jNS0_17counting_iteratorIjlEEPS9_SE_NS0_5tupleIJPjSE_EEENSF_IJSE_SE_EEES9_SG_JZNS1_25segmented_radix_sort_implINS0_14default_configELb1EPKhPhPKlPlN2at6native12_GLOBAL__N_18offset_tEEE10hipError_tPvRmT1_PNSt15iterator_traitsISY_E10value_typeET2_T3_PNSZ_IS14_E10value_typeET4_jRbjT5_S1A_jjP12ihipStream_tbEUljE_EEESV_SW_SX_S14_S18_S1A_T6_T7_T9_mT8_S1C_bDpT10_ENKUlT_T0_E_clISt17integral_constantIbLb0EES1O_IbLb1EEEEDaS1K_S1L_EUlS1K_E_NS1_11comp_targetILNS1_3genE10ELNS1_11target_archE1200ELNS1_3gpuE4ELNS1_3repE0EEENS1_30default_config_static_selectorELNS0_4arch9wavefront6targetE0EEEvSY_.private_seg_size, 0
	.set _ZN7rocprim17ROCPRIM_400000_NS6detail17trampoline_kernelINS0_13select_configILj256ELj13ELNS0_17block_load_methodE3ELS4_3ELS4_3ELNS0_20block_scan_algorithmE0ELj4294967295EEENS1_25partition_config_selectorILNS1_17partition_subalgoE3EjNS0_10empty_typeEbEEZZNS1_14partition_implILS8_3ELb0ES6_jNS0_17counting_iteratorIjlEEPS9_SE_NS0_5tupleIJPjSE_EEENSF_IJSE_SE_EEES9_SG_JZNS1_25segmented_radix_sort_implINS0_14default_configELb1EPKhPhPKlPlN2at6native12_GLOBAL__N_18offset_tEEE10hipError_tPvRmT1_PNSt15iterator_traitsISY_E10value_typeET2_T3_PNSZ_IS14_E10value_typeET4_jRbjT5_S1A_jjP12ihipStream_tbEUljE_EEESV_SW_SX_S14_S18_S1A_T6_T7_T9_mT8_S1C_bDpT10_ENKUlT_T0_E_clISt17integral_constantIbLb0EES1O_IbLb1EEEEDaS1K_S1L_EUlS1K_E_NS1_11comp_targetILNS1_3genE10ELNS1_11target_archE1200ELNS1_3gpuE4ELNS1_3repE0EEENS1_30default_config_static_selectorELNS0_4arch9wavefront6targetE0EEEvSY_.uses_vcc, 0
	.set _ZN7rocprim17ROCPRIM_400000_NS6detail17trampoline_kernelINS0_13select_configILj256ELj13ELNS0_17block_load_methodE3ELS4_3ELS4_3ELNS0_20block_scan_algorithmE0ELj4294967295EEENS1_25partition_config_selectorILNS1_17partition_subalgoE3EjNS0_10empty_typeEbEEZZNS1_14partition_implILS8_3ELb0ES6_jNS0_17counting_iteratorIjlEEPS9_SE_NS0_5tupleIJPjSE_EEENSF_IJSE_SE_EEES9_SG_JZNS1_25segmented_radix_sort_implINS0_14default_configELb1EPKhPhPKlPlN2at6native12_GLOBAL__N_18offset_tEEE10hipError_tPvRmT1_PNSt15iterator_traitsISY_E10value_typeET2_T3_PNSZ_IS14_E10value_typeET4_jRbjT5_S1A_jjP12ihipStream_tbEUljE_EEESV_SW_SX_S14_S18_S1A_T6_T7_T9_mT8_S1C_bDpT10_ENKUlT_T0_E_clISt17integral_constantIbLb0EES1O_IbLb1EEEEDaS1K_S1L_EUlS1K_E_NS1_11comp_targetILNS1_3genE10ELNS1_11target_archE1200ELNS1_3gpuE4ELNS1_3repE0EEENS1_30default_config_static_selectorELNS0_4arch9wavefront6targetE0EEEvSY_.uses_flat_scratch, 0
	.set _ZN7rocprim17ROCPRIM_400000_NS6detail17trampoline_kernelINS0_13select_configILj256ELj13ELNS0_17block_load_methodE3ELS4_3ELS4_3ELNS0_20block_scan_algorithmE0ELj4294967295EEENS1_25partition_config_selectorILNS1_17partition_subalgoE3EjNS0_10empty_typeEbEEZZNS1_14partition_implILS8_3ELb0ES6_jNS0_17counting_iteratorIjlEEPS9_SE_NS0_5tupleIJPjSE_EEENSF_IJSE_SE_EEES9_SG_JZNS1_25segmented_radix_sort_implINS0_14default_configELb1EPKhPhPKlPlN2at6native12_GLOBAL__N_18offset_tEEE10hipError_tPvRmT1_PNSt15iterator_traitsISY_E10value_typeET2_T3_PNSZ_IS14_E10value_typeET4_jRbjT5_S1A_jjP12ihipStream_tbEUljE_EEESV_SW_SX_S14_S18_S1A_T6_T7_T9_mT8_S1C_bDpT10_ENKUlT_T0_E_clISt17integral_constantIbLb0EES1O_IbLb1EEEEDaS1K_S1L_EUlS1K_E_NS1_11comp_targetILNS1_3genE10ELNS1_11target_archE1200ELNS1_3gpuE4ELNS1_3repE0EEENS1_30default_config_static_selectorELNS0_4arch9wavefront6targetE0EEEvSY_.has_dyn_sized_stack, 0
	.set _ZN7rocprim17ROCPRIM_400000_NS6detail17trampoline_kernelINS0_13select_configILj256ELj13ELNS0_17block_load_methodE3ELS4_3ELS4_3ELNS0_20block_scan_algorithmE0ELj4294967295EEENS1_25partition_config_selectorILNS1_17partition_subalgoE3EjNS0_10empty_typeEbEEZZNS1_14partition_implILS8_3ELb0ES6_jNS0_17counting_iteratorIjlEEPS9_SE_NS0_5tupleIJPjSE_EEENSF_IJSE_SE_EEES9_SG_JZNS1_25segmented_radix_sort_implINS0_14default_configELb1EPKhPhPKlPlN2at6native12_GLOBAL__N_18offset_tEEE10hipError_tPvRmT1_PNSt15iterator_traitsISY_E10value_typeET2_T3_PNSZ_IS14_E10value_typeET4_jRbjT5_S1A_jjP12ihipStream_tbEUljE_EEESV_SW_SX_S14_S18_S1A_T6_T7_T9_mT8_S1C_bDpT10_ENKUlT_T0_E_clISt17integral_constantIbLb0EES1O_IbLb1EEEEDaS1K_S1L_EUlS1K_E_NS1_11comp_targetILNS1_3genE10ELNS1_11target_archE1200ELNS1_3gpuE4ELNS1_3repE0EEENS1_30default_config_static_selectorELNS0_4arch9wavefront6targetE0EEEvSY_.has_recursion, 0
	.set _ZN7rocprim17ROCPRIM_400000_NS6detail17trampoline_kernelINS0_13select_configILj256ELj13ELNS0_17block_load_methodE3ELS4_3ELS4_3ELNS0_20block_scan_algorithmE0ELj4294967295EEENS1_25partition_config_selectorILNS1_17partition_subalgoE3EjNS0_10empty_typeEbEEZZNS1_14partition_implILS8_3ELb0ES6_jNS0_17counting_iteratorIjlEEPS9_SE_NS0_5tupleIJPjSE_EEENSF_IJSE_SE_EEES9_SG_JZNS1_25segmented_radix_sort_implINS0_14default_configELb1EPKhPhPKlPlN2at6native12_GLOBAL__N_18offset_tEEE10hipError_tPvRmT1_PNSt15iterator_traitsISY_E10value_typeET2_T3_PNSZ_IS14_E10value_typeET4_jRbjT5_S1A_jjP12ihipStream_tbEUljE_EEESV_SW_SX_S14_S18_S1A_T6_T7_T9_mT8_S1C_bDpT10_ENKUlT_T0_E_clISt17integral_constantIbLb0EES1O_IbLb1EEEEDaS1K_S1L_EUlS1K_E_NS1_11comp_targetILNS1_3genE10ELNS1_11target_archE1200ELNS1_3gpuE4ELNS1_3repE0EEENS1_30default_config_static_selectorELNS0_4arch9wavefront6targetE0EEEvSY_.has_indirect_call, 0
	.section	.AMDGPU.csdata,"",@progbits
; Kernel info:
; codeLenInByte = 0
; TotalNumSgprs: 0
; NumVgprs: 0
; ScratchSize: 0
; MemoryBound: 0
; FloatMode: 240
; IeeeMode: 1
; LDSByteSize: 0 bytes/workgroup (compile time only)
; SGPRBlocks: 0
; VGPRBlocks: 0
; NumSGPRsForWavesPerEU: 1
; NumVGPRsForWavesPerEU: 1
; NamedBarCnt: 0
; Occupancy: 16
; WaveLimiterHint : 0
; COMPUTE_PGM_RSRC2:SCRATCH_EN: 0
; COMPUTE_PGM_RSRC2:USER_SGPR: 2
; COMPUTE_PGM_RSRC2:TRAP_HANDLER: 0
; COMPUTE_PGM_RSRC2:TGID_X_EN: 1
; COMPUTE_PGM_RSRC2:TGID_Y_EN: 0
; COMPUTE_PGM_RSRC2:TGID_Z_EN: 0
; COMPUTE_PGM_RSRC2:TIDIG_COMP_CNT: 0
	.section	.text._ZN7rocprim17ROCPRIM_400000_NS6detail17trampoline_kernelINS0_13select_configILj256ELj13ELNS0_17block_load_methodE3ELS4_3ELS4_3ELNS0_20block_scan_algorithmE0ELj4294967295EEENS1_25partition_config_selectorILNS1_17partition_subalgoE3EjNS0_10empty_typeEbEEZZNS1_14partition_implILS8_3ELb0ES6_jNS0_17counting_iteratorIjlEEPS9_SE_NS0_5tupleIJPjSE_EEENSF_IJSE_SE_EEES9_SG_JZNS1_25segmented_radix_sort_implINS0_14default_configELb1EPKhPhPKlPlN2at6native12_GLOBAL__N_18offset_tEEE10hipError_tPvRmT1_PNSt15iterator_traitsISY_E10value_typeET2_T3_PNSZ_IS14_E10value_typeET4_jRbjT5_S1A_jjP12ihipStream_tbEUljE_EEESV_SW_SX_S14_S18_S1A_T6_T7_T9_mT8_S1C_bDpT10_ENKUlT_T0_E_clISt17integral_constantIbLb0EES1O_IbLb1EEEEDaS1K_S1L_EUlS1K_E_NS1_11comp_targetILNS1_3genE9ELNS1_11target_archE1100ELNS1_3gpuE3ELNS1_3repE0EEENS1_30default_config_static_selectorELNS0_4arch9wavefront6targetE0EEEvSY_,"axG",@progbits,_ZN7rocprim17ROCPRIM_400000_NS6detail17trampoline_kernelINS0_13select_configILj256ELj13ELNS0_17block_load_methodE3ELS4_3ELS4_3ELNS0_20block_scan_algorithmE0ELj4294967295EEENS1_25partition_config_selectorILNS1_17partition_subalgoE3EjNS0_10empty_typeEbEEZZNS1_14partition_implILS8_3ELb0ES6_jNS0_17counting_iteratorIjlEEPS9_SE_NS0_5tupleIJPjSE_EEENSF_IJSE_SE_EEES9_SG_JZNS1_25segmented_radix_sort_implINS0_14default_configELb1EPKhPhPKlPlN2at6native12_GLOBAL__N_18offset_tEEE10hipError_tPvRmT1_PNSt15iterator_traitsISY_E10value_typeET2_T3_PNSZ_IS14_E10value_typeET4_jRbjT5_S1A_jjP12ihipStream_tbEUljE_EEESV_SW_SX_S14_S18_S1A_T6_T7_T9_mT8_S1C_bDpT10_ENKUlT_T0_E_clISt17integral_constantIbLb0EES1O_IbLb1EEEEDaS1K_S1L_EUlS1K_E_NS1_11comp_targetILNS1_3genE9ELNS1_11target_archE1100ELNS1_3gpuE3ELNS1_3repE0EEENS1_30default_config_static_selectorELNS0_4arch9wavefront6targetE0EEEvSY_,comdat
	.globl	_ZN7rocprim17ROCPRIM_400000_NS6detail17trampoline_kernelINS0_13select_configILj256ELj13ELNS0_17block_load_methodE3ELS4_3ELS4_3ELNS0_20block_scan_algorithmE0ELj4294967295EEENS1_25partition_config_selectorILNS1_17partition_subalgoE3EjNS0_10empty_typeEbEEZZNS1_14partition_implILS8_3ELb0ES6_jNS0_17counting_iteratorIjlEEPS9_SE_NS0_5tupleIJPjSE_EEENSF_IJSE_SE_EEES9_SG_JZNS1_25segmented_radix_sort_implINS0_14default_configELb1EPKhPhPKlPlN2at6native12_GLOBAL__N_18offset_tEEE10hipError_tPvRmT1_PNSt15iterator_traitsISY_E10value_typeET2_T3_PNSZ_IS14_E10value_typeET4_jRbjT5_S1A_jjP12ihipStream_tbEUljE_EEESV_SW_SX_S14_S18_S1A_T6_T7_T9_mT8_S1C_bDpT10_ENKUlT_T0_E_clISt17integral_constantIbLb0EES1O_IbLb1EEEEDaS1K_S1L_EUlS1K_E_NS1_11comp_targetILNS1_3genE9ELNS1_11target_archE1100ELNS1_3gpuE3ELNS1_3repE0EEENS1_30default_config_static_selectorELNS0_4arch9wavefront6targetE0EEEvSY_ ; -- Begin function _ZN7rocprim17ROCPRIM_400000_NS6detail17trampoline_kernelINS0_13select_configILj256ELj13ELNS0_17block_load_methodE3ELS4_3ELS4_3ELNS0_20block_scan_algorithmE0ELj4294967295EEENS1_25partition_config_selectorILNS1_17partition_subalgoE3EjNS0_10empty_typeEbEEZZNS1_14partition_implILS8_3ELb0ES6_jNS0_17counting_iteratorIjlEEPS9_SE_NS0_5tupleIJPjSE_EEENSF_IJSE_SE_EEES9_SG_JZNS1_25segmented_radix_sort_implINS0_14default_configELb1EPKhPhPKlPlN2at6native12_GLOBAL__N_18offset_tEEE10hipError_tPvRmT1_PNSt15iterator_traitsISY_E10value_typeET2_T3_PNSZ_IS14_E10value_typeET4_jRbjT5_S1A_jjP12ihipStream_tbEUljE_EEESV_SW_SX_S14_S18_S1A_T6_T7_T9_mT8_S1C_bDpT10_ENKUlT_T0_E_clISt17integral_constantIbLb0EES1O_IbLb1EEEEDaS1K_S1L_EUlS1K_E_NS1_11comp_targetILNS1_3genE9ELNS1_11target_archE1100ELNS1_3gpuE3ELNS1_3repE0EEENS1_30default_config_static_selectorELNS0_4arch9wavefront6targetE0EEEvSY_
	.p2align	8
	.type	_ZN7rocprim17ROCPRIM_400000_NS6detail17trampoline_kernelINS0_13select_configILj256ELj13ELNS0_17block_load_methodE3ELS4_3ELS4_3ELNS0_20block_scan_algorithmE0ELj4294967295EEENS1_25partition_config_selectorILNS1_17partition_subalgoE3EjNS0_10empty_typeEbEEZZNS1_14partition_implILS8_3ELb0ES6_jNS0_17counting_iteratorIjlEEPS9_SE_NS0_5tupleIJPjSE_EEENSF_IJSE_SE_EEES9_SG_JZNS1_25segmented_radix_sort_implINS0_14default_configELb1EPKhPhPKlPlN2at6native12_GLOBAL__N_18offset_tEEE10hipError_tPvRmT1_PNSt15iterator_traitsISY_E10value_typeET2_T3_PNSZ_IS14_E10value_typeET4_jRbjT5_S1A_jjP12ihipStream_tbEUljE_EEESV_SW_SX_S14_S18_S1A_T6_T7_T9_mT8_S1C_bDpT10_ENKUlT_T0_E_clISt17integral_constantIbLb0EES1O_IbLb1EEEEDaS1K_S1L_EUlS1K_E_NS1_11comp_targetILNS1_3genE9ELNS1_11target_archE1100ELNS1_3gpuE3ELNS1_3repE0EEENS1_30default_config_static_selectorELNS0_4arch9wavefront6targetE0EEEvSY_,@function
_ZN7rocprim17ROCPRIM_400000_NS6detail17trampoline_kernelINS0_13select_configILj256ELj13ELNS0_17block_load_methodE3ELS4_3ELS4_3ELNS0_20block_scan_algorithmE0ELj4294967295EEENS1_25partition_config_selectorILNS1_17partition_subalgoE3EjNS0_10empty_typeEbEEZZNS1_14partition_implILS8_3ELb0ES6_jNS0_17counting_iteratorIjlEEPS9_SE_NS0_5tupleIJPjSE_EEENSF_IJSE_SE_EEES9_SG_JZNS1_25segmented_radix_sort_implINS0_14default_configELb1EPKhPhPKlPlN2at6native12_GLOBAL__N_18offset_tEEE10hipError_tPvRmT1_PNSt15iterator_traitsISY_E10value_typeET2_T3_PNSZ_IS14_E10value_typeET4_jRbjT5_S1A_jjP12ihipStream_tbEUljE_EEESV_SW_SX_S14_S18_S1A_T6_T7_T9_mT8_S1C_bDpT10_ENKUlT_T0_E_clISt17integral_constantIbLb0EES1O_IbLb1EEEEDaS1K_S1L_EUlS1K_E_NS1_11comp_targetILNS1_3genE9ELNS1_11target_archE1100ELNS1_3gpuE3ELNS1_3repE0EEENS1_30default_config_static_selectorELNS0_4arch9wavefront6targetE0EEEvSY_: ; @_ZN7rocprim17ROCPRIM_400000_NS6detail17trampoline_kernelINS0_13select_configILj256ELj13ELNS0_17block_load_methodE3ELS4_3ELS4_3ELNS0_20block_scan_algorithmE0ELj4294967295EEENS1_25partition_config_selectorILNS1_17partition_subalgoE3EjNS0_10empty_typeEbEEZZNS1_14partition_implILS8_3ELb0ES6_jNS0_17counting_iteratorIjlEEPS9_SE_NS0_5tupleIJPjSE_EEENSF_IJSE_SE_EEES9_SG_JZNS1_25segmented_radix_sort_implINS0_14default_configELb1EPKhPhPKlPlN2at6native12_GLOBAL__N_18offset_tEEE10hipError_tPvRmT1_PNSt15iterator_traitsISY_E10value_typeET2_T3_PNSZ_IS14_E10value_typeET4_jRbjT5_S1A_jjP12ihipStream_tbEUljE_EEESV_SW_SX_S14_S18_S1A_T6_T7_T9_mT8_S1C_bDpT10_ENKUlT_T0_E_clISt17integral_constantIbLb0EES1O_IbLb1EEEEDaS1K_S1L_EUlS1K_E_NS1_11comp_targetILNS1_3genE9ELNS1_11target_archE1100ELNS1_3gpuE3ELNS1_3repE0EEENS1_30default_config_static_selectorELNS0_4arch9wavefront6targetE0EEEvSY_
; %bb.0:
	.section	.rodata,"a",@progbits
	.p2align	6, 0x0
	.amdhsa_kernel _ZN7rocprim17ROCPRIM_400000_NS6detail17trampoline_kernelINS0_13select_configILj256ELj13ELNS0_17block_load_methodE3ELS4_3ELS4_3ELNS0_20block_scan_algorithmE0ELj4294967295EEENS1_25partition_config_selectorILNS1_17partition_subalgoE3EjNS0_10empty_typeEbEEZZNS1_14partition_implILS8_3ELb0ES6_jNS0_17counting_iteratorIjlEEPS9_SE_NS0_5tupleIJPjSE_EEENSF_IJSE_SE_EEES9_SG_JZNS1_25segmented_radix_sort_implINS0_14default_configELb1EPKhPhPKlPlN2at6native12_GLOBAL__N_18offset_tEEE10hipError_tPvRmT1_PNSt15iterator_traitsISY_E10value_typeET2_T3_PNSZ_IS14_E10value_typeET4_jRbjT5_S1A_jjP12ihipStream_tbEUljE_EEESV_SW_SX_S14_S18_S1A_T6_T7_T9_mT8_S1C_bDpT10_ENKUlT_T0_E_clISt17integral_constantIbLb0EES1O_IbLb1EEEEDaS1K_S1L_EUlS1K_E_NS1_11comp_targetILNS1_3genE9ELNS1_11target_archE1100ELNS1_3gpuE3ELNS1_3repE0EEENS1_30default_config_static_selectorELNS0_4arch9wavefront6targetE0EEEvSY_
		.amdhsa_group_segment_fixed_size 0
		.amdhsa_private_segment_fixed_size 0
		.amdhsa_kernarg_size 152
		.amdhsa_user_sgpr_count 2
		.amdhsa_user_sgpr_dispatch_ptr 0
		.amdhsa_user_sgpr_queue_ptr 0
		.amdhsa_user_sgpr_kernarg_segment_ptr 1
		.amdhsa_user_sgpr_dispatch_id 0
		.amdhsa_user_sgpr_kernarg_preload_length 0
		.amdhsa_user_sgpr_kernarg_preload_offset 0
		.amdhsa_user_sgpr_private_segment_size 0
		.amdhsa_wavefront_size32 1
		.amdhsa_uses_dynamic_stack 0
		.amdhsa_enable_private_segment 0
		.amdhsa_system_sgpr_workgroup_id_x 1
		.amdhsa_system_sgpr_workgroup_id_y 0
		.amdhsa_system_sgpr_workgroup_id_z 0
		.amdhsa_system_sgpr_workgroup_info 0
		.amdhsa_system_vgpr_workitem_id 0
		.amdhsa_next_free_vgpr 1
		.amdhsa_next_free_sgpr 1
		.amdhsa_named_barrier_count 0
		.amdhsa_reserve_vcc 0
		.amdhsa_float_round_mode_32 0
		.amdhsa_float_round_mode_16_64 0
		.amdhsa_float_denorm_mode_32 3
		.amdhsa_float_denorm_mode_16_64 3
		.amdhsa_fp16_overflow 0
		.amdhsa_memory_ordered 1
		.amdhsa_forward_progress 1
		.amdhsa_inst_pref_size 0
		.amdhsa_round_robin_scheduling 0
		.amdhsa_exception_fp_ieee_invalid_op 0
		.amdhsa_exception_fp_denorm_src 0
		.amdhsa_exception_fp_ieee_div_zero 0
		.amdhsa_exception_fp_ieee_overflow 0
		.amdhsa_exception_fp_ieee_underflow 0
		.amdhsa_exception_fp_ieee_inexact 0
		.amdhsa_exception_int_div_zero 0
	.end_amdhsa_kernel
	.section	.text._ZN7rocprim17ROCPRIM_400000_NS6detail17trampoline_kernelINS0_13select_configILj256ELj13ELNS0_17block_load_methodE3ELS4_3ELS4_3ELNS0_20block_scan_algorithmE0ELj4294967295EEENS1_25partition_config_selectorILNS1_17partition_subalgoE3EjNS0_10empty_typeEbEEZZNS1_14partition_implILS8_3ELb0ES6_jNS0_17counting_iteratorIjlEEPS9_SE_NS0_5tupleIJPjSE_EEENSF_IJSE_SE_EEES9_SG_JZNS1_25segmented_radix_sort_implINS0_14default_configELb1EPKhPhPKlPlN2at6native12_GLOBAL__N_18offset_tEEE10hipError_tPvRmT1_PNSt15iterator_traitsISY_E10value_typeET2_T3_PNSZ_IS14_E10value_typeET4_jRbjT5_S1A_jjP12ihipStream_tbEUljE_EEESV_SW_SX_S14_S18_S1A_T6_T7_T9_mT8_S1C_bDpT10_ENKUlT_T0_E_clISt17integral_constantIbLb0EES1O_IbLb1EEEEDaS1K_S1L_EUlS1K_E_NS1_11comp_targetILNS1_3genE9ELNS1_11target_archE1100ELNS1_3gpuE3ELNS1_3repE0EEENS1_30default_config_static_selectorELNS0_4arch9wavefront6targetE0EEEvSY_,"axG",@progbits,_ZN7rocprim17ROCPRIM_400000_NS6detail17trampoline_kernelINS0_13select_configILj256ELj13ELNS0_17block_load_methodE3ELS4_3ELS4_3ELNS0_20block_scan_algorithmE0ELj4294967295EEENS1_25partition_config_selectorILNS1_17partition_subalgoE3EjNS0_10empty_typeEbEEZZNS1_14partition_implILS8_3ELb0ES6_jNS0_17counting_iteratorIjlEEPS9_SE_NS0_5tupleIJPjSE_EEENSF_IJSE_SE_EEES9_SG_JZNS1_25segmented_radix_sort_implINS0_14default_configELb1EPKhPhPKlPlN2at6native12_GLOBAL__N_18offset_tEEE10hipError_tPvRmT1_PNSt15iterator_traitsISY_E10value_typeET2_T3_PNSZ_IS14_E10value_typeET4_jRbjT5_S1A_jjP12ihipStream_tbEUljE_EEESV_SW_SX_S14_S18_S1A_T6_T7_T9_mT8_S1C_bDpT10_ENKUlT_T0_E_clISt17integral_constantIbLb0EES1O_IbLb1EEEEDaS1K_S1L_EUlS1K_E_NS1_11comp_targetILNS1_3genE9ELNS1_11target_archE1100ELNS1_3gpuE3ELNS1_3repE0EEENS1_30default_config_static_selectorELNS0_4arch9wavefront6targetE0EEEvSY_,comdat
.Lfunc_end81:
	.size	_ZN7rocprim17ROCPRIM_400000_NS6detail17trampoline_kernelINS0_13select_configILj256ELj13ELNS0_17block_load_methodE3ELS4_3ELS4_3ELNS0_20block_scan_algorithmE0ELj4294967295EEENS1_25partition_config_selectorILNS1_17partition_subalgoE3EjNS0_10empty_typeEbEEZZNS1_14partition_implILS8_3ELb0ES6_jNS0_17counting_iteratorIjlEEPS9_SE_NS0_5tupleIJPjSE_EEENSF_IJSE_SE_EEES9_SG_JZNS1_25segmented_radix_sort_implINS0_14default_configELb1EPKhPhPKlPlN2at6native12_GLOBAL__N_18offset_tEEE10hipError_tPvRmT1_PNSt15iterator_traitsISY_E10value_typeET2_T3_PNSZ_IS14_E10value_typeET4_jRbjT5_S1A_jjP12ihipStream_tbEUljE_EEESV_SW_SX_S14_S18_S1A_T6_T7_T9_mT8_S1C_bDpT10_ENKUlT_T0_E_clISt17integral_constantIbLb0EES1O_IbLb1EEEEDaS1K_S1L_EUlS1K_E_NS1_11comp_targetILNS1_3genE9ELNS1_11target_archE1100ELNS1_3gpuE3ELNS1_3repE0EEENS1_30default_config_static_selectorELNS0_4arch9wavefront6targetE0EEEvSY_, .Lfunc_end81-_ZN7rocprim17ROCPRIM_400000_NS6detail17trampoline_kernelINS0_13select_configILj256ELj13ELNS0_17block_load_methodE3ELS4_3ELS4_3ELNS0_20block_scan_algorithmE0ELj4294967295EEENS1_25partition_config_selectorILNS1_17partition_subalgoE3EjNS0_10empty_typeEbEEZZNS1_14partition_implILS8_3ELb0ES6_jNS0_17counting_iteratorIjlEEPS9_SE_NS0_5tupleIJPjSE_EEENSF_IJSE_SE_EEES9_SG_JZNS1_25segmented_radix_sort_implINS0_14default_configELb1EPKhPhPKlPlN2at6native12_GLOBAL__N_18offset_tEEE10hipError_tPvRmT1_PNSt15iterator_traitsISY_E10value_typeET2_T3_PNSZ_IS14_E10value_typeET4_jRbjT5_S1A_jjP12ihipStream_tbEUljE_EEESV_SW_SX_S14_S18_S1A_T6_T7_T9_mT8_S1C_bDpT10_ENKUlT_T0_E_clISt17integral_constantIbLb0EES1O_IbLb1EEEEDaS1K_S1L_EUlS1K_E_NS1_11comp_targetILNS1_3genE9ELNS1_11target_archE1100ELNS1_3gpuE3ELNS1_3repE0EEENS1_30default_config_static_selectorELNS0_4arch9wavefront6targetE0EEEvSY_
                                        ; -- End function
	.set _ZN7rocprim17ROCPRIM_400000_NS6detail17trampoline_kernelINS0_13select_configILj256ELj13ELNS0_17block_load_methodE3ELS4_3ELS4_3ELNS0_20block_scan_algorithmE0ELj4294967295EEENS1_25partition_config_selectorILNS1_17partition_subalgoE3EjNS0_10empty_typeEbEEZZNS1_14partition_implILS8_3ELb0ES6_jNS0_17counting_iteratorIjlEEPS9_SE_NS0_5tupleIJPjSE_EEENSF_IJSE_SE_EEES9_SG_JZNS1_25segmented_radix_sort_implINS0_14default_configELb1EPKhPhPKlPlN2at6native12_GLOBAL__N_18offset_tEEE10hipError_tPvRmT1_PNSt15iterator_traitsISY_E10value_typeET2_T3_PNSZ_IS14_E10value_typeET4_jRbjT5_S1A_jjP12ihipStream_tbEUljE_EEESV_SW_SX_S14_S18_S1A_T6_T7_T9_mT8_S1C_bDpT10_ENKUlT_T0_E_clISt17integral_constantIbLb0EES1O_IbLb1EEEEDaS1K_S1L_EUlS1K_E_NS1_11comp_targetILNS1_3genE9ELNS1_11target_archE1100ELNS1_3gpuE3ELNS1_3repE0EEENS1_30default_config_static_selectorELNS0_4arch9wavefront6targetE0EEEvSY_.num_vgpr, 0
	.set _ZN7rocprim17ROCPRIM_400000_NS6detail17trampoline_kernelINS0_13select_configILj256ELj13ELNS0_17block_load_methodE3ELS4_3ELS4_3ELNS0_20block_scan_algorithmE0ELj4294967295EEENS1_25partition_config_selectorILNS1_17partition_subalgoE3EjNS0_10empty_typeEbEEZZNS1_14partition_implILS8_3ELb0ES6_jNS0_17counting_iteratorIjlEEPS9_SE_NS0_5tupleIJPjSE_EEENSF_IJSE_SE_EEES9_SG_JZNS1_25segmented_radix_sort_implINS0_14default_configELb1EPKhPhPKlPlN2at6native12_GLOBAL__N_18offset_tEEE10hipError_tPvRmT1_PNSt15iterator_traitsISY_E10value_typeET2_T3_PNSZ_IS14_E10value_typeET4_jRbjT5_S1A_jjP12ihipStream_tbEUljE_EEESV_SW_SX_S14_S18_S1A_T6_T7_T9_mT8_S1C_bDpT10_ENKUlT_T0_E_clISt17integral_constantIbLb0EES1O_IbLb1EEEEDaS1K_S1L_EUlS1K_E_NS1_11comp_targetILNS1_3genE9ELNS1_11target_archE1100ELNS1_3gpuE3ELNS1_3repE0EEENS1_30default_config_static_selectorELNS0_4arch9wavefront6targetE0EEEvSY_.num_agpr, 0
	.set _ZN7rocprim17ROCPRIM_400000_NS6detail17trampoline_kernelINS0_13select_configILj256ELj13ELNS0_17block_load_methodE3ELS4_3ELS4_3ELNS0_20block_scan_algorithmE0ELj4294967295EEENS1_25partition_config_selectorILNS1_17partition_subalgoE3EjNS0_10empty_typeEbEEZZNS1_14partition_implILS8_3ELb0ES6_jNS0_17counting_iteratorIjlEEPS9_SE_NS0_5tupleIJPjSE_EEENSF_IJSE_SE_EEES9_SG_JZNS1_25segmented_radix_sort_implINS0_14default_configELb1EPKhPhPKlPlN2at6native12_GLOBAL__N_18offset_tEEE10hipError_tPvRmT1_PNSt15iterator_traitsISY_E10value_typeET2_T3_PNSZ_IS14_E10value_typeET4_jRbjT5_S1A_jjP12ihipStream_tbEUljE_EEESV_SW_SX_S14_S18_S1A_T6_T7_T9_mT8_S1C_bDpT10_ENKUlT_T0_E_clISt17integral_constantIbLb0EES1O_IbLb1EEEEDaS1K_S1L_EUlS1K_E_NS1_11comp_targetILNS1_3genE9ELNS1_11target_archE1100ELNS1_3gpuE3ELNS1_3repE0EEENS1_30default_config_static_selectorELNS0_4arch9wavefront6targetE0EEEvSY_.numbered_sgpr, 0
	.set _ZN7rocprim17ROCPRIM_400000_NS6detail17trampoline_kernelINS0_13select_configILj256ELj13ELNS0_17block_load_methodE3ELS4_3ELS4_3ELNS0_20block_scan_algorithmE0ELj4294967295EEENS1_25partition_config_selectorILNS1_17partition_subalgoE3EjNS0_10empty_typeEbEEZZNS1_14partition_implILS8_3ELb0ES6_jNS0_17counting_iteratorIjlEEPS9_SE_NS0_5tupleIJPjSE_EEENSF_IJSE_SE_EEES9_SG_JZNS1_25segmented_radix_sort_implINS0_14default_configELb1EPKhPhPKlPlN2at6native12_GLOBAL__N_18offset_tEEE10hipError_tPvRmT1_PNSt15iterator_traitsISY_E10value_typeET2_T3_PNSZ_IS14_E10value_typeET4_jRbjT5_S1A_jjP12ihipStream_tbEUljE_EEESV_SW_SX_S14_S18_S1A_T6_T7_T9_mT8_S1C_bDpT10_ENKUlT_T0_E_clISt17integral_constantIbLb0EES1O_IbLb1EEEEDaS1K_S1L_EUlS1K_E_NS1_11comp_targetILNS1_3genE9ELNS1_11target_archE1100ELNS1_3gpuE3ELNS1_3repE0EEENS1_30default_config_static_selectorELNS0_4arch9wavefront6targetE0EEEvSY_.num_named_barrier, 0
	.set _ZN7rocprim17ROCPRIM_400000_NS6detail17trampoline_kernelINS0_13select_configILj256ELj13ELNS0_17block_load_methodE3ELS4_3ELS4_3ELNS0_20block_scan_algorithmE0ELj4294967295EEENS1_25partition_config_selectorILNS1_17partition_subalgoE3EjNS0_10empty_typeEbEEZZNS1_14partition_implILS8_3ELb0ES6_jNS0_17counting_iteratorIjlEEPS9_SE_NS0_5tupleIJPjSE_EEENSF_IJSE_SE_EEES9_SG_JZNS1_25segmented_radix_sort_implINS0_14default_configELb1EPKhPhPKlPlN2at6native12_GLOBAL__N_18offset_tEEE10hipError_tPvRmT1_PNSt15iterator_traitsISY_E10value_typeET2_T3_PNSZ_IS14_E10value_typeET4_jRbjT5_S1A_jjP12ihipStream_tbEUljE_EEESV_SW_SX_S14_S18_S1A_T6_T7_T9_mT8_S1C_bDpT10_ENKUlT_T0_E_clISt17integral_constantIbLb0EES1O_IbLb1EEEEDaS1K_S1L_EUlS1K_E_NS1_11comp_targetILNS1_3genE9ELNS1_11target_archE1100ELNS1_3gpuE3ELNS1_3repE0EEENS1_30default_config_static_selectorELNS0_4arch9wavefront6targetE0EEEvSY_.private_seg_size, 0
	.set _ZN7rocprim17ROCPRIM_400000_NS6detail17trampoline_kernelINS0_13select_configILj256ELj13ELNS0_17block_load_methodE3ELS4_3ELS4_3ELNS0_20block_scan_algorithmE0ELj4294967295EEENS1_25partition_config_selectorILNS1_17partition_subalgoE3EjNS0_10empty_typeEbEEZZNS1_14partition_implILS8_3ELb0ES6_jNS0_17counting_iteratorIjlEEPS9_SE_NS0_5tupleIJPjSE_EEENSF_IJSE_SE_EEES9_SG_JZNS1_25segmented_radix_sort_implINS0_14default_configELb1EPKhPhPKlPlN2at6native12_GLOBAL__N_18offset_tEEE10hipError_tPvRmT1_PNSt15iterator_traitsISY_E10value_typeET2_T3_PNSZ_IS14_E10value_typeET4_jRbjT5_S1A_jjP12ihipStream_tbEUljE_EEESV_SW_SX_S14_S18_S1A_T6_T7_T9_mT8_S1C_bDpT10_ENKUlT_T0_E_clISt17integral_constantIbLb0EES1O_IbLb1EEEEDaS1K_S1L_EUlS1K_E_NS1_11comp_targetILNS1_3genE9ELNS1_11target_archE1100ELNS1_3gpuE3ELNS1_3repE0EEENS1_30default_config_static_selectorELNS0_4arch9wavefront6targetE0EEEvSY_.uses_vcc, 0
	.set _ZN7rocprim17ROCPRIM_400000_NS6detail17trampoline_kernelINS0_13select_configILj256ELj13ELNS0_17block_load_methodE3ELS4_3ELS4_3ELNS0_20block_scan_algorithmE0ELj4294967295EEENS1_25partition_config_selectorILNS1_17partition_subalgoE3EjNS0_10empty_typeEbEEZZNS1_14partition_implILS8_3ELb0ES6_jNS0_17counting_iteratorIjlEEPS9_SE_NS0_5tupleIJPjSE_EEENSF_IJSE_SE_EEES9_SG_JZNS1_25segmented_radix_sort_implINS0_14default_configELb1EPKhPhPKlPlN2at6native12_GLOBAL__N_18offset_tEEE10hipError_tPvRmT1_PNSt15iterator_traitsISY_E10value_typeET2_T3_PNSZ_IS14_E10value_typeET4_jRbjT5_S1A_jjP12ihipStream_tbEUljE_EEESV_SW_SX_S14_S18_S1A_T6_T7_T9_mT8_S1C_bDpT10_ENKUlT_T0_E_clISt17integral_constantIbLb0EES1O_IbLb1EEEEDaS1K_S1L_EUlS1K_E_NS1_11comp_targetILNS1_3genE9ELNS1_11target_archE1100ELNS1_3gpuE3ELNS1_3repE0EEENS1_30default_config_static_selectorELNS0_4arch9wavefront6targetE0EEEvSY_.uses_flat_scratch, 0
	.set _ZN7rocprim17ROCPRIM_400000_NS6detail17trampoline_kernelINS0_13select_configILj256ELj13ELNS0_17block_load_methodE3ELS4_3ELS4_3ELNS0_20block_scan_algorithmE0ELj4294967295EEENS1_25partition_config_selectorILNS1_17partition_subalgoE3EjNS0_10empty_typeEbEEZZNS1_14partition_implILS8_3ELb0ES6_jNS0_17counting_iteratorIjlEEPS9_SE_NS0_5tupleIJPjSE_EEENSF_IJSE_SE_EEES9_SG_JZNS1_25segmented_radix_sort_implINS0_14default_configELb1EPKhPhPKlPlN2at6native12_GLOBAL__N_18offset_tEEE10hipError_tPvRmT1_PNSt15iterator_traitsISY_E10value_typeET2_T3_PNSZ_IS14_E10value_typeET4_jRbjT5_S1A_jjP12ihipStream_tbEUljE_EEESV_SW_SX_S14_S18_S1A_T6_T7_T9_mT8_S1C_bDpT10_ENKUlT_T0_E_clISt17integral_constantIbLb0EES1O_IbLb1EEEEDaS1K_S1L_EUlS1K_E_NS1_11comp_targetILNS1_3genE9ELNS1_11target_archE1100ELNS1_3gpuE3ELNS1_3repE0EEENS1_30default_config_static_selectorELNS0_4arch9wavefront6targetE0EEEvSY_.has_dyn_sized_stack, 0
	.set _ZN7rocprim17ROCPRIM_400000_NS6detail17trampoline_kernelINS0_13select_configILj256ELj13ELNS0_17block_load_methodE3ELS4_3ELS4_3ELNS0_20block_scan_algorithmE0ELj4294967295EEENS1_25partition_config_selectorILNS1_17partition_subalgoE3EjNS0_10empty_typeEbEEZZNS1_14partition_implILS8_3ELb0ES6_jNS0_17counting_iteratorIjlEEPS9_SE_NS0_5tupleIJPjSE_EEENSF_IJSE_SE_EEES9_SG_JZNS1_25segmented_radix_sort_implINS0_14default_configELb1EPKhPhPKlPlN2at6native12_GLOBAL__N_18offset_tEEE10hipError_tPvRmT1_PNSt15iterator_traitsISY_E10value_typeET2_T3_PNSZ_IS14_E10value_typeET4_jRbjT5_S1A_jjP12ihipStream_tbEUljE_EEESV_SW_SX_S14_S18_S1A_T6_T7_T9_mT8_S1C_bDpT10_ENKUlT_T0_E_clISt17integral_constantIbLb0EES1O_IbLb1EEEEDaS1K_S1L_EUlS1K_E_NS1_11comp_targetILNS1_3genE9ELNS1_11target_archE1100ELNS1_3gpuE3ELNS1_3repE0EEENS1_30default_config_static_selectorELNS0_4arch9wavefront6targetE0EEEvSY_.has_recursion, 0
	.set _ZN7rocprim17ROCPRIM_400000_NS6detail17trampoline_kernelINS0_13select_configILj256ELj13ELNS0_17block_load_methodE3ELS4_3ELS4_3ELNS0_20block_scan_algorithmE0ELj4294967295EEENS1_25partition_config_selectorILNS1_17partition_subalgoE3EjNS0_10empty_typeEbEEZZNS1_14partition_implILS8_3ELb0ES6_jNS0_17counting_iteratorIjlEEPS9_SE_NS0_5tupleIJPjSE_EEENSF_IJSE_SE_EEES9_SG_JZNS1_25segmented_radix_sort_implINS0_14default_configELb1EPKhPhPKlPlN2at6native12_GLOBAL__N_18offset_tEEE10hipError_tPvRmT1_PNSt15iterator_traitsISY_E10value_typeET2_T3_PNSZ_IS14_E10value_typeET4_jRbjT5_S1A_jjP12ihipStream_tbEUljE_EEESV_SW_SX_S14_S18_S1A_T6_T7_T9_mT8_S1C_bDpT10_ENKUlT_T0_E_clISt17integral_constantIbLb0EES1O_IbLb1EEEEDaS1K_S1L_EUlS1K_E_NS1_11comp_targetILNS1_3genE9ELNS1_11target_archE1100ELNS1_3gpuE3ELNS1_3repE0EEENS1_30default_config_static_selectorELNS0_4arch9wavefront6targetE0EEEvSY_.has_indirect_call, 0
	.section	.AMDGPU.csdata,"",@progbits
; Kernel info:
; codeLenInByte = 0
; TotalNumSgprs: 0
; NumVgprs: 0
; ScratchSize: 0
; MemoryBound: 0
; FloatMode: 240
; IeeeMode: 1
; LDSByteSize: 0 bytes/workgroup (compile time only)
; SGPRBlocks: 0
; VGPRBlocks: 0
; NumSGPRsForWavesPerEU: 1
; NumVGPRsForWavesPerEU: 1
; NamedBarCnt: 0
; Occupancy: 16
; WaveLimiterHint : 0
; COMPUTE_PGM_RSRC2:SCRATCH_EN: 0
; COMPUTE_PGM_RSRC2:USER_SGPR: 2
; COMPUTE_PGM_RSRC2:TRAP_HANDLER: 0
; COMPUTE_PGM_RSRC2:TGID_X_EN: 1
; COMPUTE_PGM_RSRC2:TGID_Y_EN: 0
; COMPUTE_PGM_RSRC2:TGID_Z_EN: 0
; COMPUTE_PGM_RSRC2:TIDIG_COMP_CNT: 0
	.section	.text._ZN7rocprim17ROCPRIM_400000_NS6detail17trampoline_kernelINS0_13select_configILj256ELj13ELNS0_17block_load_methodE3ELS4_3ELS4_3ELNS0_20block_scan_algorithmE0ELj4294967295EEENS1_25partition_config_selectorILNS1_17partition_subalgoE3EjNS0_10empty_typeEbEEZZNS1_14partition_implILS8_3ELb0ES6_jNS0_17counting_iteratorIjlEEPS9_SE_NS0_5tupleIJPjSE_EEENSF_IJSE_SE_EEES9_SG_JZNS1_25segmented_radix_sort_implINS0_14default_configELb1EPKhPhPKlPlN2at6native12_GLOBAL__N_18offset_tEEE10hipError_tPvRmT1_PNSt15iterator_traitsISY_E10value_typeET2_T3_PNSZ_IS14_E10value_typeET4_jRbjT5_S1A_jjP12ihipStream_tbEUljE_EEESV_SW_SX_S14_S18_S1A_T6_T7_T9_mT8_S1C_bDpT10_ENKUlT_T0_E_clISt17integral_constantIbLb0EES1O_IbLb1EEEEDaS1K_S1L_EUlS1K_E_NS1_11comp_targetILNS1_3genE8ELNS1_11target_archE1030ELNS1_3gpuE2ELNS1_3repE0EEENS1_30default_config_static_selectorELNS0_4arch9wavefront6targetE0EEEvSY_,"axG",@progbits,_ZN7rocprim17ROCPRIM_400000_NS6detail17trampoline_kernelINS0_13select_configILj256ELj13ELNS0_17block_load_methodE3ELS4_3ELS4_3ELNS0_20block_scan_algorithmE0ELj4294967295EEENS1_25partition_config_selectorILNS1_17partition_subalgoE3EjNS0_10empty_typeEbEEZZNS1_14partition_implILS8_3ELb0ES6_jNS0_17counting_iteratorIjlEEPS9_SE_NS0_5tupleIJPjSE_EEENSF_IJSE_SE_EEES9_SG_JZNS1_25segmented_radix_sort_implINS0_14default_configELb1EPKhPhPKlPlN2at6native12_GLOBAL__N_18offset_tEEE10hipError_tPvRmT1_PNSt15iterator_traitsISY_E10value_typeET2_T3_PNSZ_IS14_E10value_typeET4_jRbjT5_S1A_jjP12ihipStream_tbEUljE_EEESV_SW_SX_S14_S18_S1A_T6_T7_T9_mT8_S1C_bDpT10_ENKUlT_T0_E_clISt17integral_constantIbLb0EES1O_IbLb1EEEEDaS1K_S1L_EUlS1K_E_NS1_11comp_targetILNS1_3genE8ELNS1_11target_archE1030ELNS1_3gpuE2ELNS1_3repE0EEENS1_30default_config_static_selectorELNS0_4arch9wavefront6targetE0EEEvSY_,comdat
	.globl	_ZN7rocprim17ROCPRIM_400000_NS6detail17trampoline_kernelINS0_13select_configILj256ELj13ELNS0_17block_load_methodE3ELS4_3ELS4_3ELNS0_20block_scan_algorithmE0ELj4294967295EEENS1_25partition_config_selectorILNS1_17partition_subalgoE3EjNS0_10empty_typeEbEEZZNS1_14partition_implILS8_3ELb0ES6_jNS0_17counting_iteratorIjlEEPS9_SE_NS0_5tupleIJPjSE_EEENSF_IJSE_SE_EEES9_SG_JZNS1_25segmented_radix_sort_implINS0_14default_configELb1EPKhPhPKlPlN2at6native12_GLOBAL__N_18offset_tEEE10hipError_tPvRmT1_PNSt15iterator_traitsISY_E10value_typeET2_T3_PNSZ_IS14_E10value_typeET4_jRbjT5_S1A_jjP12ihipStream_tbEUljE_EEESV_SW_SX_S14_S18_S1A_T6_T7_T9_mT8_S1C_bDpT10_ENKUlT_T0_E_clISt17integral_constantIbLb0EES1O_IbLb1EEEEDaS1K_S1L_EUlS1K_E_NS1_11comp_targetILNS1_3genE8ELNS1_11target_archE1030ELNS1_3gpuE2ELNS1_3repE0EEENS1_30default_config_static_selectorELNS0_4arch9wavefront6targetE0EEEvSY_ ; -- Begin function _ZN7rocprim17ROCPRIM_400000_NS6detail17trampoline_kernelINS0_13select_configILj256ELj13ELNS0_17block_load_methodE3ELS4_3ELS4_3ELNS0_20block_scan_algorithmE0ELj4294967295EEENS1_25partition_config_selectorILNS1_17partition_subalgoE3EjNS0_10empty_typeEbEEZZNS1_14partition_implILS8_3ELb0ES6_jNS0_17counting_iteratorIjlEEPS9_SE_NS0_5tupleIJPjSE_EEENSF_IJSE_SE_EEES9_SG_JZNS1_25segmented_radix_sort_implINS0_14default_configELb1EPKhPhPKlPlN2at6native12_GLOBAL__N_18offset_tEEE10hipError_tPvRmT1_PNSt15iterator_traitsISY_E10value_typeET2_T3_PNSZ_IS14_E10value_typeET4_jRbjT5_S1A_jjP12ihipStream_tbEUljE_EEESV_SW_SX_S14_S18_S1A_T6_T7_T9_mT8_S1C_bDpT10_ENKUlT_T0_E_clISt17integral_constantIbLb0EES1O_IbLb1EEEEDaS1K_S1L_EUlS1K_E_NS1_11comp_targetILNS1_3genE8ELNS1_11target_archE1030ELNS1_3gpuE2ELNS1_3repE0EEENS1_30default_config_static_selectorELNS0_4arch9wavefront6targetE0EEEvSY_
	.p2align	8
	.type	_ZN7rocprim17ROCPRIM_400000_NS6detail17trampoline_kernelINS0_13select_configILj256ELj13ELNS0_17block_load_methodE3ELS4_3ELS4_3ELNS0_20block_scan_algorithmE0ELj4294967295EEENS1_25partition_config_selectorILNS1_17partition_subalgoE3EjNS0_10empty_typeEbEEZZNS1_14partition_implILS8_3ELb0ES6_jNS0_17counting_iteratorIjlEEPS9_SE_NS0_5tupleIJPjSE_EEENSF_IJSE_SE_EEES9_SG_JZNS1_25segmented_radix_sort_implINS0_14default_configELb1EPKhPhPKlPlN2at6native12_GLOBAL__N_18offset_tEEE10hipError_tPvRmT1_PNSt15iterator_traitsISY_E10value_typeET2_T3_PNSZ_IS14_E10value_typeET4_jRbjT5_S1A_jjP12ihipStream_tbEUljE_EEESV_SW_SX_S14_S18_S1A_T6_T7_T9_mT8_S1C_bDpT10_ENKUlT_T0_E_clISt17integral_constantIbLb0EES1O_IbLb1EEEEDaS1K_S1L_EUlS1K_E_NS1_11comp_targetILNS1_3genE8ELNS1_11target_archE1030ELNS1_3gpuE2ELNS1_3repE0EEENS1_30default_config_static_selectorELNS0_4arch9wavefront6targetE0EEEvSY_,@function
_ZN7rocprim17ROCPRIM_400000_NS6detail17trampoline_kernelINS0_13select_configILj256ELj13ELNS0_17block_load_methodE3ELS4_3ELS4_3ELNS0_20block_scan_algorithmE0ELj4294967295EEENS1_25partition_config_selectorILNS1_17partition_subalgoE3EjNS0_10empty_typeEbEEZZNS1_14partition_implILS8_3ELb0ES6_jNS0_17counting_iteratorIjlEEPS9_SE_NS0_5tupleIJPjSE_EEENSF_IJSE_SE_EEES9_SG_JZNS1_25segmented_radix_sort_implINS0_14default_configELb1EPKhPhPKlPlN2at6native12_GLOBAL__N_18offset_tEEE10hipError_tPvRmT1_PNSt15iterator_traitsISY_E10value_typeET2_T3_PNSZ_IS14_E10value_typeET4_jRbjT5_S1A_jjP12ihipStream_tbEUljE_EEESV_SW_SX_S14_S18_S1A_T6_T7_T9_mT8_S1C_bDpT10_ENKUlT_T0_E_clISt17integral_constantIbLb0EES1O_IbLb1EEEEDaS1K_S1L_EUlS1K_E_NS1_11comp_targetILNS1_3genE8ELNS1_11target_archE1030ELNS1_3gpuE2ELNS1_3repE0EEENS1_30default_config_static_selectorELNS0_4arch9wavefront6targetE0EEEvSY_: ; @_ZN7rocprim17ROCPRIM_400000_NS6detail17trampoline_kernelINS0_13select_configILj256ELj13ELNS0_17block_load_methodE3ELS4_3ELS4_3ELNS0_20block_scan_algorithmE0ELj4294967295EEENS1_25partition_config_selectorILNS1_17partition_subalgoE3EjNS0_10empty_typeEbEEZZNS1_14partition_implILS8_3ELb0ES6_jNS0_17counting_iteratorIjlEEPS9_SE_NS0_5tupleIJPjSE_EEENSF_IJSE_SE_EEES9_SG_JZNS1_25segmented_radix_sort_implINS0_14default_configELb1EPKhPhPKlPlN2at6native12_GLOBAL__N_18offset_tEEE10hipError_tPvRmT1_PNSt15iterator_traitsISY_E10value_typeET2_T3_PNSZ_IS14_E10value_typeET4_jRbjT5_S1A_jjP12ihipStream_tbEUljE_EEESV_SW_SX_S14_S18_S1A_T6_T7_T9_mT8_S1C_bDpT10_ENKUlT_T0_E_clISt17integral_constantIbLb0EES1O_IbLb1EEEEDaS1K_S1L_EUlS1K_E_NS1_11comp_targetILNS1_3genE8ELNS1_11target_archE1030ELNS1_3gpuE2ELNS1_3repE0EEENS1_30default_config_static_selectorELNS0_4arch9wavefront6targetE0EEEvSY_
; %bb.0:
	.section	.rodata,"a",@progbits
	.p2align	6, 0x0
	.amdhsa_kernel _ZN7rocprim17ROCPRIM_400000_NS6detail17trampoline_kernelINS0_13select_configILj256ELj13ELNS0_17block_load_methodE3ELS4_3ELS4_3ELNS0_20block_scan_algorithmE0ELj4294967295EEENS1_25partition_config_selectorILNS1_17partition_subalgoE3EjNS0_10empty_typeEbEEZZNS1_14partition_implILS8_3ELb0ES6_jNS0_17counting_iteratorIjlEEPS9_SE_NS0_5tupleIJPjSE_EEENSF_IJSE_SE_EEES9_SG_JZNS1_25segmented_radix_sort_implINS0_14default_configELb1EPKhPhPKlPlN2at6native12_GLOBAL__N_18offset_tEEE10hipError_tPvRmT1_PNSt15iterator_traitsISY_E10value_typeET2_T3_PNSZ_IS14_E10value_typeET4_jRbjT5_S1A_jjP12ihipStream_tbEUljE_EEESV_SW_SX_S14_S18_S1A_T6_T7_T9_mT8_S1C_bDpT10_ENKUlT_T0_E_clISt17integral_constantIbLb0EES1O_IbLb1EEEEDaS1K_S1L_EUlS1K_E_NS1_11comp_targetILNS1_3genE8ELNS1_11target_archE1030ELNS1_3gpuE2ELNS1_3repE0EEENS1_30default_config_static_selectorELNS0_4arch9wavefront6targetE0EEEvSY_
		.amdhsa_group_segment_fixed_size 0
		.amdhsa_private_segment_fixed_size 0
		.amdhsa_kernarg_size 152
		.amdhsa_user_sgpr_count 2
		.amdhsa_user_sgpr_dispatch_ptr 0
		.amdhsa_user_sgpr_queue_ptr 0
		.amdhsa_user_sgpr_kernarg_segment_ptr 1
		.amdhsa_user_sgpr_dispatch_id 0
		.amdhsa_user_sgpr_kernarg_preload_length 0
		.amdhsa_user_sgpr_kernarg_preload_offset 0
		.amdhsa_user_sgpr_private_segment_size 0
		.amdhsa_wavefront_size32 1
		.amdhsa_uses_dynamic_stack 0
		.amdhsa_enable_private_segment 0
		.amdhsa_system_sgpr_workgroup_id_x 1
		.amdhsa_system_sgpr_workgroup_id_y 0
		.amdhsa_system_sgpr_workgroup_id_z 0
		.amdhsa_system_sgpr_workgroup_info 0
		.amdhsa_system_vgpr_workitem_id 0
		.amdhsa_next_free_vgpr 1
		.amdhsa_next_free_sgpr 1
		.amdhsa_named_barrier_count 0
		.amdhsa_reserve_vcc 0
		.amdhsa_float_round_mode_32 0
		.amdhsa_float_round_mode_16_64 0
		.amdhsa_float_denorm_mode_32 3
		.amdhsa_float_denorm_mode_16_64 3
		.amdhsa_fp16_overflow 0
		.amdhsa_memory_ordered 1
		.amdhsa_forward_progress 1
		.amdhsa_inst_pref_size 0
		.amdhsa_round_robin_scheduling 0
		.amdhsa_exception_fp_ieee_invalid_op 0
		.amdhsa_exception_fp_denorm_src 0
		.amdhsa_exception_fp_ieee_div_zero 0
		.amdhsa_exception_fp_ieee_overflow 0
		.amdhsa_exception_fp_ieee_underflow 0
		.amdhsa_exception_fp_ieee_inexact 0
		.amdhsa_exception_int_div_zero 0
	.end_amdhsa_kernel
	.section	.text._ZN7rocprim17ROCPRIM_400000_NS6detail17trampoline_kernelINS0_13select_configILj256ELj13ELNS0_17block_load_methodE3ELS4_3ELS4_3ELNS0_20block_scan_algorithmE0ELj4294967295EEENS1_25partition_config_selectorILNS1_17partition_subalgoE3EjNS0_10empty_typeEbEEZZNS1_14partition_implILS8_3ELb0ES6_jNS0_17counting_iteratorIjlEEPS9_SE_NS0_5tupleIJPjSE_EEENSF_IJSE_SE_EEES9_SG_JZNS1_25segmented_radix_sort_implINS0_14default_configELb1EPKhPhPKlPlN2at6native12_GLOBAL__N_18offset_tEEE10hipError_tPvRmT1_PNSt15iterator_traitsISY_E10value_typeET2_T3_PNSZ_IS14_E10value_typeET4_jRbjT5_S1A_jjP12ihipStream_tbEUljE_EEESV_SW_SX_S14_S18_S1A_T6_T7_T9_mT8_S1C_bDpT10_ENKUlT_T0_E_clISt17integral_constantIbLb0EES1O_IbLb1EEEEDaS1K_S1L_EUlS1K_E_NS1_11comp_targetILNS1_3genE8ELNS1_11target_archE1030ELNS1_3gpuE2ELNS1_3repE0EEENS1_30default_config_static_selectorELNS0_4arch9wavefront6targetE0EEEvSY_,"axG",@progbits,_ZN7rocprim17ROCPRIM_400000_NS6detail17trampoline_kernelINS0_13select_configILj256ELj13ELNS0_17block_load_methodE3ELS4_3ELS4_3ELNS0_20block_scan_algorithmE0ELj4294967295EEENS1_25partition_config_selectorILNS1_17partition_subalgoE3EjNS0_10empty_typeEbEEZZNS1_14partition_implILS8_3ELb0ES6_jNS0_17counting_iteratorIjlEEPS9_SE_NS0_5tupleIJPjSE_EEENSF_IJSE_SE_EEES9_SG_JZNS1_25segmented_radix_sort_implINS0_14default_configELb1EPKhPhPKlPlN2at6native12_GLOBAL__N_18offset_tEEE10hipError_tPvRmT1_PNSt15iterator_traitsISY_E10value_typeET2_T3_PNSZ_IS14_E10value_typeET4_jRbjT5_S1A_jjP12ihipStream_tbEUljE_EEESV_SW_SX_S14_S18_S1A_T6_T7_T9_mT8_S1C_bDpT10_ENKUlT_T0_E_clISt17integral_constantIbLb0EES1O_IbLb1EEEEDaS1K_S1L_EUlS1K_E_NS1_11comp_targetILNS1_3genE8ELNS1_11target_archE1030ELNS1_3gpuE2ELNS1_3repE0EEENS1_30default_config_static_selectorELNS0_4arch9wavefront6targetE0EEEvSY_,comdat
.Lfunc_end82:
	.size	_ZN7rocprim17ROCPRIM_400000_NS6detail17trampoline_kernelINS0_13select_configILj256ELj13ELNS0_17block_load_methodE3ELS4_3ELS4_3ELNS0_20block_scan_algorithmE0ELj4294967295EEENS1_25partition_config_selectorILNS1_17partition_subalgoE3EjNS0_10empty_typeEbEEZZNS1_14partition_implILS8_3ELb0ES6_jNS0_17counting_iteratorIjlEEPS9_SE_NS0_5tupleIJPjSE_EEENSF_IJSE_SE_EEES9_SG_JZNS1_25segmented_radix_sort_implINS0_14default_configELb1EPKhPhPKlPlN2at6native12_GLOBAL__N_18offset_tEEE10hipError_tPvRmT1_PNSt15iterator_traitsISY_E10value_typeET2_T3_PNSZ_IS14_E10value_typeET4_jRbjT5_S1A_jjP12ihipStream_tbEUljE_EEESV_SW_SX_S14_S18_S1A_T6_T7_T9_mT8_S1C_bDpT10_ENKUlT_T0_E_clISt17integral_constantIbLb0EES1O_IbLb1EEEEDaS1K_S1L_EUlS1K_E_NS1_11comp_targetILNS1_3genE8ELNS1_11target_archE1030ELNS1_3gpuE2ELNS1_3repE0EEENS1_30default_config_static_selectorELNS0_4arch9wavefront6targetE0EEEvSY_, .Lfunc_end82-_ZN7rocprim17ROCPRIM_400000_NS6detail17trampoline_kernelINS0_13select_configILj256ELj13ELNS0_17block_load_methodE3ELS4_3ELS4_3ELNS0_20block_scan_algorithmE0ELj4294967295EEENS1_25partition_config_selectorILNS1_17partition_subalgoE3EjNS0_10empty_typeEbEEZZNS1_14partition_implILS8_3ELb0ES6_jNS0_17counting_iteratorIjlEEPS9_SE_NS0_5tupleIJPjSE_EEENSF_IJSE_SE_EEES9_SG_JZNS1_25segmented_radix_sort_implINS0_14default_configELb1EPKhPhPKlPlN2at6native12_GLOBAL__N_18offset_tEEE10hipError_tPvRmT1_PNSt15iterator_traitsISY_E10value_typeET2_T3_PNSZ_IS14_E10value_typeET4_jRbjT5_S1A_jjP12ihipStream_tbEUljE_EEESV_SW_SX_S14_S18_S1A_T6_T7_T9_mT8_S1C_bDpT10_ENKUlT_T0_E_clISt17integral_constantIbLb0EES1O_IbLb1EEEEDaS1K_S1L_EUlS1K_E_NS1_11comp_targetILNS1_3genE8ELNS1_11target_archE1030ELNS1_3gpuE2ELNS1_3repE0EEENS1_30default_config_static_selectorELNS0_4arch9wavefront6targetE0EEEvSY_
                                        ; -- End function
	.set _ZN7rocprim17ROCPRIM_400000_NS6detail17trampoline_kernelINS0_13select_configILj256ELj13ELNS0_17block_load_methodE3ELS4_3ELS4_3ELNS0_20block_scan_algorithmE0ELj4294967295EEENS1_25partition_config_selectorILNS1_17partition_subalgoE3EjNS0_10empty_typeEbEEZZNS1_14partition_implILS8_3ELb0ES6_jNS0_17counting_iteratorIjlEEPS9_SE_NS0_5tupleIJPjSE_EEENSF_IJSE_SE_EEES9_SG_JZNS1_25segmented_radix_sort_implINS0_14default_configELb1EPKhPhPKlPlN2at6native12_GLOBAL__N_18offset_tEEE10hipError_tPvRmT1_PNSt15iterator_traitsISY_E10value_typeET2_T3_PNSZ_IS14_E10value_typeET4_jRbjT5_S1A_jjP12ihipStream_tbEUljE_EEESV_SW_SX_S14_S18_S1A_T6_T7_T9_mT8_S1C_bDpT10_ENKUlT_T0_E_clISt17integral_constantIbLb0EES1O_IbLb1EEEEDaS1K_S1L_EUlS1K_E_NS1_11comp_targetILNS1_3genE8ELNS1_11target_archE1030ELNS1_3gpuE2ELNS1_3repE0EEENS1_30default_config_static_selectorELNS0_4arch9wavefront6targetE0EEEvSY_.num_vgpr, 0
	.set _ZN7rocprim17ROCPRIM_400000_NS6detail17trampoline_kernelINS0_13select_configILj256ELj13ELNS0_17block_load_methodE3ELS4_3ELS4_3ELNS0_20block_scan_algorithmE0ELj4294967295EEENS1_25partition_config_selectorILNS1_17partition_subalgoE3EjNS0_10empty_typeEbEEZZNS1_14partition_implILS8_3ELb0ES6_jNS0_17counting_iteratorIjlEEPS9_SE_NS0_5tupleIJPjSE_EEENSF_IJSE_SE_EEES9_SG_JZNS1_25segmented_radix_sort_implINS0_14default_configELb1EPKhPhPKlPlN2at6native12_GLOBAL__N_18offset_tEEE10hipError_tPvRmT1_PNSt15iterator_traitsISY_E10value_typeET2_T3_PNSZ_IS14_E10value_typeET4_jRbjT5_S1A_jjP12ihipStream_tbEUljE_EEESV_SW_SX_S14_S18_S1A_T6_T7_T9_mT8_S1C_bDpT10_ENKUlT_T0_E_clISt17integral_constantIbLb0EES1O_IbLb1EEEEDaS1K_S1L_EUlS1K_E_NS1_11comp_targetILNS1_3genE8ELNS1_11target_archE1030ELNS1_3gpuE2ELNS1_3repE0EEENS1_30default_config_static_selectorELNS0_4arch9wavefront6targetE0EEEvSY_.num_agpr, 0
	.set _ZN7rocprim17ROCPRIM_400000_NS6detail17trampoline_kernelINS0_13select_configILj256ELj13ELNS0_17block_load_methodE3ELS4_3ELS4_3ELNS0_20block_scan_algorithmE0ELj4294967295EEENS1_25partition_config_selectorILNS1_17partition_subalgoE3EjNS0_10empty_typeEbEEZZNS1_14partition_implILS8_3ELb0ES6_jNS0_17counting_iteratorIjlEEPS9_SE_NS0_5tupleIJPjSE_EEENSF_IJSE_SE_EEES9_SG_JZNS1_25segmented_radix_sort_implINS0_14default_configELb1EPKhPhPKlPlN2at6native12_GLOBAL__N_18offset_tEEE10hipError_tPvRmT1_PNSt15iterator_traitsISY_E10value_typeET2_T3_PNSZ_IS14_E10value_typeET4_jRbjT5_S1A_jjP12ihipStream_tbEUljE_EEESV_SW_SX_S14_S18_S1A_T6_T7_T9_mT8_S1C_bDpT10_ENKUlT_T0_E_clISt17integral_constantIbLb0EES1O_IbLb1EEEEDaS1K_S1L_EUlS1K_E_NS1_11comp_targetILNS1_3genE8ELNS1_11target_archE1030ELNS1_3gpuE2ELNS1_3repE0EEENS1_30default_config_static_selectorELNS0_4arch9wavefront6targetE0EEEvSY_.numbered_sgpr, 0
	.set _ZN7rocprim17ROCPRIM_400000_NS6detail17trampoline_kernelINS0_13select_configILj256ELj13ELNS0_17block_load_methodE3ELS4_3ELS4_3ELNS0_20block_scan_algorithmE0ELj4294967295EEENS1_25partition_config_selectorILNS1_17partition_subalgoE3EjNS0_10empty_typeEbEEZZNS1_14partition_implILS8_3ELb0ES6_jNS0_17counting_iteratorIjlEEPS9_SE_NS0_5tupleIJPjSE_EEENSF_IJSE_SE_EEES9_SG_JZNS1_25segmented_radix_sort_implINS0_14default_configELb1EPKhPhPKlPlN2at6native12_GLOBAL__N_18offset_tEEE10hipError_tPvRmT1_PNSt15iterator_traitsISY_E10value_typeET2_T3_PNSZ_IS14_E10value_typeET4_jRbjT5_S1A_jjP12ihipStream_tbEUljE_EEESV_SW_SX_S14_S18_S1A_T6_T7_T9_mT8_S1C_bDpT10_ENKUlT_T0_E_clISt17integral_constantIbLb0EES1O_IbLb1EEEEDaS1K_S1L_EUlS1K_E_NS1_11comp_targetILNS1_3genE8ELNS1_11target_archE1030ELNS1_3gpuE2ELNS1_3repE0EEENS1_30default_config_static_selectorELNS0_4arch9wavefront6targetE0EEEvSY_.num_named_barrier, 0
	.set _ZN7rocprim17ROCPRIM_400000_NS6detail17trampoline_kernelINS0_13select_configILj256ELj13ELNS0_17block_load_methodE3ELS4_3ELS4_3ELNS0_20block_scan_algorithmE0ELj4294967295EEENS1_25partition_config_selectorILNS1_17partition_subalgoE3EjNS0_10empty_typeEbEEZZNS1_14partition_implILS8_3ELb0ES6_jNS0_17counting_iteratorIjlEEPS9_SE_NS0_5tupleIJPjSE_EEENSF_IJSE_SE_EEES9_SG_JZNS1_25segmented_radix_sort_implINS0_14default_configELb1EPKhPhPKlPlN2at6native12_GLOBAL__N_18offset_tEEE10hipError_tPvRmT1_PNSt15iterator_traitsISY_E10value_typeET2_T3_PNSZ_IS14_E10value_typeET4_jRbjT5_S1A_jjP12ihipStream_tbEUljE_EEESV_SW_SX_S14_S18_S1A_T6_T7_T9_mT8_S1C_bDpT10_ENKUlT_T0_E_clISt17integral_constantIbLb0EES1O_IbLb1EEEEDaS1K_S1L_EUlS1K_E_NS1_11comp_targetILNS1_3genE8ELNS1_11target_archE1030ELNS1_3gpuE2ELNS1_3repE0EEENS1_30default_config_static_selectorELNS0_4arch9wavefront6targetE0EEEvSY_.private_seg_size, 0
	.set _ZN7rocprim17ROCPRIM_400000_NS6detail17trampoline_kernelINS0_13select_configILj256ELj13ELNS0_17block_load_methodE3ELS4_3ELS4_3ELNS0_20block_scan_algorithmE0ELj4294967295EEENS1_25partition_config_selectorILNS1_17partition_subalgoE3EjNS0_10empty_typeEbEEZZNS1_14partition_implILS8_3ELb0ES6_jNS0_17counting_iteratorIjlEEPS9_SE_NS0_5tupleIJPjSE_EEENSF_IJSE_SE_EEES9_SG_JZNS1_25segmented_radix_sort_implINS0_14default_configELb1EPKhPhPKlPlN2at6native12_GLOBAL__N_18offset_tEEE10hipError_tPvRmT1_PNSt15iterator_traitsISY_E10value_typeET2_T3_PNSZ_IS14_E10value_typeET4_jRbjT5_S1A_jjP12ihipStream_tbEUljE_EEESV_SW_SX_S14_S18_S1A_T6_T7_T9_mT8_S1C_bDpT10_ENKUlT_T0_E_clISt17integral_constantIbLb0EES1O_IbLb1EEEEDaS1K_S1L_EUlS1K_E_NS1_11comp_targetILNS1_3genE8ELNS1_11target_archE1030ELNS1_3gpuE2ELNS1_3repE0EEENS1_30default_config_static_selectorELNS0_4arch9wavefront6targetE0EEEvSY_.uses_vcc, 0
	.set _ZN7rocprim17ROCPRIM_400000_NS6detail17trampoline_kernelINS0_13select_configILj256ELj13ELNS0_17block_load_methodE3ELS4_3ELS4_3ELNS0_20block_scan_algorithmE0ELj4294967295EEENS1_25partition_config_selectorILNS1_17partition_subalgoE3EjNS0_10empty_typeEbEEZZNS1_14partition_implILS8_3ELb0ES6_jNS0_17counting_iteratorIjlEEPS9_SE_NS0_5tupleIJPjSE_EEENSF_IJSE_SE_EEES9_SG_JZNS1_25segmented_radix_sort_implINS0_14default_configELb1EPKhPhPKlPlN2at6native12_GLOBAL__N_18offset_tEEE10hipError_tPvRmT1_PNSt15iterator_traitsISY_E10value_typeET2_T3_PNSZ_IS14_E10value_typeET4_jRbjT5_S1A_jjP12ihipStream_tbEUljE_EEESV_SW_SX_S14_S18_S1A_T6_T7_T9_mT8_S1C_bDpT10_ENKUlT_T0_E_clISt17integral_constantIbLb0EES1O_IbLb1EEEEDaS1K_S1L_EUlS1K_E_NS1_11comp_targetILNS1_3genE8ELNS1_11target_archE1030ELNS1_3gpuE2ELNS1_3repE0EEENS1_30default_config_static_selectorELNS0_4arch9wavefront6targetE0EEEvSY_.uses_flat_scratch, 0
	.set _ZN7rocprim17ROCPRIM_400000_NS6detail17trampoline_kernelINS0_13select_configILj256ELj13ELNS0_17block_load_methodE3ELS4_3ELS4_3ELNS0_20block_scan_algorithmE0ELj4294967295EEENS1_25partition_config_selectorILNS1_17partition_subalgoE3EjNS0_10empty_typeEbEEZZNS1_14partition_implILS8_3ELb0ES6_jNS0_17counting_iteratorIjlEEPS9_SE_NS0_5tupleIJPjSE_EEENSF_IJSE_SE_EEES9_SG_JZNS1_25segmented_radix_sort_implINS0_14default_configELb1EPKhPhPKlPlN2at6native12_GLOBAL__N_18offset_tEEE10hipError_tPvRmT1_PNSt15iterator_traitsISY_E10value_typeET2_T3_PNSZ_IS14_E10value_typeET4_jRbjT5_S1A_jjP12ihipStream_tbEUljE_EEESV_SW_SX_S14_S18_S1A_T6_T7_T9_mT8_S1C_bDpT10_ENKUlT_T0_E_clISt17integral_constantIbLb0EES1O_IbLb1EEEEDaS1K_S1L_EUlS1K_E_NS1_11comp_targetILNS1_3genE8ELNS1_11target_archE1030ELNS1_3gpuE2ELNS1_3repE0EEENS1_30default_config_static_selectorELNS0_4arch9wavefront6targetE0EEEvSY_.has_dyn_sized_stack, 0
	.set _ZN7rocprim17ROCPRIM_400000_NS6detail17trampoline_kernelINS0_13select_configILj256ELj13ELNS0_17block_load_methodE3ELS4_3ELS4_3ELNS0_20block_scan_algorithmE0ELj4294967295EEENS1_25partition_config_selectorILNS1_17partition_subalgoE3EjNS0_10empty_typeEbEEZZNS1_14partition_implILS8_3ELb0ES6_jNS0_17counting_iteratorIjlEEPS9_SE_NS0_5tupleIJPjSE_EEENSF_IJSE_SE_EEES9_SG_JZNS1_25segmented_radix_sort_implINS0_14default_configELb1EPKhPhPKlPlN2at6native12_GLOBAL__N_18offset_tEEE10hipError_tPvRmT1_PNSt15iterator_traitsISY_E10value_typeET2_T3_PNSZ_IS14_E10value_typeET4_jRbjT5_S1A_jjP12ihipStream_tbEUljE_EEESV_SW_SX_S14_S18_S1A_T6_T7_T9_mT8_S1C_bDpT10_ENKUlT_T0_E_clISt17integral_constantIbLb0EES1O_IbLb1EEEEDaS1K_S1L_EUlS1K_E_NS1_11comp_targetILNS1_3genE8ELNS1_11target_archE1030ELNS1_3gpuE2ELNS1_3repE0EEENS1_30default_config_static_selectorELNS0_4arch9wavefront6targetE0EEEvSY_.has_recursion, 0
	.set _ZN7rocprim17ROCPRIM_400000_NS6detail17trampoline_kernelINS0_13select_configILj256ELj13ELNS0_17block_load_methodE3ELS4_3ELS4_3ELNS0_20block_scan_algorithmE0ELj4294967295EEENS1_25partition_config_selectorILNS1_17partition_subalgoE3EjNS0_10empty_typeEbEEZZNS1_14partition_implILS8_3ELb0ES6_jNS0_17counting_iteratorIjlEEPS9_SE_NS0_5tupleIJPjSE_EEENSF_IJSE_SE_EEES9_SG_JZNS1_25segmented_radix_sort_implINS0_14default_configELb1EPKhPhPKlPlN2at6native12_GLOBAL__N_18offset_tEEE10hipError_tPvRmT1_PNSt15iterator_traitsISY_E10value_typeET2_T3_PNSZ_IS14_E10value_typeET4_jRbjT5_S1A_jjP12ihipStream_tbEUljE_EEESV_SW_SX_S14_S18_S1A_T6_T7_T9_mT8_S1C_bDpT10_ENKUlT_T0_E_clISt17integral_constantIbLb0EES1O_IbLb1EEEEDaS1K_S1L_EUlS1K_E_NS1_11comp_targetILNS1_3genE8ELNS1_11target_archE1030ELNS1_3gpuE2ELNS1_3repE0EEENS1_30default_config_static_selectorELNS0_4arch9wavefront6targetE0EEEvSY_.has_indirect_call, 0
	.section	.AMDGPU.csdata,"",@progbits
; Kernel info:
; codeLenInByte = 0
; TotalNumSgprs: 0
; NumVgprs: 0
; ScratchSize: 0
; MemoryBound: 0
; FloatMode: 240
; IeeeMode: 1
; LDSByteSize: 0 bytes/workgroup (compile time only)
; SGPRBlocks: 0
; VGPRBlocks: 0
; NumSGPRsForWavesPerEU: 1
; NumVGPRsForWavesPerEU: 1
; NamedBarCnt: 0
; Occupancy: 16
; WaveLimiterHint : 0
; COMPUTE_PGM_RSRC2:SCRATCH_EN: 0
; COMPUTE_PGM_RSRC2:USER_SGPR: 2
; COMPUTE_PGM_RSRC2:TRAP_HANDLER: 0
; COMPUTE_PGM_RSRC2:TGID_X_EN: 1
; COMPUTE_PGM_RSRC2:TGID_Y_EN: 0
; COMPUTE_PGM_RSRC2:TGID_Z_EN: 0
; COMPUTE_PGM_RSRC2:TIDIG_COMP_CNT: 0
	.text
	.p2align	2                               ; -- Begin function _ZN7rocprim17ROCPRIM_400000_NS6detail40segmented_radix_sort_single_block_helperIhlLj256ELj17ELb1EE4sortIPKhPhPKlPlEEbT_T0_T1_T2_jjjjRNS3_12storage_typeE
	.type	_ZN7rocprim17ROCPRIM_400000_NS6detail40segmented_radix_sort_single_block_helperIhlLj256ELj17ELb1EE4sortIPKhPhPKlPlEEbT_T0_T1_T2_jjjjRNS3_12storage_typeE,@function
_ZN7rocprim17ROCPRIM_400000_NS6detail40segmented_radix_sort_single_block_helperIhlLj256ELj17ELb1EE4sortIPKhPhPKlPlEEbT_T0_T1_T2_jjjjRNS3_12storage_typeE: ; @_ZN7rocprim17ROCPRIM_400000_NS6detail40segmented_radix_sort_single_block_helperIhlLj256ELj17ELb1EE4sortIPKhPhPKlPlEEbT_T0_T1_T2_jjjjRNS3_12storage_typeE
; %bb.0:
	s_wait_loadcnt_dscnt 0x0
	s_wait_kmcnt 0x0
	s_set_vgpr_msb 64                       ;  msbs: dst=1 src0=0 src1=0 src2=0
	v_sub_nc_u32_e32 v20 /*v276*/, v9, v8
	s_mov_b32 s22, exec_lo
	s_set_vgpr_msb 4                        ;  msbs: dst=0 src0=0 src1=1 src2=0
	s_delay_alu instid0(VALU_DEP_1)
	v_cmpx_gt_u32_e32 0x1101, v20 /*v276*/
	s_set_vgpr_msb 0                        ;  msbs: dst=0 src0=0 src1=0 src2=0
	s_cbranch_execz .LBB83_382
; %bb.1:
	v_bfe_u32 v9, v31, 10, 10
	v_bfe_u32 v15, v31, 20, 10
	v_and_b32_e32 v14, 0x3ff, v31
	v_mbcnt_lo_u32_b32 v16, -1, 0
	s_getreg_b32 s23, hwreg(HW_REG_IB_STS2, 6, 4)
	s_mov_b32 s0, exec_lo
	s_set_vgpr_msb 4                        ;  msbs: dst=0 src0=0 src1=1 src2=0
	v_cmpx_lt_u32_e32 0x800, v20 /*v276*/
	s_xor_b32 s24, exec_lo, s0
	s_set_vgpr_msb 0                        ;  msbs: dst=0 src0=0 src1=0 src2=0
	s_cbranch_execz .LBB83_151
; %bb.2:
	s_load_b64 s[0:1], s[8:9], 0x0
	s_bfe_u32 s3, ttmp6, 0x4000c
	s_bfe_u32 s5, ttmp6, 0x40010
	s_and_b32 s4, ttmp7, 0xffff
	s_add_co_i32 s3, s3, 1
	s_add_co_i32 s5, s5, 1
	s_and_b32 s2, ttmp6, 15
	s_bfe_u32 s6, ttmp6, 0x40004
	s_mul_i32 s3, ttmp9, s3
	s_mul_i32 s5, s4, s5
	s_add_co_i32 s2, s2, s3
	s_add_co_i32 s6, s6, s5
	s_cmp_eq_u32 s23, 0
	s_mov_b32 s3, 0
	s_cselect_b32 s2, ttmp9, s2
	s_cselect_b32 s4, s4, s6
	s_wait_kmcnt 0x0
	s_cmp_lt_u32 s2, s0
	s_cselect_b32 s2, 12, 18
	s_cmp_lt_u32 s4, s1
	s_mov_b32 s1, s3
	s_cselect_b32 s0, 14, 20
	s_delay_alu instid0(SALU_CYCLE_1)
	s_add_nc_u64 s[0:1], s[8:9], s[0:1]
	s_load_u16 s4, s[0:1], 0x0
	s_wait_xcnt 0x0
	s_add_nc_u64 s[0:1], s[8:9], s[2:3]
	s_load_u16 s0, s[0:1], 0x0
	s_wait_kmcnt 0x0
	v_mad_u32_u24 v15, v15, s4, v9
	v_mov_b32_e32 v9, 0
	s_delay_alu instid0(VALU_DEP_2) | instskip(NEXT) | instid1(VALU_DEP_2)
	v_mad_u32 v38, v15, s0, v14
	v_add_nc_u64_e32 v[18:19], v[0:1], v[8:9]
	s_delay_alu instid0(VALU_DEP_2) | instskip(NEXT) | instid1(VALU_DEP_1)
	v_and_b32_e32 v0, 0xffffffe0, v38
	v_lshl_add_u32 v0, v0, 4, v0
	s_delay_alu instid0(VALU_DEP_1) | instskip(SKIP_3) | instid1(VALU_DEP_4)
	v_dual_mov_b32 v17, v9 :: v_dual_bitop2_b32 v35, v0, v16 bitop3:0x54
	v_dual_mov_b32 v1, v9 :: v_dual_mov_b32 v20, v9
	v_dual_mov_b32 v15, v9 :: v_dual_mov_b32 v29, v9
	v_mov_b32_e32 v22, v9
	v_add_nc_u64_e32 v[18:19], v[18:19], v[16:17]
	v_dual_mov_b32 v27, v9 :: v_dual_mov_b32 v21, v9
	v_dual_mov_b32 v30, v9 :: v_dual_mov_b32 v23, v9
	;; [unrolled: 1-line block ×3, first 2 shown]
	s_delay_alu instid0(VALU_DEP_4)
	v_add_nc_u64_e32 v[18:19], v[18:19], v[0:1]
	v_dual_mov_b32 v33, v9 :: v_dual_mov_b32 v24, v9
	v_dual_mov_b32 v31, v9 :: v_dual_mov_b32 v25, v9
	v_mov_b32_e32 v32, v9
	s_set_vgpr_msb 4                        ;  msbs: dst=0 src0=0 src1=1 src2=0
	v_cmp_lt_u32_e32 vcc_lo, v35, v20 /*v276*/
	s_and_saveexec_b32 s0, vcc_lo
	s_set_vgpr_msb 0                        ;  msbs: dst=0 src0=0 src1=0 src2=0
	s_cbranch_execz .LBB83_4
; %bb.3:
	flat_load_u8 v20, v[18:19]
	v_dual_mov_b32 v15, v9 :: v_dual_mov_b32 v29, v9
	v_dual_mov_b32 v22, v9 :: v_dual_mov_b32 v27, v9
	;; [unrolled: 1-line block ×7, first 2 shown]
	v_mov_b32_e32 v17, v9
.LBB83_4:
	s_wait_xcnt 0x0
	s_or_b32 exec_lo, exec_lo, s0
	v_add_nc_u32_e32 v34, 32, v35
	s_set_vgpr_msb 4                        ;  msbs: dst=0 src0=0 src1=1 src2=0
	s_delay_alu instid0(VALU_DEP_1)
	v_cmp_lt_u32_e64 s0, v34, v20 /*v276*/
	v_mov_b32_e32 v34, v9
	s_and_saveexec_b32 s1, s0
	s_set_vgpr_msb 0                        ;  msbs: dst=0 src0=0 src1=0 src2=0
	s_cbranch_execz .LBB83_6
; %bb.5:
	flat_load_u8 v34, v[18:19] offset:32
.LBB83_6:
	s_wait_xcnt 0x0
	s_or_b32 exec_lo, exec_lo, s1
	v_add_nc_u32_e32 v36, 64, v35
	s_set_vgpr_msb 4                        ;  msbs: dst=0 src0=0 src1=1 src2=0
	s_delay_alu instid0(VALU_DEP_1)
	v_cmp_lt_u32_e64 s1, v36, v20 /*v276*/
	s_and_saveexec_b32 s2, s1
	s_set_vgpr_msb 0                        ;  msbs: dst=0 src0=0 src1=0 src2=0
	s_cbranch_execz .LBB83_8
; %bb.7:
	flat_load_u8 v15, v[18:19] offset:64
.LBB83_8:
	s_wait_xcnt 0x0
	s_or_b32 exec_lo, exec_lo, s2
	v_add_nc_u32_e32 v36, 0x60, v35
	s_set_vgpr_msb 4                        ;  msbs: dst=0 src0=0 src1=1 src2=0
	s_delay_alu instid0(VALU_DEP_1)
	v_cmp_lt_u32_e64 s2, v36, v20 /*v276*/
	s_and_saveexec_b32 s3, s2
	s_set_vgpr_msb 0                        ;  msbs: dst=0 src0=0 src1=0 src2=0
	s_cbranch_execz .LBB83_10
; %bb.9:
	flat_load_u8 v29, v[18:19] offset:96
.LBB83_10:
	s_wait_xcnt 0x0
	s_or_b32 exec_lo, exec_lo, s3
	v_add_nc_u32_e32 v36, 0x80, v35
	s_set_vgpr_msb 4                        ;  msbs: dst=0 src0=0 src1=1 src2=0
	s_delay_alu instid0(VALU_DEP_1)
	v_cmp_lt_u32_e64 s3, v36, v20 /*v276*/
	s_and_saveexec_b32 s4, s3
	s_set_vgpr_msb 0                        ;  msbs: dst=0 src0=0 src1=0 src2=0
	s_cbranch_execz .LBB83_12
; %bb.11:
	flat_load_u8 v22, v[18:19] offset:128
.LBB83_12:
	s_wait_xcnt 0x0
	s_or_b32 exec_lo, exec_lo, s4
	v_add_nc_u32_e32 v36, 0xa0, v35
	s_set_vgpr_msb 4                        ;  msbs: dst=0 src0=0 src1=1 src2=0
	s_delay_alu instid0(VALU_DEP_1)
	v_cmp_lt_u32_e64 s4, v36, v20 /*v276*/
	s_and_saveexec_b32 s5, s4
	s_set_vgpr_msb 0                        ;  msbs: dst=0 src0=0 src1=0 src2=0
	s_cbranch_execz .LBB83_14
; %bb.13:
	flat_load_u8 v27, v[18:19] offset:160
.LBB83_14:
	s_wait_xcnt 0x0
	s_or_b32 exec_lo, exec_lo, s5
	v_add_nc_u32_e32 v36, 0xc0, v35
	s_set_vgpr_msb 4                        ;  msbs: dst=0 src0=0 src1=1 src2=0
	s_delay_alu instid0(VALU_DEP_1)
	v_cmp_lt_u32_e64 s5, v36, v20 /*v276*/
	s_and_saveexec_b32 s6, s5
	s_set_vgpr_msb 0                        ;  msbs: dst=0 src0=0 src1=0 src2=0
	s_cbranch_execz .LBB83_16
; %bb.15:
	flat_load_u8 v21, v[18:19] offset:192
.LBB83_16:
	s_wait_xcnt 0x0
	s_or_b32 exec_lo, exec_lo, s6
	v_add_nc_u32_e32 v36, 0xe0, v35
	s_set_vgpr_msb 4                        ;  msbs: dst=0 src0=0 src1=1 src2=0
	s_delay_alu instid0(VALU_DEP_1)
	v_cmp_lt_u32_e64 s6, v36, v20 /*v276*/
	s_and_saveexec_b32 s7, s6
	s_set_vgpr_msb 0                        ;  msbs: dst=0 src0=0 src1=0 src2=0
	s_cbranch_execz .LBB83_18
; %bb.17:
	flat_load_u8 v30, v[18:19] offset:224
.LBB83_18:
	s_wait_xcnt 0x0
	s_or_b32 exec_lo, exec_lo, s7
	v_add_nc_u32_e32 v36, 0x100, v35
	s_set_vgpr_msb 4                        ;  msbs: dst=0 src0=0 src1=1 src2=0
	s_delay_alu instid0(VALU_DEP_1)
	v_cmp_lt_u32_e64 s7, v36, v20 /*v276*/
	s_and_saveexec_b32 s10, s7
	s_set_vgpr_msb 0                        ;  msbs: dst=0 src0=0 src1=0 src2=0
	s_cbranch_execz .LBB83_20
; %bb.19:
	flat_load_u8 v23, v[18:19] offset:256
.LBB83_20:
	s_wait_xcnt 0x0
	s_or_b32 exec_lo, exec_lo, s10
	v_add_nc_u32_e32 v36, 0x120, v35
	s_set_vgpr_msb 4                        ;  msbs: dst=0 src0=0 src1=1 src2=0
	s_delay_alu instid0(VALU_DEP_1)
	v_cmp_lt_u32_e64 s10, v36, v20 /*v276*/
	s_and_saveexec_b32 s11, s10
	s_set_vgpr_msb 0                        ;  msbs: dst=0 src0=0 src1=0 src2=0
	s_cbranch_execz .LBB83_22
; %bb.21:
	flat_load_u8 v28, v[18:19] offset:288
.LBB83_22:
	s_wait_xcnt 0x0
	s_or_b32 exec_lo, exec_lo, s11
	v_add_nc_u32_e32 v36, 0x140, v35
	s_set_vgpr_msb 4                        ;  msbs: dst=0 src0=0 src1=1 src2=0
	s_delay_alu instid0(VALU_DEP_1)
	v_cmp_lt_u32_e64 s11, v36, v20 /*v276*/
	s_and_saveexec_b32 s12, s11
	s_set_vgpr_msb 0                        ;  msbs: dst=0 src0=0 src1=0 src2=0
	s_cbranch_execz .LBB83_24
; %bb.23:
	flat_load_u8 v26, v[18:19] offset:320
.LBB83_24:
	s_wait_xcnt 0x0
	s_or_b32 exec_lo, exec_lo, s12
	v_add_nc_u32_e32 v36, 0x160, v35
	s_set_vgpr_msb 4                        ;  msbs: dst=0 src0=0 src1=1 src2=0
	s_delay_alu instid0(VALU_DEP_1)
	v_cmp_lt_u32_e64 s12, v36, v20 /*v276*/
	s_and_saveexec_b32 s13, s12
	s_set_vgpr_msb 0                        ;  msbs: dst=0 src0=0 src1=0 src2=0
	s_cbranch_execz .LBB83_26
; %bb.25:
	flat_load_u8 v33, v[18:19] offset:352
.LBB83_26:
	s_wait_xcnt 0x0
	s_or_b32 exec_lo, exec_lo, s13
	v_add_nc_u32_e32 v36, 0x180, v35
	s_set_vgpr_msb 4                        ;  msbs: dst=0 src0=0 src1=1 src2=0
	s_delay_alu instid0(VALU_DEP_1)
	v_cmp_lt_u32_e64 s13, v36, v20 /*v276*/
	s_and_saveexec_b32 s14, s13
	s_set_vgpr_msb 0                        ;  msbs: dst=0 src0=0 src1=0 src2=0
	s_cbranch_execz .LBB83_28
; %bb.27:
	flat_load_u8 v24, v[18:19] offset:384
.LBB83_28:
	s_wait_xcnt 0x0
	s_or_b32 exec_lo, exec_lo, s14
	v_add_nc_u32_e32 v36, 0x1a0, v35
	s_set_vgpr_msb 4                        ;  msbs: dst=0 src0=0 src1=1 src2=0
	s_delay_alu instid0(VALU_DEP_1)
	v_cmp_lt_u32_e64 s14, v36, v20 /*v276*/
	s_and_saveexec_b32 s15, s14
	s_set_vgpr_msb 0                        ;  msbs: dst=0 src0=0 src1=0 src2=0
	s_cbranch_execz .LBB83_30
; %bb.29:
	flat_load_u8 v31, v[18:19] offset:416
.LBB83_30:
	s_wait_xcnt 0x0
	s_or_b32 exec_lo, exec_lo, s15
	v_add_nc_u32_e32 v36, 0x1c0, v35
	s_set_vgpr_msb 4                        ;  msbs: dst=0 src0=0 src1=1 src2=0
	s_delay_alu instid0(VALU_DEP_1)
	v_cmp_lt_u32_e64 s15, v36, v20 /*v276*/
	s_and_saveexec_b32 s16, s15
	s_set_vgpr_msb 0                        ;  msbs: dst=0 src0=0 src1=0 src2=0
	s_cbranch_execz .LBB83_32
; %bb.31:
	flat_load_u8 v25, v[18:19] offset:448
.LBB83_32:
	s_wait_xcnt 0x0
	s_or_b32 exec_lo, exec_lo, s16
	v_add_nc_u32_e32 v36, 0x1e0, v35
	s_set_vgpr_msb 4                        ;  msbs: dst=0 src0=0 src1=1 src2=0
	s_delay_alu instid0(VALU_DEP_1)
	v_cmp_lt_u32_e64 s16, v36, v20 /*v276*/
	s_and_saveexec_b32 s17, s16
	s_set_vgpr_msb 0                        ;  msbs: dst=0 src0=0 src1=0 src2=0
	s_cbranch_execz .LBB83_34
; %bb.33:
	flat_load_u8 v32, v[18:19] offset:480
.LBB83_34:
	s_wait_xcnt 0x0
	s_or_b32 exec_lo, exec_lo, s17
	v_add_nc_u32_e32 v35, 0x200, v35
	s_set_vgpr_msb 4                        ;  msbs: dst=0 src0=0 src1=1 src2=0
	s_delay_alu instid0(VALU_DEP_1)
	v_cmp_lt_u32_e64 s17, v35, v20 /*v276*/
	s_and_saveexec_b32 s18, s17
	s_set_vgpr_msb 0                        ;  msbs: dst=0 src0=0 src1=0 src2=0
	s_cbranch_execz .LBB83_36
; %bb.35:
	flat_load_u8 v17, v[18:19] offset:512
.LBB83_36:
	s_wait_xcnt 0x0
	s_or_b32 exec_lo, exec_lo, s18
	v_lshl_add_u64 v[4:5], v[8:9], 3, v[4:5]
	v_dual_mov_b32 v19, 0 :: v_dual_lshlrev_b32 v18, 3, v16
                                        ; implicit-def: $vgpr84_vgpr85
	s_delay_alu instid0(VALU_DEP_1) | instskip(NEXT) | instid1(VALU_DEP_1)
	v_add_nc_u64_e32 v[4:5], v[4:5], v[18:19]
	v_lshl_add_u64 v[0:1], v[0:1], 3, v[4:5]
	s_and_saveexec_b32 s18, vcc_lo
	s_cbranch_execnz .LBB83_204
; %bb.37:
	s_or_b32 exec_lo, exec_lo, s18
                                        ; implicit-def: $vgpr86_vgpr87
	s_and_saveexec_b32 s18, s0
	s_cbranch_execnz .LBB83_205
.LBB83_38:
	s_or_b32 exec_lo, exec_lo, s18
                                        ; implicit-def: $vgpr96_vgpr97
	s_and_saveexec_b32 s0, s1
	s_cbranch_execnz .LBB83_206
.LBB83_39:
	s_or_b32 exec_lo, exec_lo, s0
                                        ; implicit-def: $vgpr98_vgpr99
	s_and_saveexec_b32 s0, s2
	s_cbranch_execnz .LBB83_207
.LBB83_40:
	s_or_b32 exec_lo, exec_lo, s0
                                        ; implicit-def: $vgpr100_vgpr101
	s_and_saveexec_b32 s0, s3
	s_cbranch_execnz .LBB83_208
.LBB83_41:
	s_or_b32 exec_lo, exec_lo, s0
                                        ; implicit-def: $vgpr102_vgpr103
	s_and_saveexec_b32 s0, s4
	s_cbranch_execnz .LBB83_209
.LBB83_42:
	s_or_b32 exec_lo, exec_lo, s0
                                        ; implicit-def: $vgpr112_vgpr113
	s_and_saveexec_b32 s0, s5
	s_cbranch_execnz .LBB83_210
.LBB83_43:
	s_or_b32 exec_lo, exec_lo, s0
                                        ; implicit-def: $vgpr114_vgpr115
	s_and_saveexec_b32 s0, s6
	s_cbranch_execnz .LBB83_211
.LBB83_44:
	s_or_b32 exec_lo, exec_lo, s0
                                        ; implicit-def: $vgpr116_vgpr117
	s_and_saveexec_b32 s0, s7
	s_cbranch_execnz .LBB83_212
.LBB83_45:
	s_or_b32 exec_lo, exec_lo, s0
                                        ; implicit-def: $vgpr130_vgpr131
	s_and_saveexec_b32 s0, s10
	s_cbranch_execnz .LBB83_213
.LBB83_46:
	s_or_b32 exec_lo, exec_lo, s0
                                        ; implicit-def: $vgpr132_vgpr133
	s_and_saveexec_b32 s0, s11
	s_cbranch_execnz .LBB83_214
.LBB83_47:
	s_or_b32 exec_lo, exec_lo, s0
                                        ; implicit-def: $vgpr134_vgpr135
	s_and_saveexec_b32 s0, s12
	s_cbranch_execnz .LBB83_215
.LBB83_48:
	s_or_b32 exec_lo, exec_lo, s0
                                        ; implicit-def: $vgpr118_vgpr119
	s_and_saveexec_b32 s0, s13
	s_cbranch_execnz .LBB83_216
.LBB83_49:
	s_or_b32 exec_lo, exec_lo, s0
                                        ; implicit-def: $vgpr128_vgpr129
	s_and_saveexec_b32 s0, s14
	s_cbranch_execnz .LBB83_217
.LBB83_50:
	s_or_b32 exec_lo, exec_lo, s0
                                        ; implicit-def: $vgpr144_vgpr145
	s_and_saveexec_b32 s0, s15
	s_cbranch_execnz .LBB83_218
.LBB83_51:
	s_or_b32 exec_lo, exec_lo, s0
                                        ; implicit-def: $vgpr146_vgpr147
	s_and_saveexec_b32 s0, s16
	s_cbranch_execnz .LBB83_219
.LBB83_52:
	s_or_b32 exec_lo, exec_lo, s0
                                        ; implicit-def: $vgpr148_vgpr149
	s_and_saveexec_b32 s0, s17
	s_cbranch_execz .LBB83_54
.LBB83_53:
	flat_load_b64 v[148:149], v[0:1] offset:4096
.LBB83_54:
	s_wait_xcnt 0x0
	s_or_b32 exec_lo, exec_lo, s0
	s_wait_loadcnt_dscnt 0x0
	v_xor_b32_e32 v1, -1, v29
	v_xor_b32_e32 v4, -1, v27
	;; [unrolled: 1-line block ×3, first 2 shown]
	s_get_pc_i64 s[0:1]
	s_add_nc_u64 s[0:1], s[0:1], _ZN7rocprim17ROCPRIM_400000_NS16block_radix_sortIhLj256ELj17ElLj1ELj1ELj8ELNS0_26block_radix_rank_algorithmE2ELNS0_18block_padding_hintE2ELNS0_4arch9wavefront6targetE0EE19radix_bits_per_passE@rel64+4
	v_cmp_gt_u32_e64 s6, 8, v14
	v_lshlrev_b16 v19, 8, v1
	v_lshlrev_b16 v1, 8, v4
	v_xor_b32_e32 v0, -1, v34
	v_dual_lshrrev_b32 v34, 3, v14 :: v_dual_bitop2_b32 v4, -1, v28 bitop3:0x14
	s_load_b32 s25, s[0:1], 0x0
	s_delay_alu instid0(VALU_DEP_3) | instskip(NEXT) | instid1(VALU_DEP_3)
	v_lshrrev_b32_e32 v29, 8, v1
	v_lshlrev_b16 v18, 8, v0
	v_xor_b32_e32 v0, -1, v30
	v_lshlrev_b16 v30, 8, v4
	v_lshl_add_u32 v4, v14, 5, v12
	v_xor_b32_e32 v27, -1, v15
	v_and_b32_e32 v34, 0x7c, v34
	v_xor_b32_e32 v1, -1, v32
	s_delay_alu instid0(VALU_DEP_4)
	v_dual_add_nc_u32 v15, 32, v4 :: v_dual_bitop2_b32 v163, -1, v17 bitop3:0x14
	v_lshlrev_b16 v28, 8, v0
	v_dual_add_nc_u32 v39, 36, v4 :: v_dual_bitop2_b32 v0, -1, v31 bitop3:0x14
	s_set_vgpr_msb 64                       ;  msbs: dst=1 src0=0 src1=0 src2=0
	v_dual_add_nc_u32 v21 /*v277*/, 40, v4 :: v_dual_add_nc_u32 v22 /*v278*/, 44, v4
	v_dual_add_nc_u32 v23 /*v279*/, 48, v4 :: v_dual_add_nc_u32 v24 /*v280*/, 52, v4
	s_set_vgpr_msb 0                        ;  msbs: dst=0 src0=0 src1=0 src2=0
	v_lshlrev_b16 v0, 8, v0
	s_set_vgpr_msb 64                       ;  msbs: dst=1 src0=0 src1=0 src2=0
	v_dual_add_nc_u32 v25 /*v281*/, 56, v4 :: v_dual_add_nc_u32 v26 /*v282*/, 60, v4
	s_set_vgpr_msb 0                        ;  msbs: dst=0 src0=0 src1=0 src2=0
	v_lshlrev_b16 v32, 8, v1
	v_and_b32_e32 v1, 15, v16
	v_lshrrev_b32_e32 v33, 8, v0
	v_and_b32_e32 v0, 0x3e0, v14
	v_bitop3_b16 v21, v21, v28, 0xff bitop3:0xce
	v_xor_b32_e32 v26, -1, v26
	v_cmp_eq_u32_e32 vcc_lo, 0, v1
	s_wait_xcnt 0x0
	v_cmp_lt_u32_e64 s0, 1, v1
	v_min_u32_e32 v4, 0xe0, v0
	v_mul_u32_u24_e32 v0, 17, v0
	v_cmp_lt_u32_e64 s1, 3, v1
	v_cmp_lt_u32_e64 s2, 7, v1
	s_delay_alu instid0(VALU_DEP_4) | instskip(SKIP_4) | instid1(VALU_DEP_4)
	v_dual_mov_b32 v1, 0 :: v_dual_bitop2_b32 v17, 31, v4 bitop3:0x54
	v_sub_co_u32 v4, s3, v16, 1
	v_or_b32_e32 v0, v16, v0
	v_perm_b32 v19, v27, v19, 0xc0c0104
	v_lshlrev_b32_e32 v21, 16, v21
	v_cmp_gt_i32_e64 s5, 0, v4
	v_cmp_lt_u32_e64 s7, 31, v14
	v_cmp_eq_u32_e64 s10, 0, v14
	s_set_vgpr_msb 64                       ;  msbs: dst=1 src0=0 src1=0 src2=0
	v_sub_nc_u32_e32 v49 /*v305*/, v11, v10
	s_mov_b32 s26, 0
	s_set_vgpr_msb 0                        ;  msbs: dst=0 src0=0 src1=0 src2=0
	v_cndmask_b32_e64 v35, v4, v16, s5
	v_lshlrev_b16 v31, 8, v5
	v_and_b32_e32 v5, 16, v16
	s_set_vgpr_msb 64                       ;  msbs: dst=1 src0=0 src1=0 src2=0
	v_lshrrev_b32_e32 v27 /*v283*/, 5, v38
	v_cmp_eq_u32_e64 s5, v14, v17
	v_lshlrev_b32_e32 v28 /*v284*/, 2, v35
	s_set_vgpr_msb 0                        ;  msbs: dst=0 src0=0 src1=0 src2=0
	v_and_b32_e32 v35, 7, v16
	v_cmp_eq_u32_e64 s4, 0, v5
	v_add_nc_u64_e32 v[4:5], v[12:13], v[0:1]
	s_wait_storecnt 0x0
	s_barrier_signal -1
	v_cmp_eq_u32_e64 s11, 0, v35
	v_cmp_lt_u32_e64 s12, 1, v35
	v_cmp_lt_u32_e64 s13, 3, v35
	s_barrier_wait -1
	v_mad_nc_u64_u32 v[16:17], v0, 7, v[4:5]
	v_lshrrev_b32_e32 v0, 8, v18
	v_lshlrev_b16 v18, 8, v29
	v_lshrrev_b32_e32 v29, 8, v30
	v_add_nc_u32_e32 v5, v12, v34
	v_lshl_add_u32 v17, v14, 2, v12
	v_lshlrev_b16 v0, 8, v0
	v_bitop3_b16 v18, v22, v18, 0xff bitop3:0xce
	v_lshlrev_b16 v22, 8, v33
	s_set_vgpr_msb 64                       ;  msbs: dst=1 src0=0 src1=0 src2=0
	v_add_nc_u32_e32 v29 /*v285*/, 0x1a0, v4
	v_add_nc_u32_e32 v30 /*v286*/, 0x1c0, v4
	s_set_vgpr_msb 0                        ;  msbs: dst=0 src0=0 src1=0 src2=0
	v_bitop3_b16 v0, v20, v0, 0xff bitop3:0xce
	v_lshlrev_b16 v20, 8, v29
	v_and_b32_e32 v27, 0xffff, v18
	s_set_vgpr_msb 64                       ;  msbs: dst=1 src0=0 src1=0 src2=0
	v_add_nc_u32_e32 v31 /*v287*/, 0x1e0, v4
	v_add_nc_u32_e32 v32 /*v288*/, 0x200, v4
	s_set_vgpr_msb 0                        ;  msbs: dst=0 src0=0 src1=0 src2=0
	v_and_b32_e32 v0, 0xffff, v0
	v_bitop3_b16 v18, v23, v20, 0xff bitop3:0xce
	v_bitop3_b16 v20, v24, v22, 0xff bitop3:0xce
	;; [unrolled: 1-line block ×3, first 2 shown]
	v_perm_b32 v23, v26, v31, 0xc0c0104
	v_or_b32_e32 v167, v27, v21
	v_and_b32_e32 v24, 0xffff, v18
	v_and_b32_e32 v25, 0xffff, v20
	v_lshlrev_b32_e32 v22, 16, v22
	v_mov_b64_e32 v[20:21], 0
	s_set_vgpr_msb 64                       ;  msbs: dst=1 src0=0 src1=0 src2=0
	v_add_nc_u32_e32 v33 /*v289*/, 0x100, v16
	v_add_nc_u32_e32 v34 /*v290*/, 0x200, v16
	;; [unrolled: 1-line block ×16, first 2 shown]
	s_set_vgpr_msb 0                        ;  msbs: dst=0 src0=0 src1=0 src2=0
	v_lshl_or_b32 v18, v19, 16, v0
	v_lshl_or_b32 v177, v23, 16, v24
	v_or_b32_e32 v179, v25, v22
	s_branch .LBB83_56
.LBB83_55:                              ;   in Loop: Header=BB83_56 Depth=1
	s_or_b32 exec_lo, exec_lo, s15
	s_delay_alu instid0(SALU_CYCLE_1) | instskip(NEXT) | instid1(SALU_CYCLE_1)
	s_and_b32 s14, exec_lo, s16
	s_or_b32 s26, s14, s26
	s_delay_alu instid0(SALU_CYCLE_1)
	s_and_not1_b32 exec_lo, exec_lo, s26
	s_cbranch_execz .LBB83_98
.LBB83_56:                              ; =>This Inner Loop Header: Depth=1
	s_wait_kmcnt 0x0
	s_set_vgpr_msb 4                        ;  msbs: dst=0 src0=0 src1=1 src2=0
	v_min_u32_e32 v0, s25, v49 /*v305*/
	s_set_vgpr_msb 0                        ;  msbs: dst=0 src0=0 src1=0 src2=0
	v_and_b32_e32 v22, 0xff, v18
	v_mov_b32_e32 v19, v167
	v_mov_b64_e32 v[32:33], v[84:85]
	v_mov_b64_e32 v[52:53], v[86:87]
	v_lshlrev_b32_e64 v150, v0, -1
	v_lshrrev_b32_e32 v0, v10, v22
	v_mov_b64_e32 v[50:51], v[96:97]
	v_mov_b64_e32 v[24:25], v[98:99]
	;; [unrolled: 1-line block ×4, first 2 shown]
	v_bitop3_b32 v66, v0, v150, v0 bitop3:0x30
	v_bitop3_b32 v0, v0, 1, v150 bitop3:0x40
	v_mov_b64_e32 v[48:49], v[112:113]
	v_mov_b64_e32 v[36:37], v[114:115]
	;; [unrolled: 1-line block ×3, first 2 shown]
	v_dual_lshlrev_b32 v64, 30, v66 :: v_dual_lshlrev_b32 v68, 29, v66
	v_add_co_u32 v0, s14, v0, -1
	s_delay_alu instid0(VALU_DEP_1) | instskip(NEXT) | instid1(VALU_DEP_3)
	v_cndmask_b32_e64 v65, 0, 1, s14
	v_not_b32_e32 v67, v64
	v_cmp_gt_i32_e64 s15, 0, v64
	v_not_b32_e32 v70, v68
	v_mov_b64_e32 v[28:29], v[130:131]
	v_cmp_ne_u32_e64 s14, 0, v65
	v_dual_ashrrev_i32 v67, 31, v67 :: v_dual_lshlrev_b32 v69, 28, v66
	v_mov_b64_e32 v[34:35], v[132:133]
	v_mov_b64_e32 v[64:65], v[134:135]
	s_delay_alu instid0(VALU_DEP_4) | instskip(NEXT) | instid1(VALU_DEP_4)
	v_xor_b32_e32 v0, s14, v0
	v_xor_b32_e32 v67, s15, v67
	v_not_b32_e32 v71, v69
	v_cmp_gt_i32_e64 s14, 0, v68
	v_ashrrev_i32_e32 v68, 31, v70
	v_lshlrev_b32_e32 v70, 27, v66
	v_cmp_gt_i32_e64 s15, 0, v69
	v_ashrrev_i32_e32 v69, 31, v71
	v_bitop3_b32 v0, v0, v67, exec_lo bitop3:0x80
	v_lshlrev_b32_e32 v67, 26, v66
	v_not_b32_e32 v71, v70
	v_xor_b32_e32 v68, s14, v68
	v_dual_lshlrev_b32 v80, 25, v66 :: v_dual_bitop2_b32 v69, s15, v69 bitop3:0x14
	v_cmp_gt_i32_e64 s14, 0, v70
	v_not_b32_e32 v70, v67
	v_ashrrev_i32_e32 v71, 31, v71
	v_cmp_gt_i32_e64 s15, 0, v67
	v_lshlrev_b32_e32 v67, 24, v66
	v_bitop3_b32 v0, v0, v69, v68 bitop3:0x80
	v_not_b32_e32 v68, v80
	v_dual_ashrrev_i32 v70, 31, v70 :: v_dual_bitop2_b32 v69, s14, v71 bitop3:0x14
	s_delay_alu instid0(VALU_DEP_4) | instskip(SKIP_1) | instid1(VALU_DEP_3)
	v_not_b32_e32 v71, v67
	v_cmp_gt_i32_e64 s14, 0, v80
	v_dual_ashrrev_i32 v68, 31, v68 :: v_dual_bitop2_b32 v70, s15, v70 bitop3:0x14
	v_cmp_gt_i32_e64 s15, 0, v67
	s_delay_alu instid0(VALU_DEP_4) | instskip(NEXT) | instid1(VALU_DEP_3)
	v_dual_ashrrev_i32 v67, 31, v71 :: v_dual_lshlrev_b32 v71, 3, v66
	v_xor_b32_e32 v81, s14, v68
	s_delay_alu instid0(VALU_DEP_4) | instskip(SKIP_1) | instid1(VALU_DEP_4)
	v_bitop3_b32 v80, v0, v70, v69 bitop3:0x80
	v_mov_b64_e32 v[82:83], v[118:119]
	v_xor_b32_e32 v84, s15, v67
	s_set_vgpr_msb 4                        ;  msbs: dst=0 src0=0 src1=1 src2=0
	v_add_lshl_u32 v0, v71, v27 /*v283*/, 2
	v_mov_b64_e32 v[66:67], v[128:129]
	v_mov_b64_e32 v[70:71], v[144:145]
	;; [unrolled: 1-line block ×3, first 2 shown]
	s_set_vgpr_msb 0                        ;  msbs: dst=0 src0=0 src1=0 src2=0
	v_bitop3_b32 v86, v80, v84, v81 bitop3:0x80
	v_add_nc_u64_e32 v[84:85], v[12:13], v[0:1]
	v_mov_b64_e32 v[80:81], v[148:149]
	s_set_vgpr_msb 64                       ;  msbs: dst=1 src0=0 src1=0 src2=0
	v_mov_b32_e32 v50 /*v306*/, v163
	s_set_vgpr_msb 0                        ;  msbs: dst=0 src0=0 src1=0 src2=0
	v_dual_mov_b32 v55, v179 :: v_dual_mov_b32 v54, v177
	v_mbcnt_lo_u32_b32 v0, v86, 0
	v_cmp_ne_u32_e64 s15, 0, v86
	v_add_nc_u64_e32 v[84:85], 32, v[84:85]
	ds_store_b64 v15, v[20:21]
	s_set_vgpr_msb 1                        ;  msbs: dst=0 src0=1 src1=0 src2=0
	ds_store_b64 v21 /*v277*/, v[20:21]
	ds_store_b64 v23 /*v279*/, v[20:21]
	;; [unrolled: 1-line block ×3, first 2 shown]
	v_cmp_eq_u32_e64 s14, 0, v0
	s_wait_dscnt 0x0
	s_barrier_signal -1
	s_barrier_wait -1
	s_and_b32 s15, s15, s14
	; wave barrier
	s_delay_alu instid0(SALU_CYCLE_1)
	s_and_saveexec_b32 s14, s15
; %bb.57:                               ;   in Loop: Header=BB83_56 Depth=1
	s_set_vgpr_msb 0                        ;  msbs: dst=0 src0=0 src1=0 src2=0
	v_bcnt_u32_b32 v85, v86, 0
	ds_store_b32 v84, v85
; %bb.58:                               ;   in Loop: Header=BB83_56 Depth=1
	s_or_b32 exec_lo, exec_lo, s14
	v_bfe_u32 v85, v18, 8, 8
	v_not_b32_e32 v102, v150
	; wave barrier
	s_set_vgpr_msb 4                        ;  msbs: dst=0 src0=0 src1=1 src2=0
	v_and_b32_e32 v114, 0xff, v50 /*v306*/
	s_set_vgpr_msb 0                        ;  msbs: dst=0 src0=0 src1=0 src2=0
	v_lshrrev_b32_e32 v85, v10, v85
	s_delay_alu instid0(VALU_DEP_1) | instskip(NEXT) | instid1(VALU_DEP_1)
	v_and_b32_e32 v86, v85, v102
	v_lshlrev_b32_e32 v97, 30, v86
	v_bitop3_b32 v85, v85, 1, v102 bitop3:0x80
	s_delay_alu instid0(VALU_DEP_2) | instskip(NEXT) | instid1(VALU_DEP_2)
	v_cmp_gt_i32_e64 s15, 0, v97
	v_add_co_u32 v85, s14, v85, -1
	s_delay_alu instid0(VALU_DEP_1) | instskip(NEXT) | instid1(VALU_DEP_1)
	v_cndmask_b32_e64 v96, 0, 1, s14
	v_cmp_ne_u32_e64 s14, 0, v96
	v_not_b32_e32 v96, v97
	s_delay_alu instid0(VALU_DEP_1)
	v_dual_ashrrev_i32 v96, 31, v96 :: v_dual_lshlrev_b32 v98, 29, v86
	v_dual_lshlrev_b32 v99, 28, v86 :: v_dual_lshlrev_b32 v100, 27, v86
	v_lshlrev_b32_e32 v101, 26, v86
	s_set_vgpr_msb 16                       ;  msbs: dst=0 src0=0 src1=0 src2=1
	v_lshl_add_u32 v87, v86, 3, v27 /*v283*/
	v_cmp_gt_i32_e64 s16, 0, v98
	v_not_b32_e32 v97, v98
	v_not_b32_e32 v98, v99
	v_dual_lshlrev_b32 v103, 25, v86 :: v_dual_lshlrev_b32 v86, 24, v86
	v_cmp_gt_i32_e64 s17, 0, v99
	v_cmp_gt_i32_e64 s18, 0, v100
	v_not_b32_e32 v99, v100
	v_dual_ashrrev_i32 v98, 31, v98 :: v_dual_bitop2_b32 v85, s14, v85 bitop3:0x14
	v_dual_ashrrev_i32 v97, 31, v97 :: v_dual_bitop2_b32 v96, s15, v96 bitop3:0x14
	v_not_b32_e32 v100, v101
	v_cmp_gt_i32_e64 s19, 0, v101
	s_delay_alu instid0(VALU_DEP_3)
	v_dual_ashrrev_i32 v99, 31, v99 :: v_dual_bitop2_b32 v97, s16, v97 bitop3:0x14
	v_xor_b32_e32 v98, s17, v98
	v_bitop3_b32 v85, v85, v96, exec_lo bitop3:0x80
	v_ashrrev_i32_e32 v96, 31, v100
	v_not_b32_e32 v100, v103
	v_not_b32_e32 v101, v86
	v_xor_b32_e32 v99, s18, v99
	s_set_vgpr_msb 0                        ;  msbs: dst=0 src0=0 src1=0 src2=0
	v_bitop3_b32 v85, v85, v98, v97 bitop3:0x80
	v_xor_b32_e32 v96, s19, v96
	v_cmp_gt_i32_e64 s14, 0, v103
	v_ashrrev_i32_e32 v97, 31, v100
	v_cmp_gt_i32_e64 s15, 0, v86
	v_ashrrev_i32_e32 v86, 31, v101
	v_lshl_add_u32 v87, v87, 2, v12
	v_bitop3_b32 v96, v85, v96, v99 bitop3:0x80
	v_xor_b32_e32 v97, s14, v97
	s_delay_alu instid0(VALU_DEP_4) | instskip(SKIP_3) | instid1(VALU_DEP_1)
	v_xor_b32_e32 v86, s15, v86
	ds_load_b32 v85, v87 offset:32
	v_add_nc_u32_e32 v87, 32, v87
	; wave barrier
	v_bitop3_b32 v96, v96, v86, v97 bitop3:0x80
	v_mbcnt_lo_u32_b32 v86, v96, 0
	v_cmp_ne_u32_e64 s15, 0, v96
	s_delay_alu instid0(VALU_DEP_2) | instskip(SKIP_1) | instid1(SALU_CYCLE_1)
	v_cmp_eq_u32_e64 s14, 0, v86
	s_and_b32 s15, s15, s14
	s_and_saveexec_b32 s14, s15
	s_cbranch_execz .LBB83_60
; %bb.59:                               ;   in Loop: Header=BB83_56 Depth=1
	s_wait_dscnt 0x0
	v_bcnt_u32_b32 v96, v96, v85
	ds_store_b32 v87, v96
.LBB83_60:                              ;   in Loop: Header=BB83_56 Depth=1
	s_or_b32 exec_lo, exec_lo, s14
	v_bfe_u32 v96, v18, 16, 8
	; wave barrier
	s_delay_alu instid0(VALU_DEP_1) | instskip(NEXT) | instid1(VALU_DEP_1)
	v_lshrrev_b32_e32 v96, v10, v96
	v_and_b32_e32 v97, v96, v102
	s_delay_alu instid0(VALU_DEP_1) | instskip(SKIP_1) | instid1(VALU_DEP_2)
	v_lshlrev_b32_e32 v100, 30, v97
	v_bitop3_b32 v96, v96, 1, v102 bitop3:0x80
	v_cmp_gt_i32_e64 s15, 0, v100
	s_delay_alu instid0(VALU_DEP_2) | instskip(NEXT) | instid1(VALU_DEP_1)
	v_add_co_u32 v96, s14, v96, -1
	v_cndmask_b32_e64 v99, 0, 1, s14
	s_delay_alu instid0(VALU_DEP_1) | instskip(SKIP_1) | instid1(VALU_DEP_1)
	v_cmp_ne_u32_e64 s14, 0, v99
	v_not_b32_e32 v99, v100
	v_dual_ashrrev_i32 v99, 31, v99 :: v_dual_lshlrev_b32 v101, 29, v97
	v_dual_lshlrev_b32 v103, 28, v97 :: v_dual_lshlrev_b32 v112, 27, v97
	v_lshlrev_b32_e32 v113, 26, v97
	s_set_vgpr_msb 16                       ;  msbs: dst=0 src0=0 src1=0 src2=1
	v_lshl_add_u32 v98, v97, 3, v27 /*v283*/
	v_cmp_gt_i32_e64 s16, 0, v101
	v_not_b32_e32 v100, v101
	v_not_b32_e32 v101, v103
	v_dual_lshlrev_b32 v115, 25, v97 :: v_dual_lshlrev_b32 v97, 24, v97
	v_cmp_gt_i32_e64 s17, 0, v103
	v_cmp_gt_i32_e64 s18, 0, v112
	v_not_b32_e32 v103, v112
	v_not_b32_e32 v112, v113
	v_dual_ashrrev_i32 v101, 31, v101 :: v_dual_bitop2_b32 v96, s14, v96 bitop3:0x14
	v_dual_ashrrev_i32 v100, 31, v100 :: v_dual_bitop2_b32 v99, s15, v99 bitop3:0x14
	v_cmp_gt_i32_e64 s19, 0, v113
	s_delay_alu instid0(VALU_DEP_4) | instskip(SKIP_1) | instid1(VALU_DEP_4)
	v_dual_ashrrev_i32 v103, 31, v103 :: v_dual_ashrrev_i32 v112, 31, v112
	v_not_b32_e32 v113, v97
	v_bitop3_b32 v96, v96, v99, exec_lo bitop3:0x80
	v_not_b32_e32 v99, v115
	v_xor_b32_e32 v100, s16, v100
	s_set_vgpr_msb 0                        ;  msbs: dst=0 src0=0 src1=0 src2=0
	v_lshl_add_u32 v98, v98, 2, v12
	v_xor_b32_e32 v101, s17, v101
	v_xor_b32_e32 v103, s18, v103
	;; [unrolled: 1-line block ×3, first 2 shown]
	v_cmp_gt_i32_e64 s14, 0, v115
	v_ashrrev_i32_e32 v99, 31, v99
	v_bitop3_b32 v96, v96, v101, v100 bitop3:0x80
	v_cmp_gt_i32_e64 s15, 0, v97
	s_delay_alu instid0(VALU_DEP_3) | instskip(NEXT) | instid1(VALU_DEP_3)
	v_dual_ashrrev_i32 v97, 31, v113 :: v_dual_bitop2_b32 v99, s14, v99 bitop3:0x14
	v_bitop3_b32 v100, v96, v112, v103 bitop3:0x80
	ds_load_b32 v96, v98 offset:32
	v_dual_add_nc_u32 v98, 32, v98 :: v_dual_bitop2_b32 v97, s15, v97 bitop3:0x14
	; wave barrier
	s_delay_alu instid0(VALU_DEP_1) | instskip(NEXT) | instid1(VALU_DEP_1)
	v_bitop3_b32 v99, v100, v97, v99 bitop3:0x80
	v_mbcnt_lo_u32_b32 v97, v99, 0
	v_cmp_ne_u32_e64 s15, 0, v99
	s_delay_alu instid0(VALU_DEP_2) | instskip(SKIP_1) | instid1(SALU_CYCLE_1)
	v_cmp_eq_u32_e64 s14, 0, v97
	s_and_b32 s15, s15, s14
	s_and_saveexec_b32 s14, s15
	s_cbranch_execz .LBB83_62
; %bb.61:                               ;   in Loop: Header=BB83_56 Depth=1
	s_wait_dscnt 0x0
	v_bcnt_u32_b32 v99, v99, v96
	ds_store_b32 v98, v99
.LBB83_62:                              ;   in Loop: Header=BB83_56 Depth=1
	s_or_b32 exec_lo, exec_lo, s14
	v_alignbit_b32 v99, v19, v18, 24
	; wave barrier
	s_delay_alu instid0(VALU_DEP_1) | instskip(NEXT) | instid1(VALU_DEP_1)
	v_and_b32_e32 v99, 0xff, v99
	v_lshrrev_b32_e32 v99, v10, v99
	s_delay_alu instid0(VALU_DEP_1) | instskip(NEXT) | instid1(VALU_DEP_1)
	v_and_b32_e32 v100, v99, v102
	v_lshlrev_b32_e32 v112, 30, v100
	v_bitop3_b32 v99, v99, 1, v102 bitop3:0x80
	s_delay_alu instid0(VALU_DEP_2) | instskip(NEXT) | instid1(VALU_DEP_2)
	v_cmp_gt_i32_e64 s15, 0, v112
	v_add_co_u32 v99, s14, v99, -1
	s_delay_alu instid0(VALU_DEP_1) | instskip(NEXT) | instid1(VALU_DEP_1)
	v_cndmask_b32_e64 v103, 0, 1, s14
	v_cmp_ne_u32_e64 s14, 0, v103
	v_not_b32_e32 v103, v112
	s_delay_alu instid0(VALU_DEP_1)
	v_dual_ashrrev_i32 v103, 31, v103 :: v_dual_lshlrev_b32 v113, 29, v100
	v_dual_lshlrev_b32 v115, 28, v100 :: v_dual_lshlrev_b32 v116, 27, v100
	v_lshlrev_b32_e32 v117, 26, v100
	s_set_vgpr_msb 16                       ;  msbs: dst=0 src0=0 src1=0 src2=1
	v_lshl_add_u32 v101, v100, 3, v27 /*v283*/
	v_cmp_gt_i32_e64 s16, 0, v113
	v_not_b32_e32 v112, v113
	v_not_b32_e32 v113, v115
	v_dual_lshlrev_b32 v118, 25, v100 :: v_dual_lshlrev_b32 v100, 24, v100
	v_cmp_gt_i32_e64 s17, 0, v115
	v_cmp_gt_i32_e64 s18, 0, v116
	v_not_b32_e32 v115, v116
	v_not_b32_e32 v116, v117
	v_dual_ashrrev_i32 v112, 31, v112 :: v_dual_bitop2_b32 v99, s14, v99 bitop3:0x14
	v_dual_ashrrev_i32 v113, 31, v113 :: v_dual_bitop2_b32 v103, s15, v103 bitop3:0x14
	v_cmp_gt_i32_e64 s19, 0, v117
	v_not_b32_e32 v117, v118
	v_cmp_gt_i32_e64 s21, 0, v100
	v_not_b32_e32 v100, v100
	v_dual_ashrrev_i32 v115, 31, v115 :: v_dual_ashrrev_i32 v116, 31, v116
	v_xor_b32_e32 v112, s16, v112
	s_delay_alu instid0(VALU_DEP_3)
	v_dual_ashrrev_i32 v100, 31, v100 :: v_dual_bitop2_b32 v113, s17, v113 bitop3:0x14
	v_bitop3_b32 v99, v99, v103, exec_lo bitop3:0x80
	v_cmp_gt_i32_e64 s20, 0, v118
	v_dual_ashrrev_i32 v103, 31, v117 :: v_dual_bitop2_b32 v116, s19, v116 bitop3:0x14
	s_set_vgpr_msb 0                        ;  msbs: dst=0 src0=0 src1=0 src2=0
	v_lshl_add_u32 v101, v101, 2, v12
	v_xor_b32_e32 v115, s18, v115
	v_bitop3_b32 v99, v99, v113, v112 bitop3:0x80
	v_xor_b32_e32 v103, s20, v103
	v_xor_b32_e32 v100, s21, v100
	s_delay_alu instid0(VALU_DEP_3) | instskip(SKIP_3) | instid1(VALU_DEP_1)
	v_bitop3_b32 v112, v99, v116, v115 bitop3:0x80
	ds_load_b32 v99, v101 offset:32
	v_add_nc_u32_e32 v101, 32, v101
	; wave barrier
	v_bitop3_b32 v103, v112, v100, v103 bitop3:0x80
	v_mbcnt_lo_u32_b32 v100, v103, 0
	v_cmp_ne_u32_e64 s15, 0, v103
	s_delay_alu instid0(VALU_DEP_2) | instskip(SKIP_1) | instid1(SALU_CYCLE_1)
	v_cmp_eq_u32_e64 s14, 0, v100
	s_and_b32 s15, s15, s14
	s_and_saveexec_b32 s14, s15
	s_cbranch_execz .LBB83_64
; %bb.63:                               ;   in Loop: Header=BB83_56 Depth=1
	s_wait_dscnt 0x0
	v_bcnt_u32_b32 v103, v103, v99
	ds_store_b32 v101, v103
.LBB83_64:                              ;   in Loop: Header=BB83_56 Depth=1
	s_or_b32 exec_lo, exec_lo, s14
	v_and_b32_e32 v103, 0xff, v19
	; wave barrier
	s_delay_alu instid0(VALU_DEP_1) | instskip(NEXT) | instid1(VALU_DEP_1)
	v_lshrrev_b32_e32 v103, v10, v103
	v_and_b32_e32 v112, v103, v102
	s_delay_alu instid0(VALU_DEP_1) | instskip(SKIP_1) | instid1(VALU_DEP_2)
	v_lshlrev_b32_e32 v116, 30, v112
	v_bitop3_b32 v103, v103, 1, v102 bitop3:0x80
	v_cmp_gt_i32_e64 s15, 0, v116
	s_delay_alu instid0(VALU_DEP_2) | instskip(NEXT) | instid1(VALU_DEP_1)
	v_add_co_u32 v103, s14, v103, -1
	v_cndmask_b32_e64 v115, 0, 1, s14
	s_delay_alu instid0(VALU_DEP_1) | instskip(SKIP_1) | instid1(VALU_DEP_1)
	v_cmp_ne_u32_e64 s14, 0, v115
	v_not_b32_e32 v115, v116
	v_dual_ashrrev_i32 v115, 31, v115 :: v_dual_lshlrev_b32 v117, 29, v112
	v_dual_lshlrev_b32 v118, 28, v112 :: v_dual_lshlrev_b32 v119, 27, v112
	v_lshlrev_b32_e32 v128, 26, v112
	s_set_vgpr_msb 16                       ;  msbs: dst=0 src0=0 src1=0 src2=1
	v_lshl_add_u32 v113, v112, 3, v27 /*v283*/
	v_cmp_gt_i32_e64 s16, 0, v117
	v_not_b32_e32 v116, v117
	v_not_b32_e32 v117, v118
	v_dual_lshlrev_b32 v129, 25, v112 :: v_dual_lshlrev_b32 v112, 24, v112
	v_cmp_gt_i32_e64 s17, 0, v118
	v_cmp_gt_i32_e64 s18, 0, v119
	v_not_b32_e32 v118, v119
	v_not_b32_e32 v119, v128
	v_dual_ashrrev_i32 v116, 31, v116 :: v_dual_bitop2_b32 v103, s14, v103 bitop3:0x14
	v_dual_ashrrev_i32 v117, 31, v117 :: v_dual_bitop2_b32 v115, s15, v115 bitop3:0x14
	v_cmp_gt_i32_e64 s19, 0, v128
	s_delay_alu instid0(VALU_DEP_4) | instskip(SKIP_1) | instid1(VALU_DEP_4)
	v_dual_ashrrev_i32 v118, 31, v118 :: v_dual_ashrrev_i32 v119, 31, v119
	v_not_b32_e32 v128, v112
	v_xor_b32_e32 v117, s17, v117
	v_bitop3_b32 v103, v103, v115, exec_lo bitop3:0x80
	v_not_b32_e32 v115, v129
	v_xor_b32_e32 v116, s16, v116
	v_xor_b32_e32 v119, s19, v119
	v_cmp_gt_i32_e64 s14, 0, v129
	v_cmp_gt_i32_e64 s15, 0, v112
	v_dual_ashrrev_i32 v115, 31, v115 :: v_dual_ashrrev_i32 v112, 31, v128
	s_set_vgpr_msb 0                        ;  msbs: dst=0 src0=0 src1=0 src2=0
	v_bitop3_b32 v103, v103, v117, v116 bitop3:0x80
	v_lshl_add_u32 v113, v113, 2, v12
	v_xor_b32_e32 v118, s18, v118
	v_xor_b32_e32 v115, s14, v115
	;; [unrolled: 1-line block ×3, first 2 shown]
	s_delay_alu instid0(VALU_DEP_3) | instskip(SKIP_3) | instid1(VALU_DEP_1)
	v_bitop3_b32 v116, v103, v119, v118 bitop3:0x80
	ds_load_b32 v103, v113 offset:32
	v_add_nc_u32_e32 v113, 32, v113
	; wave barrier
	v_bitop3_b32 v115, v116, v112, v115 bitop3:0x80
	v_mbcnt_lo_u32_b32 v112, v115, 0
	v_cmp_ne_u32_e64 s15, 0, v115
	s_delay_alu instid0(VALU_DEP_2) | instskip(SKIP_1) | instid1(SALU_CYCLE_1)
	v_cmp_eq_u32_e64 s14, 0, v112
	s_and_b32 s15, s15, s14
	s_and_saveexec_b32 s14, s15
	s_cbranch_execz .LBB83_66
; %bb.65:                               ;   in Loop: Header=BB83_56 Depth=1
	s_wait_dscnt 0x0
	v_bcnt_u32_b32 v115, v115, v103
	ds_store_b32 v113, v115
.LBB83_66:                              ;   in Loop: Header=BB83_56 Depth=1
	s_or_b32 exec_lo, exec_lo, s14
	v_bfe_u32 v115, v19, 8, 8
	; wave barrier
	s_delay_alu instid0(VALU_DEP_1) | instskip(NEXT) | instid1(VALU_DEP_1)
	v_lshrrev_b32_e32 v115, v10, v115
	v_and_b32_e32 v116, v115, v102
	s_delay_alu instid0(VALU_DEP_1) | instskip(SKIP_2) | instid1(VALU_DEP_3)
	v_lshlrev_b32_e32 v119, 30, v116
	v_bitop3_b32 v115, v115, 1, v102 bitop3:0x80
	v_lshlrev_b32_e32 v128, 29, v116
	v_cmp_gt_i32_e64 s15, 0, v119
	s_delay_alu instid0(VALU_DEP_3) | instskip(NEXT) | instid1(VALU_DEP_1)
	v_add_co_u32 v115, s14, v115, -1
	v_cndmask_b32_e64 v118, 0, 1, s14
	s_delay_alu instid0(VALU_DEP_1) | instskip(SKIP_2) | instid1(VALU_DEP_2)
	v_cmp_ne_u32_e64 s14, 0, v118
	v_not_b32_e32 v118, v119
	v_not_b32_e32 v119, v128
	v_dual_ashrrev_i32 v118, 31, v118 :: v_dual_bitop2_b32 v115, s14, v115 bitop3:0x14
	s_delay_alu instid0(VALU_DEP_2)
	v_dual_ashrrev_i32 v119, 31, v119 :: v_dual_lshlrev_b32 v129, 28, v116
	v_dual_lshlrev_b32 v130, 27, v116 :: v_dual_lshlrev_b32 v131, 26, v116
	v_cmp_gt_i32_e64 s16, 0, v128
	s_set_vgpr_msb 16                       ;  msbs: dst=0 src0=0 src1=0 src2=1
	v_lshl_add_u32 v117, v116, 3, v27 /*v283*/
	v_not_b32_e32 v128, v129
	v_dual_lshlrev_b32 v132, 25, v116 :: v_dual_lshlrev_b32 v116, 24, v116
	v_cmp_gt_i32_e64 s17, 0, v129
	v_cmp_gt_i32_e64 s18, 0, v130
	v_not_b32_e32 v129, v130
	v_not_b32_e32 v130, v131
	v_dual_ashrrev_i32 v128, 31, v128 :: v_dual_bitop2_b32 v118, s15, v118 bitop3:0x14
	v_cmp_gt_i32_e64 s19, 0, v131
	s_delay_alu instid0(VALU_DEP_3) | instskip(SKIP_1) | instid1(VALU_DEP_4)
	v_dual_ashrrev_i32 v129, 31, v129 :: v_dual_ashrrev_i32 v130, 31, v130
	v_not_b32_e32 v131, v116
	v_xor_b32_e32 v128, s17, v128
	v_bitop3_b32 v115, v115, v118, exec_lo bitop3:0x80
	v_not_b32_e32 v118, v132
	v_xor_b32_e32 v119, s16, v119
	v_xor_b32_e32 v129, s18, v129
	v_cmp_gt_i32_e64 s14, 0, v132
	v_cmp_gt_i32_e64 s15, 0, v116
	v_dual_ashrrev_i32 v118, 31, v118 :: v_dual_ashrrev_i32 v116, 31, v131
	s_set_vgpr_msb 0                        ;  msbs: dst=0 src0=0 src1=0 src2=0
	v_bitop3_b32 v115, v115, v128, v119 bitop3:0x80
	v_lshl_add_u32 v117, v117, 2, v12
	v_xor_b32_e32 v130, s19, v130
	v_xor_b32_e32 v118, s14, v118
	;; [unrolled: 1-line block ×3, first 2 shown]
	s_delay_alu instid0(VALU_DEP_3) | instskip(SKIP_3) | instid1(VALU_DEP_1)
	v_bitop3_b32 v119, v115, v130, v129 bitop3:0x80
	ds_load_b32 v115, v117 offset:32
	v_add_nc_u32_e32 v117, 32, v117
	; wave barrier
	v_bitop3_b32 v118, v119, v116, v118 bitop3:0x80
	v_mbcnt_lo_u32_b32 v116, v118, 0
	v_cmp_ne_u32_e64 s15, 0, v118
	s_delay_alu instid0(VALU_DEP_2) | instskip(SKIP_1) | instid1(SALU_CYCLE_1)
	v_cmp_eq_u32_e64 s14, 0, v116
	s_and_b32 s15, s15, s14
	s_and_saveexec_b32 s14, s15
	s_cbranch_execz .LBB83_68
; %bb.67:                               ;   in Loop: Header=BB83_56 Depth=1
	s_wait_dscnt 0x0
	v_bcnt_u32_b32 v118, v118, v115
	ds_store_b32 v117, v118
.LBB83_68:                              ;   in Loop: Header=BB83_56 Depth=1
	s_or_b32 exec_lo, exec_lo, s14
	v_bfe_u32 v118, v19, 16, 8
	; wave barrier
	s_delay_alu instid0(VALU_DEP_1) | instskip(NEXT) | instid1(VALU_DEP_1)
	v_lshrrev_b32_e32 v118, v10, v118
	v_and_b32_e32 v119, v118, v102
	s_delay_alu instid0(VALU_DEP_1) | instskip(SKIP_1) | instid1(VALU_DEP_2)
	v_lshlrev_b32_e32 v130, 30, v119
	v_bitop3_b32 v118, v118, 1, v102 bitop3:0x80
	v_cmp_gt_i32_e64 s15, 0, v130
	s_delay_alu instid0(VALU_DEP_2) | instskip(NEXT) | instid1(VALU_DEP_1)
	v_add_co_u32 v118, s14, v118, -1
	v_cndmask_b32_e64 v129, 0, 1, s14
	s_delay_alu instid0(VALU_DEP_1) | instskip(SKIP_1) | instid1(VALU_DEP_1)
	v_cmp_ne_u32_e64 s14, 0, v129
	v_not_b32_e32 v129, v130
	v_dual_ashrrev_i32 v129, 31, v129 :: v_dual_lshlrev_b32 v131, 29, v119
	v_dual_lshlrev_b32 v132, 28, v119 :: v_dual_lshlrev_b32 v133, 27, v119
	v_lshlrev_b32_e32 v134, 26, v119
	s_set_vgpr_msb 16                       ;  msbs: dst=0 src0=0 src1=0 src2=1
	v_lshl_add_u32 v128, v119, 3, v27 /*v283*/
	v_cmp_gt_i32_e64 s16, 0, v131
	v_not_b32_e32 v130, v131
	v_not_b32_e32 v131, v132
	v_dual_lshlrev_b32 v135, 25, v119 :: v_dual_lshlrev_b32 v119, 24, v119
	v_cmp_gt_i32_e64 s17, 0, v132
	v_cmp_gt_i32_e64 s18, 0, v133
	v_not_b32_e32 v132, v133
	v_not_b32_e32 v133, v134
	v_dual_ashrrev_i32 v131, 31, v131 :: v_dual_bitop2_b32 v118, s14, v118 bitop3:0x14
	v_dual_ashrrev_i32 v130, 31, v130 :: v_dual_bitop2_b32 v129, s15, v129 bitop3:0x14
	v_cmp_gt_i32_e64 s19, 0, v134
	s_delay_alu instid0(VALU_DEP_4)
	v_dual_ashrrev_i32 v132, 31, v132 :: v_dual_ashrrev_i32 v133, 31, v133
	v_not_b32_e32 v134, v119
	v_xor_b32_e32 v131, s17, v131
	v_bitop3_b32 v118, v118, v129, exec_lo bitop3:0x80
	v_not_b32_e32 v129, v135
	v_xor_b32_e32 v130, s16, v130
	v_xor_b32_e32 v132, s18, v132
	v_cmp_gt_i32_e64 s14, 0, v135
	v_cmp_gt_i32_e64 s15, 0, v119
	v_dual_ashrrev_i32 v129, 31, v129 :: v_dual_ashrrev_i32 v119, 31, v134
	s_set_vgpr_msb 0                        ;  msbs: dst=0 src0=0 src1=0 src2=0
	v_bitop3_b32 v118, v118, v131, v130 bitop3:0x80
	v_lshl_add_u32 v128, v128, 2, v12
	v_xor_b32_e32 v133, s19, v133
	v_xor_b32_e32 v129, s14, v129
	;; [unrolled: 1-line block ×3, first 2 shown]
	s_delay_alu instid0(VALU_DEP_3) | instskip(SKIP_3) | instid1(VALU_DEP_1)
	v_bitop3_b32 v130, v118, v133, v132 bitop3:0x80
	ds_load_b32 v118, v128 offset:32
	v_add_nc_u32_e32 v128, 32, v128
	; wave barrier
	v_bitop3_b32 v129, v130, v119, v129 bitop3:0x80
	v_mbcnt_lo_u32_b32 v119, v129, 0
	v_cmp_ne_u32_e64 s15, 0, v129
	s_delay_alu instid0(VALU_DEP_2) | instskip(SKIP_1) | instid1(SALU_CYCLE_1)
	v_cmp_eq_u32_e64 s14, 0, v119
	s_and_b32 s15, s15, s14
	s_and_saveexec_b32 s14, s15
	s_cbranch_execz .LBB83_70
; %bb.69:                               ;   in Loop: Header=BB83_56 Depth=1
	s_wait_dscnt 0x0
	v_bcnt_u32_b32 v129, v129, v118
	ds_store_b32 v128, v129
.LBB83_70:                              ;   in Loop: Header=BB83_56 Depth=1
	s_or_b32 exec_lo, exec_lo, s14
	s_set_vgpr_msb 64                       ;  msbs: dst=1 src0=0 src1=0 src2=0
	v_lshrrev_b32_e32 v51 /*v307*/, 24, v19
	; wave barrier
	s_set_vgpr_msb 4                        ;  msbs: dst=0 src0=0 src1=1 src2=0
	s_delay_alu instid0(VALU_DEP_1) | instskip(SKIP_1) | instid1(VALU_DEP_1)
	v_lshrrev_b32_e32 v129, v10, v51 /*v307*/
	s_set_vgpr_msb 0                        ;  msbs: dst=0 src0=0 src1=0 src2=0
	v_and_b32_e32 v130, v129, v102
	v_bitop3_b32 v129, v129, 1, v102 bitop3:0x80
	s_delay_alu instid0(VALU_DEP_2) | instskip(NEXT) | instid1(VALU_DEP_2)
	v_lshlrev_b32_e32 v133, 30, v130
	v_add_co_u32 v129, s14, v129, -1
	s_delay_alu instid0(VALU_DEP_1) | instskip(NEXT) | instid1(VALU_DEP_1)
	v_cndmask_b32_e64 v132, 0, 1, s14
	v_cmp_ne_u32_e64 s14, 0, v132
	s_delay_alu instid0(VALU_DEP_4) | instskip(NEXT) | instid1(VALU_DEP_1)
	v_not_b32_e32 v132, v133
	v_dual_ashrrev_i32 v132, 31, v132 :: v_dual_bitop2_b32 v129, s14, v129 bitop3:0x14
	v_dual_lshlrev_b32 v134, 29, v130 :: v_dual_lshlrev_b32 v135, 28, v130
	v_dual_lshlrev_b32 v144, 27, v130 :: v_dual_lshlrev_b32 v145, 26, v130
	v_lshlrev_b32_e32 v146, 25, v130
	v_cmp_gt_i32_e64 s15, 0, v133
	s_delay_alu instid0(VALU_DEP_4)
	v_cmp_gt_i32_e64 s16, 0, v134
	v_not_b32_e32 v133, v134
	v_not_b32_e32 v134, v135
	s_set_vgpr_msb 16                       ;  msbs: dst=0 src0=0 src1=0 src2=1
	v_lshl_add_u32 v131, v130, 3, v27 /*v283*/
	v_lshlrev_b32_e32 v130, 24, v130
	v_cmp_gt_i32_e64 s17, 0, v135
	v_cmp_gt_i32_e64 s18, 0, v144
	v_not_b32_e32 v135, v144
	v_not_b32_e32 v144, v145
	v_dual_ashrrev_i32 v133, 31, v133 :: v_dual_ashrrev_i32 v134, 31, v134
	s_delay_alu instid0(VALU_DEP_3) | instskip(SKIP_1) | instid1(VALU_DEP_3)
	v_dual_ashrrev_i32 v135, 31, v135 :: v_dual_bitop2_b32 v132, s15, v132 bitop3:0x14
	v_cmp_gt_i32_e64 s19, 0, v145
	v_dual_ashrrev_i32 v144, 31, v144 :: v_dual_bitop2_b32 v133, s16, v133 bitop3:0x14
	s_delay_alu instid0(VALU_DEP_3)
	v_bitop3_b32 v129, v129, v132, exec_lo bitop3:0x80
	v_not_b32_e32 v132, v146
	v_xor_b32_e32 v134, s17, v134
	v_not_b32_e32 v145, v130
	v_xor_b32_e32 v135, s18, v135
	v_cmp_gt_i32_e64 s14, 0, v146
	v_ashrrev_i32_e32 v132, 31, v132
	s_set_vgpr_msb 0                        ;  msbs: dst=0 src0=0 src1=0 src2=0
	v_bitop3_b32 v129, v129, v134, v133 bitop3:0x80
	v_cmp_gt_i32_e64 s15, 0, v130
	v_ashrrev_i32_e32 v130, 31, v145
	v_lshl_add_u32 v131, v131, 2, v12
	v_xor_b32_e32 v144, s19, v144
	v_xor_b32_e32 v132, s14, v132
	s_delay_alu instid0(VALU_DEP_4) | instskip(NEXT) | instid1(VALU_DEP_3)
	v_xor_b32_e32 v130, s15, v130
	v_bitop3_b32 v133, v129, v144, v135 bitop3:0x80
	ds_load_b32 v129, v131 offset:32
	v_add_nc_u32_e32 v131, 32, v131
	; wave barrier
	v_bitop3_b32 v132, v133, v130, v132 bitop3:0x80
	s_delay_alu instid0(VALU_DEP_1) | instskip(SKIP_1) | instid1(VALU_DEP_2)
	v_mbcnt_lo_u32_b32 v130, v132, 0
	v_cmp_ne_u32_e64 s15, 0, v132
	v_cmp_eq_u32_e64 s14, 0, v130
	s_and_b32 s15, s15, s14
	s_delay_alu instid0(SALU_CYCLE_1)
	s_and_saveexec_b32 s14, s15
	s_cbranch_execz .LBB83_72
; %bb.71:                               ;   in Loop: Header=BB83_56 Depth=1
	s_wait_dscnt 0x0
	v_bcnt_u32_b32 v132, v132, v129
	ds_store_b32 v131, v132
.LBB83_72:                              ;   in Loop: Header=BB83_56 Depth=1
	s_or_b32 exec_lo, exec_lo, s14
	v_and_b32_e32 v132, 0xff, v54
	; wave barrier
	s_delay_alu instid0(VALU_DEP_1) | instskip(NEXT) | instid1(VALU_DEP_1)
	v_lshrrev_b32_e32 v132, v10, v132
	v_and_b32_e32 v133, v132, v102
	s_delay_alu instid0(VALU_DEP_1) | instskip(SKIP_1) | instid1(VALU_DEP_2)
	v_lshlrev_b32_e32 v144, 30, v133
	v_bitop3_b32 v132, v132, 1, v102 bitop3:0x80
	v_cmp_gt_i32_e64 s15, 0, v144
	s_delay_alu instid0(VALU_DEP_2) | instskip(NEXT) | instid1(VALU_DEP_1)
	v_add_co_u32 v132, s14, v132, -1
	v_cndmask_b32_e64 v135, 0, 1, s14
	s_delay_alu instid0(VALU_DEP_1) | instskip(SKIP_1) | instid1(VALU_DEP_1)
	v_cmp_ne_u32_e64 s14, 0, v135
	v_not_b32_e32 v135, v144
	v_dual_ashrrev_i32 v135, 31, v135 :: v_dual_lshlrev_b32 v145, 29, v133
	v_dual_lshlrev_b32 v146, 28, v133 :: v_dual_lshlrev_b32 v147, 27, v133
	v_lshlrev_b32_e32 v148, 26, v133
	s_set_vgpr_msb 16                       ;  msbs: dst=0 src0=0 src1=0 src2=1
	v_lshl_add_u32 v134, v133, 3, v27 /*v283*/
	v_cmp_gt_i32_e64 s16, 0, v145
	v_not_b32_e32 v144, v145
	v_not_b32_e32 v145, v146
	v_dual_lshlrev_b32 v149, 25, v133 :: v_dual_lshlrev_b32 v133, 24, v133
	v_cmp_gt_i32_e64 s17, 0, v146
	v_cmp_gt_i32_e64 s18, 0, v147
	v_not_b32_e32 v146, v147
	v_not_b32_e32 v147, v148
	v_dual_ashrrev_i32 v145, 31, v145 :: v_dual_bitop2_b32 v132, s14, v132 bitop3:0x14
	v_dual_ashrrev_i32 v144, 31, v144 :: v_dual_bitop2_b32 v135, s15, v135 bitop3:0x14
	v_cmp_gt_i32_e64 s19, 0, v148
	s_delay_alu instid0(VALU_DEP_4)
	v_dual_ashrrev_i32 v146, 31, v146 :: v_dual_ashrrev_i32 v147, 31, v147
	v_not_b32_e32 v148, v133
	v_xor_b32_e32 v145, s17, v145
	v_bitop3_b32 v132, v132, v135, exec_lo bitop3:0x80
	v_not_b32_e32 v135, v149
	v_xor_b32_e32 v144, s16, v144
	v_xor_b32_e32 v146, s18, v146
	v_cmp_gt_i32_e64 s14, 0, v149
	v_cmp_gt_i32_e64 s15, 0, v133
	v_dual_ashrrev_i32 v135, 31, v135 :: v_dual_ashrrev_i32 v133, 31, v148
	s_set_vgpr_msb 0                        ;  msbs: dst=0 src0=0 src1=0 src2=0
	v_bitop3_b32 v132, v132, v145, v144 bitop3:0x80
	v_lshl_add_u32 v134, v134, 2, v12
	v_xor_b32_e32 v147, s19, v147
	v_xor_b32_e32 v135, s14, v135
	v_xor_b32_e32 v133, s15, v133
	s_delay_alu instid0(VALU_DEP_3) | instskip(SKIP_3) | instid1(VALU_DEP_1)
	v_bitop3_b32 v144, v132, v147, v146 bitop3:0x80
	ds_load_b32 v132, v134 offset:32
	v_add_nc_u32_e32 v134, 32, v134
	; wave barrier
	v_bitop3_b32 v135, v144, v133, v135 bitop3:0x80
	v_mbcnt_lo_u32_b32 v133, v135, 0
	v_cmp_ne_u32_e64 s15, 0, v135
	s_delay_alu instid0(VALU_DEP_2) | instskip(SKIP_1) | instid1(SALU_CYCLE_1)
	v_cmp_eq_u32_e64 s14, 0, v133
	s_and_b32 s15, s15, s14
	s_and_saveexec_b32 s14, s15
	s_cbranch_execz .LBB83_74
; %bb.73:                               ;   in Loop: Header=BB83_56 Depth=1
	s_wait_dscnt 0x0
	v_bcnt_u32_b32 v135, v135, v132
	ds_store_b32 v134, v135
.LBB83_74:                              ;   in Loop: Header=BB83_56 Depth=1
	s_or_b32 exec_lo, exec_lo, s14
	v_bfe_u32 v135, v54, 8, 8
	; wave barrier
	s_delay_alu instid0(VALU_DEP_1) | instskip(NEXT) | instid1(VALU_DEP_1)
	v_lshrrev_b32_e32 v135, v10, v135
	v_and_b32_e32 v144, v135, v102
	s_delay_alu instid0(VALU_DEP_1) | instskip(SKIP_2) | instid1(VALU_DEP_3)
	v_lshlrev_b32_e32 v147, 30, v144
	v_bitop3_b32 v135, v135, 1, v102 bitop3:0x80
	v_lshlrev_b32_e32 v148, 29, v144
	v_cmp_gt_i32_e64 s15, 0, v147
	s_delay_alu instid0(VALU_DEP_3) | instskip(NEXT) | instid1(VALU_DEP_1)
	v_add_co_u32 v135, s14, v135, -1
	v_cndmask_b32_e64 v146, 0, 1, s14
	s_delay_alu instid0(VALU_DEP_1) | instskip(SKIP_2) | instid1(VALU_DEP_2)
	v_cmp_ne_u32_e64 s14, 0, v146
	v_not_b32_e32 v146, v147
	v_not_b32_e32 v147, v148
	v_dual_ashrrev_i32 v146, 31, v146 :: v_dual_bitop2_b32 v135, s14, v135 bitop3:0x14
	s_delay_alu instid0(VALU_DEP_2)
	v_dual_ashrrev_i32 v147, 31, v147 :: v_dual_lshlrev_b32 v149, 28, v144
	v_dual_lshlrev_b32 v150, 27, v144 :: v_dual_lshlrev_b32 v151, 26, v144
	v_cmp_gt_i32_e64 s16, 0, v148
	s_set_vgpr_msb 16                       ;  msbs: dst=0 src0=0 src1=0 src2=1
	v_lshl_add_u32 v145, v144, 3, v27 /*v283*/
	v_not_b32_e32 v148, v149
	v_dual_lshlrev_b32 v160, 25, v144 :: v_dual_lshlrev_b32 v144, 24, v144
	v_cmp_gt_i32_e64 s17, 0, v149
	v_cmp_gt_i32_e64 s18, 0, v150
	v_not_b32_e32 v149, v150
	v_not_b32_e32 v150, v151
	v_dual_ashrrev_i32 v148, 31, v148 :: v_dual_bitop2_b32 v146, s15, v146 bitop3:0x14
	v_cmp_gt_i32_e64 s19, 0, v151
	s_delay_alu instid0(VALU_DEP_3) | instskip(SKIP_1) | instid1(VALU_DEP_4)
	v_dual_ashrrev_i32 v149, 31, v149 :: v_dual_ashrrev_i32 v150, 31, v150
	v_not_b32_e32 v151, v144
	v_xor_b32_e32 v148, s17, v148
	v_bitop3_b32 v135, v135, v146, exec_lo bitop3:0x80
	v_not_b32_e32 v146, v160
	v_xor_b32_e32 v147, s16, v147
	v_xor_b32_e32 v149, s18, v149
	v_cmp_gt_i32_e64 s14, 0, v160
	v_cmp_gt_i32_e64 s15, 0, v144
	v_dual_ashrrev_i32 v146, 31, v146 :: v_dual_ashrrev_i32 v144, 31, v151
	s_set_vgpr_msb 0                        ;  msbs: dst=0 src0=0 src1=0 src2=0
	v_bitop3_b32 v135, v135, v148, v147 bitop3:0x80
	v_lshl_add_u32 v145, v145, 2, v12
	v_xor_b32_e32 v150, s19, v150
	v_xor_b32_e32 v146, s14, v146
	;; [unrolled: 1-line block ×3, first 2 shown]
	s_delay_alu instid0(VALU_DEP_3) | instskip(SKIP_3) | instid1(VALU_DEP_1)
	v_bitop3_b32 v147, v135, v150, v149 bitop3:0x80
	ds_load_b32 v135, v145 offset:32
	v_add_nc_u32_e32 v145, 32, v145
	; wave barrier
	v_bitop3_b32 v146, v147, v144, v146 bitop3:0x80
	v_mbcnt_lo_u32_b32 v144, v146, 0
	v_cmp_ne_u32_e64 s15, 0, v146
	s_delay_alu instid0(VALU_DEP_2) | instskip(SKIP_1) | instid1(SALU_CYCLE_1)
	v_cmp_eq_u32_e64 s14, 0, v144
	s_and_b32 s15, s15, s14
	s_and_saveexec_b32 s14, s15
	s_cbranch_execz .LBB83_76
; %bb.75:                               ;   in Loop: Header=BB83_56 Depth=1
	s_wait_dscnt 0x0
	v_bcnt_u32_b32 v146, v146, v135
	ds_store_b32 v145, v146
.LBB83_76:                              ;   in Loop: Header=BB83_56 Depth=1
	s_or_b32 exec_lo, exec_lo, s14
	v_bfe_u32 v146, v54, 16, 8
	; wave barrier
	s_delay_alu instid0(VALU_DEP_1) | instskip(NEXT) | instid1(VALU_DEP_1)
	v_lshrrev_b32_e32 v146, v10, v146
	v_and_b32_e32 v147, v146, v102
	s_delay_alu instid0(VALU_DEP_1) | instskip(SKIP_1) | instid1(VALU_DEP_2)
	v_lshlrev_b32_e32 v150, 30, v147
	v_bitop3_b32 v146, v146, 1, v102 bitop3:0x80
	v_cmp_gt_i32_e64 s15, 0, v150
	s_delay_alu instid0(VALU_DEP_2) | instskip(NEXT) | instid1(VALU_DEP_1)
	v_add_co_u32 v146, s14, v146, -1
	v_cndmask_b32_e64 v149, 0, 1, s14
	s_delay_alu instid0(VALU_DEP_1) | instskip(SKIP_1) | instid1(VALU_DEP_1)
	v_cmp_ne_u32_e64 s14, 0, v149
	v_not_b32_e32 v149, v150
	v_dual_ashrrev_i32 v149, 31, v149 :: v_dual_lshlrev_b32 v151, 29, v147
	v_dual_lshlrev_b32 v160, 28, v147 :: v_dual_lshlrev_b32 v161, 27, v147
	v_lshlrev_b32_e32 v162, 26, v147
	s_set_vgpr_msb 16                       ;  msbs: dst=0 src0=0 src1=0 src2=1
	v_lshl_add_u32 v148, v147, 3, v27 /*v283*/
	v_cmp_gt_i32_e64 s16, 0, v151
	v_not_b32_e32 v150, v151
	v_not_b32_e32 v151, v160
	v_dual_lshlrev_b32 v163, 25, v147 :: v_dual_lshlrev_b32 v147, 24, v147
	v_cmp_gt_i32_e64 s17, 0, v160
	v_cmp_gt_i32_e64 s18, 0, v161
	v_not_b32_e32 v160, v161
	v_not_b32_e32 v161, v162
	v_dual_ashrrev_i32 v151, 31, v151 :: v_dual_bitop2_b32 v146, s14, v146 bitop3:0x14
	v_dual_ashrrev_i32 v150, 31, v150 :: v_dual_bitop2_b32 v149, s15, v149 bitop3:0x14
	v_cmp_gt_i32_e64 s19, 0, v162
	s_delay_alu instid0(VALU_DEP_4)
	v_dual_ashrrev_i32 v160, 31, v160 :: v_dual_ashrrev_i32 v161, 31, v161
	v_not_b32_e32 v162, v147
	v_xor_b32_e32 v151, s17, v151
	v_bitop3_b32 v146, v146, v149, exec_lo bitop3:0x80
	v_not_b32_e32 v149, v163
	v_xor_b32_e32 v150, s16, v150
	v_xor_b32_e32 v160, s18, v160
	v_cmp_gt_i32_e64 s14, 0, v163
	v_cmp_gt_i32_e64 s15, 0, v147
	v_dual_ashrrev_i32 v149, 31, v149 :: v_dual_ashrrev_i32 v147, 31, v162
	s_set_vgpr_msb 0                        ;  msbs: dst=0 src0=0 src1=0 src2=0
	v_bitop3_b32 v146, v146, v151, v150 bitop3:0x80
	v_lshl_add_u32 v148, v148, 2, v12
	v_xor_b32_e32 v161, s19, v161
	v_xor_b32_e32 v149, s14, v149
	;; [unrolled: 1-line block ×3, first 2 shown]
	s_delay_alu instid0(VALU_DEP_3) | instskip(SKIP_3) | instid1(VALU_DEP_1)
	v_bitop3_b32 v150, v146, v161, v160 bitop3:0x80
	ds_load_b32 v146, v148 offset:32
	v_add_nc_u32_e32 v148, 32, v148
	; wave barrier
	v_bitop3_b32 v149, v150, v147, v149 bitop3:0x80
	v_mbcnt_lo_u32_b32 v147, v149, 0
	v_cmp_ne_u32_e64 s15, 0, v149
	s_delay_alu instid0(VALU_DEP_2) | instskip(SKIP_1) | instid1(SALU_CYCLE_1)
	v_cmp_eq_u32_e64 s14, 0, v147
	s_and_b32 s15, s15, s14
	s_and_saveexec_b32 s14, s15
	s_cbranch_execz .LBB83_78
; %bb.77:                               ;   in Loop: Header=BB83_56 Depth=1
	s_wait_dscnt 0x0
	v_bcnt_u32_b32 v149, v149, v146
	ds_store_b32 v148, v149
.LBB83_78:                              ;   in Loop: Header=BB83_56 Depth=1
	s_or_b32 exec_lo, exec_lo, s14
	v_alignbit_b32 v149, v55, v54, 24
	; wave barrier
	s_delay_alu instid0(VALU_DEP_1) | instskip(NEXT) | instid1(VALU_DEP_1)
	v_and_b32_e32 v149, 0xff, v149
	v_lshrrev_b32_e32 v149, v10, v149
	s_delay_alu instid0(VALU_DEP_1) | instskip(NEXT) | instid1(VALU_DEP_1)
	v_and_b32_e32 v150, v149, v102
	v_lshlrev_b32_e32 v161, 30, v150
	v_bitop3_b32 v149, v149, 1, v102 bitop3:0x80
	s_delay_alu instid0(VALU_DEP_2) | instskip(NEXT) | instid1(VALU_DEP_2)
	v_cmp_gt_i32_e64 s15, 0, v161
	v_add_co_u32 v149, s14, v149, -1
	s_delay_alu instid0(VALU_DEP_1) | instskip(NEXT) | instid1(VALU_DEP_1)
	v_cndmask_b32_e64 v160, 0, 1, s14
	v_cmp_ne_u32_e64 s14, 0, v160
	v_not_b32_e32 v160, v161
	s_delay_alu instid0(VALU_DEP_1)
	v_dual_ashrrev_i32 v160, 31, v160 :: v_dual_lshlrev_b32 v162, 29, v150
	v_dual_lshlrev_b32 v163, 28, v150 :: v_dual_lshlrev_b32 v164, 27, v150
	v_lshlrev_b32_e32 v165, 26, v150
	s_set_vgpr_msb 16                       ;  msbs: dst=0 src0=0 src1=0 src2=1
	v_lshl_add_u32 v151, v150, 3, v27 /*v283*/
	v_cmp_gt_i32_e64 s16, 0, v162
	v_not_b32_e32 v161, v162
	v_not_b32_e32 v162, v163
	v_dual_lshlrev_b32 v166, 25, v150 :: v_dual_lshlrev_b32 v150, 24, v150
	v_cmp_gt_i32_e64 s17, 0, v163
	v_cmp_gt_i32_e64 s18, 0, v164
	v_not_b32_e32 v163, v164
	v_not_b32_e32 v164, v165
	v_dual_ashrrev_i32 v162, 31, v162 :: v_dual_bitop2_b32 v149, s14, v149 bitop3:0x14
	v_dual_ashrrev_i32 v161, 31, v161 :: v_dual_bitop2_b32 v160, s15, v160 bitop3:0x14
	v_cmp_gt_i32_e64 s19, 0, v165
	v_not_b32_e32 v165, v166
	v_cmp_gt_i32_e64 s21, 0, v150
	v_not_b32_e32 v150, v150
	v_dual_ashrrev_i32 v163, 31, v163 :: v_dual_ashrrev_i32 v164, 31, v164
	v_xor_b32_e32 v161, s16, v161
	v_xor_b32_e32 v162, s17, v162
	v_bitop3_b32 v149, v149, v160, exec_lo bitop3:0x80
	v_cmp_gt_i32_e64 s20, 0, v166
	v_dual_ashrrev_i32 v160, 31, v165 :: v_dual_ashrrev_i32 v150, 31, v150
	v_xor_b32_e32 v163, s18, v163
	s_set_vgpr_msb 0                        ;  msbs: dst=0 src0=0 src1=0 src2=0
	v_bitop3_b32 v149, v149, v162, v161 bitop3:0x80
	v_lshl_add_u32 v151, v151, 2, v12
	v_xor_b32_e32 v164, s19, v164
	v_xor_b32_e32 v160, s20, v160
	s_delay_alu instid0(VALU_DEP_3) | instskip(NEXT) | instid1(VALU_DEP_3)
	v_dual_add_nc_u32 v162, 32, v151 :: v_dual_bitop2_b32 v150, s21, v150 bitop3:0x14
	v_bitop3_b32 v161, v149, v164, v163 bitop3:0x80
	ds_load_b32 v149, v151 offset:32
	; wave barrier
	v_bitop3_b32 v150, v161, v150, v160 bitop3:0x80
	s_delay_alu instid0(VALU_DEP_1) | instskip(SKIP_1) | instid1(VALU_DEP_2)
	v_mbcnt_lo_u32_b32 v194, v150, 0
	v_cmp_ne_u32_e64 s15, 0, v150
	v_cmp_eq_u32_e64 s14, 0, v194
	s_and_b32 s15, s15, s14
	s_delay_alu instid0(SALU_CYCLE_1)
	s_and_saveexec_b32 s14, s15
	s_cbranch_execz .LBB83_80
; %bb.79:                               ;   in Loop: Header=BB83_56 Depth=1
	s_wait_dscnt 0x0
	v_bcnt_u32_b32 v150, v150, v149
	ds_store_b32 v162, v150
.LBB83_80:                              ;   in Loop: Header=BB83_56 Depth=1
	s_or_b32 exec_lo, exec_lo, s14
	v_and_b32_e32 v150, 0xff, v55
	; wave barrier
	s_delay_alu instid0(VALU_DEP_1) | instskip(NEXT) | instid1(VALU_DEP_1)
	v_lshrrev_b32_e32 v150, v10, v150
	v_and_b32_e32 v151, v150, v102
	s_delay_alu instid0(VALU_DEP_1) | instskip(SKIP_1) | instid1(VALU_DEP_2)
	v_lshlrev_b32_e32 v163, 30, v151
	v_bitop3_b32 v150, v150, 1, v102 bitop3:0x80
	v_cmp_gt_i32_e64 s15, 0, v163
	s_delay_alu instid0(VALU_DEP_2) | instskip(NEXT) | instid1(VALU_DEP_1)
	v_add_co_u32 v150, s14, v150, -1
	v_cndmask_b32_e64 v161, 0, 1, s14
	s_delay_alu instid0(VALU_DEP_1) | instskip(SKIP_1) | instid1(VALU_DEP_1)
	v_cmp_ne_u32_e64 s14, 0, v161
	v_not_b32_e32 v161, v163
	v_dual_ashrrev_i32 v161, 31, v161 :: v_dual_lshlrev_b32 v164, 29, v151
	v_dual_lshlrev_b32 v165, 28, v151 :: v_dual_lshlrev_b32 v166, 27, v151
	v_lshlrev_b32_e32 v167, 26, v151
	s_set_vgpr_msb 16                       ;  msbs: dst=0 src0=0 src1=0 src2=1
	v_lshl_add_u32 v160, v151, 3, v27 /*v283*/
	v_cmp_gt_i32_e64 s16, 0, v164
	v_not_b32_e32 v163, v164
	v_not_b32_e32 v164, v165
	v_dual_lshlrev_b32 v176, 25, v151 :: v_dual_lshlrev_b32 v151, 24, v151
	v_cmp_gt_i32_e64 s17, 0, v165
	v_cmp_gt_i32_e64 s18, 0, v166
	v_not_b32_e32 v165, v166
	v_not_b32_e32 v166, v167
	v_dual_ashrrev_i32 v163, 31, v163 :: v_dual_bitop2_b32 v150, s14, v150 bitop3:0x14
	v_dual_ashrrev_i32 v164, 31, v164 :: v_dual_bitop2_b32 v161, s15, v161 bitop3:0x14
	v_cmp_gt_i32_e64 s19, 0, v167
	s_delay_alu instid0(VALU_DEP_4) | instskip(SKIP_1) | instid1(VALU_DEP_4)
	v_dual_ashrrev_i32 v165, 31, v165 :: v_dual_ashrrev_i32 v166, 31, v166
	v_not_b32_e32 v167, v151
	v_xor_b32_e32 v164, s17, v164
	v_bitop3_b32 v150, v150, v161, exec_lo bitop3:0x80
	v_not_b32_e32 v161, v176
	v_xor_b32_e32 v163, s16, v163
	v_xor_b32_e32 v166, s19, v166
	v_cmp_gt_i32_e64 s14, 0, v176
	v_cmp_gt_i32_e64 s15, 0, v151
	v_dual_ashrrev_i32 v161, 31, v161 :: v_dual_ashrrev_i32 v151, 31, v167
	s_set_vgpr_msb 0                        ;  msbs: dst=0 src0=0 src1=0 src2=0
	v_bitop3_b32 v150, v150, v164, v163 bitop3:0x80
	v_lshl_add_u32 v160, v160, 2, v12
	v_xor_b32_e32 v165, s18, v165
	v_xor_b32_e32 v161, s14, v161
	s_delay_alu instid0(VALU_DEP_3) | instskip(NEXT) | instid1(VALU_DEP_3)
	v_dual_add_nc_u32 v164, 32, v160 :: v_dual_bitop2_b32 v151, s15, v151 bitop3:0x14
	v_bitop3_b32 v150, v150, v166, v165 bitop3:0x80
	ds_load_b32 v210, v160 offset:32
	; wave barrier
	v_bitop3_b32 v150, v150, v151, v161 bitop3:0x80
	s_delay_alu instid0(VALU_DEP_1) | instskip(SKIP_1) | instid1(VALU_DEP_2)
	v_mbcnt_lo_u32_b32 v212, v150, 0
	v_cmp_ne_u32_e64 s15, 0, v150
	v_cmp_eq_u32_e64 s14, 0, v212
	s_and_b32 s15, s15, s14
	s_delay_alu instid0(SALU_CYCLE_1)
	s_and_saveexec_b32 s14, s15
	s_cbranch_execz .LBB83_82
; %bb.81:                               ;   in Loop: Header=BB83_56 Depth=1
	s_wait_dscnt 0x0
	v_bcnt_u32_b32 v150, v150, v210
	ds_store_b32 v164, v150
.LBB83_82:                              ;   in Loop: Header=BB83_56 Depth=1
	s_or_b32 exec_lo, exec_lo, s14
	v_bfe_u32 v150, v55, 8, 8
	; wave barrier
	s_delay_alu instid0(VALU_DEP_1) | instskip(NEXT) | instid1(VALU_DEP_1)
	v_lshrrev_b32_e32 v150, v10, v150
	v_and_b32_e32 v151, v150, v102
	s_delay_alu instid0(VALU_DEP_1) | instskip(SKIP_1) | instid1(VALU_DEP_2)
	v_lshlrev_b32_e32 v163, 30, v151
	v_bitop3_b32 v150, v150, 1, v102 bitop3:0x80
	v_cmp_gt_i32_e64 s15, 0, v163
	s_delay_alu instid0(VALU_DEP_2) | instskip(NEXT) | instid1(VALU_DEP_1)
	v_add_co_u32 v150, s14, v150, -1
	v_cndmask_b32_e64 v161, 0, 1, s14
	s_delay_alu instid0(VALU_DEP_1) | instskip(SKIP_1) | instid1(VALU_DEP_1)
	v_cmp_ne_u32_e64 s14, 0, v161
	v_not_b32_e32 v161, v163
	v_dual_ashrrev_i32 v161, 31, v161 :: v_dual_lshlrev_b32 v165, 29, v151
	v_dual_lshlrev_b32 v166, 28, v151 :: v_dual_lshlrev_b32 v167, 27, v151
	v_lshlrev_b32_e32 v176, 26, v151
	s_set_vgpr_msb 16                       ;  msbs: dst=0 src0=0 src1=0 src2=1
	v_lshl_add_u32 v160, v151, 3, v27 /*v283*/
	v_cmp_gt_i32_e64 s16, 0, v165
	v_not_b32_e32 v163, v165
	v_not_b32_e32 v165, v166
	v_dual_lshlrev_b32 v177, 25, v151 :: v_dual_lshlrev_b32 v151, 24, v151
	v_cmp_gt_i32_e64 s17, 0, v166
	v_cmp_gt_i32_e64 s18, 0, v167
	v_not_b32_e32 v166, v167
	v_not_b32_e32 v167, v176
	v_dual_ashrrev_i32 v163, 31, v163 :: v_dual_bitop2_b32 v150, s14, v150 bitop3:0x14
	s_delay_alu instid0(VALU_DEP_3) | instskip(NEXT) | instid1(VALU_DEP_3)
	v_dual_ashrrev_i32 v165, 31, v165 :: v_dual_ashrrev_i32 v166, 31, v166
	v_dual_ashrrev_i32 v167, 31, v167 :: v_dual_bitop2_b32 v161, s15, v161 bitop3:0x14
	v_cmp_gt_i32_e64 s19, 0, v176
	v_not_b32_e32 v176, v151
	s_delay_alu instid0(VALU_DEP_4) | instskip(NEXT) | instid1(VALU_DEP_4)
	v_xor_b32_e32 v165, s17, v165
	v_bitop3_b32 v150, v150, v161, exec_lo bitop3:0x80
	v_not_b32_e32 v161, v177
	v_xor_b32_e32 v163, s16, v163
	v_xor_b32_e32 v166, s18, v166
	v_cmp_gt_i32_e64 s14, 0, v177
	v_cmp_gt_i32_e64 s15, 0, v151
	v_dual_ashrrev_i32 v161, 31, v161 :: v_dual_ashrrev_i32 v151, 31, v176
	s_set_vgpr_msb 0                        ;  msbs: dst=0 src0=0 src1=0 src2=0
	v_bitop3_b32 v150, v150, v165, v163 bitop3:0x80
	v_lshl_add_u32 v160, v160, 2, v12
	v_xor_b32_e32 v167, s19, v167
	v_xor_b32_e32 v161, s14, v161
	;; [unrolled: 1-line block ×3, first 2 shown]
	ds_load_b32 v214, v160 offset:32
	v_bitop3_b32 v150, v150, v167, v166 bitop3:0x80
	v_add_nc_u32_e32 v166, 32, v160
	; wave barrier
	s_delay_alu instid0(VALU_DEP_2) | instskip(NEXT) | instid1(VALU_DEP_1)
	v_bitop3_b32 v150, v150, v151, v161 bitop3:0x80
	v_mbcnt_lo_u32_b32 v224, v150, 0
	v_cmp_ne_u32_e64 s15, 0, v150
	s_delay_alu instid0(VALU_DEP_2) | instskip(SKIP_1) | instid1(SALU_CYCLE_1)
	v_cmp_eq_u32_e64 s14, 0, v224
	s_and_b32 s15, s15, s14
	s_and_saveexec_b32 s14, s15
	s_cbranch_execz .LBB83_84
; %bb.83:                               ;   in Loop: Header=BB83_56 Depth=1
	s_wait_dscnt 0x0
	v_bcnt_u32_b32 v150, v150, v214
	ds_store_b32 v166, v150
.LBB83_84:                              ;   in Loop: Header=BB83_56 Depth=1
	s_or_b32 exec_lo, exec_lo, s14
	v_bfe_u32 v150, v55, 16, 8
	; wave barrier
	s_delay_alu instid0(VALU_DEP_1) | instskip(NEXT) | instid1(VALU_DEP_1)
	v_lshrrev_b32_e32 v150, v10, v150
	v_and_b32_e32 v151, v150, v102
	s_delay_alu instid0(VALU_DEP_1) | instskip(SKIP_1) | instid1(VALU_DEP_2)
	v_lshlrev_b32_e32 v163, 30, v151
	v_bitop3_b32 v150, v150, 1, v102 bitop3:0x80
	v_cmp_gt_i32_e64 s15, 0, v163
	s_delay_alu instid0(VALU_DEP_2) | instskip(NEXT) | instid1(VALU_DEP_1)
	v_add_co_u32 v150, s14, v150, -1
	v_cndmask_b32_e64 v161, 0, 1, s14
	s_delay_alu instid0(VALU_DEP_1) | instskip(SKIP_1) | instid1(VALU_DEP_1)
	v_cmp_ne_u32_e64 s14, 0, v161
	v_not_b32_e32 v161, v163
	v_dual_ashrrev_i32 v161, 31, v161 :: v_dual_lshlrev_b32 v165, 29, v151
	v_dual_lshlrev_b32 v167, 28, v151 :: v_dual_lshlrev_b32 v176, 27, v151
	v_lshlrev_b32_e32 v177, 26, v151
	s_set_vgpr_msb 16                       ;  msbs: dst=0 src0=0 src1=0 src2=1
	v_lshl_add_u32 v160, v151, 3, v27 /*v283*/
	v_cmp_gt_i32_e64 s16, 0, v165
	v_not_b32_e32 v163, v165
	v_not_b32_e32 v165, v167
	v_dual_lshlrev_b32 v178, 25, v151 :: v_dual_lshlrev_b32 v151, 24, v151
	v_cmp_gt_i32_e64 s17, 0, v167
	v_cmp_gt_i32_e64 s18, 0, v176
	v_not_b32_e32 v167, v176
	v_not_b32_e32 v176, v177
	v_dual_ashrrev_i32 v163, 31, v163 :: v_dual_bitop2_b32 v150, s14, v150 bitop3:0x14
	s_delay_alu instid0(VALU_DEP_3) | instskip(NEXT) | instid1(VALU_DEP_3)
	v_dual_ashrrev_i32 v165, 31, v165 :: v_dual_ashrrev_i32 v167, 31, v167
	v_dual_ashrrev_i32 v176, 31, v176 :: v_dual_bitop2_b32 v161, s15, v161 bitop3:0x14
	v_cmp_gt_i32_e64 s19, 0, v177
	v_not_b32_e32 v177, v151
	s_set_vgpr_msb 0                        ;  msbs: dst=0 src0=0 src1=0 src2=0
	v_lshl_add_u32 v160, v160, 2, v12
	v_xor_b32_e32 v165, s17, v165
	v_bitop3_b32 v150, v150, v161, exec_lo bitop3:0x80
	v_not_b32_e32 v161, v178
	v_xor_b32_e32 v163, s16, v163
	v_xor_b32_e32 v167, s18, v167
	;; [unrolled: 1-line block ×3, first 2 shown]
	v_cmp_gt_i32_e64 s14, 0, v178
	v_ashrrev_i32_e32 v161, 31, v161
	v_bitop3_b32 v150, v150, v165, v163 bitop3:0x80
	v_cmp_gt_i32_e64 s15, 0, v151
	v_ashrrev_i32_e32 v151, 31, v177
	ds_load_b32 v226, v160 offset:32
	v_xor_b32_e32 v161, s14, v161
	v_bitop3_b32 v150, v150, v176, v167 bitop3:0x80
	v_dual_add_nc_u32 v176, 32, v160 :: v_dual_bitop2_b32 v151, s15, v151 bitop3:0x14
	; wave barrier
	s_delay_alu instid0(VALU_DEP_1) | instskip(NEXT) | instid1(VALU_DEP_1)
	v_bitop3_b32 v150, v150, v151, v161 bitop3:0x80
	v_mbcnt_lo_u32_b32 v227, v150, 0
	v_cmp_ne_u32_e64 s15, 0, v150
	s_delay_alu instid0(VALU_DEP_2) | instskip(SKIP_1) | instid1(SALU_CYCLE_1)
	v_cmp_eq_u32_e64 s14, 0, v227
	s_and_b32 s15, s15, s14
	s_and_saveexec_b32 s14, s15
	s_cbranch_execz .LBB83_86
; %bb.85:                               ;   in Loop: Header=BB83_56 Depth=1
	s_wait_dscnt 0x0
	v_bcnt_u32_b32 v150, v150, v226
	ds_store_b32 v176, v150
.LBB83_86:                              ;   in Loop: Header=BB83_56 Depth=1
	s_or_b32 exec_lo, exec_lo, s14
	s_set_vgpr_msb 64                       ;  msbs: dst=1 src0=0 src1=0 src2=0
	v_lshrrev_b32_e32 v52 /*v308*/, 24, v55
	; wave barrier
	s_set_vgpr_msb 4                        ;  msbs: dst=0 src0=0 src1=1 src2=0
	s_delay_alu instid0(VALU_DEP_1) | instskip(SKIP_1) | instid1(VALU_DEP_1)
	v_lshrrev_b32_e32 v150, v10, v52 /*v308*/
	s_set_vgpr_msb 0                        ;  msbs: dst=0 src0=0 src1=0 src2=0
	v_and_b32_e32 v151, v150, v102
	v_bitop3_b32 v150, v150, 1, v102 bitop3:0x80
	s_delay_alu instid0(VALU_DEP_2) | instskip(NEXT) | instid1(VALU_DEP_2)
	v_lshlrev_b32_e32 v163, 30, v151
	v_add_co_u32 v150, s14, v150, -1
	s_delay_alu instid0(VALU_DEP_1) | instskip(NEXT) | instid1(VALU_DEP_1)
	v_cndmask_b32_e64 v161, 0, 1, s14
	v_cmp_ne_u32_e64 s14, 0, v161
	s_delay_alu instid0(VALU_DEP_4) | instskip(NEXT) | instid1(VALU_DEP_1)
	v_not_b32_e32 v161, v163
	v_dual_ashrrev_i32 v161, 31, v161 :: v_dual_bitop2_b32 v150, s14, v150 bitop3:0x14
	v_dual_lshlrev_b32 v165, 29, v151 :: v_dual_lshlrev_b32 v167, 28, v151
	v_dual_lshlrev_b32 v177, 27, v151 :: v_dual_lshlrev_b32 v178, 26, v151
	v_lshlrev_b32_e32 v179, 25, v151
	v_cmp_gt_i32_e64 s15, 0, v163
	s_delay_alu instid0(VALU_DEP_4)
	v_cmp_gt_i32_e64 s16, 0, v165
	v_not_b32_e32 v163, v165
	v_not_b32_e32 v165, v167
	s_set_vgpr_msb 16                       ;  msbs: dst=0 src0=0 src1=0 src2=1
	v_lshl_add_u32 v160, v151, 3, v27 /*v283*/
	v_lshlrev_b32_e32 v151, 24, v151
	v_cmp_gt_i32_e64 s17, 0, v167
	v_cmp_gt_i32_e64 s18, 0, v177
	v_not_b32_e32 v167, v177
	v_not_b32_e32 v177, v178
	v_dual_ashrrev_i32 v163, 31, v163 :: v_dual_ashrrev_i32 v165, 31, v165
	s_delay_alu instid0(VALU_DEP_3) | instskip(SKIP_1) | instid1(VALU_DEP_3)
	v_dual_ashrrev_i32 v167, 31, v167 :: v_dual_bitop2_b32 v161, s15, v161 bitop3:0x14
	v_cmp_gt_i32_e64 s19, 0, v178
	v_dual_ashrrev_i32 v177, 31, v177 :: v_dual_bitop2_b32 v163, s16, v163 bitop3:0x14
	s_delay_alu instid0(VALU_DEP_3)
	v_bitop3_b32 v150, v150, v161, exec_lo bitop3:0x80
	v_not_b32_e32 v161, v179
	v_not_b32_e32 v178, v151
	v_xor_b32_e32 v165, s17, v165
	v_xor_b32_e32 v167, s18, v167
	v_cmp_gt_i32_e64 s14, 0, v179
	v_ashrrev_i32_e32 v161, 31, v161
	v_cmp_gt_i32_e64 s15, 0, v151
	v_ashrrev_i32_e32 v151, 31, v178
	s_set_vgpr_msb 0                        ;  msbs: dst=0 src0=0 src1=0 src2=0
	v_bitop3_b32 v150, v150, v165, v163 bitop3:0x80
	v_lshl_add_u32 v160, v160, 2, v12
	v_xor_b32_e32 v177, s19, v177
	v_xor_b32_e32 v161, s14, v161
	s_delay_alu instid0(VALU_DEP_3) | instskip(NEXT) | instid1(VALU_DEP_3)
	v_dual_add_nc_u32 v178, 32, v160 :: v_dual_bitop2_b32 v151, s15, v151 bitop3:0x14
	v_bitop3_b32 v150, v150, v177, v167 bitop3:0x80
	ds_load_b32 v228, v160 offset:32
	; wave barrier
	v_bitop3_b32 v150, v150, v151, v161 bitop3:0x80
	s_delay_alu instid0(VALU_DEP_1) | instskip(SKIP_1) | instid1(VALU_DEP_2)
	v_mbcnt_lo_u32_b32 v229, v150, 0
	v_cmp_ne_u32_e64 s15, 0, v150
	v_cmp_eq_u32_e64 s14, 0, v229
	s_and_b32 s15, s15, s14
	s_delay_alu instid0(SALU_CYCLE_1)
	s_and_saveexec_b32 s14, s15
	s_cbranch_execz .LBB83_88
; %bb.87:                               ;   in Loop: Header=BB83_56 Depth=1
	s_wait_dscnt 0x0
	v_bcnt_u32_b32 v150, v150, v228
	ds_store_b32 v178, v150
.LBB83_88:                              ;   in Loop: Header=BB83_56 Depth=1
	s_or_b32 exec_lo, exec_lo, s14
	v_lshrrev_b32_e32 v114, v10, v114
	; wave barrier
	s_delay_alu instid0(VALU_DEP_1) | instskip(SKIP_1) | instid1(VALU_DEP_2)
	v_and_b32_e32 v150, v114, v102
	v_bitop3_b32 v102, v114, 1, v102 bitop3:0x80
	v_dual_lshlrev_b32 v160, 30, v150 :: v_dual_lshlrev_b32 v161, 29, v150
	s_delay_alu instid0(VALU_DEP_2) | instskip(NEXT) | instid1(VALU_DEP_1)
	v_add_co_u32 v102, s14, v102, -1
	v_cndmask_b32_e64 v151, 0, 1, s14
	s_delay_alu instid0(VALU_DEP_3) | instskip(NEXT) | instid1(VALU_DEP_4)
	v_cmp_gt_i32_e64 s15, 0, v160
	v_cmp_gt_i32_e64 s16, 0, v161
	s_delay_alu instid0(VALU_DEP_3) | instskip(SKIP_2) | instid1(VALU_DEP_1)
	v_cmp_ne_u32_e64 s14, 0, v151
	v_not_b32_e32 v151, v160
	v_not_b32_e32 v160, v161
	v_dual_ashrrev_i32 v151, 31, v151 :: v_dual_ashrrev_i32 v160, 31, v160
	v_dual_lshlrev_b32 v163, 28, v150 :: v_dual_lshlrev_b32 v165, 27, v150
	s_set_vgpr_msb 16                       ;  msbs: dst=0 src0=0 src1=0 src2=1
	v_lshl_add_u32 v114, v150, 3, v27 /*v283*/
	v_dual_lshlrev_b32 v167, 26, v150 :: v_dual_lshlrev_b32 v177, 25, v150
	s_delay_alu instid0(VALU_DEP_3)
	v_not_b32_e32 v161, v163
	v_lshlrev_b32_e32 v150, 24, v150
	v_cmp_gt_i32_e64 s17, 0, v163
	v_xor_b32_e32 v151, s15, v151
	v_not_b32_e32 v163, v165
	v_dual_ashrrev_i32 v161, 31, v161 :: v_dual_bitop2_b32 v102, s14, v102 bitop3:0x14
	v_not_b32_e32 v179, v167
	v_xor_b32_e32 v160, s16, v160
	v_cmp_gt_i32_e64 s14, 0, v165
	s_delay_alu instid0(VALU_DEP_4)
	v_bitop3_b32 v102, v102, v151, exec_lo bitop3:0x80
	v_dual_ashrrev_i32 v151, 31, v163 :: v_dual_bitop2_b32 v161, s17, v161 bitop3:0x14
	v_cmp_gt_i32_e64 s15, 0, v167
	v_ashrrev_i32_e32 v163, 31, v179
	s_set_vgpr_msb 0                        ;  msbs: dst=0 src0=0 src1=0 src2=0
	v_bitop3_b32 v102, v102, v161, v160 bitop3:0x80
	v_not_b32_e32 v160, v177
	v_not_b32_e32 v161, v150
	v_xor_b32_e32 v151, s14, v151
	v_xor_b32_e32 v163, s15, v163
	v_cmp_gt_i32_e64 s14, 0, v177
	v_ashrrev_i32_e32 v160, 31, v160
	v_cmp_gt_i32_e64 s15, 0, v150
	v_ashrrev_i32_e32 v150, 31, v161
	v_lshl_add_u32 v161, v114, 2, v12
	s_delay_alu instid0(VALU_DEP_1) | instskip(SKIP_4) | instid1(VALU_DEP_1)
	v_dual_add_nc_u32 v180, 32, v161 :: v_dual_bitop2_b32 v150, s15, v150 bitop3:0x14
	v_bitop3_b32 v114, v102, v163, v151 bitop3:0x80
	v_xor_b32_e32 v151, s14, v160
	ds_load_b32 v102, v161 offset:32
	; wave barrier
	v_bitop3_b32 v150, v114, v150, v151 bitop3:0x80
	v_mbcnt_lo_u32_b32 v114, v150, 0
	v_cmp_ne_u32_e64 s15, 0, v150
	s_delay_alu instid0(VALU_DEP_2) | instskip(SKIP_1) | instid1(SALU_CYCLE_1)
	v_cmp_eq_u32_e64 s14, 0, v114
	s_and_b32 s15, s15, s14
	s_and_saveexec_b32 s14, s15
	s_cbranch_execz .LBB83_90
; %bb.89:                               ;   in Loop: Header=BB83_56 Depth=1
	s_wait_dscnt 0x0
	v_bcnt_u32_b32 v150, v150, v102
	ds_store_b32 v180, v150
.LBB83_90:                              ;   in Loop: Header=BB83_56 Depth=1
	s_or_b32 exec_lo, exec_lo, s14
	; wave barrier
	s_wait_dscnt 0x0
	s_barrier_signal -1
	s_barrier_wait -1
	ds_load_b32 v151, v15
	ds_load_b32 v150, v39
	s_set_vgpr_msb 1                        ;  msbs: dst=0 src0=1 src1=0 src2=0
	ds_load_b32 v163, v21 /*v277*/
	ds_load_b32 v167, v22 /*v278*/
	;; [unrolled: 1-line block ×6, first 2 shown]
	s_wait_dscnt 0x6
	s_set_vgpr_msb 0                        ;  msbs: dst=0 src0=0 src1=0 src2=0
	v_add_nc_u32_e32 v161, v150, v151
	s_wait_dscnt 0x4
	s_delay_alu instid0(VALU_DEP_1) | instskip(SKIP_1) | instid1(VALU_DEP_1)
	v_add3_u32 v161, v161, v163, v167
	s_wait_dscnt 0x2
	v_add3_u32 v161, v161, v183, v192
	s_wait_dscnt 0x0
	s_delay_alu instid0(VALU_DEP_1) | instskip(NEXT) | instid1(VALU_DEP_1)
	v_add3_u32 v160, v161, v182, v160
	v_mov_b32_dpp v161, v160 row_shr:1 row_mask:0xf bank_mask:0xf
	s_delay_alu instid0(VALU_DEP_1) | instskip(NEXT) | instid1(VALU_DEP_1)
	v_cndmask_b32_e64 v161, v161, 0, vcc_lo
	v_add_nc_u32_e32 v160, v161, v160
	s_delay_alu instid0(VALU_DEP_1) | instskip(NEXT) | instid1(VALU_DEP_1)
	v_mov_b32_dpp v161, v160 row_shr:2 row_mask:0xf bank_mask:0xf
	v_cndmask_b32_e64 v161, 0, v161, s0
	s_delay_alu instid0(VALU_DEP_1) | instskip(NEXT) | instid1(VALU_DEP_1)
	v_add_nc_u32_e32 v160, v160, v161
	v_mov_b32_dpp v161, v160 row_shr:4 row_mask:0xf bank_mask:0xf
	s_delay_alu instid0(VALU_DEP_1) | instskip(NEXT) | instid1(VALU_DEP_1)
	v_cndmask_b32_e64 v161, 0, v161, s1
	v_add_nc_u32_e32 v160, v160, v161
	s_delay_alu instid0(VALU_DEP_1) | instskip(NEXT) | instid1(VALU_DEP_1)
	v_mov_b32_dpp v161, v160 row_shr:8 row_mask:0xf bank_mask:0xf
	v_cndmask_b32_e64 v161, 0, v161, s2
	s_delay_alu instid0(VALU_DEP_1) | instskip(SKIP_3) | instid1(VALU_DEP_1)
	v_add_nc_u32_e32 v160, v160, v161
	ds_swizzle_b32 v161, v160 offset:swizzle(BROADCAST,32,15)
	s_wait_dscnt 0x0
	v_cndmask_b32_e64 v161, v161, 0, s4
	v_add_nc_u32_e32 v160, v160, v161
	s_and_saveexec_b32 s14, s5
; %bb.91:                               ;   in Loop: Header=BB83_56 Depth=1
	ds_store_b32 v5, v160
; %bb.92:                               ;   in Loop: Header=BB83_56 Depth=1
	s_or_b32 exec_lo, exec_lo, s14
	s_wait_dscnt 0x0
	s_barrier_signal -1
	s_barrier_wait -1
	s_and_saveexec_b32 s14, s6
	s_cbranch_execz .LBB83_94
; %bb.93:                               ;   in Loop: Header=BB83_56 Depth=1
	ds_load_b32 v161, v17
	s_wait_dscnt 0x0
	v_mov_b32_dpp v165, v161 row_shr:1 row_mask:0xf bank_mask:0xf
	s_delay_alu instid0(VALU_DEP_1) | instskip(NEXT) | instid1(VALU_DEP_1)
	v_cndmask_b32_e64 v165, v165, 0, s11
	v_add_nc_u32_e32 v161, v165, v161
	s_delay_alu instid0(VALU_DEP_1) | instskip(NEXT) | instid1(VALU_DEP_1)
	v_mov_b32_dpp v165, v161 row_shr:2 row_mask:0xf bank_mask:0xf
	v_cndmask_b32_e64 v165, 0, v165, s12
	s_delay_alu instid0(VALU_DEP_1) | instskip(NEXT) | instid1(VALU_DEP_1)
	v_add_nc_u32_e32 v161, v161, v165
	v_mov_b32_dpp v165, v161 row_shr:4 row_mask:0xf bank_mask:0xf
	s_delay_alu instid0(VALU_DEP_1) | instskip(NEXT) | instid1(VALU_DEP_1)
	v_cndmask_b32_e64 v165, 0, v165, s13
	v_add_nc_u32_e32 v161, v161, v165
	ds_store_b32 v17, v161
.LBB83_94:                              ;   in Loop: Header=BB83_56 Depth=1
	s_or_b32 exec_lo, exec_lo, s14
	v_mov_b32_e32 v161, 0
	s_wait_dscnt 0x0
	s_barrier_signal -1
	s_barrier_wait -1
	s_and_saveexec_b32 s14, s7
; %bb.95:                               ;   in Loop: Header=BB83_56 Depth=1
	v_add_nc_u32_e32 v161, -4, v5
	ds_load_b32 v161, v161
; %bb.96:                               ;   in Loop: Header=BB83_56 Depth=1
	s_or_b32 exec_lo, exec_lo, s14
	s_wait_dscnt 0x0
	v_add_nc_u32_e32 v160, v161, v160
	v_dual_mov_b32 v177, v1 :: v_dual_mov_b32 v181, v1
	v_dual_mov_b32 v179, v1 :: v_dual_mov_b32 v193, v1
	s_set_vgpr_msb 1                        ;  msbs: dst=0 src0=1 src1=0 src2=0
	ds_bpermute_b32 v160, v28 /*v284*/, v160
	s_set_vgpr_msb 0                        ;  msbs: dst=0 src0=0 src1=0 src2=0
	v_dual_mov_b32 v199, v1 :: v_dual_mov_b32 v197, v1
	v_dual_mov_b32 v209, v1 :: v_dual_mov_b32 v211, v1
	v_mov_b32_e32 v195, v1
	s_set_vgpr_msb 64                       ;  msbs: dst=1 src0=0 src1=0 src2=0
	v_dual_mov_b32 v54 /*v310*/, v18 :: v_dual_lshrrev_b32 v55 /*v311*/, 8, v18
	v_dual_lshrrev_b32 v56 /*v312*/, 16, v18 :: v_dual_lshrrev_b32 v57 /*v313*/, 8, v19
	v_dual_lshrrev_b32 v58 /*v314*/, 16, v19 :: v_dual_lshrrev_b32 v53 /*v309*/, 16, v54
	s_mov_b32 s16, -1
	s_wait_dscnt 0x0
	s_set_vgpr_msb 0                        ;  msbs: dst=0 src0=0 src1=0 src2=0
	v_dual_mov_b32 v165, v1 :: v_dual_cndmask_b32 v160, v160, v161, s3
	s_delay_alu instid0(VALU_DEP_1) | instskip(SKIP_1) | instid1(VALU_DEP_2)
	v_cndmask_b32_e64 v196, v160, 0, s10
	v_lshrrev_b64 v[160:161], 24, v[18:19]
	v_dual_lshrrev_b32 v161, 8, v54 :: v_dual_add_nc_u32 v198, v196, v151
	s_delay_alu instid0(VALU_DEP_1)
	v_add_nc_u32_e32 v208, v198, v150
	v_lshrrev_b64 v[150:151], 24, v[54:55]
	v_dual_lshrrev_b32 v151, 8, v55 :: v_dual_add_nc_u32 v10, 8, v10
	ds_store_b32 v15, v196
	ds_store_b32 v39, v198
	s_set_vgpr_msb 1                        ;  msbs: dst=0 src0=1 src1=0 src2=0
	ds_store_b32 v21 /*v277*/, v208
	s_set_vgpr_msb 0                        ;  msbs: dst=0 src0=0 src1=0 src2=0
	v_dual_add_nc_u32 v213, v208, v163 :: v_dual_mov_b32 v163, v1
	v_cmp_lt_u32_e64 s14, v10, v11
	s_delay_alu instid0(VALU_DEP_2) | instskip(NEXT) | instid1(VALU_DEP_1)
	v_add_nc_u32_e32 v215, v213, v167
	v_dual_mov_b32 v167, v1 :: v_dual_add_nc_u32 v225, v215, v183
	v_mov_b32_e32 v183, v1
	s_delay_alu instid0(VALU_DEP_2) | instskip(NEXT) | instid1(VALU_DEP_1)
	v_add_nc_u32_e32 v192, v225, v192
	v_add_nc_u32_e32 v182, v192, v182
	s_set_vgpr_msb 1                        ;  msbs: dst=0 src0=1 src1=0 src2=0
	ds_store_b32 v22 /*v278*/, v213
	ds_store_b32 v23 /*v279*/, v215
	;; [unrolled: 1-line block ×5, first 2 shown]
	s_wait_dscnt 0x0
	s_barrier_signal -1
	s_barrier_wait -1
	s_set_vgpr_msb 0                        ;  msbs: dst=0 src0=0 src1=0 src2=0
	ds_load_b32 v84, v84
	ds_load_b32 v87, v87
	;; [unrolled: 1-line block ×17, first 2 shown]
	v_dual_mov_b32 v213, v1 :: v_dual_mov_b32 v215, v1
	s_wait_dscnt 0x10
	v_dual_mov_b32 v225, v1 :: v_dual_add_nc_u32 v0, v84, v0
	s_wait_dscnt 0xf
	v_add3_u32 v176, v86, v85, v87
	s_wait_dscnt 0xe
	v_add3_u32 v180, v97, v96, v98
	;; [unrolled: 2-line block ×16, first 2 shown]
	v_add_nc_u64_e32 v[226:227], v[12:13], v[0:1]
	v_add_nc_u64_e32 v[228:229], v[12:13], v[176:177]
	;; [unrolled: 1-line block ×7, first 2 shown]
	s_set_vgpr_msb 64                       ;  msbs: dst=1 src0=0 src1=0 src2=0
	v_add_nc_u64_e32 v[0:1] /*v[256:257]*/, v[12:13], v[198:199]
	v_add_nc_u64_e32 v[2:3] /*v[258:259]*/, v[12:13], v[166:167]
	;; [unrolled: 1-line block ×10, first 2 shown]
	s_set_vgpr_msb 0                        ;  msbs: dst=0 src0=0 src1=0 src2=0
	v_lshrrev_b32_e32 v165, 16, v55
                                        ; implicit-def: $vgpr163
                                        ; implicit-def: $vgpr179
                                        ; implicit-def: $vgpr177
                                        ; implicit-def: $vgpr167
                                        ; implicit-def: $vgpr84_vgpr85
                                        ; implicit-def: $vgpr86_vgpr87
                                        ; implicit-def: $vgpr96_vgpr97
                                        ; implicit-def: $vgpr98_vgpr99
                                        ; implicit-def: $vgpr100_vgpr101
                                        ; implicit-def: $vgpr102_vgpr103
                                        ; implicit-def: $vgpr112_vgpr113
                                        ; implicit-def: $vgpr114_vgpr115
                                        ; implicit-def: $vgpr116_vgpr117
                                        ; implicit-def: $vgpr130_vgpr131
                                        ; implicit-def: $vgpr132_vgpr133
                                        ; implicit-def: $vgpr134_vgpr135
                                        ; implicit-def: $vgpr118_vgpr119
                                        ; implicit-def: $vgpr128_vgpr129
                                        ; implicit-def: $vgpr144_vgpr145
                                        ; implicit-def: $vgpr146_vgpr147
                                        ; implicit-def: $vgpr148_vgpr149
	s_and_saveexec_b32 s15, s14
	s_cbranch_execz .LBB83_55
; %bb.97:                               ;   in Loop: Header=BB83_56 Depth=1
	v_dual_add_nc_u32 v84, 64, v4 :: v_dual_add_nc_u32 v85, 32, v4
	s_barrier_signal -1
	s_barrier_wait -1
	ds_store_b8 v226, v18
	s_set_vgpr_msb 4                        ;  msbs: dst=0 src0=0 src1=1 src2=0
	ds_store_b8 v228, v55 /*v311*/
	ds_store_b8 v230, v56 /*v312*/
	s_set_vgpr_msb 0                        ;  msbs: dst=0 src0=0 src1=0 src2=0
	ds_store_b8 v240, v160
	ds_store_b8 v242, v19
	s_set_vgpr_msb 4                        ;  msbs: dst=0 src0=0 src1=1 src2=0
	ds_store_b8 v244, v57 /*v313*/
	ds_store_b8 v246, v58 /*v314*/
	s_set_vgpr_msb 5                        ;  msbs: dst=0 src0=1 src1=1 src2=0
	ds_store_b8 v0 /*v256*/, v51 /*v307*/
	s_set_vgpr_msb 1                        ;  msbs: dst=0 src0=1 src1=0 src2=0
	ds_store_b8 v2 /*v258*/, v54
	ds_store_b8 v4 /*v260*/, v161
	s_set_vgpr_msb 5                        ;  msbs: dst=0 src0=1 src1=1 src2=0
	ds_store_b8 v6 /*v262*/, v53 /*v309*/
	s_set_vgpr_msb 1                        ;  msbs: dst=0 src0=1 src1=0 src2=0
	ds_store_b8 v8 /*v264*/, v150
	ds_store_b8 v10 /*v266*/, v55
	;; [unrolled: 1-line block ×4, first 2 shown]
	s_set_vgpr_msb 5                        ;  msbs: dst=0 src0=1 src1=1 src2=0
	ds_store_b8 v16 /*v272*/, v52 /*v308*/
	ds_store_b8 v18 /*v274*/, v50 /*v306*/
	s_set_vgpr_msb 1                        ;  msbs: dst=0 src0=1 src1=0 src2=0
	v_add_nc_u32_e32 v18, 0x60, v4
	s_wait_dscnt 0x0
	s_barrier_signal -1
	s_barrier_wait -1
	ds_load_u8 v163, v32 /*v288*/
	s_set_vgpr_msb 0                        ;  msbs: dst=0 src0=0 src1=0 src2=0
	ds_load_u8 v18, v18
	ds_load_u8 v144, v84
	v_add_nc_u32_e32 v84, 0xe0, v4
	v_add_nc_u32_e32 v86, 0xc0, v4
	;; [unrolled: 1-line block ×3, first 2 shown]
	ds_load_u8 v145, v85
	ds_load_u8 v146, v4
	;; [unrolled: 1-line block ×5, first 2 shown]
	v_add_nc_u32_e32 v84, 0x80, v4
	v_add_nc_u32_e32 v85, 0x160, v4
	;; [unrolled: 1-line block ×5, first 2 shown]
	ds_load_u8 v167, v84
	ds_load_u8 v177, v85
	;; [unrolled: 1-line block ×5, first 2 shown]
	s_set_vgpr_msb 1                        ;  msbs: dst=0 src0=1 src1=0 src2=0
	ds_load_u8 v193, v31 /*v287*/
	ds_load_u8 v195, v30 /*v286*/
	;; [unrolled: 1-line block ×3, first 2 shown]
	s_set_vgpr_msb 0                        ;  msbs: dst=0 src0=0 src1=0 src2=0
	v_mad_nc_u64_u32 v[84:85], v0, 7, v[226:227]
	v_mad_nc_u64_u32 v[86:87], v176, 7, v[228:229]
	;; [unrolled: 1-line block ×6, first 2 shown]
	v_add_nc_u32_e32 v85, 0x180, v4
	s_set_vgpr_msb 16                       ;  msbs: dst=0 src0=0 src1=0 src2=1
	v_mad_nc_u64_u32 v[112:113], v210, 7, v[10:11] /*v[266:267]*/
	v_mad_nc_u64_u32 v[114:115], v194, 7, v[12:13] /*v[268:269]*/
	v_mad_nc_u64_u32 v[116:117], v212, 7, v[14:15] /*v[270:271]*/
	v_mad_nc_u64_u32 v[118:119], v214, 7, v[16:17] /*v[272:273]*/
	ds_load_u8 v199, v85
	s_wait_dscnt 0x0
	s_barrier_signal -1
	s_barrier_wait -1
	ds_store_b64 v84, v[32:33]
	ds_store_b64 v86, v[52:53]
	;; [unrolled: 1-line block ×6, first 2 shown]
	s_set_vgpr_msb 0                        ;  msbs: dst=0 src0=0 src1=0 src2=0
	v_mad_nc_u64_u32 v[84:85], v192, 7, v[246:247]
	s_set_vgpr_msb 16                       ;  msbs: dst=0 src0=0 src1=0 src2=1
	v_mad_nc_u64_u32 v[86:87], v198, 7, v[0:1] /*v[256:257]*/
	v_mad_nc_u64_u32 v[96:97], v166, 7, v[2:3] /*v[258:259]*/
	;; [unrolled: 1-line block ×6, first 2 shown]
	ds_store_b64 v84, v[48:49]
	ds_store_b64 v86, v[36:37]
	;; [unrolled: 1-line block ×11, first 2 shown]
	s_wait_dscnt 0x0
	s_barrier_signal -1
	s_barrier_wait -1
	ds_load_b64 v[84:85], v16
	s_set_vgpr_msb 1                        ;  msbs: dst=0 src0=1 src1=0 src2=0
	ds_load_b64 v[86:87], v33 /*v289*/
	ds_load_b64 v[96:97], v34 /*v290*/
	;; [unrolled: 1-line block ×11, first 2 shown]
	s_set_vgpr_msb 0                        ;  msbs: dst=0 src0=0 src1=0 src2=0
	v_perm_b32 v209, v146, v145, 0xc0c0004
	s_set_vgpr_msb 1                        ;  msbs: dst=0 src0=1 src1=0 src2=0
	ds_load_b64 v[118:119], v44 /*v300*/
	s_set_vgpr_msb 0                        ;  msbs: dst=0 src0=0 src1=0 src2=0
	v_perm_b32 v18, v144, v18, 0xc0c0004
	v_perm_b32 v167, v167, v149, 0xc0c0004
	s_set_vgpr_msb 1                        ;  msbs: dst=0 src0=1 src1=0 src2=0
	ds_load_b64 v[128:129], v45 /*v301*/
	s_set_vgpr_msb 0                        ;  msbs: dst=0 src0=0 src1=0 src2=0
	v_perm_b32 v211, v148, v147, 0xc0c0004
	s_set_vgpr_msb 1                        ;  msbs: dst=0 src0=1 src1=0 src2=0
	ds_load_b64 v[144:145], v46 /*v302*/
	ds_load_b64 v[146:147], v47 /*v303*/
	;; [unrolled: 1-line block ×3, first 2 shown]
	s_set_vgpr_msb 0                        ;  msbs: dst=0 src0=0 src1=0 src2=0
	v_perm_b32 v181, v183, v181, 0xc0c0004
	v_perm_b32 v177, v179, v177, 0xc0c0004
	v_perm_b32 v179, v199, v197, 0xc0c0004
	v_perm_b32 v183, v195, v193, 0xc0c0004
	v_lshl_or_b32 v18, v18, 16, v209
	v_lshl_or_b32 v167, v211, 16, v167
	;; [unrolled: 1-line block ×3, first 2 shown]
	s_set_vgpr_msb 0x44                     ;  msbs: dst=1 src0=0 src1=1 src2=0
	v_add_nc_u32_e32 v49 /*v305*/, -8, v49 /*v305*/
	s_set_vgpr_msb 0                        ;  msbs: dst=0 src0=0 src1=0 src2=0
	v_lshl_or_b32 v179, v183, 16, v179
	s_xor_b32 s16, exec_lo, -1
	s_wait_dscnt 0x0
	s_barrier_signal -1
	s_barrier_wait -1
	s_branch .LBB83_55
.LBB83_98:
	s_or_b32 exec_lo, exec_lo, s26
	v_dual_add_nc_u32 v1, v12, v14 :: v_dual_mov_b32 v39, 0
	v_lshl_add_u32 v0, v0, 3, v12
	v_lshl_add_u32 v10, v176, 3, v12
	;; [unrolled: 1-line block ×3, first 2 shown]
	s_barrier_signal -1
	s_barrier_wait -1
	s_set_vgpr_msb 4                        ;  msbs: dst=0 src0=0 src1=1 src2=0
	ds_store_b8 v226, v54 /*v310*/
	ds_store_b8 v228, v55 /*v311*/
	;; [unrolled: 1-line block ×3, first 2 shown]
	s_set_vgpr_msb 0                        ;  msbs: dst=0 src0=0 src1=0 src2=0
	ds_store_b8 v240, v160
	ds_store_b8 v242, v19
	s_set_vgpr_msb 4                        ;  msbs: dst=0 src0=0 src1=1 src2=0
	ds_store_b8 v244, v57 /*v313*/
	ds_store_b8 v246, v58 /*v314*/
	s_set_vgpr_msb 5                        ;  msbs: dst=0 src0=1 src1=1 src2=0
	ds_store_b8 v0 /*v256*/, v51 /*v307*/
	s_set_vgpr_msb 1                        ;  msbs: dst=0 src0=1 src1=0 src2=0
	ds_store_b8 v2 /*v258*/, v54
	ds_store_b8 v4 /*v260*/, v161
	s_set_vgpr_msb 5                        ;  msbs: dst=0 src0=1 src1=1 src2=0
	ds_store_b8 v6 /*v262*/, v53 /*v309*/
	s_set_vgpr_msb 1                        ;  msbs: dst=0 src0=1 src1=0 src2=0
	ds_store_b8 v8 /*v264*/, v150
	ds_store_b8 v10 /*v266*/, v55
	;; [unrolled: 1-line block ×4, first 2 shown]
	s_set_vgpr_msb 5                        ;  msbs: dst=0 src0=1 src1=1 src2=0
	ds_store_b8 v16 /*v272*/, v52 /*v308*/
	ds_store_b8 v18 /*v274*/, v50 /*v306*/
	s_wait_dscnt 0x0
	s_barrier_signal -1
	s_barrier_wait -1
	s_set_vgpr_msb 0                        ;  msbs: dst=0 src0=0 src1=0 src2=0
	ds_load_u8 v112, v1
	ds_load_u8 v103, v1 offset:256
	ds_load_u8 v102, v1 offset:512
	;; [unrolled: 1-line block ×16, first 2 shown]
	s_wait_dscnt 0x0
	s_barrier_signal -1
	s_barrier_wait -1
	ds_store_b64 v0, v[32:33]
	ds_store_b64 v10, v[52:53]
	;; [unrolled: 1-line block ×3, first 2 shown]
	v_lshl_add_u32 v0, v162, 3, v12
	v_lshl_add_u32 v10, v164, 3, v12
	;; [unrolled: 1-line block ×5, first 2 shown]
	ds_store_b64 v0, v[24:25]
	ds_store_b64 v10, v[22:23]
	;; [unrolled: 1-line block ×5, first 2 shown]
	v_lshl_add_u32 v0, v166, 3, v12
	v_lshl_add_u32 v10, v182, 3, v12
	;; [unrolled: 1-line block ×5, first 2 shown]
	ds_store_b64 v0, v[30:31]
	ds_store_b64 v10, v[28:29]
	;; [unrolled: 1-line block ×5, first 2 shown]
	v_lshl_add_u32 v0, v194, 3, v12
	v_mul_u32_u24_e32 v13, 7, v14
	v_lshl_add_u32 v10, v212, 3, v12
	v_lshl_add_u32 v11, v214, 3, v12
	v_lshl_add_u32 v12, v224, 3, v12
	ds_store_b64 v0, v[66:67]
	ds_store_b64 v10, v[70:71]
	;; [unrolled: 1-line block ×4, first 2 shown]
	v_add_nc_u32_e32 v0, v1, v13
	s_wait_dscnt 0x0
	s_barrier_signal -1
	s_barrier_wait -1
	ds_load_2addr_stride64_b64 v[48:51], v0 offset1:4
	ds_load_2addr_stride64_b64 v[34:37], v0 offset0:8 offset1:12
	ds_load_2addr_stride64_b64 v[30:33], v0 offset0:16 offset1:20
	;; [unrolled: 1-line block ×7, first 2 shown]
	ds_load_b64 v[0:1], v0 offset:32768
	v_add_nc_u64_e32 v[2:3], v[2:3], v[8:9]
	s_set_vgpr_msb 4                        ;  msbs: dst=0 src0=0 src1=1 src2=0
	v_cmp_lt_u32_e32 vcc_lo, v38, v20 /*v276*/
	s_wait_dscnt 0x0
	s_barrier_signal -1
	s_barrier_wait -1
	s_set_vgpr_msb 0                        ;  msbs: dst=0 src0=0 src1=0 src2=0
	v_add_nc_u64_e32 v[2:3], v[2:3], v[38:39]
	s_and_saveexec_b32 s0, vcc_lo
	s_cbranch_execz .LBB83_100
; %bb.99:
	v_xor_b32_e32 v52, -1, v112
	flat_store_b8 v[2:3], v52
.LBB83_100:
	s_wait_xcnt 0x0
	s_or_b32 exec_lo, exec_lo, s0
	v_add_nc_u32_e32 v52, 0x100, v38
	s_set_vgpr_msb 4                        ;  msbs: dst=0 src0=0 src1=1 src2=0
	s_delay_alu instid0(VALU_DEP_1)
	v_cmp_lt_u32_e64 s0, v52, v20 /*v276*/
	s_and_saveexec_b32 s1, s0
	s_set_vgpr_msb 0                        ;  msbs: dst=0 src0=0 src1=0 src2=0
	s_cbranch_execz .LBB83_102
; %bb.101:
	v_xor_b32_e32 v52, -1, v103
	flat_store_b8 v[2:3], v52 offset:256
.LBB83_102:
	s_wait_xcnt 0x0
	s_or_b32 exec_lo, exec_lo, s1
	v_add_nc_u32_e32 v52, 0x200, v38
	s_set_vgpr_msb 4                        ;  msbs: dst=0 src0=0 src1=1 src2=0
	s_delay_alu instid0(VALU_DEP_1)
	v_cmp_lt_u32_e64 s1, v52, v20 /*v276*/
	s_and_saveexec_b32 s2, s1
	s_set_vgpr_msb 0                        ;  msbs: dst=0 src0=0 src1=0 src2=0
	s_cbranch_execz .LBB83_104
; %bb.103:
	v_xor_b32_e32 v52, -1, v102
	flat_store_b8 v[2:3], v52 offset:512
.LBB83_104:
	;; [unrolled: 13-line block ×16, first 2 shown]
	s_wait_xcnt 0x0
	s_or_b32 exec_lo, exec_lo, s18
	v_lshl_add_u64 v[2:3], v[8:9], 3, v[6:7]
	s_delay_alu instid0(VALU_DEP_1)
	v_lshl_add_u64 v[2:3], v[38:39], 3, v[2:3]
	s_and_saveexec_b32 s18, vcc_lo
	s_cbranch_execnz .LBB83_220
; %bb.133:
	s_or_b32 exec_lo, exec_lo, s18
	s_and_saveexec_b32 s18, s0
	s_cbranch_execnz .LBB83_221
.LBB83_134:
	s_or_b32 exec_lo, exec_lo, s18
	s_and_saveexec_b32 s0, s1
	s_cbranch_execnz .LBB83_222
.LBB83_135:
	s_or_b32 exec_lo, exec_lo, s0
	s_and_saveexec_b32 s0, s2
	s_cbranch_execnz .LBB83_223
.LBB83_136:
	s_or_b32 exec_lo, exec_lo, s0
	s_and_saveexec_b32 s0, s3
	s_cbranch_execnz .LBB83_224
.LBB83_137:
	s_or_b32 exec_lo, exec_lo, s0
	s_and_saveexec_b32 s0, s4
	s_cbranch_execnz .LBB83_225
.LBB83_138:
	s_or_b32 exec_lo, exec_lo, s0
	s_and_saveexec_b32 s0, s5
	s_cbranch_execnz .LBB83_226
.LBB83_139:
	s_or_b32 exec_lo, exec_lo, s0
	s_and_saveexec_b32 s0, s6
	s_cbranch_execnz .LBB83_227
.LBB83_140:
	s_or_b32 exec_lo, exec_lo, s0
	s_and_saveexec_b32 s0, s7
	s_cbranch_execnz .LBB83_228
.LBB83_141:
	s_or_b32 exec_lo, exec_lo, s0
	s_and_saveexec_b32 s0, s10
	s_cbranch_execnz .LBB83_229
.LBB83_142:
	s_or_b32 exec_lo, exec_lo, s0
	s_and_saveexec_b32 s0, s11
	s_cbranch_execnz .LBB83_230
.LBB83_143:
	s_or_b32 exec_lo, exec_lo, s0
	s_and_saveexec_b32 s0, s12
	s_cbranch_execnz .LBB83_231
.LBB83_144:
	s_or_b32 exec_lo, exec_lo, s0
	s_and_saveexec_b32 s0, s13
	s_cbranch_execnz .LBB83_232
.LBB83_145:
	s_or_b32 exec_lo, exec_lo, s0
	s_and_saveexec_b32 s0, s14
	s_cbranch_execnz .LBB83_233
.LBB83_146:
	s_or_b32 exec_lo, exec_lo, s0
	s_and_saveexec_b32 s0, s15
	s_cbranch_execnz .LBB83_234
.LBB83_147:
	s_or_b32 exec_lo, exec_lo, s0
	s_and_saveexec_b32 s0, s16
	s_cbranch_execnz .LBB83_235
.LBB83_148:
	s_or_b32 exec_lo, exec_lo, s0
	s_and_saveexec_b32 s0, s17
	s_cbranch_execz .LBB83_150
.LBB83_149:
	flat_store_b64 v[2:3], v[0:1] offset:32768
.LBB83_150:
	s_wait_xcnt 0x0
	s_or_b32 exec_lo, exec_lo, s0
                                        ; implicit-def: $vgpr276
                                        ; implicit-def: $vgpr8
                                        ; implicit-def: $vgpr10
                                        ; implicit-def: $vgpr11
                                        ; implicit-def: $vgpr0_vgpr1
                                        ; implicit-def: $vgpr2_vgpr3
                                        ; implicit-def: $vgpr4_vgpr5
                                        ; implicit-def: $vgpr6_vgpr7
                                        ; implicit-def: $vgpr12_vgpr13
                                        ; implicit-def: $vgpr9
                                        ; implicit-def: $vgpr15
                                        ; implicit-def: $vgpr14
                                        ; implicit-def: $vgpr16
.LBB83_151:
	s_and_not1_saveexec_b32 s0, s24
	s_cbranch_execz .LBB83_382
; %bb.152:
	s_mov_b32 s0, exec_lo
	s_set_vgpr_msb 4                        ;  msbs: dst=0 src0=0 src1=1 src2=0
	v_cmpx_lt_u32_e32 0x400, v20 /*v276*/
	s_xor_b32 s24, exec_lo, s0
	s_set_vgpr_msb 0                        ;  msbs: dst=0 src0=0 src1=0 src2=0
	s_cbranch_execz .LBB83_262
; %bb.153:
	s_load_b64 s[0:1], s[8:9], 0x0
	s_bfe_u32 s3, ttmp6, 0x4000c
	s_bfe_u32 s5, ttmp6, 0x40010
	s_and_b32 s4, ttmp7, 0xffff
	s_add_co_i32 s3, s3, 1
	s_add_co_i32 s5, s5, 1
	s_and_b32 s2, ttmp6, 15
	s_bfe_u32 s6, ttmp6, 0x40004
	s_mul_i32 s3, ttmp9, s3
	s_mul_i32 s5, s4, s5
	s_add_co_i32 s2, s2, s3
	s_add_co_i32 s6, s6, s5
	s_cmp_eq_u32 s23, 0
	s_mov_b32 s3, 0
	s_cselect_b32 s2, ttmp9, s2
	s_cselect_b32 s4, s4, s6
	s_wait_kmcnt 0x0
	s_cmp_lt_u32 s2, s0
	s_cselect_b32 s2, 12, 18
	s_cmp_lt_u32 s4, s1
	s_mov_b32 s1, s3
	s_cselect_b32 s0, 14, 20
	s_delay_alu instid0(SALU_CYCLE_1)
	s_add_nc_u64 s[0:1], s[8:9], s[0:1]
	s_load_u16 s4, s[0:1], 0x0
	s_wait_xcnt 0x0
	s_add_nc_u64 s[0:1], s[8:9], s[2:3]
	s_load_u16 s0, s[0:1], 0x0
	s_wait_kmcnt 0x0
	v_mad_u32_u24 v9, v15, s4, v9
	s_delay_alu instid0(VALU_DEP_1) | instskip(SKIP_1) | instid1(VALU_DEP_1)
	v_mad_u32 v26, v9, s0, v14
	v_mov_b32_e32 v9, 0
	v_add_nc_u64_e32 v[18:19], v[0:1], v[8:9]
	s_delay_alu instid0(VALU_DEP_3) | instskip(SKIP_2) | instid1(VALU_DEP_3)
	v_dual_mov_b32 v17, v9 :: v_dual_lshlrev_b32 v0, 3, v26
	v_dual_mov_b32 v1, v9 :: v_dual_mov_b32 v20, v9
	v_mov_b32_e32 v15, v9
	v_and_b32_e32 v0, 0xffffff00, v0
	s_delay_alu instid0(VALU_DEP_4) | instskip(SKIP_1) | instid1(VALU_DEP_3)
	v_add_nc_u64_e32 v[18:19], v[18:19], v[16:17]
	v_dual_mov_b32 v22, v9 :: v_dual_mov_b32 v23, v9
	v_dual_mov_b32 v21, v9 :: v_dual_bitop2_b32 v27, v0, v16 bitop3:0x54
	v_mov_b32_e32 v24, v9
	s_delay_alu instid0(VALU_DEP_4) | instskip(SKIP_1) | instid1(VALU_DEP_3)
	v_add_nc_u64_e32 v[18:19], v[18:19], v[0:1]
	s_set_vgpr_msb 4                        ;  msbs: dst=0 src0=0 src1=1 src2=0
	v_cmp_lt_u32_e32 vcc_lo, v27, v20 /*v276*/
	s_and_saveexec_b32 s0, vcc_lo
	s_set_vgpr_msb 0                        ;  msbs: dst=0 src0=0 src1=0 src2=0
	s_cbranch_execz .LBB83_155
; %bb.154:
	flat_load_u8 v20, v[18:19]
	v_dual_mov_b32 v15, v9 :: v_dual_mov_b32 v22, v9
	v_dual_mov_b32 v17, v9 :: v_dual_mov_b32 v23, v9
	;; [unrolled: 1-line block ×3, first 2 shown]
.LBB83_155:
	s_wait_xcnt 0x0
	s_or_b32 exec_lo, exec_lo, s0
	v_or_b32_e32 v25, 32, v27
	s_set_vgpr_msb 4                        ;  msbs: dst=0 src0=0 src1=1 src2=0
	s_delay_alu instid0(VALU_DEP_1)
	v_cmp_lt_u32_e64 s0, v25, v20 /*v276*/
	v_mov_b32_e32 v25, v9
	s_and_saveexec_b32 s1, s0
	s_set_vgpr_msb 0                        ;  msbs: dst=0 src0=0 src1=0 src2=0
	s_cbranch_execz .LBB83_157
; %bb.156:
	flat_load_u8 v25, v[18:19] offset:32
.LBB83_157:
	s_wait_xcnt 0x0
	s_or_b32 exec_lo, exec_lo, s1
	v_or_b32_e32 v28, 64, v27
	s_set_vgpr_msb 4                        ;  msbs: dst=0 src0=0 src1=1 src2=0
	s_delay_alu instid0(VALU_DEP_1)
	v_cmp_lt_u32_e64 s1, v28, v20 /*v276*/
	s_and_saveexec_b32 s2, s1
	s_set_vgpr_msb 0                        ;  msbs: dst=0 src0=0 src1=0 src2=0
	s_cbranch_execz .LBB83_159
; %bb.158:
	flat_load_u8 v15, v[18:19] offset:64
.LBB83_159:
	s_wait_xcnt 0x0
	s_or_b32 exec_lo, exec_lo, s2
	v_or_b32_e32 v28, 0x60, v27
	s_set_vgpr_msb 4                        ;  msbs: dst=0 src0=0 src1=1 src2=0
	s_delay_alu instid0(VALU_DEP_1)
	v_cmp_lt_u32_e64 s2, v28, v20 /*v276*/
	;; [unrolled: 12-line block ×6, first 2 shown]
	s_and_saveexec_b32 s7, s6
	s_set_vgpr_msb 0                        ;  msbs: dst=0 src0=0 src1=0 src2=0
	s_cbranch_execz .LBB83_169
; %bb.168:
	flat_load_u8 v24, v[18:19] offset:224
.LBB83_169:
	s_wait_xcnt 0x0
	s_or_b32 exec_lo, exec_lo, s7
	v_lshl_add_u64 v[4:5], v[8:9], 3, v[4:5]
	v_dual_mov_b32 v19, 0 :: v_dual_lshlrev_b32 v18, 3, v16
                                        ; implicit-def: $vgpr52_vgpr53
	s_delay_alu instid0(VALU_DEP_1) | instskip(NEXT) | instid1(VALU_DEP_1)
	v_add_nc_u64_e32 v[4:5], v[4:5], v[18:19]
	v_lshl_add_u64 v[0:1], v[0:1], 3, v[4:5]
	s_and_saveexec_b32 s7, vcc_lo
	s_cbranch_execnz .LBB83_295
; %bb.170:
	s_or_b32 exec_lo, exec_lo, s7
                                        ; implicit-def: $vgpr54_vgpr55
	s_and_saveexec_b32 s7, s0
	s_cbranch_execnz .LBB83_296
.LBB83_171:
	s_or_b32 exec_lo, exec_lo, s7
                                        ; implicit-def: $vgpr66_vgpr67
	s_and_saveexec_b32 s0, s1
	s_cbranch_execnz .LBB83_297
.LBB83_172:
	s_or_b32 exec_lo, exec_lo, s0
                                        ; implicit-def: $vgpr36_vgpr37
	s_and_saveexec_b32 s0, s2
	s_cbranch_execnz .LBB83_298
.LBB83_173:
	s_or_b32 exec_lo, exec_lo, s0
                                        ; implicit-def: $vgpr38_vgpr39
	s_and_saveexec_b32 s0, s3
	s_cbranch_execnz .LBB83_299
.LBB83_174:
	s_or_b32 exec_lo, exec_lo, s0
                                        ; implicit-def: $vgpr48_vgpr49
	s_and_saveexec_b32 s0, s4
	s_cbranch_execnz .LBB83_300
.LBB83_175:
	s_or_b32 exec_lo, exec_lo, s0
                                        ; implicit-def: $vgpr50_vgpr51
	s_and_saveexec_b32 s0, s5
	s_cbranch_execnz .LBB83_301
.LBB83_176:
	s_or_b32 exec_lo, exec_lo, s0
                                        ; implicit-def: $vgpr64_vgpr65
	s_and_saveexec_b32 s0, s6
	s_cbranch_execz .LBB83_178
.LBB83_177:
	flat_load_b64 v[64:65], v[0:1] offset:1792
.LBB83_178:
	s_wait_xcnt 0x0
	s_or_b32 exec_lo, exec_lo, s0
	s_wait_loadcnt_dscnt 0x0
	v_xor_b32_e32 v1, -1, v23
	v_xor_b32_e32 v4, -1, v25
	v_sub_co_u32 v25, s2, v16, 1
	s_get_pc_i64 s[0:1]
	s_add_nc_u64 s[0:1], s[0:1], _ZN7rocprim17ROCPRIM_400000_NS16block_radix_sortIhLj256ELj8ElLj1ELj1ELj8ELNS0_26block_radix_rank_algorithmE2ELNS0_18block_padding_hintE2ELNS0_4arch9wavefront6targetE0EE19radix_bits_per_passE@rel64+4
	v_lshlrev_b16 v1, 8, v1
	v_xor_b32_e32 v0, -1, v24
	s_load_b32 s25, s[0:1], 0x0
	v_and_b32_e32 v24, 16, v16
	v_cmp_gt_i32_e64 s5, 0, v25
	v_lshrrev_b32_e32 v18, 8, v1
	v_lshl_add_u32 v1, v14, 5, v12
	v_xor_b32_e32 v5, -1, v22
	v_xor_b32_e32 v19, -1, v15
	v_dual_lshlrev_b32 v22, 3, v14 :: v_dual_bitop2_b32 v23, 15, v16 bitop3:0x40
	s_delay_alu instid0(VALU_DEP_4)
	v_dual_add_nc_u32 v15, 32, v1 :: v_dual_add_nc_u32 v27, 36, v1
	v_dual_add_nc_u32 v132, 40, v1 :: v_dual_add_nc_u32 v133, 44, v1
	;; [unrolled: 1-line block ×4, first 2 shown]
	v_lshrrev_b32_e32 v146, 5, v26
	v_and_b32_e32 v1, 0x3e0, v14
	v_cmp_eq_u32_e32 vcc_lo, 0, v23
	s_wait_xcnt 0x0
	v_cmp_lt_u32_e64 s0, 1, v23
	v_cmp_lt_u32_e64 s1, 3, v23
	;; [unrolled: 1-line block ×3, first 2 shown]
	v_min_u32_e32 v1, 0xe0, v1
	v_lshrrev_b32_e32 v23, 3, v14
	v_lshlrev_b16 v0, 8, v0
	v_lshlrev_b16 v4, 8, v4
	v_cmp_eq_u32_e64 s4, 0, v24
	v_dual_cndmask_b32 v24, v25, v16, s5 :: v_dual_bitop2_b32 v1, 31, v1 bitop3:0x54
	s_delay_alu instid0(VALU_DEP_4) | instskip(NEXT) | instid1(VALU_DEP_4)
	v_lshrrev_b32_e32 v0, 8, v0
	v_dual_lshrrev_b32 v4, 8, v4 :: v_dual_sub_nc_u32 v183, v11, v10
	s_delay_alu instid0(VALU_DEP_3)
	v_cmp_eq_u32_e64 s5, v14, v1
	v_and_b32_e32 v1, 0x7c, v23
	v_and_b32_e32 v23, 7, v16
	v_and_or_b32 v16, 0x1f00, v22, v16
	v_lshlrev_b16 v4, 8, v4
	v_lshlrev_b16 v0, 8, v0
	;; [unrolled: 1-line block ×3, first 2 shown]
	v_dual_lshlrev_b32 v147, 2, v24 :: v_dual_add_nc_u32 v148, v12, v1
	v_add_nc_u32_e32 v150, v12, v16
	v_mul_u32_u24_e32 v16, 7, v16
	v_bitop3_b16 v4, v20, v4, 0xff bitop3:0xce
	v_bitop3_b16 v0, v21, v0, 0xff bitop3:0xce
	v_perm_b32 v5, v19, v5, 0xc0c0104
	s_delay_alu instid0(VALU_DEP_4)
	v_dual_add_nc_u32 v161, 64, v150 :: v_dual_add_nc_u32 v164, v150, v16
	v_lshlrev_b16 v16, 8, v18
	v_and_b32_e32 v4, 0xffff, v4
	v_lshlrev_b32_e32 v0, 16, v0
	v_mov_b64_e32 v[18:19], 0
	v_cmp_gt_u32_e64 s6, 8, v14
	v_bitop3_b16 v16, v17, v16, 0xff bitop3:0xce
	v_cmp_lt_u32_e64 s7, 31, v14
	v_cmp_eq_u32_e64 s10, 0, v14
	v_mov_b32_e32 v1, 0
	v_lshl_add_u32 v149, v14, 2, v12
	v_and_b32_e32 v16, 0xffff, v16
	v_cmp_eq_u32_e64 s11, 0, v23
	v_cmp_lt_u32_e64 s12, 1, v23
	v_cmp_lt_u32_e64 s13, 3, v23
	v_dual_add_nc_u32 v151, -4, v148 :: v_dual_add_nc_u32 v160, 32, v150
	v_add_nc_u32_e32 v162, 0x60, v150
	v_add_nc_u32_e32 v163, 0x80, v150
	;; [unrolled: 1-line block ×12, first 2 shown]
	v_lshl_or_b32 v4, v5, 16, v4
	v_or_b32_e32 v69, v16, v0
	s_mov_b32 s26, 0
	s_wait_storecnt 0x0
	s_barrier_signal -1
	s_barrier_wait -1
	s_branch .LBB83_180
.LBB83_179:                             ;   in Loop: Header=BB83_180 Depth=1
	s_or_b32 exec_lo, exec_lo, s15
	s_delay_alu instid0(SALU_CYCLE_1) | instskip(NEXT) | instid1(SALU_CYCLE_1)
	s_and_b32 s14, exec_lo, s16
	s_or_b32 s26, s14, s26
	s_delay_alu instid0(SALU_CYCLE_1)
	s_and_not1_b32 exec_lo, exec_lo, s26
	s_cbranch_execz .LBB83_236
.LBB83_180:                             ; =>This Inner Loop Header: Depth=1
	s_wait_kmcnt 0x0
	v_min_u32_e32 v0, s25, v183
	v_and_b32_e32 v16, 0xff, v4
	v_mov_b64_e32 v[20:21], v[54:55]
	v_mov_b64_e32 v[22:23], v[66:67]
	ds_store_b64 v15, v[18:19]
	ds_store_b64 v132, v[18:19]
	v_lshlrev_b32_e64 v5, v0, -1
	v_lshrrev_b32_e32 v0, v10, v16
	v_mov_b64_e32 v[16:17], v[52:53]
	ds_store_b64 v134, v[18:19]
	ds_store_b64 v144, v[18:19]
	s_wait_dscnt 0x0
	s_barrier_signal -1
	v_bitop3_b32 v24, v0, 1, v5 bitop3:0x40
	v_bitop3_b32 v0, v0, v5, v0 bitop3:0x30
	s_barrier_wait -1
	s_delay_alu instid0(VALU_DEP_2) | instskip(NEXT) | instid1(VALU_DEP_1)
	v_add_co_u32 v24, s14, v24, -1
	v_cndmask_b32_e64 v25, 0, 1, s14
	s_delay_alu instid0(VALU_DEP_3) | instskip(SKIP_1) | instid1(VALU_DEP_3)
	v_dual_lshlrev_b32 v28, 30, v0 :: v_dual_lshlrev_b32 v29, 29, v0
	v_dual_lshlrev_b32 v30, 28, v0 :: v_dual_lshlrev_b32 v31, 27, v0
	v_cmp_ne_u32_e64 s14, 0, v25
	s_delay_alu instid0(VALU_DEP_3)
	v_not_b32_e32 v25, v28
	v_cmp_gt_i32_e64 s15, 0, v28
	v_cmp_gt_i32_e64 s16, 0, v29
	v_not_b32_e32 v28, v29
	v_not_b32_e32 v29, v30
	v_dual_ashrrev_i32 v25, 31, v25 :: v_dual_lshlrev_b32 v32, 26, v0
	v_dual_lshlrev_b32 v33, 25, v0 :: v_dual_lshlrev_b32 v34, 24, v0
	s_delay_alu instid0(VALU_DEP_3) | instskip(SKIP_1) | instid1(VALU_DEP_4)
	v_ashrrev_i32_e32 v29, 31, v29
	v_cmp_gt_i32_e64 s17, 0, v30
	v_dual_ashrrev_i32 v28, 31, v28 :: v_dual_bitop2_b32 v25, s15, v25 bitop3:0x14
	v_not_b32_e32 v30, v31
	v_xor_b32_e32 v24, s14, v24
	v_not_b32_e32 v35, v32
	s_delay_alu instid0(VALU_DEP_4)
	v_xor_b32_e32 v28, s16, v28
	v_xor_b32_e32 v29, s17, v29
	v_cmp_gt_i32_e64 s14, 0, v31
	v_bitop3_b32 v24, v24, v25, exec_lo bitop3:0x80
	v_ashrrev_i32_e32 v25, 31, v30
	v_cmp_gt_i32_e64 s15, 0, v32
	v_dual_ashrrev_i32 v30, 31, v35 :: v_dual_lshlrev_b32 v0, 3, v0
	s_delay_alu instid0(VALU_DEP_4)
	v_bitop3_b32 v24, v24, v29, v28 bitop3:0x80
	v_not_b32_e32 v28, v33
	v_not_b32_e32 v29, v34
	v_xor_b32_e32 v25, s14, v25
	v_xor_b32_e32 v30, s15, v30
	v_cmp_gt_i32_e64 s14, 0, v33
	v_ashrrev_i32_e32 v28, 31, v28
	v_cmp_gt_i32_e64 s15, 0, v34
	v_ashrrev_i32_e32 v29, 31, v29
	v_mov_b64_e32 v[34:35], v[36:37]
	v_bitop3_b32 v32, v24, v30, v25 bitop3:0x80
	v_xor_b32_e32 v33, s14, v28
	v_add_lshl_u32 v0, v0, v146, 2
	v_xor_b32_e32 v36, s15, v29
	v_mov_b64_e32 v[24:25], v[38:39]
	v_mov_b64_e32 v[30:31], v[48:49]
	;; [unrolled: 1-line block ×3, first 2 shown]
	; wave barrier
	s_delay_alu instid0(VALU_DEP_4) | instskip(SKIP_2) | instid1(VALU_DEP_3)
	v_bitop3_b32 v38, v32, v36, v33 bitop3:0x80
	v_add_nc_u64_e32 v[36:37], v[12:13], v[0:1]
	v_mov_b64_e32 v[32:33], v[64:65]
	v_mbcnt_lo_u32_b32 v0, v38, 0
	v_cmp_ne_u32_e64 s15, 0, v38
	s_delay_alu instid0(VALU_DEP_4) | instskip(NEXT) | instid1(VALU_DEP_3)
	v_add_nc_u64_e32 v[36:37], 32, v[36:37]
	v_cmp_eq_u32_e64 s14, 0, v0
	s_and_b32 s15, s15, s14
	s_delay_alu instid0(SALU_CYCLE_1)
	s_and_saveexec_b32 s14, s15
; %bb.181:                              ;   in Loop: Header=BB83_180 Depth=1
	v_bcnt_u32_b32 v37, v38, 0
	ds_store_b32 v36, v37
; %bb.182:                              ;   in Loop: Header=BB83_180 Depth=1
	s_or_b32 exec_lo, exec_lo, s14
	v_bfe_u32 v37, v4, 8, 8
	v_not_b32_e32 v51, v5
	; wave barrier
	s_delay_alu instid0(VALU_DEP_2) | instskip(NEXT) | instid1(VALU_DEP_1)
	v_lshrrev_b32_e32 v5, v10, v37
	v_and_b32_e32 v37, v5, v51
	s_delay_alu instid0(VALU_DEP_1) | instskip(SKIP_2) | instid1(VALU_DEP_3)
	v_lshlrev_b32_e32 v48, 30, v37
	v_bitop3_b32 v5, v5, 1, v51 bitop3:0x80
	v_lshlrev_b32_e32 v49, 29, v37
	v_cmp_gt_i32_e64 s15, 0, v48
	s_delay_alu instid0(VALU_DEP_3) | instskip(NEXT) | instid1(VALU_DEP_1)
	v_add_co_u32 v5, s14, v5, -1
	v_cndmask_b32_e64 v39, 0, 1, s14
	s_delay_alu instid0(VALU_DEP_1) | instskip(SKIP_2) | instid1(VALU_DEP_2)
	v_cmp_ne_u32_e64 s14, 0, v39
	v_not_b32_e32 v39, v48
	v_not_b32_e32 v48, v49
	v_dual_ashrrev_i32 v39, 31, v39 :: v_dual_bitop2_b32 v5, s14, v5 bitop3:0x14
	s_delay_alu instid0(VALU_DEP_2) | instskip(SKIP_3) | instid1(VALU_DEP_4)
	v_dual_ashrrev_i32 v48, 31, v48 :: v_dual_lshlrev_b32 v50, 28, v37
	v_dual_lshlrev_b32 v52, 27, v37 :: v_dual_lshlrev_b32 v53, 26, v37
	v_cmp_gt_i32_e64 s16, 0, v49
	v_lshl_add_u32 v38, v37, 3, v146
	v_not_b32_e32 v49, v50
	v_dual_lshlrev_b32 v54, 25, v37 :: v_dual_lshlrev_b32 v37, 24, v37
	v_cmp_gt_i32_e64 s17, 0, v50
	v_cmp_gt_i32_e64 s18, 0, v52
	v_not_b32_e32 v50, v52
	v_dual_ashrrev_i32 v49, 31, v49 :: v_dual_bitop2_b32 v39, s15, v39 bitop3:0x14
	v_not_b32_e32 v52, v53
	v_cmp_gt_i32_e64 s19, 0, v53
	s_delay_alu instid0(VALU_DEP_4) | instskip(NEXT) | instid1(VALU_DEP_4)
	v_dual_ashrrev_i32 v50, 31, v50 :: v_dual_bitop2_b32 v48, s16, v48 bitop3:0x14
	v_xor_b32_e32 v49, s17, v49
	v_bitop3_b32 v5, v5, v39, exec_lo bitop3:0x80
	v_ashrrev_i32_e32 v39, 31, v52
	v_not_b32_e32 v52, v54
	v_not_b32_e32 v53, v37
	v_xor_b32_e32 v50, s18, v50
	v_bitop3_b32 v5, v5, v49, v48 bitop3:0x80
	v_xor_b32_e32 v39, s19, v39
	v_cmp_gt_i32_e64 s14, 0, v54
	v_ashrrev_i32_e32 v48, 31, v52
	v_cmp_gt_i32_e64 s15, 0, v37
	v_ashrrev_i32_e32 v37, 31, v53
	v_lshl_add_u32 v49, v38, 2, v12
	v_bitop3_b32 v5, v5, v39, v50 bitop3:0x80
	v_xor_b32_e32 v38, s14, v48
	s_delay_alu instid0(VALU_DEP_4) | instskip(SKIP_3) | instid1(VALU_DEP_2)
	v_xor_b32_e32 v39, s15, v37
	ds_load_b32 v37, v49 offset:32
	; wave barrier
	v_bitop3_b32 v48, v5, v39, v38 bitop3:0x80
	v_dual_mov_b32 v5, v69 :: v_dual_add_nc_u32 v39, 32, v49
	v_mbcnt_lo_u32_b32 v38, v48, 0
	v_cmp_ne_u32_e64 s15, 0, v48
	s_delay_alu instid0(VALU_DEP_2) | instskip(SKIP_1) | instid1(SALU_CYCLE_1)
	v_cmp_eq_u32_e64 s14, 0, v38
	s_and_b32 s15, s15, s14
	s_and_saveexec_b32 s14, s15
	s_cbranch_execz .LBB83_184
; %bb.183:                              ;   in Loop: Header=BB83_180 Depth=1
	s_wait_dscnt 0x0
	v_bcnt_u32_b32 v48, v48, v37
	ds_store_b32 v39, v48
.LBB83_184:                             ;   in Loop: Header=BB83_180 Depth=1
	s_or_b32 exec_lo, exec_lo, s14
	v_bfe_u32 v48, v4, 16, 8
	; wave barrier
	s_delay_alu instid0(VALU_DEP_1) | instskip(NEXT) | instid1(VALU_DEP_1)
	v_lshrrev_b32_e32 v48, v10, v48
	v_and_b32_e32 v49, v48, v51
	s_delay_alu instid0(VALU_DEP_1) | instskip(SKIP_1) | instid1(VALU_DEP_2)
	v_lshlrev_b32_e32 v53, 30, v49
	v_bitop3_b32 v48, v48, 1, v51 bitop3:0x80
	v_cmp_gt_i32_e64 s15, 0, v53
	s_delay_alu instid0(VALU_DEP_2) | instskip(NEXT) | instid1(VALU_DEP_1)
	v_add_co_u32 v48, s14, v48, -1
	v_cndmask_b32_e64 v52, 0, 1, s14
	s_delay_alu instid0(VALU_DEP_1) | instskip(SKIP_1) | instid1(VALU_DEP_1)
	v_cmp_ne_u32_e64 s14, 0, v52
	v_not_b32_e32 v52, v53
	v_dual_ashrrev_i32 v52, 31, v52 :: v_dual_lshlrev_b32 v54, 29, v49
	v_dual_lshlrev_b32 v55, 28, v49 :: v_dual_lshlrev_b32 v64, 27, v49
	v_lshlrev_b32_e32 v65, 26, v49
	v_lshl_add_u32 v50, v49, 3, v146
	s_delay_alu instid0(VALU_DEP_4)
	v_cmp_gt_i32_e64 s16, 0, v54
	v_not_b32_e32 v53, v54
	v_not_b32_e32 v54, v55
	v_dual_lshlrev_b32 v66, 25, v49 :: v_dual_lshlrev_b32 v49, 24, v49
	v_cmp_gt_i32_e64 s17, 0, v55
	v_cmp_gt_i32_e64 s18, 0, v64
	v_not_b32_e32 v55, v64
	v_not_b32_e32 v64, v65
	v_dual_ashrrev_i32 v53, 31, v53 :: v_dual_bitop2_b32 v48, s14, v48 bitop3:0x14
	v_dual_ashrrev_i32 v54, 31, v54 :: v_dual_bitop2_b32 v52, s15, v52 bitop3:0x14
	v_cmp_gt_i32_e64 s19, 0, v65
	s_delay_alu instid0(VALU_DEP_4) | instskip(SKIP_1) | instid1(VALU_DEP_4)
	v_dual_ashrrev_i32 v55, 31, v55 :: v_dual_ashrrev_i32 v64, 31, v64
	v_not_b32_e32 v65, v49
	v_xor_b32_e32 v54, s17, v54
	v_bitop3_b32 v48, v48, v52, exec_lo bitop3:0x80
	v_not_b32_e32 v52, v66
	v_xor_b32_e32 v53, s16, v53
	v_xor_b32_e32 v64, s19, v64
	v_cmp_gt_i32_e64 s14, 0, v66
	v_cmp_gt_i32_e64 s15, 0, v49
	v_dual_ashrrev_i32 v52, 31, v52 :: v_dual_ashrrev_i32 v49, 31, v65
	v_bitop3_b32 v48, v48, v54, v53 bitop3:0x80
	v_lshl_add_u32 v50, v50, 2, v12
	v_xor_b32_e32 v55, s18, v55
	s_delay_alu instid0(VALU_DEP_4) | instskip(SKIP_1) | instid1(VALU_DEP_3)
	v_xor_b32_e32 v52, s14, v52
	v_xor_b32_e32 v49, s15, v49
	v_bitop3_b32 v53, v48, v64, v55 bitop3:0x80
	ds_load_b32 v48, v50 offset:32
	v_add_nc_u32_e32 v50, 32, v50
	; wave barrier
	v_bitop3_b32 v52, v53, v49, v52 bitop3:0x80
	s_delay_alu instid0(VALU_DEP_1) | instskip(SKIP_1) | instid1(VALU_DEP_2)
	v_mbcnt_lo_u32_b32 v49, v52, 0
	v_cmp_ne_u32_e64 s15, 0, v52
	v_cmp_eq_u32_e64 s14, 0, v49
	s_and_b32 s15, s15, s14
	s_delay_alu instid0(SALU_CYCLE_1)
	s_and_saveexec_b32 s14, s15
	s_cbranch_execz .LBB83_186
; %bb.185:                              ;   in Loop: Header=BB83_180 Depth=1
	s_wait_dscnt 0x0
	v_bcnt_u32_b32 v52, v52, v48
	ds_store_b32 v50, v52
.LBB83_186:                             ;   in Loop: Header=BB83_180 Depth=1
	s_or_b32 exec_lo, exec_lo, s14
	v_alignbit_b32 v52, v5, v4, 24
	; wave barrier
	s_delay_alu instid0(VALU_DEP_1) | instskip(NEXT) | instid1(VALU_DEP_1)
	v_and_b32_e32 v52, 0xff, v52
	v_lshrrev_b32_e32 v52, v10, v52
	s_delay_alu instid0(VALU_DEP_1) | instskip(NEXT) | instid1(VALU_DEP_1)
	v_and_b32_e32 v53, v52, v51
	v_lshlrev_b32_e32 v64, 30, v53
	v_bitop3_b32 v52, v52, 1, v51 bitop3:0x80
	v_lshlrev_b32_e32 v65, 29, v53
	s_delay_alu instid0(VALU_DEP_3) | instskip(NEXT) | instid1(VALU_DEP_3)
	v_cmp_gt_i32_e64 s15, 0, v64
	v_add_co_u32 v52, s14, v52, -1
	s_delay_alu instid0(VALU_DEP_1) | instskip(NEXT) | instid1(VALU_DEP_1)
	v_cndmask_b32_e64 v55, 0, 1, s14
	v_cmp_ne_u32_e64 s14, 0, v55
	v_not_b32_e32 v55, v64
	v_not_b32_e32 v64, v65
	s_delay_alu instid0(VALU_DEP_2) | instskip(NEXT) | instid1(VALU_DEP_2)
	v_dual_ashrrev_i32 v55, 31, v55 :: v_dual_bitop2_b32 v52, s14, v52 bitop3:0x14
	v_dual_ashrrev_i32 v64, 31, v64 :: v_dual_lshlrev_b32 v66, 28, v53
	v_dual_lshlrev_b32 v67, 27, v53 :: v_dual_lshlrev_b32 v68, 26, v53
	v_cmp_gt_i32_e64 s16, 0, v65
	v_lshl_add_u32 v54, v53, 3, v146
	s_delay_alu instid0(VALU_DEP_4)
	v_not_b32_e32 v65, v66
	v_dual_lshlrev_b32 v69, 25, v53 :: v_dual_lshlrev_b32 v53, 24, v53
	v_cmp_gt_i32_e64 s17, 0, v66
	v_cmp_gt_i32_e64 s18, 0, v67
	v_not_b32_e32 v66, v67
	v_not_b32_e32 v67, v68
	v_dual_ashrrev_i32 v65, 31, v65 :: v_dual_bitop2_b32 v55, s15, v55 bitop3:0x14
	v_cmp_gt_i32_e64 s19, 0, v68
	v_not_b32_e32 v68, v69
	v_cmp_gt_i32_e64 s21, 0, v53
	v_not_b32_e32 v53, v53
	v_dual_ashrrev_i32 v66, 31, v66 :: v_dual_ashrrev_i32 v67, 31, v67
	v_xor_b32_e32 v64, s16, v64
	v_xor_b32_e32 v65, s17, v65
	v_bitop3_b32 v52, v52, v55, exec_lo bitop3:0x80
	v_cmp_gt_i32_e64 s20, 0, v69
	v_dual_ashrrev_i32 v55, 31, v68 :: v_dual_ashrrev_i32 v53, 31, v53
	v_xor_b32_e32 v66, s18, v66
	s_delay_alu instid0(VALU_DEP_4) | instskip(SKIP_4) | instid1(VALU_DEP_3)
	v_bitop3_b32 v52, v52, v65, v64 bitop3:0x80
	v_lshl_add_u32 v54, v54, 2, v12
	v_xor_b32_e32 v67, s19, v67
	v_xor_b32_e32 v55, s20, v55
	;; [unrolled: 1-line block ×3, first 2 shown]
	v_bitop3_b32 v64, v52, v67, v66 bitop3:0x80
	ds_load_b32 v52, v54 offset:32
	v_add_nc_u32_e32 v54, 32, v54
	; wave barrier
	v_bitop3_b32 v55, v64, v53, v55 bitop3:0x80
	s_delay_alu instid0(VALU_DEP_1) | instskip(SKIP_1) | instid1(VALU_DEP_2)
	v_mbcnt_lo_u32_b32 v53, v55, 0
	v_cmp_ne_u32_e64 s15, 0, v55
	v_cmp_eq_u32_e64 s14, 0, v53
	s_and_b32 s15, s15, s14
	s_delay_alu instid0(SALU_CYCLE_1)
	s_and_saveexec_b32 s14, s15
	s_cbranch_execz .LBB83_188
; %bb.187:                              ;   in Loop: Header=BB83_180 Depth=1
	s_wait_dscnt 0x0
	v_bcnt_u32_b32 v55, v55, v52
	ds_store_b32 v54, v55
.LBB83_188:                             ;   in Loop: Header=BB83_180 Depth=1
	s_or_b32 exec_lo, exec_lo, s14
	v_and_b32_e32 v55, 0xff, v5
	; wave barrier
	s_delay_alu instid0(VALU_DEP_1) | instskip(NEXT) | instid1(VALU_DEP_1)
	v_lshrrev_b32_e32 v55, v10, v55
	v_and_b32_e32 v64, v55, v51
	s_delay_alu instid0(VALU_DEP_1) | instskip(SKIP_1) | instid1(VALU_DEP_2)
	v_lshlrev_b32_e32 v67, 30, v64
	v_bitop3_b32 v55, v55, 1, v51 bitop3:0x80
	v_cmp_gt_i32_e64 s15, 0, v67
	s_delay_alu instid0(VALU_DEP_2) | instskip(NEXT) | instid1(VALU_DEP_1)
	v_add_co_u32 v55, s14, v55, -1
	v_cndmask_b32_e64 v66, 0, 1, s14
	s_delay_alu instid0(VALU_DEP_1) | instskip(SKIP_1) | instid1(VALU_DEP_1)
	v_cmp_ne_u32_e64 s14, 0, v66
	v_not_b32_e32 v66, v67
	v_dual_ashrrev_i32 v66, 31, v66 :: v_dual_lshlrev_b32 v68, 29, v64
	v_dual_lshlrev_b32 v69, 28, v64 :: v_dual_lshlrev_b32 v70, 27, v64
	v_lshlrev_b32_e32 v71, 26, v64
	v_lshl_add_u32 v65, v64, 3, v146
	s_delay_alu instid0(VALU_DEP_4)
	v_cmp_gt_i32_e64 s16, 0, v68
	v_not_b32_e32 v67, v68
	v_not_b32_e32 v68, v69
	v_dual_lshlrev_b32 v80, 25, v64 :: v_dual_lshlrev_b32 v64, 24, v64
	v_cmp_gt_i32_e64 s17, 0, v69
	v_cmp_gt_i32_e64 s18, 0, v70
	v_not_b32_e32 v69, v70
	v_not_b32_e32 v70, v71
	v_dual_ashrrev_i32 v68, 31, v68 :: v_dual_bitop2_b32 v55, s14, v55 bitop3:0x14
	v_dual_ashrrev_i32 v67, 31, v67 :: v_dual_bitop2_b32 v66, s15, v66 bitop3:0x14
	v_cmp_gt_i32_e64 s19, 0, v71
	s_delay_alu instid0(VALU_DEP_4)
	v_dual_ashrrev_i32 v69, 31, v69 :: v_dual_ashrrev_i32 v70, 31, v70
	v_not_b32_e32 v71, v64
	v_xor_b32_e32 v68, s17, v68
	v_bitop3_b32 v55, v55, v66, exec_lo bitop3:0x80
	v_not_b32_e32 v66, v80
	v_xor_b32_e32 v67, s16, v67
	v_xor_b32_e32 v69, s18, v69
	v_cmp_gt_i32_e64 s14, 0, v80
	v_cmp_gt_i32_e64 s15, 0, v64
	v_dual_ashrrev_i32 v66, 31, v66 :: v_dual_ashrrev_i32 v64, 31, v71
	v_bitop3_b32 v55, v55, v68, v67 bitop3:0x80
	v_lshl_add_u32 v65, v65, 2, v12
	v_xor_b32_e32 v70, s19, v70
	s_delay_alu instid0(VALU_DEP_4) | instskip(SKIP_1) | instid1(VALU_DEP_3)
	v_xor_b32_e32 v66, s14, v66
	v_xor_b32_e32 v64, s15, v64
	v_bitop3_b32 v67, v55, v70, v69 bitop3:0x80
	ds_load_b32 v55, v65 offset:32
	v_add_nc_u32_e32 v65, 32, v65
	; wave barrier
	v_bitop3_b32 v66, v67, v64, v66 bitop3:0x80
	s_delay_alu instid0(VALU_DEP_1) | instskip(SKIP_1) | instid1(VALU_DEP_2)
	v_mbcnt_lo_u32_b32 v64, v66, 0
	v_cmp_ne_u32_e64 s15, 0, v66
	v_cmp_eq_u32_e64 s14, 0, v64
	s_and_b32 s15, s15, s14
	s_delay_alu instid0(SALU_CYCLE_1)
	s_and_saveexec_b32 s14, s15
	s_cbranch_execz .LBB83_190
; %bb.189:                              ;   in Loop: Header=BB83_180 Depth=1
	s_wait_dscnt 0x0
	v_bcnt_u32_b32 v66, v66, v55
	ds_store_b32 v65, v66
.LBB83_190:                             ;   in Loop: Header=BB83_180 Depth=1
	s_or_b32 exec_lo, exec_lo, s14
	v_bfe_u32 v66, v5, 8, 8
	; wave barrier
	s_delay_alu instid0(VALU_DEP_1) | instskip(NEXT) | instid1(VALU_DEP_1)
	v_lshrrev_b32_e32 v66, v10, v66
	v_and_b32_e32 v67, v66, v51
	s_delay_alu instid0(VALU_DEP_1) | instskip(SKIP_1) | instid1(VALU_DEP_2)
	v_lshlrev_b32_e32 v70, 30, v67
	v_bitop3_b32 v66, v66, 1, v51 bitop3:0x80
	v_cmp_gt_i32_e64 s15, 0, v70
	s_delay_alu instid0(VALU_DEP_2) | instskip(NEXT) | instid1(VALU_DEP_1)
	v_add_co_u32 v66, s14, v66, -1
	v_cndmask_b32_e64 v69, 0, 1, s14
	s_delay_alu instid0(VALU_DEP_1) | instskip(SKIP_1) | instid1(VALU_DEP_1)
	v_cmp_ne_u32_e64 s14, 0, v69
	v_not_b32_e32 v69, v70
	v_dual_ashrrev_i32 v69, 31, v69 :: v_dual_lshlrev_b32 v71, 29, v67
	v_dual_lshlrev_b32 v80, 28, v67 :: v_dual_lshlrev_b32 v81, 27, v67
	v_lshlrev_b32_e32 v82, 26, v67
	v_lshl_add_u32 v68, v67, 3, v146
	s_delay_alu instid0(VALU_DEP_4)
	v_cmp_gt_i32_e64 s16, 0, v71
	v_not_b32_e32 v70, v71
	v_not_b32_e32 v71, v80
	v_dual_lshlrev_b32 v83, 25, v67 :: v_dual_lshlrev_b32 v67, 24, v67
	v_cmp_gt_i32_e64 s17, 0, v80
	v_cmp_gt_i32_e64 s18, 0, v81
	v_not_b32_e32 v80, v81
	v_not_b32_e32 v81, v82
	v_dual_ashrrev_i32 v71, 31, v71 :: v_dual_bitop2_b32 v66, s14, v66 bitop3:0x14
	v_dual_ashrrev_i32 v70, 31, v70 :: v_dual_bitop2_b32 v69, s15, v69 bitop3:0x14
	v_cmp_gt_i32_e64 s19, 0, v82
	s_delay_alu instid0(VALU_DEP_4)
	v_dual_ashrrev_i32 v80, 31, v80 :: v_dual_ashrrev_i32 v81, 31, v81
	v_not_b32_e32 v82, v67
	v_xor_b32_e32 v71, s17, v71
	v_bitop3_b32 v66, v66, v69, exec_lo bitop3:0x80
	v_not_b32_e32 v69, v83
	v_xor_b32_e32 v70, s16, v70
	v_xor_b32_e32 v80, s18, v80
	v_cmp_gt_i32_e64 s14, 0, v83
	v_cmp_gt_i32_e64 s15, 0, v67
	v_dual_ashrrev_i32 v69, 31, v69 :: v_dual_ashrrev_i32 v67, 31, v82
	v_bitop3_b32 v66, v66, v71, v70 bitop3:0x80
	v_lshl_add_u32 v68, v68, 2, v12
	v_xor_b32_e32 v81, s19, v81
	s_delay_alu instid0(VALU_DEP_4) | instskip(SKIP_1) | instid1(VALU_DEP_3)
	v_xor_b32_e32 v69, s14, v69
	v_xor_b32_e32 v67, s15, v67
	v_bitop3_b32 v70, v66, v81, v80 bitop3:0x80
	ds_load_b32 v66, v68 offset:32
	v_add_nc_u32_e32 v68, 32, v68
	; wave barrier
	v_bitop3_b32 v69, v70, v67, v69 bitop3:0x80
	s_delay_alu instid0(VALU_DEP_1) | instskip(SKIP_1) | instid1(VALU_DEP_2)
	v_mbcnt_lo_u32_b32 v67, v69, 0
	v_cmp_ne_u32_e64 s15, 0, v69
	v_cmp_eq_u32_e64 s14, 0, v67
	s_and_b32 s15, s15, s14
	s_delay_alu instid0(SALU_CYCLE_1)
	s_and_saveexec_b32 s14, s15
	s_cbranch_execz .LBB83_192
; %bb.191:                              ;   in Loop: Header=BB83_180 Depth=1
	s_wait_dscnt 0x0
	v_bcnt_u32_b32 v69, v69, v66
	ds_store_b32 v68, v69
.LBB83_192:                             ;   in Loop: Header=BB83_180 Depth=1
	s_or_b32 exec_lo, exec_lo, s14
	v_bfe_u32 v69, v5, 16, 8
	; wave barrier
	s_delay_alu instid0(VALU_DEP_1) | instskip(NEXT) | instid1(VALU_DEP_1)
	v_lshrrev_b32_e32 v69, v10, v69
	v_and_b32_e32 v70, v69, v51
	s_delay_alu instid0(VALU_DEP_1) | instskip(SKIP_1) | instid1(VALU_DEP_2)
	v_lshlrev_b32_e32 v81, 30, v70
	v_bitop3_b32 v69, v69, 1, v51 bitop3:0x80
	v_cmp_gt_i32_e64 s15, 0, v81
	s_delay_alu instid0(VALU_DEP_2) | instskip(NEXT) | instid1(VALU_DEP_1)
	v_add_co_u32 v69, s14, v69, -1
	v_cndmask_b32_e64 v80, 0, 1, s14
	s_delay_alu instid0(VALU_DEP_1) | instskip(SKIP_1) | instid1(VALU_DEP_1)
	v_cmp_ne_u32_e64 s14, 0, v80
	v_not_b32_e32 v80, v81
	v_dual_ashrrev_i32 v80, 31, v80 :: v_dual_lshlrev_b32 v82, 29, v70
	v_dual_lshlrev_b32 v83, 28, v70 :: v_dual_lshlrev_b32 v84, 27, v70
	v_lshlrev_b32_e32 v85, 26, v70
	v_lshl_add_u32 v71, v70, 3, v146
	s_delay_alu instid0(VALU_DEP_4)
	v_cmp_gt_i32_e64 s16, 0, v82
	v_not_b32_e32 v81, v82
	v_not_b32_e32 v82, v83
	v_dual_lshlrev_b32 v86, 25, v70 :: v_dual_lshlrev_b32 v70, 24, v70
	v_cmp_gt_i32_e64 s17, 0, v83
	v_cmp_gt_i32_e64 s18, 0, v84
	v_not_b32_e32 v83, v84
	v_not_b32_e32 v84, v85
	v_dual_ashrrev_i32 v82, 31, v82 :: v_dual_bitop2_b32 v69, s14, v69 bitop3:0x14
	v_dual_ashrrev_i32 v81, 31, v81 :: v_dual_bitop2_b32 v80, s15, v80 bitop3:0x14
	v_cmp_gt_i32_e64 s19, 0, v85
	s_delay_alu instid0(VALU_DEP_4)
	v_dual_ashrrev_i32 v83, 31, v83 :: v_dual_ashrrev_i32 v84, 31, v84
	v_not_b32_e32 v85, v70
	v_xor_b32_e32 v82, s17, v82
	v_bitop3_b32 v69, v69, v80, exec_lo bitop3:0x80
	v_not_b32_e32 v80, v86
	v_xor_b32_e32 v81, s16, v81
	v_xor_b32_e32 v83, s18, v83
	v_cmp_gt_i32_e64 s14, 0, v86
	v_cmp_gt_i32_e64 s15, 0, v70
	v_dual_ashrrev_i32 v80, 31, v80 :: v_dual_ashrrev_i32 v70, 31, v85
	v_bitop3_b32 v69, v69, v82, v81 bitop3:0x80
	v_lshl_add_u32 v71, v71, 2, v12
	v_xor_b32_e32 v84, s19, v84
	s_delay_alu instid0(VALU_DEP_4) | instskip(SKIP_3) | instid1(VALU_DEP_1)
	v_xor_b32_e32 v80, s14, v80
	v_xor_b32_e32 v70, s15, v70
	ds_load_b32 v86, v71 offset:32
	v_bitop3_b32 v69, v69, v84, v83 bitop3:0x80
	; wave barrier
	v_bitop3_b32 v70, v69, v70, v80 bitop3:0x80
	v_add_nc_u32_e32 v69, 32, v71
	s_delay_alu instid0(VALU_DEP_2) | instskip(SKIP_1) | instid1(VALU_DEP_2)
	v_mbcnt_lo_u32_b32 v96, v70, 0
	v_cmp_ne_u32_e64 s15, 0, v70
	v_cmp_eq_u32_e64 s14, 0, v96
	s_and_b32 s15, s15, s14
	s_delay_alu instid0(SALU_CYCLE_1)
	s_and_saveexec_b32 s14, s15
	s_cbranch_execz .LBB83_194
; %bb.193:                              ;   in Loop: Header=BB83_180 Depth=1
	s_wait_dscnt 0x0
	v_bcnt_u32_b32 v70, v70, v86
	ds_store_b32 v69, v70
.LBB83_194:                             ;   in Loop: Header=BB83_180 Depth=1
	s_or_b32 exec_lo, exec_lo, s14
	v_lshrrev_b32_e32 v192, 24, v5
	; wave barrier
	s_delay_alu instid0(VALU_DEP_1) | instskip(NEXT) | instid1(VALU_DEP_1)
	v_lshrrev_b32_e32 v70, v10, v192
	v_and_b32_e32 v71, v70, v51
	s_delay_alu instid0(VALU_DEP_1) | instskip(SKIP_3) | instid1(VALU_DEP_3)
	v_lshlrev_b32_e32 v81, 30, v71
	v_bitop3_b32 v51, v70, 1, v51 bitop3:0x80
	v_dual_lshlrev_b32 v82, 29, v71 :: v_dual_lshlrev_b32 v83, 28, v71
	v_dual_lshlrev_b32 v84, 27, v71 :: v_dual_lshlrev_b32 v85, 26, v71
	v_add_co_u32 v51, s14, v51, -1
	s_delay_alu instid0(VALU_DEP_1)
	v_cndmask_b32_e64 v80, 0, 1, s14
	v_cmp_gt_i32_e64 s15, 0, v81
	v_cmp_gt_i32_e64 s16, 0, v82
	v_lshl_add_u32 v70, v71, 3, v146
	v_dual_lshlrev_b32 v87, 25, v71 :: v_dual_lshlrev_b32 v71, 24, v71
	v_cmp_ne_u32_e64 s14, 0, v80
	v_not_b32_e32 v80, v81
	v_not_b32_e32 v81, v82
	;; [unrolled: 1-line block ×3, first 2 shown]
	v_cmp_gt_i32_e64 s17, 0, v83
	v_cmp_gt_i32_e64 s18, 0, v84
	v_dual_ashrrev_i32 v80, 31, v80 :: v_dual_bitop2_b32 v51, s14, v51 bitop3:0x14
	v_not_b32_e32 v83, v84
	v_not_b32_e32 v84, v85
	v_dual_ashrrev_i32 v81, 31, v81 :: v_dual_ashrrev_i32 v82, 31, v82
	s_delay_alu instid0(VALU_DEP_3) | instskip(SKIP_1) | instid1(VALU_DEP_3)
	v_dual_ashrrev_i32 v83, 31, v83 :: v_dual_bitop2_b32 v80, s15, v80 bitop3:0x14
	v_cmp_gt_i32_e64 s19, 0, v85
	v_dual_ashrrev_i32 v84, 31, v84 :: v_dual_bitop2_b32 v81, s16, v81 bitop3:0x14
	s_delay_alu instid0(VALU_DEP_3)
	v_bitop3_b32 v51, v51, v80, exec_lo bitop3:0x80
	v_not_b32_e32 v80, v87
	v_xor_b32_e32 v82, s17, v82
	v_not_b32_e32 v85, v71
	v_xor_b32_e32 v83, s18, v83
	v_cmp_gt_i32_e64 s14, 0, v87
	v_ashrrev_i32_e32 v80, 31, v80
	v_bitop3_b32 v51, v51, v82, v81 bitop3:0x80
	v_cmp_gt_i32_e64 s15, 0, v71
	v_ashrrev_i32_e32 v71, 31, v85
	v_lshl_add_u32 v70, v70, 2, v12
	v_xor_b32_e32 v84, s19, v84
	v_xor_b32_e32 v80, s14, v80
	s_delay_alu instid0(VALU_DEP_4) | instskip(NEXT) | instid1(VALU_DEP_3)
	v_xor_b32_e32 v71, s15, v71
	v_bitop3_b32 v81, v51, v84, v83 bitop3:0x80
	ds_load_b32 v51, v70 offset:32
	v_add_nc_u32_e32 v70, 32, v70
	; wave barrier
	v_bitop3_b32 v71, v81, v71, v80 bitop3:0x80
	s_delay_alu instid0(VALU_DEP_1) | instskip(SKIP_1) | instid1(VALU_DEP_2)
	v_mbcnt_lo_u32_b32 v100, v71, 0
	v_cmp_ne_u32_e64 s15, 0, v71
	v_cmp_eq_u32_e64 s14, 0, v100
	s_and_b32 s15, s15, s14
	s_delay_alu instid0(SALU_CYCLE_1)
	s_and_saveexec_b32 s14, s15
	s_cbranch_execz .LBB83_196
; %bb.195:                              ;   in Loop: Header=BB83_180 Depth=1
	s_wait_dscnt 0x0
	v_bcnt_u32_b32 v71, v71, v51
	ds_store_b32 v70, v71
.LBB83_196:                             ;   in Loop: Header=BB83_180 Depth=1
	s_or_b32 exec_lo, exec_lo, s14
	; wave barrier
	s_wait_dscnt 0x0
	s_barrier_signal -1
	s_barrier_wait -1
	ds_load_b32 v80, v15
	ds_load_b32 v81, v27
	;; [unrolled: 1-line block ×8, first 2 shown]
	s_wait_dscnt 0x6
	v_add_nc_u32_e32 v97, v81, v80
	s_wait_dscnt 0x4
	s_delay_alu instid0(VALU_DEP_1) | instskip(SKIP_1) | instid1(VALU_DEP_1)
	v_add3_u32 v97, v97, v82, v83
	s_wait_dscnt 0x2
	v_add3_u32 v97, v97, v84, v85
	s_wait_dscnt 0x0
	s_delay_alu instid0(VALU_DEP_1) | instskip(NEXT) | instid1(VALU_DEP_1)
	v_add3_u32 v87, v97, v71, v87
	v_mov_b32_dpp v97, v87 row_shr:1 row_mask:0xf bank_mask:0xf
	s_delay_alu instid0(VALU_DEP_1) | instskip(NEXT) | instid1(VALU_DEP_1)
	v_cndmask_b32_e64 v97, v97, 0, vcc_lo
	v_add_nc_u32_e32 v87, v97, v87
	s_delay_alu instid0(VALU_DEP_1) | instskip(NEXT) | instid1(VALU_DEP_1)
	v_mov_b32_dpp v97, v87 row_shr:2 row_mask:0xf bank_mask:0xf
	v_cndmask_b32_e64 v97, 0, v97, s0
	s_delay_alu instid0(VALU_DEP_1) | instskip(NEXT) | instid1(VALU_DEP_1)
	v_add_nc_u32_e32 v87, v87, v97
	v_mov_b32_dpp v97, v87 row_shr:4 row_mask:0xf bank_mask:0xf
	s_delay_alu instid0(VALU_DEP_1) | instskip(NEXT) | instid1(VALU_DEP_1)
	v_cndmask_b32_e64 v97, 0, v97, s1
	v_add_nc_u32_e32 v87, v87, v97
	s_delay_alu instid0(VALU_DEP_1) | instskip(NEXT) | instid1(VALU_DEP_1)
	v_mov_b32_dpp v97, v87 row_shr:8 row_mask:0xf bank_mask:0xf
	v_cndmask_b32_e64 v97, 0, v97, s3
	s_delay_alu instid0(VALU_DEP_1) | instskip(SKIP_3) | instid1(VALU_DEP_1)
	v_add_nc_u32_e32 v87, v87, v97
	ds_swizzle_b32 v97, v87 offset:swizzle(BROADCAST,32,15)
	s_wait_dscnt 0x0
	v_cndmask_b32_e64 v97, v97, 0, s4
	v_add_nc_u32_e32 v87, v87, v97
	s_and_saveexec_b32 s14, s5
; %bb.197:                              ;   in Loop: Header=BB83_180 Depth=1
	ds_store_b32 v148, v87
; %bb.198:                              ;   in Loop: Header=BB83_180 Depth=1
	s_or_b32 exec_lo, exec_lo, s14
	s_wait_dscnt 0x0
	s_barrier_signal -1
	s_barrier_wait -1
	s_and_saveexec_b32 s14, s6
	s_cbranch_execz .LBB83_200
; %bb.199:                              ;   in Loop: Header=BB83_180 Depth=1
	ds_load_b32 v97, v149
	s_wait_dscnt 0x0
	v_mov_b32_dpp v98, v97 row_shr:1 row_mask:0xf bank_mask:0xf
	s_delay_alu instid0(VALU_DEP_1) | instskip(NEXT) | instid1(VALU_DEP_1)
	v_cndmask_b32_e64 v98, v98, 0, s11
	v_add_nc_u32_e32 v97, v98, v97
	s_delay_alu instid0(VALU_DEP_1) | instskip(NEXT) | instid1(VALU_DEP_1)
	v_mov_b32_dpp v98, v97 row_shr:2 row_mask:0xf bank_mask:0xf
	v_cndmask_b32_e64 v98, 0, v98, s12
	s_delay_alu instid0(VALU_DEP_1) | instskip(NEXT) | instid1(VALU_DEP_1)
	v_add_nc_u32_e32 v97, v97, v98
	v_mov_b32_dpp v98, v97 row_shr:4 row_mask:0xf bank_mask:0xf
	s_delay_alu instid0(VALU_DEP_1) | instskip(NEXT) | instid1(VALU_DEP_1)
	v_cndmask_b32_e64 v98, 0, v98, s13
	v_add_nc_u32_e32 v97, v97, v98
	ds_store_b32 v149, v97
.LBB83_200:                             ;   in Loop: Header=BB83_180 Depth=1
	s_or_b32 exec_lo, exec_lo, s14
	v_mov_b32_e32 v97, 0
	s_wait_dscnt 0x0
	s_barrier_signal -1
	s_barrier_wait -1
	s_and_saveexec_b32 s14, s7
; %bb.201:                              ;   in Loop: Header=BB83_180 Depth=1
	ds_load_b32 v97, v151
; %bb.202:                              ;   in Loop: Header=BB83_180 Depth=1
	s_or_b32 exec_lo, exec_lo, s14
	s_wait_dscnt 0x0
	v_add_nc_u32_e32 v87, v97, v87
	v_lshrrev_b64 v[98:99], 24, v[4:5]
	v_dual_lshrrev_b32 v99, 8, v5 :: v_dual_add_nc_u32 v10, 8, v10
	s_mov_b32 s16, -1
	ds_bpermute_b32 v87, v147, v87
	s_mov_b32 s15, exec_lo
	v_dual_mov_b32 v193, v4 :: v_dual_lshrrev_b32 v194, 8, v4
	s_wait_dscnt 0x0
	v_dual_lshrrev_b32 v195, 16, v4 :: v_dual_cndmask_b32 v87, v87, v97, s2
	s_delay_alu instid0(VALU_DEP_1) | instskip(NEXT) | instid1(VALU_DEP_1)
	v_cndmask_b32_e64 v87, v87, 0, s10
	v_add_nc_u32_e32 v80, v87, v80
	s_delay_alu instid0(VALU_DEP_1) | instskip(NEXT) | instid1(VALU_DEP_1)
	v_add_nc_u32_e32 v81, v80, v81
	v_add_nc_u32_e32 v82, v81, v82
	s_delay_alu instid0(VALU_DEP_1)
	v_add_nc_u32_e32 v83, v82, v83
	ds_store_b32 v15, v87
	ds_store_b32 v27, v80
	ds_store_b32 v132, v81
	v_dual_mov_b32 v81, v1 :: v_dual_mov_b32 v87, v1
	v_add_nc_u32_e32 v84, v83, v84
	s_delay_alu instid0(VALU_DEP_1) | instskip(NEXT) | instid1(VALU_DEP_1)
	v_add_nc_u32_e32 v85, v84, v85
	v_add_nc_u32_e32 v71, v85, v71
	ds_store_b32 v133, v82
	ds_store_b32 v134, v83
	ds_store_b32 v135, v84
	ds_store_b32 v144, v85
	ds_store_b32 v145, v71
	s_wait_dscnt 0x0
	s_barrier_signal -1
	s_barrier_wait -1
	ds_load_b32 v36, v36
	ds_load_b32 v39, v39
	;; [unrolled: 1-line block ×8, first 2 shown]
	v_dual_mov_b32 v69, v1 :: v_dual_mov_b32 v71, v1
	v_dual_mov_b32 v83, v1 :: v_dual_mov_b32 v85, v1
	v_mov_b32_e32 v97, v1
	s_wait_dscnt 0x0
	v_add_nc_u32_e32 v0, v36, v0
	v_add3_u32 v68, v38, v37, v39
	v_add3_u32 v70, v49, v48, v50
	;; [unrolled: 1-line block ×7, first 2 shown]
	v_add_nc_u64_e32 v[130:131], v[12:13], v[0:1]
	v_add_nc_u64_e32 v[128:129], v[12:13], v[68:69]
	;; [unrolled: 1-line block ×8, first 2 shown]
	v_lshrrev_b32_e32 v71, 16, v5
                                        ; implicit-def: $vgpr69
                                        ; implicit-def: $vgpr52_vgpr53
                                        ; implicit-def: $vgpr54_vgpr55
                                        ; implicit-def: $vgpr66_vgpr67
                                        ; implicit-def: $vgpr36_vgpr37
                                        ; implicit-def: $vgpr38_vgpr39
                                        ; implicit-def: $vgpr48_vgpr49
                                        ; implicit-def: $vgpr50_vgpr51
                                        ; implicit-def: $vgpr64_vgpr65
	v_cmpx_lt_u32_e64 v10, v11
	s_cbranch_execz .LBB83_179
; %bb.203:                              ;   in Loop: Header=BB83_180 Depth=1
	v_mad_nc_u64_u32 v[36:37], v0, 7, v[130:131]
	v_mad_nc_u64_u32 v[38:39], v68, 7, v[128:129]
	;; [unrolled: 1-line block ×7, first 2 shown]
	s_barrier_signal -1
	s_barrier_wait -1
	ds_store_b8 v130, v4
	ds_store_b8 v128, v194
	;; [unrolled: 1-line block ×8, first 2 shown]
	s_wait_dscnt 0x0
	s_barrier_signal -1
	s_barrier_wait -1
	ds_load_u8 v4, v162
	ds_load_u8 v69, v161
	;; [unrolled: 1-line block ×8, first 2 shown]
	v_mad_nc_u64_u32 v[66:67], v96, 7, v[100:101]
	s_wait_dscnt 0x0
	s_barrier_signal -1
	s_barrier_wait -1
	ds_store_b64 v36, v[16:17]
	ds_store_b64 v38, v[20:21]
	;; [unrolled: 1-line block ×8, first 2 shown]
	s_wait_dscnt 0x0
	s_barrier_signal -1
	s_barrier_wait -1
	ds_load_b64 v[52:53], v164
	ds_load_b64 v[54:55], v176
	;; [unrolled: 1-line block ×8, first 2 shown]
	v_add_nc_u32_e32 v183, -8, v183
	s_xor_b32 s16, exec_lo, -1
	v_perm_b32 v4, v69, v4, 0xc0c0004
	s_wait_dscnt 0x0
	v_perm_b32 v81, v83, v81, 0xc0c0004
	s_barrier_signal -1
	v_perm_b32 v83, v87, v85, 0xc0c0004
	s_barrier_wait -1
	v_perm_b32 v69, v196, v97, 0xc0c0004
	v_lshl_or_b32 v4, v4, 16, v81
	s_delay_alu instid0(VALU_DEP_2)
	v_lshl_or_b32 v69, v83, 16, v69
	s_branch .LBB83_179
.LBB83_204:
	flat_load_b64 v[84:85], v[0:1]
	s_wait_xcnt 0x0
	s_or_b32 exec_lo, exec_lo, s18
                                        ; implicit-def: $vgpr86_vgpr87
	s_and_saveexec_b32 s18, s0
	s_cbranch_execz .LBB83_38
.LBB83_205:
	flat_load_b64 v[86:87], v[0:1] offset:256
	s_wait_xcnt 0x0
	s_or_b32 exec_lo, exec_lo, s18
                                        ; implicit-def: $vgpr96_vgpr97
	s_and_saveexec_b32 s0, s1
	s_cbranch_execz .LBB83_39
.LBB83_206:
	flat_load_b64 v[96:97], v[0:1] offset:512
	s_wait_xcnt 0x0
	s_or_b32 exec_lo, exec_lo, s0
                                        ; implicit-def: $vgpr98_vgpr99
	s_and_saveexec_b32 s0, s2
	s_cbranch_execz .LBB83_40
.LBB83_207:
	flat_load_b64 v[98:99], v[0:1] offset:768
	s_wait_xcnt 0x0
	s_or_b32 exec_lo, exec_lo, s0
                                        ; implicit-def: $vgpr100_vgpr101
	s_and_saveexec_b32 s0, s3
	s_cbranch_execz .LBB83_41
.LBB83_208:
	flat_load_b64 v[100:101], v[0:1] offset:1024
	s_wait_xcnt 0x0
	s_or_b32 exec_lo, exec_lo, s0
                                        ; implicit-def: $vgpr102_vgpr103
	s_and_saveexec_b32 s0, s4
	s_cbranch_execz .LBB83_42
.LBB83_209:
	flat_load_b64 v[102:103], v[0:1] offset:1280
	s_wait_xcnt 0x0
	s_or_b32 exec_lo, exec_lo, s0
                                        ; implicit-def: $vgpr112_vgpr113
	s_and_saveexec_b32 s0, s5
	s_cbranch_execz .LBB83_43
.LBB83_210:
	flat_load_b64 v[112:113], v[0:1] offset:1536
	s_wait_xcnt 0x0
	s_or_b32 exec_lo, exec_lo, s0
                                        ; implicit-def: $vgpr114_vgpr115
	s_and_saveexec_b32 s0, s6
	s_cbranch_execz .LBB83_44
.LBB83_211:
	flat_load_b64 v[114:115], v[0:1] offset:1792
	s_wait_xcnt 0x0
	s_or_b32 exec_lo, exec_lo, s0
                                        ; implicit-def: $vgpr116_vgpr117
	s_and_saveexec_b32 s0, s7
	s_cbranch_execz .LBB83_45
.LBB83_212:
	flat_load_b64 v[116:117], v[0:1] offset:2048
	s_wait_xcnt 0x0
	s_or_b32 exec_lo, exec_lo, s0
                                        ; implicit-def: $vgpr130_vgpr131
	s_and_saveexec_b32 s0, s10
	s_cbranch_execz .LBB83_46
.LBB83_213:
	flat_load_b64 v[130:131], v[0:1] offset:2304
	s_wait_xcnt 0x0
	s_or_b32 exec_lo, exec_lo, s0
                                        ; implicit-def: $vgpr132_vgpr133
	s_and_saveexec_b32 s0, s11
	s_cbranch_execz .LBB83_47
.LBB83_214:
	flat_load_b64 v[132:133], v[0:1] offset:2560
	s_wait_xcnt 0x0
	s_or_b32 exec_lo, exec_lo, s0
                                        ; implicit-def: $vgpr134_vgpr135
	s_and_saveexec_b32 s0, s12
	s_cbranch_execz .LBB83_48
.LBB83_215:
	flat_load_b64 v[134:135], v[0:1] offset:2816
	s_wait_xcnt 0x0
	s_or_b32 exec_lo, exec_lo, s0
                                        ; implicit-def: $vgpr118_vgpr119
	s_and_saveexec_b32 s0, s13
	s_cbranch_execz .LBB83_49
.LBB83_216:
	flat_load_b64 v[118:119], v[0:1] offset:3072
	s_wait_xcnt 0x0
	s_or_b32 exec_lo, exec_lo, s0
                                        ; implicit-def: $vgpr128_vgpr129
	s_and_saveexec_b32 s0, s14
	s_cbranch_execz .LBB83_50
.LBB83_217:
	flat_load_b64 v[128:129], v[0:1] offset:3328
	s_wait_xcnt 0x0
	s_or_b32 exec_lo, exec_lo, s0
                                        ; implicit-def: $vgpr144_vgpr145
	s_and_saveexec_b32 s0, s15
	s_cbranch_execz .LBB83_51
.LBB83_218:
	flat_load_b64 v[144:145], v[0:1] offset:3584
	s_wait_xcnt 0x0
	s_or_b32 exec_lo, exec_lo, s0
                                        ; implicit-def: $vgpr146_vgpr147
	s_and_saveexec_b32 s0, s16
	s_cbranch_execz .LBB83_52
.LBB83_219:
	flat_load_b64 v[146:147], v[0:1] offset:3840
	s_wait_xcnt 0x0
	s_or_b32 exec_lo, exec_lo, s0
                                        ; implicit-def: $vgpr148_vgpr149
	s_and_saveexec_b32 s0, s17
	s_cbranch_execnz .LBB83_53
	s_branch .LBB83_54
.LBB83_220:
	flat_store_b64 v[2:3], v[48:49]
	s_wait_xcnt 0x0
	s_or_b32 exec_lo, exec_lo, s18
	s_and_saveexec_b32 s18, s0
	s_cbranch_execz .LBB83_134
.LBB83_221:
	flat_store_b64 v[2:3], v[50:51] offset:2048
	s_wait_xcnt 0x0
	s_or_b32 exec_lo, exec_lo, s18
	s_and_saveexec_b32 s0, s1
	s_cbranch_execz .LBB83_135
.LBB83_222:
	flat_store_b64 v[2:3], v[34:35] offset:4096
	s_wait_xcnt 0x0
	s_or_b32 exec_lo, exec_lo, s0
	s_and_saveexec_b32 s0, s2
	s_cbranch_execz .LBB83_136
.LBB83_223:
	flat_store_b64 v[2:3], v[36:37] offset:6144
	s_wait_xcnt 0x0
	s_or_b32 exec_lo, exec_lo, s0
	s_and_saveexec_b32 s0, s3
	s_cbranch_execz .LBB83_137
.LBB83_224:
	flat_store_b64 v[2:3], v[30:31] offset:8192
	s_wait_xcnt 0x0
	s_or_b32 exec_lo, exec_lo, s0
	s_and_saveexec_b32 s0, s4
	s_cbranch_execz .LBB83_138
.LBB83_225:
	flat_store_b64 v[2:3], v[32:33] offset:10240
	s_wait_xcnt 0x0
	s_or_b32 exec_lo, exec_lo, s0
	s_and_saveexec_b32 s0, s5
	s_cbranch_execz .LBB83_139
.LBB83_226:
	flat_store_b64 v[2:3], v[26:27] offset:12288
	s_wait_xcnt 0x0
	s_or_b32 exec_lo, exec_lo, s0
	s_and_saveexec_b32 s0, s6
	s_cbranch_execz .LBB83_140
.LBB83_227:
	flat_store_b64 v[2:3], v[28:29] offset:14336
	s_wait_xcnt 0x0
	s_or_b32 exec_lo, exec_lo, s0
	s_and_saveexec_b32 s0, s7
	s_cbranch_execz .LBB83_141
.LBB83_228:
	flat_store_b64 v[2:3], v[22:23] offset:16384
	s_wait_xcnt 0x0
	s_or_b32 exec_lo, exec_lo, s0
	s_and_saveexec_b32 s0, s10
	s_cbranch_execz .LBB83_142
.LBB83_229:
	flat_store_b64 v[2:3], v[24:25] offset:18432
	s_wait_xcnt 0x0
	s_or_b32 exec_lo, exec_lo, s0
	s_and_saveexec_b32 s0, s11
	s_cbranch_execz .LBB83_143
.LBB83_230:
	flat_store_b64 v[2:3], v[18:19] offset:20480
	s_wait_xcnt 0x0
	s_or_b32 exec_lo, exec_lo, s0
	s_and_saveexec_b32 s0, s12
	s_cbranch_execz .LBB83_144
.LBB83_231:
	flat_store_b64 v[2:3], v[20:21] offset:22528
	s_wait_xcnt 0x0
	s_or_b32 exec_lo, exec_lo, s0
	s_and_saveexec_b32 s0, s13
	s_cbranch_execz .LBB83_145
.LBB83_232:
	flat_store_b64 v[2:3], v[14:15] offset:24576
	s_wait_xcnt 0x0
	s_or_b32 exec_lo, exec_lo, s0
	s_and_saveexec_b32 s0, s14
	s_cbranch_execz .LBB83_146
.LBB83_233:
	flat_store_b64 v[2:3], v[16:17] offset:26624
	s_wait_xcnt 0x0
	s_or_b32 exec_lo, exec_lo, s0
	s_and_saveexec_b32 s0, s15
	s_cbranch_execz .LBB83_147
.LBB83_234:
	flat_store_b64 v[2:3], v[10:11] offset:28672
	s_wait_xcnt 0x0
	s_or_b32 exec_lo, exec_lo, s0
	s_and_saveexec_b32 s0, s16
	s_cbranch_execz .LBB83_148
.LBB83_235:
	flat_store_b64 v[2:3], v[12:13] offset:30720
	s_wait_xcnt 0x0
	s_or_b32 exec_lo, exec_lo, s0
	s_and_saveexec_b32 s0, s17
	s_cbranch_execnz .LBB83_149
	s_branch .LBB83_150
.LBB83_236:
	s_or_b32 exec_lo, exec_lo, s26
	v_mad_nc_u64_u32 v[0:1], v0, 7, v[130:131]
	v_mad_nc_u64_u32 v[10:11], v68, 7, v[128:129]
	v_dual_add_nc_u32 v15, v12, v14 :: v_dual_mov_b32 v27, 0
	v_mad_nc_u64_u32 v[12:13], v70, 7, v[118:119]
	v_mad_nc_u64_u32 v[18:19], v82, 7, v[116:117]
	;; [unrolled: 1-line block ×3, first 2 shown]
	s_barrier_signal -1
	s_barrier_wait -1
	ds_store_b8 v130, v193
	ds_store_b8 v128, v194
	;; [unrolled: 1-line block ×8, first 2 shown]
	s_wait_dscnt 0x0
	s_barrier_signal -1
	s_barrier_wait -1
	ds_load_u8 v49, v15
	ds_load_u8 v48, v15 offset:256
	ds_load_u8 v39, v15 offset:512
	;; [unrolled: 1-line block ×7, first 2 shown]
	s_wait_dscnt 0x0
	s_barrier_signal -1
	v_mad_nc_u64_u32 v[52:53], v84, 7, v[112:113]
	s_barrier_wait -1
	ds_store_b64 v0, v[16:17]
	ds_store_b64 v10, v[20:21]
	;; [unrolled: 1-line block ×4, first 2 shown]
	v_mul_u32_u24_e32 v0, 7, v14
	v_mad_nc_u64_u32 v[54:55], v86, 7, v[102:103]
	v_mad_nc_u64_u32 v[64:65], v96, 7, v[100:101]
	ds_store_b64 v50, v[24:25]
	ds_store_b64 v52, v[30:31]
	;; [unrolled: 1-line block ×4, first 2 shown]
	v_add_nc_u32_e32 v0, v15, v0
	s_wait_dscnt 0x0
	s_barrier_signal -1
	s_barrier_wait -1
	ds_load_2addr_stride64_b64 v[22:25], v0 offset1:4
	ds_load_2addr_stride64_b64 v[18:21], v0 offset0:8 offset1:12
	ds_load_2addr_stride64_b64 v[14:17], v0 offset0:16 offset1:20
	;; [unrolled: 1-line block ×3, first 2 shown]
	v_add_nc_u64_e32 v[0:1], v[2:3], v[8:9]
	s_set_vgpr_msb 4                        ;  msbs: dst=0 src0=0 src1=1 src2=0
	v_cmp_lt_u32_e32 vcc_lo, v26, v20 /*v276*/
	s_wait_dscnt 0x0
	s_barrier_signal -1
	s_barrier_wait -1
	s_set_vgpr_msb 0                        ;  msbs: dst=0 src0=0 src1=0 src2=0
	v_add_nc_u64_e32 v[0:1], v[0:1], v[26:27]
	s_and_saveexec_b32 s0, vcc_lo
	s_cbranch_execz .LBB83_238
; %bb.237:
	v_xor_b32_e32 v2, -1, v49
	flat_store_b8 v[0:1], v2
.LBB83_238:
	s_wait_xcnt 0x0
	s_or_b32 exec_lo, exec_lo, s0
	v_add_nc_u32_e32 v2, 0x100, v26
	s_set_vgpr_msb 4                        ;  msbs: dst=0 src0=0 src1=1 src2=0
	s_delay_alu instid0(VALU_DEP_1)
	v_cmp_lt_u32_e64 s0, v2, v20 /*v276*/
	s_and_saveexec_b32 s1, s0
	s_set_vgpr_msb 0                        ;  msbs: dst=0 src0=0 src1=0 src2=0
	s_cbranch_execz .LBB83_240
; %bb.239:
	v_xor_b32_e32 v2, -1, v48
	flat_store_b8 v[0:1], v2 offset:256
.LBB83_240:
	s_wait_xcnt 0x0
	s_or_b32 exec_lo, exec_lo, s1
	v_add_nc_u32_e32 v2, 0x200, v26
	s_set_vgpr_msb 4                        ;  msbs: dst=0 src0=0 src1=1 src2=0
	s_delay_alu instid0(VALU_DEP_1)
	v_cmp_lt_u32_e64 s1, v2, v20 /*v276*/
	s_and_saveexec_b32 s2, s1
	s_set_vgpr_msb 0                        ;  msbs: dst=0 src0=0 src1=0 src2=0
	s_cbranch_execz .LBB83_242
; %bb.241:
	v_xor_b32_e32 v2, -1, v39
	flat_store_b8 v[0:1], v2 offset:512
.LBB83_242:
	;; [unrolled: 13-line block ×7, first 2 shown]
	s_wait_xcnt 0x0
	s_or_b32 exec_lo, exec_lo, s7
	v_lshl_add_u64 v[0:1], v[8:9], 3, v[6:7]
	s_delay_alu instid0(VALU_DEP_1)
	v_lshl_add_u64 v[0:1], v[26:27], 3, v[0:1]
	s_and_saveexec_b32 s7, vcc_lo
	s_cbranch_execnz .LBB83_302
; %bb.253:
	s_or_b32 exec_lo, exec_lo, s7
	s_and_saveexec_b32 s7, s0
	s_cbranch_execnz .LBB83_303
.LBB83_254:
	s_or_b32 exec_lo, exec_lo, s7
	s_and_saveexec_b32 s0, s1
	s_cbranch_execnz .LBB83_304
.LBB83_255:
	s_or_b32 exec_lo, exec_lo, s0
	s_and_saveexec_b32 s0, s2
	s_cbranch_execnz .LBB83_305
.LBB83_256:
	s_or_b32 exec_lo, exec_lo, s0
	s_and_saveexec_b32 s0, s3
	s_cbranch_execnz .LBB83_306
.LBB83_257:
	s_or_b32 exec_lo, exec_lo, s0
	s_and_saveexec_b32 s0, s4
	s_cbranch_execnz .LBB83_307
.LBB83_258:
	s_or_b32 exec_lo, exec_lo, s0
	s_and_saveexec_b32 s0, s5
	s_cbranch_execnz .LBB83_308
.LBB83_259:
	s_or_b32 exec_lo, exec_lo, s0
	s_and_saveexec_b32 s0, s6
	s_cbranch_execz .LBB83_261
.LBB83_260:
	flat_store_b64 v[0:1], v[12:13] offset:14336
.LBB83_261:
	s_wait_xcnt 0x0
	s_or_b32 exec_lo, exec_lo, s0
                                        ; implicit-def: $vgpr276
                                        ; implicit-def: $vgpr8
                                        ; implicit-def: $vgpr10
                                        ; implicit-def: $vgpr11
                                        ; implicit-def: $vgpr0_vgpr1
                                        ; implicit-def: $vgpr2_vgpr3
                                        ; implicit-def: $vgpr4_vgpr5
                                        ; implicit-def: $vgpr6_vgpr7
                                        ; implicit-def: $vgpr12_vgpr13
                                        ; implicit-def: $vgpr9
                                        ; implicit-def: $vgpr15
                                        ; implicit-def: $vgpr14
                                        ; implicit-def: $vgpr16
.LBB83_262:
	s_and_not1_saveexec_b32 s0, s24
	s_cbranch_execz .LBB83_382
; %bb.263:
	s_mov_b32 s0, exec_lo
	s_set_vgpr_msb 4                        ;  msbs: dst=0 src0=0 src1=1 src2=0
	v_cmpx_lt_u32_e32 0x200, v20 /*v276*/
	s_xor_b32 s20, exec_lo, s0
	s_set_vgpr_msb 0                        ;  msbs: dst=0 src0=0 src1=0 src2=0
	s_cbranch_execz .LBB83_323
; %bb.264:
	s_load_b64 s[0:1], s[8:9], 0x0
	s_bfe_u32 s3, ttmp6, 0x4000c
	s_bfe_u32 s5, ttmp6, 0x40010
	s_and_b32 s4, ttmp7, 0xffff
	s_add_co_i32 s3, s3, 1
	s_add_co_i32 s5, s5, 1
	s_and_b32 s2, ttmp6, 15
	s_bfe_u32 s6, ttmp6, 0x40004
	s_mul_i32 s3, ttmp9, s3
	s_mul_i32 s5, s4, s5
	s_add_co_i32 s2, s2, s3
	s_add_co_i32 s6, s6, s5
	s_cmp_eq_u32 s23, 0
	s_mov_b32 s3, 0
	s_cselect_b32 s2, ttmp9, s2
	s_cselect_b32 s4, s4, s6
	s_wait_kmcnt 0x0
	s_cmp_lt_u32 s2, s0
	s_cselect_b32 s2, 12, 18
	s_cmp_lt_u32 s4, s1
	s_mov_b32 s1, s3
	s_cselect_b32 s0, 14, 20
	s_delay_alu instid0(SALU_CYCLE_1)
	s_add_nc_u64 s[0:1], s[8:9], s[0:1]
	s_load_u16 s4, s[0:1], 0x0
	s_wait_xcnt 0x0
	s_add_nc_u64 s[0:1], s[8:9], s[2:3]
	s_load_u16 s0, s[0:1], 0x0
	s_wait_kmcnt 0x0
	v_mad_u32_u24 v9, v15, s4, v9
	s_delay_alu instid0(VALU_DEP_1) | instskip(SKIP_1) | instid1(VALU_DEP_1)
	v_mad_u32 v18, v9, s0, v14
	v_mov_b32_e32 v9, 0
	v_add_nc_u64_e32 v[20:21], v[0:1], v[8:9]
	s_delay_alu instid0(VALU_DEP_3) | instskip(SKIP_2) | instid1(VALU_DEP_3)
	v_dual_mov_b32 v17, v9 :: v_dual_lshlrev_b32 v0, 2, v18
	v_dual_mov_b32 v1, v9 :: v_dual_mov_b32 v19, v9
	v_mov_b32_e32 v15, v9
	v_and_b32_e32 v0, 0xffffff80, v0
	s_delay_alu instid0(VALU_DEP_4) | instskip(NEXT) | instid1(VALU_DEP_2)
	v_add_nc_u64_e32 v[20:21], v[20:21], v[16:17]
	v_or_b32_e32 v23, v0, v16
	s_delay_alu instid0(VALU_DEP_2) | instskip(SKIP_1) | instid1(VALU_DEP_2)
	v_add_nc_u64_e32 v[20:21], v[20:21], v[0:1]
	s_set_vgpr_msb 4                        ;  msbs: dst=0 src0=0 src1=1 src2=0
	v_cmp_lt_u32_e32 vcc_lo, v23, v20 /*v276*/
	s_and_saveexec_b32 s0, vcc_lo
	s_set_vgpr_msb 0                        ;  msbs: dst=0 src0=0 src1=0 src2=0
	s_cbranch_execz .LBB83_266
; %bb.265:
	flat_load_u8 v15, v[20:21]
	v_dual_mov_b32 v17, v9 :: v_dual_mov_b32 v19, v9
.LBB83_266:
	s_wait_xcnt 0x0
	s_or_b32 exec_lo, exec_lo, s0
	v_or_b32_e32 v22, 32, v23
	s_set_vgpr_msb 4                        ;  msbs: dst=0 src0=0 src1=1 src2=0
	s_delay_alu instid0(VALU_DEP_1)
	v_cmp_lt_u32_e64 s0, v22, v20 /*v276*/
	v_mov_b32_e32 v22, v9
	s_and_saveexec_b32 s1, s0
	s_set_vgpr_msb 0                        ;  msbs: dst=0 src0=0 src1=0 src2=0
	s_cbranch_execz .LBB83_268
; %bb.267:
	flat_load_u8 v22, v[20:21] offset:32
.LBB83_268:
	s_wait_xcnt 0x0
	s_or_b32 exec_lo, exec_lo, s1
	v_or_b32_e32 v24, 64, v23
	s_set_vgpr_msb 4                        ;  msbs: dst=0 src0=0 src1=1 src2=0
	s_delay_alu instid0(VALU_DEP_1)
	v_cmp_lt_u32_e64 s1, v24, v20 /*v276*/
	s_and_saveexec_b32 s2, s1
	s_set_vgpr_msb 0                        ;  msbs: dst=0 src0=0 src1=0 src2=0
	s_cbranch_execz .LBB83_270
; %bb.269:
	flat_load_u8 v17, v[20:21] offset:64
.LBB83_270:
	s_wait_xcnt 0x0
	s_or_b32 exec_lo, exec_lo, s2
	v_or_b32_e32 v23, 0x60, v23
	s_set_vgpr_msb 4                        ;  msbs: dst=0 src0=0 src1=1 src2=0
	s_delay_alu instid0(VALU_DEP_1)
	v_cmp_lt_u32_e64 s2, v23, v20 /*v276*/
	s_and_saveexec_b32 s3, s2
	s_set_vgpr_msb 0                        ;  msbs: dst=0 src0=0 src1=0 src2=0
	s_cbranch_execz .LBB83_272
; %bb.271:
	flat_load_u8 v19, v[20:21] offset:96
.LBB83_272:
	s_wait_xcnt 0x0
	s_or_b32 exec_lo, exec_lo, s3
	v_lshl_add_u64 v[4:5], v[8:9], 3, v[4:5]
	v_dual_mov_b32 v21, 0 :: v_dual_lshlrev_b32 v20, 3, v16
                                        ; implicit-def: $vgpr26_vgpr27
	s_delay_alu instid0(VALU_DEP_1) | instskip(NEXT) | instid1(VALU_DEP_1)
	v_add_nc_u64_e32 v[4:5], v[4:5], v[20:21]
	v_lshl_add_u64 v[0:1], v[0:1], 3, v[4:5]
	s_and_saveexec_b32 s3, vcc_lo
	s_cbranch_execnz .LBB83_347
; %bb.273:
	s_or_b32 exec_lo, exec_lo, s3
                                        ; implicit-def: $vgpr28_vgpr29
	s_and_saveexec_b32 s3, s0
	s_cbranch_execnz .LBB83_348
.LBB83_274:
	s_or_b32 exec_lo, exec_lo, s3
                                        ; implicit-def: $vgpr30_vgpr31
	s_and_saveexec_b32 s0, s1
	s_cbranch_execnz .LBB83_349
.LBB83_275:
	s_or_b32 exec_lo, exec_lo, s0
                                        ; implicit-def: $vgpr32_vgpr33
	s_and_saveexec_b32 s0, s2
	s_cbranch_execz .LBB83_277
.LBB83_276:
	flat_load_b64 v[32:33], v[0:1] offset:768
.LBB83_277:
	s_wait_xcnt 0x0
	s_or_b32 exec_lo, exec_lo, s0
	v_lshl_add_u32 v4, v14, 5, v12
	s_wait_loadcnt_dscnt 0x0
	v_xor_b32_e32 v0, -1, v22
	v_xor_b32_e32 v1, -1, v19
	v_and_b32_e32 v20, 0x3e0, v14
	s_get_pc_i64 s[0:1]
	s_add_nc_u64 s[0:1], s[0:1], _ZN7rocprim17ROCPRIM_400000_NS16block_radix_sortIhLj256ELj4ElLj1ELj1ELj8ELNS0_26block_radix_rank_algorithmE2ELNS0_18block_padding_hintE2ELNS0_4arch9wavefront6targetE0EE19radix_bits_per_passE@rel64+4
	v_add_nc_u32_e32 v19, 36, v4
	v_lshlrev_b16 v0, 8, v0
	v_lshlrev_b16 v1, 8, v1
	v_dual_add_nc_u32 v64, 40, v4 :: v_dual_add_nc_u32 v65, 44, v4
	v_dual_add_nc_u32 v66, 48, v4 :: v_dual_add_nc_u32 v67, 52, v4
	s_delay_alu instid0(VALU_DEP_4) | instskip(NEXT) | instid1(VALU_DEP_4)
	v_bitop3_b16 v0, v15, v0, 0xff bitop3:0xce
	v_bitop3_b16 v1, v17, v1, 0xff bitop3:0xce
	v_and_b32_e32 v5, 15, v16
	v_dual_add_nc_u32 v15, 32, v4 :: v_dual_add_nc_u32 v69, 60, v4
	v_lshrrev_b32_e32 v70, 5, v18
	v_and_b32_e32 v0, 0xffff, v0
	v_dual_lshlrev_b32 v1, 16, v1 :: v_dual_add_nc_u32 v68, 56, v4
	v_sub_co_u32 v4, s2, v16, 1
	s_load_b32 s21, s[0:1], 0x0
	v_or_b32_e32 v82, v0, v1
	v_min_u32_e32 v0, 0xe0, v20
	v_and_b32_e32 v1, 16, v16
	v_cmp_gt_i32_e64 s6, 0, v4
	v_cmp_eq_u32_e32 vcc_lo, 0, v5
	s_wait_xcnt 0x0
	v_cmp_lt_u32_e64 s0, 1, v5
	v_or_b32_e32 v0, 31, v0
	v_cmp_lt_u32_e64 s1, 3, v5
	v_cmp_lt_u32_e64 s3, 7, v5
	;; [unrolled: 1-line block ×3, first 2 shown]
	v_cmp_eq_u32_e64 s10, 0, v14
	v_cmp_eq_u32_e64 s5, v14, v0
	v_lshrrev_b32_e32 v0, 3, v14
	v_cmp_eq_u32_e64 s4, 0, v1
	v_dual_cndmask_b32 v1, v4, v16, s6 :: v_dual_lshlrev_b32 v4, 2, v14
	v_cmp_gt_u32_e64 s6, 8, v14
	s_delay_alu instid0(VALU_DEP_4) | instskip(SKIP_3) | instid1(VALU_DEP_2)
	v_and_b32_e32 v0, 0x7c, v0
	s_mov_b32 s24, 0
	s_wait_storecnt 0x0
	v_and_or_b32 v5, 0xf80, v4, v16
	v_dual_sub_nc_u32 v100, v11, v10 :: v_dual_add_nc_u32 v80, v12, v0
	v_dual_lshlrev_b32 v71, 2, v1 :: v_dual_bitop2_b32 v0, 7, v16 bitop3:0x40
	s_delay_alu instid0(VALU_DEP_3) | instskip(SKIP_2) | instid1(VALU_DEP_4)
	v_dual_mov_b32 v1, 0 :: v_dual_add_nc_u32 v81, v12, v5
	v_mul_u32_u24_e32 v5, 7, v5
	v_add_nc_u32_e32 v83, v12, v4
	v_cmp_eq_u32_e64 s11, 0, v0
	v_cmp_lt_u32_e64 s12, 1, v0
	v_cmp_lt_u32_e64 s13, 3, v0
	v_add_nc_u32_e32 v84, v81, v5
	v_mov_b64_e32 v[4:5], 0
	v_dual_add_nc_u32 v85, -4, v80 :: v_dual_add_nc_u32 v86, 32, v81
	v_add_nc_u32_e32 v87, 64, v81
	v_add_nc_u32_e32 v96, 0x60, v81
	;; [unrolled: 1-line block ×5, first 2 shown]
	s_barrier_signal -1
	s_barrier_wait -1
	s_branch .LBB83_279
.LBB83_278:                             ;   in Loop: Header=BB83_279 Depth=1
	s_or_b32 exec_lo, exec_lo, s15
	s_delay_alu instid0(SALU_CYCLE_1) | instskip(NEXT) | instid1(SALU_CYCLE_1)
	s_and_b32 s14, exec_lo, s16
	s_or_b32 s24, s14, s24
	s_delay_alu instid0(SALU_CYCLE_1)
	s_and_not1_b32 exec_lo, exec_lo, s24
	s_cbranch_execz .LBB83_309
.LBB83_279:                             ; =>This Inner Loop Header: Depth=1
	s_wait_kmcnt 0x0
	v_min_u32_e32 v0, s21, v100
	v_and_b32_e32 v16, 0xff, v82
	ds_store_b64 v15, v[4:5]
	ds_store_b64 v64, v[4:5]
	;; [unrolled: 1-line block ×4, first 2 shown]
	s_wait_dscnt 0x0
	v_lshlrev_b32_e64 v34, v0, -1
	v_lshrrev_b32_e32 v0, v10, v16
	s_barrier_signal -1
	s_barrier_wait -1
	s_delay_alu instid0(VALU_DEP_1) | instskip(SKIP_1) | instid1(VALU_DEP_2)
	v_bitop3_b32 v16, v0, 1, v34 bitop3:0x40
	v_bitop3_b32 v0, v0, v34, v0 bitop3:0x30
	; wave barrier
	v_add_co_u32 v16, s14, v16, -1
	s_delay_alu instid0(VALU_DEP_1) | instskip(NEXT) | instid1(VALU_DEP_3)
	v_cndmask_b32_e64 v17, 0, 1, s14
	v_dual_lshlrev_b32 v20, 30, v0 :: v_dual_lshlrev_b32 v21, 29, v0
	v_dual_lshlrev_b32 v22, 28, v0 :: v_dual_lshlrev_b32 v23, 27, v0
	s_delay_alu instid0(VALU_DEP_3) | instskip(NEXT) | instid1(VALU_DEP_3)
	v_cmp_ne_u32_e64 s14, 0, v17
	v_not_b32_e32 v17, v20
	v_dual_lshlrev_b32 v24, 26, v0 :: v_dual_lshlrev_b32 v25, 25, v0
	v_cmp_gt_i32_e64 s15, 0, v20
	v_cmp_gt_i32_e64 s16, 0, v21
	v_not_b32_e32 v20, v21
	v_not_b32_e32 v21, v22
	v_dual_ashrrev_i32 v17, 31, v17 :: v_dual_lshlrev_b32 v35, 24, v0
	v_cmp_gt_i32_e64 s17, 0, v22
	v_cmp_gt_i32_e64 s18, 0, v23
	v_not_b32_e32 v22, v23
	v_xor_b32_e32 v16, s14, v16
	v_dual_ashrrev_i32 v20, 31, v20 :: v_dual_bitop2_b32 v17, s15, v17 bitop3:0x14
	v_ashrrev_i32_e32 v21, 31, v21
	v_not_b32_e32 v23, v24
	v_cmp_gt_i32_e64 s19, 0, v24
	s_delay_alu instid0(VALU_DEP_4) | instskip(SKIP_1) | instid1(VALU_DEP_4)
	v_dual_ashrrev_i32 v22, 31, v22 :: v_dual_bitop2_b32 v20, s16, v20 bitop3:0x14
	v_bitop3_b32 v16, v16, v17, exec_lo bitop3:0x80
	v_ashrrev_i32_e32 v17, 31, v23
	v_not_b32_e32 v23, v25
	v_xor_b32_e32 v21, s17, v21
	v_not_b32_e32 v24, v35
	v_xor_b32_e32 v22, s18, v22
	v_dual_lshlrev_b32 v0, 3, v0 :: v_dual_bitop2_b32 v17, s19, v17 bitop3:0x14
	s_delay_alu instid0(VALU_DEP_4)
	v_bitop3_b32 v16, v16, v21, v20 bitop3:0x80
	v_cmp_gt_i32_e64 s14, 0, v25
	v_ashrrev_i32_e32 v20, 31, v23
	v_cmp_gt_i32_e64 s15, 0, v35
	v_ashrrev_i32_e32 v21, 31, v24
	v_bitop3_b32 v24, v16, v17, v22 bitop3:0x80
	v_add_lshl_u32 v0, v0, v70, 2
	v_xor_b32_e32 v25, s14, v20
	v_mov_b64_e32 v[22:23], v[28:29]
	v_xor_b32_e32 v35, s15, v21
	v_mov_b64_e32 v[16:17], v[26:27]
	v_add_nc_u64_e32 v[26:27], v[12:13], v[0:1]
	v_mov_b64_e32 v[20:21], v[30:31]
	s_delay_alu instid0(VALU_DEP_4) | instskip(SKIP_1) | instid1(VALU_DEP_4)
	v_bitop3_b32 v28, v24, v35, v25 bitop3:0x80
	v_mov_b64_e32 v[24:25], v[32:33]
	v_add_nc_u64_e32 v[26:27], 32, v[26:27]
	s_delay_alu instid0(VALU_DEP_3) | instskip(SKIP_1) | instid1(VALU_DEP_2)
	v_mbcnt_lo_u32_b32 v0, v28, 0
	v_cmp_ne_u32_e64 s15, 0, v28
	v_cmp_eq_u32_e64 s14, 0, v0
	s_and_b32 s15, s15, s14
	s_delay_alu instid0(SALU_CYCLE_1)
	s_and_saveexec_b32 s14, s15
; %bb.280:                              ;   in Loop: Header=BB83_279 Depth=1
	v_bcnt_u32_b32 v27, v28, 0
	ds_store_b32 v26, v27
; %bb.281:                              ;   in Loop: Header=BB83_279 Depth=1
	s_or_b32 exec_lo, exec_lo, s14
	v_bfe_u32 v27, v82, 8, 8
	v_not_b32_e32 v33, v34
	; wave barrier
	s_delay_alu instid0(VALU_DEP_2) | instskip(NEXT) | instid1(VALU_DEP_1)
	v_lshrrev_b32_e32 v27, v10, v27
	v_and_b32_e32 v28, v27, v33
	s_delay_alu instid0(VALU_DEP_1) | instskip(SKIP_1) | instid1(VALU_DEP_2)
	v_lshlrev_b32_e32 v31, 30, v28
	v_bitop3_b32 v27, v27, 1, v33 bitop3:0x80
	v_cmp_gt_i32_e64 s15, 0, v31
	s_delay_alu instid0(VALU_DEP_2) | instskip(NEXT) | instid1(VALU_DEP_1)
	v_add_co_u32 v27, s14, v27, -1
	v_cndmask_b32_e64 v30, 0, 1, s14
	s_delay_alu instid0(VALU_DEP_1) | instskip(SKIP_1) | instid1(VALU_DEP_1)
	v_cmp_ne_u32_e64 s14, 0, v30
	v_not_b32_e32 v30, v31
	v_dual_ashrrev_i32 v30, 31, v30 :: v_dual_lshlrev_b32 v32, 29, v28
	v_dual_lshlrev_b32 v34, 28, v28 :: v_dual_lshlrev_b32 v35, 27, v28
	v_lshlrev_b32_e32 v36, 26, v28
	v_lshl_add_u32 v29, v28, 3, v70
	s_delay_alu instid0(VALU_DEP_4)
	v_cmp_gt_i32_e64 s16, 0, v32
	v_not_b32_e32 v31, v32
	v_not_b32_e32 v32, v34
	v_dual_lshlrev_b32 v37, 25, v28 :: v_dual_lshlrev_b32 v28, 24, v28
	v_cmp_gt_i32_e64 s17, 0, v34
	v_cmp_gt_i32_e64 s18, 0, v35
	v_not_b32_e32 v34, v35
	v_dual_ashrrev_i32 v32, 31, v32 :: v_dual_bitop2_b32 v27, s14, v27 bitop3:0x14
	v_dual_ashrrev_i32 v31, 31, v31 :: v_dual_bitop2_b32 v30, s15, v30 bitop3:0x14
	v_not_b32_e32 v35, v36
	v_cmp_gt_i32_e64 s19, 0, v36
	s_delay_alu instid0(VALU_DEP_3)
	v_dual_ashrrev_i32 v34, 31, v34 :: v_dual_bitop2_b32 v31, s16, v31 bitop3:0x14
	v_xor_b32_e32 v32, s17, v32
	v_bitop3_b32 v27, v27, v30, exec_lo bitop3:0x80
	v_ashrrev_i32_e32 v30, 31, v35
	v_not_b32_e32 v35, v37
	v_not_b32_e32 v36, v28
	v_xor_b32_e32 v34, s18, v34
	v_bitop3_b32 v27, v27, v32, v31 bitop3:0x80
	v_xor_b32_e32 v30, s19, v30
	v_cmp_gt_i32_e64 s14, 0, v37
	v_ashrrev_i32_e32 v31, 31, v35
	v_cmp_gt_i32_e64 s15, 0, v28
	v_ashrrev_i32_e32 v28, 31, v36
	v_lshl_add_u32 v29, v29, 2, v12
	v_bitop3_b32 v30, v27, v30, v34 bitop3:0x80
	v_xor_b32_e32 v31, s14, v31
	s_delay_alu instid0(VALU_DEP_4) | instskip(SKIP_3) | instid1(VALU_DEP_1)
	v_xor_b32_e32 v28, s15, v28
	ds_load_b32 v27, v29 offset:32
	v_add_nc_u32_e32 v29, 32, v29
	; wave barrier
	v_bitop3_b32 v30, v30, v28, v31 bitop3:0x80
	v_mbcnt_lo_u32_b32 v28, v30, 0
	v_cmp_ne_u32_e64 s15, 0, v30
	s_delay_alu instid0(VALU_DEP_2) | instskip(SKIP_1) | instid1(SALU_CYCLE_1)
	v_cmp_eq_u32_e64 s14, 0, v28
	s_and_b32 s15, s15, s14
	s_and_saveexec_b32 s14, s15
	s_cbranch_execz .LBB83_283
; %bb.282:                              ;   in Loop: Header=BB83_279 Depth=1
	s_wait_dscnt 0x0
	v_bcnt_u32_b32 v30, v30, v27
	ds_store_b32 v29, v30
.LBB83_283:                             ;   in Loop: Header=BB83_279 Depth=1
	s_or_b32 exec_lo, exec_lo, s14
	v_bfe_u32 v30, v82, 16, 8
	; wave barrier
	s_delay_alu instid0(VALU_DEP_1) | instskip(NEXT) | instid1(VALU_DEP_1)
	v_lshrrev_b32_e32 v30, v10, v30
	v_and_b32_e32 v31, v30, v33
	s_delay_alu instid0(VALU_DEP_1) | instskip(SKIP_1) | instid1(VALU_DEP_2)
	v_lshlrev_b32_e32 v35, 30, v31
	v_bitop3_b32 v30, v30, 1, v33 bitop3:0x80
	v_cmp_gt_i32_e64 s15, 0, v35
	s_delay_alu instid0(VALU_DEP_2) | instskip(NEXT) | instid1(VALU_DEP_1)
	v_add_co_u32 v30, s14, v30, -1
	v_cndmask_b32_e64 v34, 0, 1, s14
	s_delay_alu instid0(VALU_DEP_1) | instskip(SKIP_1) | instid1(VALU_DEP_1)
	v_cmp_ne_u32_e64 s14, 0, v34
	v_not_b32_e32 v34, v35
	v_dual_ashrrev_i32 v34, 31, v34 :: v_dual_lshlrev_b32 v36, 29, v31
	v_dual_lshlrev_b32 v37, 28, v31 :: v_dual_lshlrev_b32 v38, 27, v31
	v_lshlrev_b32_e32 v39, 26, v31
	v_lshl_add_u32 v32, v31, 3, v70
	s_delay_alu instid0(VALU_DEP_4)
	v_cmp_gt_i32_e64 s16, 0, v36
	v_not_b32_e32 v35, v36
	v_not_b32_e32 v36, v37
	v_dual_lshlrev_b32 v48, 25, v31 :: v_dual_lshlrev_b32 v31, 24, v31
	v_cmp_gt_i32_e64 s17, 0, v37
	v_cmp_gt_i32_e64 s18, 0, v38
	v_not_b32_e32 v37, v38
	v_not_b32_e32 v38, v39
	v_dual_ashrrev_i32 v35, 31, v35 :: v_dual_bitop2_b32 v30, s14, v30 bitop3:0x14
	v_dual_ashrrev_i32 v36, 31, v36 :: v_dual_bitop2_b32 v34, s15, v34 bitop3:0x14
	v_cmp_gt_i32_e64 s19, 0, v39
	s_delay_alu instid0(VALU_DEP_4) | instskip(SKIP_1) | instid1(VALU_DEP_4)
	v_dual_ashrrev_i32 v37, 31, v37 :: v_dual_ashrrev_i32 v38, 31, v38
	v_not_b32_e32 v39, v31
	v_xor_b32_e32 v36, s17, v36
	v_bitop3_b32 v30, v30, v34, exec_lo bitop3:0x80
	v_not_b32_e32 v34, v48
	v_xor_b32_e32 v35, s16, v35
	v_xor_b32_e32 v38, s19, v38
	v_cmp_gt_i32_e64 s14, 0, v48
	v_cmp_gt_i32_e64 s15, 0, v31
	v_dual_ashrrev_i32 v34, 31, v34 :: v_dual_ashrrev_i32 v31, 31, v39
	v_bitop3_b32 v30, v30, v36, v35 bitop3:0x80
	v_lshl_add_u32 v32, v32, 2, v12
	v_xor_b32_e32 v37, s18, v37
	s_delay_alu instid0(VALU_DEP_4) | instskip(SKIP_1) | instid1(VALU_DEP_3)
	v_xor_b32_e32 v34, s14, v34
	v_xor_b32_e32 v31, s15, v31
	v_bitop3_b32 v35, v30, v38, v37 bitop3:0x80
	ds_load_b32 v30, v32 offset:32
	v_add_nc_u32_e32 v32, 32, v32
	; wave barrier
	v_bitop3_b32 v34, v35, v31, v34 bitop3:0x80
	s_delay_alu instid0(VALU_DEP_1) | instskip(SKIP_1) | instid1(VALU_DEP_2)
	v_mbcnt_lo_u32_b32 v31, v34, 0
	v_cmp_ne_u32_e64 s15, 0, v34
	v_cmp_eq_u32_e64 s14, 0, v31
	s_and_b32 s15, s15, s14
	s_delay_alu instid0(SALU_CYCLE_1)
	s_and_saveexec_b32 s14, s15
	s_cbranch_execz .LBB83_285
; %bb.284:                              ;   in Loop: Header=BB83_279 Depth=1
	s_wait_dscnt 0x0
	v_bcnt_u32_b32 v34, v34, v30
	ds_store_b32 v32, v34
.LBB83_285:                             ;   in Loop: Header=BB83_279 Depth=1
	s_or_b32 exec_lo, exec_lo, s14
	v_lshrrev_b32_e32 v101, 24, v82
	; wave barrier
	s_delay_alu instid0(VALU_DEP_1) | instskip(NEXT) | instid1(VALU_DEP_1)
	v_lshrrev_b32_e32 v34, v10, v101
	v_and_b32_e32 v35, v34, v33
	s_delay_alu instid0(VALU_DEP_1) | instskip(SKIP_3) | instid1(VALU_DEP_3)
	v_lshlrev_b32_e32 v37, 30, v35
	v_bitop3_b32 v33, v34, 1, v33 bitop3:0x80
	v_dual_lshlrev_b32 v38, 29, v35 :: v_dual_lshlrev_b32 v39, 28, v35
	v_dual_lshlrev_b32 v48, 27, v35 :: v_dual_lshlrev_b32 v49, 26, v35
	v_add_co_u32 v33, s14, v33, -1
	s_delay_alu instid0(VALU_DEP_1)
	v_cndmask_b32_e64 v36, 0, 1, s14
	v_cmp_gt_i32_e64 s15, 0, v37
	v_cmp_gt_i32_e64 s16, 0, v38
	v_lshl_add_u32 v34, v35, 3, v70
	v_dual_lshlrev_b32 v50, 25, v35 :: v_dual_lshlrev_b32 v35, 24, v35
	v_cmp_ne_u32_e64 s14, 0, v36
	v_not_b32_e32 v36, v37
	v_not_b32_e32 v37, v38
	;; [unrolled: 1-line block ×3, first 2 shown]
	v_cmp_gt_i32_e64 s17, 0, v39
	v_cmp_gt_i32_e64 s18, 0, v48
	v_dual_ashrrev_i32 v36, 31, v36 :: v_dual_bitop2_b32 v33, s14, v33 bitop3:0x14
	v_not_b32_e32 v39, v48
	v_not_b32_e32 v48, v49
	v_dual_ashrrev_i32 v37, 31, v37 :: v_dual_ashrrev_i32 v38, 31, v38
	s_delay_alu instid0(VALU_DEP_3) | instskip(SKIP_1) | instid1(VALU_DEP_3)
	v_dual_ashrrev_i32 v39, 31, v39 :: v_dual_bitop2_b32 v36, s15, v36 bitop3:0x14
	v_cmp_gt_i32_e64 s19, 0, v49
	v_dual_ashrrev_i32 v48, 31, v48 :: v_dual_bitop2_b32 v37, s16, v37 bitop3:0x14
	s_delay_alu instid0(VALU_DEP_3)
	v_bitop3_b32 v33, v33, v36, exec_lo bitop3:0x80
	v_not_b32_e32 v36, v50
	v_xor_b32_e32 v38, s17, v38
	v_not_b32_e32 v49, v35
	v_xor_b32_e32 v39, s18, v39
	v_cmp_gt_i32_e64 s14, 0, v50
	v_ashrrev_i32_e32 v36, 31, v36
	v_bitop3_b32 v33, v33, v38, v37 bitop3:0x80
	v_cmp_gt_i32_e64 s15, 0, v35
	v_ashrrev_i32_e32 v35, 31, v49
	v_lshl_add_u32 v37, v34, 2, v12
	v_xor_b32_e32 v48, s19, v48
	v_xor_b32_e32 v36, s14, v36
	s_delay_alu instid0(VALU_DEP_4) | instskip(NEXT) | instid1(VALU_DEP_3)
	v_xor_b32_e32 v35, s15, v35
	v_bitop3_b32 v34, v33, v48, v39 bitop3:0x80
	ds_load_b32 v33, v37 offset:32
	; wave barrier
	v_bitop3_b32 v36, v34, v35, v36 bitop3:0x80
	v_add_nc_u32_e32 v35, 32, v37
	s_delay_alu instid0(VALU_DEP_2) | instskip(SKIP_1) | instid1(VALU_DEP_2)
	v_mbcnt_lo_u32_b32 v34, v36, 0
	v_cmp_ne_u32_e64 s15, 0, v36
	v_cmp_eq_u32_e64 s14, 0, v34
	s_and_b32 s15, s15, s14
	s_delay_alu instid0(SALU_CYCLE_1)
	s_and_saveexec_b32 s14, s15
	s_cbranch_execz .LBB83_287
; %bb.286:                              ;   in Loop: Header=BB83_279 Depth=1
	s_wait_dscnt 0x0
	v_bcnt_u32_b32 v36, v36, v33
	ds_store_b32 v35, v36
.LBB83_287:                             ;   in Loop: Header=BB83_279 Depth=1
	s_or_b32 exec_lo, exec_lo, s14
	; wave barrier
	s_wait_dscnt 0x0
	s_barrier_signal -1
	s_barrier_wait -1
	ds_load_b32 v37, v15
	ds_load_b32 v38, v19
	;; [unrolled: 1-line block ×8, first 2 shown]
	s_wait_dscnt 0x6
	v_add_nc_u32_e32 v52, v38, v37
	s_wait_dscnt 0x4
	s_delay_alu instid0(VALU_DEP_1) | instskip(SKIP_1) | instid1(VALU_DEP_1)
	v_add3_u32 v52, v52, v39, v48
	s_wait_dscnt 0x2
	v_add3_u32 v52, v52, v49, v50
	s_wait_dscnt 0x0
	s_delay_alu instid0(VALU_DEP_1) | instskip(NEXT) | instid1(VALU_DEP_1)
	v_add3_u32 v51, v52, v36, v51
	v_mov_b32_dpp v52, v51 row_shr:1 row_mask:0xf bank_mask:0xf
	s_delay_alu instid0(VALU_DEP_1) | instskip(NEXT) | instid1(VALU_DEP_1)
	v_cndmask_b32_e64 v52, v52, 0, vcc_lo
	v_add_nc_u32_e32 v51, v52, v51
	s_delay_alu instid0(VALU_DEP_1) | instskip(NEXT) | instid1(VALU_DEP_1)
	v_mov_b32_dpp v52, v51 row_shr:2 row_mask:0xf bank_mask:0xf
	v_cndmask_b32_e64 v52, 0, v52, s0
	s_delay_alu instid0(VALU_DEP_1) | instskip(NEXT) | instid1(VALU_DEP_1)
	v_add_nc_u32_e32 v51, v51, v52
	v_mov_b32_dpp v52, v51 row_shr:4 row_mask:0xf bank_mask:0xf
	s_delay_alu instid0(VALU_DEP_1) | instskip(NEXT) | instid1(VALU_DEP_1)
	v_cndmask_b32_e64 v52, 0, v52, s1
	v_add_nc_u32_e32 v51, v51, v52
	s_delay_alu instid0(VALU_DEP_1) | instskip(NEXT) | instid1(VALU_DEP_1)
	v_mov_b32_dpp v52, v51 row_shr:8 row_mask:0xf bank_mask:0xf
	v_cndmask_b32_e64 v52, 0, v52, s3
	s_delay_alu instid0(VALU_DEP_1) | instskip(SKIP_3) | instid1(VALU_DEP_1)
	v_add_nc_u32_e32 v51, v51, v52
	ds_swizzle_b32 v52, v51 offset:swizzle(BROADCAST,32,15)
	s_wait_dscnt 0x0
	v_cndmask_b32_e64 v52, v52, 0, s4
	v_add_nc_u32_e32 v51, v51, v52
	s_and_saveexec_b32 s14, s5
; %bb.288:                              ;   in Loop: Header=BB83_279 Depth=1
	ds_store_b32 v80, v51
; %bb.289:                              ;   in Loop: Header=BB83_279 Depth=1
	s_or_b32 exec_lo, exec_lo, s14
	s_wait_dscnt 0x0
	s_barrier_signal -1
	s_barrier_wait -1
	s_and_saveexec_b32 s14, s6
	s_cbranch_execz .LBB83_291
; %bb.290:                              ;   in Loop: Header=BB83_279 Depth=1
	ds_load_b32 v52, v83
	s_wait_dscnt 0x0
	v_mov_b32_dpp v53, v52 row_shr:1 row_mask:0xf bank_mask:0xf
	s_delay_alu instid0(VALU_DEP_1) | instskip(NEXT) | instid1(VALU_DEP_1)
	v_cndmask_b32_e64 v53, v53, 0, s11
	v_add_nc_u32_e32 v52, v53, v52
	s_delay_alu instid0(VALU_DEP_1) | instskip(NEXT) | instid1(VALU_DEP_1)
	v_mov_b32_dpp v53, v52 row_shr:2 row_mask:0xf bank_mask:0xf
	v_cndmask_b32_e64 v53, 0, v53, s12
	s_delay_alu instid0(VALU_DEP_1) | instskip(NEXT) | instid1(VALU_DEP_1)
	v_add_nc_u32_e32 v52, v52, v53
	v_mov_b32_dpp v53, v52 row_shr:4 row_mask:0xf bank_mask:0xf
	s_delay_alu instid0(VALU_DEP_1) | instskip(NEXT) | instid1(VALU_DEP_1)
	v_cndmask_b32_e64 v53, 0, v53, s13
	v_add_nc_u32_e32 v52, v52, v53
	ds_store_b32 v83, v52
.LBB83_291:                             ;   in Loop: Header=BB83_279 Depth=1
	s_or_b32 exec_lo, exec_lo, s14
	v_mov_b32_e32 v52, 0
	s_wait_dscnt 0x0
	s_barrier_signal -1
	s_barrier_wait -1
	s_and_saveexec_b32 s14, s7
; %bb.292:                              ;   in Loop: Header=BB83_279 Depth=1
	ds_load_b32 v52, v85
; %bb.293:                              ;   in Loop: Header=BB83_279 Depth=1
	s_or_b32 exec_lo, exec_lo, s14
	s_wait_dscnt 0x0
	v_dual_mov_b32 v102, v82 :: v_dual_add_nc_u32 v51, v52, v51
	s_mov_b32 s16, -1
	s_mov_b32 s15, exec_lo
	v_add_nc_u32_e32 v10, 8, v10
	ds_bpermute_b32 v51, v71, v51
	s_wait_dscnt 0x0
	v_dual_lshrrev_b32 v103, 8, v82 :: v_dual_cndmask_b32 v51, v51, v52, s2
	s_delay_alu instid0(VALU_DEP_1) | instskip(NEXT) | instid1(VALU_DEP_1)
	v_cndmask_b32_e64 v51, v51, 0, s10
	v_add_nc_u32_e32 v37, v51, v37
	s_delay_alu instid0(VALU_DEP_1) | instskip(NEXT) | instid1(VALU_DEP_1)
	v_add_nc_u32_e32 v38, v37, v38
	v_add_nc_u32_e32 v39, v38, v39
	s_delay_alu instid0(VALU_DEP_1) | instskip(NEXT) | instid1(VALU_DEP_1)
	v_add_nc_u32_e32 v48, v39, v48
	v_add_nc_u32_e32 v49, v48, v49
	s_delay_alu instid0(VALU_DEP_1)
	v_add_nc_u32_e32 v50, v49, v50
	ds_store_b32 v15, v51
	ds_store_b32 v19, v37
	;; [unrolled: 1-line block ×3, first 2 shown]
	v_dual_mov_b32 v37, v1 :: v_dual_add_nc_u32 v36, v50, v36
	ds_store_b32 v65, v39
	ds_store_b32 v66, v48
	ds_store_b32 v67, v49
	ds_store_b32 v68, v50
	ds_store_b32 v69, v36
	s_wait_dscnt 0x0
	s_barrier_signal -1
	s_barrier_wait -1
	ds_load_b32 v26, v26
	ds_load_b32 v29, v29
	;; [unrolled: 1-line block ×4, first 2 shown]
	v_dual_mov_b32 v49, v1 :: v_dual_mov_b32 v39, v1
	s_wait_dscnt 0x0
	v_add_nc_u32_e32 v48, v26, v0
	v_add3_u32 v0, v28, v27, v29
	v_add3_u32 v38, v31, v30, v32
	;; [unrolled: 1-line block ×3, first 2 shown]
                                        ; implicit-def: $vgpr26_vgpr27
                                        ; implicit-def: $vgpr28_vgpr29
                                        ; implicit-def: $vgpr30_vgpr31
                                        ; implicit-def: $vgpr32_vgpr33
	s_delay_alu instid0(VALU_DEP_4) | instskip(NEXT) | instid1(VALU_DEP_4)
	v_add_nc_u64_e32 v[54:55], v[12:13], v[48:49]
	v_add_nc_u64_e32 v[52:53], v[12:13], v[0:1]
	s_delay_alu instid0(VALU_DEP_4) | instskip(NEXT) | instid1(VALU_DEP_3)
	v_add_nc_u64_e32 v[50:51], v[12:13], v[38:39]
	v_mad_nc_u64_u32 v[34:35], v48, 7, v[54:55]
	v_add_nc_u64_e32 v[48:49], v[12:13], v[36:37]
	v_lshrrev_b32_e32 v35, 16, v82
	v_cmpx_lt_u32_e64 v10, v11
	s_cbranch_execz .LBB83_278
; %bb.294:                              ;   in Loop: Header=BB83_279 Depth=1
	v_mad_nc_u64_u32 v[26:27], v0, 7, v[52:53]
	v_mad_nc_u64_u32 v[28:29], v38, 7, v[50:51]
	s_barrier_signal -1
	s_barrier_wait -1
	ds_store_b8 v54, v82
	ds_store_b8 v52, v103
	;; [unrolled: 1-line block ×4, first 2 shown]
	s_wait_dscnt 0x0
	s_barrier_signal -1
	s_barrier_wait -1
	ds_load_u8 v37, v86
	v_mad_nc_u64_u32 v[30:31], v36, 7, v[48:49]
	ds_load_u8 v39, v81
	ds_load_u8 v55, v96
	;; [unrolled: 1-line block ×3, first 2 shown]
	s_wait_dscnt 0x0
	s_barrier_signal -1
	s_barrier_wait -1
	ds_store_b64 v34, v[16:17]
	ds_store_b64 v26, v[22:23]
	;; [unrolled: 1-line block ×4, first 2 shown]
	s_wait_dscnt 0x0
	s_barrier_signal -1
	s_barrier_wait -1
	ds_load_b64 v[26:27], v84
	ds_load_b64 v[28:29], v97
	;; [unrolled: 1-line block ×4, first 2 shown]
	v_add_nc_u32_e32 v100, -8, v100
	s_xor_b32 s16, exec_lo, -1
	s_wait_dscnt 0x0
	s_barrier_signal -1
	s_barrier_wait -1
	v_perm_b32 v37, v39, v37, 0xc0c0004
	v_perm_b32 v39, v82, v55, 0xc0c0004
	s_delay_alu instid0(VALU_DEP_1)
	v_lshl_or_b32 v82, v39, 16, v37
	s_branch .LBB83_278
.LBB83_295:
	flat_load_b64 v[52:53], v[0:1]
	s_wait_xcnt 0x0
	s_or_b32 exec_lo, exec_lo, s7
                                        ; implicit-def: $vgpr54_vgpr55
	s_and_saveexec_b32 s7, s0
	s_cbranch_execz .LBB83_171
.LBB83_296:
	flat_load_b64 v[54:55], v[0:1] offset:256
	s_wait_xcnt 0x0
	s_or_b32 exec_lo, exec_lo, s7
                                        ; implicit-def: $vgpr66_vgpr67
	s_and_saveexec_b32 s0, s1
	s_cbranch_execz .LBB83_172
.LBB83_297:
	flat_load_b64 v[66:67], v[0:1] offset:512
	s_wait_xcnt 0x0
	s_or_b32 exec_lo, exec_lo, s0
                                        ; implicit-def: $vgpr36_vgpr37
	s_and_saveexec_b32 s0, s2
	s_cbranch_execz .LBB83_173
.LBB83_298:
	flat_load_b64 v[36:37], v[0:1] offset:768
	s_wait_xcnt 0x0
	s_or_b32 exec_lo, exec_lo, s0
                                        ; implicit-def: $vgpr38_vgpr39
	s_and_saveexec_b32 s0, s3
	s_cbranch_execz .LBB83_174
.LBB83_299:
	flat_load_b64 v[38:39], v[0:1] offset:1024
	s_wait_xcnt 0x0
	s_or_b32 exec_lo, exec_lo, s0
                                        ; implicit-def: $vgpr48_vgpr49
	s_and_saveexec_b32 s0, s4
	s_cbranch_execz .LBB83_175
.LBB83_300:
	flat_load_b64 v[48:49], v[0:1] offset:1280
	s_wait_xcnt 0x0
	s_or_b32 exec_lo, exec_lo, s0
                                        ; implicit-def: $vgpr50_vgpr51
	s_and_saveexec_b32 s0, s5
	s_cbranch_execz .LBB83_176
.LBB83_301:
	flat_load_b64 v[50:51], v[0:1] offset:1536
	s_wait_xcnt 0x0
	s_or_b32 exec_lo, exec_lo, s0
                                        ; implicit-def: $vgpr64_vgpr65
	s_and_saveexec_b32 s0, s6
	s_cbranch_execnz .LBB83_177
	s_branch .LBB83_178
.LBB83_302:
	flat_store_b64 v[0:1], v[22:23]
	s_wait_xcnt 0x0
	s_or_b32 exec_lo, exec_lo, s7
	s_and_saveexec_b32 s7, s0
	s_cbranch_execz .LBB83_254
.LBB83_303:
	flat_store_b64 v[0:1], v[24:25] offset:2048
	s_wait_xcnt 0x0
	s_or_b32 exec_lo, exec_lo, s7
	s_and_saveexec_b32 s0, s1
	s_cbranch_execz .LBB83_255
.LBB83_304:
	flat_store_b64 v[0:1], v[18:19] offset:4096
	s_wait_xcnt 0x0
	s_or_b32 exec_lo, exec_lo, s0
	s_and_saveexec_b32 s0, s2
	s_cbranch_execz .LBB83_256
.LBB83_305:
	flat_store_b64 v[0:1], v[20:21] offset:6144
	s_wait_xcnt 0x0
	s_or_b32 exec_lo, exec_lo, s0
	s_and_saveexec_b32 s0, s3
	s_cbranch_execz .LBB83_257
.LBB83_306:
	flat_store_b64 v[0:1], v[14:15] offset:8192
	s_wait_xcnt 0x0
	s_or_b32 exec_lo, exec_lo, s0
	s_and_saveexec_b32 s0, s4
	s_cbranch_execz .LBB83_258
.LBB83_307:
	flat_store_b64 v[0:1], v[16:17] offset:10240
	s_wait_xcnt 0x0
	s_or_b32 exec_lo, exec_lo, s0
	s_and_saveexec_b32 s0, s5
	s_cbranch_execz .LBB83_259
.LBB83_308:
	flat_store_b64 v[0:1], v[10:11] offset:12288
	s_wait_xcnt 0x0
	s_or_b32 exec_lo, exec_lo, s0
	s_and_saveexec_b32 s0, s6
	s_cbranch_execnz .LBB83_260
	s_branch .LBB83_261
.LBB83_309:
	s_or_b32 exec_lo, exec_lo, s24
	v_mad_nc_u64_u32 v[0:1], v0, 7, v[52:53]
	v_mad_nc_u64_u32 v[10:11], v38, 7, v[50:51]
	v_dual_add_nc_u32 v15, v12, v14 :: v_dual_mov_b32 v19, 0
	v_mad_nc_u64_u32 v[12:13], v36, 7, v[48:49]
	v_mul_u32_u24_e32 v1, 7, v14
	s_barrier_signal -1
	s_barrier_wait -1
	ds_store_b8 v54, v102
	ds_store_b8 v52, v103
	;; [unrolled: 1-line block ×4, first 2 shown]
	s_wait_dscnt 0x0
	s_barrier_signal -1
	s_barrier_wait -1
	ds_load_u8 v27, v15
	ds_load_u8 v26, v15 offset:256
	ds_load_u8 v5, v15 offset:512
	;; [unrolled: 1-line block ×3, first 2 shown]
	s_wait_dscnt 0x0
	s_barrier_signal -1
	s_barrier_wait -1
	ds_store_b64 v34, v[16:17]
	ds_store_b64 v0, v[22:23]
	;; [unrolled: 1-line block ×4, first 2 shown]
	v_add_nc_u32_e32 v0, v15, v1
	s_wait_dscnt 0x0
	s_barrier_signal -1
	s_barrier_wait -1
	ds_load_2addr_stride64_b64 v[14:17], v0 offset1:4
	ds_load_2addr_stride64_b64 v[10:13], v0 offset0:8 offset1:12
	v_add_nc_u64_e32 v[0:1], v[2:3], v[8:9]
	s_set_vgpr_msb 4                        ;  msbs: dst=0 src0=0 src1=1 src2=0
	v_cmp_lt_u32_e32 vcc_lo, v18, v20 /*v276*/
	s_wait_dscnt 0x0
	s_barrier_signal -1
	s_barrier_wait -1
	s_set_vgpr_msb 0                        ;  msbs: dst=0 src0=0 src1=0 src2=0
	v_add_nc_u64_e32 v[0:1], v[0:1], v[18:19]
	s_and_saveexec_b32 s0, vcc_lo
	s_cbranch_execz .LBB83_311
; %bb.310:
	v_xor_b32_e32 v2, -1, v27
	flat_store_b8 v[0:1], v2
.LBB83_311:
	s_wait_xcnt 0x0
	s_or_b32 exec_lo, exec_lo, s0
	v_add_nc_u32_e32 v2, 0x100, v18
	s_set_vgpr_msb 4                        ;  msbs: dst=0 src0=0 src1=1 src2=0
	s_delay_alu instid0(VALU_DEP_1)
	v_cmp_lt_u32_e64 s0, v2, v20 /*v276*/
	s_and_saveexec_b32 s1, s0
	s_set_vgpr_msb 0                        ;  msbs: dst=0 src0=0 src1=0 src2=0
	s_cbranch_execz .LBB83_313
; %bb.312:
	v_xor_b32_e32 v2, -1, v26
	flat_store_b8 v[0:1], v2 offset:256
.LBB83_313:
	s_wait_xcnt 0x0
	s_or_b32 exec_lo, exec_lo, s1
	v_add_nc_u32_e32 v2, 0x200, v18
	s_set_vgpr_msb 4                        ;  msbs: dst=0 src0=0 src1=1 src2=0
	s_delay_alu instid0(VALU_DEP_1)
	v_cmp_lt_u32_e64 s1, v2, v20 /*v276*/
	s_and_saveexec_b32 s2, s1
	s_set_vgpr_msb 0                        ;  msbs: dst=0 src0=0 src1=0 src2=0
	s_cbranch_execz .LBB83_315
; %bb.314:
	v_xor_b32_e32 v2, -1, v5
	flat_store_b8 v[0:1], v2 offset:512
.LBB83_315:
	;; [unrolled: 13-line block ×3, first 2 shown]
	s_wait_xcnt 0x0
	s_or_b32 exec_lo, exec_lo, s3
	v_lshl_add_u64 v[0:1], v[8:9], 3, v[6:7]
	s_delay_alu instid0(VALU_DEP_1)
	v_lshl_add_u64 v[0:1], v[18:19], 3, v[0:1]
	s_and_saveexec_b32 s3, vcc_lo
	s_cbranch_execnz .LBB83_350
; %bb.318:
	s_or_b32 exec_lo, exec_lo, s3
	s_and_saveexec_b32 s3, s0
	s_cbranch_execnz .LBB83_351
.LBB83_319:
	s_or_b32 exec_lo, exec_lo, s3
	s_and_saveexec_b32 s0, s1
	s_cbranch_execnz .LBB83_352
.LBB83_320:
	s_or_b32 exec_lo, exec_lo, s0
	s_and_saveexec_b32 s0, s2
	s_cbranch_execz .LBB83_322
.LBB83_321:
	flat_store_b64 v[0:1], v[12:13] offset:6144
.LBB83_322:
	s_wait_xcnt 0x0
	s_or_b32 exec_lo, exec_lo, s0
                                        ; implicit-def: $vgpr276
                                        ; implicit-def: $vgpr8
                                        ; implicit-def: $vgpr10
                                        ; implicit-def: $vgpr11
                                        ; implicit-def: $vgpr0_vgpr1
                                        ; implicit-def: $vgpr2_vgpr3
                                        ; implicit-def: $vgpr4_vgpr5
                                        ; implicit-def: $vgpr6_vgpr7
                                        ; implicit-def: $vgpr12_vgpr13
                                        ; implicit-def: $vgpr9
                                        ; implicit-def: $vgpr15
                                        ; implicit-def: $vgpr14
                                        ; implicit-def: $vgpr16
.LBB83_323:
	s_and_not1_saveexec_b32 s0, s20
	s_cbranch_execz .LBB83_382
; %bb.324:
	s_load_b64 s[0:1], s[8:9], 0x0
	s_bfe_u32 s3, ttmp6, 0x4000c
	s_bfe_u32 s5, ttmp6, 0x40010
	s_and_b32 s4, ttmp7, 0xffff
	s_add_co_i32 s3, s3, 1
	s_add_co_i32 s5, s5, 1
	s_and_b32 s2, ttmp6, 15
	s_bfe_u32 s6, ttmp6, 0x40004
	s_mul_i32 s3, ttmp9, s3
	s_mul_i32 s5, s4, s5
	s_add_co_i32 s2, s2, s3
	s_add_co_i32 s6, s6, s5
	s_cmp_eq_u32 s23, 0
	s_cselect_b32 s2, ttmp9, s2
	s_cselect_b32 s3, s4, s6
	s_wait_kmcnt 0x0
	s_cmp_lt_u32 s2, s0
	s_cselect_b32 s0, 12, 18
	s_cmp_lt_u32 s3, s1
	s_mov_b32 s1, 0
	s_cselect_b32 s2, 14, 20
	s_mov_b32 s3, s1
	s_add_nc_u64 s[0:1], s[8:9], s[0:1]
	s_add_nc_u64 s[2:3], s[8:9], s[2:3]
	s_clause 0x1
	s_load_u16 s0, s[0:1], 0x0
	s_nop 0
	s_load_u16 s2, s[2:3], 0x0
	s_wait_kmcnt 0x0
	v_mad_u32_u24 v9, v15, s2, v9
	s_delay_alu instid0(VALU_DEP_1)
	v_mad_u32 v18, v9, s0, v14
	v_mov_b32_e32 v9, 0
	s_mov_b32 s0, exec_lo
	s_set_vgpr_msb 4                        ;  msbs: dst=0 src0=0 src1=1 src2=0
	v_cmpx_lt_u32_e32 0x100, v20 /*v276*/
	s_xor_b32 s18, exec_lo, s0
	s_set_vgpr_msb 0                        ;  msbs: dst=0 src0=0 src1=0 src2=0
	s_cbranch_execz .LBB83_362
; %bb.325:
	v_add_nc_u64_e32 v[20:21], v[0:1], v[8:9]
	s_delay_alu instid0(VALU_DEP_4) | instskip(NEXT) | instid1(VALU_DEP_1)
	v_dual_mov_b32 v17, v9 :: v_dual_lshlrev_b32 v0, 1, v18
	v_and_b32_e32 v0, 0xffffffc0, v0
	s_delay_alu instid0(VALU_DEP_2) | instskip(NEXT) | instid1(VALU_DEP_2)
	v_add_nc_u64_e32 v[20:21], v[20:21], v[16:17]
	v_dual_mov_b32 v1, v9 :: v_dual_bitop2_b32 v15, v16, v0 bitop3:0x54
	s_delay_alu instid0(VALU_DEP_1) | instskip(SKIP_1) | instid1(VALU_DEP_2)
	v_add_nc_u64_e32 v[20:21], v[20:21], v[0:1]
	s_set_vgpr_msb 4                        ;  msbs: dst=0 src0=0 src1=1 src2=0
	v_cmp_lt_u32_e32 vcc_lo, v15, v20 /*v276*/
	s_and_saveexec_b32 s0, vcc_lo
	s_set_vgpr_msb 0                        ;  msbs: dst=0 src0=0 src1=0 src2=0
	s_cbranch_execz .LBB83_327
; %bb.326:
	flat_load_u8 v17, v[20:21]
.LBB83_327:
	s_wait_xcnt 0x0
	s_or_b32 exec_lo, exec_lo, s0
	v_or_b32_e32 v15, 32, v15
	s_set_vgpr_msb 4                        ;  msbs: dst=0 src0=0 src1=1 src2=0
	s_delay_alu instid0(VALU_DEP_1)
	v_cmp_lt_u32_e64 s0, v15, v20 /*v276*/
	v_mov_b32_e32 v15, v9
	s_and_saveexec_b32 s1, s0
	s_set_vgpr_msb 0                        ;  msbs: dst=0 src0=0 src1=0 src2=0
	s_cbranch_execz .LBB83_329
; %bb.328:
	flat_load_u8 v15, v[20:21] offset:32
.LBB83_329:
	s_wait_xcnt 0x0
	s_or_b32 exec_lo, exec_lo, s1
	v_lshl_add_u64 v[4:5], v[8:9], 3, v[4:5]
	v_dual_mov_b32 v21, 0 :: v_dual_lshlrev_b32 v20, 3, v16
	v_mov_b64_e32 v[24:25], 0
	v_mov_b64_e32 v[22:23], 0
	s_delay_alu instid0(VALU_DEP_3) | instskip(NEXT) | instid1(VALU_DEP_1)
	v_add_nc_u64_e32 v[4:5], v[4:5], v[20:21]
	v_lshl_add_u64 v[0:1], v[0:1], 3, v[4:5]
	s_and_saveexec_b32 s1, vcc_lo
	s_cbranch_execz .LBB83_331
; %bb.330:
	flat_load_b64 v[22:23], v[0:1]
.LBB83_331:
	s_wait_xcnt 0x0
	s_or_b32 exec_lo, exec_lo, s1
	s_and_saveexec_b32 s1, s0
	s_cbranch_execz .LBB83_333
; %bb.332:
	flat_load_b64 v[24:25], v[0:1] offset:256
.LBB83_333:
	s_wait_xcnt 0x0
	s_or_b32 exec_lo, exec_lo, s1
	v_lshl_add_u32 v1, v14, 5, v12
	s_wait_loadcnt_dscnt 0x0
	v_xor_b32_e32 v0, -1, v15
	v_and_b32_e32 v4, 15, v16
	v_and_b32_e32 v5, 0x3e0, v14
	s_get_pc_i64 s[0:1]
	s_add_nc_u64 s[0:1], s[0:1], _ZN7rocprim17ROCPRIM_400000_NS16block_radix_sortIhLj256ELj2ElLj1ELj1ELj8ELNS0_26block_radix_rank_algorithmE2ELNS0_18block_padding_hintE2ELNS0_4arch9wavefront6targetE0EE19radix_bits_per_passE@rel64+4
	v_add_nc_u32_e32 v15, 32, v1
	v_lshlrev_b16 v0, 8, v0
	s_load_b32 s19, s[0:1], 0x0
	v_dual_add_nc_u32 v19, 36, v1 :: v_dual_add_nc_u32 v34, 40, v1
	v_add_nc_u32_e32 v35, 44, v1
	s_delay_alu instid0(VALU_DEP_3) | instskip(SKIP_2) | instid1(VALU_DEP_3)
	v_bitop3_b16 v0, v17, v0, 0xff bitop3:0xce
	v_dual_add_nc_u32 v36, 48, v1 :: v_dual_add_nc_u32 v37, 52, v1
	v_dual_add_nc_u32 v38, 56, v1 :: v_dual_add_nc_u32 v39, 60, v1
	v_and_b32_e32 v49, 0xffff, v0
	v_dual_lshrrev_b32 v48, 5, v18 :: v_dual_bitop2_b32 v1, 16, v16 bitop3:0x40
	v_min_u32_e32 v0, 0xe0, v5
	v_cmp_eq_u32_e32 vcc_lo, 0, v4
	s_wait_xcnt 0x0
	v_cmp_lt_u32_e64 s0, 1, v4
	v_cmp_lt_u32_e64 s1, 3, v4
	v_cmp_lt_u32_e64 s2, 7, v4
	v_sub_co_u32 v4, s3, v16, 1
	v_or_b32_e32 v0, 31, v0
	v_cmp_eq_u32_e64 s4, 0, v1
	v_lshlrev_b32_e32 v1, 1, v14
	s_delay_alu instid0(VALU_DEP_4)
	v_cmp_gt_i32_e64 s6, 0, v4
	v_cmp_lt_u32_e64 s7, 31, v14
	v_cmp_eq_u32_e64 s5, v14, v0
	v_lshrrev_b32_e32 v0, 3, v14
	v_and_or_b32 v1, 0x7c0, v1, v16
	v_cndmask_b32_e64 v4, v4, v16, s6
	v_cmp_gt_u32_e64 s6, 8, v14
	v_cmp_eq_u32_e64 s8, 0, v14
	v_and_b32_e32 v0, 0x7c, v0
	s_delay_alu instid0(VALU_DEP_4) | instskip(SKIP_1) | instid1(VALU_DEP_3)
	v_dual_add_nc_u32 v52, v12, v1 :: v_dual_lshlrev_b32 v50, 2, v4
	v_mul_u32_u24_e32 v4, 7, v1
	v_dual_mov_b32 v1, 0 :: v_dual_add_nc_u32 v51, v12, v0
	v_and_b32_e32 v0, 7, v16
	v_lshl_add_u32 v53, v14, 2, v12
	s_delay_alu instid0(VALU_DEP_4)
	v_dual_add_nc_u32 v54, v52, v4 :: v_dual_sub_nc_u32 v66, v11, v10
	v_mov_b64_e32 v[4:5], 0
	v_add_nc_u32_e32 v55, -4, v51
	v_cmp_eq_u32_e64 s9, 0, v0
	v_cmp_lt_u32_e64 s10, 1, v0
	v_cmp_lt_u32_e64 s11, 3, v0
	v_add_nc_u32_e32 v64, 32, v52
	v_add_nc_u32_e32 v65, 0x100, v54
	s_mov_b32 s20, 0
	s_wait_storecnt 0x0
	s_barrier_signal -1
	s_barrier_wait -1
	s_branch .LBB83_335
.LBB83_334:                             ;   in Loop: Header=BB83_335 Depth=1
	s_or_b32 exec_lo, exec_lo, s13
	s_delay_alu instid0(SALU_CYCLE_1) | instskip(NEXT) | instid1(SALU_CYCLE_1)
	s_and_b32 s12, exec_lo, s14
	s_or_b32 s20, s12, s20
	s_delay_alu instid0(SALU_CYCLE_1)
	s_and_not1_b32 exec_lo, exec_lo, s20
	s_cbranch_execz .LBB83_353
.LBB83_335:                             ; =>This Inner Loop Header: Depth=1
	s_wait_kmcnt 0x0
	v_min_u32_e32 v0, s19, v66
	v_and_b32_e32 v16, 0xff, v49
	ds_store_b64 v15, v[4:5]
	ds_store_b64 v34, v[4:5]
	;; [unrolled: 1-line block ×4, first 2 shown]
	s_wait_dscnt 0x0
	v_lshlrev_b32_e64 v26, v0, -1
	v_lshrrev_b32_e32 v0, v10, v16
	s_barrier_signal -1
	s_barrier_wait -1
	s_delay_alu instid0(VALU_DEP_1) | instskip(SKIP_1) | instid1(VALU_DEP_2)
	v_bitop3_b32 v16, v0, 1, v26 bitop3:0x40
	v_bitop3_b32 v0, v0, v26, v0 bitop3:0x30
	; wave barrier
	v_add_co_u32 v16, s12, v16, -1
	s_delay_alu instid0(VALU_DEP_1) | instskip(NEXT) | instid1(VALU_DEP_3)
	v_cndmask_b32_e64 v17, 0, 1, s12
	v_dual_lshlrev_b32 v20, 30, v0 :: v_dual_lshlrev_b32 v21, 29, v0
	v_dual_lshlrev_b32 v27, 28, v0 :: v_dual_lshlrev_b32 v28, 27, v0
	s_delay_alu instid0(VALU_DEP_3) | instskip(NEXT) | instid1(VALU_DEP_3)
	v_cmp_ne_u32_e64 s12, 0, v17
	v_not_b32_e32 v17, v20
	v_dual_lshlrev_b32 v29, 26, v0 :: v_dual_lshlrev_b32 v30, 25, v0
	v_cmp_gt_i32_e64 s13, 0, v20
	v_cmp_gt_i32_e64 s14, 0, v21
	v_not_b32_e32 v20, v21
	v_not_b32_e32 v21, v27
	v_dual_ashrrev_i32 v17, 31, v17 :: v_dual_lshlrev_b32 v31, 24, v0
	v_cmp_gt_i32_e64 s15, 0, v27
	v_cmp_gt_i32_e64 s16, 0, v28
	v_not_b32_e32 v27, v28
	v_xor_b32_e32 v16, s12, v16
	v_dual_ashrrev_i32 v20, 31, v20 :: v_dual_bitop2_b32 v17, s13, v17 bitop3:0x14
	v_ashrrev_i32_e32 v21, 31, v21
	v_not_b32_e32 v28, v29
	v_cmp_gt_i32_e64 s17, 0, v29
	v_ashrrev_i32_e32 v27, 31, v27
	v_bitop3_b32 v16, v16, v17, exec_lo bitop3:0x80
	s_delay_alu instid0(VALU_DEP_4)
	v_dual_ashrrev_i32 v17, 31, v28 :: v_dual_bitop2_b32 v21, s15, v21 bitop3:0x14
	v_not_b32_e32 v28, v30
	v_not_b32_e32 v29, v31
	v_xor_b32_e32 v20, s14, v20
	v_xor_b32_e32 v27, s16, v27
	v_dual_lshlrev_b32 v0, 3, v0 :: v_dual_bitop2_b32 v17, s17, v17 bitop3:0x14
	v_cmp_gt_i32_e64 s12, 0, v30
	s_delay_alu instid0(VALU_DEP_4)
	v_bitop3_b32 v16, v16, v21, v20 bitop3:0x80
	v_ashrrev_i32_e32 v20, 31, v28
	v_cmp_gt_i32_e64 s13, 0, v31
	v_ashrrev_i32_e32 v21, 31, v29
	v_add_lshl_u32 v0, v0, v48, 2
	v_bitop3_b32 v27, v16, v17, v27 bitop3:0x80
	v_xor_b32_e32 v20, s12, v20
	v_mov_b64_e32 v[16:17], v[24:25]
	v_xor_b32_e32 v21, s13, v21
	s_delay_alu instid0(VALU_DEP_1) | instskip(SKIP_2) | instid1(VALU_DEP_3)
	v_bitop3_b32 v24, v27, v21, v20 bitop3:0x80
	v_mov_b64_e32 v[20:21], v[22:23]
	v_add_nc_u64_e32 v[22:23], v[12:13], v[0:1]
	v_mbcnt_lo_u32_b32 v0, v24, 0
	v_cmp_ne_u32_e64 s13, 0, v24
	s_delay_alu instid0(VALU_DEP_3) | instskip(NEXT) | instid1(VALU_DEP_3)
	v_add_nc_u64_e32 v[22:23], 32, v[22:23]
	v_cmp_eq_u32_e64 s12, 0, v0
	s_and_b32 s13, s13, s12
	s_delay_alu instid0(SALU_CYCLE_1)
	s_and_saveexec_b32 s12, s13
; %bb.336:                              ;   in Loop: Header=BB83_335 Depth=1
	v_bcnt_u32_b32 v23, v24, 0
	ds_store_b32 v22, v23
; %bb.337:                              ;   in Loop: Header=BB83_335 Depth=1
	s_or_b32 exec_lo, exec_lo, s12
	v_lshrrev_b16 v67, 8, v49
	v_not_b32_e32 v24, v26
	; wave barrier
	s_delay_alu instid0(VALU_DEP_2) | instskip(NEXT) | instid1(VALU_DEP_1)
	v_and_b32_e32 v23, 0xffff, v67
	v_lshrrev_b32_e32 v23, v10, v23
	s_delay_alu instid0(VALU_DEP_1) | instskip(NEXT) | instid1(VALU_DEP_1)
	v_and_b32_e32 v25, v23, v24
	v_lshlrev_b32_e32 v27, 30, v25
	v_bitop3_b32 v23, v23, 1, v24 bitop3:0x80
	s_delay_alu instid0(VALU_DEP_2) | instskip(NEXT) | instid1(VALU_DEP_2)
	v_cmp_gt_i32_e64 s13, 0, v27
	v_add_co_u32 v23, s12, v23, -1
	s_delay_alu instid0(VALU_DEP_1) | instskip(NEXT) | instid1(VALU_DEP_1)
	v_cndmask_b32_e64 v26, 0, 1, s12
	v_cmp_ne_u32_e64 s12, 0, v26
	v_not_b32_e32 v26, v27
	s_delay_alu instid0(VALU_DEP_1) | instskip(SKIP_2) | instid1(VALU_DEP_3)
	v_dual_ashrrev_i32 v26, 31, v26 :: v_dual_lshlrev_b32 v28, 29, v25
	v_dual_lshlrev_b32 v29, 28, v25 :: v_dual_lshlrev_b32 v30, 27, v25
	v_dual_lshlrev_b32 v31, 26, v25 :: v_dual_lshlrev_b32 v32, 25, v25
	v_cmp_gt_i32_e64 s14, 0, v28
	v_not_b32_e32 v27, v28
	s_delay_alu instid0(VALU_DEP_4)
	v_not_b32_e32 v28, v29
	v_lshl_add_u32 v24, v25, 3, v48
	v_lshlrev_b32_e32 v25, 24, v25
	v_cmp_gt_i32_e64 s15, 0, v29
	v_cmp_gt_i32_e64 s16, 0, v30
	v_not_b32_e32 v29, v30
	v_cmp_gt_i32_e64 s17, 0, v31
	v_not_b32_e32 v30, v31
	v_not_b32_e32 v31, v32
	v_dual_ashrrev_i32 v28, 31, v28 :: v_dual_bitop2_b32 v23, s12, v23 bitop3:0x14
	v_dual_ashrrev_i32 v27, 31, v27 :: v_dual_ashrrev_i32 v29, 31, v29
	v_xor_b32_e32 v26, s13, v26
	v_not_b32_e32 v33, v25
	s_delay_alu instid0(VALU_DEP_3) | instskip(SKIP_1) | instid1(VALU_DEP_4)
	v_dual_ashrrev_i32 v30, 31, v30 :: v_dual_bitop2_b32 v27, s14, v27 bitop3:0x14
	v_xor_b32_e32 v28, s15, v28
	v_bitop3_b32 v23, v23, v26, exec_lo bitop3:0x80
	v_cmp_gt_i32_e64 s12, 0, v32
	s_delay_alu instid0(VALU_DEP_4)
	v_dual_ashrrev_i32 v30, 31, v31 :: v_dual_bitop2_b32 v26, s17, v30 bitop3:0x14
	v_cmp_gt_i32_e64 s13, 0, v25
	v_ashrrev_i32_e32 v25, 31, v33
	v_bitop3_b32 v23, v23, v28, v27 bitop3:0x80
	v_lshl_add_u32 v27, v24, 2, v12
	v_xor_b32_e32 v29, s16, v29
	v_xor_b32_e32 v24, s12, v30
	;; [unrolled: 1-line block ×3, first 2 shown]
	s_delay_alu instid0(VALU_DEP_3) | instskip(SKIP_3) | instid1(VALU_DEP_2)
	v_bitop3_b32 v26, v23, v26, v29 bitop3:0x80
	ds_load_b32 v23, v27 offset:32
	; wave barrier
	v_bitop3_b32 v26, v26, v25, v24 bitop3:0x80
	v_add_nc_u32_e32 v25, 32, v27
	v_mbcnt_lo_u32_b32 v24, v26, 0
	v_cmp_ne_u32_e64 s13, 0, v26
	s_delay_alu instid0(VALU_DEP_2) | instskip(SKIP_1) | instid1(SALU_CYCLE_1)
	v_cmp_eq_u32_e64 s12, 0, v24
	s_and_b32 s13, s13, s12
	s_and_saveexec_b32 s12, s13
	s_cbranch_execz .LBB83_339
; %bb.338:                              ;   in Loop: Header=BB83_335 Depth=1
	s_wait_dscnt 0x0
	v_bcnt_u32_b32 v26, v26, v23
	ds_store_b32 v25, v26
.LBB83_339:                             ;   in Loop: Header=BB83_335 Depth=1
	s_or_b32 exec_lo, exec_lo, s12
	; wave barrier
	s_wait_dscnt 0x0
	s_barrier_signal -1
	s_barrier_wait -1
	ds_load_b32 v27, v15
	ds_load_b32 v28, v19
	;; [unrolled: 1-line block ×8, first 2 shown]
	s_wait_dscnt 0x6
	v_add_nc_u32_e32 v68, v28, v27
	s_wait_dscnt 0x4
	s_delay_alu instid0(VALU_DEP_1) | instskip(SKIP_1) | instid1(VALU_DEP_1)
	v_add3_u32 v68, v68, v29, v30
	s_wait_dscnt 0x2
	v_add3_u32 v68, v68, v31, v32
	s_wait_dscnt 0x0
	s_delay_alu instid0(VALU_DEP_1) | instskip(NEXT) | instid1(VALU_DEP_1)
	v_add3_u32 v33, v68, v26, v33
	v_mov_b32_dpp v68, v33 row_shr:1 row_mask:0xf bank_mask:0xf
	s_delay_alu instid0(VALU_DEP_1) | instskip(NEXT) | instid1(VALU_DEP_1)
	v_cndmask_b32_e64 v68, v68, 0, vcc_lo
	v_add_nc_u32_e32 v33, v68, v33
	s_delay_alu instid0(VALU_DEP_1) | instskip(NEXT) | instid1(VALU_DEP_1)
	v_mov_b32_dpp v68, v33 row_shr:2 row_mask:0xf bank_mask:0xf
	v_cndmask_b32_e64 v68, 0, v68, s0
	s_delay_alu instid0(VALU_DEP_1) | instskip(NEXT) | instid1(VALU_DEP_1)
	v_add_nc_u32_e32 v33, v33, v68
	v_mov_b32_dpp v68, v33 row_shr:4 row_mask:0xf bank_mask:0xf
	s_delay_alu instid0(VALU_DEP_1) | instskip(NEXT) | instid1(VALU_DEP_1)
	v_cndmask_b32_e64 v68, 0, v68, s1
	v_add_nc_u32_e32 v33, v33, v68
	s_delay_alu instid0(VALU_DEP_1) | instskip(NEXT) | instid1(VALU_DEP_1)
	v_mov_b32_dpp v68, v33 row_shr:8 row_mask:0xf bank_mask:0xf
	v_cndmask_b32_e64 v68, 0, v68, s2
	s_delay_alu instid0(VALU_DEP_1) | instskip(SKIP_3) | instid1(VALU_DEP_1)
	v_add_nc_u32_e32 v33, v33, v68
	ds_swizzle_b32 v68, v33 offset:swizzle(BROADCAST,32,15)
	s_wait_dscnt 0x0
	v_cndmask_b32_e64 v68, v68, 0, s4
	v_add_nc_u32_e32 v33, v33, v68
	s_and_saveexec_b32 s12, s5
; %bb.340:                              ;   in Loop: Header=BB83_335 Depth=1
	ds_store_b32 v51, v33
; %bb.341:                              ;   in Loop: Header=BB83_335 Depth=1
	s_or_b32 exec_lo, exec_lo, s12
	s_wait_dscnt 0x0
	s_barrier_signal -1
	s_barrier_wait -1
	s_and_saveexec_b32 s12, s6
	s_cbranch_execz .LBB83_343
; %bb.342:                              ;   in Loop: Header=BB83_335 Depth=1
	ds_load_b32 v68, v53
	s_wait_dscnt 0x0
	v_mov_b32_dpp v69, v68 row_shr:1 row_mask:0xf bank_mask:0xf
	s_delay_alu instid0(VALU_DEP_1) | instskip(NEXT) | instid1(VALU_DEP_1)
	v_cndmask_b32_e64 v69, v69, 0, s9
	v_add_nc_u32_e32 v68, v69, v68
	s_delay_alu instid0(VALU_DEP_1) | instskip(NEXT) | instid1(VALU_DEP_1)
	v_mov_b32_dpp v69, v68 row_shr:2 row_mask:0xf bank_mask:0xf
	v_cndmask_b32_e64 v69, 0, v69, s10
	s_delay_alu instid0(VALU_DEP_1) | instskip(NEXT) | instid1(VALU_DEP_1)
	v_add_nc_u32_e32 v68, v68, v69
	v_mov_b32_dpp v69, v68 row_shr:4 row_mask:0xf bank_mask:0xf
	s_delay_alu instid0(VALU_DEP_1) | instskip(NEXT) | instid1(VALU_DEP_1)
	v_cndmask_b32_e64 v69, 0, v69, s11
	v_add_nc_u32_e32 v68, v68, v69
	ds_store_b32 v53, v68
.LBB83_343:                             ;   in Loop: Header=BB83_335 Depth=1
	s_or_b32 exec_lo, exec_lo, s12
	v_mov_b32_e32 v68, 0
	s_wait_dscnt 0x0
	s_barrier_signal -1
	s_barrier_wait -1
	s_and_saveexec_b32 s12, s7
; %bb.344:                              ;   in Loop: Header=BB83_335 Depth=1
	ds_load_b32 v68, v55
; %bb.345:                              ;   in Loop: Header=BB83_335 Depth=1
	s_or_b32 exec_lo, exec_lo, s12
	s_wait_dscnt 0x0
	v_add_nc_u32_e32 v33, v68, v33
	s_mov_b32 s14, -1
	s_mov_b32 s13, exec_lo
	v_add_nc_u32_e32 v10, 8, v10
	ds_bpermute_b32 v33, v50, v33
	s_wait_dscnt 0x0
	v_cndmask_b32_e64 v33, v33, v68, s3
	s_delay_alu instid0(VALU_DEP_1) | instskip(NEXT) | instid1(VALU_DEP_1)
	v_cndmask_b32_e64 v33, v33, 0, s8
	v_add_nc_u32_e32 v27, v33, v27
	s_delay_alu instid0(VALU_DEP_1) | instskip(NEXT) | instid1(VALU_DEP_1)
	v_add_nc_u32_e32 v28, v27, v28
	v_add_nc_u32_e32 v29, v28, v29
	s_delay_alu instid0(VALU_DEP_1) | instskip(NEXT) | instid1(VALU_DEP_1)
	v_add_nc_u32_e32 v30, v29, v30
	v_add_nc_u32_e32 v31, v30, v31
	s_delay_alu instid0(VALU_DEP_1)
	v_add_nc_u32_e32 v32, v31, v32
	ds_store_b32 v15, v33
	ds_store_b32 v19, v27
	;; [unrolled: 1-line block ×3, first 2 shown]
	v_add_nc_u32_e32 v26, v32, v26
	ds_store_b32 v35, v29
	ds_store_b32 v36, v30
	;; [unrolled: 1-line block ×5, first 2 shown]
	s_wait_dscnt 0x0
	s_barrier_signal -1
	s_barrier_wait -1
	ds_load_b32 v22, v22
	ds_load_b32 v26, v25
	v_mov_b32_e32 v25, v1
	s_wait_dscnt 0x0
	v_add_nc_u32_e32 v0, v22, v0
	v_add3_u32 v24, v24, v23, v26
                                        ; implicit-def: $vgpr22_vgpr23
	s_delay_alu instid0(VALU_DEP_2) | instskip(NEXT) | instid1(VALU_DEP_2)
	v_add_nc_u64_e32 v[30:31], v[12:13], v[0:1]
	v_add_nc_u64_e32 v[32:33], v[12:13], v[24:25]
	s_delay_alu instid0(VALU_DEP_2) | instskip(NEXT) | instid1(VALU_DEP_2)
	v_mad_nc_u64_u32 v[26:27], v0, 7, v[30:31]
	v_mad_nc_u64_u32 v[28:29], v24, 7, v[32:33]
	v_mov_b32_e32 v0, v49
                                        ; implicit-def: $vgpr24_vgpr25
	v_cmpx_lt_u32_e64 v10, v11
	s_cbranch_execz .LBB83_334
; %bb.346:                              ;   in Loop: Header=BB83_335 Depth=1
	s_barrier_signal -1
	s_barrier_wait -1
	ds_store_b8 v30, v49
	ds_store_b8 v32, v67
	s_wait_dscnt 0x0
	s_barrier_signal -1
	s_barrier_wait -1
	ds_load_u8 v27, v64
	ds_load_u8 v29, v52
	s_wait_dscnt 0x0
	s_barrier_signal -1
	s_barrier_wait -1
	ds_store_b64 v26, v[20:21]
	ds_store_b64 v28, v[16:17]
	s_wait_dscnt 0x0
	s_barrier_signal -1
	s_barrier_wait -1
	ds_load_b64 v[22:23], v54
	ds_load_b64 v[24:25], v65
	v_add_nc_u32_e32 v66, -8, v66
	s_xor_b32 s14, exec_lo, -1
	s_wait_dscnt 0x0
	s_barrier_signal -1
	s_barrier_wait -1
	v_perm_b32 v49, v29, v27, 0xc0c0004
	s_branch .LBB83_334
.LBB83_347:
	flat_load_b64 v[26:27], v[0:1]
	s_wait_xcnt 0x0
	s_or_b32 exec_lo, exec_lo, s3
                                        ; implicit-def: $vgpr28_vgpr29
	s_and_saveexec_b32 s3, s0
	s_cbranch_execz .LBB83_274
.LBB83_348:
	flat_load_b64 v[28:29], v[0:1] offset:256
	s_wait_xcnt 0x0
	s_or_b32 exec_lo, exec_lo, s3
                                        ; implicit-def: $vgpr30_vgpr31
	s_and_saveexec_b32 s0, s1
	s_cbranch_execz .LBB83_275
.LBB83_349:
	flat_load_b64 v[30:31], v[0:1] offset:512
	s_wait_xcnt 0x0
	s_or_b32 exec_lo, exec_lo, s0
                                        ; implicit-def: $vgpr32_vgpr33
	s_and_saveexec_b32 s0, s2
	s_cbranch_execnz .LBB83_276
	s_branch .LBB83_277
.LBB83_350:
	flat_store_b64 v[0:1], v[14:15]
	s_wait_xcnt 0x0
	s_or_b32 exec_lo, exec_lo, s3
	s_and_saveexec_b32 s3, s0
	s_cbranch_execz .LBB83_319
.LBB83_351:
	flat_store_b64 v[0:1], v[16:17] offset:2048
	s_wait_xcnt 0x0
	s_or_b32 exec_lo, exec_lo, s3
	s_and_saveexec_b32 s0, s1
	s_cbranch_execz .LBB83_320
.LBB83_352:
	flat_store_b64 v[0:1], v[10:11] offset:4096
	s_wait_xcnt 0x0
	s_or_b32 exec_lo, exec_lo, s0
	s_and_saveexec_b32 s0, s2
	s_cbranch_execnz .LBB83_321
	s_branch .LBB83_322
.LBB83_353:
	s_or_b32 exec_lo, exec_lo, s20
	s_barrier_signal -1
	s_barrier_wait -1
	ds_store_b8 v30, v0
	ds_store_b8 v32, v67
	v_dual_mov_b32 v19, 0 :: v_dual_add_nc_u32 v0, v12, v14
	v_mul_u32_u24_e32 v1, 7, v14
	s_wait_dscnt 0x0
	s_barrier_signal -1
	s_barrier_wait -1
	ds_load_u8 v5, v0
	ds_load_u8 v4, v0 offset:256
	v_add_nc_u32_e32 v0, v0, v1
	s_wait_dscnt 0x0
	s_barrier_signal -1
	s_barrier_wait -1
	ds_store_b64 v26, v[20:21]
	ds_store_b64 v28, v[16:17]
	s_wait_dscnt 0x0
	s_barrier_signal -1
	s_barrier_wait -1
	ds_load_2addr_stride64_b64 v[10:13], v0 offset1:4
	v_add_nc_u64_e32 v[0:1], v[2:3], v[8:9]
	s_set_vgpr_msb 4                        ;  msbs: dst=0 src0=0 src1=1 src2=0
	v_cmp_lt_u32_e32 vcc_lo, v18, v20 /*v276*/
	s_wait_dscnt 0x0
	s_barrier_signal -1
	s_barrier_wait -1
	s_set_vgpr_msb 0                        ;  msbs: dst=0 src0=0 src1=0 src2=0
	v_add_nc_u64_e32 v[0:1], v[0:1], v[18:19]
	s_and_saveexec_b32 s0, vcc_lo
	s_cbranch_execz .LBB83_355
; %bb.354:
	v_xor_b32_e32 v2, -1, v5
	flat_store_b8 v[0:1], v2
.LBB83_355:
	s_wait_xcnt 0x0
	s_or_b32 exec_lo, exec_lo, s0
	v_add_nc_u32_e32 v2, 0x100, v18
	s_set_vgpr_msb 4                        ;  msbs: dst=0 src0=0 src1=1 src2=0
	s_delay_alu instid0(VALU_DEP_1)
	v_cmp_lt_u32_e64 s0, v2, v20 /*v276*/
	s_and_saveexec_b32 s1, s0
	s_set_vgpr_msb 0                        ;  msbs: dst=0 src0=0 src1=0 src2=0
	s_cbranch_execz .LBB83_357
; %bb.356:
	v_xor_b32_e32 v2, -1, v4
	flat_store_b8 v[0:1], v2 offset:256
.LBB83_357:
	s_wait_xcnt 0x0
	s_or_b32 exec_lo, exec_lo, s1
	v_lshl_add_u64 v[0:1], v[8:9], 3, v[6:7]
	s_delay_alu instid0(VALU_DEP_1)
	v_lshl_add_u64 v[0:1], v[18:19], 3, v[0:1]
	s_and_saveexec_b32 s1, vcc_lo
	s_cbranch_execz .LBB83_359
; %bb.358:
	flat_store_b64 v[0:1], v[10:11]
.LBB83_359:
	s_wait_xcnt 0x0
	s_or_b32 exec_lo, exec_lo, s1
	s_and_saveexec_b32 s1, s0
	s_cbranch_execz .LBB83_361
; %bb.360:
	flat_store_b64 v[0:1], v[12:13] offset:2048
.LBB83_361:
	s_wait_xcnt 0x0
	s_or_b32 exec_lo, exec_lo, s1
                                        ; implicit-def: $vgpr18
                                        ; implicit-def: $vgpr8_vgpr9
                                        ; implicit-def: $vgpr276
                                        ; implicit-def: $vgpr10
                                        ; implicit-def: $vgpr11
                                        ; implicit-def: $vgpr0_vgpr1
                                        ; implicit-def: $vgpr2_vgpr3
                                        ; implicit-def: $vgpr4_vgpr5
                                        ; implicit-def: $vgpr6_vgpr7
                                        ; implicit-def: $vgpr12_vgpr13
                                        ; implicit-def: $vgpr14
                                        ; implicit-def: $vgpr16
.LBB83_362:
	s_and_not1_saveexec_b32 s0, s18
	s_cbranch_execz .LBB83_382
; %bb.363:
	s_delay_alu instid0(VALU_DEP_3) | instskip(SKIP_1) | instid1(VALU_DEP_2)
	v_and_b32_e32 v22, 0xffffffe0, v18
	v_mov_b32_e32 v39, 0xff
	v_or_b32_e32 v15, v16, v22
	s_set_vgpr_msb 4                        ;  msbs: dst=0 src0=0 src1=1 src2=0
	s_delay_alu instid0(VALU_DEP_1)
	v_cmp_lt_u32_e32 vcc_lo, v15, v20 /*v276*/
	s_and_saveexec_b32 s0, vcc_lo
	s_set_vgpr_msb 0                        ;  msbs: dst=0 src0=0 src1=0 src2=0
	s_cbranch_execz .LBB83_365
; %bb.364:
	v_add_nc_u64_e32 v[0:1], v[0:1], v[8:9]
	v_mov_b32_e32 v17, 0
	s_delay_alu instid0(VALU_DEP_1) | instskip(NEXT) | instid1(VALU_DEP_3)
	v_mov_b32_e32 v23, v17
	v_add_nc_u64_e32 v[0:1], v[0:1], v[16:17]
	s_delay_alu instid0(VALU_DEP_1)
	v_add_nc_u64_e32 v[0:1], v[0:1], v[22:23]
	flat_load_u8 v0, v[0:1]
	s_wait_loadcnt_dscnt 0x0
	v_xor_b32_e32 v39, -1, v0
.LBB83_365:
	s_wait_xcnt 0x0
	s_or_b32 exec_lo, exec_lo, s0
                                        ; implicit-def: $vgpr20_vgpr21
	s_and_saveexec_b32 s0, vcc_lo
	s_cbranch_execz .LBB83_367
; %bb.366:
	v_lshl_add_u64 v[0:1], v[8:9], 3, v[4:5]
	v_dual_mov_b32 v5, 0 :: v_dual_lshlrev_b32 v4, 3, v16
	s_delay_alu instid0(VALU_DEP_1) | instskip(SKIP_1) | instid1(VALU_DEP_1)
	v_add_nc_u64_e32 v[0:1], v[0:1], v[4:5]
	v_mov_b32_e32 v23, v5
	v_lshl_add_u64 v[0:1], v[22:23], 3, v[0:1]
	flat_load_b64 v[20:21], v[0:1]
.LBB83_367:
	s_wait_xcnt 0x0
	s_or_b32 exec_lo, exec_lo, s0
	v_lshl_add_u32 v0, v14, 5, v12
	v_sub_co_u32 v17, s2, v16, 1
	v_dual_lshrrev_b32 v30, 5, v18 :: v_dual_bitop2_b32 v1, 15, v16 bitop3:0x40
	s_delay_alu instid0(VALU_DEP_3)
	v_dual_add_nc_u32 v15, 32, v0 :: v_dual_add_nc_u32 v19, 36, v0
	v_dual_add_nc_u32 v24, 40, v0 :: v_dual_add_nc_u32 v25, 44, v0
	;; [unrolled: 1-line block ×4, first 2 shown]
	v_and_b32_e32 v0, 0x3e0, v14
	v_and_b32_e32 v5, 16, v16
	v_cmp_gt_i32_e64 s5, 0, v17
	s_get_pc_i64 s[0:1]
	s_add_nc_u64 s[0:1], s[0:1], _ZN7rocprim17ROCPRIM_400000_NS16block_radix_sortIhLj256ELj1ElLj1ELj1ELj8ELNS0_26block_radix_rank_algorithmE2ELNS0_18block_padding_hintE2ELNS0_4arch9wavefront6targetE0EE19radix_bits_per_passE@rel64+4
	v_cmp_eq_u32_e32 vcc_lo, 0, v1
	v_min_u32_e32 v4, 0xe0, v0
	s_load_b32 s18, s[0:1], 0x0
	s_wait_xcnt 0x0
	v_cmp_lt_u32_e64 s0, 1, v1
	v_cmp_lt_u32_e64 s1, 3, v1
	v_cmp_lt_u32_e64 s3, 7, v1
	v_dual_lshrrev_b32 v4, 3, v14 :: v_dual_bitop2_b32 v1, 31, v4 bitop3:0x54
	v_cmp_eq_u32_e64 s4, 0, v5
	v_cndmask_b32_e64 v5, v17, v16, s5
	v_or_b32_e32 v0, v16, v0
	v_cmp_gt_u32_e64 s6, 8, v14
	v_cmp_lt_u32_e64 s7, 31, v14
	v_cmp_eq_u32_e64 s8, 0, v14
	v_lshlrev_b32_e32 v31, 2, v5
	v_cmp_eq_u32_e64 s5, v14, v1
	v_and_b32_e32 v1, 0x7c, v4
	v_and_b32_e32 v4, 7, v16
	v_lshl_add_u32 v33, v14, 2, v12
	v_sub_nc_u32_e32 v37, v11, v10
	s_mov_b32 s19, 0
	v_dual_mov_b32 v1, 0 :: v_dual_add_nc_u32 v32, v12, v1
	v_add_nc_u32_e32 v34, v12, v0
	v_mul_u32_u24_e32 v0, 7, v0
	v_cmp_eq_u32_e64 s9, 0, v4
	v_cmp_lt_u32_e64 s10, 1, v4
	v_cmp_lt_u32_e64 s11, 3, v4
	v_mov_b64_e32 v[4:5], 0
	v_add_nc_u32_e32 v35, -4, v32
	v_add_nc_u32_e32 v36, v34, v0
	s_wait_storecnt 0x0
	s_wait_loadcnt_dscnt 0x0
	s_barrier_signal -1
	s_barrier_wait -1
	s_branch .LBB83_369
.LBB83_368:                             ;   in Loop: Header=BB83_369 Depth=1
	s_or_b32 exec_lo, exec_lo, s13
	s_delay_alu instid0(SALU_CYCLE_1) | instskip(NEXT) | instid1(SALU_CYCLE_1)
	s_and_b32 s12, exec_lo, s14
	s_or_b32 s19, s12, s19
	s_delay_alu instid0(SALU_CYCLE_1)
	s_and_not1_b32 exec_lo, exec_lo, s19
	s_cbranch_execz .LBB83_379
.LBB83_369:                             ; =>This Inner Loop Header: Depth=1
	v_mov_b32_e32 v38, v39
	s_wait_kmcnt 0x0
	v_min_u32_e32 v0, s18, v37
	ds_store_b64 v15, v[4:5]
	ds_store_b64 v24, v[4:5]
	;; [unrolled: 1-line block ×4, first 2 shown]
	s_wait_dscnt 0x0
	v_and_b32_e32 v16, 0xff, v38
	v_lshlrev_b32_e64 v0, v0, -1
	s_barrier_signal -1
	s_barrier_wait -1
	s_delay_alu instid0(VALU_DEP_2) | instskip(NEXT) | instid1(VALU_DEP_1)
	v_lshrrev_b32_e32 v16, v10, v16
	; wave barrier
	v_bitop3_b32 v17, v16, 1, v0 bitop3:0x40
	v_bitop3_b32 v0, v16, v0, v16 bitop3:0x30
	s_delay_alu instid0(VALU_DEP_2) | instskip(NEXT) | instid1(VALU_DEP_1)
	v_add_co_u32 v16, s12, v17, -1
	v_cndmask_b32_e64 v17, 0, 1, s12
	s_delay_alu instid0(VALU_DEP_3) | instskip(SKIP_1) | instid1(VALU_DEP_3)
	v_dual_lshlrev_b32 v22, 30, v0 :: v_dual_lshlrev_b32 v23, 29, v0
	v_dual_lshlrev_b32 v39, 28, v0 :: v_dual_lshlrev_b32 v48, 27, v0
	v_cmp_ne_u32_e64 s12, 0, v17
	s_delay_alu instid0(VALU_DEP_3)
	v_not_b32_e32 v17, v22
	v_dual_lshlrev_b32 v49, 26, v0 :: v_dual_lshlrev_b32 v50, 25, v0
	v_lshlrev_b32_e32 v51, 24, v0
	v_cmp_gt_i32_e64 s13, 0, v22
	v_cmp_gt_i32_e64 s14, 0, v23
	v_not_b32_e32 v22, v23
	v_not_b32_e32 v23, v39
	v_ashrrev_i32_e32 v17, 31, v17
	v_cmp_gt_i32_e64 s15, 0, v39
	v_cmp_gt_i32_e64 s16, 0, v48
	v_not_b32_e32 v39, v48
	v_not_b32_e32 v48, v49
	v_dual_ashrrev_i32 v22, 31, v22 :: v_dual_bitop2_b32 v16, s12, v16 bitop3:0x14
	v_dual_ashrrev_i32 v23, 31, v23 :: v_dual_bitop2_b32 v17, s13, v17 bitop3:0x14
	v_cmp_gt_i32_e64 s17, 0, v49
	v_not_b32_e32 v49, v50
	v_not_b32_e32 v52, v51
	v_dual_ashrrev_i32 v39, 31, v39 :: v_dual_ashrrev_i32 v48, 31, v48
	v_xor_b32_e32 v22, s14, v22
	v_xor_b32_e32 v23, s15, v23
	v_bitop3_b32 v16, v16, v17, exec_lo bitop3:0x80
	s_delay_alu instid0(VALU_DEP_4)
	v_dual_lshlrev_b32 v0, 3, v0 :: v_dual_bitop2_b32 v39, s16, v39 bitop3:0x14
	v_xor_b32_e32 v17, s17, v48
	v_cmp_gt_i32_e64 s12, 0, v50
	v_ashrrev_i32_e32 v48, 31, v49
	v_cmp_gt_i32_e64 s13, 0, v51
	v_ashrrev_i32_e32 v49, 31, v52
	v_bitop3_b32 v16, v16, v23, v22 bitop3:0x80
	v_add_lshl_u32 v0, v0, v30, 2
	v_xor_b32_e32 v22, s12, v48
	s_delay_alu instid0(VALU_DEP_4) | instskip(NEXT) | instid1(VALU_DEP_4)
	v_xor_b32_e32 v23, s13, v49
	v_bitop3_b32 v16, v16, v17, v39 bitop3:0x80
	s_delay_alu instid0(VALU_DEP_1) | instskip(SKIP_2) | instid1(VALU_DEP_3)
	v_bitop3_b32 v22, v16, v23, v22 bitop3:0x80
	v_mov_b64_e32 v[16:17], v[20:21]
	v_add_nc_u64_e32 v[20:21], v[12:13], v[0:1]
	v_mbcnt_lo_u32_b32 v0, v22, 0
	v_cmp_ne_u32_e64 s13, 0, v22
	s_delay_alu instid0(VALU_DEP_3) | instskip(NEXT) | instid1(VALU_DEP_3)
	v_add_nc_u64_e32 v[20:21], 32, v[20:21]
	v_cmp_eq_u32_e64 s12, 0, v0
	s_and_b32 s13, s13, s12
	s_delay_alu instid0(SALU_CYCLE_1)
	s_and_saveexec_b32 s12, s13
; %bb.370:                              ;   in Loop: Header=BB83_369 Depth=1
	v_bcnt_u32_b32 v21, v22, 0
	ds_store_b32 v20, v21
; %bb.371:                              ;   in Loop: Header=BB83_369 Depth=1
	s_or_b32 exec_lo, exec_lo, s12
	; wave barrier
	s_wait_dscnt 0x0
	s_barrier_signal -1
	s_barrier_wait -1
	ds_load_b32 v22, v15
	ds_load_b32 v23, v19
	;; [unrolled: 1-line block ×8, first 2 shown]
	s_wait_dscnt 0x6
	v_add_nc_u32_e32 v52, v23, v22
	s_wait_dscnt 0x4
	s_delay_alu instid0(VALU_DEP_1) | instskip(SKIP_1) | instid1(VALU_DEP_1)
	v_add3_u32 v52, v52, v39, v48
	s_wait_dscnt 0x2
	v_add3_u32 v52, v52, v49, v50
	s_wait_dscnt 0x0
	s_delay_alu instid0(VALU_DEP_1) | instskip(NEXT) | instid1(VALU_DEP_1)
	v_add3_u32 v51, v52, v21, v51
	v_mov_b32_dpp v52, v51 row_shr:1 row_mask:0xf bank_mask:0xf
	s_delay_alu instid0(VALU_DEP_1) | instskip(NEXT) | instid1(VALU_DEP_1)
	v_cndmask_b32_e64 v52, v52, 0, vcc_lo
	v_add_nc_u32_e32 v51, v52, v51
	s_delay_alu instid0(VALU_DEP_1) | instskip(NEXT) | instid1(VALU_DEP_1)
	v_mov_b32_dpp v52, v51 row_shr:2 row_mask:0xf bank_mask:0xf
	v_cndmask_b32_e64 v52, 0, v52, s0
	s_delay_alu instid0(VALU_DEP_1) | instskip(NEXT) | instid1(VALU_DEP_1)
	v_add_nc_u32_e32 v51, v51, v52
	v_mov_b32_dpp v52, v51 row_shr:4 row_mask:0xf bank_mask:0xf
	s_delay_alu instid0(VALU_DEP_1) | instskip(NEXT) | instid1(VALU_DEP_1)
	v_cndmask_b32_e64 v52, 0, v52, s1
	v_add_nc_u32_e32 v51, v51, v52
	s_delay_alu instid0(VALU_DEP_1) | instskip(NEXT) | instid1(VALU_DEP_1)
	v_mov_b32_dpp v52, v51 row_shr:8 row_mask:0xf bank_mask:0xf
	v_cndmask_b32_e64 v52, 0, v52, s3
	s_delay_alu instid0(VALU_DEP_1) | instskip(SKIP_3) | instid1(VALU_DEP_1)
	v_add_nc_u32_e32 v51, v51, v52
	ds_swizzle_b32 v52, v51 offset:swizzle(BROADCAST,32,15)
	s_wait_dscnt 0x0
	v_cndmask_b32_e64 v52, v52, 0, s4
	v_add_nc_u32_e32 v51, v51, v52
	s_and_saveexec_b32 s12, s5
; %bb.372:                              ;   in Loop: Header=BB83_369 Depth=1
	ds_store_b32 v32, v51
; %bb.373:                              ;   in Loop: Header=BB83_369 Depth=1
	s_or_b32 exec_lo, exec_lo, s12
	s_wait_dscnt 0x0
	s_barrier_signal -1
	s_barrier_wait -1
	s_and_saveexec_b32 s12, s6
	s_cbranch_execz .LBB83_375
; %bb.374:                              ;   in Loop: Header=BB83_369 Depth=1
	ds_load_b32 v52, v33
	s_wait_dscnt 0x0
	v_mov_b32_dpp v53, v52 row_shr:1 row_mask:0xf bank_mask:0xf
	s_delay_alu instid0(VALU_DEP_1) | instskip(NEXT) | instid1(VALU_DEP_1)
	v_cndmask_b32_e64 v53, v53, 0, s9
	v_add_nc_u32_e32 v52, v53, v52
	s_delay_alu instid0(VALU_DEP_1) | instskip(NEXT) | instid1(VALU_DEP_1)
	v_mov_b32_dpp v53, v52 row_shr:2 row_mask:0xf bank_mask:0xf
	v_cndmask_b32_e64 v53, 0, v53, s10
	s_delay_alu instid0(VALU_DEP_1) | instskip(NEXT) | instid1(VALU_DEP_1)
	v_add_nc_u32_e32 v52, v52, v53
	v_mov_b32_dpp v53, v52 row_shr:4 row_mask:0xf bank_mask:0xf
	s_delay_alu instid0(VALU_DEP_1) | instskip(NEXT) | instid1(VALU_DEP_1)
	v_cndmask_b32_e64 v53, 0, v53, s11
	v_add_nc_u32_e32 v52, v52, v53
	ds_store_b32 v33, v52
.LBB83_375:                             ;   in Loop: Header=BB83_369 Depth=1
	s_or_b32 exec_lo, exec_lo, s12
	v_mov_b32_e32 v52, 0
	s_wait_dscnt 0x0
	s_barrier_signal -1
	s_barrier_wait -1
	s_and_saveexec_b32 s12, s7
; %bb.376:                              ;   in Loop: Header=BB83_369 Depth=1
	ds_load_b32 v52, v35
; %bb.377:                              ;   in Loop: Header=BB83_369 Depth=1
	s_or_b32 exec_lo, exec_lo, s12
	s_wait_dscnt 0x0
	v_dual_add_nc_u32 v51, v52, v51 :: v_dual_add_nc_u32 v10, 8, v10
	s_mov_b32 s14, -1
	s_mov_b32 s13, exec_lo
	ds_bpermute_b32 v51, v31, v51
	s_wait_dscnt 0x0
	v_cndmask_b32_e64 v51, v51, v52, s2
	s_delay_alu instid0(VALU_DEP_1) | instskip(NEXT) | instid1(VALU_DEP_1)
	v_cndmask_b32_e64 v51, v51, 0, s8
	v_add_nc_u32_e32 v22, v51, v22
	s_delay_alu instid0(VALU_DEP_1) | instskip(NEXT) | instid1(VALU_DEP_1)
	v_add_nc_u32_e32 v23, v22, v23
	v_add_nc_u32_e32 v39, v23, v39
	s_delay_alu instid0(VALU_DEP_1) | instskip(NEXT) | instid1(VALU_DEP_1)
	v_add_nc_u32_e32 v48, v39, v48
	v_add_nc_u32_e32 v49, v48, v49
	ds_store_b32 v15, v51
	ds_store_b32 v19, v22
	;; [unrolled: 1-line block ×3, first 2 shown]
	v_add_nc_u32_e32 v50, v49, v50
	s_delay_alu instid0(VALU_DEP_1)
	v_add_nc_u32_e32 v21, v50, v21
	ds_store_b32 v25, v39
	ds_store_b32 v26, v48
	;; [unrolled: 1-line block ×5, first 2 shown]
	s_wait_dscnt 0x0
	s_barrier_signal -1
	s_barrier_wait -1
	ds_load_b32 v20, v20
	s_wait_dscnt 0x0
                                        ; implicit-def: $vgpr39
	v_add_nc_u32_e32 v0, v20, v0
                                        ; implicit-def: $vgpr20_vgpr21
	s_delay_alu instid0(VALU_DEP_1)
	v_add_nc_u64_e32 v[22:23], v[12:13], v[0:1]
	v_cmpx_lt_u32_e64 v10, v11
	s_cbranch_execz .LBB83_368
; %bb.378:                              ;   in Loop: Header=BB83_369 Depth=1
	s_delay_alu instid0(VALU_DEP_2)
	v_mad_nc_u64_u32 v[20:21], v0, 7, v[22:23]
	s_barrier_signal -1
	s_barrier_wait -1
	ds_store_b8 v22, v38
	s_wait_dscnt 0x0
	s_barrier_signal -1
	s_barrier_wait -1
	ds_load_u8 v39, v34
	s_wait_dscnt 0x0
	s_barrier_signal -1
	s_barrier_wait -1
	ds_store_b64 v20, v[16:17]
	s_wait_dscnt 0x0
	s_barrier_signal -1
	s_barrier_wait -1
	ds_load_b64 v[20:21], v36
	v_add_nc_u32_e32 v37, -8, v37
	s_xor_b32 s14, exec_lo, -1
	s_wait_dscnt 0x0
	s_barrier_signal -1
	s_barrier_wait -1
	s_branch .LBB83_368
.LBB83_379:
	s_or_b32 exec_lo, exec_lo, s19
	v_mad_nc_u64_u32 v[0:1], v0, 7, v[22:23]
	v_add_nc_u32_e32 v5, v12, v14
	v_mul_u32_u24_e32 v1, 7, v14
	s_barrier_signal -1
	s_barrier_wait -1
	ds_store_b8 v22, v38
	s_wait_dscnt 0x0
	s_barrier_signal -1
	s_barrier_wait -1
	ds_load_u8 v4, v5
	s_wait_dscnt 0x0
	s_barrier_signal -1
	s_barrier_wait -1
	ds_store_b64 v0, v[16:17]
	v_add_nc_u32_e32 v0, v5, v1
	s_wait_dscnt 0x0
	s_barrier_signal -1
	s_barrier_wait -1
	ds_load_b64 v[0:1], v0
	s_mov_b32 s0, exec_lo
	s_wait_dscnt 0x0
	s_barrier_signal -1
	s_barrier_wait -1
	s_set_vgpr_msb 4                        ;  msbs: dst=0 src0=0 src1=1 src2=0
	v_cmpx_lt_u32_e64 v18, v20 /*v276*/
	s_set_vgpr_msb 0                        ;  msbs: dst=0 src0=0 src1=0 src2=0
	s_cbranch_execz .LBB83_381
; %bb.380:
	v_add_nc_u64_e32 v[2:3], v[2:3], v[8:9]
	v_mov_b32_e32 v19, 0
	v_lshl_add_u64 v[6:7], v[8:9], 3, v[6:7]
	v_xor_b32_e32 v8, -1, v4
	s_delay_alu instid0(VALU_DEP_2)
	v_lshl_add_u64 v[4:5], v[18:19], 3, v[6:7]
	v_add_nc_u64_e32 v[2:3], v[2:3], v[18:19]
	flat_store_b8 v[2:3], v8
	flat_store_b64 v[4:5], v[0:1]
.LBB83_381:
	s_wait_xcnt 0x0
	s_or_b32 exec_lo, exec_lo, s0
.LBB83_382:
	s_delay_alu instid0(SALU_CYCLE_1)
	s_or_b32 exec_lo, exec_lo, s22
	s_wait_dscnt 0x0
	s_set_pc_i64 s[30:31]
.Lfunc_end83:
	.size	_ZN7rocprim17ROCPRIM_400000_NS6detail40segmented_radix_sort_single_block_helperIhlLj256ELj17ELb1EE4sortIPKhPhPKlPlEEbT_T0_T1_T2_jjjjRNS3_12storage_typeE, .Lfunc_end83-_ZN7rocprim17ROCPRIM_400000_NS6detail40segmented_radix_sort_single_block_helperIhlLj256ELj17ELb1EE4sortIPKhPhPKlPlEEbT_T0_T1_T2_jjjjRNS3_12storage_typeE
                                        ; -- End function
	.set .L_ZN7rocprim17ROCPRIM_400000_NS6detail40segmented_radix_sort_single_block_helperIhlLj256ELj17ELb1EE4sortIPKhPhPKlPlEEbT_T0_T1_T2_jjjjRNS3_12storage_typeE.num_vgpr, 315
	.set .L_ZN7rocprim17ROCPRIM_400000_NS6detail40segmented_radix_sort_single_block_helperIhlLj256ELj17ELb1EE4sortIPKhPhPKlPlEEbT_T0_T1_T2_jjjjRNS3_12storage_typeE.num_agpr, 0
	.set .L_ZN7rocprim17ROCPRIM_400000_NS6detail40segmented_radix_sort_single_block_helperIhlLj256ELj17ELb1EE4sortIPKhPhPKlPlEEbT_T0_T1_T2_jjjjRNS3_12storage_typeE.numbered_sgpr, 32
	.set .L_ZN7rocprim17ROCPRIM_400000_NS6detail40segmented_radix_sort_single_block_helperIhlLj256ELj17ELb1EE4sortIPKhPhPKlPlEEbT_T0_T1_T2_jjjjRNS3_12storage_typeE.num_named_barrier, 0
	.set .L_ZN7rocprim17ROCPRIM_400000_NS6detail40segmented_radix_sort_single_block_helperIhlLj256ELj17ELb1EE4sortIPKhPhPKlPlEEbT_T0_T1_T2_jjjjRNS3_12storage_typeE.private_seg_size, 0
	.set .L_ZN7rocprim17ROCPRIM_400000_NS6detail40segmented_radix_sort_single_block_helperIhlLj256ELj17ELb1EE4sortIPKhPhPKlPlEEbT_T0_T1_T2_jjjjRNS3_12storage_typeE.uses_vcc, 1
	.set .L_ZN7rocprim17ROCPRIM_400000_NS6detail40segmented_radix_sort_single_block_helperIhlLj256ELj17ELb1EE4sortIPKhPhPKlPlEEbT_T0_T1_T2_jjjjRNS3_12storage_typeE.uses_flat_scratch, 0
	.set .L_ZN7rocprim17ROCPRIM_400000_NS6detail40segmented_radix_sort_single_block_helperIhlLj256ELj17ELb1EE4sortIPKhPhPKlPlEEbT_T0_T1_T2_jjjjRNS3_12storage_typeE.has_dyn_sized_stack, 0
	.set .L_ZN7rocprim17ROCPRIM_400000_NS6detail40segmented_radix_sort_single_block_helperIhlLj256ELj17ELb1EE4sortIPKhPhPKlPlEEbT_T0_T1_T2_jjjjRNS3_12storage_typeE.has_recursion, 0
	.set .L_ZN7rocprim17ROCPRIM_400000_NS6detail40segmented_radix_sort_single_block_helperIhlLj256ELj17ELb1EE4sortIPKhPhPKlPlEEbT_T0_T1_T2_jjjjRNS3_12storage_typeE.has_indirect_call, 0
	.section	.AMDGPU.csdata,"",@progbits
; Function info:
; codeLenInByte = 31660
; TotalNumSgprs: 34
; NumVgprs: 315
; ScratchSize: 0
; MemoryBound: 1
	.section	.text._ZN7rocprim17ROCPRIM_400000_NS6detail17trampoline_kernelINS0_14default_configENS1_36segmented_radix_sort_config_selectorIhlEEZNS1_25segmented_radix_sort_implIS3_Lb1EPKhPhPKlPlN2at6native12_GLOBAL__N_18offset_tEEE10hipError_tPvRmT1_PNSt15iterator_traitsISK_E10value_typeET2_T3_PNSL_ISQ_E10value_typeET4_jRbjT5_SW_jjP12ihipStream_tbEUlT_E_NS1_11comp_targetILNS1_3genE0ELNS1_11target_archE4294967295ELNS1_3gpuE0ELNS1_3repE0EEENS1_30default_config_static_selectorELNS0_4arch9wavefront6targetE0EEEvSK_,"axG",@progbits,_ZN7rocprim17ROCPRIM_400000_NS6detail17trampoline_kernelINS0_14default_configENS1_36segmented_radix_sort_config_selectorIhlEEZNS1_25segmented_radix_sort_implIS3_Lb1EPKhPhPKlPlN2at6native12_GLOBAL__N_18offset_tEEE10hipError_tPvRmT1_PNSt15iterator_traitsISK_E10value_typeET2_T3_PNSL_ISQ_E10value_typeET4_jRbjT5_SW_jjP12ihipStream_tbEUlT_E_NS1_11comp_targetILNS1_3genE0ELNS1_11target_archE4294967295ELNS1_3gpuE0ELNS1_3repE0EEENS1_30default_config_static_selectorELNS0_4arch9wavefront6targetE0EEEvSK_,comdat
	.globl	_ZN7rocprim17ROCPRIM_400000_NS6detail17trampoline_kernelINS0_14default_configENS1_36segmented_radix_sort_config_selectorIhlEEZNS1_25segmented_radix_sort_implIS3_Lb1EPKhPhPKlPlN2at6native12_GLOBAL__N_18offset_tEEE10hipError_tPvRmT1_PNSt15iterator_traitsISK_E10value_typeET2_T3_PNSL_ISQ_E10value_typeET4_jRbjT5_SW_jjP12ihipStream_tbEUlT_E_NS1_11comp_targetILNS1_3genE0ELNS1_11target_archE4294967295ELNS1_3gpuE0ELNS1_3repE0EEENS1_30default_config_static_selectorELNS0_4arch9wavefront6targetE0EEEvSK_ ; -- Begin function _ZN7rocprim17ROCPRIM_400000_NS6detail17trampoline_kernelINS0_14default_configENS1_36segmented_radix_sort_config_selectorIhlEEZNS1_25segmented_radix_sort_implIS3_Lb1EPKhPhPKlPlN2at6native12_GLOBAL__N_18offset_tEEE10hipError_tPvRmT1_PNSt15iterator_traitsISK_E10value_typeET2_T3_PNSL_ISQ_E10value_typeET4_jRbjT5_SW_jjP12ihipStream_tbEUlT_E_NS1_11comp_targetILNS1_3genE0ELNS1_11target_archE4294967295ELNS1_3gpuE0ELNS1_3repE0EEENS1_30default_config_static_selectorELNS0_4arch9wavefront6targetE0EEEvSK_
	.p2align	8
	.type	_ZN7rocprim17ROCPRIM_400000_NS6detail17trampoline_kernelINS0_14default_configENS1_36segmented_radix_sort_config_selectorIhlEEZNS1_25segmented_radix_sort_implIS3_Lb1EPKhPhPKlPlN2at6native12_GLOBAL__N_18offset_tEEE10hipError_tPvRmT1_PNSt15iterator_traitsISK_E10value_typeET2_T3_PNSL_ISQ_E10value_typeET4_jRbjT5_SW_jjP12ihipStream_tbEUlT_E_NS1_11comp_targetILNS1_3genE0ELNS1_11target_archE4294967295ELNS1_3gpuE0ELNS1_3repE0EEENS1_30default_config_static_selectorELNS0_4arch9wavefront6targetE0EEEvSK_,@function
_ZN7rocprim17ROCPRIM_400000_NS6detail17trampoline_kernelINS0_14default_configENS1_36segmented_radix_sort_config_selectorIhlEEZNS1_25segmented_radix_sort_implIS3_Lb1EPKhPhPKlPlN2at6native12_GLOBAL__N_18offset_tEEE10hipError_tPvRmT1_PNSt15iterator_traitsISK_E10value_typeET2_T3_PNSL_ISQ_E10value_typeET4_jRbjT5_SW_jjP12ihipStream_tbEUlT_E_NS1_11comp_targetILNS1_3genE0ELNS1_11target_archE4294967295ELNS1_3gpuE0ELNS1_3repE0EEENS1_30default_config_static_selectorELNS0_4arch9wavefront6targetE0EEEvSK_: ; @_ZN7rocprim17ROCPRIM_400000_NS6detail17trampoline_kernelINS0_14default_configENS1_36segmented_radix_sort_config_selectorIhlEEZNS1_25segmented_radix_sort_implIS3_Lb1EPKhPhPKlPlN2at6native12_GLOBAL__N_18offset_tEEE10hipError_tPvRmT1_PNSt15iterator_traitsISK_E10value_typeET2_T3_PNSL_ISQ_E10value_typeET4_jRbjT5_SW_jjP12ihipStream_tbEUlT_E_NS1_11comp_targetILNS1_3genE0ELNS1_11target_archE4294967295ELNS1_3gpuE0ELNS1_3repE0EEENS1_30default_config_static_selectorELNS0_4arch9wavefront6targetE0EEEvSK_
; %bb.0:
	s_load_b64 s[8:9], s[2:3], 0x38
	s_bfe_u32 s4, ttmp6, 0x4000c
	s_and_b32 s5, ttmp6, 15
	s_add_co_i32 s4, s4, 1
	s_getreg_b32 s27, hwreg(HW_REG_IB_STS2, 6, 4)
	s_mul_i32 s4, ttmp9, s4
	s_mov_b32 s32, 0
	s_add_co_i32 s5, s5, s4
	s_cmp_eq_u32 s27, 0
	s_cselect_b32 s51, ttmp9, s5
	s_load_b128 s[4:7], s[2:3], 0x40
	s_wait_kmcnt 0x0
	s_load_b32 s10, s[8:9], s51 offset:0x0 scale_offset
	s_wait_kmcnt 0x0
	s_add_co_i32 s54, s10, s7
	s_add_co_i32 s55, s10, s5
	s_mul_i32 s54, s54, s6
	s_mul_i32 s55, s55, s4
	s_delay_alu instid0(SALU_CYCLE_1)
	s_cmp_le_u32 s54, s55
	s_cbranch_scc1 .LBB84_1254
; %bb.1:
	s_clause 0x3
	s_load_b32 s4, s[2:3], 0x30
	s_load_b128 s[44:47], s[2:3], 0x20
	s_load_b96 s[48:50], s[2:3], 0x50
	s_load_b256 s[36:43], s[2:3], 0x0
	s_wait_kmcnt 0x0
	s_bitcmp1_b32 s4, 0
	s_mov_b32 s4, -1
	s_cselect_b32 s56, -1, 0
	s_sub_co_i32 s57, s54, s55
	s_delay_alu instid0(SALU_CYCLE_1)
	s_cmp_lt_u32 s57, 0x1101
	s_cbranch_scc0 .LBB84_7
; %bb.2:
	v_cndmask_b32_e64 v1, 0, 1, s56
	s_and_b32 s4, s48, 1
	s_get_pc_i64 s[28:29]
	s_add_nc_u64 s[28:29], s[28:29], _ZN7rocprim17ROCPRIM_400000_NS6detail40segmented_radix_sort_single_block_helperIhlLj256ELj17ELb1EE4sortIPKhPhPKlPlEEbT_T0_T1_T2_jjjjRNS3_12storage_typeE@rel64+4
	s_delay_alu instid0(VALU_DEP_1)
	v_cmp_ne_u32_e32 vcc_lo, s4, v1
	s_mov_b32 s4, -1
	s_cbranch_vccnz .LBB84_4
; %bb.3:
	s_mov_b64 s[4:5], src_shared_base
	v_dual_mov_b32 v31, v0 :: v_dual_mov_b32 v40, v0
	v_dual_mov_b32 v0, s36 :: v_dual_mov_b32 v1, s37
	;; [unrolled: 1-line block ×8, first 2 shown]
	s_add_nc_u64 s[8:9], s[2:3], 0x60
	s_mov_b64 s[6:7], s[0:1]
	s_mov_b64 s[34:35], s[2:3]
	;; [unrolled: 1-line block ×3, first 2 shown]
	s_swap_pc_i64 s[30:31], s[28:29]
	v_mov_b32_e32 v0, v40
	s_mov_b64 s[0:1], s[52:53]
	s_mov_b64 s[2:3], s[34:35]
	s_mov_b32 s4, 0
.LBB84_4:
	s_delay_alu instid0(SALU_CYCLE_1)
	s_and_not1_b32 vcc_lo, exec_lo, s4
	s_cbranch_vccnz .LBB84_6
; %bb.5:
	s_mov_b64 s[4:5], src_shared_base
	v_dual_mov_b32 v31, v0 :: v_dual_mov_b32 v40, v0
	v_dual_mov_b32 v0, s36 :: v_dual_mov_b32 v1, s37
	;; [unrolled: 1-line block ×8, first 2 shown]
	s_add_nc_u64 s[8:9], s[2:3], 0x60
	s_mov_b64 s[6:7], s[0:1]
	s_mov_b64 s[34:35], s[2:3]
	s_swap_pc_i64 s[30:31], s[28:29]
	v_mov_b32_e32 v0, v40
	s_mov_b64 s[2:3], s[34:35]
.LBB84_6:
	s_mov_b32 s4, 0
.LBB84_7:
	s_delay_alu instid0(SALU_CYCLE_1)
	s_and_not1_b32 vcc_lo, exec_lo, s4
	s_cbranch_vccnz .LBB84_1254
; %bb.8:
	s_cmp_ge_u32 s49, s50
	s_cbranch_scc1 .LBB84_1254
; %bb.9:
	v_dual_mov_b32 v1, 0 :: v_dual_bitop2_b32 v6, 3, v0 bitop3:0x40
	v_and_b32_e32 v2, 0x3ff, v0
	v_and_b32_e32 v8, 0xe0, v0
	s_bfe_u32 s6, ttmp6, 0x40010
	s_delay_alu instid0(VALU_DEP_3)
	v_mov_b32_e32 v3, v1
	v_bfe_u32 v89, v0, 20, 10
	v_lshlrev_b32_e32 v66, 2, v2
	v_min_u32_e32 v7, 0x60, v8
	v_dual_lshrrev_b32 v9, 3, v0 :: v_dual_lshlrev_b32 v84, 2, v6
	v_mul_u32_u24_e32 v6, 17, v8
	s_delay_alu instid0(VALU_DEP_4) | instskip(NEXT) | instid1(VALU_DEP_4)
	v_mad_u32_u24 v85, v2, 12, v66
	v_or_b32_e32 v7, 31, v7
	s_delay_alu instid0(VALU_DEP_4) | instskip(SKIP_1) | instid1(VALU_DEP_4)
	v_and_b32_e32 v83, 28, v9
	v_dual_lshlrev_b32 v9, 4, v2 :: v_dual_bitop2_b32 v8, 31, v8 bitop3:0x54
	v_add_nc_u32_e32 v90, v85, v66
	s_delay_alu instid0(VALU_DEP_4) | instskip(NEXT) | instid1(VALU_DEP_4)
	v_cmp_eq_u32_e64 s1, v2, v7
	v_dual_mov_b32 v7, v1 :: v_dual_add_nc_u32 v88, 0x89fc, v83
	s_add_nc_u64 s[52:53], s[2:3], 0x60
	v_bfe_u32 v91, v0, 10, 10
	v_cmp_eq_u32_e64 s2, v2, v8
	v_dual_add_nc_u32 v8, 1, v2 :: v_dual_sub_nc_u32 v92, v90, v9
	v_lshlrev_b32_e32 v0, 3, v6
	s_add_co_i32 s6, s6, 1
	s_bfe_u32 s7, ttmp6, 0x40004
	s_mul_i32 s6, ttmp7, s6
	v_add_nc_u64_e32 v[4:5], s[40:41], v[2:3]
	s_add_co_i32 s8, s7, s6
	v_mul_u32_u24_e32 v93, 36, v8
	v_cmp_ne_u32_e64 s7, 0x80, v8
	v_add_nc_u64_e32 v[8:9], s[46:47], v[0:1]
	v_add_nc_u64_e32 v[10:11], s[40:41], v[6:7]
	v_add_nc_u64_e32 v[12:13], s[38:39], v[2:3]
	v_add_nc_u64_e32 v[14:15], s[44:45], v[0:1]
	v_add_nc_u64_e32 v[16:17], s[38:39], v[6:7]
	v_add_nc_u64_e32 v[18:19], s[36:37], v[2:3]
	v_add_nc_u64_e32 v[20:21], s[42:43], v[0:1]
	v_add_nc_u64_e32 v[22:23], s[36:37], v[6:7]
	v_or_b32_e32 v67, 0x100, v2
	v_or_b32_e32 v68, 0x200, v2
	;; [unrolled: 1-line block ×16, first 2 shown]
	v_cmp_gt_u32_e64 s0, 0x80, v2
	v_or_b32_e32 v86, 0x8a00, v83
	v_cmp_gt_u32_e64 s4, 4, v2
	v_add_nc_u32_e32 v87, 0x8a00, v66
	v_cmp_lt_u32_e64 s5, 31, v2
	v_cmp_gt_u32_e64 s3, 8, v2
	v_cmp_eq_u32_e64 s6, 0, v2
	v_dual_mov_b32 v7, 1 :: v_dual_lshlrev_b32 v94, 5, v2
	v_mul_u32_u24_e32 v95, 7, v2
	v_mbcnt_lo_u32_b32 v0, -1, 0
	s_cmp_eq_u32 s27, 0
	s_mov_b32 s35, 0
	s_cselect_b32 s42, ttmp7, s8
	s_mov_b32 s43, s49
	s_branch .LBB84_12
.LBB84_10:                              ;   in Loop: Header=BB84_12 Depth=1
	s_wait_dscnt 0x0
	s_barrier_signal -1
	s_barrier_wait -1
.LBB84_11:                              ;   in Loop: Header=BB84_12 Depth=1
	s_add_co_i32 s43, s43, 7
	s_delay_alu instid0(SALU_CYCLE_1)
	s_cmp_ge_u32 s43, s50
	s_cbranch_scc1 .LBB84_1254
.LBB84_12:                              ; =>This Loop Header: Depth=1
                                        ;     Child Loop BB84_16 Depth 2
                                        ;     Child Loop BB84_100 Depth 2
	;; [unrolled: 1-line block ×8, first 2 shown]
	s_sub_co_i32 s8, s50, s43
	s_xor_b32 s56, s56, -1
	s_min_u32 s8, s8, 7
	ds_store_2addr_stride64_b32 v66, v1, v1 offset1:4
	s_lshl_b32 s8, -1, s8
	s_wait_storecnt_dscnt 0x0
	s_not_b32 s48, s8
	s_cmp_lg_u32 s43, s49
	s_mov_b32 s8, -1
	s_cbranch_scc0 .LBB84_634
; %bb.13:                               ;   in Loop: Header=BB84_12 Depth=1
	s_and_b32 vcc_lo, exec_lo, s56
	s_cbranch_vccz .LBB84_323
; %bb.14:                               ;   in Loop: Header=BB84_12 Depth=1
	v_dual_mov_b32 v39, 0 :: v_dual_mov_b32 v42, 0
	v_dual_mov_b32 v41, 0 :: v_dual_mov_b32 v40, 0
	;; [unrolled: 1-line block ×8, first 2 shown]
	v_mov_b32_e32 v26, 0
	s_mov_b32 s8, s57
	s_mov_b32 s34, s55
	s_barrier_signal -1
	s_barrier_wait -1
	s_branch .LBB84_16
.LBB84_15:                              ;   in Loop: Header=BB84_16 Depth=2
	s_or_b32 exec_lo, exec_lo, s10
	s_addk_co_i32 s8, 0xef00
	s_cmp_ge_u32 s9, s54
	s_mov_b32 s34, s9
	s_cbranch_scc1 .LBB84_88
.LBB84_16:                              ;   Parent Loop BB84_12 Depth=1
                                        ; =>  This Inner Loop Header: Depth=2
	s_add_co_i32 s9, s34, 0x1100
	s_mov_b32 s10, -1
	s_cmp_gt_u32 s9, s54
                                        ; implicit-def: $vgpr24
                                        ; implicit-def: $vgpr25
                                        ; implicit-def: $vgpr43
                                        ; implicit-def: $vgpr44
                                        ; implicit-def: $vgpr45
                                        ; implicit-def: $vgpr46
                                        ; implicit-def: $vgpr47
                                        ; implicit-def: $vgpr48
                                        ; implicit-def: $vgpr49
                                        ; implicit-def: $vgpr50
                                        ; implicit-def: $vgpr51
                                        ; implicit-def: $vgpr52
                                        ; implicit-def: $vgpr53
                                        ; implicit-def: $vgpr54
                                        ; implicit-def: $vgpr55
                                        ; implicit-def: $vgpr56
                                        ; implicit-def: $vgpr57
	s_cbranch_scc1 .LBB84_18
; %bb.17:                               ;   in Loop: Header=BB84_16 Depth=2
	v_add_nc_u64_e32 v[58:59], s[34:35], v[4:5]
	s_mov_b32 s10, 0
	s_clause 0x10
	global_load_u8 v57, v[58:59], off offset:4096
	global_load_u8 v56, v[58:59], off offset:3840
	global_load_u8 v55, v[58:59], off offset:3584
	global_load_u8 v54, v[58:59], off offset:3328
	global_load_u8 v53, v[58:59], off offset:3072
	global_load_u8 v52, v[58:59], off offset:2816
	global_load_u8 v51, v[58:59], off offset:2560
	global_load_u8 v50, v[58:59], off offset:2304
	global_load_u8 v49, v[58:59], off offset:2048
	global_load_u8 v48, v[58:59], off offset:1792
	global_load_u8 v47, v[58:59], off offset:1536
	global_load_u8 v46, v[58:59], off offset:1280
	global_load_u8 v45, v[58:59], off offset:1024
	global_load_u8 v44, v[58:59], off offset:768
	global_load_u8 v43, v[58:59], off offset:512
	global_load_u8 v25, v[58:59], off offset:256
	global_load_u8 v24, v[58:59], off
.LBB84_18:                              ;   in Loop: Header=BB84_16 Depth=2
	s_and_not1_b32 vcc_lo, exec_lo, s10
	s_movk_i32 s10, 0x1100
	s_cbranch_vccnz .LBB84_38
; %bb.19:                               ;   in Loop: Header=BB84_16 Depth=2
	s_add_nc_u64 s[10:11], s[40:41], s[34:35]
	s_wait_loadcnt 0x0
	v_add_nc_u64_e32 v[24:25], s[10:11], v[2:3]
	s_mov_b32 s10, exec_lo
	s_wait_xcnt 0x0
	v_cmpx_gt_u32_e64 s8, v2
	s_cbranch_execnz .LBB84_72
; %bb.20:                               ;   in Loop: Header=BB84_16 Depth=2
	s_or_b32 exec_lo, exec_lo, s10
	s_delay_alu instid0(SALU_CYCLE_1)
	s_mov_b32 s10, exec_lo
	v_cmpx_gt_u32_e64 s8, v67
	s_cbranch_execnz .LBB84_73
.LBB84_21:                              ;   in Loop: Header=BB84_16 Depth=2
	s_or_b32 exec_lo, exec_lo, s10
	s_delay_alu instid0(SALU_CYCLE_1)
	s_mov_b32 s10, exec_lo
	v_cmpx_gt_u32_e64 s8, v68
	s_cbranch_execnz .LBB84_74
.LBB84_22:                              ;   in Loop: Header=BB84_16 Depth=2
	s_or_b32 exec_lo, exec_lo, s10
	s_delay_alu instid0(SALU_CYCLE_1)
	s_mov_b32 s10, exec_lo
	v_cmpx_gt_u32_e64 s8, v69
	s_cbranch_execnz .LBB84_75
.LBB84_23:                              ;   in Loop: Header=BB84_16 Depth=2
	s_or_b32 exec_lo, exec_lo, s10
	s_delay_alu instid0(SALU_CYCLE_1)
	s_mov_b32 s10, exec_lo
	v_cmpx_gt_u32_e64 s8, v70
	s_cbranch_execnz .LBB84_76
.LBB84_24:                              ;   in Loop: Header=BB84_16 Depth=2
	s_or_b32 exec_lo, exec_lo, s10
	s_delay_alu instid0(SALU_CYCLE_1)
	s_mov_b32 s10, exec_lo
	v_cmpx_gt_u32_e64 s8, v71
	s_cbranch_execnz .LBB84_77
.LBB84_25:                              ;   in Loop: Header=BB84_16 Depth=2
	s_or_b32 exec_lo, exec_lo, s10
	s_delay_alu instid0(SALU_CYCLE_1)
	s_mov_b32 s10, exec_lo
	v_cmpx_gt_u32_e64 s8, v72
	s_cbranch_execnz .LBB84_78
.LBB84_26:                              ;   in Loop: Header=BB84_16 Depth=2
	s_or_b32 exec_lo, exec_lo, s10
	s_delay_alu instid0(SALU_CYCLE_1)
	s_mov_b32 s10, exec_lo
	v_cmpx_gt_u32_e64 s8, v73
	s_cbranch_execnz .LBB84_79
.LBB84_27:                              ;   in Loop: Header=BB84_16 Depth=2
	s_or_b32 exec_lo, exec_lo, s10
	s_delay_alu instid0(SALU_CYCLE_1)
	s_mov_b32 s10, exec_lo
	v_cmpx_gt_u32_e64 s8, v74
	s_cbranch_execnz .LBB84_80
.LBB84_28:                              ;   in Loop: Header=BB84_16 Depth=2
	s_or_b32 exec_lo, exec_lo, s10
	s_delay_alu instid0(SALU_CYCLE_1)
	s_mov_b32 s10, exec_lo
	v_cmpx_gt_u32_e64 s8, v75
	s_cbranch_execnz .LBB84_81
.LBB84_29:                              ;   in Loop: Header=BB84_16 Depth=2
	s_or_b32 exec_lo, exec_lo, s10
	s_delay_alu instid0(SALU_CYCLE_1)
	s_mov_b32 s10, exec_lo
	v_cmpx_gt_u32_e64 s8, v76
	s_cbranch_execnz .LBB84_82
.LBB84_30:                              ;   in Loop: Header=BB84_16 Depth=2
	s_or_b32 exec_lo, exec_lo, s10
	s_delay_alu instid0(SALU_CYCLE_1)
	s_mov_b32 s10, exec_lo
	v_cmpx_gt_u32_e64 s8, v77
	s_cbranch_execnz .LBB84_83
.LBB84_31:                              ;   in Loop: Header=BB84_16 Depth=2
	s_or_b32 exec_lo, exec_lo, s10
	s_delay_alu instid0(SALU_CYCLE_1)
	s_mov_b32 s10, exec_lo
	v_cmpx_gt_u32_e64 s8, v78
	s_cbranch_execnz .LBB84_84
.LBB84_32:                              ;   in Loop: Header=BB84_16 Depth=2
	s_or_b32 exec_lo, exec_lo, s10
	s_delay_alu instid0(SALU_CYCLE_1)
	s_mov_b32 s10, exec_lo
	v_cmpx_gt_u32_e64 s8, v79
	s_cbranch_execnz .LBB84_85
.LBB84_33:                              ;   in Loop: Header=BB84_16 Depth=2
	s_or_b32 exec_lo, exec_lo, s10
	s_delay_alu instid0(SALU_CYCLE_1)
	s_mov_b32 s10, exec_lo
	v_cmpx_gt_u32_e64 s8, v80
	s_cbranch_execnz .LBB84_86
.LBB84_34:                              ;   in Loop: Header=BB84_16 Depth=2
	s_or_b32 exec_lo, exec_lo, s10
	s_delay_alu instid0(SALU_CYCLE_1)
	s_mov_b32 s10, exec_lo
	v_cmpx_gt_u32_e64 s8, v81
	s_cbranch_execnz .LBB84_87
.LBB84_35:                              ;   in Loop: Header=BB84_16 Depth=2
	s_or_b32 exec_lo, exec_lo, s10
	s_delay_alu instid0(SALU_CYCLE_1)
	s_mov_b32 s10, exec_lo
	v_cmpx_gt_u32_e64 s8, v82
	s_cbranch_execz .LBB84_37
.LBB84_36:                              ;   in Loop: Header=BB84_16 Depth=2
	global_load_u8 v26, v[24:25], off offset:4096
.LBB84_37:                              ;   in Loop: Header=BB84_16 Depth=2
	s_wait_xcnt 0x0
	s_or_b32 exec_lo, exec_lo, s10
	s_wait_loadcnt 0x0
	v_dual_mov_b32 v24, v39 :: v_dual_mov_b32 v25, v42
	v_dual_mov_b32 v43, v41 :: v_dual_mov_b32 v44, v40
	;; [unrolled: 1-line block ×8, first 2 shown]
	v_mov_b32_e32 v57, v26
	s_mov_b32 s10, s8
.LBB84_38:                              ;   in Loop: Header=BB84_16 Depth=2
	s_wait_loadcnt 0xf
	s_delay_alu instid0(VALU_DEP_1)
	v_dual_mov_b32 v26, v57 :: v_dual_mov_b32 v27, v56
	s_wait_loadcnt 0xd
	v_dual_mov_b32 v28, v55 :: v_dual_mov_b32 v29, v54
	s_wait_loadcnt 0xb
	;; [unrolled: 2-line block ×8, first 2 shown]
	v_mov_b32_e32 v39, v24
	s_mov_b32 s11, exec_lo
	s_wait_xcnt 0x0
	v_cmpx_gt_u32_e64 s10, v2
	s_cbranch_execnz .LBB84_55
; %bb.39:                               ;   in Loop: Header=BB84_16 Depth=2
	s_or_b32 exec_lo, exec_lo, s11
	s_delay_alu instid0(SALU_CYCLE_1)
	s_mov_b32 s11, exec_lo
	v_cmpx_gt_u32_e64 s10, v67
	s_cbranch_execnz .LBB84_56
.LBB84_40:                              ;   in Loop: Header=BB84_16 Depth=2
	s_or_b32 exec_lo, exec_lo, s11
	s_delay_alu instid0(SALU_CYCLE_1)
	s_mov_b32 s11, exec_lo
	v_cmpx_gt_u32_e64 s10, v68
	s_cbranch_execnz .LBB84_57
.LBB84_41:                              ;   in Loop: Header=BB84_16 Depth=2
	s_or_b32 exec_lo, exec_lo, s11
	s_delay_alu instid0(SALU_CYCLE_1)
	s_mov_b32 s11, exec_lo
	v_cmpx_gt_u32_e64 s10, v69
	s_cbranch_execnz .LBB84_58
.LBB84_42:                              ;   in Loop: Header=BB84_16 Depth=2
	s_or_b32 exec_lo, exec_lo, s11
	s_delay_alu instid0(SALU_CYCLE_1)
	s_mov_b32 s11, exec_lo
	v_cmpx_gt_u32_e64 s10, v70
	s_cbranch_execnz .LBB84_59
.LBB84_43:                              ;   in Loop: Header=BB84_16 Depth=2
	s_or_b32 exec_lo, exec_lo, s11
	s_delay_alu instid0(SALU_CYCLE_1)
	s_mov_b32 s11, exec_lo
	v_cmpx_gt_u32_e64 s10, v71
	s_cbranch_execnz .LBB84_60
.LBB84_44:                              ;   in Loop: Header=BB84_16 Depth=2
	s_or_b32 exec_lo, exec_lo, s11
	s_delay_alu instid0(SALU_CYCLE_1)
	s_mov_b32 s11, exec_lo
	v_cmpx_gt_u32_e64 s10, v72
	s_cbranch_execnz .LBB84_61
.LBB84_45:                              ;   in Loop: Header=BB84_16 Depth=2
	s_or_b32 exec_lo, exec_lo, s11
	s_delay_alu instid0(SALU_CYCLE_1)
	s_mov_b32 s11, exec_lo
	v_cmpx_gt_u32_e64 s10, v73
	s_cbranch_execnz .LBB84_62
.LBB84_46:                              ;   in Loop: Header=BB84_16 Depth=2
	s_or_b32 exec_lo, exec_lo, s11
	s_delay_alu instid0(SALU_CYCLE_1)
	s_mov_b32 s11, exec_lo
	v_cmpx_gt_u32_e64 s10, v74
	s_cbranch_execnz .LBB84_63
.LBB84_47:                              ;   in Loop: Header=BB84_16 Depth=2
	s_or_b32 exec_lo, exec_lo, s11
	s_delay_alu instid0(SALU_CYCLE_1)
	s_mov_b32 s11, exec_lo
	v_cmpx_gt_u32_e64 s10, v75
	s_cbranch_execnz .LBB84_64
.LBB84_48:                              ;   in Loop: Header=BB84_16 Depth=2
	s_or_b32 exec_lo, exec_lo, s11
	s_delay_alu instid0(SALU_CYCLE_1)
	s_mov_b32 s11, exec_lo
	v_cmpx_gt_u32_e64 s10, v76
	s_cbranch_execnz .LBB84_65
.LBB84_49:                              ;   in Loop: Header=BB84_16 Depth=2
	s_or_b32 exec_lo, exec_lo, s11
	s_delay_alu instid0(SALU_CYCLE_1)
	s_mov_b32 s11, exec_lo
	v_cmpx_gt_u32_e64 s10, v77
	s_cbranch_execnz .LBB84_66
.LBB84_50:                              ;   in Loop: Header=BB84_16 Depth=2
	s_or_b32 exec_lo, exec_lo, s11
	s_delay_alu instid0(SALU_CYCLE_1)
	s_mov_b32 s11, exec_lo
	v_cmpx_gt_u32_e64 s10, v78
	s_cbranch_execnz .LBB84_67
.LBB84_51:                              ;   in Loop: Header=BB84_16 Depth=2
	s_or_b32 exec_lo, exec_lo, s11
	s_delay_alu instid0(SALU_CYCLE_1)
	s_mov_b32 s11, exec_lo
	v_cmpx_gt_u32_e64 s10, v79
	s_cbranch_execnz .LBB84_68
.LBB84_52:                              ;   in Loop: Header=BB84_16 Depth=2
	s_or_b32 exec_lo, exec_lo, s11
	s_delay_alu instid0(SALU_CYCLE_1)
	s_mov_b32 s11, exec_lo
	v_cmpx_gt_u32_e64 s10, v80
	s_cbranch_execnz .LBB84_69
.LBB84_53:                              ;   in Loop: Header=BB84_16 Depth=2
	s_or_b32 exec_lo, exec_lo, s11
	s_delay_alu instid0(SALU_CYCLE_1)
	s_mov_b32 s11, exec_lo
	v_cmpx_gt_u32_e64 s10, v81
	s_cbranch_execnz .LBB84_70
.LBB84_54:                              ;   in Loop: Header=BB84_16 Depth=2
	s_or_b32 exec_lo, exec_lo, s11
	v_cmp_gt_u32_e32 vcc_lo, s10, v82
	s_and_saveexec_b32 s10, vcc_lo
	s_cbranch_execz .LBB84_15
	s_branch .LBB84_71
.LBB84_55:                              ;   in Loop: Header=BB84_16 Depth=2
	v_xor_b32_e32 v24, -1, v39
	s_delay_alu instid0(VALU_DEP_1) | instskip(NEXT) | instid1(VALU_DEP_1)
	v_and_b32_e32 v24, 0xff, v24
	v_lshrrev_b32_e32 v24, s43, v24
	s_delay_alu instid0(VALU_DEP_1) | instskip(NEXT) | instid1(VALU_DEP_1)
	v_and_b32_e32 v24, s48, v24
	v_lshl_or_b32 v24, v24, 4, v84
	ds_add_u32 v24, v7
	s_or_b32 exec_lo, exec_lo, s11
	s_delay_alu instid0(SALU_CYCLE_1)
	s_mov_b32 s11, exec_lo
	v_cmpx_gt_u32_e64 s10, v67
	s_cbranch_execz .LBB84_40
.LBB84_56:                              ;   in Loop: Header=BB84_16 Depth=2
	v_xor_b32_e32 v24, -1, v42
	s_delay_alu instid0(VALU_DEP_1) | instskip(NEXT) | instid1(VALU_DEP_1)
	v_and_b32_e32 v24, 0xff, v24
	v_lshrrev_b32_e32 v24, s43, v24
	s_delay_alu instid0(VALU_DEP_1) | instskip(NEXT) | instid1(VALU_DEP_1)
	v_and_b32_e32 v24, s48, v24
	v_lshl_or_b32 v24, v24, 4, v84
	ds_add_u32 v24, v7
	s_or_b32 exec_lo, exec_lo, s11
	s_delay_alu instid0(SALU_CYCLE_1)
	s_mov_b32 s11, exec_lo
	v_cmpx_gt_u32_e64 s10, v68
	s_cbranch_execz .LBB84_41
.LBB84_57:                              ;   in Loop: Header=BB84_16 Depth=2
	v_xor_b32_e32 v24, -1, v41
	s_delay_alu instid0(VALU_DEP_1) | instskip(NEXT) | instid1(VALU_DEP_1)
	v_and_b32_e32 v24, 0xff, v24
	v_lshrrev_b32_e32 v24, s43, v24
	s_delay_alu instid0(VALU_DEP_1) | instskip(NEXT) | instid1(VALU_DEP_1)
	v_and_b32_e32 v24, s48, v24
	v_lshl_or_b32 v24, v24, 4, v84
	ds_add_u32 v24, v7
	s_or_b32 exec_lo, exec_lo, s11
	s_delay_alu instid0(SALU_CYCLE_1)
	s_mov_b32 s11, exec_lo
	v_cmpx_gt_u32_e64 s10, v69
	s_cbranch_execz .LBB84_42
.LBB84_58:                              ;   in Loop: Header=BB84_16 Depth=2
	v_xor_b32_e32 v24, -1, v40
	s_delay_alu instid0(VALU_DEP_1) | instskip(NEXT) | instid1(VALU_DEP_1)
	v_and_b32_e32 v24, 0xff, v24
	v_lshrrev_b32_e32 v24, s43, v24
	s_delay_alu instid0(VALU_DEP_1) | instskip(NEXT) | instid1(VALU_DEP_1)
	v_and_b32_e32 v24, s48, v24
	v_lshl_or_b32 v24, v24, 4, v84
	ds_add_u32 v24, v7
	s_or_b32 exec_lo, exec_lo, s11
	s_delay_alu instid0(SALU_CYCLE_1)
	s_mov_b32 s11, exec_lo
	v_cmpx_gt_u32_e64 s10, v70
	s_cbranch_execz .LBB84_43
.LBB84_59:                              ;   in Loop: Header=BB84_16 Depth=2
	v_xor_b32_e32 v24, -1, v38
	s_delay_alu instid0(VALU_DEP_1) | instskip(NEXT) | instid1(VALU_DEP_1)
	v_and_b32_e32 v24, 0xff, v24
	v_lshrrev_b32_e32 v24, s43, v24
	s_delay_alu instid0(VALU_DEP_1) | instskip(NEXT) | instid1(VALU_DEP_1)
	v_and_b32_e32 v24, s48, v24
	v_lshl_or_b32 v24, v24, 4, v84
	ds_add_u32 v24, v7
	s_or_b32 exec_lo, exec_lo, s11
	s_delay_alu instid0(SALU_CYCLE_1)
	s_mov_b32 s11, exec_lo
	v_cmpx_gt_u32_e64 s10, v71
	s_cbranch_execz .LBB84_44
.LBB84_60:                              ;   in Loop: Header=BB84_16 Depth=2
	v_xor_b32_e32 v24, -1, v37
	s_delay_alu instid0(VALU_DEP_1) | instskip(NEXT) | instid1(VALU_DEP_1)
	v_and_b32_e32 v24, 0xff, v24
	v_lshrrev_b32_e32 v24, s43, v24
	s_delay_alu instid0(VALU_DEP_1) | instskip(NEXT) | instid1(VALU_DEP_1)
	v_and_b32_e32 v24, s48, v24
	v_lshl_or_b32 v24, v24, 4, v84
	ds_add_u32 v24, v7
	s_or_b32 exec_lo, exec_lo, s11
	s_delay_alu instid0(SALU_CYCLE_1)
	s_mov_b32 s11, exec_lo
	v_cmpx_gt_u32_e64 s10, v72
	s_cbranch_execz .LBB84_45
.LBB84_61:                              ;   in Loop: Header=BB84_16 Depth=2
	v_xor_b32_e32 v24, -1, v36
	s_delay_alu instid0(VALU_DEP_1) | instskip(NEXT) | instid1(VALU_DEP_1)
	v_and_b32_e32 v24, 0xff, v24
	v_lshrrev_b32_e32 v24, s43, v24
	s_delay_alu instid0(VALU_DEP_1) | instskip(NEXT) | instid1(VALU_DEP_1)
	v_and_b32_e32 v24, s48, v24
	v_lshl_or_b32 v24, v24, 4, v84
	ds_add_u32 v24, v7
	s_or_b32 exec_lo, exec_lo, s11
	s_delay_alu instid0(SALU_CYCLE_1)
	s_mov_b32 s11, exec_lo
	v_cmpx_gt_u32_e64 s10, v73
	s_cbranch_execz .LBB84_46
.LBB84_62:                              ;   in Loop: Header=BB84_16 Depth=2
	v_xor_b32_e32 v24, -1, v35
	s_delay_alu instid0(VALU_DEP_1) | instskip(NEXT) | instid1(VALU_DEP_1)
	v_and_b32_e32 v24, 0xff, v24
	v_lshrrev_b32_e32 v24, s43, v24
	s_delay_alu instid0(VALU_DEP_1) | instskip(NEXT) | instid1(VALU_DEP_1)
	v_and_b32_e32 v24, s48, v24
	v_lshl_or_b32 v24, v24, 4, v84
	ds_add_u32 v24, v7
	s_or_b32 exec_lo, exec_lo, s11
	s_delay_alu instid0(SALU_CYCLE_1)
	s_mov_b32 s11, exec_lo
	v_cmpx_gt_u32_e64 s10, v74
	s_cbranch_execz .LBB84_47
.LBB84_63:                              ;   in Loop: Header=BB84_16 Depth=2
	v_xor_b32_e32 v24, -1, v34
	s_delay_alu instid0(VALU_DEP_1) | instskip(NEXT) | instid1(VALU_DEP_1)
	v_and_b32_e32 v24, 0xff, v24
	v_lshrrev_b32_e32 v24, s43, v24
	s_delay_alu instid0(VALU_DEP_1) | instskip(NEXT) | instid1(VALU_DEP_1)
	v_and_b32_e32 v24, s48, v24
	v_lshl_or_b32 v24, v24, 4, v84
	ds_add_u32 v24, v7
	s_or_b32 exec_lo, exec_lo, s11
	s_delay_alu instid0(SALU_CYCLE_1)
	s_mov_b32 s11, exec_lo
	v_cmpx_gt_u32_e64 s10, v75
	s_cbranch_execz .LBB84_48
.LBB84_64:                              ;   in Loop: Header=BB84_16 Depth=2
	v_xor_b32_e32 v24, -1, v33
	s_delay_alu instid0(VALU_DEP_1) | instskip(NEXT) | instid1(VALU_DEP_1)
	v_and_b32_e32 v24, 0xff, v24
	v_lshrrev_b32_e32 v24, s43, v24
	s_delay_alu instid0(VALU_DEP_1) | instskip(NEXT) | instid1(VALU_DEP_1)
	v_and_b32_e32 v24, s48, v24
	v_lshl_or_b32 v24, v24, 4, v84
	ds_add_u32 v24, v7
	s_or_b32 exec_lo, exec_lo, s11
	s_delay_alu instid0(SALU_CYCLE_1)
	s_mov_b32 s11, exec_lo
	v_cmpx_gt_u32_e64 s10, v76
	s_cbranch_execz .LBB84_49
.LBB84_65:                              ;   in Loop: Header=BB84_16 Depth=2
	v_xor_b32_e32 v24, -1, v32
	s_delay_alu instid0(VALU_DEP_1) | instskip(NEXT) | instid1(VALU_DEP_1)
	v_and_b32_e32 v24, 0xff, v24
	v_lshrrev_b32_e32 v24, s43, v24
	s_delay_alu instid0(VALU_DEP_1) | instskip(NEXT) | instid1(VALU_DEP_1)
	v_and_b32_e32 v24, s48, v24
	v_lshl_or_b32 v24, v24, 4, v84
	ds_add_u32 v24, v7
	s_or_b32 exec_lo, exec_lo, s11
	s_delay_alu instid0(SALU_CYCLE_1)
	s_mov_b32 s11, exec_lo
	v_cmpx_gt_u32_e64 s10, v77
	s_cbranch_execz .LBB84_50
.LBB84_66:                              ;   in Loop: Header=BB84_16 Depth=2
	v_xor_b32_e32 v24, -1, v31
	s_delay_alu instid0(VALU_DEP_1) | instskip(NEXT) | instid1(VALU_DEP_1)
	v_and_b32_e32 v24, 0xff, v24
	v_lshrrev_b32_e32 v24, s43, v24
	s_delay_alu instid0(VALU_DEP_1) | instskip(NEXT) | instid1(VALU_DEP_1)
	v_and_b32_e32 v24, s48, v24
	v_lshl_or_b32 v24, v24, 4, v84
	ds_add_u32 v24, v7
	s_or_b32 exec_lo, exec_lo, s11
	s_delay_alu instid0(SALU_CYCLE_1)
	s_mov_b32 s11, exec_lo
	v_cmpx_gt_u32_e64 s10, v78
	s_cbranch_execz .LBB84_51
.LBB84_67:                              ;   in Loop: Header=BB84_16 Depth=2
	v_xor_b32_e32 v24, -1, v30
	s_delay_alu instid0(VALU_DEP_1) | instskip(NEXT) | instid1(VALU_DEP_1)
	v_and_b32_e32 v24, 0xff, v24
	v_lshrrev_b32_e32 v24, s43, v24
	s_delay_alu instid0(VALU_DEP_1) | instskip(NEXT) | instid1(VALU_DEP_1)
	v_and_b32_e32 v24, s48, v24
	v_lshl_or_b32 v24, v24, 4, v84
	ds_add_u32 v24, v7
	s_or_b32 exec_lo, exec_lo, s11
	s_delay_alu instid0(SALU_CYCLE_1)
	s_mov_b32 s11, exec_lo
	v_cmpx_gt_u32_e64 s10, v79
	s_cbranch_execz .LBB84_52
.LBB84_68:                              ;   in Loop: Header=BB84_16 Depth=2
	v_xor_b32_e32 v24, -1, v29
	s_delay_alu instid0(VALU_DEP_1) | instskip(NEXT) | instid1(VALU_DEP_1)
	v_and_b32_e32 v24, 0xff, v24
	v_lshrrev_b32_e32 v24, s43, v24
	s_delay_alu instid0(VALU_DEP_1) | instskip(NEXT) | instid1(VALU_DEP_1)
	v_and_b32_e32 v24, s48, v24
	v_lshl_or_b32 v24, v24, 4, v84
	ds_add_u32 v24, v7
	s_or_b32 exec_lo, exec_lo, s11
	s_delay_alu instid0(SALU_CYCLE_1)
	s_mov_b32 s11, exec_lo
	v_cmpx_gt_u32_e64 s10, v80
	s_cbranch_execz .LBB84_53
.LBB84_69:                              ;   in Loop: Header=BB84_16 Depth=2
	v_xor_b32_e32 v24, -1, v28
	s_delay_alu instid0(VALU_DEP_1) | instskip(NEXT) | instid1(VALU_DEP_1)
	v_and_b32_e32 v24, 0xff, v24
	v_lshrrev_b32_e32 v24, s43, v24
	s_delay_alu instid0(VALU_DEP_1) | instskip(NEXT) | instid1(VALU_DEP_1)
	v_and_b32_e32 v24, s48, v24
	v_lshl_or_b32 v24, v24, 4, v84
	ds_add_u32 v24, v7
	s_or_b32 exec_lo, exec_lo, s11
	s_delay_alu instid0(SALU_CYCLE_1)
	s_mov_b32 s11, exec_lo
	v_cmpx_gt_u32_e64 s10, v81
	s_cbranch_execz .LBB84_54
.LBB84_70:                              ;   in Loop: Header=BB84_16 Depth=2
	v_xor_b32_e32 v24, -1, v27
	s_delay_alu instid0(VALU_DEP_1) | instskip(NEXT) | instid1(VALU_DEP_1)
	v_and_b32_e32 v24, 0xff, v24
	v_lshrrev_b32_e32 v24, s43, v24
	s_delay_alu instid0(VALU_DEP_1) | instskip(NEXT) | instid1(VALU_DEP_1)
	v_and_b32_e32 v24, s48, v24
	v_lshl_or_b32 v24, v24, 4, v84
	ds_add_u32 v24, v7
	s_or_b32 exec_lo, exec_lo, s11
	v_cmp_gt_u32_e32 vcc_lo, s10, v82
	s_and_saveexec_b32 s10, vcc_lo
	s_cbranch_execz .LBB84_15
.LBB84_71:                              ;   in Loop: Header=BB84_16 Depth=2
	v_xor_b32_e32 v24, -1, v26
	s_delay_alu instid0(VALU_DEP_1) | instskip(NEXT) | instid1(VALU_DEP_1)
	v_and_b32_e32 v24, 0xff, v24
	v_lshrrev_b32_e32 v24, s43, v24
	s_delay_alu instid0(VALU_DEP_1) | instskip(NEXT) | instid1(VALU_DEP_1)
	v_and_b32_e32 v24, s48, v24
	v_lshl_or_b32 v24, v24, 4, v84
	ds_add_u32 v24, v7
	s_branch .LBB84_15
.LBB84_72:                              ;   in Loop: Header=BB84_16 Depth=2
	global_load_u8 v39, v[24:25], off
	s_wait_xcnt 0x0
	s_or_b32 exec_lo, exec_lo, s10
	s_delay_alu instid0(SALU_CYCLE_1)
	s_mov_b32 s10, exec_lo
	v_cmpx_gt_u32_e64 s8, v67
	s_cbranch_execz .LBB84_21
.LBB84_73:                              ;   in Loop: Header=BB84_16 Depth=2
	global_load_u8 v42, v[24:25], off offset:256
	s_wait_xcnt 0x0
	s_or_b32 exec_lo, exec_lo, s10
	s_delay_alu instid0(SALU_CYCLE_1)
	s_mov_b32 s10, exec_lo
	v_cmpx_gt_u32_e64 s8, v68
	s_cbranch_execz .LBB84_22
.LBB84_74:                              ;   in Loop: Header=BB84_16 Depth=2
	global_load_u8 v41, v[24:25], off offset:512
	s_wait_xcnt 0x0
	s_or_b32 exec_lo, exec_lo, s10
	s_delay_alu instid0(SALU_CYCLE_1)
	s_mov_b32 s10, exec_lo
	v_cmpx_gt_u32_e64 s8, v69
	s_cbranch_execz .LBB84_23
.LBB84_75:                              ;   in Loop: Header=BB84_16 Depth=2
	global_load_u8 v40, v[24:25], off offset:768
	s_wait_xcnt 0x0
	s_or_b32 exec_lo, exec_lo, s10
	s_delay_alu instid0(SALU_CYCLE_1)
	s_mov_b32 s10, exec_lo
	v_cmpx_gt_u32_e64 s8, v70
	s_cbranch_execz .LBB84_24
.LBB84_76:                              ;   in Loop: Header=BB84_16 Depth=2
	global_load_u8 v38, v[24:25], off offset:1024
	s_wait_xcnt 0x0
	s_or_b32 exec_lo, exec_lo, s10
	s_delay_alu instid0(SALU_CYCLE_1)
	s_mov_b32 s10, exec_lo
	v_cmpx_gt_u32_e64 s8, v71
	s_cbranch_execz .LBB84_25
.LBB84_77:                              ;   in Loop: Header=BB84_16 Depth=2
	global_load_u8 v37, v[24:25], off offset:1280
	s_wait_xcnt 0x0
	s_or_b32 exec_lo, exec_lo, s10
	s_delay_alu instid0(SALU_CYCLE_1)
	s_mov_b32 s10, exec_lo
	v_cmpx_gt_u32_e64 s8, v72
	s_cbranch_execz .LBB84_26
.LBB84_78:                              ;   in Loop: Header=BB84_16 Depth=2
	global_load_u8 v36, v[24:25], off offset:1536
	s_wait_xcnt 0x0
	s_or_b32 exec_lo, exec_lo, s10
	s_delay_alu instid0(SALU_CYCLE_1)
	s_mov_b32 s10, exec_lo
	v_cmpx_gt_u32_e64 s8, v73
	s_cbranch_execz .LBB84_27
.LBB84_79:                              ;   in Loop: Header=BB84_16 Depth=2
	global_load_u8 v35, v[24:25], off offset:1792
	s_wait_xcnt 0x0
	s_or_b32 exec_lo, exec_lo, s10
	s_delay_alu instid0(SALU_CYCLE_1)
	s_mov_b32 s10, exec_lo
	v_cmpx_gt_u32_e64 s8, v74
	s_cbranch_execz .LBB84_28
.LBB84_80:                              ;   in Loop: Header=BB84_16 Depth=2
	global_load_u8 v34, v[24:25], off offset:2048
	s_wait_xcnt 0x0
	s_or_b32 exec_lo, exec_lo, s10
	s_delay_alu instid0(SALU_CYCLE_1)
	s_mov_b32 s10, exec_lo
	v_cmpx_gt_u32_e64 s8, v75
	s_cbranch_execz .LBB84_29
.LBB84_81:                              ;   in Loop: Header=BB84_16 Depth=2
	global_load_u8 v33, v[24:25], off offset:2304
	s_wait_xcnt 0x0
	s_or_b32 exec_lo, exec_lo, s10
	s_delay_alu instid0(SALU_CYCLE_1)
	s_mov_b32 s10, exec_lo
	v_cmpx_gt_u32_e64 s8, v76
	s_cbranch_execz .LBB84_30
.LBB84_82:                              ;   in Loop: Header=BB84_16 Depth=2
	global_load_u8 v32, v[24:25], off offset:2560
	s_wait_xcnt 0x0
	s_or_b32 exec_lo, exec_lo, s10
	s_delay_alu instid0(SALU_CYCLE_1)
	s_mov_b32 s10, exec_lo
	v_cmpx_gt_u32_e64 s8, v77
	s_cbranch_execz .LBB84_31
.LBB84_83:                              ;   in Loop: Header=BB84_16 Depth=2
	global_load_u8 v31, v[24:25], off offset:2816
	s_wait_xcnt 0x0
	s_or_b32 exec_lo, exec_lo, s10
	s_delay_alu instid0(SALU_CYCLE_1)
	s_mov_b32 s10, exec_lo
	v_cmpx_gt_u32_e64 s8, v78
	s_cbranch_execz .LBB84_32
.LBB84_84:                              ;   in Loop: Header=BB84_16 Depth=2
	global_load_u8 v30, v[24:25], off offset:3072
	s_wait_xcnt 0x0
	s_or_b32 exec_lo, exec_lo, s10
	s_delay_alu instid0(SALU_CYCLE_1)
	s_mov_b32 s10, exec_lo
	v_cmpx_gt_u32_e64 s8, v79
	s_cbranch_execz .LBB84_33
.LBB84_85:                              ;   in Loop: Header=BB84_16 Depth=2
	global_load_u8 v29, v[24:25], off offset:3328
	s_wait_xcnt 0x0
	s_or_b32 exec_lo, exec_lo, s10
	s_delay_alu instid0(SALU_CYCLE_1)
	s_mov_b32 s10, exec_lo
	v_cmpx_gt_u32_e64 s8, v80
	s_cbranch_execz .LBB84_34
.LBB84_86:                              ;   in Loop: Header=BB84_16 Depth=2
	global_load_u8 v28, v[24:25], off offset:3584
	s_wait_xcnt 0x0
	s_or_b32 exec_lo, exec_lo, s10
	s_delay_alu instid0(SALU_CYCLE_1)
	s_mov_b32 s10, exec_lo
	v_cmpx_gt_u32_e64 s8, v81
	s_cbranch_execz .LBB84_35
.LBB84_87:                              ;   in Loop: Header=BB84_16 Depth=2
	global_load_u8 v27, v[24:25], off offset:3840
	s_wait_xcnt 0x0
	s_or_b32 exec_lo, exec_lo, s10
	s_delay_alu instid0(SALU_CYCLE_1)
	s_mov_b32 s10, exec_lo
	v_cmpx_gt_u32_e64 s8, v82
	s_cbranch_execnz .LBB84_36
	s_branch .LBB84_37
.LBB84_88:                              ;   in Loop: Header=BB84_12 Depth=1
	v_mov_b32_e32 v24, 0
	s_wait_dscnt 0x0
	s_barrier_signal -1
	s_barrier_wait -1
	s_and_saveexec_b32 s8, s0
	s_cbranch_execz .LBB84_90
; %bb.89:                               ;   in Loop: Header=BB84_12 Depth=1
	ds_load_2addr_b64 v[24:27], v85 offset1:1
	s_wait_dscnt 0x0
	v_add_nc_u32_e32 v24, v25, v24
	s_delay_alu instid0(VALU_DEP_1)
	v_add3_u32 v24, v24, v26, v27
.LBB84_90:                              ;   in Loop: Header=BB84_12 Depth=1
	s_or_b32 exec_lo, exec_lo, s8
	v_and_b32_e32 v25, 15, v0
	s_delay_alu instid0(VALU_DEP_2) | instskip(SKIP_1) | instid1(VALU_DEP_3)
	v_mov_b32_dpp v26, v24 row_shr:1 row_mask:0xf bank_mask:0xf
	v_and_b32_e32 v27, 16, v0
	v_cmp_eq_u32_e64 s8, 0, v25
	v_cmp_lt_u32_e64 s9, 1, v25
	s_delay_alu instid0(VALU_DEP_3) | instskip(NEXT) | instid1(VALU_DEP_3)
	v_cmp_eq_u32_e64 s12, 0, v27
	v_cndmask_b32_e64 v26, v26, 0, s8
	s_delay_alu instid0(VALU_DEP_1) | instskip(NEXT) | instid1(VALU_DEP_1)
	v_add_nc_u32_e32 v24, v26, v24
	v_mov_b32_dpp v26, v24 row_shr:2 row_mask:0xf bank_mask:0xf
	s_delay_alu instid0(VALU_DEP_1) | instskip(SKIP_2) | instid1(VALU_DEP_3)
	v_cndmask_b32_e64 v26, 0, v26, s9
	v_cmp_lt_u32_e64 s11, 7, v25
	v_cmp_lt_u32_e64 s10, 3, v25
	v_add_nc_u32_e32 v24, v24, v26
	s_delay_alu instid0(VALU_DEP_1) | instskip(NEXT) | instid1(VALU_DEP_1)
	v_mov_b32_dpp v26, v24 row_shr:4 row_mask:0xf bank_mask:0xf
	v_cndmask_b32_e64 v26, 0, v26, s10
	s_delay_alu instid0(VALU_DEP_1) | instskip(NEXT) | instid1(VALU_DEP_1)
	v_add_nc_u32_e32 v24, v24, v26
	v_mov_b32_dpp v26, v24 row_shr:8 row_mask:0xf bank_mask:0xf
	s_delay_alu instid0(VALU_DEP_1) | instskip(SKIP_1) | instid1(VALU_DEP_2)
	v_cndmask_b32_e64 v25, 0, v26, s11
	v_bfe_i32 v26, v0, 4, 1
	v_add_nc_u32_e32 v24, v24, v25
	ds_swizzle_b32 v25, v24 offset:swizzle(BROADCAST,32,15)
	s_wait_dscnt 0x0
	v_and_b32_e32 v25, v26, v25
	s_delay_alu instid0(VALU_DEP_1)
	v_add_nc_u32_e32 v24, v24, v25
	s_and_saveexec_b32 s13, s1
; %bb.91:                               ;   in Loop: Header=BB84_12 Depth=1
	ds_store_b32 v86, v24
; %bb.92:                               ;   in Loop: Header=BB84_12 Depth=1
	s_or_b32 exec_lo, exec_lo, s13
	s_wait_dscnt 0x0
	s_barrier_signal -1
	s_barrier_wait -1
	s_and_saveexec_b32 s13, s4
	s_cbranch_execz .LBB84_94
; %bb.93:                               ;   in Loop: Header=BB84_12 Depth=1
	ds_load_b32 v25, v87
	s_wait_dscnt 0x0
	v_mov_b32_dpp v27, v25 row_shr:1 row_mask:0xf bank_mask:0xf
	v_and_b32_e32 v26, 3, v0
	s_delay_alu instid0(VALU_DEP_1) | instskip(NEXT) | instid1(VALU_DEP_3)
	v_cmp_ne_u32_e32 vcc_lo, 0, v26
	v_cndmask_b32_e32 v27, 0, v27, vcc_lo
	v_cmp_lt_u32_e32 vcc_lo, 1, v26
	s_delay_alu instid0(VALU_DEP_2) | instskip(NEXT) | instid1(VALU_DEP_1)
	v_add_nc_u32_e32 v25, v27, v25
	v_mov_b32_dpp v27, v25 row_shr:2 row_mask:0xf bank_mask:0xf
	s_delay_alu instid0(VALU_DEP_1) | instskip(NEXT) | instid1(VALU_DEP_1)
	v_cndmask_b32_e32 v26, 0, v27, vcc_lo
	v_add_nc_u32_e32 v25, v25, v26
	ds_store_b32 v87, v25
.LBB84_94:                              ;   in Loop: Header=BB84_12 Depth=1
	s_or_b32 exec_lo, exec_lo, s13
	v_mov_b32_e32 v25, 0
	s_wait_dscnt 0x0
	s_barrier_signal -1
	s_barrier_wait -1
	s_and_saveexec_b32 s13, s5
; %bb.95:                               ;   in Loop: Header=BB84_12 Depth=1
	ds_load_b32 v25, v88
; %bb.96:                               ;   in Loop: Header=BB84_12 Depth=1
	s_or_b32 exec_lo, exec_lo, s13
	v_sub_co_u32 v26, s13, v0, 1
	s_wait_dscnt 0x0
	s_barrier_signal -1
	s_barrier_wait -1
	s_delay_alu instid0(VALU_DEP_1) | instskip(SKIP_1) | instid1(VALU_DEP_1)
	v_cmp_gt_i32_e32 vcc_lo, 0, v26
	v_cndmask_b32_e32 v26, v26, v0, vcc_lo
	v_dual_add_nc_u32 v24, v25, v24 :: v_dual_lshlrev_b32 v96, 2, v26
	ds_bpermute_b32 v24, v96, v24
	s_and_saveexec_b32 s14, s0
	s_cbranch_execz .LBB84_98
; %bb.97:                               ;   in Loop: Header=BB84_12 Depth=1
	s_wait_dscnt 0x0
	v_cndmask_b32_e64 v24, v24, v25, s13
	s_delay_alu instid0(VALU_DEP_1)
	v_add_nc_u32_e32 v24, s55, v24
	ds_store_b32 v66, v24
.LBB84_98:                              ;   in Loop: Header=BB84_12 Depth=1
	s_or_b32 exec_lo, exec_lo, s14
	s_clause 0x1
	s_load_b32 s14, s[52:53], 0x4
	s_load_b32 s17, s[52:53], 0xc
	v_dual_lshlrev_b32 v26, 3, v0 :: v_dual_bitop2_b32 v28, 7, v0 bitop3:0x40
	v_dual_mov_b32 v27, v1 :: v_dual_bitop2_b32 v97, v0, v6 bitop3:0x54
	s_wait_dscnt 0x0
	v_add_nc_u64_e32 v[24:25], v[10:11], v[0:1]
	s_delay_alu instid0(VALU_DEP_3)
	v_cmp_lt_u32_e64 s16, 3, v28
	v_mov_b32_e32 v121, 0
	v_add_nc_u64_e32 v[26:27], v[8:9], v[26:27]
	v_dual_add_nc_u32 v98, 32, v97 :: v_dual_add_nc_u32 v99, 64, v97
	v_add_nc_u32_e32 v100, 0x60, v97
	v_add_nc_u32_e32 v101, 0x80, v97
	;; [unrolled: 1-line block ×8, first 2 shown]
	s_wait_kmcnt 0x0
	s_cmp_lt_u32 s42, s14
	v_add_nc_u32_e32 v108, 0x160, v97
	s_cselect_b32 s34, 14, 20
	s_and_b32 s17, s17, 0xffff
	s_add_nc_u64 s[14:15], s[52:53], s[34:35]
	v_add_nc_u32_e32 v109, 0x180, v97
	s_load_u16 s18, s[14:15], 0x0
	s_wait_xcnt 0x0
	v_cmp_eq_u32_e64 s14, 0, v28
	v_cmp_lt_u32_e64 s15, 1, v28
	v_add_nc_u32_e32 v110, 0x1a0, v97
	v_add_nc_u32_e32 v111, 0x1c0, v97
	;; [unrolled: 1-line block ×4, first 2 shown]
	s_mov_b32 s58, s57
	s_mov_b32 s34, s55
                                        ; implicit-def: $vgpr30_vgpr31
                                        ; implicit-def: $vgpr32_vgpr33
                                        ; implicit-def: $vgpr34_vgpr35
                                        ; implicit-def: $vgpr36_vgpr37
                                        ; implicit-def: $vgpr38_vgpr39
                                        ; implicit-def: $vgpr40_vgpr41
                                        ; implicit-def: $vgpr42_vgpr43
                                        ; implicit-def: $vgpr44_vgpr45
                                        ; implicit-def: $vgpr46_vgpr47
                                        ; implicit-def: $vgpr48_vgpr49
                                        ; implicit-def: $vgpr50_vgpr51
                                        ; implicit-def: $vgpr52_vgpr53
                                        ; implicit-def: $vgpr54_vgpr55
                                        ; implicit-def: $vgpr56_vgpr57
                                        ; implicit-def: $vgpr58_vgpr59
                                        ; implicit-def: $vgpr60_vgpr61
                                        ; implicit-def: $vgpr115
                                        ; implicit-def: $vgpr116
                                        ; implicit-def: $vgpr117
                                        ; implicit-def: $vgpr118
                                        ; implicit-def: $vgpr119
                                        ; implicit-def: $vgpr120
                                        ; implicit-def: $vgpr122
                                        ; implicit-def: $vgpr123
                                        ; implicit-def: $vgpr124
                                        ; implicit-def: $vgpr125
                                        ; implicit-def: $vgpr126
                                        ; implicit-def: $vgpr127
                                        ; implicit-def: $vgpr128
                                        ; implicit-def: $vgpr129
                                        ; implicit-def: $vgpr130
                                        ; implicit-def: $vgpr131
                                        ; implicit-def: $vgpr132
                                        ; implicit-def: $vgpr133
                                        ; implicit-def: $vgpr134
	s_wait_kmcnt 0x0
	v_mad_u32_u24 v28, v89, s18, v91
	s_delay_alu instid0(VALU_DEP_1) | instskip(NEXT) | instid1(VALU_DEP_1)
	v_mad_u32 v28, v28, s17, v2
	v_lshrrev_b32_e32 v28, 3, v28
	s_delay_alu instid0(VALU_DEP_1)
	v_and_b32_e32 v114, 0x1ffffffc, v28
                                        ; implicit-def: $vgpr28_vgpr29
	s_branch .LBB84_100
.LBB84_99:                              ;   in Loop: Header=BB84_100 Depth=2
	s_or_b32 exec_lo, exec_lo, s17
	s_addk_co_i32 s58, 0xef00
	s_cmp_lt_u32 s59, s54
	s_mov_b32 s34, s59
	s_cbranch_scc0 .LBB84_322
.LBB84_100:                             ;   Parent Loop BB84_12 Depth=1
                                        ; =>  This Inner Loop Header: Depth=2
	s_add_co_i32 s59, s34, 0x1100
	s_delay_alu instid0(SALU_CYCLE_1)
	s_cmp_gt_u32 s59, s54
	s_cbranch_scc1 .LBB84_102
; %bb.101:                              ;   in Loop: Header=BB84_100 Depth=2
	v_add_nc_u64_e32 v[62:63], s[34:35], v[24:25]
	s_mov_b32 s17, -1
	s_clause 0xf
	global_load_u8 v136, v[62:63], off offset:480
	global_load_u8 v65, v[62:63], off offset:448
	;; [unrolled: 1-line block ×15, first 2 shown]
	global_load_u8 v147, v[62:63], off
	s_movk_i32 s18, 0x1100
	s_cbranch_execz .LBB84_103
	s_branch .LBB84_122
.LBB84_102:                             ;   in Loop: Header=BB84_100 Depth=2
	s_mov_b32 s17, 0
                                        ; implicit-def: $vgpr147
                                        ; implicit-def: $vgpr151
                                        ; implicit-def: $vgpr148
                                        ; implicit-def: $vgpr150
                                        ; implicit-def: $vgpr142
                                        ; implicit-def: $vgpr144
                                        ; implicit-def: $vgpr143
                                        ; implicit-def: $vgpr145
                                        ; implicit-def: $vgpr138
                                        ; implicit-def: $vgpr140
                                        ; implicit-def: $vgpr139
                                        ; implicit-def: $vgpr141
                                        ; implicit-def: $vgpr64
                                        ; implicit-def: $vgpr135
                                        ; implicit-def: $vgpr65
                                        ; implicit-def: $vgpr136
                                        ; implicit-def: $vgpr121
	s_movk_i32 s18, 0x1100
.LBB84_103:                             ;   in Loop: Header=BB84_100 Depth=2
	s_wait_xcnt 0x0
	v_add_nc_u64_e32 v[62:63], s[34:35], v[24:25]
	s_wait_loadcnt 0x0
	v_dual_mov_b32 v148, 0 :: v_dual_mov_b32 v147, 0
	v_dual_mov_b32 v150, 0 :: v_dual_mov_b32 v142, 0
	;; [unrolled: 1-line block ×8, first 2 shown]
	s_mov_b32 s17, exec_lo
	v_cmpx_gt_u32_e64 s58, v97
	s_cbranch_execz .LBB84_105
; %bb.104:                              ;   in Loop: Header=BB84_100 Depth=2
	global_load_u8 v147, v[62:63], off
	v_dual_mov_b32 v150, 0 :: v_dual_mov_b32 v142, 0
	v_dual_mov_b32 v144, 0 :: v_dual_mov_b32 v143, 0
	;; [unrolled: 1-line block ×7, first 2 shown]
.LBB84_105:                             ;   in Loop: Header=BB84_100 Depth=2
	s_wait_xcnt 0x0
	s_or_b32 exec_lo, exec_lo, s17
	v_mov_b32_e32 v151, v148
	s_mov_b32 s17, exec_lo
	v_cmpx_gt_u32_e64 s58, v98
	s_cbranch_execnz .LBB84_308
; %bb.106:                              ;   in Loop: Header=BB84_100 Depth=2
	s_or_b32 exec_lo, exec_lo, s17
	s_delay_alu instid0(SALU_CYCLE_1)
	s_mov_b32 s17, exec_lo
	v_cmpx_gt_u32_e64 s58, v99
	s_cbranch_execnz .LBB84_309
.LBB84_107:                             ;   in Loop: Header=BB84_100 Depth=2
	s_or_b32 exec_lo, exec_lo, s17
	s_delay_alu instid0(SALU_CYCLE_1)
	s_mov_b32 s17, exec_lo
	v_cmpx_gt_u32_e64 s58, v100
	s_cbranch_execnz .LBB84_310
.LBB84_108:                             ;   in Loop: Header=BB84_100 Depth=2
	s_or_b32 exec_lo, exec_lo, s17
	s_delay_alu instid0(SALU_CYCLE_1)
	s_mov_b32 s17, exec_lo
	v_cmpx_gt_u32_e64 s58, v101
	s_cbranch_execnz .LBB84_311
.LBB84_109:                             ;   in Loop: Header=BB84_100 Depth=2
	s_or_b32 exec_lo, exec_lo, s17
	s_delay_alu instid0(SALU_CYCLE_1)
	s_mov_b32 s17, exec_lo
	v_cmpx_gt_u32_e64 s58, v102
	s_cbranch_execnz .LBB84_312
.LBB84_110:                             ;   in Loop: Header=BB84_100 Depth=2
	s_or_b32 exec_lo, exec_lo, s17
	s_delay_alu instid0(SALU_CYCLE_1)
	s_mov_b32 s17, exec_lo
	v_cmpx_gt_u32_e64 s58, v103
	s_cbranch_execnz .LBB84_313
.LBB84_111:                             ;   in Loop: Header=BB84_100 Depth=2
	s_or_b32 exec_lo, exec_lo, s17
	s_delay_alu instid0(SALU_CYCLE_1)
	s_mov_b32 s17, exec_lo
	v_cmpx_gt_u32_e64 s58, v104
	s_cbranch_execnz .LBB84_314
.LBB84_112:                             ;   in Loop: Header=BB84_100 Depth=2
	s_or_b32 exec_lo, exec_lo, s17
	s_delay_alu instid0(SALU_CYCLE_1)
	s_mov_b32 s17, exec_lo
	v_cmpx_gt_u32_e64 s58, v105
	s_cbranch_execnz .LBB84_315
.LBB84_113:                             ;   in Loop: Header=BB84_100 Depth=2
	s_or_b32 exec_lo, exec_lo, s17
	s_delay_alu instid0(SALU_CYCLE_1)
	s_mov_b32 s17, exec_lo
	v_cmpx_gt_u32_e64 s58, v106
	s_cbranch_execnz .LBB84_316
.LBB84_114:                             ;   in Loop: Header=BB84_100 Depth=2
	s_or_b32 exec_lo, exec_lo, s17
	s_delay_alu instid0(SALU_CYCLE_1)
	s_mov_b32 s17, exec_lo
	v_cmpx_gt_u32_e64 s58, v107
	s_cbranch_execnz .LBB84_317
.LBB84_115:                             ;   in Loop: Header=BB84_100 Depth=2
	s_or_b32 exec_lo, exec_lo, s17
	s_delay_alu instid0(SALU_CYCLE_1)
	s_mov_b32 s17, exec_lo
	v_cmpx_gt_u32_e64 s58, v108
	s_cbranch_execnz .LBB84_318
.LBB84_116:                             ;   in Loop: Header=BB84_100 Depth=2
	s_or_b32 exec_lo, exec_lo, s17
	s_delay_alu instid0(SALU_CYCLE_1)
	s_mov_b32 s17, exec_lo
	v_cmpx_gt_u32_e64 s58, v109
	s_cbranch_execnz .LBB84_319
.LBB84_117:                             ;   in Loop: Header=BB84_100 Depth=2
	s_or_b32 exec_lo, exec_lo, s17
	s_delay_alu instid0(SALU_CYCLE_1)
	s_mov_b32 s17, exec_lo
	v_cmpx_gt_u32_e64 s58, v110
	s_cbranch_execnz .LBB84_320
.LBB84_118:                             ;   in Loop: Header=BB84_100 Depth=2
	s_or_b32 exec_lo, exec_lo, s17
	s_delay_alu instid0(SALU_CYCLE_1)
	s_mov_b32 s17, exec_lo
	v_cmpx_gt_u32_e64 s58, v111
	s_cbranch_execnz .LBB84_321
.LBB84_119:                             ;   in Loop: Header=BB84_100 Depth=2
	s_or_b32 exec_lo, exec_lo, s17
	s_delay_alu instid0(SALU_CYCLE_1)
	s_mov_b32 s17, exec_lo
	v_cmpx_gt_u32_e64 s58, v112
	s_cbranch_execz .LBB84_121
.LBB84_120:                             ;   in Loop: Header=BB84_100 Depth=2
	global_load_u8 v136, v[62:63], off offset:480
.LBB84_121:                             ;   in Loop: Header=BB84_100 Depth=2
	s_wait_xcnt 0x0
	s_or_b32 exec_lo, exec_lo, s17
	v_cmp_gt_u32_e64 s17, s58, v113
	s_sub_co_i32 s18, s54, s34
.LBB84_122:                             ;   in Loop: Header=BB84_100 Depth=2
	v_mov_b32_e32 v137, s58
	s_wait_xcnt 0x0
	s_and_saveexec_b32 s19, s17
	s_cbranch_execz .LBB84_124
; %bb.123:                              ;   in Loop: Header=BB84_100 Depth=2
	v_add_nc_u64_e32 v[62:63], s[34:35], v[24:25]
	v_mov_b32_e32 v137, s18
	global_load_u8 v121, v[62:63], off offset:512
.LBB84_124:                             ;   in Loop: Header=BB84_100 Depth=2
	s_wait_xcnt 0x0
	s_or_b32 exec_lo, exec_lo, s19
	s_wait_loadcnt 0x0
	v_bitop3_b16 v62, v147, 0xff, v147 bitop3:0xc
	ds_store_2addr_b32 v90, v1, v1 offset0:136 offset1:137
	ds_store_2addr_b32 v90, v1, v1 offset0:138 offset1:139
	ds_store_b32 v90, v1 offset:560
	s_wait_dscnt 0x0
	s_barrier_signal -1
	s_barrier_wait -1
	v_and_b32_e32 v62, 0xffff, v62
	; wave barrier
	s_delay_alu instid0(VALU_DEP_1) | instskip(NEXT) | instid1(VALU_DEP_1)
	v_lshrrev_b32_e32 v62, s43, v62
	v_and_b32_e32 v149, s48, v62
	s_delay_alu instid0(VALU_DEP_1) | instskip(SKIP_1) | instid1(VALU_DEP_1)
	v_lshlrev_b32_e32 v146, 30, v149
	v_bitop3_b32 v63, v62, 1, s48 bitop3:0x80
	v_add_co_u32 v62, s17, v63, -1
	s_delay_alu instid0(VALU_DEP_1) | instskip(NEXT) | instid1(VALU_DEP_4)
	v_cndmask_b32_e64 v63, 0, 1, s17
	v_cmp_gt_i32_e64 s17, 0, v146
	s_delay_alu instid0(VALU_DEP_2) | instskip(SKIP_2) | instid1(VALU_DEP_2)
	v_cmp_ne_u32_e32 vcc_lo, 0, v63
	v_not_b32_e32 v63, v146
	v_bitop3_b32 v62, vcc_lo, exec_lo, v62 bitop3:0x48
	v_dual_ashrrev_i32 v63, 31, v63 :: v_dual_lshlrev_b32 v152, 29, v149
	v_dual_lshlrev_b32 v153, 28, v149 :: v_dual_lshlrev_b32 v154, 27, v149
	v_lshlrev_b32_e32 v155, 26, v149
	s_delay_alu instid0(VALU_DEP_3)
	v_not_b32_e32 v146, v152
	v_lshlrev_b32_e32 v156, 25, v149
	v_cmp_gt_i32_e64 s18, 0, v152
	v_cmp_gt_i32_e64 s19, 0, v153
	v_not_b32_e32 v152, v153
	v_not_b32_e32 v153, v154
	v_ashrrev_i32_e32 v146, 31, v146
	v_cmp_gt_i32_e64 s20, 0, v154
	v_cmp_gt_i32_e64 s21, 0, v155
	v_not_b32_e32 v154, v155
	v_not_b32_e32 v155, v156
	v_dual_ashrrev_i32 v152, 31, v152 :: v_dual_ashrrev_i32 v153, 31, v153
	s_delay_alu instid0(VALU_DEP_3) | instskip(NEXT) | instid1(VALU_DEP_3)
	v_dual_ashrrev_i32 v154, 31, v154 :: v_dual_bitop2_b32 v63, s17, v63 bitop3:0x14
	v_dual_ashrrev_i32 v155, 31, v155 :: v_dual_bitop2_b32 v146, s18, v146 bitop3:0x14
	v_cmp_gt_i32_e64 s22, 0, v156
	s_delay_alu instid0(VALU_DEP_4) | instskip(SKIP_1) | instid1(VALU_DEP_4)
	v_xor_b32_e32 v152, s19, v152
	v_xor_b32_e32 v153, s20, v153
	v_bitop3_b32 v62, v62, v146, v63 bitop3:0x80
	v_xor_b32_e32 v63, s21, v154
	v_xor_b32_e32 v146, s22, v155
	s_delay_alu instid0(VALU_DEP_3) | instskip(NEXT) | instid1(VALU_DEP_1)
	v_bitop3_b32 v62, v62, v153, v152 bitop3:0x80
	v_bitop3_b32 v62, v62, v146, v63 bitop3:0x80
	v_mul_u32_u24_e32 v63, 36, v149
	s_delay_alu instid0(VALU_DEP_2) | instskip(SKIP_1) | instid1(VALU_DEP_3)
	v_mbcnt_lo_u32_b32 v146, v62, 0
	v_cmp_ne_u32_e64 s17, 0, v62
	v_add_nc_u32_e32 v149, v114, v63
	s_delay_alu instid0(VALU_DEP_3) | instskip(SKIP_1) | instid1(SALU_CYCLE_1)
	v_cmp_eq_u32_e32 vcc_lo, 0, v146
	s_and_b32 s18, s17, vcc_lo
	s_and_saveexec_b32 s17, s18
; %bb.125:                              ;   in Loop: Header=BB84_100 Depth=2
	v_bcnt_u32_b32 v62, v62, 0
	ds_store_b32 v149, v62 offset:544
; %bb.126:                              ;   in Loop: Header=BB84_100 Depth=2
	s_or_b32 exec_lo, exec_lo, s17
	v_xor_b32_e32 v62, -1, v151
	v_xor_b32_e32 v63, -1, v150
	; wave barrier
	s_delay_alu instid0(VALU_DEP_2) | instskip(NEXT) | instid1(VALU_DEP_2)
	v_lshlrev_b16 v62, 8, v62
	v_lshlrev_b16 v63, 8, v63
	s_delay_alu instid0(VALU_DEP_2) | instskip(NEXT) | instid1(VALU_DEP_2)
	v_bitop3_b16 v147, v147, v62, 0xff bitop3:0xce
	v_bitop3_b16 v62, v148, v63, 0xff bitop3:0xce
	s_delay_alu instid0(VALU_DEP_2) | instskip(NEXT) | instid1(VALU_DEP_2)
	v_and_b32_e32 v63, 0xffff, v147
	v_lshlrev_b32_e32 v62, 16, v62
	s_delay_alu instid0(VALU_DEP_1) | instskip(NEXT) | instid1(VALU_DEP_1)
	v_or_b32_e32 v148, v63, v62
	v_bfe_u32 v62, v148, 8, 8
	s_delay_alu instid0(VALU_DEP_1) | instskip(NEXT) | instid1(VALU_DEP_1)
	v_lshrrev_b32_e32 v62, s43, v62
	v_bitop3_b32 v63, v62, 1, s48 bitop3:0x80
	v_and_b32_e32 v152, s48, v62
	s_delay_alu instid0(VALU_DEP_2) | instskip(NEXT) | instid1(VALU_DEP_1)
	v_add_co_u32 v62, s17, v63, -1
	v_cndmask_b32_e64 v63, 0, 1, s17
	s_delay_alu instid0(VALU_DEP_3) | instskip(NEXT) | instid1(VALU_DEP_2)
	v_lshlrev_b32_e32 v150, 30, v152
	v_cmp_ne_u32_e32 vcc_lo, 0, v63
	s_delay_alu instid0(VALU_DEP_2) | instskip(SKIP_2) | instid1(VALU_DEP_3)
	v_not_b32_e32 v63, v150
	v_cmp_gt_i32_e64 s17, 0, v150
	v_bitop3_b32 v62, vcc_lo, exec_lo, v62 bitop3:0x48
	v_dual_ashrrev_i32 v63, 31, v63 :: v_dual_lshlrev_b32 v151, 29, v152
	v_dual_lshlrev_b32 v153, 28, v152 :: v_dual_lshlrev_b32 v154, 27, v152
	v_lshlrev_b32_e32 v155, 26, v152
	s_delay_alu instid0(VALU_DEP_3)
	v_not_b32_e32 v150, v151
	v_lshlrev_b32_e32 v156, 25, v152
	v_cmp_gt_i32_e64 s18, 0, v151
	v_cmp_gt_i32_e64 s19, 0, v153
	v_not_b32_e32 v151, v153
	v_ashrrev_i32_e32 v150, 31, v150
	v_cmp_gt_i32_e64 s20, 0, v154
	v_not_b32_e32 v153, v154
	v_cmp_gt_i32_e64 s21, 0, v155
	v_not_b32_e32 v154, v155
	v_not_b32_e32 v155, v156
	v_xor_b32_e32 v63, s17, v63
	v_dual_ashrrev_i32 v151, 31, v151 :: v_dual_bitop2_b32 v150, s18, v150 bitop3:0x14
	s_delay_alu instid0(VALU_DEP_4) | instskip(NEXT) | instid1(VALU_DEP_4)
	v_dual_ashrrev_i32 v153, 31, v153 :: v_dual_ashrrev_i32 v154, 31, v154
	v_ashrrev_i32_e32 v155, 31, v155
	s_delay_alu instid0(VALU_DEP_3)
	v_bitop3_b32 v62, v62, v150, v63 bitop3:0x80
	v_mad_u32_u24 v63, v152, 36, v114
	v_cmp_gt_i32_e64 s22, 0, v156
	v_xor_b32_e32 v151, s19, v151
	v_xor_b32_e32 v154, s21, v154
	ds_load_b32 v150, v63 offset:544
	v_mul_u32_u24_e32 v63, 36, v152
	v_xor_b32_e32 v153, s20, v153
	v_xor_b32_e32 v155, s22, v155
	; wave barrier
	s_delay_alu instid0(VALU_DEP_3) | instskip(NEXT) | instid1(VALU_DEP_3)
	v_add_nc_u32_e32 v152, v114, v63
	v_bitop3_b32 v62, v62, v153, v151 bitop3:0x80
	s_delay_alu instid0(VALU_DEP_1) | instskip(NEXT) | instid1(VALU_DEP_1)
	v_bitop3_b32 v62, v62, v155, v154 bitop3:0x80
	v_mbcnt_lo_u32_b32 v151, v62, 0
	v_cmp_ne_u32_e64 s17, 0, v62
	s_delay_alu instid0(VALU_DEP_2) | instskip(SKIP_1) | instid1(SALU_CYCLE_1)
	v_cmp_eq_u32_e32 vcc_lo, 0, v151
	s_and_b32 s18, s17, vcc_lo
	s_and_saveexec_b32 s17, s18
	s_cbranch_execz .LBB84_128
; %bb.127:                              ;   in Loop: Header=BB84_100 Depth=2
	s_wait_dscnt 0x0
	v_bcnt_u32_b32 v62, v62, v150
	ds_store_b32 v152, v62 offset:544
.LBB84_128:                             ;   in Loop: Header=BB84_100 Depth=2
	s_or_b32 exec_lo, exec_lo, s17
	v_bfe_u32 v62, v148, 16, 8
	; wave barrier
	s_delay_alu instid0(VALU_DEP_1) | instskip(NEXT) | instid1(VALU_DEP_1)
	v_lshrrev_b32_e32 v62, s43, v62
	v_and_b32_e32 v155, s48, v62
	s_delay_alu instid0(VALU_DEP_1) | instskip(SKIP_1) | instid1(VALU_DEP_1)
	v_lshlrev_b32_e32 v153, 30, v155
	v_bitop3_b32 v63, v62, 1, s48 bitop3:0x80
	v_add_co_u32 v62, s17, v63, -1
	s_delay_alu instid0(VALU_DEP_1) | instskip(NEXT) | instid1(VALU_DEP_4)
	v_cndmask_b32_e64 v63, 0, 1, s17
	v_cmp_gt_i32_e64 s17, 0, v153
	s_delay_alu instid0(VALU_DEP_2) | instskip(SKIP_2) | instid1(VALU_DEP_2)
	v_cmp_ne_u32_e32 vcc_lo, 0, v63
	v_not_b32_e32 v63, v153
	v_bitop3_b32 v62, vcc_lo, exec_lo, v62 bitop3:0x48
	v_ashrrev_i32_e32 v63, 31, v63
	v_dual_lshlrev_b32 v154, 29, v155 :: v_dual_lshlrev_b32 v156, 28, v155
	v_dual_lshlrev_b32 v157, 27, v155 :: v_dual_lshlrev_b32 v158, 26, v155
	s_delay_alu instid0(VALU_DEP_2)
	v_not_b32_e32 v153, v154
	v_lshlrev_b32_e32 v159, 25, v155
	v_cmp_gt_i32_e64 s18, 0, v154
	v_cmp_gt_i32_e64 s19, 0, v156
	v_not_b32_e32 v154, v156
	v_not_b32_e32 v156, v157
	v_ashrrev_i32_e32 v153, 31, v153
	v_cmp_gt_i32_e64 s20, 0, v157
	v_cmp_gt_i32_e64 s21, 0, v158
	v_not_b32_e32 v157, v158
	v_dual_ashrrev_i32 v154, 31, v154 :: v_dual_ashrrev_i32 v156, 31, v156
	v_xor_b32_e32 v63, s17, v63
	v_not_b32_e32 v158, v159
	v_xor_b32_e32 v153, s18, v153
	s_delay_alu instid0(VALU_DEP_4) | instskip(SKIP_2) | instid1(VALU_DEP_4)
	v_dual_ashrrev_i32 v157, 31, v157 :: v_dual_bitop2_b32 v154, s19, v154 bitop3:0x14
	v_xor_b32_e32 v156, s20, v156
	v_cmp_gt_i32_e32 vcc_lo, 0, v159
	v_bitop3_b32 v62, v62, v153, v63 bitop3:0x80
	v_ashrrev_i32_e32 v63, 31, v158
	v_mad_u32_u24 v153, v155, 36, v114
	v_xor_b32_e32 v157, s21, v157
	s_delay_alu instid0(VALU_DEP_4) | instskip(NEXT) | instid1(VALU_DEP_4)
	v_bitop3_b32 v62, v62, v156, v154 bitop3:0x80
	v_xor_b32_e32 v63, vcc_lo, v63
	ds_load_b32 v153, v153 offset:544
	; wave barrier
	v_bitop3_b32 v62, v62, v63, v157 bitop3:0x80
	v_mul_u32_u24_e32 v63, 36, v155
	s_delay_alu instid0(VALU_DEP_2) | instskip(SKIP_1) | instid1(VALU_DEP_3)
	v_mbcnt_lo_u32_b32 v154, v62, 0
	v_cmp_ne_u32_e64 s17, 0, v62
	v_add_nc_u32_e32 v156, v114, v63
	s_delay_alu instid0(VALU_DEP_3) | instskip(SKIP_1) | instid1(SALU_CYCLE_1)
	v_cmp_eq_u32_e32 vcc_lo, 0, v154
	s_and_b32 s18, s17, vcc_lo
	s_and_saveexec_b32 s17, s18
	s_cbranch_execz .LBB84_130
; %bb.129:                              ;   in Loop: Header=BB84_100 Depth=2
	s_wait_dscnt 0x0
	v_bcnt_u32_b32 v62, v62, v153
	ds_store_b32 v156, v62 offset:544
.LBB84_130:                             ;   in Loop: Header=BB84_100 Depth=2
	s_or_b32 exec_lo, exec_lo, s17
	v_lshrrev_b32_e32 v155, 24, v148
	; wave barrier
	s_delay_alu instid0(VALU_DEP_1) | instskip(NEXT) | instid1(VALU_DEP_1)
	v_lshrrev_b32_e32 v62, s43, v155
	v_bitop3_b32 v63, v62, 1, s48 bitop3:0x80
	v_and_b32_e32 v159, s48, v62
	s_delay_alu instid0(VALU_DEP_2) | instskip(NEXT) | instid1(VALU_DEP_1)
	v_add_co_u32 v62, s17, v63, -1
	v_cndmask_b32_e64 v63, 0, 1, s17
	s_delay_alu instid0(VALU_DEP_3) | instskip(SKIP_1) | instid1(VALU_DEP_3)
	v_dual_lshlrev_b32 v157, 30, v159 :: v_dual_lshlrev_b32 v158, 29, v159
	v_dual_lshlrev_b32 v160, 28, v159 :: v_dual_lshlrev_b32 v161, 27, v159
	v_cmp_ne_u32_e32 vcc_lo, 0, v63
	s_delay_alu instid0(VALU_DEP_3)
	v_cmp_gt_i32_e64 s17, 0, v157
	v_not_b32_e32 v63, v157
	v_not_b32_e32 v157, v158
	v_dual_lshlrev_b32 v162, 26, v159 :: v_dual_lshlrev_b32 v163, 25, v159
	v_cmp_gt_i32_e64 s18, 0, v158
	v_cmp_gt_i32_e64 s19, 0, v160
	v_not_b32_e32 v158, v160
	v_not_b32_e32 v160, v161
	v_dual_ashrrev_i32 v63, 31, v63 :: v_dual_ashrrev_i32 v157, 31, v157
	v_cmp_gt_i32_e64 s20, 0, v161
	v_cmp_gt_i32_e64 s21, 0, v162
	v_not_b32_e32 v161, v162
	v_bitop3_b32 v62, vcc_lo, exec_lo, v62 bitop3:0x48
	v_dual_ashrrev_i32 v158, 31, v158 :: v_dual_ashrrev_i32 v160, 31, v160
	v_xor_b32_e32 v63, s17, v63
	v_not_b32_e32 v162, v163
	v_xor_b32_e32 v157, s18, v157
	s_delay_alu instid0(VALU_DEP_4) | instskip(SKIP_2) | instid1(VALU_DEP_4)
	v_dual_ashrrev_i32 v161, 31, v161 :: v_dual_bitop2_b32 v158, s19, v158 bitop3:0x14
	v_xor_b32_e32 v160, s20, v160
	v_cmp_gt_i32_e32 vcc_lo, 0, v163
	v_bitop3_b32 v62, v62, v157, v63 bitop3:0x80
	v_ashrrev_i32_e32 v63, 31, v162
	v_mad_u32_u24 v157, v159, 36, v114
	v_xor_b32_e32 v161, s21, v161
	s_delay_alu instid0(VALU_DEP_4) | instskip(NEXT) | instid1(VALU_DEP_4)
	v_bitop3_b32 v62, v62, v160, v158 bitop3:0x80
	v_xor_b32_e32 v63, vcc_lo, v63
	ds_load_b32 v157, v157 offset:544
	; wave barrier
	v_bitop3_b32 v62, v62, v63, v161 bitop3:0x80
	v_mul_u32_u24_e32 v63, 36, v159
	s_delay_alu instid0(VALU_DEP_2) | instskip(SKIP_1) | instid1(VALU_DEP_3)
	v_mbcnt_lo_u32_b32 v158, v62, 0
	v_cmp_ne_u32_e64 s17, 0, v62
	v_add_nc_u32_e32 v159, v114, v63
	s_delay_alu instid0(VALU_DEP_3) | instskip(SKIP_1) | instid1(SALU_CYCLE_1)
	v_cmp_eq_u32_e32 vcc_lo, 0, v158
	s_and_b32 s18, s17, vcc_lo
	s_and_saveexec_b32 s17, s18
	s_cbranch_execz .LBB84_132
; %bb.131:                              ;   in Loop: Header=BB84_100 Depth=2
	s_wait_dscnt 0x0
	v_bcnt_u32_b32 v62, v62, v157
	ds_store_b32 v159, v62 offset:544
.LBB84_132:                             ;   in Loop: Header=BB84_100 Depth=2
	s_or_b32 exec_lo, exec_lo, s17
	v_bitop3_b16 v62, v142, 0xff, v142 bitop3:0xc
	; wave barrier
	s_delay_alu instid0(VALU_DEP_1) | instskip(NEXT) | instid1(VALU_DEP_1)
	v_and_b32_e32 v62, 0xffff, v62
	v_lshrrev_b32_e32 v62, s43, v62
	s_delay_alu instid0(VALU_DEP_1) | instskip(SKIP_1) | instid1(VALU_DEP_2)
	v_bitop3_b32 v63, v62, 1, s48 bitop3:0x80
	v_and_b32_e32 v162, s48, v62
	v_add_co_u32 v62, s17, v63, -1
	s_delay_alu instid0(VALU_DEP_1) | instskip(NEXT) | instid1(VALU_DEP_3)
	v_cndmask_b32_e64 v63, 0, 1, s17
	v_dual_lshlrev_b32 v160, 30, v162 :: v_dual_lshlrev_b32 v161, 29, v162
	s_delay_alu instid0(VALU_DEP_2) | instskip(NEXT) | instid1(VALU_DEP_2)
	v_cmp_ne_u32_e32 vcc_lo, 0, v63
	v_cmp_gt_i32_e64 s17, 0, v160
	v_not_b32_e32 v63, v160
	s_delay_alu instid0(VALU_DEP_4) | instskip(SKIP_2) | instid1(VALU_DEP_3)
	v_not_b32_e32 v160, v161
	v_cmp_gt_i32_e64 s18, 0, v161
	v_bitop3_b32 v62, vcc_lo, exec_lo, v62 bitop3:0x48
	v_dual_ashrrev_i32 v63, 31, v63 :: v_dual_ashrrev_i32 v160, 31, v160
	v_dual_lshlrev_b32 v163, 28, v162 :: v_dual_lshlrev_b32 v164, 27, v162
	v_dual_lshlrev_b32 v165, 26, v162 :: v_dual_lshlrev_b32 v166, 25, v162
	s_delay_alu instid0(VALU_DEP_2) | instskip(SKIP_1) | instid1(VALU_DEP_4)
	v_cmp_gt_i32_e64 s19, 0, v163
	v_not_b32_e32 v161, v163
	v_cmp_gt_i32_e64 s20, 0, v164
	v_not_b32_e32 v163, v164
	;; [unrolled: 2-line block ×3, first 2 shown]
	v_not_b32_e32 v165, v166
	v_xor_b32_e32 v63, s17, v63
	v_dual_ashrrev_i32 v161, 31, v161 :: v_dual_bitop2_b32 v160, s18, v160 bitop3:0x14
	s_delay_alu instid0(VALU_DEP_4) | instskip(NEXT) | instid1(VALU_DEP_4)
	v_dual_ashrrev_i32 v163, 31, v163 :: v_dual_ashrrev_i32 v164, 31, v164
	v_ashrrev_i32_e32 v165, 31, v165
	s_delay_alu instid0(VALU_DEP_3)
	v_bitop3_b32 v62, v62, v160, v63 bitop3:0x80
	v_mad_u32_u24 v63, v162, 36, v114
	v_cmp_gt_i32_e64 s22, 0, v166
	v_xor_b32_e32 v163, s20, v163
	v_xor_b32_e32 v164, s21, v164
	ds_load_b32 v160, v63 offset:544
	v_mul_u32_u24_e32 v63, 36, v162
	v_xor_b32_e32 v161, s19, v161
	v_xor_b32_e32 v165, s22, v165
	; wave barrier
	s_delay_alu instid0(VALU_DEP_3) | instskip(NEXT) | instid1(VALU_DEP_3)
	v_add_nc_u32_e32 v162, v114, v63
	v_bitop3_b32 v62, v62, v163, v161 bitop3:0x80
	s_delay_alu instid0(VALU_DEP_1) | instskip(NEXT) | instid1(VALU_DEP_1)
	v_bitop3_b32 v62, v62, v165, v164 bitop3:0x80
	v_mbcnt_lo_u32_b32 v161, v62, 0
	v_cmp_ne_u32_e64 s17, 0, v62
	s_delay_alu instid0(VALU_DEP_2) | instskip(SKIP_1) | instid1(SALU_CYCLE_1)
	v_cmp_eq_u32_e32 vcc_lo, 0, v161
	s_and_b32 s18, s17, vcc_lo
	s_and_saveexec_b32 s17, s18
	s_cbranch_execz .LBB84_134
; %bb.133:                              ;   in Loop: Header=BB84_100 Depth=2
	s_wait_dscnt 0x0
	v_bcnt_u32_b32 v62, v62, v160
	ds_store_b32 v162, v62 offset:544
.LBB84_134:                             ;   in Loop: Header=BB84_100 Depth=2
	s_or_b32 exec_lo, exec_lo, s17
	v_xor_b32_e32 v62, -1, v144
	v_xor_b32_e32 v63, -1, v145
	; wave barrier
	s_delay_alu instid0(VALU_DEP_2) | instskip(NEXT) | instid1(VALU_DEP_2)
	v_lshlrev_b16 v62, 8, v62
	v_lshlrev_b16 v63, 8, v63
	s_delay_alu instid0(VALU_DEP_2) | instskip(NEXT) | instid1(VALU_DEP_2)
	v_bitop3_b16 v142, v142, v62, 0xff bitop3:0xce
	v_bitop3_b16 v62, v143, v63, 0xff bitop3:0xce
	s_delay_alu instid0(VALU_DEP_2) | instskip(NEXT) | instid1(VALU_DEP_2)
	v_and_b32_e32 v63, 0xffff, v142
	v_lshlrev_b32_e32 v62, 16, v62
	s_delay_alu instid0(VALU_DEP_1) | instskip(NEXT) | instid1(VALU_DEP_1)
	v_or_b32_e32 v143, v63, v62
	v_bfe_u32 v62, v143, 8, 8
	s_delay_alu instid0(VALU_DEP_1) | instskip(NEXT) | instid1(VALU_DEP_1)
	v_lshrrev_b32_e32 v62, s43, v62
	v_bitop3_b32 v63, v62, 1, s48 bitop3:0x80
	v_and_b32_e32 v163, s48, v62
	s_delay_alu instid0(VALU_DEP_2) | instskip(NEXT) | instid1(VALU_DEP_1)
	v_add_co_u32 v62, s17, v63, -1
	v_cndmask_b32_e64 v63, 0, 1, s17
	s_delay_alu instid0(VALU_DEP_3) | instskip(NEXT) | instid1(VALU_DEP_2)
	v_lshlrev_b32_e32 v144, 30, v163
	v_cmp_ne_u32_e32 vcc_lo, 0, v63
	s_delay_alu instid0(VALU_DEP_2) | instskip(SKIP_2) | instid1(VALU_DEP_3)
	v_not_b32_e32 v63, v144
	v_cmp_gt_i32_e64 s17, 0, v144
	v_bitop3_b32 v62, vcc_lo, exec_lo, v62 bitop3:0x48
	v_ashrrev_i32_e32 v63, 31, v63
	v_dual_lshlrev_b32 v145, 29, v163 :: v_dual_lshlrev_b32 v164, 28, v163
	v_dual_lshlrev_b32 v165, 27, v163 :: v_dual_lshlrev_b32 v166, 26, v163
	s_delay_alu instid0(VALU_DEP_2)
	v_not_b32_e32 v144, v145
	v_lshlrev_b32_e32 v167, 25, v163
	v_cmp_gt_i32_e64 s18, 0, v145
	v_cmp_gt_i32_e64 s19, 0, v164
	v_not_b32_e32 v145, v164
	v_ashrrev_i32_e32 v144, 31, v144
	v_cmp_gt_i32_e64 s20, 0, v165
	v_not_b32_e32 v164, v165
	v_cmp_gt_i32_e64 s21, 0, v166
	v_not_b32_e32 v165, v166
	v_not_b32_e32 v166, v167
	v_xor_b32_e32 v63, s17, v63
	v_dual_ashrrev_i32 v145, 31, v145 :: v_dual_bitop2_b32 v144, s18, v144 bitop3:0x14
	s_delay_alu instid0(VALU_DEP_4) | instskip(NEXT) | instid1(VALU_DEP_4)
	v_dual_ashrrev_i32 v164, 31, v164 :: v_dual_ashrrev_i32 v165, 31, v165
	v_ashrrev_i32_e32 v166, 31, v166
	s_delay_alu instid0(VALU_DEP_3)
	v_bitop3_b32 v62, v62, v144, v63 bitop3:0x80
	v_mad_u32_u24 v63, v163, 36, v114
	v_cmp_gt_i32_e64 s22, 0, v167
	v_xor_b32_e32 v164, s20, v164
	v_xor_b32_e32 v165, s21, v165
	ds_load_b32 v144, v63 offset:544
	v_mul_u32_u24_e32 v63, 36, v163
	v_xor_b32_e32 v145, s19, v145
	v_xor_b32_e32 v166, s22, v166
	; wave barrier
	s_delay_alu instid0(VALU_DEP_3) | instskip(NEXT) | instid1(VALU_DEP_3)
	v_add_nc_u32_e32 v163, v114, v63
	v_bitop3_b32 v62, v62, v164, v145 bitop3:0x80
	s_delay_alu instid0(VALU_DEP_1) | instskip(NEXT) | instid1(VALU_DEP_1)
	v_bitop3_b32 v62, v62, v166, v165 bitop3:0x80
	v_mbcnt_lo_u32_b32 v145, v62, 0
	v_cmp_ne_u32_e64 s17, 0, v62
	s_delay_alu instid0(VALU_DEP_2) | instskip(SKIP_1) | instid1(SALU_CYCLE_1)
	v_cmp_eq_u32_e32 vcc_lo, 0, v145
	s_and_b32 s18, s17, vcc_lo
	s_and_saveexec_b32 s17, s18
	s_cbranch_execz .LBB84_136
; %bb.135:                              ;   in Loop: Header=BB84_100 Depth=2
	s_wait_dscnt 0x0
	v_bcnt_u32_b32 v62, v62, v144
	ds_store_b32 v163, v62 offset:544
.LBB84_136:                             ;   in Loop: Header=BB84_100 Depth=2
	s_or_b32 exec_lo, exec_lo, s17
	v_bfe_u32 v62, v143, 16, 8
	; wave barrier
	s_delay_alu instid0(VALU_DEP_1) | instskip(NEXT) | instid1(VALU_DEP_1)
	v_lshrrev_b32_e32 v62, s43, v62
	v_bitop3_b32 v63, v62, 1, s48 bitop3:0x80
	v_and_b32_e32 v166, s48, v62
	s_delay_alu instid0(VALU_DEP_2) | instskip(NEXT) | instid1(VALU_DEP_1)
	v_add_co_u32 v62, s17, v63, -1
	v_cndmask_b32_e64 v63, 0, 1, s17
	s_delay_alu instid0(VALU_DEP_3) | instskip(NEXT) | instid1(VALU_DEP_2)
	v_dual_lshlrev_b32 v164, 30, v166 :: v_dual_lshlrev_b32 v165, 29, v166
	v_cmp_ne_u32_e32 vcc_lo, 0, v63
	s_delay_alu instid0(VALU_DEP_2) | instskip(SKIP_1) | instid1(VALU_DEP_4)
	v_cmp_gt_i32_e64 s17, 0, v164
	v_not_b32_e32 v63, v164
	v_not_b32_e32 v164, v165
	v_cmp_gt_i32_e64 s18, 0, v165
	v_bitop3_b32 v62, vcc_lo, exec_lo, v62 bitop3:0x48
	s_delay_alu instid0(VALU_DEP_3) | instskip(SKIP_2) | instid1(VALU_DEP_2)
	v_dual_ashrrev_i32 v63, 31, v63 :: v_dual_ashrrev_i32 v164, 31, v164
	v_dual_lshlrev_b32 v167, 28, v166 :: v_dual_lshlrev_b32 v168, 27, v166
	v_dual_lshlrev_b32 v169, 26, v166 :: v_dual_lshlrev_b32 v170, 25, v166
	v_cmp_gt_i32_e64 s19, 0, v167
	v_not_b32_e32 v165, v167
	s_delay_alu instid0(VALU_DEP_4) | instskip(SKIP_3) | instid1(VALU_DEP_4)
	v_not_b32_e32 v167, v168
	v_cmp_gt_i32_e64 s20, 0, v168
	v_cmp_gt_i32_e64 s21, 0, v169
	v_not_b32_e32 v168, v169
	v_dual_ashrrev_i32 v165, 31, v165 :: v_dual_ashrrev_i32 v167, 31, v167
	v_xor_b32_e32 v63, s17, v63
	v_not_b32_e32 v169, v170
	v_xor_b32_e32 v164, s18, v164
	s_delay_alu instid0(VALU_DEP_4) | instskip(SKIP_2) | instid1(VALU_DEP_4)
	v_dual_ashrrev_i32 v168, 31, v168 :: v_dual_bitop2_b32 v165, s19, v165 bitop3:0x14
	v_xor_b32_e32 v167, s20, v167
	v_cmp_gt_i32_e32 vcc_lo, 0, v170
	v_bitop3_b32 v62, v62, v164, v63 bitop3:0x80
	v_ashrrev_i32_e32 v63, 31, v169
	v_mad_u32_u24 v164, v166, 36, v114
	v_xor_b32_e32 v168, s21, v168
	s_delay_alu instid0(VALU_DEP_4) | instskip(NEXT) | instid1(VALU_DEP_4)
	v_bitop3_b32 v62, v62, v167, v165 bitop3:0x80
	v_xor_b32_e32 v63, vcc_lo, v63
	ds_load_b32 v164, v164 offset:544
	; wave barrier
	v_bitop3_b32 v62, v62, v63, v168 bitop3:0x80
	v_mul_u32_u24_e32 v63, 36, v166
	s_delay_alu instid0(VALU_DEP_2) | instskip(SKIP_1) | instid1(VALU_DEP_3)
	v_mbcnt_lo_u32_b32 v165, v62, 0
	v_cmp_ne_u32_e64 s17, 0, v62
	v_add_nc_u32_e32 v167, v114, v63
	s_delay_alu instid0(VALU_DEP_3) | instskip(SKIP_1) | instid1(SALU_CYCLE_1)
	v_cmp_eq_u32_e32 vcc_lo, 0, v165
	s_and_b32 s18, s17, vcc_lo
	s_and_saveexec_b32 s17, s18
	s_cbranch_execz .LBB84_138
; %bb.137:                              ;   in Loop: Header=BB84_100 Depth=2
	s_wait_dscnt 0x0
	v_bcnt_u32_b32 v62, v62, v164
	ds_store_b32 v167, v62 offset:544
.LBB84_138:                             ;   in Loop: Header=BB84_100 Depth=2
	s_or_b32 exec_lo, exec_lo, s17
	v_lshrrev_b32_e32 v166, 24, v143
	; wave barrier
	s_delay_alu instid0(VALU_DEP_1) | instskip(NEXT) | instid1(VALU_DEP_1)
	v_lshrrev_b32_e32 v62, s43, v166
	v_bitop3_b32 v63, v62, 1, s48 bitop3:0x80
	v_and_b32_e32 v170, s48, v62
	s_delay_alu instid0(VALU_DEP_2) | instskip(NEXT) | instid1(VALU_DEP_1)
	v_add_co_u32 v62, s17, v63, -1
	v_cndmask_b32_e64 v63, 0, 1, s17
	s_delay_alu instid0(VALU_DEP_3) | instskip(SKIP_1) | instid1(VALU_DEP_3)
	v_dual_lshlrev_b32 v168, 30, v170 :: v_dual_lshlrev_b32 v169, 29, v170
	v_dual_lshlrev_b32 v171, 28, v170 :: v_dual_lshlrev_b32 v172, 27, v170
	v_cmp_ne_u32_e32 vcc_lo, 0, v63
	s_delay_alu instid0(VALU_DEP_3)
	v_cmp_gt_i32_e64 s17, 0, v168
	v_not_b32_e32 v63, v168
	v_not_b32_e32 v168, v169
	v_dual_lshlrev_b32 v173, 26, v170 :: v_dual_lshlrev_b32 v174, 25, v170
	v_cmp_gt_i32_e64 s18, 0, v169
	v_cmp_gt_i32_e64 s19, 0, v171
	v_not_b32_e32 v169, v171
	v_not_b32_e32 v171, v172
	v_dual_ashrrev_i32 v63, 31, v63 :: v_dual_ashrrev_i32 v168, 31, v168
	v_cmp_gt_i32_e64 s20, 0, v172
	v_cmp_gt_i32_e64 s21, 0, v173
	v_not_b32_e32 v172, v173
	v_bitop3_b32 v62, vcc_lo, exec_lo, v62 bitop3:0x48
	v_dual_ashrrev_i32 v169, 31, v169 :: v_dual_ashrrev_i32 v171, 31, v171
	v_xor_b32_e32 v168, s18, v168
	s_delay_alu instid0(VALU_DEP_4) | instskip(SKIP_1) | instid1(VALU_DEP_4)
	v_dual_ashrrev_i32 v172, 31, v172 :: v_dual_bitop2_b32 v63, s17, v63 bitop3:0x14
	v_not_b32_e32 v173, v174
	v_xor_b32_e32 v169, s19, v169
	v_xor_b32_e32 v171, s20, v171
	s_delay_alu instid0(VALU_DEP_4)
	v_bitop3_b32 v62, v62, v168, v63 bitop3:0x80
	v_cmp_gt_i32_e32 vcc_lo, 0, v174
	v_ashrrev_i32_e32 v63, 31, v173
	v_mad_u32_u24 v168, v170, 36, v114
	v_xor_b32_e32 v172, s21, v172
	v_bitop3_b32 v62, v62, v171, v169 bitop3:0x80
	s_delay_alu instid0(VALU_DEP_4) | instskip(SKIP_3) | instid1(VALU_DEP_2)
	v_xor_b32_e32 v63, vcc_lo, v63
	ds_load_b32 v168, v168 offset:544
	; wave barrier
	v_bitop3_b32 v62, v62, v63, v172 bitop3:0x80
	v_mul_u32_u24_e32 v63, 36, v170
	v_mbcnt_lo_u32_b32 v169, v62, 0
	v_cmp_ne_u32_e64 s17, 0, v62
	s_delay_alu instid0(VALU_DEP_3) | instskip(NEXT) | instid1(VALU_DEP_3)
	v_add_nc_u32_e32 v170, v114, v63
	v_cmp_eq_u32_e32 vcc_lo, 0, v169
	s_and_b32 s18, s17, vcc_lo
	s_delay_alu instid0(SALU_CYCLE_1)
	s_and_saveexec_b32 s17, s18
	s_cbranch_execz .LBB84_140
; %bb.139:                              ;   in Loop: Header=BB84_100 Depth=2
	s_wait_dscnt 0x0
	v_bcnt_u32_b32 v62, v62, v168
	ds_store_b32 v170, v62 offset:544
.LBB84_140:                             ;   in Loop: Header=BB84_100 Depth=2
	s_or_b32 exec_lo, exec_lo, s17
	v_bitop3_b16 v62, v138, 0xff, v138 bitop3:0xc
	; wave barrier
	s_delay_alu instid0(VALU_DEP_1) | instskip(NEXT) | instid1(VALU_DEP_1)
	v_and_b32_e32 v62, 0xffff, v62
	v_lshrrev_b32_e32 v62, s43, v62
	s_delay_alu instid0(VALU_DEP_1) | instskip(NEXT) | instid1(VALU_DEP_1)
	v_and_b32_e32 v173, s48, v62
	v_lshlrev_b32_e32 v171, 30, v173
	v_bitop3_b32 v63, v62, 1, s48 bitop3:0x80
	s_delay_alu instid0(VALU_DEP_1) | instskip(NEXT) | instid1(VALU_DEP_1)
	v_add_co_u32 v62, s17, v63, -1
	v_cndmask_b32_e64 v63, 0, 1, s17
	s_delay_alu instid0(VALU_DEP_4) | instskip(NEXT) | instid1(VALU_DEP_2)
	v_cmp_gt_i32_e64 s17, 0, v171
	v_cmp_ne_u32_e32 vcc_lo, 0, v63
	v_not_b32_e32 v63, v171
	v_bitop3_b32 v62, vcc_lo, exec_lo, v62 bitop3:0x48
	s_delay_alu instid0(VALU_DEP_2) | instskip(SKIP_2) | instid1(VALU_DEP_3)
	v_dual_ashrrev_i32 v63, 31, v63 :: v_dual_lshlrev_b32 v172, 29, v173
	v_dual_lshlrev_b32 v174, 28, v173 :: v_dual_lshlrev_b32 v175, 27, v173
	v_lshlrev_b32_e32 v176, 26, v173
	v_not_b32_e32 v171, v172
	v_lshlrev_b32_e32 v177, 25, v173
	v_cmp_gt_i32_e64 s18, 0, v172
	v_cmp_gt_i32_e64 s19, 0, v174
	v_not_b32_e32 v172, v174
	v_ashrrev_i32_e32 v171, 31, v171
	v_cmp_gt_i32_e64 s20, 0, v175
	v_not_b32_e32 v174, v175
	v_cmp_gt_i32_e64 s21, 0, v176
	v_not_b32_e32 v175, v176
	v_not_b32_e32 v176, v177
	v_xor_b32_e32 v63, s17, v63
	v_dual_ashrrev_i32 v172, 31, v172 :: v_dual_bitop2_b32 v171, s18, v171 bitop3:0x14
	s_delay_alu instid0(VALU_DEP_3) | instskip(SKIP_1) | instid1(VALU_DEP_3)
	v_dual_ashrrev_i32 v174, 31, v174 :: v_dual_ashrrev_i32 v176, 31, v176
	v_cmp_gt_i32_e64 s22, 0, v177
	v_bitop3_b32 v62, v62, v171, v63 bitop3:0x80
	v_mad_u32_u24 v63, v173, 36, v114
	v_dual_ashrrev_i32 v175, 31, v175 :: v_dual_bitop2_b32 v172, s19, v172 bitop3:0x14
	s_delay_alu instid0(VALU_DEP_4) | instskip(SKIP_4) | instid1(VALU_DEP_3)
	v_xor_b32_e32 v176, s22, v176
	ds_load_b32 v171, v63 offset:544
	v_mul_u32_u24_e32 v63, 36, v173
	v_xor_b32_e32 v174, s20, v174
	v_xor_b32_e32 v175, s21, v175
	; wave barrier
	v_add_nc_u32_e32 v173, v114, v63
	s_delay_alu instid0(VALU_DEP_3) | instskip(NEXT) | instid1(VALU_DEP_1)
	v_bitop3_b32 v62, v62, v174, v172 bitop3:0x80
	v_bitop3_b32 v62, v62, v176, v175 bitop3:0x80
	s_delay_alu instid0(VALU_DEP_1) | instskip(SKIP_1) | instid1(VALU_DEP_2)
	v_mbcnt_lo_u32_b32 v172, v62, 0
	v_cmp_ne_u32_e64 s17, 0, v62
	v_cmp_eq_u32_e32 vcc_lo, 0, v172
	s_and_b32 s18, s17, vcc_lo
	s_delay_alu instid0(SALU_CYCLE_1)
	s_and_saveexec_b32 s17, s18
	s_cbranch_execz .LBB84_142
; %bb.141:                              ;   in Loop: Header=BB84_100 Depth=2
	s_wait_dscnt 0x0
	v_bcnt_u32_b32 v62, v62, v171
	ds_store_b32 v173, v62 offset:544
.LBB84_142:                             ;   in Loop: Header=BB84_100 Depth=2
	s_or_b32 exec_lo, exec_lo, s17
	v_xor_b32_e32 v62, -1, v140
	v_xor_b32_e32 v63, -1, v141
	; wave barrier
	s_delay_alu instid0(VALU_DEP_2) | instskip(NEXT) | instid1(VALU_DEP_2)
	v_lshlrev_b16 v62, 8, v62
	v_lshlrev_b16 v63, 8, v63
	s_delay_alu instid0(VALU_DEP_2) | instskip(NEXT) | instid1(VALU_DEP_2)
	v_bitop3_b16 v138, v138, v62, 0xff bitop3:0xce
	v_bitop3_b16 v62, v139, v63, 0xff bitop3:0xce
	s_delay_alu instid0(VALU_DEP_2) | instskip(NEXT) | instid1(VALU_DEP_2)
	v_and_b32_e32 v63, 0xffff, v138
	v_lshlrev_b32_e32 v62, 16, v62
	s_delay_alu instid0(VALU_DEP_1) | instskip(NEXT) | instid1(VALU_DEP_1)
	v_or_b32_e32 v139, v63, v62
	v_bfe_u32 v62, v139, 8, 8
	s_delay_alu instid0(VALU_DEP_1) | instskip(NEXT) | instid1(VALU_DEP_1)
	v_lshrrev_b32_e32 v62, s43, v62
	v_bitop3_b32 v63, v62, 1, s48 bitop3:0x80
	v_and_b32_e32 v174, s48, v62
	s_delay_alu instid0(VALU_DEP_2) | instskip(NEXT) | instid1(VALU_DEP_1)
	v_add_co_u32 v62, s17, v63, -1
	v_cndmask_b32_e64 v63, 0, 1, s17
	s_delay_alu instid0(VALU_DEP_3) | instskip(NEXT) | instid1(VALU_DEP_2)
	v_lshlrev_b32_e32 v140, 30, v174
	v_cmp_ne_u32_e32 vcc_lo, 0, v63
	s_delay_alu instid0(VALU_DEP_2) | instskip(SKIP_2) | instid1(VALU_DEP_3)
	v_not_b32_e32 v63, v140
	v_cmp_gt_i32_e64 s17, 0, v140
	v_bitop3_b32 v62, vcc_lo, exec_lo, v62 bitop3:0x48
	v_dual_ashrrev_i32 v63, 31, v63 :: v_dual_lshlrev_b32 v141, 29, v174
	v_dual_lshlrev_b32 v175, 28, v174 :: v_dual_lshlrev_b32 v176, 27, v174
	v_lshlrev_b32_e32 v177, 26, v174
	s_delay_alu instid0(VALU_DEP_3)
	v_not_b32_e32 v140, v141
	v_lshlrev_b32_e32 v178, 25, v174
	v_cmp_gt_i32_e64 s18, 0, v141
	v_cmp_gt_i32_e64 s19, 0, v175
	v_not_b32_e32 v141, v175
	v_ashrrev_i32_e32 v140, 31, v140
	v_cmp_gt_i32_e64 s20, 0, v176
	v_not_b32_e32 v175, v176
	v_cmp_gt_i32_e64 s21, 0, v177
	v_not_b32_e32 v176, v177
	v_not_b32_e32 v177, v178
	v_xor_b32_e32 v63, s17, v63
	v_dual_ashrrev_i32 v141, 31, v141 :: v_dual_bitop2_b32 v140, s18, v140 bitop3:0x14
	s_delay_alu instid0(VALU_DEP_4) | instskip(NEXT) | instid1(VALU_DEP_4)
	v_dual_ashrrev_i32 v175, 31, v175 :: v_dual_ashrrev_i32 v176, 31, v176
	v_ashrrev_i32_e32 v177, 31, v177
	s_delay_alu instid0(VALU_DEP_3)
	v_bitop3_b32 v62, v62, v140, v63 bitop3:0x80
	v_mad_u32_u24 v63, v174, 36, v114
	v_cmp_gt_i32_e64 s22, 0, v178
	v_xor_b32_e32 v175, s20, v175
	v_xor_b32_e32 v176, s21, v176
	ds_load_b32 v140, v63 offset:544
	v_mul_u32_u24_e32 v63, 36, v174
	v_xor_b32_e32 v141, s19, v141
	v_xor_b32_e32 v177, s22, v177
	; wave barrier
	s_delay_alu instid0(VALU_DEP_3) | instskip(NEXT) | instid1(VALU_DEP_3)
	v_add_nc_u32_e32 v174, v114, v63
	v_bitop3_b32 v62, v62, v175, v141 bitop3:0x80
	s_delay_alu instid0(VALU_DEP_1) | instskip(NEXT) | instid1(VALU_DEP_1)
	v_bitop3_b32 v62, v62, v177, v176 bitop3:0x80
	v_mbcnt_lo_u32_b32 v141, v62, 0
	v_cmp_ne_u32_e64 s17, 0, v62
	s_delay_alu instid0(VALU_DEP_2) | instskip(SKIP_1) | instid1(SALU_CYCLE_1)
	v_cmp_eq_u32_e32 vcc_lo, 0, v141
	s_and_b32 s18, s17, vcc_lo
	s_and_saveexec_b32 s17, s18
	s_cbranch_execz .LBB84_144
; %bb.143:                              ;   in Loop: Header=BB84_100 Depth=2
	s_wait_dscnt 0x0
	v_bcnt_u32_b32 v62, v62, v140
	ds_store_b32 v174, v62 offset:544
.LBB84_144:                             ;   in Loop: Header=BB84_100 Depth=2
	s_or_b32 exec_lo, exec_lo, s17
	v_bfe_u32 v62, v139, 16, 8
	; wave barrier
	s_delay_alu instid0(VALU_DEP_1) | instskip(NEXT) | instid1(VALU_DEP_1)
	v_lshrrev_b32_e32 v62, s43, v62
	v_and_b32_e32 v177, s48, v62
	s_delay_alu instid0(VALU_DEP_1) | instskip(SKIP_1) | instid1(VALU_DEP_1)
	v_lshlrev_b32_e32 v175, 30, v177
	v_bitop3_b32 v63, v62, 1, s48 bitop3:0x80
	v_add_co_u32 v62, s17, v63, -1
	s_delay_alu instid0(VALU_DEP_1) | instskip(NEXT) | instid1(VALU_DEP_4)
	v_cndmask_b32_e64 v63, 0, 1, s17
	v_cmp_gt_i32_e64 s17, 0, v175
	s_delay_alu instid0(VALU_DEP_2) | instskip(SKIP_2) | instid1(VALU_DEP_2)
	v_cmp_ne_u32_e32 vcc_lo, 0, v63
	v_not_b32_e32 v63, v175
	v_bitop3_b32 v62, vcc_lo, exec_lo, v62 bitop3:0x48
	v_dual_ashrrev_i32 v63, 31, v63 :: v_dual_lshlrev_b32 v176, 29, v177
	v_dual_lshlrev_b32 v178, 28, v177 :: v_dual_lshlrev_b32 v179, 27, v177
	s_delay_alu instid0(VALU_DEP_2) | instskip(NEXT) | instid1(VALU_DEP_3)
	v_dual_lshlrev_b32 v180, 26, v177 :: v_dual_bitop2_b32 v63, s17, v63 bitop3:0x14
	v_not_b32_e32 v175, v176
	v_lshlrev_b32_e32 v181, 25, v177
	v_cmp_gt_i32_e64 s18, 0, v176
	v_cmp_gt_i32_e64 s19, 0, v178
	v_not_b32_e32 v176, v178
	v_not_b32_e32 v178, v179
	v_ashrrev_i32_e32 v175, 31, v175
	v_cmp_gt_i32_e64 s20, 0, v179
	v_cmp_gt_i32_e64 s21, 0, v180
	v_not_b32_e32 v179, v180
	v_dual_ashrrev_i32 v176, 31, v176 :: v_dual_ashrrev_i32 v178, 31, v178
	v_not_b32_e32 v180, v181
	v_xor_b32_e32 v175, s18, v175
	s_delay_alu instid0(VALU_DEP_3) | instskip(NEXT) | instid1(VALU_DEP_4)
	v_dual_ashrrev_i32 v179, 31, v179 :: v_dual_bitop2_b32 v176, s19, v176 bitop3:0x14
	v_xor_b32_e32 v178, s20, v178
	v_cmp_gt_i32_e32 vcc_lo, 0, v181
	s_delay_alu instid0(VALU_DEP_4) | instskip(SKIP_3) | instid1(VALU_DEP_4)
	v_bitop3_b32 v62, v62, v175, v63 bitop3:0x80
	v_ashrrev_i32_e32 v63, 31, v180
	v_mad_u32_u24 v175, v177, 36, v114
	v_xor_b32_e32 v179, s21, v179
	v_bitop3_b32 v62, v62, v178, v176 bitop3:0x80
	s_delay_alu instid0(VALU_DEP_4) | instskip(SKIP_3) | instid1(VALU_DEP_2)
	v_xor_b32_e32 v63, vcc_lo, v63
	ds_load_b32 v175, v175 offset:544
	; wave barrier
	v_bitop3_b32 v62, v62, v63, v179 bitop3:0x80
	v_mul_u32_u24_e32 v63, 36, v177
	v_mbcnt_lo_u32_b32 v176, v62, 0
	v_cmp_ne_u32_e64 s17, 0, v62
	s_delay_alu instid0(VALU_DEP_3) | instskip(NEXT) | instid1(VALU_DEP_3)
	v_add_nc_u32_e32 v178, v114, v63
	v_cmp_eq_u32_e32 vcc_lo, 0, v176
	s_and_b32 s18, s17, vcc_lo
	s_delay_alu instid0(SALU_CYCLE_1)
	s_and_saveexec_b32 s17, s18
	s_cbranch_execz .LBB84_146
; %bb.145:                              ;   in Loop: Header=BB84_100 Depth=2
	s_wait_dscnt 0x0
	v_bcnt_u32_b32 v62, v62, v175
	ds_store_b32 v178, v62 offset:544
.LBB84_146:                             ;   in Loop: Header=BB84_100 Depth=2
	s_or_b32 exec_lo, exec_lo, s17
	v_lshrrev_b32_e32 v177, 24, v139
	; wave barrier
	s_delay_alu instid0(VALU_DEP_1) | instskip(NEXT) | instid1(VALU_DEP_1)
	v_lshrrev_b32_e32 v62, s43, v177
	v_bitop3_b32 v63, v62, 1, s48 bitop3:0x80
	v_and_b32_e32 v181, s48, v62
	s_delay_alu instid0(VALU_DEP_2) | instskip(NEXT) | instid1(VALU_DEP_1)
	v_add_co_u32 v62, s17, v63, -1
	v_cndmask_b32_e64 v63, 0, 1, s17
	s_delay_alu instid0(VALU_DEP_3) | instskip(SKIP_1) | instid1(VALU_DEP_3)
	v_dual_lshlrev_b32 v179, 30, v181 :: v_dual_lshlrev_b32 v180, 29, v181
	v_dual_lshlrev_b32 v182, 28, v181 :: v_dual_lshlrev_b32 v183, 27, v181
	v_cmp_ne_u32_e32 vcc_lo, 0, v63
	s_delay_alu instid0(VALU_DEP_3)
	v_cmp_gt_i32_e64 s17, 0, v179
	v_not_b32_e32 v63, v179
	v_not_b32_e32 v179, v180
	v_dual_lshlrev_b32 v184, 26, v181 :: v_dual_lshlrev_b32 v185, 25, v181
	v_cmp_gt_i32_e64 s18, 0, v180
	v_cmp_gt_i32_e64 s19, 0, v182
	v_not_b32_e32 v180, v182
	v_not_b32_e32 v182, v183
	v_ashrrev_i32_e32 v63, 31, v63
	v_ashrrev_i32_e32 v179, 31, v179
	v_cmp_gt_i32_e64 s20, 0, v183
	v_cmp_gt_i32_e64 s21, 0, v184
	v_not_b32_e32 v183, v184
	v_bitop3_b32 v62, vcc_lo, exec_lo, v62 bitop3:0x48
	v_dual_ashrrev_i32 v180, 31, v180 :: v_dual_ashrrev_i32 v182, 31, v182
	v_xor_b32_e32 v63, s17, v63
	v_not_b32_e32 v184, v185
	v_xor_b32_e32 v179, s18, v179
	s_delay_alu instid0(VALU_DEP_4) | instskip(SKIP_2) | instid1(VALU_DEP_4)
	v_dual_ashrrev_i32 v183, 31, v183 :: v_dual_bitop2_b32 v180, s19, v180 bitop3:0x14
	v_xor_b32_e32 v182, s20, v182
	v_cmp_gt_i32_e32 vcc_lo, 0, v185
	v_bitop3_b32 v62, v62, v179, v63 bitop3:0x80
	v_ashrrev_i32_e32 v63, 31, v184
	v_mad_u32_u24 v179, v181, 36, v114
	v_xor_b32_e32 v183, s21, v183
	s_delay_alu instid0(VALU_DEP_4) | instskip(NEXT) | instid1(VALU_DEP_4)
	v_bitop3_b32 v62, v62, v182, v180 bitop3:0x80
	v_xor_b32_e32 v63, vcc_lo, v63
	ds_load_b32 v179, v179 offset:544
	; wave barrier
	v_bitop3_b32 v62, v62, v63, v183 bitop3:0x80
	v_mul_u32_u24_e32 v63, 36, v181
	s_delay_alu instid0(VALU_DEP_2) | instskip(SKIP_1) | instid1(VALU_DEP_3)
	v_mbcnt_lo_u32_b32 v180, v62, 0
	v_cmp_ne_u32_e64 s17, 0, v62
	v_add_nc_u32_e32 v181, v114, v63
	s_delay_alu instid0(VALU_DEP_3) | instskip(SKIP_1) | instid1(SALU_CYCLE_1)
	v_cmp_eq_u32_e32 vcc_lo, 0, v180
	s_and_b32 s18, s17, vcc_lo
	s_and_saveexec_b32 s17, s18
	s_cbranch_execz .LBB84_148
; %bb.147:                              ;   in Loop: Header=BB84_100 Depth=2
	s_wait_dscnt 0x0
	v_bcnt_u32_b32 v62, v62, v179
	ds_store_b32 v181, v62 offset:544
.LBB84_148:                             ;   in Loop: Header=BB84_100 Depth=2
	s_or_b32 exec_lo, exec_lo, s17
	v_bitop3_b16 v62, v64, 0xff, v64 bitop3:0xc
	; wave barrier
	s_delay_alu instid0(VALU_DEP_1) | instskip(NEXT) | instid1(VALU_DEP_1)
	v_and_b32_e32 v62, 0xffff, v62
	v_lshrrev_b32_e32 v62, s43, v62
	s_delay_alu instid0(VALU_DEP_1) | instskip(NEXT) | instid1(VALU_DEP_1)
	v_and_b32_e32 v184, s48, v62
	v_lshlrev_b32_e32 v182, 30, v184
	v_bitop3_b32 v63, v62, 1, s48 bitop3:0x80
	s_delay_alu instid0(VALU_DEP_1) | instskip(NEXT) | instid1(VALU_DEP_1)
	v_add_co_u32 v62, s17, v63, -1
	v_cndmask_b32_e64 v63, 0, 1, s17
	s_delay_alu instid0(VALU_DEP_4) | instskip(NEXT) | instid1(VALU_DEP_2)
	v_cmp_gt_i32_e64 s17, 0, v182
	v_cmp_ne_u32_e32 vcc_lo, 0, v63
	v_not_b32_e32 v63, v182
	v_bitop3_b32 v62, vcc_lo, exec_lo, v62 bitop3:0x48
	s_delay_alu instid0(VALU_DEP_2) | instskip(SKIP_2) | instid1(VALU_DEP_3)
	v_dual_ashrrev_i32 v63, 31, v63 :: v_dual_lshlrev_b32 v183, 29, v184
	v_dual_lshlrev_b32 v185, 28, v184 :: v_dual_lshlrev_b32 v186, 27, v184
	v_lshlrev_b32_e32 v187, 26, v184
	v_not_b32_e32 v182, v183
	v_lshlrev_b32_e32 v188, 25, v184
	v_cmp_gt_i32_e64 s18, 0, v183
	v_cmp_gt_i32_e64 s19, 0, v185
	v_not_b32_e32 v183, v185
	v_not_b32_e32 v185, v186
	v_ashrrev_i32_e32 v182, 31, v182
	v_cmp_gt_i32_e64 s20, 0, v186
	v_cmp_gt_i32_e64 s21, 0, v187
	v_not_b32_e32 v186, v187
	v_not_b32_e32 v187, v188
	v_dual_ashrrev_i32 v183, 31, v183 :: v_dual_ashrrev_i32 v185, 31, v185
	s_delay_alu instid0(VALU_DEP_3) | instskip(NEXT) | instid1(VALU_DEP_3)
	v_dual_ashrrev_i32 v186, 31, v186 :: v_dual_bitop2_b32 v63, s17, v63 bitop3:0x14
	v_dual_ashrrev_i32 v187, 31, v187 :: v_dual_bitop2_b32 v182, s18, v182 bitop3:0x14
	v_cmp_gt_i32_e64 s22, 0, v188
	s_delay_alu instid0(VALU_DEP_4) | instskip(SKIP_1) | instid1(VALU_DEP_4)
	v_xor_b32_e32 v183, s19, v183
	v_xor_b32_e32 v185, s20, v185
	v_bitop3_b32 v62, v62, v182, v63 bitop3:0x80
	v_mad_u32_u24 v63, v184, 36, v114
	v_xor_b32_e32 v187, s22, v187
	s_delay_alu instid0(VALU_DEP_3) | instskip(SKIP_3) | instid1(VALU_DEP_2)
	v_bitop3_b32 v62, v62, v185, v183 bitop3:0x80
	ds_load_b32 v182, v63 offset:544
	v_mul_u32_u24_e32 v63, 36, v184
	v_xor_b32_e32 v186, s21, v186
	; wave barrier
	v_add_nc_u32_e32 v185, v114, v63
	s_delay_alu instid0(VALU_DEP_2) | instskip(NEXT) | instid1(VALU_DEP_1)
	v_bitop3_b32 v62, v62, v187, v186 bitop3:0x80
	v_mbcnt_lo_u32_b32 v183, v62, 0
	v_cmp_ne_u32_e64 s17, 0, v62
	s_delay_alu instid0(VALU_DEP_2) | instskip(SKIP_1) | instid1(SALU_CYCLE_1)
	v_cmp_eq_u32_e32 vcc_lo, 0, v183
	s_and_b32 s18, s17, vcc_lo
	s_and_saveexec_b32 s17, s18
	s_cbranch_execz .LBB84_150
; %bb.149:                              ;   in Loop: Header=BB84_100 Depth=2
	s_wait_dscnt 0x0
	v_bcnt_u32_b32 v62, v62, v182
	ds_store_b32 v185, v62 offset:544
.LBB84_150:                             ;   in Loop: Header=BB84_100 Depth=2
	s_or_b32 exec_lo, exec_lo, s17
	v_xor_b32_e32 v62, -1, v135
	v_xor_b32_e32 v63, -1, v136
	; wave barrier
	s_delay_alu instid0(VALU_DEP_2) | instskip(NEXT) | instid1(VALU_DEP_2)
	v_lshlrev_b16 v62, 8, v62
	v_lshlrev_b16 v63, 8, v63
	s_delay_alu instid0(VALU_DEP_2) | instskip(NEXT) | instid1(VALU_DEP_2)
	v_bitop3_b16 v184, v64, v62, 0xff bitop3:0xce
	v_bitop3_b16 v62, v65, v63, 0xff bitop3:0xce
	s_delay_alu instid0(VALU_DEP_2) | instskip(NEXT) | instid1(VALU_DEP_2)
	v_and_b32_e32 v63, 0xffff, v184
	v_lshlrev_b32_e32 v62, 16, v62
	s_delay_alu instid0(VALU_DEP_1) | instskip(NEXT) | instid1(VALU_DEP_1)
	v_or_b32_e32 v135, v63, v62
	v_bfe_u32 v62, v135, 8, 8
	s_delay_alu instid0(VALU_DEP_1) | instskip(NEXT) | instid1(VALU_DEP_1)
	v_lshrrev_b32_e32 v62, s43, v62
	v_bitop3_b32 v63, v62, 1, s48 bitop3:0x80
	v_and_b32_e32 v64, s48, v62
	s_delay_alu instid0(VALU_DEP_2) | instskip(NEXT) | instid1(VALU_DEP_1)
	v_add_co_u32 v62, s17, v63, -1
	v_cndmask_b32_e64 v63, 0, 1, s17
	s_delay_alu instid0(VALU_DEP_3) | instskip(NEXT) | instid1(VALU_DEP_2)
	v_lshlrev_b32_e32 v65, 30, v64
	v_cmp_ne_u32_e32 vcc_lo, 0, v63
	s_delay_alu instid0(VALU_DEP_2) | instskip(SKIP_2) | instid1(VALU_DEP_3)
	v_not_b32_e32 v63, v65
	v_cmp_gt_i32_e64 s17, 0, v65
	v_bitop3_b32 v62, vcc_lo, exec_lo, v62 bitop3:0x48
	v_dual_ashrrev_i32 v63, 31, v63 :: v_dual_lshlrev_b32 v136, 29, v64
	v_dual_lshlrev_b32 v186, 28, v64 :: v_dual_lshlrev_b32 v187, 27, v64
	v_lshlrev_b32_e32 v188, 26, v64
	s_delay_alu instid0(VALU_DEP_3)
	v_not_b32_e32 v65, v136
	v_lshlrev_b32_e32 v189, 25, v64
	v_cmp_gt_i32_e64 s18, 0, v136
	v_cmp_gt_i32_e64 s19, 0, v186
	v_not_b32_e32 v136, v186
	v_not_b32_e32 v186, v187
	v_ashrrev_i32_e32 v65, 31, v65
	v_cmp_gt_i32_e64 s20, 0, v187
	v_cmp_gt_i32_e64 s21, 0, v188
	v_not_b32_e32 v187, v188
	v_not_b32_e32 v188, v189
	v_dual_ashrrev_i32 v136, 31, v136 :: v_dual_ashrrev_i32 v186, 31, v186
	v_xor_b32_e32 v63, s17, v63
	s_delay_alu instid0(VALU_DEP_4)
	v_dual_ashrrev_i32 v187, 31, v187 :: v_dual_bitop2_b32 v65, s18, v65 bitop3:0x14
	v_cmp_gt_i32_e64 s22, 0, v189
	v_ashrrev_i32_e32 v188, 31, v188
	v_xor_b32_e32 v136, s19, v136
	v_xor_b32_e32 v186, s20, v186
	v_bitop3_b32 v62, v62, v65, v63 bitop3:0x80
	v_mad_u32_u24 v63, v64, 36, v114
	v_xor_b32_e32 v65, s21, v187
	v_xor_b32_e32 v187, s22, v188
	s_delay_alu instid0(VALU_DEP_4) | instskip(SKIP_3) | instid1(VALU_DEP_2)
	v_bitop3_b32 v62, v62, v186, v136 bitop3:0x80
	ds_load_b32 v136, v63 offset:544
	v_mul_u32_u24_e32 v63, 36, v64
	; wave barrier
	v_bitop3_b32 v62, v62, v187, v65 bitop3:0x80
	v_add_nc_u32_e32 v187, v114, v63
	s_delay_alu instid0(VALU_DEP_2) | instskip(SKIP_1) | instid1(VALU_DEP_2)
	v_mbcnt_lo_u32_b32 v186, v62, 0
	v_cmp_ne_u32_e64 s17, 0, v62
	v_cmp_eq_u32_e32 vcc_lo, 0, v186
	s_and_b32 s18, s17, vcc_lo
	s_delay_alu instid0(SALU_CYCLE_1)
	s_and_saveexec_b32 s17, s18
	s_cbranch_execz .LBB84_152
; %bb.151:                              ;   in Loop: Header=BB84_100 Depth=2
	s_wait_dscnt 0x0
	v_bcnt_u32_b32 v62, v62, v136
	ds_store_b32 v187, v62 offset:544
.LBB84_152:                             ;   in Loop: Header=BB84_100 Depth=2
	s_or_b32 exec_lo, exec_lo, s17
	v_bfe_u32 v62, v135, 16, 8
	; wave barrier
	s_delay_alu instid0(VALU_DEP_1) | instskip(NEXT) | instid1(VALU_DEP_1)
	v_lshrrev_b32_e32 v62, s43, v62
	v_and_b32_e32 v64, s48, v62
	s_delay_alu instid0(VALU_DEP_1) | instskip(SKIP_1) | instid1(VALU_DEP_1)
	v_lshlrev_b32_e32 v65, 30, v64
	v_bitop3_b32 v63, v62, 1, s48 bitop3:0x80
	v_add_co_u32 v62, s17, v63, -1
	s_delay_alu instid0(VALU_DEP_1) | instskip(NEXT) | instid1(VALU_DEP_4)
	v_cndmask_b32_e64 v63, 0, 1, s17
	v_cmp_gt_i32_e64 s17, 0, v65
	s_delay_alu instid0(VALU_DEP_2) | instskip(SKIP_2) | instid1(VALU_DEP_2)
	v_cmp_ne_u32_e32 vcc_lo, 0, v63
	v_not_b32_e32 v63, v65
	v_bitop3_b32 v62, vcc_lo, exec_lo, v62 bitop3:0x48
	v_dual_ashrrev_i32 v63, 31, v63 :: v_dual_lshlrev_b32 v188, 29, v64
	v_dual_lshlrev_b32 v189, 28, v64 :: v_dual_lshlrev_b32 v190, 27, v64
	v_lshlrev_b32_e32 v191, 26, v64
	s_delay_alu instid0(VALU_DEP_3)
	v_not_b32_e32 v65, v188
	v_lshlrev_b32_e32 v192, 25, v64
	v_cmp_gt_i32_e64 s18, 0, v188
	v_cmp_gt_i32_e64 s19, 0, v189
	v_not_b32_e32 v188, v189
	v_not_b32_e32 v189, v190
	v_ashrrev_i32_e32 v65, 31, v65
	v_cmp_gt_i32_e64 s20, 0, v190
	v_cmp_gt_i32_e64 s21, 0, v191
	v_not_b32_e32 v190, v191
	v_dual_ashrrev_i32 v188, 31, v188 :: v_dual_ashrrev_i32 v189, 31, v189
	v_xor_b32_e32 v63, s17, v63
	v_not_b32_e32 v191, v192
	s_delay_alu instid0(VALU_DEP_4) | instskip(NEXT) | instid1(VALU_DEP_4)
	v_dual_ashrrev_i32 v190, 31, v190 :: v_dual_bitop2_b32 v65, s18, v65 bitop3:0x14
	v_xor_b32_e32 v188, s19, v188
	v_xor_b32_e32 v189, s20, v189
	v_cmp_gt_i32_e32 vcc_lo, 0, v192
	s_delay_alu instid0(VALU_DEP_4) | instskip(SKIP_3) | instid1(VALU_DEP_4)
	v_bitop3_b32 v62, v62, v65, v63 bitop3:0x80
	v_ashrrev_i32_e32 v63, 31, v191
	v_mad_u32_u24 v65, v64, 36, v114
	v_xor_b32_e32 v190, s21, v190
	v_bitop3_b32 v62, v62, v189, v188 bitop3:0x80
	s_delay_alu instid0(VALU_DEP_4) | instskip(SKIP_3) | instid1(VALU_DEP_2)
	v_xor_b32_e32 v63, vcc_lo, v63
	ds_load_b32 v188, v65 offset:544
	; wave barrier
	v_bitop3_b32 v62, v62, v63, v190 bitop3:0x80
	v_mul_u32_u24_e32 v63, 36, v64
	v_mbcnt_lo_u32_b32 v189, v62, 0
	v_cmp_ne_u32_e64 s17, 0, v62
	s_delay_alu instid0(VALU_DEP_3) | instskip(NEXT) | instid1(VALU_DEP_3)
	v_add_nc_u32_e32 v191, v114, v63
	v_cmp_eq_u32_e32 vcc_lo, 0, v189
	s_and_b32 s18, s17, vcc_lo
	s_delay_alu instid0(SALU_CYCLE_1)
	s_and_saveexec_b32 s17, s18
	s_cbranch_execz .LBB84_154
; %bb.153:                              ;   in Loop: Header=BB84_100 Depth=2
	s_wait_dscnt 0x0
	v_bcnt_u32_b32 v62, v62, v188
	ds_store_b32 v191, v62 offset:544
.LBB84_154:                             ;   in Loop: Header=BB84_100 Depth=2
	s_or_b32 exec_lo, exec_lo, s17
	v_lshrrev_b32_e32 v190, 24, v135
	; wave barrier
	s_delay_alu instid0(VALU_DEP_1) | instskip(NEXT) | instid1(VALU_DEP_1)
	v_lshrrev_b32_e32 v62, s43, v190
	v_and_b32_e32 v64, s48, v62
	s_delay_alu instid0(VALU_DEP_1) | instskip(SKIP_3) | instid1(VALU_DEP_3)
	v_lshlrev_b32_e32 v65, 30, v64
	v_bitop3_b32 v63, v62, 1, s48 bitop3:0x80
	v_dual_lshlrev_b32 v192, 29, v64 :: v_dual_lshlrev_b32 v193, 28, v64
	v_dual_lshlrev_b32 v194, 27, v64 :: v_dual_lshlrev_b32 v195, 26, v64
	v_add_co_u32 v62, s17, v63, -1
	s_delay_alu instid0(VALU_DEP_1)
	v_cndmask_b32_e64 v63, 0, 1, s17
	v_cmp_gt_i32_e64 s17, 0, v65
	v_cmp_gt_i32_e64 s18, 0, v192
	;; [unrolled: 1-line block ×4, first 2 shown]
	v_cmp_ne_u32_e32 vcc_lo, 0, v63
	v_not_b32_e32 v63, v65
	v_not_b32_e32 v65, v192
	v_lshlrev_b32_e32 v196, 25, v64
	v_not_b32_e32 v192, v193
	v_not_b32_e32 v193, v194
	s_delay_alu instid0(VALU_DEP_4)
	v_dual_ashrrev_i32 v63, 31, v63 :: v_dual_ashrrev_i32 v65, 31, v65
	v_cmp_gt_i32_e64 s21, 0, v195
	v_not_b32_e32 v194, v195
	v_bitop3_b32 v62, vcc_lo, exec_lo, v62 bitop3:0x48
	v_dual_ashrrev_i32 v192, 31, v192 :: v_dual_ashrrev_i32 v193, 31, v193
	v_xor_b32_e32 v63, s17, v63
	s_delay_alu instid0(VALU_DEP_4) | instskip(SKIP_1) | instid1(VALU_DEP_4)
	v_dual_ashrrev_i32 v194, 31, v194 :: v_dual_bitop2_b32 v65, s18, v65 bitop3:0x14
	v_not_b32_e32 v195, v196
	v_xor_b32_e32 v192, s19, v192
	v_xor_b32_e32 v193, s20, v193
	s_delay_alu instid0(VALU_DEP_4)
	v_bitop3_b32 v62, v62, v65, v63 bitop3:0x80
	v_cmp_gt_i32_e32 vcc_lo, 0, v196
	v_ashrrev_i32_e32 v63, 31, v195
	v_mad_u32_u24 v65, v64, 36, v114
	v_xor_b32_e32 v194, s21, v194
	v_bitop3_b32 v62, v62, v193, v192 bitop3:0x80
	s_delay_alu instid0(VALU_DEP_4) | instskip(SKIP_3) | instid1(VALU_DEP_2)
	v_xor_b32_e32 v63, vcc_lo, v63
	ds_load_b32 v192, v65 offset:544
	; wave barrier
	v_bitop3_b32 v62, v62, v63, v194 bitop3:0x80
	v_mul_u32_u24_e32 v63, 36, v64
	v_mbcnt_lo_u32_b32 v193, v62, 0
	v_cmp_ne_u32_e64 s17, 0, v62
	s_delay_alu instid0(VALU_DEP_3) | instskip(NEXT) | instid1(VALU_DEP_3)
	v_add_nc_u32_e32 v194, v114, v63
	v_cmp_eq_u32_e32 vcc_lo, 0, v193
	s_and_b32 s18, s17, vcc_lo
	s_delay_alu instid0(SALU_CYCLE_1)
	s_and_saveexec_b32 s17, s18
	s_cbranch_execz .LBB84_156
; %bb.155:                              ;   in Loop: Header=BB84_100 Depth=2
	s_wait_dscnt 0x0
	v_bcnt_u32_b32 v62, v62, v192
	ds_store_b32 v194, v62 offset:544
.LBB84_156:                             ;   in Loop: Header=BB84_100 Depth=2
	s_or_b32 exec_lo, exec_lo, s17
	v_xor_b32_e32 v121, -1, v121
	; wave barrier
	s_delay_alu instid0(VALU_DEP_1) | instskip(NEXT) | instid1(VALU_DEP_1)
	v_and_b32_e32 v62, 0xff, v121
	v_lshrrev_b32_e32 v62, s43, v62
	s_delay_alu instid0(VALU_DEP_1) | instskip(SKIP_1) | instid1(VALU_DEP_2)
	v_bitop3_b32 v63, v62, 1, s48 bitop3:0x80
	v_and_b32_e32 v64, s48, v62
	v_add_co_u32 v62, s17, v63, -1
	s_delay_alu instid0(VALU_DEP_1) | instskip(NEXT) | instid1(VALU_DEP_3)
	v_cndmask_b32_e64 v63, 0, 1, s17
	v_lshlrev_b32_e32 v65, 30, v64
	s_delay_alu instid0(VALU_DEP_2) | instskip(NEXT) | instid1(VALU_DEP_2)
	v_cmp_ne_u32_e32 vcc_lo, 0, v63
	v_not_b32_e32 v63, v65
	v_bitop3_b32 v62, vcc_lo, exec_lo, v62 bitop3:0x48
	s_delay_alu instid0(VALU_DEP_2) | instskip(SKIP_3) | instid1(VALU_DEP_4)
	v_dual_ashrrev_i32 v63, 31, v63 :: v_dual_lshlrev_b32 v195, 29, v64
	v_dual_lshlrev_b32 v196, 28, v64 :: v_dual_lshlrev_b32 v197, 27, v64
	v_cmp_gt_i32_e64 s17, 0, v65
	v_dual_lshlrev_b32 v198, 26, v64 :: v_dual_lshlrev_b32 v199, 25, v64
	v_not_b32_e32 v65, v195
	v_cmp_gt_i32_e64 s18, 0, v195
	v_cmp_gt_i32_e64 s19, 0, v196
	v_not_b32_e32 v195, v196
	v_not_b32_e32 v196, v197
	v_ashrrev_i32_e32 v65, 31, v65
	v_cmp_gt_i32_e64 s20, 0, v197
	v_cmp_gt_i32_e64 s21, 0, v198
	v_not_b32_e32 v197, v198
	v_not_b32_e32 v198, v199
	v_dual_ashrrev_i32 v195, 31, v195 :: v_dual_ashrrev_i32 v196, 31, v196
	v_xor_b32_e32 v63, s17, v63
	s_delay_alu instid0(VALU_DEP_3) | instskip(SKIP_1) | instid1(VALU_DEP_4)
	v_dual_ashrrev_i32 v198, 31, v198 :: v_dual_bitop2_b32 v65, s18, v65 bitop3:0x14
	v_cmp_gt_i32_e64 s22, 0, v199
	v_dual_ashrrev_i32 v197, 31, v197 :: v_dual_bitop2_b32 v195, s19, v195 bitop3:0x14
	v_xor_b32_e32 v196, s20, v196
	s_delay_alu instid0(VALU_DEP_4) | instskip(SKIP_1) | instid1(VALU_DEP_4)
	v_bitop3_b32 v62, v62, v65, v63 bitop3:0x80
	v_mad_u32_u24 v63, v64, 36, v114
	v_xor_b32_e32 v65, s21, v197
	v_xor_b32_e32 v197, s22, v198
	s_delay_alu instid0(VALU_DEP_4) | instskip(SKIP_3) | instid1(VALU_DEP_2)
	v_bitop3_b32 v62, v62, v196, v195 bitop3:0x80
	ds_load_b32 v195, v63 offset:544
	v_mul_u32_u24_e32 v63, 36, v64
	; wave barrier
	v_bitop3_b32 v62, v62, v197, v65 bitop3:0x80
	v_add_nc_u32_e32 v197, v114, v63
	s_delay_alu instid0(VALU_DEP_2) | instskip(SKIP_1) | instid1(VALU_DEP_2)
	v_mbcnt_lo_u32_b32 v196, v62, 0
	v_cmp_ne_u32_e64 s17, 0, v62
	v_cmp_eq_u32_e32 vcc_lo, 0, v196
	s_and_b32 s18, s17, vcc_lo
	s_delay_alu instid0(SALU_CYCLE_1)
	s_and_saveexec_b32 s17, s18
	s_cbranch_execz .LBB84_158
; %bb.157:                              ;   in Loop: Header=BB84_100 Depth=2
	s_wait_dscnt 0x0
	v_bcnt_u32_b32 v62, v62, v195
	ds_store_b32 v197, v62 offset:544
.LBB84_158:                             ;   in Loop: Header=BB84_100 Depth=2
	s_or_b32 exec_lo, exec_lo, s17
	; wave barrier
	s_wait_dscnt 0x0
	s_barrier_signal -1
	s_barrier_wait -1
	ds_load_2addr_b32 v[64:65], v90 offset0:136 offset1:137
	ds_load_2addr_b32 v[62:63], v90 offset0:138 offset1:139
	ds_load_b32 v198, v90 offset:560
	s_wait_dscnt 0x1
	v_add3_u32 v199, v65, v64, v62
	s_wait_dscnt 0x0
	s_delay_alu instid0(VALU_DEP_1) | instskip(NEXT) | instid1(VALU_DEP_1)
	v_add3_u32 v198, v199, v63, v198
	v_mov_b32_dpp v199, v198 row_shr:1 row_mask:0xf bank_mask:0xf
	s_delay_alu instid0(VALU_DEP_1) | instskip(NEXT) | instid1(VALU_DEP_1)
	v_cndmask_b32_e64 v199, v199, 0, s8
	v_add_nc_u32_e32 v198, v199, v198
	s_delay_alu instid0(VALU_DEP_1) | instskip(NEXT) | instid1(VALU_DEP_1)
	v_mov_b32_dpp v199, v198 row_shr:2 row_mask:0xf bank_mask:0xf
	v_cndmask_b32_e64 v199, 0, v199, s9
	s_delay_alu instid0(VALU_DEP_1) | instskip(NEXT) | instid1(VALU_DEP_1)
	v_add_nc_u32_e32 v198, v198, v199
	v_mov_b32_dpp v199, v198 row_shr:4 row_mask:0xf bank_mask:0xf
	s_delay_alu instid0(VALU_DEP_1) | instskip(NEXT) | instid1(VALU_DEP_1)
	v_cndmask_b32_e64 v199, 0, v199, s10
	v_add_nc_u32_e32 v198, v198, v199
	s_delay_alu instid0(VALU_DEP_1) | instskip(NEXT) | instid1(VALU_DEP_1)
	v_mov_b32_dpp v199, v198 row_shr:8 row_mask:0xf bank_mask:0xf
	v_cndmask_b32_e64 v199, 0, v199, s11
	s_delay_alu instid0(VALU_DEP_1) | instskip(SKIP_3) | instid1(VALU_DEP_1)
	v_add_nc_u32_e32 v198, v198, v199
	ds_swizzle_b32 v199, v198 offset:swizzle(BROADCAST,32,15)
	s_wait_dscnt 0x0
	v_cndmask_b32_e64 v199, v199, 0, s12
	v_add_nc_u32_e32 v198, v198, v199
	s_and_saveexec_b32 s17, s2
; %bb.159:                              ;   in Loop: Header=BB84_100 Depth=2
	ds_store_b32 v83, v198 offset:512
; %bb.160:                              ;   in Loop: Header=BB84_100 Depth=2
	s_or_b32 exec_lo, exec_lo, s17
	s_wait_dscnt 0x0
	s_barrier_signal -1
	s_barrier_wait -1
	s_and_saveexec_b32 s17, s3
	s_cbranch_execz .LBB84_162
; %bb.161:                              ;   in Loop: Header=BB84_100 Depth=2
	ds_load_b32 v199, v92 offset:512
	s_wait_dscnt 0x0
	v_mov_b32_dpp v200, v199 row_shr:1 row_mask:0xf bank_mask:0xf
	s_delay_alu instid0(VALU_DEP_1) | instskip(NEXT) | instid1(VALU_DEP_1)
	v_cndmask_b32_e64 v200, v200, 0, s14
	v_add_nc_u32_e32 v199, v200, v199
	s_delay_alu instid0(VALU_DEP_1) | instskip(NEXT) | instid1(VALU_DEP_1)
	v_mov_b32_dpp v200, v199 row_shr:2 row_mask:0xf bank_mask:0xf
	v_cndmask_b32_e64 v200, 0, v200, s15
	s_delay_alu instid0(VALU_DEP_1) | instskip(NEXT) | instid1(VALU_DEP_1)
	v_add_nc_u32_e32 v199, v199, v200
	v_mov_b32_dpp v200, v199 row_shr:4 row_mask:0xf bank_mask:0xf
	s_delay_alu instid0(VALU_DEP_1) | instskip(NEXT) | instid1(VALU_DEP_1)
	v_cndmask_b32_e64 v200, 0, v200, s16
	v_add_nc_u32_e32 v199, v199, v200
	ds_store_b32 v92, v199 offset:512
.LBB84_162:                             ;   in Loop: Header=BB84_100 Depth=2
	s_or_b32 exec_lo, exec_lo, s17
	v_mov_b32_e32 v199, 0
	s_wait_dscnt 0x0
	s_barrier_signal -1
	s_barrier_wait -1
	s_and_saveexec_b32 s17, s5
; %bb.163:                              ;   in Loop: Header=BB84_100 Depth=2
	ds_load_b32 v199, v83 offset:508
; %bb.164:                              ;   in Loop: Header=BB84_100 Depth=2
	s_or_b32 exec_lo, exec_lo, s17
	s_wait_dscnt 0x0
	v_add_nc_u32_e32 v198, v199, v198
	ds_bpermute_b32 v198, v96, v198
	s_wait_dscnt 0x0
	v_cndmask_b32_e64 v198, v198, v199, s13
	s_delay_alu instid0(VALU_DEP_1) | instskip(NEXT) | instid1(VALU_DEP_1)
	v_cndmask_b32_e64 v198, v198, 0, s6
	v_add_nc_u32_e32 v64, v198, v64
	s_delay_alu instid0(VALU_DEP_1) | instskip(NEXT) | instid1(VALU_DEP_1)
	v_add_nc_u32_e32 v65, v64, v65
	v_add_nc_u32_e32 v62, v65, v62
	s_delay_alu instid0(VALU_DEP_1)
	v_add_nc_u32_e32 v63, v62, v63
	ds_store_2addr_b32 v90, v198, v64 offset0:136 offset1:137
	ds_store_2addr_b32 v90, v65, v62 offset0:138 offset1:139
	ds_store_b32 v90, v63 offset:560
	s_wait_dscnt 0x0
	s_barrier_signal -1
	s_barrier_wait -1
	ds_load_b32 v62, v149 offset:544
	ds_load_b32 v63, v152 offset:544
	;; [unrolled: 1-line block ×17, first 2 shown]
	s_and_saveexec_b32 s17, s0
	s_cbranch_execz .LBB84_168
; %bb.165:                              ;   in Loop: Header=BB84_100 Depth=2
	v_dual_mov_b32 v134, 0x1100 :: v_dual_add_nc_u32 v133, v92, v94
	ds_load_b32 v133, v133 offset:544
	s_and_saveexec_b32 s18, s7
; %bb.166:                              ;   in Loop: Header=BB84_100 Depth=2
	ds_load_b32 v134, v93 offset:544
; %bb.167:                              ;   in Loop: Header=BB84_100 Depth=2
	s_or_b32 exec_lo, exec_lo, s18
	s_wait_dscnt 0x0
	v_sub_nc_u32_e32 v134, v134, v133
.LBB84_168:                             ;   in Loop: Header=BB84_100 Depth=2
	s_or_b32 exec_lo, exec_lo, s17
	v_dual_lshrrev_b32 v202, 8, v148 :: v_dual_lshrrev_b32 v203, 16, v148
	v_dual_lshrrev_b32 v200, 8, v143 :: v_dual_lshrrev_b32 v201, 16, v143
	v_dual_lshrrev_b32 v198, 8, v139 :: v_dual_lshrrev_b32 v199, 16, v139
	v_dual_lshrrev_b32 v194, 8, v135 :: v_dual_lshrrev_b32 v197, 16, v135
	s_wait_dscnt 0x0
	s_barrier_signal -1
	s_barrier_wait -1
	s_and_saveexec_b32 s17, s0
	s_cbranch_execz .LBB84_170
; %bb.169:                              ;   in Loop: Header=BB84_100 Depth=2
	ds_load_b32 v135, v66
	s_wait_dscnt 0x0
	v_sub_nc_u32_e32 v135, v135, v133
	ds_store_b32 v66, v135
.LBB84_170:                             ;   in Loop: Header=BB84_100 Depth=2
	s_or_b32 exec_lo, exec_lo, s17
	v_add_nc_u32_e32 v156, v62, v146
	v_add3_u32 v152, v151, v150, v63
	v_add3_u32 v151, v154, v153, v64
	;; [unrolled: 1-line block ×16, first 2 shown]
	v_cmp_lt_u32_e32 vcc_lo, v2, v137
	ds_store_b8 v156, v147 offset:512
	ds_store_b8 v152, v202 offset:512
	;; [unrolled: 1-line block ×17, first 2 shown]
	s_wait_dscnt 0x0
	s_barrier_signal -1
	s_barrier_wait -1
	s_and_saveexec_b32 s17, vcc_lo
	s_cbranch_execnz .LBB84_243
; %bb.171:                              ;   in Loop: Header=BB84_100 Depth=2
	s_or_b32 exec_lo, exec_lo, s17
	v_cmp_lt_u32_e64 s17, v67, v137
	s_and_saveexec_b32 s18, s17
	s_cbranch_execnz .LBB84_244
.LBB84_172:                             ;   in Loop: Header=BB84_100 Depth=2
	s_or_b32 exec_lo, exec_lo, s18
	v_cmp_lt_u32_e64 s18, v68, v137
	s_and_saveexec_b32 s19, s18
	s_cbranch_execnz .LBB84_245
.LBB84_173:                             ;   in Loop: Header=BB84_100 Depth=2
	s_or_b32 exec_lo, exec_lo, s19
	v_cmp_lt_u32_e64 s19, v69, v137
	s_and_saveexec_b32 s20, s19
	s_cbranch_execnz .LBB84_246
.LBB84_174:                             ;   in Loop: Header=BB84_100 Depth=2
	s_or_b32 exec_lo, exec_lo, s20
	v_cmp_lt_u32_e64 s20, v70, v137
	s_and_saveexec_b32 s21, s20
	s_cbranch_execnz .LBB84_247
.LBB84_175:                             ;   in Loop: Header=BB84_100 Depth=2
	s_or_b32 exec_lo, exec_lo, s21
	v_cmp_lt_u32_e64 s21, v71, v137
	s_and_saveexec_b32 s22, s21
	s_cbranch_execnz .LBB84_248
.LBB84_176:                             ;   in Loop: Header=BB84_100 Depth=2
	s_or_b32 exec_lo, exec_lo, s22
	v_cmp_lt_u32_e64 s22, v72, v137
	s_and_saveexec_b32 s23, s22
	s_cbranch_execnz .LBB84_249
.LBB84_177:                             ;   in Loop: Header=BB84_100 Depth=2
	s_or_b32 exec_lo, exec_lo, s23
	v_cmp_lt_u32_e64 s23, v73, v137
	s_and_saveexec_b32 s24, s23
	s_cbranch_execnz .LBB84_250
.LBB84_178:                             ;   in Loop: Header=BB84_100 Depth=2
	s_or_b32 exec_lo, exec_lo, s24
	v_cmp_lt_u32_e64 s24, v74, v137
	s_and_saveexec_b32 s25, s24
	s_cbranch_execnz .LBB84_251
.LBB84_179:                             ;   in Loop: Header=BB84_100 Depth=2
	s_or_b32 exec_lo, exec_lo, s25
	v_cmp_lt_u32_e64 s25, v75, v137
	s_and_saveexec_b32 s26, s25
	s_cbranch_execnz .LBB84_252
.LBB84_180:                             ;   in Loop: Header=BB84_100 Depth=2
	s_or_b32 exec_lo, exec_lo, s26
	v_cmp_lt_u32_e64 s26, v76, v137
	s_and_saveexec_b32 s27, s26
	s_cbranch_execnz .LBB84_253
.LBB84_181:                             ;   in Loop: Header=BB84_100 Depth=2
	s_or_b32 exec_lo, exec_lo, s27
	v_cmp_lt_u32_e64 s27, v77, v137
	s_and_saveexec_b32 s28, s27
	s_cbranch_execnz .LBB84_254
.LBB84_182:                             ;   in Loop: Header=BB84_100 Depth=2
	s_or_b32 exec_lo, exec_lo, s28
	v_cmp_lt_u32_e64 s28, v78, v137
	s_and_saveexec_b32 s29, s28
	s_cbranch_execnz .LBB84_255
.LBB84_183:                             ;   in Loop: Header=BB84_100 Depth=2
	s_or_b32 exec_lo, exec_lo, s29
	v_cmp_lt_u32_e64 s29, v79, v137
	s_and_saveexec_b32 s30, s29
	s_cbranch_execnz .LBB84_256
.LBB84_184:                             ;   in Loop: Header=BB84_100 Depth=2
	s_or_b32 exec_lo, exec_lo, s30
	v_cmp_lt_u32_e64 s30, v80, v137
	s_and_saveexec_b32 s31, s30
	s_cbranch_execnz .LBB84_257
.LBB84_185:                             ;   in Loop: Header=BB84_100 Depth=2
	s_or_b32 exec_lo, exec_lo, s31
	v_cmp_lt_u32_e64 s31, v81, v137
	s_and_saveexec_b32 s33, s31
	s_cbranch_execnz .LBB84_258
.LBB84_186:                             ;   in Loop: Header=BB84_100 Depth=2
	s_or_b32 exec_lo, exec_lo, s33
	v_cmp_lt_u32_e64 s33, v82, v137
	s_and_saveexec_b32 s60, s33
	s_cbranch_execz .LBB84_188
.LBB84_187:                             ;   in Loop: Header=BB84_100 Depth=2
	ds_load_u8 v62, v2 offset:4608
	s_wait_dscnt 0x0
	v_and_b32_e32 v63, 0xff, v62
	s_delay_alu instid0(VALU_DEP_1) | instskip(NEXT) | instid1(VALU_DEP_1)
	v_dual_lshrrev_b32 v63, s43, v63 :: v_dual_bitop2_b32 v62, -1, v62 bitop3:0x14
	v_and_b32_e32 v63, s48, v63
	s_delay_alu instid0(VALU_DEP_1)
	v_lshlrev_b32_e32 v63, 2, v63
	ds_load_b32 v63, v63
	s_wait_dscnt 0x0
	v_add_nc_u32_e32 v63, v63, v82
	global_store_b8 v63, v62, s[38:39]
.LBB84_188:                             ;   in Loop: Header=BB84_100 Depth=2
	s_wait_xcnt 0x0
	s_or_b32 exec_lo, exec_lo, s60
	v_lshl_add_u64 v[62:63], s[34:35], 3, v[26:27]
	v_cmp_lt_u32_e64 s34, v97, v137
	s_and_saveexec_b32 s60, s34
	s_delay_alu instid0(SALU_CYCLE_1)
	s_xor_b32 s34, exec_lo, s60
	s_cbranch_execnz .LBB84_259
; %bb.189:                              ;   in Loop: Header=BB84_100 Depth=2
	s_or_b32 exec_lo, exec_lo, s34
	s_delay_alu instid0(SALU_CYCLE_1)
	s_mov_b32 s60, exec_lo
	v_cmpx_lt_u32_e64 v98, v137
	s_cbranch_execnz .LBB84_260
.LBB84_190:                             ;   in Loop: Header=BB84_100 Depth=2
	s_or_b32 exec_lo, exec_lo, s60
	s_delay_alu instid0(SALU_CYCLE_1)
	s_mov_b32 s60, exec_lo
	v_cmpx_lt_u32_e64 v99, v137
	s_cbranch_execnz .LBB84_261
.LBB84_191:                             ;   in Loop: Header=BB84_100 Depth=2
	s_or_b32 exec_lo, exec_lo, s60
	s_delay_alu instid0(SALU_CYCLE_1)
	s_mov_b32 s60, exec_lo
	v_cmpx_lt_u32_e64 v100, v137
	s_cbranch_execnz .LBB84_262
.LBB84_192:                             ;   in Loop: Header=BB84_100 Depth=2
	s_or_b32 exec_lo, exec_lo, s60
	s_delay_alu instid0(SALU_CYCLE_1)
	s_mov_b32 s60, exec_lo
	v_cmpx_lt_u32_e64 v101, v137
	s_cbranch_execnz .LBB84_263
.LBB84_193:                             ;   in Loop: Header=BB84_100 Depth=2
	s_or_b32 exec_lo, exec_lo, s60
	s_delay_alu instid0(SALU_CYCLE_1)
	s_mov_b32 s60, exec_lo
	v_cmpx_lt_u32_e64 v102, v137
	s_cbranch_execnz .LBB84_264
.LBB84_194:                             ;   in Loop: Header=BB84_100 Depth=2
	s_or_b32 exec_lo, exec_lo, s60
	s_delay_alu instid0(SALU_CYCLE_1)
	s_mov_b32 s60, exec_lo
	v_cmpx_lt_u32_e64 v103, v137
	s_cbranch_execnz .LBB84_265
.LBB84_195:                             ;   in Loop: Header=BB84_100 Depth=2
	s_or_b32 exec_lo, exec_lo, s60
	s_delay_alu instid0(SALU_CYCLE_1)
	s_mov_b32 s60, exec_lo
	v_cmpx_lt_u32_e64 v104, v137
	s_cbranch_execnz .LBB84_266
.LBB84_196:                             ;   in Loop: Header=BB84_100 Depth=2
	s_or_b32 exec_lo, exec_lo, s60
	s_delay_alu instid0(SALU_CYCLE_1)
	s_mov_b32 s60, exec_lo
	v_cmpx_lt_u32_e64 v105, v137
	s_cbranch_execnz .LBB84_267
.LBB84_197:                             ;   in Loop: Header=BB84_100 Depth=2
	s_or_b32 exec_lo, exec_lo, s60
	s_delay_alu instid0(SALU_CYCLE_1)
	s_mov_b32 s60, exec_lo
	v_cmpx_lt_u32_e64 v106, v137
	s_cbranch_execnz .LBB84_268
.LBB84_198:                             ;   in Loop: Header=BB84_100 Depth=2
	s_or_b32 exec_lo, exec_lo, s60
	s_delay_alu instid0(SALU_CYCLE_1)
	s_mov_b32 s60, exec_lo
	v_cmpx_lt_u32_e64 v107, v137
	s_cbranch_execnz .LBB84_269
.LBB84_199:                             ;   in Loop: Header=BB84_100 Depth=2
	s_or_b32 exec_lo, exec_lo, s60
	s_delay_alu instid0(SALU_CYCLE_1)
	s_mov_b32 s60, exec_lo
	v_cmpx_lt_u32_e64 v108, v137
	s_cbranch_execnz .LBB84_270
.LBB84_200:                             ;   in Loop: Header=BB84_100 Depth=2
	s_or_b32 exec_lo, exec_lo, s60
	s_delay_alu instid0(SALU_CYCLE_1)
	s_mov_b32 s60, exec_lo
	v_cmpx_lt_u32_e64 v109, v137
	s_cbranch_execnz .LBB84_271
.LBB84_201:                             ;   in Loop: Header=BB84_100 Depth=2
	s_or_b32 exec_lo, exec_lo, s60
	s_delay_alu instid0(SALU_CYCLE_1)
	s_mov_b32 s60, exec_lo
	v_cmpx_lt_u32_e64 v110, v137
	s_cbranch_execnz .LBB84_272
.LBB84_202:                             ;   in Loop: Header=BB84_100 Depth=2
	s_or_b32 exec_lo, exec_lo, s60
	s_delay_alu instid0(SALU_CYCLE_1)
	s_mov_b32 s60, exec_lo
	v_cmpx_lt_u32_e64 v111, v137
	s_cbranch_execnz .LBB84_273
.LBB84_203:                             ;   in Loop: Header=BB84_100 Depth=2
	s_or_b32 exec_lo, exec_lo, s60
	s_delay_alu instid0(SALU_CYCLE_1)
	s_mov_b32 s60, exec_lo
	v_cmpx_lt_u32_e64 v112, v137
	s_cbranch_execnz .LBB84_274
.LBB84_204:                             ;   in Loop: Header=BB84_100 Depth=2
	s_or_b32 exec_lo, exec_lo, s60
	s_delay_alu instid0(SALU_CYCLE_1)
	s_mov_b32 s60, exec_lo
	v_cmpx_lt_u32_e64 v113, v137
	s_cbranch_execnz .LBB84_275
.LBB84_205:                             ;   in Loop: Header=BB84_100 Depth=2
	s_or_b32 exec_lo, exec_lo, s60
	s_and_saveexec_b32 s34, vcc_lo
	s_cbranch_execnz .LBB84_276
.LBB84_206:                             ;   in Loop: Header=BB84_100 Depth=2
	s_or_b32 exec_lo, exec_lo, s34
	s_and_saveexec_b32 s34, s17
	s_cbranch_execnz .LBB84_277
.LBB84_207:                             ;   in Loop: Header=BB84_100 Depth=2
	s_or_b32 exec_lo, exec_lo, s34
	s_and_saveexec_b32 s34, s18
	s_cbranch_execnz .LBB84_278
.LBB84_208:                             ;   in Loop: Header=BB84_100 Depth=2
	s_or_b32 exec_lo, exec_lo, s34
	s_and_saveexec_b32 s34, s19
	s_cbranch_execnz .LBB84_279
.LBB84_209:                             ;   in Loop: Header=BB84_100 Depth=2
	s_or_b32 exec_lo, exec_lo, s34
	s_and_saveexec_b32 s34, s20
	s_cbranch_execnz .LBB84_280
.LBB84_210:                             ;   in Loop: Header=BB84_100 Depth=2
	s_or_b32 exec_lo, exec_lo, s34
	s_and_saveexec_b32 s34, s21
	s_cbranch_execnz .LBB84_281
.LBB84_211:                             ;   in Loop: Header=BB84_100 Depth=2
	s_or_b32 exec_lo, exec_lo, s34
	s_and_saveexec_b32 s34, s22
	s_cbranch_execnz .LBB84_282
.LBB84_212:                             ;   in Loop: Header=BB84_100 Depth=2
	s_or_b32 exec_lo, exec_lo, s34
	s_and_saveexec_b32 s34, s23
	s_cbranch_execnz .LBB84_283
.LBB84_213:                             ;   in Loop: Header=BB84_100 Depth=2
	s_or_b32 exec_lo, exec_lo, s34
	s_and_saveexec_b32 s34, s24
	s_cbranch_execnz .LBB84_284
.LBB84_214:                             ;   in Loop: Header=BB84_100 Depth=2
	s_or_b32 exec_lo, exec_lo, s34
	s_and_saveexec_b32 s34, s25
	s_cbranch_execnz .LBB84_285
.LBB84_215:                             ;   in Loop: Header=BB84_100 Depth=2
	s_or_b32 exec_lo, exec_lo, s34
	s_and_saveexec_b32 s34, s26
	s_cbranch_execnz .LBB84_286
.LBB84_216:                             ;   in Loop: Header=BB84_100 Depth=2
	s_or_b32 exec_lo, exec_lo, s34
	s_and_saveexec_b32 s34, s27
	s_cbranch_execnz .LBB84_287
.LBB84_217:                             ;   in Loop: Header=BB84_100 Depth=2
	s_or_b32 exec_lo, exec_lo, s34
	s_and_saveexec_b32 s34, s28
	s_cbranch_execnz .LBB84_288
.LBB84_218:                             ;   in Loop: Header=BB84_100 Depth=2
	s_or_b32 exec_lo, exec_lo, s34
	s_and_saveexec_b32 s34, s29
	s_cbranch_execnz .LBB84_289
.LBB84_219:                             ;   in Loop: Header=BB84_100 Depth=2
	s_or_b32 exec_lo, exec_lo, s34
	s_and_saveexec_b32 s34, s30
	s_cbranch_execnz .LBB84_290
.LBB84_220:                             ;   in Loop: Header=BB84_100 Depth=2
	s_or_b32 exec_lo, exec_lo, s34
	s_and_saveexec_b32 s34, s31
	s_cbranch_execnz .LBB84_291
.LBB84_221:                             ;   in Loop: Header=BB84_100 Depth=2
	s_or_b32 exec_lo, exec_lo, s34
	s_and_saveexec_b32 s34, s33
	s_cbranch_execz .LBB84_223
.LBB84_222:                             ;   in Loop: Header=BB84_100 Depth=2
	ds_load_u8 v62, v2 offset:4608
	s_wait_dscnt 0x0
	v_lshrrev_b32_e32 v62, s43, v62
	s_delay_alu instid0(VALU_DEP_1)
	v_and_b32_e32 v115, s48, v62
.LBB84_223:                             ;   in Loop: Header=BB84_100 Depth=2
	s_or_b32 exec_lo, exec_lo, s34
	v_lshlrev_b32_e32 v62, 3, v156
	v_lshlrev_b32_e32 v63, 3, v152
	s_wait_loadcnt 0x0
	s_wait_storecnt 0x0
	s_barrier_signal -1
	s_barrier_wait -1
	ds_store_b64 v62, v[60:61] offset:512
	ds_store_b64 v63, v[58:59] offset:512
	v_dual_lshlrev_b32 v62, 3, v151 :: v_dual_lshlrev_b32 v63, 3, v150
	v_dual_lshlrev_b32 v137, 3, v149 :: v_dual_lshlrev_b32 v138, 3, v148
	v_lshlrev_b32_e32 v142, 3, v146
	ds_store_b64 v62, v[56:57] offset:512
	ds_store_b64 v63, v[54:55] offset:512
	ds_store_b64 v137, v[52:53] offset:512
	ds_store_b64 v138, v[50:51] offset:512
	ds_store_b64 v142, v[48:49] offset:512
	v_dual_lshlrev_b32 v62, 3, v145 :: v_dual_lshlrev_b32 v63, 3, v144
	v_dual_lshlrev_b32 v137, 3, v143 :: v_dual_lshlrev_b32 v138, 3, v141
	v_lshlrev_b32_e32 v140, 3, v140
	ds_store_b64 v62, v[46:47] offset:512
	ds_store_b64 v63, v[44:45] offset:512
	ds_store_b64 v137, v[42:43] offset:512
	;; [unrolled: 8-line block ×3, first 2 shown]
	ds_store_b64 v65, v[30:31] offset:512
	ds_store_b64 v64, v[28:29] offset:512
	s_wait_dscnt 0x0
	s_barrier_signal -1
	s_barrier_wait -1
	s_and_saveexec_b32 s34, vcc_lo
	s_cbranch_execnz .LBB84_292
; %bb.224:                              ;   in Loop: Header=BB84_100 Depth=2
	s_or_b32 exec_lo, exec_lo, s34
	s_and_saveexec_b32 s34, s17
	s_cbranch_execnz .LBB84_293
.LBB84_225:                             ;   in Loop: Header=BB84_100 Depth=2
	s_or_b32 exec_lo, exec_lo, s34
	s_and_saveexec_b32 s17, s18
	s_cbranch_execnz .LBB84_294
.LBB84_226:                             ;   in Loop: Header=BB84_100 Depth=2
	s_or_b32 exec_lo, exec_lo, s17
	s_and_saveexec_b32 s17, s19
	s_cbranch_execnz .LBB84_295
.LBB84_227:                             ;   in Loop: Header=BB84_100 Depth=2
	s_or_b32 exec_lo, exec_lo, s17
	s_and_saveexec_b32 s17, s20
	s_cbranch_execnz .LBB84_296
.LBB84_228:                             ;   in Loop: Header=BB84_100 Depth=2
	s_or_b32 exec_lo, exec_lo, s17
	s_and_saveexec_b32 s17, s21
	s_cbranch_execnz .LBB84_297
.LBB84_229:                             ;   in Loop: Header=BB84_100 Depth=2
	s_or_b32 exec_lo, exec_lo, s17
	s_and_saveexec_b32 s17, s22
	s_cbranch_execnz .LBB84_298
.LBB84_230:                             ;   in Loop: Header=BB84_100 Depth=2
	s_or_b32 exec_lo, exec_lo, s17
	s_and_saveexec_b32 s17, s23
	s_cbranch_execnz .LBB84_299
.LBB84_231:                             ;   in Loop: Header=BB84_100 Depth=2
	s_or_b32 exec_lo, exec_lo, s17
	s_and_saveexec_b32 s17, s24
	s_cbranch_execnz .LBB84_300
.LBB84_232:                             ;   in Loop: Header=BB84_100 Depth=2
	s_or_b32 exec_lo, exec_lo, s17
	s_and_saveexec_b32 s17, s25
	s_cbranch_execnz .LBB84_301
.LBB84_233:                             ;   in Loop: Header=BB84_100 Depth=2
	s_or_b32 exec_lo, exec_lo, s17
	s_and_saveexec_b32 s17, s26
	s_cbranch_execnz .LBB84_302
.LBB84_234:                             ;   in Loop: Header=BB84_100 Depth=2
	s_or_b32 exec_lo, exec_lo, s17
	s_and_saveexec_b32 s17, s27
	s_cbranch_execnz .LBB84_303
.LBB84_235:                             ;   in Loop: Header=BB84_100 Depth=2
	s_or_b32 exec_lo, exec_lo, s17
	s_and_saveexec_b32 s17, s28
	s_cbranch_execnz .LBB84_304
.LBB84_236:                             ;   in Loop: Header=BB84_100 Depth=2
	s_or_b32 exec_lo, exec_lo, s17
	s_and_saveexec_b32 s17, s29
	s_cbranch_execnz .LBB84_305
.LBB84_237:                             ;   in Loop: Header=BB84_100 Depth=2
	s_or_b32 exec_lo, exec_lo, s17
	s_and_saveexec_b32 s17, s30
	s_cbranch_execnz .LBB84_306
.LBB84_238:                             ;   in Loop: Header=BB84_100 Depth=2
	s_or_b32 exec_lo, exec_lo, s17
	s_and_saveexec_b32 s17, s31
	s_cbranch_execnz .LBB84_307
.LBB84_239:                             ;   in Loop: Header=BB84_100 Depth=2
	s_or_b32 exec_lo, exec_lo, s17
	s_and_saveexec_b32 s17, s33
	s_cbranch_execz .LBB84_241
.LBB84_240:                             ;   in Loop: Header=BB84_100 Depth=2
	v_lshlrev_b32_e32 v62, 2, v115
	v_add_nc_u32_e32 v63, v2, v95
	ds_load_b32 v64, v62
	ds_load_b64 v[62:63], v63 offset:33280
	s_wait_dscnt 0x1
	v_add_nc_u32_e32 v64, v64, v82
	s_wait_dscnt 0x0
	global_store_b64 v64, v[62:63], s[44:45] scale_offset
.LBB84_241:                             ;   in Loop: Header=BB84_100 Depth=2
	s_wait_xcnt 0x0
	s_or_b32 exec_lo, exec_lo, s17
	s_wait_storecnt 0x0
	s_barrier_signal -1
	s_barrier_wait -1
	s_and_saveexec_b32 s17, s0
	s_cbranch_execz .LBB84_99
; %bb.242:                              ;   in Loop: Header=BB84_100 Depth=2
	ds_load_b32 v62, v66
	s_wait_dscnt 0x0
	v_add3_u32 v62, v133, v134, v62
	ds_store_b32 v66, v62
	s_branch .LBB84_99
.LBB84_243:                             ;   in Loop: Header=BB84_100 Depth=2
	ds_load_u8 v62, v2 offset:512
	s_wait_dscnt 0x0
	v_and_b32_e32 v63, 0xff, v62
	s_delay_alu instid0(VALU_DEP_1) | instskip(NEXT) | instid1(VALU_DEP_1)
	v_dual_lshrrev_b32 v63, s43, v63 :: v_dual_bitop2_b32 v62, -1, v62 bitop3:0x14
	v_and_b32_e32 v63, s48, v63
	s_delay_alu instid0(VALU_DEP_1)
	v_lshlrev_b32_e32 v63, 2, v63
	ds_load_b32 v63, v63
	s_wait_dscnt 0x0
	v_add_nc_u32_e32 v63, v63, v2
	global_store_b8 v63, v62, s[38:39]
	s_wait_xcnt 0x0
	s_or_b32 exec_lo, exec_lo, s17
	v_cmp_lt_u32_e64 s17, v67, v137
	s_and_saveexec_b32 s18, s17
	s_cbranch_execz .LBB84_172
.LBB84_244:                             ;   in Loop: Header=BB84_100 Depth=2
	ds_load_u8 v62, v2 offset:768
	s_wait_dscnt 0x0
	v_and_b32_e32 v63, 0xff, v62
	s_delay_alu instid0(VALU_DEP_1) | instskip(NEXT) | instid1(VALU_DEP_1)
	v_dual_lshrrev_b32 v63, s43, v63 :: v_dual_bitop2_b32 v62, -1, v62 bitop3:0x14
	v_and_b32_e32 v63, s48, v63
	s_delay_alu instid0(VALU_DEP_1)
	v_lshlrev_b32_e32 v63, 2, v63
	ds_load_b32 v63, v63
	s_wait_dscnt 0x0
	v_add_nc_u32_e32 v63, v63, v67
	global_store_b8 v63, v62, s[38:39]
	s_wait_xcnt 0x0
	s_or_b32 exec_lo, exec_lo, s18
	v_cmp_lt_u32_e64 s18, v68, v137
	s_and_saveexec_b32 s19, s18
	s_cbranch_execz .LBB84_173
.LBB84_245:                             ;   in Loop: Header=BB84_100 Depth=2
	ds_load_u8 v62, v2 offset:1024
	s_wait_dscnt 0x0
	v_and_b32_e32 v63, 0xff, v62
	s_delay_alu instid0(VALU_DEP_1) | instskip(NEXT) | instid1(VALU_DEP_1)
	v_dual_lshrrev_b32 v63, s43, v63 :: v_dual_bitop2_b32 v62, -1, v62 bitop3:0x14
	v_and_b32_e32 v63, s48, v63
	s_delay_alu instid0(VALU_DEP_1)
	v_lshlrev_b32_e32 v63, 2, v63
	ds_load_b32 v63, v63
	s_wait_dscnt 0x0
	v_add_nc_u32_e32 v63, v63, v68
	global_store_b8 v63, v62, s[38:39]
	s_wait_xcnt 0x0
	s_or_b32 exec_lo, exec_lo, s19
	v_cmp_lt_u32_e64 s19, v69, v137
	s_and_saveexec_b32 s20, s19
	s_cbranch_execz .LBB84_174
.LBB84_246:                             ;   in Loop: Header=BB84_100 Depth=2
	ds_load_u8 v62, v2 offset:1280
	s_wait_dscnt 0x0
	v_and_b32_e32 v63, 0xff, v62
	s_delay_alu instid0(VALU_DEP_1) | instskip(NEXT) | instid1(VALU_DEP_1)
	v_dual_lshrrev_b32 v63, s43, v63 :: v_dual_bitop2_b32 v62, -1, v62 bitop3:0x14
	v_and_b32_e32 v63, s48, v63
	s_delay_alu instid0(VALU_DEP_1)
	v_lshlrev_b32_e32 v63, 2, v63
	ds_load_b32 v63, v63
	s_wait_dscnt 0x0
	v_add_nc_u32_e32 v63, v63, v69
	global_store_b8 v63, v62, s[38:39]
	s_wait_xcnt 0x0
	s_or_b32 exec_lo, exec_lo, s20
	v_cmp_lt_u32_e64 s20, v70, v137
	s_and_saveexec_b32 s21, s20
	s_cbranch_execz .LBB84_175
.LBB84_247:                             ;   in Loop: Header=BB84_100 Depth=2
	ds_load_u8 v62, v2 offset:1536
	s_wait_dscnt 0x0
	v_and_b32_e32 v63, 0xff, v62
	s_delay_alu instid0(VALU_DEP_1) | instskip(NEXT) | instid1(VALU_DEP_1)
	v_dual_lshrrev_b32 v63, s43, v63 :: v_dual_bitop2_b32 v62, -1, v62 bitop3:0x14
	v_and_b32_e32 v63, s48, v63
	s_delay_alu instid0(VALU_DEP_1)
	v_lshlrev_b32_e32 v63, 2, v63
	ds_load_b32 v63, v63
	s_wait_dscnt 0x0
	v_add_nc_u32_e32 v63, v63, v70
	global_store_b8 v63, v62, s[38:39]
	s_wait_xcnt 0x0
	s_or_b32 exec_lo, exec_lo, s21
	v_cmp_lt_u32_e64 s21, v71, v137
	s_and_saveexec_b32 s22, s21
	s_cbranch_execz .LBB84_176
.LBB84_248:                             ;   in Loop: Header=BB84_100 Depth=2
	ds_load_u8 v62, v2 offset:1792
	s_wait_dscnt 0x0
	v_and_b32_e32 v63, 0xff, v62
	s_delay_alu instid0(VALU_DEP_1) | instskip(NEXT) | instid1(VALU_DEP_1)
	v_dual_lshrrev_b32 v63, s43, v63 :: v_dual_bitop2_b32 v62, -1, v62 bitop3:0x14
	v_and_b32_e32 v63, s48, v63
	s_delay_alu instid0(VALU_DEP_1)
	v_lshlrev_b32_e32 v63, 2, v63
	ds_load_b32 v63, v63
	s_wait_dscnt 0x0
	v_add_nc_u32_e32 v63, v63, v71
	global_store_b8 v63, v62, s[38:39]
	s_wait_xcnt 0x0
	s_or_b32 exec_lo, exec_lo, s22
	v_cmp_lt_u32_e64 s22, v72, v137
	s_and_saveexec_b32 s23, s22
	s_cbranch_execz .LBB84_177
.LBB84_249:                             ;   in Loop: Header=BB84_100 Depth=2
	ds_load_u8 v62, v2 offset:2048
	s_wait_dscnt 0x0
	v_and_b32_e32 v63, 0xff, v62
	s_delay_alu instid0(VALU_DEP_1) | instskip(NEXT) | instid1(VALU_DEP_1)
	v_dual_lshrrev_b32 v63, s43, v63 :: v_dual_bitop2_b32 v62, -1, v62 bitop3:0x14
	v_and_b32_e32 v63, s48, v63
	s_delay_alu instid0(VALU_DEP_1)
	v_lshlrev_b32_e32 v63, 2, v63
	ds_load_b32 v63, v63
	s_wait_dscnt 0x0
	v_add_nc_u32_e32 v63, v63, v72
	global_store_b8 v63, v62, s[38:39]
	s_wait_xcnt 0x0
	s_or_b32 exec_lo, exec_lo, s23
	v_cmp_lt_u32_e64 s23, v73, v137
	s_and_saveexec_b32 s24, s23
	s_cbranch_execz .LBB84_178
.LBB84_250:                             ;   in Loop: Header=BB84_100 Depth=2
	ds_load_u8 v62, v2 offset:2304
	s_wait_dscnt 0x0
	v_and_b32_e32 v63, 0xff, v62
	s_delay_alu instid0(VALU_DEP_1) | instskip(NEXT) | instid1(VALU_DEP_1)
	v_dual_lshrrev_b32 v63, s43, v63 :: v_dual_bitop2_b32 v62, -1, v62 bitop3:0x14
	v_and_b32_e32 v63, s48, v63
	s_delay_alu instid0(VALU_DEP_1)
	v_lshlrev_b32_e32 v63, 2, v63
	ds_load_b32 v63, v63
	s_wait_dscnt 0x0
	v_add_nc_u32_e32 v63, v63, v73
	global_store_b8 v63, v62, s[38:39]
	s_wait_xcnt 0x0
	s_or_b32 exec_lo, exec_lo, s24
	v_cmp_lt_u32_e64 s24, v74, v137
	s_and_saveexec_b32 s25, s24
	s_cbranch_execz .LBB84_179
.LBB84_251:                             ;   in Loop: Header=BB84_100 Depth=2
	ds_load_u8 v62, v2 offset:2560
	s_wait_dscnt 0x0
	v_and_b32_e32 v63, 0xff, v62
	s_delay_alu instid0(VALU_DEP_1) | instskip(NEXT) | instid1(VALU_DEP_1)
	v_dual_lshrrev_b32 v63, s43, v63 :: v_dual_bitop2_b32 v62, -1, v62 bitop3:0x14
	v_and_b32_e32 v63, s48, v63
	s_delay_alu instid0(VALU_DEP_1)
	v_lshlrev_b32_e32 v63, 2, v63
	ds_load_b32 v63, v63
	s_wait_dscnt 0x0
	v_add_nc_u32_e32 v63, v63, v74
	global_store_b8 v63, v62, s[38:39]
	s_wait_xcnt 0x0
	s_or_b32 exec_lo, exec_lo, s25
	v_cmp_lt_u32_e64 s25, v75, v137
	s_and_saveexec_b32 s26, s25
	s_cbranch_execz .LBB84_180
.LBB84_252:                             ;   in Loop: Header=BB84_100 Depth=2
	ds_load_u8 v62, v2 offset:2816
	s_wait_dscnt 0x0
	v_and_b32_e32 v63, 0xff, v62
	s_delay_alu instid0(VALU_DEP_1) | instskip(NEXT) | instid1(VALU_DEP_1)
	v_dual_lshrrev_b32 v63, s43, v63 :: v_dual_bitop2_b32 v62, -1, v62 bitop3:0x14
	v_and_b32_e32 v63, s48, v63
	s_delay_alu instid0(VALU_DEP_1)
	v_lshlrev_b32_e32 v63, 2, v63
	ds_load_b32 v63, v63
	s_wait_dscnt 0x0
	v_add_nc_u32_e32 v63, v63, v75
	global_store_b8 v63, v62, s[38:39]
	s_wait_xcnt 0x0
	s_or_b32 exec_lo, exec_lo, s26
	v_cmp_lt_u32_e64 s26, v76, v137
	s_and_saveexec_b32 s27, s26
	s_cbranch_execz .LBB84_181
.LBB84_253:                             ;   in Loop: Header=BB84_100 Depth=2
	ds_load_u8 v62, v2 offset:3072
	s_wait_dscnt 0x0
	v_and_b32_e32 v63, 0xff, v62
	s_delay_alu instid0(VALU_DEP_1) | instskip(NEXT) | instid1(VALU_DEP_1)
	v_dual_lshrrev_b32 v63, s43, v63 :: v_dual_bitop2_b32 v62, -1, v62 bitop3:0x14
	v_and_b32_e32 v63, s48, v63
	s_delay_alu instid0(VALU_DEP_1)
	v_lshlrev_b32_e32 v63, 2, v63
	ds_load_b32 v63, v63
	s_wait_dscnt 0x0
	v_add_nc_u32_e32 v63, v63, v76
	global_store_b8 v63, v62, s[38:39]
	s_wait_xcnt 0x0
	s_or_b32 exec_lo, exec_lo, s27
	v_cmp_lt_u32_e64 s27, v77, v137
	s_and_saveexec_b32 s28, s27
	s_cbranch_execz .LBB84_182
.LBB84_254:                             ;   in Loop: Header=BB84_100 Depth=2
	ds_load_u8 v62, v2 offset:3328
	s_wait_dscnt 0x0
	v_and_b32_e32 v63, 0xff, v62
	s_delay_alu instid0(VALU_DEP_1) | instskip(NEXT) | instid1(VALU_DEP_1)
	v_dual_lshrrev_b32 v63, s43, v63 :: v_dual_bitop2_b32 v62, -1, v62 bitop3:0x14
	v_and_b32_e32 v63, s48, v63
	s_delay_alu instid0(VALU_DEP_1)
	v_lshlrev_b32_e32 v63, 2, v63
	ds_load_b32 v63, v63
	s_wait_dscnt 0x0
	v_add_nc_u32_e32 v63, v63, v77
	global_store_b8 v63, v62, s[38:39]
	s_wait_xcnt 0x0
	s_or_b32 exec_lo, exec_lo, s28
	v_cmp_lt_u32_e64 s28, v78, v137
	s_and_saveexec_b32 s29, s28
	s_cbranch_execz .LBB84_183
.LBB84_255:                             ;   in Loop: Header=BB84_100 Depth=2
	ds_load_u8 v62, v2 offset:3584
	s_wait_dscnt 0x0
	v_and_b32_e32 v63, 0xff, v62
	s_delay_alu instid0(VALU_DEP_1) | instskip(NEXT) | instid1(VALU_DEP_1)
	v_dual_lshrrev_b32 v63, s43, v63 :: v_dual_bitop2_b32 v62, -1, v62 bitop3:0x14
	v_and_b32_e32 v63, s48, v63
	s_delay_alu instid0(VALU_DEP_1)
	v_lshlrev_b32_e32 v63, 2, v63
	ds_load_b32 v63, v63
	s_wait_dscnt 0x0
	v_add_nc_u32_e32 v63, v63, v78
	global_store_b8 v63, v62, s[38:39]
	s_wait_xcnt 0x0
	s_or_b32 exec_lo, exec_lo, s29
	v_cmp_lt_u32_e64 s29, v79, v137
	s_and_saveexec_b32 s30, s29
	s_cbranch_execz .LBB84_184
.LBB84_256:                             ;   in Loop: Header=BB84_100 Depth=2
	ds_load_u8 v62, v2 offset:3840
	s_wait_dscnt 0x0
	v_and_b32_e32 v63, 0xff, v62
	s_delay_alu instid0(VALU_DEP_1) | instskip(NEXT) | instid1(VALU_DEP_1)
	v_dual_lshrrev_b32 v63, s43, v63 :: v_dual_bitop2_b32 v62, -1, v62 bitop3:0x14
	v_and_b32_e32 v63, s48, v63
	s_delay_alu instid0(VALU_DEP_1)
	v_lshlrev_b32_e32 v63, 2, v63
	ds_load_b32 v63, v63
	s_wait_dscnt 0x0
	v_add_nc_u32_e32 v63, v63, v79
	global_store_b8 v63, v62, s[38:39]
	s_wait_xcnt 0x0
	s_or_b32 exec_lo, exec_lo, s30
	v_cmp_lt_u32_e64 s30, v80, v137
	s_and_saveexec_b32 s31, s30
	s_cbranch_execz .LBB84_185
.LBB84_257:                             ;   in Loop: Header=BB84_100 Depth=2
	ds_load_u8 v62, v2 offset:4096
	s_wait_dscnt 0x0
	v_and_b32_e32 v63, 0xff, v62
	s_delay_alu instid0(VALU_DEP_1) | instskip(NEXT) | instid1(VALU_DEP_1)
	v_dual_lshrrev_b32 v63, s43, v63 :: v_dual_bitop2_b32 v62, -1, v62 bitop3:0x14
	v_and_b32_e32 v63, s48, v63
	s_delay_alu instid0(VALU_DEP_1)
	v_lshlrev_b32_e32 v63, 2, v63
	ds_load_b32 v63, v63
	s_wait_dscnt 0x0
	v_add_nc_u32_e32 v63, v63, v80
	global_store_b8 v63, v62, s[38:39]
	s_wait_xcnt 0x0
	s_or_b32 exec_lo, exec_lo, s31
	v_cmp_lt_u32_e64 s31, v81, v137
	s_and_saveexec_b32 s33, s31
	s_cbranch_execz .LBB84_186
.LBB84_258:                             ;   in Loop: Header=BB84_100 Depth=2
	ds_load_u8 v62, v2 offset:4352
	s_wait_dscnt 0x0
	v_and_b32_e32 v63, 0xff, v62
	s_delay_alu instid0(VALU_DEP_1) | instskip(NEXT) | instid1(VALU_DEP_1)
	v_dual_lshrrev_b32 v63, s43, v63 :: v_dual_bitop2_b32 v62, -1, v62 bitop3:0x14
	v_and_b32_e32 v63, s48, v63
	s_delay_alu instid0(VALU_DEP_1)
	v_lshlrev_b32_e32 v63, 2, v63
	ds_load_b32 v63, v63
	s_wait_dscnt 0x0
	v_add_nc_u32_e32 v63, v63, v81
	global_store_b8 v63, v62, s[38:39]
	s_wait_xcnt 0x0
	s_or_b32 exec_lo, exec_lo, s33
	v_cmp_lt_u32_e64 s33, v82, v137
	s_and_saveexec_b32 s60, s33
	s_cbranch_execnz .LBB84_187
	s_branch .LBB84_188
.LBB84_259:                             ;   in Loop: Header=BB84_100 Depth=2
	global_load_b64 v[60:61], v[62:63], off
	s_wait_xcnt 0x0
	s_or_b32 exec_lo, exec_lo, s34
	s_delay_alu instid0(SALU_CYCLE_1)
	s_mov_b32 s60, exec_lo
	v_cmpx_lt_u32_e64 v98, v137
	s_cbranch_execz .LBB84_190
.LBB84_260:                             ;   in Loop: Header=BB84_100 Depth=2
	global_load_b64 v[58:59], v[62:63], off offset:256
	s_wait_xcnt 0x0
	s_or_b32 exec_lo, exec_lo, s60
	s_delay_alu instid0(SALU_CYCLE_1)
	s_mov_b32 s60, exec_lo
	v_cmpx_lt_u32_e64 v99, v137
	s_cbranch_execz .LBB84_191
.LBB84_261:                             ;   in Loop: Header=BB84_100 Depth=2
	global_load_b64 v[56:57], v[62:63], off offset:512
	s_wait_xcnt 0x0
	s_or_b32 exec_lo, exec_lo, s60
	s_delay_alu instid0(SALU_CYCLE_1)
	s_mov_b32 s60, exec_lo
	v_cmpx_lt_u32_e64 v100, v137
	s_cbranch_execz .LBB84_192
.LBB84_262:                             ;   in Loop: Header=BB84_100 Depth=2
	global_load_b64 v[54:55], v[62:63], off offset:768
	s_wait_xcnt 0x0
	s_or_b32 exec_lo, exec_lo, s60
	s_delay_alu instid0(SALU_CYCLE_1)
	s_mov_b32 s60, exec_lo
	v_cmpx_lt_u32_e64 v101, v137
	s_cbranch_execz .LBB84_193
.LBB84_263:                             ;   in Loop: Header=BB84_100 Depth=2
	global_load_b64 v[52:53], v[62:63], off offset:1024
	s_wait_xcnt 0x0
	s_or_b32 exec_lo, exec_lo, s60
	s_delay_alu instid0(SALU_CYCLE_1)
	s_mov_b32 s60, exec_lo
	v_cmpx_lt_u32_e64 v102, v137
	s_cbranch_execz .LBB84_194
.LBB84_264:                             ;   in Loop: Header=BB84_100 Depth=2
	global_load_b64 v[50:51], v[62:63], off offset:1280
	s_wait_xcnt 0x0
	s_or_b32 exec_lo, exec_lo, s60
	s_delay_alu instid0(SALU_CYCLE_1)
	s_mov_b32 s60, exec_lo
	v_cmpx_lt_u32_e64 v103, v137
	s_cbranch_execz .LBB84_195
.LBB84_265:                             ;   in Loop: Header=BB84_100 Depth=2
	global_load_b64 v[48:49], v[62:63], off offset:1536
	s_wait_xcnt 0x0
	s_or_b32 exec_lo, exec_lo, s60
	s_delay_alu instid0(SALU_CYCLE_1)
	s_mov_b32 s60, exec_lo
	v_cmpx_lt_u32_e64 v104, v137
	s_cbranch_execz .LBB84_196
.LBB84_266:                             ;   in Loop: Header=BB84_100 Depth=2
	global_load_b64 v[46:47], v[62:63], off offset:1792
	s_wait_xcnt 0x0
	s_or_b32 exec_lo, exec_lo, s60
	s_delay_alu instid0(SALU_CYCLE_1)
	s_mov_b32 s60, exec_lo
	v_cmpx_lt_u32_e64 v105, v137
	s_cbranch_execz .LBB84_197
.LBB84_267:                             ;   in Loop: Header=BB84_100 Depth=2
	global_load_b64 v[44:45], v[62:63], off offset:2048
	s_wait_xcnt 0x0
	s_or_b32 exec_lo, exec_lo, s60
	s_delay_alu instid0(SALU_CYCLE_1)
	s_mov_b32 s60, exec_lo
	v_cmpx_lt_u32_e64 v106, v137
	s_cbranch_execz .LBB84_198
.LBB84_268:                             ;   in Loop: Header=BB84_100 Depth=2
	global_load_b64 v[42:43], v[62:63], off offset:2304
	s_wait_xcnt 0x0
	s_or_b32 exec_lo, exec_lo, s60
	s_delay_alu instid0(SALU_CYCLE_1)
	s_mov_b32 s60, exec_lo
	v_cmpx_lt_u32_e64 v107, v137
	s_cbranch_execz .LBB84_199
.LBB84_269:                             ;   in Loop: Header=BB84_100 Depth=2
	global_load_b64 v[40:41], v[62:63], off offset:2560
	s_wait_xcnt 0x0
	s_or_b32 exec_lo, exec_lo, s60
	s_delay_alu instid0(SALU_CYCLE_1)
	s_mov_b32 s60, exec_lo
	v_cmpx_lt_u32_e64 v108, v137
	s_cbranch_execz .LBB84_200
.LBB84_270:                             ;   in Loop: Header=BB84_100 Depth=2
	global_load_b64 v[38:39], v[62:63], off offset:2816
	s_wait_xcnt 0x0
	s_or_b32 exec_lo, exec_lo, s60
	s_delay_alu instid0(SALU_CYCLE_1)
	s_mov_b32 s60, exec_lo
	v_cmpx_lt_u32_e64 v109, v137
	s_cbranch_execz .LBB84_201
.LBB84_271:                             ;   in Loop: Header=BB84_100 Depth=2
	global_load_b64 v[36:37], v[62:63], off offset:3072
	s_wait_xcnt 0x0
	s_or_b32 exec_lo, exec_lo, s60
	s_delay_alu instid0(SALU_CYCLE_1)
	s_mov_b32 s60, exec_lo
	v_cmpx_lt_u32_e64 v110, v137
	s_cbranch_execz .LBB84_202
.LBB84_272:                             ;   in Loop: Header=BB84_100 Depth=2
	global_load_b64 v[34:35], v[62:63], off offset:3328
	s_wait_xcnt 0x0
	s_or_b32 exec_lo, exec_lo, s60
	s_delay_alu instid0(SALU_CYCLE_1)
	s_mov_b32 s60, exec_lo
	v_cmpx_lt_u32_e64 v111, v137
	s_cbranch_execz .LBB84_203
.LBB84_273:                             ;   in Loop: Header=BB84_100 Depth=2
	global_load_b64 v[32:33], v[62:63], off offset:3584
	s_wait_xcnt 0x0
	s_or_b32 exec_lo, exec_lo, s60
	s_delay_alu instid0(SALU_CYCLE_1)
	s_mov_b32 s60, exec_lo
	v_cmpx_lt_u32_e64 v112, v137
	s_cbranch_execz .LBB84_204
.LBB84_274:                             ;   in Loop: Header=BB84_100 Depth=2
	global_load_b64 v[30:31], v[62:63], off offset:3840
	s_wait_xcnt 0x0
	s_or_b32 exec_lo, exec_lo, s60
	s_delay_alu instid0(SALU_CYCLE_1)
	s_mov_b32 s60, exec_lo
	v_cmpx_lt_u32_e64 v113, v137
	s_cbranch_execz .LBB84_205
.LBB84_275:                             ;   in Loop: Header=BB84_100 Depth=2
	global_load_b64 v[28:29], v[62:63], off offset:4096
	s_wait_xcnt 0x0
	s_or_b32 exec_lo, exec_lo, s60
	s_and_saveexec_b32 s34, vcc_lo
	s_cbranch_execz .LBB84_206
.LBB84_276:                             ;   in Loop: Header=BB84_100 Depth=2
	ds_load_u8 v62, v2 offset:512
	s_wait_dscnt 0x0
	v_lshrrev_b32_e32 v62, s43, v62
	s_delay_alu instid0(VALU_DEP_1)
	v_and_b32_e32 v132, s48, v62
	s_or_b32 exec_lo, exec_lo, s34
	s_and_saveexec_b32 s34, s17
	s_cbranch_execz .LBB84_207
.LBB84_277:                             ;   in Loop: Header=BB84_100 Depth=2
	ds_load_u8 v62, v2 offset:768
	s_wait_dscnt 0x0
	v_lshrrev_b32_e32 v62, s43, v62
	s_delay_alu instid0(VALU_DEP_1)
	v_and_b32_e32 v131, s48, v62
	s_or_b32 exec_lo, exec_lo, s34
	s_and_saveexec_b32 s34, s18
	s_cbranch_execz .LBB84_208
.LBB84_278:                             ;   in Loop: Header=BB84_100 Depth=2
	ds_load_u8 v62, v2 offset:1024
	s_wait_dscnt 0x0
	v_lshrrev_b32_e32 v62, s43, v62
	s_delay_alu instid0(VALU_DEP_1)
	v_and_b32_e32 v130, s48, v62
	s_or_b32 exec_lo, exec_lo, s34
	s_and_saveexec_b32 s34, s19
	s_cbranch_execz .LBB84_209
.LBB84_279:                             ;   in Loop: Header=BB84_100 Depth=2
	ds_load_u8 v62, v2 offset:1280
	s_wait_dscnt 0x0
	v_lshrrev_b32_e32 v62, s43, v62
	s_delay_alu instid0(VALU_DEP_1)
	v_and_b32_e32 v129, s48, v62
	s_or_b32 exec_lo, exec_lo, s34
	s_and_saveexec_b32 s34, s20
	s_cbranch_execz .LBB84_210
.LBB84_280:                             ;   in Loop: Header=BB84_100 Depth=2
	ds_load_u8 v62, v2 offset:1536
	s_wait_dscnt 0x0
	v_lshrrev_b32_e32 v62, s43, v62
	s_delay_alu instid0(VALU_DEP_1)
	v_and_b32_e32 v128, s48, v62
	s_or_b32 exec_lo, exec_lo, s34
	s_and_saveexec_b32 s34, s21
	s_cbranch_execz .LBB84_211
.LBB84_281:                             ;   in Loop: Header=BB84_100 Depth=2
	ds_load_u8 v62, v2 offset:1792
	s_wait_dscnt 0x0
	v_lshrrev_b32_e32 v62, s43, v62
	s_delay_alu instid0(VALU_DEP_1)
	v_and_b32_e32 v127, s48, v62
	s_or_b32 exec_lo, exec_lo, s34
	s_and_saveexec_b32 s34, s22
	s_cbranch_execz .LBB84_212
.LBB84_282:                             ;   in Loop: Header=BB84_100 Depth=2
	ds_load_u8 v62, v2 offset:2048
	s_wait_dscnt 0x0
	v_lshrrev_b32_e32 v62, s43, v62
	s_delay_alu instid0(VALU_DEP_1)
	v_and_b32_e32 v126, s48, v62
	s_or_b32 exec_lo, exec_lo, s34
	s_and_saveexec_b32 s34, s23
	s_cbranch_execz .LBB84_213
.LBB84_283:                             ;   in Loop: Header=BB84_100 Depth=2
	ds_load_u8 v62, v2 offset:2304
	s_wait_dscnt 0x0
	v_lshrrev_b32_e32 v62, s43, v62
	s_delay_alu instid0(VALU_DEP_1)
	v_and_b32_e32 v125, s48, v62
	s_or_b32 exec_lo, exec_lo, s34
	s_and_saveexec_b32 s34, s24
	s_cbranch_execz .LBB84_214
.LBB84_284:                             ;   in Loop: Header=BB84_100 Depth=2
	ds_load_u8 v62, v2 offset:2560
	s_wait_dscnt 0x0
	v_lshrrev_b32_e32 v62, s43, v62
	s_delay_alu instid0(VALU_DEP_1)
	v_and_b32_e32 v124, s48, v62
	s_or_b32 exec_lo, exec_lo, s34
	s_and_saveexec_b32 s34, s25
	s_cbranch_execz .LBB84_215
.LBB84_285:                             ;   in Loop: Header=BB84_100 Depth=2
	ds_load_u8 v62, v2 offset:2816
	s_wait_dscnt 0x0
	v_lshrrev_b32_e32 v62, s43, v62
	s_delay_alu instid0(VALU_DEP_1)
	v_and_b32_e32 v123, s48, v62
	s_or_b32 exec_lo, exec_lo, s34
	s_and_saveexec_b32 s34, s26
	s_cbranch_execz .LBB84_216
.LBB84_286:                             ;   in Loop: Header=BB84_100 Depth=2
	ds_load_u8 v62, v2 offset:3072
	s_wait_dscnt 0x0
	v_lshrrev_b32_e32 v62, s43, v62
	s_delay_alu instid0(VALU_DEP_1)
	v_and_b32_e32 v122, s48, v62
	s_or_b32 exec_lo, exec_lo, s34
	s_and_saveexec_b32 s34, s27
	s_cbranch_execz .LBB84_217
.LBB84_287:                             ;   in Loop: Header=BB84_100 Depth=2
	ds_load_u8 v62, v2 offset:3328
	s_wait_dscnt 0x0
	v_lshrrev_b32_e32 v62, s43, v62
	s_delay_alu instid0(VALU_DEP_1)
	v_and_b32_e32 v120, s48, v62
	s_or_b32 exec_lo, exec_lo, s34
	s_and_saveexec_b32 s34, s28
	s_cbranch_execz .LBB84_218
.LBB84_288:                             ;   in Loop: Header=BB84_100 Depth=2
	ds_load_u8 v62, v2 offset:3584
	s_wait_dscnt 0x0
	v_lshrrev_b32_e32 v62, s43, v62
	s_delay_alu instid0(VALU_DEP_1)
	v_and_b32_e32 v119, s48, v62
	s_or_b32 exec_lo, exec_lo, s34
	s_and_saveexec_b32 s34, s29
	s_cbranch_execz .LBB84_219
.LBB84_289:                             ;   in Loop: Header=BB84_100 Depth=2
	ds_load_u8 v62, v2 offset:3840
	s_wait_dscnt 0x0
	v_lshrrev_b32_e32 v62, s43, v62
	s_delay_alu instid0(VALU_DEP_1)
	v_and_b32_e32 v118, s48, v62
	s_or_b32 exec_lo, exec_lo, s34
	s_and_saveexec_b32 s34, s30
	s_cbranch_execz .LBB84_220
.LBB84_290:                             ;   in Loop: Header=BB84_100 Depth=2
	ds_load_u8 v62, v2 offset:4096
	s_wait_dscnt 0x0
	v_lshrrev_b32_e32 v62, s43, v62
	s_delay_alu instid0(VALU_DEP_1)
	v_and_b32_e32 v117, s48, v62
	s_or_b32 exec_lo, exec_lo, s34
	s_and_saveexec_b32 s34, s31
	s_cbranch_execz .LBB84_221
.LBB84_291:                             ;   in Loop: Header=BB84_100 Depth=2
	ds_load_u8 v62, v2 offset:4352
	s_wait_dscnt 0x0
	v_lshrrev_b32_e32 v62, s43, v62
	s_delay_alu instid0(VALU_DEP_1)
	v_and_b32_e32 v116, s48, v62
	s_or_b32 exec_lo, exec_lo, s34
	s_and_saveexec_b32 s34, s33
	s_cbranch_execnz .LBB84_222
	s_branch .LBB84_223
.LBB84_292:                             ;   in Loop: Header=BB84_100 Depth=2
	v_dual_lshlrev_b32 v62, 2, v132 :: v_dual_add_nc_u32 v63, v2, v95
	ds_load_b32 v64, v62
	ds_load_b64 v[62:63], v63 offset:512
	s_wait_dscnt 0x1
	v_add_nc_u32_e32 v64, v64, v2
	s_wait_dscnt 0x0
	global_store_b64 v64, v[62:63], s[44:45] scale_offset
	s_wait_xcnt 0x0
	s_or_b32 exec_lo, exec_lo, s34
	s_and_saveexec_b32 s34, s17
	s_cbranch_execz .LBB84_225
.LBB84_293:                             ;   in Loop: Header=BB84_100 Depth=2
	v_lshlrev_b32_e32 v62, 2, v131
	v_add_nc_u32_e32 v63, v2, v95
	ds_load_b32 v64, v62
	ds_load_b64 v[62:63], v63 offset:2560
	s_wait_dscnt 0x1
	v_add_nc_u32_e32 v64, v64, v67
	s_wait_dscnt 0x0
	global_store_b64 v64, v[62:63], s[44:45] scale_offset
	s_wait_xcnt 0x0
	s_or_b32 exec_lo, exec_lo, s34
	s_and_saveexec_b32 s17, s18
	s_cbranch_execz .LBB84_226
.LBB84_294:                             ;   in Loop: Header=BB84_100 Depth=2
	v_dual_lshlrev_b32 v62, 2, v130 :: v_dual_add_nc_u32 v63, v2, v95
	ds_load_b32 v64, v62
	ds_load_b64 v[62:63], v63 offset:4608
	s_wait_dscnt 0x1
	v_add_nc_u32_e32 v64, v64, v68
	s_wait_dscnt 0x0
	global_store_b64 v64, v[62:63], s[44:45] scale_offset
	s_wait_xcnt 0x0
	s_or_b32 exec_lo, exec_lo, s17
	s_and_saveexec_b32 s17, s19
	s_cbranch_execz .LBB84_227
.LBB84_295:                             ;   in Loop: Header=BB84_100 Depth=2
	v_dual_lshlrev_b32 v62, 2, v129 :: v_dual_add_nc_u32 v63, v2, v95
	ds_load_b32 v64, v62
	ds_load_b64 v[62:63], v63 offset:6656
	s_wait_dscnt 0x1
	v_add_nc_u32_e32 v64, v64, v69
	s_wait_dscnt 0x0
	global_store_b64 v64, v[62:63], s[44:45] scale_offset
	s_wait_xcnt 0x0
	s_or_b32 exec_lo, exec_lo, s17
	s_and_saveexec_b32 s17, s20
	s_cbranch_execz .LBB84_228
.LBB84_296:                             ;   in Loop: Header=BB84_100 Depth=2
	v_dual_lshlrev_b32 v62, 2, v128 :: v_dual_add_nc_u32 v63, v2, v95
	ds_load_b32 v64, v62
	ds_load_b64 v[62:63], v63 offset:8704
	s_wait_dscnt 0x1
	v_add_nc_u32_e32 v64, v64, v70
	s_wait_dscnt 0x0
	global_store_b64 v64, v[62:63], s[44:45] scale_offset
	s_wait_xcnt 0x0
	s_or_b32 exec_lo, exec_lo, s17
	s_and_saveexec_b32 s17, s21
	s_cbranch_execz .LBB84_229
.LBB84_297:                             ;   in Loop: Header=BB84_100 Depth=2
	v_lshlrev_b32_e32 v62, 2, v127
	v_add_nc_u32_e32 v63, v2, v95
	ds_load_b32 v64, v62
	ds_load_b64 v[62:63], v63 offset:10752
	s_wait_dscnt 0x1
	v_add_nc_u32_e32 v64, v64, v71
	s_wait_dscnt 0x0
	global_store_b64 v64, v[62:63], s[44:45] scale_offset
	s_wait_xcnt 0x0
	s_or_b32 exec_lo, exec_lo, s17
	s_and_saveexec_b32 s17, s22
	s_cbranch_execz .LBB84_230
.LBB84_298:                             ;   in Loop: Header=BB84_100 Depth=2
	v_dual_lshlrev_b32 v62, 2, v126 :: v_dual_add_nc_u32 v63, v2, v95
	ds_load_b32 v64, v62
	ds_load_b64 v[62:63], v63 offset:12800
	s_wait_dscnt 0x1
	v_add_nc_u32_e32 v64, v64, v72
	s_wait_dscnt 0x0
	global_store_b64 v64, v[62:63], s[44:45] scale_offset
	s_wait_xcnt 0x0
	s_or_b32 exec_lo, exec_lo, s17
	s_and_saveexec_b32 s17, s23
	s_cbranch_execz .LBB84_231
.LBB84_299:                             ;   in Loop: Header=BB84_100 Depth=2
	v_dual_lshlrev_b32 v62, 2, v125 :: v_dual_add_nc_u32 v63, v2, v95
	ds_load_b32 v64, v62
	ds_load_b64 v[62:63], v63 offset:14848
	s_wait_dscnt 0x1
	v_add_nc_u32_e32 v64, v64, v73
	s_wait_dscnt 0x0
	global_store_b64 v64, v[62:63], s[44:45] scale_offset
	s_wait_xcnt 0x0
	s_or_b32 exec_lo, exec_lo, s17
	s_and_saveexec_b32 s17, s24
	s_cbranch_execz .LBB84_232
.LBB84_300:                             ;   in Loop: Header=BB84_100 Depth=2
	v_dual_lshlrev_b32 v62, 2, v124 :: v_dual_add_nc_u32 v63, v2, v95
	ds_load_b32 v64, v62
	ds_load_b64 v[62:63], v63 offset:16896
	s_wait_dscnt 0x1
	v_add_nc_u32_e32 v64, v64, v74
	s_wait_dscnt 0x0
	global_store_b64 v64, v[62:63], s[44:45] scale_offset
	s_wait_xcnt 0x0
	s_or_b32 exec_lo, exec_lo, s17
	s_and_saveexec_b32 s17, s25
	s_cbranch_execz .LBB84_233
.LBB84_301:                             ;   in Loop: Header=BB84_100 Depth=2
	v_lshlrev_b32_e32 v62, 2, v123
	v_add_nc_u32_e32 v63, v2, v95
	ds_load_b32 v64, v62
	ds_load_b64 v[62:63], v63 offset:18944
	s_wait_dscnt 0x1
	v_add_nc_u32_e32 v64, v64, v75
	s_wait_dscnt 0x0
	global_store_b64 v64, v[62:63], s[44:45] scale_offset
	s_wait_xcnt 0x0
	s_or_b32 exec_lo, exec_lo, s17
	s_and_saveexec_b32 s17, s26
	s_cbranch_execz .LBB84_234
.LBB84_302:                             ;   in Loop: Header=BB84_100 Depth=2
	v_dual_lshlrev_b32 v62, 2, v122 :: v_dual_add_nc_u32 v63, v2, v95
	ds_load_b32 v64, v62
	ds_load_b64 v[62:63], v63 offset:20992
	s_wait_dscnt 0x1
	v_add_nc_u32_e32 v64, v64, v76
	s_wait_dscnt 0x0
	global_store_b64 v64, v[62:63], s[44:45] scale_offset
	s_wait_xcnt 0x0
	s_or_b32 exec_lo, exec_lo, s17
	s_and_saveexec_b32 s17, s27
	s_cbranch_execz .LBB84_235
.LBB84_303:                             ;   in Loop: Header=BB84_100 Depth=2
	v_dual_lshlrev_b32 v62, 2, v120 :: v_dual_add_nc_u32 v63, v2, v95
	ds_load_b32 v64, v62
	ds_load_b64 v[62:63], v63 offset:23040
	s_wait_dscnt 0x1
	v_add_nc_u32_e32 v64, v64, v77
	s_wait_dscnt 0x0
	global_store_b64 v64, v[62:63], s[44:45] scale_offset
	s_wait_xcnt 0x0
	s_or_b32 exec_lo, exec_lo, s17
	s_and_saveexec_b32 s17, s28
	s_cbranch_execz .LBB84_236
.LBB84_304:                             ;   in Loop: Header=BB84_100 Depth=2
	v_lshlrev_b32_e32 v62, 2, v119
	v_add_nc_u32_e32 v63, v2, v95
	ds_load_b32 v64, v62
	ds_load_b64 v[62:63], v63 offset:25088
	s_wait_dscnt 0x1
	v_add_nc_u32_e32 v64, v64, v78
	s_wait_dscnt 0x0
	global_store_b64 v64, v[62:63], s[44:45] scale_offset
	s_wait_xcnt 0x0
	s_or_b32 exec_lo, exec_lo, s17
	s_and_saveexec_b32 s17, s29
	s_cbranch_execz .LBB84_237
.LBB84_305:                             ;   in Loop: Header=BB84_100 Depth=2
	v_dual_lshlrev_b32 v62, 2, v118 :: v_dual_add_nc_u32 v63, v2, v95
	ds_load_b32 v64, v62
	ds_load_b64 v[62:63], v63 offset:27136
	s_wait_dscnt 0x1
	v_add_nc_u32_e32 v64, v64, v79
	s_wait_dscnt 0x0
	global_store_b64 v64, v[62:63], s[44:45] scale_offset
	s_wait_xcnt 0x0
	s_or_b32 exec_lo, exec_lo, s17
	s_and_saveexec_b32 s17, s30
	s_cbranch_execz .LBB84_238
.LBB84_306:                             ;   in Loop: Header=BB84_100 Depth=2
	v_dual_lshlrev_b32 v62, 2, v117 :: v_dual_add_nc_u32 v63, v2, v95
	ds_load_b32 v64, v62
	ds_load_b64 v[62:63], v63 offset:29184
	s_wait_dscnt 0x1
	v_add_nc_u32_e32 v64, v64, v80
	s_wait_dscnt 0x0
	global_store_b64 v64, v[62:63], s[44:45] scale_offset
	s_wait_xcnt 0x0
	s_or_b32 exec_lo, exec_lo, s17
	s_and_saveexec_b32 s17, s31
	s_cbranch_execz .LBB84_239
.LBB84_307:                             ;   in Loop: Header=BB84_100 Depth=2
	v_dual_lshlrev_b32 v62, 2, v116 :: v_dual_add_nc_u32 v63, v2, v95
	ds_load_b32 v64, v62
	ds_load_b64 v[62:63], v63 offset:31232
	s_wait_dscnt 0x1
	v_add_nc_u32_e32 v64, v64, v81
	s_wait_dscnt 0x0
	global_store_b64 v64, v[62:63], s[44:45] scale_offset
	s_wait_xcnt 0x0
	s_or_b32 exec_lo, exec_lo, s17
	s_and_saveexec_b32 s17, s33
	s_cbranch_execnz .LBB84_240
	s_branch .LBB84_241
.LBB84_308:                             ;   in Loop: Header=BB84_100 Depth=2
	global_load_u8 v151, v[62:63], off offset:32
	s_wait_xcnt 0x0
	s_or_b32 exec_lo, exec_lo, s17
	s_delay_alu instid0(SALU_CYCLE_1)
	s_mov_b32 s17, exec_lo
	v_cmpx_gt_u32_e64 s58, v99
	s_cbranch_execz .LBB84_107
.LBB84_309:                             ;   in Loop: Header=BB84_100 Depth=2
	global_load_u8 v148, v[62:63], off offset:64
	s_wait_xcnt 0x0
	s_or_b32 exec_lo, exec_lo, s17
	s_delay_alu instid0(SALU_CYCLE_1)
	s_mov_b32 s17, exec_lo
	v_cmpx_gt_u32_e64 s58, v100
	s_cbranch_execz .LBB84_108
.LBB84_310:                             ;   in Loop: Header=BB84_100 Depth=2
	global_load_u8 v150, v[62:63], off offset:96
	s_wait_xcnt 0x0
	s_or_b32 exec_lo, exec_lo, s17
	s_delay_alu instid0(SALU_CYCLE_1)
	s_mov_b32 s17, exec_lo
	v_cmpx_gt_u32_e64 s58, v101
	s_cbranch_execz .LBB84_109
.LBB84_311:                             ;   in Loop: Header=BB84_100 Depth=2
	global_load_u8 v142, v[62:63], off offset:128
	s_wait_xcnt 0x0
	s_or_b32 exec_lo, exec_lo, s17
	s_delay_alu instid0(SALU_CYCLE_1)
	s_mov_b32 s17, exec_lo
	v_cmpx_gt_u32_e64 s58, v102
	s_cbranch_execz .LBB84_110
.LBB84_312:                             ;   in Loop: Header=BB84_100 Depth=2
	global_load_u8 v144, v[62:63], off offset:160
	s_wait_xcnt 0x0
	s_or_b32 exec_lo, exec_lo, s17
	s_delay_alu instid0(SALU_CYCLE_1)
	s_mov_b32 s17, exec_lo
	v_cmpx_gt_u32_e64 s58, v103
	s_cbranch_execz .LBB84_111
.LBB84_313:                             ;   in Loop: Header=BB84_100 Depth=2
	global_load_u8 v143, v[62:63], off offset:192
	s_wait_xcnt 0x0
	s_or_b32 exec_lo, exec_lo, s17
	s_delay_alu instid0(SALU_CYCLE_1)
	s_mov_b32 s17, exec_lo
	v_cmpx_gt_u32_e64 s58, v104
	s_cbranch_execz .LBB84_112
.LBB84_314:                             ;   in Loop: Header=BB84_100 Depth=2
	global_load_u8 v145, v[62:63], off offset:224
	s_wait_xcnt 0x0
	s_or_b32 exec_lo, exec_lo, s17
	s_delay_alu instid0(SALU_CYCLE_1)
	s_mov_b32 s17, exec_lo
	v_cmpx_gt_u32_e64 s58, v105
	s_cbranch_execz .LBB84_113
.LBB84_315:                             ;   in Loop: Header=BB84_100 Depth=2
	global_load_u8 v138, v[62:63], off offset:256
	s_wait_xcnt 0x0
	s_or_b32 exec_lo, exec_lo, s17
	s_delay_alu instid0(SALU_CYCLE_1)
	s_mov_b32 s17, exec_lo
	v_cmpx_gt_u32_e64 s58, v106
	s_cbranch_execz .LBB84_114
.LBB84_316:                             ;   in Loop: Header=BB84_100 Depth=2
	global_load_u8 v140, v[62:63], off offset:288
	s_wait_xcnt 0x0
	s_or_b32 exec_lo, exec_lo, s17
	s_delay_alu instid0(SALU_CYCLE_1)
	s_mov_b32 s17, exec_lo
	v_cmpx_gt_u32_e64 s58, v107
	s_cbranch_execz .LBB84_115
.LBB84_317:                             ;   in Loop: Header=BB84_100 Depth=2
	global_load_u8 v139, v[62:63], off offset:320
	s_wait_xcnt 0x0
	s_or_b32 exec_lo, exec_lo, s17
	s_delay_alu instid0(SALU_CYCLE_1)
	s_mov_b32 s17, exec_lo
	v_cmpx_gt_u32_e64 s58, v108
	s_cbranch_execz .LBB84_116
.LBB84_318:                             ;   in Loop: Header=BB84_100 Depth=2
	global_load_u8 v141, v[62:63], off offset:352
	s_wait_xcnt 0x0
	s_or_b32 exec_lo, exec_lo, s17
	s_delay_alu instid0(SALU_CYCLE_1)
	s_mov_b32 s17, exec_lo
	v_cmpx_gt_u32_e64 s58, v109
	s_cbranch_execz .LBB84_117
.LBB84_319:                             ;   in Loop: Header=BB84_100 Depth=2
	global_load_u8 v64, v[62:63], off offset:384
	s_wait_xcnt 0x0
	s_or_b32 exec_lo, exec_lo, s17
	s_delay_alu instid0(SALU_CYCLE_1)
	s_mov_b32 s17, exec_lo
	v_cmpx_gt_u32_e64 s58, v110
	s_cbranch_execz .LBB84_118
.LBB84_320:                             ;   in Loop: Header=BB84_100 Depth=2
	global_load_u8 v135, v[62:63], off offset:416
	s_wait_xcnt 0x0
	s_or_b32 exec_lo, exec_lo, s17
	s_delay_alu instid0(SALU_CYCLE_1)
	s_mov_b32 s17, exec_lo
	v_cmpx_gt_u32_e64 s58, v111
	s_cbranch_execz .LBB84_119
.LBB84_321:                             ;   in Loop: Header=BB84_100 Depth=2
	global_load_u8 v65, v[62:63], off offset:448
	s_wait_xcnt 0x0
	s_or_b32 exec_lo, exec_lo, s17
	s_delay_alu instid0(SALU_CYCLE_1)
	s_mov_b32 s17, exec_lo
	v_cmpx_gt_u32_e64 s58, v112
	s_cbranch_execnz .LBB84_120
	s_branch .LBB84_121
.LBB84_322:                             ;   in Loop: Header=BB84_12 Depth=1
	s_wait_dscnt 0x0
	s_barrier_signal -1
	s_mov_b32 s8, 0
	s_barrier_wait -1
.LBB84_323:                             ;   in Loop: Header=BB84_12 Depth=1
	s_and_b32 vcc_lo, exec_lo, s8
	s_cbranch_vccz .LBB84_633
; %bb.324:                              ;   in Loop: Header=BB84_12 Depth=1
	v_dual_mov_b32 v39, 0 :: v_dual_mov_b32 v42, 0
	v_dual_mov_b32 v41, 0 :: v_dual_mov_b32 v40, 0
	;; [unrolled: 1-line block ×8, first 2 shown]
	v_mov_b32_e32 v26, 0
	s_mov_b32 s8, s57
	s_mov_b32 s34, s55
	s_barrier_signal -1
	s_barrier_wait -1
	s_branch .LBB84_326
.LBB84_325:                             ;   in Loop: Header=BB84_326 Depth=2
	s_or_b32 exec_lo, exec_lo, s10
	s_addk_co_i32 s8, 0xef00
	s_cmp_ge_u32 s9, s54
	s_mov_b32 s34, s9
	s_cbranch_scc1 .LBB84_398
.LBB84_326:                             ;   Parent Loop BB84_12 Depth=1
                                        ; =>  This Inner Loop Header: Depth=2
	s_add_co_i32 s9, s34, 0x1100
	s_mov_b32 s10, -1
	s_cmp_gt_u32 s9, s54
                                        ; implicit-def: $vgpr24
                                        ; implicit-def: $vgpr25
                                        ; implicit-def: $vgpr43
                                        ; implicit-def: $vgpr44
                                        ; implicit-def: $vgpr45
                                        ; implicit-def: $vgpr46
                                        ; implicit-def: $vgpr47
                                        ; implicit-def: $vgpr48
                                        ; implicit-def: $vgpr49
                                        ; implicit-def: $vgpr50
                                        ; implicit-def: $vgpr51
                                        ; implicit-def: $vgpr52
                                        ; implicit-def: $vgpr53
                                        ; implicit-def: $vgpr54
                                        ; implicit-def: $vgpr55
                                        ; implicit-def: $vgpr56
                                        ; implicit-def: $vgpr57
	s_cbranch_scc1 .LBB84_328
; %bb.327:                              ;   in Loop: Header=BB84_326 Depth=2
	v_add_nc_u64_e32 v[58:59], s[34:35], v[12:13]
	s_mov_b32 s10, 0
	s_clause 0x10
	global_load_u8 v57, v[58:59], off offset:4096
	global_load_u8 v56, v[58:59], off offset:3840
	;; [unrolled: 1-line block ×16, first 2 shown]
	global_load_u8 v24, v[58:59], off
.LBB84_328:                             ;   in Loop: Header=BB84_326 Depth=2
	s_and_not1_b32 vcc_lo, exec_lo, s10
	s_movk_i32 s10, 0x1100
	s_cbranch_vccnz .LBB84_348
; %bb.329:                              ;   in Loop: Header=BB84_326 Depth=2
	s_add_nc_u64 s[10:11], s[38:39], s[34:35]
	s_wait_loadcnt 0x0
	v_add_nc_u64_e32 v[24:25], s[10:11], v[2:3]
	s_mov_b32 s10, exec_lo
	s_wait_xcnt 0x0
	v_cmpx_gt_u32_e64 s8, v2
	s_cbranch_execnz .LBB84_382
; %bb.330:                              ;   in Loop: Header=BB84_326 Depth=2
	s_or_b32 exec_lo, exec_lo, s10
	s_delay_alu instid0(SALU_CYCLE_1)
	s_mov_b32 s10, exec_lo
	v_cmpx_gt_u32_e64 s8, v67
	s_cbranch_execnz .LBB84_383
.LBB84_331:                             ;   in Loop: Header=BB84_326 Depth=2
	s_or_b32 exec_lo, exec_lo, s10
	s_delay_alu instid0(SALU_CYCLE_1)
	s_mov_b32 s10, exec_lo
	v_cmpx_gt_u32_e64 s8, v68
	s_cbranch_execnz .LBB84_384
.LBB84_332:                             ;   in Loop: Header=BB84_326 Depth=2
	s_or_b32 exec_lo, exec_lo, s10
	s_delay_alu instid0(SALU_CYCLE_1)
	s_mov_b32 s10, exec_lo
	v_cmpx_gt_u32_e64 s8, v69
	s_cbranch_execnz .LBB84_385
.LBB84_333:                             ;   in Loop: Header=BB84_326 Depth=2
	s_or_b32 exec_lo, exec_lo, s10
	s_delay_alu instid0(SALU_CYCLE_1)
	s_mov_b32 s10, exec_lo
	v_cmpx_gt_u32_e64 s8, v70
	s_cbranch_execnz .LBB84_386
.LBB84_334:                             ;   in Loop: Header=BB84_326 Depth=2
	s_or_b32 exec_lo, exec_lo, s10
	s_delay_alu instid0(SALU_CYCLE_1)
	s_mov_b32 s10, exec_lo
	v_cmpx_gt_u32_e64 s8, v71
	s_cbranch_execnz .LBB84_387
.LBB84_335:                             ;   in Loop: Header=BB84_326 Depth=2
	s_or_b32 exec_lo, exec_lo, s10
	s_delay_alu instid0(SALU_CYCLE_1)
	s_mov_b32 s10, exec_lo
	v_cmpx_gt_u32_e64 s8, v72
	s_cbranch_execnz .LBB84_388
.LBB84_336:                             ;   in Loop: Header=BB84_326 Depth=2
	s_or_b32 exec_lo, exec_lo, s10
	s_delay_alu instid0(SALU_CYCLE_1)
	s_mov_b32 s10, exec_lo
	v_cmpx_gt_u32_e64 s8, v73
	s_cbranch_execnz .LBB84_389
.LBB84_337:                             ;   in Loop: Header=BB84_326 Depth=2
	s_or_b32 exec_lo, exec_lo, s10
	s_delay_alu instid0(SALU_CYCLE_1)
	s_mov_b32 s10, exec_lo
	v_cmpx_gt_u32_e64 s8, v74
	s_cbranch_execnz .LBB84_390
.LBB84_338:                             ;   in Loop: Header=BB84_326 Depth=2
	s_or_b32 exec_lo, exec_lo, s10
	s_delay_alu instid0(SALU_CYCLE_1)
	s_mov_b32 s10, exec_lo
	v_cmpx_gt_u32_e64 s8, v75
	s_cbranch_execnz .LBB84_391
.LBB84_339:                             ;   in Loop: Header=BB84_326 Depth=2
	s_or_b32 exec_lo, exec_lo, s10
	s_delay_alu instid0(SALU_CYCLE_1)
	s_mov_b32 s10, exec_lo
	v_cmpx_gt_u32_e64 s8, v76
	s_cbranch_execnz .LBB84_392
.LBB84_340:                             ;   in Loop: Header=BB84_326 Depth=2
	s_or_b32 exec_lo, exec_lo, s10
	s_delay_alu instid0(SALU_CYCLE_1)
	s_mov_b32 s10, exec_lo
	v_cmpx_gt_u32_e64 s8, v77
	s_cbranch_execnz .LBB84_393
.LBB84_341:                             ;   in Loop: Header=BB84_326 Depth=2
	s_or_b32 exec_lo, exec_lo, s10
	s_delay_alu instid0(SALU_CYCLE_1)
	s_mov_b32 s10, exec_lo
	v_cmpx_gt_u32_e64 s8, v78
	s_cbranch_execnz .LBB84_394
.LBB84_342:                             ;   in Loop: Header=BB84_326 Depth=2
	s_or_b32 exec_lo, exec_lo, s10
	s_delay_alu instid0(SALU_CYCLE_1)
	s_mov_b32 s10, exec_lo
	v_cmpx_gt_u32_e64 s8, v79
	s_cbranch_execnz .LBB84_395
.LBB84_343:                             ;   in Loop: Header=BB84_326 Depth=2
	s_or_b32 exec_lo, exec_lo, s10
	s_delay_alu instid0(SALU_CYCLE_1)
	s_mov_b32 s10, exec_lo
	v_cmpx_gt_u32_e64 s8, v80
	s_cbranch_execnz .LBB84_396
.LBB84_344:                             ;   in Loop: Header=BB84_326 Depth=2
	s_or_b32 exec_lo, exec_lo, s10
	s_delay_alu instid0(SALU_CYCLE_1)
	s_mov_b32 s10, exec_lo
	v_cmpx_gt_u32_e64 s8, v81
	s_cbranch_execnz .LBB84_397
.LBB84_345:                             ;   in Loop: Header=BB84_326 Depth=2
	s_or_b32 exec_lo, exec_lo, s10
	s_delay_alu instid0(SALU_CYCLE_1)
	s_mov_b32 s10, exec_lo
	v_cmpx_gt_u32_e64 s8, v82
	s_cbranch_execz .LBB84_347
.LBB84_346:                             ;   in Loop: Header=BB84_326 Depth=2
	global_load_u8 v26, v[24:25], off offset:4096
.LBB84_347:                             ;   in Loop: Header=BB84_326 Depth=2
	s_wait_xcnt 0x0
	s_or_b32 exec_lo, exec_lo, s10
	s_wait_loadcnt 0x0
	v_dual_mov_b32 v24, v39 :: v_dual_mov_b32 v25, v42
	v_dual_mov_b32 v43, v41 :: v_dual_mov_b32 v44, v40
	;; [unrolled: 1-line block ×8, first 2 shown]
	v_mov_b32_e32 v57, v26
	s_mov_b32 s10, s8
.LBB84_348:                             ;   in Loop: Header=BB84_326 Depth=2
	s_wait_loadcnt 0xf
	s_delay_alu instid0(VALU_DEP_1)
	v_dual_mov_b32 v26, v57 :: v_dual_mov_b32 v27, v56
	s_wait_loadcnt 0xd
	v_dual_mov_b32 v28, v55 :: v_dual_mov_b32 v29, v54
	s_wait_loadcnt 0xb
	;; [unrolled: 2-line block ×8, first 2 shown]
	v_mov_b32_e32 v39, v24
	s_mov_b32 s11, exec_lo
	s_wait_xcnt 0x0
	v_cmpx_gt_u32_e64 s10, v2
	s_cbranch_execnz .LBB84_365
; %bb.349:                              ;   in Loop: Header=BB84_326 Depth=2
	s_or_b32 exec_lo, exec_lo, s11
	s_delay_alu instid0(SALU_CYCLE_1)
	s_mov_b32 s11, exec_lo
	v_cmpx_gt_u32_e64 s10, v67
	s_cbranch_execnz .LBB84_366
.LBB84_350:                             ;   in Loop: Header=BB84_326 Depth=2
	s_or_b32 exec_lo, exec_lo, s11
	s_delay_alu instid0(SALU_CYCLE_1)
	s_mov_b32 s11, exec_lo
	v_cmpx_gt_u32_e64 s10, v68
	s_cbranch_execnz .LBB84_367
.LBB84_351:                             ;   in Loop: Header=BB84_326 Depth=2
	s_or_b32 exec_lo, exec_lo, s11
	s_delay_alu instid0(SALU_CYCLE_1)
	s_mov_b32 s11, exec_lo
	v_cmpx_gt_u32_e64 s10, v69
	s_cbranch_execnz .LBB84_368
.LBB84_352:                             ;   in Loop: Header=BB84_326 Depth=2
	s_or_b32 exec_lo, exec_lo, s11
	s_delay_alu instid0(SALU_CYCLE_1)
	s_mov_b32 s11, exec_lo
	v_cmpx_gt_u32_e64 s10, v70
	s_cbranch_execnz .LBB84_369
.LBB84_353:                             ;   in Loop: Header=BB84_326 Depth=2
	s_or_b32 exec_lo, exec_lo, s11
	s_delay_alu instid0(SALU_CYCLE_1)
	s_mov_b32 s11, exec_lo
	v_cmpx_gt_u32_e64 s10, v71
	s_cbranch_execnz .LBB84_370
.LBB84_354:                             ;   in Loop: Header=BB84_326 Depth=2
	s_or_b32 exec_lo, exec_lo, s11
	s_delay_alu instid0(SALU_CYCLE_1)
	s_mov_b32 s11, exec_lo
	v_cmpx_gt_u32_e64 s10, v72
	s_cbranch_execnz .LBB84_371
.LBB84_355:                             ;   in Loop: Header=BB84_326 Depth=2
	s_or_b32 exec_lo, exec_lo, s11
	s_delay_alu instid0(SALU_CYCLE_1)
	s_mov_b32 s11, exec_lo
	v_cmpx_gt_u32_e64 s10, v73
	s_cbranch_execnz .LBB84_372
.LBB84_356:                             ;   in Loop: Header=BB84_326 Depth=2
	s_or_b32 exec_lo, exec_lo, s11
	s_delay_alu instid0(SALU_CYCLE_1)
	s_mov_b32 s11, exec_lo
	v_cmpx_gt_u32_e64 s10, v74
	s_cbranch_execnz .LBB84_373
.LBB84_357:                             ;   in Loop: Header=BB84_326 Depth=2
	s_or_b32 exec_lo, exec_lo, s11
	s_delay_alu instid0(SALU_CYCLE_1)
	s_mov_b32 s11, exec_lo
	v_cmpx_gt_u32_e64 s10, v75
	s_cbranch_execnz .LBB84_374
.LBB84_358:                             ;   in Loop: Header=BB84_326 Depth=2
	s_or_b32 exec_lo, exec_lo, s11
	s_delay_alu instid0(SALU_CYCLE_1)
	s_mov_b32 s11, exec_lo
	v_cmpx_gt_u32_e64 s10, v76
	s_cbranch_execnz .LBB84_375
.LBB84_359:                             ;   in Loop: Header=BB84_326 Depth=2
	s_or_b32 exec_lo, exec_lo, s11
	s_delay_alu instid0(SALU_CYCLE_1)
	s_mov_b32 s11, exec_lo
	v_cmpx_gt_u32_e64 s10, v77
	s_cbranch_execnz .LBB84_376
.LBB84_360:                             ;   in Loop: Header=BB84_326 Depth=2
	s_or_b32 exec_lo, exec_lo, s11
	s_delay_alu instid0(SALU_CYCLE_1)
	s_mov_b32 s11, exec_lo
	v_cmpx_gt_u32_e64 s10, v78
	s_cbranch_execnz .LBB84_377
.LBB84_361:                             ;   in Loop: Header=BB84_326 Depth=2
	s_or_b32 exec_lo, exec_lo, s11
	s_delay_alu instid0(SALU_CYCLE_1)
	s_mov_b32 s11, exec_lo
	v_cmpx_gt_u32_e64 s10, v79
	s_cbranch_execnz .LBB84_378
.LBB84_362:                             ;   in Loop: Header=BB84_326 Depth=2
	s_or_b32 exec_lo, exec_lo, s11
	s_delay_alu instid0(SALU_CYCLE_1)
	s_mov_b32 s11, exec_lo
	v_cmpx_gt_u32_e64 s10, v80
	s_cbranch_execnz .LBB84_379
.LBB84_363:                             ;   in Loop: Header=BB84_326 Depth=2
	s_or_b32 exec_lo, exec_lo, s11
	s_delay_alu instid0(SALU_CYCLE_1)
	s_mov_b32 s11, exec_lo
	v_cmpx_gt_u32_e64 s10, v81
	s_cbranch_execnz .LBB84_380
.LBB84_364:                             ;   in Loop: Header=BB84_326 Depth=2
	s_or_b32 exec_lo, exec_lo, s11
	v_cmp_gt_u32_e32 vcc_lo, s10, v82
	s_and_saveexec_b32 s10, vcc_lo
	s_cbranch_execz .LBB84_325
	s_branch .LBB84_381
.LBB84_365:                             ;   in Loop: Header=BB84_326 Depth=2
	v_xor_b32_e32 v24, -1, v39
	s_delay_alu instid0(VALU_DEP_1) | instskip(NEXT) | instid1(VALU_DEP_1)
	v_and_b32_e32 v24, 0xff, v24
	v_lshrrev_b32_e32 v24, s43, v24
	s_delay_alu instid0(VALU_DEP_1) | instskip(NEXT) | instid1(VALU_DEP_1)
	v_and_b32_e32 v24, s48, v24
	v_lshl_or_b32 v24, v24, 4, v84
	ds_add_u32 v24, v7
	s_or_b32 exec_lo, exec_lo, s11
	s_delay_alu instid0(SALU_CYCLE_1)
	s_mov_b32 s11, exec_lo
	v_cmpx_gt_u32_e64 s10, v67
	s_cbranch_execz .LBB84_350
.LBB84_366:                             ;   in Loop: Header=BB84_326 Depth=2
	v_xor_b32_e32 v24, -1, v42
	s_delay_alu instid0(VALU_DEP_1) | instskip(NEXT) | instid1(VALU_DEP_1)
	v_and_b32_e32 v24, 0xff, v24
	v_lshrrev_b32_e32 v24, s43, v24
	s_delay_alu instid0(VALU_DEP_1) | instskip(NEXT) | instid1(VALU_DEP_1)
	v_and_b32_e32 v24, s48, v24
	v_lshl_or_b32 v24, v24, 4, v84
	ds_add_u32 v24, v7
	s_or_b32 exec_lo, exec_lo, s11
	s_delay_alu instid0(SALU_CYCLE_1)
	s_mov_b32 s11, exec_lo
	v_cmpx_gt_u32_e64 s10, v68
	s_cbranch_execz .LBB84_351
.LBB84_367:                             ;   in Loop: Header=BB84_326 Depth=2
	v_xor_b32_e32 v24, -1, v41
	s_delay_alu instid0(VALU_DEP_1) | instskip(NEXT) | instid1(VALU_DEP_1)
	v_and_b32_e32 v24, 0xff, v24
	v_lshrrev_b32_e32 v24, s43, v24
	s_delay_alu instid0(VALU_DEP_1) | instskip(NEXT) | instid1(VALU_DEP_1)
	v_and_b32_e32 v24, s48, v24
	v_lshl_or_b32 v24, v24, 4, v84
	ds_add_u32 v24, v7
	s_or_b32 exec_lo, exec_lo, s11
	s_delay_alu instid0(SALU_CYCLE_1)
	s_mov_b32 s11, exec_lo
	v_cmpx_gt_u32_e64 s10, v69
	s_cbranch_execz .LBB84_352
.LBB84_368:                             ;   in Loop: Header=BB84_326 Depth=2
	v_xor_b32_e32 v24, -1, v40
	s_delay_alu instid0(VALU_DEP_1) | instskip(NEXT) | instid1(VALU_DEP_1)
	v_and_b32_e32 v24, 0xff, v24
	v_lshrrev_b32_e32 v24, s43, v24
	s_delay_alu instid0(VALU_DEP_1) | instskip(NEXT) | instid1(VALU_DEP_1)
	v_and_b32_e32 v24, s48, v24
	v_lshl_or_b32 v24, v24, 4, v84
	ds_add_u32 v24, v7
	s_or_b32 exec_lo, exec_lo, s11
	s_delay_alu instid0(SALU_CYCLE_1)
	s_mov_b32 s11, exec_lo
	v_cmpx_gt_u32_e64 s10, v70
	s_cbranch_execz .LBB84_353
.LBB84_369:                             ;   in Loop: Header=BB84_326 Depth=2
	v_xor_b32_e32 v24, -1, v38
	s_delay_alu instid0(VALU_DEP_1) | instskip(NEXT) | instid1(VALU_DEP_1)
	v_and_b32_e32 v24, 0xff, v24
	v_lshrrev_b32_e32 v24, s43, v24
	s_delay_alu instid0(VALU_DEP_1) | instskip(NEXT) | instid1(VALU_DEP_1)
	v_and_b32_e32 v24, s48, v24
	v_lshl_or_b32 v24, v24, 4, v84
	ds_add_u32 v24, v7
	s_or_b32 exec_lo, exec_lo, s11
	s_delay_alu instid0(SALU_CYCLE_1)
	s_mov_b32 s11, exec_lo
	v_cmpx_gt_u32_e64 s10, v71
	s_cbranch_execz .LBB84_354
.LBB84_370:                             ;   in Loop: Header=BB84_326 Depth=2
	v_xor_b32_e32 v24, -1, v37
	s_delay_alu instid0(VALU_DEP_1) | instskip(NEXT) | instid1(VALU_DEP_1)
	v_and_b32_e32 v24, 0xff, v24
	v_lshrrev_b32_e32 v24, s43, v24
	s_delay_alu instid0(VALU_DEP_1) | instskip(NEXT) | instid1(VALU_DEP_1)
	v_and_b32_e32 v24, s48, v24
	v_lshl_or_b32 v24, v24, 4, v84
	ds_add_u32 v24, v7
	s_or_b32 exec_lo, exec_lo, s11
	s_delay_alu instid0(SALU_CYCLE_1)
	s_mov_b32 s11, exec_lo
	v_cmpx_gt_u32_e64 s10, v72
	s_cbranch_execz .LBB84_355
.LBB84_371:                             ;   in Loop: Header=BB84_326 Depth=2
	v_xor_b32_e32 v24, -1, v36
	s_delay_alu instid0(VALU_DEP_1) | instskip(NEXT) | instid1(VALU_DEP_1)
	v_and_b32_e32 v24, 0xff, v24
	v_lshrrev_b32_e32 v24, s43, v24
	s_delay_alu instid0(VALU_DEP_1) | instskip(NEXT) | instid1(VALU_DEP_1)
	v_and_b32_e32 v24, s48, v24
	v_lshl_or_b32 v24, v24, 4, v84
	ds_add_u32 v24, v7
	s_or_b32 exec_lo, exec_lo, s11
	s_delay_alu instid0(SALU_CYCLE_1)
	s_mov_b32 s11, exec_lo
	v_cmpx_gt_u32_e64 s10, v73
	s_cbranch_execz .LBB84_356
.LBB84_372:                             ;   in Loop: Header=BB84_326 Depth=2
	v_xor_b32_e32 v24, -1, v35
	s_delay_alu instid0(VALU_DEP_1) | instskip(NEXT) | instid1(VALU_DEP_1)
	v_and_b32_e32 v24, 0xff, v24
	v_lshrrev_b32_e32 v24, s43, v24
	s_delay_alu instid0(VALU_DEP_1) | instskip(NEXT) | instid1(VALU_DEP_1)
	v_and_b32_e32 v24, s48, v24
	v_lshl_or_b32 v24, v24, 4, v84
	ds_add_u32 v24, v7
	s_or_b32 exec_lo, exec_lo, s11
	s_delay_alu instid0(SALU_CYCLE_1)
	s_mov_b32 s11, exec_lo
	v_cmpx_gt_u32_e64 s10, v74
	s_cbranch_execz .LBB84_357
.LBB84_373:                             ;   in Loop: Header=BB84_326 Depth=2
	v_xor_b32_e32 v24, -1, v34
	s_delay_alu instid0(VALU_DEP_1) | instskip(NEXT) | instid1(VALU_DEP_1)
	v_and_b32_e32 v24, 0xff, v24
	v_lshrrev_b32_e32 v24, s43, v24
	s_delay_alu instid0(VALU_DEP_1) | instskip(NEXT) | instid1(VALU_DEP_1)
	v_and_b32_e32 v24, s48, v24
	v_lshl_or_b32 v24, v24, 4, v84
	ds_add_u32 v24, v7
	s_or_b32 exec_lo, exec_lo, s11
	s_delay_alu instid0(SALU_CYCLE_1)
	s_mov_b32 s11, exec_lo
	v_cmpx_gt_u32_e64 s10, v75
	s_cbranch_execz .LBB84_358
.LBB84_374:                             ;   in Loop: Header=BB84_326 Depth=2
	v_xor_b32_e32 v24, -1, v33
	s_delay_alu instid0(VALU_DEP_1) | instskip(NEXT) | instid1(VALU_DEP_1)
	v_and_b32_e32 v24, 0xff, v24
	v_lshrrev_b32_e32 v24, s43, v24
	s_delay_alu instid0(VALU_DEP_1) | instskip(NEXT) | instid1(VALU_DEP_1)
	v_and_b32_e32 v24, s48, v24
	v_lshl_or_b32 v24, v24, 4, v84
	ds_add_u32 v24, v7
	s_or_b32 exec_lo, exec_lo, s11
	s_delay_alu instid0(SALU_CYCLE_1)
	s_mov_b32 s11, exec_lo
	v_cmpx_gt_u32_e64 s10, v76
	s_cbranch_execz .LBB84_359
.LBB84_375:                             ;   in Loop: Header=BB84_326 Depth=2
	v_xor_b32_e32 v24, -1, v32
	s_delay_alu instid0(VALU_DEP_1) | instskip(NEXT) | instid1(VALU_DEP_1)
	v_and_b32_e32 v24, 0xff, v24
	v_lshrrev_b32_e32 v24, s43, v24
	s_delay_alu instid0(VALU_DEP_1) | instskip(NEXT) | instid1(VALU_DEP_1)
	v_and_b32_e32 v24, s48, v24
	v_lshl_or_b32 v24, v24, 4, v84
	ds_add_u32 v24, v7
	s_or_b32 exec_lo, exec_lo, s11
	s_delay_alu instid0(SALU_CYCLE_1)
	s_mov_b32 s11, exec_lo
	v_cmpx_gt_u32_e64 s10, v77
	s_cbranch_execz .LBB84_360
.LBB84_376:                             ;   in Loop: Header=BB84_326 Depth=2
	v_xor_b32_e32 v24, -1, v31
	s_delay_alu instid0(VALU_DEP_1) | instskip(NEXT) | instid1(VALU_DEP_1)
	v_and_b32_e32 v24, 0xff, v24
	v_lshrrev_b32_e32 v24, s43, v24
	s_delay_alu instid0(VALU_DEP_1) | instskip(NEXT) | instid1(VALU_DEP_1)
	v_and_b32_e32 v24, s48, v24
	v_lshl_or_b32 v24, v24, 4, v84
	ds_add_u32 v24, v7
	s_or_b32 exec_lo, exec_lo, s11
	s_delay_alu instid0(SALU_CYCLE_1)
	s_mov_b32 s11, exec_lo
	v_cmpx_gt_u32_e64 s10, v78
	s_cbranch_execz .LBB84_361
.LBB84_377:                             ;   in Loop: Header=BB84_326 Depth=2
	v_xor_b32_e32 v24, -1, v30
	s_delay_alu instid0(VALU_DEP_1) | instskip(NEXT) | instid1(VALU_DEP_1)
	v_and_b32_e32 v24, 0xff, v24
	v_lshrrev_b32_e32 v24, s43, v24
	s_delay_alu instid0(VALU_DEP_1) | instskip(NEXT) | instid1(VALU_DEP_1)
	v_and_b32_e32 v24, s48, v24
	v_lshl_or_b32 v24, v24, 4, v84
	ds_add_u32 v24, v7
	s_or_b32 exec_lo, exec_lo, s11
	s_delay_alu instid0(SALU_CYCLE_1)
	s_mov_b32 s11, exec_lo
	v_cmpx_gt_u32_e64 s10, v79
	s_cbranch_execz .LBB84_362
.LBB84_378:                             ;   in Loop: Header=BB84_326 Depth=2
	v_xor_b32_e32 v24, -1, v29
	s_delay_alu instid0(VALU_DEP_1) | instskip(NEXT) | instid1(VALU_DEP_1)
	v_and_b32_e32 v24, 0xff, v24
	v_lshrrev_b32_e32 v24, s43, v24
	s_delay_alu instid0(VALU_DEP_1) | instskip(NEXT) | instid1(VALU_DEP_1)
	v_and_b32_e32 v24, s48, v24
	v_lshl_or_b32 v24, v24, 4, v84
	ds_add_u32 v24, v7
	s_or_b32 exec_lo, exec_lo, s11
	s_delay_alu instid0(SALU_CYCLE_1)
	s_mov_b32 s11, exec_lo
	v_cmpx_gt_u32_e64 s10, v80
	s_cbranch_execz .LBB84_363
.LBB84_379:                             ;   in Loop: Header=BB84_326 Depth=2
	v_xor_b32_e32 v24, -1, v28
	s_delay_alu instid0(VALU_DEP_1) | instskip(NEXT) | instid1(VALU_DEP_1)
	v_and_b32_e32 v24, 0xff, v24
	v_lshrrev_b32_e32 v24, s43, v24
	s_delay_alu instid0(VALU_DEP_1) | instskip(NEXT) | instid1(VALU_DEP_1)
	v_and_b32_e32 v24, s48, v24
	v_lshl_or_b32 v24, v24, 4, v84
	ds_add_u32 v24, v7
	s_or_b32 exec_lo, exec_lo, s11
	s_delay_alu instid0(SALU_CYCLE_1)
	s_mov_b32 s11, exec_lo
	v_cmpx_gt_u32_e64 s10, v81
	s_cbranch_execz .LBB84_364
.LBB84_380:                             ;   in Loop: Header=BB84_326 Depth=2
	v_xor_b32_e32 v24, -1, v27
	s_delay_alu instid0(VALU_DEP_1) | instskip(NEXT) | instid1(VALU_DEP_1)
	v_and_b32_e32 v24, 0xff, v24
	v_lshrrev_b32_e32 v24, s43, v24
	s_delay_alu instid0(VALU_DEP_1) | instskip(NEXT) | instid1(VALU_DEP_1)
	v_and_b32_e32 v24, s48, v24
	v_lshl_or_b32 v24, v24, 4, v84
	ds_add_u32 v24, v7
	s_or_b32 exec_lo, exec_lo, s11
	v_cmp_gt_u32_e32 vcc_lo, s10, v82
	s_and_saveexec_b32 s10, vcc_lo
	s_cbranch_execz .LBB84_325
.LBB84_381:                             ;   in Loop: Header=BB84_326 Depth=2
	v_xor_b32_e32 v24, -1, v26
	s_delay_alu instid0(VALU_DEP_1) | instskip(NEXT) | instid1(VALU_DEP_1)
	v_and_b32_e32 v24, 0xff, v24
	v_lshrrev_b32_e32 v24, s43, v24
	s_delay_alu instid0(VALU_DEP_1) | instskip(NEXT) | instid1(VALU_DEP_1)
	v_and_b32_e32 v24, s48, v24
	v_lshl_or_b32 v24, v24, 4, v84
	ds_add_u32 v24, v7
	s_branch .LBB84_325
.LBB84_382:                             ;   in Loop: Header=BB84_326 Depth=2
	global_load_u8 v39, v[24:25], off
	s_wait_xcnt 0x0
	s_or_b32 exec_lo, exec_lo, s10
	s_delay_alu instid0(SALU_CYCLE_1)
	s_mov_b32 s10, exec_lo
	v_cmpx_gt_u32_e64 s8, v67
	s_cbranch_execz .LBB84_331
.LBB84_383:                             ;   in Loop: Header=BB84_326 Depth=2
	global_load_u8 v42, v[24:25], off offset:256
	s_wait_xcnt 0x0
	s_or_b32 exec_lo, exec_lo, s10
	s_delay_alu instid0(SALU_CYCLE_1)
	s_mov_b32 s10, exec_lo
	v_cmpx_gt_u32_e64 s8, v68
	s_cbranch_execz .LBB84_332
.LBB84_384:                             ;   in Loop: Header=BB84_326 Depth=2
	global_load_u8 v41, v[24:25], off offset:512
	s_wait_xcnt 0x0
	s_or_b32 exec_lo, exec_lo, s10
	s_delay_alu instid0(SALU_CYCLE_1)
	s_mov_b32 s10, exec_lo
	v_cmpx_gt_u32_e64 s8, v69
	s_cbranch_execz .LBB84_333
.LBB84_385:                             ;   in Loop: Header=BB84_326 Depth=2
	global_load_u8 v40, v[24:25], off offset:768
	s_wait_xcnt 0x0
	s_or_b32 exec_lo, exec_lo, s10
	s_delay_alu instid0(SALU_CYCLE_1)
	s_mov_b32 s10, exec_lo
	v_cmpx_gt_u32_e64 s8, v70
	s_cbranch_execz .LBB84_334
.LBB84_386:                             ;   in Loop: Header=BB84_326 Depth=2
	global_load_u8 v38, v[24:25], off offset:1024
	s_wait_xcnt 0x0
	s_or_b32 exec_lo, exec_lo, s10
	s_delay_alu instid0(SALU_CYCLE_1)
	s_mov_b32 s10, exec_lo
	v_cmpx_gt_u32_e64 s8, v71
	s_cbranch_execz .LBB84_335
.LBB84_387:                             ;   in Loop: Header=BB84_326 Depth=2
	global_load_u8 v37, v[24:25], off offset:1280
	s_wait_xcnt 0x0
	s_or_b32 exec_lo, exec_lo, s10
	s_delay_alu instid0(SALU_CYCLE_1)
	s_mov_b32 s10, exec_lo
	v_cmpx_gt_u32_e64 s8, v72
	s_cbranch_execz .LBB84_336
.LBB84_388:                             ;   in Loop: Header=BB84_326 Depth=2
	global_load_u8 v36, v[24:25], off offset:1536
	s_wait_xcnt 0x0
	s_or_b32 exec_lo, exec_lo, s10
	s_delay_alu instid0(SALU_CYCLE_1)
	s_mov_b32 s10, exec_lo
	v_cmpx_gt_u32_e64 s8, v73
	s_cbranch_execz .LBB84_337
.LBB84_389:                             ;   in Loop: Header=BB84_326 Depth=2
	global_load_u8 v35, v[24:25], off offset:1792
	s_wait_xcnt 0x0
	s_or_b32 exec_lo, exec_lo, s10
	s_delay_alu instid0(SALU_CYCLE_1)
	s_mov_b32 s10, exec_lo
	v_cmpx_gt_u32_e64 s8, v74
	s_cbranch_execz .LBB84_338
.LBB84_390:                             ;   in Loop: Header=BB84_326 Depth=2
	global_load_u8 v34, v[24:25], off offset:2048
	s_wait_xcnt 0x0
	s_or_b32 exec_lo, exec_lo, s10
	s_delay_alu instid0(SALU_CYCLE_1)
	s_mov_b32 s10, exec_lo
	v_cmpx_gt_u32_e64 s8, v75
	s_cbranch_execz .LBB84_339
.LBB84_391:                             ;   in Loop: Header=BB84_326 Depth=2
	global_load_u8 v33, v[24:25], off offset:2304
	s_wait_xcnt 0x0
	s_or_b32 exec_lo, exec_lo, s10
	s_delay_alu instid0(SALU_CYCLE_1)
	s_mov_b32 s10, exec_lo
	v_cmpx_gt_u32_e64 s8, v76
	s_cbranch_execz .LBB84_340
.LBB84_392:                             ;   in Loop: Header=BB84_326 Depth=2
	global_load_u8 v32, v[24:25], off offset:2560
	s_wait_xcnt 0x0
	s_or_b32 exec_lo, exec_lo, s10
	s_delay_alu instid0(SALU_CYCLE_1)
	s_mov_b32 s10, exec_lo
	v_cmpx_gt_u32_e64 s8, v77
	s_cbranch_execz .LBB84_341
.LBB84_393:                             ;   in Loop: Header=BB84_326 Depth=2
	global_load_u8 v31, v[24:25], off offset:2816
	s_wait_xcnt 0x0
	s_or_b32 exec_lo, exec_lo, s10
	s_delay_alu instid0(SALU_CYCLE_1)
	s_mov_b32 s10, exec_lo
	v_cmpx_gt_u32_e64 s8, v78
	s_cbranch_execz .LBB84_342
.LBB84_394:                             ;   in Loop: Header=BB84_326 Depth=2
	global_load_u8 v30, v[24:25], off offset:3072
	s_wait_xcnt 0x0
	s_or_b32 exec_lo, exec_lo, s10
	s_delay_alu instid0(SALU_CYCLE_1)
	s_mov_b32 s10, exec_lo
	v_cmpx_gt_u32_e64 s8, v79
	s_cbranch_execz .LBB84_343
.LBB84_395:                             ;   in Loop: Header=BB84_326 Depth=2
	global_load_u8 v29, v[24:25], off offset:3328
	s_wait_xcnt 0x0
	s_or_b32 exec_lo, exec_lo, s10
	s_delay_alu instid0(SALU_CYCLE_1)
	s_mov_b32 s10, exec_lo
	v_cmpx_gt_u32_e64 s8, v80
	s_cbranch_execz .LBB84_344
.LBB84_396:                             ;   in Loop: Header=BB84_326 Depth=2
	global_load_u8 v28, v[24:25], off offset:3584
	s_wait_xcnt 0x0
	s_or_b32 exec_lo, exec_lo, s10
	s_delay_alu instid0(SALU_CYCLE_1)
	s_mov_b32 s10, exec_lo
	v_cmpx_gt_u32_e64 s8, v81
	s_cbranch_execz .LBB84_345
.LBB84_397:                             ;   in Loop: Header=BB84_326 Depth=2
	global_load_u8 v27, v[24:25], off offset:3840
	s_wait_xcnt 0x0
	s_or_b32 exec_lo, exec_lo, s10
	s_delay_alu instid0(SALU_CYCLE_1)
	s_mov_b32 s10, exec_lo
	v_cmpx_gt_u32_e64 s8, v82
	s_cbranch_execnz .LBB84_346
	s_branch .LBB84_347
.LBB84_398:                             ;   in Loop: Header=BB84_12 Depth=1
	v_mov_b32_e32 v24, 0
	s_wait_dscnt 0x0
	s_barrier_signal -1
	s_barrier_wait -1
	s_and_saveexec_b32 s8, s0
	s_cbranch_execz .LBB84_400
; %bb.399:                              ;   in Loop: Header=BB84_12 Depth=1
	ds_load_2addr_b64 v[24:27], v85 offset1:1
	s_wait_dscnt 0x0
	v_add_nc_u32_e32 v24, v25, v24
	s_delay_alu instid0(VALU_DEP_1)
	v_add3_u32 v24, v24, v26, v27
.LBB84_400:                             ;   in Loop: Header=BB84_12 Depth=1
	s_or_b32 exec_lo, exec_lo, s8
	v_and_b32_e32 v25, 15, v0
	s_delay_alu instid0(VALU_DEP_2) | instskip(SKIP_1) | instid1(VALU_DEP_3)
	v_mov_b32_dpp v26, v24 row_shr:1 row_mask:0xf bank_mask:0xf
	v_and_b32_e32 v27, 16, v0
	v_cmp_eq_u32_e64 s8, 0, v25
	v_cmp_lt_u32_e64 s9, 1, v25
	s_delay_alu instid0(VALU_DEP_3) | instskip(NEXT) | instid1(VALU_DEP_3)
	v_cmp_eq_u32_e64 s12, 0, v27
	v_cndmask_b32_e64 v26, v26, 0, s8
	s_delay_alu instid0(VALU_DEP_1) | instskip(NEXT) | instid1(VALU_DEP_1)
	v_add_nc_u32_e32 v24, v26, v24
	v_mov_b32_dpp v26, v24 row_shr:2 row_mask:0xf bank_mask:0xf
	s_delay_alu instid0(VALU_DEP_1) | instskip(SKIP_2) | instid1(VALU_DEP_3)
	v_cndmask_b32_e64 v26, 0, v26, s9
	v_cmp_lt_u32_e64 s11, 7, v25
	v_cmp_lt_u32_e64 s10, 3, v25
	v_add_nc_u32_e32 v24, v24, v26
	s_delay_alu instid0(VALU_DEP_1) | instskip(NEXT) | instid1(VALU_DEP_1)
	v_mov_b32_dpp v26, v24 row_shr:4 row_mask:0xf bank_mask:0xf
	v_cndmask_b32_e64 v26, 0, v26, s10
	s_delay_alu instid0(VALU_DEP_1) | instskip(NEXT) | instid1(VALU_DEP_1)
	v_add_nc_u32_e32 v24, v24, v26
	v_mov_b32_dpp v26, v24 row_shr:8 row_mask:0xf bank_mask:0xf
	s_delay_alu instid0(VALU_DEP_1) | instskip(SKIP_1) | instid1(VALU_DEP_2)
	v_cndmask_b32_e64 v25, 0, v26, s11
	v_bfe_i32 v26, v0, 4, 1
	v_add_nc_u32_e32 v24, v24, v25
	ds_swizzle_b32 v25, v24 offset:swizzle(BROADCAST,32,15)
	s_wait_dscnt 0x0
	v_and_b32_e32 v25, v26, v25
	s_delay_alu instid0(VALU_DEP_1)
	v_add_nc_u32_e32 v24, v24, v25
	s_and_saveexec_b32 s13, s1
; %bb.401:                              ;   in Loop: Header=BB84_12 Depth=1
	ds_store_b32 v86, v24
; %bb.402:                              ;   in Loop: Header=BB84_12 Depth=1
	s_or_b32 exec_lo, exec_lo, s13
	s_wait_dscnt 0x0
	s_barrier_signal -1
	s_barrier_wait -1
	s_and_saveexec_b32 s13, s4
	s_cbranch_execz .LBB84_404
; %bb.403:                              ;   in Loop: Header=BB84_12 Depth=1
	ds_load_b32 v25, v87
	s_wait_dscnt 0x0
	v_mov_b32_dpp v27, v25 row_shr:1 row_mask:0xf bank_mask:0xf
	v_and_b32_e32 v26, 3, v0
	s_delay_alu instid0(VALU_DEP_1) | instskip(NEXT) | instid1(VALU_DEP_3)
	v_cmp_ne_u32_e32 vcc_lo, 0, v26
	v_cndmask_b32_e32 v27, 0, v27, vcc_lo
	v_cmp_lt_u32_e32 vcc_lo, 1, v26
	s_delay_alu instid0(VALU_DEP_2) | instskip(NEXT) | instid1(VALU_DEP_1)
	v_add_nc_u32_e32 v25, v27, v25
	v_mov_b32_dpp v27, v25 row_shr:2 row_mask:0xf bank_mask:0xf
	s_delay_alu instid0(VALU_DEP_1) | instskip(NEXT) | instid1(VALU_DEP_1)
	v_cndmask_b32_e32 v26, 0, v27, vcc_lo
	v_add_nc_u32_e32 v25, v25, v26
	ds_store_b32 v87, v25
.LBB84_404:                             ;   in Loop: Header=BB84_12 Depth=1
	s_or_b32 exec_lo, exec_lo, s13
	v_mov_b32_e32 v25, 0
	s_wait_dscnt 0x0
	s_barrier_signal -1
	s_barrier_wait -1
	s_and_saveexec_b32 s13, s5
; %bb.405:                              ;   in Loop: Header=BB84_12 Depth=1
	ds_load_b32 v25, v88
; %bb.406:                              ;   in Loop: Header=BB84_12 Depth=1
	s_or_b32 exec_lo, exec_lo, s13
	v_sub_co_u32 v26, s13, v0, 1
	s_wait_dscnt 0x0
	s_barrier_signal -1
	s_barrier_wait -1
	s_delay_alu instid0(VALU_DEP_1) | instskip(SKIP_1) | instid1(VALU_DEP_1)
	v_cmp_gt_i32_e32 vcc_lo, 0, v26
	v_cndmask_b32_e32 v26, v26, v0, vcc_lo
	v_dual_add_nc_u32 v24, v25, v24 :: v_dual_lshlrev_b32 v96, 2, v26
	ds_bpermute_b32 v24, v96, v24
	s_and_saveexec_b32 s14, s0
	s_cbranch_execz .LBB84_408
; %bb.407:                              ;   in Loop: Header=BB84_12 Depth=1
	s_wait_dscnt 0x0
	v_cndmask_b32_e64 v24, v24, v25, s13
	s_delay_alu instid0(VALU_DEP_1)
	v_add_nc_u32_e32 v24, s55, v24
	ds_store_b32 v66, v24
.LBB84_408:                             ;   in Loop: Header=BB84_12 Depth=1
	s_or_b32 exec_lo, exec_lo, s14
	s_load_b64 s[14:15], s[52:53], 0x0
	v_dual_lshlrev_b32 v26, 3, v0 :: v_dual_bitop2_b32 v28, 7, v0 bitop3:0x40
	v_dual_mov_b32 v27, v1 :: v_dual_bitop2_b32 v97, v0, v6 bitop3:0x54
	s_wait_dscnt 0x0
	v_add_nc_u64_e32 v[24:25], v[16:17], v[0:1]
	v_mov_b32_e32 v121, 0
	s_mov_b32 s58, s57
	v_add_nc_u64_e32 v[26:27], v[14:15], v[26:27]
	v_dual_add_nc_u32 v98, 32, v97 :: v_dual_add_nc_u32 v99, 64, v97
	v_add_nc_u32_e32 v100, 0x60, v97
	v_add_nc_u32_e32 v101, 0x80, v97
	;; [unrolled: 1-line block ×9, first 2 shown]
	s_wait_kmcnt 0x0
	s_cmp_lt_u32 s51, s14
	v_add_nc_u32_e32 v109, 0x180, v97
	s_cselect_b32 s34, 12, 18
	s_cmp_lt_u32 s42, s15
	s_mov_b32 s15, s35
	s_cselect_b32 s14, 14, 20
	v_add_nc_u32_e32 v110, 0x1a0, v97
	s_add_nc_u64 s[14:15], s[52:53], s[14:15]
	v_add_nc_u32_e32 v111, 0x1c0, v97
	s_load_u16 s16, s[14:15], 0x0
	s_wait_xcnt 0x0
	s_add_nc_u64 s[14:15], s[52:53], s[34:35]
	v_add_nc_u32_e32 v112, 0x1e0, v97
	s_load_u16 s17, s[14:15], 0x0
	s_wait_xcnt 0x0
	v_cmp_eq_u32_e64 s14, 0, v28
	v_cmp_lt_u32_e64 s15, 1, v28
	v_add_nc_u32_e32 v113, 0x200, v97
	s_mov_b32 s34, s55
                                        ; implicit-def: $vgpr30_vgpr31
                                        ; implicit-def: $vgpr32_vgpr33
                                        ; implicit-def: $vgpr34_vgpr35
                                        ; implicit-def: $vgpr36_vgpr37
                                        ; implicit-def: $vgpr38_vgpr39
                                        ; implicit-def: $vgpr40_vgpr41
                                        ; implicit-def: $vgpr42_vgpr43
                                        ; implicit-def: $vgpr44_vgpr45
                                        ; implicit-def: $vgpr46_vgpr47
                                        ; implicit-def: $vgpr48_vgpr49
                                        ; implicit-def: $vgpr50_vgpr51
                                        ; implicit-def: $vgpr52_vgpr53
                                        ; implicit-def: $vgpr54_vgpr55
                                        ; implicit-def: $vgpr56_vgpr57
                                        ; implicit-def: $vgpr58_vgpr59
                                        ; implicit-def: $vgpr60_vgpr61
                                        ; implicit-def: $vgpr115
                                        ; implicit-def: $vgpr116
                                        ; implicit-def: $vgpr117
                                        ; implicit-def: $vgpr118
                                        ; implicit-def: $vgpr119
                                        ; implicit-def: $vgpr120
                                        ; implicit-def: $vgpr122
                                        ; implicit-def: $vgpr123
                                        ; implicit-def: $vgpr124
                                        ; implicit-def: $vgpr125
                                        ; implicit-def: $vgpr126
                                        ; implicit-def: $vgpr127
                                        ; implicit-def: $vgpr128
                                        ; implicit-def: $vgpr129
                                        ; implicit-def: $vgpr130
                                        ; implicit-def: $vgpr131
                                        ; implicit-def: $vgpr132
                                        ; implicit-def: $vgpr133
                                        ; implicit-def: $vgpr134
	s_wait_kmcnt 0x0
	v_mad_u32_u24 v29, v89, s16, v91
	v_cmp_lt_u32_e64 s16, 3, v28
	s_delay_alu instid0(VALU_DEP_2) | instskip(NEXT) | instid1(VALU_DEP_1)
	v_mad_u32 v28, v29, s17, v2
	v_lshrrev_b32_e32 v28, 3, v28
	s_delay_alu instid0(VALU_DEP_1)
	v_and_b32_e32 v114, 0x1ffffffc, v28
                                        ; implicit-def: $vgpr28_vgpr29
	s_branch .LBB84_410
.LBB84_409:                             ;   in Loop: Header=BB84_410 Depth=2
	s_or_b32 exec_lo, exec_lo, s17
	s_addk_co_i32 s58, 0xef00
	s_cmp_lt_u32 s59, s54
	s_mov_b32 s34, s59
	s_cbranch_scc0 .LBB84_632
.LBB84_410:                             ;   Parent Loop BB84_12 Depth=1
                                        ; =>  This Inner Loop Header: Depth=2
	s_add_co_i32 s59, s34, 0x1100
	s_delay_alu instid0(SALU_CYCLE_1)
	s_cmp_gt_u32 s59, s54
	s_cbranch_scc1 .LBB84_412
; %bb.411:                              ;   in Loop: Header=BB84_410 Depth=2
	v_add_nc_u64_e32 v[62:63], s[34:35], v[24:25]
	s_mov_b32 s17, -1
	s_clause 0xf
	global_load_u8 v136, v[62:63], off offset:480
	global_load_u8 v65, v[62:63], off offset:448
	;; [unrolled: 1-line block ×15, first 2 shown]
	global_load_u8 v147, v[62:63], off
	s_movk_i32 s18, 0x1100
	s_cbranch_execz .LBB84_413
	s_branch .LBB84_432
.LBB84_412:                             ;   in Loop: Header=BB84_410 Depth=2
	s_mov_b32 s17, 0
                                        ; implicit-def: $vgpr147
                                        ; implicit-def: $vgpr151
                                        ; implicit-def: $vgpr148
                                        ; implicit-def: $vgpr150
                                        ; implicit-def: $vgpr142
                                        ; implicit-def: $vgpr144
                                        ; implicit-def: $vgpr143
                                        ; implicit-def: $vgpr145
                                        ; implicit-def: $vgpr138
                                        ; implicit-def: $vgpr140
                                        ; implicit-def: $vgpr139
                                        ; implicit-def: $vgpr141
                                        ; implicit-def: $vgpr64
                                        ; implicit-def: $vgpr135
                                        ; implicit-def: $vgpr65
                                        ; implicit-def: $vgpr136
                                        ; implicit-def: $vgpr121
	s_movk_i32 s18, 0x1100
.LBB84_413:                             ;   in Loop: Header=BB84_410 Depth=2
	s_wait_xcnt 0x0
	v_add_nc_u64_e32 v[62:63], s[34:35], v[24:25]
	s_wait_loadcnt 0x0
	v_dual_mov_b32 v148, 0 :: v_dual_mov_b32 v147, 0
	v_dual_mov_b32 v150, 0 :: v_dual_mov_b32 v142, 0
	;; [unrolled: 1-line block ×8, first 2 shown]
	s_mov_b32 s17, exec_lo
	v_cmpx_gt_u32_e64 s58, v97
	s_cbranch_execz .LBB84_415
; %bb.414:                              ;   in Loop: Header=BB84_410 Depth=2
	global_load_u8 v147, v[62:63], off
	v_dual_mov_b32 v150, 0 :: v_dual_mov_b32 v142, 0
	v_dual_mov_b32 v144, 0 :: v_dual_mov_b32 v143, 0
	;; [unrolled: 1-line block ×7, first 2 shown]
.LBB84_415:                             ;   in Loop: Header=BB84_410 Depth=2
	s_wait_xcnt 0x0
	s_or_b32 exec_lo, exec_lo, s17
	v_mov_b32_e32 v151, v148
	s_mov_b32 s17, exec_lo
	v_cmpx_gt_u32_e64 s58, v98
	s_cbranch_execnz .LBB84_618
; %bb.416:                              ;   in Loop: Header=BB84_410 Depth=2
	s_or_b32 exec_lo, exec_lo, s17
	s_delay_alu instid0(SALU_CYCLE_1)
	s_mov_b32 s17, exec_lo
	v_cmpx_gt_u32_e64 s58, v99
	s_cbranch_execnz .LBB84_619
.LBB84_417:                             ;   in Loop: Header=BB84_410 Depth=2
	s_or_b32 exec_lo, exec_lo, s17
	s_delay_alu instid0(SALU_CYCLE_1)
	s_mov_b32 s17, exec_lo
	v_cmpx_gt_u32_e64 s58, v100
	s_cbranch_execnz .LBB84_620
.LBB84_418:                             ;   in Loop: Header=BB84_410 Depth=2
	s_or_b32 exec_lo, exec_lo, s17
	s_delay_alu instid0(SALU_CYCLE_1)
	s_mov_b32 s17, exec_lo
	v_cmpx_gt_u32_e64 s58, v101
	s_cbranch_execnz .LBB84_621
.LBB84_419:                             ;   in Loop: Header=BB84_410 Depth=2
	s_or_b32 exec_lo, exec_lo, s17
	s_delay_alu instid0(SALU_CYCLE_1)
	s_mov_b32 s17, exec_lo
	v_cmpx_gt_u32_e64 s58, v102
	s_cbranch_execnz .LBB84_622
.LBB84_420:                             ;   in Loop: Header=BB84_410 Depth=2
	s_or_b32 exec_lo, exec_lo, s17
	s_delay_alu instid0(SALU_CYCLE_1)
	s_mov_b32 s17, exec_lo
	v_cmpx_gt_u32_e64 s58, v103
	s_cbranch_execnz .LBB84_623
.LBB84_421:                             ;   in Loop: Header=BB84_410 Depth=2
	s_or_b32 exec_lo, exec_lo, s17
	s_delay_alu instid0(SALU_CYCLE_1)
	s_mov_b32 s17, exec_lo
	v_cmpx_gt_u32_e64 s58, v104
	s_cbranch_execnz .LBB84_624
.LBB84_422:                             ;   in Loop: Header=BB84_410 Depth=2
	s_or_b32 exec_lo, exec_lo, s17
	s_delay_alu instid0(SALU_CYCLE_1)
	s_mov_b32 s17, exec_lo
	v_cmpx_gt_u32_e64 s58, v105
	s_cbranch_execnz .LBB84_625
.LBB84_423:                             ;   in Loop: Header=BB84_410 Depth=2
	s_or_b32 exec_lo, exec_lo, s17
	s_delay_alu instid0(SALU_CYCLE_1)
	s_mov_b32 s17, exec_lo
	v_cmpx_gt_u32_e64 s58, v106
	s_cbranch_execnz .LBB84_626
.LBB84_424:                             ;   in Loop: Header=BB84_410 Depth=2
	s_or_b32 exec_lo, exec_lo, s17
	s_delay_alu instid0(SALU_CYCLE_1)
	s_mov_b32 s17, exec_lo
	v_cmpx_gt_u32_e64 s58, v107
	s_cbranch_execnz .LBB84_627
.LBB84_425:                             ;   in Loop: Header=BB84_410 Depth=2
	s_or_b32 exec_lo, exec_lo, s17
	s_delay_alu instid0(SALU_CYCLE_1)
	s_mov_b32 s17, exec_lo
	v_cmpx_gt_u32_e64 s58, v108
	s_cbranch_execnz .LBB84_628
.LBB84_426:                             ;   in Loop: Header=BB84_410 Depth=2
	s_or_b32 exec_lo, exec_lo, s17
	s_delay_alu instid0(SALU_CYCLE_1)
	s_mov_b32 s17, exec_lo
	v_cmpx_gt_u32_e64 s58, v109
	s_cbranch_execnz .LBB84_629
.LBB84_427:                             ;   in Loop: Header=BB84_410 Depth=2
	s_or_b32 exec_lo, exec_lo, s17
	s_delay_alu instid0(SALU_CYCLE_1)
	s_mov_b32 s17, exec_lo
	v_cmpx_gt_u32_e64 s58, v110
	s_cbranch_execnz .LBB84_630
.LBB84_428:                             ;   in Loop: Header=BB84_410 Depth=2
	s_or_b32 exec_lo, exec_lo, s17
	s_delay_alu instid0(SALU_CYCLE_1)
	s_mov_b32 s17, exec_lo
	v_cmpx_gt_u32_e64 s58, v111
	s_cbranch_execnz .LBB84_631
.LBB84_429:                             ;   in Loop: Header=BB84_410 Depth=2
	s_or_b32 exec_lo, exec_lo, s17
	s_delay_alu instid0(SALU_CYCLE_1)
	s_mov_b32 s17, exec_lo
	v_cmpx_gt_u32_e64 s58, v112
	s_cbranch_execz .LBB84_431
.LBB84_430:                             ;   in Loop: Header=BB84_410 Depth=2
	global_load_u8 v136, v[62:63], off offset:480
.LBB84_431:                             ;   in Loop: Header=BB84_410 Depth=2
	s_wait_xcnt 0x0
	s_or_b32 exec_lo, exec_lo, s17
	v_cmp_gt_u32_e64 s17, s58, v113
	s_sub_co_i32 s18, s54, s34
.LBB84_432:                             ;   in Loop: Header=BB84_410 Depth=2
	v_mov_b32_e32 v137, s58
	s_wait_xcnt 0x0
	s_and_saveexec_b32 s19, s17
	s_cbranch_execz .LBB84_434
; %bb.433:                              ;   in Loop: Header=BB84_410 Depth=2
	v_add_nc_u64_e32 v[62:63], s[34:35], v[24:25]
	v_mov_b32_e32 v137, s18
	global_load_u8 v121, v[62:63], off offset:512
.LBB84_434:                             ;   in Loop: Header=BB84_410 Depth=2
	s_wait_xcnt 0x0
	s_or_b32 exec_lo, exec_lo, s19
	s_wait_loadcnt 0x0
	v_bitop3_b16 v62, v147, 0xff, v147 bitop3:0xc
	ds_store_2addr_b32 v90, v1, v1 offset0:136 offset1:137
	ds_store_2addr_b32 v90, v1, v1 offset0:138 offset1:139
	ds_store_b32 v90, v1 offset:560
	s_wait_dscnt 0x0
	s_barrier_signal -1
	s_barrier_wait -1
	v_and_b32_e32 v62, 0xffff, v62
	; wave barrier
	s_delay_alu instid0(VALU_DEP_1) | instskip(NEXT) | instid1(VALU_DEP_1)
	v_lshrrev_b32_e32 v62, s43, v62
	v_and_b32_e32 v149, s48, v62
	s_delay_alu instid0(VALU_DEP_1) | instskip(SKIP_1) | instid1(VALU_DEP_1)
	v_lshlrev_b32_e32 v146, 30, v149
	v_bitop3_b32 v63, v62, 1, s48 bitop3:0x80
	v_add_co_u32 v62, s17, v63, -1
	s_delay_alu instid0(VALU_DEP_1) | instskip(NEXT) | instid1(VALU_DEP_4)
	v_cndmask_b32_e64 v63, 0, 1, s17
	v_cmp_gt_i32_e64 s17, 0, v146
	s_delay_alu instid0(VALU_DEP_2) | instskip(SKIP_2) | instid1(VALU_DEP_2)
	v_cmp_ne_u32_e32 vcc_lo, 0, v63
	v_not_b32_e32 v63, v146
	v_bitop3_b32 v62, vcc_lo, exec_lo, v62 bitop3:0x48
	v_dual_ashrrev_i32 v63, 31, v63 :: v_dual_lshlrev_b32 v152, 29, v149
	v_dual_lshlrev_b32 v153, 28, v149 :: v_dual_lshlrev_b32 v154, 27, v149
	v_lshlrev_b32_e32 v155, 26, v149
	s_delay_alu instid0(VALU_DEP_3)
	v_not_b32_e32 v146, v152
	v_lshlrev_b32_e32 v156, 25, v149
	v_cmp_gt_i32_e64 s18, 0, v152
	v_cmp_gt_i32_e64 s19, 0, v153
	v_not_b32_e32 v152, v153
	v_not_b32_e32 v153, v154
	v_ashrrev_i32_e32 v146, 31, v146
	v_cmp_gt_i32_e64 s20, 0, v154
	v_cmp_gt_i32_e64 s21, 0, v155
	v_not_b32_e32 v154, v155
	v_not_b32_e32 v155, v156
	v_dual_ashrrev_i32 v152, 31, v152 :: v_dual_ashrrev_i32 v153, 31, v153
	s_delay_alu instid0(VALU_DEP_3) | instskip(NEXT) | instid1(VALU_DEP_3)
	v_dual_ashrrev_i32 v154, 31, v154 :: v_dual_bitop2_b32 v63, s17, v63 bitop3:0x14
	v_dual_ashrrev_i32 v155, 31, v155 :: v_dual_bitop2_b32 v146, s18, v146 bitop3:0x14
	v_cmp_gt_i32_e64 s22, 0, v156
	s_delay_alu instid0(VALU_DEP_4) | instskip(SKIP_1) | instid1(VALU_DEP_4)
	v_xor_b32_e32 v152, s19, v152
	v_xor_b32_e32 v153, s20, v153
	v_bitop3_b32 v62, v62, v146, v63 bitop3:0x80
	v_xor_b32_e32 v63, s21, v154
	v_xor_b32_e32 v146, s22, v155
	s_delay_alu instid0(VALU_DEP_3) | instskip(NEXT) | instid1(VALU_DEP_1)
	v_bitop3_b32 v62, v62, v153, v152 bitop3:0x80
	v_bitop3_b32 v62, v62, v146, v63 bitop3:0x80
	v_mul_u32_u24_e32 v63, 36, v149
	s_delay_alu instid0(VALU_DEP_2) | instskip(SKIP_1) | instid1(VALU_DEP_3)
	v_mbcnt_lo_u32_b32 v146, v62, 0
	v_cmp_ne_u32_e64 s17, 0, v62
	v_add_nc_u32_e32 v149, v114, v63
	s_delay_alu instid0(VALU_DEP_3) | instskip(SKIP_1) | instid1(SALU_CYCLE_1)
	v_cmp_eq_u32_e32 vcc_lo, 0, v146
	s_and_b32 s18, s17, vcc_lo
	s_and_saveexec_b32 s17, s18
; %bb.435:                              ;   in Loop: Header=BB84_410 Depth=2
	v_bcnt_u32_b32 v62, v62, 0
	ds_store_b32 v149, v62 offset:544
; %bb.436:                              ;   in Loop: Header=BB84_410 Depth=2
	s_or_b32 exec_lo, exec_lo, s17
	v_xor_b32_e32 v62, -1, v151
	v_xor_b32_e32 v63, -1, v150
	; wave barrier
	s_delay_alu instid0(VALU_DEP_2) | instskip(NEXT) | instid1(VALU_DEP_2)
	v_lshlrev_b16 v62, 8, v62
	v_lshlrev_b16 v63, 8, v63
	s_delay_alu instid0(VALU_DEP_2) | instskip(NEXT) | instid1(VALU_DEP_2)
	v_bitop3_b16 v147, v147, v62, 0xff bitop3:0xce
	v_bitop3_b16 v62, v148, v63, 0xff bitop3:0xce
	s_delay_alu instid0(VALU_DEP_2) | instskip(NEXT) | instid1(VALU_DEP_2)
	v_and_b32_e32 v63, 0xffff, v147
	v_lshlrev_b32_e32 v62, 16, v62
	s_delay_alu instid0(VALU_DEP_1) | instskip(NEXT) | instid1(VALU_DEP_1)
	v_or_b32_e32 v148, v63, v62
	v_bfe_u32 v62, v148, 8, 8
	s_delay_alu instid0(VALU_DEP_1) | instskip(NEXT) | instid1(VALU_DEP_1)
	v_lshrrev_b32_e32 v62, s43, v62
	v_bitop3_b32 v63, v62, 1, s48 bitop3:0x80
	v_and_b32_e32 v152, s48, v62
	s_delay_alu instid0(VALU_DEP_2) | instskip(NEXT) | instid1(VALU_DEP_1)
	v_add_co_u32 v62, s17, v63, -1
	v_cndmask_b32_e64 v63, 0, 1, s17
	s_delay_alu instid0(VALU_DEP_3) | instskip(NEXT) | instid1(VALU_DEP_2)
	v_lshlrev_b32_e32 v150, 30, v152
	v_cmp_ne_u32_e32 vcc_lo, 0, v63
	s_delay_alu instid0(VALU_DEP_2) | instskip(SKIP_2) | instid1(VALU_DEP_3)
	v_not_b32_e32 v63, v150
	v_cmp_gt_i32_e64 s17, 0, v150
	v_bitop3_b32 v62, vcc_lo, exec_lo, v62 bitop3:0x48
	v_dual_ashrrev_i32 v63, 31, v63 :: v_dual_lshlrev_b32 v151, 29, v152
	v_dual_lshlrev_b32 v153, 28, v152 :: v_dual_lshlrev_b32 v154, 27, v152
	v_lshlrev_b32_e32 v155, 26, v152
	s_delay_alu instid0(VALU_DEP_3)
	v_not_b32_e32 v150, v151
	v_lshlrev_b32_e32 v156, 25, v152
	v_cmp_gt_i32_e64 s18, 0, v151
	v_cmp_gt_i32_e64 s19, 0, v153
	v_not_b32_e32 v151, v153
	v_ashrrev_i32_e32 v150, 31, v150
	v_cmp_gt_i32_e64 s20, 0, v154
	v_not_b32_e32 v153, v154
	v_cmp_gt_i32_e64 s21, 0, v155
	v_not_b32_e32 v154, v155
	v_not_b32_e32 v155, v156
	v_xor_b32_e32 v63, s17, v63
	v_dual_ashrrev_i32 v151, 31, v151 :: v_dual_bitop2_b32 v150, s18, v150 bitop3:0x14
	s_delay_alu instid0(VALU_DEP_4) | instskip(NEXT) | instid1(VALU_DEP_4)
	v_dual_ashrrev_i32 v153, 31, v153 :: v_dual_ashrrev_i32 v154, 31, v154
	v_ashrrev_i32_e32 v155, 31, v155
	s_delay_alu instid0(VALU_DEP_3)
	v_bitop3_b32 v62, v62, v150, v63 bitop3:0x80
	v_mad_u32_u24 v63, v152, 36, v114
	v_cmp_gt_i32_e64 s22, 0, v156
	v_xor_b32_e32 v151, s19, v151
	v_xor_b32_e32 v154, s21, v154
	ds_load_b32 v150, v63 offset:544
	v_mul_u32_u24_e32 v63, 36, v152
	v_xor_b32_e32 v153, s20, v153
	v_xor_b32_e32 v155, s22, v155
	; wave barrier
	s_delay_alu instid0(VALU_DEP_3) | instskip(NEXT) | instid1(VALU_DEP_3)
	v_add_nc_u32_e32 v152, v114, v63
	v_bitop3_b32 v62, v62, v153, v151 bitop3:0x80
	s_delay_alu instid0(VALU_DEP_1) | instskip(NEXT) | instid1(VALU_DEP_1)
	v_bitop3_b32 v62, v62, v155, v154 bitop3:0x80
	v_mbcnt_lo_u32_b32 v151, v62, 0
	v_cmp_ne_u32_e64 s17, 0, v62
	s_delay_alu instid0(VALU_DEP_2) | instskip(SKIP_1) | instid1(SALU_CYCLE_1)
	v_cmp_eq_u32_e32 vcc_lo, 0, v151
	s_and_b32 s18, s17, vcc_lo
	s_and_saveexec_b32 s17, s18
	s_cbranch_execz .LBB84_438
; %bb.437:                              ;   in Loop: Header=BB84_410 Depth=2
	s_wait_dscnt 0x0
	v_bcnt_u32_b32 v62, v62, v150
	ds_store_b32 v152, v62 offset:544
.LBB84_438:                             ;   in Loop: Header=BB84_410 Depth=2
	s_or_b32 exec_lo, exec_lo, s17
	v_bfe_u32 v62, v148, 16, 8
	; wave barrier
	s_delay_alu instid0(VALU_DEP_1) | instskip(NEXT) | instid1(VALU_DEP_1)
	v_lshrrev_b32_e32 v62, s43, v62
	v_and_b32_e32 v155, s48, v62
	s_delay_alu instid0(VALU_DEP_1) | instskip(SKIP_1) | instid1(VALU_DEP_1)
	v_lshlrev_b32_e32 v153, 30, v155
	v_bitop3_b32 v63, v62, 1, s48 bitop3:0x80
	v_add_co_u32 v62, s17, v63, -1
	s_delay_alu instid0(VALU_DEP_1) | instskip(NEXT) | instid1(VALU_DEP_4)
	v_cndmask_b32_e64 v63, 0, 1, s17
	v_cmp_gt_i32_e64 s17, 0, v153
	s_delay_alu instid0(VALU_DEP_2) | instskip(SKIP_2) | instid1(VALU_DEP_2)
	v_cmp_ne_u32_e32 vcc_lo, 0, v63
	v_not_b32_e32 v63, v153
	v_bitop3_b32 v62, vcc_lo, exec_lo, v62 bitop3:0x48
	v_ashrrev_i32_e32 v63, 31, v63
	v_dual_lshlrev_b32 v154, 29, v155 :: v_dual_lshlrev_b32 v156, 28, v155
	v_dual_lshlrev_b32 v157, 27, v155 :: v_dual_lshlrev_b32 v158, 26, v155
	s_delay_alu instid0(VALU_DEP_2)
	v_not_b32_e32 v153, v154
	v_lshlrev_b32_e32 v159, 25, v155
	v_cmp_gt_i32_e64 s18, 0, v154
	v_cmp_gt_i32_e64 s19, 0, v156
	v_not_b32_e32 v154, v156
	v_not_b32_e32 v156, v157
	v_ashrrev_i32_e32 v153, 31, v153
	v_cmp_gt_i32_e64 s20, 0, v157
	v_cmp_gt_i32_e64 s21, 0, v158
	v_not_b32_e32 v157, v158
	v_dual_ashrrev_i32 v154, 31, v154 :: v_dual_ashrrev_i32 v156, 31, v156
	v_xor_b32_e32 v63, s17, v63
	v_not_b32_e32 v158, v159
	v_xor_b32_e32 v153, s18, v153
	s_delay_alu instid0(VALU_DEP_4) | instskip(SKIP_2) | instid1(VALU_DEP_4)
	v_dual_ashrrev_i32 v157, 31, v157 :: v_dual_bitop2_b32 v154, s19, v154 bitop3:0x14
	v_xor_b32_e32 v156, s20, v156
	v_cmp_gt_i32_e32 vcc_lo, 0, v159
	v_bitop3_b32 v62, v62, v153, v63 bitop3:0x80
	v_ashrrev_i32_e32 v63, 31, v158
	v_mad_u32_u24 v153, v155, 36, v114
	v_xor_b32_e32 v157, s21, v157
	s_delay_alu instid0(VALU_DEP_4) | instskip(NEXT) | instid1(VALU_DEP_4)
	v_bitop3_b32 v62, v62, v156, v154 bitop3:0x80
	v_xor_b32_e32 v63, vcc_lo, v63
	ds_load_b32 v153, v153 offset:544
	; wave barrier
	v_bitop3_b32 v62, v62, v63, v157 bitop3:0x80
	v_mul_u32_u24_e32 v63, 36, v155
	s_delay_alu instid0(VALU_DEP_2) | instskip(SKIP_1) | instid1(VALU_DEP_3)
	v_mbcnt_lo_u32_b32 v154, v62, 0
	v_cmp_ne_u32_e64 s17, 0, v62
	v_add_nc_u32_e32 v156, v114, v63
	s_delay_alu instid0(VALU_DEP_3) | instskip(SKIP_1) | instid1(SALU_CYCLE_1)
	v_cmp_eq_u32_e32 vcc_lo, 0, v154
	s_and_b32 s18, s17, vcc_lo
	s_and_saveexec_b32 s17, s18
	s_cbranch_execz .LBB84_440
; %bb.439:                              ;   in Loop: Header=BB84_410 Depth=2
	s_wait_dscnt 0x0
	v_bcnt_u32_b32 v62, v62, v153
	ds_store_b32 v156, v62 offset:544
.LBB84_440:                             ;   in Loop: Header=BB84_410 Depth=2
	s_or_b32 exec_lo, exec_lo, s17
	v_lshrrev_b32_e32 v155, 24, v148
	; wave barrier
	s_delay_alu instid0(VALU_DEP_1) | instskip(NEXT) | instid1(VALU_DEP_1)
	v_lshrrev_b32_e32 v62, s43, v155
	v_bitop3_b32 v63, v62, 1, s48 bitop3:0x80
	v_and_b32_e32 v159, s48, v62
	s_delay_alu instid0(VALU_DEP_2) | instskip(NEXT) | instid1(VALU_DEP_1)
	v_add_co_u32 v62, s17, v63, -1
	v_cndmask_b32_e64 v63, 0, 1, s17
	s_delay_alu instid0(VALU_DEP_3) | instskip(SKIP_1) | instid1(VALU_DEP_3)
	v_dual_lshlrev_b32 v157, 30, v159 :: v_dual_lshlrev_b32 v158, 29, v159
	v_dual_lshlrev_b32 v160, 28, v159 :: v_dual_lshlrev_b32 v161, 27, v159
	v_cmp_ne_u32_e32 vcc_lo, 0, v63
	s_delay_alu instid0(VALU_DEP_3)
	v_cmp_gt_i32_e64 s17, 0, v157
	v_not_b32_e32 v63, v157
	v_not_b32_e32 v157, v158
	v_dual_lshlrev_b32 v162, 26, v159 :: v_dual_lshlrev_b32 v163, 25, v159
	v_cmp_gt_i32_e64 s18, 0, v158
	v_cmp_gt_i32_e64 s19, 0, v160
	v_not_b32_e32 v158, v160
	v_not_b32_e32 v160, v161
	v_dual_ashrrev_i32 v63, 31, v63 :: v_dual_ashrrev_i32 v157, 31, v157
	v_cmp_gt_i32_e64 s20, 0, v161
	v_cmp_gt_i32_e64 s21, 0, v162
	v_not_b32_e32 v161, v162
	v_bitop3_b32 v62, vcc_lo, exec_lo, v62 bitop3:0x48
	v_dual_ashrrev_i32 v158, 31, v158 :: v_dual_ashrrev_i32 v160, 31, v160
	v_xor_b32_e32 v63, s17, v63
	v_not_b32_e32 v162, v163
	v_xor_b32_e32 v157, s18, v157
	s_delay_alu instid0(VALU_DEP_4) | instskip(SKIP_2) | instid1(VALU_DEP_4)
	v_dual_ashrrev_i32 v161, 31, v161 :: v_dual_bitop2_b32 v158, s19, v158 bitop3:0x14
	v_xor_b32_e32 v160, s20, v160
	v_cmp_gt_i32_e32 vcc_lo, 0, v163
	v_bitop3_b32 v62, v62, v157, v63 bitop3:0x80
	v_ashrrev_i32_e32 v63, 31, v162
	v_mad_u32_u24 v157, v159, 36, v114
	v_xor_b32_e32 v161, s21, v161
	s_delay_alu instid0(VALU_DEP_4) | instskip(NEXT) | instid1(VALU_DEP_4)
	v_bitop3_b32 v62, v62, v160, v158 bitop3:0x80
	v_xor_b32_e32 v63, vcc_lo, v63
	ds_load_b32 v157, v157 offset:544
	; wave barrier
	v_bitop3_b32 v62, v62, v63, v161 bitop3:0x80
	v_mul_u32_u24_e32 v63, 36, v159
	s_delay_alu instid0(VALU_DEP_2) | instskip(SKIP_1) | instid1(VALU_DEP_3)
	v_mbcnt_lo_u32_b32 v158, v62, 0
	v_cmp_ne_u32_e64 s17, 0, v62
	v_add_nc_u32_e32 v159, v114, v63
	s_delay_alu instid0(VALU_DEP_3) | instskip(SKIP_1) | instid1(SALU_CYCLE_1)
	v_cmp_eq_u32_e32 vcc_lo, 0, v158
	s_and_b32 s18, s17, vcc_lo
	s_and_saveexec_b32 s17, s18
	s_cbranch_execz .LBB84_442
; %bb.441:                              ;   in Loop: Header=BB84_410 Depth=2
	s_wait_dscnt 0x0
	v_bcnt_u32_b32 v62, v62, v157
	ds_store_b32 v159, v62 offset:544
.LBB84_442:                             ;   in Loop: Header=BB84_410 Depth=2
	s_or_b32 exec_lo, exec_lo, s17
	v_bitop3_b16 v62, v142, 0xff, v142 bitop3:0xc
	; wave barrier
	s_delay_alu instid0(VALU_DEP_1) | instskip(NEXT) | instid1(VALU_DEP_1)
	v_and_b32_e32 v62, 0xffff, v62
	v_lshrrev_b32_e32 v62, s43, v62
	s_delay_alu instid0(VALU_DEP_1) | instskip(SKIP_1) | instid1(VALU_DEP_2)
	v_bitop3_b32 v63, v62, 1, s48 bitop3:0x80
	v_and_b32_e32 v162, s48, v62
	v_add_co_u32 v62, s17, v63, -1
	s_delay_alu instid0(VALU_DEP_1) | instskip(NEXT) | instid1(VALU_DEP_3)
	v_cndmask_b32_e64 v63, 0, 1, s17
	v_dual_lshlrev_b32 v160, 30, v162 :: v_dual_lshlrev_b32 v161, 29, v162
	s_delay_alu instid0(VALU_DEP_2) | instskip(NEXT) | instid1(VALU_DEP_2)
	v_cmp_ne_u32_e32 vcc_lo, 0, v63
	v_cmp_gt_i32_e64 s17, 0, v160
	v_not_b32_e32 v63, v160
	s_delay_alu instid0(VALU_DEP_4) | instskip(SKIP_2) | instid1(VALU_DEP_3)
	v_not_b32_e32 v160, v161
	v_cmp_gt_i32_e64 s18, 0, v161
	v_bitop3_b32 v62, vcc_lo, exec_lo, v62 bitop3:0x48
	v_dual_ashrrev_i32 v63, 31, v63 :: v_dual_ashrrev_i32 v160, 31, v160
	v_dual_lshlrev_b32 v163, 28, v162 :: v_dual_lshlrev_b32 v164, 27, v162
	v_dual_lshlrev_b32 v165, 26, v162 :: v_dual_lshlrev_b32 v166, 25, v162
	s_delay_alu instid0(VALU_DEP_2) | instskip(SKIP_1) | instid1(VALU_DEP_4)
	v_cmp_gt_i32_e64 s19, 0, v163
	v_not_b32_e32 v161, v163
	v_cmp_gt_i32_e64 s20, 0, v164
	v_not_b32_e32 v163, v164
	;; [unrolled: 2-line block ×3, first 2 shown]
	v_not_b32_e32 v165, v166
	v_xor_b32_e32 v63, s17, v63
	v_dual_ashrrev_i32 v161, 31, v161 :: v_dual_bitop2_b32 v160, s18, v160 bitop3:0x14
	s_delay_alu instid0(VALU_DEP_4) | instskip(NEXT) | instid1(VALU_DEP_4)
	v_dual_ashrrev_i32 v163, 31, v163 :: v_dual_ashrrev_i32 v164, 31, v164
	v_ashrrev_i32_e32 v165, 31, v165
	s_delay_alu instid0(VALU_DEP_3)
	v_bitop3_b32 v62, v62, v160, v63 bitop3:0x80
	v_mad_u32_u24 v63, v162, 36, v114
	v_cmp_gt_i32_e64 s22, 0, v166
	v_xor_b32_e32 v163, s20, v163
	v_xor_b32_e32 v164, s21, v164
	ds_load_b32 v160, v63 offset:544
	v_mul_u32_u24_e32 v63, 36, v162
	v_xor_b32_e32 v161, s19, v161
	v_xor_b32_e32 v165, s22, v165
	; wave barrier
	s_delay_alu instid0(VALU_DEP_3) | instskip(NEXT) | instid1(VALU_DEP_3)
	v_add_nc_u32_e32 v162, v114, v63
	v_bitop3_b32 v62, v62, v163, v161 bitop3:0x80
	s_delay_alu instid0(VALU_DEP_1) | instskip(NEXT) | instid1(VALU_DEP_1)
	v_bitop3_b32 v62, v62, v165, v164 bitop3:0x80
	v_mbcnt_lo_u32_b32 v161, v62, 0
	v_cmp_ne_u32_e64 s17, 0, v62
	s_delay_alu instid0(VALU_DEP_2) | instskip(SKIP_1) | instid1(SALU_CYCLE_1)
	v_cmp_eq_u32_e32 vcc_lo, 0, v161
	s_and_b32 s18, s17, vcc_lo
	s_and_saveexec_b32 s17, s18
	s_cbranch_execz .LBB84_444
; %bb.443:                              ;   in Loop: Header=BB84_410 Depth=2
	s_wait_dscnt 0x0
	v_bcnt_u32_b32 v62, v62, v160
	ds_store_b32 v162, v62 offset:544
.LBB84_444:                             ;   in Loop: Header=BB84_410 Depth=2
	s_or_b32 exec_lo, exec_lo, s17
	v_xor_b32_e32 v62, -1, v144
	v_xor_b32_e32 v63, -1, v145
	; wave barrier
	s_delay_alu instid0(VALU_DEP_2) | instskip(NEXT) | instid1(VALU_DEP_2)
	v_lshlrev_b16 v62, 8, v62
	v_lshlrev_b16 v63, 8, v63
	s_delay_alu instid0(VALU_DEP_2) | instskip(NEXT) | instid1(VALU_DEP_2)
	v_bitop3_b16 v142, v142, v62, 0xff bitop3:0xce
	v_bitop3_b16 v62, v143, v63, 0xff bitop3:0xce
	s_delay_alu instid0(VALU_DEP_2) | instskip(NEXT) | instid1(VALU_DEP_2)
	v_and_b32_e32 v63, 0xffff, v142
	v_lshlrev_b32_e32 v62, 16, v62
	s_delay_alu instid0(VALU_DEP_1) | instskip(NEXT) | instid1(VALU_DEP_1)
	v_or_b32_e32 v143, v63, v62
	v_bfe_u32 v62, v143, 8, 8
	s_delay_alu instid0(VALU_DEP_1) | instskip(NEXT) | instid1(VALU_DEP_1)
	v_lshrrev_b32_e32 v62, s43, v62
	v_bitop3_b32 v63, v62, 1, s48 bitop3:0x80
	v_and_b32_e32 v163, s48, v62
	s_delay_alu instid0(VALU_DEP_2) | instskip(NEXT) | instid1(VALU_DEP_1)
	v_add_co_u32 v62, s17, v63, -1
	v_cndmask_b32_e64 v63, 0, 1, s17
	s_delay_alu instid0(VALU_DEP_3) | instskip(NEXT) | instid1(VALU_DEP_2)
	v_lshlrev_b32_e32 v144, 30, v163
	v_cmp_ne_u32_e32 vcc_lo, 0, v63
	s_delay_alu instid0(VALU_DEP_2) | instskip(SKIP_2) | instid1(VALU_DEP_3)
	v_not_b32_e32 v63, v144
	v_cmp_gt_i32_e64 s17, 0, v144
	v_bitop3_b32 v62, vcc_lo, exec_lo, v62 bitop3:0x48
	v_ashrrev_i32_e32 v63, 31, v63
	v_dual_lshlrev_b32 v145, 29, v163 :: v_dual_lshlrev_b32 v164, 28, v163
	v_dual_lshlrev_b32 v165, 27, v163 :: v_dual_lshlrev_b32 v166, 26, v163
	s_delay_alu instid0(VALU_DEP_2)
	v_not_b32_e32 v144, v145
	v_lshlrev_b32_e32 v167, 25, v163
	v_cmp_gt_i32_e64 s18, 0, v145
	v_cmp_gt_i32_e64 s19, 0, v164
	v_not_b32_e32 v145, v164
	v_ashrrev_i32_e32 v144, 31, v144
	v_cmp_gt_i32_e64 s20, 0, v165
	v_not_b32_e32 v164, v165
	v_cmp_gt_i32_e64 s21, 0, v166
	v_not_b32_e32 v165, v166
	v_not_b32_e32 v166, v167
	v_xor_b32_e32 v63, s17, v63
	v_dual_ashrrev_i32 v145, 31, v145 :: v_dual_bitop2_b32 v144, s18, v144 bitop3:0x14
	s_delay_alu instid0(VALU_DEP_4) | instskip(NEXT) | instid1(VALU_DEP_4)
	v_dual_ashrrev_i32 v164, 31, v164 :: v_dual_ashrrev_i32 v165, 31, v165
	v_ashrrev_i32_e32 v166, 31, v166
	s_delay_alu instid0(VALU_DEP_3)
	v_bitop3_b32 v62, v62, v144, v63 bitop3:0x80
	v_mad_u32_u24 v63, v163, 36, v114
	v_cmp_gt_i32_e64 s22, 0, v167
	v_xor_b32_e32 v164, s20, v164
	v_xor_b32_e32 v165, s21, v165
	ds_load_b32 v144, v63 offset:544
	v_mul_u32_u24_e32 v63, 36, v163
	v_xor_b32_e32 v145, s19, v145
	v_xor_b32_e32 v166, s22, v166
	; wave barrier
	s_delay_alu instid0(VALU_DEP_3) | instskip(NEXT) | instid1(VALU_DEP_3)
	v_add_nc_u32_e32 v163, v114, v63
	v_bitop3_b32 v62, v62, v164, v145 bitop3:0x80
	s_delay_alu instid0(VALU_DEP_1) | instskip(NEXT) | instid1(VALU_DEP_1)
	v_bitop3_b32 v62, v62, v166, v165 bitop3:0x80
	v_mbcnt_lo_u32_b32 v145, v62, 0
	v_cmp_ne_u32_e64 s17, 0, v62
	s_delay_alu instid0(VALU_DEP_2) | instskip(SKIP_1) | instid1(SALU_CYCLE_1)
	v_cmp_eq_u32_e32 vcc_lo, 0, v145
	s_and_b32 s18, s17, vcc_lo
	s_and_saveexec_b32 s17, s18
	s_cbranch_execz .LBB84_446
; %bb.445:                              ;   in Loop: Header=BB84_410 Depth=2
	s_wait_dscnt 0x0
	v_bcnt_u32_b32 v62, v62, v144
	ds_store_b32 v163, v62 offset:544
.LBB84_446:                             ;   in Loop: Header=BB84_410 Depth=2
	s_or_b32 exec_lo, exec_lo, s17
	v_bfe_u32 v62, v143, 16, 8
	; wave barrier
	s_delay_alu instid0(VALU_DEP_1) | instskip(NEXT) | instid1(VALU_DEP_1)
	v_lshrrev_b32_e32 v62, s43, v62
	v_bitop3_b32 v63, v62, 1, s48 bitop3:0x80
	v_and_b32_e32 v166, s48, v62
	s_delay_alu instid0(VALU_DEP_2) | instskip(NEXT) | instid1(VALU_DEP_1)
	v_add_co_u32 v62, s17, v63, -1
	v_cndmask_b32_e64 v63, 0, 1, s17
	s_delay_alu instid0(VALU_DEP_3) | instskip(NEXT) | instid1(VALU_DEP_2)
	v_dual_lshlrev_b32 v164, 30, v166 :: v_dual_lshlrev_b32 v165, 29, v166
	v_cmp_ne_u32_e32 vcc_lo, 0, v63
	s_delay_alu instid0(VALU_DEP_2) | instskip(SKIP_1) | instid1(VALU_DEP_4)
	v_cmp_gt_i32_e64 s17, 0, v164
	v_not_b32_e32 v63, v164
	v_not_b32_e32 v164, v165
	v_cmp_gt_i32_e64 s18, 0, v165
	v_bitop3_b32 v62, vcc_lo, exec_lo, v62 bitop3:0x48
	s_delay_alu instid0(VALU_DEP_3) | instskip(SKIP_2) | instid1(VALU_DEP_2)
	v_dual_ashrrev_i32 v63, 31, v63 :: v_dual_ashrrev_i32 v164, 31, v164
	v_dual_lshlrev_b32 v167, 28, v166 :: v_dual_lshlrev_b32 v168, 27, v166
	v_dual_lshlrev_b32 v169, 26, v166 :: v_dual_lshlrev_b32 v170, 25, v166
	v_cmp_gt_i32_e64 s19, 0, v167
	v_not_b32_e32 v165, v167
	s_delay_alu instid0(VALU_DEP_4) | instskip(SKIP_3) | instid1(VALU_DEP_4)
	v_not_b32_e32 v167, v168
	v_cmp_gt_i32_e64 s20, 0, v168
	v_cmp_gt_i32_e64 s21, 0, v169
	v_not_b32_e32 v168, v169
	v_dual_ashrrev_i32 v165, 31, v165 :: v_dual_ashrrev_i32 v167, 31, v167
	v_xor_b32_e32 v63, s17, v63
	v_not_b32_e32 v169, v170
	v_xor_b32_e32 v164, s18, v164
	s_delay_alu instid0(VALU_DEP_4) | instskip(SKIP_2) | instid1(VALU_DEP_4)
	v_dual_ashrrev_i32 v168, 31, v168 :: v_dual_bitop2_b32 v165, s19, v165 bitop3:0x14
	v_xor_b32_e32 v167, s20, v167
	v_cmp_gt_i32_e32 vcc_lo, 0, v170
	v_bitop3_b32 v62, v62, v164, v63 bitop3:0x80
	v_ashrrev_i32_e32 v63, 31, v169
	v_mad_u32_u24 v164, v166, 36, v114
	v_xor_b32_e32 v168, s21, v168
	s_delay_alu instid0(VALU_DEP_4) | instskip(NEXT) | instid1(VALU_DEP_4)
	v_bitop3_b32 v62, v62, v167, v165 bitop3:0x80
	v_xor_b32_e32 v63, vcc_lo, v63
	ds_load_b32 v164, v164 offset:544
	; wave barrier
	v_bitop3_b32 v62, v62, v63, v168 bitop3:0x80
	v_mul_u32_u24_e32 v63, 36, v166
	s_delay_alu instid0(VALU_DEP_2) | instskip(SKIP_1) | instid1(VALU_DEP_3)
	v_mbcnt_lo_u32_b32 v165, v62, 0
	v_cmp_ne_u32_e64 s17, 0, v62
	v_add_nc_u32_e32 v167, v114, v63
	s_delay_alu instid0(VALU_DEP_3) | instskip(SKIP_1) | instid1(SALU_CYCLE_1)
	v_cmp_eq_u32_e32 vcc_lo, 0, v165
	s_and_b32 s18, s17, vcc_lo
	s_and_saveexec_b32 s17, s18
	s_cbranch_execz .LBB84_448
; %bb.447:                              ;   in Loop: Header=BB84_410 Depth=2
	s_wait_dscnt 0x0
	v_bcnt_u32_b32 v62, v62, v164
	ds_store_b32 v167, v62 offset:544
.LBB84_448:                             ;   in Loop: Header=BB84_410 Depth=2
	s_or_b32 exec_lo, exec_lo, s17
	v_lshrrev_b32_e32 v166, 24, v143
	; wave barrier
	s_delay_alu instid0(VALU_DEP_1) | instskip(NEXT) | instid1(VALU_DEP_1)
	v_lshrrev_b32_e32 v62, s43, v166
	v_bitop3_b32 v63, v62, 1, s48 bitop3:0x80
	v_and_b32_e32 v170, s48, v62
	s_delay_alu instid0(VALU_DEP_2) | instskip(NEXT) | instid1(VALU_DEP_1)
	v_add_co_u32 v62, s17, v63, -1
	v_cndmask_b32_e64 v63, 0, 1, s17
	s_delay_alu instid0(VALU_DEP_3) | instskip(SKIP_1) | instid1(VALU_DEP_3)
	v_dual_lshlrev_b32 v168, 30, v170 :: v_dual_lshlrev_b32 v169, 29, v170
	v_dual_lshlrev_b32 v171, 28, v170 :: v_dual_lshlrev_b32 v172, 27, v170
	v_cmp_ne_u32_e32 vcc_lo, 0, v63
	s_delay_alu instid0(VALU_DEP_3)
	v_cmp_gt_i32_e64 s17, 0, v168
	v_not_b32_e32 v63, v168
	v_not_b32_e32 v168, v169
	v_dual_lshlrev_b32 v173, 26, v170 :: v_dual_lshlrev_b32 v174, 25, v170
	v_cmp_gt_i32_e64 s18, 0, v169
	v_cmp_gt_i32_e64 s19, 0, v171
	v_not_b32_e32 v169, v171
	v_not_b32_e32 v171, v172
	v_dual_ashrrev_i32 v63, 31, v63 :: v_dual_ashrrev_i32 v168, 31, v168
	v_cmp_gt_i32_e64 s20, 0, v172
	v_cmp_gt_i32_e64 s21, 0, v173
	v_not_b32_e32 v172, v173
	v_bitop3_b32 v62, vcc_lo, exec_lo, v62 bitop3:0x48
	v_dual_ashrrev_i32 v169, 31, v169 :: v_dual_ashrrev_i32 v171, 31, v171
	v_xor_b32_e32 v168, s18, v168
	s_delay_alu instid0(VALU_DEP_4) | instskip(SKIP_1) | instid1(VALU_DEP_4)
	v_dual_ashrrev_i32 v172, 31, v172 :: v_dual_bitop2_b32 v63, s17, v63 bitop3:0x14
	v_not_b32_e32 v173, v174
	v_xor_b32_e32 v169, s19, v169
	v_xor_b32_e32 v171, s20, v171
	s_delay_alu instid0(VALU_DEP_4)
	v_bitop3_b32 v62, v62, v168, v63 bitop3:0x80
	v_cmp_gt_i32_e32 vcc_lo, 0, v174
	v_ashrrev_i32_e32 v63, 31, v173
	v_mad_u32_u24 v168, v170, 36, v114
	v_xor_b32_e32 v172, s21, v172
	v_bitop3_b32 v62, v62, v171, v169 bitop3:0x80
	s_delay_alu instid0(VALU_DEP_4) | instskip(SKIP_3) | instid1(VALU_DEP_2)
	v_xor_b32_e32 v63, vcc_lo, v63
	ds_load_b32 v168, v168 offset:544
	; wave barrier
	v_bitop3_b32 v62, v62, v63, v172 bitop3:0x80
	v_mul_u32_u24_e32 v63, 36, v170
	v_mbcnt_lo_u32_b32 v169, v62, 0
	v_cmp_ne_u32_e64 s17, 0, v62
	s_delay_alu instid0(VALU_DEP_3) | instskip(NEXT) | instid1(VALU_DEP_3)
	v_add_nc_u32_e32 v170, v114, v63
	v_cmp_eq_u32_e32 vcc_lo, 0, v169
	s_and_b32 s18, s17, vcc_lo
	s_delay_alu instid0(SALU_CYCLE_1)
	s_and_saveexec_b32 s17, s18
	s_cbranch_execz .LBB84_450
; %bb.449:                              ;   in Loop: Header=BB84_410 Depth=2
	s_wait_dscnt 0x0
	v_bcnt_u32_b32 v62, v62, v168
	ds_store_b32 v170, v62 offset:544
.LBB84_450:                             ;   in Loop: Header=BB84_410 Depth=2
	s_or_b32 exec_lo, exec_lo, s17
	v_bitop3_b16 v62, v138, 0xff, v138 bitop3:0xc
	; wave barrier
	s_delay_alu instid0(VALU_DEP_1) | instskip(NEXT) | instid1(VALU_DEP_1)
	v_and_b32_e32 v62, 0xffff, v62
	v_lshrrev_b32_e32 v62, s43, v62
	s_delay_alu instid0(VALU_DEP_1) | instskip(NEXT) | instid1(VALU_DEP_1)
	v_and_b32_e32 v173, s48, v62
	v_lshlrev_b32_e32 v171, 30, v173
	v_bitop3_b32 v63, v62, 1, s48 bitop3:0x80
	s_delay_alu instid0(VALU_DEP_1) | instskip(NEXT) | instid1(VALU_DEP_1)
	v_add_co_u32 v62, s17, v63, -1
	v_cndmask_b32_e64 v63, 0, 1, s17
	s_delay_alu instid0(VALU_DEP_4) | instskip(NEXT) | instid1(VALU_DEP_2)
	v_cmp_gt_i32_e64 s17, 0, v171
	v_cmp_ne_u32_e32 vcc_lo, 0, v63
	v_not_b32_e32 v63, v171
	v_bitop3_b32 v62, vcc_lo, exec_lo, v62 bitop3:0x48
	s_delay_alu instid0(VALU_DEP_2) | instskip(SKIP_2) | instid1(VALU_DEP_3)
	v_dual_ashrrev_i32 v63, 31, v63 :: v_dual_lshlrev_b32 v172, 29, v173
	v_dual_lshlrev_b32 v174, 28, v173 :: v_dual_lshlrev_b32 v175, 27, v173
	v_lshlrev_b32_e32 v176, 26, v173
	v_not_b32_e32 v171, v172
	v_lshlrev_b32_e32 v177, 25, v173
	v_cmp_gt_i32_e64 s18, 0, v172
	v_cmp_gt_i32_e64 s19, 0, v174
	v_not_b32_e32 v172, v174
	v_ashrrev_i32_e32 v171, 31, v171
	v_cmp_gt_i32_e64 s20, 0, v175
	v_not_b32_e32 v174, v175
	v_cmp_gt_i32_e64 s21, 0, v176
	v_not_b32_e32 v175, v176
	v_not_b32_e32 v176, v177
	v_xor_b32_e32 v63, s17, v63
	v_dual_ashrrev_i32 v172, 31, v172 :: v_dual_bitop2_b32 v171, s18, v171 bitop3:0x14
	s_delay_alu instid0(VALU_DEP_3) | instskip(SKIP_1) | instid1(VALU_DEP_3)
	v_dual_ashrrev_i32 v174, 31, v174 :: v_dual_ashrrev_i32 v176, 31, v176
	v_cmp_gt_i32_e64 s22, 0, v177
	v_bitop3_b32 v62, v62, v171, v63 bitop3:0x80
	v_mad_u32_u24 v63, v173, 36, v114
	v_dual_ashrrev_i32 v175, 31, v175 :: v_dual_bitop2_b32 v172, s19, v172 bitop3:0x14
	s_delay_alu instid0(VALU_DEP_4) | instskip(SKIP_4) | instid1(VALU_DEP_3)
	v_xor_b32_e32 v176, s22, v176
	ds_load_b32 v171, v63 offset:544
	v_mul_u32_u24_e32 v63, 36, v173
	v_xor_b32_e32 v174, s20, v174
	v_xor_b32_e32 v175, s21, v175
	; wave barrier
	v_add_nc_u32_e32 v173, v114, v63
	s_delay_alu instid0(VALU_DEP_3) | instskip(NEXT) | instid1(VALU_DEP_1)
	v_bitop3_b32 v62, v62, v174, v172 bitop3:0x80
	v_bitop3_b32 v62, v62, v176, v175 bitop3:0x80
	s_delay_alu instid0(VALU_DEP_1) | instskip(SKIP_1) | instid1(VALU_DEP_2)
	v_mbcnt_lo_u32_b32 v172, v62, 0
	v_cmp_ne_u32_e64 s17, 0, v62
	v_cmp_eq_u32_e32 vcc_lo, 0, v172
	s_and_b32 s18, s17, vcc_lo
	s_delay_alu instid0(SALU_CYCLE_1)
	s_and_saveexec_b32 s17, s18
	s_cbranch_execz .LBB84_452
; %bb.451:                              ;   in Loop: Header=BB84_410 Depth=2
	s_wait_dscnt 0x0
	v_bcnt_u32_b32 v62, v62, v171
	ds_store_b32 v173, v62 offset:544
.LBB84_452:                             ;   in Loop: Header=BB84_410 Depth=2
	s_or_b32 exec_lo, exec_lo, s17
	v_xor_b32_e32 v62, -1, v140
	v_xor_b32_e32 v63, -1, v141
	; wave barrier
	s_delay_alu instid0(VALU_DEP_2) | instskip(NEXT) | instid1(VALU_DEP_2)
	v_lshlrev_b16 v62, 8, v62
	v_lshlrev_b16 v63, 8, v63
	s_delay_alu instid0(VALU_DEP_2) | instskip(NEXT) | instid1(VALU_DEP_2)
	v_bitop3_b16 v138, v138, v62, 0xff bitop3:0xce
	v_bitop3_b16 v62, v139, v63, 0xff bitop3:0xce
	s_delay_alu instid0(VALU_DEP_2) | instskip(NEXT) | instid1(VALU_DEP_2)
	v_and_b32_e32 v63, 0xffff, v138
	v_lshlrev_b32_e32 v62, 16, v62
	s_delay_alu instid0(VALU_DEP_1) | instskip(NEXT) | instid1(VALU_DEP_1)
	v_or_b32_e32 v139, v63, v62
	v_bfe_u32 v62, v139, 8, 8
	s_delay_alu instid0(VALU_DEP_1) | instskip(NEXT) | instid1(VALU_DEP_1)
	v_lshrrev_b32_e32 v62, s43, v62
	v_bitop3_b32 v63, v62, 1, s48 bitop3:0x80
	v_and_b32_e32 v174, s48, v62
	s_delay_alu instid0(VALU_DEP_2) | instskip(NEXT) | instid1(VALU_DEP_1)
	v_add_co_u32 v62, s17, v63, -1
	v_cndmask_b32_e64 v63, 0, 1, s17
	s_delay_alu instid0(VALU_DEP_3) | instskip(NEXT) | instid1(VALU_DEP_2)
	v_lshlrev_b32_e32 v140, 30, v174
	v_cmp_ne_u32_e32 vcc_lo, 0, v63
	s_delay_alu instid0(VALU_DEP_2) | instskip(SKIP_2) | instid1(VALU_DEP_3)
	v_not_b32_e32 v63, v140
	v_cmp_gt_i32_e64 s17, 0, v140
	v_bitop3_b32 v62, vcc_lo, exec_lo, v62 bitop3:0x48
	v_dual_ashrrev_i32 v63, 31, v63 :: v_dual_lshlrev_b32 v141, 29, v174
	v_dual_lshlrev_b32 v175, 28, v174 :: v_dual_lshlrev_b32 v176, 27, v174
	v_lshlrev_b32_e32 v177, 26, v174
	s_delay_alu instid0(VALU_DEP_3)
	v_not_b32_e32 v140, v141
	v_lshlrev_b32_e32 v178, 25, v174
	v_cmp_gt_i32_e64 s18, 0, v141
	v_cmp_gt_i32_e64 s19, 0, v175
	v_not_b32_e32 v141, v175
	v_ashrrev_i32_e32 v140, 31, v140
	v_cmp_gt_i32_e64 s20, 0, v176
	v_not_b32_e32 v175, v176
	v_cmp_gt_i32_e64 s21, 0, v177
	v_not_b32_e32 v176, v177
	v_not_b32_e32 v177, v178
	v_xor_b32_e32 v63, s17, v63
	v_dual_ashrrev_i32 v141, 31, v141 :: v_dual_bitop2_b32 v140, s18, v140 bitop3:0x14
	s_delay_alu instid0(VALU_DEP_4) | instskip(NEXT) | instid1(VALU_DEP_4)
	v_dual_ashrrev_i32 v175, 31, v175 :: v_dual_ashrrev_i32 v176, 31, v176
	v_ashrrev_i32_e32 v177, 31, v177
	s_delay_alu instid0(VALU_DEP_3)
	v_bitop3_b32 v62, v62, v140, v63 bitop3:0x80
	v_mad_u32_u24 v63, v174, 36, v114
	v_cmp_gt_i32_e64 s22, 0, v178
	v_xor_b32_e32 v175, s20, v175
	v_xor_b32_e32 v176, s21, v176
	ds_load_b32 v140, v63 offset:544
	v_mul_u32_u24_e32 v63, 36, v174
	v_xor_b32_e32 v141, s19, v141
	v_xor_b32_e32 v177, s22, v177
	; wave barrier
	s_delay_alu instid0(VALU_DEP_3) | instskip(NEXT) | instid1(VALU_DEP_3)
	v_add_nc_u32_e32 v174, v114, v63
	v_bitop3_b32 v62, v62, v175, v141 bitop3:0x80
	s_delay_alu instid0(VALU_DEP_1) | instskip(NEXT) | instid1(VALU_DEP_1)
	v_bitop3_b32 v62, v62, v177, v176 bitop3:0x80
	v_mbcnt_lo_u32_b32 v141, v62, 0
	v_cmp_ne_u32_e64 s17, 0, v62
	s_delay_alu instid0(VALU_DEP_2) | instskip(SKIP_1) | instid1(SALU_CYCLE_1)
	v_cmp_eq_u32_e32 vcc_lo, 0, v141
	s_and_b32 s18, s17, vcc_lo
	s_and_saveexec_b32 s17, s18
	s_cbranch_execz .LBB84_454
; %bb.453:                              ;   in Loop: Header=BB84_410 Depth=2
	s_wait_dscnt 0x0
	v_bcnt_u32_b32 v62, v62, v140
	ds_store_b32 v174, v62 offset:544
.LBB84_454:                             ;   in Loop: Header=BB84_410 Depth=2
	s_or_b32 exec_lo, exec_lo, s17
	v_bfe_u32 v62, v139, 16, 8
	; wave barrier
	s_delay_alu instid0(VALU_DEP_1) | instskip(NEXT) | instid1(VALU_DEP_1)
	v_lshrrev_b32_e32 v62, s43, v62
	v_and_b32_e32 v177, s48, v62
	s_delay_alu instid0(VALU_DEP_1) | instskip(SKIP_1) | instid1(VALU_DEP_1)
	v_lshlrev_b32_e32 v175, 30, v177
	v_bitop3_b32 v63, v62, 1, s48 bitop3:0x80
	v_add_co_u32 v62, s17, v63, -1
	s_delay_alu instid0(VALU_DEP_1) | instskip(NEXT) | instid1(VALU_DEP_4)
	v_cndmask_b32_e64 v63, 0, 1, s17
	v_cmp_gt_i32_e64 s17, 0, v175
	s_delay_alu instid0(VALU_DEP_2) | instskip(SKIP_2) | instid1(VALU_DEP_2)
	v_cmp_ne_u32_e32 vcc_lo, 0, v63
	v_not_b32_e32 v63, v175
	v_bitop3_b32 v62, vcc_lo, exec_lo, v62 bitop3:0x48
	v_dual_ashrrev_i32 v63, 31, v63 :: v_dual_lshlrev_b32 v176, 29, v177
	v_dual_lshlrev_b32 v178, 28, v177 :: v_dual_lshlrev_b32 v179, 27, v177
	s_delay_alu instid0(VALU_DEP_2) | instskip(NEXT) | instid1(VALU_DEP_3)
	v_dual_lshlrev_b32 v180, 26, v177 :: v_dual_bitop2_b32 v63, s17, v63 bitop3:0x14
	v_not_b32_e32 v175, v176
	v_lshlrev_b32_e32 v181, 25, v177
	v_cmp_gt_i32_e64 s18, 0, v176
	v_cmp_gt_i32_e64 s19, 0, v178
	v_not_b32_e32 v176, v178
	v_not_b32_e32 v178, v179
	v_ashrrev_i32_e32 v175, 31, v175
	v_cmp_gt_i32_e64 s20, 0, v179
	v_cmp_gt_i32_e64 s21, 0, v180
	v_not_b32_e32 v179, v180
	v_dual_ashrrev_i32 v176, 31, v176 :: v_dual_ashrrev_i32 v178, 31, v178
	v_not_b32_e32 v180, v181
	v_xor_b32_e32 v175, s18, v175
	s_delay_alu instid0(VALU_DEP_3) | instskip(NEXT) | instid1(VALU_DEP_4)
	v_dual_ashrrev_i32 v179, 31, v179 :: v_dual_bitop2_b32 v176, s19, v176 bitop3:0x14
	v_xor_b32_e32 v178, s20, v178
	v_cmp_gt_i32_e32 vcc_lo, 0, v181
	s_delay_alu instid0(VALU_DEP_4) | instskip(SKIP_3) | instid1(VALU_DEP_4)
	v_bitop3_b32 v62, v62, v175, v63 bitop3:0x80
	v_ashrrev_i32_e32 v63, 31, v180
	v_mad_u32_u24 v175, v177, 36, v114
	v_xor_b32_e32 v179, s21, v179
	v_bitop3_b32 v62, v62, v178, v176 bitop3:0x80
	s_delay_alu instid0(VALU_DEP_4) | instskip(SKIP_3) | instid1(VALU_DEP_2)
	v_xor_b32_e32 v63, vcc_lo, v63
	ds_load_b32 v175, v175 offset:544
	; wave barrier
	v_bitop3_b32 v62, v62, v63, v179 bitop3:0x80
	v_mul_u32_u24_e32 v63, 36, v177
	v_mbcnt_lo_u32_b32 v176, v62, 0
	v_cmp_ne_u32_e64 s17, 0, v62
	s_delay_alu instid0(VALU_DEP_3) | instskip(NEXT) | instid1(VALU_DEP_3)
	v_add_nc_u32_e32 v178, v114, v63
	v_cmp_eq_u32_e32 vcc_lo, 0, v176
	s_and_b32 s18, s17, vcc_lo
	s_delay_alu instid0(SALU_CYCLE_1)
	s_and_saveexec_b32 s17, s18
	s_cbranch_execz .LBB84_456
; %bb.455:                              ;   in Loop: Header=BB84_410 Depth=2
	s_wait_dscnt 0x0
	v_bcnt_u32_b32 v62, v62, v175
	ds_store_b32 v178, v62 offset:544
.LBB84_456:                             ;   in Loop: Header=BB84_410 Depth=2
	s_or_b32 exec_lo, exec_lo, s17
	v_lshrrev_b32_e32 v177, 24, v139
	; wave barrier
	s_delay_alu instid0(VALU_DEP_1) | instskip(NEXT) | instid1(VALU_DEP_1)
	v_lshrrev_b32_e32 v62, s43, v177
	v_bitop3_b32 v63, v62, 1, s48 bitop3:0x80
	v_and_b32_e32 v181, s48, v62
	s_delay_alu instid0(VALU_DEP_2) | instskip(NEXT) | instid1(VALU_DEP_1)
	v_add_co_u32 v62, s17, v63, -1
	v_cndmask_b32_e64 v63, 0, 1, s17
	s_delay_alu instid0(VALU_DEP_3) | instskip(SKIP_1) | instid1(VALU_DEP_3)
	v_dual_lshlrev_b32 v179, 30, v181 :: v_dual_lshlrev_b32 v180, 29, v181
	v_dual_lshlrev_b32 v182, 28, v181 :: v_dual_lshlrev_b32 v183, 27, v181
	v_cmp_ne_u32_e32 vcc_lo, 0, v63
	s_delay_alu instid0(VALU_DEP_3)
	v_cmp_gt_i32_e64 s17, 0, v179
	v_not_b32_e32 v63, v179
	v_not_b32_e32 v179, v180
	v_dual_lshlrev_b32 v184, 26, v181 :: v_dual_lshlrev_b32 v185, 25, v181
	v_cmp_gt_i32_e64 s18, 0, v180
	v_cmp_gt_i32_e64 s19, 0, v182
	v_not_b32_e32 v180, v182
	v_not_b32_e32 v182, v183
	v_ashrrev_i32_e32 v63, 31, v63
	v_ashrrev_i32_e32 v179, 31, v179
	v_cmp_gt_i32_e64 s20, 0, v183
	v_cmp_gt_i32_e64 s21, 0, v184
	v_not_b32_e32 v183, v184
	v_bitop3_b32 v62, vcc_lo, exec_lo, v62 bitop3:0x48
	v_dual_ashrrev_i32 v180, 31, v180 :: v_dual_ashrrev_i32 v182, 31, v182
	v_xor_b32_e32 v63, s17, v63
	v_not_b32_e32 v184, v185
	v_xor_b32_e32 v179, s18, v179
	s_delay_alu instid0(VALU_DEP_4) | instskip(SKIP_2) | instid1(VALU_DEP_4)
	v_dual_ashrrev_i32 v183, 31, v183 :: v_dual_bitop2_b32 v180, s19, v180 bitop3:0x14
	v_xor_b32_e32 v182, s20, v182
	v_cmp_gt_i32_e32 vcc_lo, 0, v185
	v_bitop3_b32 v62, v62, v179, v63 bitop3:0x80
	v_ashrrev_i32_e32 v63, 31, v184
	v_mad_u32_u24 v179, v181, 36, v114
	v_xor_b32_e32 v183, s21, v183
	s_delay_alu instid0(VALU_DEP_4) | instskip(NEXT) | instid1(VALU_DEP_4)
	v_bitop3_b32 v62, v62, v182, v180 bitop3:0x80
	v_xor_b32_e32 v63, vcc_lo, v63
	ds_load_b32 v179, v179 offset:544
	; wave barrier
	v_bitop3_b32 v62, v62, v63, v183 bitop3:0x80
	v_mul_u32_u24_e32 v63, 36, v181
	s_delay_alu instid0(VALU_DEP_2) | instskip(SKIP_1) | instid1(VALU_DEP_3)
	v_mbcnt_lo_u32_b32 v180, v62, 0
	v_cmp_ne_u32_e64 s17, 0, v62
	v_add_nc_u32_e32 v181, v114, v63
	s_delay_alu instid0(VALU_DEP_3) | instskip(SKIP_1) | instid1(SALU_CYCLE_1)
	v_cmp_eq_u32_e32 vcc_lo, 0, v180
	s_and_b32 s18, s17, vcc_lo
	s_and_saveexec_b32 s17, s18
	s_cbranch_execz .LBB84_458
; %bb.457:                              ;   in Loop: Header=BB84_410 Depth=2
	s_wait_dscnt 0x0
	v_bcnt_u32_b32 v62, v62, v179
	ds_store_b32 v181, v62 offset:544
.LBB84_458:                             ;   in Loop: Header=BB84_410 Depth=2
	s_or_b32 exec_lo, exec_lo, s17
	v_bitop3_b16 v62, v64, 0xff, v64 bitop3:0xc
	; wave barrier
	s_delay_alu instid0(VALU_DEP_1) | instskip(NEXT) | instid1(VALU_DEP_1)
	v_and_b32_e32 v62, 0xffff, v62
	v_lshrrev_b32_e32 v62, s43, v62
	s_delay_alu instid0(VALU_DEP_1) | instskip(NEXT) | instid1(VALU_DEP_1)
	v_and_b32_e32 v184, s48, v62
	v_lshlrev_b32_e32 v182, 30, v184
	v_bitop3_b32 v63, v62, 1, s48 bitop3:0x80
	s_delay_alu instid0(VALU_DEP_1) | instskip(NEXT) | instid1(VALU_DEP_1)
	v_add_co_u32 v62, s17, v63, -1
	v_cndmask_b32_e64 v63, 0, 1, s17
	s_delay_alu instid0(VALU_DEP_4) | instskip(NEXT) | instid1(VALU_DEP_2)
	v_cmp_gt_i32_e64 s17, 0, v182
	v_cmp_ne_u32_e32 vcc_lo, 0, v63
	v_not_b32_e32 v63, v182
	v_bitop3_b32 v62, vcc_lo, exec_lo, v62 bitop3:0x48
	s_delay_alu instid0(VALU_DEP_2) | instskip(SKIP_2) | instid1(VALU_DEP_3)
	v_dual_ashrrev_i32 v63, 31, v63 :: v_dual_lshlrev_b32 v183, 29, v184
	v_dual_lshlrev_b32 v185, 28, v184 :: v_dual_lshlrev_b32 v186, 27, v184
	v_lshlrev_b32_e32 v187, 26, v184
	v_not_b32_e32 v182, v183
	v_lshlrev_b32_e32 v188, 25, v184
	v_cmp_gt_i32_e64 s18, 0, v183
	v_cmp_gt_i32_e64 s19, 0, v185
	v_not_b32_e32 v183, v185
	v_not_b32_e32 v185, v186
	v_ashrrev_i32_e32 v182, 31, v182
	v_cmp_gt_i32_e64 s20, 0, v186
	v_cmp_gt_i32_e64 s21, 0, v187
	v_not_b32_e32 v186, v187
	v_not_b32_e32 v187, v188
	v_dual_ashrrev_i32 v183, 31, v183 :: v_dual_ashrrev_i32 v185, 31, v185
	s_delay_alu instid0(VALU_DEP_3) | instskip(NEXT) | instid1(VALU_DEP_3)
	v_dual_ashrrev_i32 v186, 31, v186 :: v_dual_bitop2_b32 v63, s17, v63 bitop3:0x14
	v_dual_ashrrev_i32 v187, 31, v187 :: v_dual_bitop2_b32 v182, s18, v182 bitop3:0x14
	v_cmp_gt_i32_e64 s22, 0, v188
	s_delay_alu instid0(VALU_DEP_4) | instskip(SKIP_1) | instid1(VALU_DEP_4)
	v_xor_b32_e32 v183, s19, v183
	v_xor_b32_e32 v185, s20, v185
	v_bitop3_b32 v62, v62, v182, v63 bitop3:0x80
	v_mad_u32_u24 v63, v184, 36, v114
	v_xor_b32_e32 v187, s22, v187
	s_delay_alu instid0(VALU_DEP_3) | instskip(SKIP_3) | instid1(VALU_DEP_2)
	v_bitop3_b32 v62, v62, v185, v183 bitop3:0x80
	ds_load_b32 v182, v63 offset:544
	v_mul_u32_u24_e32 v63, 36, v184
	v_xor_b32_e32 v186, s21, v186
	; wave barrier
	v_add_nc_u32_e32 v185, v114, v63
	s_delay_alu instid0(VALU_DEP_2) | instskip(NEXT) | instid1(VALU_DEP_1)
	v_bitop3_b32 v62, v62, v187, v186 bitop3:0x80
	v_mbcnt_lo_u32_b32 v183, v62, 0
	v_cmp_ne_u32_e64 s17, 0, v62
	s_delay_alu instid0(VALU_DEP_2) | instskip(SKIP_1) | instid1(SALU_CYCLE_1)
	v_cmp_eq_u32_e32 vcc_lo, 0, v183
	s_and_b32 s18, s17, vcc_lo
	s_and_saveexec_b32 s17, s18
	s_cbranch_execz .LBB84_460
; %bb.459:                              ;   in Loop: Header=BB84_410 Depth=2
	s_wait_dscnt 0x0
	v_bcnt_u32_b32 v62, v62, v182
	ds_store_b32 v185, v62 offset:544
.LBB84_460:                             ;   in Loop: Header=BB84_410 Depth=2
	s_or_b32 exec_lo, exec_lo, s17
	v_xor_b32_e32 v62, -1, v135
	v_xor_b32_e32 v63, -1, v136
	; wave barrier
	s_delay_alu instid0(VALU_DEP_2) | instskip(NEXT) | instid1(VALU_DEP_2)
	v_lshlrev_b16 v62, 8, v62
	v_lshlrev_b16 v63, 8, v63
	s_delay_alu instid0(VALU_DEP_2) | instskip(NEXT) | instid1(VALU_DEP_2)
	v_bitop3_b16 v184, v64, v62, 0xff bitop3:0xce
	v_bitop3_b16 v62, v65, v63, 0xff bitop3:0xce
	s_delay_alu instid0(VALU_DEP_2) | instskip(NEXT) | instid1(VALU_DEP_2)
	v_and_b32_e32 v63, 0xffff, v184
	v_lshlrev_b32_e32 v62, 16, v62
	s_delay_alu instid0(VALU_DEP_1) | instskip(NEXT) | instid1(VALU_DEP_1)
	v_or_b32_e32 v135, v63, v62
	v_bfe_u32 v62, v135, 8, 8
	s_delay_alu instid0(VALU_DEP_1) | instskip(NEXT) | instid1(VALU_DEP_1)
	v_lshrrev_b32_e32 v62, s43, v62
	v_bitop3_b32 v63, v62, 1, s48 bitop3:0x80
	v_and_b32_e32 v64, s48, v62
	s_delay_alu instid0(VALU_DEP_2) | instskip(NEXT) | instid1(VALU_DEP_1)
	v_add_co_u32 v62, s17, v63, -1
	v_cndmask_b32_e64 v63, 0, 1, s17
	s_delay_alu instid0(VALU_DEP_3) | instskip(NEXT) | instid1(VALU_DEP_2)
	v_lshlrev_b32_e32 v65, 30, v64
	v_cmp_ne_u32_e32 vcc_lo, 0, v63
	s_delay_alu instid0(VALU_DEP_2) | instskip(SKIP_2) | instid1(VALU_DEP_3)
	v_not_b32_e32 v63, v65
	v_cmp_gt_i32_e64 s17, 0, v65
	v_bitop3_b32 v62, vcc_lo, exec_lo, v62 bitop3:0x48
	v_dual_ashrrev_i32 v63, 31, v63 :: v_dual_lshlrev_b32 v136, 29, v64
	v_dual_lshlrev_b32 v186, 28, v64 :: v_dual_lshlrev_b32 v187, 27, v64
	v_lshlrev_b32_e32 v188, 26, v64
	s_delay_alu instid0(VALU_DEP_3)
	v_not_b32_e32 v65, v136
	v_lshlrev_b32_e32 v189, 25, v64
	v_cmp_gt_i32_e64 s18, 0, v136
	v_cmp_gt_i32_e64 s19, 0, v186
	v_not_b32_e32 v136, v186
	v_not_b32_e32 v186, v187
	v_ashrrev_i32_e32 v65, 31, v65
	v_cmp_gt_i32_e64 s20, 0, v187
	v_cmp_gt_i32_e64 s21, 0, v188
	v_not_b32_e32 v187, v188
	v_not_b32_e32 v188, v189
	v_dual_ashrrev_i32 v136, 31, v136 :: v_dual_ashrrev_i32 v186, 31, v186
	v_xor_b32_e32 v63, s17, v63
	s_delay_alu instid0(VALU_DEP_4)
	v_dual_ashrrev_i32 v187, 31, v187 :: v_dual_bitop2_b32 v65, s18, v65 bitop3:0x14
	v_cmp_gt_i32_e64 s22, 0, v189
	v_ashrrev_i32_e32 v188, 31, v188
	v_xor_b32_e32 v136, s19, v136
	v_xor_b32_e32 v186, s20, v186
	v_bitop3_b32 v62, v62, v65, v63 bitop3:0x80
	v_mad_u32_u24 v63, v64, 36, v114
	v_xor_b32_e32 v65, s21, v187
	v_xor_b32_e32 v187, s22, v188
	s_delay_alu instid0(VALU_DEP_4) | instskip(SKIP_3) | instid1(VALU_DEP_2)
	v_bitop3_b32 v62, v62, v186, v136 bitop3:0x80
	ds_load_b32 v136, v63 offset:544
	v_mul_u32_u24_e32 v63, 36, v64
	; wave barrier
	v_bitop3_b32 v62, v62, v187, v65 bitop3:0x80
	v_add_nc_u32_e32 v187, v114, v63
	s_delay_alu instid0(VALU_DEP_2) | instskip(SKIP_1) | instid1(VALU_DEP_2)
	v_mbcnt_lo_u32_b32 v186, v62, 0
	v_cmp_ne_u32_e64 s17, 0, v62
	v_cmp_eq_u32_e32 vcc_lo, 0, v186
	s_and_b32 s18, s17, vcc_lo
	s_delay_alu instid0(SALU_CYCLE_1)
	s_and_saveexec_b32 s17, s18
	s_cbranch_execz .LBB84_462
; %bb.461:                              ;   in Loop: Header=BB84_410 Depth=2
	s_wait_dscnt 0x0
	v_bcnt_u32_b32 v62, v62, v136
	ds_store_b32 v187, v62 offset:544
.LBB84_462:                             ;   in Loop: Header=BB84_410 Depth=2
	s_or_b32 exec_lo, exec_lo, s17
	v_bfe_u32 v62, v135, 16, 8
	; wave barrier
	s_delay_alu instid0(VALU_DEP_1) | instskip(NEXT) | instid1(VALU_DEP_1)
	v_lshrrev_b32_e32 v62, s43, v62
	v_and_b32_e32 v64, s48, v62
	s_delay_alu instid0(VALU_DEP_1) | instskip(SKIP_1) | instid1(VALU_DEP_1)
	v_lshlrev_b32_e32 v65, 30, v64
	v_bitop3_b32 v63, v62, 1, s48 bitop3:0x80
	v_add_co_u32 v62, s17, v63, -1
	s_delay_alu instid0(VALU_DEP_1) | instskip(NEXT) | instid1(VALU_DEP_4)
	v_cndmask_b32_e64 v63, 0, 1, s17
	v_cmp_gt_i32_e64 s17, 0, v65
	s_delay_alu instid0(VALU_DEP_2) | instskip(SKIP_2) | instid1(VALU_DEP_2)
	v_cmp_ne_u32_e32 vcc_lo, 0, v63
	v_not_b32_e32 v63, v65
	v_bitop3_b32 v62, vcc_lo, exec_lo, v62 bitop3:0x48
	v_dual_ashrrev_i32 v63, 31, v63 :: v_dual_lshlrev_b32 v188, 29, v64
	v_dual_lshlrev_b32 v189, 28, v64 :: v_dual_lshlrev_b32 v190, 27, v64
	v_lshlrev_b32_e32 v191, 26, v64
	s_delay_alu instid0(VALU_DEP_3)
	v_not_b32_e32 v65, v188
	v_lshlrev_b32_e32 v192, 25, v64
	v_cmp_gt_i32_e64 s18, 0, v188
	v_cmp_gt_i32_e64 s19, 0, v189
	v_not_b32_e32 v188, v189
	v_not_b32_e32 v189, v190
	v_ashrrev_i32_e32 v65, 31, v65
	v_cmp_gt_i32_e64 s20, 0, v190
	v_cmp_gt_i32_e64 s21, 0, v191
	v_not_b32_e32 v190, v191
	v_dual_ashrrev_i32 v188, 31, v188 :: v_dual_ashrrev_i32 v189, 31, v189
	v_xor_b32_e32 v63, s17, v63
	v_not_b32_e32 v191, v192
	s_delay_alu instid0(VALU_DEP_4) | instskip(NEXT) | instid1(VALU_DEP_4)
	v_dual_ashrrev_i32 v190, 31, v190 :: v_dual_bitop2_b32 v65, s18, v65 bitop3:0x14
	v_xor_b32_e32 v188, s19, v188
	v_xor_b32_e32 v189, s20, v189
	v_cmp_gt_i32_e32 vcc_lo, 0, v192
	s_delay_alu instid0(VALU_DEP_4) | instskip(SKIP_3) | instid1(VALU_DEP_4)
	v_bitop3_b32 v62, v62, v65, v63 bitop3:0x80
	v_ashrrev_i32_e32 v63, 31, v191
	v_mad_u32_u24 v65, v64, 36, v114
	v_xor_b32_e32 v190, s21, v190
	v_bitop3_b32 v62, v62, v189, v188 bitop3:0x80
	s_delay_alu instid0(VALU_DEP_4) | instskip(SKIP_3) | instid1(VALU_DEP_2)
	v_xor_b32_e32 v63, vcc_lo, v63
	ds_load_b32 v188, v65 offset:544
	; wave barrier
	v_bitop3_b32 v62, v62, v63, v190 bitop3:0x80
	v_mul_u32_u24_e32 v63, 36, v64
	v_mbcnt_lo_u32_b32 v189, v62, 0
	v_cmp_ne_u32_e64 s17, 0, v62
	s_delay_alu instid0(VALU_DEP_3) | instskip(NEXT) | instid1(VALU_DEP_3)
	v_add_nc_u32_e32 v191, v114, v63
	v_cmp_eq_u32_e32 vcc_lo, 0, v189
	s_and_b32 s18, s17, vcc_lo
	s_delay_alu instid0(SALU_CYCLE_1)
	s_and_saveexec_b32 s17, s18
	s_cbranch_execz .LBB84_464
; %bb.463:                              ;   in Loop: Header=BB84_410 Depth=2
	s_wait_dscnt 0x0
	v_bcnt_u32_b32 v62, v62, v188
	ds_store_b32 v191, v62 offset:544
.LBB84_464:                             ;   in Loop: Header=BB84_410 Depth=2
	s_or_b32 exec_lo, exec_lo, s17
	v_lshrrev_b32_e32 v190, 24, v135
	; wave barrier
	s_delay_alu instid0(VALU_DEP_1) | instskip(NEXT) | instid1(VALU_DEP_1)
	v_lshrrev_b32_e32 v62, s43, v190
	v_and_b32_e32 v64, s48, v62
	s_delay_alu instid0(VALU_DEP_1) | instskip(SKIP_3) | instid1(VALU_DEP_3)
	v_lshlrev_b32_e32 v65, 30, v64
	v_bitop3_b32 v63, v62, 1, s48 bitop3:0x80
	v_dual_lshlrev_b32 v192, 29, v64 :: v_dual_lshlrev_b32 v193, 28, v64
	v_dual_lshlrev_b32 v194, 27, v64 :: v_dual_lshlrev_b32 v195, 26, v64
	v_add_co_u32 v62, s17, v63, -1
	s_delay_alu instid0(VALU_DEP_1)
	v_cndmask_b32_e64 v63, 0, 1, s17
	v_cmp_gt_i32_e64 s17, 0, v65
	v_cmp_gt_i32_e64 s18, 0, v192
	v_cmp_gt_i32_e64 s19, 0, v193
	v_cmp_gt_i32_e64 s20, 0, v194
	v_cmp_ne_u32_e32 vcc_lo, 0, v63
	v_not_b32_e32 v63, v65
	v_not_b32_e32 v65, v192
	v_lshlrev_b32_e32 v196, 25, v64
	v_not_b32_e32 v192, v193
	v_not_b32_e32 v193, v194
	s_delay_alu instid0(VALU_DEP_4)
	v_dual_ashrrev_i32 v63, 31, v63 :: v_dual_ashrrev_i32 v65, 31, v65
	v_cmp_gt_i32_e64 s21, 0, v195
	v_not_b32_e32 v194, v195
	v_bitop3_b32 v62, vcc_lo, exec_lo, v62 bitop3:0x48
	v_dual_ashrrev_i32 v192, 31, v192 :: v_dual_ashrrev_i32 v193, 31, v193
	v_xor_b32_e32 v63, s17, v63
	s_delay_alu instid0(VALU_DEP_4) | instskip(SKIP_1) | instid1(VALU_DEP_4)
	v_dual_ashrrev_i32 v194, 31, v194 :: v_dual_bitop2_b32 v65, s18, v65 bitop3:0x14
	v_not_b32_e32 v195, v196
	v_xor_b32_e32 v192, s19, v192
	v_xor_b32_e32 v193, s20, v193
	s_delay_alu instid0(VALU_DEP_4)
	v_bitop3_b32 v62, v62, v65, v63 bitop3:0x80
	v_cmp_gt_i32_e32 vcc_lo, 0, v196
	v_ashrrev_i32_e32 v63, 31, v195
	v_mad_u32_u24 v65, v64, 36, v114
	v_xor_b32_e32 v194, s21, v194
	v_bitop3_b32 v62, v62, v193, v192 bitop3:0x80
	s_delay_alu instid0(VALU_DEP_4) | instskip(SKIP_3) | instid1(VALU_DEP_2)
	v_xor_b32_e32 v63, vcc_lo, v63
	ds_load_b32 v192, v65 offset:544
	; wave barrier
	v_bitop3_b32 v62, v62, v63, v194 bitop3:0x80
	v_mul_u32_u24_e32 v63, 36, v64
	v_mbcnt_lo_u32_b32 v193, v62, 0
	v_cmp_ne_u32_e64 s17, 0, v62
	s_delay_alu instid0(VALU_DEP_3) | instskip(NEXT) | instid1(VALU_DEP_3)
	v_add_nc_u32_e32 v194, v114, v63
	v_cmp_eq_u32_e32 vcc_lo, 0, v193
	s_and_b32 s18, s17, vcc_lo
	s_delay_alu instid0(SALU_CYCLE_1)
	s_and_saveexec_b32 s17, s18
	s_cbranch_execz .LBB84_466
; %bb.465:                              ;   in Loop: Header=BB84_410 Depth=2
	s_wait_dscnt 0x0
	v_bcnt_u32_b32 v62, v62, v192
	ds_store_b32 v194, v62 offset:544
.LBB84_466:                             ;   in Loop: Header=BB84_410 Depth=2
	s_or_b32 exec_lo, exec_lo, s17
	v_xor_b32_e32 v121, -1, v121
	; wave barrier
	s_delay_alu instid0(VALU_DEP_1) | instskip(NEXT) | instid1(VALU_DEP_1)
	v_and_b32_e32 v62, 0xff, v121
	v_lshrrev_b32_e32 v62, s43, v62
	s_delay_alu instid0(VALU_DEP_1) | instskip(SKIP_1) | instid1(VALU_DEP_2)
	v_bitop3_b32 v63, v62, 1, s48 bitop3:0x80
	v_and_b32_e32 v64, s48, v62
	v_add_co_u32 v62, s17, v63, -1
	s_delay_alu instid0(VALU_DEP_1) | instskip(NEXT) | instid1(VALU_DEP_3)
	v_cndmask_b32_e64 v63, 0, 1, s17
	v_lshlrev_b32_e32 v65, 30, v64
	s_delay_alu instid0(VALU_DEP_2) | instskip(NEXT) | instid1(VALU_DEP_2)
	v_cmp_ne_u32_e32 vcc_lo, 0, v63
	v_not_b32_e32 v63, v65
	v_bitop3_b32 v62, vcc_lo, exec_lo, v62 bitop3:0x48
	s_delay_alu instid0(VALU_DEP_2) | instskip(SKIP_3) | instid1(VALU_DEP_4)
	v_dual_ashrrev_i32 v63, 31, v63 :: v_dual_lshlrev_b32 v195, 29, v64
	v_dual_lshlrev_b32 v196, 28, v64 :: v_dual_lshlrev_b32 v197, 27, v64
	v_cmp_gt_i32_e64 s17, 0, v65
	v_dual_lshlrev_b32 v198, 26, v64 :: v_dual_lshlrev_b32 v199, 25, v64
	v_not_b32_e32 v65, v195
	v_cmp_gt_i32_e64 s18, 0, v195
	v_cmp_gt_i32_e64 s19, 0, v196
	v_not_b32_e32 v195, v196
	v_not_b32_e32 v196, v197
	v_ashrrev_i32_e32 v65, 31, v65
	v_cmp_gt_i32_e64 s20, 0, v197
	v_cmp_gt_i32_e64 s21, 0, v198
	v_not_b32_e32 v197, v198
	v_not_b32_e32 v198, v199
	v_dual_ashrrev_i32 v195, 31, v195 :: v_dual_ashrrev_i32 v196, 31, v196
	v_xor_b32_e32 v63, s17, v63
	s_delay_alu instid0(VALU_DEP_3) | instskip(SKIP_1) | instid1(VALU_DEP_4)
	v_dual_ashrrev_i32 v198, 31, v198 :: v_dual_bitop2_b32 v65, s18, v65 bitop3:0x14
	v_cmp_gt_i32_e64 s22, 0, v199
	v_dual_ashrrev_i32 v197, 31, v197 :: v_dual_bitop2_b32 v195, s19, v195 bitop3:0x14
	v_xor_b32_e32 v196, s20, v196
	s_delay_alu instid0(VALU_DEP_4) | instskip(SKIP_1) | instid1(VALU_DEP_4)
	v_bitop3_b32 v62, v62, v65, v63 bitop3:0x80
	v_mad_u32_u24 v63, v64, 36, v114
	v_xor_b32_e32 v65, s21, v197
	v_xor_b32_e32 v197, s22, v198
	s_delay_alu instid0(VALU_DEP_4) | instskip(SKIP_3) | instid1(VALU_DEP_2)
	v_bitop3_b32 v62, v62, v196, v195 bitop3:0x80
	ds_load_b32 v195, v63 offset:544
	v_mul_u32_u24_e32 v63, 36, v64
	; wave barrier
	v_bitop3_b32 v62, v62, v197, v65 bitop3:0x80
	v_add_nc_u32_e32 v197, v114, v63
	s_delay_alu instid0(VALU_DEP_2) | instskip(SKIP_1) | instid1(VALU_DEP_2)
	v_mbcnt_lo_u32_b32 v196, v62, 0
	v_cmp_ne_u32_e64 s17, 0, v62
	v_cmp_eq_u32_e32 vcc_lo, 0, v196
	s_and_b32 s18, s17, vcc_lo
	s_delay_alu instid0(SALU_CYCLE_1)
	s_and_saveexec_b32 s17, s18
	s_cbranch_execz .LBB84_468
; %bb.467:                              ;   in Loop: Header=BB84_410 Depth=2
	s_wait_dscnt 0x0
	v_bcnt_u32_b32 v62, v62, v195
	ds_store_b32 v197, v62 offset:544
.LBB84_468:                             ;   in Loop: Header=BB84_410 Depth=2
	s_or_b32 exec_lo, exec_lo, s17
	; wave barrier
	s_wait_dscnt 0x0
	s_barrier_signal -1
	s_barrier_wait -1
	ds_load_2addr_b32 v[64:65], v90 offset0:136 offset1:137
	ds_load_2addr_b32 v[62:63], v90 offset0:138 offset1:139
	ds_load_b32 v198, v90 offset:560
	s_wait_dscnt 0x1
	v_add3_u32 v199, v65, v64, v62
	s_wait_dscnt 0x0
	s_delay_alu instid0(VALU_DEP_1) | instskip(NEXT) | instid1(VALU_DEP_1)
	v_add3_u32 v198, v199, v63, v198
	v_mov_b32_dpp v199, v198 row_shr:1 row_mask:0xf bank_mask:0xf
	s_delay_alu instid0(VALU_DEP_1) | instskip(NEXT) | instid1(VALU_DEP_1)
	v_cndmask_b32_e64 v199, v199, 0, s8
	v_add_nc_u32_e32 v198, v199, v198
	s_delay_alu instid0(VALU_DEP_1) | instskip(NEXT) | instid1(VALU_DEP_1)
	v_mov_b32_dpp v199, v198 row_shr:2 row_mask:0xf bank_mask:0xf
	v_cndmask_b32_e64 v199, 0, v199, s9
	s_delay_alu instid0(VALU_DEP_1) | instskip(NEXT) | instid1(VALU_DEP_1)
	v_add_nc_u32_e32 v198, v198, v199
	v_mov_b32_dpp v199, v198 row_shr:4 row_mask:0xf bank_mask:0xf
	s_delay_alu instid0(VALU_DEP_1) | instskip(NEXT) | instid1(VALU_DEP_1)
	v_cndmask_b32_e64 v199, 0, v199, s10
	v_add_nc_u32_e32 v198, v198, v199
	s_delay_alu instid0(VALU_DEP_1) | instskip(NEXT) | instid1(VALU_DEP_1)
	v_mov_b32_dpp v199, v198 row_shr:8 row_mask:0xf bank_mask:0xf
	v_cndmask_b32_e64 v199, 0, v199, s11
	s_delay_alu instid0(VALU_DEP_1) | instskip(SKIP_3) | instid1(VALU_DEP_1)
	v_add_nc_u32_e32 v198, v198, v199
	ds_swizzle_b32 v199, v198 offset:swizzle(BROADCAST,32,15)
	s_wait_dscnt 0x0
	v_cndmask_b32_e64 v199, v199, 0, s12
	v_add_nc_u32_e32 v198, v198, v199
	s_and_saveexec_b32 s17, s2
; %bb.469:                              ;   in Loop: Header=BB84_410 Depth=2
	ds_store_b32 v83, v198 offset:512
; %bb.470:                              ;   in Loop: Header=BB84_410 Depth=2
	s_or_b32 exec_lo, exec_lo, s17
	s_wait_dscnt 0x0
	s_barrier_signal -1
	s_barrier_wait -1
	s_and_saveexec_b32 s17, s3
	s_cbranch_execz .LBB84_472
; %bb.471:                              ;   in Loop: Header=BB84_410 Depth=2
	ds_load_b32 v199, v92 offset:512
	s_wait_dscnt 0x0
	v_mov_b32_dpp v200, v199 row_shr:1 row_mask:0xf bank_mask:0xf
	s_delay_alu instid0(VALU_DEP_1) | instskip(NEXT) | instid1(VALU_DEP_1)
	v_cndmask_b32_e64 v200, v200, 0, s14
	v_add_nc_u32_e32 v199, v200, v199
	s_delay_alu instid0(VALU_DEP_1) | instskip(NEXT) | instid1(VALU_DEP_1)
	v_mov_b32_dpp v200, v199 row_shr:2 row_mask:0xf bank_mask:0xf
	v_cndmask_b32_e64 v200, 0, v200, s15
	s_delay_alu instid0(VALU_DEP_1) | instskip(NEXT) | instid1(VALU_DEP_1)
	v_add_nc_u32_e32 v199, v199, v200
	v_mov_b32_dpp v200, v199 row_shr:4 row_mask:0xf bank_mask:0xf
	s_delay_alu instid0(VALU_DEP_1) | instskip(NEXT) | instid1(VALU_DEP_1)
	v_cndmask_b32_e64 v200, 0, v200, s16
	v_add_nc_u32_e32 v199, v199, v200
	ds_store_b32 v92, v199 offset:512
.LBB84_472:                             ;   in Loop: Header=BB84_410 Depth=2
	s_or_b32 exec_lo, exec_lo, s17
	v_mov_b32_e32 v199, 0
	s_wait_dscnt 0x0
	s_barrier_signal -1
	s_barrier_wait -1
	s_and_saveexec_b32 s17, s5
; %bb.473:                              ;   in Loop: Header=BB84_410 Depth=2
	ds_load_b32 v199, v83 offset:508
; %bb.474:                              ;   in Loop: Header=BB84_410 Depth=2
	s_or_b32 exec_lo, exec_lo, s17
	s_wait_dscnt 0x0
	v_add_nc_u32_e32 v198, v199, v198
	ds_bpermute_b32 v198, v96, v198
	s_wait_dscnt 0x0
	v_cndmask_b32_e64 v198, v198, v199, s13
	s_delay_alu instid0(VALU_DEP_1) | instskip(NEXT) | instid1(VALU_DEP_1)
	v_cndmask_b32_e64 v198, v198, 0, s6
	v_add_nc_u32_e32 v64, v198, v64
	s_delay_alu instid0(VALU_DEP_1) | instskip(NEXT) | instid1(VALU_DEP_1)
	v_add_nc_u32_e32 v65, v64, v65
	v_add_nc_u32_e32 v62, v65, v62
	s_delay_alu instid0(VALU_DEP_1)
	v_add_nc_u32_e32 v63, v62, v63
	ds_store_2addr_b32 v90, v198, v64 offset0:136 offset1:137
	ds_store_2addr_b32 v90, v65, v62 offset0:138 offset1:139
	ds_store_b32 v90, v63 offset:560
	s_wait_dscnt 0x0
	s_barrier_signal -1
	s_barrier_wait -1
	ds_load_b32 v62, v149 offset:544
	ds_load_b32 v63, v152 offset:544
	;; [unrolled: 1-line block ×17, first 2 shown]
	s_and_saveexec_b32 s17, s0
	s_cbranch_execz .LBB84_478
; %bb.475:                              ;   in Loop: Header=BB84_410 Depth=2
	v_dual_mov_b32 v134, 0x1100 :: v_dual_add_nc_u32 v133, v92, v94
	ds_load_b32 v133, v133 offset:544
	s_and_saveexec_b32 s18, s7
; %bb.476:                              ;   in Loop: Header=BB84_410 Depth=2
	ds_load_b32 v134, v93 offset:544
; %bb.477:                              ;   in Loop: Header=BB84_410 Depth=2
	s_or_b32 exec_lo, exec_lo, s18
	s_wait_dscnt 0x0
	v_sub_nc_u32_e32 v134, v134, v133
.LBB84_478:                             ;   in Loop: Header=BB84_410 Depth=2
	s_or_b32 exec_lo, exec_lo, s17
	v_dual_lshrrev_b32 v202, 8, v148 :: v_dual_lshrrev_b32 v203, 16, v148
	v_dual_lshrrev_b32 v200, 8, v143 :: v_dual_lshrrev_b32 v201, 16, v143
	;; [unrolled: 1-line block ×4, first 2 shown]
	s_wait_dscnt 0x0
	s_barrier_signal -1
	s_barrier_wait -1
	s_and_saveexec_b32 s17, s0
	s_cbranch_execz .LBB84_480
; %bb.479:                              ;   in Loop: Header=BB84_410 Depth=2
	ds_load_b32 v135, v66
	s_wait_dscnt 0x0
	v_sub_nc_u32_e32 v135, v135, v133
	ds_store_b32 v66, v135
.LBB84_480:                             ;   in Loop: Header=BB84_410 Depth=2
	s_or_b32 exec_lo, exec_lo, s17
	v_add_nc_u32_e32 v156, v62, v146
	v_add3_u32 v152, v151, v150, v63
	v_add3_u32 v151, v154, v153, v64
	;; [unrolled: 1-line block ×16, first 2 shown]
	v_cmp_lt_u32_e32 vcc_lo, v2, v137
	ds_store_b8 v156, v147 offset:512
	ds_store_b8 v152, v202 offset:512
	;; [unrolled: 1-line block ×17, first 2 shown]
	s_wait_dscnt 0x0
	s_barrier_signal -1
	s_barrier_wait -1
	s_and_saveexec_b32 s17, vcc_lo
	s_cbranch_execnz .LBB84_553
; %bb.481:                              ;   in Loop: Header=BB84_410 Depth=2
	s_or_b32 exec_lo, exec_lo, s17
	v_cmp_lt_u32_e64 s17, v67, v137
	s_and_saveexec_b32 s18, s17
	s_cbranch_execnz .LBB84_554
.LBB84_482:                             ;   in Loop: Header=BB84_410 Depth=2
	s_or_b32 exec_lo, exec_lo, s18
	v_cmp_lt_u32_e64 s18, v68, v137
	s_and_saveexec_b32 s19, s18
	s_cbranch_execnz .LBB84_555
.LBB84_483:                             ;   in Loop: Header=BB84_410 Depth=2
	s_or_b32 exec_lo, exec_lo, s19
	v_cmp_lt_u32_e64 s19, v69, v137
	s_and_saveexec_b32 s20, s19
	s_cbranch_execnz .LBB84_556
.LBB84_484:                             ;   in Loop: Header=BB84_410 Depth=2
	s_or_b32 exec_lo, exec_lo, s20
	v_cmp_lt_u32_e64 s20, v70, v137
	s_and_saveexec_b32 s21, s20
	s_cbranch_execnz .LBB84_557
.LBB84_485:                             ;   in Loop: Header=BB84_410 Depth=2
	s_or_b32 exec_lo, exec_lo, s21
	v_cmp_lt_u32_e64 s21, v71, v137
	s_and_saveexec_b32 s22, s21
	s_cbranch_execnz .LBB84_558
.LBB84_486:                             ;   in Loop: Header=BB84_410 Depth=2
	s_or_b32 exec_lo, exec_lo, s22
	v_cmp_lt_u32_e64 s22, v72, v137
	s_and_saveexec_b32 s23, s22
	s_cbranch_execnz .LBB84_559
.LBB84_487:                             ;   in Loop: Header=BB84_410 Depth=2
	s_or_b32 exec_lo, exec_lo, s23
	v_cmp_lt_u32_e64 s23, v73, v137
	s_and_saveexec_b32 s24, s23
	s_cbranch_execnz .LBB84_560
.LBB84_488:                             ;   in Loop: Header=BB84_410 Depth=2
	s_or_b32 exec_lo, exec_lo, s24
	v_cmp_lt_u32_e64 s24, v74, v137
	s_and_saveexec_b32 s25, s24
	s_cbranch_execnz .LBB84_561
.LBB84_489:                             ;   in Loop: Header=BB84_410 Depth=2
	s_or_b32 exec_lo, exec_lo, s25
	v_cmp_lt_u32_e64 s25, v75, v137
	s_and_saveexec_b32 s26, s25
	s_cbranch_execnz .LBB84_562
.LBB84_490:                             ;   in Loop: Header=BB84_410 Depth=2
	s_or_b32 exec_lo, exec_lo, s26
	v_cmp_lt_u32_e64 s26, v76, v137
	s_and_saveexec_b32 s27, s26
	s_cbranch_execnz .LBB84_563
.LBB84_491:                             ;   in Loop: Header=BB84_410 Depth=2
	s_or_b32 exec_lo, exec_lo, s27
	v_cmp_lt_u32_e64 s27, v77, v137
	s_and_saveexec_b32 s28, s27
	s_cbranch_execnz .LBB84_564
.LBB84_492:                             ;   in Loop: Header=BB84_410 Depth=2
	s_or_b32 exec_lo, exec_lo, s28
	v_cmp_lt_u32_e64 s28, v78, v137
	s_and_saveexec_b32 s29, s28
	s_cbranch_execnz .LBB84_565
.LBB84_493:                             ;   in Loop: Header=BB84_410 Depth=2
	s_or_b32 exec_lo, exec_lo, s29
	v_cmp_lt_u32_e64 s29, v79, v137
	s_and_saveexec_b32 s30, s29
	s_cbranch_execnz .LBB84_566
.LBB84_494:                             ;   in Loop: Header=BB84_410 Depth=2
	s_or_b32 exec_lo, exec_lo, s30
	v_cmp_lt_u32_e64 s30, v80, v137
	s_and_saveexec_b32 s31, s30
	s_cbranch_execnz .LBB84_567
.LBB84_495:                             ;   in Loop: Header=BB84_410 Depth=2
	s_or_b32 exec_lo, exec_lo, s31
	v_cmp_lt_u32_e64 s31, v81, v137
	s_and_saveexec_b32 s33, s31
	s_cbranch_execnz .LBB84_568
.LBB84_496:                             ;   in Loop: Header=BB84_410 Depth=2
	s_or_b32 exec_lo, exec_lo, s33
	v_cmp_lt_u32_e64 s33, v82, v137
	s_and_saveexec_b32 s60, s33
	s_cbranch_execz .LBB84_498
.LBB84_497:                             ;   in Loop: Header=BB84_410 Depth=2
	ds_load_u8 v62, v2 offset:4608
	s_wait_dscnt 0x0
	v_and_b32_e32 v63, 0xff, v62
	s_delay_alu instid0(VALU_DEP_1) | instskip(NEXT) | instid1(VALU_DEP_1)
	v_dual_lshrrev_b32 v63, s43, v63 :: v_dual_bitop2_b32 v62, -1, v62 bitop3:0x14
	v_and_b32_e32 v63, s48, v63
	s_delay_alu instid0(VALU_DEP_1)
	v_lshlrev_b32_e32 v63, 2, v63
	ds_load_b32 v63, v63
	s_wait_dscnt 0x0
	v_add_nc_u32_e32 v63, v63, v82
	global_store_b8 v63, v62, s[40:41]
.LBB84_498:                             ;   in Loop: Header=BB84_410 Depth=2
	s_wait_xcnt 0x0
	s_or_b32 exec_lo, exec_lo, s60
	v_lshl_add_u64 v[62:63], s[34:35], 3, v[26:27]
	v_cmp_lt_u32_e64 s34, v97, v137
	s_and_saveexec_b32 s60, s34
	s_delay_alu instid0(SALU_CYCLE_1)
	s_xor_b32 s34, exec_lo, s60
	s_cbranch_execnz .LBB84_569
; %bb.499:                              ;   in Loop: Header=BB84_410 Depth=2
	s_or_b32 exec_lo, exec_lo, s34
	s_delay_alu instid0(SALU_CYCLE_1)
	s_mov_b32 s60, exec_lo
	v_cmpx_lt_u32_e64 v98, v137
	s_cbranch_execnz .LBB84_570
.LBB84_500:                             ;   in Loop: Header=BB84_410 Depth=2
	s_or_b32 exec_lo, exec_lo, s60
	s_delay_alu instid0(SALU_CYCLE_1)
	s_mov_b32 s60, exec_lo
	v_cmpx_lt_u32_e64 v99, v137
	s_cbranch_execnz .LBB84_571
.LBB84_501:                             ;   in Loop: Header=BB84_410 Depth=2
	s_or_b32 exec_lo, exec_lo, s60
	s_delay_alu instid0(SALU_CYCLE_1)
	s_mov_b32 s60, exec_lo
	v_cmpx_lt_u32_e64 v100, v137
	s_cbranch_execnz .LBB84_572
.LBB84_502:                             ;   in Loop: Header=BB84_410 Depth=2
	s_or_b32 exec_lo, exec_lo, s60
	s_delay_alu instid0(SALU_CYCLE_1)
	s_mov_b32 s60, exec_lo
	v_cmpx_lt_u32_e64 v101, v137
	s_cbranch_execnz .LBB84_573
.LBB84_503:                             ;   in Loop: Header=BB84_410 Depth=2
	s_or_b32 exec_lo, exec_lo, s60
	s_delay_alu instid0(SALU_CYCLE_1)
	s_mov_b32 s60, exec_lo
	v_cmpx_lt_u32_e64 v102, v137
	s_cbranch_execnz .LBB84_574
.LBB84_504:                             ;   in Loop: Header=BB84_410 Depth=2
	s_or_b32 exec_lo, exec_lo, s60
	s_delay_alu instid0(SALU_CYCLE_1)
	s_mov_b32 s60, exec_lo
	v_cmpx_lt_u32_e64 v103, v137
	s_cbranch_execnz .LBB84_575
.LBB84_505:                             ;   in Loop: Header=BB84_410 Depth=2
	s_or_b32 exec_lo, exec_lo, s60
	s_delay_alu instid0(SALU_CYCLE_1)
	s_mov_b32 s60, exec_lo
	v_cmpx_lt_u32_e64 v104, v137
	s_cbranch_execnz .LBB84_576
.LBB84_506:                             ;   in Loop: Header=BB84_410 Depth=2
	s_or_b32 exec_lo, exec_lo, s60
	s_delay_alu instid0(SALU_CYCLE_1)
	s_mov_b32 s60, exec_lo
	v_cmpx_lt_u32_e64 v105, v137
	s_cbranch_execnz .LBB84_577
.LBB84_507:                             ;   in Loop: Header=BB84_410 Depth=2
	s_or_b32 exec_lo, exec_lo, s60
	s_delay_alu instid0(SALU_CYCLE_1)
	s_mov_b32 s60, exec_lo
	v_cmpx_lt_u32_e64 v106, v137
	s_cbranch_execnz .LBB84_578
.LBB84_508:                             ;   in Loop: Header=BB84_410 Depth=2
	s_or_b32 exec_lo, exec_lo, s60
	s_delay_alu instid0(SALU_CYCLE_1)
	s_mov_b32 s60, exec_lo
	v_cmpx_lt_u32_e64 v107, v137
	s_cbranch_execnz .LBB84_579
.LBB84_509:                             ;   in Loop: Header=BB84_410 Depth=2
	s_or_b32 exec_lo, exec_lo, s60
	s_delay_alu instid0(SALU_CYCLE_1)
	s_mov_b32 s60, exec_lo
	v_cmpx_lt_u32_e64 v108, v137
	s_cbranch_execnz .LBB84_580
.LBB84_510:                             ;   in Loop: Header=BB84_410 Depth=2
	s_or_b32 exec_lo, exec_lo, s60
	s_delay_alu instid0(SALU_CYCLE_1)
	s_mov_b32 s60, exec_lo
	v_cmpx_lt_u32_e64 v109, v137
	s_cbranch_execnz .LBB84_581
.LBB84_511:                             ;   in Loop: Header=BB84_410 Depth=2
	s_or_b32 exec_lo, exec_lo, s60
	s_delay_alu instid0(SALU_CYCLE_1)
	s_mov_b32 s60, exec_lo
	v_cmpx_lt_u32_e64 v110, v137
	s_cbranch_execnz .LBB84_582
.LBB84_512:                             ;   in Loop: Header=BB84_410 Depth=2
	s_or_b32 exec_lo, exec_lo, s60
	s_delay_alu instid0(SALU_CYCLE_1)
	s_mov_b32 s60, exec_lo
	v_cmpx_lt_u32_e64 v111, v137
	s_cbranch_execnz .LBB84_583
.LBB84_513:                             ;   in Loop: Header=BB84_410 Depth=2
	s_or_b32 exec_lo, exec_lo, s60
	s_delay_alu instid0(SALU_CYCLE_1)
	s_mov_b32 s60, exec_lo
	v_cmpx_lt_u32_e64 v112, v137
	s_cbranch_execnz .LBB84_584
.LBB84_514:                             ;   in Loop: Header=BB84_410 Depth=2
	s_or_b32 exec_lo, exec_lo, s60
	s_delay_alu instid0(SALU_CYCLE_1)
	s_mov_b32 s60, exec_lo
	v_cmpx_lt_u32_e64 v113, v137
	s_cbranch_execnz .LBB84_585
.LBB84_515:                             ;   in Loop: Header=BB84_410 Depth=2
	s_or_b32 exec_lo, exec_lo, s60
	s_and_saveexec_b32 s34, vcc_lo
	s_cbranch_execnz .LBB84_586
.LBB84_516:                             ;   in Loop: Header=BB84_410 Depth=2
	s_or_b32 exec_lo, exec_lo, s34
	s_and_saveexec_b32 s34, s17
	s_cbranch_execnz .LBB84_587
.LBB84_517:                             ;   in Loop: Header=BB84_410 Depth=2
	s_or_b32 exec_lo, exec_lo, s34
	s_and_saveexec_b32 s34, s18
	s_cbranch_execnz .LBB84_588
.LBB84_518:                             ;   in Loop: Header=BB84_410 Depth=2
	s_or_b32 exec_lo, exec_lo, s34
	s_and_saveexec_b32 s34, s19
	s_cbranch_execnz .LBB84_589
.LBB84_519:                             ;   in Loop: Header=BB84_410 Depth=2
	s_or_b32 exec_lo, exec_lo, s34
	s_and_saveexec_b32 s34, s20
	s_cbranch_execnz .LBB84_590
.LBB84_520:                             ;   in Loop: Header=BB84_410 Depth=2
	s_or_b32 exec_lo, exec_lo, s34
	s_and_saveexec_b32 s34, s21
	s_cbranch_execnz .LBB84_591
.LBB84_521:                             ;   in Loop: Header=BB84_410 Depth=2
	s_or_b32 exec_lo, exec_lo, s34
	s_and_saveexec_b32 s34, s22
	s_cbranch_execnz .LBB84_592
.LBB84_522:                             ;   in Loop: Header=BB84_410 Depth=2
	s_or_b32 exec_lo, exec_lo, s34
	s_and_saveexec_b32 s34, s23
	s_cbranch_execnz .LBB84_593
.LBB84_523:                             ;   in Loop: Header=BB84_410 Depth=2
	s_or_b32 exec_lo, exec_lo, s34
	s_and_saveexec_b32 s34, s24
	s_cbranch_execnz .LBB84_594
.LBB84_524:                             ;   in Loop: Header=BB84_410 Depth=2
	s_or_b32 exec_lo, exec_lo, s34
	s_and_saveexec_b32 s34, s25
	s_cbranch_execnz .LBB84_595
.LBB84_525:                             ;   in Loop: Header=BB84_410 Depth=2
	s_or_b32 exec_lo, exec_lo, s34
	s_and_saveexec_b32 s34, s26
	s_cbranch_execnz .LBB84_596
.LBB84_526:                             ;   in Loop: Header=BB84_410 Depth=2
	s_or_b32 exec_lo, exec_lo, s34
	s_and_saveexec_b32 s34, s27
	s_cbranch_execnz .LBB84_597
.LBB84_527:                             ;   in Loop: Header=BB84_410 Depth=2
	s_or_b32 exec_lo, exec_lo, s34
	s_and_saveexec_b32 s34, s28
	s_cbranch_execnz .LBB84_598
.LBB84_528:                             ;   in Loop: Header=BB84_410 Depth=2
	s_or_b32 exec_lo, exec_lo, s34
	s_and_saveexec_b32 s34, s29
	s_cbranch_execnz .LBB84_599
.LBB84_529:                             ;   in Loop: Header=BB84_410 Depth=2
	s_or_b32 exec_lo, exec_lo, s34
	s_and_saveexec_b32 s34, s30
	s_cbranch_execnz .LBB84_600
.LBB84_530:                             ;   in Loop: Header=BB84_410 Depth=2
	s_or_b32 exec_lo, exec_lo, s34
	s_and_saveexec_b32 s34, s31
	s_cbranch_execnz .LBB84_601
.LBB84_531:                             ;   in Loop: Header=BB84_410 Depth=2
	s_or_b32 exec_lo, exec_lo, s34
	s_and_saveexec_b32 s34, s33
	s_cbranch_execz .LBB84_533
.LBB84_532:                             ;   in Loop: Header=BB84_410 Depth=2
	ds_load_u8 v62, v2 offset:4608
	s_wait_dscnt 0x0
	v_lshrrev_b32_e32 v62, s43, v62
	s_delay_alu instid0(VALU_DEP_1)
	v_and_b32_e32 v115, s48, v62
.LBB84_533:                             ;   in Loop: Header=BB84_410 Depth=2
	s_or_b32 exec_lo, exec_lo, s34
	v_lshlrev_b32_e32 v62, 3, v156
	v_lshlrev_b32_e32 v63, 3, v152
	s_wait_loadcnt 0x0
	s_wait_storecnt 0x0
	s_barrier_signal -1
	s_barrier_wait -1
	ds_store_b64 v62, v[60:61] offset:512
	ds_store_b64 v63, v[58:59] offset:512
	v_dual_lshlrev_b32 v62, 3, v151 :: v_dual_lshlrev_b32 v63, 3, v150
	v_dual_lshlrev_b32 v137, 3, v149 :: v_dual_lshlrev_b32 v138, 3, v148
	v_lshlrev_b32_e32 v142, 3, v146
	ds_store_b64 v62, v[56:57] offset:512
	ds_store_b64 v63, v[54:55] offset:512
	ds_store_b64 v137, v[52:53] offset:512
	ds_store_b64 v138, v[50:51] offset:512
	ds_store_b64 v142, v[48:49] offset:512
	v_dual_lshlrev_b32 v62, 3, v145 :: v_dual_lshlrev_b32 v63, 3, v144
	v_dual_lshlrev_b32 v137, 3, v143 :: v_dual_lshlrev_b32 v138, 3, v141
	v_lshlrev_b32_e32 v140, 3, v140
	ds_store_b64 v62, v[46:47] offset:512
	ds_store_b64 v63, v[44:45] offset:512
	ds_store_b64 v137, v[42:43] offset:512
	;; [unrolled: 8-line block ×3, first 2 shown]
	ds_store_b64 v65, v[30:31] offset:512
	ds_store_b64 v64, v[28:29] offset:512
	s_wait_dscnt 0x0
	s_barrier_signal -1
	s_barrier_wait -1
	s_and_saveexec_b32 s34, vcc_lo
	s_cbranch_execnz .LBB84_602
; %bb.534:                              ;   in Loop: Header=BB84_410 Depth=2
	s_or_b32 exec_lo, exec_lo, s34
	s_and_saveexec_b32 s34, s17
	s_cbranch_execnz .LBB84_603
.LBB84_535:                             ;   in Loop: Header=BB84_410 Depth=2
	s_or_b32 exec_lo, exec_lo, s34
	s_and_saveexec_b32 s17, s18
	s_cbranch_execnz .LBB84_604
.LBB84_536:                             ;   in Loop: Header=BB84_410 Depth=2
	s_or_b32 exec_lo, exec_lo, s17
	s_and_saveexec_b32 s17, s19
	s_cbranch_execnz .LBB84_605
.LBB84_537:                             ;   in Loop: Header=BB84_410 Depth=2
	s_or_b32 exec_lo, exec_lo, s17
	s_and_saveexec_b32 s17, s20
	s_cbranch_execnz .LBB84_606
.LBB84_538:                             ;   in Loop: Header=BB84_410 Depth=2
	s_or_b32 exec_lo, exec_lo, s17
	s_and_saveexec_b32 s17, s21
	s_cbranch_execnz .LBB84_607
.LBB84_539:                             ;   in Loop: Header=BB84_410 Depth=2
	s_or_b32 exec_lo, exec_lo, s17
	s_and_saveexec_b32 s17, s22
	s_cbranch_execnz .LBB84_608
.LBB84_540:                             ;   in Loop: Header=BB84_410 Depth=2
	s_or_b32 exec_lo, exec_lo, s17
	s_and_saveexec_b32 s17, s23
	s_cbranch_execnz .LBB84_609
.LBB84_541:                             ;   in Loop: Header=BB84_410 Depth=2
	s_or_b32 exec_lo, exec_lo, s17
	s_and_saveexec_b32 s17, s24
	s_cbranch_execnz .LBB84_610
.LBB84_542:                             ;   in Loop: Header=BB84_410 Depth=2
	s_or_b32 exec_lo, exec_lo, s17
	s_and_saveexec_b32 s17, s25
	s_cbranch_execnz .LBB84_611
.LBB84_543:                             ;   in Loop: Header=BB84_410 Depth=2
	s_or_b32 exec_lo, exec_lo, s17
	s_and_saveexec_b32 s17, s26
	s_cbranch_execnz .LBB84_612
.LBB84_544:                             ;   in Loop: Header=BB84_410 Depth=2
	s_or_b32 exec_lo, exec_lo, s17
	s_and_saveexec_b32 s17, s27
	s_cbranch_execnz .LBB84_613
.LBB84_545:                             ;   in Loop: Header=BB84_410 Depth=2
	s_or_b32 exec_lo, exec_lo, s17
	s_and_saveexec_b32 s17, s28
	s_cbranch_execnz .LBB84_614
.LBB84_546:                             ;   in Loop: Header=BB84_410 Depth=2
	s_or_b32 exec_lo, exec_lo, s17
	s_and_saveexec_b32 s17, s29
	s_cbranch_execnz .LBB84_615
.LBB84_547:                             ;   in Loop: Header=BB84_410 Depth=2
	s_or_b32 exec_lo, exec_lo, s17
	s_and_saveexec_b32 s17, s30
	s_cbranch_execnz .LBB84_616
.LBB84_548:                             ;   in Loop: Header=BB84_410 Depth=2
	s_or_b32 exec_lo, exec_lo, s17
	s_and_saveexec_b32 s17, s31
	s_cbranch_execnz .LBB84_617
.LBB84_549:                             ;   in Loop: Header=BB84_410 Depth=2
	s_or_b32 exec_lo, exec_lo, s17
	s_and_saveexec_b32 s17, s33
	s_cbranch_execz .LBB84_551
.LBB84_550:                             ;   in Loop: Header=BB84_410 Depth=2
	v_lshlrev_b32_e32 v62, 2, v115
	v_add_nc_u32_e32 v63, v2, v95
	ds_load_b32 v64, v62
	ds_load_b64 v[62:63], v63 offset:33280
	s_wait_dscnt 0x1
	v_add_nc_u32_e32 v64, v64, v82
	s_wait_dscnt 0x0
	global_store_b64 v64, v[62:63], s[46:47] scale_offset
.LBB84_551:                             ;   in Loop: Header=BB84_410 Depth=2
	s_wait_xcnt 0x0
	s_or_b32 exec_lo, exec_lo, s17
	s_wait_storecnt 0x0
	s_barrier_signal -1
	s_barrier_wait -1
	s_and_saveexec_b32 s17, s0
	s_cbranch_execz .LBB84_409
; %bb.552:                              ;   in Loop: Header=BB84_410 Depth=2
	ds_load_b32 v62, v66
	s_wait_dscnt 0x0
	v_add3_u32 v62, v133, v134, v62
	ds_store_b32 v66, v62
	s_branch .LBB84_409
.LBB84_553:                             ;   in Loop: Header=BB84_410 Depth=2
	ds_load_u8 v62, v2 offset:512
	s_wait_dscnt 0x0
	v_and_b32_e32 v63, 0xff, v62
	s_delay_alu instid0(VALU_DEP_1) | instskip(NEXT) | instid1(VALU_DEP_1)
	v_dual_lshrrev_b32 v63, s43, v63 :: v_dual_bitop2_b32 v62, -1, v62 bitop3:0x14
	v_and_b32_e32 v63, s48, v63
	s_delay_alu instid0(VALU_DEP_1)
	v_lshlrev_b32_e32 v63, 2, v63
	ds_load_b32 v63, v63
	s_wait_dscnt 0x0
	v_add_nc_u32_e32 v63, v63, v2
	global_store_b8 v63, v62, s[40:41]
	s_wait_xcnt 0x0
	s_or_b32 exec_lo, exec_lo, s17
	v_cmp_lt_u32_e64 s17, v67, v137
	s_and_saveexec_b32 s18, s17
	s_cbranch_execz .LBB84_482
.LBB84_554:                             ;   in Loop: Header=BB84_410 Depth=2
	ds_load_u8 v62, v2 offset:768
	s_wait_dscnt 0x0
	v_and_b32_e32 v63, 0xff, v62
	s_delay_alu instid0(VALU_DEP_1) | instskip(NEXT) | instid1(VALU_DEP_1)
	v_dual_lshrrev_b32 v63, s43, v63 :: v_dual_bitop2_b32 v62, -1, v62 bitop3:0x14
	v_and_b32_e32 v63, s48, v63
	s_delay_alu instid0(VALU_DEP_1)
	v_lshlrev_b32_e32 v63, 2, v63
	ds_load_b32 v63, v63
	s_wait_dscnt 0x0
	v_add_nc_u32_e32 v63, v63, v67
	global_store_b8 v63, v62, s[40:41]
	s_wait_xcnt 0x0
	s_or_b32 exec_lo, exec_lo, s18
	v_cmp_lt_u32_e64 s18, v68, v137
	s_and_saveexec_b32 s19, s18
	s_cbranch_execz .LBB84_483
.LBB84_555:                             ;   in Loop: Header=BB84_410 Depth=2
	ds_load_u8 v62, v2 offset:1024
	s_wait_dscnt 0x0
	v_and_b32_e32 v63, 0xff, v62
	s_delay_alu instid0(VALU_DEP_1) | instskip(NEXT) | instid1(VALU_DEP_1)
	v_dual_lshrrev_b32 v63, s43, v63 :: v_dual_bitop2_b32 v62, -1, v62 bitop3:0x14
	v_and_b32_e32 v63, s48, v63
	s_delay_alu instid0(VALU_DEP_1)
	v_lshlrev_b32_e32 v63, 2, v63
	ds_load_b32 v63, v63
	s_wait_dscnt 0x0
	v_add_nc_u32_e32 v63, v63, v68
	global_store_b8 v63, v62, s[40:41]
	s_wait_xcnt 0x0
	s_or_b32 exec_lo, exec_lo, s19
	v_cmp_lt_u32_e64 s19, v69, v137
	s_and_saveexec_b32 s20, s19
	s_cbranch_execz .LBB84_484
.LBB84_556:                             ;   in Loop: Header=BB84_410 Depth=2
	ds_load_u8 v62, v2 offset:1280
	s_wait_dscnt 0x0
	v_and_b32_e32 v63, 0xff, v62
	s_delay_alu instid0(VALU_DEP_1) | instskip(NEXT) | instid1(VALU_DEP_1)
	v_dual_lshrrev_b32 v63, s43, v63 :: v_dual_bitop2_b32 v62, -1, v62 bitop3:0x14
	v_and_b32_e32 v63, s48, v63
	s_delay_alu instid0(VALU_DEP_1)
	v_lshlrev_b32_e32 v63, 2, v63
	ds_load_b32 v63, v63
	s_wait_dscnt 0x0
	v_add_nc_u32_e32 v63, v63, v69
	global_store_b8 v63, v62, s[40:41]
	s_wait_xcnt 0x0
	s_or_b32 exec_lo, exec_lo, s20
	v_cmp_lt_u32_e64 s20, v70, v137
	s_and_saveexec_b32 s21, s20
	s_cbranch_execz .LBB84_485
.LBB84_557:                             ;   in Loop: Header=BB84_410 Depth=2
	ds_load_u8 v62, v2 offset:1536
	s_wait_dscnt 0x0
	v_and_b32_e32 v63, 0xff, v62
	s_delay_alu instid0(VALU_DEP_1) | instskip(NEXT) | instid1(VALU_DEP_1)
	v_dual_lshrrev_b32 v63, s43, v63 :: v_dual_bitop2_b32 v62, -1, v62 bitop3:0x14
	v_and_b32_e32 v63, s48, v63
	s_delay_alu instid0(VALU_DEP_1)
	v_lshlrev_b32_e32 v63, 2, v63
	ds_load_b32 v63, v63
	s_wait_dscnt 0x0
	v_add_nc_u32_e32 v63, v63, v70
	global_store_b8 v63, v62, s[40:41]
	s_wait_xcnt 0x0
	s_or_b32 exec_lo, exec_lo, s21
	v_cmp_lt_u32_e64 s21, v71, v137
	s_and_saveexec_b32 s22, s21
	s_cbranch_execz .LBB84_486
.LBB84_558:                             ;   in Loop: Header=BB84_410 Depth=2
	ds_load_u8 v62, v2 offset:1792
	s_wait_dscnt 0x0
	v_and_b32_e32 v63, 0xff, v62
	s_delay_alu instid0(VALU_DEP_1) | instskip(NEXT) | instid1(VALU_DEP_1)
	v_dual_lshrrev_b32 v63, s43, v63 :: v_dual_bitop2_b32 v62, -1, v62 bitop3:0x14
	v_and_b32_e32 v63, s48, v63
	s_delay_alu instid0(VALU_DEP_1)
	v_lshlrev_b32_e32 v63, 2, v63
	ds_load_b32 v63, v63
	s_wait_dscnt 0x0
	v_add_nc_u32_e32 v63, v63, v71
	global_store_b8 v63, v62, s[40:41]
	s_wait_xcnt 0x0
	s_or_b32 exec_lo, exec_lo, s22
	v_cmp_lt_u32_e64 s22, v72, v137
	s_and_saveexec_b32 s23, s22
	s_cbranch_execz .LBB84_487
.LBB84_559:                             ;   in Loop: Header=BB84_410 Depth=2
	ds_load_u8 v62, v2 offset:2048
	s_wait_dscnt 0x0
	v_and_b32_e32 v63, 0xff, v62
	s_delay_alu instid0(VALU_DEP_1) | instskip(NEXT) | instid1(VALU_DEP_1)
	v_dual_lshrrev_b32 v63, s43, v63 :: v_dual_bitop2_b32 v62, -1, v62 bitop3:0x14
	v_and_b32_e32 v63, s48, v63
	s_delay_alu instid0(VALU_DEP_1)
	v_lshlrev_b32_e32 v63, 2, v63
	ds_load_b32 v63, v63
	s_wait_dscnt 0x0
	v_add_nc_u32_e32 v63, v63, v72
	global_store_b8 v63, v62, s[40:41]
	s_wait_xcnt 0x0
	s_or_b32 exec_lo, exec_lo, s23
	v_cmp_lt_u32_e64 s23, v73, v137
	s_and_saveexec_b32 s24, s23
	s_cbranch_execz .LBB84_488
.LBB84_560:                             ;   in Loop: Header=BB84_410 Depth=2
	ds_load_u8 v62, v2 offset:2304
	s_wait_dscnt 0x0
	v_and_b32_e32 v63, 0xff, v62
	s_delay_alu instid0(VALU_DEP_1) | instskip(NEXT) | instid1(VALU_DEP_1)
	v_dual_lshrrev_b32 v63, s43, v63 :: v_dual_bitop2_b32 v62, -1, v62 bitop3:0x14
	v_and_b32_e32 v63, s48, v63
	s_delay_alu instid0(VALU_DEP_1)
	v_lshlrev_b32_e32 v63, 2, v63
	ds_load_b32 v63, v63
	s_wait_dscnt 0x0
	v_add_nc_u32_e32 v63, v63, v73
	global_store_b8 v63, v62, s[40:41]
	s_wait_xcnt 0x0
	s_or_b32 exec_lo, exec_lo, s24
	v_cmp_lt_u32_e64 s24, v74, v137
	s_and_saveexec_b32 s25, s24
	s_cbranch_execz .LBB84_489
.LBB84_561:                             ;   in Loop: Header=BB84_410 Depth=2
	ds_load_u8 v62, v2 offset:2560
	s_wait_dscnt 0x0
	v_and_b32_e32 v63, 0xff, v62
	s_delay_alu instid0(VALU_DEP_1) | instskip(NEXT) | instid1(VALU_DEP_1)
	v_dual_lshrrev_b32 v63, s43, v63 :: v_dual_bitop2_b32 v62, -1, v62 bitop3:0x14
	v_and_b32_e32 v63, s48, v63
	s_delay_alu instid0(VALU_DEP_1)
	v_lshlrev_b32_e32 v63, 2, v63
	ds_load_b32 v63, v63
	s_wait_dscnt 0x0
	v_add_nc_u32_e32 v63, v63, v74
	global_store_b8 v63, v62, s[40:41]
	s_wait_xcnt 0x0
	s_or_b32 exec_lo, exec_lo, s25
	v_cmp_lt_u32_e64 s25, v75, v137
	s_and_saveexec_b32 s26, s25
	s_cbranch_execz .LBB84_490
.LBB84_562:                             ;   in Loop: Header=BB84_410 Depth=2
	ds_load_u8 v62, v2 offset:2816
	s_wait_dscnt 0x0
	v_and_b32_e32 v63, 0xff, v62
	s_delay_alu instid0(VALU_DEP_1) | instskip(NEXT) | instid1(VALU_DEP_1)
	v_dual_lshrrev_b32 v63, s43, v63 :: v_dual_bitop2_b32 v62, -1, v62 bitop3:0x14
	v_and_b32_e32 v63, s48, v63
	s_delay_alu instid0(VALU_DEP_1)
	v_lshlrev_b32_e32 v63, 2, v63
	ds_load_b32 v63, v63
	s_wait_dscnt 0x0
	v_add_nc_u32_e32 v63, v63, v75
	global_store_b8 v63, v62, s[40:41]
	s_wait_xcnt 0x0
	s_or_b32 exec_lo, exec_lo, s26
	v_cmp_lt_u32_e64 s26, v76, v137
	s_and_saveexec_b32 s27, s26
	s_cbranch_execz .LBB84_491
.LBB84_563:                             ;   in Loop: Header=BB84_410 Depth=2
	ds_load_u8 v62, v2 offset:3072
	s_wait_dscnt 0x0
	v_and_b32_e32 v63, 0xff, v62
	s_delay_alu instid0(VALU_DEP_1) | instskip(NEXT) | instid1(VALU_DEP_1)
	v_dual_lshrrev_b32 v63, s43, v63 :: v_dual_bitop2_b32 v62, -1, v62 bitop3:0x14
	v_and_b32_e32 v63, s48, v63
	s_delay_alu instid0(VALU_DEP_1)
	v_lshlrev_b32_e32 v63, 2, v63
	ds_load_b32 v63, v63
	s_wait_dscnt 0x0
	v_add_nc_u32_e32 v63, v63, v76
	global_store_b8 v63, v62, s[40:41]
	s_wait_xcnt 0x0
	s_or_b32 exec_lo, exec_lo, s27
	v_cmp_lt_u32_e64 s27, v77, v137
	s_and_saveexec_b32 s28, s27
	s_cbranch_execz .LBB84_492
.LBB84_564:                             ;   in Loop: Header=BB84_410 Depth=2
	ds_load_u8 v62, v2 offset:3328
	s_wait_dscnt 0x0
	v_and_b32_e32 v63, 0xff, v62
	s_delay_alu instid0(VALU_DEP_1) | instskip(NEXT) | instid1(VALU_DEP_1)
	v_dual_lshrrev_b32 v63, s43, v63 :: v_dual_bitop2_b32 v62, -1, v62 bitop3:0x14
	v_and_b32_e32 v63, s48, v63
	s_delay_alu instid0(VALU_DEP_1)
	v_lshlrev_b32_e32 v63, 2, v63
	ds_load_b32 v63, v63
	s_wait_dscnt 0x0
	v_add_nc_u32_e32 v63, v63, v77
	global_store_b8 v63, v62, s[40:41]
	s_wait_xcnt 0x0
	s_or_b32 exec_lo, exec_lo, s28
	v_cmp_lt_u32_e64 s28, v78, v137
	s_and_saveexec_b32 s29, s28
	s_cbranch_execz .LBB84_493
.LBB84_565:                             ;   in Loop: Header=BB84_410 Depth=2
	ds_load_u8 v62, v2 offset:3584
	s_wait_dscnt 0x0
	v_and_b32_e32 v63, 0xff, v62
	s_delay_alu instid0(VALU_DEP_1) | instskip(NEXT) | instid1(VALU_DEP_1)
	v_dual_lshrrev_b32 v63, s43, v63 :: v_dual_bitop2_b32 v62, -1, v62 bitop3:0x14
	v_and_b32_e32 v63, s48, v63
	s_delay_alu instid0(VALU_DEP_1)
	v_lshlrev_b32_e32 v63, 2, v63
	ds_load_b32 v63, v63
	s_wait_dscnt 0x0
	v_add_nc_u32_e32 v63, v63, v78
	global_store_b8 v63, v62, s[40:41]
	s_wait_xcnt 0x0
	s_or_b32 exec_lo, exec_lo, s29
	v_cmp_lt_u32_e64 s29, v79, v137
	s_and_saveexec_b32 s30, s29
	s_cbranch_execz .LBB84_494
.LBB84_566:                             ;   in Loop: Header=BB84_410 Depth=2
	ds_load_u8 v62, v2 offset:3840
	s_wait_dscnt 0x0
	v_and_b32_e32 v63, 0xff, v62
	s_delay_alu instid0(VALU_DEP_1) | instskip(NEXT) | instid1(VALU_DEP_1)
	v_dual_lshrrev_b32 v63, s43, v63 :: v_dual_bitop2_b32 v62, -1, v62 bitop3:0x14
	v_and_b32_e32 v63, s48, v63
	s_delay_alu instid0(VALU_DEP_1)
	v_lshlrev_b32_e32 v63, 2, v63
	ds_load_b32 v63, v63
	s_wait_dscnt 0x0
	v_add_nc_u32_e32 v63, v63, v79
	global_store_b8 v63, v62, s[40:41]
	s_wait_xcnt 0x0
	s_or_b32 exec_lo, exec_lo, s30
	v_cmp_lt_u32_e64 s30, v80, v137
	s_and_saveexec_b32 s31, s30
	s_cbranch_execz .LBB84_495
.LBB84_567:                             ;   in Loop: Header=BB84_410 Depth=2
	ds_load_u8 v62, v2 offset:4096
	s_wait_dscnt 0x0
	v_and_b32_e32 v63, 0xff, v62
	s_delay_alu instid0(VALU_DEP_1) | instskip(NEXT) | instid1(VALU_DEP_1)
	v_dual_lshrrev_b32 v63, s43, v63 :: v_dual_bitop2_b32 v62, -1, v62 bitop3:0x14
	v_and_b32_e32 v63, s48, v63
	s_delay_alu instid0(VALU_DEP_1)
	v_lshlrev_b32_e32 v63, 2, v63
	ds_load_b32 v63, v63
	s_wait_dscnt 0x0
	v_add_nc_u32_e32 v63, v63, v80
	global_store_b8 v63, v62, s[40:41]
	s_wait_xcnt 0x0
	s_or_b32 exec_lo, exec_lo, s31
	v_cmp_lt_u32_e64 s31, v81, v137
	s_and_saveexec_b32 s33, s31
	s_cbranch_execz .LBB84_496
.LBB84_568:                             ;   in Loop: Header=BB84_410 Depth=2
	ds_load_u8 v62, v2 offset:4352
	s_wait_dscnt 0x0
	v_and_b32_e32 v63, 0xff, v62
	s_delay_alu instid0(VALU_DEP_1) | instskip(NEXT) | instid1(VALU_DEP_1)
	v_dual_lshrrev_b32 v63, s43, v63 :: v_dual_bitop2_b32 v62, -1, v62 bitop3:0x14
	v_and_b32_e32 v63, s48, v63
	s_delay_alu instid0(VALU_DEP_1)
	v_lshlrev_b32_e32 v63, 2, v63
	ds_load_b32 v63, v63
	s_wait_dscnt 0x0
	v_add_nc_u32_e32 v63, v63, v81
	global_store_b8 v63, v62, s[40:41]
	s_wait_xcnt 0x0
	s_or_b32 exec_lo, exec_lo, s33
	v_cmp_lt_u32_e64 s33, v82, v137
	s_and_saveexec_b32 s60, s33
	s_cbranch_execnz .LBB84_497
	s_branch .LBB84_498
.LBB84_569:                             ;   in Loop: Header=BB84_410 Depth=2
	global_load_b64 v[60:61], v[62:63], off
	s_wait_xcnt 0x0
	s_or_b32 exec_lo, exec_lo, s34
	s_delay_alu instid0(SALU_CYCLE_1)
	s_mov_b32 s60, exec_lo
	v_cmpx_lt_u32_e64 v98, v137
	s_cbranch_execz .LBB84_500
.LBB84_570:                             ;   in Loop: Header=BB84_410 Depth=2
	global_load_b64 v[58:59], v[62:63], off offset:256
	s_wait_xcnt 0x0
	s_or_b32 exec_lo, exec_lo, s60
	s_delay_alu instid0(SALU_CYCLE_1)
	s_mov_b32 s60, exec_lo
	v_cmpx_lt_u32_e64 v99, v137
	s_cbranch_execz .LBB84_501
.LBB84_571:                             ;   in Loop: Header=BB84_410 Depth=2
	global_load_b64 v[56:57], v[62:63], off offset:512
	s_wait_xcnt 0x0
	s_or_b32 exec_lo, exec_lo, s60
	s_delay_alu instid0(SALU_CYCLE_1)
	s_mov_b32 s60, exec_lo
	v_cmpx_lt_u32_e64 v100, v137
	s_cbranch_execz .LBB84_502
.LBB84_572:                             ;   in Loop: Header=BB84_410 Depth=2
	global_load_b64 v[54:55], v[62:63], off offset:768
	s_wait_xcnt 0x0
	s_or_b32 exec_lo, exec_lo, s60
	s_delay_alu instid0(SALU_CYCLE_1)
	s_mov_b32 s60, exec_lo
	v_cmpx_lt_u32_e64 v101, v137
	s_cbranch_execz .LBB84_503
.LBB84_573:                             ;   in Loop: Header=BB84_410 Depth=2
	global_load_b64 v[52:53], v[62:63], off offset:1024
	s_wait_xcnt 0x0
	s_or_b32 exec_lo, exec_lo, s60
	s_delay_alu instid0(SALU_CYCLE_1)
	s_mov_b32 s60, exec_lo
	v_cmpx_lt_u32_e64 v102, v137
	s_cbranch_execz .LBB84_504
.LBB84_574:                             ;   in Loop: Header=BB84_410 Depth=2
	global_load_b64 v[50:51], v[62:63], off offset:1280
	s_wait_xcnt 0x0
	s_or_b32 exec_lo, exec_lo, s60
	s_delay_alu instid0(SALU_CYCLE_1)
	s_mov_b32 s60, exec_lo
	v_cmpx_lt_u32_e64 v103, v137
	s_cbranch_execz .LBB84_505
.LBB84_575:                             ;   in Loop: Header=BB84_410 Depth=2
	global_load_b64 v[48:49], v[62:63], off offset:1536
	s_wait_xcnt 0x0
	s_or_b32 exec_lo, exec_lo, s60
	s_delay_alu instid0(SALU_CYCLE_1)
	s_mov_b32 s60, exec_lo
	v_cmpx_lt_u32_e64 v104, v137
	s_cbranch_execz .LBB84_506
.LBB84_576:                             ;   in Loop: Header=BB84_410 Depth=2
	global_load_b64 v[46:47], v[62:63], off offset:1792
	s_wait_xcnt 0x0
	s_or_b32 exec_lo, exec_lo, s60
	s_delay_alu instid0(SALU_CYCLE_1)
	s_mov_b32 s60, exec_lo
	v_cmpx_lt_u32_e64 v105, v137
	s_cbranch_execz .LBB84_507
.LBB84_577:                             ;   in Loop: Header=BB84_410 Depth=2
	global_load_b64 v[44:45], v[62:63], off offset:2048
	s_wait_xcnt 0x0
	s_or_b32 exec_lo, exec_lo, s60
	s_delay_alu instid0(SALU_CYCLE_1)
	s_mov_b32 s60, exec_lo
	v_cmpx_lt_u32_e64 v106, v137
	s_cbranch_execz .LBB84_508
.LBB84_578:                             ;   in Loop: Header=BB84_410 Depth=2
	global_load_b64 v[42:43], v[62:63], off offset:2304
	s_wait_xcnt 0x0
	s_or_b32 exec_lo, exec_lo, s60
	s_delay_alu instid0(SALU_CYCLE_1)
	s_mov_b32 s60, exec_lo
	v_cmpx_lt_u32_e64 v107, v137
	s_cbranch_execz .LBB84_509
.LBB84_579:                             ;   in Loop: Header=BB84_410 Depth=2
	global_load_b64 v[40:41], v[62:63], off offset:2560
	s_wait_xcnt 0x0
	s_or_b32 exec_lo, exec_lo, s60
	s_delay_alu instid0(SALU_CYCLE_1)
	s_mov_b32 s60, exec_lo
	v_cmpx_lt_u32_e64 v108, v137
	s_cbranch_execz .LBB84_510
.LBB84_580:                             ;   in Loop: Header=BB84_410 Depth=2
	global_load_b64 v[38:39], v[62:63], off offset:2816
	s_wait_xcnt 0x0
	s_or_b32 exec_lo, exec_lo, s60
	s_delay_alu instid0(SALU_CYCLE_1)
	s_mov_b32 s60, exec_lo
	v_cmpx_lt_u32_e64 v109, v137
	s_cbranch_execz .LBB84_511
.LBB84_581:                             ;   in Loop: Header=BB84_410 Depth=2
	global_load_b64 v[36:37], v[62:63], off offset:3072
	s_wait_xcnt 0x0
	s_or_b32 exec_lo, exec_lo, s60
	s_delay_alu instid0(SALU_CYCLE_1)
	s_mov_b32 s60, exec_lo
	v_cmpx_lt_u32_e64 v110, v137
	s_cbranch_execz .LBB84_512
.LBB84_582:                             ;   in Loop: Header=BB84_410 Depth=2
	global_load_b64 v[34:35], v[62:63], off offset:3328
	s_wait_xcnt 0x0
	s_or_b32 exec_lo, exec_lo, s60
	s_delay_alu instid0(SALU_CYCLE_1)
	s_mov_b32 s60, exec_lo
	v_cmpx_lt_u32_e64 v111, v137
	s_cbranch_execz .LBB84_513
.LBB84_583:                             ;   in Loop: Header=BB84_410 Depth=2
	global_load_b64 v[32:33], v[62:63], off offset:3584
	s_wait_xcnt 0x0
	s_or_b32 exec_lo, exec_lo, s60
	s_delay_alu instid0(SALU_CYCLE_1)
	s_mov_b32 s60, exec_lo
	v_cmpx_lt_u32_e64 v112, v137
	s_cbranch_execz .LBB84_514
.LBB84_584:                             ;   in Loop: Header=BB84_410 Depth=2
	global_load_b64 v[30:31], v[62:63], off offset:3840
	s_wait_xcnt 0x0
	s_or_b32 exec_lo, exec_lo, s60
	s_delay_alu instid0(SALU_CYCLE_1)
	s_mov_b32 s60, exec_lo
	v_cmpx_lt_u32_e64 v113, v137
	s_cbranch_execz .LBB84_515
.LBB84_585:                             ;   in Loop: Header=BB84_410 Depth=2
	global_load_b64 v[28:29], v[62:63], off offset:4096
	s_wait_xcnt 0x0
	s_or_b32 exec_lo, exec_lo, s60
	s_and_saveexec_b32 s34, vcc_lo
	s_cbranch_execz .LBB84_516
.LBB84_586:                             ;   in Loop: Header=BB84_410 Depth=2
	ds_load_u8 v62, v2 offset:512
	s_wait_dscnt 0x0
	v_lshrrev_b32_e32 v62, s43, v62
	s_delay_alu instid0(VALU_DEP_1)
	v_and_b32_e32 v132, s48, v62
	s_or_b32 exec_lo, exec_lo, s34
	s_and_saveexec_b32 s34, s17
	s_cbranch_execz .LBB84_517
.LBB84_587:                             ;   in Loop: Header=BB84_410 Depth=2
	ds_load_u8 v62, v2 offset:768
	s_wait_dscnt 0x0
	v_lshrrev_b32_e32 v62, s43, v62
	s_delay_alu instid0(VALU_DEP_1)
	v_and_b32_e32 v131, s48, v62
	s_or_b32 exec_lo, exec_lo, s34
	s_and_saveexec_b32 s34, s18
	s_cbranch_execz .LBB84_518
.LBB84_588:                             ;   in Loop: Header=BB84_410 Depth=2
	ds_load_u8 v62, v2 offset:1024
	s_wait_dscnt 0x0
	v_lshrrev_b32_e32 v62, s43, v62
	s_delay_alu instid0(VALU_DEP_1)
	v_and_b32_e32 v130, s48, v62
	s_or_b32 exec_lo, exec_lo, s34
	s_and_saveexec_b32 s34, s19
	s_cbranch_execz .LBB84_519
.LBB84_589:                             ;   in Loop: Header=BB84_410 Depth=2
	ds_load_u8 v62, v2 offset:1280
	s_wait_dscnt 0x0
	v_lshrrev_b32_e32 v62, s43, v62
	s_delay_alu instid0(VALU_DEP_1)
	v_and_b32_e32 v129, s48, v62
	s_or_b32 exec_lo, exec_lo, s34
	s_and_saveexec_b32 s34, s20
	s_cbranch_execz .LBB84_520
.LBB84_590:                             ;   in Loop: Header=BB84_410 Depth=2
	ds_load_u8 v62, v2 offset:1536
	s_wait_dscnt 0x0
	v_lshrrev_b32_e32 v62, s43, v62
	s_delay_alu instid0(VALU_DEP_1)
	v_and_b32_e32 v128, s48, v62
	s_or_b32 exec_lo, exec_lo, s34
	s_and_saveexec_b32 s34, s21
	s_cbranch_execz .LBB84_521
.LBB84_591:                             ;   in Loop: Header=BB84_410 Depth=2
	ds_load_u8 v62, v2 offset:1792
	s_wait_dscnt 0x0
	v_lshrrev_b32_e32 v62, s43, v62
	s_delay_alu instid0(VALU_DEP_1)
	v_and_b32_e32 v127, s48, v62
	s_or_b32 exec_lo, exec_lo, s34
	s_and_saveexec_b32 s34, s22
	s_cbranch_execz .LBB84_522
.LBB84_592:                             ;   in Loop: Header=BB84_410 Depth=2
	ds_load_u8 v62, v2 offset:2048
	s_wait_dscnt 0x0
	v_lshrrev_b32_e32 v62, s43, v62
	s_delay_alu instid0(VALU_DEP_1)
	v_and_b32_e32 v126, s48, v62
	s_or_b32 exec_lo, exec_lo, s34
	s_and_saveexec_b32 s34, s23
	s_cbranch_execz .LBB84_523
.LBB84_593:                             ;   in Loop: Header=BB84_410 Depth=2
	ds_load_u8 v62, v2 offset:2304
	s_wait_dscnt 0x0
	v_lshrrev_b32_e32 v62, s43, v62
	s_delay_alu instid0(VALU_DEP_1)
	v_and_b32_e32 v125, s48, v62
	s_or_b32 exec_lo, exec_lo, s34
	s_and_saveexec_b32 s34, s24
	s_cbranch_execz .LBB84_524
.LBB84_594:                             ;   in Loop: Header=BB84_410 Depth=2
	ds_load_u8 v62, v2 offset:2560
	s_wait_dscnt 0x0
	v_lshrrev_b32_e32 v62, s43, v62
	s_delay_alu instid0(VALU_DEP_1)
	v_and_b32_e32 v124, s48, v62
	s_or_b32 exec_lo, exec_lo, s34
	s_and_saveexec_b32 s34, s25
	s_cbranch_execz .LBB84_525
.LBB84_595:                             ;   in Loop: Header=BB84_410 Depth=2
	ds_load_u8 v62, v2 offset:2816
	s_wait_dscnt 0x0
	v_lshrrev_b32_e32 v62, s43, v62
	s_delay_alu instid0(VALU_DEP_1)
	v_and_b32_e32 v123, s48, v62
	s_or_b32 exec_lo, exec_lo, s34
	s_and_saveexec_b32 s34, s26
	s_cbranch_execz .LBB84_526
.LBB84_596:                             ;   in Loop: Header=BB84_410 Depth=2
	ds_load_u8 v62, v2 offset:3072
	s_wait_dscnt 0x0
	v_lshrrev_b32_e32 v62, s43, v62
	s_delay_alu instid0(VALU_DEP_1)
	v_and_b32_e32 v122, s48, v62
	s_or_b32 exec_lo, exec_lo, s34
	s_and_saveexec_b32 s34, s27
	s_cbranch_execz .LBB84_527
.LBB84_597:                             ;   in Loop: Header=BB84_410 Depth=2
	ds_load_u8 v62, v2 offset:3328
	s_wait_dscnt 0x0
	v_lshrrev_b32_e32 v62, s43, v62
	s_delay_alu instid0(VALU_DEP_1)
	v_and_b32_e32 v120, s48, v62
	s_or_b32 exec_lo, exec_lo, s34
	s_and_saveexec_b32 s34, s28
	s_cbranch_execz .LBB84_528
.LBB84_598:                             ;   in Loop: Header=BB84_410 Depth=2
	ds_load_u8 v62, v2 offset:3584
	s_wait_dscnt 0x0
	v_lshrrev_b32_e32 v62, s43, v62
	s_delay_alu instid0(VALU_DEP_1)
	v_and_b32_e32 v119, s48, v62
	s_or_b32 exec_lo, exec_lo, s34
	s_and_saveexec_b32 s34, s29
	s_cbranch_execz .LBB84_529
.LBB84_599:                             ;   in Loop: Header=BB84_410 Depth=2
	ds_load_u8 v62, v2 offset:3840
	s_wait_dscnt 0x0
	v_lshrrev_b32_e32 v62, s43, v62
	s_delay_alu instid0(VALU_DEP_1)
	v_and_b32_e32 v118, s48, v62
	s_or_b32 exec_lo, exec_lo, s34
	s_and_saveexec_b32 s34, s30
	s_cbranch_execz .LBB84_530
.LBB84_600:                             ;   in Loop: Header=BB84_410 Depth=2
	ds_load_u8 v62, v2 offset:4096
	s_wait_dscnt 0x0
	v_lshrrev_b32_e32 v62, s43, v62
	s_delay_alu instid0(VALU_DEP_1)
	v_and_b32_e32 v117, s48, v62
	s_or_b32 exec_lo, exec_lo, s34
	s_and_saveexec_b32 s34, s31
	s_cbranch_execz .LBB84_531
.LBB84_601:                             ;   in Loop: Header=BB84_410 Depth=2
	ds_load_u8 v62, v2 offset:4352
	s_wait_dscnt 0x0
	v_lshrrev_b32_e32 v62, s43, v62
	s_delay_alu instid0(VALU_DEP_1)
	v_and_b32_e32 v116, s48, v62
	s_or_b32 exec_lo, exec_lo, s34
	s_and_saveexec_b32 s34, s33
	s_cbranch_execnz .LBB84_532
	s_branch .LBB84_533
.LBB84_602:                             ;   in Loop: Header=BB84_410 Depth=2
	v_dual_lshlrev_b32 v62, 2, v132 :: v_dual_add_nc_u32 v63, v2, v95
	ds_load_b32 v64, v62
	ds_load_b64 v[62:63], v63 offset:512
	s_wait_dscnt 0x1
	v_add_nc_u32_e32 v64, v64, v2
	s_wait_dscnt 0x0
	global_store_b64 v64, v[62:63], s[46:47] scale_offset
	s_wait_xcnt 0x0
	s_or_b32 exec_lo, exec_lo, s34
	s_and_saveexec_b32 s34, s17
	s_cbranch_execz .LBB84_535
.LBB84_603:                             ;   in Loop: Header=BB84_410 Depth=2
	v_lshlrev_b32_e32 v62, 2, v131
	v_add_nc_u32_e32 v63, v2, v95
	ds_load_b32 v64, v62
	ds_load_b64 v[62:63], v63 offset:2560
	s_wait_dscnt 0x1
	v_add_nc_u32_e32 v64, v64, v67
	s_wait_dscnt 0x0
	global_store_b64 v64, v[62:63], s[46:47] scale_offset
	s_wait_xcnt 0x0
	s_or_b32 exec_lo, exec_lo, s34
	s_and_saveexec_b32 s17, s18
	s_cbranch_execz .LBB84_536
.LBB84_604:                             ;   in Loop: Header=BB84_410 Depth=2
	v_dual_lshlrev_b32 v62, 2, v130 :: v_dual_add_nc_u32 v63, v2, v95
	ds_load_b32 v64, v62
	ds_load_b64 v[62:63], v63 offset:4608
	s_wait_dscnt 0x1
	v_add_nc_u32_e32 v64, v64, v68
	s_wait_dscnt 0x0
	global_store_b64 v64, v[62:63], s[46:47] scale_offset
	s_wait_xcnt 0x0
	s_or_b32 exec_lo, exec_lo, s17
	s_and_saveexec_b32 s17, s19
	s_cbranch_execz .LBB84_537
.LBB84_605:                             ;   in Loop: Header=BB84_410 Depth=2
	v_dual_lshlrev_b32 v62, 2, v129 :: v_dual_add_nc_u32 v63, v2, v95
	ds_load_b32 v64, v62
	ds_load_b64 v[62:63], v63 offset:6656
	s_wait_dscnt 0x1
	v_add_nc_u32_e32 v64, v64, v69
	s_wait_dscnt 0x0
	global_store_b64 v64, v[62:63], s[46:47] scale_offset
	s_wait_xcnt 0x0
	s_or_b32 exec_lo, exec_lo, s17
	s_and_saveexec_b32 s17, s20
	s_cbranch_execz .LBB84_538
.LBB84_606:                             ;   in Loop: Header=BB84_410 Depth=2
	v_dual_lshlrev_b32 v62, 2, v128 :: v_dual_add_nc_u32 v63, v2, v95
	ds_load_b32 v64, v62
	ds_load_b64 v[62:63], v63 offset:8704
	s_wait_dscnt 0x1
	v_add_nc_u32_e32 v64, v64, v70
	s_wait_dscnt 0x0
	global_store_b64 v64, v[62:63], s[46:47] scale_offset
	s_wait_xcnt 0x0
	s_or_b32 exec_lo, exec_lo, s17
	s_and_saveexec_b32 s17, s21
	s_cbranch_execz .LBB84_539
.LBB84_607:                             ;   in Loop: Header=BB84_410 Depth=2
	v_lshlrev_b32_e32 v62, 2, v127
	v_add_nc_u32_e32 v63, v2, v95
	ds_load_b32 v64, v62
	ds_load_b64 v[62:63], v63 offset:10752
	s_wait_dscnt 0x1
	v_add_nc_u32_e32 v64, v64, v71
	s_wait_dscnt 0x0
	global_store_b64 v64, v[62:63], s[46:47] scale_offset
	s_wait_xcnt 0x0
	s_or_b32 exec_lo, exec_lo, s17
	s_and_saveexec_b32 s17, s22
	s_cbranch_execz .LBB84_540
.LBB84_608:                             ;   in Loop: Header=BB84_410 Depth=2
	v_dual_lshlrev_b32 v62, 2, v126 :: v_dual_add_nc_u32 v63, v2, v95
	ds_load_b32 v64, v62
	ds_load_b64 v[62:63], v63 offset:12800
	s_wait_dscnt 0x1
	v_add_nc_u32_e32 v64, v64, v72
	s_wait_dscnt 0x0
	global_store_b64 v64, v[62:63], s[46:47] scale_offset
	s_wait_xcnt 0x0
	s_or_b32 exec_lo, exec_lo, s17
	s_and_saveexec_b32 s17, s23
	s_cbranch_execz .LBB84_541
.LBB84_609:                             ;   in Loop: Header=BB84_410 Depth=2
	v_dual_lshlrev_b32 v62, 2, v125 :: v_dual_add_nc_u32 v63, v2, v95
	ds_load_b32 v64, v62
	ds_load_b64 v[62:63], v63 offset:14848
	s_wait_dscnt 0x1
	v_add_nc_u32_e32 v64, v64, v73
	s_wait_dscnt 0x0
	global_store_b64 v64, v[62:63], s[46:47] scale_offset
	s_wait_xcnt 0x0
	s_or_b32 exec_lo, exec_lo, s17
	s_and_saveexec_b32 s17, s24
	s_cbranch_execz .LBB84_542
.LBB84_610:                             ;   in Loop: Header=BB84_410 Depth=2
	v_dual_lshlrev_b32 v62, 2, v124 :: v_dual_add_nc_u32 v63, v2, v95
	ds_load_b32 v64, v62
	ds_load_b64 v[62:63], v63 offset:16896
	s_wait_dscnt 0x1
	v_add_nc_u32_e32 v64, v64, v74
	s_wait_dscnt 0x0
	global_store_b64 v64, v[62:63], s[46:47] scale_offset
	s_wait_xcnt 0x0
	s_or_b32 exec_lo, exec_lo, s17
	s_and_saveexec_b32 s17, s25
	s_cbranch_execz .LBB84_543
.LBB84_611:                             ;   in Loop: Header=BB84_410 Depth=2
	v_lshlrev_b32_e32 v62, 2, v123
	v_add_nc_u32_e32 v63, v2, v95
	ds_load_b32 v64, v62
	ds_load_b64 v[62:63], v63 offset:18944
	s_wait_dscnt 0x1
	v_add_nc_u32_e32 v64, v64, v75
	s_wait_dscnt 0x0
	global_store_b64 v64, v[62:63], s[46:47] scale_offset
	s_wait_xcnt 0x0
	s_or_b32 exec_lo, exec_lo, s17
	s_and_saveexec_b32 s17, s26
	s_cbranch_execz .LBB84_544
.LBB84_612:                             ;   in Loop: Header=BB84_410 Depth=2
	v_dual_lshlrev_b32 v62, 2, v122 :: v_dual_add_nc_u32 v63, v2, v95
	ds_load_b32 v64, v62
	ds_load_b64 v[62:63], v63 offset:20992
	s_wait_dscnt 0x1
	v_add_nc_u32_e32 v64, v64, v76
	s_wait_dscnt 0x0
	global_store_b64 v64, v[62:63], s[46:47] scale_offset
	s_wait_xcnt 0x0
	s_or_b32 exec_lo, exec_lo, s17
	s_and_saveexec_b32 s17, s27
	s_cbranch_execz .LBB84_545
.LBB84_613:                             ;   in Loop: Header=BB84_410 Depth=2
	v_dual_lshlrev_b32 v62, 2, v120 :: v_dual_add_nc_u32 v63, v2, v95
	ds_load_b32 v64, v62
	ds_load_b64 v[62:63], v63 offset:23040
	s_wait_dscnt 0x1
	v_add_nc_u32_e32 v64, v64, v77
	s_wait_dscnt 0x0
	global_store_b64 v64, v[62:63], s[46:47] scale_offset
	s_wait_xcnt 0x0
	s_or_b32 exec_lo, exec_lo, s17
	s_and_saveexec_b32 s17, s28
	s_cbranch_execz .LBB84_546
.LBB84_614:                             ;   in Loop: Header=BB84_410 Depth=2
	v_lshlrev_b32_e32 v62, 2, v119
	v_add_nc_u32_e32 v63, v2, v95
	ds_load_b32 v64, v62
	ds_load_b64 v[62:63], v63 offset:25088
	s_wait_dscnt 0x1
	v_add_nc_u32_e32 v64, v64, v78
	s_wait_dscnt 0x0
	global_store_b64 v64, v[62:63], s[46:47] scale_offset
	s_wait_xcnt 0x0
	s_or_b32 exec_lo, exec_lo, s17
	s_and_saveexec_b32 s17, s29
	s_cbranch_execz .LBB84_547
.LBB84_615:                             ;   in Loop: Header=BB84_410 Depth=2
	v_dual_lshlrev_b32 v62, 2, v118 :: v_dual_add_nc_u32 v63, v2, v95
	ds_load_b32 v64, v62
	ds_load_b64 v[62:63], v63 offset:27136
	s_wait_dscnt 0x1
	v_add_nc_u32_e32 v64, v64, v79
	s_wait_dscnt 0x0
	global_store_b64 v64, v[62:63], s[46:47] scale_offset
	s_wait_xcnt 0x0
	s_or_b32 exec_lo, exec_lo, s17
	s_and_saveexec_b32 s17, s30
	s_cbranch_execz .LBB84_548
.LBB84_616:                             ;   in Loop: Header=BB84_410 Depth=2
	v_dual_lshlrev_b32 v62, 2, v117 :: v_dual_add_nc_u32 v63, v2, v95
	ds_load_b32 v64, v62
	ds_load_b64 v[62:63], v63 offset:29184
	s_wait_dscnt 0x1
	v_add_nc_u32_e32 v64, v64, v80
	s_wait_dscnt 0x0
	global_store_b64 v64, v[62:63], s[46:47] scale_offset
	s_wait_xcnt 0x0
	s_or_b32 exec_lo, exec_lo, s17
	s_and_saveexec_b32 s17, s31
	s_cbranch_execz .LBB84_549
.LBB84_617:                             ;   in Loop: Header=BB84_410 Depth=2
	v_dual_lshlrev_b32 v62, 2, v116 :: v_dual_add_nc_u32 v63, v2, v95
	ds_load_b32 v64, v62
	ds_load_b64 v[62:63], v63 offset:31232
	s_wait_dscnt 0x1
	v_add_nc_u32_e32 v64, v64, v81
	s_wait_dscnt 0x0
	global_store_b64 v64, v[62:63], s[46:47] scale_offset
	s_wait_xcnt 0x0
	s_or_b32 exec_lo, exec_lo, s17
	s_and_saveexec_b32 s17, s33
	s_cbranch_execnz .LBB84_550
	s_branch .LBB84_551
.LBB84_618:                             ;   in Loop: Header=BB84_410 Depth=2
	global_load_u8 v151, v[62:63], off offset:32
	s_wait_xcnt 0x0
	s_or_b32 exec_lo, exec_lo, s17
	s_delay_alu instid0(SALU_CYCLE_1)
	s_mov_b32 s17, exec_lo
	v_cmpx_gt_u32_e64 s58, v99
	s_cbranch_execz .LBB84_417
.LBB84_619:                             ;   in Loop: Header=BB84_410 Depth=2
	global_load_u8 v148, v[62:63], off offset:64
	s_wait_xcnt 0x0
	s_or_b32 exec_lo, exec_lo, s17
	s_delay_alu instid0(SALU_CYCLE_1)
	s_mov_b32 s17, exec_lo
	v_cmpx_gt_u32_e64 s58, v100
	s_cbranch_execz .LBB84_418
.LBB84_620:                             ;   in Loop: Header=BB84_410 Depth=2
	global_load_u8 v150, v[62:63], off offset:96
	s_wait_xcnt 0x0
	s_or_b32 exec_lo, exec_lo, s17
	s_delay_alu instid0(SALU_CYCLE_1)
	s_mov_b32 s17, exec_lo
	v_cmpx_gt_u32_e64 s58, v101
	s_cbranch_execz .LBB84_419
.LBB84_621:                             ;   in Loop: Header=BB84_410 Depth=2
	global_load_u8 v142, v[62:63], off offset:128
	s_wait_xcnt 0x0
	s_or_b32 exec_lo, exec_lo, s17
	s_delay_alu instid0(SALU_CYCLE_1)
	s_mov_b32 s17, exec_lo
	v_cmpx_gt_u32_e64 s58, v102
	s_cbranch_execz .LBB84_420
.LBB84_622:                             ;   in Loop: Header=BB84_410 Depth=2
	global_load_u8 v144, v[62:63], off offset:160
	s_wait_xcnt 0x0
	s_or_b32 exec_lo, exec_lo, s17
	s_delay_alu instid0(SALU_CYCLE_1)
	s_mov_b32 s17, exec_lo
	v_cmpx_gt_u32_e64 s58, v103
	s_cbranch_execz .LBB84_421
.LBB84_623:                             ;   in Loop: Header=BB84_410 Depth=2
	global_load_u8 v143, v[62:63], off offset:192
	s_wait_xcnt 0x0
	s_or_b32 exec_lo, exec_lo, s17
	s_delay_alu instid0(SALU_CYCLE_1)
	s_mov_b32 s17, exec_lo
	v_cmpx_gt_u32_e64 s58, v104
	s_cbranch_execz .LBB84_422
.LBB84_624:                             ;   in Loop: Header=BB84_410 Depth=2
	global_load_u8 v145, v[62:63], off offset:224
	s_wait_xcnt 0x0
	s_or_b32 exec_lo, exec_lo, s17
	s_delay_alu instid0(SALU_CYCLE_1)
	s_mov_b32 s17, exec_lo
	v_cmpx_gt_u32_e64 s58, v105
	s_cbranch_execz .LBB84_423
.LBB84_625:                             ;   in Loop: Header=BB84_410 Depth=2
	global_load_u8 v138, v[62:63], off offset:256
	s_wait_xcnt 0x0
	s_or_b32 exec_lo, exec_lo, s17
	s_delay_alu instid0(SALU_CYCLE_1)
	s_mov_b32 s17, exec_lo
	v_cmpx_gt_u32_e64 s58, v106
	s_cbranch_execz .LBB84_424
.LBB84_626:                             ;   in Loop: Header=BB84_410 Depth=2
	global_load_u8 v140, v[62:63], off offset:288
	s_wait_xcnt 0x0
	s_or_b32 exec_lo, exec_lo, s17
	s_delay_alu instid0(SALU_CYCLE_1)
	s_mov_b32 s17, exec_lo
	v_cmpx_gt_u32_e64 s58, v107
	s_cbranch_execz .LBB84_425
.LBB84_627:                             ;   in Loop: Header=BB84_410 Depth=2
	global_load_u8 v139, v[62:63], off offset:320
	s_wait_xcnt 0x0
	s_or_b32 exec_lo, exec_lo, s17
	s_delay_alu instid0(SALU_CYCLE_1)
	s_mov_b32 s17, exec_lo
	v_cmpx_gt_u32_e64 s58, v108
	s_cbranch_execz .LBB84_426
.LBB84_628:                             ;   in Loop: Header=BB84_410 Depth=2
	global_load_u8 v141, v[62:63], off offset:352
	s_wait_xcnt 0x0
	s_or_b32 exec_lo, exec_lo, s17
	s_delay_alu instid0(SALU_CYCLE_1)
	s_mov_b32 s17, exec_lo
	v_cmpx_gt_u32_e64 s58, v109
	s_cbranch_execz .LBB84_427
.LBB84_629:                             ;   in Loop: Header=BB84_410 Depth=2
	global_load_u8 v64, v[62:63], off offset:384
	s_wait_xcnt 0x0
	s_or_b32 exec_lo, exec_lo, s17
	s_delay_alu instid0(SALU_CYCLE_1)
	s_mov_b32 s17, exec_lo
	v_cmpx_gt_u32_e64 s58, v110
	s_cbranch_execz .LBB84_428
.LBB84_630:                             ;   in Loop: Header=BB84_410 Depth=2
	global_load_u8 v135, v[62:63], off offset:416
	s_wait_xcnt 0x0
	s_or_b32 exec_lo, exec_lo, s17
	s_delay_alu instid0(SALU_CYCLE_1)
	s_mov_b32 s17, exec_lo
	v_cmpx_gt_u32_e64 s58, v111
	s_cbranch_execz .LBB84_429
.LBB84_631:                             ;   in Loop: Header=BB84_410 Depth=2
	global_load_u8 v65, v[62:63], off offset:448
	s_wait_xcnt 0x0
	s_or_b32 exec_lo, exec_lo, s17
	s_delay_alu instid0(SALU_CYCLE_1)
	s_mov_b32 s17, exec_lo
	v_cmpx_gt_u32_e64 s58, v112
	s_cbranch_execnz .LBB84_430
	s_branch .LBB84_431
.LBB84_632:                             ;   in Loop: Header=BB84_12 Depth=1
	s_wait_dscnt 0x0
	s_barrier_signal -1
	s_barrier_wait -1
.LBB84_633:                             ;   in Loop: Header=BB84_12 Depth=1
	s_mov_b32 s8, 0
.LBB84_634:                             ;   in Loop: Header=BB84_12 Depth=1
	s_delay_alu instid0(SALU_CYCLE_1)
	s_and_not1_b32 vcc_lo, exec_lo, s8
	s_cbranch_vccnz .LBB84_11
; %bb.635:                              ;   in Loop: Header=BB84_12 Depth=1
	s_and_b32 vcc_lo, exec_lo, s56
	s_mov_b32 s8, -1
	s_cbranch_vccz .LBB84_945
; %bb.636:                              ;   in Loop: Header=BB84_12 Depth=1
	v_dual_mov_b32 v39, 0 :: v_dual_mov_b32 v42, 0
	v_dual_mov_b32 v41, 0 :: v_dual_mov_b32 v40, 0
	;; [unrolled: 1-line block ×8, first 2 shown]
	v_mov_b32_e32 v26, 0
	s_mov_b32 s8, s57
	s_mov_b32 s34, s55
	s_barrier_signal -1
	s_barrier_wait -1
	s_branch .LBB84_638
.LBB84_637:                             ;   in Loop: Header=BB84_638 Depth=2
	s_or_b32 exec_lo, exec_lo, s10
	s_addk_co_i32 s8, 0xef00
	s_cmp_ge_u32 s9, s54
	s_mov_b32 s34, s9
	s_cbranch_scc1 .LBB84_710
.LBB84_638:                             ;   Parent Loop BB84_12 Depth=1
                                        ; =>  This Inner Loop Header: Depth=2
	s_add_co_i32 s9, s34, 0x1100
	s_mov_b32 s10, -1
	s_cmp_gt_u32 s9, s54
                                        ; implicit-def: $vgpr24
                                        ; implicit-def: $vgpr25
                                        ; implicit-def: $vgpr43
                                        ; implicit-def: $vgpr44
                                        ; implicit-def: $vgpr45
                                        ; implicit-def: $vgpr46
                                        ; implicit-def: $vgpr47
                                        ; implicit-def: $vgpr48
                                        ; implicit-def: $vgpr49
                                        ; implicit-def: $vgpr50
                                        ; implicit-def: $vgpr51
                                        ; implicit-def: $vgpr52
                                        ; implicit-def: $vgpr53
                                        ; implicit-def: $vgpr54
                                        ; implicit-def: $vgpr55
                                        ; implicit-def: $vgpr56
                                        ; implicit-def: $vgpr57
	s_cbranch_scc1 .LBB84_640
; %bb.639:                              ;   in Loop: Header=BB84_638 Depth=2
	v_add_nc_u64_e32 v[58:59], s[34:35], v[18:19]
	s_mov_b32 s10, 0
	s_clause 0x10
	global_load_u8 v57, v[58:59], off offset:4096
	global_load_u8 v56, v[58:59], off offset:3840
	;; [unrolled: 1-line block ×16, first 2 shown]
	global_load_u8 v24, v[58:59], off
.LBB84_640:                             ;   in Loop: Header=BB84_638 Depth=2
	s_and_not1_b32 vcc_lo, exec_lo, s10
	s_movk_i32 s10, 0x1100
	s_cbranch_vccnz .LBB84_660
; %bb.641:                              ;   in Loop: Header=BB84_638 Depth=2
	s_add_nc_u64 s[10:11], s[36:37], s[34:35]
	s_wait_loadcnt 0x0
	v_add_nc_u64_e32 v[24:25], s[10:11], v[2:3]
	s_mov_b32 s10, exec_lo
	s_wait_xcnt 0x0
	v_cmpx_gt_u32_e64 s8, v2
	s_cbranch_execnz .LBB84_694
; %bb.642:                              ;   in Loop: Header=BB84_638 Depth=2
	s_or_b32 exec_lo, exec_lo, s10
	s_delay_alu instid0(SALU_CYCLE_1)
	s_mov_b32 s10, exec_lo
	v_cmpx_gt_u32_e64 s8, v67
	s_cbranch_execnz .LBB84_695
.LBB84_643:                             ;   in Loop: Header=BB84_638 Depth=2
	s_or_b32 exec_lo, exec_lo, s10
	s_delay_alu instid0(SALU_CYCLE_1)
	s_mov_b32 s10, exec_lo
	v_cmpx_gt_u32_e64 s8, v68
	s_cbranch_execnz .LBB84_696
.LBB84_644:                             ;   in Loop: Header=BB84_638 Depth=2
	s_or_b32 exec_lo, exec_lo, s10
	s_delay_alu instid0(SALU_CYCLE_1)
	s_mov_b32 s10, exec_lo
	v_cmpx_gt_u32_e64 s8, v69
	s_cbranch_execnz .LBB84_697
.LBB84_645:                             ;   in Loop: Header=BB84_638 Depth=2
	s_or_b32 exec_lo, exec_lo, s10
	s_delay_alu instid0(SALU_CYCLE_1)
	s_mov_b32 s10, exec_lo
	v_cmpx_gt_u32_e64 s8, v70
	s_cbranch_execnz .LBB84_698
.LBB84_646:                             ;   in Loop: Header=BB84_638 Depth=2
	s_or_b32 exec_lo, exec_lo, s10
	s_delay_alu instid0(SALU_CYCLE_1)
	s_mov_b32 s10, exec_lo
	v_cmpx_gt_u32_e64 s8, v71
	s_cbranch_execnz .LBB84_699
.LBB84_647:                             ;   in Loop: Header=BB84_638 Depth=2
	s_or_b32 exec_lo, exec_lo, s10
	s_delay_alu instid0(SALU_CYCLE_1)
	s_mov_b32 s10, exec_lo
	v_cmpx_gt_u32_e64 s8, v72
	s_cbranch_execnz .LBB84_700
.LBB84_648:                             ;   in Loop: Header=BB84_638 Depth=2
	s_or_b32 exec_lo, exec_lo, s10
	s_delay_alu instid0(SALU_CYCLE_1)
	s_mov_b32 s10, exec_lo
	v_cmpx_gt_u32_e64 s8, v73
	s_cbranch_execnz .LBB84_701
.LBB84_649:                             ;   in Loop: Header=BB84_638 Depth=2
	s_or_b32 exec_lo, exec_lo, s10
	s_delay_alu instid0(SALU_CYCLE_1)
	s_mov_b32 s10, exec_lo
	v_cmpx_gt_u32_e64 s8, v74
	s_cbranch_execnz .LBB84_702
.LBB84_650:                             ;   in Loop: Header=BB84_638 Depth=2
	s_or_b32 exec_lo, exec_lo, s10
	s_delay_alu instid0(SALU_CYCLE_1)
	s_mov_b32 s10, exec_lo
	v_cmpx_gt_u32_e64 s8, v75
	s_cbranch_execnz .LBB84_703
.LBB84_651:                             ;   in Loop: Header=BB84_638 Depth=2
	s_or_b32 exec_lo, exec_lo, s10
	s_delay_alu instid0(SALU_CYCLE_1)
	s_mov_b32 s10, exec_lo
	v_cmpx_gt_u32_e64 s8, v76
	s_cbranch_execnz .LBB84_704
.LBB84_652:                             ;   in Loop: Header=BB84_638 Depth=2
	s_or_b32 exec_lo, exec_lo, s10
	s_delay_alu instid0(SALU_CYCLE_1)
	s_mov_b32 s10, exec_lo
	v_cmpx_gt_u32_e64 s8, v77
	s_cbranch_execnz .LBB84_705
.LBB84_653:                             ;   in Loop: Header=BB84_638 Depth=2
	s_or_b32 exec_lo, exec_lo, s10
	s_delay_alu instid0(SALU_CYCLE_1)
	s_mov_b32 s10, exec_lo
	v_cmpx_gt_u32_e64 s8, v78
	s_cbranch_execnz .LBB84_706
.LBB84_654:                             ;   in Loop: Header=BB84_638 Depth=2
	s_or_b32 exec_lo, exec_lo, s10
	s_delay_alu instid0(SALU_CYCLE_1)
	s_mov_b32 s10, exec_lo
	v_cmpx_gt_u32_e64 s8, v79
	s_cbranch_execnz .LBB84_707
.LBB84_655:                             ;   in Loop: Header=BB84_638 Depth=2
	s_or_b32 exec_lo, exec_lo, s10
	s_delay_alu instid0(SALU_CYCLE_1)
	s_mov_b32 s10, exec_lo
	v_cmpx_gt_u32_e64 s8, v80
	s_cbranch_execnz .LBB84_708
.LBB84_656:                             ;   in Loop: Header=BB84_638 Depth=2
	s_or_b32 exec_lo, exec_lo, s10
	s_delay_alu instid0(SALU_CYCLE_1)
	s_mov_b32 s10, exec_lo
	v_cmpx_gt_u32_e64 s8, v81
	s_cbranch_execnz .LBB84_709
.LBB84_657:                             ;   in Loop: Header=BB84_638 Depth=2
	s_or_b32 exec_lo, exec_lo, s10
	s_delay_alu instid0(SALU_CYCLE_1)
	s_mov_b32 s10, exec_lo
	v_cmpx_gt_u32_e64 s8, v82
	s_cbranch_execz .LBB84_659
.LBB84_658:                             ;   in Loop: Header=BB84_638 Depth=2
	global_load_u8 v26, v[24:25], off offset:4096
.LBB84_659:                             ;   in Loop: Header=BB84_638 Depth=2
	s_wait_xcnt 0x0
	s_or_b32 exec_lo, exec_lo, s10
	s_wait_loadcnt 0x0
	v_dual_mov_b32 v24, v39 :: v_dual_mov_b32 v25, v42
	v_dual_mov_b32 v43, v41 :: v_dual_mov_b32 v44, v40
	;; [unrolled: 1-line block ×8, first 2 shown]
	v_mov_b32_e32 v57, v26
	s_mov_b32 s10, s8
.LBB84_660:                             ;   in Loop: Header=BB84_638 Depth=2
	s_wait_loadcnt 0xf
	s_delay_alu instid0(VALU_DEP_1)
	v_dual_mov_b32 v26, v57 :: v_dual_mov_b32 v27, v56
	s_wait_loadcnt 0xd
	v_dual_mov_b32 v28, v55 :: v_dual_mov_b32 v29, v54
	s_wait_loadcnt 0xb
	;; [unrolled: 2-line block ×8, first 2 shown]
	v_mov_b32_e32 v39, v24
	s_mov_b32 s11, exec_lo
	s_wait_xcnt 0x0
	v_cmpx_gt_u32_e64 s10, v2
	s_cbranch_execnz .LBB84_677
; %bb.661:                              ;   in Loop: Header=BB84_638 Depth=2
	s_or_b32 exec_lo, exec_lo, s11
	s_delay_alu instid0(SALU_CYCLE_1)
	s_mov_b32 s11, exec_lo
	v_cmpx_gt_u32_e64 s10, v67
	s_cbranch_execnz .LBB84_678
.LBB84_662:                             ;   in Loop: Header=BB84_638 Depth=2
	s_or_b32 exec_lo, exec_lo, s11
	s_delay_alu instid0(SALU_CYCLE_1)
	s_mov_b32 s11, exec_lo
	v_cmpx_gt_u32_e64 s10, v68
	s_cbranch_execnz .LBB84_679
.LBB84_663:                             ;   in Loop: Header=BB84_638 Depth=2
	s_or_b32 exec_lo, exec_lo, s11
	s_delay_alu instid0(SALU_CYCLE_1)
	s_mov_b32 s11, exec_lo
	v_cmpx_gt_u32_e64 s10, v69
	s_cbranch_execnz .LBB84_680
.LBB84_664:                             ;   in Loop: Header=BB84_638 Depth=2
	s_or_b32 exec_lo, exec_lo, s11
	s_delay_alu instid0(SALU_CYCLE_1)
	s_mov_b32 s11, exec_lo
	v_cmpx_gt_u32_e64 s10, v70
	s_cbranch_execnz .LBB84_681
.LBB84_665:                             ;   in Loop: Header=BB84_638 Depth=2
	s_or_b32 exec_lo, exec_lo, s11
	s_delay_alu instid0(SALU_CYCLE_1)
	s_mov_b32 s11, exec_lo
	v_cmpx_gt_u32_e64 s10, v71
	s_cbranch_execnz .LBB84_682
.LBB84_666:                             ;   in Loop: Header=BB84_638 Depth=2
	s_or_b32 exec_lo, exec_lo, s11
	s_delay_alu instid0(SALU_CYCLE_1)
	s_mov_b32 s11, exec_lo
	v_cmpx_gt_u32_e64 s10, v72
	s_cbranch_execnz .LBB84_683
.LBB84_667:                             ;   in Loop: Header=BB84_638 Depth=2
	s_or_b32 exec_lo, exec_lo, s11
	s_delay_alu instid0(SALU_CYCLE_1)
	s_mov_b32 s11, exec_lo
	v_cmpx_gt_u32_e64 s10, v73
	s_cbranch_execnz .LBB84_684
.LBB84_668:                             ;   in Loop: Header=BB84_638 Depth=2
	s_or_b32 exec_lo, exec_lo, s11
	s_delay_alu instid0(SALU_CYCLE_1)
	s_mov_b32 s11, exec_lo
	v_cmpx_gt_u32_e64 s10, v74
	s_cbranch_execnz .LBB84_685
.LBB84_669:                             ;   in Loop: Header=BB84_638 Depth=2
	s_or_b32 exec_lo, exec_lo, s11
	s_delay_alu instid0(SALU_CYCLE_1)
	s_mov_b32 s11, exec_lo
	v_cmpx_gt_u32_e64 s10, v75
	s_cbranch_execnz .LBB84_686
.LBB84_670:                             ;   in Loop: Header=BB84_638 Depth=2
	s_or_b32 exec_lo, exec_lo, s11
	s_delay_alu instid0(SALU_CYCLE_1)
	s_mov_b32 s11, exec_lo
	v_cmpx_gt_u32_e64 s10, v76
	s_cbranch_execnz .LBB84_687
.LBB84_671:                             ;   in Loop: Header=BB84_638 Depth=2
	s_or_b32 exec_lo, exec_lo, s11
	s_delay_alu instid0(SALU_CYCLE_1)
	s_mov_b32 s11, exec_lo
	v_cmpx_gt_u32_e64 s10, v77
	s_cbranch_execnz .LBB84_688
.LBB84_672:                             ;   in Loop: Header=BB84_638 Depth=2
	s_or_b32 exec_lo, exec_lo, s11
	s_delay_alu instid0(SALU_CYCLE_1)
	s_mov_b32 s11, exec_lo
	v_cmpx_gt_u32_e64 s10, v78
	s_cbranch_execnz .LBB84_689
.LBB84_673:                             ;   in Loop: Header=BB84_638 Depth=2
	s_or_b32 exec_lo, exec_lo, s11
	s_delay_alu instid0(SALU_CYCLE_1)
	s_mov_b32 s11, exec_lo
	v_cmpx_gt_u32_e64 s10, v79
	s_cbranch_execnz .LBB84_690
.LBB84_674:                             ;   in Loop: Header=BB84_638 Depth=2
	s_or_b32 exec_lo, exec_lo, s11
	s_delay_alu instid0(SALU_CYCLE_1)
	s_mov_b32 s11, exec_lo
	v_cmpx_gt_u32_e64 s10, v80
	s_cbranch_execnz .LBB84_691
.LBB84_675:                             ;   in Loop: Header=BB84_638 Depth=2
	s_or_b32 exec_lo, exec_lo, s11
	s_delay_alu instid0(SALU_CYCLE_1)
	s_mov_b32 s11, exec_lo
	v_cmpx_gt_u32_e64 s10, v81
	s_cbranch_execnz .LBB84_692
.LBB84_676:                             ;   in Loop: Header=BB84_638 Depth=2
	s_or_b32 exec_lo, exec_lo, s11
	v_cmp_gt_u32_e32 vcc_lo, s10, v82
	s_and_saveexec_b32 s10, vcc_lo
	s_cbranch_execz .LBB84_637
	s_branch .LBB84_693
.LBB84_677:                             ;   in Loop: Header=BB84_638 Depth=2
	v_xor_b32_e32 v24, -1, v39
	s_delay_alu instid0(VALU_DEP_1) | instskip(NEXT) | instid1(VALU_DEP_1)
	v_and_b32_e32 v24, 0xff, v24
	v_lshrrev_b32_e32 v24, s49, v24
	s_delay_alu instid0(VALU_DEP_1) | instskip(NEXT) | instid1(VALU_DEP_1)
	v_and_b32_e32 v24, s48, v24
	v_lshl_or_b32 v24, v24, 4, v84
	ds_add_u32 v24, v7
	s_or_b32 exec_lo, exec_lo, s11
	s_delay_alu instid0(SALU_CYCLE_1)
	s_mov_b32 s11, exec_lo
	v_cmpx_gt_u32_e64 s10, v67
	s_cbranch_execz .LBB84_662
.LBB84_678:                             ;   in Loop: Header=BB84_638 Depth=2
	v_xor_b32_e32 v24, -1, v42
	s_delay_alu instid0(VALU_DEP_1) | instskip(NEXT) | instid1(VALU_DEP_1)
	v_and_b32_e32 v24, 0xff, v24
	v_lshrrev_b32_e32 v24, s49, v24
	s_delay_alu instid0(VALU_DEP_1) | instskip(NEXT) | instid1(VALU_DEP_1)
	v_and_b32_e32 v24, s48, v24
	v_lshl_or_b32 v24, v24, 4, v84
	ds_add_u32 v24, v7
	s_or_b32 exec_lo, exec_lo, s11
	s_delay_alu instid0(SALU_CYCLE_1)
	s_mov_b32 s11, exec_lo
	v_cmpx_gt_u32_e64 s10, v68
	s_cbranch_execz .LBB84_663
.LBB84_679:                             ;   in Loop: Header=BB84_638 Depth=2
	v_xor_b32_e32 v24, -1, v41
	s_delay_alu instid0(VALU_DEP_1) | instskip(NEXT) | instid1(VALU_DEP_1)
	v_and_b32_e32 v24, 0xff, v24
	v_lshrrev_b32_e32 v24, s49, v24
	s_delay_alu instid0(VALU_DEP_1) | instskip(NEXT) | instid1(VALU_DEP_1)
	v_and_b32_e32 v24, s48, v24
	v_lshl_or_b32 v24, v24, 4, v84
	ds_add_u32 v24, v7
	s_or_b32 exec_lo, exec_lo, s11
	s_delay_alu instid0(SALU_CYCLE_1)
	s_mov_b32 s11, exec_lo
	v_cmpx_gt_u32_e64 s10, v69
	s_cbranch_execz .LBB84_664
.LBB84_680:                             ;   in Loop: Header=BB84_638 Depth=2
	v_xor_b32_e32 v24, -1, v40
	s_delay_alu instid0(VALU_DEP_1) | instskip(NEXT) | instid1(VALU_DEP_1)
	v_and_b32_e32 v24, 0xff, v24
	v_lshrrev_b32_e32 v24, s49, v24
	s_delay_alu instid0(VALU_DEP_1) | instskip(NEXT) | instid1(VALU_DEP_1)
	v_and_b32_e32 v24, s48, v24
	v_lshl_or_b32 v24, v24, 4, v84
	ds_add_u32 v24, v7
	s_or_b32 exec_lo, exec_lo, s11
	s_delay_alu instid0(SALU_CYCLE_1)
	s_mov_b32 s11, exec_lo
	v_cmpx_gt_u32_e64 s10, v70
	s_cbranch_execz .LBB84_665
.LBB84_681:                             ;   in Loop: Header=BB84_638 Depth=2
	v_xor_b32_e32 v24, -1, v38
	s_delay_alu instid0(VALU_DEP_1) | instskip(NEXT) | instid1(VALU_DEP_1)
	v_and_b32_e32 v24, 0xff, v24
	v_lshrrev_b32_e32 v24, s49, v24
	s_delay_alu instid0(VALU_DEP_1) | instskip(NEXT) | instid1(VALU_DEP_1)
	v_and_b32_e32 v24, s48, v24
	v_lshl_or_b32 v24, v24, 4, v84
	ds_add_u32 v24, v7
	s_or_b32 exec_lo, exec_lo, s11
	s_delay_alu instid0(SALU_CYCLE_1)
	s_mov_b32 s11, exec_lo
	v_cmpx_gt_u32_e64 s10, v71
	s_cbranch_execz .LBB84_666
.LBB84_682:                             ;   in Loop: Header=BB84_638 Depth=2
	v_xor_b32_e32 v24, -1, v37
	s_delay_alu instid0(VALU_DEP_1) | instskip(NEXT) | instid1(VALU_DEP_1)
	v_and_b32_e32 v24, 0xff, v24
	v_lshrrev_b32_e32 v24, s49, v24
	s_delay_alu instid0(VALU_DEP_1) | instskip(NEXT) | instid1(VALU_DEP_1)
	v_and_b32_e32 v24, s48, v24
	v_lshl_or_b32 v24, v24, 4, v84
	ds_add_u32 v24, v7
	s_or_b32 exec_lo, exec_lo, s11
	s_delay_alu instid0(SALU_CYCLE_1)
	s_mov_b32 s11, exec_lo
	v_cmpx_gt_u32_e64 s10, v72
	s_cbranch_execz .LBB84_667
.LBB84_683:                             ;   in Loop: Header=BB84_638 Depth=2
	v_xor_b32_e32 v24, -1, v36
	s_delay_alu instid0(VALU_DEP_1) | instskip(NEXT) | instid1(VALU_DEP_1)
	v_and_b32_e32 v24, 0xff, v24
	v_lshrrev_b32_e32 v24, s49, v24
	s_delay_alu instid0(VALU_DEP_1) | instskip(NEXT) | instid1(VALU_DEP_1)
	v_and_b32_e32 v24, s48, v24
	v_lshl_or_b32 v24, v24, 4, v84
	ds_add_u32 v24, v7
	s_or_b32 exec_lo, exec_lo, s11
	s_delay_alu instid0(SALU_CYCLE_1)
	s_mov_b32 s11, exec_lo
	v_cmpx_gt_u32_e64 s10, v73
	s_cbranch_execz .LBB84_668
.LBB84_684:                             ;   in Loop: Header=BB84_638 Depth=2
	v_xor_b32_e32 v24, -1, v35
	s_delay_alu instid0(VALU_DEP_1) | instskip(NEXT) | instid1(VALU_DEP_1)
	v_and_b32_e32 v24, 0xff, v24
	v_lshrrev_b32_e32 v24, s49, v24
	s_delay_alu instid0(VALU_DEP_1) | instskip(NEXT) | instid1(VALU_DEP_1)
	v_and_b32_e32 v24, s48, v24
	v_lshl_or_b32 v24, v24, 4, v84
	ds_add_u32 v24, v7
	s_or_b32 exec_lo, exec_lo, s11
	s_delay_alu instid0(SALU_CYCLE_1)
	s_mov_b32 s11, exec_lo
	v_cmpx_gt_u32_e64 s10, v74
	s_cbranch_execz .LBB84_669
.LBB84_685:                             ;   in Loop: Header=BB84_638 Depth=2
	v_xor_b32_e32 v24, -1, v34
	s_delay_alu instid0(VALU_DEP_1) | instskip(NEXT) | instid1(VALU_DEP_1)
	v_and_b32_e32 v24, 0xff, v24
	v_lshrrev_b32_e32 v24, s49, v24
	s_delay_alu instid0(VALU_DEP_1) | instskip(NEXT) | instid1(VALU_DEP_1)
	v_and_b32_e32 v24, s48, v24
	v_lshl_or_b32 v24, v24, 4, v84
	ds_add_u32 v24, v7
	s_or_b32 exec_lo, exec_lo, s11
	s_delay_alu instid0(SALU_CYCLE_1)
	s_mov_b32 s11, exec_lo
	v_cmpx_gt_u32_e64 s10, v75
	s_cbranch_execz .LBB84_670
.LBB84_686:                             ;   in Loop: Header=BB84_638 Depth=2
	v_xor_b32_e32 v24, -1, v33
	s_delay_alu instid0(VALU_DEP_1) | instskip(NEXT) | instid1(VALU_DEP_1)
	v_and_b32_e32 v24, 0xff, v24
	v_lshrrev_b32_e32 v24, s49, v24
	s_delay_alu instid0(VALU_DEP_1) | instskip(NEXT) | instid1(VALU_DEP_1)
	v_and_b32_e32 v24, s48, v24
	v_lshl_or_b32 v24, v24, 4, v84
	ds_add_u32 v24, v7
	s_or_b32 exec_lo, exec_lo, s11
	s_delay_alu instid0(SALU_CYCLE_1)
	s_mov_b32 s11, exec_lo
	v_cmpx_gt_u32_e64 s10, v76
	s_cbranch_execz .LBB84_671
.LBB84_687:                             ;   in Loop: Header=BB84_638 Depth=2
	v_xor_b32_e32 v24, -1, v32
	s_delay_alu instid0(VALU_DEP_1) | instskip(NEXT) | instid1(VALU_DEP_1)
	v_and_b32_e32 v24, 0xff, v24
	v_lshrrev_b32_e32 v24, s49, v24
	s_delay_alu instid0(VALU_DEP_1) | instskip(NEXT) | instid1(VALU_DEP_1)
	v_and_b32_e32 v24, s48, v24
	v_lshl_or_b32 v24, v24, 4, v84
	ds_add_u32 v24, v7
	s_or_b32 exec_lo, exec_lo, s11
	s_delay_alu instid0(SALU_CYCLE_1)
	s_mov_b32 s11, exec_lo
	v_cmpx_gt_u32_e64 s10, v77
	s_cbranch_execz .LBB84_672
.LBB84_688:                             ;   in Loop: Header=BB84_638 Depth=2
	v_xor_b32_e32 v24, -1, v31
	s_delay_alu instid0(VALU_DEP_1) | instskip(NEXT) | instid1(VALU_DEP_1)
	v_and_b32_e32 v24, 0xff, v24
	v_lshrrev_b32_e32 v24, s49, v24
	s_delay_alu instid0(VALU_DEP_1) | instskip(NEXT) | instid1(VALU_DEP_1)
	v_and_b32_e32 v24, s48, v24
	v_lshl_or_b32 v24, v24, 4, v84
	ds_add_u32 v24, v7
	s_or_b32 exec_lo, exec_lo, s11
	s_delay_alu instid0(SALU_CYCLE_1)
	s_mov_b32 s11, exec_lo
	v_cmpx_gt_u32_e64 s10, v78
	s_cbranch_execz .LBB84_673
.LBB84_689:                             ;   in Loop: Header=BB84_638 Depth=2
	v_xor_b32_e32 v24, -1, v30
	s_delay_alu instid0(VALU_DEP_1) | instskip(NEXT) | instid1(VALU_DEP_1)
	v_and_b32_e32 v24, 0xff, v24
	v_lshrrev_b32_e32 v24, s49, v24
	s_delay_alu instid0(VALU_DEP_1) | instskip(NEXT) | instid1(VALU_DEP_1)
	v_and_b32_e32 v24, s48, v24
	v_lshl_or_b32 v24, v24, 4, v84
	ds_add_u32 v24, v7
	s_or_b32 exec_lo, exec_lo, s11
	s_delay_alu instid0(SALU_CYCLE_1)
	s_mov_b32 s11, exec_lo
	v_cmpx_gt_u32_e64 s10, v79
	s_cbranch_execz .LBB84_674
.LBB84_690:                             ;   in Loop: Header=BB84_638 Depth=2
	v_xor_b32_e32 v24, -1, v29
	s_delay_alu instid0(VALU_DEP_1) | instskip(NEXT) | instid1(VALU_DEP_1)
	v_and_b32_e32 v24, 0xff, v24
	v_lshrrev_b32_e32 v24, s49, v24
	s_delay_alu instid0(VALU_DEP_1) | instskip(NEXT) | instid1(VALU_DEP_1)
	v_and_b32_e32 v24, s48, v24
	v_lshl_or_b32 v24, v24, 4, v84
	ds_add_u32 v24, v7
	s_or_b32 exec_lo, exec_lo, s11
	s_delay_alu instid0(SALU_CYCLE_1)
	s_mov_b32 s11, exec_lo
	v_cmpx_gt_u32_e64 s10, v80
	s_cbranch_execz .LBB84_675
.LBB84_691:                             ;   in Loop: Header=BB84_638 Depth=2
	v_xor_b32_e32 v24, -1, v28
	s_delay_alu instid0(VALU_DEP_1) | instskip(NEXT) | instid1(VALU_DEP_1)
	v_and_b32_e32 v24, 0xff, v24
	v_lshrrev_b32_e32 v24, s49, v24
	s_delay_alu instid0(VALU_DEP_1) | instskip(NEXT) | instid1(VALU_DEP_1)
	v_and_b32_e32 v24, s48, v24
	v_lshl_or_b32 v24, v24, 4, v84
	ds_add_u32 v24, v7
	s_or_b32 exec_lo, exec_lo, s11
	s_delay_alu instid0(SALU_CYCLE_1)
	s_mov_b32 s11, exec_lo
	v_cmpx_gt_u32_e64 s10, v81
	s_cbranch_execz .LBB84_676
.LBB84_692:                             ;   in Loop: Header=BB84_638 Depth=2
	v_xor_b32_e32 v24, -1, v27
	s_delay_alu instid0(VALU_DEP_1) | instskip(NEXT) | instid1(VALU_DEP_1)
	v_and_b32_e32 v24, 0xff, v24
	v_lshrrev_b32_e32 v24, s49, v24
	s_delay_alu instid0(VALU_DEP_1) | instskip(NEXT) | instid1(VALU_DEP_1)
	v_and_b32_e32 v24, s48, v24
	v_lshl_or_b32 v24, v24, 4, v84
	ds_add_u32 v24, v7
	s_or_b32 exec_lo, exec_lo, s11
	v_cmp_gt_u32_e32 vcc_lo, s10, v82
	s_and_saveexec_b32 s10, vcc_lo
	s_cbranch_execz .LBB84_637
.LBB84_693:                             ;   in Loop: Header=BB84_638 Depth=2
	v_xor_b32_e32 v24, -1, v26
	s_delay_alu instid0(VALU_DEP_1) | instskip(NEXT) | instid1(VALU_DEP_1)
	v_and_b32_e32 v24, 0xff, v24
	v_lshrrev_b32_e32 v24, s49, v24
	s_delay_alu instid0(VALU_DEP_1) | instskip(NEXT) | instid1(VALU_DEP_1)
	v_and_b32_e32 v24, s48, v24
	v_lshl_or_b32 v24, v24, 4, v84
	ds_add_u32 v24, v7
	s_branch .LBB84_637
.LBB84_694:                             ;   in Loop: Header=BB84_638 Depth=2
	global_load_u8 v39, v[24:25], off
	s_wait_xcnt 0x0
	s_or_b32 exec_lo, exec_lo, s10
	s_delay_alu instid0(SALU_CYCLE_1)
	s_mov_b32 s10, exec_lo
	v_cmpx_gt_u32_e64 s8, v67
	s_cbranch_execz .LBB84_643
.LBB84_695:                             ;   in Loop: Header=BB84_638 Depth=2
	global_load_u8 v42, v[24:25], off offset:256
	s_wait_xcnt 0x0
	s_or_b32 exec_lo, exec_lo, s10
	s_delay_alu instid0(SALU_CYCLE_1)
	s_mov_b32 s10, exec_lo
	v_cmpx_gt_u32_e64 s8, v68
	s_cbranch_execz .LBB84_644
.LBB84_696:                             ;   in Loop: Header=BB84_638 Depth=2
	global_load_u8 v41, v[24:25], off offset:512
	s_wait_xcnt 0x0
	s_or_b32 exec_lo, exec_lo, s10
	s_delay_alu instid0(SALU_CYCLE_1)
	s_mov_b32 s10, exec_lo
	v_cmpx_gt_u32_e64 s8, v69
	s_cbranch_execz .LBB84_645
.LBB84_697:                             ;   in Loop: Header=BB84_638 Depth=2
	global_load_u8 v40, v[24:25], off offset:768
	s_wait_xcnt 0x0
	s_or_b32 exec_lo, exec_lo, s10
	s_delay_alu instid0(SALU_CYCLE_1)
	s_mov_b32 s10, exec_lo
	v_cmpx_gt_u32_e64 s8, v70
	s_cbranch_execz .LBB84_646
.LBB84_698:                             ;   in Loop: Header=BB84_638 Depth=2
	global_load_u8 v38, v[24:25], off offset:1024
	s_wait_xcnt 0x0
	s_or_b32 exec_lo, exec_lo, s10
	s_delay_alu instid0(SALU_CYCLE_1)
	s_mov_b32 s10, exec_lo
	v_cmpx_gt_u32_e64 s8, v71
	s_cbranch_execz .LBB84_647
.LBB84_699:                             ;   in Loop: Header=BB84_638 Depth=2
	global_load_u8 v37, v[24:25], off offset:1280
	s_wait_xcnt 0x0
	s_or_b32 exec_lo, exec_lo, s10
	s_delay_alu instid0(SALU_CYCLE_1)
	s_mov_b32 s10, exec_lo
	v_cmpx_gt_u32_e64 s8, v72
	s_cbranch_execz .LBB84_648
.LBB84_700:                             ;   in Loop: Header=BB84_638 Depth=2
	global_load_u8 v36, v[24:25], off offset:1536
	s_wait_xcnt 0x0
	s_or_b32 exec_lo, exec_lo, s10
	s_delay_alu instid0(SALU_CYCLE_1)
	s_mov_b32 s10, exec_lo
	v_cmpx_gt_u32_e64 s8, v73
	s_cbranch_execz .LBB84_649
.LBB84_701:                             ;   in Loop: Header=BB84_638 Depth=2
	global_load_u8 v35, v[24:25], off offset:1792
	s_wait_xcnt 0x0
	s_or_b32 exec_lo, exec_lo, s10
	s_delay_alu instid0(SALU_CYCLE_1)
	s_mov_b32 s10, exec_lo
	v_cmpx_gt_u32_e64 s8, v74
	s_cbranch_execz .LBB84_650
.LBB84_702:                             ;   in Loop: Header=BB84_638 Depth=2
	global_load_u8 v34, v[24:25], off offset:2048
	s_wait_xcnt 0x0
	s_or_b32 exec_lo, exec_lo, s10
	s_delay_alu instid0(SALU_CYCLE_1)
	s_mov_b32 s10, exec_lo
	v_cmpx_gt_u32_e64 s8, v75
	s_cbranch_execz .LBB84_651
.LBB84_703:                             ;   in Loop: Header=BB84_638 Depth=2
	global_load_u8 v33, v[24:25], off offset:2304
	s_wait_xcnt 0x0
	s_or_b32 exec_lo, exec_lo, s10
	s_delay_alu instid0(SALU_CYCLE_1)
	s_mov_b32 s10, exec_lo
	v_cmpx_gt_u32_e64 s8, v76
	s_cbranch_execz .LBB84_652
.LBB84_704:                             ;   in Loop: Header=BB84_638 Depth=2
	global_load_u8 v32, v[24:25], off offset:2560
	s_wait_xcnt 0x0
	s_or_b32 exec_lo, exec_lo, s10
	s_delay_alu instid0(SALU_CYCLE_1)
	s_mov_b32 s10, exec_lo
	v_cmpx_gt_u32_e64 s8, v77
	s_cbranch_execz .LBB84_653
.LBB84_705:                             ;   in Loop: Header=BB84_638 Depth=2
	global_load_u8 v31, v[24:25], off offset:2816
	s_wait_xcnt 0x0
	s_or_b32 exec_lo, exec_lo, s10
	s_delay_alu instid0(SALU_CYCLE_1)
	s_mov_b32 s10, exec_lo
	v_cmpx_gt_u32_e64 s8, v78
	s_cbranch_execz .LBB84_654
.LBB84_706:                             ;   in Loop: Header=BB84_638 Depth=2
	global_load_u8 v30, v[24:25], off offset:3072
	s_wait_xcnt 0x0
	s_or_b32 exec_lo, exec_lo, s10
	s_delay_alu instid0(SALU_CYCLE_1)
	s_mov_b32 s10, exec_lo
	v_cmpx_gt_u32_e64 s8, v79
	s_cbranch_execz .LBB84_655
.LBB84_707:                             ;   in Loop: Header=BB84_638 Depth=2
	global_load_u8 v29, v[24:25], off offset:3328
	s_wait_xcnt 0x0
	s_or_b32 exec_lo, exec_lo, s10
	s_delay_alu instid0(SALU_CYCLE_1)
	s_mov_b32 s10, exec_lo
	v_cmpx_gt_u32_e64 s8, v80
	s_cbranch_execz .LBB84_656
.LBB84_708:                             ;   in Loop: Header=BB84_638 Depth=2
	global_load_u8 v28, v[24:25], off offset:3584
	s_wait_xcnt 0x0
	s_or_b32 exec_lo, exec_lo, s10
	s_delay_alu instid0(SALU_CYCLE_1)
	s_mov_b32 s10, exec_lo
	v_cmpx_gt_u32_e64 s8, v81
	s_cbranch_execz .LBB84_657
.LBB84_709:                             ;   in Loop: Header=BB84_638 Depth=2
	global_load_u8 v27, v[24:25], off offset:3840
	s_wait_xcnt 0x0
	s_or_b32 exec_lo, exec_lo, s10
	s_delay_alu instid0(SALU_CYCLE_1)
	s_mov_b32 s10, exec_lo
	v_cmpx_gt_u32_e64 s8, v82
	s_cbranch_execnz .LBB84_658
	s_branch .LBB84_659
.LBB84_710:                             ;   in Loop: Header=BB84_12 Depth=1
	v_mov_b32_e32 v24, 0
	s_wait_dscnt 0x0
	s_barrier_signal -1
	s_barrier_wait -1
	s_and_saveexec_b32 s8, s0
	s_cbranch_execz .LBB84_712
; %bb.711:                              ;   in Loop: Header=BB84_12 Depth=1
	ds_load_2addr_b64 v[24:27], v85 offset1:1
	s_wait_dscnt 0x0
	v_add_nc_u32_e32 v24, v25, v24
	s_delay_alu instid0(VALU_DEP_1)
	v_add3_u32 v24, v24, v26, v27
.LBB84_712:                             ;   in Loop: Header=BB84_12 Depth=1
	s_or_b32 exec_lo, exec_lo, s8
	v_and_b32_e32 v25, 15, v0
	s_delay_alu instid0(VALU_DEP_2) | instskip(SKIP_1) | instid1(VALU_DEP_3)
	v_mov_b32_dpp v26, v24 row_shr:1 row_mask:0xf bank_mask:0xf
	v_and_b32_e32 v27, 16, v0
	v_cmp_eq_u32_e64 s8, 0, v25
	v_cmp_lt_u32_e64 s9, 1, v25
	s_delay_alu instid0(VALU_DEP_3) | instskip(NEXT) | instid1(VALU_DEP_3)
	v_cmp_eq_u32_e64 s12, 0, v27
	v_cndmask_b32_e64 v26, v26, 0, s8
	s_delay_alu instid0(VALU_DEP_1) | instskip(NEXT) | instid1(VALU_DEP_1)
	v_add_nc_u32_e32 v24, v26, v24
	v_mov_b32_dpp v26, v24 row_shr:2 row_mask:0xf bank_mask:0xf
	s_delay_alu instid0(VALU_DEP_1) | instskip(SKIP_2) | instid1(VALU_DEP_3)
	v_cndmask_b32_e64 v26, 0, v26, s9
	v_cmp_lt_u32_e64 s11, 7, v25
	v_cmp_lt_u32_e64 s10, 3, v25
	v_add_nc_u32_e32 v24, v24, v26
	s_delay_alu instid0(VALU_DEP_1) | instskip(NEXT) | instid1(VALU_DEP_1)
	v_mov_b32_dpp v26, v24 row_shr:4 row_mask:0xf bank_mask:0xf
	v_cndmask_b32_e64 v26, 0, v26, s10
	s_delay_alu instid0(VALU_DEP_1) | instskip(NEXT) | instid1(VALU_DEP_1)
	v_add_nc_u32_e32 v24, v24, v26
	v_mov_b32_dpp v26, v24 row_shr:8 row_mask:0xf bank_mask:0xf
	s_delay_alu instid0(VALU_DEP_1) | instskip(SKIP_1) | instid1(VALU_DEP_2)
	v_cndmask_b32_e64 v25, 0, v26, s11
	v_bfe_i32 v26, v0, 4, 1
	v_add_nc_u32_e32 v24, v24, v25
	ds_swizzle_b32 v25, v24 offset:swizzle(BROADCAST,32,15)
	s_wait_dscnt 0x0
	v_and_b32_e32 v25, v26, v25
	s_delay_alu instid0(VALU_DEP_1)
	v_add_nc_u32_e32 v24, v24, v25
	s_and_saveexec_b32 s13, s1
; %bb.713:                              ;   in Loop: Header=BB84_12 Depth=1
	ds_store_b32 v86, v24
; %bb.714:                              ;   in Loop: Header=BB84_12 Depth=1
	s_or_b32 exec_lo, exec_lo, s13
	s_wait_dscnt 0x0
	s_barrier_signal -1
	s_barrier_wait -1
	s_and_saveexec_b32 s13, s4
	s_cbranch_execz .LBB84_716
; %bb.715:                              ;   in Loop: Header=BB84_12 Depth=1
	ds_load_b32 v25, v87
	s_wait_dscnt 0x0
	v_mov_b32_dpp v27, v25 row_shr:1 row_mask:0xf bank_mask:0xf
	v_and_b32_e32 v26, 3, v0
	s_delay_alu instid0(VALU_DEP_1) | instskip(NEXT) | instid1(VALU_DEP_3)
	v_cmp_ne_u32_e32 vcc_lo, 0, v26
	v_cndmask_b32_e32 v27, 0, v27, vcc_lo
	v_cmp_lt_u32_e32 vcc_lo, 1, v26
	s_delay_alu instid0(VALU_DEP_2) | instskip(NEXT) | instid1(VALU_DEP_1)
	v_add_nc_u32_e32 v25, v27, v25
	v_mov_b32_dpp v27, v25 row_shr:2 row_mask:0xf bank_mask:0xf
	s_delay_alu instid0(VALU_DEP_1) | instskip(NEXT) | instid1(VALU_DEP_1)
	v_cndmask_b32_e32 v26, 0, v27, vcc_lo
	v_add_nc_u32_e32 v25, v25, v26
	ds_store_b32 v87, v25
.LBB84_716:                             ;   in Loop: Header=BB84_12 Depth=1
	s_or_b32 exec_lo, exec_lo, s13
	v_mov_b32_e32 v25, 0
	s_wait_dscnt 0x0
	s_barrier_signal -1
	s_barrier_wait -1
	s_and_saveexec_b32 s13, s5
; %bb.717:                              ;   in Loop: Header=BB84_12 Depth=1
	ds_load_b32 v25, v88
; %bb.718:                              ;   in Loop: Header=BB84_12 Depth=1
	s_or_b32 exec_lo, exec_lo, s13
	v_sub_co_u32 v26, s13, v0, 1
	s_wait_dscnt 0x0
	s_barrier_signal -1
	s_barrier_wait -1
	s_delay_alu instid0(VALU_DEP_1) | instskip(SKIP_1) | instid1(VALU_DEP_1)
	v_cmp_gt_i32_e32 vcc_lo, 0, v26
	v_cndmask_b32_e32 v26, v26, v0, vcc_lo
	v_dual_add_nc_u32 v24, v25, v24 :: v_dual_lshlrev_b32 v96, 2, v26
	ds_bpermute_b32 v24, v96, v24
	s_and_saveexec_b32 s14, s0
	s_cbranch_execz .LBB84_720
; %bb.719:                              ;   in Loop: Header=BB84_12 Depth=1
	s_wait_dscnt 0x0
	v_cndmask_b32_e64 v24, v24, v25, s13
	s_delay_alu instid0(VALU_DEP_1)
	v_add_nc_u32_e32 v24, s55, v24
	ds_store_b32 v66, v24
.LBB84_720:                             ;   in Loop: Header=BB84_12 Depth=1
	s_or_b32 exec_lo, exec_lo, s14
	s_load_b64 s[14:15], s[52:53], 0x0
	v_dual_lshlrev_b32 v26, 3, v0 :: v_dual_bitop2_b32 v28, 7, v0 bitop3:0x40
	v_dual_mov_b32 v27, v1 :: v_dual_bitop2_b32 v97, v0, v6 bitop3:0x54
	s_wait_dscnt 0x0
	v_add_nc_u64_e32 v[24:25], v[22:23], v[0:1]
	v_mov_b32_e32 v121, 0
	s_mov_b32 s58, s57
	v_add_nc_u64_e32 v[26:27], v[20:21], v[26:27]
	v_dual_add_nc_u32 v98, 32, v97 :: v_dual_add_nc_u32 v99, 64, v97
	v_add_nc_u32_e32 v100, 0x60, v97
	v_add_nc_u32_e32 v101, 0x80, v97
	v_add_nc_u32_e32 v102, 0xa0, v97
	v_add_nc_u32_e32 v103, 0xc0, v97
	v_add_nc_u32_e32 v104, 0xe0, v97
	v_add_nc_u32_e32 v105, 0x100, v97
	v_add_nc_u32_e32 v106, 0x120, v97
	v_add_nc_u32_e32 v107, 0x140, v97
	v_add_nc_u32_e32 v108, 0x160, v97
	s_wait_kmcnt 0x0
	s_cmp_lt_u32 s51, s14
	v_add_nc_u32_e32 v109, 0x180, v97
	s_cselect_b32 s34, 12, 18
	s_cmp_lt_u32 s42, s15
	s_mov_b32 s15, s35
	s_cselect_b32 s14, 14, 20
	v_add_nc_u32_e32 v110, 0x1a0, v97
	s_add_nc_u64 s[14:15], s[52:53], s[14:15]
	v_add_nc_u32_e32 v111, 0x1c0, v97
	s_load_u16 s16, s[14:15], 0x0
	s_wait_xcnt 0x0
	s_add_nc_u64 s[14:15], s[52:53], s[34:35]
	v_add_nc_u32_e32 v112, 0x1e0, v97
	s_load_u16 s17, s[14:15], 0x0
	s_wait_xcnt 0x0
	v_cmp_eq_u32_e64 s14, 0, v28
	v_cmp_lt_u32_e64 s15, 1, v28
	v_add_nc_u32_e32 v113, 0x200, v97
	s_mov_b32 s34, s55
                                        ; implicit-def: $vgpr30_vgpr31
                                        ; implicit-def: $vgpr32_vgpr33
                                        ; implicit-def: $vgpr34_vgpr35
                                        ; implicit-def: $vgpr36_vgpr37
                                        ; implicit-def: $vgpr38_vgpr39
                                        ; implicit-def: $vgpr40_vgpr41
                                        ; implicit-def: $vgpr42_vgpr43
                                        ; implicit-def: $vgpr44_vgpr45
                                        ; implicit-def: $vgpr46_vgpr47
                                        ; implicit-def: $vgpr48_vgpr49
                                        ; implicit-def: $vgpr50_vgpr51
                                        ; implicit-def: $vgpr52_vgpr53
                                        ; implicit-def: $vgpr54_vgpr55
                                        ; implicit-def: $vgpr56_vgpr57
                                        ; implicit-def: $vgpr58_vgpr59
                                        ; implicit-def: $vgpr60_vgpr61
                                        ; implicit-def: $vgpr115
                                        ; implicit-def: $vgpr116
                                        ; implicit-def: $vgpr117
                                        ; implicit-def: $vgpr118
                                        ; implicit-def: $vgpr119
                                        ; implicit-def: $vgpr120
                                        ; implicit-def: $vgpr122
                                        ; implicit-def: $vgpr123
                                        ; implicit-def: $vgpr124
                                        ; implicit-def: $vgpr125
                                        ; implicit-def: $vgpr126
                                        ; implicit-def: $vgpr127
                                        ; implicit-def: $vgpr128
                                        ; implicit-def: $vgpr129
                                        ; implicit-def: $vgpr130
                                        ; implicit-def: $vgpr131
                                        ; implicit-def: $vgpr132
                                        ; implicit-def: $vgpr133
                                        ; implicit-def: $vgpr134
	s_wait_kmcnt 0x0
	v_mad_u32_u24 v29, v89, s16, v91
	v_cmp_lt_u32_e64 s16, 3, v28
	s_delay_alu instid0(VALU_DEP_2) | instskip(NEXT) | instid1(VALU_DEP_1)
	v_mad_u32 v28, v29, s17, v2
	v_lshrrev_b32_e32 v28, 3, v28
	s_delay_alu instid0(VALU_DEP_1)
	v_and_b32_e32 v114, 0x1ffffffc, v28
                                        ; implicit-def: $vgpr28_vgpr29
	s_branch .LBB84_722
.LBB84_721:                             ;   in Loop: Header=BB84_722 Depth=2
	s_or_b32 exec_lo, exec_lo, s17
	s_addk_co_i32 s58, 0xef00
	s_cmp_lt_u32 s59, s54
	s_mov_b32 s34, s59
	s_cbranch_scc0 .LBB84_944
.LBB84_722:                             ;   Parent Loop BB84_12 Depth=1
                                        ; =>  This Inner Loop Header: Depth=2
	s_add_co_i32 s59, s34, 0x1100
	s_delay_alu instid0(SALU_CYCLE_1)
	s_cmp_gt_u32 s59, s54
	s_cbranch_scc1 .LBB84_724
; %bb.723:                              ;   in Loop: Header=BB84_722 Depth=2
	v_add_nc_u64_e32 v[62:63], s[34:35], v[24:25]
	s_mov_b32 s17, -1
	s_clause 0xf
	global_load_u8 v136, v[62:63], off offset:480
	global_load_u8 v65, v[62:63], off offset:448
	;; [unrolled: 1-line block ×15, first 2 shown]
	global_load_u8 v147, v[62:63], off
	s_movk_i32 s18, 0x1100
	s_cbranch_execz .LBB84_725
	s_branch .LBB84_744
.LBB84_724:                             ;   in Loop: Header=BB84_722 Depth=2
	s_mov_b32 s17, 0
                                        ; implicit-def: $vgpr147
                                        ; implicit-def: $vgpr151
                                        ; implicit-def: $vgpr148
                                        ; implicit-def: $vgpr150
                                        ; implicit-def: $vgpr142
                                        ; implicit-def: $vgpr144
                                        ; implicit-def: $vgpr143
                                        ; implicit-def: $vgpr145
                                        ; implicit-def: $vgpr138
                                        ; implicit-def: $vgpr140
                                        ; implicit-def: $vgpr139
                                        ; implicit-def: $vgpr141
                                        ; implicit-def: $vgpr64
                                        ; implicit-def: $vgpr135
                                        ; implicit-def: $vgpr65
                                        ; implicit-def: $vgpr136
                                        ; implicit-def: $vgpr121
	s_movk_i32 s18, 0x1100
.LBB84_725:                             ;   in Loop: Header=BB84_722 Depth=2
	s_wait_xcnt 0x0
	v_add_nc_u64_e32 v[62:63], s[34:35], v[24:25]
	s_wait_loadcnt 0x0
	v_dual_mov_b32 v148, 0 :: v_dual_mov_b32 v147, 0
	v_dual_mov_b32 v150, 0 :: v_dual_mov_b32 v142, 0
	v_dual_mov_b32 v144, 0 :: v_dual_mov_b32 v143, 0
	v_dual_mov_b32 v145, 0 :: v_dual_mov_b32 v138, 0
	v_dual_mov_b32 v140, 0 :: v_dual_mov_b32 v139, 0
	v_dual_mov_b32 v141, 0 :: v_dual_mov_b32 v64, 0
	v_dual_mov_b32 v135, 0 :: v_dual_mov_b32 v65, 0
	v_dual_mov_b32 v136, 0 :: v_dual_mov_b32 v121, 0
	s_mov_b32 s17, exec_lo
	v_cmpx_gt_u32_e64 s58, v97
	s_cbranch_execz .LBB84_727
; %bb.726:                              ;   in Loop: Header=BB84_722 Depth=2
	global_load_u8 v147, v[62:63], off
	v_dual_mov_b32 v150, 0 :: v_dual_mov_b32 v142, 0
	v_dual_mov_b32 v144, 0 :: v_dual_mov_b32 v143, 0
	;; [unrolled: 1-line block ×7, first 2 shown]
.LBB84_727:                             ;   in Loop: Header=BB84_722 Depth=2
	s_wait_xcnt 0x0
	s_or_b32 exec_lo, exec_lo, s17
	v_mov_b32_e32 v151, v148
	s_mov_b32 s17, exec_lo
	v_cmpx_gt_u32_e64 s58, v98
	s_cbranch_execnz .LBB84_930
; %bb.728:                              ;   in Loop: Header=BB84_722 Depth=2
	s_or_b32 exec_lo, exec_lo, s17
	s_delay_alu instid0(SALU_CYCLE_1)
	s_mov_b32 s17, exec_lo
	v_cmpx_gt_u32_e64 s58, v99
	s_cbranch_execnz .LBB84_931
.LBB84_729:                             ;   in Loop: Header=BB84_722 Depth=2
	s_or_b32 exec_lo, exec_lo, s17
	s_delay_alu instid0(SALU_CYCLE_1)
	s_mov_b32 s17, exec_lo
	v_cmpx_gt_u32_e64 s58, v100
	s_cbranch_execnz .LBB84_932
.LBB84_730:                             ;   in Loop: Header=BB84_722 Depth=2
	s_or_b32 exec_lo, exec_lo, s17
	s_delay_alu instid0(SALU_CYCLE_1)
	s_mov_b32 s17, exec_lo
	v_cmpx_gt_u32_e64 s58, v101
	s_cbranch_execnz .LBB84_933
.LBB84_731:                             ;   in Loop: Header=BB84_722 Depth=2
	s_or_b32 exec_lo, exec_lo, s17
	s_delay_alu instid0(SALU_CYCLE_1)
	s_mov_b32 s17, exec_lo
	v_cmpx_gt_u32_e64 s58, v102
	s_cbranch_execnz .LBB84_934
.LBB84_732:                             ;   in Loop: Header=BB84_722 Depth=2
	s_or_b32 exec_lo, exec_lo, s17
	s_delay_alu instid0(SALU_CYCLE_1)
	s_mov_b32 s17, exec_lo
	v_cmpx_gt_u32_e64 s58, v103
	s_cbranch_execnz .LBB84_935
.LBB84_733:                             ;   in Loop: Header=BB84_722 Depth=2
	s_or_b32 exec_lo, exec_lo, s17
	s_delay_alu instid0(SALU_CYCLE_1)
	s_mov_b32 s17, exec_lo
	v_cmpx_gt_u32_e64 s58, v104
	s_cbranch_execnz .LBB84_936
.LBB84_734:                             ;   in Loop: Header=BB84_722 Depth=2
	s_or_b32 exec_lo, exec_lo, s17
	s_delay_alu instid0(SALU_CYCLE_1)
	s_mov_b32 s17, exec_lo
	v_cmpx_gt_u32_e64 s58, v105
	s_cbranch_execnz .LBB84_937
.LBB84_735:                             ;   in Loop: Header=BB84_722 Depth=2
	s_or_b32 exec_lo, exec_lo, s17
	s_delay_alu instid0(SALU_CYCLE_1)
	s_mov_b32 s17, exec_lo
	v_cmpx_gt_u32_e64 s58, v106
	s_cbranch_execnz .LBB84_938
.LBB84_736:                             ;   in Loop: Header=BB84_722 Depth=2
	s_or_b32 exec_lo, exec_lo, s17
	s_delay_alu instid0(SALU_CYCLE_1)
	s_mov_b32 s17, exec_lo
	v_cmpx_gt_u32_e64 s58, v107
	s_cbranch_execnz .LBB84_939
.LBB84_737:                             ;   in Loop: Header=BB84_722 Depth=2
	s_or_b32 exec_lo, exec_lo, s17
	s_delay_alu instid0(SALU_CYCLE_1)
	s_mov_b32 s17, exec_lo
	v_cmpx_gt_u32_e64 s58, v108
	s_cbranch_execnz .LBB84_940
.LBB84_738:                             ;   in Loop: Header=BB84_722 Depth=2
	s_or_b32 exec_lo, exec_lo, s17
	s_delay_alu instid0(SALU_CYCLE_1)
	s_mov_b32 s17, exec_lo
	v_cmpx_gt_u32_e64 s58, v109
	s_cbranch_execnz .LBB84_941
.LBB84_739:                             ;   in Loop: Header=BB84_722 Depth=2
	s_or_b32 exec_lo, exec_lo, s17
	s_delay_alu instid0(SALU_CYCLE_1)
	s_mov_b32 s17, exec_lo
	v_cmpx_gt_u32_e64 s58, v110
	s_cbranch_execnz .LBB84_942
.LBB84_740:                             ;   in Loop: Header=BB84_722 Depth=2
	s_or_b32 exec_lo, exec_lo, s17
	s_delay_alu instid0(SALU_CYCLE_1)
	s_mov_b32 s17, exec_lo
	v_cmpx_gt_u32_e64 s58, v111
	s_cbranch_execnz .LBB84_943
.LBB84_741:                             ;   in Loop: Header=BB84_722 Depth=2
	s_or_b32 exec_lo, exec_lo, s17
	s_delay_alu instid0(SALU_CYCLE_1)
	s_mov_b32 s17, exec_lo
	v_cmpx_gt_u32_e64 s58, v112
	s_cbranch_execz .LBB84_743
.LBB84_742:                             ;   in Loop: Header=BB84_722 Depth=2
	global_load_u8 v136, v[62:63], off offset:480
.LBB84_743:                             ;   in Loop: Header=BB84_722 Depth=2
	s_wait_xcnt 0x0
	s_or_b32 exec_lo, exec_lo, s17
	v_cmp_gt_u32_e64 s17, s58, v113
	s_sub_co_i32 s18, s54, s34
.LBB84_744:                             ;   in Loop: Header=BB84_722 Depth=2
	v_mov_b32_e32 v137, s58
	s_wait_xcnt 0x0
	s_and_saveexec_b32 s19, s17
	s_cbranch_execz .LBB84_746
; %bb.745:                              ;   in Loop: Header=BB84_722 Depth=2
	v_add_nc_u64_e32 v[62:63], s[34:35], v[24:25]
	v_mov_b32_e32 v137, s18
	global_load_u8 v121, v[62:63], off offset:512
.LBB84_746:                             ;   in Loop: Header=BB84_722 Depth=2
	s_wait_xcnt 0x0
	s_or_b32 exec_lo, exec_lo, s19
	s_wait_loadcnt 0x0
	v_bitop3_b16 v62, v147, 0xff, v147 bitop3:0xc
	ds_store_2addr_b32 v90, v1, v1 offset0:136 offset1:137
	ds_store_2addr_b32 v90, v1, v1 offset0:138 offset1:139
	ds_store_b32 v90, v1 offset:560
	s_wait_dscnt 0x0
	s_barrier_signal -1
	s_barrier_wait -1
	v_and_b32_e32 v62, 0xffff, v62
	; wave barrier
	s_delay_alu instid0(VALU_DEP_1) | instskip(NEXT) | instid1(VALU_DEP_1)
	v_lshrrev_b32_e32 v62, s49, v62
	v_and_b32_e32 v149, s48, v62
	s_delay_alu instid0(VALU_DEP_1) | instskip(SKIP_1) | instid1(VALU_DEP_1)
	v_lshlrev_b32_e32 v146, 30, v149
	v_bitop3_b32 v63, v62, 1, s48 bitop3:0x80
	v_add_co_u32 v62, s17, v63, -1
	s_delay_alu instid0(VALU_DEP_1) | instskip(NEXT) | instid1(VALU_DEP_4)
	v_cndmask_b32_e64 v63, 0, 1, s17
	v_cmp_gt_i32_e64 s17, 0, v146
	s_delay_alu instid0(VALU_DEP_2) | instskip(SKIP_2) | instid1(VALU_DEP_2)
	v_cmp_ne_u32_e32 vcc_lo, 0, v63
	v_not_b32_e32 v63, v146
	v_bitop3_b32 v62, vcc_lo, exec_lo, v62 bitop3:0x48
	v_dual_ashrrev_i32 v63, 31, v63 :: v_dual_lshlrev_b32 v152, 29, v149
	v_dual_lshlrev_b32 v153, 28, v149 :: v_dual_lshlrev_b32 v154, 27, v149
	v_lshlrev_b32_e32 v155, 26, v149
	s_delay_alu instid0(VALU_DEP_3)
	v_not_b32_e32 v146, v152
	v_lshlrev_b32_e32 v156, 25, v149
	v_cmp_gt_i32_e64 s18, 0, v152
	v_cmp_gt_i32_e64 s19, 0, v153
	v_not_b32_e32 v152, v153
	v_not_b32_e32 v153, v154
	v_ashrrev_i32_e32 v146, 31, v146
	v_cmp_gt_i32_e64 s20, 0, v154
	v_cmp_gt_i32_e64 s21, 0, v155
	v_not_b32_e32 v154, v155
	v_not_b32_e32 v155, v156
	v_dual_ashrrev_i32 v152, 31, v152 :: v_dual_ashrrev_i32 v153, 31, v153
	s_delay_alu instid0(VALU_DEP_3) | instskip(NEXT) | instid1(VALU_DEP_3)
	v_dual_ashrrev_i32 v154, 31, v154 :: v_dual_bitop2_b32 v63, s17, v63 bitop3:0x14
	v_dual_ashrrev_i32 v155, 31, v155 :: v_dual_bitop2_b32 v146, s18, v146 bitop3:0x14
	v_cmp_gt_i32_e64 s22, 0, v156
	s_delay_alu instid0(VALU_DEP_4) | instskip(SKIP_1) | instid1(VALU_DEP_4)
	v_xor_b32_e32 v152, s19, v152
	v_xor_b32_e32 v153, s20, v153
	v_bitop3_b32 v62, v62, v146, v63 bitop3:0x80
	v_xor_b32_e32 v63, s21, v154
	v_xor_b32_e32 v146, s22, v155
	s_delay_alu instid0(VALU_DEP_3) | instskip(NEXT) | instid1(VALU_DEP_1)
	v_bitop3_b32 v62, v62, v153, v152 bitop3:0x80
	v_bitop3_b32 v62, v62, v146, v63 bitop3:0x80
	v_mul_u32_u24_e32 v63, 36, v149
	s_delay_alu instid0(VALU_DEP_2) | instskip(SKIP_1) | instid1(VALU_DEP_3)
	v_mbcnt_lo_u32_b32 v146, v62, 0
	v_cmp_ne_u32_e64 s17, 0, v62
	v_add_nc_u32_e32 v149, v114, v63
	s_delay_alu instid0(VALU_DEP_3) | instskip(SKIP_1) | instid1(SALU_CYCLE_1)
	v_cmp_eq_u32_e32 vcc_lo, 0, v146
	s_and_b32 s18, s17, vcc_lo
	s_and_saveexec_b32 s17, s18
; %bb.747:                              ;   in Loop: Header=BB84_722 Depth=2
	v_bcnt_u32_b32 v62, v62, 0
	ds_store_b32 v149, v62 offset:544
; %bb.748:                              ;   in Loop: Header=BB84_722 Depth=2
	s_or_b32 exec_lo, exec_lo, s17
	v_xor_b32_e32 v62, -1, v151
	v_xor_b32_e32 v63, -1, v150
	; wave barrier
	s_delay_alu instid0(VALU_DEP_2) | instskip(NEXT) | instid1(VALU_DEP_2)
	v_lshlrev_b16 v62, 8, v62
	v_lshlrev_b16 v63, 8, v63
	s_delay_alu instid0(VALU_DEP_2) | instskip(NEXT) | instid1(VALU_DEP_2)
	v_bitop3_b16 v147, v147, v62, 0xff bitop3:0xce
	v_bitop3_b16 v62, v148, v63, 0xff bitop3:0xce
	s_delay_alu instid0(VALU_DEP_2) | instskip(NEXT) | instid1(VALU_DEP_2)
	v_and_b32_e32 v63, 0xffff, v147
	v_lshlrev_b32_e32 v62, 16, v62
	s_delay_alu instid0(VALU_DEP_1) | instskip(NEXT) | instid1(VALU_DEP_1)
	v_or_b32_e32 v148, v63, v62
	v_bfe_u32 v62, v148, 8, 8
	s_delay_alu instid0(VALU_DEP_1) | instskip(NEXT) | instid1(VALU_DEP_1)
	v_lshrrev_b32_e32 v62, s49, v62
	v_bitop3_b32 v63, v62, 1, s48 bitop3:0x80
	v_and_b32_e32 v152, s48, v62
	s_delay_alu instid0(VALU_DEP_2) | instskip(NEXT) | instid1(VALU_DEP_1)
	v_add_co_u32 v62, s17, v63, -1
	v_cndmask_b32_e64 v63, 0, 1, s17
	s_delay_alu instid0(VALU_DEP_3) | instskip(NEXT) | instid1(VALU_DEP_2)
	v_lshlrev_b32_e32 v150, 30, v152
	v_cmp_ne_u32_e32 vcc_lo, 0, v63
	s_delay_alu instid0(VALU_DEP_2) | instskip(SKIP_2) | instid1(VALU_DEP_3)
	v_not_b32_e32 v63, v150
	v_cmp_gt_i32_e64 s17, 0, v150
	v_bitop3_b32 v62, vcc_lo, exec_lo, v62 bitop3:0x48
	v_dual_ashrrev_i32 v63, 31, v63 :: v_dual_lshlrev_b32 v151, 29, v152
	v_dual_lshlrev_b32 v153, 28, v152 :: v_dual_lshlrev_b32 v154, 27, v152
	v_lshlrev_b32_e32 v155, 26, v152
	s_delay_alu instid0(VALU_DEP_3)
	v_not_b32_e32 v150, v151
	v_lshlrev_b32_e32 v156, 25, v152
	v_cmp_gt_i32_e64 s18, 0, v151
	v_cmp_gt_i32_e64 s19, 0, v153
	v_not_b32_e32 v151, v153
	v_ashrrev_i32_e32 v150, 31, v150
	v_cmp_gt_i32_e64 s20, 0, v154
	v_not_b32_e32 v153, v154
	v_cmp_gt_i32_e64 s21, 0, v155
	v_not_b32_e32 v154, v155
	v_not_b32_e32 v155, v156
	v_xor_b32_e32 v63, s17, v63
	v_dual_ashrrev_i32 v151, 31, v151 :: v_dual_bitop2_b32 v150, s18, v150 bitop3:0x14
	s_delay_alu instid0(VALU_DEP_4) | instskip(NEXT) | instid1(VALU_DEP_4)
	v_dual_ashrrev_i32 v153, 31, v153 :: v_dual_ashrrev_i32 v154, 31, v154
	v_ashrrev_i32_e32 v155, 31, v155
	s_delay_alu instid0(VALU_DEP_3)
	v_bitop3_b32 v62, v62, v150, v63 bitop3:0x80
	v_mad_u32_u24 v63, v152, 36, v114
	v_cmp_gt_i32_e64 s22, 0, v156
	v_xor_b32_e32 v151, s19, v151
	v_xor_b32_e32 v154, s21, v154
	ds_load_b32 v150, v63 offset:544
	v_mul_u32_u24_e32 v63, 36, v152
	v_xor_b32_e32 v153, s20, v153
	v_xor_b32_e32 v155, s22, v155
	; wave barrier
	s_delay_alu instid0(VALU_DEP_3) | instskip(NEXT) | instid1(VALU_DEP_3)
	v_add_nc_u32_e32 v152, v114, v63
	v_bitop3_b32 v62, v62, v153, v151 bitop3:0x80
	s_delay_alu instid0(VALU_DEP_1) | instskip(NEXT) | instid1(VALU_DEP_1)
	v_bitop3_b32 v62, v62, v155, v154 bitop3:0x80
	v_mbcnt_lo_u32_b32 v151, v62, 0
	v_cmp_ne_u32_e64 s17, 0, v62
	s_delay_alu instid0(VALU_DEP_2) | instskip(SKIP_1) | instid1(SALU_CYCLE_1)
	v_cmp_eq_u32_e32 vcc_lo, 0, v151
	s_and_b32 s18, s17, vcc_lo
	s_and_saveexec_b32 s17, s18
	s_cbranch_execz .LBB84_750
; %bb.749:                              ;   in Loop: Header=BB84_722 Depth=2
	s_wait_dscnt 0x0
	v_bcnt_u32_b32 v62, v62, v150
	ds_store_b32 v152, v62 offset:544
.LBB84_750:                             ;   in Loop: Header=BB84_722 Depth=2
	s_or_b32 exec_lo, exec_lo, s17
	v_bfe_u32 v62, v148, 16, 8
	; wave barrier
	s_delay_alu instid0(VALU_DEP_1) | instskip(NEXT) | instid1(VALU_DEP_1)
	v_lshrrev_b32_e32 v62, s49, v62
	v_and_b32_e32 v155, s48, v62
	s_delay_alu instid0(VALU_DEP_1) | instskip(SKIP_1) | instid1(VALU_DEP_1)
	v_lshlrev_b32_e32 v153, 30, v155
	v_bitop3_b32 v63, v62, 1, s48 bitop3:0x80
	v_add_co_u32 v62, s17, v63, -1
	s_delay_alu instid0(VALU_DEP_1) | instskip(NEXT) | instid1(VALU_DEP_4)
	v_cndmask_b32_e64 v63, 0, 1, s17
	v_cmp_gt_i32_e64 s17, 0, v153
	s_delay_alu instid0(VALU_DEP_2) | instskip(SKIP_2) | instid1(VALU_DEP_2)
	v_cmp_ne_u32_e32 vcc_lo, 0, v63
	v_not_b32_e32 v63, v153
	v_bitop3_b32 v62, vcc_lo, exec_lo, v62 bitop3:0x48
	v_ashrrev_i32_e32 v63, 31, v63
	v_dual_lshlrev_b32 v154, 29, v155 :: v_dual_lshlrev_b32 v156, 28, v155
	v_dual_lshlrev_b32 v157, 27, v155 :: v_dual_lshlrev_b32 v158, 26, v155
	s_delay_alu instid0(VALU_DEP_2)
	v_not_b32_e32 v153, v154
	v_lshlrev_b32_e32 v159, 25, v155
	v_cmp_gt_i32_e64 s18, 0, v154
	v_cmp_gt_i32_e64 s19, 0, v156
	v_not_b32_e32 v154, v156
	v_not_b32_e32 v156, v157
	v_ashrrev_i32_e32 v153, 31, v153
	v_cmp_gt_i32_e64 s20, 0, v157
	v_cmp_gt_i32_e64 s21, 0, v158
	v_not_b32_e32 v157, v158
	v_dual_ashrrev_i32 v154, 31, v154 :: v_dual_ashrrev_i32 v156, 31, v156
	v_xor_b32_e32 v63, s17, v63
	v_not_b32_e32 v158, v159
	v_xor_b32_e32 v153, s18, v153
	s_delay_alu instid0(VALU_DEP_4) | instskip(SKIP_2) | instid1(VALU_DEP_4)
	v_dual_ashrrev_i32 v157, 31, v157 :: v_dual_bitop2_b32 v154, s19, v154 bitop3:0x14
	v_xor_b32_e32 v156, s20, v156
	v_cmp_gt_i32_e32 vcc_lo, 0, v159
	v_bitop3_b32 v62, v62, v153, v63 bitop3:0x80
	v_ashrrev_i32_e32 v63, 31, v158
	v_mad_u32_u24 v153, v155, 36, v114
	v_xor_b32_e32 v157, s21, v157
	s_delay_alu instid0(VALU_DEP_4) | instskip(NEXT) | instid1(VALU_DEP_4)
	v_bitop3_b32 v62, v62, v156, v154 bitop3:0x80
	v_xor_b32_e32 v63, vcc_lo, v63
	ds_load_b32 v153, v153 offset:544
	; wave barrier
	v_bitop3_b32 v62, v62, v63, v157 bitop3:0x80
	v_mul_u32_u24_e32 v63, 36, v155
	s_delay_alu instid0(VALU_DEP_2) | instskip(SKIP_1) | instid1(VALU_DEP_3)
	v_mbcnt_lo_u32_b32 v154, v62, 0
	v_cmp_ne_u32_e64 s17, 0, v62
	v_add_nc_u32_e32 v156, v114, v63
	s_delay_alu instid0(VALU_DEP_3) | instskip(SKIP_1) | instid1(SALU_CYCLE_1)
	v_cmp_eq_u32_e32 vcc_lo, 0, v154
	s_and_b32 s18, s17, vcc_lo
	s_and_saveexec_b32 s17, s18
	s_cbranch_execz .LBB84_752
; %bb.751:                              ;   in Loop: Header=BB84_722 Depth=2
	s_wait_dscnt 0x0
	v_bcnt_u32_b32 v62, v62, v153
	ds_store_b32 v156, v62 offset:544
.LBB84_752:                             ;   in Loop: Header=BB84_722 Depth=2
	s_or_b32 exec_lo, exec_lo, s17
	v_lshrrev_b32_e32 v155, 24, v148
	; wave barrier
	s_delay_alu instid0(VALU_DEP_1) | instskip(NEXT) | instid1(VALU_DEP_1)
	v_lshrrev_b32_e32 v62, s49, v155
	v_bitop3_b32 v63, v62, 1, s48 bitop3:0x80
	v_and_b32_e32 v159, s48, v62
	s_delay_alu instid0(VALU_DEP_2) | instskip(NEXT) | instid1(VALU_DEP_1)
	v_add_co_u32 v62, s17, v63, -1
	v_cndmask_b32_e64 v63, 0, 1, s17
	s_delay_alu instid0(VALU_DEP_3) | instskip(SKIP_1) | instid1(VALU_DEP_3)
	v_dual_lshlrev_b32 v157, 30, v159 :: v_dual_lshlrev_b32 v158, 29, v159
	v_dual_lshlrev_b32 v160, 28, v159 :: v_dual_lshlrev_b32 v161, 27, v159
	v_cmp_ne_u32_e32 vcc_lo, 0, v63
	s_delay_alu instid0(VALU_DEP_3)
	v_cmp_gt_i32_e64 s17, 0, v157
	v_not_b32_e32 v63, v157
	v_not_b32_e32 v157, v158
	v_dual_lshlrev_b32 v162, 26, v159 :: v_dual_lshlrev_b32 v163, 25, v159
	v_cmp_gt_i32_e64 s18, 0, v158
	v_cmp_gt_i32_e64 s19, 0, v160
	v_not_b32_e32 v158, v160
	v_not_b32_e32 v160, v161
	v_dual_ashrrev_i32 v63, 31, v63 :: v_dual_ashrrev_i32 v157, 31, v157
	v_cmp_gt_i32_e64 s20, 0, v161
	v_cmp_gt_i32_e64 s21, 0, v162
	v_not_b32_e32 v161, v162
	v_bitop3_b32 v62, vcc_lo, exec_lo, v62 bitop3:0x48
	v_dual_ashrrev_i32 v158, 31, v158 :: v_dual_ashrrev_i32 v160, 31, v160
	v_xor_b32_e32 v63, s17, v63
	v_not_b32_e32 v162, v163
	v_xor_b32_e32 v157, s18, v157
	s_delay_alu instid0(VALU_DEP_4) | instskip(SKIP_2) | instid1(VALU_DEP_4)
	v_dual_ashrrev_i32 v161, 31, v161 :: v_dual_bitop2_b32 v158, s19, v158 bitop3:0x14
	v_xor_b32_e32 v160, s20, v160
	v_cmp_gt_i32_e32 vcc_lo, 0, v163
	v_bitop3_b32 v62, v62, v157, v63 bitop3:0x80
	v_ashrrev_i32_e32 v63, 31, v162
	v_mad_u32_u24 v157, v159, 36, v114
	v_xor_b32_e32 v161, s21, v161
	s_delay_alu instid0(VALU_DEP_4) | instskip(NEXT) | instid1(VALU_DEP_4)
	v_bitop3_b32 v62, v62, v160, v158 bitop3:0x80
	v_xor_b32_e32 v63, vcc_lo, v63
	ds_load_b32 v157, v157 offset:544
	; wave barrier
	v_bitop3_b32 v62, v62, v63, v161 bitop3:0x80
	v_mul_u32_u24_e32 v63, 36, v159
	s_delay_alu instid0(VALU_DEP_2) | instskip(SKIP_1) | instid1(VALU_DEP_3)
	v_mbcnt_lo_u32_b32 v158, v62, 0
	v_cmp_ne_u32_e64 s17, 0, v62
	v_add_nc_u32_e32 v159, v114, v63
	s_delay_alu instid0(VALU_DEP_3) | instskip(SKIP_1) | instid1(SALU_CYCLE_1)
	v_cmp_eq_u32_e32 vcc_lo, 0, v158
	s_and_b32 s18, s17, vcc_lo
	s_and_saveexec_b32 s17, s18
	s_cbranch_execz .LBB84_754
; %bb.753:                              ;   in Loop: Header=BB84_722 Depth=2
	s_wait_dscnt 0x0
	v_bcnt_u32_b32 v62, v62, v157
	ds_store_b32 v159, v62 offset:544
.LBB84_754:                             ;   in Loop: Header=BB84_722 Depth=2
	s_or_b32 exec_lo, exec_lo, s17
	v_bitop3_b16 v62, v142, 0xff, v142 bitop3:0xc
	; wave barrier
	s_delay_alu instid0(VALU_DEP_1) | instskip(NEXT) | instid1(VALU_DEP_1)
	v_and_b32_e32 v62, 0xffff, v62
	v_lshrrev_b32_e32 v62, s49, v62
	s_delay_alu instid0(VALU_DEP_1) | instskip(SKIP_1) | instid1(VALU_DEP_2)
	v_bitop3_b32 v63, v62, 1, s48 bitop3:0x80
	v_and_b32_e32 v162, s48, v62
	v_add_co_u32 v62, s17, v63, -1
	s_delay_alu instid0(VALU_DEP_1) | instskip(NEXT) | instid1(VALU_DEP_3)
	v_cndmask_b32_e64 v63, 0, 1, s17
	v_dual_lshlrev_b32 v160, 30, v162 :: v_dual_lshlrev_b32 v161, 29, v162
	s_delay_alu instid0(VALU_DEP_2) | instskip(NEXT) | instid1(VALU_DEP_2)
	v_cmp_ne_u32_e32 vcc_lo, 0, v63
	v_cmp_gt_i32_e64 s17, 0, v160
	v_not_b32_e32 v63, v160
	s_delay_alu instid0(VALU_DEP_4) | instskip(SKIP_2) | instid1(VALU_DEP_3)
	v_not_b32_e32 v160, v161
	v_cmp_gt_i32_e64 s18, 0, v161
	v_bitop3_b32 v62, vcc_lo, exec_lo, v62 bitop3:0x48
	v_dual_ashrrev_i32 v63, 31, v63 :: v_dual_ashrrev_i32 v160, 31, v160
	v_dual_lshlrev_b32 v163, 28, v162 :: v_dual_lshlrev_b32 v164, 27, v162
	v_dual_lshlrev_b32 v165, 26, v162 :: v_dual_lshlrev_b32 v166, 25, v162
	s_delay_alu instid0(VALU_DEP_2) | instskip(SKIP_1) | instid1(VALU_DEP_4)
	v_cmp_gt_i32_e64 s19, 0, v163
	v_not_b32_e32 v161, v163
	v_cmp_gt_i32_e64 s20, 0, v164
	v_not_b32_e32 v163, v164
	;; [unrolled: 2-line block ×3, first 2 shown]
	v_not_b32_e32 v165, v166
	v_xor_b32_e32 v63, s17, v63
	v_dual_ashrrev_i32 v161, 31, v161 :: v_dual_bitop2_b32 v160, s18, v160 bitop3:0x14
	s_delay_alu instid0(VALU_DEP_4) | instskip(NEXT) | instid1(VALU_DEP_4)
	v_dual_ashrrev_i32 v163, 31, v163 :: v_dual_ashrrev_i32 v164, 31, v164
	v_ashrrev_i32_e32 v165, 31, v165
	s_delay_alu instid0(VALU_DEP_3)
	v_bitop3_b32 v62, v62, v160, v63 bitop3:0x80
	v_mad_u32_u24 v63, v162, 36, v114
	v_cmp_gt_i32_e64 s22, 0, v166
	v_xor_b32_e32 v163, s20, v163
	v_xor_b32_e32 v164, s21, v164
	ds_load_b32 v160, v63 offset:544
	v_mul_u32_u24_e32 v63, 36, v162
	v_xor_b32_e32 v161, s19, v161
	v_xor_b32_e32 v165, s22, v165
	; wave barrier
	s_delay_alu instid0(VALU_DEP_3) | instskip(NEXT) | instid1(VALU_DEP_3)
	v_add_nc_u32_e32 v162, v114, v63
	v_bitop3_b32 v62, v62, v163, v161 bitop3:0x80
	s_delay_alu instid0(VALU_DEP_1) | instskip(NEXT) | instid1(VALU_DEP_1)
	v_bitop3_b32 v62, v62, v165, v164 bitop3:0x80
	v_mbcnt_lo_u32_b32 v161, v62, 0
	v_cmp_ne_u32_e64 s17, 0, v62
	s_delay_alu instid0(VALU_DEP_2) | instskip(SKIP_1) | instid1(SALU_CYCLE_1)
	v_cmp_eq_u32_e32 vcc_lo, 0, v161
	s_and_b32 s18, s17, vcc_lo
	s_and_saveexec_b32 s17, s18
	s_cbranch_execz .LBB84_756
; %bb.755:                              ;   in Loop: Header=BB84_722 Depth=2
	s_wait_dscnt 0x0
	v_bcnt_u32_b32 v62, v62, v160
	ds_store_b32 v162, v62 offset:544
.LBB84_756:                             ;   in Loop: Header=BB84_722 Depth=2
	s_or_b32 exec_lo, exec_lo, s17
	v_xor_b32_e32 v62, -1, v144
	v_xor_b32_e32 v63, -1, v145
	; wave barrier
	s_delay_alu instid0(VALU_DEP_2) | instskip(NEXT) | instid1(VALU_DEP_2)
	v_lshlrev_b16 v62, 8, v62
	v_lshlrev_b16 v63, 8, v63
	s_delay_alu instid0(VALU_DEP_2) | instskip(NEXT) | instid1(VALU_DEP_2)
	v_bitop3_b16 v142, v142, v62, 0xff bitop3:0xce
	v_bitop3_b16 v62, v143, v63, 0xff bitop3:0xce
	s_delay_alu instid0(VALU_DEP_2) | instskip(NEXT) | instid1(VALU_DEP_2)
	v_and_b32_e32 v63, 0xffff, v142
	v_lshlrev_b32_e32 v62, 16, v62
	s_delay_alu instid0(VALU_DEP_1) | instskip(NEXT) | instid1(VALU_DEP_1)
	v_or_b32_e32 v143, v63, v62
	v_bfe_u32 v62, v143, 8, 8
	s_delay_alu instid0(VALU_DEP_1) | instskip(NEXT) | instid1(VALU_DEP_1)
	v_lshrrev_b32_e32 v62, s49, v62
	v_bitop3_b32 v63, v62, 1, s48 bitop3:0x80
	v_and_b32_e32 v163, s48, v62
	s_delay_alu instid0(VALU_DEP_2) | instskip(NEXT) | instid1(VALU_DEP_1)
	v_add_co_u32 v62, s17, v63, -1
	v_cndmask_b32_e64 v63, 0, 1, s17
	s_delay_alu instid0(VALU_DEP_3) | instskip(NEXT) | instid1(VALU_DEP_2)
	v_lshlrev_b32_e32 v144, 30, v163
	v_cmp_ne_u32_e32 vcc_lo, 0, v63
	s_delay_alu instid0(VALU_DEP_2) | instskip(SKIP_2) | instid1(VALU_DEP_3)
	v_not_b32_e32 v63, v144
	v_cmp_gt_i32_e64 s17, 0, v144
	v_bitop3_b32 v62, vcc_lo, exec_lo, v62 bitop3:0x48
	v_ashrrev_i32_e32 v63, 31, v63
	v_dual_lshlrev_b32 v145, 29, v163 :: v_dual_lshlrev_b32 v164, 28, v163
	v_dual_lshlrev_b32 v165, 27, v163 :: v_dual_lshlrev_b32 v166, 26, v163
	s_delay_alu instid0(VALU_DEP_2)
	v_not_b32_e32 v144, v145
	v_lshlrev_b32_e32 v167, 25, v163
	v_cmp_gt_i32_e64 s18, 0, v145
	v_cmp_gt_i32_e64 s19, 0, v164
	v_not_b32_e32 v145, v164
	v_ashrrev_i32_e32 v144, 31, v144
	v_cmp_gt_i32_e64 s20, 0, v165
	v_not_b32_e32 v164, v165
	v_cmp_gt_i32_e64 s21, 0, v166
	v_not_b32_e32 v165, v166
	v_not_b32_e32 v166, v167
	v_xor_b32_e32 v63, s17, v63
	v_dual_ashrrev_i32 v145, 31, v145 :: v_dual_bitop2_b32 v144, s18, v144 bitop3:0x14
	s_delay_alu instid0(VALU_DEP_4) | instskip(NEXT) | instid1(VALU_DEP_4)
	v_dual_ashrrev_i32 v164, 31, v164 :: v_dual_ashrrev_i32 v165, 31, v165
	v_ashrrev_i32_e32 v166, 31, v166
	s_delay_alu instid0(VALU_DEP_3)
	v_bitop3_b32 v62, v62, v144, v63 bitop3:0x80
	v_mad_u32_u24 v63, v163, 36, v114
	v_cmp_gt_i32_e64 s22, 0, v167
	v_xor_b32_e32 v164, s20, v164
	v_xor_b32_e32 v165, s21, v165
	ds_load_b32 v144, v63 offset:544
	v_mul_u32_u24_e32 v63, 36, v163
	v_xor_b32_e32 v145, s19, v145
	v_xor_b32_e32 v166, s22, v166
	; wave barrier
	s_delay_alu instid0(VALU_DEP_3) | instskip(NEXT) | instid1(VALU_DEP_3)
	v_add_nc_u32_e32 v163, v114, v63
	v_bitop3_b32 v62, v62, v164, v145 bitop3:0x80
	s_delay_alu instid0(VALU_DEP_1) | instskip(NEXT) | instid1(VALU_DEP_1)
	v_bitop3_b32 v62, v62, v166, v165 bitop3:0x80
	v_mbcnt_lo_u32_b32 v145, v62, 0
	v_cmp_ne_u32_e64 s17, 0, v62
	s_delay_alu instid0(VALU_DEP_2) | instskip(SKIP_1) | instid1(SALU_CYCLE_1)
	v_cmp_eq_u32_e32 vcc_lo, 0, v145
	s_and_b32 s18, s17, vcc_lo
	s_and_saveexec_b32 s17, s18
	s_cbranch_execz .LBB84_758
; %bb.757:                              ;   in Loop: Header=BB84_722 Depth=2
	s_wait_dscnt 0x0
	v_bcnt_u32_b32 v62, v62, v144
	ds_store_b32 v163, v62 offset:544
.LBB84_758:                             ;   in Loop: Header=BB84_722 Depth=2
	s_or_b32 exec_lo, exec_lo, s17
	v_bfe_u32 v62, v143, 16, 8
	; wave barrier
	s_delay_alu instid0(VALU_DEP_1) | instskip(NEXT) | instid1(VALU_DEP_1)
	v_lshrrev_b32_e32 v62, s49, v62
	v_bitop3_b32 v63, v62, 1, s48 bitop3:0x80
	v_and_b32_e32 v166, s48, v62
	s_delay_alu instid0(VALU_DEP_2) | instskip(NEXT) | instid1(VALU_DEP_1)
	v_add_co_u32 v62, s17, v63, -1
	v_cndmask_b32_e64 v63, 0, 1, s17
	s_delay_alu instid0(VALU_DEP_3) | instskip(NEXT) | instid1(VALU_DEP_2)
	v_dual_lshlrev_b32 v164, 30, v166 :: v_dual_lshlrev_b32 v165, 29, v166
	v_cmp_ne_u32_e32 vcc_lo, 0, v63
	s_delay_alu instid0(VALU_DEP_2) | instskip(SKIP_1) | instid1(VALU_DEP_4)
	v_cmp_gt_i32_e64 s17, 0, v164
	v_not_b32_e32 v63, v164
	v_not_b32_e32 v164, v165
	v_cmp_gt_i32_e64 s18, 0, v165
	v_bitop3_b32 v62, vcc_lo, exec_lo, v62 bitop3:0x48
	s_delay_alu instid0(VALU_DEP_3) | instskip(SKIP_2) | instid1(VALU_DEP_2)
	v_dual_ashrrev_i32 v63, 31, v63 :: v_dual_ashrrev_i32 v164, 31, v164
	v_dual_lshlrev_b32 v167, 28, v166 :: v_dual_lshlrev_b32 v168, 27, v166
	v_dual_lshlrev_b32 v169, 26, v166 :: v_dual_lshlrev_b32 v170, 25, v166
	v_cmp_gt_i32_e64 s19, 0, v167
	v_not_b32_e32 v165, v167
	s_delay_alu instid0(VALU_DEP_4) | instskip(SKIP_3) | instid1(VALU_DEP_4)
	v_not_b32_e32 v167, v168
	v_cmp_gt_i32_e64 s20, 0, v168
	v_cmp_gt_i32_e64 s21, 0, v169
	v_not_b32_e32 v168, v169
	v_dual_ashrrev_i32 v165, 31, v165 :: v_dual_ashrrev_i32 v167, 31, v167
	v_xor_b32_e32 v63, s17, v63
	v_not_b32_e32 v169, v170
	v_xor_b32_e32 v164, s18, v164
	s_delay_alu instid0(VALU_DEP_4) | instskip(SKIP_2) | instid1(VALU_DEP_4)
	v_dual_ashrrev_i32 v168, 31, v168 :: v_dual_bitop2_b32 v165, s19, v165 bitop3:0x14
	v_xor_b32_e32 v167, s20, v167
	v_cmp_gt_i32_e32 vcc_lo, 0, v170
	v_bitop3_b32 v62, v62, v164, v63 bitop3:0x80
	v_ashrrev_i32_e32 v63, 31, v169
	v_mad_u32_u24 v164, v166, 36, v114
	v_xor_b32_e32 v168, s21, v168
	s_delay_alu instid0(VALU_DEP_4) | instskip(NEXT) | instid1(VALU_DEP_4)
	v_bitop3_b32 v62, v62, v167, v165 bitop3:0x80
	v_xor_b32_e32 v63, vcc_lo, v63
	ds_load_b32 v164, v164 offset:544
	; wave barrier
	v_bitop3_b32 v62, v62, v63, v168 bitop3:0x80
	v_mul_u32_u24_e32 v63, 36, v166
	s_delay_alu instid0(VALU_DEP_2) | instskip(SKIP_1) | instid1(VALU_DEP_3)
	v_mbcnt_lo_u32_b32 v165, v62, 0
	v_cmp_ne_u32_e64 s17, 0, v62
	v_add_nc_u32_e32 v167, v114, v63
	s_delay_alu instid0(VALU_DEP_3) | instskip(SKIP_1) | instid1(SALU_CYCLE_1)
	v_cmp_eq_u32_e32 vcc_lo, 0, v165
	s_and_b32 s18, s17, vcc_lo
	s_and_saveexec_b32 s17, s18
	s_cbranch_execz .LBB84_760
; %bb.759:                              ;   in Loop: Header=BB84_722 Depth=2
	s_wait_dscnt 0x0
	v_bcnt_u32_b32 v62, v62, v164
	ds_store_b32 v167, v62 offset:544
.LBB84_760:                             ;   in Loop: Header=BB84_722 Depth=2
	s_or_b32 exec_lo, exec_lo, s17
	v_lshrrev_b32_e32 v166, 24, v143
	; wave barrier
	s_delay_alu instid0(VALU_DEP_1) | instskip(NEXT) | instid1(VALU_DEP_1)
	v_lshrrev_b32_e32 v62, s49, v166
	v_bitop3_b32 v63, v62, 1, s48 bitop3:0x80
	v_and_b32_e32 v170, s48, v62
	s_delay_alu instid0(VALU_DEP_2) | instskip(NEXT) | instid1(VALU_DEP_1)
	v_add_co_u32 v62, s17, v63, -1
	v_cndmask_b32_e64 v63, 0, 1, s17
	s_delay_alu instid0(VALU_DEP_3) | instskip(SKIP_1) | instid1(VALU_DEP_3)
	v_dual_lshlrev_b32 v168, 30, v170 :: v_dual_lshlrev_b32 v169, 29, v170
	v_dual_lshlrev_b32 v171, 28, v170 :: v_dual_lshlrev_b32 v172, 27, v170
	v_cmp_ne_u32_e32 vcc_lo, 0, v63
	s_delay_alu instid0(VALU_DEP_3)
	v_cmp_gt_i32_e64 s17, 0, v168
	v_not_b32_e32 v63, v168
	v_not_b32_e32 v168, v169
	v_dual_lshlrev_b32 v173, 26, v170 :: v_dual_lshlrev_b32 v174, 25, v170
	v_cmp_gt_i32_e64 s18, 0, v169
	v_cmp_gt_i32_e64 s19, 0, v171
	v_not_b32_e32 v169, v171
	v_not_b32_e32 v171, v172
	v_dual_ashrrev_i32 v63, 31, v63 :: v_dual_ashrrev_i32 v168, 31, v168
	v_cmp_gt_i32_e64 s20, 0, v172
	v_cmp_gt_i32_e64 s21, 0, v173
	v_not_b32_e32 v172, v173
	v_bitop3_b32 v62, vcc_lo, exec_lo, v62 bitop3:0x48
	v_dual_ashrrev_i32 v169, 31, v169 :: v_dual_ashrrev_i32 v171, 31, v171
	v_xor_b32_e32 v168, s18, v168
	s_delay_alu instid0(VALU_DEP_4) | instskip(SKIP_1) | instid1(VALU_DEP_4)
	v_dual_ashrrev_i32 v172, 31, v172 :: v_dual_bitop2_b32 v63, s17, v63 bitop3:0x14
	v_not_b32_e32 v173, v174
	v_xor_b32_e32 v169, s19, v169
	v_xor_b32_e32 v171, s20, v171
	s_delay_alu instid0(VALU_DEP_4)
	v_bitop3_b32 v62, v62, v168, v63 bitop3:0x80
	v_cmp_gt_i32_e32 vcc_lo, 0, v174
	v_ashrrev_i32_e32 v63, 31, v173
	v_mad_u32_u24 v168, v170, 36, v114
	v_xor_b32_e32 v172, s21, v172
	v_bitop3_b32 v62, v62, v171, v169 bitop3:0x80
	s_delay_alu instid0(VALU_DEP_4) | instskip(SKIP_3) | instid1(VALU_DEP_2)
	v_xor_b32_e32 v63, vcc_lo, v63
	ds_load_b32 v168, v168 offset:544
	; wave barrier
	v_bitop3_b32 v62, v62, v63, v172 bitop3:0x80
	v_mul_u32_u24_e32 v63, 36, v170
	v_mbcnt_lo_u32_b32 v169, v62, 0
	v_cmp_ne_u32_e64 s17, 0, v62
	s_delay_alu instid0(VALU_DEP_3) | instskip(NEXT) | instid1(VALU_DEP_3)
	v_add_nc_u32_e32 v170, v114, v63
	v_cmp_eq_u32_e32 vcc_lo, 0, v169
	s_and_b32 s18, s17, vcc_lo
	s_delay_alu instid0(SALU_CYCLE_1)
	s_and_saveexec_b32 s17, s18
	s_cbranch_execz .LBB84_762
; %bb.761:                              ;   in Loop: Header=BB84_722 Depth=2
	s_wait_dscnt 0x0
	v_bcnt_u32_b32 v62, v62, v168
	ds_store_b32 v170, v62 offset:544
.LBB84_762:                             ;   in Loop: Header=BB84_722 Depth=2
	s_or_b32 exec_lo, exec_lo, s17
	v_bitop3_b16 v62, v138, 0xff, v138 bitop3:0xc
	; wave barrier
	s_delay_alu instid0(VALU_DEP_1) | instskip(NEXT) | instid1(VALU_DEP_1)
	v_and_b32_e32 v62, 0xffff, v62
	v_lshrrev_b32_e32 v62, s49, v62
	s_delay_alu instid0(VALU_DEP_1) | instskip(NEXT) | instid1(VALU_DEP_1)
	v_and_b32_e32 v173, s48, v62
	v_lshlrev_b32_e32 v171, 30, v173
	v_bitop3_b32 v63, v62, 1, s48 bitop3:0x80
	s_delay_alu instid0(VALU_DEP_1) | instskip(NEXT) | instid1(VALU_DEP_1)
	v_add_co_u32 v62, s17, v63, -1
	v_cndmask_b32_e64 v63, 0, 1, s17
	s_delay_alu instid0(VALU_DEP_4) | instskip(NEXT) | instid1(VALU_DEP_2)
	v_cmp_gt_i32_e64 s17, 0, v171
	v_cmp_ne_u32_e32 vcc_lo, 0, v63
	v_not_b32_e32 v63, v171
	v_bitop3_b32 v62, vcc_lo, exec_lo, v62 bitop3:0x48
	s_delay_alu instid0(VALU_DEP_2) | instskip(SKIP_2) | instid1(VALU_DEP_3)
	v_dual_ashrrev_i32 v63, 31, v63 :: v_dual_lshlrev_b32 v172, 29, v173
	v_dual_lshlrev_b32 v174, 28, v173 :: v_dual_lshlrev_b32 v175, 27, v173
	v_lshlrev_b32_e32 v176, 26, v173
	v_not_b32_e32 v171, v172
	v_lshlrev_b32_e32 v177, 25, v173
	v_cmp_gt_i32_e64 s18, 0, v172
	v_cmp_gt_i32_e64 s19, 0, v174
	v_not_b32_e32 v172, v174
	v_ashrrev_i32_e32 v171, 31, v171
	v_cmp_gt_i32_e64 s20, 0, v175
	v_not_b32_e32 v174, v175
	v_cmp_gt_i32_e64 s21, 0, v176
	v_not_b32_e32 v175, v176
	v_not_b32_e32 v176, v177
	v_xor_b32_e32 v63, s17, v63
	v_dual_ashrrev_i32 v172, 31, v172 :: v_dual_bitop2_b32 v171, s18, v171 bitop3:0x14
	s_delay_alu instid0(VALU_DEP_3) | instskip(SKIP_1) | instid1(VALU_DEP_3)
	v_dual_ashrrev_i32 v174, 31, v174 :: v_dual_ashrrev_i32 v176, 31, v176
	v_cmp_gt_i32_e64 s22, 0, v177
	v_bitop3_b32 v62, v62, v171, v63 bitop3:0x80
	v_mad_u32_u24 v63, v173, 36, v114
	v_dual_ashrrev_i32 v175, 31, v175 :: v_dual_bitop2_b32 v172, s19, v172 bitop3:0x14
	s_delay_alu instid0(VALU_DEP_4) | instskip(SKIP_4) | instid1(VALU_DEP_3)
	v_xor_b32_e32 v176, s22, v176
	ds_load_b32 v171, v63 offset:544
	v_mul_u32_u24_e32 v63, 36, v173
	v_xor_b32_e32 v174, s20, v174
	v_xor_b32_e32 v175, s21, v175
	; wave barrier
	v_add_nc_u32_e32 v173, v114, v63
	s_delay_alu instid0(VALU_DEP_3) | instskip(NEXT) | instid1(VALU_DEP_1)
	v_bitop3_b32 v62, v62, v174, v172 bitop3:0x80
	v_bitop3_b32 v62, v62, v176, v175 bitop3:0x80
	s_delay_alu instid0(VALU_DEP_1) | instskip(SKIP_1) | instid1(VALU_DEP_2)
	v_mbcnt_lo_u32_b32 v172, v62, 0
	v_cmp_ne_u32_e64 s17, 0, v62
	v_cmp_eq_u32_e32 vcc_lo, 0, v172
	s_and_b32 s18, s17, vcc_lo
	s_delay_alu instid0(SALU_CYCLE_1)
	s_and_saveexec_b32 s17, s18
	s_cbranch_execz .LBB84_764
; %bb.763:                              ;   in Loop: Header=BB84_722 Depth=2
	s_wait_dscnt 0x0
	v_bcnt_u32_b32 v62, v62, v171
	ds_store_b32 v173, v62 offset:544
.LBB84_764:                             ;   in Loop: Header=BB84_722 Depth=2
	s_or_b32 exec_lo, exec_lo, s17
	v_xor_b32_e32 v62, -1, v140
	v_xor_b32_e32 v63, -1, v141
	; wave barrier
	s_delay_alu instid0(VALU_DEP_2) | instskip(NEXT) | instid1(VALU_DEP_2)
	v_lshlrev_b16 v62, 8, v62
	v_lshlrev_b16 v63, 8, v63
	s_delay_alu instid0(VALU_DEP_2) | instskip(NEXT) | instid1(VALU_DEP_2)
	v_bitop3_b16 v138, v138, v62, 0xff bitop3:0xce
	v_bitop3_b16 v62, v139, v63, 0xff bitop3:0xce
	s_delay_alu instid0(VALU_DEP_2) | instskip(NEXT) | instid1(VALU_DEP_2)
	v_and_b32_e32 v63, 0xffff, v138
	v_lshlrev_b32_e32 v62, 16, v62
	s_delay_alu instid0(VALU_DEP_1) | instskip(NEXT) | instid1(VALU_DEP_1)
	v_or_b32_e32 v139, v63, v62
	v_bfe_u32 v62, v139, 8, 8
	s_delay_alu instid0(VALU_DEP_1) | instskip(NEXT) | instid1(VALU_DEP_1)
	v_lshrrev_b32_e32 v62, s49, v62
	v_bitop3_b32 v63, v62, 1, s48 bitop3:0x80
	v_and_b32_e32 v174, s48, v62
	s_delay_alu instid0(VALU_DEP_2) | instskip(NEXT) | instid1(VALU_DEP_1)
	v_add_co_u32 v62, s17, v63, -1
	v_cndmask_b32_e64 v63, 0, 1, s17
	s_delay_alu instid0(VALU_DEP_3) | instskip(NEXT) | instid1(VALU_DEP_2)
	v_lshlrev_b32_e32 v140, 30, v174
	v_cmp_ne_u32_e32 vcc_lo, 0, v63
	s_delay_alu instid0(VALU_DEP_2) | instskip(SKIP_2) | instid1(VALU_DEP_3)
	v_not_b32_e32 v63, v140
	v_cmp_gt_i32_e64 s17, 0, v140
	v_bitop3_b32 v62, vcc_lo, exec_lo, v62 bitop3:0x48
	v_dual_ashrrev_i32 v63, 31, v63 :: v_dual_lshlrev_b32 v141, 29, v174
	v_dual_lshlrev_b32 v175, 28, v174 :: v_dual_lshlrev_b32 v176, 27, v174
	v_lshlrev_b32_e32 v177, 26, v174
	s_delay_alu instid0(VALU_DEP_3)
	v_not_b32_e32 v140, v141
	v_lshlrev_b32_e32 v178, 25, v174
	v_cmp_gt_i32_e64 s18, 0, v141
	v_cmp_gt_i32_e64 s19, 0, v175
	v_not_b32_e32 v141, v175
	v_ashrrev_i32_e32 v140, 31, v140
	v_cmp_gt_i32_e64 s20, 0, v176
	v_not_b32_e32 v175, v176
	v_cmp_gt_i32_e64 s21, 0, v177
	v_not_b32_e32 v176, v177
	v_not_b32_e32 v177, v178
	v_xor_b32_e32 v63, s17, v63
	v_dual_ashrrev_i32 v141, 31, v141 :: v_dual_bitop2_b32 v140, s18, v140 bitop3:0x14
	s_delay_alu instid0(VALU_DEP_4) | instskip(NEXT) | instid1(VALU_DEP_4)
	v_dual_ashrrev_i32 v175, 31, v175 :: v_dual_ashrrev_i32 v176, 31, v176
	v_ashrrev_i32_e32 v177, 31, v177
	s_delay_alu instid0(VALU_DEP_3)
	v_bitop3_b32 v62, v62, v140, v63 bitop3:0x80
	v_mad_u32_u24 v63, v174, 36, v114
	v_cmp_gt_i32_e64 s22, 0, v178
	v_xor_b32_e32 v175, s20, v175
	v_xor_b32_e32 v176, s21, v176
	ds_load_b32 v140, v63 offset:544
	v_mul_u32_u24_e32 v63, 36, v174
	v_xor_b32_e32 v141, s19, v141
	v_xor_b32_e32 v177, s22, v177
	; wave barrier
	s_delay_alu instid0(VALU_DEP_3) | instskip(NEXT) | instid1(VALU_DEP_3)
	v_add_nc_u32_e32 v174, v114, v63
	v_bitop3_b32 v62, v62, v175, v141 bitop3:0x80
	s_delay_alu instid0(VALU_DEP_1) | instskip(NEXT) | instid1(VALU_DEP_1)
	v_bitop3_b32 v62, v62, v177, v176 bitop3:0x80
	v_mbcnt_lo_u32_b32 v141, v62, 0
	v_cmp_ne_u32_e64 s17, 0, v62
	s_delay_alu instid0(VALU_DEP_2) | instskip(SKIP_1) | instid1(SALU_CYCLE_1)
	v_cmp_eq_u32_e32 vcc_lo, 0, v141
	s_and_b32 s18, s17, vcc_lo
	s_and_saveexec_b32 s17, s18
	s_cbranch_execz .LBB84_766
; %bb.765:                              ;   in Loop: Header=BB84_722 Depth=2
	s_wait_dscnt 0x0
	v_bcnt_u32_b32 v62, v62, v140
	ds_store_b32 v174, v62 offset:544
.LBB84_766:                             ;   in Loop: Header=BB84_722 Depth=2
	s_or_b32 exec_lo, exec_lo, s17
	v_bfe_u32 v62, v139, 16, 8
	; wave barrier
	s_delay_alu instid0(VALU_DEP_1) | instskip(NEXT) | instid1(VALU_DEP_1)
	v_lshrrev_b32_e32 v62, s49, v62
	v_and_b32_e32 v177, s48, v62
	s_delay_alu instid0(VALU_DEP_1) | instskip(SKIP_1) | instid1(VALU_DEP_1)
	v_lshlrev_b32_e32 v175, 30, v177
	v_bitop3_b32 v63, v62, 1, s48 bitop3:0x80
	v_add_co_u32 v62, s17, v63, -1
	s_delay_alu instid0(VALU_DEP_1) | instskip(NEXT) | instid1(VALU_DEP_4)
	v_cndmask_b32_e64 v63, 0, 1, s17
	v_cmp_gt_i32_e64 s17, 0, v175
	s_delay_alu instid0(VALU_DEP_2) | instskip(SKIP_2) | instid1(VALU_DEP_2)
	v_cmp_ne_u32_e32 vcc_lo, 0, v63
	v_not_b32_e32 v63, v175
	v_bitop3_b32 v62, vcc_lo, exec_lo, v62 bitop3:0x48
	v_dual_ashrrev_i32 v63, 31, v63 :: v_dual_lshlrev_b32 v176, 29, v177
	v_dual_lshlrev_b32 v178, 28, v177 :: v_dual_lshlrev_b32 v179, 27, v177
	s_delay_alu instid0(VALU_DEP_2) | instskip(NEXT) | instid1(VALU_DEP_3)
	v_dual_lshlrev_b32 v180, 26, v177 :: v_dual_bitop2_b32 v63, s17, v63 bitop3:0x14
	v_not_b32_e32 v175, v176
	v_lshlrev_b32_e32 v181, 25, v177
	v_cmp_gt_i32_e64 s18, 0, v176
	v_cmp_gt_i32_e64 s19, 0, v178
	v_not_b32_e32 v176, v178
	v_not_b32_e32 v178, v179
	v_ashrrev_i32_e32 v175, 31, v175
	v_cmp_gt_i32_e64 s20, 0, v179
	v_cmp_gt_i32_e64 s21, 0, v180
	v_not_b32_e32 v179, v180
	v_dual_ashrrev_i32 v176, 31, v176 :: v_dual_ashrrev_i32 v178, 31, v178
	v_not_b32_e32 v180, v181
	v_xor_b32_e32 v175, s18, v175
	s_delay_alu instid0(VALU_DEP_3) | instskip(NEXT) | instid1(VALU_DEP_4)
	v_dual_ashrrev_i32 v179, 31, v179 :: v_dual_bitop2_b32 v176, s19, v176 bitop3:0x14
	v_xor_b32_e32 v178, s20, v178
	v_cmp_gt_i32_e32 vcc_lo, 0, v181
	s_delay_alu instid0(VALU_DEP_4) | instskip(SKIP_3) | instid1(VALU_DEP_4)
	v_bitop3_b32 v62, v62, v175, v63 bitop3:0x80
	v_ashrrev_i32_e32 v63, 31, v180
	v_mad_u32_u24 v175, v177, 36, v114
	v_xor_b32_e32 v179, s21, v179
	v_bitop3_b32 v62, v62, v178, v176 bitop3:0x80
	s_delay_alu instid0(VALU_DEP_4) | instskip(SKIP_3) | instid1(VALU_DEP_2)
	v_xor_b32_e32 v63, vcc_lo, v63
	ds_load_b32 v175, v175 offset:544
	; wave barrier
	v_bitop3_b32 v62, v62, v63, v179 bitop3:0x80
	v_mul_u32_u24_e32 v63, 36, v177
	v_mbcnt_lo_u32_b32 v176, v62, 0
	v_cmp_ne_u32_e64 s17, 0, v62
	s_delay_alu instid0(VALU_DEP_3) | instskip(NEXT) | instid1(VALU_DEP_3)
	v_add_nc_u32_e32 v178, v114, v63
	v_cmp_eq_u32_e32 vcc_lo, 0, v176
	s_and_b32 s18, s17, vcc_lo
	s_delay_alu instid0(SALU_CYCLE_1)
	s_and_saveexec_b32 s17, s18
	s_cbranch_execz .LBB84_768
; %bb.767:                              ;   in Loop: Header=BB84_722 Depth=2
	s_wait_dscnt 0x0
	v_bcnt_u32_b32 v62, v62, v175
	ds_store_b32 v178, v62 offset:544
.LBB84_768:                             ;   in Loop: Header=BB84_722 Depth=2
	s_or_b32 exec_lo, exec_lo, s17
	v_lshrrev_b32_e32 v177, 24, v139
	; wave barrier
	s_delay_alu instid0(VALU_DEP_1) | instskip(NEXT) | instid1(VALU_DEP_1)
	v_lshrrev_b32_e32 v62, s49, v177
	v_bitop3_b32 v63, v62, 1, s48 bitop3:0x80
	v_and_b32_e32 v181, s48, v62
	s_delay_alu instid0(VALU_DEP_2) | instskip(NEXT) | instid1(VALU_DEP_1)
	v_add_co_u32 v62, s17, v63, -1
	v_cndmask_b32_e64 v63, 0, 1, s17
	s_delay_alu instid0(VALU_DEP_3) | instskip(SKIP_1) | instid1(VALU_DEP_3)
	v_dual_lshlrev_b32 v179, 30, v181 :: v_dual_lshlrev_b32 v180, 29, v181
	v_dual_lshlrev_b32 v182, 28, v181 :: v_dual_lshlrev_b32 v183, 27, v181
	v_cmp_ne_u32_e32 vcc_lo, 0, v63
	s_delay_alu instid0(VALU_DEP_3)
	v_cmp_gt_i32_e64 s17, 0, v179
	v_not_b32_e32 v63, v179
	v_not_b32_e32 v179, v180
	v_dual_lshlrev_b32 v184, 26, v181 :: v_dual_lshlrev_b32 v185, 25, v181
	v_cmp_gt_i32_e64 s18, 0, v180
	v_cmp_gt_i32_e64 s19, 0, v182
	v_not_b32_e32 v180, v182
	v_not_b32_e32 v182, v183
	v_ashrrev_i32_e32 v63, 31, v63
	v_ashrrev_i32_e32 v179, 31, v179
	v_cmp_gt_i32_e64 s20, 0, v183
	v_cmp_gt_i32_e64 s21, 0, v184
	v_not_b32_e32 v183, v184
	v_bitop3_b32 v62, vcc_lo, exec_lo, v62 bitop3:0x48
	v_dual_ashrrev_i32 v180, 31, v180 :: v_dual_ashrrev_i32 v182, 31, v182
	v_xor_b32_e32 v63, s17, v63
	v_not_b32_e32 v184, v185
	v_xor_b32_e32 v179, s18, v179
	s_delay_alu instid0(VALU_DEP_4) | instskip(SKIP_2) | instid1(VALU_DEP_4)
	v_dual_ashrrev_i32 v183, 31, v183 :: v_dual_bitop2_b32 v180, s19, v180 bitop3:0x14
	v_xor_b32_e32 v182, s20, v182
	v_cmp_gt_i32_e32 vcc_lo, 0, v185
	v_bitop3_b32 v62, v62, v179, v63 bitop3:0x80
	v_ashrrev_i32_e32 v63, 31, v184
	v_mad_u32_u24 v179, v181, 36, v114
	v_xor_b32_e32 v183, s21, v183
	s_delay_alu instid0(VALU_DEP_4) | instskip(NEXT) | instid1(VALU_DEP_4)
	v_bitop3_b32 v62, v62, v182, v180 bitop3:0x80
	v_xor_b32_e32 v63, vcc_lo, v63
	ds_load_b32 v179, v179 offset:544
	; wave barrier
	v_bitop3_b32 v62, v62, v63, v183 bitop3:0x80
	v_mul_u32_u24_e32 v63, 36, v181
	s_delay_alu instid0(VALU_DEP_2) | instskip(SKIP_1) | instid1(VALU_DEP_3)
	v_mbcnt_lo_u32_b32 v180, v62, 0
	v_cmp_ne_u32_e64 s17, 0, v62
	v_add_nc_u32_e32 v181, v114, v63
	s_delay_alu instid0(VALU_DEP_3) | instskip(SKIP_1) | instid1(SALU_CYCLE_1)
	v_cmp_eq_u32_e32 vcc_lo, 0, v180
	s_and_b32 s18, s17, vcc_lo
	s_and_saveexec_b32 s17, s18
	s_cbranch_execz .LBB84_770
; %bb.769:                              ;   in Loop: Header=BB84_722 Depth=2
	s_wait_dscnt 0x0
	v_bcnt_u32_b32 v62, v62, v179
	ds_store_b32 v181, v62 offset:544
.LBB84_770:                             ;   in Loop: Header=BB84_722 Depth=2
	s_or_b32 exec_lo, exec_lo, s17
	v_bitop3_b16 v62, v64, 0xff, v64 bitop3:0xc
	; wave barrier
	s_delay_alu instid0(VALU_DEP_1) | instskip(NEXT) | instid1(VALU_DEP_1)
	v_and_b32_e32 v62, 0xffff, v62
	v_lshrrev_b32_e32 v62, s49, v62
	s_delay_alu instid0(VALU_DEP_1) | instskip(NEXT) | instid1(VALU_DEP_1)
	v_and_b32_e32 v184, s48, v62
	v_lshlrev_b32_e32 v182, 30, v184
	v_bitop3_b32 v63, v62, 1, s48 bitop3:0x80
	s_delay_alu instid0(VALU_DEP_1) | instskip(NEXT) | instid1(VALU_DEP_1)
	v_add_co_u32 v62, s17, v63, -1
	v_cndmask_b32_e64 v63, 0, 1, s17
	s_delay_alu instid0(VALU_DEP_4) | instskip(NEXT) | instid1(VALU_DEP_2)
	v_cmp_gt_i32_e64 s17, 0, v182
	v_cmp_ne_u32_e32 vcc_lo, 0, v63
	v_not_b32_e32 v63, v182
	v_bitop3_b32 v62, vcc_lo, exec_lo, v62 bitop3:0x48
	s_delay_alu instid0(VALU_DEP_2) | instskip(SKIP_2) | instid1(VALU_DEP_3)
	v_dual_ashrrev_i32 v63, 31, v63 :: v_dual_lshlrev_b32 v183, 29, v184
	v_dual_lshlrev_b32 v185, 28, v184 :: v_dual_lshlrev_b32 v186, 27, v184
	v_lshlrev_b32_e32 v187, 26, v184
	v_not_b32_e32 v182, v183
	v_lshlrev_b32_e32 v188, 25, v184
	v_cmp_gt_i32_e64 s18, 0, v183
	v_cmp_gt_i32_e64 s19, 0, v185
	v_not_b32_e32 v183, v185
	v_not_b32_e32 v185, v186
	v_ashrrev_i32_e32 v182, 31, v182
	v_cmp_gt_i32_e64 s20, 0, v186
	v_cmp_gt_i32_e64 s21, 0, v187
	v_not_b32_e32 v186, v187
	v_not_b32_e32 v187, v188
	v_dual_ashrrev_i32 v183, 31, v183 :: v_dual_ashrrev_i32 v185, 31, v185
	s_delay_alu instid0(VALU_DEP_3) | instskip(NEXT) | instid1(VALU_DEP_3)
	v_dual_ashrrev_i32 v186, 31, v186 :: v_dual_bitop2_b32 v63, s17, v63 bitop3:0x14
	v_dual_ashrrev_i32 v187, 31, v187 :: v_dual_bitop2_b32 v182, s18, v182 bitop3:0x14
	v_cmp_gt_i32_e64 s22, 0, v188
	s_delay_alu instid0(VALU_DEP_4) | instskip(SKIP_1) | instid1(VALU_DEP_4)
	v_xor_b32_e32 v183, s19, v183
	v_xor_b32_e32 v185, s20, v185
	v_bitop3_b32 v62, v62, v182, v63 bitop3:0x80
	v_mad_u32_u24 v63, v184, 36, v114
	v_xor_b32_e32 v187, s22, v187
	s_delay_alu instid0(VALU_DEP_3) | instskip(SKIP_3) | instid1(VALU_DEP_2)
	v_bitop3_b32 v62, v62, v185, v183 bitop3:0x80
	ds_load_b32 v182, v63 offset:544
	v_mul_u32_u24_e32 v63, 36, v184
	v_xor_b32_e32 v186, s21, v186
	; wave barrier
	v_add_nc_u32_e32 v185, v114, v63
	s_delay_alu instid0(VALU_DEP_2) | instskip(NEXT) | instid1(VALU_DEP_1)
	v_bitop3_b32 v62, v62, v187, v186 bitop3:0x80
	v_mbcnt_lo_u32_b32 v183, v62, 0
	v_cmp_ne_u32_e64 s17, 0, v62
	s_delay_alu instid0(VALU_DEP_2) | instskip(SKIP_1) | instid1(SALU_CYCLE_1)
	v_cmp_eq_u32_e32 vcc_lo, 0, v183
	s_and_b32 s18, s17, vcc_lo
	s_and_saveexec_b32 s17, s18
	s_cbranch_execz .LBB84_772
; %bb.771:                              ;   in Loop: Header=BB84_722 Depth=2
	s_wait_dscnt 0x0
	v_bcnt_u32_b32 v62, v62, v182
	ds_store_b32 v185, v62 offset:544
.LBB84_772:                             ;   in Loop: Header=BB84_722 Depth=2
	s_or_b32 exec_lo, exec_lo, s17
	v_xor_b32_e32 v62, -1, v135
	v_xor_b32_e32 v63, -1, v136
	; wave barrier
	s_delay_alu instid0(VALU_DEP_2) | instskip(NEXT) | instid1(VALU_DEP_2)
	v_lshlrev_b16 v62, 8, v62
	v_lshlrev_b16 v63, 8, v63
	s_delay_alu instid0(VALU_DEP_2) | instskip(NEXT) | instid1(VALU_DEP_2)
	v_bitop3_b16 v184, v64, v62, 0xff bitop3:0xce
	v_bitop3_b16 v62, v65, v63, 0xff bitop3:0xce
	s_delay_alu instid0(VALU_DEP_2) | instskip(NEXT) | instid1(VALU_DEP_2)
	v_and_b32_e32 v63, 0xffff, v184
	v_lshlrev_b32_e32 v62, 16, v62
	s_delay_alu instid0(VALU_DEP_1) | instskip(NEXT) | instid1(VALU_DEP_1)
	v_or_b32_e32 v135, v63, v62
	v_bfe_u32 v62, v135, 8, 8
	s_delay_alu instid0(VALU_DEP_1) | instskip(NEXT) | instid1(VALU_DEP_1)
	v_lshrrev_b32_e32 v62, s49, v62
	v_bitop3_b32 v63, v62, 1, s48 bitop3:0x80
	v_and_b32_e32 v64, s48, v62
	s_delay_alu instid0(VALU_DEP_2) | instskip(NEXT) | instid1(VALU_DEP_1)
	v_add_co_u32 v62, s17, v63, -1
	v_cndmask_b32_e64 v63, 0, 1, s17
	s_delay_alu instid0(VALU_DEP_3) | instskip(NEXT) | instid1(VALU_DEP_2)
	v_lshlrev_b32_e32 v65, 30, v64
	v_cmp_ne_u32_e32 vcc_lo, 0, v63
	s_delay_alu instid0(VALU_DEP_2) | instskip(SKIP_2) | instid1(VALU_DEP_3)
	v_not_b32_e32 v63, v65
	v_cmp_gt_i32_e64 s17, 0, v65
	v_bitop3_b32 v62, vcc_lo, exec_lo, v62 bitop3:0x48
	v_dual_ashrrev_i32 v63, 31, v63 :: v_dual_lshlrev_b32 v136, 29, v64
	v_dual_lshlrev_b32 v186, 28, v64 :: v_dual_lshlrev_b32 v187, 27, v64
	v_lshlrev_b32_e32 v188, 26, v64
	s_delay_alu instid0(VALU_DEP_3)
	v_not_b32_e32 v65, v136
	v_lshlrev_b32_e32 v189, 25, v64
	v_cmp_gt_i32_e64 s18, 0, v136
	v_cmp_gt_i32_e64 s19, 0, v186
	v_not_b32_e32 v136, v186
	v_not_b32_e32 v186, v187
	v_ashrrev_i32_e32 v65, 31, v65
	v_cmp_gt_i32_e64 s20, 0, v187
	v_cmp_gt_i32_e64 s21, 0, v188
	v_not_b32_e32 v187, v188
	v_not_b32_e32 v188, v189
	v_dual_ashrrev_i32 v136, 31, v136 :: v_dual_ashrrev_i32 v186, 31, v186
	v_xor_b32_e32 v63, s17, v63
	s_delay_alu instid0(VALU_DEP_4)
	v_dual_ashrrev_i32 v187, 31, v187 :: v_dual_bitop2_b32 v65, s18, v65 bitop3:0x14
	v_cmp_gt_i32_e64 s22, 0, v189
	v_ashrrev_i32_e32 v188, 31, v188
	v_xor_b32_e32 v136, s19, v136
	v_xor_b32_e32 v186, s20, v186
	v_bitop3_b32 v62, v62, v65, v63 bitop3:0x80
	v_mad_u32_u24 v63, v64, 36, v114
	v_xor_b32_e32 v65, s21, v187
	v_xor_b32_e32 v187, s22, v188
	s_delay_alu instid0(VALU_DEP_4) | instskip(SKIP_3) | instid1(VALU_DEP_2)
	v_bitop3_b32 v62, v62, v186, v136 bitop3:0x80
	ds_load_b32 v136, v63 offset:544
	v_mul_u32_u24_e32 v63, 36, v64
	; wave barrier
	v_bitop3_b32 v62, v62, v187, v65 bitop3:0x80
	v_add_nc_u32_e32 v187, v114, v63
	s_delay_alu instid0(VALU_DEP_2) | instskip(SKIP_1) | instid1(VALU_DEP_2)
	v_mbcnt_lo_u32_b32 v186, v62, 0
	v_cmp_ne_u32_e64 s17, 0, v62
	v_cmp_eq_u32_e32 vcc_lo, 0, v186
	s_and_b32 s18, s17, vcc_lo
	s_delay_alu instid0(SALU_CYCLE_1)
	s_and_saveexec_b32 s17, s18
	s_cbranch_execz .LBB84_774
; %bb.773:                              ;   in Loop: Header=BB84_722 Depth=2
	s_wait_dscnt 0x0
	v_bcnt_u32_b32 v62, v62, v136
	ds_store_b32 v187, v62 offset:544
.LBB84_774:                             ;   in Loop: Header=BB84_722 Depth=2
	s_or_b32 exec_lo, exec_lo, s17
	v_bfe_u32 v62, v135, 16, 8
	; wave barrier
	s_delay_alu instid0(VALU_DEP_1) | instskip(NEXT) | instid1(VALU_DEP_1)
	v_lshrrev_b32_e32 v62, s49, v62
	v_and_b32_e32 v64, s48, v62
	s_delay_alu instid0(VALU_DEP_1) | instskip(SKIP_1) | instid1(VALU_DEP_1)
	v_lshlrev_b32_e32 v65, 30, v64
	v_bitop3_b32 v63, v62, 1, s48 bitop3:0x80
	v_add_co_u32 v62, s17, v63, -1
	s_delay_alu instid0(VALU_DEP_1) | instskip(NEXT) | instid1(VALU_DEP_4)
	v_cndmask_b32_e64 v63, 0, 1, s17
	v_cmp_gt_i32_e64 s17, 0, v65
	s_delay_alu instid0(VALU_DEP_2) | instskip(SKIP_2) | instid1(VALU_DEP_2)
	v_cmp_ne_u32_e32 vcc_lo, 0, v63
	v_not_b32_e32 v63, v65
	v_bitop3_b32 v62, vcc_lo, exec_lo, v62 bitop3:0x48
	v_dual_ashrrev_i32 v63, 31, v63 :: v_dual_lshlrev_b32 v188, 29, v64
	v_dual_lshlrev_b32 v189, 28, v64 :: v_dual_lshlrev_b32 v190, 27, v64
	v_lshlrev_b32_e32 v191, 26, v64
	s_delay_alu instid0(VALU_DEP_3)
	v_not_b32_e32 v65, v188
	v_lshlrev_b32_e32 v192, 25, v64
	v_cmp_gt_i32_e64 s18, 0, v188
	v_cmp_gt_i32_e64 s19, 0, v189
	v_not_b32_e32 v188, v189
	v_not_b32_e32 v189, v190
	v_ashrrev_i32_e32 v65, 31, v65
	v_cmp_gt_i32_e64 s20, 0, v190
	v_cmp_gt_i32_e64 s21, 0, v191
	v_not_b32_e32 v190, v191
	v_dual_ashrrev_i32 v188, 31, v188 :: v_dual_ashrrev_i32 v189, 31, v189
	v_xor_b32_e32 v63, s17, v63
	v_not_b32_e32 v191, v192
	s_delay_alu instid0(VALU_DEP_4) | instskip(NEXT) | instid1(VALU_DEP_4)
	v_dual_ashrrev_i32 v190, 31, v190 :: v_dual_bitop2_b32 v65, s18, v65 bitop3:0x14
	v_xor_b32_e32 v188, s19, v188
	v_xor_b32_e32 v189, s20, v189
	v_cmp_gt_i32_e32 vcc_lo, 0, v192
	s_delay_alu instid0(VALU_DEP_4) | instskip(SKIP_3) | instid1(VALU_DEP_4)
	v_bitop3_b32 v62, v62, v65, v63 bitop3:0x80
	v_ashrrev_i32_e32 v63, 31, v191
	v_mad_u32_u24 v65, v64, 36, v114
	v_xor_b32_e32 v190, s21, v190
	v_bitop3_b32 v62, v62, v189, v188 bitop3:0x80
	s_delay_alu instid0(VALU_DEP_4) | instskip(SKIP_3) | instid1(VALU_DEP_2)
	v_xor_b32_e32 v63, vcc_lo, v63
	ds_load_b32 v188, v65 offset:544
	; wave barrier
	v_bitop3_b32 v62, v62, v63, v190 bitop3:0x80
	v_mul_u32_u24_e32 v63, 36, v64
	v_mbcnt_lo_u32_b32 v189, v62, 0
	v_cmp_ne_u32_e64 s17, 0, v62
	s_delay_alu instid0(VALU_DEP_3) | instskip(NEXT) | instid1(VALU_DEP_3)
	v_add_nc_u32_e32 v191, v114, v63
	v_cmp_eq_u32_e32 vcc_lo, 0, v189
	s_and_b32 s18, s17, vcc_lo
	s_delay_alu instid0(SALU_CYCLE_1)
	s_and_saveexec_b32 s17, s18
	s_cbranch_execz .LBB84_776
; %bb.775:                              ;   in Loop: Header=BB84_722 Depth=2
	s_wait_dscnt 0x0
	v_bcnt_u32_b32 v62, v62, v188
	ds_store_b32 v191, v62 offset:544
.LBB84_776:                             ;   in Loop: Header=BB84_722 Depth=2
	s_or_b32 exec_lo, exec_lo, s17
	v_lshrrev_b32_e32 v190, 24, v135
	; wave barrier
	s_delay_alu instid0(VALU_DEP_1) | instskip(NEXT) | instid1(VALU_DEP_1)
	v_lshrrev_b32_e32 v62, s49, v190
	v_and_b32_e32 v64, s48, v62
	s_delay_alu instid0(VALU_DEP_1) | instskip(SKIP_3) | instid1(VALU_DEP_3)
	v_lshlrev_b32_e32 v65, 30, v64
	v_bitop3_b32 v63, v62, 1, s48 bitop3:0x80
	v_dual_lshlrev_b32 v192, 29, v64 :: v_dual_lshlrev_b32 v193, 28, v64
	v_dual_lshlrev_b32 v194, 27, v64 :: v_dual_lshlrev_b32 v195, 26, v64
	v_add_co_u32 v62, s17, v63, -1
	s_delay_alu instid0(VALU_DEP_1)
	v_cndmask_b32_e64 v63, 0, 1, s17
	v_cmp_gt_i32_e64 s17, 0, v65
	v_cmp_gt_i32_e64 s18, 0, v192
	v_cmp_gt_i32_e64 s19, 0, v193
	v_cmp_gt_i32_e64 s20, 0, v194
	v_cmp_ne_u32_e32 vcc_lo, 0, v63
	v_not_b32_e32 v63, v65
	v_not_b32_e32 v65, v192
	v_lshlrev_b32_e32 v196, 25, v64
	v_not_b32_e32 v192, v193
	v_not_b32_e32 v193, v194
	s_delay_alu instid0(VALU_DEP_4)
	v_dual_ashrrev_i32 v63, 31, v63 :: v_dual_ashrrev_i32 v65, 31, v65
	v_cmp_gt_i32_e64 s21, 0, v195
	v_not_b32_e32 v194, v195
	v_bitop3_b32 v62, vcc_lo, exec_lo, v62 bitop3:0x48
	v_dual_ashrrev_i32 v192, 31, v192 :: v_dual_ashrrev_i32 v193, 31, v193
	v_xor_b32_e32 v63, s17, v63
	s_delay_alu instid0(VALU_DEP_4) | instskip(SKIP_1) | instid1(VALU_DEP_4)
	v_dual_ashrrev_i32 v194, 31, v194 :: v_dual_bitop2_b32 v65, s18, v65 bitop3:0x14
	v_not_b32_e32 v195, v196
	v_xor_b32_e32 v192, s19, v192
	v_xor_b32_e32 v193, s20, v193
	s_delay_alu instid0(VALU_DEP_4)
	v_bitop3_b32 v62, v62, v65, v63 bitop3:0x80
	v_cmp_gt_i32_e32 vcc_lo, 0, v196
	v_ashrrev_i32_e32 v63, 31, v195
	v_mad_u32_u24 v65, v64, 36, v114
	v_xor_b32_e32 v194, s21, v194
	v_bitop3_b32 v62, v62, v193, v192 bitop3:0x80
	s_delay_alu instid0(VALU_DEP_4) | instskip(SKIP_3) | instid1(VALU_DEP_2)
	v_xor_b32_e32 v63, vcc_lo, v63
	ds_load_b32 v192, v65 offset:544
	; wave barrier
	v_bitop3_b32 v62, v62, v63, v194 bitop3:0x80
	v_mul_u32_u24_e32 v63, 36, v64
	v_mbcnt_lo_u32_b32 v193, v62, 0
	v_cmp_ne_u32_e64 s17, 0, v62
	s_delay_alu instid0(VALU_DEP_3) | instskip(NEXT) | instid1(VALU_DEP_3)
	v_add_nc_u32_e32 v194, v114, v63
	v_cmp_eq_u32_e32 vcc_lo, 0, v193
	s_and_b32 s18, s17, vcc_lo
	s_delay_alu instid0(SALU_CYCLE_1)
	s_and_saveexec_b32 s17, s18
	s_cbranch_execz .LBB84_778
; %bb.777:                              ;   in Loop: Header=BB84_722 Depth=2
	s_wait_dscnt 0x0
	v_bcnt_u32_b32 v62, v62, v192
	ds_store_b32 v194, v62 offset:544
.LBB84_778:                             ;   in Loop: Header=BB84_722 Depth=2
	s_or_b32 exec_lo, exec_lo, s17
	v_xor_b32_e32 v121, -1, v121
	; wave barrier
	s_delay_alu instid0(VALU_DEP_1) | instskip(NEXT) | instid1(VALU_DEP_1)
	v_and_b32_e32 v62, 0xff, v121
	v_lshrrev_b32_e32 v62, s49, v62
	s_delay_alu instid0(VALU_DEP_1) | instskip(SKIP_1) | instid1(VALU_DEP_2)
	v_bitop3_b32 v63, v62, 1, s48 bitop3:0x80
	v_and_b32_e32 v64, s48, v62
	v_add_co_u32 v62, s17, v63, -1
	s_delay_alu instid0(VALU_DEP_1) | instskip(NEXT) | instid1(VALU_DEP_3)
	v_cndmask_b32_e64 v63, 0, 1, s17
	v_lshlrev_b32_e32 v65, 30, v64
	s_delay_alu instid0(VALU_DEP_2) | instskip(NEXT) | instid1(VALU_DEP_2)
	v_cmp_ne_u32_e32 vcc_lo, 0, v63
	v_not_b32_e32 v63, v65
	v_bitop3_b32 v62, vcc_lo, exec_lo, v62 bitop3:0x48
	s_delay_alu instid0(VALU_DEP_2) | instskip(SKIP_3) | instid1(VALU_DEP_4)
	v_dual_ashrrev_i32 v63, 31, v63 :: v_dual_lshlrev_b32 v195, 29, v64
	v_dual_lshlrev_b32 v196, 28, v64 :: v_dual_lshlrev_b32 v197, 27, v64
	v_cmp_gt_i32_e64 s17, 0, v65
	v_dual_lshlrev_b32 v198, 26, v64 :: v_dual_lshlrev_b32 v199, 25, v64
	v_not_b32_e32 v65, v195
	v_cmp_gt_i32_e64 s18, 0, v195
	v_cmp_gt_i32_e64 s19, 0, v196
	v_not_b32_e32 v195, v196
	v_not_b32_e32 v196, v197
	v_ashrrev_i32_e32 v65, 31, v65
	v_cmp_gt_i32_e64 s20, 0, v197
	v_cmp_gt_i32_e64 s21, 0, v198
	v_not_b32_e32 v197, v198
	v_not_b32_e32 v198, v199
	v_dual_ashrrev_i32 v195, 31, v195 :: v_dual_ashrrev_i32 v196, 31, v196
	v_xor_b32_e32 v63, s17, v63
	s_delay_alu instid0(VALU_DEP_3) | instskip(SKIP_1) | instid1(VALU_DEP_4)
	v_dual_ashrrev_i32 v198, 31, v198 :: v_dual_bitop2_b32 v65, s18, v65 bitop3:0x14
	v_cmp_gt_i32_e64 s22, 0, v199
	v_dual_ashrrev_i32 v197, 31, v197 :: v_dual_bitop2_b32 v195, s19, v195 bitop3:0x14
	v_xor_b32_e32 v196, s20, v196
	s_delay_alu instid0(VALU_DEP_4) | instskip(SKIP_1) | instid1(VALU_DEP_4)
	v_bitop3_b32 v62, v62, v65, v63 bitop3:0x80
	v_mad_u32_u24 v63, v64, 36, v114
	v_xor_b32_e32 v65, s21, v197
	v_xor_b32_e32 v197, s22, v198
	s_delay_alu instid0(VALU_DEP_4) | instskip(SKIP_3) | instid1(VALU_DEP_2)
	v_bitop3_b32 v62, v62, v196, v195 bitop3:0x80
	ds_load_b32 v195, v63 offset:544
	v_mul_u32_u24_e32 v63, 36, v64
	; wave barrier
	v_bitop3_b32 v62, v62, v197, v65 bitop3:0x80
	v_add_nc_u32_e32 v197, v114, v63
	s_delay_alu instid0(VALU_DEP_2) | instskip(SKIP_1) | instid1(VALU_DEP_2)
	v_mbcnt_lo_u32_b32 v196, v62, 0
	v_cmp_ne_u32_e64 s17, 0, v62
	v_cmp_eq_u32_e32 vcc_lo, 0, v196
	s_and_b32 s18, s17, vcc_lo
	s_delay_alu instid0(SALU_CYCLE_1)
	s_and_saveexec_b32 s17, s18
	s_cbranch_execz .LBB84_780
; %bb.779:                              ;   in Loop: Header=BB84_722 Depth=2
	s_wait_dscnt 0x0
	v_bcnt_u32_b32 v62, v62, v195
	ds_store_b32 v197, v62 offset:544
.LBB84_780:                             ;   in Loop: Header=BB84_722 Depth=2
	s_or_b32 exec_lo, exec_lo, s17
	; wave barrier
	s_wait_dscnt 0x0
	s_barrier_signal -1
	s_barrier_wait -1
	ds_load_2addr_b32 v[64:65], v90 offset0:136 offset1:137
	ds_load_2addr_b32 v[62:63], v90 offset0:138 offset1:139
	ds_load_b32 v198, v90 offset:560
	s_wait_dscnt 0x1
	v_add3_u32 v199, v65, v64, v62
	s_wait_dscnt 0x0
	s_delay_alu instid0(VALU_DEP_1) | instskip(NEXT) | instid1(VALU_DEP_1)
	v_add3_u32 v198, v199, v63, v198
	v_mov_b32_dpp v199, v198 row_shr:1 row_mask:0xf bank_mask:0xf
	s_delay_alu instid0(VALU_DEP_1) | instskip(NEXT) | instid1(VALU_DEP_1)
	v_cndmask_b32_e64 v199, v199, 0, s8
	v_add_nc_u32_e32 v198, v199, v198
	s_delay_alu instid0(VALU_DEP_1) | instskip(NEXT) | instid1(VALU_DEP_1)
	v_mov_b32_dpp v199, v198 row_shr:2 row_mask:0xf bank_mask:0xf
	v_cndmask_b32_e64 v199, 0, v199, s9
	s_delay_alu instid0(VALU_DEP_1) | instskip(NEXT) | instid1(VALU_DEP_1)
	v_add_nc_u32_e32 v198, v198, v199
	v_mov_b32_dpp v199, v198 row_shr:4 row_mask:0xf bank_mask:0xf
	s_delay_alu instid0(VALU_DEP_1) | instskip(NEXT) | instid1(VALU_DEP_1)
	v_cndmask_b32_e64 v199, 0, v199, s10
	v_add_nc_u32_e32 v198, v198, v199
	s_delay_alu instid0(VALU_DEP_1) | instskip(NEXT) | instid1(VALU_DEP_1)
	v_mov_b32_dpp v199, v198 row_shr:8 row_mask:0xf bank_mask:0xf
	v_cndmask_b32_e64 v199, 0, v199, s11
	s_delay_alu instid0(VALU_DEP_1) | instskip(SKIP_3) | instid1(VALU_DEP_1)
	v_add_nc_u32_e32 v198, v198, v199
	ds_swizzle_b32 v199, v198 offset:swizzle(BROADCAST,32,15)
	s_wait_dscnt 0x0
	v_cndmask_b32_e64 v199, v199, 0, s12
	v_add_nc_u32_e32 v198, v198, v199
	s_and_saveexec_b32 s17, s2
; %bb.781:                              ;   in Loop: Header=BB84_722 Depth=2
	ds_store_b32 v83, v198 offset:512
; %bb.782:                              ;   in Loop: Header=BB84_722 Depth=2
	s_or_b32 exec_lo, exec_lo, s17
	s_wait_dscnt 0x0
	s_barrier_signal -1
	s_barrier_wait -1
	s_and_saveexec_b32 s17, s3
	s_cbranch_execz .LBB84_784
; %bb.783:                              ;   in Loop: Header=BB84_722 Depth=2
	ds_load_b32 v199, v92 offset:512
	s_wait_dscnt 0x0
	v_mov_b32_dpp v200, v199 row_shr:1 row_mask:0xf bank_mask:0xf
	s_delay_alu instid0(VALU_DEP_1) | instskip(NEXT) | instid1(VALU_DEP_1)
	v_cndmask_b32_e64 v200, v200, 0, s14
	v_add_nc_u32_e32 v199, v200, v199
	s_delay_alu instid0(VALU_DEP_1) | instskip(NEXT) | instid1(VALU_DEP_1)
	v_mov_b32_dpp v200, v199 row_shr:2 row_mask:0xf bank_mask:0xf
	v_cndmask_b32_e64 v200, 0, v200, s15
	s_delay_alu instid0(VALU_DEP_1) | instskip(NEXT) | instid1(VALU_DEP_1)
	v_add_nc_u32_e32 v199, v199, v200
	v_mov_b32_dpp v200, v199 row_shr:4 row_mask:0xf bank_mask:0xf
	s_delay_alu instid0(VALU_DEP_1) | instskip(NEXT) | instid1(VALU_DEP_1)
	v_cndmask_b32_e64 v200, 0, v200, s16
	v_add_nc_u32_e32 v199, v199, v200
	ds_store_b32 v92, v199 offset:512
.LBB84_784:                             ;   in Loop: Header=BB84_722 Depth=2
	s_or_b32 exec_lo, exec_lo, s17
	v_mov_b32_e32 v199, 0
	s_wait_dscnt 0x0
	s_barrier_signal -1
	s_barrier_wait -1
	s_and_saveexec_b32 s17, s5
; %bb.785:                              ;   in Loop: Header=BB84_722 Depth=2
	ds_load_b32 v199, v83 offset:508
; %bb.786:                              ;   in Loop: Header=BB84_722 Depth=2
	s_or_b32 exec_lo, exec_lo, s17
	s_wait_dscnt 0x0
	v_add_nc_u32_e32 v198, v199, v198
	ds_bpermute_b32 v198, v96, v198
	s_wait_dscnt 0x0
	v_cndmask_b32_e64 v198, v198, v199, s13
	s_delay_alu instid0(VALU_DEP_1) | instskip(NEXT) | instid1(VALU_DEP_1)
	v_cndmask_b32_e64 v198, v198, 0, s6
	v_add_nc_u32_e32 v64, v198, v64
	s_delay_alu instid0(VALU_DEP_1) | instskip(NEXT) | instid1(VALU_DEP_1)
	v_add_nc_u32_e32 v65, v64, v65
	v_add_nc_u32_e32 v62, v65, v62
	s_delay_alu instid0(VALU_DEP_1)
	v_add_nc_u32_e32 v63, v62, v63
	ds_store_2addr_b32 v90, v198, v64 offset0:136 offset1:137
	ds_store_2addr_b32 v90, v65, v62 offset0:138 offset1:139
	ds_store_b32 v90, v63 offset:560
	s_wait_dscnt 0x0
	s_barrier_signal -1
	s_barrier_wait -1
	ds_load_b32 v62, v149 offset:544
	ds_load_b32 v63, v152 offset:544
	ds_load_b32 v64, v156 offset:544
	ds_load_b32 v65, v159 offset:544
	ds_load_b32 v149, v162 offset:544
	ds_load_b32 v159, v163 offset:544
	ds_load_b32 v162, v167 offset:544
	ds_load_b32 v163, v170 offset:544
	ds_load_b32 v167, v173 offset:544
	ds_load_b32 v170, v174 offset:544
	ds_load_b32 v173, v178 offset:544
	ds_load_b32 v174, v181 offset:544
	ds_load_b32 v178, v185 offset:544
	ds_load_b32 v181, v187 offset:544
	ds_load_b32 v185, v191 offset:544
	ds_load_b32 v187, v194 offset:544
	ds_load_b32 v191, v197 offset:544
	s_and_saveexec_b32 s17, s0
	s_cbranch_execz .LBB84_790
; %bb.787:                              ;   in Loop: Header=BB84_722 Depth=2
	v_dual_mov_b32 v134, 0x1100 :: v_dual_add_nc_u32 v133, v92, v94
	ds_load_b32 v133, v133 offset:544
	s_and_saveexec_b32 s18, s7
; %bb.788:                              ;   in Loop: Header=BB84_722 Depth=2
	ds_load_b32 v134, v93 offset:544
; %bb.789:                              ;   in Loop: Header=BB84_722 Depth=2
	s_or_b32 exec_lo, exec_lo, s18
	s_wait_dscnt 0x0
	v_sub_nc_u32_e32 v134, v134, v133
.LBB84_790:                             ;   in Loop: Header=BB84_722 Depth=2
	s_or_b32 exec_lo, exec_lo, s17
	v_dual_lshrrev_b32 v202, 8, v148 :: v_dual_lshrrev_b32 v203, 16, v148
	v_dual_lshrrev_b32 v200, 8, v143 :: v_dual_lshrrev_b32 v201, 16, v143
	;; [unrolled: 1-line block ×4, first 2 shown]
	s_wait_dscnt 0x0
	s_barrier_signal -1
	s_barrier_wait -1
	s_and_saveexec_b32 s17, s0
	s_cbranch_execz .LBB84_792
; %bb.791:                              ;   in Loop: Header=BB84_722 Depth=2
	ds_load_b32 v135, v66
	s_wait_dscnt 0x0
	v_sub_nc_u32_e32 v135, v135, v133
	ds_store_b32 v66, v135
.LBB84_792:                             ;   in Loop: Header=BB84_722 Depth=2
	s_or_b32 exec_lo, exec_lo, s17
	v_add_nc_u32_e32 v156, v62, v146
	v_add3_u32 v152, v151, v150, v63
	v_add3_u32 v151, v154, v153, v64
	;; [unrolled: 1-line block ×16, first 2 shown]
	v_cmp_lt_u32_e32 vcc_lo, v2, v137
	ds_store_b8 v156, v147 offset:512
	ds_store_b8 v152, v202 offset:512
	;; [unrolled: 1-line block ×17, first 2 shown]
	s_wait_dscnt 0x0
	s_barrier_signal -1
	s_barrier_wait -1
	s_and_saveexec_b32 s17, vcc_lo
	s_cbranch_execnz .LBB84_865
; %bb.793:                              ;   in Loop: Header=BB84_722 Depth=2
	s_or_b32 exec_lo, exec_lo, s17
	v_cmp_lt_u32_e64 s17, v67, v137
	s_and_saveexec_b32 s18, s17
	s_cbranch_execnz .LBB84_866
.LBB84_794:                             ;   in Loop: Header=BB84_722 Depth=2
	s_or_b32 exec_lo, exec_lo, s18
	v_cmp_lt_u32_e64 s18, v68, v137
	s_and_saveexec_b32 s19, s18
	s_cbranch_execnz .LBB84_867
.LBB84_795:                             ;   in Loop: Header=BB84_722 Depth=2
	s_or_b32 exec_lo, exec_lo, s19
	v_cmp_lt_u32_e64 s19, v69, v137
	s_and_saveexec_b32 s20, s19
	s_cbranch_execnz .LBB84_868
.LBB84_796:                             ;   in Loop: Header=BB84_722 Depth=2
	s_or_b32 exec_lo, exec_lo, s20
	v_cmp_lt_u32_e64 s20, v70, v137
	s_and_saveexec_b32 s21, s20
	s_cbranch_execnz .LBB84_869
.LBB84_797:                             ;   in Loop: Header=BB84_722 Depth=2
	s_or_b32 exec_lo, exec_lo, s21
	v_cmp_lt_u32_e64 s21, v71, v137
	s_and_saveexec_b32 s22, s21
	s_cbranch_execnz .LBB84_870
.LBB84_798:                             ;   in Loop: Header=BB84_722 Depth=2
	s_or_b32 exec_lo, exec_lo, s22
	v_cmp_lt_u32_e64 s22, v72, v137
	s_and_saveexec_b32 s23, s22
	s_cbranch_execnz .LBB84_871
.LBB84_799:                             ;   in Loop: Header=BB84_722 Depth=2
	s_or_b32 exec_lo, exec_lo, s23
	v_cmp_lt_u32_e64 s23, v73, v137
	s_and_saveexec_b32 s24, s23
	s_cbranch_execnz .LBB84_872
.LBB84_800:                             ;   in Loop: Header=BB84_722 Depth=2
	s_or_b32 exec_lo, exec_lo, s24
	v_cmp_lt_u32_e64 s24, v74, v137
	s_and_saveexec_b32 s25, s24
	s_cbranch_execnz .LBB84_873
.LBB84_801:                             ;   in Loop: Header=BB84_722 Depth=2
	s_or_b32 exec_lo, exec_lo, s25
	v_cmp_lt_u32_e64 s25, v75, v137
	s_and_saveexec_b32 s26, s25
	s_cbranch_execnz .LBB84_874
.LBB84_802:                             ;   in Loop: Header=BB84_722 Depth=2
	s_or_b32 exec_lo, exec_lo, s26
	v_cmp_lt_u32_e64 s26, v76, v137
	s_and_saveexec_b32 s27, s26
	s_cbranch_execnz .LBB84_875
.LBB84_803:                             ;   in Loop: Header=BB84_722 Depth=2
	s_or_b32 exec_lo, exec_lo, s27
	v_cmp_lt_u32_e64 s27, v77, v137
	s_and_saveexec_b32 s28, s27
	s_cbranch_execnz .LBB84_876
.LBB84_804:                             ;   in Loop: Header=BB84_722 Depth=2
	s_or_b32 exec_lo, exec_lo, s28
	v_cmp_lt_u32_e64 s28, v78, v137
	s_and_saveexec_b32 s29, s28
	s_cbranch_execnz .LBB84_877
.LBB84_805:                             ;   in Loop: Header=BB84_722 Depth=2
	s_or_b32 exec_lo, exec_lo, s29
	v_cmp_lt_u32_e64 s29, v79, v137
	s_and_saveexec_b32 s30, s29
	s_cbranch_execnz .LBB84_878
.LBB84_806:                             ;   in Loop: Header=BB84_722 Depth=2
	s_or_b32 exec_lo, exec_lo, s30
	v_cmp_lt_u32_e64 s30, v80, v137
	s_and_saveexec_b32 s31, s30
	s_cbranch_execnz .LBB84_879
.LBB84_807:                             ;   in Loop: Header=BB84_722 Depth=2
	s_or_b32 exec_lo, exec_lo, s31
	v_cmp_lt_u32_e64 s31, v81, v137
	s_and_saveexec_b32 s33, s31
	s_cbranch_execnz .LBB84_880
.LBB84_808:                             ;   in Loop: Header=BB84_722 Depth=2
	s_or_b32 exec_lo, exec_lo, s33
	v_cmp_lt_u32_e64 s33, v82, v137
	s_and_saveexec_b32 s60, s33
	s_cbranch_execz .LBB84_810
.LBB84_809:                             ;   in Loop: Header=BB84_722 Depth=2
	ds_load_u8 v62, v2 offset:4608
	s_wait_dscnt 0x0
	v_and_b32_e32 v63, 0xff, v62
	s_delay_alu instid0(VALU_DEP_1) | instskip(NEXT) | instid1(VALU_DEP_1)
	v_dual_lshrrev_b32 v63, s49, v63 :: v_dual_bitop2_b32 v62, -1, v62 bitop3:0x14
	v_and_b32_e32 v63, s48, v63
	s_delay_alu instid0(VALU_DEP_1)
	v_lshlrev_b32_e32 v63, 2, v63
	ds_load_b32 v63, v63
	s_wait_dscnt 0x0
	v_add_nc_u32_e32 v63, v63, v82
	global_store_b8 v63, v62, s[38:39]
.LBB84_810:                             ;   in Loop: Header=BB84_722 Depth=2
	s_wait_xcnt 0x0
	s_or_b32 exec_lo, exec_lo, s60
	v_lshl_add_u64 v[62:63], s[34:35], 3, v[26:27]
	v_cmp_lt_u32_e64 s34, v97, v137
	s_and_saveexec_b32 s60, s34
	s_delay_alu instid0(SALU_CYCLE_1)
	s_xor_b32 s34, exec_lo, s60
	s_cbranch_execnz .LBB84_881
; %bb.811:                              ;   in Loop: Header=BB84_722 Depth=2
	s_or_b32 exec_lo, exec_lo, s34
	s_delay_alu instid0(SALU_CYCLE_1)
	s_mov_b32 s60, exec_lo
	v_cmpx_lt_u32_e64 v98, v137
	s_cbranch_execnz .LBB84_882
.LBB84_812:                             ;   in Loop: Header=BB84_722 Depth=2
	s_or_b32 exec_lo, exec_lo, s60
	s_delay_alu instid0(SALU_CYCLE_1)
	s_mov_b32 s60, exec_lo
	v_cmpx_lt_u32_e64 v99, v137
	s_cbranch_execnz .LBB84_883
.LBB84_813:                             ;   in Loop: Header=BB84_722 Depth=2
	s_or_b32 exec_lo, exec_lo, s60
	s_delay_alu instid0(SALU_CYCLE_1)
	s_mov_b32 s60, exec_lo
	v_cmpx_lt_u32_e64 v100, v137
	s_cbranch_execnz .LBB84_884
.LBB84_814:                             ;   in Loop: Header=BB84_722 Depth=2
	s_or_b32 exec_lo, exec_lo, s60
	s_delay_alu instid0(SALU_CYCLE_1)
	s_mov_b32 s60, exec_lo
	v_cmpx_lt_u32_e64 v101, v137
	s_cbranch_execnz .LBB84_885
.LBB84_815:                             ;   in Loop: Header=BB84_722 Depth=2
	s_or_b32 exec_lo, exec_lo, s60
	s_delay_alu instid0(SALU_CYCLE_1)
	s_mov_b32 s60, exec_lo
	v_cmpx_lt_u32_e64 v102, v137
	s_cbranch_execnz .LBB84_886
.LBB84_816:                             ;   in Loop: Header=BB84_722 Depth=2
	s_or_b32 exec_lo, exec_lo, s60
	s_delay_alu instid0(SALU_CYCLE_1)
	s_mov_b32 s60, exec_lo
	v_cmpx_lt_u32_e64 v103, v137
	s_cbranch_execnz .LBB84_887
.LBB84_817:                             ;   in Loop: Header=BB84_722 Depth=2
	s_or_b32 exec_lo, exec_lo, s60
	s_delay_alu instid0(SALU_CYCLE_1)
	s_mov_b32 s60, exec_lo
	v_cmpx_lt_u32_e64 v104, v137
	s_cbranch_execnz .LBB84_888
.LBB84_818:                             ;   in Loop: Header=BB84_722 Depth=2
	s_or_b32 exec_lo, exec_lo, s60
	s_delay_alu instid0(SALU_CYCLE_1)
	s_mov_b32 s60, exec_lo
	v_cmpx_lt_u32_e64 v105, v137
	s_cbranch_execnz .LBB84_889
.LBB84_819:                             ;   in Loop: Header=BB84_722 Depth=2
	s_or_b32 exec_lo, exec_lo, s60
	s_delay_alu instid0(SALU_CYCLE_1)
	s_mov_b32 s60, exec_lo
	v_cmpx_lt_u32_e64 v106, v137
	s_cbranch_execnz .LBB84_890
.LBB84_820:                             ;   in Loop: Header=BB84_722 Depth=2
	s_or_b32 exec_lo, exec_lo, s60
	s_delay_alu instid0(SALU_CYCLE_1)
	s_mov_b32 s60, exec_lo
	v_cmpx_lt_u32_e64 v107, v137
	s_cbranch_execnz .LBB84_891
.LBB84_821:                             ;   in Loop: Header=BB84_722 Depth=2
	s_or_b32 exec_lo, exec_lo, s60
	s_delay_alu instid0(SALU_CYCLE_1)
	s_mov_b32 s60, exec_lo
	v_cmpx_lt_u32_e64 v108, v137
	s_cbranch_execnz .LBB84_892
.LBB84_822:                             ;   in Loop: Header=BB84_722 Depth=2
	s_or_b32 exec_lo, exec_lo, s60
	s_delay_alu instid0(SALU_CYCLE_1)
	s_mov_b32 s60, exec_lo
	v_cmpx_lt_u32_e64 v109, v137
	s_cbranch_execnz .LBB84_893
.LBB84_823:                             ;   in Loop: Header=BB84_722 Depth=2
	s_or_b32 exec_lo, exec_lo, s60
	s_delay_alu instid0(SALU_CYCLE_1)
	s_mov_b32 s60, exec_lo
	v_cmpx_lt_u32_e64 v110, v137
	s_cbranch_execnz .LBB84_894
.LBB84_824:                             ;   in Loop: Header=BB84_722 Depth=2
	s_or_b32 exec_lo, exec_lo, s60
	s_delay_alu instid0(SALU_CYCLE_1)
	s_mov_b32 s60, exec_lo
	v_cmpx_lt_u32_e64 v111, v137
	s_cbranch_execnz .LBB84_895
.LBB84_825:                             ;   in Loop: Header=BB84_722 Depth=2
	s_or_b32 exec_lo, exec_lo, s60
	s_delay_alu instid0(SALU_CYCLE_1)
	s_mov_b32 s60, exec_lo
	v_cmpx_lt_u32_e64 v112, v137
	s_cbranch_execnz .LBB84_896
.LBB84_826:                             ;   in Loop: Header=BB84_722 Depth=2
	s_or_b32 exec_lo, exec_lo, s60
	s_delay_alu instid0(SALU_CYCLE_1)
	s_mov_b32 s60, exec_lo
	v_cmpx_lt_u32_e64 v113, v137
	s_cbranch_execnz .LBB84_897
.LBB84_827:                             ;   in Loop: Header=BB84_722 Depth=2
	s_or_b32 exec_lo, exec_lo, s60
	s_and_saveexec_b32 s34, vcc_lo
	s_cbranch_execnz .LBB84_898
.LBB84_828:                             ;   in Loop: Header=BB84_722 Depth=2
	s_or_b32 exec_lo, exec_lo, s34
	s_and_saveexec_b32 s34, s17
	s_cbranch_execnz .LBB84_899
.LBB84_829:                             ;   in Loop: Header=BB84_722 Depth=2
	s_or_b32 exec_lo, exec_lo, s34
	s_and_saveexec_b32 s34, s18
	s_cbranch_execnz .LBB84_900
.LBB84_830:                             ;   in Loop: Header=BB84_722 Depth=2
	s_or_b32 exec_lo, exec_lo, s34
	s_and_saveexec_b32 s34, s19
	s_cbranch_execnz .LBB84_901
.LBB84_831:                             ;   in Loop: Header=BB84_722 Depth=2
	s_or_b32 exec_lo, exec_lo, s34
	s_and_saveexec_b32 s34, s20
	s_cbranch_execnz .LBB84_902
.LBB84_832:                             ;   in Loop: Header=BB84_722 Depth=2
	s_or_b32 exec_lo, exec_lo, s34
	s_and_saveexec_b32 s34, s21
	s_cbranch_execnz .LBB84_903
.LBB84_833:                             ;   in Loop: Header=BB84_722 Depth=2
	s_or_b32 exec_lo, exec_lo, s34
	s_and_saveexec_b32 s34, s22
	s_cbranch_execnz .LBB84_904
.LBB84_834:                             ;   in Loop: Header=BB84_722 Depth=2
	s_or_b32 exec_lo, exec_lo, s34
	s_and_saveexec_b32 s34, s23
	s_cbranch_execnz .LBB84_905
.LBB84_835:                             ;   in Loop: Header=BB84_722 Depth=2
	s_or_b32 exec_lo, exec_lo, s34
	s_and_saveexec_b32 s34, s24
	s_cbranch_execnz .LBB84_906
.LBB84_836:                             ;   in Loop: Header=BB84_722 Depth=2
	s_or_b32 exec_lo, exec_lo, s34
	s_and_saveexec_b32 s34, s25
	s_cbranch_execnz .LBB84_907
.LBB84_837:                             ;   in Loop: Header=BB84_722 Depth=2
	s_or_b32 exec_lo, exec_lo, s34
	s_and_saveexec_b32 s34, s26
	s_cbranch_execnz .LBB84_908
.LBB84_838:                             ;   in Loop: Header=BB84_722 Depth=2
	s_or_b32 exec_lo, exec_lo, s34
	s_and_saveexec_b32 s34, s27
	s_cbranch_execnz .LBB84_909
.LBB84_839:                             ;   in Loop: Header=BB84_722 Depth=2
	s_or_b32 exec_lo, exec_lo, s34
	s_and_saveexec_b32 s34, s28
	s_cbranch_execnz .LBB84_910
.LBB84_840:                             ;   in Loop: Header=BB84_722 Depth=2
	s_or_b32 exec_lo, exec_lo, s34
	s_and_saveexec_b32 s34, s29
	s_cbranch_execnz .LBB84_911
.LBB84_841:                             ;   in Loop: Header=BB84_722 Depth=2
	s_or_b32 exec_lo, exec_lo, s34
	s_and_saveexec_b32 s34, s30
	s_cbranch_execnz .LBB84_912
.LBB84_842:                             ;   in Loop: Header=BB84_722 Depth=2
	s_or_b32 exec_lo, exec_lo, s34
	s_and_saveexec_b32 s34, s31
	s_cbranch_execnz .LBB84_913
.LBB84_843:                             ;   in Loop: Header=BB84_722 Depth=2
	s_or_b32 exec_lo, exec_lo, s34
	s_and_saveexec_b32 s34, s33
	s_cbranch_execz .LBB84_845
.LBB84_844:                             ;   in Loop: Header=BB84_722 Depth=2
	ds_load_u8 v62, v2 offset:4608
	s_wait_dscnt 0x0
	v_lshrrev_b32_e32 v62, s49, v62
	s_delay_alu instid0(VALU_DEP_1)
	v_and_b32_e32 v115, s48, v62
.LBB84_845:                             ;   in Loop: Header=BB84_722 Depth=2
	s_or_b32 exec_lo, exec_lo, s34
	v_lshlrev_b32_e32 v62, 3, v156
	v_lshlrev_b32_e32 v63, 3, v152
	s_wait_loadcnt 0x0
	s_wait_storecnt 0x0
	s_barrier_signal -1
	s_barrier_wait -1
	ds_store_b64 v62, v[60:61] offset:512
	ds_store_b64 v63, v[58:59] offset:512
	v_dual_lshlrev_b32 v62, 3, v151 :: v_dual_lshlrev_b32 v63, 3, v150
	v_dual_lshlrev_b32 v137, 3, v149 :: v_dual_lshlrev_b32 v138, 3, v148
	v_lshlrev_b32_e32 v142, 3, v146
	ds_store_b64 v62, v[56:57] offset:512
	ds_store_b64 v63, v[54:55] offset:512
	ds_store_b64 v137, v[52:53] offset:512
	ds_store_b64 v138, v[50:51] offset:512
	ds_store_b64 v142, v[48:49] offset:512
	v_dual_lshlrev_b32 v62, 3, v145 :: v_dual_lshlrev_b32 v63, 3, v144
	v_dual_lshlrev_b32 v137, 3, v143 :: v_dual_lshlrev_b32 v138, 3, v141
	v_lshlrev_b32_e32 v140, 3, v140
	ds_store_b64 v62, v[46:47] offset:512
	ds_store_b64 v63, v[44:45] offset:512
	ds_store_b64 v137, v[42:43] offset:512
	;; [unrolled: 8-line block ×3, first 2 shown]
	ds_store_b64 v65, v[30:31] offset:512
	ds_store_b64 v64, v[28:29] offset:512
	s_wait_dscnt 0x0
	s_barrier_signal -1
	s_barrier_wait -1
	s_and_saveexec_b32 s34, vcc_lo
	s_cbranch_execnz .LBB84_914
; %bb.846:                              ;   in Loop: Header=BB84_722 Depth=2
	s_or_b32 exec_lo, exec_lo, s34
	s_and_saveexec_b32 s34, s17
	s_cbranch_execnz .LBB84_915
.LBB84_847:                             ;   in Loop: Header=BB84_722 Depth=2
	s_or_b32 exec_lo, exec_lo, s34
	s_and_saveexec_b32 s17, s18
	s_cbranch_execnz .LBB84_916
.LBB84_848:                             ;   in Loop: Header=BB84_722 Depth=2
	s_or_b32 exec_lo, exec_lo, s17
	s_and_saveexec_b32 s17, s19
	s_cbranch_execnz .LBB84_917
.LBB84_849:                             ;   in Loop: Header=BB84_722 Depth=2
	s_or_b32 exec_lo, exec_lo, s17
	s_and_saveexec_b32 s17, s20
	s_cbranch_execnz .LBB84_918
.LBB84_850:                             ;   in Loop: Header=BB84_722 Depth=2
	s_or_b32 exec_lo, exec_lo, s17
	s_and_saveexec_b32 s17, s21
	s_cbranch_execnz .LBB84_919
.LBB84_851:                             ;   in Loop: Header=BB84_722 Depth=2
	s_or_b32 exec_lo, exec_lo, s17
	s_and_saveexec_b32 s17, s22
	s_cbranch_execnz .LBB84_920
.LBB84_852:                             ;   in Loop: Header=BB84_722 Depth=2
	s_or_b32 exec_lo, exec_lo, s17
	s_and_saveexec_b32 s17, s23
	s_cbranch_execnz .LBB84_921
.LBB84_853:                             ;   in Loop: Header=BB84_722 Depth=2
	s_or_b32 exec_lo, exec_lo, s17
	s_and_saveexec_b32 s17, s24
	s_cbranch_execnz .LBB84_922
.LBB84_854:                             ;   in Loop: Header=BB84_722 Depth=2
	s_or_b32 exec_lo, exec_lo, s17
	s_and_saveexec_b32 s17, s25
	s_cbranch_execnz .LBB84_923
.LBB84_855:                             ;   in Loop: Header=BB84_722 Depth=2
	s_or_b32 exec_lo, exec_lo, s17
	s_and_saveexec_b32 s17, s26
	s_cbranch_execnz .LBB84_924
.LBB84_856:                             ;   in Loop: Header=BB84_722 Depth=2
	s_or_b32 exec_lo, exec_lo, s17
	s_and_saveexec_b32 s17, s27
	s_cbranch_execnz .LBB84_925
.LBB84_857:                             ;   in Loop: Header=BB84_722 Depth=2
	s_or_b32 exec_lo, exec_lo, s17
	s_and_saveexec_b32 s17, s28
	s_cbranch_execnz .LBB84_926
.LBB84_858:                             ;   in Loop: Header=BB84_722 Depth=2
	s_or_b32 exec_lo, exec_lo, s17
	s_and_saveexec_b32 s17, s29
	s_cbranch_execnz .LBB84_927
.LBB84_859:                             ;   in Loop: Header=BB84_722 Depth=2
	s_or_b32 exec_lo, exec_lo, s17
	s_and_saveexec_b32 s17, s30
	s_cbranch_execnz .LBB84_928
.LBB84_860:                             ;   in Loop: Header=BB84_722 Depth=2
	s_or_b32 exec_lo, exec_lo, s17
	s_and_saveexec_b32 s17, s31
	s_cbranch_execnz .LBB84_929
.LBB84_861:                             ;   in Loop: Header=BB84_722 Depth=2
	s_or_b32 exec_lo, exec_lo, s17
	s_and_saveexec_b32 s17, s33
	s_cbranch_execz .LBB84_863
.LBB84_862:                             ;   in Loop: Header=BB84_722 Depth=2
	v_lshlrev_b32_e32 v62, 2, v115
	v_add_nc_u32_e32 v63, v2, v95
	ds_load_b32 v64, v62
	ds_load_b64 v[62:63], v63 offset:33280
	s_wait_dscnt 0x1
	v_add_nc_u32_e32 v64, v64, v82
	s_wait_dscnt 0x0
	global_store_b64 v64, v[62:63], s[44:45] scale_offset
.LBB84_863:                             ;   in Loop: Header=BB84_722 Depth=2
	s_wait_xcnt 0x0
	s_or_b32 exec_lo, exec_lo, s17
	s_wait_storecnt 0x0
	s_barrier_signal -1
	s_barrier_wait -1
	s_and_saveexec_b32 s17, s0
	s_cbranch_execz .LBB84_721
; %bb.864:                              ;   in Loop: Header=BB84_722 Depth=2
	ds_load_b32 v62, v66
	s_wait_dscnt 0x0
	v_add3_u32 v62, v133, v134, v62
	ds_store_b32 v66, v62
	s_branch .LBB84_721
.LBB84_865:                             ;   in Loop: Header=BB84_722 Depth=2
	ds_load_u8 v62, v2 offset:512
	s_wait_dscnt 0x0
	v_and_b32_e32 v63, 0xff, v62
	s_delay_alu instid0(VALU_DEP_1) | instskip(NEXT) | instid1(VALU_DEP_1)
	v_dual_lshrrev_b32 v63, s49, v63 :: v_dual_bitop2_b32 v62, -1, v62 bitop3:0x14
	v_and_b32_e32 v63, s48, v63
	s_delay_alu instid0(VALU_DEP_1)
	v_lshlrev_b32_e32 v63, 2, v63
	ds_load_b32 v63, v63
	s_wait_dscnt 0x0
	v_add_nc_u32_e32 v63, v63, v2
	global_store_b8 v63, v62, s[38:39]
	s_wait_xcnt 0x0
	s_or_b32 exec_lo, exec_lo, s17
	v_cmp_lt_u32_e64 s17, v67, v137
	s_and_saveexec_b32 s18, s17
	s_cbranch_execz .LBB84_794
.LBB84_866:                             ;   in Loop: Header=BB84_722 Depth=2
	ds_load_u8 v62, v2 offset:768
	s_wait_dscnt 0x0
	v_and_b32_e32 v63, 0xff, v62
	s_delay_alu instid0(VALU_DEP_1) | instskip(NEXT) | instid1(VALU_DEP_1)
	v_dual_lshrrev_b32 v63, s49, v63 :: v_dual_bitop2_b32 v62, -1, v62 bitop3:0x14
	v_and_b32_e32 v63, s48, v63
	s_delay_alu instid0(VALU_DEP_1)
	v_lshlrev_b32_e32 v63, 2, v63
	ds_load_b32 v63, v63
	s_wait_dscnt 0x0
	v_add_nc_u32_e32 v63, v63, v67
	global_store_b8 v63, v62, s[38:39]
	s_wait_xcnt 0x0
	s_or_b32 exec_lo, exec_lo, s18
	v_cmp_lt_u32_e64 s18, v68, v137
	s_and_saveexec_b32 s19, s18
	s_cbranch_execz .LBB84_795
.LBB84_867:                             ;   in Loop: Header=BB84_722 Depth=2
	ds_load_u8 v62, v2 offset:1024
	s_wait_dscnt 0x0
	v_and_b32_e32 v63, 0xff, v62
	s_delay_alu instid0(VALU_DEP_1) | instskip(NEXT) | instid1(VALU_DEP_1)
	v_dual_lshrrev_b32 v63, s49, v63 :: v_dual_bitop2_b32 v62, -1, v62 bitop3:0x14
	v_and_b32_e32 v63, s48, v63
	s_delay_alu instid0(VALU_DEP_1)
	v_lshlrev_b32_e32 v63, 2, v63
	ds_load_b32 v63, v63
	s_wait_dscnt 0x0
	v_add_nc_u32_e32 v63, v63, v68
	global_store_b8 v63, v62, s[38:39]
	s_wait_xcnt 0x0
	s_or_b32 exec_lo, exec_lo, s19
	v_cmp_lt_u32_e64 s19, v69, v137
	s_and_saveexec_b32 s20, s19
	s_cbranch_execz .LBB84_796
.LBB84_868:                             ;   in Loop: Header=BB84_722 Depth=2
	ds_load_u8 v62, v2 offset:1280
	s_wait_dscnt 0x0
	v_and_b32_e32 v63, 0xff, v62
	s_delay_alu instid0(VALU_DEP_1) | instskip(NEXT) | instid1(VALU_DEP_1)
	v_dual_lshrrev_b32 v63, s49, v63 :: v_dual_bitop2_b32 v62, -1, v62 bitop3:0x14
	v_and_b32_e32 v63, s48, v63
	s_delay_alu instid0(VALU_DEP_1)
	v_lshlrev_b32_e32 v63, 2, v63
	ds_load_b32 v63, v63
	s_wait_dscnt 0x0
	v_add_nc_u32_e32 v63, v63, v69
	global_store_b8 v63, v62, s[38:39]
	s_wait_xcnt 0x0
	s_or_b32 exec_lo, exec_lo, s20
	v_cmp_lt_u32_e64 s20, v70, v137
	s_and_saveexec_b32 s21, s20
	s_cbranch_execz .LBB84_797
.LBB84_869:                             ;   in Loop: Header=BB84_722 Depth=2
	ds_load_u8 v62, v2 offset:1536
	s_wait_dscnt 0x0
	v_and_b32_e32 v63, 0xff, v62
	s_delay_alu instid0(VALU_DEP_1) | instskip(NEXT) | instid1(VALU_DEP_1)
	v_dual_lshrrev_b32 v63, s49, v63 :: v_dual_bitop2_b32 v62, -1, v62 bitop3:0x14
	v_and_b32_e32 v63, s48, v63
	s_delay_alu instid0(VALU_DEP_1)
	v_lshlrev_b32_e32 v63, 2, v63
	ds_load_b32 v63, v63
	s_wait_dscnt 0x0
	v_add_nc_u32_e32 v63, v63, v70
	global_store_b8 v63, v62, s[38:39]
	s_wait_xcnt 0x0
	s_or_b32 exec_lo, exec_lo, s21
	v_cmp_lt_u32_e64 s21, v71, v137
	s_and_saveexec_b32 s22, s21
	s_cbranch_execz .LBB84_798
.LBB84_870:                             ;   in Loop: Header=BB84_722 Depth=2
	ds_load_u8 v62, v2 offset:1792
	s_wait_dscnt 0x0
	v_and_b32_e32 v63, 0xff, v62
	s_delay_alu instid0(VALU_DEP_1) | instskip(NEXT) | instid1(VALU_DEP_1)
	v_dual_lshrrev_b32 v63, s49, v63 :: v_dual_bitop2_b32 v62, -1, v62 bitop3:0x14
	v_and_b32_e32 v63, s48, v63
	s_delay_alu instid0(VALU_DEP_1)
	v_lshlrev_b32_e32 v63, 2, v63
	ds_load_b32 v63, v63
	s_wait_dscnt 0x0
	v_add_nc_u32_e32 v63, v63, v71
	global_store_b8 v63, v62, s[38:39]
	s_wait_xcnt 0x0
	s_or_b32 exec_lo, exec_lo, s22
	v_cmp_lt_u32_e64 s22, v72, v137
	s_and_saveexec_b32 s23, s22
	s_cbranch_execz .LBB84_799
.LBB84_871:                             ;   in Loop: Header=BB84_722 Depth=2
	ds_load_u8 v62, v2 offset:2048
	s_wait_dscnt 0x0
	v_and_b32_e32 v63, 0xff, v62
	s_delay_alu instid0(VALU_DEP_1) | instskip(NEXT) | instid1(VALU_DEP_1)
	v_dual_lshrrev_b32 v63, s49, v63 :: v_dual_bitop2_b32 v62, -1, v62 bitop3:0x14
	v_and_b32_e32 v63, s48, v63
	s_delay_alu instid0(VALU_DEP_1)
	v_lshlrev_b32_e32 v63, 2, v63
	ds_load_b32 v63, v63
	s_wait_dscnt 0x0
	v_add_nc_u32_e32 v63, v63, v72
	global_store_b8 v63, v62, s[38:39]
	s_wait_xcnt 0x0
	s_or_b32 exec_lo, exec_lo, s23
	v_cmp_lt_u32_e64 s23, v73, v137
	s_and_saveexec_b32 s24, s23
	s_cbranch_execz .LBB84_800
.LBB84_872:                             ;   in Loop: Header=BB84_722 Depth=2
	ds_load_u8 v62, v2 offset:2304
	s_wait_dscnt 0x0
	v_and_b32_e32 v63, 0xff, v62
	s_delay_alu instid0(VALU_DEP_1) | instskip(NEXT) | instid1(VALU_DEP_1)
	v_dual_lshrrev_b32 v63, s49, v63 :: v_dual_bitop2_b32 v62, -1, v62 bitop3:0x14
	v_and_b32_e32 v63, s48, v63
	s_delay_alu instid0(VALU_DEP_1)
	v_lshlrev_b32_e32 v63, 2, v63
	ds_load_b32 v63, v63
	s_wait_dscnt 0x0
	v_add_nc_u32_e32 v63, v63, v73
	global_store_b8 v63, v62, s[38:39]
	s_wait_xcnt 0x0
	s_or_b32 exec_lo, exec_lo, s24
	v_cmp_lt_u32_e64 s24, v74, v137
	s_and_saveexec_b32 s25, s24
	s_cbranch_execz .LBB84_801
.LBB84_873:                             ;   in Loop: Header=BB84_722 Depth=2
	ds_load_u8 v62, v2 offset:2560
	s_wait_dscnt 0x0
	v_and_b32_e32 v63, 0xff, v62
	s_delay_alu instid0(VALU_DEP_1) | instskip(NEXT) | instid1(VALU_DEP_1)
	v_dual_lshrrev_b32 v63, s49, v63 :: v_dual_bitop2_b32 v62, -1, v62 bitop3:0x14
	v_and_b32_e32 v63, s48, v63
	s_delay_alu instid0(VALU_DEP_1)
	v_lshlrev_b32_e32 v63, 2, v63
	ds_load_b32 v63, v63
	s_wait_dscnt 0x0
	v_add_nc_u32_e32 v63, v63, v74
	global_store_b8 v63, v62, s[38:39]
	s_wait_xcnt 0x0
	s_or_b32 exec_lo, exec_lo, s25
	v_cmp_lt_u32_e64 s25, v75, v137
	s_and_saveexec_b32 s26, s25
	s_cbranch_execz .LBB84_802
.LBB84_874:                             ;   in Loop: Header=BB84_722 Depth=2
	ds_load_u8 v62, v2 offset:2816
	s_wait_dscnt 0x0
	v_and_b32_e32 v63, 0xff, v62
	s_delay_alu instid0(VALU_DEP_1) | instskip(NEXT) | instid1(VALU_DEP_1)
	v_dual_lshrrev_b32 v63, s49, v63 :: v_dual_bitop2_b32 v62, -1, v62 bitop3:0x14
	v_and_b32_e32 v63, s48, v63
	s_delay_alu instid0(VALU_DEP_1)
	v_lshlrev_b32_e32 v63, 2, v63
	ds_load_b32 v63, v63
	s_wait_dscnt 0x0
	v_add_nc_u32_e32 v63, v63, v75
	global_store_b8 v63, v62, s[38:39]
	s_wait_xcnt 0x0
	s_or_b32 exec_lo, exec_lo, s26
	v_cmp_lt_u32_e64 s26, v76, v137
	s_and_saveexec_b32 s27, s26
	s_cbranch_execz .LBB84_803
.LBB84_875:                             ;   in Loop: Header=BB84_722 Depth=2
	ds_load_u8 v62, v2 offset:3072
	s_wait_dscnt 0x0
	v_and_b32_e32 v63, 0xff, v62
	s_delay_alu instid0(VALU_DEP_1) | instskip(NEXT) | instid1(VALU_DEP_1)
	v_dual_lshrrev_b32 v63, s49, v63 :: v_dual_bitop2_b32 v62, -1, v62 bitop3:0x14
	v_and_b32_e32 v63, s48, v63
	s_delay_alu instid0(VALU_DEP_1)
	v_lshlrev_b32_e32 v63, 2, v63
	ds_load_b32 v63, v63
	s_wait_dscnt 0x0
	v_add_nc_u32_e32 v63, v63, v76
	global_store_b8 v63, v62, s[38:39]
	s_wait_xcnt 0x0
	s_or_b32 exec_lo, exec_lo, s27
	v_cmp_lt_u32_e64 s27, v77, v137
	s_and_saveexec_b32 s28, s27
	s_cbranch_execz .LBB84_804
.LBB84_876:                             ;   in Loop: Header=BB84_722 Depth=2
	ds_load_u8 v62, v2 offset:3328
	s_wait_dscnt 0x0
	v_and_b32_e32 v63, 0xff, v62
	s_delay_alu instid0(VALU_DEP_1) | instskip(NEXT) | instid1(VALU_DEP_1)
	v_dual_lshrrev_b32 v63, s49, v63 :: v_dual_bitop2_b32 v62, -1, v62 bitop3:0x14
	v_and_b32_e32 v63, s48, v63
	s_delay_alu instid0(VALU_DEP_1)
	v_lshlrev_b32_e32 v63, 2, v63
	ds_load_b32 v63, v63
	s_wait_dscnt 0x0
	v_add_nc_u32_e32 v63, v63, v77
	global_store_b8 v63, v62, s[38:39]
	s_wait_xcnt 0x0
	s_or_b32 exec_lo, exec_lo, s28
	v_cmp_lt_u32_e64 s28, v78, v137
	s_and_saveexec_b32 s29, s28
	s_cbranch_execz .LBB84_805
.LBB84_877:                             ;   in Loop: Header=BB84_722 Depth=2
	ds_load_u8 v62, v2 offset:3584
	s_wait_dscnt 0x0
	v_and_b32_e32 v63, 0xff, v62
	s_delay_alu instid0(VALU_DEP_1) | instskip(NEXT) | instid1(VALU_DEP_1)
	v_dual_lshrrev_b32 v63, s49, v63 :: v_dual_bitop2_b32 v62, -1, v62 bitop3:0x14
	v_and_b32_e32 v63, s48, v63
	s_delay_alu instid0(VALU_DEP_1)
	v_lshlrev_b32_e32 v63, 2, v63
	ds_load_b32 v63, v63
	s_wait_dscnt 0x0
	v_add_nc_u32_e32 v63, v63, v78
	global_store_b8 v63, v62, s[38:39]
	s_wait_xcnt 0x0
	s_or_b32 exec_lo, exec_lo, s29
	v_cmp_lt_u32_e64 s29, v79, v137
	s_and_saveexec_b32 s30, s29
	s_cbranch_execz .LBB84_806
.LBB84_878:                             ;   in Loop: Header=BB84_722 Depth=2
	ds_load_u8 v62, v2 offset:3840
	s_wait_dscnt 0x0
	v_and_b32_e32 v63, 0xff, v62
	s_delay_alu instid0(VALU_DEP_1) | instskip(NEXT) | instid1(VALU_DEP_1)
	v_dual_lshrrev_b32 v63, s49, v63 :: v_dual_bitop2_b32 v62, -1, v62 bitop3:0x14
	v_and_b32_e32 v63, s48, v63
	s_delay_alu instid0(VALU_DEP_1)
	v_lshlrev_b32_e32 v63, 2, v63
	ds_load_b32 v63, v63
	s_wait_dscnt 0x0
	v_add_nc_u32_e32 v63, v63, v79
	global_store_b8 v63, v62, s[38:39]
	s_wait_xcnt 0x0
	s_or_b32 exec_lo, exec_lo, s30
	v_cmp_lt_u32_e64 s30, v80, v137
	s_and_saveexec_b32 s31, s30
	s_cbranch_execz .LBB84_807
.LBB84_879:                             ;   in Loop: Header=BB84_722 Depth=2
	ds_load_u8 v62, v2 offset:4096
	s_wait_dscnt 0x0
	v_and_b32_e32 v63, 0xff, v62
	s_delay_alu instid0(VALU_DEP_1) | instskip(NEXT) | instid1(VALU_DEP_1)
	v_dual_lshrrev_b32 v63, s49, v63 :: v_dual_bitop2_b32 v62, -1, v62 bitop3:0x14
	v_and_b32_e32 v63, s48, v63
	s_delay_alu instid0(VALU_DEP_1)
	v_lshlrev_b32_e32 v63, 2, v63
	ds_load_b32 v63, v63
	s_wait_dscnt 0x0
	v_add_nc_u32_e32 v63, v63, v80
	global_store_b8 v63, v62, s[38:39]
	s_wait_xcnt 0x0
	s_or_b32 exec_lo, exec_lo, s31
	v_cmp_lt_u32_e64 s31, v81, v137
	s_and_saveexec_b32 s33, s31
	s_cbranch_execz .LBB84_808
.LBB84_880:                             ;   in Loop: Header=BB84_722 Depth=2
	ds_load_u8 v62, v2 offset:4352
	s_wait_dscnt 0x0
	v_and_b32_e32 v63, 0xff, v62
	s_delay_alu instid0(VALU_DEP_1) | instskip(NEXT) | instid1(VALU_DEP_1)
	v_dual_lshrrev_b32 v63, s49, v63 :: v_dual_bitop2_b32 v62, -1, v62 bitop3:0x14
	v_and_b32_e32 v63, s48, v63
	s_delay_alu instid0(VALU_DEP_1)
	v_lshlrev_b32_e32 v63, 2, v63
	ds_load_b32 v63, v63
	s_wait_dscnt 0x0
	v_add_nc_u32_e32 v63, v63, v81
	global_store_b8 v63, v62, s[38:39]
	s_wait_xcnt 0x0
	s_or_b32 exec_lo, exec_lo, s33
	v_cmp_lt_u32_e64 s33, v82, v137
	s_and_saveexec_b32 s60, s33
	s_cbranch_execnz .LBB84_809
	s_branch .LBB84_810
.LBB84_881:                             ;   in Loop: Header=BB84_722 Depth=2
	global_load_b64 v[60:61], v[62:63], off
	s_wait_xcnt 0x0
	s_or_b32 exec_lo, exec_lo, s34
	s_delay_alu instid0(SALU_CYCLE_1)
	s_mov_b32 s60, exec_lo
	v_cmpx_lt_u32_e64 v98, v137
	s_cbranch_execz .LBB84_812
.LBB84_882:                             ;   in Loop: Header=BB84_722 Depth=2
	global_load_b64 v[58:59], v[62:63], off offset:256
	s_wait_xcnt 0x0
	s_or_b32 exec_lo, exec_lo, s60
	s_delay_alu instid0(SALU_CYCLE_1)
	s_mov_b32 s60, exec_lo
	v_cmpx_lt_u32_e64 v99, v137
	s_cbranch_execz .LBB84_813
.LBB84_883:                             ;   in Loop: Header=BB84_722 Depth=2
	global_load_b64 v[56:57], v[62:63], off offset:512
	s_wait_xcnt 0x0
	s_or_b32 exec_lo, exec_lo, s60
	s_delay_alu instid0(SALU_CYCLE_1)
	s_mov_b32 s60, exec_lo
	v_cmpx_lt_u32_e64 v100, v137
	s_cbranch_execz .LBB84_814
.LBB84_884:                             ;   in Loop: Header=BB84_722 Depth=2
	global_load_b64 v[54:55], v[62:63], off offset:768
	s_wait_xcnt 0x0
	s_or_b32 exec_lo, exec_lo, s60
	s_delay_alu instid0(SALU_CYCLE_1)
	s_mov_b32 s60, exec_lo
	v_cmpx_lt_u32_e64 v101, v137
	s_cbranch_execz .LBB84_815
.LBB84_885:                             ;   in Loop: Header=BB84_722 Depth=2
	global_load_b64 v[52:53], v[62:63], off offset:1024
	s_wait_xcnt 0x0
	s_or_b32 exec_lo, exec_lo, s60
	s_delay_alu instid0(SALU_CYCLE_1)
	s_mov_b32 s60, exec_lo
	v_cmpx_lt_u32_e64 v102, v137
	s_cbranch_execz .LBB84_816
.LBB84_886:                             ;   in Loop: Header=BB84_722 Depth=2
	global_load_b64 v[50:51], v[62:63], off offset:1280
	s_wait_xcnt 0x0
	s_or_b32 exec_lo, exec_lo, s60
	s_delay_alu instid0(SALU_CYCLE_1)
	s_mov_b32 s60, exec_lo
	v_cmpx_lt_u32_e64 v103, v137
	s_cbranch_execz .LBB84_817
.LBB84_887:                             ;   in Loop: Header=BB84_722 Depth=2
	global_load_b64 v[48:49], v[62:63], off offset:1536
	s_wait_xcnt 0x0
	s_or_b32 exec_lo, exec_lo, s60
	s_delay_alu instid0(SALU_CYCLE_1)
	s_mov_b32 s60, exec_lo
	v_cmpx_lt_u32_e64 v104, v137
	s_cbranch_execz .LBB84_818
.LBB84_888:                             ;   in Loop: Header=BB84_722 Depth=2
	global_load_b64 v[46:47], v[62:63], off offset:1792
	s_wait_xcnt 0x0
	s_or_b32 exec_lo, exec_lo, s60
	s_delay_alu instid0(SALU_CYCLE_1)
	s_mov_b32 s60, exec_lo
	v_cmpx_lt_u32_e64 v105, v137
	s_cbranch_execz .LBB84_819
.LBB84_889:                             ;   in Loop: Header=BB84_722 Depth=2
	global_load_b64 v[44:45], v[62:63], off offset:2048
	s_wait_xcnt 0x0
	s_or_b32 exec_lo, exec_lo, s60
	s_delay_alu instid0(SALU_CYCLE_1)
	s_mov_b32 s60, exec_lo
	v_cmpx_lt_u32_e64 v106, v137
	s_cbranch_execz .LBB84_820
.LBB84_890:                             ;   in Loop: Header=BB84_722 Depth=2
	global_load_b64 v[42:43], v[62:63], off offset:2304
	s_wait_xcnt 0x0
	s_or_b32 exec_lo, exec_lo, s60
	s_delay_alu instid0(SALU_CYCLE_1)
	s_mov_b32 s60, exec_lo
	v_cmpx_lt_u32_e64 v107, v137
	s_cbranch_execz .LBB84_821
.LBB84_891:                             ;   in Loop: Header=BB84_722 Depth=2
	global_load_b64 v[40:41], v[62:63], off offset:2560
	s_wait_xcnt 0x0
	s_or_b32 exec_lo, exec_lo, s60
	s_delay_alu instid0(SALU_CYCLE_1)
	s_mov_b32 s60, exec_lo
	v_cmpx_lt_u32_e64 v108, v137
	s_cbranch_execz .LBB84_822
.LBB84_892:                             ;   in Loop: Header=BB84_722 Depth=2
	global_load_b64 v[38:39], v[62:63], off offset:2816
	s_wait_xcnt 0x0
	s_or_b32 exec_lo, exec_lo, s60
	s_delay_alu instid0(SALU_CYCLE_1)
	s_mov_b32 s60, exec_lo
	v_cmpx_lt_u32_e64 v109, v137
	s_cbranch_execz .LBB84_823
.LBB84_893:                             ;   in Loop: Header=BB84_722 Depth=2
	global_load_b64 v[36:37], v[62:63], off offset:3072
	s_wait_xcnt 0x0
	s_or_b32 exec_lo, exec_lo, s60
	s_delay_alu instid0(SALU_CYCLE_1)
	s_mov_b32 s60, exec_lo
	v_cmpx_lt_u32_e64 v110, v137
	s_cbranch_execz .LBB84_824
.LBB84_894:                             ;   in Loop: Header=BB84_722 Depth=2
	global_load_b64 v[34:35], v[62:63], off offset:3328
	s_wait_xcnt 0x0
	s_or_b32 exec_lo, exec_lo, s60
	s_delay_alu instid0(SALU_CYCLE_1)
	s_mov_b32 s60, exec_lo
	v_cmpx_lt_u32_e64 v111, v137
	s_cbranch_execz .LBB84_825
.LBB84_895:                             ;   in Loop: Header=BB84_722 Depth=2
	global_load_b64 v[32:33], v[62:63], off offset:3584
	s_wait_xcnt 0x0
	s_or_b32 exec_lo, exec_lo, s60
	s_delay_alu instid0(SALU_CYCLE_1)
	s_mov_b32 s60, exec_lo
	v_cmpx_lt_u32_e64 v112, v137
	s_cbranch_execz .LBB84_826
.LBB84_896:                             ;   in Loop: Header=BB84_722 Depth=2
	global_load_b64 v[30:31], v[62:63], off offset:3840
	s_wait_xcnt 0x0
	s_or_b32 exec_lo, exec_lo, s60
	s_delay_alu instid0(SALU_CYCLE_1)
	s_mov_b32 s60, exec_lo
	v_cmpx_lt_u32_e64 v113, v137
	s_cbranch_execz .LBB84_827
.LBB84_897:                             ;   in Loop: Header=BB84_722 Depth=2
	global_load_b64 v[28:29], v[62:63], off offset:4096
	s_wait_xcnt 0x0
	s_or_b32 exec_lo, exec_lo, s60
	s_and_saveexec_b32 s34, vcc_lo
	s_cbranch_execz .LBB84_828
.LBB84_898:                             ;   in Loop: Header=BB84_722 Depth=2
	ds_load_u8 v62, v2 offset:512
	s_wait_dscnt 0x0
	v_lshrrev_b32_e32 v62, s49, v62
	s_delay_alu instid0(VALU_DEP_1)
	v_and_b32_e32 v132, s48, v62
	s_or_b32 exec_lo, exec_lo, s34
	s_and_saveexec_b32 s34, s17
	s_cbranch_execz .LBB84_829
.LBB84_899:                             ;   in Loop: Header=BB84_722 Depth=2
	ds_load_u8 v62, v2 offset:768
	s_wait_dscnt 0x0
	v_lshrrev_b32_e32 v62, s49, v62
	s_delay_alu instid0(VALU_DEP_1)
	v_and_b32_e32 v131, s48, v62
	s_or_b32 exec_lo, exec_lo, s34
	s_and_saveexec_b32 s34, s18
	s_cbranch_execz .LBB84_830
.LBB84_900:                             ;   in Loop: Header=BB84_722 Depth=2
	ds_load_u8 v62, v2 offset:1024
	s_wait_dscnt 0x0
	v_lshrrev_b32_e32 v62, s49, v62
	s_delay_alu instid0(VALU_DEP_1)
	v_and_b32_e32 v130, s48, v62
	s_or_b32 exec_lo, exec_lo, s34
	s_and_saveexec_b32 s34, s19
	s_cbranch_execz .LBB84_831
.LBB84_901:                             ;   in Loop: Header=BB84_722 Depth=2
	ds_load_u8 v62, v2 offset:1280
	s_wait_dscnt 0x0
	v_lshrrev_b32_e32 v62, s49, v62
	s_delay_alu instid0(VALU_DEP_1)
	v_and_b32_e32 v129, s48, v62
	s_or_b32 exec_lo, exec_lo, s34
	s_and_saveexec_b32 s34, s20
	s_cbranch_execz .LBB84_832
.LBB84_902:                             ;   in Loop: Header=BB84_722 Depth=2
	ds_load_u8 v62, v2 offset:1536
	s_wait_dscnt 0x0
	v_lshrrev_b32_e32 v62, s49, v62
	s_delay_alu instid0(VALU_DEP_1)
	v_and_b32_e32 v128, s48, v62
	s_or_b32 exec_lo, exec_lo, s34
	s_and_saveexec_b32 s34, s21
	s_cbranch_execz .LBB84_833
.LBB84_903:                             ;   in Loop: Header=BB84_722 Depth=2
	ds_load_u8 v62, v2 offset:1792
	s_wait_dscnt 0x0
	v_lshrrev_b32_e32 v62, s49, v62
	s_delay_alu instid0(VALU_DEP_1)
	v_and_b32_e32 v127, s48, v62
	s_or_b32 exec_lo, exec_lo, s34
	s_and_saveexec_b32 s34, s22
	s_cbranch_execz .LBB84_834
.LBB84_904:                             ;   in Loop: Header=BB84_722 Depth=2
	ds_load_u8 v62, v2 offset:2048
	s_wait_dscnt 0x0
	v_lshrrev_b32_e32 v62, s49, v62
	s_delay_alu instid0(VALU_DEP_1)
	v_and_b32_e32 v126, s48, v62
	s_or_b32 exec_lo, exec_lo, s34
	s_and_saveexec_b32 s34, s23
	s_cbranch_execz .LBB84_835
.LBB84_905:                             ;   in Loop: Header=BB84_722 Depth=2
	ds_load_u8 v62, v2 offset:2304
	s_wait_dscnt 0x0
	v_lshrrev_b32_e32 v62, s49, v62
	s_delay_alu instid0(VALU_DEP_1)
	v_and_b32_e32 v125, s48, v62
	s_or_b32 exec_lo, exec_lo, s34
	s_and_saveexec_b32 s34, s24
	s_cbranch_execz .LBB84_836
.LBB84_906:                             ;   in Loop: Header=BB84_722 Depth=2
	ds_load_u8 v62, v2 offset:2560
	s_wait_dscnt 0x0
	v_lshrrev_b32_e32 v62, s49, v62
	s_delay_alu instid0(VALU_DEP_1)
	v_and_b32_e32 v124, s48, v62
	s_or_b32 exec_lo, exec_lo, s34
	s_and_saveexec_b32 s34, s25
	s_cbranch_execz .LBB84_837
.LBB84_907:                             ;   in Loop: Header=BB84_722 Depth=2
	ds_load_u8 v62, v2 offset:2816
	s_wait_dscnt 0x0
	v_lshrrev_b32_e32 v62, s49, v62
	s_delay_alu instid0(VALU_DEP_1)
	v_and_b32_e32 v123, s48, v62
	s_or_b32 exec_lo, exec_lo, s34
	s_and_saveexec_b32 s34, s26
	s_cbranch_execz .LBB84_838
.LBB84_908:                             ;   in Loop: Header=BB84_722 Depth=2
	ds_load_u8 v62, v2 offset:3072
	s_wait_dscnt 0x0
	v_lshrrev_b32_e32 v62, s49, v62
	s_delay_alu instid0(VALU_DEP_1)
	v_and_b32_e32 v122, s48, v62
	s_or_b32 exec_lo, exec_lo, s34
	s_and_saveexec_b32 s34, s27
	s_cbranch_execz .LBB84_839
.LBB84_909:                             ;   in Loop: Header=BB84_722 Depth=2
	ds_load_u8 v62, v2 offset:3328
	s_wait_dscnt 0x0
	v_lshrrev_b32_e32 v62, s49, v62
	s_delay_alu instid0(VALU_DEP_1)
	v_and_b32_e32 v120, s48, v62
	s_or_b32 exec_lo, exec_lo, s34
	s_and_saveexec_b32 s34, s28
	s_cbranch_execz .LBB84_840
.LBB84_910:                             ;   in Loop: Header=BB84_722 Depth=2
	ds_load_u8 v62, v2 offset:3584
	s_wait_dscnt 0x0
	v_lshrrev_b32_e32 v62, s49, v62
	s_delay_alu instid0(VALU_DEP_1)
	v_and_b32_e32 v119, s48, v62
	s_or_b32 exec_lo, exec_lo, s34
	s_and_saveexec_b32 s34, s29
	s_cbranch_execz .LBB84_841
.LBB84_911:                             ;   in Loop: Header=BB84_722 Depth=2
	ds_load_u8 v62, v2 offset:3840
	s_wait_dscnt 0x0
	v_lshrrev_b32_e32 v62, s49, v62
	s_delay_alu instid0(VALU_DEP_1)
	v_and_b32_e32 v118, s48, v62
	s_or_b32 exec_lo, exec_lo, s34
	s_and_saveexec_b32 s34, s30
	s_cbranch_execz .LBB84_842
.LBB84_912:                             ;   in Loop: Header=BB84_722 Depth=2
	ds_load_u8 v62, v2 offset:4096
	s_wait_dscnt 0x0
	v_lshrrev_b32_e32 v62, s49, v62
	s_delay_alu instid0(VALU_DEP_1)
	v_and_b32_e32 v117, s48, v62
	s_or_b32 exec_lo, exec_lo, s34
	s_and_saveexec_b32 s34, s31
	s_cbranch_execz .LBB84_843
.LBB84_913:                             ;   in Loop: Header=BB84_722 Depth=2
	ds_load_u8 v62, v2 offset:4352
	s_wait_dscnt 0x0
	v_lshrrev_b32_e32 v62, s49, v62
	s_delay_alu instid0(VALU_DEP_1)
	v_and_b32_e32 v116, s48, v62
	s_or_b32 exec_lo, exec_lo, s34
	s_and_saveexec_b32 s34, s33
	s_cbranch_execnz .LBB84_844
	s_branch .LBB84_845
.LBB84_914:                             ;   in Loop: Header=BB84_722 Depth=2
	v_dual_lshlrev_b32 v62, 2, v132 :: v_dual_add_nc_u32 v63, v2, v95
	ds_load_b32 v64, v62
	ds_load_b64 v[62:63], v63 offset:512
	s_wait_dscnt 0x1
	v_add_nc_u32_e32 v64, v64, v2
	s_wait_dscnt 0x0
	global_store_b64 v64, v[62:63], s[44:45] scale_offset
	s_wait_xcnt 0x0
	s_or_b32 exec_lo, exec_lo, s34
	s_and_saveexec_b32 s34, s17
	s_cbranch_execz .LBB84_847
.LBB84_915:                             ;   in Loop: Header=BB84_722 Depth=2
	v_lshlrev_b32_e32 v62, 2, v131
	v_add_nc_u32_e32 v63, v2, v95
	ds_load_b32 v64, v62
	ds_load_b64 v[62:63], v63 offset:2560
	s_wait_dscnt 0x1
	v_add_nc_u32_e32 v64, v64, v67
	s_wait_dscnt 0x0
	global_store_b64 v64, v[62:63], s[44:45] scale_offset
	s_wait_xcnt 0x0
	s_or_b32 exec_lo, exec_lo, s34
	s_and_saveexec_b32 s17, s18
	s_cbranch_execz .LBB84_848
.LBB84_916:                             ;   in Loop: Header=BB84_722 Depth=2
	v_dual_lshlrev_b32 v62, 2, v130 :: v_dual_add_nc_u32 v63, v2, v95
	ds_load_b32 v64, v62
	ds_load_b64 v[62:63], v63 offset:4608
	s_wait_dscnt 0x1
	v_add_nc_u32_e32 v64, v64, v68
	s_wait_dscnt 0x0
	global_store_b64 v64, v[62:63], s[44:45] scale_offset
	s_wait_xcnt 0x0
	s_or_b32 exec_lo, exec_lo, s17
	s_and_saveexec_b32 s17, s19
	s_cbranch_execz .LBB84_849
.LBB84_917:                             ;   in Loop: Header=BB84_722 Depth=2
	v_dual_lshlrev_b32 v62, 2, v129 :: v_dual_add_nc_u32 v63, v2, v95
	ds_load_b32 v64, v62
	ds_load_b64 v[62:63], v63 offset:6656
	s_wait_dscnt 0x1
	v_add_nc_u32_e32 v64, v64, v69
	s_wait_dscnt 0x0
	global_store_b64 v64, v[62:63], s[44:45] scale_offset
	s_wait_xcnt 0x0
	s_or_b32 exec_lo, exec_lo, s17
	s_and_saveexec_b32 s17, s20
	s_cbranch_execz .LBB84_850
.LBB84_918:                             ;   in Loop: Header=BB84_722 Depth=2
	v_dual_lshlrev_b32 v62, 2, v128 :: v_dual_add_nc_u32 v63, v2, v95
	ds_load_b32 v64, v62
	ds_load_b64 v[62:63], v63 offset:8704
	s_wait_dscnt 0x1
	v_add_nc_u32_e32 v64, v64, v70
	s_wait_dscnt 0x0
	global_store_b64 v64, v[62:63], s[44:45] scale_offset
	s_wait_xcnt 0x0
	s_or_b32 exec_lo, exec_lo, s17
	s_and_saveexec_b32 s17, s21
	s_cbranch_execz .LBB84_851
.LBB84_919:                             ;   in Loop: Header=BB84_722 Depth=2
	v_lshlrev_b32_e32 v62, 2, v127
	v_add_nc_u32_e32 v63, v2, v95
	ds_load_b32 v64, v62
	ds_load_b64 v[62:63], v63 offset:10752
	s_wait_dscnt 0x1
	v_add_nc_u32_e32 v64, v64, v71
	s_wait_dscnt 0x0
	global_store_b64 v64, v[62:63], s[44:45] scale_offset
	s_wait_xcnt 0x0
	s_or_b32 exec_lo, exec_lo, s17
	s_and_saveexec_b32 s17, s22
	s_cbranch_execz .LBB84_852
.LBB84_920:                             ;   in Loop: Header=BB84_722 Depth=2
	v_dual_lshlrev_b32 v62, 2, v126 :: v_dual_add_nc_u32 v63, v2, v95
	ds_load_b32 v64, v62
	ds_load_b64 v[62:63], v63 offset:12800
	s_wait_dscnt 0x1
	v_add_nc_u32_e32 v64, v64, v72
	s_wait_dscnt 0x0
	global_store_b64 v64, v[62:63], s[44:45] scale_offset
	s_wait_xcnt 0x0
	s_or_b32 exec_lo, exec_lo, s17
	s_and_saveexec_b32 s17, s23
	s_cbranch_execz .LBB84_853
.LBB84_921:                             ;   in Loop: Header=BB84_722 Depth=2
	v_dual_lshlrev_b32 v62, 2, v125 :: v_dual_add_nc_u32 v63, v2, v95
	ds_load_b32 v64, v62
	ds_load_b64 v[62:63], v63 offset:14848
	s_wait_dscnt 0x1
	v_add_nc_u32_e32 v64, v64, v73
	s_wait_dscnt 0x0
	global_store_b64 v64, v[62:63], s[44:45] scale_offset
	s_wait_xcnt 0x0
	s_or_b32 exec_lo, exec_lo, s17
	s_and_saveexec_b32 s17, s24
	s_cbranch_execz .LBB84_854
.LBB84_922:                             ;   in Loop: Header=BB84_722 Depth=2
	v_dual_lshlrev_b32 v62, 2, v124 :: v_dual_add_nc_u32 v63, v2, v95
	ds_load_b32 v64, v62
	ds_load_b64 v[62:63], v63 offset:16896
	s_wait_dscnt 0x1
	v_add_nc_u32_e32 v64, v64, v74
	s_wait_dscnt 0x0
	global_store_b64 v64, v[62:63], s[44:45] scale_offset
	s_wait_xcnt 0x0
	s_or_b32 exec_lo, exec_lo, s17
	s_and_saveexec_b32 s17, s25
	s_cbranch_execz .LBB84_855
.LBB84_923:                             ;   in Loop: Header=BB84_722 Depth=2
	v_lshlrev_b32_e32 v62, 2, v123
	v_add_nc_u32_e32 v63, v2, v95
	ds_load_b32 v64, v62
	ds_load_b64 v[62:63], v63 offset:18944
	s_wait_dscnt 0x1
	v_add_nc_u32_e32 v64, v64, v75
	s_wait_dscnt 0x0
	global_store_b64 v64, v[62:63], s[44:45] scale_offset
	s_wait_xcnt 0x0
	s_or_b32 exec_lo, exec_lo, s17
	s_and_saveexec_b32 s17, s26
	s_cbranch_execz .LBB84_856
.LBB84_924:                             ;   in Loop: Header=BB84_722 Depth=2
	v_dual_lshlrev_b32 v62, 2, v122 :: v_dual_add_nc_u32 v63, v2, v95
	ds_load_b32 v64, v62
	ds_load_b64 v[62:63], v63 offset:20992
	s_wait_dscnt 0x1
	v_add_nc_u32_e32 v64, v64, v76
	s_wait_dscnt 0x0
	global_store_b64 v64, v[62:63], s[44:45] scale_offset
	s_wait_xcnt 0x0
	s_or_b32 exec_lo, exec_lo, s17
	s_and_saveexec_b32 s17, s27
	s_cbranch_execz .LBB84_857
.LBB84_925:                             ;   in Loop: Header=BB84_722 Depth=2
	v_dual_lshlrev_b32 v62, 2, v120 :: v_dual_add_nc_u32 v63, v2, v95
	ds_load_b32 v64, v62
	ds_load_b64 v[62:63], v63 offset:23040
	s_wait_dscnt 0x1
	v_add_nc_u32_e32 v64, v64, v77
	s_wait_dscnt 0x0
	global_store_b64 v64, v[62:63], s[44:45] scale_offset
	s_wait_xcnt 0x0
	s_or_b32 exec_lo, exec_lo, s17
	s_and_saveexec_b32 s17, s28
	s_cbranch_execz .LBB84_858
.LBB84_926:                             ;   in Loop: Header=BB84_722 Depth=2
	v_lshlrev_b32_e32 v62, 2, v119
	v_add_nc_u32_e32 v63, v2, v95
	ds_load_b32 v64, v62
	ds_load_b64 v[62:63], v63 offset:25088
	s_wait_dscnt 0x1
	v_add_nc_u32_e32 v64, v64, v78
	s_wait_dscnt 0x0
	global_store_b64 v64, v[62:63], s[44:45] scale_offset
	s_wait_xcnt 0x0
	s_or_b32 exec_lo, exec_lo, s17
	s_and_saveexec_b32 s17, s29
	s_cbranch_execz .LBB84_859
.LBB84_927:                             ;   in Loop: Header=BB84_722 Depth=2
	v_dual_lshlrev_b32 v62, 2, v118 :: v_dual_add_nc_u32 v63, v2, v95
	ds_load_b32 v64, v62
	ds_load_b64 v[62:63], v63 offset:27136
	s_wait_dscnt 0x1
	v_add_nc_u32_e32 v64, v64, v79
	s_wait_dscnt 0x0
	global_store_b64 v64, v[62:63], s[44:45] scale_offset
	s_wait_xcnt 0x0
	s_or_b32 exec_lo, exec_lo, s17
	s_and_saveexec_b32 s17, s30
	s_cbranch_execz .LBB84_860
.LBB84_928:                             ;   in Loop: Header=BB84_722 Depth=2
	v_dual_lshlrev_b32 v62, 2, v117 :: v_dual_add_nc_u32 v63, v2, v95
	ds_load_b32 v64, v62
	ds_load_b64 v[62:63], v63 offset:29184
	s_wait_dscnt 0x1
	v_add_nc_u32_e32 v64, v64, v80
	s_wait_dscnt 0x0
	global_store_b64 v64, v[62:63], s[44:45] scale_offset
	s_wait_xcnt 0x0
	s_or_b32 exec_lo, exec_lo, s17
	s_and_saveexec_b32 s17, s31
	s_cbranch_execz .LBB84_861
.LBB84_929:                             ;   in Loop: Header=BB84_722 Depth=2
	v_dual_lshlrev_b32 v62, 2, v116 :: v_dual_add_nc_u32 v63, v2, v95
	ds_load_b32 v64, v62
	ds_load_b64 v[62:63], v63 offset:31232
	s_wait_dscnt 0x1
	v_add_nc_u32_e32 v64, v64, v81
	s_wait_dscnt 0x0
	global_store_b64 v64, v[62:63], s[44:45] scale_offset
	s_wait_xcnt 0x0
	s_or_b32 exec_lo, exec_lo, s17
	s_and_saveexec_b32 s17, s33
	s_cbranch_execnz .LBB84_862
	s_branch .LBB84_863
.LBB84_930:                             ;   in Loop: Header=BB84_722 Depth=2
	global_load_u8 v151, v[62:63], off offset:32
	s_wait_xcnt 0x0
	s_or_b32 exec_lo, exec_lo, s17
	s_delay_alu instid0(SALU_CYCLE_1)
	s_mov_b32 s17, exec_lo
	v_cmpx_gt_u32_e64 s58, v99
	s_cbranch_execz .LBB84_729
.LBB84_931:                             ;   in Loop: Header=BB84_722 Depth=2
	global_load_u8 v148, v[62:63], off offset:64
	s_wait_xcnt 0x0
	s_or_b32 exec_lo, exec_lo, s17
	s_delay_alu instid0(SALU_CYCLE_1)
	s_mov_b32 s17, exec_lo
	v_cmpx_gt_u32_e64 s58, v100
	s_cbranch_execz .LBB84_730
.LBB84_932:                             ;   in Loop: Header=BB84_722 Depth=2
	global_load_u8 v150, v[62:63], off offset:96
	s_wait_xcnt 0x0
	s_or_b32 exec_lo, exec_lo, s17
	s_delay_alu instid0(SALU_CYCLE_1)
	s_mov_b32 s17, exec_lo
	v_cmpx_gt_u32_e64 s58, v101
	s_cbranch_execz .LBB84_731
.LBB84_933:                             ;   in Loop: Header=BB84_722 Depth=2
	global_load_u8 v142, v[62:63], off offset:128
	s_wait_xcnt 0x0
	s_or_b32 exec_lo, exec_lo, s17
	s_delay_alu instid0(SALU_CYCLE_1)
	s_mov_b32 s17, exec_lo
	v_cmpx_gt_u32_e64 s58, v102
	s_cbranch_execz .LBB84_732
.LBB84_934:                             ;   in Loop: Header=BB84_722 Depth=2
	global_load_u8 v144, v[62:63], off offset:160
	s_wait_xcnt 0x0
	s_or_b32 exec_lo, exec_lo, s17
	s_delay_alu instid0(SALU_CYCLE_1)
	s_mov_b32 s17, exec_lo
	v_cmpx_gt_u32_e64 s58, v103
	s_cbranch_execz .LBB84_733
.LBB84_935:                             ;   in Loop: Header=BB84_722 Depth=2
	global_load_u8 v143, v[62:63], off offset:192
	s_wait_xcnt 0x0
	s_or_b32 exec_lo, exec_lo, s17
	s_delay_alu instid0(SALU_CYCLE_1)
	s_mov_b32 s17, exec_lo
	v_cmpx_gt_u32_e64 s58, v104
	s_cbranch_execz .LBB84_734
.LBB84_936:                             ;   in Loop: Header=BB84_722 Depth=2
	global_load_u8 v145, v[62:63], off offset:224
	s_wait_xcnt 0x0
	s_or_b32 exec_lo, exec_lo, s17
	s_delay_alu instid0(SALU_CYCLE_1)
	s_mov_b32 s17, exec_lo
	v_cmpx_gt_u32_e64 s58, v105
	s_cbranch_execz .LBB84_735
.LBB84_937:                             ;   in Loop: Header=BB84_722 Depth=2
	global_load_u8 v138, v[62:63], off offset:256
	s_wait_xcnt 0x0
	s_or_b32 exec_lo, exec_lo, s17
	s_delay_alu instid0(SALU_CYCLE_1)
	s_mov_b32 s17, exec_lo
	v_cmpx_gt_u32_e64 s58, v106
	s_cbranch_execz .LBB84_736
.LBB84_938:                             ;   in Loop: Header=BB84_722 Depth=2
	global_load_u8 v140, v[62:63], off offset:288
	s_wait_xcnt 0x0
	s_or_b32 exec_lo, exec_lo, s17
	s_delay_alu instid0(SALU_CYCLE_1)
	s_mov_b32 s17, exec_lo
	v_cmpx_gt_u32_e64 s58, v107
	s_cbranch_execz .LBB84_737
.LBB84_939:                             ;   in Loop: Header=BB84_722 Depth=2
	global_load_u8 v139, v[62:63], off offset:320
	s_wait_xcnt 0x0
	s_or_b32 exec_lo, exec_lo, s17
	s_delay_alu instid0(SALU_CYCLE_1)
	s_mov_b32 s17, exec_lo
	v_cmpx_gt_u32_e64 s58, v108
	s_cbranch_execz .LBB84_738
.LBB84_940:                             ;   in Loop: Header=BB84_722 Depth=2
	global_load_u8 v141, v[62:63], off offset:352
	s_wait_xcnt 0x0
	s_or_b32 exec_lo, exec_lo, s17
	s_delay_alu instid0(SALU_CYCLE_1)
	s_mov_b32 s17, exec_lo
	v_cmpx_gt_u32_e64 s58, v109
	s_cbranch_execz .LBB84_739
.LBB84_941:                             ;   in Loop: Header=BB84_722 Depth=2
	global_load_u8 v64, v[62:63], off offset:384
	s_wait_xcnt 0x0
	s_or_b32 exec_lo, exec_lo, s17
	s_delay_alu instid0(SALU_CYCLE_1)
	s_mov_b32 s17, exec_lo
	v_cmpx_gt_u32_e64 s58, v110
	s_cbranch_execz .LBB84_740
.LBB84_942:                             ;   in Loop: Header=BB84_722 Depth=2
	global_load_u8 v135, v[62:63], off offset:416
	s_wait_xcnt 0x0
	s_or_b32 exec_lo, exec_lo, s17
	s_delay_alu instid0(SALU_CYCLE_1)
	s_mov_b32 s17, exec_lo
	v_cmpx_gt_u32_e64 s58, v111
	s_cbranch_execz .LBB84_741
.LBB84_943:                             ;   in Loop: Header=BB84_722 Depth=2
	global_load_u8 v65, v[62:63], off offset:448
	s_wait_xcnt 0x0
	s_or_b32 exec_lo, exec_lo, s17
	s_delay_alu instid0(SALU_CYCLE_1)
	s_mov_b32 s17, exec_lo
	v_cmpx_gt_u32_e64 s58, v112
	s_cbranch_execnz .LBB84_742
	s_branch .LBB84_743
.LBB84_944:                             ;   in Loop: Header=BB84_12 Depth=1
	s_wait_dscnt 0x0
	s_barrier_signal -1
	s_mov_b32 s8, 0
	s_barrier_wait -1
.LBB84_945:                             ;   in Loop: Header=BB84_12 Depth=1
	s_and_b32 vcc_lo, exec_lo, s8
	s_cbranch_vccz .LBB84_11
; %bb.946:                              ;   in Loop: Header=BB84_12 Depth=1
	v_dual_mov_b32 v39, 0 :: v_dual_mov_b32 v42, 0
	v_dual_mov_b32 v41, 0 :: v_dual_mov_b32 v40, 0
	;; [unrolled: 1-line block ×8, first 2 shown]
	v_mov_b32_e32 v26, 0
	s_mov_b32 s8, s57
	s_mov_b32 s34, s55
	s_barrier_signal -1
	s_barrier_wait -1
	s_branch .LBB84_948
.LBB84_947:                             ;   in Loop: Header=BB84_948 Depth=2
	s_or_b32 exec_lo, exec_lo, s10
	s_addk_co_i32 s8, 0xef00
	s_cmp_ge_u32 s9, s54
	s_mov_b32 s34, s9
	s_cbranch_scc1 .LBB84_1020
.LBB84_948:                             ;   Parent Loop BB84_12 Depth=1
                                        ; =>  This Inner Loop Header: Depth=2
	s_add_co_i32 s9, s34, 0x1100
	s_mov_b32 s10, -1
	s_cmp_gt_u32 s9, s54
                                        ; implicit-def: $vgpr24
                                        ; implicit-def: $vgpr25
                                        ; implicit-def: $vgpr43
                                        ; implicit-def: $vgpr44
                                        ; implicit-def: $vgpr45
                                        ; implicit-def: $vgpr46
                                        ; implicit-def: $vgpr47
                                        ; implicit-def: $vgpr48
                                        ; implicit-def: $vgpr49
                                        ; implicit-def: $vgpr50
                                        ; implicit-def: $vgpr51
                                        ; implicit-def: $vgpr52
                                        ; implicit-def: $vgpr53
                                        ; implicit-def: $vgpr54
                                        ; implicit-def: $vgpr55
                                        ; implicit-def: $vgpr56
                                        ; implicit-def: $vgpr57
	s_cbranch_scc1 .LBB84_950
; %bb.949:                              ;   in Loop: Header=BB84_948 Depth=2
	v_add_nc_u64_e32 v[58:59], s[34:35], v[18:19]
	s_mov_b32 s10, 0
	s_clause 0x10
	global_load_u8 v57, v[58:59], off offset:4096
	global_load_u8 v56, v[58:59], off offset:3840
	;; [unrolled: 1-line block ×16, first 2 shown]
	global_load_u8 v24, v[58:59], off
.LBB84_950:                             ;   in Loop: Header=BB84_948 Depth=2
	s_and_not1_b32 vcc_lo, exec_lo, s10
	s_movk_i32 s10, 0x1100
	s_cbranch_vccnz .LBB84_970
; %bb.951:                              ;   in Loop: Header=BB84_948 Depth=2
	s_add_nc_u64 s[10:11], s[36:37], s[34:35]
	s_wait_loadcnt 0x0
	v_add_nc_u64_e32 v[24:25], s[10:11], v[2:3]
	s_mov_b32 s10, exec_lo
	s_wait_xcnt 0x0
	v_cmpx_gt_u32_e64 s8, v2
	s_cbranch_execnz .LBB84_1004
; %bb.952:                              ;   in Loop: Header=BB84_948 Depth=2
	s_or_b32 exec_lo, exec_lo, s10
	s_delay_alu instid0(SALU_CYCLE_1)
	s_mov_b32 s10, exec_lo
	v_cmpx_gt_u32_e64 s8, v67
	s_cbranch_execnz .LBB84_1005
.LBB84_953:                             ;   in Loop: Header=BB84_948 Depth=2
	s_or_b32 exec_lo, exec_lo, s10
	s_delay_alu instid0(SALU_CYCLE_1)
	s_mov_b32 s10, exec_lo
	v_cmpx_gt_u32_e64 s8, v68
	s_cbranch_execnz .LBB84_1006
.LBB84_954:                             ;   in Loop: Header=BB84_948 Depth=2
	s_or_b32 exec_lo, exec_lo, s10
	s_delay_alu instid0(SALU_CYCLE_1)
	s_mov_b32 s10, exec_lo
	v_cmpx_gt_u32_e64 s8, v69
	s_cbranch_execnz .LBB84_1007
.LBB84_955:                             ;   in Loop: Header=BB84_948 Depth=2
	s_or_b32 exec_lo, exec_lo, s10
	s_delay_alu instid0(SALU_CYCLE_1)
	s_mov_b32 s10, exec_lo
	v_cmpx_gt_u32_e64 s8, v70
	s_cbranch_execnz .LBB84_1008
.LBB84_956:                             ;   in Loop: Header=BB84_948 Depth=2
	s_or_b32 exec_lo, exec_lo, s10
	s_delay_alu instid0(SALU_CYCLE_1)
	s_mov_b32 s10, exec_lo
	v_cmpx_gt_u32_e64 s8, v71
	s_cbranch_execnz .LBB84_1009
.LBB84_957:                             ;   in Loop: Header=BB84_948 Depth=2
	s_or_b32 exec_lo, exec_lo, s10
	s_delay_alu instid0(SALU_CYCLE_1)
	s_mov_b32 s10, exec_lo
	v_cmpx_gt_u32_e64 s8, v72
	s_cbranch_execnz .LBB84_1010
.LBB84_958:                             ;   in Loop: Header=BB84_948 Depth=2
	s_or_b32 exec_lo, exec_lo, s10
	s_delay_alu instid0(SALU_CYCLE_1)
	s_mov_b32 s10, exec_lo
	v_cmpx_gt_u32_e64 s8, v73
	s_cbranch_execnz .LBB84_1011
.LBB84_959:                             ;   in Loop: Header=BB84_948 Depth=2
	s_or_b32 exec_lo, exec_lo, s10
	s_delay_alu instid0(SALU_CYCLE_1)
	s_mov_b32 s10, exec_lo
	v_cmpx_gt_u32_e64 s8, v74
	s_cbranch_execnz .LBB84_1012
.LBB84_960:                             ;   in Loop: Header=BB84_948 Depth=2
	s_or_b32 exec_lo, exec_lo, s10
	s_delay_alu instid0(SALU_CYCLE_1)
	s_mov_b32 s10, exec_lo
	v_cmpx_gt_u32_e64 s8, v75
	s_cbranch_execnz .LBB84_1013
.LBB84_961:                             ;   in Loop: Header=BB84_948 Depth=2
	s_or_b32 exec_lo, exec_lo, s10
	s_delay_alu instid0(SALU_CYCLE_1)
	s_mov_b32 s10, exec_lo
	v_cmpx_gt_u32_e64 s8, v76
	s_cbranch_execnz .LBB84_1014
.LBB84_962:                             ;   in Loop: Header=BB84_948 Depth=2
	s_or_b32 exec_lo, exec_lo, s10
	s_delay_alu instid0(SALU_CYCLE_1)
	s_mov_b32 s10, exec_lo
	v_cmpx_gt_u32_e64 s8, v77
	s_cbranch_execnz .LBB84_1015
.LBB84_963:                             ;   in Loop: Header=BB84_948 Depth=2
	s_or_b32 exec_lo, exec_lo, s10
	s_delay_alu instid0(SALU_CYCLE_1)
	s_mov_b32 s10, exec_lo
	v_cmpx_gt_u32_e64 s8, v78
	s_cbranch_execnz .LBB84_1016
.LBB84_964:                             ;   in Loop: Header=BB84_948 Depth=2
	s_or_b32 exec_lo, exec_lo, s10
	s_delay_alu instid0(SALU_CYCLE_1)
	s_mov_b32 s10, exec_lo
	v_cmpx_gt_u32_e64 s8, v79
	s_cbranch_execnz .LBB84_1017
.LBB84_965:                             ;   in Loop: Header=BB84_948 Depth=2
	s_or_b32 exec_lo, exec_lo, s10
	s_delay_alu instid0(SALU_CYCLE_1)
	s_mov_b32 s10, exec_lo
	v_cmpx_gt_u32_e64 s8, v80
	s_cbranch_execnz .LBB84_1018
.LBB84_966:                             ;   in Loop: Header=BB84_948 Depth=2
	s_or_b32 exec_lo, exec_lo, s10
	s_delay_alu instid0(SALU_CYCLE_1)
	s_mov_b32 s10, exec_lo
	v_cmpx_gt_u32_e64 s8, v81
	s_cbranch_execnz .LBB84_1019
.LBB84_967:                             ;   in Loop: Header=BB84_948 Depth=2
	s_or_b32 exec_lo, exec_lo, s10
	s_delay_alu instid0(SALU_CYCLE_1)
	s_mov_b32 s10, exec_lo
	v_cmpx_gt_u32_e64 s8, v82
	s_cbranch_execz .LBB84_969
.LBB84_968:                             ;   in Loop: Header=BB84_948 Depth=2
	global_load_u8 v26, v[24:25], off offset:4096
.LBB84_969:                             ;   in Loop: Header=BB84_948 Depth=2
	s_wait_xcnt 0x0
	s_or_b32 exec_lo, exec_lo, s10
	s_wait_loadcnt 0x0
	v_dual_mov_b32 v24, v39 :: v_dual_mov_b32 v25, v42
	v_dual_mov_b32 v43, v41 :: v_dual_mov_b32 v44, v40
	;; [unrolled: 1-line block ×8, first 2 shown]
	v_mov_b32_e32 v57, v26
	s_mov_b32 s10, s8
.LBB84_970:                             ;   in Loop: Header=BB84_948 Depth=2
	s_wait_loadcnt 0xf
	s_delay_alu instid0(VALU_DEP_1)
	v_dual_mov_b32 v26, v57 :: v_dual_mov_b32 v27, v56
	s_wait_loadcnt 0xd
	v_dual_mov_b32 v28, v55 :: v_dual_mov_b32 v29, v54
	s_wait_loadcnt 0xb
	;; [unrolled: 2-line block ×8, first 2 shown]
	v_mov_b32_e32 v39, v24
	s_mov_b32 s11, exec_lo
	s_wait_xcnt 0x0
	v_cmpx_gt_u32_e64 s10, v2
	s_cbranch_execnz .LBB84_987
; %bb.971:                              ;   in Loop: Header=BB84_948 Depth=2
	s_or_b32 exec_lo, exec_lo, s11
	s_delay_alu instid0(SALU_CYCLE_1)
	s_mov_b32 s11, exec_lo
	v_cmpx_gt_u32_e64 s10, v67
	s_cbranch_execnz .LBB84_988
.LBB84_972:                             ;   in Loop: Header=BB84_948 Depth=2
	s_or_b32 exec_lo, exec_lo, s11
	s_delay_alu instid0(SALU_CYCLE_1)
	s_mov_b32 s11, exec_lo
	v_cmpx_gt_u32_e64 s10, v68
	s_cbranch_execnz .LBB84_989
.LBB84_973:                             ;   in Loop: Header=BB84_948 Depth=2
	s_or_b32 exec_lo, exec_lo, s11
	s_delay_alu instid0(SALU_CYCLE_1)
	s_mov_b32 s11, exec_lo
	v_cmpx_gt_u32_e64 s10, v69
	s_cbranch_execnz .LBB84_990
.LBB84_974:                             ;   in Loop: Header=BB84_948 Depth=2
	s_or_b32 exec_lo, exec_lo, s11
	s_delay_alu instid0(SALU_CYCLE_1)
	s_mov_b32 s11, exec_lo
	v_cmpx_gt_u32_e64 s10, v70
	s_cbranch_execnz .LBB84_991
.LBB84_975:                             ;   in Loop: Header=BB84_948 Depth=2
	s_or_b32 exec_lo, exec_lo, s11
	s_delay_alu instid0(SALU_CYCLE_1)
	s_mov_b32 s11, exec_lo
	v_cmpx_gt_u32_e64 s10, v71
	s_cbranch_execnz .LBB84_992
.LBB84_976:                             ;   in Loop: Header=BB84_948 Depth=2
	s_or_b32 exec_lo, exec_lo, s11
	s_delay_alu instid0(SALU_CYCLE_1)
	s_mov_b32 s11, exec_lo
	v_cmpx_gt_u32_e64 s10, v72
	s_cbranch_execnz .LBB84_993
.LBB84_977:                             ;   in Loop: Header=BB84_948 Depth=2
	s_or_b32 exec_lo, exec_lo, s11
	s_delay_alu instid0(SALU_CYCLE_1)
	s_mov_b32 s11, exec_lo
	v_cmpx_gt_u32_e64 s10, v73
	s_cbranch_execnz .LBB84_994
.LBB84_978:                             ;   in Loop: Header=BB84_948 Depth=2
	s_or_b32 exec_lo, exec_lo, s11
	s_delay_alu instid0(SALU_CYCLE_1)
	s_mov_b32 s11, exec_lo
	v_cmpx_gt_u32_e64 s10, v74
	s_cbranch_execnz .LBB84_995
.LBB84_979:                             ;   in Loop: Header=BB84_948 Depth=2
	s_or_b32 exec_lo, exec_lo, s11
	s_delay_alu instid0(SALU_CYCLE_1)
	s_mov_b32 s11, exec_lo
	v_cmpx_gt_u32_e64 s10, v75
	s_cbranch_execnz .LBB84_996
.LBB84_980:                             ;   in Loop: Header=BB84_948 Depth=2
	s_or_b32 exec_lo, exec_lo, s11
	s_delay_alu instid0(SALU_CYCLE_1)
	s_mov_b32 s11, exec_lo
	v_cmpx_gt_u32_e64 s10, v76
	s_cbranch_execnz .LBB84_997
.LBB84_981:                             ;   in Loop: Header=BB84_948 Depth=2
	s_or_b32 exec_lo, exec_lo, s11
	s_delay_alu instid0(SALU_CYCLE_1)
	s_mov_b32 s11, exec_lo
	v_cmpx_gt_u32_e64 s10, v77
	s_cbranch_execnz .LBB84_998
.LBB84_982:                             ;   in Loop: Header=BB84_948 Depth=2
	s_or_b32 exec_lo, exec_lo, s11
	s_delay_alu instid0(SALU_CYCLE_1)
	s_mov_b32 s11, exec_lo
	v_cmpx_gt_u32_e64 s10, v78
	s_cbranch_execnz .LBB84_999
.LBB84_983:                             ;   in Loop: Header=BB84_948 Depth=2
	s_or_b32 exec_lo, exec_lo, s11
	s_delay_alu instid0(SALU_CYCLE_1)
	s_mov_b32 s11, exec_lo
	v_cmpx_gt_u32_e64 s10, v79
	s_cbranch_execnz .LBB84_1000
.LBB84_984:                             ;   in Loop: Header=BB84_948 Depth=2
	s_or_b32 exec_lo, exec_lo, s11
	s_delay_alu instid0(SALU_CYCLE_1)
	s_mov_b32 s11, exec_lo
	v_cmpx_gt_u32_e64 s10, v80
	s_cbranch_execnz .LBB84_1001
.LBB84_985:                             ;   in Loop: Header=BB84_948 Depth=2
	s_or_b32 exec_lo, exec_lo, s11
	s_delay_alu instid0(SALU_CYCLE_1)
	s_mov_b32 s11, exec_lo
	v_cmpx_gt_u32_e64 s10, v81
	s_cbranch_execnz .LBB84_1002
.LBB84_986:                             ;   in Loop: Header=BB84_948 Depth=2
	s_or_b32 exec_lo, exec_lo, s11
	v_cmp_gt_u32_e32 vcc_lo, s10, v82
	s_and_saveexec_b32 s10, vcc_lo
	s_cbranch_execz .LBB84_947
	s_branch .LBB84_1003
.LBB84_987:                             ;   in Loop: Header=BB84_948 Depth=2
	v_xor_b32_e32 v24, -1, v39
	s_delay_alu instid0(VALU_DEP_1) | instskip(NEXT) | instid1(VALU_DEP_1)
	v_and_b32_e32 v24, 0xff, v24
	v_lshrrev_b32_e32 v24, s49, v24
	s_delay_alu instid0(VALU_DEP_1) | instskip(NEXT) | instid1(VALU_DEP_1)
	v_and_b32_e32 v24, s48, v24
	v_lshl_or_b32 v24, v24, 4, v84
	ds_add_u32 v24, v7
	s_or_b32 exec_lo, exec_lo, s11
	s_delay_alu instid0(SALU_CYCLE_1)
	s_mov_b32 s11, exec_lo
	v_cmpx_gt_u32_e64 s10, v67
	s_cbranch_execz .LBB84_972
.LBB84_988:                             ;   in Loop: Header=BB84_948 Depth=2
	v_xor_b32_e32 v24, -1, v42
	s_delay_alu instid0(VALU_DEP_1) | instskip(NEXT) | instid1(VALU_DEP_1)
	v_and_b32_e32 v24, 0xff, v24
	v_lshrrev_b32_e32 v24, s49, v24
	s_delay_alu instid0(VALU_DEP_1) | instskip(NEXT) | instid1(VALU_DEP_1)
	v_and_b32_e32 v24, s48, v24
	v_lshl_or_b32 v24, v24, 4, v84
	ds_add_u32 v24, v7
	s_or_b32 exec_lo, exec_lo, s11
	s_delay_alu instid0(SALU_CYCLE_1)
	s_mov_b32 s11, exec_lo
	v_cmpx_gt_u32_e64 s10, v68
	s_cbranch_execz .LBB84_973
.LBB84_989:                             ;   in Loop: Header=BB84_948 Depth=2
	v_xor_b32_e32 v24, -1, v41
	s_delay_alu instid0(VALU_DEP_1) | instskip(NEXT) | instid1(VALU_DEP_1)
	v_and_b32_e32 v24, 0xff, v24
	v_lshrrev_b32_e32 v24, s49, v24
	s_delay_alu instid0(VALU_DEP_1) | instskip(NEXT) | instid1(VALU_DEP_1)
	v_and_b32_e32 v24, s48, v24
	v_lshl_or_b32 v24, v24, 4, v84
	ds_add_u32 v24, v7
	s_or_b32 exec_lo, exec_lo, s11
	s_delay_alu instid0(SALU_CYCLE_1)
	s_mov_b32 s11, exec_lo
	v_cmpx_gt_u32_e64 s10, v69
	s_cbranch_execz .LBB84_974
.LBB84_990:                             ;   in Loop: Header=BB84_948 Depth=2
	v_xor_b32_e32 v24, -1, v40
	s_delay_alu instid0(VALU_DEP_1) | instskip(NEXT) | instid1(VALU_DEP_1)
	v_and_b32_e32 v24, 0xff, v24
	v_lshrrev_b32_e32 v24, s49, v24
	s_delay_alu instid0(VALU_DEP_1) | instskip(NEXT) | instid1(VALU_DEP_1)
	v_and_b32_e32 v24, s48, v24
	v_lshl_or_b32 v24, v24, 4, v84
	ds_add_u32 v24, v7
	s_or_b32 exec_lo, exec_lo, s11
	s_delay_alu instid0(SALU_CYCLE_1)
	s_mov_b32 s11, exec_lo
	v_cmpx_gt_u32_e64 s10, v70
	s_cbranch_execz .LBB84_975
.LBB84_991:                             ;   in Loop: Header=BB84_948 Depth=2
	v_xor_b32_e32 v24, -1, v38
	s_delay_alu instid0(VALU_DEP_1) | instskip(NEXT) | instid1(VALU_DEP_1)
	v_and_b32_e32 v24, 0xff, v24
	v_lshrrev_b32_e32 v24, s49, v24
	s_delay_alu instid0(VALU_DEP_1) | instskip(NEXT) | instid1(VALU_DEP_1)
	v_and_b32_e32 v24, s48, v24
	v_lshl_or_b32 v24, v24, 4, v84
	ds_add_u32 v24, v7
	s_or_b32 exec_lo, exec_lo, s11
	s_delay_alu instid0(SALU_CYCLE_1)
	s_mov_b32 s11, exec_lo
	v_cmpx_gt_u32_e64 s10, v71
	s_cbranch_execz .LBB84_976
.LBB84_992:                             ;   in Loop: Header=BB84_948 Depth=2
	v_xor_b32_e32 v24, -1, v37
	s_delay_alu instid0(VALU_DEP_1) | instskip(NEXT) | instid1(VALU_DEP_1)
	v_and_b32_e32 v24, 0xff, v24
	v_lshrrev_b32_e32 v24, s49, v24
	s_delay_alu instid0(VALU_DEP_1) | instskip(NEXT) | instid1(VALU_DEP_1)
	v_and_b32_e32 v24, s48, v24
	v_lshl_or_b32 v24, v24, 4, v84
	ds_add_u32 v24, v7
	s_or_b32 exec_lo, exec_lo, s11
	s_delay_alu instid0(SALU_CYCLE_1)
	s_mov_b32 s11, exec_lo
	v_cmpx_gt_u32_e64 s10, v72
	s_cbranch_execz .LBB84_977
.LBB84_993:                             ;   in Loop: Header=BB84_948 Depth=2
	v_xor_b32_e32 v24, -1, v36
	s_delay_alu instid0(VALU_DEP_1) | instskip(NEXT) | instid1(VALU_DEP_1)
	v_and_b32_e32 v24, 0xff, v24
	v_lshrrev_b32_e32 v24, s49, v24
	s_delay_alu instid0(VALU_DEP_1) | instskip(NEXT) | instid1(VALU_DEP_1)
	v_and_b32_e32 v24, s48, v24
	v_lshl_or_b32 v24, v24, 4, v84
	ds_add_u32 v24, v7
	s_or_b32 exec_lo, exec_lo, s11
	s_delay_alu instid0(SALU_CYCLE_1)
	s_mov_b32 s11, exec_lo
	v_cmpx_gt_u32_e64 s10, v73
	s_cbranch_execz .LBB84_978
.LBB84_994:                             ;   in Loop: Header=BB84_948 Depth=2
	v_xor_b32_e32 v24, -1, v35
	s_delay_alu instid0(VALU_DEP_1) | instskip(NEXT) | instid1(VALU_DEP_1)
	v_and_b32_e32 v24, 0xff, v24
	v_lshrrev_b32_e32 v24, s49, v24
	s_delay_alu instid0(VALU_DEP_1) | instskip(NEXT) | instid1(VALU_DEP_1)
	v_and_b32_e32 v24, s48, v24
	v_lshl_or_b32 v24, v24, 4, v84
	ds_add_u32 v24, v7
	s_or_b32 exec_lo, exec_lo, s11
	s_delay_alu instid0(SALU_CYCLE_1)
	s_mov_b32 s11, exec_lo
	v_cmpx_gt_u32_e64 s10, v74
	s_cbranch_execz .LBB84_979
.LBB84_995:                             ;   in Loop: Header=BB84_948 Depth=2
	v_xor_b32_e32 v24, -1, v34
	s_delay_alu instid0(VALU_DEP_1) | instskip(NEXT) | instid1(VALU_DEP_1)
	v_and_b32_e32 v24, 0xff, v24
	v_lshrrev_b32_e32 v24, s49, v24
	s_delay_alu instid0(VALU_DEP_1) | instskip(NEXT) | instid1(VALU_DEP_1)
	v_and_b32_e32 v24, s48, v24
	v_lshl_or_b32 v24, v24, 4, v84
	ds_add_u32 v24, v7
	s_or_b32 exec_lo, exec_lo, s11
	s_delay_alu instid0(SALU_CYCLE_1)
	s_mov_b32 s11, exec_lo
	v_cmpx_gt_u32_e64 s10, v75
	s_cbranch_execz .LBB84_980
.LBB84_996:                             ;   in Loop: Header=BB84_948 Depth=2
	v_xor_b32_e32 v24, -1, v33
	s_delay_alu instid0(VALU_DEP_1) | instskip(NEXT) | instid1(VALU_DEP_1)
	v_and_b32_e32 v24, 0xff, v24
	v_lshrrev_b32_e32 v24, s49, v24
	s_delay_alu instid0(VALU_DEP_1) | instskip(NEXT) | instid1(VALU_DEP_1)
	v_and_b32_e32 v24, s48, v24
	v_lshl_or_b32 v24, v24, 4, v84
	ds_add_u32 v24, v7
	s_or_b32 exec_lo, exec_lo, s11
	s_delay_alu instid0(SALU_CYCLE_1)
	s_mov_b32 s11, exec_lo
	v_cmpx_gt_u32_e64 s10, v76
	s_cbranch_execz .LBB84_981
.LBB84_997:                             ;   in Loop: Header=BB84_948 Depth=2
	v_xor_b32_e32 v24, -1, v32
	s_delay_alu instid0(VALU_DEP_1) | instskip(NEXT) | instid1(VALU_DEP_1)
	v_and_b32_e32 v24, 0xff, v24
	v_lshrrev_b32_e32 v24, s49, v24
	s_delay_alu instid0(VALU_DEP_1) | instskip(NEXT) | instid1(VALU_DEP_1)
	v_and_b32_e32 v24, s48, v24
	v_lshl_or_b32 v24, v24, 4, v84
	ds_add_u32 v24, v7
	s_or_b32 exec_lo, exec_lo, s11
	s_delay_alu instid0(SALU_CYCLE_1)
	s_mov_b32 s11, exec_lo
	v_cmpx_gt_u32_e64 s10, v77
	s_cbranch_execz .LBB84_982
.LBB84_998:                             ;   in Loop: Header=BB84_948 Depth=2
	v_xor_b32_e32 v24, -1, v31
	s_delay_alu instid0(VALU_DEP_1) | instskip(NEXT) | instid1(VALU_DEP_1)
	v_and_b32_e32 v24, 0xff, v24
	v_lshrrev_b32_e32 v24, s49, v24
	s_delay_alu instid0(VALU_DEP_1) | instskip(NEXT) | instid1(VALU_DEP_1)
	v_and_b32_e32 v24, s48, v24
	v_lshl_or_b32 v24, v24, 4, v84
	ds_add_u32 v24, v7
	s_or_b32 exec_lo, exec_lo, s11
	s_delay_alu instid0(SALU_CYCLE_1)
	s_mov_b32 s11, exec_lo
	v_cmpx_gt_u32_e64 s10, v78
	s_cbranch_execz .LBB84_983
.LBB84_999:                             ;   in Loop: Header=BB84_948 Depth=2
	v_xor_b32_e32 v24, -1, v30
	s_delay_alu instid0(VALU_DEP_1) | instskip(NEXT) | instid1(VALU_DEP_1)
	v_and_b32_e32 v24, 0xff, v24
	v_lshrrev_b32_e32 v24, s49, v24
	s_delay_alu instid0(VALU_DEP_1) | instskip(NEXT) | instid1(VALU_DEP_1)
	v_and_b32_e32 v24, s48, v24
	v_lshl_or_b32 v24, v24, 4, v84
	ds_add_u32 v24, v7
	s_or_b32 exec_lo, exec_lo, s11
	s_delay_alu instid0(SALU_CYCLE_1)
	s_mov_b32 s11, exec_lo
	v_cmpx_gt_u32_e64 s10, v79
	s_cbranch_execz .LBB84_984
.LBB84_1000:                            ;   in Loop: Header=BB84_948 Depth=2
	v_xor_b32_e32 v24, -1, v29
	s_delay_alu instid0(VALU_DEP_1) | instskip(NEXT) | instid1(VALU_DEP_1)
	v_and_b32_e32 v24, 0xff, v24
	v_lshrrev_b32_e32 v24, s49, v24
	s_delay_alu instid0(VALU_DEP_1) | instskip(NEXT) | instid1(VALU_DEP_1)
	v_and_b32_e32 v24, s48, v24
	v_lshl_or_b32 v24, v24, 4, v84
	ds_add_u32 v24, v7
	s_or_b32 exec_lo, exec_lo, s11
	s_delay_alu instid0(SALU_CYCLE_1)
	s_mov_b32 s11, exec_lo
	v_cmpx_gt_u32_e64 s10, v80
	s_cbranch_execz .LBB84_985
.LBB84_1001:                            ;   in Loop: Header=BB84_948 Depth=2
	v_xor_b32_e32 v24, -1, v28
	s_delay_alu instid0(VALU_DEP_1) | instskip(NEXT) | instid1(VALU_DEP_1)
	v_and_b32_e32 v24, 0xff, v24
	v_lshrrev_b32_e32 v24, s49, v24
	s_delay_alu instid0(VALU_DEP_1) | instskip(NEXT) | instid1(VALU_DEP_1)
	v_and_b32_e32 v24, s48, v24
	v_lshl_or_b32 v24, v24, 4, v84
	ds_add_u32 v24, v7
	s_or_b32 exec_lo, exec_lo, s11
	s_delay_alu instid0(SALU_CYCLE_1)
	s_mov_b32 s11, exec_lo
	v_cmpx_gt_u32_e64 s10, v81
	s_cbranch_execz .LBB84_986
.LBB84_1002:                            ;   in Loop: Header=BB84_948 Depth=2
	v_xor_b32_e32 v24, -1, v27
	s_delay_alu instid0(VALU_DEP_1) | instskip(NEXT) | instid1(VALU_DEP_1)
	v_and_b32_e32 v24, 0xff, v24
	v_lshrrev_b32_e32 v24, s49, v24
	s_delay_alu instid0(VALU_DEP_1) | instskip(NEXT) | instid1(VALU_DEP_1)
	v_and_b32_e32 v24, s48, v24
	v_lshl_or_b32 v24, v24, 4, v84
	ds_add_u32 v24, v7
	s_or_b32 exec_lo, exec_lo, s11
	v_cmp_gt_u32_e32 vcc_lo, s10, v82
	s_and_saveexec_b32 s10, vcc_lo
	s_cbranch_execz .LBB84_947
.LBB84_1003:                            ;   in Loop: Header=BB84_948 Depth=2
	v_xor_b32_e32 v24, -1, v26
	s_delay_alu instid0(VALU_DEP_1) | instskip(NEXT) | instid1(VALU_DEP_1)
	v_and_b32_e32 v24, 0xff, v24
	v_lshrrev_b32_e32 v24, s49, v24
	s_delay_alu instid0(VALU_DEP_1) | instskip(NEXT) | instid1(VALU_DEP_1)
	v_and_b32_e32 v24, s48, v24
	v_lshl_or_b32 v24, v24, 4, v84
	ds_add_u32 v24, v7
	s_branch .LBB84_947
.LBB84_1004:                            ;   in Loop: Header=BB84_948 Depth=2
	global_load_u8 v39, v[24:25], off
	s_wait_xcnt 0x0
	s_or_b32 exec_lo, exec_lo, s10
	s_delay_alu instid0(SALU_CYCLE_1)
	s_mov_b32 s10, exec_lo
	v_cmpx_gt_u32_e64 s8, v67
	s_cbranch_execz .LBB84_953
.LBB84_1005:                            ;   in Loop: Header=BB84_948 Depth=2
	global_load_u8 v42, v[24:25], off offset:256
	s_wait_xcnt 0x0
	s_or_b32 exec_lo, exec_lo, s10
	s_delay_alu instid0(SALU_CYCLE_1)
	s_mov_b32 s10, exec_lo
	v_cmpx_gt_u32_e64 s8, v68
	s_cbranch_execz .LBB84_954
.LBB84_1006:                            ;   in Loop: Header=BB84_948 Depth=2
	global_load_u8 v41, v[24:25], off offset:512
	s_wait_xcnt 0x0
	s_or_b32 exec_lo, exec_lo, s10
	s_delay_alu instid0(SALU_CYCLE_1)
	s_mov_b32 s10, exec_lo
	v_cmpx_gt_u32_e64 s8, v69
	s_cbranch_execz .LBB84_955
.LBB84_1007:                            ;   in Loop: Header=BB84_948 Depth=2
	global_load_u8 v40, v[24:25], off offset:768
	s_wait_xcnt 0x0
	s_or_b32 exec_lo, exec_lo, s10
	s_delay_alu instid0(SALU_CYCLE_1)
	s_mov_b32 s10, exec_lo
	v_cmpx_gt_u32_e64 s8, v70
	s_cbranch_execz .LBB84_956
.LBB84_1008:                            ;   in Loop: Header=BB84_948 Depth=2
	global_load_u8 v38, v[24:25], off offset:1024
	s_wait_xcnt 0x0
	s_or_b32 exec_lo, exec_lo, s10
	s_delay_alu instid0(SALU_CYCLE_1)
	s_mov_b32 s10, exec_lo
	v_cmpx_gt_u32_e64 s8, v71
	s_cbranch_execz .LBB84_957
.LBB84_1009:                            ;   in Loop: Header=BB84_948 Depth=2
	global_load_u8 v37, v[24:25], off offset:1280
	s_wait_xcnt 0x0
	s_or_b32 exec_lo, exec_lo, s10
	s_delay_alu instid0(SALU_CYCLE_1)
	s_mov_b32 s10, exec_lo
	v_cmpx_gt_u32_e64 s8, v72
	s_cbranch_execz .LBB84_958
.LBB84_1010:                            ;   in Loop: Header=BB84_948 Depth=2
	global_load_u8 v36, v[24:25], off offset:1536
	s_wait_xcnt 0x0
	s_or_b32 exec_lo, exec_lo, s10
	s_delay_alu instid0(SALU_CYCLE_1)
	s_mov_b32 s10, exec_lo
	v_cmpx_gt_u32_e64 s8, v73
	s_cbranch_execz .LBB84_959
.LBB84_1011:                            ;   in Loop: Header=BB84_948 Depth=2
	global_load_u8 v35, v[24:25], off offset:1792
	s_wait_xcnt 0x0
	s_or_b32 exec_lo, exec_lo, s10
	s_delay_alu instid0(SALU_CYCLE_1)
	s_mov_b32 s10, exec_lo
	v_cmpx_gt_u32_e64 s8, v74
	s_cbranch_execz .LBB84_960
.LBB84_1012:                            ;   in Loop: Header=BB84_948 Depth=2
	global_load_u8 v34, v[24:25], off offset:2048
	s_wait_xcnt 0x0
	s_or_b32 exec_lo, exec_lo, s10
	s_delay_alu instid0(SALU_CYCLE_1)
	s_mov_b32 s10, exec_lo
	v_cmpx_gt_u32_e64 s8, v75
	s_cbranch_execz .LBB84_961
.LBB84_1013:                            ;   in Loop: Header=BB84_948 Depth=2
	global_load_u8 v33, v[24:25], off offset:2304
	s_wait_xcnt 0x0
	s_or_b32 exec_lo, exec_lo, s10
	s_delay_alu instid0(SALU_CYCLE_1)
	s_mov_b32 s10, exec_lo
	v_cmpx_gt_u32_e64 s8, v76
	s_cbranch_execz .LBB84_962
.LBB84_1014:                            ;   in Loop: Header=BB84_948 Depth=2
	global_load_u8 v32, v[24:25], off offset:2560
	s_wait_xcnt 0x0
	s_or_b32 exec_lo, exec_lo, s10
	s_delay_alu instid0(SALU_CYCLE_1)
	s_mov_b32 s10, exec_lo
	v_cmpx_gt_u32_e64 s8, v77
	s_cbranch_execz .LBB84_963
.LBB84_1015:                            ;   in Loop: Header=BB84_948 Depth=2
	global_load_u8 v31, v[24:25], off offset:2816
	s_wait_xcnt 0x0
	s_or_b32 exec_lo, exec_lo, s10
	s_delay_alu instid0(SALU_CYCLE_1)
	s_mov_b32 s10, exec_lo
	v_cmpx_gt_u32_e64 s8, v78
	s_cbranch_execz .LBB84_964
.LBB84_1016:                            ;   in Loop: Header=BB84_948 Depth=2
	global_load_u8 v30, v[24:25], off offset:3072
	s_wait_xcnt 0x0
	s_or_b32 exec_lo, exec_lo, s10
	s_delay_alu instid0(SALU_CYCLE_1)
	s_mov_b32 s10, exec_lo
	v_cmpx_gt_u32_e64 s8, v79
	s_cbranch_execz .LBB84_965
.LBB84_1017:                            ;   in Loop: Header=BB84_948 Depth=2
	global_load_u8 v29, v[24:25], off offset:3328
	s_wait_xcnt 0x0
	s_or_b32 exec_lo, exec_lo, s10
	s_delay_alu instid0(SALU_CYCLE_1)
	s_mov_b32 s10, exec_lo
	v_cmpx_gt_u32_e64 s8, v80
	s_cbranch_execz .LBB84_966
.LBB84_1018:                            ;   in Loop: Header=BB84_948 Depth=2
	global_load_u8 v28, v[24:25], off offset:3584
	s_wait_xcnt 0x0
	s_or_b32 exec_lo, exec_lo, s10
	s_delay_alu instid0(SALU_CYCLE_1)
	s_mov_b32 s10, exec_lo
	v_cmpx_gt_u32_e64 s8, v81
	s_cbranch_execz .LBB84_967
.LBB84_1019:                            ;   in Loop: Header=BB84_948 Depth=2
	global_load_u8 v27, v[24:25], off offset:3840
	s_wait_xcnt 0x0
	s_or_b32 exec_lo, exec_lo, s10
	s_delay_alu instid0(SALU_CYCLE_1)
	s_mov_b32 s10, exec_lo
	v_cmpx_gt_u32_e64 s8, v82
	s_cbranch_execnz .LBB84_968
	s_branch .LBB84_969
.LBB84_1020:                            ;   in Loop: Header=BB84_12 Depth=1
	v_mov_b32_e32 v24, 0
	s_wait_dscnt 0x0
	s_barrier_signal -1
	s_barrier_wait -1
	s_and_saveexec_b32 s8, s0
	s_cbranch_execz .LBB84_1022
; %bb.1021:                             ;   in Loop: Header=BB84_12 Depth=1
	ds_load_2addr_b64 v[24:27], v85 offset1:1
	s_wait_dscnt 0x0
	v_add_nc_u32_e32 v24, v25, v24
	s_delay_alu instid0(VALU_DEP_1)
	v_add3_u32 v24, v24, v26, v27
.LBB84_1022:                            ;   in Loop: Header=BB84_12 Depth=1
	s_or_b32 exec_lo, exec_lo, s8
	v_and_b32_e32 v25, 15, v0
	s_delay_alu instid0(VALU_DEP_2) | instskip(SKIP_1) | instid1(VALU_DEP_3)
	v_mov_b32_dpp v26, v24 row_shr:1 row_mask:0xf bank_mask:0xf
	v_and_b32_e32 v27, 16, v0
	v_cmp_eq_u32_e64 s8, 0, v25
	v_cmp_lt_u32_e64 s9, 1, v25
	s_delay_alu instid0(VALU_DEP_3) | instskip(NEXT) | instid1(VALU_DEP_3)
	v_cmp_eq_u32_e64 s12, 0, v27
	v_cndmask_b32_e64 v26, v26, 0, s8
	s_delay_alu instid0(VALU_DEP_1) | instskip(NEXT) | instid1(VALU_DEP_1)
	v_add_nc_u32_e32 v24, v26, v24
	v_mov_b32_dpp v26, v24 row_shr:2 row_mask:0xf bank_mask:0xf
	s_delay_alu instid0(VALU_DEP_1) | instskip(SKIP_2) | instid1(VALU_DEP_3)
	v_cndmask_b32_e64 v26, 0, v26, s9
	v_cmp_lt_u32_e64 s11, 7, v25
	v_cmp_lt_u32_e64 s10, 3, v25
	v_add_nc_u32_e32 v24, v24, v26
	s_delay_alu instid0(VALU_DEP_1) | instskip(NEXT) | instid1(VALU_DEP_1)
	v_mov_b32_dpp v26, v24 row_shr:4 row_mask:0xf bank_mask:0xf
	v_cndmask_b32_e64 v26, 0, v26, s10
	s_delay_alu instid0(VALU_DEP_1) | instskip(NEXT) | instid1(VALU_DEP_1)
	v_add_nc_u32_e32 v24, v24, v26
	v_mov_b32_dpp v26, v24 row_shr:8 row_mask:0xf bank_mask:0xf
	s_delay_alu instid0(VALU_DEP_1) | instskip(SKIP_1) | instid1(VALU_DEP_2)
	v_cndmask_b32_e64 v25, 0, v26, s11
	v_bfe_i32 v26, v0, 4, 1
	v_add_nc_u32_e32 v24, v24, v25
	ds_swizzle_b32 v25, v24 offset:swizzle(BROADCAST,32,15)
	s_wait_dscnt 0x0
	v_and_b32_e32 v25, v26, v25
	s_delay_alu instid0(VALU_DEP_1)
	v_add_nc_u32_e32 v24, v24, v25
	s_and_saveexec_b32 s13, s1
; %bb.1023:                             ;   in Loop: Header=BB84_12 Depth=1
	ds_store_b32 v86, v24
; %bb.1024:                             ;   in Loop: Header=BB84_12 Depth=1
	s_or_b32 exec_lo, exec_lo, s13
	s_wait_dscnt 0x0
	s_barrier_signal -1
	s_barrier_wait -1
	s_and_saveexec_b32 s13, s4
	s_cbranch_execz .LBB84_1026
; %bb.1025:                             ;   in Loop: Header=BB84_12 Depth=1
	ds_load_b32 v25, v87
	s_wait_dscnt 0x0
	v_mov_b32_dpp v27, v25 row_shr:1 row_mask:0xf bank_mask:0xf
	v_and_b32_e32 v26, 3, v0
	s_delay_alu instid0(VALU_DEP_1) | instskip(NEXT) | instid1(VALU_DEP_3)
	v_cmp_ne_u32_e32 vcc_lo, 0, v26
	v_cndmask_b32_e32 v27, 0, v27, vcc_lo
	v_cmp_lt_u32_e32 vcc_lo, 1, v26
	s_delay_alu instid0(VALU_DEP_2) | instskip(NEXT) | instid1(VALU_DEP_1)
	v_add_nc_u32_e32 v25, v27, v25
	v_mov_b32_dpp v27, v25 row_shr:2 row_mask:0xf bank_mask:0xf
	s_delay_alu instid0(VALU_DEP_1) | instskip(NEXT) | instid1(VALU_DEP_1)
	v_cndmask_b32_e32 v26, 0, v27, vcc_lo
	v_add_nc_u32_e32 v25, v25, v26
	ds_store_b32 v87, v25
.LBB84_1026:                            ;   in Loop: Header=BB84_12 Depth=1
	s_or_b32 exec_lo, exec_lo, s13
	v_mov_b32_e32 v25, 0
	s_wait_dscnt 0x0
	s_barrier_signal -1
	s_barrier_wait -1
	s_and_saveexec_b32 s13, s5
; %bb.1027:                             ;   in Loop: Header=BB84_12 Depth=1
	ds_load_b32 v25, v88
; %bb.1028:                             ;   in Loop: Header=BB84_12 Depth=1
	s_or_b32 exec_lo, exec_lo, s13
	v_sub_co_u32 v26, s13, v0, 1
	s_wait_dscnt 0x0
	s_barrier_signal -1
	s_barrier_wait -1
	s_delay_alu instid0(VALU_DEP_1) | instskip(SKIP_1) | instid1(VALU_DEP_1)
	v_cmp_gt_i32_e32 vcc_lo, 0, v26
	v_cndmask_b32_e32 v26, v26, v0, vcc_lo
	v_dual_add_nc_u32 v24, v25, v24 :: v_dual_lshlrev_b32 v96, 2, v26
	ds_bpermute_b32 v24, v96, v24
	s_and_saveexec_b32 s14, s0
	s_cbranch_execz .LBB84_1030
; %bb.1029:                             ;   in Loop: Header=BB84_12 Depth=1
	s_wait_dscnt 0x0
	v_cndmask_b32_e64 v24, v24, v25, s13
	s_delay_alu instid0(VALU_DEP_1)
	v_add_nc_u32_e32 v24, s55, v24
	ds_store_b32 v66, v24
.LBB84_1030:                            ;   in Loop: Header=BB84_12 Depth=1
	s_or_b32 exec_lo, exec_lo, s14
	s_load_b64 s[14:15], s[52:53], 0x0
	v_dual_lshlrev_b32 v26, 3, v0 :: v_dual_bitop2_b32 v28, 7, v0 bitop3:0x40
	v_dual_mov_b32 v27, v1 :: v_dual_bitop2_b32 v97, v0, v6 bitop3:0x54
	s_wait_dscnt 0x0
	v_add_nc_u64_e32 v[24:25], v[22:23], v[0:1]
	v_mov_b32_e32 v121, 0
	s_mov_b32 s58, s57
	v_add_nc_u64_e32 v[26:27], v[20:21], v[26:27]
	v_dual_add_nc_u32 v98, 32, v97 :: v_dual_add_nc_u32 v99, 64, v97
	v_add_nc_u32_e32 v100, 0x60, v97
	v_add_nc_u32_e32 v101, 0x80, v97
	;; [unrolled: 1-line block ×9, first 2 shown]
	s_wait_kmcnt 0x0
	s_cmp_lt_u32 s51, s14
	v_add_nc_u32_e32 v109, 0x180, v97
	s_cselect_b32 s34, 12, 18
	s_cmp_lt_u32 s42, s15
	s_mov_b32 s15, s35
	s_cselect_b32 s14, 14, 20
	v_add_nc_u32_e32 v110, 0x1a0, v97
	s_add_nc_u64 s[14:15], s[52:53], s[14:15]
	v_add_nc_u32_e32 v111, 0x1c0, v97
	s_load_u16 s16, s[14:15], 0x0
	s_wait_xcnt 0x0
	s_add_nc_u64 s[14:15], s[52:53], s[34:35]
	v_add_nc_u32_e32 v112, 0x1e0, v97
	s_load_u16 s17, s[14:15], 0x0
	s_wait_xcnt 0x0
	v_cmp_eq_u32_e64 s14, 0, v28
	v_cmp_lt_u32_e64 s15, 1, v28
	v_add_nc_u32_e32 v113, 0x200, v97
	s_mov_b32 s34, s55
                                        ; implicit-def: $vgpr30_vgpr31
                                        ; implicit-def: $vgpr32_vgpr33
                                        ; implicit-def: $vgpr34_vgpr35
                                        ; implicit-def: $vgpr36_vgpr37
                                        ; implicit-def: $vgpr38_vgpr39
                                        ; implicit-def: $vgpr40_vgpr41
                                        ; implicit-def: $vgpr42_vgpr43
                                        ; implicit-def: $vgpr44_vgpr45
                                        ; implicit-def: $vgpr46_vgpr47
                                        ; implicit-def: $vgpr48_vgpr49
                                        ; implicit-def: $vgpr50_vgpr51
                                        ; implicit-def: $vgpr52_vgpr53
                                        ; implicit-def: $vgpr54_vgpr55
                                        ; implicit-def: $vgpr56_vgpr57
                                        ; implicit-def: $vgpr58_vgpr59
                                        ; implicit-def: $vgpr60_vgpr61
                                        ; implicit-def: $vgpr115
                                        ; implicit-def: $vgpr116
                                        ; implicit-def: $vgpr117
                                        ; implicit-def: $vgpr118
                                        ; implicit-def: $vgpr119
                                        ; implicit-def: $vgpr120
                                        ; implicit-def: $vgpr122
                                        ; implicit-def: $vgpr123
                                        ; implicit-def: $vgpr124
                                        ; implicit-def: $vgpr125
                                        ; implicit-def: $vgpr126
                                        ; implicit-def: $vgpr127
                                        ; implicit-def: $vgpr128
                                        ; implicit-def: $vgpr129
                                        ; implicit-def: $vgpr130
                                        ; implicit-def: $vgpr131
                                        ; implicit-def: $vgpr132
                                        ; implicit-def: $vgpr133
                                        ; implicit-def: $vgpr134
	s_wait_kmcnt 0x0
	v_mad_u32_u24 v29, v89, s16, v91
	v_cmp_lt_u32_e64 s16, 3, v28
	s_delay_alu instid0(VALU_DEP_2) | instskip(NEXT) | instid1(VALU_DEP_1)
	v_mad_u32 v28, v29, s17, v2
	v_lshrrev_b32_e32 v28, 3, v28
	s_delay_alu instid0(VALU_DEP_1)
	v_and_b32_e32 v114, 0x1ffffffc, v28
                                        ; implicit-def: $vgpr28_vgpr29
	s_branch .LBB84_1032
.LBB84_1031:                            ;   in Loop: Header=BB84_1032 Depth=2
	s_or_b32 exec_lo, exec_lo, s17
	s_addk_co_i32 s58, 0xef00
	s_cmp_lt_u32 s59, s54
	s_mov_b32 s34, s59
	s_cbranch_scc0 .LBB84_10
.LBB84_1032:                            ;   Parent Loop BB84_12 Depth=1
                                        ; =>  This Inner Loop Header: Depth=2
	s_add_co_i32 s59, s34, 0x1100
	s_delay_alu instid0(SALU_CYCLE_1)
	s_cmp_gt_u32 s59, s54
	s_cbranch_scc1 .LBB84_1034
; %bb.1033:                             ;   in Loop: Header=BB84_1032 Depth=2
	v_add_nc_u64_e32 v[62:63], s[34:35], v[24:25]
	s_mov_b32 s17, -1
	s_clause 0xf
	global_load_u8 v136, v[62:63], off offset:480
	global_load_u8 v65, v[62:63], off offset:448
	;; [unrolled: 1-line block ×15, first 2 shown]
	global_load_u8 v147, v[62:63], off
	s_movk_i32 s18, 0x1100
	s_cbranch_execz .LBB84_1035
	s_branch .LBB84_1054
.LBB84_1034:                            ;   in Loop: Header=BB84_1032 Depth=2
	s_mov_b32 s17, 0
                                        ; implicit-def: $vgpr147
                                        ; implicit-def: $vgpr151
                                        ; implicit-def: $vgpr148
                                        ; implicit-def: $vgpr150
                                        ; implicit-def: $vgpr142
                                        ; implicit-def: $vgpr144
                                        ; implicit-def: $vgpr143
                                        ; implicit-def: $vgpr145
                                        ; implicit-def: $vgpr138
                                        ; implicit-def: $vgpr140
                                        ; implicit-def: $vgpr139
                                        ; implicit-def: $vgpr141
                                        ; implicit-def: $vgpr64
                                        ; implicit-def: $vgpr135
                                        ; implicit-def: $vgpr65
                                        ; implicit-def: $vgpr136
                                        ; implicit-def: $vgpr121
	s_movk_i32 s18, 0x1100
.LBB84_1035:                            ;   in Loop: Header=BB84_1032 Depth=2
	s_wait_xcnt 0x0
	v_add_nc_u64_e32 v[62:63], s[34:35], v[24:25]
	s_wait_loadcnt 0x0
	v_dual_mov_b32 v148, 0 :: v_dual_mov_b32 v147, 0
	v_dual_mov_b32 v150, 0 :: v_dual_mov_b32 v142, 0
	;; [unrolled: 1-line block ×8, first 2 shown]
	s_mov_b32 s17, exec_lo
	v_cmpx_gt_u32_e64 s58, v97
	s_cbranch_execz .LBB84_1037
; %bb.1036:                             ;   in Loop: Header=BB84_1032 Depth=2
	global_load_u8 v147, v[62:63], off
	v_dual_mov_b32 v150, 0 :: v_dual_mov_b32 v142, 0
	v_dual_mov_b32 v144, 0 :: v_dual_mov_b32 v143, 0
	;; [unrolled: 1-line block ×7, first 2 shown]
.LBB84_1037:                            ;   in Loop: Header=BB84_1032 Depth=2
	s_wait_xcnt 0x0
	s_or_b32 exec_lo, exec_lo, s17
	v_mov_b32_e32 v151, v148
	s_mov_b32 s17, exec_lo
	v_cmpx_gt_u32_e64 s58, v98
	s_cbranch_execnz .LBB84_1240
; %bb.1038:                             ;   in Loop: Header=BB84_1032 Depth=2
	s_or_b32 exec_lo, exec_lo, s17
	s_delay_alu instid0(SALU_CYCLE_1)
	s_mov_b32 s17, exec_lo
	v_cmpx_gt_u32_e64 s58, v99
	s_cbranch_execnz .LBB84_1241
.LBB84_1039:                            ;   in Loop: Header=BB84_1032 Depth=2
	s_or_b32 exec_lo, exec_lo, s17
	s_delay_alu instid0(SALU_CYCLE_1)
	s_mov_b32 s17, exec_lo
	v_cmpx_gt_u32_e64 s58, v100
	s_cbranch_execnz .LBB84_1242
.LBB84_1040:                            ;   in Loop: Header=BB84_1032 Depth=2
	s_or_b32 exec_lo, exec_lo, s17
	s_delay_alu instid0(SALU_CYCLE_1)
	s_mov_b32 s17, exec_lo
	v_cmpx_gt_u32_e64 s58, v101
	s_cbranch_execnz .LBB84_1243
.LBB84_1041:                            ;   in Loop: Header=BB84_1032 Depth=2
	s_or_b32 exec_lo, exec_lo, s17
	s_delay_alu instid0(SALU_CYCLE_1)
	s_mov_b32 s17, exec_lo
	v_cmpx_gt_u32_e64 s58, v102
	s_cbranch_execnz .LBB84_1244
.LBB84_1042:                            ;   in Loop: Header=BB84_1032 Depth=2
	s_or_b32 exec_lo, exec_lo, s17
	s_delay_alu instid0(SALU_CYCLE_1)
	s_mov_b32 s17, exec_lo
	v_cmpx_gt_u32_e64 s58, v103
	s_cbranch_execnz .LBB84_1245
.LBB84_1043:                            ;   in Loop: Header=BB84_1032 Depth=2
	s_or_b32 exec_lo, exec_lo, s17
	s_delay_alu instid0(SALU_CYCLE_1)
	s_mov_b32 s17, exec_lo
	v_cmpx_gt_u32_e64 s58, v104
	s_cbranch_execnz .LBB84_1246
.LBB84_1044:                            ;   in Loop: Header=BB84_1032 Depth=2
	s_or_b32 exec_lo, exec_lo, s17
	s_delay_alu instid0(SALU_CYCLE_1)
	s_mov_b32 s17, exec_lo
	v_cmpx_gt_u32_e64 s58, v105
	s_cbranch_execnz .LBB84_1247
.LBB84_1045:                            ;   in Loop: Header=BB84_1032 Depth=2
	s_or_b32 exec_lo, exec_lo, s17
	s_delay_alu instid0(SALU_CYCLE_1)
	s_mov_b32 s17, exec_lo
	v_cmpx_gt_u32_e64 s58, v106
	s_cbranch_execnz .LBB84_1248
.LBB84_1046:                            ;   in Loop: Header=BB84_1032 Depth=2
	s_or_b32 exec_lo, exec_lo, s17
	s_delay_alu instid0(SALU_CYCLE_1)
	s_mov_b32 s17, exec_lo
	v_cmpx_gt_u32_e64 s58, v107
	s_cbranch_execnz .LBB84_1249
.LBB84_1047:                            ;   in Loop: Header=BB84_1032 Depth=2
	s_or_b32 exec_lo, exec_lo, s17
	s_delay_alu instid0(SALU_CYCLE_1)
	s_mov_b32 s17, exec_lo
	v_cmpx_gt_u32_e64 s58, v108
	s_cbranch_execnz .LBB84_1250
.LBB84_1048:                            ;   in Loop: Header=BB84_1032 Depth=2
	s_or_b32 exec_lo, exec_lo, s17
	s_delay_alu instid0(SALU_CYCLE_1)
	s_mov_b32 s17, exec_lo
	v_cmpx_gt_u32_e64 s58, v109
	s_cbranch_execnz .LBB84_1251
.LBB84_1049:                            ;   in Loop: Header=BB84_1032 Depth=2
	s_or_b32 exec_lo, exec_lo, s17
	s_delay_alu instid0(SALU_CYCLE_1)
	s_mov_b32 s17, exec_lo
	v_cmpx_gt_u32_e64 s58, v110
	s_cbranch_execnz .LBB84_1252
.LBB84_1050:                            ;   in Loop: Header=BB84_1032 Depth=2
	s_or_b32 exec_lo, exec_lo, s17
	s_delay_alu instid0(SALU_CYCLE_1)
	s_mov_b32 s17, exec_lo
	v_cmpx_gt_u32_e64 s58, v111
	s_cbranch_execnz .LBB84_1253
.LBB84_1051:                            ;   in Loop: Header=BB84_1032 Depth=2
	s_or_b32 exec_lo, exec_lo, s17
	s_delay_alu instid0(SALU_CYCLE_1)
	s_mov_b32 s17, exec_lo
	v_cmpx_gt_u32_e64 s58, v112
	s_cbranch_execz .LBB84_1053
.LBB84_1052:                            ;   in Loop: Header=BB84_1032 Depth=2
	global_load_u8 v136, v[62:63], off offset:480
.LBB84_1053:                            ;   in Loop: Header=BB84_1032 Depth=2
	s_wait_xcnt 0x0
	s_or_b32 exec_lo, exec_lo, s17
	v_cmp_gt_u32_e64 s17, s58, v113
	s_sub_co_i32 s18, s54, s34
.LBB84_1054:                            ;   in Loop: Header=BB84_1032 Depth=2
	v_mov_b32_e32 v137, s58
	s_wait_xcnt 0x0
	s_and_saveexec_b32 s19, s17
	s_cbranch_execz .LBB84_1056
; %bb.1055:                             ;   in Loop: Header=BB84_1032 Depth=2
	v_add_nc_u64_e32 v[62:63], s[34:35], v[24:25]
	v_mov_b32_e32 v137, s18
	global_load_u8 v121, v[62:63], off offset:512
.LBB84_1056:                            ;   in Loop: Header=BB84_1032 Depth=2
	s_wait_xcnt 0x0
	s_or_b32 exec_lo, exec_lo, s19
	s_wait_loadcnt 0x0
	v_bitop3_b16 v62, v147, 0xff, v147 bitop3:0xc
	ds_store_2addr_b32 v90, v1, v1 offset0:136 offset1:137
	ds_store_2addr_b32 v90, v1, v1 offset0:138 offset1:139
	ds_store_b32 v90, v1 offset:560
	s_wait_dscnt 0x0
	s_barrier_signal -1
	s_barrier_wait -1
	v_and_b32_e32 v62, 0xffff, v62
	; wave barrier
	s_delay_alu instid0(VALU_DEP_1) | instskip(NEXT) | instid1(VALU_DEP_1)
	v_lshrrev_b32_e32 v62, s49, v62
	v_and_b32_e32 v149, s48, v62
	s_delay_alu instid0(VALU_DEP_1) | instskip(SKIP_1) | instid1(VALU_DEP_1)
	v_lshlrev_b32_e32 v146, 30, v149
	v_bitop3_b32 v63, v62, 1, s48 bitop3:0x80
	v_add_co_u32 v62, s17, v63, -1
	s_delay_alu instid0(VALU_DEP_1) | instskip(NEXT) | instid1(VALU_DEP_4)
	v_cndmask_b32_e64 v63, 0, 1, s17
	v_cmp_gt_i32_e64 s17, 0, v146
	s_delay_alu instid0(VALU_DEP_2) | instskip(SKIP_2) | instid1(VALU_DEP_2)
	v_cmp_ne_u32_e32 vcc_lo, 0, v63
	v_not_b32_e32 v63, v146
	v_bitop3_b32 v62, vcc_lo, exec_lo, v62 bitop3:0x48
	v_dual_ashrrev_i32 v63, 31, v63 :: v_dual_lshlrev_b32 v152, 29, v149
	v_dual_lshlrev_b32 v153, 28, v149 :: v_dual_lshlrev_b32 v154, 27, v149
	v_lshlrev_b32_e32 v155, 26, v149
	s_delay_alu instid0(VALU_DEP_3)
	v_not_b32_e32 v146, v152
	v_lshlrev_b32_e32 v156, 25, v149
	v_cmp_gt_i32_e64 s18, 0, v152
	v_cmp_gt_i32_e64 s19, 0, v153
	v_not_b32_e32 v152, v153
	v_not_b32_e32 v153, v154
	v_ashrrev_i32_e32 v146, 31, v146
	v_cmp_gt_i32_e64 s20, 0, v154
	v_cmp_gt_i32_e64 s21, 0, v155
	v_not_b32_e32 v154, v155
	v_not_b32_e32 v155, v156
	v_dual_ashrrev_i32 v152, 31, v152 :: v_dual_ashrrev_i32 v153, 31, v153
	s_delay_alu instid0(VALU_DEP_3) | instskip(NEXT) | instid1(VALU_DEP_3)
	v_dual_ashrrev_i32 v154, 31, v154 :: v_dual_bitop2_b32 v63, s17, v63 bitop3:0x14
	v_dual_ashrrev_i32 v155, 31, v155 :: v_dual_bitop2_b32 v146, s18, v146 bitop3:0x14
	v_cmp_gt_i32_e64 s22, 0, v156
	s_delay_alu instid0(VALU_DEP_4) | instskip(SKIP_1) | instid1(VALU_DEP_4)
	v_xor_b32_e32 v152, s19, v152
	v_xor_b32_e32 v153, s20, v153
	v_bitop3_b32 v62, v62, v146, v63 bitop3:0x80
	v_xor_b32_e32 v63, s21, v154
	v_xor_b32_e32 v146, s22, v155
	s_delay_alu instid0(VALU_DEP_3) | instskip(NEXT) | instid1(VALU_DEP_1)
	v_bitop3_b32 v62, v62, v153, v152 bitop3:0x80
	v_bitop3_b32 v62, v62, v146, v63 bitop3:0x80
	v_mul_u32_u24_e32 v63, 36, v149
	s_delay_alu instid0(VALU_DEP_2) | instskip(SKIP_1) | instid1(VALU_DEP_3)
	v_mbcnt_lo_u32_b32 v146, v62, 0
	v_cmp_ne_u32_e64 s17, 0, v62
	v_add_nc_u32_e32 v149, v114, v63
	s_delay_alu instid0(VALU_DEP_3) | instskip(SKIP_1) | instid1(SALU_CYCLE_1)
	v_cmp_eq_u32_e32 vcc_lo, 0, v146
	s_and_b32 s18, s17, vcc_lo
	s_and_saveexec_b32 s17, s18
; %bb.1057:                             ;   in Loop: Header=BB84_1032 Depth=2
	v_bcnt_u32_b32 v62, v62, 0
	ds_store_b32 v149, v62 offset:544
; %bb.1058:                             ;   in Loop: Header=BB84_1032 Depth=2
	s_or_b32 exec_lo, exec_lo, s17
	v_xor_b32_e32 v62, -1, v151
	v_xor_b32_e32 v63, -1, v150
	; wave barrier
	s_delay_alu instid0(VALU_DEP_2) | instskip(NEXT) | instid1(VALU_DEP_2)
	v_lshlrev_b16 v62, 8, v62
	v_lshlrev_b16 v63, 8, v63
	s_delay_alu instid0(VALU_DEP_2) | instskip(NEXT) | instid1(VALU_DEP_2)
	v_bitop3_b16 v147, v147, v62, 0xff bitop3:0xce
	v_bitop3_b16 v62, v148, v63, 0xff bitop3:0xce
	s_delay_alu instid0(VALU_DEP_2) | instskip(NEXT) | instid1(VALU_DEP_2)
	v_and_b32_e32 v63, 0xffff, v147
	v_lshlrev_b32_e32 v62, 16, v62
	s_delay_alu instid0(VALU_DEP_1) | instskip(NEXT) | instid1(VALU_DEP_1)
	v_or_b32_e32 v148, v63, v62
	v_bfe_u32 v62, v148, 8, 8
	s_delay_alu instid0(VALU_DEP_1) | instskip(NEXT) | instid1(VALU_DEP_1)
	v_lshrrev_b32_e32 v62, s49, v62
	v_bitop3_b32 v63, v62, 1, s48 bitop3:0x80
	v_and_b32_e32 v152, s48, v62
	s_delay_alu instid0(VALU_DEP_2) | instskip(NEXT) | instid1(VALU_DEP_1)
	v_add_co_u32 v62, s17, v63, -1
	v_cndmask_b32_e64 v63, 0, 1, s17
	s_delay_alu instid0(VALU_DEP_3) | instskip(NEXT) | instid1(VALU_DEP_2)
	v_lshlrev_b32_e32 v150, 30, v152
	v_cmp_ne_u32_e32 vcc_lo, 0, v63
	s_delay_alu instid0(VALU_DEP_2) | instskip(SKIP_2) | instid1(VALU_DEP_3)
	v_not_b32_e32 v63, v150
	v_cmp_gt_i32_e64 s17, 0, v150
	v_bitop3_b32 v62, vcc_lo, exec_lo, v62 bitop3:0x48
	v_dual_ashrrev_i32 v63, 31, v63 :: v_dual_lshlrev_b32 v151, 29, v152
	v_dual_lshlrev_b32 v153, 28, v152 :: v_dual_lshlrev_b32 v154, 27, v152
	v_lshlrev_b32_e32 v155, 26, v152
	s_delay_alu instid0(VALU_DEP_3)
	v_not_b32_e32 v150, v151
	v_lshlrev_b32_e32 v156, 25, v152
	v_cmp_gt_i32_e64 s18, 0, v151
	v_cmp_gt_i32_e64 s19, 0, v153
	v_not_b32_e32 v151, v153
	v_ashrrev_i32_e32 v150, 31, v150
	v_cmp_gt_i32_e64 s20, 0, v154
	v_not_b32_e32 v153, v154
	v_cmp_gt_i32_e64 s21, 0, v155
	v_not_b32_e32 v154, v155
	v_not_b32_e32 v155, v156
	v_xor_b32_e32 v63, s17, v63
	v_dual_ashrrev_i32 v151, 31, v151 :: v_dual_bitop2_b32 v150, s18, v150 bitop3:0x14
	s_delay_alu instid0(VALU_DEP_4) | instskip(NEXT) | instid1(VALU_DEP_4)
	v_dual_ashrrev_i32 v153, 31, v153 :: v_dual_ashrrev_i32 v154, 31, v154
	v_ashrrev_i32_e32 v155, 31, v155
	s_delay_alu instid0(VALU_DEP_3)
	v_bitop3_b32 v62, v62, v150, v63 bitop3:0x80
	v_mad_u32_u24 v63, v152, 36, v114
	v_cmp_gt_i32_e64 s22, 0, v156
	v_xor_b32_e32 v151, s19, v151
	v_xor_b32_e32 v154, s21, v154
	ds_load_b32 v150, v63 offset:544
	v_mul_u32_u24_e32 v63, 36, v152
	v_xor_b32_e32 v153, s20, v153
	v_xor_b32_e32 v155, s22, v155
	; wave barrier
	s_delay_alu instid0(VALU_DEP_3) | instskip(NEXT) | instid1(VALU_DEP_3)
	v_add_nc_u32_e32 v152, v114, v63
	v_bitop3_b32 v62, v62, v153, v151 bitop3:0x80
	s_delay_alu instid0(VALU_DEP_1) | instskip(NEXT) | instid1(VALU_DEP_1)
	v_bitop3_b32 v62, v62, v155, v154 bitop3:0x80
	v_mbcnt_lo_u32_b32 v151, v62, 0
	v_cmp_ne_u32_e64 s17, 0, v62
	s_delay_alu instid0(VALU_DEP_2) | instskip(SKIP_1) | instid1(SALU_CYCLE_1)
	v_cmp_eq_u32_e32 vcc_lo, 0, v151
	s_and_b32 s18, s17, vcc_lo
	s_and_saveexec_b32 s17, s18
	s_cbranch_execz .LBB84_1060
; %bb.1059:                             ;   in Loop: Header=BB84_1032 Depth=2
	s_wait_dscnt 0x0
	v_bcnt_u32_b32 v62, v62, v150
	ds_store_b32 v152, v62 offset:544
.LBB84_1060:                            ;   in Loop: Header=BB84_1032 Depth=2
	s_or_b32 exec_lo, exec_lo, s17
	v_bfe_u32 v62, v148, 16, 8
	; wave barrier
	s_delay_alu instid0(VALU_DEP_1) | instskip(NEXT) | instid1(VALU_DEP_1)
	v_lshrrev_b32_e32 v62, s49, v62
	v_and_b32_e32 v155, s48, v62
	s_delay_alu instid0(VALU_DEP_1) | instskip(SKIP_1) | instid1(VALU_DEP_1)
	v_lshlrev_b32_e32 v153, 30, v155
	v_bitop3_b32 v63, v62, 1, s48 bitop3:0x80
	v_add_co_u32 v62, s17, v63, -1
	s_delay_alu instid0(VALU_DEP_1) | instskip(NEXT) | instid1(VALU_DEP_4)
	v_cndmask_b32_e64 v63, 0, 1, s17
	v_cmp_gt_i32_e64 s17, 0, v153
	s_delay_alu instid0(VALU_DEP_2) | instskip(SKIP_2) | instid1(VALU_DEP_2)
	v_cmp_ne_u32_e32 vcc_lo, 0, v63
	v_not_b32_e32 v63, v153
	v_bitop3_b32 v62, vcc_lo, exec_lo, v62 bitop3:0x48
	v_ashrrev_i32_e32 v63, 31, v63
	v_dual_lshlrev_b32 v154, 29, v155 :: v_dual_lshlrev_b32 v156, 28, v155
	v_dual_lshlrev_b32 v157, 27, v155 :: v_dual_lshlrev_b32 v158, 26, v155
	s_delay_alu instid0(VALU_DEP_2)
	v_not_b32_e32 v153, v154
	v_lshlrev_b32_e32 v159, 25, v155
	v_cmp_gt_i32_e64 s18, 0, v154
	v_cmp_gt_i32_e64 s19, 0, v156
	v_not_b32_e32 v154, v156
	v_not_b32_e32 v156, v157
	v_ashrrev_i32_e32 v153, 31, v153
	v_cmp_gt_i32_e64 s20, 0, v157
	v_cmp_gt_i32_e64 s21, 0, v158
	v_not_b32_e32 v157, v158
	v_dual_ashrrev_i32 v154, 31, v154 :: v_dual_ashrrev_i32 v156, 31, v156
	v_xor_b32_e32 v63, s17, v63
	v_not_b32_e32 v158, v159
	v_xor_b32_e32 v153, s18, v153
	s_delay_alu instid0(VALU_DEP_4) | instskip(SKIP_2) | instid1(VALU_DEP_4)
	v_dual_ashrrev_i32 v157, 31, v157 :: v_dual_bitop2_b32 v154, s19, v154 bitop3:0x14
	v_xor_b32_e32 v156, s20, v156
	v_cmp_gt_i32_e32 vcc_lo, 0, v159
	v_bitop3_b32 v62, v62, v153, v63 bitop3:0x80
	v_ashrrev_i32_e32 v63, 31, v158
	v_mad_u32_u24 v153, v155, 36, v114
	v_xor_b32_e32 v157, s21, v157
	s_delay_alu instid0(VALU_DEP_4) | instskip(NEXT) | instid1(VALU_DEP_4)
	v_bitop3_b32 v62, v62, v156, v154 bitop3:0x80
	v_xor_b32_e32 v63, vcc_lo, v63
	ds_load_b32 v153, v153 offset:544
	; wave barrier
	v_bitop3_b32 v62, v62, v63, v157 bitop3:0x80
	v_mul_u32_u24_e32 v63, 36, v155
	s_delay_alu instid0(VALU_DEP_2) | instskip(SKIP_1) | instid1(VALU_DEP_3)
	v_mbcnt_lo_u32_b32 v154, v62, 0
	v_cmp_ne_u32_e64 s17, 0, v62
	v_add_nc_u32_e32 v156, v114, v63
	s_delay_alu instid0(VALU_DEP_3) | instskip(SKIP_1) | instid1(SALU_CYCLE_1)
	v_cmp_eq_u32_e32 vcc_lo, 0, v154
	s_and_b32 s18, s17, vcc_lo
	s_and_saveexec_b32 s17, s18
	s_cbranch_execz .LBB84_1062
; %bb.1061:                             ;   in Loop: Header=BB84_1032 Depth=2
	s_wait_dscnt 0x0
	v_bcnt_u32_b32 v62, v62, v153
	ds_store_b32 v156, v62 offset:544
.LBB84_1062:                            ;   in Loop: Header=BB84_1032 Depth=2
	s_or_b32 exec_lo, exec_lo, s17
	v_lshrrev_b32_e32 v155, 24, v148
	; wave barrier
	s_delay_alu instid0(VALU_DEP_1) | instskip(NEXT) | instid1(VALU_DEP_1)
	v_lshrrev_b32_e32 v62, s49, v155
	v_bitop3_b32 v63, v62, 1, s48 bitop3:0x80
	v_and_b32_e32 v159, s48, v62
	s_delay_alu instid0(VALU_DEP_2) | instskip(NEXT) | instid1(VALU_DEP_1)
	v_add_co_u32 v62, s17, v63, -1
	v_cndmask_b32_e64 v63, 0, 1, s17
	s_delay_alu instid0(VALU_DEP_3) | instskip(SKIP_1) | instid1(VALU_DEP_3)
	v_dual_lshlrev_b32 v157, 30, v159 :: v_dual_lshlrev_b32 v158, 29, v159
	v_dual_lshlrev_b32 v160, 28, v159 :: v_dual_lshlrev_b32 v161, 27, v159
	v_cmp_ne_u32_e32 vcc_lo, 0, v63
	s_delay_alu instid0(VALU_DEP_3)
	v_cmp_gt_i32_e64 s17, 0, v157
	v_not_b32_e32 v63, v157
	v_not_b32_e32 v157, v158
	v_dual_lshlrev_b32 v162, 26, v159 :: v_dual_lshlrev_b32 v163, 25, v159
	v_cmp_gt_i32_e64 s18, 0, v158
	v_cmp_gt_i32_e64 s19, 0, v160
	v_not_b32_e32 v158, v160
	v_not_b32_e32 v160, v161
	v_dual_ashrrev_i32 v63, 31, v63 :: v_dual_ashrrev_i32 v157, 31, v157
	v_cmp_gt_i32_e64 s20, 0, v161
	v_cmp_gt_i32_e64 s21, 0, v162
	v_not_b32_e32 v161, v162
	v_bitop3_b32 v62, vcc_lo, exec_lo, v62 bitop3:0x48
	v_dual_ashrrev_i32 v158, 31, v158 :: v_dual_ashrrev_i32 v160, 31, v160
	v_xor_b32_e32 v63, s17, v63
	v_not_b32_e32 v162, v163
	v_xor_b32_e32 v157, s18, v157
	s_delay_alu instid0(VALU_DEP_4) | instskip(SKIP_2) | instid1(VALU_DEP_4)
	v_dual_ashrrev_i32 v161, 31, v161 :: v_dual_bitop2_b32 v158, s19, v158 bitop3:0x14
	v_xor_b32_e32 v160, s20, v160
	v_cmp_gt_i32_e32 vcc_lo, 0, v163
	v_bitop3_b32 v62, v62, v157, v63 bitop3:0x80
	v_ashrrev_i32_e32 v63, 31, v162
	v_mad_u32_u24 v157, v159, 36, v114
	v_xor_b32_e32 v161, s21, v161
	s_delay_alu instid0(VALU_DEP_4) | instskip(NEXT) | instid1(VALU_DEP_4)
	v_bitop3_b32 v62, v62, v160, v158 bitop3:0x80
	v_xor_b32_e32 v63, vcc_lo, v63
	ds_load_b32 v157, v157 offset:544
	; wave barrier
	v_bitop3_b32 v62, v62, v63, v161 bitop3:0x80
	v_mul_u32_u24_e32 v63, 36, v159
	s_delay_alu instid0(VALU_DEP_2) | instskip(SKIP_1) | instid1(VALU_DEP_3)
	v_mbcnt_lo_u32_b32 v158, v62, 0
	v_cmp_ne_u32_e64 s17, 0, v62
	v_add_nc_u32_e32 v159, v114, v63
	s_delay_alu instid0(VALU_DEP_3) | instskip(SKIP_1) | instid1(SALU_CYCLE_1)
	v_cmp_eq_u32_e32 vcc_lo, 0, v158
	s_and_b32 s18, s17, vcc_lo
	s_and_saveexec_b32 s17, s18
	s_cbranch_execz .LBB84_1064
; %bb.1063:                             ;   in Loop: Header=BB84_1032 Depth=2
	s_wait_dscnt 0x0
	v_bcnt_u32_b32 v62, v62, v157
	ds_store_b32 v159, v62 offset:544
.LBB84_1064:                            ;   in Loop: Header=BB84_1032 Depth=2
	s_or_b32 exec_lo, exec_lo, s17
	v_bitop3_b16 v62, v142, 0xff, v142 bitop3:0xc
	; wave barrier
	s_delay_alu instid0(VALU_DEP_1) | instskip(NEXT) | instid1(VALU_DEP_1)
	v_and_b32_e32 v62, 0xffff, v62
	v_lshrrev_b32_e32 v62, s49, v62
	s_delay_alu instid0(VALU_DEP_1) | instskip(SKIP_1) | instid1(VALU_DEP_2)
	v_bitop3_b32 v63, v62, 1, s48 bitop3:0x80
	v_and_b32_e32 v162, s48, v62
	v_add_co_u32 v62, s17, v63, -1
	s_delay_alu instid0(VALU_DEP_1) | instskip(NEXT) | instid1(VALU_DEP_3)
	v_cndmask_b32_e64 v63, 0, 1, s17
	v_dual_lshlrev_b32 v160, 30, v162 :: v_dual_lshlrev_b32 v161, 29, v162
	s_delay_alu instid0(VALU_DEP_2) | instskip(NEXT) | instid1(VALU_DEP_2)
	v_cmp_ne_u32_e32 vcc_lo, 0, v63
	v_cmp_gt_i32_e64 s17, 0, v160
	v_not_b32_e32 v63, v160
	s_delay_alu instid0(VALU_DEP_4) | instskip(SKIP_2) | instid1(VALU_DEP_3)
	v_not_b32_e32 v160, v161
	v_cmp_gt_i32_e64 s18, 0, v161
	v_bitop3_b32 v62, vcc_lo, exec_lo, v62 bitop3:0x48
	v_dual_ashrrev_i32 v63, 31, v63 :: v_dual_ashrrev_i32 v160, 31, v160
	v_dual_lshlrev_b32 v163, 28, v162 :: v_dual_lshlrev_b32 v164, 27, v162
	v_dual_lshlrev_b32 v165, 26, v162 :: v_dual_lshlrev_b32 v166, 25, v162
	s_delay_alu instid0(VALU_DEP_2) | instskip(SKIP_1) | instid1(VALU_DEP_4)
	v_cmp_gt_i32_e64 s19, 0, v163
	v_not_b32_e32 v161, v163
	v_cmp_gt_i32_e64 s20, 0, v164
	v_not_b32_e32 v163, v164
	;; [unrolled: 2-line block ×3, first 2 shown]
	v_not_b32_e32 v165, v166
	v_xor_b32_e32 v63, s17, v63
	v_dual_ashrrev_i32 v161, 31, v161 :: v_dual_bitop2_b32 v160, s18, v160 bitop3:0x14
	s_delay_alu instid0(VALU_DEP_4) | instskip(NEXT) | instid1(VALU_DEP_4)
	v_dual_ashrrev_i32 v163, 31, v163 :: v_dual_ashrrev_i32 v164, 31, v164
	v_ashrrev_i32_e32 v165, 31, v165
	s_delay_alu instid0(VALU_DEP_3)
	v_bitop3_b32 v62, v62, v160, v63 bitop3:0x80
	v_mad_u32_u24 v63, v162, 36, v114
	v_cmp_gt_i32_e64 s22, 0, v166
	v_xor_b32_e32 v163, s20, v163
	v_xor_b32_e32 v164, s21, v164
	ds_load_b32 v160, v63 offset:544
	v_mul_u32_u24_e32 v63, 36, v162
	v_xor_b32_e32 v161, s19, v161
	v_xor_b32_e32 v165, s22, v165
	; wave barrier
	s_delay_alu instid0(VALU_DEP_3) | instskip(NEXT) | instid1(VALU_DEP_3)
	v_add_nc_u32_e32 v162, v114, v63
	v_bitop3_b32 v62, v62, v163, v161 bitop3:0x80
	s_delay_alu instid0(VALU_DEP_1) | instskip(NEXT) | instid1(VALU_DEP_1)
	v_bitop3_b32 v62, v62, v165, v164 bitop3:0x80
	v_mbcnt_lo_u32_b32 v161, v62, 0
	v_cmp_ne_u32_e64 s17, 0, v62
	s_delay_alu instid0(VALU_DEP_2) | instskip(SKIP_1) | instid1(SALU_CYCLE_1)
	v_cmp_eq_u32_e32 vcc_lo, 0, v161
	s_and_b32 s18, s17, vcc_lo
	s_and_saveexec_b32 s17, s18
	s_cbranch_execz .LBB84_1066
; %bb.1065:                             ;   in Loop: Header=BB84_1032 Depth=2
	s_wait_dscnt 0x0
	v_bcnt_u32_b32 v62, v62, v160
	ds_store_b32 v162, v62 offset:544
.LBB84_1066:                            ;   in Loop: Header=BB84_1032 Depth=2
	s_or_b32 exec_lo, exec_lo, s17
	v_xor_b32_e32 v62, -1, v144
	v_xor_b32_e32 v63, -1, v145
	; wave barrier
	s_delay_alu instid0(VALU_DEP_2) | instskip(NEXT) | instid1(VALU_DEP_2)
	v_lshlrev_b16 v62, 8, v62
	v_lshlrev_b16 v63, 8, v63
	s_delay_alu instid0(VALU_DEP_2) | instskip(NEXT) | instid1(VALU_DEP_2)
	v_bitop3_b16 v142, v142, v62, 0xff bitop3:0xce
	v_bitop3_b16 v62, v143, v63, 0xff bitop3:0xce
	s_delay_alu instid0(VALU_DEP_2) | instskip(NEXT) | instid1(VALU_DEP_2)
	v_and_b32_e32 v63, 0xffff, v142
	v_lshlrev_b32_e32 v62, 16, v62
	s_delay_alu instid0(VALU_DEP_1) | instskip(NEXT) | instid1(VALU_DEP_1)
	v_or_b32_e32 v143, v63, v62
	v_bfe_u32 v62, v143, 8, 8
	s_delay_alu instid0(VALU_DEP_1) | instskip(NEXT) | instid1(VALU_DEP_1)
	v_lshrrev_b32_e32 v62, s49, v62
	v_bitop3_b32 v63, v62, 1, s48 bitop3:0x80
	v_and_b32_e32 v163, s48, v62
	s_delay_alu instid0(VALU_DEP_2) | instskip(NEXT) | instid1(VALU_DEP_1)
	v_add_co_u32 v62, s17, v63, -1
	v_cndmask_b32_e64 v63, 0, 1, s17
	s_delay_alu instid0(VALU_DEP_3) | instskip(NEXT) | instid1(VALU_DEP_2)
	v_lshlrev_b32_e32 v144, 30, v163
	v_cmp_ne_u32_e32 vcc_lo, 0, v63
	s_delay_alu instid0(VALU_DEP_2) | instskip(SKIP_2) | instid1(VALU_DEP_3)
	v_not_b32_e32 v63, v144
	v_cmp_gt_i32_e64 s17, 0, v144
	v_bitop3_b32 v62, vcc_lo, exec_lo, v62 bitop3:0x48
	v_ashrrev_i32_e32 v63, 31, v63
	v_dual_lshlrev_b32 v145, 29, v163 :: v_dual_lshlrev_b32 v164, 28, v163
	v_dual_lshlrev_b32 v165, 27, v163 :: v_dual_lshlrev_b32 v166, 26, v163
	s_delay_alu instid0(VALU_DEP_2)
	v_not_b32_e32 v144, v145
	v_lshlrev_b32_e32 v167, 25, v163
	v_cmp_gt_i32_e64 s18, 0, v145
	v_cmp_gt_i32_e64 s19, 0, v164
	v_not_b32_e32 v145, v164
	v_ashrrev_i32_e32 v144, 31, v144
	v_cmp_gt_i32_e64 s20, 0, v165
	v_not_b32_e32 v164, v165
	v_cmp_gt_i32_e64 s21, 0, v166
	v_not_b32_e32 v165, v166
	v_not_b32_e32 v166, v167
	v_xor_b32_e32 v63, s17, v63
	v_dual_ashrrev_i32 v145, 31, v145 :: v_dual_bitop2_b32 v144, s18, v144 bitop3:0x14
	s_delay_alu instid0(VALU_DEP_4) | instskip(NEXT) | instid1(VALU_DEP_4)
	v_dual_ashrrev_i32 v164, 31, v164 :: v_dual_ashrrev_i32 v165, 31, v165
	v_ashrrev_i32_e32 v166, 31, v166
	s_delay_alu instid0(VALU_DEP_3)
	v_bitop3_b32 v62, v62, v144, v63 bitop3:0x80
	v_mad_u32_u24 v63, v163, 36, v114
	v_cmp_gt_i32_e64 s22, 0, v167
	v_xor_b32_e32 v164, s20, v164
	v_xor_b32_e32 v165, s21, v165
	ds_load_b32 v144, v63 offset:544
	v_mul_u32_u24_e32 v63, 36, v163
	v_xor_b32_e32 v145, s19, v145
	v_xor_b32_e32 v166, s22, v166
	; wave barrier
	s_delay_alu instid0(VALU_DEP_3) | instskip(NEXT) | instid1(VALU_DEP_3)
	v_add_nc_u32_e32 v163, v114, v63
	v_bitop3_b32 v62, v62, v164, v145 bitop3:0x80
	s_delay_alu instid0(VALU_DEP_1) | instskip(NEXT) | instid1(VALU_DEP_1)
	v_bitop3_b32 v62, v62, v166, v165 bitop3:0x80
	v_mbcnt_lo_u32_b32 v145, v62, 0
	v_cmp_ne_u32_e64 s17, 0, v62
	s_delay_alu instid0(VALU_DEP_2) | instskip(SKIP_1) | instid1(SALU_CYCLE_1)
	v_cmp_eq_u32_e32 vcc_lo, 0, v145
	s_and_b32 s18, s17, vcc_lo
	s_and_saveexec_b32 s17, s18
	s_cbranch_execz .LBB84_1068
; %bb.1067:                             ;   in Loop: Header=BB84_1032 Depth=2
	s_wait_dscnt 0x0
	v_bcnt_u32_b32 v62, v62, v144
	ds_store_b32 v163, v62 offset:544
.LBB84_1068:                            ;   in Loop: Header=BB84_1032 Depth=2
	s_or_b32 exec_lo, exec_lo, s17
	v_bfe_u32 v62, v143, 16, 8
	; wave barrier
	s_delay_alu instid0(VALU_DEP_1) | instskip(NEXT) | instid1(VALU_DEP_1)
	v_lshrrev_b32_e32 v62, s49, v62
	v_bitop3_b32 v63, v62, 1, s48 bitop3:0x80
	v_and_b32_e32 v166, s48, v62
	s_delay_alu instid0(VALU_DEP_2) | instskip(NEXT) | instid1(VALU_DEP_1)
	v_add_co_u32 v62, s17, v63, -1
	v_cndmask_b32_e64 v63, 0, 1, s17
	s_delay_alu instid0(VALU_DEP_3) | instskip(NEXT) | instid1(VALU_DEP_2)
	v_dual_lshlrev_b32 v164, 30, v166 :: v_dual_lshlrev_b32 v165, 29, v166
	v_cmp_ne_u32_e32 vcc_lo, 0, v63
	s_delay_alu instid0(VALU_DEP_2) | instskip(SKIP_1) | instid1(VALU_DEP_4)
	v_cmp_gt_i32_e64 s17, 0, v164
	v_not_b32_e32 v63, v164
	v_not_b32_e32 v164, v165
	v_cmp_gt_i32_e64 s18, 0, v165
	v_bitop3_b32 v62, vcc_lo, exec_lo, v62 bitop3:0x48
	s_delay_alu instid0(VALU_DEP_3) | instskip(SKIP_2) | instid1(VALU_DEP_2)
	v_dual_ashrrev_i32 v63, 31, v63 :: v_dual_ashrrev_i32 v164, 31, v164
	v_dual_lshlrev_b32 v167, 28, v166 :: v_dual_lshlrev_b32 v168, 27, v166
	v_dual_lshlrev_b32 v169, 26, v166 :: v_dual_lshlrev_b32 v170, 25, v166
	v_cmp_gt_i32_e64 s19, 0, v167
	v_not_b32_e32 v165, v167
	s_delay_alu instid0(VALU_DEP_4) | instskip(SKIP_3) | instid1(VALU_DEP_4)
	v_not_b32_e32 v167, v168
	v_cmp_gt_i32_e64 s20, 0, v168
	v_cmp_gt_i32_e64 s21, 0, v169
	v_not_b32_e32 v168, v169
	v_dual_ashrrev_i32 v165, 31, v165 :: v_dual_ashrrev_i32 v167, 31, v167
	v_xor_b32_e32 v63, s17, v63
	v_not_b32_e32 v169, v170
	v_xor_b32_e32 v164, s18, v164
	s_delay_alu instid0(VALU_DEP_4) | instskip(SKIP_2) | instid1(VALU_DEP_4)
	v_dual_ashrrev_i32 v168, 31, v168 :: v_dual_bitop2_b32 v165, s19, v165 bitop3:0x14
	v_xor_b32_e32 v167, s20, v167
	v_cmp_gt_i32_e32 vcc_lo, 0, v170
	v_bitop3_b32 v62, v62, v164, v63 bitop3:0x80
	v_ashrrev_i32_e32 v63, 31, v169
	v_mad_u32_u24 v164, v166, 36, v114
	v_xor_b32_e32 v168, s21, v168
	s_delay_alu instid0(VALU_DEP_4) | instskip(NEXT) | instid1(VALU_DEP_4)
	v_bitop3_b32 v62, v62, v167, v165 bitop3:0x80
	v_xor_b32_e32 v63, vcc_lo, v63
	ds_load_b32 v164, v164 offset:544
	; wave barrier
	v_bitop3_b32 v62, v62, v63, v168 bitop3:0x80
	v_mul_u32_u24_e32 v63, 36, v166
	s_delay_alu instid0(VALU_DEP_2) | instskip(SKIP_1) | instid1(VALU_DEP_3)
	v_mbcnt_lo_u32_b32 v165, v62, 0
	v_cmp_ne_u32_e64 s17, 0, v62
	v_add_nc_u32_e32 v167, v114, v63
	s_delay_alu instid0(VALU_DEP_3) | instskip(SKIP_1) | instid1(SALU_CYCLE_1)
	v_cmp_eq_u32_e32 vcc_lo, 0, v165
	s_and_b32 s18, s17, vcc_lo
	s_and_saveexec_b32 s17, s18
	s_cbranch_execz .LBB84_1070
; %bb.1069:                             ;   in Loop: Header=BB84_1032 Depth=2
	s_wait_dscnt 0x0
	v_bcnt_u32_b32 v62, v62, v164
	ds_store_b32 v167, v62 offset:544
.LBB84_1070:                            ;   in Loop: Header=BB84_1032 Depth=2
	s_or_b32 exec_lo, exec_lo, s17
	v_lshrrev_b32_e32 v166, 24, v143
	; wave barrier
	s_delay_alu instid0(VALU_DEP_1) | instskip(NEXT) | instid1(VALU_DEP_1)
	v_lshrrev_b32_e32 v62, s49, v166
	v_bitop3_b32 v63, v62, 1, s48 bitop3:0x80
	v_and_b32_e32 v170, s48, v62
	s_delay_alu instid0(VALU_DEP_2) | instskip(NEXT) | instid1(VALU_DEP_1)
	v_add_co_u32 v62, s17, v63, -1
	v_cndmask_b32_e64 v63, 0, 1, s17
	s_delay_alu instid0(VALU_DEP_3) | instskip(SKIP_1) | instid1(VALU_DEP_3)
	v_dual_lshlrev_b32 v168, 30, v170 :: v_dual_lshlrev_b32 v169, 29, v170
	v_dual_lshlrev_b32 v171, 28, v170 :: v_dual_lshlrev_b32 v172, 27, v170
	v_cmp_ne_u32_e32 vcc_lo, 0, v63
	s_delay_alu instid0(VALU_DEP_3)
	v_cmp_gt_i32_e64 s17, 0, v168
	v_not_b32_e32 v63, v168
	v_not_b32_e32 v168, v169
	v_dual_lshlrev_b32 v173, 26, v170 :: v_dual_lshlrev_b32 v174, 25, v170
	v_cmp_gt_i32_e64 s18, 0, v169
	v_cmp_gt_i32_e64 s19, 0, v171
	v_not_b32_e32 v169, v171
	v_not_b32_e32 v171, v172
	v_dual_ashrrev_i32 v63, 31, v63 :: v_dual_ashrrev_i32 v168, 31, v168
	v_cmp_gt_i32_e64 s20, 0, v172
	v_cmp_gt_i32_e64 s21, 0, v173
	v_not_b32_e32 v172, v173
	v_bitop3_b32 v62, vcc_lo, exec_lo, v62 bitop3:0x48
	v_dual_ashrrev_i32 v169, 31, v169 :: v_dual_ashrrev_i32 v171, 31, v171
	v_xor_b32_e32 v168, s18, v168
	s_delay_alu instid0(VALU_DEP_4) | instskip(SKIP_1) | instid1(VALU_DEP_4)
	v_dual_ashrrev_i32 v172, 31, v172 :: v_dual_bitop2_b32 v63, s17, v63 bitop3:0x14
	v_not_b32_e32 v173, v174
	v_xor_b32_e32 v169, s19, v169
	v_xor_b32_e32 v171, s20, v171
	s_delay_alu instid0(VALU_DEP_4)
	v_bitop3_b32 v62, v62, v168, v63 bitop3:0x80
	v_cmp_gt_i32_e32 vcc_lo, 0, v174
	v_ashrrev_i32_e32 v63, 31, v173
	v_mad_u32_u24 v168, v170, 36, v114
	v_xor_b32_e32 v172, s21, v172
	v_bitop3_b32 v62, v62, v171, v169 bitop3:0x80
	s_delay_alu instid0(VALU_DEP_4) | instskip(SKIP_3) | instid1(VALU_DEP_2)
	v_xor_b32_e32 v63, vcc_lo, v63
	ds_load_b32 v168, v168 offset:544
	; wave barrier
	v_bitop3_b32 v62, v62, v63, v172 bitop3:0x80
	v_mul_u32_u24_e32 v63, 36, v170
	v_mbcnt_lo_u32_b32 v169, v62, 0
	v_cmp_ne_u32_e64 s17, 0, v62
	s_delay_alu instid0(VALU_DEP_3) | instskip(NEXT) | instid1(VALU_DEP_3)
	v_add_nc_u32_e32 v170, v114, v63
	v_cmp_eq_u32_e32 vcc_lo, 0, v169
	s_and_b32 s18, s17, vcc_lo
	s_delay_alu instid0(SALU_CYCLE_1)
	s_and_saveexec_b32 s17, s18
	s_cbranch_execz .LBB84_1072
; %bb.1071:                             ;   in Loop: Header=BB84_1032 Depth=2
	s_wait_dscnt 0x0
	v_bcnt_u32_b32 v62, v62, v168
	ds_store_b32 v170, v62 offset:544
.LBB84_1072:                            ;   in Loop: Header=BB84_1032 Depth=2
	s_or_b32 exec_lo, exec_lo, s17
	v_bitop3_b16 v62, v138, 0xff, v138 bitop3:0xc
	; wave barrier
	s_delay_alu instid0(VALU_DEP_1) | instskip(NEXT) | instid1(VALU_DEP_1)
	v_and_b32_e32 v62, 0xffff, v62
	v_lshrrev_b32_e32 v62, s49, v62
	s_delay_alu instid0(VALU_DEP_1) | instskip(NEXT) | instid1(VALU_DEP_1)
	v_and_b32_e32 v173, s48, v62
	v_lshlrev_b32_e32 v171, 30, v173
	v_bitop3_b32 v63, v62, 1, s48 bitop3:0x80
	s_delay_alu instid0(VALU_DEP_1) | instskip(NEXT) | instid1(VALU_DEP_1)
	v_add_co_u32 v62, s17, v63, -1
	v_cndmask_b32_e64 v63, 0, 1, s17
	s_delay_alu instid0(VALU_DEP_4) | instskip(NEXT) | instid1(VALU_DEP_2)
	v_cmp_gt_i32_e64 s17, 0, v171
	v_cmp_ne_u32_e32 vcc_lo, 0, v63
	v_not_b32_e32 v63, v171
	v_bitop3_b32 v62, vcc_lo, exec_lo, v62 bitop3:0x48
	s_delay_alu instid0(VALU_DEP_2) | instskip(SKIP_2) | instid1(VALU_DEP_3)
	v_dual_ashrrev_i32 v63, 31, v63 :: v_dual_lshlrev_b32 v172, 29, v173
	v_dual_lshlrev_b32 v174, 28, v173 :: v_dual_lshlrev_b32 v175, 27, v173
	v_lshlrev_b32_e32 v176, 26, v173
	v_not_b32_e32 v171, v172
	v_lshlrev_b32_e32 v177, 25, v173
	v_cmp_gt_i32_e64 s18, 0, v172
	v_cmp_gt_i32_e64 s19, 0, v174
	v_not_b32_e32 v172, v174
	v_ashrrev_i32_e32 v171, 31, v171
	v_cmp_gt_i32_e64 s20, 0, v175
	v_not_b32_e32 v174, v175
	v_cmp_gt_i32_e64 s21, 0, v176
	v_not_b32_e32 v175, v176
	v_not_b32_e32 v176, v177
	v_xor_b32_e32 v63, s17, v63
	v_dual_ashrrev_i32 v172, 31, v172 :: v_dual_bitop2_b32 v171, s18, v171 bitop3:0x14
	s_delay_alu instid0(VALU_DEP_3) | instskip(SKIP_1) | instid1(VALU_DEP_3)
	v_dual_ashrrev_i32 v174, 31, v174 :: v_dual_ashrrev_i32 v176, 31, v176
	v_cmp_gt_i32_e64 s22, 0, v177
	v_bitop3_b32 v62, v62, v171, v63 bitop3:0x80
	v_mad_u32_u24 v63, v173, 36, v114
	v_dual_ashrrev_i32 v175, 31, v175 :: v_dual_bitop2_b32 v172, s19, v172 bitop3:0x14
	s_delay_alu instid0(VALU_DEP_4) | instskip(SKIP_4) | instid1(VALU_DEP_3)
	v_xor_b32_e32 v176, s22, v176
	ds_load_b32 v171, v63 offset:544
	v_mul_u32_u24_e32 v63, 36, v173
	v_xor_b32_e32 v174, s20, v174
	v_xor_b32_e32 v175, s21, v175
	; wave barrier
	v_add_nc_u32_e32 v173, v114, v63
	s_delay_alu instid0(VALU_DEP_3) | instskip(NEXT) | instid1(VALU_DEP_1)
	v_bitop3_b32 v62, v62, v174, v172 bitop3:0x80
	v_bitop3_b32 v62, v62, v176, v175 bitop3:0x80
	s_delay_alu instid0(VALU_DEP_1) | instskip(SKIP_1) | instid1(VALU_DEP_2)
	v_mbcnt_lo_u32_b32 v172, v62, 0
	v_cmp_ne_u32_e64 s17, 0, v62
	v_cmp_eq_u32_e32 vcc_lo, 0, v172
	s_and_b32 s18, s17, vcc_lo
	s_delay_alu instid0(SALU_CYCLE_1)
	s_and_saveexec_b32 s17, s18
	s_cbranch_execz .LBB84_1074
; %bb.1073:                             ;   in Loop: Header=BB84_1032 Depth=2
	s_wait_dscnt 0x0
	v_bcnt_u32_b32 v62, v62, v171
	ds_store_b32 v173, v62 offset:544
.LBB84_1074:                            ;   in Loop: Header=BB84_1032 Depth=2
	s_or_b32 exec_lo, exec_lo, s17
	v_xor_b32_e32 v62, -1, v140
	v_xor_b32_e32 v63, -1, v141
	; wave barrier
	s_delay_alu instid0(VALU_DEP_2) | instskip(NEXT) | instid1(VALU_DEP_2)
	v_lshlrev_b16 v62, 8, v62
	v_lshlrev_b16 v63, 8, v63
	s_delay_alu instid0(VALU_DEP_2) | instskip(NEXT) | instid1(VALU_DEP_2)
	v_bitop3_b16 v138, v138, v62, 0xff bitop3:0xce
	v_bitop3_b16 v62, v139, v63, 0xff bitop3:0xce
	s_delay_alu instid0(VALU_DEP_2) | instskip(NEXT) | instid1(VALU_DEP_2)
	v_and_b32_e32 v63, 0xffff, v138
	v_lshlrev_b32_e32 v62, 16, v62
	s_delay_alu instid0(VALU_DEP_1) | instskip(NEXT) | instid1(VALU_DEP_1)
	v_or_b32_e32 v139, v63, v62
	v_bfe_u32 v62, v139, 8, 8
	s_delay_alu instid0(VALU_DEP_1) | instskip(NEXT) | instid1(VALU_DEP_1)
	v_lshrrev_b32_e32 v62, s49, v62
	v_bitop3_b32 v63, v62, 1, s48 bitop3:0x80
	v_and_b32_e32 v174, s48, v62
	s_delay_alu instid0(VALU_DEP_2) | instskip(NEXT) | instid1(VALU_DEP_1)
	v_add_co_u32 v62, s17, v63, -1
	v_cndmask_b32_e64 v63, 0, 1, s17
	s_delay_alu instid0(VALU_DEP_3) | instskip(NEXT) | instid1(VALU_DEP_2)
	v_lshlrev_b32_e32 v140, 30, v174
	v_cmp_ne_u32_e32 vcc_lo, 0, v63
	s_delay_alu instid0(VALU_DEP_2) | instskip(SKIP_2) | instid1(VALU_DEP_3)
	v_not_b32_e32 v63, v140
	v_cmp_gt_i32_e64 s17, 0, v140
	v_bitop3_b32 v62, vcc_lo, exec_lo, v62 bitop3:0x48
	v_dual_ashrrev_i32 v63, 31, v63 :: v_dual_lshlrev_b32 v141, 29, v174
	v_dual_lshlrev_b32 v175, 28, v174 :: v_dual_lshlrev_b32 v176, 27, v174
	v_lshlrev_b32_e32 v177, 26, v174
	s_delay_alu instid0(VALU_DEP_3)
	v_not_b32_e32 v140, v141
	v_lshlrev_b32_e32 v178, 25, v174
	v_cmp_gt_i32_e64 s18, 0, v141
	v_cmp_gt_i32_e64 s19, 0, v175
	v_not_b32_e32 v141, v175
	v_ashrrev_i32_e32 v140, 31, v140
	v_cmp_gt_i32_e64 s20, 0, v176
	v_not_b32_e32 v175, v176
	v_cmp_gt_i32_e64 s21, 0, v177
	v_not_b32_e32 v176, v177
	v_not_b32_e32 v177, v178
	v_xor_b32_e32 v63, s17, v63
	v_dual_ashrrev_i32 v141, 31, v141 :: v_dual_bitop2_b32 v140, s18, v140 bitop3:0x14
	s_delay_alu instid0(VALU_DEP_4) | instskip(NEXT) | instid1(VALU_DEP_4)
	v_dual_ashrrev_i32 v175, 31, v175 :: v_dual_ashrrev_i32 v176, 31, v176
	v_ashrrev_i32_e32 v177, 31, v177
	s_delay_alu instid0(VALU_DEP_3)
	v_bitop3_b32 v62, v62, v140, v63 bitop3:0x80
	v_mad_u32_u24 v63, v174, 36, v114
	v_cmp_gt_i32_e64 s22, 0, v178
	v_xor_b32_e32 v175, s20, v175
	v_xor_b32_e32 v176, s21, v176
	ds_load_b32 v140, v63 offset:544
	v_mul_u32_u24_e32 v63, 36, v174
	v_xor_b32_e32 v141, s19, v141
	v_xor_b32_e32 v177, s22, v177
	; wave barrier
	s_delay_alu instid0(VALU_DEP_3) | instskip(NEXT) | instid1(VALU_DEP_3)
	v_add_nc_u32_e32 v174, v114, v63
	v_bitop3_b32 v62, v62, v175, v141 bitop3:0x80
	s_delay_alu instid0(VALU_DEP_1) | instskip(NEXT) | instid1(VALU_DEP_1)
	v_bitop3_b32 v62, v62, v177, v176 bitop3:0x80
	v_mbcnt_lo_u32_b32 v141, v62, 0
	v_cmp_ne_u32_e64 s17, 0, v62
	s_delay_alu instid0(VALU_DEP_2) | instskip(SKIP_1) | instid1(SALU_CYCLE_1)
	v_cmp_eq_u32_e32 vcc_lo, 0, v141
	s_and_b32 s18, s17, vcc_lo
	s_and_saveexec_b32 s17, s18
	s_cbranch_execz .LBB84_1076
; %bb.1075:                             ;   in Loop: Header=BB84_1032 Depth=2
	s_wait_dscnt 0x0
	v_bcnt_u32_b32 v62, v62, v140
	ds_store_b32 v174, v62 offset:544
.LBB84_1076:                            ;   in Loop: Header=BB84_1032 Depth=2
	s_or_b32 exec_lo, exec_lo, s17
	v_bfe_u32 v62, v139, 16, 8
	; wave barrier
	s_delay_alu instid0(VALU_DEP_1) | instskip(NEXT) | instid1(VALU_DEP_1)
	v_lshrrev_b32_e32 v62, s49, v62
	v_and_b32_e32 v177, s48, v62
	s_delay_alu instid0(VALU_DEP_1) | instskip(SKIP_1) | instid1(VALU_DEP_1)
	v_lshlrev_b32_e32 v175, 30, v177
	v_bitop3_b32 v63, v62, 1, s48 bitop3:0x80
	v_add_co_u32 v62, s17, v63, -1
	s_delay_alu instid0(VALU_DEP_1) | instskip(NEXT) | instid1(VALU_DEP_4)
	v_cndmask_b32_e64 v63, 0, 1, s17
	v_cmp_gt_i32_e64 s17, 0, v175
	s_delay_alu instid0(VALU_DEP_2) | instskip(SKIP_2) | instid1(VALU_DEP_2)
	v_cmp_ne_u32_e32 vcc_lo, 0, v63
	v_not_b32_e32 v63, v175
	v_bitop3_b32 v62, vcc_lo, exec_lo, v62 bitop3:0x48
	v_dual_ashrrev_i32 v63, 31, v63 :: v_dual_lshlrev_b32 v176, 29, v177
	v_dual_lshlrev_b32 v178, 28, v177 :: v_dual_lshlrev_b32 v179, 27, v177
	s_delay_alu instid0(VALU_DEP_2) | instskip(NEXT) | instid1(VALU_DEP_3)
	v_dual_lshlrev_b32 v180, 26, v177 :: v_dual_bitop2_b32 v63, s17, v63 bitop3:0x14
	v_not_b32_e32 v175, v176
	v_lshlrev_b32_e32 v181, 25, v177
	v_cmp_gt_i32_e64 s18, 0, v176
	v_cmp_gt_i32_e64 s19, 0, v178
	v_not_b32_e32 v176, v178
	v_not_b32_e32 v178, v179
	v_ashrrev_i32_e32 v175, 31, v175
	v_cmp_gt_i32_e64 s20, 0, v179
	v_cmp_gt_i32_e64 s21, 0, v180
	v_not_b32_e32 v179, v180
	v_dual_ashrrev_i32 v176, 31, v176 :: v_dual_ashrrev_i32 v178, 31, v178
	v_not_b32_e32 v180, v181
	v_xor_b32_e32 v175, s18, v175
	s_delay_alu instid0(VALU_DEP_3) | instskip(NEXT) | instid1(VALU_DEP_4)
	v_dual_ashrrev_i32 v179, 31, v179 :: v_dual_bitop2_b32 v176, s19, v176 bitop3:0x14
	v_xor_b32_e32 v178, s20, v178
	v_cmp_gt_i32_e32 vcc_lo, 0, v181
	s_delay_alu instid0(VALU_DEP_4) | instskip(SKIP_3) | instid1(VALU_DEP_4)
	v_bitop3_b32 v62, v62, v175, v63 bitop3:0x80
	v_ashrrev_i32_e32 v63, 31, v180
	v_mad_u32_u24 v175, v177, 36, v114
	v_xor_b32_e32 v179, s21, v179
	v_bitop3_b32 v62, v62, v178, v176 bitop3:0x80
	s_delay_alu instid0(VALU_DEP_4) | instskip(SKIP_3) | instid1(VALU_DEP_2)
	v_xor_b32_e32 v63, vcc_lo, v63
	ds_load_b32 v175, v175 offset:544
	; wave barrier
	v_bitop3_b32 v62, v62, v63, v179 bitop3:0x80
	v_mul_u32_u24_e32 v63, 36, v177
	v_mbcnt_lo_u32_b32 v176, v62, 0
	v_cmp_ne_u32_e64 s17, 0, v62
	s_delay_alu instid0(VALU_DEP_3) | instskip(NEXT) | instid1(VALU_DEP_3)
	v_add_nc_u32_e32 v178, v114, v63
	v_cmp_eq_u32_e32 vcc_lo, 0, v176
	s_and_b32 s18, s17, vcc_lo
	s_delay_alu instid0(SALU_CYCLE_1)
	s_and_saveexec_b32 s17, s18
	s_cbranch_execz .LBB84_1078
; %bb.1077:                             ;   in Loop: Header=BB84_1032 Depth=2
	s_wait_dscnt 0x0
	v_bcnt_u32_b32 v62, v62, v175
	ds_store_b32 v178, v62 offset:544
.LBB84_1078:                            ;   in Loop: Header=BB84_1032 Depth=2
	s_or_b32 exec_lo, exec_lo, s17
	v_lshrrev_b32_e32 v177, 24, v139
	; wave barrier
	s_delay_alu instid0(VALU_DEP_1) | instskip(NEXT) | instid1(VALU_DEP_1)
	v_lshrrev_b32_e32 v62, s49, v177
	v_bitop3_b32 v63, v62, 1, s48 bitop3:0x80
	v_and_b32_e32 v181, s48, v62
	s_delay_alu instid0(VALU_DEP_2) | instskip(NEXT) | instid1(VALU_DEP_1)
	v_add_co_u32 v62, s17, v63, -1
	v_cndmask_b32_e64 v63, 0, 1, s17
	s_delay_alu instid0(VALU_DEP_3) | instskip(SKIP_1) | instid1(VALU_DEP_3)
	v_dual_lshlrev_b32 v179, 30, v181 :: v_dual_lshlrev_b32 v180, 29, v181
	v_dual_lshlrev_b32 v182, 28, v181 :: v_dual_lshlrev_b32 v183, 27, v181
	v_cmp_ne_u32_e32 vcc_lo, 0, v63
	s_delay_alu instid0(VALU_DEP_3)
	v_cmp_gt_i32_e64 s17, 0, v179
	v_not_b32_e32 v63, v179
	v_not_b32_e32 v179, v180
	v_dual_lshlrev_b32 v184, 26, v181 :: v_dual_lshlrev_b32 v185, 25, v181
	v_cmp_gt_i32_e64 s18, 0, v180
	v_cmp_gt_i32_e64 s19, 0, v182
	v_not_b32_e32 v180, v182
	v_not_b32_e32 v182, v183
	v_ashrrev_i32_e32 v63, 31, v63
	v_ashrrev_i32_e32 v179, 31, v179
	v_cmp_gt_i32_e64 s20, 0, v183
	v_cmp_gt_i32_e64 s21, 0, v184
	v_not_b32_e32 v183, v184
	v_bitop3_b32 v62, vcc_lo, exec_lo, v62 bitop3:0x48
	v_dual_ashrrev_i32 v180, 31, v180 :: v_dual_ashrrev_i32 v182, 31, v182
	v_xor_b32_e32 v63, s17, v63
	v_not_b32_e32 v184, v185
	v_xor_b32_e32 v179, s18, v179
	s_delay_alu instid0(VALU_DEP_4) | instskip(SKIP_2) | instid1(VALU_DEP_4)
	v_dual_ashrrev_i32 v183, 31, v183 :: v_dual_bitop2_b32 v180, s19, v180 bitop3:0x14
	v_xor_b32_e32 v182, s20, v182
	v_cmp_gt_i32_e32 vcc_lo, 0, v185
	v_bitop3_b32 v62, v62, v179, v63 bitop3:0x80
	v_ashrrev_i32_e32 v63, 31, v184
	v_mad_u32_u24 v179, v181, 36, v114
	v_xor_b32_e32 v183, s21, v183
	s_delay_alu instid0(VALU_DEP_4) | instskip(NEXT) | instid1(VALU_DEP_4)
	v_bitop3_b32 v62, v62, v182, v180 bitop3:0x80
	v_xor_b32_e32 v63, vcc_lo, v63
	ds_load_b32 v179, v179 offset:544
	; wave barrier
	v_bitop3_b32 v62, v62, v63, v183 bitop3:0x80
	v_mul_u32_u24_e32 v63, 36, v181
	s_delay_alu instid0(VALU_DEP_2) | instskip(SKIP_1) | instid1(VALU_DEP_3)
	v_mbcnt_lo_u32_b32 v180, v62, 0
	v_cmp_ne_u32_e64 s17, 0, v62
	v_add_nc_u32_e32 v181, v114, v63
	s_delay_alu instid0(VALU_DEP_3) | instskip(SKIP_1) | instid1(SALU_CYCLE_1)
	v_cmp_eq_u32_e32 vcc_lo, 0, v180
	s_and_b32 s18, s17, vcc_lo
	s_and_saveexec_b32 s17, s18
	s_cbranch_execz .LBB84_1080
; %bb.1079:                             ;   in Loop: Header=BB84_1032 Depth=2
	s_wait_dscnt 0x0
	v_bcnt_u32_b32 v62, v62, v179
	ds_store_b32 v181, v62 offset:544
.LBB84_1080:                            ;   in Loop: Header=BB84_1032 Depth=2
	s_or_b32 exec_lo, exec_lo, s17
	v_bitop3_b16 v62, v64, 0xff, v64 bitop3:0xc
	; wave barrier
	s_delay_alu instid0(VALU_DEP_1) | instskip(NEXT) | instid1(VALU_DEP_1)
	v_and_b32_e32 v62, 0xffff, v62
	v_lshrrev_b32_e32 v62, s49, v62
	s_delay_alu instid0(VALU_DEP_1) | instskip(NEXT) | instid1(VALU_DEP_1)
	v_and_b32_e32 v184, s48, v62
	v_lshlrev_b32_e32 v182, 30, v184
	v_bitop3_b32 v63, v62, 1, s48 bitop3:0x80
	s_delay_alu instid0(VALU_DEP_1) | instskip(NEXT) | instid1(VALU_DEP_1)
	v_add_co_u32 v62, s17, v63, -1
	v_cndmask_b32_e64 v63, 0, 1, s17
	s_delay_alu instid0(VALU_DEP_4) | instskip(NEXT) | instid1(VALU_DEP_2)
	v_cmp_gt_i32_e64 s17, 0, v182
	v_cmp_ne_u32_e32 vcc_lo, 0, v63
	v_not_b32_e32 v63, v182
	v_bitop3_b32 v62, vcc_lo, exec_lo, v62 bitop3:0x48
	s_delay_alu instid0(VALU_DEP_2) | instskip(SKIP_2) | instid1(VALU_DEP_3)
	v_dual_ashrrev_i32 v63, 31, v63 :: v_dual_lshlrev_b32 v183, 29, v184
	v_dual_lshlrev_b32 v185, 28, v184 :: v_dual_lshlrev_b32 v186, 27, v184
	v_lshlrev_b32_e32 v187, 26, v184
	v_not_b32_e32 v182, v183
	v_lshlrev_b32_e32 v188, 25, v184
	v_cmp_gt_i32_e64 s18, 0, v183
	v_cmp_gt_i32_e64 s19, 0, v185
	v_not_b32_e32 v183, v185
	v_not_b32_e32 v185, v186
	v_ashrrev_i32_e32 v182, 31, v182
	v_cmp_gt_i32_e64 s20, 0, v186
	v_cmp_gt_i32_e64 s21, 0, v187
	v_not_b32_e32 v186, v187
	v_not_b32_e32 v187, v188
	v_dual_ashrrev_i32 v183, 31, v183 :: v_dual_ashrrev_i32 v185, 31, v185
	s_delay_alu instid0(VALU_DEP_3) | instskip(NEXT) | instid1(VALU_DEP_3)
	v_dual_ashrrev_i32 v186, 31, v186 :: v_dual_bitop2_b32 v63, s17, v63 bitop3:0x14
	v_dual_ashrrev_i32 v187, 31, v187 :: v_dual_bitop2_b32 v182, s18, v182 bitop3:0x14
	v_cmp_gt_i32_e64 s22, 0, v188
	s_delay_alu instid0(VALU_DEP_4) | instskip(SKIP_1) | instid1(VALU_DEP_4)
	v_xor_b32_e32 v183, s19, v183
	v_xor_b32_e32 v185, s20, v185
	v_bitop3_b32 v62, v62, v182, v63 bitop3:0x80
	v_mad_u32_u24 v63, v184, 36, v114
	v_xor_b32_e32 v187, s22, v187
	s_delay_alu instid0(VALU_DEP_3) | instskip(SKIP_3) | instid1(VALU_DEP_2)
	v_bitop3_b32 v62, v62, v185, v183 bitop3:0x80
	ds_load_b32 v182, v63 offset:544
	v_mul_u32_u24_e32 v63, 36, v184
	v_xor_b32_e32 v186, s21, v186
	; wave barrier
	v_add_nc_u32_e32 v185, v114, v63
	s_delay_alu instid0(VALU_DEP_2) | instskip(NEXT) | instid1(VALU_DEP_1)
	v_bitop3_b32 v62, v62, v187, v186 bitop3:0x80
	v_mbcnt_lo_u32_b32 v183, v62, 0
	v_cmp_ne_u32_e64 s17, 0, v62
	s_delay_alu instid0(VALU_DEP_2) | instskip(SKIP_1) | instid1(SALU_CYCLE_1)
	v_cmp_eq_u32_e32 vcc_lo, 0, v183
	s_and_b32 s18, s17, vcc_lo
	s_and_saveexec_b32 s17, s18
	s_cbranch_execz .LBB84_1082
; %bb.1081:                             ;   in Loop: Header=BB84_1032 Depth=2
	s_wait_dscnt 0x0
	v_bcnt_u32_b32 v62, v62, v182
	ds_store_b32 v185, v62 offset:544
.LBB84_1082:                            ;   in Loop: Header=BB84_1032 Depth=2
	s_or_b32 exec_lo, exec_lo, s17
	v_xor_b32_e32 v62, -1, v135
	v_xor_b32_e32 v63, -1, v136
	; wave barrier
	s_delay_alu instid0(VALU_DEP_2) | instskip(NEXT) | instid1(VALU_DEP_2)
	v_lshlrev_b16 v62, 8, v62
	v_lshlrev_b16 v63, 8, v63
	s_delay_alu instid0(VALU_DEP_2) | instskip(NEXT) | instid1(VALU_DEP_2)
	v_bitop3_b16 v184, v64, v62, 0xff bitop3:0xce
	v_bitop3_b16 v62, v65, v63, 0xff bitop3:0xce
	s_delay_alu instid0(VALU_DEP_2) | instskip(NEXT) | instid1(VALU_DEP_2)
	v_and_b32_e32 v63, 0xffff, v184
	v_lshlrev_b32_e32 v62, 16, v62
	s_delay_alu instid0(VALU_DEP_1) | instskip(NEXT) | instid1(VALU_DEP_1)
	v_or_b32_e32 v135, v63, v62
	v_bfe_u32 v62, v135, 8, 8
	s_delay_alu instid0(VALU_DEP_1) | instskip(NEXT) | instid1(VALU_DEP_1)
	v_lshrrev_b32_e32 v62, s49, v62
	v_bitop3_b32 v63, v62, 1, s48 bitop3:0x80
	v_and_b32_e32 v64, s48, v62
	s_delay_alu instid0(VALU_DEP_2) | instskip(NEXT) | instid1(VALU_DEP_1)
	v_add_co_u32 v62, s17, v63, -1
	v_cndmask_b32_e64 v63, 0, 1, s17
	s_delay_alu instid0(VALU_DEP_3) | instskip(NEXT) | instid1(VALU_DEP_2)
	v_lshlrev_b32_e32 v65, 30, v64
	v_cmp_ne_u32_e32 vcc_lo, 0, v63
	s_delay_alu instid0(VALU_DEP_2) | instskip(SKIP_2) | instid1(VALU_DEP_3)
	v_not_b32_e32 v63, v65
	v_cmp_gt_i32_e64 s17, 0, v65
	v_bitop3_b32 v62, vcc_lo, exec_lo, v62 bitop3:0x48
	v_dual_ashrrev_i32 v63, 31, v63 :: v_dual_lshlrev_b32 v136, 29, v64
	v_dual_lshlrev_b32 v186, 28, v64 :: v_dual_lshlrev_b32 v187, 27, v64
	v_lshlrev_b32_e32 v188, 26, v64
	s_delay_alu instid0(VALU_DEP_3)
	v_not_b32_e32 v65, v136
	v_lshlrev_b32_e32 v189, 25, v64
	v_cmp_gt_i32_e64 s18, 0, v136
	v_cmp_gt_i32_e64 s19, 0, v186
	v_not_b32_e32 v136, v186
	v_not_b32_e32 v186, v187
	v_ashrrev_i32_e32 v65, 31, v65
	v_cmp_gt_i32_e64 s20, 0, v187
	v_cmp_gt_i32_e64 s21, 0, v188
	v_not_b32_e32 v187, v188
	v_not_b32_e32 v188, v189
	v_dual_ashrrev_i32 v136, 31, v136 :: v_dual_ashrrev_i32 v186, 31, v186
	v_xor_b32_e32 v63, s17, v63
	s_delay_alu instid0(VALU_DEP_4)
	v_dual_ashrrev_i32 v187, 31, v187 :: v_dual_bitop2_b32 v65, s18, v65 bitop3:0x14
	v_cmp_gt_i32_e64 s22, 0, v189
	v_ashrrev_i32_e32 v188, 31, v188
	v_xor_b32_e32 v136, s19, v136
	v_xor_b32_e32 v186, s20, v186
	v_bitop3_b32 v62, v62, v65, v63 bitop3:0x80
	v_mad_u32_u24 v63, v64, 36, v114
	v_xor_b32_e32 v65, s21, v187
	v_xor_b32_e32 v187, s22, v188
	s_delay_alu instid0(VALU_DEP_4) | instskip(SKIP_3) | instid1(VALU_DEP_2)
	v_bitop3_b32 v62, v62, v186, v136 bitop3:0x80
	ds_load_b32 v136, v63 offset:544
	v_mul_u32_u24_e32 v63, 36, v64
	; wave barrier
	v_bitop3_b32 v62, v62, v187, v65 bitop3:0x80
	v_add_nc_u32_e32 v187, v114, v63
	s_delay_alu instid0(VALU_DEP_2) | instskip(SKIP_1) | instid1(VALU_DEP_2)
	v_mbcnt_lo_u32_b32 v186, v62, 0
	v_cmp_ne_u32_e64 s17, 0, v62
	v_cmp_eq_u32_e32 vcc_lo, 0, v186
	s_and_b32 s18, s17, vcc_lo
	s_delay_alu instid0(SALU_CYCLE_1)
	s_and_saveexec_b32 s17, s18
	s_cbranch_execz .LBB84_1084
; %bb.1083:                             ;   in Loop: Header=BB84_1032 Depth=2
	s_wait_dscnt 0x0
	v_bcnt_u32_b32 v62, v62, v136
	ds_store_b32 v187, v62 offset:544
.LBB84_1084:                            ;   in Loop: Header=BB84_1032 Depth=2
	s_or_b32 exec_lo, exec_lo, s17
	v_bfe_u32 v62, v135, 16, 8
	; wave barrier
	s_delay_alu instid0(VALU_DEP_1) | instskip(NEXT) | instid1(VALU_DEP_1)
	v_lshrrev_b32_e32 v62, s49, v62
	v_and_b32_e32 v64, s48, v62
	s_delay_alu instid0(VALU_DEP_1) | instskip(SKIP_1) | instid1(VALU_DEP_1)
	v_lshlrev_b32_e32 v65, 30, v64
	v_bitop3_b32 v63, v62, 1, s48 bitop3:0x80
	v_add_co_u32 v62, s17, v63, -1
	s_delay_alu instid0(VALU_DEP_1) | instskip(NEXT) | instid1(VALU_DEP_4)
	v_cndmask_b32_e64 v63, 0, 1, s17
	v_cmp_gt_i32_e64 s17, 0, v65
	s_delay_alu instid0(VALU_DEP_2) | instskip(SKIP_2) | instid1(VALU_DEP_2)
	v_cmp_ne_u32_e32 vcc_lo, 0, v63
	v_not_b32_e32 v63, v65
	v_bitop3_b32 v62, vcc_lo, exec_lo, v62 bitop3:0x48
	v_dual_ashrrev_i32 v63, 31, v63 :: v_dual_lshlrev_b32 v188, 29, v64
	v_dual_lshlrev_b32 v189, 28, v64 :: v_dual_lshlrev_b32 v190, 27, v64
	v_lshlrev_b32_e32 v191, 26, v64
	s_delay_alu instid0(VALU_DEP_3)
	v_not_b32_e32 v65, v188
	v_lshlrev_b32_e32 v192, 25, v64
	v_cmp_gt_i32_e64 s18, 0, v188
	v_cmp_gt_i32_e64 s19, 0, v189
	v_not_b32_e32 v188, v189
	v_not_b32_e32 v189, v190
	v_ashrrev_i32_e32 v65, 31, v65
	v_cmp_gt_i32_e64 s20, 0, v190
	v_cmp_gt_i32_e64 s21, 0, v191
	v_not_b32_e32 v190, v191
	v_dual_ashrrev_i32 v188, 31, v188 :: v_dual_ashrrev_i32 v189, 31, v189
	v_xor_b32_e32 v63, s17, v63
	v_not_b32_e32 v191, v192
	s_delay_alu instid0(VALU_DEP_4) | instskip(NEXT) | instid1(VALU_DEP_4)
	v_dual_ashrrev_i32 v190, 31, v190 :: v_dual_bitop2_b32 v65, s18, v65 bitop3:0x14
	v_xor_b32_e32 v188, s19, v188
	v_xor_b32_e32 v189, s20, v189
	v_cmp_gt_i32_e32 vcc_lo, 0, v192
	s_delay_alu instid0(VALU_DEP_4) | instskip(SKIP_3) | instid1(VALU_DEP_4)
	v_bitop3_b32 v62, v62, v65, v63 bitop3:0x80
	v_ashrrev_i32_e32 v63, 31, v191
	v_mad_u32_u24 v65, v64, 36, v114
	v_xor_b32_e32 v190, s21, v190
	v_bitop3_b32 v62, v62, v189, v188 bitop3:0x80
	s_delay_alu instid0(VALU_DEP_4) | instskip(SKIP_3) | instid1(VALU_DEP_2)
	v_xor_b32_e32 v63, vcc_lo, v63
	ds_load_b32 v188, v65 offset:544
	; wave barrier
	v_bitop3_b32 v62, v62, v63, v190 bitop3:0x80
	v_mul_u32_u24_e32 v63, 36, v64
	v_mbcnt_lo_u32_b32 v189, v62, 0
	v_cmp_ne_u32_e64 s17, 0, v62
	s_delay_alu instid0(VALU_DEP_3) | instskip(NEXT) | instid1(VALU_DEP_3)
	v_add_nc_u32_e32 v191, v114, v63
	v_cmp_eq_u32_e32 vcc_lo, 0, v189
	s_and_b32 s18, s17, vcc_lo
	s_delay_alu instid0(SALU_CYCLE_1)
	s_and_saveexec_b32 s17, s18
	s_cbranch_execz .LBB84_1086
; %bb.1085:                             ;   in Loop: Header=BB84_1032 Depth=2
	s_wait_dscnt 0x0
	v_bcnt_u32_b32 v62, v62, v188
	ds_store_b32 v191, v62 offset:544
.LBB84_1086:                            ;   in Loop: Header=BB84_1032 Depth=2
	s_or_b32 exec_lo, exec_lo, s17
	v_lshrrev_b32_e32 v190, 24, v135
	; wave barrier
	s_delay_alu instid0(VALU_DEP_1) | instskip(NEXT) | instid1(VALU_DEP_1)
	v_lshrrev_b32_e32 v62, s49, v190
	v_and_b32_e32 v64, s48, v62
	s_delay_alu instid0(VALU_DEP_1) | instskip(SKIP_3) | instid1(VALU_DEP_3)
	v_lshlrev_b32_e32 v65, 30, v64
	v_bitop3_b32 v63, v62, 1, s48 bitop3:0x80
	v_dual_lshlrev_b32 v192, 29, v64 :: v_dual_lshlrev_b32 v193, 28, v64
	v_dual_lshlrev_b32 v194, 27, v64 :: v_dual_lshlrev_b32 v195, 26, v64
	v_add_co_u32 v62, s17, v63, -1
	s_delay_alu instid0(VALU_DEP_1)
	v_cndmask_b32_e64 v63, 0, 1, s17
	v_cmp_gt_i32_e64 s17, 0, v65
	v_cmp_gt_i32_e64 s18, 0, v192
	;; [unrolled: 1-line block ×4, first 2 shown]
	v_cmp_ne_u32_e32 vcc_lo, 0, v63
	v_not_b32_e32 v63, v65
	v_not_b32_e32 v65, v192
	v_lshlrev_b32_e32 v196, 25, v64
	v_not_b32_e32 v192, v193
	v_not_b32_e32 v193, v194
	s_delay_alu instid0(VALU_DEP_4)
	v_dual_ashrrev_i32 v63, 31, v63 :: v_dual_ashrrev_i32 v65, 31, v65
	v_cmp_gt_i32_e64 s21, 0, v195
	v_not_b32_e32 v194, v195
	v_bitop3_b32 v62, vcc_lo, exec_lo, v62 bitop3:0x48
	v_dual_ashrrev_i32 v192, 31, v192 :: v_dual_ashrrev_i32 v193, 31, v193
	v_xor_b32_e32 v63, s17, v63
	s_delay_alu instid0(VALU_DEP_4) | instskip(SKIP_1) | instid1(VALU_DEP_4)
	v_dual_ashrrev_i32 v194, 31, v194 :: v_dual_bitop2_b32 v65, s18, v65 bitop3:0x14
	v_not_b32_e32 v195, v196
	v_xor_b32_e32 v192, s19, v192
	v_xor_b32_e32 v193, s20, v193
	s_delay_alu instid0(VALU_DEP_4)
	v_bitop3_b32 v62, v62, v65, v63 bitop3:0x80
	v_cmp_gt_i32_e32 vcc_lo, 0, v196
	v_ashrrev_i32_e32 v63, 31, v195
	v_mad_u32_u24 v65, v64, 36, v114
	v_xor_b32_e32 v194, s21, v194
	v_bitop3_b32 v62, v62, v193, v192 bitop3:0x80
	s_delay_alu instid0(VALU_DEP_4) | instskip(SKIP_3) | instid1(VALU_DEP_2)
	v_xor_b32_e32 v63, vcc_lo, v63
	ds_load_b32 v192, v65 offset:544
	; wave barrier
	v_bitop3_b32 v62, v62, v63, v194 bitop3:0x80
	v_mul_u32_u24_e32 v63, 36, v64
	v_mbcnt_lo_u32_b32 v193, v62, 0
	v_cmp_ne_u32_e64 s17, 0, v62
	s_delay_alu instid0(VALU_DEP_3) | instskip(NEXT) | instid1(VALU_DEP_3)
	v_add_nc_u32_e32 v194, v114, v63
	v_cmp_eq_u32_e32 vcc_lo, 0, v193
	s_and_b32 s18, s17, vcc_lo
	s_delay_alu instid0(SALU_CYCLE_1)
	s_and_saveexec_b32 s17, s18
	s_cbranch_execz .LBB84_1088
; %bb.1087:                             ;   in Loop: Header=BB84_1032 Depth=2
	s_wait_dscnt 0x0
	v_bcnt_u32_b32 v62, v62, v192
	ds_store_b32 v194, v62 offset:544
.LBB84_1088:                            ;   in Loop: Header=BB84_1032 Depth=2
	s_or_b32 exec_lo, exec_lo, s17
	v_xor_b32_e32 v121, -1, v121
	; wave barrier
	s_delay_alu instid0(VALU_DEP_1) | instskip(NEXT) | instid1(VALU_DEP_1)
	v_and_b32_e32 v62, 0xff, v121
	v_lshrrev_b32_e32 v62, s49, v62
	s_delay_alu instid0(VALU_DEP_1) | instskip(SKIP_1) | instid1(VALU_DEP_2)
	v_bitop3_b32 v63, v62, 1, s48 bitop3:0x80
	v_and_b32_e32 v64, s48, v62
	v_add_co_u32 v62, s17, v63, -1
	s_delay_alu instid0(VALU_DEP_1) | instskip(NEXT) | instid1(VALU_DEP_3)
	v_cndmask_b32_e64 v63, 0, 1, s17
	v_lshlrev_b32_e32 v65, 30, v64
	s_delay_alu instid0(VALU_DEP_2) | instskip(NEXT) | instid1(VALU_DEP_2)
	v_cmp_ne_u32_e32 vcc_lo, 0, v63
	v_not_b32_e32 v63, v65
	v_bitop3_b32 v62, vcc_lo, exec_lo, v62 bitop3:0x48
	s_delay_alu instid0(VALU_DEP_2) | instskip(SKIP_3) | instid1(VALU_DEP_4)
	v_dual_ashrrev_i32 v63, 31, v63 :: v_dual_lshlrev_b32 v195, 29, v64
	v_dual_lshlrev_b32 v196, 28, v64 :: v_dual_lshlrev_b32 v197, 27, v64
	v_cmp_gt_i32_e64 s17, 0, v65
	v_dual_lshlrev_b32 v198, 26, v64 :: v_dual_lshlrev_b32 v199, 25, v64
	v_not_b32_e32 v65, v195
	v_cmp_gt_i32_e64 s18, 0, v195
	v_cmp_gt_i32_e64 s19, 0, v196
	v_not_b32_e32 v195, v196
	v_not_b32_e32 v196, v197
	v_ashrrev_i32_e32 v65, 31, v65
	v_cmp_gt_i32_e64 s20, 0, v197
	v_cmp_gt_i32_e64 s21, 0, v198
	v_not_b32_e32 v197, v198
	v_not_b32_e32 v198, v199
	v_dual_ashrrev_i32 v195, 31, v195 :: v_dual_ashrrev_i32 v196, 31, v196
	v_xor_b32_e32 v63, s17, v63
	s_delay_alu instid0(VALU_DEP_3) | instskip(SKIP_1) | instid1(VALU_DEP_4)
	v_dual_ashrrev_i32 v198, 31, v198 :: v_dual_bitop2_b32 v65, s18, v65 bitop3:0x14
	v_cmp_gt_i32_e64 s22, 0, v199
	v_dual_ashrrev_i32 v197, 31, v197 :: v_dual_bitop2_b32 v195, s19, v195 bitop3:0x14
	v_xor_b32_e32 v196, s20, v196
	s_delay_alu instid0(VALU_DEP_4) | instskip(SKIP_1) | instid1(VALU_DEP_4)
	v_bitop3_b32 v62, v62, v65, v63 bitop3:0x80
	v_mad_u32_u24 v63, v64, 36, v114
	v_xor_b32_e32 v65, s21, v197
	v_xor_b32_e32 v197, s22, v198
	s_delay_alu instid0(VALU_DEP_4) | instskip(SKIP_3) | instid1(VALU_DEP_2)
	v_bitop3_b32 v62, v62, v196, v195 bitop3:0x80
	ds_load_b32 v195, v63 offset:544
	v_mul_u32_u24_e32 v63, 36, v64
	; wave barrier
	v_bitop3_b32 v62, v62, v197, v65 bitop3:0x80
	v_add_nc_u32_e32 v197, v114, v63
	s_delay_alu instid0(VALU_DEP_2) | instskip(SKIP_1) | instid1(VALU_DEP_2)
	v_mbcnt_lo_u32_b32 v196, v62, 0
	v_cmp_ne_u32_e64 s17, 0, v62
	v_cmp_eq_u32_e32 vcc_lo, 0, v196
	s_and_b32 s18, s17, vcc_lo
	s_delay_alu instid0(SALU_CYCLE_1)
	s_and_saveexec_b32 s17, s18
	s_cbranch_execz .LBB84_1090
; %bb.1089:                             ;   in Loop: Header=BB84_1032 Depth=2
	s_wait_dscnt 0x0
	v_bcnt_u32_b32 v62, v62, v195
	ds_store_b32 v197, v62 offset:544
.LBB84_1090:                            ;   in Loop: Header=BB84_1032 Depth=2
	s_or_b32 exec_lo, exec_lo, s17
	; wave barrier
	s_wait_dscnt 0x0
	s_barrier_signal -1
	s_barrier_wait -1
	ds_load_2addr_b32 v[64:65], v90 offset0:136 offset1:137
	ds_load_2addr_b32 v[62:63], v90 offset0:138 offset1:139
	ds_load_b32 v198, v90 offset:560
	s_wait_dscnt 0x1
	v_add3_u32 v199, v65, v64, v62
	s_wait_dscnt 0x0
	s_delay_alu instid0(VALU_DEP_1) | instskip(NEXT) | instid1(VALU_DEP_1)
	v_add3_u32 v198, v199, v63, v198
	v_mov_b32_dpp v199, v198 row_shr:1 row_mask:0xf bank_mask:0xf
	s_delay_alu instid0(VALU_DEP_1) | instskip(NEXT) | instid1(VALU_DEP_1)
	v_cndmask_b32_e64 v199, v199, 0, s8
	v_add_nc_u32_e32 v198, v199, v198
	s_delay_alu instid0(VALU_DEP_1) | instskip(NEXT) | instid1(VALU_DEP_1)
	v_mov_b32_dpp v199, v198 row_shr:2 row_mask:0xf bank_mask:0xf
	v_cndmask_b32_e64 v199, 0, v199, s9
	s_delay_alu instid0(VALU_DEP_1) | instskip(NEXT) | instid1(VALU_DEP_1)
	v_add_nc_u32_e32 v198, v198, v199
	v_mov_b32_dpp v199, v198 row_shr:4 row_mask:0xf bank_mask:0xf
	s_delay_alu instid0(VALU_DEP_1) | instskip(NEXT) | instid1(VALU_DEP_1)
	v_cndmask_b32_e64 v199, 0, v199, s10
	v_add_nc_u32_e32 v198, v198, v199
	s_delay_alu instid0(VALU_DEP_1) | instskip(NEXT) | instid1(VALU_DEP_1)
	v_mov_b32_dpp v199, v198 row_shr:8 row_mask:0xf bank_mask:0xf
	v_cndmask_b32_e64 v199, 0, v199, s11
	s_delay_alu instid0(VALU_DEP_1) | instskip(SKIP_3) | instid1(VALU_DEP_1)
	v_add_nc_u32_e32 v198, v198, v199
	ds_swizzle_b32 v199, v198 offset:swizzle(BROADCAST,32,15)
	s_wait_dscnt 0x0
	v_cndmask_b32_e64 v199, v199, 0, s12
	v_add_nc_u32_e32 v198, v198, v199
	s_and_saveexec_b32 s17, s2
; %bb.1091:                             ;   in Loop: Header=BB84_1032 Depth=2
	ds_store_b32 v83, v198 offset:512
; %bb.1092:                             ;   in Loop: Header=BB84_1032 Depth=2
	s_or_b32 exec_lo, exec_lo, s17
	s_wait_dscnt 0x0
	s_barrier_signal -1
	s_barrier_wait -1
	s_and_saveexec_b32 s17, s3
	s_cbranch_execz .LBB84_1094
; %bb.1093:                             ;   in Loop: Header=BB84_1032 Depth=2
	ds_load_b32 v199, v92 offset:512
	s_wait_dscnt 0x0
	v_mov_b32_dpp v200, v199 row_shr:1 row_mask:0xf bank_mask:0xf
	s_delay_alu instid0(VALU_DEP_1) | instskip(NEXT) | instid1(VALU_DEP_1)
	v_cndmask_b32_e64 v200, v200, 0, s14
	v_add_nc_u32_e32 v199, v200, v199
	s_delay_alu instid0(VALU_DEP_1) | instskip(NEXT) | instid1(VALU_DEP_1)
	v_mov_b32_dpp v200, v199 row_shr:2 row_mask:0xf bank_mask:0xf
	v_cndmask_b32_e64 v200, 0, v200, s15
	s_delay_alu instid0(VALU_DEP_1) | instskip(NEXT) | instid1(VALU_DEP_1)
	v_add_nc_u32_e32 v199, v199, v200
	v_mov_b32_dpp v200, v199 row_shr:4 row_mask:0xf bank_mask:0xf
	s_delay_alu instid0(VALU_DEP_1) | instskip(NEXT) | instid1(VALU_DEP_1)
	v_cndmask_b32_e64 v200, 0, v200, s16
	v_add_nc_u32_e32 v199, v199, v200
	ds_store_b32 v92, v199 offset:512
.LBB84_1094:                            ;   in Loop: Header=BB84_1032 Depth=2
	s_or_b32 exec_lo, exec_lo, s17
	v_mov_b32_e32 v199, 0
	s_wait_dscnt 0x0
	s_barrier_signal -1
	s_barrier_wait -1
	s_and_saveexec_b32 s17, s5
; %bb.1095:                             ;   in Loop: Header=BB84_1032 Depth=2
	ds_load_b32 v199, v83 offset:508
; %bb.1096:                             ;   in Loop: Header=BB84_1032 Depth=2
	s_or_b32 exec_lo, exec_lo, s17
	s_wait_dscnt 0x0
	v_add_nc_u32_e32 v198, v199, v198
	ds_bpermute_b32 v198, v96, v198
	s_wait_dscnt 0x0
	v_cndmask_b32_e64 v198, v198, v199, s13
	s_delay_alu instid0(VALU_DEP_1) | instskip(NEXT) | instid1(VALU_DEP_1)
	v_cndmask_b32_e64 v198, v198, 0, s6
	v_add_nc_u32_e32 v64, v198, v64
	s_delay_alu instid0(VALU_DEP_1) | instskip(NEXT) | instid1(VALU_DEP_1)
	v_add_nc_u32_e32 v65, v64, v65
	v_add_nc_u32_e32 v62, v65, v62
	s_delay_alu instid0(VALU_DEP_1)
	v_add_nc_u32_e32 v63, v62, v63
	ds_store_2addr_b32 v90, v198, v64 offset0:136 offset1:137
	ds_store_2addr_b32 v90, v65, v62 offset0:138 offset1:139
	ds_store_b32 v90, v63 offset:560
	s_wait_dscnt 0x0
	s_barrier_signal -1
	s_barrier_wait -1
	ds_load_b32 v62, v149 offset:544
	ds_load_b32 v63, v152 offset:544
	;; [unrolled: 1-line block ×17, first 2 shown]
	s_and_saveexec_b32 s17, s0
	s_cbranch_execz .LBB84_1100
; %bb.1097:                             ;   in Loop: Header=BB84_1032 Depth=2
	v_dual_mov_b32 v134, 0x1100 :: v_dual_add_nc_u32 v133, v92, v94
	ds_load_b32 v133, v133 offset:544
	s_and_saveexec_b32 s18, s7
; %bb.1098:                             ;   in Loop: Header=BB84_1032 Depth=2
	ds_load_b32 v134, v93 offset:544
; %bb.1099:                             ;   in Loop: Header=BB84_1032 Depth=2
	s_or_b32 exec_lo, exec_lo, s18
	s_wait_dscnt 0x0
	v_sub_nc_u32_e32 v134, v134, v133
.LBB84_1100:                            ;   in Loop: Header=BB84_1032 Depth=2
	s_or_b32 exec_lo, exec_lo, s17
	v_dual_lshrrev_b32 v202, 8, v148 :: v_dual_lshrrev_b32 v203, 16, v148
	v_dual_lshrrev_b32 v200, 8, v143 :: v_dual_lshrrev_b32 v201, 16, v143
	;; [unrolled: 1-line block ×4, first 2 shown]
	s_wait_dscnt 0x0
	s_barrier_signal -1
	s_barrier_wait -1
	s_and_saveexec_b32 s17, s0
	s_cbranch_execz .LBB84_1102
; %bb.1101:                             ;   in Loop: Header=BB84_1032 Depth=2
	ds_load_b32 v135, v66
	s_wait_dscnt 0x0
	v_sub_nc_u32_e32 v135, v135, v133
	ds_store_b32 v66, v135
.LBB84_1102:                            ;   in Loop: Header=BB84_1032 Depth=2
	s_or_b32 exec_lo, exec_lo, s17
	v_add_nc_u32_e32 v156, v62, v146
	v_add3_u32 v152, v151, v150, v63
	v_add3_u32 v151, v154, v153, v64
	;; [unrolled: 1-line block ×16, first 2 shown]
	v_cmp_lt_u32_e32 vcc_lo, v2, v137
	ds_store_b8 v156, v147 offset:512
	ds_store_b8 v152, v202 offset:512
	;; [unrolled: 1-line block ×17, first 2 shown]
	s_wait_dscnt 0x0
	s_barrier_signal -1
	s_barrier_wait -1
	s_and_saveexec_b32 s17, vcc_lo
	s_cbranch_execnz .LBB84_1175
; %bb.1103:                             ;   in Loop: Header=BB84_1032 Depth=2
	s_or_b32 exec_lo, exec_lo, s17
	v_cmp_lt_u32_e64 s17, v67, v137
	s_and_saveexec_b32 s18, s17
	s_cbranch_execnz .LBB84_1176
.LBB84_1104:                            ;   in Loop: Header=BB84_1032 Depth=2
	s_or_b32 exec_lo, exec_lo, s18
	v_cmp_lt_u32_e64 s18, v68, v137
	s_and_saveexec_b32 s19, s18
	s_cbranch_execnz .LBB84_1177
.LBB84_1105:                            ;   in Loop: Header=BB84_1032 Depth=2
	s_or_b32 exec_lo, exec_lo, s19
	v_cmp_lt_u32_e64 s19, v69, v137
	s_and_saveexec_b32 s20, s19
	s_cbranch_execnz .LBB84_1178
.LBB84_1106:                            ;   in Loop: Header=BB84_1032 Depth=2
	s_or_b32 exec_lo, exec_lo, s20
	v_cmp_lt_u32_e64 s20, v70, v137
	s_and_saveexec_b32 s21, s20
	s_cbranch_execnz .LBB84_1179
.LBB84_1107:                            ;   in Loop: Header=BB84_1032 Depth=2
	s_or_b32 exec_lo, exec_lo, s21
	v_cmp_lt_u32_e64 s21, v71, v137
	s_and_saveexec_b32 s22, s21
	s_cbranch_execnz .LBB84_1180
.LBB84_1108:                            ;   in Loop: Header=BB84_1032 Depth=2
	s_or_b32 exec_lo, exec_lo, s22
	v_cmp_lt_u32_e64 s22, v72, v137
	s_and_saveexec_b32 s23, s22
	s_cbranch_execnz .LBB84_1181
.LBB84_1109:                            ;   in Loop: Header=BB84_1032 Depth=2
	s_or_b32 exec_lo, exec_lo, s23
	v_cmp_lt_u32_e64 s23, v73, v137
	s_and_saveexec_b32 s24, s23
	s_cbranch_execnz .LBB84_1182
.LBB84_1110:                            ;   in Loop: Header=BB84_1032 Depth=2
	s_or_b32 exec_lo, exec_lo, s24
	v_cmp_lt_u32_e64 s24, v74, v137
	s_and_saveexec_b32 s25, s24
	s_cbranch_execnz .LBB84_1183
.LBB84_1111:                            ;   in Loop: Header=BB84_1032 Depth=2
	s_or_b32 exec_lo, exec_lo, s25
	v_cmp_lt_u32_e64 s25, v75, v137
	s_and_saveexec_b32 s26, s25
	s_cbranch_execnz .LBB84_1184
.LBB84_1112:                            ;   in Loop: Header=BB84_1032 Depth=2
	s_or_b32 exec_lo, exec_lo, s26
	v_cmp_lt_u32_e64 s26, v76, v137
	s_and_saveexec_b32 s27, s26
	s_cbranch_execnz .LBB84_1185
.LBB84_1113:                            ;   in Loop: Header=BB84_1032 Depth=2
	s_or_b32 exec_lo, exec_lo, s27
	v_cmp_lt_u32_e64 s27, v77, v137
	s_and_saveexec_b32 s28, s27
	s_cbranch_execnz .LBB84_1186
.LBB84_1114:                            ;   in Loop: Header=BB84_1032 Depth=2
	s_or_b32 exec_lo, exec_lo, s28
	v_cmp_lt_u32_e64 s28, v78, v137
	s_and_saveexec_b32 s29, s28
	s_cbranch_execnz .LBB84_1187
.LBB84_1115:                            ;   in Loop: Header=BB84_1032 Depth=2
	s_or_b32 exec_lo, exec_lo, s29
	v_cmp_lt_u32_e64 s29, v79, v137
	s_and_saveexec_b32 s30, s29
	s_cbranch_execnz .LBB84_1188
.LBB84_1116:                            ;   in Loop: Header=BB84_1032 Depth=2
	s_or_b32 exec_lo, exec_lo, s30
	v_cmp_lt_u32_e64 s30, v80, v137
	s_and_saveexec_b32 s31, s30
	s_cbranch_execnz .LBB84_1189
.LBB84_1117:                            ;   in Loop: Header=BB84_1032 Depth=2
	s_or_b32 exec_lo, exec_lo, s31
	v_cmp_lt_u32_e64 s31, v81, v137
	s_and_saveexec_b32 s33, s31
	s_cbranch_execnz .LBB84_1190
.LBB84_1118:                            ;   in Loop: Header=BB84_1032 Depth=2
	s_or_b32 exec_lo, exec_lo, s33
	v_cmp_lt_u32_e64 s33, v82, v137
	s_and_saveexec_b32 s60, s33
	s_cbranch_execz .LBB84_1120
.LBB84_1119:                            ;   in Loop: Header=BB84_1032 Depth=2
	ds_load_u8 v62, v2 offset:4608
	s_wait_dscnt 0x0
	v_and_b32_e32 v63, 0xff, v62
	s_delay_alu instid0(VALU_DEP_1) | instskip(NEXT) | instid1(VALU_DEP_1)
	v_dual_lshrrev_b32 v63, s49, v63 :: v_dual_bitop2_b32 v62, -1, v62 bitop3:0x14
	v_and_b32_e32 v63, s48, v63
	s_delay_alu instid0(VALU_DEP_1)
	v_lshlrev_b32_e32 v63, 2, v63
	ds_load_b32 v63, v63
	s_wait_dscnt 0x0
	v_add_nc_u32_e32 v63, v63, v82
	global_store_b8 v63, v62, s[40:41]
.LBB84_1120:                            ;   in Loop: Header=BB84_1032 Depth=2
	s_wait_xcnt 0x0
	s_or_b32 exec_lo, exec_lo, s60
	v_lshl_add_u64 v[62:63], s[34:35], 3, v[26:27]
	v_cmp_lt_u32_e64 s34, v97, v137
	s_and_saveexec_b32 s60, s34
	s_delay_alu instid0(SALU_CYCLE_1)
	s_xor_b32 s34, exec_lo, s60
	s_cbranch_execnz .LBB84_1191
; %bb.1121:                             ;   in Loop: Header=BB84_1032 Depth=2
	s_or_b32 exec_lo, exec_lo, s34
	s_delay_alu instid0(SALU_CYCLE_1)
	s_mov_b32 s60, exec_lo
	v_cmpx_lt_u32_e64 v98, v137
	s_cbranch_execnz .LBB84_1192
.LBB84_1122:                            ;   in Loop: Header=BB84_1032 Depth=2
	s_or_b32 exec_lo, exec_lo, s60
	s_delay_alu instid0(SALU_CYCLE_1)
	s_mov_b32 s60, exec_lo
	v_cmpx_lt_u32_e64 v99, v137
	s_cbranch_execnz .LBB84_1193
.LBB84_1123:                            ;   in Loop: Header=BB84_1032 Depth=2
	s_or_b32 exec_lo, exec_lo, s60
	s_delay_alu instid0(SALU_CYCLE_1)
	s_mov_b32 s60, exec_lo
	v_cmpx_lt_u32_e64 v100, v137
	s_cbranch_execnz .LBB84_1194
.LBB84_1124:                            ;   in Loop: Header=BB84_1032 Depth=2
	s_or_b32 exec_lo, exec_lo, s60
	s_delay_alu instid0(SALU_CYCLE_1)
	s_mov_b32 s60, exec_lo
	v_cmpx_lt_u32_e64 v101, v137
	s_cbranch_execnz .LBB84_1195
.LBB84_1125:                            ;   in Loop: Header=BB84_1032 Depth=2
	s_or_b32 exec_lo, exec_lo, s60
	s_delay_alu instid0(SALU_CYCLE_1)
	s_mov_b32 s60, exec_lo
	v_cmpx_lt_u32_e64 v102, v137
	s_cbranch_execnz .LBB84_1196
.LBB84_1126:                            ;   in Loop: Header=BB84_1032 Depth=2
	s_or_b32 exec_lo, exec_lo, s60
	s_delay_alu instid0(SALU_CYCLE_1)
	s_mov_b32 s60, exec_lo
	v_cmpx_lt_u32_e64 v103, v137
	s_cbranch_execnz .LBB84_1197
.LBB84_1127:                            ;   in Loop: Header=BB84_1032 Depth=2
	s_or_b32 exec_lo, exec_lo, s60
	s_delay_alu instid0(SALU_CYCLE_1)
	s_mov_b32 s60, exec_lo
	v_cmpx_lt_u32_e64 v104, v137
	s_cbranch_execnz .LBB84_1198
.LBB84_1128:                            ;   in Loop: Header=BB84_1032 Depth=2
	s_or_b32 exec_lo, exec_lo, s60
	s_delay_alu instid0(SALU_CYCLE_1)
	s_mov_b32 s60, exec_lo
	v_cmpx_lt_u32_e64 v105, v137
	s_cbranch_execnz .LBB84_1199
.LBB84_1129:                            ;   in Loop: Header=BB84_1032 Depth=2
	s_or_b32 exec_lo, exec_lo, s60
	s_delay_alu instid0(SALU_CYCLE_1)
	s_mov_b32 s60, exec_lo
	v_cmpx_lt_u32_e64 v106, v137
	s_cbranch_execnz .LBB84_1200
.LBB84_1130:                            ;   in Loop: Header=BB84_1032 Depth=2
	s_or_b32 exec_lo, exec_lo, s60
	s_delay_alu instid0(SALU_CYCLE_1)
	s_mov_b32 s60, exec_lo
	v_cmpx_lt_u32_e64 v107, v137
	s_cbranch_execnz .LBB84_1201
.LBB84_1131:                            ;   in Loop: Header=BB84_1032 Depth=2
	s_or_b32 exec_lo, exec_lo, s60
	s_delay_alu instid0(SALU_CYCLE_1)
	s_mov_b32 s60, exec_lo
	v_cmpx_lt_u32_e64 v108, v137
	s_cbranch_execnz .LBB84_1202
.LBB84_1132:                            ;   in Loop: Header=BB84_1032 Depth=2
	s_or_b32 exec_lo, exec_lo, s60
	s_delay_alu instid0(SALU_CYCLE_1)
	s_mov_b32 s60, exec_lo
	v_cmpx_lt_u32_e64 v109, v137
	s_cbranch_execnz .LBB84_1203
.LBB84_1133:                            ;   in Loop: Header=BB84_1032 Depth=2
	s_or_b32 exec_lo, exec_lo, s60
	s_delay_alu instid0(SALU_CYCLE_1)
	s_mov_b32 s60, exec_lo
	v_cmpx_lt_u32_e64 v110, v137
	s_cbranch_execnz .LBB84_1204
.LBB84_1134:                            ;   in Loop: Header=BB84_1032 Depth=2
	s_or_b32 exec_lo, exec_lo, s60
	s_delay_alu instid0(SALU_CYCLE_1)
	s_mov_b32 s60, exec_lo
	v_cmpx_lt_u32_e64 v111, v137
	s_cbranch_execnz .LBB84_1205
.LBB84_1135:                            ;   in Loop: Header=BB84_1032 Depth=2
	s_or_b32 exec_lo, exec_lo, s60
	s_delay_alu instid0(SALU_CYCLE_1)
	s_mov_b32 s60, exec_lo
	v_cmpx_lt_u32_e64 v112, v137
	s_cbranch_execnz .LBB84_1206
.LBB84_1136:                            ;   in Loop: Header=BB84_1032 Depth=2
	s_or_b32 exec_lo, exec_lo, s60
	s_delay_alu instid0(SALU_CYCLE_1)
	s_mov_b32 s60, exec_lo
	v_cmpx_lt_u32_e64 v113, v137
	s_cbranch_execnz .LBB84_1207
.LBB84_1137:                            ;   in Loop: Header=BB84_1032 Depth=2
	s_or_b32 exec_lo, exec_lo, s60
	s_and_saveexec_b32 s34, vcc_lo
	s_cbranch_execnz .LBB84_1208
.LBB84_1138:                            ;   in Loop: Header=BB84_1032 Depth=2
	s_or_b32 exec_lo, exec_lo, s34
	s_and_saveexec_b32 s34, s17
	s_cbranch_execnz .LBB84_1209
.LBB84_1139:                            ;   in Loop: Header=BB84_1032 Depth=2
	s_or_b32 exec_lo, exec_lo, s34
	s_and_saveexec_b32 s34, s18
	s_cbranch_execnz .LBB84_1210
.LBB84_1140:                            ;   in Loop: Header=BB84_1032 Depth=2
	s_or_b32 exec_lo, exec_lo, s34
	s_and_saveexec_b32 s34, s19
	s_cbranch_execnz .LBB84_1211
.LBB84_1141:                            ;   in Loop: Header=BB84_1032 Depth=2
	s_or_b32 exec_lo, exec_lo, s34
	s_and_saveexec_b32 s34, s20
	s_cbranch_execnz .LBB84_1212
.LBB84_1142:                            ;   in Loop: Header=BB84_1032 Depth=2
	s_or_b32 exec_lo, exec_lo, s34
	s_and_saveexec_b32 s34, s21
	s_cbranch_execnz .LBB84_1213
.LBB84_1143:                            ;   in Loop: Header=BB84_1032 Depth=2
	s_or_b32 exec_lo, exec_lo, s34
	s_and_saveexec_b32 s34, s22
	s_cbranch_execnz .LBB84_1214
.LBB84_1144:                            ;   in Loop: Header=BB84_1032 Depth=2
	s_or_b32 exec_lo, exec_lo, s34
	s_and_saveexec_b32 s34, s23
	s_cbranch_execnz .LBB84_1215
.LBB84_1145:                            ;   in Loop: Header=BB84_1032 Depth=2
	s_or_b32 exec_lo, exec_lo, s34
	s_and_saveexec_b32 s34, s24
	s_cbranch_execnz .LBB84_1216
.LBB84_1146:                            ;   in Loop: Header=BB84_1032 Depth=2
	s_or_b32 exec_lo, exec_lo, s34
	s_and_saveexec_b32 s34, s25
	s_cbranch_execnz .LBB84_1217
.LBB84_1147:                            ;   in Loop: Header=BB84_1032 Depth=2
	s_or_b32 exec_lo, exec_lo, s34
	s_and_saveexec_b32 s34, s26
	s_cbranch_execnz .LBB84_1218
.LBB84_1148:                            ;   in Loop: Header=BB84_1032 Depth=2
	s_or_b32 exec_lo, exec_lo, s34
	s_and_saveexec_b32 s34, s27
	s_cbranch_execnz .LBB84_1219
.LBB84_1149:                            ;   in Loop: Header=BB84_1032 Depth=2
	s_or_b32 exec_lo, exec_lo, s34
	s_and_saveexec_b32 s34, s28
	s_cbranch_execnz .LBB84_1220
.LBB84_1150:                            ;   in Loop: Header=BB84_1032 Depth=2
	s_or_b32 exec_lo, exec_lo, s34
	s_and_saveexec_b32 s34, s29
	s_cbranch_execnz .LBB84_1221
.LBB84_1151:                            ;   in Loop: Header=BB84_1032 Depth=2
	s_or_b32 exec_lo, exec_lo, s34
	s_and_saveexec_b32 s34, s30
	s_cbranch_execnz .LBB84_1222
.LBB84_1152:                            ;   in Loop: Header=BB84_1032 Depth=2
	s_or_b32 exec_lo, exec_lo, s34
	s_and_saveexec_b32 s34, s31
	s_cbranch_execnz .LBB84_1223
.LBB84_1153:                            ;   in Loop: Header=BB84_1032 Depth=2
	s_or_b32 exec_lo, exec_lo, s34
	s_and_saveexec_b32 s34, s33
	s_cbranch_execz .LBB84_1155
.LBB84_1154:                            ;   in Loop: Header=BB84_1032 Depth=2
	ds_load_u8 v62, v2 offset:4608
	s_wait_dscnt 0x0
	v_lshrrev_b32_e32 v62, s49, v62
	s_delay_alu instid0(VALU_DEP_1)
	v_and_b32_e32 v115, s48, v62
.LBB84_1155:                            ;   in Loop: Header=BB84_1032 Depth=2
	s_or_b32 exec_lo, exec_lo, s34
	v_lshlrev_b32_e32 v62, 3, v156
	v_lshlrev_b32_e32 v63, 3, v152
	s_wait_loadcnt 0x0
	s_wait_storecnt 0x0
	s_barrier_signal -1
	s_barrier_wait -1
	ds_store_b64 v62, v[60:61] offset:512
	ds_store_b64 v63, v[58:59] offset:512
	v_dual_lshlrev_b32 v62, 3, v151 :: v_dual_lshlrev_b32 v63, 3, v150
	v_dual_lshlrev_b32 v137, 3, v149 :: v_dual_lshlrev_b32 v138, 3, v148
	v_lshlrev_b32_e32 v142, 3, v146
	ds_store_b64 v62, v[56:57] offset:512
	ds_store_b64 v63, v[54:55] offset:512
	ds_store_b64 v137, v[52:53] offset:512
	ds_store_b64 v138, v[50:51] offset:512
	ds_store_b64 v142, v[48:49] offset:512
	v_dual_lshlrev_b32 v62, 3, v145 :: v_dual_lshlrev_b32 v63, 3, v144
	v_dual_lshlrev_b32 v137, 3, v143 :: v_dual_lshlrev_b32 v138, 3, v141
	v_lshlrev_b32_e32 v140, 3, v140
	ds_store_b64 v62, v[46:47] offset:512
	ds_store_b64 v63, v[44:45] offset:512
	ds_store_b64 v137, v[42:43] offset:512
	;; [unrolled: 8-line block ×3, first 2 shown]
	ds_store_b64 v65, v[30:31] offset:512
	ds_store_b64 v64, v[28:29] offset:512
	v_add_nc_u32_e32 v62, v2, v95
	s_wait_dscnt 0x0
	s_barrier_signal -1
	s_barrier_wait -1
	s_and_saveexec_b32 s34, vcc_lo
	s_cbranch_execnz .LBB84_1224
; %bb.1156:                             ;   in Loop: Header=BB84_1032 Depth=2
	s_or_b32 exec_lo, exec_lo, s34
	s_and_saveexec_b32 s34, s17
	s_cbranch_execnz .LBB84_1225
.LBB84_1157:                            ;   in Loop: Header=BB84_1032 Depth=2
	s_or_b32 exec_lo, exec_lo, s34
	s_and_saveexec_b32 s17, s18
	s_cbranch_execnz .LBB84_1226
.LBB84_1158:                            ;   in Loop: Header=BB84_1032 Depth=2
	s_or_b32 exec_lo, exec_lo, s17
	s_and_saveexec_b32 s17, s19
	s_cbranch_execnz .LBB84_1227
.LBB84_1159:                            ;   in Loop: Header=BB84_1032 Depth=2
	s_or_b32 exec_lo, exec_lo, s17
	s_and_saveexec_b32 s17, s20
	s_cbranch_execnz .LBB84_1228
.LBB84_1160:                            ;   in Loop: Header=BB84_1032 Depth=2
	s_or_b32 exec_lo, exec_lo, s17
	s_and_saveexec_b32 s17, s21
	s_cbranch_execnz .LBB84_1229
.LBB84_1161:                            ;   in Loop: Header=BB84_1032 Depth=2
	s_or_b32 exec_lo, exec_lo, s17
	s_and_saveexec_b32 s17, s22
	s_cbranch_execnz .LBB84_1230
.LBB84_1162:                            ;   in Loop: Header=BB84_1032 Depth=2
	s_or_b32 exec_lo, exec_lo, s17
	s_and_saveexec_b32 s17, s23
	s_cbranch_execnz .LBB84_1231
.LBB84_1163:                            ;   in Loop: Header=BB84_1032 Depth=2
	s_or_b32 exec_lo, exec_lo, s17
	s_and_saveexec_b32 s17, s24
	s_cbranch_execnz .LBB84_1232
.LBB84_1164:                            ;   in Loop: Header=BB84_1032 Depth=2
	s_or_b32 exec_lo, exec_lo, s17
	s_and_saveexec_b32 s17, s25
	s_cbranch_execnz .LBB84_1233
.LBB84_1165:                            ;   in Loop: Header=BB84_1032 Depth=2
	s_or_b32 exec_lo, exec_lo, s17
	s_and_saveexec_b32 s17, s26
	s_cbranch_execnz .LBB84_1234
.LBB84_1166:                            ;   in Loop: Header=BB84_1032 Depth=2
	s_or_b32 exec_lo, exec_lo, s17
	s_and_saveexec_b32 s17, s27
	s_cbranch_execnz .LBB84_1235
.LBB84_1167:                            ;   in Loop: Header=BB84_1032 Depth=2
	s_or_b32 exec_lo, exec_lo, s17
	s_and_saveexec_b32 s17, s28
	s_cbranch_execnz .LBB84_1236
.LBB84_1168:                            ;   in Loop: Header=BB84_1032 Depth=2
	s_or_b32 exec_lo, exec_lo, s17
	s_and_saveexec_b32 s17, s29
	s_cbranch_execnz .LBB84_1237
.LBB84_1169:                            ;   in Loop: Header=BB84_1032 Depth=2
	s_or_b32 exec_lo, exec_lo, s17
	s_and_saveexec_b32 s17, s30
	s_cbranch_execnz .LBB84_1238
.LBB84_1170:                            ;   in Loop: Header=BB84_1032 Depth=2
	s_or_b32 exec_lo, exec_lo, s17
	s_and_saveexec_b32 s17, s31
	s_cbranch_execnz .LBB84_1239
.LBB84_1171:                            ;   in Loop: Header=BB84_1032 Depth=2
	s_or_b32 exec_lo, exec_lo, s17
	s_and_saveexec_b32 s17, s33
	s_cbranch_execz .LBB84_1173
.LBB84_1172:                            ;   in Loop: Header=BB84_1032 Depth=2
	v_lshlrev_b32_e32 v63, 2, v115
	ds_load_b32 v64, v63
	ds_load_b64 v[62:63], v62 offset:33280
	s_wait_dscnt 0x1
	v_add_nc_u32_e32 v64, v64, v82
	s_wait_dscnt 0x0
	global_store_b64 v64, v[62:63], s[46:47] scale_offset
.LBB84_1173:                            ;   in Loop: Header=BB84_1032 Depth=2
	s_wait_xcnt 0x0
	s_or_b32 exec_lo, exec_lo, s17
	s_wait_storecnt 0x0
	s_barrier_signal -1
	s_barrier_wait -1
	s_and_saveexec_b32 s17, s0
	s_cbranch_execz .LBB84_1031
; %bb.1174:                             ;   in Loop: Header=BB84_1032 Depth=2
	ds_load_b32 v62, v66
	s_wait_dscnt 0x0
	v_add3_u32 v62, v133, v134, v62
	ds_store_b32 v66, v62
	s_branch .LBB84_1031
.LBB84_1175:                            ;   in Loop: Header=BB84_1032 Depth=2
	ds_load_u8 v62, v2 offset:512
	s_wait_dscnt 0x0
	v_and_b32_e32 v63, 0xff, v62
	s_delay_alu instid0(VALU_DEP_1) | instskip(NEXT) | instid1(VALU_DEP_1)
	v_dual_lshrrev_b32 v63, s49, v63 :: v_dual_bitop2_b32 v62, -1, v62 bitop3:0x14
	v_and_b32_e32 v63, s48, v63
	s_delay_alu instid0(VALU_DEP_1)
	v_lshlrev_b32_e32 v63, 2, v63
	ds_load_b32 v63, v63
	s_wait_dscnt 0x0
	v_add_nc_u32_e32 v63, v63, v2
	global_store_b8 v63, v62, s[40:41]
	s_wait_xcnt 0x0
	s_or_b32 exec_lo, exec_lo, s17
	v_cmp_lt_u32_e64 s17, v67, v137
	s_and_saveexec_b32 s18, s17
	s_cbranch_execz .LBB84_1104
.LBB84_1176:                            ;   in Loop: Header=BB84_1032 Depth=2
	ds_load_u8 v62, v2 offset:768
	s_wait_dscnt 0x0
	v_and_b32_e32 v63, 0xff, v62
	s_delay_alu instid0(VALU_DEP_1) | instskip(NEXT) | instid1(VALU_DEP_1)
	v_dual_lshrrev_b32 v63, s49, v63 :: v_dual_bitop2_b32 v62, -1, v62 bitop3:0x14
	v_and_b32_e32 v63, s48, v63
	s_delay_alu instid0(VALU_DEP_1)
	v_lshlrev_b32_e32 v63, 2, v63
	ds_load_b32 v63, v63
	s_wait_dscnt 0x0
	v_add_nc_u32_e32 v63, v63, v67
	global_store_b8 v63, v62, s[40:41]
	s_wait_xcnt 0x0
	s_or_b32 exec_lo, exec_lo, s18
	v_cmp_lt_u32_e64 s18, v68, v137
	s_and_saveexec_b32 s19, s18
	s_cbranch_execz .LBB84_1105
.LBB84_1177:                            ;   in Loop: Header=BB84_1032 Depth=2
	ds_load_u8 v62, v2 offset:1024
	s_wait_dscnt 0x0
	v_and_b32_e32 v63, 0xff, v62
	s_delay_alu instid0(VALU_DEP_1) | instskip(NEXT) | instid1(VALU_DEP_1)
	v_dual_lshrrev_b32 v63, s49, v63 :: v_dual_bitop2_b32 v62, -1, v62 bitop3:0x14
	v_and_b32_e32 v63, s48, v63
	s_delay_alu instid0(VALU_DEP_1)
	v_lshlrev_b32_e32 v63, 2, v63
	ds_load_b32 v63, v63
	s_wait_dscnt 0x0
	v_add_nc_u32_e32 v63, v63, v68
	global_store_b8 v63, v62, s[40:41]
	s_wait_xcnt 0x0
	s_or_b32 exec_lo, exec_lo, s19
	v_cmp_lt_u32_e64 s19, v69, v137
	s_and_saveexec_b32 s20, s19
	s_cbranch_execz .LBB84_1106
.LBB84_1178:                            ;   in Loop: Header=BB84_1032 Depth=2
	ds_load_u8 v62, v2 offset:1280
	s_wait_dscnt 0x0
	v_and_b32_e32 v63, 0xff, v62
	s_delay_alu instid0(VALU_DEP_1) | instskip(NEXT) | instid1(VALU_DEP_1)
	v_dual_lshrrev_b32 v63, s49, v63 :: v_dual_bitop2_b32 v62, -1, v62 bitop3:0x14
	v_and_b32_e32 v63, s48, v63
	s_delay_alu instid0(VALU_DEP_1)
	v_lshlrev_b32_e32 v63, 2, v63
	ds_load_b32 v63, v63
	s_wait_dscnt 0x0
	v_add_nc_u32_e32 v63, v63, v69
	global_store_b8 v63, v62, s[40:41]
	s_wait_xcnt 0x0
	s_or_b32 exec_lo, exec_lo, s20
	v_cmp_lt_u32_e64 s20, v70, v137
	s_and_saveexec_b32 s21, s20
	s_cbranch_execz .LBB84_1107
.LBB84_1179:                            ;   in Loop: Header=BB84_1032 Depth=2
	ds_load_u8 v62, v2 offset:1536
	s_wait_dscnt 0x0
	v_and_b32_e32 v63, 0xff, v62
	s_delay_alu instid0(VALU_DEP_1) | instskip(NEXT) | instid1(VALU_DEP_1)
	v_dual_lshrrev_b32 v63, s49, v63 :: v_dual_bitop2_b32 v62, -1, v62 bitop3:0x14
	v_and_b32_e32 v63, s48, v63
	s_delay_alu instid0(VALU_DEP_1)
	v_lshlrev_b32_e32 v63, 2, v63
	ds_load_b32 v63, v63
	s_wait_dscnt 0x0
	v_add_nc_u32_e32 v63, v63, v70
	global_store_b8 v63, v62, s[40:41]
	s_wait_xcnt 0x0
	s_or_b32 exec_lo, exec_lo, s21
	v_cmp_lt_u32_e64 s21, v71, v137
	s_and_saveexec_b32 s22, s21
	s_cbranch_execz .LBB84_1108
.LBB84_1180:                            ;   in Loop: Header=BB84_1032 Depth=2
	ds_load_u8 v62, v2 offset:1792
	s_wait_dscnt 0x0
	v_and_b32_e32 v63, 0xff, v62
	s_delay_alu instid0(VALU_DEP_1) | instskip(NEXT) | instid1(VALU_DEP_1)
	v_dual_lshrrev_b32 v63, s49, v63 :: v_dual_bitop2_b32 v62, -1, v62 bitop3:0x14
	v_and_b32_e32 v63, s48, v63
	s_delay_alu instid0(VALU_DEP_1)
	v_lshlrev_b32_e32 v63, 2, v63
	ds_load_b32 v63, v63
	s_wait_dscnt 0x0
	v_add_nc_u32_e32 v63, v63, v71
	global_store_b8 v63, v62, s[40:41]
	s_wait_xcnt 0x0
	s_or_b32 exec_lo, exec_lo, s22
	v_cmp_lt_u32_e64 s22, v72, v137
	s_and_saveexec_b32 s23, s22
	s_cbranch_execz .LBB84_1109
.LBB84_1181:                            ;   in Loop: Header=BB84_1032 Depth=2
	ds_load_u8 v62, v2 offset:2048
	s_wait_dscnt 0x0
	v_and_b32_e32 v63, 0xff, v62
	s_delay_alu instid0(VALU_DEP_1) | instskip(NEXT) | instid1(VALU_DEP_1)
	v_dual_lshrrev_b32 v63, s49, v63 :: v_dual_bitop2_b32 v62, -1, v62 bitop3:0x14
	v_and_b32_e32 v63, s48, v63
	s_delay_alu instid0(VALU_DEP_1)
	v_lshlrev_b32_e32 v63, 2, v63
	ds_load_b32 v63, v63
	s_wait_dscnt 0x0
	v_add_nc_u32_e32 v63, v63, v72
	global_store_b8 v63, v62, s[40:41]
	s_wait_xcnt 0x0
	s_or_b32 exec_lo, exec_lo, s23
	v_cmp_lt_u32_e64 s23, v73, v137
	s_and_saveexec_b32 s24, s23
	s_cbranch_execz .LBB84_1110
.LBB84_1182:                            ;   in Loop: Header=BB84_1032 Depth=2
	ds_load_u8 v62, v2 offset:2304
	s_wait_dscnt 0x0
	v_and_b32_e32 v63, 0xff, v62
	s_delay_alu instid0(VALU_DEP_1) | instskip(NEXT) | instid1(VALU_DEP_1)
	v_dual_lshrrev_b32 v63, s49, v63 :: v_dual_bitop2_b32 v62, -1, v62 bitop3:0x14
	v_and_b32_e32 v63, s48, v63
	s_delay_alu instid0(VALU_DEP_1)
	v_lshlrev_b32_e32 v63, 2, v63
	ds_load_b32 v63, v63
	s_wait_dscnt 0x0
	v_add_nc_u32_e32 v63, v63, v73
	global_store_b8 v63, v62, s[40:41]
	s_wait_xcnt 0x0
	s_or_b32 exec_lo, exec_lo, s24
	v_cmp_lt_u32_e64 s24, v74, v137
	s_and_saveexec_b32 s25, s24
	s_cbranch_execz .LBB84_1111
.LBB84_1183:                            ;   in Loop: Header=BB84_1032 Depth=2
	ds_load_u8 v62, v2 offset:2560
	s_wait_dscnt 0x0
	v_and_b32_e32 v63, 0xff, v62
	s_delay_alu instid0(VALU_DEP_1) | instskip(NEXT) | instid1(VALU_DEP_1)
	v_dual_lshrrev_b32 v63, s49, v63 :: v_dual_bitop2_b32 v62, -1, v62 bitop3:0x14
	v_and_b32_e32 v63, s48, v63
	s_delay_alu instid0(VALU_DEP_1)
	v_lshlrev_b32_e32 v63, 2, v63
	ds_load_b32 v63, v63
	s_wait_dscnt 0x0
	v_add_nc_u32_e32 v63, v63, v74
	global_store_b8 v63, v62, s[40:41]
	s_wait_xcnt 0x0
	s_or_b32 exec_lo, exec_lo, s25
	v_cmp_lt_u32_e64 s25, v75, v137
	s_and_saveexec_b32 s26, s25
	s_cbranch_execz .LBB84_1112
.LBB84_1184:                            ;   in Loop: Header=BB84_1032 Depth=2
	ds_load_u8 v62, v2 offset:2816
	s_wait_dscnt 0x0
	v_and_b32_e32 v63, 0xff, v62
	s_delay_alu instid0(VALU_DEP_1) | instskip(NEXT) | instid1(VALU_DEP_1)
	v_dual_lshrrev_b32 v63, s49, v63 :: v_dual_bitop2_b32 v62, -1, v62 bitop3:0x14
	v_and_b32_e32 v63, s48, v63
	s_delay_alu instid0(VALU_DEP_1)
	v_lshlrev_b32_e32 v63, 2, v63
	ds_load_b32 v63, v63
	s_wait_dscnt 0x0
	v_add_nc_u32_e32 v63, v63, v75
	global_store_b8 v63, v62, s[40:41]
	s_wait_xcnt 0x0
	s_or_b32 exec_lo, exec_lo, s26
	v_cmp_lt_u32_e64 s26, v76, v137
	s_and_saveexec_b32 s27, s26
	s_cbranch_execz .LBB84_1113
.LBB84_1185:                            ;   in Loop: Header=BB84_1032 Depth=2
	ds_load_u8 v62, v2 offset:3072
	s_wait_dscnt 0x0
	v_and_b32_e32 v63, 0xff, v62
	s_delay_alu instid0(VALU_DEP_1) | instskip(NEXT) | instid1(VALU_DEP_1)
	v_dual_lshrrev_b32 v63, s49, v63 :: v_dual_bitop2_b32 v62, -1, v62 bitop3:0x14
	v_and_b32_e32 v63, s48, v63
	s_delay_alu instid0(VALU_DEP_1)
	v_lshlrev_b32_e32 v63, 2, v63
	ds_load_b32 v63, v63
	s_wait_dscnt 0x0
	v_add_nc_u32_e32 v63, v63, v76
	global_store_b8 v63, v62, s[40:41]
	s_wait_xcnt 0x0
	s_or_b32 exec_lo, exec_lo, s27
	v_cmp_lt_u32_e64 s27, v77, v137
	s_and_saveexec_b32 s28, s27
	s_cbranch_execz .LBB84_1114
.LBB84_1186:                            ;   in Loop: Header=BB84_1032 Depth=2
	ds_load_u8 v62, v2 offset:3328
	s_wait_dscnt 0x0
	v_and_b32_e32 v63, 0xff, v62
	s_delay_alu instid0(VALU_DEP_1) | instskip(NEXT) | instid1(VALU_DEP_1)
	v_dual_lshrrev_b32 v63, s49, v63 :: v_dual_bitop2_b32 v62, -1, v62 bitop3:0x14
	v_and_b32_e32 v63, s48, v63
	s_delay_alu instid0(VALU_DEP_1)
	v_lshlrev_b32_e32 v63, 2, v63
	ds_load_b32 v63, v63
	s_wait_dscnt 0x0
	v_add_nc_u32_e32 v63, v63, v77
	global_store_b8 v63, v62, s[40:41]
	s_wait_xcnt 0x0
	s_or_b32 exec_lo, exec_lo, s28
	v_cmp_lt_u32_e64 s28, v78, v137
	s_and_saveexec_b32 s29, s28
	s_cbranch_execz .LBB84_1115
.LBB84_1187:                            ;   in Loop: Header=BB84_1032 Depth=2
	ds_load_u8 v62, v2 offset:3584
	s_wait_dscnt 0x0
	v_and_b32_e32 v63, 0xff, v62
	s_delay_alu instid0(VALU_DEP_1) | instskip(NEXT) | instid1(VALU_DEP_1)
	v_dual_lshrrev_b32 v63, s49, v63 :: v_dual_bitop2_b32 v62, -1, v62 bitop3:0x14
	v_and_b32_e32 v63, s48, v63
	s_delay_alu instid0(VALU_DEP_1)
	v_lshlrev_b32_e32 v63, 2, v63
	ds_load_b32 v63, v63
	s_wait_dscnt 0x0
	v_add_nc_u32_e32 v63, v63, v78
	global_store_b8 v63, v62, s[40:41]
	s_wait_xcnt 0x0
	s_or_b32 exec_lo, exec_lo, s29
	v_cmp_lt_u32_e64 s29, v79, v137
	s_and_saveexec_b32 s30, s29
	s_cbranch_execz .LBB84_1116
.LBB84_1188:                            ;   in Loop: Header=BB84_1032 Depth=2
	ds_load_u8 v62, v2 offset:3840
	s_wait_dscnt 0x0
	v_and_b32_e32 v63, 0xff, v62
	s_delay_alu instid0(VALU_DEP_1) | instskip(NEXT) | instid1(VALU_DEP_1)
	v_dual_lshrrev_b32 v63, s49, v63 :: v_dual_bitop2_b32 v62, -1, v62 bitop3:0x14
	v_and_b32_e32 v63, s48, v63
	s_delay_alu instid0(VALU_DEP_1)
	v_lshlrev_b32_e32 v63, 2, v63
	ds_load_b32 v63, v63
	s_wait_dscnt 0x0
	v_add_nc_u32_e32 v63, v63, v79
	global_store_b8 v63, v62, s[40:41]
	s_wait_xcnt 0x0
	s_or_b32 exec_lo, exec_lo, s30
	v_cmp_lt_u32_e64 s30, v80, v137
	s_and_saveexec_b32 s31, s30
	s_cbranch_execz .LBB84_1117
.LBB84_1189:                            ;   in Loop: Header=BB84_1032 Depth=2
	ds_load_u8 v62, v2 offset:4096
	s_wait_dscnt 0x0
	v_and_b32_e32 v63, 0xff, v62
	s_delay_alu instid0(VALU_DEP_1) | instskip(NEXT) | instid1(VALU_DEP_1)
	v_dual_lshrrev_b32 v63, s49, v63 :: v_dual_bitop2_b32 v62, -1, v62 bitop3:0x14
	v_and_b32_e32 v63, s48, v63
	s_delay_alu instid0(VALU_DEP_1)
	v_lshlrev_b32_e32 v63, 2, v63
	ds_load_b32 v63, v63
	s_wait_dscnt 0x0
	v_add_nc_u32_e32 v63, v63, v80
	global_store_b8 v63, v62, s[40:41]
	s_wait_xcnt 0x0
	s_or_b32 exec_lo, exec_lo, s31
	v_cmp_lt_u32_e64 s31, v81, v137
	s_and_saveexec_b32 s33, s31
	s_cbranch_execz .LBB84_1118
.LBB84_1190:                            ;   in Loop: Header=BB84_1032 Depth=2
	ds_load_u8 v62, v2 offset:4352
	s_wait_dscnt 0x0
	v_and_b32_e32 v63, 0xff, v62
	s_delay_alu instid0(VALU_DEP_1) | instskip(NEXT) | instid1(VALU_DEP_1)
	v_dual_lshrrev_b32 v63, s49, v63 :: v_dual_bitop2_b32 v62, -1, v62 bitop3:0x14
	v_and_b32_e32 v63, s48, v63
	s_delay_alu instid0(VALU_DEP_1)
	v_lshlrev_b32_e32 v63, 2, v63
	ds_load_b32 v63, v63
	s_wait_dscnt 0x0
	v_add_nc_u32_e32 v63, v63, v81
	global_store_b8 v63, v62, s[40:41]
	s_wait_xcnt 0x0
	s_or_b32 exec_lo, exec_lo, s33
	v_cmp_lt_u32_e64 s33, v82, v137
	s_and_saveexec_b32 s60, s33
	s_cbranch_execnz .LBB84_1119
	s_branch .LBB84_1120
.LBB84_1191:                            ;   in Loop: Header=BB84_1032 Depth=2
	global_load_b64 v[60:61], v[62:63], off
	s_wait_xcnt 0x0
	s_or_b32 exec_lo, exec_lo, s34
	s_delay_alu instid0(SALU_CYCLE_1)
	s_mov_b32 s60, exec_lo
	v_cmpx_lt_u32_e64 v98, v137
	s_cbranch_execz .LBB84_1122
.LBB84_1192:                            ;   in Loop: Header=BB84_1032 Depth=2
	global_load_b64 v[58:59], v[62:63], off offset:256
	s_wait_xcnt 0x0
	s_or_b32 exec_lo, exec_lo, s60
	s_delay_alu instid0(SALU_CYCLE_1)
	s_mov_b32 s60, exec_lo
	v_cmpx_lt_u32_e64 v99, v137
	s_cbranch_execz .LBB84_1123
.LBB84_1193:                            ;   in Loop: Header=BB84_1032 Depth=2
	global_load_b64 v[56:57], v[62:63], off offset:512
	s_wait_xcnt 0x0
	s_or_b32 exec_lo, exec_lo, s60
	s_delay_alu instid0(SALU_CYCLE_1)
	s_mov_b32 s60, exec_lo
	v_cmpx_lt_u32_e64 v100, v137
	s_cbranch_execz .LBB84_1124
.LBB84_1194:                            ;   in Loop: Header=BB84_1032 Depth=2
	global_load_b64 v[54:55], v[62:63], off offset:768
	s_wait_xcnt 0x0
	s_or_b32 exec_lo, exec_lo, s60
	s_delay_alu instid0(SALU_CYCLE_1)
	s_mov_b32 s60, exec_lo
	v_cmpx_lt_u32_e64 v101, v137
	s_cbranch_execz .LBB84_1125
.LBB84_1195:                            ;   in Loop: Header=BB84_1032 Depth=2
	global_load_b64 v[52:53], v[62:63], off offset:1024
	s_wait_xcnt 0x0
	s_or_b32 exec_lo, exec_lo, s60
	s_delay_alu instid0(SALU_CYCLE_1)
	s_mov_b32 s60, exec_lo
	v_cmpx_lt_u32_e64 v102, v137
	s_cbranch_execz .LBB84_1126
.LBB84_1196:                            ;   in Loop: Header=BB84_1032 Depth=2
	global_load_b64 v[50:51], v[62:63], off offset:1280
	s_wait_xcnt 0x0
	s_or_b32 exec_lo, exec_lo, s60
	s_delay_alu instid0(SALU_CYCLE_1)
	s_mov_b32 s60, exec_lo
	v_cmpx_lt_u32_e64 v103, v137
	s_cbranch_execz .LBB84_1127
.LBB84_1197:                            ;   in Loop: Header=BB84_1032 Depth=2
	global_load_b64 v[48:49], v[62:63], off offset:1536
	s_wait_xcnt 0x0
	s_or_b32 exec_lo, exec_lo, s60
	s_delay_alu instid0(SALU_CYCLE_1)
	s_mov_b32 s60, exec_lo
	v_cmpx_lt_u32_e64 v104, v137
	s_cbranch_execz .LBB84_1128
.LBB84_1198:                            ;   in Loop: Header=BB84_1032 Depth=2
	global_load_b64 v[46:47], v[62:63], off offset:1792
	s_wait_xcnt 0x0
	s_or_b32 exec_lo, exec_lo, s60
	s_delay_alu instid0(SALU_CYCLE_1)
	s_mov_b32 s60, exec_lo
	v_cmpx_lt_u32_e64 v105, v137
	s_cbranch_execz .LBB84_1129
.LBB84_1199:                            ;   in Loop: Header=BB84_1032 Depth=2
	global_load_b64 v[44:45], v[62:63], off offset:2048
	s_wait_xcnt 0x0
	s_or_b32 exec_lo, exec_lo, s60
	s_delay_alu instid0(SALU_CYCLE_1)
	s_mov_b32 s60, exec_lo
	v_cmpx_lt_u32_e64 v106, v137
	s_cbranch_execz .LBB84_1130
.LBB84_1200:                            ;   in Loop: Header=BB84_1032 Depth=2
	global_load_b64 v[42:43], v[62:63], off offset:2304
	s_wait_xcnt 0x0
	s_or_b32 exec_lo, exec_lo, s60
	s_delay_alu instid0(SALU_CYCLE_1)
	s_mov_b32 s60, exec_lo
	v_cmpx_lt_u32_e64 v107, v137
	s_cbranch_execz .LBB84_1131
.LBB84_1201:                            ;   in Loop: Header=BB84_1032 Depth=2
	global_load_b64 v[40:41], v[62:63], off offset:2560
	s_wait_xcnt 0x0
	s_or_b32 exec_lo, exec_lo, s60
	s_delay_alu instid0(SALU_CYCLE_1)
	s_mov_b32 s60, exec_lo
	v_cmpx_lt_u32_e64 v108, v137
	s_cbranch_execz .LBB84_1132
.LBB84_1202:                            ;   in Loop: Header=BB84_1032 Depth=2
	global_load_b64 v[38:39], v[62:63], off offset:2816
	s_wait_xcnt 0x0
	s_or_b32 exec_lo, exec_lo, s60
	s_delay_alu instid0(SALU_CYCLE_1)
	s_mov_b32 s60, exec_lo
	v_cmpx_lt_u32_e64 v109, v137
	s_cbranch_execz .LBB84_1133
.LBB84_1203:                            ;   in Loop: Header=BB84_1032 Depth=2
	global_load_b64 v[36:37], v[62:63], off offset:3072
	s_wait_xcnt 0x0
	s_or_b32 exec_lo, exec_lo, s60
	s_delay_alu instid0(SALU_CYCLE_1)
	s_mov_b32 s60, exec_lo
	v_cmpx_lt_u32_e64 v110, v137
	s_cbranch_execz .LBB84_1134
.LBB84_1204:                            ;   in Loop: Header=BB84_1032 Depth=2
	global_load_b64 v[34:35], v[62:63], off offset:3328
	s_wait_xcnt 0x0
	s_or_b32 exec_lo, exec_lo, s60
	s_delay_alu instid0(SALU_CYCLE_1)
	s_mov_b32 s60, exec_lo
	v_cmpx_lt_u32_e64 v111, v137
	s_cbranch_execz .LBB84_1135
.LBB84_1205:                            ;   in Loop: Header=BB84_1032 Depth=2
	global_load_b64 v[32:33], v[62:63], off offset:3584
	s_wait_xcnt 0x0
	s_or_b32 exec_lo, exec_lo, s60
	s_delay_alu instid0(SALU_CYCLE_1)
	s_mov_b32 s60, exec_lo
	v_cmpx_lt_u32_e64 v112, v137
	s_cbranch_execz .LBB84_1136
.LBB84_1206:                            ;   in Loop: Header=BB84_1032 Depth=2
	global_load_b64 v[30:31], v[62:63], off offset:3840
	s_wait_xcnt 0x0
	s_or_b32 exec_lo, exec_lo, s60
	s_delay_alu instid0(SALU_CYCLE_1)
	s_mov_b32 s60, exec_lo
	v_cmpx_lt_u32_e64 v113, v137
	s_cbranch_execz .LBB84_1137
.LBB84_1207:                            ;   in Loop: Header=BB84_1032 Depth=2
	global_load_b64 v[28:29], v[62:63], off offset:4096
	s_wait_xcnt 0x0
	s_or_b32 exec_lo, exec_lo, s60
	s_and_saveexec_b32 s34, vcc_lo
	s_cbranch_execz .LBB84_1138
.LBB84_1208:                            ;   in Loop: Header=BB84_1032 Depth=2
	ds_load_u8 v62, v2 offset:512
	s_wait_dscnt 0x0
	v_lshrrev_b32_e32 v62, s49, v62
	s_delay_alu instid0(VALU_DEP_1)
	v_and_b32_e32 v132, s48, v62
	s_or_b32 exec_lo, exec_lo, s34
	s_and_saveexec_b32 s34, s17
	s_cbranch_execz .LBB84_1139
.LBB84_1209:                            ;   in Loop: Header=BB84_1032 Depth=2
	ds_load_u8 v62, v2 offset:768
	s_wait_dscnt 0x0
	v_lshrrev_b32_e32 v62, s49, v62
	s_delay_alu instid0(VALU_DEP_1)
	v_and_b32_e32 v131, s48, v62
	s_or_b32 exec_lo, exec_lo, s34
	s_and_saveexec_b32 s34, s18
	s_cbranch_execz .LBB84_1140
.LBB84_1210:                            ;   in Loop: Header=BB84_1032 Depth=2
	ds_load_u8 v62, v2 offset:1024
	s_wait_dscnt 0x0
	v_lshrrev_b32_e32 v62, s49, v62
	s_delay_alu instid0(VALU_DEP_1)
	v_and_b32_e32 v130, s48, v62
	s_or_b32 exec_lo, exec_lo, s34
	s_and_saveexec_b32 s34, s19
	s_cbranch_execz .LBB84_1141
.LBB84_1211:                            ;   in Loop: Header=BB84_1032 Depth=2
	ds_load_u8 v62, v2 offset:1280
	s_wait_dscnt 0x0
	v_lshrrev_b32_e32 v62, s49, v62
	s_delay_alu instid0(VALU_DEP_1)
	v_and_b32_e32 v129, s48, v62
	s_or_b32 exec_lo, exec_lo, s34
	s_and_saveexec_b32 s34, s20
	s_cbranch_execz .LBB84_1142
.LBB84_1212:                            ;   in Loop: Header=BB84_1032 Depth=2
	ds_load_u8 v62, v2 offset:1536
	s_wait_dscnt 0x0
	v_lshrrev_b32_e32 v62, s49, v62
	s_delay_alu instid0(VALU_DEP_1)
	v_and_b32_e32 v128, s48, v62
	s_or_b32 exec_lo, exec_lo, s34
	s_and_saveexec_b32 s34, s21
	s_cbranch_execz .LBB84_1143
.LBB84_1213:                            ;   in Loop: Header=BB84_1032 Depth=2
	ds_load_u8 v62, v2 offset:1792
	s_wait_dscnt 0x0
	v_lshrrev_b32_e32 v62, s49, v62
	s_delay_alu instid0(VALU_DEP_1)
	v_and_b32_e32 v127, s48, v62
	s_or_b32 exec_lo, exec_lo, s34
	s_and_saveexec_b32 s34, s22
	s_cbranch_execz .LBB84_1144
.LBB84_1214:                            ;   in Loop: Header=BB84_1032 Depth=2
	ds_load_u8 v62, v2 offset:2048
	s_wait_dscnt 0x0
	v_lshrrev_b32_e32 v62, s49, v62
	s_delay_alu instid0(VALU_DEP_1)
	v_and_b32_e32 v126, s48, v62
	s_or_b32 exec_lo, exec_lo, s34
	s_and_saveexec_b32 s34, s23
	s_cbranch_execz .LBB84_1145
.LBB84_1215:                            ;   in Loop: Header=BB84_1032 Depth=2
	ds_load_u8 v62, v2 offset:2304
	s_wait_dscnt 0x0
	v_lshrrev_b32_e32 v62, s49, v62
	s_delay_alu instid0(VALU_DEP_1)
	v_and_b32_e32 v125, s48, v62
	s_or_b32 exec_lo, exec_lo, s34
	s_and_saveexec_b32 s34, s24
	s_cbranch_execz .LBB84_1146
.LBB84_1216:                            ;   in Loop: Header=BB84_1032 Depth=2
	ds_load_u8 v62, v2 offset:2560
	s_wait_dscnt 0x0
	v_lshrrev_b32_e32 v62, s49, v62
	s_delay_alu instid0(VALU_DEP_1)
	v_and_b32_e32 v124, s48, v62
	s_or_b32 exec_lo, exec_lo, s34
	s_and_saveexec_b32 s34, s25
	s_cbranch_execz .LBB84_1147
.LBB84_1217:                            ;   in Loop: Header=BB84_1032 Depth=2
	ds_load_u8 v62, v2 offset:2816
	s_wait_dscnt 0x0
	v_lshrrev_b32_e32 v62, s49, v62
	s_delay_alu instid0(VALU_DEP_1)
	v_and_b32_e32 v123, s48, v62
	s_or_b32 exec_lo, exec_lo, s34
	s_and_saveexec_b32 s34, s26
	s_cbranch_execz .LBB84_1148
.LBB84_1218:                            ;   in Loop: Header=BB84_1032 Depth=2
	ds_load_u8 v62, v2 offset:3072
	s_wait_dscnt 0x0
	v_lshrrev_b32_e32 v62, s49, v62
	s_delay_alu instid0(VALU_DEP_1)
	v_and_b32_e32 v122, s48, v62
	s_or_b32 exec_lo, exec_lo, s34
	s_and_saveexec_b32 s34, s27
	s_cbranch_execz .LBB84_1149
.LBB84_1219:                            ;   in Loop: Header=BB84_1032 Depth=2
	ds_load_u8 v62, v2 offset:3328
	s_wait_dscnt 0x0
	v_lshrrev_b32_e32 v62, s49, v62
	s_delay_alu instid0(VALU_DEP_1)
	v_and_b32_e32 v120, s48, v62
	s_or_b32 exec_lo, exec_lo, s34
	s_and_saveexec_b32 s34, s28
	s_cbranch_execz .LBB84_1150
.LBB84_1220:                            ;   in Loop: Header=BB84_1032 Depth=2
	ds_load_u8 v62, v2 offset:3584
	s_wait_dscnt 0x0
	v_lshrrev_b32_e32 v62, s49, v62
	s_delay_alu instid0(VALU_DEP_1)
	v_and_b32_e32 v119, s48, v62
	s_or_b32 exec_lo, exec_lo, s34
	s_and_saveexec_b32 s34, s29
	s_cbranch_execz .LBB84_1151
.LBB84_1221:                            ;   in Loop: Header=BB84_1032 Depth=2
	ds_load_u8 v62, v2 offset:3840
	s_wait_dscnt 0x0
	v_lshrrev_b32_e32 v62, s49, v62
	s_delay_alu instid0(VALU_DEP_1)
	v_and_b32_e32 v118, s48, v62
	s_or_b32 exec_lo, exec_lo, s34
	s_and_saveexec_b32 s34, s30
	s_cbranch_execz .LBB84_1152
.LBB84_1222:                            ;   in Loop: Header=BB84_1032 Depth=2
	ds_load_u8 v62, v2 offset:4096
	s_wait_dscnt 0x0
	v_lshrrev_b32_e32 v62, s49, v62
	s_delay_alu instid0(VALU_DEP_1)
	v_and_b32_e32 v117, s48, v62
	s_or_b32 exec_lo, exec_lo, s34
	s_and_saveexec_b32 s34, s31
	s_cbranch_execz .LBB84_1153
.LBB84_1223:                            ;   in Loop: Header=BB84_1032 Depth=2
	ds_load_u8 v62, v2 offset:4352
	s_wait_dscnt 0x0
	v_lshrrev_b32_e32 v62, s49, v62
	s_delay_alu instid0(VALU_DEP_1)
	v_and_b32_e32 v116, s48, v62
	s_or_b32 exec_lo, exec_lo, s34
	s_and_saveexec_b32 s34, s33
	s_cbranch_execnz .LBB84_1154
	s_branch .LBB84_1155
.LBB84_1224:                            ;   in Loop: Header=BB84_1032 Depth=2
	v_lshlrev_b32_e32 v63, 2, v132
	ds_load_b32 v63, v63
	ds_load_b64 v[64:65], v62 offset:512
	s_wait_dscnt 0x1
	v_add_nc_u32_e32 v63, v63, v2
	s_wait_dscnt 0x0
	global_store_b64 v63, v[64:65], s[46:47] scale_offset
	s_wait_xcnt 0x0
	s_or_b32 exec_lo, exec_lo, s34
	s_and_saveexec_b32 s34, s17
	s_cbranch_execz .LBB84_1157
.LBB84_1225:                            ;   in Loop: Header=BB84_1032 Depth=2
	v_lshlrev_b32_e32 v63, 2, v131
	ds_load_b32 v63, v63
	ds_load_b64 v[64:65], v62 offset:2560
	s_wait_dscnt 0x1
	v_add_nc_u32_e32 v63, v63, v67
	s_wait_dscnt 0x0
	global_store_b64 v63, v[64:65], s[46:47] scale_offset
	s_wait_xcnt 0x0
	s_or_b32 exec_lo, exec_lo, s34
	s_and_saveexec_b32 s17, s18
	s_cbranch_execz .LBB84_1158
.LBB84_1226:                            ;   in Loop: Header=BB84_1032 Depth=2
	v_lshlrev_b32_e32 v63, 2, v130
	ds_load_b32 v63, v63
	ds_load_b64 v[64:65], v62 offset:4608
	s_wait_dscnt 0x1
	v_add_nc_u32_e32 v63, v63, v68
	s_wait_dscnt 0x0
	global_store_b64 v63, v[64:65], s[46:47] scale_offset
	s_wait_xcnt 0x0
	s_or_b32 exec_lo, exec_lo, s17
	s_and_saveexec_b32 s17, s19
	s_cbranch_execz .LBB84_1159
.LBB84_1227:                            ;   in Loop: Header=BB84_1032 Depth=2
	v_lshlrev_b32_e32 v63, 2, v129
	ds_load_b32 v63, v63
	ds_load_b64 v[64:65], v62 offset:6656
	s_wait_dscnt 0x1
	v_add_nc_u32_e32 v63, v63, v69
	s_wait_dscnt 0x0
	global_store_b64 v63, v[64:65], s[46:47] scale_offset
	s_wait_xcnt 0x0
	s_or_b32 exec_lo, exec_lo, s17
	s_and_saveexec_b32 s17, s20
	s_cbranch_execz .LBB84_1160
.LBB84_1228:                            ;   in Loop: Header=BB84_1032 Depth=2
	v_lshlrev_b32_e32 v63, 2, v128
	ds_load_b32 v63, v63
	ds_load_b64 v[64:65], v62 offset:8704
	s_wait_dscnt 0x1
	v_add_nc_u32_e32 v63, v63, v70
	s_wait_dscnt 0x0
	global_store_b64 v63, v[64:65], s[46:47] scale_offset
	s_wait_xcnt 0x0
	s_or_b32 exec_lo, exec_lo, s17
	s_and_saveexec_b32 s17, s21
	s_cbranch_execz .LBB84_1161
.LBB84_1229:                            ;   in Loop: Header=BB84_1032 Depth=2
	v_lshlrev_b32_e32 v63, 2, v127
	ds_load_b32 v63, v63
	ds_load_b64 v[64:65], v62 offset:10752
	s_wait_dscnt 0x1
	v_add_nc_u32_e32 v63, v63, v71
	s_wait_dscnt 0x0
	global_store_b64 v63, v[64:65], s[46:47] scale_offset
	s_wait_xcnt 0x0
	s_or_b32 exec_lo, exec_lo, s17
	s_and_saveexec_b32 s17, s22
	s_cbranch_execz .LBB84_1162
.LBB84_1230:                            ;   in Loop: Header=BB84_1032 Depth=2
	v_lshlrev_b32_e32 v63, 2, v126
	ds_load_b32 v63, v63
	ds_load_b64 v[64:65], v62 offset:12800
	s_wait_dscnt 0x1
	v_add_nc_u32_e32 v63, v63, v72
	s_wait_dscnt 0x0
	global_store_b64 v63, v[64:65], s[46:47] scale_offset
	s_wait_xcnt 0x0
	s_or_b32 exec_lo, exec_lo, s17
	s_and_saveexec_b32 s17, s23
	s_cbranch_execz .LBB84_1163
.LBB84_1231:                            ;   in Loop: Header=BB84_1032 Depth=2
	v_lshlrev_b32_e32 v63, 2, v125
	ds_load_b32 v63, v63
	ds_load_b64 v[64:65], v62 offset:14848
	s_wait_dscnt 0x1
	v_add_nc_u32_e32 v63, v63, v73
	s_wait_dscnt 0x0
	global_store_b64 v63, v[64:65], s[46:47] scale_offset
	s_wait_xcnt 0x0
	s_or_b32 exec_lo, exec_lo, s17
	s_and_saveexec_b32 s17, s24
	s_cbranch_execz .LBB84_1164
.LBB84_1232:                            ;   in Loop: Header=BB84_1032 Depth=2
	v_lshlrev_b32_e32 v63, 2, v124
	ds_load_b32 v63, v63
	ds_load_b64 v[64:65], v62 offset:16896
	s_wait_dscnt 0x1
	v_add_nc_u32_e32 v63, v63, v74
	s_wait_dscnt 0x0
	global_store_b64 v63, v[64:65], s[46:47] scale_offset
	s_wait_xcnt 0x0
	s_or_b32 exec_lo, exec_lo, s17
	s_and_saveexec_b32 s17, s25
	s_cbranch_execz .LBB84_1165
.LBB84_1233:                            ;   in Loop: Header=BB84_1032 Depth=2
	v_lshlrev_b32_e32 v63, 2, v123
	ds_load_b32 v63, v63
	ds_load_b64 v[64:65], v62 offset:18944
	s_wait_dscnt 0x1
	v_add_nc_u32_e32 v63, v63, v75
	s_wait_dscnt 0x0
	global_store_b64 v63, v[64:65], s[46:47] scale_offset
	s_wait_xcnt 0x0
	s_or_b32 exec_lo, exec_lo, s17
	s_and_saveexec_b32 s17, s26
	s_cbranch_execz .LBB84_1166
.LBB84_1234:                            ;   in Loop: Header=BB84_1032 Depth=2
	v_lshlrev_b32_e32 v63, 2, v122
	ds_load_b32 v63, v63
	ds_load_b64 v[64:65], v62 offset:20992
	s_wait_dscnt 0x1
	v_add_nc_u32_e32 v63, v63, v76
	s_wait_dscnt 0x0
	global_store_b64 v63, v[64:65], s[46:47] scale_offset
	s_wait_xcnt 0x0
	s_or_b32 exec_lo, exec_lo, s17
	s_and_saveexec_b32 s17, s27
	s_cbranch_execz .LBB84_1167
.LBB84_1235:                            ;   in Loop: Header=BB84_1032 Depth=2
	v_lshlrev_b32_e32 v63, 2, v120
	ds_load_b32 v63, v63
	ds_load_b64 v[64:65], v62 offset:23040
	s_wait_dscnt 0x1
	v_add_nc_u32_e32 v63, v63, v77
	s_wait_dscnt 0x0
	global_store_b64 v63, v[64:65], s[46:47] scale_offset
	s_wait_xcnt 0x0
	s_or_b32 exec_lo, exec_lo, s17
	s_and_saveexec_b32 s17, s28
	s_cbranch_execz .LBB84_1168
.LBB84_1236:                            ;   in Loop: Header=BB84_1032 Depth=2
	v_lshlrev_b32_e32 v63, 2, v119
	ds_load_b32 v63, v63
	ds_load_b64 v[64:65], v62 offset:25088
	s_wait_dscnt 0x1
	v_add_nc_u32_e32 v63, v63, v78
	s_wait_dscnt 0x0
	global_store_b64 v63, v[64:65], s[46:47] scale_offset
	s_wait_xcnt 0x0
	s_or_b32 exec_lo, exec_lo, s17
	s_and_saveexec_b32 s17, s29
	s_cbranch_execz .LBB84_1169
.LBB84_1237:                            ;   in Loop: Header=BB84_1032 Depth=2
	v_lshlrev_b32_e32 v63, 2, v118
	ds_load_b32 v63, v63
	ds_load_b64 v[64:65], v62 offset:27136
	s_wait_dscnt 0x1
	v_add_nc_u32_e32 v63, v63, v79
	s_wait_dscnt 0x0
	global_store_b64 v63, v[64:65], s[46:47] scale_offset
	s_wait_xcnt 0x0
	s_or_b32 exec_lo, exec_lo, s17
	s_and_saveexec_b32 s17, s30
	s_cbranch_execz .LBB84_1170
.LBB84_1238:                            ;   in Loop: Header=BB84_1032 Depth=2
	v_lshlrev_b32_e32 v63, 2, v117
	ds_load_b32 v63, v63
	ds_load_b64 v[64:65], v62 offset:29184
	s_wait_dscnt 0x1
	v_add_nc_u32_e32 v63, v63, v80
	s_wait_dscnt 0x0
	global_store_b64 v63, v[64:65], s[46:47] scale_offset
	s_wait_xcnt 0x0
	s_or_b32 exec_lo, exec_lo, s17
	s_and_saveexec_b32 s17, s31
	s_cbranch_execz .LBB84_1171
.LBB84_1239:                            ;   in Loop: Header=BB84_1032 Depth=2
	v_lshlrev_b32_e32 v63, 2, v116
	ds_load_b32 v63, v63
	ds_load_b64 v[64:65], v62 offset:31232
	s_wait_dscnt 0x1
	v_add_nc_u32_e32 v63, v63, v81
	s_wait_dscnt 0x0
	global_store_b64 v63, v[64:65], s[46:47] scale_offset
	s_wait_xcnt 0x0
	s_or_b32 exec_lo, exec_lo, s17
	s_and_saveexec_b32 s17, s33
	s_cbranch_execnz .LBB84_1172
	s_branch .LBB84_1173
.LBB84_1240:                            ;   in Loop: Header=BB84_1032 Depth=2
	global_load_u8 v151, v[62:63], off offset:32
	s_wait_xcnt 0x0
	s_or_b32 exec_lo, exec_lo, s17
	s_delay_alu instid0(SALU_CYCLE_1)
	s_mov_b32 s17, exec_lo
	v_cmpx_gt_u32_e64 s58, v99
	s_cbranch_execz .LBB84_1039
.LBB84_1241:                            ;   in Loop: Header=BB84_1032 Depth=2
	global_load_u8 v148, v[62:63], off offset:64
	s_wait_xcnt 0x0
	s_or_b32 exec_lo, exec_lo, s17
	s_delay_alu instid0(SALU_CYCLE_1)
	s_mov_b32 s17, exec_lo
	v_cmpx_gt_u32_e64 s58, v100
	s_cbranch_execz .LBB84_1040
.LBB84_1242:                            ;   in Loop: Header=BB84_1032 Depth=2
	global_load_u8 v150, v[62:63], off offset:96
	s_wait_xcnt 0x0
	s_or_b32 exec_lo, exec_lo, s17
	s_delay_alu instid0(SALU_CYCLE_1)
	s_mov_b32 s17, exec_lo
	v_cmpx_gt_u32_e64 s58, v101
	s_cbranch_execz .LBB84_1041
.LBB84_1243:                            ;   in Loop: Header=BB84_1032 Depth=2
	global_load_u8 v142, v[62:63], off offset:128
	s_wait_xcnt 0x0
	s_or_b32 exec_lo, exec_lo, s17
	s_delay_alu instid0(SALU_CYCLE_1)
	s_mov_b32 s17, exec_lo
	v_cmpx_gt_u32_e64 s58, v102
	s_cbranch_execz .LBB84_1042
.LBB84_1244:                            ;   in Loop: Header=BB84_1032 Depth=2
	global_load_u8 v144, v[62:63], off offset:160
	s_wait_xcnt 0x0
	s_or_b32 exec_lo, exec_lo, s17
	s_delay_alu instid0(SALU_CYCLE_1)
	s_mov_b32 s17, exec_lo
	v_cmpx_gt_u32_e64 s58, v103
	s_cbranch_execz .LBB84_1043
.LBB84_1245:                            ;   in Loop: Header=BB84_1032 Depth=2
	global_load_u8 v143, v[62:63], off offset:192
	s_wait_xcnt 0x0
	s_or_b32 exec_lo, exec_lo, s17
	s_delay_alu instid0(SALU_CYCLE_1)
	s_mov_b32 s17, exec_lo
	v_cmpx_gt_u32_e64 s58, v104
	s_cbranch_execz .LBB84_1044
.LBB84_1246:                            ;   in Loop: Header=BB84_1032 Depth=2
	global_load_u8 v145, v[62:63], off offset:224
	s_wait_xcnt 0x0
	s_or_b32 exec_lo, exec_lo, s17
	s_delay_alu instid0(SALU_CYCLE_1)
	s_mov_b32 s17, exec_lo
	v_cmpx_gt_u32_e64 s58, v105
	s_cbranch_execz .LBB84_1045
.LBB84_1247:                            ;   in Loop: Header=BB84_1032 Depth=2
	global_load_u8 v138, v[62:63], off offset:256
	s_wait_xcnt 0x0
	s_or_b32 exec_lo, exec_lo, s17
	s_delay_alu instid0(SALU_CYCLE_1)
	s_mov_b32 s17, exec_lo
	v_cmpx_gt_u32_e64 s58, v106
	s_cbranch_execz .LBB84_1046
.LBB84_1248:                            ;   in Loop: Header=BB84_1032 Depth=2
	global_load_u8 v140, v[62:63], off offset:288
	s_wait_xcnt 0x0
	s_or_b32 exec_lo, exec_lo, s17
	s_delay_alu instid0(SALU_CYCLE_1)
	s_mov_b32 s17, exec_lo
	v_cmpx_gt_u32_e64 s58, v107
	s_cbranch_execz .LBB84_1047
.LBB84_1249:                            ;   in Loop: Header=BB84_1032 Depth=2
	global_load_u8 v139, v[62:63], off offset:320
	s_wait_xcnt 0x0
	s_or_b32 exec_lo, exec_lo, s17
	s_delay_alu instid0(SALU_CYCLE_1)
	s_mov_b32 s17, exec_lo
	v_cmpx_gt_u32_e64 s58, v108
	s_cbranch_execz .LBB84_1048
.LBB84_1250:                            ;   in Loop: Header=BB84_1032 Depth=2
	global_load_u8 v141, v[62:63], off offset:352
	s_wait_xcnt 0x0
	s_or_b32 exec_lo, exec_lo, s17
	s_delay_alu instid0(SALU_CYCLE_1)
	s_mov_b32 s17, exec_lo
	v_cmpx_gt_u32_e64 s58, v109
	s_cbranch_execz .LBB84_1049
.LBB84_1251:                            ;   in Loop: Header=BB84_1032 Depth=2
	global_load_u8 v64, v[62:63], off offset:384
	s_wait_xcnt 0x0
	s_or_b32 exec_lo, exec_lo, s17
	s_delay_alu instid0(SALU_CYCLE_1)
	s_mov_b32 s17, exec_lo
	v_cmpx_gt_u32_e64 s58, v110
	s_cbranch_execz .LBB84_1050
.LBB84_1252:                            ;   in Loop: Header=BB84_1032 Depth=2
	global_load_u8 v135, v[62:63], off offset:416
	s_wait_xcnt 0x0
	s_or_b32 exec_lo, exec_lo, s17
	s_delay_alu instid0(SALU_CYCLE_1)
	s_mov_b32 s17, exec_lo
	v_cmpx_gt_u32_e64 s58, v111
	s_cbranch_execz .LBB84_1051
.LBB84_1253:                            ;   in Loop: Header=BB84_1032 Depth=2
	global_load_u8 v65, v[62:63], off offset:448
	s_wait_xcnt 0x0
	s_or_b32 exec_lo, exec_lo, s17
	s_delay_alu instid0(SALU_CYCLE_1)
	s_mov_b32 s17, exec_lo
	v_cmpx_gt_u32_e64 s58, v112
	s_cbranch_execnz .LBB84_1052
	s_branch .LBB84_1053
.LBB84_1254:
	s_endpgm
	.section	.rodata,"a",@progbits
	.p2align	6, 0x0
	.amdhsa_kernel _ZN7rocprim17ROCPRIM_400000_NS6detail17trampoline_kernelINS0_14default_configENS1_36segmented_radix_sort_config_selectorIhlEEZNS1_25segmented_radix_sort_implIS3_Lb1EPKhPhPKlPlN2at6native12_GLOBAL__N_18offset_tEEE10hipError_tPvRmT1_PNSt15iterator_traitsISK_E10value_typeET2_T3_PNSL_ISQ_E10value_typeET4_jRbjT5_SW_jjP12ihipStream_tbEUlT_E_NS1_11comp_targetILNS1_3genE0ELNS1_11target_archE4294967295ELNS1_3gpuE0ELNS1_3repE0EEENS1_30default_config_static_selectorELNS0_4arch9wavefront6targetE0EEEvSK_
		.amdhsa_group_segment_fixed_size 35344
		.amdhsa_private_segment_fixed_size 0
		.amdhsa_kernarg_size 352
		.amdhsa_user_sgpr_count 4
		.amdhsa_user_sgpr_dispatch_ptr 0
		.amdhsa_user_sgpr_queue_ptr 1
		.amdhsa_user_sgpr_kernarg_segment_ptr 1
		.amdhsa_user_sgpr_dispatch_id 0
		.amdhsa_user_sgpr_kernarg_preload_length 0
		.amdhsa_user_sgpr_kernarg_preload_offset 0
		.amdhsa_user_sgpr_private_segment_size 0
		.amdhsa_wavefront_size32 1
		.amdhsa_uses_dynamic_stack 0
		.amdhsa_enable_private_segment 0
		.amdhsa_system_sgpr_workgroup_id_x 1
		.amdhsa_system_sgpr_workgroup_id_y 1
		.amdhsa_system_sgpr_workgroup_id_z 0
		.amdhsa_system_sgpr_workgroup_info 0
		.amdhsa_system_vgpr_workitem_id 2
		.amdhsa_next_free_vgpr 315
		.amdhsa_next_free_sgpr 61
		.amdhsa_named_barrier_count 0
		.amdhsa_reserve_vcc 1
		.amdhsa_float_round_mode_32 0
		.amdhsa_float_round_mode_16_64 0
		.amdhsa_float_denorm_mode_32 3
		.amdhsa_float_denorm_mode_16_64 3
		.amdhsa_fp16_overflow 0
		.amdhsa_memory_ordered 1
		.amdhsa_forward_progress 1
		.amdhsa_inst_pref_size 255
		.amdhsa_round_robin_scheduling 0
		.amdhsa_exception_fp_ieee_invalid_op 0
		.amdhsa_exception_fp_denorm_src 0
		.amdhsa_exception_fp_ieee_div_zero 0
		.amdhsa_exception_fp_ieee_overflow 0
		.amdhsa_exception_fp_ieee_underflow 0
		.amdhsa_exception_fp_ieee_inexact 0
		.amdhsa_exception_int_div_zero 0
	.end_amdhsa_kernel
	.section	.text._ZN7rocprim17ROCPRIM_400000_NS6detail17trampoline_kernelINS0_14default_configENS1_36segmented_radix_sort_config_selectorIhlEEZNS1_25segmented_radix_sort_implIS3_Lb1EPKhPhPKlPlN2at6native12_GLOBAL__N_18offset_tEEE10hipError_tPvRmT1_PNSt15iterator_traitsISK_E10value_typeET2_T3_PNSL_ISQ_E10value_typeET4_jRbjT5_SW_jjP12ihipStream_tbEUlT_E_NS1_11comp_targetILNS1_3genE0ELNS1_11target_archE4294967295ELNS1_3gpuE0ELNS1_3repE0EEENS1_30default_config_static_selectorELNS0_4arch9wavefront6targetE0EEEvSK_,"axG",@progbits,_ZN7rocprim17ROCPRIM_400000_NS6detail17trampoline_kernelINS0_14default_configENS1_36segmented_radix_sort_config_selectorIhlEEZNS1_25segmented_radix_sort_implIS3_Lb1EPKhPhPKlPlN2at6native12_GLOBAL__N_18offset_tEEE10hipError_tPvRmT1_PNSt15iterator_traitsISK_E10value_typeET2_T3_PNSL_ISQ_E10value_typeET4_jRbjT5_SW_jjP12ihipStream_tbEUlT_E_NS1_11comp_targetILNS1_3genE0ELNS1_11target_archE4294967295ELNS1_3gpuE0ELNS1_3repE0EEENS1_30default_config_static_selectorELNS0_4arch9wavefront6targetE0EEEvSK_,comdat
.Lfunc_end84:
	.size	_ZN7rocprim17ROCPRIM_400000_NS6detail17trampoline_kernelINS0_14default_configENS1_36segmented_radix_sort_config_selectorIhlEEZNS1_25segmented_radix_sort_implIS3_Lb1EPKhPhPKlPlN2at6native12_GLOBAL__N_18offset_tEEE10hipError_tPvRmT1_PNSt15iterator_traitsISK_E10value_typeET2_T3_PNSL_ISQ_E10value_typeET4_jRbjT5_SW_jjP12ihipStream_tbEUlT_E_NS1_11comp_targetILNS1_3genE0ELNS1_11target_archE4294967295ELNS1_3gpuE0ELNS1_3repE0EEENS1_30default_config_static_selectorELNS0_4arch9wavefront6targetE0EEEvSK_, .Lfunc_end84-_ZN7rocprim17ROCPRIM_400000_NS6detail17trampoline_kernelINS0_14default_configENS1_36segmented_radix_sort_config_selectorIhlEEZNS1_25segmented_radix_sort_implIS3_Lb1EPKhPhPKlPlN2at6native12_GLOBAL__N_18offset_tEEE10hipError_tPvRmT1_PNSt15iterator_traitsISK_E10value_typeET2_T3_PNSL_ISQ_E10value_typeET4_jRbjT5_SW_jjP12ihipStream_tbEUlT_E_NS1_11comp_targetILNS1_3genE0ELNS1_11target_archE4294967295ELNS1_3gpuE0ELNS1_3repE0EEENS1_30default_config_static_selectorELNS0_4arch9wavefront6targetE0EEEvSK_
                                        ; -- End function
	.set _ZN7rocprim17ROCPRIM_400000_NS6detail17trampoline_kernelINS0_14default_configENS1_36segmented_radix_sort_config_selectorIhlEEZNS1_25segmented_radix_sort_implIS3_Lb1EPKhPhPKlPlN2at6native12_GLOBAL__N_18offset_tEEE10hipError_tPvRmT1_PNSt15iterator_traitsISK_E10value_typeET2_T3_PNSL_ISQ_E10value_typeET4_jRbjT5_SW_jjP12ihipStream_tbEUlT_E_NS1_11comp_targetILNS1_3genE0ELNS1_11target_archE4294967295ELNS1_3gpuE0ELNS1_3repE0EEENS1_30default_config_static_selectorELNS0_4arch9wavefront6targetE0EEEvSK_.num_vgpr, max(204, .L_ZN7rocprim17ROCPRIM_400000_NS6detail40segmented_radix_sort_single_block_helperIhlLj256ELj17ELb1EE4sortIPKhPhPKlPlEEbT_T0_T1_T2_jjjjRNS3_12storage_typeE.num_vgpr)
	.set _ZN7rocprim17ROCPRIM_400000_NS6detail17trampoline_kernelINS0_14default_configENS1_36segmented_radix_sort_config_selectorIhlEEZNS1_25segmented_radix_sort_implIS3_Lb1EPKhPhPKlPlN2at6native12_GLOBAL__N_18offset_tEEE10hipError_tPvRmT1_PNSt15iterator_traitsISK_E10value_typeET2_T3_PNSL_ISQ_E10value_typeET4_jRbjT5_SW_jjP12ihipStream_tbEUlT_E_NS1_11comp_targetILNS1_3genE0ELNS1_11target_archE4294967295ELNS1_3gpuE0ELNS1_3repE0EEENS1_30default_config_static_selectorELNS0_4arch9wavefront6targetE0EEEvSK_.num_agpr, max(0, .L_ZN7rocprim17ROCPRIM_400000_NS6detail40segmented_radix_sort_single_block_helperIhlLj256ELj17ELb1EE4sortIPKhPhPKlPlEEbT_T0_T1_T2_jjjjRNS3_12storage_typeE.num_agpr)
	.set _ZN7rocprim17ROCPRIM_400000_NS6detail17trampoline_kernelINS0_14default_configENS1_36segmented_radix_sort_config_selectorIhlEEZNS1_25segmented_radix_sort_implIS3_Lb1EPKhPhPKlPlN2at6native12_GLOBAL__N_18offset_tEEE10hipError_tPvRmT1_PNSt15iterator_traitsISK_E10value_typeET2_T3_PNSL_ISQ_E10value_typeET4_jRbjT5_SW_jjP12ihipStream_tbEUlT_E_NS1_11comp_targetILNS1_3genE0ELNS1_11target_archE4294967295ELNS1_3gpuE0ELNS1_3repE0EEENS1_30default_config_static_selectorELNS0_4arch9wavefront6targetE0EEEvSK_.numbered_sgpr, max(61, .L_ZN7rocprim17ROCPRIM_400000_NS6detail40segmented_radix_sort_single_block_helperIhlLj256ELj17ELb1EE4sortIPKhPhPKlPlEEbT_T0_T1_T2_jjjjRNS3_12storage_typeE.numbered_sgpr)
	.set _ZN7rocprim17ROCPRIM_400000_NS6detail17trampoline_kernelINS0_14default_configENS1_36segmented_radix_sort_config_selectorIhlEEZNS1_25segmented_radix_sort_implIS3_Lb1EPKhPhPKlPlN2at6native12_GLOBAL__N_18offset_tEEE10hipError_tPvRmT1_PNSt15iterator_traitsISK_E10value_typeET2_T3_PNSL_ISQ_E10value_typeET4_jRbjT5_SW_jjP12ihipStream_tbEUlT_E_NS1_11comp_targetILNS1_3genE0ELNS1_11target_archE4294967295ELNS1_3gpuE0ELNS1_3repE0EEENS1_30default_config_static_selectorELNS0_4arch9wavefront6targetE0EEEvSK_.num_named_barrier, max(0, .L_ZN7rocprim17ROCPRIM_400000_NS6detail40segmented_radix_sort_single_block_helperIhlLj256ELj17ELb1EE4sortIPKhPhPKlPlEEbT_T0_T1_T2_jjjjRNS3_12storage_typeE.num_named_barrier)
	.set _ZN7rocprim17ROCPRIM_400000_NS6detail17trampoline_kernelINS0_14default_configENS1_36segmented_radix_sort_config_selectorIhlEEZNS1_25segmented_radix_sort_implIS3_Lb1EPKhPhPKlPlN2at6native12_GLOBAL__N_18offset_tEEE10hipError_tPvRmT1_PNSt15iterator_traitsISK_E10value_typeET2_T3_PNSL_ISQ_E10value_typeET4_jRbjT5_SW_jjP12ihipStream_tbEUlT_E_NS1_11comp_targetILNS1_3genE0ELNS1_11target_archE4294967295ELNS1_3gpuE0ELNS1_3repE0EEENS1_30default_config_static_selectorELNS0_4arch9wavefront6targetE0EEEvSK_.private_seg_size, 0+max(.L_ZN7rocprim17ROCPRIM_400000_NS6detail40segmented_radix_sort_single_block_helperIhlLj256ELj17ELb1EE4sortIPKhPhPKlPlEEbT_T0_T1_T2_jjjjRNS3_12storage_typeE.private_seg_size)
	.set _ZN7rocprim17ROCPRIM_400000_NS6detail17trampoline_kernelINS0_14default_configENS1_36segmented_radix_sort_config_selectorIhlEEZNS1_25segmented_radix_sort_implIS3_Lb1EPKhPhPKlPlN2at6native12_GLOBAL__N_18offset_tEEE10hipError_tPvRmT1_PNSt15iterator_traitsISK_E10value_typeET2_T3_PNSL_ISQ_E10value_typeET4_jRbjT5_SW_jjP12ihipStream_tbEUlT_E_NS1_11comp_targetILNS1_3genE0ELNS1_11target_archE4294967295ELNS1_3gpuE0ELNS1_3repE0EEENS1_30default_config_static_selectorELNS0_4arch9wavefront6targetE0EEEvSK_.uses_vcc, or(1, .L_ZN7rocprim17ROCPRIM_400000_NS6detail40segmented_radix_sort_single_block_helperIhlLj256ELj17ELb1EE4sortIPKhPhPKlPlEEbT_T0_T1_T2_jjjjRNS3_12storage_typeE.uses_vcc)
	.set _ZN7rocprim17ROCPRIM_400000_NS6detail17trampoline_kernelINS0_14default_configENS1_36segmented_radix_sort_config_selectorIhlEEZNS1_25segmented_radix_sort_implIS3_Lb1EPKhPhPKlPlN2at6native12_GLOBAL__N_18offset_tEEE10hipError_tPvRmT1_PNSt15iterator_traitsISK_E10value_typeET2_T3_PNSL_ISQ_E10value_typeET4_jRbjT5_SW_jjP12ihipStream_tbEUlT_E_NS1_11comp_targetILNS1_3genE0ELNS1_11target_archE4294967295ELNS1_3gpuE0ELNS1_3repE0EEENS1_30default_config_static_selectorELNS0_4arch9wavefront6targetE0EEEvSK_.uses_flat_scratch, or(0, .L_ZN7rocprim17ROCPRIM_400000_NS6detail40segmented_radix_sort_single_block_helperIhlLj256ELj17ELb1EE4sortIPKhPhPKlPlEEbT_T0_T1_T2_jjjjRNS3_12storage_typeE.uses_flat_scratch)
	.set _ZN7rocprim17ROCPRIM_400000_NS6detail17trampoline_kernelINS0_14default_configENS1_36segmented_radix_sort_config_selectorIhlEEZNS1_25segmented_radix_sort_implIS3_Lb1EPKhPhPKlPlN2at6native12_GLOBAL__N_18offset_tEEE10hipError_tPvRmT1_PNSt15iterator_traitsISK_E10value_typeET2_T3_PNSL_ISQ_E10value_typeET4_jRbjT5_SW_jjP12ihipStream_tbEUlT_E_NS1_11comp_targetILNS1_3genE0ELNS1_11target_archE4294967295ELNS1_3gpuE0ELNS1_3repE0EEENS1_30default_config_static_selectorELNS0_4arch9wavefront6targetE0EEEvSK_.has_dyn_sized_stack, or(0, .L_ZN7rocprim17ROCPRIM_400000_NS6detail40segmented_radix_sort_single_block_helperIhlLj256ELj17ELb1EE4sortIPKhPhPKlPlEEbT_T0_T1_T2_jjjjRNS3_12storage_typeE.has_dyn_sized_stack)
	.set _ZN7rocprim17ROCPRIM_400000_NS6detail17trampoline_kernelINS0_14default_configENS1_36segmented_radix_sort_config_selectorIhlEEZNS1_25segmented_radix_sort_implIS3_Lb1EPKhPhPKlPlN2at6native12_GLOBAL__N_18offset_tEEE10hipError_tPvRmT1_PNSt15iterator_traitsISK_E10value_typeET2_T3_PNSL_ISQ_E10value_typeET4_jRbjT5_SW_jjP12ihipStream_tbEUlT_E_NS1_11comp_targetILNS1_3genE0ELNS1_11target_archE4294967295ELNS1_3gpuE0ELNS1_3repE0EEENS1_30default_config_static_selectorELNS0_4arch9wavefront6targetE0EEEvSK_.has_recursion, or(0, .L_ZN7rocprim17ROCPRIM_400000_NS6detail40segmented_radix_sort_single_block_helperIhlLj256ELj17ELb1EE4sortIPKhPhPKlPlEEbT_T0_T1_T2_jjjjRNS3_12storage_typeE.has_recursion)
	.set _ZN7rocprim17ROCPRIM_400000_NS6detail17trampoline_kernelINS0_14default_configENS1_36segmented_radix_sort_config_selectorIhlEEZNS1_25segmented_radix_sort_implIS3_Lb1EPKhPhPKlPlN2at6native12_GLOBAL__N_18offset_tEEE10hipError_tPvRmT1_PNSt15iterator_traitsISK_E10value_typeET2_T3_PNSL_ISQ_E10value_typeET4_jRbjT5_SW_jjP12ihipStream_tbEUlT_E_NS1_11comp_targetILNS1_3genE0ELNS1_11target_archE4294967295ELNS1_3gpuE0ELNS1_3repE0EEENS1_30default_config_static_selectorELNS0_4arch9wavefront6targetE0EEEvSK_.has_indirect_call, or(0, .L_ZN7rocprim17ROCPRIM_400000_NS6detail40segmented_radix_sort_single_block_helperIhlLj256ELj17ELb1EE4sortIPKhPhPKlPlEEbT_T0_T1_T2_jjjjRNS3_12storage_typeE.has_indirect_call)
	.section	.AMDGPU.csdata,"",@progbits
; Kernel info:
; codeLenInByte = 74580
; TotalNumSgprs: 63
; NumVgprs: 315
; ScratchSize: 0
; MemoryBound: 0
; FloatMode: 240
; IeeeMode: 1
; LDSByteSize: 35344 bytes/workgroup (compile time only)
; SGPRBlocks: 0
; VGPRBlocks: 19
; NumSGPRsForWavesPerEU: 63
; NumVGPRsForWavesPerEU: 315
; NamedBarCnt: 0
; Occupancy: 3
; WaveLimiterHint : 1
; COMPUTE_PGM_RSRC2:SCRATCH_EN: 0
; COMPUTE_PGM_RSRC2:USER_SGPR: 4
; COMPUTE_PGM_RSRC2:TRAP_HANDLER: 0
; COMPUTE_PGM_RSRC2:TGID_X_EN: 1
; COMPUTE_PGM_RSRC2:TGID_Y_EN: 1
; COMPUTE_PGM_RSRC2:TGID_Z_EN: 0
; COMPUTE_PGM_RSRC2:TIDIG_COMP_CNT: 2
	.section	.text._ZN7rocprim17ROCPRIM_400000_NS6detail17trampoline_kernelINS0_14default_configENS1_36segmented_radix_sort_config_selectorIhlEEZNS1_25segmented_radix_sort_implIS3_Lb1EPKhPhPKlPlN2at6native12_GLOBAL__N_18offset_tEEE10hipError_tPvRmT1_PNSt15iterator_traitsISK_E10value_typeET2_T3_PNSL_ISQ_E10value_typeET4_jRbjT5_SW_jjP12ihipStream_tbEUlT_E_NS1_11comp_targetILNS1_3genE5ELNS1_11target_archE942ELNS1_3gpuE9ELNS1_3repE0EEENS1_30default_config_static_selectorELNS0_4arch9wavefront6targetE0EEEvSK_,"axG",@progbits,_ZN7rocprim17ROCPRIM_400000_NS6detail17trampoline_kernelINS0_14default_configENS1_36segmented_radix_sort_config_selectorIhlEEZNS1_25segmented_radix_sort_implIS3_Lb1EPKhPhPKlPlN2at6native12_GLOBAL__N_18offset_tEEE10hipError_tPvRmT1_PNSt15iterator_traitsISK_E10value_typeET2_T3_PNSL_ISQ_E10value_typeET4_jRbjT5_SW_jjP12ihipStream_tbEUlT_E_NS1_11comp_targetILNS1_3genE5ELNS1_11target_archE942ELNS1_3gpuE9ELNS1_3repE0EEENS1_30default_config_static_selectorELNS0_4arch9wavefront6targetE0EEEvSK_,comdat
	.globl	_ZN7rocprim17ROCPRIM_400000_NS6detail17trampoline_kernelINS0_14default_configENS1_36segmented_radix_sort_config_selectorIhlEEZNS1_25segmented_radix_sort_implIS3_Lb1EPKhPhPKlPlN2at6native12_GLOBAL__N_18offset_tEEE10hipError_tPvRmT1_PNSt15iterator_traitsISK_E10value_typeET2_T3_PNSL_ISQ_E10value_typeET4_jRbjT5_SW_jjP12ihipStream_tbEUlT_E_NS1_11comp_targetILNS1_3genE5ELNS1_11target_archE942ELNS1_3gpuE9ELNS1_3repE0EEENS1_30default_config_static_selectorELNS0_4arch9wavefront6targetE0EEEvSK_ ; -- Begin function _ZN7rocprim17ROCPRIM_400000_NS6detail17trampoline_kernelINS0_14default_configENS1_36segmented_radix_sort_config_selectorIhlEEZNS1_25segmented_radix_sort_implIS3_Lb1EPKhPhPKlPlN2at6native12_GLOBAL__N_18offset_tEEE10hipError_tPvRmT1_PNSt15iterator_traitsISK_E10value_typeET2_T3_PNSL_ISQ_E10value_typeET4_jRbjT5_SW_jjP12ihipStream_tbEUlT_E_NS1_11comp_targetILNS1_3genE5ELNS1_11target_archE942ELNS1_3gpuE9ELNS1_3repE0EEENS1_30default_config_static_selectorELNS0_4arch9wavefront6targetE0EEEvSK_
	.p2align	8
	.type	_ZN7rocprim17ROCPRIM_400000_NS6detail17trampoline_kernelINS0_14default_configENS1_36segmented_radix_sort_config_selectorIhlEEZNS1_25segmented_radix_sort_implIS3_Lb1EPKhPhPKlPlN2at6native12_GLOBAL__N_18offset_tEEE10hipError_tPvRmT1_PNSt15iterator_traitsISK_E10value_typeET2_T3_PNSL_ISQ_E10value_typeET4_jRbjT5_SW_jjP12ihipStream_tbEUlT_E_NS1_11comp_targetILNS1_3genE5ELNS1_11target_archE942ELNS1_3gpuE9ELNS1_3repE0EEENS1_30default_config_static_selectorELNS0_4arch9wavefront6targetE0EEEvSK_,@function
_ZN7rocprim17ROCPRIM_400000_NS6detail17trampoline_kernelINS0_14default_configENS1_36segmented_radix_sort_config_selectorIhlEEZNS1_25segmented_radix_sort_implIS3_Lb1EPKhPhPKlPlN2at6native12_GLOBAL__N_18offset_tEEE10hipError_tPvRmT1_PNSt15iterator_traitsISK_E10value_typeET2_T3_PNSL_ISQ_E10value_typeET4_jRbjT5_SW_jjP12ihipStream_tbEUlT_E_NS1_11comp_targetILNS1_3genE5ELNS1_11target_archE942ELNS1_3gpuE9ELNS1_3repE0EEENS1_30default_config_static_selectorELNS0_4arch9wavefront6targetE0EEEvSK_: ; @_ZN7rocprim17ROCPRIM_400000_NS6detail17trampoline_kernelINS0_14default_configENS1_36segmented_radix_sort_config_selectorIhlEEZNS1_25segmented_radix_sort_implIS3_Lb1EPKhPhPKlPlN2at6native12_GLOBAL__N_18offset_tEEE10hipError_tPvRmT1_PNSt15iterator_traitsISK_E10value_typeET2_T3_PNSL_ISQ_E10value_typeET4_jRbjT5_SW_jjP12ihipStream_tbEUlT_E_NS1_11comp_targetILNS1_3genE5ELNS1_11target_archE942ELNS1_3gpuE9ELNS1_3repE0EEENS1_30default_config_static_selectorELNS0_4arch9wavefront6targetE0EEEvSK_
; %bb.0:
	.section	.rodata,"a",@progbits
	.p2align	6, 0x0
	.amdhsa_kernel _ZN7rocprim17ROCPRIM_400000_NS6detail17trampoline_kernelINS0_14default_configENS1_36segmented_radix_sort_config_selectorIhlEEZNS1_25segmented_radix_sort_implIS3_Lb1EPKhPhPKlPlN2at6native12_GLOBAL__N_18offset_tEEE10hipError_tPvRmT1_PNSt15iterator_traitsISK_E10value_typeET2_T3_PNSL_ISQ_E10value_typeET4_jRbjT5_SW_jjP12ihipStream_tbEUlT_E_NS1_11comp_targetILNS1_3genE5ELNS1_11target_archE942ELNS1_3gpuE9ELNS1_3repE0EEENS1_30default_config_static_selectorELNS0_4arch9wavefront6targetE0EEEvSK_
		.amdhsa_group_segment_fixed_size 0
		.amdhsa_private_segment_fixed_size 0
		.amdhsa_kernarg_size 96
		.amdhsa_user_sgpr_count 2
		.amdhsa_user_sgpr_dispatch_ptr 0
		.amdhsa_user_sgpr_queue_ptr 0
		.amdhsa_user_sgpr_kernarg_segment_ptr 1
		.amdhsa_user_sgpr_dispatch_id 0
		.amdhsa_user_sgpr_kernarg_preload_length 0
		.amdhsa_user_sgpr_kernarg_preload_offset 0
		.amdhsa_user_sgpr_private_segment_size 0
		.amdhsa_wavefront_size32 1
		.amdhsa_uses_dynamic_stack 0
		.amdhsa_enable_private_segment 0
		.amdhsa_system_sgpr_workgroup_id_x 1
		.amdhsa_system_sgpr_workgroup_id_y 0
		.amdhsa_system_sgpr_workgroup_id_z 0
		.amdhsa_system_sgpr_workgroup_info 0
		.amdhsa_system_vgpr_workitem_id 0
		.amdhsa_next_free_vgpr 1
		.amdhsa_next_free_sgpr 1
		.amdhsa_named_barrier_count 0
		.amdhsa_reserve_vcc 0
		.amdhsa_float_round_mode_32 0
		.amdhsa_float_round_mode_16_64 0
		.amdhsa_float_denorm_mode_32 3
		.amdhsa_float_denorm_mode_16_64 3
		.amdhsa_fp16_overflow 0
		.amdhsa_memory_ordered 1
		.amdhsa_forward_progress 1
		.amdhsa_inst_pref_size 0
		.amdhsa_round_robin_scheduling 0
		.amdhsa_exception_fp_ieee_invalid_op 0
		.amdhsa_exception_fp_denorm_src 0
		.amdhsa_exception_fp_ieee_div_zero 0
		.amdhsa_exception_fp_ieee_overflow 0
		.amdhsa_exception_fp_ieee_underflow 0
		.amdhsa_exception_fp_ieee_inexact 0
		.amdhsa_exception_int_div_zero 0
	.end_amdhsa_kernel
	.section	.text._ZN7rocprim17ROCPRIM_400000_NS6detail17trampoline_kernelINS0_14default_configENS1_36segmented_radix_sort_config_selectorIhlEEZNS1_25segmented_radix_sort_implIS3_Lb1EPKhPhPKlPlN2at6native12_GLOBAL__N_18offset_tEEE10hipError_tPvRmT1_PNSt15iterator_traitsISK_E10value_typeET2_T3_PNSL_ISQ_E10value_typeET4_jRbjT5_SW_jjP12ihipStream_tbEUlT_E_NS1_11comp_targetILNS1_3genE5ELNS1_11target_archE942ELNS1_3gpuE9ELNS1_3repE0EEENS1_30default_config_static_selectorELNS0_4arch9wavefront6targetE0EEEvSK_,"axG",@progbits,_ZN7rocprim17ROCPRIM_400000_NS6detail17trampoline_kernelINS0_14default_configENS1_36segmented_radix_sort_config_selectorIhlEEZNS1_25segmented_radix_sort_implIS3_Lb1EPKhPhPKlPlN2at6native12_GLOBAL__N_18offset_tEEE10hipError_tPvRmT1_PNSt15iterator_traitsISK_E10value_typeET2_T3_PNSL_ISQ_E10value_typeET4_jRbjT5_SW_jjP12ihipStream_tbEUlT_E_NS1_11comp_targetILNS1_3genE5ELNS1_11target_archE942ELNS1_3gpuE9ELNS1_3repE0EEENS1_30default_config_static_selectorELNS0_4arch9wavefront6targetE0EEEvSK_,comdat
.Lfunc_end85:
	.size	_ZN7rocprim17ROCPRIM_400000_NS6detail17trampoline_kernelINS0_14default_configENS1_36segmented_radix_sort_config_selectorIhlEEZNS1_25segmented_radix_sort_implIS3_Lb1EPKhPhPKlPlN2at6native12_GLOBAL__N_18offset_tEEE10hipError_tPvRmT1_PNSt15iterator_traitsISK_E10value_typeET2_T3_PNSL_ISQ_E10value_typeET4_jRbjT5_SW_jjP12ihipStream_tbEUlT_E_NS1_11comp_targetILNS1_3genE5ELNS1_11target_archE942ELNS1_3gpuE9ELNS1_3repE0EEENS1_30default_config_static_selectorELNS0_4arch9wavefront6targetE0EEEvSK_, .Lfunc_end85-_ZN7rocprim17ROCPRIM_400000_NS6detail17trampoline_kernelINS0_14default_configENS1_36segmented_radix_sort_config_selectorIhlEEZNS1_25segmented_radix_sort_implIS3_Lb1EPKhPhPKlPlN2at6native12_GLOBAL__N_18offset_tEEE10hipError_tPvRmT1_PNSt15iterator_traitsISK_E10value_typeET2_T3_PNSL_ISQ_E10value_typeET4_jRbjT5_SW_jjP12ihipStream_tbEUlT_E_NS1_11comp_targetILNS1_3genE5ELNS1_11target_archE942ELNS1_3gpuE9ELNS1_3repE0EEENS1_30default_config_static_selectorELNS0_4arch9wavefront6targetE0EEEvSK_
                                        ; -- End function
	.set _ZN7rocprim17ROCPRIM_400000_NS6detail17trampoline_kernelINS0_14default_configENS1_36segmented_radix_sort_config_selectorIhlEEZNS1_25segmented_radix_sort_implIS3_Lb1EPKhPhPKlPlN2at6native12_GLOBAL__N_18offset_tEEE10hipError_tPvRmT1_PNSt15iterator_traitsISK_E10value_typeET2_T3_PNSL_ISQ_E10value_typeET4_jRbjT5_SW_jjP12ihipStream_tbEUlT_E_NS1_11comp_targetILNS1_3genE5ELNS1_11target_archE942ELNS1_3gpuE9ELNS1_3repE0EEENS1_30default_config_static_selectorELNS0_4arch9wavefront6targetE0EEEvSK_.num_vgpr, 0
	.set _ZN7rocprim17ROCPRIM_400000_NS6detail17trampoline_kernelINS0_14default_configENS1_36segmented_radix_sort_config_selectorIhlEEZNS1_25segmented_radix_sort_implIS3_Lb1EPKhPhPKlPlN2at6native12_GLOBAL__N_18offset_tEEE10hipError_tPvRmT1_PNSt15iterator_traitsISK_E10value_typeET2_T3_PNSL_ISQ_E10value_typeET4_jRbjT5_SW_jjP12ihipStream_tbEUlT_E_NS1_11comp_targetILNS1_3genE5ELNS1_11target_archE942ELNS1_3gpuE9ELNS1_3repE0EEENS1_30default_config_static_selectorELNS0_4arch9wavefront6targetE0EEEvSK_.num_agpr, 0
	.set _ZN7rocprim17ROCPRIM_400000_NS6detail17trampoline_kernelINS0_14default_configENS1_36segmented_radix_sort_config_selectorIhlEEZNS1_25segmented_radix_sort_implIS3_Lb1EPKhPhPKlPlN2at6native12_GLOBAL__N_18offset_tEEE10hipError_tPvRmT1_PNSt15iterator_traitsISK_E10value_typeET2_T3_PNSL_ISQ_E10value_typeET4_jRbjT5_SW_jjP12ihipStream_tbEUlT_E_NS1_11comp_targetILNS1_3genE5ELNS1_11target_archE942ELNS1_3gpuE9ELNS1_3repE0EEENS1_30default_config_static_selectorELNS0_4arch9wavefront6targetE0EEEvSK_.numbered_sgpr, 0
	.set _ZN7rocprim17ROCPRIM_400000_NS6detail17trampoline_kernelINS0_14default_configENS1_36segmented_radix_sort_config_selectorIhlEEZNS1_25segmented_radix_sort_implIS3_Lb1EPKhPhPKlPlN2at6native12_GLOBAL__N_18offset_tEEE10hipError_tPvRmT1_PNSt15iterator_traitsISK_E10value_typeET2_T3_PNSL_ISQ_E10value_typeET4_jRbjT5_SW_jjP12ihipStream_tbEUlT_E_NS1_11comp_targetILNS1_3genE5ELNS1_11target_archE942ELNS1_3gpuE9ELNS1_3repE0EEENS1_30default_config_static_selectorELNS0_4arch9wavefront6targetE0EEEvSK_.num_named_barrier, 0
	.set _ZN7rocprim17ROCPRIM_400000_NS6detail17trampoline_kernelINS0_14default_configENS1_36segmented_radix_sort_config_selectorIhlEEZNS1_25segmented_radix_sort_implIS3_Lb1EPKhPhPKlPlN2at6native12_GLOBAL__N_18offset_tEEE10hipError_tPvRmT1_PNSt15iterator_traitsISK_E10value_typeET2_T3_PNSL_ISQ_E10value_typeET4_jRbjT5_SW_jjP12ihipStream_tbEUlT_E_NS1_11comp_targetILNS1_3genE5ELNS1_11target_archE942ELNS1_3gpuE9ELNS1_3repE0EEENS1_30default_config_static_selectorELNS0_4arch9wavefront6targetE0EEEvSK_.private_seg_size, 0
	.set _ZN7rocprim17ROCPRIM_400000_NS6detail17trampoline_kernelINS0_14default_configENS1_36segmented_radix_sort_config_selectorIhlEEZNS1_25segmented_radix_sort_implIS3_Lb1EPKhPhPKlPlN2at6native12_GLOBAL__N_18offset_tEEE10hipError_tPvRmT1_PNSt15iterator_traitsISK_E10value_typeET2_T3_PNSL_ISQ_E10value_typeET4_jRbjT5_SW_jjP12ihipStream_tbEUlT_E_NS1_11comp_targetILNS1_3genE5ELNS1_11target_archE942ELNS1_3gpuE9ELNS1_3repE0EEENS1_30default_config_static_selectorELNS0_4arch9wavefront6targetE0EEEvSK_.uses_vcc, 0
	.set _ZN7rocprim17ROCPRIM_400000_NS6detail17trampoline_kernelINS0_14default_configENS1_36segmented_radix_sort_config_selectorIhlEEZNS1_25segmented_radix_sort_implIS3_Lb1EPKhPhPKlPlN2at6native12_GLOBAL__N_18offset_tEEE10hipError_tPvRmT1_PNSt15iterator_traitsISK_E10value_typeET2_T3_PNSL_ISQ_E10value_typeET4_jRbjT5_SW_jjP12ihipStream_tbEUlT_E_NS1_11comp_targetILNS1_3genE5ELNS1_11target_archE942ELNS1_3gpuE9ELNS1_3repE0EEENS1_30default_config_static_selectorELNS0_4arch9wavefront6targetE0EEEvSK_.uses_flat_scratch, 0
	.set _ZN7rocprim17ROCPRIM_400000_NS6detail17trampoline_kernelINS0_14default_configENS1_36segmented_radix_sort_config_selectorIhlEEZNS1_25segmented_radix_sort_implIS3_Lb1EPKhPhPKlPlN2at6native12_GLOBAL__N_18offset_tEEE10hipError_tPvRmT1_PNSt15iterator_traitsISK_E10value_typeET2_T3_PNSL_ISQ_E10value_typeET4_jRbjT5_SW_jjP12ihipStream_tbEUlT_E_NS1_11comp_targetILNS1_3genE5ELNS1_11target_archE942ELNS1_3gpuE9ELNS1_3repE0EEENS1_30default_config_static_selectorELNS0_4arch9wavefront6targetE0EEEvSK_.has_dyn_sized_stack, 0
	.set _ZN7rocprim17ROCPRIM_400000_NS6detail17trampoline_kernelINS0_14default_configENS1_36segmented_radix_sort_config_selectorIhlEEZNS1_25segmented_radix_sort_implIS3_Lb1EPKhPhPKlPlN2at6native12_GLOBAL__N_18offset_tEEE10hipError_tPvRmT1_PNSt15iterator_traitsISK_E10value_typeET2_T3_PNSL_ISQ_E10value_typeET4_jRbjT5_SW_jjP12ihipStream_tbEUlT_E_NS1_11comp_targetILNS1_3genE5ELNS1_11target_archE942ELNS1_3gpuE9ELNS1_3repE0EEENS1_30default_config_static_selectorELNS0_4arch9wavefront6targetE0EEEvSK_.has_recursion, 0
	.set _ZN7rocprim17ROCPRIM_400000_NS6detail17trampoline_kernelINS0_14default_configENS1_36segmented_radix_sort_config_selectorIhlEEZNS1_25segmented_radix_sort_implIS3_Lb1EPKhPhPKlPlN2at6native12_GLOBAL__N_18offset_tEEE10hipError_tPvRmT1_PNSt15iterator_traitsISK_E10value_typeET2_T3_PNSL_ISQ_E10value_typeET4_jRbjT5_SW_jjP12ihipStream_tbEUlT_E_NS1_11comp_targetILNS1_3genE5ELNS1_11target_archE942ELNS1_3gpuE9ELNS1_3repE0EEENS1_30default_config_static_selectorELNS0_4arch9wavefront6targetE0EEEvSK_.has_indirect_call, 0
	.section	.AMDGPU.csdata,"",@progbits
; Kernel info:
; codeLenInByte = 0
; TotalNumSgprs: 0
; NumVgprs: 0
; ScratchSize: 0
; MemoryBound: 0
; FloatMode: 240
; IeeeMode: 1
; LDSByteSize: 0 bytes/workgroup (compile time only)
; SGPRBlocks: 0
; VGPRBlocks: 0
; NumSGPRsForWavesPerEU: 1
; NumVGPRsForWavesPerEU: 1
; NamedBarCnt: 0
; Occupancy: 16
; WaveLimiterHint : 0
; COMPUTE_PGM_RSRC2:SCRATCH_EN: 0
; COMPUTE_PGM_RSRC2:USER_SGPR: 2
; COMPUTE_PGM_RSRC2:TRAP_HANDLER: 0
; COMPUTE_PGM_RSRC2:TGID_X_EN: 1
; COMPUTE_PGM_RSRC2:TGID_Y_EN: 0
; COMPUTE_PGM_RSRC2:TGID_Z_EN: 0
; COMPUTE_PGM_RSRC2:TIDIG_COMP_CNT: 0
	.section	.text._ZN7rocprim17ROCPRIM_400000_NS6detail17trampoline_kernelINS0_14default_configENS1_36segmented_radix_sort_config_selectorIhlEEZNS1_25segmented_radix_sort_implIS3_Lb1EPKhPhPKlPlN2at6native12_GLOBAL__N_18offset_tEEE10hipError_tPvRmT1_PNSt15iterator_traitsISK_E10value_typeET2_T3_PNSL_ISQ_E10value_typeET4_jRbjT5_SW_jjP12ihipStream_tbEUlT_E_NS1_11comp_targetILNS1_3genE4ELNS1_11target_archE910ELNS1_3gpuE8ELNS1_3repE0EEENS1_30default_config_static_selectorELNS0_4arch9wavefront6targetE0EEEvSK_,"axG",@progbits,_ZN7rocprim17ROCPRIM_400000_NS6detail17trampoline_kernelINS0_14default_configENS1_36segmented_radix_sort_config_selectorIhlEEZNS1_25segmented_radix_sort_implIS3_Lb1EPKhPhPKlPlN2at6native12_GLOBAL__N_18offset_tEEE10hipError_tPvRmT1_PNSt15iterator_traitsISK_E10value_typeET2_T3_PNSL_ISQ_E10value_typeET4_jRbjT5_SW_jjP12ihipStream_tbEUlT_E_NS1_11comp_targetILNS1_3genE4ELNS1_11target_archE910ELNS1_3gpuE8ELNS1_3repE0EEENS1_30default_config_static_selectorELNS0_4arch9wavefront6targetE0EEEvSK_,comdat
	.globl	_ZN7rocprim17ROCPRIM_400000_NS6detail17trampoline_kernelINS0_14default_configENS1_36segmented_radix_sort_config_selectorIhlEEZNS1_25segmented_radix_sort_implIS3_Lb1EPKhPhPKlPlN2at6native12_GLOBAL__N_18offset_tEEE10hipError_tPvRmT1_PNSt15iterator_traitsISK_E10value_typeET2_T3_PNSL_ISQ_E10value_typeET4_jRbjT5_SW_jjP12ihipStream_tbEUlT_E_NS1_11comp_targetILNS1_3genE4ELNS1_11target_archE910ELNS1_3gpuE8ELNS1_3repE0EEENS1_30default_config_static_selectorELNS0_4arch9wavefront6targetE0EEEvSK_ ; -- Begin function _ZN7rocprim17ROCPRIM_400000_NS6detail17trampoline_kernelINS0_14default_configENS1_36segmented_radix_sort_config_selectorIhlEEZNS1_25segmented_radix_sort_implIS3_Lb1EPKhPhPKlPlN2at6native12_GLOBAL__N_18offset_tEEE10hipError_tPvRmT1_PNSt15iterator_traitsISK_E10value_typeET2_T3_PNSL_ISQ_E10value_typeET4_jRbjT5_SW_jjP12ihipStream_tbEUlT_E_NS1_11comp_targetILNS1_3genE4ELNS1_11target_archE910ELNS1_3gpuE8ELNS1_3repE0EEENS1_30default_config_static_selectorELNS0_4arch9wavefront6targetE0EEEvSK_
	.p2align	8
	.type	_ZN7rocprim17ROCPRIM_400000_NS6detail17trampoline_kernelINS0_14default_configENS1_36segmented_radix_sort_config_selectorIhlEEZNS1_25segmented_radix_sort_implIS3_Lb1EPKhPhPKlPlN2at6native12_GLOBAL__N_18offset_tEEE10hipError_tPvRmT1_PNSt15iterator_traitsISK_E10value_typeET2_T3_PNSL_ISQ_E10value_typeET4_jRbjT5_SW_jjP12ihipStream_tbEUlT_E_NS1_11comp_targetILNS1_3genE4ELNS1_11target_archE910ELNS1_3gpuE8ELNS1_3repE0EEENS1_30default_config_static_selectorELNS0_4arch9wavefront6targetE0EEEvSK_,@function
_ZN7rocprim17ROCPRIM_400000_NS6detail17trampoline_kernelINS0_14default_configENS1_36segmented_radix_sort_config_selectorIhlEEZNS1_25segmented_radix_sort_implIS3_Lb1EPKhPhPKlPlN2at6native12_GLOBAL__N_18offset_tEEE10hipError_tPvRmT1_PNSt15iterator_traitsISK_E10value_typeET2_T3_PNSL_ISQ_E10value_typeET4_jRbjT5_SW_jjP12ihipStream_tbEUlT_E_NS1_11comp_targetILNS1_3genE4ELNS1_11target_archE910ELNS1_3gpuE8ELNS1_3repE0EEENS1_30default_config_static_selectorELNS0_4arch9wavefront6targetE0EEEvSK_: ; @_ZN7rocprim17ROCPRIM_400000_NS6detail17trampoline_kernelINS0_14default_configENS1_36segmented_radix_sort_config_selectorIhlEEZNS1_25segmented_radix_sort_implIS3_Lb1EPKhPhPKlPlN2at6native12_GLOBAL__N_18offset_tEEE10hipError_tPvRmT1_PNSt15iterator_traitsISK_E10value_typeET2_T3_PNSL_ISQ_E10value_typeET4_jRbjT5_SW_jjP12ihipStream_tbEUlT_E_NS1_11comp_targetILNS1_3genE4ELNS1_11target_archE910ELNS1_3gpuE8ELNS1_3repE0EEENS1_30default_config_static_selectorELNS0_4arch9wavefront6targetE0EEEvSK_
; %bb.0:
	.section	.rodata,"a",@progbits
	.p2align	6, 0x0
	.amdhsa_kernel _ZN7rocprim17ROCPRIM_400000_NS6detail17trampoline_kernelINS0_14default_configENS1_36segmented_radix_sort_config_selectorIhlEEZNS1_25segmented_radix_sort_implIS3_Lb1EPKhPhPKlPlN2at6native12_GLOBAL__N_18offset_tEEE10hipError_tPvRmT1_PNSt15iterator_traitsISK_E10value_typeET2_T3_PNSL_ISQ_E10value_typeET4_jRbjT5_SW_jjP12ihipStream_tbEUlT_E_NS1_11comp_targetILNS1_3genE4ELNS1_11target_archE910ELNS1_3gpuE8ELNS1_3repE0EEENS1_30default_config_static_selectorELNS0_4arch9wavefront6targetE0EEEvSK_
		.amdhsa_group_segment_fixed_size 0
		.amdhsa_private_segment_fixed_size 0
		.amdhsa_kernarg_size 96
		.amdhsa_user_sgpr_count 2
		.amdhsa_user_sgpr_dispatch_ptr 0
		.amdhsa_user_sgpr_queue_ptr 0
		.amdhsa_user_sgpr_kernarg_segment_ptr 1
		.amdhsa_user_sgpr_dispatch_id 0
		.amdhsa_user_sgpr_kernarg_preload_length 0
		.amdhsa_user_sgpr_kernarg_preload_offset 0
		.amdhsa_user_sgpr_private_segment_size 0
		.amdhsa_wavefront_size32 1
		.amdhsa_uses_dynamic_stack 0
		.amdhsa_enable_private_segment 0
		.amdhsa_system_sgpr_workgroup_id_x 1
		.amdhsa_system_sgpr_workgroup_id_y 0
		.amdhsa_system_sgpr_workgroup_id_z 0
		.amdhsa_system_sgpr_workgroup_info 0
		.amdhsa_system_vgpr_workitem_id 0
		.amdhsa_next_free_vgpr 1
		.amdhsa_next_free_sgpr 1
		.amdhsa_named_barrier_count 0
		.amdhsa_reserve_vcc 0
		.amdhsa_float_round_mode_32 0
		.amdhsa_float_round_mode_16_64 0
		.amdhsa_float_denorm_mode_32 3
		.amdhsa_float_denorm_mode_16_64 3
		.amdhsa_fp16_overflow 0
		.amdhsa_memory_ordered 1
		.amdhsa_forward_progress 1
		.amdhsa_inst_pref_size 0
		.amdhsa_round_robin_scheduling 0
		.amdhsa_exception_fp_ieee_invalid_op 0
		.amdhsa_exception_fp_denorm_src 0
		.amdhsa_exception_fp_ieee_div_zero 0
		.amdhsa_exception_fp_ieee_overflow 0
		.amdhsa_exception_fp_ieee_underflow 0
		.amdhsa_exception_fp_ieee_inexact 0
		.amdhsa_exception_int_div_zero 0
	.end_amdhsa_kernel
	.section	.text._ZN7rocprim17ROCPRIM_400000_NS6detail17trampoline_kernelINS0_14default_configENS1_36segmented_radix_sort_config_selectorIhlEEZNS1_25segmented_radix_sort_implIS3_Lb1EPKhPhPKlPlN2at6native12_GLOBAL__N_18offset_tEEE10hipError_tPvRmT1_PNSt15iterator_traitsISK_E10value_typeET2_T3_PNSL_ISQ_E10value_typeET4_jRbjT5_SW_jjP12ihipStream_tbEUlT_E_NS1_11comp_targetILNS1_3genE4ELNS1_11target_archE910ELNS1_3gpuE8ELNS1_3repE0EEENS1_30default_config_static_selectorELNS0_4arch9wavefront6targetE0EEEvSK_,"axG",@progbits,_ZN7rocprim17ROCPRIM_400000_NS6detail17trampoline_kernelINS0_14default_configENS1_36segmented_radix_sort_config_selectorIhlEEZNS1_25segmented_radix_sort_implIS3_Lb1EPKhPhPKlPlN2at6native12_GLOBAL__N_18offset_tEEE10hipError_tPvRmT1_PNSt15iterator_traitsISK_E10value_typeET2_T3_PNSL_ISQ_E10value_typeET4_jRbjT5_SW_jjP12ihipStream_tbEUlT_E_NS1_11comp_targetILNS1_3genE4ELNS1_11target_archE910ELNS1_3gpuE8ELNS1_3repE0EEENS1_30default_config_static_selectorELNS0_4arch9wavefront6targetE0EEEvSK_,comdat
.Lfunc_end86:
	.size	_ZN7rocprim17ROCPRIM_400000_NS6detail17trampoline_kernelINS0_14default_configENS1_36segmented_radix_sort_config_selectorIhlEEZNS1_25segmented_radix_sort_implIS3_Lb1EPKhPhPKlPlN2at6native12_GLOBAL__N_18offset_tEEE10hipError_tPvRmT1_PNSt15iterator_traitsISK_E10value_typeET2_T3_PNSL_ISQ_E10value_typeET4_jRbjT5_SW_jjP12ihipStream_tbEUlT_E_NS1_11comp_targetILNS1_3genE4ELNS1_11target_archE910ELNS1_3gpuE8ELNS1_3repE0EEENS1_30default_config_static_selectorELNS0_4arch9wavefront6targetE0EEEvSK_, .Lfunc_end86-_ZN7rocprim17ROCPRIM_400000_NS6detail17trampoline_kernelINS0_14default_configENS1_36segmented_radix_sort_config_selectorIhlEEZNS1_25segmented_radix_sort_implIS3_Lb1EPKhPhPKlPlN2at6native12_GLOBAL__N_18offset_tEEE10hipError_tPvRmT1_PNSt15iterator_traitsISK_E10value_typeET2_T3_PNSL_ISQ_E10value_typeET4_jRbjT5_SW_jjP12ihipStream_tbEUlT_E_NS1_11comp_targetILNS1_3genE4ELNS1_11target_archE910ELNS1_3gpuE8ELNS1_3repE0EEENS1_30default_config_static_selectorELNS0_4arch9wavefront6targetE0EEEvSK_
                                        ; -- End function
	.set _ZN7rocprim17ROCPRIM_400000_NS6detail17trampoline_kernelINS0_14default_configENS1_36segmented_radix_sort_config_selectorIhlEEZNS1_25segmented_radix_sort_implIS3_Lb1EPKhPhPKlPlN2at6native12_GLOBAL__N_18offset_tEEE10hipError_tPvRmT1_PNSt15iterator_traitsISK_E10value_typeET2_T3_PNSL_ISQ_E10value_typeET4_jRbjT5_SW_jjP12ihipStream_tbEUlT_E_NS1_11comp_targetILNS1_3genE4ELNS1_11target_archE910ELNS1_3gpuE8ELNS1_3repE0EEENS1_30default_config_static_selectorELNS0_4arch9wavefront6targetE0EEEvSK_.num_vgpr, 0
	.set _ZN7rocprim17ROCPRIM_400000_NS6detail17trampoline_kernelINS0_14default_configENS1_36segmented_radix_sort_config_selectorIhlEEZNS1_25segmented_radix_sort_implIS3_Lb1EPKhPhPKlPlN2at6native12_GLOBAL__N_18offset_tEEE10hipError_tPvRmT1_PNSt15iterator_traitsISK_E10value_typeET2_T3_PNSL_ISQ_E10value_typeET4_jRbjT5_SW_jjP12ihipStream_tbEUlT_E_NS1_11comp_targetILNS1_3genE4ELNS1_11target_archE910ELNS1_3gpuE8ELNS1_3repE0EEENS1_30default_config_static_selectorELNS0_4arch9wavefront6targetE0EEEvSK_.num_agpr, 0
	.set _ZN7rocprim17ROCPRIM_400000_NS6detail17trampoline_kernelINS0_14default_configENS1_36segmented_radix_sort_config_selectorIhlEEZNS1_25segmented_radix_sort_implIS3_Lb1EPKhPhPKlPlN2at6native12_GLOBAL__N_18offset_tEEE10hipError_tPvRmT1_PNSt15iterator_traitsISK_E10value_typeET2_T3_PNSL_ISQ_E10value_typeET4_jRbjT5_SW_jjP12ihipStream_tbEUlT_E_NS1_11comp_targetILNS1_3genE4ELNS1_11target_archE910ELNS1_3gpuE8ELNS1_3repE0EEENS1_30default_config_static_selectorELNS0_4arch9wavefront6targetE0EEEvSK_.numbered_sgpr, 0
	.set _ZN7rocprim17ROCPRIM_400000_NS6detail17trampoline_kernelINS0_14default_configENS1_36segmented_radix_sort_config_selectorIhlEEZNS1_25segmented_radix_sort_implIS3_Lb1EPKhPhPKlPlN2at6native12_GLOBAL__N_18offset_tEEE10hipError_tPvRmT1_PNSt15iterator_traitsISK_E10value_typeET2_T3_PNSL_ISQ_E10value_typeET4_jRbjT5_SW_jjP12ihipStream_tbEUlT_E_NS1_11comp_targetILNS1_3genE4ELNS1_11target_archE910ELNS1_3gpuE8ELNS1_3repE0EEENS1_30default_config_static_selectorELNS0_4arch9wavefront6targetE0EEEvSK_.num_named_barrier, 0
	.set _ZN7rocprim17ROCPRIM_400000_NS6detail17trampoline_kernelINS0_14default_configENS1_36segmented_radix_sort_config_selectorIhlEEZNS1_25segmented_radix_sort_implIS3_Lb1EPKhPhPKlPlN2at6native12_GLOBAL__N_18offset_tEEE10hipError_tPvRmT1_PNSt15iterator_traitsISK_E10value_typeET2_T3_PNSL_ISQ_E10value_typeET4_jRbjT5_SW_jjP12ihipStream_tbEUlT_E_NS1_11comp_targetILNS1_3genE4ELNS1_11target_archE910ELNS1_3gpuE8ELNS1_3repE0EEENS1_30default_config_static_selectorELNS0_4arch9wavefront6targetE0EEEvSK_.private_seg_size, 0
	.set _ZN7rocprim17ROCPRIM_400000_NS6detail17trampoline_kernelINS0_14default_configENS1_36segmented_radix_sort_config_selectorIhlEEZNS1_25segmented_radix_sort_implIS3_Lb1EPKhPhPKlPlN2at6native12_GLOBAL__N_18offset_tEEE10hipError_tPvRmT1_PNSt15iterator_traitsISK_E10value_typeET2_T3_PNSL_ISQ_E10value_typeET4_jRbjT5_SW_jjP12ihipStream_tbEUlT_E_NS1_11comp_targetILNS1_3genE4ELNS1_11target_archE910ELNS1_3gpuE8ELNS1_3repE0EEENS1_30default_config_static_selectorELNS0_4arch9wavefront6targetE0EEEvSK_.uses_vcc, 0
	.set _ZN7rocprim17ROCPRIM_400000_NS6detail17trampoline_kernelINS0_14default_configENS1_36segmented_radix_sort_config_selectorIhlEEZNS1_25segmented_radix_sort_implIS3_Lb1EPKhPhPKlPlN2at6native12_GLOBAL__N_18offset_tEEE10hipError_tPvRmT1_PNSt15iterator_traitsISK_E10value_typeET2_T3_PNSL_ISQ_E10value_typeET4_jRbjT5_SW_jjP12ihipStream_tbEUlT_E_NS1_11comp_targetILNS1_3genE4ELNS1_11target_archE910ELNS1_3gpuE8ELNS1_3repE0EEENS1_30default_config_static_selectorELNS0_4arch9wavefront6targetE0EEEvSK_.uses_flat_scratch, 0
	.set _ZN7rocprim17ROCPRIM_400000_NS6detail17trampoline_kernelINS0_14default_configENS1_36segmented_radix_sort_config_selectorIhlEEZNS1_25segmented_radix_sort_implIS3_Lb1EPKhPhPKlPlN2at6native12_GLOBAL__N_18offset_tEEE10hipError_tPvRmT1_PNSt15iterator_traitsISK_E10value_typeET2_T3_PNSL_ISQ_E10value_typeET4_jRbjT5_SW_jjP12ihipStream_tbEUlT_E_NS1_11comp_targetILNS1_3genE4ELNS1_11target_archE910ELNS1_3gpuE8ELNS1_3repE0EEENS1_30default_config_static_selectorELNS0_4arch9wavefront6targetE0EEEvSK_.has_dyn_sized_stack, 0
	.set _ZN7rocprim17ROCPRIM_400000_NS6detail17trampoline_kernelINS0_14default_configENS1_36segmented_radix_sort_config_selectorIhlEEZNS1_25segmented_radix_sort_implIS3_Lb1EPKhPhPKlPlN2at6native12_GLOBAL__N_18offset_tEEE10hipError_tPvRmT1_PNSt15iterator_traitsISK_E10value_typeET2_T3_PNSL_ISQ_E10value_typeET4_jRbjT5_SW_jjP12ihipStream_tbEUlT_E_NS1_11comp_targetILNS1_3genE4ELNS1_11target_archE910ELNS1_3gpuE8ELNS1_3repE0EEENS1_30default_config_static_selectorELNS0_4arch9wavefront6targetE0EEEvSK_.has_recursion, 0
	.set _ZN7rocprim17ROCPRIM_400000_NS6detail17trampoline_kernelINS0_14default_configENS1_36segmented_radix_sort_config_selectorIhlEEZNS1_25segmented_radix_sort_implIS3_Lb1EPKhPhPKlPlN2at6native12_GLOBAL__N_18offset_tEEE10hipError_tPvRmT1_PNSt15iterator_traitsISK_E10value_typeET2_T3_PNSL_ISQ_E10value_typeET4_jRbjT5_SW_jjP12ihipStream_tbEUlT_E_NS1_11comp_targetILNS1_3genE4ELNS1_11target_archE910ELNS1_3gpuE8ELNS1_3repE0EEENS1_30default_config_static_selectorELNS0_4arch9wavefront6targetE0EEEvSK_.has_indirect_call, 0
	.section	.AMDGPU.csdata,"",@progbits
; Kernel info:
; codeLenInByte = 0
; TotalNumSgprs: 0
; NumVgprs: 0
; ScratchSize: 0
; MemoryBound: 0
; FloatMode: 240
; IeeeMode: 1
; LDSByteSize: 0 bytes/workgroup (compile time only)
; SGPRBlocks: 0
; VGPRBlocks: 0
; NumSGPRsForWavesPerEU: 1
; NumVGPRsForWavesPerEU: 1
; NamedBarCnt: 0
; Occupancy: 16
; WaveLimiterHint : 0
; COMPUTE_PGM_RSRC2:SCRATCH_EN: 0
; COMPUTE_PGM_RSRC2:USER_SGPR: 2
; COMPUTE_PGM_RSRC2:TRAP_HANDLER: 0
; COMPUTE_PGM_RSRC2:TGID_X_EN: 1
; COMPUTE_PGM_RSRC2:TGID_Y_EN: 0
; COMPUTE_PGM_RSRC2:TGID_Z_EN: 0
; COMPUTE_PGM_RSRC2:TIDIG_COMP_CNT: 0
	.section	.text._ZN7rocprim17ROCPRIM_400000_NS6detail17trampoline_kernelINS0_14default_configENS1_36segmented_radix_sort_config_selectorIhlEEZNS1_25segmented_radix_sort_implIS3_Lb1EPKhPhPKlPlN2at6native12_GLOBAL__N_18offset_tEEE10hipError_tPvRmT1_PNSt15iterator_traitsISK_E10value_typeET2_T3_PNSL_ISQ_E10value_typeET4_jRbjT5_SW_jjP12ihipStream_tbEUlT_E_NS1_11comp_targetILNS1_3genE3ELNS1_11target_archE908ELNS1_3gpuE7ELNS1_3repE0EEENS1_30default_config_static_selectorELNS0_4arch9wavefront6targetE0EEEvSK_,"axG",@progbits,_ZN7rocprim17ROCPRIM_400000_NS6detail17trampoline_kernelINS0_14default_configENS1_36segmented_radix_sort_config_selectorIhlEEZNS1_25segmented_radix_sort_implIS3_Lb1EPKhPhPKlPlN2at6native12_GLOBAL__N_18offset_tEEE10hipError_tPvRmT1_PNSt15iterator_traitsISK_E10value_typeET2_T3_PNSL_ISQ_E10value_typeET4_jRbjT5_SW_jjP12ihipStream_tbEUlT_E_NS1_11comp_targetILNS1_3genE3ELNS1_11target_archE908ELNS1_3gpuE7ELNS1_3repE0EEENS1_30default_config_static_selectorELNS0_4arch9wavefront6targetE0EEEvSK_,comdat
	.globl	_ZN7rocprim17ROCPRIM_400000_NS6detail17trampoline_kernelINS0_14default_configENS1_36segmented_radix_sort_config_selectorIhlEEZNS1_25segmented_radix_sort_implIS3_Lb1EPKhPhPKlPlN2at6native12_GLOBAL__N_18offset_tEEE10hipError_tPvRmT1_PNSt15iterator_traitsISK_E10value_typeET2_T3_PNSL_ISQ_E10value_typeET4_jRbjT5_SW_jjP12ihipStream_tbEUlT_E_NS1_11comp_targetILNS1_3genE3ELNS1_11target_archE908ELNS1_3gpuE7ELNS1_3repE0EEENS1_30default_config_static_selectorELNS0_4arch9wavefront6targetE0EEEvSK_ ; -- Begin function _ZN7rocprim17ROCPRIM_400000_NS6detail17trampoline_kernelINS0_14default_configENS1_36segmented_radix_sort_config_selectorIhlEEZNS1_25segmented_radix_sort_implIS3_Lb1EPKhPhPKlPlN2at6native12_GLOBAL__N_18offset_tEEE10hipError_tPvRmT1_PNSt15iterator_traitsISK_E10value_typeET2_T3_PNSL_ISQ_E10value_typeET4_jRbjT5_SW_jjP12ihipStream_tbEUlT_E_NS1_11comp_targetILNS1_3genE3ELNS1_11target_archE908ELNS1_3gpuE7ELNS1_3repE0EEENS1_30default_config_static_selectorELNS0_4arch9wavefront6targetE0EEEvSK_
	.p2align	8
	.type	_ZN7rocprim17ROCPRIM_400000_NS6detail17trampoline_kernelINS0_14default_configENS1_36segmented_radix_sort_config_selectorIhlEEZNS1_25segmented_radix_sort_implIS3_Lb1EPKhPhPKlPlN2at6native12_GLOBAL__N_18offset_tEEE10hipError_tPvRmT1_PNSt15iterator_traitsISK_E10value_typeET2_T3_PNSL_ISQ_E10value_typeET4_jRbjT5_SW_jjP12ihipStream_tbEUlT_E_NS1_11comp_targetILNS1_3genE3ELNS1_11target_archE908ELNS1_3gpuE7ELNS1_3repE0EEENS1_30default_config_static_selectorELNS0_4arch9wavefront6targetE0EEEvSK_,@function
_ZN7rocprim17ROCPRIM_400000_NS6detail17trampoline_kernelINS0_14default_configENS1_36segmented_radix_sort_config_selectorIhlEEZNS1_25segmented_radix_sort_implIS3_Lb1EPKhPhPKlPlN2at6native12_GLOBAL__N_18offset_tEEE10hipError_tPvRmT1_PNSt15iterator_traitsISK_E10value_typeET2_T3_PNSL_ISQ_E10value_typeET4_jRbjT5_SW_jjP12ihipStream_tbEUlT_E_NS1_11comp_targetILNS1_3genE3ELNS1_11target_archE908ELNS1_3gpuE7ELNS1_3repE0EEENS1_30default_config_static_selectorELNS0_4arch9wavefront6targetE0EEEvSK_: ; @_ZN7rocprim17ROCPRIM_400000_NS6detail17trampoline_kernelINS0_14default_configENS1_36segmented_radix_sort_config_selectorIhlEEZNS1_25segmented_radix_sort_implIS3_Lb1EPKhPhPKlPlN2at6native12_GLOBAL__N_18offset_tEEE10hipError_tPvRmT1_PNSt15iterator_traitsISK_E10value_typeET2_T3_PNSL_ISQ_E10value_typeET4_jRbjT5_SW_jjP12ihipStream_tbEUlT_E_NS1_11comp_targetILNS1_3genE3ELNS1_11target_archE908ELNS1_3gpuE7ELNS1_3repE0EEENS1_30default_config_static_selectorELNS0_4arch9wavefront6targetE0EEEvSK_
; %bb.0:
	.section	.rodata,"a",@progbits
	.p2align	6, 0x0
	.amdhsa_kernel _ZN7rocprim17ROCPRIM_400000_NS6detail17trampoline_kernelINS0_14default_configENS1_36segmented_radix_sort_config_selectorIhlEEZNS1_25segmented_radix_sort_implIS3_Lb1EPKhPhPKlPlN2at6native12_GLOBAL__N_18offset_tEEE10hipError_tPvRmT1_PNSt15iterator_traitsISK_E10value_typeET2_T3_PNSL_ISQ_E10value_typeET4_jRbjT5_SW_jjP12ihipStream_tbEUlT_E_NS1_11comp_targetILNS1_3genE3ELNS1_11target_archE908ELNS1_3gpuE7ELNS1_3repE0EEENS1_30default_config_static_selectorELNS0_4arch9wavefront6targetE0EEEvSK_
		.amdhsa_group_segment_fixed_size 0
		.amdhsa_private_segment_fixed_size 0
		.amdhsa_kernarg_size 96
		.amdhsa_user_sgpr_count 2
		.amdhsa_user_sgpr_dispatch_ptr 0
		.amdhsa_user_sgpr_queue_ptr 0
		.amdhsa_user_sgpr_kernarg_segment_ptr 1
		.amdhsa_user_sgpr_dispatch_id 0
		.amdhsa_user_sgpr_kernarg_preload_length 0
		.amdhsa_user_sgpr_kernarg_preload_offset 0
		.amdhsa_user_sgpr_private_segment_size 0
		.amdhsa_wavefront_size32 1
		.amdhsa_uses_dynamic_stack 0
		.amdhsa_enable_private_segment 0
		.amdhsa_system_sgpr_workgroup_id_x 1
		.amdhsa_system_sgpr_workgroup_id_y 0
		.amdhsa_system_sgpr_workgroup_id_z 0
		.amdhsa_system_sgpr_workgroup_info 0
		.amdhsa_system_vgpr_workitem_id 0
		.amdhsa_next_free_vgpr 1
		.amdhsa_next_free_sgpr 1
		.amdhsa_named_barrier_count 0
		.amdhsa_reserve_vcc 0
		.amdhsa_float_round_mode_32 0
		.amdhsa_float_round_mode_16_64 0
		.amdhsa_float_denorm_mode_32 3
		.amdhsa_float_denorm_mode_16_64 3
		.amdhsa_fp16_overflow 0
		.amdhsa_memory_ordered 1
		.amdhsa_forward_progress 1
		.amdhsa_inst_pref_size 0
		.amdhsa_round_robin_scheduling 0
		.amdhsa_exception_fp_ieee_invalid_op 0
		.amdhsa_exception_fp_denorm_src 0
		.amdhsa_exception_fp_ieee_div_zero 0
		.amdhsa_exception_fp_ieee_overflow 0
		.amdhsa_exception_fp_ieee_underflow 0
		.amdhsa_exception_fp_ieee_inexact 0
		.amdhsa_exception_int_div_zero 0
	.end_amdhsa_kernel
	.section	.text._ZN7rocprim17ROCPRIM_400000_NS6detail17trampoline_kernelINS0_14default_configENS1_36segmented_radix_sort_config_selectorIhlEEZNS1_25segmented_radix_sort_implIS3_Lb1EPKhPhPKlPlN2at6native12_GLOBAL__N_18offset_tEEE10hipError_tPvRmT1_PNSt15iterator_traitsISK_E10value_typeET2_T3_PNSL_ISQ_E10value_typeET4_jRbjT5_SW_jjP12ihipStream_tbEUlT_E_NS1_11comp_targetILNS1_3genE3ELNS1_11target_archE908ELNS1_3gpuE7ELNS1_3repE0EEENS1_30default_config_static_selectorELNS0_4arch9wavefront6targetE0EEEvSK_,"axG",@progbits,_ZN7rocprim17ROCPRIM_400000_NS6detail17trampoline_kernelINS0_14default_configENS1_36segmented_radix_sort_config_selectorIhlEEZNS1_25segmented_radix_sort_implIS3_Lb1EPKhPhPKlPlN2at6native12_GLOBAL__N_18offset_tEEE10hipError_tPvRmT1_PNSt15iterator_traitsISK_E10value_typeET2_T3_PNSL_ISQ_E10value_typeET4_jRbjT5_SW_jjP12ihipStream_tbEUlT_E_NS1_11comp_targetILNS1_3genE3ELNS1_11target_archE908ELNS1_3gpuE7ELNS1_3repE0EEENS1_30default_config_static_selectorELNS0_4arch9wavefront6targetE0EEEvSK_,comdat
.Lfunc_end87:
	.size	_ZN7rocprim17ROCPRIM_400000_NS6detail17trampoline_kernelINS0_14default_configENS1_36segmented_radix_sort_config_selectorIhlEEZNS1_25segmented_radix_sort_implIS3_Lb1EPKhPhPKlPlN2at6native12_GLOBAL__N_18offset_tEEE10hipError_tPvRmT1_PNSt15iterator_traitsISK_E10value_typeET2_T3_PNSL_ISQ_E10value_typeET4_jRbjT5_SW_jjP12ihipStream_tbEUlT_E_NS1_11comp_targetILNS1_3genE3ELNS1_11target_archE908ELNS1_3gpuE7ELNS1_3repE0EEENS1_30default_config_static_selectorELNS0_4arch9wavefront6targetE0EEEvSK_, .Lfunc_end87-_ZN7rocprim17ROCPRIM_400000_NS6detail17trampoline_kernelINS0_14default_configENS1_36segmented_radix_sort_config_selectorIhlEEZNS1_25segmented_radix_sort_implIS3_Lb1EPKhPhPKlPlN2at6native12_GLOBAL__N_18offset_tEEE10hipError_tPvRmT1_PNSt15iterator_traitsISK_E10value_typeET2_T3_PNSL_ISQ_E10value_typeET4_jRbjT5_SW_jjP12ihipStream_tbEUlT_E_NS1_11comp_targetILNS1_3genE3ELNS1_11target_archE908ELNS1_3gpuE7ELNS1_3repE0EEENS1_30default_config_static_selectorELNS0_4arch9wavefront6targetE0EEEvSK_
                                        ; -- End function
	.set _ZN7rocprim17ROCPRIM_400000_NS6detail17trampoline_kernelINS0_14default_configENS1_36segmented_radix_sort_config_selectorIhlEEZNS1_25segmented_radix_sort_implIS3_Lb1EPKhPhPKlPlN2at6native12_GLOBAL__N_18offset_tEEE10hipError_tPvRmT1_PNSt15iterator_traitsISK_E10value_typeET2_T3_PNSL_ISQ_E10value_typeET4_jRbjT5_SW_jjP12ihipStream_tbEUlT_E_NS1_11comp_targetILNS1_3genE3ELNS1_11target_archE908ELNS1_3gpuE7ELNS1_3repE0EEENS1_30default_config_static_selectorELNS0_4arch9wavefront6targetE0EEEvSK_.num_vgpr, 0
	.set _ZN7rocprim17ROCPRIM_400000_NS6detail17trampoline_kernelINS0_14default_configENS1_36segmented_radix_sort_config_selectorIhlEEZNS1_25segmented_radix_sort_implIS3_Lb1EPKhPhPKlPlN2at6native12_GLOBAL__N_18offset_tEEE10hipError_tPvRmT1_PNSt15iterator_traitsISK_E10value_typeET2_T3_PNSL_ISQ_E10value_typeET4_jRbjT5_SW_jjP12ihipStream_tbEUlT_E_NS1_11comp_targetILNS1_3genE3ELNS1_11target_archE908ELNS1_3gpuE7ELNS1_3repE0EEENS1_30default_config_static_selectorELNS0_4arch9wavefront6targetE0EEEvSK_.num_agpr, 0
	.set _ZN7rocprim17ROCPRIM_400000_NS6detail17trampoline_kernelINS0_14default_configENS1_36segmented_radix_sort_config_selectorIhlEEZNS1_25segmented_radix_sort_implIS3_Lb1EPKhPhPKlPlN2at6native12_GLOBAL__N_18offset_tEEE10hipError_tPvRmT1_PNSt15iterator_traitsISK_E10value_typeET2_T3_PNSL_ISQ_E10value_typeET4_jRbjT5_SW_jjP12ihipStream_tbEUlT_E_NS1_11comp_targetILNS1_3genE3ELNS1_11target_archE908ELNS1_3gpuE7ELNS1_3repE0EEENS1_30default_config_static_selectorELNS0_4arch9wavefront6targetE0EEEvSK_.numbered_sgpr, 0
	.set _ZN7rocprim17ROCPRIM_400000_NS6detail17trampoline_kernelINS0_14default_configENS1_36segmented_radix_sort_config_selectorIhlEEZNS1_25segmented_radix_sort_implIS3_Lb1EPKhPhPKlPlN2at6native12_GLOBAL__N_18offset_tEEE10hipError_tPvRmT1_PNSt15iterator_traitsISK_E10value_typeET2_T3_PNSL_ISQ_E10value_typeET4_jRbjT5_SW_jjP12ihipStream_tbEUlT_E_NS1_11comp_targetILNS1_3genE3ELNS1_11target_archE908ELNS1_3gpuE7ELNS1_3repE0EEENS1_30default_config_static_selectorELNS0_4arch9wavefront6targetE0EEEvSK_.num_named_barrier, 0
	.set _ZN7rocprim17ROCPRIM_400000_NS6detail17trampoline_kernelINS0_14default_configENS1_36segmented_radix_sort_config_selectorIhlEEZNS1_25segmented_radix_sort_implIS3_Lb1EPKhPhPKlPlN2at6native12_GLOBAL__N_18offset_tEEE10hipError_tPvRmT1_PNSt15iterator_traitsISK_E10value_typeET2_T3_PNSL_ISQ_E10value_typeET4_jRbjT5_SW_jjP12ihipStream_tbEUlT_E_NS1_11comp_targetILNS1_3genE3ELNS1_11target_archE908ELNS1_3gpuE7ELNS1_3repE0EEENS1_30default_config_static_selectorELNS0_4arch9wavefront6targetE0EEEvSK_.private_seg_size, 0
	.set _ZN7rocprim17ROCPRIM_400000_NS6detail17trampoline_kernelINS0_14default_configENS1_36segmented_radix_sort_config_selectorIhlEEZNS1_25segmented_radix_sort_implIS3_Lb1EPKhPhPKlPlN2at6native12_GLOBAL__N_18offset_tEEE10hipError_tPvRmT1_PNSt15iterator_traitsISK_E10value_typeET2_T3_PNSL_ISQ_E10value_typeET4_jRbjT5_SW_jjP12ihipStream_tbEUlT_E_NS1_11comp_targetILNS1_3genE3ELNS1_11target_archE908ELNS1_3gpuE7ELNS1_3repE0EEENS1_30default_config_static_selectorELNS0_4arch9wavefront6targetE0EEEvSK_.uses_vcc, 0
	.set _ZN7rocprim17ROCPRIM_400000_NS6detail17trampoline_kernelINS0_14default_configENS1_36segmented_radix_sort_config_selectorIhlEEZNS1_25segmented_radix_sort_implIS3_Lb1EPKhPhPKlPlN2at6native12_GLOBAL__N_18offset_tEEE10hipError_tPvRmT1_PNSt15iterator_traitsISK_E10value_typeET2_T3_PNSL_ISQ_E10value_typeET4_jRbjT5_SW_jjP12ihipStream_tbEUlT_E_NS1_11comp_targetILNS1_3genE3ELNS1_11target_archE908ELNS1_3gpuE7ELNS1_3repE0EEENS1_30default_config_static_selectorELNS0_4arch9wavefront6targetE0EEEvSK_.uses_flat_scratch, 0
	.set _ZN7rocprim17ROCPRIM_400000_NS6detail17trampoline_kernelINS0_14default_configENS1_36segmented_radix_sort_config_selectorIhlEEZNS1_25segmented_radix_sort_implIS3_Lb1EPKhPhPKlPlN2at6native12_GLOBAL__N_18offset_tEEE10hipError_tPvRmT1_PNSt15iterator_traitsISK_E10value_typeET2_T3_PNSL_ISQ_E10value_typeET4_jRbjT5_SW_jjP12ihipStream_tbEUlT_E_NS1_11comp_targetILNS1_3genE3ELNS1_11target_archE908ELNS1_3gpuE7ELNS1_3repE0EEENS1_30default_config_static_selectorELNS0_4arch9wavefront6targetE0EEEvSK_.has_dyn_sized_stack, 0
	.set _ZN7rocprim17ROCPRIM_400000_NS6detail17trampoline_kernelINS0_14default_configENS1_36segmented_radix_sort_config_selectorIhlEEZNS1_25segmented_radix_sort_implIS3_Lb1EPKhPhPKlPlN2at6native12_GLOBAL__N_18offset_tEEE10hipError_tPvRmT1_PNSt15iterator_traitsISK_E10value_typeET2_T3_PNSL_ISQ_E10value_typeET4_jRbjT5_SW_jjP12ihipStream_tbEUlT_E_NS1_11comp_targetILNS1_3genE3ELNS1_11target_archE908ELNS1_3gpuE7ELNS1_3repE0EEENS1_30default_config_static_selectorELNS0_4arch9wavefront6targetE0EEEvSK_.has_recursion, 0
	.set _ZN7rocprim17ROCPRIM_400000_NS6detail17trampoline_kernelINS0_14default_configENS1_36segmented_radix_sort_config_selectorIhlEEZNS1_25segmented_radix_sort_implIS3_Lb1EPKhPhPKlPlN2at6native12_GLOBAL__N_18offset_tEEE10hipError_tPvRmT1_PNSt15iterator_traitsISK_E10value_typeET2_T3_PNSL_ISQ_E10value_typeET4_jRbjT5_SW_jjP12ihipStream_tbEUlT_E_NS1_11comp_targetILNS1_3genE3ELNS1_11target_archE908ELNS1_3gpuE7ELNS1_3repE0EEENS1_30default_config_static_selectorELNS0_4arch9wavefront6targetE0EEEvSK_.has_indirect_call, 0
	.section	.AMDGPU.csdata,"",@progbits
; Kernel info:
; codeLenInByte = 0
; TotalNumSgprs: 0
; NumVgprs: 0
; ScratchSize: 0
; MemoryBound: 0
; FloatMode: 240
; IeeeMode: 1
; LDSByteSize: 0 bytes/workgroup (compile time only)
; SGPRBlocks: 0
; VGPRBlocks: 0
; NumSGPRsForWavesPerEU: 1
; NumVGPRsForWavesPerEU: 1
; NamedBarCnt: 0
; Occupancy: 16
; WaveLimiterHint : 0
; COMPUTE_PGM_RSRC2:SCRATCH_EN: 0
; COMPUTE_PGM_RSRC2:USER_SGPR: 2
; COMPUTE_PGM_RSRC2:TRAP_HANDLER: 0
; COMPUTE_PGM_RSRC2:TGID_X_EN: 1
; COMPUTE_PGM_RSRC2:TGID_Y_EN: 0
; COMPUTE_PGM_RSRC2:TGID_Z_EN: 0
; COMPUTE_PGM_RSRC2:TIDIG_COMP_CNT: 0
	.section	.text._ZN7rocprim17ROCPRIM_400000_NS6detail17trampoline_kernelINS0_14default_configENS1_36segmented_radix_sort_config_selectorIhlEEZNS1_25segmented_radix_sort_implIS3_Lb1EPKhPhPKlPlN2at6native12_GLOBAL__N_18offset_tEEE10hipError_tPvRmT1_PNSt15iterator_traitsISK_E10value_typeET2_T3_PNSL_ISQ_E10value_typeET4_jRbjT5_SW_jjP12ihipStream_tbEUlT_E_NS1_11comp_targetILNS1_3genE2ELNS1_11target_archE906ELNS1_3gpuE6ELNS1_3repE0EEENS1_30default_config_static_selectorELNS0_4arch9wavefront6targetE0EEEvSK_,"axG",@progbits,_ZN7rocprim17ROCPRIM_400000_NS6detail17trampoline_kernelINS0_14default_configENS1_36segmented_radix_sort_config_selectorIhlEEZNS1_25segmented_radix_sort_implIS3_Lb1EPKhPhPKlPlN2at6native12_GLOBAL__N_18offset_tEEE10hipError_tPvRmT1_PNSt15iterator_traitsISK_E10value_typeET2_T3_PNSL_ISQ_E10value_typeET4_jRbjT5_SW_jjP12ihipStream_tbEUlT_E_NS1_11comp_targetILNS1_3genE2ELNS1_11target_archE906ELNS1_3gpuE6ELNS1_3repE0EEENS1_30default_config_static_selectorELNS0_4arch9wavefront6targetE0EEEvSK_,comdat
	.globl	_ZN7rocprim17ROCPRIM_400000_NS6detail17trampoline_kernelINS0_14default_configENS1_36segmented_radix_sort_config_selectorIhlEEZNS1_25segmented_radix_sort_implIS3_Lb1EPKhPhPKlPlN2at6native12_GLOBAL__N_18offset_tEEE10hipError_tPvRmT1_PNSt15iterator_traitsISK_E10value_typeET2_T3_PNSL_ISQ_E10value_typeET4_jRbjT5_SW_jjP12ihipStream_tbEUlT_E_NS1_11comp_targetILNS1_3genE2ELNS1_11target_archE906ELNS1_3gpuE6ELNS1_3repE0EEENS1_30default_config_static_selectorELNS0_4arch9wavefront6targetE0EEEvSK_ ; -- Begin function _ZN7rocprim17ROCPRIM_400000_NS6detail17trampoline_kernelINS0_14default_configENS1_36segmented_radix_sort_config_selectorIhlEEZNS1_25segmented_radix_sort_implIS3_Lb1EPKhPhPKlPlN2at6native12_GLOBAL__N_18offset_tEEE10hipError_tPvRmT1_PNSt15iterator_traitsISK_E10value_typeET2_T3_PNSL_ISQ_E10value_typeET4_jRbjT5_SW_jjP12ihipStream_tbEUlT_E_NS1_11comp_targetILNS1_3genE2ELNS1_11target_archE906ELNS1_3gpuE6ELNS1_3repE0EEENS1_30default_config_static_selectorELNS0_4arch9wavefront6targetE0EEEvSK_
	.p2align	8
	.type	_ZN7rocprim17ROCPRIM_400000_NS6detail17trampoline_kernelINS0_14default_configENS1_36segmented_radix_sort_config_selectorIhlEEZNS1_25segmented_radix_sort_implIS3_Lb1EPKhPhPKlPlN2at6native12_GLOBAL__N_18offset_tEEE10hipError_tPvRmT1_PNSt15iterator_traitsISK_E10value_typeET2_T3_PNSL_ISQ_E10value_typeET4_jRbjT5_SW_jjP12ihipStream_tbEUlT_E_NS1_11comp_targetILNS1_3genE2ELNS1_11target_archE906ELNS1_3gpuE6ELNS1_3repE0EEENS1_30default_config_static_selectorELNS0_4arch9wavefront6targetE0EEEvSK_,@function
_ZN7rocprim17ROCPRIM_400000_NS6detail17trampoline_kernelINS0_14default_configENS1_36segmented_radix_sort_config_selectorIhlEEZNS1_25segmented_radix_sort_implIS3_Lb1EPKhPhPKlPlN2at6native12_GLOBAL__N_18offset_tEEE10hipError_tPvRmT1_PNSt15iterator_traitsISK_E10value_typeET2_T3_PNSL_ISQ_E10value_typeET4_jRbjT5_SW_jjP12ihipStream_tbEUlT_E_NS1_11comp_targetILNS1_3genE2ELNS1_11target_archE906ELNS1_3gpuE6ELNS1_3repE0EEENS1_30default_config_static_selectorELNS0_4arch9wavefront6targetE0EEEvSK_: ; @_ZN7rocprim17ROCPRIM_400000_NS6detail17trampoline_kernelINS0_14default_configENS1_36segmented_radix_sort_config_selectorIhlEEZNS1_25segmented_radix_sort_implIS3_Lb1EPKhPhPKlPlN2at6native12_GLOBAL__N_18offset_tEEE10hipError_tPvRmT1_PNSt15iterator_traitsISK_E10value_typeET2_T3_PNSL_ISQ_E10value_typeET4_jRbjT5_SW_jjP12ihipStream_tbEUlT_E_NS1_11comp_targetILNS1_3genE2ELNS1_11target_archE906ELNS1_3gpuE6ELNS1_3repE0EEENS1_30default_config_static_selectorELNS0_4arch9wavefront6targetE0EEEvSK_
; %bb.0:
	.section	.rodata,"a",@progbits
	.p2align	6, 0x0
	.amdhsa_kernel _ZN7rocprim17ROCPRIM_400000_NS6detail17trampoline_kernelINS0_14default_configENS1_36segmented_radix_sort_config_selectorIhlEEZNS1_25segmented_radix_sort_implIS3_Lb1EPKhPhPKlPlN2at6native12_GLOBAL__N_18offset_tEEE10hipError_tPvRmT1_PNSt15iterator_traitsISK_E10value_typeET2_T3_PNSL_ISQ_E10value_typeET4_jRbjT5_SW_jjP12ihipStream_tbEUlT_E_NS1_11comp_targetILNS1_3genE2ELNS1_11target_archE906ELNS1_3gpuE6ELNS1_3repE0EEENS1_30default_config_static_selectorELNS0_4arch9wavefront6targetE0EEEvSK_
		.amdhsa_group_segment_fixed_size 0
		.amdhsa_private_segment_fixed_size 0
		.amdhsa_kernarg_size 96
		.amdhsa_user_sgpr_count 2
		.amdhsa_user_sgpr_dispatch_ptr 0
		.amdhsa_user_sgpr_queue_ptr 0
		.amdhsa_user_sgpr_kernarg_segment_ptr 1
		.amdhsa_user_sgpr_dispatch_id 0
		.amdhsa_user_sgpr_kernarg_preload_length 0
		.amdhsa_user_sgpr_kernarg_preload_offset 0
		.amdhsa_user_sgpr_private_segment_size 0
		.amdhsa_wavefront_size32 1
		.amdhsa_uses_dynamic_stack 0
		.amdhsa_enable_private_segment 0
		.amdhsa_system_sgpr_workgroup_id_x 1
		.amdhsa_system_sgpr_workgroup_id_y 0
		.amdhsa_system_sgpr_workgroup_id_z 0
		.amdhsa_system_sgpr_workgroup_info 0
		.amdhsa_system_vgpr_workitem_id 0
		.amdhsa_next_free_vgpr 1
		.amdhsa_next_free_sgpr 1
		.amdhsa_named_barrier_count 0
		.amdhsa_reserve_vcc 0
		.amdhsa_float_round_mode_32 0
		.amdhsa_float_round_mode_16_64 0
		.amdhsa_float_denorm_mode_32 3
		.amdhsa_float_denorm_mode_16_64 3
		.amdhsa_fp16_overflow 0
		.amdhsa_memory_ordered 1
		.amdhsa_forward_progress 1
		.amdhsa_inst_pref_size 0
		.amdhsa_round_robin_scheduling 0
		.amdhsa_exception_fp_ieee_invalid_op 0
		.amdhsa_exception_fp_denorm_src 0
		.amdhsa_exception_fp_ieee_div_zero 0
		.amdhsa_exception_fp_ieee_overflow 0
		.amdhsa_exception_fp_ieee_underflow 0
		.amdhsa_exception_fp_ieee_inexact 0
		.amdhsa_exception_int_div_zero 0
	.end_amdhsa_kernel
	.section	.text._ZN7rocprim17ROCPRIM_400000_NS6detail17trampoline_kernelINS0_14default_configENS1_36segmented_radix_sort_config_selectorIhlEEZNS1_25segmented_radix_sort_implIS3_Lb1EPKhPhPKlPlN2at6native12_GLOBAL__N_18offset_tEEE10hipError_tPvRmT1_PNSt15iterator_traitsISK_E10value_typeET2_T3_PNSL_ISQ_E10value_typeET4_jRbjT5_SW_jjP12ihipStream_tbEUlT_E_NS1_11comp_targetILNS1_3genE2ELNS1_11target_archE906ELNS1_3gpuE6ELNS1_3repE0EEENS1_30default_config_static_selectorELNS0_4arch9wavefront6targetE0EEEvSK_,"axG",@progbits,_ZN7rocprim17ROCPRIM_400000_NS6detail17trampoline_kernelINS0_14default_configENS1_36segmented_radix_sort_config_selectorIhlEEZNS1_25segmented_radix_sort_implIS3_Lb1EPKhPhPKlPlN2at6native12_GLOBAL__N_18offset_tEEE10hipError_tPvRmT1_PNSt15iterator_traitsISK_E10value_typeET2_T3_PNSL_ISQ_E10value_typeET4_jRbjT5_SW_jjP12ihipStream_tbEUlT_E_NS1_11comp_targetILNS1_3genE2ELNS1_11target_archE906ELNS1_3gpuE6ELNS1_3repE0EEENS1_30default_config_static_selectorELNS0_4arch9wavefront6targetE0EEEvSK_,comdat
.Lfunc_end88:
	.size	_ZN7rocprim17ROCPRIM_400000_NS6detail17trampoline_kernelINS0_14default_configENS1_36segmented_radix_sort_config_selectorIhlEEZNS1_25segmented_radix_sort_implIS3_Lb1EPKhPhPKlPlN2at6native12_GLOBAL__N_18offset_tEEE10hipError_tPvRmT1_PNSt15iterator_traitsISK_E10value_typeET2_T3_PNSL_ISQ_E10value_typeET4_jRbjT5_SW_jjP12ihipStream_tbEUlT_E_NS1_11comp_targetILNS1_3genE2ELNS1_11target_archE906ELNS1_3gpuE6ELNS1_3repE0EEENS1_30default_config_static_selectorELNS0_4arch9wavefront6targetE0EEEvSK_, .Lfunc_end88-_ZN7rocprim17ROCPRIM_400000_NS6detail17trampoline_kernelINS0_14default_configENS1_36segmented_radix_sort_config_selectorIhlEEZNS1_25segmented_radix_sort_implIS3_Lb1EPKhPhPKlPlN2at6native12_GLOBAL__N_18offset_tEEE10hipError_tPvRmT1_PNSt15iterator_traitsISK_E10value_typeET2_T3_PNSL_ISQ_E10value_typeET4_jRbjT5_SW_jjP12ihipStream_tbEUlT_E_NS1_11comp_targetILNS1_3genE2ELNS1_11target_archE906ELNS1_3gpuE6ELNS1_3repE0EEENS1_30default_config_static_selectorELNS0_4arch9wavefront6targetE0EEEvSK_
                                        ; -- End function
	.set _ZN7rocprim17ROCPRIM_400000_NS6detail17trampoline_kernelINS0_14default_configENS1_36segmented_radix_sort_config_selectorIhlEEZNS1_25segmented_radix_sort_implIS3_Lb1EPKhPhPKlPlN2at6native12_GLOBAL__N_18offset_tEEE10hipError_tPvRmT1_PNSt15iterator_traitsISK_E10value_typeET2_T3_PNSL_ISQ_E10value_typeET4_jRbjT5_SW_jjP12ihipStream_tbEUlT_E_NS1_11comp_targetILNS1_3genE2ELNS1_11target_archE906ELNS1_3gpuE6ELNS1_3repE0EEENS1_30default_config_static_selectorELNS0_4arch9wavefront6targetE0EEEvSK_.num_vgpr, 0
	.set _ZN7rocprim17ROCPRIM_400000_NS6detail17trampoline_kernelINS0_14default_configENS1_36segmented_radix_sort_config_selectorIhlEEZNS1_25segmented_radix_sort_implIS3_Lb1EPKhPhPKlPlN2at6native12_GLOBAL__N_18offset_tEEE10hipError_tPvRmT1_PNSt15iterator_traitsISK_E10value_typeET2_T3_PNSL_ISQ_E10value_typeET4_jRbjT5_SW_jjP12ihipStream_tbEUlT_E_NS1_11comp_targetILNS1_3genE2ELNS1_11target_archE906ELNS1_3gpuE6ELNS1_3repE0EEENS1_30default_config_static_selectorELNS0_4arch9wavefront6targetE0EEEvSK_.num_agpr, 0
	.set _ZN7rocprim17ROCPRIM_400000_NS6detail17trampoline_kernelINS0_14default_configENS1_36segmented_radix_sort_config_selectorIhlEEZNS1_25segmented_radix_sort_implIS3_Lb1EPKhPhPKlPlN2at6native12_GLOBAL__N_18offset_tEEE10hipError_tPvRmT1_PNSt15iterator_traitsISK_E10value_typeET2_T3_PNSL_ISQ_E10value_typeET4_jRbjT5_SW_jjP12ihipStream_tbEUlT_E_NS1_11comp_targetILNS1_3genE2ELNS1_11target_archE906ELNS1_3gpuE6ELNS1_3repE0EEENS1_30default_config_static_selectorELNS0_4arch9wavefront6targetE0EEEvSK_.numbered_sgpr, 0
	.set _ZN7rocprim17ROCPRIM_400000_NS6detail17trampoline_kernelINS0_14default_configENS1_36segmented_radix_sort_config_selectorIhlEEZNS1_25segmented_radix_sort_implIS3_Lb1EPKhPhPKlPlN2at6native12_GLOBAL__N_18offset_tEEE10hipError_tPvRmT1_PNSt15iterator_traitsISK_E10value_typeET2_T3_PNSL_ISQ_E10value_typeET4_jRbjT5_SW_jjP12ihipStream_tbEUlT_E_NS1_11comp_targetILNS1_3genE2ELNS1_11target_archE906ELNS1_3gpuE6ELNS1_3repE0EEENS1_30default_config_static_selectorELNS0_4arch9wavefront6targetE0EEEvSK_.num_named_barrier, 0
	.set _ZN7rocprim17ROCPRIM_400000_NS6detail17trampoline_kernelINS0_14default_configENS1_36segmented_radix_sort_config_selectorIhlEEZNS1_25segmented_radix_sort_implIS3_Lb1EPKhPhPKlPlN2at6native12_GLOBAL__N_18offset_tEEE10hipError_tPvRmT1_PNSt15iterator_traitsISK_E10value_typeET2_T3_PNSL_ISQ_E10value_typeET4_jRbjT5_SW_jjP12ihipStream_tbEUlT_E_NS1_11comp_targetILNS1_3genE2ELNS1_11target_archE906ELNS1_3gpuE6ELNS1_3repE0EEENS1_30default_config_static_selectorELNS0_4arch9wavefront6targetE0EEEvSK_.private_seg_size, 0
	.set _ZN7rocprim17ROCPRIM_400000_NS6detail17trampoline_kernelINS0_14default_configENS1_36segmented_radix_sort_config_selectorIhlEEZNS1_25segmented_radix_sort_implIS3_Lb1EPKhPhPKlPlN2at6native12_GLOBAL__N_18offset_tEEE10hipError_tPvRmT1_PNSt15iterator_traitsISK_E10value_typeET2_T3_PNSL_ISQ_E10value_typeET4_jRbjT5_SW_jjP12ihipStream_tbEUlT_E_NS1_11comp_targetILNS1_3genE2ELNS1_11target_archE906ELNS1_3gpuE6ELNS1_3repE0EEENS1_30default_config_static_selectorELNS0_4arch9wavefront6targetE0EEEvSK_.uses_vcc, 0
	.set _ZN7rocprim17ROCPRIM_400000_NS6detail17trampoline_kernelINS0_14default_configENS1_36segmented_radix_sort_config_selectorIhlEEZNS1_25segmented_radix_sort_implIS3_Lb1EPKhPhPKlPlN2at6native12_GLOBAL__N_18offset_tEEE10hipError_tPvRmT1_PNSt15iterator_traitsISK_E10value_typeET2_T3_PNSL_ISQ_E10value_typeET4_jRbjT5_SW_jjP12ihipStream_tbEUlT_E_NS1_11comp_targetILNS1_3genE2ELNS1_11target_archE906ELNS1_3gpuE6ELNS1_3repE0EEENS1_30default_config_static_selectorELNS0_4arch9wavefront6targetE0EEEvSK_.uses_flat_scratch, 0
	.set _ZN7rocprim17ROCPRIM_400000_NS6detail17trampoline_kernelINS0_14default_configENS1_36segmented_radix_sort_config_selectorIhlEEZNS1_25segmented_radix_sort_implIS3_Lb1EPKhPhPKlPlN2at6native12_GLOBAL__N_18offset_tEEE10hipError_tPvRmT1_PNSt15iterator_traitsISK_E10value_typeET2_T3_PNSL_ISQ_E10value_typeET4_jRbjT5_SW_jjP12ihipStream_tbEUlT_E_NS1_11comp_targetILNS1_3genE2ELNS1_11target_archE906ELNS1_3gpuE6ELNS1_3repE0EEENS1_30default_config_static_selectorELNS0_4arch9wavefront6targetE0EEEvSK_.has_dyn_sized_stack, 0
	.set _ZN7rocprim17ROCPRIM_400000_NS6detail17trampoline_kernelINS0_14default_configENS1_36segmented_radix_sort_config_selectorIhlEEZNS1_25segmented_radix_sort_implIS3_Lb1EPKhPhPKlPlN2at6native12_GLOBAL__N_18offset_tEEE10hipError_tPvRmT1_PNSt15iterator_traitsISK_E10value_typeET2_T3_PNSL_ISQ_E10value_typeET4_jRbjT5_SW_jjP12ihipStream_tbEUlT_E_NS1_11comp_targetILNS1_3genE2ELNS1_11target_archE906ELNS1_3gpuE6ELNS1_3repE0EEENS1_30default_config_static_selectorELNS0_4arch9wavefront6targetE0EEEvSK_.has_recursion, 0
	.set _ZN7rocprim17ROCPRIM_400000_NS6detail17trampoline_kernelINS0_14default_configENS1_36segmented_radix_sort_config_selectorIhlEEZNS1_25segmented_radix_sort_implIS3_Lb1EPKhPhPKlPlN2at6native12_GLOBAL__N_18offset_tEEE10hipError_tPvRmT1_PNSt15iterator_traitsISK_E10value_typeET2_T3_PNSL_ISQ_E10value_typeET4_jRbjT5_SW_jjP12ihipStream_tbEUlT_E_NS1_11comp_targetILNS1_3genE2ELNS1_11target_archE906ELNS1_3gpuE6ELNS1_3repE0EEENS1_30default_config_static_selectorELNS0_4arch9wavefront6targetE0EEEvSK_.has_indirect_call, 0
	.section	.AMDGPU.csdata,"",@progbits
; Kernel info:
; codeLenInByte = 0
; TotalNumSgprs: 0
; NumVgprs: 0
; ScratchSize: 0
; MemoryBound: 0
; FloatMode: 240
; IeeeMode: 1
; LDSByteSize: 0 bytes/workgroup (compile time only)
; SGPRBlocks: 0
; VGPRBlocks: 0
; NumSGPRsForWavesPerEU: 1
; NumVGPRsForWavesPerEU: 1
; NamedBarCnt: 0
; Occupancy: 16
; WaveLimiterHint : 0
; COMPUTE_PGM_RSRC2:SCRATCH_EN: 0
; COMPUTE_PGM_RSRC2:USER_SGPR: 2
; COMPUTE_PGM_RSRC2:TRAP_HANDLER: 0
; COMPUTE_PGM_RSRC2:TGID_X_EN: 1
; COMPUTE_PGM_RSRC2:TGID_Y_EN: 0
; COMPUTE_PGM_RSRC2:TGID_Z_EN: 0
; COMPUTE_PGM_RSRC2:TIDIG_COMP_CNT: 0
	.section	.text._ZN7rocprim17ROCPRIM_400000_NS6detail17trampoline_kernelINS0_14default_configENS1_36segmented_radix_sort_config_selectorIhlEEZNS1_25segmented_radix_sort_implIS3_Lb1EPKhPhPKlPlN2at6native12_GLOBAL__N_18offset_tEEE10hipError_tPvRmT1_PNSt15iterator_traitsISK_E10value_typeET2_T3_PNSL_ISQ_E10value_typeET4_jRbjT5_SW_jjP12ihipStream_tbEUlT_E_NS1_11comp_targetILNS1_3genE10ELNS1_11target_archE1201ELNS1_3gpuE5ELNS1_3repE0EEENS1_30default_config_static_selectorELNS0_4arch9wavefront6targetE0EEEvSK_,"axG",@progbits,_ZN7rocprim17ROCPRIM_400000_NS6detail17trampoline_kernelINS0_14default_configENS1_36segmented_radix_sort_config_selectorIhlEEZNS1_25segmented_radix_sort_implIS3_Lb1EPKhPhPKlPlN2at6native12_GLOBAL__N_18offset_tEEE10hipError_tPvRmT1_PNSt15iterator_traitsISK_E10value_typeET2_T3_PNSL_ISQ_E10value_typeET4_jRbjT5_SW_jjP12ihipStream_tbEUlT_E_NS1_11comp_targetILNS1_3genE10ELNS1_11target_archE1201ELNS1_3gpuE5ELNS1_3repE0EEENS1_30default_config_static_selectorELNS0_4arch9wavefront6targetE0EEEvSK_,comdat
	.globl	_ZN7rocprim17ROCPRIM_400000_NS6detail17trampoline_kernelINS0_14default_configENS1_36segmented_radix_sort_config_selectorIhlEEZNS1_25segmented_radix_sort_implIS3_Lb1EPKhPhPKlPlN2at6native12_GLOBAL__N_18offset_tEEE10hipError_tPvRmT1_PNSt15iterator_traitsISK_E10value_typeET2_T3_PNSL_ISQ_E10value_typeET4_jRbjT5_SW_jjP12ihipStream_tbEUlT_E_NS1_11comp_targetILNS1_3genE10ELNS1_11target_archE1201ELNS1_3gpuE5ELNS1_3repE0EEENS1_30default_config_static_selectorELNS0_4arch9wavefront6targetE0EEEvSK_ ; -- Begin function _ZN7rocprim17ROCPRIM_400000_NS6detail17trampoline_kernelINS0_14default_configENS1_36segmented_radix_sort_config_selectorIhlEEZNS1_25segmented_radix_sort_implIS3_Lb1EPKhPhPKlPlN2at6native12_GLOBAL__N_18offset_tEEE10hipError_tPvRmT1_PNSt15iterator_traitsISK_E10value_typeET2_T3_PNSL_ISQ_E10value_typeET4_jRbjT5_SW_jjP12ihipStream_tbEUlT_E_NS1_11comp_targetILNS1_3genE10ELNS1_11target_archE1201ELNS1_3gpuE5ELNS1_3repE0EEENS1_30default_config_static_selectorELNS0_4arch9wavefront6targetE0EEEvSK_
	.p2align	8
	.type	_ZN7rocprim17ROCPRIM_400000_NS6detail17trampoline_kernelINS0_14default_configENS1_36segmented_radix_sort_config_selectorIhlEEZNS1_25segmented_radix_sort_implIS3_Lb1EPKhPhPKlPlN2at6native12_GLOBAL__N_18offset_tEEE10hipError_tPvRmT1_PNSt15iterator_traitsISK_E10value_typeET2_T3_PNSL_ISQ_E10value_typeET4_jRbjT5_SW_jjP12ihipStream_tbEUlT_E_NS1_11comp_targetILNS1_3genE10ELNS1_11target_archE1201ELNS1_3gpuE5ELNS1_3repE0EEENS1_30default_config_static_selectorELNS0_4arch9wavefront6targetE0EEEvSK_,@function
_ZN7rocprim17ROCPRIM_400000_NS6detail17trampoline_kernelINS0_14default_configENS1_36segmented_radix_sort_config_selectorIhlEEZNS1_25segmented_radix_sort_implIS3_Lb1EPKhPhPKlPlN2at6native12_GLOBAL__N_18offset_tEEE10hipError_tPvRmT1_PNSt15iterator_traitsISK_E10value_typeET2_T3_PNSL_ISQ_E10value_typeET4_jRbjT5_SW_jjP12ihipStream_tbEUlT_E_NS1_11comp_targetILNS1_3genE10ELNS1_11target_archE1201ELNS1_3gpuE5ELNS1_3repE0EEENS1_30default_config_static_selectorELNS0_4arch9wavefront6targetE0EEEvSK_: ; @_ZN7rocprim17ROCPRIM_400000_NS6detail17trampoline_kernelINS0_14default_configENS1_36segmented_radix_sort_config_selectorIhlEEZNS1_25segmented_radix_sort_implIS3_Lb1EPKhPhPKlPlN2at6native12_GLOBAL__N_18offset_tEEE10hipError_tPvRmT1_PNSt15iterator_traitsISK_E10value_typeET2_T3_PNSL_ISQ_E10value_typeET4_jRbjT5_SW_jjP12ihipStream_tbEUlT_E_NS1_11comp_targetILNS1_3genE10ELNS1_11target_archE1201ELNS1_3gpuE5ELNS1_3repE0EEENS1_30default_config_static_selectorELNS0_4arch9wavefront6targetE0EEEvSK_
; %bb.0:
	.section	.rodata,"a",@progbits
	.p2align	6, 0x0
	.amdhsa_kernel _ZN7rocprim17ROCPRIM_400000_NS6detail17trampoline_kernelINS0_14default_configENS1_36segmented_radix_sort_config_selectorIhlEEZNS1_25segmented_radix_sort_implIS3_Lb1EPKhPhPKlPlN2at6native12_GLOBAL__N_18offset_tEEE10hipError_tPvRmT1_PNSt15iterator_traitsISK_E10value_typeET2_T3_PNSL_ISQ_E10value_typeET4_jRbjT5_SW_jjP12ihipStream_tbEUlT_E_NS1_11comp_targetILNS1_3genE10ELNS1_11target_archE1201ELNS1_3gpuE5ELNS1_3repE0EEENS1_30default_config_static_selectorELNS0_4arch9wavefront6targetE0EEEvSK_
		.amdhsa_group_segment_fixed_size 0
		.amdhsa_private_segment_fixed_size 0
		.amdhsa_kernarg_size 96
		.amdhsa_user_sgpr_count 2
		.amdhsa_user_sgpr_dispatch_ptr 0
		.amdhsa_user_sgpr_queue_ptr 0
		.amdhsa_user_sgpr_kernarg_segment_ptr 1
		.amdhsa_user_sgpr_dispatch_id 0
		.amdhsa_user_sgpr_kernarg_preload_length 0
		.amdhsa_user_sgpr_kernarg_preload_offset 0
		.amdhsa_user_sgpr_private_segment_size 0
		.amdhsa_wavefront_size32 1
		.amdhsa_uses_dynamic_stack 0
		.amdhsa_enable_private_segment 0
		.amdhsa_system_sgpr_workgroup_id_x 1
		.amdhsa_system_sgpr_workgroup_id_y 0
		.amdhsa_system_sgpr_workgroup_id_z 0
		.amdhsa_system_sgpr_workgroup_info 0
		.amdhsa_system_vgpr_workitem_id 0
		.amdhsa_next_free_vgpr 1
		.amdhsa_next_free_sgpr 1
		.amdhsa_named_barrier_count 0
		.amdhsa_reserve_vcc 0
		.amdhsa_float_round_mode_32 0
		.amdhsa_float_round_mode_16_64 0
		.amdhsa_float_denorm_mode_32 3
		.amdhsa_float_denorm_mode_16_64 3
		.amdhsa_fp16_overflow 0
		.amdhsa_memory_ordered 1
		.amdhsa_forward_progress 1
		.amdhsa_inst_pref_size 0
		.amdhsa_round_robin_scheduling 0
		.amdhsa_exception_fp_ieee_invalid_op 0
		.amdhsa_exception_fp_denorm_src 0
		.amdhsa_exception_fp_ieee_div_zero 0
		.amdhsa_exception_fp_ieee_overflow 0
		.amdhsa_exception_fp_ieee_underflow 0
		.amdhsa_exception_fp_ieee_inexact 0
		.amdhsa_exception_int_div_zero 0
	.end_amdhsa_kernel
	.section	.text._ZN7rocprim17ROCPRIM_400000_NS6detail17trampoline_kernelINS0_14default_configENS1_36segmented_radix_sort_config_selectorIhlEEZNS1_25segmented_radix_sort_implIS3_Lb1EPKhPhPKlPlN2at6native12_GLOBAL__N_18offset_tEEE10hipError_tPvRmT1_PNSt15iterator_traitsISK_E10value_typeET2_T3_PNSL_ISQ_E10value_typeET4_jRbjT5_SW_jjP12ihipStream_tbEUlT_E_NS1_11comp_targetILNS1_3genE10ELNS1_11target_archE1201ELNS1_3gpuE5ELNS1_3repE0EEENS1_30default_config_static_selectorELNS0_4arch9wavefront6targetE0EEEvSK_,"axG",@progbits,_ZN7rocprim17ROCPRIM_400000_NS6detail17trampoline_kernelINS0_14default_configENS1_36segmented_radix_sort_config_selectorIhlEEZNS1_25segmented_radix_sort_implIS3_Lb1EPKhPhPKlPlN2at6native12_GLOBAL__N_18offset_tEEE10hipError_tPvRmT1_PNSt15iterator_traitsISK_E10value_typeET2_T3_PNSL_ISQ_E10value_typeET4_jRbjT5_SW_jjP12ihipStream_tbEUlT_E_NS1_11comp_targetILNS1_3genE10ELNS1_11target_archE1201ELNS1_3gpuE5ELNS1_3repE0EEENS1_30default_config_static_selectorELNS0_4arch9wavefront6targetE0EEEvSK_,comdat
.Lfunc_end89:
	.size	_ZN7rocprim17ROCPRIM_400000_NS6detail17trampoline_kernelINS0_14default_configENS1_36segmented_radix_sort_config_selectorIhlEEZNS1_25segmented_radix_sort_implIS3_Lb1EPKhPhPKlPlN2at6native12_GLOBAL__N_18offset_tEEE10hipError_tPvRmT1_PNSt15iterator_traitsISK_E10value_typeET2_T3_PNSL_ISQ_E10value_typeET4_jRbjT5_SW_jjP12ihipStream_tbEUlT_E_NS1_11comp_targetILNS1_3genE10ELNS1_11target_archE1201ELNS1_3gpuE5ELNS1_3repE0EEENS1_30default_config_static_selectorELNS0_4arch9wavefront6targetE0EEEvSK_, .Lfunc_end89-_ZN7rocprim17ROCPRIM_400000_NS6detail17trampoline_kernelINS0_14default_configENS1_36segmented_radix_sort_config_selectorIhlEEZNS1_25segmented_radix_sort_implIS3_Lb1EPKhPhPKlPlN2at6native12_GLOBAL__N_18offset_tEEE10hipError_tPvRmT1_PNSt15iterator_traitsISK_E10value_typeET2_T3_PNSL_ISQ_E10value_typeET4_jRbjT5_SW_jjP12ihipStream_tbEUlT_E_NS1_11comp_targetILNS1_3genE10ELNS1_11target_archE1201ELNS1_3gpuE5ELNS1_3repE0EEENS1_30default_config_static_selectorELNS0_4arch9wavefront6targetE0EEEvSK_
                                        ; -- End function
	.set _ZN7rocprim17ROCPRIM_400000_NS6detail17trampoline_kernelINS0_14default_configENS1_36segmented_radix_sort_config_selectorIhlEEZNS1_25segmented_radix_sort_implIS3_Lb1EPKhPhPKlPlN2at6native12_GLOBAL__N_18offset_tEEE10hipError_tPvRmT1_PNSt15iterator_traitsISK_E10value_typeET2_T3_PNSL_ISQ_E10value_typeET4_jRbjT5_SW_jjP12ihipStream_tbEUlT_E_NS1_11comp_targetILNS1_3genE10ELNS1_11target_archE1201ELNS1_3gpuE5ELNS1_3repE0EEENS1_30default_config_static_selectorELNS0_4arch9wavefront6targetE0EEEvSK_.num_vgpr, 0
	.set _ZN7rocprim17ROCPRIM_400000_NS6detail17trampoline_kernelINS0_14default_configENS1_36segmented_radix_sort_config_selectorIhlEEZNS1_25segmented_radix_sort_implIS3_Lb1EPKhPhPKlPlN2at6native12_GLOBAL__N_18offset_tEEE10hipError_tPvRmT1_PNSt15iterator_traitsISK_E10value_typeET2_T3_PNSL_ISQ_E10value_typeET4_jRbjT5_SW_jjP12ihipStream_tbEUlT_E_NS1_11comp_targetILNS1_3genE10ELNS1_11target_archE1201ELNS1_3gpuE5ELNS1_3repE0EEENS1_30default_config_static_selectorELNS0_4arch9wavefront6targetE0EEEvSK_.num_agpr, 0
	.set _ZN7rocprim17ROCPRIM_400000_NS6detail17trampoline_kernelINS0_14default_configENS1_36segmented_radix_sort_config_selectorIhlEEZNS1_25segmented_radix_sort_implIS3_Lb1EPKhPhPKlPlN2at6native12_GLOBAL__N_18offset_tEEE10hipError_tPvRmT1_PNSt15iterator_traitsISK_E10value_typeET2_T3_PNSL_ISQ_E10value_typeET4_jRbjT5_SW_jjP12ihipStream_tbEUlT_E_NS1_11comp_targetILNS1_3genE10ELNS1_11target_archE1201ELNS1_3gpuE5ELNS1_3repE0EEENS1_30default_config_static_selectorELNS0_4arch9wavefront6targetE0EEEvSK_.numbered_sgpr, 0
	.set _ZN7rocprim17ROCPRIM_400000_NS6detail17trampoline_kernelINS0_14default_configENS1_36segmented_radix_sort_config_selectorIhlEEZNS1_25segmented_radix_sort_implIS3_Lb1EPKhPhPKlPlN2at6native12_GLOBAL__N_18offset_tEEE10hipError_tPvRmT1_PNSt15iterator_traitsISK_E10value_typeET2_T3_PNSL_ISQ_E10value_typeET4_jRbjT5_SW_jjP12ihipStream_tbEUlT_E_NS1_11comp_targetILNS1_3genE10ELNS1_11target_archE1201ELNS1_3gpuE5ELNS1_3repE0EEENS1_30default_config_static_selectorELNS0_4arch9wavefront6targetE0EEEvSK_.num_named_barrier, 0
	.set _ZN7rocprim17ROCPRIM_400000_NS6detail17trampoline_kernelINS0_14default_configENS1_36segmented_radix_sort_config_selectorIhlEEZNS1_25segmented_radix_sort_implIS3_Lb1EPKhPhPKlPlN2at6native12_GLOBAL__N_18offset_tEEE10hipError_tPvRmT1_PNSt15iterator_traitsISK_E10value_typeET2_T3_PNSL_ISQ_E10value_typeET4_jRbjT5_SW_jjP12ihipStream_tbEUlT_E_NS1_11comp_targetILNS1_3genE10ELNS1_11target_archE1201ELNS1_3gpuE5ELNS1_3repE0EEENS1_30default_config_static_selectorELNS0_4arch9wavefront6targetE0EEEvSK_.private_seg_size, 0
	.set _ZN7rocprim17ROCPRIM_400000_NS6detail17trampoline_kernelINS0_14default_configENS1_36segmented_radix_sort_config_selectorIhlEEZNS1_25segmented_radix_sort_implIS3_Lb1EPKhPhPKlPlN2at6native12_GLOBAL__N_18offset_tEEE10hipError_tPvRmT1_PNSt15iterator_traitsISK_E10value_typeET2_T3_PNSL_ISQ_E10value_typeET4_jRbjT5_SW_jjP12ihipStream_tbEUlT_E_NS1_11comp_targetILNS1_3genE10ELNS1_11target_archE1201ELNS1_3gpuE5ELNS1_3repE0EEENS1_30default_config_static_selectorELNS0_4arch9wavefront6targetE0EEEvSK_.uses_vcc, 0
	.set _ZN7rocprim17ROCPRIM_400000_NS6detail17trampoline_kernelINS0_14default_configENS1_36segmented_radix_sort_config_selectorIhlEEZNS1_25segmented_radix_sort_implIS3_Lb1EPKhPhPKlPlN2at6native12_GLOBAL__N_18offset_tEEE10hipError_tPvRmT1_PNSt15iterator_traitsISK_E10value_typeET2_T3_PNSL_ISQ_E10value_typeET4_jRbjT5_SW_jjP12ihipStream_tbEUlT_E_NS1_11comp_targetILNS1_3genE10ELNS1_11target_archE1201ELNS1_3gpuE5ELNS1_3repE0EEENS1_30default_config_static_selectorELNS0_4arch9wavefront6targetE0EEEvSK_.uses_flat_scratch, 0
	.set _ZN7rocprim17ROCPRIM_400000_NS6detail17trampoline_kernelINS0_14default_configENS1_36segmented_radix_sort_config_selectorIhlEEZNS1_25segmented_radix_sort_implIS3_Lb1EPKhPhPKlPlN2at6native12_GLOBAL__N_18offset_tEEE10hipError_tPvRmT1_PNSt15iterator_traitsISK_E10value_typeET2_T3_PNSL_ISQ_E10value_typeET4_jRbjT5_SW_jjP12ihipStream_tbEUlT_E_NS1_11comp_targetILNS1_3genE10ELNS1_11target_archE1201ELNS1_3gpuE5ELNS1_3repE0EEENS1_30default_config_static_selectorELNS0_4arch9wavefront6targetE0EEEvSK_.has_dyn_sized_stack, 0
	.set _ZN7rocprim17ROCPRIM_400000_NS6detail17trampoline_kernelINS0_14default_configENS1_36segmented_radix_sort_config_selectorIhlEEZNS1_25segmented_radix_sort_implIS3_Lb1EPKhPhPKlPlN2at6native12_GLOBAL__N_18offset_tEEE10hipError_tPvRmT1_PNSt15iterator_traitsISK_E10value_typeET2_T3_PNSL_ISQ_E10value_typeET4_jRbjT5_SW_jjP12ihipStream_tbEUlT_E_NS1_11comp_targetILNS1_3genE10ELNS1_11target_archE1201ELNS1_3gpuE5ELNS1_3repE0EEENS1_30default_config_static_selectorELNS0_4arch9wavefront6targetE0EEEvSK_.has_recursion, 0
	.set _ZN7rocprim17ROCPRIM_400000_NS6detail17trampoline_kernelINS0_14default_configENS1_36segmented_radix_sort_config_selectorIhlEEZNS1_25segmented_radix_sort_implIS3_Lb1EPKhPhPKlPlN2at6native12_GLOBAL__N_18offset_tEEE10hipError_tPvRmT1_PNSt15iterator_traitsISK_E10value_typeET2_T3_PNSL_ISQ_E10value_typeET4_jRbjT5_SW_jjP12ihipStream_tbEUlT_E_NS1_11comp_targetILNS1_3genE10ELNS1_11target_archE1201ELNS1_3gpuE5ELNS1_3repE0EEENS1_30default_config_static_selectorELNS0_4arch9wavefront6targetE0EEEvSK_.has_indirect_call, 0
	.section	.AMDGPU.csdata,"",@progbits
; Kernel info:
; codeLenInByte = 0
; TotalNumSgprs: 0
; NumVgprs: 0
; ScratchSize: 0
; MemoryBound: 0
; FloatMode: 240
; IeeeMode: 1
; LDSByteSize: 0 bytes/workgroup (compile time only)
; SGPRBlocks: 0
; VGPRBlocks: 0
; NumSGPRsForWavesPerEU: 1
; NumVGPRsForWavesPerEU: 1
; NamedBarCnt: 0
; Occupancy: 16
; WaveLimiterHint : 0
; COMPUTE_PGM_RSRC2:SCRATCH_EN: 0
; COMPUTE_PGM_RSRC2:USER_SGPR: 2
; COMPUTE_PGM_RSRC2:TRAP_HANDLER: 0
; COMPUTE_PGM_RSRC2:TGID_X_EN: 1
; COMPUTE_PGM_RSRC2:TGID_Y_EN: 0
; COMPUTE_PGM_RSRC2:TGID_Z_EN: 0
; COMPUTE_PGM_RSRC2:TIDIG_COMP_CNT: 0
	.section	.text._ZN7rocprim17ROCPRIM_400000_NS6detail17trampoline_kernelINS0_14default_configENS1_36segmented_radix_sort_config_selectorIhlEEZNS1_25segmented_radix_sort_implIS3_Lb1EPKhPhPKlPlN2at6native12_GLOBAL__N_18offset_tEEE10hipError_tPvRmT1_PNSt15iterator_traitsISK_E10value_typeET2_T3_PNSL_ISQ_E10value_typeET4_jRbjT5_SW_jjP12ihipStream_tbEUlT_E_NS1_11comp_targetILNS1_3genE10ELNS1_11target_archE1200ELNS1_3gpuE4ELNS1_3repE0EEENS1_30default_config_static_selectorELNS0_4arch9wavefront6targetE0EEEvSK_,"axG",@progbits,_ZN7rocprim17ROCPRIM_400000_NS6detail17trampoline_kernelINS0_14default_configENS1_36segmented_radix_sort_config_selectorIhlEEZNS1_25segmented_radix_sort_implIS3_Lb1EPKhPhPKlPlN2at6native12_GLOBAL__N_18offset_tEEE10hipError_tPvRmT1_PNSt15iterator_traitsISK_E10value_typeET2_T3_PNSL_ISQ_E10value_typeET4_jRbjT5_SW_jjP12ihipStream_tbEUlT_E_NS1_11comp_targetILNS1_3genE10ELNS1_11target_archE1200ELNS1_3gpuE4ELNS1_3repE0EEENS1_30default_config_static_selectorELNS0_4arch9wavefront6targetE0EEEvSK_,comdat
	.globl	_ZN7rocprim17ROCPRIM_400000_NS6detail17trampoline_kernelINS0_14default_configENS1_36segmented_radix_sort_config_selectorIhlEEZNS1_25segmented_radix_sort_implIS3_Lb1EPKhPhPKlPlN2at6native12_GLOBAL__N_18offset_tEEE10hipError_tPvRmT1_PNSt15iterator_traitsISK_E10value_typeET2_T3_PNSL_ISQ_E10value_typeET4_jRbjT5_SW_jjP12ihipStream_tbEUlT_E_NS1_11comp_targetILNS1_3genE10ELNS1_11target_archE1200ELNS1_3gpuE4ELNS1_3repE0EEENS1_30default_config_static_selectorELNS0_4arch9wavefront6targetE0EEEvSK_ ; -- Begin function _ZN7rocprim17ROCPRIM_400000_NS6detail17trampoline_kernelINS0_14default_configENS1_36segmented_radix_sort_config_selectorIhlEEZNS1_25segmented_radix_sort_implIS3_Lb1EPKhPhPKlPlN2at6native12_GLOBAL__N_18offset_tEEE10hipError_tPvRmT1_PNSt15iterator_traitsISK_E10value_typeET2_T3_PNSL_ISQ_E10value_typeET4_jRbjT5_SW_jjP12ihipStream_tbEUlT_E_NS1_11comp_targetILNS1_3genE10ELNS1_11target_archE1200ELNS1_3gpuE4ELNS1_3repE0EEENS1_30default_config_static_selectorELNS0_4arch9wavefront6targetE0EEEvSK_
	.p2align	8
	.type	_ZN7rocprim17ROCPRIM_400000_NS6detail17trampoline_kernelINS0_14default_configENS1_36segmented_radix_sort_config_selectorIhlEEZNS1_25segmented_radix_sort_implIS3_Lb1EPKhPhPKlPlN2at6native12_GLOBAL__N_18offset_tEEE10hipError_tPvRmT1_PNSt15iterator_traitsISK_E10value_typeET2_T3_PNSL_ISQ_E10value_typeET4_jRbjT5_SW_jjP12ihipStream_tbEUlT_E_NS1_11comp_targetILNS1_3genE10ELNS1_11target_archE1200ELNS1_3gpuE4ELNS1_3repE0EEENS1_30default_config_static_selectorELNS0_4arch9wavefront6targetE0EEEvSK_,@function
_ZN7rocprim17ROCPRIM_400000_NS6detail17trampoline_kernelINS0_14default_configENS1_36segmented_radix_sort_config_selectorIhlEEZNS1_25segmented_radix_sort_implIS3_Lb1EPKhPhPKlPlN2at6native12_GLOBAL__N_18offset_tEEE10hipError_tPvRmT1_PNSt15iterator_traitsISK_E10value_typeET2_T3_PNSL_ISQ_E10value_typeET4_jRbjT5_SW_jjP12ihipStream_tbEUlT_E_NS1_11comp_targetILNS1_3genE10ELNS1_11target_archE1200ELNS1_3gpuE4ELNS1_3repE0EEENS1_30default_config_static_selectorELNS0_4arch9wavefront6targetE0EEEvSK_: ; @_ZN7rocprim17ROCPRIM_400000_NS6detail17trampoline_kernelINS0_14default_configENS1_36segmented_radix_sort_config_selectorIhlEEZNS1_25segmented_radix_sort_implIS3_Lb1EPKhPhPKlPlN2at6native12_GLOBAL__N_18offset_tEEE10hipError_tPvRmT1_PNSt15iterator_traitsISK_E10value_typeET2_T3_PNSL_ISQ_E10value_typeET4_jRbjT5_SW_jjP12ihipStream_tbEUlT_E_NS1_11comp_targetILNS1_3genE10ELNS1_11target_archE1200ELNS1_3gpuE4ELNS1_3repE0EEENS1_30default_config_static_selectorELNS0_4arch9wavefront6targetE0EEEvSK_
; %bb.0:
	.section	.rodata,"a",@progbits
	.p2align	6, 0x0
	.amdhsa_kernel _ZN7rocprim17ROCPRIM_400000_NS6detail17trampoline_kernelINS0_14default_configENS1_36segmented_radix_sort_config_selectorIhlEEZNS1_25segmented_radix_sort_implIS3_Lb1EPKhPhPKlPlN2at6native12_GLOBAL__N_18offset_tEEE10hipError_tPvRmT1_PNSt15iterator_traitsISK_E10value_typeET2_T3_PNSL_ISQ_E10value_typeET4_jRbjT5_SW_jjP12ihipStream_tbEUlT_E_NS1_11comp_targetILNS1_3genE10ELNS1_11target_archE1200ELNS1_3gpuE4ELNS1_3repE0EEENS1_30default_config_static_selectorELNS0_4arch9wavefront6targetE0EEEvSK_
		.amdhsa_group_segment_fixed_size 0
		.amdhsa_private_segment_fixed_size 0
		.amdhsa_kernarg_size 96
		.amdhsa_user_sgpr_count 2
		.amdhsa_user_sgpr_dispatch_ptr 0
		.amdhsa_user_sgpr_queue_ptr 0
		.amdhsa_user_sgpr_kernarg_segment_ptr 1
		.amdhsa_user_sgpr_dispatch_id 0
		.amdhsa_user_sgpr_kernarg_preload_length 0
		.amdhsa_user_sgpr_kernarg_preload_offset 0
		.amdhsa_user_sgpr_private_segment_size 0
		.amdhsa_wavefront_size32 1
		.amdhsa_uses_dynamic_stack 0
		.amdhsa_enable_private_segment 0
		.amdhsa_system_sgpr_workgroup_id_x 1
		.amdhsa_system_sgpr_workgroup_id_y 0
		.amdhsa_system_sgpr_workgroup_id_z 0
		.amdhsa_system_sgpr_workgroup_info 0
		.amdhsa_system_vgpr_workitem_id 0
		.amdhsa_next_free_vgpr 1
		.amdhsa_next_free_sgpr 1
		.amdhsa_named_barrier_count 0
		.amdhsa_reserve_vcc 0
		.amdhsa_float_round_mode_32 0
		.amdhsa_float_round_mode_16_64 0
		.amdhsa_float_denorm_mode_32 3
		.amdhsa_float_denorm_mode_16_64 3
		.amdhsa_fp16_overflow 0
		.amdhsa_memory_ordered 1
		.amdhsa_forward_progress 1
		.amdhsa_inst_pref_size 0
		.amdhsa_round_robin_scheduling 0
		.amdhsa_exception_fp_ieee_invalid_op 0
		.amdhsa_exception_fp_denorm_src 0
		.amdhsa_exception_fp_ieee_div_zero 0
		.amdhsa_exception_fp_ieee_overflow 0
		.amdhsa_exception_fp_ieee_underflow 0
		.amdhsa_exception_fp_ieee_inexact 0
		.amdhsa_exception_int_div_zero 0
	.end_amdhsa_kernel
	.section	.text._ZN7rocprim17ROCPRIM_400000_NS6detail17trampoline_kernelINS0_14default_configENS1_36segmented_radix_sort_config_selectorIhlEEZNS1_25segmented_radix_sort_implIS3_Lb1EPKhPhPKlPlN2at6native12_GLOBAL__N_18offset_tEEE10hipError_tPvRmT1_PNSt15iterator_traitsISK_E10value_typeET2_T3_PNSL_ISQ_E10value_typeET4_jRbjT5_SW_jjP12ihipStream_tbEUlT_E_NS1_11comp_targetILNS1_3genE10ELNS1_11target_archE1200ELNS1_3gpuE4ELNS1_3repE0EEENS1_30default_config_static_selectorELNS0_4arch9wavefront6targetE0EEEvSK_,"axG",@progbits,_ZN7rocprim17ROCPRIM_400000_NS6detail17trampoline_kernelINS0_14default_configENS1_36segmented_radix_sort_config_selectorIhlEEZNS1_25segmented_radix_sort_implIS3_Lb1EPKhPhPKlPlN2at6native12_GLOBAL__N_18offset_tEEE10hipError_tPvRmT1_PNSt15iterator_traitsISK_E10value_typeET2_T3_PNSL_ISQ_E10value_typeET4_jRbjT5_SW_jjP12ihipStream_tbEUlT_E_NS1_11comp_targetILNS1_3genE10ELNS1_11target_archE1200ELNS1_3gpuE4ELNS1_3repE0EEENS1_30default_config_static_selectorELNS0_4arch9wavefront6targetE0EEEvSK_,comdat
.Lfunc_end90:
	.size	_ZN7rocprim17ROCPRIM_400000_NS6detail17trampoline_kernelINS0_14default_configENS1_36segmented_radix_sort_config_selectorIhlEEZNS1_25segmented_radix_sort_implIS3_Lb1EPKhPhPKlPlN2at6native12_GLOBAL__N_18offset_tEEE10hipError_tPvRmT1_PNSt15iterator_traitsISK_E10value_typeET2_T3_PNSL_ISQ_E10value_typeET4_jRbjT5_SW_jjP12ihipStream_tbEUlT_E_NS1_11comp_targetILNS1_3genE10ELNS1_11target_archE1200ELNS1_3gpuE4ELNS1_3repE0EEENS1_30default_config_static_selectorELNS0_4arch9wavefront6targetE0EEEvSK_, .Lfunc_end90-_ZN7rocprim17ROCPRIM_400000_NS6detail17trampoline_kernelINS0_14default_configENS1_36segmented_radix_sort_config_selectorIhlEEZNS1_25segmented_radix_sort_implIS3_Lb1EPKhPhPKlPlN2at6native12_GLOBAL__N_18offset_tEEE10hipError_tPvRmT1_PNSt15iterator_traitsISK_E10value_typeET2_T3_PNSL_ISQ_E10value_typeET4_jRbjT5_SW_jjP12ihipStream_tbEUlT_E_NS1_11comp_targetILNS1_3genE10ELNS1_11target_archE1200ELNS1_3gpuE4ELNS1_3repE0EEENS1_30default_config_static_selectorELNS0_4arch9wavefront6targetE0EEEvSK_
                                        ; -- End function
	.set _ZN7rocprim17ROCPRIM_400000_NS6detail17trampoline_kernelINS0_14default_configENS1_36segmented_radix_sort_config_selectorIhlEEZNS1_25segmented_radix_sort_implIS3_Lb1EPKhPhPKlPlN2at6native12_GLOBAL__N_18offset_tEEE10hipError_tPvRmT1_PNSt15iterator_traitsISK_E10value_typeET2_T3_PNSL_ISQ_E10value_typeET4_jRbjT5_SW_jjP12ihipStream_tbEUlT_E_NS1_11comp_targetILNS1_3genE10ELNS1_11target_archE1200ELNS1_3gpuE4ELNS1_3repE0EEENS1_30default_config_static_selectorELNS0_4arch9wavefront6targetE0EEEvSK_.num_vgpr, 0
	.set _ZN7rocprim17ROCPRIM_400000_NS6detail17trampoline_kernelINS0_14default_configENS1_36segmented_radix_sort_config_selectorIhlEEZNS1_25segmented_radix_sort_implIS3_Lb1EPKhPhPKlPlN2at6native12_GLOBAL__N_18offset_tEEE10hipError_tPvRmT1_PNSt15iterator_traitsISK_E10value_typeET2_T3_PNSL_ISQ_E10value_typeET4_jRbjT5_SW_jjP12ihipStream_tbEUlT_E_NS1_11comp_targetILNS1_3genE10ELNS1_11target_archE1200ELNS1_3gpuE4ELNS1_3repE0EEENS1_30default_config_static_selectorELNS0_4arch9wavefront6targetE0EEEvSK_.num_agpr, 0
	.set _ZN7rocprim17ROCPRIM_400000_NS6detail17trampoline_kernelINS0_14default_configENS1_36segmented_radix_sort_config_selectorIhlEEZNS1_25segmented_radix_sort_implIS3_Lb1EPKhPhPKlPlN2at6native12_GLOBAL__N_18offset_tEEE10hipError_tPvRmT1_PNSt15iterator_traitsISK_E10value_typeET2_T3_PNSL_ISQ_E10value_typeET4_jRbjT5_SW_jjP12ihipStream_tbEUlT_E_NS1_11comp_targetILNS1_3genE10ELNS1_11target_archE1200ELNS1_3gpuE4ELNS1_3repE0EEENS1_30default_config_static_selectorELNS0_4arch9wavefront6targetE0EEEvSK_.numbered_sgpr, 0
	.set _ZN7rocprim17ROCPRIM_400000_NS6detail17trampoline_kernelINS0_14default_configENS1_36segmented_radix_sort_config_selectorIhlEEZNS1_25segmented_radix_sort_implIS3_Lb1EPKhPhPKlPlN2at6native12_GLOBAL__N_18offset_tEEE10hipError_tPvRmT1_PNSt15iterator_traitsISK_E10value_typeET2_T3_PNSL_ISQ_E10value_typeET4_jRbjT5_SW_jjP12ihipStream_tbEUlT_E_NS1_11comp_targetILNS1_3genE10ELNS1_11target_archE1200ELNS1_3gpuE4ELNS1_3repE0EEENS1_30default_config_static_selectorELNS0_4arch9wavefront6targetE0EEEvSK_.num_named_barrier, 0
	.set _ZN7rocprim17ROCPRIM_400000_NS6detail17trampoline_kernelINS0_14default_configENS1_36segmented_radix_sort_config_selectorIhlEEZNS1_25segmented_radix_sort_implIS3_Lb1EPKhPhPKlPlN2at6native12_GLOBAL__N_18offset_tEEE10hipError_tPvRmT1_PNSt15iterator_traitsISK_E10value_typeET2_T3_PNSL_ISQ_E10value_typeET4_jRbjT5_SW_jjP12ihipStream_tbEUlT_E_NS1_11comp_targetILNS1_3genE10ELNS1_11target_archE1200ELNS1_3gpuE4ELNS1_3repE0EEENS1_30default_config_static_selectorELNS0_4arch9wavefront6targetE0EEEvSK_.private_seg_size, 0
	.set _ZN7rocprim17ROCPRIM_400000_NS6detail17trampoline_kernelINS0_14default_configENS1_36segmented_radix_sort_config_selectorIhlEEZNS1_25segmented_radix_sort_implIS3_Lb1EPKhPhPKlPlN2at6native12_GLOBAL__N_18offset_tEEE10hipError_tPvRmT1_PNSt15iterator_traitsISK_E10value_typeET2_T3_PNSL_ISQ_E10value_typeET4_jRbjT5_SW_jjP12ihipStream_tbEUlT_E_NS1_11comp_targetILNS1_3genE10ELNS1_11target_archE1200ELNS1_3gpuE4ELNS1_3repE0EEENS1_30default_config_static_selectorELNS0_4arch9wavefront6targetE0EEEvSK_.uses_vcc, 0
	.set _ZN7rocprim17ROCPRIM_400000_NS6detail17trampoline_kernelINS0_14default_configENS1_36segmented_radix_sort_config_selectorIhlEEZNS1_25segmented_radix_sort_implIS3_Lb1EPKhPhPKlPlN2at6native12_GLOBAL__N_18offset_tEEE10hipError_tPvRmT1_PNSt15iterator_traitsISK_E10value_typeET2_T3_PNSL_ISQ_E10value_typeET4_jRbjT5_SW_jjP12ihipStream_tbEUlT_E_NS1_11comp_targetILNS1_3genE10ELNS1_11target_archE1200ELNS1_3gpuE4ELNS1_3repE0EEENS1_30default_config_static_selectorELNS0_4arch9wavefront6targetE0EEEvSK_.uses_flat_scratch, 0
	.set _ZN7rocprim17ROCPRIM_400000_NS6detail17trampoline_kernelINS0_14default_configENS1_36segmented_radix_sort_config_selectorIhlEEZNS1_25segmented_radix_sort_implIS3_Lb1EPKhPhPKlPlN2at6native12_GLOBAL__N_18offset_tEEE10hipError_tPvRmT1_PNSt15iterator_traitsISK_E10value_typeET2_T3_PNSL_ISQ_E10value_typeET4_jRbjT5_SW_jjP12ihipStream_tbEUlT_E_NS1_11comp_targetILNS1_3genE10ELNS1_11target_archE1200ELNS1_3gpuE4ELNS1_3repE0EEENS1_30default_config_static_selectorELNS0_4arch9wavefront6targetE0EEEvSK_.has_dyn_sized_stack, 0
	.set _ZN7rocprim17ROCPRIM_400000_NS6detail17trampoline_kernelINS0_14default_configENS1_36segmented_radix_sort_config_selectorIhlEEZNS1_25segmented_radix_sort_implIS3_Lb1EPKhPhPKlPlN2at6native12_GLOBAL__N_18offset_tEEE10hipError_tPvRmT1_PNSt15iterator_traitsISK_E10value_typeET2_T3_PNSL_ISQ_E10value_typeET4_jRbjT5_SW_jjP12ihipStream_tbEUlT_E_NS1_11comp_targetILNS1_3genE10ELNS1_11target_archE1200ELNS1_3gpuE4ELNS1_3repE0EEENS1_30default_config_static_selectorELNS0_4arch9wavefront6targetE0EEEvSK_.has_recursion, 0
	.set _ZN7rocprim17ROCPRIM_400000_NS6detail17trampoline_kernelINS0_14default_configENS1_36segmented_radix_sort_config_selectorIhlEEZNS1_25segmented_radix_sort_implIS3_Lb1EPKhPhPKlPlN2at6native12_GLOBAL__N_18offset_tEEE10hipError_tPvRmT1_PNSt15iterator_traitsISK_E10value_typeET2_T3_PNSL_ISQ_E10value_typeET4_jRbjT5_SW_jjP12ihipStream_tbEUlT_E_NS1_11comp_targetILNS1_3genE10ELNS1_11target_archE1200ELNS1_3gpuE4ELNS1_3repE0EEENS1_30default_config_static_selectorELNS0_4arch9wavefront6targetE0EEEvSK_.has_indirect_call, 0
	.section	.AMDGPU.csdata,"",@progbits
; Kernel info:
; codeLenInByte = 0
; TotalNumSgprs: 0
; NumVgprs: 0
; ScratchSize: 0
; MemoryBound: 0
; FloatMode: 240
; IeeeMode: 1
; LDSByteSize: 0 bytes/workgroup (compile time only)
; SGPRBlocks: 0
; VGPRBlocks: 0
; NumSGPRsForWavesPerEU: 1
; NumVGPRsForWavesPerEU: 1
; NamedBarCnt: 0
; Occupancy: 16
; WaveLimiterHint : 0
; COMPUTE_PGM_RSRC2:SCRATCH_EN: 0
; COMPUTE_PGM_RSRC2:USER_SGPR: 2
; COMPUTE_PGM_RSRC2:TRAP_HANDLER: 0
; COMPUTE_PGM_RSRC2:TGID_X_EN: 1
; COMPUTE_PGM_RSRC2:TGID_Y_EN: 0
; COMPUTE_PGM_RSRC2:TGID_Z_EN: 0
; COMPUTE_PGM_RSRC2:TIDIG_COMP_CNT: 0
	.section	.text._ZN7rocprim17ROCPRIM_400000_NS6detail17trampoline_kernelINS0_14default_configENS1_36segmented_radix_sort_config_selectorIhlEEZNS1_25segmented_radix_sort_implIS3_Lb1EPKhPhPKlPlN2at6native12_GLOBAL__N_18offset_tEEE10hipError_tPvRmT1_PNSt15iterator_traitsISK_E10value_typeET2_T3_PNSL_ISQ_E10value_typeET4_jRbjT5_SW_jjP12ihipStream_tbEUlT_E_NS1_11comp_targetILNS1_3genE9ELNS1_11target_archE1100ELNS1_3gpuE3ELNS1_3repE0EEENS1_30default_config_static_selectorELNS0_4arch9wavefront6targetE0EEEvSK_,"axG",@progbits,_ZN7rocprim17ROCPRIM_400000_NS6detail17trampoline_kernelINS0_14default_configENS1_36segmented_radix_sort_config_selectorIhlEEZNS1_25segmented_radix_sort_implIS3_Lb1EPKhPhPKlPlN2at6native12_GLOBAL__N_18offset_tEEE10hipError_tPvRmT1_PNSt15iterator_traitsISK_E10value_typeET2_T3_PNSL_ISQ_E10value_typeET4_jRbjT5_SW_jjP12ihipStream_tbEUlT_E_NS1_11comp_targetILNS1_3genE9ELNS1_11target_archE1100ELNS1_3gpuE3ELNS1_3repE0EEENS1_30default_config_static_selectorELNS0_4arch9wavefront6targetE0EEEvSK_,comdat
	.globl	_ZN7rocprim17ROCPRIM_400000_NS6detail17trampoline_kernelINS0_14default_configENS1_36segmented_radix_sort_config_selectorIhlEEZNS1_25segmented_radix_sort_implIS3_Lb1EPKhPhPKlPlN2at6native12_GLOBAL__N_18offset_tEEE10hipError_tPvRmT1_PNSt15iterator_traitsISK_E10value_typeET2_T3_PNSL_ISQ_E10value_typeET4_jRbjT5_SW_jjP12ihipStream_tbEUlT_E_NS1_11comp_targetILNS1_3genE9ELNS1_11target_archE1100ELNS1_3gpuE3ELNS1_3repE0EEENS1_30default_config_static_selectorELNS0_4arch9wavefront6targetE0EEEvSK_ ; -- Begin function _ZN7rocprim17ROCPRIM_400000_NS6detail17trampoline_kernelINS0_14default_configENS1_36segmented_radix_sort_config_selectorIhlEEZNS1_25segmented_radix_sort_implIS3_Lb1EPKhPhPKlPlN2at6native12_GLOBAL__N_18offset_tEEE10hipError_tPvRmT1_PNSt15iterator_traitsISK_E10value_typeET2_T3_PNSL_ISQ_E10value_typeET4_jRbjT5_SW_jjP12ihipStream_tbEUlT_E_NS1_11comp_targetILNS1_3genE9ELNS1_11target_archE1100ELNS1_3gpuE3ELNS1_3repE0EEENS1_30default_config_static_selectorELNS0_4arch9wavefront6targetE0EEEvSK_
	.p2align	8
	.type	_ZN7rocprim17ROCPRIM_400000_NS6detail17trampoline_kernelINS0_14default_configENS1_36segmented_radix_sort_config_selectorIhlEEZNS1_25segmented_radix_sort_implIS3_Lb1EPKhPhPKlPlN2at6native12_GLOBAL__N_18offset_tEEE10hipError_tPvRmT1_PNSt15iterator_traitsISK_E10value_typeET2_T3_PNSL_ISQ_E10value_typeET4_jRbjT5_SW_jjP12ihipStream_tbEUlT_E_NS1_11comp_targetILNS1_3genE9ELNS1_11target_archE1100ELNS1_3gpuE3ELNS1_3repE0EEENS1_30default_config_static_selectorELNS0_4arch9wavefront6targetE0EEEvSK_,@function
_ZN7rocprim17ROCPRIM_400000_NS6detail17trampoline_kernelINS0_14default_configENS1_36segmented_radix_sort_config_selectorIhlEEZNS1_25segmented_radix_sort_implIS3_Lb1EPKhPhPKlPlN2at6native12_GLOBAL__N_18offset_tEEE10hipError_tPvRmT1_PNSt15iterator_traitsISK_E10value_typeET2_T3_PNSL_ISQ_E10value_typeET4_jRbjT5_SW_jjP12ihipStream_tbEUlT_E_NS1_11comp_targetILNS1_3genE9ELNS1_11target_archE1100ELNS1_3gpuE3ELNS1_3repE0EEENS1_30default_config_static_selectorELNS0_4arch9wavefront6targetE0EEEvSK_: ; @_ZN7rocprim17ROCPRIM_400000_NS6detail17trampoline_kernelINS0_14default_configENS1_36segmented_radix_sort_config_selectorIhlEEZNS1_25segmented_radix_sort_implIS3_Lb1EPKhPhPKlPlN2at6native12_GLOBAL__N_18offset_tEEE10hipError_tPvRmT1_PNSt15iterator_traitsISK_E10value_typeET2_T3_PNSL_ISQ_E10value_typeET4_jRbjT5_SW_jjP12ihipStream_tbEUlT_E_NS1_11comp_targetILNS1_3genE9ELNS1_11target_archE1100ELNS1_3gpuE3ELNS1_3repE0EEENS1_30default_config_static_selectorELNS0_4arch9wavefront6targetE0EEEvSK_
; %bb.0:
	.section	.rodata,"a",@progbits
	.p2align	6, 0x0
	.amdhsa_kernel _ZN7rocprim17ROCPRIM_400000_NS6detail17trampoline_kernelINS0_14default_configENS1_36segmented_radix_sort_config_selectorIhlEEZNS1_25segmented_radix_sort_implIS3_Lb1EPKhPhPKlPlN2at6native12_GLOBAL__N_18offset_tEEE10hipError_tPvRmT1_PNSt15iterator_traitsISK_E10value_typeET2_T3_PNSL_ISQ_E10value_typeET4_jRbjT5_SW_jjP12ihipStream_tbEUlT_E_NS1_11comp_targetILNS1_3genE9ELNS1_11target_archE1100ELNS1_3gpuE3ELNS1_3repE0EEENS1_30default_config_static_selectorELNS0_4arch9wavefront6targetE0EEEvSK_
		.amdhsa_group_segment_fixed_size 0
		.amdhsa_private_segment_fixed_size 0
		.amdhsa_kernarg_size 96
		.amdhsa_user_sgpr_count 2
		.amdhsa_user_sgpr_dispatch_ptr 0
		.amdhsa_user_sgpr_queue_ptr 0
		.amdhsa_user_sgpr_kernarg_segment_ptr 1
		.amdhsa_user_sgpr_dispatch_id 0
		.amdhsa_user_sgpr_kernarg_preload_length 0
		.amdhsa_user_sgpr_kernarg_preload_offset 0
		.amdhsa_user_sgpr_private_segment_size 0
		.amdhsa_wavefront_size32 1
		.amdhsa_uses_dynamic_stack 0
		.amdhsa_enable_private_segment 0
		.amdhsa_system_sgpr_workgroup_id_x 1
		.amdhsa_system_sgpr_workgroup_id_y 0
		.amdhsa_system_sgpr_workgroup_id_z 0
		.amdhsa_system_sgpr_workgroup_info 0
		.amdhsa_system_vgpr_workitem_id 0
		.amdhsa_next_free_vgpr 1
		.amdhsa_next_free_sgpr 1
		.amdhsa_named_barrier_count 0
		.amdhsa_reserve_vcc 0
		.amdhsa_float_round_mode_32 0
		.amdhsa_float_round_mode_16_64 0
		.amdhsa_float_denorm_mode_32 3
		.amdhsa_float_denorm_mode_16_64 3
		.amdhsa_fp16_overflow 0
		.amdhsa_memory_ordered 1
		.amdhsa_forward_progress 1
		.amdhsa_inst_pref_size 0
		.amdhsa_round_robin_scheduling 0
		.amdhsa_exception_fp_ieee_invalid_op 0
		.amdhsa_exception_fp_denorm_src 0
		.amdhsa_exception_fp_ieee_div_zero 0
		.amdhsa_exception_fp_ieee_overflow 0
		.amdhsa_exception_fp_ieee_underflow 0
		.amdhsa_exception_fp_ieee_inexact 0
		.amdhsa_exception_int_div_zero 0
	.end_amdhsa_kernel
	.section	.text._ZN7rocprim17ROCPRIM_400000_NS6detail17trampoline_kernelINS0_14default_configENS1_36segmented_radix_sort_config_selectorIhlEEZNS1_25segmented_radix_sort_implIS3_Lb1EPKhPhPKlPlN2at6native12_GLOBAL__N_18offset_tEEE10hipError_tPvRmT1_PNSt15iterator_traitsISK_E10value_typeET2_T3_PNSL_ISQ_E10value_typeET4_jRbjT5_SW_jjP12ihipStream_tbEUlT_E_NS1_11comp_targetILNS1_3genE9ELNS1_11target_archE1100ELNS1_3gpuE3ELNS1_3repE0EEENS1_30default_config_static_selectorELNS0_4arch9wavefront6targetE0EEEvSK_,"axG",@progbits,_ZN7rocprim17ROCPRIM_400000_NS6detail17trampoline_kernelINS0_14default_configENS1_36segmented_radix_sort_config_selectorIhlEEZNS1_25segmented_radix_sort_implIS3_Lb1EPKhPhPKlPlN2at6native12_GLOBAL__N_18offset_tEEE10hipError_tPvRmT1_PNSt15iterator_traitsISK_E10value_typeET2_T3_PNSL_ISQ_E10value_typeET4_jRbjT5_SW_jjP12ihipStream_tbEUlT_E_NS1_11comp_targetILNS1_3genE9ELNS1_11target_archE1100ELNS1_3gpuE3ELNS1_3repE0EEENS1_30default_config_static_selectorELNS0_4arch9wavefront6targetE0EEEvSK_,comdat
.Lfunc_end91:
	.size	_ZN7rocprim17ROCPRIM_400000_NS6detail17trampoline_kernelINS0_14default_configENS1_36segmented_radix_sort_config_selectorIhlEEZNS1_25segmented_radix_sort_implIS3_Lb1EPKhPhPKlPlN2at6native12_GLOBAL__N_18offset_tEEE10hipError_tPvRmT1_PNSt15iterator_traitsISK_E10value_typeET2_T3_PNSL_ISQ_E10value_typeET4_jRbjT5_SW_jjP12ihipStream_tbEUlT_E_NS1_11comp_targetILNS1_3genE9ELNS1_11target_archE1100ELNS1_3gpuE3ELNS1_3repE0EEENS1_30default_config_static_selectorELNS0_4arch9wavefront6targetE0EEEvSK_, .Lfunc_end91-_ZN7rocprim17ROCPRIM_400000_NS6detail17trampoline_kernelINS0_14default_configENS1_36segmented_radix_sort_config_selectorIhlEEZNS1_25segmented_radix_sort_implIS3_Lb1EPKhPhPKlPlN2at6native12_GLOBAL__N_18offset_tEEE10hipError_tPvRmT1_PNSt15iterator_traitsISK_E10value_typeET2_T3_PNSL_ISQ_E10value_typeET4_jRbjT5_SW_jjP12ihipStream_tbEUlT_E_NS1_11comp_targetILNS1_3genE9ELNS1_11target_archE1100ELNS1_3gpuE3ELNS1_3repE0EEENS1_30default_config_static_selectorELNS0_4arch9wavefront6targetE0EEEvSK_
                                        ; -- End function
	.set _ZN7rocprim17ROCPRIM_400000_NS6detail17trampoline_kernelINS0_14default_configENS1_36segmented_radix_sort_config_selectorIhlEEZNS1_25segmented_radix_sort_implIS3_Lb1EPKhPhPKlPlN2at6native12_GLOBAL__N_18offset_tEEE10hipError_tPvRmT1_PNSt15iterator_traitsISK_E10value_typeET2_T3_PNSL_ISQ_E10value_typeET4_jRbjT5_SW_jjP12ihipStream_tbEUlT_E_NS1_11comp_targetILNS1_3genE9ELNS1_11target_archE1100ELNS1_3gpuE3ELNS1_3repE0EEENS1_30default_config_static_selectorELNS0_4arch9wavefront6targetE0EEEvSK_.num_vgpr, 0
	.set _ZN7rocprim17ROCPRIM_400000_NS6detail17trampoline_kernelINS0_14default_configENS1_36segmented_radix_sort_config_selectorIhlEEZNS1_25segmented_radix_sort_implIS3_Lb1EPKhPhPKlPlN2at6native12_GLOBAL__N_18offset_tEEE10hipError_tPvRmT1_PNSt15iterator_traitsISK_E10value_typeET2_T3_PNSL_ISQ_E10value_typeET4_jRbjT5_SW_jjP12ihipStream_tbEUlT_E_NS1_11comp_targetILNS1_3genE9ELNS1_11target_archE1100ELNS1_3gpuE3ELNS1_3repE0EEENS1_30default_config_static_selectorELNS0_4arch9wavefront6targetE0EEEvSK_.num_agpr, 0
	.set _ZN7rocprim17ROCPRIM_400000_NS6detail17trampoline_kernelINS0_14default_configENS1_36segmented_radix_sort_config_selectorIhlEEZNS1_25segmented_radix_sort_implIS3_Lb1EPKhPhPKlPlN2at6native12_GLOBAL__N_18offset_tEEE10hipError_tPvRmT1_PNSt15iterator_traitsISK_E10value_typeET2_T3_PNSL_ISQ_E10value_typeET4_jRbjT5_SW_jjP12ihipStream_tbEUlT_E_NS1_11comp_targetILNS1_3genE9ELNS1_11target_archE1100ELNS1_3gpuE3ELNS1_3repE0EEENS1_30default_config_static_selectorELNS0_4arch9wavefront6targetE0EEEvSK_.numbered_sgpr, 0
	.set _ZN7rocprim17ROCPRIM_400000_NS6detail17trampoline_kernelINS0_14default_configENS1_36segmented_radix_sort_config_selectorIhlEEZNS1_25segmented_radix_sort_implIS3_Lb1EPKhPhPKlPlN2at6native12_GLOBAL__N_18offset_tEEE10hipError_tPvRmT1_PNSt15iterator_traitsISK_E10value_typeET2_T3_PNSL_ISQ_E10value_typeET4_jRbjT5_SW_jjP12ihipStream_tbEUlT_E_NS1_11comp_targetILNS1_3genE9ELNS1_11target_archE1100ELNS1_3gpuE3ELNS1_3repE0EEENS1_30default_config_static_selectorELNS0_4arch9wavefront6targetE0EEEvSK_.num_named_barrier, 0
	.set _ZN7rocprim17ROCPRIM_400000_NS6detail17trampoline_kernelINS0_14default_configENS1_36segmented_radix_sort_config_selectorIhlEEZNS1_25segmented_radix_sort_implIS3_Lb1EPKhPhPKlPlN2at6native12_GLOBAL__N_18offset_tEEE10hipError_tPvRmT1_PNSt15iterator_traitsISK_E10value_typeET2_T3_PNSL_ISQ_E10value_typeET4_jRbjT5_SW_jjP12ihipStream_tbEUlT_E_NS1_11comp_targetILNS1_3genE9ELNS1_11target_archE1100ELNS1_3gpuE3ELNS1_3repE0EEENS1_30default_config_static_selectorELNS0_4arch9wavefront6targetE0EEEvSK_.private_seg_size, 0
	.set _ZN7rocprim17ROCPRIM_400000_NS6detail17trampoline_kernelINS0_14default_configENS1_36segmented_radix_sort_config_selectorIhlEEZNS1_25segmented_radix_sort_implIS3_Lb1EPKhPhPKlPlN2at6native12_GLOBAL__N_18offset_tEEE10hipError_tPvRmT1_PNSt15iterator_traitsISK_E10value_typeET2_T3_PNSL_ISQ_E10value_typeET4_jRbjT5_SW_jjP12ihipStream_tbEUlT_E_NS1_11comp_targetILNS1_3genE9ELNS1_11target_archE1100ELNS1_3gpuE3ELNS1_3repE0EEENS1_30default_config_static_selectorELNS0_4arch9wavefront6targetE0EEEvSK_.uses_vcc, 0
	.set _ZN7rocprim17ROCPRIM_400000_NS6detail17trampoline_kernelINS0_14default_configENS1_36segmented_radix_sort_config_selectorIhlEEZNS1_25segmented_radix_sort_implIS3_Lb1EPKhPhPKlPlN2at6native12_GLOBAL__N_18offset_tEEE10hipError_tPvRmT1_PNSt15iterator_traitsISK_E10value_typeET2_T3_PNSL_ISQ_E10value_typeET4_jRbjT5_SW_jjP12ihipStream_tbEUlT_E_NS1_11comp_targetILNS1_3genE9ELNS1_11target_archE1100ELNS1_3gpuE3ELNS1_3repE0EEENS1_30default_config_static_selectorELNS0_4arch9wavefront6targetE0EEEvSK_.uses_flat_scratch, 0
	.set _ZN7rocprim17ROCPRIM_400000_NS6detail17trampoline_kernelINS0_14default_configENS1_36segmented_radix_sort_config_selectorIhlEEZNS1_25segmented_radix_sort_implIS3_Lb1EPKhPhPKlPlN2at6native12_GLOBAL__N_18offset_tEEE10hipError_tPvRmT1_PNSt15iterator_traitsISK_E10value_typeET2_T3_PNSL_ISQ_E10value_typeET4_jRbjT5_SW_jjP12ihipStream_tbEUlT_E_NS1_11comp_targetILNS1_3genE9ELNS1_11target_archE1100ELNS1_3gpuE3ELNS1_3repE0EEENS1_30default_config_static_selectorELNS0_4arch9wavefront6targetE0EEEvSK_.has_dyn_sized_stack, 0
	.set _ZN7rocprim17ROCPRIM_400000_NS6detail17trampoline_kernelINS0_14default_configENS1_36segmented_radix_sort_config_selectorIhlEEZNS1_25segmented_radix_sort_implIS3_Lb1EPKhPhPKlPlN2at6native12_GLOBAL__N_18offset_tEEE10hipError_tPvRmT1_PNSt15iterator_traitsISK_E10value_typeET2_T3_PNSL_ISQ_E10value_typeET4_jRbjT5_SW_jjP12ihipStream_tbEUlT_E_NS1_11comp_targetILNS1_3genE9ELNS1_11target_archE1100ELNS1_3gpuE3ELNS1_3repE0EEENS1_30default_config_static_selectorELNS0_4arch9wavefront6targetE0EEEvSK_.has_recursion, 0
	.set _ZN7rocprim17ROCPRIM_400000_NS6detail17trampoline_kernelINS0_14default_configENS1_36segmented_radix_sort_config_selectorIhlEEZNS1_25segmented_radix_sort_implIS3_Lb1EPKhPhPKlPlN2at6native12_GLOBAL__N_18offset_tEEE10hipError_tPvRmT1_PNSt15iterator_traitsISK_E10value_typeET2_T3_PNSL_ISQ_E10value_typeET4_jRbjT5_SW_jjP12ihipStream_tbEUlT_E_NS1_11comp_targetILNS1_3genE9ELNS1_11target_archE1100ELNS1_3gpuE3ELNS1_3repE0EEENS1_30default_config_static_selectorELNS0_4arch9wavefront6targetE0EEEvSK_.has_indirect_call, 0
	.section	.AMDGPU.csdata,"",@progbits
; Kernel info:
; codeLenInByte = 0
; TotalNumSgprs: 0
; NumVgprs: 0
; ScratchSize: 0
; MemoryBound: 0
; FloatMode: 240
; IeeeMode: 1
; LDSByteSize: 0 bytes/workgroup (compile time only)
; SGPRBlocks: 0
; VGPRBlocks: 0
; NumSGPRsForWavesPerEU: 1
; NumVGPRsForWavesPerEU: 1
; NamedBarCnt: 0
; Occupancy: 16
; WaveLimiterHint : 0
; COMPUTE_PGM_RSRC2:SCRATCH_EN: 0
; COMPUTE_PGM_RSRC2:USER_SGPR: 2
; COMPUTE_PGM_RSRC2:TRAP_HANDLER: 0
; COMPUTE_PGM_RSRC2:TGID_X_EN: 1
; COMPUTE_PGM_RSRC2:TGID_Y_EN: 0
; COMPUTE_PGM_RSRC2:TGID_Z_EN: 0
; COMPUTE_PGM_RSRC2:TIDIG_COMP_CNT: 0
	.section	.text._ZN7rocprim17ROCPRIM_400000_NS6detail17trampoline_kernelINS0_14default_configENS1_36segmented_radix_sort_config_selectorIhlEEZNS1_25segmented_radix_sort_implIS3_Lb1EPKhPhPKlPlN2at6native12_GLOBAL__N_18offset_tEEE10hipError_tPvRmT1_PNSt15iterator_traitsISK_E10value_typeET2_T3_PNSL_ISQ_E10value_typeET4_jRbjT5_SW_jjP12ihipStream_tbEUlT_E_NS1_11comp_targetILNS1_3genE8ELNS1_11target_archE1030ELNS1_3gpuE2ELNS1_3repE0EEENS1_30default_config_static_selectorELNS0_4arch9wavefront6targetE0EEEvSK_,"axG",@progbits,_ZN7rocprim17ROCPRIM_400000_NS6detail17trampoline_kernelINS0_14default_configENS1_36segmented_radix_sort_config_selectorIhlEEZNS1_25segmented_radix_sort_implIS3_Lb1EPKhPhPKlPlN2at6native12_GLOBAL__N_18offset_tEEE10hipError_tPvRmT1_PNSt15iterator_traitsISK_E10value_typeET2_T3_PNSL_ISQ_E10value_typeET4_jRbjT5_SW_jjP12ihipStream_tbEUlT_E_NS1_11comp_targetILNS1_3genE8ELNS1_11target_archE1030ELNS1_3gpuE2ELNS1_3repE0EEENS1_30default_config_static_selectorELNS0_4arch9wavefront6targetE0EEEvSK_,comdat
	.globl	_ZN7rocprim17ROCPRIM_400000_NS6detail17trampoline_kernelINS0_14default_configENS1_36segmented_radix_sort_config_selectorIhlEEZNS1_25segmented_radix_sort_implIS3_Lb1EPKhPhPKlPlN2at6native12_GLOBAL__N_18offset_tEEE10hipError_tPvRmT1_PNSt15iterator_traitsISK_E10value_typeET2_T3_PNSL_ISQ_E10value_typeET4_jRbjT5_SW_jjP12ihipStream_tbEUlT_E_NS1_11comp_targetILNS1_3genE8ELNS1_11target_archE1030ELNS1_3gpuE2ELNS1_3repE0EEENS1_30default_config_static_selectorELNS0_4arch9wavefront6targetE0EEEvSK_ ; -- Begin function _ZN7rocprim17ROCPRIM_400000_NS6detail17trampoline_kernelINS0_14default_configENS1_36segmented_radix_sort_config_selectorIhlEEZNS1_25segmented_radix_sort_implIS3_Lb1EPKhPhPKlPlN2at6native12_GLOBAL__N_18offset_tEEE10hipError_tPvRmT1_PNSt15iterator_traitsISK_E10value_typeET2_T3_PNSL_ISQ_E10value_typeET4_jRbjT5_SW_jjP12ihipStream_tbEUlT_E_NS1_11comp_targetILNS1_3genE8ELNS1_11target_archE1030ELNS1_3gpuE2ELNS1_3repE0EEENS1_30default_config_static_selectorELNS0_4arch9wavefront6targetE0EEEvSK_
	.p2align	8
	.type	_ZN7rocprim17ROCPRIM_400000_NS6detail17trampoline_kernelINS0_14default_configENS1_36segmented_radix_sort_config_selectorIhlEEZNS1_25segmented_radix_sort_implIS3_Lb1EPKhPhPKlPlN2at6native12_GLOBAL__N_18offset_tEEE10hipError_tPvRmT1_PNSt15iterator_traitsISK_E10value_typeET2_T3_PNSL_ISQ_E10value_typeET4_jRbjT5_SW_jjP12ihipStream_tbEUlT_E_NS1_11comp_targetILNS1_3genE8ELNS1_11target_archE1030ELNS1_3gpuE2ELNS1_3repE0EEENS1_30default_config_static_selectorELNS0_4arch9wavefront6targetE0EEEvSK_,@function
_ZN7rocprim17ROCPRIM_400000_NS6detail17trampoline_kernelINS0_14default_configENS1_36segmented_radix_sort_config_selectorIhlEEZNS1_25segmented_radix_sort_implIS3_Lb1EPKhPhPKlPlN2at6native12_GLOBAL__N_18offset_tEEE10hipError_tPvRmT1_PNSt15iterator_traitsISK_E10value_typeET2_T3_PNSL_ISQ_E10value_typeET4_jRbjT5_SW_jjP12ihipStream_tbEUlT_E_NS1_11comp_targetILNS1_3genE8ELNS1_11target_archE1030ELNS1_3gpuE2ELNS1_3repE0EEENS1_30default_config_static_selectorELNS0_4arch9wavefront6targetE0EEEvSK_: ; @_ZN7rocprim17ROCPRIM_400000_NS6detail17trampoline_kernelINS0_14default_configENS1_36segmented_radix_sort_config_selectorIhlEEZNS1_25segmented_radix_sort_implIS3_Lb1EPKhPhPKlPlN2at6native12_GLOBAL__N_18offset_tEEE10hipError_tPvRmT1_PNSt15iterator_traitsISK_E10value_typeET2_T3_PNSL_ISQ_E10value_typeET4_jRbjT5_SW_jjP12ihipStream_tbEUlT_E_NS1_11comp_targetILNS1_3genE8ELNS1_11target_archE1030ELNS1_3gpuE2ELNS1_3repE0EEENS1_30default_config_static_selectorELNS0_4arch9wavefront6targetE0EEEvSK_
; %bb.0:
	.section	.rodata,"a",@progbits
	.p2align	6, 0x0
	.amdhsa_kernel _ZN7rocprim17ROCPRIM_400000_NS6detail17trampoline_kernelINS0_14default_configENS1_36segmented_radix_sort_config_selectorIhlEEZNS1_25segmented_radix_sort_implIS3_Lb1EPKhPhPKlPlN2at6native12_GLOBAL__N_18offset_tEEE10hipError_tPvRmT1_PNSt15iterator_traitsISK_E10value_typeET2_T3_PNSL_ISQ_E10value_typeET4_jRbjT5_SW_jjP12ihipStream_tbEUlT_E_NS1_11comp_targetILNS1_3genE8ELNS1_11target_archE1030ELNS1_3gpuE2ELNS1_3repE0EEENS1_30default_config_static_selectorELNS0_4arch9wavefront6targetE0EEEvSK_
		.amdhsa_group_segment_fixed_size 0
		.amdhsa_private_segment_fixed_size 0
		.amdhsa_kernarg_size 96
		.amdhsa_user_sgpr_count 2
		.amdhsa_user_sgpr_dispatch_ptr 0
		.amdhsa_user_sgpr_queue_ptr 0
		.amdhsa_user_sgpr_kernarg_segment_ptr 1
		.amdhsa_user_sgpr_dispatch_id 0
		.amdhsa_user_sgpr_kernarg_preload_length 0
		.amdhsa_user_sgpr_kernarg_preload_offset 0
		.amdhsa_user_sgpr_private_segment_size 0
		.amdhsa_wavefront_size32 1
		.amdhsa_uses_dynamic_stack 0
		.amdhsa_enable_private_segment 0
		.amdhsa_system_sgpr_workgroup_id_x 1
		.amdhsa_system_sgpr_workgroup_id_y 0
		.amdhsa_system_sgpr_workgroup_id_z 0
		.amdhsa_system_sgpr_workgroup_info 0
		.amdhsa_system_vgpr_workitem_id 0
		.amdhsa_next_free_vgpr 1
		.amdhsa_next_free_sgpr 1
		.amdhsa_named_barrier_count 0
		.amdhsa_reserve_vcc 0
		.amdhsa_float_round_mode_32 0
		.amdhsa_float_round_mode_16_64 0
		.amdhsa_float_denorm_mode_32 3
		.amdhsa_float_denorm_mode_16_64 3
		.amdhsa_fp16_overflow 0
		.amdhsa_memory_ordered 1
		.amdhsa_forward_progress 1
		.amdhsa_inst_pref_size 0
		.amdhsa_round_robin_scheduling 0
		.amdhsa_exception_fp_ieee_invalid_op 0
		.amdhsa_exception_fp_denorm_src 0
		.amdhsa_exception_fp_ieee_div_zero 0
		.amdhsa_exception_fp_ieee_overflow 0
		.amdhsa_exception_fp_ieee_underflow 0
		.amdhsa_exception_fp_ieee_inexact 0
		.amdhsa_exception_int_div_zero 0
	.end_amdhsa_kernel
	.section	.text._ZN7rocprim17ROCPRIM_400000_NS6detail17trampoline_kernelINS0_14default_configENS1_36segmented_radix_sort_config_selectorIhlEEZNS1_25segmented_radix_sort_implIS3_Lb1EPKhPhPKlPlN2at6native12_GLOBAL__N_18offset_tEEE10hipError_tPvRmT1_PNSt15iterator_traitsISK_E10value_typeET2_T3_PNSL_ISQ_E10value_typeET4_jRbjT5_SW_jjP12ihipStream_tbEUlT_E_NS1_11comp_targetILNS1_3genE8ELNS1_11target_archE1030ELNS1_3gpuE2ELNS1_3repE0EEENS1_30default_config_static_selectorELNS0_4arch9wavefront6targetE0EEEvSK_,"axG",@progbits,_ZN7rocprim17ROCPRIM_400000_NS6detail17trampoline_kernelINS0_14default_configENS1_36segmented_radix_sort_config_selectorIhlEEZNS1_25segmented_radix_sort_implIS3_Lb1EPKhPhPKlPlN2at6native12_GLOBAL__N_18offset_tEEE10hipError_tPvRmT1_PNSt15iterator_traitsISK_E10value_typeET2_T3_PNSL_ISQ_E10value_typeET4_jRbjT5_SW_jjP12ihipStream_tbEUlT_E_NS1_11comp_targetILNS1_3genE8ELNS1_11target_archE1030ELNS1_3gpuE2ELNS1_3repE0EEENS1_30default_config_static_selectorELNS0_4arch9wavefront6targetE0EEEvSK_,comdat
.Lfunc_end92:
	.size	_ZN7rocprim17ROCPRIM_400000_NS6detail17trampoline_kernelINS0_14default_configENS1_36segmented_radix_sort_config_selectorIhlEEZNS1_25segmented_radix_sort_implIS3_Lb1EPKhPhPKlPlN2at6native12_GLOBAL__N_18offset_tEEE10hipError_tPvRmT1_PNSt15iterator_traitsISK_E10value_typeET2_T3_PNSL_ISQ_E10value_typeET4_jRbjT5_SW_jjP12ihipStream_tbEUlT_E_NS1_11comp_targetILNS1_3genE8ELNS1_11target_archE1030ELNS1_3gpuE2ELNS1_3repE0EEENS1_30default_config_static_selectorELNS0_4arch9wavefront6targetE0EEEvSK_, .Lfunc_end92-_ZN7rocprim17ROCPRIM_400000_NS6detail17trampoline_kernelINS0_14default_configENS1_36segmented_radix_sort_config_selectorIhlEEZNS1_25segmented_radix_sort_implIS3_Lb1EPKhPhPKlPlN2at6native12_GLOBAL__N_18offset_tEEE10hipError_tPvRmT1_PNSt15iterator_traitsISK_E10value_typeET2_T3_PNSL_ISQ_E10value_typeET4_jRbjT5_SW_jjP12ihipStream_tbEUlT_E_NS1_11comp_targetILNS1_3genE8ELNS1_11target_archE1030ELNS1_3gpuE2ELNS1_3repE0EEENS1_30default_config_static_selectorELNS0_4arch9wavefront6targetE0EEEvSK_
                                        ; -- End function
	.set _ZN7rocprim17ROCPRIM_400000_NS6detail17trampoline_kernelINS0_14default_configENS1_36segmented_radix_sort_config_selectorIhlEEZNS1_25segmented_radix_sort_implIS3_Lb1EPKhPhPKlPlN2at6native12_GLOBAL__N_18offset_tEEE10hipError_tPvRmT1_PNSt15iterator_traitsISK_E10value_typeET2_T3_PNSL_ISQ_E10value_typeET4_jRbjT5_SW_jjP12ihipStream_tbEUlT_E_NS1_11comp_targetILNS1_3genE8ELNS1_11target_archE1030ELNS1_3gpuE2ELNS1_3repE0EEENS1_30default_config_static_selectorELNS0_4arch9wavefront6targetE0EEEvSK_.num_vgpr, 0
	.set _ZN7rocprim17ROCPRIM_400000_NS6detail17trampoline_kernelINS0_14default_configENS1_36segmented_radix_sort_config_selectorIhlEEZNS1_25segmented_radix_sort_implIS3_Lb1EPKhPhPKlPlN2at6native12_GLOBAL__N_18offset_tEEE10hipError_tPvRmT1_PNSt15iterator_traitsISK_E10value_typeET2_T3_PNSL_ISQ_E10value_typeET4_jRbjT5_SW_jjP12ihipStream_tbEUlT_E_NS1_11comp_targetILNS1_3genE8ELNS1_11target_archE1030ELNS1_3gpuE2ELNS1_3repE0EEENS1_30default_config_static_selectorELNS0_4arch9wavefront6targetE0EEEvSK_.num_agpr, 0
	.set _ZN7rocprim17ROCPRIM_400000_NS6detail17trampoline_kernelINS0_14default_configENS1_36segmented_radix_sort_config_selectorIhlEEZNS1_25segmented_radix_sort_implIS3_Lb1EPKhPhPKlPlN2at6native12_GLOBAL__N_18offset_tEEE10hipError_tPvRmT1_PNSt15iterator_traitsISK_E10value_typeET2_T3_PNSL_ISQ_E10value_typeET4_jRbjT5_SW_jjP12ihipStream_tbEUlT_E_NS1_11comp_targetILNS1_3genE8ELNS1_11target_archE1030ELNS1_3gpuE2ELNS1_3repE0EEENS1_30default_config_static_selectorELNS0_4arch9wavefront6targetE0EEEvSK_.numbered_sgpr, 0
	.set _ZN7rocprim17ROCPRIM_400000_NS6detail17trampoline_kernelINS0_14default_configENS1_36segmented_radix_sort_config_selectorIhlEEZNS1_25segmented_radix_sort_implIS3_Lb1EPKhPhPKlPlN2at6native12_GLOBAL__N_18offset_tEEE10hipError_tPvRmT1_PNSt15iterator_traitsISK_E10value_typeET2_T3_PNSL_ISQ_E10value_typeET4_jRbjT5_SW_jjP12ihipStream_tbEUlT_E_NS1_11comp_targetILNS1_3genE8ELNS1_11target_archE1030ELNS1_3gpuE2ELNS1_3repE0EEENS1_30default_config_static_selectorELNS0_4arch9wavefront6targetE0EEEvSK_.num_named_barrier, 0
	.set _ZN7rocprim17ROCPRIM_400000_NS6detail17trampoline_kernelINS0_14default_configENS1_36segmented_radix_sort_config_selectorIhlEEZNS1_25segmented_radix_sort_implIS3_Lb1EPKhPhPKlPlN2at6native12_GLOBAL__N_18offset_tEEE10hipError_tPvRmT1_PNSt15iterator_traitsISK_E10value_typeET2_T3_PNSL_ISQ_E10value_typeET4_jRbjT5_SW_jjP12ihipStream_tbEUlT_E_NS1_11comp_targetILNS1_3genE8ELNS1_11target_archE1030ELNS1_3gpuE2ELNS1_3repE0EEENS1_30default_config_static_selectorELNS0_4arch9wavefront6targetE0EEEvSK_.private_seg_size, 0
	.set _ZN7rocprim17ROCPRIM_400000_NS6detail17trampoline_kernelINS0_14default_configENS1_36segmented_radix_sort_config_selectorIhlEEZNS1_25segmented_radix_sort_implIS3_Lb1EPKhPhPKlPlN2at6native12_GLOBAL__N_18offset_tEEE10hipError_tPvRmT1_PNSt15iterator_traitsISK_E10value_typeET2_T3_PNSL_ISQ_E10value_typeET4_jRbjT5_SW_jjP12ihipStream_tbEUlT_E_NS1_11comp_targetILNS1_3genE8ELNS1_11target_archE1030ELNS1_3gpuE2ELNS1_3repE0EEENS1_30default_config_static_selectorELNS0_4arch9wavefront6targetE0EEEvSK_.uses_vcc, 0
	.set _ZN7rocprim17ROCPRIM_400000_NS6detail17trampoline_kernelINS0_14default_configENS1_36segmented_radix_sort_config_selectorIhlEEZNS1_25segmented_radix_sort_implIS3_Lb1EPKhPhPKlPlN2at6native12_GLOBAL__N_18offset_tEEE10hipError_tPvRmT1_PNSt15iterator_traitsISK_E10value_typeET2_T3_PNSL_ISQ_E10value_typeET4_jRbjT5_SW_jjP12ihipStream_tbEUlT_E_NS1_11comp_targetILNS1_3genE8ELNS1_11target_archE1030ELNS1_3gpuE2ELNS1_3repE0EEENS1_30default_config_static_selectorELNS0_4arch9wavefront6targetE0EEEvSK_.uses_flat_scratch, 0
	.set _ZN7rocprim17ROCPRIM_400000_NS6detail17trampoline_kernelINS0_14default_configENS1_36segmented_radix_sort_config_selectorIhlEEZNS1_25segmented_radix_sort_implIS3_Lb1EPKhPhPKlPlN2at6native12_GLOBAL__N_18offset_tEEE10hipError_tPvRmT1_PNSt15iterator_traitsISK_E10value_typeET2_T3_PNSL_ISQ_E10value_typeET4_jRbjT5_SW_jjP12ihipStream_tbEUlT_E_NS1_11comp_targetILNS1_3genE8ELNS1_11target_archE1030ELNS1_3gpuE2ELNS1_3repE0EEENS1_30default_config_static_selectorELNS0_4arch9wavefront6targetE0EEEvSK_.has_dyn_sized_stack, 0
	.set _ZN7rocprim17ROCPRIM_400000_NS6detail17trampoline_kernelINS0_14default_configENS1_36segmented_radix_sort_config_selectorIhlEEZNS1_25segmented_radix_sort_implIS3_Lb1EPKhPhPKlPlN2at6native12_GLOBAL__N_18offset_tEEE10hipError_tPvRmT1_PNSt15iterator_traitsISK_E10value_typeET2_T3_PNSL_ISQ_E10value_typeET4_jRbjT5_SW_jjP12ihipStream_tbEUlT_E_NS1_11comp_targetILNS1_3genE8ELNS1_11target_archE1030ELNS1_3gpuE2ELNS1_3repE0EEENS1_30default_config_static_selectorELNS0_4arch9wavefront6targetE0EEEvSK_.has_recursion, 0
	.set _ZN7rocprim17ROCPRIM_400000_NS6detail17trampoline_kernelINS0_14default_configENS1_36segmented_radix_sort_config_selectorIhlEEZNS1_25segmented_radix_sort_implIS3_Lb1EPKhPhPKlPlN2at6native12_GLOBAL__N_18offset_tEEE10hipError_tPvRmT1_PNSt15iterator_traitsISK_E10value_typeET2_T3_PNSL_ISQ_E10value_typeET4_jRbjT5_SW_jjP12ihipStream_tbEUlT_E_NS1_11comp_targetILNS1_3genE8ELNS1_11target_archE1030ELNS1_3gpuE2ELNS1_3repE0EEENS1_30default_config_static_selectorELNS0_4arch9wavefront6targetE0EEEvSK_.has_indirect_call, 0
	.section	.AMDGPU.csdata,"",@progbits
; Kernel info:
; codeLenInByte = 0
; TotalNumSgprs: 0
; NumVgprs: 0
; ScratchSize: 0
; MemoryBound: 0
; FloatMode: 240
; IeeeMode: 1
; LDSByteSize: 0 bytes/workgroup (compile time only)
; SGPRBlocks: 0
; VGPRBlocks: 0
; NumSGPRsForWavesPerEU: 1
; NumVGPRsForWavesPerEU: 1
; NamedBarCnt: 0
; Occupancy: 16
; WaveLimiterHint : 0
; COMPUTE_PGM_RSRC2:SCRATCH_EN: 0
; COMPUTE_PGM_RSRC2:USER_SGPR: 2
; COMPUTE_PGM_RSRC2:TRAP_HANDLER: 0
; COMPUTE_PGM_RSRC2:TGID_X_EN: 1
; COMPUTE_PGM_RSRC2:TGID_Y_EN: 0
; COMPUTE_PGM_RSRC2:TGID_Z_EN: 0
; COMPUTE_PGM_RSRC2:TIDIG_COMP_CNT: 0
	.text
	.p2align	2                               ; -- Begin function _ZN7rocprim17ROCPRIM_400000_NS6detail26segmented_warp_sort_helperINS1_20WarpSortHelperConfigILj32ELj4ELj256EEEhlLi256ELb1EvE4sortIPKhPhPKlPlEEvT_T0_T1_T2_jjjjRNS5_12storage_typeE
	.type	_ZN7rocprim17ROCPRIM_400000_NS6detail26segmented_warp_sort_helperINS1_20WarpSortHelperConfigILj32ELj4ELj256EEEhlLi256ELb1EvE4sortIPKhPhPKlPlEEvT_T0_T1_T2_jjjjRNS5_12storage_typeE,@function
_ZN7rocprim17ROCPRIM_400000_NS6detail26segmented_warp_sort_helperINS1_20WarpSortHelperConfigILj32ELj4ELj256EEEhlLi256ELb1EvE4sortIPKhPhPKlPlEEvT_T0_T1_T2_jjjjRNS5_12storage_typeE: ; @_ZN7rocprim17ROCPRIM_400000_NS6detail26segmented_warp_sort_helperINS1_20WarpSortHelperConfigILj32ELj4ELj256EEEhlLi256ELb1EvE4sortIPKhPhPKlPlEEvT_T0_T1_T2_jjjjRNS5_12storage_typeE
; %bb.0:
	s_wait_loadcnt_dscnt 0x0
	s_wait_kmcnt 0x0
	v_dual_mov_b32 v14, v9 :: v_dual_mov_b32 v9, 0
	v_mbcnt_lo_u32_b32 v15, -1, 0
	s_delay_alu instid0(VALU_DEP_2) | instskip(SKIP_1) | instid1(VALU_DEP_3)
	v_dual_sub_nc_u32 v16, v14, v8 :: v_dual_mov_b32 v32, v9
	v_add_nc_u64_e32 v[18:19], v[0:1], v[8:9]
	v_dual_mov_b32 v1, v9 :: v_dual_lshlrev_b32 v0, 2, v15
	s_delay_alu instid0(VALU_DEP_1) | instskip(NEXT) | instid1(VALU_DEP_2)
	v_cmp_lt_u32_e32 vcc_lo, v0, v16
	v_add_nc_u64_e32 v[14:15], v[18:19], v[0:1]
	s_and_saveexec_b32 s0, vcc_lo
	s_cbranch_execz .LBB93_2
; %bb.1:
	flat_load_u8 v32, v[14:15]
.LBB93_2:
	s_wait_xcnt 0x0
	s_or_b32 exec_lo, exec_lo, s0
	v_or_b32_e32 v17, 1, v0
	s_delay_alu instid0(VALU_DEP_1)
	v_cmp_lt_u32_e64 s0, v17, v16
	s_and_saveexec_b32 s1, s0
	s_cbranch_execz .LBB93_4
; %bb.3:
	flat_load_u8 v17, v[14:15] offset:1
	s_wait_loadcnt_dscnt 0x0
	v_lshlrev_b16 v17, 8, v17
	s_delay_alu instid0(VALU_DEP_1) | instskip(NEXT) | instid1(VALU_DEP_1)
	v_or_b32_e32 v17, v32, v17
	v_and_b32_e32 v32, 0xffff, v17
.LBB93_4:
	s_wait_xcnt 0x0
	s_or_b32 exec_lo, exec_lo, s1
	v_or_b32_e32 v17, 2, v0
	s_delay_alu instid0(VALU_DEP_1)
	v_cmp_lt_u32_e64 s1, v17, v16
	s_and_saveexec_b32 s2, s1
	s_cbranch_execz .LBB93_6
; %bb.5:
	flat_load_u8 v17, v[14:15] offset:2
	s_wait_loadcnt_dscnt 0x0
	v_lshl_or_b32 v32, v17, 16, v32
.LBB93_6:
	s_wait_xcnt 0x0
	s_or_b32 exec_lo, exec_lo, s2
	v_or_b32_e32 v17, 3, v0
	s_delay_alu instid0(VALU_DEP_1)
	v_cmp_lt_u32_e64 s2, v17, v16
	s_and_saveexec_b32 s3, s2
	s_cbranch_execz .LBB93_8
; %bb.7:
	flat_load_u8 v14, v[14:15] offset:3
	s_wait_loadcnt_dscnt 0x101
	s_wait_xcnt 0x0
	v_lshrrev_b32_e32 v15, 16, v32
	s_wait_loadcnt_dscnt 0x0
	v_lshlrev_b16 v14, 8, v14
	s_delay_alu instid0(VALU_DEP_1) | instskip(NEXT) | instid1(VALU_DEP_1)
	v_or_b32_e32 v14, v15, v14
	v_lshlrev_b32_e32 v14, 16, v14
	s_delay_alu instid0(VALU_DEP_1)
	v_and_or_b32 v32, 0xffff, v32, v14
.LBB93_8:
	s_or_b32 exec_lo, exec_lo, s3
	v_lshl_add_u64 v[14:15], v[8:9], 3, v[4:5]
	v_dual_mov_b32 v5, 0 :: v_dual_lshlrev_b32 v4, 3, v0
	; wave barrier
	s_delay_alu instid0(VALU_DEP_1)
	v_add_nc_u64_e32 v[22:23], v[14:15], v[4:5]
                                        ; implicit-def: $vgpr14_vgpr15
	s_and_saveexec_b32 s3, vcc_lo
	s_cbranch_execnz .LBB93_147
; %bb.9:
	s_or_b32 exec_lo, exec_lo, s3
                                        ; implicit-def: $vgpr16_vgpr17
	s_and_saveexec_b32 s3, s0
	s_cbranch_execnz .LBB93_148
.LBB93_10:
	s_or_b32 exec_lo, exec_lo, s3
                                        ; implicit-def: $vgpr20_vgpr21
	s_and_saveexec_b32 s3, s1
	s_cbranch_execnz .LBB93_149
.LBB93_11:
	s_or_b32 exec_lo, exec_lo, s3
                                        ; implicit-def: $vgpr18_vgpr19
	s_and_saveexec_b32 s3, s2
	s_cbranch_execz .LBB93_13
.LBB93_12:
	flat_load_b64 v[18:19], v[22:23] offset:24
.LBB93_13:
	s_wait_xcnt 0x0
	s_or_b32 exec_lo, exec_lo, s3
	v_cmp_ne_u32_e64 s3, 0, v10
	v_cmp_ne_u32_e64 s4, 8, v11
	v_bfe_u32 v22, v31, 10, 10
	v_bfe_u32 v23, v31, 20, 10
	v_and_b32_e32 v5, 0x3ff, v31
	s_mov_b32 s5, 0
	s_or_b32 s3, s3, s4
	s_getreg_b32 s11, hwreg(HW_REG_IB_STS2, 6, 4)
	; wave barrier
	s_and_saveexec_b32 s4, s3
	s_delay_alu instid0(SALU_CYCLE_1)
	s_xor_b32 s12, exec_lo, s4
	s_cbranch_execz .LBB93_75
; %bb.14:
	s_load_b64 s[6:7], s[8:9], 0x0
	s_bfe_u32 s4, ttmp6, 0x4000c
	s_bfe_u32 s13, ttmp6, 0x40010
	s_and_b32 s10, ttmp7, 0xffff
	s_add_co_i32 s4, s4, 1
	s_add_co_i32 s13, s13, 1
	s_and_b32 s3, ttmp6, 15
	s_bfe_u32 s14, ttmp6, 0x40004
	s_mul_i32 s4, ttmp9, s4
	s_mul_i32 s13, s10, s13
	s_add_co_i32 s3, s3, s4
	s_add_co_i32 s14, s14, s13
	s_cmp_eq_u32 s11, 0
	v_lshlrev_b32_e64 v11, v11, -1
	s_cselect_b32 s3, ttmp9, s3
	s_cselect_b32 s10, s10, s14
	v_lshlrev_b32_e64 v10, v10, -1
	s_wait_kmcnt 0x0
	s_cmp_lt_u32 s3, s6
	s_cselect_b32 s4, 12, 18
	s_cmp_lt_u32 s10, s7
	s_mov_b32 s7, s5
	s_cselect_b32 s6, 14, 20
	s_add_nc_u64 s[4:5], s[8:9], s[4:5]
	s_add_nc_u64 s[6:7], s[8:9], s[6:7]
	s_clause 0x1
	s_load_u16 s4, s[4:5], 0x0
	s_nop 0
	s_load_u16 s3, s[6:7], 0x0
	s_wait_xcnt 0x0
	s_mov_b32 s6, exec_lo
	s_wait_kmcnt 0x0
	v_mad_u32_u24 v22, v23, s3, v22
	s_delay_alu instid0(VALU_DEP_1) | instskip(NEXT) | instid1(VALU_DEP_1)
	v_mul_lo_u32 v22, v22, s4
	v_add_lshl_u32 v24, v22, v5, 2
	v_xor_b32_e32 v5, v11, v10
	s_delay_alu instid0(VALU_DEP_2)
	v_cmpx_gt_u32_e32 0x400, v24
	s_cbranch_execz .LBB93_24
; %bb.15:
	s_wait_loadcnt_dscnt 0x0
	v_perm_b32 v22, v32, v32, 0x7060405
	v_lshrrev_b32_e32 v10, 8, v32
	v_bitop3_b16 v11, v32, 0xff, v5 bitop3:0x80
	s_delay_alu instid0(VALU_DEP_2) | instskip(NEXT) | instid1(VALU_DEP_1)
	v_bitop3_b16 v10, v10, 0xff, v5 bitop3:0x80
	v_cmp_gt_u16_e64 s3, v10, v11
	v_mov_b64_e32 v[10:11], v[20:21]
	s_delay_alu instid0(VALU_DEP_2) | instskip(NEXT) | instid1(VALU_DEP_1)
	v_cndmask_b32_e64 v25, v32, v22, s3
	v_dual_lshrrev_b32 v22, 24, v25 :: v_dual_lshrrev_b32 v26, 16, v25
	v_lshrrev_b32_e32 v27, 8, v25
	s_delay_alu instid0(VALU_DEP_2) | instskip(NEXT) | instid1(VALU_DEP_3)
	v_and_b32_e32 v23, v22, v5
	v_bitop3_b16 v28, v26, 0xff, v5 bitop3:0x80
	v_and_b32_e32 v29, v26, v5
	s_delay_alu instid0(VALU_DEP_2)
	v_cmp_gt_u16_e64 s4, v23, v28
	v_mov_b32_e32 v28, v22
	s_and_saveexec_b32 s5, s4
; %bb.16:
	v_mov_b64_e32 v[10:11], v[18:19]
	v_mov_b64_e32 v[18:19], v[20:21]
	v_dual_mov_b32 v28, v26 :: v_dual_mov_b32 v26, v22
	v_mov_b32_e32 v29, v23
; %bb.17:
	s_or_b32 exec_lo, exec_lo, s5
	v_dual_cndmask_b32 v23, v17, v15, s3 :: v_dual_cndmask_b32 v22, v16, v14, s3
	v_bitop3_b16 v20, v27, 0xff, v5 bitop3:0x80
	s_delay_alu instid0(VALU_DEP_3) | instskip(SKIP_1) | instid1(VALU_DEP_2)
	v_and_b32_e32 v21, 0xff, v29
	v_and_b32_e32 v29, v27, v5
	v_cmp_gt_u16_e64 s4, v21, v20
	v_mov_b64_e32 v[20:21], v[22:23]
	s_and_saveexec_b32 s5, s4
	s_delay_alu instid0(SALU_CYCLE_1)
	s_xor_b32 s4, exec_lo, s5
; %bb.18:
	v_dual_mov_b32 v30, v27 :: v_dual_bitop2_b32 v29, v26, v5 bitop3:0x40
	v_mov_b64_e32 v[20:21], v[10:11]
	v_mov_b64_e32 v[10:11], v[22:23]
	s_delay_alu instid0(VALU_DEP_3)
	v_dual_mov_b32 v27, v26 :: v_dual_mov_b32 v26, v30
; %bb.19:
	s_or_b32 exec_lo, exec_lo, s4
	s_delay_alu instid0(VALU_DEP_1) | instskip(NEXT) | instid1(VALU_DEP_2)
	v_perm_b32 v22, v26, v28, 0xc0c0004
	v_perm_b32 v23, v27, v25, 0xc0c0004
	;; [unrolled: 1-line block ×3, first 2 shown]
	v_bitop3_b16 v25, v25, 0xff, v5 bitop3:0x80
	v_and_b32_e32 v27, 0xff, v29
	v_lshlrev_b32_e32 v22, 16, v22
	s_delay_alu instid0(VALU_DEP_2) | instskip(NEXT) | instid1(VALU_DEP_2)
	v_cmp_gt_u16_e64 s4, v27, v25
	v_or_b32_e32 v23, v23, v22
	v_or_b32_e32 v22, v26, v22
	s_delay_alu instid0(VALU_DEP_1) | instskip(NEXT) | instid1(VALU_DEP_1)
	v_cndmask_b32_e64 v32, v22, v23, s4
	v_lshrrev_b32_e32 v27, 24, v32
	s_delay_alu instid0(VALU_DEP_1) | instskip(NEXT) | instid1(VALU_DEP_1)
	v_dual_lshrrev_b32 v25, 16, v32 :: v_dual_bitop2_b32 v28, v27, v5 bitop3:0x40
	v_bitop3_b16 v22, v25, 0xff, v5 bitop3:0x80
	v_and_b32_e32 v26, v25, v5
	s_delay_alu instid0(VALU_DEP_2)
	v_cmp_gt_u16_e64 s5, v28, v22
	v_mov_b64_e32 v[22:23], v[10:11]
	s_and_saveexec_b32 s7, s5
; %bb.20:
	v_mov_b64_e32 v[22:23], v[18:19]
	v_mov_b64_e32 v[18:19], v[10:11]
	v_perm_b32 v32, v32, v32, 0x6070504
	v_dual_mov_b32 v26, v28 :: v_dual_mov_b32 v25, v27
; %bb.21:
	s_or_b32 exec_lo, exec_lo, s7
	s_delay_alu instid0(VALU_DEP_2) | instskip(SKIP_1) | instid1(VALU_DEP_3)
	v_dual_lshrrev_b32 v10, 8, v32 :: v_dual_cndmask_b32 v11, v15, v17, s3
	v_cndmask_b32_e64 v16, v14, v16, s3
	v_and_b32_e32 v26, 0xff, v26
	s_delay_alu instid0(VALU_DEP_3) | instskip(NEXT) | instid1(VALU_DEP_3)
	v_bitop3_b16 v10, v10, 0xff, v5 bitop3:0x80
	v_dual_cndmask_b32 v15, v11, v21, s4 :: v_dual_cndmask_b32 v14, v16, v20, s4
	v_dual_cndmask_b32 v17, v21, v11, s4 :: v_dual_cndmask_b32 v16, v20, v16, s4
	v_mov_b64_e32 v[20:21], v[22:23]
	s_mov_b32 s4, exec_lo
	v_cmpx_gt_u16_e64 v26, v10
; %bb.22:
	s_delay_alu instid0(VALU_DEP_3)
	v_mov_b64_e32 v[20:21], v[16:17]
	v_mov_b64_e32 v[16:17], v[22:23]
	v_perm_b32 v32, v32, v25, 0x7050004
; %bb.23:
	s_or_b32 exec_lo, exec_lo, s4
.LBB93_24:
	s_delay_alu instid0(SALU_CYCLE_1) | instskip(SKIP_3) | instid1(VALU_DEP_2)
	s_or_b32 exec_lo, exec_lo, s6
	v_and_b32_e32 v26, 0xffffff80, v24
	v_dual_mov_b32 v27, 0 :: v_dual_bitop2_b32 v10, 4, v0 bitop3:0x54
	s_mov_b32 s4, exec_lo
	v_sub_nc_u32_e64 v33, 0x400, v26 clamp
	s_delay_alu instid0(VALU_DEP_2) | instskip(NEXT) | instid1(VALU_DEP_2)
	v_add_nc_u64_e32 v[12:13], v[12:13], v[26:27]
	v_min_u32_e32 v24, v33, v10
	s_delay_alu instid0(VALU_DEP_2) | instskip(SKIP_1) | instid1(VALU_DEP_3)
	v_mad_nc_u64_u32 v[10:11], v26, 7, v[12:13]
	v_dual_mov_b32 v26, v0 :: v_dual_bitop2_b32 v11, 4, v0 bitop3:0x40
	v_add_min_u32_e64 v36, v24, 4, v33
	s_delay_alu instid0(VALU_DEP_2) | instskip(SKIP_1) | instid1(VALU_DEP_4)
	v_add_nc_u64_e32 v[22:23], v[12:13], v[26:27]
	v_and_b32_e32 v26, 0x78, v0
	v_min_u32_e32 v37, v33, v11
	s_delay_alu instid0(VALU_DEP_4) | instskip(SKIP_1) | instid1(VALU_DEP_4)
	v_sub_nc_u32_e32 v23, v36, v24
	v_lshl_add_u32 v11, v0, 3, v10
	v_sub_nc_u32_e32 v25, v24, v26
	s_wait_loadcnt_dscnt 0x0
	ds_store_2addr_b64 v11, v[14:15], v[16:17] offset0:128 offset1:129
	ds_store_b64 v11, v[20:21] offset:1040
	ds_store_b32 v22, v32
	ds_store_b64 v11, v[18:19] offset:1048
	v_sub_nc_u32_e64 v38, v37, v23 clamp
	v_min_u32_e32 v23, v37, v25
	; wave barrier
	s_delay_alu instid0(VALU_DEP_1)
	v_cmpx_lt_u32_e64 v38, v23
	s_cbranch_execz .LBB93_28
; %bb.25:
	v_mov_b32_e32 v25, v27
	v_add_nc_u64_e32 v[28:29], v[12:13], v[26:27]
	s_mov_b32 s5, 0
	s_delay_alu instid0(VALU_DEP_2)
	v_add_nc_u64_e32 v[30:31], v[12:13], v[24:25]
.LBB93_26:                              ; =>This Inner Loop Header: Depth=1
	v_add_nc_u32_e32 v25, v23, v38
	s_delay_alu instid0(VALU_DEP_1) | instskip(NEXT) | instid1(VALU_DEP_1)
	v_lshrrev_b32_e32 v25, 1, v25
	v_not_b32_e32 v27, v25
	v_dual_add_nc_u32 v29, v28, v25 :: v_dual_add_nc_u32 v31, 1, v25
	s_delay_alu instid0(VALU_DEP_2)
	v_add3_u32 v27, v37, v27, v30
	ds_load_u8 v29, v29
	ds_load_u8 v27, v27
	s_wait_dscnt 0x1
	v_bitop3_b16 v29, v29, 0xff, v5 bitop3:0x80
	s_wait_dscnt 0x0
	v_bitop3_b16 v27, v27, 0xff, v5 bitop3:0x80
	s_delay_alu instid0(VALU_DEP_1) | instskip(NEXT) | instid1(VALU_DEP_1)
	v_cmp_gt_u16_e64 s3, v27, v29
	v_cndmask_b32_e64 v38, v31, v38, s3
	v_cndmask_b32_e64 v23, v23, v25, s3
	s_delay_alu instid0(VALU_DEP_1) | instskip(SKIP_1) | instid1(SALU_CYCLE_1)
	v_cmp_ge_u32_e64 s3, v38, v23
	s_or_b32 s5, s3, s5
	s_and_not1_b32 exec_lo, exec_lo, s5
	s_cbranch_execnz .LBB93_26
; %bb.27:
	s_or_b32 exec_lo, exec_lo, s5
.LBB93_28:
	s_delay_alu instid0(SALU_CYCLE_1) | instskip(SKIP_3) | instid1(VALU_DEP_3)
	s_or_b32 exec_lo, exec_lo, s4
	v_dual_add_nc_u32 v25, v24, v37 :: v_dual_add_nc_u32 v26, v38, v26
	v_add_nc_u32_e32 v35, 0x400, v11
	v_dual_mov_b32 v39, v32 :: v_dual_add_nc_u32 v34, 0x408, v11
	v_dual_sub_nc_u32 v25, v25, v38 :: v_dual_lshrrev_b32 v50, 16, v32
	s_delay_alu instid0(VALU_DEP_4) | instskip(SKIP_2) | instid1(VALU_DEP_4)
	v_cmp_le_u32_e64 s3, v26, v24
	v_add_nc_u32_e32 v23, 0x410, v11
	v_add_nc_u32_e32 v11, 0x418, v11
	v_cmp_le_u32_e64 s4, v25, v36
	v_dual_lshrrev_b32 v48, 8, v32 :: v_dual_lshrrev_b32 v49, 24, v32
	s_or_b32 s3, s3, s4
	s_delay_alu instid0(SALU_CYCLE_1)
	s_and_saveexec_b32 s13, s3
	s_cbranch_execz .LBB93_34
; %bb.29:
	v_cmp_lt_u32_e64 s3, v26, v24
                                        ; implicit-def: $vgpr14
	s_and_saveexec_b32 s4, s3
; %bb.30:
	v_add_nc_u32_e32 v14, v12, v26
	ds_load_u8 v14, v14
; %bb.31:
	s_or_b32 exec_lo, exec_lo, s4
	v_cmp_ge_u32_e64 s4, v25, v36
	s_mov_b32 s6, exec_lo
                                        ; implicit-def: $vgpr15
	v_cmpx_lt_u32_e64 v25, v36
; %bb.32:
	v_add_nc_u32_e32 v15, v12, v25
	ds_load_u8 v15, v15
; %bb.33:
	s_or_b32 exec_lo, exec_lo, s6
	s_wait_dscnt 0x0
	v_bitop3_b16 v16, v15, 0xff, v5 bitop3:0x80
	v_bitop3_b16 v17, v14, 0xff, v5 bitop3:0x80
	s_delay_alu instid0(VALU_DEP_1) | instskip(SKIP_1) | instid1(SALU_CYCLE_1)
	v_cmp_le_u16_e64 s5, v16, v17
	s_and_b32 s3, s3, s5
	s_or_b32 s3, s4, s3
	s_delay_alu instid0(SALU_CYCLE_1) | instskip(NEXT) | instid1(VALU_DEP_1)
	v_dual_cndmask_b32 v16, v25, v26, s3 :: v_dual_cndmask_b32 v17, v36, v24, s3
	v_add_nc_u32_e32 v18, 1, v16
	v_lshl_add_u32 v16, v16, 3, v10
	s_delay_alu instid0(VALU_DEP_2) | instskip(NEXT) | instid1(VALU_DEP_1)
	v_add_min_u32_e64 v17, v17, -1, v18
	v_dual_add_nc_u32 v17, v12, v17 :: v_dual_cndmask_b32 v20, v26, v18, s3
	v_cndmask_b32_e64 v18, v18, v25, s3
	ds_load_u8 v17, v17
	v_cmp_lt_u32_e64 s4, v20, v24
	v_cmp_ge_u32_e64 s6, v18, v36
	s_wait_dscnt 0x0
	v_dual_cndmask_b32 v19, v17, v15, s3 :: v_dual_cndmask_b32 v17, v14, v17, s3
	s_delay_alu instid0(VALU_DEP_1) | instskip(NEXT) | instid1(VALU_DEP_2)
	v_bitop3_b16 v21, v19, 0xff, v5 bitop3:0x80
	v_bitop3_b16 v26, v17, 0xff, v5 bitop3:0x80
	s_delay_alu instid0(VALU_DEP_1) | instskip(SKIP_1) | instid1(SALU_CYCLE_1)
	v_cmp_le_u16_e64 s5, v21, v26
	s_and_b32 s4, s4, s5
	s_or_b32 s4, s6, s4
	s_delay_alu instid0(SALU_CYCLE_1) | instskip(SKIP_1) | instid1(VALU_DEP_1)
	v_cndmask_b32_e64 v25, v36, v24, s4
	v_cndmask_b32_e64 v21, v18, v20, s4
	v_add_nc_u32_e32 v26, 1, v21
	s_delay_alu instid0(VALU_DEP_1) | instskip(SKIP_1) | instid1(VALU_DEP_2)
	v_add_min_u32_e64 v25, v25, -1, v26
	v_cndmask_b32_e64 v20, v20, v26, s4
	v_dual_add_nc_u32 v25, v12, v25 :: v_dual_cndmask_b32 v18, v26, v18, s4
	s_delay_alu instid0(VALU_DEP_2)
	v_cmp_lt_u32_e64 s5, v20, v24
	ds_load_u8 v25, v25
	v_cmp_ge_u32_e64 s7, v18, v36
	s_wait_dscnt 0x0
	v_cndmask_b32_e64 v27, v25, v19, s4
	v_cndmask_b32_e64 v25, v17, v25, s4
	s_delay_alu instid0(VALU_DEP_2) | instskip(NEXT) | instid1(VALU_DEP_2)
	v_bitop3_b16 v28, v27, 0xff, v5 bitop3:0x80
	v_bitop3_b16 v29, v25, 0xff, v5 bitop3:0x80
	s_delay_alu instid0(VALU_DEP_1) | instskip(SKIP_1) | instid1(SALU_CYCLE_1)
	v_cmp_le_u16_e64 s6, v28, v29
	s_and_b32 s5, s5, s6
	s_or_b32 s5, s7, s5
	s_delay_alu instid0(SALU_CYCLE_1) | instskip(SKIP_1) | instid1(VALU_DEP_2)
	v_cndmask_b32_e64 v26, v18, v20, s5
	v_dual_cndmask_b32 v28, v36, v24, s5 :: v_dual_cndmask_b32 v50, v27, v25, s5
	v_add_nc_u32_e32 v29, 1, v26
	s_delay_alu instid0(VALU_DEP_1) | instskip(NEXT) | instid1(VALU_DEP_1)
	v_add_min_u32_e64 v28, v28, -1, v29
	v_add_nc_u32_e32 v28, v12, v28
	ds_load_u8 v28, v28
	s_wait_dscnt 0x0
	v_dual_cndmask_b32 v30, v28, v27, s5 :: v_dual_cndmask_b32 v28, v25, v28, s5
	v_dual_cndmask_b32 v20, v20, v29, s5 :: v_dual_cndmask_b32 v18, v29, v18, s5
	v_cndmask_b32_e64 v39, v15, v14, s3
	s_delay_alu instid0(VALU_DEP_3) | instskip(NEXT) | instid1(VALU_DEP_4)
	v_bitop3_b16 v31, v30, 0xff, v5 bitop3:0x80
	v_bitop3_b16 v32, v28, 0xff, v5 bitop3:0x80
	s_delay_alu instid0(VALU_DEP_4)
	v_cmp_lt_u32_e64 s6, v20, v24
	v_cmp_ge_u32_e64 s10, v18, v36
	ds_load_b64 v[14:15], v16 offset:1024
	v_lshl_add_u32 v16, v21, 3, v10
	v_cmp_le_u16_e64 s7, v31, v32
	s_and_b32 s3, s6, s7
	s_delay_alu instid0(SALU_CYCLE_1) | instskip(NEXT) | instid1(SALU_CYCLE_1)
	s_or_b32 s3, s10, s3
	v_dual_cndmask_b32 v48, v19, v17, s4 :: v_dual_cndmask_b32 v49, v30, v28, s3
	v_cndmask_b32_e64 v18, v18, v20, s3
	v_lshl_add_u32 v19, v26, 3, v10
	ds_load_b64 v[16:17], v16 offset:1024
	v_lshlrev_b16 v25, 8, v48
	v_lshlrev_b16 v24, 8, v49
	v_lshl_add_u32 v18, v18, 3, v10
	ds_load_b64 v[20:21], v19 offset:1024
	v_bitop3_b16 v25, v39, v25, 0xff bitop3:0xec
	v_bitop3_b16 v24, v50, v24, 0xff bitop3:0xec
	ds_load_b64 v[18:19], v18 offset:1024
	v_and_b32_e32 v25, 0xffff, v25
	v_lshlrev_b32_e32 v24, 16, v24
	s_delay_alu instid0(VALU_DEP_1)
	v_or_b32_e32 v32, v25, v24
.LBB93_34:
	s_or_b32 exec_lo, exec_lo, s13
	v_and_b32_e32 v26, 0x70, v0
	s_mov_b32 s4, exec_lo
	; wave barrier
	ds_store_b8 v22, v39
	s_wait_dscnt 0x4
	ds_store_b64 v35, v[14:15]
	v_or_b32_e32 v24, 8, v26
	ds_store_b8 v22, v48 offset:1
	s_wait_dscnt 0x5
	ds_store_b64 v34, v[16:17]
	ds_store_b8 v22, v50 offset:2
	s_wait_dscnt 0x6
	ds_store_b64 v23, v[20:21]
	;; [unrolled: 3-line block ×3, first 2 shown]
	; wave barrier
	v_min_u32_e32 v24, v33, v24
	s_delay_alu instid0(VALU_DEP_1) | instskip(SKIP_1) | instid1(VALU_DEP_2)
	v_dual_sub_nc_u32 v27, v24, v26 :: v_dual_bitop2_b32 v25, 12, v0 bitop3:0x40
	v_add_min_u32_e64 v51, v24, 8, v33
	v_min_u32_e32 v52, v33, v25
	s_delay_alu instid0(VALU_DEP_2) | instskip(NEXT) | instid1(VALU_DEP_2)
	v_sub_nc_u32_e32 v25, v51, v24
	v_min_u32_e32 v36, v52, v27
	s_delay_alu instid0(VALU_DEP_2) | instskip(NEXT) | instid1(VALU_DEP_1)
	v_sub_nc_u32_e64 v53, v52, v25 clamp
	v_cmpx_lt_u32_e64 v53, v36
	s_cbranch_execz .LBB93_38
; %bb.35:
	v_mov_b32_e32 v27, 0
	s_mov_b32 s5, 0
	s_delay_alu instid0(VALU_DEP_1) | instskip(SKIP_1) | instid1(VALU_DEP_2)
	v_mov_b32_e32 v25, v27
	v_add_nc_u64_e32 v[28:29], v[12:13], v[26:27]
	v_add_nc_u64_e32 v[30:31], v[12:13], v[24:25]
.LBB93_36:                              ; =>This Inner Loop Header: Depth=1
	v_add_nc_u32_e32 v25, v36, v53
	s_delay_alu instid0(VALU_DEP_1) | instskip(NEXT) | instid1(VALU_DEP_1)
	v_lshrrev_b32_e32 v25, 1, v25
	v_not_b32_e32 v27, v25
	v_dual_add_nc_u32 v29, v28, v25 :: v_dual_add_nc_u32 v31, 1, v25
	s_delay_alu instid0(VALU_DEP_2)
	v_add3_u32 v27, v52, v27, v30
	ds_load_u8 v29, v29
	ds_load_u8 v27, v27
	s_wait_dscnt 0x1
	v_bitop3_b16 v29, v29, 0xff, v5 bitop3:0x80
	s_wait_dscnt 0x0
	v_bitop3_b16 v27, v27, 0xff, v5 bitop3:0x80
	s_delay_alu instid0(VALU_DEP_1) | instskip(NEXT) | instid1(VALU_DEP_1)
	v_cmp_gt_u16_e64 s3, v27, v29
	v_cndmask_b32_e64 v36, v36, v25, s3
	v_cndmask_b32_e64 v53, v31, v53, s3
	s_delay_alu instid0(VALU_DEP_1) | instskip(SKIP_1) | instid1(SALU_CYCLE_1)
	v_cmp_ge_u32_e64 s3, v53, v36
	s_or_b32 s5, s3, s5
	s_and_not1_b32 exec_lo, exec_lo, s5
	s_cbranch_execnz .LBB93_36
; %bb.37:
	s_or_b32 exec_lo, exec_lo, s5
.LBB93_38:
	s_delay_alu instid0(SALU_CYCLE_1) | instskip(SKIP_3) | instid1(VALU_DEP_3)
	s_or_b32 exec_lo, exec_lo, s4
	v_dual_add_nc_u32 v36, 3, v22 :: v_dual_add_nc_u32 v25, v24, v52
	v_add_nc_u32_e32 v26, v53, v26
	v_dual_add_nc_u32 v38, 1, v22 :: v_dual_add_nc_u32 v37, 2, v22
	v_sub_nc_u32_e32 v25, v25, v53
	s_delay_alu instid0(VALU_DEP_3) | instskip(NEXT) | instid1(VALU_DEP_2)
	v_cmp_le_u32_e64 s3, v26, v24
	v_cmp_le_u32_e64 s4, v25, v51
	s_or_b32 s3, s3, s4
	s_delay_alu instid0(SALU_CYCLE_1)
	s_and_saveexec_b32 s13, s3
	s_cbranch_execz .LBB93_44
; %bb.39:
	v_cmp_lt_u32_e64 s3, v26, v24
                                        ; implicit-def: $vgpr14
	s_and_saveexec_b32 s4, s3
; %bb.40:
	v_add_nc_u32_e32 v14, v12, v26
	ds_load_u8 v14, v14
; %bb.41:
	s_or_b32 exec_lo, exec_lo, s4
	v_cmp_ge_u32_e64 s4, v25, v51
	s_mov_b32 s6, exec_lo
                                        ; implicit-def: $vgpr15
	v_cmpx_lt_u32_e64 v25, v51
; %bb.42:
	v_add_nc_u32_e32 v15, v12, v25
	ds_load_u8 v15, v15
; %bb.43:
	s_or_b32 exec_lo, exec_lo, s6
	s_wait_dscnt 0x0
	v_bitop3_b16 v16, v15, 0xff, v5 bitop3:0x80
	v_bitop3_b16 v17, v14, 0xff, v5 bitop3:0x80
	s_delay_alu instid0(VALU_DEP_1) | instskip(SKIP_1) | instid1(SALU_CYCLE_1)
	v_cmp_le_u16_e64 s5, v16, v17
	s_and_b32 s3, s3, s5
	s_or_b32 s3, s4, s3
	s_delay_alu instid0(SALU_CYCLE_1) | instskip(NEXT) | instid1(VALU_DEP_1)
	v_dual_cndmask_b32 v16, v25, v26, s3 :: v_dual_cndmask_b32 v17, v51, v24, s3
	v_add_nc_u32_e32 v18, 1, v16
	v_lshl_add_u32 v16, v16, 3, v10
	s_delay_alu instid0(VALU_DEP_2) | instskip(NEXT) | instid1(VALU_DEP_1)
	v_add_min_u32_e64 v17, v17, -1, v18
	v_dual_add_nc_u32 v17, v12, v17 :: v_dual_cndmask_b32 v20, v26, v18, s3
	v_cndmask_b32_e64 v18, v18, v25, s3
	ds_load_u8 v17, v17
	v_cmp_lt_u32_e64 s4, v20, v24
	v_cmp_ge_u32_e64 s6, v18, v51
	s_wait_dscnt 0x0
	v_dual_cndmask_b32 v19, v17, v15, s3 :: v_dual_cndmask_b32 v17, v14, v17, s3
	s_delay_alu instid0(VALU_DEP_1) | instskip(NEXT) | instid1(VALU_DEP_2)
	v_bitop3_b16 v21, v19, 0xff, v5 bitop3:0x80
	v_bitop3_b16 v26, v17, 0xff, v5 bitop3:0x80
	s_delay_alu instid0(VALU_DEP_1) | instskip(SKIP_1) | instid1(SALU_CYCLE_1)
	v_cmp_le_u16_e64 s5, v21, v26
	s_and_b32 s4, s4, s5
	s_or_b32 s4, s6, s4
	s_delay_alu instid0(SALU_CYCLE_1) | instskip(SKIP_1) | instid1(VALU_DEP_1)
	v_cndmask_b32_e64 v25, v51, v24, s4
	v_cndmask_b32_e64 v21, v18, v20, s4
	v_add_nc_u32_e32 v26, 1, v21
	s_delay_alu instid0(VALU_DEP_1) | instskip(SKIP_1) | instid1(VALU_DEP_2)
	v_add_min_u32_e64 v25, v25, -1, v26
	v_cndmask_b32_e64 v20, v20, v26, s4
	v_dual_add_nc_u32 v25, v12, v25 :: v_dual_cndmask_b32 v18, v26, v18, s4
	s_delay_alu instid0(VALU_DEP_2)
	v_cmp_lt_u32_e64 s5, v20, v24
	ds_load_u8 v25, v25
	v_cmp_ge_u32_e64 s7, v18, v51
	s_wait_dscnt 0x0
	v_cndmask_b32_e64 v27, v25, v19, s4
	v_cndmask_b32_e64 v25, v17, v25, s4
	s_delay_alu instid0(VALU_DEP_2) | instskip(NEXT) | instid1(VALU_DEP_2)
	v_bitop3_b16 v28, v27, 0xff, v5 bitop3:0x80
	v_bitop3_b16 v29, v25, 0xff, v5 bitop3:0x80
	s_delay_alu instid0(VALU_DEP_1) | instskip(SKIP_1) | instid1(SALU_CYCLE_1)
	v_cmp_le_u16_e64 s6, v28, v29
	s_and_b32 s5, s5, s6
	s_or_b32 s5, s7, s5
	s_delay_alu instid0(SALU_CYCLE_1) | instskip(SKIP_1) | instid1(VALU_DEP_2)
	v_cndmask_b32_e64 v26, v18, v20, s5
	v_cndmask_b32_e64 v28, v51, v24, s5
	v_dual_cndmask_b32 v50, v27, v25, s5 :: v_dual_add_nc_u32 v29, 1, v26
	s_delay_alu instid0(VALU_DEP_1) | instskip(NEXT) | instid1(VALU_DEP_1)
	v_add_min_u32_e64 v28, v28, -1, v29
	v_add_nc_u32_e32 v28, v12, v28
	ds_load_u8 v28, v28
	s_wait_dscnt 0x0
	v_dual_cndmask_b32 v30, v28, v27, s5 :: v_dual_cndmask_b32 v28, v25, v28, s5
	v_dual_cndmask_b32 v20, v20, v29, s5 :: v_dual_cndmask_b32 v18, v29, v18, s5
	v_cndmask_b32_e64 v39, v15, v14, s3
	s_delay_alu instid0(VALU_DEP_3) | instskip(NEXT) | instid1(VALU_DEP_4)
	v_bitop3_b16 v31, v30, 0xff, v5 bitop3:0x80
	v_bitop3_b16 v32, v28, 0xff, v5 bitop3:0x80
	s_delay_alu instid0(VALU_DEP_4)
	v_cmp_lt_u32_e64 s6, v20, v24
	v_cmp_ge_u32_e64 s10, v18, v51
	ds_load_b64 v[14:15], v16 offset:1024
	v_lshl_add_u32 v16, v21, 3, v10
	v_cmp_le_u16_e64 s7, v31, v32
	s_and_b32 s3, s6, s7
	s_delay_alu instid0(SALU_CYCLE_1) | instskip(NEXT) | instid1(SALU_CYCLE_1)
	s_or_b32 s3, s10, s3
	v_dual_cndmask_b32 v48, v19, v17, s4 :: v_dual_cndmask_b32 v49, v30, v28, s3
	v_cndmask_b32_e64 v18, v18, v20, s3
	v_lshl_add_u32 v19, v26, 3, v10
	ds_load_b64 v[16:17], v16 offset:1024
	v_lshlrev_b16 v25, 8, v48
	v_lshlrev_b16 v24, 8, v49
	v_lshl_add_u32 v18, v18, 3, v10
	ds_load_b64 v[20:21], v19 offset:1024
	v_bitop3_b16 v25, v39, v25, 0xff bitop3:0xec
	v_bitop3_b16 v24, v50, v24, 0xff bitop3:0xec
	ds_load_b64 v[18:19], v18 offset:1024
	v_and_b32_e32 v25, 0xffff, v25
	v_lshlrev_b32_e32 v24, 16, v24
	s_delay_alu instid0(VALU_DEP_1)
	v_or_b32_e32 v32, v25, v24
.LBB93_44:
	s_or_b32 exec_lo, exec_lo, s13
	v_and_b32_e32 v26, 0x60, v0
	s_mov_b32 s4, exec_lo
	; wave barrier
	ds_store_b8 v22, v39
	s_wait_dscnt 0x4
	ds_store_b64 v35, v[14:15]
	v_or_b32_e32 v24, 16, v26
	ds_store_b8 v38, v48
	s_wait_dscnt 0x5
	ds_store_b64 v34, v[16:17]
	ds_store_b8 v37, v50
	s_wait_dscnt 0x6
	ds_store_b64 v23, v[20:21]
	;; [unrolled: 3-line block ×3, first 2 shown]
	; wave barrier
	v_min_u32_e32 v24, v33, v24
	s_delay_alu instid0(VALU_DEP_1) | instskip(SKIP_1) | instid1(VALU_DEP_2)
	v_dual_sub_nc_u32 v27, v24, v26 :: v_dual_bitop2_b32 v25, 28, v0 bitop3:0x40
	v_add_min_u32_e64 v51, v24, 16, v33
	v_min_u32_e32 v52, v33, v25
	s_delay_alu instid0(VALU_DEP_2) | instskip(NEXT) | instid1(VALU_DEP_2)
	v_sub_nc_u32_e32 v25, v51, v24
	v_min_u32_e32 v54, v52, v27
	s_delay_alu instid0(VALU_DEP_2) | instskip(NEXT) | instid1(VALU_DEP_1)
	v_sub_nc_u32_e64 v53, v52, v25 clamp
	v_cmpx_lt_u32_e64 v53, v54
	s_cbranch_execz .LBB93_48
; %bb.45:
	v_mov_b32_e32 v27, 0
	s_mov_b32 s5, 0
	s_delay_alu instid0(VALU_DEP_1) | instskip(SKIP_1) | instid1(VALU_DEP_2)
	v_mov_b32_e32 v25, v27
	v_add_nc_u64_e32 v[28:29], v[12:13], v[26:27]
	v_add_nc_u64_e32 v[30:31], v[12:13], v[24:25]
.LBB93_46:                              ; =>This Inner Loop Header: Depth=1
	v_add_nc_u32_e32 v25, v54, v53
	s_delay_alu instid0(VALU_DEP_1) | instskip(NEXT) | instid1(VALU_DEP_1)
	v_lshrrev_b32_e32 v25, 1, v25
	v_not_b32_e32 v27, v25
	v_dual_add_nc_u32 v29, v28, v25 :: v_dual_add_nc_u32 v31, 1, v25
	s_delay_alu instid0(VALU_DEP_2)
	v_add3_u32 v27, v52, v27, v30
	ds_load_u8 v29, v29
	ds_load_u8 v27, v27
	s_wait_dscnt 0x1
	v_bitop3_b16 v29, v29, 0xff, v5 bitop3:0x80
	s_wait_dscnt 0x0
	v_bitop3_b16 v27, v27, 0xff, v5 bitop3:0x80
	s_delay_alu instid0(VALU_DEP_1) | instskip(NEXT) | instid1(VALU_DEP_1)
	v_cmp_gt_u16_e64 s3, v27, v29
	v_cndmask_b32_e64 v54, v54, v25, s3
	v_cndmask_b32_e64 v53, v31, v53, s3
	s_delay_alu instid0(VALU_DEP_1) | instskip(SKIP_1) | instid1(SALU_CYCLE_1)
	v_cmp_ge_u32_e64 s3, v53, v54
	s_or_b32 s5, s3, s5
	s_and_not1_b32 exec_lo, exec_lo, s5
	s_cbranch_execnz .LBB93_46
; %bb.47:
	s_or_b32 exec_lo, exec_lo, s5
.LBB93_48:
	s_delay_alu instid0(SALU_CYCLE_1) | instskip(SKIP_1) | instid1(VALU_DEP_1)
	s_or_b32 exec_lo, exec_lo, s4
	v_dual_add_nc_u32 v25, v24, v52 :: v_dual_add_nc_u32 v26, v53, v26
	v_sub_nc_u32_e32 v25, v25, v53
	s_delay_alu instid0(VALU_DEP_2) | instskip(NEXT) | instid1(VALU_DEP_2)
	v_cmp_le_u32_e64 s3, v26, v24
	v_cmp_le_u32_e64 s4, v25, v51
	s_or_b32 s3, s3, s4
	s_delay_alu instid0(SALU_CYCLE_1)
	s_and_saveexec_b32 s13, s3
	s_cbranch_execz .LBB93_54
; %bb.49:
	v_cmp_lt_u32_e64 s3, v26, v24
                                        ; implicit-def: $vgpr14
	s_and_saveexec_b32 s4, s3
; %bb.50:
	v_add_nc_u32_e32 v14, v12, v26
	ds_load_u8 v14, v14
; %bb.51:
	s_or_b32 exec_lo, exec_lo, s4
	v_cmp_ge_u32_e64 s4, v25, v51
	s_mov_b32 s6, exec_lo
                                        ; implicit-def: $vgpr15
	v_cmpx_lt_u32_e64 v25, v51
; %bb.52:
	v_add_nc_u32_e32 v15, v12, v25
	ds_load_u8 v15, v15
; %bb.53:
	s_or_b32 exec_lo, exec_lo, s6
	s_wait_dscnt 0x0
	v_bitop3_b16 v16, v15, 0xff, v5 bitop3:0x80
	v_bitop3_b16 v17, v14, 0xff, v5 bitop3:0x80
	s_delay_alu instid0(VALU_DEP_1) | instskip(SKIP_1) | instid1(SALU_CYCLE_1)
	v_cmp_le_u16_e64 s5, v16, v17
	s_and_b32 s3, s3, s5
	s_or_b32 s3, s4, s3
	s_delay_alu instid0(SALU_CYCLE_1) | instskip(NEXT) | instid1(VALU_DEP_1)
	v_dual_cndmask_b32 v16, v25, v26, s3 :: v_dual_cndmask_b32 v17, v51, v24, s3
	v_add_nc_u32_e32 v18, 1, v16
	v_lshl_add_u32 v16, v16, 3, v10
	s_delay_alu instid0(VALU_DEP_2) | instskip(NEXT) | instid1(VALU_DEP_1)
	v_add_min_u32_e64 v17, v17, -1, v18
	v_dual_add_nc_u32 v17, v12, v17 :: v_dual_cndmask_b32 v20, v26, v18, s3
	v_cndmask_b32_e64 v18, v18, v25, s3
	ds_load_u8 v17, v17
	v_cmp_lt_u32_e64 s4, v20, v24
	v_cmp_ge_u32_e64 s6, v18, v51
	s_wait_dscnt 0x0
	v_dual_cndmask_b32 v19, v17, v15, s3 :: v_dual_cndmask_b32 v17, v14, v17, s3
	s_delay_alu instid0(VALU_DEP_1) | instskip(NEXT) | instid1(VALU_DEP_2)
	v_bitop3_b16 v21, v19, 0xff, v5 bitop3:0x80
	v_bitop3_b16 v26, v17, 0xff, v5 bitop3:0x80
	s_delay_alu instid0(VALU_DEP_1) | instskip(SKIP_1) | instid1(SALU_CYCLE_1)
	v_cmp_le_u16_e64 s5, v21, v26
	s_and_b32 s4, s4, s5
	s_or_b32 s4, s6, s4
	s_delay_alu instid0(SALU_CYCLE_1) | instskip(SKIP_1) | instid1(VALU_DEP_1)
	v_cndmask_b32_e64 v25, v51, v24, s4
	v_cndmask_b32_e64 v21, v18, v20, s4
	v_add_nc_u32_e32 v26, 1, v21
	s_delay_alu instid0(VALU_DEP_1) | instskip(SKIP_1) | instid1(VALU_DEP_2)
	v_add_min_u32_e64 v25, v25, -1, v26
	v_cndmask_b32_e64 v20, v20, v26, s4
	v_dual_add_nc_u32 v25, v12, v25 :: v_dual_cndmask_b32 v18, v26, v18, s4
	s_delay_alu instid0(VALU_DEP_2)
	v_cmp_lt_u32_e64 s5, v20, v24
	ds_load_u8 v25, v25
	v_cmp_ge_u32_e64 s7, v18, v51
	s_wait_dscnt 0x0
	v_cndmask_b32_e64 v27, v25, v19, s4
	v_cndmask_b32_e64 v25, v17, v25, s4
	s_delay_alu instid0(VALU_DEP_2) | instskip(NEXT) | instid1(VALU_DEP_2)
	v_bitop3_b16 v28, v27, 0xff, v5 bitop3:0x80
	v_bitop3_b16 v29, v25, 0xff, v5 bitop3:0x80
	s_delay_alu instid0(VALU_DEP_1) | instskip(SKIP_1) | instid1(SALU_CYCLE_1)
	v_cmp_le_u16_e64 s6, v28, v29
	s_and_b32 s5, s5, s6
	s_or_b32 s5, s7, s5
	s_delay_alu instid0(SALU_CYCLE_1) | instskip(SKIP_1) | instid1(VALU_DEP_2)
	v_cndmask_b32_e64 v26, v18, v20, s5
	v_cndmask_b32_e64 v28, v51, v24, s5
	v_dual_cndmask_b32 v50, v27, v25, s5 :: v_dual_add_nc_u32 v29, 1, v26
	s_delay_alu instid0(VALU_DEP_1) | instskip(NEXT) | instid1(VALU_DEP_1)
	v_add_min_u32_e64 v28, v28, -1, v29
	v_add_nc_u32_e32 v28, v12, v28
	ds_load_u8 v28, v28
	s_wait_dscnt 0x0
	v_dual_cndmask_b32 v30, v28, v27, s5 :: v_dual_cndmask_b32 v28, v25, v28, s5
	v_dual_cndmask_b32 v20, v20, v29, s5 :: v_dual_cndmask_b32 v18, v29, v18, s5
	v_cndmask_b32_e64 v39, v15, v14, s3
	s_delay_alu instid0(VALU_DEP_3) | instskip(NEXT) | instid1(VALU_DEP_4)
	v_bitop3_b16 v31, v30, 0xff, v5 bitop3:0x80
	v_bitop3_b16 v32, v28, 0xff, v5 bitop3:0x80
	s_delay_alu instid0(VALU_DEP_4)
	v_cmp_lt_u32_e64 s6, v20, v24
	v_cmp_ge_u32_e64 s10, v18, v51
	ds_load_b64 v[14:15], v16 offset:1024
	v_lshl_add_u32 v16, v21, 3, v10
	v_cmp_le_u16_e64 s7, v31, v32
	s_and_b32 s3, s6, s7
	s_delay_alu instid0(SALU_CYCLE_1) | instskip(NEXT) | instid1(SALU_CYCLE_1)
	s_or_b32 s3, s10, s3
	v_dual_cndmask_b32 v48, v19, v17, s4 :: v_dual_cndmask_b32 v49, v30, v28, s3
	v_cndmask_b32_e64 v18, v18, v20, s3
	v_lshl_add_u32 v19, v26, 3, v10
	ds_load_b64 v[16:17], v16 offset:1024
	v_lshlrev_b16 v25, 8, v48
	v_lshlrev_b16 v24, 8, v49
	v_lshl_add_u32 v18, v18, 3, v10
	ds_load_b64 v[20:21], v19 offset:1024
	v_bitop3_b16 v25, v39, v25, 0xff bitop3:0xec
	v_bitop3_b16 v24, v50, v24, 0xff bitop3:0xec
	ds_load_b64 v[18:19], v18 offset:1024
	v_and_b32_e32 v25, 0xffff, v25
	v_lshlrev_b32_e32 v24, 16, v24
	s_delay_alu instid0(VALU_DEP_1)
	v_or_b32_e32 v32, v25, v24
.LBB93_54:
	s_or_b32 exec_lo, exec_lo, s13
	v_and_b32_e32 v26, 64, v0
	s_mov_b32 s4, exec_lo
	; wave barrier
	ds_store_b8 v22, v39
	s_wait_dscnt 0x4
	ds_store_b64 v35, v[14:15]
	v_or_b32_e32 v24, 32, v26
	ds_store_b8 v38, v48
	s_wait_dscnt 0x5
	ds_store_b64 v34, v[16:17]
	ds_store_b8 v37, v50
	s_wait_dscnt 0x6
	ds_store_b64 v23, v[20:21]
	;; [unrolled: 3-line block ×3, first 2 shown]
	; wave barrier
	v_min_u32_e32 v24, v33, v24
	s_delay_alu instid0(VALU_DEP_1) | instskip(SKIP_1) | instid1(VALU_DEP_2)
	v_dual_sub_nc_u32 v27, v24, v26 :: v_dual_bitop2_b32 v25, 60, v0 bitop3:0x40
	v_add_min_u32_e64 v51, v24, 32, v33
	v_min_u32_e32 v52, v33, v25
	s_delay_alu instid0(VALU_DEP_2) | instskip(NEXT) | instid1(VALU_DEP_2)
	v_sub_nc_u32_e32 v25, v51, v24
	v_min_u32_e32 v54, v52, v27
	s_delay_alu instid0(VALU_DEP_2) | instskip(NEXT) | instid1(VALU_DEP_1)
	v_sub_nc_u32_e64 v53, v52, v25 clamp
	v_cmpx_lt_u32_e64 v53, v54
	s_cbranch_execz .LBB93_58
; %bb.55:
	v_mov_b32_e32 v27, 0
	s_mov_b32 s5, 0
	s_delay_alu instid0(VALU_DEP_1) | instskip(SKIP_1) | instid1(VALU_DEP_2)
	v_mov_b32_e32 v25, v27
	v_add_nc_u64_e32 v[28:29], v[12:13], v[26:27]
	v_add_nc_u64_e32 v[30:31], v[12:13], v[24:25]
.LBB93_56:                              ; =>This Inner Loop Header: Depth=1
	v_add_nc_u32_e32 v25, v54, v53
	s_delay_alu instid0(VALU_DEP_1) | instskip(NEXT) | instid1(VALU_DEP_1)
	v_lshrrev_b32_e32 v25, 1, v25
	v_not_b32_e32 v27, v25
	v_dual_add_nc_u32 v29, v28, v25 :: v_dual_add_nc_u32 v31, 1, v25
	s_delay_alu instid0(VALU_DEP_2)
	v_add3_u32 v27, v52, v27, v30
	ds_load_u8 v29, v29
	ds_load_u8 v27, v27
	s_wait_dscnt 0x1
	v_bitop3_b16 v29, v29, 0xff, v5 bitop3:0x80
	s_wait_dscnt 0x0
	v_bitop3_b16 v27, v27, 0xff, v5 bitop3:0x80
	s_delay_alu instid0(VALU_DEP_1) | instskip(NEXT) | instid1(VALU_DEP_1)
	v_cmp_gt_u16_e64 s3, v27, v29
	v_cndmask_b32_e64 v54, v54, v25, s3
	v_cndmask_b32_e64 v53, v31, v53, s3
	s_delay_alu instid0(VALU_DEP_1) | instskip(SKIP_1) | instid1(SALU_CYCLE_1)
	v_cmp_ge_u32_e64 s3, v53, v54
	s_or_b32 s5, s3, s5
	s_and_not1_b32 exec_lo, exec_lo, s5
	s_cbranch_execnz .LBB93_56
; %bb.57:
	s_or_b32 exec_lo, exec_lo, s5
.LBB93_58:
	s_delay_alu instid0(SALU_CYCLE_1) | instskip(SKIP_1) | instid1(VALU_DEP_1)
	s_or_b32 exec_lo, exec_lo, s4
	v_dual_add_nc_u32 v25, v24, v52 :: v_dual_add_nc_u32 v26, v53, v26
	v_sub_nc_u32_e32 v25, v25, v53
	s_delay_alu instid0(VALU_DEP_2) | instskip(NEXT) | instid1(VALU_DEP_2)
	v_cmp_le_u32_e64 s3, v26, v24
	v_cmp_le_u32_e64 s4, v25, v51
	s_or_b32 s3, s3, s4
	s_delay_alu instid0(SALU_CYCLE_1)
	s_and_saveexec_b32 s13, s3
	s_cbranch_execz .LBB93_64
; %bb.59:
	v_cmp_lt_u32_e64 s3, v26, v24
                                        ; implicit-def: $vgpr14
	s_and_saveexec_b32 s4, s3
; %bb.60:
	v_add_nc_u32_e32 v14, v12, v26
	ds_load_u8 v14, v14
; %bb.61:
	s_or_b32 exec_lo, exec_lo, s4
	v_cmp_ge_u32_e64 s4, v25, v51
	s_mov_b32 s6, exec_lo
                                        ; implicit-def: $vgpr15
	v_cmpx_lt_u32_e64 v25, v51
; %bb.62:
	v_add_nc_u32_e32 v15, v12, v25
	ds_load_u8 v15, v15
; %bb.63:
	s_or_b32 exec_lo, exec_lo, s6
	s_wait_dscnt 0x0
	v_bitop3_b16 v16, v15, 0xff, v5 bitop3:0x80
	v_bitop3_b16 v17, v14, 0xff, v5 bitop3:0x80
	s_delay_alu instid0(VALU_DEP_1) | instskip(SKIP_1) | instid1(SALU_CYCLE_1)
	v_cmp_le_u16_e64 s5, v16, v17
	s_and_b32 s3, s3, s5
	s_or_b32 s3, s4, s3
	s_delay_alu instid0(SALU_CYCLE_1) | instskip(NEXT) | instid1(VALU_DEP_1)
	v_dual_cndmask_b32 v16, v25, v26, s3 :: v_dual_cndmask_b32 v17, v51, v24, s3
	v_add_nc_u32_e32 v18, 1, v16
	v_lshl_add_u32 v16, v16, 3, v10
	s_delay_alu instid0(VALU_DEP_2) | instskip(NEXT) | instid1(VALU_DEP_1)
	v_add_min_u32_e64 v17, v17, -1, v18
	v_dual_add_nc_u32 v17, v12, v17 :: v_dual_cndmask_b32 v20, v26, v18, s3
	v_cndmask_b32_e64 v18, v18, v25, s3
	ds_load_u8 v17, v17
	v_cmp_lt_u32_e64 s4, v20, v24
	v_cmp_ge_u32_e64 s6, v18, v51
	s_wait_dscnt 0x0
	v_dual_cndmask_b32 v19, v17, v15, s3 :: v_dual_cndmask_b32 v17, v14, v17, s3
	s_delay_alu instid0(VALU_DEP_1) | instskip(NEXT) | instid1(VALU_DEP_2)
	v_bitop3_b16 v21, v19, 0xff, v5 bitop3:0x80
	v_bitop3_b16 v26, v17, 0xff, v5 bitop3:0x80
	s_delay_alu instid0(VALU_DEP_1) | instskip(SKIP_1) | instid1(SALU_CYCLE_1)
	v_cmp_le_u16_e64 s5, v21, v26
	s_and_b32 s4, s4, s5
	s_or_b32 s4, s6, s4
	s_delay_alu instid0(SALU_CYCLE_1) | instskip(SKIP_1) | instid1(VALU_DEP_1)
	v_cndmask_b32_e64 v25, v51, v24, s4
	v_cndmask_b32_e64 v21, v18, v20, s4
	v_add_nc_u32_e32 v26, 1, v21
	s_delay_alu instid0(VALU_DEP_1) | instskip(SKIP_1) | instid1(VALU_DEP_2)
	v_add_min_u32_e64 v25, v25, -1, v26
	v_cndmask_b32_e64 v20, v20, v26, s4
	v_dual_add_nc_u32 v25, v12, v25 :: v_dual_cndmask_b32 v18, v26, v18, s4
	s_delay_alu instid0(VALU_DEP_2)
	v_cmp_lt_u32_e64 s5, v20, v24
	ds_load_u8 v25, v25
	v_cmp_ge_u32_e64 s7, v18, v51
	s_wait_dscnt 0x0
	v_cndmask_b32_e64 v27, v25, v19, s4
	v_cndmask_b32_e64 v25, v17, v25, s4
	s_delay_alu instid0(VALU_DEP_2) | instskip(NEXT) | instid1(VALU_DEP_2)
	v_bitop3_b16 v28, v27, 0xff, v5 bitop3:0x80
	v_bitop3_b16 v29, v25, 0xff, v5 bitop3:0x80
	s_delay_alu instid0(VALU_DEP_1) | instskip(SKIP_1) | instid1(SALU_CYCLE_1)
	v_cmp_le_u16_e64 s6, v28, v29
	s_and_b32 s5, s5, s6
	s_or_b32 s5, s7, s5
	s_delay_alu instid0(SALU_CYCLE_1) | instskip(SKIP_1) | instid1(VALU_DEP_2)
	v_cndmask_b32_e64 v26, v18, v20, s5
	v_cndmask_b32_e64 v28, v51, v24, s5
	v_dual_cndmask_b32 v50, v27, v25, s5 :: v_dual_add_nc_u32 v29, 1, v26
	s_delay_alu instid0(VALU_DEP_1) | instskip(NEXT) | instid1(VALU_DEP_1)
	v_add_min_u32_e64 v28, v28, -1, v29
	v_add_nc_u32_e32 v28, v12, v28
	ds_load_u8 v28, v28
	s_wait_dscnt 0x0
	v_dual_cndmask_b32 v30, v28, v27, s5 :: v_dual_cndmask_b32 v28, v25, v28, s5
	v_dual_cndmask_b32 v20, v20, v29, s5 :: v_dual_cndmask_b32 v18, v29, v18, s5
	v_cndmask_b32_e64 v39, v15, v14, s3
	s_delay_alu instid0(VALU_DEP_3) | instskip(NEXT) | instid1(VALU_DEP_4)
	v_bitop3_b16 v31, v30, 0xff, v5 bitop3:0x80
	v_bitop3_b16 v32, v28, 0xff, v5 bitop3:0x80
	s_delay_alu instid0(VALU_DEP_4)
	v_cmp_lt_u32_e64 s6, v20, v24
	v_cmp_ge_u32_e64 s10, v18, v51
	ds_load_b64 v[14:15], v16 offset:1024
	v_lshl_add_u32 v16, v21, 3, v10
	v_cmp_le_u16_e64 s7, v31, v32
	s_and_b32 s3, s6, s7
	s_delay_alu instid0(SALU_CYCLE_1) | instskip(NEXT) | instid1(SALU_CYCLE_1)
	s_or_b32 s3, s10, s3
	v_dual_cndmask_b32 v48, v19, v17, s4 :: v_dual_cndmask_b32 v49, v30, v28, s3
	v_cndmask_b32_e64 v18, v18, v20, s3
	v_lshl_add_u32 v19, v26, 3, v10
	ds_load_b64 v[16:17], v16 offset:1024
	v_lshlrev_b16 v25, 8, v48
	v_lshlrev_b16 v24, 8, v49
	v_lshl_add_u32 v18, v18, 3, v10
	ds_load_b64 v[20:21], v19 offset:1024
	v_bitop3_b16 v25, v39, v25, 0xff bitop3:0xec
	v_bitop3_b16 v24, v50, v24, 0xff bitop3:0xec
	ds_load_b64 v[18:19], v18 offset:1024
	v_and_b32_e32 v25, 0xffff, v25
	v_lshlrev_b32_e32 v24, 16, v24
	s_delay_alu instid0(VALU_DEP_1)
	v_or_b32_e32 v32, v25, v24
.LBB93_64:
	s_or_b32 exec_lo, exec_lo, s13
	v_min_u32_e32 v24, 64, v33
	v_min_u32_e32 v28, v33, v0
	s_mov_b32 s4, exec_lo
	; wave barrier
	s_delay_alu instid0(VALU_DEP_2) | instskip(NEXT) | instid1(VALU_DEP_2)
	v_add_min_u32_e64 v26, v24, 64, v33
	v_min_u32_e32 v29, v28, v24
	ds_store_b8 v22, v39
	s_wait_dscnt 0x4
	ds_store_b64 v35, v[14:15]
	ds_store_b8 v38, v48
	s_wait_dscnt 0x5
	ds_store_b64 v34, v[16:17]
	ds_store_b8 v37, v50
	s_wait_dscnt 0x6
	ds_store_b64 v23, v[20:21]
	ds_store_b8 v36, v49
	s_wait_dscnt 0x7
	ds_store_b64 v11, v[18:19]
	v_sub_nc_u32_e32 v25, v26, v24
	; wave barrier
	s_delay_alu instid0(VALU_DEP_1) | instskip(NEXT) | instid1(VALU_DEP_1)
	v_sub_nc_u32_e64 v27, v28, v25 clamp
	v_cmpx_lt_u32_e64 v27, v29
	s_cbranch_execz .LBB93_68
; %bb.65:
	v_mov_b32_e32 v25, 0
	s_mov_b32 s5, 0
	s_delay_alu instid0(VALU_DEP_1)
	v_add_nc_u64_e32 v[22:23], v[12:13], v[24:25]
.LBB93_66:                              ; =>This Inner Loop Header: Depth=1
	v_add_nc_u32_e32 v11, v29, v27
	s_delay_alu instid0(VALU_DEP_1) | instskip(NEXT) | instid1(VALU_DEP_1)
	v_lshrrev_b32_e32 v11, 1, v11
	v_not_b32_e32 v13, v11
	v_dual_add_nc_u32 v23, v12, v11 :: v_dual_add_nc_u32 v25, 1, v11
	s_delay_alu instid0(VALU_DEP_2)
	v_add3_u32 v13, v28, v13, v22
	ds_load_u8 v23, v23
	ds_load_u8 v13, v13
	s_wait_dscnt 0x1
	v_bitop3_b16 v23, v23, 0xff, v5 bitop3:0x80
	s_wait_dscnt 0x0
	v_bitop3_b16 v13, v13, 0xff, v5 bitop3:0x80
	s_delay_alu instid0(VALU_DEP_1) | instskip(NEXT) | instid1(VALU_DEP_1)
	v_cmp_gt_u16_e64 s3, v13, v23
	v_cndmask_b32_e64 v29, v29, v11, s3
	v_cndmask_b32_e64 v27, v25, v27, s3
	s_delay_alu instid0(VALU_DEP_1) | instskip(SKIP_1) | instid1(SALU_CYCLE_1)
	v_cmp_ge_u32_e64 s3, v27, v29
	s_or_b32 s5, s3, s5
	s_and_not1_b32 exec_lo, exec_lo, s5
	s_cbranch_execnz .LBB93_66
; %bb.67:
	s_or_b32 exec_lo, exec_lo, s5
.LBB93_68:
	s_delay_alu instid0(SALU_CYCLE_1) | instskip(SKIP_2) | instid1(VALU_DEP_2)
	s_or_b32 exec_lo, exec_lo, s4
	v_add_nc_u32_e32 v11, v24, v28
	v_cmp_le_u32_e64 s3, v27, v24
	v_sub_nc_u32_e32 v22, v11, v27
	s_delay_alu instid0(VALU_DEP_1) | instskip(SKIP_1) | instid1(SALU_CYCLE_1)
	v_cmp_le_u32_e64 s4, v22, v26
	s_or_b32 s3, s3, s4
	s_and_saveexec_b32 s13, s3
	s_cbranch_execz .LBB93_74
; %bb.69:
	v_cmp_lt_u32_e64 s3, v27, v24
                                        ; implicit-def: $vgpr11
	s_and_saveexec_b32 s4, s3
; %bb.70:
	v_add_nc_u32_e32 v11, v12, v27
	ds_load_u8 v11, v11
; %bb.71:
	s_or_b32 exec_lo, exec_lo, s4
	v_cmp_ge_u32_e64 s4, v22, v26
	s_mov_b32 s6, exec_lo
                                        ; implicit-def: $vgpr13
	v_cmpx_lt_u32_e64 v22, v26
; %bb.72:
	v_add_nc_u32_e32 v13, v12, v22
	ds_load_u8 v13, v13
; %bb.73:
	s_or_b32 exec_lo, exec_lo, s6
	s_wait_dscnt 0x0
	v_bitop3_b16 v14, v13, 0xff, v5 bitop3:0x80
	v_bitop3_b16 v15, v11, 0xff, v5 bitop3:0x80
	s_delay_alu instid0(VALU_DEP_1) | instskip(SKIP_1) | instid1(SALU_CYCLE_1)
	v_cmp_le_u16_e64 s5, v14, v15
	s_and_b32 s3, s3, s5
	s_or_b32 s3, s4, s3
	s_delay_alu instid0(SALU_CYCLE_1) | instskip(NEXT) | instid1(VALU_DEP_1)
	v_cndmask_b32_e64 v14, v22, v27, s3
	v_dual_cndmask_b32 v15, v26, v24, s3 :: v_dual_add_nc_u32 v16, 1, v14
	s_delay_alu instid0(VALU_DEP_1) | instskip(NEXT) | instid1(VALU_DEP_1)
	v_add_min_u32_e64 v15, v15, -1, v16
	v_add_nc_u32_e32 v15, v12, v15
	ds_load_u8 v15, v15
	s_wait_dscnt 0x0
	v_cndmask_b32_e64 v17, v15, v13, s3
	v_cndmask_b32_e64 v18, v11, v15, s3
	v_dual_cndmask_b32 v15, v27, v16, s3 :: v_dual_cndmask_b32 v16, v16, v22, s3
	v_lshl_add_u32 v14, v14, 3, v10
	s_delay_alu instid0(VALU_DEP_4) | instskip(NEXT) | instid1(VALU_DEP_4)
	v_bitop3_b16 v19, v17, 0xff, v5 bitop3:0x80
	v_bitop3_b16 v20, v18, 0xff, v5 bitop3:0x80
	s_delay_alu instid0(VALU_DEP_4) | instskip(SKIP_1) | instid1(VALU_DEP_3)
	v_cmp_lt_u32_e64 s4, v15, v24
	v_cmp_ge_u32_e64 s6, v16, v26
	v_cmp_le_u16_e64 s5, v19, v20
	s_and_b32 s4, s4, s5
	s_delay_alu instid0(SALU_CYCLE_1) | instskip(NEXT) | instid1(SALU_CYCLE_1)
	s_or_b32 s4, s6, s4
	v_dual_cndmask_b32 v19, v16, v15, s4 :: v_dual_cndmask_b32 v20, v26, v24, s4
	s_delay_alu instid0(VALU_DEP_1) | instskip(NEXT) | instid1(VALU_DEP_1)
	v_add_nc_u32_e32 v21, 1, v19
	v_add_min_u32_e64 v20, v20, -1, v21
	v_dual_cndmask_b32 v15, v15, v21, s4 :: v_dual_cndmask_b32 v16, v21, v16, s4
	s_delay_alu instid0(VALU_DEP_2) | instskip(NEXT) | instid1(VALU_DEP_2)
	v_add_nc_u32_e32 v20, v12, v20
	v_cmp_lt_u32_e64 s5, v15, v24
	s_delay_alu instid0(VALU_DEP_3) | instskip(SKIP_4) | instid1(VALU_DEP_2)
	v_cmp_ge_u32_e64 s7, v16, v26
	ds_load_u8 v20, v20
	s_wait_dscnt 0x0
	v_dual_cndmask_b32 v22, v20, v17, s4 :: v_dual_cndmask_b32 v20, v18, v20, s4
	v_cndmask_b32_e64 v18, v17, v18, s4
	v_bitop3_b16 v23, v22, 0xff, v5 bitop3:0x80
	s_delay_alu instid0(VALU_DEP_3) | instskip(NEXT) | instid1(VALU_DEP_1)
	v_bitop3_b16 v25, v20, 0xff, v5 bitop3:0x80
	v_cmp_le_u16_e64 s6, v23, v25
	s_and_b32 s5, s5, s6
	s_delay_alu instid0(SALU_CYCLE_1) | instskip(NEXT) | instid1(SALU_CYCLE_1)
	s_or_b32 s5, s7, s5
	v_dual_cndmask_b32 v21, v16, v15, s5 :: v_dual_cndmask_b32 v23, v26, v24, s5
	s_delay_alu instid0(VALU_DEP_1) | instskip(NEXT) | instid1(VALU_DEP_1)
	v_add_nc_u32_e32 v25, 1, v21
	v_add_min_u32_e64 v23, v23, -1, v25
	s_delay_alu instid0(VALU_DEP_1)
	v_dual_add_nc_u32 v12, v12, v23 :: v_dual_cndmask_b32 v27, v15, v25, s5
	v_cndmask_b32_e64 v16, v25, v16, s5
	ds_load_u8 v12, v12
	v_cmp_lt_u32_e64 s6, v27, v24
	v_cmp_ge_u32_e64 s10, v16, v26
	s_wait_dscnt 0x0
	v_cndmask_b32_e64 v23, v12, v22, s5
	v_cndmask_b32_e64 v12, v20, v12, s5
	s_delay_alu instid0(VALU_DEP_2) | instskip(NEXT) | instid1(VALU_DEP_2)
	v_bitop3_b16 v15, v23, 0xff, v5 bitop3:0x80
	v_bitop3_b16 v5, v12, 0xff, v5 bitop3:0x80
	s_delay_alu instid0(VALU_DEP_1)
	v_cmp_le_u16_e64 s7, v15, v5
	v_cndmask_b32_e64 v5, v13, v11, s3
	v_lshl_add_u32 v11, v19, 3, v10
	v_lshl_add_u32 v19, v21, 3, v10
	ds_load_b64 v[14:15], v14 offset:1024
	s_and_b32 s3, s6, s7
	s_delay_alu instid0(SALU_CYCLE_1) | instskip(NEXT) | instid1(SALU_CYCLE_1)
	s_or_b32 s3, s10, s3
	v_cndmask_b32_e64 v13, v16, v27, s3
	ds_load_b64 v[16:17], v11 offset:1024
	v_cndmask_b32_e64 v11, v22, v20, s5
	ds_load_b64 v[20:21], v19 offset:1024
	v_lshl_add_u32 v10, v13, 3, v10
	v_lshlrev_b16 v13, 8, v18
	ds_load_b64 v[18:19], v10 offset:1024
	v_bitop3_b16 v5, v5, v13, 0xff bitop3:0xec
	s_delay_alu instid0(VALU_DEP_1) | instskip(SKIP_1) | instid1(VALU_DEP_1)
	v_and_b32_e32 v5, 0xffff, v5
	v_cndmask_b32_e64 v12, v23, v12, s3
	v_lshlrev_b16 v12, 8, v12
	s_delay_alu instid0(VALU_DEP_1) | instskip(NEXT) | instid1(VALU_DEP_1)
	v_bitop3_b16 v10, v11, v12, 0xff bitop3:0xec
	v_lshlrev_b32_e32 v10, 16, v10
	s_delay_alu instid0(VALU_DEP_1)
	v_or_b32_e32 v32, v5, v10
.LBB93_74:
	s_or_b32 exec_lo, exec_lo, s13
	; wave barrier
	s_wait_storecnt_dscnt 0x0
	s_barrier_signal -1
	s_barrier_wait -1
                                        ; implicit-def: $vgpr12_vgpr13
                                        ; implicit-def: $vgpr22
                                        ; implicit-def: $vgpr23
                                        ; implicit-def: $vgpr5
.LBB93_75:
	s_and_not1_saveexec_b32 s10, s12
	s_cbranch_execz .LBB93_137
; %bb.76:
	s_load_b64 s[4:5], s[8:9], 0x0
	s_bfe_u32 s6, ttmp6, 0x4000c
	s_bfe_u32 s12, ttmp6, 0x40010
	s_and_b32 s7, ttmp7, 0xffff
	s_add_co_i32 s6, s6, 1
	s_add_co_i32 s12, s12, 1
	s_and_b32 s3, ttmp6, 15
	s_bfe_u32 s13, ttmp6, 0x40004
	s_mul_i32 s6, ttmp9, s6
	s_mul_i32 s12, s7, s12
	s_add_co_i32 s3, s3, s6
	s_add_co_i32 s13, s13, s12
	s_cmp_eq_u32 s11, 0
	s_cselect_b32 s3, ttmp9, s3
	s_cselect_b32 s6, s7, s13
	s_wait_kmcnt 0x0
	s_cmp_lt_u32 s3, s4
	s_cselect_b32 s4, 12, 18
	s_cmp_lt_u32 s6, s5
	s_mov_b32 s5, 0
	s_cselect_b32 s6, 14, 20
	s_mov_b32 s7, s5
	s_add_nc_u64 s[4:5], s[8:9], s[4:5]
	s_add_nc_u64 s[6:7], s[8:9], s[6:7]
	s_clause 0x1
	s_load_u16 s4, s[4:5], 0x0
	s_nop 0
	s_load_u16 s3, s[6:7], 0x0
	s_wait_xcnt 0x0
	s_mov_b32 s6, exec_lo
	s_wait_kmcnt 0x0
	v_mad_u32_u24 v10, v23, s3, v22
	s_delay_alu instid0(VALU_DEP_1) | instskip(NEXT) | instid1(VALU_DEP_1)
	v_mul_lo_u32 v10, v10, s4
	v_add_lshl_u32 v5, v10, v5, 2
	s_delay_alu instid0(VALU_DEP_1)
	v_cmpx_gt_u32_e32 0x400, v5
	s_cbranch_execz .LBB93_86
; %bb.77:
	s_wait_loadcnt_dscnt 0x0
	v_perm_b32 v22, v32, v32, 0x7060405
	v_lshrrev_b32_e32 v10, 8, v32
	v_and_b32_e32 v11, 0xff, v32
	s_mov_b32 s5, exec_lo
	s_delay_alu instid0(VALU_DEP_2) | instskip(NEXT) | instid1(VALU_DEP_1)
	v_and_b32_e32 v10, 0xff, v10
	v_cmp_gt_u16_e64 s3, v10, v11
	v_mov_b64_e32 v[10:11], v[20:21]
	s_delay_alu instid0(VALU_DEP_2) | instskip(NEXT) | instid1(VALU_DEP_1)
	v_cndmask_b32_e64 v24, v32, v22, s3
	v_dual_lshrrev_b32 v25, 16, v24 :: v_dual_lshrrev_b32 v22, 24, v24
	v_lshrrev_b32_e32 v26, 8, v24
	s_delay_alu instid0(VALU_DEP_2) | instskip(NEXT) | instid1(VALU_DEP_3)
	v_and_b32_e32 v23, 0xff, v25
	v_mov_b32_e32 v27, v22
	s_delay_alu instid0(VALU_DEP_2)
	v_cmpx_gt_u16_e64 v22, v23
; %bb.78:
	v_mov_b64_e32 v[10:11], v[18:19]
	v_mov_b64_e32 v[18:19], v[20:21]
	v_dual_mov_b32 v27, v25 :: v_dual_mov_b32 v25, v22
; %bb.79:
	s_or_b32 exec_lo, exec_lo, s5
	v_dual_cndmask_b32 v23, v17, v15, s3 :: v_dual_cndmask_b32 v22, v16, v14, s3
	v_and_b32_e32 v20, 0xff, v26
	s_delay_alu instid0(VALU_DEP_3) | instskip(NEXT) | instid1(VALU_DEP_1)
	v_and_b32_e32 v21, 0xff, v25
	v_cmp_gt_u16_e64 s4, v21, v20
	s_delay_alu instid0(VALU_DEP_4) | instskip(SKIP_1) | instid1(SALU_CYCLE_1)
	v_mov_b64_e32 v[20:21], v[22:23]
	s_and_saveexec_b32 s5, s4
	s_xor_b32 s4, exec_lo, s5
; %bb.80:
	v_mov_b32_e32 v28, v26
	v_mov_b64_e32 v[20:21], v[10:11]
	v_mov_b64_e32 v[10:11], v[22:23]
	v_swap_b32 v26, v25
; %bb.81:
	s_or_b32 exec_lo, exec_lo, s4
	s_delay_alu instid0(VALU_DEP_1) | instskip(NEXT) | instid1(VALU_DEP_2)
	v_perm_b32 v22, v25, v27, 0xc0c0004
	v_perm_b32 v23, v26, v24, 0xc0c0004
	;; [unrolled: 1-line block ×3, first 2 shown]
	v_and_b32_e32 v24, 0xff, v24
	v_and_b32_e32 v26, 0xff, v26
	v_lshlrev_b32_e32 v22, 16, v22
	s_delay_alu instid0(VALU_DEP_2) | instskip(NEXT) | instid1(VALU_DEP_2)
	v_cmp_gt_u16_e64 s4, v26, v24
	v_or_b32_e32 v23, v23, v22
	v_or_b32_e32 v22, v25, v22
	s_delay_alu instid0(VALU_DEP_1) | instskip(NEXT) | instid1(VALU_DEP_1)
	v_cndmask_b32_e64 v32, v22, v23, s4
	v_dual_lshrrev_b32 v24, 16, v32 :: v_dual_lshrrev_b32 v25, 24, v32
	s_delay_alu instid0(VALU_DEP_1) | instskip(NEXT) | instid1(VALU_DEP_1)
	v_and_b32_e32 v22, 0xff, v24
	v_cmp_gt_u16_e64 s5, v25, v22
	v_mov_b64_e32 v[22:23], v[10:11]
	s_and_saveexec_b32 s7, s5
; %bb.82:
	v_mov_b64_e32 v[22:23], v[18:19]
	v_mov_b64_e32 v[18:19], v[10:11]
	v_perm_b32 v32, v32, v32, 0x6070504
	v_mov_b32_e32 v24, v25
; %bb.83:
	s_or_b32 exec_lo, exec_lo, s7
	s_delay_alu instid0(VALU_DEP_2) | instskip(SKIP_1) | instid1(VALU_DEP_3)
	v_dual_lshrrev_b32 v10, 8, v32 :: v_dual_cndmask_b32 v11, v15, v17, s3
	v_cndmask_b32_e64 v16, v14, v16, s3
	v_and_b32_e32 v25, 0xff, v24
	s_delay_alu instid0(VALU_DEP_3) | instskip(NEXT) | instid1(VALU_DEP_3)
	v_and_b32_e32 v10, 0xff, v10
	v_dual_cndmask_b32 v15, v11, v21, s4 :: v_dual_cndmask_b32 v14, v16, v20, s4
	v_dual_cndmask_b32 v17, v21, v11, s4 :: v_dual_cndmask_b32 v16, v20, v16, s4
	v_mov_b64_e32 v[20:21], v[22:23]
	s_mov_b32 s4, exec_lo
	v_cmpx_gt_u16_e64 v25, v10
; %bb.84:
	s_delay_alu instid0(VALU_DEP_3)
	v_mov_b64_e32 v[20:21], v[16:17]
	v_mov_b64_e32 v[16:17], v[22:23]
	v_perm_b32 v32, v32, v24, 0x7050004
; %bb.85:
	s_or_b32 exec_lo, exec_lo, s4
.LBB93_86:
	s_delay_alu instid0(SALU_CYCLE_1) | instskip(SKIP_3) | instid1(VALU_DEP_2)
	s_or_b32 exec_lo, exec_lo, s6
	v_and_b32_e32 v26, 0xffffff80, v5
	v_dual_mov_b32 v27, 0 :: v_dual_bitop2_b32 v10, 4, v0 bitop3:0x54
	s_mov_b32 s4, exec_lo
	v_sub_nc_u32_e64 v5, 0x400, v26 clamp
	s_delay_alu instid0(VALU_DEP_2) | instskip(NEXT) | instid1(VALU_DEP_2)
	v_add_nc_u64_e32 v[12:13], v[12:13], v[26:27]
	v_min_u32_e32 v24, v5, v10
	s_delay_alu instid0(VALU_DEP_2) | instskip(SKIP_1) | instid1(VALU_DEP_3)
	v_mad_nc_u64_u32 v[10:11], v26, 7, v[12:13]
	v_dual_mov_b32 v26, v0 :: v_dual_bitop2_b32 v11, 4, v0 bitop3:0x40
	v_add_min_u32_e64 v35, v24, 4, v5
	s_delay_alu instid0(VALU_DEP_2) | instskip(SKIP_1) | instid1(VALU_DEP_4)
	v_add_nc_u64_e32 v[22:23], v[12:13], v[26:27]
	v_and_b32_e32 v26, 0x78, v0
	v_min_u32_e32 v36, v5, v11
	s_delay_alu instid0(VALU_DEP_4) | instskip(SKIP_1) | instid1(VALU_DEP_4)
	v_sub_nc_u32_e32 v23, v35, v24
	v_lshl_add_u32 v11, v0, 3, v10
	v_sub_nc_u32_e32 v25, v24, v26
	s_wait_loadcnt_dscnt 0x0
	ds_store_2addr_b64 v11, v[14:15], v[16:17] offset0:128 offset1:129
	ds_store_b64 v11, v[20:21] offset:1040
	ds_store_b32 v22, v32
	ds_store_b64 v11, v[18:19] offset:1048
	v_sub_nc_u32_e64 v37, v36, v23 clamp
	v_min_u32_e32 v23, v36, v25
	; wave barrier
	s_delay_alu instid0(VALU_DEP_1)
	v_cmpx_lt_u32_e64 v37, v23
	s_cbranch_execz .LBB93_90
; %bb.87:
	v_mov_b32_e32 v25, v27
	v_add_nc_u64_e32 v[28:29], v[12:13], v[26:27]
	s_mov_b32 s5, 0
	s_delay_alu instid0(VALU_DEP_2)
	v_add_nc_u64_e32 v[30:31], v[12:13], v[24:25]
.LBB93_88:                              ; =>This Inner Loop Header: Depth=1
	v_add_nc_u32_e32 v25, v23, v37
	s_delay_alu instid0(VALU_DEP_1) | instskip(NEXT) | instid1(VALU_DEP_1)
	v_lshrrev_b32_e32 v25, 1, v25
	v_not_b32_e32 v27, v25
	v_dual_add_nc_u32 v29, v28, v25 :: v_dual_add_nc_u32 v31, 1, v25
	s_delay_alu instid0(VALU_DEP_2) | instskip(SKIP_4) | instid1(VALU_DEP_1)
	v_add3_u32 v27, v36, v27, v30
	ds_load_u8 v29, v29
	ds_load_u8 v27, v27
	s_wait_dscnt 0x0
	v_cmp_gt_u16_e64 s3, v27, v29
	v_cndmask_b32_e64 v23, v23, v25, s3
	v_cndmask_b32_e64 v37, v31, v37, s3
	s_delay_alu instid0(VALU_DEP_1) | instskip(SKIP_1) | instid1(SALU_CYCLE_1)
	v_cmp_ge_u32_e64 s3, v37, v23
	s_or_b32 s5, s3, s5
	s_and_not1_b32 exec_lo, exec_lo, s5
	s_cbranch_execnz .LBB93_88
; %bb.89:
	s_or_b32 exec_lo, exec_lo, s5
.LBB93_90:
	s_delay_alu instid0(SALU_CYCLE_1) | instskip(SKIP_3) | instid1(VALU_DEP_3)
	s_or_b32 exec_lo, exec_lo, s4
	v_dual_add_nc_u32 v25, v24, v36 :: v_dual_add_nc_u32 v26, v37, v26
	v_add_nc_u32_e32 v34, 0x400, v11
	v_dual_mov_b32 v38, v32 :: v_dual_add_nc_u32 v33, 0x408, v11
	v_dual_sub_nc_u32 v25, v25, v37 :: v_dual_lshrrev_b32 v49, 16, v32
	s_delay_alu instid0(VALU_DEP_4) | instskip(SKIP_2) | instid1(VALU_DEP_4)
	v_cmp_le_u32_e64 s3, v26, v24
	v_add_nc_u32_e32 v23, 0x410, v11
	v_add_nc_u32_e32 v11, 0x418, v11
	v_cmp_le_u32_e64 s4, v25, v35
	v_dual_lshrrev_b32 v39, 8, v32 :: v_dual_lshrrev_b32 v48, 24, v32
	s_or_b32 s3, s3, s4
	s_delay_alu instid0(SALU_CYCLE_1)
	s_and_saveexec_b32 s9, s3
	s_cbranch_execz .LBB93_96
; %bb.91:
	v_cmp_lt_u32_e64 s3, v26, v24
                                        ; implicit-def: $vgpr14
	s_and_saveexec_b32 s4, s3
; %bb.92:
	v_add_nc_u32_e32 v14, v12, v26
	ds_load_u8 v14, v14
; %bb.93:
	s_or_b32 exec_lo, exec_lo, s4
	v_cmp_ge_u32_e64 s4, v25, v35
	s_mov_b32 s6, exec_lo
                                        ; implicit-def: $vgpr15
	v_cmpx_lt_u32_e64 v25, v35
; %bb.94:
	v_add_nc_u32_e32 v15, v12, v25
	ds_load_u8 v15, v15
; %bb.95:
	s_or_b32 exec_lo, exec_lo, s6
	s_wait_dscnt 0x0
	v_and_b32_e32 v16, 0xff, v14
	v_and_b32_e32 v17, 0xff, v15
	s_delay_alu instid0(VALU_DEP_1) | instskip(SKIP_1) | instid1(SALU_CYCLE_1)
	v_cmp_le_u16_e64 s5, v17, v16
	s_and_b32 s3, s3, s5
	s_or_b32 s3, s4, s3
	s_delay_alu instid0(SALU_CYCLE_1) | instskip(NEXT) | instid1(VALU_DEP_1)
	v_dual_cndmask_b32 v16, v25, v26, s3 :: v_dual_cndmask_b32 v17, v35, v24, s3
	v_add_nc_u32_e32 v18, 1, v16
	v_lshl_add_u32 v16, v16, 3, v10
	s_delay_alu instid0(VALU_DEP_2) | instskip(NEXT) | instid1(VALU_DEP_1)
	v_add_min_u32_e64 v17, v17, -1, v18
	v_dual_add_nc_u32 v17, v12, v17 :: v_dual_cndmask_b32 v20, v26, v18, s3
	v_cndmask_b32_e64 v18, v18, v25, s3
	ds_load_u8 v17, v17
	v_cmp_lt_u32_e64 s4, v20, v24
	v_cmp_ge_u32_e64 s6, v18, v35
	s_wait_dscnt 0x0
	v_dual_cndmask_b32 v19, v17, v15, s3 :: v_dual_cndmask_b32 v17, v14, v17, s3
	s_delay_alu instid0(VALU_DEP_1) | instskip(NEXT) | instid1(VALU_DEP_2)
	v_and_b32_e32 v21, 0xff, v19
	v_and_b32_e32 v26, 0xff, v17
	s_delay_alu instid0(VALU_DEP_1) | instskip(SKIP_1) | instid1(SALU_CYCLE_1)
	v_cmp_le_u16_e64 s5, v21, v26
	s_and_b32 s4, s4, s5
	s_or_b32 s4, s6, s4
	s_delay_alu instid0(SALU_CYCLE_1) | instskip(SKIP_1) | instid1(VALU_DEP_1)
	v_cndmask_b32_e64 v25, v35, v24, s4
	v_cndmask_b32_e64 v21, v18, v20, s4
	v_add_nc_u32_e32 v26, 1, v21
	s_delay_alu instid0(VALU_DEP_1) | instskip(SKIP_1) | instid1(VALU_DEP_2)
	v_add_min_u32_e64 v25, v25, -1, v26
	v_cndmask_b32_e64 v20, v20, v26, s4
	v_dual_add_nc_u32 v25, v12, v25 :: v_dual_cndmask_b32 v18, v26, v18, s4
	s_delay_alu instid0(VALU_DEP_2)
	v_cmp_lt_u32_e64 s5, v20, v24
	ds_load_u8 v25, v25
	v_cmp_ge_u32_e64 s7, v18, v35
	s_wait_dscnt 0x0
	v_cndmask_b32_e64 v27, v25, v19, s4
	v_cndmask_b32_e64 v25, v17, v25, s4
	s_delay_alu instid0(VALU_DEP_2) | instskip(NEXT) | instid1(VALU_DEP_2)
	v_and_b32_e32 v28, 0xff, v27
	v_and_b32_e32 v29, 0xff, v25
	s_delay_alu instid0(VALU_DEP_1) | instskip(SKIP_1) | instid1(SALU_CYCLE_1)
	v_cmp_le_u16_e64 s6, v28, v29
	s_and_b32 s5, s5, s6
	s_or_b32 s5, s7, s5
	s_delay_alu instid0(SALU_CYCLE_1) | instskip(SKIP_1) | instid1(VALU_DEP_2)
	v_cndmask_b32_e64 v26, v18, v20, s5
	v_cndmask_b32_e64 v28, v35, v24, s5
	v_dual_cndmask_b32 v49, v27, v25, s5 :: v_dual_add_nc_u32 v29, 1, v26
	s_delay_alu instid0(VALU_DEP_1) | instskip(NEXT) | instid1(VALU_DEP_1)
	v_add_min_u32_e64 v28, v28, -1, v29
	v_add_nc_u32_e32 v28, v12, v28
	ds_load_u8 v28, v28
	s_wait_dscnt 0x0
	v_dual_cndmask_b32 v30, v28, v27, s5 :: v_dual_cndmask_b32 v28, v25, v28, s5
	v_dual_cndmask_b32 v20, v20, v29, s5 :: v_dual_cndmask_b32 v18, v29, v18, s5
	v_cndmask_b32_e64 v38, v15, v14, s3
	s_delay_alu instid0(VALU_DEP_3) | instskip(NEXT) | instid1(VALU_DEP_4)
	v_and_b32_e32 v31, 0xff, v30
	v_and_b32_e32 v32, 0xff, v28
	s_delay_alu instid0(VALU_DEP_4)
	v_cmp_lt_u32_e64 s6, v20, v24
	v_cmp_ge_u32_e64 s8, v18, v35
	ds_load_b64 v[14:15], v16 offset:1024
	v_lshl_add_u32 v16, v21, 3, v10
	v_cmp_le_u16_e64 s7, v31, v32
	s_and_b32 s3, s6, s7
	s_delay_alu instid0(SALU_CYCLE_1) | instskip(NEXT) | instid1(SALU_CYCLE_1)
	s_or_b32 s3, s8, s3
	v_dual_cndmask_b32 v39, v19, v17, s4 :: v_dual_cndmask_b32 v48, v30, v28, s3
	v_cndmask_b32_e64 v18, v18, v20, s3
	v_lshl_add_u32 v19, v26, 3, v10
	ds_load_b64 v[16:17], v16 offset:1024
	v_lshlrev_b16 v25, 8, v39
	v_lshlrev_b16 v24, 8, v48
	v_lshl_add_u32 v18, v18, 3, v10
	ds_load_b64 v[20:21], v19 offset:1024
	v_bitop3_b16 v25, v38, v25, 0xff bitop3:0xec
	v_bitop3_b16 v24, v49, v24, 0xff bitop3:0xec
	ds_load_b64 v[18:19], v18 offset:1024
	v_and_b32_e32 v25, 0xffff, v25
	v_lshlrev_b32_e32 v24, 16, v24
	s_delay_alu instid0(VALU_DEP_1)
	v_or_b32_e32 v32, v25, v24
.LBB93_96:
	s_or_b32 exec_lo, exec_lo, s9
	v_and_b32_e32 v26, 0x70, v0
	s_mov_b32 s4, exec_lo
	; wave barrier
	ds_store_b8 v22, v38
	s_wait_dscnt 0x4
	ds_store_b64 v34, v[14:15]
	v_or_b32_e32 v24, 8, v26
	ds_store_b8 v22, v39 offset:1
	s_wait_dscnt 0x5
	ds_store_b64 v33, v[16:17]
	ds_store_b8 v22, v49 offset:2
	s_wait_dscnt 0x6
	ds_store_b64 v23, v[20:21]
	;; [unrolled: 3-line block ×3, first 2 shown]
	; wave barrier
	v_min_u32_e32 v24, v5, v24
	s_delay_alu instid0(VALU_DEP_1) | instskip(SKIP_1) | instid1(VALU_DEP_2)
	v_dual_sub_nc_u32 v27, v24, v26 :: v_dual_bitop2_b32 v25, 12, v0 bitop3:0x40
	v_add_min_u32_e64 v50, v24, 8, v5
	v_min_u32_e32 v51, v5, v25
	s_delay_alu instid0(VALU_DEP_2) | instskip(NEXT) | instid1(VALU_DEP_2)
	v_sub_nc_u32_e32 v25, v50, v24
	v_min_u32_e32 v35, v51, v27
	s_delay_alu instid0(VALU_DEP_2) | instskip(NEXT) | instid1(VALU_DEP_1)
	v_sub_nc_u32_e64 v52, v51, v25 clamp
	v_cmpx_lt_u32_e64 v52, v35
	s_cbranch_execz .LBB93_100
; %bb.97:
	v_mov_b32_e32 v27, 0
	s_mov_b32 s5, 0
	s_delay_alu instid0(VALU_DEP_1) | instskip(SKIP_1) | instid1(VALU_DEP_2)
	v_mov_b32_e32 v25, v27
	v_add_nc_u64_e32 v[28:29], v[12:13], v[26:27]
	v_add_nc_u64_e32 v[30:31], v[12:13], v[24:25]
.LBB93_98:                              ; =>This Inner Loop Header: Depth=1
	v_add_nc_u32_e32 v25, v35, v52
	s_delay_alu instid0(VALU_DEP_1) | instskip(NEXT) | instid1(VALU_DEP_1)
	v_lshrrev_b32_e32 v25, 1, v25
	v_not_b32_e32 v27, v25
	v_dual_add_nc_u32 v29, v28, v25 :: v_dual_add_nc_u32 v31, 1, v25
	s_delay_alu instid0(VALU_DEP_2) | instskip(SKIP_4) | instid1(VALU_DEP_1)
	v_add3_u32 v27, v51, v27, v30
	ds_load_u8 v29, v29
	ds_load_u8 v27, v27
	s_wait_dscnt 0x0
	v_cmp_gt_u16_e64 s3, v27, v29
	v_cndmask_b32_e64 v52, v31, v52, s3
	v_cndmask_b32_e64 v35, v35, v25, s3
	s_delay_alu instid0(VALU_DEP_1) | instskip(SKIP_1) | instid1(SALU_CYCLE_1)
	v_cmp_ge_u32_e64 s3, v52, v35
	s_or_b32 s5, s3, s5
	s_and_not1_b32 exec_lo, exec_lo, s5
	s_cbranch_execnz .LBB93_98
; %bb.99:
	s_or_b32 exec_lo, exec_lo, s5
.LBB93_100:
	s_delay_alu instid0(SALU_CYCLE_1) | instskip(SKIP_3) | instid1(VALU_DEP_3)
	s_or_b32 exec_lo, exec_lo, s4
	v_dual_add_nc_u32 v35, 3, v22 :: v_dual_add_nc_u32 v25, v24, v51
	v_add_nc_u32_e32 v26, v52, v26
	v_dual_add_nc_u32 v37, 1, v22 :: v_dual_add_nc_u32 v36, 2, v22
	v_sub_nc_u32_e32 v25, v25, v52
	s_delay_alu instid0(VALU_DEP_3) | instskip(NEXT) | instid1(VALU_DEP_2)
	v_cmp_le_u32_e64 s3, v26, v24
	v_cmp_le_u32_e64 s4, v25, v50
	s_or_b32 s3, s3, s4
	s_delay_alu instid0(SALU_CYCLE_1)
	s_and_saveexec_b32 s9, s3
	s_cbranch_execz .LBB93_106
; %bb.101:
	v_cmp_lt_u32_e64 s3, v26, v24
                                        ; implicit-def: $vgpr14
	s_and_saveexec_b32 s4, s3
; %bb.102:
	v_add_nc_u32_e32 v14, v12, v26
	ds_load_u8 v14, v14
; %bb.103:
	s_or_b32 exec_lo, exec_lo, s4
	v_cmp_ge_u32_e64 s4, v25, v50
	s_mov_b32 s6, exec_lo
                                        ; implicit-def: $vgpr15
	v_cmpx_lt_u32_e64 v25, v50
; %bb.104:
	v_add_nc_u32_e32 v15, v12, v25
	ds_load_u8 v15, v15
; %bb.105:
	s_or_b32 exec_lo, exec_lo, s6
	s_wait_dscnt 0x0
	v_and_b32_e32 v16, 0xff, v14
	v_and_b32_e32 v17, 0xff, v15
	s_delay_alu instid0(VALU_DEP_1) | instskip(SKIP_1) | instid1(SALU_CYCLE_1)
	v_cmp_le_u16_e64 s5, v17, v16
	s_and_b32 s3, s3, s5
	s_or_b32 s3, s4, s3
	s_delay_alu instid0(SALU_CYCLE_1) | instskip(NEXT) | instid1(VALU_DEP_1)
	v_dual_cndmask_b32 v16, v25, v26, s3 :: v_dual_cndmask_b32 v17, v50, v24, s3
	v_add_nc_u32_e32 v18, 1, v16
	v_lshl_add_u32 v16, v16, 3, v10
	s_delay_alu instid0(VALU_DEP_2) | instskip(NEXT) | instid1(VALU_DEP_1)
	v_add_min_u32_e64 v17, v17, -1, v18
	v_dual_add_nc_u32 v17, v12, v17 :: v_dual_cndmask_b32 v20, v26, v18, s3
	v_cndmask_b32_e64 v18, v18, v25, s3
	ds_load_u8 v17, v17
	v_cmp_lt_u32_e64 s4, v20, v24
	v_cmp_ge_u32_e64 s6, v18, v50
	s_wait_dscnt 0x0
	v_dual_cndmask_b32 v19, v17, v15, s3 :: v_dual_cndmask_b32 v17, v14, v17, s3
	s_delay_alu instid0(VALU_DEP_1) | instskip(NEXT) | instid1(VALU_DEP_2)
	v_and_b32_e32 v21, 0xff, v19
	v_and_b32_e32 v26, 0xff, v17
	s_delay_alu instid0(VALU_DEP_1) | instskip(SKIP_1) | instid1(SALU_CYCLE_1)
	v_cmp_le_u16_e64 s5, v21, v26
	s_and_b32 s4, s4, s5
	s_or_b32 s4, s6, s4
	s_delay_alu instid0(SALU_CYCLE_1) | instskip(NEXT) | instid1(VALU_DEP_1)
	v_cndmask_b32_e64 v21, v18, v20, s4
	v_dual_add_nc_u32 v26, 1, v21 :: v_dual_cndmask_b32 v25, v50, v24, s4
	s_delay_alu instid0(VALU_DEP_1) | instskip(NEXT) | instid1(VALU_DEP_2)
	v_cndmask_b32_e64 v20, v20, v26, s4
	v_add_min_u32_e64 v25, v25, -1, v26
	s_delay_alu instid0(VALU_DEP_2) | instskip(NEXT) | instid1(VALU_DEP_2)
	v_cmp_lt_u32_e64 s5, v20, v24
	v_dual_add_nc_u32 v25, v12, v25 :: v_dual_cndmask_b32 v18, v26, v18, s4
	ds_load_u8 v25, v25
	v_cmp_ge_u32_e64 s7, v18, v50
	s_wait_dscnt 0x0
	v_cndmask_b32_e64 v27, v25, v19, s4
	v_cndmask_b32_e64 v25, v17, v25, s4
	s_delay_alu instid0(VALU_DEP_2) | instskip(NEXT) | instid1(VALU_DEP_2)
	v_and_b32_e32 v28, 0xff, v27
	v_and_b32_e32 v29, 0xff, v25
	s_delay_alu instid0(VALU_DEP_1) | instskip(SKIP_1) | instid1(SALU_CYCLE_1)
	v_cmp_le_u16_e64 s6, v28, v29
	s_and_b32 s5, s5, s6
	s_or_b32 s5, s7, s5
	s_delay_alu instid0(SALU_CYCLE_1) | instskip(SKIP_1) | instid1(VALU_DEP_2)
	v_cndmask_b32_e64 v26, v18, v20, s5
	v_dual_cndmask_b32 v28, v50, v24, s5 :: v_dual_cndmask_b32 v49, v27, v25, s5
	v_add_nc_u32_e32 v29, 1, v26
	s_delay_alu instid0(VALU_DEP_1)
	v_add_min_u32_e64 v28, v28, -1, v29
	v_dual_cndmask_b32 v18, v29, v18, s5 :: v_dual_cndmask_b32 v20, v20, v29, s5
	v_cndmask_b32_e64 v38, v15, v14, s3
	ds_load_b64 v[14:15], v16 offset:1024
	v_add_nc_u32_e32 v28, v12, v28
	v_cmp_ge_u32_e64 s8, v18, v50
	v_lshl_add_u32 v16, v21, 3, v10
	v_cmp_lt_u32_e64 s6, v20, v24
	ds_load_u8 v28, v28
	s_wait_dscnt 0x0
	v_dual_cndmask_b32 v30, v28, v27, s5 :: v_dual_cndmask_b32 v28, v25, v28, s5
	s_delay_alu instid0(VALU_DEP_1) | instskip(NEXT) | instid1(VALU_DEP_2)
	v_and_b32_e32 v31, 0xff, v30
	v_and_b32_e32 v32, 0xff, v28
	s_delay_alu instid0(VALU_DEP_1) | instskip(SKIP_1) | instid1(SALU_CYCLE_1)
	v_cmp_le_u16_e64 s7, v31, v32
	s_and_b32 s3, s6, s7
	s_or_b32 s3, s8, s3
	s_delay_alu instid0(SALU_CYCLE_1)
	v_dual_cndmask_b32 v39, v19, v17, s4 :: v_dual_cndmask_b32 v48, v30, v28, s3
	v_cndmask_b32_e64 v18, v18, v20, s3
	v_lshl_add_u32 v19, v26, 3, v10
	ds_load_b64 v[16:17], v16 offset:1024
	v_lshlrev_b16 v25, 8, v39
	v_lshlrev_b16 v24, 8, v48
	v_lshl_add_u32 v18, v18, 3, v10
	ds_load_b64 v[20:21], v19 offset:1024
	v_bitop3_b16 v25, v38, v25, 0xff bitop3:0xec
	v_bitop3_b16 v24, v49, v24, 0xff bitop3:0xec
	ds_load_b64 v[18:19], v18 offset:1024
	v_and_b32_e32 v25, 0xffff, v25
	v_lshlrev_b32_e32 v24, 16, v24
	s_delay_alu instid0(VALU_DEP_1)
	v_or_b32_e32 v32, v25, v24
.LBB93_106:
	s_or_b32 exec_lo, exec_lo, s9
	v_and_b32_e32 v26, 0x60, v0
	s_mov_b32 s4, exec_lo
	; wave barrier
	ds_store_b8 v22, v38
	ds_store_b64 v34, v[14:15]
	v_or_b32_e32 v24, 16, v26
	ds_store_b8 v37, v39
	s_wait_dscnt 0x5
	ds_store_b64 v33, v[16:17]
	ds_store_b8 v36, v49
	s_wait_dscnt 0x6
	ds_store_b64 v23, v[20:21]
	;; [unrolled: 3-line block ×3, first 2 shown]
	; wave barrier
	v_min_u32_e32 v24, v5, v24
	s_delay_alu instid0(VALU_DEP_1) | instskip(SKIP_1) | instid1(VALU_DEP_2)
	v_dual_sub_nc_u32 v27, v24, v26 :: v_dual_bitop2_b32 v25, 28, v0 bitop3:0x40
	v_add_min_u32_e64 v50, v24, 16, v5
	v_min_u32_e32 v51, v5, v25
	s_delay_alu instid0(VALU_DEP_2) | instskip(NEXT) | instid1(VALU_DEP_2)
	v_sub_nc_u32_e32 v25, v50, v24
	v_min_u32_e32 v53, v51, v27
	s_delay_alu instid0(VALU_DEP_2) | instskip(NEXT) | instid1(VALU_DEP_1)
	v_sub_nc_u32_e64 v52, v51, v25 clamp
	v_cmpx_lt_u32_e64 v52, v53
	s_cbranch_execz .LBB93_110
; %bb.107:
	v_mov_b32_e32 v27, 0
	s_mov_b32 s5, 0
	s_delay_alu instid0(VALU_DEP_1) | instskip(SKIP_1) | instid1(VALU_DEP_2)
	v_mov_b32_e32 v25, v27
	v_add_nc_u64_e32 v[28:29], v[12:13], v[26:27]
	v_add_nc_u64_e32 v[30:31], v[12:13], v[24:25]
.LBB93_108:                             ; =>This Inner Loop Header: Depth=1
	v_add_nc_u32_e32 v25, v53, v52
	s_delay_alu instid0(VALU_DEP_1) | instskip(NEXT) | instid1(VALU_DEP_1)
	v_lshrrev_b32_e32 v25, 1, v25
	v_not_b32_e32 v27, v25
	v_dual_add_nc_u32 v29, v28, v25 :: v_dual_add_nc_u32 v31, 1, v25
	s_delay_alu instid0(VALU_DEP_2) | instskip(SKIP_4) | instid1(VALU_DEP_1)
	v_add3_u32 v27, v51, v27, v30
	ds_load_u8 v29, v29
	ds_load_u8 v27, v27
	s_wait_dscnt 0x0
	v_cmp_gt_u16_e64 s3, v27, v29
	v_dual_cndmask_b32 v53, v53, v25, s3 :: v_dual_cndmask_b32 v52, v31, v52, s3
	s_delay_alu instid0(VALU_DEP_1) | instskip(SKIP_1) | instid1(SALU_CYCLE_1)
	v_cmp_ge_u32_e64 s3, v52, v53
	s_or_b32 s5, s3, s5
	s_and_not1_b32 exec_lo, exec_lo, s5
	s_cbranch_execnz .LBB93_108
; %bb.109:
	s_or_b32 exec_lo, exec_lo, s5
.LBB93_110:
	s_delay_alu instid0(SALU_CYCLE_1) | instskip(SKIP_1) | instid1(VALU_DEP_1)
	s_or_b32 exec_lo, exec_lo, s4
	v_add_nc_u32_e32 v25, v24, v51
	v_dual_add_nc_u32 v26, v52, v26 :: v_dual_sub_nc_u32 v25, v25, v52
	s_delay_alu instid0(VALU_DEP_1) | instskip(NEXT) | instid1(VALU_DEP_2)
	v_cmp_le_u32_e64 s3, v26, v24
	v_cmp_le_u32_e64 s4, v25, v50
	s_or_b32 s3, s3, s4
	s_delay_alu instid0(SALU_CYCLE_1)
	s_and_saveexec_b32 s9, s3
	s_cbranch_execz .LBB93_116
; %bb.111:
	v_cmp_lt_u32_e64 s3, v26, v24
                                        ; implicit-def: $vgpr14
	s_and_saveexec_b32 s4, s3
; %bb.112:
	v_add_nc_u32_e32 v14, v12, v26
	ds_load_u8 v14, v14
; %bb.113:
	s_or_b32 exec_lo, exec_lo, s4
	v_cmp_ge_u32_e64 s4, v25, v50
	s_mov_b32 s6, exec_lo
                                        ; implicit-def: $vgpr15
	v_cmpx_lt_u32_e64 v25, v50
; %bb.114:
	v_add_nc_u32_e32 v15, v12, v25
	ds_load_u8 v15, v15
; %bb.115:
	s_or_b32 exec_lo, exec_lo, s6
	s_wait_dscnt 0x0
	v_and_b32_e32 v16, 0xff, v14
	v_and_b32_e32 v17, 0xff, v15
	s_delay_alu instid0(VALU_DEP_1) | instskip(SKIP_1) | instid1(SALU_CYCLE_1)
	v_cmp_le_u16_e64 s5, v17, v16
	s_and_b32 s3, s3, s5
	s_or_b32 s3, s4, s3
	s_delay_alu instid0(SALU_CYCLE_1) | instskip(NEXT) | instid1(VALU_DEP_1)
	v_dual_cndmask_b32 v16, v25, v26, s3 :: v_dual_cndmask_b32 v17, v50, v24, s3
	v_add_nc_u32_e32 v18, 1, v16
	v_lshl_add_u32 v16, v16, 3, v10
	s_delay_alu instid0(VALU_DEP_2) | instskip(NEXT) | instid1(VALU_DEP_1)
	v_add_min_u32_e64 v17, v17, -1, v18
	v_dual_add_nc_u32 v17, v12, v17 :: v_dual_cndmask_b32 v20, v26, v18, s3
	v_cndmask_b32_e64 v18, v18, v25, s3
	ds_load_u8 v17, v17
	v_cmp_lt_u32_e64 s4, v20, v24
	v_cmp_ge_u32_e64 s6, v18, v50
	s_wait_dscnt 0x0
	v_dual_cndmask_b32 v19, v17, v15, s3 :: v_dual_cndmask_b32 v17, v14, v17, s3
	s_delay_alu instid0(VALU_DEP_1) | instskip(NEXT) | instid1(VALU_DEP_2)
	v_and_b32_e32 v21, 0xff, v19
	v_and_b32_e32 v26, 0xff, v17
	s_delay_alu instid0(VALU_DEP_1) | instskip(SKIP_1) | instid1(SALU_CYCLE_1)
	v_cmp_le_u16_e64 s5, v21, v26
	s_and_b32 s4, s4, s5
	s_or_b32 s4, s6, s4
	s_delay_alu instid0(SALU_CYCLE_1) | instskip(NEXT) | instid1(VALU_DEP_1)
	v_cndmask_b32_e64 v21, v18, v20, s4
	v_dual_add_nc_u32 v26, 1, v21 :: v_dual_cndmask_b32 v25, v50, v24, s4
	s_delay_alu instid0(VALU_DEP_1) | instskip(NEXT) | instid1(VALU_DEP_2)
	v_cndmask_b32_e64 v20, v20, v26, s4
	v_add_min_u32_e64 v25, v25, -1, v26
	s_delay_alu instid0(VALU_DEP_2) | instskip(NEXT) | instid1(VALU_DEP_2)
	v_cmp_lt_u32_e64 s5, v20, v24
	v_dual_add_nc_u32 v25, v12, v25 :: v_dual_cndmask_b32 v18, v26, v18, s4
	ds_load_u8 v25, v25
	v_cmp_ge_u32_e64 s7, v18, v50
	s_wait_dscnt 0x0
	v_cndmask_b32_e64 v27, v25, v19, s4
	v_cndmask_b32_e64 v25, v17, v25, s4
	s_delay_alu instid0(VALU_DEP_2) | instskip(NEXT) | instid1(VALU_DEP_2)
	v_and_b32_e32 v28, 0xff, v27
	v_and_b32_e32 v29, 0xff, v25
	s_delay_alu instid0(VALU_DEP_1) | instskip(SKIP_1) | instid1(SALU_CYCLE_1)
	v_cmp_le_u16_e64 s6, v28, v29
	s_and_b32 s5, s5, s6
	s_or_b32 s5, s7, s5
	s_delay_alu instid0(SALU_CYCLE_1) | instskip(SKIP_1) | instid1(VALU_DEP_2)
	v_cndmask_b32_e64 v26, v18, v20, s5
	v_dual_cndmask_b32 v28, v50, v24, s5 :: v_dual_cndmask_b32 v49, v27, v25, s5
	v_add_nc_u32_e32 v29, 1, v26
	s_delay_alu instid0(VALU_DEP_1)
	v_add_min_u32_e64 v28, v28, -1, v29
	v_dual_cndmask_b32 v18, v29, v18, s5 :: v_dual_cndmask_b32 v20, v20, v29, s5
	v_cndmask_b32_e64 v38, v15, v14, s3
	ds_load_b64 v[14:15], v16 offset:1024
	v_add_nc_u32_e32 v28, v12, v28
	v_cmp_ge_u32_e64 s8, v18, v50
	v_lshl_add_u32 v16, v21, 3, v10
	v_cmp_lt_u32_e64 s6, v20, v24
	ds_load_u8 v28, v28
	s_wait_dscnt 0x0
	v_dual_cndmask_b32 v30, v28, v27, s5 :: v_dual_cndmask_b32 v28, v25, v28, s5
	s_delay_alu instid0(VALU_DEP_1) | instskip(NEXT) | instid1(VALU_DEP_2)
	v_and_b32_e32 v31, 0xff, v30
	v_and_b32_e32 v32, 0xff, v28
	s_delay_alu instid0(VALU_DEP_1) | instskip(SKIP_1) | instid1(SALU_CYCLE_1)
	v_cmp_le_u16_e64 s7, v31, v32
	s_and_b32 s3, s6, s7
	s_or_b32 s3, s8, s3
	s_delay_alu instid0(SALU_CYCLE_1)
	v_dual_cndmask_b32 v39, v19, v17, s4 :: v_dual_cndmask_b32 v48, v30, v28, s3
	v_cndmask_b32_e64 v18, v18, v20, s3
	v_lshl_add_u32 v19, v26, 3, v10
	ds_load_b64 v[16:17], v16 offset:1024
	v_lshlrev_b16 v25, 8, v39
	v_lshlrev_b16 v24, 8, v48
	v_lshl_add_u32 v18, v18, 3, v10
	ds_load_b64 v[20:21], v19 offset:1024
	v_bitop3_b16 v25, v38, v25, 0xff bitop3:0xec
	v_bitop3_b16 v24, v49, v24, 0xff bitop3:0xec
	ds_load_b64 v[18:19], v18 offset:1024
	v_and_b32_e32 v25, 0xffff, v25
	v_lshlrev_b32_e32 v24, 16, v24
	s_delay_alu instid0(VALU_DEP_1)
	v_or_b32_e32 v32, v25, v24
.LBB93_116:
	s_or_b32 exec_lo, exec_lo, s9
	v_and_b32_e32 v26, 64, v0
	s_mov_b32 s4, exec_lo
	; wave barrier
	ds_store_b8 v22, v38
	ds_store_b64 v34, v[14:15]
	v_or_b32_e32 v24, 32, v26
	ds_store_b8 v37, v39
	s_wait_dscnt 0x5
	ds_store_b64 v33, v[16:17]
	ds_store_b8 v36, v49
	s_wait_dscnt 0x6
	ds_store_b64 v23, v[20:21]
	ds_store_b8 v35, v48
	s_wait_dscnt 0x7
	ds_store_b64 v11, v[18:19]
	; wave barrier
	v_min_u32_e32 v24, v5, v24
	s_delay_alu instid0(VALU_DEP_1) | instskip(SKIP_1) | instid1(VALU_DEP_2)
	v_dual_sub_nc_u32 v27, v24, v26 :: v_dual_bitop2_b32 v25, 60, v0 bitop3:0x40
	v_add_min_u32_e64 v50, v24, 32, v5
	v_min_u32_e32 v51, v5, v25
	s_delay_alu instid0(VALU_DEP_2) | instskip(NEXT) | instid1(VALU_DEP_2)
	v_sub_nc_u32_e32 v25, v50, v24
	v_min_u32_e32 v53, v51, v27
	s_delay_alu instid0(VALU_DEP_2) | instskip(NEXT) | instid1(VALU_DEP_1)
	v_sub_nc_u32_e64 v52, v51, v25 clamp
	v_cmpx_lt_u32_e64 v52, v53
	s_cbranch_execz .LBB93_120
; %bb.117:
	v_mov_b32_e32 v27, 0
	s_mov_b32 s5, 0
	s_delay_alu instid0(VALU_DEP_1) | instskip(SKIP_1) | instid1(VALU_DEP_2)
	v_mov_b32_e32 v25, v27
	v_add_nc_u64_e32 v[28:29], v[12:13], v[26:27]
	v_add_nc_u64_e32 v[30:31], v[12:13], v[24:25]
.LBB93_118:                             ; =>This Inner Loop Header: Depth=1
	v_add_nc_u32_e32 v25, v53, v52
	s_delay_alu instid0(VALU_DEP_1) | instskip(NEXT) | instid1(VALU_DEP_1)
	v_lshrrev_b32_e32 v25, 1, v25
	v_not_b32_e32 v27, v25
	v_dual_add_nc_u32 v29, v28, v25 :: v_dual_add_nc_u32 v31, 1, v25
	s_delay_alu instid0(VALU_DEP_2) | instskip(SKIP_4) | instid1(VALU_DEP_1)
	v_add3_u32 v27, v51, v27, v30
	ds_load_u8 v29, v29
	ds_load_u8 v27, v27
	s_wait_dscnt 0x0
	v_cmp_gt_u16_e64 s3, v27, v29
	v_dual_cndmask_b32 v53, v53, v25, s3 :: v_dual_cndmask_b32 v52, v31, v52, s3
	s_delay_alu instid0(VALU_DEP_1) | instskip(SKIP_1) | instid1(SALU_CYCLE_1)
	v_cmp_ge_u32_e64 s3, v52, v53
	s_or_b32 s5, s3, s5
	s_and_not1_b32 exec_lo, exec_lo, s5
	s_cbranch_execnz .LBB93_118
; %bb.119:
	s_or_b32 exec_lo, exec_lo, s5
.LBB93_120:
	s_delay_alu instid0(SALU_CYCLE_1) | instskip(SKIP_1) | instid1(VALU_DEP_1)
	s_or_b32 exec_lo, exec_lo, s4
	v_add_nc_u32_e32 v25, v24, v51
	v_dual_add_nc_u32 v26, v52, v26 :: v_dual_sub_nc_u32 v25, v25, v52
	s_delay_alu instid0(VALU_DEP_1) | instskip(NEXT) | instid1(VALU_DEP_2)
	v_cmp_le_u32_e64 s3, v26, v24
	v_cmp_le_u32_e64 s4, v25, v50
	s_or_b32 s3, s3, s4
	s_delay_alu instid0(SALU_CYCLE_1)
	s_and_saveexec_b32 s9, s3
	s_cbranch_execz .LBB93_126
; %bb.121:
	v_cmp_lt_u32_e64 s3, v26, v24
                                        ; implicit-def: $vgpr14
	s_and_saveexec_b32 s4, s3
; %bb.122:
	v_add_nc_u32_e32 v14, v12, v26
	ds_load_u8 v14, v14
; %bb.123:
	s_or_b32 exec_lo, exec_lo, s4
	v_cmp_ge_u32_e64 s4, v25, v50
	s_mov_b32 s6, exec_lo
                                        ; implicit-def: $vgpr15
	v_cmpx_lt_u32_e64 v25, v50
; %bb.124:
	v_add_nc_u32_e32 v15, v12, v25
	ds_load_u8 v15, v15
; %bb.125:
	s_or_b32 exec_lo, exec_lo, s6
	s_wait_dscnt 0x0
	v_and_b32_e32 v16, 0xff, v14
	v_and_b32_e32 v17, 0xff, v15
	s_delay_alu instid0(VALU_DEP_1) | instskip(SKIP_1) | instid1(SALU_CYCLE_1)
	v_cmp_le_u16_e64 s5, v17, v16
	s_and_b32 s3, s3, s5
	s_or_b32 s3, s4, s3
	s_delay_alu instid0(SALU_CYCLE_1) | instskip(NEXT) | instid1(VALU_DEP_1)
	v_dual_cndmask_b32 v16, v25, v26, s3 :: v_dual_cndmask_b32 v17, v50, v24, s3
	v_add_nc_u32_e32 v18, 1, v16
	v_lshl_add_u32 v16, v16, 3, v10
	s_delay_alu instid0(VALU_DEP_2) | instskip(NEXT) | instid1(VALU_DEP_1)
	v_add_min_u32_e64 v17, v17, -1, v18
	v_dual_add_nc_u32 v17, v12, v17 :: v_dual_cndmask_b32 v20, v26, v18, s3
	v_cndmask_b32_e64 v18, v18, v25, s3
	ds_load_u8 v17, v17
	v_cmp_lt_u32_e64 s4, v20, v24
	v_cmp_ge_u32_e64 s6, v18, v50
	s_wait_dscnt 0x0
	v_dual_cndmask_b32 v19, v17, v15, s3 :: v_dual_cndmask_b32 v17, v14, v17, s3
	s_delay_alu instid0(VALU_DEP_1) | instskip(NEXT) | instid1(VALU_DEP_2)
	v_and_b32_e32 v21, 0xff, v19
	v_and_b32_e32 v26, 0xff, v17
	s_delay_alu instid0(VALU_DEP_1) | instskip(SKIP_1) | instid1(SALU_CYCLE_1)
	v_cmp_le_u16_e64 s5, v21, v26
	s_and_b32 s4, s4, s5
	s_or_b32 s4, s6, s4
	s_delay_alu instid0(SALU_CYCLE_1) | instskip(NEXT) | instid1(VALU_DEP_1)
	v_cndmask_b32_e64 v21, v18, v20, s4
	v_dual_add_nc_u32 v26, 1, v21 :: v_dual_cndmask_b32 v25, v50, v24, s4
	s_delay_alu instid0(VALU_DEP_1) | instskip(NEXT) | instid1(VALU_DEP_2)
	v_cndmask_b32_e64 v20, v20, v26, s4
	v_add_min_u32_e64 v25, v25, -1, v26
	s_delay_alu instid0(VALU_DEP_2) | instskip(NEXT) | instid1(VALU_DEP_2)
	v_cmp_lt_u32_e64 s5, v20, v24
	v_dual_add_nc_u32 v25, v12, v25 :: v_dual_cndmask_b32 v18, v26, v18, s4
	ds_load_u8 v25, v25
	v_cmp_ge_u32_e64 s7, v18, v50
	s_wait_dscnt 0x0
	v_cndmask_b32_e64 v27, v25, v19, s4
	v_cndmask_b32_e64 v25, v17, v25, s4
	s_delay_alu instid0(VALU_DEP_2) | instskip(NEXT) | instid1(VALU_DEP_2)
	v_and_b32_e32 v28, 0xff, v27
	v_and_b32_e32 v29, 0xff, v25
	s_delay_alu instid0(VALU_DEP_1) | instskip(SKIP_1) | instid1(SALU_CYCLE_1)
	v_cmp_le_u16_e64 s6, v28, v29
	s_and_b32 s5, s5, s6
	s_or_b32 s5, s7, s5
	s_delay_alu instid0(SALU_CYCLE_1) | instskip(SKIP_1) | instid1(VALU_DEP_2)
	v_cndmask_b32_e64 v26, v18, v20, s5
	v_dual_cndmask_b32 v28, v50, v24, s5 :: v_dual_cndmask_b32 v49, v27, v25, s5
	v_add_nc_u32_e32 v29, 1, v26
	s_delay_alu instid0(VALU_DEP_1)
	v_add_min_u32_e64 v28, v28, -1, v29
	v_dual_cndmask_b32 v18, v29, v18, s5 :: v_dual_cndmask_b32 v20, v20, v29, s5
	v_cndmask_b32_e64 v38, v15, v14, s3
	ds_load_b64 v[14:15], v16 offset:1024
	v_add_nc_u32_e32 v28, v12, v28
	v_cmp_ge_u32_e64 s8, v18, v50
	v_lshl_add_u32 v16, v21, 3, v10
	v_cmp_lt_u32_e64 s6, v20, v24
	ds_load_u8 v28, v28
	s_wait_dscnt 0x0
	v_dual_cndmask_b32 v30, v28, v27, s5 :: v_dual_cndmask_b32 v28, v25, v28, s5
	s_delay_alu instid0(VALU_DEP_1) | instskip(NEXT) | instid1(VALU_DEP_2)
	v_and_b32_e32 v31, 0xff, v30
	v_and_b32_e32 v32, 0xff, v28
	s_delay_alu instid0(VALU_DEP_1) | instskip(SKIP_1) | instid1(SALU_CYCLE_1)
	v_cmp_le_u16_e64 s7, v31, v32
	s_and_b32 s3, s6, s7
	s_or_b32 s3, s8, s3
	s_delay_alu instid0(SALU_CYCLE_1)
	v_dual_cndmask_b32 v39, v19, v17, s4 :: v_dual_cndmask_b32 v48, v30, v28, s3
	v_cndmask_b32_e64 v18, v18, v20, s3
	v_lshl_add_u32 v19, v26, 3, v10
	ds_load_b64 v[16:17], v16 offset:1024
	v_lshlrev_b16 v25, 8, v39
	v_lshlrev_b16 v24, 8, v48
	v_lshl_add_u32 v18, v18, 3, v10
	ds_load_b64 v[20:21], v19 offset:1024
	v_bitop3_b16 v25, v38, v25, 0xff bitop3:0xec
	v_bitop3_b16 v24, v49, v24, 0xff bitop3:0xec
	ds_load_b64 v[18:19], v18 offset:1024
	v_and_b32_e32 v25, 0xffff, v25
	v_lshlrev_b32_e32 v24, 16, v24
	s_delay_alu instid0(VALU_DEP_1)
	v_or_b32_e32 v32, v25, v24
.LBB93_126:
	s_or_b32 exec_lo, exec_lo, s9
	v_min_u32_e32 v24, 64, v5
	v_min_u32_e32 v27, v5, v0
	s_mov_b32 s4, exec_lo
	; wave barrier
	s_delay_alu instid0(VALU_DEP_2) | instskip(NEXT) | instid1(VALU_DEP_2)
	v_add_min_u32_e64 v26, v24, 64, v5
	v_min_u32_e32 v28, v27, v24
	ds_store_b8 v22, v38
	ds_store_b64 v34, v[14:15]
	ds_store_b8 v37, v39
	s_wait_dscnt 0x5
	ds_store_b64 v33, v[16:17]
	ds_store_b8 v36, v49
	s_wait_dscnt 0x6
	;; [unrolled: 3-line block ×3, first 2 shown]
	ds_store_b64 v11, v[18:19]
	v_sub_nc_u32_e32 v5, v26, v24
	; wave barrier
	s_delay_alu instid0(VALU_DEP_1) | instskip(NEXT) | instid1(VALU_DEP_1)
	v_sub_nc_u32_e64 v5, v27, v5 clamp
	v_cmpx_lt_u32_e64 v5, v28
	s_cbranch_execz .LBB93_130
; %bb.127:
	v_mov_b32_e32 v25, 0
	s_mov_b32 s5, 0
	s_delay_alu instid0(VALU_DEP_1)
	v_add_nc_u64_e32 v[22:23], v[12:13], v[24:25]
.LBB93_128:                             ; =>This Inner Loop Header: Depth=1
	v_add_nc_u32_e32 v11, v28, v5
	s_delay_alu instid0(VALU_DEP_1) | instskip(NEXT) | instid1(VALU_DEP_1)
	v_lshrrev_b32_e32 v11, 1, v11
	v_not_b32_e32 v13, v11
	v_dual_add_nc_u32 v23, v12, v11 :: v_dual_add_nc_u32 v25, 1, v11
	s_delay_alu instid0(VALU_DEP_2) | instskip(SKIP_4) | instid1(VALU_DEP_1)
	v_add3_u32 v13, v27, v13, v22
	ds_load_u8 v23, v23
	ds_load_u8 v13, v13
	s_wait_dscnt 0x0
	v_cmp_gt_u16_e64 s3, v13, v23
	v_dual_cndmask_b32 v28, v28, v11, s3 :: v_dual_cndmask_b32 v5, v25, v5, s3
	s_delay_alu instid0(VALU_DEP_1) | instskip(SKIP_1) | instid1(SALU_CYCLE_1)
	v_cmp_ge_u32_e64 s3, v5, v28
	s_or_b32 s5, s3, s5
	s_and_not1_b32 exec_lo, exec_lo, s5
	s_cbranch_execnz .LBB93_128
; %bb.129:
	s_or_b32 exec_lo, exec_lo, s5
.LBB93_130:
	s_delay_alu instid0(SALU_CYCLE_1) | instskip(SKIP_2) | instid1(VALU_DEP_2)
	s_or_b32 exec_lo, exec_lo, s4
	v_add_nc_u32_e32 v11, v24, v27
	v_cmp_le_u32_e64 s3, v5, v24
	v_sub_nc_u32_e32 v22, v11, v5
	s_delay_alu instid0(VALU_DEP_1) | instskip(SKIP_1) | instid1(SALU_CYCLE_1)
	v_cmp_le_u32_e64 s4, v22, v26
	s_or_b32 s3, s3, s4
	s_and_saveexec_b32 s9, s3
	s_cbranch_execz .LBB93_136
; %bb.131:
	v_cmp_lt_u32_e64 s3, v5, v24
                                        ; implicit-def: $vgpr11
	s_and_saveexec_b32 s4, s3
; %bb.132:
	v_add_nc_u32_e32 v11, v12, v5
	ds_load_u8 v11, v11
; %bb.133:
	s_or_b32 exec_lo, exec_lo, s4
	v_cmp_ge_u32_e64 s4, v22, v26
	s_mov_b32 s6, exec_lo
                                        ; implicit-def: $vgpr13
	v_cmpx_lt_u32_e64 v22, v26
; %bb.134:
	v_add_nc_u32_e32 v13, v12, v22
	ds_load_u8 v13, v13
; %bb.135:
	s_or_b32 exec_lo, exec_lo, s6
	s_wait_dscnt 0x0
	v_and_b32_e32 v14, 0xff, v11
	v_and_b32_e32 v15, 0xff, v13
	s_delay_alu instid0(VALU_DEP_1) | instskip(SKIP_1) | instid1(SALU_CYCLE_1)
	v_cmp_le_u16_e64 s5, v15, v14
	s_and_b32 s3, s3, s5
	s_or_b32 s3, s4, s3
	s_delay_alu instid0(SALU_CYCLE_1) | instskip(NEXT) | instid1(VALU_DEP_1)
	v_cndmask_b32_e64 v14, v22, v5, s3
	v_dual_cndmask_b32 v15, v26, v24, s3 :: v_dual_add_nc_u32 v16, 1, v14
	s_delay_alu instid0(VALU_DEP_1) | instskip(SKIP_1) | instid1(VALU_DEP_2)
	v_add_min_u32_e64 v15, v15, -1, v16
	v_dual_cndmask_b32 v5, v5, v16, s3 :: v_dual_cndmask_b32 v16, v16, v22, s3
	v_add_nc_u32_e32 v15, v12, v15
	v_lshl_add_u32 v14, v14, 3, v10
	s_delay_alu instid0(VALU_DEP_3) | instskip(NEXT) | instid1(VALU_DEP_4)
	v_cmp_lt_u32_e64 s4, v5, v24
	v_cmp_ge_u32_e64 s6, v16, v26
	ds_load_u8 v15, v15
	s_wait_dscnt 0x0
	v_cndmask_b32_e64 v17, v15, v13, s3
	v_cndmask_b32_e64 v18, v11, v15, s3
	s_delay_alu instid0(VALU_DEP_2) | instskip(NEXT) | instid1(VALU_DEP_2)
	v_and_b32_e32 v15, 0xff, v17
	v_and_b32_e32 v19, 0xff, v18
	s_delay_alu instid0(VALU_DEP_1) | instskip(SKIP_1) | instid1(SALU_CYCLE_1)
	v_cmp_le_u16_e64 s5, v15, v19
	s_and_b32 s4, s4, s5
	s_or_b32 s4, s6, s4
	s_delay_alu instid0(SALU_CYCLE_1) | instskip(NEXT) | instid1(VALU_DEP_1)
	v_dual_cndmask_b32 v19, v16, v5, s4 :: v_dual_cndmask_b32 v15, v26, v24, s4
	v_add_nc_u32_e32 v20, 1, v19
	s_delay_alu instid0(VALU_DEP_1) | instskip(NEXT) | instid1(VALU_DEP_1)
	v_add_min_u32_e64 v15, v15, -1, v20
	v_add_nc_u32_e32 v15, v12, v15
	ds_load_u8 v15, v15
	s_wait_dscnt 0x0
	v_dual_cndmask_b32 v21, v15, v17, s4 :: v_dual_cndmask_b32 v22, v18, v15, s4
	v_cndmask_b32_e64 v16, v20, v16, s4
	v_cndmask_b32_e64 v5, v5, v20, s4
	;; [unrolled: 1-line block ×3, first 2 shown]
	s_delay_alu instid0(VALU_DEP_4) | instskip(SKIP_3) | instid1(VALU_DEP_3)
	v_and_b32_e32 v15, 0xff, v21
	v_and_b32_e32 v23, 0xff, v22
	v_cmp_ge_u32_e64 s7, v16, v26
	v_cmp_lt_u32_e64 s5, v5, v24
	v_cmp_le_u16_e64 s6, v15, v23
	s_and_b32 s5, s5, s6
	s_delay_alu instid0(SALU_CYCLE_1) | instskip(NEXT) | instid1(SALU_CYCLE_1)
	s_or_b32 s5, s7, s5
	v_dual_cndmask_b32 v20, v16, v5, s5 :: v_dual_cndmask_b32 v15, v26, v24, s5
	s_delay_alu instid0(VALU_DEP_1) | instskip(NEXT) | instid1(VALU_DEP_1)
	v_add_nc_u32_e32 v23, 1, v20
	v_add_min_u32_e64 v15, v15, -1, v23
	s_delay_alu instid0(VALU_DEP_1)
	v_add_nc_u32_e32 v12, v12, v15
	v_dual_cndmask_b32 v5, v5, v23, s5 :: v_dual_cndmask_b32 v16, v23, v16, s5
	v_cndmask_b32_e64 v11, v13, v11, s3
	v_lshl_add_u32 v13, v19, 3, v10
	ds_load_u8 v12, v12
	v_cmp_lt_u32_e64 s6, v5, v24
	v_cmp_ge_u32_e64 s8, v16, v26
	v_lshl_add_u32 v19, v20, 3, v10
	s_wait_dscnt 0x0
	v_dual_cndmask_b32 v25, v12, v21, s5 :: v_dual_cndmask_b32 v12, v22, v12, s5
	s_delay_alu instid0(VALU_DEP_1) | instskip(NEXT) | instid1(VALU_DEP_2)
	v_and_b32_e32 v15, 0xff, v25
	v_and_b32_e32 v27, 0xff, v12
	s_delay_alu instid0(VALU_DEP_1) | instskip(SKIP_2) | instid1(SALU_CYCLE_1)
	v_cmp_le_u16_e64 s7, v15, v27
	ds_load_b64 v[14:15], v14 offset:1024
	s_and_b32 s3, s6, s7
	s_or_b32 s3, s8, s3
	s_delay_alu instid0(SALU_CYCLE_1)
	v_dual_cndmask_b32 v5, v16, v5, s3 :: v_dual_cndmask_b32 v12, v25, v12, s3
	ds_load_b64 v[16:17], v13 offset:1024
	v_lshlrev_b16 v13, 8, v18
	v_lshl_add_u32 v5, v5, 3, v10
	v_cndmask_b32_e64 v10, v21, v22, s5
	ds_load_b64 v[20:21], v19 offset:1024
	v_lshlrev_b16 v12, 8, v12
	ds_load_b64 v[18:19], v5 offset:1024
	v_bitop3_b16 v5, v10, v12, 0xff bitop3:0xec
	v_bitop3_b16 v10, v11, v13, 0xff bitop3:0xec
	s_delay_alu instid0(VALU_DEP_2) | instskip(NEXT) | instid1(VALU_DEP_2)
	v_lshlrev_b32_e32 v5, 16, v5
	v_and_b32_e32 v10, 0xffff, v10
	s_delay_alu instid0(VALU_DEP_1)
	v_or_b32_e32 v32, v10, v5
.LBB93_136:
	s_or_b32 exec_lo, exec_lo, s9
	; wave barrier
	s_wait_storecnt_dscnt 0x0
	s_barrier_signal -1
	s_barrier_wait -1
.LBB93_137:
	s_or_b32 exec_lo, exec_lo, s10
	v_add_nc_u64_e32 v[2:3], v[2:3], v[8:9]
	s_wait_storecnt 0x0
	; wave barrier
	s_wait_loadcnt_dscnt 0x0
	s_delay_alu instid0(VALU_DEP_1)
	v_add_nc_u64_e32 v[0:1], v[2:3], v[0:1]
	s_and_saveexec_b32 s3, vcc_lo
	s_cbranch_execnz .LBB93_150
; %bb.138:
	s_or_b32 exec_lo, exec_lo, s3
	s_and_saveexec_b32 s3, s0
	s_cbranch_execnz .LBB93_151
.LBB93_139:
	s_or_b32 exec_lo, exec_lo, s3
	s_and_saveexec_b32 s3, s1
	s_cbranch_execnz .LBB93_152
.LBB93_140:
	s_or_b32 exec_lo, exec_lo, s3
	s_and_saveexec_b32 s3, s2
	s_cbranch_execz .LBB93_142
.LBB93_141:
	v_lshrrev_b32_e32 v2, 24, v32
	flat_store_b8 v[0:1], v2 offset:3
.LBB93_142:
	s_wait_xcnt 0x0
	s_or_b32 exec_lo, exec_lo, s3
	v_lshl_add_u64 v[0:1], v[8:9], 3, v[6:7]
	v_mov_b32_e32 v5, 0
	; wave barrier
	s_delay_alu instid0(VALU_DEP_1)
	v_add_nc_u64_e32 v[0:1], v[0:1], v[4:5]
	s_and_saveexec_b32 s3, vcc_lo
	s_cbranch_execnz .LBB93_153
; %bb.143:
	s_or_b32 exec_lo, exec_lo, s3
	s_and_saveexec_b32 s3, s0
	s_cbranch_execnz .LBB93_154
.LBB93_144:
	s_or_b32 exec_lo, exec_lo, s3
	s_and_saveexec_b32 s0, s1
	s_cbranch_execnz .LBB93_155
.LBB93_145:
	s_or_b32 exec_lo, exec_lo, s0
	s_and_saveexec_b32 s0, s2
	s_cbranch_execnz .LBB93_156
.LBB93_146:
	s_or_b32 exec_lo, exec_lo, s0
	s_wait_dscnt 0x0
	s_set_pc_i64 s[30:31]
.LBB93_147:
	flat_load_b64 v[14:15], v[22:23]
	s_wait_xcnt 0x0
	s_or_b32 exec_lo, exec_lo, s3
                                        ; implicit-def: $vgpr16_vgpr17
	s_and_saveexec_b32 s3, s0
	s_cbranch_execz .LBB93_10
.LBB93_148:
	flat_load_b64 v[16:17], v[22:23] offset:8
	s_wait_xcnt 0x0
	s_or_b32 exec_lo, exec_lo, s3
                                        ; implicit-def: $vgpr20_vgpr21
	s_and_saveexec_b32 s3, s1
	s_cbranch_execz .LBB93_11
.LBB93_149:
	flat_load_b64 v[20:21], v[22:23] offset:16
	s_wait_xcnt 0x0
	s_or_b32 exec_lo, exec_lo, s3
                                        ; implicit-def: $vgpr18_vgpr19
	s_and_saveexec_b32 s3, s2
	s_cbranch_execnz .LBB93_12
	s_branch .LBB93_13
.LBB93_150:
	flat_store_b8 v[0:1], v32
	s_wait_xcnt 0x0
	s_or_b32 exec_lo, exec_lo, s3
	s_and_saveexec_b32 s3, s0
	s_cbranch_execz .LBB93_139
.LBB93_151:
	v_lshrrev_b32_e32 v2, 8, v32
	flat_store_b8 v[0:1], v2 offset:1
	s_wait_xcnt 0x0
	s_or_b32 exec_lo, exec_lo, s3
	s_and_saveexec_b32 s3, s1
	s_cbranch_execz .LBB93_140
.LBB93_152:
	flat_store_d16_hi_b8 v[0:1], v32 offset:2
	s_wait_xcnt 0x0
	s_or_b32 exec_lo, exec_lo, s3
	s_and_saveexec_b32 s3, s2
	s_cbranch_execnz .LBB93_141
	s_branch .LBB93_142
.LBB93_153:
	flat_store_b64 v[0:1], v[14:15]
	s_wait_xcnt 0x0
	s_or_b32 exec_lo, exec_lo, s3
	s_and_saveexec_b32 s3, s0
	s_cbranch_execz .LBB93_144
.LBB93_154:
	flat_store_b64 v[0:1], v[16:17] offset:8
	s_wait_xcnt 0x0
	s_or_b32 exec_lo, exec_lo, s3
	s_and_saveexec_b32 s0, s1
	s_cbranch_execz .LBB93_145
.LBB93_155:
	flat_store_b64 v[0:1], v[20:21] offset:16
	s_wait_xcnt 0x0
	s_or_b32 exec_lo, exec_lo, s0
	s_and_saveexec_b32 s0, s2
	s_cbranch_execz .LBB93_146
.LBB93_156:
	flat_store_b64 v[0:1], v[18:19] offset:24
	s_wait_xcnt 0x0
	s_or_b32 exec_lo, exec_lo, s0
	s_wait_dscnt 0x0
	s_set_pc_i64 s[30:31]
.Lfunc_end93:
	.size	_ZN7rocprim17ROCPRIM_400000_NS6detail26segmented_warp_sort_helperINS1_20WarpSortHelperConfigILj32ELj4ELj256EEEhlLi256ELb1EvE4sortIPKhPhPKlPlEEvT_T0_T1_T2_jjjjRNS5_12storage_typeE, .Lfunc_end93-_ZN7rocprim17ROCPRIM_400000_NS6detail26segmented_warp_sort_helperINS1_20WarpSortHelperConfigILj32ELj4ELj256EEEhlLi256ELb1EvE4sortIPKhPhPKlPlEEvT_T0_T1_T2_jjjjRNS5_12storage_typeE
                                        ; -- End function
	.set .L_ZN7rocprim17ROCPRIM_400000_NS6detail26segmented_warp_sort_helperINS1_20WarpSortHelperConfigILj32ELj4ELj256EEEhlLi256ELb1EvE4sortIPKhPhPKlPlEEvT_T0_T1_T2_jjjjRNS5_12storage_typeE.num_vgpr, 55
	.set .L_ZN7rocprim17ROCPRIM_400000_NS6detail26segmented_warp_sort_helperINS1_20WarpSortHelperConfigILj32ELj4ELj256EEEhlLi256ELb1EvE4sortIPKhPhPKlPlEEvT_T0_T1_T2_jjjjRNS5_12storage_typeE.num_agpr, 0
	.set .L_ZN7rocprim17ROCPRIM_400000_NS6detail26segmented_warp_sort_helperINS1_20WarpSortHelperConfigILj32ELj4ELj256EEEhlLi256ELb1EvE4sortIPKhPhPKlPlEEvT_T0_T1_T2_jjjjRNS5_12storage_typeE.numbered_sgpr, 32
	.set .L_ZN7rocprim17ROCPRIM_400000_NS6detail26segmented_warp_sort_helperINS1_20WarpSortHelperConfigILj32ELj4ELj256EEEhlLi256ELb1EvE4sortIPKhPhPKlPlEEvT_T0_T1_T2_jjjjRNS5_12storage_typeE.num_named_barrier, 0
	.set .L_ZN7rocprim17ROCPRIM_400000_NS6detail26segmented_warp_sort_helperINS1_20WarpSortHelperConfigILj32ELj4ELj256EEEhlLi256ELb1EvE4sortIPKhPhPKlPlEEvT_T0_T1_T2_jjjjRNS5_12storage_typeE.private_seg_size, 0
	.set .L_ZN7rocprim17ROCPRIM_400000_NS6detail26segmented_warp_sort_helperINS1_20WarpSortHelperConfigILj32ELj4ELj256EEEhlLi256ELb1EvE4sortIPKhPhPKlPlEEvT_T0_T1_T2_jjjjRNS5_12storage_typeE.uses_vcc, 1
	.set .L_ZN7rocprim17ROCPRIM_400000_NS6detail26segmented_warp_sort_helperINS1_20WarpSortHelperConfigILj32ELj4ELj256EEEhlLi256ELb1EvE4sortIPKhPhPKlPlEEvT_T0_T1_T2_jjjjRNS5_12storage_typeE.uses_flat_scratch, 0
	.set .L_ZN7rocprim17ROCPRIM_400000_NS6detail26segmented_warp_sort_helperINS1_20WarpSortHelperConfigILj32ELj4ELj256EEEhlLi256ELb1EvE4sortIPKhPhPKlPlEEvT_T0_T1_T2_jjjjRNS5_12storage_typeE.has_dyn_sized_stack, 0
	.set .L_ZN7rocprim17ROCPRIM_400000_NS6detail26segmented_warp_sort_helperINS1_20WarpSortHelperConfigILj32ELj4ELj256EEEhlLi256ELb1EvE4sortIPKhPhPKlPlEEvT_T0_T1_T2_jjjjRNS5_12storage_typeE.has_recursion, 0
	.set .L_ZN7rocprim17ROCPRIM_400000_NS6detail26segmented_warp_sort_helperINS1_20WarpSortHelperConfigILj32ELj4ELj256EEEhlLi256ELb1EvE4sortIPKhPhPKlPlEEvT_T0_T1_T2_jjjjRNS5_12storage_typeE.has_indirect_call, 0
	.section	.AMDGPU.csdata,"",@progbits
; Function info:
; codeLenInByte = 13188
; TotalNumSgprs: 34
; NumVgprs: 55
; ScratchSize: 0
; MemoryBound: 0
	.section	.text._ZN7rocprim17ROCPRIM_400000_NS6detail17trampoline_kernelINS0_14default_configENS1_36segmented_radix_sort_config_selectorIhlEEZNS1_25segmented_radix_sort_implIS3_Lb1EPKhPhPKlPlN2at6native12_GLOBAL__N_18offset_tEEE10hipError_tPvRmT1_PNSt15iterator_traitsISK_E10value_typeET2_T3_PNSL_ISQ_E10value_typeET4_jRbjT5_SW_jjP12ihipStream_tbEUlT_E0_NS1_11comp_targetILNS1_3genE0ELNS1_11target_archE4294967295ELNS1_3gpuE0ELNS1_3repE0EEENS1_60segmented_radix_sort_warp_sort_medium_config_static_selectorELNS0_4arch9wavefront6targetE0EEEvSK_,"axG",@progbits,_ZN7rocprim17ROCPRIM_400000_NS6detail17trampoline_kernelINS0_14default_configENS1_36segmented_radix_sort_config_selectorIhlEEZNS1_25segmented_radix_sort_implIS3_Lb1EPKhPhPKlPlN2at6native12_GLOBAL__N_18offset_tEEE10hipError_tPvRmT1_PNSt15iterator_traitsISK_E10value_typeET2_T3_PNSL_ISQ_E10value_typeET4_jRbjT5_SW_jjP12ihipStream_tbEUlT_E0_NS1_11comp_targetILNS1_3genE0ELNS1_11target_archE4294967295ELNS1_3gpuE0ELNS1_3repE0EEENS1_60segmented_radix_sort_warp_sort_medium_config_static_selectorELNS0_4arch9wavefront6targetE0EEEvSK_,comdat
	.globl	_ZN7rocprim17ROCPRIM_400000_NS6detail17trampoline_kernelINS0_14default_configENS1_36segmented_radix_sort_config_selectorIhlEEZNS1_25segmented_radix_sort_implIS3_Lb1EPKhPhPKlPlN2at6native12_GLOBAL__N_18offset_tEEE10hipError_tPvRmT1_PNSt15iterator_traitsISK_E10value_typeET2_T3_PNSL_ISQ_E10value_typeET4_jRbjT5_SW_jjP12ihipStream_tbEUlT_E0_NS1_11comp_targetILNS1_3genE0ELNS1_11target_archE4294967295ELNS1_3gpuE0ELNS1_3repE0EEENS1_60segmented_radix_sort_warp_sort_medium_config_static_selectorELNS0_4arch9wavefront6targetE0EEEvSK_ ; -- Begin function _ZN7rocprim17ROCPRIM_400000_NS6detail17trampoline_kernelINS0_14default_configENS1_36segmented_radix_sort_config_selectorIhlEEZNS1_25segmented_radix_sort_implIS3_Lb1EPKhPhPKlPlN2at6native12_GLOBAL__N_18offset_tEEE10hipError_tPvRmT1_PNSt15iterator_traitsISK_E10value_typeET2_T3_PNSL_ISQ_E10value_typeET4_jRbjT5_SW_jjP12ihipStream_tbEUlT_E0_NS1_11comp_targetILNS1_3genE0ELNS1_11target_archE4294967295ELNS1_3gpuE0ELNS1_3repE0EEENS1_60segmented_radix_sort_warp_sort_medium_config_static_selectorELNS0_4arch9wavefront6targetE0EEEvSK_
	.p2align	8
	.type	_ZN7rocprim17ROCPRIM_400000_NS6detail17trampoline_kernelINS0_14default_configENS1_36segmented_radix_sort_config_selectorIhlEEZNS1_25segmented_radix_sort_implIS3_Lb1EPKhPhPKlPlN2at6native12_GLOBAL__N_18offset_tEEE10hipError_tPvRmT1_PNSt15iterator_traitsISK_E10value_typeET2_T3_PNSL_ISQ_E10value_typeET4_jRbjT5_SW_jjP12ihipStream_tbEUlT_E0_NS1_11comp_targetILNS1_3genE0ELNS1_11target_archE4294967295ELNS1_3gpuE0ELNS1_3repE0EEENS1_60segmented_radix_sort_warp_sort_medium_config_static_selectorELNS0_4arch9wavefront6targetE0EEEvSK_,@function
_ZN7rocprim17ROCPRIM_400000_NS6detail17trampoline_kernelINS0_14default_configENS1_36segmented_radix_sort_config_selectorIhlEEZNS1_25segmented_radix_sort_implIS3_Lb1EPKhPhPKlPlN2at6native12_GLOBAL__N_18offset_tEEE10hipError_tPvRmT1_PNSt15iterator_traitsISK_E10value_typeET2_T3_PNSL_ISQ_E10value_typeET4_jRbjT5_SW_jjP12ihipStream_tbEUlT_E0_NS1_11comp_targetILNS1_3genE0ELNS1_11target_archE4294967295ELNS1_3gpuE0ELNS1_3repE0EEENS1_60segmented_radix_sort_warp_sort_medium_config_static_selectorELNS0_4arch9wavefront6targetE0EEEvSK_: ; @_ZN7rocprim17ROCPRIM_400000_NS6detail17trampoline_kernelINS0_14default_configENS1_36segmented_radix_sort_config_selectorIhlEEZNS1_25segmented_radix_sort_implIS3_Lb1EPKhPhPKlPlN2at6native12_GLOBAL__N_18offset_tEEE10hipError_tPvRmT1_PNSt15iterator_traitsISK_E10value_typeET2_T3_PNSL_ISQ_E10value_typeET4_jRbjT5_SW_jjP12ihipStream_tbEUlT_E0_NS1_11comp_targetILNS1_3genE0ELNS1_11target_archE4294967295ELNS1_3gpuE0ELNS1_3repE0EEENS1_60segmented_radix_sort_warp_sort_medium_config_static_selectorELNS0_4arch9wavefront6targetE0EEEvSK_
; %bb.0:
	s_load_b32 s4, s[2:3], 0x64
	v_bfe_u32 v1, v0, 10, 10
	v_bfe_u32 v2, v0, 20, 10
	v_and_b32_e32 v3, 0x3ff, v0
	s_and_b32 s6, ttmp6, 15
	s_getreg_b32 s7, hwreg(HW_REG_IB_STS2, 6, 4)
	s_mov_b32 s32, 0
	s_wait_kmcnt 0x0
	s_lshr_b32 s5, s4, 16
	s_and_b32 s4, s4, 0xffff
	v_mad_u32_u24 v1, v2, s5, v1
	s_bfe_u32 s5, ttmp6, 0x4000c
	s_delay_alu instid0(SALU_CYCLE_1) | instskip(NEXT) | instid1(SALU_CYCLE_1)
	s_add_co_i32 s5, s5, 1
	s_mul_i32 s5, ttmp9, s5
	s_delay_alu instid0(VALU_DEP_1) | instskip(SKIP_4) | instid1(VALU_DEP_1)
	v_mad_u32 v1, v1, s4, v3
	s_load_b32 s4, s[2:3], 0x34
	s_add_co_i32 s6, s6, s5
	s_cmp_eq_u32 s7, 0
	s_cselect_b32 s5, ttmp9, s6
	v_lshrrev_b32_e32 v1, 5, v1
	s_delay_alu instid0(VALU_DEP_1) | instskip(SKIP_1) | instid1(VALU_DEP_1)
	v_lshl_add_u32 v1, s5, 3, v1
	s_wait_kmcnt 0x0
	v_cmp_gt_u32_e32 vcc_lo, s4, v1
	s_and_saveexec_b32 s4, vcc_lo
	s_cbranch_execz .LBB94_6
; %bb.1:
	s_clause 0x1
	s_load_b64 s[8:9], s[2:3], 0x38
	s_load_b128 s[4:7], s[2:3], 0x40
	s_wait_kmcnt 0x0
	global_load_b32 v1, v1, s[8:9] scale_offset
	s_wait_loadcnt 0x0
	v_dual_add_nc_u32 v2, s5, v1 :: v_dual_add_nc_u32 v1, s7, v1
	s_delay_alu instid0(VALU_DEP_1) | instskip(NEXT) | instid1(VALU_DEP_2)
	v_mul_lo_u32 v8, v2, s4
	v_mul_lo_u32 v40, v1, s6
	s_delay_alu instid0(VALU_DEP_1)
	v_cmp_gt_u32_e32 vcc_lo, v40, v8
	s_and_b32 exec_lo, exec_lo, vcc_lo
	s_cbranch_execz .LBB94_6
; %bb.2:
	s_clause 0x3
	s_load_b32 s4, s[2:3], 0x30
	s_load_b128 s[36:39], s[2:3], 0x20
	s_load_b256 s[20:27], s[2:3], 0x0
	s_load_b64 s[18:19], s[2:3], 0x50
	s_add_nc_u64 s[16:17], s[2:3], 0x58
	s_get_pc_i64 s[28:29]
	s_add_nc_u64 s[28:29], s[28:29], _ZN7rocprim17ROCPRIM_400000_NS6detail26segmented_warp_sort_helperINS1_20WarpSortHelperConfigILj32ELj4ELj256EEEhlLi256ELb1EvE4sortIPKhPhPKlPlEEvT_T0_T1_T2_jjjjRNS5_12storage_typeE@rel64+4
	s_wait_kmcnt 0x0
	s_bitcmp0_b32 s4, 0
	s_mov_b32 s4, -1
	s_cbranch_scc0 .LBB94_4
; %bb.3:
	s_mov_b64 s[2:3], src_shared_base
	v_dual_mov_b32 v31, v0 :: v_dual_mov_b32 v41, v0
	v_dual_mov_b32 v0, s20 :: v_dual_mov_b32 v1, s21
	;; [unrolled: 1-line block ×7, first 2 shown]
	v_mov_b32_e32 v13, s3
	s_mov_b64 s[6:7], s[0:1]
	s_mov_b64 s[8:9], s[16:17]
	;; [unrolled: 1-line block ×3, first 2 shown]
	s_swap_pc_i64 s[30:31], s[28:29]
	v_mov_b32_e32 v0, v41
	s_mov_b64 s[0:1], s[22:23]
	s_mov_b32 s4, 0
.LBB94_4:
	s_delay_alu instid0(SALU_CYCLE_1)
	s_and_not1_b32 vcc_lo, exec_lo, s4
	s_cbranch_vccnz .LBB94_6
; %bb.5:
	s_mov_b64 s[2:3], src_shared_base
	v_dual_mov_b32 v31, v0 :: v_dual_mov_b32 v0, s20
	v_dual_mov_b32 v1, s21 :: v_dual_mov_b32 v2, s24
	;; [unrolled: 1-line block ×7, first 2 shown]
	s_mov_b64 s[6:7], s[0:1]
	s_mov_b64 s[8:9], s[16:17]
	s_swap_pc_i64 s[30:31], s[28:29]
.LBB94_6:
	s_endpgm
	.section	.rodata,"a",@progbits
	.p2align	6, 0x0
	.amdhsa_kernel _ZN7rocprim17ROCPRIM_400000_NS6detail17trampoline_kernelINS0_14default_configENS1_36segmented_radix_sort_config_selectorIhlEEZNS1_25segmented_radix_sort_implIS3_Lb1EPKhPhPKlPlN2at6native12_GLOBAL__N_18offset_tEEE10hipError_tPvRmT1_PNSt15iterator_traitsISK_E10value_typeET2_T3_PNSL_ISQ_E10value_typeET4_jRbjT5_SW_jjP12ihipStream_tbEUlT_E0_NS1_11comp_targetILNS1_3genE0ELNS1_11target_archE4294967295ELNS1_3gpuE0ELNS1_3repE0EEENS1_60segmented_radix_sort_warp_sort_medium_config_static_selectorELNS0_4arch9wavefront6targetE0EEEvSK_
		.amdhsa_group_segment_fixed_size 9216
		.amdhsa_private_segment_fixed_size 0
		.amdhsa_kernarg_size 344
		.amdhsa_user_sgpr_count 4
		.amdhsa_user_sgpr_dispatch_ptr 0
		.amdhsa_user_sgpr_queue_ptr 1
		.amdhsa_user_sgpr_kernarg_segment_ptr 1
		.amdhsa_user_sgpr_dispatch_id 0
		.amdhsa_user_sgpr_kernarg_preload_length 0
		.amdhsa_user_sgpr_kernarg_preload_offset 0
		.amdhsa_user_sgpr_private_segment_size 0
		.amdhsa_wavefront_size32 1
		.amdhsa_uses_dynamic_stack 0
		.amdhsa_enable_private_segment 0
		.amdhsa_system_sgpr_workgroup_id_x 1
		.amdhsa_system_sgpr_workgroup_id_y 1
		.amdhsa_system_sgpr_workgroup_id_z 0
		.amdhsa_system_sgpr_workgroup_info 0
		.amdhsa_system_vgpr_workitem_id 2
		.amdhsa_next_free_vgpr 55
		.amdhsa_next_free_sgpr 40
		.amdhsa_named_barrier_count 0
		.amdhsa_reserve_vcc 1
		.amdhsa_float_round_mode_32 0
		.amdhsa_float_round_mode_16_64 0
		.amdhsa_float_denorm_mode_32 3
		.amdhsa_float_denorm_mode_16_64 3
		.amdhsa_fp16_overflow 0
		.amdhsa_memory_ordered 1
		.amdhsa_forward_progress 1
		.amdhsa_inst_pref_size 4
		.amdhsa_round_robin_scheduling 0
		.amdhsa_exception_fp_ieee_invalid_op 0
		.amdhsa_exception_fp_denorm_src 0
		.amdhsa_exception_fp_ieee_div_zero 0
		.amdhsa_exception_fp_ieee_overflow 0
		.amdhsa_exception_fp_ieee_underflow 0
		.amdhsa_exception_fp_ieee_inexact 0
		.amdhsa_exception_int_div_zero 0
	.end_amdhsa_kernel
	.section	.text._ZN7rocprim17ROCPRIM_400000_NS6detail17trampoline_kernelINS0_14default_configENS1_36segmented_radix_sort_config_selectorIhlEEZNS1_25segmented_radix_sort_implIS3_Lb1EPKhPhPKlPlN2at6native12_GLOBAL__N_18offset_tEEE10hipError_tPvRmT1_PNSt15iterator_traitsISK_E10value_typeET2_T3_PNSL_ISQ_E10value_typeET4_jRbjT5_SW_jjP12ihipStream_tbEUlT_E0_NS1_11comp_targetILNS1_3genE0ELNS1_11target_archE4294967295ELNS1_3gpuE0ELNS1_3repE0EEENS1_60segmented_radix_sort_warp_sort_medium_config_static_selectorELNS0_4arch9wavefront6targetE0EEEvSK_,"axG",@progbits,_ZN7rocprim17ROCPRIM_400000_NS6detail17trampoline_kernelINS0_14default_configENS1_36segmented_radix_sort_config_selectorIhlEEZNS1_25segmented_radix_sort_implIS3_Lb1EPKhPhPKlPlN2at6native12_GLOBAL__N_18offset_tEEE10hipError_tPvRmT1_PNSt15iterator_traitsISK_E10value_typeET2_T3_PNSL_ISQ_E10value_typeET4_jRbjT5_SW_jjP12ihipStream_tbEUlT_E0_NS1_11comp_targetILNS1_3genE0ELNS1_11target_archE4294967295ELNS1_3gpuE0ELNS1_3repE0EEENS1_60segmented_radix_sort_warp_sort_medium_config_static_selectorELNS0_4arch9wavefront6targetE0EEEvSK_,comdat
.Lfunc_end94:
	.size	_ZN7rocprim17ROCPRIM_400000_NS6detail17trampoline_kernelINS0_14default_configENS1_36segmented_radix_sort_config_selectorIhlEEZNS1_25segmented_radix_sort_implIS3_Lb1EPKhPhPKlPlN2at6native12_GLOBAL__N_18offset_tEEE10hipError_tPvRmT1_PNSt15iterator_traitsISK_E10value_typeET2_T3_PNSL_ISQ_E10value_typeET4_jRbjT5_SW_jjP12ihipStream_tbEUlT_E0_NS1_11comp_targetILNS1_3genE0ELNS1_11target_archE4294967295ELNS1_3gpuE0ELNS1_3repE0EEENS1_60segmented_radix_sort_warp_sort_medium_config_static_selectorELNS0_4arch9wavefront6targetE0EEEvSK_, .Lfunc_end94-_ZN7rocprim17ROCPRIM_400000_NS6detail17trampoline_kernelINS0_14default_configENS1_36segmented_radix_sort_config_selectorIhlEEZNS1_25segmented_radix_sort_implIS3_Lb1EPKhPhPKlPlN2at6native12_GLOBAL__N_18offset_tEEE10hipError_tPvRmT1_PNSt15iterator_traitsISK_E10value_typeET2_T3_PNSL_ISQ_E10value_typeET4_jRbjT5_SW_jjP12ihipStream_tbEUlT_E0_NS1_11comp_targetILNS1_3genE0ELNS1_11target_archE4294967295ELNS1_3gpuE0ELNS1_3repE0EEENS1_60segmented_radix_sort_warp_sort_medium_config_static_selectorELNS0_4arch9wavefront6targetE0EEEvSK_
                                        ; -- End function
	.set _ZN7rocprim17ROCPRIM_400000_NS6detail17trampoline_kernelINS0_14default_configENS1_36segmented_radix_sort_config_selectorIhlEEZNS1_25segmented_radix_sort_implIS3_Lb1EPKhPhPKlPlN2at6native12_GLOBAL__N_18offset_tEEE10hipError_tPvRmT1_PNSt15iterator_traitsISK_E10value_typeET2_T3_PNSL_ISQ_E10value_typeET4_jRbjT5_SW_jjP12ihipStream_tbEUlT_E0_NS1_11comp_targetILNS1_3genE0ELNS1_11target_archE4294967295ELNS1_3gpuE0ELNS1_3repE0EEENS1_60segmented_radix_sort_warp_sort_medium_config_static_selectorELNS0_4arch9wavefront6targetE0EEEvSK_.num_vgpr, max(42, .L_ZN7rocprim17ROCPRIM_400000_NS6detail26segmented_warp_sort_helperINS1_20WarpSortHelperConfigILj32ELj4ELj256EEEhlLi256ELb1EvE4sortIPKhPhPKlPlEEvT_T0_T1_T2_jjjjRNS5_12storage_typeE.num_vgpr)
	.set _ZN7rocprim17ROCPRIM_400000_NS6detail17trampoline_kernelINS0_14default_configENS1_36segmented_radix_sort_config_selectorIhlEEZNS1_25segmented_radix_sort_implIS3_Lb1EPKhPhPKlPlN2at6native12_GLOBAL__N_18offset_tEEE10hipError_tPvRmT1_PNSt15iterator_traitsISK_E10value_typeET2_T3_PNSL_ISQ_E10value_typeET4_jRbjT5_SW_jjP12ihipStream_tbEUlT_E0_NS1_11comp_targetILNS1_3genE0ELNS1_11target_archE4294967295ELNS1_3gpuE0ELNS1_3repE0EEENS1_60segmented_radix_sort_warp_sort_medium_config_static_selectorELNS0_4arch9wavefront6targetE0EEEvSK_.num_agpr, max(0, .L_ZN7rocprim17ROCPRIM_400000_NS6detail26segmented_warp_sort_helperINS1_20WarpSortHelperConfigILj32ELj4ELj256EEEhlLi256ELb1EvE4sortIPKhPhPKlPlEEvT_T0_T1_T2_jjjjRNS5_12storage_typeE.num_agpr)
	.set _ZN7rocprim17ROCPRIM_400000_NS6detail17trampoline_kernelINS0_14default_configENS1_36segmented_radix_sort_config_selectorIhlEEZNS1_25segmented_radix_sort_implIS3_Lb1EPKhPhPKlPlN2at6native12_GLOBAL__N_18offset_tEEE10hipError_tPvRmT1_PNSt15iterator_traitsISK_E10value_typeET2_T3_PNSL_ISQ_E10value_typeET4_jRbjT5_SW_jjP12ihipStream_tbEUlT_E0_NS1_11comp_targetILNS1_3genE0ELNS1_11target_archE4294967295ELNS1_3gpuE0ELNS1_3repE0EEENS1_60segmented_radix_sort_warp_sort_medium_config_static_selectorELNS0_4arch9wavefront6targetE0EEEvSK_.numbered_sgpr, max(40, .L_ZN7rocprim17ROCPRIM_400000_NS6detail26segmented_warp_sort_helperINS1_20WarpSortHelperConfigILj32ELj4ELj256EEEhlLi256ELb1EvE4sortIPKhPhPKlPlEEvT_T0_T1_T2_jjjjRNS5_12storage_typeE.numbered_sgpr)
	.set _ZN7rocprim17ROCPRIM_400000_NS6detail17trampoline_kernelINS0_14default_configENS1_36segmented_radix_sort_config_selectorIhlEEZNS1_25segmented_radix_sort_implIS3_Lb1EPKhPhPKlPlN2at6native12_GLOBAL__N_18offset_tEEE10hipError_tPvRmT1_PNSt15iterator_traitsISK_E10value_typeET2_T3_PNSL_ISQ_E10value_typeET4_jRbjT5_SW_jjP12ihipStream_tbEUlT_E0_NS1_11comp_targetILNS1_3genE0ELNS1_11target_archE4294967295ELNS1_3gpuE0ELNS1_3repE0EEENS1_60segmented_radix_sort_warp_sort_medium_config_static_selectorELNS0_4arch9wavefront6targetE0EEEvSK_.num_named_barrier, max(0, .L_ZN7rocprim17ROCPRIM_400000_NS6detail26segmented_warp_sort_helperINS1_20WarpSortHelperConfigILj32ELj4ELj256EEEhlLi256ELb1EvE4sortIPKhPhPKlPlEEvT_T0_T1_T2_jjjjRNS5_12storage_typeE.num_named_barrier)
	.set _ZN7rocprim17ROCPRIM_400000_NS6detail17trampoline_kernelINS0_14default_configENS1_36segmented_radix_sort_config_selectorIhlEEZNS1_25segmented_radix_sort_implIS3_Lb1EPKhPhPKlPlN2at6native12_GLOBAL__N_18offset_tEEE10hipError_tPvRmT1_PNSt15iterator_traitsISK_E10value_typeET2_T3_PNSL_ISQ_E10value_typeET4_jRbjT5_SW_jjP12ihipStream_tbEUlT_E0_NS1_11comp_targetILNS1_3genE0ELNS1_11target_archE4294967295ELNS1_3gpuE0ELNS1_3repE0EEENS1_60segmented_radix_sort_warp_sort_medium_config_static_selectorELNS0_4arch9wavefront6targetE0EEEvSK_.private_seg_size, 0+max(.L_ZN7rocprim17ROCPRIM_400000_NS6detail26segmented_warp_sort_helperINS1_20WarpSortHelperConfigILj32ELj4ELj256EEEhlLi256ELb1EvE4sortIPKhPhPKlPlEEvT_T0_T1_T2_jjjjRNS5_12storage_typeE.private_seg_size)
	.set _ZN7rocprim17ROCPRIM_400000_NS6detail17trampoline_kernelINS0_14default_configENS1_36segmented_radix_sort_config_selectorIhlEEZNS1_25segmented_radix_sort_implIS3_Lb1EPKhPhPKlPlN2at6native12_GLOBAL__N_18offset_tEEE10hipError_tPvRmT1_PNSt15iterator_traitsISK_E10value_typeET2_T3_PNSL_ISQ_E10value_typeET4_jRbjT5_SW_jjP12ihipStream_tbEUlT_E0_NS1_11comp_targetILNS1_3genE0ELNS1_11target_archE4294967295ELNS1_3gpuE0ELNS1_3repE0EEENS1_60segmented_radix_sort_warp_sort_medium_config_static_selectorELNS0_4arch9wavefront6targetE0EEEvSK_.uses_vcc, or(1, .L_ZN7rocprim17ROCPRIM_400000_NS6detail26segmented_warp_sort_helperINS1_20WarpSortHelperConfigILj32ELj4ELj256EEEhlLi256ELb1EvE4sortIPKhPhPKlPlEEvT_T0_T1_T2_jjjjRNS5_12storage_typeE.uses_vcc)
	.set _ZN7rocprim17ROCPRIM_400000_NS6detail17trampoline_kernelINS0_14default_configENS1_36segmented_radix_sort_config_selectorIhlEEZNS1_25segmented_radix_sort_implIS3_Lb1EPKhPhPKlPlN2at6native12_GLOBAL__N_18offset_tEEE10hipError_tPvRmT1_PNSt15iterator_traitsISK_E10value_typeET2_T3_PNSL_ISQ_E10value_typeET4_jRbjT5_SW_jjP12ihipStream_tbEUlT_E0_NS1_11comp_targetILNS1_3genE0ELNS1_11target_archE4294967295ELNS1_3gpuE0ELNS1_3repE0EEENS1_60segmented_radix_sort_warp_sort_medium_config_static_selectorELNS0_4arch9wavefront6targetE0EEEvSK_.uses_flat_scratch, or(0, .L_ZN7rocprim17ROCPRIM_400000_NS6detail26segmented_warp_sort_helperINS1_20WarpSortHelperConfigILj32ELj4ELj256EEEhlLi256ELb1EvE4sortIPKhPhPKlPlEEvT_T0_T1_T2_jjjjRNS5_12storage_typeE.uses_flat_scratch)
	.set _ZN7rocprim17ROCPRIM_400000_NS6detail17trampoline_kernelINS0_14default_configENS1_36segmented_radix_sort_config_selectorIhlEEZNS1_25segmented_radix_sort_implIS3_Lb1EPKhPhPKlPlN2at6native12_GLOBAL__N_18offset_tEEE10hipError_tPvRmT1_PNSt15iterator_traitsISK_E10value_typeET2_T3_PNSL_ISQ_E10value_typeET4_jRbjT5_SW_jjP12ihipStream_tbEUlT_E0_NS1_11comp_targetILNS1_3genE0ELNS1_11target_archE4294967295ELNS1_3gpuE0ELNS1_3repE0EEENS1_60segmented_radix_sort_warp_sort_medium_config_static_selectorELNS0_4arch9wavefront6targetE0EEEvSK_.has_dyn_sized_stack, or(0, .L_ZN7rocprim17ROCPRIM_400000_NS6detail26segmented_warp_sort_helperINS1_20WarpSortHelperConfigILj32ELj4ELj256EEEhlLi256ELb1EvE4sortIPKhPhPKlPlEEvT_T0_T1_T2_jjjjRNS5_12storage_typeE.has_dyn_sized_stack)
	.set _ZN7rocprim17ROCPRIM_400000_NS6detail17trampoline_kernelINS0_14default_configENS1_36segmented_radix_sort_config_selectorIhlEEZNS1_25segmented_radix_sort_implIS3_Lb1EPKhPhPKlPlN2at6native12_GLOBAL__N_18offset_tEEE10hipError_tPvRmT1_PNSt15iterator_traitsISK_E10value_typeET2_T3_PNSL_ISQ_E10value_typeET4_jRbjT5_SW_jjP12ihipStream_tbEUlT_E0_NS1_11comp_targetILNS1_3genE0ELNS1_11target_archE4294967295ELNS1_3gpuE0ELNS1_3repE0EEENS1_60segmented_radix_sort_warp_sort_medium_config_static_selectorELNS0_4arch9wavefront6targetE0EEEvSK_.has_recursion, or(0, .L_ZN7rocprim17ROCPRIM_400000_NS6detail26segmented_warp_sort_helperINS1_20WarpSortHelperConfigILj32ELj4ELj256EEEhlLi256ELb1EvE4sortIPKhPhPKlPlEEvT_T0_T1_T2_jjjjRNS5_12storage_typeE.has_recursion)
	.set _ZN7rocprim17ROCPRIM_400000_NS6detail17trampoline_kernelINS0_14default_configENS1_36segmented_radix_sort_config_selectorIhlEEZNS1_25segmented_radix_sort_implIS3_Lb1EPKhPhPKlPlN2at6native12_GLOBAL__N_18offset_tEEE10hipError_tPvRmT1_PNSt15iterator_traitsISK_E10value_typeET2_T3_PNSL_ISQ_E10value_typeET4_jRbjT5_SW_jjP12ihipStream_tbEUlT_E0_NS1_11comp_targetILNS1_3genE0ELNS1_11target_archE4294967295ELNS1_3gpuE0ELNS1_3repE0EEENS1_60segmented_radix_sort_warp_sort_medium_config_static_selectorELNS0_4arch9wavefront6targetE0EEEvSK_.has_indirect_call, or(0, .L_ZN7rocprim17ROCPRIM_400000_NS6detail26segmented_warp_sort_helperINS1_20WarpSortHelperConfigILj32ELj4ELj256EEEhlLi256ELb1EvE4sortIPKhPhPKlPlEEvT_T0_T1_T2_jjjjRNS5_12storage_typeE.has_indirect_call)
	.section	.AMDGPU.csdata,"",@progbits
; Kernel info:
; codeLenInByte = 504
; TotalNumSgprs: 42
; NumVgprs: 55
; ScratchSize: 0
; MemoryBound: 0
; FloatMode: 240
; IeeeMode: 1
; LDSByteSize: 9216 bytes/workgroup (compile time only)
; SGPRBlocks: 0
; VGPRBlocks: 3
; NumSGPRsForWavesPerEU: 42
; NumVGPRsForWavesPerEU: 55
; NamedBarCnt: 0
; Occupancy: 16
; WaveLimiterHint : 0
; COMPUTE_PGM_RSRC2:SCRATCH_EN: 0
; COMPUTE_PGM_RSRC2:USER_SGPR: 4
; COMPUTE_PGM_RSRC2:TRAP_HANDLER: 0
; COMPUTE_PGM_RSRC2:TGID_X_EN: 1
; COMPUTE_PGM_RSRC2:TGID_Y_EN: 1
; COMPUTE_PGM_RSRC2:TGID_Z_EN: 0
; COMPUTE_PGM_RSRC2:TIDIG_COMP_CNT: 2
	.section	.text._ZN7rocprim17ROCPRIM_400000_NS6detail17trampoline_kernelINS0_14default_configENS1_36segmented_radix_sort_config_selectorIhlEEZNS1_25segmented_radix_sort_implIS3_Lb1EPKhPhPKlPlN2at6native12_GLOBAL__N_18offset_tEEE10hipError_tPvRmT1_PNSt15iterator_traitsISK_E10value_typeET2_T3_PNSL_ISQ_E10value_typeET4_jRbjT5_SW_jjP12ihipStream_tbEUlT_E0_NS1_11comp_targetILNS1_3genE5ELNS1_11target_archE942ELNS1_3gpuE9ELNS1_3repE0EEENS1_60segmented_radix_sort_warp_sort_medium_config_static_selectorELNS0_4arch9wavefront6targetE0EEEvSK_,"axG",@progbits,_ZN7rocprim17ROCPRIM_400000_NS6detail17trampoline_kernelINS0_14default_configENS1_36segmented_radix_sort_config_selectorIhlEEZNS1_25segmented_radix_sort_implIS3_Lb1EPKhPhPKlPlN2at6native12_GLOBAL__N_18offset_tEEE10hipError_tPvRmT1_PNSt15iterator_traitsISK_E10value_typeET2_T3_PNSL_ISQ_E10value_typeET4_jRbjT5_SW_jjP12ihipStream_tbEUlT_E0_NS1_11comp_targetILNS1_3genE5ELNS1_11target_archE942ELNS1_3gpuE9ELNS1_3repE0EEENS1_60segmented_radix_sort_warp_sort_medium_config_static_selectorELNS0_4arch9wavefront6targetE0EEEvSK_,comdat
	.globl	_ZN7rocprim17ROCPRIM_400000_NS6detail17trampoline_kernelINS0_14default_configENS1_36segmented_radix_sort_config_selectorIhlEEZNS1_25segmented_radix_sort_implIS3_Lb1EPKhPhPKlPlN2at6native12_GLOBAL__N_18offset_tEEE10hipError_tPvRmT1_PNSt15iterator_traitsISK_E10value_typeET2_T3_PNSL_ISQ_E10value_typeET4_jRbjT5_SW_jjP12ihipStream_tbEUlT_E0_NS1_11comp_targetILNS1_3genE5ELNS1_11target_archE942ELNS1_3gpuE9ELNS1_3repE0EEENS1_60segmented_radix_sort_warp_sort_medium_config_static_selectorELNS0_4arch9wavefront6targetE0EEEvSK_ ; -- Begin function _ZN7rocprim17ROCPRIM_400000_NS6detail17trampoline_kernelINS0_14default_configENS1_36segmented_radix_sort_config_selectorIhlEEZNS1_25segmented_radix_sort_implIS3_Lb1EPKhPhPKlPlN2at6native12_GLOBAL__N_18offset_tEEE10hipError_tPvRmT1_PNSt15iterator_traitsISK_E10value_typeET2_T3_PNSL_ISQ_E10value_typeET4_jRbjT5_SW_jjP12ihipStream_tbEUlT_E0_NS1_11comp_targetILNS1_3genE5ELNS1_11target_archE942ELNS1_3gpuE9ELNS1_3repE0EEENS1_60segmented_radix_sort_warp_sort_medium_config_static_selectorELNS0_4arch9wavefront6targetE0EEEvSK_
	.p2align	8
	.type	_ZN7rocprim17ROCPRIM_400000_NS6detail17trampoline_kernelINS0_14default_configENS1_36segmented_radix_sort_config_selectorIhlEEZNS1_25segmented_radix_sort_implIS3_Lb1EPKhPhPKlPlN2at6native12_GLOBAL__N_18offset_tEEE10hipError_tPvRmT1_PNSt15iterator_traitsISK_E10value_typeET2_T3_PNSL_ISQ_E10value_typeET4_jRbjT5_SW_jjP12ihipStream_tbEUlT_E0_NS1_11comp_targetILNS1_3genE5ELNS1_11target_archE942ELNS1_3gpuE9ELNS1_3repE0EEENS1_60segmented_radix_sort_warp_sort_medium_config_static_selectorELNS0_4arch9wavefront6targetE0EEEvSK_,@function
_ZN7rocprim17ROCPRIM_400000_NS6detail17trampoline_kernelINS0_14default_configENS1_36segmented_radix_sort_config_selectorIhlEEZNS1_25segmented_radix_sort_implIS3_Lb1EPKhPhPKlPlN2at6native12_GLOBAL__N_18offset_tEEE10hipError_tPvRmT1_PNSt15iterator_traitsISK_E10value_typeET2_T3_PNSL_ISQ_E10value_typeET4_jRbjT5_SW_jjP12ihipStream_tbEUlT_E0_NS1_11comp_targetILNS1_3genE5ELNS1_11target_archE942ELNS1_3gpuE9ELNS1_3repE0EEENS1_60segmented_radix_sort_warp_sort_medium_config_static_selectorELNS0_4arch9wavefront6targetE0EEEvSK_: ; @_ZN7rocprim17ROCPRIM_400000_NS6detail17trampoline_kernelINS0_14default_configENS1_36segmented_radix_sort_config_selectorIhlEEZNS1_25segmented_radix_sort_implIS3_Lb1EPKhPhPKlPlN2at6native12_GLOBAL__N_18offset_tEEE10hipError_tPvRmT1_PNSt15iterator_traitsISK_E10value_typeET2_T3_PNSL_ISQ_E10value_typeET4_jRbjT5_SW_jjP12ihipStream_tbEUlT_E0_NS1_11comp_targetILNS1_3genE5ELNS1_11target_archE942ELNS1_3gpuE9ELNS1_3repE0EEENS1_60segmented_radix_sort_warp_sort_medium_config_static_selectorELNS0_4arch9wavefront6targetE0EEEvSK_
; %bb.0:
	.section	.rodata,"a",@progbits
	.p2align	6, 0x0
	.amdhsa_kernel _ZN7rocprim17ROCPRIM_400000_NS6detail17trampoline_kernelINS0_14default_configENS1_36segmented_radix_sort_config_selectorIhlEEZNS1_25segmented_radix_sort_implIS3_Lb1EPKhPhPKlPlN2at6native12_GLOBAL__N_18offset_tEEE10hipError_tPvRmT1_PNSt15iterator_traitsISK_E10value_typeET2_T3_PNSL_ISQ_E10value_typeET4_jRbjT5_SW_jjP12ihipStream_tbEUlT_E0_NS1_11comp_targetILNS1_3genE5ELNS1_11target_archE942ELNS1_3gpuE9ELNS1_3repE0EEENS1_60segmented_radix_sort_warp_sort_medium_config_static_selectorELNS0_4arch9wavefront6targetE0EEEvSK_
		.amdhsa_group_segment_fixed_size 0
		.amdhsa_private_segment_fixed_size 0
		.amdhsa_kernarg_size 88
		.amdhsa_user_sgpr_count 2
		.amdhsa_user_sgpr_dispatch_ptr 0
		.amdhsa_user_sgpr_queue_ptr 0
		.amdhsa_user_sgpr_kernarg_segment_ptr 1
		.amdhsa_user_sgpr_dispatch_id 0
		.amdhsa_user_sgpr_kernarg_preload_length 0
		.amdhsa_user_sgpr_kernarg_preload_offset 0
		.amdhsa_user_sgpr_private_segment_size 0
		.amdhsa_wavefront_size32 1
		.amdhsa_uses_dynamic_stack 0
		.amdhsa_enable_private_segment 0
		.amdhsa_system_sgpr_workgroup_id_x 1
		.amdhsa_system_sgpr_workgroup_id_y 0
		.amdhsa_system_sgpr_workgroup_id_z 0
		.amdhsa_system_sgpr_workgroup_info 0
		.amdhsa_system_vgpr_workitem_id 0
		.amdhsa_next_free_vgpr 1
		.amdhsa_next_free_sgpr 1
		.amdhsa_named_barrier_count 0
		.amdhsa_reserve_vcc 0
		.amdhsa_float_round_mode_32 0
		.amdhsa_float_round_mode_16_64 0
		.amdhsa_float_denorm_mode_32 3
		.amdhsa_float_denorm_mode_16_64 3
		.amdhsa_fp16_overflow 0
		.amdhsa_memory_ordered 1
		.amdhsa_forward_progress 1
		.amdhsa_inst_pref_size 0
		.amdhsa_round_robin_scheduling 0
		.amdhsa_exception_fp_ieee_invalid_op 0
		.amdhsa_exception_fp_denorm_src 0
		.amdhsa_exception_fp_ieee_div_zero 0
		.amdhsa_exception_fp_ieee_overflow 0
		.amdhsa_exception_fp_ieee_underflow 0
		.amdhsa_exception_fp_ieee_inexact 0
		.amdhsa_exception_int_div_zero 0
	.end_amdhsa_kernel
	.section	.text._ZN7rocprim17ROCPRIM_400000_NS6detail17trampoline_kernelINS0_14default_configENS1_36segmented_radix_sort_config_selectorIhlEEZNS1_25segmented_radix_sort_implIS3_Lb1EPKhPhPKlPlN2at6native12_GLOBAL__N_18offset_tEEE10hipError_tPvRmT1_PNSt15iterator_traitsISK_E10value_typeET2_T3_PNSL_ISQ_E10value_typeET4_jRbjT5_SW_jjP12ihipStream_tbEUlT_E0_NS1_11comp_targetILNS1_3genE5ELNS1_11target_archE942ELNS1_3gpuE9ELNS1_3repE0EEENS1_60segmented_radix_sort_warp_sort_medium_config_static_selectorELNS0_4arch9wavefront6targetE0EEEvSK_,"axG",@progbits,_ZN7rocprim17ROCPRIM_400000_NS6detail17trampoline_kernelINS0_14default_configENS1_36segmented_radix_sort_config_selectorIhlEEZNS1_25segmented_radix_sort_implIS3_Lb1EPKhPhPKlPlN2at6native12_GLOBAL__N_18offset_tEEE10hipError_tPvRmT1_PNSt15iterator_traitsISK_E10value_typeET2_T3_PNSL_ISQ_E10value_typeET4_jRbjT5_SW_jjP12ihipStream_tbEUlT_E0_NS1_11comp_targetILNS1_3genE5ELNS1_11target_archE942ELNS1_3gpuE9ELNS1_3repE0EEENS1_60segmented_radix_sort_warp_sort_medium_config_static_selectorELNS0_4arch9wavefront6targetE0EEEvSK_,comdat
.Lfunc_end95:
	.size	_ZN7rocprim17ROCPRIM_400000_NS6detail17trampoline_kernelINS0_14default_configENS1_36segmented_radix_sort_config_selectorIhlEEZNS1_25segmented_radix_sort_implIS3_Lb1EPKhPhPKlPlN2at6native12_GLOBAL__N_18offset_tEEE10hipError_tPvRmT1_PNSt15iterator_traitsISK_E10value_typeET2_T3_PNSL_ISQ_E10value_typeET4_jRbjT5_SW_jjP12ihipStream_tbEUlT_E0_NS1_11comp_targetILNS1_3genE5ELNS1_11target_archE942ELNS1_3gpuE9ELNS1_3repE0EEENS1_60segmented_radix_sort_warp_sort_medium_config_static_selectorELNS0_4arch9wavefront6targetE0EEEvSK_, .Lfunc_end95-_ZN7rocprim17ROCPRIM_400000_NS6detail17trampoline_kernelINS0_14default_configENS1_36segmented_radix_sort_config_selectorIhlEEZNS1_25segmented_radix_sort_implIS3_Lb1EPKhPhPKlPlN2at6native12_GLOBAL__N_18offset_tEEE10hipError_tPvRmT1_PNSt15iterator_traitsISK_E10value_typeET2_T3_PNSL_ISQ_E10value_typeET4_jRbjT5_SW_jjP12ihipStream_tbEUlT_E0_NS1_11comp_targetILNS1_3genE5ELNS1_11target_archE942ELNS1_3gpuE9ELNS1_3repE0EEENS1_60segmented_radix_sort_warp_sort_medium_config_static_selectorELNS0_4arch9wavefront6targetE0EEEvSK_
                                        ; -- End function
	.set _ZN7rocprim17ROCPRIM_400000_NS6detail17trampoline_kernelINS0_14default_configENS1_36segmented_radix_sort_config_selectorIhlEEZNS1_25segmented_radix_sort_implIS3_Lb1EPKhPhPKlPlN2at6native12_GLOBAL__N_18offset_tEEE10hipError_tPvRmT1_PNSt15iterator_traitsISK_E10value_typeET2_T3_PNSL_ISQ_E10value_typeET4_jRbjT5_SW_jjP12ihipStream_tbEUlT_E0_NS1_11comp_targetILNS1_3genE5ELNS1_11target_archE942ELNS1_3gpuE9ELNS1_3repE0EEENS1_60segmented_radix_sort_warp_sort_medium_config_static_selectorELNS0_4arch9wavefront6targetE0EEEvSK_.num_vgpr, 0
	.set _ZN7rocprim17ROCPRIM_400000_NS6detail17trampoline_kernelINS0_14default_configENS1_36segmented_radix_sort_config_selectorIhlEEZNS1_25segmented_radix_sort_implIS3_Lb1EPKhPhPKlPlN2at6native12_GLOBAL__N_18offset_tEEE10hipError_tPvRmT1_PNSt15iterator_traitsISK_E10value_typeET2_T3_PNSL_ISQ_E10value_typeET4_jRbjT5_SW_jjP12ihipStream_tbEUlT_E0_NS1_11comp_targetILNS1_3genE5ELNS1_11target_archE942ELNS1_3gpuE9ELNS1_3repE0EEENS1_60segmented_radix_sort_warp_sort_medium_config_static_selectorELNS0_4arch9wavefront6targetE0EEEvSK_.num_agpr, 0
	.set _ZN7rocprim17ROCPRIM_400000_NS6detail17trampoline_kernelINS0_14default_configENS1_36segmented_radix_sort_config_selectorIhlEEZNS1_25segmented_radix_sort_implIS3_Lb1EPKhPhPKlPlN2at6native12_GLOBAL__N_18offset_tEEE10hipError_tPvRmT1_PNSt15iterator_traitsISK_E10value_typeET2_T3_PNSL_ISQ_E10value_typeET4_jRbjT5_SW_jjP12ihipStream_tbEUlT_E0_NS1_11comp_targetILNS1_3genE5ELNS1_11target_archE942ELNS1_3gpuE9ELNS1_3repE0EEENS1_60segmented_radix_sort_warp_sort_medium_config_static_selectorELNS0_4arch9wavefront6targetE0EEEvSK_.numbered_sgpr, 0
	.set _ZN7rocprim17ROCPRIM_400000_NS6detail17trampoline_kernelINS0_14default_configENS1_36segmented_radix_sort_config_selectorIhlEEZNS1_25segmented_radix_sort_implIS3_Lb1EPKhPhPKlPlN2at6native12_GLOBAL__N_18offset_tEEE10hipError_tPvRmT1_PNSt15iterator_traitsISK_E10value_typeET2_T3_PNSL_ISQ_E10value_typeET4_jRbjT5_SW_jjP12ihipStream_tbEUlT_E0_NS1_11comp_targetILNS1_3genE5ELNS1_11target_archE942ELNS1_3gpuE9ELNS1_3repE0EEENS1_60segmented_radix_sort_warp_sort_medium_config_static_selectorELNS0_4arch9wavefront6targetE0EEEvSK_.num_named_barrier, 0
	.set _ZN7rocprim17ROCPRIM_400000_NS6detail17trampoline_kernelINS0_14default_configENS1_36segmented_radix_sort_config_selectorIhlEEZNS1_25segmented_radix_sort_implIS3_Lb1EPKhPhPKlPlN2at6native12_GLOBAL__N_18offset_tEEE10hipError_tPvRmT1_PNSt15iterator_traitsISK_E10value_typeET2_T3_PNSL_ISQ_E10value_typeET4_jRbjT5_SW_jjP12ihipStream_tbEUlT_E0_NS1_11comp_targetILNS1_3genE5ELNS1_11target_archE942ELNS1_3gpuE9ELNS1_3repE0EEENS1_60segmented_radix_sort_warp_sort_medium_config_static_selectorELNS0_4arch9wavefront6targetE0EEEvSK_.private_seg_size, 0
	.set _ZN7rocprim17ROCPRIM_400000_NS6detail17trampoline_kernelINS0_14default_configENS1_36segmented_radix_sort_config_selectorIhlEEZNS1_25segmented_radix_sort_implIS3_Lb1EPKhPhPKlPlN2at6native12_GLOBAL__N_18offset_tEEE10hipError_tPvRmT1_PNSt15iterator_traitsISK_E10value_typeET2_T3_PNSL_ISQ_E10value_typeET4_jRbjT5_SW_jjP12ihipStream_tbEUlT_E0_NS1_11comp_targetILNS1_3genE5ELNS1_11target_archE942ELNS1_3gpuE9ELNS1_3repE0EEENS1_60segmented_radix_sort_warp_sort_medium_config_static_selectorELNS0_4arch9wavefront6targetE0EEEvSK_.uses_vcc, 0
	.set _ZN7rocprim17ROCPRIM_400000_NS6detail17trampoline_kernelINS0_14default_configENS1_36segmented_radix_sort_config_selectorIhlEEZNS1_25segmented_radix_sort_implIS3_Lb1EPKhPhPKlPlN2at6native12_GLOBAL__N_18offset_tEEE10hipError_tPvRmT1_PNSt15iterator_traitsISK_E10value_typeET2_T3_PNSL_ISQ_E10value_typeET4_jRbjT5_SW_jjP12ihipStream_tbEUlT_E0_NS1_11comp_targetILNS1_3genE5ELNS1_11target_archE942ELNS1_3gpuE9ELNS1_3repE0EEENS1_60segmented_radix_sort_warp_sort_medium_config_static_selectorELNS0_4arch9wavefront6targetE0EEEvSK_.uses_flat_scratch, 0
	.set _ZN7rocprim17ROCPRIM_400000_NS6detail17trampoline_kernelINS0_14default_configENS1_36segmented_radix_sort_config_selectorIhlEEZNS1_25segmented_radix_sort_implIS3_Lb1EPKhPhPKlPlN2at6native12_GLOBAL__N_18offset_tEEE10hipError_tPvRmT1_PNSt15iterator_traitsISK_E10value_typeET2_T3_PNSL_ISQ_E10value_typeET4_jRbjT5_SW_jjP12ihipStream_tbEUlT_E0_NS1_11comp_targetILNS1_3genE5ELNS1_11target_archE942ELNS1_3gpuE9ELNS1_3repE0EEENS1_60segmented_radix_sort_warp_sort_medium_config_static_selectorELNS0_4arch9wavefront6targetE0EEEvSK_.has_dyn_sized_stack, 0
	.set _ZN7rocprim17ROCPRIM_400000_NS6detail17trampoline_kernelINS0_14default_configENS1_36segmented_radix_sort_config_selectorIhlEEZNS1_25segmented_radix_sort_implIS3_Lb1EPKhPhPKlPlN2at6native12_GLOBAL__N_18offset_tEEE10hipError_tPvRmT1_PNSt15iterator_traitsISK_E10value_typeET2_T3_PNSL_ISQ_E10value_typeET4_jRbjT5_SW_jjP12ihipStream_tbEUlT_E0_NS1_11comp_targetILNS1_3genE5ELNS1_11target_archE942ELNS1_3gpuE9ELNS1_3repE0EEENS1_60segmented_radix_sort_warp_sort_medium_config_static_selectorELNS0_4arch9wavefront6targetE0EEEvSK_.has_recursion, 0
	.set _ZN7rocprim17ROCPRIM_400000_NS6detail17trampoline_kernelINS0_14default_configENS1_36segmented_radix_sort_config_selectorIhlEEZNS1_25segmented_radix_sort_implIS3_Lb1EPKhPhPKlPlN2at6native12_GLOBAL__N_18offset_tEEE10hipError_tPvRmT1_PNSt15iterator_traitsISK_E10value_typeET2_T3_PNSL_ISQ_E10value_typeET4_jRbjT5_SW_jjP12ihipStream_tbEUlT_E0_NS1_11comp_targetILNS1_3genE5ELNS1_11target_archE942ELNS1_3gpuE9ELNS1_3repE0EEENS1_60segmented_radix_sort_warp_sort_medium_config_static_selectorELNS0_4arch9wavefront6targetE0EEEvSK_.has_indirect_call, 0
	.section	.AMDGPU.csdata,"",@progbits
; Kernel info:
; codeLenInByte = 0
; TotalNumSgprs: 0
; NumVgprs: 0
; ScratchSize: 0
; MemoryBound: 0
; FloatMode: 240
; IeeeMode: 1
; LDSByteSize: 0 bytes/workgroup (compile time only)
; SGPRBlocks: 0
; VGPRBlocks: 0
; NumSGPRsForWavesPerEU: 1
; NumVGPRsForWavesPerEU: 1
; NamedBarCnt: 0
; Occupancy: 16
; WaveLimiterHint : 0
; COMPUTE_PGM_RSRC2:SCRATCH_EN: 0
; COMPUTE_PGM_RSRC2:USER_SGPR: 2
; COMPUTE_PGM_RSRC2:TRAP_HANDLER: 0
; COMPUTE_PGM_RSRC2:TGID_X_EN: 1
; COMPUTE_PGM_RSRC2:TGID_Y_EN: 0
; COMPUTE_PGM_RSRC2:TGID_Z_EN: 0
; COMPUTE_PGM_RSRC2:TIDIG_COMP_CNT: 0
	.section	.text._ZN7rocprim17ROCPRIM_400000_NS6detail17trampoline_kernelINS0_14default_configENS1_36segmented_radix_sort_config_selectorIhlEEZNS1_25segmented_radix_sort_implIS3_Lb1EPKhPhPKlPlN2at6native12_GLOBAL__N_18offset_tEEE10hipError_tPvRmT1_PNSt15iterator_traitsISK_E10value_typeET2_T3_PNSL_ISQ_E10value_typeET4_jRbjT5_SW_jjP12ihipStream_tbEUlT_E0_NS1_11comp_targetILNS1_3genE4ELNS1_11target_archE910ELNS1_3gpuE8ELNS1_3repE0EEENS1_60segmented_radix_sort_warp_sort_medium_config_static_selectorELNS0_4arch9wavefront6targetE0EEEvSK_,"axG",@progbits,_ZN7rocprim17ROCPRIM_400000_NS6detail17trampoline_kernelINS0_14default_configENS1_36segmented_radix_sort_config_selectorIhlEEZNS1_25segmented_radix_sort_implIS3_Lb1EPKhPhPKlPlN2at6native12_GLOBAL__N_18offset_tEEE10hipError_tPvRmT1_PNSt15iterator_traitsISK_E10value_typeET2_T3_PNSL_ISQ_E10value_typeET4_jRbjT5_SW_jjP12ihipStream_tbEUlT_E0_NS1_11comp_targetILNS1_3genE4ELNS1_11target_archE910ELNS1_3gpuE8ELNS1_3repE0EEENS1_60segmented_radix_sort_warp_sort_medium_config_static_selectorELNS0_4arch9wavefront6targetE0EEEvSK_,comdat
	.globl	_ZN7rocprim17ROCPRIM_400000_NS6detail17trampoline_kernelINS0_14default_configENS1_36segmented_radix_sort_config_selectorIhlEEZNS1_25segmented_radix_sort_implIS3_Lb1EPKhPhPKlPlN2at6native12_GLOBAL__N_18offset_tEEE10hipError_tPvRmT1_PNSt15iterator_traitsISK_E10value_typeET2_T3_PNSL_ISQ_E10value_typeET4_jRbjT5_SW_jjP12ihipStream_tbEUlT_E0_NS1_11comp_targetILNS1_3genE4ELNS1_11target_archE910ELNS1_3gpuE8ELNS1_3repE0EEENS1_60segmented_radix_sort_warp_sort_medium_config_static_selectorELNS0_4arch9wavefront6targetE0EEEvSK_ ; -- Begin function _ZN7rocprim17ROCPRIM_400000_NS6detail17trampoline_kernelINS0_14default_configENS1_36segmented_radix_sort_config_selectorIhlEEZNS1_25segmented_radix_sort_implIS3_Lb1EPKhPhPKlPlN2at6native12_GLOBAL__N_18offset_tEEE10hipError_tPvRmT1_PNSt15iterator_traitsISK_E10value_typeET2_T3_PNSL_ISQ_E10value_typeET4_jRbjT5_SW_jjP12ihipStream_tbEUlT_E0_NS1_11comp_targetILNS1_3genE4ELNS1_11target_archE910ELNS1_3gpuE8ELNS1_3repE0EEENS1_60segmented_radix_sort_warp_sort_medium_config_static_selectorELNS0_4arch9wavefront6targetE0EEEvSK_
	.p2align	8
	.type	_ZN7rocprim17ROCPRIM_400000_NS6detail17trampoline_kernelINS0_14default_configENS1_36segmented_radix_sort_config_selectorIhlEEZNS1_25segmented_radix_sort_implIS3_Lb1EPKhPhPKlPlN2at6native12_GLOBAL__N_18offset_tEEE10hipError_tPvRmT1_PNSt15iterator_traitsISK_E10value_typeET2_T3_PNSL_ISQ_E10value_typeET4_jRbjT5_SW_jjP12ihipStream_tbEUlT_E0_NS1_11comp_targetILNS1_3genE4ELNS1_11target_archE910ELNS1_3gpuE8ELNS1_3repE0EEENS1_60segmented_radix_sort_warp_sort_medium_config_static_selectorELNS0_4arch9wavefront6targetE0EEEvSK_,@function
_ZN7rocprim17ROCPRIM_400000_NS6detail17trampoline_kernelINS0_14default_configENS1_36segmented_radix_sort_config_selectorIhlEEZNS1_25segmented_radix_sort_implIS3_Lb1EPKhPhPKlPlN2at6native12_GLOBAL__N_18offset_tEEE10hipError_tPvRmT1_PNSt15iterator_traitsISK_E10value_typeET2_T3_PNSL_ISQ_E10value_typeET4_jRbjT5_SW_jjP12ihipStream_tbEUlT_E0_NS1_11comp_targetILNS1_3genE4ELNS1_11target_archE910ELNS1_3gpuE8ELNS1_3repE0EEENS1_60segmented_radix_sort_warp_sort_medium_config_static_selectorELNS0_4arch9wavefront6targetE0EEEvSK_: ; @_ZN7rocprim17ROCPRIM_400000_NS6detail17trampoline_kernelINS0_14default_configENS1_36segmented_radix_sort_config_selectorIhlEEZNS1_25segmented_radix_sort_implIS3_Lb1EPKhPhPKlPlN2at6native12_GLOBAL__N_18offset_tEEE10hipError_tPvRmT1_PNSt15iterator_traitsISK_E10value_typeET2_T3_PNSL_ISQ_E10value_typeET4_jRbjT5_SW_jjP12ihipStream_tbEUlT_E0_NS1_11comp_targetILNS1_3genE4ELNS1_11target_archE910ELNS1_3gpuE8ELNS1_3repE0EEENS1_60segmented_radix_sort_warp_sort_medium_config_static_selectorELNS0_4arch9wavefront6targetE0EEEvSK_
; %bb.0:
	.section	.rodata,"a",@progbits
	.p2align	6, 0x0
	.amdhsa_kernel _ZN7rocprim17ROCPRIM_400000_NS6detail17trampoline_kernelINS0_14default_configENS1_36segmented_radix_sort_config_selectorIhlEEZNS1_25segmented_radix_sort_implIS3_Lb1EPKhPhPKlPlN2at6native12_GLOBAL__N_18offset_tEEE10hipError_tPvRmT1_PNSt15iterator_traitsISK_E10value_typeET2_T3_PNSL_ISQ_E10value_typeET4_jRbjT5_SW_jjP12ihipStream_tbEUlT_E0_NS1_11comp_targetILNS1_3genE4ELNS1_11target_archE910ELNS1_3gpuE8ELNS1_3repE0EEENS1_60segmented_radix_sort_warp_sort_medium_config_static_selectorELNS0_4arch9wavefront6targetE0EEEvSK_
		.amdhsa_group_segment_fixed_size 0
		.amdhsa_private_segment_fixed_size 0
		.amdhsa_kernarg_size 88
		.amdhsa_user_sgpr_count 2
		.amdhsa_user_sgpr_dispatch_ptr 0
		.amdhsa_user_sgpr_queue_ptr 0
		.amdhsa_user_sgpr_kernarg_segment_ptr 1
		.amdhsa_user_sgpr_dispatch_id 0
		.amdhsa_user_sgpr_kernarg_preload_length 0
		.amdhsa_user_sgpr_kernarg_preload_offset 0
		.amdhsa_user_sgpr_private_segment_size 0
		.amdhsa_wavefront_size32 1
		.amdhsa_uses_dynamic_stack 0
		.amdhsa_enable_private_segment 0
		.amdhsa_system_sgpr_workgroup_id_x 1
		.amdhsa_system_sgpr_workgroup_id_y 0
		.amdhsa_system_sgpr_workgroup_id_z 0
		.amdhsa_system_sgpr_workgroup_info 0
		.amdhsa_system_vgpr_workitem_id 0
		.amdhsa_next_free_vgpr 1
		.amdhsa_next_free_sgpr 1
		.amdhsa_named_barrier_count 0
		.amdhsa_reserve_vcc 0
		.amdhsa_float_round_mode_32 0
		.amdhsa_float_round_mode_16_64 0
		.amdhsa_float_denorm_mode_32 3
		.amdhsa_float_denorm_mode_16_64 3
		.amdhsa_fp16_overflow 0
		.amdhsa_memory_ordered 1
		.amdhsa_forward_progress 1
		.amdhsa_inst_pref_size 0
		.amdhsa_round_robin_scheduling 0
		.amdhsa_exception_fp_ieee_invalid_op 0
		.amdhsa_exception_fp_denorm_src 0
		.amdhsa_exception_fp_ieee_div_zero 0
		.amdhsa_exception_fp_ieee_overflow 0
		.amdhsa_exception_fp_ieee_underflow 0
		.amdhsa_exception_fp_ieee_inexact 0
		.amdhsa_exception_int_div_zero 0
	.end_amdhsa_kernel
	.section	.text._ZN7rocprim17ROCPRIM_400000_NS6detail17trampoline_kernelINS0_14default_configENS1_36segmented_radix_sort_config_selectorIhlEEZNS1_25segmented_radix_sort_implIS3_Lb1EPKhPhPKlPlN2at6native12_GLOBAL__N_18offset_tEEE10hipError_tPvRmT1_PNSt15iterator_traitsISK_E10value_typeET2_T3_PNSL_ISQ_E10value_typeET4_jRbjT5_SW_jjP12ihipStream_tbEUlT_E0_NS1_11comp_targetILNS1_3genE4ELNS1_11target_archE910ELNS1_3gpuE8ELNS1_3repE0EEENS1_60segmented_radix_sort_warp_sort_medium_config_static_selectorELNS0_4arch9wavefront6targetE0EEEvSK_,"axG",@progbits,_ZN7rocprim17ROCPRIM_400000_NS6detail17trampoline_kernelINS0_14default_configENS1_36segmented_radix_sort_config_selectorIhlEEZNS1_25segmented_radix_sort_implIS3_Lb1EPKhPhPKlPlN2at6native12_GLOBAL__N_18offset_tEEE10hipError_tPvRmT1_PNSt15iterator_traitsISK_E10value_typeET2_T3_PNSL_ISQ_E10value_typeET4_jRbjT5_SW_jjP12ihipStream_tbEUlT_E0_NS1_11comp_targetILNS1_3genE4ELNS1_11target_archE910ELNS1_3gpuE8ELNS1_3repE0EEENS1_60segmented_radix_sort_warp_sort_medium_config_static_selectorELNS0_4arch9wavefront6targetE0EEEvSK_,comdat
.Lfunc_end96:
	.size	_ZN7rocprim17ROCPRIM_400000_NS6detail17trampoline_kernelINS0_14default_configENS1_36segmented_radix_sort_config_selectorIhlEEZNS1_25segmented_radix_sort_implIS3_Lb1EPKhPhPKlPlN2at6native12_GLOBAL__N_18offset_tEEE10hipError_tPvRmT1_PNSt15iterator_traitsISK_E10value_typeET2_T3_PNSL_ISQ_E10value_typeET4_jRbjT5_SW_jjP12ihipStream_tbEUlT_E0_NS1_11comp_targetILNS1_3genE4ELNS1_11target_archE910ELNS1_3gpuE8ELNS1_3repE0EEENS1_60segmented_radix_sort_warp_sort_medium_config_static_selectorELNS0_4arch9wavefront6targetE0EEEvSK_, .Lfunc_end96-_ZN7rocprim17ROCPRIM_400000_NS6detail17trampoline_kernelINS0_14default_configENS1_36segmented_radix_sort_config_selectorIhlEEZNS1_25segmented_radix_sort_implIS3_Lb1EPKhPhPKlPlN2at6native12_GLOBAL__N_18offset_tEEE10hipError_tPvRmT1_PNSt15iterator_traitsISK_E10value_typeET2_T3_PNSL_ISQ_E10value_typeET4_jRbjT5_SW_jjP12ihipStream_tbEUlT_E0_NS1_11comp_targetILNS1_3genE4ELNS1_11target_archE910ELNS1_3gpuE8ELNS1_3repE0EEENS1_60segmented_radix_sort_warp_sort_medium_config_static_selectorELNS0_4arch9wavefront6targetE0EEEvSK_
                                        ; -- End function
	.set _ZN7rocprim17ROCPRIM_400000_NS6detail17trampoline_kernelINS0_14default_configENS1_36segmented_radix_sort_config_selectorIhlEEZNS1_25segmented_radix_sort_implIS3_Lb1EPKhPhPKlPlN2at6native12_GLOBAL__N_18offset_tEEE10hipError_tPvRmT1_PNSt15iterator_traitsISK_E10value_typeET2_T3_PNSL_ISQ_E10value_typeET4_jRbjT5_SW_jjP12ihipStream_tbEUlT_E0_NS1_11comp_targetILNS1_3genE4ELNS1_11target_archE910ELNS1_3gpuE8ELNS1_3repE0EEENS1_60segmented_radix_sort_warp_sort_medium_config_static_selectorELNS0_4arch9wavefront6targetE0EEEvSK_.num_vgpr, 0
	.set _ZN7rocprim17ROCPRIM_400000_NS6detail17trampoline_kernelINS0_14default_configENS1_36segmented_radix_sort_config_selectorIhlEEZNS1_25segmented_radix_sort_implIS3_Lb1EPKhPhPKlPlN2at6native12_GLOBAL__N_18offset_tEEE10hipError_tPvRmT1_PNSt15iterator_traitsISK_E10value_typeET2_T3_PNSL_ISQ_E10value_typeET4_jRbjT5_SW_jjP12ihipStream_tbEUlT_E0_NS1_11comp_targetILNS1_3genE4ELNS1_11target_archE910ELNS1_3gpuE8ELNS1_3repE0EEENS1_60segmented_radix_sort_warp_sort_medium_config_static_selectorELNS0_4arch9wavefront6targetE0EEEvSK_.num_agpr, 0
	.set _ZN7rocprim17ROCPRIM_400000_NS6detail17trampoline_kernelINS0_14default_configENS1_36segmented_radix_sort_config_selectorIhlEEZNS1_25segmented_radix_sort_implIS3_Lb1EPKhPhPKlPlN2at6native12_GLOBAL__N_18offset_tEEE10hipError_tPvRmT1_PNSt15iterator_traitsISK_E10value_typeET2_T3_PNSL_ISQ_E10value_typeET4_jRbjT5_SW_jjP12ihipStream_tbEUlT_E0_NS1_11comp_targetILNS1_3genE4ELNS1_11target_archE910ELNS1_3gpuE8ELNS1_3repE0EEENS1_60segmented_radix_sort_warp_sort_medium_config_static_selectorELNS0_4arch9wavefront6targetE0EEEvSK_.numbered_sgpr, 0
	.set _ZN7rocprim17ROCPRIM_400000_NS6detail17trampoline_kernelINS0_14default_configENS1_36segmented_radix_sort_config_selectorIhlEEZNS1_25segmented_radix_sort_implIS3_Lb1EPKhPhPKlPlN2at6native12_GLOBAL__N_18offset_tEEE10hipError_tPvRmT1_PNSt15iterator_traitsISK_E10value_typeET2_T3_PNSL_ISQ_E10value_typeET4_jRbjT5_SW_jjP12ihipStream_tbEUlT_E0_NS1_11comp_targetILNS1_3genE4ELNS1_11target_archE910ELNS1_3gpuE8ELNS1_3repE0EEENS1_60segmented_radix_sort_warp_sort_medium_config_static_selectorELNS0_4arch9wavefront6targetE0EEEvSK_.num_named_barrier, 0
	.set _ZN7rocprim17ROCPRIM_400000_NS6detail17trampoline_kernelINS0_14default_configENS1_36segmented_radix_sort_config_selectorIhlEEZNS1_25segmented_radix_sort_implIS3_Lb1EPKhPhPKlPlN2at6native12_GLOBAL__N_18offset_tEEE10hipError_tPvRmT1_PNSt15iterator_traitsISK_E10value_typeET2_T3_PNSL_ISQ_E10value_typeET4_jRbjT5_SW_jjP12ihipStream_tbEUlT_E0_NS1_11comp_targetILNS1_3genE4ELNS1_11target_archE910ELNS1_3gpuE8ELNS1_3repE0EEENS1_60segmented_radix_sort_warp_sort_medium_config_static_selectorELNS0_4arch9wavefront6targetE0EEEvSK_.private_seg_size, 0
	.set _ZN7rocprim17ROCPRIM_400000_NS6detail17trampoline_kernelINS0_14default_configENS1_36segmented_radix_sort_config_selectorIhlEEZNS1_25segmented_radix_sort_implIS3_Lb1EPKhPhPKlPlN2at6native12_GLOBAL__N_18offset_tEEE10hipError_tPvRmT1_PNSt15iterator_traitsISK_E10value_typeET2_T3_PNSL_ISQ_E10value_typeET4_jRbjT5_SW_jjP12ihipStream_tbEUlT_E0_NS1_11comp_targetILNS1_3genE4ELNS1_11target_archE910ELNS1_3gpuE8ELNS1_3repE0EEENS1_60segmented_radix_sort_warp_sort_medium_config_static_selectorELNS0_4arch9wavefront6targetE0EEEvSK_.uses_vcc, 0
	.set _ZN7rocprim17ROCPRIM_400000_NS6detail17trampoline_kernelINS0_14default_configENS1_36segmented_radix_sort_config_selectorIhlEEZNS1_25segmented_radix_sort_implIS3_Lb1EPKhPhPKlPlN2at6native12_GLOBAL__N_18offset_tEEE10hipError_tPvRmT1_PNSt15iterator_traitsISK_E10value_typeET2_T3_PNSL_ISQ_E10value_typeET4_jRbjT5_SW_jjP12ihipStream_tbEUlT_E0_NS1_11comp_targetILNS1_3genE4ELNS1_11target_archE910ELNS1_3gpuE8ELNS1_3repE0EEENS1_60segmented_radix_sort_warp_sort_medium_config_static_selectorELNS0_4arch9wavefront6targetE0EEEvSK_.uses_flat_scratch, 0
	.set _ZN7rocprim17ROCPRIM_400000_NS6detail17trampoline_kernelINS0_14default_configENS1_36segmented_radix_sort_config_selectorIhlEEZNS1_25segmented_radix_sort_implIS3_Lb1EPKhPhPKlPlN2at6native12_GLOBAL__N_18offset_tEEE10hipError_tPvRmT1_PNSt15iterator_traitsISK_E10value_typeET2_T3_PNSL_ISQ_E10value_typeET4_jRbjT5_SW_jjP12ihipStream_tbEUlT_E0_NS1_11comp_targetILNS1_3genE4ELNS1_11target_archE910ELNS1_3gpuE8ELNS1_3repE0EEENS1_60segmented_radix_sort_warp_sort_medium_config_static_selectorELNS0_4arch9wavefront6targetE0EEEvSK_.has_dyn_sized_stack, 0
	.set _ZN7rocprim17ROCPRIM_400000_NS6detail17trampoline_kernelINS0_14default_configENS1_36segmented_radix_sort_config_selectorIhlEEZNS1_25segmented_radix_sort_implIS3_Lb1EPKhPhPKlPlN2at6native12_GLOBAL__N_18offset_tEEE10hipError_tPvRmT1_PNSt15iterator_traitsISK_E10value_typeET2_T3_PNSL_ISQ_E10value_typeET4_jRbjT5_SW_jjP12ihipStream_tbEUlT_E0_NS1_11comp_targetILNS1_3genE4ELNS1_11target_archE910ELNS1_3gpuE8ELNS1_3repE0EEENS1_60segmented_radix_sort_warp_sort_medium_config_static_selectorELNS0_4arch9wavefront6targetE0EEEvSK_.has_recursion, 0
	.set _ZN7rocprim17ROCPRIM_400000_NS6detail17trampoline_kernelINS0_14default_configENS1_36segmented_radix_sort_config_selectorIhlEEZNS1_25segmented_radix_sort_implIS3_Lb1EPKhPhPKlPlN2at6native12_GLOBAL__N_18offset_tEEE10hipError_tPvRmT1_PNSt15iterator_traitsISK_E10value_typeET2_T3_PNSL_ISQ_E10value_typeET4_jRbjT5_SW_jjP12ihipStream_tbEUlT_E0_NS1_11comp_targetILNS1_3genE4ELNS1_11target_archE910ELNS1_3gpuE8ELNS1_3repE0EEENS1_60segmented_radix_sort_warp_sort_medium_config_static_selectorELNS0_4arch9wavefront6targetE0EEEvSK_.has_indirect_call, 0
	.section	.AMDGPU.csdata,"",@progbits
; Kernel info:
; codeLenInByte = 0
; TotalNumSgprs: 0
; NumVgprs: 0
; ScratchSize: 0
; MemoryBound: 0
; FloatMode: 240
; IeeeMode: 1
; LDSByteSize: 0 bytes/workgroup (compile time only)
; SGPRBlocks: 0
; VGPRBlocks: 0
; NumSGPRsForWavesPerEU: 1
; NumVGPRsForWavesPerEU: 1
; NamedBarCnt: 0
; Occupancy: 16
; WaveLimiterHint : 0
; COMPUTE_PGM_RSRC2:SCRATCH_EN: 0
; COMPUTE_PGM_RSRC2:USER_SGPR: 2
; COMPUTE_PGM_RSRC2:TRAP_HANDLER: 0
; COMPUTE_PGM_RSRC2:TGID_X_EN: 1
; COMPUTE_PGM_RSRC2:TGID_Y_EN: 0
; COMPUTE_PGM_RSRC2:TGID_Z_EN: 0
; COMPUTE_PGM_RSRC2:TIDIG_COMP_CNT: 0
	.section	.text._ZN7rocprim17ROCPRIM_400000_NS6detail17trampoline_kernelINS0_14default_configENS1_36segmented_radix_sort_config_selectorIhlEEZNS1_25segmented_radix_sort_implIS3_Lb1EPKhPhPKlPlN2at6native12_GLOBAL__N_18offset_tEEE10hipError_tPvRmT1_PNSt15iterator_traitsISK_E10value_typeET2_T3_PNSL_ISQ_E10value_typeET4_jRbjT5_SW_jjP12ihipStream_tbEUlT_E0_NS1_11comp_targetILNS1_3genE3ELNS1_11target_archE908ELNS1_3gpuE7ELNS1_3repE0EEENS1_60segmented_radix_sort_warp_sort_medium_config_static_selectorELNS0_4arch9wavefront6targetE0EEEvSK_,"axG",@progbits,_ZN7rocprim17ROCPRIM_400000_NS6detail17trampoline_kernelINS0_14default_configENS1_36segmented_radix_sort_config_selectorIhlEEZNS1_25segmented_radix_sort_implIS3_Lb1EPKhPhPKlPlN2at6native12_GLOBAL__N_18offset_tEEE10hipError_tPvRmT1_PNSt15iterator_traitsISK_E10value_typeET2_T3_PNSL_ISQ_E10value_typeET4_jRbjT5_SW_jjP12ihipStream_tbEUlT_E0_NS1_11comp_targetILNS1_3genE3ELNS1_11target_archE908ELNS1_3gpuE7ELNS1_3repE0EEENS1_60segmented_radix_sort_warp_sort_medium_config_static_selectorELNS0_4arch9wavefront6targetE0EEEvSK_,comdat
	.globl	_ZN7rocprim17ROCPRIM_400000_NS6detail17trampoline_kernelINS0_14default_configENS1_36segmented_radix_sort_config_selectorIhlEEZNS1_25segmented_radix_sort_implIS3_Lb1EPKhPhPKlPlN2at6native12_GLOBAL__N_18offset_tEEE10hipError_tPvRmT1_PNSt15iterator_traitsISK_E10value_typeET2_T3_PNSL_ISQ_E10value_typeET4_jRbjT5_SW_jjP12ihipStream_tbEUlT_E0_NS1_11comp_targetILNS1_3genE3ELNS1_11target_archE908ELNS1_3gpuE7ELNS1_3repE0EEENS1_60segmented_radix_sort_warp_sort_medium_config_static_selectorELNS0_4arch9wavefront6targetE0EEEvSK_ ; -- Begin function _ZN7rocprim17ROCPRIM_400000_NS6detail17trampoline_kernelINS0_14default_configENS1_36segmented_radix_sort_config_selectorIhlEEZNS1_25segmented_radix_sort_implIS3_Lb1EPKhPhPKlPlN2at6native12_GLOBAL__N_18offset_tEEE10hipError_tPvRmT1_PNSt15iterator_traitsISK_E10value_typeET2_T3_PNSL_ISQ_E10value_typeET4_jRbjT5_SW_jjP12ihipStream_tbEUlT_E0_NS1_11comp_targetILNS1_3genE3ELNS1_11target_archE908ELNS1_3gpuE7ELNS1_3repE0EEENS1_60segmented_radix_sort_warp_sort_medium_config_static_selectorELNS0_4arch9wavefront6targetE0EEEvSK_
	.p2align	8
	.type	_ZN7rocprim17ROCPRIM_400000_NS6detail17trampoline_kernelINS0_14default_configENS1_36segmented_radix_sort_config_selectorIhlEEZNS1_25segmented_radix_sort_implIS3_Lb1EPKhPhPKlPlN2at6native12_GLOBAL__N_18offset_tEEE10hipError_tPvRmT1_PNSt15iterator_traitsISK_E10value_typeET2_T3_PNSL_ISQ_E10value_typeET4_jRbjT5_SW_jjP12ihipStream_tbEUlT_E0_NS1_11comp_targetILNS1_3genE3ELNS1_11target_archE908ELNS1_3gpuE7ELNS1_3repE0EEENS1_60segmented_radix_sort_warp_sort_medium_config_static_selectorELNS0_4arch9wavefront6targetE0EEEvSK_,@function
_ZN7rocprim17ROCPRIM_400000_NS6detail17trampoline_kernelINS0_14default_configENS1_36segmented_radix_sort_config_selectorIhlEEZNS1_25segmented_radix_sort_implIS3_Lb1EPKhPhPKlPlN2at6native12_GLOBAL__N_18offset_tEEE10hipError_tPvRmT1_PNSt15iterator_traitsISK_E10value_typeET2_T3_PNSL_ISQ_E10value_typeET4_jRbjT5_SW_jjP12ihipStream_tbEUlT_E0_NS1_11comp_targetILNS1_3genE3ELNS1_11target_archE908ELNS1_3gpuE7ELNS1_3repE0EEENS1_60segmented_radix_sort_warp_sort_medium_config_static_selectorELNS0_4arch9wavefront6targetE0EEEvSK_: ; @_ZN7rocprim17ROCPRIM_400000_NS6detail17trampoline_kernelINS0_14default_configENS1_36segmented_radix_sort_config_selectorIhlEEZNS1_25segmented_radix_sort_implIS3_Lb1EPKhPhPKlPlN2at6native12_GLOBAL__N_18offset_tEEE10hipError_tPvRmT1_PNSt15iterator_traitsISK_E10value_typeET2_T3_PNSL_ISQ_E10value_typeET4_jRbjT5_SW_jjP12ihipStream_tbEUlT_E0_NS1_11comp_targetILNS1_3genE3ELNS1_11target_archE908ELNS1_3gpuE7ELNS1_3repE0EEENS1_60segmented_radix_sort_warp_sort_medium_config_static_selectorELNS0_4arch9wavefront6targetE0EEEvSK_
; %bb.0:
	.section	.rodata,"a",@progbits
	.p2align	6, 0x0
	.amdhsa_kernel _ZN7rocprim17ROCPRIM_400000_NS6detail17trampoline_kernelINS0_14default_configENS1_36segmented_radix_sort_config_selectorIhlEEZNS1_25segmented_radix_sort_implIS3_Lb1EPKhPhPKlPlN2at6native12_GLOBAL__N_18offset_tEEE10hipError_tPvRmT1_PNSt15iterator_traitsISK_E10value_typeET2_T3_PNSL_ISQ_E10value_typeET4_jRbjT5_SW_jjP12ihipStream_tbEUlT_E0_NS1_11comp_targetILNS1_3genE3ELNS1_11target_archE908ELNS1_3gpuE7ELNS1_3repE0EEENS1_60segmented_radix_sort_warp_sort_medium_config_static_selectorELNS0_4arch9wavefront6targetE0EEEvSK_
		.amdhsa_group_segment_fixed_size 0
		.amdhsa_private_segment_fixed_size 0
		.amdhsa_kernarg_size 88
		.amdhsa_user_sgpr_count 2
		.amdhsa_user_sgpr_dispatch_ptr 0
		.amdhsa_user_sgpr_queue_ptr 0
		.amdhsa_user_sgpr_kernarg_segment_ptr 1
		.amdhsa_user_sgpr_dispatch_id 0
		.amdhsa_user_sgpr_kernarg_preload_length 0
		.amdhsa_user_sgpr_kernarg_preload_offset 0
		.amdhsa_user_sgpr_private_segment_size 0
		.amdhsa_wavefront_size32 1
		.amdhsa_uses_dynamic_stack 0
		.amdhsa_enable_private_segment 0
		.amdhsa_system_sgpr_workgroup_id_x 1
		.amdhsa_system_sgpr_workgroup_id_y 0
		.amdhsa_system_sgpr_workgroup_id_z 0
		.amdhsa_system_sgpr_workgroup_info 0
		.amdhsa_system_vgpr_workitem_id 0
		.amdhsa_next_free_vgpr 1
		.amdhsa_next_free_sgpr 1
		.amdhsa_named_barrier_count 0
		.amdhsa_reserve_vcc 0
		.amdhsa_float_round_mode_32 0
		.amdhsa_float_round_mode_16_64 0
		.amdhsa_float_denorm_mode_32 3
		.amdhsa_float_denorm_mode_16_64 3
		.amdhsa_fp16_overflow 0
		.amdhsa_memory_ordered 1
		.amdhsa_forward_progress 1
		.amdhsa_inst_pref_size 0
		.amdhsa_round_robin_scheduling 0
		.amdhsa_exception_fp_ieee_invalid_op 0
		.amdhsa_exception_fp_denorm_src 0
		.amdhsa_exception_fp_ieee_div_zero 0
		.amdhsa_exception_fp_ieee_overflow 0
		.amdhsa_exception_fp_ieee_underflow 0
		.amdhsa_exception_fp_ieee_inexact 0
		.amdhsa_exception_int_div_zero 0
	.end_amdhsa_kernel
	.section	.text._ZN7rocprim17ROCPRIM_400000_NS6detail17trampoline_kernelINS0_14default_configENS1_36segmented_radix_sort_config_selectorIhlEEZNS1_25segmented_radix_sort_implIS3_Lb1EPKhPhPKlPlN2at6native12_GLOBAL__N_18offset_tEEE10hipError_tPvRmT1_PNSt15iterator_traitsISK_E10value_typeET2_T3_PNSL_ISQ_E10value_typeET4_jRbjT5_SW_jjP12ihipStream_tbEUlT_E0_NS1_11comp_targetILNS1_3genE3ELNS1_11target_archE908ELNS1_3gpuE7ELNS1_3repE0EEENS1_60segmented_radix_sort_warp_sort_medium_config_static_selectorELNS0_4arch9wavefront6targetE0EEEvSK_,"axG",@progbits,_ZN7rocprim17ROCPRIM_400000_NS6detail17trampoline_kernelINS0_14default_configENS1_36segmented_radix_sort_config_selectorIhlEEZNS1_25segmented_radix_sort_implIS3_Lb1EPKhPhPKlPlN2at6native12_GLOBAL__N_18offset_tEEE10hipError_tPvRmT1_PNSt15iterator_traitsISK_E10value_typeET2_T3_PNSL_ISQ_E10value_typeET4_jRbjT5_SW_jjP12ihipStream_tbEUlT_E0_NS1_11comp_targetILNS1_3genE3ELNS1_11target_archE908ELNS1_3gpuE7ELNS1_3repE0EEENS1_60segmented_radix_sort_warp_sort_medium_config_static_selectorELNS0_4arch9wavefront6targetE0EEEvSK_,comdat
.Lfunc_end97:
	.size	_ZN7rocprim17ROCPRIM_400000_NS6detail17trampoline_kernelINS0_14default_configENS1_36segmented_radix_sort_config_selectorIhlEEZNS1_25segmented_radix_sort_implIS3_Lb1EPKhPhPKlPlN2at6native12_GLOBAL__N_18offset_tEEE10hipError_tPvRmT1_PNSt15iterator_traitsISK_E10value_typeET2_T3_PNSL_ISQ_E10value_typeET4_jRbjT5_SW_jjP12ihipStream_tbEUlT_E0_NS1_11comp_targetILNS1_3genE3ELNS1_11target_archE908ELNS1_3gpuE7ELNS1_3repE0EEENS1_60segmented_radix_sort_warp_sort_medium_config_static_selectorELNS0_4arch9wavefront6targetE0EEEvSK_, .Lfunc_end97-_ZN7rocprim17ROCPRIM_400000_NS6detail17trampoline_kernelINS0_14default_configENS1_36segmented_radix_sort_config_selectorIhlEEZNS1_25segmented_radix_sort_implIS3_Lb1EPKhPhPKlPlN2at6native12_GLOBAL__N_18offset_tEEE10hipError_tPvRmT1_PNSt15iterator_traitsISK_E10value_typeET2_T3_PNSL_ISQ_E10value_typeET4_jRbjT5_SW_jjP12ihipStream_tbEUlT_E0_NS1_11comp_targetILNS1_3genE3ELNS1_11target_archE908ELNS1_3gpuE7ELNS1_3repE0EEENS1_60segmented_radix_sort_warp_sort_medium_config_static_selectorELNS0_4arch9wavefront6targetE0EEEvSK_
                                        ; -- End function
	.set _ZN7rocprim17ROCPRIM_400000_NS6detail17trampoline_kernelINS0_14default_configENS1_36segmented_radix_sort_config_selectorIhlEEZNS1_25segmented_radix_sort_implIS3_Lb1EPKhPhPKlPlN2at6native12_GLOBAL__N_18offset_tEEE10hipError_tPvRmT1_PNSt15iterator_traitsISK_E10value_typeET2_T3_PNSL_ISQ_E10value_typeET4_jRbjT5_SW_jjP12ihipStream_tbEUlT_E0_NS1_11comp_targetILNS1_3genE3ELNS1_11target_archE908ELNS1_3gpuE7ELNS1_3repE0EEENS1_60segmented_radix_sort_warp_sort_medium_config_static_selectorELNS0_4arch9wavefront6targetE0EEEvSK_.num_vgpr, 0
	.set _ZN7rocprim17ROCPRIM_400000_NS6detail17trampoline_kernelINS0_14default_configENS1_36segmented_radix_sort_config_selectorIhlEEZNS1_25segmented_radix_sort_implIS3_Lb1EPKhPhPKlPlN2at6native12_GLOBAL__N_18offset_tEEE10hipError_tPvRmT1_PNSt15iterator_traitsISK_E10value_typeET2_T3_PNSL_ISQ_E10value_typeET4_jRbjT5_SW_jjP12ihipStream_tbEUlT_E0_NS1_11comp_targetILNS1_3genE3ELNS1_11target_archE908ELNS1_3gpuE7ELNS1_3repE0EEENS1_60segmented_radix_sort_warp_sort_medium_config_static_selectorELNS0_4arch9wavefront6targetE0EEEvSK_.num_agpr, 0
	.set _ZN7rocprim17ROCPRIM_400000_NS6detail17trampoline_kernelINS0_14default_configENS1_36segmented_radix_sort_config_selectorIhlEEZNS1_25segmented_radix_sort_implIS3_Lb1EPKhPhPKlPlN2at6native12_GLOBAL__N_18offset_tEEE10hipError_tPvRmT1_PNSt15iterator_traitsISK_E10value_typeET2_T3_PNSL_ISQ_E10value_typeET4_jRbjT5_SW_jjP12ihipStream_tbEUlT_E0_NS1_11comp_targetILNS1_3genE3ELNS1_11target_archE908ELNS1_3gpuE7ELNS1_3repE0EEENS1_60segmented_radix_sort_warp_sort_medium_config_static_selectorELNS0_4arch9wavefront6targetE0EEEvSK_.numbered_sgpr, 0
	.set _ZN7rocprim17ROCPRIM_400000_NS6detail17trampoline_kernelINS0_14default_configENS1_36segmented_radix_sort_config_selectorIhlEEZNS1_25segmented_radix_sort_implIS3_Lb1EPKhPhPKlPlN2at6native12_GLOBAL__N_18offset_tEEE10hipError_tPvRmT1_PNSt15iterator_traitsISK_E10value_typeET2_T3_PNSL_ISQ_E10value_typeET4_jRbjT5_SW_jjP12ihipStream_tbEUlT_E0_NS1_11comp_targetILNS1_3genE3ELNS1_11target_archE908ELNS1_3gpuE7ELNS1_3repE0EEENS1_60segmented_radix_sort_warp_sort_medium_config_static_selectorELNS0_4arch9wavefront6targetE0EEEvSK_.num_named_barrier, 0
	.set _ZN7rocprim17ROCPRIM_400000_NS6detail17trampoline_kernelINS0_14default_configENS1_36segmented_radix_sort_config_selectorIhlEEZNS1_25segmented_radix_sort_implIS3_Lb1EPKhPhPKlPlN2at6native12_GLOBAL__N_18offset_tEEE10hipError_tPvRmT1_PNSt15iterator_traitsISK_E10value_typeET2_T3_PNSL_ISQ_E10value_typeET4_jRbjT5_SW_jjP12ihipStream_tbEUlT_E0_NS1_11comp_targetILNS1_3genE3ELNS1_11target_archE908ELNS1_3gpuE7ELNS1_3repE0EEENS1_60segmented_radix_sort_warp_sort_medium_config_static_selectorELNS0_4arch9wavefront6targetE0EEEvSK_.private_seg_size, 0
	.set _ZN7rocprim17ROCPRIM_400000_NS6detail17trampoline_kernelINS0_14default_configENS1_36segmented_radix_sort_config_selectorIhlEEZNS1_25segmented_radix_sort_implIS3_Lb1EPKhPhPKlPlN2at6native12_GLOBAL__N_18offset_tEEE10hipError_tPvRmT1_PNSt15iterator_traitsISK_E10value_typeET2_T3_PNSL_ISQ_E10value_typeET4_jRbjT5_SW_jjP12ihipStream_tbEUlT_E0_NS1_11comp_targetILNS1_3genE3ELNS1_11target_archE908ELNS1_3gpuE7ELNS1_3repE0EEENS1_60segmented_radix_sort_warp_sort_medium_config_static_selectorELNS0_4arch9wavefront6targetE0EEEvSK_.uses_vcc, 0
	.set _ZN7rocprim17ROCPRIM_400000_NS6detail17trampoline_kernelINS0_14default_configENS1_36segmented_radix_sort_config_selectorIhlEEZNS1_25segmented_radix_sort_implIS3_Lb1EPKhPhPKlPlN2at6native12_GLOBAL__N_18offset_tEEE10hipError_tPvRmT1_PNSt15iterator_traitsISK_E10value_typeET2_T3_PNSL_ISQ_E10value_typeET4_jRbjT5_SW_jjP12ihipStream_tbEUlT_E0_NS1_11comp_targetILNS1_3genE3ELNS1_11target_archE908ELNS1_3gpuE7ELNS1_3repE0EEENS1_60segmented_radix_sort_warp_sort_medium_config_static_selectorELNS0_4arch9wavefront6targetE0EEEvSK_.uses_flat_scratch, 0
	.set _ZN7rocprim17ROCPRIM_400000_NS6detail17trampoline_kernelINS0_14default_configENS1_36segmented_radix_sort_config_selectorIhlEEZNS1_25segmented_radix_sort_implIS3_Lb1EPKhPhPKlPlN2at6native12_GLOBAL__N_18offset_tEEE10hipError_tPvRmT1_PNSt15iterator_traitsISK_E10value_typeET2_T3_PNSL_ISQ_E10value_typeET4_jRbjT5_SW_jjP12ihipStream_tbEUlT_E0_NS1_11comp_targetILNS1_3genE3ELNS1_11target_archE908ELNS1_3gpuE7ELNS1_3repE0EEENS1_60segmented_radix_sort_warp_sort_medium_config_static_selectorELNS0_4arch9wavefront6targetE0EEEvSK_.has_dyn_sized_stack, 0
	.set _ZN7rocprim17ROCPRIM_400000_NS6detail17trampoline_kernelINS0_14default_configENS1_36segmented_radix_sort_config_selectorIhlEEZNS1_25segmented_radix_sort_implIS3_Lb1EPKhPhPKlPlN2at6native12_GLOBAL__N_18offset_tEEE10hipError_tPvRmT1_PNSt15iterator_traitsISK_E10value_typeET2_T3_PNSL_ISQ_E10value_typeET4_jRbjT5_SW_jjP12ihipStream_tbEUlT_E0_NS1_11comp_targetILNS1_3genE3ELNS1_11target_archE908ELNS1_3gpuE7ELNS1_3repE0EEENS1_60segmented_radix_sort_warp_sort_medium_config_static_selectorELNS0_4arch9wavefront6targetE0EEEvSK_.has_recursion, 0
	.set _ZN7rocprim17ROCPRIM_400000_NS6detail17trampoline_kernelINS0_14default_configENS1_36segmented_radix_sort_config_selectorIhlEEZNS1_25segmented_radix_sort_implIS3_Lb1EPKhPhPKlPlN2at6native12_GLOBAL__N_18offset_tEEE10hipError_tPvRmT1_PNSt15iterator_traitsISK_E10value_typeET2_T3_PNSL_ISQ_E10value_typeET4_jRbjT5_SW_jjP12ihipStream_tbEUlT_E0_NS1_11comp_targetILNS1_3genE3ELNS1_11target_archE908ELNS1_3gpuE7ELNS1_3repE0EEENS1_60segmented_radix_sort_warp_sort_medium_config_static_selectorELNS0_4arch9wavefront6targetE0EEEvSK_.has_indirect_call, 0
	.section	.AMDGPU.csdata,"",@progbits
; Kernel info:
; codeLenInByte = 0
; TotalNumSgprs: 0
; NumVgprs: 0
; ScratchSize: 0
; MemoryBound: 0
; FloatMode: 240
; IeeeMode: 1
; LDSByteSize: 0 bytes/workgroup (compile time only)
; SGPRBlocks: 0
; VGPRBlocks: 0
; NumSGPRsForWavesPerEU: 1
; NumVGPRsForWavesPerEU: 1
; NamedBarCnt: 0
; Occupancy: 16
; WaveLimiterHint : 0
; COMPUTE_PGM_RSRC2:SCRATCH_EN: 0
; COMPUTE_PGM_RSRC2:USER_SGPR: 2
; COMPUTE_PGM_RSRC2:TRAP_HANDLER: 0
; COMPUTE_PGM_RSRC2:TGID_X_EN: 1
; COMPUTE_PGM_RSRC2:TGID_Y_EN: 0
; COMPUTE_PGM_RSRC2:TGID_Z_EN: 0
; COMPUTE_PGM_RSRC2:TIDIG_COMP_CNT: 0
	.section	.text._ZN7rocprim17ROCPRIM_400000_NS6detail17trampoline_kernelINS0_14default_configENS1_36segmented_radix_sort_config_selectorIhlEEZNS1_25segmented_radix_sort_implIS3_Lb1EPKhPhPKlPlN2at6native12_GLOBAL__N_18offset_tEEE10hipError_tPvRmT1_PNSt15iterator_traitsISK_E10value_typeET2_T3_PNSL_ISQ_E10value_typeET4_jRbjT5_SW_jjP12ihipStream_tbEUlT_E0_NS1_11comp_targetILNS1_3genE2ELNS1_11target_archE906ELNS1_3gpuE6ELNS1_3repE0EEENS1_60segmented_radix_sort_warp_sort_medium_config_static_selectorELNS0_4arch9wavefront6targetE0EEEvSK_,"axG",@progbits,_ZN7rocprim17ROCPRIM_400000_NS6detail17trampoline_kernelINS0_14default_configENS1_36segmented_radix_sort_config_selectorIhlEEZNS1_25segmented_radix_sort_implIS3_Lb1EPKhPhPKlPlN2at6native12_GLOBAL__N_18offset_tEEE10hipError_tPvRmT1_PNSt15iterator_traitsISK_E10value_typeET2_T3_PNSL_ISQ_E10value_typeET4_jRbjT5_SW_jjP12ihipStream_tbEUlT_E0_NS1_11comp_targetILNS1_3genE2ELNS1_11target_archE906ELNS1_3gpuE6ELNS1_3repE0EEENS1_60segmented_radix_sort_warp_sort_medium_config_static_selectorELNS0_4arch9wavefront6targetE0EEEvSK_,comdat
	.globl	_ZN7rocprim17ROCPRIM_400000_NS6detail17trampoline_kernelINS0_14default_configENS1_36segmented_radix_sort_config_selectorIhlEEZNS1_25segmented_radix_sort_implIS3_Lb1EPKhPhPKlPlN2at6native12_GLOBAL__N_18offset_tEEE10hipError_tPvRmT1_PNSt15iterator_traitsISK_E10value_typeET2_T3_PNSL_ISQ_E10value_typeET4_jRbjT5_SW_jjP12ihipStream_tbEUlT_E0_NS1_11comp_targetILNS1_3genE2ELNS1_11target_archE906ELNS1_3gpuE6ELNS1_3repE0EEENS1_60segmented_radix_sort_warp_sort_medium_config_static_selectorELNS0_4arch9wavefront6targetE0EEEvSK_ ; -- Begin function _ZN7rocprim17ROCPRIM_400000_NS6detail17trampoline_kernelINS0_14default_configENS1_36segmented_radix_sort_config_selectorIhlEEZNS1_25segmented_radix_sort_implIS3_Lb1EPKhPhPKlPlN2at6native12_GLOBAL__N_18offset_tEEE10hipError_tPvRmT1_PNSt15iterator_traitsISK_E10value_typeET2_T3_PNSL_ISQ_E10value_typeET4_jRbjT5_SW_jjP12ihipStream_tbEUlT_E0_NS1_11comp_targetILNS1_3genE2ELNS1_11target_archE906ELNS1_3gpuE6ELNS1_3repE0EEENS1_60segmented_radix_sort_warp_sort_medium_config_static_selectorELNS0_4arch9wavefront6targetE0EEEvSK_
	.p2align	8
	.type	_ZN7rocprim17ROCPRIM_400000_NS6detail17trampoline_kernelINS0_14default_configENS1_36segmented_radix_sort_config_selectorIhlEEZNS1_25segmented_radix_sort_implIS3_Lb1EPKhPhPKlPlN2at6native12_GLOBAL__N_18offset_tEEE10hipError_tPvRmT1_PNSt15iterator_traitsISK_E10value_typeET2_T3_PNSL_ISQ_E10value_typeET4_jRbjT5_SW_jjP12ihipStream_tbEUlT_E0_NS1_11comp_targetILNS1_3genE2ELNS1_11target_archE906ELNS1_3gpuE6ELNS1_3repE0EEENS1_60segmented_radix_sort_warp_sort_medium_config_static_selectorELNS0_4arch9wavefront6targetE0EEEvSK_,@function
_ZN7rocprim17ROCPRIM_400000_NS6detail17trampoline_kernelINS0_14default_configENS1_36segmented_radix_sort_config_selectorIhlEEZNS1_25segmented_radix_sort_implIS3_Lb1EPKhPhPKlPlN2at6native12_GLOBAL__N_18offset_tEEE10hipError_tPvRmT1_PNSt15iterator_traitsISK_E10value_typeET2_T3_PNSL_ISQ_E10value_typeET4_jRbjT5_SW_jjP12ihipStream_tbEUlT_E0_NS1_11comp_targetILNS1_3genE2ELNS1_11target_archE906ELNS1_3gpuE6ELNS1_3repE0EEENS1_60segmented_radix_sort_warp_sort_medium_config_static_selectorELNS0_4arch9wavefront6targetE0EEEvSK_: ; @_ZN7rocprim17ROCPRIM_400000_NS6detail17trampoline_kernelINS0_14default_configENS1_36segmented_radix_sort_config_selectorIhlEEZNS1_25segmented_radix_sort_implIS3_Lb1EPKhPhPKlPlN2at6native12_GLOBAL__N_18offset_tEEE10hipError_tPvRmT1_PNSt15iterator_traitsISK_E10value_typeET2_T3_PNSL_ISQ_E10value_typeET4_jRbjT5_SW_jjP12ihipStream_tbEUlT_E0_NS1_11comp_targetILNS1_3genE2ELNS1_11target_archE906ELNS1_3gpuE6ELNS1_3repE0EEENS1_60segmented_radix_sort_warp_sort_medium_config_static_selectorELNS0_4arch9wavefront6targetE0EEEvSK_
; %bb.0:
	.section	.rodata,"a",@progbits
	.p2align	6, 0x0
	.amdhsa_kernel _ZN7rocprim17ROCPRIM_400000_NS6detail17trampoline_kernelINS0_14default_configENS1_36segmented_radix_sort_config_selectorIhlEEZNS1_25segmented_radix_sort_implIS3_Lb1EPKhPhPKlPlN2at6native12_GLOBAL__N_18offset_tEEE10hipError_tPvRmT1_PNSt15iterator_traitsISK_E10value_typeET2_T3_PNSL_ISQ_E10value_typeET4_jRbjT5_SW_jjP12ihipStream_tbEUlT_E0_NS1_11comp_targetILNS1_3genE2ELNS1_11target_archE906ELNS1_3gpuE6ELNS1_3repE0EEENS1_60segmented_radix_sort_warp_sort_medium_config_static_selectorELNS0_4arch9wavefront6targetE0EEEvSK_
		.amdhsa_group_segment_fixed_size 0
		.amdhsa_private_segment_fixed_size 0
		.amdhsa_kernarg_size 88
		.amdhsa_user_sgpr_count 2
		.amdhsa_user_sgpr_dispatch_ptr 0
		.amdhsa_user_sgpr_queue_ptr 0
		.amdhsa_user_sgpr_kernarg_segment_ptr 1
		.amdhsa_user_sgpr_dispatch_id 0
		.amdhsa_user_sgpr_kernarg_preload_length 0
		.amdhsa_user_sgpr_kernarg_preload_offset 0
		.amdhsa_user_sgpr_private_segment_size 0
		.amdhsa_wavefront_size32 1
		.amdhsa_uses_dynamic_stack 0
		.amdhsa_enable_private_segment 0
		.amdhsa_system_sgpr_workgroup_id_x 1
		.amdhsa_system_sgpr_workgroup_id_y 0
		.amdhsa_system_sgpr_workgroup_id_z 0
		.amdhsa_system_sgpr_workgroup_info 0
		.amdhsa_system_vgpr_workitem_id 0
		.amdhsa_next_free_vgpr 1
		.amdhsa_next_free_sgpr 1
		.amdhsa_named_barrier_count 0
		.amdhsa_reserve_vcc 0
		.amdhsa_float_round_mode_32 0
		.amdhsa_float_round_mode_16_64 0
		.amdhsa_float_denorm_mode_32 3
		.amdhsa_float_denorm_mode_16_64 3
		.amdhsa_fp16_overflow 0
		.amdhsa_memory_ordered 1
		.amdhsa_forward_progress 1
		.amdhsa_inst_pref_size 0
		.amdhsa_round_robin_scheduling 0
		.amdhsa_exception_fp_ieee_invalid_op 0
		.amdhsa_exception_fp_denorm_src 0
		.amdhsa_exception_fp_ieee_div_zero 0
		.amdhsa_exception_fp_ieee_overflow 0
		.amdhsa_exception_fp_ieee_underflow 0
		.amdhsa_exception_fp_ieee_inexact 0
		.amdhsa_exception_int_div_zero 0
	.end_amdhsa_kernel
	.section	.text._ZN7rocprim17ROCPRIM_400000_NS6detail17trampoline_kernelINS0_14default_configENS1_36segmented_radix_sort_config_selectorIhlEEZNS1_25segmented_radix_sort_implIS3_Lb1EPKhPhPKlPlN2at6native12_GLOBAL__N_18offset_tEEE10hipError_tPvRmT1_PNSt15iterator_traitsISK_E10value_typeET2_T3_PNSL_ISQ_E10value_typeET4_jRbjT5_SW_jjP12ihipStream_tbEUlT_E0_NS1_11comp_targetILNS1_3genE2ELNS1_11target_archE906ELNS1_3gpuE6ELNS1_3repE0EEENS1_60segmented_radix_sort_warp_sort_medium_config_static_selectorELNS0_4arch9wavefront6targetE0EEEvSK_,"axG",@progbits,_ZN7rocprim17ROCPRIM_400000_NS6detail17trampoline_kernelINS0_14default_configENS1_36segmented_radix_sort_config_selectorIhlEEZNS1_25segmented_radix_sort_implIS3_Lb1EPKhPhPKlPlN2at6native12_GLOBAL__N_18offset_tEEE10hipError_tPvRmT1_PNSt15iterator_traitsISK_E10value_typeET2_T3_PNSL_ISQ_E10value_typeET4_jRbjT5_SW_jjP12ihipStream_tbEUlT_E0_NS1_11comp_targetILNS1_3genE2ELNS1_11target_archE906ELNS1_3gpuE6ELNS1_3repE0EEENS1_60segmented_radix_sort_warp_sort_medium_config_static_selectorELNS0_4arch9wavefront6targetE0EEEvSK_,comdat
.Lfunc_end98:
	.size	_ZN7rocprim17ROCPRIM_400000_NS6detail17trampoline_kernelINS0_14default_configENS1_36segmented_radix_sort_config_selectorIhlEEZNS1_25segmented_radix_sort_implIS3_Lb1EPKhPhPKlPlN2at6native12_GLOBAL__N_18offset_tEEE10hipError_tPvRmT1_PNSt15iterator_traitsISK_E10value_typeET2_T3_PNSL_ISQ_E10value_typeET4_jRbjT5_SW_jjP12ihipStream_tbEUlT_E0_NS1_11comp_targetILNS1_3genE2ELNS1_11target_archE906ELNS1_3gpuE6ELNS1_3repE0EEENS1_60segmented_radix_sort_warp_sort_medium_config_static_selectorELNS0_4arch9wavefront6targetE0EEEvSK_, .Lfunc_end98-_ZN7rocprim17ROCPRIM_400000_NS6detail17trampoline_kernelINS0_14default_configENS1_36segmented_radix_sort_config_selectorIhlEEZNS1_25segmented_radix_sort_implIS3_Lb1EPKhPhPKlPlN2at6native12_GLOBAL__N_18offset_tEEE10hipError_tPvRmT1_PNSt15iterator_traitsISK_E10value_typeET2_T3_PNSL_ISQ_E10value_typeET4_jRbjT5_SW_jjP12ihipStream_tbEUlT_E0_NS1_11comp_targetILNS1_3genE2ELNS1_11target_archE906ELNS1_3gpuE6ELNS1_3repE0EEENS1_60segmented_radix_sort_warp_sort_medium_config_static_selectorELNS0_4arch9wavefront6targetE0EEEvSK_
                                        ; -- End function
	.set _ZN7rocprim17ROCPRIM_400000_NS6detail17trampoline_kernelINS0_14default_configENS1_36segmented_radix_sort_config_selectorIhlEEZNS1_25segmented_radix_sort_implIS3_Lb1EPKhPhPKlPlN2at6native12_GLOBAL__N_18offset_tEEE10hipError_tPvRmT1_PNSt15iterator_traitsISK_E10value_typeET2_T3_PNSL_ISQ_E10value_typeET4_jRbjT5_SW_jjP12ihipStream_tbEUlT_E0_NS1_11comp_targetILNS1_3genE2ELNS1_11target_archE906ELNS1_3gpuE6ELNS1_3repE0EEENS1_60segmented_radix_sort_warp_sort_medium_config_static_selectorELNS0_4arch9wavefront6targetE0EEEvSK_.num_vgpr, 0
	.set _ZN7rocprim17ROCPRIM_400000_NS6detail17trampoline_kernelINS0_14default_configENS1_36segmented_radix_sort_config_selectorIhlEEZNS1_25segmented_radix_sort_implIS3_Lb1EPKhPhPKlPlN2at6native12_GLOBAL__N_18offset_tEEE10hipError_tPvRmT1_PNSt15iterator_traitsISK_E10value_typeET2_T3_PNSL_ISQ_E10value_typeET4_jRbjT5_SW_jjP12ihipStream_tbEUlT_E0_NS1_11comp_targetILNS1_3genE2ELNS1_11target_archE906ELNS1_3gpuE6ELNS1_3repE0EEENS1_60segmented_radix_sort_warp_sort_medium_config_static_selectorELNS0_4arch9wavefront6targetE0EEEvSK_.num_agpr, 0
	.set _ZN7rocprim17ROCPRIM_400000_NS6detail17trampoline_kernelINS0_14default_configENS1_36segmented_radix_sort_config_selectorIhlEEZNS1_25segmented_radix_sort_implIS3_Lb1EPKhPhPKlPlN2at6native12_GLOBAL__N_18offset_tEEE10hipError_tPvRmT1_PNSt15iterator_traitsISK_E10value_typeET2_T3_PNSL_ISQ_E10value_typeET4_jRbjT5_SW_jjP12ihipStream_tbEUlT_E0_NS1_11comp_targetILNS1_3genE2ELNS1_11target_archE906ELNS1_3gpuE6ELNS1_3repE0EEENS1_60segmented_radix_sort_warp_sort_medium_config_static_selectorELNS0_4arch9wavefront6targetE0EEEvSK_.numbered_sgpr, 0
	.set _ZN7rocprim17ROCPRIM_400000_NS6detail17trampoline_kernelINS0_14default_configENS1_36segmented_radix_sort_config_selectorIhlEEZNS1_25segmented_radix_sort_implIS3_Lb1EPKhPhPKlPlN2at6native12_GLOBAL__N_18offset_tEEE10hipError_tPvRmT1_PNSt15iterator_traitsISK_E10value_typeET2_T3_PNSL_ISQ_E10value_typeET4_jRbjT5_SW_jjP12ihipStream_tbEUlT_E0_NS1_11comp_targetILNS1_3genE2ELNS1_11target_archE906ELNS1_3gpuE6ELNS1_3repE0EEENS1_60segmented_radix_sort_warp_sort_medium_config_static_selectorELNS0_4arch9wavefront6targetE0EEEvSK_.num_named_barrier, 0
	.set _ZN7rocprim17ROCPRIM_400000_NS6detail17trampoline_kernelINS0_14default_configENS1_36segmented_radix_sort_config_selectorIhlEEZNS1_25segmented_radix_sort_implIS3_Lb1EPKhPhPKlPlN2at6native12_GLOBAL__N_18offset_tEEE10hipError_tPvRmT1_PNSt15iterator_traitsISK_E10value_typeET2_T3_PNSL_ISQ_E10value_typeET4_jRbjT5_SW_jjP12ihipStream_tbEUlT_E0_NS1_11comp_targetILNS1_3genE2ELNS1_11target_archE906ELNS1_3gpuE6ELNS1_3repE0EEENS1_60segmented_radix_sort_warp_sort_medium_config_static_selectorELNS0_4arch9wavefront6targetE0EEEvSK_.private_seg_size, 0
	.set _ZN7rocprim17ROCPRIM_400000_NS6detail17trampoline_kernelINS0_14default_configENS1_36segmented_radix_sort_config_selectorIhlEEZNS1_25segmented_radix_sort_implIS3_Lb1EPKhPhPKlPlN2at6native12_GLOBAL__N_18offset_tEEE10hipError_tPvRmT1_PNSt15iterator_traitsISK_E10value_typeET2_T3_PNSL_ISQ_E10value_typeET4_jRbjT5_SW_jjP12ihipStream_tbEUlT_E0_NS1_11comp_targetILNS1_3genE2ELNS1_11target_archE906ELNS1_3gpuE6ELNS1_3repE0EEENS1_60segmented_radix_sort_warp_sort_medium_config_static_selectorELNS0_4arch9wavefront6targetE0EEEvSK_.uses_vcc, 0
	.set _ZN7rocprim17ROCPRIM_400000_NS6detail17trampoline_kernelINS0_14default_configENS1_36segmented_radix_sort_config_selectorIhlEEZNS1_25segmented_radix_sort_implIS3_Lb1EPKhPhPKlPlN2at6native12_GLOBAL__N_18offset_tEEE10hipError_tPvRmT1_PNSt15iterator_traitsISK_E10value_typeET2_T3_PNSL_ISQ_E10value_typeET4_jRbjT5_SW_jjP12ihipStream_tbEUlT_E0_NS1_11comp_targetILNS1_3genE2ELNS1_11target_archE906ELNS1_3gpuE6ELNS1_3repE0EEENS1_60segmented_radix_sort_warp_sort_medium_config_static_selectorELNS0_4arch9wavefront6targetE0EEEvSK_.uses_flat_scratch, 0
	.set _ZN7rocprim17ROCPRIM_400000_NS6detail17trampoline_kernelINS0_14default_configENS1_36segmented_radix_sort_config_selectorIhlEEZNS1_25segmented_radix_sort_implIS3_Lb1EPKhPhPKlPlN2at6native12_GLOBAL__N_18offset_tEEE10hipError_tPvRmT1_PNSt15iterator_traitsISK_E10value_typeET2_T3_PNSL_ISQ_E10value_typeET4_jRbjT5_SW_jjP12ihipStream_tbEUlT_E0_NS1_11comp_targetILNS1_3genE2ELNS1_11target_archE906ELNS1_3gpuE6ELNS1_3repE0EEENS1_60segmented_radix_sort_warp_sort_medium_config_static_selectorELNS0_4arch9wavefront6targetE0EEEvSK_.has_dyn_sized_stack, 0
	.set _ZN7rocprim17ROCPRIM_400000_NS6detail17trampoline_kernelINS0_14default_configENS1_36segmented_radix_sort_config_selectorIhlEEZNS1_25segmented_radix_sort_implIS3_Lb1EPKhPhPKlPlN2at6native12_GLOBAL__N_18offset_tEEE10hipError_tPvRmT1_PNSt15iterator_traitsISK_E10value_typeET2_T3_PNSL_ISQ_E10value_typeET4_jRbjT5_SW_jjP12ihipStream_tbEUlT_E0_NS1_11comp_targetILNS1_3genE2ELNS1_11target_archE906ELNS1_3gpuE6ELNS1_3repE0EEENS1_60segmented_radix_sort_warp_sort_medium_config_static_selectorELNS0_4arch9wavefront6targetE0EEEvSK_.has_recursion, 0
	.set _ZN7rocprim17ROCPRIM_400000_NS6detail17trampoline_kernelINS0_14default_configENS1_36segmented_radix_sort_config_selectorIhlEEZNS1_25segmented_radix_sort_implIS3_Lb1EPKhPhPKlPlN2at6native12_GLOBAL__N_18offset_tEEE10hipError_tPvRmT1_PNSt15iterator_traitsISK_E10value_typeET2_T3_PNSL_ISQ_E10value_typeET4_jRbjT5_SW_jjP12ihipStream_tbEUlT_E0_NS1_11comp_targetILNS1_3genE2ELNS1_11target_archE906ELNS1_3gpuE6ELNS1_3repE0EEENS1_60segmented_radix_sort_warp_sort_medium_config_static_selectorELNS0_4arch9wavefront6targetE0EEEvSK_.has_indirect_call, 0
	.section	.AMDGPU.csdata,"",@progbits
; Kernel info:
; codeLenInByte = 0
; TotalNumSgprs: 0
; NumVgprs: 0
; ScratchSize: 0
; MemoryBound: 0
; FloatMode: 240
; IeeeMode: 1
; LDSByteSize: 0 bytes/workgroup (compile time only)
; SGPRBlocks: 0
; VGPRBlocks: 0
; NumSGPRsForWavesPerEU: 1
; NumVGPRsForWavesPerEU: 1
; NamedBarCnt: 0
; Occupancy: 16
; WaveLimiterHint : 0
; COMPUTE_PGM_RSRC2:SCRATCH_EN: 0
; COMPUTE_PGM_RSRC2:USER_SGPR: 2
; COMPUTE_PGM_RSRC2:TRAP_HANDLER: 0
; COMPUTE_PGM_RSRC2:TGID_X_EN: 1
; COMPUTE_PGM_RSRC2:TGID_Y_EN: 0
; COMPUTE_PGM_RSRC2:TGID_Z_EN: 0
; COMPUTE_PGM_RSRC2:TIDIG_COMP_CNT: 0
	.section	.text._ZN7rocprim17ROCPRIM_400000_NS6detail17trampoline_kernelINS0_14default_configENS1_36segmented_radix_sort_config_selectorIhlEEZNS1_25segmented_radix_sort_implIS3_Lb1EPKhPhPKlPlN2at6native12_GLOBAL__N_18offset_tEEE10hipError_tPvRmT1_PNSt15iterator_traitsISK_E10value_typeET2_T3_PNSL_ISQ_E10value_typeET4_jRbjT5_SW_jjP12ihipStream_tbEUlT_E0_NS1_11comp_targetILNS1_3genE10ELNS1_11target_archE1201ELNS1_3gpuE5ELNS1_3repE0EEENS1_60segmented_radix_sort_warp_sort_medium_config_static_selectorELNS0_4arch9wavefront6targetE0EEEvSK_,"axG",@progbits,_ZN7rocprim17ROCPRIM_400000_NS6detail17trampoline_kernelINS0_14default_configENS1_36segmented_radix_sort_config_selectorIhlEEZNS1_25segmented_radix_sort_implIS3_Lb1EPKhPhPKlPlN2at6native12_GLOBAL__N_18offset_tEEE10hipError_tPvRmT1_PNSt15iterator_traitsISK_E10value_typeET2_T3_PNSL_ISQ_E10value_typeET4_jRbjT5_SW_jjP12ihipStream_tbEUlT_E0_NS1_11comp_targetILNS1_3genE10ELNS1_11target_archE1201ELNS1_3gpuE5ELNS1_3repE0EEENS1_60segmented_radix_sort_warp_sort_medium_config_static_selectorELNS0_4arch9wavefront6targetE0EEEvSK_,comdat
	.globl	_ZN7rocprim17ROCPRIM_400000_NS6detail17trampoline_kernelINS0_14default_configENS1_36segmented_radix_sort_config_selectorIhlEEZNS1_25segmented_radix_sort_implIS3_Lb1EPKhPhPKlPlN2at6native12_GLOBAL__N_18offset_tEEE10hipError_tPvRmT1_PNSt15iterator_traitsISK_E10value_typeET2_T3_PNSL_ISQ_E10value_typeET4_jRbjT5_SW_jjP12ihipStream_tbEUlT_E0_NS1_11comp_targetILNS1_3genE10ELNS1_11target_archE1201ELNS1_3gpuE5ELNS1_3repE0EEENS1_60segmented_radix_sort_warp_sort_medium_config_static_selectorELNS0_4arch9wavefront6targetE0EEEvSK_ ; -- Begin function _ZN7rocprim17ROCPRIM_400000_NS6detail17trampoline_kernelINS0_14default_configENS1_36segmented_radix_sort_config_selectorIhlEEZNS1_25segmented_radix_sort_implIS3_Lb1EPKhPhPKlPlN2at6native12_GLOBAL__N_18offset_tEEE10hipError_tPvRmT1_PNSt15iterator_traitsISK_E10value_typeET2_T3_PNSL_ISQ_E10value_typeET4_jRbjT5_SW_jjP12ihipStream_tbEUlT_E0_NS1_11comp_targetILNS1_3genE10ELNS1_11target_archE1201ELNS1_3gpuE5ELNS1_3repE0EEENS1_60segmented_radix_sort_warp_sort_medium_config_static_selectorELNS0_4arch9wavefront6targetE0EEEvSK_
	.p2align	8
	.type	_ZN7rocprim17ROCPRIM_400000_NS6detail17trampoline_kernelINS0_14default_configENS1_36segmented_radix_sort_config_selectorIhlEEZNS1_25segmented_radix_sort_implIS3_Lb1EPKhPhPKlPlN2at6native12_GLOBAL__N_18offset_tEEE10hipError_tPvRmT1_PNSt15iterator_traitsISK_E10value_typeET2_T3_PNSL_ISQ_E10value_typeET4_jRbjT5_SW_jjP12ihipStream_tbEUlT_E0_NS1_11comp_targetILNS1_3genE10ELNS1_11target_archE1201ELNS1_3gpuE5ELNS1_3repE0EEENS1_60segmented_radix_sort_warp_sort_medium_config_static_selectorELNS0_4arch9wavefront6targetE0EEEvSK_,@function
_ZN7rocprim17ROCPRIM_400000_NS6detail17trampoline_kernelINS0_14default_configENS1_36segmented_radix_sort_config_selectorIhlEEZNS1_25segmented_radix_sort_implIS3_Lb1EPKhPhPKlPlN2at6native12_GLOBAL__N_18offset_tEEE10hipError_tPvRmT1_PNSt15iterator_traitsISK_E10value_typeET2_T3_PNSL_ISQ_E10value_typeET4_jRbjT5_SW_jjP12ihipStream_tbEUlT_E0_NS1_11comp_targetILNS1_3genE10ELNS1_11target_archE1201ELNS1_3gpuE5ELNS1_3repE0EEENS1_60segmented_radix_sort_warp_sort_medium_config_static_selectorELNS0_4arch9wavefront6targetE0EEEvSK_: ; @_ZN7rocprim17ROCPRIM_400000_NS6detail17trampoline_kernelINS0_14default_configENS1_36segmented_radix_sort_config_selectorIhlEEZNS1_25segmented_radix_sort_implIS3_Lb1EPKhPhPKlPlN2at6native12_GLOBAL__N_18offset_tEEE10hipError_tPvRmT1_PNSt15iterator_traitsISK_E10value_typeET2_T3_PNSL_ISQ_E10value_typeET4_jRbjT5_SW_jjP12ihipStream_tbEUlT_E0_NS1_11comp_targetILNS1_3genE10ELNS1_11target_archE1201ELNS1_3gpuE5ELNS1_3repE0EEENS1_60segmented_radix_sort_warp_sort_medium_config_static_selectorELNS0_4arch9wavefront6targetE0EEEvSK_
; %bb.0:
	.section	.rodata,"a",@progbits
	.p2align	6, 0x0
	.amdhsa_kernel _ZN7rocprim17ROCPRIM_400000_NS6detail17trampoline_kernelINS0_14default_configENS1_36segmented_radix_sort_config_selectorIhlEEZNS1_25segmented_radix_sort_implIS3_Lb1EPKhPhPKlPlN2at6native12_GLOBAL__N_18offset_tEEE10hipError_tPvRmT1_PNSt15iterator_traitsISK_E10value_typeET2_T3_PNSL_ISQ_E10value_typeET4_jRbjT5_SW_jjP12ihipStream_tbEUlT_E0_NS1_11comp_targetILNS1_3genE10ELNS1_11target_archE1201ELNS1_3gpuE5ELNS1_3repE0EEENS1_60segmented_radix_sort_warp_sort_medium_config_static_selectorELNS0_4arch9wavefront6targetE0EEEvSK_
		.amdhsa_group_segment_fixed_size 0
		.amdhsa_private_segment_fixed_size 0
		.amdhsa_kernarg_size 88
		.amdhsa_user_sgpr_count 2
		.amdhsa_user_sgpr_dispatch_ptr 0
		.amdhsa_user_sgpr_queue_ptr 0
		.amdhsa_user_sgpr_kernarg_segment_ptr 1
		.amdhsa_user_sgpr_dispatch_id 0
		.amdhsa_user_sgpr_kernarg_preload_length 0
		.amdhsa_user_sgpr_kernarg_preload_offset 0
		.amdhsa_user_sgpr_private_segment_size 0
		.amdhsa_wavefront_size32 1
		.amdhsa_uses_dynamic_stack 0
		.amdhsa_enable_private_segment 0
		.amdhsa_system_sgpr_workgroup_id_x 1
		.amdhsa_system_sgpr_workgroup_id_y 0
		.amdhsa_system_sgpr_workgroup_id_z 0
		.amdhsa_system_sgpr_workgroup_info 0
		.amdhsa_system_vgpr_workitem_id 0
		.amdhsa_next_free_vgpr 1
		.amdhsa_next_free_sgpr 1
		.amdhsa_named_barrier_count 0
		.amdhsa_reserve_vcc 0
		.amdhsa_float_round_mode_32 0
		.amdhsa_float_round_mode_16_64 0
		.amdhsa_float_denorm_mode_32 3
		.amdhsa_float_denorm_mode_16_64 3
		.amdhsa_fp16_overflow 0
		.amdhsa_memory_ordered 1
		.amdhsa_forward_progress 1
		.amdhsa_inst_pref_size 0
		.amdhsa_round_robin_scheduling 0
		.amdhsa_exception_fp_ieee_invalid_op 0
		.amdhsa_exception_fp_denorm_src 0
		.amdhsa_exception_fp_ieee_div_zero 0
		.amdhsa_exception_fp_ieee_overflow 0
		.amdhsa_exception_fp_ieee_underflow 0
		.amdhsa_exception_fp_ieee_inexact 0
		.amdhsa_exception_int_div_zero 0
	.end_amdhsa_kernel
	.section	.text._ZN7rocprim17ROCPRIM_400000_NS6detail17trampoline_kernelINS0_14default_configENS1_36segmented_radix_sort_config_selectorIhlEEZNS1_25segmented_radix_sort_implIS3_Lb1EPKhPhPKlPlN2at6native12_GLOBAL__N_18offset_tEEE10hipError_tPvRmT1_PNSt15iterator_traitsISK_E10value_typeET2_T3_PNSL_ISQ_E10value_typeET4_jRbjT5_SW_jjP12ihipStream_tbEUlT_E0_NS1_11comp_targetILNS1_3genE10ELNS1_11target_archE1201ELNS1_3gpuE5ELNS1_3repE0EEENS1_60segmented_radix_sort_warp_sort_medium_config_static_selectorELNS0_4arch9wavefront6targetE0EEEvSK_,"axG",@progbits,_ZN7rocprim17ROCPRIM_400000_NS6detail17trampoline_kernelINS0_14default_configENS1_36segmented_radix_sort_config_selectorIhlEEZNS1_25segmented_radix_sort_implIS3_Lb1EPKhPhPKlPlN2at6native12_GLOBAL__N_18offset_tEEE10hipError_tPvRmT1_PNSt15iterator_traitsISK_E10value_typeET2_T3_PNSL_ISQ_E10value_typeET4_jRbjT5_SW_jjP12ihipStream_tbEUlT_E0_NS1_11comp_targetILNS1_3genE10ELNS1_11target_archE1201ELNS1_3gpuE5ELNS1_3repE0EEENS1_60segmented_radix_sort_warp_sort_medium_config_static_selectorELNS0_4arch9wavefront6targetE0EEEvSK_,comdat
.Lfunc_end99:
	.size	_ZN7rocprim17ROCPRIM_400000_NS6detail17trampoline_kernelINS0_14default_configENS1_36segmented_radix_sort_config_selectorIhlEEZNS1_25segmented_radix_sort_implIS3_Lb1EPKhPhPKlPlN2at6native12_GLOBAL__N_18offset_tEEE10hipError_tPvRmT1_PNSt15iterator_traitsISK_E10value_typeET2_T3_PNSL_ISQ_E10value_typeET4_jRbjT5_SW_jjP12ihipStream_tbEUlT_E0_NS1_11comp_targetILNS1_3genE10ELNS1_11target_archE1201ELNS1_3gpuE5ELNS1_3repE0EEENS1_60segmented_radix_sort_warp_sort_medium_config_static_selectorELNS0_4arch9wavefront6targetE0EEEvSK_, .Lfunc_end99-_ZN7rocprim17ROCPRIM_400000_NS6detail17trampoline_kernelINS0_14default_configENS1_36segmented_radix_sort_config_selectorIhlEEZNS1_25segmented_radix_sort_implIS3_Lb1EPKhPhPKlPlN2at6native12_GLOBAL__N_18offset_tEEE10hipError_tPvRmT1_PNSt15iterator_traitsISK_E10value_typeET2_T3_PNSL_ISQ_E10value_typeET4_jRbjT5_SW_jjP12ihipStream_tbEUlT_E0_NS1_11comp_targetILNS1_3genE10ELNS1_11target_archE1201ELNS1_3gpuE5ELNS1_3repE0EEENS1_60segmented_radix_sort_warp_sort_medium_config_static_selectorELNS0_4arch9wavefront6targetE0EEEvSK_
                                        ; -- End function
	.set _ZN7rocprim17ROCPRIM_400000_NS6detail17trampoline_kernelINS0_14default_configENS1_36segmented_radix_sort_config_selectorIhlEEZNS1_25segmented_radix_sort_implIS3_Lb1EPKhPhPKlPlN2at6native12_GLOBAL__N_18offset_tEEE10hipError_tPvRmT1_PNSt15iterator_traitsISK_E10value_typeET2_T3_PNSL_ISQ_E10value_typeET4_jRbjT5_SW_jjP12ihipStream_tbEUlT_E0_NS1_11comp_targetILNS1_3genE10ELNS1_11target_archE1201ELNS1_3gpuE5ELNS1_3repE0EEENS1_60segmented_radix_sort_warp_sort_medium_config_static_selectorELNS0_4arch9wavefront6targetE0EEEvSK_.num_vgpr, 0
	.set _ZN7rocprim17ROCPRIM_400000_NS6detail17trampoline_kernelINS0_14default_configENS1_36segmented_radix_sort_config_selectorIhlEEZNS1_25segmented_radix_sort_implIS3_Lb1EPKhPhPKlPlN2at6native12_GLOBAL__N_18offset_tEEE10hipError_tPvRmT1_PNSt15iterator_traitsISK_E10value_typeET2_T3_PNSL_ISQ_E10value_typeET4_jRbjT5_SW_jjP12ihipStream_tbEUlT_E0_NS1_11comp_targetILNS1_3genE10ELNS1_11target_archE1201ELNS1_3gpuE5ELNS1_3repE0EEENS1_60segmented_radix_sort_warp_sort_medium_config_static_selectorELNS0_4arch9wavefront6targetE0EEEvSK_.num_agpr, 0
	.set _ZN7rocprim17ROCPRIM_400000_NS6detail17trampoline_kernelINS0_14default_configENS1_36segmented_radix_sort_config_selectorIhlEEZNS1_25segmented_radix_sort_implIS3_Lb1EPKhPhPKlPlN2at6native12_GLOBAL__N_18offset_tEEE10hipError_tPvRmT1_PNSt15iterator_traitsISK_E10value_typeET2_T3_PNSL_ISQ_E10value_typeET4_jRbjT5_SW_jjP12ihipStream_tbEUlT_E0_NS1_11comp_targetILNS1_3genE10ELNS1_11target_archE1201ELNS1_3gpuE5ELNS1_3repE0EEENS1_60segmented_radix_sort_warp_sort_medium_config_static_selectorELNS0_4arch9wavefront6targetE0EEEvSK_.numbered_sgpr, 0
	.set _ZN7rocprim17ROCPRIM_400000_NS6detail17trampoline_kernelINS0_14default_configENS1_36segmented_radix_sort_config_selectorIhlEEZNS1_25segmented_radix_sort_implIS3_Lb1EPKhPhPKlPlN2at6native12_GLOBAL__N_18offset_tEEE10hipError_tPvRmT1_PNSt15iterator_traitsISK_E10value_typeET2_T3_PNSL_ISQ_E10value_typeET4_jRbjT5_SW_jjP12ihipStream_tbEUlT_E0_NS1_11comp_targetILNS1_3genE10ELNS1_11target_archE1201ELNS1_3gpuE5ELNS1_3repE0EEENS1_60segmented_radix_sort_warp_sort_medium_config_static_selectorELNS0_4arch9wavefront6targetE0EEEvSK_.num_named_barrier, 0
	.set _ZN7rocprim17ROCPRIM_400000_NS6detail17trampoline_kernelINS0_14default_configENS1_36segmented_radix_sort_config_selectorIhlEEZNS1_25segmented_radix_sort_implIS3_Lb1EPKhPhPKlPlN2at6native12_GLOBAL__N_18offset_tEEE10hipError_tPvRmT1_PNSt15iterator_traitsISK_E10value_typeET2_T3_PNSL_ISQ_E10value_typeET4_jRbjT5_SW_jjP12ihipStream_tbEUlT_E0_NS1_11comp_targetILNS1_3genE10ELNS1_11target_archE1201ELNS1_3gpuE5ELNS1_3repE0EEENS1_60segmented_radix_sort_warp_sort_medium_config_static_selectorELNS0_4arch9wavefront6targetE0EEEvSK_.private_seg_size, 0
	.set _ZN7rocprim17ROCPRIM_400000_NS6detail17trampoline_kernelINS0_14default_configENS1_36segmented_radix_sort_config_selectorIhlEEZNS1_25segmented_radix_sort_implIS3_Lb1EPKhPhPKlPlN2at6native12_GLOBAL__N_18offset_tEEE10hipError_tPvRmT1_PNSt15iterator_traitsISK_E10value_typeET2_T3_PNSL_ISQ_E10value_typeET4_jRbjT5_SW_jjP12ihipStream_tbEUlT_E0_NS1_11comp_targetILNS1_3genE10ELNS1_11target_archE1201ELNS1_3gpuE5ELNS1_3repE0EEENS1_60segmented_radix_sort_warp_sort_medium_config_static_selectorELNS0_4arch9wavefront6targetE0EEEvSK_.uses_vcc, 0
	.set _ZN7rocprim17ROCPRIM_400000_NS6detail17trampoline_kernelINS0_14default_configENS1_36segmented_radix_sort_config_selectorIhlEEZNS1_25segmented_radix_sort_implIS3_Lb1EPKhPhPKlPlN2at6native12_GLOBAL__N_18offset_tEEE10hipError_tPvRmT1_PNSt15iterator_traitsISK_E10value_typeET2_T3_PNSL_ISQ_E10value_typeET4_jRbjT5_SW_jjP12ihipStream_tbEUlT_E0_NS1_11comp_targetILNS1_3genE10ELNS1_11target_archE1201ELNS1_3gpuE5ELNS1_3repE0EEENS1_60segmented_radix_sort_warp_sort_medium_config_static_selectorELNS0_4arch9wavefront6targetE0EEEvSK_.uses_flat_scratch, 0
	.set _ZN7rocprim17ROCPRIM_400000_NS6detail17trampoline_kernelINS0_14default_configENS1_36segmented_radix_sort_config_selectorIhlEEZNS1_25segmented_radix_sort_implIS3_Lb1EPKhPhPKlPlN2at6native12_GLOBAL__N_18offset_tEEE10hipError_tPvRmT1_PNSt15iterator_traitsISK_E10value_typeET2_T3_PNSL_ISQ_E10value_typeET4_jRbjT5_SW_jjP12ihipStream_tbEUlT_E0_NS1_11comp_targetILNS1_3genE10ELNS1_11target_archE1201ELNS1_3gpuE5ELNS1_3repE0EEENS1_60segmented_radix_sort_warp_sort_medium_config_static_selectorELNS0_4arch9wavefront6targetE0EEEvSK_.has_dyn_sized_stack, 0
	.set _ZN7rocprim17ROCPRIM_400000_NS6detail17trampoline_kernelINS0_14default_configENS1_36segmented_radix_sort_config_selectorIhlEEZNS1_25segmented_radix_sort_implIS3_Lb1EPKhPhPKlPlN2at6native12_GLOBAL__N_18offset_tEEE10hipError_tPvRmT1_PNSt15iterator_traitsISK_E10value_typeET2_T3_PNSL_ISQ_E10value_typeET4_jRbjT5_SW_jjP12ihipStream_tbEUlT_E0_NS1_11comp_targetILNS1_3genE10ELNS1_11target_archE1201ELNS1_3gpuE5ELNS1_3repE0EEENS1_60segmented_radix_sort_warp_sort_medium_config_static_selectorELNS0_4arch9wavefront6targetE0EEEvSK_.has_recursion, 0
	.set _ZN7rocprim17ROCPRIM_400000_NS6detail17trampoline_kernelINS0_14default_configENS1_36segmented_radix_sort_config_selectorIhlEEZNS1_25segmented_radix_sort_implIS3_Lb1EPKhPhPKlPlN2at6native12_GLOBAL__N_18offset_tEEE10hipError_tPvRmT1_PNSt15iterator_traitsISK_E10value_typeET2_T3_PNSL_ISQ_E10value_typeET4_jRbjT5_SW_jjP12ihipStream_tbEUlT_E0_NS1_11comp_targetILNS1_3genE10ELNS1_11target_archE1201ELNS1_3gpuE5ELNS1_3repE0EEENS1_60segmented_radix_sort_warp_sort_medium_config_static_selectorELNS0_4arch9wavefront6targetE0EEEvSK_.has_indirect_call, 0
	.section	.AMDGPU.csdata,"",@progbits
; Kernel info:
; codeLenInByte = 0
; TotalNumSgprs: 0
; NumVgprs: 0
; ScratchSize: 0
; MemoryBound: 0
; FloatMode: 240
; IeeeMode: 1
; LDSByteSize: 0 bytes/workgroup (compile time only)
; SGPRBlocks: 0
; VGPRBlocks: 0
; NumSGPRsForWavesPerEU: 1
; NumVGPRsForWavesPerEU: 1
; NamedBarCnt: 0
; Occupancy: 16
; WaveLimiterHint : 0
; COMPUTE_PGM_RSRC2:SCRATCH_EN: 0
; COMPUTE_PGM_RSRC2:USER_SGPR: 2
; COMPUTE_PGM_RSRC2:TRAP_HANDLER: 0
; COMPUTE_PGM_RSRC2:TGID_X_EN: 1
; COMPUTE_PGM_RSRC2:TGID_Y_EN: 0
; COMPUTE_PGM_RSRC2:TGID_Z_EN: 0
; COMPUTE_PGM_RSRC2:TIDIG_COMP_CNT: 0
	.section	.text._ZN7rocprim17ROCPRIM_400000_NS6detail17trampoline_kernelINS0_14default_configENS1_36segmented_radix_sort_config_selectorIhlEEZNS1_25segmented_radix_sort_implIS3_Lb1EPKhPhPKlPlN2at6native12_GLOBAL__N_18offset_tEEE10hipError_tPvRmT1_PNSt15iterator_traitsISK_E10value_typeET2_T3_PNSL_ISQ_E10value_typeET4_jRbjT5_SW_jjP12ihipStream_tbEUlT_E0_NS1_11comp_targetILNS1_3genE10ELNS1_11target_archE1200ELNS1_3gpuE4ELNS1_3repE0EEENS1_60segmented_radix_sort_warp_sort_medium_config_static_selectorELNS0_4arch9wavefront6targetE0EEEvSK_,"axG",@progbits,_ZN7rocprim17ROCPRIM_400000_NS6detail17trampoline_kernelINS0_14default_configENS1_36segmented_radix_sort_config_selectorIhlEEZNS1_25segmented_radix_sort_implIS3_Lb1EPKhPhPKlPlN2at6native12_GLOBAL__N_18offset_tEEE10hipError_tPvRmT1_PNSt15iterator_traitsISK_E10value_typeET2_T3_PNSL_ISQ_E10value_typeET4_jRbjT5_SW_jjP12ihipStream_tbEUlT_E0_NS1_11comp_targetILNS1_3genE10ELNS1_11target_archE1200ELNS1_3gpuE4ELNS1_3repE0EEENS1_60segmented_radix_sort_warp_sort_medium_config_static_selectorELNS0_4arch9wavefront6targetE0EEEvSK_,comdat
	.globl	_ZN7rocprim17ROCPRIM_400000_NS6detail17trampoline_kernelINS0_14default_configENS1_36segmented_radix_sort_config_selectorIhlEEZNS1_25segmented_radix_sort_implIS3_Lb1EPKhPhPKlPlN2at6native12_GLOBAL__N_18offset_tEEE10hipError_tPvRmT1_PNSt15iterator_traitsISK_E10value_typeET2_T3_PNSL_ISQ_E10value_typeET4_jRbjT5_SW_jjP12ihipStream_tbEUlT_E0_NS1_11comp_targetILNS1_3genE10ELNS1_11target_archE1200ELNS1_3gpuE4ELNS1_3repE0EEENS1_60segmented_radix_sort_warp_sort_medium_config_static_selectorELNS0_4arch9wavefront6targetE0EEEvSK_ ; -- Begin function _ZN7rocprim17ROCPRIM_400000_NS6detail17trampoline_kernelINS0_14default_configENS1_36segmented_radix_sort_config_selectorIhlEEZNS1_25segmented_radix_sort_implIS3_Lb1EPKhPhPKlPlN2at6native12_GLOBAL__N_18offset_tEEE10hipError_tPvRmT1_PNSt15iterator_traitsISK_E10value_typeET2_T3_PNSL_ISQ_E10value_typeET4_jRbjT5_SW_jjP12ihipStream_tbEUlT_E0_NS1_11comp_targetILNS1_3genE10ELNS1_11target_archE1200ELNS1_3gpuE4ELNS1_3repE0EEENS1_60segmented_radix_sort_warp_sort_medium_config_static_selectorELNS0_4arch9wavefront6targetE0EEEvSK_
	.p2align	8
	.type	_ZN7rocprim17ROCPRIM_400000_NS6detail17trampoline_kernelINS0_14default_configENS1_36segmented_radix_sort_config_selectorIhlEEZNS1_25segmented_radix_sort_implIS3_Lb1EPKhPhPKlPlN2at6native12_GLOBAL__N_18offset_tEEE10hipError_tPvRmT1_PNSt15iterator_traitsISK_E10value_typeET2_T3_PNSL_ISQ_E10value_typeET4_jRbjT5_SW_jjP12ihipStream_tbEUlT_E0_NS1_11comp_targetILNS1_3genE10ELNS1_11target_archE1200ELNS1_3gpuE4ELNS1_3repE0EEENS1_60segmented_radix_sort_warp_sort_medium_config_static_selectorELNS0_4arch9wavefront6targetE0EEEvSK_,@function
_ZN7rocprim17ROCPRIM_400000_NS6detail17trampoline_kernelINS0_14default_configENS1_36segmented_radix_sort_config_selectorIhlEEZNS1_25segmented_radix_sort_implIS3_Lb1EPKhPhPKlPlN2at6native12_GLOBAL__N_18offset_tEEE10hipError_tPvRmT1_PNSt15iterator_traitsISK_E10value_typeET2_T3_PNSL_ISQ_E10value_typeET4_jRbjT5_SW_jjP12ihipStream_tbEUlT_E0_NS1_11comp_targetILNS1_3genE10ELNS1_11target_archE1200ELNS1_3gpuE4ELNS1_3repE0EEENS1_60segmented_radix_sort_warp_sort_medium_config_static_selectorELNS0_4arch9wavefront6targetE0EEEvSK_: ; @_ZN7rocprim17ROCPRIM_400000_NS6detail17trampoline_kernelINS0_14default_configENS1_36segmented_radix_sort_config_selectorIhlEEZNS1_25segmented_radix_sort_implIS3_Lb1EPKhPhPKlPlN2at6native12_GLOBAL__N_18offset_tEEE10hipError_tPvRmT1_PNSt15iterator_traitsISK_E10value_typeET2_T3_PNSL_ISQ_E10value_typeET4_jRbjT5_SW_jjP12ihipStream_tbEUlT_E0_NS1_11comp_targetILNS1_3genE10ELNS1_11target_archE1200ELNS1_3gpuE4ELNS1_3repE0EEENS1_60segmented_radix_sort_warp_sort_medium_config_static_selectorELNS0_4arch9wavefront6targetE0EEEvSK_
; %bb.0:
	.section	.rodata,"a",@progbits
	.p2align	6, 0x0
	.amdhsa_kernel _ZN7rocprim17ROCPRIM_400000_NS6detail17trampoline_kernelINS0_14default_configENS1_36segmented_radix_sort_config_selectorIhlEEZNS1_25segmented_radix_sort_implIS3_Lb1EPKhPhPKlPlN2at6native12_GLOBAL__N_18offset_tEEE10hipError_tPvRmT1_PNSt15iterator_traitsISK_E10value_typeET2_T3_PNSL_ISQ_E10value_typeET4_jRbjT5_SW_jjP12ihipStream_tbEUlT_E0_NS1_11comp_targetILNS1_3genE10ELNS1_11target_archE1200ELNS1_3gpuE4ELNS1_3repE0EEENS1_60segmented_radix_sort_warp_sort_medium_config_static_selectorELNS0_4arch9wavefront6targetE0EEEvSK_
		.amdhsa_group_segment_fixed_size 0
		.amdhsa_private_segment_fixed_size 0
		.amdhsa_kernarg_size 88
		.amdhsa_user_sgpr_count 2
		.amdhsa_user_sgpr_dispatch_ptr 0
		.amdhsa_user_sgpr_queue_ptr 0
		.amdhsa_user_sgpr_kernarg_segment_ptr 1
		.amdhsa_user_sgpr_dispatch_id 0
		.amdhsa_user_sgpr_kernarg_preload_length 0
		.amdhsa_user_sgpr_kernarg_preload_offset 0
		.amdhsa_user_sgpr_private_segment_size 0
		.amdhsa_wavefront_size32 1
		.amdhsa_uses_dynamic_stack 0
		.amdhsa_enable_private_segment 0
		.amdhsa_system_sgpr_workgroup_id_x 1
		.amdhsa_system_sgpr_workgroup_id_y 0
		.amdhsa_system_sgpr_workgroup_id_z 0
		.amdhsa_system_sgpr_workgroup_info 0
		.amdhsa_system_vgpr_workitem_id 0
		.amdhsa_next_free_vgpr 1
		.amdhsa_next_free_sgpr 1
		.amdhsa_named_barrier_count 0
		.amdhsa_reserve_vcc 0
		.amdhsa_float_round_mode_32 0
		.amdhsa_float_round_mode_16_64 0
		.amdhsa_float_denorm_mode_32 3
		.amdhsa_float_denorm_mode_16_64 3
		.amdhsa_fp16_overflow 0
		.amdhsa_memory_ordered 1
		.amdhsa_forward_progress 1
		.amdhsa_inst_pref_size 0
		.amdhsa_round_robin_scheduling 0
		.amdhsa_exception_fp_ieee_invalid_op 0
		.amdhsa_exception_fp_denorm_src 0
		.amdhsa_exception_fp_ieee_div_zero 0
		.amdhsa_exception_fp_ieee_overflow 0
		.amdhsa_exception_fp_ieee_underflow 0
		.amdhsa_exception_fp_ieee_inexact 0
		.amdhsa_exception_int_div_zero 0
	.end_amdhsa_kernel
	.section	.text._ZN7rocprim17ROCPRIM_400000_NS6detail17trampoline_kernelINS0_14default_configENS1_36segmented_radix_sort_config_selectorIhlEEZNS1_25segmented_radix_sort_implIS3_Lb1EPKhPhPKlPlN2at6native12_GLOBAL__N_18offset_tEEE10hipError_tPvRmT1_PNSt15iterator_traitsISK_E10value_typeET2_T3_PNSL_ISQ_E10value_typeET4_jRbjT5_SW_jjP12ihipStream_tbEUlT_E0_NS1_11comp_targetILNS1_3genE10ELNS1_11target_archE1200ELNS1_3gpuE4ELNS1_3repE0EEENS1_60segmented_radix_sort_warp_sort_medium_config_static_selectorELNS0_4arch9wavefront6targetE0EEEvSK_,"axG",@progbits,_ZN7rocprim17ROCPRIM_400000_NS6detail17trampoline_kernelINS0_14default_configENS1_36segmented_radix_sort_config_selectorIhlEEZNS1_25segmented_radix_sort_implIS3_Lb1EPKhPhPKlPlN2at6native12_GLOBAL__N_18offset_tEEE10hipError_tPvRmT1_PNSt15iterator_traitsISK_E10value_typeET2_T3_PNSL_ISQ_E10value_typeET4_jRbjT5_SW_jjP12ihipStream_tbEUlT_E0_NS1_11comp_targetILNS1_3genE10ELNS1_11target_archE1200ELNS1_3gpuE4ELNS1_3repE0EEENS1_60segmented_radix_sort_warp_sort_medium_config_static_selectorELNS0_4arch9wavefront6targetE0EEEvSK_,comdat
.Lfunc_end100:
	.size	_ZN7rocprim17ROCPRIM_400000_NS6detail17trampoline_kernelINS0_14default_configENS1_36segmented_radix_sort_config_selectorIhlEEZNS1_25segmented_radix_sort_implIS3_Lb1EPKhPhPKlPlN2at6native12_GLOBAL__N_18offset_tEEE10hipError_tPvRmT1_PNSt15iterator_traitsISK_E10value_typeET2_T3_PNSL_ISQ_E10value_typeET4_jRbjT5_SW_jjP12ihipStream_tbEUlT_E0_NS1_11comp_targetILNS1_3genE10ELNS1_11target_archE1200ELNS1_3gpuE4ELNS1_3repE0EEENS1_60segmented_radix_sort_warp_sort_medium_config_static_selectorELNS0_4arch9wavefront6targetE0EEEvSK_, .Lfunc_end100-_ZN7rocprim17ROCPRIM_400000_NS6detail17trampoline_kernelINS0_14default_configENS1_36segmented_radix_sort_config_selectorIhlEEZNS1_25segmented_radix_sort_implIS3_Lb1EPKhPhPKlPlN2at6native12_GLOBAL__N_18offset_tEEE10hipError_tPvRmT1_PNSt15iterator_traitsISK_E10value_typeET2_T3_PNSL_ISQ_E10value_typeET4_jRbjT5_SW_jjP12ihipStream_tbEUlT_E0_NS1_11comp_targetILNS1_3genE10ELNS1_11target_archE1200ELNS1_3gpuE4ELNS1_3repE0EEENS1_60segmented_radix_sort_warp_sort_medium_config_static_selectorELNS0_4arch9wavefront6targetE0EEEvSK_
                                        ; -- End function
	.set _ZN7rocprim17ROCPRIM_400000_NS6detail17trampoline_kernelINS0_14default_configENS1_36segmented_radix_sort_config_selectorIhlEEZNS1_25segmented_radix_sort_implIS3_Lb1EPKhPhPKlPlN2at6native12_GLOBAL__N_18offset_tEEE10hipError_tPvRmT1_PNSt15iterator_traitsISK_E10value_typeET2_T3_PNSL_ISQ_E10value_typeET4_jRbjT5_SW_jjP12ihipStream_tbEUlT_E0_NS1_11comp_targetILNS1_3genE10ELNS1_11target_archE1200ELNS1_3gpuE4ELNS1_3repE0EEENS1_60segmented_radix_sort_warp_sort_medium_config_static_selectorELNS0_4arch9wavefront6targetE0EEEvSK_.num_vgpr, 0
	.set _ZN7rocprim17ROCPRIM_400000_NS6detail17trampoline_kernelINS0_14default_configENS1_36segmented_radix_sort_config_selectorIhlEEZNS1_25segmented_radix_sort_implIS3_Lb1EPKhPhPKlPlN2at6native12_GLOBAL__N_18offset_tEEE10hipError_tPvRmT1_PNSt15iterator_traitsISK_E10value_typeET2_T3_PNSL_ISQ_E10value_typeET4_jRbjT5_SW_jjP12ihipStream_tbEUlT_E0_NS1_11comp_targetILNS1_3genE10ELNS1_11target_archE1200ELNS1_3gpuE4ELNS1_3repE0EEENS1_60segmented_radix_sort_warp_sort_medium_config_static_selectorELNS0_4arch9wavefront6targetE0EEEvSK_.num_agpr, 0
	.set _ZN7rocprim17ROCPRIM_400000_NS6detail17trampoline_kernelINS0_14default_configENS1_36segmented_radix_sort_config_selectorIhlEEZNS1_25segmented_radix_sort_implIS3_Lb1EPKhPhPKlPlN2at6native12_GLOBAL__N_18offset_tEEE10hipError_tPvRmT1_PNSt15iterator_traitsISK_E10value_typeET2_T3_PNSL_ISQ_E10value_typeET4_jRbjT5_SW_jjP12ihipStream_tbEUlT_E0_NS1_11comp_targetILNS1_3genE10ELNS1_11target_archE1200ELNS1_3gpuE4ELNS1_3repE0EEENS1_60segmented_radix_sort_warp_sort_medium_config_static_selectorELNS0_4arch9wavefront6targetE0EEEvSK_.numbered_sgpr, 0
	.set _ZN7rocprim17ROCPRIM_400000_NS6detail17trampoline_kernelINS0_14default_configENS1_36segmented_radix_sort_config_selectorIhlEEZNS1_25segmented_radix_sort_implIS3_Lb1EPKhPhPKlPlN2at6native12_GLOBAL__N_18offset_tEEE10hipError_tPvRmT1_PNSt15iterator_traitsISK_E10value_typeET2_T3_PNSL_ISQ_E10value_typeET4_jRbjT5_SW_jjP12ihipStream_tbEUlT_E0_NS1_11comp_targetILNS1_3genE10ELNS1_11target_archE1200ELNS1_3gpuE4ELNS1_3repE0EEENS1_60segmented_radix_sort_warp_sort_medium_config_static_selectorELNS0_4arch9wavefront6targetE0EEEvSK_.num_named_barrier, 0
	.set _ZN7rocprim17ROCPRIM_400000_NS6detail17trampoline_kernelINS0_14default_configENS1_36segmented_radix_sort_config_selectorIhlEEZNS1_25segmented_radix_sort_implIS3_Lb1EPKhPhPKlPlN2at6native12_GLOBAL__N_18offset_tEEE10hipError_tPvRmT1_PNSt15iterator_traitsISK_E10value_typeET2_T3_PNSL_ISQ_E10value_typeET4_jRbjT5_SW_jjP12ihipStream_tbEUlT_E0_NS1_11comp_targetILNS1_3genE10ELNS1_11target_archE1200ELNS1_3gpuE4ELNS1_3repE0EEENS1_60segmented_radix_sort_warp_sort_medium_config_static_selectorELNS0_4arch9wavefront6targetE0EEEvSK_.private_seg_size, 0
	.set _ZN7rocprim17ROCPRIM_400000_NS6detail17trampoline_kernelINS0_14default_configENS1_36segmented_radix_sort_config_selectorIhlEEZNS1_25segmented_radix_sort_implIS3_Lb1EPKhPhPKlPlN2at6native12_GLOBAL__N_18offset_tEEE10hipError_tPvRmT1_PNSt15iterator_traitsISK_E10value_typeET2_T3_PNSL_ISQ_E10value_typeET4_jRbjT5_SW_jjP12ihipStream_tbEUlT_E0_NS1_11comp_targetILNS1_3genE10ELNS1_11target_archE1200ELNS1_3gpuE4ELNS1_3repE0EEENS1_60segmented_radix_sort_warp_sort_medium_config_static_selectorELNS0_4arch9wavefront6targetE0EEEvSK_.uses_vcc, 0
	.set _ZN7rocprim17ROCPRIM_400000_NS6detail17trampoline_kernelINS0_14default_configENS1_36segmented_radix_sort_config_selectorIhlEEZNS1_25segmented_radix_sort_implIS3_Lb1EPKhPhPKlPlN2at6native12_GLOBAL__N_18offset_tEEE10hipError_tPvRmT1_PNSt15iterator_traitsISK_E10value_typeET2_T3_PNSL_ISQ_E10value_typeET4_jRbjT5_SW_jjP12ihipStream_tbEUlT_E0_NS1_11comp_targetILNS1_3genE10ELNS1_11target_archE1200ELNS1_3gpuE4ELNS1_3repE0EEENS1_60segmented_radix_sort_warp_sort_medium_config_static_selectorELNS0_4arch9wavefront6targetE0EEEvSK_.uses_flat_scratch, 0
	.set _ZN7rocprim17ROCPRIM_400000_NS6detail17trampoline_kernelINS0_14default_configENS1_36segmented_radix_sort_config_selectorIhlEEZNS1_25segmented_radix_sort_implIS3_Lb1EPKhPhPKlPlN2at6native12_GLOBAL__N_18offset_tEEE10hipError_tPvRmT1_PNSt15iterator_traitsISK_E10value_typeET2_T3_PNSL_ISQ_E10value_typeET4_jRbjT5_SW_jjP12ihipStream_tbEUlT_E0_NS1_11comp_targetILNS1_3genE10ELNS1_11target_archE1200ELNS1_3gpuE4ELNS1_3repE0EEENS1_60segmented_radix_sort_warp_sort_medium_config_static_selectorELNS0_4arch9wavefront6targetE0EEEvSK_.has_dyn_sized_stack, 0
	.set _ZN7rocprim17ROCPRIM_400000_NS6detail17trampoline_kernelINS0_14default_configENS1_36segmented_radix_sort_config_selectorIhlEEZNS1_25segmented_radix_sort_implIS3_Lb1EPKhPhPKlPlN2at6native12_GLOBAL__N_18offset_tEEE10hipError_tPvRmT1_PNSt15iterator_traitsISK_E10value_typeET2_T3_PNSL_ISQ_E10value_typeET4_jRbjT5_SW_jjP12ihipStream_tbEUlT_E0_NS1_11comp_targetILNS1_3genE10ELNS1_11target_archE1200ELNS1_3gpuE4ELNS1_3repE0EEENS1_60segmented_radix_sort_warp_sort_medium_config_static_selectorELNS0_4arch9wavefront6targetE0EEEvSK_.has_recursion, 0
	.set _ZN7rocprim17ROCPRIM_400000_NS6detail17trampoline_kernelINS0_14default_configENS1_36segmented_radix_sort_config_selectorIhlEEZNS1_25segmented_radix_sort_implIS3_Lb1EPKhPhPKlPlN2at6native12_GLOBAL__N_18offset_tEEE10hipError_tPvRmT1_PNSt15iterator_traitsISK_E10value_typeET2_T3_PNSL_ISQ_E10value_typeET4_jRbjT5_SW_jjP12ihipStream_tbEUlT_E0_NS1_11comp_targetILNS1_3genE10ELNS1_11target_archE1200ELNS1_3gpuE4ELNS1_3repE0EEENS1_60segmented_radix_sort_warp_sort_medium_config_static_selectorELNS0_4arch9wavefront6targetE0EEEvSK_.has_indirect_call, 0
	.section	.AMDGPU.csdata,"",@progbits
; Kernel info:
; codeLenInByte = 0
; TotalNumSgprs: 0
; NumVgprs: 0
; ScratchSize: 0
; MemoryBound: 0
; FloatMode: 240
; IeeeMode: 1
; LDSByteSize: 0 bytes/workgroup (compile time only)
; SGPRBlocks: 0
; VGPRBlocks: 0
; NumSGPRsForWavesPerEU: 1
; NumVGPRsForWavesPerEU: 1
; NamedBarCnt: 0
; Occupancy: 16
; WaveLimiterHint : 0
; COMPUTE_PGM_RSRC2:SCRATCH_EN: 0
; COMPUTE_PGM_RSRC2:USER_SGPR: 2
; COMPUTE_PGM_RSRC2:TRAP_HANDLER: 0
; COMPUTE_PGM_RSRC2:TGID_X_EN: 1
; COMPUTE_PGM_RSRC2:TGID_Y_EN: 0
; COMPUTE_PGM_RSRC2:TGID_Z_EN: 0
; COMPUTE_PGM_RSRC2:TIDIG_COMP_CNT: 0
	.section	.text._ZN7rocprim17ROCPRIM_400000_NS6detail17trampoline_kernelINS0_14default_configENS1_36segmented_radix_sort_config_selectorIhlEEZNS1_25segmented_radix_sort_implIS3_Lb1EPKhPhPKlPlN2at6native12_GLOBAL__N_18offset_tEEE10hipError_tPvRmT1_PNSt15iterator_traitsISK_E10value_typeET2_T3_PNSL_ISQ_E10value_typeET4_jRbjT5_SW_jjP12ihipStream_tbEUlT_E0_NS1_11comp_targetILNS1_3genE9ELNS1_11target_archE1100ELNS1_3gpuE3ELNS1_3repE0EEENS1_60segmented_radix_sort_warp_sort_medium_config_static_selectorELNS0_4arch9wavefront6targetE0EEEvSK_,"axG",@progbits,_ZN7rocprim17ROCPRIM_400000_NS6detail17trampoline_kernelINS0_14default_configENS1_36segmented_radix_sort_config_selectorIhlEEZNS1_25segmented_radix_sort_implIS3_Lb1EPKhPhPKlPlN2at6native12_GLOBAL__N_18offset_tEEE10hipError_tPvRmT1_PNSt15iterator_traitsISK_E10value_typeET2_T3_PNSL_ISQ_E10value_typeET4_jRbjT5_SW_jjP12ihipStream_tbEUlT_E0_NS1_11comp_targetILNS1_3genE9ELNS1_11target_archE1100ELNS1_3gpuE3ELNS1_3repE0EEENS1_60segmented_radix_sort_warp_sort_medium_config_static_selectorELNS0_4arch9wavefront6targetE0EEEvSK_,comdat
	.globl	_ZN7rocprim17ROCPRIM_400000_NS6detail17trampoline_kernelINS0_14default_configENS1_36segmented_radix_sort_config_selectorIhlEEZNS1_25segmented_radix_sort_implIS3_Lb1EPKhPhPKlPlN2at6native12_GLOBAL__N_18offset_tEEE10hipError_tPvRmT1_PNSt15iterator_traitsISK_E10value_typeET2_T3_PNSL_ISQ_E10value_typeET4_jRbjT5_SW_jjP12ihipStream_tbEUlT_E0_NS1_11comp_targetILNS1_3genE9ELNS1_11target_archE1100ELNS1_3gpuE3ELNS1_3repE0EEENS1_60segmented_radix_sort_warp_sort_medium_config_static_selectorELNS0_4arch9wavefront6targetE0EEEvSK_ ; -- Begin function _ZN7rocprim17ROCPRIM_400000_NS6detail17trampoline_kernelINS0_14default_configENS1_36segmented_radix_sort_config_selectorIhlEEZNS1_25segmented_radix_sort_implIS3_Lb1EPKhPhPKlPlN2at6native12_GLOBAL__N_18offset_tEEE10hipError_tPvRmT1_PNSt15iterator_traitsISK_E10value_typeET2_T3_PNSL_ISQ_E10value_typeET4_jRbjT5_SW_jjP12ihipStream_tbEUlT_E0_NS1_11comp_targetILNS1_3genE9ELNS1_11target_archE1100ELNS1_3gpuE3ELNS1_3repE0EEENS1_60segmented_radix_sort_warp_sort_medium_config_static_selectorELNS0_4arch9wavefront6targetE0EEEvSK_
	.p2align	8
	.type	_ZN7rocprim17ROCPRIM_400000_NS6detail17trampoline_kernelINS0_14default_configENS1_36segmented_radix_sort_config_selectorIhlEEZNS1_25segmented_radix_sort_implIS3_Lb1EPKhPhPKlPlN2at6native12_GLOBAL__N_18offset_tEEE10hipError_tPvRmT1_PNSt15iterator_traitsISK_E10value_typeET2_T3_PNSL_ISQ_E10value_typeET4_jRbjT5_SW_jjP12ihipStream_tbEUlT_E0_NS1_11comp_targetILNS1_3genE9ELNS1_11target_archE1100ELNS1_3gpuE3ELNS1_3repE0EEENS1_60segmented_radix_sort_warp_sort_medium_config_static_selectorELNS0_4arch9wavefront6targetE0EEEvSK_,@function
_ZN7rocprim17ROCPRIM_400000_NS6detail17trampoline_kernelINS0_14default_configENS1_36segmented_radix_sort_config_selectorIhlEEZNS1_25segmented_radix_sort_implIS3_Lb1EPKhPhPKlPlN2at6native12_GLOBAL__N_18offset_tEEE10hipError_tPvRmT1_PNSt15iterator_traitsISK_E10value_typeET2_T3_PNSL_ISQ_E10value_typeET4_jRbjT5_SW_jjP12ihipStream_tbEUlT_E0_NS1_11comp_targetILNS1_3genE9ELNS1_11target_archE1100ELNS1_3gpuE3ELNS1_3repE0EEENS1_60segmented_radix_sort_warp_sort_medium_config_static_selectorELNS0_4arch9wavefront6targetE0EEEvSK_: ; @_ZN7rocprim17ROCPRIM_400000_NS6detail17trampoline_kernelINS0_14default_configENS1_36segmented_radix_sort_config_selectorIhlEEZNS1_25segmented_radix_sort_implIS3_Lb1EPKhPhPKlPlN2at6native12_GLOBAL__N_18offset_tEEE10hipError_tPvRmT1_PNSt15iterator_traitsISK_E10value_typeET2_T3_PNSL_ISQ_E10value_typeET4_jRbjT5_SW_jjP12ihipStream_tbEUlT_E0_NS1_11comp_targetILNS1_3genE9ELNS1_11target_archE1100ELNS1_3gpuE3ELNS1_3repE0EEENS1_60segmented_radix_sort_warp_sort_medium_config_static_selectorELNS0_4arch9wavefront6targetE0EEEvSK_
; %bb.0:
	.section	.rodata,"a",@progbits
	.p2align	6, 0x0
	.amdhsa_kernel _ZN7rocprim17ROCPRIM_400000_NS6detail17trampoline_kernelINS0_14default_configENS1_36segmented_radix_sort_config_selectorIhlEEZNS1_25segmented_radix_sort_implIS3_Lb1EPKhPhPKlPlN2at6native12_GLOBAL__N_18offset_tEEE10hipError_tPvRmT1_PNSt15iterator_traitsISK_E10value_typeET2_T3_PNSL_ISQ_E10value_typeET4_jRbjT5_SW_jjP12ihipStream_tbEUlT_E0_NS1_11comp_targetILNS1_3genE9ELNS1_11target_archE1100ELNS1_3gpuE3ELNS1_3repE0EEENS1_60segmented_radix_sort_warp_sort_medium_config_static_selectorELNS0_4arch9wavefront6targetE0EEEvSK_
		.amdhsa_group_segment_fixed_size 0
		.amdhsa_private_segment_fixed_size 0
		.amdhsa_kernarg_size 88
		.amdhsa_user_sgpr_count 2
		.amdhsa_user_sgpr_dispatch_ptr 0
		.amdhsa_user_sgpr_queue_ptr 0
		.amdhsa_user_sgpr_kernarg_segment_ptr 1
		.amdhsa_user_sgpr_dispatch_id 0
		.amdhsa_user_sgpr_kernarg_preload_length 0
		.amdhsa_user_sgpr_kernarg_preload_offset 0
		.amdhsa_user_sgpr_private_segment_size 0
		.amdhsa_wavefront_size32 1
		.amdhsa_uses_dynamic_stack 0
		.amdhsa_enable_private_segment 0
		.amdhsa_system_sgpr_workgroup_id_x 1
		.amdhsa_system_sgpr_workgroup_id_y 0
		.amdhsa_system_sgpr_workgroup_id_z 0
		.amdhsa_system_sgpr_workgroup_info 0
		.amdhsa_system_vgpr_workitem_id 0
		.amdhsa_next_free_vgpr 1
		.amdhsa_next_free_sgpr 1
		.amdhsa_named_barrier_count 0
		.amdhsa_reserve_vcc 0
		.amdhsa_float_round_mode_32 0
		.amdhsa_float_round_mode_16_64 0
		.amdhsa_float_denorm_mode_32 3
		.amdhsa_float_denorm_mode_16_64 3
		.amdhsa_fp16_overflow 0
		.amdhsa_memory_ordered 1
		.amdhsa_forward_progress 1
		.amdhsa_inst_pref_size 0
		.amdhsa_round_robin_scheduling 0
		.amdhsa_exception_fp_ieee_invalid_op 0
		.amdhsa_exception_fp_denorm_src 0
		.amdhsa_exception_fp_ieee_div_zero 0
		.amdhsa_exception_fp_ieee_overflow 0
		.amdhsa_exception_fp_ieee_underflow 0
		.amdhsa_exception_fp_ieee_inexact 0
		.amdhsa_exception_int_div_zero 0
	.end_amdhsa_kernel
	.section	.text._ZN7rocprim17ROCPRIM_400000_NS6detail17trampoline_kernelINS0_14default_configENS1_36segmented_radix_sort_config_selectorIhlEEZNS1_25segmented_radix_sort_implIS3_Lb1EPKhPhPKlPlN2at6native12_GLOBAL__N_18offset_tEEE10hipError_tPvRmT1_PNSt15iterator_traitsISK_E10value_typeET2_T3_PNSL_ISQ_E10value_typeET4_jRbjT5_SW_jjP12ihipStream_tbEUlT_E0_NS1_11comp_targetILNS1_3genE9ELNS1_11target_archE1100ELNS1_3gpuE3ELNS1_3repE0EEENS1_60segmented_radix_sort_warp_sort_medium_config_static_selectorELNS0_4arch9wavefront6targetE0EEEvSK_,"axG",@progbits,_ZN7rocprim17ROCPRIM_400000_NS6detail17trampoline_kernelINS0_14default_configENS1_36segmented_radix_sort_config_selectorIhlEEZNS1_25segmented_radix_sort_implIS3_Lb1EPKhPhPKlPlN2at6native12_GLOBAL__N_18offset_tEEE10hipError_tPvRmT1_PNSt15iterator_traitsISK_E10value_typeET2_T3_PNSL_ISQ_E10value_typeET4_jRbjT5_SW_jjP12ihipStream_tbEUlT_E0_NS1_11comp_targetILNS1_3genE9ELNS1_11target_archE1100ELNS1_3gpuE3ELNS1_3repE0EEENS1_60segmented_radix_sort_warp_sort_medium_config_static_selectorELNS0_4arch9wavefront6targetE0EEEvSK_,comdat
.Lfunc_end101:
	.size	_ZN7rocprim17ROCPRIM_400000_NS6detail17trampoline_kernelINS0_14default_configENS1_36segmented_radix_sort_config_selectorIhlEEZNS1_25segmented_radix_sort_implIS3_Lb1EPKhPhPKlPlN2at6native12_GLOBAL__N_18offset_tEEE10hipError_tPvRmT1_PNSt15iterator_traitsISK_E10value_typeET2_T3_PNSL_ISQ_E10value_typeET4_jRbjT5_SW_jjP12ihipStream_tbEUlT_E0_NS1_11comp_targetILNS1_3genE9ELNS1_11target_archE1100ELNS1_3gpuE3ELNS1_3repE0EEENS1_60segmented_radix_sort_warp_sort_medium_config_static_selectorELNS0_4arch9wavefront6targetE0EEEvSK_, .Lfunc_end101-_ZN7rocprim17ROCPRIM_400000_NS6detail17trampoline_kernelINS0_14default_configENS1_36segmented_radix_sort_config_selectorIhlEEZNS1_25segmented_radix_sort_implIS3_Lb1EPKhPhPKlPlN2at6native12_GLOBAL__N_18offset_tEEE10hipError_tPvRmT1_PNSt15iterator_traitsISK_E10value_typeET2_T3_PNSL_ISQ_E10value_typeET4_jRbjT5_SW_jjP12ihipStream_tbEUlT_E0_NS1_11comp_targetILNS1_3genE9ELNS1_11target_archE1100ELNS1_3gpuE3ELNS1_3repE0EEENS1_60segmented_radix_sort_warp_sort_medium_config_static_selectorELNS0_4arch9wavefront6targetE0EEEvSK_
                                        ; -- End function
	.set _ZN7rocprim17ROCPRIM_400000_NS6detail17trampoline_kernelINS0_14default_configENS1_36segmented_radix_sort_config_selectorIhlEEZNS1_25segmented_radix_sort_implIS3_Lb1EPKhPhPKlPlN2at6native12_GLOBAL__N_18offset_tEEE10hipError_tPvRmT1_PNSt15iterator_traitsISK_E10value_typeET2_T3_PNSL_ISQ_E10value_typeET4_jRbjT5_SW_jjP12ihipStream_tbEUlT_E0_NS1_11comp_targetILNS1_3genE9ELNS1_11target_archE1100ELNS1_3gpuE3ELNS1_3repE0EEENS1_60segmented_radix_sort_warp_sort_medium_config_static_selectorELNS0_4arch9wavefront6targetE0EEEvSK_.num_vgpr, 0
	.set _ZN7rocprim17ROCPRIM_400000_NS6detail17trampoline_kernelINS0_14default_configENS1_36segmented_radix_sort_config_selectorIhlEEZNS1_25segmented_radix_sort_implIS3_Lb1EPKhPhPKlPlN2at6native12_GLOBAL__N_18offset_tEEE10hipError_tPvRmT1_PNSt15iterator_traitsISK_E10value_typeET2_T3_PNSL_ISQ_E10value_typeET4_jRbjT5_SW_jjP12ihipStream_tbEUlT_E0_NS1_11comp_targetILNS1_3genE9ELNS1_11target_archE1100ELNS1_3gpuE3ELNS1_3repE0EEENS1_60segmented_radix_sort_warp_sort_medium_config_static_selectorELNS0_4arch9wavefront6targetE0EEEvSK_.num_agpr, 0
	.set _ZN7rocprim17ROCPRIM_400000_NS6detail17trampoline_kernelINS0_14default_configENS1_36segmented_radix_sort_config_selectorIhlEEZNS1_25segmented_radix_sort_implIS3_Lb1EPKhPhPKlPlN2at6native12_GLOBAL__N_18offset_tEEE10hipError_tPvRmT1_PNSt15iterator_traitsISK_E10value_typeET2_T3_PNSL_ISQ_E10value_typeET4_jRbjT5_SW_jjP12ihipStream_tbEUlT_E0_NS1_11comp_targetILNS1_3genE9ELNS1_11target_archE1100ELNS1_3gpuE3ELNS1_3repE0EEENS1_60segmented_radix_sort_warp_sort_medium_config_static_selectorELNS0_4arch9wavefront6targetE0EEEvSK_.numbered_sgpr, 0
	.set _ZN7rocprim17ROCPRIM_400000_NS6detail17trampoline_kernelINS0_14default_configENS1_36segmented_radix_sort_config_selectorIhlEEZNS1_25segmented_radix_sort_implIS3_Lb1EPKhPhPKlPlN2at6native12_GLOBAL__N_18offset_tEEE10hipError_tPvRmT1_PNSt15iterator_traitsISK_E10value_typeET2_T3_PNSL_ISQ_E10value_typeET4_jRbjT5_SW_jjP12ihipStream_tbEUlT_E0_NS1_11comp_targetILNS1_3genE9ELNS1_11target_archE1100ELNS1_3gpuE3ELNS1_3repE0EEENS1_60segmented_radix_sort_warp_sort_medium_config_static_selectorELNS0_4arch9wavefront6targetE0EEEvSK_.num_named_barrier, 0
	.set _ZN7rocprim17ROCPRIM_400000_NS6detail17trampoline_kernelINS0_14default_configENS1_36segmented_radix_sort_config_selectorIhlEEZNS1_25segmented_radix_sort_implIS3_Lb1EPKhPhPKlPlN2at6native12_GLOBAL__N_18offset_tEEE10hipError_tPvRmT1_PNSt15iterator_traitsISK_E10value_typeET2_T3_PNSL_ISQ_E10value_typeET4_jRbjT5_SW_jjP12ihipStream_tbEUlT_E0_NS1_11comp_targetILNS1_3genE9ELNS1_11target_archE1100ELNS1_3gpuE3ELNS1_3repE0EEENS1_60segmented_radix_sort_warp_sort_medium_config_static_selectorELNS0_4arch9wavefront6targetE0EEEvSK_.private_seg_size, 0
	.set _ZN7rocprim17ROCPRIM_400000_NS6detail17trampoline_kernelINS0_14default_configENS1_36segmented_radix_sort_config_selectorIhlEEZNS1_25segmented_radix_sort_implIS3_Lb1EPKhPhPKlPlN2at6native12_GLOBAL__N_18offset_tEEE10hipError_tPvRmT1_PNSt15iterator_traitsISK_E10value_typeET2_T3_PNSL_ISQ_E10value_typeET4_jRbjT5_SW_jjP12ihipStream_tbEUlT_E0_NS1_11comp_targetILNS1_3genE9ELNS1_11target_archE1100ELNS1_3gpuE3ELNS1_3repE0EEENS1_60segmented_radix_sort_warp_sort_medium_config_static_selectorELNS0_4arch9wavefront6targetE0EEEvSK_.uses_vcc, 0
	.set _ZN7rocprim17ROCPRIM_400000_NS6detail17trampoline_kernelINS0_14default_configENS1_36segmented_radix_sort_config_selectorIhlEEZNS1_25segmented_radix_sort_implIS3_Lb1EPKhPhPKlPlN2at6native12_GLOBAL__N_18offset_tEEE10hipError_tPvRmT1_PNSt15iterator_traitsISK_E10value_typeET2_T3_PNSL_ISQ_E10value_typeET4_jRbjT5_SW_jjP12ihipStream_tbEUlT_E0_NS1_11comp_targetILNS1_3genE9ELNS1_11target_archE1100ELNS1_3gpuE3ELNS1_3repE0EEENS1_60segmented_radix_sort_warp_sort_medium_config_static_selectorELNS0_4arch9wavefront6targetE0EEEvSK_.uses_flat_scratch, 0
	.set _ZN7rocprim17ROCPRIM_400000_NS6detail17trampoline_kernelINS0_14default_configENS1_36segmented_radix_sort_config_selectorIhlEEZNS1_25segmented_radix_sort_implIS3_Lb1EPKhPhPKlPlN2at6native12_GLOBAL__N_18offset_tEEE10hipError_tPvRmT1_PNSt15iterator_traitsISK_E10value_typeET2_T3_PNSL_ISQ_E10value_typeET4_jRbjT5_SW_jjP12ihipStream_tbEUlT_E0_NS1_11comp_targetILNS1_3genE9ELNS1_11target_archE1100ELNS1_3gpuE3ELNS1_3repE0EEENS1_60segmented_radix_sort_warp_sort_medium_config_static_selectorELNS0_4arch9wavefront6targetE0EEEvSK_.has_dyn_sized_stack, 0
	.set _ZN7rocprim17ROCPRIM_400000_NS6detail17trampoline_kernelINS0_14default_configENS1_36segmented_radix_sort_config_selectorIhlEEZNS1_25segmented_radix_sort_implIS3_Lb1EPKhPhPKlPlN2at6native12_GLOBAL__N_18offset_tEEE10hipError_tPvRmT1_PNSt15iterator_traitsISK_E10value_typeET2_T3_PNSL_ISQ_E10value_typeET4_jRbjT5_SW_jjP12ihipStream_tbEUlT_E0_NS1_11comp_targetILNS1_3genE9ELNS1_11target_archE1100ELNS1_3gpuE3ELNS1_3repE0EEENS1_60segmented_radix_sort_warp_sort_medium_config_static_selectorELNS0_4arch9wavefront6targetE0EEEvSK_.has_recursion, 0
	.set _ZN7rocprim17ROCPRIM_400000_NS6detail17trampoline_kernelINS0_14default_configENS1_36segmented_radix_sort_config_selectorIhlEEZNS1_25segmented_radix_sort_implIS3_Lb1EPKhPhPKlPlN2at6native12_GLOBAL__N_18offset_tEEE10hipError_tPvRmT1_PNSt15iterator_traitsISK_E10value_typeET2_T3_PNSL_ISQ_E10value_typeET4_jRbjT5_SW_jjP12ihipStream_tbEUlT_E0_NS1_11comp_targetILNS1_3genE9ELNS1_11target_archE1100ELNS1_3gpuE3ELNS1_3repE0EEENS1_60segmented_radix_sort_warp_sort_medium_config_static_selectorELNS0_4arch9wavefront6targetE0EEEvSK_.has_indirect_call, 0
	.section	.AMDGPU.csdata,"",@progbits
; Kernel info:
; codeLenInByte = 0
; TotalNumSgprs: 0
; NumVgprs: 0
; ScratchSize: 0
; MemoryBound: 0
; FloatMode: 240
; IeeeMode: 1
; LDSByteSize: 0 bytes/workgroup (compile time only)
; SGPRBlocks: 0
; VGPRBlocks: 0
; NumSGPRsForWavesPerEU: 1
; NumVGPRsForWavesPerEU: 1
; NamedBarCnt: 0
; Occupancy: 16
; WaveLimiterHint : 0
; COMPUTE_PGM_RSRC2:SCRATCH_EN: 0
; COMPUTE_PGM_RSRC2:USER_SGPR: 2
; COMPUTE_PGM_RSRC2:TRAP_HANDLER: 0
; COMPUTE_PGM_RSRC2:TGID_X_EN: 1
; COMPUTE_PGM_RSRC2:TGID_Y_EN: 0
; COMPUTE_PGM_RSRC2:TGID_Z_EN: 0
; COMPUTE_PGM_RSRC2:TIDIG_COMP_CNT: 0
	.section	.text._ZN7rocprim17ROCPRIM_400000_NS6detail17trampoline_kernelINS0_14default_configENS1_36segmented_radix_sort_config_selectorIhlEEZNS1_25segmented_radix_sort_implIS3_Lb1EPKhPhPKlPlN2at6native12_GLOBAL__N_18offset_tEEE10hipError_tPvRmT1_PNSt15iterator_traitsISK_E10value_typeET2_T3_PNSL_ISQ_E10value_typeET4_jRbjT5_SW_jjP12ihipStream_tbEUlT_E0_NS1_11comp_targetILNS1_3genE8ELNS1_11target_archE1030ELNS1_3gpuE2ELNS1_3repE0EEENS1_60segmented_radix_sort_warp_sort_medium_config_static_selectorELNS0_4arch9wavefront6targetE0EEEvSK_,"axG",@progbits,_ZN7rocprim17ROCPRIM_400000_NS6detail17trampoline_kernelINS0_14default_configENS1_36segmented_radix_sort_config_selectorIhlEEZNS1_25segmented_radix_sort_implIS3_Lb1EPKhPhPKlPlN2at6native12_GLOBAL__N_18offset_tEEE10hipError_tPvRmT1_PNSt15iterator_traitsISK_E10value_typeET2_T3_PNSL_ISQ_E10value_typeET4_jRbjT5_SW_jjP12ihipStream_tbEUlT_E0_NS1_11comp_targetILNS1_3genE8ELNS1_11target_archE1030ELNS1_3gpuE2ELNS1_3repE0EEENS1_60segmented_radix_sort_warp_sort_medium_config_static_selectorELNS0_4arch9wavefront6targetE0EEEvSK_,comdat
	.globl	_ZN7rocprim17ROCPRIM_400000_NS6detail17trampoline_kernelINS0_14default_configENS1_36segmented_radix_sort_config_selectorIhlEEZNS1_25segmented_radix_sort_implIS3_Lb1EPKhPhPKlPlN2at6native12_GLOBAL__N_18offset_tEEE10hipError_tPvRmT1_PNSt15iterator_traitsISK_E10value_typeET2_T3_PNSL_ISQ_E10value_typeET4_jRbjT5_SW_jjP12ihipStream_tbEUlT_E0_NS1_11comp_targetILNS1_3genE8ELNS1_11target_archE1030ELNS1_3gpuE2ELNS1_3repE0EEENS1_60segmented_radix_sort_warp_sort_medium_config_static_selectorELNS0_4arch9wavefront6targetE0EEEvSK_ ; -- Begin function _ZN7rocprim17ROCPRIM_400000_NS6detail17trampoline_kernelINS0_14default_configENS1_36segmented_radix_sort_config_selectorIhlEEZNS1_25segmented_radix_sort_implIS3_Lb1EPKhPhPKlPlN2at6native12_GLOBAL__N_18offset_tEEE10hipError_tPvRmT1_PNSt15iterator_traitsISK_E10value_typeET2_T3_PNSL_ISQ_E10value_typeET4_jRbjT5_SW_jjP12ihipStream_tbEUlT_E0_NS1_11comp_targetILNS1_3genE8ELNS1_11target_archE1030ELNS1_3gpuE2ELNS1_3repE0EEENS1_60segmented_radix_sort_warp_sort_medium_config_static_selectorELNS0_4arch9wavefront6targetE0EEEvSK_
	.p2align	8
	.type	_ZN7rocprim17ROCPRIM_400000_NS6detail17trampoline_kernelINS0_14default_configENS1_36segmented_radix_sort_config_selectorIhlEEZNS1_25segmented_radix_sort_implIS3_Lb1EPKhPhPKlPlN2at6native12_GLOBAL__N_18offset_tEEE10hipError_tPvRmT1_PNSt15iterator_traitsISK_E10value_typeET2_T3_PNSL_ISQ_E10value_typeET4_jRbjT5_SW_jjP12ihipStream_tbEUlT_E0_NS1_11comp_targetILNS1_3genE8ELNS1_11target_archE1030ELNS1_3gpuE2ELNS1_3repE0EEENS1_60segmented_radix_sort_warp_sort_medium_config_static_selectorELNS0_4arch9wavefront6targetE0EEEvSK_,@function
_ZN7rocprim17ROCPRIM_400000_NS6detail17trampoline_kernelINS0_14default_configENS1_36segmented_radix_sort_config_selectorIhlEEZNS1_25segmented_radix_sort_implIS3_Lb1EPKhPhPKlPlN2at6native12_GLOBAL__N_18offset_tEEE10hipError_tPvRmT1_PNSt15iterator_traitsISK_E10value_typeET2_T3_PNSL_ISQ_E10value_typeET4_jRbjT5_SW_jjP12ihipStream_tbEUlT_E0_NS1_11comp_targetILNS1_3genE8ELNS1_11target_archE1030ELNS1_3gpuE2ELNS1_3repE0EEENS1_60segmented_radix_sort_warp_sort_medium_config_static_selectorELNS0_4arch9wavefront6targetE0EEEvSK_: ; @_ZN7rocprim17ROCPRIM_400000_NS6detail17trampoline_kernelINS0_14default_configENS1_36segmented_radix_sort_config_selectorIhlEEZNS1_25segmented_radix_sort_implIS3_Lb1EPKhPhPKlPlN2at6native12_GLOBAL__N_18offset_tEEE10hipError_tPvRmT1_PNSt15iterator_traitsISK_E10value_typeET2_T3_PNSL_ISQ_E10value_typeET4_jRbjT5_SW_jjP12ihipStream_tbEUlT_E0_NS1_11comp_targetILNS1_3genE8ELNS1_11target_archE1030ELNS1_3gpuE2ELNS1_3repE0EEENS1_60segmented_radix_sort_warp_sort_medium_config_static_selectorELNS0_4arch9wavefront6targetE0EEEvSK_
; %bb.0:
	.section	.rodata,"a",@progbits
	.p2align	6, 0x0
	.amdhsa_kernel _ZN7rocprim17ROCPRIM_400000_NS6detail17trampoline_kernelINS0_14default_configENS1_36segmented_radix_sort_config_selectorIhlEEZNS1_25segmented_radix_sort_implIS3_Lb1EPKhPhPKlPlN2at6native12_GLOBAL__N_18offset_tEEE10hipError_tPvRmT1_PNSt15iterator_traitsISK_E10value_typeET2_T3_PNSL_ISQ_E10value_typeET4_jRbjT5_SW_jjP12ihipStream_tbEUlT_E0_NS1_11comp_targetILNS1_3genE8ELNS1_11target_archE1030ELNS1_3gpuE2ELNS1_3repE0EEENS1_60segmented_radix_sort_warp_sort_medium_config_static_selectorELNS0_4arch9wavefront6targetE0EEEvSK_
		.amdhsa_group_segment_fixed_size 0
		.amdhsa_private_segment_fixed_size 0
		.amdhsa_kernarg_size 88
		.amdhsa_user_sgpr_count 2
		.amdhsa_user_sgpr_dispatch_ptr 0
		.amdhsa_user_sgpr_queue_ptr 0
		.amdhsa_user_sgpr_kernarg_segment_ptr 1
		.amdhsa_user_sgpr_dispatch_id 0
		.amdhsa_user_sgpr_kernarg_preload_length 0
		.amdhsa_user_sgpr_kernarg_preload_offset 0
		.amdhsa_user_sgpr_private_segment_size 0
		.amdhsa_wavefront_size32 1
		.amdhsa_uses_dynamic_stack 0
		.amdhsa_enable_private_segment 0
		.amdhsa_system_sgpr_workgroup_id_x 1
		.amdhsa_system_sgpr_workgroup_id_y 0
		.amdhsa_system_sgpr_workgroup_id_z 0
		.amdhsa_system_sgpr_workgroup_info 0
		.amdhsa_system_vgpr_workitem_id 0
		.amdhsa_next_free_vgpr 1
		.amdhsa_next_free_sgpr 1
		.amdhsa_named_barrier_count 0
		.amdhsa_reserve_vcc 0
		.amdhsa_float_round_mode_32 0
		.amdhsa_float_round_mode_16_64 0
		.amdhsa_float_denorm_mode_32 3
		.amdhsa_float_denorm_mode_16_64 3
		.amdhsa_fp16_overflow 0
		.amdhsa_memory_ordered 1
		.amdhsa_forward_progress 1
		.amdhsa_inst_pref_size 0
		.amdhsa_round_robin_scheduling 0
		.amdhsa_exception_fp_ieee_invalid_op 0
		.amdhsa_exception_fp_denorm_src 0
		.amdhsa_exception_fp_ieee_div_zero 0
		.amdhsa_exception_fp_ieee_overflow 0
		.amdhsa_exception_fp_ieee_underflow 0
		.amdhsa_exception_fp_ieee_inexact 0
		.amdhsa_exception_int_div_zero 0
	.end_amdhsa_kernel
	.section	.text._ZN7rocprim17ROCPRIM_400000_NS6detail17trampoline_kernelINS0_14default_configENS1_36segmented_radix_sort_config_selectorIhlEEZNS1_25segmented_radix_sort_implIS3_Lb1EPKhPhPKlPlN2at6native12_GLOBAL__N_18offset_tEEE10hipError_tPvRmT1_PNSt15iterator_traitsISK_E10value_typeET2_T3_PNSL_ISQ_E10value_typeET4_jRbjT5_SW_jjP12ihipStream_tbEUlT_E0_NS1_11comp_targetILNS1_3genE8ELNS1_11target_archE1030ELNS1_3gpuE2ELNS1_3repE0EEENS1_60segmented_radix_sort_warp_sort_medium_config_static_selectorELNS0_4arch9wavefront6targetE0EEEvSK_,"axG",@progbits,_ZN7rocprim17ROCPRIM_400000_NS6detail17trampoline_kernelINS0_14default_configENS1_36segmented_radix_sort_config_selectorIhlEEZNS1_25segmented_radix_sort_implIS3_Lb1EPKhPhPKlPlN2at6native12_GLOBAL__N_18offset_tEEE10hipError_tPvRmT1_PNSt15iterator_traitsISK_E10value_typeET2_T3_PNSL_ISQ_E10value_typeET4_jRbjT5_SW_jjP12ihipStream_tbEUlT_E0_NS1_11comp_targetILNS1_3genE8ELNS1_11target_archE1030ELNS1_3gpuE2ELNS1_3repE0EEENS1_60segmented_radix_sort_warp_sort_medium_config_static_selectorELNS0_4arch9wavefront6targetE0EEEvSK_,comdat
.Lfunc_end102:
	.size	_ZN7rocprim17ROCPRIM_400000_NS6detail17trampoline_kernelINS0_14default_configENS1_36segmented_radix_sort_config_selectorIhlEEZNS1_25segmented_radix_sort_implIS3_Lb1EPKhPhPKlPlN2at6native12_GLOBAL__N_18offset_tEEE10hipError_tPvRmT1_PNSt15iterator_traitsISK_E10value_typeET2_T3_PNSL_ISQ_E10value_typeET4_jRbjT5_SW_jjP12ihipStream_tbEUlT_E0_NS1_11comp_targetILNS1_3genE8ELNS1_11target_archE1030ELNS1_3gpuE2ELNS1_3repE0EEENS1_60segmented_radix_sort_warp_sort_medium_config_static_selectorELNS0_4arch9wavefront6targetE0EEEvSK_, .Lfunc_end102-_ZN7rocprim17ROCPRIM_400000_NS6detail17trampoline_kernelINS0_14default_configENS1_36segmented_radix_sort_config_selectorIhlEEZNS1_25segmented_radix_sort_implIS3_Lb1EPKhPhPKlPlN2at6native12_GLOBAL__N_18offset_tEEE10hipError_tPvRmT1_PNSt15iterator_traitsISK_E10value_typeET2_T3_PNSL_ISQ_E10value_typeET4_jRbjT5_SW_jjP12ihipStream_tbEUlT_E0_NS1_11comp_targetILNS1_3genE8ELNS1_11target_archE1030ELNS1_3gpuE2ELNS1_3repE0EEENS1_60segmented_radix_sort_warp_sort_medium_config_static_selectorELNS0_4arch9wavefront6targetE0EEEvSK_
                                        ; -- End function
	.set _ZN7rocprim17ROCPRIM_400000_NS6detail17trampoline_kernelINS0_14default_configENS1_36segmented_radix_sort_config_selectorIhlEEZNS1_25segmented_radix_sort_implIS3_Lb1EPKhPhPKlPlN2at6native12_GLOBAL__N_18offset_tEEE10hipError_tPvRmT1_PNSt15iterator_traitsISK_E10value_typeET2_T3_PNSL_ISQ_E10value_typeET4_jRbjT5_SW_jjP12ihipStream_tbEUlT_E0_NS1_11comp_targetILNS1_3genE8ELNS1_11target_archE1030ELNS1_3gpuE2ELNS1_3repE0EEENS1_60segmented_radix_sort_warp_sort_medium_config_static_selectorELNS0_4arch9wavefront6targetE0EEEvSK_.num_vgpr, 0
	.set _ZN7rocprim17ROCPRIM_400000_NS6detail17trampoline_kernelINS0_14default_configENS1_36segmented_radix_sort_config_selectorIhlEEZNS1_25segmented_radix_sort_implIS3_Lb1EPKhPhPKlPlN2at6native12_GLOBAL__N_18offset_tEEE10hipError_tPvRmT1_PNSt15iterator_traitsISK_E10value_typeET2_T3_PNSL_ISQ_E10value_typeET4_jRbjT5_SW_jjP12ihipStream_tbEUlT_E0_NS1_11comp_targetILNS1_3genE8ELNS1_11target_archE1030ELNS1_3gpuE2ELNS1_3repE0EEENS1_60segmented_radix_sort_warp_sort_medium_config_static_selectorELNS0_4arch9wavefront6targetE0EEEvSK_.num_agpr, 0
	.set _ZN7rocprim17ROCPRIM_400000_NS6detail17trampoline_kernelINS0_14default_configENS1_36segmented_radix_sort_config_selectorIhlEEZNS1_25segmented_radix_sort_implIS3_Lb1EPKhPhPKlPlN2at6native12_GLOBAL__N_18offset_tEEE10hipError_tPvRmT1_PNSt15iterator_traitsISK_E10value_typeET2_T3_PNSL_ISQ_E10value_typeET4_jRbjT5_SW_jjP12ihipStream_tbEUlT_E0_NS1_11comp_targetILNS1_3genE8ELNS1_11target_archE1030ELNS1_3gpuE2ELNS1_3repE0EEENS1_60segmented_radix_sort_warp_sort_medium_config_static_selectorELNS0_4arch9wavefront6targetE0EEEvSK_.numbered_sgpr, 0
	.set _ZN7rocprim17ROCPRIM_400000_NS6detail17trampoline_kernelINS0_14default_configENS1_36segmented_radix_sort_config_selectorIhlEEZNS1_25segmented_radix_sort_implIS3_Lb1EPKhPhPKlPlN2at6native12_GLOBAL__N_18offset_tEEE10hipError_tPvRmT1_PNSt15iterator_traitsISK_E10value_typeET2_T3_PNSL_ISQ_E10value_typeET4_jRbjT5_SW_jjP12ihipStream_tbEUlT_E0_NS1_11comp_targetILNS1_3genE8ELNS1_11target_archE1030ELNS1_3gpuE2ELNS1_3repE0EEENS1_60segmented_radix_sort_warp_sort_medium_config_static_selectorELNS0_4arch9wavefront6targetE0EEEvSK_.num_named_barrier, 0
	.set _ZN7rocprim17ROCPRIM_400000_NS6detail17trampoline_kernelINS0_14default_configENS1_36segmented_radix_sort_config_selectorIhlEEZNS1_25segmented_radix_sort_implIS3_Lb1EPKhPhPKlPlN2at6native12_GLOBAL__N_18offset_tEEE10hipError_tPvRmT1_PNSt15iterator_traitsISK_E10value_typeET2_T3_PNSL_ISQ_E10value_typeET4_jRbjT5_SW_jjP12ihipStream_tbEUlT_E0_NS1_11comp_targetILNS1_3genE8ELNS1_11target_archE1030ELNS1_3gpuE2ELNS1_3repE0EEENS1_60segmented_radix_sort_warp_sort_medium_config_static_selectorELNS0_4arch9wavefront6targetE0EEEvSK_.private_seg_size, 0
	.set _ZN7rocprim17ROCPRIM_400000_NS6detail17trampoline_kernelINS0_14default_configENS1_36segmented_radix_sort_config_selectorIhlEEZNS1_25segmented_radix_sort_implIS3_Lb1EPKhPhPKlPlN2at6native12_GLOBAL__N_18offset_tEEE10hipError_tPvRmT1_PNSt15iterator_traitsISK_E10value_typeET2_T3_PNSL_ISQ_E10value_typeET4_jRbjT5_SW_jjP12ihipStream_tbEUlT_E0_NS1_11comp_targetILNS1_3genE8ELNS1_11target_archE1030ELNS1_3gpuE2ELNS1_3repE0EEENS1_60segmented_radix_sort_warp_sort_medium_config_static_selectorELNS0_4arch9wavefront6targetE0EEEvSK_.uses_vcc, 0
	.set _ZN7rocprim17ROCPRIM_400000_NS6detail17trampoline_kernelINS0_14default_configENS1_36segmented_radix_sort_config_selectorIhlEEZNS1_25segmented_radix_sort_implIS3_Lb1EPKhPhPKlPlN2at6native12_GLOBAL__N_18offset_tEEE10hipError_tPvRmT1_PNSt15iterator_traitsISK_E10value_typeET2_T3_PNSL_ISQ_E10value_typeET4_jRbjT5_SW_jjP12ihipStream_tbEUlT_E0_NS1_11comp_targetILNS1_3genE8ELNS1_11target_archE1030ELNS1_3gpuE2ELNS1_3repE0EEENS1_60segmented_radix_sort_warp_sort_medium_config_static_selectorELNS0_4arch9wavefront6targetE0EEEvSK_.uses_flat_scratch, 0
	.set _ZN7rocprim17ROCPRIM_400000_NS6detail17trampoline_kernelINS0_14default_configENS1_36segmented_radix_sort_config_selectorIhlEEZNS1_25segmented_radix_sort_implIS3_Lb1EPKhPhPKlPlN2at6native12_GLOBAL__N_18offset_tEEE10hipError_tPvRmT1_PNSt15iterator_traitsISK_E10value_typeET2_T3_PNSL_ISQ_E10value_typeET4_jRbjT5_SW_jjP12ihipStream_tbEUlT_E0_NS1_11comp_targetILNS1_3genE8ELNS1_11target_archE1030ELNS1_3gpuE2ELNS1_3repE0EEENS1_60segmented_radix_sort_warp_sort_medium_config_static_selectorELNS0_4arch9wavefront6targetE0EEEvSK_.has_dyn_sized_stack, 0
	.set _ZN7rocprim17ROCPRIM_400000_NS6detail17trampoline_kernelINS0_14default_configENS1_36segmented_radix_sort_config_selectorIhlEEZNS1_25segmented_radix_sort_implIS3_Lb1EPKhPhPKlPlN2at6native12_GLOBAL__N_18offset_tEEE10hipError_tPvRmT1_PNSt15iterator_traitsISK_E10value_typeET2_T3_PNSL_ISQ_E10value_typeET4_jRbjT5_SW_jjP12ihipStream_tbEUlT_E0_NS1_11comp_targetILNS1_3genE8ELNS1_11target_archE1030ELNS1_3gpuE2ELNS1_3repE0EEENS1_60segmented_radix_sort_warp_sort_medium_config_static_selectorELNS0_4arch9wavefront6targetE0EEEvSK_.has_recursion, 0
	.set _ZN7rocprim17ROCPRIM_400000_NS6detail17trampoline_kernelINS0_14default_configENS1_36segmented_radix_sort_config_selectorIhlEEZNS1_25segmented_radix_sort_implIS3_Lb1EPKhPhPKlPlN2at6native12_GLOBAL__N_18offset_tEEE10hipError_tPvRmT1_PNSt15iterator_traitsISK_E10value_typeET2_T3_PNSL_ISQ_E10value_typeET4_jRbjT5_SW_jjP12ihipStream_tbEUlT_E0_NS1_11comp_targetILNS1_3genE8ELNS1_11target_archE1030ELNS1_3gpuE2ELNS1_3repE0EEENS1_60segmented_radix_sort_warp_sort_medium_config_static_selectorELNS0_4arch9wavefront6targetE0EEEvSK_.has_indirect_call, 0
	.section	.AMDGPU.csdata,"",@progbits
; Kernel info:
; codeLenInByte = 0
; TotalNumSgprs: 0
; NumVgprs: 0
; ScratchSize: 0
; MemoryBound: 0
; FloatMode: 240
; IeeeMode: 1
; LDSByteSize: 0 bytes/workgroup (compile time only)
; SGPRBlocks: 0
; VGPRBlocks: 0
; NumSGPRsForWavesPerEU: 1
; NumVGPRsForWavesPerEU: 1
; NamedBarCnt: 0
; Occupancy: 16
; WaveLimiterHint : 0
; COMPUTE_PGM_RSRC2:SCRATCH_EN: 0
; COMPUTE_PGM_RSRC2:USER_SGPR: 2
; COMPUTE_PGM_RSRC2:TRAP_HANDLER: 0
; COMPUTE_PGM_RSRC2:TGID_X_EN: 1
; COMPUTE_PGM_RSRC2:TGID_Y_EN: 0
; COMPUTE_PGM_RSRC2:TGID_Z_EN: 0
; COMPUTE_PGM_RSRC2:TIDIG_COMP_CNT: 0
	.section	.text._ZN7rocprim17ROCPRIM_400000_NS6detail17trampoline_kernelINS0_14default_configENS1_36segmented_radix_sort_config_selectorIhlEEZNS1_25segmented_radix_sort_implIS3_Lb1EPKhPhPKlPlN2at6native12_GLOBAL__N_18offset_tEEE10hipError_tPvRmT1_PNSt15iterator_traitsISK_E10value_typeET2_T3_PNSL_ISQ_E10value_typeET4_jRbjT5_SW_jjP12ihipStream_tbEUlT_E1_NS1_11comp_targetILNS1_3genE0ELNS1_11target_archE4294967295ELNS1_3gpuE0ELNS1_3repE0EEENS1_59segmented_radix_sort_warp_sort_small_config_static_selectorELNS0_4arch9wavefront6targetE0EEEvSK_,"axG",@progbits,_ZN7rocprim17ROCPRIM_400000_NS6detail17trampoline_kernelINS0_14default_configENS1_36segmented_radix_sort_config_selectorIhlEEZNS1_25segmented_radix_sort_implIS3_Lb1EPKhPhPKlPlN2at6native12_GLOBAL__N_18offset_tEEE10hipError_tPvRmT1_PNSt15iterator_traitsISK_E10value_typeET2_T3_PNSL_ISQ_E10value_typeET4_jRbjT5_SW_jjP12ihipStream_tbEUlT_E1_NS1_11comp_targetILNS1_3genE0ELNS1_11target_archE4294967295ELNS1_3gpuE0ELNS1_3repE0EEENS1_59segmented_radix_sort_warp_sort_small_config_static_selectorELNS0_4arch9wavefront6targetE0EEEvSK_,comdat
	.globl	_ZN7rocprim17ROCPRIM_400000_NS6detail17trampoline_kernelINS0_14default_configENS1_36segmented_radix_sort_config_selectorIhlEEZNS1_25segmented_radix_sort_implIS3_Lb1EPKhPhPKlPlN2at6native12_GLOBAL__N_18offset_tEEE10hipError_tPvRmT1_PNSt15iterator_traitsISK_E10value_typeET2_T3_PNSL_ISQ_E10value_typeET4_jRbjT5_SW_jjP12ihipStream_tbEUlT_E1_NS1_11comp_targetILNS1_3genE0ELNS1_11target_archE4294967295ELNS1_3gpuE0ELNS1_3repE0EEENS1_59segmented_radix_sort_warp_sort_small_config_static_selectorELNS0_4arch9wavefront6targetE0EEEvSK_ ; -- Begin function _ZN7rocprim17ROCPRIM_400000_NS6detail17trampoline_kernelINS0_14default_configENS1_36segmented_radix_sort_config_selectorIhlEEZNS1_25segmented_radix_sort_implIS3_Lb1EPKhPhPKlPlN2at6native12_GLOBAL__N_18offset_tEEE10hipError_tPvRmT1_PNSt15iterator_traitsISK_E10value_typeET2_T3_PNSL_ISQ_E10value_typeET4_jRbjT5_SW_jjP12ihipStream_tbEUlT_E1_NS1_11comp_targetILNS1_3genE0ELNS1_11target_archE4294967295ELNS1_3gpuE0ELNS1_3repE0EEENS1_59segmented_radix_sort_warp_sort_small_config_static_selectorELNS0_4arch9wavefront6targetE0EEEvSK_
	.p2align	8
	.type	_ZN7rocprim17ROCPRIM_400000_NS6detail17trampoline_kernelINS0_14default_configENS1_36segmented_radix_sort_config_selectorIhlEEZNS1_25segmented_radix_sort_implIS3_Lb1EPKhPhPKlPlN2at6native12_GLOBAL__N_18offset_tEEE10hipError_tPvRmT1_PNSt15iterator_traitsISK_E10value_typeET2_T3_PNSL_ISQ_E10value_typeET4_jRbjT5_SW_jjP12ihipStream_tbEUlT_E1_NS1_11comp_targetILNS1_3genE0ELNS1_11target_archE4294967295ELNS1_3gpuE0ELNS1_3repE0EEENS1_59segmented_radix_sort_warp_sort_small_config_static_selectorELNS0_4arch9wavefront6targetE0EEEvSK_,@function
_ZN7rocprim17ROCPRIM_400000_NS6detail17trampoline_kernelINS0_14default_configENS1_36segmented_radix_sort_config_selectorIhlEEZNS1_25segmented_radix_sort_implIS3_Lb1EPKhPhPKlPlN2at6native12_GLOBAL__N_18offset_tEEE10hipError_tPvRmT1_PNSt15iterator_traitsISK_E10value_typeET2_T3_PNSL_ISQ_E10value_typeET4_jRbjT5_SW_jjP12ihipStream_tbEUlT_E1_NS1_11comp_targetILNS1_3genE0ELNS1_11target_archE4294967295ELNS1_3gpuE0ELNS1_3repE0EEENS1_59segmented_radix_sort_warp_sort_small_config_static_selectorELNS0_4arch9wavefront6targetE0EEEvSK_: ; @_ZN7rocprim17ROCPRIM_400000_NS6detail17trampoline_kernelINS0_14default_configENS1_36segmented_radix_sort_config_selectorIhlEEZNS1_25segmented_radix_sort_implIS3_Lb1EPKhPhPKlPlN2at6native12_GLOBAL__N_18offset_tEEE10hipError_tPvRmT1_PNSt15iterator_traitsISK_E10value_typeET2_T3_PNSL_ISQ_E10value_typeET4_jRbjT5_SW_jjP12ihipStream_tbEUlT_E1_NS1_11comp_targetILNS1_3genE0ELNS1_11target_archE4294967295ELNS1_3gpuE0ELNS1_3repE0EEENS1_59segmented_radix_sort_warp_sort_small_config_static_selectorELNS0_4arch9wavefront6targetE0EEEvSK_
; %bb.0:
	s_load_b32 s4, s[2:3], 0x64
	v_bfe_u32 v1, v0, 10, 10
	v_bfe_u32 v2, v0, 20, 10
	v_and_b32_e32 v3, 0x3ff, v0
	s_and_b32 s6, ttmp6, 15
	s_getreg_b32 s7, hwreg(HW_REG_IB_STS2, 6, 4)
	s_mov_b32 s32, 0
	s_wait_kmcnt 0x0
	s_lshr_b32 s5, s4, 16
	s_and_b32 s4, s4, 0xffff
	v_mad_u32_u24 v1, v2, s5, v1
	s_bfe_u32 s5, ttmp6, 0x4000c
	s_delay_alu instid0(SALU_CYCLE_1) | instskip(NEXT) | instid1(SALU_CYCLE_1)
	s_add_co_i32 s5, s5, 1
	s_mul_i32 s5, ttmp9, s5
	s_delay_alu instid0(VALU_DEP_1) | instskip(SKIP_4) | instid1(VALU_DEP_1)
	v_mad_u32 v1, v1, s4, v3
	s_load_b32 s4, s[2:3], 0x34
	s_add_co_i32 s6, s6, s5
	s_cmp_eq_u32 s7, 0
	s_cselect_b32 s5, ttmp9, s6
	v_lshrrev_b32_e32 v1, 5, v1
	s_delay_alu instid0(VALU_DEP_1) | instskip(SKIP_1) | instid1(VALU_DEP_1)
	v_lshl_add_u32 v2, s5, 3, v1
	s_wait_kmcnt 0x0
	v_cmp_gt_u32_e32 vcc_lo, s4, v2
	s_and_saveexec_b32 s4, vcc_lo
	s_cbranch_execz .LBB103_6
; %bb.1:
	s_clause 0x1
	s_load_b64 s[8:9], s[2:3], 0x38
	s_load_b128 s[4:7], s[2:3], 0x40
	v_mov_b32_e32 v3, 0
	s_delay_alu instid0(VALU_DEP_1) | instskip(SKIP_1) | instid1(VALU_DEP_1)
	v_lshlrev_b64_e32 v[2:3], 2, v[2:3]
	s_wait_kmcnt 0x0
	v_sub_nc_u64_e32 v[2:3], s[8:9], v[2:3]
	global_load_b32 v1, v[2:3], off offset:-4
	s_wait_loadcnt 0x0
	v_dual_add_nc_u32 v2, s5, v1 :: v_dual_add_nc_u32 v1, s7, v1
	s_delay_alu instid0(VALU_DEP_1) | instskip(NEXT) | instid1(VALU_DEP_2)
	v_mul_lo_u32 v8, v2, s4
	v_mul_lo_u32 v40, v1, s6
	s_delay_alu instid0(VALU_DEP_1)
	v_cmp_gt_u32_e32 vcc_lo, v40, v8
	s_and_b32 exec_lo, exec_lo, vcc_lo
	s_cbranch_execz .LBB103_6
; %bb.2:
	s_clause 0x3
	s_load_b32 s4, s[2:3], 0x30
	s_load_b128 s[36:39], s[2:3], 0x20
	s_load_b256 s[20:27], s[2:3], 0x0
	s_load_b64 s[18:19], s[2:3], 0x50
	s_add_nc_u64 s[16:17], s[2:3], 0x58
	s_get_pc_i64 s[28:29]
	s_add_nc_u64 s[28:29], s[28:29], _ZN7rocprim17ROCPRIM_400000_NS6detail26segmented_warp_sort_helperINS1_20WarpSortHelperConfigILj32ELj4ELj256EEEhlLi256ELb1EvE4sortIPKhPhPKlPlEEvT_T0_T1_T2_jjjjRNS5_12storage_typeE@rel64+4
	s_wait_kmcnt 0x0
	s_bitcmp0_b32 s4, 0
	s_mov_b32 s4, -1
	s_cbranch_scc0 .LBB103_4
; %bb.3:
	s_mov_b64 s[2:3], src_shared_base
	v_dual_mov_b32 v31, v0 :: v_dual_mov_b32 v41, v0
	v_dual_mov_b32 v0, s20 :: v_dual_mov_b32 v1, s21
	;; [unrolled: 1-line block ×7, first 2 shown]
	v_mov_b32_e32 v13, s3
	s_mov_b64 s[6:7], s[0:1]
	s_mov_b64 s[8:9], s[16:17]
	;; [unrolled: 1-line block ×3, first 2 shown]
	s_swap_pc_i64 s[30:31], s[28:29]
	v_mov_b32_e32 v0, v41
	s_mov_b64 s[0:1], s[22:23]
	s_mov_b32 s4, 0
.LBB103_4:
	s_delay_alu instid0(SALU_CYCLE_1)
	s_and_not1_b32 vcc_lo, exec_lo, s4
	s_cbranch_vccnz .LBB103_6
; %bb.5:
	s_mov_b64 s[2:3], src_shared_base
	v_dual_mov_b32 v31, v0 :: v_dual_mov_b32 v0, s20
	v_dual_mov_b32 v1, s21 :: v_dual_mov_b32 v2, s24
	;; [unrolled: 1-line block ×7, first 2 shown]
	s_mov_b64 s[6:7], s[0:1]
	s_mov_b64 s[8:9], s[16:17]
	s_swap_pc_i64 s[30:31], s[28:29]
.LBB103_6:
	s_endpgm
	.section	.rodata,"a",@progbits
	.p2align	6, 0x0
	.amdhsa_kernel _ZN7rocprim17ROCPRIM_400000_NS6detail17trampoline_kernelINS0_14default_configENS1_36segmented_radix_sort_config_selectorIhlEEZNS1_25segmented_radix_sort_implIS3_Lb1EPKhPhPKlPlN2at6native12_GLOBAL__N_18offset_tEEE10hipError_tPvRmT1_PNSt15iterator_traitsISK_E10value_typeET2_T3_PNSL_ISQ_E10value_typeET4_jRbjT5_SW_jjP12ihipStream_tbEUlT_E1_NS1_11comp_targetILNS1_3genE0ELNS1_11target_archE4294967295ELNS1_3gpuE0ELNS1_3repE0EEENS1_59segmented_radix_sort_warp_sort_small_config_static_selectorELNS0_4arch9wavefront6targetE0EEEvSK_
		.amdhsa_group_segment_fixed_size 9216
		.amdhsa_private_segment_fixed_size 0
		.amdhsa_kernarg_size 344
		.amdhsa_user_sgpr_count 4
		.amdhsa_user_sgpr_dispatch_ptr 0
		.amdhsa_user_sgpr_queue_ptr 1
		.amdhsa_user_sgpr_kernarg_segment_ptr 1
		.amdhsa_user_sgpr_dispatch_id 0
		.amdhsa_user_sgpr_kernarg_preload_length 0
		.amdhsa_user_sgpr_kernarg_preload_offset 0
		.amdhsa_user_sgpr_private_segment_size 0
		.amdhsa_wavefront_size32 1
		.amdhsa_uses_dynamic_stack 0
		.amdhsa_enable_private_segment 0
		.amdhsa_system_sgpr_workgroup_id_x 1
		.amdhsa_system_sgpr_workgroup_id_y 1
		.amdhsa_system_sgpr_workgroup_id_z 0
		.amdhsa_system_sgpr_workgroup_info 0
		.amdhsa_system_vgpr_workitem_id 2
		.amdhsa_next_free_vgpr 55
		.amdhsa_next_free_sgpr 40
		.amdhsa_named_barrier_count 0
		.amdhsa_reserve_vcc 1
		.amdhsa_float_round_mode_32 0
		.amdhsa_float_round_mode_16_64 0
		.amdhsa_float_denorm_mode_32 3
		.amdhsa_float_denorm_mode_16_64 3
		.amdhsa_fp16_overflow 0
		.amdhsa_memory_ordered 1
		.amdhsa_forward_progress 1
		.amdhsa_inst_pref_size 5
		.amdhsa_round_robin_scheduling 0
		.amdhsa_exception_fp_ieee_invalid_op 0
		.amdhsa_exception_fp_denorm_src 0
		.amdhsa_exception_fp_ieee_div_zero 0
		.amdhsa_exception_fp_ieee_overflow 0
		.amdhsa_exception_fp_ieee_underflow 0
		.amdhsa_exception_fp_ieee_inexact 0
		.amdhsa_exception_int_div_zero 0
	.end_amdhsa_kernel
	.section	.text._ZN7rocprim17ROCPRIM_400000_NS6detail17trampoline_kernelINS0_14default_configENS1_36segmented_radix_sort_config_selectorIhlEEZNS1_25segmented_radix_sort_implIS3_Lb1EPKhPhPKlPlN2at6native12_GLOBAL__N_18offset_tEEE10hipError_tPvRmT1_PNSt15iterator_traitsISK_E10value_typeET2_T3_PNSL_ISQ_E10value_typeET4_jRbjT5_SW_jjP12ihipStream_tbEUlT_E1_NS1_11comp_targetILNS1_3genE0ELNS1_11target_archE4294967295ELNS1_3gpuE0ELNS1_3repE0EEENS1_59segmented_radix_sort_warp_sort_small_config_static_selectorELNS0_4arch9wavefront6targetE0EEEvSK_,"axG",@progbits,_ZN7rocprim17ROCPRIM_400000_NS6detail17trampoline_kernelINS0_14default_configENS1_36segmented_radix_sort_config_selectorIhlEEZNS1_25segmented_radix_sort_implIS3_Lb1EPKhPhPKlPlN2at6native12_GLOBAL__N_18offset_tEEE10hipError_tPvRmT1_PNSt15iterator_traitsISK_E10value_typeET2_T3_PNSL_ISQ_E10value_typeET4_jRbjT5_SW_jjP12ihipStream_tbEUlT_E1_NS1_11comp_targetILNS1_3genE0ELNS1_11target_archE4294967295ELNS1_3gpuE0ELNS1_3repE0EEENS1_59segmented_radix_sort_warp_sort_small_config_static_selectorELNS0_4arch9wavefront6targetE0EEEvSK_,comdat
.Lfunc_end103:
	.size	_ZN7rocprim17ROCPRIM_400000_NS6detail17trampoline_kernelINS0_14default_configENS1_36segmented_radix_sort_config_selectorIhlEEZNS1_25segmented_radix_sort_implIS3_Lb1EPKhPhPKlPlN2at6native12_GLOBAL__N_18offset_tEEE10hipError_tPvRmT1_PNSt15iterator_traitsISK_E10value_typeET2_T3_PNSL_ISQ_E10value_typeET4_jRbjT5_SW_jjP12ihipStream_tbEUlT_E1_NS1_11comp_targetILNS1_3genE0ELNS1_11target_archE4294967295ELNS1_3gpuE0ELNS1_3repE0EEENS1_59segmented_radix_sort_warp_sort_small_config_static_selectorELNS0_4arch9wavefront6targetE0EEEvSK_, .Lfunc_end103-_ZN7rocprim17ROCPRIM_400000_NS6detail17trampoline_kernelINS0_14default_configENS1_36segmented_radix_sort_config_selectorIhlEEZNS1_25segmented_radix_sort_implIS3_Lb1EPKhPhPKlPlN2at6native12_GLOBAL__N_18offset_tEEE10hipError_tPvRmT1_PNSt15iterator_traitsISK_E10value_typeET2_T3_PNSL_ISQ_E10value_typeET4_jRbjT5_SW_jjP12ihipStream_tbEUlT_E1_NS1_11comp_targetILNS1_3genE0ELNS1_11target_archE4294967295ELNS1_3gpuE0ELNS1_3repE0EEENS1_59segmented_radix_sort_warp_sort_small_config_static_selectorELNS0_4arch9wavefront6targetE0EEEvSK_
                                        ; -- End function
	.set _ZN7rocprim17ROCPRIM_400000_NS6detail17trampoline_kernelINS0_14default_configENS1_36segmented_radix_sort_config_selectorIhlEEZNS1_25segmented_radix_sort_implIS3_Lb1EPKhPhPKlPlN2at6native12_GLOBAL__N_18offset_tEEE10hipError_tPvRmT1_PNSt15iterator_traitsISK_E10value_typeET2_T3_PNSL_ISQ_E10value_typeET4_jRbjT5_SW_jjP12ihipStream_tbEUlT_E1_NS1_11comp_targetILNS1_3genE0ELNS1_11target_archE4294967295ELNS1_3gpuE0ELNS1_3repE0EEENS1_59segmented_radix_sort_warp_sort_small_config_static_selectorELNS0_4arch9wavefront6targetE0EEEvSK_.num_vgpr, max(42, .L_ZN7rocprim17ROCPRIM_400000_NS6detail26segmented_warp_sort_helperINS1_20WarpSortHelperConfigILj32ELj4ELj256EEEhlLi256ELb1EvE4sortIPKhPhPKlPlEEvT_T0_T1_T2_jjjjRNS5_12storage_typeE.num_vgpr)
	.set _ZN7rocprim17ROCPRIM_400000_NS6detail17trampoline_kernelINS0_14default_configENS1_36segmented_radix_sort_config_selectorIhlEEZNS1_25segmented_radix_sort_implIS3_Lb1EPKhPhPKlPlN2at6native12_GLOBAL__N_18offset_tEEE10hipError_tPvRmT1_PNSt15iterator_traitsISK_E10value_typeET2_T3_PNSL_ISQ_E10value_typeET4_jRbjT5_SW_jjP12ihipStream_tbEUlT_E1_NS1_11comp_targetILNS1_3genE0ELNS1_11target_archE4294967295ELNS1_3gpuE0ELNS1_3repE0EEENS1_59segmented_radix_sort_warp_sort_small_config_static_selectorELNS0_4arch9wavefront6targetE0EEEvSK_.num_agpr, max(0, .L_ZN7rocprim17ROCPRIM_400000_NS6detail26segmented_warp_sort_helperINS1_20WarpSortHelperConfigILj32ELj4ELj256EEEhlLi256ELb1EvE4sortIPKhPhPKlPlEEvT_T0_T1_T2_jjjjRNS5_12storage_typeE.num_agpr)
	.set _ZN7rocprim17ROCPRIM_400000_NS6detail17trampoline_kernelINS0_14default_configENS1_36segmented_radix_sort_config_selectorIhlEEZNS1_25segmented_radix_sort_implIS3_Lb1EPKhPhPKlPlN2at6native12_GLOBAL__N_18offset_tEEE10hipError_tPvRmT1_PNSt15iterator_traitsISK_E10value_typeET2_T3_PNSL_ISQ_E10value_typeET4_jRbjT5_SW_jjP12ihipStream_tbEUlT_E1_NS1_11comp_targetILNS1_3genE0ELNS1_11target_archE4294967295ELNS1_3gpuE0ELNS1_3repE0EEENS1_59segmented_radix_sort_warp_sort_small_config_static_selectorELNS0_4arch9wavefront6targetE0EEEvSK_.numbered_sgpr, max(40, .L_ZN7rocprim17ROCPRIM_400000_NS6detail26segmented_warp_sort_helperINS1_20WarpSortHelperConfigILj32ELj4ELj256EEEhlLi256ELb1EvE4sortIPKhPhPKlPlEEvT_T0_T1_T2_jjjjRNS5_12storage_typeE.numbered_sgpr)
	.set _ZN7rocprim17ROCPRIM_400000_NS6detail17trampoline_kernelINS0_14default_configENS1_36segmented_radix_sort_config_selectorIhlEEZNS1_25segmented_radix_sort_implIS3_Lb1EPKhPhPKlPlN2at6native12_GLOBAL__N_18offset_tEEE10hipError_tPvRmT1_PNSt15iterator_traitsISK_E10value_typeET2_T3_PNSL_ISQ_E10value_typeET4_jRbjT5_SW_jjP12ihipStream_tbEUlT_E1_NS1_11comp_targetILNS1_3genE0ELNS1_11target_archE4294967295ELNS1_3gpuE0ELNS1_3repE0EEENS1_59segmented_radix_sort_warp_sort_small_config_static_selectorELNS0_4arch9wavefront6targetE0EEEvSK_.num_named_barrier, max(0, .L_ZN7rocprim17ROCPRIM_400000_NS6detail26segmented_warp_sort_helperINS1_20WarpSortHelperConfigILj32ELj4ELj256EEEhlLi256ELb1EvE4sortIPKhPhPKlPlEEvT_T0_T1_T2_jjjjRNS5_12storage_typeE.num_named_barrier)
	.set _ZN7rocprim17ROCPRIM_400000_NS6detail17trampoline_kernelINS0_14default_configENS1_36segmented_radix_sort_config_selectorIhlEEZNS1_25segmented_radix_sort_implIS3_Lb1EPKhPhPKlPlN2at6native12_GLOBAL__N_18offset_tEEE10hipError_tPvRmT1_PNSt15iterator_traitsISK_E10value_typeET2_T3_PNSL_ISQ_E10value_typeET4_jRbjT5_SW_jjP12ihipStream_tbEUlT_E1_NS1_11comp_targetILNS1_3genE0ELNS1_11target_archE4294967295ELNS1_3gpuE0ELNS1_3repE0EEENS1_59segmented_radix_sort_warp_sort_small_config_static_selectorELNS0_4arch9wavefront6targetE0EEEvSK_.private_seg_size, 0+max(.L_ZN7rocprim17ROCPRIM_400000_NS6detail26segmented_warp_sort_helperINS1_20WarpSortHelperConfigILj32ELj4ELj256EEEhlLi256ELb1EvE4sortIPKhPhPKlPlEEvT_T0_T1_T2_jjjjRNS5_12storage_typeE.private_seg_size)
	.set _ZN7rocprim17ROCPRIM_400000_NS6detail17trampoline_kernelINS0_14default_configENS1_36segmented_radix_sort_config_selectorIhlEEZNS1_25segmented_radix_sort_implIS3_Lb1EPKhPhPKlPlN2at6native12_GLOBAL__N_18offset_tEEE10hipError_tPvRmT1_PNSt15iterator_traitsISK_E10value_typeET2_T3_PNSL_ISQ_E10value_typeET4_jRbjT5_SW_jjP12ihipStream_tbEUlT_E1_NS1_11comp_targetILNS1_3genE0ELNS1_11target_archE4294967295ELNS1_3gpuE0ELNS1_3repE0EEENS1_59segmented_radix_sort_warp_sort_small_config_static_selectorELNS0_4arch9wavefront6targetE0EEEvSK_.uses_vcc, or(1, .L_ZN7rocprim17ROCPRIM_400000_NS6detail26segmented_warp_sort_helperINS1_20WarpSortHelperConfigILj32ELj4ELj256EEEhlLi256ELb1EvE4sortIPKhPhPKlPlEEvT_T0_T1_T2_jjjjRNS5_12storage_typeE.uses_vcc)
	.set _ZN7rocprim17ROCPRIM_400000_NS6detail17trampoline_kernelINS0_14default_configENS1_36segmented_radix_sort_config_selectorIhlEEZNS1_25segmented_radix_sort_implIS3_Lb1EPKhPhPKlPlN2at6native12_GLOBAL__N_18offset_tEEE10hipError_tPvRmT1_PNSt15iterator_traitsISK_E10value_typeET2_T3_PNSL_ISQ_E10value_typeET4_jRbjT5_SW_jjP12ihipStream_tbEUlT_E1_NS1_11comp_targetILNS1_3genE0ELNS1_11target_archE4294967295ELNS1_3gpuE0ELNS1_3repE0EEENS1_59segmented_radix_sort_warp_sort_small_config_static_selectorELNS0_4arch9wavefront6targetE0EEEvSK_.uses_flat_scratch, or(0, .L_ZN7rocprim17ROCPRIM_400000_NS6detail26segmented_warp_sort_helperINS1_20WarpSortHelperConfigILj32ELj4ELj256EEEhlLi256ELb1EvE4sortIPKhPhPKlPlEEvT_T0_T1_T2_jjjjRNS5_12storage_typeE.uses_flat_scratch)
	.set _ZN7rocprim17ROCPRIM_400000_NS6detail17trampoline_kernelINS0_14default_configENS1_36segmented_radix_sort_config_selectorIhlEEZNS1_25segmented_radix_sort_implIS3_Lb1EPKhPhPKlPlN2at6native12_GLOBAL__N_18offset_tEEE10hipError_tPvRmT1_PNSt15iterator_traitsISK_E10value_typeET2_T3_PNSL_ISQ_E10value_typeET4_jRbjT5_SW_jjP12ihipStream_tbEUlT_E1_NS1_11comp_targetILNS1_3genE0ELNS1_11target_archE4294967295ELNS1_3gpuE0ELNS1_3repE0EEENS1_59segmented_radix_sort_warp_sort_small_config_static_selectorELNS0_4arch9wavefront6targetE0EEEvSK_.has_dyn_sized_stack, or(0, .L_ZN7rocprim17ROCPRIM_400000_NS6detail26segmented_warp_sort_helperINS1_20WarpSortHelperConfigILj32ELj4ELj256EEEhlLi256ELb1EvE4sortIPKhPhPKlPlEEvT_T0_T1_T2_jjjjRNS5_12storage_typeE.has_dyn_sized_stack)
	.set _ZN7rocprim17ROCPRIM_400000_NS6detail17trampoline_kernelINS0_14default_configENS1_36segmented_radix_sort_config_selectorIhlEEZNS1_25segmented_radix_sort_implIS3_Lb1EPKhPhPKlPlN2at6native12_GLOBAL__N_18offset_tEEE10hipError_tPvRmT1_PNSt15iterator_traitsISK_E10value_typeET2_T3_PNSL_ISQ_E10value_typeET4_jRbjT5_SW_jjP12ihipStream_tbEUlT_E1_NS1_11comp_targetILNS1_3genE0ELNS1_11target_archE4294967295ELNS1_3gpuE0ELNS1_3repE0EEENS1_59segmented_radix_sort_warp_sort_small_config_static_selectorELNS0_4arch9wavefront6targetE0EEEvSK_.has_recursion, or(0, .L_ZN7rocprim17ROCPRIM_400000_NS6detail26segmented_warp_sort_helperINS1_20WarpSortHelperConfigILj32ELj4ELj256EEEhlLi256ELb1EvE4sortIPKhPhPKlPlEEvT_T0_T1_T2_jjjjRNS5_12storage_typeE.has_recursion)
	.set _ZN7rocprim17ROCPRIM_400000_NS6detail17trampoline_kernelINS0_14default_configENS1_36segmented_radix_sort_config_selectorIhlEEZNS1_25segmented_radix_sort_implIS3_Lb1EPKhPhPKlPlN2at6native12_GLOBAL__N_18offset_tEEE10hipError_tPvRmT1_PNSt15iterator_traitsISK_E10value_typeET2_T3_PNSL_ISQ_E10value_typeET4_jRbjT5_SW_jjP12ihipStream_tbEUlT_E1_NS1_11comp_targetILNS1_3genE0ELNS1_11target_archE4294967295ELNS1_3gpuE0ELNS1_3repE0EEENS1_59segmented_radix_sort_warp_sort_small_config_static_selectorELNS0_4arch9wavefront6targetE0EEEvSK_.has_indirect_call, or(0, .L_ZN7rocprim17ROCPRIM_400000_NS6detail26segmented_warp_sort_helperINS1_20WarpSortHelperConfigILj32ELj4ELj256EEEhlLi256ELb1EvE4sortIPKhPhPKlPlEEvT_T0_T1_T2_jjjjRNS5_12storage_typeE.has_indirect_call)
	.section	.AMDGPU.csdata,"",@progbits
; Kernel info:
; codeLenInByte = 520
; TotalNumSgprs: 42
; NumVgprs: 55
; ScratchSize: 0
; MemoryBound: 0
; FloatMode: 240
; IeeeMode: 1
; LDSByteSize: 9216 bytes/workgroup (compile time only)
; SGPRBlocks: 0
; VGPRBlocks: 3
; NumSGPRsForWavesPerEU: 42
; NumVGPRsForWavesPerEU: 55
; NamedBarCnt: 0
; Occupancy: 16
; WaveLimiterHint : 0
; COMPUTE_PGM_RSRC2:SCRATCH_EN: 0
; COMPUTE_PGM_RSRC2:USER_SGPR: 4
; COMPUTE_PGM_RSRC2:TRAP_HANDLER: 0
; COMPUTE_PGM_RSRC2:TGID_X_EN: 1
; COMPUTE_PGM_RSRC2:TGID_Y_EN: 1
; COMPUTE_PGM_RSRC2:TGID_Z_EN: 0
; COMPUTE_PGM_RSRC2:TIDIG_COMP_CNT: 2
	.section	.text._ZN7rocprim17ROCPRIM_400000_NS6detail17trampoline_kernelINS0_14default_configENS1_36segmented_radix_sort_config_selectorIhlEEZNS1_25segmented_radix_sort_implIS3_Lb1EPKhPhPKlPlN2at6native12_GLOBAL__N_18offset_tEEE10hipError_tPvRmT1_PNSt15iterator_traitsISK_E10value_typeET2_T3_PNSL_ISQ_E10value_typeET4_jRbjT5_SW_jjP12ihipStream_tbEUlT_E1_NS1_11comp_targetILNS1_3genE5ELNS1_11target_archE942ELNS1_3gpuE9ELNS1_3repE0EEENS1_59segmented_radix_sort_warp_sort_small_config_static_selectorELNS0_4arch9wavefront6targetE0EEEvSK_,"axG",@progbits,_ZN7rocprim17ROCPRIM_400000_NS6detail17trampoline_kernelINS0_14default_configENS1_36segmented_radix_sort_config_selectorIhlEEZNS1_25segmented_radix_sort_implIS3_Lb1EPKhPhPKlPlN2at6native12_GLOBAL__N_18offset_tEEE10hipError_tPvRmT1_PNSt15iterator_traitsISK_E10value_typeET2_T3_PNSL_ISQ_E10value_typeET4_jRbjT5_SW_jjP12ihipStream_tbEUlT_E1_NS1_11comp_targetILNS1_3genE5ELNS1_11target_archE942ELNS1_3gpuE9ELNS1_3repE0EEENS1_59segmented_radix_sort_warp_sort_small_config_static_selectorELNS0_4arch9wavefront6targetE0EEEvSK_,comdat
	.globl	_ZN7rocprim17ROCPRIM_400000_NS6detail17trampoline_kernelINS0_14default_configENS1_36segmented_radix_sort_config_selectorIhlEEZNS1_25segmented_radix_sort_implIS3_Lb1EPKhPhPKlPlN2at6native12_GLOBAL__N_18offset_tEEE10hipError_tPvRmT1_PNSt15iterator_traitsISK_E10value_typeET2_T3_PNSL_ISQ_E10value_typeET4_jRbjT5_SW_jjP12ihipStream_tbEUlT_E1_NS1_11comp_targetILNS1_3genE5ELNS1_11target_archE942ELNS1_3gpuE9ELNS1_3repE0EEENS1_59segmented_radix_sort_warp_sort_small_config_static_selectorELNS0_4arch9wavefront6targetE0EEEvSK_ ; -- Begin function _ZN7rocprim17ROCPRIM_400000_NS6detail17trampoline_kernelINS0_14default_configENS1_36segmented_radix_sort_config_selectorIhlEEZNS1_25segmented_radix_sort_implIS3_Lb1EPKhPhPKlPlN2at6native12_GLOBAL__N_18offset_tEEE10hipError_tPvRmT1_PNSt15iterator_traitsISK_E10value_typeET2_T3_PNSL_ISQ_E10value_typeET4_jRbjT5_SW_jjP12ihipStream_tbEUlT_E1_NS1_11comp_targetILNS1_3genE5ELNS1_11target_archE942ELNS1_3gpuE9ELNS1_3repE0EEENS1_59segmented_radix_sort_warp_sort_small_config_static_selectorELNS0_4arch9wavefront6targetE0EEEvSK_
	.p2align	8
	.type	_ZN7rocprim17ROCPRIM_400000_NS6detail17trampoline_kernelINS0_14default_configENS1_36segmented_radix_sort_config_selectorIhlEEZNS1_25segmented_radix_sort_implIS3_Lb1EPKhPhPKlPlN2at6native12_GLOBAL__N_18offset_tEEE10hipError_tPvRmT1_PNSt15iterator_traitsISK_E10value_typeET2_T3_PNSL_ISQ_E10value_typeET4_jRbjT5_SW_jjP12ihipStream_tbEUlT_E1_NS1_11comp_targetILNS1_3genE5ELNS1_11target_archE942ELNS1_3gpuE9ELNS1_3repE0EEENS1_59segmented_radix_sort_warp_sort_small_config_static_selectorELNS0_4arch9wavefront6targetE0EEEvSK_,@function
_ZN7rocprim17ROCPRIM_400000_NS6detail17trampoline_kernelINS0_14default_configENS1_36segmented_radix_sort_config_selectorIhlEEZNS1_25segmented_radix_sort_implIS3_Lb1EPKhPhPKlPlN2at6native12_GLOBAL__N_18offset_tEEE10hipError_tPvRmT1_PNSt15iterator_traitsISK_E10value_typeET2_T3_PNSL_ISQ_E10value_typeET4_jRbjT5_SW_jjP12ihipStream_tbEUlT_E1_NS1_11comp_targetILNS1_3genE5ELNS1_11target_archE942ELNS1_3gpuE9ELNS1_3repE0EEENS1_59segmented_radix_sort_warp_sort_small_config_static_selectorELNS0_4arch9wavefront6targetE0EEEvSK_: ; @_ZN7rocprim17ROCPRIM_400000_NS6detail17trampoline_kernelINS0_14default_configENS1_36segmented_radix_sort_config_selectorIhlEEZNS1_25segmented_radix_sort_implIS3_Lb1EPKhPhPKlPlN2at6native12_GLOBAL__N_18offset_tEEE10hipError_tPvRmT1_PNSt15iterator_traitsISK_E10value_typeET2_T3_PNSL_ISQ_E10value_typeET4_jRbjT5_SW_jjP12ihipStream_tbEUlT_E1_NS1_11comp_targetILNS1_3genE5ELNS1_11target_archE942ELNS1_3gpuE9ELNS1_3repE0EEENS1_59segmented_radix_sort_warp_sort_small_config_static_selectorELNS0_4arch9wavefront6targetE0EEEvSK_
; %bb.0:
	.section	.rodata,"a",@progbits
	.p2align	6, 0x0
	.amdhsa_kernel _ZN7rocprim17ROCPRIM_400000_NS6detail17trampoline_kernelINS0_14default_configENS1_36segmented_radix_sort_config_selectorIhlEEZNS1_25segmented_radix_sort_implIS3_Lb1EPKhPhPKlPlN2at6native12_GLOBAL__N_18offset_tEEE10hipError_tPvRmT1_PNSt15iterator_traitsISK_E10value_typeET2_T3_PNSL_ISQ_E10value_typeET4_jRbjT5_SW_jjP12ihipStream_tbEUlT_E1_NS1_11comp_targetILNS1_3genE5ELNS1_11target_archE942ELNS1_3gpuE9ELNS1_3repE0EEENS1_59segmented_radix_sort_warp_sort_small_config_static_selectorELNS0_4arch9wavefront6targetE0EEEvSK_
		.amdhsa_group_segment_fixed_size 0
		.amdhsa_private_segment_fixed_size 0
		.amdhsa_kernarg_size 88
		.amdhsa_user_sgpr_count 2
		.amdhsa_user_sgpr_dispatch_ptr 0
		.amdhsa_user_sgpr_queue_ptr 0
		.amdhsa_user_sgpr_kernarg_segment_ptr 1
		.amdhsa_user_sgpr_dispatch_id 0
		.amdhsa_user_sgpr_kernarg_preload_length 0
		.amdhsa_user_sgpr_kernarg_preload_offset 0
		.amdhsa_user_sgpr_private_segment_size 0
		.amdhsa_wavefront_size32 1
		.amdhsa_uses_dynamic_stack 0
		.amdhsa_enable_private_segment 0
		.amdhsa_system_sgpr_workgroup_id_x 1
		.amdhsa_system_sgpr_workgroup_id_y 0
		.amdhsa_system_sgpr_workgroup_id_z 0
		.amdhsa_system_sgpr_workgroup_info 0
		.amdhsa_system_vgpr_workitem_id 0
		.amdhsa_next_free_vgpr 1
		.amdhsa_next_free_sgpr 1
		.amdhsa_named_barrier_count 0
		.amdhsa_reserve_vcc 0
		.amdhsa_float_round_mode_32 0
		.amdhsa_float_round_mode_16_64 0
		.amdhsa_float_denorm_mode_32 3
		.amdhsa_float_denorm_mode_16_64 3
		.amdhsa_fp16_overflow 0
		.amdhsa_memory_ordered 1
		.amdhsa_forward_progress 1
		.amdhsa_inst_pref_size 0
		.amdhsa_round_robin_scheduling 0
		.amdhsa_exception_fp_ieee_invalid_op 0
		.amdhsa_exception_fp_denorm_src 0
		.amdhsa_exception_fp_ieee_div_zero 0
		.amdhsa_exception_fp_ieee_overflow 0
		.amdhsa_exception_fp_ieee_underflow 0
		.amdhsa_exception_fp_ieee_inexact 0
		.amdhsa_exception_int_div_zero 0
	.end_amdhsa_kernel
	.section	.text._ZN7rocprim17ROCPRIM_400000_NS6detail17trampoline_kernelINS0_14default_configENS1_36segmented_radix_sort_config_selectorIhlEEZNS1_25segmented_radix_sort_implIS3_Lb1EPKhPhPKlPlN2at6native12_GLOBAL__N_18offset_tEEE10hipError_tPvRmT1_PNSt15iterator_traitsISK_E10value_typeET2_T3_PNSL_ISQ_E10value_typeET4_jRbjT5_SW_jjP12ihipStream_tbEUlT_E1_NS1_11comp_targetILNS1_3genE5ELNS1_11target_archE942ELNS1_3gpuE9ELNS1_3repE0EEENS1_59segmented_radix_sort_warp_sort_small_config_static_selectorELNS0_4arch9wavefront6targetE0EEEvSK_,"axG",@progbits,_ZN7rocprim17ROCPRIM_400000_NS6detail17trampoline_kernelINS0_14default_configENS1_36segmented_radix_sort_config_selectorIhlEEZNS1_25segmented_radix_sort_implIS3_Lb1EPKhPhPKlPlN2at6native12_GLOBAL__N_18offset_tEEE10hipError_tPvRmT1_PNSt15iterator_traitsISK_E10value_typeET2_T3_PNSL_ISQ_E10value_typeET4_jRbjT5_SW_jjP12ihipStream_tbEUlT_E1_NS1_11comp_targetILNS1_3genE5ELNS1_11target_archE942ELNS1_3gpuE9ELNS1_3repE0EEENS1_59segmented_radix_sort_warp_sort_small_config_static_selectorELNS0_4arch9wavefront6targetE0EEEvSK_,comdat
.Lfunc_end104:
	.size	_ZN7rocprim17ROCPRIM_400000_NS6detail17trampoline_kernelINS0_14default_configENS1_36segmented_radix_sort_config_selectorIhlEEZNS1_25segmented_radix_sort_implIS3_Lb1EPKhPhPKlPlN2at6native12_GLOBAL__N_18offset_tEEE10hipError_tPvRmT1_PNSt15iterator_traitsISK_E10value_typeET2_T3_PNSL_ISQ_E10value_typeET4_jRbjT5_SW_jjP12ihipStream_tbEUlT_E1_NS1_11comp_targetILNS1_3genE5ELNS1_11target_archE942ELNS1_3gpuE9ELNS1_3repE0EEENS1_59segmented_radix_sort_warp_sort_small_config_static_selectorELNS0_4arch9wavefront6targetE0EEEvSK_, .Lfunc_end104-_ZN7rocprim17ROCPRIM_400000_NS6detail17trampoline_kernelINS0_14default_configENS1_36segmented_radix_sort_config_selectorIhlEEZNS1_25segmented_radix_sort_implIS3_Lb1EPKhPhPKlPlN2at6native12_GLOBAL__N_18offset_tEEE10hipError_tPvRmT1_PNSt15iterator_traitsISK_E10value_typeET2_T3_PNSL_ISQ_E10value_typeET4_jRbjT5_SW_jjP12ihipStream_tbEUlT_E1_NS1_11comp_targetILNS1_3genE5ELNS1_11target_archE942ELNS1_3gpuE9ELNS1_3repE0EEENS1_59segmented_radix_sort_warp_sort_small_config_static_selectorELNS0_4arch9wavefront6targetE0EEEvSK_
                                        ; -- End function
	.set _ZN7rocprim17ROCPRIM_400000_NS6detail17trampoline_kernelINS0_14default_configENS1_36segmented_radix_sort_config_selectorIhlEEZNS1_25segmented_radix_sort_implIS3_Lb1EPKhPhPKlPlN2at6native12_GLOBAL__N_18offset_tEEE10hipError_tPvRmT1_PNSt15iterator_traitsISK_E10value_typeET2_T3_PNSL_ISQ_E10value_typeET4_jRbjT5_SW_jjP12ihipStream_tbEUlT_E1_NS1_11comp_targetILNS1_3genE5ELNS1_11target_archE942ELNS1_3gpuE9ELNS1_3repE0EEENS1_59segmented_radix_sort_warp_sort_small_config_static_selectorELNS0_4arch9wavefront6targetE0EEEvSK_.num_vgpr, 0
	.set _ZN7rocprim17ROCPRIM_400000_NS6detail17trampoline_kernelINS0_14default_configENS1_36segmented_radix_sort_config_selectorIhlEEZNS1_25segmented_radix_sort_implIS3_Lb1EPKhPhPKlPlN2at6native12_GLOBAL__N_18offset_tEEE10hipError_tPvRmT1_PNSt15iterator_traitsISK_E10value_typeET2_T3_PNSL_ISQ_E10value_typeET4_jRbjT5_SW_jjP12ihipStream_tbEUlT_E1_NS1_11comp_targetILNS1_3genE5ELNS1_11target_archE942ELNS1_3gpuE9ELNS1_3repE0EEENS1_59segmented_radix_sort_warp_sort_small_config_static_selectorELNS0_4arch9wavefront6targetE0EEEvSK_.num_agpr, 0
	.set _ZN7rocprim17ROCPRIM_400000_NS6detail17trampoline_kernelINS0_14default_configENS1_36segmented_radix_sort_config_selectorIhlEEZNS1_25segmented_radix_sort_implIS3_Lb1EPKhPhPKlPlN2at6native12_GLOBAL__N_18offset_tEEE10hipError_tPvRmT1_PNSt15iterator_traitsISK_E10value_typeET2_T3_PNSL_ISQ_E10value_typeET4_jRbjT5_SW_jjP12ihipStream_tbEUlT_E1_NS1_11comp_targetILNS1_3genE5ELNS1_11target_archE942ELNS1_3gpuE9ELNS1_3repE0EEENS1_59segmented_radix_sort_warp_sort_small_config_static_selectorELNS0_4arch9wavefront6targetE0EEEvSK_.numbered_sgpr, 0
	.set _ZN7rocprim17ROCPRIM_400000_NS6detail17trampoline_kernelINS0_14default_configENS1_36segmented_radix_sort_config_selectorIhlEEZNS1_25segmented_radix_sort_implIS3_Lb1EPKhPhPKlPlN2at6native12_GLOBAL__N_18offset_tEEE10hipError_tPvRmT1_PNSt15iterator_traitsISK_E10value_typeET2_T3_PNSL_ISQ_E10value_typeET4_jRbjT5_SW_jjP12ihipStream_tbEUlT_E1_NS1_11comp_targetILNS1_3genE5ELNS1_11target_archE942ELNS1_3gpuE9ELNS1_3repE0EEENS1_59segmented_radix_sort_warp_sort_small_config_static_selectorELNS0_4arch9wavefront6targetE0EEEvSK_.num_named_barrier, 0
	.set _ZN7rocprim17ROCPRIM_400000_NS6detail17trampoline_kernelINS0_14default_configENS1_36segmented_radix_sort_config_selectorIhlEEZNS1_25segmented_radix_sort_implIS3_Lb1EPKhPhPKlPlN2at6native12_GLOBAL__N_18offset_tEEE10hipError_tPvRmT1_PNSt15iterator_traitsISK_E10value_typeET2_T3_PNSL_ISQ_E10value_typeET4_jRbjT5_SW_jjP12ihipStream_tbEUlT_E1_NS1_11comp_targetILNS1_3genE5ELNS1_11target_archE942ELNS1_3gpuE9ELNS1_3repE0EEENS1_59segmented_radix_sort_warp_sort_small_config_static_selectorELNS0_4arch9wavefront6targetE0EEEvSK_.private_seg_size, 0
	.set _ZN7rocprim17ROCPRIM_400000_NS6detail17trampoline_kernelINS0_14default_configENS1_36segmented_radix_sort_config_selectorIhlEEZNS1_25segmented_radix_sort_implIS3_Lb1EPKhPhPKlPlN2at6native12_GLOBAL__N_18offset_tEEE10hipError_tPvRmT1_PNSt15iterator_traitsISK_E10value_typeET2_T3_PNSL_ISQ_E10value_typeET4_jRbjT5_SW_jjP12ihipStream_tbEUlT_E1_NS1_11comp_targetILNS1_3genE5ELNS1_11target_archE942ELNS1_3gpuE9ELNS1_3repE0EEENS1_59segmented_radix_sort_warp_sort_small_config_static_selectorELNS0_4arch9wavefront6targetE0EEEvSK_.uses_vcc, 0
	.set _ZN7rocprim17ROCPRIM_400000_NS6detail17trampoline_kernelINS0_14default_configENS1_36segmented_radix_sort_config_selectorIhlEEZNS1_25segmented_radix_sort_implIS3_Lb1EPKhPhPKlPlN2at6native12_GLOBAL__N_18offset_tEEE10hipError_tPvRmT1_PNSt15iterator_traitsISK_E10value_typeET2_T3_PNSL_ISQ_E10value_typeET4_jRbjT5_SW_jjP12ihipStream_tbEUlT_E1_NS1_11comp_targetILNS1_3genE5ELNS1_11target_archE942ELNS1_3gpuE9ELNS1_3repE0EEENS1_59segmented_radix_sort_warp_sort_small_config_static_selectorELNS0_4arch9wavefront6targetE0EEEvSK_.uses_flat_scratch, 0
	.set _ZN7rocprim17ROCPRIM_400000_NS6detail17trampoline_kernelINS0_14default_configENS1_36segmented_radix_sort_config_selectorIhlEEZNS1_25segmented_radix_sort_implIS3_Lb1EPKhPhPKlPlN2at6native12_GLOBAL__N_18offset_tEEE10hipError_tPvRmT1_PNSt15iterator_traitsISK_E10value_typeET2_T3_PNSL_ISQ_E10value_typeET4_jRbjT5_SW_jjP12ihipStream_tbEUlT_E1_NS1_11comp_targetILNS1_3genE5ELNS1_11target_archE942ELNS1_3gpuE9ELNS1_3repE0EEENS1_59segmented_radix_sort_warp_sort_small_config_static_selectorELNS0_4arch9wavefront6targetE0EEEvSK_.has_dyn_sized_stack, 0
	.set _ZN7rocprim17ROCPRIM_400000_NS6detail17trampoline_kernelINS0_14default_configENS1_36segmented_radix_sort_config_selectorIhlEEZNS1_25segmented_radix_sort_implIS3_Lb1EPKhPhPKlPlN2at6native12_GLOBAL__N_18offset_tEEE10hipError_tPvRmT1_PNSt15iterator_traitsISK_E10value_typeET2_T3_PNSL_ISQ_E10value_typeET4_jRbjT5_SW_jjP12ihipStream_tbEUlT_E1_NS1_11comp_targetILNS1_3genE5ELNS1_11target_archE942ELNS1_3gpuE9ELNS1_3repE0EEENS1_59segmented_radix_sort_warp_sort_small_config_static_selectorELNS0_4arch9wavefront6targetE0EEEvSK_.has_recursion, 0
	.set _ZN7rocprim17ROCPRIM_400000_NS6detail17trampoline_kernelINS0_14default_configENS1_36segmented_radix_sort_config_selectorIhlEEZNS1_25segmented_radix_sort_implIS3_Lb1EPKhPhPKlPlN2at6native12_GLOBAL__N_18offset_tEEE10hipError_tPvRmT1_PNSt15iterator_traitsISK_E10value_typeET2_T3_PNSL_ISQ_E10value_typeET4_jRbjT5_SW_jjP12ihipStream_tbEUlT_E1_NS1_11comp_targetILNS1_3genE5ELNS1_11target_archE942ELNS1_3gpuE9ELNS1_3repE0EEENS1_59segmented_radix_sort_warp_sort_small_config_static_selectorELNS0_4arch9wavefront6targetE0EEEvSK_.has_indirect_call, 0
	.section	.AMDGPU.csdata,"",@progbits
; Kernel info:
; codeLenInByte = 0
; TotalNumSgprs: 0
; NumVgprs: 0
; ScratchSize: 0
; MemoryBound: 0
; FloatMode: 240
; IeeeMode: 1
; LDSByteSize: 0 bytes/workgroup (compile time only)
; SGPRBlocks: 0
; VGPRBlocks: 0
; NumSGPRsForWavesPerEU: 1
; NumVGPRsForWavesPerEU: 1
; NamedBarCnt: 0
; Occupancy: 16
; WaveLimiterHint : 0
; COMPUTE_PGM_RSRC2:SCRATCH_EN: 0
; COMPUTE_PGM_RSRC2:USER_SGPR: 2
; COMPUTE_PGM_RSRC2:TRAP_HANDLER: 0
; COMPUTE_PGM_RSRC2:TGID_X_EN: 1
; COMPUTE_PGM_RSRC2:TGID_Y_EN: 0
; COMPUTE_PGM_RSRC2:TGID_Z_EN: 0
; COMPUTE_PGM_RSRC2:TIDIG_COMP_CNT: 0
	.section	.text._ZN7rocprim17ROCPRIM_400000_NS6detail17trampoline_kernelINS0_14default_configENS1_36segmented_radix_sort_config_selectorIhlEEZNS1_25segmented_radix_sort_implIS3_Lb1EPKhPhPKlPlN2at6native12_GLOBAL__N_18offset_tEEE10hipError_tPvRmT1_PNSt15iterator_traitsISK_E10value_typeET2_T3_PNSL_ISQ_E10value_typeET4_jRbjT5_SW_jjP12ihipStream_tbEUlT_E1_NS1_11comp_targetILNS1_3genE4ELNS1_11target_archE910ELNS1_3gpuE8ELNS1_3repE0EEENS1_59segmented_radix_sort_warp_sort_small_config_static_selectorELNS0_4arch9wavefront6targetE0EEEvSK_,"axG",@progbits,_ZN7rocprim17ROCPRIM_400000_NS6detail17trampoline_kernelINS0_14default_configENS1_36segmented_radix_sort_config_selectorIhlEEZNS1_25segmented_radix_sort_implIS3_Lb1EPKhPhPKlPlN2at6native12_GLOBAL__N_18offset_tEEE10hipError_tPvRmT1_PNSt15iterator_traitsISK_E10value_typeET2_T3_PNSL_ISQ_E10value_typeET4_jRbjT5_SW_jjP12ihipStream_tbEUlT_E1_NS1_11comp_targetILNS1_3genE4ELNS1_11target_archE910ELNS1_3gpuE8ELNS1_3repE0EEENS1_59segmented_radix_sort_warp_sort_small_config_static_selectorELNS0_4arch9wavefront6targetE0EEEvSK_,comdat
	.globl	_ZN7rocprim17ROCPRIM_400000_NS6detail17trampoline_kernelINS0_14default_configENS1_36segmented_radix_sort_config_selectorIhlEEZNS1_25segmented_radix_sort_implIS3_Lb1EPKhPhPKlPlN2at6native12_GLOBAL__N_18offset_tEEE10hipError_tPvRmT1_PNSt15iterator_traitsISK_E10value_typeET2_T3_PNSL_ISQ_E10value_typeET4_jRbjT5_SW_jjP12ihipStream_tbEUlT_E1_NS1_11comp_targetILNS1_3genE4ELNS1_11target_archE910ELNS1_3gpuE8ELNS1_3repE0EEENS1_59segmented_radix_sort_warp_sort_small_config_static_selectorELNS0_4arch9wavefront6targetE0EEEvSK_ ; -- Begin function _ZN7rocprim17ROCPRIM_400000_NS6detail17trampoline_kernelINS0_14default_configENS1_36segmented_radix_sort_config_selectorIhlEEZNS1_25segmented_radix_sort_implIS3_Lb1EPKhPhPKlPlN2at6native12_GLOBAL__N_18offset_tEEE10hipError_tPvRmT1_PNSt15iterator_traitsISK_E10value_typeET2_T3_PNSL_ISQ_E10value_typeET4_jRbjT5_SW_jjP12ihipStream_tbEUlT_E1_NS1_11comp_targetILNS1_3genE4ELNS1_11target_archE910ELNS1_3gpuE8ELNS1_3repE0EEENS1_59segmented_radix_sort_warp_sort_small_config_static_selectorELNS0_4arch9wavefront6targetE0EEEvSK_
	.p2align	8
	.type	_ZN7rocprim17ROCPRIM_400000_NS6detail17trampoline_kernelINS0_14default_configENS1_36segmented_radix_sort_config_selectorIhlEEZNS1_25segmented_radix_sort_implIS3_Lb1EPKhPhPKlPlN2at6native12_GLOBAL__N_18offset_tEEE10hipError_tPvRmT1_PNSt15iterator_traitsISK_E10value_typeET2_T3_PNSL_ISQ_E10value_typeET4_jRbjT5_SW_jjP12ihipStream_tbEUlT_E1_NS1_11comp_targetILNS1_3genE4ELNS1_11target_archE910ELNS1_3gpuE8ELNS1_3repE0EEENS1_59segmented_radix_sort_warp_sort_small_config_static_selectorELNS0_4arch9wavefront6targetE0EEEvSK_,@function
_ZN7rocprim17ROCPRIM_400000_NS6detail17trampoline_kernelINS0_14default_configENS1_36segmented_radix_sort_config_selectorIhlEEZNS1_25segmented_radix_sort_implIS3_Lb1EPKhPhPKlPlN2at6native12_GLOBAL__N_18offset_tEEE10hipError_tPvRmT1_PNSt15iterator_traitsISK_E10value_typeET2_T3_PNSL_ISQ_E10value_typeET4_jRbjT5_SW_jjP12ihipStream_tbEUlT_E1_NS1_11comp_targetILNS1_3genE4ELNS1_11target_archE910ELNS1_3gpuE8ELNS1_3repE0EEENS1_59segmented_radix_sort_warp_sort_small_config_static_selectorELNS0_4arch9wavefront6targetE0EEEvSK_: ; @_ZN7rocprim17ROCPRIM_400000_NS6detail17trampoline_kernelINS0_14default_configENS1_36segmented_radix_sort_config_selectorIhlEEZNS1_25segmented_radix_sort_implIS3_Lb1EPKhPhPKlPlN2at6native12_GLOBAL__N_18offset_tEEE10hipError_tPvRmT1_PNSt15iterator_traitsISK_E10value_typeET2_T3_PNSL_ISQ_E10value_typeET4_jRbjT5_SW_jjP12ihipStream_tbEUlT_E1_NS1_11comp_targetILNS1_3genE4ELNS1_11target_archE910ELNS1_3gpuE8ELNS1_3repE0EEENS1_59segmented_radix_sort_warp_sort_small_config_static_selectorELNS0_4arch9wavefront6targetE0EEEvSK_
; %bb.0:
	.section	.rodata,"a",@progbits
	.p2align	6, 0x0
	.amdhsa_kernel _ZN7rocprim17ROCPRIM_400000_NS6detail17trampoline_kernelINS0_14default_configENS1_36segmented_radix_sort_config_selectorIhlEEZNS1_25segmented_radix_sort_implIS3_Lb1EPKhPhPKlPlN2at6native12_GLOBAL__N_18offset_tEEE10hipError_tPvRmT1_PNSt15iterator_traitsISK_E10value_typeET2_T3_PNSL_ISQ_E10value_typeET4_jRbjT5_SW_jjP12ihipStream_tbEUlT_E1_NS1_11comp_targetILNS1_3genE4ELNS1_11target_archE910ELNS1_3gpuE8ELNS1_3repE0EEENS1_59segmented_radix_sort_warp_sort_small_config_static_selectorELNS0_4arch9wavefront6targetE0EEEvSK_
		.amdhsa_group_segment_fixed_size 0
		.amdhsa_private_segment_fixed_size 0
		.amdhsa_kernarg_size 88
		.amdhsa_user_sgpr_count 2
		.amdhsa_user_sgpr_dispatch_ptr 0
		.amdhsa_user_sgpr_queue_ptr 0
		.amdhsa_user_sgpr_kernarg_segment_ptr 1
		.amdhsa_user_sgpr_dispatch_id 0
		.amdhsa_user_sgpr_kernarg_preload_length 0
		.amdhsa_user_sgpr_kernarg_preload_offset 0
		.amdhsa_user_sgpr_private_segment_size 0
		.amdhsa_wavefront_size32 1
		.amdhsa_uses_dynamic_stack 0
		.amdhsa_enable_private_segment 0
		.amdhsa_system_sgpr_workgroup_id_x 1
		.amdhsa_system_sgpr_workgroup_id_y 0
		.amdhsa_system_sgpr_workgroup_id_z 0
		.amdhsa_system_sgpr_workgroup_info 0
		.amdhsa_system_vgpr_workitem_id 0
		.amdhsa_next_free_vgpr 1
		.amdhsa_next_free_sgpr 1
		.amdhsa_named_barrier_count 0
		.amdhsa_reserve_vcc 0
		.amdhsa_float_round_mode_32 0
		.amdhsa_float_round_mode_16_64 0
		.amdhsa_float_denorm_mode_32 3
		.amdhsa_float_denorm_mode_16_64 3
		.amdhsa_fp16_overflow 0
		.amdhsa_memory_ordered 1
		.amdhsa_forward_progress 1
		.amdhsa_inst_pref_size 0
		.amdhsa_round_robin_scheduling 0
		.amdhsa_exception_fp_ieee_invalid_op 0
		.amdhsa_exception_fp_denorm_src 0
		.amdhsa_exception_fp_ieee_div_zero 0
		.amdhsa_exception_fp_ieee_overflow 0
		.amdhsa_exception_fp_ieee_underflow 0
		.amdhsa_exception_fp_ieee_inexact 0
		.amdhsa_exception_int_div_zero 0
	.end_amdhsa_kernel
	.section	.text._ZN7rocprim17ROCPRIM_400000_NS6detail17trampoline_kernelINS0_14default_configENS1_36segmented_radix_sort_config_selectorIhlEEZNS1_25segmented_radix_sort_implIS3_Lb1EPKhPhPKlPlN2at6native12_GLOBAL__N_18offset_tEEE10hipError_tPvRmT1_PNSt15iterator_traitsISK_E10value_typeET2_T3_PNSL_ISQ_E10value_typeET4_jRbjT5_SW_jjP12ihipStream_tbEUlT_E1_NS1_11comp_targetILNS1_3genE4ELNS1_11target_archE910ELNS1_3gpuE8ELNS1_3repE0EEENS1_59segmented_radix_sort_warp_sort_small_config_static_selectorELNS0_4arch9wavefront6targetE0EEEvSK_,"axG",@progbits,_ZN7rocprim17ROCPRIM_400000_NS6detail17trampoline_kernelINS0_14default_configENS1_36segmented_radix_sort_config_selectorIhlEEZNS1_25segmented_radix_sort_implIS3_Lb1EPKhPhPKlPlN2at6native12_GLOBAL__N_18offset_tEEE10hipError_tPvRmT1_PNSt15iterator_traitsISK_E10value_typeET2_T3_PNSL_ISQ_E10value_typeET4_jRbjT5_SW_jjP12ihipStream_tbEUlT_E1_NS1_11comp_targetILNS1_3genE4ELNS1_11target_archE910ELNS1_3gpuE8ELNS1_3repE0EEENS1_59segmented_radix_sort_warp_sort_small_config_static_selectorELNS0_4arch9wavefront6targetE0EEEvSK_,comdat
.Lfunc_end105:
	.size	_ZN7rocprim17ROCPRIM_400000_NS6detail17trampoline_kernelINS0_14default_configENS1_36segmented_radix_sort_config_selectorIhlEEZNS1_25segmented_radix_sort_implIS3_Lb1EPKhPhPKlPlN2at6native12_GLOBAL__N_18offset_tEEE10hipError_tPvRmT1_PNSt15iterator_traitsISK_E10value_typeET2_T3_PNSL_ISQ_E10value_typeET4_jRbjT5_SW_jjP12ihipStream_tbEUlT_E1_NS1_11comp_targetILNS1_3genE4ELNS1_11target_archE910ELNS1_3gpuE8ELNS1_3repE0EEENS1_59segmented_radix_sort_warp_sort_small_config_static_selectorELNS0_4arch9wavefront6targetE0EEEvSK_, .Lfunc_end105-_ZN7rocprim17ROCPRIM_400000_NS6detail17trampoline_kernelINS0_14default_configENS1_36segmented_radix_sort_config_selectorIhlEEZNS1_25segmented_radix_sort_implIS3_Lb1EPKhPhPKlPlN2at6native12_GLOBAL__N_18offset_tEEE10hipError_tPvRmT1_PNSt15iterator_traitsISK_E10value_typeET2_T3_PNSL_ISQ_E10value_typeET4_jRbjT5_SW_jjP12ihipStream_tbEUlT_E1_NS1_11comp_targetILNS1_3genE4ELNS1_11target_archE910ELNS1_3gpuE8ELNS1_3repE0EEENS1_59segmented_radix_sort_warp_sort_small_config_static_selectorELNS0_4arch9wavefront6targetE0EEEvSK_
                                        ; -- End function
	.set _ZN7rocprim17ROCPRIM_400000_NS6detail17trampoline_kernelINS0_14default_configENS1_36segmented_radix_sort_config_selectorIhlEEZNS1_25segmented_radix_sort_implIS3_Lb1EPKhPhPKlPlN2at6native12_GLOBAL__N_18offset_tEEE10hipError_tPvRmT1_PNSt15iterator_traitsISK_E10value_typeET2_T3_PNSL_ISQ_E10value_typeET4_jRbjT5_SW_jjP12ihipStream_tbEUlT_E1_NS1_11comp_targetILNS1_3genE4ELNS1_11target_archE910ELNS1_3gpuE8ELNS1_3repE0EEENS1_59segmented_radix_sort_warp_sort_small_config_static_selectorELNS0_4arch9wavefront6targetE0EEEvSK_.num_vgpr, 0
	.set _ZN7rocprim17ROCPRIM_400000_NS6detail17trampoline_kernelINS0_14default_configENS1_36segmented_radix_sort_config_selectorIhlEEZNS1_25segmented_radix_sort_implIS3_Lb1EPKhPhPKlPlN2at6native12_GLOBAL__N_18offset_tEEE10hipError_tPvRmT1_PNSt15iterator_traitsISK_E10value_typeET2_T3_PNSL_ISQ_E10value_typeET4_jRbjT5_SW_jjP12ihipStream_tbEUlT_E1_NS1_11comp_targetILNS1_3genE4ELNS1_11target_archE910ELNS1_3gpuE8ELNS1_3repE0EEENS1_59segmented_radix_sort_warp_sort_small_config_static_selectorELNS0_4arch9wavefront6targetE0EEEvSK_.num_agpr, 0
	.set _ZN7rocprim17ROCPRIM_400000_NS6detail17trampoline_kernelINS0_14default_configENS1_36segmented_radix_sort_config_selectorIhlEEZNS1_25segmented_radix_sort_implIS3_Lb1EPKhPhPKlPlN2at6native12_GLOBAL__N_18offset_tEEE10hipError_tPvRmT1_PNSt15iterator_traitsISK_E10value_typeET2_T3_PNSL_ISQ_E10value_typeET4_jRbjT5_SW_jjP12ihipStream_tbEUlT_E1_NS1_11comp_targetILNS1_3genE4ELNS1_11target_archE910ELNS1_3gpuE8ELNS1_3repE0EEENS1_59segmented_radix_sort_warp_sort_small_config_static_selectorELNS0_4arch9wavefront6targetE0EEEvSK_.numbered_sgpr, 0
	.set _ZN7rocprim17ROCPRIM_400000_NS6detail17trampoline_kernelINS0_14default_configENS1_36segmented_radix_sort_config_selectorIhlEEZNS1_25segmented_radix_sort_implIS3_Lb1EPKhPhPKlPlN2at6native12_GLOBAL__N_18offset_tEEE10hipError_tPvRmT1_PNSt15iterator_traitsISK_E10value_typeET2_T3_PNSL_ISQ_E10value_typeET4_jRbjT5_SW_jjP12ihipStream_tbEUlT_E1_NS1_11comp_targetILNS1_3genE4ELNS1_11target_archE910ELNS1_3gpuE8ELNS1_3repE0EEENS1_59segmented_radix_sort_warp_sort_small_config_static_selectorELNS0_4arch9wavefront6targetE0EEEvSK_.num_named_barrier, 0
	.set _ZN7rocprim17ROCPRIM_400000_NS6detail17trampoline_kernelINS0_14default_configENS1_36segmented_radix_sort_config_selectorIhlEEZNS1_25segmented_radix_sort_implIS3_Lb1EPKhPhPKlPlN2at6native12_GLOBAL__N_18offset_tEEE10hipError_tPvRmT1_PNSt15iterator_traitsISK_E10value_typeET2_T3_PNSL_ISQ_E10value_typeET4_jRbjT5_SW_jjP12ihipStream_tbEUlT_E1_NS1_11comp_targetILNS1_3genE4ELNS1_11target_archE910ELNS1_3gpuE8ELNS1_3repE0EEENS1_59segmented_radix_sort_warp_sort_small_config_static_selectorELNS0_4arch9wavefront6targetE0EEEvSK_.private_seg_size, 0
	.set _ZN7rocprim17ROCPRIM_400000_NS6detail17trampoline_kernelINS0_14default_configENS1_36segmented_radix_sort_config_selectorIhlEEZNS1_25segmented_radix_sort_implIS3_Lb1EPKhPhPKlPlN2at6native12_GLOBAL__N_18offset_tEEE10hipError_tPvRmT1_PNSt15iterator_traitsISK_E10value_typeET2_T3_PNSL_ISQ_E10value_typeET4_jRbjT5_SW_jjP12ihipStream_tbEUlT_E1_NS1_11comp_targetILNS1_3genE4ELNS1_11target_archE910ELNS1_3gpuE8ELNS1_3repE0EEENS1_59segmented_radix_sort_warp_sort_small_config_static_selectorELNS0_4arch9wavefront6targetE0EEEvSK_.uses_vcc, 0
	.set _ZN7rocprim17ROCPRIM_400000_NS6detail17trampoline_kernelINS0_14default_configENS1_36segmented_radix_sort_config_selectorIhlEEZNS1_25segmented_radix_sort_implIS3_Lb1EPKhPhPKlPlN2at6native12_GLOBAL__N_18offset_tEEE10hipError_tPvRmT1_PNSt15iterator_traitsISK_E10value_typeET2_T3_PNSL_ISQ_E10value_typeET4_jRbjT5_SW_jjP12ihipStream_tbEUlT_E1_NS1_11comp_targetILNS1_3genE4ELNS1_11target_archE910ELNS1_3gpuE8ELNS1_3repE0EEENS1_59segmented_radix_sort_warp_sort_small_config_static_selectorELNS0_4arch9wavefront6targetE0EEEvSK_.uses_flat_scratch, 0
	.set _ZN7rocprim17ROCPRIM_400000_NS6detail17trampoline_kernelINS0_14default_configENS1_36segmented_radix_sort_config_selectorIhlEEZNS1_25segmented_radix_sort_implIS3_Lb1EPKhPhPKlPlN2at6native12_GLOBAL__N_18offset_tEEE10hipError_tPvRmT1_PNSt15iterator_traitsISK_E10value_typeET2_T3_PNSL_ISQ_E10value_typeET4_jRbjT5_SW_jjP12ihipStream_tbEUlT_E1_NS1_11comp_targetILNS1_3genE4ELNS1_11target_archE910ELNS1_3gpuE8ELNS1_3repE0EEENS1_59segmented_radix_sort_warp_sort_small_config_static_selectorELNS0_4arch9wavefront6targetE0EEEvSK_.has_dyn_sized_stack, 0
	.set _ZN7rocprim17ROCPRIM_400000_NS6detail17trampoline_kernelINS0_14default_configENS1_36segmented_radix_sort_config_selectorIhlEEZNS1_25segmented_radix_sort_implIS3_Lb1EPKhPhPKlPlN2at6native12_GLOBAL__N_18offset_tEEE10hipError_tPvRmT1_PNSt15iterator_traitsISK_E10value_typeET2_T3_PNSL_ISQ_E10value_typeET4_jRbjT5_SW_jjP12ihipStream_tbEUlT_E1_NS1_11comp_targetILNS1_3genE4ELNS1_11target_archE910ELNS1_3gpuE8ELNS1_3repE0EEENS1_59segmented_radix_sort_warp_sort_small_config_static_selectorELNS0_4arch9wavefront6targetE0EEEvSK_.has_recursion, 0
	.set _ZN7rocprim17ROCPRIM_400000_NS6detail17trampoline_kernelINS0_14default_configENS1_36segmented_radix_sort_config_selectorIhlEEZNS1_25segmented_radix_sort_implIS3_Lb1EPKhPhPKlPlN2at6native12_GLOBAL__N_18offset_tEEE10hipError_tPvRmT1_PNSt15iterator_traitsISK_E10value_typeET2_T3_PNSL_ISQ_E10value_typeET4_jRbjT5_SW_jjP12ihipStream_tbEUlT_E1_NS1_11comp_targetILNS1_3genE4ELNS1_11target_archE910ELNS1_3gpuE8ELNS1_3repE0EEENS1_59segmented_radix_sort_warp_sort_small_config_static_selectorELNS0_4arch9wavefront6targetE0EEEvSK_.has_indirect_call, 0
	.section	.AMDGPU.csdata,"",@progbits
; Kernel info:
; codeLenInByte = 0
; TotalNumSgprs: 0
; NumVgprs: 0
; ScratchSize: 0
; MemoryBound: 0
; FloatMode: 240
; IeeeMode: 1
; LDSByteSize: 0 bytes/workgroup (compile time only)
; SGPRBlocks: 0
; VGPRBlocks: 0
; NumSGPRsForWavesPerEU: 1
; NumVGPRsForWavesPerEU: 1
; NamedBarCnt: 0
; Occupancy: 16
; WaveLimiterHint : 0
; COMPUTE_PGM_RSRC2:SCRATCH_EN: 0
; COMPUTE_PGM_RSRC2:USER_SGPR: 2
; COMPUTE_PGM_RSRC2:TRAP_HANDLER: 0
; COMPUTE_PGM_RSRC2:TGID_X_EN: 1
; COMPUTE_PGM_RSRC2:TGID_Y_EN: 0
; COMPUTE_PGM_RSRC2:TGID_Z_EN: 0
; COMPUTE_PGM_RSRC2:TIDIG_COMP_CNT: 0
	.section	.text._ZN7rocprim17ROCPRIM_400000_NS6detail17trampoline_kernelINS0_14default_configENS1_36segmented_radix_sort_config_selectorIhlEEZNS1_25segmented_radix_sort_implIS3_Lb1EPKhPhPKlPlN2at6native12_GLOBAL__N_18offset_tEEE10hipError_tPvRmT1_PNSt15iterator_traitsISK_E10value_typeET2_T3_PNSL_ISQ_E10value_typeET4_jRbjT5_SW_jjP12ihipStream_tbEUlT_E1_NS1_11comp_targetILNS1_3genE3ELNS1_11target_archE908ELNS1_3gpuE7ELNS1_3repE0EEENS1_59segmented_radix_sort_warp_sort_small_config_static_selectorELNS0_4arch9wavefront6targetE0EEEvSK_,"axG",@progbits,_ZN7rocprim17ROCPRIM_400000_NS6detail17trampoline_kernelINS0_14default_configENS1_36segmented_radix_sort_config_selectorIhlEEZNS1_25segmented_radix_sort_implIS3_Lb1EPKhPhPKlPlN2at6native12_GLOBAL__N_18offset_tEEE10hipError_tPvRmT1_PNSt15iterator_traitsISK_E10value_typeET2_T3_PNSL_ISQ_E10value_typeET4_jRbjT5_SW_jjP12ihipStream_tbEUlT_E1_NS1_11comp_targetILNS1_3genE3ELNS1_11target_archE908ELNS1_3gpuE7ELNS1_3repE0EEENS1_59segmented_radix_sort_warp_sort_small_config_static_selectorELNS0_4arch9wavefront6targetE0EEEvSK_,comdat
	.globl	_ZN7rocprim17ROCPRIM_400000_NS6detail17trampoline_kernelINS0_14default_configENS1_36segmented_radix_sort_config_selectorIhlEEZNS1_25segmented_radix_sort_implIS3_Lb1EPKhPhPKlPlN2at6native12_GLOBAL__N_18offset_tEEE10hipError_tPvRmT1_PNSt15iterator_traitsISK_E10value_typeET2_T3_PNSL_ISQ_E10value_typeET4_jRbjT5_SW_jjP12ihipStream_tbEUlT_E1_NS1_11comp_targetILNS1_3genE3ELNS1_11target_archE908ELNS1_3gpuE7ELNS1_3repE0EEENS1_59segmented_radix_sort_warp_sort_small_config_static_selectorELNS0_4arch9wavefront6targetE0EEEvSK_ ; -- Begin function _ZN7rocprim17ROCPRIM_400000_NS6detail17trampoline_kernelINS0_14default_configENS1_36segmented_radix_sort_config_selectorIhlEEZNS1_25segmented_radix_sort_implIS3_Lb1EPKhPhPKlPlN2at6native12_GLOBAL__N_18offset_tEEE10hipError_tPvRmT1_PNSt15iterator_traitsISK_E10value_typeET2_T3_PNSL_ISQ_E10value_typeET4_jRbjT5_SW_jjP12ihipStream_tbEUlT_E1_NS1_11comp_targetILNS1_3genE3ELNS1_11target_archE908ELNS1_3gpuE7ELNS1_3repE0EEENS1_59segmented_radix_sort_warp_sort_small_config_static_selectorELNS0_4arch9wavefront6targetE0EEEvSK_
	.p2align	8
	.type	_ZN7rocprim17ROCPRIM_400000_NS6detail17trampoline_kernelINS0_14default_configENS1_36segmented_radix_sort_config_selectorIhlEEZNS1_25segmented_radix_sort_implIS3_Lb1EPKhPhPKlPlN2at6native12_GLOBAL__N_18offset_tEEE10hipError_tPvRmT1_PNSt15iterator_traitsISK_E10value_typeET2_T3_PNSL_ISQ_E10value_typeET4_jRbjT5_SW_jjP12ihipStream_tbEUlT_E1_NS1_11comp_targetILNS1_3genE3ELNS1_11target_archE908ELNS1_3gpuE7ELNS1_3repE0EEENS1_59segmented_radix_sort_warp_sort_small_config_static_selectorELNS0_4arch9wavefront6targetE0EEEvSK_,@function
_ZN7rocprim17ROCPRIM_400000_NS6detail17trampoline_kernelINS0_14default_configENS1_36segmented_radix_sort_config_selectorIhlEEZNS1_25segmented_radix_sort_implIS3_Lb1EPKhPhPKlPlN2at6native12_GLOBAL__N_18offset_tEEE10hipError_tPvRmT1_PNSt15iterator_traitsISK_E10value_typeET2_T3_PNSL_ISQ_E10value_typeET4_jRbjT5_SW_jjP12ihipStream_tbEUlT_E1_NS1_11comp_targetILNS1_3genE3ELNS1_11target_archE908ELNS1_3gpuE7ELNS1_3repE0EEENS1_59segmented_radix_sort_warp_sort_small_config_static_selectorELNS0_4arch9wavefront6targetE0EEEvSK_: ; @_ZN7rocprim17ROCPRIM_400000_NS6detail17trampoline_kernelINS0_14default_configENS1_36segmented_radix_sort_config_selectorIhlEEZNS1_25segmented_radix_sort_implIS3_Lb1EPKhPhPKlPlN2at6native12_GLOBAL__N_18offset_tEEE10hipError_tPvRmT1_PNSt15iterator_traitsISK_E10value_typeET2_T3_PNSL_ISQ_E10value_typeET4_jRbjT5_SW_jjP12ihipStream_tbEUlT_E1_NS1_11comp_targetILNS1_3genE3ELNS1_11target_archE908ELNS1_3gpuE7ELNS1_3repE0EEENS1_59segmented_radix_sort_warp_sort_small_config_static_selectorELNS0_4arch9wavefront6targetE0EEEvSK_
; %bb.0:
	.section	.rodata,"a",@progbits
	.p2align	6, 0x0
	.amdhsa_kernel _ZN7rocprim17ROCPRIM_400000_NS6detail17trampoline_kernelINS0_14default_configENS1_36segmented_radix_sort_config_selectorIhlEEZNS1_25segmented_radix_sort_implIS3_Lb1EPKhPhPKlPlN2at6native12_GLOBAL__N_18offset_tEEE10hipError_tPvRmT1_PNSt15iterator_traitsISK_E10value_typeET2_T3_PNSL_ISQ_E10value_typeET4_jRbjT5_SW_jjP12ihipStream_tbEUlT_E1_NS1_11comp_targetILNS1_3genE3ELNS1_11target_archE908ELNS1_3gpuE7ELNS1_3repE0EEENS1_59segmented_radix_sort_warp_sort_small_config_static_selectorELNS0_4arch9wavefront6targetE0EEEvSK_
		.amdhsa_group_segment_fixed_size 0
		.amdhsa_private_segment_fixed_size 0
		.amdhsa_kernarg_size 88
		.amdhsa_user_sgpr_count 2
		.amdhsa_user_sgpr_dispatch_ptr 0
		.amdhsa_user_sgpr_queue_ptr 0
		.amdhsa_user_sgpr_kernarg_segment_ptr 1
		.amdhsa_user_sgpr_dispatch_id 0
		.amdhsa_user_sgpr_kernarg_preload_length 0
		.amdhsa_user_sgpr_kernarg_preload_offset 0
		.amdhsa_user_sgpr_private_segment_size 0
		.amdhsa_wavefront_size32 1
		.amdhsa_uses_dynamic_stack 0
		.amdhsa_enable_private_segment 0
		.amdhsa_system_sgpr_workgroup_id_x 1
		.amdhsa_system_sgpr_workgroup_id_y 0
		.amdhsa_system_sgpr_workgroup_id_z 0
		.amdhsa_system_sgpr_workgroup_info 0
		.amdhsa_system_vgpr_workitem_id 0
		.amdhsa_next_free_vgpr 1
		.amdhsa_next_free_sgpr 1
		.amdhsa_named_barrier_count 0
		.amdhsa_reserve_vcc 0
		.amdhsa_float_round_mode_32 0
		.amdhsa_float_round_mode_16_64 0
		.amdhsa_float_denorm_mode_32 3
		.amdhsa_float_denorm_mode_16_64 3
		.amdhsa_fp16_overflow 0
		.amdhsa_memory_ordered 1
		.amdhsa_forward_progress 1
		.amdhsa_inst_pref_size 0
		.amdhsa_round_robin_scheduling 0
		.amdhsa_exception_fp_ieee_invalid_op 0
		.amdhsa_exception_fp_denorm_src 0
		.amdhsa_exception_fp_ieee_div_zero 0
		.amdhsa_exception_fp_ieee_overflow 0
		.amdhsa_exception_fp_ieee_underflow 0
		.amdhsa_exception_fp_ieee_inexact 0
		.amdhsa_exception_int_div_zero 0
	.end_amdhsa_kernel
	.section	.text._ZN7rocprim17ROCPRIM_400000_NS6detail17trampoline_kernelINS0_14default_configENS1_36segmented_radix_sort_config_selectorIhlEEZNS1_25segmented_radix_sort_implIS3_Lb1EPKhPhPKlPlN2at6native12_GLOBAL__N_18offset_tEEE10hipError_tPvRmT1_PNSt15iterator_traitsISK_E10value_typeET2_T3_PNSL_ISQ_E10value_typeET4_jRbjT5_SW_jjP12ihipStream_tbEUlT_E1_NS1_11comp_targetILNS1_3genE3ELNS1_11target_archE908ELNS1_3gpuE7ELNS1_3repE0EEENS1_59segmented_radix_sort_warp_sort_small_config_static_selectorELNS0_4arch9wavefront6targetE0EEEvSK_,"axG",@progbits,_ZN7rocprim17ROCPRIM_400000_NS6detail17trampoline_kernelINS0_14default_configENS1_36segmented_radix_sort_config_selectorIhlEEZNS1_25segmented_radix_sort_implIS3_Lb1EPKhPhPKlPlN2at6native12_GLOBAL__N_18offset_tEEE10hipError_tPvRmT1_PNSt15iterator_traitsISK_E10value_typeET2_T3_PNSL_ISQ_E10value_typeET4_jRbjT5_SW_jjP12ihipStream_tbEUlT_E1_NS1_11comp_targetILNS1_3genE3ELNS1_11target_archE908ELNS1_3gpuE7ELNS1_3repE0EEENS1_59segmented_radix_sort_warp_sort_small_config_static_selectorELNS0_4arch9wavefront6targetE0EEEvSK_,comdat
.Lfunc_end106:
	.size	_ZN7rocprim17ROCPRIM_400000_NS6detail17trampoline_kernelINS0_14default_configENS1_36segmented_radix_sort_config_selectorIhlEEZNS1_25segmented_radix_sort_implIS3_Lb1EPKhPhPKlPlN2at6native12_GLOBAL__N_18offset_tEEE10hipError_tPvRmT1_PNSt15iterator_traitsISK_E10value_typeET2_T3_PNSL_ISQ_E10value_typeET4_jRbjT5_SW_jjP12ihipStream_tbEUlT_E1_NS1_11comp_targetILNS1_3genE3ELNS1_11target_archE908ELNS1_3gpuE7ELNS1_3repE0EEENS1_59segmented_radix_sort_warp_sort_small_config_static_selectorELNS0_4arch9wavefront6targetE0EEEvSK_, .Lfunc_end106-_ZN7rocprim17ROCPRIM_400000_NS6detail17trampoline_kernelINS0_14default_configENS1_36segmented_radix_sort_config_selectorIhlEEZNS1_25segmented_radix_sort_implIS3_Lb1EPKhPhPKlPlN2at6native12_GLOBAL__N_18offset_tEEE10hipError_tPvRmT1_PNSt15iterator_traitsISK_E10value_typeET2_T3_PNSL_ISQ_E10value_typeET4_jRbjT5_SW_jjP12ihipStream_tbEUlT_E1_NS1_11comp_targetILNS1_3genE3ELNS1_11target_archE908ELNS1_3gpuE7ELNS1_3repE0EEENS1_59segmented_radix_sort_warp_sort_small_config_static_selectorELNS0_4arch9wavefront6targetE0EEEvSK_
                                        ; -- End function
	.set _ZN7rocprim17ROCPRIM_400000_NS6detail17trampoline_kernelINS0_14default_configENS1_36segmented_radix_sort_config_selectorIhlEEZNS1_25segmented_radix_sort_implIS3_Lb1EPKhPhPKlPlN2at6native12_GLOBAL__N_18offset_tEEE10hipError_tPvRmT1_PNSt15iterator_traitsISK_E10value_typeET2_T3_PNSL_ISQ_E10value_typeET4_jRbjT5_SW_jjP12ihipStream_tbEUlT_E1_NS1_11comp_targetILNS1_3genE3ELNS1_11target_archE908ELNS1_3gpuE7ELNS1_3repE0EEENS1_59segmented_radix_sort_warp_sort_small_config_static_selectorELNS0_4arch9wavefront6targetE0EEEvSK_.num_vgpr, 0
	.set _ZN7rocprim17ROCPRIM_400000_NS6detail17trampoline_kernelINS0_14default_configENS1_36segmented_radix_sort_config_selectorIhlEEZNS1_25segmented_radix_sort_implIS3_Lb1EPKhPhPKlPlN2at6native12_GLOBAL__N_18offset_tEEE10hipError_tPvRmT1_PNSt15iterator_traitsISK_E10value_typeET2_T3_PNSL_ISQ_E10value_typeET4_jRbjT5_SW_jjP12ihipStream_tbEUlT_E1_NS1_11comp_targetILNS1_3genE3ELNS1_11target_archE908ELNS1_3gpuE7ELNS1_3repE0EEENS1_59segmented_radix_sort_warp_sort_small_config_static_selectorELNS0_4arch9wavefront6targetE0EEEvSK_.num_agpr, 0
	.set _ZN7rocprim17ROCPRIM_400000_NS6detail17trampoline_kernelINS0_14default_configENS1_36segmented_radix_sort_config_selectorIhlEEZNS1_25segmented_radix_sort_implIS3_Lb1EPKhPhPKlPlN2at6native12_GLOBAL__N_18offset_tEEE10hipError_tPvRmT1_PNSt15iterator_traitsISK_E10value_typeET2_T3_PNSL_ISQ_E10value_typeET4_jRbjT5_SW_jjP12ihipStream_tbEUlT_E1_NS1_11comp_targetILNS1_3genE3ELNS1_11target_archE908ELNS1_3gpuE7ELNS1_3repE0EEENS1_59segmented_radix_sort_warp_sort_small_config_static_selectorELNS0_4arch9wavefront6targetE0EEEvSK_.numbered_sgpr, 0
	.set _ZN7rocprim17ROCPRIM_400000_NS6detail17trampoline_kernelINS0_14default_configENS1_36segmented_radix_sort_config_selectorIhlEEZNS1_25segmented_radix_sort_implIS3_Lb1EPKhPhPKlPlN2at6native12_GLOBAL__N_18offset_tEEE10hipError_tPvRmT1_PNSt15iterator_traitsISK_E10value_typeET2_T3_PNSL_ISQ_E10value_typeET4_jRbjT5_SW_jjP12ihipStream_tbEUlT_E1_NS1_11comp_targetILNS1_3genE3ELNS1_11target_archE908ELNS1_3gpuE7ELNS1_3repE0EEENS1_59segmented_radix_sort_warp_sort_small_config_static_selectorELNS0_4arch9wavefront6targetE0EEEvSK_.num_named_barrier, 0
	.set _ZN7rocprim17ROCPRIM_400000_NS6detail17trampoline_kernelINS0_14default_configENS1_36segmented_radix_sort_config_selectorIhlEEZNS1_25segmented_radix_sort_implIS3_Lb1EPKhPhPKlPlN2at6native12_GLOBAL__N_18offset_tEEE10hipError_tPvRmT1_PNSt15iterator_traitsISK_E10value_typeET2_T3_PNSL_ISQ_E10value_typeET4_jRbjT5_SW_jjP12ihipStream_tbEUlT_E1_NS1_11comp_targetILNS1_3genE3ELNS1_11target_archE908ELNS1_3gpuE7ELNS1_3repE0EEENS1_59segmented_radix_sort_warp_sort_small_config_static_selectorELNS0_4arch9wavefront6targetE0EEEvSK_.private_seg_size, 0
	.set _ZN7rocprim17ROCPRIM_400000_NS6detail17trampoline_kernelINS0_14default_configENS1_36segmented_radix_sort_config_selectorIhlEEZNS1_25segmented_radix_sort_implIS3_Lb1EPKhPhPKlPlN2at6native12_GLOBAL__N_18offset_tEEE10hipError_tPvRmT1_PNSt15iterator_traitsISK_E10value_typeET2_T3_PNSL_ISQ_E10value_typeET4_jRbjT5_SW_jjP12ihipStream_tbEUlT_E1_NS1_11comp_targetILNS1_3genE3ELNS1_11target_archE908ELNS1_3gpuE7ELNS1_3repE0EEENS1_59segmented_radix_sort_warp_sort_small_config_static_selectorELNS0_4arch9wavefront6targetE0EEEvSK_.uses_vcc, 0
	.set _ZN7rocprim17ROCPRIM_400000_NS6detail17trampoline_kernelINS0_14default_configENS1_36segmented_radix_sort_config_selectorIhlEEZNS1_25segmented_radix_sort_implIS3_Lb1EPKhPhPKlPlN2at6native12_GLOBAL__N_18offset_tEEE10hipError_tPvRmT1_PNSt15iterator_traitsISK_E10value_typeET2_T3_PNSL_ISQ_E10value_typeET4_jRbjT5_SW_jjP12ihipStream_tbEUlT_E1_NS1_11comp_targetILNS1_3genE3ELNS1_11target_archE908ELNS1_3gpuE7ELNS1_3repE0EEENS1_59segmented_radix_sort_warp_sort_small_config_static_selectorELNS0_4arch9wavefront6targetE0EEEvSK_.uses_flat_scratch, 0
	.set _ZN7rocprim17ROCPRIM_400000_NS6detail17trampoline_kernelINS0_14default_configENS1_36segmented_radix_sort_config_selectorIhlEEZNS1_25segmented_radix_sort_implIS3_Lb1EPKhPhPKlPlN2at6native12_GLOBAL__N_18offset_tEEE10hipError_tPvRmT1_PNSt15iterator_traitsISK_E10value_typeET2_T3_PNSL_ISQ_E10value_typeET4_jRbjT5_SW_jjP12ihipStream_tbEUlT_E1_NS1_11comp_targetILNS1_3genE3ELNS1_11target_archE908ELNS1_3gpuE7ELNS1_3repE0EEENS1_59segmented_radix_sort_warp_sort_small_config_static_selectorELNS0_4arch9wavefront6targetE0EEEvSK_.has_dyn_sized_stack, 0
	.set _ZN7rocprim17ROCPRIM_400000_NS6detail17trampoline_kernelINS0_14default_configENS1_36segmented_radix_sort_config_selectorIhlEEZNS1_25segmented_radix_sort_implIS3_Lb1EPKhPhPKlPlN2at6native12_GLOBAL__N_18offset_tEEE10hipError_tPvRmT1_PNSt15iterator_traitsISK_E10value_typeET2_T3_PNSL_ISQ_E10value_typeET4_jRbjT5_SW_jjP12ihipStream_tbEUlT_E1_NS1_11comp_targetILNS1_3genE3ELNS1_11target_archE908ELNS1_3gpuE7ELNS1_3repE0EEENS1_59segmented_radix_sort_warp_sort_small_config_static_selectorELNS0_4arch9wavefront6targetE0EEEvSK_.has_recursion, 0
	.set _ZN7rocprim17ROCPRIM_400000_NS6detail17trampoline_kernelINS0_14default_configENS1_36segmented_radix_sort_config_selectorIhlEEZNS1_25segmented_radix_sort_implIS3_Lb1EPKhPhPKlPlN2at6native12_GLOBAL__N_18offset_tEEE10hipError_tPvRmT1_PNSt15iterator_traitsISK_E10value_typeET2_T3_PNSL_ISQ_E10value_typeET4_jRbjT5_SW_jjP12ihipStream_tbEUlT_E1_NS1_11comp_targetILNS1_3genE3ELNS1_11target_archE908ELNS1_3gpuE7ELNS1_3repE0EEENS1_59segmented_radix_sort_warp_sort_small_config_static_selectorELNS0_4arch9wavefront6targetE0EEEvSK_.has_indirect_call, 0
	.section	.AMDGPU.csdata,"",@progbits
; Kernel info:
; codeLenInByte = 0
; TotalNumSgprs: 0
; NumVgprs: 0
; ScratchSize: 0
; MemoryBound: 0
; FloatMode: 240
; IeeeMode: 1
; LDSByteSize: 0 bytes/workgroup (compile time only)
; SGPRBlocks: 0
; VGPRBlocks: 0
; NumSGPRsForWavesPerEU: 1
; NumVGPRsForWavesPerEU: 1
; NamedBarCnt: 0
; Occupancy: 16
; WaveLimiterHint : 0
; COMPUTE_PGM_RSRC2:SCRATCH_EN: 0
; COMPUTE_PGM_RSRC2:USER_SGPR: 2
; COMPUTE_PGM_RSRC2:TRAP_HANDLER: 0
; COMPUTE_PGM_RSRC2:TGID_X_EN: 1
; COMPUTE_PGM_RSRC2:TGID_Y_EN: 0
; COMPUTE_PGM_RSRC2:TGID_Z_EN: 0
; COMPUTE_PGM_RSRC2:TIDIG_COMP_CNT: 0
	.section	.text._ZN7rocprim17ROCPRIM_400000_NS6detail17trampoline_kernelINS0_14default_configENS1_36segmented_radix_sort_config_selectorIhlEEZNS1_25segmented_radix_sort_implIS3_Lb1EPKhPhPKlPlN2at6native12_GLOBAL__N_18offset_tEEE10hipError_tPvRmT1_PNSt15iterator_traitsISK_E10value_typeET2_T3_PNSL_ISQ_E10value_typeET4_jRbjT5_SW_jjP12ihipStream_tbEUlT_E1_NS1_11comp_targetILNS1_3genE2ELNS1_11target_archE906ELNS1_3gpuE6ELNS1_3repE0EEENS1_59segmented_radix_sort_warp_sort_small_config_static_selectorELNS0_4arch9wavefront6targetE0EEEvSK_,"axG",@progbits,_ZN7rocprim17ROCPRIM_400000_NS6detail17trampoline_kernelINS0_14default_configENS1_36segmented_radix_sort_config_selectorIhlEEZNS1_25segmented_radix_sort_implIS3_Lb1EPKhPhPKlPlN2at6native12_GLOBAL__N_18offset_tEEE10hipError_tPvRmT1_PNSt15iterator_traitsISK_E10value_typeET2_T3_PNSL_ISQ_E10value_typeET4_jRbjT5_SW_jjP12ihipStream_tbEUlT_E1_NS1_11comp_targetILNS1_3genE2ELNS1_11target_archE906ELNS1_3gpuE6ELNS1_3repE0EEENS1_59segmented_radix_sort_warp_sort_small_config_static_selectorELNS0_4arch9wavefront6targetE0EEEvSK_,comdat
	.globl	_ZN7rocprim17ROCPRIM_400000_NS6detail17trampoline_kernelINS0_14default_configENS1_36segmented_radix_sort_config_selectorIhlEEZNS1_25segmented_radix_sort_implIS3_Lb1EPKhPhPKlPlN2at6native12_GLOBAL__N_18offset_tEEE10hipError_tPvRmT1_PNSt15iterator_traitsISK_E10value_typeET2_T3_PNSL_ISQ_E10value_typeET4_jRbjT5_SW_jjP12ihipStream_tbEUlT_E1_NS1_11comp_targetILNS1_3genE2ELNS1_11target_archE906ELNS1_3gpuE6ELNS1_3repE0EEENS1_59segmented_radix_sort_warp_sort_small_config_static_selectorELNS0_4arch9wavefront6targetE0EEEvSK_ ; -- Begin function _ZN7rocprim17ROCPRIM_400000_NS6detail17trampoline_kernelINS0_14default_configENS1_36segmented_radix_sort_config_selectorIhlEEZNS1_25segmented_radix_sort_implIS3_Lb1EPKhPhPKlPlN2at6native12_GLOBAL__N_18offset_tEEE10hipError_tPvRmT1_PNSt15iterator_traitsISK_E10value_typeET2_T3_PNSL_ISQ_E10value_typeET4_jRbjT5_SW_jjP12ihipStream_tbEUlT_E1_NS1_11comp_targetILNS1_3genE2ELNS1_11target_archE906ELNS1_3gpuE6ELNS1_3repE0EEENS1_59segmented_radix_sort_warp_sort_small_config_static_selectorELNS0_4arch9wavefront6targetE0EEEvSK_
	.p2align	8
	.type	_ZN7rocprim17ROCPRIM_400000_NS6detail17trampoline_kernelINS0_14default_configENS1_36segmented_radix_sort_config_selectorIhlEEZNS1_25segmented_radix_sort_implIS3_Lb1EPKhPhPKlPlN2at6native12_GLOBAL__N_18offset_tEEE10hipError_tPvRmT1_PNSt15iterator_traitsISK_E10value_typeET2_T3_PNSL_ISQ_E10value_typeET4_jRbjT5_SW_jjP12ihipStream_tbEUlT_E1_NS1_11comp_targetILNS1_3genE2ELNS1_11target_archE906ELNS1_3gpuE6ELNS1_3repE0EEENS1_59segmented_radix_sort_warp_sort_small_config_static_selectorELNS0_4arch9wavefront6targetE0EEEvSK_,@function
_ZN7rocprim17ROCPRIM_400000_NS6detail17trampoline_kernelINS0_14default_configENS1_36segmented_radix_sort_config_selectorIhlEEZNS1_25segmented_radix_sort_implIS3_Lb1EPKhPhPKlPlN2at6native12_GLOBAL__N_18offset_tEEE10hipError_tPvRmT1_PNSt15iterator_traitsISK_E10value_typeET2_T3_PNSL_ISQ_E10value_typeET4_jRbjT5_SW_jjP12ihipStream_tbEUlT_E1_NS1_11comp_targetILNS1_3genE2ELNS1_11target_archE906ELNS1_3gpuE6ELNS1_3repE0EEENS1_59segmented_radix_sort_warp_sort_small_config_static_selectorELNS0_4arch9wavefront6targetE0EEEvSK_: ; @_ZN7rocprim17ROCPRIM_400000_NS6detail17trampoline_kernelINS0_14default_configENS1_36segmented_radix_sort_config_selectorIhlEEZNS1_25segmented_radix_sort_implIS3_Lb1EPKhPhPKlPlN2at6native12_GLOBAL__N_18offset_tEEE10hipError_tPvRmT1_PNSt15iterator_traitsISK_E10value_typeET2_T3_PNSL_ISQ_E10value_typeET4_jRbjT5_SW_jjP12ihipStream_tbEUlT_E1_NS1_11comp_targetILNS1_3genE2ELNS1_11target_archE906ELNS1_3gpuE6ELNS1_3repE0EEENS1_59segmented_radix_sort_warp_sort_small_config_static_selectorELNS0_4arch9wavefront6targetE0EEEvSK_
; %bb.0:
	.section	.rodata,"a",@progbits
	.p2align	6, 0x0
	.amdhsa_kernel _ZN7rocprim17ROCPRIM_400000_NS6detail17trampoline_kernelINS0_14default_configENS1_36segmented_radix_sort_config_selectorIhlEEZNS1_25segmented_radix_sort_implIS3_Lb1EPKhPhPKlPlN2at6native12_GLOBAL__N_18offset_tEEE10hipError_tPvRmT1_PNSt15iterator_traitsISK_E10value_typeET2_T3_PNSL_ISQ_E10value_typeET4_jRbjT5_SW_jjP12ihipStream_tbEUlT_E1_NS1_11comp_targetILNS1_3genE2ELNS1_11target_archE906ELNS1_3gpuE6ELNS1_3repE0EEENS1_59segmented_radix_sort_warp_sort_small_config_static_selectorELNS0_4arch9wavefront6targetE0EEEvSK_
		.amdhsa_group_segment_fixed_size 0
		.amdhsa_private_segment_fixed_size 0
		.amdhsa_kernarg_size 88
		.amdhsa_user_sgpr_count 2
		.amdhsa_user_sgpr_dispatch_ptr 0
		.amdhsa_user_sgpr_queue_ptr 0
		.amdhsa_user_sgpr_kernarg_segment_ptr 1
		.amdhsa_user_sgpr_dispatch_id 0
		.amdhsa_user_sgpr_kernarg_preload_length 0
		.amdhsa_user_sgpr_kernarg_preload_offset 0
		.amdhsa_user_sgpr_private_segment_size 0
		.amdhsa_wavefront_size32 1
		.amdhsa_uses_dynamic_stack 0
		.amdhsa_enable_private_segment 0
		.amdhsa_system_sgpr_workgroup_id_x 1
		.amdhsa_system_sgpr_workgroup_id_y 0
		.amdhsa_system_sgpr_workgroup_id_z 0
		.amdhsa_system_sgpr_workgroup_info 0
		.amdhsa_system_vgpr_workitem_id 0
		.amdhsa_next_free_vgpr 1
		.amdhsa_next_free_sgpr 1
		.amdhsa_named_barrier_count 0
		.amdhsa_reserve_vcc 0
		.amdhsa_float_round_mode_32 0
		.amdhsa_float_round_mode_16_64 0
		.amdhsa_float_denorm_mode_32 3
		.amdhsa_float_denorm_mode_16_64 3
		.amdhsa_fp16_overflow 0
		.amdhsa_memory_ordered 1
		.amdhsa_forward_progress 1
		.amdhsa_inst_pref_size 0
		.amdhsa_round_robin_scheduling 0
		.amdhsa_exception_fp_ieee_invalid_op 0
		.amdhsa_exception_fp_denorm_src 0
		.amdhsa_exception_fp_ieee_div_zero 0
		.amdhsa_exception_fp_ieee_overflow 0
		.amdhsa_exception_fp_ieee_underflow 0
		.amdhsa_exception_fp_ieee_inexact 0
		.amdhsa_exception_int_div_zero 0
	.end_amdhsa_kernel
	.section	.text._ZN7rocprim17ROCPRIM_400000_NS6detail17trampoline_kernelINS0_14default_configENS1_36segmented_radix_sort_config_selectorIhlEEZNS1_25segmented_radix_sort_implIS3_Lb1EPKhPhPKlPlN2at6native12_GLOBAL__N_18offset_tEEE10hipError_tPvRmT1_PNSt15iterator_traitsISK_E10value_typeET2_T3_PNSL_ISQ_E10value_typeET4_jRbjT5_SW_jjP12ihipStream_tbEUlT_E1_NS1_11comp_targetILNS1_3genE2ELNS1_11target_archE906ELNS1_3gpuE6ELNS1_3repE0EEENS1_59segmented_radix_sort_warp_sort_small_config_static_selectorELNS0_4arch9wavefront6targetE0EEEvSK_,"axG",@progbits,_ZN7rocprim17ROCPRIM_400000_NS6detail17trampoline_kernelINS0_14default_configENS1_36segmented_radix_sort_config_selectorIhlEEZNS1_25segmented_radix_sort_implIS3_Lb1EPKhPhPKlPlN2at6native12_GLOBAL__N_18offset_tEEE10hipError_tPvRmT1_PNSt15iterator_traitsISK_E10value_typeET2_T3_PNSL_ISQ_E10value_typeET4_jRbjT5_SW_jjP12ihipStream_tbEUlT_E1_NS1_11comp_targetILNS1_3genE2ELNS1_11target_archE906ELNS1_3gpuE6ELNS1_3repE0EEENS1_59segmented_radix_sort_warp_sort_small_config_static_selectorELNS0_4arch9wavefront6targetE0EEEvSK_,comdat
.Lfunc_end107:
	.size	_ZN7rocprim17ROCPRIM_400000_NS6detail17trampoline_kernelINS0_14default_configENS1_36segmented_radix_sort_config_selectorIhlEEZNS1_25segmented_radix_sort_implIS3_Lb1EPKhPhPKlPlN2at6native12_GLOBAL__N_18offset_tEEE10hipError_tPvRmT1_PNSt15iterator_traitsISK_E10value_typeET2_T3_PNSL_ISQ_E10value_typeET4_jRbjT5_SW_jjP12ihipStream_tbEUlT_E1_NS1_11comp_targetILNS1_3genE2ELNS1_11target_archE906ELNS1_3gpuE6ELNS1_3repE0EEENS1_59segmented_radix_sort_warp_sort_small_config_static_selectorELNS0_4arch9wavefront6targetE0EEEvSK_, .Lfunc_end107-_ZN7rocprim17ROCPRIM_400000_NS6detail17trampoline_kernelINS0_14default_configENS1_36segmented_radix_sort_config_selectorIhlEEZNS1_25segmented_radix_sort_implIS3_Lb1EPKhPhPKlPlN2at6native12_GLOBAL__N_18offset_tEEE10hipError_tPvRmT1_PNSt15iterator_traitsISK_E10value_typeET2_T3_PNSL_ISQ_E10value_typeET4_jRbjT5_SW_jjP12ihipStream_tbEUlT_E1_NS1_11comp_targetILNS1_3genE2ELNS1_11target_archE906ELNS1_3gpuE6ELNS1_3repE0EEENS1_59segmented_radix_sort_warp_sort_small_config_static_selectorELNS0_4arch9wavefront6targetE0EEEvSK_
                                        ; -- End function
	.set _ZN7rocprim17ROCPRIM_400000_NS6detail17trampoline_kernelINS0_14default_configENS1_36segmented_radix_sort_config_selectorIhlEEZNS1_25segmented_radix_sort_implIS3_Lb1EPKhPhPKlPlN2at6native12_GLOBAL__N_18offset_tEEE10hipError_tPvRmT1_PNSt15iterator_traitsISK_E10value_typeET2_T3_PNSL_ISQ_E10value_typeET4_jRbjT5_SW_jjP12ihipStream_tbEUlT_E1_NS1_11comp_targetILNS1_3genE2ELNS1_11target_archE906ELNS1_3gpuE6ELNS1_3repE0EEENS1_59segmented_radix_sort_warp_sort_small_config_static_selectorELNS0_4arch9wavefront6targetE0EEEvSK_.num_vgpr, 0
	.set _ZN7rocprim17ROCPRIM_400000_NS6detail17trampoline_kernelINS0_14default_configENS1_36segmented_radix_sort_config_selectorIhlEEZNS1_25segmented_radix_sort_implIS3_Lb1EPKhPhPKlPlN2at6native12_GLOBAL__N_18offset_tEEE10hipError_tPvRmT1_PNSt15iterator_traitsISK_E10value_typeET2_T3_PNSL_ISQ_E10value_typeET4_jRbjT5_SW_jjP12ihipStream_tbEUlT_E1_NS1_11comp_targetILNS1_3genE2ELNS1_11target_archE906ELNS1_3gpuE6ELNS1_3repE0EEENS1_59segmented_radix_sort_warp_sort_small_config_static_selectorELNS0_4arch9wavefront6targetE0EEEvSK_.num_agpr, 0
	.set _ZN7rocprim17ROCPRIM_400000_NS6detail17trampoline_kernelINS0_14default_configENS1_36segmented_radix_sort_config_selectorIhlEEZNS1_25segmented_radix_sort_implIS3_Lb1EPKhPhPKlPlN2at6native12_GLOBAL__N_18offset_tEEE10hipError_tPvRmT1_PNSt15iterator_traitsISK_E10value_typeET2_T3_PNSL_ISQ_E10value_typeET4_jRbjT5_SW_jjP12ihipStream_tbEUlT_E1_NS1_11comp_targetILNS1_3genE2ELNS1_11target_archE906ELNS1_3gpuE6ELNS1_3repE0EEENS1_59segmented_radix_sort_warp_sort_small_config_static_selectorELNS0_4arch9wavefront6targetE0EEEvSK_.numbered_sgpr, 0
	.set _ZN7rocprim17ROCPRIM_400000_NS6detail17trampoline_kernelINS0_14default_configENS1_36segmented_radix_sort_config_selectorIhlEEZNS1_25segmented_radix_sort_implIS3_Lb1EPKhPhPKlPlN2at6native12_GLOBAL__N_18offset_tEEE10hipError_tPvRmT1_PNSt15iterator_traitsISK_E10value_typeET2_T3_PNSL_ISQ_E10value_typeET4_jRbjT5_SW_jjP12ihipStream_tbEUlT_E1_NS1_11comp_targetILNS1_3genE2ELNS1_11target_archE906ELNS1_3gpuE6ELNS1_3repE0EEENS1_59segmented_radix_sort_warp_sort_small_config_static_selectorELNS0_4arch9wavefront6targetE0EEEvSK_.num_named_barrier, 0
	.set _ZN7rocprim17ROCPRIM_400000_NS6detail17trampoline_kernelINS0_14default_configENS1_36segmented_radix_sort_config_selectorIhlEEZNS1_25segmented_radix_sort_implIS3_Lb1EPKhPhPKlPlN2at6native12_GLOBAL__N_18offset_tEEE10hipError_tPvRmT1_PNSt15iterator_traitsISK_E10value_typeET2_T3_PNSL_ISQ_E10value_typeET4_jRbjT5_SW_jjP12ihipStream_tbEUlT_E1_NS1_11comp_targetILNS1_3genE2ELNS1_11target_archE906ELNS1_3gpuE6ELNS1_3repE0EEENS1_59segmented_radix_sort_warp_sort_small_config_static_selectorELNS0_4arch9wavefront6targetE0EEEvSK_.private_seg_size, 0
	.set _ZN7rocprim17ROCPRIM_400000_NS6detail17trampoline_kernelINS0_14default_configENS1_36segmented_radix_sort_config_selectorIhlEEZNS1_25segmented_radix_sort_implIS3_Lb1EPKhPhPKlPlN2at6native12_GLOBAL__N_18offset_tEEE10hipError_tPvRmT1_PNSt15iterator_traitsISK_E10value_typeET2_T3_PNSL_ISQ_E10value_typeET4_jRbjT5_SW_jjP12ihipStream_tbEUlT_E1_NS1_11comp_targetILNS1_3genE2ELNS1_11target_archE906ELNS1_3gpuE6ELNS1_3repE0EEENS1_59segmented_radix_sort_warp_sort_small_config_static_selectorELNS0_4arch9wavefront6targetE0EEEvSK_.uses_vcc, 0
	.set _ZN7rocprim17ROCPRIM_400000_NS6detail17trampoline_kernelINS0_14default_configENS1_36segmented_radix_sort_config_selectorIhlEEZNS1_25segmented_radix_sort_implIS3_Lb1EPKhPhPKlPlN2at6native12_GLOBAL__N_18offset_tEEE10hipError_tPvRmT1_PNSt15iterator_traitsISK_E10value_typeET2_T3_PNSL_ISQ_E10value_typeET4_jRbjT5_SW_jjP12ihipStream_tbEUlT_E1_NS1_11comp_targetILNS1_3genE2ELNS1_11target_archE906ELNS1_3gpuE6ELNS1_3repE0EEENS1_59segmented_radix_sort_warp_sort_small_config_static_selectorELNS0_4arch9wavefront6targetE0EEEvSK_.uses_flat_scratch, 0
	.set _ZN7rocprim17ROCPRIM_400000_NS6detail17trampoline_kernelINS0_14default_configENS1_36segmented_radix_sort_config_selectorIhlEEZNS1_25segmented_radix_sort_implIS3_Lb1EPKhPhPKlPlN2at6native12_GLOBAL__N_18offset_tEEE10hipError_tPvRmT1_PNSt15iterator_traitsISK_E10value_typeET2_T3_PNSL_ISQ_E10value_typeET4_jRbjT5_SW_jjP12ihipStream_tbEUlT_E1_NS1_11comp_targetILNS1_3genE2ELNS1_11target_archE906ELNS1_3gpuE6ELNS1_3repE0EEENS1_59segmented_radix_sort_warp_sort_small_config_static_selectorELNS0_4arch9wavefront6targetE0EEEvSK_.has_dyn_sized_stack, 0
	.set _ZN7rocprim17ROCPRIM_400000_NS6detail17trampoline_kernelINS0_14default_configENS1_36segmented_radix_sort_config_selectorIhlEEZNS1_25segmented_radix_sort_implIS3_Lb1EPKhPhPKlPlN2at6native12_GLOBAL__N_18offset_tEEE10hipError_tPvRmT1_PNSt15iterator_traitsISK_E10value_typeET2_T3_PNSL_ISQ_E10value_typeET4_jRbjT5_SW_jjP12ihipStream_tbEUlT_E1_NS1_11comp_targetILNS1_3genE2ELNS1_11target_archE906ELNS1_3gpuE6ELNS1_3repE0EEENS1_59segmented_radix_sort_warp_sort_small_config_static_selectorELNS0_4arch9wavefront6targetE0EEEvSK_.has_recursion, 0
	.set _ZN7rocprim17ROCPRIM_400000_NS6detail17trampoline_kernelINS0_14default_configENS1_36segmented_radix_sort_config_selectorIhlEEZNS1_25segmented_radix_sort_implIS3_Lb1EPKhPhPKlPlN2at6native12_GLOBAL__N_18offset_tEEE10hipError_tPvRmT1_PNSt15iterator_traitsISK_E10value_typeET2_T3_PNSL_ISQ_E10value_typeET4_jRbjT5_SW_jjP12ihipStream_tbEUlT_E1_NS1_11comp_targetILNS1_3genE2ELNS1_11target_archE906ELNS1_3gpuE6ELNS1_3repE0EEENS1_59segmented_radix_sort_warp_sort_small_config_static_selectorELNS0_4arch9wavefront6targetE0EEEvSK_.has_indirect_call, 0
	.section	.AMDGPU.csdata,"",@progbits
; Kernel info:
; codeLenInByte = 0
; TotalNumSgprs: 0
; NumVgprs: 0
; ScratchSize: 0
; MemoryBound: 0
; FloatMode: 240
; IeeeMode: 1
; LDSByteSize: 0 bytes/workgroup (compile time only)
; SGPRBlocks: 0
; VGPRBlocks: 0
; NumSGPRsForWavesPerEU: 1
; NumVGPRsForWavesPerEU: 1
; NamedBarCnt: 0
; Occupancy: 16
; WaveLimiterHint : 0
; COMPUTE_PGM_RSRC2:SCRATCH_EN: 0
; COMPUTE_PGM_RSRC2:USER_SGPR: 2
; COMPUTE_PGM_RSRC2:TRAP_HANDLER: 0
; COMPUTE_PGM_RSRC2:TGID_X_EN: 1
; COMPUTE_PGM_RSRC2:TGID_Y_EN: 0
; COMPUTE_PGM_RSRC2:TGID_Z_EN: 0
; COMPUTE_PGM_RSRC2:TIDIG_COMP_CNT: 0
	.section	.text._ZN7rocprim17ROCPRIM_400000_NS6detail17trampoline_kernelINS0_14default_configENS1_36segmented_radix_sort_config_selectorIhlEEZNS1_25segmented_radix_sort_implIS3_Lb1EPKhPhPKlPlN2at6native12_GLOBAL__N_18offset_tEEE10hipError_tPvRmT1_PNSt15iterator_traitsISK_E10value_typeET2_T3_PNSL_ISQ_E10value_typeET4_jRbjT5_SW_jjP12ihipStream_tbEUlT_E1_NS1_11comp_targetILNS1_3genE10ELNS1_11target_archE1201ELNS1_3gpuE5ELNS1_3repE0EEENS1_59segmented_radix_sort_warp_sort_small_config_static_selectorELNS0_4arch9wavefront6targetE0EEEvSK_,"axG",@progbits,_ZN7rocprim17ROCPRIM_400000_NS6detail17trampoline_kernelINS0_14default_configENS1_36segmented_radix_sort_config_selectorIhlEEZNS1_25segmented_radix_sort_implIS3_Lb1EPKhPhPKlPlN2at6native12_GLOBAL__N_18offset_tEEE10hipError_tPvRmT1_PNSt15iterator_traitsISK_E10value_typeET2_T3_PNSL_ISQ_E10value_typeET4_jRbjT5_SW_jjP12ihipStream_tbEUlT_E1_NS1_11comp_targetILNS1_3genE10ELNS1_11target_archE1201ELNS1_3gpuE5ELNS1_3repE0EEENS1_59segmented_radix_sort_warp_sort_small_config_static_selectorELNS0_4arch9wavefront6targetE0EEEvSK_,comdat
	.globl	_ZN7rocprim17ROCPRIM_400000_NS6detail17trampoline_kernelINS0_14default_configENS1_36segmented_radix_sort_config_selectorIhlEEZNS1_25segmented_radix_sort_implIS3_Lb1EPKhPhPKlPlN2at6native12_GLOBAL__N_18offset_tEEE10hipError_tPvRmT1_PNSt15iterator_traitsISK_E10value_typeET2_T3_PNSL_ISQ_E10value_typeET4_jRbjT5_SW_jjP12ihipStream_tbEUlT_E1_NS1_11comp_targetILNS1_3genE10ELNS1_11target_archE1201ELNS1_3gpuE5ELNS1_3repE0EEENS1_59segmented_radix_sort_warp_sort_small_config_static_selectorELNS0_4arch9wavefront6targetE0EEEvSK_ ; -- Begin function _ZN7rocprim17ROCPRIM_400000_NS6detail17trampoline_kernelINS0_14default_configENS1_36segmented_radix_sort_config_selectorIhlEEZNS1_25segmented_radix_sort_implIS3_Lb1EPKhPhPKlPlN2at6native12_GLOBAL__N_18offset_tEEE10hipError_tPvRmT1_PNSt15iterator_traitsISK_E10value_typeET2_T3_PNSL_ISQ_E10value_typeET4_jRbjT5_SW_jjP12ihipStream_tbEUlT_E1_NS1_11comp_targetILNS1_3genE10ELNS1_11target_archE1201ELNS1_3gpuE5ELNS1_3repE0EEENS1_59segmented_radix_sort_warp_sort_small_config_static_selectorELNS0_4arch9wavefront6targetE0EEEvSK_
	.p2align	8
	.type	_ZN7rocprim17ROCPRIM_400000_NS6detail17trampoline_kernelINS0_14default_configENS1_36segmented_radix_sort_config_selectorIhlEEZNS1_25segmented_radix_sort_implIS3_Lb1EPKhPhPKlPlN2at6native12_GLOBAL__N_18offset_tEEE10hipError_tPvRmT1_PNSt15iterator_traitsISK_E10value_typeET2_T3_PNSL_ISQ_E10value_typeET4_jRbjT5_SW_jjP12ihipStream_tbEUlT_E1_NS1_11comp_targetILNS1_3genE10ELNS1_11target_archE1201ELNS1_3gpuE5ELNS1_3repE0EEENS1_59segmented_radix_sort_warp_sort_small_config_static_selectorELNS0_4arch9wavefront6targetE0EEEvSK_,@function
_ZN7rocprim17ROCPRIM_400000_NS6detail17trampoline_kernelINS0_14default_configENS1_36segmented_radix_sort_config_selectorIhlEEZNS1_25segmented_radix_sort_implIS3_Lb1EPKhPhPKlPlN2at6native12_GLOBAL__N_18offset_tEEE10hipError_tPvRmT1_PNSt15iterator_traitsISK_E10value_typeET2_T3_PNSL_ISQ_E10value_typeET4_jRbjT5_SW_jjP12ihipStream_tbEUlT_E1_NS1_11comp_targetILNS1_3genE10ELNS1_11target_archE1201ELNS1_3gpuE5ELNS1_3repE0EEENS1_59segmented_radix_sort_warp_sort_small_config_static_selectorELNS0_4arch9wavefront6targetE0EEEvSK_: ; @_ZN7rocprim17ROCPRIM_400000_NS6detail17trampoline_kernelINS0_14default_configENS1_36segmented_radix_sort_config_selectorIhlEEZNS1_25segmented_radix_sort_implIS3_Lb1EPKhPhPKlPlN2at6native12_GLOBAL__N_18offset_tEEE10hipError_tPvRmT1_PNSt15iterator_traitsISK_E10value_typeET2_T3_PNSL_ISQ_E10value_typeET4_jRbjT5_SW_jjP12ihipStream_tbEUlT_E1_NS1_11comp_targetILNS1_3genE10ELNS1_11target_archE1201ELNS1_3gpuE5ELNS1_3repE0EEENS1_59segmented_radix_sort_warp_sort_small_config_static_selectorELNS0_4arch9wavefront6targetE0EEEvSK_
; %bb.0:
	.section	.rodata,"a",@progbits
	.p2align	6, 0x0
	.amdhsa_kernel _ZN7rocprim17ROCPRIM_400000_NS6detail17trampoline_kernelINS0_14default_configENS1_36segmented_radix_sort_config_selectorIhlEEZNS1_25segmented_radix_sort_implIS3_Lb1EPKhPhPKlPlN2at6native12_GLOBAL__N_18offset_tEEE10hipError_tPvRmT1_PNSt15iterator_traitsISK_E10value_typeET2_T3_PNSL_ISQ_E10value_typeET4_jRbjT5_SW_jjP12ihipStream_tbEUlT_E1_NS1_11comp_targetILNS1_3genE10ELNS1_11target_archE1201ELNS1_3gpuE5ELNS1_3repE0EEENS1_59segmented_radix_sort_warp_sort_small_config_static_selectorELNS0_4arch9wavefront6targetE0EEEvSK_
		.amdhsa_group_segment_fixed_size 0
		.amdhsa_private_segment_fixed_size 0
		.amdhsa_kernarg_size 88
		.amdhsa_user_sgpr_count 2
		.amdhsa_user_sgpr_dispatch_ptr 0
		.amdhsa_user_sgpr_queue_ptr 0
		.amdhsa_user_sgpr_kernarg_segment_ptr 1
		.amdhsa_user_sgpr_dispatch_id 0
		.amdhsa_user_sgpr_kernarg_preload_length 0
		.amdhsa_user_sgpr_kernarg_preload_offset 0
		.amdhsa_user_sgpr_private_segment_size 0
		.amdhsa_wavefront_size32 1
		.amdhsa_uses_dynamic_stack 0
		.amdhsa_enable_private_segment 0
		.amdhsa_system_sgpr_workgroup_id_x 1
		.amdhsa_system_sgpr_workgroup_id_y 0
		.amdhsa_system_sgpr_workgroup_id_z 0
		.amdhsa_system_sgpr_workgroup_info 0
		.amdhsa_system_vgpr_workitem_id 0
		.amdhsa_next_free_vgpr 1
		.amdhsa_next_free_sgpr 1
		.amdhsa_named_barrier_count 0
		.amdhsa_reserve_vcc 0
		.amdhsa_float_round_mode_32 0
		.amdhsa_float_round_mode_16_64 0
		.amdhsa_float_denorm_mode_32 3
		.amdhsa_float_denorm_mode_16_64 3
		.amdhsa_fp16_overflow 0
		.amdhsa_memory_ordered 1
		.amdhsa_forward_progress 1
		.amdhsa_inst_pref_size 0
		.amdhsa_round_robin_scheduling 0
		.amdhsa_exception_fp_ieee_invalid_op 0
		.amdhsa_exception_fp_denorm_src 0
		.amdhsa_exception_fp_ieee_div_zero 0
		.amdhsa_exception_fp_ieee_overflow 0
		.amdhsa_exception_fp_ieee_underflow 0
		.amdhsa_exception_fp_ieee_inexact 0
		.amdhsa_exception_int_div_zero 0
	.end_amdhsa_kernel
	.section	.text._ZN7rocprim17ROCPRIM_400000_NS6detail17trampoline_kernelINS0_14default_configENS1_36segmented_radix_sort_config_selectorIhlEEZNS1_25segmented_radix_sort_implIS3_Lb1EPKhPhPKlPlN2at6native12_GLOBAL__N_18offset_tEEE10hipError_tPvRmT1_PNSt15iterator_traitsISK_E10value_typeET2_T3_PNSL_ISQ_E10value_typeET4_jRbjT5_SW_jjP12ihipStream_tbEUlT_E1_NS1_11comp_targetILNS1_3genE10ELNS1_11target_archE1201ELNS1_3gpuE5ELNS1_3repE0EEENS1_59segmented_radix_sort_warp_sort_small_config_static_selectorELNS0_4arch9wavefront6targetE0EEEvSK_,"axG",@progbits,_ZN7rocprim17ROCPRIM_400000_NS6detail17trampoline_kernelINS0_14default_configENS1_36segmented_radix_sort_config_selectorIhlEEZNS1_25segmented_radix_sort_implIS3_Lb1EPKhPhPKlPlN2at6native12_GLOBAL__N_18offset_tEEE10hipError_tPvRmT1_PNSt15iterator_traitsISK_E10value_typeET2_T3_PNSL_ISQ_E10value_typeET4_jRbjT5_SW_jjP12ihipStream_tbEUlT_E1_NS1_11comp_targetILNS1_3genE10ELNS1_11target_archE1201ELNS1_3gpuE5ELNS1_3repE0EEENS1_59segmented_radix_sort_warp_sort_small_config_static_selectorELNS0_4arch9wavefront6targetE0EEEvSK_,comdat
.Lfunc_end108:
	.size	_ZN7rocprim17ROCPRIM_400000_NS6detail17trampoline_kernelINS0_14default_configENS1_36segmented_radix_sort_config_selectorIhlEEZNS1_25segmented_radix_sort_implIS3_Lb1EPKhPhPKlPlN2at6native12_GLOBAL__N_18offset_tEEE10hipError_tPvRmT1_PNSt15iterator_traitsISK_E10value_typeET2_T3_PNSL_ISQ_E10value_typeET4_jRbjT5_SW_jjP12ihipStream_tbEUlT_E1_NS1_11comp_targetILNS1_3genE10ELNS1_11target_archE1201ELNS1_3gpuE5ELNS1_3repE0EEENS1_59segmented_radix_sort_warp_sort_small_config_static_selectorELNS0_4arch9wavefront6targetE0EEEvSK_, .Lfunc_end108-_ZN7rocprim17ROCPRIM_400000_NS6detail17trampoline_kernelINS0_14default_configENS1_36segmented_radix_sort_config_selectorIhlEEZNS1_25segmented_radix_sort_implIS3_Lb1EPKhPhPKlPlN2at6native12_GLOBAL__N_18offset_tEEE10hipError_tPvRmT1_PNSt15iterator_traitsISK_E10value_typeET2_T3_PNSL_ISQ_E10value_typeET4_jRbjT5_SW_jjP12ihipStream_tbEUlT_E1_NS1_11comp_targetILNS1_3genE10ELNS1_11target_archE1201ELNS1_3gpuE5ELNS1_3repE0EEENS1_59segmented_radix_sort_warp_sort_small_config_static_selectorELNS0_4arch9wavefront6targetE0EEEvSK_
                                        ; -- End function
	.set _ZN7rocprim17ROCPRIM_400000_NS6detail17trampoline_kernelINS0_14default_configENS1_36segmented_radix_sort_config_selectorIhlEEZNS1_25segmented_radix_sort_implIS3_Lb1EPKhPhPKlPlN2at6native12_GLOBAL__N_18offset_tEEE10hipError_tPvRmT1_PNSt15iterator_traitsISK_E10value_typeET2_T3_PNSL_ISQ_E10value_typeET4_jRbjT5_SW_jjP12ihipStream_tbEUlT_E1_NS1_11comp_targetILNS1_3genE10ELNS1_11target_archE1201ELNS1_3gpuE5ELNS1_3repE0EEENS1_59segmented_radix_sort_warp_sort_small_config_static_selectorELNS0_4arch9wavefront6targetE0EEEvSK_.num_vgpr, 0
	.set _ZN7rocprim17ROCPRIM_400000_NS6detail17trampoline_kernelINS0_14default_configENS1_36segmented_radix_sort_config_selectorIhlEEZNS1_25segmented_radix_sort_implIS3_Lb1EPKhPhPKlPlN2at6native12_GLOBAL__N_18offset_tEEE10hipError_tPvRmT1_PNSt15iterator_traitsISK_E10value_typeET2_T3_PNSL_ISQ_E10value_typeET4_jRbjT5_SW_jjP12ihipStream_tbEUlT_E1_NS1_11comp_targetILNS1_3genE10ELNS1_11target_archE1201ELNS1_3gpuE5ELNS1_3repE0EEENS1_59segmented_radix_sort_warp_sort_small_config_static_selectorELNS0_4arch9wavefront6targetE0EEEvSK_.num_agpr, 0
	.set _ZN7rocprim17ROCPRIM_400000_NS6detail17trampoline_kernelINS0_14default_configENS1_36segmented_radix_sort_config_selectorIhlEEZNS1_25segmented_radix_sort_implIS3_Lb1EPKhPhPKlPlN2at6native12_GLOBAL__N_18offset_tEEE10hipError_tPvRmT1_PNSt15iterator_traitsISK_E10value_typeET2_T3_PNSL_ISQ_E10value_typeET4_jRbjT5_SW_jjP12ihipStream_tbEUlT_E1_NS1_11comp_targetILNS1_3genE10ELNS1_11target_archE1201ELNS1_3gpuE5ELNS1_3repE0EEENS1_59segmented_radix_sort_warp_sort_small_config_static_selectorELNS0_4arch9wavefront6targetE0EEEvSK_.numbered_sgpr, 0
	.set _ZN7rocprim17ROCPRIM_400000_NS6detail17trampoline_kernelINS0_14default_configENS1_36segmented_radix_sort_config_selectorIhlEEZNS1_25segmented_radix_sort_implIS3_Lb1EPKhPhPKlPlN2at6native12_GLOBAL__N_18offset_tEEE10hipError_tPvRmT1_PNSt15iterator_traitsISK_E10value_typeET2_T3_PNSL_ISQ_E10value_typeET4_jRbjT5_SW_jjP12ihipStream_tbEUlT_E1_NS1_11comp_targetILNS1_3genE10ELNS1_11target_archE1201ELNS1_3gpuE5ELNS1_3repE0EEENS1_59segmented_radix_sort_warp_sort_small_config_static_selectorELNS0_4arch9wavefront6targetE0EEEvSK_.num_named_barrier, 0
	.set _ZN7rocprim17ROCPRIM_400000_NS6detail17trampoline_kernelINS0_14default_configENS1_36segmented_radix_sort_config_selectorIhlEEZNS1_25segmented_radix_sort_implIS3_Lb1EPKhPhPKlPlN2at6native12_GLOBAL__N_18offset_tEEE10hipError_tPvRmT1_PNSt15iterator_traitsISK_E10value_typeET2_T3_PNSL_ISQ_E10value_typeET4_jRbjT5_SW_jjP12ihipStream_tbEUlT_E1_NS1_11comp_targetILNS1_3genE10ELNS1_11target_archE1201ELNS1_3gpuE5ELNS1_3repE0EEENS1_59segmented_radix_sort_warp_sort_small_config_static_selectorELNS0_4arch9wavefront6targetE0EEEvSK_.private_seg_size, 0
	.set _ZN7rocprim17ROCPRIM_400000_NS6detail17trampoline_kernelINS0_14default_configENS1_36segmented_radix_sort_config_selectorIhlEEZNS1_25segmented_radix_sort_implIS3_Lb1EPKhPhPKlPlN2at6native12_GLOBAL__N_18offset_tEEE10hipError_tPvRmT1_PNSt15iterator_traitsISK_E10value_typeET2_T3_PNSL_ISQ_E10value_typeET4_jRbjT5_SW_jjP12ihipStream_tbEUlT_E1_NS1_11comp_targetILNS1_3genE10ELNS1_11target_archE1201ELNS1_3gpuE5ELNS1_3repE0EEENS1_59segmented_radix_sort_warp_sort_small_config_static_selectorELNS0_4arch9wavefront6targetE0EEEvSK_.uses_vcc, 0
	.set _ZN7rocprim17ROCPRIM_400000_NS6detail17trampoline_kernelINS0_14default_configENS1_36segmented_radix_sort_config_selectorIhlEEZNS1_25segmented_radix_sort_implIS3_Lb1EPKhPhPKlPlN2at6native12_GLOBAL__N_18offset_tEEE10hipError_tPvRmT1_PNSt15iterator_traitsISK_E10value_typeET2_T3_PNSL_ISQ_E10value_typeET4_jRbjT5_SW_jjP12ihipStream_tbEUlT_E1_NS1_11comp_targetILNS1_3genE10ELNS1_11target_archE1201ELNS1_3gpuE5ELNS1_3repE0EEENS1_59segmented_radix_sort_warp_sort_small_config_static_selectorELNS0_4arch9wavefront6targetE0EEEvSK_.uses_flat_scratch, 0
	.set _ZN7rocprim17ROCPRIM_400000_NS6detail17trampoline_kernelINS0_14default_configENS1_36segmented_radix_sort_config_selectorIhlEEZNS1_25segmented_radix_sort_implIS3_Lb1EPKhPhPKlPlN2at6native12_GLOBAL__N_18offset_tEEE10hipError_tPvRmT1_PNSt15iterator_traitsISK_E10value_typeET2_T3_PNSL_ISQ_E10value_typeET4_jRbjT5_SW_jjP12ihipStream_tbEUlT_E1_NS1_11comp_targetILNS1_3genE10ELNS1_11target_archE1201ELNS1_3gpuE5ELNS1_3repE0EEENS1_59segmented_radix_sort_warp_sort_small_config_static_selectorELNS0_4arch9wavefront6targetE0EEEvSK_.has_dyn_sized_stack, 0
	.set _ZN7rocprim17ROCPRIM_400000_NS6detail17trampoline_kernelINS0_14default_configENS1_36segmented_radix_sort_config_selectorIhlEEZNS1_25segmented_radix_sort_implIS3_Lb1EPKhPhPKlPlN2at6native12_GLOBAL__N_18offset_tEEE10hipError_tPvRmT1_PNSt15iterator_traitsISK_E10value_typeET2_T3_PNSL_ISQ_E10value_typeET4_jRbjT5_SW_jjP12ihipStream_tbEUlT_E1_NS1_11comp_targetILNS1_3genE10ELNS1_11target_archE1201ELNS1_3gpuE5ELNS1_3repE0EEENS1_59segmented_radix_sort_warp_sort_small_config_static_selectorELNS0_4arch9wavefront6targetE0EEEvSK_.has_recursion, 0
	.set _ZN7rocprim17ROCPRIM_400000_NS6detail17trampoline_kernelINS0_14default_configENS1_36segmented_radix_sort_config_selectorIhlEEZNS1_25segmented_radix_sort_implIS3_Lb1EPKhPhPKlPlN2at6native12_GLOBAL__N_18offset_tEEE10hipError_tPvRmT1_PNSt15iterator_traitsISK_E10value_typeET2_T3_PNSL_ISQ_E10value_typeET4_jRbjT5_SW_jjP12ihipStream_tbEUlT_E1_NS1_11comp_targetILNS1_3genE10ELNS1_11target_archE1201ELNS1_3gpuE5ELNS1_3repE0EEENS1_59segmented_radix_sort_warp_sort_small_config_static_selectorELNS0_4arch9wavefront6targetE0EEEvSK_.has_indirect_call, 0
	.section	.AMDGPU.csdata,"",@progbits
; Kernel info:
; codeLenInByte = 0
; TotalNumSgprs: 0
; NumVgprs: 0
; ScratchSize: 0
; MemoryBound: 0
; FloatMode: 240
; IeeeMode: 1
; LDSByteSize: 0 bytes/workgroup (compile time only)
; SGPRBlocks: 0
; VGPRBlocks: 0
; NumSGPRsForWavesPerEU: 1
; NumVGPRsForWavesPerEU: 1
; NamedBarCnt: 0
; Occupancy: 16
; WaveLimiterHint : 0
; COMPUTE_PGM_RSRC2:SCRATCH_EN: 0
; COMPUTE_PGM_RSRC2:USER_SGPR: 2
; COMPUTE_PGM_RSRC2:TRAP_HANDLER: 0
; COMPUTE_PGM_RSRC2:TGID_X_EN: 1
; COMPUTE_PGM_RSRC2:TGID_Y_EN: 0
; COMPUTE_PGM_RSRC2:TGID_Z_EN: 0
; COMPUTE_PGM_RSRC2:TIDIG_COMP_CNT: 0
	.section	.text._ZN7rocprim17ROCPRIM_400000_NS6detail17trampoline_kernelINS0_14default_configENS1_36segmented_radix_sort_config_selectorIhlEEZNS1_25segmented_radix_sort_implIS3_Lb1EPKhPhPKlPlN2at6native12_GLOBAL__N_18offset_tEEE10hipError_tPvRmT1_PNSt15iterator_traitsISK_E10value_typeET2_T3_PNSL_ISQ_E10value_typeET4_jRbjT5_SW_jjP12ihipStream_tbEUlT_E1_NS1_11comp_targetILNS1_3genE10ELNS1_11target_archE1200ELNS1_3gpuE4ELNS1_3repE0EEENS1_59segmented_radix_sort_warp_sort_small_config_static_selectorELNS0_4arch9wavefront6targetE0EEEvSK_,"axG",@progbits,_ZN7rocprim17ROCPRIM_400000_NS6detail17trampoline_kernelINS0_14default_configENS1_36segmented_radix_sort_config_selectorIhlEEZNS1_25segmented_radix_sort_implIS3_Lb1EPKhPhPKlPlN2at6native12_GLOBAL__N_18offset_tEEE10hipError_tPvRmT1_PNSt15iterator_traitsISK_E10value_typeET2_T3_PNSL_ISQ_E10value_typeET4_jRbjT5_SW_jjP12ihipStream_tbEUlT_E1_NS1_11comp_targetILNS1_3genE10ELNS1_11target_archE1200ELNS1_3gpuE4ELNS1_3repE0EEENS1_59segmented_radix_sort_warp_sort_small_config_static_selectorELNS0_4arch9wavefront6targetE0EEEvSK_,comdat
	.globl	_ZN7rocprim17ROCPRIM_400000_NS6detail17trampoline_kernelINS0_14default_configENS1_36segmented_radix_sort_config_selectorIhlEEZNS1_25segmented_radix_sort_implIS3_Lb1EPKhPhPKlPlN2at6native12_GLOBAL__N_18offset_tEEE10hipError_tPvRmT1_PNSt15iterator_traitsISK_E10value_typeET2_T3_PNSL_ISQ_E10value_typeET4_jRbjT5_SW_jjP12ihipStream_tbEUlT_E1_NS1_11comp_targetILNS1_3genE10ELNS1_11target_archE1200ELNS1_3gpuE4ELNS1_3repE0EEENS1_59segmented_radix_sort_warp_sort_small_config_static_selectorELNS0_4arch9wavefront6targetE0EEEvSK_ ; -- Begin function _ZN7rocprim17ROCPRIM_400000_NS6detail17trampoline_kernelINS0_14default_configENS1_36segmented_radix_sort_config_selectorIhlEEZNS1_25segmented_radix_sort_implIS3_Lb1EPKhPhPKlPlN2at6native12_GLOBAL__N_18offset_tEEE10hipError_tPvRmT1_PNSt15iterator_traitsISK_E10value_typeET2_T3_PNSL_ISQ_E10value_typeET4_jRbjT5_SW_jjP12ihipStream_tbEUlT_E1_NS1_11comp_targetILNS1_3genE10ELNS1_11target_archE1200ELNS1_3gpuE4ELNS1_3repE0EEENS1_59segmented_radix_sort_warp_sort_small_config_static_selectorELNS0_4arch9wavefront6targetE0EEEvSK_
	.p2align	8
	.type	_ZN7rocprim17ROCPRIM_400000_NS6detail17trampoline_kernelINS0_14default_configENS1_36segmented_radix_sort_config_selectorIhlEEZNS1_25segmented_radix_sort_implIS3_Lb1EPKhPhPKlPlN2at6native12_GLOBAL__N_18offset_tEEE10hipError_tPvRmT1_PNSt15iterator_traitsISK_E10value_typeET2_T3_PNSL_ISQ_E10value_typeET4_jRbjT5_SW_jjP12ihipStream_tbEUlT_E1_NS1_11comp_targetILNS1_3genE10ELNS1_11target_archE1200ELNS1_3gpuE4ELNS1_3repE0EEENS1_59segmented_radix_sort_warp_sort_small_config_static_selectorELNS0_4arch9wavefront6targetE0EEEvSK_,@function
_ZN7rocprim17ROCPRIM_400000_NS6detail17trampoline_kernelINS0_14default_configENS1_36segmented_radix_sort_config_selectorIhlEEZNS1_25segmented_radix_sort_implIS3_Lb1EPKhPhPKlPlN2at6native12_GLOBAL__N_18offset_tEEE10hipError_tPvRmT1_PNSt15iterator_traitsISK_E10value_typeET2_T3_PNSL_ISQ_E10value_typeET4_jRbjT5_SW_jjP12ihipStream_tbEUlT_E1_NS1_11comp_targetILNS1_3genE10ELNS1_11target_archE1200ELNS1_3gpuE4ELNS1_3repE0EEENS1_59segmented_radix_sort_warp_sort_small_config_static_selectorELNS0_4arch9wavefront6targetE0EEEvSK_: ; @_ZN7rocprim17ROCPRIM_400000_NS6detail17trampoline_kernelINS0_14default_configENS1_36segmented_radix_sort_config_selectorIhlEEZNS1_25segmented_radix_sort_implIS3_Lb1EPKhPhPKlPlN2at6native12_GLOBAL__N_18offset_tEEE10hipError_tPvRmT1_PNSt15iterator_traitsISK_E10value_typeET2_T3_PNSL_ISQ_E10value_typeET4_jRbjT5_SW_jjP12ihipStream_tbEUlT_E1_NS1_11comp_targetILNS1_3genE10ELNS1_11target_archE1200ELNS1_3gpuE4ELNS1_3repE0EEENS1_59segmented_radix_sort_warp_sort_small_config_static_selectorELNS0_4arch9wavefront6targetE0EEEvSK_
; %bb.0:
	.section	.rodata,"a",@progbits
	.p2align	6, 0x0
	.amdhsa_kernel _ZN7rocprim17ROCPRIM_400000_NS6detail17trampoline_kernelINS0_14default_configENS1_36segmented_radix_sort_config_selectorIhlEEZNS1_25segmented_radix_sort_implIS3_Lb1EPKhPhPKlPlN2at6native12_GLOBAL__N_18offset_tEEE10hipError_tPvRmT1_PNSt15iterator_traitsISK_E10value_typeET2_T3_PNSL_ISQ_E10value_typeET4_jRbjT5_SW_jjP12ihipStream_tbEUlT_E1_NS1_11comp_targetILNS1_3genE10ELNS1_11target_archE1200ELNS1_3gpuE4ELNS1_3repE0EEENS1_59segmented_radix_sort_warp_sort_small_config_static_selectorELNS0_4arch9wavefront6targetE0EEEvSK_
		.amdhsa_group_segment_fixed_size 0
		.amdhsa_private_segment_fixed_size 0
		.amdhsa_kernarg_size 88
		.amdhsa_user_sgpr_count 2
		.amdhsa_user_sgpr_dispatch_ptr 0
		.amdhsa_user_sgpr_queue_ptr 0
		.amdhsa_user_sgpr_kernarg_segment_ptr 1
		.amdhsa_user_sgpr_dispatch_id 0
		.amdhsa_user_sgpr_kernarg_preload_length 0
		.amdhsa_user_sgpr_kernarg_preload_offset 0
		.amdhsa_user_sgpr_private_segment_size 0
		.amdhsa_wavefront_size32 1
		.amdhsa_uses_dynamic_stack 0
		.amdhsa_enable_private_segment 0
		.amdhsa_system_sgpr_workgroup_id_x 1
		.amdhsa_system_sgpr_workgroup_id_y 0
		.amdhsa_system_sgpr_workgroup_id_z 0
		.amdhsa_system_sgpr_workgroup_info 0
		.amdhsa_system_vgpr_workitem_id 0
		.amdhsa_next_free_vgpr 1
		.amdhsa_next_free_sgpr 1
		.amdhsa_named_barrier_count 0
		.amdhsa_reserve_vcc 0
		.amdhsa_float_round_mode_32 0
		.amdhsa_float_round_mode_16_64 0
		.amdhsa_float_denorm_mode_32 3
		.amdhsa_float_denorm_mode_16_64 3
		.amdhsa_fp16_overflow 0
		.amdhsa_memory_ordered 1
		.amdhsa_forward_progress 1
		.amdhsa_inst_pref_size 0
		.amdhsa_round_robin_scheduling 0
		.amdhsa_exception_fp_ieee_invalid_op 0
		.amdhsa_exception_fp_denorm_src 0
		.amdhsa_exception_fp_ieee_div_zero 0
		.amdhsa_exception_fp_ieee_overflow 0
		.amdhsa_exception_fp_ieee_underflow 0
		.amdhsa_exception_fp_ieee_inexact 0
		.amdhsa_exception_int_div_zero 0
	.end_amdhsa_kernel
	.section	.text._ZN7rocprim17ROCPRIM_400000_NS6detail17trampoline_kernelINS0_14default_configENS1_36segmented_radix_sort_config_selectorIhlEEZNS1_25segmented_radix_sort_implIS3_Lb1EPKhPhPKlPlN2at6native12_GLOBAL__N_18offset_tEEE10hipError_tPvRmT1_PNSt15iterator_traitsISK_E10value_typeET2_T3_PNSL_ISQ_E10value_typeET4_jRbjT5_SW_jjP12ihipStream_tbEUlT_E1_NS1_11comp_targetILNS1_3genE10ELNS1_11target_archE1200ELNS1_3gpuE4ELNS1_3repE0EEENS1_59segmented_radix_sort_warp_sort_small_config_static_selectorELNS0_4arch9wavefront6targetE0EEEvSK_,"axG",@progbits,_ZN7rocprim17ROCPRIM_400000_NS6detail17trampoline_kernelINS0_14default_configENS1_36segmented_radix_sort_config_selectorIhlEEZNS1_25segmented_radix_sort_implIS3_Lb1EPKhPhPKlPlN2at6native12_GLOBAL__N_18offset_tEEE10hipError_tPvRmT1_PNSt15iterator_traitsISK_E10value_typeET2_T3_PNSL_ISQ_E10value_typeET4_jRbjT5_SW_jjP12ihipStream_tbEUlT_E1_NS1_11comp_targetILNS1_3genE10ELNS1_11target_archE1200ELNS1_3gpuE4ELNS1_3repE0EEENS1_59segmented_radix_sort_warp_sort_small_config_static_selectorELNS0_4arch9wavefront6targetE0EEEvSK_,comdat
.Lfunc_end109:
	.size	_ZN7rocprim17ROCPRIM_400000_NS6detail17trampoline_kernelINS0_14default_configENS1_36segmented_radix_sort_config_selectorIhlEEZNS1_25segmented_radix_sort_implIS3_Lb1EPKhPhPKlPlN2at6native12_GLOBAL__N_18offset_tEEE10hipError_tPvRmT1_PNSt15iterator_traitsISK_E10value_typeET2_T3_PNSL_ISQ_E10value_typeET4_jRbjT5_SW_jjP12ihipStream_tbEUlT_E1_NS1_11comp_targetILNS1_3genE10ELNS1_11target_archE1200ELNS1_3gpuE4ELNS1_3repE0EEENS1_59segmented_radix_sort_warp_sort_small_config_static_selectorELNS0_4arch9wavefront6targetE0EEEvSK_, .Lfunc_end109-_ZN7rocprim17ROCPRIM_400000_NS6detail17trampoline_kernelINS0_14default_configENS1_36segmented_radix_sort_config_selectorIhlEEZNS1_25segmented_radix_sort_implIS3_Lb1EPKhPhPKlPlN2at6native12_GLOBAL__N_18offset_tEEE10hipError_tPvRmT1_PNSt15iterator_traitsISK_E10value_typeET2_T3_PNSL_ISQ_E10value_typeET4_jRbjT5_SW_jjP12ihipStream_tbEUlT_E1_NS1_11comp_targetILNS1_3genE10ELNS1_11target_archE1200ELNS1_3gpuE4ELNS1_3repE0EEENS1_59segmented_radix_sort_warp_sort_small_config_static_selectorELNS0_4arch9wavefront6targetE0EEEvSK_
                                        ; -- End function
	.set _ZN7rocprim17ROCPRIM_400000_NS6detail17trampoline_kernelINS0_14default_configENS1_36segmented_radix_sort_config_selectorIhlEEZNS1_25segmented_radix_sort_implIS3_Lb1EPKhPhPKlPlN2at6native12_GLOBAL__N_18offset_tEEE10hipError_tPvRmT1_PNSt15iterator_traitsISK_E10value_typeET2_T3_PNSL_ISQ_E10value_typeET4_jRbjT5_SW_jjP12ihipStream_tbEUlT_E1_NS1_11comp_targetILNS1_3genE10ELNS1_11target_archE1200ELNS1_3gpuE4ELNS1_3repE0EEENS1_59segmented_radix_sort_warp_sort_small_config_static_selectorELNS0_4arch9wavefront6targetE0EEEvSK_.num_vgpr, 0
	.set _ZN7rocprim17ROCPRIM_400000_NS6detail17trampoline_kernelINS0_14default_configENS1_36segmented_radix_sort_config_selectorIhlEEZNS1_25segmented_radix_sort_implIS3_Lb1EPKhPhPKlPlN2at6native12_GLOBAL__N_18offset_tEEE10hipError_tPvRmT1_PNSt15iterator_traitsISK_E10value_typeET2_T3_PNSL_ISQ_E10value_typeET4_jRbjT5_SW_jjP12ihipStream_tbEUlT_E1_NS1_11comp_targetILNS1_3genE10ELNS1_11target_archE1200ELNS1_3gpuE4ELNS1_3repE0EEENS1_59segmented_radix_sort_warp_sort_small_config_static_selectorELNS0_4arch9wavefront6targetE0EEEvSK_.num_agpr, 0
	.set _ZN7rocprim17ROCPRIM_400000_NS6detail17trampoline_kernelINS0_14default_configENS1_36segmented_radix_sort_config_selectorIhlEEZNS1_25segmented_radix_sort_implIS3_Lb1EPKhPhPKlPlN2at6native12_GLOBAL__N_18offset_tEEE10hipError_tPvRmT1_PNSt15iterator_traitsISK_E10value_typeET2_T3_PNSL_ISQ_E10value_typeET4_jRbjT5_SW_jjP12ihipStream_tbEUlT_E1_NS1_11comp_targetILNS1_3genE10ELNS1_11target_archE1200ELNS1_3gpuE4ELNS1_3repE0EEENS1_59segmented_radix_sort_warp_sort_small_config_static_selectorELNS0_4arch9wavefront6targetE0EEEvSK_.numbered_sgpr, 0
	.set _ZN7rocprim17ROCPRIM_400000_NS6detail17trampoline_kernelINS0_14default_configENS1_36segmented_radix_sort_config_selectorIhlEEZNS1_25segmented_radix_sort_implIS3_Lb1EPKhPhPKlPlN2at6native12_GLOBAL__N_18offset_tEEE10hipError_tPvRmT1_PNSt15iterator_traitsISK_E10value_typeET2_T3_PNSL_ISQ_E10value_typeET4_jRbjT5_SW_jjP12ihipStream_tbEUlT_E1_NS1_11comp_targetILNS1_3genE10ELNS1_11target_archE1200ELNS1_3gpuE4ELNS1_3repE0EEENS1_59segmented_radix_sort_warp_sort_small_config_static_selectorELNS0_4arch9wavefront6targetE0EEEvSK_.num_named_barrier, 0
	.set _ZN7rocprim17ROCPRIM_400000_NS6detail17trampoline_kernelINS0_14default_configENS1_36segmented_radix_sort_config_selectorIhlEEZNS1_25segmented_radix_sort_implIS3_Lb1EPKhPhPKlPlN2at6native12_GLOBAL__N_18offset_tEEE10hipError_tPvRmT1_PNSt15iterator_traitsISK_E10value_typeET2_T3_PNSL_ISQ_E10value_typeET4_jRbjT5_SW_jjP12ihipStream_tbEUlT_E1_NS1_11comp_targetILNS1_3genE10ELNS1_11target_archE1200ELNS1_3gpuE4ELNS1_3repE0EEENS1_59segmented_radix_sort_warp_sort_small_config_static_selectorELNS0_4arch9wavefront6targetE0EEEvSK_.private_seg_size, 0
	.set _ZN7rocprim17ROCPRIM_400000_NS6detail17trampoline_kernelINS0_14default_configENS1_36segmented_radix_sort_config_selectorIhlEEZNS1_25segmented_radix_sort_implIS3_Lb1EPKhPhPKlPlN2at6native12_GLOBAL__N_18offset_tEEE10hipError_tPvRmT1_PNSt15iterator_traitsISK_E10value_typeET2_T3_PNSL_ISQ_E10value_typeET4_jRbjT5_SW_jjP12ihipStream_tbEUlT_E1_NS1_11comp_targetILNS1_3genE10ELNS1_11target_archE1200ELNS1_3gpuE4ELNS1_3repE0EEENS1_59segmented_radix_sort_warp_sort_small_config_static_selectorELNS0_4arch9wavefront6targetE0EEEvSK_.uses_vcc, 0
	.set _ZN7rocprim17ROCPRIM_400000_NS6detail17trampoline_kernelINS0_14default_configENS1_36segmented_radix_sort_config_selectorIhlEEZNS1_25segmented_radix_sort_implIS3_Lb1EPKhPhPKlPlN2at6native12_GLOBAL__N_18offset_tEEE10hipError_tPvRmT1_PNSt15iterator_traitsISK_E10value_typeET2_T3_PNSL_ISQ_E10value_typeET4_jRbjT5_SW_jjP12ihipStream_tbEUlT_E1_NS1_11comp_targetILNS1_3genE10ELNS1_11target_archE1200ELNS1_3gpuE4ELNS1_3repE0EEENS1_59segmented_radix_sort_warp_sort_small_config_static_selectorELNS0_4arch9wavefront6targetE0EEEvSK_.uses_flat_scratch, 0
	.set _ZN7rocprim17ROCPRIM_400000_NS6detail17trampoline_kernelINS0_14default_configENS1_36segmented_radix_sort_config_selectorIhlEEZNS1_25segmented_radix_sort_implIS3_Lb1EPKhPhPKlPlN2at6native12_GLOBAL__N_18offset_tEEE10hipError_tPvRmT1_PNSt15iterator_traitsISK_E10value_typeET2_T3_PNSL_ISQ_E10value_typeET4_jRbjT5_SW_jjP12ihipStream_tbEUlT_E1_NS1_11comp_targetILNS1_3genE10ELNS1_11target_archE1200ELNS1_3gpuE4ELNS1_3repE0EEENS1_59segmented_radix_sort_warp_sort_small_config_static_selectorELNS0_4arch9wavefront6targetE0EEEvSK_.has_dyn_sized_stack, 0
	.set _ZN7rocprim17ROCPRIM_400000_NS6detail17trampoline_kernelINS0_14default_configENS1_36segmented_radix_sort_config_selectorIhlEEZNS1_25segmented_radix_sort_implIS3_Lb1EPKhPhPKlPlN2at6native12_GLOBAL__N_18offset_tEEE10hipError_tPvRmT1_PNSt15iterator_traitsISK_E10value_typeET2_T3_PNSL_ISQ_E10value_typeET4_jRbjT5_SW_jjP12ihipStream_tbEUlT_E1_NS1_11comp_targetILNS1_3genE10ELNS1_11target_archE1200ELNS1_3gpuE4ELNS1_3repE0EEENS1_59segmented_radix_sort_warp_sort_small_config_static_selectorELNS0_4arch9wavefront6targetE0EEEvSK_.has_recursion, 0
	.set _ZN7rocprim17ROCPRIM_400000_NS6detail17trampoline_kernelINS0_14default_configENS1_36segmented_radix_sort_config_selectorIhlEEZNS1_25segmented_radix_sort_implIS3_Lb1EPKhPhPKlPlN2at6native12_GLOBAL__N_18offset_tEEE10hipError_tPvRmT1_PNSt15iterator_traitsISK_E10value_typeET2_T3_PNSL_ISQ_E10value_typeET4_jRbjT5_SW_jjP12ihipStream_tbEUlT_E1_NS1_11comp_targetILNS1_3genE10ELNS1_11target_archE1200ELNS1_3gpuE4ELNS1_3repE0EEENS1_59segmented_radix_sort_warp_sort_small_config_static_selectorELNS0_4arch9wavefront6targetE0EEEvSK_.has_indirect_call, 0
	.section	.AMDGPU.csdata,"",@progbits
; Kernel info:
; codeLenInByte = 0
; TotalNumSgprs: 0
; NumVgprs: 0
; ScratchSize: 0
; MemoryBound: 0
; FloatMode: 240
; IeeeMode: 1
; LDSByteSize: 0 bytes/workgroup (compile time only)
; SGPRBlocks: 0
; VGPRBlocks: 0
; NumSGPRsForWavesPerEU: 1
; NumVGPRsForWavesPerEU: 1
; NamedBarCnt: 0
; Occupancy: 16
; WaveLimiterHint : 0
; COMPUTE_PGM_RSRC2:SCRATCH_EN: 0
; COMPUTE_PGM_RSRC2:USER_SGPR: 2
; COMPUTE_PGM_RSRC2:TRAP_HANDLER: 0
; COMPUTE_PGM_RSRC2:TGID_X_EN: 1
; COMPUTE_PGM_RSRC2:TGID_Y_EN: 0
; COMPUTE_PGM_RSRC2:TGID_Z_EN: 0
; COMPUTE_PGM_RSRC2:TIDIG_COMP_CNT: 0
	.section	.text._ZN7rocprim17ROCPRIM_400000_NS6detail17trampoline_kernelINS0_14default_configENS1_36segmented_radix_sort_config_selectorIhlEEZNS1_25segmented_radix_sort_implIS3_Lb1EPKhPhPKlPlN2at6native12_GLOBAL__N_18offset_tEEE10hipError_tPvRmT1_PNSt15iterator_traitsISK_E10value_typeET2_T3_PNSL_ISQ_E10value_typeET4_jRbjT5_SW_jjP12ihipStream_tbEUlT_E1_NS1_11comp_targetILNS1_3genE9ELNS1_11target_archE1100ELNS1_3gpuE3ELNS1_3repE0EEENS1_59segmented_radix_sort_warp_sort_small_config_static_selectorELNS0_4arch9wavefront6targetE0EEEvSK_,"axG",@progbits,_ZN7rocprim17ROCPRIM_400000_NS6detail17trampoline_kernelINS0_14default_configENS1_36segmented_radix_sort_config_selectorIhlEEZNS1_25segmented_radix_sort_implIS3_Lb1EPKhPhPKlPlN2at6native12_GLOBAL__N_18offset_tEEE10hipError_tPvRmT1_PNSt15iterator_traitsISK_E10value_typeET2_T3_PNSL_ISQ_E10value_typeET4_jRbjT5_SW_jjP12ihipStream_tbEUlT_E1_NS1_11comp_targetILNS1_3genE9ELNS1_11target_archE1100ELNS1_3gpuE3ELNS1_3repE0EEENS1_59segmented_radix_sort_warp_sort_small_config_static_selectorELNS0_4arch9wavefront6targetE0EEEvSK_,comdat
	.globl	_ZN7rocprim17ROCPRIM_400000_NS6detail17trampoline_kernelINS0_14default_configENS1_36segmented_radix_sort_config_selectorIhlEEZNS1_25segmented_radix_sort_implIS3_Lb1EPKhPhPKlPlN2at6native12_GLOBAL__N_18offset_tEEE10hipError_tPvRmT1_PNSt15iterator_traitsISK_E10value_typeET2_T3_PNSL_ISQ_E10value_typeET4_jRbjT5_SW_jjP12ihipStream_tbEUlT_E1_NS1_11comp_targetILNS1_3genE9ELNS1_11target_archE1100ELNS1_3gpuE3ELNS1_3repE0EEENS1_59segmented_radix_sort_warp_sort_small_config_static_selectorELNS0_4arch9wavefront6targetE0EEEvSK_ ; -- Begin function _ZN7rocprim17ROCPRIM_400000_NS6detail17trampoline_kernelINS0_14default_configENS1_36segmented_radix_sort_config_selectorIhlEEZNS1_25segmented_radix_sort_implIS3_Lb1EPKhPhPKlPlN2at6native12_GLOBAL__N_18offset_tEEE10hipError_tPvRmT1_PNSt15iterator_traitsISK_E10value_typeET2_T3_PNSL_ISQ_E10value_typeET4_jRbjT5_SW_jjP12ihipStream_tbEUlT_E1_NS1_11comp_targetILNS1_3genE9ELNS1_11target_archE1100ELNS1_3gpuE3ELNS1_3repE0EEENS1_59segmented_radix_sort_warp_sort_small_config_static_selectorELNS0_4arch9wavefront6targetE0EEEvSK_
	.p2align	8
	.type	_ZN7rocprim17ROCPRIM_400000_NS6detail17trampoline_kernelINS0_14default_configENS1_36segmented_radix_sort_config_selectorIhlEEZNS1_25segmented_radix_sort_implIS3_Lb1EPKhPhPKlPlN2at6native12_GLOBAL__N_18offset_tEEE10hipError_tPvRmT1_PNSt15iterator_traitsISK_E10value_typeET2_T3_PNSL_ISQ_E10value_typeET4_jRbjT5_SW_jjP12ihipStream_tbEUlT_E1_NS1_11comp_targetILNS1_3genE9ELNS1_11target_archE1100ELNS1_3gpuE3ELNS1_3repE0EEENS1_59segmented_radix_sort_warp_sort_small_config_static_selectorELNS0_4arch9wavefront6targetE0EEEvSK_,@function
_ZN7rocprim17ROCPRIM_400000_NS6detail17trampoline_kernelINS0_14default_configENS1_36segmented_radix_sort_config_selectorIhlEEZNS1_25segmented_radix_sort_implIS3_Lb1EPKhPhPKlPlN2at6native12_GLOBAL__N_18offset_tEEE10hipError_tPvRmT1_PNSt15iterator_traitsISK_E10value_typeET2_T3_PNSL_ISQ_E10value_typeET4_jRbjT5_SW_jjP12ihipStream_tbEUlT_E1_NS1_11comp_targetILNS1_3genE9ELNS1_11target_archE1100ELNS1_3gpuE3ELNS1_3repE0EEENS1_59segmented_radix_sort_warp_sort_small_config_static_selectorELNS0_4arch9wavefront6targetE0EEEvSK_: ; @_ZN7rocprim17ROCPRIM_400000_NS6detail17trampoline_kernelINS0_14default_configENS1_36segmented_radix_sort_config_selectorIhlEEZNS1_25segmented_radix_sort_implIS3_Lb1EPKhPhPKlPlN2at6native12_GLOBAL__N_18offset_tEEE10hipError_tPvRmT1_PNSt15iterator_traitsISK_E10value_typeET2_T3_PNSL_ISQ_E10value_typeET4_jRbjT5_SW_jjP12ihipStream_tbEUlT_E1_NS1_11comp_targetILNS1_3genE9ELNS1_11target_archE1100ELNS1_3gpuE3ELNS1_3repE0EEENS1_59segmented_radix_sort_warp_sort_small_config_static_selectorELNS0_4arch9wavefront6targetE0EEEvSK_
; %bb.0:
	.section	.rodata,"a",@progbits
	.p2align	6, 0x0
	.amdhsa_kernel _ZN7rocprim17ROCPRIM_400000_NS6detail17trampoline_kernelINS0_14default_configENS1_36segmented_radix_sort_config_selectorIhlEEZNS1_25segmented_radix_sort_implIS3_Lb1EPKhPhPKlPlN2at6native12_GLOBAL__N_18offset_tEEE10hipError_tPvRmT1_PNSt15iterator_traitsISK_E10value_typeET2_T3_PNSL_ISQ_E10value_typeET4_jRbjT5_SW_jjP12ihipStream_tbEUlT_E1_NS1_11comp_targetILNS1_3genE9ELNS1_11target_archE1100ELNS1_3gpuE3ELNS1_3repE0EEENS1_59segmented_radix_sort_warp_sort_small_config_static_selectorELNS0_4arch9wavefront6targetE0EEEvSK_
		.amdhsa_group_segment_fixed_size 0
		.amdhsa_private_segment_fixed_size 0
		.amdhsa_kernarg_size 88
		.amdhsa_user_sgpr_count 2
		.amdhsa_user_sgpr_dispatch_ptr 0
		.amdhsa_user_sgpr_queue_ptr 0
		.amdhsa_user_sgpr_kernarg_segment_ptr 1
		.amdhsa_user_sgpr_dispatch_id 0
		.amdhsa_user_sgpr_kernarg_preload_length 0
		.amdhsa_user_sgpr_kernarg_preload_offset 0
		.amdhsa_user_sgpr_private_segment_size 0
		.amdhsa_wavefront_size32 1
		.amdhsa_uses_dynamic_stack 0
		.amdhsa_enable_private_segment 0
		.amdhsa_system_sgpr_workgroup_id_x 1
		.amdhsa_system_sgpr_workgroup_id_y 0
		.amdhsa_system_sgpr_workgroup_id_z 0
		.amdhsa_system_sgpr_workgroup_info 0
		.amdhsa_system_vgpr_workitem_id 0
		.amdhsa_next_free_vgpr 1
		.amdhsa_next_free_sgpr 1
		.amdhsa_named_barrier_count 0
		.amdhsa_reserve_vcc 0
		.amdhsa_float_round_mode_32 0
		.amdhsa_float_round_mode_16_64 0
		.amdhsa_float_denorm_mode_32 3
		.amdhsa_float_denorm_mode_16_64 3
		.amdhsa_fp16_overflow 0
		.amdhsa_memory_ordered 1
		.amdhsa_forward_progress 1
		.amdhsa_inst_pref_size 0
		.amdhsa_round_robin_scheduling 0
		.amdhsa_exception_fp_ieee_invalid_op 0
		.amdhsa_exception_fp_denorm_src 0
		.amdhsa_exception_fp_ieee_div_zero 0
		.amdhsa_exception_fp_ieee_overflow 0
		.amdhsa_exception_fp_ieee_underflow 0
		.amdhsa_exception_fp_ieee_inexact 0
		.amdhsa_exception_int_div_zero 0
	.end_amdhsa_kernel
	.section	.text._ZN7rocprim17ROCPRIM_400000_NS6detail17trampoline_kernelINS0_14default_configENS1_36segmented_radix_sort_config_selectorIhlEEZNS1_25segmented_radix_sort_implIS3_Lb1EPKhPhPKlPlN2at6native12_GLOBAL__N_18offset_tEEE10hipError_tPvRmT1_PNSt15iterator_traitsISK_E10value_typeET2_T3_PNSL_ISQ_E10value_typeET4_jRbjT5_SW_jjP12ihipStream_tbEUlT_E1_NS1_11comp_targetILNS1_3genE9ELNS1_11target_archE1100ELNS1_3gpuE3ELNS1_3repE0EEENS1_59segmented_radix_sort_warp_sort_small_config_static_selectorELNS0_4arch9wavefront6targetE0EEEvSK_,"axG",@progbits,_ZN7rocprim17ROCPRIM_400000_NS6detail17trampoline_kernelINS0_14default_configENS1_36segmented_radix_sort_config_selectorIhlEEZNS1_25segmented_radix_sort_implIS3_Lb1EPKhPhPKlPlN2at6native12_GLOBAL__N_18offset_tEEE10hipError_tPvRmT1_PNSt15iterator_traitsISK_E10value_typeET2_T3_PNSL_ISQ_E10value_typeET4_jRbjT5_SW_jjP12ihipStream_tbEUlT_E1_NS1_11comp_targetILNS1_3genE9ELNS1_11target_archE1100ELNS1_3gpuE3ELNS1_3repE0EEENS1_59segmented_radix_sort_warp_sort_small_config_static_selectorELNS0_4arch9wavefront6targetE0EEEvSK_,comdat
.Lfunc_end110:
	.size	_ZN7rocprim17ROCPRIM_400000_NS6detail17trampoline_kernelINS0_14default_configENS1_36segmented_radix_sort_config_selectorIhlEEZNS1_25segmented_radix_sort_implIS3_Lb1EPKhPhPKlPlN2at6native12_GLOBAL__N_18offset_tEEE10hipError_tPvRmT1_PNSt15iterator_traitsISK_E10value_typeET2_T3_PNSL_ISQ_E10value_typeET4_jRbjT5_SW_jjP12ihipStream_tbEUlT_E1_NS1_11comp_targetILNS1_3genE9ELNS1_11target_archE1100ELNS1_3gpuE3ELNS1_3repE0EEENS1_59segmented_radix_sort_warp_sort_small_config_static_selectorELNS0_4arch9wavefront6targetE0EEEvSK_, .Lfunc_end110-_ZN7rocprim17ROCPRIM_400000_NS6detail17trampoline_kernelINS0_14default_configENS1_36segmented_radix_sort_config_selectorIhlEEZNS1_25segmented_radix_sort_implIS3_Lb1EPKhPhPKlPlN2at6native12_GLOBAL__N_18offset_tEEE10hipError_tPvRmT1_PNSt15iterator_traitsISK_E10value_typeET2_T3_PNSL_ISQ_E10value_typeET4_jRbjT5_SW_jjP12ihipStream_tbEUlT_E1_NS1_11comp_targetILNS1_3genE9ELNS1_11target_archE1100ELNS1_3gpuE3ELNS1_3repE0EEENS1_59segmented_radix_sort_warp_sort_small_config_static_selectorELNS0_4arch9wavefront6targetE0EEEvSK_
                                        ; -- End function
	.set _ZN7rocprim17ROCPRIM_400000_NS6detail17trampoline_kernelINS0_14default_configENS1_36segmented_radix_sort_config_selectorIhlEEZNS1_25segmented_radix_sort_implIS3_Lb1EPKhPhPKlPlN2at6native12_GLOBAL__N_18offset_tEEE10hipError_tPvRmT1_PNSt15iterator_traitsISK_E10value_typeET2_T3_PNSL_ISQ_E10value_typeET4_jRbjT5_SW_jjP12ihipStream_tbEUlT_E1_NS1_11comp_targetILNS1_3genE9ELNS1_11target_archE1100ELNS1_3gpuE3ELNS1_3repE0EEENS1_59segmented_radix_sort_warp_sort_small_config_static_selectorELNS0_4arch9wavefront6targetE0EEEvSK_.num_vgpr, 0
	.set _ZN7rocprim17ROCPRIM_400000_NS6detail17trampoline_kernelINS0_14default_configENS1_36segmented_radix_sort_config_selectorIhlEEZNS1_25segmented_radix_sort_implIS3_Lb1EPKhPhPKlPlN2at6native12_GLOBAL__N_18offset_tEEE10hipError_tPvRmT1_PNSt15iterator_traitsISK_E10value_typeET2_T3_PNSL_ISQ_E10value_typeET4_jRbjT5_SW_jjP12ihipStream_tbEUlT_E1_NS1_11comp_targetILNS1_3genE9ELNS1_11target_archE1100ELNS1_3gpuE3ELNS1_3repE0EEENS1_59segmented_radix_sort_warp_sort_small_config_static_selectorELNS0_4arch9wavefront6targetE0EEEvSK_.num_agpr, 0
	.set _ZN7rocprim17ROCPRIM_400000_NS6detail17trampoline_kernelINS0_14default_configENS1_36segmented_radix_sort_config_selectorIhlEEZNS1_25segmented_radix_sort_implIS3_Lb1EPKhPhPKlPlN2at6native12_GLOBAL__N_18offset_tEEE10hipError_tPvRmT1_PNSt15iterator_traitsISK_E10value_typeET2_T3_PNSL_ISQ_E10value_typeET4_jRbjT5_SW_jjP12ihipStream_tbEUlT_E1_NS1_11comp_targetILNS1_3genE9ELNS1_11target_archE1100ELNS1_3gpuE3ELNS1_3repE0EEENS1_59segmented_radix_sort_warp_sort_small_config_static_selectorELNS0_4arch9wavefront6targetE0EEEvSK_.numbered_sgpr, 0
	.set _ZN7rocprim17ROCPRIM_400000_NS6detail17trampoline_kernelINS0_14default_configENS1_36segmented_radix_sort_config_selectorIhlEEZNS1_25segmented_radix_sort_implIS3_Lb1EPKhPhPKlPlN2at6native12_GLOBAL__N_18offset_tEEE10hipError_tPvRmT1_PNSt15iterator_traitsISK_E10value_typeET2_T3_PNSL_ISQ_E10value_typeET4_jRbjT5_SW_jjP12ihipStream_tbEUlT_E1_NS1_11comp_targetILNS1_3genE9ELNS1_11target_archE1100ELNS1_3gpuE3ELNS1_3repE0EEENS1_59segmented_radix_sort_warp_sort_small_config_static_selectorELNS0_4arch9wavefront6targetE0EEEvSK_.num_named_barrier, 0
	.set _ZN7rocprim17ROCPRIM_400000_NS6detail17trampoline_kernelINS0_14default_configENS1_36segmented_radix_sort_config_selectorIhlEEZNS1_25segmented_radix_sort_implIS3_Lb1EPKhPhPKlPlN2at6native12_GLOBAL__N_18offset_tEEE10hipError_tPvRmT1_PNSt15iterator_traitsISK_E10value_typeET2_T3_PNSL_ISQ_E10value_typeET4_jRbjT5_SW_jjP12ihipStream_tbEUlT_E1_NS1_11comp_targetILNS1_3genE9ELNS1_11target_archE1100ELNS1_3gpuE3ELNS1_3repE0EEENS1_59segmented_radix_sort_warp_sort_small_config_static_selectorELNS0_4arch9wavefront6targetE0EEEvSK_.private_seg_size, 0
	.set _ZN7rocprim17ROCPRIM_400000_NS6detail17trampoline_kernelINS0_14default_configENS1_36segmented_radix_sort_config_selectorIhlEEZNS1_25segmented_radix_sort_implIS3_Lb1EPKhPhPKlPlN2at6native12_GLOBAL__N_18offset_tEEE10hipError_tPvRmT1_PNSt15iterator_traitsISK_E10value_typeET2_T3_PNSL_ISQ_E10value_typeET4_jRbjT5_SW_jjP12ihipStream_tbEUlT_E1_NS1_11comp_targetILNS1_3genE9ELNS1_11target_archE1100ELNS1_3gpuE3ELNS1_3repE0EEENS1_59segmented_radix_sort_warp_sort_small_config_static_selectorELNS0_4arch9wavefront6targetE0EEEvSK_.uses_vcc, 0
	.set _ZN7rocprim17ROCPRIM_400000_NS6detail17trampoline_kernelINS0_14default_configENS1_36segmented_radix_sort_config_selectorIhlEEZNS1_25segmented_radix_sort_implIS3_Lb1EPKhPhPKlPlN2at6native12_GLOBAL__N_18offset_tEEE10hipError_tPvRmT1_PNSt15iterator_traitsISK_E10value_typeET2_T3_PNSL_ISQ_E10value_typeET4_jRbjT5_SW_jjP12ihipStream_tbEUlT_E1_NS1_11comp_targetILNS1_3genE9ELNS1_11target_archE1100ELNS1_3gpuE3ELNS1_3repE0EEENS1_59segmented_radix_sort_warp_sort_small_config_static_selectorELNS0_4arch9wavefront6targetE0EEEvSK_.uses_flat_scratch, 0
	.set _ZN7rocprim17ROCPRIM_400000_NS6detail17trampoline_kernelINS0_14default_configENS1_36segmented_radix_sort_config_selectorIhlEEZNS1_25segmented_radix_sort_implIS3_Lb1EPKhPhPKlPlN2at6native12_GLOBAL__N_18offset_tEEE10hipError_tPvRmT1_PNSt15iterator_traitsISK_E10value_typeET2_T3_PNSL_ISQ_E10value_typeET4_jRbjT5_SW_jjP12ihipStream_tbEUlT_E1_NS1_11comp_targetILNS1_3genE9ELNS1_11target_archE1100ELNS1_3gpuE3ELNS1_3repE0EEENS1_59segmented_radix_sort_warp_sort_small_config_static_selectorELNS0_4arch9wavefront6targetE0EEEvSK_.has_dyn_sized_stack, 0
	.set _ZN7rocprim17ROCPRIM_400000_NS6detail17trampoline_kernelINS0_14default_configENS1_36segmented_radix_sort_config_selectorIhlEEZNS1_25segmented_radix_sort_implIS3_Lb1EPKhPhPKlPlN2at6native12_GLOBAL__N_18offset_tEEE10hipError_tPvRmT1_PNSt15iterator_traitsISK_E10value_typeET2_T3_PNSL_ISQ_E10value_typeET4_jRbjT5_SW_jjP12ihipStream_tbEUlT_E1_NS1_11comp_targetILNS1_3genE9ELNS1_11target_archE1100ELNS1_3gpuE3ELNS1_3repE0EEENS1_59segmented_radix_sort_warp_sort_small_config_static_selectorELNS0_4arch9wavefront6targetE0EEEvSK_.has_recursion, 0
	.set _ZN7rocprim17ROCPRIM_400000_NS6detail17trampoline_kernelINS0_14default_configENS1_36segmented_radix_sort_config_selectorIhlEEZNS1_25segmented_radix_sort_implIS3_Lb1EPKhPhPKlPlN2at6native12_GLOBAL__N_18offset_tEEE10hipError_tPvRmT1_PNSt15iterator_traitsISK_E10value_typeET2_T3_PNSL_ISQ_E10value_typeET4_jRbjT5_SW_jjP12ihipStream_tbEUlT_E1_NS1_11comp_targetILNS1_3genE9ELNS1_11target_archE1100ELNS1_3gpuE3ELNS1_3repE0EEENS1_59segmented_radix_sort_warp_sort_small_config_static_selectorELNS0_4arch9wavefront6targetE0EEEvSK_.has_indirect_call, 0
	.section	.AMDGPU.csdata,"",@progbits
; Kernel info:
; codeLenInByte = 0
; TotalNumSgprs: 0
; NumVgprs: 0
; ScratchSize: 0
; MemoryBound: 0
; FloatMode: 240
; IeeeMode: 1
; LDSByteSize: 0 bytes/workgroup (compile time only)
; SGPRBlocks: 0
; VGPRBlocks: 0
; NumSGPRsForWavesPerEU: 1
; NumVGPRsForWavesPerEU: 1
; NamedBarCnt: 0
; Occupancy: 16
; WaveLimiterHint : 0
; COMPUTE_PGM_RSRC2:SCRATCH_EN: 0
; COMPUTE_PGM_RSRC2:USER_SGPR: 2
; COMPUTE_PGM_RSRC2:TRAP_HANDLER: 0
; COMPUTE_PGM_RSRC2:TGID_X_EN: 1
; COMPUTE_PGM_RSRC2:TGID_Y_EN: 0
; COMPUTE_PGM_RSRC2:TGID_Z_EN: 0
; COMPUTE_PGM_RSRC2:TIDIG_COMP_CNT: 0
	.section	.text._ZN7rocprim17ROCPRIM_400000_NS6detail17trampoline_kernelINS0_14default_configENS1_36segmented_radix_sort_config_selectorIhlEEZNS1_25segmented_radix_sort_implIS3_Lb1EPKhPhPKlPlN2at6native12_GLOBAL__N_18offset_tEEE10hipError_tPvRmT1_PNSt15iterator_traitsISK_E10value_typeET2_T3_PNSL_ISQ_E10value_typeET4_jRbjT5_SW_jjP12ihipStream_tbEUlT_E1_NS1_11comp_targetILNS1_3genE8ELNS1_11target_archE1030ELNS1_3gpuE2ELNS1_3repE0EEENS1_59segmented_radix_sort_warp_sort_small_config_static_selectorELNS0_4arch9wavefront6targetE0EEEvSK_,"axG",@progbits,_ZN7rocprim17ROCPRIM_400000_NS6detail17trampoline_kernelINS0_14default_configENS1_36segmented_radix_sort_config_selectorIhlEEZNS1_25segmented_radix_sort_implIS3_Lb1EPKhPhPKlPlN2at6native12_GLOBAL__N_18offset_tEEE10hipError_tPvRmT1_PNSt15iterator_traitsISK_E10value_typeET2_T3_PNSL_ISQ_E10value_typeET4_jRbjT5_SW_jjP12ihipStream_tbEUlT_E1_NS1_11comp_targetILNS1_3genE8ELNS1_11target_archE1030ELNS1_3gpuE2ELNS1_3repE0EEENS1_59segmented_radix_sort_warp_sort_small_config_static_selectorELNS0_4arch9wavefront6targetE0EEEvSK_,comdat
	.globl	_ZN7rocprim17ROCPRIM_400000_NS6detail17trampoline_kernelINS0_14default_configENS1_36segmented_radix_sort_config_selectorIhlEEZNS1_25segmented_radix_sort_implIS3_Lb1EPKhPhPKlPlN2at6native12_GLOBAL__N_18offset_tEEE10hipError_tPvRmT1_PNSt15iterator_traitsISK_E10value_typeET2_T3_PNSL_ISQ_E10value_typeET4_jRbjT5_SW_jjP12ihipStream_tbEUlT_E1_NS1_11comp_targetILNS1_3genE8ELNS1_11target_archE1030ELNS1_3gpuE2ELNS1_3repE0EEENS1_59segmented_radix_sort_warp_sort_small_config_static_selectorELNS0_4arch9wavefront6targetE0EEEvSK_ ; -- Begin function _ZN7rocprim17ROCPRIM_400000_NS6detail17trampoline_kernelINS0_14default_configENS1_36segmented_radix_sort_config_selectorIhlEEZNS1_25segmented_radix_sort_implIS3_Lb1EPKhPhPKlPlN2at6native12_GLOBAL__N_18offset_tEEE10hipError_tPvRmT1_PNSt15iterator_traitsISK_E10value_typeET2_T3_PNSL_ISQ_E10value_typeET4_jRbjT5_SW_jjP12ihipStream_tbEUlT_E1_NS1_11comp_targetILNS1_3genE8ELNS1_11target_archE1030ELNS1_3gpuE2ELNS1_3repE0EEENS1_59segmented_radix_sort_warp_sort_small_config_static_selectorELNS0_4arch9wavefront6targetE0EEEvSK_
	.p2align	8
	.type	_ZN7rocprim17ROCPRIM_400000_NS6detail17trampoline_kernelINS0_14default_configENS1_36segmented_radix_sort_config_selectorIhlEEZNS1_25segmented_radix_sort_implIS3_Lb1EPKhPhPKlPlN2at6native12_GLOBAL__N_18offset_tEEE10hipError_tPvRmT1_PNSt15iterator_traitsISK_E10value_typeET2_T3_PNSL_ISQ_E10value_typeET4_jRbjT5_SW_jjP12ihipStream_tbEUlT_E1_NS1_11comp_targetILNS1_3genE8ELNS1_11target_archE1030ELNS1_3gpuE2ELNS1_3repE0EEENS1_59segmented_radix_sort_warp_sort_small_config_static_selectorELNS0_4arch9wavefront6targetE0EEEvSK_,@function
_ZN7rocprim17ROCPRIM_400000_NS6detail17trampoline_kernelINS0_14default_configENS1_36segmented_radix_sort_config_selectorIhlEEZNS1_25segmented_radix_sort_implIS3_Lb1EPKhPhPKlPlN2at6native12_GLOBAL__N_18offset_tEEE10hipError_tPvRmT1_PNSt15iterator_traitsISK_E10value_typeET2_T3_PNSL_ISQ_E10value_typeET4_jRbjT5_SW_jjP12ihipStream_tbEUlT_E1_NS1_11comp_targetILNS1_3genE8ELNS1_11target_archE1030ELNS1_3gpuE2ELNS1_3repE0EEENS1_59segmented_radix_sort_warp_sort_small_config_static_selectorELNS0_4arch9wavefront6targetE0EEEvSK_: ; @_ZN7rocprim17ROCPRIM_400000_NS6detail17trampoline_kernelINS0_14default_configENS1_36segmented_radix_sort_config_selectorIhlEEZNS1_25segmented_radix_sort_implIS3_Lb1EPKhPhPKlPlN2at6native12_GLOBAL__N_18offset_tEEE10hipError_tPvRmT1_PNSt15iterator_traitsISK_E10value_typeET2_T3_PNSL_ISQ_E10value_typeET4_jRbjT5_SW_jjP12ihipStream_tbEUlT_E1_NS1_11comp_targetILNS1_3genE8ELNS1_11target_archE1030ELNS1_3gpuE2ELNS1_3repE0EEENS1_59segmented_radix_sort_warp_sort_small_config_static_selectorELNS0_4arch9wavefront6targetE0EEEvSK_
; %bb.0:
	.section	.rodata,"a",@progbits
	.p2align	6, 0x0
	.amdhsa_kernel _ZN7rocprim17ROCPRIM_400000_NS6detail17trampoline_kernelINS0_14default_configENS1_36segmented_radix_sort_config_selectorIhlEEZNS1_25segmented_radix_sort_implIS3_Lb1EPKhPhPKlPlN2at6native12_GLOBAL__N_18offset_tEEE10hipError_tPvRmT1_PNSt15iterator_traitsISK_E10value_typeET2_T3_PNSL_ISQ_E10value_typeET4_jRbjT5_SW_jjP12ihipStream_tbEUlT_E1_NS1_11comp_targetILNS1_3genE8ELNS1_11target_archE1030ELNS1_3gpuE2ELNS1_3repE0EEENS1_59segmented_radix_sort_warp_sort_small_config_static_selectorELNS0_4arch9wavefront6targetE0EEEvSK_
		.amdhsa_group_segment_fixed_size 0
		.amdhsa_private_segment_fixed_size 0
		.amdhsa_kernarg_size 88
		.amdhsa_user_sgpr_count 2
		.amdhsa_user_sgpr_dispatch_ptr 0
		.amdhsa_user_sgpr_queue_ptr 0
		.amdhsa_user_sgpr_kernarg_segment_ptr 1
		.amdhsa_user_sgpr_dispatch_id 0
		.amdhsa_user_sgpr_kernarg_preload_length 0
		.amdhsa_user_sgpr_kernarg_preload_offset 0
		.amdhsa_user_sgpr_private_segment_size 0
		.amdhsa_wavefront_size32 1
		.amdhsa_uses_dynamic_stack 0
		.amdhsa_enable_private_segment 0
		.amdhsa_system_sgpr_workgroup_id_x 1
		.amdhsa_system_sgpr_workgroup_id_y 0
		.amdhsa_system_sgpr_workgroup_id_z 0
		.amdhsa_system_sgpr_workgroup_info 0
		.amdhsa_system_vgpr_workitem_id 0
		.amdhsa_next_free_vgpr 1
		.amdhsa_next_free_sgpr 1
		.amdhsa_named_barrier_count 0
		.amdhsa_reserve_vcc 0
		.amdhsa_float_round_mode_32 0
		.amdhsa_float_round_mode_16_64 0
		.amdhsa_float_denorm_mode_32 3
		.amdhsa_float_denorm_mode_16_64 3
		.amdhsa_fp16_overflow 0
		.amdhsa_memory_ordered 1
		.amdhsa_forward_progress 1
		.amdhsa_inst_pref_size 0
		.amdhsa_round_robin_scheduling 0
		.amdhsa_exception_fp_ieee_invalid_op 0
		.amdhsa_exception_fp_denorm_src 0
		.amdhsa_exception_fp_ieee_div_zero 0
		.amdhsa_exception_fp_ieee_overflow 0
		.amdhsa_exception_fp_ieee_underflow 0
		.amdhsa_exception_fp_ieee_inexact 0
		.amdhsa_exception_int_div_zero 0
	.end_amdhsa_kernel
	.section	.text._ZN7rocprim17ROCPRIM_400000_NS6detail17trampoline_kernelINS0_14default_configENS1_36segmented_radix_sort_config_selectorIhlEEZNS1_25segmented_radix_sort_implIS3_Lb1EPKhPhPKlPlN2at6native12_GLOBAL__N_18offset_tEEE10hipError_tPvRmT1_PNSt15iterator_traitsISK_E10value_typeET2_T3_PNSL_ISQ_E10value_typeET4_jRbjT5_SW_jjP12ihipStream_tbEUlT_E1_NS1_11comp_targetILNS1_3genE8ELNS1_11target_archE1030ELNS1_3gpuE2ELNS1_3repE0EEENS1_59segmented_radix_sort_warp_sort_small_config_static_selectorELNS0_4arch9wavefront6targetE0EEEvSK_,"axG",@progbits,_ZN7rocprim17ROCPRIM_400000_NS6detail17trampoline_kernelINS0_14default_configENS1_36segmented_radix_sort_config_selectorIhlEEZNS1_25segmented_radix_sort_implIS3_Lb1EPKhPhPKlPlN2at6native12_GLOBAL__N_18offset_tEEE10hipError_tPvRmT1_PNSt15iterator_traitsISK_E10value_typeET2_T3_PNSL_ISQ_E10value_typeET4_jRbjT5_SW_jjP12ihipStream_tbEUlT_E1_NS1_11comp_targetILNS1_3genE8ELNS1_11target_archE1030ELNS1_3gpuE2ELNS1_3repE0EEENS1_59segmented_radix_sort_warp_sort_small_config_static_selectorELNS0_4arch9wavefront6targetE0EEEvSK_,comdat
.Lfunc_end111:
	.size	_ZN7rocprim17ROCPRIM_400000_NS6detail17trampoline_kernelINS0_14default_configENS1_36segmented_radix_sort_config_selectorIhlEEZNS1_25segmented_radix_sort_implIS3_Lb1EPKhPhPKlPlN2at6native12_GLOBAL__N_18offset_tEEE10hipError_tPvRmT1_PNSt15iterator_traitsISK_E10value_typeET2_T3_PNSL_ISQ_E10value_typeET4_jRbjT5_SW_jjP12ihipStream_tbEUlT_E1_NS1_11comp_targetILNS1_3genE8ELNS1_11target_archE1030ELNS1_3gpuE2ELNS1_3repE0EEENS1_59segmented_radix_sort_warp_sort_small_config_static_selectorELNS0_4arch9wavefront6targetE0EEEvSK_, .Lfunc_end111-_ZN7rocprim17ROCPRIM_400000_NS6detail17trampoline_kernelINS0_14default_configENS1_36segmented_radix_sort_config_selectorIhlEEZNS1_25segmented_radix_sort_implIS3_Lb1EPKhPhPKlPlN2at6native12_GLOBAL__N_18offset_tEEE10hipError_tPvRmT1_PNSt15iterator_traitsISK_E10value_typeET2_T3_PNSL_ISQ_E10value_typeET4_jRbjT5_SW_jjP12ihipStream_tbEUlT_E1_NS1_11comp_targetILNS1_3genE8ELNS1_11target_archE1030ELNS1_3gpuE2ELNS1_3repE0EEENS1_59segmented_radix_sort_warp_sort_small_config_static_selectorELNS0_4arch9wavefront6targetE0EEEvSK_
                                        ; -- End function
	.set _ZN7rocprim17ROCPRIM_400000_NS6detail17trampoline_kernelINS0_14default_configENS1_36segmented_radix_sort_config_selectorIhlEEZNS1_25segmented_radix_sort_implIS3_Lb1EPKhPhPKlPlN2at6native12_GLOBAL__N_18offset_tEEE10hipError_tPvRmT1_PNSt15iterator_traitsISK_E10value_typeET2_T3_PNSL_ISQ_E10value_typeET4_jRbjT5_SW_jjP12ihipStream_tbEUlT_E1_NS1_11comp_targetILNS1_3genE8ELNS1_11target_archE1030ELNS1_3gpuE2ELNS1_3repE0EEENS1_59segmented_radix_sort_warp_sort_small_config_static_selectorELNS0_4arch9wavefront6targetE0EEEvSK_.num_vgpr, 0
	.set _ZN7rocprim17ROCPRIM_400000_NS6detail17trampoline_kernelINS0_14default_configENS1_36segmented_radix_sort_config_selectorIhlEEZNS1_25segmented_radix_sort_implIS3_Lb1EPKhPhPKlPlN2at6native12_GLOBAL__N_18offset_tEEE10hipError_tPvRmT1_PNSt15iterator_traitsISK_E10value_typeET2_T3_PNSL_ISQ_E10value_typeET4_jRbjT5_SW_jjP12ihipStream_tbEUlT_E1_NS1_11comp_targetILNS1_3genE8ELNS1_11target_archE1030ELNS1_3gpuE2ELNS1_3repE0EEENS1_59segmented_radix_sort_warp_sort_small_config_static_selectorELNS0_4arch9wavefront6targetE0EEEvSK_.num_agpr, 0
	.set _ZN7rocprim17ROCPRIM_400000_NS6detail17trampoline_kernelINS0_14default_configENS1_36segmented_radix_sort_config_selectorIhlEEZNS1_25segmented_radix_sort_implIS3_Lb1EPKhPhPKlPlN2at6native12_GLOBAL__N_18offset_tEEE10hipError_tPvRmT1_PNSt15iterator_traitsISK_E10value_typeET2_T3_PNSL_ISQ_E10value_typeET4_jRbjT5_SW_jjP12ihipStream_tbEUlT_E1_NS1_11comp_targetILNS1_3genE8ELNS1_11target_archE1030ELNS1_3gpuE2ELNS1_3repE0EEENS1_59segmented_radix_sort_warp_sort_small_config_static_selectorELNS0_4arch9wavefront6targetE0EEEvSK_.numbered_sgpr, 0
	.set _ZN7rocprim17ROCPRIM_400000_NS6detail17trampoline_kernelINS0_14default_configENS1_36segmented_radix_sort_config_selectorIhlEEZNS1_25segmented_radix_sort_implIS3_Lb1EPKhPhPKlPlN2at6native12_GLOBAL__N_18offset_tEEE10hipError_tPvRmT1_PNSt15iterator_traitsISK_E10value_typeET2_T3_PNSL_ISQ_E10value_typeET4_jRbjT5_SW_jjP12ihipStream_tbEUlT_E1_NS1_11comp_targetILNS1_3genE8ELNS1_11target_archE1030ELNS1_3gpuE2ELNS1_3repE0EEENS1_59segmented_radix_sort_warp_sort_small_config_static_selectorELNS0_4arch9wavefront6targetE0EEEvSK_.num_named_barrier, 0
	.set _ZN7rocprim17ROCPRIM_400000_NS6detail17trampoline_kernelINS0_14default_configENS1_36segmented_radix_sort_config_selectorIhlEEZNS1_25segmented_radix_sort_implIS3_Lb1EPKhPhPKlPlN2at6native12_GLOBAL__N_18offset_tEEE10hipError_tPvRmT1_PNSt15iterator_traitsISK_E10value_typeET2_T3_PNSL_ISQ_E10value_typeET4_jRbjT5_SW_jjP12ihipStream_tbEUlT_E1_NS1_11comp_targetILNS1_3genE8ELNS1_11target_archE1030ELNS1_3gpuE2ELNS1_3repE0EEENS1_59segmented_radix_sort_warp_sort_small_config_static_selectorELNS0_4arch9wavefront6targetE0EEEvSK_.private_seg_size, 0
	.set _ZN7rocprim17ROCPRIM_400000_NS6detail17trampoline_kernelINS0_14default_configENS1_36segmented_radix_sort_config_selectorIhlEEZNS1_25segmented_radix_sort_implIS3_Lb1EPKhPhPKlPlN2at6native12_GLOBAL__N_18offset_tEEE10hipError_tPvRmT1_PNSt15iterator_traitsISK_E10value_typeET2_T3_PNSL_ISQ_E10value_typeET4_jRbjT5_SW_jjP12ihipStream_tbEUlT_E1_NS1_11comp_targetILNS1_3genE8ELNS1_11target_archE1030ELNS1_3gpuE2ELNS1_3repE0EEENS1_59segmented_radix_sort_warp_sort_small_config_static_selectorELNS0_4arch9wavefront6targetE0EEEvSK_.uses_vcc, 0
	.set _ZN7rocprim17ROCPRIM_400000_NS6detail17trampoline_kernelINS0_14default_configENS1_36segmented_radix_sort_config_selectorIhlEEZNS1_25segmented_radix_sort_implIS3_Lb1EPKhPhPKlPlN2at6native12_GLOBAL__N_18offset_tEEE10hipError_tPvRmT1_PNSt15iterator_traitsISK_E10value_typeET2_T3_PNSL_ISQ_E10value_typeET4_jRbjT5_SW_jjP12ihipStream_tbEUlT_E1_NS1_11comp_targetILNS1_3genE8ELNS1_11target_archE1030ELNS1_3gpuE2ELNS1_3repE0EEENS1_59segmented_radix_sort_warp_sort_small_config_static_selectorELNS0_4arch9wavefront6targetE0EEEvSK_.uses_flat_scratch, 0
	.set _ZN7rocprim17ROCPRIM_400000_NS6detail17trampoline_kernelINS0_14default_configENS1_36segmented_radix_sort_config_selectorIhlEEZNS1_25segmented_radix_sort_implIS3_Lb1EPKhPhPKlPlN2at6native12_GLOBAL__N_18offset_tEEE10hipError_tPvRmT1_PNSt15iterator_traitsISK_E10value_typeET2_T3_PNSL_ISQ_E10value_typeET4_jRbjT5_SW_jjP12ihipStream_tbEUlT_E1_NS1_11comp_targetILNS1_3genE8ELNS1_11target_archE1030ELNS1_3gpuE2ELNS1_3repE0EEENS1_59segmented_radix_sort_warp_sort_small_config_static_selectorELNS0_4arch9wavefront6targetE0EEEvSK_.has_dyn_sized_stack, 0
	.set _ZN7rocprim17ROCPRIM_400000_NS6detail17trampoline_kernelINS0_14default_configENS1_36segmented_radix_sort_config_selectorIhlEEZNS1_25segmented_radix_sort_implIS3_Lb1EPKhPhPKlPlN2at6native12_GLOBAL__N_18offset_tEEE10hipError_tPvRmT1_PNSt15iterator_traitsISK_E10value_typeET2_T3_PNSL_ISQ_E10value_typeET4_jRbjT5_SW_jjP12ihipStream_tbEUlT_E1_NS1_11comp_targetILNS1_3genE8ELNS1_11target_archE1030ELNS1_3gpuE2ELNS1_3repE0EEENS1_59segmented_radix_sort_warp_sort_small_config_static_selectorELNS0_4arch9wavefront6targetE0EEEvSK_.has_recursion, 0
	.set _ZN7rocprim17ROCPRIM_400000_NS6detail17trampoline_kernelINS0_14default_configENS1_36segmented_radix_sort_config_selectorIhlEEZNS1_25segmented_radix_sort_implIS3_Lb1EPKhPhPKlPlN2at6native12_GLOBAL__N_18offset_tEEE10hipError_tPvRmT1_PNSt15iterator_traitsISK_E10value_typeET2_T3_PNSL_ISQ_E10value_typeET4_jRbjT5_SW_jjP12ihipStream_tbEUlT_E1_NS1_11comp_targetILNS1_3genE8ELNS1_11target_archE1030ELNS1_3gpuE2ELNS1_3repE0EEENS1_59segmented_radix_sort_warp_sort_small_config_static_selectorELNS0_4arch9wavefront6targetE0EEEvSK_.has_indirect_call, 0
	.section	.AMDGPU.csdata,"",@progbits
; Kernel info:
; codeLenInByte = 0
; TotalNumSgprs: 0
; NumVgprs: 0
; ScratchSize: 0
; MemoryBound: 0
; FloatMode: 240
; IeeeMode: 1
; LDSByteSize: 0 bytes/workgroup (compile time only)
; SGPRBlocks: 0
; VGPRBlocks: 0
; NumSGPRsForWavesPerEU: 1
; NumVGPRsForWavesPerEU: 1
; NamedBarCnt: 0
; Occupancy: 16
; WaveLimiterHint : 0
; COMPUTE_PGM_RSRC2:SCRATCH_EN: 0
; COMPUTE_PGM_RSRC2:USER_SGPR: 2
; COMPUTE_PGM_RSRC2:TRAP_HANDLER: 0
; COMPUTE_PGM_RSRC2:TGID_X_EN: 1
; COMPUTE_PGM_RSRC2:TGID_Y_EN: 0
; COMPUTE_PGM_RSRC2:TGID_Z_EN: 0
; COMPUTE_PGM_RSRC2:TIDIG_COMP_CNT: 0
	.section	.text._ZN7rocprim17ROCPRIM_400000_NS6detail17trampoline_kernelINS0_14default_configENS1_36segmented_radix_sort_config_selectorIhlEEZNS1_25segmented_radix_sort_implIS3_Lb1EPKhPhPKlPlN2at6native12_GLOBAL__N_18offset_tEEE10hipError_tPvRmT1_PNSt15iterator_traitsISK_E10value_typeET2_T3_PNSL_ISQ_E10value_typeET4_jRbjT5_SW_jjP12ihipStream_tbEUlT_E2_NS1_11comp_targetILNS1_3genE0ELNS1_11target_archE4294967295ELNS1_3gpuE0ELNS1_3repE0EEENS1_30default_config_static_selectorELNS0_4arch9wavefront6targetE0EEEvSK_,"axG",@progbits,_ZN7rocprim17ROCPRIM_400000_NS6detail17trampoline_kernelINS0_14default_configENS1_36segmented_radix_sort_config_selectorIhlEEZNS1_25segmented_radix_sort_implIS3_Lb1EPKhPhPKlPlN2at6native12_GLOBAL__N_18offset_tEEE10hipError_tPvRmT1_PNSt15iterator_traitsISK_E10value_typeET2_T3_PNSL_ISQ_E10value_typeET4_jRbjT5_SW_jjP12ihipStream_tbEUlT_E2_NS1_11comp_targetILNS1_3genE0ELNS1_11target_archE4294967295ELNS1_3gpuE0ELNS1_3repE0EEENS1_30default_config_static_selectorELNS0_4arch9wavefront6targetE0EEEvSK_,comdat
	.globl	_ZN7rocprim17ROCPRIM_400000_NS6detail17trampoline_kernelINS0_14default_configENS1_36segmented_radix_sort_config_selectorIhlEEZNS1_25segmented_radix_sort_implIS3_Lb1EPKhPhPKlPlN2at6native12_GLOBAL__N_18offset_tEEE10hipError_tPvRmT1_PNSt15iterator_traitsISK_E10value_typeET2_T3_PNSL_ISQ_E10value_typeET4_jRbjT5_SW_jjP12ihipStream_tbEUlT_E2_NS1_11comp_targetILNS1_3genE0ELNS1_11target_archE4294967295ELNS1_3gpuE0ELNS1_3repE0EEENS1_30default_config_static_selectorELNS0_4arch9wavefront6targetE0EEEvSK_ ; -- Begin function _ZN7rocprim17ROCPRIM_400000_NS6detail17trampoline_kernelINS0_14default_configENS1_36segmented_radix_sort_config_selectorIhlEEZNS1_25segmented_radix_sort_implIS3_Lb1EPKhPhPKlPlN2at6native12_GLOBAL__N_18offset_tEEE10hipError_tPvRmT1_PNSt15iterator_traitsISK_E10value_typeET2_T3_PNSL_ISQ_E10value_typeET4_jRbjT5_SW_jjP12ihipStream_tbEUlT_E2_NS1_11comp_targetILNS1_3genE0ELNS1_11target_archE4294967295ELNS1_3gpuE0ELNS1_3repE0EEENS1_30default_config_static_selectorELNS0_4arch9wavefront6targetE0EEEvSK_
	.p2align	8
	.type	_ZN7rocprim17ROCPRIM_400000_NS6detail17trampoline_kernelINS0_14default_configENS1_36segmented_radix_sort_config_selectorIhlEEZNS1_25segmented_radix_sort_implIS3_Lb1EPKhPhPKlPlN2at6native12_GLOBAL__N_18offset_tEEE10hipError_tPvRmT1_PNSt15iterator_traitsISK_E10value_typeET2_T3_PNSL_ISQ_E10value_typeET4_jRbjT5_SW_jjP12ihipStream_tbEUlT_E2_NS1_11comp_targetILNS1_3genE0ELNS1_11target_archE4294967295ELNS1_3gpuE0ELNS1_3repE0EEENS1_30default_config_static_selectorELNS0_4arch9wavefront6targetE0EEEvSK_,@function
_ZN7rocprim17ROCPRIM_400000_NS6detail17trampoline_kernelINS0_14default_configENS1_36segmented_radix_sort_config_selectorIhlEEZNS1_25segmented_radix_sort_implIS3_Lb1EPKhPhPKlPlN2at6native12_GLOBAL__N_18offset_tEEE10hipError_tPvRmT1_PNSt15iterator_traitsISK_E10value_typeET2_T3_PNSL_ISQ_E10value_typeET4_jRbjT5_SW_jjP12ihipStream_tbEUlT_E2_NS1_11comp_targetILNS1_3genE0ELNS1_11target_archE4294967295ELNS1_3gpuE0ELNS1_3repE0EEENS1_30default_config_static_selectorELNS0_4arch9wavefront6targetE0EEEvSK_: ; @_ZN7rocprim17ROCPRIM_400000_NS6detail17trampoline_kernelINS0_14default_configENS1_36segmented_radix_sort_config_selectorIhlEEZNS1_25segmented_radix_sort_implIS3_Lb1EPKhPhPKlPlN2at6native12_GLOBAL__N_18offset_tEEE10hipError_tPvRmT1_PNSt15iterator_traitsISK_E10value_typeET2_T3_PNSL_ISQ_E10value_typeET4_jRbjT5_SW_jjP12ihipStream_tbEUlT_E2_NS1_11comp_targetILNS1_3genE0ELNS1_11target_archE4294967295ELNS1_3gpuE0ELNS1_3repE0EEENS1_30default_config_static_selectorELNS0_4arch9wavefront6targetE0EEEvSK_
; %bb.0:
	s_load_b128 s[4:7], s[2:3], 0x34
	s_bfe_u32 s8, ttmp6, 0x4000c
	s_and_b32 s9, ttmp6, 15
	s_add_co_i32 s8, s8, 1
	s_getreg_b32 s27, hwreg(HW_REG_IB_STS2, 6, 4)
	s_mul_i32 s8, ttmp9, s8
	s_mov_b32 s32, 0
	s_add_co_i32 s9, s9, s8
	s_cmp_eq_u32 s27, 0
	s_cselect_b32 s51, ttmp9, s9
	s_wait_kmcnt 0x0
	s_add_co_i32 s54, s7, s51
	s_add_co_i32 s55, s5, s51
	s_mul_i32 s54, s54, s6
	s_mul_i32 s55, s55, s4
	s_delay_alu instid0(SALU_CYCLE_1)
	s_cmp_le_u32 s54, s55
	s_cbranch_scc1 .LBB112_1262
; %bb.1:
	s_clause 0x3
	s_load_b32 s4, s[2:3], 0x30
	s_load_b128 s[44:47], s[2:3], 0x20
	s_load_b96 s[48:50], s[2:3], 0x44
	s_load_b256 s[36:43], s[2:3], 0x0
	s_wait_kmcnt 0x0
	s_bitcmp1_b32 s4, 0
	s_mov_b32 s4, -1
	s_cselect_b32 s56, -1, 0
	s_sub_co_i32 s57, s54, s55
	s_delay_alu instid0(SALU_CYCLE_1)
	s_cmp_lt_u32 s57, 0x1101
	s_cbranch_scc0 .LBB112_15
; %bb.2:
	s_cmp_lt_u32 s57, 0x81
	s_cbranch_scc0 .LBB112_9
; %bb.3:
	s_load_b32 s4, s[2:3], 0x5c
	v_bfe_u32 v1, v0, 10, 10
	v_bfe_u32 v2, v0, 20, 10
	s_mov_b32 s15, exec_lo
	s_wait_kmcnt 0x0
	s_lshr_b32 s5, s4, 16
	s_and_b32 s4, s4, 0xffff
	v_mad_u32_u24 v1, v2, s5, v1
	v_and_b32_e32 v2, 0x3ff, v0
	s_delay_alu instid0(VALU_DEP_1) | instskip(NEXT) | instid1(VALU_DEP_1)
	v_mad_u32 v1, v1, s4, v2
	v_cmpx_gt_u32_e32 32, v1
	s_cbranch_execz .LBB112_8
; %bb.4:
	v_cndmask_b32_e64 v1, 0, 1, s56
	s_and_b32 s4, s48, 1
	s_get_pc_i64 s[16:17]
	s_add_nc_u64 s[16:17], s[16:17], _ZN7rocprim17ROCPRIM_400000_NS6detail26segmented_warp_sort_helperINS1_20WarpSortHelperConfigILj32ELj4ELj256EEEhlLi256ELb1EvE4sortIPKhPhPKlPlEEvT_T0_T1_T2_jjjjRNS5_12storage_typeE@rel64+4
	s_delay_alu instid0(VALU_DEP_1)
	v_cmp_ne_u32_e32 vcc_lo, s4, v1
	s_mov_b32 s4, -1
	s_cbranch_vccnz .LBB112_6
; %bb.5:
	s_mov_b64 s[4:5], src_shared_base
	v_dual_mov_b32 v31, v0 :: v_dual_mov_b32 v40, v0
	v_dual_mov_b32 v0, s36 :: v_dual_mov_b32 v1, s37
	;; [unrolled: 1-line block ×8, first 2 shown]
	s_add_nc_u64 s[8:9], s[2:3], 0x50
	s_mov_b64 s[6:7], s[0:1]
	s_mov_b64 s[18:19], s[2:3]
	;; [unrolled: 1-line block ×3, first 2 shown]
	s_swap_pc_i64 s[30:31], s[16:17]
	v_mov_b32_e32 v0, v40
	s_mov_b64 s[0:1], s[20:21]
	s_mov_b64 s[2:3], s[18:19]
	s_mov_b32 s4, 0
.LBB112_6:
	s_delay_alu instid0(SALU_CYCLE_1)
	s_and_not1_b32 vcc_lo, exec_lo, s4
	s_cbranch_vccnz .LBB112_8
; %bb.7:
	s_mov_b64 s[4:5], src_shared_base
	v_dual_mov_b32 v31, v0 :: v_dual_mov_b32 v40, v0
	v_dual_mov_b32 v0, s36 :: v_dual_mov_b32 v1, s37
	;; [unrolled: 1-line block ×8, first 2 shown]
	s_add_nc_u64 s[8:9], s[2:3], 0x50
	s_mov_b64 s[6:7], s[0:1]
	s_mov_b64 s[18:19], s[2:3]
	;; [unrolled: 1-line block ×3, first 2 shown]
	s_swap_pc_i64 s[30:31], s[16:17]
	v_mov_b32_e32 v0, v40
	s_mov_b64 s[0:1], s[20:21]
	s_mov_b64 s[2:3], s[18:19]
.LBB112_8:
	s_or_b32 exec_lo, exec_lo, s15
	s_mov_b32 s4, 0
.LBB112_9:
	s_delay_alu instid0(SALU_CYCLE_1)
	s_and_not1_b32 vcc_lo, exec_lo, s4
	s_cbranch_vccnz .LBB112_14
; %bb.10:
	v_cndmask_b32_e64 v1, 0, 1, s56
	s_and_b32 s4, s48, 1
	s_get_pc_i64 s[28:29]
	s_add_nc_u64 s[28:29], s[28:29], _ZN7rocprim17ROCPRIM_400000_NS6detail40segmented_radix_sort_single_block_helperIhlLj256ELj17ELb1EE4sortIPKhPhPKlPlEEbT_T0_T1_T2_jjjjRNS3_12storage_typeE@rel64+4
	s_delay_alu instid0(VALU_DEP_1)
	v_cmp_ne_u32_e32 vcc_lo, s4, v1
	s_mov_b32 s4, -1
	s_cbranch_vccnz .LBB112_12
; %bb.11:
	s_mov_b64 s[4:5], src_shared_base
	v_dual_mov_b32 v31, v0 :: v_dual_mov_b32 v40, v0
	v_dual_mov_b32 v0, s36 :: v_dual_mov_b32 v1, s37
	;; [unrolled: 1-line block ×8, first 2 shown]
	s_add_nc_u64 s[8:9], s[2:3], 0x50
	s_mov_b64 s[6:7], s[0:1]
	s_mov_b64 s[34:35], s[2:3]
	;; [unrolled: 1-line block ×3, first 2 shown]
	s_swap_pc_i64 s[30:31], s[28:29]
	v_mov_b32_e32 v0, v40
	s_mov_b64 s[0:1], s[52:53]
	s_mov_b64 s[2:3], s[34:35]
	s_mov_b32 s4, 0
.LBB112_12:
	s_delay_alu instid0(SALU_CYCLE_1)
	s_and_not1_b32 vcc_lo, exec_lo, s4
	s_cbranch_vccnz .LBB112_14
; %bb.13:
	s_mov_b64 s[4:5], src_shared_base
	v_dual_mov_b32 v31, v0 :: v_dual_mov_b32 v40, v0
	v_dual_mov_b32 v0, s36 :: v_dual_mov_b32 v1, s37
	;; [unrolled: 1-line block ×8, first 2 shown]
	s_add_nc_u64 s[8:9], s[2:3], 0x50
	s_mov_b64 s[6:7], s[0:1]
	s_mov_b64 s[34:35], s[2:3]
	s_swap_pc_i64 s[30:31], s[28:29]
	v_mov_b32_e32 v0, v40
	s_mov_b64 s[2:3], s[34:35]
.LBB112_14:
	s_mov_b32 s4, 0
.LBB112_15:
	s_delay_alu instid0(SALU_CYCLE_1)
	s_and_not1_b32 vcc_lo, exec_lo, s4
	s_cbranch_vccnz .LBB112_1262
; %bb.16:
	s_cmp_ge_u32 s49, s50
	s_cbranch_scc1 .LBB112_1262
; %bb.17:
	v_dual_mov_b32 v1, 0 :: v_dual_bitop2_b32 v6, 3, v0 bitop3:0x40
	v_and_b32_e32 v2, 0x3ff, v0
	v_and_b32_e32 v8, 0xe0, v0
	s_bfe_u32 s6, ttmp6, 0x40010
	s_delay_alu instid0(VALU_DEP_3)
	v_mov_b32_e32 v3, v1
	v_bfe_u32 v89, v0, 20, 10
	v_lshlrev_b32_e32 v66, 2, v2
	v_min_u32_e32 v7, 0x60, v8
	v_dual_lshrrev_b32 v9, 3, v0 :: v_dual_lshlrev_b32 v84, 2, v6
	v_mul_u32_u24_e32 v6, 17, v8
	s_delay_alu instid0(VALU_DEP_4) | instskip(NEXT) | instid1(VALU_DEP_4)
	v_mad_u32_u24 v85, v2, 12, v66
	v_or_b32_e32 v7, 31, v7
	s_delay_alu instid0(VALU_DEP_4) | instskip(SKIP_1) | instid1(VALU_DEP_4)
	v_and_b32_e32 v83, 28, v9
	v_dual_lshlrev_b32 v9, 4, v2 :: v_dual_bitop2_b32 v8, 31, v8 bitop3:0x54
	v_add_nc_u32_e32 v90, v85, v66
	s_delay_alu instid0(VALU_DEP_4) | instskip(NEXT) | instid1(VALU_DEP_4)
	v_cmp_eq_u32_e64 s1, v2, v7
	v_dual_mov_b32 v7, v1 :: v_dual_add_nc_u32 v88, 0x89fc, v83
	s_add_nc_u64 s[52:53], s[2:3], 0x50
	v_bfe_u32 v91, v0, 10, 10
	v_cmp_eq_u32_e64 s2, v2, v8
	v_dual_add_nc_u32 v8, 1, v2 :: v_dual_sub_nc_u32 v92, v90, v9
	v_lshlrev_b32_e32 v0, 3, v6
	s_add_co_i32 s6, s6, 1
	s_bfe_u32 s7, ttmp6, 0x40004
	s_mul_i32 s6, ttmp7, s6
	v_add_nc_u64_e32 v[4:5], s[40:41], v[2:3]
	s_add_co_i32 s8, s7, s6
	v_mul_u32_u24_e32 v93, 36, v8
	v_cmp_ne_u32_e64 s7, 0x80, v8
	v_add_nc_u64_e32 v[8:9], s[46:47], v[0:1]
	v_add_nc_u64_e32 v[10:11], s[40:41], v[6:7]
	;; [unrolled: 1-line block ×8, first 2 shown]
	v_or_b32_e32 v67, 0x100, v2
	v_or_b32_e32 v68, 0x200, v2
	;; [unrolled: 1-line block ×16, first 2 shown]
	v_cmp_gt_u32_e64 s0, 0x80, v2
	v_or_b32_e32 v86, 0x8a00, v83
	v_cmp_gt_u32_e64 s4, 4, v2
	v_add_nc_u32_e32 v87, 0x8a00, v66
	v_cmp_lt_u32_e64 s5, 31, v2
	v_cmp_gt_u32_e64 s3, 8, v2
	v_cmp_eq_u32_e64 s6, 0, v2
	v_dual_mov_b32 v7, 1 :: v_dual_lshlrev_b32 v94, 5, v2
	v_mul_u32_u24_e32 v95, 7, v2
	v_mbcnt_lo_u32_b32 v0, -1, 0
	s_cmp_eq_u32 s27, 0
	s_mov_b32 s35, 0
	s_cselect_b32 s42, ttmp7, s8
	s_mov_b32 s43, s49
	s_branch .LBB112_20
.LBB112_18:                             ;   in Loop: Header=BB112_20 Depth=1
	s_wait_dscnt 0x0
	s_barrier_signal -1
	s_barrier_wait -1
.LBB112_19:                             ;   in Loop: Header=BB112_20 Depth=1
	s_add_co_i32 s43, s43, 7
	s_delay_alu instid0(SALU_CYCLE_1)
	s_cmp_ge_u32 s43, s50
	s_cbranch_scc1 .LBB112_1262
.LBB112_20:                             ; =>This Loop Header: Depth=1
                                        ;     Child Loop BB112_24 Depth 2
                                        ;     Child Loop BB112_108 Depth 2
	;; [unrolled: 1-line block ×8, first 2 shown]
	s_sub_co_i32 s8, s50, s43
	s_xor_b32 s56, s56, -1
	s_min_u32 s8, s8, 7
	ds_store_2addr_stride64_b32 v66, v1, v1 offset1:4
	s_lshl_b32 s8, -1, s8
	s_wait_storecnt_dscnt 0x0
	s_not_b32 s48, s8
	s_cmp_lg_u32 s43, s49
	s_mov_b32 s8, -1
	s_cbranch_scc0 .LBB112_642
; %bb.21:                               ;   in Loop: Header=BB112_20 Depth=1
	s_and_b32 vcc_lo, exec_lo, s56
	s_cbranch_vccz .LBB112_331
; %bb.22:                               ;   in Loop: Header=BB112_20 Depth=1
	v_dual_mov_b32 v39, 0 :: v_dual_mov_b32 v42, 0
	v_dual_mov_b32 v41, 0 :: v_dual_mov_b32 v40, 0
	;; [unrolled: 1-line block ×8, first 2 shown]
	v_mov_b32_e32 v26, 0
	s_mov_b32 s8, s57
	s_mov_b32 s34, s55
	s_barrier_signal -1
	s_barrier_wait -1
	s_branch .LBB112_24
.LBB112_23:                             ;   in Loop: Header=BB112_24 Depth=2
	s_or_b32 exec_lo, exec_lo, s10
	s_addk_co_i32 s8, 0xef00
	s_cmp_ge_u32 s9, s54
	s_mov_b32 s34, s9
	s_cbranch_scc1 .LBB112_96
.LBB112_24:                             ;   Parent Loop BB112_20 Depth=1
                                        ; =>  This Inner Loop Header: Depth=2
	s_add_co_i32 s9, s34, 0x1100
	s_mov_b32 s10, -1
	s_cmp_gt_u32 s9, s54
                                        ; implicit-def: $vgpr24
                                        ; implicit-def: $vgpr25
                                        ; implicit-def: $vgpr43
                                        ; implicit-def: $vgpr44
                                        ; implicit-def: $vgpr45
                                        ; implicit-def: $vgpr46
                                        ; implicit-def: $vgpr47
                                        ; implicit-def: $vgpr48
                                        ; implicit-def: $vgpr49
                                        ; implicit-def: $vgpr50
                                        ; implicit-def: $vgpr51
                                        ; implicit-def: $vgpr52
                                        ; implicit-def: $vgpr53
                                        ; implicit-def: $vgpr54
                                        ; implicit-def: $vgpr55
                                        ; implicit-def: $vgpr56
                                        ; implicit-def: $vgpr57
	s_cbranch_scc1 .LBB112_26
; %bb.25:                               ;   in Loop: Header=BB112_24 Depth=2
	v_add_nc_u64_e32 v[58:59], s[34:35], v[4:5]
	s_mov_b32 s10, 0
	s_clause 0x10
	global_load_u8 v57, v[58:59], off offset:4096
	global_load_u8 v56, v[58:59], off offset:3840
	;; [unrolled: 1-line block ×16, first 2 shown]
	global_load_u8 v24, v[58:59], off
.LBB112_26:                             ;   in Loop: Header=BB112_24 Depth=2
	s_and_not1_b32 vcc_lo, exec_lo, s10
	s_movk_i32 s10, 0x1100
	s_cbranch_vccnz .LBB112_46
; %bb.27:                               ;   in Loop: Header=BB112_24 Depth=2
	s_add_nc_u64 s[10:11], s[40:41], s[34:35]
	s_wait_loadcnt 0x0
	v_add_nc_u64_e32 v[24:25], s[10:11], v[2:3]
	s_mov_b32 s10, exec_lo
	s_wait_xcnt 0x0
	v_cmpx_gt_u32_e64 s8, v2
	s_cbranch_execnz .LBB112_80
; %bb.28:                               ;   in Loop: Header=BB112_24 Depth=2
	s_or_b32 exec_lo, exec_lo, s10
	s_delay_alu instid0(SALU_CYCLE_1)
	s_mov_b32 s10, exec_lo
	v_cmpx_gt_u32_e64 s8, v67
	s_cbranch_execnz .LBB112_81
.LBB112_29:                             ;   in Loop: Header=BB112_24 Depth=2
	s_or_b32 exec_lo, exec_lo, s10
	s_delay_alu instid0(SALU_CYCLE_1)
	s_mov_b32 s10, exec_lo
	v_cmpx_gt_u32_e64 s8, v68
	s_cbranch_execnz .LBB112_82
.LBB112_30:                             ;   in Loop: Header=BB112_24 Depth=2
	s_or_b32 exec_lo, exec_lo, s10
	s_delay_alu instid0(SALU_CYCLE_1)
	s_mov_b32 s10, exec_lo
	v_cmpx_gt_u32_e64 s8, v69
	s_cbranch_execnz .LBB112_83
.LBB112_31:                             ;   in Loop: Header=BB112_24 Depth=2
	s_or_b32 exec_lo, exec_lo, s10
	s_delay_alu instid0(SALU_CYCLE_1)
	s_mov_b32 s10, exec_lo
	v_cmpx_gt_u32_e64 s8, v70
	s_cbranch_execnz .LBB112_84
.LBB112_32:                             ;   in Loop: Header=BB112_24 Depth=2
	s_or_b32 exec_lo, exec_lo, s10
	s_delay_alu instid0(SALU_CYCLE_1)
	s_mov_b32 s10, exec_lo
	v_cmpx_gt_u32_e64 s8, v71
	s_cbranch_execnz .LBB112_85
.LBB112_33:                             ;   in Loop: Header=BB112_24 Depth=2
	s_or_b32 exec_lo, exec_lo, s10
	s_delay_alu instid0(SALU_CYCLE_1)
	s_mov_b32 s10, exec_lo
	v_cmpx_gt_u32_e64 s8, v72
	s_cbranch_execnz .LBB112_86
.LBB112_34:                             ;   in Loop: Header=BB112_24 Depth=2
	s_or_b32 exec_lo, exec_lo, s10
	s_delay_alu instid0(SALU_CYCLE_1)
	s_mov_b32 s10, exec_lo
	v_cmpx_gt_u32_e64 s8, v73
	s_cbranch_execnz .LBB112_87
.LBB112_35:                             ;   in Loop: Header=BB112_24 Depth=2
	s_or_b32 exec_lo, exec_lo, s10
	s_delay_alu instid0(SALU_CYCLE_1)
	s_mov_b32 s10, exec_lo
	v_cmpx_gt_u32_e64 s8, v74
	s_cbranch_execnz .LBB112_88
.LBB112_36:                             ;   in Loop: Header=BB112_24 Depth=2
	s_or_b32 exec_lo, exec_lo, s10
	s_delay_alu instid0(SALU_CYCLE_1)
	s_mov_b32 s10, exec_lo
	v_cmpx_gt_u32_e64 s8, v75
	s_cbranch_execnz .LBB112_89
.LBB112_37:                             ;   in Loop: Header=BB112_24 Depth=2
	s_or_b32 exec_lo, exec_lo, s10
	s_delay_alu instid0(SALU_CYCLE_1)
	s_mov_b32 s10, exec_lo
	v_cmpx_gt_u32_e64 s8, v76
	s_cbranch_execnz .LBB112_90
.LBB112_38:                             ;   in Loop: Header=BB112_24 Depth=2
	s_or_b32 exec_lo, exec_lo, s10
	s_delay_alu instid0(SALU_CYCLE_1)
	s_mov_b32 s10, exec_lo
	v_cmpx_gt_u32_e64 s8, v77
	s_cbranch_execnz .LBB112_91
.LBB112_39:                             ;   in Loop: Header=BB112_24 Depth=2
	s_or_b32 exec_lo, exec_lo, s10
	s_delay_alu instid0(SALU_CYCLE_1)
	s_mov_b32 s10, exec_lo
	v_cmpx_gt_u32_e64 s8, v78
	s_cbranch_execnz .LBB112_92
.LBB112_40:                             ;   in Loop: Header=BB112_24 Depth=2
	s_or_b32 exec_lo, exec_lo, s10
	s_delay_alu instid0(SALU_CYCLE_1)
	s_mov_b32 s10, exec_lo
	v_cmpx_gt_u32_e64 s8, v79
	s_cbranch_execnz .LBB112_93
.LBB112_41:                             ;   in Loop: Header=BB112_24 Depth=2
	s_or_b32 exec_lo, exec_lo, s10
	s_delay_alu instid0(SALU_CYCLE_1)
	s_mov_b32 s10, exec_lo
	v_cmpx_gt_u32_e64 s8, v80
	s_cbranch_execnz .LBB112_94
.LBB112_42:                             ;   in Loop: Header=BB112_24 Depth=2
	s_or_b32 exec_lo, exec_lo, s10
	s_delay_alu instid0(SALU_CYCLE_1)
	s_mov_b32 s10, exec_lo
	v_cmpx_gt_u32_e64 s8, v81
	s_cbranch_execnz .LBB112_95
.LBB112_43:                             ;   in Loop: Header=BB112_24 Depth=2
	s_or_b32 exec_lo, exec_lo, s10
	s_delay_alu instid0(SALU_CYCLE_1)
	s_mov_b32 s10, exec_lo
	v_cmpx_gt_u32_e64 s8, v82
	s_cbranch_execz .LBB112_45
.LBB112_44:                             ;   in Loop: Header=BB112_24 Depth=2
	global_load_u8 v26, v[24:25], off offset:4096
.LBB112_45:                             ;   in Loop: Header=BB112_24 Depth=2
	s_wait_xcnt 0x0
	s_or_b32 exec_lo, exec_lo, s10
	s_wait_loadcnt 0x0
	v_dual_mov_b32 v24, v39 :: v_dual_mov_b32 v25, v42
	v_dual_mov_b32 v43, v41 :: v_dual_mov_b32 v44, v40
	;; [unrolled: 1-line block ×8, first 2 shown]
	v_mov_b32_e32 v57, v26
	s_mov_b32 s10, s8
.LBB112_46:                             ;   in Loop: Header=BB112_24 Depth=2
	s_wait_loadcnt 0xf
	s_delay_alu instid0(VALU_DEP_1)
	v_dual_mov_b32 v26, v57 :: v_dual_mov_b32 v27, v56
	s_wait_loadcnt 0xd
	v_dual_mov_b32 v28, v55 :: v_dual_mov_b32 v29, v54
	s_wait_loadcnt 0xb
	;; [unrolled: 2-line block ×8, first 2 shown]
	v_mov_b32_e32 v39, v24
	s_mov_b32 s11, exec_lo
	s_wait_xcnt 0x0
	v_cmpx_gt_u32_e64 s10, v2
	s_cbranch_execnz .LBB112_63
; %bb.47:                               ;   in Loop: Header=BB112_24 Depth=2
	s_or_b32 exec_lo, exec_lo, s11
	s_delay_alu instid0(SALU_CYCLE_1)
	s_mov_b32 s11, exec_lo
	v_cmpx_gt_u32_e64 s10, v67
	s_cbranch_execnz .LBB112_64
.LBB112_48:                             ;   in Loop: Header=BB112_24 Depth=2
	s_or_b32 exec_lo, exec_lo, s11
	s_delay_alu instid0(SALU_CYCLE_1)
	s_mov_b32 s11, exec_lo
	v_cmpx_gt_u32_e64 s10, v68
	s_cbranch_execnz .LBB112_65
.LBB112_49:                             ;   in Loop: Header=BB112_24 Depth=2
	s_or_b32 exec_lo, exec_lo, s11
	s_delay_alu instid0(SALU_CYCLE_1)
	s_mov_b32 s11, exec_lo
	v_cmpx_gt_u32_e64 s10, v69
	s_cbranch_execnz .LBB112_66
.LBB112_50:                             ;   in Loop: Header=BB112_24 Depth=2
	s_or_b32 exec_lo, exec_lo, s11
	s_delay_alu instid0(SALU_CYCLE_1)
	s_mov_b32 s11, exec_lo
	v_cmpx_gt_u32_e64 s10, v70
	s_cbranch_execnz .LBB112_67
.LBB112_51:                             ;   in Loop: Header=BB112_24 Depth=2
	s_or_b32 exec_lo, exec_lo, s11
	s_delay_alu instid0(SALU_CYCLE_1)
	s_mov_b32 s11, exec_lo
	v_cmpx_gt_u32_e64 s10, v71
	s_cbranch_execnz .LBB112_68
.LBB112_52:                             ;   in Loop: Header=BB112_24 Depth=2
	s_or_b32 exec_lo, exec_lo, s11
	s_delay_alu instid0(SALU_CYCLE_1)
	s_mov_b32 s11, exec_lo
	v_cmpx_gt_u32_e64 s10, v72
	s_cbranch_execnz .LBB112_69
.LBB112_53:                             ;   in Loop: Header=BB112_24 Depth=2
	s_or_b32 exec_lo, exec_lo, s11
	s_delay_alu instid0(SALU_CYCLE_1)
	s_mov_b32 s11, exec_lo
	v_cmpx_gt_u32_e64 s10, v73
	s_cbranch_execnz .LBB112_70
.LBB112_54:                             ;   in Loop: Header=BB112_24 Depth=2
	s_or_b32 exec_lo, exec_lo, s11
	s_delay_alu instid0(SALU_CYCLE_1)
	s_mov_b32 s11, exec_lo
	v_cmpx_gt_u32_e64 s10, v74
	s_cbranch_execnz .LBB112_71
.LBB112_55:                             ;   in Loop: Header=BB112_24 Depth=2
	s_or_b32 exec_lo, exec_lo, s11
	s_delay_alu instid0(SALU_CYCLE_1)
	s_mov_b32 s11, exec_lo
	v_cmpx_gt_u32_e64 s10, v75
	s_cbranch_execnz .LBB112_72
.LBB112_56:                             ;   in Loop: Header=BB112_24 Depth=2
	s_or_b32 exec_lo, exec_lo, s11
	s_delay_alu instid0(SALU_CYCLE_1)
	s_mov_b32 s11, exec_lo
	v_cmpx_gt_u32_e64 s10, v76
	s_cbranch_execnz .LBB112_73
.LBB112_57:                             ;   in Loop: Header=BB112_24 Depth=2
	s_or_b32 exec_lo, exec_lo, s11
	s_delay_alu instid0(SALU_CYCLE_1)
	s_mov_b32 s11, exec_lo
	v_cmpx_gt_u32_e64 s10, v77
	s_cbranch_execnz .LBB112_74
.LBB112_58:                             ;   in Loop: Header=BB112_24 Depth=2
	s_or_b32 exec_lo, exec_lo, s11
	s_delay_alu instid0(SALU_CYCLE_1)
	s_mov_b32 s11, exec_lo
	v_cmpx_gt_u32_e64 s10, v78
	s_cbranch_execnz .LBB112_75
.LBB112_59:                             ;   in Loop: Header=BB112_24 Depth=2
	s_or_b32 exec_lo, exec_lo, s11
	s_delay_alu instid0(SALU_CYCLE_1)
	s_mov_b32 s11, exec_lo
	v_cmpx_gt_u32_e64 s10, v79
	s_cbranch_execnz .LBB112_76
.LBB112_60:                             ;   in Loop: Header=BB112_24 Depth=2
	s_or_b32 exec_lo, exec_lo, s11
	s_delay_alu instid0(SALU_CYCLE_1)
	s_mov_b32 s11, exec_lo
	v_cmpx_gt_u32_e64 s10, v80
	s_cbranch_execnz .LBB112_77
.LBB112_61:                             ;   in Loop: Header=BB112_24 Depth=2
	s_or_b32 exec_lo, exec_lo, s11
	s_delay_alu instid0(SALU_CYCLE_1)
	s_mov_b32 s11, exec_lo
	v_cmpx_gt_u32_e64 s10, v81
	s_cbranch_execnz .LBB112_78
.LBB112_62:                             ;   in Loop: Header=BB112_24 Depth=2
	s_or_b32 exec_lo, exec_lo, s11
	v_cmp_gt_u32_e32 vcc_lo, s10, v82
	s_and_saveexec_b32 s10, vcc_lo
	s_cbranch_execz .LBB112_23
	s_branch .LBB112_79
.LBB112_63:                             ;   in Loop: Header=BB112_24 Depth=2
	v_xor_b32_e32 v24, -1, v39
	s_delay_alu instid0(VALU_DEP_1) | instskip(NEXT) | instid1(VALU_DEP_1)
	v_and_b32_e32 v24, 0xff, v24
	v_lshrrev_b32_e32 v24, s43, v24
	s_delay_alu instid0(VALU_DEP_1) | instskip(NEXT) | instid1(VALU_DEP_1)
	v_and_b32_e32 v24, s48, v24
	v_lshl_or_b32 v24, v24, 4, v84
	ds_add_u32 v24, v7
	s_or_b32 exec_lo, exec_lo, s11
	s_delay_alu instid0(SALU_CYCLE_1)
	s_mov_b32 s11, exec_lo
	v_cmpx_gt_u32_e64 s10, v67
	s_cbranch_execz .LBB112_48
.LBB112_64:                             ;   in Loop: Header=BB112_24 Depth=2
	v_xor_b32_e32 v24, -1, v42
	s_delay_alu instid0(VALU_DEP_1) | instskip(NEXT) | instid1(VALU_DEP_1)
	v_and_b32_e32 v24, 0xff, v24
	v_lshrrev_b32_e32 v24, s43, v24
	s_delay_alu instid0(VALU_DEP_1) | instskip(NEXT) | instid1(VALU_DEP_1)
	v_and_b32_e32 v24, s48, v24
	v_lshl_or_b32 v24, v24, 4, v84
	ds_add_u32 v24, v7
	s_or_b32 exec_lo, exec_lo, s11
	s_delay_alu instid0(SALU_CYCLE_1)
	s_mov_b32 s11, exec_lo
	v_cmpx_gt_u32_e64 s10, v68
	s_cbranch_execz .LBB112_49
.LBB112_65:                             ;   in Loop: Header=BB112_24 Depth=2
	v_xor_b32_e32 v24, -1, v41
	s_delay_alu instid0(VALU_DEP_1) | instskip(NEXT) | instid1(VALU_DEP_1)
	v_and_b32_e32 v24, 0xff, v24
	v_lshrrev_b32_e32 v24, s43, v24
	s_delay_alu instid0(VALU_DEP_1) | instskip(NEXT) | instid1(VALU_DEP_1)
	v_and_b32_e32 v24, s48, v24
	v_lshl_or_b32 v24, v24, 4, v84
	ds_add_u32 v24, v7
	s_or_b32 exec_lo, exec_lo, s11
	s_delay_alu instid0(SALU_CYCLE_1)
	s_mov_b32 s11, exec_lo
	v_cmpx_gt_u32_e64 s10, v69
	s_cbranch_execz .LBB112_50
.LBB112_66:                             ;   in Loop: Header=BB112_24 Depth=2
	v_xor_b32_e32 v24, -1, v40
	s_delay_alu instid0(VALU_DEP_1) | instskip(NEXT) | instid1(VALU_DEP_1)
	v_and_b32_e32 v24, 0xff, v24
	v_lshrrev_b32_e32 v24, s43, v24
	s_delay_alu instid0(VALU_DEP_1) | instskip(NEXT) | instid1(VALU_DEP_1)
	v_and_b32_e32 v24, s48, v24
	v_lshl_or_b32 v24, v24, 4, v84
	ds_add_u32 v24, v7
	s_or_b32 exec_lo, exec_lo, s11
	s_delay_alu instid0(SALU_CYCLE_1)
	s_mov_b32 s11, exec_lo
	v_cmpx_gt_u32_e64 s10, v70
	s_cbranch_execz .LBB112_51
.LBB112_67:                             ;   in Loop: Header=BB112_24 Depth=2
	v_xor_b32_e32 v24, -1, v38
	s_delay_alu instid0(VALU_DEP_1) | instskip(NEXT) | instid1(VALU_DEP_1)
	v_and_b32_e32 v24, 0xff, v24
	v_lshrrev_b32_e32 v24, s43, v24
	s_delay_alu instid0(VALU_DEP_1) | instskip(NEXT) | instid1(VALU_DEP_1)
	v_and_b32_e32 v24, s48, v24
	v_lshl_or_b32 v24, v24, 4, v84
	ds_add_u32 v24, v7
	s_or_b32 exec_lo, exec_lo, s11
	s_delay_alu instid0(SALU_CYCLE_1)
	s_mov_b32 s11, exec_lo
	v_cmpx_gt_u32_e64 s10, v71
	s_cbranch_execz .LBB112_52
.LBB112_68:                             ;   in Loop: Header=BB112_24 Depth=2
	v_xor_b32_e32 v24, -1, v37
	s_delay_alu instid0(VALU_DEP_1) | instskip(NEXT) | instid1(VALU_DEP_1)
	v_and_b32_e32 v24, 0xff, v24
	v_lshrrev_b32_e32 v24, s43, v24
	s_delay_alu instid0(VALU_DEP_1) | instskip(NEXT) | instid1(VALU_DEP_1)
	v_and_b32_e32 v24, s48, v24
	v_lshl_or_b32 v24, v24, 4, v84
	ds_add_u32 v24, v7
	s_or_b32 exec_lo, exec_lo, s11
	s_delay_alu instid0(SALU_CYCLE_1)
	s_mov_b32 s11, exec_lo
	v_cmpx_gt_u32_e64 s10, v72
	s_cbranch_execz .LBB112_53
.LBB112_69:                             ;   in Loop: Header=BB112_24 Depth=2
	v_xor_b32_e32 v24, -1, v36
	s_delay_alu instid0(VALU_DEP_1) | instskip(NEXT) | instid1(VALU_DEP_1)
	v_and_b32_e32 v24, 0xff, v24
	v_lshrrev_b32_e32 v24, s43, v24
	s_delay_alu instid0(VALU_DEP_1) | instskip(NEXT) | instid1(VALU_DEP_1)
	v_and_b32_e32 v24, s48, v24
	v_lshl_or_b32 v24, v24, 4, v84
	ds_add_u32 v24, v7
	s_or_b32 exec_lo, exec_lo, s11
	s_delay_alu instid0(SALU_CYCLE_1)
	s_mov_b32 s11, exec_lo
	v_cmpx_gt_u32_e64 s10, v73
	s_cbranch_execz .LBB112_54
.LBB112_70:                             ;   in Loop: Header=BB112_24 Depth=2
	v_xor_b32_e32 v24, -1, v35
	s_delay_alu instid0(VALU_DEP_1) | instskip(NEXT) | instid1(VALU_DEP_1)
	v_and_b32_e32 v24, 0xff, v24
	v_lshrrev_b32_e32 v24, s43, v24
	s_delay_alu instid0(VALU_DEP_1) | instskip(NEXT) | instid1(VALU_DEP_1)
	v_and_b32_e32 v24, s48, v24
	v_lshl_or_b32 v24, v24, 4, v84
	ds_add_u32 v24, v7
	s_or_b32 exec_lo, exec_lo, s11
	s_delay_alu instid0(SALU_CYCLE_1)
	s_mov_b32 s11, exec_lo
	v_cmpx_gt_u32_e64 s10, v74
	s_cbranch_execz .LBB112_55
.LBB112_71:                             ;   in Loop: Header=BB112_24 Depth=2
	v_xor_b32_e32 v24, -1, v34
	s_delay_alu instid0(VALU_DEP_1) | instskip(NEXT) | instid1(VALU_DEP_1)
	v_and_b32_e32 v24, 0xff, v24
	v_lshrrev_b32_e32 v24, s43, v24
	s_delay_alu instid0(VALU_DEP_1) | instskip(NEXT) | instid1(VALU_DEP_1)
	v_and_b32_e32 v24, s48, v24
	v_lshl_or_b32 v24, v24, 4, v84
	ds_add_u32 v24, v7
	s_or_b32 exec_lo, exec_lo, s11
	s_delay_alu instid0(SALU_CYCLE_1)
	s_mov_b32 s11, exec_lo
	v_cmpx_gt_u32_e64 s10, v75
	s_cbranch_execz .LBB112_56
.LBB112_72:                             ;   in Loop: Header=BB112_24 Depth=2
	v_xor_b32_e32 v24, -1, v33
	s_delay_alu instid0(VALU_DEP_1) | instskip(NEXT) | instid1(VALU_DEP_1)
	v_and_b32_e32 v24, 0xff, v24
	v_lshrrev_b32_e32 v24, s43, v24
	s_delay_alu instid0(VALU_DEP_1) | instskip(NEXT) | instid1(VALU_DEP_1)
	v_and_b32_e32 v24, s48, v24
	v_lshl_or_b32 v24, v24, 4, v84
	ds_add_u32 v24, v7
	s_or_b32 exec_lo, exec_lo, s11
	s_delay_alu instid0(SALU_CYCLE_1)
	s_mov_b32 s11, exec_lo
	v_cmpx_gt_u32_e64 s10, v76
	s_cbranch_execz .LBB112_57
.LBB112_73:                             ;   in Loop: Header=BB112_24 Depth=2
	v_xor_b32_e32 v24, -1, v32
	s_delay_alu instid0(VALU_DEP_1) | instskip(NEXT) | instid1(VALU_DEP_1)
	v_and_b32_e32 v24, 0xff, v24
	v_lshrrev_b32_e32 v24, s43, v24
	s_delay_alu instid0(VALU_DEP_1) | instskip(NEXT) | instid1(VALU_DEP_1)
	v_and_b32_e32 v24, s48, v24
	v_lshl_or_b32 v24, v24, 4, v84
	ds_add_u32 v24, v7
	s_or_b32 exec_lo, exec_lo, s11
	s_delay_alu instid0(SALU_CYCLE_1)
	s_mov_b32 s11, exec_lo
	v_cmpx_gt_u32_e64 s10, v77
	s_cbranch_execz .LBB112_58
.LBB112_74:                             ;   in Loop: Header=BB112_24 Depth=2
	v_xor_b32_e32 v24, -1, v31
	s_delay_alu instid0(VALU_DEP_1) | instskip(NEXT) | instid1(VALU_DEP_1)
	v_and_b32_e32 v24, 0xff, v24
	v_lshrrev_b32_e32 v24, s43, v24
	s_delay_alu instid0(VALU_DEP_1) | instskip(NEXT) | instid1(VALU_DEP_1)
	v_and_b32_e32 v24, s48, v24
	v_lshl_or_b32 v24, v24, 4, v84
	ds_add_u32 v24, v7
	s_or_b32 exec_lo, exec_lo, s11
	s_delay_alu instid0(SALU_CYCLE_1)
	s_mov_b32 s11, exec_lo
	v_cmpx_gt_u32_e64 s10, v78
	s_cbranch_execz .LBB112_59
.LBB112_75:                             ;   in Loop: Header=BB112_24 Depth=2
	v_xor_b32_e32 v24, -1, v30
	s_delay_alu instid0(VALU_DEP_1) | instskip(NEXT) | instid1(VALU_DEP_1)
	v_and_b32_e32 v24, 0xff, v24
	v_lshrrev_b32_e32 v24, s43, v24
	s_delay_alu instid0(VALU_DEP_1) | instskip(NEXT) | instid1(VALU_DEP_1)
	v_and_b32_e32 v24, s48, v24
	v_lshl_or_b32 v24, v24, 4, v84
	ds_add_u32 v24, v7
	s_or_b32 exec_lo, exec_lo, s11
	s_delay_alu instid0(SALU_CYCLE_1)
	s_mov_b32 s11, exec_lo
	v_cmpx_gt_u32_e64 s10, v79
	s_cbranch_execz .LBB112_60
.LBB112_76:                             ;   in Loop: Header=BB112_24 Depth=2
	v_xor_b32_e32 v24, -1, v29
	s_delay_alu instid0(VALU_DEP_1) | instskip(NEXT) | instid1(VALU_DEP_1)
	v_and_b32_e32 v24, 0xff, v24
	v_lshrrev_b32_e32 v24, s43, v24
	s_delay_alu instid0(VALU_DEP_1) | instskip(NEXT) | instid1(VALU_DEP_1)
	v_and_b32_e32 v24, s48, v24
	v_lshl_or_b32 v24, v24, 4, v84
	ds_add_u32 v24, v7
	s_or_b32 exec_lo, exec_lo, s11
	s_delay_alu instid0(SALU_CYCLE_1)
	s_mov_b32 s11, exec_lo
	v_cmpx_gt_u32_e64 s10, v80
	s_cbranch_execz .LBB112_61
.LBB112_77:                             ;   in Loop: Header=BB112_24 Depth=2
	v_xor_b32_e32 v24, -1, v28
	s_delay_alu instid0(VALU_DEP_1) | instskip(NEXT) | instid1(VALU_DEP_1)
	v_and_b32_e32 v24, 0xff, v24
	v_lshrrev_b32_e32 v24, s43, v24
	s_delay_alu instid0(VALU_DEP_1) | instskip(NEXT) | instid1(VALU_DEP_1)
	v_and_b32_e32 v24, s48, v24
	v_lshl_or_b32 v24, v24, 4, v84
	ds_add_u32 v24, v7
	s_or_b32 exec_lo, exec_lo, s11
	s_delay_alu instid0(SALU_CYCLE_1)
	s_mov_b32 s11, exec_lo
	v_cmpx_gt_u32_e64 s10, v81
	s_cbranch_execz .LBB112_62
.LBB112_78:                             ;   in Loop: Header=BB112_24 Depth=2
	v_xor_b32_e32 v24, -1, v27
	s_delay_alu instid0(VALU_DEP_1) | instskip(NEXT) | instid1(VALU_DEP_1)
	v_and_b32_e32 v24, 0xff, v24
	v_lshrrev_b32_e32 v24, s43, v24
	s_delay_alu instid0(VALU_DEP_1) | instskip(NEXT) | instid1(VALU_DEP_1)
	v_and_b32_e32 v24, s48, v24
	v_lshl_or_b32 v24, v24, 4, v84
	ds_add_u32 v24, v7
	s_or_b32 exec_lo, exec_lo, s11
	v_cmp_gt_u32_e32 vcc_lo, s10, v82
	s_and_saveexec_b32 s10, vcc_lo
	s_cbranch_execz .LBB112_23
.LBB112_79:                             ;   in Loop: Header=BB112_24 Depth=2
	v_xor_b32_e32 v24, -1, v26
	s_delay_alu instid0(VALU_DEP_1) | instskip(NEXT) | instid1(VALU_DEP_1)
	v_and_b32_e32 v24, 0xff, v24
	v_lshrrev_b32_e32 v24, s43, v24
	s_delay_alu instid0(VALU_DEP_1) | instskip(NEXT) | instid1(VALU_DEP_1)
	v_and_b32_e32 v24, s48, v24
	v_lshl_or_b32 v24, v24, 4, v84
	ds_add_u32 v24, v7
	s_branch .LBB112_23
.LBB112_80:                             ;   in Loop: Header=BB112_24 Depth=2
	global_load_u8 v39, v[24:25], off
	s_wait_xcnt 0x0
	s_or_b32 exec_lo, exec_lo, s10
	s_delay_alu instid0(SALU_CYCLE_1)
	s_mov_b32 s10, exec_lo
	v_cmpx_gt_u32_e64 s8, v67
	s_cbranch_execz .LBB112_29
.LBB112_81:                             ;   in Loop: Header=BB112_24 Depth=2
	global_load_u8 v42, v[24:25], off offset:256
	s_wait_xcnt 0x0
	s_or_b32 exec_lo, exec_lo, s10
	s_delay_alu instid0(SALU_CYCLE_1)
	s_mov_b32 s10, exec_lo
	v_cmpx_gt_u32_e64 s8, v68
	s_cbranch_execz .LBB112_30
.LBB112_82:                             ;   in Loop: Header=BB112_24 Depth=2
	global_load_u8 v41, v[24:25], off offset:512
	s_wait_xcnt 0x0
	s_or_b32 exec_lo, exec_lo, s10
	s_delay_alu instid0(SALU_CYCLE_1)
	s_mov_b32 s10, exec_lo
	v_cmpx_gt_u32_e64 s8, v69
	s_cbranch_execz .LBB112_31
.LBB112_83:                             ;   in Loop: Header=BB112_24 Depth=2
	global_load_u8 v40, v[24:25], off offset:768
	s_wait_xcnt 0x0
	s_or_b32 exec_lo, exec_lo, s10
	s_delay_alu instid0(SALU_CYCLE_1)
	s_mov_b32 s10, exec_lo
	v_cmpx_gt_u32_e64 s8, v70
	s_cbranch_execz .LBB112_32
.LBB112_84:                             ;   in Loop: Header=BB112_24 Depth=2
	global_load_u8 v38, v[24:25], off offset:1024
	s_wait_xcnt 0x0
	s_or_b32 exec_lo, exec_lo, s10
	s_delay_alu instid0(SALU_CYCLE_1)
	s_mov_b32 s10, exec_lo
	v_cmpx_gt_u32_e64 s8, v71
	s_cbranch_execz .LBB112_33
.LBB112_85:                             ;   in Loop: Header=BB112_24 Depth=2
	global_load_u8 v37, v[24:25], off offset:1280
	s_wait_xcnt 0x0
	s_or_b32 exec_lo, exec_lo, s10
	s_delay_alu instid0(SALU_CYCLE_1)
	s_mov_b32 s10, exec_lo
	v_cmpx_gt_u32_e64 s8, v72
	s_cbranch_execz .LBB112_34
.LBB112_86:                             ;   in Loop: Header=BB112_24 Depth=2
	global_load_u8 v36, v[24:25], off offset:1536
	s_wait_xcnt 0x0
	s_or_b32 exec_lo, exec_lo, s10
	s_delay_alu instid0(SALU_CYCLE_1)
	s_mov_b32 s10, exec_lo
	v_cmpx_gt_u32_e64 s8, v73
	s_cbranch_execz .LBB112_35
.LBB112_87:                             ;   in Loop: Header=BB112_24 Depth=2
	global_load_u8 v35, v[24:25], off offset:1792
	s_wait_xcnt 0x0
	s_or_b32 exec_lo, exec_lo, s10
	s_delay_alu instid0(SALU_CYCLE_1)
	s_mov_b32 s10, exec_lo
	v_cmpx_gt_u32_e64 s8, v74
	s_cbranch_execz .LBB112_36
.LBB112_88:                             ;   in Loop: Header=BB112_24 Depth=2
	global_load_u8 v34, v[24:25], off offset:2048
	s_wait_xcnt 0x0
	s_or_b32 exec_lo, exec_lo, s10
	s_delay_alu instid0(SALU_CYCLE_1)
	s_mov_b32 s10, exec_lo
	v_cmpx_gt_u32_e64 s8, v75
	s_cbranch_execz .LBB112_37
.LBB112_89:                             ;   in Loop: Header=BB112_24 Depth=2
	global_load_u8 v33, v[24:25], off offset:2304
	s_wait_xcnt 0x0
	s_or_b32 exec_lo, exec_lo, s10
	s_delay_alu instid0(SALU_CYCLE_1)
	s_mov_b32 s10, exec_lo
	v_cmpx_gt_u32_e64 s8, v76
	s_cbranch_execz .LBB112_38
.LBB112_90:                             ;   in Loop: Header=BB112_24 Depth=2
	global_load_u8 v32, v[24:25], off offset:2560
	s_wait_xcnt 0x0
	s_or_b32 exec_lo, exec_lo, s10
	s_delay_alu instid0(SALU_CYCLE_1)
	s_mov_b32 s10, exec_lo
	v_cmpx_gt_u32_e64 s8, v77
	s_cbranch_execz .LBB112_39
.LBB112_91:                             ;   in Loop: Header=BB112_24 Depth=2
	global_load_u8 v31, v[24:25], off offset:2816
	s_wait_xcnt 0x0
	s_or_b32 exec_lo, exec_lo, s10
	s_delay_alu instid0(SALU_CYCLE_1)
	s_mov_b32 s10, exec_lo
	v_cmpx_gt_u32_e64 s8, v78
	s_cbranch_execz .LBB112_40
.LBB112_92:                             ;   in Loop: Header=BB112_24 Depth=2
	global_load_u8 v30, v[24:25], off offset:3072
	s_wait_xcnt 0x0
	s_or_b32 exec_lo, exec_lo, s10
	s_delay_alu instid0(SALU_CYCLE_1)
	s_mov_b32 s10, exec_lo
	v_cmpx_gt_u32_e64 s8, v79
	s_cbranch_execz .LBB112_41
.LBB112_93:                             ;   in Loop: Header=BB112_24 Depth=2
	global_load_u8 v29, v[24:25], off offset:3328
	s_wait_xcnt 0x0
	s_or_b32 exec_lo, exec_lo, s10
	s_delay_alu instid0(SALU_CYCLE_1)
	s_mov_b32 s10, exec_lo
	v_cmpx_gt_u32_e64 s8, v80
	s_cbranch_execz .LBB112_42
.LBB112_94:                             ;   in Loop: Header=BB112_24 Depth=2
	global_load_u8 v28, v[24:25], off offset:3584
	s_wait_xcnt 0x0
	s_or_b32 exec_lo, exec_lo, s10
	s_delay_alu instid0(SALU_CYCLE_1)
	s_mov_b32 s10, exec_lo
	v_cmpx_gt_u32_e64 s8, v81
	s_cbranch_execz .LBB112_43
.LBB112_95:                             ;   in Loop: Header=BB112_24 Depth=2
	global_load_u8 v27, v[24:25], off offset:3840
	s_wait_xcnt 0x0
	s_or_b32 exec_lo, exec_lo, s10
	s_delay_alu instid0(SALU_CYCLE_1)
	s_mov_b32 s10, exec_lo
	v_cmpx_gt_u32_e64 s8, v82
	s_cbranch_execnz .LBB112_44
	s_branch .LBB112_45
.LBB112_96:                             ;   in Loop: Header=BB112_20 Depth=1
	v_mov_b32_e32 v24, 0
	s_wait_dscnt 0x0
	s_barrier_signal -1
	s_barrier_wait -1
	s_and_saveexec_b32 s8, s0
	s_cbranch_execz .LBB112_98
; %bb.97:                               ;   in Loop: Header=BB112_20 Depth=1
	ds_load_2addr_b64 v[24:27], v85 offset1:1
	s_wait_dscnt 0x0
	v_add_nc_u32_e32 v24, v25, v24
	s_delay_alu instid0(VALU_DEP_1)
	v_add3_u32 v24, v24, v26, v27
.LBB112_98:                             ;   in Loop: Header=BB112_20 Depth=1
	s_or_b32 exec_lo, exec_lo, s8
	v_and_b32_e32 v25, 15, v0
	s_delay_alu instid0(VALU_DEP_2) | instskip(SKIP_1) | instid1(VALU_DEP_3)
	v_mov_b32_dpp v26, v24 row_shr:1 row_mask:0xf bank_mask:0xf
	v_and_b32_e32 v27, 16, v0
	v_cmp_eq_u32_e64 s8, 0, v25
	v_cmp_lt_u32_e64 s9, 1, v25
	s_delay_alu instid0(VALU_DEP_3) | instskip(NEXT) | instid1(VALU_DEP_3)
	v_cmp_eq_u32_e64 s12, 0, v27
	v_cndmask_b32_e64 v26, v26, 0, s8
	s_delay_alu instid0(VALU_DEP_1) | instskip(NEXT) | instid1(VALU_DEP_1)
	v_add_nc_u32_e32 v24, v26, v24
	v_mov_b32_dpp v26, v24 row_shr:2 row_mask:0xf bank_mask:0xf
	s_delay_alu instid0(VALU_DEP_1) | instskip(SKIP_2) | instid1(VALU_DEP_3)
	v_cndmask_b32_e64 v26, 0, v26, s9
	v_cmp_lt_u32_e64 s11, 7, v25
	v_cmp_lt_u32_e64 s10, 3, v25
	v_add_nc_u32_e32 v24, v24, v26
	s_delay_alu instid0(VALU_DEP_1) | instskip(NEXT) | instid1(VALU_DEP_1)
	v_mov_b32_dpp v26, v24 row_shr:4 row_mask:0xf bank_mask:0xf
	v_cndmask_b32_e64 v26, 0, v26, s10
	s_delay_alu instid0(VALU_DEP_1) | instskip(NEXT) | instid1(VALU_DEP_1)
	v_add_nc_u32_e32 v24, v24, v26
	v_mov_b32_dpp v26, v24 row_shr:8 row_mask:0xf bank_mask:0xf
	s_delay_alu instid0(VALU_DEP_1) | instskip(SKIP_1) | instid1(VALU_DEP_2)
	v_cndmask_b32_e64 v25, 0, v26, s11
	v_bfe_i32 v26, v0, 4, 1
	v_add_nc_u32_e32 v24, v24, v25
	ds_swizzle_b32 v25, v24 offset:swizzle(BROADCAST,32,15)
	s_wait_dscnt 0x0
	v_and_b32_e32 v25, v26, v25
	s_delay_alu instid0(VALU_DEP_1)
	v_add_nc_u32_e32 v24, v24, v25
	s_and_saveexec_b32 s13, s1
; %bb.99:                               ;   in Loop: Header=BB112_20 Depth=1
	ds_store_b32 v86, v24
; %bb.100:                              ;   in Loop: Header=BB112_20 Depth=1
	s_or_b32 exec_lo, exec_lo, s13
	s_wait_dscnt 0x0
	s_barrier_signal -1
	s_barrier_wait -1
	s_and_saveexec_b32 s13, s4
	s_cbranch_execz .LBB112_102
; %bb.101:                              ;   in Loop: Header=BB112_20 Depth=1
	ds_load_b32 v25, v87
	s_wait_dscnt 0x0
	v_mov_b32_dpp v27, v25 row_shr:1 row_mask:0xf bank_mask:0xf
	v_and_b32_e32 v26, 3, v0
	s_delay_alu instid0(VALU_DEP_1) | instskip(NEXT) | instid1(VALU_DEP_3)
	v_cmp_ne_u32_e32 vcc_lo, 0, v26
	v_cndmask_b32_e32 v27, 0, v27, vcc_lo
	v_cmp_lt_u32_e32 vcc_lo, 1, v26
	s_delay_alu instid0(VALU_DEP_2) | instskip(NEXT) | instid1(VALU_DEP_1)
	v_add_nc_u32_e32 v25, v27, v25
	v_mov_b32_dpp v27, v25 row_shr:2 row_mask:0xf bank_mask:0xf
	s_delay_alu instid0(VALU_DEP_1) | instskip(NEXT) | instid1(VALU_DEP_1)
	v_cndmask_b32_e32 v26, 0, v27, vcc_lo
	v_add_nc_u32_e32 v25, v25, v26
	ds_store_b32 v87, v25
.LBB112_102:                            ;   in Loop: Header=BB112_20 Depth=1
	s_or_b32 exec_lo, exec_lo, s13
	v_mov_b32_e32 v25, 0
	s_wait_dscnt 0x0
	s_barrier_signal -1
	s_barrier_wait -1
	s_and_saveexec_b32 s13, s5
; %bb.103:                              ;   in Loop: Header=BB112_20 Depth=1
	ds_load_b32 v25, v88
; %bb.104:                              ;   in Loop: Header=BB112_20 Depth=1
	s_or_b32 exec_lo, exec_lo, s13
	v_sub_co_u32 v26, s13, v0, 1
	s_wait_dscnt 0x0
	s_barrier_signal -1
	s_barrier_wait -1
	s_delay_alu instid0(VALU_DEP_1) | instskip(SKIP_1) | instid1(VALU_DEP_1)
	v_cmp_gt_i32_e32 vcc_lo, 0, v26
	v_cndmask_b32_e32 v26, v26, v0, vcc_lo
	v_dual_add_nc_u32 v24, v25, v24 :: v_dual_lshlrev_b32 v96, 2, v26
	ds_bpermute_b32 v24, v96, v24
	s_and_saveexec_b32 s14, s0
	s_cbranch_execz .LBB112_106
; %bb.105:                              ;   in Loop: Header=BB112_20 Depth=1
	s_wait_dscnt 0x0
	v_cndmask_b32_e64 v24, v24, v25, s13
	s_delay_alu instid0(VALU_DEP_1)
	v_add_nc_u32_e32 v24, s55, v24
	ds_store_b32 v66, v24
.LBB112_106:                            ;   in Loop: Header=BB112_20 Depth=1
	s_or_b32 exec_lo, exec_lo, s14
	s_clause 0x1
	s_load_b32 s14, s[52:53], 0x4
	s_load_b32 s17, s[52:53], 0xc
	v_dual_lshlrev_b32 v26, 3, v0 :: v_dual_bitop2_b32 v28, 7, v0 bitop3:0x40
	v_dual_mov_b32 v27, v1 :: v_dual_bitop2_b32 v97, v0, v6 bitop3:0x54
	s_wait_dscnt 0x0
	v_add_nc_u64_e32 v[24:25], v[10:11], v[0:1]
	s_delay_alu instid0(VALU_DEP_3)
	v_cmp_lt_u32_e64 s16, 3, v28
	v_mov_b32_e32 v121, 0
	v_add_nc_u64_e32 v[26:27], v[8:9], v[26:27]
	v_dual_add_nc_u32 v98, 32, v97 :: v_dual_add_nc_u32 v99, 64, v97
	v_add_nc_u32_e32 v100, 0x60, v97
	v_add_nc_u32_e32 v101, 0x80, v97
	;; [unrolled: 1-line block ×8, first 2 shown]
	s_wait_kmcnt 0x0
	s_cmp_lt_u32 s42, s14
	v_add_nc_u32_e32 v108, 0x160, v97
	s_cselect_b32 s34, 14, 20
	s_and_b32 s17, s17, 0xffff
	s_add_nc_u64 s[14:15], s[52:53], s[34:35]
	v_add_nc_u32_e32 v109, 0x180, v97
	s_load_u16 s18, s[14:15], 0x0
	s_wait_xcnt 0x0
	v_cmp_eq_u32_e64 s14, 0, v28
	v_cmp_lt_u32_e64 s15, 1, v28
	v_add_nc_u32_e32 v110, 0x1a0, v97
	v_add_nc_u32_e32 v111, 0x1c0, v97
	;; [unrolled: 1-line block ×4, first 2 shown]
	s_mov_b32 s58, s57
	s_mov_b32 s34, s55
                                        ; implicit-def: $vgpr30_vgpr31
                                        ; implicit-def: $vgpr32_vgpr33
                                        ; implicit-def: $vgpr34_vgpr35
                                        ; implicit-def: $vgpr36_vgpr37
                                        ; implicit-def: $vgpr38_vgpr39
                                        ; implicit-def: $vgpr40_vgpr41
                                        ; implicit-def: $vgpr42_vgpr43
                                        ; implicit-def: $vgpr44_vgpr45
                                        ; implicit-def: $vgpr46_vgpr47
                                        ; implicit-def: $vgpr48_vgpr49
                                        ; implicit-def: $vgpr50_vgpr51
                                        ; implicit-def: $vgpr52_vgpr53
                                        ; implicit-def: $vgpr54_vgpr55
                                        ; implicit-def: $vgpr56_vgpr57
                                        ; implicit-def: $vgpr58_vgpr59
                                        ; implicit-def: $vgpr60_vgpr61
                                        ; implicit-def: $vgpr115
                                        ; implicit-def: $vgpr116
                                        ; implicit-def: $vgpr117
                                        ; implicit-def: $vgpr118
                                        ; implicit-def: $vgpr119
                                        ; implicit-def: $vgpr120
                                        ; implicit-def: $vgpr122
                                        ; implicit-def: $vgpr123
                                        ; implicit-def: $vgpr124
                                        ; implicit-def: $vgpr125
                                        ; implicit-def: $vgpr126
                                        ; implicit-def: $vgpr127
                                        ; implicit-def: $vgpr128
                                        ; implicit-def: $vgpr129
                                        ; implicit-def: $vgpr130
                                        ; implicit-def: $vgpr131
                                        ; implicit-def: $vgpr132
                                        ; implicit-def: $vgpr133
                                        ; implicit-def: $vgpr134
	s_wait_kmcnt 0x0
	v_mad_u32_u24 v28, v89, s18, v91
	s_delay_alu instid0(VALU_DEP_1) | instskip(NEXT) | instid1(VALU_DEP_1)
	v_mad_u32 v28, v28, s17, v2
	v_lshrrev_b32_e32 v28, 3, v28
	s_delay_alu instid0(VALU_DEP_1)
	v_and_b32_e32 v114, 0x1ffffffc, v28
                                        ; implicit-def: $vgpr28_vgpr29
	s_branch .LBB112_108
.LBB112_107:                            ;   in Loop: Header=BB112_108 Depth=2
	s_or_b32 exec_lo, exec_lo, s17
	s_addk_co_i32 s58, 0xef00
	s_cmp_lt_u32 s59, s54
	s_mov_b32 s34, s59
	s_cbranch_scc0 .LBB112_330
.LBB112_108:                            ;   Parent Loop BB112_20 Depth=1
                                        ; =>  This Inner Loop Header: Depth=2
	s_add_co_i32 s59, s34, 0x1100
	s_delay_alu instid0(SALU_CYCLE_1)
	s_cmp_gt_u32 s59, s54
	s_cbranch_scc1 .LBB112_110
; %bb.109:                              ;   in Loop: Header=BB112_108 Depth=2
	v_add_nc_u64_e32 v[62:63], s[34:35], v[24:25]
	s_mov_b32 s17, -1
	s_clause 0xf
	global_load_u8 v136, v[62:63], off offset:480
	global_load_u8 v65, v[62:63], off offset:448
	;; [unrolled: 1-line block ×15, first 2 shown]
	global_load_u8 v147, v[62:63], off
	s_movk_i32 s18, 0x1100
	s_cbranch_execz .LBB112_111
	s_branch .LBB112_130
.LBB112_110:                            ;   in Loop: Header=BB112_108 Depth=2
	s_mov_b32 s17, 0
                                        ; implicit-def: $vgpr147
                                        ; implicit-def: $vgpr151
                                        ; implicit-def: $vgpr148
                                        ; implicit-def: $vgpr150
                                        ; implicit-def: $vgpr142
                                        ; implicit-def: $vgpr144
                                        ; implicit-def: $vgpr143
                                        ; implicit-def: $vgpr145
                                        ; implicit-def: $vgpr138
                                        ; implicit-def: $vgpr140
                                        ; implicit-def: $vgpr139
                                        ; implicit-def: $vgpr141
                                        ; implicit-def: $vgpr64
                                        ; implicit-def: $vgpr135
                                        ; implicit-def: $vgpr65
                                        ; implicit-def: $vgpr136
                                        ; implicit-def: $vgpr121
	s_movk_i32 s18, 0x1100
.LBB112_111:                            ;   in Loop: Header=BB112_108 Depth=2
	s_wait_xcnt 0x0
	v_add_nc_u64_e32 v[62:63], s[34:35], v[24:25]
	s_wait_loadcnt 0x0
	v_dual_mov_b32 v148, 0 :: v_dual_mov_b32 v147, 0
	v_dual_mov_b32 v150, 0 :: v_dual_mov_b32 v142, 0
	;; [unrolled: 1-line block ×8, first 2 shown]
	s_mov_b32 s17, exec_lo
	v_cmpx_gt_u32_e64 s58, v97
	s_cbranch_execz .LBB112_113
; %bb.112:                              ;   in Loop: Header=BB112_108 Depth=2
	global_load_u8 v147, v[62:63], off
	v_dual_mov_b32 v150, 0 :: v_dual_mov_b32 v142, 0
	v_dual_mov_b32 v144, 0 :: v_dual_mov_b32 v143, 0
	;; [unrolled: 1-line block ×7, first 2 shown]
.LBB112_113:                            ;   in Loop: Header=BB112_108 Depth=2
	s_wait_xcnt 0x0
	s_or_b32 exec_lo, exec_lo, s17
	v_mov_b32_e32 v151, v148
	s_mov_b32 s17, exec_lo
	v_cmpx_gt_u32_e64 s58, v98
	s_cbranch_execnz .LBB112_316
; %bb.114:                              ;   in Loop: Header=BB112_108 Depth=2
	s_or_b32 exec_lo, exec_lo, s17
	s_delay_alu instid0(SALU_CYCLE_1)
	s_mov_b32 s17, exec_lo
	v_cmpx_gt_u32_e64 s58, v99
	s_cbranch_execnz .LBB112_317
.LBB112_115:                            ;   in Loop: Header=BB112_108 Depth=2
	s_or_b32 exec_lo, exec_lo, s17
	s_delay_alu instid0(SALU_CYCLE_1)
	s_mov_b32 s17, exec_lo
	v_cmpx_gt_u32_e64 s58, v100
	s_cbranch_execnz .LBB112_318
.LBB112_116:                            ;   in Loop: Header=BB112_108 Depth=2
	s_or_b32 exec_lo, exec_lo, s17
	s_delay_alu instid0(SALU_CYCLE_1)
	s_mov_b32 s17, exec_lo
	v_cmpx_gt_u32_e64 s58, v101
	s_cbranch_execnz .LBB112_319
.LBB112_117:                            ;   in Loop: Header=BB112_108 Depth=2
	s_or_b32 exec_lo, exec_lo, s17
	s_delay_alu instid0(SALU_CYCLE_1)
	s_mov_b32 s17, exec_lo
	v_cmpx_gt_u32_e64 s58, v102
	s_cbranch_execnz .LBB112_320
.LBB112_118:                            ;   in Loop: Header=BB112_108 Depth=2
	s_or_b32 exec_lo, exec_lo, s17
	s_delay_alu instid0(SALU_CYCLE_1)
	s_mov_b32 s17, exec_lo
	v_cmpx_gt_u32_e64 s58, v103
	s_cbranch_execnz .LBB112_321
.LBB112_119:                            ;   in Loop: Header=BB112_108 Depth=2
	s_or_b32 exec_lo, exec_lo, s17
	s_delay_alu instid0(SALU_CYCLE_1)
	s_mov_b32 s17, exec_lo
	v_cmpx_gt_u32_e64 s58, v104
	s_cbranch_execnz .LBB112_322
.LBB112_120:                            ;   in Loop: Header=BB112_108 Depth=2
	s_or_b32 exec_lo, exec_lo, s17
	s_delay_alu instid0(SALU_CYCLE_1)
	s_mov_b32 s17, exec_lo
	v_cmpx_gt_u32_e64 s58, v105
	s_cbranch_execnz .LBB112_323
.LBB112_121:                            ;   in Loop: Header=BB112_108 Depth=2
	s_or_b32 exec_lo, exec_lo, s17
	s_delay_alu instid0(SALU_CYCLE_1)
	s_mov_b32 s17, exec_lo
	v_cmpx_gt_u32_e64 s58, v106
	s_cbranch_execnz .LBB112_324
.LBB112_122:                            ;   in Loop: Header=BB112_108 Depth=2
	s_or_b32 exec_lo, exec_lo, s17
	s_delay_alu instid0(SALU_CYCLE_1)
	s_mov_b32 s17, exec_lo
	v_cmpx_gt_u32_e64 s58, v107
	s_cbranch_execnz .LBB112_325
.LBB112_123:                            ;   in Loop: Header=BB112_108 Depth=2
	s_or_b32 exec_lo, exec_lo, s17
	s_delay_alu instid0(SALU_CYCLE_1)
	s_mov_b32 s17, exec_lo
	v_cmpx_gt_u32_e64 s58, v108
	s_cbranch_execnz .LBB112_326
.LBB112_124:                            ;   in Loop: Header=BB112_108 Depth=2
	s_or_b32 exec_lo, exec_lo, s17
	s_delay_alu instid0(SALU_CYCLE_1)
	s_mov_b32 s17, exec_lo
	v_cmpx_gt_u32_e64 s58, v109
	s_cbranch_execnz .LBB112_327
.LBB112_125:                            ;   in Loop: Header=BB112_108 Depth=2
	s_or_b32 exec_lo, exec_lo, s17
	s_delay_alu instid0(SALU_CYCLE_1)
	s_mov_b32 s17, exec_lo
	v_cmpx_gt_u32_e64 s58, v110
	s_cbranch_execnz .LBB112_328
.LBB112_126:                            ;   in Loop: Header=BB112_108 Depth=2
	s_or_b32 exec_lo, exec_lo, s17
	s_delay_alu instid0(SALU_CYCLE_1)
	s_mov_b32 s17, exec_lo
	v_cmpx_gt_u32_e64 s58, v111
	s_cbranch_execnz .LBB112_329
.LBB112_127:                            ;   in Loop: Header=BB112_108 Depth=2
	s_or_b32 exec_lo, exec_lo, s17
	s_delay_alu instid0(SALU_CYCLE_1)
	s_mov_b32 s17, exec_lo
	v_cmpx_gt_u32_e64 s58, v112
	s_cbranch_execz .LBB112_129
.LBB112_128:                            ;   in Loop: Header=BB112_108 Depth=2
	global_load_u8 v136, v[62:63], off offset:480
.LBB112_129:                            ;   in Loop: Header=BB112_108 Depth=2
	s_wait_xcnt 0x0
	s_or_b32 exec_lo, exec_lo, s17
	v_cmp_gt_u32_e64 s17, s58, v113
	s_sub_co_i32 s18, s54, s34
.LBB112_130:                            ;   in Loop: Header=BB112_108 Depth=2
	v_mov_b32_e32 v137, s58
	s_wait_xcnt 0x0
	s_and_saveexec_b32 s19, s17
	s_cbranch_execz .LBB112_132
; %bb.131:                              ;   in Loop: Header=BB112_108 Depth=2
	v_add_nc_u64_e32 v[62:63], s[34:35], v[24:25]
	v_mov_b32_e32 v137, s18
	global_load_u8 v121, v[62:63], off offset:512
.LBB112_132:                            ;   in Loop: Header=BB112_108 Depth=2
	s_wait_xcnt 0x0
	s_or_b32 exec_lo, exec_lo, s19
	s_wait_loadcnt 0x0
	v_bitop3_b16 v62, v147, 0xff, v147 bitop3:0xc
	ds_store_2addr_b32 v90, v1, v1 offset0:136 offset1:137
	ds_store_2addr_b32 v90, v1, v1 offset0:138 offset1:139
	ds_store_b32 v90, v1 offset:560
	s_wait_dscnt 0x0
	s_barrier_signal -1
	s_barrier_wait -1
	v_and_b32_e32 v62, 0xffff, v62
	; wave barrier
	s_delay_alu instid0(VALU_DEP_1) | instskip(NEXT) | instid1(VALU_DEP_1)
	v_lshrrev_b32_e32 v62, s43, v62
	v_and_b32_e32 v149, s48, v62
	s_delay_alu instid0(VALU_DEP_1) | instskip(SKIP_1) | instid1(VALU_DEP_1)
	v_lshlrev_b32_e32 v146, 30, v149
	v_bitop3_b32 v63, v62, 1, s48 bitop3:0x80
	v_add_co_u32 v62, s17, v63, -1
	s_delay_alu instid0(VALU_DEP_1) | instskip(NEXT) | instid1(VALU_DEP_4)
	v_cndmask_b32_e64 v63, 0, 1, s17
	v_cmp_gt_i32_e64 s17, 0, v146
	s_delay_alu instid0(VALU_DEP_2) | instskip(SKIP_2) | instid1(VALU_DEP_2)
	v_cmp_ne_u32_e32 vcc_lo, 0, v63
	v_not_b32_e32 v63, v146
	v_bitop3_b32 v62, vcc_lo, exec_lo, v62 bitop3:0x48
	v_dual_ashrrev_i32 v63, 31, v63 :: v_dual_lshlrev_b32 v152, 29, v149
	v_dual_lshlrev_b32 v153, 28, v149 :: v_dual_lshlrev_b32 v154, 27, v149
	v_lshlrev_b32_e32 v155, 26, v149
	s_delay_alu instid0(VALU_DEP_3)
	v_not_b32_e32 v146, v152
	v_lshlrev_b32_e32 v156, 25, v149
	v_cmp_gt_i32_e64 s18, 0, v152
	v_cmp_gt_i32_e64 s19, 0, v153
	v_not_b32_e32 v152, v153
	v_not_b32_e32 v153, v154
	v_ashrrev_i32_e32 v146, 31, v146
	v_cmp_gt_i32_e64 s20, 0, v154
	v_cmp_gt_i32_e64 s21, 0, v155
	v_not_b32_e32 v154, v155
	v_not_b32_e32 v155, v156
	v_dual_ashrrev_i32 v152, 31, v152 :: v_dual_ashrrev_i32 v153, 31, v153
	s_delay_alu instid0(VALU_DEP_3) | instskip(NEXT) | instid1(VALU_DEP_3)
	v_dual_ashrrev_i32 v154, 31, v154 :: v_dual_bitop2_b32 v63, s17, v63 bitop3:0x14
	v_dual_ashrrev_i32 v155, 31, v155 :: v_dual_bitop2_b32 v146, s18, v146 bitop3:0x14
	v_cmp_gt_i32_e64 s22, 0, v156
	s_delay_alu instid0(VALU_DEP_4) | instskip(SKIP_1) | instid1(VALU_DEP_4)
	v_xor_b32_e32 v152, s19, v152
	v_xor_b32_e32 v153, s20, v153
	v_bitop3_b32 v62, v62, v146, v63 bitop3:0x80
	v_xor_b32_e32 v63, s21, v154
	v_xor_b32_e32 v146, s22, v155
	s_delay_alu instid0(VALU_DEP_3) | instskip(NEXT) | instid1(VALU_DEP_1)
	v_bitop3_b32 v62, v62, v153, v152 bitop3:0x80
	v_bitop3_b32 v62, v62, v146, v63 bitop3:0x80
	v_mul_u32_u24_e32 v63, 36, v149
	s_delay_alu instid0(VALU_DEP_2) | instskip(SKIP_1) | instid1(VALU_DEP_3)
	v_mbcnt_lo_u32_b32 v146, v62, 0
	v_cmp_ne_u32_e64 s17, 0, v62
	v_add_nc_u32_e32 v149, v114, v63
	s_delay_alu instid0(VALU_DEP_3) | instskip(SKIP_1) | instid1(SALU_CYCLE_1)
	v_cmp_eq_u32_e32 vcc_lo, 0, v146
	s_and_b32 s18, s17, vcc_lo
	s_and_saveexec_b32 s17, s18
; %bb.133:                              ;   in Loop: Header=BB112_108 Depth=2
	v_bcnt_u32_b32 v62, v62, 0
	ds_store_b32 v149, v62 offset:544
; %bb.134:                              ;   in Loop: Header=BB112_108 Depth=2
	s_or_b32 exec_lo, exec_lo, s17
	v_xor_b32_e32 v62, -1, v151
	v_xor_b32_e32 v63, -1, v150
	; wave barrier
	s_delay_alu instid0(VALU_DEP_2) | instskip(NEXT) | instid1(VALU_DEP_2)
	v_lshlrev_b16 v62, 8, v62
	v_lshlrev_b16 v63, 8, v63
	s_delay_alu instid0(VALU_DEP_2) | instskip(NEXT) | instid1(VALU_DEP_2)
	v_bitop3_b16 v147, v147, v62, 0xff bitop3:0xce
	v_bitop3_b16 v62, v148, v63, 0xff bitop3:0xce
	s_delay_alu instid0(VALU_DEP_2) | instskip(NEXT) | instid1(VALU_DEP_2)
	v_and_b32_e32 v63, 0xffff, v147
	v_lshlrev_b32_e32 v62, 16, v62
	s_delay_alu instid0(VALU_DEP_1) | instskip(NEXT) | instid1(VALU_DEP_1)
	v_or_b32_e32 v148, v63, v62
	v_bfe_u32 v62, v148, 8, 8
	s_delay_alu instid0(VALU_DEP_1) | instskip(NEXT) | instid1(VALU_DEP_1)
	v_lshrrev_b32_e32 v62, s43, v62
	v_bitop3_b32 v63, v62, 1, s48 bitop3:0x80
	v_and_b32_e32 v152, s48, v62
	s_delay_alu instid0(VALU_DEP_2) | instskip(NEXT) | instid1(VALU_DEP_1)
	v_add_co_u32 v62, s17, v63, -1
	v_cndmask_b32_e64 v63, 0, 1, s17
	s_delay_alu instid0(VALU_DEP_3) | instskip(NEXT) | instid1(VALU_DEP_2)
	v_lshlrev_b32_e32 v150, 30, v152
	v_cmp_ne_u32_e32 vcc_lo, 0, v63
	s_delay_alu instid0(VALU_DEP_2) | instskip(SKIP_2) | instid1(VALU_DEP_3)
	v_not_b32_e32 v63, v150
	v_cmp_gt_i32_e64 s17, 0, v150
	v_bitop3_b32 v62, vcc_lo, exec_lo, v62 bitop3:0x48
	v_dual_ashrrev_i32 v63, 31, v63 :: v_dual_lshlrev_b32 v151, 29, v152
	v_dual_lshlrev_b32 v153, 28, v152 :: v_dual_lshlrev_b32 v154, 27, v152
	v_lshlrev_b32_e32 v155, 26, v152
	s_delay_alu instid0(VALU_DEP_3)
	v_not_b32_e32 v150, v151
	v_lshlrev_b32_e32 v156, 25, v152
	v_cmp_gt_i32_e64 s18, 0, v151
	v_cmp_gt_i32_e64 s19, 0, v153
	v_not_b32_e32 v151, v153
	v_ashrrev_i32_e32 v150, 31, v150
	v_cmp_gt_i32_e64 s20, 0, v154
	v_not_b32_e32 v153, v154
	v_cmp_gt_i32_e64 s21, 0, v155
	v_not_b32_e32 v154, v155
	v_not_b32_e32 v155, v156
	v_xor_b32_e32 v63, s17, v63
	v_dual_ashrrev_i32 v151, 31, v151 :: v_dual_bitop2_b32 v150, s18, v150 bitop3:0x14
	s_delay_alu instid0(VALU_DEP_4) | instskip(NEXT) | instid1(VALU_DEP_4)
	v_dual_ashrrev_i32 v153, 31, v153 :: v_dual_ashrrev_i32 v154, 31, v154
	v_ashrrev_i32_e32 v155, 31, v155
	s_delay_alu instid0(VALU_DEP_3)
	v_bitop3_b32 v62, v62, v150, v63 bitop3:0x80
	v_mad_u32_u24 v63, v152, 36, v114
	v_cmp_gt_i32_e64 s22, 0, v156
	v_xor_b32_e32 v151, s19, v151
	v_xor_b32_e32 v154, s21, v154
	ds_load_b32 v150, v63 offset:544
	v_mul_u32_u24_e32 v63, 36, v152
	v_xor_b32_e32 v153, s20, v153
	v_xor_b32_e32 v155, s22, v155
	; wave barrier
	s_delay_alu instid0(VALU_DEP_3) | instskip(NEXT) | instid1(VALU_DEP_3)
	v_add_nc_u32_e32 v152, v114, v63
	v_bitop3_b32 v62, v62, v153, v151 bitop3:0x80
	s_delay_alu instid0(VALU_DEP_1) | instskip(NEXT) | instid1(VALU_DEP_1)
	v_bitop3_b32 v62, v62, v155, v154 bitop3:0x80
	v_mbcnt_lo_u32_b32 v151, v62, 0
	v_cmp_ne_u32_e64 s17, 0, v62
	s_delay_alu instid0(VALU_DEP_2) | instskip(SKIP_1) | instid1(SALU_CYCLE_1)
	v_cmp_eq_u32_e32 vcc_lo, 0, v151
	s_and_b32 s18, s17, vcc_lo
	s_and_saveexec_b32 s17, s18
	s_cbranch_execz .LBB112_136
; %bb.135:                              ;   in Loop: Header=BB112_108 Depth=2
	s_wait_dscnt 0x0
	v_bcnt_u32_b32 v62, v62, v150
	ds_store_b32 v152, v62 offset:544
.LBB112_136:                            ;   in Loop: Header=BB112_108 Depth=2
	s_or_b32 exec_lo, exec_lo, s17
	v_bfe_u32 v62, v148, 16, 8
	; wave barrier
	s_delay_alu instid0(VALU_DEP_1) | instskip(NEXT) | instid1(VALU_DEP_1)
	v_lshrrev_b32_e32 v62, s43, v62
	v_and_b32_e32 v155, s48, v62
	s_delay_alu instid0(VALU_DEP_1) | instskip(SKIP_1) | instid1(VALU_DEP_1)
	v_lshlrev_b32_e32 v153, 30, v155
	v_bitop3_b32 v63, v62, 1, s48 bitop3:0x80
	v_add_co_u32 v62, s17, v63, -1
	s_delay_alu instid0(VALU_DEP_1) | instskip(NEXT) | instid1(VALU_DEP_4)
	v_cndmask_b32_e64 v63, 0, 1, s17
	v_cmp_gt_i32_e64 s17, 0, v153
	s_delay_alu instid0(VALU_DEP_2) | instskip(SKIP_2) | instid1(VALU_DEP_2)
	v_cmp_ne_u32_e32 vcc_lo, 0, v63
	v_not_b32_e32 v63, v153
	v_bitop3_b32 v62, vcc_lo, exec_lo, v62 bitop3:0x48
	v_ashrrev_i32_e32 v63, 31, v63
	v_dual_lshlrev_b32 v154, 29, v155 :: v_dual_lshlrev_b32 v156, 28, v155
	v_dual_lshlrev_b32 v157, 27, v155 :: v_dual_lshlrev_b32 v158, 26, v155
	s_delay_alu instid0(VALU_DEP_2)
	v_not_b32_e32 v153, v154
	v_lshlrev_b32_e32 v159, 25, v155
	v_cmp_gt_i32_e64 s18, 0, v154
	v_cmp_gt_i32_e64 s19, 0, v156
	v_not_b32_e32 v154, v156
	v_not_b32_e32 v156, v157
	v_ashrrev_i32_e32 v153, 31, v153
	v_cmp_gt_i32_e64 s20, 0, v157
	v_cmp_gt_i32_e64 s21, 0, v158
	v_not_b32_e32 v157, v158
	v_dual_ashrrev_i32 v154, 31, v154 :: v_dual_ashrrev_i32 v156, 31, v156
	v_xor_b32_e32 v63, s17, v63
	v_not_b32_e32 v158, v159
	v_xor_b32_e32 v153, s18, v153
	s_delay_alu instid0(VALU_DEP_4) | instskip(SKIP_2) | instid1(VALU_DEP_4)
	v_dual_ashrrev_i32 v157, 31, v157 :: v_dual_bitop2_b32 v154, s19, v154 bitop3:0x14
	v_xor_b32_e32 v156, s20, v156
	v_cmp_gt_i32_e32 vcc_lo, 0, v159
	v_bitop3_b32 v62, v62, v153, v63 bitop3:0x80
	v_ashrrev_i32_e32 v63, 31, v158
	v_mad_u32_u24 v153, v155, 36, v114
	v_xor_b32_e32 v157, s21, v157
	s_delay_alu instid0(VALU_DEP_4) | instskip(NEXT) | instid1(VALU_DEP_4)
	v_bitop3_b32 v62, v62, v156, v154 bitop3:0x80
	v_xor_b32_e32 v63, vcc_lo, v63
	ds_load_b32 v153, v153 offset:544
	; wave barrier
	v_bitop3_b32 v62, v62, v63, v157 bitop3:0x80
	v_mul_u32_u24_e32 v63, 36, v155
	s_delay_alu instid0(VALU_DEP_2) | instskip(SKIP_1) | instid1(VALU_DEP_3)
	v_mbcnt_lo_u32_b32 v154, v62, 0
	v_cmp_ne_u32_e64 s17, 0, v62
	v_add_nc_u32_e32 v156, v114, v63
	s_delay_alu instid0(VALU_DEP_3) | instskip(SKIP_1) | instid1(SALU_CYCLE_1)
	v_cmp_eq_u32_e32 vcc_lo, 0, v154
	s_and_b32 s18, s17, vcc_lo
	s_and_saveexec_b32 s17, s18
	s_cbranch_execz .LBB112_138
; %bb.137:                              ;   in Loop: Header=BB112_108 Depth=2
	s_wait_dscnt 0x0
	v_bcnt_u32_b32 v62, v62, v153
	ds_store_b32 v156, v62 offset:544
.LBB112_138:                            ;   in Loop: Header=BB112_108 Depth=2
	s_or_b32 exec_lo, exec_lo, s17
	v_lshrrev_b32_e32 v155, 24, v148
	; wave barrier
	s_delay_alu instid0(VALU_DEP_1) | instskip(NEXT) | instid1(VALU_DEP_1)
	v_lshrrev_b32_e32 v62, s43, v155
	v_bitop3_b32 v63, v62, 1, s48 bitop3:0x80
	v_and_b32_e32 v159, s48, v62
	s_delay_alu instid0(VALU_DEP_2) | instskip(NEXT) | instid1(VALU_DEP_1)
	v_add_co_u32 v62, s17, v63, -1
	v_cndmask_b32_e64 v63, 0, 1, s17
	s_delay_alu instid0(VALU_DEP_3) | instskip(SKIP_1) | instid1(VALU_DEP_3)
	v_dual_lshlrev_b32 v157, 30, v159 :: v_dual_lshlrev_b32 v158, 29, v159
	v_dual_lshlrev_b32 v160, 28, v159 :: v_dual_lshlrev_b32 v161, 27, v159
	v_cmp_ne_u32_e32 vcc_lo, 0, v63
	s_delay_alu instid0(VALU_DEP_3)
	v_cmp_gt_i32_e64 s17, 0, v157
	v_not_b32_e32 v63, v157
	v_not_b32_e32 v157, v158
	v_dual_lshlrev_b32 v162, 26, v159 :: v_dual_lshlrev_b32 v163, 25, v159
	v_cmp_gt_i32_e64 s18, 0, v158
	v_cmp_gt_i32_e64 s19, 0, v160
	v_not_b32_e32 v158, v160
	v_not_b32_e32 v160, v161
	v_dual_ashrrev_i32 v63, 31, v63 :: v_dual_ashrrev_i32 v157, 31, v157
	v_cmp_gt_i32_e64 s20, 0, v161
	v_cmp_gt_i32_e64 s21, 0, v162
	v_not_b32_e32 v161, v162
	v_bitop3_b32 v62, vcc_lo, exec_lo, v62 bitop3:0x48
	v_dual_ashrrev_i32 v158, 31, v158 :: v_dual_ashrrev_i32 v160, 31, v160
	v_xor_b32_e32 v63, s17, v63
	v_not_b32_e32 v162, v163
	v_xor_b32_e32 v157, s18, v157
	s_delay_alu instid0(VALU_DEP_4) | instskip(SKIP_2) | instid1(VALU_DEP_4)
	v_dual_ashrrev_i32 v161, 31, v161 :: v_dual_bitop2_b32 v158, s19, v158 bitop3:0x14
	v_xor_b32_e32 v160, s20, v160
	v_cmp_gt_i32_e32 vcc_lo, 0, v163
	v_bitop3_b32 v62, v62, v157, v63 bitop3:0x80
	v_ashrrev_i32_e32 v63, 31, v162
	v_mad_u32_u24 v157, v159, 36, v114
	v_xor_b32_e32 v161, s21, v161
	s_delay_alu instid0(VALU_DEP_4) | instskip(NEXT) | instid1(VALU_DEP_4)
	v_bitop3_b32 v62, v62, v160, v158 bitop3:0x80
	v_xor_b32_e32 v63, vcc_lo, v63
	ds_load_b32 v157, v157 offset:544
	; wave barrier
	v_bitop3_b32 v62, v62, v63, v161 bitop3:0x80
	v_mul_u32_u24_e32 v63, 36, v159
	s_delay_alu instid0(VALU_DEP_2) | instskip(SKIP_1) | instid1(VALU_DEP_3)
	v_mbcnt_lo_u32_b32 v158, v62, 0
	v_cmp_ne_u32_e64 s17, 0, v62
	v_add_nc_u32_e32 v159, v114, v63
	s_delay_alu instid0(VALU_DEP_3) | instskip(SKIP_1) | instid1(SALU_CYCLE_1)
	v_cmp_eq_u32_e32 vcc_lo, 0, v158
	s_and_b32 s18, s17, vcc_lo
	s_and_saveexec_b32 s17, s18
	s_cbranch_execz .LBB112_140
; %bb.139:                              ;   in Loop: Header=BB112_108 Depth=2
	s_wait_dscnt 0x0
	v_bcnt_u32_b32 v62, v62, v157
	ds_store_b32 v159, v62 offset:544
.LBB112_140:                            ;   in Loop: Header=BB112_108 Depth=2
	s_or_b32 exec_lo, exec_lo, s17
	v_bitop3_b16 v62, v142, 0xff, v142 bitop3:0xc
	; wave barrier
	s_delay_alu instid0(VALU_DEP_1) | instskip(NEXT) | instid1(VALU_DEP_1)
	v_and_b32_e32 v62, 0xffff, v62
	v_lshrrev_b32_e32 v62, s43, v62
	s_delay_alu instid0(VALU_DEP_1) | instskip(SKIP_1) | instid1(VALU_DEP_2)
	v_bitop3_b32 v63, v62, 1, s48 bitop3:0x80
	v_and_b32_e32 v162, s48, v62
	v_add_co_u32 v62, s17, v63, -1
	s_delay_alu instid0(VALU_DEP_1) | instskip(NEXT) | instid1(VALU_DEP_3)
	v_cndmask_b32_e64 v63, 0, 1, s17
	v_dual_lshlrev_b32 v160, 30, v162 :: v_dual_lshlrev_b32 v161, 29, v162
	s_delay_alu instid0(VALU_DEP_2) | instskip(NEXT) | instid1(VALU_DEP_2)
	v_cmp_ne_u32_e32 vcc_lo, 0, v63
	v_cmp_gt_i32_e64 s17, 0, v160
	v_not_b32_e32 v63, v160
	s_delay_alu instid0(VALU_DEP_4) | instskip(SKIP_2) | instid1(VALU_DEP_3)
	v_not_b32_e32 v160, v161
	v_cmp_gt_i32_e64 s18, 0, v161
	v_bitop3_b32 v62, vcc_lo, exec_lo, v62 bitop3:0x48
	v_dual_ashrrev_i32 v63, 31, v63 :: v_dual_ashrrev_i32 v160, 31, v160
	v_dual_lshlrev_b32 v163, 28, v162 :: v_dual_lshlrev_b32 v164, 27, v162
	v_dual_lshlrev_b32 v165, 26, v162 :: v_dual_lshlrev_b32 v166, 25, v162
	s_delay_alu instid0(VALU_DEP_2) | instskip(SKIP_1) | instid1(VALU_DEP_4)
	v_cmp_gt_i32_e64 s19, 0, v163
	v_not_b32_e32 v161, v163
	v_cmp_gt_i32_e64 s20, 0, v164
	v_not_b32_e32 v163, v164
	;; [unrolled: 2-line block ×3, first 2 shown]
	v_not_b32_e32 v165, v166
	v_xor_b32_e32 v63, s17, v63
	v_dual_ashrrev_i32 v161, 31, v161 :: v_dual_bitop2_b32 v160, s18, v160 bitop3:0x14
	s_delay_alu instid0(VALU_DEP_4) | instskip(NEXT) | instid1(VALU_DEP_4)
	v_dual_ashrrev_i32 v163, 31, v163 :: v_dual_ashrrev_i32 v164, 31, v164
	v_ashrrev_i32_e32 v165, 31, v165
	s_delay_alu instid0(VALU_DEP_3)
	v_bitop3_b32 v62, v62, v160, v63 bitop3:0x80
	v_mad_u32_u24 v63, v162, 36, v114
	v_cmp_gt_i32_e64 s22, 0, v166
	v_xor_b32_e32 v163, s20, v163
	v_xor_b32_e32 v164, s21, v164
	ds_load_b32 v160, v63 offset:544
	v_mul_u32_u24_e32 v63, 36, v162
	v_xor_b32_e32 v161, s19, v161
	v_xor_b32_e32 v165, s22, v165
	; wave barrier
	s_delay_alu instid0(VALU_DEP_3) | instskip(NEXT) | instid1(VALU_DEP_3)
	v_add_nc_u32_e32 v162, v114, v63
	v_bitop3_b32 v62, v62, v163, v161 bitop3:0x80
	s_delay_alu instid0(VALU_DEP_1) | instskip(NEXT) | instid1(VALU_DEP_1)
	v_bitop3_b32 v62, v62, v165, v164 bitop3:0x80
	v_mbcnt_lo_u32_b32 v161, v62, 0
	v_cmp_ne_u32_e64 s17, 0, v62
	s_delay_alu instid0(VALU_DEP_2) | instskip(SKIP_1) | instid1(SALU_CYCLE_1)
	v_cmp_eq_u32_e32 vcc_lo, 0, v161
	s_and_b32 s18, s17, vcc_lo
	s_and_saveexec_b32 s17, s18
	s_cbranch_execz .LBB112_142
; %bb.141:                              ;   in Loop: Header=BB112_108 Depth=2
	s_wait_dscnt 0x0
	v_bcnt_u32_b32 v62, v62, v160
	ds_store_b32 v162, v62 offset:544
.LBB112_142:                            ;   in Loop: Header=BB112_108 Depth=2
	s_or_b32 exec_lo, exec_lo, s17
	v_xor_b32_e32 v62, -1, v144
	v_xor_b32_e32 v63, -1, v145
	; wave barrier
	s_delay_alu instid0(VALU_DEP_2) | instskip(NEXT) | instid1(VALU_DEP_2)
	v_lshlrev_b16 v62, 8, v62
	v_lshlrev_b16 v63, 8, v63
	s_delay_alu instid0(VALU_DEP_2) | instskip(NEXT) | instid1(VALU_DEP_2)
	v_bitop3_b16 v142, v142, v62, 0xff bitop3:0xce
	v_bitop3_b16 v62, v143, v63, 0xff bitop3:0xce
	s_delay_alu instid0(VALU_DEP_2) | instskip(NEXT) | instid1(VALU_DEP_2)
	v_and_b32_e32 v63, 0xffff, v142
	v_lshlrev_b32_e32 v62, 16, v62
	s_delay_alu instid0(VALU_DEP_1) | instskip(NEXT) | instid1(VALU_DEP_1)
	v_or_b32_e32 v143, v63, v62
	v_bfe_u32 v62, v143, 8, 8
	s_delay_alu instid0(VALU_DEP_1) | instskip(NEXT) | instid1(VALU_DEP_1)
	v_lshrrev_b32_e32 v62, s43, v62
	v_bitop3_b32 v63, v62, 1, s48 bitop3:0x80
	v_and_b32_e32 v163, s48, v62
	s_delay_alu instid0(VALU_DEP_2) | instskip(NEXT) | instid1(VALU_DEP_1)
	v_add_co_u32 v62, s17, v63, -1
	v_cndmask_b32_e64 v63, 0, 1, s17
	s_delay_alu instid0(VALU_DEP_3) | instskip(NEXT) | instid1(VALU_DEP_2)
	v_lshlrev_b32_e32 v144, 30, v163
	v_cmp_ne_u32_e32 vcc_lo, 0, v63
	s_delay_alu instid0(VALU_DEP_2) | instskip(SKIP_2) | instid1(VALU_DEP_3)
	v_not_b32_e32 v63, v144
	v_cmp_gt_i32_e64 s17, 0, v144
	v_bitop3_b32 v62, vcc_lo, exec_lo, v62 bitop3:0x48
	v_ashrrev_i32_e32 v63, 31, v63
	v_dual_lshlrev_b32 v145, 29, v163 :: v_dual_lshlrev_b32 v164, 28, v163
	v_dual_lshlrev_b32 v165, 27, v163 :: v_dual_lshlrev_b32 v166, 26, v163
	s_delay_alu instid0(VALU_DEP_2)
	v_not_b32_e32 v144, v145
	v_lshlrev_b32_e32 v167, 25, v163
	v_cmp_gt_i32_e64 s18, 0, v145
	v_cmp_gt_i32_e64 s19, 0, v164
	v_not_b32_e32 v145, v164
	v_ashrrev_i32_e32 v144, 31, v144
	v_cmp_gt_i32_e64 s20, 0, v165
	v_not_b32_e32 v164, v165
	v_cmp_gt_i32_e64 s21, 0, v166
	v_not_b32_e32 v165, v166
	v_not_b32_e32 v166, v167
	v_xor_b32_e32 v63, s17, v63
	v_dual_ashrrev_i32 v145, 31, v145 :: v_dual_bitop2_b32 v144, s18, v144 bitop3:0x14
	s_delay_alu instid0(VALU_DEP_4) | instskip(NEXT) | instid1(VALU_DEP_4)
	v_dual_ashrrev_i32 v164, 31, v164 :: v_dual_ashrrev_i32 v165, 31, v165
	v_ashrrev_i32_e32 v166, 31, v166
	s_delay_alu instid0(VALU_DEP_3)
	v_bitop3_b32 v62, v62, v144, v63 bitop3:0x80
	v_mad_u32_u24 v63, v163, 36, v114
	v_cmp_gt_i32_e64 s22, 0, v167
	v_xor_b32_e32 v164, s20, v164
	v_xor_b32_e32 v165, s21, v165
	ds_load_b32 v144, v63 offset:544
	v_mul_u32_u24_e32 v63, 36, v163
	v_xor_b32_e32 v145, s19, v145
	v_xor_b32_e32 v166, s22, v166
	; wave barrier
	s_delay_alu instid0(VALU_DEP_3) | instskip(NEXT) | instid1(VALU_DEP_3)
	v_add_nc_u32_e32 v163, v114, v63
	v_bitop3_b32 v62, v62, v164, v145 bitop3:0x80
	s_delay_alu instid0(VALU_DEP_1) | instskip(NEXT) | instid1(VALU_DEP_1)
	v_bitop3_b32 v62, v62, v166, v165 bitop3:0x80
	v_mbcnt_lo_u32_b32 v145, v62, 0
	v_cmp_ne_u32_e64 s17, 0, v62
	s_delay_alu instid0(VALU_DEP_2) | instskip(SKIP_1) | instid1(SALU_CYCLE_1)
	v_cmp_eq_u32_e32 vcc_lo, 0, v145
	s_and_b32 s18, s17, vcc_lo
	s_and_saveexec_b32 s17, s18
	s_cbranch_execz .LBB112_144
; %bb.143:                              ;   in Loop: Header=BB112_108 Depth=2
	s_wait_dscnt 0x0
	v_bcnt_u32_b32 v62, v62, v144
	ds_store_b32 v163, v62 offset:544
.LBB112_144:                            ;   in Loop: Header=BB112_108 Depth=2
	s_or_b32 exec_lo, exec_lo, s17
	v_bfe_u32 v62, v143, 16, 8
	; wave barrier
	s_delay_alu instid0(VALU_DEP_1) | instskip(NEXT) | instid1(VALU_DEP_1)
	v_lshrrev_b32_e32 v62, s43, v62
	v_bitop3_b32 v63, v62, 1, s48 bitop3:0x80
	v_and_b32_e32 v166, s48, v62
	s_delay_alu instid0(VALU_DEP_2) | instskip(NEXT) | instid1(VALU_DEP_1)
	v_add_co_u32 v62, s17, v63, -1
	v_cndmask_b32_e64 v63, 0, 1, s17
	s_delay_alu instid0(VALU_DEP_3) | instskip(NEXT) | instid1(VALU_DEP_2)
	v_dual_lshlrev_b32 v164, 30, v166 :: v_dual_lshlrev_b32 v165, 29, v166
	v_cmp_ne_u32_e32 vcc_lo, 0, v63
	s_delay_alu instid0(VALU_DEP_2) | instskip(SKIP_1) | instid1(VALU_DEP_4)
	v_cmp_gt_i32_e64 s17, 0, v164
	v_not_b32_e32 v63, v164
	v_not_b32_e32 v164, v165
	v_cmp_gt_i32_e64 s18, 0, v165
	v_bitop3_b32 v62, vcc_lo, exec_lo, v62 bitop3:0x48
	s_delay_alu instid0(VALU_DEP_3) | instskip(SKIP_2) | instid1(VALU_DEP_2)
	v_dual_ashrrev_i32 v63, 31, v63 :: v_dual_ashrrev_i32 v164, 31, v164
	v_dual_lshlrev_b32 v167, 28, v166 :: v_dual_lshlrev_b32 v168, 27, v166
	v_dual_lshlrev_b32 v169, 26, v166 :: v_dual_lshlrev_b32 v170, 25, v166
	v_cmp_gt_i32_e64 s19, 0, v167
	v_not_b32_e32 v165, v167
	s_delay_alu instid0(VALU_DEP_4) | instskip(SKIP_3) | instid1(VALU_DEP_4)
	v_not_b32_e32 v167, v168
	v_cmp_gt_i32_e64 s20, 0, v168
	v_cmp_gt_i32_e64 s21, 0, v169
	v_not_b32_e32 v168, v169
	v_dual_ashrrev_i32 v165, 31, v165 :: v_dual_ashrrev_i32 v167, 31, v167
	v_xor_b32_e32 v63, s17, v63
	v_not_b32_e32 v169, v170
	v_xor_b32_e32 v164, s18, v164
	s_delay_alu instid0(VALU_DEP_4) | instskip(SKIP_2) | instid1(VALU_DEP_4)
	v_dual_ashrrev_i32 v168, 31, v168 :: v_dual_bitop2_b32 v165, s19, v165 bitop3:0x14
	v_xor_b32_e32 v167, s20, v167
	v_cmp_gt_i32_e32 vcc_lo, 0, v170
	v_bitop3_b32 v62, v62, v164, v63 bitop3:0x80
	v_ashrrev_i32_e32 v63, 31, v169
	v_mad_u32_u24 v164, v166, 36, v114
	v_xor_b32_e32 v168, s21, v168
	s_delay_alu instid0(VALU_DEP_4) | instskip(NEXT) | instid1(VALU_DEP_4)
	v_bitop3_b32 v62, v62, v167, v165 bitop3:0x80
	v_xor_b32_e32 v63, vcc_lo, v63
	ds_load_b32 v164, v164 offset:544
	; wave barrier
	v_bitop3_b32 v62, v62, v63, v168 bitop3:0x80
	v_mul_u32_u24_e32 v63, 36, v166
	s_delay_alu instid0(VALU_DEP_2) | instskip(SKIP_1) | instid1(VALU_DEP_3)
	v_mbcnt_lo_u32_b32 v165, v62, 0
	v_cmp_ne_u32_e64 s17, 0, v62
	v_add_nc_u32_e32 v167, v114, v63
	s_delay_alu instid0(VALU_DEP_3) | instskip(SKIP_1) | instid1(SALU_CYCLE_1)
	v_cmp_eq_u32_e32 vcc_lo, 0, v165
	s_and_b32 s18, s17, vcc_lo
	s_and_saveexec_b32 s17, s18
	s_cbranch_execz .LBB112_146
; %bb.145:                              ;   in Loop: Header=BB112_108 Depth=2
	s_wait_dscnt 0x0
	v_bcnt_u32_b32 v62, v62, v164
	ds_store_b32 v167, v62 offset:544
.LBB112_146:                            ;   in Loop: Header=BB112_108 Depth=2
	s_or_b32 exec_lo, exec_lo, s17
	v_lshrrev_b32_e32 v166, 24, v143
	; wave barrier
	s_delay_alu instid0(VALU_DEP_1) | instskip(NEXT) | instid1(VALU_DEP_1)
	v_lshrrev_b32_e32 v62, s43, v166
	v_bitop3_b32 v63, v62, 1, s48 bitop3:0x80
	v_and_b32_e32 v170, s48, v62
	s_delay_alu instid0(VALU_DEP_2) | instskip(NEXT) | instid1(VALU_DEP_1)
	v_add_co_u32 v62, s17, v63, -1
	v_cndmask_b32_e64 v63, 0, 1, s17
	s_delay_alu instid0(VALU_DEP_3) | instskip(SKIP_1) | instid1(VALU_DEP_3)
	v_dual_lshlrev_b32 v168, 30, v170 :: v_dual_lshlrev_b32 v169, 29, v170
	v_dual_lshlrev_b32 v171, 28, v170 :: v_dual_lshlrev_b32 v172, 27, v170
	v_cmp_ne_u32_e32 vcc_lo, 0, v63
	s_delay_alu instid0(VALU_DEP_3)
	v_cmp_gt_i32_e64 s17, 0, v168
	v_not_b32_e32 v63, v168
	v_not_b32_e32 v168, v169
	v_dual_lshlrev_b32 v173, 26, v170 :: v_dual_lshlrev_b32 v174, 25, v170
	v_cmp_gt_i32_e64 s18, 0, v169
	v_cmp_gt_i32_e64 s19, 0, v171
	v_not_b32_e32 v169, v171
	v_not_b32_e32 v171, v172
	v_dual_ashrrev_i32 v63, 31, v63 :: v_dual_ashrrev_i32 v168, 31, v168
	v_cmp_gt_i32_e64 s20, 0, v172
	v_cmp_gt_i32_e64 s21, 0, v173
	v_not_b32_e32 v172, v173
	v_bitop3_b32 v62, vcc_lo, exec_lo, v62 bitop3:0x48
	v_dual_ashrrev_i32 v169, 31, v169 :: v_dual_ashrrev_i32 v171, 31, v171
	v_xor_b32_e32 v168, s18, v168
	s_delay_alu instid0(VALU_DEP_4) | instskip(SKIP_1) | instid1(VALU_DEP_4)
	v_dual_ashrrev_i32 v172, 31, v172 :: v_dual_bitop2_b32 v63, s17, v63 bitop3:0x14
	v_not_b32_e32 v173, v174
	v_xor_b32_e32 v169, s19, v169
	v_xor_b32_e32 v171, s20, v171
	s_delay_alu instid0(VALU_DEP_4)
	v_bitop3_b32 v62, v62, v168, v63 bitop3:0x80
	v_cmp_gt_i32_e32 vcc_lo, 0, v174
	v_ashrrev_i32_e32 v63, 31, v173
	v_mad_u32_u24 v168, v170, 36, v114
	v_xor_b32_e32 v172, s21, v172
	v_bitop3_b32 v62, v62, v171, v169 bitop3:0x80
	s_delay_alu instid0(VALU_DEP_4) | instskip(SKIP_3) | instid1(VALU_DEP_2)
	v_xor_b32_e32 v63, vcc_lo, v63
	ds_load_b32 v168, v168 offset:544
	; wave barrier
	v_bitop3_b32 v62, v62, v63, v172 bitop3:0x80
	v_mul_u32_u24_e32 v63, 36, v170
	v_mbcnt_lo_u32_b32 v169, v62, 0
	v_cmp_ne_u32_e64 s17, 0, v62
	s_delay_alu instid0(VALU_DEP_3) | instskip(NEXT) | instid1(VALU_DEP_3)
	v_add_nc_u32_e32 v170, v114, v63
	v_cmp_eq_u32_e32 vcc_lo, 0, v169
	s_and_b32 s18, s17, vcc_lo
	s_delay_alu instid0(SALU_CYCLE_1)
	s_and_saveexec_b32 s17, s18
	s_cbranch_execz .LBB112_148
; %bb.147:                              ;   in Loop: Header=BB112_108 Depth=2
	s_wait_dscnt 0x0
	v_bcnt_u32_b32 v62, v62, v168
	ds_store_b32 v170, v62 offset:544
.LBB112_148:                            ;   in Loop: Header=BB112_108 Depth=2
	s_or_b32 exec_lo, exec_lo, s17
	v_bitop3_b16 v62, v138, 0xff, v138 bitop3:0xc
	; wave barrier
	s_delay_alu instid0(VALU_DEP_1) | instskip(NEXT) | instid1(VALU_DEP_1)
	v_and_b32_e32 v62, 0xffff, v62
	v_lshrrev_b32_e32 v62, s43, v62
	s_delay_alu instid0(VALU_DEP_1) | instskip(NEXT) | instid1(VALU_DEP_1)
	v_and_b32_e32 v173, s48, v62
	v_lshlrev_b32_e32 v171, 30, v173
	v_bitop3_b32 v63, v62, 1, s48 bitop3:0x80
	s_delay_alu instid0(VALU_DEP_1) | instskip(NEXT) | instid1(VALU_DEP_1)
	v_add_co_u32 v62, s17, v63, -1
	v_cndmask_b32_e64 v63, 0, 1, s17
	s_delay_alu instid0(VALU_DEP_4) | instskip(NEXT) | instid1(VALU_DEP_2)
	v_cmp_gt_i32_e64 s17, 0, v171
	v_cmp_ne_u32_e32 vcc_lo, 0, v63
	v_not_b32_e32 v63, v171
	v_bitop3_b32 v62, vcc_lo, exec_lo, v62 bitop3:0x48
	s_delay_alu instid0(VALU_DEP_2) | instskip(SKIP_2) | instid1(VALU_DEP_3)
	v_dual_ashrrev_i32 v63, 31, v63 :: v_dual_lshlrev_b32 v172, 29, v173
	v_dual_lshlrev_b32 v174, 28, v173 :: v_dual_lshlrev_b32 v175, 27, v173
	v_lshlrev_b32_e32 v176, 26, v173
	v_not_b32_e32 v171, v172
	v_lshlrev_b32_e32 v177, 25, v173
	v_cmp_gt_i32_e64 s18, 0, v172
	v_cmp_gt_i32_e64 s19, 0, v174
	v_not_b32_e32 v172, v174
	v_ashrrev_i32_e32 v171, 31, v171
	v_cmp_gt_i32_e64 s20, 0, v175
	v_not_b32_e32 v174, v175
	v_cmp_gt_i32_e64 s21, 0, v176
	v_not_b32_e32 v175, v176
	v_not_b32_e32 v176, v177
	v_xor_b32_e32 v63, s17, v63
	v_dual_ashrrev_i32 v172, 31, v172 :: v_dual_bitop2_b32 v171, s18, v171 bitop3:0x14
	s_delay_alu instid0(VALU_DEP_3) | instskip(SKIP_1) | instid1(VALU_DEP_3)
	v_dual_ashrrev_i32 v174, 31, v174 :: v_dual_ashrrev_i32 v176, 31, v176
	v_cmp_gt_i32_e64 s22, 0, v177
	v_bitop3_b32 v62, v62, v171, v63 bitop3:0x80
	v_mad_u32_u24 v63, v173, 36, v114
	v_dual_ashrrev_i32 v175, 31, v175 :: v_dual_bitop2_b32 v172, s19, v172 bitop3:0x14
	s_delay_alu instid0(VALU_DEP_4) | instskip(SKIP_4) | instid1(VALU_DEP_3)
	v_xor_b32_e32 v176, s22, v176
	ds_load_b32 v171, v63 offset:544
	v_mul_u32_u24_e32 v63, 36, v173
	v_xor_b32_e32 v174, s20, v174
	v_xor_b32_e32 v175, s21, v175
	; wave barrier
	v_add_nc_u32_e32 v173, v114, v63
	s_delay_alu instid0(VALU_DEP_3) | instskip(NEXT) | instid1(VALU_DEP_1)
	v_bitop3_b32 v62, v62, v174, v172 bitop3:0x80
	v_bitop3_b32 v62, v62, v176, v175 bitop3:0x80
	s_delay_alu instid0(VALU_DEP_1) | instskip(SKIP_1) | instid1(VALU_DEP_2)
	v_mbcnt_lo_u32_b32 v172, v62, 0
	v_cmp_ne_u32_e64 s17, 0, v62
	v_cmp_eq_u32_e32 vcc_lo, 0, v172
	s_and_b32 s18, s17, vcc_lo
	s_delay_alu instid0(SALU_CYCLE_1)
	s_and_saveexec_b32 s17, s18
	s_cbranch_execz .LBB112_150
; %bb.149:                              ;   in Loop: Header=BB112_108 Depth=2
	s_wait_dscnt 0x0
	v_bcnt_u32_b32 v62, v62, v171
	ds_store_b32 v173, v62 offset:544
.LBB112_150:                            ;   in Loop: Header=BB112_108 Depth=2
	s_or_b32 exec_lo, exec_lo, s17
	v_xor_b32_e32 v62, -1, v140
	v_xor_b32_e32 v63, -1, v141
	; wave barrier
	s_delay_alu instid0(VALU_DEP_2) | instskip(NEXT) | instid1(VALU_DEP_2)
	v_lshlrev_b16 v62, 8, v62
	v_lshlrev_b16 v63, 8, v63
	s_delay_alu instid0(VALU_DEP_2) | instskip(NEXT) | instid1(VALU_DEP_2)
	v_bitop3_b16 v138, v138, v62, 0xff bitop3:0xce
	v_bitop3_b16 v62, v139, v63, 0xff bitop3:0xce
	s_delay_alu instid0(VALU_DEP_2) | instskip(NEXT) | instid1(VALU_DEP_2)
	v_and_b32_e32 v63, 0xffff, v138
	v_lshlrev_b32_e32 v62, 16, v62
	s_delay_alu instid0(VALU_DEP_1) | instskip(NEXT) | instid1(VALU_DEP_1)
	v_or_b32_e32 v139, v63, v62
	v_bfe_u32 v62, v139, 8, 8
	s_delay_alu instid0(VALU_DEP_1) | instskip(NEXT) | instid1(VALU_DEP_1)
	v_lshrrev_b32_e32 v62, s43, v62
	v_bitop3_b32 v63, v62, 1, s48 bitop3:0x80
	v_and_b32_e32 v174, s48, v62
	s_delay_alu instid0(VALU_DEP_2) | instskip(NEXT) | instid1(VALU_DEP_1)
	v_add_co_u32 v62, s17, v63, -1
	v_cndmask_b32_e64 v63, 0, 1, s17
	s_delay_alu instid0(VALU_DEP_3) | instskip(NEXT) | instid1(VALU_DEP_2)
	v_lshlrev_b32_e32 v140, 30, v174
	v_cmp_ne_u32_e32 vcc_lo, 0, v63
	s_delay_alu instid0(VALU_DEP_2) | instskip(SKIP_2) | instid1(VALU_DEP_3)
	v_not_b32_e32 v63, v140
	v_cmp_gt_i32_e64 s17, 0, v140
	v_bitop3_b32 v62, vcc_lo, exec_lo, v62 bitop3:0x48
	v_dual_ashrrev_i32 v63, 31, v63 :: v_dual_lshlrev_b32 v141, 29, v174
	v_dual_lshlrev_b32 v175, 28, v174 :: v_dual_lshlrev_b32 v176, 27, v174
	v_lshlrev_b32_e32 v177, 26, v174
	s_delay_alu instid0(VALU_DEP_3)
	v_not_b32_e32 v140, v141
	v_lshlrev_b32_e32 v178, 25, v174
	v_cmp_gt_i32_e64 s18, 0, v141
	v_cmp_gt_i32_e64 s19, 0, v175
	v_not_b32_e32 v141, v175
	v_ashrrev_i32_e32 v140, 31, v140
	v_cmp_gt_i32_e64 s20, 0, v176
	v_not_b32_e32 v175, v176
	v_cmp_gt_i32_e64 s21, 0, v177
	v_not_b32_e32 v176, v177
	v_not_b32_e32 v177, v178
	v_xor_b32_e32 v63, s17, v63
	v_dual_ashrrev_i32 v141, 31, v141 :: v_dual_bitop2_b32 v140, s18, v140 bitop3:0x14
	s_delay_alu instid0(VALU_DEP_4) | instskip(NEXT) | instid1(VALU_DEP_4)
	v_dual_ashrrev_i32 v175, 31, v175 :: v_dual_ashrrev_i32 v176, 31, v176
	v_ashrrev_i32_e32 v177, 31, v177
	s_delay_alu instid0(VALU_DEP_3)
	v_bitop3_b32 v62, v62, v140, v63 bitop3:0x80
	v_mad_u32_u24 v63, v174, 36, v114
	v_cmp_gt_i32_e64 s22, 0, v178
	v_xor_b32_e32 v175, s20, v175
	v_xor_b32_e32 v176, s21, v176
	ds_load_b32 v140, v63 offset:544
	v_mul_u32_u24_e32 v63, 36, v174
	v_xor_b32_e32 v141, s19, v141
	v_xor_b32_e32 v177, s22, v177
	; wave barrier
	s_delay_alu instid0(VALU_DEP_3) | instskip(NEXT) | instid1(VALU_DEP_3)
	v_add_nc_u32_e32 v174, v114, v63
	v_bitop3_b32 v62, v62, v175, v141 bitop3:0x80
	s_delay_alu instid0(VALU_DEP_1) | instskip(NEXT) | instid1(VALU_DEP_1)
	v_bitop3_b32 v62, v62, v177, v176 bitop3:0x80
	v_mbcnt_lo_u32_b32 v141, v62, 0
	v_cmp_ne_u32_e64 s17, 0, v62
	s_delay_alu instid0(VALU_DEP_2) | instskip(SKIP_1) | instid1(SALU_CYCLE_1)
	v_cmp_eq_u32_e32 vcc_lo, 0, v141
	s_and_b32 s18, s17, vcc_lo
	s_and_saveexec_b32 s17, s18
	s_cbranch_execz .LBB112_152
; %bb.151:                              ;   in Loop: Header=BB112_108 Depth=2
	s_wait_dscnt 0x0
	v_bcnt_u32_b32 v62, v62, v140
	ds_store_b32 v174, v62 offset:544
.LBB112_152:                            ;   in Loop: Header=BB112_108 Depth=2
	s_or_b32 exec_lo, exec_lo, s17
	v_bfe_u32 v62, v139, 16, 8
	; wave barrier
	s_delay_alu instid0(VALU_DEP_1) | instskip(NEXT) | instid1(VALU_DEP_1)
	v_lshrrev_b32_e32 v62, s43, v62
	v_and_b32_e32 v177, s48, v62
	s_delay_alu instid0(VALU_DEP_1) | instskip(SKIP_1) | instid1(VALU_DEP_1)
	v_lshlrev_b32_e32 v175, 30, v177
	v_bitop3_b32 v63, v62, 1, s48 bitop3:0x80
	v_add_co_u32 v62, s17, v63, -1
	s_delay_alu instid0(VALU_DEP_1) | instskip(NEXT) | instid1(VALU_DEP_4)
	v_cndmask_b32_e64 v63, 0, 1, s17
	v_cmp_gt_i32_e64 s17, 0, v175
	s_delay_alu instid0(VALU_DEP_2) | instskip(SKIP_2) | instid1(VALU_DEP_2)
	v_cmp_ne_u32_e32 vcc_lo, 0, v63
	v_not_b32_e32 v63, v175
	v_bitop3_b32 v62, vcc_lo, exec_lo, v62 bitop3:0x48
	v_dual_ashrrev_i32 v63, 31, v63 :: v_dual_lshlrev_b32 v176, 29, v177
	v_dual_lshlrev_b32 v178, 28, v177 :: v_dual_lshlrev_b32 v179, 27, v177
	s_delay_alu instid0(VALU_DEP_2) | instskip(NEXT) | instid1(VALU_DEP_3)
	v_dual_lshlrev_b32 v180, 26, v177 :: v_dual_bitop2_b32 v63, s17, v63 bitop3:0x14
	v_not_b32_e32 v175, v176
	v_lshlrev_b32_e32 v181, 25, v177
	v_cmp_gt_i32_e64 s18, 0, v176
	v_cmp_gt_i32_e64 s19, 0, v178
	v_not_b32_e32 v176, v178
	v_not_b32_e32 v178, v179
	v_ashrrev_i32_e32 v175, 31, v175
	v_cmp_gt_i32_e64 s20, 0, v179
	v_cmp_gt_i32_e64 s21, 0, v180
	v_not_b32_e32 v179, v180
	v_dual_ashrrev_i32 v176, 31, v176 :: v_dual_ashrrev_i32 v178, 31, v178
	v_not_b32_e32 v180, v181
	v_xor_b32_e32 v175, s18, v175
	s_delay_alu instid0(VALU_DEP_3) | instskip(NEXT) | instid1(VALU_DEP_4)
	v_dual_ashrrev_i32 v179, 31, v179 :: v_dual_bitop2_b32 v176, s19, v176 bitop3:0x14
	v_xor_b32_e32 v178, s20, v178
	v_cmp_gt_i32_e32 vcc_lo, 0, v181
	s_delay_alu instid0(VALU_DEP_4) | instskip(SKIP_3) | instid1(VALU_DEP_4)
	v_bitop3_b32 v62, v62, v175, v63 bitop3:0x80
	v_ashrrev_i32_e32 v63, 31, v180
	v_mad_u32_u24 v175, v177, 36, v114
	v_xor_b32_e32 v179, s21, v179
	v_bitop3_b32 v62, v62, v178, v176 bitop3:0x80
	s_delay_alu instid0(VALU_DEP_4) | instskip(SKIP_3) | instid1(VALU_DEP_2)
	v_xor_b32_e32 v63, vcc_lo, v63
	ds_load_b32 v175, v175 offset:544
	; wave barrier
	v_bitop3_b32 v62, v62, v63, v179 bitop3:0x80
	v_mul_u32_u24_e32 v63, 36, v177
	v_mbcnt_lo_u32_b32 v176, v62, 0
	v_cmp_ne_u32_e64 s17, 0, v62
	s_delay_alu instid0(VALU_DEP_3) | instskip(NEXT) | instid1(VALU_DEP_3)
	v_add_nc_u32_e32 v178, v114, v63
	v_cmp_eq_u32_e32 vcc_lo, 0, v176
	s_and_b32 s18, s17, vcc_lo
	s_delay_alu instid0(SALU_CYCLE_1)
	s_and_saveexec_b32 s17, s18
	s_cbranch_execz .LBB112_154
; %bb.153:                              ;   in Loop: Header=BB112_108 Depth=2
	s_wait_dscnt 0x0
	v_bcnt_u32_b32 v62, v62, v175
	ds_store_b32 v178, v62 offset:544
.LBB112_154:                            ;   in Loop: Header=BB112_108 Depth=2
	s_or_b32 exec_lo, exec_lo, s17
	v_lshrrev_b32_e32 v177, 24, v139
	; wave barrier
	s_delay_alu instid0(VALU_DEP_1) | instskip(NEXT) | instid1(VALU_DEP_1)
	v_lshrrev_b32_e32 v62, s43, v177
	v_bitop3_b32 v63, v62, 1, s48 bitop3:0x80
	v_and_b32_e32 v181, s48, v62
	s_delay_alu instid0(VALU_DEP_2) | instskip(NEXT) | instid1(VALU_DEP_1)
	v_add_co_u32 v62, s17, v63, -1
	v_cndmask_b32_e64 v63, 0, 1, s17
	s_delay_alu instid0(VALU_DEP_3) | instskip(SKIP_1) | instid1(VALU_DEP_3)
	v_dual_lshlrev_b32 v179, 30, v181 :: v_dual_lshlrev_b32 v180, 29, v181
	v_dual_lshlrev_b32 v182, 28, v181 :: v_dual_lshlrev_b32 v183, 27, v181
	v_cmp_ne_u32_e32 vcc_lo, 0, v63
	s_delay_alu instid0(VALU_DEP_3)
	v_cmp_gt_i32_e64 s17, 0, v179
	v_not_b32_e32 v63, v179
	v_not_b32_e32 v179, v180
	v_dual_lshlrev_b32 v184, 26, v181 :: v_dual_lshlrev_b32 v185, 25, v181
	v_cmp_gt_i32_e64 s18, 0, v180
	v_cmp_gt_i32_e64 s19, 0, v182
	v_not_b32_e32 v180, v182
	v_not_b32_e32 v182, v183
	v_ashrrev_i32_e32 v63, 31, v63
	v_ashrrev_i32_e32 v179, 31, v179
	v_cmp_gt_i32_e64 s20, 0, v183
	v_cmp_gt_i32_e64 s21, 0, v184
	v_not_b32_e32 v183, v184
	v_bitop3_b32 v62, vcc_lo, exec_lo, v62 bitop3:0x48
	v_dual_ashrrev_i32 v180, 31, v180 :: v_dual_ashrrev_i32 v182, 31, v182
	v_xor_b32_e32 v63, s17, v63
	v_not_b32_e32 v184, v185
	v_xor_b32_e32 v179, s18, v179
	s_delay_alu instid0(VALU_DEP_4) | instskip(SKIP_2) | instid1(VALU_DEP_4)
	v_dual_ashrrev_i32 v183, 31, v183 :: v_dual_bitop2_b32 v180, s19, v180 bitop3:0x14
	v_xor_b32_e32 v182, s20, v182
	v_cmp_gt_i32_e32 vcc_lo, 0, v185
	v_bitop3_b32 v62, v62, v179, v63 bitop3:0x80
	v_ashrrev_i32_e32 v63, 31, v184
	v_mad_u32_u24 v179, v181, 36, v114
	v_xor_b32_e32 v183, s21, v183
	s_delay_alu instid0(VALU_DEP_4) | instskip(NEXT) | instid1(VALU_DEP_4)
	v_bitop3_b32 v62, v62, v182, v180 bitop3:0x80
	v_xor_b32_e32 v63, vcc_lo, v63
	ds_load_b32 v179, v179 offset:544
	; wave barrier
	v_bitop3_b32 v62, v62, v63, v183 bitop3:0x80
	v_mul_u32_u24_e32 v63, 36, v181
	s_delay_alu instid0(VALU_DEP_2) | instskip(SKIP_1) | instid1(VALU_DEP_3)
	v_mbcnt_lo_u32_b32 v180, v62, 0
	v_cmp_ne_u32_e64 s17, 0, v62
	v_add_nc_u32_e32 v181, v114, v63
	s_delay_alu instid0(VALU_DEP_3) | instskip(SKIP_1) | instid1(SALU_CYCLE_1)
	v_cmp_eq_u32_e32 vcc_lo, 0, v180
	s_and_b32 s18, s17, vcc_lo
	s_and_saveexec_b32 s17, s18
	s_cbranch_execz .LBB112_156
; %bb.155:                              ;   in Loop: Header=BB112_108 Depth=2
	s_wait_dscnt 0x0
	v_bcnt_u32_b32 v62, v62, v179
	ds_store_b32 v181, v62 offset:544
.LBB112_156:                            ;   in Loop: Header=BB112_108 Depth=2
	s_or_b32 exec_lo, exec_lo, s17
	v_bitop3_b16 v62, v64, 0xff, v64 bitop3:0xc
	; wave barrier
	s_delay_alu instid0(VALU_DEP_1) | instskip(NEXT) | instid1(VALU_DEP_1)
	v_and_b32_e32 v62, 0xffff, v62
	v_lshrrev_b32_e32 v62, s43, v62
	s_delay_alu instid0(VALU_DEP_1) | instskip(NEXT) | instid1(VALU_DEP_1)
	v_and_b32_e32 v184, s48, v62
	v_lshlrev_b32_e32 v182, 30, v184
	v_bitop3_b32 v63, v62, 1, s48 bitop3:0x80
	s_delay_alu instid0(VALU_DEP_1) | instskip(NEXT) | instid1(VALU_DEP_1)
	v_add_co_u32 v62, s17, v63, -1
	v_cndmask_b32_e64 v63, 0, 1, s17
	s_delay_alu instid0(VALU_DEP_4) | instskip(NEXT) | instid1(VALU_DEP_2)
	v_cmp_gt_i32_e64 s17, 0, v182
	v_cmp_ne_u32_e32 vcc_lo, 0, v63
	v_not_b32_e32 v63, v182
	v_bitop3_b32 v62, vcc_lo, exec_lo, v62 bitop3:0x48
	s_delay_alu instid0(VALU_DEP_2) | instskip(SKIP_2) | instid1(VALU_DEP_3)
	v_dual_ashrrev_i32 v63, 31, v63 :: v_dual_lshlrev_b32 v183, 29, v184
	v_dual_lshlrev_b32 v185, 28, v184 :: v_dual_lshlrev_b32 v186, 27, v184
	v_lshlrev_b32_e32 v187, 26, v184
	v_not_b32_e32 v182, v183
	v_lshlrev_b32_e32 v188, 25, v184
	v_cmp_gt_i32_e64 s18, 0, v183
	v_cmp_gt_i32_e64 s19, 0, v185
	v_not_b32_e32 v183, v185
	v_not_b32_e32 v185, v186
	v_ashrrev_i32_e32 v182, 31, v182
	v_cmp_gt_i32_e64 s20, 0, v186
	v_cmp_gt_i32_e64 s21, 0, v187
	v_not_b32_e32 v186, v187
	v_not_b32_e32 v187, v188
	v_dual_ashrrev_i32 v183, 31, v183 :: v_dual_ashrrev_i32 v185, 31, v185
	s_delay_alu instid0(VALU_DEP_3) | instskip(NEXT) | instid1(VALU_DEP_3)
	v_dual_ashrrev_i32 v186, 31, v186 :: v_dual_bitop2_b32 v63, s17, v63 bitop3:0x14
	v_dual_ashrrev_i32 v187, 31, v187 :: v_dual_bitop2_b32 v182, s18, v182 bitop3:0x14
	v_cmp_gt_i32_e64 s22, 0, v188
	s_delay_alu instid0(VALU_DEP_4) | instskip(SKIP_1) | instid1(VALU_DEP_4)
	v_xor_b32_e32 v183, s19, v183
	v_xor_b32_e32 v185, s20, v185
	v_bitop3_b32 v62, v62, v182, v63 bitop3:0x80
	v_mad_u32_u24 v63, v184, 36, v114
	v_xor_b32_e32 v187, s22, v187
	s_delay_alu instid0(VALU_DEP_3) | instskip(SKIP_3) | instid1(VALU_DEP_2)
	v_bitop3_b32 v62, v62, v185, v183 bitop3:0x80
	ds_load_b32 v182, v63 offset:544
	v_mul_u32_u24_e32 v63, 36, v184
	v_xor_b32_e32 v186, s21, v186
	; wave barrier
	v_add_nc_u32_e32 v185, v114, v63
	s_delay_alu instid0(VALU_DEP_2) | instskip(NEXT) | instid1(VALU_DEP_1)
	v_bitop3_b32 v62, v62, v187, v186 bitop3:0x80
	v_mbcnt_lo_u32_b32 v183, v62, 0
	v_cmp_ne_u32_e64 s17, 0, v62
	s_delay_alu instid0(VALU_DEP_2) | instskip(SKIP_1) | instid1(SALU_CYCLE_1)
	v_cmp_eq_u32_e32 vcc_lo, 0, v183
	s_and_b32 s18, s17, vcc_lo
	s_and_saveexec_b32 s17, s18
	s_cbranch_execz .LBB112_158
; %bb.157:                              ;   in Loop: Header=BB112_108 Depth=2
	s_wait_dscnt 0x0
	v_bcnt_u32_b32 v62, v62, v182
	ds_store_b32 v185, v62 offset:544
.LBB112_158:                            ;   in Loop: Header=BB112_108 Depth=2
	s_or_b32 exec_lo, exec_lo, s17
	v_xor_b32_e32 v62, -1, v135
	v_xor_b32_e32 v63, -1, v136
	; wave barrier
	s_delay_alu instid0(VALU_DEP_2) | instskip(NEXT) | instid1(VALU_DEP_2)
	v_lshlrev_b16 v62, 8, v62
	v_lshlrev_b16 v63, 8, v63
	s_delay_alu instid0(VALU_DEP_2) | instskip(NEXT) | instid1(VALU_DEP_2)
	v_bitop3_b16 v184, v64, v62, 0xff bitop3:0xce
	v_bitop3_b16 v62, v65, v63, 0xff bitop3:0xce
	s_delay_alu instid0(VALU_DEP_2) | instskip(NEXT) | instid1(VALU_DEP_2)
	v_and_b32_e32 v63, 0xffff, v184
	v_lshlrev_b32_e32 v62, 16, v62
	s_delay_alu instid0(VALU_DEP_1) | instskip(NEXT) | instid1(VALU_DEP_1)
	v_or_b32_e32 v135, v63, v62
	v_bfe_u32 v62, v135, 8, 8
	s_delay_alu instid0(VALU_DEP_1) | instskip(NEXT) | instid1(VALU_DEP_1)
	v_lshrrev_b32_e32 v62, s43, v62
	v_bitop3_b32 v63, v62, 1, s48 bitop3:0x80
	v_and_b32_e32 v64, s48, v62
	s_delay_alu instid0(VALU_DEP_2) | instskip(NEXT) | instid1(VALU_DEP_1)
	v_add_co_u32 v62, s17, v63, -1
	v_cndmask_b32_e64 v63, 0, 1, s17
	s_delay_alu instid0(VALU_DEP_3) | instskip(NEXT) | instid1(VALU_DEP_2)
	v_lshlrev_b32_e32 v65, 30, v64
	v_cmp_ne_u32_e32 vcc_lo, 0, v63
	s_delay_alu instid0(VALU_DEP_2) | instskip(SKIP_2) | instid1(VALU_DEP_3)
	v_not_b32_e32 v63, v65
	v_cmp_gt_i32_e64 s17, 0, v65
	v_bitop3_b32 v62, vcc_lo, exec_lo, v62 bitop3:0x48
	v_dual_ashrrev_i32 v63, 31, v63 :: v_dual_lshlrev_b32 v136, 29, v64
	v_dual_lshlrev_b32 v186, 28, v64 :: v_dual_lshlrev_b32 v187, 27, v64
	v_lshlrev_b32_e32 v188, 26, v64
	s_delay_alu instid0(VALU_DEP_3)
	v_not_b32_e32 v65, v136
	v_lshlrev_b32_e32 v189, 25, v64
	v_cmp_gt_i32_e64 s18, 0, v136
	v_cmp_gt_i32_e64 s19, 0, v186
	v_not_b32_e32 v136, v186
	v_not_b32_e32 v186, v187
	v_ashrrev_i32_e32 v65, 31, v65
	v_cmp_gt_i32_e64 s20, 0, v187
	v_cmp_gt_i32_e64 s21, 0, v188
	v_not_b32_e32 v187, v188
	v_not_b32_e32 v188, v189
	v_dual_ashrrev_i32 v136, 31, v136 :: v_dual_ashrrev_i32 v186, 31, v186
	v_xor_b32_e32 v63, s17, v63
	s_delay_alu instid0(VALU_DEP_4)
	v_dual_ashrrev_i32 v187, 31, v187 :: v_dual_bitop2_b32 v65, s18, v65 bitop3:0x14
	v_cmp_gt_i32_e64 s22, 0, v189
	v_ashrrev_i32_e32 v188, 31, v188
	v_xor_b32_e32 v136, s19, v136
	v_xor_b32_e32 v186, s20, v186
	v_bitop3_b32 v62, v62, v65, v63 bitop3:0x80
	v_mad_u32_u24 v63, v64, 36, v114
	v_xor_b32_e32 v65, s21, v187
	v_xor_b32_e32 v187, s22, v188
	s_delay_alu instid0(VALU_DEP_4) | instskip(SKIP_3) | instid1(VALU_DEP_2)
	v_bitop3_b32 v62, v62, v186, v136 bitop3:0x80
	ds_load_b32 v136, v63 offset:544
	v_mul_u32_u24_e32 v63, 36, v64
	; wave barrier
	v_bitop3_b32 v62, v62, v187, v65 bitop3:0x80
	v_add_nc_u32_e32 v187, v114, v63
	s_delay_alu instid0(VALU_DEP_2) | instskip(SKIP_1) | instid1(VALU_DEP_2)
	v_mbcnt_lo_u32_b32 v186, v62, 0
	v_cmp_ne_u32_e64 s17, 0, v62
	v_cmp_eq_u32_e32 vcc_lo, 0, v186
	s_and_b32 s18, s17, vcc_lo
	s_delay_alu instid0(SALU_CYCLE_1)
	s_and_saveexec_b32 s17, s18
	s_cbranch_execz .LBB112_160
; %bb.159:                              ;   in Loop: Header=BB112_108 Depth=2
	s_wait_dscnt 0x0
	v_bcnt_u32_b32 v62, v62, v136
	ds_store_b32 v187, v62 offset:544
.LBB112_160:                            ;   in Loop: Header=BB112_108 Depth=2
	s_or_b32 exec_lo, exec_lo, s17
	v_bfe_u32 v62, v135, 16, 8
	; wave barrier
	s_delay_alu instid0(VALU_DEP_1) | instskip(NEXT) | instid1(VALU_DEP_1)
	v_lshrrev_b32_e32 v62, s43, v62
	v_and_b32_e32 v64, s48, v62
	s_delay_alu instid0(VALU_DEP_1) | instskip(SKIP_1) | instid1(VALU_DEP_1)
	v_lshlrev_b32_e32 v65, 30, v64
	v_bitop3_b32 v63, v62, 1, s48 bitop3:0x80
	v_add_co_u32 v62, s17, v63, -1
	s_delay_alu instid0(VALU_DEP_1) | instskip(NEXT) | instid1(VALU_DEP_4)
	v_cndmask_b32_e64 v63, 0, 1, s17
	v_cmp_gt_i32_e64 s17, 0, v65
	s_delay_alu instid0(VALU_DEP_2) | instskip(SKIP_2) | instid1(VALU_DEP_2)
	v_cmp_ne_u32_e32 vcc_lo, 0, v63
	v_not_b32_e32 v63, v65
	v_bitop3_b32 v62, vcc_lo, exec_lo, v62 bitop3:0x48
	v_dual_ashrrev_i32 v63, 31, v63 :: v_dual_lshlrev_b32 v188, 29, v64
	v_dual_lshlrev_b32 v189, 28, v64 :: v_dual_lshlrev_b32 v190, 27, v64
	v_lshlrev_b32_e32 v191, 26, v64
	s_delay_alu instid0(VALU_DEP_3)
	v_not_b32_e32 v65, v188
	v_lshlrev_b32_e32 v192, 25, v64
	v_cmp_gt_i32_e64 s18, 0, v188
	v_cmp_gt_i32_e64 s19, 0, v189
	v_not_b32_e32 v188, v189
	v_not_b32_e32 v189, v190
	v_ashrrev_i32_e32 v65, 31, v65
	v_cmp_gt_i32_e64 s20, 0, v190
	v_cmp_gt_i32_e64 s21, 0, v191
	v_not_b32_e32 v190, v191
	v_dual_ashrrev_i32 v188, 31, v188 :: v_dual_ashrrev_i32 v189, 31, v189
	v_xor_b32_e32 v63, s17, v63
	v_not_b32_e32 v191, v192
	s_delay_alu instid0(VALU_DEP_4) | instskip(NEXT) | instid1(VALU_DEP_4)
	v_dual_ashrrev_i32 v190, 31, v190 :: v_dual_bitop2_b32 v65, s18, v65 bitop3:0x14
	v_xor_b32_e32 v188, s19, v188
	v_xor_b32_e32 v189, s20, v189
	v_cmp_gt_i32_e32 vcc_lo, 0, v192
	s_delay_alu instid0(VALU_DEP_4) | instskip(SKIP_3) | instid1(VALU_DEP_4)
	v_bitop3_b32 v62, v62, v65, v63 bitop3:0x80
	v_ashrrev_i32_e32 v63, 31, v191
	v_mad_u32_u24 v65, v64, 36, v114
	v_xor_b32_e32 v190, s21, v190
	v_bitop3_b32 v62, v62, v189, v188 bitop3:0x80
	s_delay_alu instid0(VALU_DEP_4) | instskip(SKIP_3) | instid1(VALU_DEP_2)
	v_xor_b32_e32 v63, vcc_lo, v63
	ds_load_b32 v188, v65 offset:544
	; wave barrier
	v_bitop3_b32 v62, v62, v63, v190 bitop3:0x80
	v_mul_u32_u24_e32 v63, 36, v64
	v_mbcnt_lo_u32_b32 v189, v62, 0
	v_cmp_ne_u32_e64 s17, 0, v62
	s_delay_alu instid0(VALU_DEP_3) | instskip(NEXT) | instid1(VALU_DEP_3)
	v_add_nc_u32_e32 v191, v114, v63
	v_cmp_eq_u32_e32 vcc_lo, 0, v189
	s_and_b32 s18, s17, vcc_lo
	s_delay_alu instid0(SALU_CYCLE_1)
	s_and_saveexec_b32 s17, s18
	s_cbranch_execz .LBB112_162
; %bb.161:                              ;   in Loop: Header=BB112_108 Depth=2
	s_wait_dscnt 0x0
	v_bcnt_u32_b32 v62, v62, v188
	ds_store_b32 v191, v62 offset:544
.LBB112_162:                            ;   in Loop: Header=BB112_108 Depth=2
	s_or_b32 exec_lo, exec_lo, s17
	v_lshrrev_b32_e32 v190, 24, v135
	; wave barrier
	s_delay_alu instid0(VALU_DEP_1) | instskip(NEXT) | instid1(VALU_DEP_1)
	v_lshrrev_b32_e32 v62, s43, v190
	v_and_b32_e32 v64, s48, v62
	s_delay_alu instid0(VALU_DEP_1) | instskip(SKIP_3) | instid1(VALU_DEP_3)
	v_lshlrev_b32_e32 v65, 30, v64
	v_bitop3_b32 v63, v62, 1, s48 bitop3:0x80
	v_dual_lshlrev_b32 v192, 29, v64 :: v_dual_lshlrev_b32 v193, 28, v64
	v_dual_lshlrev_b32 v194, 27, v64 :: v_dual_lshlrev_b32 v195, 26, v64
	v_add_co_u32 v62, s17, v63, -1
	s_delay_alu instid0(VALU_DEP_1)
	v_cndmask_b32_e64 v63, 0, 1, s17
	v_cmp_gt_i32_e64 s17, 0, v65
	v_cmp_gt_i32_e64 s18, 0, v192
	;; [unrolled: 1-line block ×4, first 2 shown]
	v_cmp_ne_u32_e32 vcc_lo, 0, v63
	v_not_b32_e32 v63, v65
	v_not_b32_e32 v65, v192
	v_lshlrev_b32_e32 v196, 25, v64
	v_not_b32_e32 v192, v193
	v_not_b32_e32 v193, v194
	s_delay_alu instid0(VALU_DEP_4)
	v_dual_ashrrev_i32 v63, 31, v63 :: v_dual_ashrrev_i32 v65, 31, v65
	v_cmp_gt_i32_e64 s21, 0, v195
	v_not_b32_e32 v194, v195
	v_bitop3_b32 v62, vcc_lo, exec_lo, v62 bitop3:0x48
	v_dual_ashrrev_i32 v192, 31, v192 :: v_dual_ashrrev_i32 v193, 31, v193
	v_xor_b32_e32 v63, s17, v63
	s_delay_alu instid0(VALU_DEP_4) | instskip(SKIP_1) | instid1(VALU_DEP_4)
	v_dual_ashrrev_i32 v194, 31, v194 :: v_dual_bitop2_b32 v65, s18, v65 bitop3:0x14
	v_not_b32_e32 v195, v196
	v_xor_b32_e32 v192, s19, v192
	v_xor_b32_e32 v193, s20, v193
	s_delay_alu instid0(VALU_DEP_4)
	v_bitop3_b32 v62, v62, v65, v63 bitop3:0x80
	v_cmp_gt_i32_e32 vcc_lo, 0, v196
	v_ashrrev_i32_e32 v63, 31, v195
	v_mad_u32_u24 v65, v64, 36, v114
	v_xor_b32_e32 v194, s21, v194
	v_bitop3_b32 v62, v62, v193, v192 bitop3:0x80
	s_delay_alu instid0(VALU_DEP_4) | instskip(SKIP_3) | instid1(VALU_DEP_2)
	v_xor_b32_e32 v63, vcc_lo, v63
	ds_load_b32 v192, v65 offset:544
	; wave barrier
	v_bitop3_b32 v62, v62, v63, v194 bitop3:0x80
	v_mul_u32_u24_e32 v63, 36, v64
	v_mbcnt_lo_u32_b32 v193, v62, 0
	v_cmp_ne_u32_e64 s17, 0, v62
	s_delay_alu instid0(VALU_DEP_3) | instskip(NEXT) | instid1(VALU_DEP_3)
	v_add_nc_u32_e32 v194, v114, v63
	v_cmp_eq_u32_e32 vcc_lo, 0, v193
	s_and_b32 s18, s17, vcc_lo
	s_delay_alu instid0(SALU_CYCLE_1)
	s_and_saveexec_b32 s17, s18
	s_cbranch_execz .LBB112_164
; %bb.163:                              ;   in Loop: Header=BB112_108 Depth=2
	s_wait_dscnt 0x0
	v_bcnt_u32_b32 v62, v62, v192
	ds_store_b32 v194, v62 offset:544
.LBB112_164:                            ;   in Loop: Header=BB112_108 Depth=2
	s_or_b32 exec_lo, exec_lo, s17
	v_xor_b32_e32 v121, -1, v121
	; wave barrier
	s_delay_alu instid0(VALU_DEP_1) | instskip(NEXT) | instid1(VALU_DEP_1)
	v_and_b32_e32 v62, 0xff, v121
	v_lshrrev_b32_e32 v62, s43, v62
	s_delay_alu instid0(VALU_DEP_1) | instskip(SKIP_1) | instid1(VALU_DEP_2)
	v_bitop3_b32 v63, v62, 1, s48 bitop3:0x80
	v_and_b32_e32 v64, s48, v62
	v_add_co_u32 v62, s17, v63, -1
	s_delay_alu instid0(VALU_DEP_1) | instskip(NEXT) | instid1(VALU_DEP_3)
	v_cndmask_b32_e64 v63, 0, 1, s17
	v_lshlrev_b32_e32 v65, 30, v64
	s_delay_alu instid0(VALU_DEP_2) | instskip(NEXT) | instid1(VALU_DEP_2)
	v_cmp_ne_u32_e32 vcc_lo, 0, v63
	v_not_b32_e32 v63, v65
	v_bitop3_b32 v62, vcc_lo, exec_lo, v62 bitop3:0x48
	s_delay_alu instid0(VALU_DEP_2) | instskip(SKIP_3) | instid1(VALU_DEP_4)
	v_dual_ashrrev_i32 v63, 31, v63 :: v_dual_lshlrev_b32 v195, 29, v64
	v_dual_lshlrev_b32 v196, 28, v64 :: v_dual_lshlrev_b32 v197, 27, v64
	v_cmp_gt_i32_e64 s17, 0, v65
	v_dual_lshlrev_b32 v198, 26, v64 :: v_dual_lshlrev_b32 v199, 25, v64
	v_not_b32_e32 v65, v195
	v_cmp_gt_i32_e64 s18, 0, v195
	v_cmp_gt_i32_e64 s19, 0, v196
	v_not_b32_e32 v195, v196
	v_not_b32_e32 v196, v197
	v_ashrrev_i32_e32 v65, 31, v65
	v_cmp_gt_i32_e64 s20, 0, v197
	v_cmp_gt_i32_e64 s21, 0, v198
	v_not_b32_e32 v197, v198
	v_not_b32_e32 v198, v199
	v_dual_ashrrev_i32 v195, 31, v195 :: v_dual_ashrrev_i32 v196, 31, v196
	v_xor_b32_e32 v63, s17, v63
	s_delay_alu instid0(VALU_DEP_3) | instskip(SKIP_1) | instid1(VALU_DEP_4)
	v_dual_ashrrev_i32 v198, 31, v198 :: v_dual_bitop2_b32 v65, s18, v65 bitop3:0x14
	v_cmp_gt_i32_e64 s22, 0, v199
	v_dual_ashrrev_i32 v197, 31, v197 :: v_dual_bitop2_b32 v195, s19, v195 bitop3:0x14
	v_xor_b32_e32 v196, s20, v196
	s_delay_alu instid0(VALU_DEP_4) | instskip(SKIP_1) | instid1(VALU_DEP_4)
	v_bitop3_b32 v62, v62, v65, v63 bitop3:0x80
	v_mad_u32_u24 v63, v64, 36, v114
	v_xor_b32_e32 v65, s21, v197
	v_xor_b32_e32 v197, s22, v198
	s_delay_alu instid0(VALU_DEP_4) | instskip(SKIP_3) | instid1(VALU_DEP_2)
	v_bitop3_b32 v62, v62, v196, v195 bitop3:0x80
	ds_load_b32 v195, v63 offset:544
	v_mul_u32_u24_e32 v63, 36, v64
	; wave barrier
	v_bitop3_b32 v62, v62, v197, v65 bitop3:0x80
	v_add_nc_u32_e32 v197, v114, v63
	s_delay_alu instid0(VALU_DEP_2) | instskip(SKIP_1) | instid1(VALU_DEP_2)
	v_mbcnt_lo_u32_b32 v196, v62, 0
	v_cmp_ne_u32_e64 s17, 0, v62
	v_cmp_eq_u32_e32 vcc_lo, 0, v196
	s_and_b32 s18, s17, vcc_lo
	s_delay_alu instid0(SALU_CYCLE_1)
	s_and_saveexec_b32 s17, s18
	s_cbranch_execz .LBB112_166
; %bb.165:                              ;   in Loop: Header=BB112_108 Depth=2
	s_wait_dscnt 0x0
	v_bcnt_u32_b32 v62, v62, v195
	ds_store_b32 v197, v62 offset:544
.LBB112_166:                            ;   in Loop: Header=BB112_108 Depth=2
	s_or_b32 exec_lo, exec_lo, s17
	; wave barrier
	s_wait_dscnt 0x0
	s_barrier_signal -1
	s_barrier_wait -1
	ds_load_2addr_b32 v[64:65], v90 offset0:136 offset1:137
	ds_load_2addr_b32 v[62:63], v90 offset0:138 offset1:139
	ds_load_b32 v198, v90 offset:560
	s_wait_dscnt 0x1
	v_add3_u32 v199, v65, v64, v62
	s_wait_dscnt 0x0
	s_delay_alu instid0(VALU_DEP_1) | instskip(NEXT) | instid1(VALU_DEP_1)
	v_add3_u32 v198, v199, v63, v198
	v_mov_b32_dpp v199, v198 row_shr:1 row_mask:0xf bank_mask:0xf
	s_delay_alu instid0(VALU_DEP_1) | instskip(NEXT) | instid1(VALU_DEP_1)
	v_cndmask_b32_e64 v199, v199, 0, s8
	v_add_nc_u32_e32 v198, v199, v198
	s_delay_alu instid0(VALU_DEP_1) | instskip(NEXT) | instid1(VALU_DEP_1)
	v_mov_b32_dpp v199, v198 row_shr:2 row_mask:0xf bank_mask:0xf
	v_cndmask_b32_e64 v199, 0, v199, s9
	s_delay_alu instid0(VALU_DEP_1) | instskip(NEXT) | instid1(VALU_DEP_1)
	v_add_nc_u32_e32 v198, v198, v199
	v_mov_b32_dpp v199, v198 row_shr:4 row_mask:0xf bank_mask:0xf
	s_delay_alu instid0(VALU_DEP_1) | instskip(NEXT) | instid1(VALU_DEP_1)
	v_cndmask_b32_e64 v199, 0, v199, s10
	v_add_nc_u32_e32 v198, v198, v199
	s_delay_alu instid0(VALU_DEP_1) | instskip(NEXT) | instid1(VALU_DEP_1)
	v_mov_b32_dpp v199, v198 row_shr:8 row_mask:0xf bank_mask:0xf
	v_cndmask_b32_e64 v199, 0, v199, s11
	s_delay_alu instid0(VALU_DEP_1) | instskip(SKIP_3) | instid1(VALU_DEP_1)
	v_add_nc_u32_e32 v198, v198, v199
	ds_swizzle_b32 v199, v198 offset:swizzle(BROADCAST,32,15)
	s_wait_dscnt 0x0
	v_cndmask_b32_e64 v199, v199, 0, s12
	v_add_nc_u32_e32 v198, v198, v199
	s_and_saveexec_b32 s17, s2
; %bb.167:                              ;   in Loop: Header=BB112_108 Depth=2
	ds_store_b32 v83, v198 offset:512
; %bb.168:                              ;   in Loop: Header=BB112_108 Depth=2
	s_or_b32 exec_lo, exec_lo, s17
	s_wait_dscnt 0x0
	s_barrier_signal -1
	s_barrier_wait -1
	s_and_saveexec_b32 s17, s3
	s_cbranch_execz .LBB112_170
; %bb.169:                              ;   in Loop: Header=BB112_108 Depth=2
	ds_load_b32 v199, v92 offset:512
	s_wait_dscnt 0x0
	v_mov_b32_dpp v200, v199 row_shr:1 row_mask:0xf bank_mask:0xf
	s_delay_alu instid0(VALU_DEP_1) | instskip(NEXT) | instid1(VALU_DEP_1)
	v_cndmask_b32_e64 v200, v200, 0, s14
	v_add_nc_u32_e32 v199, v200, v199
	s_delay_alu instid0(VALU_DEP_1) | instskip(NEXT) | instid1(VALU_DEP_1)
	v_mov_b32_dpp v200, v199 row_shr:2 row_mask:0xf bank_mask:0xf
	v_cndmask_b32_e64 v200, 0, v200, s15
	s_delay_alu instid0(VALU_DEP_1) | instskip(NEXT) | instid1(VALU_DEP_1)
	v_add_nc_u32_e32 v199, v199, v200
	v_mov_b32_dpp v200, v199 row_shr:4 row_mask:0xf bank_mask:0xf
	s_delay_alu instid0(VALU_DEP_1) | instskip(NEXT) | instid1(VALU_DEP_1)
	v_cndmask_b32_e64 v200, 0, v200, s16
	v_add_nc_u32_e32 v199, v199, v200
	ds_store_b32 v92, v199 offset:512
.LBB112_170:                            ;   in Loop: Header=BB112_108 Depth=2
	s_or_b32 exec_lo, exec_lo, s17
	v_mov_b32_e32 v199, 0
	s_wait_dscnt 0x0
	s_barrier_signal -1
	s_barrier_wait -1
	s_and_saveexec_b32 s17, s5
; %bb.171:                              ;   in Loop: Header=BB112_108 Depth=2
	ds_load_b32 v199, v83 offset:508
; %bb.172:                              ;   in Loop: Header=BB112_108 Depth=2
	s_or_b32 exec_lo, exec_lo, s17
	s_wait_dscnt 0x0
	v_add_nc_u32_e32 v198, v199, v198
	ds_bpermute_b32 v198, v96, v198
	s_wait_dscnt 0x0
	v_cndmask_b32_e64 v198, v198, v199, s13
	s_delay_alu instid0(VALU_DEP_1) | instskip(NEXT) | instid1(VALU_DEP_1)
	v_cndmask_b32_e64 v198, v198, 0, s6
	v_add_nc_u32_e32 v64, v198, v64
	s_delay_alu instid0(VALU_DEP_1) | instskip(NEXT) | instid1(VALU_DEP_1)
	v_add_nc_u32_e32 v65, v64, v65
	v_add_nc_u32_e32 v62, v65, v62
	s_delay_alu instid0(VALU_DEP_1)
	v_add_nc_u32_e32 v63, v62, v63
	ds_store_2addr_b32 v90, v198, v64 offset0:136 offset1:137
	ds_store_2addr_b32 v90, v65, v62 offset0:138 offset1:139
	ds_store_b32 v90, v63 offset:560
	s_wait_dscnt 0x0
	s_barrier_signal -1
	s_barrier_wait -1
	ds_load_b32 v62, v149 offset:544
	ds_load_b32 v63, v152 offset:544
	;; [unrolled: 1-line block ×17, first 2 shown]
	s_and_saveexec_b32 s17, s0
	s_cbranch_execz .LBB112_176
; %bb.173:                              ;   in Loop: Header=BB112_108 Depth=2
	v_dual_mov_b32 v134, 0x1100 :: v_dual_add_nc_u32 v133, v92, v94
	ds_load_b32 v133, v133 offset:544
	s_and_saveexec_b32 s18, s7
; %bb.174:                              ;   in Loop: Header=BB112_108 Depth=2
	ds_load_b32 v134, v93 offset:544
; %bb.175:                              ;   in Loop: Header=BB112_108 Depth=2
	s_or_b32 exec_lo, exec_lo, s18
	s_wait_dscnt 0x0
	v_sub_nc_u32_e32 v134, v134, v133
.LBB112_176:                            ;   in Loop: Header=BB112_108 Depth=2
	s_or_b32 exec_lo, exec_lo, s17
	v_dual_lshrrev_b32 v202, 8, v148 :: v_dual_lshrrev_b32 v203, 16, v148
	v_dual_lshrrev_b32 v200, 8, v143 :: v_dual_lshrrev_b32 v201, 16, v143
	;; [unrolled: 1-line block ×4, first 2 shown]
	s_wait_dscnt 0x0
	s_barrier_signal -1
	s_barrier_wait -1
	s_and_saveexec_b32 s17, s0
	s_cbranch_execz .LBB112_178
; %bb.177:                              ;   in Loop: Header=BB112_108 Depth=2
	ds_load_b32 v135, v66
	s_wait_dscnt 0x0
	v_sub_nc_u32_e32 v135, v135, v133
	ds_store_b32 v66, v135
.LBB112_178:                            ;   in Loop: Header=BB112_108 Depth=2
	s_or_b32 exec_lo, exec_lo, s17
	v_add_nc_u32_e32 v156, v62, v146
	v_add3_u32 v152, v151, v150, v63
	v_add3_u32 v151, v154, v153, v64
	;; [unrolled: 1-line block ×16, first 2 shown]
	v_cmp_lt_u32_e32 vcc_lo, v2, v137
	ds_store_b8 v156, v147 offset:512
	ds_store_b8 v152, v202 offset:512
	;; [unrolled: 1-line block ×17, first 2 shown]
	s_wait_dscnt 0x0
	s_barrier_signal -1
	s_barrier_wait -1
	s_and_saveexec_b32 s17, vcc_lo
	s_cbranch_execnz .LBB112_251
; %bb.179:                              ;   in Loop: Header=BB112_108 Depth=2
	s_or_b32 exec_lo, exec_lo, s17
	v_cmp_lt_u32_e64 s17, v67, v137
	s_and_saveexec_b32 s18, s17
	s_cbranch_execnz .LBB112_252
.LBB112_180:                            ;   in Loop: Header=BB112_108 Depth=2
	s_or_b32 exec_lo, exec_lo, s18
	v_cmp_lt_u32_e64 s18, v68, v137
	s_and_saveexec_b32 s19, s18
	s_cbranch_execnz .LBB112_253
.LBB112_181:                            ;   in Loop: Header=BB112_108 Depth=2
	s_or_b32 exec_lo, exec_lo, s19
	v_cmp_lt_u32_e64 s19, v69, v137
	s_and_saveexec_b32 s20, s19
	s_cbranch_execnz .LBB112_254
.LBB112_182:                            ;   in Loop: Header=BB112_108 Depth=2
	s_or_b32 exec_lo, exec_lo, s20
	v_cmp_lt_u32_e64 s20, v70, v137
	s_and_saveexec_b32 s21, s20
	s_cbranch_execnz .LBB112_255
.LBB112_183:                            ;   in Loop: Header=BB112_108 Depth=2
	s_or_b32 exec_lo, exec_lo, s21
	v_cmp_lt_u32_e64 s21, v71, v137
	s_and_saveexec_b32 s22, s21
	s_cbranch_execnz .LBB112_256
.LBB112_184:                            ;   in Loop: Header=BB112_108 Depth=2
	s_or_b32 exec_lo, exec_lo, s22
	v_cmp_lt_u32_e64 s22, v72, v137
	s_and_saveexec_b32 s23, s22
	s_cbranch_execnz .LBB112_257
.LBB112_185:                            ;   in Loop: Header=BB112_108 Depth=2
	s_or_b32 exec_lo, exec_lo, s23
	v_cmp_lt_u32_e64 s23, v73, v137
	s_and_saveexec_b32 s24, s23
	s_cbranch_execnz .LBB112_258
.LBB112_186:                            ;   in Loop: Header=BB112_108 Depth=2
	s_or_b32 exec_lo, exec_lo, s24
	v_cmp_lt_u32_e64 s24, v74, v137
	s_and_saveexec_b32 s25, s24
	s_cbranch_execnz .LBB112_259
.LBB112_187:                            ;   in Loop: Header=BB112_108 Depth=2
	s_or_b32 exec_lo, exec_lo, s25
	v_cmp_lt_u32_e64 s25, v75, v137
	s_and_saveexec_b32 s26, s25
	s_cbranch_execnz .LBB112_260
.LBB112_188:                            ;   in Loop: Header=BB112_108 Depth=2
	s_or_b32 exec_lo, exec_lo, s26
	v_cmp_lt_u32_e64 s26, v76, v137
	s_and_saveexec_b32 s27, s26
	s_cbranch_execnz .LBB112_261
.LBB112_189:                            ;   in Loop: Header=BB112_108 Depth=2
	s_or_b32 exec_lo, exec_lo, s27
	v_cmp_lt_u32_e64 s27, v77, v137
	s_and_saveexec_b32 s28, s27
	s_cbranch_execnz .LBB112_262
.LBB112_190:                            ;   in Loop: Header=BB112_108 Depth=2
	s_or_b32 exec_lo, exec_lo, s28
	v_cmp_lt_u32_e64 s28, v78, v137
	s_and_saveexec_b32 s29, s28
	s_cbranch_execnz .LBB112_263
.LBB112_191:                            ;   in Loop: Header=BB112_108 Depth=2
	s_or_b32 exec_lo, exec_lo, s29
	v_cmp_lt_u32_e64 s29, v79, v137
	s_and_saveexec_b32 s30, s29
	s_cbranch_execnz .LBB112_264
.LBB112_192:                            ;   in Loop: Header=BB112_108 Depth=2
	s_or_b32 exec_lo, exec_lo, s30
	v_cmp_lt_u32_e64 s30, v80, v137
	s_and_saveexec_b32 s31, s30
	s_cbranch_execnz .LBB112_265
.LBB112_193:                            ;   in Loop: Header=BB112_108 Depth=2
	s_or_b32 exec_lo, exec_lo, s31
	v_cmp_lt_u32_e64 s31, v81, v137
	s_and_saveexec_b32 s33, s31
	s_cbranch_execnz .LBB112_266
.LBB112_194:                            ;   in Loop: Header=BB112_108 Depth=2
	s_or_b32 exec_lo, exec_lo, s33
	v_cmp_lt_u32_e64 s33, v82, v137
	s_and_saveexec_b32 s60, s33
	s_cbranch_execz .LBB112_196
.LBB112_195:                            ;   in Loop: Header=BB112_108 Depth=2
	ds_load_u8 v62, v2 offset:4608
	s_wait_dscnt 0x0
	v_and_b32_e32 v63, 0xff, v62
	s_delay_alu instid0(VALU_DEP_1) | instskip(NEXT) | instid1(VALU_DEP_1)
	v_dual_lshrrev_b32 v63, s43, v63 :: v_dual_bitop2_b32 v62, -1, v62 bitop3:0x14
	v_and_b32_e32 v63, s48, v63
	s_delay_alu instid0(VALU_DEP_1)
	v_lshlrev_b32_e32 v63, 2, v63
	ds_load_b32 v63, v63
	s_wait_dscnt 0x0
	v_add_nc_u32_e32 v63, v63, v82
	global_store_b8 v63, v62, s[38:39]
.LBB112_196:                            ;   in Loop: Header=BB112_108 Depth=2
	s_wait_xcnt 0x0
	s_or_b32 exec_lo, exec_lo, s60
	v_lshl_add_u64 v[62:63], s[34:35], 3, v[26:27]
	v_cmp_lt_u32_e64 s34, v97, v137
	s_and_saveexec_b32 s60, s34
	s_delay_alu instid0(SALU_CYCLE_1)
	s_xor_b32 s34, exec_lo, s60
	s_cbranch_execnz .LBB112_267
; %bb.197:                              ;   in Loop: Header=BB112_108 Depth=2
	s_or_b32 exec_lo, exec_lo, s34
	s_delay_alu instid0(SALU_CYCLE_1)
	s_mov_b32 s60, exec_lo
	v_cmpx_lt_u32_e64 v98, v137
	s_cbranch_execnz .LBB112_268
.LBB112_198:                            ;   in Loop: Header=BB112_108 Depth=2
	s_or_b32 exec_lo, exec_lo, s60
	s_delay_alu instid0(SALU_CYCLE_1)
	s_mov_b32 s60, exec_lo
	v_cmpx_lt_u32_e64 v99, v137
	s_cbranch_execnz .LBB112_269
.LBB112_199:                            ;   in Loop: Header=BB112_108 Depth=2
	s_or_b32 exec_lo, exec_lo, s60
	s_delay_alu instid0(SALU_CYCLE_1)
	s_mov_b32 s60, exec_lo
	v_cmpx_lt_u32_e64 v100, v137
	s_cbranch_execnz .LBB112_270
.LBB112_200:                            ;   in Loop: Header=BB112_108 Depth=2
	s_or_b32 exec_lo, exec_lo, s60
	s_delay_alu instid0(SALU_CYCLE_1)
	s_mov_b32 s60, exec_lo
	v_cmpx_lt_u32_e64 v101, v137
	s_cbranch_execnz .LBB112_271
.LBB112_201:                            ;   in Loop: Header=BB112_108 Depth=2
	s_or_b32 exec_lo, exec_lo, s60
	s_delay_alu instid0(SALU_CYCLE_1)
	s_mov_b32 s60, exec_lo
	v_cmpx_lt_u32_e64 v102, v137
	s_cbranch_execnz .LBB112_272
.LBB112_202:                            ;   in Loop: Header=BB112_108 Depth=2
	s_or_b32 exec_lo, exec_lo, s60
	s_delay_alu instid0(SALU_CYCLE_1)
	s_mov_b32 s60, exec_lo
	v_cmpx_lt_u32_e64 v103, v137
	s_cbranch_execnz .LBB112_273
.LBB112_203:                            ;   in Loop: Header=BB112_108 Depth=2
	s_or_b32 exec_lo, exec_lo, s60
	s_delay_alu instid0(SALU_CYCLE_1)
	s_mov_b32 s60, exec_lo
	v_cmpx_lt_u32_e64 v104, v137
	s_cbranch_execnz .LBB112_274
.LBB112_204:                            ;   in Loop: Header=BB112_108 Depth=2
	s_or_b32 exec_lo, exec_lo, s60
	s_delay_alu instid0(SALU_CYCLE_1)
	s_mov_b32 s60, exec_lo
	v_cmpx_lt_u32_e64 v105, v137
	s_cbranch_execnz .LBB112_275
.LBB112_205:                            ;   in Loop: Header=BB112_108 Depth=2
	s_or_b32 exec_lo, exec_lo, s60
	s_delay_alu instid0(SALU_CYCLE_1)
	s_mov_b32 s60, exec_lo
	v_cmpx_lt_u32_e64 v106, v137
	s_cbranch_execnz .LBB112_276
.LBB112_206:                            ;   in Loop: Header=BB112_108 Depth=2
	s_or_b32 exec_lo, exec_lo, s60
	s_delay_alu instid0(SALU_CYCLE_1)
	s_mov_b32 s60, exec_lo
	v_cmpx_lt_u32_e64 v107, v137
	s_cbranch_execnz .LBB112_277
.LBB112_207:                            ;   in Loop: Header=BB112_108 Depth=2
	s_or_b32 exec_lo, exec_lo, s60
	s_delay_alu instid0(SALU_CYCLE_1)
	s_mov_b32 s60, exec_lo
	v_cmpx_lt_u32_e64 v108, v137
	s_cbranch_execnz .LBB112_278
.LBB112_208:                            ;   in Loop: Header=BB112_108 Depth=2
	s_or_b32 exec_lo, exec_lo, s60
	s_delay_alu instid0(SALU_CYCLE_1)
	s_mov_b32 s60, exec_lo
	v_cmpx_lt_u32_e64 v109, v137
	s_cbranch_execnz .LBB112_279
.LBB112_209:                            ;   in Loop: Header=BB112_108 Depth=2
	s_or_b32 exec_lo, exec_lo, s60
	s_delay_alu instid0(SALU_CYCLE_1)
	s_mov_b32 s60, exec_lo
	v_cmpx_lt_u32_e64 v110, v137
	s_cbranch_execnz .LBB112_280
.LBB112_210:                            ;   in Loop: Header=BB112_108 Depth=2
	s_or_b32 exec_lo, exec_lo, s60
	s_delay_alu instid0(SALU_CYCLE_1)
	s_mov_b32 s60, exec_lo
	v_cmpx_lt_u32_e64 v111, v137
	s_cbranch_execnz .LBB112_281
.LBB112_211:                            ;   in Loop: Header=BB112_108 Depth=2
	s_or_b32 exec_lo, exec_lo, s60
	s_delay_alu instid0(SALU_CYCLE_1)
	s_mov_b32 s60, exec_lo
	v_cmpx_lt_u32_e64 v112, v137
	s_cbranch_execnz .LBB112_282
.LBB112_212:                            ;   in Loop: Header=BB112_108 Depth=2
	s_or_b32 exec_lo, exec_lo, s60
	s_delay_alu instid0(SALU_CYCLE_1)
	s_mov_b32 s60, exec_lo
	v_cmpx_lt_u32_e64 v113, v137
	s_cbranch_execnz .LBB112_283
.LBB112_213:                            ;   in Loop: Header=BB112_108 Depth=2
	s_or_b32 exec_lo, exec_lo, s60
	s_and_saveexec_b32 s34, vcc_lo
	s_cbranch_execnz .LBB112_284
.LBB112_214:                            ;   in Loop: Header=BB112_108 Depth=2
	s_or_b32 exec_lo, exec_lo, s34
	s_and_saveexec_b32 s34, s17
	s_cbranch_execnz .LBB112_285
.LBB112_215:                            ;   in Loop: Header=BB112_108 Depth=2
	s_or_b32 exec_lo, exec_lo, s34
	s_and_saveexec_b32 s34, s18
	s_cbranch_execnz .LBB112_286
.LBB112_216:                            ;   in Loop: Header=BB112_108 Depth=2
	s_or_b32 exec_lo, exec_lo, s34
	s_and_saveexec_b32 s34, s19
	s_cbranch_execnz .LBB112_287
.LBB112_217:                            ;   in Loop: Header=BB112_108 Depth=2
	s_or_b32 exec_lo, exec_lo, s34
	s_and_saveexec_b32 s34, s20
	s_cbranch_execnz .LBB112_288
.LBB112_218:                            ;   in Loop: Header=BB112_108 Depth=2
	s_or_b32 exec_lo, exec_lo, s34
	s_and_saveexec_b32 s34, s21
	s_cbranch_execnz .LBB112_289
.LBB112_219:                            ;   in Loop: Header=BB112_108 Depth=2
	s_or_b32 exec_lo, exec_lo, s34
	s_and_saveexec_b32 s34, s22
	s_cbranch_execnz .LBB112_290
.LBB112_220:                            ;   in Loop: Header=BB112_108 Depth=2
	s_or_b32 exec_lo, exec_lo, s34
	s_and_saveexec_b32 s34, s23
	s_cbranch_execnz .LBB112_291
.LBB112_221:                            ;   in Loop: Header=BB112_108 Depth=2
	s_or_b32 exec_lo, exec_lo, s34
	s_and_saveexec_b32 s34, s24
	s_cbranch_execnz .LBB112_292
.LBB112_222:                            ;   in Loop: Header=BB112_108 Depth=2
	s_or_b32 exec_lo, exec_lo, s34
	s_and_saveexec_b32 s34, s25
	s_cbranch_execnz .LBB112_293
.LBB112_223:                            ;   in Loop: Header=BB112_108 Depth=2
	s_or_b32 exec_lo, exec_lo, s34
	s_and_saveexec_b32 s34, s26
	s_cbranch_execnz .LBB112_294
.LBB112_224:                            ;   in Loop: Header=BB112_108 Depth=2
	s_or_b32 exec_lo, exec_lo, s34
	s_and_saveexec_b32 s34, s27
	s_cbranch_execnz .LBB112_295
.LBB112_225:                            ;   in Loop: Header=BB112_108 Depth=2
	s_or_b32 exec_lo, exec_lo, s34
	s_and_saveexec_b32 s34, s28
	s_cbranch_execnz .LBB112_296
.LBB112_226:                            ;   in Loop: Header=BB112_108 Depth=2
	s_or_b32 exec_lo, exec_lo, s34
	s_and_saveexec_b32 s34, s29
	s_cbranch_execnz .LBB112_297
.LBB112_227:                            ;   in Loop: Header=BB112_108 Depth=2
	s_or_b32 exec_lo, exec_lo, s34
	s_and_saveexec_b32 s34, s30
	s_cbranch_execnz .LBB112_298
.LBB112_228:                            ;   in Loop: Header=BB112_108 Depth=2
	s_or_b32 exec_lo, exec_lo, s34
	s_and_saveexec_b32 s34, s31
	s_cbranch_execnz .LBB112_299
.LBB112_229:                            ;   in Loop: Header=BB112_108 Depth=2
	s_or_b32 exec_lo, exec_lo, s34
	s_and_saveexec_b32 s34, s33
	s_cbranch_execz .LBB112_231
.LBB112_230:                            ;   in Loop: Header=BB112_108 Depth=2
	ds_load_u8 v62, v2 offset:4608
	s_wait_dscnt 0x0
	v_lshrrev_b32_e32 v62, s43, v62
	s_delay_alu instid0(VALU_DEP_1)
	v_and_b32_e32 v115, s48, v62
.LBB112_231:                            ;   in Loop: Header=BB112_108 Depth=2
	s_or_b32 exec_lo, exec_lo, s34
	v_lshlrev_b32_e32 v62, 3, v156
	v_lshlrev_b32_e32 v63, 3, v152
	s_wait_loadcnt 0x0
	s_wait_storecnt 0x0
	s_barrier_signal -1
	s_barrier_wait -1
	ds_store_b64 v62, v[60:61] offset:512
	ds_store_b64 v63, v[58:59] offset:512
	v_dual_lshlrev_b32 v62, 3, v151 :: v_dual_lshlrev_b32 v63, 3, v150
	v_dual_lshlrev_b32 v137, 3, v149 :: v_dual_lshlrev_b32 v138, 3, v148
	v_lshlrev_b32_e32 v142, 3, v146
	ds_store_b64 v62, v[56:57] offset:512
	ds_store_b64 v63, v[54:55] offset:512
	ds_store_b64 v137, v[52:53] offset:512
	ds_store_b64 v138, v[50:51] offset:512
	ds_store_b64 v142, v[48:49] offset:512
	v_dual_lshlrev_b32 v62, 3, v145 :: v_dual_lshlrev_b32 v63, 3, v144
	v_dual_lshlrev_b32 v137, 3, v143 :: v_dual_lshlrev_b32 v138, 3, v141
	v_lshlrev_b32_e32 v140, 3, v140
	ds_store_b64 v62, v[46:47] offset:512
	ds_store_b64 v63, v[44:45] offset:512
	ds_store_b64 v137, v[42:43] offset:512
	;; [unrolled: 8-line block ×3, first 2 shown]
	ds_store_b64 v65, v[30:31] offset:512
	ds_store_b64 v64, v[28:29] offset:512
	s_wait_dscnt 0x0
	s_barrier_signal -1
	s_barrier_wait -1
	s_and_saveexec_b32 s34, vcc_lo
	s_cbranch_execnz .LBB112_300
; %bb.232:                              ;   in Loop: Header=BB112_108 Depth=2
	s_or_b32 exec_lo, exec_lo, s34
	s_and_saveexec_b32 s34, s17
	s_cbranch_execnz .LBB112_301
.LBB112_233:                            ;   in Loop: Header=BB112_108 Depth=2
	s_or_b32 exec_lo, exec_lo, s34
	s_and_saveexec_b32 s17, s18
	s_cbranch_execnz .LBB112_302
.LBB112_234:                            ;   in Loop: Header=BB112_108 Depth=2
	s_or_b32 exec_lo, exec_lo, s17
	s_and_saveexec_b32 s17, s19
	s_cbranch_execnz .LBB112_303
.LBB112_235:                            ;   in Loop: Header=BB112_108 Depth=2
	s_or_b32 exec_lo, exec_lo, s17
	s_and_saveexec_b32 s17, s20
	s_cbranch_execnz .LBB112_304
.LBB112_236:                            ;   in Loop: Header=BB112_108 Depth=2
	s_or_b32 exec_lo, exec_lo, s17
	s_and_saveexec_b32 s17, s21
	s_cbranch_execnz .LBB112_305
.LBB112_237:                            ;   in Loop: Header=BB112_108 Depth=2
	s_or_b32 exec_lo, exec_lo, s17
	s_and_saveexec_b32 s17, s22
	s_cbranch_execnz .LBB112_306
.LBB112_238:                            ;   in Loop: Header=BB112_108 Depth=2
	s_or_b32 exec_lo, exec_lo, s17
	s_and_saveexec_b32 s17, s23
	s_cbranch_execnz .LBB112_307
.LBB112_239:                            ;   in Loop: Header=BB112_108 Depth=2
	s_or_b32 exec_lo, exec_lo, s17
	s_and_saveexec_b32 s17, s24
	s_cbranch_execnz .LBB112_308
.LBB112_240:                            ;   in Loop: Header=BB112_108 Depth=2
	s_or_b32 exec_lo, exec_lo, s17
	s_and_saveexec_b32 s17, s25
	s_cbranch_execnz .LBB112_309
.LBB112_241:                            ;   in Loop: Header=BB112_108 Depth=2
	s_or_b32 exec_lo, exec_lo, s17
	s_and_saveexec_b32 s17, s26
	s_cbranch_execnz .LBB112_310
.LBB112_242:                            ;   in Loop: Header=BB112_108 Depth=2
	s_or_b32 exec_lo, exec_lo, s17
	s_and_saveexec_b32 s17, s27
	s_cbranch_execnz .LBB112_311
.LBB112_243:                            ;   in Loop: Header=BB112_108 Depth=2
	s_or_b32 exec_lo, exec_lo, s17
	s_and_saveexec_b32 s17, s28
	s_cbranch_execnz .LBB112_312
.LBB112_244:                            ;   in Loop: Header=BB112_108 Depth=2
	s_or_b32 exec_lo, exec_lo, s17
	s_and_saveexec_b32 s17, s29
	s_cbranch_execnz .LBB112_313
.LBB112_245:                            ;   in Loop: Header=BB112_108 Depth=2
	s_or_b32 exec_lo, exec_lo, s17
	s_and_saveexec_b32 s17, s30
	s_cbranch_execnz .LBB112_314
.LBB112_246:                            ;   in Loop: Header=BB112_108 Depth=2
	s_or_b32 exec_lo, exec_lo, s17
	s_and_saveexec_b32 s17, s31
	s_cbranch_execnz .LBB112_315
.LBB112_247:                            ;   in Loop: Header=BB112_108 Depth=2
	s_or_b32 exec_lo, exec_lo, s17
	s_and_saveexec_b32 s17, s33
	s_cbranch_execz .LBB112_249
.LBB112_248:                            ;   in Loop: Header=BB112_108 Depth=2
	v_lshlrev_b32_e32 v62, 2, v115
	v_add_nc_u32_e32 v63, v2, v95
	ds_load_b32 v64, v62
	ds_load_b64 v[62:63], v63 offset:33280
	s_wait_dscnt 0x1
	v_add_nc_u32_e32 v64, v64, v82
	s_wait_dscnt 0x0
	global_store_b64 v64, v[62:63], s[44:45] scale_offset
.LBB112_249:                            ;   in Loop: Header=BB112_108 Depth=2
	s_wait_xcnt 0x0
	s_or_b32 exec_lo, exec_lo, s17
	s_wait_storecnt 0x0
	s_barrier_signal -1
	s_barrier_wait -1
	s_and_saveexec_b32 s17, s0
	s_cbranch_execz .LBB112_107
; %bb.250:                              ;   in Loop: Header=BB112_108 Depth=2
	ds_load_b32 v62, v66
	s_wait_dscnt 0x0
	v_add3_u32 v62, v133, v134, v62
	ds_store_b32 v66, v62
	s_branch .LBB112_107
.LBB112_251:                            ;   in Loop: Header=BB112_108 Depth=2
	ds_load_u8 v62, v2 offset:512
	s_wait_dscnt 0x0
	v_and_b32_e32 v63, 0xff, v62
	s_delay_alu instid0(VALU_DEP_1) | instskip(NEXT) | instid1(VALU_DEP_1)
	v_dual_lshrrev_b32 v63, s43, v63 :: v_dual_bitop2_b32 v62, -1, v62 bitop3:0x14
	v_and_b32_e32 v63, s48, v63
	s_delay_alu instid0(VALU_DEP_1)
	v_lshlrev_b32_e32 v63, 2, v63
	ds_load_b32 v63, v63
	s_wait_dscnt 0x0
	v_add_nc_u32_e32 v63, v63, v2
	global_store_b8 v63, v62, s[38:39]
	s_wait_xcnt 0x0
	s_or_b32 exec_lo, exec_lo, s17
	v_cmp_lt_u32_e64 s17, v67, v137
	s_and_saveexec_b32 s18, s17
	s_cbranch_execz .LBB112_180
.LBB112_252:                            ;   in Loop: Header=BB112_108 Depth=2
	ds_load_u8 v62, v2 offset:768
	s_wait_dscnt 0x0
	v_and_b32_e32 v63, 0xff, v62
	s_delay_alu instid0(VALU_DEP_1) | instskip(NEXT) | instid1(VALU_DEP_1)
	v_dual_lshrrev_b32 v63, s43, v63 :: v_dual_bitop2_b32 v62, -1, v62 bitop3:0x14
	v_and_b32_e32 v63, s48, v63
	s_delay_alu instid0(VALU_DEP_1)
	v_lshlrev_b32_e32 v63, 2, v63
	ds_load_b32 v63, v63
	s_wait_dscnt 0x0
	v_add_nc_u32_e32 v63, v63, v67
	global_store_b8 v63, v62, s[38:39]
	s_wait_xcnt 0x0
	s_or_b32 exec_lo, exec_lo, s18
	v_cmp_lt_u32_e64 s18, v68, v137
	s_and_saveexec_b32 s19, s18
	s_cbranch_execz .LBB112_181
.LBB112_253:                            ;   in Loop: Header=BB112_108 Depth=2
	ds_load_u8 v62, v2 offset:1024
	s_wait_dscnt 0x0
	v_and_b32_e32 v63, 0xff, v62
	s_delay_alu instid0(VALU_DEP_1) | instskip(NEXT) | instid1(VALU_DEP_1)
	v_dual_lshrrev_b32 v63, s43, v63 :: v_dual_bitop2_b32 v62, -1, v62 bitop3:0x14
	v_and_b32_e32 v63, s48, v63
	s_delay_alu instid0(VALU_DEP_1)
	v_lshlrev_b32_e32 v63, 2, v63
	ds_load_b32 v63, v63
	s_wait_dscnt 0x0
	v_add_nc_u32_e32 v63, v63, v68
	global_store_b8 v63, v62, s[38:39]
	s_wait_xcnt 0x0
	s_or_b32 exec_lo, exec_lo, s19
	v_cmp_lt_u32_e64 s19, v69, v137
	s_and_saveexec_b32 s20, s19
	s_cbranch_execz .LBB112_182
.LBB112_254:                            ;   in Loop: Header=BB112_108 Depth=2
	ds_load_u8 v62, v2 offset:1280
	s_wait_dscnt 0x0
	v_and_b32_e32 v63, 0xff, v62
	s_delay_alu instid0(VALU_DEP_1) | instskip(NEXT) | instid1(VALU_DEP_1)
	v_dual_lshrrev_b32 v63, s43, v63 :: v_dual_bitop2_b32 v62, -1, v62 bitop3:0x14
	v_and_b32_e32 v63, s48, v63
	s_delay_alu instid0(VALU_DEP_1)
	v_lshlrev_b32_e32 v63, 2, v63
	ds_load_b32 v63, v63
	s_wait_dscnt 0x0
	v_add_nc_u32_e32 v63, v63, v69
	global_store_b8 v63, v62, s[38:39]
	s_wait_xcnt 0x0
	s_or_b32 exec_lo, exec_lo, s20
	v_cmp_lt_u32_e64 s20, v70, v137
	s_and_saveexec_b32 s21, s20
	s_cbranch_execz .LBB112_183
.LBB112_255:                            ;   in Loop: Header=BB112_108 Depth=2
	ds_load_u8 v62, v2 offset:1536
	s_wait_dscnt 0x0
	v_and_b32_e32 v63, 0xff, v62
	s_delay_alu instid0(VALU_DEP_1) | instskip(NEXT) | instid1(VALU_DEP_1)
	v_dual_lshrrev_b32 v63, s43, v63 :: v_dual_bitop2_b32 v62, -1, v62 bitop3:0x14
	v_and_b32_e32 v63, s48, v63
	s_delay_alu instid0(VALU_DEP_1)
	v_lshlrev_b32_e32 v63, 2, v63
	ds_load_b32 v63, v63
	s_wait_dscnt 0x0
	v_add_nc_u32_e32 v63, v63, v70
	global_store_b8 v63, v62, s[38:39]
	s_wait_xcnt 0x0
	s_or_b32 exec_lo, exec_lo, s21
	v_cmp_lt_u32_e64 s21, v71, v137
	s_and_saveexec_b32 s22, s21
	s_cbranch_execz .LBB112_184
.LBB112_256:                            ;   in Loop: Header=BB112_108 Depth=2
	ds_load_u8 v62, v2 offset:1792
	s_wait_dscnt 0x0
	v_and_b32_e32 v63, 0xff, v62
	s_delay_alu instid0(VALU_DEP_1) | instskip(NEXT) | instid1(VALU_DEP_1)
	v_dual_lshrrev_b32 v63, s43, v63 :: v_dual_bitop2_b32 v62, -1, v62 bitop3:0x14
	v_and_b32_e32 v63, s48, v63
	s_delay_alu instid0(VALU_DEP_1)
	v_lshlrev_b32_e32 v63, 2, v63
	ds_load_b32 v63, v63
	s_wait_dscnt 0x0
	v_add_nc_u32_e32 v63, v63, v71
	global_store_b8 v63, v62, s[38:39]
	s_wait_xcnt 0x0
	s_or_b32 exec_lo, exec_lo, s22
	v_cmp_lt_u32_e64 s22, v72, v137
	s_and_saveexec_b32 s23, s22
	s_cbranch_execz .LBB112_185
.LBB112_257:                            ;   in Loop: Header=BB112_108 Depth=2
	ds_load_u8 v62, v2 offset:2048
	s_wait_dscnt 0x0
	v_and_b32_e32 v63, 0xff, v62
	s_delay_alu instid0(VALU_DEP_1) | instskip(NEXT) | instid1(VALU_DEP_1)
	v_dual_lshrrev_b32 v63, s43, v63 :: v_dual_bitop2_b32 v62, -1, v62 bitop3:0x14
	v_and_b32_e32 v63, s48, v63
	s_delay_alu instid0(VALU_DEP_1)
	v_lshlrev_b32_e32 v63, 2, v63
	ds_load_b32 v63, v63
	s_wait_dscnt 0x0
	v_add_nc_u32_e32 v63, v63, v72
	global_store_b8 v63, v62, s[38:39]
	s_wait_xcnt 0x0
	s_or_b32 exec_lo, exec_lo, s23
	v_cmp_lt_u32_e64 s23, v73, v137
	s_and_saveexec_b32 s24, s23
	s_cbranch_execz .LBB112_186
.LBB112_258:                            ;   in Loop: Header=BB112_108 Depth=2
	ds_load_u8 v62, v2 offset:2304
	s_wait_dscnt 0x0
	v_and_b32_e32 v63, 0xff, v62
	s_delay_alu instid0(VALU_DEP_1) | instskip(NEXT) | instid1(VALU_DEP_1)
	v_dual_lshrrev_b32 v63, s43, v63 :: v_dual_bitop2_b32 v62, -1, v62 bitop3:0x14
	v_and_b32_e32 v63, s48, v63
	s_delay_alu instid0(VALU_DEP_1)
	v_lshlrev_b32_e32 v63, 2, v63
	ds_load_b32 v63, v63
	s_wait_dscnt 0x0
	v_add_nc_u32_e32 v63, v63, v73
	global_store_b8 v63, v62, s[38:39]
	s_wait_xcnt 0x0
	s_or_b32 exec_lo, exec_lo, s24
	v_cmp_lt_u32_e64 s24, v74, v137
	s_and_saveexec_b32 s25, s24
	s_cbranch_execz .LBB112_187
.LBB112_259:                            ;   in Loop: Header=BB112_108 Depth=2
	ds_load_u8 v62, v2 offset:2560
	s_wait_dscnt 0x0
	v_and_b32_e32 v63, 0xff, v62
	s_delay_alu instid0(VALU_DEP_1) | instskip(NEXT) | instid1(VALU_DEP_1)
	v_dual_lshrrev_b32 v63, s43, v63 :: v_dual_bitop2_b32 v62, -1, v62 bitop3:0x14
	v_and_b32_e32 v63, s48, v63
	s_delay_alu instid0(VALU_DEP_1)
	v_lshlrev_b32_e32 v63, 2, v63
	ds_load_b32 v63, v63
	s_wait_dscnt 0x0
	v_add_nc_u32_e32 v63, v63, v74
	global_store_b8 v63, v62, s[38:39]
	s_wait_xcnt 0x0
	s_or_b32 exec_lo, exec_lo, s25
	v_cmp_lt_u32_e64 s25, v75, v137
	s_and_saveexec_b32 s26, s25
	s_cbranch_execz .LBB112_188
.LBB112_260:                            ;   in Loop: Header=BB112_108 Depth=2
	ds_load_u8 v62, v2 offset:2816
	s_wait_dscnt 0x0
	v_and_b32_e32 v63, 0xff, v62
	s_delay_alu instid0(VALU_DEP_1) | instskip(NEXT) | instid1(VALU_DEP_1)
	v_dual_lshrrev_b32 v63, s43, v63 :: v_dual_bitop2_b32 v62, -1, v62 bitop3:0x14
	v_and_b32_e32 v63, s48, v63
	s_delay_alu instid0(VALU_DEP_1)
	v_lshlrev_b32_e32 v63, 2, v63
	ds_load_b32 v63, v63
	s_wait_dscnt 0x0
	v_add_nc_u32_e32 v63, v63, v75
	global_store_b8 v63, v62, s[38:39]
	s_wait_xcnt 0x0
	s_or_b32 exec_lo, exec_lo, s26
	v_cmp_lt_u32_e64 s26, v76, v137
	s_and_saveexec_b32 s27, s26
	s_cbranch_execz .LBB112_189
.LBB112_261:                            ;   in Loop: Header=BB112_108 Depth=2
	ds_load_u8 v62, v2 offset:3072
	s_wait_dscnt 0x0
	v_and_b32_e32 v63, 0xff, v62
	s_delay_alu instid0(VALU_DEP_1) | instskip(NEXT) | instid1(VALU_DEP_1)
	v_dual_lshrrev_b32 v63, s43, v63 :: v_dual_bitop2_b32 v62, -1, v62 bitop3:0x14
	v_and_b32_e32 v63, s48, v63
	s_delay_alu instid0(VALU_DEP_1)
	v_lshlrev_b32_e32 v63, 2, v63
	ds_load_b32 v63, v63
	s_wait_dscnt 0x0
	v_add_nc_u32_e32 v63, v63, v76
	global_store_b8 v63, v62, s[38:39]
	s_wait_xcnt 0x0
	s_or_b32 exec_lo, exec_lo, s27
	v_cmp_lt_u32_e64 s27, v77, v137
	s_and_saveexec_b32 s28, s27
	s_cbranch_execz .LBB112_190
.LBB112_262:                            ;   in Loop: Header=BB112_108 Depth=2
	ds_load_u8 v62, v2 offset:3328
	s_wait_dscnt 0x0
	v_and_b32_e32 v63, 0xff, v62
	s_delay_alu instid0(VALU_DEP_1) | instskip(NEXT) | instid1(VALU_DEP_1)
	v_dual_lshrrev_b32 v63, s43, v63 :: v_dual_bitop2_b32 v62, -1, v62 bitop3:0x14
	v_and_b32_e32 v63, s48, v63
	s_delay_alu instid0(VALU_DEP_1)
	v_lshlrev_b32_e32 v63, 2, v63
	ds_load_b32 v63, v63
	s_wait_dscnt 0x0
	v_add_nc_u32_e32 v63, v63, v77
	global_store_b8 v63, v62, s[38:39]
	s_wait_xcnt 0x0
	s_or_b32 exec_lo, exec_lo, s28
	v_cmp_lt_u32_e64 s28, v78, v137
	s_and_saveexec_b32 s29, s28
	s_cbranch_execz .LBB112_191
.LBB112_263:                            ;   in Loop: Header=BB112_108 Depth=2
	ds_load_u8 v62, v2 offset:3584
	s_wait_dscnt 0x0
	v_and_b32_e32 v63, 0xff, v62
	s_delay_alu instid0(VALU_DEP_1) | instskip(NEXT) | instid1(VALU_DEP_1)
	v_dual_lshrrev_b32 v63, s43, v63 :: v_dual_bitop2_b32 v62, -1, v62 bitop3:0x14
	v_and_b32_e32 v63, s48, v63
	s_delay_alu instid0(VALU_DEP_1)
	v_lshlrev_b32_e32 v63, 2, v63
	ds_load_b32 v63, v63
	s_wait_dscnt 0x0
	v_add_nc_u32_e32 v63, v63, v78
	global_store_b8 v63, v62, s[38:39]
	s_wait_xcnt 0x0
	s_or_b32 exec_lo, exec_lo, s29
	v_cmp_lt_u32_e64 s29, v79, v137
	s_and_saveexec_b32 s30, s29
	s_cbranch_execz .LBB112_192
.LBB112_264:                            ;   in Loop: Header=BB112_108 Depth=2
	ds_load_u8 v62, v2 offset:3840
	s_wait_dscnt 0x0
	v_and_b32_e32 v63, 0xff, v62
	s_delay_alu instid0(VALU_DEP_1) | instskip(NEXT) | instid1(VALU_DEP_1)
	v_dual_lshrrev_b32 v63, s43, v63 :: v_dual_bitop2_b32 v62, -1, v62 bitop3:0x14
	v_and_b32_e32 v63, s48, v63
	s_delay_alu instid0(VALU_DEP_1)
	v_lshlrev_b32_e32 v63, 2, v63
	ds_load_b32 v63, v63
	s_wait_dscnt 0x0
	v_add_nc_u32_e32 v63, v63, v79
	global_store_b8 v63, v62, s[38:39]
	s_wait_xcnt 0x0
	s_or_b32 exec_lo, exec_lo, s30
	v_cmp_lt_u32_e64 s30, v80, v137
	s_and_saveexec_b32 s31, s30
	s_cbranch_execz .LBB112_193
.LBB112_265:                            ;   in Loop: Header=BB112_108 Depth=2
	ds_load_u8 v62, v2 offset:4096
	s_wait_dscnt 0x0
	v_and_b32_e32 v63, 0xff, v62
	s_delay_alu instid0(VALU_DEP_1) | instskip(NEXT) | instid1(VALU_DEP_1)
	v_dual_lshrrev_b32 v63, s43, v63 :: v_dual_bitop2_b32 v62, -1, v62 bitop3:0x14
	v_and_b32_e32 v63, s48, v63
	s_delay_alu instid0(VALU_DEP_1)
	v_lshlrev_b32_e32 v63, 2, v63
	ds_load_b32 v63, v63
	s_wait_dscnt 0x0
	v_add_nc_u32_e32 v63, v63, v80
	global_store_b8 v63, v62, s[38:39]
	s_wait_xcnt 0x0
	s_or_b32 exec_lo, exec_lo, s31
	v_cmp_lt_u32_e64 s31, v81, v137
	s_and_saveexec_b32 s33, s31
	s_cbranch_execz .LBB112_194
.LBB112_266:                            ;   in Loop: Header=BB112_108 Depth=2
	ds_load_u8 v62, v2 offset:4352
	s_wait_dscnt 0x0
	v_and_b32_e32 v63, 0xff, v62
	s_delay_alu instid0(VALU_DEP_1) | instskip(NEXT) | instid1(VALU_DEP_1)
	v_dual_lshrrev_b32 v63, s43, v63 :: v_dual_bitop2_b32 v62, -1, v62 bitop3:0x14
	v_and_b32_e32 v63, s48, v63
	s_delay_alu instid0(VALU_DEP_1)
	v_lshlrev_b32_e32 v63, 2, v63
	ds_load_b32 v63, v63
	s_wait_dscnt 0x0
	v_add_nc_u32_e32 v63, v63, v81
	global_store_b8 v63, v62, s[38:39]
	s_wait_xcnt 0x0
	s_or_b32 exec_lo, exec_lo, s33
	v_cmp_lt_u32_e64 s33, v82, v137
	s_and_saveexec_b32 s60, s33
	s_cbranch_execnz .LBB112_195
	s_branch .LBB112_196
.LBB112_267:                            ;   in Loop: Header=BB112_108 Depth=2
	global_load_b64 v[60:61], v[62:63], off
	s_wait_xcnt 0x0
	s_or_b32 exec_lo, exec_lo, s34
	s_delay_alu instid0(SALU_CYCLE_1)
	s_mov_b32 s60, exec_lo
	v_cmpx_lt_u32_e64 v98, v137
	s_cbranch_execz .LBB112_198
.LBB112_268:                            ;   in Loop: Header=BB112_108 Depth=2
	global_load_b64 v[58:59], v[62:63], off offset:256
	s_wait_xcnt 0x0
	s_or_b32 exec_lo, exec_lo, s60
	s_delay_alu instid0(SALU_CYCLE_1)
	s_mov_b32 s60, exec_lo
	v_cmpx_lt_u32_e64 v99, v137
	s_cbranch_execz .LBB112_199
.LBB112_269:                            ;   in Loop: Header=BB112_108 Depth=2
	global_load_b64 v[56:57], v[62:63], off offset:512
	s_wait_xcnt 0x0
	s_or_b32 exec_lo, exec_lo, s60
	s_delay_alu instid0(SALU_CYCLE_1)
	s_mov_b32 s60, exec_lo
	v_cmpx_lt_u32_e64 v100, v137
	s_cbranch_execz .LBB112_200
.LBB112_270:                            ;   in Loop: Header=BB112_108 Depth=2
	global_load_b64 v[54:55], v[62:63], off offset:768
	s_wait_xcnt 0x0
	s_or_b32 exec_lo, exec_lo, s60
	s_delay_alu instid0(SALU_CYCLE_1)
	s_mov_b32 s60, exec_lo
	v_cmpx_lt_u32_e64 v101, v137
	s_cbranch_execz .LBB112_201
.LBB112_271:                            ;   in Loop: Header=BB112_108 Depth=2
	global_load_b64 v[52:53], v[62:63], off offset:1024
	s_wait_xcnt 0x0
	s_or_b32 exec_lo, exec_lo, s60
	s_delay_alu instid0(SALU_CYCLE_1)
	s_mov_b32 s60, exec_lo
	v_cmpx_lt_u32_e64 v102, v137
	s_cbranch_execz .LBB112_202
.LBB112_272:                            ;   in Loop: Header=BB112_108 Depth=2
	global_load_b64 v[50:51], v[62:63], off offset:1280
	s_wait_xcnt 0x0
	s_or_b32 exec_lo, exec_lo, s60
	s_delay_alu instid0(SALU_CYCLE_1)
	s_mov_b32 s60, exec_lo
	v_cmpx_lt_u32_e64 v103, v137
	s_cbranch_execz .LBB112_203
.LBB112_273:                            ;   in Loop: Header=BB112_108 Depth=2
	global_load_b64 v[48:49], v[62:63], off offset:1536
	s_wait_xcnt 0x0
	s_or_b32 exec_lo, exec_lo, s60
	s_delay_alu instid0(SALU_CYCLE_1)
	s_mov_b32 s60, exec_lo
	v_cmpx_lt_u32_e64 v104, v137
	s_cbranch_execz .LBB112_204
.LBB112_274:                            ;   in Loop: Header=BB112_108 Depth=2
	global_load_b64 v[46:47], v[62:63], off offset:1792
	s_wait_xcnt 0x0
	s_or_b32 exec_lo, exec_lo, s60
	s_delay_alu instid0(SALU_CYCLE_1)
	s_mov_b32 s60, exec_lo
	v_cmpx_lt_u32_e64 v105, v137
	s_cbranch_execz .LBB112_205
.LBB112_275:                            ;   in Loop: Header=BB112_108 Depth=2
	global_load_b64 v[44:45], v[62:63], off offset:2048
	s_wait_xcnt 0x0
	s_or_b32 exec_lo, exec_lo, s60
	s_delay_alu instid0(SALU_CYCLE_1)
	s_mov_b32 s60, exec_lo
	v_cmpx_lt_u32_e64 v106, v137
	s_cbranch_execz .LBB112_206
.LBB112_276:                            ;   in Loop: Header=BB112_108 Depth=2
	global_load_b64 v[42:43], v[62:63], off offset:2304
	s_wait_xcnt 0x0
	s_or_b32 exec_lo, exec_lo, s60
	s_delay_alu instid0(SALU_CYCLE_1)
	s_mov_b32 s60, exec_lo
	v_cmpx_lt_u32_e64 v107, v137
	s_cbranch_execz .LBB112_207
.LBB112_277:                            ;   in Loop: Header=BB112_108 Depth=2
	global_load_b64 v[40:41], v[62:63], off offset:2560
	s_wait_xcnt 0x0
	s_or_b32 exec_lo, exec_lo, s60
	s_delay_alu instid0(SALU_CYCLE_1)
	s_mov_b32 s60, exec_lo
	v_cmpx_lt_u32_e64 v108, v137
	s_cbranch_execz .LBB112_208
.LBB112_278:                            ;   in Loop: Header=BB112_108 Depth=2
	global_load_b64 v[38:39], v[62:63], off offset:2816
	s_wait_xcnt 0x0
	s_or_b32 exec_lo, exec_lo, s60
	s_delay_alu instid0(SALU_CYCLE_1)
	s_mov_b32 s60, exec_lo
	v_cmpx_lt_u32_e64 v109, v137
	s_cbranch_execz .LBB112_209
.LBB112_279:                            ;   in Loop: Header=BB112_108 Depth=2
	global_load_b64 v[36:37], v[62:63], off offset:3072
	s_wait_xcnt 0x0
	s_or_b32 exec_lo, exec_lo, s60
	s_delay_alu instid0(SALU_CYCLE_1)
	s_mov_b32 s60, exec_lo
	v_cmpx_lt_u32_e64 v110, v137
	s_cbranch_execz .LBB112_210
.LBB112_280:                            ;   in Loop: Header=BB112_108 Depth=2
	global_load_b64 v[34:35], v[62:63], off offset:3328
	s_wait_xcnt 0x0
	s_or_b32 exec_lo, exec_lo, s60
	s_delay_alu instid0(SALU_CYCLE_1)
	s_mov_b32 s60, exec_lo
	v_cmpx_lt_u32_e64 v111, v137
	s_cbranch_execz .LBB112_211
.LBB112_281:                            ;   in Loop: Header=BB112_108 Depth=2
	global_load_b64 v[32:33], v[62:63], off offset:3584
	s_wait_xcnt 0x0
	s_or_b32 exec_lo, exec_lo, s60
	s_delay_alu instid0(SALU_CYCLE_1)
	s_mov_b32 s60, exec_lo
	v_cmpx_lt_u32_e64 v112, v137
	s_cbranch_execz .LBB112_212
.LBB112_282:                            ;   in Loop: Header=BB112_108 Depth=2
	global_load_b64 v[30:31], v[62:63], off offset:3840
	s_wait_xcnt 0x0
	s_or_b32 exec_lo, exec_lo, s60
	s_delay_alu instid0(SALU_CYCLE_1)
	s_mov_b32 s60, exec_lo
	v_cmpx_lt_u32_e64 v113, v137
	s_cbranch_execz .LBB112_213
.LBB112_283:                            ;   in Loop: Header=BB112_108 Depth=2
	global_load_b64 v[28:29], v[62:63], off offset:4096
	s_wait_xcnt 0x0
	s_or_b32 exec_lo, exec_lo, s60
	s_and_saveexec_b32 s34, vcc_lo
	s_cbranch_execz .LBB112_214
.LBB112_284:                            ;   in Loop: Header=BB112_108 Depth=2
	ds_load_u8 v62, v2 offset:512
	s_wait_dscnt 0x0
	v_lshrrev_b32_e32 v62, s43, v62
	s_delay_alu instid0(VALU_DEP_1)
	v_and_b32_e32 v132, s48, v62
	s_or_b32 exec_lo, exec_lo, s34
	s_and_saveexec_b32 s34, s17
	s_cbranch_execz .LBB112_215
.LBB112_285:                            ;   in Loop: Header=BB112_108 Depth=2
	ds_load_u8 v62, v2 offset:768
	s_wait_dscnt 0x0
	v_lshrrev_b32_e32 v62, s43, v62
	s_delay_alu instid0(VALU_DEP_1)
	v_and_b32_e32 v131, s48, v62
	s_or_b32 exec_lo, exec_lo, s34
	s_and_saveexec_b32 s34, s18
	s_cbranch_execz .LBB112_216
.LBB112_286:                            ;   in Loop: Header=BB112_108 Depth=2
	ds_load_u8 v62, v2 offset:1024
	s_wait_dscnt 0x0
	v_lshrrev_b32_e32 v62, s43, v62
	s_delay_alu instid0(VALU_DEP_1)
	v_and_b32_e32 v130, s48, v62
	s_or_b32 exec_lo, exec_lo, s34
	s_and_saveexec_b32 s34, s19
	s_cbranch_execz .LBB112_217
.LBB112_287:                            ;   in Loop: Header=BB112_108 Depth=2
	ds_load_u8 v62, v2 offset:1280
	s_wait_dscnt 0x0
	v_lshrrev_b32_e32 v62, s43, v62
	s_delay_alu instid0(VALU_DEP_1)
	v_and_b32_e32 v129, s48, v62
	s_or_b32 exec_lo, exec_lo, s34
	s_and_saveexec_b32 s34, s20
	s_cbranch_execz .LBB112_218
.LBB112_288:                            ;   in Loop: Header=BB112_108 Depth=2
	ds_load_u8 v62, v2 offset:1536
	s_wait_dscnt 0x0
	v_lshrrev_b32_e32 v62, s43, v62
	s_delay_alu instid0(VALU_DEP_1)
	v_and_b32_e32 v128, s48, v62
	s_or_b32 exec_lo, exec_lo, s34
	s_and_saveexec_b32 s34, s21
	s_cbranch_execz .LBB112_219
.LBB112_289:                            ;   in Loop: Header=BB112_108 Depth=2
	ds_load_u8 v62, v2 offset:1792
	s_wait_dscnt 0x0
	v_lshrrev_b32_e32 v62, s43, v62
	s_delay_alu instid0(VALU_DEP_1)
	v_and_b32_e32 v127, s48, v62
	s_or_b32 exec_lo, exec_lo, s34
	s_and_saveexec_b32 s34, s22
	s_cbranch_execz .LBB112_220
.LBB112_290:                            ;   in Loop: Header=BB112_108 Depth=2
	ds_load_u8 v62, v2 offset:2048
	s_wait_dscnt 0x0
	v_lshrrev_b32_e32 v62, s43, v62
	s_delay_alu instid0(VALU_DEP_1)
	v_and_b32_e32 v126, s48, v62
	s_or_b32 exec_lo, exec_lo, s34
	s_and_saveexec_b32 s34, s23
	s_cbranch_execz .LBB112_221
.LBB112_291:                            ;   in Loop: Header=BB112_108 Depth=2
	ds_load_u8 v62, v2 offset:2304
	s_wait_dscnt 0x0
	v_lshrrev_b32_e32 v62, s43, v62
	s_delay_alu instid0(VALU_DEP_1)
	v_and_b32_e32 v125, s48, v62
	s_or_b32 exec_lo, exec_lo, s34
	s_and_saveexec_b32 s34, s24
	s_cbranch_execz .LBB112_222
.LBB112_292:                            ;   in Loop: Header=BB112_108 Depth=2
	ds_load_u8 v62, v2 offset:2560
	s_wait_dscnt 0x0
	v_lshrrev_b32_e32 v62, s43, v62
	s_delay_alu instid0(VALU_DEP_1)
	v_and_b32_e32 v124, s48, v62
	s_or_b32 exec_lo, exec_lo, s34
	s_and_saveexec_b32 s34, s25
	s_cbranch_execz .LBB112_223
.LBB112_293:                            ;   in Loop: Header=BB112_108 Depth=2
	ds_load_u8 v62, v2 offset:2816
	s_wait_dscnt 0x0
	v_lshrrev_b32_e32 v62, s43, v62
	s_delay_alu instid0(VALU_DEP_1)
	v_and_b32_e32 v123, s48, v62
	s_or_b32 exec_lo, exec_lo, s34
	s_and_saveexec_b32 s34, s26
	s_cbranch_execz .LBB112_224
.LBB112_294:                            ;   in Loop: Header=BB112_108 Depth=2
	ds_load_u8 v62, v2 offset:3072
	s_wait_dscnt 0x0
	v_lshrrev_b32_e32 v62, s43, v62
	s_delay_alu instid0(VALU_DEP_1)
	v_and_b32_e32 v122, s48, v62
	s_or_b32 exec_lo, exec_lo, s34
	s_and_saveexec_b32 s34, s27
	s_cbranch_execz .LBB112_225
.LBB112_295:                            ;   in Loop: Header=BB112_108 Depth=2
	ds_load_u8 v62, v2 offset:3328
	s_wait_dscnt 0x0
	v_lshrrev_b32_e32 v62, s43, v62
	s_delay_alu instid0(VALU_DEP_1)
	v_and_b32_e32 v120, s48, v62
	s_or_b32 exec_lo, exec_lo, s34
	s_and_saveexec_b32 s34, s28
	s_cbranch_execz .LBB112_226
.LBB112_296:                            ;   in Loop: Header=BB112_108 Depth=2
	ds_load_u8 v62, v2 offset:3584
	s_wait_dscnt 0x0
	v_lshrrev_b32_e32 v62, s43, v62
	s_delay_alu instid0(VALU_DEP_1)
	v_and_b32_e32 v119, s48, v62
	s_or_b32 exec_lo, exec_lo, s34
	s_and_saveexec_b32 s34, s29
	s_cbranch_execz .LBB112_227
.LBB112_297:                            ;   in Loop: Header=BB112_108 Depth=2
	ds_load_u8 v62, v2 offset:3840
	s_wait_dscnt 0x0
	v_lshrrev_b32_e32 v62, s43, v62
	s_delay_alu instid0(VALU_DEP_1)
	v_and_b32_e32 v118, s48, v62
	s_or_b32 exec_lo, exec_lo, s34
	s_and_saveexec_b32 s34, s30
	s_cbranch_execz .LBB112_228
.LBB112_298:                            ;   in Loop: Header=BB112_108 Depth=2
	ds_load_u8 v62, v2 offset:4096
	s_wait_dscnt 0x0
	v_lshrrev_b32_e32 v62, s43, v62
	s_delay_alu instid0(VALU_DEP_1)
	v_and_b32_e32 v117, s48, v62
	s_or_b32 exec_lo, exec_lo, s34
	s_and_saveexec_b32 s34, s31
	s_cbranch_execz .LBB112_229
.LBB112_299:                            ;   in Loop: Header=BB112_108 Depth=2
	ds_load_u8 v62, v2 offset:4352
	s_wait_dscnt 0x0
	v_lshrrev_b32_e32 v62, s43, v62
	s_delay_alu instid0(VALU_DEP_1)
	v_and_b32_e32 v116, s48, v62
	s_or_b32 exec_lo, exec_lo, s34
	s_and_saveexec_b32 s34, s33
	s_cbranch_execnz .LBB112_230
	s_branch .LBB112_231
.LBB112_300:                            ;   in Loop: Header=BB112_108 Depth=2
	v_dual_lshlrev_b32 v62, 2, v132 :: v_dual_add_nc_u32 v63, v2, v95
	ds_load_b32 v64, v62
	ds_load_b64 v[62:63], v63 offset:512
	s_wait_dscnt 0x1
	v_add_nc_u32_e32 v64, v64, v2
	s_wait_dscnt 0x0
	global_store_b64 v64, v[62:63], s[44:45] scale_offset
	s_wait_xcnt 0x0
	s_or_b32 exec_lo, exec_lo, s34
	s_and_saveexec_b32 s34, s17
	s_cbranch_execz .LBB112_233
.LBB112_301:                            ;   in Loop: Header=BB112_108 Depth=2
	v_lshlrev_b32_e32 v62, 2, v131
	v_add_nc_u32_e32 v63, v2, v95
	ds_load_b32 v64, v62
	ds_load_b64 v[62:63], v63 offset:2560
	s_wait_dscnt 0x1
	v_add_nc_u32_e32 v64, v64, v67
	s_wait_dscnt 0x0
	global_store_b64 v64, v[62:63], s[44:45] scale_offset
	s_wait_xcnt 0x0
	s_or_b32 exec_lo, exec_lo, s34
	s_and_saveexec_b32 s17, s18
	s_cbranch_execz .LBB112_234
.LBB112_302:                            ;   in Loop: Header=BB112_108 Depth=2
	v_dual_lshlrev_b32 v62, 2, v130 :: v_dual_add_nc_u32 v63, v2, v95
	ds_load_b32 v64, v62
	ds_load_b64 v[62:63], v63 offset:4608
	s_wait_dscnt 0x1
	v_add_nc_u32_e32 v64, v64, v68
	s_wait_dscnt 0x0
	global_store_b64 v64, v[62:63], s[44:45] scale_offset
	s_wait_xcnt 0x0
	s_or_b32 exec_lo, exec_lo, s17
	s_and_saveexec_b32 s17, s19
	s_cbranch_execz .LBB112_235
.LBB112_303:                            ;   in Loop: Header=BB112_108 Depth=2
	v_dual_lshlrev_b32 v62, 2, v129 :: v_dual_add_nc_u32 v63, v2, v95
	ds_load_b32 v64, v62
	ds_load_b64 v[62:63], v63 offset:6656
	s_wait_dscnt 0x1
	v_add_nc_u32_e32 v64, v64, v69
	s_wait_dscnt 0x0
	global_store_b64 v64, v[62:63], s[44:45] scale_offset
	s_wait_xcnt 0x0
	s_or_b32 exec_lo, exec_lo, s17
	s_and_saveexec_b32 s17, s20
	s_cbranch_execz .LBB112_236
.LBB112_304:                            ;   in Loop: Header=BB112_108 Depth=2
	v_dual_lshlrev_b32 v62, 2, v128 :: v_dual_add_nc_u32 v63, v2, v95
	ds_load_b32 v64, v62
	ds_load_b64 v[62:63], v63 offset:8704
	s_wait_dscnt 0x1
	v_add_nc_u32_e32 v64, v64, v70
	s_wait_dscnt 0x0
	global_store_b64 v64, v[62:63], s[44:45] scale_offset
	s_wait_xcnt 0x0
	s_or_b32 exec_lo, exec_lo, s17
	s_and_saveexec_b32 s17, s21
	s_cbranch_execz .LBB112_237
.LBB112_305:                            ;   in Loop: Header=BB112_108 Depth=2
	v_lshlrev_b32_e32 v62, 2, v127
	v_add_nc_u32_e32 v63, v2, v95
	ds_load_b32 v64, v62
	ds_load_b64 v[62:63], v63 offset:10752
	s_wait_dscnt 0x1
	v_add_nc_u32_e32 v64, v64, v71
	s_wait_dscnt 0x0
	global_store_b64 v64, v[62:63], s[44:45] scale_offset
	s_wait_xcnt 0x0
	s_or_b32 exec_lo, exec_lo, s17
	s_and_saveexec_b32 s17, s22
	s_cbranch_execz .LBB112_238
.LBB112_306:                            ;   in Loop: Header=BB112_108 Depth=2
	v_dual_lshlrev_b32 v62, 2, v126 :: v_dual_add_nc_u32 v63, v2, v95
	ds_load_b32 v64, v62
	ds_load_b64 v[62:63], v63 offset:12800
	s_wait_dscnt 0x1
	v_add_nc_u32_e32 v64, v64, v72
	s_wait_dscnt 0x0
	global_store_b64 v64, v[62:63], s[44:45] scale_offset
	s_wait_xcnt 0x0
	s_or_b32 exec_lo, exec_lo, s17
	s_and_saveexec_b32 s17, s23
	s_cbranch_execz .LBB112_239
.LBB112_307:                            ;   in Loop: Header=BB112_108 Depth=2
	v_dual_lshlrev_b32 v62, 2, v125 :: v_dual_add_nc_u32 v63, v2, v95
	ds_load_b32 v64, v62
	ds_load_b64 v[62:63], v63 offset:14848
	s_wait_dscnt 0x1
	v_add_nc_u32_e32 v64, v64, v73
	s_wait_dscnt 0x0
	global_store_b64 v64, v[62:63], s[44:45] scale_offset
	s_wait_xcnt 0x0
	s_or_b32 exec_lo, exec_lo, s17
	s_and_saveexec_b32 s17, s24
	s_cbranch_execz .LBB112_240
.LBB112_308:                            ;   in Loop: Header=BB112_108 Depth=2
	v_dual_lshlrev_b32 v62, 2, v124 :: v_dual_add_nc_u32 v63, v2, v95
	ds_load_b32 v64, v62
	ds_load_b64 v[62:63], v63 offset:16896
	s_wait_dscnt 0x1
	v_add_nc_u32_e32 v64, v64, v74
	s_wait_dscnt 0x0
	global_store_b64 v64, v[62:63], s[44:45] scale_offset
	s_wait_xcnt 0x0
	s_or_b32 exec_lo, exec_lo, s17
	s_and_saveexec_b32 s17, s25
	s_cbranch_execz .LBB112_241
.LBB112_309:                            ;   in Loop: Header=BB112_108 Depth=2
	v_lshlrev_b32_e32 v62, 2, v123
	v_add_nc_u32_e32 v63, v2, v95
	ds_load_b32 v64, v62
	ds_load_b64 v[62:63], v63 offset:18944
	s_wait_dscnt 0x1
	v_add_nc_u32_e32 v64, v64, v75
	s_wait_dscnt 0x0
	global_store_b64 v64, v[62:63], s[44:45] scale_offset
	s_wait_xcnt 0x0
	s_or_b32 exec_lo, exec_lo, s17
	s_and_saveexec_b32 s17, s26
	s_cbranch_execz .LBB112_242
.LBB112_310:                            ;   in Loop: Header=BB112_108 Depth=2
	v_dual_lshlrev_b32 v62, 2, v122 :: v_dual_add_nc_u32 v63, v2, v95
	ds_load_b32 v64, v62
	ds_load_b64 v[62:63], v63 offset:20992
	s_wait_dscnt 0x1
	v_add_nc_u32_e32 v64, v64, v76
	s_wait_dscnt 0x0
	global_store_b64 v64, v[62:63], s[44:45] scale_offset
	s_wait_xcnt 0x0
	s_or_b32 exec_lo, exec_lo, s17
	s_and_saveexec_b32 s17, s27
	s_cbranch_execz .LBB112_243
.LBB112_311:                            ;   in Loop: Header=BB112_108 Depth=2
	v_dual_lshlrev_b32 v62, 2, v120 :: v_dual_add_nc_u32 v63, v2, v95
	ds_load_b32 v64, v62
	ds_load_b64 v[62:63], v63 offset:23040
	s_wait_dscnt 0x1
	v_add_nc_u32_e32 v64, v64, v77
	s_wait_dscnt 0x0
	global_store_b64 v64, v[62:63], s[44:45] scale_offset
	s_wait_xcnt 0x0
	s_or_b32 exec_lo, exec_lo, s17
	s_and_saveexec_b32 s17, s28
	s_cbranch_execz .LBB112_244
.LBB112_312:                            ;   in Loop: Header=BB112_108 Depth=2
	v_lshlrev_b32_e32 v62, 2, v119
	v_add_nc_u32_e32 v63, v2, v95
	ds_load_b32 v64, v62
	ds_load_b64 v[62:63], v63 offset:25088
	s_wait_dscnt 0x1
	v_add_nc_u32_e32 v64, v64, v78
	s_wait_dscnt 0x0
	global_store_b64 v64, v[62:63], s[44:45] scale_offset
	s_wait_xcnt 0x0
	s_or_b32 exec_lo, exec_lo, s17
	s_and_saveexec_b32 s17, s29
	s_cbranch_execz .LBB112_245
.LBB112_313:                            ;   in Loop: Header=BB112_108 Depth=2
	v_dual_lshlrev_b32 v62, 2, v118 :: v_dual_add_nc_u32 v63, v2, v95
	ds_load_b32 v64, v62
	ds_load_b64 v[62:63], v63 offset:27136
	s_wait_dscnt 0x1
	v_add_nc_u32_e32 v64, v64, v79
	s_wait_dscnt 0x0
	global_store_b64 v64, v[62:63], s[44:45] scale_offset
	s_wait_xcnt 0x0
	s_or_b32 exec_lo, exec_lo, s17
	s_and_saveexec_b32 s17, s30
	s_cbranch_execz .LBB112_246
.LBB112_314:                            ;   in Loop: Header=BB112_108 Depth=2
	v_dual_lshlrev_b32 v62, 2, v117 :: v_dual_add_nc_u32 v63, v2, v95
	ds_load_b32 v64, v62
	ds_load_b64 v[62:63], v63 offset:29184
	s_wait_dscnt 0x1
	v_add_nc_u32_e32 v64, v64, v80
	s_wait_dscnt 0x0
	global_store_b64 v64, v[62:63], s[44:45] scale_offset
	s_wait_xcnt 0x0
	s_or_b32 exec_lo, exec_lo, s17
	s_and_saveexec_b32 s17, s31
	s_cbranch_execz .LBB112_247
.LBB112_315:                            ;   in Loop: Header=BB112_108 Depth=2
	v_dual_lshlrev_b32 v62, 2, v116 :: v_dual_add_nc_u32 v63, v2, v95
	ds_load_b32 v64, v62
	ds_load_b64 v[62:63], v63 offset:31232
	s_wait_dscnt 0x1
	v_add_nc_u32_e32 v64, v64, v81
	s_wait_dscnt 0x0
	global_store_b64 v64, v[62:63], s[44:45] scale_offset
	s_wait_xcnt 0x0
	s_or_b32 exec_lo, exec_lo, s17
	s_and_saveexec_b32 s17, s33
	s_cbranch_execnz .LBB112_248
	s_branch .LBB112_249
.LBB112_316:                            ;   in Loop: Header=BB112_108 Depth=2
	global_load_u8 v151, v[62:63], off offset:32
	s_wait_xcnt 0x0
	s_or_b32 exec_lo, exec_lo, s17
	s_delay_alu instid0(SALU_CYCLE_1)
	s_mov_b32 s17, exec_lo
	v_cmpx_gt_u32_e64 s58, v99
	s_cbranch_execz .LBB112_115
.LBB112_317:                            ;   in Loop: Header=BB112_108 Depth=2
	global_load_u8 v148, v[62:63], off offset:64
	s_wait_xcnt 0x0
	s_or_b32 exec_lo, exec_lo, s17
	s_delay_alu instid0(SALU_CYCLE_1)
	s_mov_b32 s17, exec_lo
	v_cmpx_gt_u32_e64 s58, v100
	s_cbranch_execz .LBB112_116
.LBB112_318:                            ;   in Loop: Header=BB112_108 Depth=2
	global_load_u8 v150, v[62:63], off offset:96
	s_wait_xcnt 0x0
	s_or_b32 exec_lo, exec_lo, s17
	s_delay_alu instid0(SALU_CYCLE_1)
	s_mov_b32 s17, exec_lo
	v_cmpx_gt_u32_e64 s58, v101
	s_cbranch_execz .LBB112_117
.LBB112_319:                            ;   in Loop: Header=BB112_108 Depth=2
	global_load_u8 v142, v[62:63], off offset:128
	s_wait_xcnt 0x0
	s_or_b32 exec_lo, exec_lo, s17
	s_delay_alu instid0(SALU_CYCLE_1)
	s_mov_b32 s17, exec_lo
	v_cmpx_gt_u32_e64 s58, v102
	s_cbranch_execz .LBB112_118
.LBB112_320:                            ;   in Loop: Header=BB112_108 Depth=2
	global_load_u8 v144, v[62:63], off offset:160
	s_wait_xcnt 0x0
	s_or_b32 exec_lo, exec_lo, s17
	s_delay_alu instid0(SALU_CYCLE_1)
	s_mov_b32 s17, exec_lo
	v_cmpx_gt_u32_e64 s58, v103
	s_cbranch_execz .LBB112_119
.LBB112_321:                            ;   in Loop: Header=BB112_108 Depth=2
	global_load_u8 v143, v[62:63], off offset:192
	s_wait_xcnt 0x0
	s_or_b32 exec_lo, exec_lo, s17
	s_delay_alu instid0(SALU_CYCLE_1)
	s_mov_b32 s17, exec_lo
	v_cmpx_gt_u32_e64 s58, v104
	s_cbranch_execz .LBB112_120
.LBB112_322:                            ;   in Loop: Header=BB112_108 Depth=2
	global_load_u8 v145, v[62:63], off offset:224
	s_wait_xcnt 0x0
	s_or_b32 exec_lo, exec_lo, s17
	s_delay_alu instid0(SALU_CYCLE_1)
	s_mov_b32 s17, exec_lo
	v_cmpx_gt_u32_e64 s58, v105
	s_cbranch_execz .LBB112_121
.LBB112_323:                            ;   in Loop: Header=BB112_108 Depth=2
	global_load_u8 v138, v[62:63], off offset:256
	s_wait_xcnt 0x0
	s_or_b32 exec_lo, exec_lo, s17
	s_delay_alu instid0(SALU_CYCLE_1)
	s_mov_b32 s17, exec_lo
	v_cmpx_gt_u32_e64 s58, v106
	s_cbranch_execz .LBB112_122
.LBB112_324:                            ;   in Loop: Header=BB112_108 Depth=2
	global_load_u8 v140, v[62:63], off offset:288
	s_wait_xcnt 0x0
	s_or_b32 exec_lo, exec_lo, s17
	s_delay_alu instid0(SALU_CYCLE_1)
	s_mov_b32 s17, exec_lo
	v_cmpx_gt_u32_e64 s58, v107
	s_cbranch_execz .LBB112_123
.LBB112_325:                            ;   in Loop: Header=BB112_108 Depth=2
	global_load_u8 v139, v[62:63], off offset:320
	s_wait_xcnt 0x0
	s_or_b32 exec_lo, exec_lo, s17
	s_delay_alu instid0(SALU_CYCLE_1)
	s_mov_b32 s17, exec_lo
	v_cmpx_gt_u32_e64 s58, v108
	s_cbranch_execz .LBB112_124
.LBB112_326:                            ;   in Loop: Header=BB112_108 Depth=2
	global_load_u8 v141, v[62:63], off offset:352
	s_wait_xcnt 0x0
	s_or_b32 exec_lo, exec_lo, s17
	s_delay_alu instid0(SALU_CYCLE_1)
	s_mov_b32 s17, exec_lo
	v_cmpx_gt_u32_e64 s58, v109
	s_cbranch_execz .LBB112_125
.LBB112_327:                            ;   in Loop: Header=BB112_108 Depth=2
	global_load_u8 v64, v[62:63], off offset:384
	s_wait_xcnt 0x0
	s_or_b32 exec_lo, exec_lo, s17
	s_delay_alu instid0(SALU_CYCLE_1)
	s_mov_b32 s17, exec_lo
	v_cmpx_gt_u32_e64 s58, v110
	s_cbranch_execz .LBB112_126
.LBB112_328:                            ;   in Loop: Header=BB112_108 Depth=2
	global_load_u8 v135, v[62:63], off offset:416
	s_wait_xcnt 0x0
	s_or_b32 exec_lo, exec_lo, s17
	s_delay_alu instid0(SALU_CYCLE_1)
	s_mov_b32 s17, exec_lo
	v_cmpx_gt_u32_e64 s58, v111
	s_cbranch_execz .LBB112_127
.LBB112_329:                            ;   in Loop: Header=BB112_108 Depth=2
	global_load_u8 v65, v[62:63], off offset:448
	s_wait_xcnt 0x0
	s_or_b32 exec_lo, exec_lo, s17
	s_delay_alu instid0(SALU_CYCLE_1)
	s_mov_b32 s17, exec_lo
	v_cmpx_gt_u32_e64 s58, v112
	s_cbranch_execnz .LBB112_128
	s_branch .LBB112_129
.LBB112_330:                            ;   in Loop: Header=BB112_20 Depth=1
	s_wait_dscnt 0x0
	s_barrier_signal -1
	s_mov_b32 s8, 0
	s_barrier_wait -1
.LBB112_331:                            ;   in Loop: Header=BB112_20 Depth=1
	s_and_b32 vcc_lo, exec_lo, s8
	s_cbranch_vccz .LBB112_641
; %bb.332:                              ;   in Loop: Header=BB112_20 Depth=1
	v_dual_mov_b32 v39, 0 :: v_dual_mov_b32 v42, 0
	v_dual_mov_b32 v41, 0 :: v_dual_mov_b32 v40, 0
	v_dual_mov_b32 v38, 0 :: v_dual_mov_b32 v37, 0
	v_dual_mov_b32 v36, 0 :: v_dual_mov_b32 v35, 0
	v_dual_mov_b32 v34, 0 :: v_dual_mov_b32 v33, 0
	v_dual_mov_b32 v32, 0 :: v_dual_mov_b32 v31, 0
	v_dual_mov_b32 v30, 0 :: v_dual_mov_b32 v29, 0
	v_dual_mov_b32 v28, 0 :: v_dual_mov_b32 v27, 0
	v_mov_b32_e32 v26, 0
	s_mov_b32 s8, s57
	s_mov_b32 s34, s55
	s_barrier_signal -1
	s_barrier_wait -1
	s_branch .LBB112_334
.LBB112_333:                            ;   in Loop: Header=BB112_334 Depth=2
	s_or_b32 exec_lo, exec_lo, s10
	s_addk_co_i32 s8, 0xef00
	s_cmp_ge_u32 s9, s54
	s_mov_b32 s34, s9
	s_cbranch_scc1 .LBB112_406
.LBB112_334:                            ;   Parent Loop BB112_20 Depth=1
                                        ; =>  This Inner Loop Header: Depth=2
	s_add_co_i32 s9, s34, 0x1100
	s_mov_b32 s10, -1
	s_cmp_gt_u32 s9, s54
                                        ; implicit-def: $vgpr24
                                        ; implicit-def: $vgpr25
                                        ; implicit-def: $vgpr43
                                        ; implicit-def: $vgpr44
                                        ; implicit-def: $vgpr45
                                        ; implicit-def: $vgpr46
                                        ; implicit-def: $vgpr47
                                        ; implicit-def: $vgpr48
                                        ; implicit-def: $vgpr49
                                        ; implicit-def: $vgpr50
                                        ; implicit-def: $vgpr51
                                        ; implicit-def: $vgpr52
                                        ; implicit-def: $vgpr53
                                        ; implicit-def: $vgpr54
                                        ; implicit-def: $vgpr55
                                        ; implicit-def: $vgpr56
                                        ; implicit-def: $vgpr57
	s_cbranch_scc1 .LBB112_336
; %bb.335:                              ;   in Loop: Header=BB112_334 Depth=2
	v_add_nc_u64_e32 v[58:59], s[34:35], v[12:13]
	s_mov_b32 s10, 0
	s_clause 0x10
	global_load_u8 v57, v[58:59], off offset:4096
	global_load_u8 v56, v[58:59], off offset:3840
	;; [unrolled: 1-line block ×16, first 2 shown]
	global_load_u8 v24, v[58:59], off
.LBB112_336:                            ;   in Loop: Header=BB112_334 Depth=2
	s_and_not1_b32 vcc_lo, exec_lo, s10
	s_movk_i32 s10, 0x1100
	s_cbranch_vccnz .LBB112_356
; %bb.337:                              ;   in Loop: Header=BB112_334 Depth=2
	s_add_nc_u64 s[10:11], s[38:39], s[34:35]
	s_wait_loadcnt 0x0
	v_add_nc_u64_e32 v[24:25], s[10:11], v[2:3]
	s_mov_b32 s10, exec_lo
	s_wait_xcnt 0x0
	v_cmpx_gt_u32_e64 s8, v2
	s_cbranch_execnz .LBB112_390
; %bb.338:                              ;   in Loop: Header=BB112_334 Depth=2
	s_or_b32 exec_lo, exec_lo, s10
	s_delay_alu instid0(SALU_CYCLE_1)
	s_mov_b32 s10, exec_lo
	v_cmpx_gt_u32_e64 s8, v67
	s_cbranch_execnz .LBB112_391
.LBB112_339:                            ;   in Loop: Header=BB112_334 Depth=2
	s_or_b32 exec_lo, exec_lo, s10
	s_delay_alu instid0(SALU_CYCLE_1)
	s_mov_b32 s10, exec_lo
	v_cmpx_gt_u32_e64 s8, v68
	s_cbranch_execnz .LBB112_392
.LBB112_340:                            ;   in Loop: Header=BB112_334 Depth=2
	s_or_b32 exec_lo, exec_lo, s10
	s_delay_alu instid0(SALU_CYCLE_1)
	s_mov_b32 s10, exec_lo
	v_cmpx_gt_u32_e64 s8, v69
	s_cbranch_execnz .LBB112_393
.LBB112_341:                            ;   in Loop: Header=BB112_334 Depth=2
	s_or_b32 exec_lo, exec_lo, s10
	s_delay_alu instid0(SALU_CYCLE_1)
	s_mov_b32 s10, exec_lo
	v_cmpx_gt_u32_e64 s8, v70
	s_cbranch_execnz .LBB112_394
.LBB112_342:                            ;   in Loop: Header=BB112_334 Depth=2
	s_or_b32 exec_lo, exec_lo, s10
	s_delay_alu instid0(SALU_CYCLE_1)
	s_mov_b32 s10, exec_lo
	v_cmpx_gt_u32_e64 s8, v71
	s_cbranch_execnz .LBB112_395
.LBB112_343:                            ;   in Loop: Header=BB112_334 Depth=2
	s_or_b32 exec_lo, exec_lo, s10
	s_delay_alu instid0(SALU_CYCLE_1)
	s_mov_b32 s10, exec_lo
	v_cmpx_gt_u32_e64 s8, v72
	s_cbranch_execnz .LBB112_396
.LBB112_344:                            ;   in Loop: Header=BB112_334 Depth=2
	s_or_b32 exec_lo, exec_lo, s10
	s_delay_alu instid0(SALU_CYCLE_1)
	s_mov_b32 s10, exec_lo
	v_cmpx_gt_u32_e64 s8, v73
	s_cbranch_execnz .LBB112_397
.LBB112_345:                            ;   in Loop: Header=BB112_334 Depth=2
	s_or_b32 exec_lo, exec_lo, s10
	s_delay_alu instid0(SALU_CYCLE_1)
	s_mov_b32 s10, exec_lo
	v_cmpx_gt_u32_e64 s8, v74
	s_cbranch_execnz .LBB112_398
.LBB112_346:                            ;   in Loop: Header=BB112_334 Depth=2
	s_or_b32 exec_lo, exec_lo, s10
	s_delay_alu instid0(SALU_CYCLE_1)
	s_mov_b32 s10, exec_lo
	v_cmpx_gt_u32_e64 s8, v75
	s_cbranch_execnz .LBB112_399
.LBB112_347:                            ;   in Loop: Header=BB112_334 Depth=2
	s_or_b32 exec_lo, exec_lo, s10
	s_delay_alu instid0(SALU_CYCLE_1)
	s_mov_b32 s10, exec_lo
	v_cmpx_gt_u32_e64 s8, v76
	s_cbranch_execnz .LBB112_400
.LBB112_348:                            ;   in Loop: Header=BB112_334 Depth=2
	s_or_b32 exec_lo, exec_lo, s10
	s_delay_alu instid0(SALU_CYCLE_1)
	s_mov_b32 s10, exec_lo
	v_cmpx_gt_u32_e64 s8, v77
	s_cbranch_execnz .LBB112_401
.LBB112_349:                            ;   in Loop: Header=BB112_334 Depth=2
	s_or_b32 exec_lo, exec_lo, s10
	s_delay_alu instid0(SALU_CYCLE_1)
	s_mov_b32 s10, exec_lo
	v_cmpx_gt_u32_e64 s8, v78
	s_cbranch_execnz .LBB112_402
.LBB112_350:                            ;   in Loop: Header=BB112_334 Depth=2
	s_or_b32 exec_lo, exec_lo, s10
	s_delay_alu instid0(SALU_CYCLE_1)
	s_mov_b32 s10, exec_lo
	v_cmpx_gt_u32_e64 s8, v79
	s_cbranch_execnz .LBB112_403
.LBB112_351:                            ;   in Loop: Header=BB112_334 Depth=2
	s_or_b32 exec_lo, exec_lo, s10
	s_delay_alu instid0(SALU_CYCLE_1)
	s_mov_b32 s10, exec_lo
	v_cmpx_gt_u32_e64 s8, v80
	s_cbranch_execnz .LBB112_404
.LBB112_352:                            ;   in Loop: Header=BB112_334 Depth=2
	s_or_b32 exec_lo, exec_lo, s10
	s_delay_alu instid0(SALU_CYCLE_1)
	s_mov_b32 s10, exec_lo
	v_cmpx_gt_u32_e64 s8, v81
	s_cbranch_execnz .LBB112_405
.LBB112_353:                            ;   in Loop: Header=BB112_334 Depth=2
	s_or_b32 exec_lo, exec_lo, s10
	s_delay_alu instid0(SALU_CYCLE_1)
	s_mov_b32 s10, exec_lo
	v_cmpx_gt_u32_e64 s8, v82
	s_cbranch_execz .LBB112_355
.LBB112_354:                            ;   in Loop: Header=BB112_334 Depth=2
	global_load_u8 v26, v[24:25], off offset:4096
.LBB112_355:                            ;   in Loop: Header=BB112_334 Depth=2
	s_wait_xcnt 0x0
	s_or_b32 exec_lo, exec_lo, s10
	s_wait_loadcnt 0x0
	v_dual_mov_b32 v24, v39 :: v_dual_mov_b32 v25, v42
	v_dual_mov_b32 v43, v41 :: v_dual_mov_b32 v44, v40
	;; [unrolled: 1-line block ×8, first 2 shown]
	v_mov_b32_e32 v57, v26
	s_mov_b32 s10, s8
.LBB112_356:                            ;   in Loop: Header=BB112_334 Depth=2
	s_wait_loadcnt 0xf
	s_delay_alu instid0(VALU_DEP_1)
	v_dual_mov_b32 v26, v57 :: v_dual_mov_b32 v27, v56
	s_wait_loadcnt 0xd
	v_dual_mov_b32 v28, v55 :: v_dual_mov_b32 v29, v54
	s_wait_loadcnt 0xb
	v_dual_mov_b32 v30, v53 :: v_dual_mov_b32 v31, v52
	s_wait_loadcnt 0x9
	v_dual_mov_b32 v32, v51 :: v_dual_mov_b32 v33, v50
	s_wait_loadcnt 0x7
	v_dual_mov_b32 v34, v49 :: v_dual_mov_b32 v35, v48
	s_wait_loadcnt 0x5
	v_dual_mov_b32 v36, v47 :: v_dual_mov_b32 v37, v46
	s_wait_loadcnt 0x3
	v_dual_mov_b32 v38, v45 :: v_dual_mov_b32 v40, v44
	s_wait_loadcnt 0x1
	v_dual_mov_b32 v41, v43 :: v_dual_mov_b32 v42, v25
	s_wait_loadcnt 0x0
	v_mov_b32_e32 v39, v24
	s_mov_b32 s11, exec_lo
	s_wait_xcnt 0x0
	v_cmpx_gt_u32_e64 s10, v2
	s_cbranch_execnz .LBB112_373
; %bb.357:                              ;   in Loop: Header=BB112_334 Depth=2
	s_or_b32 exec_lo, exec_lo, s11
	s_delay_alu instid0(SALU_CYCLE_1)
	s_mov_b32 s11, exec_lo
	v_cmpx_gt_u32_e64 s10, v67
	s_cbranch_execnz .LBB112_374
.LBB112_358:                            ;   in Loop: Header=BB112_334 Depth=2
	s_or_b32 exec_lo, exec_lo, s11
	s_delay_alu instid0(SALU_CYCLE_1)
	s_mov_b32 s11, exec_lo
	v_cmpx_gt_u32_e64 s10, v68
	s_cbranch_execnz .LBB112_375
.LBB112_359:                            ;   in Loop: Header=BB112_334 Depth=2
	s_or_b32 exec_lo, exec_lo, s11
	s_delay_alu instid0(SALU_CYCLE_1)
	s_mov_b32 s11, exec_lo
	v_cmpx_gt_u32_e64 s10, v69
	s_cbranch_execnz .LBB112_376
.LBB112_360:                            ;   in Loop: Header=BB112_334 Depth=2
	s_or_b32 exec_lo, exec_lo, s11
	s_delay_alu instid0(SALU_CYCLE_1)
	s_mov_b32 s11, exec_lo
	v_cmpx_gt_u32_e64 s10, v70
	s_cbranch_execnz .LBB112_377
.LBB112_361:                            ;   in Loop: Header=BB112_334 Depth=2
	s_or_b32 exec_lo, exec_lo, s11
	s_delay_alu instid0(SALU_CYCLE_1)
	s_mov_b32 s11, exec_lo
	v_cmpx_gt_u32_e64 s10, v71
	s_cbranch_execnz .LBB112_378
.LBB112_362:                            ;   in Loop: Header=BB112_334 Depth=2
	s_or_b32 exec_lo, exec_lo, s11
	s_delay_alu instid0(SALU_CYCLE_1)
	s_mov_b32 s11, exec_lo
	v_cmpx_gt_u32_e64 s10, v72
	s_cbranch_execnz .LBB112_379
.LBB112_363:                            ;   in Loop: Header=BB112_334 Depth=2
	s_or_b32 exec_lo, exec_lo, s11
	s_delay_alu instid0(SALU_CYCLE_1)
	s_mov_b32 s11, exec_lo
	v_cmpx_gt_u32_e64 s10, v73
	s_cbranch_execnz .LBB112_380
.LBB112_364:                            ;   in Loop: Header=BB112_334 Depth=2
	s_or_b32 exec_lo, exec_lo, s11
	s_delay_alu instid0(SALU_CYCLE_1)
	s_mov_b32 s11, exec_lo
	v_cmpx_gt_u32_e64 s10, v74
	s_cbranch_execnz .LBB112_381
.LBB112_365:                            ;   in Loop: Header=BB112_334 Depth=2
	s_or_b32 exec_lo, exec_lo, s11
	s_delay_alu instid0(SALU_CYCLE_1)
	s_mov_b32 s11, exec_lo
	v_cmpx_gt_u32_e64 s10, v75
	s_cbranch_execnz .LBB112_382
.LBB112_366:                            ;   in Loop: Header=BB112_334 Depth=2
	s_or_b32 exec_lo, exec_lo, s11
	s_delay_alu instid0(SALU_CYCLE_1)
	s_mov_b32 s11, exec_lo
	v_cmpx_gt_u32_e64 s10, v76
	s_cbranch_execnz .LBB112_383
.LBB112_367:                            ;   in Loop: Header=BB112_334 Depth=2
	s_or_b32 exec_lo, exec_lo, s11
	s_delay_alu instid0(SALU_CYCLE_1)
	s_mov_b32 s11, exec_lo
	v_cmpx_gt_u32_e64 s10, v77
	s_cbranch_execnz .LBB112_384
.LBB112_368:                            ;   in Loop: Header=BB112_334 Depth=2
	s_or_b32 exec_lo, exec_lo, s11
	s_delay_alu instid0(SALU_CYCLE_1)
	s_mov_b32 s11, exec_lo
	v_cmpx_gt_u32_e64 s10, v78
	s_cbranch_execnz .LBB112_385
.LBB112_369:                            ;   in Loop: Header=BB112_334 Depth=2
	s_or_b32 exec_lo, exec_lo, s11
	s_delay_alu instid0(SALU_CYCLE_1)
	s_mov_b32 s11, exec_lo
	v_cmpx_gt_u32_e64 s10, v79
	s_cbranch_execnz .LBB112_386
.LBB112_370:                            ;   in Loop: Header=BB112_334 Depth=2
	s_or_b32 exec_lo, exec_lo, s11
	s_delay_alu instid0(SALU_CYCLE_1)
	s_mov_b32 s11, exec_lo
	v_cmpx_gt_u32_e64 s10, v80
	s_cbranch_execnz .LBB112_387
.LBB112_371:                            ;   in Loop: Header=BB112_334 Depth=2
	s_or_b32 exec_lo, exec_lo, s11
	s_delay_alu instid0(SALU_CYCLE_1)
	s_mov_b32 s11, exec_lo
	v_cmpx_gt_u32_e64 s10, v81
	s_cbranch_execnz .LBB112_388
.LBB112_372:                            ;   in Loop: Header=BB112_334 Depth=2
	s_or_b32 exec_lo, exec_lo, s11
	v_cmp_gt_u32_e32 vcc_lo, s10, v82
	s_and_saveexec_b32 s10, vcc_lo
	s_cbranch_execz .LBB112_333
	s_branch .LBB112_389
.LBB112_373:                            ;   in Loop: Header=BB112_334 Depth=2
	v_xor_b32_e32 v24, -1, v39
	s_delay_alu instid0(VALU_DEP_1) | instskip(NEXT) | instid1(VALU_DEP_1)
	v_and_b32_e32 v24, 0xff, v24
	v_lshrrev_b32_e32 v24, s43, v24
	s_delay_alu instid0(VALU_DEP_1) | instskip(NEXT) | instid1(VALU_DEP_1)
	v_and_b32_e32 v24, s48, v24
	v_lshl_or_b32 v24, v24, 4, v84
	ds_add_u32 v24, v7
	s_or_b32 exec_lo, exec_lo, s11
	s_delay_alu instid0(SALU_CYCLE_1)
	s_mov_b32 s11, exec_lo
	v_cmpx_gt_u32_e64 s10, v67
	s_cbranch_execz .LBB112_358
.LBB112_374:                            ;   in Loop: Header=BB112_334 Depth=2
	v_xor_b32_e32 v24, -1, v42
	s_delay_alu instid0(VALU_DEP_1) | instskip(NEXT) | instid1(VALU_DEP_1)
	v_and_b32_e32 v24, 0xff, v24
	v_lshrrev_b32_e32 v24, s43, v24
	s_delay_alu instid0(VALU_DEP_1) | instskip(NEXT) | instid1(VALU_DEP_1)
	v_and_b32_e32 v24, s48, v24
	v_lshl_or_b32 v24, v24, 4, v84
	ds_add_u32 v24, v7
	s_or_b32 exec_lo, exec_lo, s11
	s_delay_alu instid0(SALU_CYCLE_1)
	s_mov_b32 s11, exec_lo
	v_cmpx_gt_u32_e64 s10, v68
	s_cbranch_execz .LBB112_359
.LBB112_375:                            ;   in Loop: Header=BB112_334 Depth=2
	v_xor_b32_e32 v24, -1, v41
	s_delay_alu instid0(VALU_DEP_1) | instskip(NEXT) | instid1(VALU_DEP_1)
	v_and_b32_e32 v24, 0xff, v24
	v_lshrrev_b32_e32 v24, s43, v24
	s_delay_alu instid0(VALU_DEP_1) | instskip(NEXT) | instid1(VALU_DEP_1)
	v_and_b32_e32 v24, s48, v24
	v_lshl_or_b32 v24, v24, 4, v84
	ds_add_u32 v24, v7
	s_or_b32 exec_lo, exec_lo, s11
	s_delay_alu instid0(SALU_CYCLE_1)
	s_mov_b32 s11, exec_lo
	v_cmpx_gt_u32_e64 s10, v69
	s_cbranch_execz .LBB112_360
.LBB112_376:                            ;   in Loop: Header=BB112_334 Depth=2
	v_xor_b32_e32 v24, -1, v40
	s_delay_alu instid0(VALU_DEP_1) | instskip(NEXT) | instid1(VALU_DEP_1)
	v_and_b32_e32 v24, 0xff, v24
	v_lshrrev_b32_e32 v24, s43, v24
	s_delay_alu instid0(VALU_DEP_1) | instskip(NEXT) | instid1(VALU_DEP_1)
	v_and_b32_e32 v24, s48, v24
	v_lshl_or_b32 v24, v24, 4, v84
	ds_add_u32 v24, v7
	s_or_b32 exec_lo, exec_lo, s11
	s_delay_alu instid0(SALU_CYCLE_1)
	s_mov_b32 s11, exec_lo
	v_cmpx_gt_u32_e64 s10, v70
	s_cbranch_execz .LBB112_361
.LBB112_377:                            ;   in Loop: Header=BB112_334 Depth=2
	v_xor_b32_e32 v24, -1, v38
	s_delay_alu instid0(VALU_DEP_1) | instskip(NEXT) | instid1(VALU_DEP_1)
	v_and_b32_e32 v24, 0xff, v24
	v_lshrrev_b32_e32 v24, s43, v24
	s_delay_alu instid0(VALU_DEP_1) | instskip(NEXT) | instid1(VALU_DEP_1)
	v_and_b32_e32 v24, s48, v24
	v_lshl_or_b32 v24, v24, 4, v84
	ds_add_u32 v24, v7
	s_or_b32 exec_lo, exec_lo, s11
	s_delay_alu instid0(SALU_CYCLE_1)
	s_mov_b32 s11, exec_lo
	v_cmpx_gt_u32_e64 s10, v71
	s_cbranch_execz .LBB112_362
.LBB112_378:                            ;   in Loop: Header=BB112_334 Depth=2
	v_xor_b32_e32 v24, -1, v37
	s_delay_alu instid0(VALU_DEP_1) | instskip(NEXT) | instid1(VALU_DEP_1)
	v_and_b32_e32 v24, 0xff, v24
	v_lshrrev_b32_e32 v24, s43, v24
	s_delay_alu instid0(VALU_DEP_1) | instskip(NEXT) | instid1(VALU_DEP_1)
	v_and_b32_e32 v24, s48, v24
	v_lshl_or_b32 v24, v24, 4, v84
	ds_add_u32 v24, v7
	s_or_b32 exec_lo, exec_lo, s11
	s_delay_alu instid0(SALU_CYCLE_1)
	s_mov_b32 s11, exec_lo
	v_cmpx_gt_u32_e64 s10, v72
	s_cbranch_execz .LBB112_363
.LBB112_379:                            ;   in Loop: Header=BB112_334 Depth=2
	v_xor_b32_e32 v24, -1, v36
	s_delay_alu instid0(VALU_DEP_1) | instskip(NEXT) | instid1(VALU_DEP_1)
	v_and_b32_e32 v24, 0xff, v24
	v_lshrrev_b32_e32 v24, s43, v24
	s_delay_alu instid0(VALU_DEP_1) | instskip(NEXT) | instid1(VALU_DEP_1)
	v_and_b32_e32 v24, s48, v24
	v_lshl_or_b32 v24, v24, 4, v84
	ds_add_u32 v24, v7
	s_or_b32 exec_lo, exec_lo, s11
	s_delay_alu instid0(SALU_CYCLE_1)
	s_mov_b32 s11, exec_lo
	v_cmpx_gt_u32_e64 s10, v73
	s_cbranch_execz .LBB112_364
.LBB112_380:                            ;   in Loop: Header=BB112_334 Depth=2
	v_xor_b32_e32 v24, -1, v35
	s_delay_alu instid0(VALU_DEP_1) | instskip(NEXT) | instid1(VALU_DEP_1)
	v_and_b32_e32 v24, 0xff, v24
	v_lshrrev_b32_e32 v24, s43, v24
	s_delay_alu instid0(VALU_DEP_1) | instskip(NEXT) | instid1(VALU_DEP_1)
	v_and_b32_e32 v24, s48, v24
	v_lshl_or_b32 v24, v24, 4, v84
	ds_add_u32 v24, v7
	s_or_b32 exec_lo, exec_lo, s11
	s_delay_alu instid0(SALU_CYCLE_1)
	s_mov_b32 s11, exec_lo
	v_cmpx_gt_u32_e64 s10, v74
	s_cbranch_execz .LBB112_365
.LBB112_381:                            ;   in Loop: Header=BB112_334 Depth=2
	v_xor_b32_e32 v24, -1, v34
	s_delay_alu instid0(VALU_DEP_1) | instskip(NEXT) | instid1(VALU_DEP_1)
	v_and_b32_e32 v24, 0xff, v24
	v_lshrrev_b32_e32 v24, s43, v24
	s_delay_alu instid0(VALU_DEP_1) | instskip(NEXT) | instid1(VALU_DEP_1)
	v_and_b32_e32 v24, s48, v24
	v_lshl_or_b32 v24, v24, 4, v84
	ds_add_u32 v24, v7
	s_or_b32 exec_lo, exec_lo, s11
	s_delay_alu instid0(SALU_CYCLE_1)
	s_mov_b32 s11, exec_lo
	v_cmpx_gt_u32_e64 s10, v75
	s_cbranch_execz .LBB112_366
.LBB112_382:                            ;   in Loop: Header=BB112_334 Depth=2
	v_xor_b32_e32 v24, -1, v33
	s_delay_alu instid0(VALU_DEP_1) | instskip(NEXT) | instid1(VALU_DEP_1)
	v_and_b32_e32 v24, 0xff, v24
	v_lshrrev_b32_e32 v24, s43, v24
	s_delay_alu instid0(VALU_DEP_1) | instskip(NEXT) | instid1(VALU_DEP_1)
	v_and_b32_e32 v24, s48, v24
	v_lshl_or_b32 v24, v24, 4, v84
	ds_add_u32 v24, v7
	s_or_b32 exec_lo, exec_lo, s11
	s_delay_alu instid0(SALU_CYCLE_1)
	s_mov_b32 s11, exec_lo
	v_cmpx_gt_u32_e64 s10, v76
	s_cbranch_execz .LBB112_367
.LBB112_383:                            ;   in Loop: Header=BB112_334 Depth=2
	v_xor_b32_e32 v24, -1, v32
	s_delay_alu instid0(VALU_DEP_1) | instskip(NEXT) | instid1(VALU_DEP_1)
	v_and_b32_e32 v24, 0xff, v24
	v_lshrrev_b32_e32 v24, s43, v24
	s_delay_alu instid0(VALU_DEP_1) | instskip(NEXT) | instid1(VALU_DEP_1)
	v_and_b32_e32 v24, s48, v24
	v_lshl_or_b32 v24, v24, 4, v84
	ds_add_u32 v24, v7
	s_or_b32 exec_lo, exec_lo, s11
	s_delay_alu instid0(SALU_CYCLE_1)
	s_mov_b32 s11, exec_lo
	v_cmpx_gt_u32_e64 s10, v77
	s_cbranch_execz .LBB112_368
.LBB112_384:                            ;   in Loop: Header=BB112_334 Depth=2
	v_xor_b32_e32 v24, -1, v31
	s_delay_alu instid0(VALU_DEP_1) | instskip(NEXT) | instid1(VALU_DEP_1)
	v_and_b32_e32 v24, 0xff, v24
	v_lshrrev_b32_e32 v24, s43, v24
	s_delay_alu instid0(VALU_DEP_1) | instskip(NEXT) | instid1(VALU_DEP_1)
	v_and_b32_e32 v24, s48, v24
	v_lshl_or_b32 v24, v24, 4, v84
	ds_add_u32 v24, v7
	s_or_b32 exec_lo, exec_lo, s11
	s_delay_alu instid0(SALU_CYCLE_1)
	s_mov_b32 s11, exec_lo
	v_cmpx_gt_u32_e64 s10, v78
	s_cbranch_execz .LBB112_369
.LBB112_385:                            ;   in Loop: Header=BB112_334 Depth=2
	v_xor_b32_e32 v24, -1, v30
	s_delay_alu instid0(VALU_DEP_1) | instskip(NEXT) | instid1(VALU_DEP_1)
	v_and_b32_e32 v24, 0xff, v24
	v_lshrrev_b32_e32 v24, s43, v24
	s_delay_alu instid0(VALU_DEP_1) | instskip(NEXT) | instid1(VALU_DEP_1)
	v_and_b32_e32 v24, s48, v24
	v_lshl_or_b32 v24, v24, 4, v84
	ds_add_u32 v24, v7
	s_or_b32 exec_lo, exec_lo, s11
	s_delay_alu instid0(SALU_CYCLE_1)
	s_mov_b32 s11, exec_lo
	v_cmpx_gt_u32_e64 s10, v79
	s_cbranch_execz .LBB112_370
.LBB112_386:                            ;   in Loop: Header=BB112_334 Depth=2
	v_xor_b32_e32 v24, -1, v29
	s_delay_alu instid0(VALU_DEP_1) | instskip(NEXT) | instid1(VALU_DEP_1)
	v_and_b32_e32 v24, 0xff, v24
	v_lshrrev_b32_e32 v24, s43, v24
	s_delay_alu instid0(VALU_DEP_1) | instskip(NEXT) | instid1(VALU_DEP_1)
	v_and_b32_e32 v24, s48, v24
	v_lshl_or_b32 v24, v24, 4, v84
	ds_add_u32 v24, v7
	s_or_b32 exec_lo, exec_lo, s11
	s_delay_alu instid0(SALU_CYCLE_1)
	s_mov_b32 s11, exec_lo
	v_cmpx_gt_u32_e64 s10, v80
	s_cbranch_execz .LBB112_371
.LBB112_387:                            ;   in Loop: Header=BB112_334 Depth=2
	v_xor_b32_e32 v24, -1, v28
	s_delay_alu instid0(VALU_DEP_1) | instskip(NEXT) | instid1(VALU_DEP_1)
	v_and_b32_e32 v24, 0xff, v24
	v_lshrrev_b32_e32 v24, s43, v24
	s_delay_alu instid0(VALU_DEP_1) | instskip(NEXT) | instid1(VALU_DEP_1)
	v_and_b32_e32 v24, s48, v24
	v_lshl_or_b32 v24, v24, 4, v84
	ds_add_u32 v24, v7
	s_or_b32 exec_lo, exec_lo, s11
	s_delay_alu instid0(SALU_CYCLE_1)
	s_mov_b32 s11, exec_lo
	v_cmpx_gt_u32_e64 s10, v81
	s_cbranch_execz .LBB112_372
.LBB112_388:                            ;   in Loop: Header=BB112_334 Depth=2
	v_xor_b32_e32 v24, -1, v27
	s_delay_alu instid0(VALU_DEP_1) | instskip(NEXT) | instid1(VALU_DEP_1)
	v_and_b32_e32 v24, 0xff, v24
	v_lshrrev_b32_e32 v24, s43, v24
	s_delay_alu instid0(VALU_DEP_1) | instskip(NEXT) | instid1(VALU_DEP_1)
	v_and_b32_e32 v24, s48, v24
	v_lshl_or_b32 v24, v24, 4, v84
	ds_add_u32 v24, v7
	s_or_b32 exec_lo, exec_lo, s11
	v_cmp_gt_u32_e32 vcc_lo, s10, v82
	s_and_saveexec_b32 s10, vcc_lo
	s_cbranch_execz .LBB112_333
.LBB112_389:                            ;   in Loop: Header=BB112_334 Depth=2
	v_xor_b32_e32 v24, -1, v26
	s_delay_alu instid0(VALU_DEP_1) | instskip(NEXT) | instid1(VALU_DEP_1)
	v_and_b32_e32 v24, 0xff, v24
	v_lshrrev_b32_e32 v24, s43, v24
	s_delay_alu instid0(VALU_DEP_1) | instskip(NEXT) | instid1(VALU_DEP_1)
	v_and_b32_e32 v24, s48, v24
	v_lshl_or_b32 v24, v24, 4, v84
	ds_add_u32 v24, v7
	s_branch .LBB112_333
.LBB112_390:                            ;   in Loop: Header=BB112_334 Depth=2
	global_load_u8 v39, v[24:25], off
	s_wait_xcnt 0x0
	s_or_b32 exec_lo, exec_lo, s10
	s_delay_alu instid0(SALU_CYCLE_1)
	s_mov_b32 s10, exec_lo
	v_cmpx_gt_u32_e64 s8, v67
	s_cbranch_execz .LBB112_339
.LBB112_391:                            ;   in Loop: Header=BB112_334 Depth=2
	global_load_u8 v42, v[24:25], off offset:256
	s_wait_xcnt 0x0
	s_or_b32 exec_lo, exec_lo, s10
	s_delay_alu instid0(SALU_CYCLE_1)
	s_mov_b32 s10, exec_lo
	v_cmpx_gt_u32_e64 s8, v68
	s_cbranch_execz .LBB112_340
.LBB112_392:                            ;   in Loop: Header=BB112_334 Depth=2
	global_load_u8 v41, v[24:25], off offset:512
	s_wait_xcnt 0x0
	s_or_b32 exec_lo, exec_lo, s10
	s_delay_alu instid0(SALU_CYCLE_1)
	s_mov_b32 s10, exec_lo
	v_cmpx_gt_u32_e64 s8, v69
	s_cbranch_execz .LBB112_341
.LBB112_393:                            ;   in Loop: Header=BB112_334 Depth=2
	global_load_u8 v40, v[24:25], off offset:768
	s_wait_xcnt 0x0
	s_or_b32 exec_lo, exec_lo, s10
	s_delay_alu instid0(SALU_CYCLE_1)
	s_mov_b32 s10, exec_lo
	v_cmpx_gt_u32_e64 s8, v70
	s_cbranch_execz .LBB112_342
.LBB112_394:                            ;   in Loop: Header=BB112_334 Depth=2
	global_load_u8 v38, v[24:25], off offset:1024
	s_wait_xcnt 0x0
	s_or_b32 exec_lo, exec_lo, s10
	s_delay_alu instid0(SALU_CYCLE_1)
	s_mov_b32 s10, exec_lo
	v_cmpx_gt_u32_e64 s8, v71
	s_cbranch_execz .LBB112_343
.LBB112_395:                            ;   in Loop: Header=BB112_334 Depth=2
	global_load_u8 v37, v[24:25], off offset:1280
	s_wait_xcnt 0x0
	s_or_b32 exec_lo, exec_lo, s10
	s_delay_alu instid0(SALU_CYCLE_1)
	s_mov_b32 s10, exec_lo
	v_cmpx_gt_u32_e64 s8, v72
	s_cbranch_execz .LBB112_344
.LBB112_396:                            ;   in Loop: Header=BB112_334 Depth=2
	global_load_u8 v36, v[24:25], off offset:1536
	s_wait_xcnt 0x0
	s_or_b32 exec_lo, exec_lo, s10
	s_delay_alu instid0(SALU_CYCLE_1)
	s_mov_b32 s10, exec_lo
	v_cmpx_gt_u32_e64 s8, v73
	s_cbranch_execz .LBB112_345
.LBB112_397:                            ;   in Loop: Header=BB112_334 Depth=2
	global_load_u8 v35, v[24:25], off offset:1792
	s_wait_xcnt 0x0
	s_or_b32 exec_lo, exec_lo, s10
	s_delay_alu instid0(SALU_CYCLE_1)
	s_mov_b32 s10, exec_lo
	v_cmpx_gt_u32_e64 s8, v74
	s_cbranch_execz .LBB112_346
.LBB112_398:                            ;   in Loop: Header=BB112_334 Depth=2
	global_load_u8 v34, v[24:25], off offset:2048
	s_wait_xcnt 0x0
	s_or_b32 exec_lo, exec_lo, s10
	s_delay_alu instid0(SALU_CYCLE_1)
	s_mov_b32 s10, exec_lo
	v_cmpx_gt_u32_e64 s8, v75
	s_cbranch_execz .LBB112_347
.LBB112_399:                            ;   in Loop: Header=BB112_334 Depth=2
	global_load_u8 v33, v[24:25], off offset:2304
	s_wait_xcnt 0x0
	s_or_b32 exec_lo, exec_lo, s10
	s_delay_alu instid0(SALU_CYCLE_1)
	s_mov_b32 s10, exec_lo
	v_cmpx_gt_u32_e64 s8, v76
	s_cbranch_execz .LBB112_348
.LBB112_400:                            ;   in Loop: Header=BB112_334 Depth=2
	global_load_u8 v32, v[24:25], off offset:2560
	s_wait_xcnt 0x0
	s_or_b32 exec_lo, exec_lo, s10
	s_delay_alu instid0(SALU_CYCLE_1)
	s_mov_b32 s10, exec_lo
	v_cmpx_gt_u32_e64 s8, v77
	s_cbranch_execz .LBB112_349
.LBB112_401:                            ;   in Loop: Header=BB112_334 Depth=2
	global_load_u8 v31, v[24:25], off offset:2816
	s_wait_xcnt 0x0
	s_or_b32 exec_lo, exec_lo, s10
	s_delay_alu instid0(SALU_CYCLE_1)
	s_mov_b32 s10, exec_lo
	v_cmpx_gt_u32_e64 s8, v78
	s_cbranch_execz .LBB112_350
.LBB112_402:                            ;   in Loop: Header=BB112_334 Depth=2
	global_load_u8 v30, v[24:25], off offset:3072
	s_wait_xcnt 0x0
	s_or_b32 exec_lo, exec_lo, s10
	s_delay_alu instid0(SALU_CYCLE_1)
	s_mov_b32 s10, exec_lo
	v_cmpx_gt_u32_e64 s8, v79
	s_cbranch_execz .LBB112_351
.LBB112_403:                            ;   in Loop: Header=BB112_334 Depth=2
	global_load_u8 v29, v[24:25], off offset:3328
	s_wait_xcnt 0x0
	s_or_b32 exec_lo, exec_lo, s10
	s_delay_alu instid0(SALU_CYCLE_1)
	s_mov_b32 s10, exec_lo
	v_cmpx_gt_u32_e64 s8, v80
	s_cbranch_execz .LBB112_352
.LBB112_404:                            ;   in Loop: Header=BB112_334 Depth=2
	global_load_u8 v28, v[24:25], off offset:3584
	s_wait_xcnt 0x0
	s_or_b32 exec_lo, exec_lo, s10
	s_delay_alu instid0(SALU_CYCLE_1)
	s_mov_b32 s10, exec_lo
	v_cmpx_gt_u32_e64 s8, v81
	s_cbranch_execz .LBB112_353
.LBB112_405:                            ;   in Loop: Header=BB112_334 Depth=2
	global_load_u8 v27, v[24:25], off offset:3840
	s_wait_xcnt 0x0
	s_or_b32 exec_lo, exec_lo, s10
	s_delay_alu instid0(SALU_CYCLE_1)
	s_mov_b32 s10, exec_lo
	v_cmpx_gt_u32_e64 s8, v82
	s_cbranch_execnz .LBB112_354
	s_branch .LBB112_355
.LBB112_406:                            ;   in Loop: Header=BB112_20 Depth=1
	v_mov_b32_e32 v24, 0
	s_wait_dscnt 0x0
	s_barrier_signal -1
	s_barrier_wait -1
	s_and_saveexec_b32 s8, s0
	s_cbranch_execz .LBB112_408
; %bb.407:                              ;   in Loop: Header=BB112_20 Depth=1
	ds_load_2addr_b64 v[24:27], v85 offset1:1
	s_wait_dscnt 0x0
	v_add_nc_u32_e32 v24, v25, v24
	s_delay_alu instid0(VALU_DEP_1)
	v_add3_u32 v24, v24, v26, v27
.LBB112_408:                            ;   in Loop: Header=BB112_20 Depth=1
	s_or_b32 exec_lo, exec_lo, s8
	v_and_b32_e32 v25, 15, v0
	s_delay_alu instid0(VALU_DEP_2) | instskip(SKIP_1) | instid1(VALU_DEP_3)
	v_mov_b32_dpp v26, v24 row_shr:1 row_mask:0xf bank_mask:0xf
	v_and_b32_e32 v27, 16, v0
	v_cmp_eq_u32_e64 s8, 0, v25
	v_cmp_lt_u32_e64 s9, 1, v25
	s_delay_alu instid0(VALU_DEP_3) | instskip(NEXT) | instid1(VALU_DEP_3)
	v_cmp_eq_u32_e64 s12, 0, v27
	v_cndmask_b32_e64 v26, v26, 0, s8
	s_delay_alu instid0(VALU_DEP_1) | instskip(NEXT) | instid1(VALU_DEP_1)
	v_add_nc_u32_e32 v24, v26, v24
	v_mov_b32_dpp v26, v24 row_shr:2 row_mask:0xf bank_mask:0xf
	s_delay_alu instid0(VALU_DEP_1) | instskip(SKIP_2) | instid1(VALU_DEP_3)
	v_cndmask_b32_e64 v26, 0, v26, s9
	v_cmp_lt_u32_e64 s11, 7, v25
	v_cmp_lt_u32_e64 s10, 3, v25
	v_add_nc_u32_e32 v24, v24, v26
	s_delay_alu instid0(VALU_DEP_1) | instskip(NEXT) | instid1(VALU_DEP_1)
	v_mov_b32_dpp v26, v24 row_shr:4 row_mask:0xf bank_mask:0xf
	v_cndmask_b32_e64 v26, 0, v26, s10
	s_delay_alu instid0(VALU_DEP_1) | instskip(NEXT) | instid1(VALU_DEP_1)
	v_add_nc_u32_e32 v24, v24, v26
	v_mov_b32_dpp v26, v24 row_shr:8 row_mask:0xf bank_mask:0xf
	s_delay_alu instid0(VALU_DEP_1) | instskip(SKIP_1) | instid1(VALU_DEP_2)
	v_cndmask_b32_e64 v25, 0, v26, s11
	v_bfe_i32 v26, v0, 4, 1
	v_add_nc_u32_e32 v24, v24, v25
	ds_swizzle_b32 v25, v24 offset:swizzle(BROADCAST,32,15)
	s_wait_dscnt 0x0
	v_and_b32_e32 v25, v26, v25
	s_delay_alu instid0(VALU_DEP_1)
	v_add_nc_u32_e32 v24, v24, v25
	s_and_saveexec_b32 s13, s1
; %bb.409:                              ;   in Loop: Header=BB112_20 Depth=1
	ds_store_b32 v86, v24
; %bb.410:                              ;   in Loop: Header=BB112_20 Depth=1
	s_or_b32 exec_lo, exec_lo, s13
	s_wait_dscnt 0x0
	s_barrier_signal -1
	s_barrier_wait -1
	s_and_saveexec_b32 s13, s4
	s_cbranch_execz .LBB112_412
; %bb.411:                              ;   in Loop: Header=BB112_20 Depth=1
	ds_load_b32 v25, v87
	s_wait_dscnt 0x0
	v_mov_b32_dpp v27, v25 row_shr:1 row_mask:0xf bank_mask:0xf
	v_and_b32_e32 v26, 3, v0
	s_delay_alu instid0(VALU_DEP_1) | instskip(NEXT) | instid1(VALU_DEP_3)
	v_cmp_ne_u32_e32 vcc_lo, 0, v26
	v_cndmask_b32_e32 v27, 0, v27, vcc_lo
	v_cmp_lt_u32_e32 vcc_lo, 1, v26
	s_delay_alu instid0(VALU_DEP_2) | instskip(NEXT) | instid1(VALU_DEP_1)
	v_add_nc_u32_e32 v25, v27, v25
	v_mov_b32_dpp v27, v25 row_shr:2 row_mask:0xf bank_mask:0xf
	s_delay_alu instid0(VALU_DEP_1) | instskip(NEXT) | instid1(VALU_DEP_1)
	v_cndmask_b32_e32 v26, 0, v27, vcc_lo
	v_add_nc_u32_e32 v25, v25, v26
	ds_store_b32 v87, v25
.LBB112_412:                            ;   in Loop: Header=BB112_20 Depth=1
	s_or_b32 exec_lo, exec_lo, s13
	v_mov_b32_e32 v25, 0
	s_wait_dscnt 0x0
	s_barrier_signal -1
	s_barrier_wait -1
	s_and_saveexec_b32 s13, s5
; %bb.413:                              ;   in Loop: Header=BB112_20 Depth=1
	ds_load_b32 v25, v88
; %bb.414:                              ;   in Loop: Header=BB112_20 Depth=1
	s_or_b32 exec_lo, exec_lo, s13
	v_sub_co_u32 v26, s13, v0, 1
	s_wait_dscnt 0x0
	s_barrier_signal -1
	s_barrier_wait -1
	s_delay_alu instid0(VALU_DEP_1) | instskip(SKIP_1) | instid1(VALU_DEP_1)
	v_cmp_gt_i32_e32 vcc_lo, 0, v26
	v_cndmask_b32_e32 v26, v26, v0, vcc_lo
	v_dual_add_nc_u32 v24, v25, v24 :: v_dual_lshlrev_b32 v96, 2, v26
	ds_bpermute_b32 v24, v96, v24
	s_and_saveexec_b32 s14, s0
	s_cbranch_execz .LBB112_416
; %bb.415:                              ;   in Loop: Header=BB112_20 Depth=1
	s_wait_dscnt 0x0
	v_cndmask_b32_e64 v24, v24, v25, s13
	s_delay_alu instid0(VALU_DEP_1)
	v_add_nc_u32_e32 v24, s55, v24
	ds_store_b32 v66, v24
.LBB112_416:                            ;   in Loop: Header=BB112_20 Depth=1
	s_or_b32 exec_lo, exec_lo, s14
	s_load_b64 s[14:15], s[52:53], 0x0
	v_dual_lshlrev_b32 v26, 3, v0 :: v_dual_bitop2_b32 v28, 7, v0 bitop3:0x40
	v_dual_mov_b32 v27, v1 :: v_dual_bitop2_b32 v97, v0, v6 bitop3:0x54
	s_wait_dscnt 0x0
	v_add_nc_u64_e32 v[24:25], v[16:17], v[0:1]
	v_mov_b32_e32 v121, 0
	s_mov_b32 s58, s57
	v_add_nc_u64_e32 v[26:27], v[14:15], v[26:27]
	v_dual_add_nc_u32 v98, 32, v97 :: v_dual_add_nc_u32 v99, 64, v97
	v_add_nc_u32_e32 v100, 0x60, v97
	v_add_nc_u32_e32 v101, 0x80, v97
	;; [unrolled: 1-line block ×9, first 2 shown]
	s_wait_kmcnt 0x0
	s_cmp_lt_u32 s51, s14
	v_add_nc_u32_e32 v109, 0x180, v97
	s_cselect_b32 s34, 12, 18
	s_cmp_lt_u32 s42, s15
	s_mov_b32 s15, s35
	s_cselect_b32 s14, 14, 20
	v_add_nc_u32_e32 v110, 0x1a0, v97
	s_add_nc_u64 s[14:15], s[52:53], s[14:15]
	v_add_nc_u32_e32 v111, 0x1c0, v97
	s_load_u16 s16, s[14:15], 0x0
	s_wait_xcnt 0x0
	s_add_nc_u64 s[14:15], s[52:53], s[34:35]
	v_add_nc_u32_e32 v112, 0x1e0, v97
	s_load_u16 s17, s[14:15], 0x0
	s_wait_xcnt 0x0
	v_cmp_eq_u32_e64 s14, 0, v28
	v_cmp_lt_u32_e64 s15, 1, v28
	v_add_nc_u32_e32 v113, 0x200, v97
	s_mov_b32 s34, s55
                                        ; implicit-def: $vgpr30_vgpr31
                                        ; implicit-def: $vgpr32_vgpr33
                                        ; implicit-def: $vgpr34_vgpr35
                                        ; implicit-def: $vgpr36_vgpr37
                                        ; implicit-def: $vgpr38_vgpr39
                                        ; implicit-def: $vgpr40_vgpr41
                                        ; implicit-def: $vgpr42_vgpr43
                                        ; implicit-def: $vgpr44_vgpr45
                                        ; implicit-def: $vgpr46_vgpr47
                                        ; implicit-def: $vgpr48_vgpr49
                                        ; implicit-def: $vgpr50_vgpr51
                                        ; implicit-def: $vgpr52_vgpr53
                                        ; implicit-def: $vgpr54_vgpr55
                                        ; implicit-def: $vgpr56_vgpr57
                                        ; implicit-def: $vgpr58_vgpr59
                                        ; implicit-def: $vgpr60_vgpr61
                                        ; implicit-def: $vgpr115
                                        ; implicit-def: $vgpr116
                                        ; implicit-def: $vgpr117
                                        ; implicit-def: $vgpr118
                                        ; implicit-def: $vgpr119
                                        ; implicit-def: $vgpr120
                                        ; implicit-def: $vgpr122
                                        ; implicit-def: $vgpr123
                                        ; implicit-def: $vgpr124
                                        ; implicit-def: $vgpr125
                                        ; implicit-def: $vgpr126
                                        ; implicit-def: $vgpr127
                                        ; implicit-def: $vgpr128
                                        ; implicit-def: $vgpr129
                                        ; implicit-def: $vgpr130
                                        ; implicit-def: $vgpr131
                                        ; implicit-def: $vgpr132
                                        ; implicit-def: $vgpr133
                                        ; implicit-def: $vgpr134
	s_wait_kmcnt 0x0
	v_mad_u32_u24 v29, v89, s16, v91
	v_cmp_lt_u32_e64 s16, 3, v28
	s_delay_alu instid0(VALU_DEP_2) | instskip(NEXT) | instid1(VALU_DEP_1)
	v_mad_u32 v28, v29, s17, v2
	v_lshrrev_b32_e32 v28, 3, v28
	s_delay_alu instid0(VALU_DEP_1)
	v_and_b32_e32 v114, 0x1ffffffc, v28
                                        ; implicit-def: $vgpr28_vgpr29
	s_branch .LBB112_418
.LBB112_417:                            ;   in Loop: Header=BB112_418 Depth=2
	s_or_b32 exec_lo, exec_lo, s17
	s_addk_co_i32 s58, 0xef00
	s_cmp_lt_u32 s59, s54
	s_mov_b32 s34, s59
	s_cbranch_scc0 .LBB112_640
.LBB112_418:                            ;   Parent Loop BB112_20 Depth=1
                                        ; =>  This Inner Loop Header: Depth=2
	s_add_co_i32 s59, s34, 0x1100
	s_delay_alu instid0(SALU_CYCLE_1)
	s_cmp_gt_u32 s59, s54
	s_cbranch_scc1 .LBB112_420
; %bb.419:                              ;   in Loop: Header=BB112_418 Depth=2
	v_add_nc_u64_e32 v[62:63], s[34:35], v[24:25]
	s_mov_b32 s17, -1
	s_clause 0xf
	global_load_u8 v136, v[62:63], off offset:480
	global_load_u8 v65, v[62:63], off offset:448
	;; [unrolled: 1-line block ×15, first 2 shown]
	global_load_u8 v147, v[62:63], off
	s_movk_i32 s18, 0x1100
	s_cbranch_execz .LBB112_421
	s_branch .LBB112_440
.LBB112_420:                            ;   in Loop: Header=BB112_418 Depth=2
	s_mov_b32 s17, 0
                                        ; implicit-def: $vgpr147
                                        ; implicit-def: $vgpr151
                                        ; implicit-def: $vgpr148
                                        ; implicit-def: $vgpr150
                                        ; implicit-def: $vgpr142
                                        ; implicit-def: $vgpr144
                                        ; implicit-def: $vgpr143
                                        ; implicit-def: $vgpr145
                                        ; implicit-def: $vgpr138
                                        ; implicit-def: $vgpr140
                                        ; implicit-def: $vgpr139
                                        ; implicit-def: $vgpr141
                                        ; implicit-def: $vgpr64
                                        ; implicit-def: $vgpr135
                                        ; implicit-def: $vgpr65
                                        ; implicit-def: $vgpr136
                                        ; implicit-def: $vgpr121
	s_movk_i32 s18, 0x1100
.LBB112_421:                            ;   in Loop: Header=BB112_418 Depth=2
	s_wait_xcnt 0x0
	v_add_nc_u64_e32 v[62:63], s[34:35], v[24:25]
	s_wait_loadcnt 0x0
	v_dual_mov_b32 v148, 0 :: v_dual_mov_b32 v147, 0
	v_dual_mov_b32 v150, 0 :: v_dual_mov_b32 v142, 0
	;; [unrolled: 1-line block ×8, first 2 shown]
	s_mov_b32 s17, exec_lo
	v_cmpx_gt_u32_e64 s58, v97
	s_cbranch_execz .LBB112_423
; %bb.422:                              ;   in Loop: Header=BB112_418 Depth=2
	global_load_u8 v147, v[62:63], off
	v_dual_mov_b32 v150, 0 :: v_dual_mov_b32 v142, 0
	v_dual_mov_b32 v144, 0 :: v_dual_mov_b32 v143, 0
	;; [unrolled: 1-line block ×7, first 2 shown]
.LBB112_423:                            ;   in Loop: Header=BB112_418 Depth=2
	s_wait_xcnt 0x0
	s_or_b32 exec_lo, exec_lo, s17
	v_mov_b32_e32 v151, v148
	s_mov_b32 s17, exec_lo
	v_cmpx_gt_u32_e64 s58, v98
	s_cbranch_execnz .LBB112_626
; %bb.424:                              ;   in Loop: Header=BB112_418 Depth=2
	s_or_b32 exec_lo, exec_lo, s17
	s_delay_alu instid0(SALU_CYCLE_1)
	s_mov_b32 s17, exec_lo
	v_cmpx_gt_u32_e64 s58, v99
	s_cbranch_execnz .LBB112_627
.LBB112_425:                            ;   in Loop: Header=BB112_418 Depth=2
	s_or_b32 exec_lo, exec_lo, s17
	s_delay_alu instid0(SALU_CYCLE_1)
	s_mov_b32 s17, exec_lo
	v_cmpx_gt_u32_e64 s58, v100
	s_cbranch_execnz .LBB112_628
.LBB112_426:                            ;   in Loop: Header=BB112_418 Depth=2
	s_or_b32 exec_lo, exec_lo, s17
	s_delay_alu instid0(SALU_CYCLE_1)
	s_mov_b32 s17, exec_lo
	v_cmpx_gt_u32_e64 s58, v101
	s_cbranch_execnz .LBB112_629
.LBB112_427:                            ;   in Loop: Header=BB112_418 Depth=2
	s_or_b32 exec_lo, exec_lo, s17
	s_delay_alu instid0(SALU_CYCLE_1)
	s_mov_b32 s17, exec_lo
	v_cmpx_gt_u32_e64 s58, v102
	s_cbranch_execnz .LBB112_630
.LBB112_428:                            ;   in Loop: Header=BB112_418 Depth=2
	s_or_b32 exec_lo, exec_lo, s17
	s_delay_alu instid0(SALU_CYCLE_1)
	s_mov_b32 s17, exec_lo
	v_cmpx_gt_u32_e64 s58, v103
	s_cbranch_execnz .LBB112_631
.LBB112_429:                            ;   in Loop: Header=BB112_418 Depth=2
	s_or_b32 exec_lo, exec_lo, s17
	s_delay_alu instid0(SALU_CYCLE_1)
	s_mov_b32 s17, exec_lo
	v_cmpx_gt_u32_e64 s58, v104
	s_cbranch_execnz .LBB112_632
.LBB112_430:                            ;   in Loop: Header=BB112_418 Depth=2
	s_or_b32 exec_lo, exec_lo, s17
	s_delay_alu instid0(SALU_CYCLE_1)
	s_mov_b32 s17, exec_lo
	v_cmpx_gt_u32_e64 s58, v105
	s_cbranch_execnz .LBB112_633
.LBB112_431:                            ;   in Loop: Header=BB112_418 Depth=2
	s_or_b32 exec_lo, exec_lo, s17
	s_delay_alu instid0(SALU_CYCLE_1)
	s_mov_b32 s17, exec_lo
	v_cmpx_gt_u32_e64 s58, v106
	s_cbranch_execnz .LBB112_634
.LBB112_432:                            ;   in Loop: Header=BB112_418 Depth=2
	s_or_b32 exec_lo, exec_lo, s17
	s_delay_alu instid0(SALU_CYCLE_1)
	s_mov_b32 s17, exec_lo
	v_cmpx_gt_u32_e64 s58, v107
	s_cbranch_execnz .LBB112_635
.LBB112_433:                            ;   in Loop: Header=BB112_418 Depth=2
	s_or_b32 exec_lo, exec_lo, s17
	s_delay_alu instid0(SALU_CYCLE_1)
	s_mov_b32 s17, exec_lo
	v_cmpx_gt_u32_e64 s58, v108
	s_cbranch_execnz .LBB112_636
.LBB112_434:                            ;   in Loop: Header=BB112_418 Depth=2
	s_or_b32 exec_lo, exec_lo, s17
	s_delay_alu instid0(SALU_CYCLE_1)
	s_mov_b32 s17, exec_lo
	v_cmpx_gt_u32_e64 s58, v109
	s_cbranch_execnz .LBB112_637
.LBB112_435:                            ;   in Loop: Header=BB112_418 Depth=2
	s_or_b32 exec_lo, exec_lo, s17
	s_delay_alu instid0(SALU_CYCLE_1)
	s_mov_b32 s17, exec_lo
	v_cmpx_gt_u32_e64 s58, v110
	s_cbranch_execnz .LBB112_638
.LBB112_436:                            ;   in Loop: Header=BB112_418 Depth=2
	s_or_b32 exec_lo, exec_lo, s17
	s_delay_alu instid0(SALU_CYCLE_1)
	s_mov_b32 s17, exec_lo
	v_cmpx_gt_u32_e64 s58, v111
	s_cbranch_execnz .LBB112_639
.LBB112_437:                            ;   in Loop: Header=BB112_418 Depth=2
	s_or_b32 exec_lo, exec_lo, s17
	s_delay_alu instid0(SALU_CYCLE_1)
	s_mov_b32 s17, exec_lo
	v_cmpx_gt_u32_e64 s58, v112
	s_cbranch_execz .LBB112_439
.LBB112_438:                            ;   in Loop: Header=BB112_418 Depth=2
	global_load_u8 v136, v[62:63], off offset:480
.LBB112_439:                            ;   in Loop: Header=BB112_418 Depth=2
	s_wait_xcnt 0x0
	s_or_b32 exec_lo, exec_lo, s17
	v_cmp_gt_u32_e64 s17, s58, v113
	s_sub_co_i32 s18, s54, s34
.LBB112_440:                            ;   in Loop: Header=BB112_418 Depth=2
	v_mov_b32_e32 v137, s58
	s_wait_xcnt 0x0
	s_and_saveexec_b32 s19, s17
	s_cbranch_execz .LBB112_442
; %bb.441:                              ;   in Loop: Header=BB112_418 Depth=2
	v_add_nc_u64_e32 v[62:63], s[34:35], v[24:25]
	v_mov_b32_e32 v137, s18
	global_load_u8 v121, v[62:63], off offset:512
.LBB112_442:                            ;   in Loop: Header=BB112_418 Depth=2
	s_wait_xcnt 0x0
	s_or_b32 exec_lo, exec_lo, s19
	s_wait_loadcnt 0x0
	v_bitop3_b16 v62, v147, 0xff, v147 bitop3:0xc
	ds_store_2addr_b32 v90, v1, v1 offset0:136 offset1:137
	ds_store_2addr_b32 v90, v1, v1 offset0:138 offset1:139
	ds_store_b32 v90, v1 offset:560
	s_wait_dscnt 0x0
	s_barrier_signal -1
	s_barrier_wait -1
	v_and_b32_e32 v62, 0xffff, v62
	; wave barrier
	s_delay_alu instid0(VALU_DEP_1) | instskip(NEXT) | instid1(VALU_DEP_1)
	v_lshrrev_b32_e32 v62, s43, v62
	v_and_b32_e32 v149, s48, v62
	s_delay_alu instid0(VALU_DEP_1) | instskip(SKIP_1) | instid1(VALU_DEP_1)
	v_lshlrev_b32_e32 v146, 30, v149
	v_bitop3_b32 v63, v62, 1, s48 bitop3:0x80
	v_add_co_u32 v62, s17, v63, -1
	s_delay_alu instid0(VALU_DEP_1) | instskip(NEXT) | instid1(VALU_DEP_4)
	v_cndmask_b32_e64 v63, 0, 1, s17
	v_cmp_gt_i32_e64 s17, 0, v146
	s_delay_alu instid0(VALU_DEP_2) | instskip(SKIP_2) | instid1(VALU_DEP_2)
	v_cmp_ne_u32_e32 vcc_lo, 0, v63
	v_not_b32_e32 v63, v146
	v_bitop3_b32 v62, vcc_lo, exec_lo, v62 bitop3:0x48
	v_dual_ashrrev_i32 v63, 31, v63 :: v_dual_lshlrev_b32 v152, 29, v149
	v_dual_lshlrev_b32 v153, 28, v149 :: v_dual_lshlrev_b32 v154, 27, v149
	v_lshlrev_b32_e32 v155, 26, v149
	s_delay_alu instid0(VALU_DEP_3)
	v_not_b32_e32 v146, v152
	v_lshlrev_b32_e32 v156, 25, v149
	v_cmp_gt_i32_e64 s18, 0, v152
	v_cmp_gt_i32_e64 s19, 0, v153
	v_not_b32_e32 v152, v153
	v_not_b32_e32 v153, v154
	v_ashrrev_i32_e32 v146, 31, v146
	v_cmp_gt_i32_e64 s20, 0, v154
	v_cmp_gt_i32_e64 s21, 0, v155
	v_not_b32_e32 v154, v155
	v_not_b32_e32 v155, v156
	v_dual_ashrrev_i32 v152, 31, v152 :: v_dual_ashrrev_i32 v153, 31, v153
	s_delay_alu instid0(VALU_DEP_3) | instskip(NEXT) | instid1(VALU_DEP_3)
	v_dual_ashrrev_i32 v154, 31, v154 :: v_dual_bitop2_b32 v63, s17, v63 bitop3:0x14
	v_dual_ashrrev_i32 v155, 31, v155 :: v_dual_bitop2_b32 v146, s18, v146 bitop3:0x14
	v_cmp_gt_i32_e64 s22, 0, v156
	s_delay_alu instid0(VALU_DEP_4) | instskip(SKIP_1) | instid1(VALU_DEP_4)
	v_xor_b32_e32 v152, s19, v152
	v_xor_b32_e32 v153, s20, v153
	v_bitop3_b32 v62, v62, v146, v63 bitop3:0x80
	v_xor_b32_e32 v63, s21, v154
	v_xor_b32_e32 v146, s22, v155
	s_delay_alu instid0(VALU_DEP_3) | instskip(NEXT) | instid1(VALU_DEP_1)
	v_bitop3_b32 v62, v62, v153, v152 bitop3:0x80
	v_bitop3_b32 v62, v62, v146, v63 bitop3:0x80
	v_mul_u32_u24_e32 v63, 36, v149
	s_delay_alu instid0(VALU_DEP_2) | instskip(SKIP_1) | instid1(VALU_DEP_3)
	v_mbcnt_lo_u32_b32 v146, v62, 0
	v_cmp_ne_u32_e64 s17, 0, v62
	v_add_nc_u32_e32 v149, v114, v63
	s_delay_alu instid0(VALU_DEP_3) | instskip(SKIP_1) | instid1(SALU_CYCLE_1)
	v_cmp_eq_u32_e32 vcc_lo, 0, v146
	s_and_b32 s18, s17, vcc_lo
	s_and_saveexec_b32 s17, s18
; %bb.443:                              ;   in Loop: Header=BB112_418 Depth=2
	v_bcnt_u32_b32 v62, v62, 0
	ds_store_b32 v149, v62 offset:544
; %bb.444:                              ;   in Loop: Header=BB112_418 Depth=2
	s_or_b32 exec_lo, exec_lo, s17
	v_xor_b32_e32 v62, -1, v151
	v_xor_b32_e32 v63, -1, v150
	; wave barrier
	s_delay_alu instid0(VALU_DEP_2) | instskip(NEXT) | instid1(VALU_DEP_2)
	v_lshlrev_b16 v62, 8, v62
	v_lshlrev_b16 v63, 8, v63
	s_delay_alu instid0(VALU_DEP_2) | instskip(NEXT) | instid1(VALU_DEP_2)
	v_bitop3_b16 v147, v147, v62, 0xff bitop3:0xce
	v_bitop3_b16 v62, v148, v63, 0xff bitop3:0xce
	s_delay_alu instid0(VALU_DEP_2) | instskip(NEXT) | instid1(VALU_DEP_2)
	v_and_b32_e32 v63, 0xffff, v147
	v_lshlrev_b32_e32 v62, 16, v62
	s_delay_alu instid0(VALU_DEP_1) | instskip(NEXT) | instid1(VALU_DEP_1)
	v_or_b32_e32 v148, v63, v62
	v_bfe_u32 v62, v148, 8, 8
	s_delay_alu instid0(VALU_DEP_1) | instskip(NEXT) | instid1(VALU_DEP_1)
	v_lshrrev_b32_e32 v62, s43, v62
	v_bitop3_b32 v63, v62, 1, s48 bitop3:0x80
	v_and_b32_e32 v152, s48, v62
	s_delay_alu instid0(VALU_DEP_2) | instskip(NEXT) | instid1(VALU_DEP_1)
	v_add_co_u32 v62, s17, v63, -1
	v_cndmask_b32_e64 v63, 0, 1, s17
	s_delay_alu instid0(VALU_DEP_3) | instskip(NEXT) | instid1(VALU_DEP_2)
	v_lshlrev_b32_e32 v150, 30, v152
	v_cmp_ne_u32_e32 vcc_lo, 0, v63
	s_delay_alu instid0(VALU_DEP_2) | instskip(SKIP_2) | instid1(VALU_DEP_3)
	v_not_b32_e32 v63, v150
	v_cmp_gt_i32_e64 s17, 0, v150
	v_bitop3_b32 v62, vcc_lo, exec_lo, v62 bitop3:0x48
	v_dual_ashrrev_i32 v63, 31, v63 :: v_dual_lshlrev_b32 v151, 29, v152
	v_dual_lshlrev_b32 v153, 28, v152 :: v_dual_lshlrev_b32 v154, 27, v152
	v_lshlrev_b32_e32 v155, 26, v152
	s_delay_alu instid0(VALU_DEP_3)
	v_not_b32_e32 v150, v151
	v_lshlrev_b32_e32 v156, 25, v152
	v_cmp_gt_i32_e64 s18, 0, v151
	v_cmp_gt_i32_e64 s19, 0, v153
	v_not_b32_e32 v151, v153
	v_ashrrev_i32_e32 v150, 31, v150
	v_cmp_gt_i32_e64 s20, 0, v154
	v_not_b32_e32 v153, v154
	v_cmp_gt_i32_e64 s21, 0, v155
	v_not_b32_e32 v154, v155
	v_not_b32_e32 v155, v156
	v_xor_b32_e32 v63, s17, v63
	v_dual_ashrrev_i32 v151, 31, v151 :: v_dual_bitop2_b32 v150, s18, v150 bitop3:0x14
	s_delay_alu instid0(VALU_DEP_4) | instskip(NEXT) | instid1(VALU_DEP_4)
	v_dual_ashrrev_i32 v153, 31, v153 :: v_dual_ashrrev_i32 v154, 31, v154
	v_ashrrev_i32_e32 v155, 31, v155
	s_delay_alu instid0(VALU_DEP_3)
	v_bitop3_b32 v62, v62, v150, v63 bitop3:0x80
	v_mad_u32_u24 v63, v152, 36, v114
	v_cmp_gt_i32_e64 s22, 0, v156
	v_xor_b32_e32 v151, s19, v151
	v_xor_b32_e32 v154, s21, v154
	ds_load_b32 v150, v63 offset:544
	v_mul_u32_u24_e32 v63, 36, v152
	v_xor_b32_e32 v153, s20, v153
	v_xor_b32_e32 v155, s22, v155
	; wave barrier
	s_delay_alu instid0(VALU_DEP_3) | instskip(NEXT) | instid1(VALU_DEP_3)
	v_add_nc_u32_e32 v152, v114, v63
	v_bitop3_b32 v62, v62, v153, v151 bitop3:0x80
	s_delay_alu instid0(VALU_DEP_1) | instskip(NEXT) | instid1(VALU_DEP_1)
	v_bitop3_b32 v62, v62, v155, v154 bitop3:0x80
	v_mbcnt_lo_u32_b32 v151, v62, 0
	v_cmp_ne_u32_e64 s17, 0, v62
	s_delay_alu instid0(VALU_DEP_2) | instskip(SKIP_1) | instid1(SALU_CYCLE_1)
	v_cmp_eq_u32_e32 vcc_lo, 0, v151
	s_and_b32 s18, s17, vcc_lo
	s_and_saveexec_b32 s17, s18
	s_cbranch_execz .LBB112_446
; %bb.445:                              ;   in Loop: Header=BB112_418 Depth=2
	s_wait_dscnt 0x0
	v_bcnt_u32_b32 v62, v62, v150
	ds_store_b32 v152, v62 offset:544
.LBB112_446:                            ;   in Loop: Header=BB112_418 Depth=2
	s_or_b32 exec_lo, exec_lo, s17
	v_bfe_u32 v62, v148, 16, 8
	; wave barrier
	s_delay_alu instid0(VALU_DEP_1) | instskip(NEXT) | instid1(VALU_DEP_1)
	v_lshrrev_b32_e32 v62, s43, v62
	v_and_b32_e32 v155, s48, v62
	s_delay_alu instid0(VALU_DEP_1) | instskip(SKIP_1) | instid1(VALU_DEP_1)
	v_lshlrev_b32_e32 v153, 30, v155
	v_bitop3_b32 v63, v62, 1, s48 bitop3:0x80
	v_add_co_u32 v62, s17, v63, -1
	s_delay_alu instid0(VALU_DEP_1) | instskip(NEXT) | instid1(VALU_DEP_4)
	v_cndmask_b32_e64 v63, 0, 1, s17
	v_cmp_gt_i32_e64 s17, 0, v153
	s_delay_alu instid0(VALU_DEP_2) | instskip(SKIP_2) | instid1(VALU_DEP_2)
	v_cmp_ne_u32_e32 vcc_lo, 0, v63
	v_not_b32_e32 v63, v153
	v_bitop3_b32 v62, vcc_lo, exec_lo, v62 bitop3:0x48
	v_ashrrev_i32_e32 v63, 31, v63
	v_dual_lshlrev_b32 v154, 29, v155 :: v_dual_lshlrev_b32 v156, 28, v155
	v_dual_lshlrev_b32 v157, 27, v155 :: v_dual_lshlrev_b32 v158, 26, v155
	s_delay_alu instid0(VALU_DEP_2)
	v_not_b32_e32 v153, v154
	v_lshlrev_b32_e32 v159, 25, v155
	v_cmp_gt_i32_e64 s18, 0, v154
	v_cmp_gt_i32_e64 s19, 0, v156
	v_not_b32_e32 v154, v156
	v_not_b32_e32 v156, v157
	v_ashrrev_i32_e32 v153, 31, v153
	v_cmp_gt_i32_e64 s20, 0, v157
	v_cmp_gt_i32_e64 s21, 0, v158
	v_not_b32_e32 v157, v158
	v_dual_ashrrev_i32 v154, 31, v154 :: v_dual_ashrrev_i32 v156, 31, v156
	v_xor_b32_e32 v63, s17, v63
	v_not_b32_e32 v158, v159
	v_xor_b32_e32 v153, s18, v153
	s_delay_alu instid0(VALU_DEP_4) | instskip(SKIP_2) | instid1(VALU_DEP_4)
	v_dual_ashrrev_i32 v157, 31, v157 :: v_dual_bitop2_b32 v154, s19, v154 bitop3:0x14
	v_xor_b32_e32 v156, s20, v156
	v_cmp_gt_i32_e32 vcc_lo, 0, v159
	v_bitop3_b32 v62, v62, v153, v63 bitop3:0x80
	v_ashrrev_i32_e32 v63, 31, v158
	v_mad_u32_u24 v153, v155, 36, v114
	v_xor_b32_e32 v157, s21, v157
	s_delay_alu instid0(VALU_DEP_4) | instskip(NEXT) | instid1(VALU_DEP_4)
	v_bitop3_b32 v62, v62, v156, v154 bitop3:0x80
	v_xor_b32_e32 v63, vcc_lo, v63
	ds_load_b32 v153, v153 offset:544
	; wave barrier
	v_bitop3_b32 v62, v62, v63, v157 bitop3:0x80
	v_mul_u32_u24_e32 v63, 36, v155
	s_delay_alu instid0(VALU_DEP_2) | instskip(SKIP_1) | instid1(VALU_DEP_3)
	v_mbcnt_lo_u32_b32 v154, v62, 0
	v_cmp_ne_u32_e64 s17, 0, v62
	v_add_nc_u32_e32 v156, v114, v63
	s_delay_alu instid0(VALU_DEP_3) | instskip(SKIP_1) | instid1(SALU_CYCLE_1)
	v_cmp_eq_u32_e32 vcc_lo, 0, v154
	s_and_b32 s18, s17, vcc_lo
	s_and_saveexec_b32 s17, s18
	s_cbranch_execz .LBB112_448
; %bb.447:                              ;   in Loop: Header=BB112_418 Depth=2
	s_wait_dscnt 0x0
	v_bcnt_u32_b32 v62, v62, v153
	ds_store_b32 v156, v62 offset:544
.LBB112_448:                            ;   in Loop: Header=BB112_418 Depth=2
	s_or_b32 exec_lo, exec_lo, s17
	v_lshrrev_b32_e32 v155, 24, v148
	; wave barrier
	s_delay_alu instid0(VALU_DEP_1) | instskip(NEXT) | instid1(VALU_DEP_1)
	v_lshrrev_b32_e32 v62, s43, v155
	v_bitop3_b32 v63, v62, 1, s48 bitop3:0x80
	v_and_b32_e32 v159, s48, v62
	s_delay_alu instid0(VALU_DEP_2) | instskip(NEXT) | instid1(VALU_DEP_1)
	v_add_co_u32 v62, s17, v63, -1
	v_cndmask_b32_e64 v63, 0, 1, s17
	s_delay_alu instid0(VALU_DEP_3) | instskip(SKIP_1) | instid1(VALU_DEP_3)
	v_dual_lshlrev_b32 v157, 30, v159 :: v_dual_lshlrev_b32 v158, 29, v159
	v_dual_lshlrev_b32 v160, 28, v159 :: v_dual_lshlrev_b32 v161, 27, v159
	v_cmp_ne_u32_e32 vcc_lo, 0, v63
	s_delay_alu instid0(VALU_DEP_3)
	v_cmp_gt_i32_e64 s17, 0, v157
	v_not_b32_e32 v63, v157
	v_not_b32_e32 v157, v158
	v_dual_lshlrev_b32 v162, 26, v159 :: v_dual_lshlrev_b32 v163, 25, v159
	v_cmp_gt_i32_e64 s18, 0, v158
	v_cmp_gt_i32_e64 s19, 0, v160
	v_not_b32_e32 v158, v160
	v_not_b32_e32 v160, v161
	v_dual_ashrrev_i32 v63, 31, v63 :: v_dual_ashrrev_i32 v157, 31, v157
	v_cmp_gt_i32_e64 s20, 0, v161
	v_cmp_gt_i32_e64 s21, 0, v162
	v_not_b32_e32 v161, v162
	v_bitop3_b32 v62, vcc_lo, exec_lo, v62 bitop3:0x48
	v_dual_ashrrev_i32 v158, 31, v158 :: v_dual_ashrrev_i32 v160, 31, v160
	v_xor_b32_e32 v63, s17, v63
	v_not_b32_e32 v162, v163
	v_xor_b32_e32 v157, s18, v157
	s_delay_alu instid0(VALU_DEP_4) | instskip(SKIP_2) | instid1(VALU_DEP_4)
	v_dual_ashrrev_i32 v161, 31, v161 :: v_dual_bitop2_b32 v158, s19, v158 bitop3:0x14
	v_xor_b32_e32 v160, s20, v160
	v_cmp_gt_i32_e32 vcc_lo, 0, v163
	v_bitop3_b32 v62, v62, v157, v63 bitop3:0x80
	v_ashrrev_i32_e32 v63, 31, v162
	v_mad_u32_u24 v157, v159, 36, v114
	v_xor_b32_e32 v161, s21, v161
	s_delay_alu instid0(VALU_DEP_4) | instskip(NEXT) | instid1(VALU_DEP_4)
	v_bitop3_b32 v62, v62, v160, v158 bitop3:0x80
	v_xor_b32_e32 v63, vcc_lo, v63
	ds_load_b32 v157, v157 offset:544
	; wave barrier
	v_bitop3_b32 v62, v62, v63, v161 bitop3:0x80
	v_mul_u32_u24_e32 v63, 36, v159
	s_delay_alu instid0(VALU_DEP_2) | instskip(SKIP_1) | instid1(VALU_DEP_3)
	v_mbcnt_lo_u32_b32 v158, v62, 0
	v_cmp_ne_u32_e64 s17, 0, v62
	v_add_nc_u32_e32 v159, v114, v63
	s_delay_alu instid0(VALU_DEP_3) | instskip(SKIP_1) | instid1(SALU_CYCLE_1)
	v_cmp_eq_u32_e32 vcc_lo, 0, v158
	s_and_b32 s18, s17, vcc_lo
	s_and_saveexec_b32 s17, s18
	s_cbranch_execz .LBB112_450
; %bb.449:                              ;   in Loop: Header=BB112_418 Depth=2
	s_wait_dscnt 0x0
	v_bcnt_u32_b32 v62, v62, v157
	ds_store_b32 v159, v62 offset:544
.LBB112_450:                            ;   in Loop: Header=BB112_418 Depth=2
	s_or_b32 exec_lo, exec_lo, s17
	v_bitop3_b16 v62, v142, 0xff, v142 bitop3:0xc
	; wave barrier
	s_delay_alu instid0(VALU_DEP_1) | instskip(NEXT) | instid1(VALU_DEP_1)
	v_and_b32_e32 v62, 0xffff, v62
	v_lshrrev_b32_e32 v62, s43, v62
	s_delay_alu instid0(VALU_DEP_1) | instskip(SKIP_1) | instid1(VALU_DEP_2)
	v_bitop3_b32 v63, v62, 1, s48 bitop3:0x80
	v_and_b32_e32 v162, s48, v62
	v_add_co_u32 v62, s17, v63, -1
	s_delay_alu instid0(VALU_DEP_1) | instskip(NEXT) | instid1(VALU_DEP_3)
	v_cndmask_b32_e64 v63, 0, 1, s17
	v_dual_lshlrev_b32 v160, 30, v162 :: v_dual_lshlrev_b32 v161, 29, v162
	s_delay_alu instid0(VALU_DEP_2) | instskip(NEXT) | instid1(VALU_DEP_2)
	v_cmp_ne_u32_e32 vcc_lo, 0, v63
	v_cmp_gt_i32_e64 s17, 0, v160
	v_not_b32_e32 v63, v160
	s_delay_alu instid0(VALU_DEP_4) | instskip(SKIP_2) | instid1(VALU_DEP_3)
	v_not_b32_e32 v160, v161
	v_cmp_gt_i32_e64 s18, 0, v161
	v_bitop3_b32 v62, vcc_lo, exec_lo, v62 bitop3:0x48
	v_dual_ashrrev_i32 v63, 31, v63 :: v_dual_ashrrev_i32 v160, 31, v160
	v_dual_lshlrev_b32 v163, 28, v162 :: v_dual_lshlrev_b32 v164, 27, v162
	v_dual_lshlrev_b32 v165, 26, v162 :: v_dual_lshlrev_b32 v166, 25, v162
	s_delay_alu instid0(VALU_DEP_2) | instskip(SKIP_1) | instid1(VALU_DEP_4)
	v_cmp_gt_i32_e64 s19, 0, v163
	v_not_b32_e32 v161, v163
	v_cmp_gt_i32_e64 s20, 0, v164
	v_not_b32_e32 v163, v164
	;; [unrolled: 2-line block ×3, first 2 shown]
	v_not_b32_e32 v165, v166
	v_xor_b32_e32 v63, s17, v63
	v_dual_ashrrev_i32 v161, 31, v161 :: v_dual_bitop2_b32 v160, s18, v160 bitop3:0x14
	s_delay_alu instid0(VALU_DEP_4) | instskip(NEXT) | instid1(VALU_DEP_4)
	v_dual_ashrrev_i32 v163, 31, v163 :: v_dual_ashrrev_i32 v164, 31, v164
	v_ashrrev_i32_e32 v165, 31, v165
	s_delay_alu instid0(VALU_DEP_3)
	v_bitop3_b32 v62, v62, v160, v63 bitop3:0x80
	v_mad_u32_u24 v63, v162, 36, v114
	v_cmp_gt_i32_e64 s22, 0, v166
	v_xor_b32_e32 v163, s20, v163
	v_xor_b32_e32 v164, s21, v164
	ds_load_b32 v160, v63 offset:544
	v_mul_u32_u24_e32 v63, 36, v162
	v_xor_b32_e32 v161, s19, v161
	v_xor_b32_e32 v165, s22, v165
	; wave barrier
	s_delay_alu instid0(VALU_DEP_3) | instskip(NEXT) | instid1(VALU_DEP_3)
	v_add_nc_u32_e32 v162, v114, v63
	v_bitop3_b32 v62, v62, v163, v161 bitop3:0x80
	s_delay_alu instid0(VALU_DEP_1) | instskip(NEXT) | instid1(VALU_DEP_1)
	v_bitop3_b32 v62, v62, v165, v164 bitop3:0x80
	v_mbcnt_lo_u32_b32 v161, v62, 0
	v_cmp_ne_u32_e64 s17, 0, v62
	s_delay_alu instid0(VALU_DEP_2) | instskip(SKIP_1) | instid1(SALU_CYCLE_1)
	v_cmp_eq_u32_e32 vcc_lo, 0, v161
	s_and_b32 s18, s17, vcc_lo
	s_and_saveexec_b32 s17, s18
	s_cbranch_execz .LBB112_452
; %bb.451:                              ;   in Loop: Header=BB112_418 Depth=2
	s_wait_dscnt 0x0
	v_bcnt_u32_b32 v62, v62, v160
	ds_store_b32 v162, v62 offset:544
.LBB112_452:                            ;   in Loop: Header=BB112_418 Depth=2
	s_or_b32 exec_lo, exec_lo, s17
	v_xor_b32_e32 v62, -1, v144
	v_xor_b32_e32 v63, -1, v145
	; wave barrier
	s_delay_alu instid0(VALU_DEP_2) | instskip(NEXT) | instid1(VALU_DEP_2)
	v_lshlrev_b16 v62, 8, v62
	v_lshlrev_b16 v63, 8, v63
	s_delay_alu instid0(VALU_DEP_2) | instskip(NEXT) | instid1(VALU_DEP_2)
	v_bitop3_b16 v142, v142, v62, 0xff bitop3:0xce
	v_bitop3_b16 v62, v143, v63, 0xff bitop3:0xce
	s_delay_alu instid0(VALU_DEP_2) | instskip(NEXT) | instid1(VALU_DEP_2)
	v_and_b32_e32 v63, 0xffff, v142
	v_lshlrev_b32_e32 v62, 16, v62
	s_delay_alu instid0(VALU_DEP_1) | instskip(NEXT) | instid1(VALU_DEP_1)
	v_or_b32_e32 v143, v63, v62
	v_bfe_u32 v62, v143, 8, 8
	s_delay_alu instid0(VALU_DEP_1) | instskip(NEXT) | instid1(VALU_DEP_1)
	v_lshrrev_b32_e32 v62, s43, v62
	v_bitop3_b32 v63, v62, 1, s48 bitop3:0x80
	v_and_b32_e32 v163, s48, v62
	s_delay_alu instid0(VALU_DEP_2) | instskip(NEXT) | instid1(VALU_DEP_1)
	v_add_co_u32 v62, s17, v63, -1
	v_cndmask_b32_e64 v63, 0, 1, s17
	s_delay_alu instid0(VALU_DEP_3) | instskip(NEXT) | instid1(VALU_DEP_2)
	v_lshlrev_b32_e32 v144, 30, v163
	v_cmp_ne_u32_e32 vcc_lo, 0, v63
	s_delay_alu instid0(VALU_DEP_2) | instskip(SKIP_2) | instid1(VALU_DEP_3)
	v_not_b32_e32 v63, v144
	v_cmp_gt_i32_e64 s17, 0, v144
	v_bitop3_b32 v62, vcc_lo, exec_lo, v62 bitop3:0x48
	v_ashrrev_i32_e32 v63, 31, v63
	v_dual_lshlrev_b32 v145, 29, v163 :: v_dual_lshlrev_b32 v164, 28, v163
	v_dual_lshlrev_b32 v165, 27, v163 :: v_dual_lshlrev_b32 v166, 26, v163
	s_delay_alu instid0(VALU_DEP_2)
	v_not_b32_e32 v144, v145
	v_lshlrev_b32_e32 v167, 25, v163
	v_cmp_gt_i32_e64 s18, 0, v145
	v_cmp_gt_i32_e64 s19, 0, v164
	v_not_b32_e32 v145, v164
	v_ashrrev_i32_e32 v144, 31, v144
	v_cmp_gt_i32_e64 s20, 0, v165
	v_not_b32_e32 v164, v165
	v_cmp_gt_i32_e64 s21, 0, v166
	v_not_b32_e32 v165, v166
	v_not_b32_e32 v166, v167
	v_xor_b32_e32 v63, s17, v63
	v_dual_ashrrev_i32 v145, 31, v145 :: v_dual_bitop2_b32 v144, s18, v144 bitop3:0x14
	s_delay_alu instid0(VALU_DEP_4) | instskip(NEXT) | instid1(VALU_DEP_4)
	v_dual_ashrrev_i32 v164, 31, v164 :: v_dual_ashrrev_i32 v165, 31, v165
	v_ashrrev_i32_e32 v166, 31, v166
	s_delay_alu instid0(VALU_DEP_3)
	v_bitop3_b32 v62, v62, v144, v63 bitop3:0x80
	v_mad_u32_u24 v63, v163, 36, v114
	v_cmp_gt_i32_e64 s22, 0, v167
	v_xor_b32_e32 v164, s20, v164
	v_xor_b32_e32 v165, s21, v165
	ds_load_b32 v144, v63 offset:544
	v_mul_u32_u24_e32 v63, 36, v163
	v_xor_b32_e32 v145, s19, v145
	v_xor_b32_e32 v166, s22, v166
	; wave barrier
	s_delay_alu instid0(VALU_DEP_3) | instskip(NEXT) | instid1(VALU_DEP_3)
	v_add_nc_u32_e32 v163, v114, v63
	v_bitop3_b32 v62, v62, v164, v145 bitop3:0x80
	s_delay_alu instid0(VALU_DEP_1) | instskip(NEXT) | instid1(VALU_DEP_1)
	v_bitop3_b32 v62, v62, v166, v165 bitop3:0x80
	v_mbcnt_lo_u32_b32 v145, v62, 0
	v_cmp_ne_u32_e64 s17, 0, v62
	s_delay_alu instid0(VALU_DEP_2) | instskip(SKIP_1) | instid1(SALU_CYCLE_1)
	v_cmp_eq_u32_e32 vcc_lo, 0, v145
	s_and_b32 s18, s17, vcc_lo
	s_and_saveexec_b32 s17, s18
	s_cbranch_execz .LBB112_454
; %bb.453:                              ;   in Loop: Header=BB112_418 Depth=2
	s_wait_dscnt 0x0
	v_bcnt_u32_b32 v62, v62, v144
	ds_store_b32 v163, v62 offset:544
.LBB112_454:                            ;   in Loop: Header=BB112_418 Depth=2
	s_or_b32 exec_lo, exec_lo, s17
	v_bfe_u32 v62, v143, 16, 8
	; wave barrier
	s_delay_alu instid0(VALU_DEP_1) | instskip(NEXT) | instid1(VALU_DEP_1)
	v_lshrrev_b32_e32 v62, s43, v62
	v_bitop3_b32 v63, v62, 1, s48 bitop3:0x80
	v_and_b32_e32 v166, s48, v62
	s_delay_alu instid0(VALU_DEP_2) | instskip(NEXT) | instid1(VALU_DEP_1)
	v_add_co_u32 v62, s17, v63, -1
	v_cndmask_b32_e64 v63, 0, 1, s17
	s_delay_alu instid0(VALU_DEP_3) | instskip(NEXT) | instid1(VALU_DEP_2)
	v_dual_lshlrev_b32 v164, 30, v166 :: v_dual_lshlrev_b32 v165, 29, v166
	v_cmp_ne_u32_e32 vcc_lo, 0, v63
	s_delay_alu instid0(VALU_DEP_2) | instskip(SKIP_1) | instid1(VALU_DEP_4)
	v_cmp_gt_i32_e64 s17, 0, v164
	v_not_b32_e32 v63, v164
	v_not_b32_e32 v164, v165
	v_cmp_gt_i32_e64 s18, 0, v165
	v_bitop3_b32 v62, vcc_lo, exec_lo, v62 bitop3:0x48
	s_delay_alu instid0(VALU_DEP_3) | instskip(SKIP_2) | instid1(VALU_DEP_2)
	v_dual_ashrrev_i32 v63, 31, v63 :: v_dual_ashrrev_i32 v164, 31, v164
	v_dual_lshlrev_b32 v167, 28, v166 :: v_dual_lshlrev_b32 v168, 27, v166
	v_dual_lshlrev_b32 v169, 26, v166 :: v_dual_lshlrev_b32 v170, 25, v166
	v_cmp_gt_i32_e64 s19, 0, v167
	v_not_b32_e32 v165, v167
	s_delay_alu instid0(VALU_DEP_4) | instskip(SKIP_3) | instid1(VALU_DEP_4)
	v_not_b32_e32 v167, v168
	v_cmp_gt_i32_e64 s20, 0, v168
	v_cmp_gt_i32_e64 s21, 0, v169
	v_not_b32_e32 v168, v169
	v_dual_ashrrev_i32 v165, 31, v165 :: v_dual_ashrrev_i32 v167, 31, v167
	v_xor_b32_e32 v63, s17, v63
	v_not_b32_e32 v169, v170
	v_xor_b32_e32 v164, s18, v164
	s_delay_alu instid0(VALU_DEP_4) | instskip(SKIP_2) | instid1(VALU_DEP_4)
	v_dual_ashrrev_i32 v168, 31, v168 :: v_dual_bitop2_b32 v165, s19, v165 bitop3:0x14
	v_xor_b32_e32 v167, s20, v167
	v_cmp_gt_i32_e32 vcc_lo, 0, v170
	v_bitop3_b32 v62, v62, v164, v63 bitop3:0x80
	v_ashrrev_i32_e32 v63, 31, v169
	v_mad_u32_u24 v164, v166, 36, v114
	v_xor_b32_e32 v168, s21, v168
	s_delay_alu instid0(VALU_DEP_4) | instskip(NEXT) | instid1(VALU_DEP_4)
	v_bitop3_b32 v62, v62, v167, v165 bitop3:0x80
	v_xor_b32_e32 v63, vcc_lo, v63
	ds_load_b32 v164, v164 offset:544
	; wave barrier
	v_bitop3_b32 v62, v62, v63, v168 bitop3:0x80
	v_mul_u32_u24_e32 v63, 36, v166
	s_delay_alu instid0(VALU_DEP_2) | instskip(SKIP_1) | instid1(VALU_DEP_3)
	v_mbcnt_lo_u32_b32 v165, v62, 0
	v_cmp_ne_u32_e64 s17, 0, v62
	v_add_nc_u32_e32 v167, v114, v63
	s_delay_alu instid0(VALU_DEP_3) | instskip(SKIP_1) | instid1(SALU_CYCLE_1)
	v_cmp_eq_u32_e32 vcc_lo, 0, v165
	s_and_b32 s18, s17, vcc_lo
	s_and_saveexec_b32 s17, s18
	s_cbranch_execz .LBB112_456
; %bb.455:                              ;   in Loop: Header=BB112_418 Depth=2
	s_wait_dscnt 0x0
	v_bcnt_u32_b32 v62, v62, v164
	ds_store_b32 v167, v62 offset:544
.LBB112_456:                            ;   in Loop: Header=BB112_418 Depth=2
	s_or_b32 exec_lo, exec_lo, s17
	v_lshrrev_b32_e32 v166, 24, v143
	; wave barrier
	s_delay_alu instid0(VALU_DEP_1) | instskip(NEXT) | instid1(VALU_DEP_1)
	v_lshrrev_b32_e32 v62, s43, v166
	v_bitop3_b32 v63, v62, 1, s48 bitop3:0x80
	v_and_b32_e32 v170, s48, v62
	s_delay_alu instid0(VALU_DEP_2) | instskip(NEXT) | instid1(VALU_DEP_1)
	v_add_co_u32 v62, s17, v63, -1
	v_cndmask_b32_e64 v63, 0, 1, s17
	s_delay_alu instid0(VALU_DEP_3) | instskip(SKIP_1) | instid1(VALU_DEP_3)
	v_dual_lshlrev_b32 v168, 30, v170 :: v_dual_lshlrev_b32 v169, 29, v170
	v_dual_lshlrev_b32 v171, 28, v170 :: v_dual_lshlrev_b32 v172, 27, v170
	v_cmp_ne_u32_e32 vcc_lo, 0, v63
	s_delay_alu instid0(VALU_DEP_3)
	v_cmp_gt_i32_e64 s17, 0, v168
	v_not_b32_e32 v63, v168
	v_not_b32_e32 v168, v169
	v_dual_lshlrev_b32 v173, 26, v170 :: v_dual_lshlrev_b32 v174, 25, v170
	v_cmp_gt_i32_e64 s18, 0, v169
	v_cmp_gt_i32_e64 s19, 0, v171
	v_not_b32_e32 v169, v171
	v_not_b32_e32 v171, v172
	v_dual_ashrrev_i32 v63, 31, v63 :: v_dual_ashrrev_i32 v168, 31, v168
	v_cmp_gt_i32_e64 s20, 0, v172
	v_cmp_gt_i32_e64 s21, 0, v173
	v_not_b32_e32 v172, v173
	v_bitop3_b32 v62, vcc_lo, exec_lo, v62 bitop3:0x48
	v_dual_ashrrev_i32 v169, 31, v169 :: v_dual_ashrrev_i32 v171, 31, v171
	v_xor_b32_e32 v168, s18, v168
	s_delay_alu instid0(VALU_DEP_4) | instskip(SKIP_1) | instid1(VALU_DEP_4)
	v_dual_ashrrev_i32 v172, 31, v172 :: v_dual_bitop2_b32 v63, s17, v63 bitop3:0x14
	v_not_b32_e32 v173, v174
	v_xor_b32_e32 v169, s19, v169
	v_xor_b32_e32 v171, s20, v171
	s_delay_alu instid0(VALU_DEP_4)
	v_bitop3_b32 v62, v62, v168, v63 bitop3:0x80
	v_cmp_gt_i32_e32 vcc_lo, 0, v174
	v_ashrrev_i32_e32 v63, 31, v173
	v_mad_u32_u24 v168, v170, 36, v114
	v_xor_b32_e32 v172, s21, v172
	v_bitop3_b32 v62, v62, v171, v169 bitop3:0x80
	s_delay_alu instid0(VALU_DEP_4) | instskip(SKIP_3) | instid1(VALU_DEP_2)
	v_xor_b32_e32 v63, vcc_lo, v63
	ds_load_b32 v168, v168 offset:544
	; wave barrier
	v_bitop3_b32 v62, v62, v63, v172 bitop3:0x80
	v_mul_u32_u24_e32 v63, 36, v170
	v_mbcnt_lo_u32_b32 v169, v62, 0
	v_cmp_ne_u32_e64 s17, 0, v62
	s_delay_alu instid0(VALU_DEP_3) | instskip(NEXT) | instid1(VALU_DEP_3)
	v_add_nc_u32_e32 v170, v114, v63
	v_cmp_eq_u32_e32 vcc_lo, 0, v169
	s_and_b32 s18, s17, vcc_lo
	s_delay_alu instid0(SALU_CYCLE_1)
	s_and_saveexec_b32 s17, s18
	s_cbranch_execz .LBB112_458
; %bb.457:                              ;   in Loop: Header=BB112_418 Depth=2
	s_wait_dscnt 0x0
	v_bcnt_u32_b32 v62, v62, v168
	ds_store_b32 v170, v62 offset:544
.LBB112_458:                            ;   in Loop: Header=BB112_418 Depth=2
	s_or_b32 exec_lo, exec_lo, s17
	v_bitop3_b16 v62, v138, 0xff, v138 bitop3:0xc
	; wave barrier
	s_delay_alu instid0(VALU_DEP_1) | instskip(NEXT) | instid1(VALU_DEP_1)
	v_and_b32_e32 v62, 0xffff, v62
	v_lshrrev_b32_e32 v62, s43, v62
	s_delay_alu instid0(VALU_DEP_1) | instskip(NEXT) | instid1(VALU_DEP_1)
	v_and_b32_e32 v173, s48, v62
	v_lshlrev_b32_e32 v171, 30, v173
	v_bitop3_b32 v63, v62, 1, s48 bitop3:0x80
	s_delay_alu instid0(VALU_DEP_1) | instskip(NEXT) | instid1(VALU_DEP_1)
	v_add_co_u32 v62, s17, v63, -1
	v_cndmask_b32_e64 v63, 0, 1, s17
	s_delay_alu instid0(VALU_DEP_4) | instskip(NEXT) | instid1(VALU_DEP_2)
	v_cmp_gt_i32_e64 s17, 0, v171
	v_cmp_ne_u32_e32 vcc_lo, 0, v63
	v_not_b32_e32 v63, v171
	v_bitop3_b32 v62, vcc_lo, exec_lo, v62 bitop3:0x48
	s_delay_alu instid0(VALU_DEP_2) | instskip(SKIP_2) | instid1(VALU_DEP_3)
	v_dual_ashrrev_i32 v63, 31, v63 :: v_dual_lshlrev_b32 v172, 29, v173
	v_dual_lshlrev_b32 v174, 28, v173 :: v_dual_lshlrev_b32 v175, 27, v173
	v_lshlrev_b32_e32 v176, 26, v173
	v_not_b32_e32 v171, v172
	v_lshlrev_b32_e32 v177, 25, v173
	v_cmp_gt_i32_e64 s18, 0, v172
	v_cmp_gt_i32_e64 s19, 0, v174
	v_not_b32_e32 v172, v174
	v_ashrrev_i32_e32 v171, 31, v171
	v_cmp_gt_i32_e64 s20, 0, v175
	v_not_b32_e32 v174, v175
	v_cmp_gt_i32_e64 s21, 0, v176
	v_not_b32_e32 v175, v176
	v_not_b32_e32 v176, v177
	v_xor_b32_e32 v63, s17, v63
	v_dual_ashrrev_i32 v172, 31, v172 :: v_dual_bitop2_b32 v171, s18, v171 bitop3:0x14
	s_delay_alu instid0(VALU_DEP_3) | instskip(SKIP_1) | instid1(VALU_DEP_3)
	v_dual_ashrrev_i32 v174, 31, v174 :: v_dual_ashrrev_i32 v176, 31, v176
	v_cmp_gt_i32_e64 s22, 0, v177
	v_bitop3_b32 v62, v62, v171, v63 bitop3:0x80
	v_mad_u32_u24 v63, v173, 36, v114
	v_dual_ashrrev_i32 v175, 31, v175 :: v_dual_bitop2_b32 v172, s19, v172 bitop3:0x14
	s_delay_alu instid0(VALU_DEP_4) | instskip(SKIP_4) | instid1(VALU_DEP_3)
	v_xor_b32_e32 v176, s22, v176
	ds_load_b32 v171, v63 offset:544
	v_mul_u32_u24_e32 v63, 36, v173
	v_xor_b32_e32 v174, s20, v174
	v_xor_b32_e32 v175, s21, v175
	; wave barrier
	v_add_nc_u32_e32 v173, v114, v63
	s_delay_alu instid0(VALU_DEP_3) | instskip(NEXT) | instid1(VALU_DEP_1)
	v_bitop3_b32 v62, v62, v174, v172 bitop3:0x80
	v_bitop3_b32 v62, v62, v176, v175 bitop3:0x80
	s_delay_alu instid0(VALU_DEP_1) | instskip(SKIP_1) | instid1(VALU_DEP_2)
	v_mbcnt_lo_u32_b32 v172, v62, 0
	v_cmp_ne_u32_e64 s17, 0, v62
	v_cmp_eq_u32_e32 vcc_lo, 0, v172
	s_and_b32 s18, s17, vcc_lo
	s_delay_alu instid0(SALU_CYCLE_1)
	s_and_saveexec_b32 s17, s18
	s_cbranch_execz .LBB112_460
; %bb.459:                              ;   in Loop: Header=BB112_418 Depth=2
	s_wait_dscnt 0x0
	v_bcnt_u32_b32 v62, v62, v171
	ds_store_b32 v173, v62 offset:544
.LBB112_460:                            ;   in Loop: Header=BB112_418 Depth=2
	s_or_b32 exec_lo, exec_lo, s17
	v_xor_b32_e32 v62, -1, v140
	v_xor_b32_e32 v63, -1, v141
	; wave barrier
	s_delay_alu instid0(VALU_DEP_2) | instskip(NEXT) | instid1(VALU_DEP_2)
	v_lshlrev_b16 v62, 8, v62
	v_lshlrev_b16 v63, 8, v63
	s_delay_alu instid0(VALU_DEP_2) | instskip(NEXT) | instid1(VALU_DEP_2)
	v_bitop3_b16 v138, v138, v62, 0xff bitop3:0xce
	v_bitop3_b16 v62, v139, v63, 0xff bitop3:0xce
	s_delay_alu instid0(VALU_DEP_2) | instskip(NEXT) | instid1(VALU_DEP_2)
	v_and_b32_e32 v63, 0xffff, v138
	v_lshlrev_b32_e32 v62, 16, v62
	s_delay_alu instid0(VALU_DEP_1) | instskip(NEXT) | instid1(VALU_DEP_1)
	v_or_b32_e32 v139, v63, v62
	v_bfe_u32 v62, v139, 8, 8
	s_delay_alu instid0(VALU_DEP_1) | instskip(NEXT) | instid1(VALU_DEP_1)
	v_lshrrev_b32_e32 v62, s43, v62
	v_bitop3_b32 v63, v62, 1, s48 bitop3:0x80
	v_and_b32_e32 v174, s48, v62
	s_delay_alu instid0(VALU_DEP_2) | instskip(NEXT) | instid1(VALU_DEP_1)
	v_add_co_u32 v62, s17, v63, -1
	v_cndmask_b32_e64 v63, 0, 1, s17
	s_delay_alu instid0(VALU_DEP_3) | instskip(NEXT) | instid1(VALU_DEP_2)
	v_lshlrev_b32_e32 v140, 30, v174
	v_cmp_ne_u32_e32 vcc_lo, 0, v63
	s_delay_alu instid0(VALU_DEP_2) | instskip(SKIP_2) | instid1(VALU_DEP_3)
	v_not_b32_e32 v63, v140
	v_cmp_gt_i32_e64 s17, 0, v140
	v_bitop3_b32 v62, vcc_lo, exec_lo, v62 bitop3:0x48
	v_dual_ashrrev_i32 v63, 31, v63 :: v_dual_lshlrev_b32 v141, 29, v174
	v_dual_lshlrev_b32 v175, 28, v174 :: v_dual_lshlrev_b32 v176, 27, v174
	v_lshlrev_b32_e32 v177, 26, v174
	s_delay_alu instid0(VALU_DEP_3)
	v_not_b32_e32 v140, v141
	v_lshlrev_b32_e32 v178, 25, v174
	v_cmp_gt_i32_e64 s18, 0, v141
	v_cmp_gt_i32_e64 s19, 0, v175
	v_not_b32_e32 v141, v175
	v_ashrrev_i32_e32 v140, 31, v140
	v_cmp_gt_i32_e64 s20, 0, v176
	v_not_b32_e32 v175, v176
	v_cmp_gt_i32_e64 s21, 0, v177
	v_not_b32_e32 v176, v177
	v_not_b32_e32 v177, v178
	v_xor_b32_e32 v63, s17, v63
	v_dual_ashrrev_i32 v141, 31, v141 :: v_dual_bitop2_b32 v140, s18, v140 bitop3:0x14
	s_delay_alu instid0(VALU_DEP_4) | instskip(NEXT) | instid1(VALU_DEP_4)
	v_dual_ashrrev_i32 v175, 31, v175 :: v_dual_ashrrev_i32 v176, 31, v176
	v_ashrrev_i32_e32 v177, 31, v177
	s_delay_alu instid0(VALU_DEP_3)
	v_bitop3_b32 v62, v62, v140, v63 bitop3:0x80
	v_mad_u32_u24 v63, v174, 36, v114
	v_cmp_gt_i32_e64 s22, 0, v178
	v_xor_b32_e32 v175, s20, v175
	v_xor_b32_e32 v176, s21, v176
	ds_load_b32 v140, v63 offset:544
	v_mul_u32_u24_e32 v63, 36, v174
	v_xor_b32_e32 v141, s19, v141
	v_xor_b32_e32 v177, s22, v177
	; wave barrier
	s_delay_alu instid0(VALU_DEP_3) | instskip(NEXT) | instid1(VALU_DEP_3)
	v_add_nc_u32_e32 v174, v114, v63
	v_bitop3_b32 v62, v62, v175, v141 bitop3:0x80
	s_delay_alu instid0(VALU_DEP_1) | instskip(NEXT) | instid1(VALU_DEP_1)
	v_bitop3_b32 v62, v62, v177, v176 bitop3:0x80
	v_mbcnt_lo_u32_b32 v141, v62, 0
	v_cmp_ne_u32_e64 s17, 0, v62
	s_delay_alu instid0(VALU_DEP_2) | instskip(SKIP_1) | instid1(SALU_CYCLE_1)
	v_cmp_eq_u32_e32 vcc_lo, 0, v141
	s_and_b32 s18, s17, vcc_lo
	s_and_saveexec_b32 s17, s18
	s_cbranch_execz .LBB112_462
; %bb.461:                              ;   in Loop: Header=BB112_418 Depth=2
	s_wait_dscnt 0x0
	v_bcnt_u32_b32 v62, v62, v140
	ds_store_b32 v174, v62 offset:544
.LBB112_462:                            ;   in Loop: Header=BB112_418 Depth=2
	s_or_b32 exec_lo, exec_lo, s17
	v_bfe_u32 v62, v139, 16, 8
	; wave barrier
	s_delay_alu instid0(VALU_DEP_1) | instskip(NEXT) | instid1(VALU_DEP_1)
	v_lshrrev_b32_e32 v62, s43, v62
	v_and_b32_e32 v177, s48, v62
	s_delay_alu instid0(VALU_DEP_1) | instskip(SKIP_1) | instid1(VALU_DEP_1)
	v_lshlrev_b32_e32 v175, 30, v177
	v_bitop3_b32 v63, v62, 1, s48 bitop3:0x80
	v_add_co_u32 v62, s17, v63, -1
	s_delay_alu instid0(VALU_DEP_1) | instskip(NEXT) | instid1(VALU_DEP_4)
	v_cndmask_b32_e64 v63, 0, 1, s17
	v_cmp_gt_i32_e64 s17, 0, v175
	s_delay_alu instid0(VALU_DEP_2) | instskip(SKIP_2) | instid1(VALU_DEP_2)
	v_cmp_ne_u32_e32 vcc_lo, 0, v63
	v_not_b32_e32 v63, v175
	v_bitop3_b32 v62, vcc_lo, exec_lo, v62 bitop3:0x48
	v_dual_ashrrev_i32 v63, 31, v63 :: v_dual_lshlrev_b32 v176, 29, v177
	v_dual_lshlrev_b32 v178, 28, v177 :: v_dual_lshlrev_b32 v179, 27, v177
	s_delay_alu instid0(VALU_DEP_2) | instskip(NEXT) | instid1(VALU_DEP_3)
	v_dual_lshlrev_b32 v180, 26, v177 :: v_dual_bitop2_b32 v63, s17, v63 bitop3:0x14
	v_not_b32_e32 v175, v176
	v_lshlrev_b32_e32 v181, 25, v177
	v_cmp_gt_i32_e64 s18, 0, v176
	v_cmp_gt_i32_e64 s19, 0, v178
	v_not_b32_e32 v176, v178
	v_not_b32_e32 v178, v179
	v_ashrrev_i32_e32 v175, 31, v175
	v_cmp_gt_i32_e64 s20, 0, v179
	v_cmp_gt_i32_e64 s21, 0, v180
	v_not_b32_e32 v179, v180
	v_dual_ashrrev_i32 v176, 31, v176 :: v_dual_ashrrev_i32 v178, 31, v178
	v_not_b32_e32 v180, v181
	v_xor_b32_e32 v175, s18, v175
	s_delay_alu instid0(VALU_DEP_3) | instskip(NEXT) | instid1(VALU_DEP_4)
	v_dual_ashrrev_i32 v179, 31, v179 :: v_dual_bitop2_b32 v176, s19, v176 bitop3:0x14
	v_xor_b32_e32 v178, s20, v178
	v_cmp_gt_i32_e32 vcc_lo, 0, v181
	s_delay_alu instid0(VALU_DEP_4) | instskip(SKIP_3) | instid1(VALU_DEP_4)
	v_bitop3_b32 v62, v62, v175, v63 bitop3:0x80
	v_ashrrev_i32_e32 v63, 31, v180
	v_mad_u32_u24 v175, v177, 36, v114
	v_xor_b32_e32 v179, s21, v179
	v_bitop3_b32 v62, v62, v178, v176 bitop3:0x80
	s_delay_alu instid0(VALU_DEP_4) | instskip(SKIP_3) | instid1(VALU_DEP_2)
	v_xor_b32_e32 v63, vcc_lo, v63
	ds_load_b32 v175, v175 offset:544
	; wave barrier
	v_bitop3_b32 v62, v62, v63, v179 bitop3:0x80
	v_mul_u32_u24_e32 v63, 36, v177
	v_mbcnt_lo_u32_b32 v176, v62, 0
	v_cmp_ne_u32_e64 s17, 0, v62
	s_delay_alu instid0(VALU_DEP_3) | instskip(NEXT) | instid1(VALU_DEP_3)
	v_add_nc_u32_e32 v178, v114, v63
	v_cmp_eq_u32_e32 vcc_lo, 0, v176
	s_and_b32 s18, s17, vcc_lo
	s_delay_alu instid0(SALU_CYCLE_1)
	s_and_saveexec_b32 s17, s18
	s_cbranch_execz .LBB112_464
; %bb.463:                              ;   in Loop: Header=BB112_418 Depth=2
	s_wait_dscnt 0x0
	v_bcnt_u32_b32 v62, v62, v175
	ds_store_b32 v178, v62 offset:544
.LBB112_464:                            ;   in Loop: Header=BB112_418 Depth=2
	s_or_b32 exec_lo, exec_lo, s17
	v_lshrrev_b32_e32 v177, 24, v139
	; wave barrier
	s_delay_alu instid0(VALU_DEP_1) | instskip(NEXT) | instid1(VALU_DEP_1)
	v_lshrrev_b32_e32 v62, s43, v177
	v_bitop3_b32 v63, v62, 1, s48 bitop3:0x80
	v_and_b32_e32 v181, s48, v62
	s_delay_alu instid0(VALU_DEP_2) | instskip(NEXT) | instid1(VALU_DEP_1)
	v_add_co_u32 v62, s17, v63, -1
	v_cndmask_b32_e64 v63, 0, 1, s17
	s_delay_alu instid0(VALU_DEP_3) | instskip(SKIP_1) | instid1(VALU_DEP_3)
	v_dual_lshlrev_b32 v179, 30, v181 :: v_dual_lshlrev_b32 v180, 29, v181
	v_dual_lshlrev_b32 v182, 28, v181 :: v_dual_lshlrev_b32 v183, 27, v181
	v_cmp_ne_u32_e32 vcc_lo, 0, v63
	s_delay_alu instid0(VALU_DEP_3)
	v_cmp_gt_i32_e64 s17, 0, v179
	v_not_b32_e32 v63, v179
	v_not_b32_e32 v179, v180
	v_dual_lshlrev_b32 v184, 26, v181 :: v_dual_lshlrev_b32 v185, 25, v181
	v_cmp_gt_i32_e64 s18, 0, v180
	v_cmp_gt_i32_e64 s19, 0, v182
	v_not_b32_e32 v180, v182
	v_not_b32_e32 v182, v183
	v_ashrrev_i32_e32 v63, 31, v63
	v_ashrrev_i32_e32 v179, 31, v179
	v_cmp_gt_i32_e64 s20, 0, v183
	v_cmp_gt_i32_e64 s21, 0, v184
	v_not_b32_e32 v183, v184
	v_bitop3_b32 v62, vcc_lo, exec_lo, v62 bitop3:0x48
	v_dual_ashrrev_i32 v180, 31, v180 :: v_dual_ashrrev_i32 v182, 31, v182
	v_xor_b32_e32 v63, s17, v63
	v_not_b32_e32 v184, v185
	v_xor_b32_e32 v179, s18, v179
	s_delay_alu instid0(VALU_DEP_4) | instskip(SKIP_2) | instid1(VALU_DEP_4)
	v_dual_ashrrev_i32 v183, 31, v183 :: v_dual_bitop2_b32 v180, s19, v180 bitop3:0x14
	v_xor_b32_e32 v182, s20, v182
	v_cmp_gt_i32_e32 vcc_lo, 0, v185
	v_bitop3_b32 v62, v62, v179, v63 bitop3:0x80
	v_ashrrev_i32_e32 v63, 31, v184
	v_mad_u32_u24 v179, v181, 36, v114
	v_xor_b32_e32 v183, s21, v183
	s_delay_alu instid0(VALU_DEP_4) | instskip(NEXT) | instid1(VALU_DEP_4)
	v_bitop3_b32 v62, v62, v182, v180 bitop3:0x80
	v_xor_b32_e32 v63, vcc_lo, v63
	ds_load_b32 v179, v179 offset:544
	; wave barrier
	v_bitop3_b32 v62, v62, v63, v183 bitop3:0x80
	v_mul_u32_u24_e32 v63, 36, v181
	s_delay_alu instid0(VALU_DEP_2) | instskip(SKIP_1) | instid1(VALU_DEP_3)
	v_mbcnt_lo_u32_b32 v180, v62, 0
	v_cmp_ne_u32_e64 s17, 0, v62
	v_add_nc_u32_e32 v181, v114, v63
	s_delay_alu instid0(VALU_DEP_3) | instskip(SKIP_1) | instid1(SALU_CYCLE_1)
	v_cmp_eq_u32_e32 vcc_lo, 0, v180
	s_and_b32 s18, s17, vcc_lo
	s_and_saveexec_b32 s17, s18
	s_cbranch_execz .LBB112_466
; %bb.465:                              ;   in Loop: Header=BB112_418 Depth=2
	s_wait_dscnt 0x0
	v_bcnt_u32_b32 v62, v62, v179
	ds_store_b32 v181, v62 offset:544
.LBB112_466:                            ;   in Loop: Header=BB112_418 Depth=2
	s_or_b32 exec_lo, exec_lo, s17
	v_bitop3_b16 v62, v64, 0xff, v64 bitop3:0xc
	; wave barrier
	s_delay_alu instid0(VALU_DEP_1) | instskip(NEXT) | instid1(VALU_DEP_1)
	v_and_b32_e32 v62, 0xffff, v62
	v_lshrrev_b32_e32 v62, s43, v62
	s_delay_alu instid0(VALU_DEP_1) | instskip(NEXT) | instid1(VALU_DEP_1)
	v_and_b32_e32 v184, s48, v62
	v_lshlrev_b32_e32 v182, 30, v184
	v_bitop3_b32 v63, v62, 1, s48 bitop3:0x80
	s_delay_alu instid0(VALU_DEP_1) | instskip(NEXT) | instid1(VALU_DEP_1)
	v_add_co_u32 v62, s17, v63, -1
	v_cndmask_b32_e64 v63, 0, 1, s17
	s_delay_alu instid0(VALU_DEP_4) | instskip(NEXT) | instid1(VALU_DEP_2)
	v_cmp_gt_i32_e64 s17, 0, v182
	v_cmp_ne_u32_e32 vcc_lo, 0, v63
	v_not_b32_e32 v63, v182
	v_bitop3_b32 v62, vcc_lo, exec_lo, v62 bitop3:0x48
	s_delay_alu instid0(VALU_DEP_2) | instskip(SKIP_2) | instid1(VALU_DEP_3)
	v_dual_ashrrev_i32 v63, 31, v63 :: v_dual_lshlrev_b32 v183, 29, v184
	v_dual_lshlrev_b32 v185, 28, v184 :: v_dual_lshlrev_b32 v186, 27, v184
	v_lshlrev_b32_e32 v187, 26, v184
	v_not_b32_e32 v182, v183
	v_lshlrev_b32_e32 v188, 25, v184
	v_cmp_gt_i32_e64 s18, 0, v183
	v_cmp_gt_i32_e64 s19, 0, v185
	v_not_b32_e32 v183, v185
	v_not_b32_e32 v185, v186
	v_ashrrev_i32_e32 v182, 31, v182
	v_cmp_gt_i32_e64 s20, 0, v186
	v_cmp_gt_i32_e64 s21, 0, v187
	v_not_b32_e32 v186, v187
	v_not_b32_e32 v187, v188
	v_dual_ashrrev_i32 v183, 31, v183 :: v_dual_ashrrev_i32 v185, 31, v185
	s_delay_alu instid0(VALU_DEP_3) | instskip(NEXT) | instid1(VALU_DEP_3)
	v_dual_ashrrev_i32 v186, 31, v186 :: v_dual_bitop2_b32 v63, s17, v63 bitop3:0x14
	v_dual_ashrrev_i32 v187, 31, v187 :: v_dual_bitop2_b32 v182, s18, v182 bitop3:0x14
	v_cmp_gt_i32_e64 s22, 0, v188
	s_delay_alu instid0(VALU_DEP_4) | instskip(SKIP_1) | instid1(VALU_DEP_4)
	v_xor_b32_e32 v183, s19, v183
	v_xor_b32_e32 v185, s20, v185
	v_bitop3_b32 v62, v62, v182, v63 bitop3:0x80
	v_mad_u32_u24 v63, v184, 36, v114
	v_xor_b32_e32 v187, s22, v187
	s_delay_alu instid0(VALU_DEP_3) | instskip(SKIP_3) | instid1(VALU_DEP_2)
	v_bitop3_b32 v62, v62, v185, v183 bitop3:0x80
	ds_load_b32 v182, v63 offset:544
	v_mul_u32_u24_e32 v63, 36, v184
	v_xor_b32_e32 v186, s21, v186
	; wave barrier
	v_add_nc_u32_e32 v185, v114, v63
	s_delay_alu instid0(VALU_DEP_2) | instskip(NEXT) | instid1(VALU_DEP_1)
	v_bitop3_b32 v62, v62, v187, v186 bitop3:0x80
	v_mbcnt_lo_u32_b32 v183, v62, 0
	v_cmp_ne_u32_e64 s17, 0, v62
	s_delay_alu instid0(VALU_DEP_2) | instskip(SKIP_1) | instid1(SALU_CYCLE_1)
	v_cmp_eq_u32_e32 vcc_lo, 0, v183
	s_and_b32 s18, s17, vcc_lo
	s_and_saveexec_b32 s17, s18
	s_cbranch_execz .LBB112_468
; %bb.467:                              ;   in Loop: Header=BB112_418 Depth=2
	s_wait_dscnt 0x0
	v_bcnt_u32_b32 v62, v62, v182
	ds_store_b32 v185, v62 offset:544
.LBB112_468:                            ;   in Loop: Header=BB112_418 Depth=2
	s_or_b32 exec_lo, exec_lo, s17
	v_xor_b32_e32 v62, -1, v135
	v_xor_b32_e32 v63, -1, v136
	; wave barrier
	s_delay_alu instid0(VALU_DEP_2) | instskip(NEXT) | instid1(VALU_DEP_2)
	v_lshlrev_b16 v62, 8, v62
	v_lshlrev_b16 v63, 8, v63
	s_delay_alu instid0(VALU_DEP_2) | instskip(NEXT) | instid1(VALU_DEP_2)
	v_bitop3_b16 v184, v64, v62, 0xff bitop3:0xce
	v_bitop3_b16 v62, v65, v63, 0xff bitop3:0xce
	s_delay_alu instid0(VALU_DEP_2) | instskip(NEXT) | instid1(VALU_DEP_2)
	v_and_b32_e32 v63, 0xffff, v184
	v_lshlrev_b32_e32 v62, 16, v62
	s_delay_alu instid0(VALU_DEP_1) | instskip(NEXT) | instid1(VALU_DEP_1)
	v_or_b32_e32 v135, v63, v62
	v_bfe_u32 v62, v135, 8, 8
	s_delay_alu instid0(VALU_DEP_1) | instskip(NEXT) | instid1(VALU_DEP_1)
	v_lshrrev_b32_e32 v62, s43, v62
	v_bitop3_b32 v63, v62, 1, s48 bitop3:0x80
	v_and_b32_e32 v64, s48, v62
	s_delay_alu instid0(VALU_DEP_2) | instskip(NEXT) | instid1(VALU_DEP_1)
	v_add_co_u32 v62, s17, v63, -1
	v_cndmask_b32_e64 v63, 0, 1, s17
	s_delay_alu instid0(VALU_DEP_3) | instskip(NEXT) | instid1(VALU_DEP_2)
	v_lshlrev_b32_e32 v65, 30, v64
	v_cmp_ne_u32_e32 vcc_lo, 0, v63
	s_delay_alu instid0(VALU_DEP_2) | instskip(SKIP_2) | instid1(VALU_DEP_3)
	v_not_b32_e32 v63, v65
	v_cmp_gt_i32_e64 s17, 0, v65
	v_bitop3_b32 v62, vcc_lo, exec_lo, v62 bitop3:0x48
	v_dual_ashrrev_i32 v63, 31, v63 :: v_dual_lshlrev_b32 v136, 29, v64
	v_dual_lshlrev_b32 v186, 28, v64 :: v_dual_lshlrev_b32 v187, 27, v64
	v_lshlrev_b32_e32 v188, 26, v64
	s_delay_alu instid0(VALU_DEP_3)
	v_not_b32_e32 v65, v136
	v_lshlrev_b32_e32 v189, 25, v64
	v_cmp_gt_i32_e64 s18, 0, v136
	v_cmp_gt_i32_e64 s19, 0, v186
	v_not_b32_e32 v136, v186
	v_not_b32_e32 v186, v187
	v_ashrrev_i32_e32 v65, 31, v65
	v_cmp_gt_i32_e64 s20, 0, v187
	v_cmp_gt_i32_e64 s21, 0, v188
	v_not_b32_e32 v187, v188
	v_not_b32_e32 v188, v189
	v_dual_ashrrev_i32 v136, 31, v136 :: v_dual_ashrrev_i32 v186, 31, v186
	v_xor_b32_e32 v63, s17, v63
	s_delay_alu instid0(VALU_DEP_4)
	v_dual_ashrrev_i32 v187, 31, v187 :: v_dual_bitop2_b32 v65, s18, v65 bitop3:0x14
	v_cmp_gt_i32_e64 s22, 0, v189
	v_ashrrev_i32_e32 v188, 31, v188
	v_xor_b32_e32 v136, s19, v136
	v_xor_b32_e32 v186, s20, v186
	v_bitop3_b32 v62, v62, v65, v63 bitop3:0x80
	v_mad_u32_u24 v63, v64, 36, v114
	v_xor_b32_e32 v65, s21, v187
	v_xor_b32_e32 v187, s22, v188
	s_delay_alu instid0(VALU_DEP_4) | instskip(SKIP_3) | instid1(VALU_DEP_2)
	v_bitop3_b32 v62, v62, v186, v136 bitop3:0x80
	ds_load_b32 v136, v63 offset:544
	v_mul_u32_u24_e32 v63, 36, v64
	; wave barrier
	v_bitop3_b32 v62, v62, v187, v65 bitop3:0x80
	v_add_nc_u32_e32 v187, v114, v63
	s_delay_alu instid0(VALU_DEP_2) | instskip(SKIP_1) | instid1(VALU_DEP_2)
	v_mbcnt_lo_u32_b32 v186, v62, 0
	v_cmp_ne_u32_e64 s17, 0, v62
	v_cmp_eq_u32_e32 vcc_lo, 0, v186
	s_and_b32 s18, s17, vcc_lo
	s_delay_alu instid0(SALU_CYCLE_1)
	s_and_saveexec_b32 s17, s18
	s_cbranch_execz .LBB112_470
; %bb.469:                              ;   in Loop: Header=BB112_418 Depth=2
	s_wait_dscnt 0x0
	v_bcnt_u32_b32 v62, v62, v136
	ds_store_b32 v187, v62 offset:544
.LBB112_470:                            ;   in Loop: Header=BB112_418 Depth=2
	s_or_b32 exec_lo, exec_lo, s17
	v_bfe_u32 v62, v135, 16, 8
	; wave barrier
	s_delay_alu instid0(VALU_DEP_1) | instskip(NEXT) | instid1(VALU_DEP_1)
	v_lshrrev_b32_e32 v62, s43, v62
	v_and_b32_e32 v64, s48, v62
	s_delay_alu instid0(VALU_DEP_1) | instskip(SKIP_1) | instid1(VALU_DEP_1)
	v_lshlrev_b32_e32 v65, 30, v64
	v_bitop3_b32 v63, v62, 1, s48 bitop3:0x80
	v_add_co_u32 v62, s17, v63, -1
	s_delay_alu instid0(VALU_DEP_1) | instskip(NEXT) | instid1(VALU_DEP_4)
	v_cndmask_b32_e64 v63, 0, 1, s17
	v_cmp_gt_i32_e64 s17, 0, v65
	s_delay_alu instid0(VALU_DEP_2) | instskip(SKIP_2) | instid1(VALU_DEP_2)
	v_cmp_ne_u32_e32 vcc_lo, 0, v63
	v_not_b32_e32 v63, v65
	v_bitop3_b32 v62, vcc_lo, exec_lo, v62 bitop3:0x48
	v_dual_ashrrev_i32 v63, 31, v63 :: v_dual_lshlrev_b32 v188, 29, v64
	v_dual_lshlrev_b32 v189, 28, v64 :: v_dual_lshlrev_b32 v190, 27, v64
	v_lshlrev_b32_e32 v191, 26, v64
	s_delay_alu instid0(VALU_DEP_3)
	v_not_b32_e32 v65, v188
	v_lshlrev_b32_e32 v192, 25, v64
	v_cmp_gt_i32_e64 s18, 0, v188
	v_cmp_gt_i32_e64 s19, 0, v189
	v_not_b32_e32 v188, v189
	v_not_b32_e32 v189, v190
	v_ashrrev_i32_e32 v65, 31, v65
	v_cmp_gt_i32_e64 s20, 0, v190
	v_cmp_gt_i32_e64 s21, 0, v191
	v_not_b32_e32 v190, v191
	v_dual_ashrrev_i32 v188, 31, v188 :: v_dual_ashrrev_i32 v189, 31, v189
	v_xor_b32_e32 v63, s17, v63
	v_not_b32_e32 v191, v192
	s_delay_alu instid0(VALU_DEP_4) | instskip(NEXT) | instid1(VALU_DEP_4)
	v_dual_ashrrev_i32 v190, 31, v190 :: v_dual_bitop2_b32 v65, s18, v65 bitop3:0x14
	v_xor_b32_e32 v188, s19, v188
	v_xor_b32_e32 v189, s20, v189
	v_cmp_gt_i32_e32 vcc_lo, 0, v192
	s_delay_alu instid0(VALU_DEP_4) | instskip(SKIP_3) | instid1(VALU_DEP_4)
	v_bitop3_b32 v62, v62, v65, v63 bitop3:0x80
	v_ashrrev_i32_e32 v63, 31, v191
	v_mad_u32_u24 v65, v64, 36, v114
	v_xor_b32_e32 v190, s21, v190
	v_bitop3_b32 v62, v62, v189, v188 bitop3:0x80
	s_delay_alu instid0(VALU_DEP_4) | instskip(SKIP_3) | instid1(VALU_DEP_2)
	v_xor_b32_e32 v63, vcc_lo, v63
	ds_load_b32 v188, v65 offset:544
	; wave barrier
	v_bitop3_b32 v62, v62, v63, v190 bitop3:0x80
	v_mul_u32_u24_e32 v63, 36, v64
	v_mbcnt_lo_u32_b32 v189, v62, 0
	v_cmp_ne_u32_e64 s17, 0, v62
	s_delay_alu instid0(VALU_DEP_3) | instskip(NEXT) | instid1(VALU_DEP_3)
	v_add_nc_u32_e32 v191, v114, v63
	v_cmp_eq_u32_e32 vcc_lo, 0, v189
	s_and_b32 s18, s17, vcc_lo
	s_delay_alu instid0(SALU_CYCLE_1)
	s_and_saveexec_b32 s17, s18
	s_cbranch_execz .LBB112_472
; %bb.471:                              ;   in Loop: Header=BB112_418 Depth=2
	s_wait_dscnt 0x0
	v_bcnt_u32_b32 v62, v62, v188
	ds_store_b32 v191, v62 offset:544
.LBB112_472:                            ;   in Loop: Header=BB112_418 Depth=2
	s_or_b32 exec_lo, exec_lo, s17
	v_lshrrev_b32_e32 v190, 24, v135
	; wave barrier
	s_delay_alu instid0(VALU_DEP_1) | instskip(NEXT) | instid1(VALU_DEP_1)
	v_lshrrev_b32_e32 v62, s43, v190
	v_and_b32_e32 v64, s48, v62
	s_delay_alu instid0(VALU_DEP_1) | instskip(SKIP_3) | instid1(VALU_DEP_3)
	v_lshlrev_b32_e32 v65, 30, v64
	v_bitop3_b32 v63, v62, 1, s48 bitop3:0x80
	v_dual_lshlrev_b32 v192, 29, v64 :: v_dual_lshlrev_b32 v193, 28, v64
	v_dual_lshlrev_b32 v194, 27, v64 :: v_dual_lshlrev_b32 v195, 26, v64
	v_add_co_u32 v62, s17, v63, -1
	s_delay_alu instid0(VALU_DEP_1)
	v_cndmask_b32_e64 v63, 0, 1, s17
	v_cmp_gt_i32_e64 s17, 0, v65
	v_cmp_gt_i32_e64 s18, 0, v192
	;; [unrolled: 1-line block ×4, first 2 shown]
	v_cmp_ne_u32_e32 vcc_lo, 0, v63
	v_not_b32_e32 v63, v65
	v_not_b32_e32 v65, v192
	v_lshlrev_b32_e32 v196, 25, v64
	v_not_b32_e32 v192, v193
	v_not_b32_e32 v193, v194
	s_delay_alu instid0(VALU_DEP_4)
	v_dual_ashrrev_i32 v63, 31, v63 :: v_dual_ashrrev_i32 v65, 31, v65
	v_cmp_gt_i32_e64 s21, 0, v195
	v_not_b32_e32 v194, v195
	v_bitop3_b32 v62, vcc_lo, exec_lo, v62 bitop3:0x48
	v_dual_ashrrev_i32 v192, 31, v192 :: v_dual_ashrrev_i32 v193, 31, v193
	v_xor_b32_e32 v63, s17, v63
	s_delay_alu instid0(VALU_DEP_4) | instskip(SKIP_1) | instid1(VALU_DEP_4)
	v_dual_ashrrev_i32 v194, 31, v194 :: v_dual_bitop2_b32 v65, s18, v65 bitop3:0x14
	v_not_b32_e32 v195, v196
	v_xor_b32_e32 v192, s19, v192
	v_xor_b32_e32 v193, s20, v193
	s_delay_alu instid0(VALU_DEP_4)
	v_bitop3_b32 v62, v62, v65, v63 bitop3:0x80
	v_cmp_gt_i32_e32 vcc_lo, 0, v196
	v_ashrrev_i32_e32 v63, 31, v195
	v_mad_u32_u24 v65, v64, 36, v114
	v_xor_b32_e32 v194, s21, v194
	v_bitop3_b32 v62, v62, v193, v192 bitop3:0x80
	s_delay_alu instid0(VALU_DEP_4) | instskip(SKIP_3) | instid1(VALU_DEP_2)
	v_xor_b32_e32 v63, vcc_lo, v63
	ds_load_b32 v192, v65 offset:544
	; wave barrier
	v_bitop3_b32 v62, v62, v63, v194 bitop3:0x80
	v_mul_u32_u24_e32 v63, 36, v64
	v_mbcnt_lo_u32_b32 v193, v62, 0
	v_cmp_ne_u32_e64 s17, 0, v62
	s_delay_alu instid0(VALU_DEP_3) | instskip(NEXT) | instid1(VALU_DEP_3)
	v_add_nc_u32_e32 v194, v114, v63
	v_cmp_eq_u32_e32 vcc_lo, 0, v193
	s_and_b32 s18, s17, vcc_lo
	s_delay_alu instid0(SALU_CYCLE_1)
	s_and_saveexec_b32 s17, s18
	s_cbranch_execz .LBB112_474
; %bb.473:                              ;   in Loop: Header=BB112_418 Depth=2
	s_wait_dscnt 0x0
	v_bcnt_u32_b32 v62, v62, v192
	ds_store_b32 v194, v62 offset:544
.LBB112_474:                            ;   in Loop: Header=BB112_418 Depth=2
	s_or_b32 exec_lo, exec_lo, s17
	v_xor_b32_e32 v121, -1, v121
	; wave barrier
	s_delay_alu instid0(VALU_DEP_1) | instskip(NEXT) | instid1(VALU_DEP_1)
	v_and_b32_e32 v62, 0xff, v121
	v_lshrrev_b32_e32 v62, s43, v62
	s_delay_alu instid0(VALU_DEP_1) | instskip(SKIP_1) | instid1(VALU_DEP_2)
	v_bitop3_b32 v63, v62, 1, s48 bitop3:0x80
	v_and_b32_e32 v64, s48, v62
	v_add_co_u32 v62, s17, v63, -1
	s_delay_alu instid0(VALU_DEP_1) | instskip(NEXT) | instid1(VALU_DEP_3)
	v_cndmask_b32_e64 v63, 0, 1, s17
	v_lshlrev_b32_e32 v65, 30, v64
	s_delay_alu instid0(VALU_DEP_2) | instskip(NEXT) | instid1(VALU_DEP_2)
	v_cmp_ne_u32_e32 vcc_lo, 0, v63
	v_not_b32_e32 v63, v65
	v_bitop3_b32 v62, vcc_lo, exec_lo, v62 bitop3:0x48
	s_delay_alu instid0(VALU_DEP_2) | instskip(SKIP_3) | instid1(VALU_DEP_4)
	v_dual_ashrrev_i32 v63, 31, v63 :: v_dual_lshlrev_b32 v195, 29, v64
	v_dual_lshlrev_b32 v196, 28, v64 :: v_dual_lshlrev_b32 v197, 27, v64
	v_cmp_gt_i32_e64 s17, 0, v65
	v_dual_lshlrev_b32 v198, 26, v64 :: v_dual_lshlrev_b32 v199, 25, v64
	v_not_b32_e32 v65, v195
	v_cmp_gt_i32_e64 s18, 0, v195
	v_cmp_gt_i32_e64 s19, 0, v196
	v_not_b32_e32 v195, v196
	v_not_b32_e32 v196, v197
	v_ashrrev_i32_e32 v65, 31, v65
	v_cmp_gt_i32_e64 s20, 0, v197
	v_cmp_gt_i32_e64 s21, 0, v198
	v_not_b32_e32 v197, v198
	v_not_b32_e32 v198, v199
	v_dual_ashrrev_i32 v195, 31, v195 :: v_dual_ashrrev_i32 v196, 31, v196
	v_xor_b32_e32 v63, s17, v63
	s_delay_alu instid0(VALU_DEP_3) | instskip(SKIP_1) | instid1(VALU_DEP_4)
	v_dual_ashrrev_i32 v198, 31, v198 :: v_dual_bitop2_b32 v65, s18, v65 bitop3:0x14
	v_cmp_gt_i32_e64 s22, 0, v199
	v_dual_ashrrev_i32 v197, 31, v197 :: v_dual_bitop2_b32 v195, s19, v195 bitop3:0x14
	v_xor_b32_e32 v196, s20, v196
	s_delay_alu instid0(VALU_DEP_4) | instskip(SKIP_1) | instid1(VALU_DEP_4)
	v_bitop3_b32 v62, v62, v65, v63 bitop3:0x80
	v_mad_u32_u24 v63, v64, 36, v114
	v_xor_b32_e32 v65, s21, v197
	v_xor_b32_e32 v197, s22, v198
	s_delay_alu instid0(VALU_DEP_4) | instskip(SKIP_3) | instid1(VALU_DEP_2)
	v_bitop3_b32 v62, v62, v196, v195 bitop3:0x80
	ds_load_b32 v195, v63 offset:544
	v_mul_u32_u24_e32 v63, 36, v64
	; wave barrier
	v_bitop3_b32 v62, v62, v197, v65 bitop3:0x80
	v_add_nc_u32_e32 v197, v114, v63
	s_delay_alu instid0(VALU_DEP_2) | instskip(SKIP_1) | instid1(VALU_DEP_2)
	v_mbcnt_lo_u32_b32 v196, v62, 0
	v_cmp_ne_u32_e64 s17, 0, v62
	v_cmp_eq_u32_e32 vcc_lo, 0, v196
	s_and_b32 s18, s17, vcc_lo
	s_delay_alu instid0(SALU_CYCLE_1)
	s_and_saveexec_b32 s17, s18
	s_cbranch_execz .LBB112_476
; %bb.475:                              ;   in Loop: Header=BB112_418 Depth=2
	s_wait_dscnt 0x0
	v_bcnt_u32_b32 v62, v62, v195
	ds_store_b32 v197, v62 offset:544
.LBB112_476:                            ;   in Loop: Header=BB112_418 Depth=2
	s_or_b32 exec_lo, exec_lo, s17
	; wave barrier
	s_wait_dscnt 0x0
	s_barrier_signal -1
	s_barrier_wait -1
	ds_load_2addr_b32 v[64:65], v90 offset0:136 offset1:137
	ds_load_2addr_b32 v[62:63], v90 offset0:138 offset1:139
	ds_load_b32 v198, v90 offset:560
	s_wait_dscnt 0x1
	v_add3_u32 v199, v65, v64, v62
	s_wait_dscnt 0x0
	s_delay_alu instid0(VALU_DEP_1) | instskip(NEXT) | instid1(VALU_DEP_1)
	v_add3_u32 v198, v199, v63, v198
	v_mov_b32_dpp v199, v198 row_shr:1 row_mask:0xf bank_mask:0xf
	s_delay_alu instid0(VALU_DEP_1) | instskip(NEXT) | instid1(VALU_DEP_1)
	v_cndmask_b32_e64 v199, v199, 0, s8
	v_add_nc_u32_e32 v198, v199, v198
	s_delay_alu instid0(VALU_DEP_1) | instskip(NEXT) | instid1(VALU_DEP_1)
	v_mov_b32_dpp v199, v198 row_shr:2 row_mask:0xf bank_mask:0xf
	v_cndmask_b32_e64 v199, 0, v199, s9
	s_delay_alu instid0(VALU_DEP_1) | instskip(NEXT) | instid1(VALU_DEP_1)
	v_add_nc_u32_e32 v198, v198, v199
	v_mov_b32_dpp v199, v198 row_shr:4 row_mask:0xf bank_mask:0xf
	s_delay_alu instid0(VALU_DEP_1) | instskip(NEXT) | instid1(VALU_DEP_1)
	v_cndmask_b32_e64 v199, 0, v199, s10
	v_add_nc_u32_e32 v198, v198, v199
	s_delay_alu instid0(VALU_DEP_1) | instskip(NEXT) | instid1(VALU_DEP_1)
	v_mov_b32_dpp v199, v198 row_shr:8 row_mask:0xf bank_mask:0xf
	v_cndmask_b32_e64 v199, 0, v199, s11
	s_delay_alu instid0(VALU_DEP_1) | instskip(SKIP_3) | instid1(VALU_DEP_1)
	v_add_nc_u32_e32 v198, v198, v199
	ds_swizzle_b32 v199, v198 offset:swizzle(BROADCAST,32,15)
	s_wait_dscnt 0x0
	v_cndmask_b32_e64 v199, v199, 0, s12
	v_add_nc_u32_e32 v198, v198, v199
	s_and_saveexec_b32 s17, s2
; %bb.477:                              ;   in Loop: Header=BB112_418 Depth=2
	ds_store_b32 v83, v198 offset:512
; %bb.478:                              ;   in Loop: Header=BB112_418 Depth=2
	s_or_b32 exec_lo, exec_lo, s17
	s_wait_dscnt 0x0
	s_barrier_signal -1
	s_barrier_wait -1
	s_and_saveexec_b32 s17, s3
	s_cbranch_execz .LBB112_480
; %bb.479:                              ;   in Loop: Header=BB112_418 Depth=2
	ds_load_b32 v199, v92 offset:512
	s_wait_dscnt 0x0
	v_mov_b32_dpp v200, v199 row_shr:1 row_mask:0xf bank_mask:0xf
	s_delay_alu instid0(VALU_DEP_1) | instskip(NEXT) | instid1(VALU_DEP_1)
	v_cndmask_b32_e64 v200, v200, 0, s14
	v_add_nc_u32_e32 v199, v200, v199
	s_delay_alu instid0(VALU_DEP_1) | instskip(NEXT) | instid1(VALU_DEP_1)
	v_mov_b32_dpp v200, v199 row_shr:2 row_mask:0xf bank_mask:0xf
	v_cndmask_b32_e64 v200, 0, v200, s15
	s_delay_alu instid0(VALU_DEP_1) | instskip(NEXT) | instid1(VALU_DEP_1)
	v_add_nc_u32_e32 v199, v199, v200
	v_mov_b32_dpp v200, v199 row_shr:4 row_mask:0xf bank_mask:0xf
	s_delay_alu instid0(VALU_DEP_1) | instskip(NEXT) | instid1(VALU_DEP_1)
	v_cndmask_b32_e64 v200, 0, v200, s16
	v_add_nc_u32_e32 v199, v199, v200
	ds_store_b32 v92, v199 offset:512
.LBB112_480:                            ;   in Loop: Header=BB112_418 Depth=2
	s_or_b32 exec_lo, exec_lo, s17
	v_mov_b32_e32 v199, 0
	s_wait_dscnt 0x0
	s_barrier_signal -1
	s_barrier_wait -1
	s_and_saveexec_b32 s17, s5
; %bb.481:                              ;   in Loop: Header=BB112_418 Depth=2
	ds_load_b32 v199, v83 offset:508
; %bb.482:                              ;   in Loop: Header=BB112_418 Depth=2
	s_or_b32 exec_lo, exec_lo, s17
	s_wait_dscnt 0x0
	v_add_nc_u32_e32 v198, v199, v198
	ds_bpermute_b32 v198, v96, v198
	s_wait_dscnt 0x0
	v_cndmask_b32_e64 v198, v198, v199, s13
	s_delay_alu instid0(VALU_DEP_1) | instskip(NEXT) | instid1(VALU_DEP_1)
	v_cndmask_b32_e64 v198, v198, 0, s6
	v_add_nc_u32_e32 v64, v198, v64
	s_delay_alu instid0(VALU_DEP_1) | instskip(NEXT) | instid1(VALU_DEP_1)
	v_add_nc_u32_e32 v65, v64, v65
	v_add_nc_u32_e32 v62, v65, v62
	s_delay_alu instid0(VALU_DEP_1)
	v_add_nc_u32_e32 v63, v62, v63
	ds_store_2addr_b32 v90, v198, v64 offset0:136 offset1:137
	ds_store_2addr_b32 v90, v65, v62 offset0:138 offset1:139
	ds_store_b32 v90, v63 offset:560
	s_wait_dscnt 0x0
	s_barrier_signal -1
	s_barrier_wait -1
	ds_load_b32 v62, v149 offset:544
	ds_load_b32 v63, v152 offset:544
	;; [unrolled: 1-line block ×17, first 2 shown]
	s_and_saveexec_b32 s17, s0
	s_cbranch_execz .LBB112_486
; %bb.483:                              ;   in Loop: Header=BB112_418 Depth=2
	v_dual_mov_b32 v134, 0x1100 :: v_dual_add_nc_u32 v133, v92, v94
	ds_load_b32 v133, v133 offset:544
	s_and_saveexec_b32 s18, s7
; %bb.484:                              ;   in Loop: Header=BB112_418 Depth=2
	ds_load_b32 v134, v93 offset:544
; %bb.485:                              ;   in Loop: Header=BB112_418 Depth=2
	s_or_b32 exec_lo, exec_lo, s18
	s_wait_dscnt 0x0
	v_sub_nc_u32_e32 v134, v134, v133
.LBB112_486:                            ;   in Loop: Header=BB112_418 Depth=2
	s_or_b32 exec_lo, exec_lo, s17
	v_dual_lshrrev_b32 v202, 8, v148 :: v_dual_lshrrev_b32 v203, 16, v148
	v_dual_lshrrev_b32 v200, 8, v143 :: v_dual_lshrrev_b32 v201, 16, v143
	;; [unrolled: 1-line block ×4, first 2 shown]
	s_wait_dscnt 0x0
	s_barrier_signal -1
	s_barrier_wait -1
	s_and_saveexec_b32 s17, s0
	s_cbranch_execz .LBB112_488
; %bb.487:                              ;   in Loop: Header=BB112_418 Depth=2
	ds_load_b32 v135, v66
	s_wait_dscnt 0x0
	v_sub_nc_u32_e32 v135, v135, v133
	ds_store_b32 v66, v135
.LBB112_488:                            ;   in Loop: Header=BB112_418 Depth=2
	s_or_b32 exec_lo, exec_lo, s17
	v_add_nc_u32_e32 v156, v62, v146
	v_add3_u32 v152, v151, v150, v63
	v_add3_u32 v151, v154, v153, v64
	;; [unrolled: 1-line block ×16, first 2 shown]
	v_cmp_lt_u32_e32 vcc_lo, v2, v137
	ds_store_b8 v156, v147 offset:512
	ds_store_b8 v152, v202 offset:512
	;; [unrolled: 1-line block ×17, first 2 shown]
	s_wait_dscnt 0x0
	s_barrier_signal -1
	s_barrier_wait -1
	s_and_saveexec_b32 s17, vcc_lo
	s_cbranch_execnz .LBB112_561
; %bb.489:                              ;   in Loop: Header=BB112_418 Depth=2
	s_or_b32 exec_lo, exec_lo, s17
	v_cmp_lt_u32_e64 s17, v67, v137
	s_and_saveexec_b32 s18, s17
	s_cbranch_execnz .LBB112_562
.LBB112_490:                            ;   in Loop: Header=BB112_418 Depth=2
	s_or_b32 exec_lo, exec_lo, s18
	v_cmp_lt_u32_e64 s18, v68, v137
	s_and_saveexec_b32 s19, s18
	s_cbranch_execnz .LBB112_563
.LBB112_491:                            ;   in Loop: Header=BB112_418 Depth=2
	s_or_b32 exec_lo, exec_lo, s19
	v_cmp_lt_u32_e64 s19, v69, v137
	s_and_saveexec_b32 s20, s19
	s_cbranch_execnz .LBB112_564
.LBB112_492:                            ;   in Loop: Header=BB112_418 Depth=2
	s_or_b32 exec_lo, exec_lo, s20
	v_cmp_lt_u32_e64 s20, v70, v137
	s_and_saveexec_b32 s21, s20
	s_cbranch_execnz .LBB112_565
.LBB112_493:                            ;   in Loop: Header=BB112_418 Depth=2
	s_or_b32 exec_lo, exec_lo, s21
	v_cmp_lt_u32_e64 s21, v71, v137
	s_and_saveexec_b32 s22, s21
	s_cbranch_execnz .LBB112_566
.LBB112_494:                            ;   in Loop: Header=BB112_418 Depth=2
	s_or_b32 exec_lo, exec_lo, s22
	v_cmp_lt_u32_e64 s22, v72, v137
	s_and_saveexec_b32 s23, s22
	s_cbranch_execnz .LBB112_567
.LBB112_495:                            ;   in Loop: Header=BB112_418 Depth=2
	s_or_b32 exec_lo, exec_lo, s23
	v_cmp_lt_u32_e64 s23, v73, v137
	s_and_saveexec_b32 s24, s23
	s_cbranch_execnz .LBB112_568
.LBB112_496:                            ;   in Loop: Header=BB112_418 Depth=2
	s_or_b32 exec_lo, exec_lo, s24
	v_cmp_lt_u32_e64 s24, v74, v137
	s_and_saveexec_b32 s25, s24
	s_cbranch_execnz .LBB112_569
.LBB112_497:                            ;   in Loop: Header=BB112_418 Depth=2
	s_or_b32 exec_lo, exec_lo, s25
	v_cmp_lt_u32_e64 s25, v75, v137
	s_and_saveexec_b32 s26, s25
	s_cbranch_execnz .LBB112_570
.LBB112_498:                            ;   in Loop: Header=BB112_418 Depth=2
	s_or_b32 exec_lo, exec_lo, s26
	v_cmp_lt_u32_e64 s26, v76, v137
	s_and_saveexec_b32 s27, s26
	s_cbranch_execnz .LBB112_571
.LBB112_499:                            ;   in Loop: Header=BB112_418 Depth=2
	s_or_b32 exec_lo, exec_lo, s27
	v_cmp_lt_u32_e64 s27, v77, v137
	s_and_saveexec_b32 s28, s27
	s_cbranch_execnz .LBB112_572
.LBB112_500:                            ;   in Loop: Header=BB112_418 Depth=2
	s_or_b32 exec_lo, exec_lo, s28
	v_cmp_lt_u32_e64 s28, v78, v137
	s_and_saveexec_b32 s29, s28
	s_cbranch_execnz .LBB112_573
.LBB112_501:                            ;   in Loop: Header=BB112_418 Depth=2
	s_or_b32 exec_lo, exec_lo, s29
	v_cmp_lt_u32_e64 s29, v79, v137
	s_and_saveexec_b32 s30, s29
	s_cbranch_execnz .LBB112_574
.LBB112_502:                            ;   in Loop: Header=BB112_418 Depth=2
	s_or_b32 exec_lo, exec_lo, s30
	v_cmp_lt_u32_e64 s30, v80, v137
	s_and_saveexec_b32 s31, s30
	s_cbranch_execnz .LBB112_575
.LBB112_503:                            ;   in Loop: Header=BB112_418 Depth=2
	s_or_b32 exec_lo, exec_lo, s31
	v_cmp_lt_u32_e64 s31, v81, v137
	s_and_saveexec_b32 s33, s31
	s_cbranch_execnz .LBB112_576
.LBB112_504:                            ;   in Loop: Header=BB112_418 Depth=2
	s_or_b32 exec_lo, exec_lo, s33
	v_cmp_lt_u32_e64 s33, v82, v137
	s_and_saveexec_b32 s60, s33
	s_cbranch_execz .LBB112_506
.LBB112_505:                            ;   in Loop: Header=BB112_418 Depth=2
	ds_load_u8 v62, v2 offset:4608
	s_wait_dscnt 0x0
	v_and_b32_e32 v63, 0xff, v62
	s_delay_alu instid0(VALU_DEP_1) | instskip(NEXT) | instid1(VALU_DEP_1)
	v_dual_lshrrev_b32 v63, s43, v63 :: v_dual_bitop2_b32 v62, -1, v62 bitop3:0x14
	v_and_b32_e32 v63, s48, v63
	s_delay_alu instid0(VALU_DEP_1)
	v_lshlrev_b32_e32 v63, 2, v63
	ds_load_b32 v63, v63
	s_wait_dscnt 0x0
	v_add_nc_u32_e32 v63, v63, v82
	global_store_b8 v63, v62, s[40:41]
.LBB112_506:                            ;   in Loop: Header=BB112_418 Depth=2
	s_wait_xcnt 0x0
	s_or_b32 exec_lo, exec_lo, s60
	v_lshl_add_u64 v[62:63], s[34:35], 3, v[26:27]
	v_cmp_lt_u32_e64 s34, v97, v137
	s_and_saveexec_b32 s60, s34
	s_delay_alu instid0(SALU_CYCLE_1)
	s_xor_b32 s34, exec_lo, s60
	s_cbranch_execnz .LBB112_577
; %bb.507:                              ;   in Loop: Header=BB112_418 Depth=2
	s_or_b32 exec_lo, exec_lo, s34
	s_delay_alu instid0(SALU_CYCLE_1)
	s_mov_b32 s60, exec_lo
	v_cmpx_lt_u32_e64 v98, v137
	s_cbranch_execnz .LBB112_578
.LBB112_508:                            ;   in Loop: Header=BB112_418 Depth=2
	s_or_b32 exec_lo, exec_lo, s60
	s_delay_alu instid0(SALU_CYCLE_1)
	s_mov_b32 s60, exec_lo
	v_cmpx_lt_u32_e64 v99, v137
	s_cbranch_execnz .LBB112_579
.LBB112_509:                            ;   in Loop: Header=BB112_418 Depth=2
	s_or_b32 exec_lo, exec_lo, s60
	s_delay_alu instid0(SALU_CYCLE_1)
	s_mov_b32 s60, exec_lo
	v_cmpx_lt_u32_e64 v100, v137
	s_cbranch_execnz .LBB112_580
.LBB112_510:                            ;   in Loop: Header=BB112_418 Depth=2
	s_or_b32 exec_lo, exec_lo, s60
	s_delay_alu instid0(SALU_CYCLE_1)
	s_mov_b32 s60, exec_lo
	v_cmpx_lt_u32_e64 v101, v137
	s_cbranch_execnz .LBB112_581
.LBB112_511:                            ;   in Loop: Header=BB112_418 Depth=2
	s_or_b32 exec_lo, exec_lo, s60
	s_delay_alu instid0(SALU_CYCLE_1)
	s_mov_b32 s60, exec_lo
	v_cmpx_lt_u32_e64 v102, v137
	s_cbranch_execnz .LBB112_582
.LBB112_512:                            ;   in Loop: Header=BB112_418 Depth=2
	s_or_b32 exec_lo, exec_lo, s60
	s_delay_alu instid0(SALU_CYCLE_1)
	s_mov_b32 s60, exec_lo
	v_cmpx_lt_u32_e64 v103, v137
	s_cbranch_execnz .LBB112_583
.LBB112_513:                            ;   in Loop: Header=BB112_418 Depth=2
	s_or_b32 exec_lo, exec_lo, s60
	s_delay_alu instid0(SALU_CYCLE_1)
	s_mov_b32 s60, exec_lo
	v_cmpx_lt_u32_e64 v104, v137
	s_cbranch_execnz .LBB112_584
.LBB112_514:                            ;   in Loop: Header=BB112_418 Depth=2
	s_or_b32 exec_lo, exec_lo, s60
	s_delay_alu instid0(SALU_CYCLE_1)
	s_mov_b32 s60, exec_lo
	v_cmpx_lt_u32_e64 v105, v137
	s_cbranch_execnz .LBB112_585
.LBB112_515:                            ;   in Loop: Header=BB112_418 Depth=2
	s_or_b32 exec_lo, exec_lo, s60
	s_delay_alu instid0(SALU_CYCLE_1)
	s_mov_b32 s60, exec_lo
	v_cmpx_lt_u32_e64 v106, v137
	s_cbranch_execnz .LBB112_586
.LBB112_516:                            ;   in Loop: Header=BB112_418 Depth=2
	s_or_b32 exec_lo, exec_lo, s60
	s_delay_alu instid0(SALU_CYCLE_1)
	s_mov_b32 s60, exec_lo
	v_cmpx_lt_u32_e64 v107, v137
	s_cbranch_execnz .LBB112_587
.LBB112_517:                            ;   in Loop: Header=BB112_418 Depth=2
	s_or_b32 exec_lo, exec_lo, s60
	s_delay_alu instid0(SALU_CYCLE_1)
	s_mov_b32 s60, exec_lo
	v_cmpx_lt_u32_e64 v108, v137
	s_cbranch_execnz .LBB112_588
.LBB112_518:                            ;   in Loop: Header=BB112_418 Depth=2
	s_or_b32 exec_lo, exec_lo, s60
	s_delay_alu instid0(SALU_CYCLE_1)
	s_mov_b32 s60, exec_lo
	v_cmpx_lt_u32_e64 v109, v137
	s_cbranch_execnz .LBB112_589
.LBB112_519:                            ;   in Loop: Header=BB112_418 Depth=2
	s_or_b32 exec_lo, exec_lo, s60
	s_delay_alu instid0(SALU_CYCLE_1)
	s_mov_b32 s60, exec_lo
	v_cmpx_lt_u32_e64 v110, v137
	s_cbranch_execnz .LBB112_590
.LBB112_520:                            ;   in Loop: Header=BB112_418 Depth=2
	s_or_b32 exec_lo, exec_lo, s60
	s_delay_alu instid0(SALU_CYCLE_1)
	s_mov_b32 s60, exec_lo
	v_cmpx_lt_u32_e64 v111, v137
	s_cbranch_execnz .LBB112_591
.LBB112_521:                            ;   in Loop: Header=BB112_418 Depth=2
	s_or_b32 exec_lo, exec_lo, s60
	s_delay_alu instid0(SALU_CYCLE_1)
	s_mov_b32 s60, exec_lo
	v_cmpx_lt_u32_e64 v112, v137
	s_cbranch_execnz .LBB112_592
.LBB112_522:                            ;   in Loop: Header=BB112_418 Depth=2
	s_or_b32 exec_lo, exec_lo, s60
	s_delay_alu instid0(SALU_CYCLE_1)
	s_mov_b32 s60, exec_lo
	v_cmpx_lt_u32_e64 v113, v137
	s_cbranch_execnz .LBB112_593
.LBB112_523:                            ;   in Loop: Header=BB112_418 Depth=2
	s_or_b32 exec_lo, exec_lo, s60
	s_and_saveexec_b32 s34, vcc_lo
	s_cbranch_execnz .LBB112_594
.LBB112_524:                            ;   in Loop: Header=BB112_418 Depth=2
	s_or_b32 exec_lo, exec_lo, s34
	s_and_saveexec_b32 s34, s17
	s_cbranch_execnz .LBB112_595
.LBB112_525:                            ;   in Loop: Header=BB112_418 Depth=2
	s_or_b32 exec_lo, exec_lo, s34
	s_and_saveexec_b32 s34, s18
	s_cbranch_execnz .LBB112_596
.LBB112_526:                            ;   in Loop: Header=BB112_418 Depth=2
	s_or_b32 exec_lo, exec_lo, s34
	s_and_saveexec_b32 s34, s19
	s_cbranch_execnz .LBB112_597
.LBB112_527:                            ;   in Loop: Header=BB112_418 Depth=2
	s_or_b32 exec_lo, exec_lo, s34
	s_and_saveexec_b32 s34, s20
	s_cbranch_execnz .LBB112_598
.LBB112_528:                            ;   in Loop: Header=BB112_418 Depth=2
	s_or_b32 exec_lo, exec_lo, s34
	s_and_saveexec_b32 s34, s21
	s_cbranch_execnz .LBB112_599
.LBB112_529:                            ;   in Loop: Header=BB112_418 Depth=2
	s_or_b32 exec_lo, exec_lo, s34
	s_and_saveexec_b32 s34, s22
	s_cbranch_execnz .LBB112_600
.LBB112_530:                            ;   in Loop: Header=BB112_418 Depth=2
	s_or_b32 exec_lo, exec_lo, s34
	s_and_saveexec_b32 s34, s23
	s_cbranch_execnz .LBB112_601
.LBB112_531:                            ;   in Loop: Header=BB112_418 Depth=2
	s_or_b32 exec_lo, exec_lo, s34
	s_and_saveexec_b32 s34, s24
	s_cbranch_execnz .LBB112_602
.LBB112_532:                            ;   in Loop: Header=BB112_418 Depth=2
	s_or_b32 exec_lo, exec_lo, s34
	s_and_saveexec_b32 s34, s25
	s_cbranch_execnz .LBB112_603
.LBB112_533:                            ;   in Loop: Header=BB112_418 Depth=2
	s_or_b32 exec_lo, exec_lo, s34
	s_and_saveexec_b32 s34, s26
	s_cbranch_execnz .LBB112_604
.LBB112_534:                            ;   in Loop: Header=BB112_418 Depth=2
	s_or_b32 exec_lo, exec_lo, s34
	s_and_saveexec_b32 s34, s27
	s_cbranch_execnz .LBB112_605
.LBB112_535:                            ;   in Loop: Header=BB112_418 Depth=2
	s_or_b32 exec_lo, exec_lo, s34
	s_and_saveexec_b32 s34, s28
	s_cbranch_execnz .LBB112_606
.LBB112_536:                            ;   in Loop: Header=BB112_418 Depth=2
	s_or_b32 exec_lo, exec_lo, s34
	s_and_saveexec_b32 s34, s29
	s_cbranch_execnz .LBB112_607
.LBB112_537:                            ;   in Loop: Header=BB112_418 Depth=2
	s_or_b32 exec_lo, exec_lo, s34
	s_and_saveexec_b32 s34, s30
	s_cbranch_execnz .LBB112_608
.LBB112_538:                            ;   in Loop: Header=BB112_418 Depth=2
	s_or_b32 exec_lo, exec_lo, s34
	s_and_saveexec_b32 s34, s31
	s_cbranch_execnz .LBB112_609
.LBB112_539:                            ;   in Loop: Header=BB112_418 Depth=2
	s_or_b32 exec_lo, exec_lo, s34
	s_and_saveexec_b32 s34, s33
	s_cbranch_execz .LBB112_541
.LBB112_540:                            ;   in Loop: Header=BB112_418 Depth=2
	ds_load_u8 v62, v2 offset:4608
	s_wait_dscnt 0x0
	v_lshrrev_b32_e32 v62, s43, v62
	s_delay_alu instid0(VALU_DEP_1)
	v_and_b32_e32 v115, s48, v62
.LBB112_541:                            ;   in Loop: Header=BB112_418 Depth=2
	s_or_b32 exec_lo, exec_lo, s34
	v_lshlrev_b32_e32 v62, 3, v156
	v_lshlrev_b32_e32 v63, 3, v152
	s_wait_loadcnt 0x0
	s_wait_storecnt 0x0
	s_barrier_signal -1
	s_barrier_wait -1
	ds_store_b64 v62, v[60:61] offset:512
	ds_store_b64 v63, v[58:59] offset:512
	v_dual_lshlrev_b32 v62, 3, v151 :: v_dual_lshlrev_b32 v63, 3, v150
	v_dual_lshlrev_b32 v137, 3, v149 :: v_dual_lshlrev_b32 v138, 3, v148
	v_lshlrev_b32_e32 v142, 3, v146
	ds_store_b64 v62, v[56:57] offset:512
	ds_store_b64 v63, v[54:55] offset:512
	ds_store_b64 v137, v[52:53] offset:512
	ds_store_b64 v138, v[50:51] offset:512
	ds_store_b64 v142, v[48:49] offset:512
	v_dual_lshlrev_b32 v62, 3, v145 :: v_dual_lshlrev_b32 v63, 3, v144
	v_dual_lshlrev_b32 v137, 3, v143 :: v_dual_lshlrev_b32 v138, 3, v141
	v_lshlrev_b32_e32 v140, 3, v140
	ds_store_b64 v62, v[46:47] offset:512
	ds_store_b64 v63, v[44:45] offset:512
	ds_store_b64 v137, v[42:43] offset:512
	;; [unrolled: 8-line block ×3, first 2 shown]
	ds_store_b64 v65, v[30:31] offset:512
	ds_store_b64 v64, v[28:29] offset:512
	s_wait_dscnt 0x0
	s_barrier_signal -1
	s_barrier_wait -1
	s_and_saveexec_b32 s34, vcc_lo
	s_cbranch_execnz .LBB112_610
; %bb.542:                              ;   in Loop: Header=BB112_418 Depth=2
	s_or_b32 exec_lo, exec_lo, s34
	s_and_saveexec_b32 s34, s17
	s_cbranch_execnz .LBB112_611
.LBB112_543:                            ;   in Loop: Header=BB112_418 Depth=2
	s_or_b32 exec_lo, exec_lo, s34
	s_and_saveexec_b32 s17, s18
	s_cbranch_execnz .LBB112_612
.LBB112_544:                            ;   in Loop: Header=BB112_418 Depth=2
	s_or_b32 exec_lo, exec_lo, s17
	s_and_saveexec_b32 s17, s19
	s_cbranch_execnz .LBB112_613
.LBB112_545:                            ;   in Loop: Header=BB112_418 Depth=2
	s_or_b32 exec_lo, exec_lo, s17
	s_and_saveexec_b32 s17, s20
	s_cbranch_execnz .LBB112_614
.LBB112_546:                            ;   in Loop: Header=BB112_418 Depth=2
	s_or_b32 exec_lo, exec_lo, s17
	s_and_saveexec_b32 s17, s21
	s_cbranch_execnz .LBB112_615
.LBB112_547:                            ;   in Loop: Header=BB112_418 Depth=2
	s_or_b32 exec_lo, exec_lo, s17
	s_and_saveexec_b32 s17, s22
	s_cbranch_execnz .LBB112_616
.LBB112_548:                            ;   in Loop: Header=BB112_418 Depth=2
	s_or_b32 exec_lo, exec_lo, s17
	s_and_saveexec_b32 s17, s23
	s_cbranch_execnz .LBB112_617
.LBB112_549:                            ;   in Loop: Header=BB112_418 Depth=2
	s_or_b32 exec_lo, exec_lo, s17
	s_and_saveexec_b32 s17, s24
	s_cbranch_execnz .LBB112_618
.LBB112_550:                            ;   in Loop: Header=BB112_418 Depth=2
	s_or_b32 exec_lo, exec_lo, s17
	s_and_saveexec_b32 s17, s25
	s_cbranch_execnz .LBB112_619
.LBB112_551:                            ;   in Loop: Header=BB112_418 Depth=2
	s_or_b32 exec_lo, exec_lo, s17
	s_and_saveexec_b32 s17, s26
	s_cbranch_execnz .LBB112_620
.LBB112_552:                            ;   in Loop: Header=BB112_418 Depth=2
	s_or_b32 exec_lo, exec_lo, s17
	s_and_saveexec_b32 s17, s27
	s_cbranch_execnz .LBB112_621
.LBB112_553:                            ;   in Loop: Header=BB112_418 Depth=2
	s_or_b32 exec_lo, exec_lo, s17
	s_and_saveexec_b32 s17, s28
	s_cbranch_execnz .LBB112_622
.LBB112_554:                            ;   in Loop: Header=BB112_418 Depth=2
	s_or_b32 exec_lo, exec_lo, s17
	s_and_saveexec_b32 s17, s29
	s_cbranch_execnz .LBB112_623
.LBB112_555:                            ;   in Loop: Header=BB112_418 Depth=2
	s_or_b32 exec_lo, exec_lo, s17
	s_and_saveexec_b32 s17, s30
	s_cbranch_execnz .LBB112_624
.LBB112_556:                            ;   in Loop: Header=BB112_418 Depth=2
	s_or_b32 exec_lo, exec_lo, s17
	s_and_saveexec_b32 s17, s31
	s_cbranch_execnz .LBB112_625
.LBB112_557:                            ;   in Loop: Header=BB112_418 Depth=2
	s_or_b32 exec_lo, exec_lo, s17
	s_and_saveexec_b32 s17, s33
	s_cbranch_execz .LBB112_559
.LBB112_558:                            ;   in Loop: Header=BB112_418 Depth=2
	v_lshlrev_b32_e32 v62, 2, v115
	v_add_nc_u32_e32 v63, v2, v95
	ds_load_b32 v64, v62
	ds_load_b64 v[62:63], v63 offset:33280
	s_wait_dscnt 0x1
	v_add_nc_u32_e32 v64, v64, v82
	s_wait_dscnt 0x0
	global_store_b64 v64, v[62:63], s[46:47] scale_offset
.LBB112_559:                            ;   in Loop: Header=BB112_418 Depth=2
	s_wait_xcnt 0x0
	s_or_b32 exec_lo, exec_lo, s17
	s_wait_storecnt 0x0
	s_barrier_signal -1
	s_barrier_wait -1
	s_and_saveexec_b32 s17, s0
	s_cbranch_execz .LBB112_417
; %bb.560:                              ;   in Loop: Header=BB112_418 Depth=2
	ds_load_b32 v62, v66
	s_wait_dscnt 0x0
	v_add3_u32 v62, v133, v134, v62
	ds_store_b32 v66, v62
	s_branch .LBB112_417
.LBB112_561:                            ;   in Loop: Header=BB112_418 Depth=2
	ds_load_u8 v62, v2 offset:512
	s_wait_dscnt 0x0
	v_and_b32_e32 v63, 0xff, v62
	s_delay_alu instid0(VALU_DEP_1) | instskip(NEXT) | instid1(VALU_DEP_1)
	v_dual_lshrrev_b32 v63, s43, v63 :: v_dual_bitop2_b32 v62, -1, v62 bitop3:0x14
	v_and_b32_e32 v63, s48, v63
	s_delay_alu instid0(VALU_DEP_1)
	v_lshlrev_b32_e32 v63, 2, v63
	ds_load_b32 v63, v63
	s_wait_dscnt 0x0
	v_add_nc_u32_e32 v63, v63, v2
	global_store_b8 v63, v62, s[40:41]
	s_wait_xcnt 0x0
	s_or_b32 exec_lo, exec_lo, s17
	v_cmp_lt_u32_e64 s17, v67, v137
	s_and_saveexec_b32 s18, s17
	s_cbranch_execz .LBB112_490
.LBB112_562:                            ;   in Loop: Header=BB112_418 Depth=2
	ds_load_u8 v62, v2 offset:768
	s_wait_dscnt 0x0
	v_and_b32_e32 v63, 0xff, v62
	s_delay_alu instid0(VALU_DEP_1) | instskip(NEXT) | instid1(VALU_DEP_1)
	v_dual_lshrrev_b32 v63, s43, v63 :: v_dual_bitop2_b32 v62, -1, v62 bitop3:0x14
	v_and_b32_e32 v63, s48, v63
	s_delay_alu instid0(VALU_DEP_1)
	v_lshlrev_b32_e32 v63, 2, v63
	ds_load_b32 v63, v63
	s_wait_dscnt 0x0
	v_add_nc_u32_e32 v63, v63, v67
	global_store_b8 v63, v62, s[40:41]
	s_wait_xcnt 0x0
	s_or_b32 exec_lo, exec_lo, s18
	v_cmp_lt_u32_e64 s18, v68, v137
	s_and_saveexec_b32 s19, s18
	s_cbranch_execz .LBB112_491
.LBB112_563:                            ;   in Loop: Header=BB112_418 Depth=2
	ds_load_u8 v62, v2 offset:1024
	s_wait_dscnt 0x0
	v_and_b32_e32 v63, 0xff, v62
	s_delay_alu instid0(VALU_DEP_1) | instskip(NEXT) | instid1(VALU_DEP_1)
	v_dual_lshrrev_b32 v63, s43, v63 :: v_dual_bitop2_b32 v62, -1, v62 bitop3:0x14
	v_and_b32_e32 v63, s48, v63
	s_delay_alu instid0(VALU_DEP_1)
	v_lshlrev_b32_e32 v63, 2, v63
	ds_load_b32 v63, v63
	s_wait_dscnt 0x0
	v_add_nc_u32_e32 v63, v63, v68
	global_store_b8 v63, v62, s[40:41]
	s_wait_xcnt 0x0
	s_or_b32 exec_lo, exec_lo, s19
	v_cmp_lt_u32_e64 s19, v69, v137
	s_and_saveexec_b32 s20, s19
	s_cbranch_execz .LBB112_492
.LBB112_564:                            ;   in Loop: Header=BB112_418 Depth=2
	ds_load_u8 v62, v2 offset:1280
	s_wait_dscnt 0x0
	v_and_b32_e32 v63, 0xff, v62
	s_delay_alu instid0(VALU_DEP_1) | instskip(NEXT) | instid1(VALU_DEP_1)
	v_dual_lshrrev_b32 v63, s43, v63 :: v_dual_bitop2_b32 v62, -1, v62 bitop3:0x14
	v_and_b32_e32 v63, s48, v63
	s_delay_alu instid0(VALU_DEP_1)
	v_lshlrev_b32_e32 v63, 2, v63
	ds_load_b32 v63, v63
	s_wait_dscnt 0x0
	v_add_nc_u32_e32 v63, v63, v69
	global_store_b8 v63, v62, s[40:41]
	s_wait_xcnt 0x0
	s_or_b32 exec_lo, exec_lo, s20
	v_cmp_lt_u32_e64 s20, v70, v137
	s_and_saveexec_b32 s21, s20
	s_cbranch_execz .LBB112_493
.LBB112_565:                            ;   in Loop: Header=BB112_418 Depth=2
	ds_load_u8 v62, v2 offset:1536
	s_wait_dscnt 0x0
	v_and_b32_e32 v63, 0xff, v62
	s_delay_alu instid0(VALU_DEP_1) | instskip(NEXT) | instid1(VALU_DEP_1)
	v_dual_lshrrev_b32 v63, s43, v63 :: v_dual_bitop2_b32 v62, -1, v62 bitop3:0x14
	v_and_b32_e32 v63, s48, v63
	s_delay_alu instid0(VALU_DEP_1)
	v_lshlrev_b32_e32 v63, 2, v63
	ds_load_b32 v63, v63
	s_wait_dscnt 0x0
	v_add_nc_u32_e32 v63, v63, v70
	global_store_b8 v63, v62, s[40:41]
	s_wait_xcnt 0x0
	s_or_b32 exec_lo, exec_lo, s21
	v_cmp_lt_u32_e64 s21, v71, v137
	s_and_saveexec_b32 s22, s21
	s_cbranch_execz .LBB112_494
.LBB112_566:                            ;   in Loop: Header=BB112_418 Depth=2
	ds_load_u8 v62, v2 offset:1792
	s_wait_dscnt 0x0
	v_and_b32_e32 v63, 0xff, v62
	s_delay_alu instid0(VALU_DEP_1) | instskip(NEXT) | instid1(VALU_DEP_1)
	v_dual_lshrrev_b32 v63, s43, v63 :: v_dual_bitop2_b32 v62, -1, v62 bitop3:0x14
	v_and_b32_e32 v63, s48, v63
	s_delay_alu instid0(VALU_DEP_1)
	v_lshlrev_b32_e32 v63, 2, v63
	ds_load_b32 v63, v63
	s_wait_dscnt 0x0
	v_add_nc_u32_e32 v63, v63, v71
	global_store_b8 v63, v62, s[40:41]
	s_wait_xcnt 0x0
	s_or_b32 exec_lo, exec_lo, s22
	v_cmp_lt_u32_e64 s22, v72, v137
	s_and_saveexec_b32 s23, s22
	s_cbranch_execz .LBB112_495
.LBB112_567:                            ;   in Loop: Header=BB112_418 Depth=2
	ds_load_u8 v62, v2 offset:2048
	s_wait_dscnt 0x0
	v_and_b32_e32 v63, 0xff, v62
	s_delay_alu instid0(VALU_DEP_1) | instskip(NEXT) | instid1(VALU_DEP_1)
	v_dual_lshrrev_b32 v63, s43, v63 :: v_dual_bitop2_b32 v62, -1, v62 bitop3:0x14
	v_and_b32_e32 v63, s48, v63
	s_delay_alu instid0(VALU_DEP_1)
	v_lshlrev_b32_e32 v63, 2, v63
	ds_load_b32 v63, v63
	s_wait_dscnt 0x0
	v_add_nc_u32_e32 v63, v63, v72
	global_store_b8 v63, v62, s[40:41]
	s_wait_xcnt 0x0
	s_or_b32 exec_lo, exec_lo, s23
	v_cmp_lt_u32_e64 s23, v73, v137
	s_and_saveexec_b32 s24, s23
	s_cbranch_execz .LBB112_496
.LBB112_568:                            ;   in Loop: Header=BB112_418 Depth=2
	ds_load_u8 v62, v2 offset:2304
	s_wait_dscnt 0x0
	v_and_b32_e32 v63, 0xff, v62
	s_delay_alu instid0(VALU_DEP_1) | instskip(NEXT) | instid1(VALU_DEP_1)
	v_dual_lshrrev_b32 v63, s43, v63 :: v_dual_bitop2_b32 v62, -1, v62 bitop3:0x14
	v_and_b32_e32 v63, s48, v63
	s_delay_alu instid0(VALU_DEP_1)
	v_lshlrev_b32_e32 v63, 2, v63
	ds_load_b32 v63, v63
	s_wait_dscnt 0x0
	v_add_nc_u32_e32 v63, v63, v73
	global_store_b8 v63, v62, s[40:41]
	s_wait_xcnt 0x0
	s_or_b32 exec_lo, exec_lo, s24
	v_cmp_lt_u32_e64 s24, v74, v137
	s_and_saveexec_b32 s25, s24
	s_cbranch_execz .LBB112_497
.LBB112_569:                            ;   in Loop: Header=BB112_418 Depth=2
	ds_load_u8 v62, v2 offset:2560
	s_wait_dscnt 0x0
	v_and_b32_e32 v63, 0xff, v62
	s_delay_alu instid0(VALU_DEP_1) | instskip(NEXT) | instid1(VALU_DEP_1)
	v_dual_lshrrev_b32 v63, s43, v63 :: v_dual_bitop2_b32 v62, -1, v62 bitop3:0x14
	v_and_b32_e32 v63, s48, v63
	s_delay_alu instid0(VALU_DEP_1)
	v_lshlrev_b32_e32 v63, 2, v63
	ds_load_b32 v63, v63
	s_wait_dscnt 0x0
	v_add_nc_u32_e32 v63, v63, v74
	global_store_b8 v63, v62, s[40:41]
	s_wait_xcnt 0x0
	s_or_b32 exec_lo, exec_lo, s25
	v_cmp_lt_u32_e64 s25, v75, v137
	s_and_saveexec_b32 s26, s25
	s_cbranch_execz .LBB112_498
.LBB112_570:                            ;   in Loop: Header=BB112_418 Depth=2
	ds_load_u8 v62, v2 offset:2816
	s_wait_dscnt 0x0
	v_and_b32_e32 v63, 0xff, v62
	s_delay_alu instid0(VALU_DEP_1) | instskip(NEXT) | instid1(VALU_DEP_1)
	v_dual_lshrrev_b32 v63, s43, v63 :: v_dual_bitop2_b32 v62, -1, v62 bitop3:0x14
	v_and_b32_e32 v63, s48, v63
	s_delay_alu instid0(VALU_DEP_1)
	v_lshlrev_b32_e32 v63, 2, v63
	ds_load_b32 v63, v63
	s_wait_dscnt 0x0
	v_add_nc_u32_e32 v63, v63, v75
	global_store_b8 v63, v62, s[40:41]
	s_wait_xcnt 0x0
	s_or_b32 exec_lo, exec_lo, s26
	v_cmp_lt_u32_e64 s26, v76, v137
	s_and_saveexec_b32 s27, s26
	s_cbranch_execz .LBB112_499
.LBB112_571:                            ;   in Loop: Header=BB112_418 Depth=2
	ds_load_u8 v62, v2 offset:3072
	s_wait_dscnt 0x0
	v_and_b32_e32 v63, 0xff, v62
	s_delay_alu instid0(VALU_DEP_1) | instskip(NEXT) | instid1(VALU_DEP_1)
	v_dual_lshrrev_b32 v63, s43, v63 :: v_dual_bitop2_b32 v62, -1, v62 bitop3:0x14
	v_and_b32_e32 v63, s48, v63
	s_delay_alu instid0(VALU_DEP_1)
	v_lshlrev_b32_e32 v63, 2, v63
	ds_load_b32 v63, v63
	s_wait_dscnt 0x0
	v_add_nc_u32_e32 v63, v63, v76
	global_store_b8 v63, v62, s[40:41]
	s_wait_xcnt 0x0
	s_or_b32 exec_lo, exec_lo, s27
	v_cmp_lt_u32_e64 s27, v77, v137
	s_and_saveexec_b32 s28, s27
	s_cbranch_execz .LBB112_500
.LBB112_572:                            ;   in Loop: Header=BB112_418 Depth=2
	ds_load_u8 v62, v2 offset:3328
	s_wait_dscnt 0x0
	v_and_b32_e32 v63, 0xff, v62
	s_delay_alu instid0(VALU_DEP_1) | instskip(NEXT) | instid1(VALU_DEP_1)
	v_dual_lshrrev_b32 v63, s43, v63 :: v_dual_bitop2_b32 v62, -1, v62 bitop3:0x14
	v_and_b32_e32 v63, s48, v63
	s_delay_alu instid0(VALU_DEP_1)
	v_lshlrev_b32_e32 v63, 2, v63
	ds_load_b32 v63, v63
	s_wait_dscnt 0x0
	v_add_nc_u32_e32 v63, v63, v77
	global_store_b8 v63, v62, s[40:41]
	s_wait_xcnt 0x0
	s_or_b32 exec_lo, exec_lo, s28
	v_cmp_lt_u32_e64 s28, v78, v137
	s_and_saveexec_b32 s29, s28
	s_cbranch_execz .LBB112_501
.LBB112_573:                            ;   in Loop: Header=BB112_418 Depth=2
	ds_load_u8 v62, v2 offset:3584
	s_wait_dscnt 0x0
	v_and_b32_e32 v63, 0xff, v62
	s_delay_alu instid0(VALU_DEP_1) | instskip(NEXT) | instid1(VALU_DEP_1)
	v_dual_lshrrev_b32 v63, s43, v63 :: v_dual_bitop2_b32 v62, -1, v62 bitop3:0x14
	v_and_b32_e32 v63, s48, v63
	s_delay_alu instid0(VALU_DEP_1)
	v_lshlrev_b32_e32 v63, 2, v63
	ds_load_b32 v63, v63
	s_wait_dscnt 0x0
	v_add_nc_u32_e32 v63, v63, v78
	global_store_b8 v63, v62, s[40:41]
	s_wait_xcnt 0x0
	s_or_b32 exec_lo, exec_lo, s29
	v_cmp_lt_u32_e64 s29, v79, v137
	s_and_saveexec_b32 s30, s29
	s_cbranch_execz .LBB112_502
.LBB112_574:                            ;   in Loop: Header=BB112_418 Depth=2
	ds_load_u8 v62, v2 offset:3840
	s_wait_dscnt 0x0
	v_and_b32_e32 v63, 0xff, v62
	s_delay_alu instid0(VALU_DEP_1) | instskip(NEXT) | instid1(VALU_DEP_1)
	v_dual_lshrrev_b32 v63, s43, v63 :: v_dual_bitop2_b32 v62, -1, v62 bitop3:0x14
	v_and_b32_e32 v63, s48, v63
	s_delay_alu instid0(VALU_DEP_1)
	v_lshlrev_b32_e32 v63, 2, v63
	ds_load_b32 v63, v63
	s_wait_dscnt 0x0
	v_add_nc_u32_e32 v63, v63, v79
	global_store_b8 v63, v62, s[40:41]
	s_wait_xcnt 0x0
	s_or_b32 exec_lo, exec_lo, s30
	v_cmp_lt_u32_e64 s30, v80, v137
	s_and_saveexec_b32 s31, s30
	s_cbranch_execz .LBB112_503
.LBB112_575:                            ;   in Loop: Header=BB112_418 Depth=2
	ds_load_u8 v62, v2 offset:4096
	s_wait_dscnt 0x0
	v_and_b32_e32 v63, 0xff, v62
	s_delay_alu instid0(VALU_DEP_1) | instskip(NEXT) | instid1(VALU_DEP_1)
	v_dual_lshrrev_b32 v63, s43, v63 :: v_dual_bitop2_b32 v62, -1, v62 bitop3:0x14
	v_and_b32_e32 v63, s48, v63
	s_delay_alu instid0(VALU_DEP_1)
	v_lshlrev_b32_e32 v63, 2, v63
	ds_load_b32 v63, v63
	s_wait_dscnt 0x0
	v_add_nc_u32_e32 v63, v63, v80
	global_store_b8 v63, v62, s[40:41]
	s_wait_xcnt 0x0
	s_or_b32 exec_lo, exec_lo, s31
	v_cmp_lt_u32_e64 s31, v81, v137
	s_and_saveexec_b32 s33, s31
	s_cbranch_execz .LBB112_504
.LBB112_576:                            ;   in Loop: Header=BB112_418 Depth=2
	ds_load_u8 v62, v2 offset:4352
	s_wait_dscnt 0x0
	v_and_b32_e32 v63, 0xff, v62
	s_delay_alu instid0(VALU_DEP_1) | instskip(NEXT) | instid1(VALU_DEP_1)
	v_dual_lshrrev_b32 v63, s43, v63 :: v_dual_bitop2_b32 v62, -1, v62 bitop3:0x14
	v_and_b32_e32 v63, s48, v63
	s_delay_alu instid0(VALU_DEP_1)
	v_lshlrev_b32_e32 v63, 2, v63
	ds_load_b32 v63, v63
	s_wait_dscnt 0x0
	v_add_nc_u32_e32 v63, v63, v81
	global_store_b8 v63, v62, s[40:41]
	s_wait_xcnt 0x0
	s_or_b32 exec_lo, exec_lo, s33
	v_cmp_lt_u32_e64 s33, v82, v137
	s_and_saveexec_b32 s60, s33
	s_cbranch_execnz .LBB112_505
	s_branch .LBB112_506
.LBB112_577:                            ;   in Loop: Header=BB112_418 Depth=2
	global_load_b64 v[60:61], v[62:63], off
	s_wait_xcnt 0x0
	s_or_b32 exec_lo, exec_lo, s34
	s_delay_alu instid0(SALU_CYCLE_1)
	s_mov_b32 s60, exec_lo
	v_cmpx_lt_u32_e64 v98, v137
	s_cbranch_execz .LBB112_508
.LBB112_578:                            ;   in Loop: Header=BB112_418 Depth=2
	global_load_b64 v[58:59], v[62:63], off offset:256
	s_wait_xcnt 0x0
	s_or_b32 exec_lo, exec_lo, s60
	s_delay_alu instid0(SALU_CYCLE_1)
	s_mov_b32 s60, exec_lo
	v_cmpx_lt_u32_e64 v99, v137
	s_cbranch_execz .LBB112_509
.LBB112_579:                            ;   in Loop: Header=BB112_418 Depth=2
	global_load_b64 v[56:57], v[62:63], off offset:512
	s_wait_xcnt 0x0
	s_or_b32 exec_lo, exec_lo, s60
	s_delay_alu instid0(SALU_CYCLE_1)
	s_mov_b32 s60, exec_lo
	v_cmpx_lt_u32_e64 v100, v137
	s_cbranch_execz .LBB112_510
.LBB112_580:                            ;   in Loop: Header=BB112_418 Depth=2
	global_load_b64 v[54:55], v[62:63], off offset:768
	s_wait_xcnt 0x0
	s_or_b32 exec_lo, exec_lo, s60
	s_delay_alu instid0(SALU_CYCLE_1)
	s_mov_b32 s60, exec_lo
	v_cmpx_lt_u32_e64 v101, v137
	s_cbranch_execz .LBB112_511
.LBB112_581:                            ;   in Loop: Header=BB112_418 Depth=2
	global_load_b64 v[52:53], v[62:63], off offset:1024
	s_wait_xcnt 0x0
	s_or_b32 exec_lo, exec_lo, s60
	s_delay_alu instid0(SALU_CYCLE_1)
	s_mov_b32 s60, exec_lo
	v_cmpx_lt_u32_e64 v102, v137
	s_cbranch_execz .LBB112_512
.LBB112_582:                            ;   in Loop: Header=BB112_418 Depth=2
	global_load_b64 v[50:51], v[62:63], off offset:1280
	s_wait_xcnt 0x0
	s_or_b32 exec_lo, exec_lo, s60
	s_delay_alu instid0(SALU_CYCLE_1)
	s_mov_b32 s60, exec_lo
	v_cmpx_lt_u32_e64 v103, v137
	s_cbranch_execz .LBB112_513
.LBB112_583:                            ;   in Loop: Header=BB112_418 Depth=2
	global_load_b64 v[48:49], v[62:63], off offset:1536
	s_wait_xcnt 0x0
	s_or_b32 exec_lo, exec_lo, s60
	s_delay_alu instid0(SALU_CYCLE_1)
	s_mov_b32 s60, exec_lo
	v_cmpx_lt_u32_e64 v104, v137
	s_cbranch_execz .LBB112_514
.LBB112_584:                            ;   in Loop: Header=BB112_418 Depth=2
	global_load_b64 v[46:47], v[62:63], off offset:1792
	s_wait_xcnt 0x0
	s_or_b32 exec_lo, exec_lo, s60
	s_delay_alu instid0(SALU_CYCLE_1)
	s_mov_b32 s60, exec_lo
	v_cmpx_lt_u32_e64 v105, v137
	s_cbranch_execz .LBB112_515
.LBB112_585:                            ;   in Loop: Header=BB112_418 Depth=2
	global_load_b64 v[44:45], v[62:63], off offset:2048
	s_wait_xcnt 0x0
	s_or_b32 exec_lo, exec_lo, s60
	s_delay_alu instid0(SALU_CYCLE_1)
	s_mov_b32 s60, exec_lo
	v_cmpx_lt_u32_e64 v106, v137
	s_cbranch_execz .LBB112_516
.LBB112_586:                            ;   in Loop: Header=BB112_418 Depth=2
	global_load_b64 v[42:43], v[62:63], off offset:2304
	s_wait_xcnt 0x0
	s_or_b32 exec_lo, exec_lo, s60
	s_delay_alu instid0(SALU_CYCLE_1)
	s_mov_b32 s60, exec_lo
	v_cmpx_lt_u32_e64 v107, v137
	s_cbranch_execz .LBB112_517
.LBB112_587:                            ;   in Loop: Header=BB112_418 Depth=2
	global_load_b64 v[40:41], v[62:63], off offset:2560
	s_wait_xcnt 0x0
	s_or_b32 exec_lo, exec_lo, s60
	s_delay_alu instid0(SALU_CYCLE_1)
	s_mov_b32 s60, exec_lo
	v_cmpx_lt_u32_e64 v108, v137
	s_cbranch_execz .LBB112_518
.LBB112_588:                            ;   in Loop: Header=BB112_418 Depth=2
	global_load_b64 v[38:39], v[62:63], off offset:2816
	s_wait_xcnt 0x0
	s_or_b32 exec_lo, exec_lo, s60
	s_delay_alu instid0(SALU_CYCLE_1)
	s_mov_b32 s60, exec_lo
	v_cmpx_lt_u32_e64 v109, v137
	s_cbranch_execz .LBB112_519
.LBB112_589:                            ;   in Loop: Header=BB112_418 Depth=2
	global_load_b64 v[36:37], v[62:63], off offset:3072
	s_wait_xcnt 0x0
	s_or_b32 exec_lo, exec_lo, s60
	s_delay_alu instid0(SALU_CYCLE_1)
	s_mov_b32 s60, exec_lo
	v_cmpx_lt_u32_e64 v110, v137
	s_cbranch_execz .LBB112_520
.LBB112_590:                            ;   in Loop: Header=BB112_418 Depth=2
	global_load_b64 v[34:35], v[62:63], off offset:3328
	s_wait_xcnt 0x0
	s_or_b32 exec_lo, exec_lo, s60
	s_delay_alu instid0(SALU_CYCLE_1)
	s_mov_b32 s60, exec_lo
	v_cmpx_lt_u32_e64 v111, v137
	s_cbranch_execz .LBB112_521
.LBB112_591:                            ;   in Loop: Header=BB112_418 Depth=2
	global_load_b64 v[32:33], v[62:63], off offset:3584
	s_wait_xcnt 0x0
	s_or_b32 exec_lo, exec_lo, s60
	s_delay_alu instid0(SALU_CYCLE_1)
	s_mov_b32 s60, exec_lo
	v_cmpx_lt_u32_e64 v112, v137
	s_cbranch_execz .LBB112_522
.LBB112_592:                            ;   in Loop: Header=BB112_418 Depth=2
	global_load_b64 v[30:31], v[62:63], off offset:3840
	s_wait_xcnt 0x0
	s_or_b32 exec_lo, exec_lo, s60
	s_delay_alu instid0(SALU_CYCLE_1)
	s_mov_b32 s60, exec_lo
	v_cmpx_lt_u32_e64 v113, v137
	s_cbranch_execz .LBB112_523
.LBB112_593:                            ;   in Loop: Header=BB112_418 Depth=2
	global_load_b64 v[28:29], v[62:63], off offset:4096
	s_wait_xcnt 0x0
	s_or_b32 exec_lo, exec_lo, s60
	s_and_saveexec_b32 s34, vcc_lo
	s_cbranch_execz .LBB112_524
.LBB112_594:                            ;   in Loop: Header=BB112_418 Depth=2
	ds_load_u8 v62, v2 offset:512
	s_wait_dscnt 0x0
	v_lshrrev_b32_e32 v62, s43, v62
	s_delay_alu instid0(VALU_DEP_1)
	v_and_b32_e32 v132, s48, v62
	s_or_b32 exec_lo, exec_lo, s34
	s_and_saveexec_b32 s34, s17
	s_cbranch_execz .LBB112_525
.LBB112_595:                            ;   in Loop: Header=BB112_418 Depth=2
	ds_load_u8 v62, v2 offset:768
	s_wait_dscnt 0x0
	v_lshrrev_b32_e32 v62, s43, v62
	s_delay_alu instid0(VALU_DEP_1)
	v_and_b32_e32 v131, s48, v62
	s_or_b32 exec_lo, exec_lo, s34
	s_and_saveexec_b32 s34, s18
	s_cbranch_execz .LBB112_526
.LBB112_596:                            ;   in Loop: Header=BB112_418 Depth=2
	ds_load_u8 v62, v2 offset:1024
	s_wait_dscnt 0x0
	v_lshrrev_b32_e32 v62, s43, v62
	s_delay_alu instid0(VALU_DEP_1)
	v_and_b32_e32 v130, s48, v62
	s_or_b32 exec_lo, exec_lo, s34
	s_and_saveexec_b32 s34, s19
	s_cbranch_execz .LBB112_527
.LBB112_597:                            ;   in Loop: Header=BB112_418 Depth=2
	ds_load_u8 v62, v2 offset:1280
	s_wait_dscnt 0x0
	v_lshrrev_b32_e32 v62, s43, v62
	s_delay_alu instid0(VALU_DEP_1)
	v_and_b32_e32 v129, s48, v62
	s_or_b32 exec_lo, exec_lo, s34
	s_and_saveexec_b32 s34, s20
	s_cbranch_execz .LBB112_528
.LBB112_598:                            ;   in Loop: Header=BB112_418 Depth=2
	ds_load_u8 v62, v2 offset:1536
	s_wait_dscnt 0x0
	v_lshrrev_b32_e32 v62, s43, v62
	s_delay_alu instid0(VALU_DEP_1)
	v_and_b32_e32 v128, s48, v62
	s_or_b32 exec_lo, exec_lo, s34
	s_and_saveexec_b32 s34, s21
	s_cbranch_execz .LBB112_529
.LBB112_599:                            ;   in Loop: Header=BB112_418 Depth=2
	ds_load_u8 v62, v2 offset:1792
	s_wait_dscnt 0x0
	v_lshrrev_b32_e32 v62, s43, v62
	s_delay_alu instid0(VALU_DEP_1)
	v_and_b32_e32 v127, s48, v62
	s_or_b32 exec_lo, exec_lo, s34
	s_and_saveexec_b32 s34, s22
	s_cbranch_execz .LBB112_530
.LBB112_600:                            ;   in Loop: Header=BB112_418 Depth=2
	ds_load_u8 v62, v2 offset:2048
	s_wait_dscnt 0x0
	v_lshrrev_b32_e32 v62, s43, v62
	s_delay_alu instid0(VALU_DEP_1)
	v_and_b32_e32 v126, s48, v62
	s_or_b32 exec_lo, exec_lo, s34
	s_and_saveexec_b32 s34, s23
	s_cbranch_execz .LBB112_531
.LBB112_601:                            ;   in Loop: Header=BB112_418 Depth=2
	ds_load_u8 v62, v2 offset:2304
	s_wait_dscnt 0x0
	v_lshrrev_b32_e32 v62, s43, v62
	s_delay_alu instid0(VALU_DEP_1)
	v_and_b32_e32 v125, s48, v62
	s_or_b32 exec_lo, exec_lo, s34
	s_and_saveexec_b32 s34, s24
	s_cbranch_execz .LBB112_532
.LBB112_602:                            ;   in Loop: Header=BB112_418 Depth=2
	ds_load_u8 v62, v2 offset:2560
	s_wait_dscnt 0x0
	v_lshrrev_b32_e32 v62, s43, v62
	s_delay_alu instid0(VALU_DEP_1)
	v_and_b32_e32 v124, s48, v62
	s_or_b32 exec_lo, exec_lo, s34
	s_and_saveexec_b32 s34, s25
	s_cbranch_execz .LBB112_533
.LBB112_603:                            ;   in Loop: Header=BB112_418 Depth=2
	ds_load_u8 v62, v2 offset:2816
	s_wait_dscnt 0x0
	v_lshrrev_b32_e32 v62, s43, v62
	s_delay_alu instid0(VALU_DEP_1)
	v_and_b32_e32 v123, s48, v62
	s_or_b32 exec_lo, exec_lo, s34
	s_and_saveexec_b32 s34, s26
	s_cbranch_execz .LBB112_534
.LBB112_604:                            ;   in Loop: Header=BB112_418 Depth=2
	ds_load_u8 v62, v2 offset:3072
	s_wait_dscnt 0x0
	v_lshrrev_b32_e32 v62, s43, v62
	s_delay_alu instid0(VALU_DEP_1)
	v_and_b32_e32 v122, s48, v62
	s_or_b32 exec_lo, exec_lo, s34
	s_and_saveexec_b32 s34, s27
	s_cbranch_execz .LBB112_535
.LBB112_605:                            ;   in Loop: Header=BB112_418 Depth=2
	ds_load_u8 v62, v2 offset:3328
	s_wait_dscnt 0x0
	v_lshrrev_b32_e32 v62, s43, v62
	s_delay_alu instid0(VALU_DEP_1)
	v_and_b32_e32 v120, s48, v62
	s_or_b32 exec_lo, exec_lo, s34
	s_and_saveexec_b32 s34, s28
	s_cbranch_execz .LBB112_536
.LBB112_606:                            ;   in Loop: Header=BB112_418 Depth=2
	ds_load_u8 v62, v2 offset:3584
	s_wait_dscnt 0x0
	v_lshrrev_b32_e32 v62, s43, v62
	s_delay_alu instid0(VALU_DEP_1)
	v_and_b32_e32 v119, s48, v62
	s_or_b32 exec_lo, exec_lo, s34
	s_and_saveexec_b32 s34, s29
	s_cbranch_execz .LBB112_537
.LBB112_607:                            ;   in Loop: Header=BB112_418 Depth=2
	ds_load_u8 v62, v2 offset:3840
	s_wait_dscnt 0x0
	v_lshrrev_b32_e32 v62, s43, v62
	s_delay_alu instid0(VALU_DEP_1)
	v_and_b32_e32 v118, s48, v62
	s_or_b32 exec_lo, exec_lo, s34
	s_and_saveexec_b32 s34, s30
	s_cbranch_execz .LBB112_538
.LBB112_608:                            ;   in Loop: Header=BB112_418 Depth=2
	ds_load_u8 v62, v2 offset:4096
	s_wait_dscnt 0x0
	v_lshrrev_b32_e32 v62, s43, v62
	s_delay_alu instid0(VALU_DEP_1)
	v_and_b32_e32 v117, s48, v62
	s_or_b32 exec_lo, exec_lo, s34
	s_and_saveexec_b32 s34, s31
	s_cbranch_execz .LBB112_539
.LBB112_609:                            ;   in Loop: Header=BB112_418 Depth=2
	ds_load_u8 v62, v2 offset:4352
	s_wait_dscnt 0x0
	v_lshrrev_b32_e32 v62, s43, v62
	s_delay_alu instid0(VALU_DEP_1)
	v_and_b32_e32 v116, s48, v62
	s_or_b32 exec_lo, exec_lo, s34
	s_and_saveexec_b32 s34, s33
	s_cbranch_execnz .LBB112_540
	s_branch .LBB112_541
.LBB112_610:                            ;   in Loop: Header=BB112_418 Depth=2
	v_dual_lshlrev_b32 v62, 2, v132 :: v_dual_add_nc_u32 v63, v2, v95
	ds_load_b32 v64, v62
	ds_load_b64 v[62:63], v63 offset:512
	s_wait_dscnt 0x1
	v_add_nc_u32_e32 v64, v64, v2
	s_wait_dscnt 0x0
	global_store_b64 v64, v[62:63], s[46:47] scale_offset
	s_wait_xcnt 0x0
	s_or_b32 exec_lo, exec_lo, s34
	s_and_saveexec_b32 s34, s17
	s_cbranch_execz .LBB112_543
.LBB112_611:                            ;   in Loop: Header=BB112_418 Depth=2
	v_lshlrev_b32_e32 v62, 2, v131
	v_add_nc_u32_e32 v63, v2, v95
	ds_load_b32 v64, v62
	ds_load_b64 v[62:63], v63 offset:2560
	s_wait_dscnt 0x1
	v_add_nc_u32_e32 v64, v64, v67
	s_wait_dscnt 0x0
	global_store_b64 v64, v[62:63], s[46:47] scale_offset
	s_wait_xcnt 0x0
	s_or_b32 exec_lo, exec_lo, s34
	s_and_saveexec_b32 s17, s18
	s_cbranch_execz .LBB112_544
.LBB112_612:                            ;   in Loop: Header=BB112_418 Depth=2
	v_dual_lshlrev_b32 v62, 2, v130 :: v_dual_add_nc_u32 v63, v2, v95
	ds_load_b32 v64, v62
	ds_load_b64 v[62:63], v63 offset:4608
	s_wait_dscnt 0x1
	v_add_nc_u32_e32 v64, v64, v68
	s_wait_dscnt 0x0
	global_store_b64 v64, v[62:63], s[46:47] scale_offset
	s_wait_xcnt 0x0
	s_or_b32 exec_lo, exec_lo, s17
	s_and_saveexec_b32 s17, s19
	s_cbranch_execz .LBB112_545
.LBB112_613:                            ;   in Loop: Header=BB112_418 Depth=2
	v_dual_lshlrev_b32 v62, 2, v129 :: v_dual_add_nc_u32 v63, v2, v95
	ds_load_b32 v64, v62
	ds_load_b64 v[62:63], v63 offset:6656
	s_wait_dscnt 0x1
	v_add_nc_u32_e32 v64, v64, v69
	s_wait_dscnt 0x0
	global_store_b64 v64, v[62:63], s[46:47] scale_offset
	s_wait_xcnt 0x0
	s_or_b32 exec_lo, exec_lo, s17
	s_and_saveexec_b32 s17, s20
	s_cbranch_execz .LBB112_546
.LBB112_614:                            ;   in Loop: Header=BB112_418 Depth=2
	v_dual_lshlrev_b32 v62, 2, v128 :: v_dual_add_nc_u32 v63, v2, v95
	ds_load_b32 v64, v62
	ds_load_b64 v[62:63], v63 offset:8704
	s_wait_dscnt 0x1
	v_add_nc_u32_e32 v64, v64, v70
	s_wait_dscnt 0x0
	global_store_b64 v64, v[62:63], s[46:47] scale_offset
	s_wait_xcnt 0x0
	s_or_b32 exec_lo, exec_lo, s17
	s_and_saveexec_b32 s17, s21
	s_cbranch_execz .LBB112_547
.LBB112_615:                            ;   in Loop: Header=BB112_418 Depth=2
	v_lshlrev_b32_e32 v62, 2, v127
	v_add_nc_u32_e32 v63, v2, v95
	ds_load_b32 v64, v62
	ds_load_b64 v[62:63], v63 offset:10752
	s_wait_dscnt 0x1
	v_add_nc_u32_e32 v64, v64, v71
	s_wait_dscnt 0x0
	global_store_b64 v64, v[62:63], s[46:47] scale_offset
	s_wait_xcnt 0x0
	s_or_b32 exec_lo, exec_lo, s17
	s_and_saveexec_b32 s17, s22
	s_cbranch_execz .LBB112_548
.LBB112_616:                            ;   in Loop: Header=BB112_418 Depth=2
	v_dual_lshlrev_b32 v62, 2, v126 :: v_dual_add_nc_u32 v63, v2, v95
	ds_load_b32 v64, v62
	ds_load_b64 v[62:63], v63 offset:12800
	s_wait_dscnt 0x1
	v_add_nc_u32_e32 v64, v64, v72
	s_wait_dscnt 0x0
	global_store_b64 v64, v[62:63], s[46:47] scale_offset
	s_wait_xcnt 0x0
	s_or_b32 exec_lo, exec_lo, s17
	s_and_saveexec_b32 s17, s23
	s_cbranch_execz .LBB112_549
.LBB112_617:                            ;   in Loop: Header=BB112_418 Depth=2
	v_dual_lshlrev_b32 v62, 2, v125 :: v_dual_add_nc_u32 v63, v2, v95
	ds_load_b32 v64, v62
	ds_load_b64 v[62:63], v63 offset:14848
	s_wait_dscnt 0x1
	v_add_nc_u32_e32 v64, v64, v73
	s_wait_dscnt 0x0
	global_store_b64 v64, v[62:63], s[46:47] scale_offset
	s_wait_xcnt 0x0
	s_or_b32 exec_lo, exec_lo, s17
	s_and_saveexec_b32 s17, s24
	s_cbranch_execz .LBB112_550
.LBB112_618:                            ;   in Loop: Header=BB112_418 Depth=2
	v_dual_lshlrev_b32 v62, 2, v124 :: v_dual_add_nc_u32 v63, v2, v95
	ds_load_b32 v64, v62
	ds_load_b64 v[62:63], v63 offset:16896
	s_wait_dscnt 0x1
	v_add_nc_u32_e32 v64, v64, v74
	s_wait_dscnt 0x0
	global_store_b64 v64, v[62:63], s[46:47] scale_offset
	s_wait_xcnt 0x0
	s_or_b32 exec_lo, exec_lo, s17
	s_and_saveexec_b32 s17, s25
	s_cbranch_execz .LBB112_551
.LBB112_619:                            ;   in Loop: Header=BB112_418 Depth=2
	v_lshlrev_b32_e32 v62, 2, v123
	v_add_nc_u32_e32 v63, v2, v95
	ds_load_b32 v64, v62
	ds_load_b64 v[62:63], v63 offset:18944
	s_wait_dscnt 0x1
	v_add_nc_u32_e32 v64, v64, v75
	s_wait_dscnt 0x0
	global_store_b64 v64, v[62:63], s[46:47] scale_offset
	s_wait_xcnt 0x0
	s_or_b32 exec_lo, exec_lo, s17
	s_and_saveexec_b32 s17, s26
	s_cbranch_execz .LBB112_552
.LBB112_620:                            ;   in Loop: Header=BB112_418 Depth=2
	v_dual_lshlrev_b32 v62, 2, v122 :: v_dual_add_nc_u32 v63, v2, v95
	ds_load_b32 v64, v62
	ds_load_b64 v[62:63], v63 offset:20992
	s_wait_dscnt 0x1
	v_add_nc_u32_e32 v64, v64, v76
	s_wait_dscnt 0x0
	global_store_b64 v64, v[62:63], s[46:47] scale_offset
	s_wait_xcnt 0x0
	s_or_b32 exec_lo, exec_lo, s17
	s_and_saveexec_b32 s17, s27
	s_cbranch_execz .LBB112_553
.LBB112_621:                            ;   in Loop: Header=BB112_418 Depth=2
	v_dual_lshlrev_b32 v62, 2, v120 :: v_dual_add_nc_u32 v63, v2, v95
	ds_load_b32 v64, v62
	ds_load_b64 v[62:63], v63 offset:23040
	s_wait_dscnt 0x1
	v_add_nc_u32_e32 v64, v64, v77
	s_wait_dscnt 0x0
	global_store_b64 v64, v[62:63], s[46:47] scale_offset
	s_wait_xcnt 0x0
	s_or_b32 exec_lo, exec_lo, s17
	s_and_saveexec_b32 s17, s28
	s_cbranch_execz .LBB112_554
.LBB112_622:                            ;   in Loop: Header=BB112_418 Depth=2
	v_lshlrev_b32_e32 v62, 2, v119
	v_add_nc_u32_e32 v63, v2, v95
	ds_load_b32 v64, v62
	ds_load_b64 v[62:63], v63 offset:25088
	s_wait_dscnt 0x1
	v_add_nc_u32_e32 v64, v64, v78
	s_wait_dscnt 0x0
	global_store_b64 v64, v[62:63], s[46:47] scale_offset
	s_wait_xcnt 0x0
	s_or_b32 exec_lo, exec_lo, s17
	s_and_saveexec_b32 s17, s29
	s_cbranch_execz .LBB112_555
.LBB112_623:                            ;   in Loop: Header=BB112_418 Depth=2
	v_dual_lshlrev_b32 v62, 2, v118 :: v_dual_add_nc_u32 v63, v2, v95
	ds_load_b32 v64, v62
	ds_load_b64 v[62:63], v63 offset:27136
	s_wait_dscnt 0x1
	v_add_nc_u32_e32 v64, v64, v79
	s_wait_dscnt 0x0
	global_store_b64 v64, v[62:63], s[46:47] scale_offset
	s_wait_xcnt 0x0
	s_or_b32 exec_lo, exec_lo, s17
	s_and_saveexec_b32 s17, s30
	s_cbranch_execz .LBB112_556
.LBB112_624:                            ;   in Loop: Header=BB112_418 Depth=2
	v_dual_lshlrev_b32 v62, 2, v117 :: v_dual_add_nc_u32 v63, v2, v95
	ds_load_b32 v64, v62
	ds_load_b64 v[62:63], v63 offset:29184
	s_wait_dscnt 0x1
	v_add_nc_u32_e32 v64, v64, v80
	s_wait_dscnt 0x0
	global_store_b64 v64, v[62:63], s[46:47] scale_offset
	s_wait_xcnt 0x0
	s_or_b32 exec_lo, exec_lo, s17
	s_and_saveexec_b32 s17, s31
	s_cbranch_execz .LBB112_557
.LBB112_625:                            ;   in Loop: Header=BB112_418 Depth=2
	v_dual_lshlrev_b32 v62, 2, v116 :: v_dual_add_nc_u32 v63, v2, v95
	ds_load_b32 v64, v62
	ds_load_b64 v[62:63], v63 offset:31232
	s_wait_dscnt 0x1
	v_add_nc_u32_e32 v64, v64, v81
	s_wait_dscnt 0x0
	global_store_b64 v64, v[62:63], s[46:47] scale_offset
	s_wait_xcnt 0x0
	s_or_b32 exec_lo, exec_lo, s17
	s_and_saveexec_b32 s17, s33
	s_cbranch_execnz .LBB112_558
	s_branch .LBB112_559
.LBB112_626:                            ;   in Loop: Header=BB112_418 Depth=2
	global_load_u8 v151, v[62:63], off offset:32
	s_wait_xcnt 0x0
	s_or_b32 exec_lo, exec_lo, s17
	s_delay_alu instid0(SALU_CYCLE_1)
	s_mov_b32 s17, exec_lo
	v_cmpx_gt_u32_e64 s58, v99
	s_cbranch_execz .LBB112_425
.LBB112_627:                            ;   in Loop: Header=BB112_418 Depth=2
	global_load_u8 v148, v[62:63], off offset:64
	s_wait_xcnt 0x0
	s_or_b32 exec_lo, exec_lo, s17
	s_delay_alu instid0(SALU_CYCLE_1)
	s_mov_b32 s17, exec_lo
	v_cmpx_gt_u32_e64 s58, v100
	s_cbranch_execz .LBB112_426
.LBB112_628:                            ;   in Loop: Header=BB112_418 Depth=2
	global_load_u8 v150, v[62:63], off offset:96
	s_wait_xcnt 0x0
	s_or_b32 exec_lo, exec_lo, s17
	s_delay_alu instid0(SALU_CYCLE_1)
	s_mov_b32 s17, exec_lo
	v_cmpx_gt_u32_e64 s58, v101
	s_cbranch_execz .LBB112_427
.LBB112_629:                            ;   in Loop: Header=BB112_418 Depth=2
	global_load_u8 v142, v[62:63], off offset:128
	s_wait_xcnt 0x0
	s_or_b32 exec_lo, exec_lo, s17
	s_delay_alu instid0(SALU_CYCLE_1)
	s_mov_b32 s17, exec_lo
	v_cmpx_gt_u32_e64 s58, v102
	s_cbranch_execz .LBB112_428
.LBB112_630:                            ;   in Loop: Header=BB112_418 Depth=2
	global_load_u8 v144, v[62:63], off offset:160
	s_wait_xcnt 0x0
	s_or_b32 exec_lo, exec_lo, s17
	s_delay_alu instid0(SALU_CYCLE_1)
	s_mov_b32 s17, exec_lo
	v_cmpx_gt_u32_e64 s58, v103
	s_cbranch_execz .LBB112_429
.LBB112_631:                            ;   in Loop: Header=BB112_418 Depth=2
	global_load_u8 v143, v[62:63], off offset:192
	s_wait_xcnt 0x0
	s_or_b32 exec_lo, exec_lo, s17
	s_delay_alu instid0(SALU_CYCLE_1)
	s_mov_b32 s17, exec_lo
	v_cmpx_gt_u32_e64 s58, v104
	s_cbranch_execz .LBB112_430
.LBB112_632:                            ;   in Loop: Header=BB112_418 Depth=2
	global_load_u8 v145, v[62:63], off offset:224
	s_wait_xcnt 0x0
	s_or_b32 exec_lo, exec_lo, s17
	s_delay_alu instid0(SALU_CYCLE_1)
	s_mov_b32 s17, exec_lo
	v_cmpx_gt_u32_e64 s58, v105
	s_cbranch_execz .LBB112_431
.LBB112_633:                            ;   in Loop: Header=BB112_418 Depth=2
	global_load_u8 v138, v[62:63], off offset:256
	s_wait_xcnt 0x0
	s_or_b32 exec_lo, exec_lo, s17
	s_delay_alu instid0(SALU_CYCLE_1)
	s_mov_b32 s17, exec_lo
	v_cmpx_gt_u32_e64 s58, v106
	s_cbranch_execz .LBB112_432
.LBB112_634:                            ;   in Loop: Header=BB112_418 Depth=2
	global_load_u8 v140, v[62:63], off offset:288
	s_wait_xcnt 0x0
	s_or_b32 exec_lo, exec_lo, s17
	s_delay_alu instid0(SALU_CYCLE_1)
	s_mov_b32 s17, exec_lo
	v_cmpx_gt_u32_e64 s58, v107
	s_cbranch_execz .LBB112_433
.LBB112_635:                            ;   in Loop: Header=BB112_418 Depth=2
	global_load_u8 v139, v[62:63], off offset:320
	s_wait_xcnt 0x0
	s_or_b32 exec_lo, exec_lo, s17
	s_delay_alu instid0(SALU_CYCLE_1)
	s_mov_b32 s17, exec_lo
	v_cmpx_gt_u32_e64 s58, v108
	s_cbranch_execz .LBB112_434
.LBB112_636:                            ;   in Loop: Header=BB112_418 Depth=2
	global_load_u8 v141, v[62:63], off offset:352
	s_wait_xcnt 0x0
	s_or_b32 exec_lo, exec_lo, s17
	s_delay_alu instid0(SALU_CYCLE_1)
	s_mov_b32 s17, exec_lo
	v_cmpx_gt_u32_e64 s58, v109
	s_cbranch_execz .LBB112_435
.LBB112_637:                            ;   in Loop: Header=BB112_418 Depth=2
	global_load_u8 v64, v[62:63], off offset:384
	s_wait_xcnt 0x0
	s_or_b32 exec_lo, exec_lo, s17
	s_delay_alu instid0(SALU_CYCLE_1)
	s_mov_b32 s17, exec_lo
	v_cmpx_gt_u32_e64 s58, v110
	s_cbranch_execz .LBB112_436
.LBB112_638:                            ;   in Loop: Header=BB112_418 Depth=2
	global_load_u8 v135, v[62:63], off offset:416
	s_wait_xcnt 0x0
	s_or_b32 exec_lo, exec_lo, s17
	s_delay_alu instid0(SALU_CYCLE_1)
	s_mov_b32 s17, exec_lo
	v_cmpx_gt_u32_e64 s58, v111
	s_cbranch_execz .LBB112_437
.LBB112_639:                            ;   in Loop: Header=BB112_418 Depth=2
	global_load_u8 v65, v[62:63], off offset:448
	s_wait_xcnt 0x0
	s_or_b32 exec_lo, exec_lo, s17
	s_delay_alu instid0(SALU_CYCLE_1)
	s_mov_b32 s17, exec_lo
	v_cmpx_gt_u32_e64 s58, v112
	s_cbranch_execnz .LBB112_438
	s_branch .LBB112_439
.LBB112_640:                            ;   in Loop: Header=BB112_20 Depth=1
	s_wait_dscnt 0x0
	s_barrier_signal -1
	s_barrier_wait -1
.LBB112_641:                            ;   in Loop: Header=BB112_20 Depth=1
	s_mov_b32 s8, 0
.LBB112_642:                            ;   in Loop: Header=BB112_20 Depth=1
	s_delay_alu instid0(SALU_CYCLE_1)
	s_and_not1_b32 vcc_lo, exec_lo, s8
	s_cbranch_vccnz .LBB112_19
; %bb.643:                              ;   in Loop: Header=BB112_20 Depth=1
	s_and_b32 vcc_lo, exec_lo, s56
	s_mov_b32 s8, -1
	s_cbranch_vccz .LBB112_953
; %bb.644:                              ;   in Loop: Header=BB112_20 Depth=1
	v_dual_mov_b32 v39, 0 :: v_dual_mov_b32 v42, 0
	v_dual_mov_b32 v41, 0 :: v_dual_mov_b32 v40, 0
	;; [unrolled: 1-line block ×8, first 2 shown]
	v_mov_b32_e32 v26, 0
	s_mov_b32 s8, s57
	s_mov_b32 s34, s55
	s_barrier_signal -1
	s_barrier_wait -1
	s_branch .LBB112_646
.LBB112_645:                            ;   in Loop: Header=BB112_646 Depth=2
	s_or_b32 exec_lo, exec_lo, s10
	s_addk_co_i32 s8, 0xef00
	s_cmp_ge_u32 s9, s54
	s_mov_b32 s34, s9
	s_cbranch_scc1 .LBB112_718
.LBB112_646:                            ;   Parent Loop BB112_20 Depth=1
                                        ; =>  This Inner Loop Header: Depth=2
	s_add_co_i32 s9, s34, 0x1100
	s_mov_b32 s10, -1
	s_cmp_gt_u32 s9, s54
                                        ; implicit-def: $vgpr24
                                        ; implicit-def: $vgpr25
                                        ; implicit-def: $vgpr43
                                        ; implicit-def: $vgpr44
                                        ; implicit-def: $vgpr45
                                        ; implicit-def: $vgpr46
                                        ; implicit-def: $vgpr47
                                        ; implicit-def: $vgpr48
                                        ; implicit-def: $vgpr49
                                        ; implicit-def: $vgpr50
                                        ; implicit-def: $vgpr51
                                        ; implicit-def: $vgpr52
                                        ; implicit-def: $vgpr53
                                        ; implicit-def: $vgpr54
                                        ; implicit-def: $vgpr55
                                        ; implicit-def: $vgpr56
                                        ; implicit-def: $vgpr57
	s_cbranch_scc1 .LBB112_648
; %bb.647:                              ;   in Loop: Header=BB112_646 Depth=2
	v_add_nc_u64_e32 v[58:59], s[34:35], v[18:19]
	s_mov_b32 s10, 0
	s_clause 0x10
	global_load_u8 v57, v[58:59], off offset:4096
	global_load_u8 v56, v[58:59], off offset:3840
	global_load_u8 v55, v[58:59], off offset:3584
	global_load_u8 v54, v[58:59], off offset:3328
	global_load_u8 v53, v[58:59], off offset:3072
	global_load_u8 v52, v[58:59], off offset:2816
	global_load_u8 v51, v[58:59], off offset:2560
	global_load_u8 v50, v[58:59], off offset:2304
	global_load_u8 v49, v[58:59], off offset:2048
	global_load_u8 v48, v[58:59], off offset:1792
	global_load_u8 v47, v[58:59], off offset:1536
	global_load_u8 v46, v[58:59], off offset:1280
	global_load_u8 v45, v[58:59], off offset:1024
	global_load_u8 v44, v[58:59], off offset:768
	global_load_u8 v43, v[58:59], off offset:512
	global_load_u8 v25, v[58:59], off offset:256
	global_load_u8 v24, v[58:59], off
.LBB112_648:                            ;   in Loop: Header=BB112_646 Depth=2
	s_and_not1_b32 vcc_lo, exec_lo, s10
	s_movk_i32 s10, 0x1100
	s_cbranch_vccnz .LBB112_668
; %bb.649:                              ;   in Loop: Header=BB112_646 Depth=2
	s_add_nc_u64 s[10:11], s[36:37], s[34:35]
	s_wait_loadcnt 0x0
	v_add_nc_u64_e32 v[24:25], s[10:11], v[2:3]
	s_mov_b32 s10, exec_lo
	s_wait_xcnt 0x0
	v_cmpx_gt_u32_e64 s8, v2
	s_cbranch_execnz .LBB112_702
; %bb.650:                              ;   in Loop: Header=BB112_646 Depth=2
	s_or_b32 exec_lo, exec_lo, s10
	s_delay_alu instid0(SALU_CYCLE_1)
	s_mov_b32 s10, exec_lo
	v_cmpx_gt_u32_e64 s8, v67
	s_cbranch_execnz .LBB112_703
.LBB112_651:                            ;   in Loop: Header=BB112_646 Depth=2
	s_or_b32 exec_lo, exec_lo, s10
	s_delay_alu instid0(SALU_CYCLE_1)
	s_mov_b32 s10, exec_lo
	v_cmpx_gt_u32_e64 s8, v68
	s_cbranch_execnz .LBB112_704
.LBB112_652:                            ;   in Loop: Header=BB112_646 Depth=2
	s_or_b32 exec_lo, exec_lo, s10
	s_delay_alu instid0(SALU_CYCLE_1)
	s_mov_b32 s10, exec_lo
	v_cmpx_gt_u32_e64 s8, v69
	s_cbranch_execnz .LBB112_705
.LBB112_653:                            ;   in Loop: Header=BB112_646 Depth=2
	s_or_b32 exec_lo, exec_lo, s10
	s_delay_alu instid0(SALU_CYCLE_1)
	s_mov_b32 s10, exec_lo
	v_cmpx_gt_u32_e64 s8, v70
	s_cbranch_execnz .LBB112_706
.LBB112_654:                            ;   in Loop: Header=BB112_646 Depth=2
	s_or_b32 exec_lo, exec_lo, s10
	s_delay_alu instid0(SALU_CYCLE_1)
	s_mov_b32 s10, exec_lo
	v_cmpx_gt_u32_e64 s8, v71
	s_cbranch_execnz .LBB112_707
.LBB112_655:                            ;   in Loop: Header=BB112_646 Depth=2
	s_or_b32 exec_lo, exec_lo, s10
	s_delay_alu instid0(SALU_CYCLE_1)
	s_mov_b32 s10, exec_lo
	v_cmpx_gt_u32_e64 s8, v72
	s_cbranch_execnz .LBB112_708
.LBB112_656:                            ;   in Loop: Header=BB112_646 Depth=2
	s_or_b32 exec_lo, exec_lo, s10
	s_delay_alu instid0(SALU_CYCLE_1)
	s_mov_b32 s10, exec_lo
	v_cmpx_gt_u32_e64 s8, v73
	s_cbranch_execnz .LBB112_709
.LBB112_657:                            ;   in Loop: Header=BB112_646 Depth=2
	s_or_b32 exec_lo, exec_lo, s10
	s_delay_alu instid0(SALU_CYCLE_1)
	s_mov_b32 s10, exec_lo
	v_cmpx_gt_u32_e64 s8, v74
	s_cbranch_execnz .LBB112_710
.LBB112_658:                            ;   in Loop: Header=BB112_646 Depth=2
	s_or_b32 exec_lo, exec_lo, s10
	s_delay_alu instid0(SALU_CYCLE_1)
	s_mov_b32 s10, exec_lo
	v_cmpx_gt_u32_e64 s8, v75
	s_cbranch_execnz .LBB112_711
.LBB112_659:                            ;   in Loop: Header=BB112_646 Depth=2
	s_or_b32 exec_lo, exec_lo, s10
	s_delay_alu instid0(SALU_CYCLE_1)
	s_mov_b32 s10, exec_lo
	v_cmpx_gt_u32_e64 s8, v76
	s_cbranch_execnz .LBB112_712
.LBB112_660:                            ;   in Loop: Header=BB112_646 Depth=2
	s_or_b32 exec_lo, exec_lo, s10
	s_delay_alu instid0(SALU_CYCLE_1)
	s_mov_b32 s10, exec_lo
	v_cmpx_gt_u32_e64 s8, v77
	s_cbranch_execnz .LBB112_713
.LBB112_661:                            ;   in Loop: Header=BB112_646 Depth=2
	s_or_b32 exec_lo, exec_lo, s10
	s_delay_alu instid0(SALU_CYCLE_1)
	s_mov_b32 s10, exec_lo
	v_cmpx_gt_u32_e64 s8, v78
	s_cbranch_execnz .LBB112_714
.LBB112_662:                            ;   in Loop: Header=BB112_646 Depth=2
	s_or_b32 exec_lo, exec_lo, s10
	s_delay_alu instid0(SALU_CYCLE_1)
	s_mov_b32 s10, exec_lo
	v_cmpx_gt_u32_e64 s8, v79
	s_cbranch_execnz .LBB112_715
.LBB112_663:                            ;   in Loop: Header=BB112_646 Depth=2
	s_or_b32 exec_lo, exec_lo, s10
	s_delay_alu instid0(SALU_CYCLE_1)
	s_mov_b32 s10, exec_lo
	v_cmpx_gt_u32_e64 s8, v80
	s_cbranch_execnz .LBB112_716
.LBB112_664:                            ;   in Loop: Header=BB112_646 Depth=2
	s_or_b32 exec_lo, exec_lo, s10
	s_delay_alu instid0(SALU_CYCLE_1)
	s_mov_b32 s10, exec_lo
	v_cmpx_gt_u32_e64 s8, v81
	s_cbranch_execnz .LBB112_717
.LBB112_665:                            ;   in Loop: Header=BB112_646 Depth=2
	s_or_b32 exec_lo, exec_lo, s10
	s_delay_alu instid0(SALU_CYCLE_1)
	s_mov_b32 s10, exec_lo
	v_cmpx_gt_u32_e64 s8, v82
	s_cbranch_execz .LBB112_667
.LBB112_666:                            ;   in Loop: Header=BB112_646 Depth=2
	global_load_u8 v26, v[24:25], off offset:4096
.LBB112_667:                            ;   in Loop: Header=BB112_646 Depth=2
	s_wait_xcnt 0x0
	s_or_b32 exec_lo, exec_lo, s10
	s_wait_loadcnt 0x0
	v_dual_mov_b32 v24, v39 :: v_dual_mov_b32 v25, v42
	v_dual_mov_b32 v43, v41 :: v_dual_mov_b32 v44, v40
	;; [unrolled: 1-line block ×8, first 2 shown]
	v_mov_b32_e32 v57, v26
	s_mov_b32 s10, s8
.LBB112_668:                            ;   in Loop: Header=BB112_646 Depth=2
	s_wait_loadcnt 0xf
	s_delay_alu instid0(VALU_DEP_1)
	v_dual_mov_b32 v26, v57 :: v_dual_mov_b32 v27, v56
	s_wait_loadcnt 0xd
	v_dual_mov_b32 v28, v55 :: v_dual_mov_b32 v29, v54
	s_wait_loadcnt 0xb
	;; [unrolled: 2-line block ×8, first 2 shown]
	v_mov_b32_e32 v39, v24
	s_mov_b32 s11, exec_lo
	s_wait_xcnt 0x0
	v_cmpx_gt_u32_e64 s10, v2
	s_cbranch_execnz .LBB112_685
; %bb.669:                              ;   in Loop: Header=BB112_646 Depth=2
	s_or_b32 exec_lo, exec_lo, s11
	s_delay_alu instid0(SALU_CYCLE_1)
	s_mov_b32 s11, exec_lo
	v_cmpx_gt_u32_e64 s10, v67
	s_cbranch_execnz .LBB112_686
.LBB112_670:                            ;   in Loop: Header=BB112_646 Depth=2
	s_or_b32 exec_lo, exec_lo, s11
	s_delay_alu instid0(SALU_CYCLE_1)
	s_mov_b32 s11, exec_lo
	v_cmpx_gt_u32_e64 s10, v68
	s_cbranch_execnz .LBB112_687
.LBB112_671:                            ;   in Loop: Header=BB112_646 Depth=2
	s_or_b32 exec_lo, exec_lo, s11
	s_delay_alu instid0(SALU_CYCLE_1)
	s_mov_b32 s11, exec_lo
	v_cmpx_gt_u32_e64 s10, v69
	s_cbranch_execnz .LBB112_688
.LBB112_672:                            ;   in Loop: Header=BB112_646 Depth=2
	s_or_b32 exec_lo, exec_lo, s11
	s_delay_alu instid0(SALU_CYCLE_1)
	s_mov_b32 s11, exec_lo
	v_cmpx_gt_u32_e64 s10, v70
	s_cbranch_execnz .LBB112_689
.LBB112_673:                            ;   in Loop: Header=BB112_646 Depth=2
	s_or_b32 exec_lo, exec_lo, s11
	s_delay_alu instid0(SALU_CYCLE_1)
	s_mov_b32 s11, exec_lo
	v_cmpx_gt_u32_e64 s10, v71
	s_cbranch_execnz .LBB112_690
.LBB112_674:                            ;   in Loop: Header=BB112_646 Depth=2
	s_or_b32 exec_lo, exec_lo, s11
	s_delay_alu instid0(SALU_CYCLE_1)
	s_mov_b32 s11, exec_lo
	v_cmpx_gt_u32_e64 s10, v72
	s_cbranch_execnz .LBB112_691
.LBB112_675:                            ;   in Loop: Header=BB112_646 Depth=2
	s_or_b32 exec_lo, exec_lo, s11
	s_delay_alu instid0(SALU_CYCLE_1)
	s_mov_b32 s11, exec_lo
	v_cmpx_gt_u32_e64 s10, v73
	s_cbranch_execnz .LBB112_692
.LBB112_676:                            ;   in Loop: Header=BB112_646 Depth=2
	s_or_b32 exec_lo, exec_lo, s11
	s_delay_alu instid0(SALU_CYCLE_1)
	s_mov_b32 s11, exec_lo
	v_cmpx_gt_u32_e64 s10, v74
	s_cbranch_execnz .LBB112_693
.LBB112_677:                            ;   in Loop: Header=BB112_646 Depth=2
	s_or_b32 exec_lo, exec_lo, s11
	s_delay_alu instid0(SALU_CYCLE_1)
	s_mov_b32 s11, exec_lo
	v_cmpx_gt_u32_e64 s10, v75
	s_cbranch_execnz .LBB112_694
.LBB112_678:                            ;   in Loop: Header=BB112_646 Depth=2
	s_or_b32 exec_lo, exec_lo, s11
	s_delay_alu instid0(SALU_CYCLE_1)
	s_mov_b32 s11, exec_lo
	v_cmpx_gt_u32_e64 s10, v76
	s_cbranch_execnz .LBB112_695
.LBB112_679:                            ;   in Loop: Header=BB112_646 Depth=2
	s_or_b32 exec_lo, exec_lo, s11
	s_delay_alu instid0(SALU_CYCLE_1)
	s_mov_b32 s11, exec_lo
	v_cmpx_gt_u32_e64 s10, v77
	s_cbranch_execnz .LBB112_696
.LBB112_680:                            ;   in Loop: Header=BB112_646 Depth=2
	s_or_b32 exec_lo, exec_lo, s11
	s_delay_alu instid0(SALU_CYCLE_1)
	s_mov_b32 s11, exec_lo
	v_cmpx_gt_u32_e64 s10, v78
	s_cbranch_execnz .LBB112_697
.LBB112_681:                            ;   in Loop: Header=BB112_646 Depth=2
	s_or_b32 exec_lo, exec_lo, s11
	s_delay_alu instid0(SALU_CYCLE_1)
	s_mov_b32 s11, exec_lo
	v_cmpx_gt_u32_e64 s10, v79
	s_cbranch_execnz .LBB112_698
.LBB112_682:                            ;   in Loop: Header=BB112_646 Depth=2
	s_or_b32 exec_lo, exec_lo, s11
	s_delay_alu instid0(SALU_CYCLE_1)
	s_mov_b32 s11, exec_lo
	v_cmpx_gt_u32_e64 s10, v80
	s_cbranch_execnz .LBB112_699
.LBB112_683:                            ;   in Loop: Header=BB112_646 Depth=2
	s_or_b32 exec_lo, exec_lo, s11
	s_delay_alu instid0(SALU_CYCLE_1)
	s_mov_b32 s11, exec_lo
	v_cmpx_gt_u32_e64 s10, v81
	s_cbranch_execnz .LBB112_700
.LBB112_684:                            ;   in Loop: Header=BB112_646 Depth=2
	s_or_b32 exec_lo, exec_lo, s11
	v_cmp_gt_u32_e32 vcc_lo, s10, v82
	s_and_saveexec_b32 s10, vcc_lo
	s_cbranch_execz .LBB112_645
	s_branch .LBB112_701
.LBB112_685:                            ;   in Loop: Header=BB112_646 Depth=2
	v_xor_b32_e32 v24, -1, v39
	s_delay_alu instid0(VALU_DEP_1) | instskip(NEXT) | instid1(VALU_DEP_1)
	v_and_b32_e32 v24, 0xff, v24
	v_lshrrev_b32_e32 v24, s49, v24
	s_delay_alu instid0(VALU_DEP_1) | instskip(NEXT) | instid1(VALU_DEP_1)
	v_and_b32_e32 v24, s48, v24
	v_lshl_or_b32 v24, v24, 4, v84
	ds_add_u32 v24, v7
	s_or_b32 exec_lo, exec_lo, s11
	s_delay_alu instid0(SALU_CYCLE_1)
	s_mov_b32 s11, exec_lo
	v_cmpx_gt_u32_e64 s10, v67
	s_cbranch_execz .LBB112_670
.LBB112_686:                            ;   in Loop: Header=BB112_646 Depth=2
	v_xor_b32_e32 v24, -1, v42
	s_delay_alu instid0(VALU_DEP_1) | instskip(NEXT) | instid1(VALU_DEP_1)
	v_and_b32_e32 v24, 0xff, v24
	v_lshrrev_b32_e32 v24, s49, v24
	s_delay_alu instid0(VALU_DEP_1) | instskip(NEXT) | instid1(VALU_DEP_1)
	v_and_b32_e32 v24, s48, v24
	v_lshl_or_b32 v24, v24, 4, v84
	ds_add_u32 v24, v7
	s_or_b32 exec_lo, exec_lo, s11
	s_delay_alu instid0(SALU_CYCLE_1)
	s_mov_b32 s11, exec_lo
	v_cmpx_gt_u32_e64 s10, v68
	s_cbranch_execz .LBB112_671
.LBB112_687:                            ;   in Loop: Header=BB112_646 Depth=2
	v_xor_b32_e32 v24, -1, v41
	s_delay_alu instid0(VALU_DEP_1) | instskip(NEXT) | instid1(VALU_DEP_1)
	v_and_b32_e32 v24, 0xff, v24
	v_lshrrev_b32_e32 v24, s49, v24
	s_delay_alu instid0(VALU_DEP_1) | instskip(NEXT) | instid1(VALU_DEP_1)
	v_and_b32_e32 v24, s48, v24
	v_lshl_or_b32 v24, v24, 4, v84
	ds_add_u32 v24, v7
	s_or_b32 exec_lo, exec_lo, s11
	s_delay_alu instid0(SALU_CYCLE_1)
	s_mov_b32 s11, exec_lo
	v_cmpx_gt_u32_e64 s10, v69
	s_cbranch_execz .LBB112_672
.LBB112_688:                            ;   in Loop: Header=BB112_646 Depth=2
	v_xor_b32_e32 v24, -1, v40
	s_delay_alu instid0(VALU_DEP_1) | instskip(NEXT) | instid1(VALU_DEP_1)
	v_and_b32_e32 v24, 0xff, v24
	v_lshrrev_b32_e32 v24, s49, v24
	s_delay_alu instid0(VALU_DEP_1) | instskip(NEXT) | instid1(VALU_DEP_1)
	v_and_b32_e32 v24, s48, v24
	v_lshl_or_b32 v24, v24, 4, v84
	ds_add_u32 v24, v7
	s_or_b32 exec_lo, exec_lo, s11
	s_delay_alu instid0(SALU_CYCLE_1)
	s_mov_b32 s11, exec_lo
	v_cmpx_gt_u32_e64 s10, v70
	s_cbranch_execz .LBB112_673
.LBB112_689:                            ;   in Loop: Header=BB112_646 Depth=2
	v_xor_b32_e32 v24, -1, v38
	s_delay_alu instid0(VALU_DEP_1) | instskip(NEXT) | instid1(VALU_DEP_1)
	v_and_b32_e32 v24, 0xff, v24
	v_lshrrev_b32_e32 v24, s49, v24
	s_delay_alu instid0(VALU_DEP_1) | instskip(NEXT) | instid1(VALU_DEP_1)
	v_and_b32_e32 v24, s48, v24
	v_lshl_or_b32 v24, v24, 4, v84
	ds_add_u32 v24, v7
	s_or_b32 exec_lo, exec_lo, s11
	s_delay_alu instid0(SALU_CYCLE_1)
	s_mov_b32 s11, exec_lo
	v_cmpx_gt_u32_e64 s10, v71
	s_cbranch_execz .LBB112_674
.LBB112_690:                            ;   in Loop: Header=BB112_646 Depth=2
	v_xor_b32_e32 v24, -1, v37
	s_delay_alu instid0(VALU_DEP_1) | instskip(NEXT) | instid1(VALU_DEP_1)
	v_and_b32_e32 v24, 0xff, v24
	v_lshrrev_b32_e32 v24, s49, v24
	s_delay_alu instid0(VALU_DEP_1) | instskip(NEXT) | instid1(VALU_DEP_1)
	v_and_b32_e32 v24, s48, v24
	v_lshl_or_b32 v24, v24, 4, v84
	ds_add_u32 v24, v7
	s_or_b32 exec_lo, exec_lo, s11
	s_delay_alu instid0(SALU_CYCLE_1)
	s_mov_b32 s11, exec_lo
	v_cmpx_gt_u32_e64 s10, v72
	s_cbranch_execz .LBB112_675
.LBB112_691:                            ;   in Loop: Header=BB112_646 Depth=2
	v_xor_b32_e32 v24, -1, v36
	s_delay_alu instid0(VALU_DEP_1) | instskip(NEXT) | instid1(VALU_DEP_1)
	v_and_b32_e32 v24, 0xff, v24
	v_lshrrev_b32_e32 v24, s49, v24
	s_delay_alu instid0(VALU_DEP_1) | instskip(NEXT) | instid1(VALU_DEP_1)
	v_and_b32_e32 v24, s48, v24
	v_lshl_or_b32 v24, v24, 4, v84
	ds_add_u32 v24, v7
	s_or_b32 exec_lo, exec_lo, s11
	s_delay_alu instid0(SALU_CYCLE_1)
	s_mov_b32 s11, exec_lo
	v_cmpx_gt_u32_e64 s10, v73
	s_cbranch_execz .LBB112_676
.LBB112_692:                            ;   in Loop: Header=BB112_646 Depth=2
	v_xor_b32_e32 v24, -1, v35
	s_delay_alu instid0(VALU_DEP_1) | instskip(NEXT) | instid1(VALU_DEP_1)
	v_and_b32_e32 v24, 0xff, v24
	v_lshrrev_b32_e32 v24, s49, v24
	s_delay_alu instid0(VALU_DEP_1) | instskip(NEXT) | instid1(VALU_DEP_1)
	v_and_b32_e32 v24, s48, v24
	v_lshl_or_b32 v24, v24, 4, v84
	ds_add_u32 v24, v7
	s_or_b32 exec_lo, exec_lo, s11
	s_delay_alu instid0(SALU_CYCLE_1)
	s_mov_b32 s11, exec_lo
	v_cmpx_gt_u32_e64 s10, v74
	s_cbranch_execz .LBB112_677
.LBB112_693:                            ;   in Loop: Header=BB112_646 Depth=2
	v_xor_b32_e32 v24, -1, v34
	s_delay_alu instid0(VALU_DEP_1) | instskip(NEXT) | instid1(VALU_DEP_1)
	v_and_b32_e32 v24, 0xff, v24
	v_lshrrev_b32_e32 v24, s49, v24
	s_delay_alu instid0(VALU_DEP_1) | instskip(NEXT) | instid1(VALU_DEP_1)
	v_and_b32_e32 v24, s48, v24
	v_lshl_or_b32 v24, v24, 4, v84
	ds_add_u32 v24, v7
	s_or_b32 exec_lo, exec_lo, s11
	s_delay_alu instid0(SALU_CYCLE_1)
	s_mov_b32 s11, exec_lo
	v_cmpx_gt_u32_e64 s10, v75
	s_cbranch_execz .LBB112_678
.LBB112_694:                            ;   in Loop: Header=BB112_646 Depth=2
	v_xor_b32_e32 v24, -1, v33
	s_delay_alu instid0(VALU_DEP_1) | instskip(NEXT) | instid1(VALU_DEP_1)
	v_and_b32_e32 v24, 0xff, v24
	v_lshrrev_b32_e32 v24, s49, v24
	s_delay_alu instid0(VALU_DEP_1) | instskip(NEXT) | instid1(VALU_DEP_1)
	v_and_b32_e32 v24, s48, v24
	v_lshl_or_b32 v24, v24, 4, v84
	ds_add_u32 v24, v7
	s_or_b32 exec_lo, exec_lo, s11
	s_delay_alu instid0(SALU_CYCLE_1)
	s_mov_b32 s11, exec_lo
	v_cmpx_gt_u32_e64 s10, v76
	s_cbranch_execz .LBB112_679
.LBB112_695:                            ;   in Loop: Header=BB112_646 Depth=2
	v_xor_b32_e32 v24, -1, v32
	s_delay_alu instid0(VALU_DEP_1) | instskip(NEXT) | instid1(VALU_DEP_1)
	v_and_b32_e32 v24, 0xff, v24
	v_lshrrev_b32_e32 v24, s49, v24
	s_delay_alu instid0(VALU_DEP_1) | instskip(NEXT) | instid1(VALU_DEP_1)
	v_and_b32_e32 v24, s48, v24
	v_lshl_or_b32 v24, v24, 4, v84
	ds_add_u32 v24, v7
	s_or_b32 exec_lo, exec_lo, s11
	s_delay_alu instid0(SALU_CYCLE_1)
	s_mov_b32 s11, exec_lo
	v_cmpx_gt_u32_e64 s10, v77
	s_cbranch_execz .LBB112_680
.LBB112_696:                            ;   in Loop: Header=BB112_646 Depth=2
	v_xor_b32_e32 v24, -1, v31
	s_delay_alu instid0(VALU_DEP_1) | instskip(NEXT) | instid1(VALU_DEP_1)
	v_and_b32_e32 v24, 0xff, v24
	v_lshrrev_b32_e32 v24, s49, v24
	s_delay_alu instid0(VALU_DEP_1) | instskip(NEXT) | instid1(VALU_DEP_1)
	v_and_b32_e32 v24, s48, v24
	v_lshl_or_b32 v24, v24, 4, v84
	ds_add_u32 v24, v7
	s_or_b32 exec_lo, exec_lo, s11
	s_delay_alu instid0(SALU_CYCLE_1)
	s_mov_b32 s11, exec_lo
	v_cmpx_gt_u32_e64 s10, v78
	s_cbranch_execz .LBB112_681
.LBB112_697:                            ;   in Loop: Header=BB112_646 Depth=2
	v_xor_b32_e32 v24, -1, v30
	s_delay_alu instid0(VALU_DEP_1) | instskip(NEXT) | instid1(VALU_DEP_1)
	v_and_b32_e32 v24, 0xff, v24
	v_lshrrev_b32_e32 v24, s49, v24
	s_delay_alu instid0(VALU_DEP_1) | instskip(NEXT) | instid1(VALU_DEP_1)
	v_and_b32_e32 v24, s48, v24
	v_lshl_or_b32 v24, v24, 4, v84
	ds_add_u32 v24, v7
	s_or_b32 exec_lo, exec_lo, s11
	s_delay_alu instid0(SALU_CYCLE_1)
	s_mov_b32 s11, exec_lo
	v_cmpx_gt_u32_e64 s10, v79
	s_cbranch_execz .LBB112_682
.LBB112_698:                            ;   in Loop: Header=BB112_646 Depth=2
	v_xor_b32_e32 v24, -1, v29
	s_delay_alu instid0(VALU_DEP_1) | instskip(NEXT) | instid1(VALU_DEP_1)
	v_and_b32_e32 v24, 0xff, v24
	v_lshrrev_b32_e32 v24, s49, v24
	s_delay_alu instid0(VALU_DEP_1) | instskip(NEXT) | instid1(VALU_DEP_1)
	v_and_b32_e32 v24, s48, v24
	v_lshl_or_b32 v24, v24, 4, v84
	ds_add_u32 v24, v7
	s_or_b32 exec_lo, exec_lo, s11
	s_delay_alu instid0(SALU_CYCLE_1)
	s_mov_b32 s11, exec_lo
	v_cmpx_gt_u32_e64 s10, v80
	s_cbranch_execz .LBB112_683
.LBB112_699:                            ;   in Loop: Header=BB112_646 Depth=2
	v_xor_b32_e32 v24, -1, v28
	s_delay_alu instid0(VALU_DEP_1) | instskip(NEXT) | instid1(VALU_DEP_1)
	v_and_b32_e32 v24, 0xff, v24
	v_lshrrev_b32_e32 v24, s49, v24
	s_delay_alu instid0(VALU_DEP_1) | instskip(NEXT) | instid1(VALU_DEP_1)
	v_and_b32_e32 v24, s48, v24
	v_lshl_or_b32 v24, v24, 4, v84
	ds_add_u32 v24, v7
	s_or_b32 exec_lo, exec_lo, s11
	s_delay_alu instid0(SALU_CYCLE_1)
	s_mov_b32 s11, exec_lo
	v_cmpx_gt_u32_e64 s10, v81
	s_cbranch_execz .LBB112_684
.LBB112_700:                            ;   in Loop: Header=BB112_646 Depth=2
	v_xor_b32_e32 v24, -1, v27
	s_delay_alu instid0(VALU_DEP_1) | instskip(NEXT) | instid1(VALU_DEP_1)
	v_and_b32_e32 v24, 0xff, v24
	v_lshrrev_b32_e32 v24, s49, v24
	s_delay_alu instid0(VALU_DEP_1) | instskip(NEXT) | instid1(VALU_DEP_1)
	v_and_b32_e32 v24, s48, v24
	v_lshl_or_b32 v24, v24, 4, v84
	ds_add_u32 v24, v7
	s_or_b32 exec_lo, exec_lo, s11
	v_cmp_gt_u32_e32 vcc_lo, s10, v82
	s_and_saveexec_b32 s10, vcc_lo
	s_cbranch_execz .LBB112_645
.LBB112_701:                            ;   in Loop: Header=BB112_646 Depth=2
	v_xor_b32_e32 v24, -1, v26
	s_delay_alu instid0(VALU_DEP_1) | instskip(NEXT) | instid1(VALU_DEP_1)
	v_and_b32_e32 v24, 0xff, v24
	v_lshrrev_b32_e32 v24, s49, v24
	s_delay_alu instid0(VALU_DEP_1) | instskip(NEXT) | instid1(VALU_DEP_1)
	v_and_b32_e32 v24, s48, v24
	v_lshl_or_b32 v24, v24, 4, v84
	ds_add_u32 v24, v7
	s_branch .LBB112_645
.LBB112_702:                            ;   in Loop: Header=BB112_646 Depth=2
	global_load_u8 v39, v[24:25], off
	s_wait_xcnt 0x0
	s_or_b32 exec_lo, exec_lo, s10
	s_delay_alu instid0(SALU_CYCLE_1)
	s_mov_b32 s10, exec_lo
	v_cmpx_gt_u32_e64 s8, v67
	s_cbranch_execz .LBB112_651
.LBB112_703:                            ;   in Loop: Header=BB112_646 Depth=2
	global_load_u8 v42, v[24:25], off offset:256
	s_wait_xcnt 0x0
	s_or_b32 exec_lo, exec_lo, s10
	s_delay_alu instid0(SALU_CYCLE_1)
	s_mov_b32 s10, exec_lo
	v_cmpx_gt_u32_e64 s8, v68
	s_cbranch_execz .LBB112_652
.LBB112_704:                            ;   in Loop: Header=BB112_646 Depth=2
	global_load_u8 v41, v[24:25], off offset:512
	s_wait_xcnt 0x0
	s_or_b32 exec_lo, exec_lo, s10
	s_delay_alu instid0(SALU_CYCLE_1)
	s_mov_b32 s10, exec_lo
	v_cmpx_gt_u32_e64 s8, v69
	s_cbranch_execz .LBB112_653
.LBB112_705:                            ;   in Loop: Header=BB112_646 Depth=2
	global_load_u8 v40, v[24:25], off offset:768
	s_wait_xcnt 0x0
	s_or_b32 exec_lo, exec_lo, s10
	s_delay_alu instid0(SALU_CYCLE_1)
	s_mov_b32 s10, exec_lo
	v_cmpx_gt_u32_e64 s8, v70
	s_cbranch_execz .LBB112_654
.LBB112_706:                            ;   in Loop: Header=BB112_646 Depth=2
	global_load_u8 v38, v[24:25], off offset:1024
	s_wait_xcnt 0x0
	s_or_b32 exec_lo, exec_lo, s10
	s_delay_alu instid0(SALU_CYCLE_1)
	s_mov_b32 s10, exec_lo
	v_cmpx_gt_u32_e64 s8, v71
	s_cbranch_execz .LBB112_655
.LBB112_707:                            ;   in Loop: Header=BB112_646 Depth=2
	global_load_u8 v37, v[24:25], off offset:1280
	s_wait_xcnt 0x0
	s_or_b32 exec_lo, exec_lo, s10
	s_delay_alu instid0(SALU_CYCLE_1)
	s_mov_b32 s10, exec_lo
	v_cmpx_gt_u32_e64 s8, v72
	s_cbranch_execz .LBB112_656
.LBB112_708:                            ;   in Loop: Header=BB112_646 Depth=2
	global_load_u8 v36, v[24:25], off offset:1536
	s_wait_xcnt 0x0
	s_or_b32 exec_lo, exec_lo, s10
	s_delay_alu instid0(SALU_CYCLE_1)
	s_mov_b32 s10, exec_lo
	v_cmpx_gt_u32_e64 s8, v73
	s_cbranch_execz .LBB112_657
.LBB112_709:                            ;   in Loop: Header=BB112_646 Depth=2
	global_load_u8 v35, v[24:25], off offset:1792
	s_wait_xcnt 0x0
	s_or_b32 exec_lo, exec_lo, s10
	s_delay_alu instid0(SALU_CYCLE_1)
	s_mov_b32 s10, exec_lo
	v_cmpx_gt_u32_e64 s8, v74
	s_cbranch_execz .LBB112_658
.LBB112_710:                            ;   in Loop: Header=BB112_646 Depth=2
	global_load_u8 v34, v[24:25], off offset:2048
	s_wait_xcnt 0x0
	s_or_b32 exec_lo, exec_lo, s10
	s_delay_alu instid0(SALU_CYCLE_1)
	s_mov_b32 s10, exec_lo
	v_cmpx_gt_u32_e64 s8, v75
	s_cbranch_execz .LBB112_659
.LBB112_711:                            ;   in Loop: Header=BB112_646 Depth=2
	global_load_u8 v33, v[24:25], off offset:2304
	s_wait_xcnt 0x0
	s_or_b32 exec_lo, exec_lo, s10
	s_delay_alu instid0(SALU_CYCLE_1)
	s_mov_b32 s10, exec_lo
	v_cmpx_gt_u32_e64 s8, v76
	s_cbranch_execz .LBB112_660
.LBB112_712:                            ;   in Loop: Header=BB112_646 Depth=2
	global_load_u8 v32, v[24:25], off offset:2560
	s_wait_xcnt 0x0
	s_or_b32 exec_lo, exec_lo, s10
	s_delay_alu instid0(SALU_CYCLE_1)
	s_mov_b32 s10, exec_lo
	v_cmpx_gt_u32_e64 s8, v77
	s_cbranch_execz .LBB112_661
.LBB112_713:                            ;   in Loop: Header=BB112_646 Depth=2
	global_load_u8 v31, v[24:25], off offset:2816
	s_wait_xcnt 0x0
	s_or_b32 exec_lo, exec_lo, s10
	s_delay_alu instid0(SALU_CYCLE_1)
	s_mov_b32 s10, exec_lo
	v_cmpx_gt_u32_e64 s8, v78
	s_cbranch_execz .LBB112_662
.LBB112_714:                            ;   in Loop: Header=BB112_646 Depth=2
	global_load_u8 v30, v[24:25], off offset:3072
	s_wait_xcnt 0x0
	s_or_b32 exec_lo, exec_lo, s10
	s_delay_alu instid0(SALU_CYCLE_1)
	s_mov_b32 s10, exec_lo
	v_cmpx_gt_u32_e64 s8, v79
	s_cbranch_execz .LBB112_663
.LBB112_715:                            ;   in Loop: Header=BB112_646 Depth=2
	global_load_u8 v29, v[24:25], off offset:3328
	s_wait_xcnt 0x0
	s_or_b32 exec_lo, exec_lo, s10
	s_delay_alu instid0(SALU_CYCLE_1)
	s_mov_b32 s10, exec_lo
	v_cmpx_gt_u32_e64 s8, v80
	s_cbranch_execz .LBB112_664
.LBB112_716:                            ;   in Loop: Header=BB112_646 Depth=2
	global_load_u8 v28, v[24:25], off offset:3584
	s_wait_xcnt 0x0
	s_or_b32 exec_lo, exec_lo, s10
	s_delay_alu instid0(SALU_CYCLE_1)
	s_mov_b32 s10, exec_lo
	v_cmpx_gt_u32_e64 s8, v81
	s_cbranch_execz .LBB112_665
.LBB112_717:                            ;   in Loop: Header=BB112_646 Depth=2
	global_load_u8 v27, v[24:25], off offset:3840
	s_wait_xcnt 0x0
	s_or_b32 exec_lo, exec_lo, s10
	s_delay_alu instid0(SALU_CYCLE_1)
	s_mov_b32 s10, exec_lo
	v_cmpx_gt_u32_e64 s8, v82
	s_cbranch_execnz .LBB112_666
	s_branch .LBB112_667
.LBB112_718:                            ;   in Loop: Header=BB112_20 Depth=1
	v_mov_b32_e32 v24, 0
	s_wait_dscnt 0x0
	s_barrier_signal -1
	s_barrier_wait -1
	s_and_saveexec_b32 s8, s0
	s_cbranch_execz .LBB112_720
; %bb.719:                              ;   in Loop: Header=BB112_20 Depth=1
	ds_load_2addr_b64 v[24:27], v85 offset1:1
	s_wait_dscnt 0x0
	v_add_nc_u32_e32 v24, v25, v24
	s_delay_alu instid0(VALU_DEP_1)
	v_add3_u32 v24, v24, v26, v27
.LBB112_720:                            ;   in Loop: Header=BB112_20 Depth=1
	s_or_b32 exec_lo, exec_lo, s8
	v_and_b32_e32 v25, 15, v0
	s_delay_alu instid0(VALU_DEP_2) | instskip(SKIP_1) | instid1(VALU_DEP_3)
	v_mov_b32_dpp v26, v24 row_shr:1 row_mask:0xf bank_mask:0xf
	v_and_b32_e32 v27, 16, v0
	v_cmp_eq_u32_e64 s8, 0, v25
	v_cmp_lt_u32_e64 s9, 1, v25
	s_delay_alu instid0(VALU_DEP_3) | instskip(NEXT) | instid1(VALU_DEP_3)
	v_cmp_eq_u32_e64 s12, 0, v27
	v_cndmask_b32_e64 v26, v26, 0, s8
	s_delay_alu instid0(VALU_DEP_1) | instskip(NEXT) | instid1(VALU_DEP_1)
	v_add_nc_u32_e32 v24, v26, v24
	v_mov_b32_dpp v26, v24 row_shr:2 row_mask:0xf bank_mask:0xf
	s_delay_alu instid0(VALU_DEP_1) | instskip(SKIP_2) | instid1(VALU_DEP_3)
	v_cndmask_b32_e64 v26, 0, v26, s9
	v_cmp_lt_u32_e64 s11, 7, v25
	v_cmp_lt_u32_e64 s10, 3, v25
	v_add_nc_u32_e32 v24, v24, v26
	s_delay_alu instid0(VALU_DEP_1) | instskip(NEXT) | instid1(VALU_DEP_1)
	v_mov_b32_dpp v26, v24 row_shr:4 row_mask:0xf bank_mask:0xf
	v_cndmask_b32_e64 v26, 0, v26, s10
	s_delay_alu instid0(VALU_DEP_1) | instskip(NEXT) | instid1(VALU_DEP_1)
	v_add_nc_u32_e32 v24, v24, v26
	v_mov_b32_dpp v26, v24 row_shr:8 row_mask:0xf bank_mask:0xf
	s_delay_alu instid0(VALU_DEP_1) | instskip(SKIP_1) | instid1(VALU_DEP_2)
	v_cndmask_b32_e64 v25, 0, v26, s11
	v_bfe_i32 v26, v0, 4, 1
	v_add_nc_u32_e32 v24, v24, v25
	ds_swizzle_b32 v25, v24 offset:swizzle(BROADCAST,32,15)
	s_wait_dscnt 0x0
	v_and_b32_e32 v25, v26, v25
	s_delay_alu instid0(VALU_DEP_1)
	v_add_nc_u32_e32 v24, v24, v25
	s_and_saveexec_b32 s13, s1
; %bb.721:                              ;   in Loop: Header=BB112_20 Depth=1
	ds_store_b32 v86, v24
; %bb.722:                              ;   in Loop: Header=BB112_20 Depth=1
	s_or_b32 exec_lo, exec_lo, s13
	s_wait_dscnt 0x0
	s_barrier_signal -1
	s_barrier_wait -1
	s_and_saveexec_b32 s13, s4
	s_cbranch_execz .LBB112_724
; %bb.723:                              ;   in Loop: Header=BB112_20 Depth=1
	ds_load_b32 v25, v87
	s_wait_dscnt 0x0
	v_mov_b32_dpp v27, v25 row_shr:1 row_mask:0xf bank_mask:0xf
	v_and_b32_e32 v26, 3, v0
	s_delay_alu instid0(VALU_DEP_1) | instskip(NEXT) | instid1(VALU_DEP_3)
	v_cmp_ne_u32_e32 vcc_lo, 0, v26
	v_cndmask_b32_e32 v27, 0, v27, vcc_lo
	v_cmp_lt_u32_e32 vcc_lo, 1, v26
	s_delay_alu instid0(VALU_DEP_2) | instskip(NEXT) | instid1(VALU_DEP_1)
	v_add_nc_u32_e32 v25, v27, v25
	v_mov_b32_dpp v27, v25 row_shr:2 row_mask:0xf bank_mask:0xf
	s_delay_alu instid0(VALU_DEP_1) | instskip(NEXT) | instid1(VALU_DEP_1)
	v_cndmask_b32_e32 v26, 0, v27, vcc_lo
	v_add_nc_u32_e32 v25, v25, v26
	ds_store_b32 v87, v25
.LBB112_724:                            ;   in Loop: Header=BB112_20 Depth=1
	s_or_b32 exec_lo, exec_lo, s13
	v_mov_b32_e32 v25, 0
	s_wait_dscnt 0x0
	s_barrier_signal -1
	s_barrier_wait -1
	s_and_saveexec_b32 s13, s5
; %bb.725:                              ;   in Loop: Header=BB112_20 Depth=1
	ds_load_b32 v25, v88
; %bb.726:                              ;   in Loop: Header=BB112_20 Depth=1
	s_or_b32 exec_lo, exec_lo, s13
	v_sub_co_u32 v26, s13, v0, 1
	s_wait_dscnt 0x0
	s_barrier_signal -1
	s_barrier_wait -1
	s_delay_alu instid0(VALU_DEP_1) | instskip(SKIP_1) | instid1(VALU_DEP_1)
	v_cmp_gt_i32_e32 vcc_lo, 0, v26
	v_cndmask_b32_e32 v26, v26, v0, vcc_lo
	v_dual_add_nc_u32 v24, v25, v24 :: v_dual_lshlrev_b32 v96, 2, v26
	ds_bpermute_b32 v24, v96, v24
	s_and_saveexec_b32 s14, s0
	s_cbranch_execz .LBB112_728
; %bb.727:                              ;   in Loop: Header=BB112_20 Depth=1
	s_wait_dscnt 0x0
	v_cndmask_b32_e64 v24, v24, v25, s13
	s_delay_alu instid0(VALU_DEP_1)
	v_add_nc_u32_e32 v24, s55, v24
	ds_store_b32 v66, v24
.LBB112_728:                            ;   in Loop: Header=BB112_20 Depth=1
	s_or_b32 exec_lo, exec_lo, s14
	s_load_b64 s[14:15], s[52:53], 0x0
	v_dual_lshlrev_b32 v26, 3, v0 :: v_dual_bitop2_b32 v28, 7, v0 bitop3:0x40
	v_dual_mov_b32 v27, v1 :: v_dual_bitop2_b32 v97, v0, v6 bitop3:0x54
	s_wait_dscnt 0x0
	v_add_nc_u64_e32 v[24:25], v[22:23], v[0:1]
	v_mov_b32_e32 v121, 0
	s_mov_b32 s58, s57
	v_add_nc_u64_e32 v[26:27], v[20:21], v[26:27]
	v_dual_add_nc_u32 v98, 32, v97 :: v_dual_add_nc_u32 v99, 64, v97
	v_add_nc_u32_e32 v100, 0x60, v97
	v_add_nc_u32_e32 v101, 0x80, v97
	;; [unrolled: 1-line block ×9, first 2 shown]
	s_wait_kmcnt 0x0
	s_cmp_lt_u32 s51, s14
	v_add_nc_u32_e32 v109, 0x180, v97
	s_cselect_b32 s34, 12, 18
	s_cmp_lt_u32 s42, s15
	s_mov_b32 s15, s35
	s_cselect_b32 s14, 14, 20
	v_add_nc_u32_e32 v110, 0x1a0, v97
	s_add_nc_u64 s[14:15], s[52:53], s[14:15]
	v_add_nc_u32_e32 v111, 0x1c0, v97
	s_load_u16 s16, s[14:15], 0x0
	s_wait_xcnt 0x0
	s_add_nc_u64 s[14:15], s[52:53], s[34:35]
	v_add_nc_u32_e32 v112, 0x1e0, v97
	s_load_u16 s17, s[14:15], 0x0
	s_wait_xcnt 0x0
	v_cmp_eq_u32_e64 s14, 0, v28
	v_cmp_lt_u32_e64 s15, 1, v28
	v_add_nc_u32_e32 v113, 0x200, v97
	s_mov_b32 s34, s55
                                        ; implicit-def: $vgpr30_vgpr31
                                        ; implicit-def: $vgpr32_vgpr33
                                        ; implicit-def: $vgpr34_vgpr35
                                        ; implicit-def: $vgpr36_vgpr37
                                        ; implicit-def: $vgpr38_vgpr39
                                        ; implicit-def: $vgpr40_vgpr41
                                        ; implicit-def: $vgpr42_vgpr43
                                        ; implicit-def: $vgpr44_vgpr45
                                        ; implicit-def: $vgpr46_vgpr47
                                        ; implicit-def: $vgpr48_vgpr49
                                        ; implicit-def: $vgpr50_vgpr51
                                        ; implicit-def: $vgpr52_vgpr53
                                        ; implicit-def: $vgpr54_vgpr55
                                        ; implicit-def: $vgpr56_vgpr57
                                        ; implicit-def: $vgpr58_vgpr59
                                        ; implicit-def: $vgpr60_vgpr61
                                        ; implicit-def: $vgpr115
                                        ; implicit-def: $vgpr116
                                        ; implicit-def: $vgpr117
                                        ; implicit-def: $vgpr118
                                        ; implicit-def: $vgpr119
                                        ; implicit-def: $vgpr120
                                        ; implicit-def: $vgpr122
                                        ; implicit-def: $vgpr123
                                        ; implicit-def: $vgpr124
                                        ; implicit-def: $vgpr125
                                        ; implicit-def: $vgpr126
                                        ; implicit-def: $vgpr127
                                        ; implicit-def: $vgpr128
                                        ; implicit-def: $vgpr129
                                        ; implicit-def: $vgpr130
                                        ; implicit-def: $vgpr131
                                        ; implicit-def: $vgpr132
                                        ; implicit-def: $vgpr133
                                        ; implicit-def: $vgpr134
	s_wait_kmcnt 0x0
	v_mad_u32_u24 v29, v89, s16, v91
	v_cmp_lt_u32_e64 s16, 3, v28
	s_delay_alu instid0(VALU_DEP_2) | instskip(NEXT) | instid1(VALU_DEP_1)
	v_mad_u32 v28, v29, s17, v2
	v_lshrrev_b32_e32 v28, 3, v28
	s_delay_alu instid0(VALU_DEP_1)
	v_and_b32_e32 v114, 0x1ffffffc, v28
                                        ; implicit-def: $vgpr28_vgpr29
	s_branch .LBB112_730
.LBB112_729:                            ;   in Loop: Header=BB112_730 Depth=2
	s_or_b32 exec_lo, exec_lo, s17
	s_addk_co_i32 s58, 0xef00
	s_cmp_lt_u32 s59, s54
	s_mov_b32 s34, s59
	s_cbranch_scc0 .LBB112_952
.LBB112_730:                            ;   Parent Loop BB112_20 Depth=1
                                        ; =>  This Inner Loop Header: Depth=2
	s_add_co_i32 s59, s34, 0x1100
	s_delay_alu instid0(SALU_CYCLE_1)
	s_cmp_gt_u32 s59, s54
	s_cbranch_scc1 .LBB112_732
; %bb.731:                              ;   in Loop: Header=BB112_730 Depth=2
	v_add_nc_u64_e32 v[62:63], s[34:35], v[24:25]
	s_mov_b32 s17, -1
	s_clause 0xf
	global_load_u8 v136, v[62:63], off offset:480
	global_load_u8 v65, v[62:63], off offset:448
	global_load_u8 v135, v[62:63], off offset:416
	global_load_u8 v64, v[62:63], off offset:384
	global_load_u8 v141, v[62:63], off offset:352
	global_load_u8 v139, v[62:63], off offset:320
	global_load_u8 v140, v[62:63], off offset:288
	global_load_u8 v138, v[62:63], off offset:256
	global_load_u8 v145, v[62:63], off offset:224
	global_load_u8 v143, v[62:63], off offset:192
	global_load_u8 v144, v[62:63], off offset:160
	global_load_u8 v142, v[62:63], off offset:128
	global_load_u8 v150, v[62:63], off offset:96
	global_load_u8 v148, v[62:63], off offset:64
	global_load_u8 v151, v[62:63], off offset:32
	global_load_u8 v147, v[62:63], off
	s_movk_i32 s18, 0x1100
	s_cbranch_execz .LBB112_733
	s_branch .LBB112_752
.LBB112_732:                            ;   in Loop: Header=BB112_730 Depth=2
	s_mov_b32 s17, 0
                                        ; implicit-def: $vgpr147
                                        ; implicit-def: $vgpr151
                                        ; implicit-def: $vgpr148
                                        ; implicit-def: $vgpr150
                                        ; implicit-def: $vgpr142
                                        ; implicit-def: $vgpr144
                                        ; implicit-def: $vgpr143
                                        ; implicit-def: $vgpr145
                                        ; implicit-def: $vgpr138
                                        ; implicit-def: $vgpr140
                                        ; implicit-def: $vgpr139
                                        ; implicit-def: $vgpr141
                                        ; implicit-def: $vgpr64
                                        ; implicit-def: $vgpr135
                                        ; implicit-def: $vgpr65
                                        ; implicit-def: $vgpr136
                                        ; implicit-def: $vgpr121
	s_movk_i32 s18, 0x1100
.LBB112_733:                            ;   in Loop: Header=BB112_730 Depth=2
	s_wait_xcnt 0x0
	v_add_nc_u64_e32 v[62:63], s[34:35], v[24:25]
	s_wait_loadcnt 0x0
	v_dual_mov_b32 v148, 0 :: v_dual_mov_b32 v147, 0
	v_dual_mov_b32 v150, 0 :: v_dual_mov_b32 v142, 0
	;; [unrolled: 1-line block ×8, first 2 shown]
	s_mov_b32 s17, exec_lo
	v_cmpx_gt_u32_e64 s58, v97
	s_cbranch_execz .LBB112_735
; %bb.734:                              ;   in Loop: Header=BB112_730 Depth=2
	global_load_u8 v147, v[62:63], off
	v_dual_mov_b32 v150, 0 :: v_dual_mov_b32 v142, 0
	v_dual_mov_b32 v144, 0 :: v_dual_mov_b32 v143, 0
	v_dual_mov_b32 v145, 0 :: v_dual_mov_b32 v138, 0
	v_dual_mov_b32 v140, 0 :: v_dual_mov_b32 v139, 0
	v_dual_mov_b32 v141, 0 :: v_dual_mov_b32 v64, 0
	v_dual_mov_b32 v135, 0 :: v_dual_mov_b32 v65, 0
	v_dual_mov_b32 v136, 0 :: v_dual_mov_b32 v121, 0
.LBB112_735:                            ;   in Loop: Header=BB112_730 Depth=2
	s_wait_xcnt 0x0
	s_or_b32 exec_lo, exec_lo, s17
	v_mov_b32_e32 v151, v148
	s_mov_b32 s17, exec_lo
	v_cmpx_gt_u32_e64 s58, v98
	s_cbranch_execnz .LBB112_938
; %bb.736:                              ;   in Loop: Header=BB112_730 Depth=2
	s_or_b32 exec_lo, exec_lo, s17
	s_delay_alu instid0(SALU_CYCLE_1)
	s_mov_b32 s17, exec_lo
	v_cmpx_gt_u32_e64 s58, v99
	s_cbranch_execnz .LBB112_939
.LBB112_737:                            ;   in Loop: Header=BB112_730 Depth=2
	s_or_b32 exec_lo, exec_lo, s17
	s_delay_alu instid0(SALU_CYCLE_1)
	s_mov_b32 s17, exec_lo
	v_cmpx_gt_u32_e64 s58, v100
	s_cbranch_execnz .LBB112_940
.LBB112_738:                            ;   in Loop: Header=BB112_730 Depth=2
	s_or_b32 exec_lo, exec_lo, s17
	s_delay_alu instid0(SALU_CYCLE_1)
	s_mov_b32 s17, exec_lo
	v_cmpx_gt_u32_e64 s58, v101
	s_cbranch_execnz .LBB112_941
.LBB112_739:                            ;   in Loop: Header=BB112_730 Depth=2
	s_or_b32 exec_lo, exec_lo, s17
	s_delay_alu instid0(SALU_CYCLE_1)
	s_mov_b32 s17, exec_lo
	v_cmpx_gt_u32_e64 s58, v102
	s_cbranch_execnz .LBB112_942
.LBB112_740:                            ;   in Loop: Header=BB112_730 Depth=2
	s_or_b32 exec_lo, exec_lo, s17
	s_delay_alu instid0(SALU_CYCLE_1)
	s_mov_b32 s17, exec_lo
	v_cmpx_gt_u32_e64 s58, v103
	s_cbranch_execnz .LBB112_943
.LBB112_741:                            ;   in Loop: Header=BB112_730 Depth=2
	s_or_b32 exec_lo, exec_lo, s17
	s_delay_alu instid0(SALU_CYCLE_1)
	s_mov_b32 s17, exec_lo
	v_cmpx_gt_u32_e64 s58, v104
	s_cbranch_execnz .LBB112_944
.LBB112_742:                            ;   in Loop: Header=BB112_730 Depth=2
	s_or_b32 exec_lo, exec_lo, s17
	s_delay_alu instid0(SALU_CYCLE_1)
	s_mov_b32 s17, exec_lo
	v_cmpx_gt_u32_e64 s58, v105
	s_cbranch_execnz .LBB112_945
.LBB112_743:                            ;   in Loop: Header=BB112_730 Depth=2
	s_or_b32 exec_lo, exec_lo, s17
	s_delay_alu instid0(SALU_CYCLE_1)
	s_mov_b32 s17, exec_lo
	v_cmpx_gt_u32_e64 s58, v106
	s_cbranch_execnz .LBB112_946
.LBB112_744:                            ;   in Loop: Header=BB112_730 Depth=2
	s_or_b32 exec_lo, exec_lo, s17
	s_delay_alu instid0(SALU_CYCLE_1)
	s_mov_b32 s17, exec_lo
	v_cmpx_gt_u32_e64 s58, v107
	s_cbranch_execnz .LBB112_947
.LBB112_745:                            ;   in Loop: Header=BB112_730 Depth=2
	s_or_b32 exec_lo, exec_lo, s17
	s_delay_alu instid0(SALU_CYCLE_1)
	s_mov_b32 s17, exec_lo
	v_cmpx_gt_u32_e64 s58, v108
	s_cbranch_execnz .LBB112_948
.LBB112_746:                            ;   in Loop: Header=BB112_730 Depth=2
	s_or_b32 exec_lo, exec_lo, s17
	s_delay_alu instid0(SALU_CYCLE_1)
	s_mov_b32 s17, exec_lo
	v_cmpx_gt_u32_e64 s58, v109
	s_cbranch_execnz .LBB112_949
.LBB112_747:                            ;   in Loop: Header=BB112_730 Depth=2
	s_or_b32 exec_lo, exec_lo, s17
	s_delay_alu instid0(SALU_CYCLE_1)
	s_mov_b32 s17, exec_lo
	v_cmpx_gt_u32_e64 s58, v110
	s_cbranch_execnz .LBB112_950
.LBB112_748:                            ;   in Loop: Header=BB112_730 Depth=2
	s_or_b32 exec_lo, exec_lo, s17
	s_delay_alu instid0(SALU_CYCLE_1)
	s_mov_b32 s17, exec_lo
	v_cmpx_gt_u32_e64 s58, v111
	s_cbranch_execnz .LBB112_951
.LBB112_749:                            ;   in Loop: Header=BB112_730 Depth=2
	s_or_b32 exec_lo, exec_lo, s17
	s_delay_alu instid0(SALU_CYCLE_1)
	s_mov_b32 s17, exec_lo
	v_cmpx_gt_u32_e64 s58, v112
	s_cbranch_execz .LBB112_751
.LBB112_750:                            ;   in Loop: Header=BB112_730 Depth=2
	global_load_u8 v136, v[62:63], off offset:480
.LBB112_751:                            ;   in Loop: Header=BB112_730 Depth=2
	s_wait_xcnt 0x0
	s_or_b32 exec_lo, exec_lo, s17
	v_cmp_gt_u32_e64 s17, s58, v113
	s_sub_co_i32 s18, s54, s34
.LBB112_752:                            ;   in Loop: Header=BB112_730 Depth=2
	v_mov_b32_e32 v137, s58
	s_wait_xcnt 0x0
	s_and_saveexec_b32 s19, s17
	s_cbranch_execz .LBB112_754
; %bb.753:                              ;   in Loop: Header=BB112_730 Depth=2
	v_add_nc_u64_e32 v[62:63], s[34:35], v[24:25]
	v_mov_b32_e32 v137, s18
	global_load_u8 v121, v[62:63], off offset:512
.LBB112_754:                            ;   in Loop: Header=BB112_730 Depth=2
	s_wait_xcnt 0x0
	s_or_b32 exec_lo, exec_lo, s19
	s_wait_loadcnt 0x0
	v_bitop3_b16 v62, v147, 0xff, v147 bitop3:0xc
	ds_store_2addr_b32 v90, v1, v1 offset0:136 offset1:137
	ds_store_2addr_b32 v90, v1, v1 offset0:138 offset1:139
	ds_store_b32 v90, v1 offset:560
	s_wait_dscnt 0x0
	s_barrier_signal -1
	s_barrier_wait -1
	v_and_b32_e32 v62, 0xffff, v62
	; wave barrier
	s_delay_alu instid0(VALU_DEP_1) | instskip(NEXT) | instid1(VALU_DEP_1)
	v_lshrrev_b32_e32 v62, s49, v62
	v_and_b32_e32 v149, s48, v62
	s_delay_alu instid0(VALU_DEP_1) | instskip(SKIP_1) | instid1(VALU_DEP_1)
	v_lshlrev_b32_e32 v146, 30, v149
	v_bitop3_b32 v63, v62, 1, s48 bitop3:0x80
	v_add_co_u32 v62, s17, v63, -1
	s_delay_alu instid0(VALU_DEP_1) | instskip(NEXT) | instid1(VALU_DEP_4)
	v_cndmask_b32_e64 v63, 0, 1, s17
	v_cmp_gt_i32_e64 s17, 0, v146
	s_delay_alu instid0(VALU_DEP_2) | instskip(SKIP_2) | instid1(VALU_DEP_2)
	v_cmp_ne_u32_e32 vcc_lo, 0, v63
	v_not_b32_e32 v63, v146
	v_bitop3_b32 v62, vcc_lo, exec_lo, v62 bitop3:0x48
	v_dual_ashrrev_i32 v63, 31, v63 :: v_dual_lshlrev_b32 v152, 29, v149
	v_dual_lshlrev_b32 v153, 28, v149 :: v_dual_lshlrev_b32 v154, 27, v149
	v_lshlrev_b32_e32 v155, 26, v149
	s_delay_alu instid0(VALU_DEP_3)
	v_not_b32_e32 v146, v152
	v_lshlrev_b32_e32 v156, 25, v149
	v_cmp_gt_i32_e64 s18, 0, v152
	v_cmp_gt_i32_e64 s19, 0, v153
	v_not_b32_e32 v152, v153
	v_not_b32_e32 v153, v154
	v_ashrrev_i32_e32 v146, 31, v146
	v_cmp_gt_i32_e64 s20, 0, v154
	v_cmp_gt_i32_e64 s21, 0, v155
	v_not_b32_e32 v154, v155
	v_not_b32_e32 v155, v156
	v_dual_ashrrev_i32 v152, 31, v152 :: v_dual_ashrrev_i32 v153, 31, v153
	s_delay_alu instid0(VALU_DEP_3) | instskip(NEXT) | instid1(VALU_DEP_3)
	v_dual_ashrrev_i32 v154, 31, v154 :: v_dual_bitop2_b32 v63, s17, v63 bitop3:0x14
	v_dual_ashrrev_i32 v155, 31, v155 :: v_dual_bitop2_b32 v146, s18, v146 bitop3:0x14
	v_cmp_gt_i32_e64 s22, 0, v156
	s_delay_alu instid0(VALU_DEP_4) | instskip(SKIP_1) | instid1(VALU_DEP_4)
	v_xor_b32_e32 v152, s19, v152
	v_xor_b32_e32 v153, s20, v153
	v_bitop3_b32 v62, v62, v146, v63 bitop3:0x80
	v_xor_b32_e32 v63, s21, v154
	v_xor_b32_e32 v146, s22, v155
	s_delay_alu instid0(VALU_DEP_3) | instskip(NEXT) | instid1(VALU_DEP_1)
	v_bitop3_b32 v62, v62, v153, v152 bitop3:0x80
	v_bitop3_b32 v62, v62, v146, v63 bitop3:0x80
	v_mul_u32_u24_e32 v63, 36, v149
	s_delay_alu instid0(VALU_DEP_2) | instskip(SKIP_1) | instid1(VALU_DEP_3)
	v_mbcnt_lo_u32_b32 v146, v62, 0
	v_cmp_ne_u32_e64 s17, 0, v62
	v_add_nc_u32_e32 v149, v114, v63
	s_delay_alu instid0(VALU_DEP_3) | instskip(SKIP_1) | instid1(SALU_CYCLE_1)
	v_cmp_eq_u32_e32 vcc_lo, 0, v146
	s_and_b32 s18, s17, vcc_lo
	s_and_saveexec_b32 s17, s18
; %bb.755:                              ;   in Loop: Header=BB112_730 Depth=2
	v_bcnt_u32_b32 v62, v62, 0
	ds_store_b32 v149, v62 offset:544
; %bb.756:                              ;   in Loop: Header=BB112_730 Depth=2
	s_or_b32 exec_lo, exec_lo, s17
	v_xor_b32_e32 v62, -1, v151
	v_xor_b32_e32 v63, -1, v150
	; wave barrier
	s_delay_alu instid0(VALU_DEP_2) | instskip(NEXT) | instid1(VALU_DEP_2)
	v_lshlrev_b16 v62, 8, v62
	v_lshlrev_b16 v63, 8, v63
	s_delay_alu instid0(VALU_DEP_2) | instskip(NEXT) | instid1(VALU_DEP_2)
	v_bitop3_b16 v147, v147, v62, 0xff bitop3:0xce
	v_bitop3_b16 v62, v148, v63, 0xff bitop3:0xce
	s_delay_alu instid0(VALU_DEP_2) | instskip(NEXT) | instid1(VALU_DEP_2)
	v_and_b32_e32 v63, 0xffff, v147
	v_lshlrev_b32_e32 v62, 16, v62
	s_delay_alu instid0(VALU_DEP_1) | instskip(NEXT) | instid1(VALU_DEP_1)
	v_or_b32_e32 v148, v63, v62
	v_bfe_u32 v62, v148, 8, 8
	s_delay_alu instid0(VALU_DEP_1) | instskip(NEXT) | instid1(VALU_DEP_1)
	v_lshrrev_b32_e32 v62, s49, v62
	v_bitop3_b32 v63, v62, 1, s48 bitop3:0x80
	v_and_b32_e32 v152, s48, v62
	s_delay_alu instid0(VALU_DEP_2) | instskip(NEXT) | instid1(VALU_DEP_1)
	v_add_co_u32 v62, s17, v63, -1
	v_cndmask_b32_e64 v63, 0, 1, s17
	s_delay_alu instid0(VALU_DEP_3) | instskip(NEXT) | instid1(VALU_DEP_2)
	v_lshlrev_b32_e32 v150, 30, v152
	v_cmp_ne_u32_e32 vcc_lo, 0, v63
	s_delay_alu instid0(VALU_DEP_2) | instskip(SKIP_2) | instid1(VALU_DEP_3)
	v_not_b32_e32 v63, v150
	v_cmp_gt_i32_e64 s17, 0, v150
	v_bitop3_b32 v62, vcc_lo, exec_lo, v62 bitop3:0x48
	v_dual_ashrrev_i32 v63, 31, v63 :: v_dual_lshlrev_b32 v151, 29, v152
	v_dual_lshlrev_b32 v153, 28, v152 :: v_dual_lshlrev_b32 v154, 27, v152
	v_lshlrev_b32_e32 v155, 26, v152
	s_delay_alu instid0(VALU_DEP_3)
	v_not_b32_e32 v150, v151
	v_lshlrev_b32_e32 v156, 25, v152
	v_cmp_gt_i32_e64 s18, 0, v151
	v_cmp_gt_i32_e64 s19, 0, v153
	v_not_b32_e32 v151, v153
	v_ashrrev_i32_e32 v150, 31, v150
	v_cmp_gt_i32_e64 s20, 0, v154
	v_not_b32_e32 v153, v154
	v_cmp_gt_i32_e64 s21, 0, v155
	v_not_b32_e32 v154, v155
	v_not_b32_e32 v155, v156
	v_xor_b32_e32 v63, s17, v63
	v_dual_ashrrev_i32 v151, 31, v151 :: v_dual_bitop2_b32 v150, s18, v150 bitop3:0x14
	s_delay_alu instid0(VALU_DEP_4) | instskip(NEXT) | instid1(VALU_DEP_4)
	v_dual_ashrrev_i32 v153, 31, v153 :: v_dual_ashrrev_i32 v154, 31, v154
	v_ashrrev_i32_e32 v155, 31, v155
	s_delay_alu instid0(VALU_DEP_3)
	v_bitop3_b32 v62, v62, v150, v63 bitop3:0x80
	v_mad_u32_u24 v63, v152, 36, v114
	v_cmp_gt_i32_e64 s22, 0, v156
	v_xor_b32_e32 v151, s19, v151
	v_xor_b32_e32 v154, s21, v154
	ds_load_b32 v150, v63 offset:544
	v_mul_u32_u24_e32 v63, 36, v152
	v_xor_b32_e32 v153, s20, v153
	v_xor_b32_e32 v155, s22, v155
	; wave barrier
	s_delay_alu instid0(VALU_DEP_3) | instskip(NEXT) | instid1(VALU_DEP_3)
	v_add_nc_u32_e32 v152, v114, v63
	v_bitop3_b32 v62, v62, v153, v151 bitop3:0x80
	s_delay_alu instid0(VALU_DEP_1) | instskip(NEXT) | instid1(VALU_DEP_1)
	v_bitop3_b32 v62, v62, v155, v154 bitop3:0x80
	v_mbcnt_lo_u32_b32 v151, v62, 0
	v_cmp_ne_u32_e64 s17, 0, v62
	s_delay_alu instid0(VALU_DEP_2) | instskip(SKIP_1) | instid1(SALU_CYCLE_1)
	v_cmp_eq_u32_e32 vcc_lo, 0, v151
	s_and_b32 s18, s17, vcc_lo
	s_and_saveexec_b32 s17, s18
	s_cbranch_execz .LBB112_758
; %bb.757:                              ;   in Loop: Header=BB112_730 Depth=2
	s_wait_dscnt 0x0
	v_bcnt_u32_b32 v62, v62, v150
	ds_store_b32 v152, v62 offset:544
.LBB112_758:                            ;   in Loop: Header=BB112_730 Depth=2
	s_or_b32 exec_lo, exec_lo, s17
	v_bfe_u32 v62, v148, 16, 8
	; wave barrier
	s_delay_alu instid0(VALU_DEP_1) | instskip(NEXT) | instid1(VALU_DEP_1)
	v_lshrrev_b32_e32 v62, s49, v62
	v_and_b32_e32 v155, s48, v62
	s_delay_alu instid0(VALU_DEP_1) | instskip(SKIP_1) | instid1(VALU_DEP_1)
	v_lshlrev_b32_e32 v153, 30, v155
	v_bitop3_b32 v63, v62, 1, s48 bitop3:0x80
	v_add_co_u32 v62, s17, v63, -1
	s_delay_alu instid0(VALU_DEP_1) | instskip(NEXT) | instid1(VALU_DEP_4)
	v_cndmask_b32_e64 v63, 0, 1, s17
	v_cmp_gt_i32_e64 s17, 0, v153
	s_delay_alu instid0(VALU_DEP_2) | instskip(SKIP_2) | instid1(VALU_DEP_2)
	v_cmp_ne_u32_e32 vcc_lo, 0, v63
	v_not_b32_e32 v63, v153
	v_bitop3_b32 v62, vcc_lo, exec_lo, v62 bitop3:0x48
	v_ashrrev_i32_e32 v63, 31, v63
	v_dual_lshlrev_b32 v154, 29, v155 :: v_dual_lshlrev_b32 v156, 28, v155
	v_dual_lshlrev_b32 v157, 27, v155 :: v_dual_lshlrev_b32 v158, 26, v155
	s_delay_alu instid0(VALU_DEP_2)
	v_not_b32_e32 v153, v154
	v_lshlrev_b32_e32 v159, 25, v155
	v_cmp_gt_i32_e64 s18, 0, v154
	v_cmp_gt_i32_e64 s19, 0, v156
	v_not_b32_e32 v154, v156
	v_not_b32_e32 v156, v157
	v_ashrrev_i32_e32 v153, 31, v153
	v_cmp_gt_i32_e64 s20, 0, v157
	v_cmp_gt_i32_e64 s21, 0, v158
	v_not_b32_e32 v157, v158
	v_dual_ashrrev_i32 v154, 31, v154 :: v_dual_ashrrev_i32 v156, 31, v156
	v_xor_b32_e32 v63, s17, v63
	v_not_b32_e32 v158, v159
	v_xor_b32_e32 v153, s18, v153
	s_delay_alu instid0(VALU_DEP_4) | instskip(SKIP_2) | instid1(VALU_DEP_4)
	v_dual_ashrrev_i32 v157, 31, v157 :: v_dual_bitop2_b32 v154, s19, v154 bitop3:0x14
	v_xor_b32_e32 v156, s20, v156
	v_cmp_gt_i32_e32 vcc_lo, 0, v159
	v_bitop3_b32 v62, v62, v153, v63 bitop3:0x80
	v_ashrrev_i32_e32 v63, 31, v158
	v_mad_u32_u24 v153, v155, 36, v114
	v_xor_b32_e32 v157, s21, v157
	s_delay_alu instid0(VALU_DEP_4) | instskip(NEXT) | instid1(VALU_DEP_4)
	v_bitop3_b32 v62, v62, v156, v154 bitop3:0x80
	v_xor_b32_e32 v63, vcc_lo, v63
	ds_load_b32 v153, v153 offset:544
	; wave barrier
	v_bitop3_b32 v62, v62, v63, v157 bitop3:0x80
	v_mul_u32_u24_e32 v63, 36, v155
	s_delay_alu instid0(VALU_DEP_2) | instskip(SKIP_1) | instid1(VALU_DEP_3)
	v_mbcnt_lo_u32_b32 v154, v62, 0
	v_cmp_ne_u32_e64 s17, 0, v62
	v_add_nc_u32_e32 v156, v114, v63
	s_delay_alu instid0(VALU_DEP_3) | instskip(SKIP_1) | instid1(SALU_CYCLE_1)
	v_cmp_eq_u32_e32 vcc_lo, 0, v154
	s_and_b32 s18, s17, vcc_lo
	s_and_saveexec_b32 s17, s18
	s_cbranch_execz .LBB112_760
; %bb.759:                              ;   in Loop: Header=BB112_730 Depth=2
	s_wait_dscnt 0x0
	v_bcnt_u32_b32 v62, v62, v153
	ds_store_b32 v156, v62 offset:544
.LBB112_760:                            ;   in Loop: Header=BB112_730 Depth=2
	s_or_b32 exec_lo, exec_lo, s17
	v_lshrrev_b32_e32 v155, 24, v148
	; wave barrier
	s_delay_alu instid0(VALU_DEP_1) | instskip(NEXT) | instid1(VALU_DEP_1)
	v_lshrrev_b32_e32 v62, s49, v155
	v_bitop3_b32 v63, v62, 1, s48 bitop3:0x80
	v_and_b32_e32 v159, s48, v62
	s_delay_alu instid0(VALU_DEP_2) | instskip(NEXT) | instid1(VALU_DEP_1)
	v_add_co_u32 v62, s17, v63, -1
	v_cndmask_b32_e64 v63, 0, 1, s17
	s_delay_alu instid0(VALU_DEP_3) | instskip(SKIP_1) | instid1(VALU_DEP_3)
	v_dual_lshlrev_b32 v157, 30, v159 :: v_dual_lshlrev_b32 v158, 29, v159
	v_dual_lshlrev_b32 v160, 28, v159 :: v_dual_lshlrev_b32 v161, 27, v159
	v_cmp_ne_u32_e32 vcc_lo, 0, v63
	s_delay_alu instid0(VALU_DEP_3)
	v_cmp_gt_i32_e64 s17, 0, v157
	v_not_b32_e32 v63, v157
	v_not_b32_e32 v157, v158
	v_dual_lshlrev_b32 v162, 26, v159 :: v_dual_lshlrev_b32 v163, 25, v159
	v_cmp_gt_i32_e64 s18, 0, v158
	v_cmp_gt_i32_e64 s19, 0, v160
	v_not_b32_e32 v158, v160
	v_not_b32_e32 v160, v161
	v_dual_ashrrev_i32 v63, 31, v63 :: v_dual_ashrrev_i32 v157, 31, v157
	v_cmp_gt_i32_e64 s20, 0, v161
	v_cmp_gt_i32_e64 s21, 0, v162
	v_not_b32_e32 v161, v162
	v_bitop3_b32 v62, vcc_lo, exec_lo, v62 bitop3:0x48
	v_dual_ashrrev_i32 v158, 31, v158 :: v_dual_ashrrev_i32 v160, 31, v160
	v_xor_b32_e32 v63, s17, v63
	v_not_b32_e32 v162, v163
	v_xor_b32_e32 v157, s18, v157
	s_delay_alu instid0(VALU_DEP_4) | instskip(SKIP_2) | instid1(VALU_DEP_4)
	v_dual_ashrrev_i32 v161, 31, v161 :: v_dual_bitop2_b32 v158, s19, v158 bitop3:0x14
	v_xor_b32_e32 v160, s20, v160
	v_cmp_gt_i32_e32 vcc_lo, 0, v163
	v_bitop3_b32 v62, v62, v157, v63 bitop3:0x80
	v_ashrrev_i32_e32 v63, 31, v162
	v_mad_u32_u24 v157, v159, 36, v114
	v_xor_b32_e32 v161, s21, v161
	s_delay_alu instid0(VALU_DEP_4) | instskip(NEXT) | instid1(VALU_DEP_4)
	v_bitop3_b32 v62, v62, v160, v158 bitop3:0x80
	v_xor_b32_e32 v63, vcc_lo, v63
	ds_load_b32 v157, v157 offset:544
	; wave barrier
	v_bitop3_b32 v62, v62, v63, v161 bitop3:0x80
	v_mul_u32_u24_e32 v63, 36, v159
	s_delay_alu instid0(VALU_DEP_2) | instskip(SKIP_1) | instid1(VALU_DEP_3)
	v_mbcnt_lo_u32_b32 v158, v62, 0
	v_cmp_ne_u32_e64 s17, 0, v62
	v_add_nc_u32_e32 v159, v114, v63
	s_delay_alu instid0(VALU_DEP_3) | instskip(SKIP_1) | instid1(SALU_CYCLE_1)
	v_cmp_eq_u32_e32 vcc_lo, 0, v158
	s_and_b32 s18, s17, vcc_lo
	s_and_saveexec_b32 s17, s18
	s_cbranch_execz .LBB112_762
; %bb.761:                              ;   in Loop: Header=BB112_730 Depth=2
	s_wait_dscnt 0x0
	v_bcnt_u32_b32 v62, v62, v157
	ds_store_b32 v159, v62 offset:544
.LBB112_762:                            ;   in Loop: Header=BB112_730 Depth=2
	s_or_b32 exec_lo, exec_lo, s17
	v_bitop3_b16 v62, v142, 0xff, v142 bitop3:0xc
	; wave barrier
	s_delay_alu instid0(VALU_DEP_1) | instskip(NEXT) | instid1(VALU_DEP_1)
	v_and_b32_e32 v62, 0xffff, v62
	v_lshrrev_b32_e32 v62, s49, v62
	s_delay_alu instid0(VALU_DEP_1) | instskip(SKIP_1) | instid1(VALU_DEP_2)
	v_bitop3_b32 v63, v62, 1, s48 bitop3:0x80
	v_and_b32_e32 v162, s48, v62
	v_add_co_u32 v62, s17, v63, -1
	s_delay_alu instid0(VALU_DEP_1) | instskip(NEXT) | instid1(VALU_DEP_3)
	v_cndmask_b32_e64 v63, 0, 1, s17
	v_dual_lshlrev_b32 v160, 30, v162 :: v_dual_lshlrev_b32 v161, 29, v162
	s_delay_alu instid0(VALU_DEP_2) | instskip(NEXT) | instid1(VALU_DEP_2)
	v_cmp_ne_u32_e32 vcc_lo, 0, v63
	v_cmp_gt_i32_e64 s17, 0, v160
	v_not_b32_e32 v63, v160
	s_delay_alu instid0(VALU_DEP_4) | instskip(SKIP_2) | instid1(VALU_DEP_3)
	v_not_b32_e32 v160, v161
	v_cmp_gt_i32_e64 s18, 0, v161
	v_bitop3_b32 v62, vcc_lo, exec_lo, v62 bitop3:0x48
	v_dual_ashrrev_i32 v63, 31, v63 :: v_dual_ashrrev_i32 v160, 31, v160
	v_dual_lshlrev_b32 v163, 28, v162 :: v_dual_lshlrev_b32 v164, 27, v162
	v_dual_lshlrev_b32 v165, 26, v162 :: v_dual_lshlrev_b32 v166, 25, v162
	s_delay_alu instid0(VALU_DEP_2) | instskip(SKIP_1) | instid1(VALU_DEP_4)
	v_cmp_gt_i32_e64 s19, 0, v163
	v_not_b32_e32 v161, v163
	v_cmp_gt_i32_e64 s20, 0, v164
	v_not_b32_e32 v163, v164
	;; [unrolled: 2-line block ×3, first 2 shown]
	v_not_b32_e32 v165, v166
	v_xor_b32_e32 v63, s17, v63
	v_dual_ashrrev_i32 v161, 31, v161 :: v_dual_bitop2_b32 v160, s18, v160 bitop3:0x14
	s_delay_alu instid0(VALU_DEP_4) | instskip(NEXT) | instid1(VALU_DEP_4)
	v_dual_ashrrev_i32 v163, 31, v163 :: v_dual_ashrrev_i32 v164, 31, v164
	v_ashrrev_i32_e32 v165, 31, v165
	s_delay_alu instid0(VALU_DEP_3)
	v_bitop3_b32 v62, v62, v160, v63 bitop3:0x80
	v_mad_u32_u24 v63, v162, 36, v114
	v_cmp_gt_i32_e64 s22, 0, v166
	v_xor_b32_e32 v163, s20, v163
	v_xor_b32_e32 v164, s21, v164
	ds_load_b32 v160, v63 offset:544
	v_mul_u32_u24_e32 v63, 36, v162
	v_xor_b32_e32 v161, s19, v161
	v_xor_b32_e32 v165, s22, v165
	; wave barrier
	s_delay_alu instid0(VALU_DEP_3) | instskip(NEXT) | instid1(VALU_DEP_3)
	v_add_nc_u32_e32 v162, v114, v63
	v_bitop3_b32 v62, v62, v163, v161 bitop3:0x80
	s_delay_alu instid0(VALU_DEP_1) | instskip(NEXT) | instid1(VALU_DEP_1)
	v_bitop3_b32 v62, v62, v165, v164 bitop3:0x80
	v_mbcnt_lo_u32_b32 v161, v62, 0
	v_cmp_ne_u32_e64 s17, 0, v62
	s_delay_alu instid0(VALU_DEP_2) | instskip(SKIP_1) | instid1(SALU_CYCLE_1)
	v_cmp_eq_u32_e32 vcc_lo, 0, v161
	s_and_b32 s18, s17, vcc_lo
	s_and_saveexec_b32 s17, s18
	s_cbranch_execz .LBB112_764
; %bb.763:                              ;   in Loop: Header=BB112_730 Depth=2
	s_wait_dscnt 0x0
	v_bcnt_u32_b32 v62, v62, v160
	ds_store_b32 v162, v62 offset:544
.LBB112_764:                            ;   in Loop: Header=BB112_730 Depth=2
	s_or_b32 exec_lo, exec_lo, s17
	v_xor_b32_e32 v62, -1, v144
	v_xor_b32_e32 v63, -1, v145
	; wave barrier
	s_delay_alu instid0(VALU_DEP_2) | instskip(NEXT) | instid1(VALU_DEP_2)
	v_lshlrev_b16 v62, 8, v62
	v_lshlrev_b16 v63, 8, v63
	s_delay_alu instid0(VALU_DEP_2) | instskip(NEXT) | instid1(VALU_DEP_2)
	v_bitop3_b16 v142, v142, v62, 0xff bitop3:0xce
	v_bitop3_b16 v62, v143, v63, 0xff bitop3:0xce
	s_delay_alu instid0(VALU_DEP_2) | instskip(NEXT) | instid1(VALU_DEP_2)
	v_and_b32_e32 v63, 0xffff, v142
	v_lshlrev_b32_e32 v62, 16, v62
	s_delay_alu instid0(VALU_DEP_1) | instskip(NEXT) | instid1(VALU_DEP_1)
	v_or_b32_e32 v143, v63, v62
	v_bfe_u32 v62, v143, 8, 8
	s_delay_alu instid0(VALU_DEP_1) | instskip(NEXT) | instid1(VALU_DEP_1)
	v_lshrrev_b32_e32 v62, s49, v62
	v_bitop3_b32 v63, v62, 1, s48 bitop3:0x80
	v_and_b32_e32 v163, s48, v62
	s_delay_alu instid0(VALU_DEP_2) | instskip(NEXT) | instid1(VALU_DEP_1)
	v_add_co_u32 v62, s17, v63, -1
	v_cndmask_b32_e64 v63, 0, 1, s17
	s_delay_alu instid0(VALU_DEP_3) | instskip(NEXT) | instid1(VALU_DEP_2)
	v_lshlrev_b32_e32 v144, 30, v163
	v_cmp_ne_u32_e32 vcc_lo, 0, v63
	s_delay_alu instid0(VALU_DEP_2) | instskip(SKIP_2) | instid1(VALU_DEP_3)
	v_not_b32_e32 v63, v144
	v_cmp_gt_i32_e64 s17, 0, v144
	v_bitop3_b32 v62, vcc_lo, exec_lo, v62 bitop3:0x48
	v_ashrrev_i32_e32 v63, 31, v63
	v_dual_lshlrev_b32 v145, 29, v163 :: v_dual_lshlrev_b32 v164, 28, v163
	v_dual_lshlrev_b32 v165, 27, v163 :: v_dual_lshlrev_b32 v166, 26, v163
	s_delay_alu instid0(VALU_DEP_2)
	v_not_b32_e32 v144, v145
	v_lshlrev_b32_e32 v167, 25, v163
	v_cmp_gt_i32_e64 s18, 0, v145
	v_cmp_gt_i32_e64 s19, 0, v164
	v_not_b32_e32 v145, v164
	v_ashrrev_i32_e32 v144, 31, v144
	v_cmp_gt_i32_e64 s20, 0, v165
	v_not_b32_e32 v164, v165
	v_cmp_gt_i32_e64 s21, 0, v166
	v_not_b32_e32 v165, v166
	v_not_b32_e32 v166, v167
	v_xor_b32_e32 v63, s17, v63
	v_dual_ashrrev_i32 v145, 31, v145 :: v_dual_bitop2_b32 v144, s18, v144 bitop3:0x14
	s_delay_alu instid0(VALU_DEP_4) | instskip(NEXT) | instid1(VALU_DEP_4)
	v_dual_ashrrev_i32 v164, 31, v164 :: v_dual_ashrrev_i32 v165, 31, v165
	v_ashrrev_i32_e32 v166, 31, v166
	s_delay_alu instid0(VALU_DEP_3)
	v_bitop3_b32 v62, v62, v144, v63 bitop3:0x80
	v_mad_u32_u24 v63, v163, 36, v114
	v_cmp_gt_i32_e64 s22, 0, v167
	v_xor_b32_e32 v164, s20, v164
	v_xor_b32_e32 v165, s21, v165
	ds_load_b32 v144, v63 offset:544
	v_mul_u32_u24_e32 v63, 36, v163
	v_xor_b32_e32 v145, s19, v145
	v_xor_b32_e32 v166, s22, v166
	; wave barrier
	s_delay_alu instid0(VALU_DEP_3) | instskip(NEXT) | instid1(VALU_DEP_3)
	v_add_nc_u32_e32 v163, v114, v63
	v_bitop3_b32 v62, v62, v164, v145 bitop3:0x80
	s_delay_alu instid0(VALU_DEP_1) | instskip(NEXT) | instid1(VALU_DEP_1)
	v_bitop3_b32 v62, v62, v166, v165 bitop3:0x80
	v_mbcnt_lo_u32_b32 v145, v62, 0
	v_cmp_ne_u32_e64 s17, 0, v62
	s_delay_alu instid0(VALU_DEP_2) | instskip(SKIP_1) | instid1(SALU_CYCLE_1)
	v_cmp_eq_u32_e32 vcc_lo, 0, v145
	s_and_b32 s18, s17, vcc_lo
	s_and_saveexec_b32 s17, s18
	s_cbranch_execz .LBB112_766
; %bb.765:                              ;   in Loop: Header=BB112_730 Depth=2
	s_wait_dscnt 0x0
	v_bcnt_u32_b32 v62, v62, v144
	ds_store_b32 v163, v62 offset:544
.LBB112_766:                            ;   in Loop: Header=BB112_730 Depth=2
	s_or_b32 exec_lo, exec_lo, s17
	v_bfe_u32 v62, v143, 16, 8
	; wave barrier
	s_delay_alu instid0(VALU_DEP_1) | instskip(NEXT) | instid1(VALU_DEP_1)
	v_lshrrev_b32_e32 v62, s49, v62
	v_bitop3_b32 v63, v62, 1, s48 bitop3:0x80
	v_and_b32_e32 v166, s48, v62
	s_delay_alu instid0(VALU_DEP_2) | instskip(NEXT) | instid1(VALU_DEP_1)
	v_add_co_u32 v62, s17, v63, -1
	v_cndmask_b32_e64 v63, 0, 1, s17
	s_delay_alu instid0(VALU_DEP_3) | instskip(NEXT) | instid1(VALU_DEP_2)
	v_dual_lshlrev_b32 v164, 30, v166 :: v_dual_lshlrev_b32 v165, 29, v166
	v_cmp_ne_u32_e32 vcc_lo, 0, v63
	s_delay_alu instid0(VALU_DEP_2) | instskip(SKIP_1) | instid1(VALU_DEP_4)
	v_cmp_gt_i32_e64 s17, 0, v164
	v_not_b32_e32 v63, v164
	v_not_b32_e32 v164, v165
	v_cmp_gt_i32_e64 s18, 0, v165
	v_bitop3_b32 v62, vcc_lo, exec_lo, v62 bitop3:0x48
	s_delay_alu instid0(VALU_DEP_3) | instskip(SKIP_2) | instid1(VALU_DEP_2)
	v_dual_ashrrev_i32 v63, 31, v63 :: v_dual_ashrrev_i32 v164, 31, v164
	v_dual_lshlrev_b32 v167, 28, v166 :: v_dual_lshlrev_b32 v168, 27, v166
	v_dual_lshlrev_b32 v169, 26, v166 :: v_dual_lshlrev_b32 v170, 25, v166
	v_cmp_gt_i32_e64 s19, 0, v167
	v_not_b32_e32 v165, v167
	s_delay_alu instid0(VALU_DEP_4) | instskip(SKIP_3) | instid1(VALU_DEP_4)
	v_not_b32_e32 v167, v168
	v_cmp_gt_i32_e64 s20, 0, v168
	v_cmp_gt_i32_e64 s21, 0, v169
	v_not_b32_e32 v168, v169
	v_dual_ashrrev_i32 v165, 31, v165 :: v_dual_ashrrev_i32 v167, 31, v167
	v_xor_b32_e32 v63, s17, v63
	v_not_b32_e32 v169, v170
	v_xor_b32_e32 v164, s18, v164
	s_delay_alu instid0(VALU_DEP_4) | instskip(SKIP_2) | instid1(VALU_DEP_4)
	v_dual_ashrrev_i32 v168, 31, v168 :: v_dual_bitop2_b32 v165, s19, v165 bitop3:0x14
	v_xor_b32_e32 v167, s20, v167
	v_cmp_gt_i32_e32 vcc_lo, 0, v170
	v_bitop3_b32 v62, v62, v164, v63 bitop3:0x80
	v_ashrrev_i32_e32 v63, 31, v169
	v_mad_u32_u24 v164, v166, 36, v114
	v_xor_b32_e32 v168, s21, v168
	s_delay_alu instid0(VALU_DEP_4) | instskip(NEXT) | instid1(VALU_DEP_4)
	v_bitop3_b32 v62, v62, v167, v165 bitop3:0x80
	v_xor_b32_e32 v63, vcc_lo, v63
	ds_load_b32 v164, v164 offset:544
	; wave barrier
	v_bitop3_b32 v62, v62, v63, v168 bitop3:0x80
	v_mul_u32_u24_e32 v63, 36, v166
	s_delay_alu instid0(VALU_DEP_2) | instskip(SKIP_1) | instid1(VALU_DEP_3)
	v_mbcnt_lo_u32_b32 v165, v62, 0
	v_cmp_ne_u32_e64 s17, 0, v62
	v_add_nc_u32_e32 v167, v114, v63
	s_delay_alu instid0(VALU_DEP_3) | instskip(SKIP_1) | instid1(SALU_CYCLE_1)
	v_cmp_eq_u32_e32 vcc_lo, 0, v165
	s_and_b32 s18, s17, vcc_lo
	s_and_saveexec_b32 s17, s18
	s_cbranch_execz .LBB112_768
; %bb.767:                              ;   in Loop: Header=BB112_730 Depth=2
	s_wait_dscnt 0x0
	v_bcnt_u32_b32 v62, v62, v164
	ds_store_b32 v167, v62 offset:544
.LBB112_768:                            ;   in Loop: Header=BB112_730 Depth=2
	s_or_b32 exec_lo, exec_lo, s17
	v_lshrrev_b32_e32 v166, 24, v143
	; wave barrier
	s_delay_alu instid0(VALU_DEP_1) | instskip(NEXT) | instid1(VALU_DEP_1)
	v_lshrrev_b32_e32 v62, s49, v166
	v_bitop3_b32 v63, v62, 1, s48 bitop3:0x80
	v_and_b32_e32 v170, s48, v62
	s_delay_alu instid0(VALU_DEP_2) | instskip(NEXT) | instid1(VALU_DEP_1)
	v_add_co_u32 v62, s17, v63, -1
	v_cndmask_b32_e64 v63, 0, 1, s17
	s_delay_alu instid0(VALU_DEP_3) | instskip(SKIP_1) | instid1(VALU_DEP_3)
	v_dual_lshlrev_b32 v168, 30, v170 :: v_dual_lshlrev_b32 v169, 29, v170
	v_dual_lshlrev_b32 v171, 28, v170 :: v_dual_lshlrev_b32 v172, 27, v170
	v_cmp_ne_u32_e32 vcc_lo, 0, v63
	s_delay_alu instid0(VALU_DEP_3)
	v_cmp_gt_i32_e64 s17, 0, v168
	v_not_b32_e32 v63, v168
	v_not_b32_e32 v168, v169
	v_dual_lshlrev_b32 v173, 26, v170 :: v_dual_lshlrev_b32 v174, 25, v170
	v_cmp_gt_i32_e64 s18, 0, v169
	v_cmp_gt_i32_e64 s19, 0, v171
	v_not_b32_e32 v169, v171
	v_not_b32_e32 v171, v172
	v_dual_ashrrev_i32 v63, 31, v63 :: v_dual_ashrrev_i32 v168, 31, v168
	v_cmp_gt_i32_e64 s20, 0, v172
	v_cmp_gt_i32_e64 s21, 0, v173
	v_not_b32_e32 v172, v173
	v_bitop3_b32 v62, vcc_lo, exec_lo, v62 bitop3:0x48
	v_dual_ashrrev_i32 v169, 31, v169 :: v_dual_ashrrev_i32 v171, 31, v171
	v_xor_b32_e32 v168, s18, v168
	s_delay_alu instid0(VALU_DEP_4) | instskip(SKIP_1) | instid1(VALU_DEP_4)
	v_dual_ashrrev_i32 v172, 31, v172 :: v_dual_bitop2_b32 v63, s17, v63 bitop3:0x14
	v_not_b32_e32 v173, v174
	v_xor_b32_e32 v169, s19, v169
	v_xor_b32_e32 v171, s20, v171
	s_delay_alu instid0(VALU_DEP_4)
	v_bitop3_b32 v62, v62, v168, v63 bitop3:0x80
	v_cmp_gt_i32_e32 vcc_lo, 0, v174
	v_ashrrev_i32_e32 v63, 31, v173
	v_mad_u32_u24 v168, v170, 36, v114
	v_xor_b32_e32 v172, s21, v172
	v_bitop3_b32 v62, v62, v171, v169 bitop3:0x80
	s_delay_alu instid0(VALU_DEP_4) | instskip(SKIP_3) | instid1(VALU_DEP_2)
	v_xor_b32_e32 v63, vcc_lo, v63
	ds_load_b32 v168, v168 offset:544
	; wave barrier
	v_bitop3_b32 v62, v62, v63, v172 bitop3:0x80
	v_mul_u32_u24_e32 v63, 36, v170
	v_mbcnt_lo_u32_b32 v169, v62, 0
	v_cmp_ne_u32_e64 s17, 0, v62
	s_delay_alu instid0(VALU_DEP_3) | instskip(NEXT) | instid1(VALU_DEP_3)
	v_add_nc_u32_e32 v170, v114, v63
	v_cmp_eq_u32_e32 vcc_lo, 0, v169
	s_and_b32 s18, s17, vcc_lo
	s_delay_alu instid0(SALU_CYCLE_1)
	s_and_saveexec_b32 s17, s18
	s_cbranch_execz .LBB112_770
; %bb.769:                              ;   in Loop: Header=BB112_730 Depth=2
	s_wait_dscnt 0x0
	v_bcnt_u32_b32 v62, v62, v168
	ds_store_b32 v170, v62 offset:544
.LBB112_770:                            ;   in Loop: Header=BB112_730 Depth=2
	s_or_b32 exec_lo, exec_lo, s17
	v_bitop3_b16 v62, v138, 0xff, v138 bitop3:0xc
	; wave barrier
	s_delay_alu instid0(VALU_DEP_1) | instskip(NEXT) | instid1(VALU_DEP_1)
	v_and_b32_e32 v62, 0xffff, v62
	v_lshrrev_b32_e32 v62, s49, v62
	s_delay_alu instid0(VALU_DEP_1) | instskip(NEXT) | instid1(VALU_DEP_1)
	v_and_b32_e32 v173, s48, v62
	v_lshlrev_b32_e32 v171, 30, v173
	v_bitop3_b32 v63, v62, 1, s48 bitop3:0x80
	s_delay_alu instid0(VALU_DEP_1) | instskip(NEXT) | instid1(VALU_DEP_1)
	v_add_co_u32 v62, s17, v63, -1
	v_cndmask_b32_e64 v63, 0, 1, s17
	s_delay_alu instid0(VALU_DEP_4) | instskip(NEXT) | instid1(VALU_DEP_2)
	v_cmp_gt_i32_e64 s17, 0, v171
	v_cmp_ne_u32_e32 vcc_lo, 0, v63
	v_not_b32_e32 v63, v171
	v_bitop3_b32 v62, vcc_lo, exec_lo, v62 bitop3:0x48
	s_delay_alu instid0(VALU_DEP_2) | instskip(SKIP_2) | instid1(VALU_DEP_3)
	v_dual_ashrrev_i32 v63, 31, v63 :: v_dual_lshlrev_b32 v172, 29, v173
	v_dual_lshlrev_b32 v174, 28, v173 :: v_dual_lshlrev_b32 v175, 27, v173
	v_lshlrev_b32_e32 v176, 26, v173
	v_not_b32_e32 v171, v172
	v_lshlrev_b32_e32 v177, 25, v173
	v_cmp_gt_i32_e64 s18, 0, v172
	v_cmp_gt_i32_e64 s19, 0, v174
	v_not_b32_e32 v172, v174
	v_ashrrev_i32_e32 v171, 31, v171
	v_cmp_gt_i32_e64 s20, 0, v175
	v_not_b32_e32 v174, v175
	v_cmp_gt_i32_e64 s21, 0, v176
	v_not_b32_e32 v175, v176
	v_not_b32_e32 v176, v177
	v_xor_b32_e32 v63, s17, v63
	v_dual_ashrrev_i32 v172, 31, v172 :: v_dual_bitop2_b32 v171, s18, v171 bitop3:0x14
	s_delay_alu instid0(VALU_DEP_3) | instskip(SKIP_1) | instid1(VALU_DEP_3)
	v_dual_ashrrev_i32 v174, 31, v174 :: v_dual_ashrrev_i32 v176, 31, v176
	v_cmp_gt_i32_e64 s22, 0, v177
	v_bitop3_b32 v62, v62, v171, v63 bitop3:0x80
	v_mad_u32_u24 v63, v173, 36, v114
	v_dual_ashrrev_i32 v175, 31, v175 :: v_dual_bitop2_b32 v172, s19, v172 bitop3:0x14
	s_delay_alu instid0(VALU_DEP_4) | instskip(SKIP_4) | instid1(VALU_DEP_3)
	v_xor_b32_e32 v176, s22, v176
	ds_load_b32 v171, v63 offset:544
	v_mul_u32_u24_e32 v63, 36, v173
	v_xor_b32_e32 v174, s20, v174
	v_xor_b32_e32 v175, s21, v175
	; wave barrier
	v_add_nc_u32_e32 v173, v114, v63
	s_delay_alu instid0(VALU_DEP_3) | instskip(NEXT) | instid1(VALU_DEP_1)
	v_bitop3_b32 v62, v62, v174, v172 bitop3:0x80
	v_bitop3_b32 v62, v62, v176, v175 bitop3:0x80
	s_delay_alu instid0(VALU_DEP_1) | instskip(SKIP_1) | instid1(VALU_DEP_2)
	v_mbcnt_lo_u32_b32 v172, v62, 0
	v_cmp_ne_u32_e64 s17, 0, v62
	v_cmp_eq_u32_e32 vcc_lo, 0, v172
	s_and_b32 s18, s17, vcc_lo
	s_delay_alu instid0(SALU_CYCLE_1)
	s_and_saveexec_b32 s17, s18
	s_cbranch_execz .LBB112_772
; %bb.771:                              ;   in Loop: Header=BB112_730 Depth=2
	s_wait_dscnt 0x0
	v_bcnt_u32_b32 v62, v62, v171
	ds_store_b32 v173, v62 offset:544
.LBB112_772:                            ;   in Loop: Header=BB112_730 Depth=2
	s_or_b32 exec_lo, exec_lo, s17
	v_xor_b32_e32 v62, -1, v140
	v_xor_b32_e32 v63, -1, v141
	; wave barrier
	s_delay_alu instid0(VALU_DEP_2) | instskip(NEXT) | instid1(VALU_DEP_2)
	v_lshlrev_b16 v62, 8, v62
	v_lshlrev_b16 v63, 8, v63
	s_delay_alu instid0(VALU_DEP_2) | instskip(NEXT) | instid1(VALU_DEP_2)
	v_bitop3_b16 v138, v138, v62, 0xff bitop3:0xce
	v_bitop3_b16 v62, v139, v63, 0xff bitop3:0xce
	s_delay_alu instid0(VALU_DEP_2) | instskip(NEXT) | instid1(VALU_DEP_2)
	v_and_b32_e32 v63, 0xffff, v138
	v_lshlrev_b32_e32 v62, 16, v62
	s_delay_alu instid0(VALU_DEP_1) | instskip(NEXT) | instid1(VALU_DEP_1)
	v_or_b32_e32 v139, v63, v62
	v_bfe_u32 v62, v139, 8, 8
	s_delay_alu instid0(VALU_DEP_1) | instskip(NEXT) | instid1(VALU_DEP_1)
	v_lshrrev_b32_e32 v62, s49, v62
	v_bitop3_b32 v63, v62, 1, s48 bitop3:0x80
	v_and_b32_e32 v174, s48, v62
	s_delay_alu instid0(VALU_DEP_2) | instskip(NEXT) | instid1(VALU_DEP_1)
	v_add_co_u32 v62, s17, v63, -1
	v_cndmask_b32_e64 v63, 0, 1, s17
	s_delay_alu instid0(VALU_DEP_3) | instskip(NEXT) | instid1(VALU_DEP_2)
	v_lshlrev_b32_e32 v140, 30, v174
	v_cmp_ne_u32_e32 vcc_lo, 0, v63
	s_delay_alu instid0(VALU_DEP_2) | instskip(SKIP_2) | instid1(VALU_DEP_3)
	v_not_b32_e32 v63, v140
	v_cmp_gt_i32_e64 s17, 0, v140
	v_bitop3_b32 v62, vcc_lo, exec_lo, v62 bitop3:0x48
	v_dual_ashrrev_i32 v63, 31, v63 :: v_dual_lshlrev_b32 v141, 29, v174
	v_dual_lshlrev_b32 v175, 28, v174 :: v_dual_lshlrev_b32 v176, 27, v174
	v_lshlrev_b32_e32 v177, 26, v174
	s_delay_alu instid0(VALU_DEP_3)
	v_not_b32_e32 v140, v141
	v_lshlrev_b32_e32 v178, 25, v174
	v_cmp_gt_i32_e64 s18, 0, v141
	v_cmp_gt_i32_e64 s19, 0, v175
	v_not_b32_e32 v141, v175
	v_ashrrev_i32_e32 v140, 31, v140
	v_cmp_gt_i32_e64 s20, 0, v176
	v_not_b32_e32 v175, v176
	v_cmp_gt_i32_e64 s21, 0, v177
	v_not_b32_e32 v176, v177
	v_not_b32_e32 v177, v178
	v_xor_b32_e32 v63, s17, v63
	v_dual_ashrrev_i32 v141, 31, v141 :: v_dual_bitop2_b32 v140, s18, v140 bitop3:0x14
	s_delay_alu instid0(VALU_DEP_4) | instskip(NEXT) | instid1(VALU_DEP_4)
	v_dual_ashrrev_i32 v175, 31, v175 :: v_dual_ashrrev_i32 v176, 31, v176
	v_ashrrev_i32_e32 v177, 31, v177
	s_delay_alu instid0(VALU_DEP_3)
	v_bitop3_b32 v62, v62, v140, v63 bitop3:0x80
	v_mad_u32_u24 v63, v174, 36, v114
	v_cmp_gt_i32_e64 s22, 0, v178
	v_xor_b32_e32 v175, s20, v175
	v_xor_b32_e32 v176, s21, v176
	ds_load_b32 v140, v63 offset:544
	v_mul_u32_u24_e32 v63, 36, v174
	v_xor_b32_e32 v141, s19, v141
	v_xor_b32_e32 v177, s22, v177
	; wave barrier
	s_delay_alu instid0(VALU_DEP_3) | instskip(NEXT) | instid1(VALU_DEP_3)
	v_add_nc_u32_e32 v174, v114, v63
	v_bitop3_b32 v62, v62, v175, v141 bitop3:0x80
	s_delay_alu instid0(VALU_DEP_1) | instskip(NEXT) | instid1(VALU_DEP_1)
	v_bitop3_b32 v62, v62, v177, v176 bitop3:0x80
	v_mbcnt_lo_u32_b32 v141, v62, 0
	v_cmp_ne_u32_e64 s17, 0, v62
	s_delay_alu instid0(VALU_DEP_2) | instskip(SKIP_1) | instid1(SALU_CYCLE_1)
	v_cmp_eq_u32_e32 vcc_lo, 0, v141
	s_and_b32 s18, s17, vcc_lo
	s_and_saveexec_b32 s17, s18
	s_cbranch_execz .LBB112_774
; %bb.773:                              ;   in Loop: Header=BB112_730 Depth=2
	s_wait_dscnt 0x0
	v_bcnt_u32_b32 v62, v62, v140
	ds_store_b32 v174, v62 offset:544
.LBB112_774:                            ;   in Loop: Header=BB112_730 Depth=2
	s_or_b32 exec_lo, exec_lo, s17
	v_bfe_u32 v62, v139, 16, 8
	; wave barrier
	s_delay_alu instid0(VALU_DEP_1) | instskip(NEXT) | instid1(VALU_DEP_1)
	v_lshrrev_b32_e32 v62, s49, v62
	v_and_b32_e32 v177, s48, v62
	s_delay_alu instid0(VALU_DEP_1) | instskip(SKIP_1) | instid1(VALU_DEP_1)
	v_lshlrev_b32_e32 v175, 30, v177
	v_bitop3_b32 v63, v62, 1, s48 bitop3:0x80
	v_add_co_u32 v62, s17, v63, -1
	s_delay_alu instid0(VALU_DEP_1) | instskip(NEXT) | instid1(VALU_DEP_4)
	v_cndmask_b32_e64 v63, 0, 1, s17
	v_cmp_gt_i32_e64 s17, 0, v175
	s_delay_alu instid0(VALU_DEP_2) | instskip(SKIP_2) | instid1(VALU_DEP_2)
	v_cmp_ne_u32_e32 vcc_lo, 0, v63
	v_not_b32_e32 v63, v175
	v_bitop3_b32 v62, vcc_lo, exec_lo, v62 bitop3:0x48
	v_dual_ashrrev_i32 v63, 31, v63 :: v_dual_lshlrev_b32 v176, 29, v177
	v_dual_lshlrev_b32 v178, 28, v177 :: v_dual_lshlrev_b32 v179, 27, v177
	s_delay_alu instid0(VALU_DEP_2) | instskip(NEXT) | instid1(VALU_DEP_3)
	v_dual_lshlrev_b32 v180, 26, v177 :: v_dual_bitop2_b32 v63, s17, v63 bitop3:0x14
	v_not_b32_e32 v175, v176
	v_lshlrev_b32_e32 v181, 25, v177
	v_cmp_gt_i32_e64 s18, 0, v176
	v_cmp_gt_i32_e64 s19, 0, v178
	v_not_b32_e32 v176, v178
	v_not_b32_e32 v178, v179
	v_ashrrev_i32_e32 v175, 31, v175
	v_cmp_gt_i32_e64 s20, 0, v179
	v_cmp_gt_i32_e64 s21, 0, v180
	v_not_b32_e32 v179, v180
	v_dual_ashrrev_i32 v176, 31, v176 :: v_dual_ashrrev_i32 v178, 31, v178
	v_not_b32_e32 v180, v181
	v_xor_b32_e32 v175, s18, v175
	s_delay_alu instid0(VALU_DEP_3) | instskip(NEXT) | instid1(VALU_DEP_4)
	v_dual_ashrrev_i32 v179, 31, v179 :: v_dual_bitop2_b32 v176, s19, v176 bitop3:0x14
	v_xor_b32_e32 v178, s20, v178
	v_cmp_gt_i32_e32 vcc_lo, 0, v181
	s_delay_alu instid0(VALU_DEP_4) | instskip(SKIP_3) | instid1(VALU_DEP_4)
	v_bitop3_b32 v62, v62, v175, v63 bitop3:0x80
	v_ashrrev_i32_e32 v63, 31, v180
	v_mad_u32_u24 v175, v177, 36, v114
	v_xor_b32_e32 v179, s21, v179
	v_bitop3_b32 v62, v62, v178, v176 bitop3:0x80
	s_delay_alu instid0(VALU_DEP_4) | instskip(SKIP_3) | instid1(VALU_DEP_2)
	v_xor_b32_e32 v63, vcc_lo, v63
	ds_load_b32 v175, v175 offset:544
	; wave barrier
	v_bitop3_b32 v62, v62, v63, v179 bitop3:0x80
	v_mul_u32_u24_e32 v63, 36, v177
	v_mbcnt_lo_u32_b32 v176, v62, 0
	v_cmp_ne_u32_e64 s17, 0, v62
	s_delay_alu instid0(VALU_DEP_3) | instskip(NEXT) | instid1(VALU_DEP_3)
	v_add_nc_u32_e32 v178, v114, v63
	v_cmp_eq_u32_e32 vcc_lo, 0, v176
	s_and_b32 s18, s17, vcc_lo
	s_delay_alu instid0(SALU_CYCLE_1)
	s_and_saveexec_b32 s17, s18
	s_cbranch_execz .LBB112_776
; %bb.775:                              ;   in Loop: Header=BB112_730 Depth=2
	s_wait_dscnt 0x0
	v_bcnt_u32_b32 v62, v62, v175
	ds_store_b32 v178, v62 offset:544
.LBB112_776:                            ;   in Loop: Header=BB112_730 Depth=2
	s_or_b32 exec_lo, exec_lo, s17
	v_lshrrev_b32_e32 v177, 24, v139
	; wave barrier
	s_delay_alu instid0(VALU_DEP_1) | instskip(NEXT) | instid1(VALU_DEP_1)
	v_lshrrev_b32_e32 v62, s49, v177
	v_bitop3_b32 v63, v62, 1, s48 bitop3:0x80
	v_and_b32_e32 v181, s48, v62
	s_delay_alu instid0(VALU_DEP_2) | instskip(NEXT) | instid1(VALU_DEP_1)
	v_add_co_u32 v62, s17, v63, -1
	v_cndmask_b32_e64 v63, 0, 1, s17
	s_delay_alu instid0(VALU_DEP_3) | instskip(SKIP_1) | instid1(VALU_DEP_3)
	v_dual_lshlrev_b32 v179, 30, v181 :: v_dual_lshlrev_b32 v180, 29, v181
	v_dual_lshlrev_b32 v182, 28, v181 :: v_dual_lshlrev_b32 v183, 27, v181
	v_cmp_ne_u32_e32 vcc_lo, 0, v63
	s_delay_alu instid0(VALU_DEP_3)
	v_cmp_gt_i32_e64 s17, 0, v179
	v_not_b32_e32 v63, v179
	v_not_b32_e32 v179, v180
	v_dual_lshlrev_b32 v184, 26, v181 :: v_dual_lshlrev_b32 v185, 25, v181
	v_cmp_gt_i32_e64 s18, 0, v180
	v_cmp_gt_i32_e64 s19, 0, v182
	v_not_b32_e32 v180, v182
	v_not_b32_e32 v182, v183
	v_ashrrev_i32_e32 v63, 31, v63
	v_ashrrev_i32_e32 v179, 31, v179
	v_cmp_gt_i32_e64 s20, 0, v183
	v_cmp_gt_i32_e64 s21, 0, v184
	v_not_b32_e32 v183, v184
	v_bitop3_b32 v62, vcc_lo, exec_lo, v62 bitop3:0x48
	v_dual_ashrrev_i32 v180, 31, v180 :: v_dual_ashrrev_i32 v182, 31, v182
	v_xor_b32_e32 v63, s17, v63
	v_not_b32_e32 v184, v185
	v_xor_b32_e32 v179, s18, v179
	s_delay_alu instid0(VALU_DEP_4) | instskip(SKIP_2) | instid1(VALU_DEP_4)
	v_dual_ashrrev_i32 v183, 31, v183 :: v_dual_bitop2_b32 v180, s19, v180 bitop3:0x14
	v_xor_b32_e32 v182, s20, v182
	v_cmp_gt_i32_e32 vcc_lo, 0, v185
	v_bitop3_b32 v62, v62, v179, v63 bitop3:0x80
	v_ashrrev_i32_e32 v63, 31, v184
	v_mad_u32_u24 v179, v181, 36, v114
	v_xor_b32_e32 v183, s21, v183
	s_delay_alu instid0(VALU_DEP_4) | instskip(NEXT) | instid1(VALU_DEP_4)
	v_bitop3_b32 v62, v62, v182, v180 bitop3:0x80
	v_xor_b32_e32 v63, vcc_lo, v63
	ds_load_b32 v179, v179 offset:544
	; wave barrier
	v_bitop3_b32 v62, v62, v63, v183 bitop3:0x80
	v_mul_u32_u24_e32 v63, 36, v181
	s_delay_alu instid0(VALU_DEP_2) | instskip(SKIP_1) | instid1(VALU_DEP_3)
	v_mbcnt_lo_u32_b32 v180, v62, 0
	v_cmp_ne_u32_e64 s17, 0, v62
	v_add_nc_u32_e32 v181, v114, v63
	s_delay_alu instid0(VALU_DEP_3) | instskip(SKIP_1) | instid1(SALU_CYCLE_1)
	v_cmp_eq_u32_e32 vcc_lo, 0, v180
	s_and_b32 s18, s17, vcc_lo
	s_and_saveexec_b32 s17, s18
	s_cbranch_execz .LBB112_778
; %bb.777:                              ;   in Loop: Header=BB112_730 Depth=2
	s_wait_dscnt 0x0
	v_bcnt_u32_b32 v62, v62, v179
	ds_store_b32 v181, v62 offset:544
.LBB112_778:                            ;   in Loop: Header=BB112_730 Depth=2
	s_or_b32 exec_lo, exec_lo, s17
	v_bitop3_b16 v62, v64, 0xff, v64 bitop3:0xc
	; wave barrier
	s_delay_alu instid0(VALU_DEP_1) | instskip(NEXT) | instid1(VALU_DEP_1)
	v_and_b32_e32 v62, 0xffff, v62
	v_lshrrev_b32_e32 v62, s49, v62
	s_delay_alu instid0(VALU_DEP_1) | instskip(NEXT) | instid1(VALU_DEP_1)
	v_and_b32_e32 v184, s48, v62
	v_lshlrev_b32_e32 v182, 30, v184
	v_bitop3_b32 v63, v62, 1, s48 bitop3:0x80
	s_delay_alu instid0(VALU_DEP_1) | instskip(NEXT) | instid1(VALU_DEP_1)
	v_add_co_u32 v62, s17, v63, -1
	v_cndmask_b32_e64 v63, 0, 1, s17
	s_delay_alu instid0(VALU_DEP_4) | instskip(NEXT) | instid1(VALU_DEP_2)
	v_cmp_gt_i32_e64 s17, 0, v182
	v_cmp_ne_u32_e32 vcc_lo, 0, v63
	v_not_b32_e32 v63, v182
	v_bitop3_b32 v62, vcc_lo, exec_lo, v62 bitop3:0x48
	s_delay_alu instid0(VALU_DEP_2) | instskip(SKIP_2) | instid1(VALU_DEP_3)
	v_dual_ashrrev_i32 v63, 31, v63 :: v_dual_lshlrev_b32 v183, 29, v184
	v_dual_lshlrev_b32 v185, 28, v184 :: v_dual_lshlrev_b32 v186, 27, v184
	v_lshlrev_b32_e32 v187, 26, v184
	v_not_b32_e32 v182, v183
	v_lshlrev_b32_e32 v188, 25, v184
	v_cmp_gt_i32_e64 s18, 0, v183
	v_cmp_gt_i32_e64 s19, 0, v185
	v_not_b32_e32 v183, v185
	v_not_b32_e32 v185, v186
	v_ashrrev_i32_e32 v182, 31, v182
	v_cmp_gt_i32_e64 s20, 0, v186
	v_cmp_gt_i32_e64 s21, 0, v187
	v_not_b32_e32 v186, v187
	v_not_b32_e32 v187, v188
	v_dual_ashrrev_i32 v183, 31, v183 :: v_dual_ashrrev_i32 v185, 31, v185
	s_delay_alu instid0(VALU_DEP_3) | instskip(NEXT) | instid1(VALU_DEP_3)
	v_dual_ashrrev_i32 v186, 31, v186 :: v_dual_bitop2_b32 v63, s17, v63 bitop3:0x14
	v_dual_ashrrev_i32 v187, 31, v187 :: v_dual_bitop2_b32 v182, s18, v182 bitop3:0x14
	v_cmp_gt_i32_e64 s22, 0, v188
	s_delay_alu instid0(VALU_DEP_4) | instskip(SKIP_1) | instid1(VALU_DEP_4)
	v_xor_b32_e32 v183, s19, v183
	v_xor_b32_e32 v185, s20, v185
	v_bitop3_b32 v62, v62, v182, v63 bitop3:0x80
	v_mad_u32_u24 v63, v184, 36, v114
	v_xor_b32_e32 v187, s22, v187
	s_delay_alu instid0(VALU_DEP_3) | instskip(SKIP_3) | instid1(VALU_DEP_2)
	v_bitop3_b32 v62, v62, v185, v183 bitop3:0x80
	ds_load_b32 v182, v63 offset:544
	v_mul_u32_u24_e32 v63, 36, v184
	v_xor_b32_e32 v186, s21, v186
	; wave barrier
	v_add_nc_u32_e32 v185, v114, v63
	s_delay_alu instid0(VALU_DEP_2) | instskip(NEXT) | instid1(VALU_DEP_1)
	v_bitop3_b32 v62, v62, v187, v186 bitop3:0x80
	v_mbcnt_lo_u32_b32 v183, v62, 0
	v_cmp_ne_u32_e64 s17, 0, v62
	s_delay_alu instid0(VALU_DEP_2) | instskip(SKIP_1) | instid1(SALU_CYCLE_1)
	v_cmp_eq_u32_e32 vcc_lo, 0, v183
	s_and_b32 s18, s17, vcc_lo
	s_and_saveexec_b32 s17, s18
	s_cbranch_execz .LBB112_780
; %bb.779:                              ;   in Loop: Header=BB112_730 Depth=2
	s_wait_dscnt 0x0
	v_bcnt_u32_b32 v62, v62, v182
	ds_store_b32 v185, v62 offset:544
.LBB112_780:                            ;   in Loop: Header=BB112_730 Depth=2
	s_or_b32 exec_lo, exec_lo, s17
	v_xor_b32_e32 v62, -1, v135
	v_xor_b32_e32 v63, -1, v136
	; wave barrier
	s_delay_alu instid0(VALU_DEP_2) | instskip(NEXT) | instid1(VALU_DEP_2)
	v_lshlrev_b16 v62, 8, v62
	v_lshlrev_b16 v63, 8, v63
	s_delay_alu instid0(VALU_DEP_2) | instskip(NEXT) | instid1(VALU_DEP_2)
	v_bitop3_b16 v184, v64, v62, 0xff bitop3:0xce
	v_bitop3_b16 v62, v65, v63, 0xff bitop3:0xce
	s_delay_alu instid0(VALU_DEP_2) | instskip(NEXT) | instid1(VALU_DEP_2)
	v_and_b32_e32 v63, 0xffff, v184
	v_lshlrev_b32_e32 v62, 16, v62
	s_delay_alu instid0(VALU_DEP_1) | instskip(NEXT) | instid1(VALU_DEP_1)
	v_or_b32_e32 v135, v63, v62
	v_bfe_u32 v62, v135, 8, 8
	s_delay_alu instid0(VALU_DEP_1) | instskip(NEXT) | instid1(VALU_DEP_1)
	v_lshrrev_b32_e32 v62, s49, v62
	v_bitop3_b32 v63, v62, 1, s48 bitop3:0x80
	v_and_b32_e32 v64, s48, v62
	s_delay_alu instid0(VALU_DEP_2) | instskip(NEXT) | instid1(VALU_DEP_1)
	v_add_co_u32 v62, s17, v63, -1
	v_cndmask_b32_e64 v63, 0, 1, s17
	s_delay_alu instid0(VALU_DEP_3) | instskip(NEXT) | instid1(VALU_DEP_2)
	v_lshlrev_b32_e32 v65, 30, v64
	v_cmp_ne_u32_e32 vcc_lo, 0, v63
	s_delay_alu instid0(VALU_DEP_2) | instskip(SKIP_2) | instid1(VALU_DEP_3)
	v_not_b32_e32 v63, v65
	v_cmp_gt_i32_e64 s17, 0, v65
	v_bitop3_b32 v62, vcc_lo, exec_lo, v62 bitop3:0x48
	v_dual_ashrrev_i32 v63, 31, v63 :: v_dual_lshlrev_b32 v136, 29, v64
	v_dual_lshlrev_b32 v186, 28, v64 :: v_dual_lshlrev_b32 v187, 27, v64
	v_lshlrev_b32_e32 v188, 26, v64
	s_delay_alu instid0(VALU_DEP_3)
	v_not_b32_e32 v65, v136
	v_lshlrev_b32_e32 v189, 25, v64
	v_cmp_gt_i32_e64 s18, 0, v136
	v_cmp_gt_i32_e64 s19, 0, v186
	v_not_b32_e32 v136, v186
	v_not_b32_e32 v186, v187
	v_ashrrev_i32_e32 v65, 31, v65
	v_cmp_gt_i32_e64 s20, 0, v187
	v_cmp_gt_i32_e64 s21, 0, v188
	v_not_b32_e32 v187, v188
	v_not_b32_e32 v188, v189
	v_dual_ashrrev_i32 v136, 31, v136 :: v_dual_ashrrev_i32 v186, 31, v186
	v_xor_b32_e32 v63, s17, v63
	s_delay_alu instid0(VALU_DEP_4)
	v_dual_ashrrev_i32 v187, 31, v187 :: v_dual_bitop2_b32 v65, s18, v65 bitop3:0x14
	v_cmp_gt_i32_e64 s22, 0, v189
	v_ashrrev_i32_e32 v188, 31, v188
	v_xor_b32_e32 v136, s19, v136
	v_xor_b32_e32 v186, s20, v186
	v_bitop3_b32 v62, v62, v65, v63 bitop3:0x80
	v_mad_u32_u24 v63, v64, 36, v114
	v_xor_b32_e32 v65, s21, v187
	v_xor_b32_e32 v187, s22, v188
	s_delay_alu instid0(VALU_DEP_4) | instskip(SKIP_3) | instid1(VALU_DEP_2)
	v_bitop3_b32 v62, v62, v186, v136 bitop3:0x80
	ds_load_b32 v136, v63 offset:544
	v_mul_u32_u24_e32 v63, 36, v64
	; wave barrier
	v_bitop3_b32 v62, v62, v187, v65 bitop3:0x80
	v_add_nc_u32_e32 v187, v114, v63
	s_delay_alu instid0(VALU_DEP_2) | instskip(SKIP_1) | instid1(VALU_DEP_2)
	v_mbcnt_lo_u32_b32 v186, v62, 0
	v_cmp_ne_u32_e64 s17, 0, v62
	v_cmp_eq_u32_e32 vcc_lo, 0, v186
	s_and_b32 s18, s17, vcc_lo
	s_delay_alu instid0(SALU_CYCLE_1)
	s_and_saveexec_b32 s17, s18
	s_cbranch_execz .LBB112_782
; %bb.781:                              ;   in Loop: Header=BB112_730 Depth=2
	s_wait_dscnt 0x0
	v_bcnt_u32_b32 v62, v62, v136
	ds_store_b32 v187, v62 offset:544
.LBB112_782:                            ;   in Loop: Header=BB112_730 Depth=2
	s_or_b32 exec_lo, exec_lo, s17
	v_bfe_u32 v62, v135, 16, 8
	; wave barrier
	s_delay_alu instid0(VALU_DEP_1) | instskip(NEXT) | instid1(VALU_DEP_1)
	v_lshrrev_b32_e32 v62, s49, v62
	v_and_b32_e32 v64, s48, v62
	s_delay_alu instid0(VALU_DEP_1) | instskip(SKIP_1) | instid1(VALU_DEP_1)
	v_lshlrev_b32_e32 v65, 30, v64
	v_bitop3_b32 v63, v62, 1, s48 bitop3:0x80
	v_add_co_u32 v62, s17, v63, -1
	s_delay_alu instid0(VALU_DEP_1) | instskip(NEXT) | instid1(VALU_DEP_4)
	v_cndmask_b32_e64 v63, 0, 1, s17
	v_cmp_gt_i32_e64 s17, 0, v65
	s_delay_alu instid0(VALU_DEP_2) | instskip(SKIP_2) | instid1(VALU_DEP_2)
	v_cmp_ne_u32_e32 vcc_lo, 0, v63
	v_not_b32_e32 v63, v65
	v_bitop3_b32 v62, vcc_lo, exec_lo, v62 bitop3:0x48
	v_dual_ashrrev_i32 v63, 31, v63 :: v_dual_lshlrev_b32 v188, 29, v64
	v_dual_lshlrev_b32 v189, 28, v64 :: v_dual_lshlrev_b32 v190, 27, v64
	v_lshlrev_b32_e32 v191, 26, v64
	s_delay_alu instid0(VALU_DEP_3)
	v_not_b32_e32 v65, v188
	v_lshlrev_b32_e32 v192, 25, v64
	v_cmp_gt_i32_e64 s18, 0, v188
	v_cmp_gt_i32_e64 s19, 0, v189
	v_not_b32_e32 v188, v189
	v_not_b32_e32 v189, v190
	v_ashrrev_i32_e32 v65, 31, v65
	v_cmp_gt_i32_e64 s20, 0, v190
	v_cmp_gt_i32_e64 s21, 0, v191
	v_not_b32_e32 v190, v191
	v_dual_ashrrev_i32 v188, 31, v188 :: v_dual_ashrrev_i32 v189, 31, v189
	v_xor_b32_e32 v63, s17, v63
	v_not_b32_e32 v191, v192
	s_delay_alu instid0(VALU_DEP_4) | instskip(NEXT) | instid1(VALU_DEP_4)
	v_dual_ashrrev_i32 v190, 31, v190 :: v_dual_bitop2_b32 v65, s18, v65 bitop3:0x14
	v_xor_b32_e32 v188, s19, v188
	v_xor_b32_e32 v189, s20, v189
	v_cmp_gt_i32_e32 vcc_lo, 0, v192
	s_delay_alu instid0(VALU_DEP_4) | instskip(SKIP_3) | instid1(VALU_DEP_4)
	v_bitop3_b32 v62, v62, v65, v63 bitop3:0x80
	v_ashrrev_i32_e32 v63, 31, v191
	v_mad_u32_u24 v65, v64, 36, v114
	v_xor_b32_e32 v190, s21, v190
	v_bitop3_b32 v62, v62, v189, v188 bitop3:0x80
	s_delay_alu instid0(VALU_DEP_4) | instskip(SKIP_3) | instid1(VALU_DEP_2)
	v_xor_b32_e32 v63, vcc_lo, v63
	ds_load_b32 v188, v65 offset:544
	; wave barrier
	v_bitop3_b32 v62, v62, v63, v190 bitop3:0x80
	v_mul_u32_u24_e32 v63, 36, v64
	v_mbcnt_lo_u32_b32 v189, v62, 0
	v_cmp_ne_u32_e64 s17, 0, v62
	s_delay_alu instid0(VALU_DEP_3) | instskip(NEXT) | instid1(VALU_DEP_3)
	v_add_nc_u32_e32 v191, v114, v63
	v_cmp_eq_u32_e32 vcc_lo, 0, v189
	s_and_b32 s18, s17, vcc_lo
	s_delay_alu instid0(SALU_CYCLE_1)
	s_and_saveexec_b32 s17, s18
	s_cbranch_execz .LBB112_784
; %bb.783:                              ;   in Loop: Header=BB112_730 Depth=2
	s_wait_dscnt 0x0
	v_bcnt_u32_b32 v62, v62, v188
	ds_store_b32 v191, v62 offset:544
.LBB112_784:                            ;   in Loop: Header=BB112_730 Depth=2
	s_or_b32 exec_lo, exec_lo, s17
	v_lshrrev_b32_e32 v190, 24, v135
	; wave barrier
	s_delay_alu instid0(VALU_DEP_1) | instskip(NEXT) | instid1(VALU_DEP_1)
	v_lshrrev_b32_e32 v62, s49, v190
	v_and_b32_e32 v64, s48, v62
	s_delay_alu instid0(VALU_DEP_1) | instskip(SKIP_3) | instid1(VALU_DEP_3)
	v_lshlrev_b32_e32 v65, 30, v64
	v_bitop3_b32 v63, v62, 1, s48 bitop3:0x80
	v_dual_lshlrev_b32 v192, 29, v64 :: v_dual_lshlrev_b32 v193, 28, v64
	v_dual_lshlrev_b32 v194, 27, v64 :: v_dual_lshlrev_b32 v195, 26, v64
	v_add_co_u32 v62, s17, v63, -1
	s_delay_alu instid0(VALU_DEP_1)
	v_cndmask_b32_e64 v63, 0, 1, s17
	v_cmp_gt_i32_e64 s17, 0, v65
	v_cmp_gt_i32_e64 s18, 0, v192
	;; [unrolled: 1-line block ×4, first 2 shown]
	v_cmp_ne_u32_e32 vcc_lo, 0, v63
	v_not_b32_e32 v63, v65
	v_not_b32_e32 v65, v192
	v_lshlrev_b32_e32 v196, 25, v64
	v_not_b32_e32 v192, v193
	v_not_b32_e32 v193, v194
	s_delay_alu instid0(VALU_DEP_4)
	v_dual_ashrrev_i32 v63, 31, v63 :: v_dual_ashrrev_i32 v65, 31, v65
	v_cmp_gt_i32_e64 s21, 0, v195
	v_not_b32_e32 v194, v195
	v_bitop3_b32 v62, vcc_lo, exec_lo, v62 bitop3:0x48
	v_dual_ashrrev_i32 v192, 31, v192 :: v_dual_ashrrev_i32 v193, 31, v193
	v_xor_b32_e32 v63, s17, v63
	s_delay_alu instid0(VALU_DEP_4) | instskip(SKIP_1) | instid1(VALU_DEP_4)
	v_dual_ashrrev_i32 v194, 31, v194 :: v_dual_bitop2_b32 v65, s18, v65 bitop3:0x14
	v_not_b32_e32 v195, v196
	v_xor_b32_e32 v192, s19, v192
	v_xor_b32_e32 v193, s20, v193
	s_delay_alu instid0(VALU_DEP_4)
	v_bitop3_b32 v62, v62, v65, v63 bitop3:0x80
	v_cmp_gt_i32_e32 vcc_lo, 0, v196
	v_ashrrev_i32_e32 v63, 31, v195
	v_mad_u32_u24 v65, v64, 36, v114
	v_xor_b32_e32 v194, s21, v194
	v_bitop3_b32 v62, v62, v193, v192 bitop3:0x80
	s_delay_alu instid0(VALU_DEP_4) | instskip(SKIP_3) | instid1(VALU_DEP_2)
	v_xor_b32_e32 v63, vcc_lo, v63
	ds_load_b32 v192, v65 offset:544
	; wave barrier
	v_bitop3_b32 v62, v62, v63, v194 bitop3:0x80
	v_mul_u32_u24_e32 v63, 36, v64
	v_mbcnt_lo_u32_b32 v193, v62, 0
	v_cmp_ne_u32_e64 s17, 0, v62
	s_delay_alu instid0(VALU_DEP_3) | instskip(NEXT) | instid1(VALU_DEP_3)
	v_add_nc_u32_e32 v194, v114, v63
	v_cmp_eq_u32_e32 vcc_lo, 0, v193
	s_and_b32 s18, s17, vcc_lo
	s_delay_alu instid0(SALU_CYCLE_1)
	s_and_saveexec_b32 s17, s18
	s_cbranch_execz .LBB112_786
; %bb.785:                              ;   in Loop: Header=BB112_730 Depth=2
	s_wait_dscnt 0x0
	v_bcnt_u32_b32 v62, v62, v192
	ds_store_b32 v194, v62 offset:544
.LBB112_786:                            ;   in Loop: Header=BB112_730 Depth=2
	s_or_b32 exec_lo, exec_lo, s17
	v_xor_b32_e32 v121, -1, v121
	; wave barrier
	s_delay_alu instid0(VALU_DEP_1) | instskip(NEXT) | instid1(VALU_DEP_1)
	v_and_b32_e32 v62, 0xff, v121
	v_lshrrev_b32_e32 v62, s49, v62
	s_delay_alu instid0(VALU_DEP_1) | instskip(SKIP_1) | instid1(VALU_DEP_2)
	v_bitop3_b32 v63, v62, 1, s48 bitop3:0x80
	v_and_b32_e32 v64, s48, v62
	v_add_co_u32 v62, s17, v63, -1
	s_delay_alu instid0(VALU_DEP_1) | instskip(NEXT) | instid1(VALU_DEP_3)
	v_cndmask_b32_e64 v63, 0, 1, s17
	v_lshlrev_b32_e32 v65, 30, v64
	s_delay_alu instid0(VALU_DEP_2) | instskip(NEXT) | instid1(VALU_DEP_2)
	v_cmp_ne_u32_e32 vcc_lo, 0, v63
	v_not_b32_e32 v63, v65
	v_bitop3_b32 v62, vcc_lo, exec_lo, v62 bitop3:0x48
	s_delay_alu instid0(VALU_DEP_2) | instskip(SKIP_3) | instid1(VALU_DEP_4)
	v_dual_ashrrev_i32 v63, 31, v63 :: v_dual_lshlrev_b32 v195, 29, v64
	v_dual_lshlrev_b32 v196, 28, v64 :: v_dual_lshlrev_b32 v197, 27, v64
	v_cmp_gt_i32_e64 s17, 0, v65
	v_dual_lshlrev_b32 v198, 26, v64 :: v_dual_lshlrev_b32 v199, 25, v64
	v_not_b32_e32 v65, v195
	v_cmp_gt_i32_e64 s18, 0, v195
	v_cmp_gt_i32_e64 s19, 0, v196
	v_not_b32_e32 v195, v196
	v_not_b32_e32 v196, v197
	v_ashrrev_i32_e32 v65, 31, v65
	v_cmp_gt_i32_e64 s20, 0, v197
	v_cmp_gt_i32_e64 s21, 0, v198
	v_not_b32_e32 v197, v198
	v_not_b32_e32 v198, v199
	v_dual_ashrrev_i32 v195, 31, v195 :: v_dual_ashrrev_i32 v196, 31, v196
	v_xor_b32_e32 v63, s17, v63
	s_delay_alu instid0(VALU_DEP_3) | instskip(SKIP_1) | instid1(VALU_DEP_4)
	v_dual_ashrrev_i32 v198, 31, v198 :: v_dual_bitop2_b32 v65, s18, v65 bitop3:0x14
	v_cmp_gt_i32_e64 s22, 0, v199
	v_dual_ashrrev_i32 v197, 31, v197 :: v_dual_bitop2_b32 v195, s19, v195 bitop3:0x14
	v_xor_b32_e32 v196, s20, v196
	s_delay_alu instid0(VALU_DEP_4) | instskip(SKIP_1) | instid1(VALU_DEP_4)
	v_bitop3_b32 v62, v62, v65, v63 bitop3:0x80
	v_mad_u32_u24 v63, v64, 36, v114
	v_xor_b32_e32 v65, s21, v197
	v_xor_b32_e32 v197, s22, v198
	s_delay_alu instid0(VALU_DEP_4) | instskip(SKIP_3) | instid1(VALU_DEP_2)
	v_bitop3_b32 v62, v62, v196, v195 bitop3:0x80
	ds_load_b32 v195, v63 offset:544
	v_mul_u32_u24_e32 v63, 36, v64
	; wave barrier
	v_bitop3_b32 v62, v62, v197, v65 bitop3:0x80
	v_add_nc_u32_e32 v197, v114, v63
	s_delay_alu instid0(VALU_DEP_2) | instskip(SKIP_1) | instid1(VALU_DEP_2)
	v_mbcnt_lo_u32_b32 v196, v62, 0
	v_cmp_ne_u32_e64 s17, 0, v62
	v_cmp_eq_u32_e32 vcc_lo, 0, v196
	s_and_b32 s18, s17, vcc_lo
	s_delay_alu instid0(SALU_CYCLE_1)
	s_and_saveexec_b32 s17, s18
	s_cbranch_execz .LBB112_788
; %bb.787:                              ;   in Loop: Header=BB112_730 Depth=2
	s_wait_dscnt 0x0
	v_bcnt_u32_b32 v62, v62, v195
	ds_store_b32 v197, v62 offset:544
.LBB112_788:                            ;   in Loop: Header=BB112_730 Depth=2
	s_or_b32 exec_lo, exec_lo, s17
	; wave barrier
	s_wait_dscnt 0x0
	s_barrier_signal -1
	s_barrier_wait -1
	ds_load_2addr_b32 v[64:65], v90 offset0:136 offset1:137
	ds_load_2addr_b32 v[62:63], v90 offset0:138 offset1:139
	ds_load_b32 v198, v90 offset:560
	s_wait_dscnt 0x1
	v_add3_u32 v199, v65, v64, v62
	s_wait_dscnt 0x0
	s_delay_alu instid0(VALU_DEP_1) | instskip(NEXT) | instid1(VALU_DEP_1)
	v_add3_u32 v198, v199, v63, v198
	v_mov_b32_dpp v199, v198 row_shr:1 row_mask:0xf bank_mask:0xf
	s_delay_alu instid0(VALU_DEP_1) | instskip(NEXT) | instid1(VALU_DEP_1)
	v_cndmask_b32_e64 v199, v199, 0, s8
	v_add_nc_u32_e32 v198, v199, v198
	s_delay_alu instid0(VALU_DEP_1) | instskip(NEXT) | instid1(VALU_DEP_1)
	v_mov_b32_dpp v199, v198 row_shr:2 row_mask:0xf bank_mask:0xf
	v_cndmask_b32_e64 v199, 0, v199, s9
	s_delay_alu instid0(VALU_DEP_1) | instskip(NEXT) | instid1(VALU_DEP_1)
	v_add_nc_u32_e32 v198, v198, v199
	v_mov_b32_dpp v199, v198 row_shr:4 row_mask:0xf bank_mask:0xf
	s_delay_alu instid0(VALU_DEP_1) | instskip(NEXT) | instid1(VALU_DEP_1)
	v_cndmask_b32_e64 v199, 0, v199, s10
	v_add_nc_u32_e32 v198, v198, v199
	s_delay_alu instid0(VALU_DEP_1) | instskip(NEXT) | instid1(VALU_DEP_1)
	v_mov_b32_dpp v199, v198 row_shr:8 row_mask:0xf bank_mask:0xf
	v_cndmask_b32_e64 v199, 0, v199, s11
	s_delay_alu instid0(VALU_DEP_1) | instskip(SKIP_3) | instid1(VALU_DEP_1)
	v_add_nc_u32_e32 v198, v198, v199
	ds_swizzle_b32 v199, v198 offset:swizzle(BROADCAST,32,15)
	s_wait_dscnt 0x0
	v_cndmask_b32_e64 v199, v199, 0, s12
	v_add_nc_u32_e32 v198, v198, v199
	s_and_saveexec_b32 s17, s2
; %bb.789:                              ;   in Loop: Header=BB112_730 Depth=2
	ds_store_b32 v83, v198 offset:512
; %bb.790:                              ;   in Loop: Header=BB112_730 Depth=2
	s_or_b32 exec_lo, exec_lo, s17
	s_wait_dscnt 0x0
	s_barrier_signal -1
	s_barrier_wait -1
	s_and_saveexec_b32 s17, s3
	s_cbranch_execz .LBB112_792
; %bb.791:                              ;   in Loop: Header=BB112_730 Depth=2
	ds_load_b32 v199, v92 offset:512
	s_wait_dscnt 0x0
	v_mov_b32_dpp v200, v199 row_shr:1 row_mask:0xf bank_mask:0xf
	s_delay_alu instid0(VALU_DEP_1) | instskip(NEXT) | instid1(VALU_DEP_1)
	v_cndmask_b32_e64 v200, v200, 0, s14
	v_add_nc_u32_e32 v199, v200, v199
	s_delay_alu instid0(VALU_DEP_1) | instskip(NEXT) | instid1(VALU_DEP_1)
	v_mov_b32_dpp v200, v199 row_shr:2 row_mask:0xf bank_mask:0xf
	v_cndmask_b32_e64 v200, 0, v200, s15
	s_delay_alu instid0(VALU_DEP_1) | instskip(NEXT) | instid1(VALU_DEP_1)
	v_add_nc_u32_e32 v199, v199, v200
	v_mov_b32_dpp v200, v199 row_shr:4 row_mask:0xf bank_mask:0xf
	s_delay_alu instid0(VALU_DEP_1) | instskip(NEXT) | instid1(VALU_DEP_1)
	v_cndmask_b32_e64 v200, 0, v200, s16
	v_add_nc_u32_e32 v199, v199, v200
	ds_store_b32 v92, v199 offset:512
.LBB112_792:                            ;   in Loop: Header=BB112_730 Depth=2
	s_or_b32 exec_lo, exec_lo, s17
	v_mov_b32_e32 v199, 0
	s_wait_dscnt 0x0
	s_barrier_signal -1
	s_barrier_wait -1
	s_and_saveexec_b32 s17, s5
; %bb.793:                              ;   in Loop: Header=BB112_730 Depth=2
	ds_load_b32 v199, v83 offset:508
; %bb.794:                              ;   in Loop: Header=BB112_730 Depth=2
	s_or_b32 exec_lo, exec_lo, s17
	s_wait_dscnt 0x0
	v_add_nc_u32_e32 v198, v199, v198
	ds_bpermute_b32 v198, v96, v198
	s_wait_dscnt 0x0
	v_cndmask_b32_e64 v198, v198, v199, s13
	s_delay_alu instid0(VALU_DEP_1) | instskip(NEXT) | instid1(VALU_DEP_1)
	v_cndmask_b32_e64 v198, v198, 0, s6
	v_add_nc_u32_e32 v64, v198, v64
	s_delay_alu instid0(VALU_DEP_1) | instskip(NEXT) | instid1(VALU_DEP_1)
	v_add_nc_u32_e32 v65, v64, v65
	v_add_nc_u32_e32 v62, v65, v62
	s_delay_alu instid0(VALU_DEP_1)
	v_add_nc_u32_e32 v63, v62, v63
	ds_store_2addr_b32 v90, v198, v64 offset0:136 offset1:137
	ds_store_2addr_b32 v90, v65, v62 offset0:138 offset1:139
	ds_store_b32 v90, v63 offset:560
	s_wait_dscnt 0x0
	s_barrier_signal -1
	s_barrier_wait -1
	ds_load_b32 v62, v149 offset:544
	ds_load_b32 v63, v152 offset:544
	;; [unrolled: 1-line block ×17, first 2 shown]
	s_and_saveexec_b32 s17, s0
	s_cbranch_execz .LBB112_798
; %bb.795:                              ;   in Loop: Header=BB112_730 Depth=2
	v_dual_mov_b32 v134, 0x1100 :: v_dual_add_nc_u32 v133, v92, v94
	ds_load_b32 v133, v133 offset:544
	s_and_saveexec_b32 s18, s7
; %bb.796:                              ;   in Loop: Header=BB112_730 Depth=2
	ds_load_b32 v134, v93 offset:544
; %bb.797:                              ;   in Loop: Header=BB112_730 Depth=2
	s_or_b32 exec_lo, exec_lo, s18
	s_wait_dscnt 0x0
	v_sub_nc_u32_e32 v134, v134, v133
.LBB112_798:                            ;   in Loop: Header=BB112_730 Depth=2
	s_or_b32 exec_lo, exec_lo, s17
	v_dual_lshrrev_b32 v202, 8, v148 :: v_dual_lshrrev_b32 v203, 16, v148
	v_dual_lshrrev_b32 v200, 8, v143 :: v_dual_lshrrev_b32 v201, 16, v143
	;; [unrolled: 1-line block ×4, first 2 shown]
	s_wait_dscnt 0x0
	s_barrier_signal -1
	s_barrier_wait -1
	s_and_saveexec_b32 s17, s0
	s_cbranch_execz .LBB112_800
; %bb.799:                              ;   in Loop: Header=BB112_730 Depth=2
	ds_load_b32 v135, v66
	s_wait_dscnt 0x0
	v_sub_nc_u32_e32 v135, v135, v133
	ds_store_b32 v66, v135
.LBB112_800:                            ;   in Loop: Header=BB112_730 Depth=2
	s_or_b32 exec_lo, exec_lo, s17
	v_add_nc_u32_e32 v156, v62, v146
	v_add3_u32 v152, v151, v150, v63
	v_add3_u32 v151, v154, v153, v64
	;; [unrolled: 1-line block ×16, first 2 shown]
	v_cmp_lt_u32_e32 vcc_lo, v2, v137
	ds_store_b8 v156, v147 offset:512
	ds_store_b8 v152, v202 offset:512
	;; [unrolled: 1-line block ×17, first 2 shown]
	s_wait_dscnt 0x0
	s_barrier_signal -1
	s_barrier_wait -1
	s_and_saveexec_b32 s17, vcc_lo
	s_cbranch_execnz .LBB112_873
; %bb.801:                              ;   in Loop: Header=BB112_730 Depth=2
	s_or_b32 exec_lo, exec_lo, s17
	v_cmp_lt_u32_e64 s17, v67, v137
	s_and_saveexec_b32 s18, s17
	s_cbranch_execnz .LBB112_874
.LBB112_802:                            ;   in Loop: Header=BB112_730 Depth=2
	s_or_b32 exec_lo, exec_lo, s18
	v_cmp_lt_u32_e64 s18, v68, v137
	s_and_saveexec_b32 s19, s18
	s_cbranch_execnz .LBB112_875
.LBB112_803:                            ;   in Loop: Header=BB112_730 Depth=2
	s_or_b32 exec_lo, exec_lo, s19
	v_cmp_lt_u32_e64 s19, v69, v137
	s_and_saveexec_b32 s20, s19
	s_cbranch_execnz .LBB112_876
.LBB112_804:                            ;   in Loop: Header=BB112_730 Depth=2
	s_or_b32 exec_lo, exec_lo, s20
	v_cmp_lt_u32_e64 s20, v70, v137
	s_and_saveexec_b32 s21, s20
	s_cbranch_execnz .LBB112_877
.LBB112_805:                            ;   in Loop: Header=BB112_730 Depth=2
	s_or_b32 exec_lo, exec_lo, s21
	v_cmp_lt_u32_e64 s21, v71, v137
	s_and_saveexec_b32 s22, s21
	s_cbranch_execnz .LBB112_878
.LBB112_806:                            ;   in Loop: Header=BB112_730 Depth=2
	s_or_b32 exec_lo, exec_lo, s22
	v_cmp_lt_u32_e64 s22, v72, v137
	s_and_saveexec_b32 s23, s22
	s_cbranch_execnz .LBB112_879
.LBB112_807:                            ;   in Loop: Header=BB112_730 Depth=2
	s_or_b32 exec_lo, exec_lo, s23
	v_cmp_lt_u32_e64 s23, v73, v137
	s_and_saveexec_b32 s24, s23
	s_cbranch_execnz .LBB112_880
.LBB112_808:                            ;   in Loop: Header=BB112_730 Depth=2
	s_or_b32 exec_lo, exec_lo, s24
	v_cmp_lt_u32_e64 s24, v74, v137
	s_and_saveexec_b32 s25, s24
	s_cbranch_execnz .LBB112_881
.LBB112_809:                            ;   in Loop: Header=BB112_730 Depth=2
	s_or_b32 exec_lo, exec_lo, s25
	v_cmp_lt_u32_e64 s25, v75, v137
	s_and_saveexec_b32 s26, s25
	s_cbranch_execnz .LBB112_882
.LBB112_810:                            ;   in Loop: Header=BB112_730 Depth=2
	s_or_b32 exec_lo, exec_lo, s26
	v_cmp_lt_u32_e64 s26, v76, v137
	s_and_saveexec_b32 s27, s26
	s_cbranch_execnz .LBB112_883
.LBB112_811:                            ;   in Loop: Header=BB112_730 Depth=2
	s_or_b32 exec_lo, exec_lo, s27
	v_cmp_lt_u32_e64 s27, v77, v137
	s_and_saveexec_b32 s28, s27
	s_cbranch_execnz .LBB112_884
.LBB112_812:                            ;   in Loop: Header=BB112_730 Depth=2
	s_or_b32 exec_lo, exec_lo, s28
	v_cmp_lt_u32_e64 s28, v78, v137
	s_and_saveexec_b32 s29, s28
	s_cbranch_execnz .LBB112_885
.LBB112_813:                            ;   in Loop: Header=BB112_730 Depth=2
	s_or_b32 exec_lo, exec_lo, s29
	v_cmp_lt_u32_e64 s29, v79, v137
	s_and_saveexec_b32 s30, s29
	s_cbranch_execnz .LBB112_886
.LBB112_814:                            ;   in Loop: Header=BB112_730 Depth=2
	s_or_b32 exec_lo, exec_lo, s30
	v_cmp_lt_u32_e64 s30, v80, v137
	s_and_saveexec_b32 s31, s30
	s_cbranch_execnz .LBB112_887
.LBB112_815:                            ;   in Loop: Header=BB112_730 Depth=2
	s_or_b32 exec_lo, exec_lo, s31
	v_cmp_lt_u32_e64 s31, v81, v137
	s_and_saveexec_b32 s33, s31
	s_cbranch_execnz .LBB112_888
.LBB112_816:                            ;   in Loop: Header=BB112_730 Depth=2
	s_or_b32 exec_lo, exec_lo, s33
	v_cmp_lt_u32_e64 s33, v82, v137
	s_and_saveexec_b32 s60, s33
	s_cbranch_execz .LBB112_818
.LBB112_817:                            ;   in Loop: Header=BB112_730 Depth=2
	ds_load_u8 v62, v2 offset:4608
	s_wait_dscnt 0x0
	v_and_b32_e32 v63, 0xff, v62
	s_delay_alu instid0(VALU_DEP_1) | instskip(NEXT) | instid1(VALU_DEP_1)
	v_dual_lshrrev_b32 v63, s49, v63 :: v_dual_bitop2_b32 v62, -1, v62 bitop3:0x14
	v_and_b32_e32 v63, s48, v63
	s_delay_alu instid0(VALU_DEP_1)
	v_lshlrev_b32_e32 v63, 2, v63
	ds_load_b32 v63, v63
	s_wait_dscnt 0x0
	v_add_nc_u32_e32 v63, v63, v82
	global_store_b8 v63, v62, s[38:39]
.LBB112_818:                            ;   in Loop: Header=BB112_730 Depth=2
	s_wait_xcnt 0x0
	s_or_b32 exec_lo, exec_lo, s60
	v_lshl_add_u64 v[62:63], s[34:35], 3, v[26:27]
	v_cmp_lt_u32_e64 s34, v97, v137
	s_and_saveexec_b32 s60, s34
	s_delay_alu instid0(SALU_CYCLE_1)
	s_xor_b32 s34, exec_lo, s60
	s_cbranch_execnz .LBB112_889
; %bb.819:                              ;   in Loop: Header=BB112_730 Depth=2
	s_or_b32 exec_lo, exec_lo, s34
	s_delay_alu instid0(SALU_CYCLE_1)
	s_mov_b32 s60, exec_lo
	v_cmpx_lt_u32_e64 v98, v137
	s_cbranch_execnz .LBB112_890
.LBB112_820:                            ;   in Loop: Header=BB112_730 Depth=2
	s_or_b32 exec_lo, exec_lo, s60
	s_delay_alu instid0(SALU_CYCLE_1)
	s_mov_b32 s60, exec_lo
	v_cmpx_lt_u32_e64 v99, v137
	s_cbranch_execnz .LBB112_891
.LBB112_821:                            ;   in Loop: Header=BB112_730 Depth=2
	s_or_b32 exec_lo, exec_lo, s60
	s_delay_alu instid0(SALU_CYCLE_1)
	s_mov_b32 s60, exec_lo
	v_cmpx_lt_u32_e64 v100, v137
	s_cbranch_execnz .LBB112_892
.LBB112_822:                            ;   in Loop: Header=BB112_730 Depth=2
	s_or_b32 exec_lo, exec_lo, s60
	s_delay_alu instid0(SALU_CYCLE_1)
	s_mov_b32 s60, exec_lo
	v_cmpx_lt_u32_e64 v101, v137
	s_cbranch_execnz .LBB112_893
.LBB112_823:                            ;   in Loop: Header=BB112_730 Depth=2
	s_or_b32 exec_lo, exec_lo, s60
	s_delay_alu instid0(SALU_CYCLE_1)
	s_mov_b32 s60, exec_lo
	v_cmpx_lt_u32_e64 v102, v137
	s_cbranch_execnz .LBB112_894
.LBB112_824:                            ;   in Loop: Header=BB112_730 Depth=2
	s_or_b32 exec_lo, exec_lo, s60
	s_delay_alu instid0(SALU_CYCLE_1)
	s_mov_b32 s60, exec_lo
	v_cmpx_lt_u32_e64 v103, v137
	s_cbranch_execnz .LBB112_895
.LBB112_825:                            ;   in Loop: Header=BB112_730 Depth=2
	s_or_b32 exec_lo, exec_lo, s60
	s_delay_alu instid0(SALU_CYCLE_1)
	s_mov_b32 s60, exec_lo
	v_cmpx_lt_u32_e64 v104, v137
	s_cbranch_execnz .LBB112_896
.LBB112_826:                            ;   in Loop: Header=BB112_730 Depth=2
	s_or_b32 exec_lo, exec_lo, s60
	s_delay_alu instid0(SALU_CYCLE_1)
	s_mov_b32 s60, exec_lo
	v_cmpx_lt_u32_e64 v105, v137
	s_cbranch_execnz .LBB112_897
.LBB112_827:                            ;   in Loop: Header=BB112_730 Depth=2
	s_or_b32 exec_lo, exec_lo, s60
	s_delay_alu instid0(SALU_CYCLE_1)
	s_mov_b32 s60, exec_lo
	v_cmpx_lt_u32_e64 v106, v137
	s_cbranch_execnz .LBB112_898
.LBB112_828:                            ;   in Loop: Header=BB112_730 Depth=2
	s_or_b32 exec_lo, exec_lo, s60
	s_delay_alu instid0(SALU_CYCLE_1)
	s_mov_b32 s60, exec_lo
	v_cmpx_lt_u32_e64 v107, v137
	s_cbranch_execnz .LBB112_899
.LBB112_829:                            ;   in Loop: Header=BB112_730 Depth=2
	s_or_b32 exec_lo, exec_lo, s60
	s_delay_alu instid0(SALU_CYCLE_1)
	s_mov_b32 s60, exec_lo
	v_cmpx_lt_u32_e64 v108, v137
	s_cbranch_execnz .LBB112_900
.LBB112_830:                            ;   in Loop: Header=BB112_730 Depth=2
	s_or_b32 exec_lo, exec_lo, s60
	s_delay_alu instid0(SALU_CYCLE_1)
	s_mov_b32 s60, exec_lo
	v_cmpx_lt_u32_e64 v109, v137
	s_cbranch_execnz .LBB112_901
.LBB112_831:                            ;   in Loop: Header=BB112_730 Depth=2
	s_or_b32 exec_lo, exec_lo, s60
	s_delay_alu instid0(SALU_CYCLE_1)
	s_mov_b32 s60, exec_lo
	v_cmpx_lt_u32_e64 v110, v137
	s_cbranch_execnz .LBB112_902
.LBB112_832:                            ;   in Loop: Header=BB112_730 Depth=2
	s_or_b32 exec_lo, exec_lo, s60
	s_delay_alu instid0(SALU_CYCLE_1)
	s_mov_b32 s60, exec_lo
	v_cmpx_lt_u32_e64 v111, v137
	s_cbranch_execnz .LBB112_903
.LBB112_833:                            ;   in Loop: Header=BB112_730 Depth=2
	s_or_b32 exec_lo, exec_lo, s60
	s_delay_alu instid0(SALU_CYCLE_1)
	s_mov_b32 s60, exec_lo
	v_cmpx_lt_u32_e64 v112, v137
	s_cbranch_execnz .LBB112_904
.LBB112_834:                            ;   in Loop: Header=BB112_730 Depth=2
	s_or_b32 exec_lo, exec_lo, s60
	s_delay_alu instid0(SALU_CYCLE_1)
	s_mov_b32 s60, exec_lo
	v_cmpx_lt_u32_e64 v113, v137
	s_cbranch_execnz .LBB112_905
.LBB112_835:                            ;   in Loop: Header=BB112_730 Depth=2
	s_or_b32 exec_lo, exec_lo, s60
	s_and_saveexec_b32 s34, vcc_lo
	s_cbranch_execnz .LBB112_906
.LBB112_836:                            ;   in Loop: Header=BB112_730 Depth=2
	s_or_b32 exec_lo, exec_lo, s34
	s_and_saveexec_b32 s34, s17
	s_cbranch_execnz .LBB112_907
.LBB112_837:                            ;   in Loop: Header=BB112_730 Depth=2
	s_or_b32 exec_lo, exec_lo, s34
	s_and_saveexec_b32 s34, s18
	s_cbranch_execnz .LBB112_908
.LBB112_838:                            ;   in Loop: Header=BB112_730 Depth=2
	s_or_b32 exec_lo, exec_lo, s34
	s_and_saveexec_b32 s34, s19
	s_cbranch_execnz .LBB112_909
.LBB112_839:                            ;   in Loop: Header=BB112_730 Depth=2
	s_or_b32 exec_lo, exec_lo, s34
	s_and_saveexec_b32 s34, s20
	s_cbranch_execnz .LBB112_910
.LBB112_840:                            ;   in Loop: Header=BB112_730 Depth=2
	s_or_b32 exec_lo, exec_lo, s34
	s_and_saveexec_b32 s34, s21
	s_cbranch_execnz .LBB112_911
.LBB112_841:                            ;   in Loop: Header=BB112_730 Depth=2
	s_or_b32 exec_lo, exec_lo, s34
	s_and_saveexec_b32 s34, s22
	s_cbranch_execnz .LBB112_912
.LBB112_842:                            ;   in Loop: Header=BB112_730 Depth=2
	s_or_b32 exec_lo, exec_lo, s34
	s_and_saveexec_b32 s34, s23
	s_cbranch_execnz .LBB112_913
.LBB112_843:                            ;   in Loop: Header=BB112_730 Depth=2
	s_or_b32 exec_lo, exec_lo, s34
	s_and_saveexec_b32 s34, s24
	s_cbranch_execnz .LBB112_914
.LBB112_844:                            ;   in Loop: Header=BB112_730 Depth=2
	s_or_b32 exec_lo, exec_lo, s34
	s_and_saveexec_b32 s34, s25
	s_cbranch_execnz .LBB112_915
.LBB112_845:                            ;   in Loop: Header=BB112_730 Depth=2
	s_or_b32 exec_lo, exec_lo, s34
	s_and_saveexec_b32 s34, s26
	s_cbranch_execnz .LBB112_916
.LBB112_846:                            ;   in Loop: Header=BB112_730 Depth=2
	s_or_b32 exec_lo, exec_lo, s34
	s_and_saveexec_b32 s34, s27
	s_cbranch_execnz .LBB112_917
.LBB112_847:                            ;   in Loop: Header=BB112_730 Depth=2
	s_or_b32 exec_lo, exec_lo, s34
	s_and_saveexec_b32 s34, s28
	s_cbranch_execnz .LBB112_918
.LBB112_848:                            ;   in Loop: Header=BB112_730 Depth=2
	s_or_b32 exec_lo, exec_lo, s34
	s_and_saveexec_b32 s34, s29
	s_cbranch_execnz .LBB112_919
.LBB112_849:                            ;   in Loop: Header=BB112_730 Depth=2
	s_or_b32 exec_lo, exec_lo, s34
	s_and_saveexec_b32 s34, s30
	s_cbranch_execnz .LBB112_920
.LBB112_850:                            ;   in Loop: Header=BB112_730 Depth=2
	s_or_b32 exec_lo, exec_lo, s34
	s_and_saveexec_b32 s34, s31
	s_cbranch_execnz .LBB112_921
.LBB112_851:                            ;   in Loop: Header=BB112_730 Depth=2
	s_or_b32 exec_lo, exec_lo, s34
	s_and_saveexec_b32 s34, s33
	s_cbranch_execz .LBB112_853
.LBB112_852:                            ;   in Loop: Header=BB112_730 Depth=2
	ds_load_u8 v62, v2 offset:4608
	s_wait_dscnt 0x0
	v_lshrrev_b32_e32 v62, s49, v62
	s_delay_alu instid0(VALU_DEP_1)
	v_and_b32_e32 v115, s48, v62
.LBB112_853:                            ;   in Loop: Header=BB112_730 Depth=2
	s_or_b32 exec_lo, exec_lo, s34
	v_lshlrev_b32_e32 v62, 3, v156
	v_lshlrev_b32_e32 v63, 3, v152
	s_wait_loadcnt 0x0
	s_wait_storecnt 0x0
	s_barrier_signal -1
	s_barrier_wait -1
	ds_store_b64 v62, v[60:61] offset:512
	ds_store_b64 v63, v[58:59] offset:512
	v_dual_lshlrev_b32 v62, 3, v151 :: v_dual_lshlrev_b32 v63, 3, v150
	v_dual_lshlrev_b32 v137, 3, v149 :: v_dual_lshlrev_b32 v138, 3, v148
	v_lshlrev_b32_e32 v142, 3, v146
	ds_store_b64 v62, v[56:57] offset:512
	ds_store_b64 v63, v[54:55] offset:512
	ds_store_b64 v137, v[52:53] offset:512
	ds_store_b64 v138, v[50:51] offset:512
	ds_store_b64 v142, v[48:49] offset:512
	v_dual_lshlrev_b32 v62, 3, v145 :: v_dual_lshlrev_b32 v63, 3, v144
	v_dual_lshlrev_b32 v137, 3, v143 :: v_dual_lshlrev_b32 v138, 3, v141
	v_lshlrev_b32_e32 v140, 3, v140
	ds_store_b64 v62, v[46:47] offset:512
	ds_store_b64 v63, v[44:45] offset:512
	ds_store_b64 v137, v[42:43] offset:512
	;; [unrolled: 8-line block ×3, first 2 shown]
	ds_store_b64 v65, v[30:31] offset:512
	ds_store_b64 v64, v[28:29] offset:512
	s_wait_dscnt 0x0
	s_barrier_signal -1
	s_barrier_wait -1
	s_and_saveexec_b32 s34, vcc_lo
	s_cbranch_execnz .LBB112_922
; %bb.854:                              ;   in Loop: Header=BB112_730 Depth=2
	s_or_b32 exec_lo, exec_lo, s34
	s_and_saveexec_b32 s34, s17
	s_cbranch_execnz .LBB112_923
.LBB112_855:                            ;   in Loop: Header=BB112_730 Depth=2
	s_or_b32 exec_lo, exec_lo, s34
	s_and_saveexec_b32 s17, s18
	s_cbranch_execnz .LBB112_924
.LBB112_856:                            ;   in Loop: Header=BB112_730 Depth=2
	s_or_b32 exec_lo, exec_lo, s17
	s_and_saveexec_b32 s17, s19
	s_cbranch_execnz .LBB112_925
.LBB112_857:                            ;   in Loop: Header=BB112_730 Depth=2
	s_or_b32 exec_lo, exec_lo, s17
	s_and_saveexec_b32 s17, s20
	s_cbranch_execnz .LBB112_926
.LBB112_858:                            ;   in Loop: Header=BB112_730 Depth=2
	s_or_b32 exec_lo, exec_lo, s17
	s_and_saveexec_b32 s17, s21
	s_cbranch_execnz .LBB112_927
.LBB112_859:                            ;   in Loop: Header=BB112_730 Depth=2
	s_or_b32 exec_lo, exec_lo, s17
	s_and_saveexec_b32 s17, s22
	s_cbranch_execnz .LBB112_928
.LBB112_860:                            ;   in Loop: Header=BB112_730 Depth=2
	s_or_b32 exec_lo, exec_lo, s17
	s_and_saveexec_b32 s17, s23
	s_cbranch_execnz .LBB112_929
.LBB112_861:                            ;   in Loop: Header=BB112_730 Depth=2
	s_or_b32 exec_lo, exec_lo, s17
	s_and_saveexec_b32 s17, s24
	s_cbranch_execnz .LBB112_930
.LBB112_862:                            ;   in Loop: Header=BB112_730 Depth=2
	s_or_b32 exec_lo, exec_lo, s17
	s_and_saveexec_b32 s17, s25
	s_cbranch_execnz .LBB112_931
.LBB112_863:                            ;   in Loop: Header=BB112_730 Depth=2
	s_or_b32 exec_lo, exec_lo, s17
	s_and_saveexec_b32 s17, s26
	s_cbranch_execnz .LBB112_932
.LBB112_864:                            ;   in Loop: Header=BB112_730 Depth=2
	s_or_b32 exec_lo, exec_lo, s17
	s_and_saveexec_b32 s17, s27
	s_cbranch_execnz .LBB112_933
.LBB112_865:                            ;   in Loop: Header=BB112_730 Depth=2
	s_or_b32 exec_lo, exec_lo, s17
	s_and_saveexec_b32 s17, s28
	s_cbranch_execnz .LBB112_934
.LBB112_866:                            ;   in Loop: Header=BB112_730 Depth=2
	s_or_b32 exec_lo, exec_lo, s17
	s_and_saveexec_b32 s17, s29
	s_cbranch_execnz .LBB112_935
.LBB112_867:                            ;   in Loop: Header=BB112_730 Depth=2
	s_or_b32 exec_lo, exec_lo, s17
	s_and_saveexec_b32 s17, s30
	s_cbranch_execnz .LBB112_936
.LBB112_868:                            ;   in Loop: Header=BB112_730 Depth=2
	s_or_b32 exec_lo, exec_lo, s17
	s_and_saveexec_b32 s17, s31
	s_cbranch_execnz .LBB112_937
.LBB112_869:                            ;   in Loop: Header=BB112_730 Depth=2
	s_or_b32 exec_lo, exec_lo, s17
	s_and_saveexec_b32 s17, s33
	s_cbranch_execz .LBB112_871
.LBB112_870:                            ;   in Loop: Header=BB112_730 Depth=2
	v_lshlrev_b32_e32 v62, 2, v115
	v_add_nc_u32_e32 v63, v2, v95
	ds_load_b32 v64, v62
	ds_load_b64 v[62:63], v63 offset:33280
	s_wait_dscnt 0x1
	v_add_nc_u32_e32 v64, v64, v82
	s_wait_dscnt 0x0
	global_store_b64 v64, v[62:63], s[44:45] scale_offset
.LBB112_871:                            ;   in Loop: Header=BB112_730 Depth=2
	s_wait_xcnt 0x0
	s_or_b32 exec_lo, exec_lo, s17
	s_wait_storecnt 0x0
	s_barrier_signal -1
	s_barrier_wait -1
	s_and_saveexec_b32 s17, s0
	s_cbranch_execz .LBB112_729
; %bb.872:                              ;   in Loop: Header=BB112_730 Depth=2
	ds_load_b32 v62, v66
	s_wait_dscnt 0x0
	v_add3_u32 v62, v133, v134, v62
	ds_store_b32 v66, v62
	s_branch .LBB112_729
.LBB112_873:                            ;   in Loop: Header=BB112_730 Depth=2
	ds_load_u8 v62, v2 offset:512
	s_wait_dscnt 0x0
	v_and_b32_e32 v63, 0xff, v62
	s_delay_alu instid0(VALU_DEP_1) | instskip(NEXT) | instid1(VALU_DEP_1)
	v_dual_lshrrev_b32 v63, s49, v63 :: v_dual_bitop2_b32 v62, -1, v62 bitop3:0x14
	v_and_b32_e32 v63, s48, v63
	s_delay_alu instid0(VALU_DEP_1)
	v_lshlrev_b32_e32 v63, 2, v63
	ds_load_b32 v63, v63
	s_wait_dscnt 0x0
	v_add_nc_u32_e32 v63, v63, v2
	global_store_b8 v63, v62, s[38:39]
	s_wait_xcnt 0x0
	s_or_b32 exec_lo, exec_lo, s17
	v_cmp_lt_u32_e64 s17, v67, v137
	s_and_saveexec_b32 s18, s17
	s_cbranch_execz .LBB112_802
.LBB112_874:                            ;   in Loop: Header=BB112_730 Depth=2
	ds_load_u8 v62, v2 offset:768
	s_wait_dscnt 0x0
	v_and_b32_e32 v63, 0xff, v62
	s_delay_alu instid0(VALU_DEP_1) | instskip(NEXT) | instid1(VALU_DEP_1)
	v_dual_lshrrev_b32 v63, s49, v63 :: v_dual_bitop2_b32 v62, -1, v62 bitop3:0x14
	v_and_b32_e32 v63, s48, v63
	s_delay_alu instid0(VALU_DEP_1)
	v_lshlrev_b32_e32 v63, 2, v63
	ds_load_b32 v63, v63
	s_wait_dscnt 0x0
	v_add_nc_u32_e32 v63, v63, v67
	global_store_b8 v63, v62, s[38:39]
	s_wait_xcnt 0x0
	s_or_b32 exec_lo, exec_lo, s18
	v_cmp_lt_u32_e64 s18, v68, v137
	s_and_saveexec_b32 s19, s18
	s_cbranch_execz .LBB112_803
.LBB112_875:                            ;   in Loop: Header=BB112_730 Depth=2
	ds_load_u8 v62, v2 offset:1024
	s_wait_dscnt 0x0
	v_and_b32_e32 v63, 0xff, v62
	s_delay_alu instid0(VALU_DEP_1) | instskip(NEXT) | instid1(VALU_DEP_1)
	v_dual_lshrrev_b32 v63, s49, v63 :: v_dual_bitop2_b32 v62, -1, v62 bitop3:0x14
	v_and_b32_e32 v63, s48, v63
	s_delay_alu instid0(VALU_DEP_1)
	v_lshlrev_b32_e32 v63, 2, v63
	ds_load_b32 v63, v63
	s_wait_dscnt 0x0
	v_add_nc_u32_e32 v63, v63, v68
	global_store_b8 v63, v62, s[38:39]
	s_wait_xcnt 0x0
	s_or_b32 exec_lo, exec_lo, s19
	v_cmp_lt_u32_e64 s19, v69, v137
	s_and_saveexec_b32 s20, s19
	s_cbranch_execz .LBB112_804
.LBB112_876:                            ;   in Loop: Header=BB112_730 Depth=2
	ds_load_u8 v62, v2 offset:1280
	s_wait_dscnt 0x0
	v_and_b32_e32 v63, 0xff, v62
	s_delay_alu instid0(VALU_DEP_1) | instskip(NEXT) | instid1(VALU_DEP_1)
	v_dual_lshrrev_b32 v63, s49, v63 :: v_dual_bitop2_b32 v62, -1, v62 bitop3:0x14
	v_and_b32_e32 v63, s48, v63
	s_delay_alu instid0(VALU_DEP_1)
	v_lshlrev_b32_e32 v63, 2, v63
	ds_load_b32 v63, v63
	s_wait_dscnt 0x0
	v_add_nc_u32_e32 v63, v63, v69
	global_store_b8 v63, v62, s[38:39]
	s_wait_xcnt 0x0
	s_or_b32 exec_lo, exec_lo, s20
	v_cmp_lt_u32_e64 s20, v70, v137
	s_and_saveexec_b32 s21, s20
	s_cbranch_execz .LBB112_805
.LBB112_877:                            ;   in Loop: Header=BB112_730 Depth=2
	ds_load_u8 v62, v2 offset:1536
	s_wait_dscnt 0x0
	v_and_b32_e32 v63, 0xff, v62
	s_delay_alu instid0(VALU_DEP_1) | instskip(NEXT) | instid1(VALU_DEP_1)
	v_dual_lshrrev_b32 v63, s49, v63 :: v_dual_bitop2_b32 v62, -1, v62 bitop3:0x14
	v_and_b32_e32 v63, s48, v63
	s_delay_alu instid0(VALU_DEP_1)
	v_lshlrev_b32_e32 v63, 2, v63
	ds_load_b32 v63, v63
	s_wait_dscnt 0x0
	v_add_nc_u32_e32 v63, v63, v70
	global_store_b8 v63, v62, s[38:39]
	s_wait_xcnt 0x0
	s_or_b32 exec_lo, exec_lo, s21
	v_cmp_lt_u32_e64 s21, v71, v137
	s_and_saveexec_b32 s22, s21
	s_cbranch_execz .LBB112_806
.LBB112_878:                            ;   in Loop: Header=BB112_730 Depth=2
	ds_load_u8 v62, v2 offset:1792
	s_wait_dscnt 0x0
	v_and_b32_e32 v63, 0xff, v62
	s_delay_alu instid0(VALU_DEP_1) | instskip(NEXT) | instid1(VALU_DEP_1)
	v_dual_lshrrev_b32 v63, s49, v63 :: v_dual_bitop2_b32 v62, -1, v62 bitop3:0x14
	v_and_b32_e32 v63, s48, v63
	s_delay_alu instid0(VALU_DEP_1)
	v_lshlrev_b32_e32 v63, 2, v63
	ds_load_b32 v63, v63
	s_wait_dscnt 0x0
	v_add_nc_u32_e32 v63, v63, v71
	global_store_b8 v63, v62, s[38:39]
	s_wait_xcnt 0x0
	s_or_b32 exec_lo, exec_lo, s22
	v_cmp_lt_u32_e64 s22, v72, v137
	s_and_saveexec_b32 s23, s22
	s_cbranch_execz .LBB112_807
.LBB112_879:                            ;   in Loop: Header=BB112_730 Depth=2
	ds_load_u8 v62, v2 offset:2048
	s_wait_dscnt 0x0
	v_and_b32_e32 v63, 0xff, v62
	s_delay_alu instid0(VALU_DEP_1) | instskip(NEXT) | instid1(VALU_DEP_1)
	v_dual_lshrrev_b32 v63, s49, v63 :: v_dual_bitop2_b32 v62, -1, v62 bitop3:0x14
	v_and_b32_e32 v63, s48, v63
	s_delay_alu instid0(VALU_DEP_1)
	v_lshlrev_b32_e32 v63, 2, v63
	ds_load_b32 v63, v63
	s_wait_dscnt 0x0
	v_add_nc_u32_e32 v63, v63, v72
	global_store_b8 v63, v62, s[38:39]
	s_wait_xcnt 0x0
	s_or_b32 exec_lo, exec_lo, s23
	v_cmp_lt_u32_e64 s23, v73, v137
	s_and_saveexec_b32 s24, s23
	s_cbranch_execz .LBB112_808
.LBB112_880:                            ;   in Loop: Header=BB112_730 Depth=2
	ds_load_u8 v62, v2 offset:2304
	s_wait_dscnt 0x0
	v_and_b32_e32 v63, 0xff, v62
	s_delay_alu instid0(VALU_DEP_1) | instskip(NEXT) | instid1(VALU_DEP_1)
	v_dual_lshrrev_b32 v63, s49, v63 :: v_dual_bitop2_b32 v62, -1, v62 bitop3:0x14
	v_and_b32_e32 v63, s48, v63
	s_delay_alu instid0(VALU_DEP_1)
	v_lshlrev_b32_e32 v63, 2, v63
	ds_load_b32 v63, v63
	s_wait_dscnt 0x0
	v_add_nc_u32_e32 v63, v63, v73
	global_store_b8 v63, v62, s[38:39]
	s_wait_xcnt 0x0
	s_or_b32 exec_lo, exec_lo, s24
	v_cmp_lt_u32_e64 s24, v74, v137
	s_and_saveexec_b32 s25, s24
	s_cbranch_execz .LBB112_809
.LBB112_881:                            ;   in Loop: Header=BB112_730 Depth=2
	ds_load_u8 v62, v2 offset:2560
	s_wait_dscnt 0x0
	v_and_b32_e32 v63, 0xff, v62
	s_delay_alu instid0(VALU_DEP_1) | instskip(NEXT) | instid1(VALU_DEP_1)
	v_dual_lshrrev_b32 v63, s49, v63 :: v_dual_bitop2_b32 v62, -1, v62 bitop3:0x14
	v_and_b32_e32 v63, s48, v63
	s_delay_alu instid0(VALU_DEP_1)
	v_lshlrev_b32_e32 v63, 2, v63
	ds_load_b32 v63, v63
	s_wait_dscnt 0x0
	v_add_nc_u32_e32 v63, v63, v74
	global_store_b8 v63, v62, s[38:39]
	s_wait_xcnt 0x0
	s_or_b32 exec_lo, exec_lo, s25
	v_cmp_lt_u32_e64 s25, v75, v137
	s_and_saveexec_b32 s26, s25
	s_cbranch_execz .LBB112_810
.LBB112_882:                            ;   in Loop: Header=BB112_730 Depth=2
	ds_load_u8 v62, v2 offset:2816
	s_wait_dscnt 0x0
	v_and_b32_e32 v63, 0xff, v62
	s_delay_alu instid0(VALU_DEP_1) | instskip(NEXT) | instid1(VALU_DEP_1)
	v_dual_lshrrev_b32 v63, s49, v63 :: v_dual_bitop2_b32 v62, -1, v62 bitop3:0x14
	v_and_b32_e32 v63, s48, v63
	s_delay_alu instid0(VALU_DEP_1)
	v_lshlrev_b32_e32 v63, 2, v63
	ds_load_b32 v63, v63
	s_wait_dscnt 0x0
	v_add_nc_u32_e32 v63, v63, v75
	global_store_b8 v63, v62, s[38:39]
	s_wait_xcnt 0x0
	s_or_b32 exec_lo, exec_lo, s26
	v_cmp_lt_u32_e64 s26, v76, v137
	s_and_saveexec_b32 s27, s26
	s_cbranch_execz .LBB112_811
.LBB112_883:                            ;   in Loop: Header=BB112_730 Depth=2
	ds_load_u8 v62, v2 offset:3072
	s_wait_dscnt 0x0
	v_and_b32_e32 v63, 0xff, v62
	s_delay_alu instid0(VALU_DEP_1) | instskip(NEXT) | instid1(VALU_DEP_1)
	v_dual_lshrrev_b32 v63, s49, v63 :: v_dual_bitop2_b32 v62, -1, v62 bitop3:0x14
	v_and_b32_e32 v63, s48, v63
	s_delay_alu instid0(VALU_DEP_1)
	v_lshlrev_b32_e32 v63, 2, v63
	ds_load_b32 v63, v63
	s_wait_dscnt 0x0
	v_add_nc_u32_e32 v63, v63, v76
	global_store_b8 v63, v62, s[38:39]
	s_wait_xcnt 0x0
	s_or_b32 exec_lo, exec_lo, s27
	v_cmp_lt_u32_e64 s27, v77, v137
	s_and_saveexec_b32 s28, s27
	s_cbranch_execz .LBB112_812
.LBB112_884:                            ;   in Loop: Header=BB112_730 Depth=2
	ds_load_u8 v62, v2 offset:3328
	s_wait_dscnt 0x0
	v_and_b32_e32 v63, 0xff, v62
	s_delay_alu instid0(VALU_DEP_1) | instskip(NEXT) | instid1(VALU_DEP_1)
	v_dual_lshrrev_b32 v63, s49, v63 :: v_dual_bitop2_b32 v62, -1, v62 bitop3:0x14
	v_and_b32_e32 v63, s48, v63
	s_delay_alu instid0(VALU_DEP_1)
	v_lshlrev_b32_e32 v63, 2, v63
	ds_load_b32 v63, v63
	s_wait_dscnt 0x0
	v_add_nc_u32_e32 v63, v63, v77
	global_store_b8 v63, v62, s[38:39]
	s_wait_xcnt 0x0
	s_or_b32 exec_lo, exec_lo, s28
	v_cmp_lt_u32_e64 s28, v78, v137
	s_and_saveexec_b32 s29, s28
	s_cbranch_execz .LBB112_813
.LBB112_885:                            ;   in Loop: Header=BB112_730 Depth=2
	ds_load_u8 v62, v2 offset:3584
	s_wait_dscnt 0x0
	v_and_b32_e32 v63, 0xff, v62
	s_delay_alu instid0(VALU_DEP_1) | instskip(NEXT) | instid1(VALU_DEP_1)
	v_dual_lshrrev_b32 v63, s49, v63 :: v_dual_bitop2_b32 v62, -1, v62 bitop3:0x14
	v_and_b32_e32 v63, s48, v63
	s_delay_alu instid0(VALU_DEP_1)
	v_lshlrev_b32_e32 v63, 2, v63
	ds_load_b32 v63, v63
	s_wait_dscnt 0x0
	v_add_nc_u32_e32 v63, v63, v78
	global_store_b8 v63, v62, s[38:39]
	s_wait_xcnt 0x0
	s_or_b32 exec_lo, exec_lo, s29
	v_cmp_lt_u32_e64 s29, v79, v137
	s_and_saveexec_b32 s30, s29
	s_cbranch_execz .LBB112_814
.LBB112_886:                            ;   in Loop: Header=BB112_730 Depth=2
	ds_load_u8 v62, v2 offset:3840
	s_wait_dscnt 0x0
	v_and_b32_e32 v63, 0xff, v62
	s_delay_alu instid0(VALU_DEP_1) | instskip(NEXT) | instid1(VALU_DEP_1)
	v_dual_lshrrev_b32 v63, s49, v63 :: v_dual_bitop2_b32 v62, -1, v62 bitop3:0x14
	v_and_b32_e32 v63, s48, v63
	s_delay_alu instid0(VALU_DEP_1)
	v_lshlrev_b32_e32 v63, 2, v63
	ds_load_b32 v63, v63
	s_wait_dscnt 0x0
	v_add_nc_u32_e32 v63, v63, v79
	global_store_b8 v63, v62, s[38:39]
	s_wait_xcnt 0x0
	s_or_b32 exec_lo, exec_lo, s30
	v_cmp_lt_u32_e64 s30, v80, v137
	s_and_saveexec_b32 s31, s30
	s_cbranch_execz .LBB112_815
.LBB112_887:                            ;   in Loop: Header=BB112_730 Depth=2
	ds_load_u8 v62, v2 offset:4096
	s_wait_dscnt 0x0
	v_and_b32_e32 v63, 0xff, v62
	s_delay_alu instid0(VALU_DEP_1) | instskip(NEXT) | instid1(VALU_DEP_1)
	v_dual_lshrrev_b32 v63, s49, v63 :: v_dual_bitop2_b32 v62, -1, v62 bitop3:0x14
	v_and_b32_e32 v63, s48, v63
	s_delay_alu instid0(VALU_DEP_1)
	v_lshlrev_b32_e32 v63, 2, v63
	ds_load_b32 v63, v63
	s_wait_dscnt 0x0
	v_add_nc_u32_e32 v63, v63, v80
	global_store_b8 v63, v62, s[38:39]
	s_wait_xcnt 0x0
	s_or_b32 exec_lo, exec_lo, s31
	v_cmp_lt_u32_e64 s31, v81, v137
	s_and_saveexec_b32 s33, s31
	s_cbranch_execz .LBB112_816
.LBB112_888:                            ;   in Loop: Header=BB112_730 Depth=2
	ds_load_u8 v62, v2 offset:4352
	s_wait_dscnt 0x0
	v_and_b32_e32 v63, 0xff, v62
	s_delay_alu instid0(VALU_DEP_1) | instskip(NEXT) | instid1(VALU_DEP_1)
	v_dual_lshrrev_b32 v63, s49, v63 :: v_dual_bitop2_b32 v62, -1, v62 bitop3:0x14
	v_and_b32_e32 v63, s48, v63
	s_delay_alu instid0(VALU_DEP_1)
	v_lshlrev_b32_e32 v63, 2, v63
	ds_load_b32 v63, v63
	s_wait_dscnt 0x0
	v_add_nc_u32_e32 v63, v63, v81
	global_store_b8 v63, v62, s[38:39]
	s_wait_xcnt 0x0
	s_or_b32 exec_lo, exec_lo, s33
	v_cmp_lt_u32_e64 s33, v82, v137
	s_and_saveexec_b32 s60, s33
	s_cbranch_execnz .LBB112_817
	s_branch .LBB112_818
.LBB112_889:                            ;   in Loop: Header=BB112_730 Depth=2
	global_load_b64 v[60:61], v[62:63], off
	s_wait_xcnt 0x0
	s_or_b32 exec_lo, exec_lo, s34
	s_delay_alu instid0(SALU_CYCLE_1)
	s_mov_b32 s60, exec_lo
	v_cmpx_lt_u32_e64 v98, v137
	s_cbranch_execz .LBB112_820
.LBB112_890:                            ;   in Loop: Header=BB112_730 Depth=2
	global_load_b64 v[58:59], v[62:63], off offset:256
	s_wait_xcnt 0x0
	s_or_b32 exec_lo, exec_lo, s60
	s_delay_alu instid0(SALU_CYCLE_1)
	s_mov_b32 s60, exec_lo
	v_cmpx_lt_u32_e64 v99, v137
	s_cbranch_execz .LBB112_821
.LBB112_891:                            ;   in Loop: Header=BB112_730 Depth=2
	global_load_b64 v[56:57], v[62:63], off offset:512
	s_wait_xcnt 0x0
	s_or_b32 exec_lo, exec_lo, s60
	s_delay_alu instid0(SALU_CYCLE_1)
	s_mov_b32 s60, exec_lo
	v_cmpx_lt_u32_e64 v100, v137
	s_cbranch_execz .LBB112_822
.LBB112_892:                            ;   in Loop: Header=BB112_730 Depth=2
	global_load_b64 v[54:55], v[62:63], off offset:768
	s_wait_xcnt 0x0
	s_or_b32 exec_lo, exec_lo, s60
	s_delay_alu instid0(SALU_CYCLE_1)
	s_mov_b32 s60, exec_lo
	v_cmpx_lt_u32_e64 v101, v137
	s_cbranch_execz .LBB112_823
.LBB112_893:                            ;   in Loop: Header=BB112_730 Depth=2
	global_load_b64 v[52:53], v[62:63], off offset:1024
	s_wait_xcnt 0x0
	s_or_b32 exec_lo, exec_lo, s60
	s_delay_alu instid0(SALU_CYCLE_1)
	s_mov_b32 s60, exec_lo
	v_cmpx_lt_u32_e64 v102, v137
	s_cbranch_execz .LBB112_824
.LBB112_894:                            ;   in Loop: Header=BB112_730 Depth=2
	global_load_b64 v[50:51], v[62:63], off offset:1280
	s_wait_xcnt 0x0
	s_or_b32 exec_lo, exec_lo, s60
	s_delay_alu instid0(SALU_CYCLE_1)
	s_mov_b32 s60, exec_lo
	v_cmpx_lt_u32_e64 v103, v137
	s_cbranch_execz .LBB112_825
.LBB112_895:                            ;   in Loop: Header=BB112_730 Depth=2
	global_load_b64 v[48:49], v[62:63], off offset:1536
	s_wait_xcnt 0x0
	s_or_b32 exec_lo, exec_lo, s60
	s_delay_alu instid0(SALU_CYCLE_1)
	s_mov_b32 s60, exec_lo
	v_cmpx_lt_u32_e64 v104, v137
	s_cbranch_execz .LBB112_826
.LBB112_896:                            ;   in Loop: Header=BB112_730 Depth=2
	global_load_b64 v[46:47], v[62:63], off offset:1792
	s_wait_xcnt 0x0
	s_or_b32 exec_lo, exec_lo, s60
	s_delay_alu instid0(SALU_CYCLE_1)
	s_mov_b32 s60, exec_lo
	v_cmpx_lt_u32_e64 v105, v137
	s_cbranch_execz .LBB112_827
.LBB112_897:                            ;   in Loop: Header=BB112_730 Depth=2
	global_load_b64 v[44:45], v[62:63], off offset:2048
	s_wait_xcnt 0x0
	s_or_b32 exec_lo, exec_lo, s60
	s_delay_alu instid0(SALU_CYCLE_1)
	s_mov_b32 s60, exec_lo
	v_cmpx_lt_u32_e64 v106, v137
	s_cbranch_execz .LBB112_828
.LBB112_898:                            ;   in Loop: Header=BB112_730 Depth=2
	global_load_b64 v[42:43], v[62:63], off offset:2304
	s_wait_xcnt 0x0
	s_or_b32 exec_lo, exec_lo, s60
	s_delay_alu instid0(SALU_CYCLE_1)
	s_mov_b32 s60, exec_lo
	v_cmpx_lt_u32_e64 v107, v137
	s_cbranch_execz .LBB112_829
.LBB112_899:                            ;   in Loop: Header=BB112_730 Depth=2
	global_load_b64 v[40:41], v[62:63], off offset:2560
	s_wait_xcnt 0x0
	s_or_b32 exec_lo, exec_lo, s60
	s_delay_alu instid0(SALU_CYCLE_1)
	s_mov_b32 s60, exec_lo
	v_cmpx_lt_u32_e64 v108, v137
	s_cbranch_execz .LBB112_830
.LBB112_900:                            ;   in Loop: Header=BB112_730 Depth=2
	global_load_b64 v[38:39], v[62:63], off offset:2816
	s_wait_xcnt 0x0
	s_or_b32 exec_lo, exec_lo, s60
	s_delay_alu instid0(SALU_CYCLE_1)
	s_mov_b32 s60, exec_lo
	v_cmpx_lt_u32_e64 v109, v137
	s_cbranch_execz .LBB112_831
.LBB112_901:                            ;   in Loop: Header=BB112_730 Depth=2
	global_load_b64 v[36:37], v[62:63], off offset:3072
	s_wait_xcnt 0x0
	s_or_b32 exec_lo, exec_lo, s60
	s_delay_alu instid0(SALU_CYCLE_1)
	s_mov_b32 s60, exec_lo
	v_cmpx_lt_u32_e64 v110, v137
	s_cbranch_execz .LBB112_832
.LBB112_902:                            ;   in Loop: Header=BB112_730 Depth=2
	global_load_b64 v[34:35], v[62:63], off offset:3328
	s_wait_xcnt 0x0
	s_or_b32 exec_lo, exec_lo, s60
	s_delay_alu instid0(SALU_CYCLE_1)
	s_mov_b32 s60, exec_lo
	v_cmpx_lt_u32_e64 v111, v137
	s_cbranch_execz .LBB112_833
.LBB112_903:                            ;   in Loop: Header=BB112_730 Depth=2
	global_load_b64 v[32:33], v[62:63], off offset:3584
	s_wait_xcnt 0x0
	s_or_b32 exec_lo, exec_lo, s60
	s_delay_alu instid0(SALU_CYCLE_1)
	s_mov_b32 s60, exec_lo
	v_cmpx_lt_u32_e64 v112, v137
	s_cbranch_execz .LBB112_834
.LBB112_904:                            ;   in Loop: Header=BB112_730 Depth=2
	global_load_b64 v[30:31], v[62:63], off offset:3840
	s_wait_xcnt 0x0
	s_or_b32 exec_lo, exec_lo, s60
	s_delay_alu instid0(SALU_CYCLE_1)
	s_mov_b32 s60, exec_lo
	v_cmpx_lt_u32_e64 v113, v137
	s_cbranch_execz .LBB112_835
.LBB112_905:                            ;   in Loop: Header=BB112_730 Depth=2
	global_load_b64 v[28:29], v[62:63], off offset:4096
	s_wait_xcnt 0x0
	s_or_b32 exec_lo, exec_lo, s60
	s_and_saveexec_b32 s34, vcc_lo
	s_cbranch_execz .LBB112_836
.LBB112_906:                            ;   in Loop: Header=BB112_730 Depth=2
	ds_load_u8 v62, v2 offset:512
	s_wait_dscnt 0x0
	v_lshrrev_b32_e32 v62, s49, v62
	s_delay_alu instid0(VALU_DEP_1)
	v_and_b32_e32 v132, s48, v62
	s_or_b32 exec_lo, exec_lo, s34
	s_and_saveexec_b32 s34, s17
	s_cbranch_execz .LBB112_837
.LBB112_907:                            ;   in Loop: Header=BB112_730 Depth=2
	ds_load_u8 v62, v2 offset:768
	s_wait_dscnt 0x0
	v_lshrrev_b32_e32 v62, s49, v62
	s_delay_alu instid0(VALU_DEP_1)
	v_and_b32_e32 v131, s48, v62
	s_or_b32 exec_lo, exec_lo, s34
	s_and_saveexec_b32 s34, s18
	s_cbranch_execz .LBB112_838
.LBB112_908:                            ;   in Loop: Header=BB112_730 Depth=2
	ds_load_u8 v62, v2 offset:1024
	s_wait_dscnt 0x0
	v_lshrrev_b32_e32 v62, s49, v62
	s_delay_alu instid0(VALU_DEP_1)
	v_and_b32_e32 v130, s48, v62
	s_or_b32 exec_lo, exec_lo, s34
	s_and_saveexec_b32 s34, s19
	s_cbranch_execz .LBB112_839
.LBB112_909:                            ;   in Loop: Header=BB112_730 Depth=2
	ds_load_u8 v62, v2 offset:1280
	s_wait_dscnt 0x0
	v_lshrrev_b32_e32 v62, s49, v62
	s_delay_alu instid0(VALU_DEP_1)
	v_and_b32_e32 v129, s48, v62
	s_or_b32 exec_lo, exec_lo, s34
	s_and_saveexec_b32 s34, s20
	s_cbranch_execz .LBB112_840
.LBB112_910:                            ;   in Loop: Header=BB112_730 Depth=2
	ds_load_u8 v62, v2 offset:1536
	s_wait_dscnt 0x0
	v_lshrrev_b32_e32 v62, s49, v62
	s_delay_alu instid0(VALU_DEP_1)
	v_and_b32_e32 v128, s48, v62
	s_or_b32 exec_lo, exec_lo, s34
	s_and_saveexec_b32 s34, s21
	s_cbranch_execz .LBB112_841
.LBB112_911:                            ;   in Loop: Header=BB112_730 Depth=2
	ds_load_u8 v62, v2 offset:1792
	s_wait_dscnt 0x0
	v_lshrrev_b32_e32 v62, s49, v62
	s_delay_alu instid0(VALU_DEP_1)
	v_and_b32_e32 v127, s48, v62
	s_or_b32 exec_lo, exec_lo, s34
	s_and_saveexec_b32 s34, s22
	s_cbranch_execz .LBB112_842
.LBB112_912:                            ;   in Loop: Header=BB112_730 Depth=2
	ds_load_u8 v62, v2 offset:2048
	s_wait_dscnt 0x0
	v_lshrrev_b32_e32 v62, s49, v62
	s_delay_alu instid0(VALU_DEP_1)
	v_and_b32_e32 v126, s48, v62
	s_or_b32 exec_lo, exec_lo, s34
	s_and_saveexec_b32 s34, s23
	s_cbranch_execz .LBB112_843
.LBB112_913:                            ;   in Loop: Header=BB112_730 Depth=2
	ds_load_u8 v62, v2 offset:2304
	s_wait_dscnt 0x0
	v_lshrrev_b32_e32 v62, s49, v62
	s_delay_alu instid0(VALU_DEP_1)
	v_and_b32_e32 v125, s48, v62
	s_or_b32 exec_lo, exec_lo, s34
	s_and_saveexec_b32 s34, s24
	s_cbranch_execz .LBB112_844
.LBB112_914:                            ;   in Loop: Header=BB112_730 Depth=2
	ds_load_u8 v62, v2 offset:2560
	s_wait_dscnt 0x0
	v_lshrrev_b32_e32 v62, s49, v62
	s_delay_alu instid0(VALU_DEP_1)
	v_and_b32_e32 v124, s48, v62
	s_or_b32 exec_lo, exec_lo, s34
	s_and_saveexec_b32 s34, s25
	s_cbranch_execz .LBB112_845
.LBB112_915:                            ;   in Loop: Header=BB112_730 Depth=2
	ds_load_u8 v62, v2 offset:2816
	s_wait_dscnt 0x0
	v_lshrrev_b32_e32 v62, s49, v62
	s_delay_alu instid0(VALU_DEP_1)
	v_and_b32_e32 v123, s48, v62
	s_or_b32 exec_lo, exec_lo, s34
	s_and_saveexec_b32 s34, s26
	s_cbranch_execz .LBB112_846
.LBB112_916:                            ;   in Loop: Header=BB112_730 Depth=2
	ds_load_u8 v62, v2 offset:3072
	s_wait_dscnt 0x0
	v_lshrrev_b32_e32 v62, s49, v62
	s_delay_alu instid0(VALU_DEP_1)
	v_and_b32_e32 v122, s48, v62
	s_or_b32 exec_lo, exec_lo, s34
	s_and_saveexec_b32 s34, s27
	s_cbranch_execz .LBB112_847
.LBB112_917:                            ;   in Loop: Header=BB112_730 Depth=2
	ds_load_u8 v62, v2 offset:3328
	s_wait_dscnt 0x0
	v_lshrrev_b32_e32 v62, s49, v62
	s_delay_alu instid0(VALU_DEP_1)
	v_and_b32_e32 v120, s48, v62
	s_or_b32 exec_lo, exec_lo, s34
	s_and_saveexec_b32 s34, s28
	s_cbranch_execz .LBB112_848
.LBB112_918:                            ;   in Loop: Header=BB112_730 Depth=2
	ds_load_u8 v62, v2 offset:3584
	s_wait_dscnt 0x0
	v_lshrrev_b32_e32 v62, s49, v62
	s_delay_alu instid0(VALU_DEP_1)
	v_and_b32_e32 v119, s48, v62
	s_or_b32 exec_lo, exec_lo, s34
	s_and_saveexec_b32 s34, s29
	s_cbranch_execz .LBB112_849
.LBB112_919:                            ;   in Loop: Header=BB112_730 Depth=2
	ds_load_u8 v62, v2 offset:3840
	s_wait_dscnt 0x0
	v_lshrrev_b32_e32 v62, s49, v62
	s_delay_alu instid0(VALU_DEP_1)
	v_and_b32_e32 v118, s48, v62
	s_or_b32 exec_lo, exec_lo, s34
	s_and_saveexec_b32 s34, s30
	s_cbranch_execz .LBB112_850
.LBB112_920:                            ;   in Loop: Header=BB112_730 Depth=2
	ds_load_u8 v62, v2 offset:4096
	s_wait_dscnt 0x0
	v_lshrrev_b32_e32 v62, s49, v62
	s_delay_alu instid0(VALU_DEP_1)
	v_and_b32_e32 v117, s48, v62
	s_or_b32 exec_lo, exec_lo, s34
	s_and_saveexec_b32 s34, s31
	s_cbranch_execz .LBB112_851
.LBB112_921:                            ;   in Loop: Header=BB112_730 Depth=2
	ds_load_u8 v62, v2 offset:4352
	s_wait_dscnt 0x0
	v_lshrrev_b32_e32 v62, s49, v62
	s_delay_alu instid0(VALU_DEP_1)
	v_and_b32_e32 v116, s48, v62
	s_or_b32 exec_lo, exec_lo, s34
	s_and_saveexec_b32 s34, s33
	s_cbranch_execnz .LBB112_852
	s_branch .LBB112_853
.LBB112_922:                            ;   in Loop: Header=BB112_730 Depth=2
	v_dual_lshlrev_b32 v62, 2, v132 :: v_dual_add_nc_u32 v63, v2, v95
	ds_load_b32 v64, v62
	ds_load_b64 v[62:63], v63 offset:512
	s_wait_dscnt 0x1
	v_add_nc_u32_e32 v64, v64, v2
	s_wait_dscnt 0x0
	global_store_b64 v64, v[62:63], s[44:45] scale_offset
	s_wait_xcnt 0x0
	s_or_b32 exec_lo, exec_lo, s34
	s_and_saveexec_b32 s34, s17
	s_cbranch_execz .LBB112_855
.LBB112_923:                            ;   in Loop: Header=BB112_730 Depth=2
	v_lshlrev_b32_e32 v62, 2, v131
	v_add_nc_u32_e32 v63, v2, v95
	ds_load_b32 v64, v62
	ds_load_b64 v[62:63], v63 offset:2560
	s_wait_dscnt 0x1
	v_add_nc_u32_e32 v64, v64, v67
	s_wait_dscnt 0x0
	global_store_b64 v64, v[62:63], s[44:45] scale_offset
	s_wait_xcnt 0x0
	s_or_b32 exec_lo, exec_lo, s34
	s_and_saveexec_b32 s17, s18
	s_cbranch_execz .LBB112_856
.LBB112_924:                            ;   in Loop: Header=BB112_730 Depth=2
	v_dual_lshlrev_b32 v62, 2, v130 :: v_dual_add_nc_u32 v63, v2, v95
	ds_load_b32 v64, v62
	ds_load_b64 v[62:63], v63 offset:4608
	s_wait_dscnt 0x1
	v_add_nc_u32_e32 v64, v64, v68
	s_wait_dscnt 0x0
	global_store_b64 v64, v[62:63], s[44:45] scale_offset
	s_wait_xcnt 0x0
	s_or_b32 exec_lo, exec_lo, s17
	s_and_saveexec_b32 s17, s19
	s_cbranch_execz .LBB112_857
.LBB112_925:                            ;   in Loop: Header=BB112_730 Depth=2
	v_dual_lshlrev_b32 v62, 2, v129 :: v_dual_add_nc_u32 v63, v2, v95
	ds_load_b32 v64, v62
	ds_load_b64 v[62:63], v63 offset:6656
	s_wait_dscnt 0x1
	v_add_nc_u32_e32 v64, v64, v69
	s_wait_dscnt 0x0
	global_store_b64 v64, v[62:63], s[44:45] scale_offset
	s_wait_xcnt 0x0
	s_or_b32 exec_lo, exec_lo, s17
	s_and_saveexec_b32 s17, s20
	s_cbranch_execz .LBB112_858
.LBB112_926:                            ;   in Loop: Header=BB112_730 Depth=2
	v_dual_lshlrev_b32 v62, 2, v128 :: v_dual_add_nc_u32 v63, v2, v95
	ds_load_b32 v64, v62
	ds_load_b64 v[62:63], v63 offset:8704
	s_wait_dscnt 0x1
	v_add_nc_u32_e32 v64, v64, v70
	s_wait_dscnt 0x0
	global_store_b64 v64, v[62:63], s[44:45] scale_offset
	s_wait_xcnt 0x0
	s_or_b32 exec_lo, exec_lo, s17
	s_and_saveexec_b32 s17, s21
	s_cbranch_execz .LBB112_859
.LBB112_927:                            ;   in Loop: Header=BB112_730 Depth=2
	v_lshlrev_b32_e32 v62, 2, v127
	v_add_nc_u32_e32 v63, v2, v95
	ds_load_b32 v64, v62
	ds_load_b64 v[62:63], v63 offset:10752
	s_wait_dscnt 0x1
	v_add_nc_u32_e32 v64, v64, v71
	s_wait_dscnt 0x0
	global_store_b64 v64, v[62:63], s[44:45] scale_offset
	s_wait_xcnt 0x0
	s_or_b32 exec_lo, exec_lo, s17
	s_and_saveexec_b32 s17, s22
	s_cbranch_execz .LBB112_860
.LBB112_928:                            ;   in Loop: Header=BB112_730 Depth=2
	v_dual_lshlrev_b32 v62, 2, v126 :: v_dual_add_nc_u32 v63, v2, v95
	ds_load_b32 v64, v62
	ds_load_b64 v[62:63], v63 offset:12800
	s_wait_dscnt 0x1
	v_add_nc_u32_e32 v64, v64, v72
	s_wait_dscnt 0x0
	global_store_b64 v64, v[62:63], s[44:45] scale_offset
	s_wait_xcnt 0x0
	s_or_b32 exec_lo, exec_lo, s17
	s_and_saveexec_b32 s17, s23
	s_cbranch_execz .LBB112_861
.LBB112_929:                            ;   in Loop: Header=BB112_730 Depth=2
	v_dual_lshlrev_b32 v62, 2, v125 :: v_dual_add_nc_u32 v63, v2, v95
	ds_load_b32 v64, v62
	ds_load_b64 v[62:63], v63 offset:14848
	s_wait_dscnt 0x1
	v_add_nc_u32_e32 v64, v64, v73
	s_wait_dscnt 0x0
	global_store_b64 v64, v[62:63], s[44:45] scale_offset
	s_wait_xcnt 0x0
	s_or_b32 exec_lo, exec_lo, s17
	s_and_saveexec_b32 s17, s24
	s_cbranch_execz .LBB112_862
.LBB112_930:                            ;   in Loop: Header=BB112_730 Depth=2
	v_dual_lshlrev_b32 v62, 2, v124 :: v_dual_add_nc_u32 v63, v2, v95
	ds_load_b32 v64, v62
	ds_load_b64 v[62:63], v63 offset:16896
	s_wait_dscnt 0x1
	v_add_nc_u32_e32 v64, v64, v74
	s_wait_dscnt 0x0
	global_store_b64 v64, v[62:63], s[44:45] scale_offset
	s_wait_xcnt 0x0
	s_or_b32 exec_lo, exec_lo, s17
	s_and_saveexec_b32 s17, s25
	s_cbranch_execz .LBB112_863
.LBB112_931:                            ;   in Loop: Header=BB112_730 Depth=2
	v_lshlrev_b32_e32 v62, 2, v123
	v_add_nc_u32_e32 v63, v2, v95
	ds_load_b32 v64, v62
	ds_load_b64 v[62:63], v63 offset:18944
	s_wait_dscnt 0x1
	v_add_nc_u32_e32 v64, v64, v75
	s_wait_dscnt 0x0
	global_store_b64 v64, v[62:63], s[44:45] scale_offset
	s_wait_xcnt 0x0
	s_or_b32 exec_lo, exec_lo, s17
	s_and_saveexec_b32 s17, s26
	s_cbranch_execz .LBB112_864
.LBB112_932:                            ;   in Loop: Header=BB112_730 Depth=2
	v_dual_lshlrev_b32 v62, 2, v122 :: v_dual_add_nc_u32 v63, v2, v95
	ds_load_b32 v64, v62
	ds_load_b64 v[62:63], v63 offset:20992
	s_wait_dscnt 0x1
	v_add_nc_u32_e32 v64, v64, v76
	s_wait_dscnt 0x0
	global_store_b64 v64, v[62:63], s[44:45] scale_offset
	s_wait_xcnt 0x0
	s_or_b32 exec_lo, exec_lo, s17
	s_and_saveexec_b32 s17, s27
	s_cbranch_execz .LBB112_865
.LBB112_933:                            ;   in Loop: Header=BB112_730 Depth=2
	v_dual_lshlrev_b32 v62, 2, v120 :: v_dual_add_nc_u32 v63, v2, v95
	ds_load_b32 v64, v62
	ds_load_b64 v[62:63], v63 offset:23040
	s_wait_dscnt 0x1
	v_add_nc_u32_e32 v64, v64, v77
	s_wait_dscnt 0x0
	global_store_b64 v64, v[62:63], s[44:45] scale_offset
	s_wait_xcnt 0x0
	s_or_b32 exec_lo, exec_lo, s17
	s_and_saveexec_b32 s17, s28
	s_cbranch_execz .LBB112_866
.LBB112_934:                            ;   in Loop: Header=BB112_730 Depth=2
	v_lshlrev_b32_e32 v62, 2, v119
	v_add_nc_u32_e32 v63, v2, v95
	ds_load_b32 v64, v62
	ds_load_b64 v[62:63], v63 offset:25088
	s_wait_dscnt 0x1
	v_add_nc_u32_e32 v64, v64, v78
	s_wait_dscnt 0x0
	global_store_b64 v64, v[62:63], s[44:45] scale_offset
	s_wait_xcnt 0x0
	s_or_b32 exec_lo, exec_lo, s17
	s_and_saveexec_b32 s17, s29
	s_cbranch_execz .LBB112_867
.LBB112_935:                            ;   in Loop: Header=BB112_730 Depth=2
	v_dual_lshlrev_b32 v62, 2, v118 :: v_dual_add_nc_u32 v63, v2, v95
	ds_load_b32 v64, v62
	ds_load_b64 v[62:63], v63 offset:27136
	s_wait_dscnt 0x1
	v_add_nc_u32_e32 v64, v64, v79
	s_wait_dscnt 0x0
	global_store_b64 v64, v[62:63], s[44:45] scale_offset
	s_wait_xcnt 0x0
	s_or_b32 exec_lo, exec_lo, s17
	s_and_saveexec_b32 s17, s30
	s_cbranch_execz .LBB112_868
.LBB112_936:                            ;   in Loop: Header=BB112_730 Depth=2
	v_dual_lshlrev_b32 v62, 2, v117 :: v_dual_add_nc_u32 v63, v2, v95
	ds_load_b32 v64, v62
	ds_load_b64 v[62:63], v63 offset:29184
	s_wait_dscnt 0x1
	v_add_nc_u32_e32 v64, v64, v80
	s_wait_dscnt 0x0
	global_store_b64 v64, v[62:63], s[44:45] scale_offset
	s_wait_xcnt 0x0
	s_or_b32 exec_lo, exec_lo, s17
	s_and_saveexec_b32 s17, s31
	s_cbranch_execz .LBB112_869
.LBB112_937:                            ;   in Loop: Header=BB112_730 Depth=2
	v_dual_lshlrev_b32 v62, 2, v116 :: v_dual_add_nc_u32 v63, v2, v95
	ds_load_b32 v64, v62
	ds_load_b64 v[62:63], v63 offset:31232
	s_wait_dscnt 0x1
	v_add_nc_u32_e32 v64, v64, v81
	s_wait_dscnt 0x0
	global_store_b64 v64, v[62:63], s[44:45] scale_offset
	s_wait_xcnt 0x0
	s_or_b32 exec_lo, exec_lo, s17
	s_and_saveexec_b32 s17, s33
	s_cbranch_execnz .LBB112_870
	s_branch .LBB112_871
.LBB112_938:                            ;   in Loop: Header=BB112_730 Depth=2
	global_load_u8 v151, v[62:63], off offset:32
	s_wait_xcnt 0x0
	s_or_b32 exec_lo, exec_lo, s17
	s_delay_alu instid0(SALU_CYCLE_1)
	s_mov_b32 s17, exec_lo
	v_cmpx_gt_u32_e64 s58, v99
	s_cbranch_execz .LBB112_737
.LBB112_939:                            ;   in Loop: Header=BB112_730 Depth=2
	global_load_u8 v148, v[62:63], off offset:64
	s_wait_xcnt 0x0
	s_or_b32 exec_lo, exec_lo, s17
	s_delay_alu instid0(SALU_CYCLE_1)
	s_mov_b32 s17, exec_lo
	v_cmpx_gt_u32_e64 s58, v100
	s_cbranch_execz .LBB112_738
.LBB112_940:                            ;   in Loop: Header=BB112_730 Depth=2
	global_load_u8 v150, v[62:63], off offset:96
	s_wait_xcnt 0x0
	s_or_b32 exec_lo, exec_lo, s17
	s_delay_alu instid0(SALU_CYCLE_1)
	s_mov_b32 s17, exec_lo
	v_cmpx_gt_u32_e64 s58, v101
	s_cbranch_execz .LBB112_739
.LBB112_941:                            ;   in Loop: Header=BB112_730 Depth=2
	global_load_u8 v142, v[62:63], off offset:128
	s_wait_xcnt 0x0
	s_or_b32 exec_lo, exec_lo, s17
	s_delay_alu instid0(SALU_CYCLE_1)
	s_mov_b32 s17, exec_lo
	v_cmpx_gt_u32_e64 s58, v102
	s_cbranch_execz .LBB112_740
.LBB112_942:                            ;   in Loop: Header=BB112_730 Depth=2
	global_load_u8 v144, v[62:63], off offset:160
	s_wait_xcnt 0x0
	s_or_b32 exec_lo, exec_lo, s17
	s_delay_alu instid0(SALU_CYCLE_1)
	s_mov_b32 s17, exec_lo
	v_cmpx_gt_u32_e64 s58, v103
	s_cbranch_execz .LBB112_741
.LBB112_943:                            ;   in Loop: Header=BB112_730 Depth=2
	global_load_u8 v143, v[62:63], off offset:192
	s_wait_xcnt 0x0
	s_or_b32 exec_lo, exec_lo, s17
	s_delay_alu instid0(SALU_CYCLE_1)
	s_mov_b32 s17, exec_lo
	v_cmpx_gt_u32_e64 s58, v104
	s_cbranch_execz .LBB112_742
.LBB112_944:                            ;   in Loop: Header=BB112_730 Depth=2
	global_load_u8 v145, v[62:63], off offset:224
	s_wait_xcnt 0x0
	s_or_b32 exec_lo, exec_lo, s17
	s_delay_alu instid0(SALU_CYCLE_1)
	s_mov_b32 s17, exec_lo
	v_cmpx_gt_u32_e64 s58, v105
	s_cbranch_execz .LBB112_743
.LBB112_945:                            ;   in Loop: Header=BB112_730 Depth=2
	global_load_u8 v138, v[62:63], off offset:256
	s_wait_xcnt 0x0
	s_or_b32 exec_lo, exec_lo, s17
	s_delay_alu instid0(SALU_CYCLE_1)
	s_mov_b32 s17, exec_lo
	v_cmpx_gt_u32_e64 s58, v106
	s_cbranch_execz .LBB112_744
.LBB112_946:                            ;   in Loop: Header=BB112_730 Depth=2
	global_load_u8 v140, v[62:63], off offset:288
	s_wait_xcnt 0x0
	s_or_b32 exec_lo, exec_lo, s17
	s_delay_alu instid0(SALU_CYCLE_1)
	s_mov_b32 s17, exec_lo
	v_cmpx_gt_u32_e64 s58, v107
	s_cbranch_execz .LBB112_745
.LBB112_947:                            ;   in Loop: Header=BB112_730 Depth=2
	global_load_u8 v139, v[62:63], off offset:320
	s_wait_xcnt 0x0
	s_or_b32 exec_lo, exec_lo, s17
	s_delay_alu instid0(SALU_CYCLE_1)
	s_mov_b32 s17, exec_lo
	v_cmpx_gt_u32_e64 s58, v108
	s_cbranch_execz .LBB112_746
.LBB112_948:                            ;   in Loop: Header=BB112_730 Depth=2
	global_load_u8 v141, v[62:63], off offset:352
	s_wait_xcnt 0x0
	s_or_b32 exec_lo, exec_lo, s17
	s_delay_alu instid0(SALU_CYCLE_1)
	s_mov_b32 s17, exec_lo
	v_cmpx_gt_u32_e64 s58, v109
	s_cbranch_execz .LBB112_747
.LBB112_949:                            ;   in Loop: Header=BB112_730 Depth=2
	global_load_u8 v64, v[62:63], off offset:384
	s_wait_xcnt 0x0
	s_or_b32 exec_lo, exec_lo, s17
	s_delay_alu instid0(SALU_CYCLE_1)
	s_mov_b32 s17, exec_lo
	v_cmpx_gt_u32_e64 s58, v110
	s_cbranch_execz .LBB112_748
.LBB112_950:                            ;   in Loop: Header=BB112_730 Depth=2
	global_load_u8 v135, v[62:63], off offset:416
	s_wait_xcnt 0x0
	s_or_b32 exec_lo, exec_lo, s17
	s_delay_alu instid0(SALU_CYCLE_1)
	s_mov_b32 s17, exec_lo
	v_cmpx_gt_u32_e64 s58, v111
	s_cbranch_execz .LBB112_749
.LBB112_951:                            ;   in Loop: Header=BB112_730 Depth=2
	global_load_u8 v65, v[62:63], off offset:448
	s_wait_xcnt 0x0
	s_or_b32 exec_lo, exec_lo, s17
	s_delay_alu instid0(SALU_CYCLE_1)
	s_mov_b32 s17, exec_lo
	v_cmpx_gt_u32_e64 s58, v112
	s_cbranch_execnz .LBB112_750
	s_branch .LBB112_751
.LBB112_952:                            ;   in Loop: Header=BB112_20 Depth=1
	s_wait_dscnt 0x0
	s_barrier_signal -1
	s_mov_b32 s8, 0
	s_barrier_wait -1
.LBB112_953:                            ;   in Loop: Header=BB112_20 Depth=1
	s_and_b32 vcc_lo, exec_lo, s8
	s_cbranch_vccz .LBB112_19
; %bb.954:                              ;   in Loop: Header=BB112_20 Depth=1
	v_dual_mov_b32 v39, 0 :: v_dual_mov_b32 v42, 0
	v_dual_mov_b32 v41, 0 :: v_dual_mov_b32 v40, 0
	;; [unrolled: 1-line block ×8, first 2 shown]
	v_mov_b32_e32 v26, 0
	s_mov_b32 s8, s57
	s_mov_b32 s34, s55
	s_barrier_signal -1
	s_barrier_wait -1
	s_branch .LBB112_956
.LBB112_955:                            ;   in Loop: Header=BB112_956 Depth=2
	s_or_b32 exec_lo, exec_lo, s10
	s_addk_co_i32 s8, 0xef00
	s_cmp_ge_u32 s9, s54
	s_mov_b32 s34, s9
	s_cbranch_scc1 .LBB112_1028
.LBB112_956:                            ;   Parent Loop BB112_20 Depth=1
                                        ; =>  This Inner Loop Header: Depth=2
	s_add_co_i32 s9, s34, 0x1100
	s_mov_b32 s10, -1
	s_cmp_gt_u32 s9, s54
                                        ; implicit-def: $vgpr24
                                        ; implicit-def: $vgpr25
                                        ; implicit-def: $vgpr43
                                        ; implicit-def: $vgpr44
                                        ; implicit-def: $vgpr45
                                        ; implicit-def: $vgpr46
                                        ; implicit-def: $vgpr47
                                        ; implicit-def: $vgpr48
                                        ; implicit-def: $vgpr49
                                        ; implicit-def: $vgpr50
                                        ; implicit-def: $vgpr51
                                        ; implicit-def: $vgpr52
                                        ; implicit-def: $vgpr53
                                        ; implicit-def: $vgpr54
                                        ; implicit-def: $vgpr55
                                        ; implicit-def: $vgpr56
                                        ; implicit-def: $vgpr57
	s_cbranch_scc1 .LBB112_958
; %bb.957:                              ;   in Loop: Header=BB112_956 Depth=2
	v_add_nc_u64_e32 v[58:59], s[34:35], v[18:19]
	s_mov_b32 s10, 0
	s_clause 0x10
	global_load_u8 v57, v[58:59], off offset:4096
	global_load_u8 v56, v[58:59], off offset:3840
	;; [unrolled: 1-line block ×16, first 2 shown]
	global_load_u8 v24, v[58:59], off
.LBB112_958:                            ;   in Loop: Header=BB112_956 Depth=2
	s_and_not1_b32 vcc_lo, exec_lo, s10
	s_movk_i32 s10, 0x1100
	s_cbranch_vccnz .LBB112_978
; %bb.959:                              ;   in Loop: Header=BB112_956 Depth=2
	s_add_nc_u64 s[10:11], s[36:37], s[34:35]
	s_wait_loadcnt 0x0
	v_add_nc_u64_e32 v[24:25], s[10:11], v[2:3]
	s_mov_b32 s10, exec_lo
	s_wait_xcnt 0x0
	v_cmpx_gt_u32_e64 s8, v2
	s_cbranch_execnz .LBB112_1012
; %bb.960:                              ;   in Loop: Header=BB112_956 Depth=2
	s_or_b32 exec_lo, exec_lo, s10
	s_delay_alu instid0(SALU_CYCLE_1)
	s_mov_b32 s10, exec_lo
	v_cmpx_gt_u32_e64 s8, v67
	s_cbranch_execnz .LBB112_1013
.LBB112_961:                            ;   in Loop: Header=BB112_956 Depth=2
	s_or_b32 exec_lo, exec_lo, s10
	s_delay_alu instid0(SALU_CYCLE_1)
	s_mov_b32 s10, exec_lo
	v_cmpx_gt_u32_e64 s8, v68
	s_cbranch_execnz .LBB112_1014
.LBB112_962:                            ;   in Loop: Header=BB112_956 Depth=2
	s_or_b32 exec_lo, exec_lo, s10
	s_delay_alu instid0(SALU_CYCLE_1)
	s_mov_b32 s10, exec_lo
	v_cmpx_gt_u32_e64 s8, v69
	s_cbranch_execnz .LBB112_1015
.LBB112_963:                            ;   in Loop: Header=BB112_956 Depth=2
	s_or_b32 exec_lo, exec_lo, s10
	s_delay_alu instid0(SALU_CYCLE_1)
	s_mov_b32 s10, exec_lo
	v_cmpx_gt_u32_e64 s8, v70
	s_cbranch_execnz .LBB112_1016
.LBB112_964:                            ;   in Loop: Header=BB112_956 Depth=2
	s_or_b32 exec_lo, exec_lo, s10
	s_delay_alu instid0(SALU_CYCLE_1)
	s_mov_b32 s10, exec_lo
	v_cmpx_gt_u32_e64 s8, v71
	s_cbranch_execnz .LBB112_1017
.LBB112_965:                            ;   in Loop: Header=BB112_956 Depth=2
	s_or_b32 exec_lo, exec_lo, s10
	s_delay_alu instid0(SALU_CYCLE_1)
	s_mov_b32 s10, exec_lo
	v_cmpx_gt_u32_e64 s8, v72
	s_cbranch_execnz .LBB112_1018
.LBB112_966:                            ;   in Loop: Header=BB112_956 Depth=2
	s_or_b32 exec_lo, exec_lo, s10
	s_delay_alu instid0(SALU_CYCLE_1)
	s_mov_b32 s10, exec_lo
	v_cmpx_gt_u32_e64 s8, v73
	s_cbranch_execnz .LBB112_1019
.LBB112_967:                            ;   in Loop: Header=BB112_956 Depth=2
	s_or_b32 exec_lo, exec_lo, s10
	s_delay_alu instid0(SALU_CYCLE_1)
	s_mov_b32 s10, exec_lo
	v_cmpx_gt_u32_e64 s8, v74
	s_cbranch_execnz .LBB112_1020
.LBB112_968:                            ;   in Loop: Header=BB112_956 Depth=2
	s_or_b32 exec_lo, exec_lo, s10
	s_delay_alu instid0(SALU_CYCLE_1)
	s_mov_b32 s10, exec_lo
	v_cmpx_gt_u32_e64 s8, v75
	s_cbranch_execnz .LBB112_1021
.LBB112_969:                            ;   in Loop: Header=BB112_956 Depth=2
	s_or_b32 exec_lo, exec_lo, s10
	s_delay_alu instid0(SALU_CYCLE_1)
	s_mov_b32 s10, exec_lo
	v_cmpx_gt_u32_e64 s8, v76
	s_cbranch_execnz .LBB112_1022
.LBB112_970:                            ;   in Loop: Header=BB112_956 Depth=2
	s_or_b32 exec_lo, exec_lo, s10
	s_delay_alu instid0(SALU_CYCLE_1)
	s_mov_b32 s10, exec_lo
	v_cmpx_gt_u32_e64 s8, v77
	s_cbranch_execnz .LBB112_1023
.LBB112_971:                            ;   in Loop: Header=BB112_956 Depth=2
	s_or_b32 exec_lo, exec_lo, s10
	s_delay_alu instid0(SALU_CYCLE_1)
	s_mov_b32 s10, exec_lo
	v_cmpx_gt_u32_e64 s8, v78
	s_cbranch_execnz .LBB112_1024
.LBB112_972:                            ;   in Loop: Header=BB112_956 Depth=2
	s_or_b32 exec_lo, exec_lo, s10
	s_delay_alu instid0(SALU_CYCLE_1)
	s_mov_b32 s10, exec_lo
	v_cmpx_gt_u32_e64 s8, v79
	s_cbranch_execnz .LBB112_1025
.LBB112_973:                            ;   in Loop: Header=BB112_956 Depth=2
	s_or_b32 exec_lo, exec_lo, s10
	s_delay_alu instid0(SALU_CYCLE_1)
	s_mov_b32 s10, exec_lo
	v_cmpx_gt_u32_e64 s8, v80
	s_cbranch_execnz .LBB112_1026
.LBB112_974:                            ;   in Loop: Header=BB112_956 Depth=2
	s_or_b32 exec_lo, exec_lo, s10
	s_delay_alu instid0(SALU_CYCLE_1)
	s_mov_b32 s10, exec_lo
	v_cmpx_gt_u32_e64 s8, v81
	s_cbranch_execnz .LBB112_1027
.LBB112_975:                            ;   in Loop: Header=BB112_956 Depth=2
	s_or_b32 exec_lo, exec_lo, s10
	s_delay_alu instid0(SALU_CYCLE_1)
	s_mov_b32 s10, exec_lo
	v_cmpx_gt_u32_e64 s8, v82
	s_cbranch_execz .LBB112_977
.LBB112_976:                            ;   in Loop: Header=BB112_956 Depth=2
	global_load_u8 v26, v[24:25], off offset:4096
.LBB112_977:                            ;   in Loop: Header=BB112_956 Depth=2
	s_wait_xcnt 0x0
	s_or_b32 exec_lo, exec_lo, s10
	s_wait_loadcnt 0x0
	v_dual_mov_b32 v24, v39 :: v_dual_mov_b32 v25, v42
	v_dual_mov_b32 v43, v41 :: v_dual_mov_b32 v44, v40
	;; [unrolled: 1-line block ×8, first 2 shown]
	v_mov_b32_e32 v57, v26
	s_mov_b32 s10, s8
.LBB112_978:                            ;   in Loop: Header=BB112_956 Depth=2
	s_wait_loadcnt 0xf
	s_delay_alu instid0(VALU_DEP_1)
	v_dual_mov_b32 v26, v57 :: v_dual_mov_b32 v27, v56
	s_wait_loadcnt 0xd
	v_dual_mov_b32 v28, v55 :: v_dual_mov_b32 v29, v54
	s_wait_loadcnt 0xb
	;; [unrolled: 2-line block ×8, first 2 shown]
	v_mov_b32_e32 v39, v24
	s_mov_b32 s11, exec_lo
	s_wait_xcnt 0x0
	v_cmpx_gt_u32_e64 s10, v2
	s_cbranch_execnz .LBB112_995
; %bb.979:                              ;   in Loop: Header=BB112_956 Depth=2
	s_or_b32 exec_lo, exec_lo, s11
	s_delay_alu instid0(SALU_CYCLE_1)
	s_mov_b32 s11, exec_lo
	v_cmpx_gt_u32_e64 s10, v67
	s_cbranch_execnz .LBB112_996
.LBB112_980:                            ;   in Loop: Header=BB112_956 Depth=2
	s_or_b32 exec_lo, exec_lo, s11
	s_delay_alu instid0(SALU_CYCLE_1)
	s_mov_b32 s11, exec_lo
	v_cmpx_gt_u32_e64 s10, v68
	s_cbranch_execnz .LBB112_997
.LBB112_981:                            ;   in Loop: Header=BB112_956 Depth=2
	s_or_b32 exec_lo, exec_lo, s11
	s_delay_alu instid0(SALU_CYCLE_1)
	s_mov_b32 s11, exec_lo
	v_cmpx_gt_u32_e64 s10, v69
	s_cbranch_execnz .LBB112_998
.LBB112_982:                            ;   in Loop: Header=BB112_956 Depth=2
	s_or_b32 exec_lo, exec_lo, s11
	s_delay_alu instid0(SALU_CYCLE_1)
	s_mov_b32 s11, exec_lo
	v_cmpx_gt_u32_e64 s10, v70
	s_cbranch_execnz .LBB112_999
.LBB112_983:                            ;   in Loop: Header=BB112_956 Depth=2
	s_or_b32 exec_lo, exec_lo, s11
	s_delay_alu instid0(SALU_CYCLE_1)
	s_mov_b32 s11, exec_lo
	v_cmpx_gt_u32_e64 s10, v71
	s_cbranch_execnz .LBB112_1000
.LBB112_984:                            ;   in Loop: Header=BB112_956 Depth=2
	s_or_b32 exec_lo, exec_lo, s11
	s_delay_alu instid0(SALU_CYCLE_1)
	s_mov_b32 s11, exec_lo
	v_cmpx_gt_u32_e64 s10, v72
	s_cbranch_execnz .LBB112_1001
.LBB112_985:                            ;   in Loop: Header=BB112_956 Depth=2
	s_or_b32 exec_lo, exec_lo, s11
	s_delay_alu instid0(SALU_CYCLE_1)
	s_mov_b32 s11, exec_lo
	v_cmpx_gt_u32_e64 s10, v73
	s_cbranch_execnz .LBB112_1002
.LBB112_986:                            ;   in Loop: Header=BB112_956 Depth=2
	s_or_b32 exec_lo, exec_lo, s11
	s_delay_alu instid0(SALU_CYCLE_1)
	s_mov_b32 s11, exec_lo
	v_cmpx_gt_u32_e64 s10, v74
	s_cbranch_execnz .LBB112_1003
.LBB112_987:                            ;   in Loop: Header=BB112_956 Depth=2
	s_or_b32 exec_lo, exec_lo, s11
	s_delay_alu instid0(SALU_CYCLE_1)
	s_mov_b32 s11, exec_lo
	v_cmpx_gt_u32_e64 s10, v75
	s_cbranch_execnz .LBB112_1004
.LBB112_988:                            ;   in Loop: Header=BB112_956 Depth=2
	s_or_b32 exec_lo, exec_lo, s11
	s_delay_alu instid0(SALU_CYCLE_1)
	s_mov_b32 s11, exec_lo
	v_cmpx_gt_u32_e64 s10, v76
	s_cbranch_execnz .LBB112_1005
.LBB112_989:                            ;   in Loop: Header=BB112_956 Depth=2
	s_or_b32 exec_lo, exec_lo, s11
	s_delay_alu instid0(SALU_CYCLE_1)
	s_mov_b32 s11, exec_lo
	v_cmpx_gt_u32_e64 s10, v77
	s_cbranch_execnz .LBB112_1006
.LBB112_990:                            ;   in Loop: Header=BB112_956 Depth=2
	s_or_b32 exec_lo, exec_lo, s11
	s_delay_alu instid0(SALU_CYCLE_1)
	s_mov_b32 s11, exec_lo
	v_cmpx_gt_u32_e64 s10, v78
	s_cbranch_execnz .LBB112_1007
.LBB112_991:                            ;   in Loop: Header=BB112_956 Depth=2
	s_or_b32 exec_lo, exec_lo, s11
	s_delay_alu instid0(SALU_CYCLE_1)
	s_mov_b32 s11, exec_lo
	v_cmpx_gt_u32_e64 s10, v79
	s_cbranch_execnz .LBB112_1008
.LBB112_992:                            ;   in Loop: Header=BB112_956 Depth=2
	s_or_b32 exec_lo, exec_lo, s11
	s_delay_alu instid0(SALU_CYCLE_1)
	s_mov_b32 s11, exec_lo
	v_cmpx_gt_u32_e64 s10, v80
	s_cbranch_execnz .LBB112_1009
.LBB112_993:                            ;   in Loop: Header=BB112_956 Depth=2
	s_or_b32 exec_lo, exec_lo, s11
	s_delay_alu instid0(SALU_CYCLE_1)
	s_mov_b32 s11, exec_lo
	v_cmpx_gt_u32_e64 s10, v81
	s_cbranch_execnz .LBB112_1010
.LBB112_994:                            ;   in Loop: Header=BB112_956 Depth=2
	s_or_b32 exec_lo, exec_lo, s11
	v_cmp_gt_u32_e32 vcc_lo, s10, v82
	s_and_saveexec_b32 s10, vcc_lo
	s_cbranch_execz .LBB112_955
	s_branch .LBB112_1011
.LBB112_995:                            ;   in Loop: Header=BB112_956 Depth=2
	v_xor_b32_e32 v24, -1, v39
	s_delay_alu instid0(VALU_DEP_1) | instskip(NEXT) | instid1(VALU_DEP_1)
	v_and_b32_e32 v24, 0xff, v24
	v_lshrrev_b32_e32 v24, s49, v24
	s_delay_alu instid0(VALU_DEP_1) | instskip(NEXT) | instid1(VALU_DEP_1)
	v_and_b32_e32 v24, s48, v24
	v_lshl_or_b32 v24, v24, 4, v84
	ds_add_u32 v24, v7
	s_or_b32 exec_lo, exec_lo, s11
	s_delay_alu instid0(SALU_CYCLE_1)
	s_mov_b32 s11, exec_lo
	v_cmpx_gt_u32_e64 s10, v67
	s_cbranch_execz .LBB112_980
.LBB112_996:                            ;   in Loop: Header=BB112_956 Depth=2
	v_xor_b32_e32 v24, -1, v42
	s_delay_alu instid0(VALU_DEP_1) | instskip(NEXT) | instid1(VALU_DEP_1)
	v_and_b32_e32 v24, 0xff, v24
	v_lshrrev_b32_e32 v24, s49, v24
	s_delay_alu instid0(VALU_DEP_1) | instskip(NEXT) | instid1(VALU_DEP_1)
	v_and_b32_e32 v24, s48, v24
	v_lshl_or_b32 v24, v24, 4, v84
	ds_add_u32 v24, v7
	s_or_b32 exec_lo, exec_lo, s11
	s_delay_alu instid0(SALU_CYCLE_1)
	s_mov_b32 s11, exec_lo
	v_cmpx_gt_u32_e64 s10, v68
	s_cbranch_execz .LBB112_981
.LBB112_997:                            ;   in Loop: Header=BB112_956 Depth=2
	v_xor_b32_e32 v24, -1, v41
	s_delay_alu instid0(VALU_DEP_1) | instskip(NEXT) | instid1(VALU_DEP_1)
	v_and_b32_e32 v24, 0xff, v24
	v_lshrrev_b32_e32 v24, s49, v24
	s_delay_alu instid0(VALU_DEP_1) | instskip(NEXT) | instid1(VALU_DEP_1)
	v_and_b32_e32 v24, s48, v24
	v_lshl_or_b32 v24, v24, 4, v84
	ds_add_u32 v24, v7
	s_or_b32 exec_lo, exec_lo, s11
	s_delay_alu instid0(SALU_CYCLE_1)
	s_mov_b32 s11, exec_lo
	v_cmpx_gt_u32_e64 s10, v69
	s_cbranch_execz .LBB112_982
.LBB112_998:                            ;   in Loop: Header=BB112_956 Depth=2
	v_xor_b32_e32 v24, -1, v40
	s_delay_alu instid0(VALU_DEP_1) | instskip(NEXT) | instid1(VALU_DEP_1)
	v_and_b32_e32 v24, 0xff, v24
	v_lshrrev_b32_e32 v24, s49, v24
	s_delay_alu instid0(VALU_DEP_1) | instskip(NEXT) | instid1(VALU_DEP_1)
	v_and_b32_e32 v24, s48, v24
	v_lshl_or_b32 v24, v24, 4, v84
	ds_add_u32 v24, v7
	s_or_b32 exec_lo, exec_lo, s11
	s_delay_alu instid0(SALU_CYCLE_1)
	s_mov_b32 s11, exec_lo
	v_cmpx_gt_u32_e64 s10, v70
	s_cbranch_execz .LBB112_983
.LBB112_999:                            ;   in Loop: Header=BB112_956 Depth=2
	v_xor_b32_e32 v24, -1, v38
	s_delay_alu instid0(VALU_DEP_1) | instskip(NEXT) | instid1(VALU_DEP_1)
	v_and_b32_e32 v24, 0xff, v24
	v_lshrrev_b32_e32 v24, s49, v24
	s_delay_alu instid0(VALU_DEP_1) | instskip(NEXT) | instid1(VALU_DEP_1)
	v_and_b32_e32 v24, s48, v24
	v_lshl_or_b32 v24, v24, 4, v84
	ds_add_u32 v24, v7
	s_or_b32 exec_lo, exec_lo, s11
	s_delay_alu instid0(SALU_CYCLE_1)
	s_mov_b32 s11, exec_lo
	v_cmpx_gt_u32_e64 s10, v71
	s_cbranch_execz .LBB112_984
.LBB112_1000:                           ;   in Loop: Header=BB112_956 Depth=2
	v_xor_b32_e32 v24, -1, v37
	s_delay_alu instid0(VALU_DEP_1) | instskip(NEXT) | instid1(VALU_DEP_1)
	v_and_b32_e32 v24, 0xff, v24
	v_lshrrev_b32_e32 v24, s49, v24
	s_delay_alu instid0(VALU_DEP_1) | instskip(NEXT) | instid1(VALU_DEP_1)
	v_and_b32_e32 v24, s48, v24
	v_lshl_or_b32 v24, v24, 4, v84
	ds_add_u32 v24, v7
	s_or_b32 exec_lo, exec_lo, s11
	s_delay_alu instid0(SALU_CYCLE_1)
	s_mov_b32 s11, exec_lo
	v_cmpx_gt_u32_e64 s10, v72
	s_cbranch_execz .LBB112_985
.LBB112_1001:                           ;   in Loop: Header=BB112_956 Depth=2
	v_xor_b32_e32 v24, -1, v36
	s_delay_alu instid0(VALU_DEP_1) | instskip(NEXT) | instid1(VALU_DEP_1)
	v_and_b32_e32 v24, 0xff, v24
	v_lshrrev_b32_e32 v24, s49, v24
	s_delay_alu instid0(VALU_DEP_1) | instskip(NEXT) | instid1(VALU_DEP_1)
	v_and_b32_e32 v24, s48, v24
	v_lshl_or_b32 v24, v24, 4, v84
	ds_add_u32 v24, v7
	s_or_b32 exec_lo, exec_lo, s11
	s_delay_alu instid0(SALU_CYCLE_1)
	s_mov_b32 s11, exec_lo
	v_cmpx_gt_u32_e64 s10, v73
	s_cbranch_execz .LBB112_986
.LBB112_1002:                           ;   in Loop: Header=BB112_956 Depth=2
	v_xor_b32_e32 v24, -1, v35
	s_delay_alu instid0(VALU_DEP_1) | instskip(NEXT) | instid1(VALU_DEP_1)
	v_and_b32_e32 v24, 0xff, v24
	v_lshrrev_b32_e32 v24, s49, v24
	s_delay_alu instid0(VALU_DEP_1) | instskip(NEXT) | instid1(VALU_DEP_1)
	v_and_b32_e32 v24, s48, v24
	v_lshl_or_b32 v24, v24, 4, v84
	ds_add_u32 v24, v7
	s_or_b32 exec_lo, exec_lo, s11
	s_delay_alu instid0(SALU_CYCLE_1)
	s_mov_b32 s11, exec_lo
	v_cmpx_gt_u32_e64 s10, v74
	s_cbranch_execz .LBB112_987
.LBB112_1003:                           ;   in Loop: Header=BB112_956 Depth=2
	v_xor_b32_e32 v24, -1, v34
	s_delay_alu instid0(VALU_DEP_1) | instskip(NEXT) | instid1(VALU_DEP_1)
	v_and_b32_e32 v24, 0xff, v24
	v_lshrrev_b32_e32 v24, s49, v24
	s_delay_alu instid0(VALU_DEP_1) | instskip(NEXT) | instid1(VALU_DEP_1)
	v_and_b32_e32 v24, s48, v24
	v_lshl_or_b32 v24, v24, 4, v84
	ds_add_u32 v24, v7
	s_or_b32 exec_lo, exec_lo, s11
	s_delay_alu instid0(SALU_CYCLE_1)
	s_mov_b32 s11, exec_lo
	v_cmpx_gt_u32_e64 s10, v75
	s_cbranch_execz .LBB112_988
.LBB112_1004:                           ;   in Loop: Header=BB112_956 Depth=2
	v_xor_b32_e32 v24, -1, v33
	s_delay_alu instid0(VALU_DEP_1) | instskip(NEXT) | instid1(VALU_DEP_1)
	v_and_b32_e32 v24, 0xff, v24
	v_lshrrev_b32_e32 v24, s49, v24
	s_delay_alu instid0(VALU_DEP_1) | instskip(NEXT) | instid1(VALU_DEP_1)
	v_and_b32_e32 v24, s48, v24
	v_lshl_or_b32 v24, v24, 4, v84
	ds_add_u32 v24, v7
	s_or_b32 exec_lo, exec_lo, s11
	s_delay_alu instid0(SALU_CYCLE_1)
	s_mov_b32 s11, exec_lo
	v_cmpx_gt_u32_e64 s10, v76
	s_cbranch_execz .LBB112_989
.LBB112_1005:                           ;   in Loop: Header=BB112_956 Depth=2
	v_xor_b32_e32 v24, -1, v32
	s_delay_alu instid0(VALU_DEP_1) | instskip(NEXT) | instid1(VALU_DEP_1)
	v_and_b32_e32 v24, 0xff, v24
	v_lshrrev_b32_e32 v24, s49, v24
	s_delay_alu instid0(VALU_DEP_1) | instskip(NEXT) | instid1(VALU_DEP_1)
	v_and_b32_e32 v24, s48, v24
	v_lshl_or_b32 v24, v24, 4, v84
	ds_add_u32 v24, v7
	s_or_b32 exec_lo, exec_lo, s11
	s_delay_alu instid0(SALU_CYCLE_1)
	s_mov_b32 s11, exec_lo
	v_cmpx_gt_u32_e64 s10, v77
	s_cbranch_execz .LBB112_990
.LBB112_1006:                           ;   in Loop: Header=BB112_956 Depth=2
	v_xor_b32_e32 v24, -1, v31
	s_delay_alu instid0(VALU_DEP_1) | instskip(NEXT) | instid1(VALU_DEP_1)
	v_and_b32_e32 v24, 0xff, v24
	v_lshrrev_b32_e32 v24, s49, v24
	s_delay_alu instid0(VALU_DEP_1) | instskip(NEXT) | instid1(VALU_DEP_1)
	v_and_b32_e32 v24, s48, v24
	v_lshl_or_b32 v24, v24, 4, v84
	ds_add_u32 v24, v7
	s_or_b32 exec_lo, exec_lo, s11
	s_delay_alu instid0(SALU_CYCLE_1)
	s_mov_b32 s11, exec_lo
	v_cmpx_gt_u32_e64 s10, v78
	s_cbranch_execz .LBB112_991
.LBB112_1007:                           ;   in Loop: Header=BB112_956 Depth=2
	v_xor_b32_e32 v24, -1, v30
	s_delay_alu instid0(VALU_DEP_1) | instskip(NEXT) | instid1(VALU_DEP_1)
	v_and_b32_e32 v24, 0xff, v24
	v_lshrrev_b32_e32 v24, s49, v24
	s_delay_alu instid0(VALU_DEP_1) | instskip(NEXT) | instid1(VALU_DEP_1)
	v_and_b32_e32 v24, s48, v24
	v_lshl_or_b32 v24, v24, 4, v84
	ds_add_u32 v24, v7
	s_or_b32 exec_lo, exec_lo, s11
	s_delay_alu instid0(SALU_CYCLE_1)
	s_mov_b32 s11, exec_lo
	v_cmpx_gt_u32_e64 s10, v79
	s_cbranch_execz .LBB112_992
.LBB112_1008:                           ;   in Loop: Header=BB112_956 Depth=2
	v_xor_b32_e32 v24, -1, v29
	s_delay_alu instid0(VALU_DEP_1) | instskip(NEXT) | instid1(VALU_DEP_1)
	v_and_b32_e32 v24, 0xff, v24
	v_lshrrev_b32_e32 v24, s49, v24
	s_delay_alu instid0(VALU_DEP_1) | instskip(NEXT) | instid1(VALU_DEP_1)
	v_and_b32_e32 v24, s48, v24
	v_lshl_or_b32 v24, v24, 4, v84
	ds_add_u32 v24, v7
	s_or_b32 exec_lo, exec_lo, s11
	s_delay_alu instid0(SALU_CYCLE_1)
	s_mov_b32 s11, exec_lo
	v_cmpx_gt_u32_e64 s10, v80
	s_cbranch_execz .LBB112_993
.LBB112_1009:                           ;   in Loop: Header=BB112_956 Depth=2
	v_xor_b32_e32 v24, -1, v28
	s_delay_alu instid0(VALU_DEP_1) | instskip(NEXT) | instid1(VALU_DEP_1)
	v_and_b32_e32 v24, 0xff, v24
	v_lshrrev_b32_e32 v24, s49, v24
	s_delay_alu instid0(VALU_DEP_1) | instskip(NEXT) | instid1(VALU_DEP_1)
	v_and_b32_e32 v24, s48, v24
	v_lshl_or_b32 v24, v24, 4, v84
	ds_add_u32 v24, v7
	s_or_b32 exec_lo, exec_lo, s11
	s_delay_alu instid0(SALU_CYCLE_1)
	s_mov_b32 s11, exec_lo
	v_cmpx_gt_u32_e64 s10, v81
	s_cbranch_execz .LBB112_994
.LBB112_1010:                           ;   in Loop: Header=BB112_956 Depth=2
	v_xor_b32_e32 v24, -1, v27
	s_delay_alu instid0(VALU_DEP_1) | instskip(NEXT) | instid1(VALU_DEP_1)
	v_and_b32_e32 v24, 0xff, v24
	v_lshrrev_b32_e32 v24, s49, v24
	s_delay_alu instid0(VALU_DEP_1) | instskip(NEXT) | instid1(VALU_DEP_1)
	v_and_b32_e32 v24, s48, v24
	v_lshl_or_b32 v24, v24, 4, v84
	ds_add_u32 v24, v7
	s_or_b32 exec_lo, exec_lo, s11
	v_cmp_gt_u32_e32 vcc_lo, s10, v82
	s_and_saveexec_b32 s10, vcc_lo
	s_cbranch_execz .LBB112_955
.LBB112_1011:                           ;   in Loop: Header=BB112_956 Depth=2
	v_xor_b32_e32 v24, -1, v26
	s_delay_alu instid0(VALU_DEP_1) | instskip(NEXT) | instid1(VALU_DEP_1)
	v_and_b32_e32 v24, 0xff, v24
	v_lshrrev_b32_e32 v24, s49, v24
	s_delay_alu instid0(VALU_DEP_1) | instskip(NEXT) | instid1(VALU_DEP_1)
	v_and_b32_e32 v24, s48, v24
	v_lshl_or_b32 v24, v24, 4, v84
	ds_add_u32 v24, v7
	s_branch .LBB112_955
.LBB112_1012:                           ;   in Loop: Header=BB112_956 Depth=2
	global_load_u8 v39, v[24:25], off
	s_wait_xcnt 0x0
	s_or_b32 exec_lo, exec_lo, s10
	s_delay_alu instid0(SALU_CYCLE_1)
	s_mov_b32 s10, exec_lo
	v_cmpx_gt_u32_e64 s8, v67
	s_cbranch_execz .LBB112_961
.LBB112_1013:                           ;   in Loop: Header=BB112_956 Depth=2
	global_load_u8 v42, v[24:25], off offset:256
	s_wait_xcnt 0x0
	s_or_b32 exec_lo, exec_lo, s10
	s_delay_alu instid0(SALU_CYCLE_1)
	s_mov_b32 s10, exec_lo
	v_cmpx_gt_u32_e64 s8, v68
	s_cbranch_execz .LBB112_962
.LBB112_1014:                           ;   in Loop: Header=BB112_956 Depth=2
	global_load_u8 v41, v[24:25], off offset:512
	s_wait_xcnt 0x0
	s_or_b32 exec_lo, exec_lo, s10
	s_delay_alu instid0(SALU_CYCLE_1)
	s_mov_b32 s10, exec_lo
	v_cmpx_gt_u32_e64 s8, v69
	s_cbranch_execz .LBB112_963
.LBB112_1015:                           ;   in Loop: Header=BB112_956 Depth=2
	global_load_u8 v40, v[24:25], off offset:768
	s_wait_xcnt 0x0
	s_or_b32 exec_lo, exec_lo, s10
	s_delay_alu instid0(SALU_CYCLE_1)
	s_mov_b32 s10, exec_lo
	v_cmpx_gt_u32_e64 s8, v70
	s_cbranch_execz .LBB112_964
.LBB112_1016:                           ;   in Loop: Header=BB112_956 Depth=2
	global_load_u8 v38, v[24:25], off offset:1024
	s_wait_xcnt 0x0
	s_or_b32 exec_lo, exec_lo, s10
	s_delay_alu instid0(SALU_CYCLE_1)
	s_mov_b32 s10, exec_lo
	v_cmpx_gt_u32_e64 s8, v71
	s_cbranch_execz .LBB112_965
.LBB112_1017:                           ;   in Loop: Header=BB112_956 Depth=2
	global_load_u8 v37, v[24:25], off offset:1280
	s_wait_xcnt 0x0
	s_or_b32 exec_lo, exec_lo, s10
	s_delay_alu instid0(SALU_CYCLE_1)
	s_mov_b32 s10, exec_lo
	v_cmpx_gt_u32_e64 s8, v72
	s_cbranch_execz .LBB112_966
.LBB112_1018:                           ;   in Loop: Header=BB112_956 Depth=2
	global_load_u8 v36, v[24:25], off offset:1536
	s_wait_xcnt 0x0
	s_or_b32 exec_lo, exec_lo, s10
	s_delay_alu instid0(SALU_CYCLE_1)
	s_mov_b32 s10, exec_lo
	v_cmpx_gt_u32_e64 s8, v73
	s_cbranch_execz .LBB112_967
.LBB112_1019:                           ;   in Loop: Header=BB112_956 Depth=2
	global_load_u8 v35, v[24:25], off offset:1792
	s_wait_xcnt 0x0
	s_or_b32 exec_lo, exec_lo, s10
	s_delay_alu instid0(SALU_CYCLE_1)
	s_mov_b32 s10, exec_lo
	v_cmpx_gt_u32_e64 s8, v74
	s_cbranch_execz .LBB112_968
.LBB112_1020:                           ;   in Loop: Header=BB112_956 Depth=2
	global_load_u8 v34, v[24:25], off offset:2048
	s_wait_xcnt 0x0
	s_or_b32 exec_lo, exec_lo, s10
	s_delay_alu instid0(SALU_CYCLE_1)
	s_mov_b32 s10, exec_lo
	v_cmpx_gt_u32_e64 s8, v75
	s_cbranch_execz .LBB112_969
.LBB112_1021:                           ;   in Loop: Header=BB112_956 Depth=2
	global_load_u8 v33, v[24:25], off offset:2304
	s_wait_xcnt 0x0
	s_or_b32 exec_lo, exec_lo, s10
	s_delay_alu instid0(SALU_CYCLE_1)
	s_mov_b32 s10, exec_lo
	v_cmpx_gt_u32_e64 s8, v76
	s_cbranch_execz .LBB112_970
.LBB112_1022:                           ;   in Loop: Header=BB112_956 Depth=2
	global_load_u8 v32, v[24:25], off offset:2560
	s_wait_xcnt 0x0
	s_or_b32 exec_lo, exec_lo, s10
	s_delay_alu instid0(SALU_CYCLE_1)
	s_mov_b32 s10, exec_lo
	v_cmpx_gt_u32_e64 s8, v77
	s_cbranch_execz .LBB112_971
.LBB112_1023:                           ;   in Loop: Header=BB112_956 Depth=2
	global_load_u8 v31, v[24:25], off offset:2816
	s_wait_xcnt 0x0
	s_or_b32 exec_lo, exec_lo, s10
	s_delay_alu instid0(SALU_CYCLE_1)
	s_mov_b32 s10, exec_lo
	v_cmpx_gt_u32_e64 s8, v78
	s_cbranch_execz .LBB112_972
.LBB112_1024:                           ;   in Loop: Header=BB112_956 Depth=2
	global_load_u8 v30, v[24:25], off offset:3072
	s_wait_xcnt 0x0
	s_or_b32 exec_lo, exec_lo, s10
	s_delay_alu instid0(SALU_CYCLE_1)
	s_mov_b32 s10, exec_lo
	v_cmpx_gt_u32_e64 s8, v79
	s_cbranch_execz .LBB112_973
.LBB112_1025:                           ;   in Loop: Header=BB112_956 Depth=2
	global_load_u8 v29, v[24:25], off offset:3328
	s_wait_xcnt 0x0
	s_or_b32 exec_lo, exec_lo, s10
	s_delay_alu instid0(SALU_CYCLE_1)
	s_mov_b32 s10, exec_lo
	v_cmpx_gt_u32_e64 s8, v80
	s_cbranch_execz .LBB112_974
.LBB112_1026:                           ;   in Loop: Header=BB112_956 Depth=2
	global_load_u8 v28, v[24:25], off offset:3584
	s_wait_xcnt 0x0
	s_or_b32 exec_lo, exec_lo, s10
	s_delay_alu instid0(SALU_CYCLE_1)
	s_mov_b32 s10, exec_lo
	v_cmpx_gt_u32_e64 s8, v81
	s_cbranch_execz .LBB112_975
.LBB112_1027:                           ;   in Loop: Header=BB112_956 Depth=2
	global_load_u8 v27, v[24:25], off offset:3840
	s_wait_xcnt 0x0
	s_or_b32 exec_lo, exec_lo, s10
	s_delay_alu instid0(SALU_CYCLE_1)
	s_mov_b32 s10, exec_lo
	v_cmpx_gt_u32_e64 s8, v82
	s_cbranch_execnz .LBB112_976
	s_branch .LBB112_977
.LBB112_1028:                           ;   in Loop: Header=BB112_20 Depth=1
	v_mov_b32_e32 v24, 0
	s_wait_dscnt 0x0
	s_barrier_signal -1
	s_barrier_wait -1
	s_and_saveexec_b32 s8, s0
	s_cbranch_execz .LBB112_1030
; %bb.1029:                             ;   in Loop: Header=BB112_20 Depth=1
	ds_load_2addr_b64 v[24:27], v85 offset1:1
	s_wait_dscnt 0x0
	v_add_nc_u32_e32 v24, v25, v24
	s_delay_alu instid0(VALU_DEP_1)
	v_add3_u32 v24, v24, v26, v27
.LBB112_1030:                           ;   in Loop: Header=BB112_20 Depth=1
	s_or_b32 exec_lo, exec_lo, s8
	v_and_b32_e32 v25, 15, v0
	s_delay_alu instid0(VALU_DEP_2) | instskip(SKIP_1) | instid1(VALU_DEP_3)
	v_mov_b32_dpp v26, v24 row_shr:1 row_mask:0xf bank_mask:0xf
	v_and_b32_e32 v27, 16, v0
	v_cmp_eq_u32_e64 s8, 0, v25
	v_cmp_lt_u32_e64 s9, 1, v25
	s_delay_alu instid0(VALU_DEP_3) | instskip(NEXT) | instid1(VALU_DEP_3)
	v_cmp_eq_u32_e64 s12, 0, v27
	v_cndmask_b32_e64 v26, v26, 0, s8
	s_delay_alu instid0(VALU_DEP_1) | instskip(NEXT) | instid1(VALU_DEP_1)
	v_add_nc_u32_e32 v24, v26, v24
	v_mov_b32_dpp v26, v24 row_shr:2 row_mask:0xf bank_mask:0xf
	s_delay_alu instid0(VALU_DEP_1) | instskip(SKIP_2) | instid1(VALU_DEP_3)
	v_cndmask_b32_e64 v26, 0, v26, s9
	v_cmp_lt_u32_e64 s11, 7, v25
	v_cmp_lt_u32_e64 s10, 3, v25
	v_add_nc_u32_e32 v24, v24, v26
	s_delay_alu instid0(VALU_DEP_1) | instskip(NEXT) | instid1(VALU_DEP_1)
	v_mov_b32_dpp v26, v24 row_shr:4 row_mask:0xf bank_mask:0xf
	v_cndmask_b32_e64 v26, 0, v26, s10
	s_delay_alu instid0(VALU_DEP_1) | instskip(NEXT) | instid1(VALU_DEP_1)
	v_add_nc_u32_e32 v24, v24, v26
	v_mov_b32_dpp v26, v24 row_shr:8 row_mask:0xf bank_mask:0xf
	s_delay_alu instid0(VALU_DEP_1) | instskip(SKIP_1) | instid1(VALU_DEP_2)
	v_cndmask_b32_e64 v25, 0, v26, s11
	v_bfe_i32 v26, v0, 4, 1
	v_add_nc_u32_e32 v24, v24, v25
	ds_swizzle_b32 v25, v24 offset:swizzle(BROADCAST,32,15)
	s_wait_dscnt 0x0
	v_and_b32_e32 v25, v26, v25
	s_delay_alu instid0(VALU_DEP_1)
	v_add_nc_u32_e32 v24, v24, v25
	s_and_saveexec_b32 s13, s1
; %bb.1031:                             ;   in Loop: Header=BB112_20 Depth=1
	ds_store_b32 v86, v24
; %bb.1032:                             ;   in Loop: Header=BB112_20 Depth=1
	s_or_b32 exec_lo, exec_lo, s13
	s_wait_dscnt 0x0
	s_barrier_signal -1
	s_barrier_wait -1
	s_and_saveexec_b32 s13, s4
	s_cbranch_execz .LBB112_1034
; %bb.1033:                             ;   in Loop: Header=BB112_20 Depth=1
	ds_load_b32 v25, v87
	s_wait_dscnt 0x0
	v_mov_b32_dpp v27, v25 row_shr:1 row_mask:0xf bank_mask:0xf
	v_and_b32_e32 v26, 3, v0
	s_delay_alu instid0(VALU_DEP_1) | instskip(NEXT) | instid1(VALU_DEP_3)
	v_cmp_ne_u32_e32 vcc_lo, 0, v26
	v_cndmask_b32_e32 v27, 0, v27, vcc_lo
	v_cmp_lt_u32_e32 vcc_lo, 1, v26
	s_delay_alu instid0(VALU_DEP_2) | instskip(NEXT) | instid1(VALU_DEP_1)
	v_add_nc_u32_e32 v25, v27, v25
	v_mov_b32_dpp v27, v25 row_shr:2 row_mask:0xf bank_mask:0xf
	s_delay_alu instid0(VALU_DEP_1) | instskip(NEXT) | instid1(VALU_DEP_1)
	v_cndmask_b32_e32 v26, 0, v27, vcc_lo
	v_add_nc_u32_e32 v25, v25, v26
	ds_store_b32 v87, v25
.LBB112_1034:                           ;   in Loop: Header=BB112_20 Depth=1
	s_or_b32 exec_lo, exec_lo, s13
	v_mov_b32_e32 v25, 0
	s_wait_dscnt 0x0
	s_barrier_signal -1
	s_barrier_wait -1
	s_and_saveexec_b32 s13, s5
; %bb.1035:                             ;   in Loop: Header=BB112_20 Depth=1
	ds_load_b32 v25, v88
; %bb.1036:                             ;   in Loop: Header=BB112_20 Depth=1
	s_or_b32 exec_lo, exec_lo, s13
	v_sub_co_u32 v26, s13, v0, 1
	s_wait_dscnt 0x0
	s_barrier_signal -1
	s_barrier_wait -1
	s_delay_alu instid0(VALU_DEP_1) | instskip(SKIP_1) | instid1(VALU_DEP_1)
	v_cmp_gt_i32_e32 vcc_lo, 0, v26
	v_cndmask_b32_e32 v26, v26, v0, vcc_lo
	v_dual_add_nc_u32 v24, v25, v24 :: v_dual_lshlrev_b32 v96, 2, v26
	ds_bpermute_b32 v24, v96, v24
	s_and_saveexec_b32 s14, s0
	s_cbranch_execz .LBB112_1038
; %bb.1037:                             ;   in Loop: Header=BB112_20 Depth=1
	s_wait_dscnt 0x0
	v_cndmask_b32_e64 v24, v24, v25, s13
	s_delay_alu instid0(VALU_DEP_1)
	v_add_nc_u32_e32 v24, s55, v24
	ds_store_b32 v66, v24
.LBB112_1038:                           ;   in Loop: Header=BB112_20 Depth=1
	s_or_b32 exec_lo, exec_lo, s14
	s_load_b64 s[14:15], s[52:53], 0x0
	v_dual_lshlrev_b32 v26, 3, v0 :: v_dual_bitop2_b32 v28, 7, v0 bitop3:0x40
	v_dual_mov_b32 v27, v1 :: v_dual_bitop2_b32 v97, v0, v6 bitop3:0x54
	s_wait_dscnt 0x0
	v_add_nc_u64_e32 v[24:25], v[22:23], v[0:1]
	v_mov_b32_e32 v121, 0
	s_mov_b32 s58, s57
	v_add_nc_u64_e32 v[26:27], v[20:21], v[26:27]
	v_dual_add_nc_u32 v98, 32, v97 :: v_dual_add_nc_u32 v99, 64, v97
	v_add_nc_u32_e32 v100, 0x60, v97
	v_add_nc_u32_e32 v101, 0x80, v97
	;; [unrolled: 1-line block ×9, first 2 shown]
	s_wait_kmcnt 0x0
	s_cmp_lt_u32 s51, s14
	v_add_nc_u32_e32 v109, 0x180, v97
	s_cselect_b32 s34, 12, 18
	s_cmp_lt_u32 s42, s15
	s_mov_b32 s15, s35
	s_cselect_b32 s14, 14, 20
	v_add_nc_u32_e32 v110, 0x1a0, v97
	s_add_nc_u64 s[14:15], s[52:53], s[14:15]
	v_add_nc_u32_e32 v111, 0x1c0, v97
	s_load_u16 s16, s[14:15], 0x0
	s_wait_xcnt 0x0
	s_add_nc_u64 s[14:15], s[52:53], s[34:35]
	v_add_nc_u32_e32 v112, 0x1e0, v97
	s_load_u16 s17, s[14:15], 0x0
	s_wait_xcnt 0x0
	v_cmp_eq_u32_e64 s14, 0, v28
	v_cmp_lt_u32_e64 s15, 1, v28
	v_add_nc_u32_e32 v113, 0x200, v97
	s_mov_b32 s34, s55
                                        ; implicit-def: $vgpr30_vgpr31
                                        ; implicit-def: $vgpr32_vgpr33
                                        ; implicit-def: $vgpr34_vgpr35
                                        ; implicit-def: $vgpr36_vgpr37
                                        ; implicit-def: $vgpr38_vgpr39
                                        ; implicit-def: $vgpr40_vgpr41
                                        ; implicit-def: $vgpr42_vgpr43
                                        ; implicit-def: $vgpr44_vgpr45
                                        ; implicit-def: $vgpr46_vgpr47
                                        ; implicit-def: $vgpr48_vgpr49
                                        ; implicit-def: $vgpr50_vgpr51
                                        ; implicit-def: $vgpr52_vgpr53
                                        ; implicit-def: $vgpr54_vgpr55
                                        ; implicit-def: $vgpr56_vgpr57
                                        ; implicit-def: $vgpr58_vgpr59
                                        ; implicit-def: $vgpr60_vgpr61
                                        ; implicit-def: $vgpr115
                                        ; implicit-def: $vgpr116
                                        ; implicit-def: $vgpr117
                                        ; implicit-def: $vgpr118
                                        ; implicit-def: $vgpr119
                                        ; implicit-def: $vgpr120
                                        ; implicit-def: $vgpr122
                                        ; implicit-def: $vgpr123
                                        ; implicit-def: $vgpr124
                                        ; implicit-def: $vgpr125
                                        ; implicit-def: $vgpr126
                                        ; implicit-def: $vgpr127
                                        ; implicit-def: $vgpr128
                                        ; implicit-def: $vgpr129
                                        ; implicit-def: $vgpr130
                                        ; implicit-def: $vgpr131
                                        ; implicit-def: $vgpr132
                                        ; implicit-def: $vgpr133
                                        ; implicit-def: $vgpr134
	s_wait_kmcnt 0x0
	v_mad_u32_u24 v29, v89, s16, v91
	v_cmp_lt_u32_e64 s16, 3, v28
	s_delay_alu instid0(VALU_DEP_2) | instskip(NEXT) | instid1(VALU_DEP_1)
	v_mad_u32 v28, v29, s17, v2
	v_lshrrev_b32_e32 v28, 3, v28
	s_delay_alu instid0(VALU_DEP_1)
	v_and_b32_e32 v114, 0x1ffffffc, v28
                                        ; implicit-def: $vgpr28_vgpr29
	s_branch .LBB112_1040
.LBB112_1039:                           ;   in Loop: Header=BB112_1040 Depth=2
	s_or_b32 exec_lo, exec_lo, s17
	s_addk_co_i32 s58, 0xef00
	s_cmp_lt_u32 s59, s54
	s_mov_b32 s34, s59
	s_cbranch_scc0 .LBB112_18
.LBB112_1040:                           ;   Parent Loop BB112_20 Depth=1
                                        ; =>  This Inner Loop Header: Depth=2
	s_add_co_i32 s59, s34, 0x1100
	s_delay_alu instid0(SALU_CYCLE_1)
	s_cmp_gt_u32 s59, s54
	s_cbranch_scc1 .LBB112_1042
; %bb.1041:                             ;   in Loop: Header=BB112_1040 Depth=2
	v_add_nc_u64_e32 v[62:63], s[34:35], v[24:25]
	s_mov_b32 s17, -1
	s_clause 0xf
	global_load_u8 v136, v[62:63], off offset:480
	global_load_u8 v65, v[62:63], off offset:448
	;; [unrolled: 1-line block ×15, first 2 shown]
	global_load_u8 v147, v[62:63], off
	s_movk_i32 s18, 0x1100
	s_cbranch_execz .LBB112_1043
	s_branch .LBB112_1062
.LBB112_1042:                           ;   in Loop: Header=BB112_1040 Depth=2
	s_mov_b32 s17, 0
                                        ; implicit-def: $vgpr147
                                        ; implicit-def: $vgpr151
                                        ; implicit-def: $vgpr148
                                        ; implicit-def: $vgpr150
                                        ; implicit-def: $vgpr142
                                        ; implicit-def: $vgpr144
                                        ; implicit-def: $vgpr143
                                        ; implicit-def: $vgpr145
                                        ; implicit-def: $vgpr138
                                        ; implicit-def: $vgpr140
                                        ; implicit-def: $vgpr139
                                        ; implicit-def: $vgpr141
                                        ; implicit-def: $vgpr64
                                        ; implicit-def: $vgpr135
                                        ; implicit-def: $vgpr65
                                        ; implicit-def: $vgpr136
                                        ; implicit-def: $vgpr121
	s_movk_i32 s18, 0x1100
.LBB112_1043:                           ;   in Loop: Header=BB112_1040 Depth=2
	s_wait_xcnt 0x0
	v_add_nc_u64_e32 v[62:63], s[34:35], v[24:25]
	s_wait_loadcnt 0x0
	v_dual_mov_b32 v148, 0 :: v_dual_mov_b32 v147, 0
	v_dual_mov_b32 v150, 0 :: v_dual_mov_b32 v142, 0
	v_dual_mov_b32 v144, 0 :: v_dual_mov_b32 v143, 0
	v_dual_mov_b32 v145, 0 :: v_dual_mov_b32 v138, 0
	v_dual_mov_b32 v140, 0 :: v_dual_mov_b32 v139, 0
	v_dual_mov_b32 v141, 0 :: v_dual_mov_b32 v64, 0
	v_dual_mov_b32 v135, 0 :: v_dual_mov_b32 v65, 0
	v_dual_mov_b32 v136, 0 :: v_dual_mov_b32 v121, 0
	s_mov_b32 s17, exec_lo
	v_cmpx_gt_u32_e64 s58, v97
	s_cbranch_execz .LBB112_1045
; %bb.1044:                             ;   in Loop: Header=BB112_1040 Depth=2
	global_load_u8 v147, v[62:63], off
	v_dual_mov_b32 v150, 0 :: v_dual_mov_b32 v142, 0
	v_dual_mov_b32 v144, 0 :: v_dual_mov_b32 v143, 0
	;; [unrolled: 1-line block ×7, first 2 shown]
.LBB112_1045:                           ;   in Loop: Header=BB112_1040 Depth=2
	s_wait_xcnt 0x0
	s_or_b32 exec_lo, exec_lo, s17
	v_mov_b32_e32 v151, v148
	s_mov_b32 s17, exec_lo
	v_cmpx_gt_u32_e64 s58, v98
	s_cbranch_execnz .LBB112_1248
; %bb.1046:                             ;   in Loop: Header=BB112_1040 Depth=2
	s_or_b32 exec_lo, exec_lo, s17
	s_delay_alu instid0(SALU_CYCLE_1)
	s_mov_b32 s17, exec_lo
	v_cmpx_gt_u32_e64 s58, v99
	s_cbranch_execnz .LBB112_1249
.LBB112_1047:                           ;   in Loop: Header=BB112_1040 Depth=2
	s_or_b32 exec_lo, exec_lo, s17
	s_delay_alu instid0(SALU_CYCLE_1)
	s_mov_b32 s17, exec_lo
	v_cmpx_gt_u32_e64 s58, v100
	s_cbranch_execnz .LBB112_1250
.LBB112_1048:                           ;   in Loop: Header=BB112_1040 Depth=2
	s_or_b32 exec_lo, exec_lo, s17
	s_delay_alu instid0(SALU_CYCLE_1)
	s_mov_b32 s17, exec_lo
	v_cmpx_gt_u32_e64 s58, v101
	s_cbranch_execnz .LBB112_1251
.LBB112_1049:                           ;   in Loop: Header=BB112_1040 Depth=2
	s_or_b32 exec_lo, exec_lo, s17
	s_delay_alu instid0(SALU_CYCLE_1)
	s_mov_b32 s17, exec_lo
	v_cmpx_gt_u32_e64 s58, v102
	s_cbranch_execnz .LBB112_1252
.LBB112_1050:                           ;   in Loop: Header=BB112_1040 Depth=2
	s_or_b32 exec_lo, exec_lo, s17
	s_delay_alu instid0(SALU_CYCLE_1)
	s_mov_b32 s17, exec_lo
	v_cmpx_gt_u32_e64 s58, v103
	s_cbranch_execnz .LBB112_1253
.LBB112_1051:                           ;   in Loop: Header=BB112_1040 Depth=2
	s_or_b32 exec_lo, exec_lo, s17
	s_delay_alu instid0(SALU_CYCLE_1)
	s_mov_b32 s17, exec_lo
	v_cmpx_gt_u32_e64 s58, v104
	s_cbranch_execnz .LBB112_1254
.LBB112_1052:                           ;   in Loop: Header=BB112_1040 Depth=2
	s_or_b32 exec_lo, exec_lo, s17
	s_delay_alu instid0(SALU_CYCLE_1)
	s_mov_b32 s17, exec_lo
	v_cmpx_gt_u32_e64 s58, v105
	s_cbranch_execnz .LBB112_1255
.LBB112_1053:                           ;   in Loop: Header=BB112_1040 Depth=2
	s_or_b32 exec_lo, exec_lo, s17
	s_delay_alu instid0(SALU_CYCLE_1)
	s_mov_b32 s17, exec_lo
	v_cmpx_gt_u32_e64 s58, v106
	s_cbranch_execnz .LBB112_1256
.LBB112_1054:                           ;   in Loop: Header=BB112_1040 Depth=2
	s_or_b32 exec_lo, exec_lo, s17
	s_delay_alu instid0(SALU_CYCLE_1)
	s_mov_b32 s17, exec_lo
	v_cmpx_gt_u32_e64 s58, v107
	s_cbranch_execnz .LBB112_1257
.LBB112_1055:                           ;   in Loop: Header=BB112_1040 Depth=2
	s_or_b32 exec_lo, exec_lo, s17
	s_delay_alu instid0(SALU_CYCLE_1)
	s_mov_b32 s17, exec_lo
	v_cmpx_gt_u32_e64 s58, v108
	s_cbranch_execnz .LBB112_1258
.LBB112_1056:                           ;   in Loop: Header=BB112_1040 Depth=2
	s_or_b32 exec_lo, exec_lo, s17
	s_delay_alu instid0(SALU_CYCLE_1)
	s_mov_b32 s17, exec_lo
	v_cmpx_gt_u32_e64 s58, v109
	s_cbranch_execnz .LBB112_1259
.LBB112_1057:                           ;   in Loop: Header=BB112_1040 Depth=2
	s_or_b32 exec_lo, exec_lo, s17
	s_delay_alu instid0(SALU_CYCLE_1)
	s_mov_b32 s17, exec_lo
	v_cmpx_gt_u32_e64 s58, v110
	s_cbranch_execnz .LBB112_1260
.LBB112_1058:                           ;   in Loop: Header=BB112_1040 Depth=2
	s_or_b32 exec_lo, exec_lo, s17
	s_delay_alu instid0(SALU_CYCLE_1)
	s_mov_b32 s17, exec_lo
	v_cmpx_gt_u32_e64 s58, v111
	s_cbranch_execnz .LBB112_1261
.LBB112_1059:                           ;   in Loop: Header=BB112_1040 Depth=2
	s_or_b32 exec_lo, exec_lo, s17
	s_delay_alu instid0(SALU_CYCLE_1)
	s_mov_b32 s17, exec_lo
	v_cmpx_gt_u32_e64 s58, v112
	s_cbranch_execz .LBB112_1061
.LBB112_1060:                           ;   in Loop: Header=BB112_1040 Depth=2
	global_load_u8 v136, v[62:63], off offset:480
.LBB112_1061:                           ;   in Loop: Header=BB112_1040 Depth=2
	s_wait_xcnt 0x0
	s_or_b32 exec_lo, exec_lo, s17
	v_cmp_gt_u32_e64 s17, s58, v113
	s_sub_co_i32 s18, s54, s34
.LBB112_1062:                           ;   in Loop: Header=BB112_1040 Depth=2
	v_mov_b32_e32 v137, s58
	s_wait_xcnt 0x0
	s_and_saveexec_b32 s19, s17
	s_cbranch_execz .LBB112_1064
; %bb.1063:                             ;   in Loop: Header=BB112_1040 Depth=2
	v_add_nc_u64_e32 v[62:63], s[34:35], v[24:25]
	v_mov_b32_e32 v137, s18
	global_load_u8 v121, v[62:63], off offset:512
.LBB112_1064:                           ;   in Loop: Header=BB112_1040 Depth=2
	s_wait_xcnt 0x0
	s_or_b32 exec_lo, exec_lo, s19
	s_wait_loadcnt 0x0
	v_bitop3_b16 v62, v147, 0xff, v147 bitop3:0xc
	ds_store_2addr_b32 v90, v1, v1 offset0:136 offset1:137
	ds_store_2addr_b32 v90, v1, v1 offset0:138 offset1:139
	ds_store_b32 v90, v1 offset:560
	s_wait_dscnt 0x0
	s_barrier_signal -1
	s_barrier_wait -1
	v_and_b32_e32 v62, 0xffff, v62
	; wave barrier
	s_delay_alu instid0(VALU_DEP_1) | instskip(NEXT) | instid1(VALU_DEP_1)
	v_lshrrev_b32_e32 v62, s49, v62
	v_and_b32_e32 v149, s48, v62
	s_delay_alu instid0(VALU_DEP_1) | instskip(SKIP_1) | instid1(VALU_DEP_1)
	v_lshlrev_b32_e32 v146, 30, v149
	v_bitop3_b32 v63, v62, 1, s48 bitop3:0x80
	v_add_co_u32 v62, s17, v63, -1
	s_delay_alu instid0(VALU_DEP_1) | instskip(NEXT) | instid1(VALU_DEP_4)
	v_cndmask_b32_e64 v63, 0, 1, s17
	v_cmp_gt_i32_e64 s17, 0, v146
	s_delay_alu instid0(VALU_DEP_2) | instskip(SKIP_2) | instid1(VALU_DEP_2)
	v_cmp_ne_u32_e32 vcc_lo, 0, v63
	v_not_b32_e32 v63, v146
	v_bitop3_b32 v62, vcc_lo, exec_lo, v62 bitop3:0x48
	v_dual_ashrrev_i32 v63, 31, v63 :: v_dual_lshlrev_b32 v152, 29, v149
	v_dual_lshlrev_b32 v153, 28, v149 :: v_dual_lshlrev_b32 v154, 27, v149
	v_lshlrev_b32_e32 v155, 26, v149
	s_delay_alu instid0(VALU_DEP_3)
	v_not_b32_e32 v146, v152
	v_lshlrev_b32_e32 v156, 25, v149
	v_cmp_gt_i32_e64 s18, 0, v152
	v_cmp_gt_i32_e64 s19, 0, v153
	v_not_b32_e32 v152, v153
	v_not_b32_e32 v153, v154
	v_ashrrev_i32_e32 v146, 31, v146
	v_cmp_gt_i32_e64 s20, 0, v154
	v_cmp_gt_i32_e64 s21, 0, v155
	v_not_b32_e32 v154, v155
	v_not_b32_e32 v155, v156
	v_dual_ashrrev_i32 v152, 31, v152 :: v_dual_ashrrev_i32 v153, 31, v153
	s_delay_alu instid0(VALU_DEP_3) | instskip(NEXT) | instid1(VALU_DEP_3)
	v_dual_ashrrev_i32 v154, 31, v154 :: v_dual_bitop2_b32 v63, s17, v63 bitop3:0x14
	v_dual_ashrrev_i32 v155, 31, v155 :: v_dual_bitop2_b32 v146, s18, v146 bitop3:0x14
	v_cmp_gt_i32_e64 s22, 0, v156
	s_delay_alu instid0(VALU_DEP_4) | instskip(SKIP_1) | instid1(VALU_DEP_4)
	v_xor_b32_e32 v152, s19, v152
	v_xor_b32_e32 v153, s20, v153
	v_bitop3_b32 v62, v62, v146, v63 bitop3:0x80
	v_xor_b32_e32 v63, s21, v154
	v_xor_b32_e32 v146, s22, v155
	s_delay_alu instid0(VALU_DEP_3) | instskip(NEXT) | instid1(VALU_DEP_1)
	v_bitop3_b32 v62, v62, v153, v152 bitop3:0x80
	v_bitop3_b32 v62, v62, v146, v63 bitop3:0x80
	v_mul_u32_u24_e32 v63, 36, v149
	s_delay_alu instid0(VALU_DEP_2) | instskip(SKIP_1) | instid1(VALU_DEP_3)
	v_mbcnt_lo_u32_b32 v146, v62, 0
	v_cmp_ne_u32_e64 s17, 0, v62
	v_add_nc_u32_e32 v149, v114, v63
	s_delay_alu instid0(VALU_DEP_3) | instskip(SKIP_1) | instid1(SALU_CYCLE_1)
	v_cmp_eq_u32_e32 vcc_lo, 0, v146
	s_and_b32 s18, s17, vcc_lo
	s_and_saveexec_b32 s17, s18
; %bb.1065:                             ;   in Loop: Header=BB112_1040 Depth=2
	v_bcnt_u32_b32 v62, v62, 0
	ds_store_b32 v149, v62 offset:544
; %bb.1066:                             ;   in Loop: Header=BB112_1040 Depth=2
	s_or_b32 exec_lo, exec_lo, s17
	v_xor_b32_e32 v62, -1, v151
	v_xor_b32_e32 v63, -1, v150
	; wave barrier
	s_delay_alu instid0(VALU_DEP_2) | instskip(NEXT) | instid1(VALU_DEP_2)
	v_lshlrev_b16 v62, 8, v62
	v_lshlrev_b16 v63, 8, v63
	s_delay_alu instid0(VALU_DEP_2) | instskip(NEXT) | instid1(VALU_DEP_2)
	v_bitop3_b16 v147, v147, v62, 0xff bitop3:0xce
	v_bitop3_b16 v62, v148, v63, 0xff bitop3:0xce
	s_delay_alu instid0(VALU_DEP_2) | instskip(NEXT) | instid1(VALU_DEP_2)
	v_and_b32_e32 v63, 0xffff, v147
	v_lshlrev_b32_e32 v62, 16, v62
	s_delay_alu instid0(VALU_DEP_1) | instskip(NEXT) | instid1(VALU_DEP_1)
	v_or_b32_e32 v148, v63, v62
	v_bfe_u32 v62, v148, 8, 8
	s_delay_alu instid0(VALU_DEP_1) | instskip(NEXT) | instid1(VALU_DEP_1)
	v_lshrrev_b32_e32 v62, s49, v62
	v_bitop3_b32 v63, v62, 1, s48 bitop3:0x80
	v_and_b32_e32 v152, s48, v62
	s_delay_alu instid0(VALU_DEP_2) | instskip(NEXT) | instid1(VALU_DEP_1)
	v_add_co_u32 v62, s17, v63, -1
	v_cndmask_b32_e64 v63, 0, 1, s17
	s_delay_alu instid0(VALU_DEP_3) | instskip(NEXT) | instid1(VALU_DEP_2)
	v_lshlrev_b32_e32 v150, 30, v152
	v_cmp_ne_u32_e32 vcc_lo, 0, v63
	s_delay_alu instid0(VALU_DEP_2) | instskip(SKIP_2) | instid1(VALU_DEP_3)
	v_not_b32_e32 v63, v150
	v_cmp_gt_i32_e64 s17, 0, v150
	v_bitop3_b32 v62, vcc_lo, exec_lo, v62 bitop3:0x48
	v_dual_ashrrev_i32 v63, 31, v63 :: v_dual_lshlrev_b32 v151, 29, v152
	v_dual_lshlrev_b32 v153, 28, v152 :: v_dual_lshlrev_b32 v154, 27, v152
	v_lshlrev_b32_e32 v155, 26, v152
	s_delay_alu instid0(VALU_DEP_3)
	v_not_b32_e32 v150, v151
	v_lshlrev_b32_e32 v156, 25, v152
	v_cmp_gt_i32_e64 s18, 0, v151
	v_cmp_gt_i32_e64 s19, 0, v153
	v_not_b32_e32 v151, v153
	v_ashrrev_i32_e32 v150, 31, v150
	v_cmp_gt_i32_e64 s20, 0, v154
	v_not_b32_e32 v153, v154
	v_cmp_gt_i32_e64 s21, 0, v155
	v_not_b32_e32 v154, v155
	v_not_b32_e32 v155, v156
	v_xor_b32_e32 v63, s17, v63
	v_dual_ashrrev_i32 v151, 31, v151 :: v_dual_bitop2_b32 v150, s18, v150 bitop3:0x14
	s_delay_alu instid0(VALU_DEP_4) | instskip(NEXT) | instid1(VALU_DEP_4)
	v_dual_ashrrev_i32 v153, 31, v153 :: v_dual_ashrrev_i32 v154, 31, v154
	v_ashrrev_i32_e32 v155, 31, v155
	s_delay_alu instid0(VALU_DEP_3)
	v_bitop3_b32 v62, v62, v150, v63 bitop3:0x80
	v_mad_u32_u24 v63, v152, 36, v114
	v_cmp_gt_i32_e64 s22, 0, v156
	v_xor_b32_e32 v151, s19, v151
	v_xor_b32_e32 v154, s21, v154
	ds_load_b32 v150, v63 offset:544
	v_mul_u32_u24_e32 v63, 36, v152
	v_xor_b32_e32 v153, s20, v153
	v_xor_b32_e32 v155, s22, v155
	; wave barrier
	s_delay_alu instid0(VALU_DEP_3) | instskip(NEXT) | instid1(VALU_DEP_3)
	v_add_nc_u32_e32 v152, v114, v63
	v_bitop3_b32 v62, v62, v153, v151 bitop3:0x80
	s_delay_alu instid0(VALU_DEP_1) | instskip(NEXT) | instid1(VALU_DEP_1)
	v_bitop3_b32 v62, v62, v155, v154 bitop3:0x80
	v_mbcnt_lo_u32_b32 v151, v62, 0
	v_cmp_ne_u32_e64 s17, 0, v62
	s_delay_alu instid0(VALU_DEP_2) | instskip(SKIP_1) | instid1(SALU_CYCLE_1)
	v_cmp_eq_u32_e32 vcc_lo, 0, v151
	s_and_b32 s18, s17, vcc_lo
	s_and_saveexec_b32 s17, s18
	s_cbranch_execz .LBB112_1068
; %bb.1067:                             ;   in Loop: Header=BB112_1040 Depth=2
	s_wait_dscnt 0x0
	v_bcnt_u32_b32 v62, v62, v150
	ds_store_b32 v152, v62 offset:544
.LBB112_1068:                           ;   in Loop: Header=BB112_1040 Depth=2
	s_or_b32 exec_lo, exec_lo, s17
	v_bfe_u32 v62, v148, 16, 8
	; wave barrier
	s_delay_alu instid0(VALU_DEP_1) | instskip(NEXT) | instid1(VALU_DEP_1)
	v_lshrrev_b32_e32 v62, s49, v62
	v_and_b32_e32 v155, s48, v62
	s_delay_alu instid0(VALU_DEP_1) | instskip(SKIP_1) | instid1(VALU_DEP_1)
	v_lshlrev_b32_e32 v153, 30, v155
	v_bitop3_b32 v63, v62, 1, s48 bitop3:0x80
	v_add_co_u32 v62, s17, v63, -1
	s_delay_alu instid0(VALU_DEP_1) | instskip(NEXT) | instid1(VALU_DEP_4)
	v_cndmask_b32_e64 v63, 0, 1, s17
	v_cmp_gt_i32_e64 s17, 0, v153
	s_delay_alu instid0(VALU_DEP_2) | instskip(SKIP_2) | instid1(VALU_DEP_2)
	v_cmp_ne_u32_e32 vcc_lo, 0, v63
	v_not_b32_e32 v63, v153
	v_bitop3_b32 v62, vcc_lo, exec_lo, v62 bitop3:0x48
	v_ashrrev_i32_e32 v63, 31, v63
	v_dual_lshlrev_b32 v154, 29, v155 :: v_dual_lshlrev_b32 v156, 28, v155
	v_dual_lshlrev_b32 v157, 27, v155 :: v_dual_lshlrev_b32 v158, 26, v155
	s_delay_alu instid0(VALU_DEP_2)
	v_not_b32_e32 v153, v154
	v_lshlrev_b32_e32 v159, 25, v155
	v_cmp_gt_i32_e64 s18, 0, v154
	v_cmp_gt_i32_e64 s19, 0, v156
	v_not_b32_e32 v154, v156
	v_not_b32_e32 v156, v157
	v_ashrrev_i32_e32 v153, 31, v153
	v_cmp_gt_i32_e64 s20, 0, v157
	v_cmp_gt_i32_e64 s21, 0, v158
	v_not_b32_e32 v157, v158
	v_dual_ashrrev_i32 v154, 31, v154 :: v_dual_ashrrev_i32 v156, 31, v156
	v_xor_b32_e32 v63, s17, v63
	v_not_b32_e32 v158, v159
	v_xor_b32_e32 v153, s18, v153
	s_delay_alu instid0(VALU_DEP_4) | instskip(SKIP_2) | instid1(VALU_DEP_4)
	v_dual_ashrrev_i32 v157, 31, v157 :: v_dual_bitop2_b32 v154, s19, v154 bitop3:0x14
	v_xor_b32_e32 v156, s20, v156
	v_cmp_gt_i32_e32 vcc_lo, 0, v159
	v_bitop3_b32 v62, v62, v153, v63 bitop3:0x80
	v_ashrrev_i32_e32 v63, 31, v158
	v_mad_u32_u24 v153, v155, 36, v114
	v_xor_b32_e32 v157, s21, v157
	s_delay_alu instid0(VALU_DEP_4) | instskip(NEXT) | instid1(VALU_DEP_4)
	v_bitop3_b32 v62, v62, v156, v154 bitop3:0x80
	v_xor_b32_e32 v63, vcc_lo, v63
	ds_load_b32 v153, v153 offset:544
	; wave barrier
	v_bitop3_b32 v62, v62, v63, v157 bitop3:0x80
	v_mul_u32_u24_e32 v63, 36, v155
	s_delay_alu instid0(VALU_DEP_2) | instskip(SKIP_1) | instid1(VALU_DEP_3)
	v_mbcnt_lo_u32_b32 v154, v62, 0
	v_cmp_ne_u32_e64 s17, 0, v62
	v_add_nc_u32_e32 v156, v114, v63
	s_delay_alu instid0(VALU_DEP_3) | instskip(SKIP_1) | instid1(SALU_CYCLE_1)
	v_cmp_eq_u32_e32 vcc_lo, 0, v154
	s_and_b32 s18, s17, vcc_lo
	s_and_saveexec_b32 s17, s18
	s_cbranch_execz .LBB112_1070
; %bb.1069:                             ;   in Loop: Header=BB112_1040 Depth=2
	s_wait_dscnt 0x0
	v_bcnt_u32_b32 v62, v62, v153
	ds_store_b32 v156, v62 offset:544
.LBB112_1070:                           ;   in Loop: Header=BB112_1040 Depth=2
	s_or_b32 exec_lo, exec_lo, s17
	v_lshrrev_b32_e32 v155, 24, v148
	; wave barrier
	s_delay_alu instid0(VALU_DEP_1) | instskip(NEXT) | instid1(VALU_DEP_1)
	v_lshrrev_b32_e32 v62, s49, v155
	v_bitop3_b32 v63, v62, 1, s48 bitop3:0x80
	v_and_b32_e32 v159, s48, v62
	s_delay_alu instid0(VALU_DEP_2) | instskip(NEXT) | instid1(VALU_DEP_1)
	v_add_co_u32 v62, s17, v63, -1
	v_cndmask_b32_e64 v63, 0, 1, s17
	s_delay_alu instid0(VALU_DEP_3) | instskip(SKIP_1) | instid1(VALU_DEP_3)
	v_dual_lshlrev_b32 v157, 30, v159 :: v_dual_lshlrev_b32 v158, 29, v159
	v_dual_lshlrev_b32 v160, 28, v159 :: v_dual_lshlrev_b32 v161, 27, v159
	v_cmp_ne_u32_e32 vcc_lo, 0, v63
	s_delay_alu instid0(VALU_DEP_3)
	v_cmp_gt_i32_e64 s17, 0, v157
	v_not_b32_e32 v63, v157
	v_not_b32_e32 v157, v158
	v_dual_lshlrev_b32 v162, 26, v159 :: v_dual_lshlrev_b32 v163, 25, v159
	v_cmp_gt_i32_e64 s18, 0, v158
	v_cmp_gt_i32_e64 s19, 0, v160
	v_not_b32_e32 v158, v160
	v_not_b32_e32 v160, v161
	v_dual_ashrrev_i32 v63, 31, v63 :: v_dual_ashrrev_i32 v157, 31, v157
	v_cmp_gt_i32_e64 s20, 0, v161
	v_cmp_gt_i32_e64 s21, 0, v162
	v_not_b32_e32 v161, v162
	v_bitop3_b32 v62, vcc_lo, exec_lo, v62 bitop3:0x48
	v_dual_ashrrev_i32 v158, 31, v158 :: v_dual_ashrrev_i32 v160, 31, v160
	v_xor_b32_e32 v63, s17, v63
	v_not_b32_e32 v162, v163
	v_xor_b32_e32 v157, s18, v157
	s_delay_alu instid0(VALU_DEP_4) | instskip(SKIP_2) | instid1(VALU_DEP_4)
	v_dual_ashrrev_i32 v161, 31, v161 :: v_dual_bitop2_b32 v158, s19, v158 bitop3:0x14
	v_xor_b32_e32 v160, s20, v160
	v_cmp_gt_i32_e32 vcc_lo, 0, v163
	v_bitop3_b32 v62, v62, v157, v63 bitop3:0x80
	v_ashrrev_i32_e32 v63, 31, v162
	v_mad_u32_u24 v157, v159, 36, v114
	v_xor_b32_e32 v161, s21, v161
	s_delay_alu instid0(VALU_DEP_4) | instskip(NEXT) | instid1(VALU_DEP_4)
	v_bitop3_b32 v62, v62, v160, v158 bitop3:0x80
	v_xor_b32_e32 v63, vcc_lo, v63
	ds_load_b32 v157, v157 offset:544
	; wave barrier
	v_bitop3_b32 v62, v62, v63, v161 bitop3:0x80
	v_mul_u32_u24_e32 v63, 36, v159
	s_delay_alu instid0(VALU_DEP_2) | instskip(SKIP_1) | instid1(VALU_DEP_3)
	v_mbcnt_lo_u32_b32 v158, v62, 0
	v_cmp_ne_u32_e64 s17, 0, v62
	v_add_nc_u32_e32 v159, v114, v63
	s_delay_alu instid0(VALU_DEP_3) | instskip(SKIP_1) | instid1(SALU_CYCLE_1)
	v_cmp_eq_u32_e32 vcc_lo, 0, v158
	s_and_b32 s18, s17, vcc_lo
	s_and_saveexec_b32 s17, s18
	s_cbranch_execz .LBB112_1072
; %bb.1071:                             ;   in Loop: Header=BB112_1040 Depth=2
	s_wait_dscnt 0x0
	v_bcnt_u32_b32 v62, v62, v157
	ds_store_b32 v159, v62 offset:544
.LBB112_1072:                           ;   in Loop: Header=BB112_1040 Depth=2
	s_or_b32 exec_lo, exec_lo, s17
	v_bitop3_b16 v62, v142, 0xff, v142 bitop3:0xc
	; wave barrier
	s_delay_alu instid0(VALU_DEP_1) | instskip(NEXT) | instid1(VALU_DEP_1)
	v_and_b32_e32 v62, 0xffff, v62
	v_lshrrev_b32_e32 v62, s49, v62
	s_delay_alu instid0(VALU_DEP_1) | instskip(SKIP_1) | instid1(VALU_DEP_2)
	v_bitop3_b32 v63, v62, 1, s48 bitop3:0x80
	v_and_b32_e32 v162, s48, v62
	v_add_co_u32 v62, s17, v63, -1
	s_delay_alu instid0(VALU_DEP_1) | instskip(NEXT) | instid1(VALU_DEP_3)
	v_cndmask_b32_e64 v63, 0, 1, s17
	v_dual_lshlrev_b32 v160, 30, v162 :: v_dual_lshlrev_b32 v161, 29, v162
	s_delay_alu instid0(VALU_DEP_2) | instskip(NEXT) | instid1(VALU_DEP_2)
	v_cmp_ne_u32_e32 vcc_lo, 0, v63
	v_cmp_gt_i32_e64 s17, 0, v160
	v_not_b32_e32 v63, v160
	s_delay_alu instid0(VALU_DEP_4) | instskip(SKIP_2) | instid1(VALU_DEP_3)
	v_not_b32_e32 v160, v161
	v_cmp_gt_i32_e64 s18, 0, v161
	v_bitop3_b32 v62, vcc_lo, exec_lo, v62 bitop3:0x48
	v_dual_ashrrev_i32 v63, 31, v63 :: v_dual_ashrrev_i32 v160, 31, v160
	v_dual_lshlrev_b32 v163, 28, v162 :: v_dual_lshlrev_b32 v164, 27, v162
	v_dual_lshlrev_b32 v165, 26, v162 :: v_dual_lshlrev_b32 v166, 25, v162
	s_delay_alu instid0(VALU_DEP_2) | instskip(SKIP_1) | instid1(VALU_DEP_4)
	v_cmp_gt_i32_e64 s19, 0, v163
	v_not_b32_e32 v161, v163
	v_cmp_gt_i32_e64 s20, 0, v164
	v_not_b32_e32 v163, v164
	;; [unrolled: 2-line block ×3, first 2 shown]
	v_not_b32_e32 v165, v166
	v_xor_b32_e32 v63, s17, v63
	v_dual_ashrrev_i32 v161, 31, v161 :: v_dual_bitop2_b32 v160, s18, v160 bitop3:0x14
	s_delay_alu instid0(VALU_DEP_4) | instskip(NEXT) | instid1(VALU_DEP_4)
	v_dual_ashrrev_i32 v163, 31, v163 :: v_dual_ashrrev_i32 v164, 31, v164
	v_ashrrev_i32_e32 v165, 31, v165
	s_delay_alu instid0(VALU_DEP_3)
	v_bitop3_b32 v62, v62, v160, v63 bitop3:0x80
	v_mad_u32_u24 v63, v162, 36, v114
	v_cmp_gt_i32_e64 s22, 0, v166
	v_xor_b32_e32 v163, s20, v163
	v_xor_b32_e32 v164, s21, v164
	ds_load_b32 v160, v63 offset:544
	v_mul_u32_u24_e32 v63, 36, v162
	v_xor_b32_e32 v161, s19, v161
	v_xor_b32_e32 v165, s22, v165
	; wave barrier
	s_delay_alu instid0(VALU_DEP_3) | instskip(NEXT) | instid1(VALU_DEP_3)
	v_add_nc_u32_e32 v162, v114, v63
	v_bitop3_b32 v62, v62, v163, v161 bitop3:0x80
	s_delay_alu instid0(VALU_DEP_1) | instskip(NEXT) | instid1(VALU_DEP_1)
	v_bitop3_b32 v62, v62, v165, v164 bitop3:0x80
	v_mbcnt_lo_u32_b32 v161, v62, 0
	v_cmp_ne_u32_e64 s17, 0, v62
	s_delay_alu instid0(VALU_DEP_2) | instskip(SKIP_1) | instid1(SALU_CYCLE_1)
	v_cmp_eq_u32_e32 vcc_lo, 0, v161
	s_and_b32 s18, s17, vcc_lo
	s_and_saveexec_b32 s17, s18
	s_cbranch_execz .LBB112_1074
; %bb.1073:                             ;   in Loop: Header=BB112_1040 Depth=2
	s_wait_dscnt 0x0
	v_bcnt_u32_b32 v62, v62, v160
	ds_store_b32 v162, v62 offset:544
.LBB112_1074:                           ;   in Loop: Header=BB112_1040 Depth=2
	s_or_b32 exec_lo, exec_lo, s17
	v_xor_b32_e32 v62, -1, v144
	v_xor_b32_e32 v63, -1, v145
	; wave barrier
	s_delay_alu instid0(VALU_DEP_2) | instskip(NEXT) | instid1(VALU_DEP_2)
	v_lshlrev_b16 v62, 8, v62
	v_lshlrev_b16 v63, 8, v63
	s_delay_alu instid0(VALU_DEP_2) | instskip(NEXT) | instid1(VALU_DEP_2)
	v_bitop3_b16 v142, v142, v62, 0xff bitop3:0xce
	v_bitop3_b16 v62, v143, v63, 0xff bitop3:0xce
	s_delay_alu instid0(VALU_DEP_2) | instskip(NEXT) | instid1(VALU_DEP_2)
	v_and_b32_e32 v63, 0xffff, v142
	v_lshlrev_b32_e32 v62, 16, v62
	s_delay_alu instid0(VALU_DEP_1) | instskip(NEXT) | instid1(VALU_DEP_1)
	v_or_b32_e32 v143, v63, v62
	v_bfe_u32 v62, v143, 8, 8
	s_delay_alu instid0(VALU_DEP_1) | instskip(NEXT) | instid1(VALU_DEP_1)
	v_lshrrev_b32_e32 v62, s49, v62
	v_bitop3_b32 v63, v62, 1, s48 bitop3:0x80
	v_and_b32_e32 v163, s48, v62
	s_delay_alu instid0(VALU_DEP_2) | instskip(NEXT) | instid1(VALU_DEP_1)
	v_add_co_u32 v62, s17, v63, -1
	v_cndmask_b32_e64 v63, 0, 1, s17
	s_delay_alu instid0(VALU_DEP_3) | instskip(NEXT) | instid1(VALU_DEP_2)
	v_lshlrev_b32_e32 v144, 30, v163
	v_cmp_ne_u32_e32 vcc_lo, 0, v63
	s_delay_alu instid0(VALU_DEP_2) | instskip(SKIP_2) | instid1(VALU_DEP_3)
	v_not_b32_e32 v63, v144
	v_cmp_gt_i32_e64 s17, 0, v144
	v_bitop3_b32 v62, vcc_lo, exec_lo, v62 bitop3:0x48
	v_ashrrev_i32_e32 v63, 31, v63
	v_dual_lshlrev_b32 v145, 29, v163 :: v_dual_lshlrev_b32 v164, 28, v163
	v_dual_lshlrev_b32 v165, 27, v163 :: v_dual_lshlrev_b32 v166, 26, v163
	s_delay_alu instid0(VALU_DEP_2)
	v_not_b32_e32 v144, v145
	v_lshlrev_b32_e32 v167, 25, v163
	v_cmp_gt_i32_e64 s18, 0, v145
	v_cmp_gt_i32_e64 s19, 0, v164
	v_not_b32_e32 v145, v164
	v_ashrrev_i32_e32 v144, 31, v144
	v_cmp_gt_i32_e64 s20, 0, v165
	v_not_b32_e32 v164, v165
	v_cmp_gt_i32_e64 s21, 0, v166
	v_not_b32_e32 v165, v166
	v_not_b32_e32 v166, v167
	v_xor_b32_e32 v63, s17, v63
	v_dual_ashrrev_i32 v145, 31, v145 :: v_dual_bitop2_b32 v144, s18, v144 bitop3:0x14
	s_delay_alu instid0(VALU_DEP_4) | instskip(NEXT) | instid1(VALU_DEP_4)
	v_dual_ashrrev_i32 v164, 31, v164 :: v_dual_ashrrev_i32 v165, 31, v165
	v_ashrrev_i32_e32 v166, 31, v166
	s_delay_alu instid0(VALU_DEP_3)
	v_bitop3_b32 v62, v62, v144, v63 bitop3:0x80
	v_mad_u32_u24 v63, v163, 36, v114
	v_cmp_gt_i32_e64 s22, 0, v167
	v_xor_b32_e32 v164, s20, v164
	v_xor_b32_e32 v165, s21, v165
	ds_load_b32 v144, v63 offset:544
	v_mul_u32_u24_e32 v63, 36, v163
	v_xor_b32_e32 v145, s19, v145
	v_xor_b32_e32 v166, s22, v166
	; wave barrier
	s_delay_alu instid0(VALU_DEP_3) | instskip(NEXT) | instid1(VALU_DEP_3)
	v_add_nc_u32_e32 v163, v114, v63
	v_bitop3_b32 v62, v62, v164, v145 bitop3:0x80
	s_delay_alu instid0(VALU_DEP_1) | instskip(NEXT) | instid1(VALU_DEP_1)
	v_bitop3_b32 v62, v62, v166, v165 bitop3:0x80
	v_mbcnt_lo_u32_b32 v145, v62, 0
	v_cmp_ne_u32_e64 s17, 0, v62
	s_delay_alu instid0(VALU_DEP_2) | instskip(SKIP_1) | instid1(SALU_CYCLE_1)
	v_cmp_eq_u32_e32 vcc_lo, 0, v145
	s_and_b32 s18, s17, vcc_lo
	s_and_saveexec_b32 s17, s18
	s_cbranch_execz .LBB112_1076
; %bb.1075:                             ;   in Loop: Header=BB112_1040 Depth=2
	s_wait_dscnt 0x0
	v_bcnt_u32_b32 v62, v62, v144
	ds_store_b32 v163, v62 offset:544
.LBB112_1076:                           ;   in Loop: Header=BB112_1040 Depth=2
	s_or_b32 exec_lo, exec_lo, s17
	v_bfe_u32 v62, v143, 16, 8
	; wave barrier
	s_delay_alu instid0(VALU_DEP_1) | instskip(NEXT) | instid1(VALU_DEP_1)
	v_lshrrev_b32_e32 v62, s49, v62
	v_bitop3_b32 v63, v62, 1, s48 bitop3:0x80
	v_and_b32_e32 v166, s48, v62
	s_delay_alu instid0(VALU_DEP_2) | instskip(NEXT) | instid1(VALU_DEP_1)
	v_add_co_u32 v62, s17, v63, -1
	v_cndmask_b32_e64 v63, 0, 1, s17
	s_delay_alu instid0(VALU_DEP_3) | instskip(NEXT) | instid1(VALU_DEP_2)
	v_dual_lshlrev_b32 v164, 30, v166 :: v_dual_lshlrev_b32 v165, 29, v166
	v_cmp_ne_u32_e32 vcc_lo, 0, v63
	s_delay_alu instid0(VALU_DEP_2) | instskip(SKIP_1) | instid1(VALU_DEP_4)
	v_cmp_gt_i32_e64 s17, 0, v164
	v_not_b32_e32 v63, v164
	v_not_b32_e32 v164, v165
	v_cmp_gt_i32_e64 s18, 0, v165
	v_bitop3_b32 v62, vcc_lo, exec_lo, v62 bitop3:0x48
	s_delay_alu instid0(VALU_DEP_3) | instskip(SKIP_2) | instid1(VALU_DEP_2)
	v_dual_ashrrev_i32 v63, 31, v63 :: v_dual_ashrrev_i32 v164, 31, v164
	v_dual_lshlrev_b32 v167, 28, v166 :: v_dual_lshlrev_b32 v168, 27, v166
	v_dual_lshlrev_b32 v169, 26, v166 :: v_dual_lshlrev_b32 v170, 25, v166
	v_cmp_gt_i32_e64 s19, 0, v167
	v_not_b32_e32 v165, v167
	s_delay_alu instid0(VALU_DEP_4) | instskip(SKIP_3) | instid1(VALU_DEP_4)
	v_not_b32_e32 v167, v168
	v_cmp_gt_i32_e64 s20, 0, v168
	v_cmp_gt_i32_e64 s21, 0, v169
	v_not_b32_e32 v168, v169
	v_dual_ashrrev_i32 v165, 31, v165 :: v_dual_ashrrev_i32 v167, 31, v167
	v_xor_b32_e32 v63, s17, v63
	v_not_b32_e32 v169, v170
	v_xor_b32_e32 v164, s18, v164
	s_delay_alu instid0(VALU_DEP_4) | instskip(SKIP_2) | instid1(VALU_DEP_4)
	v_dual_ashrrev_i32 v168, 31, v168 :: v_dual_bitop2_b32 v165, s19, v165 bitop3:0x14
	v_xor_b32_e32 v167, s20, v167
	v_cmp_gt_i32_e32 vcc_lo, 0, v170
	v_bitop3_b32 v62, v62, v164, v63 bitop3:0x80
	v_ashrrev_i32_e32 v63, 31, v169
	v_mad_u32_u24 v164, v166, 36, v114
	v_xor_b32_e32 v168, s21, v168
	s_delay_alu instid0(VALU_DEP_4) | instskip(NEXT) | instid1(VALU_DEP_4)
	v_bitop3_b32 v62, v62, v167, v165 bitop3:0x80
	v_xor_b32_e32 v63, vcc_lo, v63
	ds_load_b32 v164, v164 offset:544
	; wave barrier
	v_bitop3_b32 v62, v62, v63, v168 bitop3:0x80
	v_mul_u32_u24_e32 v63, 36, v166
	s_delay_alu instid0(VALU_DEP_2) | instskip(SKIP_1) | instid1(VALU_DEP_3)
	v_mbcnt_lo_u32_b32 v165, v62, 0
	v_cmp_ne_u32_e64 s17, 0, v62
	v_add_nc_u32_e32 v167, v114, v63
	s_delay_alu instid0(VALU_DEP_3) | instskip(SKIP_1) | instid1(SALU_CYCLE_1)
	v_cmp_eq_u32_e32 vcc_lo, 0, v165
	s_and_b32 s18, s17, vcc_lo
	s_and_saveexec_b32 s17, s18
	s_cbranch_execz .LBB112_1078
; %bb.1077:                             ;   in Loop: Header=BB112_1040 Depth=2
	s_wait_dscnt 0x0
	v_bcnt_u32_b32 v62, v62, v164
	ds_store_b32 v167, v62 offset:544
.LBB112_1078:                           ;   in Loop: Header=BB112_1040 Depth=2
	s_or_b32 exec_lo, exec_lo, s17
	v_lshrrev_b32_e32 v166, 24, v143
	; wave barrier
	s_delay_alu instid0(VALU_DEP_1) | instskip(NEXT) | instid1(VALU_DEP_1)
	v_lshrrev_b32_e32 v62, s49, v166
	v_bitop3_b32 v63, v62, 1, s48 bitop3:0x80
	v_and_b32_e32 v170, s48, v62
	s_delay_alu instid0(VALU_DEP_2) | instskip(NEXT) | instid1(VALU_DEP_1)
	v_add_co_u32 v62, s17, v63, -1
	v_cndmask_b32_e64 v63, 0, 1, s17
	s_delay_alu instid0(VALU_DEP_3) | instskip(SKIP_1) | instid1(VALU_DEP_3)
	v_dual_lshlrev_b32 v168, 30, v170 :: v_dual_lshlrev_b32 v169, 29, v170
	v_dual_lshlrev_b32 v171, 28, v170 :: v_dual_lshlrev_b32 v172, 27, v170
	v_cmp_ne_u32_e32 vcc_lo, 0, v63
	s_delay_alu instid0(VALU_DEP_3)
	v_cmp_gt_i32_e64 s17, 0, v168
	v_not_b32_e32 v63, v168
	v_not_b32_e32 v168, v169
	v_dual_lshlrev_b32 v173, 26, v170 :: v_dual_lshlrev_b32 v174, 25, v170
	v_cmp_gt_i32_e64 s18, 0, v169
	v_cmp_gt_i32_e64 s19, 0, v171
	v_not_b32_e32 v169, v171
	v_not_b32_e32 v171, v172
	v_dual_ashrrev_i32 v63, 31, v63 :: v_dual_ashrrev_i32 v168, 31, v168
	v_cmp_gt_i32_e64 s20, 0, v172
	v_cmp_gt_i32_e64 s21, 0, v173
	v_not_b32_e32 v172, v173
	v_bitop3_b32 v62, vcc_lo, exec_lo, v62 bitop3:0x48
	v_dual_ashrrev_i32 v169, 31, v169 :: v_dual_ashrrev_i32 v171, 31, v171
	v_xor_b32_e32 v168, s18, v168
	s_delay_alu instid0(VALU_DEP_4) | instskip(SKIP_1) | instid1(VALU_DEP_4)
	v_dual_ashrrev_i32 v172, 31, v172 :: v_dual_bitop2_b32 v63, s17, v63 bitop3:0x14
	v_not_b32_e32 v173, v174
	v_xor_b32_e32 v169, s19, v169
	v_xor_b32_e32 v171, s20, v171
	s_delay_alu instid0(VALU_DEP_4)
	v_bitop3_b32 v62, v62, v168, v63 bitop3:0x80
	v_cmp_gt_i32_e32 vcc_lo, 0, v174
	v_ashrrev_i32_e32 v63, 31, v173
	v_mad_u32_u24 v168, v170, 36, v114
	v_xor_b32_e32 v172, s21, v172
	v_bitop3_b32 v62, v62, v171, v169 bitop3:0x80
	s_delay_alu instid0(VALU_DEP_4) | instskip(SKIP_3) | instid1(VALU_DEP_2)
	v_xor_b32_e32 v63, vcc_lo, v63
	ds_load_b32 v168, v168 offset:544
	; wave barrier
	v_bitop3_b32 v62, v62, v63, v172 bitop3:0x80
	v_mul_u32_u24_e32 v63, 36, v170
	v_mbcnt_lo_u32_b32 v169, v62, 0
	v_cmp_ne_u32_e64 s17, 0, v62
	s_delay_alu instid0(VALU_DEP_3) | instskip(NEXT) | instid1(VALU_DEP_3)
	v_add_nc_u32_e32 v170, v114, v63
	v_cmp_eq_u32_e32 vcc_lo, 0, v169
	s_and_b32 s18, s17, vcc_lo
	s_delay_alu instid0(SALU_CYCLE_1)
	s_and_saveexec_b32 s17, s18
	s_cbranch_execz .LBB112_1080
; %bb.1079:                             ;   in Loop: Header=BB112_1040 Depth=2
	s_wait_dscnt 0x0
	v_bcnt_u32_b32 v62, v62, v168
	ds_store_b32 v170, v62 offset:544
.LBB112_1080:                           ;   in Loop: Header=BB112_1040 Depth=2
	s_or_b32 exec_lo, exec_lo, s17
	v_bitop3_b16 v62, v138, 0xff, v138 bitop3:0xc
	; wave barrier
	s_delay_alu instid0(VALU_DEP_1) | instskip(NEXT) | instid1(VALU_DEP_1)
	v_and_b32_e32 v62, 0xffff, v62
	v_lshrrev_b32_e32 v62, s49, v62
	s_delay_alu instid0(VALU_DEP_1) | instskip(NEXT) | instid1(VALU_DEP_1)
	v_and_b32_e32 v173, s48, v62
	v_lshlrev_b32_e32 v171, 30, v173
	v_bitop3_b32 v63, v62, 1, s48 bitop3:0x80
	s_delay_alu instid0(VALU_DEP_1) | instskip(NEXT) | instid1(VALU_DEP_1)
	v_add_co_u32 v62, s17, v63, -1
	v_cndmask_b32_e64 v63, 0, 1, s17
	s_delay_alu instid0(VALU_DEP_4) | instskip(NEXT) | instid1(VALU_DEP_2)
	v_cmp_gt_i32_e64 s17, 0, v171
	v_cmp_ne_u32_e32 vcc_lo, 0, v63
	v_not_b32_e32 v63, v171
	v_bitop3_b32 v62, vcc_lo, exec_lo, v62 bitop3:0x48
	s_delay_alu instid0(VALU_DEP_2) | instskip(SKIP_2) | instid1(VALU_DEP_3)
	v_dual_ashrrev_i32 v63, 31, v63 :: v_dual_lshlrev_b32 v172, 29, v173
	v_dual_lshlrev_b32 v174, 28, v173 :: v_dual_lshlrev_b32 v175, 27, v173
	v_lshlrev_b32_e32 v176, 26, v173
	v_not_b32_e32 v171, v172
	v_lshlrev_b32_e32 v177, 25, v173
	v_cmp_gt_i32_e64 s18, 0, v172
	v_cmp_gt_i32_e64 s19, 0, v174
	v_not_b32_e32 v172, v174
	v_ashrrev_i32_e32 v171, 31, v171
	v_cmp_gt_i32_e64 s20, 0, v175
	v_not_b32_e32 v174, v175
	v_cmp_gt_i32_e64 s21, 0, v176
	v_not_b32_e32 v175, v176
	v_not_b32_e32 v176, v177
	v_xor_b32_e32 v63, s17, v63
	v_dual_ashrrev_i32 v172, 31, v172 :: v_dual_bitop2_b32 v171, s18, v171 bitop3:0x14
	s_delay_alu instid0(VALU_DEP_3) | instskip(SKIP_1) | instid1(VALU_DEP_3)
	v_dual_ashrrev_i32 v174, 31, v174 :: v_dual_ashrrev_i32 v176, 31, v176
	v_cmp_gt_i32_e64 s22, 0, v177
	v_bitop3_b32 v62, v62, v171, v63 bitop3:0x80
	v_mad_u32_u24 v63, v173, 36, v114
	v_dual_ashrrev_i32 v175, 31, v175 :: v_dual_bitop2_b32 v172, s19, v172 bitop3:0x14
	s_delay_alu instid0(VALU_DEP_4) | instskip(SKIP_4) | instid1(VALU_DEP_3)
	v_xor_b32_e32 v176, s22, v176
	ds_load_b32 v171, v63 offset:544
	v_mul_u32_u24_e32 v63, 36, v173
	v_xor_b32_e32 v174, s20, v174
	v_xor_b32_e32 v175, s21, v175
	; wave barrier
	v_add_nc_u32_e32 v173, v114, v63
	s_delay_alu instid0(VALU_DEP_3) | instskip(NEXT) | instid1(VALU_DEP_1)
	v_bitop3_b32 v62, v62, v174, v172 bitop3:0x80
	v_bitop3_b32 v62, v62, v176, v175 bitop3:0x80
	s_delay_alu instid0(VALU_DEP_1) | instskip(SKIP_1) | instid1(VALU_DEP_2)
	v_mbcnt_lo_u32_b32 v172, v62, 0
	v_cmp_ne_u32_e64 s17, 0, v62
	v_cmp_eq_u32_e32 vcc_lo, 0, v172
	s_and_b32 s18, s17, vcc_lo
	s_delay_alu instid0(SALU_CYCLE_1)
	s_and_saveexec_b32 s17, s18
	s_cbranch_execz .LBB112_1082
; %bb.1081:                             ;   in Loop: Header=BB112_1040 Depth=2
	s_wait_dscnt 0x0
	v_bcnt_u32_b32 v62, v62, v171
	ds_store_b32 v173, v62 offset:544
.LBB112_1082:                           ;   in Loop: Header=BB112_1040 Depth=2
	s_or_b32 exec_lo, exec_lo, s17
	v_xor_b32_e32 v62, -1, v140
	v_xor_b32_e32 v63, -1, v141
	; wave barrier
	s_delay_alu instid0(VALU_DEP_2) | instskip(NEXT) | instid1(VALU_DEP_2)
	v_lshlrev_b16 v62, 8, v62
	v_lshlrev_b16 v63, 8, v63
	s_delay_alu instid0(VALU_DEP_2) | instskip(NEXT) | instid1(VALU_DEP_2)
	v_bitop3_b16 v138, v138, v62, 0xff bitop3:0xce
	v_bitop3_b16 v62, v139, v63, 0xff bitop3:0xce
	s_delay_alu instid0(VALU_DEP_2) | instskip(NEXT) | instid1(VALU_DEP_2)
	v_and_b32_e32 v63, 0xffff, v138
	v_lshlrev_b32_e32 v62, 16, v62
	s_delay_alu instid0(VALU_DEP_1) | instskip(NEXT) | instid1(VALU_DEP_1)
	v_or_b32_e32 v139, v63, v62
	v_bfe_u32 v62, v139, 8, 8
	s_delay_alu instid0(VALU_DEP_1) | instskip(NEXT) | instid1(VALU_DEP_1)
	v_lshrrev_b32_e32 v62, s49, v62
	v_bitop3_b32 v63, v62, 1, s48 bitop3:0x80
	v_and_b32_e32 v174, s48, v62
	s_delay_alu instid0(VALU_DEP_2) | instskip(NEXT) | instid1(VALU_DEP_1)
	v_add_co_u32 v62, s17, v63, -1
	v_cndmask_b32_e64 v63, 0, 1, s17
	s_delay_alu instid0(VALU_DEP_3) | instskip(NEXT) | instid1(VALU_DEP_2)
	v_lshlrev_b32_e32 v140, 30, v174
	v_cmp_ne_u32_e32 vcc_lo, 0, v63
	s_delay_alu instid0(VALU_DEP_2) | instskip(SKIP_2) | instid1(VALU_DEP_3)
	v_not_b32_e32 v63, v140
	v_cmp_gt_i32_e64 s17, 0, v140
	v_bitop3_b32 v62, vcc_lo, exec_lo, v62 bitop3:0x48
	v_dual_ashrrev_i32 v63, 31, v63 :: v_dual_lshlrev_b32 v141, 29, v174
	v_dual_lshlrev_b32 v175, 28, v174 :: v_dual_lshlrev_b32 v176, 27, v174
	v_lshlrev_b32_e32 v177, 26, v174
	s_delay_alu instid0(VALU_DEP_3)
	v_not_b32_e32 v140, v141
	v_lshlrev_b32_e32 v178, 25, v174
	v_cmp_gt_i32_e64 s18, 0, v141
	v_cmp_gt_i32_e64 s19, 0, v175
	v_not_b32_e32 v141, v175
	v_ashrrev_i32_e32 v140, 31, v140
	v_cmp_gt_i32_e64 s20, 0, v176
	v_not_b32_e32 v175, v176
	v_cmp_gt_i32_e64 s21, 0, v177
	v_not_b32_e32 v176, v177
	v_not_b32_e32 v177, v178
	v_xor_b32_e32 v63, s17, v63
	v_dual_ashrrev_i32 v141, 31, v141 :: v_dual_bitop2_b32 v140, s18, v140 bitop3:0x14
	s_delay_alu instid0(VALU_DEP_4) | instskip(NEXT) | instid1(VALU_DEP_4)
	v_dual_ashrrev_i32 v175, 31, v175 :: v_dual_ashrrev_i32 v176, 31, v176
	v_ashrrev_i32_e32 v177, 31, v177
	s_delay_alu instid0(VALU_DEP_3)
	v_bitop3_b32 v62, v62, v140, v63 bitop3:0x80
	v_mad_u32_u24 v63, v174, 36, v114
	v_cmp_gt_i32_e64 s22, 0, v178
	v_xor_b32_e32 v175, s20, v175
	v_xor_b32_e32 v176, s21, v176
	ds_load_b32 v140, v63 offset:544
	v_mul_u32_u24_e32 v63, 36, v174
	v_xor_b32_e32 v141, s19, v141
	v_xor_b32_e32 v177, s22, v177
	; wave barrier
	s_delay_alu instid0(VALU_DEP_3) | instskip(NEXT) | instid1(VALU_DEP_3)
	v_add_nc_u32_e32 v174, v114, v63
	v_bitop3_b32 v62, v62, v175, v141 bitop3:0x80
	s_delay_alu instid0(VALU_DEP_1) | instskip(NEXT) | instid1(VALU_DEP_1)
	v_bitop3_b32 v62, v62, v177, v176 bitop3:0x80
	v_mbcnt_lo_u32_b32 v141, v62, 0
	v_cmp_ne_u32_e64 s17, 0, v62
	s_delay_alu instid0(VALU_DEP_2) | instskip(SKIP_1) | instid1(SALU_CYCLE_1)
	v_cmp_eq_u32_e32 vcc_lo, 0, v141
	s_and_b32 s18, s17, vcc_lo
	s_and_saveexec_b32 s17, s18
	s_cbranch_execz .LBB112_1084
; %bb.1083:                             ;   in Loop: Header=BB112_1040 Depth=2
	s_wait_dscnt 0x0
	v_bcnt_u32_b32 v62, v62, v140
	ds_store_b32 v174, v62 offset:544
.LBB112_1084:                           ;   in Loop: Header=BB112_1040 Depth=2
	s_or_b32 exec_lo, exec_lo, s17
	v_bfe_u32 v62, v139, 16, 8
	; wave barrier
	s_delay_alu instid0(VALU_DEP_1) | instskip(NEXT) | instid1(VALU_DEP_1)
	v_lshrrev_b32_e32 v62, s49, v62
	v_and_b32_e32 v177, s48, v62
	s_delay_alu instid0(VALU_DEP_1) | instskip(SKIP_1) | instid1(VALU_DEP_1)
	v_lshlrev_b32_e32 v175, 30, v177
	v_bitop3_b32 v63, v62, 1, s48 bitop3:0x80
	v_add_co_u32 v62, s17, v63, -1
	s_delay_alu instid0(VALU_DEP_1) | instskip(NEXT) | instid1(VALU_DEP_4)
	v_cndmask_b32_e64 v63, 0, 1, s17
	v_cmp_gt_i32_e64 s17, 0, v175
	s_delay_alu instid0(VALU_DEP_2) | instskip(SKIP_2) | instid1(VALU_DEP_2)
	v_cmp_ne_u32_e32 vcc_lo, 0, v63
	v_not_b32_e32 v63, v175
	v_bitop3_b32 v62, vcc_lo, exec_lo, v62 bitop3:0x48
	v_dual_ashrrev_i32 v63, 31, v63 :: v_dual_lshlrev_b32 v176, 29, v177
	v_dual_lshlrev_b32 v178, 28, v177 :: v_dual_lshlrev_b32 v179, 27, v177
	s_delay_alu instid0(VALU_DEP_2) | instskip(NEXT) | instid1(VALU_DEP_3)
	v_dual_lshlrev_b32 v180, 26, v177 :: v_dual_bitop2_b32 v63, s17, v63 bitop3:0x14
	v_not_b32_e32 v175, v176
	v_lshlrev_b32_e32 v181, 25, v177
	v_cmp_gt_i32_e64 s18, 0, v176
	v_cmp_gt_i32_e64 s19, 0, v178
	v_not_b32_e32 v176, v178
	v_not_b32_e32 v178, v179
	v_ashrrev_i32_e32 v175, 31, v175
	v_cmp_gt_i32_e64 s20, 0, v179
	v_cmp_gt_i32_e64 s21, 0, v180
	v_not_b32_e32 v179, v180
	v_dual_ashrrev_i32 v176, 31, v176 :: v_dual_ashrrev_i32 v178, 31, v178
	v_not_b32_e32 v180, v181
	v_xor_b32_e32 v175, s18, v175
	s_delay_alu instid0(VALU_DEP_3) | instskip(NEXT) | instid1(VALU_DEP_4)
	v_dual_ashrrev_i32 v179, 31, v179 :: v_dual_bitop2_b32 v176, s19, v176 bitop3:0x14
	v_xor_b32_e32 v178, s20, v178
	v_cmp_gt_i32_e32 vcc_lo, 0, v181
	s_delay_alu instid0(VALU_DEP_4) | instskip(SKIP_3) | instid1(VALU_DEP_4)
	v_bitop3_b32 v62, v62, v175, v63 bitop3:0x80
	v_ashrrev_i32_e32 v63, 31, v180
	v_mad_u32_u24 v175, v177, 36, v114
	v_xor_b32_e32 v179, s21, v179
	v_bitop3_b32 v62, v62, v178, v176 bitop3:0x80
	s_delay_alu instid0(VALU_DEP_4) | instskip(SKIP_3) | instid1(VALU_DEP_2)
	v_xor_b32_e32 v63, vcc_lo, v63
	ds_load_b32 v175, v175 offset:544
	; wave barrier
	v_bitop3_b32 v62, v62, v63, v179 bitop3:0x80
	v_mul_u32_u24_e32 v63, 36, v177
	v_mbcnt_lo_u32_b32 v176, v62, 0
	v_cmp_ne_u32_e64 s17, 0, v62
	s_delay_alu instid0(VALU_DEP_3) | instskip(NEXT) | instid1(VALU_DEP_3)
	v_add_nc_u32_e32 v178, v114, v63
	v_cmp_eq_u32_e32 vcc_lo, 0, v176
	s_and_b32 s18, s17, vcc_lo
	s_delay_alu instid0(SALU_CYCLE_1)
	s_and_saveexec_b32 s17, s18
	s_cbranch_execz .LBB112_1086
; %bb.1085:                             ;   in Loop: Header=BB112_1040 Depth=2
	s_wait_dscnt 0x0
	v_bcnt_u32_b32 v62, v62, v175
	ds_store_b32 v178, v62 offset:544
.LBB112_1086:                           ;   in Loop: Header=BB112_1040 Depth=2
	s_or_b32 exec_lo, exec_lo, s17
	v_lshrrev_b32_e32 v177, 24, v139
	; wave barrier
	s_delay_alu instid0(VALU_DEP_1) | instskip(NEXT) | instid1(VALU_DEP_1)
	v_lshrrev_b32_e32 v62, s49, v177
	v_bitop3_b32 v63, v62, 1, s48 bitop3:0x80
	v_and_b32_e32 v181, s48, v62
	s_delay_alu instid0(VALU_DEP_2) | instskip(NEXT) | instid1(VALU_DEP_1)
	v_add_co_u32 v62, s17, v63, -1
	v_cndmask_b32_e64 v63, 0, 1, s17
	s_delay_alu instid0(VALU_DEP_3) | instskip(SKIP_1) | instid1(VALU_DEP_3)
	v_dual_lshlrev_b32 v179, 30, v181 :: v_dual_lshlrev_b32 v180, 29, v181
	v_dual_lshlrev_b32 v182, 28, v181 :: v_dual_lshlrev_b32 v183, 27, v181
	v_cmp_ne_u32_e32 vcc_lo, 0, v63
	s_delay_alu instid0(VALU_DEP_3)
	v_cmp_gt_i32_e64 s17, 0, v179
	v_not_b32_e32 v63, v179
	v_not_b32_e32 v179, v180
	v_dual_lshlrev_b32 v184, 26, v181 :: v_dual_lshlrev_b32 v185, 25, v181
	v_cmp_gt_i32_e64 s18, 0, v180
	v_cmp_gt_i32_e64 s19, 0, v182
	v_not_b32_e32 v180, v182
	v_not_b32_e32 v182, v183
	v_ashrrev_i32_e32 v63, 31, v63
	v_ashrrev_i32_e32 v179, 31, v179
	v_cmp_gt_i32_e64 s20, 0, v183
	v_cmp_gt_i32_e64 s21, 0, v184
	v_not_b32_e32 v183, v184
	v_bitop3_b32 v62, vcc_lo, exec_lo, v62 bitop3:0x48
	v_dual_ashrrev_i32 v180, 31, v180 :: v_dual_ashrrev_i32 v182, 31, v182
	v_xor_b32_e32 v63, s17, v63
	v_not_b32_e32 v184, v185
	v_xor_b32_e32 v179, s18, v179
	s_delay_alu instid0(VALU_DEP_4) | instskip(SKIP_2) | instid1(VALU_DEP_4)
	v_dual_ashrrev_i32 v183, 31, v183 :: v_dual_bitop2_b32 v180, s19, v180 bitop3:0x14
	v_xor_b32_e32 v182, s20, v182
	v_cmp_gt_i32_e32 vcc_lo, 0, v185
	v_bitop3_b32 v62, v62, v179, v63 bitop3:0x80
	v_ashrrev_i32_e32 v63, 31, v184
	v_mad_u32_u24 v179, v181, 36, v114
	v_xor_b32_e32 v183, s21, v183
	s_delay_alu instid0(VALU_DEP_4) | instskip(NEXT) | instid1(VALU_DEP_4)
	v_bitop3_b32 v62, v62, v182, v180 bitop3:0x80
	v_xor_b32_e32 v63, vcc_lo, v63
	ds_load_b32 v179, v179 offset:544
	; wave barrier
	v_bitop3_b32 v62, v62, v63, v183 bitop3:0x80
	v_mul_u32_u24_e32 v63, 36, v181
	s_delay_alu instid0(VALU_DEP_2) | instskip(SKIP_1) | instid1(VALU_DEP_3)
	v_mbcnt_lo_u32_b32 v180, v62, 0
	v_cmp_ne_u32_e64 s17, 0, v62
	v_add_nc_u32_e32 v181, v114, v63
	s_delay_alu instid0(VALU_DEP_3) | instskip(SKIP_1) | instid1(SALU_CYCLE_1)
	v_cmp_eq_u32_e32 vcc_lo, 0, v180
	s_and_b32 s18, s17, vcc_lo
	s_and_saveexec_b32 s17, s18
	s_cbranch_execz .LBB112_1088
; %bb.1087:                             ;   in Loop: Header=BB112_1040 Depth=2
	s_wait_dscnt 0x0
	v_bcnt_u32_b32 v62, v62, v179
	ds_store_b32 v181, v62 offset:544
.LBB112_1088:                           ;   in Loop: Header=BB112_1040 Depth=2
	s_or_b32 exec_lo, exec_lo, s17
	v_bitop3_b16 v62, v64, 0xff, v64 bitop3:0xc
	; wave barrier
	s_delay_alu instid0(VALU_DEP_1) | instskip(NEXT) | instid1(VALU_DEP_1)
	v_and_b32_e32 v62, 0xffff, v62
	v_lshrrev_b32_e32 v62, s49, v62
	s_delay_alu instid0(VALU_DEP_1) | instskip(NEXT) | instid1(VALU_DEP_1)
	v_and_b32_e32 v184, s48, v62
	v_lshlrev_b32_e32 v182, 30, v184
	v_bitop3_b32 v63, v62, 1, s48 bitop3:0x80
	s_delay_alu instid0(VALU_DEP_1) | instskip(NEXT) | instid1(VALU_DEP_1)
	v_add_co_u32 v62, s17, v63, -1
	v_cndmask_b32_e64 v63, 0, 1, s17
	s_delay_alu instid0(VALU_DEP_4) | instskip(NEXT) | instid1(VALU_DEP_2)
	v_cmp_gt_i32_e64 s17, 0, v182
	v_cmp_ne_u32_e32 vcc_lo, 0, v63
	v_not_b32_e32 v63, v182
	v_bitop3_b32 v62, vcc_lo, exec_lo, v62 bitop3:0x48
	s_delay_alu instid0(VALU_DEP_2) | instskip(SKIP_2) | instid1(VALU_DEP_3)
	v_dual_ashrrev_i32 v63, 31, v63 :: v_dual_lshlrev_b32 v183, 29, v184
	v_dual_lshlrev_b32 v185, 28, v184 :: v_dual_lshlrev_b32 v186, 27, v184
	v_lshlrev_b32_e32 v187, 26, v184
	v_not_b32_e32 v182, v183
	v_lshlrev_b32_e32 v188, 25, v184
	v_cmp_gt_i32_e64 s18, 0, v183
	v_cmp_gt_i32_e64 s19, 0, v185
	v_not_b32_e32 v183, v185
	v_not_b32_e32 v185, v186
	v_ashrrev_i32_e32 v182, 31, v182
	v_cmp_gt_i32_e64 s20, 0, v186
	v_cmp_gt_i32_e64 s21, 0, v187
	v_not_b32_e32 v186, v187
	v_not_b32_e32 v187, v188
	v_dual_ashrrev_i32 v183, 31, v183 :: v_dual_ashrrev_i32 v185, 31, v185
	s_delay_alu instid0(VALU_DEP_3) | instskip(NEXT) | instid1(VALU_DEP_3)
	v_dual_ashrrev_i32 v186, 31, v186 :: v_dual_bitop2_b32 v63, s17, v63 bitop3:0x14
	v_dual_ashrrev_i32 v187, 31, v187 :: v_dual_bitop2_b32 v182, s18, v182 bitop3:0x14
	v_cmp_gt_i32_e64 s22, 0, v188
	s_delay_alu instid0(VALU_DEP_4) | instskip(SKIP_1) | instid1(VALU_DEP_4)
	v_xor_b32_e32 v183, s19, v183
	v_xor_b32_e32 v185, s20, v185
	v_bitop3_b32 v62, v62, v182, v63 bitop3:0x80
	v_mad_u32_u24 v63, v184, 36, v114
	v_xor_b32_e32 v187, s22, v187
	s_delay_alu instid0(VALU_DEP_3) | instskip(SKIP_3) | instid1(VALU_DEP_2)
	v_bitop3_b32 v62, v62, v185, v183 bitop3:0x80
	ds_load_b32 v182, v63 offset:544
	v_mul_u32_u24_e32 v63, 36, v184
	v_xor_b32_e32 v186, s21, v186
	; wave barrier
	v_add_nc_u32_e32 v185, v114, v63
	s_delay_alu instid0(VALU_DEP_2) | instskip(NEXT) | instid1(VALU_DEP_1)
	v_bitop3_b32 v62, v62, v187, v186 bitop3:0x80
	v_mbcnt_lo_u32_b32 v183, v62, 0
	v_cmp_ne_u32_e64 s17, 0, v62
	s_delay_alu instid0(VALU_DEP_2) | instskip(SKIP_1) | instid1(SALU_CYCLE_1)
	v_cmp_eq_u32_e32 vcc_lo, 0, v183
	s_and_b32 s18, s17, vcc_lo
	s_and_saveexec_b32 s17, s18
	s_cbranch_execz .LBB112_1090
; %bb.1089:                             ;   in Loop: Header=BB112_1040 Depth=2
	s_wait_dscnt 0x0
	v_bcnt_u32_b32 v62, v62, v182
	ds_store_b32 v185, v62 offset:544
.LBB112_1090:                           ;   in Loop: Header=BB112_1040 Depth=2
	s_or_b32 exec_lo, exec_lo, s17
	v_xor_b32_e32 v62, -1, v135
	v_xor_b32_e32 v63, -1, v136
	; wave barrier
	s_delay_alu instid0(VALU_DEP_2) | instskip(NEXT) | instid1(VALU_DEP_2)
	v_lshlrev_b16 v62, 8, v62
	v_lshlrev_b16 v63, 8, v63
	s_delay_alu instid0(VALU_DEP_2) | instskip(NEXT) | instid1(VALU_DEP_2)
	v_bitop3_b16 v184, v64, v62, 0xff bitop3:0xce
	v_bitop3_b16 v62, v65, v63, 0xff bitop3:0xce
	s_delay_alu instid0(VALU_DEP_2) | instskip(NEXT) | instid1(VALU_DEP_2)
	v_and_b32_e32 v63, 0xffff, v184
	v_lshlrev_b32_e32 v62, 16, v62
	s_delay_alu instid0(VALU_DEP_1) | instskip(NEXT) | instid1(VALU_DEP_1)
	v_or_b32_e32 v135, v63, v62
	v_bfe_u32 v62, v135, 8, 8
	s_delay_alu instid0(VALU_DEP_1) | instskip(NEXT) | instid1(VALU_DEP_1)
	v_lshrrev_b32_e32 v62, s49, v62
	v_bitop3_b32 v63, v62, 1, s48 bitop3:0x80
	v_and_b32_e32 v64, s48, v62
	s_delay_alu instid0(VALU_DEP_2) | instskip(NEXT) | instid1(VALU_DEP_1)
	v_add_co_u32 v62, s17, v63, -1
	v_cndmask_b32_e64 v63, 0, 1, s17
	s_delay_alu instid0(VALU_DEP_3) | instskip(NEXT) | instid1(VALU_DEP_2)
	v_lshlrev_b32_e32 v65, 30, v64
	v_cmp_ne_u32_e32 vcc_lo, 0, v63
	s_delay_alu instid0(VALU_DEP_2) | instskip(SKIP_2) | instid1(VALU_DEP_3)
	v_not_b32_e32 v63, v65
	v_cmp_gt_i32_e64 s17, 0, v65
	v_bitop3_b32 v62, vcc_lo, exec_lo, v62 bitop3:0x48
	v_dual_ashrrev_i32 v63, 31, v63 :: v_dual_lshlrev_b32 v136, 29, v64
	v_dual_lshlrev_b32 v186, 28, v64 :: v_dual_lshlrev_b32 v187, 27, v64
	v_lshlrev_b32_e32 v188, 26, v64
	s_delay_alu instid0(VALU_DEP_3)
	v_not_b32_e32 v65, v136
	v_lshlrev_b32_e32 v189, 25, v64
	v_cmp_gt_i32_e64 s18, 0, v136
	v_cmp_gt_i32_e64 s19, 0, v186
	v_not_b32_e32 v136, v186
	v_not_b32_e32 v186, v187
	v_ashrrev_i32_e32 v65, 31, v65
	v_cmp_gt_i32_e64 s20, 0, v187
	v_cmp_gt_i32_e64 s21, 0, v188
	v_not_b32_e32 v187, v188
	v_not_b32_e32 v188, v189
	v_dual_ashrrev_i32 v136, 31, v136 :: v_dual_ashrrev_i32 v186, 31, v186
	v_xor_b32_e32 v63, s17, v63
	s_delay_alu instid0(VALU_DEP_4)
	v_dual_ashrrev_i32 v187, 31, v187 :: v_dual_bitop2_b32 v65, s18, v65 bitop3:0x14
	v_cmp_gt_i32_e64 s22, 0, v189
	v_ashrrev_i32_e32 v188, 31, v188
	v_xor_b32_e32 v136, s19, v136
	v_xor_b32_e32 v186, s20, v186
	v_bitop3_b32 v62, v62, v65, v63 bitop3:0x80
	v_mad_u32_u24 v63, v64, 36, v114
	v_xor_b32_e32 v65, s21, v187
	v_xor_b32_e32 v187, s22, v188
	s_delay_alu instid0(VALU_DEP_4) | instskip(SKIP_3) | instid1(VALU_DEP_2)
	v_bitop3_b32 v62, v62, v186, v136 bitop3:0x80
	ds_load_b32 v136, v63 offset:544
	v_mul_u32_u24_e32 v63, 36, v64
	; wave barrier
	v_bitop3_b32 v62, v62, v187, v65 bitop3:0x80
	v_add_nc_u32_e32 v187, v114, v63
	s_delay_alu instid0(VALU_DEP_2) | instskip(SKIP_1) | instid1(VALU_DEP_2)
	v_mbcnt_lo_u32_b32 v186, v62, 0
	v_cmp_ne_u32_e64 s17, 0, v62
	v_cmp_eq_u32_e32 vcc_lo, 0, v186
	s_and_b32 s18, s17, vcc_lo
	s_delay_alu instid0(SALU_CYCLE_1)
	s_and_saveexec_b32 s17, s18
	s_cbranch_execz .LBB112_1092
; %bb.1091:                             ;   in Loop: Header=BB112_1040 Depth=2
	s_wait_dscnt 0x0
	v_bcnt_u32_b32 v62, v62, v136
	ds_store_b32 v187, v62 offset:544
.LBB112_1092:                           ;   in Loop: Header=BB112_1040 Depth=2
	s_or_b32 exec_lo, exec_lo, s17
	v_bfe_u32 v62, v135, 16, 8
	; wave barrier
	s_delay_alu instid0(VALU_DEP_1) | instskip(NEXT) | instid1(VALU_DEP_1)
	v_lshrrev_b32_e32 v62, s49, v62
	v_and_b32_e32 v64, s48, v62
	s_delay_alu instid0(VALU_DEP_1) | instskip(SKIP_1) | instid1(VALU_DEP_1)
	v_lshlrev_b32_e32 v65, 30, v64
	v_bitop3_b32 v63, v62, 1, s48 bitop3:0x80
	v_add_co_u32 v62, s17, v63, -1
	s_delay_alu instid0(VALU_DEP_1) | instskip(NEXT) | instid1(VALU_DEP_4)
	v_cndmask_b32_e64 v63, 0, 1, s17
	v_cmp_gt_i32_e64 s17, 0, v65
	s_delay_alu instid0(VALU_DEP_2) | instskip(SKIP_2) | instid1(VALU_DEP_2)
	v_cmp_ne_u32_e32 vcc_lo, 0, v63
	v_not_b32_e32 v63, v65
	v_bitop3_b32 v62, vcc_lo, exec_lo, v62 bitop3:0x48
	v_dual_ashrrev_i32 v63, 31, v63 :: v_dual_lshlrev_b32 v188, 29, v64
	v_dual_lshlrev_b32 v189, 28, v64 :: v_dual_lshlrev_b32 v190, 27, v64
	v_lshlrev_b32_e32 v191, 26, v64
	s_delay_alu instid0(VALU_DEP_3)
	v_not_b32_e32 v65, v188
	v_lshlrev_b32_e32 v192, 25, v64
	v_cmp_gt_i32_e64 s18, 0, v188
	v_cmp_gt_i32_e64 s19, 0, v189
	v_not_b32_e32 v188, v189
	v_not_b32_e32 v189, v190
	v_ashrrev_i32_e32 v65, 31, v65
	v_cmp_gt_i32_e64 s20, 0, v190
	v_cmp_gt_i32_e64 s21, 0, v191
	v_not_b32_e32 v190, v191
	v_dual_ashrrev_i32 v188, 31, v188 :: v_dual_ashrrev_i32 v189, 31, v189
	v_xor_b32_e32 v63, s17, v63
	v_not_b32_e32 v191, v192
	s_delay_alu instid0(VALU_DEP_4) | instskip(NEXT) | instid1(VALU_DEP_4)
	v_dual_ashrrev_i32 v190, 31, v190 :: v_dual_bitop2_b32 v65, s18, v65 bitop3:0x14
	v_xor_b32_e32 v188, s19, v188
	v_xor_b32_e32 v189, s20, v189
	v_cmp_gt_i32_e32 vcc_lo, 0, v192
	s_delay_alu instid0(VALU_DEP_4) | instskip(SKIP_3) | instid1(VALU_DEP_4)
	v_bitop3_b32 v62, v62, v65, v63 bitop3:0x80
	v_ashrrev_i32_e32 v63, 31, v191
	v_mad_u32_u24 v65, v64, 36, v114
	v_xor_b32_e32 v190, s21, v190
	v_bitop3_b32 v62, v62, v189, v188 bitop3:0x80
	s_delay_alu instid0(VALU_DEP_4) | instskip(SKIP_3) | instid1(VALU_DEP_2)
	v_xor_b32_e32 v63, vcc_lo, v63
	ds_load_b32 v188, v65 offset:544
	; wave barrier
	v_bitop3_b32 v62, v62, v63, v190 bitop3:0x80
	v_mul_u32_u24_e32 v63, 36, v64
	v_mbcnt_lo_u32_b32 v189, v62, 0
	v_cmp_ne_u32_e64 s17, 0, v62
	s_delay_alu instid0(VALU_DEP_3) | instskip(NEXT) | instid1(VALU_DEP_3)
	v_add_nc_u32_e32 v191, v114, v63
	v_cmp_eq_u32_e32 vcc_lo, 0, v189
	s_and_b32 s18, s17, vcc_lo
	s_delay_alu instid0(SALU_CYCLE_1)
	s_and_saveexec_b32 s17, s18
	s_cbranch_execz .LBB112_1094
; %bb.1093:                             ;   in Loop: Header=BB112_1040 Depth=2
	s_wait_dscnt 0x0
	v_bcnt_u32_b32 v62, v62, v188
	ds_store_b32 v191, v62 offset:544
.LBB112_1094:                           ;   in Loop: Header=BB112_1040 Depth=2
	s_or_b32 exec_lo, exec_lo, s17
	v_lshrrev_b32_e32 v190, 24, v135
	; wave barrier
	s_delay_alu instid0(VALU_DEP_1) | instskip(NEXT) | instid1(VALU_DEP_1)
	v_lshrrev_b32_e32 v62, s49, v190
	v_and_b32_e32 v64, s48, v62
	s_delay_alu instid0(VALU_DEP_1) | instskip(SKIP_3) | instid1(VALU_DEP_3)
	v_lshlrev_b32_e32 v65, 30, v64
	v_bitop3_b32 v63, v62, 1, s48 bitop3:0x80
	v_dual_lshlrev_b32 v192, 29, v64 :: v_dual_lshlrev_b32 v193, 28, v64
	v_dual_lshlrev_b32 v194, 27, v64 :: v_dual_lshlrev_b32 v195, 26, v64
	v_add_co_u32 v62, s17, v63, -1
	s_delay_alu instid0(VALU_DEP_1)
	v_cndmask_b32_e64 v63, 0, 1, s17
	v_cmp_gt_i32_e64 s17, 0, v65
	v_cmp_gt_i32_e64 s18, 0, v192
	v_cmp_gt_i32_e64 s19, 0, v193
	v_cmp_gt_i32_e64 s20, 0, v194
	v_cmp_ne_u32_e32 vcc_lo, 0, v63
	v_not_b32_e32 v63, v65
	v_not_b32_e32 v65, v192
	v_lshlrev_b32_e32 v196, 25, v64
	v_not_b32_e32 v192, v193
	v_not_b32_e32 v193, v194
	s_delay_alu instid0(VALU_DEP_4)
	v_dual_ashrrev_i32 v63, 31, v63 :: v_dual_ashrrev_i32 v65, 31, v65
	v_cmp_gt_i32_e64 s21, 0, v195
	v_not_b32_e32 v194, v195
	v_bitop3_b32 v62, vcc_lo, exec_lo, v62 bitop3:0x48
	v_dual_ashrrev_i32 v192, 31, v192 :: v_dual_ashrrev_i32 v193, 31, v193
	v_xor_b32_e32 v63, s17, v63
	s_delay_alu instid0(VALU_DEP_4) | instskip(SKIP_1) | instid1(VALU_DEP_4)
	v_dual_ashrrev_i32 v194, 31, v194 :: v_dual_bitop2_b32 v65, s18, v65 bitop3:0x14
	v_not_b32_e32 v195, v196
	v_xor_b32_e32 v192, s19, v192
	v_xor_b32_e32 v193, s20, v193
	s_delay_alu instid0(VALU_DEP_4)
	v_bitop3_b32 v62, v62, v65, v63 bitop3:0x80
	v_cmp_gt_i32_e32 vcc_lo, 0, v196
	v_ashrrev_i32_e32 v63, 31, v195
	v_mad_u32_u24 v65, v64, 36, v114
	v_xor_b32_e32 v194, s21, v194
	v_bitop3_b32 v62, v62, v193, v192 bitop3:0x80
	s_delay_alu instid0(VALU_DEP_4) | instskip(SKIP_3) | instid1(VALU_DEP_2)
	v_xor_b32_e32 v63, vcc_lo, v63
	ds_load_b32 v192, v65 offset:544
	; wave barrier
	v_bitop3_b32 v62, v62, v63, v194 bitop3:0x80
	v_mul_u32_u24_e32 v63, 36, v64
	v_mbcnt_lo_u32_b32 v193, v62, 0
	v_cmp_ne_u32_e64 s17, 0, v62
	s_delay_alu instid0(VALU_DEP_3) | instskip(NEXT) | instid1(VALU_DEP_3)
	v_add_nc_u32_e32 v194, v114, v63
	v_cmp_eq_u32_e32 vcc_lo, 0, v193
	s_and_b32 s18, s17, vcc_lo
	s_delay_alu instid0(SALU_CYCLE_1)
	s_and_saveexec_b32 s17, s18
	s_cbranch_execz .LBB112_1096
; %bb.1095:                             ;   in Loop: Header=BB112_1040 Depth=2
	s_wait_dscnt 0x0
	v_bcnt_u32_b32 v62, v62, v192
	ds_store_b32 v194, v62 offset:544
.LBB112_1096:                           ;   in Loop: Header=BB112_1040 Depth=2
	s_or_b32 exec_lo, exec_lo, s17
	v_xor_b32_e32 v121, -1, v121
	; wave barrier
	s_delay_alu instid0(VALU_DEP_1) | instskip(NEXT) | instid1(VALU_DEP_1)
	v_and_b32_e32 v62, 0xff, v121
	v_lshrrev_b32_e32 v62, s49, v62
	s_delay_alu instid0(VALU_DEP_1) | instskip(SKIP_1) | instid1(VALU_DEP_2)
	v_bitop3_b32 v63, v62, 1, s48 bitop3:0x80
	v_and_b32_e32 v64, s48, v62
	v_add_co_u32 v62, s17, v63, -1
	s_delay_alu instid0(VALU_DEP_1) | instskip(NEXT) | instid1(VALU_DEP_3)
	v_cndmask_b32_e64 v63, 0, 1, s17
	v_lshlrev_b32_e32 v65, 30, v64
	s_delay_alu instid0(VALU_DEP_2) | instskip(NEXT) | instid1(VALU_DEP_2)
	v_cmp_ne_u32_e32 vcc_lo, 0, v63
	v_not_b32_e32 v63, v65
	v_bitop3_b32 v62, vcc_lo, exec_lo, v62 bitop3:0x48
	s_delay_alu instid0(VALU_DEP_2) | instskip(SKIP_3) | instid1(VALU_DEP_4)
	v_dual_ashrrev_i32 v63, 31, v63 :: v_dual_lshlrev_b32 v195, 29, v64
	v_dual_lshlrev_b32 v196, 28, v64 :: v_dual_lshlrev_b32 v197, 27, v64
	v_cmp_gt_i32_e64 s17, 0, v65
	v_dual_lshlrev_b32 v198, 26, v64 :: v_dual_lshlrev_b32 v199, 25, v64
	v_not_b32_e32 v65, v195
	v_cmp_gt_i32_e64 s18, 0, v195
	v_cmp_gt_i32_e64 s19, 0, v196
	v_not_b32_e32 v195, v196
	v_not_b32_e32 v196, v197
	v_ashrrev_i32_e32 v65, 31, v65
	v_cmp_gt_i32_e64 s20, 0, v197
	v_cmp_gt_i32_e64 s21, 0, v198
	v_not_b32_e32 v197, v198
	v_not_b32_e32 v198, v199
	v_dual_ashrrev_i32 v195, 31, v195 :: v_dual_ashrrev_i32 v196, 31, v196
	v_xor_b32_e32 v63, s17, v63
	s_delay_alu instid0(VALU_DEP_3) | instskip(SKIP_1) | instid1(VALU_DEP_4)
	v_dual_ashrrev_i32 v198, 31, v198 :: v_dual_bitop2_b32 v65, s18, v65 bitop3:0x14
	v_cmp_gt_i32_e64 s22, 0, v199
	v_dual_ashrrev_i32 v197, 31, v197 :: v_dual_bitop2_b32 v195, s19, v195 bitop3:0x14
	v_xor_b32_e32 v196, s20, v196
	s_delay_alu instid0(VALU_DEP_4) | instskip(SKIP_1) | instid1(VALU_DEP_4)
	v_bitop3_b32 v62, v62, v65, v63 bitop3:0x80
	v_mad_u32_u24 v63, v64, 36, v114
	v_xor_b32_e32 v65, s21, v197
	v_xor_b32_e32 v197, s22, v198
	s_delay_alu instid0(VALU_DEP_4) | instskip(SKIP_3) | instid1(VALU_DEP_2)
	v_bitop3_b32 v62, v62, v196, v195 bitop3:0x80
	ds_load_b32 v195, v63 offset:544
	v_mul_u32_u24_e32 v63, 36, v64
	; wave barrier
	v_bitop3_b32 v62, v62, v197, v65 bitop3:0x80
	v_add_nc_u32_e32 v197, v114, v63
	s_delay_alu instid0(VALU_DEP_2) | instskip(SKIP_1) | instid1(VALU_DEP_2)
	v_mbcnt_lo_u32_b32 v196, v62, 0
	v_cmp_ne_u32_e64 s17, 0, v62
	v_cmp_eq_u32_e32 vcc_lo, 0, v196
	s_and_b32 s18, s17, vcc_lo
	s_delay_alu instid0(SALU_CYCLE_1)
	s_and_saveexec_b32 s17, s18
	s_cbranch_execz .LBB112_1098
; %bb.1097:                             ;   in Loop: Header=BB112_1040 Depth=2
	s_wait_dscnt 0x0
	v_bcnt_u32_b32 v62, v62, v195
	ds_store_b32 v197, v62 offset:544
.LBB112_1098:                           ;   in Loop: Header=BB112_1040 Depth=2
	s_or_b32 exec_lo, exec_lo, s17
	; wave barrier
	s_wait_dscnt 0x0
	s_barrier_signal -1
	s_barrier_wait -1
	ds_load_2addr_b32 v[64:65], v90 offset0:136 offset1:137
	ds_load_2addr_b32 v[62:63], v90 offset0:138 offset1:139
	ds_load_b32 v198, v90 offset:560
	s_wait_dscnt 0x1
	v_add3_u32 v199, v65, v64, v62
	s_wait_dscnt 0x0
	s_delay_alu instid0(VALU_DEP_1) | instskip(NEXT) | instid1(VALU_DEP_1)
	v_add3_u32 v198, v199, v63, v198
	v_mov_b32_dpp v199, v198 row_shr:1 row_mask:0xf bank_mask:0xf
	s_delay_alu instid0(VALU_DEP_1) | instskip(NEXT) | instid1(VALU_DEP_1)
	v_cndmask_b32_e64 v199, v199, 0, s8
	v_add_nc_u32_e32 v198, v199, v198
	s_delay_alu instid0(VALU_DEP_1) | instskip(NEXT) | instid1(VALU_DEP_1)
	v_mov_b32_dpp v199, v198 row_shr:2 row_mask:0xf bank_mask:0xf
	v_cndmask_b32_e64 v199, 0, v199, s9
	s_delay_alu instid0(VALU_DEP_1) | instskip(NEXT) | instid1(VALU_DEP_1)
	v_add_nc_u32_e32 v198, v198, v199
	v_mov_b32_dpp v199, v198 row_shr:4 row_mask:0xf bank_mask:0xf
	s_delay_alu instid0(VALU_DEP_1) | instskip(NEXT) | instid1(VALU_DEP_1)
	v_cndmask_b32_e64 v199, 0, v199, s10
	v_add_nc_u32_e32 v198, v198, v199
	s_delay_alu instid0(VALU_DEP_1) | instskip(NEXT) | instid1(VALU_DEP_1)
	v_mov_b32_dpp v199, v198 row_shr:8 row_mask:0xf bank_mask:0xf
	v_cndmask_b32_e64 v199, 0, v199, s11
	s_delay_alu instid0(VALU_DEP_1) | instskip(SKIP_3) | instid1(VALU_DEP_1)
	v_add_nc_u32_e32 v198, v198, v199
	ds_swizzle_b32 v199, v198 offset:swizzle(BROADCAST,32,15)
	s_wait_dscnt 0x0
	v_cndmask_b32_e64 v199, v199, 0, s12
	v_add_nc_u32_e32 v198, v198, v199
	s_and_saveexec_b32 s17, s2
; %bb.1099:                             ;   in Loop: Header=BB112_1040 Depth=2
	ds_store_b32 v83, v198 offset:512
; %bb.1100:                             ;   in Loop: Header=BB112_1040 Depth=2
	s_or_b32 exec_lo, exec_lo, s17
	s_wait_dscnt 0x0
	s_barrier_signal -1
	s_barrier_wait -1
	s_and_saveexec_b32 s17, s3
	s_cbranch_execz .LBB112_1102
; %bb.1101:                             ;   in Loop: Header=BB112_1040 Depth=2
	ds_load_b32 v199, v92 offset:512
	s_wait_dscnt 0x0
	v_mov_b32_dpp v200, v199 row_shr:1 row_mask:0xf bank_mask:0xf
	s_delay_alu instid0(VALU_DEP_1) | instskip(NEXT) | instid1(VALU_DEP_1)
	v_cndmask_b32_e64 v200, v200, 0, s14
	v_add_nc_u32_e32 v199, v200, v199
	s_delay_alu instid0(VALU_DEP_1) | instskip(NEXT) | instid1(VALU_DEP_1)
	v_mov_b32_dpp v200, v199 row_shr:2 row_mask:0xf bank_mask:0xf
	v_cndmask_b32_e64 v200, 0, v200, s15
	s_delay_alu instid0(VALU_DEP_1) | instskip(NEXT) | instid1(VALU_DEP_1)
	v_add_nc_u32_e32 v199, v199, v200
	v_mov_b32_dpp v200, v199 row_shr:4 row_mask:0xf bank_mask:0xf
	s_delay_alu instid0(VALU_DEP_1) | instskip(NEXT) | instid1(VALU_DEP_1)
	v_cndmask_b32_e64 v200, 0, v200, s16
	v_add_nc_u32_e32 v199, v199, v200
	ds_store_b32 v92, v199 offset:512
.LBB112_1102:                           ;   in Loop: Header=BB112_1040 Depth=2
	s_or_b32 exec_lo, exec_lo, s17
	v_mov_b32_e32 v199, 0
	s_wait_dscnt 0x0
	s_barrier_signal -1
	s_barrier_wait -1
	s_and_saveexec_b32 s17, s5
; %bb.1103:                             ;   in Loop: Header=BB112_1040 Depth=2
	ds_load_b32 v199, v83 offset:508
; %bb.1104:                             ;   in Loop: Header=BB112_1040 Depth=2
	s_or_b32 exec_lo, exec_lo, s17
	s_wait_dscnt 0x0
	v_add_nc_u32_e32 v198, v199, v198
	ds_bpermute_b32 v198, v96, v198
	s_wait_dscnt 0x0
	v_cndmask_b32_e64 v198, v198, v199, s13
	s_delay_alu instid0(VALU_DEP_1) | instskip(NEXT) | instid1(VALU_DEP_1)
	v_cndmask_b32_e64 v198, v198, 0, s6
	v_add_nc_u32_e32 v64, v198, v64
	s_delay_alu instid0(VALU_DEP_1) | instskip(NEXT) | instid1(VALU_DEP_1)
	v_add_nc_u32_e32 v65, v64, v65
	v_add_nc_u32_e32 v62, v65, v62
	s_delay_alu instid0(VALU_DEP_1)
	v_add_nc_u32_e32 v63, v62, v63
	ds_store_2addr_b32 v90, v198, v64 offset0:136 offset1:137
	ds_store_2addr_b32 v90, v65, v62 offset0:138 offset1:139
	ds_store_b32 v90, v63 offset:560
	s_wait_dscnt 0x0
	s_barrier_signal -1
	s_barrier_wait -1
	ds_load_b32 v62, v149 offset:544
	ds_load_b32 v63, v152 offset:544
	;; [unrolled: 1-line block ×17, first 2 shown]
	s_and_saveexec_b32 s17, s0
	s_cbranch_execz .LBB112_1108
; %bb.1105:                             ;   in Loop: Header=BB112_1040 Depth=2
	v_dual_mov_b32 v134, 0x1100 :: v_dual_add_nc_u32 v133, v92, v94
	ds_load_b32 v133, v133 offset:544
	s_and_saveexec_b32 s18, s7
; %bb.1106:                             ;   in Loop: Header=BB112_1040 Depth=2
	ds_load_b32 v134, v93 offset:544
; %bb.1107:                             ;   in Loop: Header=BB112_1040 Depth=2
	s_or_b32 exec_lo, exec_lo, s18
	s_wait_dscnt 0x0
	v_sub_nc_u32_e32 v134, v134, v133
.LBB112_1108:                           ;   in Loop: Header=BB112_1040 Depth=2
	s_or_b32 exec_lo, exec_lo, s17
	v_dual_lshrrev_b32 v202, 8, v148 :: v_dual_lshrrev_b32 v203, 16, v148
	v_dual_lshrrev_b32 v200, 8, v143 :: v_dual_lshrrev_b32 v201, 16, v143
	;; [unrolled: 1-line block ×4, first 2 shown]
	s_wait_dscnt 0x0
	s_barrier_signal -1
	s_barrier_wait -1
	s_and_saveexec_b32 s17, s0
	s_cbranch_execz .LBB112_1110
; %bb.1109:                             ;   in Loop: Header=BB112_1040 Depth=2
	ds_load_b32 v135, v66
	s_wait_dscnt 0x0
	v_sub_nc_u32_e32 v135, v135, v133
	ds_store_b32 v66, v135
.LBB112_1110:                           ;   in Loop: Header=BB112_1040 Depth=2
	s_or_b32 exec_lo, exec_lo, s17
	v_add_nc_u32_e32 v156, v62, v146
	v_add3_u32 v152, v151, v150, v63
	v_add3_u32 v151, v154, v153, v64
	;; [unrolled: 1-line block ×16, first 2 shown]
	v_cmp_lt_u32_e32 vcc_lo, v2, v137
	ds_store_b8 v156, v147 offset:512
	ds_store_b8 v152, v202 offset:512
	;; [unrolled: 1-line block ×17, first 2 shown]
	s_wait_dscnt 0x0
	s_barrier_signal -1
	s_barrier_wait -1
	s_and_saveexec_b32 s17, vcc_lo
	s_cbranch_execnz .LBB112_1183
; %bb.1111:                             ;   in Loop: Header=BB112_1040 Depth=2
	s_or_b32 exec_lo, exec_lo, s17
	v_cmp_lt_u32_e64 s17, v67, v137
	s_and_saveexec_b32 s18, s17
	s_cbranch_execnz .LBB112_1184
.LBB112_1112:                           ;   in Loop: Header=BB112_1040 Depth=2
	s_or_b32 exec_lo, exec_lo, s18
	v_cmp_lt_u32_e64 s18, v68, v137
	s_and_saveexec_b32 s19, s18
	s_cbranch_execnz .LBB112_1185
.LBB112_1113:                           ;   in Loop: Header=BB112_1040 Depth=2
	s_or_b32 exec_lo, exec_lo, s19
	v_cmp_lt_u32_e64 s19, v69, v137
	s_and_saveexec_b32 s20, s19
	s_cbranch_execnz .LBB112_1186
.LBB112_1114:                           ;   in Loop: Header=BB112_1040 Depth=2
	s_or_b32 exec_lo, exec_lo, s20
	v_cmp_lt_u32_e64 s20, v70, v137
	s_and_saveexec_b32 s21, s20
	s_cbranch_execnz .LBB112_1187
.LBB112_1115:                           ;   in Loop: Header=BB112_1040 Depth=2
	s_or_b32 exec_lo, exec_lo, s21
	v_cmp_lt_u32_e64 s21, v71, v137
	s_and_saveexec_b32 s22, s21
	s_cbranch_execnz .LBB112_1188
.LBB112_1116:                           ;   in Loop: Header=BB112_1040 Depth=2
	s_or_b32 exec_lo, exec_lo, s22
	v_cmp_lt_u32_e64 s22, v72, v137
	s_and_saveexec_b32 s23, s22
	s_cbranch_execnz .LBB112_1189
.LBB112_1117:                           ;   in Loop: Header=BB112_1040 Depth=2
	s_or_b32 exec_lo, exec_lo, s23
	v_cmp_lt_u32_e64 s23, v73, v137
	s_and_saveexec_b32 s24, s23
	s_cbranch_execnz .LBB112_1190
.LBB112_1118:                           ;   in Loop: Header=BB112_1040 Depth=2
	s_or_b32 exec_lo, exec_lo, s24
	v_cmp_lt_u32_e64 s24, v74, v137
	s_and_saveexec_b32 s25, s24
	s_cbranch_execnz .LBB112_1191
.LBB112_1119:                           ;   in Loop: Header=BB112_1040 Depth=2
	s_or_b32 exec_lo, exec_lo, s25
	v_cmp_lt_u32_e64 s25, v75, v137
	s_and_saveexec_b32 s26, s25
	s_cbranch_execnz .LBB112_1192
.LBB112_1120:                           ;   in Loop: Header=BB112_1040 Depth=2
	s_or_b32 exec_lo, exec_lo, s26
	v_cmp_lt_u32_e64 s26, v76, v137
	s_and_saveexec_b32 s27, s26
	s_cbranch_execnz .LBB112_1193
.LBB112_1121:                           ;   in Loop: Header=BB112_1040 Depth=2
	s_or_b32 exec_lo, exec_lo, s27
	v_cmp_lt_u32_e64 s27, v77, v137
	s_and_saveexec_b32 s28, s27
	s_cbranch_execnz .LBB112_1194
.LBB112_1122:                           ;   in Loop: Header=BB112_1040 Depth=2
	s_or_b32 exec_lo, exec_lo, s28
	v_cmp_lt_u32_e64 s28, v78, v137
	s_and_saveexec_b32 s29, s28
	s_cbranch_execnz .LBB112_1195
.LBB112_1123:                           ;   in Loop: Header=BB112_1040 Depth=2
	s_or_b32 exec_lo, exec_lo, s29
	v_cmp_lt_u32_e64 s29, v79, v137
	s_and_saveexec_b32 s30, s29
	s_cbranch_execnz .LBB112_1196
.LBB112_1124:                           ;   in Loop: Header=BB112_1040 Depth=2
	s_or_b32 exec_lo, exec_lo, s30
	v_cmp_lt_u32_e64 s30, v80, v137
	s_and_saveexec_b32 s31, s30
	s_cbranch_execnz .LBB112_1197
.LBB112_1125:                           ;   in Loop: Header=BB112_1040 Depth=2
	s_or_b32 exec_lo, exec_lo, s31
	v_cmp_lt_u32_e64 s31, v81, v137
	s_and_saveexec_b32 s33, s31
	s_cbranch_execnz .LBB112_1198
.LBB112_1126:                           ;   in Loop: Header=BB112_1040 Depth=2
	s_or_b32 exec_lo, exec_lo, s33
	v_cmp_lt_u32_e64 s33, v82, v137
	s_and_saveexec_b32 s60, s33
	s_cbranch_execz .LBB112_1128
.LBB112_1127:                           ;   in Loop: Header=BB112_1040 Depth=2
	ds_load_u8 v62, v2 offset:4608
	s_wait_dscnt 0x0
	v_and_b32_e32 v63, 0xff, v62
	s_delay_alu instid0(VALU_DEP_1) | instskip(NEXT) | instid1(VALU_DEP_1)
	v_dual_lshrrev_b32 v63, s49, v63 :: v_dual_bitop2_b32 v62, -1, v62 bitop3:0x14
	v_and_b32_e32 v63, s48, v63
	s_delay_alu instid0(VALU_DEP_1)
	v_lshlrev_b32_e32 v63, 2, v63
	ds_load_b32 v63, v63
	s_wait_dscnt 0x0
	v_add_nc_u32_e32 v63, v63, v82
	global_store_b8 v63, v62, s[40:41]
.LBB112_1128:                           ;   in Loop: Header=BB112_1040 Depth=2
	s_wait_xcnt 0x0
	s_or_b32 exec_lo, exec_lo, s60
	v_lshl_add_u64 v[62:63], s[34:35], 3, v[26:27]
	v_cmp_lt_u32_e64 s34, v97, v137
	s_and_saveexec_b32 s60, s34
	s_delay_alu instid0(SALU_CYCLE_1)
	s_xor_b32 s34, exec_lo, s60
	s_cbranch_execnz .LBB112_1199
; %bb.1129:                             ;   in Loop: Header=BB112_1040 Depth=2
	s_or_b32 exec_lo, exec_lo, s34
	s_delay_alu instid0(SALU_CYCLE_1)
	s_mov_b32 s60, exec_lo
	v_cmpx_lt_u32_e64 v98, v137
	s_cbranch_execnz .LBB112_1200
.LBB112_1130:                           ;   in Loop: Header=BB112_1040 Depth=2
	s_or_b32 exec_lo, exec_lo, s60
	s_delay_alu instid0(SALU_CYCLE_1)
	s_mov_b32 s60, exec_lo
	v_cmpx_lt_u32_e64 v99, v137
	s_cbranch_execnz .LBB112_1201
.LBB112_1131:                           ;   in Loop: Header=BB112_1040 Depth=2
	s_or_b32 exec_lo, exec_lo, s60
	s_delay_alu instid0(SALU_CYCLE_1)
	s_mov_b32 s60, exec_lo
	v_cmpx_lt_u32_e64 v100, v137
	s_cbranch_execnz .LBB112_1202
.LBB112_1132:                           ;   in Loop: Header=BB112_1040 Depth=2
	s_or_b32 exec_lo, exec_lo, s60
	s_delay_alu instid0(SALU_CYCLE_1)
	s_mov_b32 s60, exec_lo
	v_cmpx_lt_u32_e64 v101, v137
	s_cbranch_execnz .LBB112_1203
.LBB112_1133:                           ;   in Loop: Header=BB112_1040 Depth=2
	s_or_b32 exec_lo, exec_lo, s60
	s_delay_alu instid0(SALU_CYCLE_1)
	s_mov_b32 s60, exec_lo
	v_cmpx_lt_u32_e64 v102, v137
	s_cbranch_execnz .LBB112_1204
.LBB112_1134:                           ;   in Loop: Header=BB112_1040 Depth=2
	s_or_b32 exec_lo, exec_lo, s60
	s_delay_alu instid0(SALU_CYCLE_1)
	s_mov_b32 s60, exec_lo
	v_cmpx_lt_u32_e64 v103, v137
	s_cbranch_execnz .LBB112_1205
.LBB112_1135:                           ;   in Loop: Header=BB112_1040 Depth=2
	s_or_b32 exec_lo, exec_lo, s60
	s_delay_alu instid0(SALU_CYCLE_1)
	s_mov_b32 s60, exec_lo
	v_cmpx_lt_u32_e64 v104, v137
	s_cbranch_execnz .LBB112_1206
.LBB112_1136:                           ;   in Loop: Header=BB112_1040 Depth=2
	s_or_b32 exec_lo, exec_lo, s60
	s_delay_alu instid0(SALU_CYCLE_1)
	s_mov_b32 s60, exec_lo
	v_cmpx_lt_u32_e64 v105, v137
	s_cbranch_execnz .LBB112_1207
.LBB112_1137:                           ;   in Loop: Header=BB112_1040 Depth=2
	s_or_b32 exec_lo, exec_lo, s60
	s_delay_alu instid0(SALU_CYCLE_1)
	s_mov_b32 s60, exec_lo
	v_cmpx_lt_u32_e64 v106, v137
	s_cbranch_execnz .LBB112_1208
.LBB112_1138:                           ;   in Loop: Header=BB112_1040 Depth=2
	s_or_b32 exec_lo, exec_lo, s60
	s_delay_alu instid0(SALU_CYCLE_1)
	s_mov_b32 s60, exec_lo
	v_cmpx_lt_u32_e64 v107, v137
	s_cbranch_execnz .LBB112_1209
.LBB112_1139:                           ;   in Loop: Header=BB112_1040 Depth=2
	s_or_b32 exec_lo, exec_lo, s60
	s_delay_alu instid0(SALU_CYCLE_1)
	s_mov_b32 s60, exec_lo
	v_cmpx_lt_u32_e64 v108, v137
	s_cbranch_execnz .LBB112_1210
.LBB112_1140:                           ;   in Loop: Header=BB112_1040 Depth=2
	s_or_b32 exec_lo, exec_lo, s60
	s_delay_alu instid0(SALU_CYCLE_1)
	s_mov_b32 s60, exec_lo
	v_cmpx_lt_u32_e64 v109, v137
	s_cbranch_execnz .LBB112_1211
.LBB112_1141:                           ;   in Loop: Header=BB112_1040 Depth=2
	s_or_b32 exec_lo, exec_lo, s60
	s_delay_alu instid0(SALU_CYCLE_1)
	s_mov_b32 s60, exec_lo
	v_cmpx_lt_u32_e64 v110, v137
	s_cbranch_execnz .LBB112_1212
.LBB112_1142:                           ;   in Loop: Header=BB112_1040 Depth=2
	s_or_b32 exec_lo, exec_lo, s60
	s_delay_alu instid0(SALU_CYCLE_1)
	s_mov_b32 s60, exec_lo
	v_cmpx_lt_u32_e64 v111, v137
	s_cbranch_execnz .LBB112_1213
.LBB112_1143:                           ;   in Loop: Header=BB112_1040 Depth=2
	s_or_b32 exec_lo, exec_lo, s60
	s_delay_alu instid0(SALU_CYCLE_1)
	s_mov_b32 s60, exec_lo
	v_cmpx_lt_u32_e64 v112, v137
	s_cbranch_execnz .LBB112_1214
.LBB112_1144:                           ;   in Loop: Header=BB112_1040 Depth=2
	s_or_b32 exec_lo, exec_lo, s60
	s_delay_alu instid0(SALU_CYCLE_1)
	s_mov_b32 s60, exec_lo
	v_cmpx_lt_u32_e64 v113, v137
	s_cbranch_execnz .LBB112_1215
.LBB112_1145:                           ;   in Loop: Header=BB112_1040 Depth=2
	s_or_b32 exec_lo, exec_lo, s60
	s_and_saveexec_b32 s34, vcc_lo
	s_cbranch_execnz .LBB112_1216
.LBB112_1146:                           ;   in Loop: Header=BB112_1040 Depth=2
	s_or_b32 exec_lo, exec_lo, s34
	s_and_saveexec_b32 s34, s17
	s_cbranch_execnz .LBB112_1217
.LBB112_1147:                           ;   in Loop: Header=BB112_1040 Depth=2
	s_or_b32 exec_lo, exec_lo, s34
	s_and_saveexec_b32 s34, s18
	s_cbranch_execnz .LBB112_1218
.LBB112_1148:                           ;   in Loop: Header=BB112_1040 Depth=2
	s_or_b32 exec_lo, exec_lo, s34
	s_and_saveexec_b32 s34, s19
	s_cbranch_execnz .LBB112_1219
.LBB112_1149:                           ;   in Loop: Header=BB112_1040 Depth=2
	s_or_b32 exec_lo, exec_lo, s34
	s_and_saveexec_b32 s34, s20
	s_cbranch_execnz .LBB112_1220
.LBB112_1150:                           ;   in Loop: Header=BB112_1040 Depth=2
	s_or_b32 exec_lo, exec_lo, s34
	s_and_saveexec_b32 s34, s21
	s_cbranch_execnz .LBB112_1221
.LBB112_1151:                           ;   in Loop: Header=BB112_1040 Depth=2
	s_or_b32 exec_lo, exec_lo, s34
	s_and_saveexec_b32 s34, s22
	s_cbranch_execnz .LBB112_1222
.LBB112_1152:                           ;   in Loop: Header=BB112_1040 Depth=2
	s_or_b32 exec_lo, exec_lo, s34
	s_and_saveexec_b32 s34, s23
	s_cbranch_execnz .LBB112_1223
.LBB112_1153:                           ;   in Loop: Header=BB112_1040 Depth=2
	s_or_b32 exec_lo, exec_lo, s34
	s_and_saveexec_b32 s34, s24
	s_cbranch_execnz .LBB112_1224
.LBB112_1154:                           ;   in Loop: Header=BB112_1040 Depth=2
	s_or_b32 exec_lo, exec_lo, s34
	s_and_saveexec_b32 s34, s25
	s_cbranch_execnz .LBB112_1225
.LBB112_1155:                           ;   in Loop: Header=BB112_1040 Depth=2
	s_or_b32 exec_lo, exec_lo, s34
	s_and_saveexec_b32 s34, s26
	s_cbranch_execnz .LBB112_1226
.LBB112_1156:                           ;   in Loop: Header=BB112_1040 Depth=2
	s_or_b32 exec_lo, exec_lo, s34
	s_and_saveexec_b32 s34, s27
	s_cbranch_execnz .LBB112_1227
.LBB112_1157:                           ;   in Loop: Header=BB112_1040 Depth=2
	s_or_b32 exec_lo, exec_lo, s34
	s_and_saveexec_b32 s34, s28
	s_cbranch_execnz .LBB112_1228
.LBB112_1158:                           ;   in Loop: Header=BB112_1040 Depth=2
	s_or_b32 exec_lo, exec_lo, s34
	s_and_saveexec_b32 s34, s29
	s_cbranch_execnz .LBB112_1229
.LBB112_1159:                           ;   in Loop: Header=BB112_1040 Depth=2
	s_or_b32 exec_lo, exec_lo, s34
	s_and_saveexec_b32 s34, s30
	s_cbranch_execnz .LBB112_1230
.LBB112_1160:                           ;   in Loop: Header=BB112_1040 Depth=2
	s_or_b32 exec_lo, exec_lo, s34
	s_and_saveexec_b32 s34, s31
	s_cbranch_execnz .LBB112_1231
.LBB112_1161:                           ;   in Loop: Header=BB112_1040 Depth=2
	s_or_b32 exec_lo, exec_lo, s34
	s_and_saveexec_b32 s34, s33
	s_cbranch_execz .LBB112_1163
.LBB112_1162:                           ;   in Loop: Header=BB112_1040 Depth=2
	ds_load_u8 v62, v2 offset:4608
	s_wait_dscnt 0x0
	v_lshrrev_b32_e32 v62, s49, v62
	s_delay_alu instid0(VALU_DEP_1)
	v_and_b32_e32 v115, s48, v62
.LBB112_1163:                           ;   in Loop: Header=BB112_1040 Depth=2
	s_or_b32 exec_lo, exec_lo, s34
	v_lshlrev_b32_e32 v62, 3, v156
	v_lshlrev_b32_e32 v63, 3, v152
	s_wait_loadcnt 0x0
	s_wait_storecnt 0x0
	s_barrier_signal -1
	s_barrier_wait -1
	ds_store_b64 v62, v[60:61] offset:512
	ds_store_b64 v63, v[58:59] offset:512
	v_dual_lshlrev_b32 v62, 3, v151 :: v_dual_lshlrev_b32 v63, 3, v150
	v_dual_lshlrev_b32 v137, 3, v149 :: v_dual_lshlrev_b32 v138, 3, v148
	v_lshlrev_b32_e32 v142, 3, v146
	ds_store_b64 v62, v[56:57] offset:512
	ds_store_b64 v63, v[54:55] offset:512
	ds_store_b64 v137, v[52:53] offset:512
	ds_store_b64 v138, v[50:51] offset:512
	ds_store_b64 v142, v[48:49] offset:512
	v_dual_lshlrev_b32 v62, 3, v145 :: v_dual_lshlrev_b32 v63, 3, v144
	v_dual_lshlrev_b32 v137, 3, v143 :: v_dual_lshlrev_b32 v138, 3, v141
	v_lshlrev_b32_e32 v140, 3, v140
	ds_store_b64 v62, v[46:47] offset:512
	ds_store_b64 v63, v[44:45] offset:512
	ds_store_b64 v137, v[42:43] offset:512
	;; [unrolled: 8-line block ×3, first 2 shown]
	ds_store_b64 v65, v[30:31] offset:512
	ds_store_b64 v64, v[28:29] offset:512
	v_add_nc_u32_e32 v62, v2, v95
	s_wait_dscnt 0x0
	s_barrier_signal -1
	s_barrier_wait -1
	s_and_saveexec_b32 s34, vcc_lo
	s_cbranch_execnz .LBB112_1232
; %bb.1164:                             ;   in Loop: Header=BB112_1040 Depth=2
	s_or_b32 exec_lo, exec_lo, s34
	s_and_saveexec_b32 s34, s17
	s_cbranch_execnz .LBB112_1233
.LBB112_1165:                           ;   in Loop: Header=BB112_1040 Depth=2
	s_or_b32 exec_lo, exec_lo, s34
	s_and_saveexec_b32 s17, s18
	s_cbranch_execnz .LBB112_1234
.LBB112_1166:                           ;   in Loop: Header=BB112_1040 Depth=2
	s_or_b32 exec_lo, exec_lo, s17
	s_and_saveexec_b32 s17, s19
	s_cbranch_execnz .LBB112_1235
.LBB112_1167:                           ;   in Loop: Header=BB112_1040 Depth=2
	s_or_b32 exec_lo, exec_lo, s17
	s_and_saveexec_b32 s17, s20
	s_cbranch_execnz .LBB112_1236
.LBB112_1168:                           ;   in Loop: Header=BB112_1040 Depth=2
	s_or_b32 exec_lo, exec_lo, s17
	s_and_saveexec_b32 s17, s21
	s_cbranch_execnz .LBB112_1237
.LBB112_1169:                           ;   in Loop: Header=BB112_1040 Depth=2
	s_or_b32 exec_lo, exec_lo, s17
	s_and_saveexec_b32 s17, s22
	s_cbranch_execnz .LBB112_1238
.LBB112_1170:                           ;   in Loop: Header=BB112_1040 Depth=2
	s_or_b32 exec_lo, exec_lo, s17
	s_and_saveexec_b32 s17, s23
	s_cbranch_execnz .LBB112_1239
.LBB112_1171:                           ;   in Loop: Header=BB112_1040 Depth=2
	s_or_b32 exec_lo, exec_lo, s17
	s_and_saveexec_b32 s17, s24
	s_cbranch_execnz .LBB112_1240
.LBB112_1172:                           ;   in Loop: Header=BB112_1040 Depth=2
	s_or_b32 exec_lo, exec_lo, s17
	s_and_saveexec_b32 s17, s25
	s_cbranch_execnz .LBB112_1241
.LBB112_1173:                           ;   in Loop: Header=BB112_1040 Depth=2
	s_or_b32 exec_lo, exec_lo, s17
	s_and_saveexec_b32 s17, s26
	s_cbranch_execnz .LBB112_1242
.LBB112_1174:                           ;   in Loop: Header=BB112_1040 Depth=2
	s_or_b32 exec_lo, exec_lo, s17
	s_and_saveexec_b32 s17, s27
	s_cbranch_execnz .LBB112_1243
.LBB112_1175:                           ;   in Loop: Header=BB112_1040 Depth=2
	s_or_b32 exec_lo, exec_lo, s17
	s_and_saveexec_b32 s17, s28
	s_cbranch_execnz .LBB112_1244
.LBB112_1176:                           ;   in Loop: Header=BB112_1040 Depth=2
	s_or_b32 exec_lo, exec_lo, s17
	s_and_saveexec_b32 s17, s29
	s_cbranch_execnz .LBB112_1245
.LBB112_1177:                           ;   in Loop: Header=BB112_1040 Depth=2
	s_or_b32 exec_lo, exec_lo, s17
	s_and_saveexec_b32 s17, s30
	s_cbranch_execnz .LBB112_1246
.LBB112_1178:                           ;   in Loop: Header=BB112_1040 Depth=2
	s_or_b32 exec_lo, exec_lo, s17
	s_and_saveexec_b32 s17, s31
	s_cbranch_execnz .LBB112_1247
.LBB112_1179:                           ;   in Loop: Header=BB112_1040 Depth=2
	s_or_b32 exec_lo, exec_lo, s17
	s_and_saveexec_b32 s17, s33
	s_cbranch_execz .LBB112_1181
.LBB112_1180:                           ;   in Loop: Header=BB112_1040 Depth=2
	v_lshlrev_b32_e32 v63, 2, v115
	ds_load_b32 v64, v63
	ds_load_b64 v[62:63], v62 offset:33280
	s_wait_dscnt 0x1
	v_add_nc_u32_e32 v64, v64, v82
	s_wait_dscnt 0x0
	global_store_b64 v64, v[62:63], s[46:47] scale_offset
.LBB112_1181:                           ;   in Loop: Header=BB112_1040 Depth=2
	s_wait_xcnt 0x0
	s_or_b32 exec_lo, exec_lo, s17
	s_wait_storecnt 0x0
	s_barrier_signal -1
	s_barrier_wait -1
	s_and_saveexec_b32 s17, s0
	s_cbranch_execz .LBB112_1039
; %bb.1182:                             ;   in Loop: Header=BB112_1040 Depth=2
	ds_load_b32 v62, v66
	s_wait_dscnt 0x0
	v_add3_u32 v62, v133, v134, v62
	ds_store_b32 v66, v62
	s_branch .LBB112_1039
.LBB112_1183:                           ;   in Loop: Header=BB112_1040 Depth=2
	ds_load_u8 v62, v2 offset:512
	s_wait_dscnt 0x0
	v_and_b32_e32 v63, 0xff, v62
	s_delay_alu instid0(VALU_DEP_1) | instskip(NEXT) | instid1(VALU_DEP_1)
	v_dual_lshrrev_b32 v63, s49, v63 :: v_dual_bitop2_b32 v62, -1, v62 bitop3:0x14
	v_and_b32_e32 v63, s48, v63
	s_delay_alu instid0(VALU_DEP_1)
	v_lshlrev_b32_e32 v63, 2, v63
	ds_load_b32 v63, v63
	s_wait_dscnt 0x0
	v_add_nc_u32_e32 v63, v63, v2
	global_store_b8 v63, v62, s[40:41]
	s_wait_xcnt 0x0
	s_or_b32 exec_lo, exec_lo, s17
	v_cmp_lt_u32_e64 s17, v67, v137
	s_and_saveexec_b32 s18, s17
	s_cbranch_execz .LBB112_1112
.LBB112_1184:                           ;   in Loop: Header=BB112_1040 Depth=2
	ds_load_u8 v62, v2 offset:768
	s_wait_dscnt 0x0
	v_and_b32_e32 v63, 0xff, v62
	s_delay_alu instid0(VALU_DEP_1) | instskip(NEXT) | instid1(VALU_DEP_1)
	v_dual_lshrrev_b32 v63, s49, v63 :: v_dual_bitop2_b32 v62, -1, v62 bitop3:0x14
	v_and_b32_e32 v63, s48, v63
	s_delay_alu instid0(VALU_DEP_1)
	v_lshlrev_b32_e32 v63, 2, v63
	ds_load_b32 v63, v63
	s_wait_dscnt 0x0
	v_add_nc_u32_e32 v63, v63, v67
	global_store_b8 v63, v62, s[40:41]
	s_wait_xcnt 0x0
	s_or_b32 exec_lo, exec_lo, s18
	v_cmp_lt_u32_e64 s18, v68, v137
	s_and_saveexec_b32 s19, s18
	s_cbranch_execz .LBB112_1113
.LBB112_1185:                           ;   in Loop: Header=BB112_1040 Depth=2
	ds_load_u8 v62, v2 offset:1024
	s_wait_dscnt 0x0
	v_and_b32_e32 v63, 0xff, v62
	s_delay_alu instid0(VALU_DEP_1) | instskip(NEXT) | instid1(VALU_DEP_1)
	v_dual_lshrrev_b32 v63, s49, v63 :: v_dual_bitop2_b32 v62, -1, v62 bitop3:0x14
	v_and_b32_e32 v63, s48, v63
	s_delay_alu instid0(VALU_DEP_1)
	v_lshlrev_b32_e32 v63, 2, v63
	ds_load_b32 v63, v63
	s_wait_dscnt 0x0
	v_add_nc_u32_e32 v63, v63, v68
	global_store_b8 v63, v62, s[40:41]
	s_wait_xcnt 0x0
	s_or_b32 exec_lo, exec_lo, s19
	v_cmp_lt_u32_e64 s19, v69, v137
	s_and_saveexec_b32 s20, s19
	s_cbranch_execz .LBB112_1114
.LBB112_1186:                           ;   in Loop: Header=BB112_1040 Depth=2
	ds_load_u8 v62, v2 offset:1280
	s_wait_dscnt 0x0
	v_and_b32_e32 v63, 0xff, v62
	s_delay_alu instid0(VALU_DEP_1) | instskip(NEXT) | instid1(VALU_DEP_1)
	v_dual_lshrrev_b32 v63, s49, v63 :: v_dual_bitop2_b32 v62, -1, v62 bitop3:0x14
	v_and_b32_e32 v63, s48, v63
	s_delay_alu instid0(VALU_DEP_1)
	v_lshlrev_b32_e32 v63, 2, v63
	ds_load_b32 v63, v63
	s_wait_dscnt 0x0
	v_add_nc_u32_e32 v63, v63, v69
	global_store_b8 v63, v62, s[40:41]
	s_wait_xcnt 0x0
	s_or_b32 exec_lo, exec_lo, s20
	v_cmp_lt_u32_e64 s20, v70, v137
	s_and_saveexec_b32 s21, s20
	s_cbranch_execz .LBB112_1115
.LBB112_1187:                           ;   in Loop: Header=BB112_1040 Depth=2
	ds_load_u8 v62, v2 offset:1536
	s_wait_dscnt 0x0
	v_and_b32_e32 v63, 0xff, v62
	s_delay_alu instid0(VALU_DEP_1) | instskip(NEXT) | instid1(VALU_DEP_1)
	v_dual_lshrrev_b32 v63, s49, v63 :: v_dual_bitop2_b32 v62, -1, v62 bitop3:0x14
	v_and_b32_e32 v63, s48, v63
	s_delay_alu instid0(VALU_DEP_1)
	v_lshlrev_b32_e32 v63, 2, v63
	ds_load_b32 v63, v63
	s_wait_dscnt 0x0
	v_add_nc_u32_e32 v63, v63, v70
	global_store_b8 v63, v62, s[40:41]
	s_wait_xcnt 0x0
	s_or_b32 exec_lo, exec_lo, s21
	v_cmp_lt_u32_e64 s21, v71, v137
	s_and_saveexec_b32 s22, s21
	s_cbranch_execz .LBB112_1116
.LBB112_1188:                           ;   in Loop: Header=BB112_1040 Depth=2
	ds_load_u8 v62, v2 offset:1792
	s_wait_dscnt 0x0
	v_and_b32_e32 v63, 0xff, v62
	s_delay_alu instid0(VALU_DEP_1) | instskip(NEXT) | instid1(VALU_DEP_1)
	v_dual_lshrrev_b32 v63, s49, v63 :: v_dual_bitop2_b32 v62, -1, v62 bitop3:0x14
	v_and_b32_e32 v63, s48, v63
	s_delay_alu instid0(VALU_DEP_1)
	v_lshlrev_b32_e32 v63, 2, v63
	ds_load_b32 v63, v63
	s_wait_dscnt 0x0
	v_add_nc_u32_e32 v63, v63, v71
	global_store_b8 v63, v62, s[40:41]
	s_wait_xcnt 0x0
	s_or_b32 exec_lo, exec_lo, s22
	v_cmp_lt_u32_e64 s22, v72, v137
	s_and_saveexec_b32 s23, s22
	s_cbranch_execz .LBB112_1117
.LBB112_1189:                           ;   in Loop: Header=BB112_1040 Depth=2
	ds_load_u8 v62, v2 offset:2048
	s_wait_dscnt 0x0
	v_and_b32_e32 v63, 0xff, v62
	s_delay_alu instid0(VALU_DEP_1) | instskip(NEXT) | instid1(VALU_DEP_1)
	v_dual_lshrrev_b32 v63, s49, v63 :: v_dual_bitop2_b32 v62, -1, v62 bitop3:0x14
	v_and_b32_e32 v63, s48, v63
	s_delay_alu instid0(VALU_DEP_1)
	v_lshlrev_b32_e32 v63, 2, v63
	ds_load_b32 v63, v63
	s_wait_dscnt 0x0
	v_add_nc_u32_e32 v63, v63, v72
	global_store_b8 v63, v62, s[40:41]
	s_wait_xcnt 0x0
	s_or_b32 exec_lo, exec_lo, s23
	v_cmp_lt_u32_e64 s23, v73, v137
	s_and_saveexec_b32 s24, s23
	s_cbranch_execz .LBB112_1118
.LBB112_1190:                           ;   in Loop: Header=BB112_1040 Depth=2
	ds_load_u8 v62, v2 offset:2304
	s_wait_dscnt 0x0
	v_and_b32_e32 v63, 0xff, v62
	s_delay_alu instid0(VALU_DEP_1) | instskip(NEXT) | instid1(VALU_DEP_1)
	v_dual_lshrrev_b32 v63, s49, v63 :: v_dual_bitop2_b32 v62, -1, v62 bitop3:0x14
	v_and_b32_e32 v63, s48, v63
	s_delay_alu instid0(VALU_DEP_1)
	v_lshlrev_b32_e32 v63, 2, v63
	ds_load_b32 v63, v63
	s_wait_dscnt 0x0
	v_add_nc_u32_e32 v63, v63, v73
	global_store_b8 v63, v62, s[40:41]
	s_wait_xcnt 0x0
	s_or_b32 exec_lo, exec_lo, s24
	v_cmp_lt_u32_e64 s24, v74, v137
	s_and_saveexec_b32 s25, s24
	s_cbranch_execz .LBB112_1119
.LBB112_1191:                           ;   in Loop: Header=BB112_1040 Depth=2
	ds_load_u8 v62, v2 offset:2560
	s_wait_dscnt 0x0
	v_and_b32_e32 v63, 0xff, v62
	s_delay_alu instid0(VALU_DEP_1) | instskip(NEXT) | instid1(VALU_DEP_1)
	v_dual_lshrrev_b32 v63, s49, v63 :: v_dual_bitop2_b32 v62, -1, v62 bitop3:0x14
	v_and_b32_e32 v63, s48, v63
	s_delay_alu instid0(VALU_DEP_1)
	v_lshlrev_b32_e32 v63, 2, v63
	ds_load_b32 v63, v63
	s_wait_dscnt 0x0
	v_add_nc_u32_e32 v63, v63, v74
	global_store_b8 v63, v62, s[40:41]
	s_wait_xcnt 0x0
	s_or_b32 exec_lo, exec_lo, s25
	v_cmp_lt_u32_e64 s25, v75, v137
	s_and_saveexec_b32 s26, s25
	s_cbranch_execz .LBB112_1120
.LBB112_1192:                           ;   in Loop: Header=BB112_1040 Depth=2
	ds_load_u8 v62, v2 offset:2816
	s_wait_dscnt 0x0
	v_and_b32_e32 v63, 0xff, v62
	s_delay_alu instid0(VALU_DEP_1) | instskip(NEXT) | instid1(VALU_DEP_1)
	v_dual_lshrrev_b32 v63, s49, v63 :: v_dual_bitop2_b32 v62, -1, v62 bitop3:0x14
	v_and_b32_e32 v63, s48, v63
	s_delay_alu instid0(VALU_DEP_1)
	v_lshlrev_b32_e32 v63, 2, v63
	ds_load_b32 v63, v63
	s_wait_dscnt 0x0
	v_add_nc_u32_e32 v63, v63, v75
	global_store_b8 v63, v62, s[40:41]
	s_wait_xcnt 0x0
	s_or_b32 exec_lo, exec_lo, s26
	v_cmp_lt_u32_e64 s26, v76, v137
	s_and_saveexec_b32 s27, s26
	s_cbranch_execz .LBB112_1121
.LBB112_1193:                           ;   in Loop: Header=BB112_1040 Depth=2
	ds_load_u8 v62, v2 offset:3072
	s_wait_dscnt 0x0
	v_and_b32_e32 v63, 0xff, v62
	s_delay_alu instid0(VALU_DEP_1) | instskip(NEXT) | instid1(VALU_DEP_1)
	v_dual_lshrrev_b32 v63, s49, v63 :: v_dual_bitop2_b32 v62, -1, v62 bitop3:0x14
	v_and_b32_e32 v63, s48, v63
	s_delay_alu instid0(VALU_DEP_1)
	v_lshlrev_b32_e32 v63, 2, v63
	ds_load_b32 v63, v63
	s_wait_dscnt 0x0
	v_add_nc_u32_e32 v63, v63, v76
	global_store_b8 v63, v62, s[40:41]
	s_wait_xcnt 0x0
	s_or_b32 exec_lo, exec_lo, s27
	v_cmp_lt_u32_e64 s27, v77, v137
	s_and_saveexec_b32 s28, s27
	s_cbranch_execz .LBB112_1122
.LBB112_1194:                           ;   in Loop: Header=BB112_1040 Depth=2
	ds_load_u8 v62, v2 offset:3328
	s_wait_dscnt 0x0
	v_and_b32_e32 v63, 0xff, v62
	s_delay_alu instid0(VALU_DEP_1) | instskip(NEXT) | instid1(VALU_DEP_1)
	v_dual_lshrrev_b32 v63, s49, v63 :: v_dual_bitop2_b32 v62, -1, v62 bitop3:0x14
	v_and_b32_e32 v63, s48, v63
	s_delay_alu instid0(VALU_DEP_1)
	v_lshlrev_b32_e32 v63, 2, v63
	ds_load_b32 v63, v63
	s_wait_dscnt 0x0
	v_add_nc_u32_e32 v63, v63, v77
	global_store_b8 v63, v62, s[40:41]
	s_wait_xcnt 0x0
	s_or_b32 exec_lo, exec_lo, s28
	v_cmp_lt_u32_e64 s28, v78, v137
	s_and_saveexec_b32 s29, s28
	s_cbranch_execz .LBB112_1123
.LBB112_1195:                           ;   in Loop: Header=BB112_1040 Depth=2
	ds_load_u8 v62, v2 offset:3584
	s_wait_dscnt 0x0
	v_and_b32_e32 v63, 0xff, v62
	s_delay_alu instid0(VALU_DEP_1) | instskip(NEXT) | instid1(VALU_DEP_1)
	v_dual_lshrrev_b32 v63, s49, v63 :: v_dual_bitop2_b32 v62, -1, v62 bitop3:0x14
	v_and_b32_e32 v63, s48, v63
	s_delay_alu instid0(VALU_DEP_1)
	v_lshlrev_b32_e32 v63, 2, v63
	ds_load_b32 v63, v63
	s_wait_dscnt 0x0
	v_add_nc_u32_e32 v63, v63, v78
	global_store_b8 v63, v62, s[40:41]
	s_wait_xcnt 0x0
	s_or_b32 exec_lo, exec_lo, s29
	v_cmp_lt_u32_e64 s29, v79, v137
	s_and_saveexec_b32 s30, s29
	s_cbranch_execz .LBB112_1124
.LBB112_1196:                           ;   in Loop: Header=BB112_1040 Depth=2
	ds_load_u8 v62, v2 offset:3840
	s_wait_dscnt 0x0
	v_and_b32_e32 v63, 0xff, v62
	s_delay_alu instid0(VALU_DEP_1) | instskip(NEXT) | instid1(VALU_DEP_1)
	v_dual_lshrrev_b32 v63, s49, v63 :: v_dual_bitop2_b32 v62, -1, v62 bitop3:0x14
	v_and_b32_e32 v63, s48, v63
	s_delay_alu instid0(VALU_DEP_1)
	v_lshlrev_b32_e32 v63, 2, v63
	ds_load_b32 v63, v63
	s_wait_dscnt 0x0
	v_add_nc_u32_e32 v63, v63, v79
	global_store_b8 v63, v62, s[40:41]
	s_wait_xcnt 0x0
	s_or_b32 exec_lo, exec_lo, s30
	v_cmp_lt_u32_e64 s30, v80, v137
	s_and_saveexec_b32 s31, s30
	s_cbranch_execz .LBB112_1125
.LBB112_1197:                           ;   in Loop: Header=BB112_1040 Depth=2
	ds_load_u8 v62, v2 offset:4096
	s_wait_dscnt 0x0
	v_and_b32_e32 v63, 0xff, v62
	s_delay_alu instid0(VALU_DEP_1) | instskip(NEXT) | instid1(VALU_DEP_1)
	v_dual_lshrrev_b32 v63, s49, v63 :: v_dual_bitop2_b32 v62, -1, v62 bitop3:0x14
	v_and_b32_e32 v63, s48, v63
	s_delay_alu instid0(VALU_DEP_1)
	v_lshlrev_b32_e32 v63, 2, v63
	ds_load_b32 v63, v63
	s_wait_dscnt 0x0
	v_add_nc_u32_e32 v63, v63, v80
	global_store_b8 v63, v62, s[40:41]
	s_wait_xcnt 0x0
	s_or_b32 exec_lo, exec_lo, s31
	v_cmp_lt_u32_e64 s31, v81, v137
	s_and_saveexec_b32 s33, s31
	s_cbranch_execz .LBB112_1126
.LBB112_1198:                           ;   in Loop: Header=BB112_1040 Depth=2
	ds_load_u8 v62, v2 offset:4352
	s_wait_dscnt 0x0
	v_and_b32_e32 v63, 0xff, v62
	s_delay_alu instid0(VALU_DEP_1) | instskip(NEXT) | instid1(VALU_DEP_1)
	v_dual_lshrrev_b32 v63, s49, v63 :: v_dual_bitop2_b32 v62, -1, v62 bitop3:0x14
	v_and_b32_e32 v63, s48, v63
	s_delay_alu instid0(VALU_DEP_1)
	v_lshlrev_b32_e32 v63, 2, v63
	ds_load_b32 v63, v63
	s_wait_dscnt 0x0
	v_add_nc_u32_e32 v63, v63, v81
	global_store_b8 v63, v62, s[40:41]
	s_wait_xcnt 0x0
	s_or_b32 exec_lo, exec_lo, s33
	v_cmp_lt_u32_e64 s33, v82, v137
	s_and_saveexec_b32 s60, s33
	s_cbranch_execnz .LBB112_1127
	s_branch .LBB112_1128
.LBB112_1199:                           ;   in Loop: Header=BB112_1040 Depth=2
	global_load_b64 v[60:61], v[62:63], off
	s_wait_xcnt 0x0
	s_or_b32 exec_lo, exec_lo, s34
	s_delay_alu instid0(SALU_CYCLE_1)
	s_mov_b32 s60, exec_lo
	v_cmpx_lt_u32_e64 v98, v137
	s_cbranch_execz .LBB112_1130
.LBB112_1200:                           ;   in Loop: Header=BB112_1040 Depth=2
	global_load_b64 v[58:59], v[62:63], off offset:256
	s_wait_xcnt 0x0
	s_or_b32 exec_lo, exec_lo, s60
	s_delay_alu instid0(SALU_CYCLE_1)
	s_mov_b32 s60, exec_lo
	v_cmpx_lt_u32_e64 v99, v137
	s_cbranch_execz .LBB112_1131
.LBB112_1201:                           ;   in Loop: Header=BB112_1040 Depth=2
	global_load_b64 v[56:57], v[62:63], off offset:512
	s_wait_xcnt 0x0
	s_or_b32 exec_lo, exec_lo, s60
	s_delay_alu instid0(SALU_CYCLE_1)
	s_mov_b32 s60, exec_lo
	v_cmpx_lt_u32_e64 v100, v137
	s_cbranch_execz .LBB112_1132
.LBB112_1202:                           ;   in Loop: Header=BB112_1040 Depth=2
	global_load_b64 v[54:55], v[62:63], off offset:768
	s_wait_xcnt 0x0
	s_or_b32 exec_lo, exec_lo, s60
	s_delay_alu instid0(SALU_CYCLE_1)
	s_mov_b32 s60, exec_lo
	v_cmpx_lt_u32_e64 v101, v137
	s_cbranch_execz .LBB112_1133
.LBB112_1203:                           ;   in Loop: Header=BB112_1040 Depth=2
	global_load_b64 v[52:53], v[62:63], off offset:1024
	s_wait_xcnt 0x0
	s_or_b32 exec_lo, exec_lo, s60
	s_delay_alu instid0(SALU_CYCLE_1)
	s_mov_b32 s60, exec_lo
	v_cmpx_lt_u32_e64 v102, v137
	s_cbranch_execz .LBB112_1134
.LBB112_1204:                           ;   in Loop: Header=BB112_1040 Depth=2
	global_load_b64 v[50:51], v[62:63], off offset:1280
	s_wait_xcnt 0x0
	s_or_b32 exec_lo, exec_lo, s60
	s_delay_alu instid0(SALU_CYCLE_1)
	s_mov_b32 s60, exec_lo
	v_cmpx_lt_u32_e64 v103, v137
	s_cbranch_execz .LBB112_1135
.LBB112_1205:                           ;   in Loop: Header=BB112_1040 Depth=2
	global_load_b64 v[48:49], v[62:63], off offset:1536
	s_wait_xcnt 0x0
	s_or_b32 exec_lo, exec_lo, s60
	s_delay_alu instid0(SALU_CYCLE_1)
	s_mov_b32 s60, exec_lo
	v_cmpx_lt_u32_e64 v104, v137
	s_cbranch_execz .LBB112_1136
.LBB112_1206:                           ;   in Loop: Header=BB112_1040 Depth=2
	global_load_b64 v[46:47], v[62:63], off offset:1792
	s_wait_xcnt 0x0
	s_or_b32 exec_lo, exec_lo, s60
	s_delay_alu instid0(SALU_CYCLE_1)
	s_mov_b32 s60, exec_lo
	v_cmpx_lt_u32_e64 v105, v137
	s_cbranch_execz .LBB112_1137
.LBB112_1207:                           ;   in Loop: Header=BB112_1040 Depth=2
	global_load_b64 v[44:45], v[62:63], off offset:2048
	s_wait_xcnt 0x0
	s_or_b32 exec_lo, exec_lo, s60
	s_delay_alu instid0(SALU_CYCLE_1)
	s_mov_b32 s60, exec_lo
	v_cmpx_lt_u32_e64 v106, v137
	s_cbranch_execz .LBB112_1138
.LBB112_1208:                           ;   in Loop: Header=BB112_1040 Depth=2
	global_load_b64 v[42:43], v[62:63], off offset:2304
	s_wait_xcnt 0x0
	s_or_b32 exec_lo, exec_lo, s60
	s_delay_alu instid0(SALU_CYCLE_1)
	s_mov_b32 s60, exec_lo
	v_cmpx_lt_u32_e64 v107, v137
	s_cbranch_execz .LBB112_1139
.LBB112_1209:                           ;   in Loop: Header=BB112_1040 Depth=2
	global_load_b64 v[40:41], v[62:63], off offset:2560
	s_wait_xcnt 0x0
	s_or_b32 exec_lo, exec_lo, s60
	s_delay_alu instid0(SALU_CYCLE_1)
	s_mov_b32 s60, exec_lo
	v_cmpx_lt_u32_e64 v108, v137
	s_cbranch_execz .LBB112_1140
.LBB112_1210:                           ;   in Loop: Header=BB112_1040 Depth=2
	global_load_b64 v[38:39], v[62:63], off offset:2816
	s_wait_xcnt 0x0
	s_or_b32 exec_lo, exec_lo, s60
	s_delay_alu instid0(SALU_CYCLE_1)
	s_mov_b32 s60, exec_lo
	v_cmpx_lt_u32_e64 v109, v137
	s_cbranch_execz .LBB112_1141
.LBB112_1211:                           ;   in Loop: Header=BB112_1040 Depth=2
	global_load_b64 v[36:37], v[62:63], off offset:3072
	s_wait_xcnt 0x0
	s_or_b32 exec_lo, exec_lo, s60
	s_delay_alu instid0(SALU_CYCLE_1)
	s_mov_b32 s60, exec_lo
	v_cmpx_lt_u32_e64 v110, v137
	s_cbranch_execz .LBB112_1142
.LBB112_1212:                           ;   in Loop: Header=BB112_1040 Depth=2
	global_load_b64 v[34:35], v[62:63], off offset:3328
	s_wait_xcnt 0x0
	s_or_b32 exec_lo, exec_lo, s60
	s_delay_alu instid0(SALU_CYCLE_1)
	s_mov_b32 s60, exec_lo
	v_cmpx_lt_u32_e64 v111, v137
	s_cbranch_execz .LBB112_1143
.LBB112_1213:                           ;   in Loop: Header=BB112_1040 Depth=2
	global_load_b64 v[32:33], v[62:63], off offset:3584
	s_wait_xcnt 0x0
	s_or_b32 exec_lo, exec_lo, s60
	s_delay_alu instid0(SALU_CYCLE_1)
	s_mov_b32 s60, exec_lo
	v_cmpx_lt_u32_e64 v112, v137
	s_cbranch_execz .LBB112_1144
.LBB112_1214:                           ;   in Loop: Header=BB112_1040 Depth=2
	global_load_b64 v[30:31], v[62:63], off offset:3840
	s_wait_xcnt 0x0
	s_or_b32 exec_lo, exec_lo, s60
	s_delay_alu instid0(SALU_CYCLE_1)
	s_mov_b32 s60, exec_lo
	v_cmpx_lt_u32_e64 v113, v137
	s_cbranch_execz .LBB112_1145
.LBB112_1215:                           ;   in Loop: Header=BB112_1040 Depth=2
	global_load_b64 v[28:29], v[62:63], off offset:4096
	s_wait_xcnt 0x0
	s_or_b32 exec_lo, exec_lo, s60
	s_and_saveexec_b32 s34, vcc_lo
	s_cbranch_execz .LBB112_1146
.LBB112_1216:                           ;   in Loop: Header=BB112_1040 Depth=2
	ds_load_u8 v62, v2 offset:512
	s_wait_dscnt 0x0
	v_lshrrev_b32_e32 v62, s49, v62
	s_delay_alu instid0(VALU_DEP_1)
	v_and_b32_e32 v132, s48, v62
	s_or_b32 exec_lo, exec_lo, s34
	s_and_saveexec_b32 s34, s17
	s_cbranch_execz .LBB112_1147
.LBB112_1217:                           ;   in Loop: Header=BB112_1040 Depth=2
	ds_load_u8 v62, v2 offset:768
	s_wait_dscnt 0x0
	v_lshrrev_b32_e32 v62, s49, v62
	s_delay_alu instid0(VALU_DEP_1)
	v_and_b32_e32 v131, s48, v62
	s_or_b32 exec_lo, exec_lo, s34
	s_and_saveexec_b32 s34, s18
	s_cbranch_execz .LBB112_1148
.LBB112_1218:                           ;   in Loop: Header=BB112_1040 Depth=2
	ds_load_u8 v62, v2 offset:1024
	s_wait_dscnt 0x0
	v_lshrrev_b32_e32 v62, s49, v62
	s_delay_alu instid0(VALU_DEP_1)
	v_and_b32_e32 v130, s48, v62
	s_or_b32 exec_lo, exec_lo, s34
	s_and_saveexec_b32 s34, s19
	s_cbranch_execz .LBB112_1149
.LBB112_1219:                           ;   in Loop: Header=BB112_1040 Depth=2
	ds_load_u8 v62, v2 offset:1280
	s_wait_dscnt 0x0
	v_lshrrev_b32_e32 v62, s49, v62
	s_delay_alu instid0(VALU_DEP_1)
	v_and_b32_e32 v129, s48, v62
	s_or_b32 exec_lo, exec_lo, s34
	s_and_saveexec_b32 s34, s20
	s_cbranch_execz .LBB112_1150
.LBB112_1220:                           ;   in Loop: Header=BB112_1040 Depth=2
	ds_load_u8 v62, v2 offset:1536
	s_wait_dscnt 0x0
	v_lshrrev_b32_e32 v62, s49, v62
	s_delay_alu instid0(VALU_DEP_1)
	v_and_b32_e32 v128, s48, v62
	s_or_b32 exec_lo, exec_lo, s34
	s_and_saveexec_b32 s34, s21
	s_cbranch_execz .LBB112_1151
.LBB112_1221:                           ;   in Loop: Header=BB112_1040 Depth=2
	ds_load_u8 v62, v2 offset:1792
	s_wait_dscnt 0x0
	v_lshrrev_b32_e32 v62, s49, v62
	s_delay_alu instid0(VALU_DEP_1)
	v_and_b32_e32 v127, s48, v62
	s_or_b32 exec_lo, exec_lo, s34
	s_and_saveexec_b32 s34, s22
	s_cbranch_execz .LBB112_1152
.LBB112_1222:                           ;   in Loop: Header=BB112_1040 Depth=2
	ds_load_u8 v62, v2 offset:2048
	s_wait_dscnt 0x0
	v_lshrrev_b32_e32 v62, s49, v62
	s_delay_alu instid0(VALU_DEP_1)
	v_and_b32_e32 v126, s48, v62
	s_or_b32 exec_lo, exec_lo, s34
	s_and_saveexec_b32 s34, s23
	s_cbranch_execz .LBB112_1153
.LBB112_1223:                           ;   in Loop: Header=BB112_1040 Depth=2
	ds_load_u8 v62, v2 offset:2304
	s_wait_dscnt 0x0
	v_lshrrev_b32_e32 v62, s49, v62
	s_delay_alu instid0(VALU_DEP_1)
	v_and_b32_e32 v125, s48, v62
	s_or_b32 exec_lo, exec_lo, s34
	s_and_saveexec_b32 s34, s24
	s_cbranch_execz .LBB112_1154
.LBB112_1224:                           ;   in Loop: Header=BB112_1040 Depth=2
	ds_load_u8 v62, v2 offset:2560
	s_wait_dscnt 0x0
	v_lshrrev_b32_e32 v62, s49, v62
	s_delay_alu instid0(VALU_DEP_1)
	v_and_b32_e32 v124, s48, v62
	s_or_b32 exec_lo, exec_lo, s34
	s_and_saveexec_b32 s34, s25
	s_cbranch_execz .LBB112_1155
.LBB112_1225:                           ;   in Loop: Header=BB112_1040 Depth=2
	ds_load_u8 v62, v2 offset:2816
	s_wait_dscnt 0x0
	v_lshrrev_b32_e32 v62, s49, v62
	s_delay_alu instid0(VALU_DEP_1)
	v_and_b32_e32 v123, s48, v62
	s_or_b32 exec_lo, exec_lo, s34
	s_and_saveexec_b32 s34, s26
	s_cbranch_execz .LBB112_1156
.LBB112_1226:                           ;   in Loop: Header=BB112_1040 Depth=2
	ds_load_u8 v62, v2 offset:3072
	s_wait_dscnt 0x0
	v_lshrrev_b32_e32 v62, s49, v62
	s_delay_alu instid0(VALU_DEP_1)
	v_and_b32_e32 v122, s48, v62
	s_or_b32 exec_lo, exec_lo, s34
	s_and_saveexec_b32 s34, s27
	s_cbranch_execz .LBB112_1157
.LBB112_1227:                           ;   in Loop: Header=BB112_1040 Depth=2
	ds_load_u8 v62, v2 offset:3328
	s_wait_dscnt 0x0
	v_lshrrev_b32_e32 v62, s49, v62
	s_delay_alu instid0(VALU_DEP_1)
	v_and_b32_e32 v120, s48, v62
	s_or_b32 exec_lo, exec_lo, s34
	s_and_saveexec_b32 s34, s28
	s_cbranch_execz .LBB112_1158
.LBB112_1228:                           ;   in Loop: Header=BB112_1040 Depth=2
	ds_load_u8 v62, v2 offset:3584
	s_wait_dscnt 0x0
	v_lshrrev_b32_e32 v62, s49, v62
	s_delay_alu instid0(VALU_DEP_1)
	v_and_b32_e32 v119, s48, v62
	s_or_b32 exec_lo, exec_lo, s34
	s_and_saveexec_b32 s34, s29
	s_cbranch_execz .LBB112_1159
.LBB112_1229:                           ;   in Loop: Header=BB112_1040 Depth=2
	ds_load_u8 v62, v2 offset:3840
	s_wait_dscnt 0x0
	v_lshrrev_b32_e32 v62, s49, v62
	s_delay_alu instid0(VALU_DEP_1)
	v_and_b32_e32 v118, s48, v62
	s_or_b32 exec_lo, exec_lo, s34
	s_and_saveexec_b32 s34, s30
	s_cbranch_execz .LBB112_1160
.LBB112_1230:                           ;   in Loop: Header=BB112_1040 Depth=2
	ds_load_u8 v62, v2 offset:4096
	s_wait_dscnt 0x0
	v_lshrrev_b32_e32 v62, s49, v62
	s_delay_alu instid0(VALU_DEP_1)
	v_and_b32_e32 v117, s48, v62
	s_or_b32 exec_lo, exec_lo, s34
	s_and_saveexec_b32 s34, s31
	s_cbranch_execz .LBB112_1161
.LBB112_1231:                           ;   in Loop: Header=BB112_1040 Depth=2
	ds_load_u8 v62, v2 offset:4352
	s_wait_dscnt 0x0
	v_lshrrev_b32_e32 v62, s49, v62
	s_delay_alu instid0(VALU_DEP_1)
	v_and_b32_e32 v116, s48, v62
	s_or_b32 exec_lo, exec_lo, s34
	s_and_saveexec_b32 s34, s33
	s_cbranch_execnz .LBB112_1162
	s_branch .LBB112_1163
.LBB112_1232:                           ;   in Loop: Header=BB112_1040 Depth=2
	v_lshlrev_b32_e32 v63, 2, v132
	ds_load_b32 v63, v63
	ds_load_b64 v[64:65], v62 offset:512
	s_wait_dscnt 0x1
	v_add_nc_u32_e32 v63, v63, v2
	s_wait_dscnt 0x0
	global_store_b64 v63, v[64:65], s[46:47] scale_offset
	s_wait_xcnt 0x0
	s_or_b32 exec_lo, exec_lo, s34
	s_and_saveexec_b32 s34, s17
	s_cbranch_execz .LBB112_1165
.LBB112_1233:                           ;   in Loop: Header=BB112_1040 Depth=2
	v_lshlrev_b32_e32 v63, 2, v131
	ds_load_b32 v63, v63
	ds_load_b64 v[64:65], v62 offset:2560
	s_wait_dscnt 0x1
	v_add_nc_u32_e32 v63, v63, v67
	s_wait_dscnt 0x0
	global_store_b64 v63, v[64:65], s[46:47] scale_offset
	s_wait_xcnt 0x0
	s_or_b32 exec_lo, exec_lo, s34
	s_and_saveexec_b32 s17, s18
	s_cbranch_execz .LBB112_1166
.LBB112_1234:                           ;   in Loop: Header=BB112_1040 Depth=2
	v_lshlrev_b32_e32 v63, 2, v130
	ds_load_b32 v63, v63
	ds_load_b64 v[64:65], v62 offset:4608
	s_wait_dscnt 0x1
	v_add_nc_u32_e32 v63, v63, v68
	s_wait_dscnt 0x0
	global_store_b64 v63, v[64:65], s[46:47] scale_offset
	s_wait_xcnt 0x0
	s_or_b32 exec_lo, exec_lo, s17
	s_and_saveexec_b32 s17, s19
	s_cbranch_execz .LBB112_1167
.LBB112_1235:                           ;   in Loop: Header=BB112_1040 Depth=2
	v_lshlrev_b32_e32 v63, 2, v129
	ds_load_b32 v63, v63
	ds_load_b64 v[64:65], v62 offset:6656
	s_wait_dscnt 0x1
	v_add_nc_u32_e32 v63, v63, v69
	s_wait_dscnt 0x0
	global_store_b64 v63, v[64:65], s[46:47] scale_offset
	s_wait_xcnt 0x0
	s_or_b32 exec_lo, exec_lo, s17
	s_and_saveexec_b32 s17, s20
	s_cbranch_execz .LBB112_1168
.LBB112_1236:                           ;   in Loop: Header=BB112_1040 Depth=2
	v_lshlrev_b32_e32 v63, 2, v128
	ds_load_b32 v63, v63
	ds_load_b64 v[64:65], v62 offset:8704
	s_wait_dscnt 0x1
	v_add_nc_u32_e32 v63, v63, v70
	s_wait_dscnt 0x0
	global_store_b64 v63, v[64:65], s[46:47] scale_offset
	s_wait_xcnt 0x0
	s_or_b32 exec_lo, exec_lo, s17
	s_and_saveexec_b32 s17, s21
	s_cbranch_execz .LBB112_1169
.LBB112_1237:                           ;   in Loop: Header=BB112_1040 Depth=2
	v_lshlrev_b32_e32 v63, 2, v127
	ds_load_b32 v63, v63
	ds_load_b64 v[64:65], v62 offset:10752
	s_wait_dscnt 0x1
	v_add_nc_u32_e32 v63, v63, v71
	s_wait_dscnt 0x0
	global_store_b64 v63, v[64:65], s[46:47] scale_offset
	s_wait_xcnt 0x0
	s_or_b32 exec_lo, exec_lo, s17
	s_and_saveexec_b32 s17, s22
	s_cbranch_execz .LBB112_1170
.LBB112_1238:                           ;   in Loop: Header=BB112_1040 Depth=2
	v_lshlrev_b32_e32 v63, 2, v126
	ds_load_b32 v63, v63
	ds_load_b64 v[64:65], v62 offset:12800
	s_wait_dscnt 0x1
	v_add_nc_u32_e32 v63, v63, v72
	s_wait_dscnt 0x0
	global_store_b64 v63, v[64:65], s[46:47] scale_offset
	s_wait_xcnt 0x0
	s_or_b32 exec_lo, exec_lo, s17
	s_and_saveexec_b32 s17, s23
	s_cbranch_execz .LBB112_1171
.LBB112_1239:                           ;   in Loop: Header=BB112_1040 Depth=2
	v_lshlrev_b32_e32 v63, 2, v125
	ds_load_b32 v63, v63
	ds_load_b64 v[64:65], v62 offset:14848
	s_wait_dscnt 0x1
	v_add_nc_u32_e32 v63, v63, v73
	s_wait_dscnt 0x0
	global_store_b64 v63, v[64:65], s[46:47] scale_offset
	s_wait_xcnt 0x0
	s_or_b32 exec_lo, exec_lo, s17
	s_and_saveexec_b32 s17, s24
	s_cbranch_execz .LBB112_1172
.LBB112_1240:                           ;   in Loop: Header=BB112_1040 Depth=2
	v_lshlrev_b32_e32 v63, 2, v124
	ds_load_b32 v63, v63
	ds_load_b64 v[64:65], v62 offset:16896
	s_wait_dscnt 0x1
	v_add_nc_u32_e32 v63, v63, v74
	s_wait_dscnt 0x0
	global_store_b64 v63, v[64:65], s[46:47] scale_offset
	s_wait_xcnt 0x0
	s_or_b32 exec_lo, exec_lo, s17
	s_and_saveexec_b32 s17, s25
	s_cbranch_execz .LBB112_1173
.LBB112_1241:                           ;   in Loop: Header=BB112_1040 Depth=2
	v_lshlrev_b32_e32 v63, 2, v123
	ds_load_b32 v63, v63
	ds_load_b64 v[64:65], v62 offset:18944
	s_wait_dscnt 0x1
	v_add_nc_u32_e32 v63, v63, v75
	s_wait_dscnt 0x0
	global_store_b64 v63, v[64:65], s[46:47] scale_offset
	s_wait_xcnt 0x0
	s_or_b32 exec_lo, exec_lo, s17
	s_and_saveexec_b32 s17, s26
	s_cbranch_execz .LBB112_1174
.LBB112_1242:                           ;   in Loop: Header=BB112_1040 Depth=2
	v_lshlrev_b32_e32 v63, 2, v122
	ds_load_b32 v63, v63
	ds_load_b64 v[64:65], v62 offset:20992
	s_wait_dscnt 0x1
	v_add_nc_u32_e32 v63, v63, v76
	s_wait_dscnt 0x0
	global_store_b64 v63, v[64:65], s[46:47] scale_offset
	s_wait_xcnt 0x0
	s_or_b32 exec_lo, exec_lo, s17
	s_and_saveexec_b32 s17, s27
	s_cbranch_execz .LBB112_1175
.LBB112_1243:                           ;   in Loop: Header=BB112_1040 Depth=2
	v_lshlrev_b32_e32 v63, 2, v120
	ds_load_b32 v63, v63
	ds_load_b64 v[64:65], v62 offset:23040
	s_wait_dscnt 0x1
	v_add_nc_u32_e32 v63, v63, v77
	s_wait_dscnt 0x0
	global_store_b64 v63, v[64:65], s[46:47] scale_offset
	s_wait_xcnt 0x0
	s_or_b32 exec_lo, exec_lo, s17
	s_and_saveexec_b32 s17, s28
	s_cbranch_execz .LBB112_1176
.LBB112_1244:                           ;   in Loop: Header=BB112_1040 Depth=2
	v_lshlrev_b32_e32 v63, 2, v119
	ds_load_b32 v63, v63
	ds_load_b64 v[64:65], v62 offset:25088
	s_wait_dscnt 0x1
	v_add_nc_u32_e32 v63, v63, v78
	s_wait_dscnt 0x0
	global_store_b64 v63, v[64:65], s[46:47] scale_offset
	s_wait_xcnt 0x0
	s_or_b32 exec_lo, exec_lo, s17
	s_and_saveexec_b32 s17, s29
	s_cbranch_execz .LBB112_1177
.LBB112_1245:                           ;   in Loop: Header=BB112_1040 Depth=2
	v_lshlrev_b32_e32 v63, 2, v118
	ds_load_b32 v63, v63
	ds_load_b64 v[64:65], v62 offset:27136
	s_wait_dscnt 0x1
	v_add_nc_u32_e32 v63, v63, v79
	s_wait_dscnt 0x0
	global_store_b64 v63, v[64:65], s[46:47] scale_offset
	s_wait_xcnt 0x0
	s_or_b32 exec_lo, exec_lo, s17
	s_and_saveexec_b32 s17, s30
	s_cbranch_execz .LBB112_1178
.LBB112_1246:                           ;   in Loop: Header=BB112_1040 Depth=2
	v_lshlrev_b32_e32 v63, 2, v117
	ds_load_b32 v63, v63
	ds_load_b64 v[64:65], v62 offset:29184
	s_wait_dscnt 0x1
	v_add_nc_u32_e32 v63, v63, v80
	s_wait_dscnt 0x0
	global_store_b64 v63, v[64:65], s[46:47] scale_offset
	s_wait_xcnt 0x0
	s_or_b32 exec_lo, exec_lo, s17
	s_and_saveexec_b32 s17, s31
	s_cbranch_execz .LBB112_1179
.LBB112_1247:                           ;   in Loop: Header=BB112_1040 Depth=2
	v_lshlrev_b32_e32 v63, 2, v116
	ds_load_b32 v63, v63
	ds_load_b64 v[64:65], v62 offset:31232
	s_wait_dscnt 0x1
	v_add_nc_u32_e32 v63, v63, v81
	s_wait_dscnt 0x0
	global_store_b64 v63, v[64:65], s[46:47] scale_offset
	s_wait_xcnt 0x0
	s_or_b32 exec_lo, exec_lo, s17
	s_and_saveexec_b32 s17, s33
	s_cbranch_execnz .LBB112_1180
	s_branch .LBB112_1181
.LBB112_1248:                           ;   in Loop: Header=BB112_1040 Depth=2
	global_load_u8 v151, v[62:63], off offset:32
	s_wait_xcnt 0x0
	s_or_b32 exec_lo, exec_lo, s17
	s_delay_alu instid0(SALU_CYCLE_1)
	s_mov_b32 s17, exec_lo
	v_cmpx_gt_u32_e64 s58, v99
	s_cbranch_execz .LBB112_1047
.LBB112_1249:                           ;   in Loop: Header=BB112_1040 Depth=2
	global_load_u8 v148, v[62:63], off offset:64
	s_wait_xcnt 0x0
	s_or_b32 exec_lo, exec_lo, s17
	s_delay_alu instid0(SALU_CYCLE_1)
	s_mov_b32 s17, exec_lo
	v_cmpx_gt_u32_e64 s58, v100
	s_cbranch_execz .LBB112_1048
.LBB112_1250:                           ;   in Loop: Header=BB112_1040 Depth=2
	global_load_u8 v150, v[62:63], off offset:96
	s_wait_xcnt 0x0
	s_or_b32 exec_lo, exec_lo, s17
	s_delay_alu instid0(SALU_CYCLE_1)
	s_mov_b32 s17, exec_lo
	v_cmpx_gt_u32_e64 s58, v101
	s_cbranch_execz .LBB112_1049
.LBB112_1251:                           ;   in Loop: Header=BB112_1040 Depth=2
	global_load_u8 v142, v[62:63], off offset:128
	s_wait_xcnt 0x0
	s_or_b32 exec_lo, exec_lo, s17
	s_delay_alu instid0(SALU_CYCLE_1)
	s_mov_b32 s17, exec_lo
	v_cmpx_gt_u32_e64 s58, v102
	s_cbranch_execz .LBB112_1050
.LBB112_1252:                           ;   in Loop: Header=BB112_1040 Depth=2
	global_load_u8 v144, v[62:63], off offset:160
	s_wait_xcnt 0x0
	s_or_b32 exec_lo, exec_lo, s17
	s_delay_alu instid0(SALU_CYCLE_1)
	s_mov_b32 s17, exec_lo
	v_cmpx_gt_u32_e64 s58, v103
	s_cbranch_execz .LBB112_1051
.LBB112_1253:                           ;   in Loop: Header=BB112_1040 Depth=2
	global_load_u8 v143, v[62:63], off offset:192
	s_wait_xcnt 0x0
	s_or_b32 exec_lo, exec_lo, s17
	s_delay_alu instid0(SALU_CYCLE_1)
	s_mov_b32 s17, exec_lo
	v_cmpx_gt_u32_e64 s58, v104
	s_cbranch_execz .LBB112_1052
.LBB112_1254:                           ;   in Loop: Header=BB112_1040 Depth=2
	global_load_u8 v145, v[62:63], off offset:224
	s_wait_xcnt 0x0
	s_or_b32 exec_lo, exec_lo, s17
	s_delay_alu instid0(SALU_CYCLE_1)
	s_mov_b32 s17, exec_lo
	v_cmpx_gt_u32_e64 s58, v105
	s_cbranch_execz .LBB112_1053
.LBB112_1255:                           ;   in Loop: Header=BB112_1040 Depth=2
	global_load_u8 v138, v[62:63], off offset:256
	s_wait_xcnt 0x0
	s_or_b32 exec_lo, exec_lo, s17
	s_delay_alu instid0(SALU_CYCLE_1)
	s_mov_b32 s17, exec_lo
	v_cmpx_gt_u32_e64 s58, v106
	s_cbranch_execz .LBB112_1054
.LBB112_1256:                           ;   in Loop: Header=BB112_1040 Depth=2
	global_load_u8 v140, v[62:63], off offset:288
	s_wait_xcnt 0x0
	s_or_b32 exec_lo, exec_lo, s17
	s_delay_alu instid0(SALU_CYCLE_1)
	s_mov_b32 s17, exec_lo
	v_cmpx_gt_u32_e64 s58, v107
	s_cbranch_execz .LBB112_1055
.LBB112_1257:                           ;   in Loop: Header=BB112_1040 Depth=2
	global_load_u8 v139, v[62:63], off offset:320
	s_wait_xcnt 0x0
	s_or_b32 exec_lo, exec_lo, s17
	s_delay_alu instid0(SALU_CYCLE_1)
	s_mov_b32 s17, exec_lo
	v_cmpx_gt_u32_e64 s58, v108
	s_cbranch_execz .LBB112_1056
.LBB112_1258:                           ;   in Loop: Header=BB112_1040 Depth=2
	global_load_u8 v141, v[62:63], off offset:352
	s_wait_xcnt 0x0
	s_or_b32 exec_lo, exec_lo, s17
	s_delay_alu instid0(SALU_CYCLE_1)
	s_mov_b32 s17, exec_lo
	v_cmpx_gt_u32_e64 s58, v109
	s_cbranch_execz .LBB112_1057
.LBB112_1259:                           ;   in Loop: Header=BB112_1040 Depth=2
	global_load_u8 v64, v[62:63], off offset:384
	s_wait_xcnt 0x0
	s_or_b32 exec_lo, exec_lo, s17
	s_delay_alu instid0(SALU_CYCLE_1)
	s_mov_b32 s17, exec_lo
	v_cmpx_gt_u32_e64 s58, v110
	s_cbranch_execz .LBB112_1058
.LBB112_1260:                           ;   in Loop: Header=BB112_1040 Depth=2
	global_load_u8 v135, v[62:63], off offset:416
	s_wait_xcnt 0x0
	s_or_b32 exec_lo, exec_lo, s17
	s_delay_alu instid0(SALU_CYCLE_1)
	s_mov_b32 s17, exec_lo
	v_cmpx_gt_u32_e64 s58, v111
	s_cbranch_execz .LBB112_1059
.LBB112_1261:                           ;   in Loop: Header=BB112_1040 Depth=2
	global_load_u8 v65, v[62:63], off offset:448
	s_wait_xcnt 0x0
	s_or_b32 exec_lo, exec_lo, s17
	s_delay_alu instid0(SALU_CYCLE_1)
	s_mov_b32 s17, exec_lo
	v_cmpx_gt_u32_e64 s58, v112
	s_cbranch_execnz .LBB112_1060
	s_branch .LBB112_1061
.LBB112_1262:
	s_endpgm
	.section	.rodata,"a",@progbits
	.p2align	6, 0x0
	.amdhsa_kernel _ZN7rocprim17ROCPRIM_400000_NS6detail17trampoline_kernelINS0_14default_configENS1_36segmented_radix_sort_config_selectorIhlEEZNS1_25segmented_radix_sort_implIS3_Lb1EPKhPhPKlPlN2at6native12_GLOBAL__N_18offset_tEEE10hipError_tPvRmT1_PNSt15iterator_traitsISK_E10value_typeET2_T3_PNSL_ISQ_E10value_typeET4_jRbjT5_SW_jjP12ihipStream_tbEUlT_E2_NS1_11comp_targetILNS1_3genE0ELNS1_11target_archE4294967295ELNS1_3gpuE0ELNS1_3repE0EEENS1_30default_config_static_selectorELNS0_4arch9wavefront6targetE0EEEvSK_
		.amdhsa_group_segment_fixed_size 35344
		.amdhsa_private_segment_fixed_size 0
		.amdhsa_kernarg_size 336
		.amdhsa_user_sgpr_count 4
		.amdhsa_user_sgpr_dispatch_ptr 0
		.amdhsa_user_sgpr_queue_ptr 1
		.amdhsa_user_sgpr_kernarg_segment_ptr 1
		.amdhsa_user_sgpr_dispatch_id 0
		.amdhsa_user_sgpr_kernarg_preload_length 0
		.amdhsa_user_sgpr_kernarg_preload_offset 0
		.amdhsa_user_sgpr_private_segment_size 0
		.amdhsa_wavefront_size32 1
		.amdhsa_uses_dynamic_stack 0
		.amdhsa_enable_private_segment 0
		.amdhsa_system_sgpr_workgroup_id_x 1
		.amdhsa_system_sgpr_workgroup_id_y 1
		.amdhsa_system_sgpr_workgroup_id_z 0
		.amdhsa_system_sgpr_workgroup_info 0
		.amdhsa_system_vgpr_workitem_id 2
		.amdhsa_next_free_vgpr 315
		.amdhsa_next_free_sgpr 61
		.amdhsa_named_barrier_count 0
		.amdhsa_reserve_vcc 1
		.amdhsa_float_round_mode_32 0
		.amdhsa_float_round_mode_16_64 0
		.amdhsa_float_denorm_mode_32 3
		.amdhsa_float_denorm_mode_16_64 3
		.amdhsa_fp16_overflow 0
		.amdhsa_memory_ordered 1
		.amdhsa_forward_progress 1
		.amdhsa_inst_pref_size 255
		.amdhsa_round_robin_scheduling 0
		.amdhsa_exception_fp_ieee_invalid_op 0
		.amdhsa_exception_fp_denorm_src 0
		.amdhsa_exception_fp_ieee_div_zero 0
		.amdhsa_exception_fp_ieee_overflow 0
		.amdhsa_exception_fp_ieee_underflow 0
		.amdhsa_exception_fp_ieee_inexact 0
		.amdhsa_exception_int_div_zero 0
	.end_amdhsa_kernel
	.section	.text._ZN7rocprim17ROCPRIM_400000_NS6detail17trampoline_kernelINS0_14default_configENS1_36segmented_radix_sort_config_selectorIhlEEZNS1_25segmented_radix_sort_implIS3_Lb1EPKhPhPKlPlN2at6native12_GLOBAL__N_18offset_tEEE10hipError_tPvRmT1_PNSt15iterator_traitsISK_E10value_typeET2_T3_PNSL_ISQ_E10value_typeET4_jRbjT5_SW_jjP12ihipStream_tbEUlT_E2_NS1_11comp_targetILNS1_3genE0ELNS1_11target_archE4294967295ELNS1_3gpuE0ELNS1_3repE0EEENS1_30default_config_static_selectorELNS0_4arch9wavefront6targetE0EEEvSK_,"axG",@progbits,_ZN7rocprim17ROCPRIM_400000_NS6detail17trampoline_kernelINS0_14default_configENS1_36segmented_radix_sort_config_selectorIhlEEZNS1_25segmented_radix_sort_implIS3_Lb1EPKhPhPKlPlN2at6native12_GLOBAL__N_18offset_tEEE10hipError_tPvRmT1_PNSt15iterator_traitsISK_E10value_typeET2_T3_PNSL_ISQ_E10value_typeET4_jRbjT5_SW_jjP12ihipStream_tbEUlT_E2_NS1_11comp_targetILNS1_3genE0ELNS1_11target_archE4294967295ELNS1_3gpuE0ELNS1_3repE0EEENS1_30default_config_static_selectorELNS0_4arch9wavefront6targetE0EEEvSK_,comdat
.Lfunc_end112:
	.size	_ZN7rocprim17ROCPRIM_400000_NS6detail17trampoline_kernelINS0_14default_configENS1_36segmented_radix_sort_config_selectorIhlEEZNS1_25segmented_radix_sort_implIS3_Lb1EPKhPhPKlPlN2at6native12_GLOBAL__N_18offset_tEEE10hipError_tPvRmT1_PNSt15iterator_traitsISK_E10value_typeET2_T3_PNSL_ISQ_E10value_typeET4_jRbjT5_SW_jjP12ihipStream_tbEUlT_E2_NS1_11comp_targetILNS1_3genE0ELNS1_11target_archE4294967295ELNS1_3gpuE0ELNS1_3repE0EEENS1_30default_config_static_selectorELNS0_4arch9wavefront6targetE0EEEvSK_, .Lfunc_end112-_ZN7rocprim17ROCPRIM_400000_NS6detail17trampoline_kernelINS0_14default_configENS1_36segmented_radix_sort_config_selectorIhlEEZNS1_25segmented_radix_sort_implIS3_Lb1EPKhPhPKlPlN2at6native12_GLOBAL__N_18offset_tEEE10hipError_tPvRmT1_PNSt15iterator_traitsISK_E10value_typeET2_T3_PNSL_ISQ_E10value_typeET4_jRbjT5_SW_jjP12ihipStream_tbEUlT_E2_NS1_11comp_targetILNS1_3genE0ELNS1_11target_archE4294967295ELNS1_3gpuE0ELNS1_3repE0EEENS1_30default_config_static_selectorELNS0_4arch9wavefront6targetE0EEEvSK_
                                        ; -- End function
	.set _ZN7rocprim17ROCPRIM_400000_NS6detail17trampoline_kernelINS0_14default_configENS1_36segmented_radix_sort_config_selectorIhlEEZNS1_25segmented_radix_sort_implIS3_Lb1EPKhPhPKlPlN2at6native12_GLOBAL__N_18offset_tEEE10hipError_tPvRmT1_PNSt15iterator_traitsISK_E10value_typeET2_T3_PNSL_ISQ_E10value_typeET4_jRbjT5_SW_jjP12ihipStream_tbEUlT_E2_NS1_11comp_targetILNS1_3genE0ELNS1_11target_archE4294967295ELNS1_3gpuE0ELNS1_3repE0EEENS1_30default_config_static_selectorELNS0_4arch9wavefront6targetE0EEEvSK_.num_vgpr, max(204, .L_ZN7rocprim17ROCPRIM_400000_NS6detail26segmented_warp_sort_helperINS1_20WarpSortHelperConfigILj32ELj4ELj256EEEhlLi256ELb1EvE4sortIPKhPhPKlPlEEvT_T0_T1_T2_jjjjRNS5_12storage_typeE.num_vgpr, .L_ZN7rocprim17ROCPRIM_400000_NS6detail40segmented_radix_sort_single_block_helperIhlLj256ELj17ELb1EE4sortIPKhPhPKlPlEEbT_T0_T1_T2_jjjjRNS3_12storage_typeE.num_vgpr)
	.set _ZN7rocprim17ROCPRIM_400000_NS6detail17trampoline_kernelINS0_14default_configENS1_36segmented_radix_sort_config_selectorIhlEEZNS1_25segmented_radix_sort_implIS3_Lb1EPKhPhPKlPlN2at6native12_GLOBAL__N_18offset_tEEE10hipError_tPvRmT1_PNSt15iterator_traitsISK_E10value_typeET2_T3_PNSL_ISQ_E10value_typeET4_jRbjT5_SW_jjP12ihipStream_tbEUlT_E2_NS1_11comp_targetILNS1_3genE0ELNS1_11target_archE4294967295ELNS1_3gpuE0ELNS1_3repE0EEENS1_30default_config_static_selectorELNS0_4arch9wavefront6targetE0EEEvSK_.num_agpr, max(0, .L_ZN7rocprim17ROCPRIM_400000_NS6detail26segmented_warp_sort_helperINS1_20WarpSortHelperConfigILj32ELj4ELj256EEEhlLi256ELb1EvE4sortIPKhPhPKlPlEEvT_T0_T1_T2_jjjjRNS5_12storage_typeE.num_agpr, .L_ZN7rocprim17ROCPRIM_400000_NS6detail40segmented_radix_sort_single_block_helperIhlLj256ELj17ELb1EE4sortIPKhPhPKlPlEEbT_T0_T1_T2_jjjjRNS3_12storage_typeE.num_agpr)
	.set _ZN7rocprim17ROCPRIM_400000_NS6detail17trampoline_kernelINS0_14default_configENS1_36segmented_radix_sort_config_selectorIhlEEZNS1_25segmented_radix_sort_implIS3_Lb1EPKhPhPKlPlN2at6native12_GLOBAL__N_18offset_tEEE10hipError_tPvRmT1_PNSt15iterator_traitsISK_E10value_typeET2_T3_PNSL_ISQ_E10value_typeET4_jRbjT5_SW_jjP12ihipStream_tbEUlT_E2_NS1_11comp_targetILNS1_3genE0ELNS1_11target_archE4294967295ELNS1_3gpuE0ELNS1_3repE0EEENS1_30default_config_static_selectorELNS0_4arch9wavefront6targetE0EEEvSK_.numbered_sgpr, max(61, .L_ZN7rocprim17ROCPRIM_400000_NS6detail26segmented_warp_sort_helperINS1_20WarpSortHelperConfigILj32ELj4ELj256EEEhlLi256ELb1EvE4sortIPKhPhPKlPlEEvT_T0_T1_T2_jjjjRNS5_12storage_typeE.numbered_sgpr, .L_ZN7rocprim17ROCPRIM_400000_NS6detail40segmented_radix_sort_single_block_helperIhlLj256ELj17ELb1EE4sortIPKhPhPKlPlEEbT_T0_T1_T2_jjjjRNS3_12storage_typeE.numbered_sgpr)
	.set _ZN7rocprim17ROCPRIM_400000_NS6detail17trampoline_kernelINS0_14default_configENS1_36segmented_radix_sort_config_selectorIhlEEZNS1_25segmented_radix_sort_implIS3_Lb1EPKhPhPKlPlN2at6native12_GLOBAL__N_18offset_tEEE10hipError_tPvRmT1_PNSt15iterator_traitsISK_E10value_typeET2_T3_PNSL_ISQ_E10value_typeET4_jRbjT5_SW_jjP12ihipStream_tbEUlT_E2_NS1_11comp_targetILNS1_3genE0ELNS1_11target_archE4294967295ELNS1_3gpuE0ELNS1_3repE0EEENS1_30default_config_static_selectorELNS0_4arch9wavefront6targetE0EEEvSK_.num_named_barrier, max(0, .L_ZN7rocprim17ROCPRIM_400000_NS6detail26segmented_warp_sort_helperINS1_20WarpSortHelperConfigILj32ELj4ELj256EEEhlLi256ELb1EvE4sortIPKhPhPKlPlEEvT_T0_T1_T2_jjjjRNS5_12storage_typeE.num_named_barrier, .L_ZN7rocprim17ROCPRIM_400000_NS6detail40segmented_radix_sort_single_block_helperIhlLj256ELj17ELb1EE4sortIPKhPhPKlPlEEbT_T0_T1_T2_jjjjRNS3_12storage_typeE.num_named_barrier)
	.set _ZN7rocprim17ROCPRIM_400000_NS6detail17trampoline_kernelINS0_14default_configENS1_36segmented_radix_sort_config_selectorIhlEEZNS1_25segmented_radix_sort_implIS3_Lb1EPKhPhPKlPlN2at6native12_GLOBAL__N_18offset_tEEE10hipError_tPvRmT1_PNSt15iterator_traitsISK_E10value_typeET2_T3_PNSL_ISQ_E10value_typeET4_jRbjT5_SW_jjP12ihipStream_tbEUlT_E2_NS1_11comp_targetILNS1_3genE0ELNS1_11target_archE4294967295ELNS1_3gpuE0ELNS1_3repE0EEENS1_30default_config_static_selectorELNS0_4arch9wavefront6targetE0EEEvSK_.private_seg_size, 0+max(.L_ZN7rocprim17ROCPRIM_400000_NS6detail26segmented_warp_sort_helperINS1_20WarpSortHelperConfigILj32ELj4ELj256EEEhlLi256ELb1EvE4sortIPKhPhPKlPlEEvT_T0_T1_T2_jjjjRNS5_12storage_typeE.private_seg_size, .L_ZN7rocprim17ROCPRIM_400000_NS6detail40segmented_radix_sort_single_block_helperIhlLj256ELj17ELb1EE4sortIPKhPhPKlPlEEbT_T0_T1_T2_jjjjRNS3_12storage_typeE.private_seg_size)
	.set _ZN7rocprim17ROCPRIM_400000_NS6detail17trampoline_kernelINS0_14default_configENS1_36segmented_radix_sort_config_selectorIhlEEZNS1_25segmented_radix_sort_implIS3_Lb1EPKhPhPKlPlN2at6native12_GLOBAL__N_18offset_tEEE10hipError_tPvRmT1_PNSt15iterator_traitsISK_E10value_typeET2_T3_PNSL_ISQ_E10value_typeET4_jRbjT5_SW_jjP12ihipStream_tbEUlT_E2_NS1_11comp_targetILNS1_3genE0ELNS1_11target_archE4294967295ELNS1_3gpuE0ELNS1_3repE0EEENS1_30default_config_static_selectorELNS0_4arch9wavefront6targetE0EEEvSK_.uses_vcc, or(1, .L_ZN7rocprim17ROCPRIM_400000_NS6detail26segmented_warp_sort_helperINS1_20WarpSortHelperConfigILj32ELj4ELj256EEEhlLi256ELb1EvE4sortIPKhPhPKlPlEEvT_T0_T1_T2_jjjjRNS5_12storage_typeE.uses_vcc, .L_ZN7rocprim17ROCPRIM_400000_NS6detail40segmented_radix_sort_single_block_helperIhlLj256ELj17ELb1EE4sortIPKhPhPKlPlEEbT_T0_T1_T2_jjjjRNS3_12storage_typeE.uses_vcc)
	.set _ZN7rocprim17ROCPRIM_400000_NS6detail17trampoline_kernelINS0_14default_configENS1_36segmented_radix_sort_config_selectorIhlEEZNS1_25segmented_radix_sort_implIS3_Lb1EPKhPhPKlPlN2at6native12_GLOBAL__N_18offset_tEEE10hipError_tPvRmT1_PNSt15iterator_traitsISK_E10value_typeET2_T3_PNSL_ISQ_E10value_typeET4_jRbjT5_SW_jjP12ihipStream_tbEUlT_E2_NS1_11comp_targetILNS1_3genE0ELNS1_11target_archE4294967295ELNS1_3gpuE0ELNS1_3repE0EEENS1_30default_config_static_selectorELNS0_4arch9wavefront6targetE0EEEvSK_.uses_flat_scratch, or(0, .L_ZN7rocprim17ROCPRIM_400000_NS6detail26segmented_warp_sort_helperINS1_20WarpSortHelperConfigILj32ELj4ELj256EEEhlLi256ELb1EvE4sortIPKhPhPKlPlEEvT_T0_T1_T2_jjjjRNS5_12storage_typeE.uses_flat_scratch, .L_ZN7rocprim17ROCPRIM_400000_NS6detail40segmented_radix_sort_single_block_helperIhlLj256ELj17ELb1EE4sortIPKhPhPKlPlEEbT_T0_T1_T2_jjjjRNS3_12storage_typeE.uses_flat_scratch)
	.set _ZN7rocprim17ROCPRIM_400000_NS6detail17trampoline_kernelINS0_14default_configENS1_36segmented_radix_sort_config_selectorIhlEEZNS1_25segmented_radix_sort_implIS3_Lb1EPKhPhPKlPlN2at6native12_GLOBAL__N_18offset_tEEE10hipError_tPvRmT1_PNSt15iterator_traitsISK_E10value_typeET2_T3_PNSL_ISQ_E10value_typeET4_jRbjT5_SW_jjP12ihipStream_tbEUlT_E2_NS1_11comp_targetILNS1_3genE0ELNS1_11target_archE4294967295ELNS1_3gpuE0ELNS1_3repE0EEENS1_30default_config_static_selectorELNS0_4arch9wavefront6targetE0EEEvSK_.has_dyn_sized_stack, or(0, .L_ZN7rocprim17ROCPRIM_400000_NS6detail26segmented_warp_sort_helperINS1_20WarpSortHelperConfigILj32ELj4ELj256EEEhlLi256ELb1EvE4sortIPKhPhPKlPlEEvT_T0_T1_T2_jjjjRNS5_12storage_typeE.has_dyn_sized_stack, .L_ZN7rocprim17ROCPRIM_400000_NS6detail40segmented_radix_sort_single_block_helperIhlLj256ELj17ELb1EE4sortIPKhPhPKlPlEEbT_T0_T1_T2_jjjjRNS3_12storage_typeE.has_dyn_sized_stack)
	.set _ZN7rocprim17ROCPRIM_400000_NS6detail17trampoline_kernelINS0_14default_configENS1_36segmented_radix_sort_config_selectorIhlEEZNS1_25segmented_radix_sort_implIS3_Lb1EPKhPhPKlPlN2at6native12_GLOBAL__N_18offset_tEEE10hipError_tPvRmT1_PNSt15iterator_traitsISK_E10value_typeET2_T3_PNSL_ISQ_E10value_typeET4_jRbjT5_SW_jjP12ihipStream_tbEUlT_E2_NS1_11comp_targetILNS1_3genE0ELNS1_11target_archE4294967295ELNS1_3gpuE0ELNS1_3repE0EEENS1_30default_config_static_selectorELNS0_4arch9wavefront6targetE0EEEvSK_.has_recursion, or(0, .L_ZN7rocprim17ROCPRIM_400000_NS6detail26segmented_warp_sort_helperINS1_20WarpSortHelperConfigILj32ELj4ELj256EEEhlLi256ELb1EvE4sortIPKhPhPKlPlEEvT_T0_T1_T2_jjjjRNS5_12storage_typeE.has_recursion, .L_ZN7rocprim17ROCPRIM_400000_NS6detail40segmented_radix_sort_single_block_helperIhlLj256ELj17ELb1EE4sortIPKhPhPKlPlEEbT_T0_T1_T2_jjjjRNS3_12storage_typeE.has_recursion)
	.set _ZN7rocprim17ROCPRIM_400000_NS6detail17trampoline_kernelINS0_14default_configENS1_36segmented_radix_sort_config_selectorIhlEEZNS1_25segmented_radix_sort_implIS3_Lb1EPKhPhPKlPlN2at6native12_GLOBAL__N_18offset_tEEE10hipError_tPvRmT1_PNSt15iterator_traitsISK_E10value_typeET2_T3_PNSL_ISQ_E10value_typeET4_jRbjT5_SW_jjP12ihipStream_tbEUlT_E2_NS1_11comp_targetILNS1_3genE0ELNS1_11target_archE4294967295ELNS1_3gpuE0ELNS1_3repE0EEENS1_30default_config_static_selectorELNS0_4arch9wavefront6targetE0EEEvSK_.has_indirect_call, or(0, .L_ZN7rocprim17ROCPRIM_400000_NS6detail26segmented_warp_sort_helperINS1_20WarpSortHelperConfigILj32ELj4ELj256EEEhlLi256ELb1EvE4sortIPKhPhPKlPlEEvT_T0_T1_T2_jjjjRNS5_12storage_typeE.has_indirect_call, .L_ZN7rocprim17ROCPRIM_400000_NS6detail40segmented_radix_sort_single_block_helperIhlLj256ELj17ELb1EE4sortIPKhPhPKlPlEEbT_T0_T1_T2_jjjjRNS3_12storage_typeE.has_indirect_call)
	.section	.AMDGPU.csdata,"",@progbits
; Kernel info:
; codeLenInByte = 74940
; TotalNumSgprs: 63
; NumVgprs: 315
; ScratchSize: 0
; MemoryBound: 0
; FloatMode: 240
; IeeeMode: 1
; LDSByteSize: 35344 bytes/workgroup (compile time only)
; SGPRBlocks: 0
; VGPRBlocks: 19
; NumSGPRsForWavesPerEU: 63
; NumVGPRsForWavesPerEU: 315
; NamedBarCnt: 0
; Occupancy: 3
; WaveLimiterHint : 1
; COMPUTE_PGM_RSRC2:SCRATCH_EN: 0
; COMPUTE_PGM_RSRC2:USER_SGPR: 4
; COMPUTE_PGM_RSRC2:TRAP_HANDLER: 0
; COMPUTE_PGM_RSRC2:TGID_X_EN: 1
; COMPUTE_PGM_RSRC2:TGID_Y_EN: 1
; COMPUTE_PGM_RSRC2:TGID_Z_EN: 0
; COMPUTE_PGM_RSRC2:TIDIG_COMP_CNT: 2
	.section	.text._ZN7rocprim17ROCPRIM_400000_NS6detail17trampoline_kernelINS0_14default_configENS1_36segmented_radix_sort_config_selectorIhlEEZNS1_25segmented_radix_sort_implIS3_Lb1EPKhPhPKlPlN2at6native12_GLOBAL__N_18offset_tEEE10hipError_tPvRmT1_PNSt15iterator_traitsISK_E10value_typeET2_T3_PNSL_ISQ_E10value_typeET4_jRbjT5_SW_jjP12ihipStream_tbEUlT_E2_NS1_11comp_targetILNS1_3genE5ELNS1_11target_archE942ELNS1_3gpuE9ELNS1_3repE0EEENS1_30default_config_static_selectorELNS0_4arch9wavefront6targetE0EEEvSK_,"axG",@progbits,_ZN7rocprim17ROCPRIM_400000_NS6detail17trampoline_kernelINS0_14default_configENS1_36segmented_radix_sort_config_selectorIhlEEZNS1_25segmented_radix_sort_implIS3_Lb1EPKhPhPKlPlN2at6native12_GLOBAL__N_18offset_tEEE10hipError_tPvRmT1_PNSt15iterator_traitsISK_E10value_typeET2_T3_PNSL_ISQ_E10value_typeET4_jRbjT5_SW_jjP12ihipStream_tbEUlT_E2_NS1_11comp_targetILNS1_3genE5ELNS1_11target_archE942ELNS1_3gpuE9ELNS1_3repE0EEENS1_30default_config_static_selectorELNS0_4arch9wavefront6targetE0EEEvSK_,comdat
	.globl	_ZN7rocprim17ROCPRIM_400000_NS6detail17trampoline_kernelINS0_14default_configENS1_36segmented_radix_sort_config_selectorIhlEEZNS1_25segmented_radix_sort_implIS3_Lb1EPKhPhPKlPlN2at6native12_GLOBAL__N_18offset_tEEE10hipError_tPvRmT1_PNSt15iterator_traitsISK_E10value_typeET2_T3_PNSL_ISQ_E10value_typeET4_jRbjT5_SW_jjP12ihipStream_tbEUlT_E2_NS1_11comp_targetILNS1_3genE5ELNS1_11target_archE942ELNS1_3gpuE9ELNS1_3repE0EEENS1_30default_config_static_selectorELNS0_4arch9wavefront6targetE0EEEvSK_ ; -- Begin function _ZN7rocprim17ROCPRIM_400000_NS6detail17trampoline_kernelINS0_14default_configENS1_36segmented_radix_sort_config_selectorIhlEEZNS1_25segmented_radix_sort_implIS3_Lb1EPKhPhPKlPlN2at6native12_GLOBAL__N_18offset_tEEE10hipError_tPvRmT1_PNSt15iterator_traitsISK_E10value_typeET2_T3_PNSL_ISQ_E10value_typeET4_jRbjT5_SW_jjP12ihipStream_tbEUlT_E2_NS1_11comp_targetILNS1_3genE5ELNS1_11target_archE942ELNS1_3gpuE9ELNS1_3repE0EEENS1_30default_config_static_selectorELNS0_4arch9wavefront6targetE0EEEvSK_
	.p2align	8
	.type	_ZN7rocprim17ROCPRIM_400000_NS6detail17trampoline_kernelINS0_14default_configENS1_36segmented_radix_sort_config_selectorIhlEEZNS1_25segmented_radix_sort_implIS3_Lb1EPKhPhPKlPlN2at6native12_GLOBAL__N_18offset_tEEE10hipError_tPvRmT1_PNSt15iterator_traitsISK_E10value_typeET2_T3_PNSL_ISQ_E10value_typeET4_jRbjT5_SW_jjP12ihipStream_tbEUlT_E2_NS1_11comp_targetILNS1_3genE5ELNS1_11target_archE942ELNS1_3gpuE9ELNS1_3repE0EEENS1_30default_config_static_selectorELNS0_4arch9wavefront6targetE0EEEvSK_,@function
_ZN7rocprim17ROCPRIM_400000_NS6detail17trampoline_kernelINS0_14default_configENS1_36segmented_radix_sort_config_selectorIhlEEZNS1_25segmented_radix_sort_implIS3_Lb1EPKhPhPKlPlN2at6native12_GLOBAL__N_18offset_tEEE10hipError_tPvRmT1_PNSt15iterator_traitsISK_E10value_typeET2_T3_PNSL_ISQ_E10value_typeET4_jRbjT5_SW_jjP12ihipStream_tbEUlT_E2_NS1_11comp_targetILNS1_3genE5ELNS1_11target_archE942ELNS1_3gpuE9ELNS1_3repE0EEENS1_30default_config_static_selectorELNS0_4arch9wavefront6targetE0EEEvSK_: ; @_ZN7rocprim17ROCPRIM_400000_NS6detail17trampoline_kernelINS0_14default_configENS1_36segmented_radix_sort_config_selectorIhlEEZNS1_25segmented_radix_sort_implIS3_Lb1EPKhPhPKlPlN2at6native12_GLOBAL__N_18offset_tEEE10hipError_tPvRmT1_PNSt15iterator_traitsISK_E10value_typeET2_T3_PNSL_ISQ_E10value_typeET4_jRbjT5_SW_jjP12ihipStream_tbEUlT_E2_NS1_11comp_targetILNS1_3genE5ELNS1_11target_archE942ELNS1_3gpuE9ELNS1_3repE0EEENS1_30default_config_static_selectorELNS0_4arch9wavefront6targetE0EEEvSK_
; %bb.0:
	.section	.rodata,"a",@progbits
	.p2align	6, 0x0
	.amdhsa_kernel _ZN7rocprim17ROCPRIM_400000_NS6detail17trampoline_kernelINS0_14default_configENS1_36segmented_radix_sort_config_selectorIhlEEZNS1_25segmented_radix_sort_implIS3_Lb1EPKhPhPKlPlN2at6native12_GLOBAL__N_18offset_tEEE10hipError_tPvRmT1_PNSt15iterator_traitsISK_E10value_typeET2_T3_PNSL_ISQ_E10value_typeET4_jRbjT5_SW_jjP12ihipStream_tbEUlT_E2_NS1_11comp_targetILNS1_3genE5ELNS1_11target_archE942ELNS1_3gpuE9ELNS1_3repE0EEENS1_30default_config_static_selectorELNS0_4arch9wavefront6targetE0EEEvSK_
		.amdhsa_group_segment_fixed_size 0
		.amdhsa_private_segment_fixed_size 0
		.amdhsa_kernarg_size 80
		.amdhsa_user_sgpr_count 2
		.amdhsa_user_sgpr_dispatch_ptr 0
		.amdhsa_user_sgpr_queue_ptr 0
		.amdhsa_user_sgpr_kernarg_segment_ptr 1
		.amdhsa_user_sgpr_dispatch_id 0
		.amdhsa_user_sgpr_kernarg_preload_length 0
		.amdhsa_user_sgpr_kernarg_preload_offset 0
		.amdhsa_user_sgpr_private_segment_size 0
		.amdhsa_wavefront_size32 1
		.amdhsa_uses_dynamic_stack 0
		.amdhsa_enable_private_segment 0
		.amdhsa_system_sgpr_workgroup_id_x 1
		.amdhsa_system_sgpr_workgroup_id_y 0
		.amdhsa_system_sgpr_workgroup_id_z 0
		.amdhsa_system_sgpr_workgroup_info 0
		.amdhsa_system_vgpr_workitem_id 0
		.amdhsa_next_free_vgpr 1
		.amdhsa_next_free_sgpr 1
		.amdhsa_named_barrier_count 0
		.amdhsa_reserve_vcc 0
		.amdhsa_float_round_mode_32 0
		.amdhsa_float_round_mode_16_64 0
		.amdhsa_float_denorm_mode_32 3
		.amdhsa_float_denorm_mode_16_64 3
		.amdhsa_fp16_overflow 0
		.amdhsa_memory_ordered 1
		.amdhsa_forward_progress 1
		.amdhsa_inst_pref_size 0
		.amdhsa_round_robin_scheduling 0
		.amdhsa_exception_fp_ieee_invalid_op 0
		.amdhsa_exception_fp_denorm_src 0
		.amdhsa_exception_fp_ieee_div_zero 0
		.amdhsa_exception_fp_ieee_overflow 0
		.amdhsa_exception_fp_ieee_underflow 0
		.amdhsa_exception_fp_ieee_inexact 0
		.amdhsa_exception_int_div_zero 0
	.end_amdhsa_kernel
	.section	.text._ZN7rocprim17ROCPRIM_400000_NS6detail17trampoline_kernelINS0_14default_configENS1_36segmented_radix_sort_config_selectorIhlEEZNS1_25segmented_radix_sort_implIS3_Lb1EPKhPhPKlPlN2at6native12_GLOBAL__N_18offset_tEEE10hipError_tPvRmT1_PNSt15iterator_traitsISK_E10value_typeET2_T3_PNSL_ISQ_E10value_typeET4_jRbjT5_SW_jjP12ihipStream_tbEUlT_E2_NS1_11comp_targetILNS1_3genE5ELNS1_11target_archE942ELNS1_3gpuE9ELNS1_3repE0EEENS1_30default_config_static_selectorELNS0_4arch9wavefront6targetE0EEEvSK_,"axG",@progbits,_ZN7rocprim17ROCPRIM_400000_NS6detail17trampoline_kernelINS0_14default_configENS1_36segmented_radix_sort_config_selectorIhlEEZNS1_25segmented_radix_sort_implIS3_Lb1EPKhPhPKlPlN2at6native12_GLOBAL__N_18offset_tEEE10hipError_tPvRmT1_PNSt15iterator_traitsISK_E10value_typeET2_T3_PNSL_ISQ_E10value_typeET4_jRbjT5_SW_jjP12ihipStream_tbEUlT_E2_NS1_11comp_targetILNS1_3genE5ELNS1_11target_archE942ELNS1_3gpuE9ELNS1_3repE0EEENS1_30default_config_static_selectorELNS0_4arch9wavefront6targetE0EEEvSK_,comdat
.Lfunc_end113:
	.size	_ZN7rocprim17ROCPRIM_400000_NS6detail17trampoline_kernelINS0_14default_configENS1_36segmented_radix_sort_config_selectorIhlEEZNS1_25segmented_radix_sort_implIS3_Lb1EPKhPhPKlPlN2at6native12_GLOBAL__N_18offset_tEEE10hipError_tPvRmT1_PNSt15iterator_traitsISK_E10value_typeET2_T3_PNSL_ISQ_E10value_typeET4_jRbjT5_SW_jjP12ihipStream_tbEUlT_E2_NS1_11comp_targetILNS1_3genE5ELNS1_11target_archE942ELNS1_3gpuE9ELNS1_3repE0EEENS1_30default_config_static_selectorELNS0_4arch9wavefront6targetE0EEEvSK_, .Lfunc_end113-_ZN7rocprim17ROCPRIM_400000_NS6detail17trampoline_kernelINS0_14default_configENS1_36segmented_radix_sort_config_selectorIhlEEZNS1_25segmented_radix_sort_implIS3_Lb1EPKhPhPKlPlN2at6native12_GLOBAL__N_18offset_tEEE10hipError_tPvRmT1_PNSt15iterator_traitsISK_E10value_typeET2_T3_PNSL_ISQ_E10value_typeET4_jRbjT5_SW_jjP12ihipStream_tbEUlT_E2_NS1_11comp_targetILNS1_3genE5ELNS1_11target_archE942ELNS1_3gpuE9ELNS1_3repE0EEENS1_30default_config_static_selectorELNS0_4arch9wavefront6targetE0EEEvSK_
                                        ; -- End function
	.set _ZN7rocprim17ROCPRIM_400000_NS6detail17trampoline_kernelINS0_14default_configENS1_36segmented_radix_sort_config_selectorIhlEEZNS1_25segmented_radix_sort_implIS3_Lb1EPKhPhPKlPlN2at6native12_GLOBAL__N_18offset_tEEE10hipError_tPvRmT1_PNSt15iterator_traitsISK_E10value_typeET2_T3_PNSL_ISQ_E10value_typeET4_jRbjT5_SW_jjP12ihipStream_tbEUlT_E2_NS1_11comp_targetILNS1_3genE5ELNS1_11target_archE942ELNS1_3gpuE9ELNS1_3repE0EEENS1_30default_config_static_selectorELNS0_4arch9wavefront6targetE0EEEvSK_.num_vgpr, 0
	.set _ZN7rocprim17ROCPRIM_400000_NS6detail17trampoline_kernelINS0_14default_configENS1_36segmented_radix_sort_config_selectorIhlEEZNS1_25segmented_radix_sort_implIS3_Lb1EPKhPhPKlPlN2at6native12_GLOBAL__N_18offset_tEEE10hipError_tPvRmT1_PNSt15iterator_traitsISK_E10value_typeET2_T3_PNSL_ISQ_E10value_typeET4_jRbjT5_SW_jjP12ihipStream_tbEUlT_E2_NS1_11comp_targetILNS1_3genE5ELNS1_11target_archE942ELNS1_3gpuE9ELNS1_3repE0EEENS1_30default_config_static_selectorELNS0_4arch9wavefront6targetE0EEEvSK_.num_agpr, 0
	.set _ZN7rocprim17ROCPRIM_400000_NS6detail17trampoline_kernelINS0_14default_configENS1_36segmented_radix_sort_config_selectorIhlEEZNS1_25segmented_radix_sort_implIS3_Lb1EPKhPhPKlPlN2at6native12_GLOBAL__N_18offset_tEEE10hipError_tPvRmT1_PNSt15iterator_traitsISK_E10value_typeET2_T3_PNSL_ISQ_E10value_typeET4_jRbjT5_SW_jjP12ihipStream_tbEUlT_E2_NS1_11comp_targetILNS1_3genE5ELNS1_11target_archE942ELNS1_3gpuE9ELNS1_3repE0EEENS1_30default_config_static_selectorELNS0_4arch9wavefront6targetE0EEEvSK_.numbered_sgpr, 0
	.set _ZN7rocprim17ROCPRIM_400000_NS6detail17trampoline_kernelINS0_14default_configENS1_36segmented_radix_sort_config_selectorIhlEEZNS1_25segmented_radix_sort_implIS3_Lb1EPKhPhPKlPlN2at6native12_GLOBAL__N_18offset_tEEE10hipError_tPvRmT1_PNSt15iterator_traitsISK_E10value_typeET2_T3_PNSL_ISQ_E10value_typeET4_jRbjT5_SW_jjP12ihipStream_tbEUlT_E2_NS1_11comp_targetILNS1_3genE5ELNS1_11target_archE942ELNS1_3gpuE9ELNS1_3repE0EEENS1_30default_config_static_selectorELNS0_4arch9wavefront6targetE0EEEvSK_.num_named_barrier, 0
	.set _ZN7rocprim17ROCPRIM_400000_NS6detail17trampoline_kernelINS0_14default_configENS1_36segmented_radix_sort_config_selectorIhlEEZNS1_25segmented_radix_sort_implIS3_Lb1EPKhPhPKlPlN2at6native12_GLOBAL__N_18offset_tEEE10hipError_tPvRmT1_PNSt15iterator_traitsISK_E10value_typeET2_T3_PNSL_ISQ_E10value_typeET4_jRbjT5_SW_jjP12ihipStream_tbEUlT_E2_NS1_11comp_targetILNS1_3genE5ELNS1_11target_archE942ELNS1_3gpuE9ELNS1_3repE0EEENS1_30default_config_static_selectorELNS0_4arch9wavefront6targetE0EEEvSK_.private_seg_size, 0
	.set _ZN7rocprim17ROCPRIM_400000_NS6detail17trampoline_kernelINS0_14default_configENS1_36segmented_radix_sort_config_selectorIhlEEZNS1_25segmented_radix_sort_implIS3_Lb1EPKhPhPKlPlN2at6native12_GLOBAL__N_18offset_tEEE10hipError_tPvRmT1_PNSt15iterator_traitsISK_E10value_typeET2_T3_PNSL_ISQ_E10value_typeET4_jRbjT5_SW_jjP12ihipStream_tbEUlT_E2_NS1_11comp_targetILNS1_3genE5ELNS1_11target_archE942ELNS1_3gpuE9ELNS1_3repE0EEENS1_30default_config_static_selectorELNS0_4arch9wavefront6targetE0EEEvSK_.uses_vcc, 0
	.set _ZN7rocprim17ROCPRIM_400000_NS6detail17trampoline_kernelINS0_14default_configENS1_36segmented_radix_sort_config_selectorIhlEEZNS1_25segmented_radix_sort_implIS3_Lb1EPKhPhPKlPlN2at6native12_GLOBAL__N_18offset_tEEE10hipError_tPvRmT1_PNSt15iterator_traitsISK_E10value_typeET2_T3_PNSL_ISQ_E10value_typeET4_jRbjT5_SW_jjP12ihipStream_tbEUlT_E2_NS1_11comp_targetILNS1_3genE5ELNS1_11target_archE942ELNS1_3gpuE9ELNS1_3repE0EEENS1_30default_config_static_selectorELNS0_4arch9wavefront6targetE0EEEvSK_.uses_flat_scratch, 0
	.set _ZN7rocprim17ROCPRIM_400000_NS6detail17trampoline_kernelINS0_14default_configENS1_36segmented_radix_sort_config_selectorIhlEEZNS1_25segmented_radix_sort_implIS3_Lb1EPKhPhPKlPlN2at6native12_GLOBAL__N_18offset_tEEE10hipError_tPvRmT1_PNSt15iterator_traitsISK_E10value_typeET2_T3_PNSL_ISQ_E10value_typeET4_jRbjT5_SW_jjP12ihipStream_tbEUlT_E2_NS1_11comp_targetILNS1_3genE5ELNS1_11target_archE942ELNS1_3gpuE9ELNS1_3repE0EEENS1_30default_config_static_selectorELNS0_4arch9wavefront6targetE0EEEvSK_.has_dyn_sized_stack, 0
	.set _ZN7rocprim17ROCPRIM_400000_NS6detail17trampoline_kernelINS0_14default_configENS1_36segmented_radix_sort_config_selectorIhlEEZNS1_25segmented_radix_sort_implIS3_Lb1EPKhPhPKlPlN2at6native12_GLOBAL__N_18offset_tEEE10hipError_tPvRmT1_PNSt15iterator_traitsISK_E10value_typeET2_T3_PNSL_ISQ_E10value_typeET4_jRbjT5_SW_jjP12ihipStream_tbEUlT_E2_NS1_11comp_targetILNS1_3genE5ELNS1_11target_archE942ELNS1_3gpuE9ELNS1_3repE0EEENS1_30default_config_static_selectorELNS0_4arch9wavefront6targetE0EEEvSK_.has_recursion, 0
	.set _ZN7rocprim17ROCPRIM_400000_NS6detail17trampoline_kernelINS0_14default_configENS1_36segmented_radix_sort_config_selectorIhlEEZNS1_25segmented_radix_sort_implIS3_Lb1EPKhPhPKlPlN2at6native12_GLOBAL__N_18offset_tEEE10hipError_tPvRmT1_PNSt15iterator_traitsISK_E10value_typeET2_T3_PNSL_ISQ_E10value_typeET4_jRbjT5_SW_jjP12ihipStream_tbEUlT_E2_NS1_11comp_targetILNS1_3genE5ELNS1_11target_archE942ELNS1_3gpuE9ELNS1_3repE0EEENS1_30default_config_static_selectorELNS0_4arch9wavefront6targetE0EEEvSK_.has_indirect_call, 0
	.section	.AMDGPU.csdata,"",@progbits
; Kernel info:
; codeLenInByte = 0
; TotalNumSgprs: 0
; NumVgprs: 0
; ScratchSize: 0
; MemoryBound: 0
; FloatMode: 240
; IeeeMode: 1
; LDSByteSize: 0 bytes/workgroup (compile time only)
; SGPRBlocks: 0
; VGPRBlocks: 0
; NumSGPRsForWavesPerEU: 1
; NumVGPRsForWavesPerEU: 1
; NamedBarCnt: 0
; Occupancy: 16
; WaveLimiterHint : 0
; COMPUTE_PGM_RSRC2:SCRATCH_EN: 0
; COMPUTE_PGM_RSRC2:USER_SGPR: 2
; COMPUTE_PGM_RSRC2:TRAP_HANDLER: 0
; COMPUTE_PGM_RSRC2:TGID_X_EN: 1
; COMPUTE_PGM_RSRC2:TGID_Y_EN: 0
; COMPUTE_PGM_RSRC2:TGID_Z_EN: 0
; COMPUTE_PGM_RSRC2:TIDIG_COMP_CNT: 0
	.section	.text._ZN7rocprim17ROCPRIM_400000_NS6detail17trampoline_kernelINS0_14default_configENS1_36segmented_radix_sort_config_selectorIhlEEZNS1_25segmented_radix_sort_implIS3_Lb1EPKhPhPKlPlN2at6native12_GLOBAL__N_18offset_tEEE10hipError_tPvRmT1_PNSt15iterator_traitsISK_E10value_typeET2_T3_PNSL_ISQ_E10value_typeET4_jRbjT5_SW_jjP12ihipStream_tbEUlT_E2_NS1_11comp_targetILNS1_3genE4ELNS1_11target_archE910ELNS1_3gpuE8ELNS1_3repE0EEENS1_30default_config_static_selectorELNS0_4arch9wavefront6targetE0EEEvSK_,"axG",@progbits,_ZN7rocprim17ROCPRIM_400000_NS6detail17trampoline_kernelINS0_14default_configENS1_36segmented_radix_sort_config_selectorIhlEEZNS1_25segmented_radix_sort_implIS3_Lb1EPKhPhPKlPlN2at6native12_GLOBAL__N_18offset_tEEE10hipError_tPvRmT1_PNSt15iterator_traitsISK_E10value_typeET2_T3_PNSL_ISQ_E10value_typeET4_jRbjT5_SW_jjP12ihipStream_tbEUlT_E2_NS1_11comp_targetILNS1_3genE4ELNS1_11target_archE910ELNS1_3gpuE8ELNS1_3repE0EEENS1_30default_config_static_selectorELNS0_4arch9wavefront6targetE0EEEvSK_,comdat
	.globl	_ZN7rocprim17ROCPRIM_400000_NS6detail17trampoline_kernelINS0_14default_configENS1_36segmented_radix_sort_config_selectorIhlEEZNS1_25segmented_radix_sort_implIS3_Lb1EPKhPhPKlPlN2at6native12_GLOBAL__N_18offset_tEEE10hipError_tPvRmT1_PNSt15iterator_traitsISK_E10value_typeET2_T3_PNSL_ISQ_E10value_typeET4_jRbjT5_SW_jjP12ihipStream_tbEUlT_E2_NS1_11comp_targetILNS1_3genE4ELNS1_11target_archE910ELNS1_3gpuE8ELNS1_3repE0EEENS1_30default_config_static_selectorELNS0_4arch9wavefront6targetE0EEEvSK_ ; -- Begin function _ZN7rocprim17ROCPRIM_400000_NS6detail17trampoline_kernelINS0_14default_configENS1_36segmented_radix_sort_config_selectorIhlEEZNS1_25segmented_radix_sort_implIS3_Lb1EPKhPhPKlPlN2at6native12_GLOBAL__N_18offset_tEEE10hipError_tPvRmT1_PNSt15iterator_traitsISK_E10value_typeET2_T3_PNSL_ISQ_E10value_typeET4_jRbjT5_SW_jjP12ihipStream_tbEUlT_E2_NS1_11comp_targetILNS1_3genE4ELNS1_11target_archE910ELNS1_3gpuE8ELNS1_3repE0EEENS1_30default_config_static_selectorELNS0_4arch9wavefront6targetE0EEEvSK_
	.p2align	8
	.type	_ZN7rocprim17ROCPRIM_400000_NS6detail17trampoline_kernelINS0_14default_configENS1_36segmented_radix_sort_config_selectorIhlEEZNS1_25segmented_radix_sort_implIS3_Lb1EPKhPhPKlPlN2at6native12_GLOBAL__N_18offset_tEEE10hipError_tPvRmT1_PNSt15iterator_traitsISK_E10value_typeET2_T3_PNSL_ISQ_E10value_typeET4_jRbjT5_SW_jjP12ihipStream_tbEUlT_E2_NS1_11comp_targetILNS1_3genE4ELNS1_11target_archE910ELNS1_3gpuE8ELNS1_3repE0EEENS1_30default_config_static_selectorELNS0_4arch9wavefront6targetE0EEEvSK_,@function
_ZN7rocprim17ROCPRIM_400000_NS6detail17trampoline_kernelINS0_14default_configENS1_36segmented_radix_sort_config_selectorIhlEEZNS1_25segmented_radix_sort_implIS3_Lb1EPKhPhPKlPlN2at6native12_GLOBAL__N_18offset_tEEE10hipError_tPvRmT1_PNSt15iterator_traitsISK_E10value_typeET2_T3_PNSL_ISQ_E10value_typeET4_jRbjT5_SW_jjP12ihipStream_tbEUlT_E2_NS1_11comp_targetILNS1_3genE4ELNS1_11target_archE910ELNS1_3gpuE8ELNS1_3repE0EEENS1_30default_config_static_selectorELNS0_4arch9wavefront6targetE0EEEvSK_: ; @_ZN7rocprim17ROCPRIM_400000_NS6detail17trampoline_kernelINS0_14default_configENS1_36segmented_radix_sort_config_selectorIhlEEZNS1_25segmented_radix_sort_implIS3_Lb1EPKhPhPKlPlN2at6native12_GLOBAL__N_18offset_tEEE10hipError_tPvRmT1_PNSt15iterator_traitsISK_E10value_typeET2_T3_PNSL_ISQ_E10value_typeET4_jRbjT5_SW_jjP12ihipStream_tbEUlT_E2_NS1_11comp_targetILNS1_3genE4ELNS1_11target_archE910ELNS1_3gpuE8ELNS1_3repE0EEENS1_30default_config_static_selectorELNS0_4arch9wavefront6targetE0EEEvSK_
; %bb.0:
	.section	.rodata,"a",@progbits
	.p2align	6, 0x0
	.amdhsa_kernel _ZN7rocprim17ROCPRIM_400000_NS6detail17trampoline_kernelINS0_14default_configENS1_36segmented_radix_sort_config_selectorIhlEEZNS1_25segmented_radix_sort_implIS3_Lb1EPKhPhPKlPlN2at6native12_GLOBAL__N_18offset_tEEE10hipError_tPvRmT1_PNSt15iterator_traitsISK_E10value_typeET2_T3_PNSL_ISQ_E10value_typeET4_jRbjT5_SW_jjP12ihipStream_tbEUlT_E2_NS1_11comp_targetILNS1_3genE4ELNS1_11target_archE910ELNS1_3gpuE8ELNS1_3repE0EEENS1_30default_config_static_selectorELNS0_4arch9wavefront6targetE0EEEvSK_
		.amdhsa_group_segment_fixed_size 0
		.amdhsa_private_segment_fixed_size 0
		.amdhsa_kernarg_size 80
		.amdhsa_user_sgpr_count 2
		.amdhsa_user_sgpr_dispatch_ptr 0
		.amdhsa_user_sgpr_queue_ptr 0
		.amdhsa_user_sgpr_kernarg_segment_ptr 1
		.amdhsa_user_sgpr_dispatch_id 0
		.amdhsa_user_sgpr_kernarg_preload_length 0
		.amdhsa_user_sgpr_kernarg_preload_offset 0
		.amdhsa_user_sgpr_private_segment_size 0
		.amdhsa_wavefront_size32 1
		.amdhsa_uses_dynamic_stack 0
		.amdhsa_enable_private_segment 0
		.amdhsa_system_sgpr_workgroup_id_x 1
		.amdhsa_system_sgpr_workgroup_id_y 0
		.amdhsa_system_sgpr_workgroup_id_z 0
		.amdhsa_system_sgpr_workgroup_info 0
		.amdhsa_system_vgpr_workitem_id 0
		.amdhsa_next_free_vgpr 1
		.amdhsa_next_free_sgpr 1
		.amdhsa_named_barrier_count 0
		.amdhsa_reserve_vcc 0
		.amdhsa_float_round_mode_32 0
		.amdhsa_float_round_mode_16_64 0
		.amdhsa_float_denorm_mode_32 3
		.amdhsa_float_denorm_mode_16_64 3
		.amdhsa_fp16_overflow 0
		.amdhsa_memory_ordered 1
		.amdhsa_forward_progress 1
		.amdhsa_inst_pref_size 0
		.amdhsa_round_robin_scheduling 0
		.amdhsa_exception_fp_ieee_invalid_op 0
		.amdhsa_exception_fp_denorm_src 0
		.amdhsa_exception_fp_ieee_div_zero 0
		.amdhsa_exception_fp_ieee_overflow 0
		.amdhsa_exception_fp_ieee_underflow 0
		.amdhsa_exception_fp_ieee_inexact 0
		.amdhsa_exception_int_div_zero 0
	.end_amdhsa_kernel
	.section	.text._ZN7rocprim17ROCPRIM_400000_NS6detail17trampoline_kernelINS0_14default_configENS1_36segmented_radix_sort_config_selectorIhlEEZNS1_25segmented_radix_sort_implIS3_Lb1EPKhPhPKlPlN2at6native12_GLOBAL__N_18offset_tEEE10hipError_tPvRmT1_PNSt15iterator_traitsISK_E10value_typeET2_T3_PNSL_ISQ_E10value_typeET4_jRbjT5_SW_jjP12ihipStream_tbEUlT_E2_NS1_11comp_targetILNS1_3genE4ELNS1_11target_archE910ELNS1_3gpuE8ELNS1_3repE0EEENS1_30default_config_static_selectorELNS0_4arch9wavefront6targetE0EEEvSK_,"axG",@progbits,_ZN7rocprim17ROCPRIM_400000_NS6detail17trampoline_kernelINS0_14default_configENS1_36segmented_radix_sort_config_selectorIhlEEZNS1_25segmented_radix_sort_implIS3_Lb1EPKhPhPKlPlN2at6native12_GLOBAL__N_18offset_tEEE10hipError_tPvRmT1_PNSt15iterator_traitsISK_E10value_typeET2_T3_PNSL_ISQ_E10value_typeET4_jRbjT5_SW_jjP12ihipStream_tbEUlT_E2_NS1_11comp_targetILNS1_3genE4ELNS1_11target_archE910ELNS1_3gpuE8ELNS1_3repE0EEENS1_30default_config_static_selectorELNS0_4arch9wavefront6targetE0EEEvSK_,comdat
.Lfunc_end114:
	.size	_ZN7rocprim17ROCPRIM_400000_NS6detail17trampoline_kernelINS0_14default_configENS1_36segmented_radix_sort_config_selectorIhlEEZNS1_25segmented_radix_sort_implIS3_Lb1EPKhPhPKlPlN2at6native12_GLOBAL__N_18offset_tEEE10hipError_tPvRmT1_PNSt15iterator_traitsISK_E10value_typeET2_T3_PNSL_ISQ_E10value_typeET4_jRbjT5_SW_jjP12ihipStream_tbEUlT_E2_NS1_11comp_targetILNS1_3genE4ELNS1_11target_archE910ELNS1_3gpuE8ELNS1_3repE0EEENS1_30default_config_static_selectorELNS0_4arch9wavefront6targetE0EEEvSK_, .Lfunc_end114-_ZN7rocprim17ROCPRIM_400000_NS6detail17trampoline_kernelINS0_14default_configENS1_36segmented_radix_sort_config_selectorIhlEEZNS1_25segmented_radix_sort_implIS3_Lb1EPKhPhPKlPlN2at6native12_GLOBAL__N_18offset_tEEE10hipError_tPvRmT1_PNSt15iterator_traitsISK_E10value_typeET2_T3_PNSL_ISQ_E10value_typeET4_jRbjT5_SW_jjP12ihipStream_tbEUlT_E2_NS1_11comp_targetILNS1_3genE4ELNS1_11target_archE910ELNS1_3gpuE8ELNS1_3repE0EEENS1_30default_config_static_selectorELNS0_4arch9wavefront6targetE0EEEvSK_
                                        ; -- End function
	.set _ZN7rocprim17ROCPRIM_400000_NS6detail17trampoline_kernelINS0_14default_configENS1_36segmented_radix_sort_config_selectorIhlEEZNS1_25segmented_radix_sort_implIS3_Lb1EPKhPhPKlPlN2at6native12_GLOBAL__N_18offset_tEEE10hipError_tPvRmT1_PNSt15iterator_traitsISK_E10value_typeET2_T3_PNSL_ISQ_E10value_typeET4_jRbjT5_SW_jjP12ihipStream_tbEUlT_E2_NS1_11comp_targetILNS1_3genE4ELNS1_11target_archE910ELNS1_3gpuE8ELNS1_3repE0EEENS1_30default_config_static_selectorELNS0_4arch9wavefront6targetE0EEEvSK_.num_vgpr, 0
	.set _ZN7rocprim17ROCPRIM_400000_NS6detail17trampoline_kernelINS0_14default_configENS1_36segmented_radix_sort_config_selectorIhlEEZNS1_25segmented_radix_sort_implIS3_Lb1EPKhPhPKlPlN2at6native12_GLOBAL__N_18offset_tEEE10hipError_tPvRmT1_PNSt15iterator_traitsISK_E10value_typeET2_T3_PNSL_ISQ_E10value_typeET4_jRbjT5_SW_jjP12ihipStream_tbEUlT_E2_NS1_11comp_targetILNS1_3genE4ELNS1_11target_archE910ELNS1_3gpuE8ELNS1_3repE0EEENS1_30default_config_static_selectorELNS0_4arch9wavefront6targetE0EEEvSK_.num_agpr, 0
	.set _ZN7rocprim17ROCPRIM_400000_NS6detail17trampoline_kernelINS0_14default_configENS1_36segmented_radix_sort_config_selectorIhlEEZNS1_25segmented_radix_sort_implIS3_Lb1EPKhPhPKlPlN2at6native12_GLOBAL__N_18offset_tEEE10hipError_tPvRmT1_PNSt15iterator_traitsISK_E10value_typeET2_T3_PNSL_ISQ_E10value_typeET4_jRbjT5_SW_jjP12ihipStream_tbEUlT_E2_NS1_11comp_targetILNS1_3genE4ELNS1_11target_archE910ELNS1_3gpuE8ELNS1_3repE0EEENS1_30default_config_static_selectorELNS0_4arch9wavefront6targetE0EEEvSK_.numbered_sgpr, 0
	.set _ZN7rocprim17ROCPRIM_400000_NS6detail17trampoline_kernelINS0_14default_configENS1_36segmented_radix_sort_config_selectorIhlEEZNS1_25segmented_radix_sort_implIS3_Lb1EPKhPhPKlPlN2at6native12_GLOBAL__N_18offset_tEEE10hipError_tPvRmT1_PNSt15iterator_traitsISK_E10value_typeET2_T3_PNSL_ISQ_E10value_typeET4_jRbjT5_SW_jjP12ihipStream_tbEUlT_E2_NS1_11comp_targetILNS1_3genE4ELNS1_11target_archE910ELNS1_3gpuE8ELNS1_3repE0EEENS1_30default_config_static_selectorELNS0_4arch9wavefront6targetE0EEEvSK_.num_named_barrier, 0
	.set _ZN7rocprim17ROCPRIM_400000_NS6detail17trampoline_kernelINS0_14default_configENS1_36segmented_radix_sort_config_selectorIhlEEZNS1_25segmented_radix_sort_implIS3_Lb1EPKhPhPKlPlN2at6native12_GLOBAL__N_18offset_tEEE10hipError_tPvRmT1_PNSt15iterator_traitsISK_E10value_typeET2_T3_PNSL_ISQ_E10value_typeET4_jRbjT5_SW_jjP12ihipStream_tbEUlT_E2_NS1_11comp_targetILNS1_3genE4ELNS1_11target_archE910ELNS1_3gpuE8ELNS1_3repE0EEENS1_30default_config_static_selectorELNS0_4arch9wavefront6targetE0EEEvSK_.private_seg_size, 0
	.set _ZN7rocprim17ROCPRIM_400000_NS6detail17trampoline_kernelINS0_14default_configENS1_36segmented_radix_sort_config_selectorIhlEEZNS1_25segmented_radix_sort_implIS3_Lb1EPKhPhPKlPlN2at6native12_GLOBAL__N_18offset_tEEE10hipError_tPvRmT1_PNSt15iterator_traitsISK_E10value_typeET2_T3_PNSL_ISQ_E10value_typeET4_jRbjT5_SW_jjP12ihipStream_tbEUlT_E2_NS1_11comp_targetILNS1_3genE4ELNS1_11target_archE910ELNS1_3gpuE8ELNS1_3repE0EEENS1_30default_config_static_selectorELNS0_4arch9wavefront6targetE0EEEvSK_.uses_vcc, 0
	.set _ZN7rocprim17ROCPRIM_400000_NS6detail17trampoline_kernelINS0_14default_configENS1_36segmented_radix_sort_config_selectorIhlEEZNS1_25segmented_radix_sort_implIS3_Lb1EPKhPhPKlPlN2at6native12_GLOBAL__N_18offset_tEEE10hipError_tPvRmT1_PNSt15iterator_traitsISK_E10value_typeET2_T3_PNSL_ISQ_E10value_typeET4_jRbjT5_SW_jjP12ihipStream_tbEUlT_E2_NS1_11comp_targetILNS1_3genE4ELNS1_11target_archE910ELNS1_3gpuE8ELNS1_3repE0EEENS1_30default_config_static_selectorELNS0_4arch9wavefront6targetE0EEEvSK_.uses_flat_scratch, 0
	.set _ZN7rocprim17ROCPRIM_400000_NS6detail17trampoline_kernelINS0_14default_configENS1_36segmented_radix_sort_config_selectorIhlEEZNS1_25segmented_radix_sort_implIS3_Lb1EPKhPhPKlPlN2at6native12_GLOBAL__N_18offset_tEEE10hipError_tPvRmT1_PNSt15iterator_traitsISK_E10value_typeET2_T3_PNSL_ISQ_E10value_typeET4_jRbjT5_SW_jjP12ihipStream_tbEUlT_E2_NS1_11comp_targetILNS1_3genE4ELNS1_11target_archE910ELNS1_3gpuE8ELNS1_3repE0EEENS1_30default_config_static_selectorELNS0_4arch9wavefront6targetE0EEEvSK_.has_dyn_sized_stack, 0
	.set _ZN7rocprim17ROCPRIM_400000_NS6detail17trampoline_kernelINS0_14default_configENS1_36segmented_radix_sort_config_selectorIhlEEZNS1_25segmented_radix_sort_implIS3_Lb1EPKhPhPKlPlN2at6native12_GLOBAL__N_18offset_tEEE10hipError_tPvRmT1_PNSt15iterator_traitsISK_E10value_typeET2_T3_PNSL_ISQ_E10value_typeET4_jRbjT5_SW_jjP12ihipStream_tbEUlT_E2_NS1_11comp_targetILNS1_3genE4ELNS1_11target_archE910ELNS1_3gpuE8ELNS1_3repE0EEENS1_30default_config_static_selectorELNS0_4arch9wavefront6targetE0EEEvSK_.has_recursion, 0
	.set _ZN7rocprim17ROCPRIM_400000_NS6detail17trampoline_kernelINS0_14default_configENS1_36segmented_radix_sort_config_selectorIhlEEZNS1_25segmented_radix_sort_implIS3_Lb1EPKhPhPKlPlN2at6native12_GLOBAL__N_18offset_tEEE10hipError_tPvRmT1_PNSt15iterator_traitsISK_E10value_typeET2_T3_PNSL_ISQ_E10value_typeET4_jRbjT5_SW_jjP12ihipStream_tbEUlT_E2_NS1_11comp_targetILNS1_3genE4ELNS1_11target_archE910ELNS1_3gpuE8ELNS1_3repE0EEENS1_30default_config_static_selectorELNS0_4arch9wavefront6targetE0EEEvSK_.has_indirect_call, 0
	.section	.AMDGPU.csdata,"",@progbits
; Kernel info:
; codeLenInByte = 0
; TotalNumSgprs: 0
; NumVgprs: 0
; ScratchSize: 0
; MemoryBound: 0
; FloatMode: 240
; IeeeMode: 1
; LDSByteSize: 0 bytes/workgroup (compile time only)
; SGPRBlocks: 0
; VGPRBlocks: 0
; NumSGPRsForWavesPerEU: 1
; NumVGPRsForWavesPerEU: 1
; NamedBarCnt: 0
; Occupancy: 16
; WaveLimiterHint : 0
; COMPUTE_PGM_RSRC2:SCRATCH_EN: 0
; COMPUTE_PGM_RSRC2:USER_SGPR: 2
; COMPUTE_PGM_RSRC2:TRAP_HANDLER: 0
; COMPUTE_PGM_RSRC2:TGID_X_EN: 1
; COMPUTE_PGM_RSRC2:TGID_Y_EN: 0
; COMPUTE_PGM_RSRC2:TGID_Z_EN: 0
; COMPUTE_PGM_RSRC2:TIDIG_COMP_CNT: 0
	.section	.text._ZN7rocprim17ROCPRIM_400000_NS6detail17trampoline_kernelINS0_14default_configENS1_36segmented_radix_sort_config_selectorIhlEEZNS1_25segmented_radix_sort_implIS3_Lb1EPKhPhPKlPlN2at6native12_GLOBAL__N_18offset_tEEE10hipError_tPvRmT1_PNSt15iterator_traitsISK_E10value_typeET2_T3_PNSL_ISQ_E10value_typeET4_jRbjT5_SW_jjP12ihipStream_tbEUlT_E2_NS1_11comp_targetILNS1_3genE3ELNS1_11target_archE908ELNS1_3gpuE7ELNS1_3repE0EEENS1_30default_config_static_selectorELNS0_4arch9wavefront6targetE0EEEvSK_,"axG",@progbits,_ZN7rocprim17ROCPRIM_400000_NS6detail17trampoline_kernelINS0_14default_configENS1_36segmented_radix_sort_config_selectorIhlEEZNS1_25segmented_radix_sort_implIS3_Lb1EPKhPhPKlPlN2at6native12_GLOBAL__N_18offset_tEEE10hipError_tPvRmT1_PNSt15iterator_traitsISK_E10value_typeET2_T3_PNSL_ISQ_E10value_typeET4_jRbjT5_SW_jjP12ihipStream_tbEUlT_E2_NS1_11comp_targetILNS1_3genE3ELNS1_11target_archE908ELNS1_3gpuE7ELNS1_3repE0EEENS1_30default_config_static_selectorELNS0_4arch9wavefront6targetE0EEEvSK_,comdat
	.globl	_ZN7rocprim17ROCPRIM_400000_NS6detail17trampoline_kernelINS0_14default_configENS1_36segmented_radix_sort_config_selectorIhlEEZNS1_25segmented_radix_sort_implIS3_Lb1EPKhPhPKlPlN2at6native12_GLOBAL__N_18offset_tEEE10hipError_tPvRmT1_PNSt15iterator_traitsISK_E10value_typeET2_T3_PNSL_ISQ_E10value_typeET4_jRbjT5_SW_jjP12ihipStream_tbEUlT_E2_NS1_11comp_targetILNS1_3genE3ELNS1_11target_archE908ELNS1_3gpuE7ELNS1_3repE0EEENS1_30default_config_static_selectorELNS0_4arch9wavefront6targetE0EEEvSK_ ; -- Begin function _ZN7rocprim17ROCPRIM_400000_NS6detail17trampoline_kernelINS0_14default_configENS1_36segmented_radix_sort_config_selectorIhlEEZNS1_25segmented_radix_sort_implIS3_Lb1EPKhPhPKlPlN2at6native12_GLOBAL__N_18offset_tEEE10hipError_tPvRmT1_PNSt15iterator_traitsISK_E10value_typeET2_T3_PNSL_ISQ_E10value_typeET4_jRbjT5_SW_jjP12ihipStream_tbEUlT_E2_NS1_11comp_targetILNS1_3genE3ELNS1_11target_archE908ELNS1_3gpuE7ELNS1_3repE0EEENS1_30default_config_static_selectorELNS0_4arch9wavefront6targetE0EEEvSK_
	.p2align	8
	.type	_ZN7rocprim17ROCPRIM_400000_NS6detail17trampoline_kernelINS0_14default_configENS1_36segmented_radix_sort_config_selectorIhlEEZNS1_25segmented_radix_sort_implIS3_Lb1EPKhPhPKlPlN2at6native12_GLOBAL__N_18offset_tEEE10hipError_tPvRmT1_PNSt15iterator_traitsISK_E10value_typeET2_T3_PNSL_ISQ_E10value_typeET4_jRbjT5_SW_jjP12ihipStream_tbEUlT_E2_NS1_11comp_targetILNS1_3genE3ELNS1_11target_archE908ELNS1_3gpuE7ELNS1_3repE0EEENS1_30default_config_static_selectorELNS0_4arch9wavefront6targetE0EEEvSK_,@function
_ZN7rocprim17ROCPRIM_400000_NS6detail17trampoline_kernelINS0_14default_configENS1_36segmented_radix_sort_config_selectorIhlEEZNS1_25segmented_radix_sort_implIS3_Lb1EPKhPhPKlPlN2at6native12_GLOBAL__N_18offset_tEEE10hipError_tPvRmT1_PNSt15iterator_traitsISK_E10value_typeET2_T3_PNSL_ISQ_E10value_typeET4_jRbjT5_SW_jjP12ihipStream_tbEUlT_E2_NS1_11comp_targetILNS1_3genE3ELNS1_11target_archE908ELNS1_3gpuE7ELNS1_3repE0EEENS1_30default_config_static_selectorELNS0_4arch9wavefront6targetE0EEEvSK_: ; @_ZN7rocprim17ROCPRIM_400000_NS6detail17trampoline_kernelINS0_14default_configENS1_36segmented_radix_sort_config_selectorIhlEEZNS1_25segmented_radix_sort_implIS3_Lb1EPKhPhPKlPlN2at6native12_GLOBAL__N_18offset_tEEE10hipError_tPvRmT1_PNSt15iterator_traitsISK_E10value_typeET2_T3_PNSL_ISQ_E10value_typeET4_jRbjT5_SW_jjP12ihipStream_tbEUlT_E2_NS1_11comp_targetILNS1_3genE3ELNS1_11target_archE908ELNS1_3gpuE7ELNS1_3repE0EEENS1_30default_config_static_selectorELNS0_4arch9wavefront6targetE0EEEvSK_
; %bb.0:
	.section	.rodata,"a",@progbits
	.p2align	6, 0x0
	.amdhsa_kernel _ZN7rocprim17ROCPRIM_400000_NS6detail17trampoline_kernelINS0_14default_configENS1_36segmented_radix_sort_config_selectorIhlEEZNS1_25segmented_radix_sort_implIS3_Lb1EPKhPhPKlPlN2at6native12_GLOBAL__N_18offset_tEEE10hipError_tPvRmT1_PNSt15iterator_traitsISK_E10value_typeET2_T3_PNSL_ISQ_E10value_typeET4_jRbjT5_SW_jjP12ihipStream_tbEUlT_E2_NS1_11comp_targetILNS1_3genE3ELNS1_11target_archE908ELNS1_3gpuE7ELNS1_3repE0EEENS1_30default_config_static_selectorELNS0_4arch9wavefront6targetE0EEEvSK_
		.amdhsa_group_segment_fixed_size 0
		.amdhsa_private_segment_fixed_size 0
		.amdhsa_kernarg_size 80
		.amdhsa_user_sgpr_count 2
		.amdhsa_user_sgpr_dispatch_ptr 0
		.amdhsa_user_sgpr_queue_ptr 0
		.amdhsa_user_sgpr_kernarg_segment_ptr 1
		.amdhsa_user_sgpr_dispatch_id 0
		.amdhsa_user_sgpr_kernarg_preload_length 0
		.amdhsa_user_sgpr_kernarg_preload_offset 0
		.amdhsa_user_sgpr_private_segment_size 0
		.amdhsa_wavefront_size32 1
		.amdhsa_uses_dynamic_stack 0
		.amdhsa_enable_private_segment 0
		.amdhsa_system_sgpr_workgroup_id_x 1
		.amdhsa_system_sgpr_workgroup_id_y 0
		.amdhsa_system_sgpr_workgroup_id_z 0
		.amdhsa_system_sgpr_workgroup_info 0
		.amdhsa_system_vgpr_workitem_id 0
		.amdhsa_next_free_vgpr 1
		.amdhsa_next_free_sgpr 1
		.amdhsa_named_barrier_count 0
		.amdhsa_reserve_vcc 0
		.amdhsa_float_round_mode_32 0
		.amdhsa_float_round_mode_16_64 0
		.amdhsa_float_denorm_mode_32 3
		.amdhsa_float_denorm_mode_16_64 3
		.amdhsa_fp16_overflow 0
		.amdhsa_memory_ordered 1
		.amdhsa_forward_progress 1
		.amdhsa_inst_pref_size 0
		.amdhsa_round_robin_scheduling 0
		.amdhsa_exception_fp_ieee_invalid_op 0
		.amdhsa_exception_fp_denorm_src 0
		.amdhsa_exception_fp_ieee_div_zero 0
		.amdhsa_exception_fp_ieee_overflow 0
		.amdhsa_exception_fp_ieee_underflow 0
		.amdhsa_exception_fp_ieee_inexact 0
		.amdhsa_exception_int_div_zero 0
	.end_amdhsa_kernel
	.section	.text._ZN7rocprim17ROCPRIM_400000_NS6detail17trampoline_kernelINS0_14default_configENS1_36segmented_radix_sort_config_selectorIhlEEZNS1_25segmented_radix_sort_implIS3_Lb1EPKhPhPKlPlN2at6native12_GLOBAL__N_18offset_tEEE10hipError_tPvRmT1_PNSt15iterator_traitsISK_E10value_typeET2_T3_PNSL_ISQ_E10value_typeET4_jRbjT5_SW_jjP12ihipStream_tbEUlT_E2_NS1_11comp_targetILNS1_3genE3ELNS1_11target_archE908ELNS1_3gpuE7ELNS1_3repE0EEENS1_30default_config_static_selectorELNS0_4arch9wavefront6targetE0EEEvSK_,"axG",@progbits,_ZN7rocprim17ROCPRIM_400000_NS6detail17trampoline_kernelINS0_14default_configENS1_36segmented_radix_sort_config_selectorIhlEEZNS1_25segmented_radix_sort_implIS3_Lb1EPKhPhPKlPlN2at6native12_GLOBAL__N_18offset_tEEE10hipError_tPvRmT1_PNSt15iterator_traitsISK_E10value_typeET2_T3_PNSL_ISQ_E10value_typeET4_jRbjT5_SW_jjP12ihipStream_tbEUlT_E2_NS1_11comp_targetILNS1_3genE3ELNS1_11target_archE908ELNS1_3gpuE7ELNS1_3repE0EEENS1_30default_config_static_selectorELNS0_4arch9wavefront6targetE0EEEvSK_,comdat
.Lfunc_end115:
	.size	_ZN7rocprim17ROCPRIM_400000_NS6detail17trampoline_kernelINS0_14default_configENS1_36segmented_radix_sort_config_selectorIhlEEZNS1_25segmented_radix_sort_implIS3_Lb1EPKhPhPKlPlN2at6native12_GLOBAL__N_18offset_tEEE10hipError_tPvRmT1_PNSt15iterator_traitsISK_E10value_typeET2_T3_PNSL_ISQ_E10value_typeET4_jRbjT5_SW_jjP12ihipStream_tbEUlT_E2_NS1_11comp_targetILNS1_3genE3ELNS1_11target_archE908ELNS1_3gpuE7ELNS1_3repE0EEENS1_30default_config_static_selectorELNS0_4arch9wavefront6targetE0EEEvSK_, .Lfunc_end115-_ZN7rocprim17ROCPRIM_400000_NS6detail17trampoline_kernelINS0_14default_configENS1_36segmented_radix_sort_config_selectorIhlEEZNS1_25segmented_radix_sort_implIS3_Lb1EPKhPhPKlPlN2at6native12_GLOBAL__N_18offset_tEEE10hipError_tPvRmT1_PNSt15iterator_traitsISK_E10value_typeET2_T3_PNSL_ISQ_E10value_typeET4_jRbjT5_SW_jjP12ihipStream_tbEUlT_E2_NS1_11comp_targetILNS1_3genE3ELNS1_11target_archE908ELNS1_3gpuE7ELNS1_3repE0EEENS1_30default_config_static_selectorELNS0_4arch9wavefront6targetE0EEEvSK_
                                        ; -- End function
	.set _ZN7rocprim17ROCPRIM_400000_NS6detail17trampoline_kernelINS0_14default_configENS1_36segmented_radix_sort_config_selectorIhlEEZNS1_25segmented_radix_sort_implIS3_Lb1EPKhPhPKlPlN2at6native12_GLOBAL__N_18offset_tEEE10hipError_tPvRmT1_PNSt15iterator_traitsISK_E10value_typeET2_T3_PNSL_ISQ_E10value_typeET4_jRbjT5_SW_jjP12ihipStream_tbEUlT_E2_NS1_11comp_targetILNS1_3genE3ELNS1_11target_archE908ELNS1_3gpuE7ELNS1_3repE0EEENS1_30default_config_static_selectorELNS0_4arch9wavefront6targetE0EEEvSK_.num_vgpr, 0
	.set _ZN7rocprim17ROCPRIM_400000_NS6detail17trampoline_kernelINS0_14default_configENS1_36segmented_radix_sort_config_selectorIhlEEZNS1_25segmented_radix_sort_implIS3_Lb1EPKhPhPKlPlN2at6native12_GLOBAL__N_18offset_tEEE10hipError_tPvRmT1_PNSt15iterator_traitsISK_E10value_typeET2_T3_PNSL_ISQ_E10value_typeET4_jRbjT5_SW_jjP12ihipStream_tbEUlT_E2_NS1_11comp_targetILNS1_3genE3ELNS1_11target_archE908ELNS1_3gpuE7ELNS1_3repE0EEENS1_30default_config_static_selectorELNS0_4arch9wavefront6targetE0EEEvSK_.num_agpr, 0
	.set _ZN7rocprim17ROCPRIM_400000_NS6detail17trampoline_kernelINS0_14default_configENS1_36segmented_radix_sort_config_selectorIhlEEZNS1_25segmented_radix_sort_implIS3_Lb1EPKhPhPKlPlN2at6native12_GLOBAL__N_18offset_tEEE10hipError_tPvRmT1_PNSt15iterator_traitsISK_E10value_typeET2_T3_PNSL_ISQ_E10value_typeET4_jRbjT5_SW_jjP12ihipStream_tbEUlT_E2_NS1_11comp_targetILNS1_3genE3ELNS1_11target_archE908ELNS1_3gpuE7ELNS1_3repE0EEENS1_30default_config_static_selectorELNS0_4arch9wavefront6targetE0EEEvSK_.numbered_sgpr, 0
	.set _ZN7rocprim17ROCPRIM_400000_NS6detail17trampoline_kernelINS0_14default_configENS1_36segmented_radix_sort_config_selectorIhlEEZNS1_25segmented_radix_sort_implIS3_Lb1EPKhPhPKlPlN2at6native12_GLOBAL__N_18offset_tEEE10hipError_tPvRmT1_PNSt15iterator_traitsISK_E10value_typeET2_T3_PNSL_ISQ_E10value_typeET4_jRbjT5_SW_jjP12ihipStream_tbEUlT_E2_NS1_11comp_targetILNS1_3genE3ELNS1_11target_archE908ELNS1_3gpuE7ELNS1_3repE0EEENS1_30default_config_static_selectorELNS0_4arch9wavefront6targetE0EEEvSK_.num_named_barrier, 0
	.set _ZN7rocprim17ROCPRIM_400000_NS6detail17trampoline_kernelINS0_14default_configENS1_36segmented_radix_sort_config_selectorIhlEEZNS1_25segmented_radix_sort_implIS3_Lb1EPKhPhPKlPlN2at6native12_GLOBAL__N_18offset_tEEE10hipError_tPvRmT1_PNSt15iterator_traitsISK_E10value_typeET2_T3_PNSL_ISQ_E10value_typeET4_jRbjT5_SW_jjP12ihipStream_tbEUlT_E2_NS1_11comp_targetILNS1_3genE3ELNS1_11target_archE908ELNS1_3gpuE7ELNS1_3repE0EEENS1_30default_config_static_selectorELNS0_4arch9wavefront6targetE0EEEvSK_.private_seg_size, 0
	.set _ZN7rocprim17ROCPRIM_400000_NS6detail17trampoline_kernelINS0_14default_configENS1_36segmented_radix_sort_config_selectorIhlEEZNS1_25segmented_radix_sort_implIS3_Lb1EPKhPhPKlPlN2at6native12_GLOBAL__N_18offset_tEEE10hipError_tPvRmT1_PNSt15iterator_traitsISK_E10value_typeET2_T3_PNSL_ISQ_E10value_typeET4_jRbjT5_SW_jjP12ihipStream_tbEUlT_E2_NS1_11comp_targetILNS1_3genE3ELNS1_11target_archE908ELNS1_3gpuE7ELNS1_3repE0EEENS1_30default_config_static_selectorELNS0_4arch9wavefront6targetE0EEEvSK_.uses_vcc, 0
	.set _ZN7rocprim17ROCPRIM_400000_NS6detail17trampoline_kernelINS0_14default_configENS1_36segmented_radix_sort_config_selectorIhlEEZNS1_25segmented_radix_sort_implIS3_Lb1EPKhPhPKlPlN2at6native12_GLOBAL__N_18offset_tEEE10hipError_tPvRmT1_PNSt15iterator_traitsISK_E10value_typeET2_T3_PNSL_ISQ_E10value_typeET4_jRbjT5_SW_jjP12ihipStream_tbEUlT_E2_NS1_11comp_targetILNS1_3genE3ELNS1_11target_archE908ELNS1_3gpuE7ELNS1_3repE0EEENS1_30default_config_static_selectorELNS0_4arch9wavefront6targetE0EEEvSK_.uses_flat_scratch, 0
	.set _ZN7rocprim17ROCPRIM_400000_NS6detail17trampoline_kernelINS0_14default_configENS1_36segmented_radix_sort_config_selectorIhlEEZNS1_25segmented_radix_sort_implIS3_Lb1EPKhPhPKlPlN2at6native12_GLOBAL__N_18offset_tEEE10hipError_tPvRmT1_PNSt15iterator_traitsISK_E10value_typeET2_T3_PNSL_ISQ_E10value_typeET4_jRbjT5_SW_jjP12ihipStream_tbEUlT_E2_NS1_11comp_targetILNS1_3genE3ELNS1_11target_archE908ELNS1_3gpuE7ELNS1_3repE0EEENS1_30default_config_static_selectorELNS0_4arch9wavefront6targetE0EEEvSK_.has_dyn_sized_stack, 0
	.set _ZN7rocprim17ROCPRIM_400000_NS6detail17trampoline_kernelINS0_14default_configENS1_36segmented_radix_sort_config_selectorIhlEEZNS1_25segmented_radix_sort_implIS3_Lb1EPKhPhPKlPlN2at6native12_GLOBAL__N_18offset_tEEE10hipError_tPvRmT1_PNSt15iterator_traitsISK_E10value_typeET2_T3_PNSL_ISQ_E10value_typeET4_jRbjT5_SW_jjP12ihipStream_tbEUlT_E2_NS1_11comp_targetILNS1_3genE3ELNS1_11target_archE908ELNS1_3gpuE7ELNS1_3repE0EEENS1_30default_config_static_selectorELNS0_4arch9wavefront6targetE0EEEvSK_.has_recursion, 0
	.set _ZN7rocprim17ROCPRIM_400000_NS6detail17trampoline_kernelINS0_14default_configENS1_36segmented_radix_sort_config_selectorIhlEEZNS1_25segmented_radix_sort_implIS3_Lb1EPKhPhPKlPlN2at6native12_GLOBAL__N_18offset_tEEE10hipError_tPvRmT1_PNSt15iterator_traitsISK_E10value_typeET2_T3_PNSL_ISQ_E10value_typeET4_jRbjT5_SW_jjP12ihipStream_tbEUlT_E2_NS1_11comp_targetILNS1_3genE3ELNS1_11target_archE908ELNS1_3gpuE7ELNS1_3repE0EEENS1_30default_config_static_selectorELNS0_4arch9wavefront6targetE0EEEvSK_.has_indirect_call, 0
	.section	.AMDGPU.csdata,"",@progbits
; Kernel info:
; codeLenInByte = 0
; TotalNumSgprs: 0
; NumVgprs: 0
; ScratchSize: 0
; MemoryBound: 0
; FloatMode: 240
; IeeeMode: 1
; LDSByteSize: 0 bytes/workgroup (compile time only)
; SGPRBlocks: 0
; VGPRBlocks: 0
; NumSGPRsForWavesPerEU: 1
; NumVGPRsForWavesPerEU: 1
; NamedBarCnt: 0
; Occupancy: 16
; WaveLimiterHint : 0
; COMPUTE_PGM_RSRC2:SCRATCH_EN: 0
; COMPUTE_PGM_RSRC2:USER_SGPR: 2
; COMPUTE_PGM_RSRC2:TRAP_HANDLER: 0
; COMPUTE_PGM_RSRC2:TGID_X_EN: 1
; COMPUTE_PGM_RSRC2:TGID_Y_EN: 0
; COMPUTE_PGM_RSRC2:TGID_Z_EN: 0
; COMPUTE_PGM_RSRC2:TIDIG_COMP_CNT: 0
	.section	.text._ZN7rocprim17ROCPRIM_400000_NS6detail17trampoline_kernelINS0_14default_configENS1_36segmented_radix_sort_config_selectorIhlEEZNS1_25segmented_radix_sort_implIS3_Lb1EPKhPhPKlPlN2at6native12_GLOBAL__N_18offset_tEEE10hipError_tPvRmT1_PNSt15iterator_traitsISK_E10value_typeET2_T3_PNSL_ISQ_E10value_typeET4_jRbjT5_SW_jjP12ihipStream_tbEUlT_E2_NS1_11comp_targetILNS1_3genE2ELNS1_11target_archE906ELNS1_3gpuE6ELNS1_3repE0EEENS1_30default_config_static_selectorELNS0_4arch9wavefront6targetE0EEEvSK_,"axG",@progbits,_ZN7rocprim17ROCPRIM_400000_NS6detail17trampoline_kernelINS0_14default_configENS1_36segmented_radix_sort_config_selectorIhlEEZNS1_25segmented_radix_sort_implIS3_Lb1EPKhPhPKlPlN2at6native12_GLOBAL__N_18offset_tEEE10hipError_tPvRmT1_PNSt15iterator_traitsISK_E10value_typeET2_T3_PNSL_ISQ_E10value_typeET4_jRbjT5_SW_jjP12ihipStream_tbEUlT_E2_NS1_11comp_targetILNS1_3genE2ELNS1_11target_archE906ELNS1_3gpuE6ELNS1_3repE0EEENS1_30default_config_static_selectorELNS0_4arch9wavefront6targetE0EEEvSK_,comdat
	.globl	_ZN7rocprim17ROCPRIM_400000_NS6detail17trampoline_kernelINS0_14default_configENS1_36segmented_radix_sort_config_selectorIhlEEZNS1_25segmented_radix_sort_implIS3_Lb1EPKhPhPKlPlN2at6native12_GLOBAL__N_18offset_tEEE10hipError_tPvRmT1_PNSt15iterator_traitsISK_E10value_typeET2_T3_PNSL_ISQ_E10value_typeET4_jRbjT5_SW_jjP12ihipStream_tbEUlT_E2_NS1_11comp_targetILNS1_3genE2ELNS1_11target_archE906ELNS1_3gpuE6ELNS1_3repE0EEENS1_30default_config_static_selectorELNS0_4arch9wavefront6targetE0EEEvSK_ ; -- Begin function _ZN7rocprim17ROCPRIM_400000_NS6detail17trampoline_kernelINS0_14default_configENS1_36segmented_radix_sort_config_selectorIhlEEZNS1_25segmented_radix_sort_implIS3_Lb1EPKhPhPKlPlN2at6native12_GLOBAL__N_18offset_tEEE10hipError_tPvRmT1_PNSt15iterator_traitsISK_E10value_typeET2_T3_PNSL_ISQ_E10value_typeET4_jRbjT5_SW_jjP12ihipStream_tbEUlT_E2_NS1_11comp_targetILNS1_3genE2ELNS1_11target_archE906ELNS1_3gpuE6ELNS1_3repE0EEENS1_30default_config_static_selectorELNS0_4arch9wavefront6targetE0EEEvSK_
	.p2align	8
	.type	_ZN7rocprim17ROCPRIM_400000_NS6detail17trampoline_kernelINS0_14default_configENS1_36segmented_radix_sort_config_selectorIhlEEZNS1_25segmented_radix_sort_implIS3_Lb1EPKhPhPKlPlN2at6native12_GLOBAL__N_18offset_tEEE10hipError_tPvRmT1_PNSt15iterator_traitsISK_E10value_typeET2_T3_PNSL_ISQ_E10value_typeET4_jRbjT5_SW_jjP12ihipStream_tbEUlT_E2_NS1_11comp_targetILNS1_3genE2ELNS1_11target_archE906ELNS1_3gpuE6ELNS1_3repE0EEENS1_30default_config_static_selectorELNS0_4arch9wavefront6targetE0EEEvSK_,@function
_ZN7rocprim17ROCPRIM_400000_NS6detail17trampoline_kernelINS0_14default_configENS1_36segmented_radix_sort_config_selectorIhlEEZNS1_25segmented_radix_sort_implIS3_Lb1EPKhPhPKlPlN2at6native12_GLOBAL__N_18offset_tEEE10hipError_tPvRmT1_PNSt15iterator_traitsISK_E10value_typeET2_T3_PNSL_ISQ_E10value_typeET4_jRbjT5_SW_jjP12ihipStream_tbEUlT_E2_NS1_11comp_targetILNS1_3genE2ELNS1_11target_archE906ELNS1_3gpuE6ELNS1_3repE0EEENS1_30default_config_static_selectorELNS0_4arch9wavefront6targetE0EEEvSK_: ; @_ZN7rocprim17ROCPRIM_400000_NS6detail17trampoline_kernelINS0_14default_configENS1_36segmented_radix_sort_config_selectorIhlEEZNS1_25segmented_radix_sort_implIS3_Lb1EPKhPhPKlPlN2at6native12_GLOBAL__N_18offset_tEEE10hipError_tPvRmT1_PNSt15iterator_traitsISK_E10value_typeET2_T3_PNSL_ISQ_E10value_typeET4_jRbjT5_SW_jjP12ihipStream_tbEUlT_E2_NS1_11comp_targetILNS1_3genE2ELNS1_11target_archE906ELNS1_3gpuE6ELNS1_3repE0EEENS1_30default_config_static_selectorELNS0_4arch9wavefront6targetE0EEEvSK_
; %bb.0:
	.section	.rodata,"a",@progbits
	.p2align	6, 0x0
	.amdhsa_kernel _ZN7rocprim17ROCPRIM_400000_NS6detail17trampoline_kernelINS0_14default_configENS1_36segmented_radix_sort_config_selectorIhlEEZNS1_25segmented_radix_sort_implIS3_Lb1EPKhPhPKlPlN2at6native12_GLOBAL__N_18offset_tEEE10hipError_tPvRmT1_PNSt15iterator_traitsISK_E10value_typeET2_T3_PNSL_ISQ_E10value_typeET4_jRbjT5_SW_jjP12ihipStream_tbEUlT_E2_NS1_11comp_targetILNS1_3genE2ELNS1_11target_archE906ELNS1_3gpuE6ELNS1_3repE0EEENS1_30default_config_static_selectorELNS0_4arch9wavefront6targetE0EEEvSK_
		.amdhsa_group_segment_fixed_size 0
		.amdhsa_private_segment_fixed_size 0
		.amdhsa_kernarg_size 80
		.amdhsa_user_sgpr_count 2
		.amdhsa_user_sgpr_dispatch_ptr 0
		.amdhsa_user_sgpr_queue_ptr 0
		.amdhsa_user_sgpr_kernarg_segment_ptr 1
		.amdhsa_user_sgpr_dispatch_id 0
		.amdhsa_user_sgpr_kernarg_preload_length 0
		.amdhsa_user_sgpr_kernarg_preload_offset 0
		.amdhsa_user_sgpr_private_segment_size 0
		.amdhsa_wavefront_size32 1
		.amdhsa_uses_dynamic_stack 0
		.amdhsa_enable_private_segment 0
		.amdhsa_system_sgpr_workgroup_id_x 1
		.amdhsa_system_sgpr_workgroup_id_y 0
		.amdhsa_system_sgpr_workgroup_id_z 0
		.amdhsa_system_sgpr_workgroup_info 0
		.amdhsa_system_vgpr_workitem_id 0
		.amdhsa_next_free_vgpr 1
		.amdhsa_next_free_sgpr 1
		.amdhsa_named_barrier_count 0
		.amdhsa_reserve_vcc 0
		.amdhsa_float_round_mode_32 0
		.amdhsa_float_round_mode_16_64 0
		.amdhsa_float_denorm_mode_32 3
		.amdhsa_float_denorm_mode_16_64 3
		.amdhsa_fp16_overflow 0
		.amdhsa_memory_ordered 1
		.amdhsa_forward_progress 1
		.amdhsa_inst_pref_size 0
		.amdhsa_round_robin_scheduling 0
		.amdhsa_exception_fp_ieee_invalid_op 0
		.amdhsa_exception_fp_denorm_src 0
		.amdhsa_exception_fp_ieee_div_zero 0
		.amdhsa_exception_fp_ieee_overflow 0
		.amdhsa_exception_fp_ieee_underflow 0
		.amdhsa_exception_fp_ieee_inexact 0
		.amdhsa_exception_int_div_zero 0
	.end_amdhsa_kernel
	.section	.text._ZN7rocprim17ROCPRIM_400000_NS6detail17trampoline_kernelINS0_14default_configENS1_36segmented_radix_sort_config_selectorIhlEEZNS1_25segmented_radix_sort_implIS3_Lb1EPKhPhPKlPlN2at6native12_GLOBAL__N_18offset_tEEE10hipError_tPvRmT1_PNSt15iterator_traitsISK_E10value_typeET2_T3_PNSL_ISQ_E10value_typeET4_jRbjT5_SW_jjP12ihipStream_tbEUlT_E2_NS1_11comp_targetILNS1_3genE2ELNS1_11target_archE906ELNS1_3gpuE6ELNS1_3repE0EEENS1_30default_config_static_selectorELNS0_4arch9wavefront6targetE0EEEvSK_,"axG",@progbits,_ZN7rocprim17ROCPRIM_400000_NS6detail17trampoline_kernelINS0_14default_configENS1_36segmented_radix_sort_config_selectorIhlEEZNS1_25segmented_radix_sort_implIS3_Lb1EPKhPhPKlPlN2at6native12_GLOBAL__N_18offset_tEEE10hipError_tPvRmT1_PNSt15iterator_traitsISK_E10value_typeET2_T3_PNSL_ISQ_E10value_typeET4_jRbjT5_SW_jjP12ihipStream_tbEUlT_E2_NS1_11comp_targetILNS1_3genE2ELNS1_11target_archE906ELNS1_3gpuE6ELNS1_3repE0EEENS1_30default_config_static_selectorELNS0_4arch9wavefront6targetE0EEEvSK_,comdat
.Lfunc_end116:
	.size	_ZN7rocprim17ROCPRIM_400000_NS6detail17trampoline_kernelINS0_14default_configENS1_36segmented_radix_sort_config_selectorIhlEEZNS1_25segmented_radix_sort_implIS3_Lb1EPKhPhPKlPlN2at6native12_GLOBAL__N_18offset_tEEE10hipError_tPvRmT1_PNSt15iterator_traitsISK_E10value_typeET2_T3_PNSL_ISQ_E10value_typeET4_jRbjT5_SW_jjP12ihipStream_tbEUlT_E2_NS1_11comp_targetILNS1_3genE2ELNS1_11target_archE906ELNS1_3gpuE6ELNS1_3repE0EEENS1_30default_config_static_selectorELNS0_4arch9wavefront6targetE0EEEvSK_, .Lfunc_end116-_ZN7rocprim17ROCPRIM_400000_NS6detail17trampoline_kernelINS0_14default_configENS1_36segmented_radix_sort_config_selectorIhlEEZNS1_25segmented_radix_sort_implIS3_Lb1EPKhPhPKlPlN2at6native12_GLOBAL__N_18offset_tEEE10hipError_tPvRmT1_PNSt15iterator_traitsISK_E10value_typeET2_T3_PNSL_ISQ_E10value_typeET4_jRbjT5_SW_jjP12ihipStream_tbEUlT_E2_NS1_11comp_targetILNS1_3genE2ELNS1_11target_archE906ELNS1_3gpuE6ELNS1_3repE0EEENS1_30default_config_static_selectorELNS0_4arch9wavefront6targetE0EEEvSK_
                                        ; -- End function
	.set _ZN7rocprim17ROCPRIM_400000_NS6detail17trampoline_kernelINS0_14default_configENS1_36segmented_radix_sort_config_selectorIhlEEZNS1_25segmented_radix_sort_implIS3_Lb1EPKhPhPKlPlN2at6native12_GLOBAL__N_18offset_tEEE10hipError_tPvRmT1_PNSt15iterator_traitsISK_E10value_typeET2_T3_PNSL_ISQ_E10value_typeET4_jRbjT5_SW_jjP12ihipStream_tbEUlT_E2_NS1_11comp_targetILNS1_3genE2ELNS1_11target_archE906ELNS1_3gpuE6ELNS1_3repE0EEENS1_30default_config_static_selectorELNS0_4arch9wavefront6targetE0EEEvSK_.num_vgpr, 0
	.set _ZN7rocprim17ROCPRIM_400000_NS6detail17trampoline_kernelINS0_14default_configENS1_36segmented_radix_sort_config_selectorIhlEEZNS1_25segmented_radix_sort_implIS3_Lb1EPKhPhPKlPlN2at6native12_GLOBAL__N_18offset_tEEE10hipError_tPvRmT1_PNSt15iterator_traitsISK_E10value_typeET2_T3_PNSL_ISQ_E10value_typeET4_jRbjT5_SW_jjP12ihipStream_tbEUlT_E2_NS1_11comp_targetILNS1_3genE2ELNS1_11target_archE906ELNS1_3gpuE6ELNS1_3repE0EEENS1_30default_config_static_selectorELNS0_4arch9wavefront6targetE0EEEvSK_.num_agpr, 0
	.set _ZN7rocprim17ROCPRIM_400000_NS6detail17trampoline_kernelINS0_14default_configENS1_36segmented_radix_sort_config_selectorIhlEEZNS1_25segmented_radix_sort_implIS3_Lb1EPKhPhPKlPlN2at6native12_GLOBAL__N_18offset_tEEE10hipError_tPvRmT1_PNSt15iterator_traitsISK_E10value_typeET2_T3_PNSL_ISQ_E10value_typeET4_jRbjT5_SW_jjP12ihipStream_tbEUlT_E2_NS1_11comp_targetILNS1_3genE2ELNS1_11target_archE906ELNS1_3gpuE6ELNS1_3repE0EEENS1_30default_config_static_selectorELNS0_4arch9wavefront6targetE0EEEvSK_.numbered_sgpr, 0
	.set _ZN7rocprim17ROCPRIM_400000_NS6detail17trampoline_kernelINS0_14default_configENS1_36segmented_radix_sort_config_selectorIhlEEZNS1_25segmented_radix_sort_implIS3_Lb1EPKhPhPKlPlN2at6native12_GLOBAL__N_18offset_tEEE10hipError_tPvRmT1_PNSt15iterator_traitsISK_E10value_typeET2_T3_PNSL_ISQ_E10value_typeET4_jRbjT5_SW_jjP12ihipStream_tbEUlT_E2_NS1_11comp_targetILNS1_3genE2ELNS1_11target_archE906ELNS1_3gpuE6ELNS1_3repE0EEENS1_30default_config_static_selectorELNS0_4arch9wavefront6targetE0EEEvSK_.num_named_barrier, 0
	.set _ZN7rocprim17ROCPRIM_400000_NS6detail17trampoline_kernelINS0_14default_configENS1_36segmented_radix_sort_config_selectorIhlEEZNS1_25segmented_radix_sort_implIS3_Lb1EPKhPhPKlPlN2at6native12_GLOBAL__N_18offset_tEEE10hipError_tPvRmT1_PNSt15iterator_traitsISK_E10value_typeET2_T3_PNSL_ISQ_E10value_typeET4_jRbjT5_SW_jjP12ihipStream_tbEUlT_E2_NS1_11comp_targetILNS1_3genE2ELNS1_11target_archE906ELNS1_3gpuE6ELNS1_3repE0EEENS1_30default_config_static_selectorELNS0_4arch9wavefront6targetE0EEEvSK_.private_seg_size, 0
	.set _ZN7rocprim17ROCPRIM_400000_NS6detail17trampoline_kernelINS0_14default_configENS1_36segmented_radix_sort_config_selectorIhlEEZNS1_25segmented_radix_sort_implIS3_Lb1EPKhPhPKlPlN2at6native12_GLOBAL__N_18offset_tEEE10hipError_tPvRmT1_PNSt15iterator_traitsISK_E10value_typeET2_T3_PNSL_ISQ_E10value_typeET4_jRbjT5_SW_jjP12ihipStream_tbEUlT_E2_NS1_11comp_targetILNS1_3genE2ELNS1_11target_archE906ELNS1_3gpuE6ELNS1_3repE0EEENS1_30default_config_static_selectorELNS0_4arch9wavefront6targetE0EEEvSK_.uses_vcc, 0
	.set _ZN7rocprim17ROCPRIM_400000_NS6detail17trampoline_kernelINS0_14default_configENS1_36segmented_radix_sort_config_selectorIhlEEZNS1_25segmented_radix_sort_implIS3_Lb1EPKhPhPKlPlN2at6native12_GLOBAL__N_18offset_tEEE10hipError_tPvRmT1_PNSt15iterator_traitsISK_E10value_typeET2_T3_PNSL_ISQ_E10value_typeET4_jRbjT5_SW_jjP12ihipStream_tbEUlT_E2_NS1_11comp_targetILNS1_3genE2ELNS1_11target_archE906ELNS1_3gpuE6ELNS1_3repE0EEENS1_30default_config_static_selectorELNS0_4arch9wavefront6targetE0EEEvSK_.uses_flat_scratch, 0
	.set _ZN7rocprim17ROCPRIM_400000_NS6detail17trampoline_kernelINS0_14default_configENS1_36segmented_radix_sort_config_selectorIhlEEZNS1_25segmented_radix_sort_implIS3_Lb1EPKhPhPKlPlN2at6native12_GLOBAL__N_18offset_tEEE10hipError_tPvRmT1_PNSt15iterator_traitsISK_E10value_typeET2_T3_PNSL_ISQ_E10value_typeET4_jRbjT5_SW_jjP12ihipStream_tbEUlT_E2_NS1_11comp_targetILNS1_3genE2ELNS1_11target_archE906ELNS1_3gpuE6ELNS1_3repE0EEENS1_30default_config_static_selectorELNS0_4arch9wavefront6targetE0EEEvSK_.has_dyn_sized_stack, 0
	.set _ZN7rocprim17ROCPRIM_400000_NS6detail17trampoline_kernelINS0_14default_configENS1_36segmented_radix_sort_config_selectorIhlEEZNS1_25segmented_radix_sort_implIS3_Lb1EPKhPhPKlPlN2at6native12_GLOBAL__N_18offset_tEEE10hipError_tPvRmT1_PNSt15iterator_traitsISK_E10value_typeET2_T3_PNSL_ISQ_E10value_typeET4_jRbjT5_SW_jjP12ihipStream_tbEUlT_E2_NS1_11comp_targetILNS1_3genE2ELNS1_11target_archE906ELNS1_3gpuE6ELNS1_3repE0EEENS1_30default_config_static_selectorELNS0_4arch9wavefront6targetE0EEEvSK_.has_recursion, 0
	.set _ZN7rocprim17ROCPRIM_400000_NS6detail17trampoline_kernelINS0_14default_configENS1_36segmented_radix_sort_config_selectorIhlEEZNS1_25segmented_radix_sort_implIS3_Lb1EPKhPhPKlPlN2at6native12_GLOBAL__N_18offset_tEEE10hipError_tPvRmT1_PNSt15iterator_traitsISK_E10value_typeET2_T3_PNSL_ISQ_E10value_typeET4_jRbjT5_SW_jjP12ihipStream_tbEUlT_E2_NS1_11comp_targetILNS1_3genE2ELNS1_11target_archE906ELNS1_3gpuE6ELNS1_3repE0EEENS1_30default_config_static_selectorELNS0_4arch9wavefront6targetE0EEEvSK_.has_indirect_call, 0
	.section	.AMDGPU.csdata,"",@progbits
; Kernel info:
; codeLenInByte = 0
; TotalNumSgprs: 0
; NumVgprs: 0
; ScratchSize: 0
; MemoryBound: 0
; FloatMode: 240
; IeeeMode: 1
; LDSByteSize: 0 bytes/workgroup (compile time only)
; SGPRBlocks: 0
; VGPRBlocks: 0
; NumSGPRsForWavesPerEU: 1
; NumVGPRsForWavesPerEU: 1
; NamedBarCnt: 0
; Occupancy: 16
; WaveLimiterHint : 0
; COMPUTE_PGM_RSRC2:SCRATCH_EN: 0
; COMPUTE_PGM_RSRC2:USER_SGPR: 2
; COMPUTE_PGM_RSRC2:TRAP_HANDLER: 0
; COMPUTE_PGM_RSRC2:TGID_X_EN: 1
; COMPUTE_PGM_RSRC2:TGID_Y_EN: 0
; COMPUTE_PGM_RSRC2:TGID_Z_EN: 0
; COMPUTE_PGM_RSRC2:TIDIG_COMP_CNT: 0
	.section	.text._ZN7rocprim17ROCPRIM_400000_NS6detail17trampoline_kernelINS0_14default_configENS1_36segmented_radix_sort_config_selectorIhlEEZNS1_25segmented_radix_sort_implIS3_Lb1EPKhPhPKlPlN2at6native12_GLOBAL__N_18offset_tEEE10hipError_tPvRmT1_PNSt15iterator_traitsISK_E10value_typeET2_T3_PNSL_ISQ_E10value_typeET4_jRbjT5_SW_jjP12ihipStream_tbEUlT_E2_NS1_11comp_targetILNS1_3genE10ELNS1_11target_archE1201ELNS1_3gpuE5ELNS1_3repE0EEENS1_30default_config_static_selectorELNS0_4arch9wavefront6targetE0EEEvSK_,"axG",@progbits,_ZN7rocprim17ROCPRIM_400000_NS6detail17trampoline_kernelINS0_14default_configENS1_36segmented_radix_sort_config_selectorIhlEEZNS1_25segmented_radix_sort_implIS3_Lb1EPKhPhPKlPlN2at6native12_GLOBAL__N_18offset_tEEE10hipError_tPvRmT1_PNSt15iterator_traitsISK_E10value_typeET2_T3_PNSL_ISQ_E10value_typeET4_jRbjT5_SW_jjP12ihipStream_tbEUlT_E2_NS1_11comp_targetILNS1_3genE10ELNS1_11target_archE1201ELNS1_3gpuE5ELNS1_3repE0EEENS1_30default_config_static_selectorELNS0_4arch9wavefront6targetE0EEEvSK_,comdat
	.globl	_ZN7rocprim17ROCPRIM_400000_NS6detail17trampoline_kernelINS0_14default_configENS1_36segmented_radix_sort_config_selectorIhlEEZNS1_25segmented_radix_sort_implIS3_Lb1EPKhPhPKlPlN2at6native12_GLOBAL__N_18offset_tEEE10hipError_tPvRmT1_PNSt15iterator_traitsISK_E10value_typeET2_T3_PNSL_ISQ_E10value_typeET4_jRbjT5_SW_jjP12ihipStream_tbEUlT_E2_NS1_11comp_targetILNS1_3genE10ELNS1_11target_archE1201ELNS1_3gpuE5ELNS1_3repE0EEENS1_30default_config_static_selectorELNS0_4arch9wavefront6targetE0EEEvSK_ ; -- Begin function _ZN7rocprim17ROCPRIM_400000_NS6detail17trampoline_kernelINS0_14default_configENS1_36segmented_radix_sort_config_selectorIhlEEZNS1_25segmented_radix_sort_implIS3_Lb1EPKhPhPKlPlN2at6native12_GLOBAL__N_18offset_tEEE10hipError_tPvRmT1_PNSt15iterator_traitsISK_E10value_typeET2_T3_PNSL_ISQ_E10value_typeET4_jRbjT5_SW_jjP12ihipStream_tbEUlT_E2_NS1_11comp_targetILNS1_3genE10ELNS1_11target_archE1201ELNS1_3gpuE5ELNS1_3repE0EEENS1_30default_config_static_selectorELNS0_4arch9wavefront6targetE0EEEvSK_
	.p2align	8
	.type	_ZN7rocprim17ROCPRIM_400000_NS6detail17trampoline_kernelINS0_14default_configENS1_36segmented_radix_sort_config_selectorIhlEEZNS1_25segmented_radix_sort_implIS3_Lb1EPKhPhPKlPlN2at6native12_GLOBAL__N_18offset_tEEE10hipError_tPvRmT1_PNSt15iterator_traitsISK_E10value_typeET2_T3_PNSL_ISQ_E10value_typeET4_jRbjT5_SW_jjP12ihipStream_tbEUlT_E2_NS1_11comp_targetILNS1_3genE10ELNS1_11target_archE1201ELNS1_3gpuE5ELNS1_3repE0EEENS1_30default_config_static_selectorELNS0_4arch9wavefront6targetE0EEEvSK_,@function
_ZN7rocprim17ROCPRIM_400000_NS6detail17trampoline_kernelINS0_14default_configENS1_36segmented_radix_sort_config_selectorIhlEEZNS1_25segmented_radix_sort_implIS3_Lb1EPKhPhPKlPlN2at6native12_GLOBAL__N_18offset_tEEE10hipError_tPvRmT1_PNSt15iterator_traitsISK_E10value_typeET2_T3_PNSL_ISQ_E10value_typeET4_jRbjT5_SW_jjP12ihipStream_tbEUlT_E2_NS1_11comp_targetILNS1_3genE10ELNS1_11target_archE1201ELNS1_3gpuE5ELNS1_3repE0EEENS1_30default_config_static_selectorELNS0_4arch9wavefront6targetE0EEEvSK_: ; @_ZN7rocprim17ROCPRIM_400000_NS6detail17trampoline_kernelINS0_14default_configENS1_36segmented_radix_sort_config_selectorIhlEEZNS1_25segmented_radix_sort_implIS3_Lb1EPKhPhPKlPlN2at6native12_GLOBAL__N_18offset_tEEE10hipError_tPvRmT1_PNSt15iterator_traitsISK_E10value_typeET2_T3_PNSL_ISQ_E10value_typeET4_jRbjT5_SW_jjP12ihipStream_tbEUlT_E2_NS1_11comp_targetILNS1_3genE10ELNS1_11target_archE1201ELNS1_3gpuE5ELNS1_3repE0EEENS1_30default_config_static_selectorELNS0_4arch9wavefront6targetE0EEEvSK_
; %bb.0:
	.section	.rodata,"a",@progbits
	.p2align	6, 0x0
	.amdhsa_kernel _ZN7rocprim17ROCPRIM_400000_NS6detail17trampoline_kernelINS0_14default_configENS1_36segmented_radix_sort_config_selectorIhlEEZNS1_25segmented_radix_sort_implIS3_Lb1EPKhPhPKlPlN2at6native12_GLOBAL__N_18offset_tEEE10hipError_tPvRmT1_PNSt15iterator_traitsISK_E10value_typeET2_T3_PNSL_ISQ_E10value_typeET4_jRbjT5_SW_jjP12ihipStream_tbEUlT_E2_NS1_11comp_targetILNS1_3genE10ELNS1_11target_archE1201ELNS1_3gpuE5ELNS1_3repE0EEENS1_30default_config_static_selectorELNS0_4arch9wavefront6targetE0EEEvSK_
		.amdhsa_group_segment_fixed_size 0
		.amdhsa_private_segment_fixed_size 0
		.amdhsa_kernarg_size 80
		.amdhsa_user_sgpr_count 2
		.amdhsa_user_sgpr_dispatch_ptr 0
		.amdhsa_user_sgpr_queue_ptr 0
		.amdhsa_user_sgpr_kernarg_segment_ptr 1
		.amdhsa_user_sgpr_dispatch_id 0
		.amdhsa_user_sgpr_kernarg_preload_length 0
		.amdhsa_user_sgpr_kernarg_preload_offset 0
		.amdhsa_user_sgpr_private_segment_size 0
		.amdhsa_wavefront_size32 1
		.amdhsa_uses_dynamic_stack 0
		.amdhsa_enable_private_segment 0
		.amdhsa_system_sgpr_workgroup_id_x 1
		.amdhsa_system_sgpr_workgroup_id_y 0
		.amdhsa_system_sgpr_workgroup_id_z 0
		.amdhsa_system_sgpr_workgroup_info 0
		.amdhsa_system_vgpr_workitem_id 0
		.amdhsa_next_free_vgpr 1
		.amdhsa_next_free_sgpr 1
		.amdhsa_named_barrier_count 0
		.amdhsa_reserve_vcc 0
		.amdhsa_float_round_mode_32 0
		.amdhsa_float_round_mode_16_64 0
		.amdhsa_float_denorm_mode_32 3
		.amdhsa_float_denorm_mode_16_64 3
		.amdhsa_fp16_overflow 0
		.amdhsa_memory_ordered 1
		.amdhsa_forward_progress 1
		.amdhsa_inst_pref_size 0
		.amdhsa_round_robin_scheduling 0
		.amdhsa_exception_fp_ieee_invalid_op 0
		.amdhsa_exception_fp_denorm_src 0
		.amdhsa_exception_fp_ieee_div_zero 0
		.amdhsa_exception_fp_ieee_overflow 0
		.amdhsa_exception_fp_ieee_underflow 0
		.amdhsa_exception_fp_ieee_inexact 0
		.amdhsa_exception_int_div_zero 0
	.end_amdhsa_kernel
	.section	.text._ZN7rocprim17ROCPRIM_400000_NS6detail17trampoline_kernelINS0_14default_configENS1_36segmented_radix_sort_config_selectorIhlEEZNS1_25segmented_radix_sort_implIS3_Lb1EPKhPhPKlPlN2at6native12_GLOBAL__N_18offset_tEEE10hipError_tPvRmT1_PNSt15iterator_traitsISK_E10value_typeET2_T3_PNSL_ISQ_E10value_typeET4_jRbjT5_SW_jjP12ihipStream_tbEUlT_E2_NS1_11comp_targetILNS1_3genE10ELNS1_11target_archE1201ELNS1_3gpuE5ELNS1_3repE0EEENS1_30default_config_static_selectorELNS0_4arch9wavefront6targetE0EEEvSK_,"axG",@progbits,_ZN7rocprim17ROCPRIM_400000_NS6detail17trampoline_kernelINS0_14default_configENS1_36segmented_radix_sort_config_selectorIhlEEZNS1_25segmented_radix_sort_implIS3_Lb1EPKhPhPKlPlN2at6native12_GLOBAL__N_18offset_tEEE10hipError_tPvRmT1_PNSt15iterator_traitsISK_E10value_typeET2_T3_PNSL_ISQ_E10value_typeET4_jRbjT5_SW_jjP12ihipStream_tbEUlT_E2_NS1_11comp_targetILNS1_3genE10ELNS1_11target_archE1201ELNS1_3gpuE5ELNS1_3repE0EEENS1_30default_config_static_selectorELNS0_4arch9wavefront6targetE0EEEvSK_,comdat
.Lfunc_end117:
	.size	_ZN7rocprim17ROCPRIM_400000_NS6detail17trampoline_kernelINS0_14default_configENS1_36segmented_radix_sort_config_selectorIhlEEZNS1_25segmented_radix_sort_implIS3_Lb1EPKhPhPKlPlN2at6native12_GLOBAL__N_18offset_tEEE10hipError_tPvRmT1_PNSt15iterator_traitsISK_E10value_typeET2_T3_PNSL_ISQ_E10value_typeET4_jRbjT5_SW_jjP12ihipStream_tbEUlT_E2_NS1_11comp_targetILNS1_3genE10ELNS1_11target_archE1201ELNS1_3gpuE5ELNS1_3repE0EEENS1_30default_config_static_selectorELNS0_4arch9wavefront6targetE0EEEvSK_, .Lfunc_end117-_ZN7rocprim17ROCPRIM_400000_NS6detail17trampoline_kernelINS0_14default_configENS1_36segmented_radix_sort_config_selectorIhlEEZNS1_25segmented_radix_sort_implIS3_Lb1EPKhPhPKlPlN2at6native12_GLOBAL__N_18offset_tEEE10hipError_tPvRmT1_PNSt15iterator_traitsISK_E10value_typeET2_T3_PNSL_ISQ_E10value_typeET4_jRbjT5_SW_jjP12ihipStream_tbEUlT_E2_NS1_11comp_targetILNS1_3genE10ELNS1_11target_archE1201ELNS1_3gpuE5ELNS1_3repE0EEENS1_30default_config_static_selectorELNS0_4arch9wavefront6targetE0EEEvSK_
                                        ; -- End function
	.set _ZN7rocprim17ROCPRIM_400000_NS6detail17trampoline_kernelINS0_14default_configENS1_36segmented_radix_sort_config_selectorIhlEEZNS1_25segmented_radix_sort_implIS3_Lb1EPKhPhPKlPlN2at6native12_GLOBAL__N_18offset_tEEE10hipError_tPvRmT1_PNSt15iterator_traitsISK_E10value_typeET2_T3_PNSL_ISQ_E10value_typeET4_jRbjT5_SW_jjP12ihipStream_tbEUlT_E2_NS1_11comp_targetILNS1_3genE10ELNS1_11target_archE1201ELNS1_3gpuE5ELNS1_3repE0EEENS1_30default_config_static_selectorELNS0_4arch9wavefront6targetE0EEEvSK_.num_vgpr, 0
	.set _ZN7rocprim17ROCPRIM_400000_NS6detail17trampoline_kernelINS0_14default_configENS1_36segmented_radix_sort_config_selectorIhlEEZNS1_25segmented_radix_sort_implIS3_Lb1EPKhPhPKlPlN2at6native12_GLOBAL__N_18offset_tEEE10hipError_tPvRmT1_PNSt15iterator_traitsISK_E10value_typeET2_T3_PNSL_ISQ_E10value_typeET4_jRbjT5_SW_jjP12ihipStream_tbEUlT_E2_NS1_11comp_targetILNS1_3genE10ELNS1_11target_archE1201ELNS1_3gpuE5ELNS1_3repE0EEENS1_30default_config_static_selectorELNS0_4arch9wavefront6targetE0EEEvSK_.num_agpr, 0
	.set _ZN7rocprim17ROCPRIM_400000_NS6detail17trampoline_kernelINS0_14default_configENS1_36segmented_radix_sort_config_selectorIhlEEZNS1_25segmented_radix_sort_implIS3_Lb1EPKhPhPKlPlN2at6native12_GLOBAL__N_18offset_tEEE10hipError_tPvRmT1_PNSt15iterator_traitsISK_E10value_typeET2_T3_PNSL_ISQ_E10value_typeET4_jRbjT5_SW_jjP12ihipStream_tbEUlT_E2_NS1_11comp_targetILNS1_3genE10ELNS1_11target_archE1201ELNS1_3gpuE5ELNS1_3repE0EEENS1_30default_config_static_selectorELNS0_4arch9wavefront6targetE0EEEvSK_.numbered_sgpr, 0
	.set _ZN7rocprim17ROCPRIM_400000_NS6detail17trampoline_kernelINS0_14default_configENS1_36segmented_radix_sort_config_selectorIhlEEZNS1_25segmented_radix_sort_implIS3_Lb1EPKhPhPKlPlN2at6native12_GLOBAL__N_18offset_tEEE10hipError_tPvRmT1_PNSt15iterator_traitsISK_E10value_typeET2_T3_PNSL_ISQ_E10value_typeET4_jRbjT5_SW_jjP12ihipStream_tbEUlT_E2_NS1_11comp_targetILNS1_3genE10ELNS1_11target_archE1201ELNS1_3gpuE5ELNS1_3repE0EEENS1_30default_config_static_selectorELNS0_4arch9wavefront6targetE0EEEvSK_.num_named_barrier, 0
	.set _ZN7rocprim17ROCPRIM_400000_NS6detail17trampoline_kernelINS0_14default_configENS1_36segmented_radix_sort_config_selectorIhlEEZNS1_25segmented_radix_sort_implIS3_Lb1EPKhPhPKlPlN2at6native12_GLOBAL__N_18offset_tEEE10hipError_tPvRmT1_PNSt15iterator_traitsISK_E10value_typeET2_T3_PNSL_ISQ_E10value_typeET4_jRbjT5_SW_jjP12ihipStream_tbEUlT_E2_NS1_11comp_targetILNS1_3genE10ELNS1_11target_archE1201ELNS1_3gpuE5ELNS1_3repE0EEENS1_30default_config_static_selectorELNS0_4arch9wavefront6targetE0EEEvSK_.private_seg_size, 0
	.set _ZN7rocprim17ROCPRIM_400000_NS6detail17trampoline_kernelINS0_14default_configENS1_36segmented_radix_sort_config_selectorIhlEEZNS1_25segmented_radix_sort_implIS3_Lb1EPKhPhPKlPlN2at6native12_GLOBAL__N_18offset_tEEE10hipError_tPvRmT1_PNSt15iterator_traitsISK_E10value_typeET2_T3_PNSL_ISQ_E10value_typeET4_jRbjT5_SW_jjP12ihipStream_tbEUlT_E2_NS1_11comp_targetILNS1_3genE10ELNS1_11target_archE1201ELNS1_3gpuE5ELNS1_3repE0EEENS1_30default_config_static_selectorELNS0_4arch9wavefront6targetE0EEEvSK_.uses_vcc, 0
	.set _ZN7rocprim17ROCPRIM_400000_NS6detail17trampoline_kernelINS0_14default_configENS1_36segmented_radix_sort_config_selectorIhlEEZNS1_25segmented_radix_sort_implIS3_Lb1EPKhPhPKlPlN2at6native12_GLOBAL__N_18offset_tEEE10hipError_tPvRmT1_PNSt15iterator_traitsISK_E10value_typeET2_T3_PNSL_ISQ_E10value_typeET4_jRbjT5_SW_jjP12ihipStream_tbEUlT_E2_NS1_11comp_targetILNS1_3genE10ELNS1_11target_archE1201ELNS1_3gpuE5ELNS1_3repE0EEENS1_30default_config_static_selectorELNS0_4arch9wavefront6targetE0EEEvSK_.uses_flat_scratch, 0
	.set _ZN7rocprim17ROCPRIM_400000_NS6detail17trampoline_kernelINS0_14default_configENS1_36segmented_radix_sort_config_selectorIhlEEZNS1_25segmented_radix_sort_implIS3_Lb1EPKhPhPKlPlN2at6native12_GLOBAL__N_18offset_tEEE10hipError_tPvRmT1_PNSt15iterator_traitsISK_E10value_typeET2_T3_PNSL_ISQ_E10value_typeET4_jRbjT5_SW_jjP12ihipStream_tbEUlT_E2_NS1_11comp_targetILNS1_3genE10ELNS1_11target_archE1201ELNS1_3gpuE5ELNS1_3repE0EEENS1_30default_config_static_selectorELNS0_4arch9wavefront6targetE0EEEvSK_.has_dyn_sized_stack, 0
	.set _ZN7rocprim17ROCPRIM_400000_NS6detail17trampoline_kernelINS0_14default_configENS1_36segmented_radix_sort_config_selectorIhlEEZNS1_25segmented_radix_sort_implIS3_Lb1EPKhPhPKlPlN2at6native12_GLOBAL__N_18offset_tEEE10hipError_tPvRmT1_PNSt15iterator_traitsISK_E10value_typeET2_T3_PNSL_ISQ_E10value_typeET4_jRbjT5_SW_jjP12ihipStream_tbEUlT_E2_NS1_11comp_targetILNS1_3genE10ELNS1_11target_archE1201ELNS1_3gpuE5ELNS1_3repE0EEENS1_30default_config_static_selectorELNS0_4arch9wavefront6targetE0EEEvSK_.has_recursion, 0
	.set _ZN7rocprim17ROCPRIM_400000_NS6detail17trampoline_kernelINS0_14default_configENS1_36segmented_radix_sort_config_selectorIhlEEZNS1_25segmented_radix_sort_implIS3_Lb1EPKhPhPKlPlN2at6native12_GLOBAL__N_18offset_tEEE10hipError_tPvRmT1_PNSt15iterator_traitsISK_E10value_typeET2_T3_PNSL_ISQ_E10value_typeET4_jRbjT5_SW_jjP12ihipStream_tbEUlT_E2_NS1_11comp_targetILNS1_3genE10ELNS1_11target_archE1201ELNS1_3gpuE5ELNS1_3repE0EEENS1_30default_config_static_selectorELNS0_4arch9wavefront6targetE0EEEvSK_.has_indirect_call, 0
	.section	.AMDGPU.csdata,"",@progbits
; Kernel info:
; codeLenInByte = 0
; TotalNumSgprs: 0
; NumVgprs: 0
; ScratchSize: 0
; MemoryBound: 0
; FloatMode: 240
; IeeeMode: 1
; LDSByteSize: 0 bytes/workgroup (compile time only)
; SGPRBlocks: 0
; VGPRBlocks: 0
; NumSGPRsForWavesPerEU: 1
; NumVGPRsForWavesPerEU: 1
; NamedBarCnt: 0
; Occupancy: 16
; WaveLimiterHint : 0
; COMPUTE_PGM_RSRC2:SCRATCH_EN: 0
; COMPUTE_PGM_RSRC2:USER_SGPR: 2
; COMPUTE_PGM_RSRC2:TRAP_HANDLER: 0
; COMPUTE_PGM_RSRC2:TGID_X_EN: 1
; COMPUTE_PGM_RSRC2:TGID_Y_EN: 0
; COMPUTE_PGM_RSRC2:TGID_Z_EN: 0
; COMPUTE_PGM_RSRC2:TIDIG_COMP_CNT: 0
	.section	.text._ZN7rocprim17ROCPRIM_400000_NS6detail17trampoline_kernelINS0_14default_configENS1_36segmented_radix_sort_config_selectorIhlEEZNS1_25segmented_radix_sort_implIS3_Lb1EPKhPhPKlPlN2at6native12_GLOBAL__N_18offset_tEEE10hipError_tPvRmT1_PNSt15iterator_traitsISK_E10value_typeET2_T3_PNSL_ISQ_E10value_typeET4_jRbjT5_SW_jjP12ihipStream_tbEUlT_E2_NS1_11comp_targetILNS1_3genE10ELNS1_11target_archE1200ELNS1_3gpuE4ELNS1_3repE0EEENS1_30default_config_static_selectorELNS0_4arch9wavefront6targetE0EEEvSK_,"axG",@progbits,_ZN7rocprim17ROCPRIM_400000_NS6detail17trampoline_kernelINS0_14default_configENS1_36segmented_radix_sort_config_selectorIhlEEZNS1_25segmented_radix_sort_implIS3_Lb1EPKhPhPKlPlN2at6native12_GLOBAL__N_18offset_tEEE10hipError_tPvRmT1_PNSt15iterator_traitsISK_E10value_typeET2_T3_PNSL_ISQ_E10value_typeET4_jRbjT5_SW_jjP12ihipStream_tbEUlT_E2_NS1_11comp_targetILNS1_3genE10ELNS1_11target_archE1200ELNS1_3gpuE4ELNS1_3repE0EEENS1_30default_config_static_selectorELNS0_4arch9wavefront6targetE0EEEvSK_,comdat
	.globl	_ZN7rocprim17ROCPRIM_400000_NS6detail17trampoline_kernelINS0_14default_configENS1_36segmented_radix_sort_config_selectorIhlEEZNS1_25segmented_radix_sort_implIS3_Lb1EPKhPhPKlPlN2at6native12_GLOBAL__N_18offset_tEEE10hipError_tPvRmT1_PNSt15iterator_traitsISK_E10value_typeET2_T3_PNSL_ISQ_E10value_typeET4_jRbjT5_SW_jjP12ihipStream_tbEUlT_E2_NS1_11comp_targetILNS1_3genE10ELNS1_11target_archE1200ELNS1_3gpuE4ELNS1_3repE0EEENS1_30default_config_static_selectorELNS0_4arch9wavefront6targetE0EEEvSK_ ; -- Begin function _ZN7rocprim17ROCPRIM_400000_NS6detail17trampoline_kernelINS0_14default_configENS1_36segmented_radix_sort_config_selectorIhlEEZNS1_25segmented_radix_sort_implIS3_Lb1EPKhPhPKlPlN2at6native12_GLOBAL__N_18offset_tEEE10hipError_tPvRmT1_PNSt15iterator_traitsISK_E10value_typeET2_T3_PNSL_ISQ_E10value_typeET4_jRbjT5_SW_jjP12ihipStream_tbEUlT_E2_NS1_11comp_targetILNS1_3genE10ELNS1_11target_archE1200ELNS1_3gpuE4ELNS1_3repE0EEENS1_30default_config_static_selectorELNS0_4arch9wavefront6targetE0EEEvSK_
	.p2align	8
	.type	_ZN7rocprim17ROCPRIM_400000_NS6detail17trampoline_kernelINS0_14default_configENS1_36segmented_radix_sort_config_selectorIhlEEZNS1_25segmented_radix_sort_implIS3_Lb1EPKhPhPKlPlN2at6native12_GLOBAL__N_18offset_tEEE10hipError_tPvRmT1_PNSt15iterator_traitsISK_E10value_typeET2_T3_PNSL_ISQ_E10value_typeET4_jRbjT5_SW_jjP12ihipStream_tbEUlT_E2_NS1_11comp_targetILNS1_3genE10ELNS1_11target_archE1200ELNS1_3gpuE4ELNS1_3repE0EEENS1_30default_config_static_selectorELNS0_4arch9wavefront6targetE0EEEvSK_,@function
_ZN7rocprim17ROCPRIM_400000_NS6detail17trampoline_kernelINS0_14default_configENS1_36segmented_radix_sort_config_selectorIhlEEZNS1_25segmented_radix_sort_implIS3_Lb1EPKhPhPKlPlN2at6native12_GLOBAL__N_18offset_tEEE10hipError_tPvRmT1_PNSt15iterator_traitsISK_E10value_typeET2_T3_PNSL_ISQ_E10value_typeET4_jRbjT5_SW_jjP12ihipStream_tbEUlT_E2_NS1_11comp_targetILNS1_3genE10ELNS1_11target_archE1200ELNS1_3gpuE4ELNS1_3repE0EEENS1_30default_config_static_selectorELNS0_4arch9wavefront6targetE0EEEvSK_: ; @_ZN7rocprim17ROCPRIM_400000_NS6detail17trampoline_kernelINS0_14default_configENS1_36segmented_radix_sort_config_selectorIhlEEZNS1_25segmented_radix_sort_implIS3_Lb1EPKhPhPKlPlN2at6native12_GLOBAL__N_18offset_tEEE10hipError_tPvRmT1_PNSt15iterator_traitsISK_E10value_typeET2_T3_PNSL_ISQ_E10value_typeET4_jRbjT5_SW_jjP12ihipStream_tbEUlT_E2_NS1_11comp_targetILNS1_3genE10ELNS1_11target_archE1200ELNS1_3gpuE4ELNS1_3repE0EEENS1_30default_config_static_selectorELNS0_4arch9wavefront6targetE0EEEvSK_
; %bb.0:
	.section	.rodata,"a",@progbits
	.p2align	6, 0x0
	.amdhsa_kernel _ZN7rocprim17ROCPRIM_400000_NS6detail17trampoline_kernelINS0_14default_configENS1_36segmented_radix_sort_config_selectorIhlEEZNS1_25segmented_radix_sort_implIS3_Lb1EPKhPhPKlPlN2at6native12_GLOBAL__N_18offset_tEEE10hipError_tPvRmT1_PNSt15iterator_traitsISK_E10value_typeET2_T3_PNSL_ISQ_E10value_typeET4_jRbjT5_SW_jjP12ihipStream_tbEUlT_E2_NS1_11comp_targetILNS1_3genE10ELNS1_11target_archE1200ELNS1_3gpuE4ELNS1_3repE0EEENS1_30default_config_static_selectorELNS0_4arch9wavefront6targetE0EEEvSK_
		.amdhsa_group_segment_fixed_size 0
		.amdhsa_private_segment_fixed_size 0
		.amdhsa_kernarg_size 80
		.amdhsa_user_sgpr_count 2
		.amdhsa_user_sgpr_dispatch_ptr 0
		.amdhsa_user_sgpr_queue_ptr 0
		.amdhsa_user_sgpr_kernarg_segment_ptr 1
		.amdhsa_user_sgpr_dispatch_id 0
		.amdhsa_user_sgpr_kernarg_preload_length 0
		.amdhsa_user_sgpr_kernarg_preload_offset 0
		.amdhsa_user_sgpr_private_segment_size 0
		.amdhsa_wavefront_size32 1
		.amdhsa_uses_dynamic_stack 0
		.amdhsa_enable_private_segment 0
		.amdhsa_system_sgpr_workgroup_id_x 1
		.amdhsa_system_sgpr_workgroup_id_y 0
		.amdhsa_system_sgpr_workgroup_id_z 0
		.amdhsa_system_sgpr_workgroup_info 0
		.amdhsa_system_vgpr_workitem_id 0
		.amdhsa_next_free_vgpr 1
		.amdhsa_next_free_sgpr 1
		.amdhsa_named_barrier_count 0
		.amdhsa_reserve_vcc 0
		.amdhsa_float_round_mode_32 0
		.amdhsa_float_round_mode_16_64 0
		.amdhsa_float_denorm_mode_32 3
		.amdhsa_float_denorm_mode_16_64 3
		.amdhsa_fp16_overflow 0
		.amdhsa_memory_ordered 1
		.amdhsa_forward_progress 1
		.amdhsa_inst_pref_size 0
		.amdhsa_round_robin_scheduling 0
		.amdhsa_exception_fp_ieee_invalid_op 0
		.amdhsa_exception_fp_denorm_src 0
		.amdhsa_exception_fp_ieee_div_zero 0
		.amdhsa_exception_fp_ieee_overflow 0
		.amdhsa_exception_fp_ieee_underflow 0
		.amdhsa_exception_fp_ieee_inexact 0
		.amdhsa_exception_int_div_zero 0
	.end_amdhsa_kernel
	.section	.text._ZN7rocprim17ROCPRIM_400000_NS6detail17trampoline_kernelINS0_14default_configENS1_36segmented_radix_sort_config_selectorIhlEEZNS1_25segmented_radix_sort_implIS3_Lb1EPKhPhPKlPlN2at6native12_GLOBAL__N_18offset_tEEE10hipError_tPvRmT1_PNSt15iterator_traitsISK_E10value_typeET2_T3_PNSL_ISQ_E10value_typeET4_jRbjT5_SW_jjP12ihipStream_tbEUlT_E2_NS1_11comp_targetILNS1_3genE10ELNS1_11target_archE1200ELNS1_3gpuE4ELNS1_3repE0EEENS1_30default_config_static_selectorELNS0_4arch9wavefront6targetE0EEEvSK_,"axG",@progbits,_ZN7rocprim17ROCPRIM_400000_NS6detail17trampoline_kernelINS0_14default_configENS1_36segmented_radix_sort_config_selectorIhlEEZNS1_25segmented_radix_sort_implIS3_Lb1EPKhPhPKlPlN2at6native12_GLOBAL__N_18offset_tEEE10hipError_tPvRmT1_PNSt15iterator_traitsISK_E10value_typeET2_T3_PNSL_ISQ_E10value_typeET4_jRbjT5_SW_jjP12ihipStream_tbEUlT_E2_NS1_11comp_targetILNS1_3genE10ELNS1_11target_archE1200ELNS1_3gpuE4ELNS1_3repE0EEENS1_30default_config_static_selectorELNS0_4arch9wavefront6targetE0EEEvSK_,comdat
.Lfunc_end118:
	.size	_ZN7rocprim17ROCPRIM_400000_NS6detail17trampoline_kernelINS0_14default_configENS1_36segmented_radix_sort_config_selectorIhlEEZNS1_25segmented_radix_sort_implIS3_Lb1EPKhPhPKlPlN2at6native12_GLOBAL__N_18offset_tEEE10hipError_tPvRmT1_PNSt15iterator_traitsISK_E10value_typeET2_T3_PNSL_ISQ_E10value_typeET4_jRbjT5_SW_jjP12ihipStream_tbEUlT_E2_NS1_11comp_targetILNS1_3genE10ELNS1_11target_archE1200ELNS1_3gpuE4ELNS1_3repE0EEENS1_30default_config_static_selectorELNS0_4arch9wavefront6targetE0EEEvSK_, .Lfunc_end118-_ZN7rocprim17ROCPRIM_400000_NS6detail17trampoline_kernelINS0_14default_configENS1_36segmented_radix_sort_config_selectorIhlEEZNS1_25segmented_radix_sort_implIS3_Lb1EPKhPhPKlPlN2at6native12_GLOBAL__N_18offset_tEEE10hipError_tPvRmT1_PNSt15iterator_traitsISK_E10value_typeET2_T3_PNSL_ISQ_E10value_typeET4_jRbjT5_SW_jjP12ihipStream_tbEUlT_E2_NS1_11comp_targetILNS1_3genE10ELNS1_11target_archE1200ELNS1_3gpuE4ELNS1_3repE0EEENS1_30default_config_static_selectorELNS0_4arch9wavefront6targetE0EEEvSK_
                                        ; -- End function
	.set _ZN7rocprim17ROCPRIM_400000_NS6detail17trampoline_kernelINS0_14default_configENS1_36segmented_radix_sort_config_selectorIhlEEZNS1_25segmented_radix_sort_implIS3_Lb1EPKhPhPKlPlN2at6native12_GLOBAL__N_18offset_tEEE10hipError_tPvRmT1_PNSt15iterator_traitsISK_E10value_typeET2_T3_PNSL_ISQ_E10value_typeET4_jRbjT5_SW_jjP12ihipStream_tbEUlT_E2_NS1_11comp_targetILNS1_3genE10ELNS1_11target_archE1200ELNS1_3gpuE4ELNS1_3repE0EEENS1_30default_config_static_selectorELNS0_4arch9wavefront6targetE0EEEvSK_.num_vgpr, 0
	.set _ZN7rocprim17ROCPRIM_400000_NS6detail17trampoline_kernelINS0_14default_configENS1_36segmented_radix_sort_config_selectorIhlEEZNS1_25segmented_radix_sort_implIS3_Lb1EPKhPhPKlPlN2at6native12_GLOBAL__N_18offset_tEEE10hipError_tPvRmT1_PNSt15iterator_traitsISK_E10value_typeET2_T3_PNSL_ISQ_E10value_typeET4_jRbjT5_SW_jjP12ihipStream_tbEUlT_E2_NS1_11comp_targetILNS1_3genE10ELNS1_11target_archE1200ELNS1_3gpuE4ELNS1_3repE0EEENS1_30default_config_static_selectorELNS0_4arch9wavefront6targetE0EEEvSK_.num_agpr, 0
	.set _ZN7rocprim17ROCPRIM_400000_NS6detail17trampoline_kernelINS0_14default_configENS1_36segmented_radix_sort_config_selectorIhlEEZNS1_25segmented_radix_sort_implIS3_Lb1EPKhPhPKlPlN2at6native12_GLOBAL__N_18offset_tEEE10hipError_tPvRmT1_PNSt15iterator_traitsISK_E10value_typeET2_T3_PNSL_ISQ_E10value_typeET4_jRbjT5_SW_jjP12ihipStream_tbEUlT_E2_NS1_11comp_targetILNS1_3genE10ELNS1_11target_archE1200ELNS1_3gpuE4ELNS1_3repE0EEENS1_30default_config_static_selectorELNS0_4arch9wavefront6targetE0EEEvSK_.numbered_sgpr, 0
	.set _ZN7rocprim17ROCPRIM_400000_NS6detail17trampoline_kernelINS0_14default_configENS1_36segmented_radix_sort_config_selectorIhlEEZNS1_25segmented_radix_sort_implIS3_Lb1EPKhPhPKlPlN2at6native12_GLOBAL__N_18offset_tEEE10hipError_tPvRmT1_PNSt15iterator_traitsISK_E10value_typeET2_T3_PNSL_ISQ_E10value_typeET4_jRbjT5_SW_jjP12ihipStream_tbEUlT_E2_NS1_11comp_targetILNS1_3genE10ELNS1_11target_archE1200ELNS1_3gpuE4ELNS1_3repE0EEENS1_30default_config_static_selectorELNS0_4arch9wavefront6targetE0EEEvSK_.num_named_barrier, 0
	.set _ZN7rocprim17ROCPRIM_400000_NS6detail17trampoline_kernelINS0_14default_configENS1_36segmented_radix_sort_config_selectorIhlEEZNS1_25segmented_radix_sort_implIS3_Lb1EPKhPhPKlPlN2at6native12_GLOBAL__N_18offset_tEEE10hipError_tPvRmT1_PNSt15iterator_traitsISK_E10value_typeET2_T3_PNSL_ISQ_E10value_typeET4_jRbjT5_SW_jjP12ihipStream_tbEUlT_E2_NS1_11comp_targetILNS1_3genE10ELNS1_11target_archE1200ELNS1_3gpuE4ELNS1_3repE0EEENS1_30default_config_static_selectorELNS0_4arch9wavefront6targetE0EEEvSK_.private_seg_size, 0
	.set _ZN7rocprim17ROCPRIM_400000_NS6detail17trampoline_kernelINS0_14default_configENS1_36segmented_radix_sort_config_selectorIhlEEZNS1_25segmented_radix_sort_implIS3_Lb1EPKhPhPKlPlN2at6native12_GLOBAL__N_18offset_tEEE10hipError_tPvRmT1_PNSt15iterator_traitsISK_E10value_typeET2_T3_PNSL_ISQ_E10value_typeET4_jRbjT5_SW_jjP12ihipStream_tbEUlT_E2_NS1_11comp_targetILNS1_3genE10ELNS1_11target_archE1200ELNS1_3gpuE4ELNS1_3repE0EEENS1_30default_config_static_selectorELNS0_4arch9wavefront6targetE0EEEvSK_.uses_vcc, 0
	.set _ZN7rocprim17ROCPRIM_400000_NS6detail17trampoline_kernelINS0_14default_configENS1_36segmented_radix_sort_config_selectorIhlEEZNS1_25segmented_radix_sort_implIS3_Lb1EPKhPhPKlPlN2at6native12_GLOBAL__N_18offset_tEEE10hipError_tPvRmT1_PNSt15iterator_traitsISK_E10value_typeET2_T3_PNSL_ISQ_E10value_typeET4_jRbjT5_SW_jjP12ihipStream_tbEUlT_E2_NS1_11comp_targetILNS1_3genE10ELNS1_11target_archE1200ELNS1_3gpuE4ELNS1_3repE0EEENS1_30default_config_static_selectorELNS0_4arch9wavefront6targetE0EEEvSK_.uses_flat_scratch, 0
	.set _ZN7rocprim17ROCPRIM_400000_NS6detail17trampoline_kernelINS0_14default_configENS1_36segmented_radix_sort_config_selectorIhlEEZNS1_25segmented_radix_sort_implIS3_Lb1EPKhPhPKlPlN2at6native12_GLOBAL__N_18offset_tEEE10hipError_tPvRmT1_PNSt15iterator_traitsISK_E10value_typeET2_T3_PNSL_ISQ_E10value_typeET4_jRbjT5_SW_jjP12ihipStream_tbEUlT_E2_NS1_11comp_targetILNS1_3genE10ELNS1_11target_archE1200ELNS1_3gpuE4ELNS1_3repE0EEENS1_30default_config_static_selectorELNS0_4arch9wavefront6targetE0EEEvSK_.has_dyn_sized_stack, 0
	.set _ZN7rocprim17ROCPRIM_400000_NS6detail17trampoline_kernelINS0_14default_configENS1_36segmented_radix_sort_config_selectorIhlEEZNS1_25segmented_radix_sort_implIS3_Lb1EPKhPhPKlPlN2at6native12_GLOBAL__N_18offset_tEEE10hipError_tPvRmT1_PNSt15iterator_traitsISK_E10value_typeET2_T3_PNSL_ISQ_E10value_typeET4_jRbjT5_SW_jjP12ihipStream_tbEUlT_E2_NS1_11comp_targetILNS1_3genE10ELNS1_11target_archE1200ELNS1_3gpuE4ELNS1_3repE0EEENS1_30default_config_static_selectorELNS0_4arch9wavefront6targetE0EEEvSK_.has_recursion, 0
	.set _ZN7rocprim17ROCPRIM_400000_NS6detail17trampoline_kernelINS0_14default_configENS1_36segmented_radix_sort_config_selectorIhlEEZNS1_25segmented_radix_sort_implIS3_Lb1EPKhPhPKlPlN2at6native12_GLOBAL__N_18offset_tEEE10hipError_tPvRmT1_PNSt15iterator_traitsISK_E10value_typeET2_T3_PNSL_ISQ_E10value_typeET4_jRbjT5_SW_jjP12ihipStream_tbEUlT_E2_NS1_11comp_targetILNS1_3genE10ELNS1_11target_archE1200ELNS1_3gpuE4ELNS1_3repE0EEENS1_30default_config_static_selectorELNS0_4arch9wavefront6targetE0EEEvSK_.has_indirect_call, 0
	.section	.AMDGPU.csdata,"",@progbits
; Kernel info:
; codeLenInByte = 0
; TotalNumSgprs: 0
; NumVgprs: 0
; ScratchSize: 0
; MemoryBound: 0
; FloatMode: 240
; IeeeMode: 1
; LDSByteSize: 0 bytes/workgroup (compile time only)
; SGPRBlocks: 0
; VGPRBlocks: 0
; NumSGPRsForWavesPerEU: 1
; NumVGPRsForWavesPerEU: 1
; NamedBarCnt: 0
; Occupancy: 16
; WaveLimiterHint : 0
; COMPUTE_PGM_RSRC2:SCRATCH_EN: 0
; COMPUTE_PGM_RSRC2:USER_SGPR: 2
; COMPUTE_PGM_RSRC2:TRAP_HANDLER: 0
; COMPUTE_PGM_RSRC2:TGID_X_EN: 1
; COMPUTE_PGM_RSRC2:TGID_Y_EN: 0
; COMPUTE_PGM_RSRC2:TGID_Z_EN: 0
; COMPUTE_PGM_RSRC2:TIDIG_COMP_CNT: 0
	.section	.text._ZN7rocprim17ROCPRIM_400000_NS6detail17trampoline_kernelINS0_14default_configENS1_36segmented_radix_sort_config_selectorIhlEEZNS1_25segmented_radix_sort_implIS3_Lb1EPKhPhPKlPlN2at6native12_GLOBAL__N_18offset_tEEE10hipError_tPvRmT1_PNSt15iterator_traitsISK_E10value_typeET2_T3_PNSL_ISQ_E10value_typeET4_jRbjT5_SW_jjP12ihipStream_tbEUlT_E2_NS1_11comp_targetILNS1_3genE9ELNS1_11target_archE1100ELNS1_3gpuE3ELNS1_3repE0EEENS1_30default_config_static_selectorELNS0_4arch9wavefront6targetE0EEEvSK_,"axG",@progbits,_ZN7rocprim17ROCPRIM_400000_NS6detail17trampoline_kernelINS0_14default_configENS1_36segmented_radix_sort_config_selectorIhlEEZNS1_25segmented_radix_sort_implIS3_Lb1EPKhPhPKlPlN2at6native12_GLOBAL__N_18offset_tEEE10hipError_tPvRmT1_PNSt15iterator_traitsISK_E10value_typeET2_T3_PNSL_ISQ_E10value_typeET4_jRbjT5_SW_jjP12ihipStream_tbEUlT_E2_NS1_11comp_targetILNS1_3genE9ELNS1_11target_archE1100ELNS1_3gpuE3ELNS1_3repE0EEENS1_30default_config_static_selectorELNS0_4arch9wavefront6targetE0EEEvSK_,comdat
	.globl	_ZN7rocprim17ROCPRIM_400000_NS6detail17trampoline_kernelINS0_14default_configENS1_36segmented_radix_sort_config_selectorIhlEEZNS1_25segmented_radix_sort_implIS3_Lb1EPKhPhPKlPlN2at6native12_GLOBAL__N_18offset_tEEE10hipError_tPvRmT1_PNSt15iterator_traitsISK_E10value_typeET2_T3_PNSL_ISQ_E10value_typeET4_jRbjT5_SW_jjP12ihipStream_tbEUlT_E2_NS1_11comp_targetILNS1_3genE9ELNS1_11target_archE1100ELNS1_3gpuE3ELNS1_3repE0EEENS1_30default_config_static_selectorELNS0_4arch9wavefront6targetE0EEEvSK_ ; -- Begin function _ZN7rocprim17ROCPRIM_400000_NS6detail17trampoline_kernelINS0_14default_configENS1_36segmented_radix_sort_config_selectorIhlEEZNS1_25segmented_radix_sort_implIS3_Lb1EPKhPhPKlPlN2at6native12_GLOBAL__N_18offset_tEEE10hipError_tPvRmT1_PNSt15iterator_traitsISK_E10value_typeET2_T3_PNSL_ISQ_E10value_typeET4_jRbjT5_SW_jjP12ihipStream_tbEUlT_E2_NS1_11comp_targetILNS1_3genE9ELNS1_11target_archE1100ELNS1_3gpuE3ELNS1_3repE0EEENS1_30default_config_static_selectorELNS0_4arch9wavefront6targetE0EEEvSK_
	.p2align	8
	.type	_ZN7rocprim17ROCPRIM_400000_NS6detail17trampoline_kernelINS0_14default_configENS1_36segmented_radix_sort_config_selectorIhlEEZNS1_25segmented_radix_sort_implIS3_Lb1EPKhPhPKlPlN2at6native12_GLOBAL__N_18offset_tEEE10hipError_tPvRmT1_PNSt15iterator_traitsISK_E10value_typeET2_T3_PNSL_ISQ_E10value_typeET4_jRbjT5_SW_jjP12ihipStream_tbEUlT_E2_NS1_11comp_targetILNS1_3genE9ELNS1_11target_archE1100ELNS1_3gpuE3ELNS1_3repE0EEENS1_30default_config_static_selectorELNS0_4arch9wavefront6targetE0EEEvSK_,@function
_ZN7rocprim17ROCPRIM_400000_NS6detail17trampoline_kernelINS0_14default_configENS1_36segmented_radix_sort_config_selectorIhlEEZNS1_25segmented_radix_sort_implIS3_Lb1EPKhPhPKlPlN2at6native12_GLOBAL__N_18offset_tEEE10hipError_tPvRmT1_PNSt15iterator_traitsISK_E10value_typeET2_T3_PNSL_ISQ_E10value_typeET4_jRbjT5_SW_jjP12ihipStream_tbEUlT_E2_NS1_11comp_targetILNS1_3genE9ELNS1_11target_archE1100ELNS1_3gpuE3ELNS1_3repE0EEENS1_30default_config_static_selectorELNS0_4arch9wavefront6targetE0EEEvSK_: ; @_ZN7rocprim17ROCPRIM_400000_NS6detail17trampoline_kernelINS0_14default_configENS1_36segmented_radix_sort_config_selectorIhlEEZNS1_25segmented_radix_sort_implIS3_Lb1EPKhPhPKlPlN2at6native12_GLOBAL__N_18offset_tEEE10hipError_tPvRmT1_PNSt15iterator_traitsISK_E10value_typeET2_T3_PNSL_ISQ_E10value_typeET4_jRbjT5_SW_jjP12ihipStream_tbEUlT_E2_NS1_11comp_targetILNS1_3genE9ELNS1_11target_archE1100ELNS1_3gpuE3ELNS1_3repE0EEENS1_30default_config_static_selectorELNS0_4arch9wavefront6targetE0EEEvSK_
; %bb.0:
	.section	.rodata,"a",@progbits
	.p2align	6, 0x0
	.amdhsa_kernel _ZN7rocprim17ROCPRIM_400000_NS6detail17trampoline_kernelINS0_14default_configENS1_36segmented_radix_sort_config_selectorIhlEEZNS1_25segmented_radix_sort_implIS3_Lb1EPKhPhPKlPlN2at6native12_GLOBAL__N_18offset_tEEE10hipError_tPvRmT1_PNSt15iterator_traitsISK_E10value_typeET2_T3_PNSL_ISQ_E10value_typeET4_jRbjT5_SW_jjP12ihipStream_tbEUlT_E2_NS1_11comp_targetILNS1_3genE9ELNS1_11target_archE1100ELNS1_3gpuE3ELNS1_3repE0EEENS1_30default_config_static_selectorELNS0_4arch9wavefront6targetE0EEEvSK_
		.amdhsa_group_segment_fixed_size 0
		.amdhsa_private_segment_fixed_size 0
		.amdhsa_kernarg_size 80
		.amdhsa_user_sgpr_count 2
		.amdhsa_user_sgpr_dispatch_ptr 0
		.amdhsa_user_sgpr_queue_ptr 0
		.amdhsa_user_sgpr_kernarg_segment_ptr 1
		.amdhsa_user_sgpr_dispatch_id 0
		.amdhsa_user_sgpr_kernarg_preload_length 0
		.amdhsa_user_sgpr_kernarg_preload_offset 0
		.amdhsa_user_sgpr_private_segment_size 0
		.amdhsa_wavefront_size32 1
		.amdhsa_uses_dynamic_stack 0
		.amdhsa_enable_private_segment 0
		.amdhsa_system_sgpr_workgroup_id_x 1
		.amdhsa_system_sgpr_workgroup_id_y 0
		.amdhsa_system_sgpr_workgroup_id_z 0
		.amdhsa_system_sgpr_workgroup_info 0
		.amdhsa_system_vgpr_workitem_id 0
		.amdhsa_next_free_vgpr 1
		.amdhsa_next_free_sgpr 1
		.amdhsa_named_barrier_count 0
		.amdhsa_reserve_vcc 0
		.amdhsa_float_round_mode_32 0
		.amdhsa_float_round_mode_16_64 0
		.amdhsa_float_denorm_mode_32 3
		.amdhsa_float_denorm_mode_16_64 3
		.amdhsa_fp16_overflow 0
		.amdhsa_memory_ordered 1
		.amdhsa_forward_progress 1
		.amdhsa_inst_pref_size 0
		.amdhsa_round_robin_scheduling 0
		.amdhsa_exception_fp_ieee_invalid_op 0
		.amdhsa_exception_fp_denorm_src 0
		.amdhsa_exception_fp_ieee_div_zero 0
		.amdhsa_exception_fp_ieee_overflow 0
		.amdhsa_exception_fp_ieee_underflow 0
		.amdhsa_exception_fp_ieee_inexact 0
		.amdhsa_exception_int_div_zero 0
	.end_amdhsa_kernel
	.section	.text._ZN7rocprim17ROCPRIM_400000_NS6detail17trampoline_kernelINS0_14default_configENS1_36segmented_radix_sort_config_selectorIhlEEZNS1_25segmented_radix_sort_implIS3_Lb1EPKhPhPKlPlN2at6native12_GLOBAL__N_18offset_tEEE10hipError_tPvRmT1_PNSt15iterator_traitsISK_E10value_typeET2_T3_PNSL_ISQ_E10value_typeET4_jRbjT5_SW_jjP12ihipStream_tbEUlT_E2_NS1_11comp_targetILNS1_3genE9ELNS1_11target_archE1100ELNS1_3gpuE3ELNS1_3repE0EEENS1_30default_config_static_selectorELNS0_4arch9wavefront6targetE0EEEvSK_,"axG",@progbits,_ZN7rocprim17ROCPRIM_400000_NS6detail17trampoline_kernelINS0_14default_configENS1_36segmented_radix_sort_config_selectorIhlEEZNS1_25segmented_radix_sort_implIS3_Lb1EPKhPhPKlPlN2at6native12_GLOBAL__N_18offset_tEEE10hipError_tPvRmT1_PNSt15iterator_traitsISK_E10value_typeET2_T3_PNSL_ISQ_E10value_typeET4_jRbjT5_SW_jjP12ihipStream_tbEUlT_E2_NS1_11comp_targetILNS1_3genE9ELNS1_11target_archE1100ELNS1_3gpuE3ELNS1_3repE0EEENS1_30default_config_static_selectorELNS0_4arch9wavefront6targetE0EEEvSK_,comdat
.Lfunc_end119:
	.size	_ZN7rocprim17ROCPRIM_400000_NS6detail17trampoline_kernelINS0_14default_configENS1_36segmented_radix_sort_config_selectorIhlEEZNS1_25segmented_radix_sort_implIS3_Lb1EPKhPhPKlPlN2at6native12_GLOBAL__N_18offset_tEEE10hipError_tPvRmT1_PNSt15iterator_traitsISK_E10value_typeET2_T3_PNSL_ISQ_E10value_typeET4_jRbjT5_SW_jjP12ihipStream_tbEUlT_E2_NS1_11comp_targetILNS1_3genE9ELNS1_11target_archE1100ELNS1_3gpuE3ELNS1_3repE0EEENS1_30default_config_static_selectorELNS0_4arch9wavefront6targetE0EEEvSK_, .Lfunc_end119-_ZN7rocprim17ROCPRIM_400000_NS6detail17trampoline_kernelINS0_14default_configENS1_36segmented_radix_sort_config_selectorIhlEEZNS1_25segmented_radix_sort_implIS3_Lb1EPKhPhPKlPlN2at6native12_GLOBAL__N_18offset_tEEE10hipError_tPvRmT1_PNSt15iterator_traitsISK_E10value_typeET2_T3_PNSL_ISQ_E10value_typeET4_jRbjT5_SW_jjP12ihipStream_tbEUlT_E2_NS1_11comp_targetILNS1_3genE9ELNS1_11target_archE1100ELNS1_3gpuE3ELNS1_3repE0EEENS1_30default_config_static_selectorELNS0_4arch9wavefront6targetE0EEEvSK_
                                        ; -- End function
	.set _ZN7rocprim17ROCPRIM_400000_NS6detail17trampoline_kernelINS0_14default_configENS1_36segmented_radix_sort_config_selectorIhlEEZNS1_25segmented_radix_sort_implIS3_Lb1EPKhPhPKlPlN2at6native12_GLOBAL__N_18offset_tEEE10hipError_tPvRmT1_PNSt15iterator_traitsISK_E10value_typeET2_T3_PNSL_ISQ_E10value_typeET4_jRbjT5_SW_jjP12ihipStream_tbEUlT_E2_NS1_11comp_targetILNS1_3genE9ELNS1_11target_archE1100ELNS1_3gpuE3ELNS1_3repE0EEENS1_30default_config_static_selectorELNS0_4arch9wavefront6targetE0EEEvSK_.num_vgpr, 0
	.set _ZN7rocprim17ROCPRIM_400000_NS6detail17trampoline_kernelINS0_14default_configENS1_36segmented_radix_sort_config_selectorIhlEEZNS1_25segmented_radix_sort_implIS3_Lb1EPKhPhPKlPlN2at6native12_GLOBAL__N_18offset_tEEE10hipError_tPvRmT1_PNSt15iterator_traitsISK_E10value_typeET2_T3_PNSL_ISQ_E10value_typeET4_jRbjT5_SW_jjP12ihipStream_tbEUlT_E2_NS1_11comp_targetILNS1_3genE9ELNS1_11target_archE1100ELNS1_3gpuE3ELNS1_3repE0EEENS1_30default_config_static_selectorELNS0_4arch9wavefront6targetE0EEEvSK_.num_agpr, 0
	.set _ZN7rocprim17ROCPRIM_400000_NS6detail17trampoline_kernelINS0_14default_configENS1_36segmented_radix_sort_config_selectorIhlEEZNS1_25segmented_radix_sort_implIS3_Lb1EPKhPhPKlPlN2at6native12_GLOBAL__N_18offset_tEEE10hipError_tPvRmT1_PNSt15iterator_traitsISK_E10value_typeET2_T3_PNSL_ISQ_E10value_typeET4_jRbjT5_SW_jjP12ihipStream_tbEUlT_E2_NS1_11comp_targetILNS1_3genE9ELNS1_11target_archE1100ELNS1_3gpuE3ELNS1_3repE0EEENS1_30default_config_static_selectorELNS0_4arch9wavefront6targetE0EEEvSK_.numbered_sgpr, 0
	.set _ZN7rocprim17ROCPRIM_400000_NS6detail17trampoline_kernelINS0_14default_configENS1_36segmented_radix_sort_config_selectorIhlEEZNS1_25segmented_radix_sort_implIS3_Lb1EPKhPhPKlPlN2at6native12_GLOBAL__N_18offset_tEEE10hipError_tPvRmT1_PNSt15iterator_traitsISK_E10value_typeET2_T3_PNSL_ISQ_E10value_typeET4_jRbjT5_SW_jjP12ihipStream_tbEUlT_E2_NS1_11comp_targetILNS1_3genE9ELNS1_11target_archE1100ELNS1_3gpuE3ELNS1_3repE0EEENS1_30default_config_static_selectorELNS0_4arch9wavefront6targetE0EEEvSK_.num_named_barrier, 0
	.set _ZN7rocprim17ROCPRIM_400000_NS6detail17trampoline_kernelINS0_14default_configENS1_36segmented_radix_sort_config_selectorIhlEEZNS1_25segmented_radix_sort_implIS3_Lb1EPKhPhPKlPlN2at6native12_GLOBAL__N_18offset_tEEE10hipError_tPvRmT1_PNSt15iterator_traitsISK_E10value_typeET2_T3_PNSL_ISQ_E10value_typeET4_jRbjT5_SW_jjP12ihipStream_tbEUlT_E2_NS1_11comp_targetILNS1_3genE9ELNS1_11target_archE1100ELNS1_3gpuE3ELNS1_3repE0EEENS1_30default_config_static_selectorELNS0_4arch9wavefront6targetE0EEEvSK_.private_seg_size, 0
	.set _ZN7rocprim17ROCPRIM_400000_NS6detail17trampoline_kernelINS0_14default_configENS1_36segmented_radix_sort_config_selectorIhlEEZNS1_25segmented_radix_sort_implIS3_Lb1EPKhPhPKlPlN2at6native12_GLOBAL__N_18offset_tEEE10hipError_tPvRmT1_PNSt15iterator_traitsISK_E10value_typeET2_T3_PNSL_ISQ_E10value_typeET4_jRbjT5_SW_jjP12ihipStream_tbEUlT_E2_NS1_11comp_targetILNS1_3genE9ELNS1_11target_archE1100ELNS1_3gpuE3ELNS1_3repE0EEENS1_30default_config_static_selectorELNS0_4arch9wavefront6targetE0EEEvSK_.uses_vcc, 0
	.set _ZN7rocprim17ROCPRIM_400000_NS6detail17trampoline_kernelINS0_14default_configENS1_36segmented_radix_sort_config_selectorIhlEEZNS1_25segmented_radix_sort_implIS3_Lb1EPKhPhPKlPlN2at6native12_GLOBAL__N_18offset_tEEE10hipError_tPvRmT1_PNSt15iterator_traitsISK_E10value_typeET2_T3_PNSL_ISQ_E10value_typeET4_jRbjT5_SW_jjP12ihipStream_tbEUlT_E2_NS1_11comp_targetILNS1_3genE9ELNS1_11target_archE1100ELNS1_3gpuE3ELNS1_3repE0EEENS1_30default_config_static_selectorELNS0_4arch9wavefront6targetE0EEEvSK_.uses_flat_scratch, 0
	.set _ZN7rocprim17ROCPRIM_400000_NS6detail17trampoline_kernelINS0_14default_configENS1_36segmented_radix_sort_config_selectorIhlEEZNS1_25segmented_radix_sort_implIS3_Lb1EPKhPhPKlPlN2at6native12_GLOBAL__N_18offset_tEEE10hipError_tPvRmT1_PNSt15iterator_traitsISK_E10value_typeET2_T3_PNSL_ISQ_E10value_typeET4_jRbjT5_SW_jjP12ihipStream_tbEUlT_E2_NS1_11comp_targetILNS1_3genE9ELNS1_11target_archE1100ELNS1_3gpuE3ELNS1_3repE0EEENS1_30default_config_static_selectorELNS0_4arch9wavefront6targetE0EEEvSK_.has_dyn_sized_stack, 0
	.set _ZN7rocprim17ROCPRIM_400000_NS6detail17trampoline_kernelINS0_14default_configENS1_36segmented_radix_sort_config_selectorIhlEEZNS1_25segmented_radix_sort_implIS3_Lb1EPKhPhPKlPlN2at6native12_GLOBAL__N_18offset_tEEE10hipError_tPvRmT1_PNSt15iterator_traitsISK_E10value_typeET2_T3_PNSL_ISQ_E10value_typeET4_jRbjT5_SW_jjP12ihipStream_tbEUlT_E2_NS1_11comp_targetILNS1_3genE9ELNS1_11target_archE1100ELNS1_3gpuE3ELNS1_3repE0EEENS1_30default_config_static_selectorELNS0_4arch9wavefront6targetE0EEEvSK_.has_recursion, 0
	.set _ZN7rocprim17ROCPRIM_400000_NS6detail17trampoline_kernelINS0_14default_configENS1_36segmented_radix_sort_config_selectorIhlEEZNS1_25segmented_radix_sort_implIS3_Lb1EPKhPhPKlPlN2at6native12_GLOBAL__N_18offset_tEEE10hipError_tPvRmT1_PNSt15iterator_traitsISK_E10value_typeET2_T3_PNSL_ISQ_E10value_typeET4_jRbjT5_SW_jjP12ihipStream_tbEUlT_E2_NS1_11comp_targetILNS1_3genE9ELNS1_11target_archE1100ELNS1_3gpuE3ELNS1_3repE0EEENS1_30default_config_static_selectorELNS0_4arch9wavefront6targetE0EEEvSK_.has_indirect_call, 0
	.section	.AMDGPU.csdata,"",@progbits
; Kernel info:
; codeLenInByte = 0
; TotalNumSgprs: 0
; NumVgprs: 0
; ScratchSize: 0
; MemoryBound: 0
; FloatMode: 240
; IeeeMode: 1
; LDSByteSize: 0 bytes/workgroup (compile time only)
; SGPRBlocks: 0
; VGPRBlocks: 0
; NumSGPRsForWavesPerEU: 1
; NumVGPRsForWavesPerEU: 1
; NamedBarCnt: 0
; Occupancy: 16
; WaveLimiterHint : 0
; COMPUTE_PGM_RSRC2:SCRATCH_EN: 0
; COMPUTE_PGM_RSRC2:USER_SGPR: 2
; COMPUTE_PGM_RSRC2:TRAP_HANDLER: 0
; COMPUTE_PGM_RSRC2:TGID_X_EN: 1
; COMPUTE_PGM_RSRC2:TGID_Y_EN: 0
; COMPUTE_PGM_RSRC2:TGID_Z_EN: 0
; COMPUTE_PGM_RSRC2:TIDIG_COMP_CNT: 0
	.section	.text._ZN7rocprim17ROCPRIM_400000_NS6detail17trampoline_kernelINS0_14default_configENS1_36segmented_radix_sort_config_selectorIhlEEZNS1_25segmented_radix_sort_implIS3_Lb1EPKhPhPKlPlN2at6native12_GLOBAL__N_18offset_tEEE10hipError_tPvRmT1_PNSt15iterator_traitsISK_E10value_typeET2_T3_PNSL_ISQ_E10value_typeET4_jRbjT5_SW_jjP12ihipStream_tbEUlT_E2_NS1_11comp_targetILNS1_3genE8ELNS1_11target_archE1030ELNS1_3gpuE2ELNS1_3repE0EEENS1_30default_config_static_selectorELNS0_4arch9wavefront6targetE0EEEvSK_,"axG",@progbits,_ZN7rocprim17ROCPRIM_400000_NS6detail17trampoline_kernelINS0_14default_configENS1_36segmented_radix_sort_config_selectorIhlEEZNS1_25segmented_radix_sort_implIS3_Lb1EPKhPhPKlPlN2at6native12_GLOBAL__N_18offset_tEEE10hipError_tPvRmT1_PNSt15iterator_traitsISK_E10value_typeET2_T3_PNSL_ISQ_E10value_typeET4_jRbjT5_SW_jjP12ihipStream_tbEUlT_E2_NS1_11comp_targetILNS1_3genE8ELNS1_11target_archE1030ELNS1_3gpuE2ELNS1_3repE0EEENS1_30default_config_static_selectorELNS0_4arch9wavefront6targetE0EEEvSK_,comdat
	.globl	_ZN7rocprim17ROCPRIM_400000_NS6detail17trampoline_kernelINS0_14default_configENS1_36segmented_radix_sort_config_selectorIhlEEZNS1_25segmented_radix_sort_implIS3_Lb1EPKhPhPKlPlN2at6native12_GLOBAL__N_18offset_tEEE10hipError_tPvRmT1_PNSt15iterator_traitsISK_E10value_typeET2_T3_PNSL_ISQ_E10value_typeET4_jRbjT5_SW_jjP12ihipStream_tbEUlT_E2_NS1_11comp_targetILNS1_3genE8ELNS1_11target_archE1030ELNS1_3gpuE2ELNS1_3repE0EEENS1_30default_config_static_selectorELNS0_4arch9wavefront6targetE0EEEvSK_ ; -- Begin function _ZN7rocprim17ROCPRIM_400000_NS6detail17trampoline_kernelINS0_14default_configENS1_36segmented_radix_sort_config_selectorIhlEEZNS1_25segmented_radix_sort_implIS3_Lb1EPKhPhPKlPlN2at6native12_GLOBAL__N_18offset_tEEE10hipError_tPvRmT1_PNSt15iterator_traitsISK_E10value_typeET2_T3_PNSL_ISQ_E10value_typeET4_jRbjT5_SW_jjP12ihipStream_tbEUlT_E2_NS1_11comp_targetILNS1_3genE8ELNS1_11target_archE1030ELNS1_3gpuE2ELNS1_3repE0EEENS1_30default_config_static_selectorELNS0_4arch9wavefront6targetE0EEEvSK_
	.p2align	8
	.type	_ZN7rocprim17ROCPRIM_400000_NS6detail17trampoline_kernelINS0_14default_configENS1_36segmented_radix_sort_config_selectorIhlEEZNS1_25segmented_radix_sort_implIS3_Lb1EPKhPhPKlPlN2at6native12_GLOBAL__N_18offset_tEEE10hipError_tPvRmT1_PNSt15iterator_traitsISK_E10value_typeET2_T3_PNSL_ISQ_E10value_typeET4_jRbjT5_SW_jjP12ihipStream_tbEUlT_E2_NS1_11comp_targetILNS1_3genE8ELNS1_11target_archE1030ELNS1_3gpuE2ELNS1_3repE0EEENS1_30default_config_static_selectorELNS0_4arch9wavefront6targetE0EEEvSK_,@function
_ZN7rocprim17ROCPRIM_400000_NS6detail17trampoline_kernelINS0_14default_configENS1_36segmented_radix_sort_config_selectorIhlEEZNS1_25segmented_radix_sort_implIS3_Lb1EPKhPhPKlPlN2at6native12_GLOBAL__N_18offset_tEEE10hipError_tPvRmT1_PNSt15iterator_traitsISK_E10value_typeET2_T3_PNSL_ISQ_E10value_typeET4_jRbjT5_SW_jjP12ihipStream_tbEUlT_E2_NS1_11comp_targetILNS1_3genE8ELNS1_11target_archE1030ELNS1_3gpuE2ELNS1_3repE0EEENS1_30default_config_static_selectorELNS0_4arch9wavefront6targetE0EEEvSK_: ; @_ZN7rocprim17ROCPRIM_400000_NS6detail17trampoline_kernelINS0_14default_configENS1_36segmented_radix_sort_config_selectorIhlEEZNS1_25segmented_radix_sort_implIS3_Lb1EPKhPhPKlPlN2at6native12_GLOBAL__N_18offset_tEEE10hipError_tPvRmT1_PNSt15iterator_traitsISK_E10value_typeET2_T3_PNSL_ISQ_E10value_typeET4_jRbjT5_SW_jjP12ihipStream_tbEUlT_E2_NS1_11comp_targetILNS1_3genE8ELNS1_11target_archE1030ELNS1_3gpuE2ELNS1_3repE0EEENS1_30default_config_static_selectorELNS0_4arch9wavefront6targetE0EEEvSK_
; %bb.0:
	.section	.rodata,"a",@progbits
	.p2align	6, 0x0
	.amdhsa_kernel _ZN7rocprim17ROCPRIM_400000_NS6detail17trampoline_kernelINS0_14default_configENS1_36segmented_radix_sort_config_selectorIhlEEZNS1_25segmented_radix_sort_implIS3_Lb1EPKhPhPKlPlN2at6native12_GLOBAL__N_18offset_tEEE10hipError_tPvRmT1_PNSt15iterator_traitsISK_E10value_typeET2_T3_PNSL_ISQ_E10value_typeET4_jRbjT5_SW_jjP12ihipStream_tbEUlT_E2_NS1_11comp_targetILNS1_3genE8ELNS1_11target_archE1030ELNS1_3gpuE2ELNS1_3repE0EEENS1_30default_config_static_selectorELNS0_4arch9wavefront6targetE0EEEvSK_
		.amdhsa_group_segment_fixed_size 0
		.amdhsa_private_segment_fixed_size 0
		.amdhsa_kernarg_size 80
		.amdhsa_user_sgpr_count 2
		.amdhsa_user_sgpr_dispatch_ptr 0
		.amdhsa_user_sgpr_queue_ptr 0
		.amdhsa_user_sgpr_kernarg_segment_ptr 1
		.amdhsa_user_sgpr_dispatch_id 0
		.amdhsa_user_sgpr_kernarg_preload_length 0
		.amdhsa_user_sgpr_kernarg_preload_offset 0
		.amdhsa_user_sgpr_private_segment_size 0
		.amdhsa_wavefront_size32 1
		.amdhsa_uses_dynamic_stack 0
		.amdhsa_enable_private_segment 0
		.amdhsa_system_sgpr_workgroup_id_x 1
		.amdhsa_system_sgpr_workgroup_id_y 0
		.amdhsa_system_sgpr_workgroup_id_z 0
		.amdhsa_system_sgpr_workgroup_info 0
		.amdhsa_system_vgpr_workitem_id 0
		.amdhsa_next_free_vgpr 1
		.amdhsa_next_free_sgpr 1
		.amdhsa_named_barrier_count 0
		.amdhsa_reserve_vcc 0
		.amdhsa_float_round_mode_32 0
		.amdhsa_float_round_mode_16_64 0
		.amdhsa_float_denorm_mode_32 3
		.amdhsa_float_denorm_mode_16_64 3
		.amdhsa_fp16_overflow 0
		.amdhsa_memory_ordered 1
		.amdhsa_forward_progress 1
		.amdhsa_inst_pref_size 0
		.amdhsa_round_robin_scheduling 0
		.amdhsa_exception_fp_ieee_invalid_op 0
		.amdhsa_exception_fp_denorm_src 0
		.amdhsa_exception_fp_ieee_div_zero 0
		.amdhsa_exception_fp_ieee_overflow 0
		.amdhsa_exception_fp_ieee_underflow 0
		.amdhsa_exception_fp_ieee_inexact 0
		.amdhsa_exception_int_div_zero 0
	.end_amdhsa_kernel
	.section	.text._ZN7rocprim17ROCPRIM_400000_NS6detail17trampoline_kernelINS0_14default_configENS1_36segmented_radix_sort_config_selectorIhlEEZNS1_25segmented_radix_sort_implIS3_Lb1EPKhPhPKlPlN2at6native12_GLOBAL__N_18offset_tEEE10hipError_tPvRmT1_PNSt15iterator_traitsISK_E10value_typeET2_T3_PNSL_ISQ_E10value_typeET4_jRbjT5_SW_jjP12ihipStream_tbEUlT_E2_NS1_11comp_targetILNS1_3genE8ELNS1_11target_archE1030ELNS1_3gpuE2ELNS1_3repE0EEENS1_30default_config_static_selectorELNS0_4arch9wavefront6targetE0EEEvSK_,"axG",@progbits,_ZN7rocprim17ROCPRIM_400000_NS6detail17trampoline_kernelINS0_14default_configENS1_36segmented_radix_sort_config_selectorIhlEEZNS1_25segmented_radix_sort_implIS3_Lb1EPKhPhPKlPlN2at6native12_GLOBAL__N_18offset_tEEE10hipError_tPvRmT1_PNSt15iterator_traitsISK_E10value_typeET2_T3_PNSL_ISQ_E10value_typeET4_jRbjT5_SW_jjP12ihipStream_tbEUlT_E2_NS1_11comp_targetILNS1_3genE8ELNS1_11target_archE1030ELNS1_3gpuE2ELNS1_3repE0EEENS1_30default_config_static_selectorELNS0_4arch9wavefront6targetE0EEEvSK_,comdat
.Lfunc_end120:
	.size	_ZN7rocprim17ROCPRIM_400000_NS6detail17trampoline_kernelINS0_14default_configENS1_36segmented_radix_sort_config_selectorIhlEEZNS1_25segmented_radix_sort_implIS3_Lb1EPKhPhPKlPlN2at6native12_GLOBAL__N_18offset_tEEE10hipError_tPvRmT1_PNSt15iterator_traitsISK_E10value_typeET2_T3_PNSL_ISQ_E10value_typeET4_jRbjT5_SW_jjP12ihipStream_tbEUlT_E2_NS1_11comp_targetILNS1_3genE8ELNS1_11target_archE1030ELNS1_3gpuE2ELNS1_3repE0EEENS1_30default_config_static_selectorELNS0_4arch9wavefront6targetE0EEEvSK_, .Lfunc_end120-_ZN7rocprim17ROCPRIM_400000_NS6detail17trampoline_kernelINS0_14default_configENS1_36segmented_radix_sort_config_selectorIhlEEZNS1_25segmented_radix_sort_implIS3_Lb1EPKhPhPKlPlN2at6native12_GLOBAL__N_18offset_tEEE10hipError_tPvRmT1_PNSt15iterator_traitsISK_E10value_typeET2_T3_PNSL_ISQ_E10value_typeET4_jRbjT5_SW_jjP12ihipStream_tbEUlT_E2_NS1_11comp_targetILNS1_3genE8ELNS1_11target_archE1030ELNS1_3gpuE2ELNS1_3repE0EEENS1_30default_config_static_selectorELNS0_4arch9wavefront6targetE0EEEvSK_
                                        ; -- End function
	.set _ZN7rocprim17ROCPRIM_400000_NS6detail17trampoline_kernelINS0_14default_configENS1_36segmented_radix_sort_config_selectorIhlEEZNS1_25segmented_radix_sort_implIS3_Lb1EPKhPhPKlPlN2at6native12_GLOBAL__N_18offset_tEEE10hipError_tPvRmT1_PNSt15iterator_traitsISK_E10value_typeET2_T3_PNSL_ISQ_E10value_typeET4_jRbjT5_SW_jjP12ihipStream_tbEUlT_E2_NS1_11comp_targetILNS1_3genE8ELNS1_11target_archE1030ELNS1_3gpuE2ELNS1_3repE0EEENS1_30default_config_static_selectorELNS0_4arch9wavefront6targetE0EEEvSK_.num_vgpr, 0
	.set _ZN7rocprim17ROCPRIM_400000_NS6detail17trampoline_kernelINS0_14default_configENS1_36segmented_radix_sort_config_selectorIhlEEZNS1_25segmented_radix_sort_implIS3_Lb1EPKhPhPKlPlN2at6native12_GLOBAL__N_18offset_tEEE10hipError_tPvRmT1_PNSt15iterator_traitsISK_E10value_typeET2_T3_PNSL_ISQ_E10value_typeET4_jRbjT5_SW_jjP12ihipStream_tbEUlT_E2_NS1_11comp_targetILNS1_3genE8ELNS1_11target_archE1030ELNS1_3gpuE2ELNS1_3repE0EEENS1_30default_config_static_selectorELNS0_4arch9wavefront6targetE0EEEvSK_.num_agpr, 0
	.set _ZN7rocprim17ROCPRIM_400000_NS6detail17trampoline_kernelINS0_14default_configENS1_36segmented_radix_sort_config_selectorIhlEEZNS1_25segmented_radix_sort_implIS3_Lb1EPKhPhPKlPlN2at6native12_GLOBAL__N_18offset_tEEE10hipError_tPvRmT1_PNSt15iterator_traitsISK_E10value_typeET2_T3_PNSL_ISQ_E10value_typeET4_jRbjT5_SW_jjP12ihipStream_tbEUlT_E2_NS1_11comp_targetILNS1_3genE8ELNS1_11target_archE1030ELNS1_3gpuE2ELNS1_3repE0EEENS1_30default_config_static_selectorELNS0_4arch9wavefront6targetE0EEEvSK_.numbered_sgpr, 0
	.set _ZN7rocprim17ROCPRIM_400000_NS6detail17trampoline_kernelINS0_14default_configENS1_36segmented_radix_sort_config_selectorIhlEEZNS1_25segmented_radix_sort_implIS3_Lb1EPKhPhPKlPlN2at6native12_GLOBAL__N_18offset_tEEE10hipError_tPvRmT1_PNSt15iterator_traitsISK_E10value_typeET2_T3_PNSL_ISQ_E10value_typeET4_jRbjT5_SW_jjP12ihipStream_tbEUlT_E2_NS1_11comp_targetILNS1_3genE8ELNS1_11target_archE1030ELNS1_3gpuE2ELNS1_3repE0EEENS1_30default_config_static_selectorELNS0_4arch9wavefront6targetE0EEEvSK_.num_named_barrier, 0
	.set _ZN7rocprim17ROCPRIM_400000_NS6detail17trampoline_kernelINS0_14default_configENS1_36segmented_radix_sort_config_selectorIhlEEZNS1_25segmented_radix_sort_implIS3_Lb1EPKhPhPKlPlN2at6native12_GLOBAL__N_18offset_tEEE10hipError_tPvRmT1_PNSt15iterator_traitsISK_E10value_typeET2_T3_PNSL_ISQ_E10value_typeET4_jRbjT5_SW_jjP12ihipStream_tbEUlT_E2_NS1_11comp_targetILNS1_3genE8ELNS1_11target_archE1030ELNS1_3gpuE2ELNS1_3repE0EEENS1_30default_config_static_selectorELNS0_4arch9wavefront6targetE0EEEvSK_.private_seg_size, 0
	.set _ZN7rocprim17ROCPRIM_400000_NS6detail17trampoline_kernelINS0_14default_configENS1_36segmented_radix_sort_config_selectorIhlEEZNS1_25segmented_radix_sort_implIS3_Lb1EPKhPhPKlPlN2at6native12_GLOBAL__N_18offset_tEEE10hipError_tPvRmT1_PNSt15iterator_traitsISK_E10value_typeET2_T3_PNSL_ISQ_E10value_typeET4_jRbjT5_SW_jjP12ihipStream_tbEUlT_E2_NS1_11comp_targetILNS1_3genE8ELNS1_11target_archE1030ELNS1_3gpuE2ELNS1_3repE0EEENS1_30default_config_static_selectorELNS0_4arch9wavefront6targetE0EEEvSK_.uses_vcc, 0
	.set _ZN7rocprim17ROCPRIM_400000_NS6detail17trampoline_kernelINS0_14default_configENS1_36segmented_radix_sort_config_selectorIhlEEZNS1_25segmented_radix_sort_implIS3_Lb1EPKhPhPKlPlN2at6native12_GLOBAL__N_18offset_tEEE10hipError_tPvRmT1_PNSt15iterator_traitsISK_E10value_typeET2_T3_PNSL_ISQ_E10value_typeET4_jRbjT5_SW_jjP12ihipStream_tbEUlT_E2_NS1_11comp_targetILNS1_3genE8ELNS1_11target_archE1030ELNS1_3gpuE2ELNS1_3repE0EEENS1_30default_config_static_selectorELNS0_4arch9wavefront6targetE0EEEvSK_.uses_flat_scratch, 0
	.set _ZN7rocprim17ROCPRIM_400000_NS6detail17trampoline_kernelINS0_14default_configENS1_36segmented_radix_sort_config_selectorIhlEEZNS1_25segmented_radix_sort_implIS3_Lb1EPKhPhPKlPlN2at6native12_GLOBAL__N_18offset_tEEE10hipError_tPvRmT1_PNSt15iterator_traitsISK_E10value_typeET2_T3_PNSL_ISQ_E10value_typeET4_jRbjT5_SW_jjP12ihipStream_tbEUlT_E2_NS1_11comp_targetILNS1_3genE8ELNS1_11target_archE1030ELNS1_3gpuE2ELNS1_3repE0EEENS1_30default_config_static_selectorELNS0_4arch9wavefront6targetE0EEEvSK_.has_dyn_sized_stack, 0
	.set _ZN7rocprim17ROCPRIM_400000_NS6detail17trampoline_kernelINS0_14default_configENS1_36segmented_radix_sort_config_selectorIhlEEZNS1_25segmented_radix_sort_implIS3_Lb1EPKhPhPKlPlN2at6native12_GLOBAL__N_18offset_tEEE10hipError_tPvRmT1_PNSt15iterator_traitsISK_E10value_typeET2_T3_PNSL_ISQ_E10value_typeET4_jRbjT5_SW_jjP12ihipStream_tbEUlT_E2_NS1_11comp_targetILNS1_3genE8ELNS1_11target_archE1030ELNS1_3gpuE2ELNS1_3repE0EEENS1_30default_config_static_selectorELNS0_4arch9wavefront6targetE0EEEvSK_.has_recursion, 0
	.set _ZN7rocprim17ROCPRIM_400000_NS6detail17trampoline_kernelINS0_14default_configENS1_36segmented_radix_sort_config_selectorIhlEEZNS1_25segmented_radix_sort_implIS3_Lb1EPKhPhPKlPlN2at6native12_GLOBAL__N_18offset_tEEE10hipError_tPvRmT1_PNSt15iterator_traitsISK_E10value_typeET2_T3_PNSL_ISQ_E10value_typeET4_jRbjT5_SW_jjP12ihipStream_tbEUlT_E2_NS1_11comp_targetILNS1_3genE8ELNS1_11target_archE1030ELNS1_3gpuE2ELNS1_3repE0EEENS1_30default_config_static_selectorELNS0_4arch9wavefront6targetE0EEEvSK_.has_indirect_call, 0
	.section	.AMDGPU.csdata,"",@progbits
; Kernel info:
; codeLenInByte = 0
; TotalNumSgprs: 0
; NumVgprs: 0
; ScratchSize: 0
; MemoryBound: 0
; FloatMode: 240
; IeeeMode: 1
; LDSByteSize: 0 bytes/workgroup (compile time only)
; SGPRBlocks: 0
; VGPRBlocks: 0
; NumSGPRsForWavesPerEU: 1
; NumVGPRsForWavesPerEU: 1
; NamedBarCnt: 0
; Occupancy: 16
; WaveLimiterHint : 0
; COMPUTE_PGM_RSRC2:SCRATCH_EN: 0
; COMPUTE_PGM_RSRC2:USER_SGPR: 2
; COMPUTE_PGM_RSRC2:TRAP_HANDLER: 0
; COMPUTE_PGM_RSRC2:TGID_X_EN: 1
; COMPUTE_PGM_RSRC2:TGID_Y_EN: 0
; COMPUTE_PGM_RSRC2:TGID_Z_EN: 0
; COMPUTE_PGM_RSRC2:TIDIG_COMP_CNT: 0
	.section	.text._ZN7rocprim17ROCPRIM_400000_NS6detail17trampoline_kernelINS0_13select_configILj256ELj13ELNS0_17block_load_methodE3ELS4_3ELS4_3ELNS0_20block_scan_algorithmE0ELj4294967295EEENS1_25partition_config_selectorILNS1_17partition_subalgoE4EjNS0_10empty_typeEbEEZZNS1_14partition_implILS8_4ELb0ES6_15HIP_vector_typeIjLj2EENS0_17counting_iteratorIjlEEPS9_SG_NS0_5tupleIJPjSI_NS0_16reverse_iteratorISI_EEEEENSH_IJSG_SG_SG_EEES9_SI_JZNS1_25segmented_radix_sort_implINS0_14default_configELb0EPKhPhPKlPlN2at6native12_GLOBAL__N_18offset_tEEE10hipError_tPvRmT1_PNSt15iterator_traitsIS12_E10value_typeET2_T3_PNS13_IS18_E10value_typeET4_jRbjT5_S1E_jjP12ihipStream_tbEUljE_ZNSN_ISO_Lb0ESQ_SR_ST_SU_SY_EESZ_S10_S11_S12_S16_S17_S18_S1B_S1C_jS1D_jS1E_S1E_jjS1G_bEUljE0_EEESZ_S10_S11_S18_S1C_S1E_T6_T7_T9_mT8_S1G_bDpT10_ENKUlT_T0_E_clISt17integral_constantIbLb0EES1U_EEDaS1P_S1Q_EUlS1P_E_NS1_11comp_targetILNS1_3genE0ELNS1_11target_archE4294967295ELNS1_3gpuE0ELNS1_3repE0EEENS1_30default_config_static_selectorELNS0_4arch9wavefront6targetE0EEEvS12_,"axG",@progbits,_ZN7rocprim17ROCPRIM_400000_NS6detail17trampoline_kernelINS0_13select_configILj256ELj13ELNS0_17block_load_methodE3ELS4_3ELS4_3ELNS0_20block_scan_algorithmE0ELj4294967295EEENS1_25partition_config_selectorILNS1_17partition_subalgoE4EjNS0_10empty_typeEbEEZZNS1_14partition_implILS8_4ELb0ES6_15HIP_vector_typeIjLj2EENS0_17counting_iteratorIjlEEPS9_SG_NS0_5tupleIJPjSI_NS0_16reverse_iteratorISI_EEEEENSH_IJSG_SG_SG_EEES9_SI_JZNS1_25segmented_radix_sort_implINS0_14default_configELb0EPKhPhPKlPlN2at6native12_GLOBAL__N_18offset_tEEE10hipError_tPvRmT1_PNSt15iterator_traitsIS12_E10value_typeET2_T3_PNS13_IS18_E10value_typeET4_jRbjT5_S1E_jjP12ihipStream_tbEUljE_ZNSN_ISO_Lb0ESQ_SR_ST_SU_SY_EESZ_S10_S11_S12_S16_S17_S18_S1B_S1C_jS1D_jS1E_S1E_jjS1G_bEUljE0_EEESZ_S10_S11_S18_S1C_S1E_T6_T7_T9_mT8_S1G_bDpT10_ENKUlT_T0_E_clISt17integral_constantIbLb0EES1U_EEDaS1P_S1Q_EUlS1P_E_NS1_11comp_targetILNS1_3genE0ELNS1_11target_archE4294967295ELNS1_3gpuE0ELNS1_3repE0EEENS1_30default_config_static_selectorELNS0_4arch9wavefront6targetE0EEEvS12_,comdat
	.globl	_ZN7rocprim17ROCPRIM_400000_NS6detail17trampoline_kernelINS0_13select_configILj256ELj13ELNS0_17block_load_methodE3ELS4_3ELS4_3ELNS0_20block_scan_algorithmE0ELj4294967295EEENS1_25partition_config_selectorILNS1_17partition_subalgoE4EjNS0_10empty_typeEbEEZZNS1_14partition_implILS8_4ELb0ES6_15HIP_vector_typeIjLj2EENS0_17counting_iteratorIjlEEPS9_SG_NS0_5tupleIJPjSI_NS0_16reverse_iteratorISI_EEEEENSH_IJSG_SG_SG_EEES9_SI_JZNS1_25segmented_radix_sort_implINS0_14default_configELb0EPKhPhPKlPlN2at6native12_GLOBAL__N_18offset_tEEE10hipError_tPvRmT1_PNSt15iterator_traitsIS12_E10value_typeET2_T3_PNS13_IS18_E10value_typeET4_jRbjT5_S1E_jjP12ihipStream_tbEUljE_ZNSN_ISO_Lb0ESQ_SR_ST_SU_SY_EESZ_S10_S11_S12_S16_S17_S18_S1B_S1C_jS1D_jS1E_S1E_jjS1G_bEUljE0_EEESZ_S10_S11_S18_S1C_S1E_T6_T7_T9_mT8_S1G_bDpT10_ENKUlT_T0_E_clISt17integral_constantIbLb0EES1U_EEDaS1P_S1Q_EUlS1P_E_NS1_11comp_targetILNS1_3genE0ELNS1_11target_archE4294967295ELNS1_3gpuE0ELNS1_3repE0EEENS1_30default_config_static_selectorELNS0_4arch9wavefront6targetE0EEEvS12_ ; -- Begin function _ZN7rocprim17ROCPRIM_400000_NS6detail17trampoline_kernelINS0_13select_configILj256ELj13ELNS0_17block_load_methodE3ELS4_3ELS4_3ELNS0_20block_scan_algorithmE0ELj4294967295EEENS1_25partition_config_selectorILNS1_17partition_subalgoE4EjNS0_10empty_typeEbEEZZNS1_14partition_implILS8_4ELb0ES6_15HIP_vector_typeIjLj2EENS0_17counting_iteratorIjlEEPS9_SG_NS0_5tupleIJPjSI_NS0_16reverse_iteratorISI_EEEEENSH_IJSG_SG_SG_EEES9_SI_JZNS1_25segmented_radix_sort_implINS0_14default_configELb0EPKhPhPKlPlN2at6native12_GLOBAL__N_18offset_tEEE10hipError_tPvRmT1_PNSt15iterator_traitsIS12_E10value_typeET2_T3_PNS13_IS18_E10value_typeET4_jRbjT5_S1E_jjP12ihipStream_tbEUljE_ZNSN_ISO_Lb0ESQ_SR_ST_SU_SY_EESZ_S10_S11_S12_S16_S17_S18_S1B_S1C_jS1D_jS1E_S1E_jjS1G_bEUljE0_EEESZ_S10_S11_S18_S1C_S1E_T6_T7_T9_mT8_S1G_bDpT10_ENKUlT_T0_E_clISt17integral_constantIbLb0EES1U_EEDaS1P_S1Q_EUlS1P_E_NS1_11comp_targetILNS1_3genE0ELNS1_11target_archE4294967295ELNS1_3gpuE0ELNS1_3repE0EEENS1_30default_config_static_selectorELNS0_4arch9wavefront6targetE0EEEvS12_
	.p2align	8
	.type	_ZN7rocprim17ROCPRIM_400000_NS6detail17trampoline_kernelINS0_13select_configILj256ELj13ELNS0_17block_load_methodE3ELS4_3ELS4_3ELNS0_20block_scan_algorithmE0ELj4294967295EEENS1_25partition_config_selectorILNS1_17partition_subalgoE4EjNS0_10empty_typeEbEEZZNS1_14partition_implILS8_4ELb0ES6_15HIP_vector_typeIjLj2EENS0_17counting_iteratorIjlEEPS9_SG_NS0_5tupleIJPjSI_NS0_16reverse_iteratorISI_EEEEENSH_IJSG_SG_SG_EEES9_SI_JZNS1_25segmented_radix_sort_implINS0_14default_configELb0EPKhPhPKlPlN2at6native12_GLOBAL__N_18offset_tEEE10hipError_tPvRmT1_PNSt15iterator_traitsIS12_E10value_typeET2_T3_PNS13_IS18_E10value_typeET4_jRbjT5_S1E_jjP12ihipStream_tbEUljE_ZNSN_ISO_Lb0ESQ_SR_ST_SU_SY_EESZ_S10_S11_S12_S16_S17_S18_S1B_S1C_jS1D_jS1E_S1E_jjS1G_bEUljE0_EEESZ_S10_S11_S18_S1C_S1E_T6_T7_T9_mT8_S1G_bDpT10_ENKUlT_T0_E_clISt17integral_constantIbLb0EES1U_EEDaS1P_S1Q_EUlS1P_E_NS1_11comp_targetILNS1_3genE0ELNS1_11target_archE4294967295ELNS1_3gpuE0ELNS1_3repE0EEENS1_30default_config_static_selectorELNS0_4arch9wavefront6targetE0EEEvS12_,@function
_ZN7rocprim17ROCPRIM_400000_NS6detail17trampoline_kernelINS0_13select_configILj256ELj13ELNS0_17block_load_methodE3ELS4_3ELS4_3ELNS0_20block_scan_algorithmE0ELj4294967295EEENS1_25partition_config_selectorILNS1_17partition_subalgoE4EjNS0_10empty_typeEbEEZZNS1_14partition_implILS8_4ELb0ES6_15HIP_vector_typeIjLj2EENS0_17counting_iteratorIjlEEPS9_SG_NS0_5tupleIJPjSI_NS0_16reverse_iteratorISI_EEEEENSH_IJSG_SG_SG_EEES9_SI_JZNS1_25segmented_radix_sort_implINS0_14default_configELb0EPKhPhPKlPlN2at6native12_GLOBAL__N_18offset_tEEE10hipError_tPvRmT1_PNSt15iterator_traitsIS12_E10value_typeET2_T3_PNS13_IS18_E10value_typeET4_jRbjT5_S1E_jjP12ihipStream_tbEUljE_ZNSN_ISO_Lb0ESQ_SR_ST_SU_SY_EESZ_S10_S11_S12_S16_S17_S18_S1B_S1C_jS1D_jS1E_S1E_jjS1G_bEUljE0_EEESZ_S10_S11_S18_S1C_S1E_T6_T7_T9_mT8_S1G_bDpT10_ENKUlT_T0_E_clISt17integral_constantIbLb0EES1U_EEDaS1P_S1Q_EUlS1P_E_NS1_11comp_targetILNS1_3genE0ELNS1_11target_archE4294967295ELNS1_3gpuE0ELNS1_3repE0EEENS1_30default_config_static_selectorELNS0_4arch9wavefront6targetE0EEEvS12_: ; @_ZN7rocprim17ROCPRIM_400000_NS6detail17trampoline_kernelINS0_13select_configILj256ELj13ELNS0_17block_load_methodE3ELS4_3ELS4_3ELNS0_20block_scan_algorithmE0ELj4294967295EEENS1_25partition_config_selectorILNS1_17partition_subalgoE4EjNS0_10empty_typeEbEEZZNS1_14partition_implILS8_4ELb0ES6_15HIP_vector_typeIjLj2EENS0_17counting_iteratorIjlEEPS9_SG_NS0_5tupleIJPjSI_NS0_16reverse_iteratorISI_EEEEENSH_IJSG_SG_SG_EEES9_SI_JZNS1_25segmented_radix_sort_implINS0_14default_configELb0EPKhPhPKlPlN2at6native12_GLOBAL__N_18offset_tEEE10hipError_tPvRmT1_PNSt15iterator_traitsIS12_E10value_typeET2_T3_PNS13_IS18_E10value_typeET4_jRbjT5_S1E_jjP12ihipStream_tbEUljE_ZNSN_ISO_Lb0ESQ_SR_ST_SU_SY_EESZ_S10_S11_S12_S16_S17_S18_S1B_S1C_jS1D_jS1E_S1E_jjS1G_bEUljE0_EEESZ_S10_S11_S18_S1C_S1E_T6_T7_T9_mT8_S1G_bDpT10_ENKUlT_T0_E_clISt17integral_constantIbLb0EES1U_EEDaS1P_S1Q_EUlS1P_E_NS1_11comp_targetILNS1_3genE0ELNS1_11target_archE4294967295ELNS1_3gpuE0ELNS1_3repE0EEENS1_30default_config_static_selectorELNS0_4arch9wavefront6targetE0EEEvS12_
; %bb.0:
	s_clause 0x4
	s_load_b128 s[24:27], s[0:1], 0x58
	s_load_b32 s4, s[0:1], 0x80
	s_load_b64 s[34:35], s[0:1], 0x10
	s_load_b64 s[2:3], s[0:1], 0x68
	s_load_b32 s8, s[0:1], 0x8
	s_bfe_u32 s5, ttmp6, 0x4000c
	s_and_b32 s6, ttmp6, 15
	s_add_co_i32 s5, s5, 1
	s_getreg_b32 s7, hwreg(HW_REG_IB_STS2, 6, 4)
	s_mul_i32 s5, ttmp9, s5
	s_load_b64 s[42:43], s[0:1], 0xa8
	s_add_co_i32 s6, s6, s5
	s_cmp_eq_u32 s7, 0
	s_load_b256 s[16:23], s[0:1], 0x88
	s_cselect_b32 s33, ttmp9, s6
	s_mov_b32 s5, 0
	s_mul_i32 s40, s33, 0xd00
	s_wait_kmcnt 0x0
	s_add_co_i32 s9, s4, -1
	s_mulk_i32 s4, 0xd00
	s_load_b128 s[28:31], s[26:27], 0x0
	s_cmp_eq_u32 s33, s9
	s_add_nc_u64 s[6:7], s[34:35], s[4:5]
	s_cselect_b32 s15, -1, 0
	s_cmp_lg_u32 s33, s9
	v_cmp_gt_u64_e64 s3, s[2:3], s[6:7]
	s_cselect_b32 s5, -1, 0
	s_add_co_i32 s6, s8, s40
	s_delay_alu instid0(SALU_CYCLE_1) | instskip(NEXT) | instid1(SALU_CYCLE_1)
	s_add_co_i32 s6, s6, s34
	v_add_nc_u32_e32 v1, s6, v0
	s_or_b32 s3, s5, s3
	s_mov_b32 s5, -1
	s_and_b32 vcc_lo, exec_lo, s3
	s_delay_alu instid0(VALU_DEP_1)
	v_add_nc_u32_e32 v2, 0x100, v1
	v_add_nc_u32_e32 v3, 0x200, v1
	;; [unrolled: 1-line block ×12, first 2 shown]
	s_cbranch_vccz .LBB121_2
; %bb.1:
	v_lshlrev_b32_e32 v14, 2, v0
	s_mov_b32 s5, 0
	ds_store_2addr_stride64_b32 v14, v1, v2 offset1:4
	ds_store_2addr_stride64_b32 v14, v3, v4 offset0:8 offset1:12
	ds_store_2addr_stride64_b32 v14, v5, v6 offset0:16 offset1:20
	ds_store_2addr_stride64_b32 v14, v7, v8 offset0:24 offset1:28
	ds_store_2addr_stride64_b32 v14, v9, v10 offset0:32 offset1:36
	ds_store_2addr_stride64_b32 v14, v11, v12 offset0:40 offset1:44
	ds_store_b32 v14, v13 offset:12288
	s_wait_dscnt 0x0
	s_barrier_signal -1
	s_barrier_wait -1
.LBB121_2:
	s_and_not1_b32 vcc_lo, exec_lo, s5
	s_add_co_i32 s4, s4, s34
	s_cbranch_vccnz .LBB121_4
; %bb.3:
	v_lshlrev_b32_e32 v14, 2, v0
	ds_store_2addr_stride64_b32 v14, v1, v2 offset1:4
	ds_store_2addr_stride64_b32 v14, v3, v4 offset0:8 offset1:12
	ds_store_2addr_stride64_b32 v14, v5, v6 offset0:16 offset1:20
	ds_store_2addr_stride64_b32 v14, v7, v8 offset0:24 offset1:28
	ds_store_2addr_stride64_b32 v14, v9, v10 offset0:32 offset1:36
	ds_store_2addr_stride64_b32 v14, v11, v12 offset0:40 offset1:44
	ds_store_b32 v14, v13 offset:12288
	s_wait_dscnt 0x0
	s_barrier_signal -1
	s_barrier_wait -1
.LBB121_4:
	v_mul_u32_u24_e32 v30, 13, v0
	s_load_b128 s[36:39], s[0:1], 0x28
	s_wait_xcnt 0x0
	s_load_b64 s[26:27], s[0:1], 0x38
	v_cndmask_b32_e64 v29, 0, 1, s3
	s_sub_co_i32 s41, s2, s4
	v_lshlrev_b32_e32 v1, 2, v30
	s_and_not1_b32 vcc_lo, exec_lo, s3
	ds_load_b32 v28, v1 offset:48
	ds_load_2addr_b32 v[10:11], v1 offset0:10 offset1:11
	ds_load_2addr_b32 v[12:13], v1 offset0:8 offset1:9
	;; [unrolled: 1-line block ×4, first 2 shown]
	ds_load_2addr_b32 v[20:21], v1 offset1:1
	ds_load_2addr_b32 v[18:19], v1 offset0:2 offset1:3
	s_wait_dscnt 0x0
	s_barrier_signal -1
	s_barrier_wait -1
	s_cbranch_vccnz .LBB121_32
; %bb.5:
	v_dual_add_nc_u32 v1, s17, v20 :: v_dual_add_nc_u32 v2, s19, v20
	s_mov_b32 s45, 0
	s_mov_b32 s44, 0
	s_mov_b32 s3, exec_lo
	s_delay_alu instid0(VALU_DEP_1) | instskip(SKIP_1) | instid1(VALU_DEP_1)
	v_mul_lo_u32 v1, v1, s16
	v_mul_lo_u32 v2, v2, s18
	v_sub_nc_u32_e32 v1, v1, v2
	s_delay_alu instid0(VALU_DEP_1)
	v_cmp_lt_u32_e32 vcc_lo, s20, v1
	v_cmpx_ge_u32_e64 s20, v1
	s_cbranch_execz .LBB121_7
; %bb.6:
	v_dual_add_nc_u32 v1, s22, v20 :: v_dual_add_nc_u32 v2, s42, v20
	s_delay_alu instid0(VALU_DEP_1) | instskip(NEXT) | instid1(VALU_DEP_2)
	v_mul_lo_u32 v1, v1, s21
	v_mul_lo_u32 v2, v2, s23
	s_delay_alu instid0(VALU_DEP_1) | instskip(NEXT) | instid1(VALU_DEP_1)
	v_sub_nc_u32_e32 v1, v1, v2
	v_cmp_lt_u32_e64 s2, s43, v1
	s_and_b32 s44, s2, exec_lo
.LBB121_7:
	s_or_b32 exec_lo, exec_lo, s3
	v_dual_add_nc_u32 v1, s17, v21 :: v_dual_add_nc_u32 v2, s19, v21
	s_mov_b32 s4, exec_lo
	s_delay_alu instid0(VALU_DEP_1) | instskip(NEXT) | instid1(VALU_DEP_2)
	v_mul_lo_u32 v1, v1, s16
	v_mul_lo_u32 v2, v2, s18
	s_delay_alu instid0(VALU_DEP_1) | instskip(NEXT) | instid1(VALU_DEP_1)
	v_sub_nc_u32_e32 v1, v1, v2
	v_cmp_lt_u32_e64 s2, s20, v1
	v_cmpx_ge_u32_e64 s20, v1
	s_cbranch_execz .LBB121_9
; %bb.8:
	v_dual_add_nc_u32 v1, s22, v21 :: v_dual_add_nc_u32 v2, s42, v21
	s_delay_alu instid0(VALU_DEP_1) | instskip(NEXT) | instid1(VALU_DEP_2)
	v_mul_lo_u32 v1, v1, s21
	v_mul_lo_u32 v2, v2, s23
	s_delay_alu instid0(VALU_DEP_1) | instskip(NEXT) | instid1(VALU_DEP_1)
	v_sub_nc_u32_e32 v1, v1, v2
	v_cmp_lt_u32_e64 s3, s43, v1
	s_and_b32 s45, s3, exec_lo
.LBB121_9:
	s_or_b32 exec_lo, exec_lo, s4
	v_dual_add_nc_u32 v1, s17, v18 :: v_dual_add_nc_u32 v2, s19, v18
	s_mov_b32 s47, 0
	s_mov_b32 s46, 0
	s_mov_b32 s5, exec_lo
	s_delay_alu instid0(VALU_DEP_1) | instskip(SKIP_1) | instid1(VALU_DEP_1)
	v_mul_lo_u32 v1, v1, s16
	v_mul_lo_u32 v2, v2, s18
	v_sub_nc_u32_e32 v1, v1, v2
	s_delay_alu instid0(VALU_DEP_1)
	v_cmp_lt_u32_e64 s3, s20, v1
	v_cmpx_ge_u32_e64 s20, v1
	s_cbranch_execz .LBB121_11
; %bb.10:
	v_dual_add_nc_u32 v1, s22, v18 :: v_dual_add_nc_u32 v2, s42, v18
	s_delay_alu instid0(VALU_DEP_1) | instskip(NEXT) | instid1(VALU_DEP_2)
	v_mul_lo_u32 v1, v1, s21
	v_mul_lo_u32 v2, v2, s23
	s_delay_alu instid0(VALU_DEP_1) | instskip(NEXT) | instid1(VALU_DEP_1)
	v_sub_nc_u32_e32 v1, v1, v2
	v_cmp_lt_u32_e64 s4, s43, v1
	s_and_b32 s46, s4, exec_lo
.LBB121_11:
	s_or_b32 exec_lo, exec_lo, s5
	v_dual_add_nc_u32 v1, s17, v19 :: v_dual_add_nc_u32 v2, s19, v19
	s_mov_b32 s6, exec_lo
	s_delay_alu instid0(VALU_DEP_1) | instskip(NEXT) | instid1(VALU_DEP_2)
	v_mul_lo_u32 v1, v1, s16
	v_mul_lo_u32 v2, v2, s18
	s_delay_alu instid0(VALU_DEP_1) | instskip(NEXT) | instid1(VALU_DEP_1)
	v_sub_nc_u32_e32 v1, v1, v2
	v_cmp_lt_u32_e64 s4, s20, v1
	v_cmpx_ge_u32_e64 s20, v1
	s_cbranch_execz .LBB121_13
; %bb.12:
	v_dual_add_nc_u32 v1, s22, v19 :: v_dual_add_nc_u32 v2, s42, v19
	s_delay_alu instid0(VALU_DEP_1) | instskip(NEXT) | instid1(VALU_DEP_2)
	v_mul_lo_u32 v1, v1, s21
	v_mul_lo_u32 v2, v2, s23
	s_delay_alu instid0(VALU_DEP_1) | instskip(NEXT) | instid1(VALU_DEP_1)
	v_sub_nc_u32_e32 v1, v1, v2
	v_cmp_lt_u32_e64 s5, s43, v1
	s_and_b32 s47, s5, exec_lo
.LBB121_13:
	s_or_b32 exec_lo, exec_lo, s6
	v_dual_add_nc_u32 v1, s17, v16 :: v_dual_add_nc_u32 v2, s19, v16
	s_mov_b32 s49, 0
	s_mov_b32 s48, 0
	s_mov_b32 s7, exec_lo
	s_delay_alu instid0(VALU_DEP_1) | instskip(SKIP_1) | instid1(VALU_DEP_1)
	v_mul_lo_u32 v1, v1, s16
	v_mul_lo_u32 v2, v2, s18
	v_sub_nc_u32_e32 v1, v1, v2
	s_delay_alu instid0(VALU_DEP_1)
	v_cmp_lt_u32_e64 s5, s20, v1
	;; [unrolled: 44-line block ×6, first 2 shown]
	v_cmpx_ge_u32_e64 s20, v1
	s_cbranch_execz .LBB121_31
; %bb.30:
	v_dual_add_nc_u32 v1, s22, v28 :: v_dual_add_nc_u32 v2, s42, v28
	s_delay_alu instid0(VALU_DEP_1) | instskip(NEXT) | instid1(VALU_DEP_2)
	v_mul_lo_u32 v1, v1, s21
	v_mul_lo_u32 v2, v2, s23
	s_delay_alu instid0(VALU_DEP_1) | instskip(NEXT) | instid1(VALU_DEP_1)
	v_sub_nc_u32_e32 v1, v1, v2
	v_cmp_lt_u32_e64 s14, s43, v1
	s_and_b32 s57, s14, exec_lo
.LBB121_31:
	s_or_b32 exec_lo, exec_lo, s58
	v_cndmask_b32_e64 v2, 0, 1, s2
	v_cndmask_b32_e64 v4, 0, 1, s4
	v_cndmask_b32_e64 v1, 0, 1, vcc_lo
	v_cndmask_b32_e64 v3, 0, 1, s3
	v_cndmask_b32_e64 v6, 0, 1, s6
	v_lshlrev_b16 v2, 8, v2
	v_lshlrev_b16 v4, 8, v4
	v_cndmask_b32_e64 v8, 0, 1, s8
	v_cndmask_b32_e64 v22, 0, 1, s10
	;; [unrolled: 1-line block ×3, first 2 shown]
	v_or_b32_e32 v1, v1, v2
	v_or_b32_e32 v2, v3, v4
	v_cndmask_b32_e64 v4, 0, 1, s46
	v_cndmask_b32_e64 v5, 0, 1, s5
	;; [unrolled: 1-line block ×4, first 2 shown]
	v_lshlrev_b32_e32 v2, 16, v2
	v_and_b32_e32 v1, 0xffff, v1
	v_cndmask_b32_e64 v33, 0, 1, s50
	v_cndmask_b32_e64 v36, 0, 1, s48
	;; [unrolled: 1-line block ×4, first 2 shown]
	v_or_b32_e32 v31, v1, v2
	v_lshlrev_b16 v1, 8, v6
	v_lshlrev_b16 v2, 8, v8
	;; [unrolled: 1-line block ×5, first 2 shown]
	v_cndmask_b32_e64 v7, 0, 1, s7
	v_cndmask_b32_e64 v24, 0, 1, s56
	;; [unrolled: 1-line block ×6, first 2 shown]
	v_lshlrev_b16 v22, 8, v39
	v_or_b32_e32 v4, v37, v4
	v_or_b32_e32 v1, v5, v1
	;; [unrolled: 1-line block ×4, first 2 shown]
	v_lshlrev_b16 v8, 8, v36
	v_lshlrev_b16 v9, 8, v33
	v_cndmask_b32_e64 v26, 0, 1, s54
	v_cndmask_b32_e64 v32, 0, 1, s51
	v_lshlrev_b16 v23, 8, v24
	v_or_b32_e32 v3, v3, v8
	v_or_b32_e32 v8, v35, v9
	;; [unrolled: 1-line block ×4, first 2 shown]
	v_lshlrev_b16 v22, 8, v27
	v_and_b32_e32 v5, 0xffff, v5
	v_lshlrev_b32_e32 v4, 16, v4
	v_and_b32_e32 v1, 0xffff, v1
	v_and_b32_e32 v7, 0xffff, v7
	v_or_b32_e32 v9, v32, v22
	v_or_b32_e32 v22, v26, v23
	v_and_b32_e32 v3, 0xffff, v3
	v_dual_lshlrev_b32 v8, 16, v8 :: v_dual_lshlrev_b32 v2, 16, v2
	s_delay_alu instid0(VALU_DEP_4) | instskip(NEXT) | instid1(VALU_DEP_4)
	v_and_b32_e32 v9, 0xffff, v9
	v_lshlrev_b32_e32 v22, 16, v22
	v_lshlrev_b32_e32 v6, 16, v6
	v_cndmask_b32_e64 v34, 0, 1, s55
	v_cndmask_b32_e64 v38, 0, 1, s57
	v_or_b32_e32 v33, v1, v2
	v_or_b32_e32 v37, v7, v4
	;; [unrolled: 1-line block ×5, first 2 shown]
	s_load_b64 s[4:5], s[0:1], 0x78
	s_and_b32 vcc_lo, exec_lo, s52
	s_add_co_i32 s6, s41, 0xd00
	s_cbranch_vccnz .LBB121_33
	s_branch .LBB121_110
.LBB121_32:
                                        ; implicit-def: $vgpr38
                                        ; implicit-def: $vgpr34
                                        ; implicit-def: $vgpr35
                                        ; implicit-def: $vgpr32
                                        ; implicit-def: $vgpr37
                                        ; implicit-def: $vgpr36
                                        ; implicit-def: $vgpr33
                                        ; implicit-def: $vgpr31
	s_load_b64 s[4:5], s[0:1], 0x78
	s_add_co_i32 s6, s41, 0xd00
	s_cbranch_execz .LBB121_110
.LBB121_33:
	v_dual_mov_b32 v2, 0 :: v_dual_mov_b32 v1, 0
	s_wait_xcnt 0x0
	s_mov_b32 s1, exec_lo
	v_cmpx_gt_u32_e64 s6, v30
	s_cbranch_execz .LBB121_37
; %bb.34:
	v_dual_add_nc_u32 v1, s17, v20 :: v_dual_add_nc_u32 v2, s19, v20
	s_mov_b32 s3, 0
	s_mov_b32 s2, exec_lo
	s_delay_alu instid0(VALU_DEP_1) | instskip(NEXT) | instid1(VALU_DEP_2)
	v_mul_lo_u32 v1, v1, s16
	v_mul_lo_u32 v2, v2, s18
	s_delay_alu instid0(VALU_DEP_1) | instskip(NEXT) | instid1(VALU_DEP_1)
	v_sub_nc_u32_e32 v1, v1, v2
	v_cmp_lt_u32_e32 vcc_lo, s20, v1
	v_cmpx_ge_u32_e64 s20, v1
	s_cbranch_execz .LBB121_36
; %bb.35:
	v_dual_add_nc_u32 v1, s22, v20 :: v_dual_add_nc_u32 v2, s42, v20
	s_delay_alu instid0(VALU_DEP_1) | instskip(NEXT) | instid1(VALU_DEP_2)
	v_mul_lo_u32 v1, v1, s21
	v_mul_lo_u32 v2, v2, s23
	s_delay_alu instid0(VALU_DEP_1) | instskip(NEXT) | instid1(VALU_DEP_1)
	v_sub_nc_u32_e32 v1, v1, v2
	v_cmp_lt_u32_e64 s0, s43, v1
	s_and_b32 s3, s0, exec_lo
.LBB121_36:
	s_or_b32 exec_lo, exec_lo, s2
	v_cndmask_b32_e64 v2, 0, 1, s3
	v_cndmask_b32_e64 v1, 0, 1, vcc_lo
.LBB121_37:
	s_or_b32 exec_lo, exec_lo, s1
	s_delay_alu instid0(VALU_DEP_2) | instskip(SKIP_2) | instid1(VALU_DEP_3)
	v_lshlrev_b16 v2, 8, v2
	v_add_nc_u32_e32 v3, 1, v30
	v_lshlrev_b16 v9, 8, 0
                                        ; implicit-def: $vgpr5
                                        ; implicit-def: $vgpr7
                                        ; implicit-def: $vgpr4
                                        ; implicit-def: $vgpr8
	v_and_b32_e32 v6, 0xffff, v2
	s_delay_alu instid0(VALU_DEP_3) | instskip(NEXT) | instid1(VALU_DEP_2)
	v_cmp_le_u32_e32 vcc_lo, s6, v3
                                        ; implicit-def: $vgpr3
                                        ; implicit-def: $vgpr2
	v_lshrrev_b32_e32 v22, 8, v6
	s_and_saveexec_b32 s0, vcc_lo
	s_delay_alu instid0(SALU_CYCLE_1)
	s_xor_b32 s0, exec_lo, s0
	s_cbranch_execz .LBB121_39
; %bb.38:
	s_delay_alu instid0(VALU_DEP_1) | instskip(SKIP_3) | instid1(VALU_DEP_4)
	v_lshlrev_b16 v2, 8, v22
	v_bitop3_b16 v3, 0, v9, 0xff bitop3:0xec
	v_and_b32_e32 v8, 0xff, v1
                                        ; implicit-def: $vgpr1
                                        ; implicit-def: $vgpr9
                                        ; implicit-def: $vgpr22
	v_mov_b32_e32 v5, 0
	v_bitop3_b16 v6, v6, v2, 0xff bitop3:0xec
	v_mov_b32_e32 v2, 0
	v_and_b32_e32 v4, 0xffff, v3
	v_and_b32_e32 v3, 0xffff, v3
	s_delay_alu instid0(VALU_DEP_4)
	v_and_b32_e32 v7, 0xffff, v6
                                        ; implicit-def: $vgpr6
.LBB121_39:
	s_and_not1_saveexec_b32 s1, s0
	s_cbranch_execz .LBB121_43
; %bb.40:
	v_dual_add_nc_u32 v2, s17, v21 :: v_dual_add_nc_u32 v3, s19, v21
	s_mov_b32 s2, 0
	s_mov_b32 s3, exec_lo
	s_delay_alu instid0(VALU_DEP_1) | instskip(NEXT) | instid1(VALU_DEP_2)
	v_mul_lo_u32 v2, v2, s16
	v_mul_lo_u32 v3, v3, s18
	s_delay_alu instid0(VALU_DEP_1) | instskip(NEXT) | instid1(VALU_DEP_1)
	v_sub_nc_u32_e32 v2, v2, v3
	v_cmp_lt_u32_e32 vcc_lo, s20, v2
	v_cmpx_ge_u32_e64 s20, v2
	s_cbranch_execz .LBB121_42
; %bb.41:
	v_dual_add_nc_u32 v2, s22, v21 :: v_dual_add_nc_u32 v3, s42, v21
	s_delay_alu instid0(VALU_DEP_1) | instskip(NEXT) | instid1(VALU_DEP_2)
	v_mul_lo_u32 v2, v2, s21
	v_mul_lo_u32 v3, v3, s23
	s_delay_alu instid0(VALU_DEP_1) | instskip(NEXT) | instid1(VALU_DEP_1)
	v_sub_nc_u32_e32 v2, v2, v3
	v_cmp_lt_u32_e64 s0, s43, v2
	s_and_b32 s2, s0, exec_lo
.LBB121_42:
	s_or_b32 exec_lo, exec_lo, s3
	v_cndmask_b32_e64 v2, 0, 1, vcc_lo
	v_lshlrev_b16 v3, 8, v22
	v_cndmask_b32_e64 v7, 0, 1, s2
	v_mov_b32_e32 v5, 0
	s_delay_alu instid0(VALU_DEP_4) | instskip(NEXT) | instid1(VALU_DEP_4)
	v_lshlrev_b16 v2, 8, v2
	v_bitop3_b16 v3, v6, v3, 0xff bitop3:0xec
	v_bitop3_b16 v6, 0, v9, 0xff bitop3:0xec
	s_delay_alu instid0(VALU_DEP_3) | instskip(NEXT) | instid1(VALU_DEP_3)
	v_bitop3_b16 v1, v1, v2, 0xff bitop3:0xec
	v_and_b32_e32 v3, 0xffff, v3
	v_mov_b32_e32 v2, 0
	s_delay_alu instid0(VALU_DEP_4) | instskip(NEXT) | instid1(VALU_DEP_4)
	v_and_b32_e32 v4, 0xffff, v6
	v_and_b32_e32 v8, 0xffff, v1
	s_delay_alu instid0(VALU_DEP_4)
	v_lshl_or_b32 v7, v7, 16, v3
	v_and_b32_e32 v3, 0xffff, v6
.LBB121_43:
	s_or_b32 exec_lo, exec_lo, s1
	s_delay_alu instid0(VALU_DEP_3) | instskip(NEXT) | instid1(VALU_DEP_1)
	v_dual_add_nc_u32 v1, 2, v30 :: v_dual_lshrrev_b32 v9, 8, v8
                                        ; implicit-def: $vgpr6
	v_cmp_le_u32_e32 vcc_lo, s6, v1
                                        ; implicit-def: $vgpr1
	s_and_saveexec_b32 s0, vcc_lo
	s_delay_alu instid0(SALU_CYCLE_1)
	s_xor_b32 s0, exec_lo, s0
	s_cbranch_execz .LBB121_45
; %bb.44:
	v_lshlrev_b16 v1, 8, v9
	v_and_b32_e32 v9, 0xff0000, v7
	v_perm_b32 v4, v4, v4, 0x3060504
	s_delay_alu instid0(VALU_DEP_3) | instskip(NEXT) | instid1(VALU_DEP_1)
	v_bitop3_b16 v1, v8, v1, 0xff bitop3:0xec
	v_and_b32_e32 v1, 0xffff, v1
	s_delay_alu instid0(VALU_DEP_1)
	v_and_or_b32 v6, 0xff000000, v8, v1
	v_perm_b32 v1, v7, v9, 0x3020504
                                        ; implicit-def: $vgpr9
                                        ; implicit-def: $vgpr8
                                        ; implicit-def: $vgpr7
.LBB121_45:
	s_and_not1_saveexec_b32 s1, s0
	s_cbranch_execz .LBB121_49
; %bb.46:
	v_dual_add_nc_u32 v1, s17, v18 :: v_dual_add_nc_u32 v6, s19, v18
	s_mov_b32 s2, 0
	s_mov_b32 s3, exec_lo
	s_delay_alu instid0(VALU_DEP_1) | instskip(NEXT) | instid1(VALU_DEP_2)
	v_mul_lo_u32 v1, v1, s16
	v_mul_lo_u32 v6, v6, s18
	s_delay_alu instid0(VALU_DEP_1) | instskip(NEXT) | instid1(VALU_DEP_1)
	v_sub_nc_u32_e32 v1, v1, v6
	v_cmp_lt_u32_e32 vcc_lo, s20, v1
	v_cmpx_ge_u32_e64 s20, v1
	s_cbranch_execz .LBB121_48
; %bb.47:
	v_dual_add_nc_u32 v1, s22, v18 :: v_dual_add_nc_u32 v6, s42, v18
	s_delay_alu instid0(VALU_DEP_1) | instskip(NEXT) | instid1(VALU_DEP_2)
	v_mul_lo_u32 v1, v1, s21
	v_mul_lo_u32 v6, v6, s23
	s_delay_alu instid0(VALU_DEP_1) | instskip(NEXT) | instid1(VALU_DEP_1)
	v_sub_nc_u32_e32 v1, v1, v6
	v_cmp_lt_u32_e64 s0, s43, v1
	s_and_b32 s2, s0, exec_lo
.LBB121_48:
	s_or_b32 exec_lo, exec_lo, s3
	v_dual_lshrrev_b32 v1, 24, v8 :: v_dual_lshrrev_b32 v23, 8, v7
	v_cndmask_b32_e64 v6, 0, 1, s2
	v_cndmask_b32_e64 v22, 0, 1, vcc_lo
	v_lshlrev_b16 v9, 8, v9
	s_delay_alu instid0(VALU_DEP_4)
	v_lshlrev_b16 v1, 8, v1
	v_lshrrev_b32_e32 v24, 16, v7
	v_lshlrev_b16 v6, 8, v6
	v_lshlrev_b16 v23, 8, v23
	v_bitop3_b16 v8, v8, v9, 0xff bitop3:0xec
	v_or_b32_e32 v1, v22, v1
	s_delay_alu instid0(VALU_DEP_4) | instskip(NEXT) | instid1(VALU_DEP_4)
	v_bitop3_b16 v6, v24, v6, 0xff bitop3:0xec
	v_bitop3_b16 v7, v7, v23, 0xff bitop3:0xec
	s_delay_alu instid0(VALU_DEP_4) | instskip(NEXT) | instid1(VALU_DEP_3)
	v_and_b32_e32 v8, 0xffff, v8
	v_dual_lshlrev_b32 v1, 16, v1 :: v_dual_lshlrev_b32 v9, 16, v6
	s_delay_alu instid0(VALU_DEP_3) | instskip(NEXT) | instid1(VALU_DEP_2)
	v_and_b32_e32 v7, 0xffff, v7
	v_or_b32_e32 v6, v8, v1
	s_delay_alu instid0(VALU_DEP_2)
	v_or_b32_e32 v1, v7, v9
.LBB121_49:
	s_or_b32 exec_lo, exec_lo, s1
	v_dual_add_nc_u32 v8, 3, v30 :: v_dual_lshrrev_b32 v9, 24, v5
	v_lshrrev_b32_e32 v7, 16, v5
                                        ; implicit-def: $vgpr31
	s_delay_alu instid0(VALU_DEP_2) | instskip(SKIP_2) | instid1(SALU_CYCLE_1)
	v_cmp_le_u32_e32 vcc_lo, s6, v8
	v_lshrrev_b32_e32 v8, 8, v5
                                        ; implicit-def: $vgpr5
	s_and_saveexec_b32 s0, vcc_lo
	s_xor_b32 s0, exec_lo, s0
	s_cbranch_execz .LBB121_51
; %bb.50:
	v_lshlrev_b16 v5, 8, v9
	v_lshlrev_b16 v8, 8, v8
	v_perm_b32 v4, v4, v4, 0x3060504
	v_perm_b32 v3, v3, v3, 0x3060504
                                        ; implicit-def: $vgpr9
	s_delay_alu instid0(VALU_DEP_4) | instskip(SKIP_2) | instid1(VALU_DEP_3)
	v_bitop3_b16 v5, v7, v5, 0xff bitop3:0xec
	v_and_b32_e32 v7, 0xff0000, v6
	v_and_b32_e32 v8, 0xffff, v8
	v_lshlrev_b32_e32 v5, 16, v5
	s_delay_alu instid0(VALU_DEP_3) | instskip(NEXT) | instid1(VALU_DEP_2)
	v_perm_b32 v31, v6, v7, 0x3020504
                                        ; implicit-def: $vgpr6
                                        ; implicit-def: $vgpr7
	v_or_b32_e32 v5, v8, v5
                                        ; implicit-def: $vgpr8
.LBB121_51:
	s_and_not1_saveexec_b32 s1, s0
	s_cbranch_execz .LBB121_55
; %bb.52:
	v_dual_add_nc_u32 v5, s17, v19 :: v_dual_add_nc_u32 v22, s19, v19
	s_mov_b32 s2, 0
	s_mov_b32 s3, exec_lo
	s_delay_alu instid0(VALU_DEP_1) | instskip(NEXT) | instid1(VALU_DEP_2)
	v_mul_lo_u32 v5, v5, s16
	v_mul_lo_u32 v22, v22, s18
	s_delay_alu instid0(VALU_DEP_1) | instskip(NEXT) | instid1(VALU_DEP_1)
	v_sub_nc_u32_e32 v5, v5, v22
	v_cmp_lt_u32_e32 vcc_lo, s20, v5
	v_cmpx_ge_u32_e64 s20, v5
	s_cbranch_execz .LBB121_54
; %bb.53:
	v_dual_add_nc_u32 v5, s22, v19 :: v_dual_add_nc_u32 v22, s42, v19
	s_delay_alu instid0(VALU_DEP_1) | instskip(NEXT) | instid1(VALU_DEP_2)
	v_mul_lo_u32 v5, v5, s21
	v_mul_lo_u32 v22, v22, s23
	s_delay_alu instid0(VALU_DEP_1) | instskip(NEXT) | instid1(VALU_DEP_1)
	v_sub_nc_u32_e32 v5, v5, v22
	v_cmp_lt_u32_e64 s0, s43, v5
	s_and_b32 s2, s0, exec_lo
.LBB121_54:
	s_or_b32 exec_lo, exec_lo, s3
	v_cndmask_b32_e64 v5, 0, 1, vcc_lo
	v_dual_lshrrev_b32 v22, 8, v6 :: v_dual_lshrrev_b32 v24, 16, v6
	v_cndmask_b32_e64 v23, 0, 1, s2
	v_lshlrev_b16 v9, 8, v9
	s_delay_alu instid0(VALU_DEP_4) | instskip(NEXT) | instid1(VALU_DEP_4)
	v_lshlrev_b16 v5, 8, v5
	v_lshlrev_b16 v22, 8, v22
	;; [unrolled: 1-line block ×3, first 2 shown]
	s_delay_alu instid0(VALU_DEP_4) | instskip(NEXT) | instid1(VALU_DEP_4)
	v_bitop3_b16 v7, v7, v9, 0xff bitop3:0xec
	v_bitop3_b16 v5, v24, v5, 0xff bitop3:0xec
	s_delay_alu instid0(VALU_DEP_4) | instskip(NEXT) | instid1(VALU_DEP_3)
	v_bitop3_b16 v6, v6, v22, 0xff bitop3:0xec
	v_dual_lshlrev_b32 v7, 16, v7 :: v_dual_bitop2_b32 v8, v23, v8 bitop3:0x54
	s_delay_alu instid0(VALU_DEP_3) | instskip(NEXT) | instid1(VALU_DEP_3)
	v_lshlrev_b32_e32 v5, 16, v5
	v_and_b32_e32 v6, 0xffff, v6
	s_delay_alu instid0(VALU_DEP_3) | instskip(NEXT) | instid1(VALU_DEP_2)
	v_and_b32_e32 v8, 0xffff, v8
	v_or_b32_e32 v31, v6, v5
	s_delay_alu instid0(VALU_DEP_2)
	v_or_b32_e32 v5, v8, v7
.LBB121_55:
	s_or_b32 exec_lo, exec_lo, s1
	v_dual_add_nc_u32 v6, 4, v30 :: v_dual_lshrrev_b32 v22, 8, v4
	v_dual_lshrrev_b32 v7, 16, v4 :: v_dual_lshrrev_b32 v23, 24, v4
	s_delay_alu instid0(VALU_DEP_3) | instskip(NEXT) | instid1(VALU_DEP_3)
	v_dual_lshrrev_b32 v9, 24, v5 :: v_dual_lshrrev_b32 v8, 16, v5
	v_cmp_le_u32_e32 vcc_lo, s6, v6
                                        ; implicit-def: $vgpr4
                                        ; implicit-def: $vgpr6
	s_and_saveexec_b32 s0, vcc_lo
	s_delay_alu instid0(SALU_CYCLE_1)
	s_xor_b32 s0, exec_lo, s0
	s_cbranch_execz .LBB121_57
; %bb.56:
	v_lshlrev_b16 v4, 8, v23
	v_lshlrev_b16 v6, 8, v22
	;; [unrolled: 1-line block ×3, first 2 shown]
	v_perm_b32 v3, v3, v3, 0x3060504
                                        ; implicit-def: $vgpr22
                                        ; implicit-def: $vgpr23
	s_delay_alu instid0(VALU_DEP_4) | instskip(NEXT) | instid1(VALU_DEP_4)
	v_bitop3_b16 v4, v7, v4, 0xff bitop3:0xec
	v_and_b32_e32 v6, 0xffff, v6
	s_delay_alu instid0(VALU_DEP_4) | instskip(NEXT) | instid1(VALU_DEP_3)
	v_bitop3_b16 v7, v8, v9, 0xff bitop3:0xec
                                        ; implicit-def: $vgpr9
	v_lshlrev_b32_e32 v8, 16, v4
	s_delay_alu instid0(VALU_DEP_2) | instskip(NEXT) | instid1(VALU_DEP_2)
	v_perm_b32 v4, v7, v5, 0x5040c00
                                        ; implicit-def: $vgpr5
                                        ; implicit-def: $vgpr7
	v_or_b32_e32 v6, v6, v8
                                        ; implicit-def: $vgpr8
.LBB121_57:
	s_and_not1_saveexec_b32 s1, s0
	s_cbranch_execz .LBB121_61
; %bb.58:
	v_dual_add_nc_u32 v4, s17, v16 :: v_dual_add_nc_u32 v6, s19, v16
	s_mov_b32 s2, 0
	s_mov_b32 s3, exec_lo
	s_delay_alu instid0(VALU_DEP_1) | instskip(NEXT) | instid1(VALU_DEP_2)
	v_mul_lo_u32 v4, v4, s16
	v_mul_lo_u32 v6, v6, s18
	s_delay_alu instid0(VALU_DEP_1) | instskip(NEXT) | instid1(VALU_DEP_1)
	v_sub_nc_u32_e32 v4, v4, v6
	v_cmp_lt_u32_e32 vcc_lo, s20, v4
	v_cmpx_ge_u32_e64 s20, v4
	s_cbranch_execz .LBB121_60
; %bb.59:
	v_dual_add_nc_u32 v4, s22, v16 :: v_dual_add_nc_u32 v6, s42, v16
	s_delay_alu instid0(VALU_DEP_1) | instskip(NEXT) | instid1(VALU_DEP_2)
	v_mul_lo_u32 v4, v4, s21
	v_mul_lo_u32 v6, v6, s23
	s_delay_alu instid0(VALU_DEP_1) | instskip(NEXT) | instid1(VALU_DEP_1)
	v_sub_nc_u32_e32 v4, v4, v6
	v_cmp_lt_u32_e64 s0, s43, v4
	s_and_b32 s2, s0, exec_lo
.LBB121_60:
	s_or_b32 exec_lo, exec_lo, s3
	v_cndmask_b32_e64 v4, 0, 1, s2
	v_cndmask_b32_e64 v6, 0, 1, vcc_lo
	v_lshlrev_b16 v23, 8, v23
	v_lshlrev_b16 v22, 8, v22
	;; [unrolled: 1-line block ×4, first 2 shown]
	s_delay_alu instid0(VALU_DEP_4) | instskip(NEXT) | instid1(VALU_DEP_4)
	v_bitop3_b16 v7, v7, v23, 0xff bitop3:0xec
	v_or_b32_e32 v6, v6, v22
	s_delay_alu instid0(VALU_DEP_4) | instskip(NEXT) | instid1(VALU_DEP_4)
	v_bitop3_b16 v8, v8, v9, 0xff bitop3:0xec
	v_bitop3_b16 v4, v5, v4, 0xff bitop3:0xec
	s_delay_alu instid0(VALU_DEP_4) | instskip(NEXT) | instid1(VALU_DEP_4)
	v_lshlrev_b32_e32 v5, 16, v7
	v_and_b32_e32 v6, 0xffff, v6
	s_delay_alu instid0(VALU_DEP_4) | instskip(NEXT) | instid1(VALU_DEP_4)
	v_lshlrev_b32_e32 v7, 16, v8
	v_and_b32_e32 v4, 0xffff, v4
	s_delay_alu instid0(VALU_DEP_3) | instskip(NEXT) | instid1(VALU_DEP_2)
	v_or_b32_e32 v6, v6, v5
	v_or_b32_e32 v4, v4, v7
.LBB121_61:
	s_or_b32 exec_lo, exec_lo, s1
	s_delay_alu instid0(VALU_DEP_1) | instskip(NEXT) | instid1(VALU_DEP_2)
	v_dual_add_nc_u32 v5, 5, v30 :: v_dual_lshrrev_b32 v22, 8, v4
	v_dual_lshrrev_b32 v8, 16, v6 :: v_dual_lshrrev_b32 v9, 24, v6
                                        ; implicit-def: $vgpr7
	s_delay_alu instid0(VALU_DEP_2) | instskip(SKIP_1) | instid1(SALU_CYCLE_1)
	v_cmp_le_u32_e32 vcc_lo, s6, v5
                                        ; implicit-def: $vgpr5
	s_and_saveexec_b32 s0, vcc_lo
	s_xor_b32 s0, exec_lo, s0
	s_cbranch_execz .LBB121_63
; %bb.62:
	v_lshlrev_b16 v5, 8, v22
	v_lshlrev_b16 v7, 8, v9
	v_perm_b32 v3, v3, v3, 0x3060504
                                        ; implicit-def: $vgpr9
                                        ; implicit-def: $vgpr22
	s_delay_alu instid0(VALU_DEP_3) | instskip(NEXT) | instid1(VALU_DEP_3)
	v_bitop3_b16 v5, v4, v5, 0xff bitop3:0xec
	v_bitop3_b16 v7, v8, v7, 0xff bitop3:0xec
                                        ; implicit-def: $vgpr8
	s_delay_alu instid0(VALU_DEP_2) | instskip(NEXT) | instid1(VALU_DEP_2)
	v_and_b32_e32 v5, 0xffff, v5
	v_perm_b32 v7, v7, v6, 0x5040c00
                                        ; implicit-def: $vgpr6
	s_delay_alu instid0(VALU_DEP_2)
	v_and_or_b32 v5, 0xff000000, v4, v5
                                        ; implicit-def: $vgpr4
.LBB121_63:
	s_and_not1_saveexec_b32 s1, s0
	s_cbranch_execz .LBB121_67
; %bb.64:
	v_dual_add_nc_u32 v5, s17, v17 :: v_dual_add_nc_u32 v7, s19, v17
	s_mov_b32 s2, 0
	s_mov_b32 s3, exec_lo
	s_delay_alu instid0(VALU_DEP_1) | instskip(NEXT) | instid1(VALU_DEP_2)
	v_mul_lo_u32 v5, v5, s16
	v_mul_lo_u32 v7, v7, s18
	s_delay_alu instid0(VALU_DEP_1) | instskip(NEXT) | instid1(VALU_DEP_1)
	v_sub_nc_u32_e32 v5, v5, v7
	v_cmp_lt_u32_e32 vcc_lo, s20, v5
	v_cmpx_ge_u32_e64 s20, v5
	s_cbranch_execz .LBB121_66
; %bb.65:
	v_dual_add_nc_u32 v5, s22, v17 :: v_dual_add_nc_u32 v7, s42, v17
	s_delay_alu instid0(VALU_DEP_1) | instskip(NEXT) | instid1(VALU_DEP_2)
	v_mul_lo_u32 v5, v5, s21
	v_mul_lo_u32 v7, v7, s23
	s_delay_alu instid0(VALU_DEP_1) | instskip(NEXT) | instid1(VALU_DEP_1)
	v_sub_nc_u32_e32 v5, v5, v7
	v_cmp_lt_u32_e64 s0, s43, v5
	s_and_b32 s2, s0, exec_lo
.LBB121_66:
	s_or_b32 exec_lo, exec_lo, s3
	v_cndmask_b32_e64 v5, 0, 1, vcc_lo
	v_lshrrev_b32_e32 v7, 24, v4
	v_cndmask_b32_e64 v23, 0, 1, s2
	v_lshlrev_b16 v9, 8, v9
	v_lshlrev_b16 v22, 8, v22
	;; [unrolled: 1-line block ×4, first 2 shown]
	s_delay_alu instid0(VALU_DEP_4) | instskip(NEXT) | instid1(VALU_DEP_4)
	v_bitop3_b16 v8, v8, v9, 0xff bitop3:0xec
	v_bitop3_b16 v4, v4, v22, 0xff bitop3:0xec
	s_delay_alu instid0(VALU_DEP_4) | instskip(NEXT) | instid1(VALU_DEP_3)
	v_bitop3_b16 v5, v6, v5, 0xff bitop3:0xec
	v_dual_lshlrev_b32 v7, 16, v8 :: v_dual_bitop2_b32 v6, v23, v7 bitop3:0x54
	s_delay_alu instid0(VALU_DEP_3) | instskip(NEXT) | instid1(VALU_DEP_3)
	v_and_b32_e32 v4, 0xffff, v4
	v_and_b32_e32 v5, 0xffff, v5
	s_delay_alu instid0(VALU_DEP_1) | instskip(NEXT) | instid1(VALU_DEP_1)
	v_dual_lshlrev_b32 v6, 16, v6 :: v_dual_bitop2_b32 v7, v5, v7 bitop3:0x54
	v_or_b32_e32 v5, v4, v6
.LBB121_67:
	s_or_b32 exec_lo, exec_lo, s1
	s_delay_alu instid0(VALU_DEP_2) | instskip(NEXT) | instid1(VALU_DEP_1)
	v_dual_add_nc_u32 v4, 6, v30 :: v_dual_lshrrev_b32 v6, 8, v7
                                        ; implicit-def: $vgpr32
	v_cmp_le_u32_e32 vcc_lo, s6, v4
                                        ; implicit-def: $vgpr4
	s_and_saveexec_b32 s0, vcc_lo
	s_delay_alu instid0(SALU_CYCLE_1)
	s_xor_b32 s0, exec_lo, s0
	s_cbranch_execz .LBB121_69
; %bb.68:
	v_lshlrev_b16 v4, 8, v6
	v_and_b32_e32 v6, 0xff0000, v5
	v_perm_b32 v3, v3, v3, 0x3060504
	s_delay_alu instid0(VALU_DEP_3) | instskip(NEXT) | instid1(VALU_DEP_3)
	v_bitop3_b16 v4, v7, v4, 0xff bitop3:0xec
	v_perm_b32 v32, v5, v6, 0x3020504
                                        ; implicit-def: $vgpr6
                                        ; implicit-def: $vgpr5
	s_delay_alu instid0(VALU_DEP_2) | instskip(NEXT) | instid1(VALU_DEP_1)
	v_and_b32_e32 v4, 0xffff, v4
	v_and_or_b32 v4, 0xff000000, v7, v4
                                        ; implicit-def: $vgpr7
.LBB121_69:
	s_and_not1_saveexec_b32 s1, s0
	s_cbranch_execz .LBB121_73
; %bb.70:
	v_dual_add_nc_u32 v4, s17, v14 :: v_dual_add_nc_u32 v8, s19, v14
	s_mov_b32 s2, 0
	s_mov_b32 s3, exec_lo
	s_delay_alu instid0(VALU_DEP_1) | instskip(NEXT) | instid1(VALU_DEP_2)
	v_mul_lo_u32 v4, v4, s16
	v_mul_lo_u32 v8, v8, s18
	s_delay_alu instid0(VALU_DEP_1) | instskip(NEXT) | instid1(VALU_DEP_1)
	v_sub_nc_u32_e32 v4, v4, v8
	v_cmp_lt_u32_e32 vcc_lo, s20, v4
	v_cmpx_ge_u32_e64 s20, v4
	s_cbranch_execz .LBB121_72
; %bb.71:
	v_dual_add_nc_u32 v4, s22, v14 :: v_dual_add_nc_u32 v8, s42, v14
	s_delay_alu instid0(VALU_DEP_1) | instskip(NEXT) | instid1(VALU_DEP_2)
	v_mul_lo_u32 v4, v4, s21
	v_mul_lo_u32 v8, v8, s23
	s_delay_alu instid0(VALU_DEP_1) | instskip(NEXT) | instid1(VALU_DEP_1)
	v_sub_nc_u32_e32 v4, v4, v8
	v_cmp_lt_u32_e64 s0, s43, v4
	s_and_b32 s2, s0, exec_lo
.LBB121_72:
	s_or_b32 exec_lo, exec_lo, s3
	v_dual_lshrrev_b32 v4, 24, v7 :: v_dual_lshrrev_b32 v22, 8, v5
	v_cndmask_b32_e64 v8, 0, 1, s2
	v_cndmask_b32_e64 v9, 0, 1, vcc_lo
	v_lshlrev_b16 v6, 8, v6
	s_delay_alu instid0(VALU_DEP_4)
	v_lshlrev_b16 v4, 8, v4
	v_lshrrev_b32_e32 v23, 16, v5
	v_lshlrev_b16 v8, 8, v8
	v_lshlrev_b16 v22, 8, v22
	v_bitop3_b16 v6, v7, v6, 0xff bitop3:0xec
	v_or_b32_e32 v4, v9, v4
	s_delay_alu instid0(VALU_DEP_4) | instskip(NEXT) | instid1(VALU_DEP_4)
	v_bitop3_b16 v7, v23, v8, 0xff bitop3:0xec
	v_bitop3_b16 v5, v5, v22, 0xff bitop3:0xec
	s_delay_alu instid0(VALU_DEP_4) | instskip(NEXT) | instid1(VALU_DEP_3)
	v_and_b32_e32 v6, 0xffff, v6
	v_dual_lshlrev_b32 v4, 16, v4 :: v_dual_lshlrev_b32 v7, 16, v7
	s_delay_alu instid0(VALU_DEP_3) | instskip(NEXT) | instid1(VALU_DEP_2)
	v_and_b32_e32 v5, 0xffff, v5
	v_or_b32_e32 v4, v6, v4
	s_delay_alu instid0(VALU_DEP_2)
	v_or_b32_e32 v32, v5, v7
.LBB121_73:
	s_or_b32 exec_lo, exec_lo, s1
	v_dual_add_nc_u32 v7, 7, v30 :: v_dual_lshrrev_b32 v5, 8, v3
	v_lshrrev_b32_e32 v6, 16, v3
                                        ; implicit-def: $vgpr33
	s_delay_alu instid0(VALU_DEP_2) | instskip(SKIP_2) | instid1(SALU_CYCLE_1)
	v_cmp_le_u32_e32 vcc_lo, s6, v7
	v_lshrrev_b32_e32 v7, 24, v3
                                        ; implicit-def: $vgpr3
	s_and_saveexec_b32 s0, vcc_lo
	s_xor_b32 s0, exec_lo, s0
	s_cbranch_execz .LBB121_75
; %bb.74:
	s_delay_alu instid0(VALU_DEP_1) | instskip(SKIP_1) | instid1(VALU_DEP_2)
	v_lshlrev_b16 v3, 8, v7
	v_lshlrev_b16 v5, 8, v5
                                        ; implicit-def: $vgpr7
	v_bitop3_b16 v3, v6, v3, 0xff bitop3:0xec
	v_and_b32_e32 v6, 0xff0000, v4
	s_delay_alu instid0(VALU_DEP_3) | instskip(NEXT) | instid1(VALU_DEP_3)
	v_and_b32_e32 v5, 0xffff, v5
	v_lshlrev_b32_e32 v3, 16, v3
	s_delay_alu instid0(VALU_DEP_3) | instskip(NEXT) | instid1(VALU_DEP_2)
	v_perm_b32 v33, v4, v6, 0x3020504
                                        ; implicit-def: $vgpr4
                                        ; implicit-def: $vgpr6
	v_or_b32_e32 v3, v5, v3
                                        ; implicit-def: $vgpr5
.LBB121_75:
	s_and_not1_saveexec_b32 s1, s0
	s_cbranch_execz .LBB121_79
; %bb.76:
	v_dual_add_nc_u32 v3, s17, v15 :: v_dual_add_nc_u32 v8, s19, v15
	s_mov_b32 s2, 0
	s_mov_b32 s3, exec_lo
	s_delay_alu instid0(VALU_DEP_1) | instskip(NEXT) | instid1(VALU_DEP_2)
	v_mul_lo_u32 v3, v3, s16
	v_mul_lo_u32 v8, v8, s18
	s_delay_alu instid0(VALU_DEP_1) | instskip(NEXT) | instid1(VALU_DEP_1)
	v_sub_nc_u32_e32 v3, v3, v8
	v_cmp_lt_u32_e32 vcc_lo, s20, v3
	v_cmpx_ge_u32_e64 s20, v3
	s_cbranch_execz .LBB121_78
; %bb.77:
	v_dual_add_nc_u32 v3, s22, v15 :: v_dual_add_nc_u32 v8, s42, v15
	s_delay_alu instid0(VALU_DEP_1) | instskip(NEXT) | instid1(VALU_DEP_2)
	v_mul_lo_u32 v3, v3, s21
	v_mul_lo_u32 v8, v8, s23
	s_delay_alu instid0(VALU_DEP_1) | instskip(NEXT) | instid1(VALU_DEP_1)
	v_sub_nc_u32_e32 v3, v3, v8
	v_cmp_lt_u32_e64 s0, s43, v3
	s_and_b32 s2, s0, exec_lo
.LBB121_78:
	s_or_b32 exec_lo, exec_lo, s3
	v_cndmask_b32_e64 v3, 0, 1, vcc_lo
	v_dual_lshrrev_b32 v8, 8, v4 :: v_dual_lshrrev_b32 v22, 16, v4
	v_cndmask_b32_e64 v9, 0, 1, s2
	v_lshlrev_b16 v7, 8, v7
	s_delay_alu instid0(VALU_DEP_4) | instskip(NEXT) | instid1(VALU_DEP_4)
	v_lshlrev_b16 v3, 8, v3
	v_lshlrev_b16 v8, 8, v8
	;; [unrolled: 1-line block ×3, first 2 shown]
	s_delay_alu instid0(VALU_DEP_4) | instskip(NEXT) | instid1(VALU_DEP_4)
	v_bitop3_b16 v6, v6, v7, 0xff bitop3:0xec
	v_bitop3_b16 v3, v22, v3, 0xff bitop3:0xec
	s_delay_alu instid0(VALU_DEP_4) | instskip(NEXT) | instid1(VALU_DEP_3)
	v_bitop3_b16 v4, v4, v8, 0xff bitop3:0xec
	v_dual_lshlrev_b32 v6, 16, v6 :: v_dual_bitop2_b32 v5, v9, v5 bitop3:0x54
	s_delay_alu instid0(VALU_DEP_3) | instskip(NEXT) | instid1(VALU_DEP_3)
	v_lshlrev_b32_e32 v3, 16, v3
	v_and_b32_e32 v4, 0xffff, v4
	s_delay_alu instid0(VALU_DEP_3) | instskip(NEXT) | instid1(VALU_DEP_2)
	v_and_b32_e32 v5, 0xffff, v5
	v_or_b32_e32 v33, v4, v3
	s_delay_alu instid0(VALU_DEP_2)
	v_or_b32_e32 v3, v5, v6
.LBB121_79:
	s_or_b32 exec_lo, exec_lo, s1
	s_delay_alu instid0(VALU_DEP_1) | instskip(SKIP_2) | instid1(VALU_DEP_3)
	v_dual_add_nc_u32 v4, 8, v30 :: v_dual_lshrrev_b32 v5, 16, v3
	v_dual_lshrrev_b32 v6, 24, v3 :: v_dual_lshrrev_b32 v9, 24, v2
	v_dual_lshrrev_b32 v7, 16, v2 :: v_dual_lshrrev_b32 v8, 8, v2
	v_cmp_le_u32_e32 vcc_lo, s6, v4
                                        ; implicit-def: $vgpr2
                                        ; implicit-def: $vgpr4
	s_and_saveexec_b32 s0, vcc_lo
	s_delay_alu instid0(SALU_CYCLE_1)
	s_xor_b32 s0, exec_lo, s0
	s_cbranch_execz .LBB121_81
; %bb.80:
	v_lshlrev_b16 v2, 8, v9
	v_lshlrev_b16 v4, 8, v8
	;; [unrolled: 1-line block ×3, first 2 shown]
	v_perm_b32 v1, v1, v1, 0x3060504
                                        ; implicit-def: $vgpr9
                                        ; implicit-def: $vgpr8
	s_delay_alu instid0(VALU_DEP_4) | instskip(NEXT) | instid1(VALU_DEP_4)
	v_bitop3_b16 v2, v7, v2, 0xff bitop3:0xec
	v_and_b32_e32 v4, 0xffff, v4
	s_delay_alu instid0(VALU_DEP_4) | instskip(NEXT) | instid1(VALU_DEP_3)
	v_bitop3_b16 v5, v5, v6, 0xff bitop3:0xec
                                        ; implicit-def: $vgpr6
                                        ; implicit-def: $vgpr7
	v_lshlrev_b32_e32 v2, 16, v2
	s_delay_alu instid0(VALU_DEP_1) | instskip(NEXT) | instid1(VALU_DEP_3)
	v_or_b32_e32 v4, v4, v2
	v_perm_b32 v2, v5, v3, 0x5040c00
                                        ; implicit-def: $vgpr3
                                        ; implicit-def: $vgpr5
.LBB121_81:
	s_and_not1_saveexec_b32 s1, s0
	s_cbranch_execz .LBB121_85
; %bb.82:
	v_dual_add_nc_u32 v2, s17, v12 :: v_dual_add_nc_u32 v4, s19, v12
	s_mov_b32 s2, 0
	s_mov_b32 s3, exec_lo
	s_delay_alu instid0(VALU_DEP_1) | instskip(NEXT) | instid1(VALU_DEP_2)
	v_mul_lo_u32 v2, v2, s16
	v_mul_lo_u32 v4, v4, s18
	s_delay_alu instid0(VALU_DEP_1) | instskip(NEXT) | instid1(VALU_DEP_1)
	v_sub_nc_u32_e32 v2, v2, v4
	v_cmp_lt_u32_e32 vcc_lo, s20, v2
	v_cmpx_ge_u32_e64 s20, v2
	s_cbranch_execz .LBB121_84
; %bb.83:
	v_dual_add_nc_u32 v2, s22, v12 :: v_dual_add_nc_u32 v4, s42, v12
	s_delay_alu instid0(VALU_DEP_1) | instskip(NEXT) | instid1(VALU_DEP_2)
	v_mul_lo_u32 v2, v2, s21
	v_mul_lo_u32 v4, v4, s23
	s_delay_alu instid0(VALU_DEP_1) | instskip(NEXT) | instid1(VALU_DEP_1)
	v_sub_nc_u32_e32 v2, v2, v4
	v_cmp_lt_u32_e64 s0, s43, v2
	s_and_b32 s2, s0, exec_lo
.LBB121_84:
	s_or_b32 exec_lo, exec_lo, s3
	v_cndmask_b32_e64 v2, 0, 1, s2
	v_cndmask_b32_e64 v4, 0, 1, vcc_lo
	v_lshlrev_b16 v9, 8, v9
	v_lshlrev_b16 v8, 8, v8
	;; [unrolled: 1-line block ×4, first 2 shown]
	s_delay_alu instid0(VALU_DEP_4) | instskip(NEXT) | instid1(VALU_DEP_4)
	v_bitop3_b16 v7, v7, v9, 0xff bitop3:0xec
	v_or_b32_e32 v4, v4, v8
	s_delay_alu instid0(VALU_DEP_4) | instskip(NEXT) | instid1(VALU_DEP_4)
	v_bitop3_b16 v5, v5, v6, 0xff bitop3:0xec
	v_bitop3_b16 v2, v3, v2, 0xff bitop3:0xec
	s_delay_alu instid0(VALU_DEP_4) | instskip(NEXT) | instid1(VALU_DEP_4)
	v_lshlrev_b32_e32 v3, 16, v7
	v_and_b32_e32 v4, 0xffff, v4
	s_delay_alu instid0(VALU_DEP_4) | instskip(NEXT) | instid1(VALU_DEP_4)
	v_lshlrev_b32_e32 v5, 16, v5
	v_and_b32_e32 v2, 0xffff, v2
	s_delay_alu instid0(VALU_DEP_3) | instskip(NEXT) | instid1(VALU_DEP_2)
	v_or_b32_e32 v4, v4, v3
	v_or_b32_e32 v2, v2, v5
.LBB121_85:
	s_or_b32 exec_lo, exec_lo, s1
	s_delay_alu instid0(VALU_DEP_2) | instskip(NEXT) | instid1(VALU_DEP_2)
	v_dual_add_nc_u32 v3, 9, v30 :: v_dual_lshrrev_b32 v8, 24, v4
	v_dual_lshrrev_b32 v7, 8, v2 :: v_dual_lshrrev_b32 v6, 16, v4
                                        ; implicit-def: $vgpr5
	s_delay_alu instid0(VALU_DEP_2) | instskip(SKIP_1) | instid1(SALU_CYCLE_1)
	v_cmp_le_u32_e32 vcc_lo, s6, v3
                                        ; implicit-def: $vgpr3
	s_and_saveexec_b32 s0, vcc_lo
	s_xor_b32 s0, exec_lo, s0
	s_cbranch_execz .LBB121_87
; %bb.86:
	v_lshlrev_b16 v3, 8, v7
	v_lshlrev_b16 v5, 8, v8
	v_perm_b32 v1, v1, v1, 0x3060504
                                        ; implicit-def: $vgpr7
                                        ; implicit-def: $vgpr8
	s_delay_alu instid0(VALU_DEP_3) | instskip(NEXT) | instid1(VALU_DEP_3)
	v_bitop3_b16 v3, v2, v3, 0xff bitop3:0xec
	v_bitop3_b16 v5, v6, v5, 0xff bitop3:0xec
                                        ; implicit-def: $vgpr6
	s_delay_alu instid0(VALU_DEP_2) | instskip(NEXT) | instid1(VALU_DEP_2)
	v_and_b32_e32 v3, 0xffff, v3
	v_perm_b32 v5, v5, v4, 0x5040c00
                                        ; implicit-def: $vgpr4
	s_delay_alu instid0(VALU_DEP_2)
	v_and_or_b32 v3, 0xff000000, v2, v3
                                        ; implicit-def: $vgpr2
.LBB121_87:
	s_and_not1_saveexec_b32 s1, s0
	s_cbranch_execz .LBB121_91
; %bb.88:
	v_dual_add_nc_u32 v3, s17, v13 :: v_dual_add_nc_u32 v5, s19, v13
	s_mov_b32 s2, 0
	s_mov_b32 s3, exec_lo
	s_delay_alu instid0(VALU_DEP_1) | instskip(NEXT) | instid1(VALU_DEP_2)
	v_mul_lo_u32 v3, v3, s16
	v_mul_lo_u32 v5, v5, s18
	s_delay_alu instid0(VALU_DEP_1) | instskip(NEXT) | instid1(VALU_DEP_1)
	v_sub_nc_u32_e32 v3, v3, v5
	v_cmp_lt_u32_e32 vcc_lo, s20, v3
	v_cmpx_ge_u32_e64 s20, v3
	s_cbranch_execz .LBB121_90
; %bb.89:
	v_dual_add_nc_u32 v3, s22, v13 :: v_dual_add_nc_u32 v5, s42, v13
	s_delay_alu instid0(VALU_DEP_1) | instskip(NEXT) | instid1(VALU_DEP_2)
	v_mul_lo_u32 v3, v3, s21
	v_mul_lo_u32 v5, v5, s23
	s_delay_alu instid0(VALU_DEP_1) | instskip(NEXT) | instid1(VALU_DEP_1)
	v_sub_nc_u32_e32 v3, v3, v5
	v_cmp_lt_u32_e64 s0, s43, v3
	s_and_b32 s2, s0, exec_lo
.LBB121_90:
	s_or_b32 exec_lo, exec_lo, s3
	v_cndmask_b32_e64 v3, 0, 1, vcc_lo
	v_lshrrev_b32_e32 v5, 24, v2
	v_cndmask_b32_e64 v9, 0, 1, s2
	v_lshlrev_b16 v8, 8, v8
	v_lshlrev_b16 v7, 8, v7
	;; [unrolled: 1-line block ×4, first 2 shown]
	s_delay_alu instid0(VALU_DEP_4) | instskip(NEXT) | instid1(VALU_DEP_4)
	v_bitop3_b16 v6, v6, v8, 0xff bitop3:0xec
	v_bitop3_b16 v2, v2, v7, 0xff bitop3:0xec
	s_delay_alu instid0(VALU_DEP_4) | instskip(NEXT) | instid1(VALU_DEP_3)
	v_bitop3_b16 v3, v4, v3, 0xff bitop3:0xec
	v_dual_lshlrev_b32 v5, 16, v6 :: v_dual_bitop2_b32 v4, v9, v5 bitop3:0x54
	s_delay_alu instid0(VALU_DEP_3) | instskip(NEXT) | instid1(VALU_DEP_3)
	v_and_b32_e32 v2, 0xffff, v2
	v_and_b32_e32 v3, 0xffff, v3
	s_delay_alu instid0(VALU_DEP_1) | instskip(NEXT) | instid1(VALU_DEP_1)
	v_dual_lshlrev_b32 v4, 16, v4 :: v_dual_bitop2_b32 v5, v3, v5 bitop3:0x54
	v_or_b32_e32 v3, v2, v4
.LBB121_91:
	s_or_b32 exec_lo, exec_lo, s1
	s_delay_alu instid0(VALU_DEP_2) | instskip(NEXT) | instid1(VALU_DEP_1)
	v_dual_add_nc_u32 v2, 10, v30 :: v_dual_lshrrev_b32 v4, 8, v5
                                        ; implicit-def: $vgpr35
	v_cmp_le_u32_e32 vcc_lo, s6, v2
                                        ; implicit-def: $vgpr2
	s_and_saveexec_b32 s0, vcc_lo
	s_delay_alu instid0(SALU_CYCLE_1)
	s_xor_b32 s0, exec_lo, s0
	s_cbranch_execz .LBB121_93
; %bb.92:
	v_lshlrev_b16 v2, 8, v4
	v_and_b32_e32 v4, 0xff0000, v3
	v_perm_b32 v1, v1, v1, 0x3060504
	s_delay_alu instid0(VALU_DEP_3) | instskip(NEXT) | instid1(VALU_DEP_3)
	v_bitop3_b16 v2, v5, v2, 0xff bitop3:0xec
	v_perm_b32 v35, v3, v4, 0x3020504
                                        ; implicit-def: $vgpr4
                                        ; implicit-def: $vgpr3
	s_delay_alu instid0(VALU_DEP_2) | instskip(NEXT) | instid1(VALU_DEP_1)
	v_and_b32_e32 v2, 0xffff, v2
	v_and_or_b32 v2, 0xff000000, v5, v2
                                        ; implicit-def: $vgpr5
.LBB121_93:
	s_and_not1_saveexec_b32 s1, s0
	s_cbranch_execz .LBB121_97
; %bb.94:
	v_dual_add_nc_u32 v2, s17, v10 :: v_dual_add_nc_u32 v6, s19, v10
	s_mov_b32 s2, 0
	s_mov_b32 s3, exec_lo
	s_delay_alu instid0(VALU_DEP_1) | instskip(NEXT) | instid1(VALU_DEP_2)
	v_mul_lo_u32 v2, v2, s16
	v_mul_lo_u32 v6, v6, s18
	s_delay_alu instid0(VALU_DEP_1) | instskip(NEXT) | instid1(VALU_DEP_1)
	v_sub_nc_u32_e32 v2, v2, v6
	v_cmp_lt_u32_e32 vcc_lo, s20, v2
	v_cmpx_ge_u32_e64 s20, v2
	s_cbranch_execz .LBB121_96
; %bb.95:
	v_dual_add_nc_u32 v2, s22, v10 :: v_dual_add_nc_u32 v6, s42, v10
	s_delay_alu instid0(VALU_DEP_1) | instskip(NEXT) | instid1(VALU_DEP_2)
	v_mul_lo_u32 v2, v2, s21
	v_mul_lo_u32 v6, v6, s23
	s_delay_alu instid0(VALU_DEP_1) | instskip(NEXT) | instid1(VALU_DEP_1)
	v_sub_nc_u32_e32 v2, v2, v6
	v_cmp_lt_u32_e64 s0, s43, v2
	s_and_b32 s2, s0, exec_lo
.LBB121_96:
	s_or_b32 exec_lo, exec_lo, s3
	v_dual_lshrrev_b32 v2, 24, v5 :: v_dual_lshrrev_b32 v8, 8, v3
	v_cndmask_b32_e64 v6, 0, 1, s2
	v_cndmask_b32_e64 v7, 0, 1, vcc_lo
	v_lshlrev_b16 v4, 8, v4
	s_delay_alu instid0(VALU_DEP_4)
	v_lshlrev_b16 v2, 8, v2
	v_lshrrev_b32_e32 v9, 16, v3
	v_lshlrev_b16 v6, 8, v6
	v_lshlrev_b16 v8, 8, v8
	v_bitop3_b16 v4, v5, v4, 0xff bitop3:0xec
	v_or_b32_e32 v2, v7, v2
	s_delay_alu instid0(VALU_DEP_4) | instskip(NEXT) | instid1(VALU_DEP_4)
	v_bitop3_b16 v5, v9, v6, 0xff bitop3:0xec
	v_bitop3_b16 v3, v3, v8, 0xff bitop3:0xec
	s_delay_alu instid0(VALU_DEP_4) | instskip(NEXT) | instid1(VALU_DEP_3)
	v_and_b32_e32 v4, 0xffff, v4
	v_dual_lshlrev_b32 v2, 16, v2 :: v_dual_lshlrev_b32 v5, 16, v5
	s_delay_alu instid0(VALU_DEP_3) | instskip(NEXT) | instid1(VALU_DEP_2)
	v_and_b32_e32 v3, 0xffff, v3
	v_or_b32_e32 v2, v4, v2
	s_delay_alu instid0(VALU_DEP_2)
	v_or_b32_e32 v35, v3, v5
.LBB121_97:
	s_or_b32 exec_lo, exec_lo, s1
	v_dual_mov_b32 v34, 0 :: v_dual_add_nc_u32 v3, 11, v30
	s_mov_b32 s0, exec_lo
                                        ; implicit-def: $vgpr36
	s_delay_alu instid0(VALU_DEP_1)
	v_cmpx_le_u32_e64 s6, v3
	s_xor_b32 s0, exec_lo, s0
; %bb.98:
	v_and_b32_e32 v3, 0xff0000, v2
	v_perm_b32 v1, v1, v1, 0x3060504
	s_delay_alu instid0(VALU_DEP_2)
	v_perm_b32 v36, v2, v3, 0x3020504
                                        ; implicit-def: $vgpr2
; %bb.99:
	s_and_not1_saveexec_b32 s1, s0
	s_cbranch_execz .LBB121_103
; %bb.100:
	v_dual_add_nc_u32 v3, s17, v11 :: v_dual_add_nc_u32 v4, s19, v11
	s_mov_b32 s2, 0
	s_mov_b32 s3, exec_lo
	s_delay_alu instid0(VALU_DEP_1) | instskip(NEXT) | instid1(VALU_DEP_2)
	v_mul_lo_u32 v3, v3, s16
	v_mul_lo_u32 v4, v4, s18
	s_delay_alu instid0(VALU_DEP_1) | instskip(NEXT) | instid1(VALU_DEP_1)
	v_sub_nc_u32_e32 v3, v3, v4
	v_cmp_lt_u32_e32 vcc_lo, s20, v3
	v_cmpx_ge_u32_e64 s20, v3
	s_cbranch_execz .LBB121_102
; %bb.101:
	v_dual_add_nc_u32 v3, s22, v11 :: v_dual_add_nc_u32 v4, s42, v11
	s_delay_alu instid0(VALU_DEP_1) | instskip(NEXT) | instid1(VALU_DEP_2)
	v_mul_lo_u32 v3, v3, s21
	v_mul_lo_u32 v4, v4, s23
	s_delay_alu instid0(VALU_DEP_1) | instskip(NEXT) | instid1(VALU_DEP_1)
	v_sub_nc_u32_e32 v3, v3, v4
	v_cmp_lt_u32_e64 s0, s43, v3
	s_and_b32 s2, s0, exec_lo
.LBB121_102:
	s_or_b32 exec_lo, exec_lo, s3
	v_cndmask_b32_e64 v3, 0, 1, vcc_lo
	v_dual_lshrrev_b32 v4, 8, v2 :: v_dual_lshrrev_b32 v5, 16, v2
	v_cndmask_b32_e64 v34, 0, 1, s2
	s_delay_alu instid0(VALU_DEP_3) | instskip(NEXT) | instid1(VALU_DEP_3)
	v_lshlrev_b16 v3, 8, v3
	v_lshlrev_b16 v4, 8, v4
	s_delay_alu instid0(VALU_DEP_2) | instskip(NEXT) | instid1(VALU_DEP_2)
	v_bitop3_b16 v3, v5, v3, 0xff bitop3:0xec
	v_bitop3_b16 v2, v2, v4, 0xff bitop3:0xec
	s_delay_alu instid0(VALU_DEP_2) | instskip(NEXT) | instid1(VALU_DEP_2)
	v_lshlrev_b32_e32 v3, 16, v3
	v_and_b32_e32 v2, 0xffff, v2
	s_delay_alu instid0(VALU_DEP_1)
	v_or_b32_e32 v36, v2, v3
.LBB121_103:
	s_or_b32 exec_lo, exec_lo, s1
	v_dual_add_nc_u32 v4, 12, v30 :: v_dual_lshrrev_b32 v2, 8, v1
	v_dual_lshrrev_b32 v3, 16, v1 :: v_dual_lshrrev_b32 v1, 24, v1
	s_mov_b32 s0, exec_lo
                                        ; implicit-def: $vgpr37
	s_delay_alu instid0(VALU_DEP_2)
	v_cmpx_le_u32_e64 s6, v4
	s_xor_b32 s0, exec_lo, s0
; %bb.104:
	s_delay_alu instid0(VALU_DEP_2) | instskip(SKIP_1) | instid1(VALU_DEP_2)
	v_lshlrev_b16 v1, 8, v1
	v_lshlrev_b16 v2, 8, v2
	v_bitop3_b16 v1, v3, v1, 0xff bitop3:0xec
	s_delay_alu instid0(VALU_DEP_2) | instskip(NEXT) | instid1(VALU_DEP_2)
	v_and_b32_e32 v2, 0xffff, v2
                                        ; implicit-def: $vgpr3
	v_lshlrev_b32_e32 v1, 16, v1
	s_delay_alu instid0(VALU_DEP_1)
	v_or_b32_e32 v37, v2, v1
                                        ; implicit-def: $vgpr1
                                        ; implicit-def: $vgpr2
; %bb.105:
	s_or_saveexec_b32 s1, s0
	v_mov_b32_e32 v38, 0
	s_xor_b32 exec_lo, exec_lo, s1
	s_cbranch_execz .LBB121_109
; %bb.106:
	v_dual_add_nc_u32 v4, s19, v28 :: v_dual_add_nc_u32 v5, s17, v28
	s_mov_b32 s2, 0
	s_mov_b32 s3, exec_lo
	s_delay_alu instid0(VALU_DEP_1) | instskip(NEXT) | instid1(VALU_DEP_2)
	v_mul_lo_u32 v4, v4, s18
	v_mul_lo_u32 v5, v5, s16
	s_delay_alu instid0(VALU_DEP_1) | instskip(NEXT) | instid1(VALU_DEP_1)
	v_sub_nc_u32_e32 v4, v5, v4
	v_cmp_lt_u32_e32 vcc_lo, s20, v4
	v_cmpx_ge_u32_e64 s20, v4
	s_cbranch_execz .LBB121_108
; %bb.107:
	v_dual_add_nc_u32 v4, s42, v28 :: v_dual_add_nc_u32 v5, s22, v28
	s_delay_alu instid0(VALU_DEP_1) | instskip(NEXT) | instid1(VALU_DEP_2)
	v_mul_lo_u32 v4, v4, s23
	v_mul_lo_u32 v5, v5, s21
	s_delay_alu instid0(VALU_DEP_1) | instskip(NEXT) | instid1(VALU_DEP_1)
	v_sub_nc_u32_e32 v4, v5, v4
	v_cmp_lt_u32_e64 s0, s43, v4
	s_and_b32 s2, s0, exec_lo
.LBB121_108:
	s_or_b32 exec_lo, exec_lo, s3
	v_cndmask_b32_e64 v4, 0, 1, vcc_lo
	v_lshlrev_b16 v1, 8, v1
	v_lshlrev_b16 v2, 8, v2
	v_cndmask_b32_e64 v38, 0, 1, s2
	s_delay_alu instid0(VALU_DEP_3) | instskip(NEXT) | instid1(VALU_DEP_1)
	v_bitop3_b16 v1, v3, v1, 0xff bitop3:0xec
	v_dual_lshlrev_b32 v1, 16, v1 :: v_dual_bitop2_b32 v2, v4, v2 bitop3:0x54
	s_delay_alu instid0(VALU_DEP_1) | instskip(NEXT) | instid1(VALU_DEP_1)
	v_and_b32_e32 v2, 0xffff, v2
	v_or_b32_e32 v37, v2, v1
.LBB121_109:
	s_or_b32 exec_lo, exec_lo, s1
.LBB121_110:
	v_and_b32_e32 v61, 0xff, v31
	s_delay_alu instid0(VALU_DEP_2)
	v_bfe_u32 v62, v37, 8, 8
	v_bfe_u32 v59, v31, 8, 8
	;; [unrolled: 1-line block ×4, first 2 shown]
	v_dual_lshrrev_b32 v44, 24, v37 :: v_dual_lshrrev_b32 v43, 24, v31
	v_and_b32_e32 v57, 0xff, v32
	v_and_b32_e32 v55, 0xff, v33
	v_bfe_u32 v56, v32, 8, 8
	v_add3_u32 v1, v59, v61, v58
	v_add3_u32 v2, v60, v62, v44
	v_bfe_u32 v53, v33, 8, 8
	v_bfe_u32 v54, v32, 16, 8
	;; [unrolled: 1-line block ×3, first 2 shown]
	v_dual_lshrrev_b32 v42, 24, v32 :: v_dual_lshrrev_b32 v41, 24, v33
	v_add3_u32 v1, v1, v43, v55
	v_add3_u32 v2, v2, v57, v56
	v_and_b32_e32 v52, 0xff, v35
	v_and_b32_e32 v48, 0xff, v36
	v_bfe_u32 v50, v35, 8, 8
	v_add3_u32 v1, v1, v53, v51
	v_add3_u32 v2, v2, v54, v42
	v_bfe_u32 v47, v36, 8, 8
	v_bfe_u32 v49, v35, 16, 8
	;; [unrolled: 1-line block ×3, first 2 shown]
	v_dual_lshrrev_b32 v40, 24, v35 :: v_dual_lshrrev_b32 v39, 24, v36
	v_add3_u32 v1, v1, v41, v48
	v_add3_u32 v2, v2, v52, v50
	v_mbcnt_lo_u32_b32 v63, -1, 0
	v_and_b32_e32 v45, 0xff, v34
	v_and_b32_e32 v3, 0xff, v37
	;; [unrolled: 1-line block ×3, first 2 shown]
	v_add3_u32 v1, v1, v47, v46
	v_add3_u32 v2, v2, v49, v40
	v_dual_lshrrev_b32 v64, 5, v0 :: v_dual_bitop2_b32 v65, 15, v63 bitop3:0x40
	v_and_b32_e32 v67, 16, v63
	s_delay_alu instid0(VALU_DEP_4) | instskip(NEXT) | instid1(VALU_DEP_4)
	v_add3_u32 v68, v1, v39, v3
	v_add3_u32 v69, v2, v45, v4
	s_wait_xcnt 0x0
	v_cmp_eq_u32_e64 s1, 0, v65
	v_cmp_lt_u32_e64 s0, 1, v65
	v_cmp_lt_u32_e64 s2, 3, v65
	v_or_b32_e32 v66, 31, v0
	s_cmp_lg_u32 s33, 0
	s_mov_b32 s3, -1
	v_cmp_lt_u32_e32 vcc_lo, 7, v65
	s_cbranch_scc0 .LBB121_131
; %bb.111:
	v_mov_b32_dpp v1, v69 row_shr:1 row_mask:0xf bank_mask:0xf
	v_mov_b32_dpp v2, v68 row_shr:1 row_mask:0xf bank_mask:0xf
	s_mov_b32 s3, exec_lo
	s_delay_alu instid0(VALU_DEP_1) | instskip(NEXT) | instid1(VALU_DEP_1)
	v_dual_add_nc_u32 v1, v1, v69 :: v_dual_add_nc_u32 v2, v2, v68
	v_dual_cndmask_b32 v1, v1, v69, s1 :: v_dual_cndmask_b32 v2, v2, v68, s1
	s_delay_alu instid0(VALU_DEP_1) | instskip(NEXT) | instid1(VALU_DEP_2)
	v_mov_b32_dpp v3, v1 row_shr:2 row_mask:0xf bank_mask:0xf
	v_mov_b32_dpp v4, v2 row_shr:2 row_mask:0xf bank_mask:0xf
	s_delay_alu instid0(VALU_DEP_1) | instskip(NEXT) | instid1(VALU_DEP_1)
	v_dual_add_nc_u32 v3, v1, v3 :: v_dual_add_nc_u32 v4, v2, v4
	v_dual_cndmask_b32 v1, v1, v3, s0 :: v_dual_cndmask_b32 v2, v2, v4, s0
	s_delay_alu instid0(VALU_DEP_1) | instskip(NEXT) | instid1(VALU_DEP_2)
	v_mov_b32_dpp v3, v1 row_shr:4 row_mask:0xf bank_mask:0xf
	v_mov_b32_dpp v4, v2 row_shr:4 row_mask:0xf bank_mask:0xf
	;; [unrolled: 6-line block ×3, first 2 shown]
	s_delay_alu instid0(VALU_DEP_1) | instskip(NEXT) | instid1(VALU_DEP_1)
	v_dual_add_nc_u32 v3, v1, v3 :: v_dual_add_nc_u32 v4, v2, v4
	v_dual_cndmask_b32 v1, v1, v3 :: v_dual_cndmask_b32 v2, v2, v4
	v_cmp_eq_u32_e32 vcc_lo, 0, v67
	ds_swizzle_b32 v3, v1 offset:swizzle(BROADCAST,32,15)
	ds_swizzle_b32 v4, v2 offset:swizzle(BROADCAST,32,15)
	s_wait_dscnt 0x0
	v_dual_add_nc_u32 v3, v1, v3 :: v_dual_add_nc_u32 v4, v2, v4
	v_cmpx_eq_u32_e64 v0, v66
; %bb.112:
	s_delay_alu instid0(VALU_DEP_2) | instskip(NEXT) | instid1(VALU_DEP_3)
	v_dual_lshlrev_b32 v5, 3, v64 :: v_dual_cndmask_b32 v7, v3, v1, vcc_lo
	v_cndmask_b32_e32 v6, v4, v2, vcc_lo
	ds_store_b64 v5, v[6:7]
; %bb.113:
	s_or_b32 exec_lo, exec_lo, s3
	s_delay_alu instid0(SALU_CYCLE_1)
	s_mov_b32 s3, exec_lo
	s_wait_dscnt 0x0
	s_barrier_signal -1
	s_barrier_wait -1
	v_cmpx_gt_u32_e32 8, v0
	s_cbranch_execz .LBB121_115
; %bb.114:
	v_dual_lshlrev_b32 v5, 3, v0 :: v_dual_bitop2_b32 v22, 7, v63 bitop3:0x40
	ds_load_b64 v[6:7], v5
	v_cmp_eq_u32_e64 s2, 0, v22
	s_wait_dscnt 0x0
	v_mov_b32_dpp v8, v6 row_shr:1 row_mask:0xf bank_mask:0xf
	v_mov_b32_dpp v9, v7 row_shr:1 row_mask:0xf bank_mask:0xf
	s_delay_alu instid0(VALU_DEP_1) | instskip(NEXT) | instid1(VALU_DEP_1)
	v_dual_add_nc_u32 v8, v8, v6 :: v_dual_add_nc_u32 v9, v9, v7
	v_dual_cndmask_b32 v6, v8, v6, s2 :: v_dual_cndmask_b32 v7, v9, v7, s2
	v_cmp_lt_u32_e64 s2, 1, v22
	s_delay_alu instid0(VALU_DEP_2) | instskip(NEXT) | instid1(VALU_DEP_3)
	v_mov_b32_dpp v8, v6 row_shr:2 row_mask:0xf bank_mask:0xf
	v_mov_b32_dpp v9, v7 row_shr:2 row_mask:0xf bank_mask:0xf
	s_delay_alu instid0(VALU_DEP_1) | instskip(NEXT) | instid1(VALU_DEP_1)
	v_dual_add_nc_u32 v8, v6, v8 :: v_dual_add_nc_u32 v9, v7, v9
	v_dual_cndmask_b32 v6, v6, v8, s2 :: v_dual_cndmask_b32 v7, v7, v9, s2
	v_cmp_lt_u32_e64 s2, 3, v22
	s_delay_alu instid0(VALU_DEP_2) | instskip(NEXT) | instid1(VALU_DEP_3)
	v_mov_b32_dpp v8, v6 row_shr:4 row_mask:0xf bank_mask:0xf
	v_mov_b32_dpp v9, v7 row_shr:4 row_mask:0xf bank_mask:0xf
	s_delay_alu instid0(VALU_DEP_1) | instskip(NEXT) | instid1(VALU_DEP_1)
	v_dual_cndmask_b32 v8, 0, v8, s2 :: v_dual_cndmask_b32 v9, 0, v9, s2
	v_dual_add_nc_u32 v6, v8, v6 :: v_dual_add_nc_u32 v7, v9, v7
	ds_store_b64 v5, v[6:7]
.LBB121_115:
	s_or_b32 exec_lo, exec_lo, s3
	v_dual_cndmask_b32 v1, v3, v1 :: v_dual_cndmask_b32 v2, v4, v2
	s_mov_b32 s3, exec_lo
	v_cmp_gt_u32_e32 vcc_lo, 32, v0
	s_wait_dscnt 0x0
	s_barrier_signal -1
	s_barrier_wait -1
                                        ; implicit-def: $vgpr22
	v_cmpx_lt_u32_e32 31, v0
	s_cbranch_execz .LBB121_117
; %bb.116:
	v_lshl_add_u32 v3, v64, 3, -8
	ds_load_b64 v[22:23], v3
	s_wait_dscnt 0x0
	v_dual_add_nc_u32 v1, v23, v1 :: v_dual_add_nc_u32 v2, v22, v2
.LBB121_117:
	s_or_b32 exec_lo, exec_lo, s3
	v_sub_co_u32 v3, s2, v63, 1
	s_delay_alu instid0(VALU_DEP_1) | instskip(NEXT) | instid1(VALU_DEP_1)
	v_cmp_gt_i32_e64 s3, 0, v3
	v_cndmask_b32_e64 v3, v3, v63, s3
	s_delay_alu instid0(VALU_DEP_1)
	v_lshlrev_b32_e32 v3, 2, v3
	ds_bpermute_b32 v70, v3, v2
	ds_bpermute_b32 v1, v3, v1
	s_and_saveexec_b32 s3, vcc_lo
	s_cbranch_execz .LBB121_136
; %bb.118:
	v_mov_b32_e32 v5, 0
	ds_load_b64 v[2:3], v5 offset:56
	s_and_saveexec_b32 s7, s2
	s_cbranch_execz .LBB121_120
; %bb.119:
	s_add_co_i32 s8, s33, 32
	s_mov_b32 s9, 0
	v_mov_b32_e32 v4, 1
	s_lshl_b64 s[8:9], s[8:9], 4
	s_wait_kmcnt 0x0
	s_add_nc_u64 s[8:9], s[4:5], s[8:9]
	s_delay_alu instid0(SALU_CYCLE_1)
	v_mov_b64_e32 v[6:7], s[8:9]
	s_wait_dscnt 0x0
	;;#ASMSTART
	global_store_b128 v[6:7], v[2:5] off scope:SCOPE_DEV	
s_wait_storecnt 0x0
	;;#ASMEND
.LBB121_120:
	s_or_b32 exec_lo, exec_lo, s7
	v_xad_u32 v24, v63, -1, s33
	s_mov_b32 s8, 0
	s_mov_b32 s7, exec_lo
	s_delay_alu instid0(VALU_DEP_1) | instskip(SKIP_1) | instid1(VALU_DEP_1)
	v_add_nc_u32_e32 v4, 32, v24
	s_wait_kmcnt 0x0
	v_lshl_add_u64 v[4:5], v[4:5], 4, s[4:5]
	;;#ASMSTART
	global_load_b128 v[6:9], v[4:5] off scope:SCOPE_DEV	
s_wait_loadcnt 0x0
	;;#ASMEND
	v_and_b32_e32 v9, 0xff, v8
	s_delay_alu instid0(VALU_DEP_1)
	v_cmpx_eq_u16_e32 0, v9
	s_cbranch_execz .LBB121_123
.LBB121_121:                            ; =>This Inner Loop Header: Depth=1
	;;#ASMSTART
	global_load_b128 v[6:9], v[4:5] off scope:SCOPE_DEV	
s_wait_loadcnt 0x0
	;;#ASMEND
	v_and_b32_e32 v9, 0xff, v8
	s_delay_alu instid0(VALU_DEP_1) | instskip(SKIP_1) | instid1(SALU_CYCLE_1)
	v_cmp_ne_u16_e32 vcc_lo, 0, v9
	s_or_b32 s8, vcc_lo, s8
	s_and_not1_b32 exec_lo, exec_lo, s8
	s_cbranch_execnz .LBB121_121
; %bb.122:
	s_or_b32 exec_lo, exec_lo, s8
.LBB121_123:
	s_delay_alu instid0(SALU_CYCLE_1)
	s_or_b32 exec_lo, exec_lo, s7
	v_cmp_ne_u32_e32 vcc_lo, 31, v63
	v_lshlrev_b32_e64 v72, v63, -1
	v_lshl_or_b32 v79, v63, 2, 64
	v_dual_add_nc_u32 v76, 4, v63 :: v_dual_add_nc_u32 v80, 16, v63
	v_add_co_ci_u32_e64 v4, null, 0, v63, vcc_lo
	s_delay_alu instid0(VALU_DEP_1)
	v_lshlrev_b32_e32 v71, 2, v4
	v_and_b32_e32 v4, 0xff, v8
	ds_bpermute_b32 v5, v71, v7
	v_cmp_eq_u16_e32 vcc_lo, 2, v4
	s_wait_dscnt 0x0
	v_add_nc_u32_e32 v5, v5, v7
	ds_bpermute_b32 v4, v71, v6
	v_and_b32_e32 v9, vcc_lo, v72
	v_cmp_gt_u32_e32 vcc_lo, 30, v63
	v_cndmask_b32_e64 v25, 0, 2, vcc_lo
	s_delay_alu instid0(VALU_DEP_1) | instskip(SKIP_3) | instid1(VALU_DEP_1)
	v_add_lshl_u32 v73, v25, v63, 2
	s_wait_dscnt 0x0
	v_add_nc_u32_e32 v4, v4, v6
	v_or_b32_e32 v9, 0x80000000, v9
	v_ctz_i32_b32_e32 v9, v9
	s_delay_alu instid0(VALU_DEP_1) | instskip(NEXT) | instid1(VALU_DEP_4)
	v_cmp_lt_u32_e32 vcc_lo, v63, v9
	v_dual_cndmask_b32 v5, v7, v5 :: v_dual_cndmask_b32 v4, v6, v4
	v_cmp_gt_u32_e32 vcc_lo, 28, v63
	ds_bpermute_b32 v6, v73, v5
	ds_bpermute_b32 v7, v73, v4
	v_add_nc_u32_e32 v74, 2, v63
	v_cndmask_b32_e64 v25, 0, 4, vcc_lo
	s_delay_alu instid0(VALU_DEP_1) | instskip(SKIP_4) | instid1(VALU_DEP_2)
	v_add_lshl_u32 v75, v25, v63, 2
	s_wait_dscnt 0x1
	v_add_nc_u32_e32 v6, v5, v6
	v_cmp_gt_u32_e32 vcc_lo, v74, v9
	s_wait_dscnt 0x0
	v_dual_add_nc_u32 v7, v4, v7 :: v_dual_cndmask_b32 v5, v6, v5, vcc_lo
	s_delay_alu instid0(VALU_DEP_1)
	v_cndmask_b32_e32 v4, v7, v4, vcc_lo
	v_cmp_gt_u32_e32 vcc_lo, 24, v63
	ds_bpermute_b32 v6, v75, v5
	ds_bpermute_b32 v7, v75, v4
	v_cndmask_b32_e64 v25, 0, 8, vcc_lo
	v_cmp_gt_u32_e32 vcc_lo, v76, v9
	s_delay_alu instid0(VALU_DEP_2) | instskip(SKIP_3) | instid1(VALU_DEP_1)
	v_add_lshl_u32 v77, v25, v63, 2
	s_wait_dscnt 0x1
	v_dual_mov_b32 v25, 0 :: v_dual_add_nc_u32 v6, v5, v6
	s_wait_dscnt 0x0
	v_dual_add_nc_u32 v7, v4, v7 :: v_dual_cndmask_b32 v5, v6, v5, vcc_lo
	s_delay_alu instid0(VALU_DEP_1) | instskip(SKIP_4) | instid1(VALU_DEP_1)
	v_cndmask_b32_e32 v4, v7, v4, vcc_lo
	ds_bpermute_b32 v6, v77, v5
	ds_bpermute_b32 v7, v77, v4
	s_wait_dscnt 0x1
	v_dual_add_nc_u32 v78, 8, v63 :: v_dual_add_nc_u32 v6, v5, v6
	v_cmp_gt_u32_e32 vcc_lo, v78, v9
	s_wait_dscnt 0x0
	s_delay_alu instid0(VALU_DEP_2) | instskip(NEXT) | instid1(VALU_DEP_1)
	v_dual_add_nc_u32 v7, v4, v7 :: v_dual_cndmask_b32 v5, v6, v5, vcc_lo
	v_cndmask_b32_e32 v4, v7, v4, vcc_lo
	v_cmp_le_u32_e32 vcc_lo, v80, v9
	ds_bpermute_b32 v7, v79, v5
	ds_bpermute_b32 v6, v79, v4
	s_wait_dscnt 0x0
	v_dual_cndmask_b32 v7, 0, v7 :: v_dual_cndmask_b32 v6, 0, v6
	s_delay_alu instid0(VALU_DEP_1)
	v_dual_add_nc_u32 v7, v7, v5 :: v_dual_add_nc_u32 v6, v6, v4
	s_branch .LBB121_127
.LBB121_124:                            ;   in Loop: Header=BB121_127 Depth=1
	s_or_b32 exec_lo, exec_lo, s8
.LBB121_125:                            ;   in Loop: Header=BB121_127 Depth=1
	s_delay_alu instid0(SALU_CYCLE_1)
	s_or_b32 exec_lo, exec_lo, s7
	ds_bpermute_b32 v9, v71, v6
	ds_bpermute_b32 v26, v71, v7
	v_and_b32_e32 v27, 0xff, v8
	v_subrev_nc_u32_e32 v24, 32, v24
	s_mov_b32 s7, 0
	s_delay_alu instid0(VALU_DEP_2) | instskip(SKIP_1) | instid1(VALU_DEP_1)
	v_cmp_eq_u16_e32 vcc_lo, 2, v27
	v_and_or_b32 v27, vcc_lo, v72, 0x80000000
	v_ctz_i32_b32_e32 v27, v27
	s_wait_dscnt 0x0
	v_dual_add_nc_u32 v9, v9, v6 :: v_dual_add_nc_u32 v26, v26, v7
	s_delay_alu instid0(VALU_DEP_2) | instskip(NEXT) | instid1(VALU_DEP_2)
	v_cmp_lt_u32_e32 vcc_lo, v63, v27
	v_dual_cndmask_b32 v7, v7, v26 :: v_dual_cndmask_b32 v6, v6, v9
	v_cmp_gt_u32_e32 vcc_lo, v74, v27
	ds_bpermute_b32 v26, v73, v7
	ds_bpermute_b32 v9, v73, v6
	s_wait_dscnt 0x0
	v_dual_add_nc_u32 v26, v7, v26 :: v_dual_add_nc_u32 v9, v6, v9
	s_delay_alu instid0(VALU_DEP_1)
	v_dual_cndmask_b32 v7, v26, v7 :: v_dual_cndmask_b32 v6, v9, v6
	v_cmp_gt_u32_e32 vcc_lo, v76, v27
	ds_bpermute_b32 v26, v75, v7
	ds_bpermute_b32 v9, v75, v6
	s_wait_dscnt 0x0
	v_dual_add_nc_u32 v26, v7, v26 :: v_dual_add_nc_u32 v9, v6, v9
	s_delay_alu instid0(VALU_DEP_1)
	;; [unrolled: 7-line block ×3, first 2 shown]
	v_dual_cndmask_b32 v7, v26, v7 :: v_dual_cndmask_b32 v6, v9, v6
	v_cmp_le_u32_e32 vcc_lo, v80, v27
	ds_bpermute_b32 v26, v79, v7
	ds_bpermute_b32 v9, v79, v6
	s_wait_dscnt 0x0
	v_dual_cndmask_b32 v26, 0, v26 :: v_dual_cndmask_b32 v9, 0, v9
	s_delay_alu instid0(VALU_DEP_1) | instskip(NEXT) | instid1(VALU_DEP_2)
	v_add3_u32 v7, v7, v5, v26
	v_add3_u32 v6, v6, v4, v9
.LBB121_126:                            ;   in Loop: Header=BB121_127 Depth=1
	s_and_b32 vcc_lo, exec_lo, s7
	s_cbranch_vccnz .LBB121_132
.LBB121_127:                            ; =>This Loop Header: Depth=1
                                        ;     Child Loop BB121_130 Depth 2
	v_and_b32_e32 v4, 0xff, v8
	s_mov_b32 s7, -1
                                        ; implicit-def: $vgpr8
	s_delay_alu instid0(VALU_DEP_1)
	v_cmp_ne_u16_e32 vcc_lo, 2, v4
	v_mov_b64_e32 v[4:5], v[6:7]
                                        ; implicit-def: $vgpr6_vgpr7
	s_cmp_lg_u32 vcc_lo, exec_lo
	s_cbranch_scc1 .LBB121_126
; %bb.128:                              ;   in Loop: Header=BB121_127 Depth=1
	v_lshl_add_u64 v[26:27], v[24:25], 4, s[4:5]
	;;#ASMSTART
	global_load_b128 v[6:9], v[26:27] off scope:SCOPE_DEV	
s_wait_loadcnt 0x0
	;;#ASMEND
	v_and_b32_e32 v9, 0xff, v8
	s_mov_b32 s7, exec_lo
	s_delay_alu instid0(VALU_DEP_1)
	v_cmpx_eq_u16_e32 0, v9
	s_cbranch_execz .LBB121_125
; %bb.129:                              ;   in Loop: Header=BB121_127 Depth=1
	s_mov_b32 s8, 0
.LBB121_130:                            ;   Parent Loop BB121_127 Depth=1
                                        ; =>  This Inner Loop Header: Depth=2
	;;#ASMSTART
	global_load_b128 v[6:9], v[26:27] off scope:SCOPE_DEV	
s_wait_loadcnt 0x0
	;;#ASMEND
	v_and_b32_e32 v9, 0xff, v8
	s_delay_alu instid0(VALU_DEP_1) | instskip(SKIP_1) | instid1(SALU_CYCLE_1)
	v_cmp_ne_u16_e32 vcc_lo, 0, v9
	s_or_b32 s8, vcc_lo, s8
	s_and_not1_b32 exec_lo, exec_lo, s8
	s_cbranch_execnz .LBB121_130
	s_branch .LBB121_124
.LBB121_131:
                                        ; implicit-def: $vgpr1
                                        ; implicit-def: $vgpr4
                                        ; implicit-def: $vgpr6
                                        ; implicit-def: $vgpr8
                                        ; implicit-def: $vgpr22
	s_and_b32 vcc_lo, exec_lo, s3
	s_cbranch_vccnz .LBB121_137
	s_branch .LBB121_146
.LBB121_132:
	s_and_saveexec_b32 s7, s2
	s_cbranch_execz .LBB121_134
; %bb.133:
	s_add_co_i32 s8, s33, 32
	s_mov_b32 s9, 0
	v_dual_mov_b32 v8, 2 :: v_dual_mov_b32 v9, 0
	s_lshl_b64 s[8:9], s[8:9], 4
	v_dual_add_nc_u32 v7, v5, v3 :: v_dual_add_nc_u32 v6, v4, v2
	s_add_nc_u64 s[8:9], s[4:5], s[8:9]
	s_delay_alu instid0(SALU_CYCLE_1)
	v_mov_b64_e32 v[24:25], s[8:9]
	;;#ASMSTART
	global_store_b128 v[24:25], v[6:9] off scope:SCOPE_DEV	
s_wait_storecnt 0x0
	;;#ASMEND
	ds_store_b128 v9, v[2:5] offset:13312
.LBB121_134:
	s_or_b32 exec_lo, exec_lo, s7
	v_cmp_eq_u32_e32 vcc_lo, 0, v0
	s_and_b32 exec_lo, exec_lo, vcc_lo
; %bb.135:
	v_mov_b32_e32 v2, 0
	ds_store_b64 v2, v[4:5] offset:56
.LBB121_136:
	s_or_b32 exec_lo, exec_lo, s3
	s_wait_dscnt 0x0
	v_dual_mov_b32 v2, 0 :: v_dual_cndmask_b32 v1, v1, v23, s2
	s_barrier_signal -1
	s_barrier_wait -1
	ds_load_b64 v[8:9], v2 offset:56
	s_wait_dscnt 0x0
	s_barrier_signal -1
	s_barrier_wait -1
	ds_load_b128 v[2:5], v2 offset:13312
	v_cndmask_b32_e64 v6, v70, v22, s2
	v_cmp_eq_u32_e32 vcc_lo, 0, v0
	s_delay_alu instid0(VALU_DEP_2) | instskip(SKIP_2) | instid1(VALU_DEP_2)
	v_dual_add_nc_u32 v1, v9, v1 :: v_dual_add_nc_u32 v7, v8, v6
	s_wait_dscnt 0x0
	v_mov_b32_e32 v6, v5
	v_dual_cndmask_b32 v1, v1, v9 :: v_dual_cndmask_b32 v22, v7, v8
	v_mov_b32_e32 v8, v3
	s_branch .LBB121_146
.LBB121_137:
	v_mov_b32_dpp v1, v68 row_shr:1 row_mask:0xf bank_mask:0xf
	v_mov_b32_dpp v2, v69 row_shr:1 row_mask:0xf bank_mask:0xf
	v_cmp_lt_u32_e32 vcc_lo, 3, v65
	s_delay_alu instid0(VALU_DEP_2) | instskip(NEXT) | instid1(VALU_DEP_1)
	v_dual_add_nc_u32 v1, v1, v68 :: v_dual_add_nc_u32 v2, v2, v69
	v_dual_cndmask_b32 v1, v1, v68, s1 :: v_dual_cndmask_b32 v2, v2, v69, s1
	s_mov_b32 s1, exec_lo
	s_delay_alu instid0(VALU_DEP_1) | instskip(NEXT) | instid1(VALU_DEP_2)
	v_mov_b32_dpp v3, v1 row_shr:2 row_mask:0xf bank_mask:0xf
	v_mov_b32_dpp v4, v2 row_shr:2 row_mask:0xf bank_mask:0xf
	s_delay_alu instid0(VALU_DEP_1) | instskip(NEXT) | instid1(VALU_DEP_1)
	v_dual_add_nc_u32 v3, v1, v3 :: v_dual_add_nc_u32 v4, v2, v4
	v_dual_cndmask_b32 v1, v1, v3, s0 :: v_dual_cndmask_b32 v2, v2, v4, s0
	s_delay_alu instid0(VALU_DEP_1) | instskip(NEXT) | instid1(VALU_DEP_2)
	v_mov_b32_dpp v3, v1 row_shr:4 row_mask:0xf bank_mask:0xf
	v_mov_b32_dpp v4, v2 row_shr:4 row_mask:0xf bank_mask:0xf
	s_delay_alu instid0(VALU_DEP_1) | instskip(NEXT) | instid1(VALU_DEP_1)
	v_dual_add_nc_u32 v3, v1, v3 :: v_dual_add_nc_u32 v4, v2, v4
	v_dual_cndmask_b32 v3, v1, v3 :: v_dual_cndmask_b32 v2, v2, v4
	v_cmp_lt_u32_e32 vcc_lo, 7, v65
	s_delay_alu instid0(VALU_DEP_2) | instskip(NEXT) | instid1(VALU_DEP_3)
	v_mov_b32_dpp v1, v3 row_shr:8 row_mask:0xf bank_mask:0xf
	v_mov_b32_dpp v4, v2 row_shr:8 row_mask:0xf bank_mask:0xf
	s_delay_alu instid0(VALU_DEP_1) | instskip(NEXT) | instid1(VALU_DEP_1)
	v_dual_add_nc_u32 v5, v3, v1 :: v_dual_add_nc_u32 v1, v2, v4
	v_cndmask_b32_e32 v1, v2, v1, vcc_lo
	s_delay_alu instid0(VALU_DEP_2)
	v_cndmask_b32_e32 v2, v3, v5, vcc_lo
	v_cmp_eq_u32_e32 vcc_lo, 0, v67
	ds_swizzle_b32 v4, v2 offset:swizzle(BROADCAST,32,15)
	s_wait_dscnt 0x0
	v_add_nc_u32_e32 v4, v2, v4
	ds_swizzle_b32 v3, v1 offset:swizzle(BROADCAST,32,15)
	s_wait_dscnt 0x0
	v_add_nc_u32_e32 v3, v1, v3
	v_cmpx_eq_u32_e64 v0, v66
; %bb.138:
	s_delay_alu instid0(VALU_DEP_2)
	v_dual_cndmask_b32 v6, v4, v2 :: v_dual_cndmask_b32 v7, v3, v1
	v_lshlrev_b32_e32 v5, 3, v64
	ds_store_b64 v5, v[6:7]
; %bb.139:
	s_or_b32 exec_lo, exec_lo, s1
	s_delay_alu instid0(SALU_CYCLE_1)
	s_mov_b32 s1, exec_lo
	s_wait_dscnt 0x0
	s_barrier_signal -1
	s_barrier_wait -1
	v_cmpx_gt_u32_e32 8, v0
	s_cbranch_execz .LBB121_141
; %bb.140:
	v_dual_lshlrev_b32 v5, 3, v0 :: v_dual_bitop2_b32 v22, 7, v63 bitop3:0x40
	ds_load_b64 v[6:7], v5
	v_cmp_eq_u32_e64 s0, 0, v22
	s_wait_dscnt 0x0
	v_mov_b32_dpp v8, v6 row_shr:1 row_mask:0xf bank_mask:0xf
	v_mov_b32_dpp v9, v7 row_shr:1 row_mask:0xf bank_mask:0xf
	s_delay_alu instid0(VALU_DEP_1) | instskip(NEXT) | instid1(VALU_DEP_1)
	v_dual_add_nc_u32 v8, v8, v6 :: v_dual_add_nc_u32 v9, v9, v7
	v_dual_cndmask_b32 v6, v8, v6, s0 :: v_dual_cndmask_b32 v7, v9, v7, s0
	v_cmp_lt_u32_e64 s0, 1, v22
	s_delay_alu instid0(VALU_DEP_2) | instskip(NEXT) | instid1(VALU_DEP_3)
	v_mov_b32_dpp v8, v6 row_shr:2 row_mask:0xf bank_mask:0xf
	v_mov_b32_dpp v9, v7 row_shr:2 row_mask:0xf bank_mask:0xf
	s_delay_alu instid0(VALU_DEP_1) | instskip(NEXT) | instid1(VALU_DEP_1)
	v_dual_add_nc_u32 v8, v6, v8 :: v_dual_add_nc_u32 v9, v7, v9
	v_dual_cndmask_b32 v6, v6, v8, s0 :: v_dual_cndmask_b32 v7, v7, v9, s0
	v_cmp_lt_u32_e64 s0, 3, v22
	s_delay_alu instid0(VALU_DEP_2) | instskip(NEXT) | instid1(VALU_DEP_3)
	v_mov_b32_dpp v8, v6 row_shr:4 row_mask:0xf bank_mask:0xf
	v_mov_b32_dpp v9, v7 row_shr:4 row_mask:0xf bank_mask:0xf
	s_delay_alu instid0(VALU_DEP_1) | instskip(NEXT) | instid1(VALU_DEP_1)
	v_dual_cndmask_b32 v8, 0, v8, s0 :: v_dual_cndmask_b32 v9, 0, v9, s0
	v_dual_add_nc_u32 v6, v8, v6 :: v_dual_add_nc_u32 v7, v9, v7
	ds_store_b64 v5, v[6:7]
.LBB121_141:
	s_or_b32 exec_lo, exec_lo, s1
	v_dual_mov_b32 v5, 0 :: v_dual_mov_b32 v6, 0
	v_mov_b32_e32 v7, 0
	s_mov_b32 s1, exec_lo
	s_wait_dscnt 0x0
	s_barrier_signal -1
	s_barrier_wait -1
	v_cmpx_lt_u32_e32 31, v0
; %bb.142:
	v_lshl_add_u32 v6, v64, 3, -8
	ds_load_b64 v[6:7], v6
; %bb.143:
	s_or_b32 exec_lo, exec_lo, s1
	v_sub_co_u32 v8, s0, v63, 1
	v_dual_cndmask_b32 v2, v4, v2 :: v_dual_cndmask_b32 v1, v3, v1
	v_cmp_eq_u32_e32 vcc_lo, 0, v0
	s_delay_alu instid0(VALU_DEP_3) | instskip(SKIP_1) | instid1(VALU_DEP_1)
	v_cmp_gt_i32_e64 s1, 0, v8
	s_wait_dscnt 0x0
	v_dual_add_nc_u32 v2, v6, v2 :: v_dual_cndmask_b32 v4, v8, v63, s1
	s_delay_alu instid0(VALU_DEP_1)
	v_dual_lshlrev_b32 v3, 2, v4 :: v_dual_add_nc_u32 v4, v7, v1
	ds_bpermute_b32 v1, v3, v2
	ds_bpermute_b32 v8, v3, v4
	ds_load_b64 v[2:3], v5 offset:56
	s_and_saveexec_b32 s1, vcc_lo
	s_cbranch_execz .LBB121_145
; %bb.144:
	s_wait_kmcnt 0x0
	s_add_nc_u64 s[2:3], s[4:5], 0x200
	v_dual_mov_b32 v4, 2 :: v_dual_mov_b32 v5, 0
	v_mov_b64_e32 v[22:23], s[2:3]
	s_wait_dscnt 0x0
	;;#ASMSTART
	global_store_b128 v[22:23], v[2:5] off scope:SCOPE_DEV	
s_wait_storecnt 0x0
	;;#ASMEND
.LBB121_145:
	s_or_b32 exec_lo, exec_lo, s1
	s_wait_dscnt 0x1
	v_dual_cndmask_b32 v5, v8, v7, s0 :: v_dual_cndmask_b32 v7, v1, v6, s0
	v_dual_mov_b32 v6, 0 :: v_dual_mov_b32 v4, 0
	s_wait_dscnt 0x0
	v_mov_b32_e32 v8, v3
	s_delay_alu instid0(VALU_DEP_3)
	v_cndmask_b32_e64 v1, v5, 0, vcc_lo
	v_cndmask_b32_e64 v22, v7, 0, vcc_lo
	s_barrier_signal -1
	s_barrier_wait -1
.LBB121_146:
	s_delay_alu instid0(VALU_DEP_1) | instskip(SKIP_1) | instid1(VALU_DEP_2)
	v_dual_add_nc_u32 v62, v1, v62 :: v_dual_add_nc_u32 v70, v22, v61
	v_dual_mov_b32 v5, 0 :: v_dual_lshrrev_b32 v68, 16, v37
	v_dual_lshrrev_b32 v3, 8, v37 :: v_dual_add_nc_u32 v71, v62, v60
	s_delay_alu instid0(VALU_DEP_3) | instskip(SKIP_1) | instid1(VALU_DEP_3)
	v_dual_add_nc_u32 v59, v70, v59 :: v_dual_lshlrev_b32 v60, 1, v2
	v_dual_sub_nc_u32 v72, v22, v4 :: v_dual_sub_nc_u32 v1, v1, v6
	v_dual_add_nc_u32 v73, v71, v44 :: v_dual_bitop2_b32 v74, 1, v31 bitop3:0x40
	s_delay_alu instid0(VALU_DEP_3) | instskip(NEXT) | instid1(VALU_DEP_3)
	v_dual_add_nc_u32 v58, v59, v58 :: v_dual_bitop2_b32 v75, 1, v3 bitop3:0x40
	v_dual_add_nc_u32 v1, v1, v2 :: v_dual_sub_nc_u32 v70, v70, v4
	s_delay_alu instid0(VALU_DEP_2)
	v_dual_add_nc_u32 v57, v73, v57 :: v_dual_add_nc_u32 v76, v58, v43
	v_mov_b32_e32 v61, v5
	s_wait_kmcnt 0x0
	v_add_nc_u64_e32 v[22:23], s[28:29], v[4:5]
	v_dual_mov_b32 v3, v5 :: v_dual_mov_b32 v7, v5
	v_dual_add_nc_u32 v55, v76, v55 :: v_dual_add_nc_u32 v56, v57, v56
	v_cmp_eq_u32_e32 vcc_lo, 1, v75
	v_dual_lshrrev_b32 v69, 8, v31 :: v_dual_lshrrev_b32 v67, 16, v31
	s_delay_alu instid0(VALU_DEP_3) | instskip(NEXT) | instid1(VALU_DEP_4)
	v_dual_add_nc_u32 v53, v55, v53 :: v_dual_mov_b32 v9, v5
	v_add_nc_u32_e32 v54, v56, v54
	v_add3_u32 v5, v60, v8, v30
	s_delay_alu instid0(VALU_DEP_3) | instskip(NEXT) | instid1(VALU_DEP_3)
	v_dual_sub_nc_u32 v62, v62, v6 :: v_dual_add_nc_u32 v51, v53, v51
	v_dual_add_nc_u32 v78, v72, v1 :: v_dual_add_nc_u32 v77, v54, v42
	s_delay_alu instid0(VALU_DEP_2) | instskip(NEXT) | instid1(VALU_DEP_2)
	v_dual_sub_nc_u32 v59, v59, v4 :: v_dual_add_nc_u32 v62, v62, v2
	v_dual_add_nc_u32 v79, v51, v41 :: v_dual_sub_nc_u32 v78, v5, v78
	s_delay_alu instid0(VALU_DEP_3) | instskip(SKIP_1) | instid1(VALU_DEP_3)
	v_add_nc_u32_e32 v52, v77, v52
	v_dual_sub_nc_u32 v73, v73, v6 :: v_dual_sub_nc_u32 v58, v58, v4
	v_add_nc_u32_e32 v48, v79, v48
	s_delay_alu instid0(VALU_DEP_4) | instskip(SKIP_2) | instid1(VALU_DEP_4)
	v_dual_sub_nc_u32 v71, v71, v6 :: v_dual_cndmask_b32 v1, v78, v1, vcc_lo
	v_cmp_eq_u32_e32 vcc_lo, 1, v74
	v_add_nc_u32_e32 v50, v52, v50
	v_dual_add_nc_u32 v80, v62, v70 :: v_dual_add_nc_u32 v47, v48, v47
	v_dual_lshrrev_b32 v66, 8, v32 :: v_dual_lshrrev_b32 v65, 16, v32
	v_dual_cndmask_b32 v1, v1, v72, vcc_lo :: v_dual_add_nc_u32 v71, v71, v2
	s_delay_alu instid0(VALU_DEP_3) | instskip(NEXT) | instid1(VALU_DEP_4)
	v_dual_add_nc_u32 v49, v50, v49 :: v_dual_add_nc_u32 v46, v47, v46
	v_sub_nc_u32_e32 v74, v5, v80
	s_delay_alu instid0(VALU_DEP_3) | instskip(NEXT) | instid1(VALU_DEP_3)
	v_dual_add_nc_u32 v75, v71, v59 :: v_dual_bitop2_b32 v68, 1, v68 bitop3:0x40
	v_dual_add_nc_u32 v72, v49, v40 :: v_dual_bitop2_b32 v69, 1, v69 bitop3:0x40
	s_delay_alu instid0(VALU_DEP_3) | instskip(NEXT) | instid1(VALU_DEP_3)
	v_add_nc_u32_e32 v74, 1, v74
	v_cmp_eq_u32_e32 vcc_lo, 1, v68
	s_delay_alu instid0(VALU_DEP_3) | instskip(SKIP_1) | instid1(VALU_DEP_4)
	v_dual_sub_nc_u32 v75, v5, v75 :: v_dual_add_nc_u32 v45, v72, v45
	v_dual_add_nc_u32 v68, v73, v2 :: v_dual_bitop2_b32 v44, 1, v44 bitop3:0x40
	v_cndmask_b32_e32 v62, v74, v62, vcc_lo
	v_cmp_eq_u32_e32 vcc_lo, 1, v69
	s_delay_alu instid0(VALU_DEP_3)
	v_dual_add_nc_u32 v73, 2, v75 :: v_dual_add_nc_u32 v69, v58, v68
	v_dual_lshlrev_b32 v1, 2, v1 :: v_dual_bitop2_b32 v67, 1, v67 bitop3:0x40
	v_add_nc_u32_e32 v78, v46, v39
	v_cndmask_b32_e32 v62, v62, v70, vcc_lo
	v_cmp_eq_u32_e32 vcc_lo, 1, v44
	v_dual_sub_nc_u32 v57, v57, v6 :: v_dual_bitop2_b32 v43, 1, v43 bitop3:0x40
	ds_store_b32 v1, v20
	v_dual_lshlrev_b32 v20, 2, v62 :: v_dual_cndmask_b32 v44, v73, v71, vcc_lo
	v_cmp_eq_u32_e32 vcc_lo, 1, v67
	v_sub_nc_u32_e32 v1, v5, v69
	v_dual_lshrrev_b32 v63, 16, v33 :: v_dual_lshrrev_b32 v64, 8, v33
	ds_store_b32 v20, v21
	v_dual_cndmask_b32 v44, v44, v59, vcc_lo :: v_dual_bitop2_b32 v32, 1, v32 bitop3:0x40
	v_dual_add_nc_u32 v1, 3, v1 :: v_dual_add_nc_u32 v57, v57, v2
	v_dual_sub_nc_u32 v54, v54, v6 :: v_dual_lshrrev_b32 v25, 16, v35
	v_lshrrev_b32_e32 v27, 8, v35
	s_delay_alu instid0(VALU_DEP_4)
	v_cmp_eq_u32_e32 vcc_lo, 1, v32
	v_sub_nc_u32_e32 v56, v56, v6
	v_sub_nc_u32_e32 v32, v76, v4
	v_dual_lshrrev_b32 v26, 8, v36 :: v_dual_lshrrev_b32 v24, 16, v36
	v_cndmask_b32_e32 v1, v1, v68, vcc_lo
	v_cmp_eq_u32_e32 vcc_lo, 1, v43
	v_dual_sub_nc_u32 v55, v55, v4 :: v_dual_add_nc_u32 v56, v56, v2
	v_dual_add_nc_u32 v43, v32, v57 :: v_dual_lshlrev_b32 v21, 2, v44
	s_delay_alu instid0(VALU_DEP_4) | instskip(NEXT) | instid1(VALU_DEP_2)
	v_dual_cndmask_b32 v1, v1, v58, vcc_lo :: v_dual_bitop2_b32 v58, 1, v65 bitop3:0x40
	v_dual_add_nc_u32 v20, v55, v56 :: v_dual_sub_nc_u32 v43, v5, v43
	s_delay_alu instid0(VALU_DEP_2) | instskip(NEXT) | instid1(VALU_DEP_2)
	v_dual_lshlrev_b32 v1, 2, v1 :: v_dual_bitop2_b32 v44, 1, v66 bitop3:0x40
	v_dual_sub_nc_u32 v20, v5, v20 :: v_dual_bitop2_b32 v33, 1, v33 bitop3:0x40
	s_delay_alu instid0(VALU_DEP_3) | instskip(NEXT) | instid1(VALU_DEP_3)
	v_add_nc_u32_e32 v43, 4, v43
	v_cmp_eq_u32_e32 vcc_lo, 1, v44
	v_dual_sub_nc_u32 v53, v53, v4 :: v_dual_add_nc_u32 v54, v54, v2
	s_delay_alu instid0(VALU_DEP_4)
	v_add_nc_u32_e32 v20, 5, v20
	ds_store_b32 v21, v18
	v_cndmask_b32_e32 v43, v43, v57, vcc_lo
	v_cmp_eq_u32_e32 vcc_lo, 1, v58
	v_and_b32_e32 v44, 1, v64
	ds_store_b32 v1, v19
	v_and_b32_e32 v21, 1, v63
	v_sub_nc_u64_e32 v[30:31], s[30:31], v[2:3]
	v_dual_cndmask_b32 v20, v20, v56, vcc_lo :: v_dual_add_nc_u32 v56, v53, v54
	v_cmp_eq_u32_e32 vcc_lo, 1, v33
	v_sub_nc_u32_e32 v33, v52, v6
	s_mov_b32 s41, 0
	s_delay_alu instid0(VALU_DEP_3)
	v_dual_sub_nc_u32 v18, v5, v56 :: v_dual_bitop2_b32 v27, 1, v27 bitop3:0x40
	v_cndmask_b32_e32 v32, v43, v32, vcc_lo
	v_cmp_eq_u32_e32 vcc_lo, 1, v44
	v_add_nc_u64_e32 v[30:31], v[30:31], v[6:7]
	s_add_nc_u64 s[0:1], s[34:35], s[40:41]
	v_dual_add_nc_u32 v18, 6, v18 :: v_dual_cndmask_b32 v20, v20, v55, vcc_lo
	v_dual_lshlrev_b32 v1, 2, v32 :: v_dual_sub_nc_u32 v32, v77, v6
	s_delay_alu instid0(VALU_DEP_2)
	v_dual_lshlrev_b32 v19, 2, v20 :: v_dual_bitop2_b32 v20, 1, v42 bitop3:0x40
	v_sub_nc_u32_e32 v42, v79, v4
	ds_store_b32 v1, v16
	ds_store_b32 v19, v17
	v_cmp_eq_u32_e32 vcc_lo, 1, v20
	v_dual_sub_nc_u32 v20, v51, v4 :: v_dual_add_nc_u32 v32, v32, v2
	v_dual_add_nc_u32 v33, v33, v2 :: v_dual_bitop2_b32 v19, 1, v35 bitop3:0x40
	v_cndmask_b32_e32 v18, v18, v54, vcc_lo
	v_cmp_eq_u32_e32 vcc_lo, 1, v21
	s_delay_alu instid0(VALU_DEP_4) | instskip(NEXT) | instid1(VALU_DEP_3)
	v_add_nc_u32_e32 v21, v20, v32
	v_dual_cndmask_b32 v18, v18, v53 :: v_dual_sub_nc_u32 v35, v48, v4
	v_add_nc_u32_e32 v1, v42, v33
	s_delay_alu instid0(VALU_DEP_3) | instskip(SKIP_1) | instid1(VALU_DEP_4)
	v_dual_sub_nc_u32 v17, v5, v21 :: v_dual_sub_nc_u32 v21, v50, v6
	v_cmp_eq_u32_e32 vcc_lo, 1, v19
	v_dual_lshlrev_b32 v16, 2, v18 :: v_dual_bitop2_b32 v18, 1, v41 bitop3:0x40
	s_delay_alu instid0(VALU_DEP_4) | instskip(NEXT) | instid1(VALU_DEP_4)
	v_sub_nc_u32_e32 v1, v5, v1
	v_dual_add_nc_u32 v17, 7, v17 :: v_dual_add_nc_u32 v21, v21, v2
	ds_store_b32 v16, v14
	v_dual_add_nc_u32 v1, 8, v1 :: v_dual_cndmask_b32 v17, v17, v32, vcc_lo
	v_cmp_eq_u32_e32 vcc_lo, 1, v27
	v_dual_add_nc_u32 v27, v35, v21 :: v_dual_bitop2_b32 v19, 1, v36 bitop3:0x40
	s_delay_alu instid0(VALU_DEP_3) | instskip(SKIP_1) | instid1(VALU_DEP_3)
	v_cndmask_b32_e32 v1, v1, v33, vcc_lo
	v_cmp_eq_u32_e32 vcc_lo, 1, v18
	v_dual_sub_nc_u32 v14, v5, v27 :: v_dual_bitop2_b32 v18, 1, v25 bitop3:0x40
	v_cndmask_b32_e32 v17, v17, v20, vcc_lo
	v_cmp_eq_u32_e32 vcc_lo, 1, v19
	v_dual_sub_nc_u32 v19, v47, v4 :: v_dual_cndmask_b32 v1, v1, v42, vcc_lo
	s_delay_alu instid0(VALU_DEP_4) | instskip(NEXT) | instid1(VALU_DEP_2)
	v_cmp_eq_u32_e32 vcc_lo, 1, v18
	v_lshlrev_b32_e32 v1, 2, v1
	v_dual_lshlrev_b32 v16, 2, v17 :: v_dual_sub_nc_u32 v17, v49, v6
	ds_store_b32 v16, v15
	v_add_nc_u32_e32 v17, v17, v2
	v_add_nc_u32_e32 v14, 9, v14
	ds_store_b32 v1, v12
	v_dual_sub_nc_u32 v16, v45, v6 :: v_dual_add_nc_u32 v15, v19, v17
	v_dual_cndmask_b32 v14, v14, v21, vcc_lo :: v_dual_bitop2_b32 v20, 1, v26 bitop3:0x40
	v_sub_nc_u32_e32 v12, v72, v6
	s_delay_alu instid0(VALU_DEP_3) | instskip(NEXT) | instid1(VALU_DEP_3)
	v_add_nc_u32_e32 v16, v16, v2
	v_cmp_eq_u32_e32 vcc_lo, 1, v20
	v_sub_nc_u32_e32 v20, v78, v4
	v_cndmask_b32_e32 v1, v14, v35, vcc_lo
	v_dual_sub_nc_u32 v14, v5, v15 :: v_dual_bitop2_b32 v15, 1, v40 bitop3:0x40
	v_dual_sub_nc_u32 v18, v46, v4 :: v_dual_add_nc_u32 v12, v12, v2
	s_delay_alu instid0(VALU_DEP_2) | instskip(NEXT) | instid1(VALU_DEP_3)
	v_dual_add_nc_u32 v14, 10, v14 :: v_dual_bitop2_b32 v4, 1, v24 bitop3:0x40
	v_cmp_eq_u32_e32 vcc_lo, 1, v15
	v_add_nc_u32_e32 v15, v20, v16
	s_delay_alu instid0(VALU_DEP_4) | instskip(NEXT) | instid1(VALU_DEP_4)
	v_dual_add_nc_u32 v21, v18, v12 :: v_dual_lshlrev_b32 v1, 2, v1
	v_cndmask_b32_e32 v14, v14, v17, vcc_lo
	v_cmp_eq_u32_e32 vcc_lo, 1, v4
	s_delay_alu instid0(VALU_DEP_3) | instskip(SKIP_4) | instid1(VALU_DEP_3)
	v_dual_sub_nc_u32 v17, v5, v21 :: v_dual_sub_nc_u32 v4, v5, v15
	ds_store_b32 v1, v13
	v_dual_cndmask_b32 v14, v14, v19, vcc_lo :: v_dual_bitop2_b32 v19, 1, v34 bitop3:0x40
	v_dual_add_nc_u32 v17, 11, v17 :: v_dual_bitop2_b32 v15, 1, v39 bitop3:0x40
	v_dual_add_nc_u32 v24, 12, v4 :: v_dual_bitop2_b32 v21, 1, v38 bitop3:0x40
	v_cmp_eq_u32_e32 vcc_lo, 1, v19
	v_add_nc_u64_e32 v[4:5], v[8:9], v[60:61]
	s_delay_alu instid0(VALU_DEP_4) | instskip(SKIP_2) | instid1(VALU_DEP_4)
	v_dual_lshlrev_b32 v14, 2, v14 :: v_dual_cndmask_b32 v12, v17, v12, vcc_lo
	v_and_b32_e32 v17, 1, v37
	v_cmp_eq_u32_e32 vcc_lo, 1, v21
	v_add_nc_u64_e32 v[4:5], v[4:5], v[30:31]
	ds_store_b32 v14, v10
	v_cndmask_b32_e32 v16, v24, v16, vcc_lo
	v_cmp_eq_u32_e32 vcc_lo, 1, v15
	v_add_nc_u64_e32 v[4:5], v[4:5], v[22:23]
	v_cndmask_b32_e32 v12, v12, v18, vcc_lo
	v_cmp_eq_u32_e32 vcc_lo, 1, v17
	v_cndmask_b32_e32 v15, v16, v20, vcc_lo
	v_cmp_ne_u32_e32 vcc_lo, 1, v29
	s_delay_alu instid0(VALU_DEP_2)
	v_dual_lshlrev_b32 v10, 2, v15 :: v_dual_lshlrev_b32 v1, 2, v12
	v_lshlrev_b64_e32 v[12:13], 2, v[30:31]
	v_lshlrev_b64_e32 v[14:15], 2, v[22:23]
	s_and_b32 vcc_lo, exec_lo, vcc_lo
	ds_store_b32 v1, v11
	ds_store_b32 v10, v28
	v_sub_nc_u64_e32 v[10:11], s[0:1], v[4:5]
	v_add_nc_u64_e32 v[4:5], s[38:39], v[12:13]
	v_add_nc_u64_e32 v[12:13], s[36:37], v[14:15]
	v_add_nc_u32_e32 v14, v2, v8
	s_mov_b32 s0, -1
	s_wait_dscnt 0x0
	s_barrier_signal -1
	s_barrier_wait -1
	s_cbranch_vccz .LBB121_150
; %bb.147:
	s_and_b32 vcc_lo, exec_lo, s0
	s_cbranch_vccnz .LBB121_255
.LBB121_148:
	v_cmp_eq_u32_e32 vcc_lo, 0, v0
	s_and_b32 s0, vcc_lo, s15
	s_delay_alu instid0(SALU_CYCLE_1)
	s_and_saveexec_b32 s1, s0
	s_cbranch_execnz .LBB121_373
.LBB121_149:
	s_sendmsg sendmsg(MSG_DEALLOC_VGPRS)
	s_endpgm
.LBB121_150:
	s_mov_b32 s0, exec_lo
	v_cmpx_ge_u32_e64 v0, v2
	s_xor_b32 s0, exec_lo, s0
	s_cbranch_execz .LBB121_156
; %bb.151:
	v_mov_b32_e32 v1, 0
	s_mov_b32 s1, exec_lo
	v_cmpx_ge_u32_e64 v0, v14
	s_xor_b32 s1, exec_lo, s1
	s_cbranch_execz .LBB121_153
; %bb.152:
	v_lshlrev_b32_e32 v15, 2, v0
	v_add_nc_u64_e32 v[16:17], v[10:11], v[0:1]
	ds_load_b32 v1, v15
	v_lshlrev_b64_e32 v[16:17], 2, v[16:17]
	s_delay_alu instid0(VALU_DEP_1)
	v_sub_nc_u64_e32 v[16:17], s[26:27], v[16:17]
	s_wait_dscnt 0x0
	global_store_b32 v[16:17], v1, off offset:-4
.LBB121_153:
	s_wait_xcnt 0x0
	s_and_not1_saveexec_b32 s1, s1
	s_cbranch_execz .LBB121_155
; %bb.154:
	v_lshlrev_b32_e32 v1, 2, v0
	v_readfirstlane_b32 s2, v4
	v_readfirstlane_b32 s3, v5
	ds_load_b32 v1, v1
	s_wait_dscnt 0x0
	global_store_b32 v0, v1, s[2:3] scale_offset
.LBB121_155:
	s_wait_xcnt 0x0
	s_or_b32 exec_lo, exec_lo, s1
.LBB121_156:
	s_and_not1_saveexec_b32 s0, s0
	s_cbranch_execz .LBB121_158
; %bb.157:
	v_lshlrev_b32_e32 v1, 2, v0
	v_readfirstlane_b32 s2, v12
	v_readfirstlane_b32 s3, v13
	ds_load_b32 v1, v1
	s_wait_dscnt 0x0
	global_store_b32 v0, v1, s[2:3] scale_offset
.LBB121_158:
	s_wait_xcnt 0x0
	s_or_b32 exec_lo, exec_lo, s0
	v_or_b32_e32 v1, 0x100, v0
	s_mov_b32 s0, exec_lo
	s_delay_alu instid0(VALU_DEP_1)
	v_cmpx_ge_u32_e64 v1, v2
	s_xor_b32 s0, exec_lo, s0
	s_cbranch_execz .LBB121_164
; %bb.159:
	s_mov_b32 s1, exec_lo
	v_cmpx_ge_u32_e64 v1, v14
	s_xor_b32 s1, exec_lo, s1
	s_cbranch_execz .LBB121_161
; %bb.160:
	v_dual_mov_b32 v1, 0 :: v_dual_lshlrev_b32 v15, 2, v0
	s_delay_alu instid0(VALU_DEP_1) | instskip(SKIP_2) | instid1(VALU_DEP_1)
	v_add_nc_u64_e32 v[16:17], v[10:11], v[0:1]
	ds_load_b32 v1, v15 offset:1024
	v_lshlrev_b64_e32 v[16:17], 2, v[16:17]
	v_sub_nc_u64_e32 v[16:17], s[26:27], v[16:17]
	s_wait_dscnt 0x0
	global_store_b32 v[16:17], v1, off offset:-1028
.LBB121_161:
	s_wait_xcnt 0x0
	s_and_not1_saveexec_b32 s1, s1
	s_cbranch_execz .LBB121_163
; %bb.162:
	v_lshlrev_b32_e32 v1, 2, v0
	v_readfirstlane_b32 s2, v4
	v_readfirstlane_b32 s3, v5
	ds_load_b32 v1, v1 offset:1024
	s_wait_dscnt 0x0
	global_store_b32 v0, v1, s[2:3] offset:1024 scale_offset
.LBB121_163:
	s_wait_xcnt 0x0
	s_or_b32 exec_lo, exec_lo, s1
.LBB121_164:
	s_and_not1_saveexec_b32 s0, s0
	s_cbranch_execz .LBB121_166
; %bb.165:
	v_lshlrev_b32_e32 v1, 2, v0
	v_readfirstlane_b32 s2, v12
	v_readfirstlane_b32 s3, v13
	ds_load_b32 v1, v1 offset:1024
	s_wait_dscnt 0x0
	global_store_b32 v0, v1, s[2:3] offset:1024 scale_offset
.LBB121_166:
	s_wait_xcnt 0x0
	s_or_b32 exec_lo, exec_lo, s0
	v_or_b32_e32 v1, 0x200, v0
	s_mov_b32 s0, exec_lo
	s_delay_alu instid0(VALU_DEP_1)
	v_cmpx_ge_u32_e64 v1, v2
	s_xor_b32 s0, exec_lo, s0
	s_cbranch_execz .LBB121_172
; %bb.167:
	s_mov_b32 s1, exec_lo
	v_cmpx_ge_u32_e64 v1, v14
	s_xor_b32 s1, exec_lo, s1
	s_cbranch_execz .LBB121_169
; %bb.168:
	v_dual_mov_b32 v1, 0 :: v_dual_lshlrev_b32 v15, 2, v0
	s_delay_alu instid0(VALU_DEP_1) | instskip(SKIP_2) | instid1(VALU_DEP_1)
	v_add_nc_u64_e32 v[16:17], v[10:11], v[0:1]
	ds_load_b32 v1, v15 offset:2048
	v_lshlrev_b64_e32 v[16:17], 2, v[16:17]
	v_sub_nc_u64_e32 v[16:17], s[26:27], v[16:17]
	s_wait_dscnt 0x0
	global_store_b32 v[16:17], v1, off offset:-2052
.LBB121_169:
	s_wait_xcnt 0x0
	s_and_not1_saveexec_b32 s1, s1
	s_cbranch_execz .LBB121_171
; %bb.170:
	v_lshlrev_b32_e32 v1, 2, v0
	v_readfirstlane_b32 s2, v4
	v_readfirstlane_b32 s3, v5
	ds_load_b32 v1, v1 offset:2048
	s_wait_dscnt 0x0
	global_store_b32 v0, v1, s[2:3] offset:2048 scale_offset
.LBB121_171:
	s_wait_xcnt 0x0
	s_or_b32 exec_lo, exec_lo, s1
.LBB121_172:
	s_and_not1_saveexec_b32 s0, s0
	s_cbranch_execz .LBB121_174
; %bb.173:
	v_lshlrev_b32_e32 v1, 2, v0
	v_readfirstlane_b32 s2, v12
	v_readfirstlane_b32 s3, v13
	ds_load_b32 v1, v1 offset:2048
	s_wait_dscnt 0x0
	global_store_b32 v0, v1, s[2:3] offset:2048 scale_offset
.LBB121_174:
	;; [unrolled: 47-line block ×12, first 2 shown]
	s_wait_xcnt 0x0
	s_or_b32 exec_lo, exec_lo, s0
	s_branch .LBB121_148
.LBB121_255:
	s_mov_b32 s0, exec_lo
	v_cmpx_gt_u32_e64 s6, v0
	s_cbranch_execz .LBB121_264
; %bb.256:
	s_mov_b32 s1, exec_lo
	v_cmpx_ge_u32_e64 v0, v2
	s_xor_b32 s1, exec_lo, s1
	s_cbranch_execz .LBB121_262
; %bb.257:
	v_mov_b32_e32 v1, 0
	s_mov_b32 s2, exec_lo
	v_cmpx_ge_u32_e64 v0, v14
	s_xor_b32 s2, exec_lo, s2
	s_cbranch_execz .LBB121_259
; %bb.258:
	v_lshlrev_b32_e32 v15, 2, v0
	v_add_nc_u64_e32 v[16:17], v[10:11], v[0:1]
	ds_load_b32 v1, v15
	v_lshlrev_b64_e32 v[16:17], 2, v[16:17]
	s_delay_alu instid0(VALU_DEP_1)
	v_sub_nc_u64_e32 v[16:17], s[26:27], v[16:17]
	s_wait_dscnt 0x0
	global_store_b32 v[16:17], v1, off offset:-4
.LBB121_259:
	s_wait_xcnt 0x0
	s_and_not1_saveexec_b32 s2, s2
	s_cbranch_execz .LBB121_261
; %bb.260:
	v_lshlrev_b32_e32 v1, 2, v0
	v_readfirstlane_b32 s4, v4
	v_readfirstlane_b32 s5, v5
	ds_load_b32 v1, v1
	s_wait_dscnt 0x0
	global_store_b32 v0, v1, s[4:5] scale_offset
.LBB121_261:
	s_wait_xcnt 0x0
	s_or_b32 exec_lo, exec_lo, s2
.LBB121_262:
	s_and_not1_saveexec_b32 s1, s1
	s_cbranch_execz .LBB121_264
; %bb.263:
	v_lshlrev_b32_e32 v1, 2, v0
	v_readfirstlane_b32 s2, v12
	v_readfirstlane_b32 s3, v13
	ds_load_b32 v1, v1
	s_wait_dscnt 0x0
	global_store_b32 v0, v1, s[2:3] scale_offset
.LBB121_264:
	s_wait_xcnt 0x0
	s_or_b32 exec_lo, exec_lo, s0
	v_or_b32_e32 v1, 0x100, v0
	s_mov_b32 s0, exec_lo
	s_delay_alu instid0(VALU_DEP_1)
	v_cmpx_gt_u32_e64 s6, v1
	s_cbranch_execz .LBB121_273
; %bb.265:
	s_mov_b32 s1, exec_lo
	v_cmpx_ge_u32_e64 v1, v2
	s_xor_b32 s1, exec_lo, s1
	s_cbranch_execz .LBB121_271
; %bb.266:
	s_mov_b32 s2, exec_lo
	v_cmpx_ge_u32_e64 v1, v14
	s_xor_b32 s2, exec_lo, s2
	s_cbranch_execz .LBB121_268
; %bb.267:
	v_dual_mov_b32 v1, 0 :: v_dual_lshlrev_b32 v15, 2, v0
	s_delay_alu instid0(VALU_DEP_1) | instskip(SKIP_2) | instid1(VALU_DEP_1)
	v_add_nc_u64_e32 v[16:17], v[10:11], v[0:1]
	ds_load_b32 v1, v15 offset:1024
	v_lshlrev_b64_e32 v[16:17], 2, v[16:17]
	v_sub_nc_u64_e32 v[16:17], s[26:27], v[16:17]
	s_wait_dscnt 0x0
	global_store_b32 v[16:17], v1, off offset:-1028
.LBB121_268:
	s_wait_xcnt 0x0
	s_and_not1_saveexec_b32 s2, s2
	s_cbranch_execz .LBB121_270
; %bb.269:
	v_lshlrev_b32_e32 v1, 2, v0
	v_readfirstlane_b32 s4, v4
	v_readfirstlane_b32 s5, v5
	ds_load_b32 v1, v1 offset:1024
	s_wait_dscnt 0x0
	global_store_b32 v0, v1, s[4:5] offset:1024 scale_offset
.LBB121_270:
	s_wait_xcnt 0x0
	s_or_b32 exec_lo, exec_lo, s2
.LBB121_271:
	s_and_not1_saveexec_b32 s1, s1
	s_cbranch_execz .LBB121_273
; %bb.272:
	v_lshlrev_b32_e32 v1, 2, v0
	v_readfirstlane_b32 s2, v12
	v_readfirstlane_b32 s3, v13
	ds_load_b32 v1, v1 offset:1024
	s_wait_dscnt 0x0
	global_store_b32 v0, v1, s[2:3] offset:1024 scale_offset
.LBB121_273:
	s_wait_xcnt 0x0
	s_or_b32 exec_lo, exec_lo, s0
	v_or_b32_e32 v1, 0x200, v0
	s_mov_b32 s0, exec_lo
	s_delay_alu instid0(VALU_DEP_1)
	v_cmpx_gt_u32_e64 s6, v1
	s_cbranch_execz .LBB121_282
; %bb.274:
	s_mov_b32 s1, exec_lo
	v_cmpx_ge_u32_e64 v1, v2
	s_xor_b32 s1, exec_lo, s1
	s_cbranch_execz .LBB121_280
; %bb.275:
	s_mov_b32 s2, exec_lo
	v_cmpx_ge_u32_e64 v1, v14
	s_xor_b32 s2, exec_lo, s2
	s_cbranch_execz .LBB121_277
; %bb.276:
	v_dual_mov_b32 v1, 0 :: v_dual_lshlrev_b32 v15, 2, v0
	s_delay_alu instid0(VALU_DEP_1) | instskip(SKIP_2) | instid1(VALU_DEP_1)
	v_add_nc_u64_e32 v[16:17], v[10:11], v[0:1]
	ds_load_b32 v1, v15 offset:2048
	v_lshlrev_b64_e32 v[16:17], 2, v[16:17]
	v_sub_nc_u64_e32 v[16:17], s[26:27], v[16:17]
	s_wait_dscnt 0x0
	global_store_b32 v[16:17], v1, off offset:-2052
.LBB121_277:
	s_wait_xcnt 0x0
	s_and_not1_saveexec_b32 s2, s2
	s_cbranch_execz .LBB121_279
; %bb.278:
	v_lshlrev_b32_e32 v1, 2, v0
	v_readfirstlane_b32 s4, v4
	v_readfirstlane_b32 s5, v5
	ds_load_b32 v1, v1 offset:2048
	s_wait_dscnt 0x0
	global_store_b32 v0, v1, s[4:5] offset:2048 scale_offset
.LBB121_279:
	s_wait_xcnt 0x0
	s_or_b32 exec_lo, exec_lo, s2
.LBB121_280:
	s_and_not1_saveexec_b32 s1, s1
	s_cbranch_execz .LBB121_282
; %bb.281:
	v_lshlrev_b32_e32 v1, 2, v0
	v_readfirstlane_b32 s2, v12
	v_readfirstlane_b32 s3, v13
	ds_load_b32 v1, v1 offset:2048
	s_wait_dscnt 0x0
	global_store_b32 v0, v1, s[2:3] offset:2048 scale_offset
.LBB121_282:
	;; [unrolled: 51-line block ×11, first 2 shown]
	s_wait_xcnt 0x0
	s_or_b32 exec_lo, exec_lo, s0
	v_or_b32_e32 v1, 0xc00, v0
	s_mov_b32 s0, exec_lo
	s_delay_alu instid0(VALU_DEP_1)
	v_cmpx_gt_u32_e64 s6, v1
	s_cbranch_execz .LBB121_372
; %bb.364:
	s_mov_b32 s1, exec_lo
	v_cmpx_ge_u32_e64 v1, v2
	s_xor_b32 s1, exec_lo, s1
	s_cbranch_execz .LBB121_370
; %bb.365:
	s_mov_b32 s2, exec_lo
	v_cmpx_ge_u32_e64 v1, v14
	s_xor_b32 s2, exec_lo, s2
	s_cbranch_execz .LBB121_367
; %bb.366:
	v_dual_mov_b32 v1, 0 :: v_dual_lshlrev_b32 v12, 2, v0
	s_delay_alu instid0(VALU_DEP_1) | instskip(SKIP_2) | instid1(VALU_DEP_1)
	v_add_nc_u64_e32 v[4:5], v[10:11], v[0:1]
	ds_load_b32 v1, v12 offset:12288
	v_lshlrev_b64_e32 v[4:5], 2, v[4:5]
	v_sub_nc_u64_e32 v[4:5], s[26:27], v[4:5]
	s_wait_dscnt 0x0
	global_store_b32 v[4:5], v1, off offset:-12292
                                        ; implicit-def: $vgpr4_vgpr5
.LBB121_367:
	s_wait_xcnt 0x0
	s_and_not1_saveexec_b32 s2, s2
	s_cbranch_execz .LBB121_369
; %bb.368:
	v_lshlrev_b32_e32 v1, 2, v0
	v_readfirstlane_b32 s4, v4
	v_readfirstlane_b32 s5, v5
	ds_load_b32 v1, v1 offset:12288
	s_wait_dscnt 0x0
	global_store_b32 v0, v1, s[4:5] offset:12288 scale_offset
.LBB121_369:
	s_wait_xcnt 0x0
	s_or_b32 exec_lo, exec_lo, s2
                                        ; implicit-def: $vgpr12_vgpr13
.LBB121_370:
	s_and_not1_saveexec_b32 s1, s1
	s_cbranch_execz .LBB121_372
; %bb.371:
	v_lshlrev_b32_e32 v1, 2, v0
	v_readfirstlane_b32 s2, v12
	v_readfirstlane_b32 s3, v13
	ds_load_b32 v1, v1 offset:12288
	s_wait_dscnt 0x0
	global_store_b32 v0, v1, s[2:3] offset:12288 scale_offset
.LBB121_372:
	s_wait_xcnt 0x0
	s_or_b32 exec_lo, exec_lo, s0
	v_cmp_eq_u32_e32 vcc_lo, 0, v0
	s_and_b32 s0, vcc_lo, s15
	s_delay_alu instid0(SALU_CYCLE_1)
	s_and_saveexec_b32 s1, s0
	s_cbranch_execz .LBB121_149
.LBB121_373:
	v_add_nc_u64_e32 v[0:1], s[30:31], v[8:9]
	v_add_nc_u64_e32 v[2:3], v[22:23], v[2:3]
	s_delay_alu instid0(VALU_DEP_2)
	v_add_nc_u64_e32 v[4:5], v[0:1], v[6:7]
	v_mov_b32_e32 v0, 0
	global_store_b128 v0, v[2:5], s[24:25]
	s_sendmsg sendmsg(MSG_DEALLOC_VGPRS)
	s_endpgm
	.section	.rodata,"a",@progbits
	.p2align	6, 0x0
	.amdhsa_kernel _ZN7rocprim17ROCPRIM_400000_NS6detail17trampoline_kernelINS0_13select_configILj256ELj13ELNS0_17block_load_methodE3ELS4_3ELS4_3ELNS0_20block_scan_algorithmE0ELj4294967295EEENS1_25partition_config_selectorILNS1_17partition_subalgoE4EjNS0_10empty_typeEbEEZZNS1_14partition_implILS8_4ELb0ES6_15HIP_vector_typeIjLj2EENS0_17counting_iteratorIjlEEPS9_SG_NS0_5tupleIJPjSI_NS0_16reverse_iteratorISI_EEEEENSH_IJSG_SG_SG_EEES9_SI_JZNS1_25segmented_radix_sort_implINS0_14default_configELb0EPKhPhPKlPlN2at6native12_GLOBAL__N_18offset_tEEE10hipError_tPvRmT1_PNSt15iterator_traitsIS12_E10value_typeET2_T3_PNS13_IS18_E10value_typeET4_jRbjT5_S1E_jjP12ihipStream_tbEUljE_ZNSN_ISO_Lb0ESQ_SR_ST_SU_SY_EESZ_S10_S11_S12_S16_S17_S18_S1B_S1C_jS1D_jS1E_S1E_jjS1G_bEUljE0_EEESZ_S10_S11_S18_S1C_S1E_T6_T7_T9_mT8_S1G_bDpT10_ENKUlT_T0_E_clISt17integral_constantIbLb0EES1U_EEDaS1P_S1Q_EUlS1P_E_NS1_11comp_targetILNS1_3genE0ELNS1_11target_archE4294967295ELNS1_3gpuE0ELNS1_3repE0EEENS1_30default_config_static_selectorELNS0_4arch9wavefront6targetE0EEEvS12_
		.amdhsa_group_segment_fixed_size 13328
		.amdhsa_private_segment_fixed_size 0
		.amdhsa_kernarg_size 176
		.amdhsa_user_sgpr_count 2
		.amdhsa_user_sgpr_dispatch_ptr 0
		.amdhsa_user_sgpr_queue_ptr 0
		.amdhsa_user_sgpr_kernarg_segment_ptr 1
		.amdhsa_user_sgpr_dispatch_id 0
		.amdhsa_user_sgpr_kernarg_preload_length 0
		.amdhsa_user_sgpr_kernarg_preload_offset 0
		.amdhsa_user_sgpr_private_segment_size 0
		.amdhsa_wavefront_size32 1
		.amdhsa_uses_dynamic_stack 0
		.amdhsa_enable_private_segment 0
		.amdhsa_system_sgpr_workgroup_id_x 1
		.amdhsa_system_sgpr_workgroup_id_y 0
		.amdhsa_system_sgpr_workgroup_id_z 0
		.amdhsa_system_sgpr_workgroup_info 0
		.amdhsa_system_vgpr_workitem_id 0
		.amdhsa_next_free_vgpr 81
		.amdhsa_next_free_sgpr 59
		.amdhsa_named_barrier_count 0
		.amdhsa_reserve_vcc 1
		.amdhsa_float_round_mode_32 0
		.amdhsa_float_round_mode_16_64 0
		.amdhsa_float_denorm_mode_32 3
		.amdhsa_float_denorm_mode_16_64 3
		.amdhsa_fp16_overflow 0
		.amdhsa_memory_ordered 1
		.amdhsa_forward_progress 1
		.amdhsa_inst_pref_size 139
		.amdhsa_round_robin_scheduling 0
		.amdhsa_exception_fp_ieee_invalid_op 0
		.amdhsa_exception_fp_denorm_src 0
		.amdhsa_exception_fp_ieee_div_zero 0
		.amdhsa_exception_fp_ieee_overflow 0
		.amdhsa_exception_fp_ieee_underflow 0
		.amdhsa_exception_fp_ieee_inexact 0
		.amdhsa_exception_int_div_zero 0
	.end_amdhsa_kernel
	.section	.text._ZN7rocprim17ROCPRIM_400000_NS6detail17trampoline_kernelINS0_13select_configILj256ELj13ELNS0_17block_load_methodE3ELS4_3ELS4_3ELNS0_20block_scan_algorithmE0ELj4294967295EEENS1_25partition_config_selectorILNS1_17partition_subalgoE4EjNS0_10empty_typeEbEEZZNS1_14partition_implILS8_4ELb0ES6_15HIP_vector_typeIjLj2EENS0_17counting_iteratorIjlEEPS9_SG_NS0_5tupleIJPjSI_NS0_16reverse_iteratorISI_EEEEENSH_IJSG_SG_SG_EEES9_SI_JZNS1_25segmented_radix_sort_implINS0_14default_configELb0EPKhPhPKlPlN2at6native12_GLOBAL__N_18offset_tEEE10hipError_tPvRmT1_PNSt15iterator_traitsIS12_E10value_typeET2_T3_PNS13_IS18_E10value_typeET4_jRbjT5_S1E_jjP12ihipStream_tbEUljE_ZNSN_ISO_Lb0ESQ_SR_ST_SU_SY_EESZ_S10_S11_S12_S16_S17_S18_S1B_S1C_jS1D_jS1E_S1E_jjS1G_bEUljE0_EEESZ_S10_S11_S18_S1C_S1E_T6_T7_T9_mT8_S1G_bDpT10_ENKUlT_T0_E_clISt17integral_constantIbLb0EES1U_EEDaS1P_S1Q_EUlS1P_E_NS1_11comp_targetILNS1_3genE0ELNS1_11target_archE4294967295ELNS1_3gpuE0ELNS1_3repE0EEENS1_30default_config_static_selectorELNS0_4arch9wavefront6targetE0EEEvS12_,"axG",@progbits,_ZN7rocprim17ROCPRIM_400000_NS6detail17trampoline_kernelINS0_13select_configILj256ELj13ELNS0_17block_load_methodE3ELS4_3ELS4_3ELNS0_20block_scan_algorithmE0ELj4294967295EEENS1_25partition_config_selectorILNS1_17partition_subalgoE4EjNS0_10empty_typeEbEEZZNS1_14partition_implILS8_4ELb0ES6_15HIP_vector_typeIjLj2EENS0_17counting_iteratorIjlEEPS9_SG_NS0_5tupleIJPjSI_NS0_16reverse_iteratorISI_EEEEENSH_IJSG_SG_SG_EEES9_SI_JZNS1_25segmented_radix_sort_implINS0_14default_configELb0EPKhPhPKlPlN2at6native12_GLOBAL__N_18offset_tEEE10hipError_tPvRmT1_PNSt15iterator_traitsIS12_E10value_typeET2_T3_PNS13_IS18_E10value_typeET4_jRbjT5_S1E_jjP12ihipStream_tbEUljE_ZNSN_ISO_Lb0ESQ_SR_ST_SU_SY_EESZ_S10_S11_S12_S16_S17_S18_S1B_S1C_jS1D_jS1E_S1E_jjS1G_bEUljE0_EEESZ_S10_S11_S18_S1C_S1E_T6_T7_T9_mT8_S1G_bDpT10_ENKUlT_T0_E_clISt17integral_constantIbLb0EES1U_EEDaS1P_S1Q_EUlS1P_E_NS1_11comp_targetILNS1_3genE0ELNS1_11target_archE4294967295ELNS1_3gpuE0ELNS1_3repE0EEENS1_30default_config_static_selectorELNS0_4arch9wavefront6targetE0EEEvS12_,comdat
.Lfunc_end121:
	.size	_ZN7rocprim17ROCPRIM_400000_NS6detail17trampoline_kernelINS0_13select_configILj256ELj13ELNS0_17block_load_methodE3ELS4_3ELS4_3ELNS0_20block_scan_algorithmE0ELj4294967295EEENS1_25partition_config_selectorILNS1_17partition_subalgoE4EjNS0_10empty_typeEbEEZZNS1_14partition_implILS8_4ELb0ES6_15HIP_vector_typeIjLj2EENS0_17counting_iteratorIjlEEPS9_SG_NS0_5tupleIJPjSI_NS0_16reverse_iteratorISI_EEEEENSH_IJSG_SG_SG_EEES9_SI_JZNS1_25segmented_radix_sort_implINS0_14default_configELb0EPKhPhPKlPlN2at6native12_GLOBAL__N_18offset_tEEE10hipError_tPvRmT1_PNSt15iterator_traitsIS12_E10value_typeET2_T3_PNS13_IS18_E10value_typeET4_jRbjT5_S1E_jjP12ihipStream_tbEUljE_ZNSN_ISO_Lb0ESQ_SR_ST_SU_SY_EESZ_S10_S11_S12_S16_S17_S18_S1B_S1C_jS1D_jS1E_S1E_jjS1G_bEUljE0_EEESZ_S10_S11_S18_S1C_S1E_T6_T7_T9_mT8_S1G_bDpT10_ENKUlT_T0_E_clISt17integral_constantIbLb0EES1U_EEDaS1P_S1Q_EUlS1P_E_NS1_11comp_targetILNS1_3genE0ELNS1_11target_archE4294967295ELNS1_3gpuE0ELNS1_3repE0EEENS1_30default_config_static_selectorELNS0_4arch9wavefront6targetE0EEEvS12_, .Lfunc_end121-_ZN7rocprim17ROCPRIM_400000_NS6detail17trampoline_kernelINS0_13select_configILj256ELj13ELNS0_17block_load_methodE3ELS4_3ELS4_3ELNS0_20block_scan_algorithmE0ELj4294967295EEENS1_25partition_config_selectorILNS1_17partition_subalgoE4EjNS0_10empty_typeEbEEZZNS1_14partition_implILS8_4ELb0ES6_15HIP_vector_typeIjLj2EENS0_17counting_iteratorIjlEEPS9_SG_NS0_5tupleIJPjSI_NS0_16reverse_iteratorISI_EEEEENSH_IJSG_SG_SG_EEES9_SI_JZNS1_25segmented_radix_sort_implINS0_14default_configELb0EPKhPhPKlPlN2at6native12_GLOBAL__N_18offset_tEEE10hipError_tPvRmT1_PNSt15iterator_traitsIS12_E10value_typeET2_T3_PNS13_IS18_E10value_typeET4_jRbjT5_S1E_jjP12ihipStream_tbEUljE_ZNSN_ISO_Lb0ESQ_SR_ST_SU_SY_EESZ_S10_S11_S12_S16_S17_S18_S1B_S1C_jS1D_jS1E_S1E_jjS1G_bEUljE0_EEESZ_S10_S11_S18_S1C_S1E_T6_T7_T9_mT8_S1G_bDpT10_ENKUlT_T0_E_clISt17integral_constantIbLb0EES1U_EEDaS1P_S1Q_EUlS1P_E_NS1_11comp_targetILNS1_3genE0ELNS1_11target_archE4294967295ELNS1_3gpuE0ELNS1_3repE0EEENS1_30default_config_static_selectorELNS0_4arch9wavefront6targetE0EEEvS12_
                                        ; -- End function
	.set _ZN7rocprim17ROCPRIM_400000_NS6detail17trampoline_kernelINS0_13select_configILj256ELj13ELNS0_17block_load_methodE3ELS4_3ELS4_3ELNS0_20block_scan_algorithmE0ELj4294967295EEENS1_25partition_config_selectorILNS1_17partition_subalgoE4EjNS0_10empty_typeEbEEZZNS1_14partition_implILS8_4ELb0ES6_15HIP_vector_typeIjLj2EENS0_17counting_iteratorIjlEEPS9_SG_NS0_5tupleIJPjSI_NS0_16reverse_iteratorISI_EEEEENSH_IJSG_SG_SG_EEES9_SI_JZNS1_25segmented_radix_sort_implINS0_14default_configELb0EPKhPhPKlPlN2at6native12_GLOBAL__N_18offset_tEEE10hipError_tPvRmT1_PNSt15iterator_traitsIS12_E10value_typeET2_T3_PNS13_IS18_E10value_typeET4_jRbjT5_S1E_jjP12ihipStream_tbEUljE_ZNSN_ISO_Lb0ESQ_SR_ST_SU_SY_EESZ_S10_S11_S12_S16_S17_S18_S1B_S1C_jS1D_jS1E_S1E_jjS1G_bEUljE0_EEESZ_S10_S11_S18_S1C_S1E_T6_T7_T9_mT8_S1G_bDpT10_ENKUlT_T0_E_clISt17integral_constantIbLb0EES1U_EEDaS1P_S1Q_EUlS1P_E_NS1_11comp_targetILNS1_3genE0ELNS1_11target_archE4294967295ELNS1_3gpuE0ELNS1_3repE0EEENS1_30default_config_static_selectorELNS0_4arch9wavefront6targetE0EEEvS12_.num_vgpr, 81
	.set _ZN7rocprim17ROCPRIM_400000_NS6detail17trampoline_kernelINS0_13select_configILj256ELj13ELNS0_17block_load_methodE3ELS4_3ELS4_3ELNS0_20block_scan_algorithmE0ELj4294967295EEENS1_25partition_config_selectorILNS1_17partition_subalgoE4EjNS0_10empty_typeEbEEZZNS1_14partition_implILS8_4ELb0ES6_15HIP_vector_typeIjLj2EENS0_17counting_iteratorIjlEEPS9_SG_NS0_5tupleIJPjSI_NS0_16reverse_iteratorISI_EEEEENSH_IJSG_SG_SG_EEES9_SI_JZNS1_25segmented_radix_sort_implINS0_14default_configELb0EPKhPhPKlPlN2at6native12_GLOBAL__N_18offset_tEEE10hipError_tPvRmT1_PNSt15iterator_traitsIS12_E10value_typeET2_T3_PNS13_IS18_E10value_typeET4_jRbjT5_S1E_jjP12ihipStream_tbEUljE_ZNSN_ISO_Lb0ESQ_SR_ST_SU_SY_EESZ_S10_S11_S12_S16_S17_S18_S1B_S1C_jS1D_jS1E_S1E_jjS1G_bEUljE0_EEESZ_S10_S11_S18_S1C_S1E_T6_T7_T9_mT8_S1G_bDpT10_ENKUlT_T0_E_clISt17integral_constantIbLb0EES1U_EEDaS1P_S1Q_EUlS1P_E_NS1_11comp_targetILNS1_3genE0ELNS1_11target_archE4294967295ELNS1_3gpuE0ELNS1_3repE0EEENS1_30default_config_static_selectorELNS0_4arch9wavefront6targetE0EEEvS12_.num_agpr, 0
	.set _ZN7rocprim17ROCPRIM_400000_NS6detail17trampoline_kernelINS0_13select_configILj256ELj13ELNS0_17block_load_methodE3ELS4_3ELS4_3ELNS0_20block_scan_algorithmE0ELj4294967295EEENS1_25partition_config_selectorILNS1_17partition_subalgoE4EjNS0_10empty_typeEbEEZZNS1_14partition_implILS8_4ELb0ES6_15HIP_vector_typeIjLj2EENS0_17counting_iteratorIjlEEPS9_SG_NS0_5tupleIJPjSI_NS0_16reverse_iteratorISI_EEEEENSH_IJSG_SG_SG_EEES9_SI_JZNS1_25segmented_radix_sort_implINS0_14default_configELb0EPKhPhPKlPlN2at6native12_GLOBAL__N_18offset_tEEE10hipError_tPvRmT1_PNSt15iterator_traitsIS12_E10value_typeET2_T3_PNS13_IS18_E10value_typeET4_jRbjT5_S1E_jjP12ihipStream_tbEUljE_ZNSN_ISO_Lb0ESQ_SR_ST_SU_SY_EESZ_S10_S11_S12_S16_S17_S18_S1B_S1C_jS1D_jS1E_S1E_jjS1G_bEUljE0_EEESZ_S10_S11_S18_S1C_S1E_T6_T7_T9_mT8_S1G_bDpT10_ENKUlT_T0_E_clISt17integral_constantIbLb0EES1U_EEDaS1P_S1Q_EUlS1P_E_NS1_11comp_targetILNS1_3genE0ELNS1_11target_archE4294967295ELNS1_3gpuE0ELNS1_3repE0EEENS1_30default_config_static_selectorELNS0_4arch9wavefront6targetE0EEEvS12_.numbered_sgpr, 59
	.set _ZN7rocprim17ROCPRIM_400000_NS6detail17trampoline_kernelINS0_13select_configILj256ELj13ELNS0_17block_load_methodE3ELS4_3ELS4_3ELNS0_20block_scan_algorithmE0ELj4294967295EEENS1_25partition_config_selectorILNS1_17partition_subalgoE4EjNS0_10empty_typeEbEEZZNS1_14partition_implILS8_4ELb0ES6_15HIP_vector_typeIjLj2EENS0_17counting_iteratorIjlEEPS9_SG_NS0_5tupleIJPjSI_NS0_16reverse_iteratorISI_EEEEENSH_IJSG_SG_SG_EEES9_SI_JZNS1_25segmented_radix_sort_implINS0_14default_configELb0EPKhPhPKlPlN2at6native12_GLOBAL__N_18offset_tEEE10hipError_tPvRmT1_PNSt15iterator_traitsIS12_E10value_typeET2_T3_PNS13_IS18_E10value_typeET4_jRbjT5_S1E_jjP12ihipStream_tbEUljE_ZNSN_ISO_Lb0ESQ_SR_ST_SU_SY_EESZ_S10_S11_S12_S16_S17_S18_S1B_S1C_jS1D_jS1E_S1E_jjS1G_bEUljE0_EEESZ_S10_S11_S18_S1C_S1E_T6_T7_T9_mT8_S1G_bDpT10_ENKUlT_T0_E_clISt17integral_constantIbLb0EES1U_EEDaS1P_S1Q_EUlS1P_E_NS1_11comp_targetILNS1_3genE0ELNS1_11target_archE4294967295ELNS1_3gpuE0ELNS1_3repE0EEENS1_30default_config_static_selectorELNS0_4arch9wavefront6targetE0EEEvS12_.num_named_barrier, 0
	.set _ZN7rocprim17ROCPRIM_400000_NS6detail17trampoline_kernelINS0_13select_configILj256ELj13ELNS0_17block_load_methodE3ELS4_3ELS4_3ELNS0_20block_scan_algorithmE0ELj4294967295EEENS1_25partition_config_selectorILNS1_17partition_subalgoE4EjNS0_10empty_typeEbEEZZNS1_14partition_implILS8_4ELb0ES6_15HIP_vector_typeIjLj2EENS0_17counting_iteratorIjlEEPS9_SG_NS0_5tupleIJPjSI_NS0_16reverse_iteratorISI_EEEEENSH_IJSG_SG_SG_EEES9_SI_JZNS1_25segmented_radix_sort_implINS0_14default_configELb0EPKhPhPKlPlN2at6native12_GLOBAL__N_18offset_tEEE10hipError_tPvRmT1_PNSt15iterator_traitsIS12_E10value_typeET2_T3_PNS13_IS18_E10value_typeET4_jRbjT5_S1E_jjP12ihipStream_tbEUljE_ZNSN_ISO_Lb0ESQ_SR_ST_SU_SY_EESZ_S10_S11_S12_S16_S17_S18_S1B_S1C_jS1D_jS1E_S1E_jjS1G_bEUljE0_EEESZ_S10_S11_S18_S1C_S1E_T6_T7_T9_mT8_S1G_bDpT10_ENKUlT_T0_E_clISt17integral_constantIbLb0EES1U_EEDaS1P_S1Q_EUlS1P_E_NS1_11comp_targetILNS1_3genE0ELNS1_11target_archE4294967295ELNS1_3gpuE0ELNS1_3repE0EEENS1_30default_config_static_selectorELNS0_4arch9wavefront6targetE0EEEvS12_.private_seg_size, 0
	.set _ZN7rocprim17ROCPRIM_400000_NS6detail17trampoline_kernelINS0_13select_configILj256ELj13ELNS0_17block_load_methodE3ELS4_3ELS4_3ELNS0_20block_scan_algorithmE0ELj4294967295EEENS1_25partition_config_selectorILNS1_17partition_subalgoE4EjNS0_10empty_typeEbEEZZNS1_14partition_implILS8_4ELb0ES6_15HIP_vector_typeIjLj2EENS0_17counting_iteratorIjlEEPS9_SG_NS0_5tupleIJPjSI_NS0_16reverse_iteratorISI_EEEEENSH_IJSG_SG_SG_EEES9_SI_JZNS1_25segmented_radix_sort_implINS0_14default_configELb0EPKhPhPKlPlN2at6native12_GLOBAL__N_18offset_tEEE10hipError_tPvRmT1_PNSt15iterator_traitsIS12_E10value_typeET2_T3_PNS13_IS18_E10value_typeET4_jRbjT5_S1E_jjP12ihipStream_tbEUljE_ZNSN_ISO_Lb0ESQ_SR_ST_SU_SY_EESZ_S10_S11_S12_S16_S17_S18_S1B_S1C_jS1D_jS1E_S1E_jjS1G_bEUljE0_EEESZ_S10_S11_S18_S1C_S1E_T6_T7_T9_mT8_S1G_bDpT10_ENKUlT_T0_E_clISt17integral_constantIbLb0EES1U_EEDaS1P_S1Q_EUlS1P_E_NS1_11comp_targetILNS1_3genE0ELNS1_11target_archE4294967295ELNS1_3gpuE0ELNS1_3repE0EEENS1_30default_config_static_selectorELNS0_4arch9wavefront6targetE0EEEvS12_.uses_vcc, 1
	.set _ZN7rocprim17ROCPRIM_400000_NS6detail17trampoline_kernelINS0_13select_configILj256ELj13ELNS0_17block_load_methodE3ELS4_3ELS4_3ELNS0_20block_scan_algorithmE0ELj4294967295EEENS1_25partition_config_selectorILNS1_17partition_subalgoE4EjNS0_10empty_typeEbEEZZNS1_14partition_implILS8_4ELb0ES6_15HIP_vector_typeIjLj2EENS0_17counting_iteratorIjlEEPS9_SG_NS0_5tupleIJPjSI_NS0_16reverse_iteratorISI_EEEEENSH_IJSG_SG_SG_EEES9_SI_JZNS1_25segmented_radix_sort_implINS0_14default_configELb0EPKhPhPKlPlN2at6native12_GLOBAL__N_18offset_tEEE10hipError_tPvRmT1_PNSt15iterator_traitsIS12_E10value_typeET2_T3_PNS13_IS18_E10value_typeET4_jRbjT5_S1E_jjP12ihipStream_tbEUljE_ZNSN_ISO_Lb0ESQ_SR_ST_SU_SY_EESZ_S10_S11_S12_S16_S17_S18_S1B_S1C_jS1D_jS1E_S1E_jjS1G_bEUljE0_EEESZ_S10_S11_S18_S1C_S1E_T6_T7_T9_mT8_S1G_bDpT10_ENKUlT_T0_E_clISt17integral_constantIbLb0EES1U_EEDaS1P_S1Q_EUlS1P_E_NS1_11comp_targetILNS1_3genE0ELNS1_11target_archE4294967295ELNS1_3gpuE0ELNS1_3repE0EEENS1_30default_config_static_selectorELNS0_4arch9wavefront6targetE0EEEvS12_.uses_flat_scratch, 0
	.set _ZN7rocprim17ROCPRIM_400000_NS6detail17trampoline_kernelINS0_13select_configILj256ELj13ELNS0_17block_load_methodE3ELS4_3ELS4_3ELNS0_20block_scan_algorithmE0ELj4294967295EEENS1_25partition_config_selectorILNS1_17partition_subalgoE4EjNS0_10empty_typeEbEEZZNS1_14partition_implILS8_4ELb0ES6_15HIP_vector_typeIjLj2EENS0_17counting_iteratorIjlEEPS9_SG_NS0_5tupleIJPjSI_NS0_16reverse_iteratorISI_EEEEENSH_IJSG_SG_SG_EEES9_SI_JZNS1_25segmented_radix_sort_implINS0_14default_configELb0EPKhPhPKlPlN2at6native12_GLOBAL__N_18offset_tEEE10hipError_tPvRmT1_PNSt15iterator_traitsIS12_E10value_typeET2_T3_PNS13_IS18_E10value_typeET4_jRbjT5_S1E_jjP12ihipStream_tbEUljE_ZNSN_ISO_Lb0ESQ_SR_ST_SU_SY_EESZ_S10_S11_S12_S16_S17_S18_S1B_S1C_jS1D_jS1E_S1E_jjS1G_bEUljE0_EEESZ_S10_S11_S18_S1C_S1E_T6_T7_T9_mT8_S1G_bDpT10_ENKUlT_T0_E_clISt17integral_constantIbLb0EES1U_EEDaS1P_S1Q_EUlS1P_E_NS1_11comp_targetILNS1_3genE0ELNS1_11target_archE4294967295ELNS1_3gpuE0ELNS1_3repE0EEENS1_30default_config_static_selectorELNS0_4arch9wavefront6targetE0EEEvS12_.has_dyn_sized_stack, 0
	.set _ZN7rocprim17ROCPRIM_400000_NS6detail17trampoline_kernelINS0_13select_configILj256ELj13ELNS0_17block_load_methodE3ELS4_3ELS4_3ELNS0_20block_scan_algorithmE0ELj4294967295EEENS1_25partition_config_selectorILNS1_17partition_subalgoE4EjNS0_10empty_typeEbEEZZNS1_14partition_implILS8_4ELb0ES6_15HIP_vector_typeIjLj2EENS0_17counting_iteratorIjlEEPS9_SG_NS0_5tupleIJPjSI_NS0_16reverse_iteratorISI_EEEEENSH_IJSG_SG_SG_EEES9_SI_JZNS1_25segmented_radix_sort_implINS0_14default_configELb0EPKhPhPKlPlN2at6native12_GLOBAL__N_18offset_tEEE10hipError_tPvRmT1_PNSt15iterator_traitsIS12_E10value_typeET2_T3_PNS13_IS18_E10value_typeET4_jRbjT5_S1E_jjP12ihipStream_tbEUljE_ZNSN_ISO_Lb0ESQ_SR_ST_SU_SY_EESZ_S10_S11_S12_S16_S17_S18_S1B_S1C_jS1D_jS1E_S1E_jjS1G_bEUljE0_EEESZ_S10_S11_S18_S1C_S1E_T6_T7_T9_mT8_S1G_bDpT10_ENKUlT_T0_E_clISt17integral_constantIbLb0EES1U_EEDaS1P_S1Q_EUlS1P_E_NS1_11comp_targetILNS1_3genE0ELNS1_11target_archE4294967295ELNS1_3gpuE0ELNS1_3repE0EEENS1_30default_config_static_selectorELNS0_4arch9wavefront6targetE0EEEvS12_.has_recursion, 0
	.set _ZN7rocprim17ROCPRIM_400000_NS6detail17trampoline_kernelINS0_13select_configILj256ELj13ELNS0_17block_load_methodE3ELS4_3ELS4_3ELNS0_20block_scan_algorithmE0ELj4294967295EEENS1_25partition_config_selectorILNS1_17partition_subalgoE4EjNS0_10empty_typeEbEEZZNS1_14partition_implILS8_4ELb0ES6_15HIP_vector_typeIjLj2EENS0_17counting_iteratorIjlEEPS9_SG_NS0_5tupleIJPjSI_NS0_16reverse_iteratorISI_EEEEENSH_IJSG_SG_SG_EEES9_SI_JZNS1_25segmented_radix_sort_implINS0_14default_configELb0EPKhPhPKlPlN2at6native12_GLOBAL__N_18offset_tEEE10hipError_tPvRmT1_PNSt15iterator_traitsIS12_E10value_typeET2_T3_PNS13_IS18_E10value_typeET4_jRbjT5_S1E_jjP12ihipStream_tbEUljE_ZNSN_ISO_Lb0ESQ_SR_ST_SU_SY_EESZ_S10_S11_S12_S16_S17_S18_S1B_S1C_jS1D_jS1E_S1E_jjS1G_bEUljE0_EEESZ_S10_S11_S18_S1C_S1E_T6_T7_T9_mT8_S1G_bDpT10_ENKUlT_T0_E_clISt17integral_constantIbLb0EES1U_EEDaS1P_S1Q_EUlS1P_E_NS1_11comp_targetILNS1_3genE0ELNS1_11target_archE4294967295ELNS1_3gpuE0ELNS1_3repE0EEENS1_30default_config_static_selectorELNS0_4arch9wavefront6targetE0EEEvS12_.has_indirect_call, 0
	.section	.AMDGPU.csdata,"",@progbits
; Kernel info:
; codeLenInByte = 17784
; TotalNumSgprs: 61
; NumVgprs: 81
; ScratchSize: 0
; MemoryBound: 0
; FloatMode: 240
; IeeeMode: 1
; LDSByteSize: 13328 bytes/workgroup (compile time only)
; SGPRBlocks: 0
; VGPRBlocks: 5
; NumSGPRsForWavesPerEU: 61
; NumVGPRsForWavesPerEU: 81
; NamedBarCnt: 0
; Occupancy: 10
; WaveLimiterHint : 1
; COMPUTE_PGM_RSRC2:SCRATCH_EN: 0
; COMPUTE_PGM_RSRC2:USER_SGPR: 2
; COMPUTE_PGM_RSRC2:TRAP_HANDLER: 0
; COMPUTE_PGM_RSRC2:TGID_X_EN: 1
; COMPUTE_PGM_RSRC2:TGID_Y_EN: 0
; COMPUTE_PGM_RSRC2:TGID_Z_EN: 0
; COMPUTE_PGM_RSRC2:TIDIG_COMP_CNT: 0
	.section	.text._ZN7rocprim17ROCPRIM_400000_NS6detail17trampoline_kernelINS0_13select_configILj256ELj13ELNS0_17block_load_methodE3ELS4_3ELS4_3ELNS0_20block_scan_algorithmE0ELj4294967295EEENS1_25partition_config_selectorILNS1_17partition_subalgoE4EjNS0_10empty_typeEbEEZZNS1_14partition_implILS8_4ELb0ES6_15HIP_vector_typeIjLj2EENS0_17counting_iteratorIjlEEPS9_SG_NS0_5tupleIJPjSI_NS0_16reverse_iteratorISI_EEEEENSH_IJSG_SG_SG_EEES9_SI_JZNS1_25segmented_radix_sort_implINS0_14default_configELb0EPKhPhPKlPlN2at6native12_GLOBAL__N_18offset_tEEE10hipError_tPvRmT1_PNSt15iterator_traitsIS12_E10value_typeET2_T3_PNS13_IS18_E10value_typeET4_jRbjT5_S1E_jjP12ihipStream_tbEUljE_ZNSN_ISO_Lb0ESQ_SR_ST_SU_SY_EESZ_S10_S11_S12_S16_S17_S18_S1B_S1C_jS1D_jS1E_S1E_jjS1G_bEUljE0_EEESZ_S10_S11_S18_S1C_S1E_T6_T7_T9_mT8_S1G_bDpT10_ENKUlT_T0_E_clISt17integral_constantIbLb0EES1U_EEDaS1P_S1Q_EUlS1P_E_NS1_11comp_targetILNS1_3genE5ELNS1_11target_archE942ELNS1_3gpuE9ELNS1_3repE0EEENS1_30default_config_static_selectorELNS0_4arch9wavefront6targetE0EEEvS12_,"axG",@progbits,_ZN7rocprim17ROCPRIM_400000_NS6detail17trampoline_kernelINS0_13select_configILj256ELj13ELNS0_17block_load_methodE3ELS4_3ELS4_3ELNS0_20block_scan_algorithmE0ELj4294967295EEENS1_25partition_config_selectorILNS1_17partition_subalgoE4EjNS0_10empty_typeEbEEZZNS1_14partition_implILS8_4ELb0ES6_15HIP_vector_typeIjLj2EENS0_17counting_iteratorIjlEEPS9_SG_NS0_5tupleIJPjSI_NS0_16reverse_iteratorISI_EEEEENSH_IJSG_SG_SG_EEES9_SI_JZNS1_25segmented_radix_sort_implINS0_14default_configELb0EPKhPhPKlPlN2at6native12_GLOBAL__N_18offset_tEEE10hipError_tPvRmT1_PNSt15iterator_traitsIS12_E10value_typeET2_T3_PNS13_IS18_E10value_typeET4_jRbjT5_S1E_jjP12ihipStream_tbEUljE_ZNSN_ISO_Lb0ESQ_SR_ST_SU_SY_EESZ_S10_S11_S12_S16_S17_S18_S1B_S1C_jS1D_jS1E_S1E_jjS1G_bEUljE0_EEESZ_S10_S11_S18_S1C_S1E_T6_T7_T9_mT8_S1G_bDpT10_ENKUlT_T0_E_clISt17integral_constantIbLb0EES1U_EEDaS1P_S1Q_EUlS1P_E_NS1_11comp_targetILNS1_3genE5ELNS1_11target_archE942ELNS1_3gpuE9ELNS1_3repE0EEENS1_30default_config_static_selectorELNS0_4arch9wavefront6targetE0EEEvS12_,comdat
	.globl	_ZN7rocprim17ROCPRIM_400000_NS6detail17trampoline_kernelINS0_13select_configILj256ELj13ELNS0_17block_load_methodE3ELS4_3ELS4_3ELNS0_20block_scan_algorithmE0ELj4294967295EEENS1_25partition_config_selectorILNS1_17partition_subalgoE4EjNS0_10empty_typeEbEEZZNS1_14partition_implILS8_4ELb0ES6_15HIP_vector_typeIjLj2EENS0_17counting_iteratorIjlEEPS9_SG_NS0_5tupleIJPjSI_NS0_16reverse_iteratorISI_EEEEENSH_IJSG_SG_SG_EEES9_SI_JZNS1_25segmented_radix_sort_implINS0_14default_configELb0EPKhPhPKlPlN2at6native12_GLOBAL__N_18offset_tEEE10hipError_tPvRmT1_PNSt15iterator_traitsIS12_E10value_typeET2_T3_PNS13_IS18_E10value_typeET4_jRbjT5_S1E_jjP12ihipStream_tbEUljE_ZNSN_ISO_Lb0ESQ_SR_ST_SU_SY_EESZ_S10_S11_S12_S16_S17_S18_S1B_S1C_jS1D_jS1E_S1E_jjS1G_bEUljE0_EEESZ_S10_S11_S18_S1C_S1E_T6_T7_T9_mT8_S1G_bDpT10_ENKUlT_T0_E_clISt17integral_constantIbLb0EES1U_EEDaS1P_S1Q_EUlS1P_E_NS1_11comp_targetILNS1_3genE5ELNS1_11target_archE942ELNS1_3gpuE9ELNS1_3repE0EEENS1_30default_config_static_selectorELNS0_4arch9wavefront6targetE0EEEvS12_ ; -- Begin function _ZN7rocprim17ROCPRIM_400000_NS6detail17trampoline_kernelINS0_13select_configILj256ELj13ELNS0_17block_load_methodE3ELS4_3ELS4_3ELNS0_20block_scan_algorithmE0ELj4294967295EEENS1_25partition_config_selectorILNS1_17partition_subalgoE4EjNS0_10empty_typeEbEEZZNS1_14partition_implILS8_4ELb0ES6_15HIP_vector_typeIjLj2EENS0_17counting_iteratorIjlEEPS9_SG_NS0_5tupleIJPjSI_NS0_16reverse_iteratorISI_EEEEENSH_IJSG_SG_SG_EEES9_SI_JZNS1_25segmented_radix_sort_implINS0_14default_configELb0EPKhPhPKlPlN2at6native12_GLOBAL__N_18offset_tEEE10hipError_tPvRmT1_PNSt15iterator_traitsIS12_E10value_typeET2_T3_PNS13_IS18_E10value_typeET4_jRbjT5_S1E_jjP12ihipStream_tbEUljE_ZNSN_ISO_Lb0ESQ_SR_ST_SU_SY_EESZ_S10_S11_S12_S16_S17_S18_S1B_S1C_jS1D_jS1E_S1E_jjS1G_bEUljE0_EEESZ_S10_S11_S18_S1C_S1E_T6_T7_T9_mT8_S1G_bDpT10_ENKUlT_T0_E_clISt17integral_constantIbLb0EES1U_EEDaS1P_S1Q_EUlS1P_E_NS1_11comp_targetILNS1_3genE5ELNS1_11target_archE942ELNS1_3gpuE9ELNS1_3repE0EEENS1_30default_config_static_selectorELNS0_4arch9wavefront6targetE0EEEvS12_
	.p2align	8
	.type	_ZN7rocprim17ROCPRIM_400000_NS6detail17trampoline_kernelINS0_13select_configILj256ELj13ELNS0_17block_load_methodE3ELS4_3ELS4_3ELNS0_20block_scan_algorithmE0ELj4294967295EEENS1_25partition_config_selectorILNS1_17partition_subalgoE4EjNS0_10empty_typeEbEEZZNS1_14partition_implILS8_4ELb0ES6_15HIP_vector_typeIjLj2EENS0_17counting_iteratorIjlEEPS9_SG_NS0_5tupleIJPjSI_NS0_16reverse_iteratorISI_EEEEENSH_IJSG_SG_SG_EEES9_SI_JZNS1_25segmented_radix_sort_implINS0_14default_configELb0EPKhPhPKlPlN2at6native12_GLOBAL__N_18offset_tEEE10hipError_tPvRmT1_PNSt15iterator_traitsIS12_E10value_typeET2_T3_PNS13_IS18_E10value_typeET4_jRbjT5_S1E_jjP12ihipStream_tbEUljE_ZNSN_ISO_Lb0ESQ_SR_ST_SU_SY_EESZ_S10_S11_S12_S16_S17_S18_S1B_S1C_jS1D_jS1E_S1E_jjS1G_bEUljE0_EEESZ_S10_S11_S18_S1C_S1E_T6_T7_T9_mT8_S1G_bDpT10_ENKUlT_T0_E_clISt17integral_constantIbLb0EES1U_EEDaS1P_S1Q_EUlS1P_E_NS1_11comp_targetILNS1_3genE5ELNS1_11target_archE942ELNS1_3gpuE9ELNS1_3repE0EEENS1_30default_config_static_selectorELNS0_4arch9wavefront6targetE0EEEvS12_,@function
_ZN7rocprim17ROCPRIM_400000_NS6detail17trampoline_kernelINS0_13select_configILj256ELj13ELNS0_17block_load_methodE3ELS4_3ELS4_3ELNS0_20block_scan_algorithmE0ELj4294967295EEENS1_25partition_config_selectorILNS1_17partition_subalgoE4EjNS0_10empty_typeEbEEZZNS1_14partition_implILS8_4ELb0ES6_15HIP_vector_typeIjLj2EENS0_17counting_iteratorIjlEEPS9_SG_NS0_5tupleIJPjSI_NS0_16reverse_iteratorISI_EEEEENSH_IJSG_SG_SG_EEES9_SI_JZNS1_25segmented_radix_sort_implINS0_14default_configELb0EPKhPhPKlPlN2at6native12_GLOBAL__N_18offset_tEEE10hipError_tPvRmT1_PNSt15iterator_traitsIS12_E10value_typeET2_T3_PNS13_IS18_E10value_typeET4_jRbjT5_S1E_jjP12ihipStream_tbEUljE_ZNSN_ISO_Lb0ESQ_SR_ST_SU_SY_EESZ_S10_S11_S12_S16_S17_S18_S1B_S1C_jS1D_jS1E_S1E_jjS1G_bEUljE0_EEESZ_S10_S11_S18_S1C_S1E_T6_T7_T9_mT8_S1G_bDpT10_ENKUlT_T0_E_clISt17integral_constantIbLb0EES1U_EEDaS1P_S1Q_EUlS1P_E_NS1_11comp_targetILNS1_3genE5ELNS1_11target_archE942ELNS1_3gpuE9ELNS1_3repE0EEENS1_30default_config_static_selectorELNS0_4arch9wavefront6targetE0EEEvS12_: ; @_ZN7rocprim17ROCPRIM_400000_NS6detail17trampoline_kernelINS0_13select_configILj256ELj13ELNS0_17block_load_methodE3ELS4_3ELS4_3ELNS0_20block_scan_algorithmE0ELj4294967295EEENS1_25partition_config_selectorILNS1_17partition_subalgoE4EjNS0_10empty_typeEbEEZZNS1_14partition_implILS8_4ELb0ES6_15HIP_vector_typeIjLj2EENS0_17counting_iteratorIjlEEPS9_SG_NS0_5tupleIJPjSI_NS0_16reverse_iteratorISI_EEEEENSH_IJSG_SG_SG_EEES9_SI_JZNS1_25segmented_radix_sort_implINS0_14default_configELb0EPKhPhPKlPlN2at6native12_GLOBAL__N_18offset_tEEE10hipError_tPvRmT1_PNSt15iterator_traitsIS12_E10value_typeET2_T3_PNS13_IS18_E10value_typeET4_jRbjT5_S1E_jjP12ihipStream_tbEUljE_ZNSN_ISO_Lb0ESQ_SR_ST_SU_SY_EESZ_S10_S11_S12_S16_S17_S18_S1B_S1C_jS1D_jS1E_S1E_jjS1G_bEUljE0_EEESZ_S10_S11_S18_S1C_S1E_T6_T7_T9_mT8_S1G_bDpT10_ENKUlT_T0_E_clISt17integral_constantIbLb0EES1U_EEDaS1P_S1Q_EUlS1P_E_NS1_11comp_targetILNS1_3genE5ELNS1_11target_archE942ELNS1_3gpuE9ELNS1_3repE0EEENS1_30default_config_static_selectorELNS0_4arch9wavefront6targetE0EEEvS12_
; %bb.0:
	.section	.rodata,"a",@progbits
	.p2align	6, 0x0
	.amdhsa_kernel _ZN7rocprim17ROCPRIM_400000_NS6detail17trampoline_kernelINS0_13select_configILj256ELj13ELNS0_17block_load_methodE3ELS4_3ELS4_3ELNS0_20block_scan_algorithmE0ELj4294967295EEENS1_25partition_config_selectorILNS1_17partition_subalgoE4EjNS0_10empty_typeEbEEZZNS1_14partition_implILS8_4ELb0ES6_15HIP_vector_typeIjLj2EENS0_17counting_iteratorIjlEEPS9_SG_NS0_5tupleIJPjSI_NS0_16reverse_iteratorISI_EEEEENSH_IJSG_SG_SG_EEES9_SI_JZNS1_25segmented_radix_sort_implINS0_14default_configELb0EPKhPhPKlPlN2at6native12_GLOBAL__N_18offset_tEEE10hipError_tPvRmT1_PNSt15iterator_traitsIS12_E10value_typeET2_T3_PNS13_IS18_E10value_typeET4_jRbjT5_S1E_jjP12ihipStream_tbEUljE_ZNSN_ISO_Lb0ESQ_SR_ST_SU_SY_EESZ_S10_S11_S12_S16_S17_S18_S1B_S1C_jS1D_jS1E_S1E_jjS1G_bEUljE0_EEESZ_S10_S11_S18_S1C_S1E_T6_T7_T9_mT8_S1G_bDpT10_ENKUlT_T0_E_clISt17integral_constantIbLb0EES1U_EEDaS1P_S1Q_EUlS1P_E_NS1_11comp_targetILNS1_3genE5ELNS1_11target_archE942ELNS1_3gpuE9ELNS1_3repE0EEENS1_30default_config_static_selectorELNS0_4arch9wavefront6targetE0EEEvS12_
		.amdhsa_group_segment_fixed_size 0
		.amdhsa_private_segment_fixed_size 0
		.amdhsa_kernarg_size 176
		.amdhsa_user_sgpr_count 2
		.amdhsa_user_sgpr_dispatch_ptr 0
		.amdhsa_user_sgpr_queue_ptr 0
		.amdhsa_user_sgpr_kernarg_segment_ptr 1
		.amdhsa_user_sgpr_dispatch_id 0
		.amdhsa_user_sgpr_kernarg_preload_length 0
		.amdhsa_user_sgpr_kernarg_preload_offset 0
		.amdhsa_user_sgpr_private_segment_size 0
		.amdhsa_wavefront_size32 1
		.amdhsa_uses_dynamic_stack 0
		.amdhsa_enable_private_segment 0
		.amdhsa_system_sgpr_workgroup_id_x 1
		.amdhsa_system_sgpr_workgroup_id_y 0
		.amdhsa_system_sgpr_workgroup_id_z 0
		.amdhsa_system_sgpr_workgroup_info 0
		.amdhsa_system_vgpr_workitem_id 0
		.amdhsa_next_free_vgpr 1
		.amdhsa_next_free_sgpr 1
		.amdhsa_named_barrier_count 0
		.amdhsa_reserve_vcc 0
		.amdhsa_float_round_mode_32 0
		.amdhsa_float_round_mode_16_64 0
		.amdhsa_float_denorm_mode_32 3
		.amdhsa_float_denorm_mode_16_64 3
		.amdhsa_fp16_overflow 0
		.amdhsa_memory_ordered 1
		.amdhsa_forward_progress 1
		.amdhsa_inst_pref_size 0
		.amdhsa_round_robin_scheduling 0
		.amdhsa_exception_fp_ieee_invalid_op 0
		.amdhsa_exception_fp_denorm_src 0
		.amdhsa_exception_fp_ieee_div_zero 0
		.amdhsa_exception_fp_ieee_overflow 0
		.amdhsa_exception_fp_ieee_underflow 0
		.amdhsa_exception_fp_ieee_inexact 0
		.amdhsa_exception_int_div_zero 0
	.end_amdhsa_kernel
	.section	.text._ZN7rocprim17ROCPRIM_400000_NS6detail17trampoline_kernelINS0_13select_configILj256ELj13ELNS0_17block_load_methodE3ELS4_3ELS4_3ELNS0_20block_scan_algorithmE0ELj4294967295EEENS1_25partition_config_selectorILNS1_17partition_subalgoE4EjNS0_10empty_typeEbEEZZNS1_14partition_implILS8_4ELb0ES6_15HIP_vector_typeIjLj2EENS0_17counting_iteratorIjlEEPS9_SG_NS0_5tupleIJPjSI_NS0_16reverse_iteratorISI_EEEEENSH_IJSG_SG_SG_EEES9_SI_JZNS1_25segmented_radix_sort_implINS0_14default_configELb0EPKhPhPKlPlN2at6native12_GLOBAL__N_18offset_tEEE10hipError_tPvRmT1_PNSt15iterator_traitsIS12_E10value_typeET2_T3_PNS13_IS18_E10value_typeET4_jRbjT5_S1E_jjP12ihipStream_tbEUljE_ZNSN_ISO_Lb0ESQ_SR_ST_SU_SY_EESZ_S10_S11_S12_S16_S17_S18_S1B_S1C_jS1D_jS1E_S1E_jjS1G_bEUljE0_EEESZ_S10_S11_S18_S1C_S1E_T6_T7_T9_mT8_S1G_bDpT10_ENKUlT_T0_E_clISt17integral_constantIbLb0EES1U_EEDaS1P_S1Q_EUlS1P_E_NS1_11comp_targetILNS1_3genE5ELNS1_11target_archE942ELNS1_3gpuE9ELNS1_3repE0EEENS1_30default_config_static_selectorELNS0_4arch9wavefront6targetE0EEEvS12_,"axG",@progbits,_ZN7rocprim17ROCPRIM_400000_NS6detail17trampoline_kernelINS0_13select_configILj256ELj13ELNS0_17block_load_methodE3ELS4_3ELS4_3ELNS0_20block_scan_algorithmE0ELj4294967295EEENS1_25partition_config_selectorILNS1_17partition_subalgoE4EjNS0_10empty_typeEbEEZZNS1_14partition_implILS8_4ELb0ES6_15HIP_vector_typeIjLj2EENS0_17counting_iteratorIjlEEPS9_SG_NS0_5tupleIJPjSI_NS0_16reverse_iteratorISI_EEEEENSH_IJSG_SG_SG_EEES9_SI_JZNS1_25segmented_radix_sort_implINS0_14default_configELb0EPKhPhPKlPlN2at6native12_GLOBAL__N_18offset_tEEE10hipError_tPvRmT1_PNSt15iterator_traitsIS12_E10value_typeET2_T3_PNS13_IS18_E10value_typeET4_jRbjT5_S1E_jjP12ihipStream_tbEUljE_ZNSN_ISO_Lb0ESQ_SR_ST_SU_SY_EESZ_S10_S11_S12_S16_S17_S18_S1B_S1C_jS1D_jS1E_S1E_jjS1G_bEUljE0_EEESZ_S10_S11_S18_S1C_S1E_T6_T7_T9_mT8_S1G_bDpT10_ENKUlT_T0_E_clISt17integral_constantIbLb0EES1U_EEDaS1P_S1Q_EUlS1P_E_NS1_11comp_targetILNS1_3genE5ELNS1_11target_archE942ELNS1_3gpuE9ELNS1_3repE0EEENS1_30default_config_static_selectorELNS0_4arch9wavefront6targetE0EEEvS12_,comdat
.Lfunc_end122:
	.size	_ZN7rocprim17ROCPRIM_400000_NS6detail17trampoline_kernelINS0_13select_configILj256ELj13ELNS0_17block_load_methodE3ELS4_3ELS4_3ELNS0_20block_scan_algorithmE0ELj4294967295EEENS1_25partition_config_selectorILNS1_17partition_subalgoE4EjNS0_10empty_typeEbEEZZNS1_14partition_implILS8_4ELb0ES6_15HIP_vector_typeIjLj2EENS0_17counting_iteratorIjlEEPS9_SG_NS0_5tupleIJPjSI_NS0_16reverse_iteratorISI_EEEEENSH_IJSG_SG_SG_EEES9_SI_JZNS1_25segmented_radix_sort_implINS0_14default_configELb0EPKhPhPKlPlN2at6native12_GLOBAL__N_18offset_tEEE10hipError_tPvRmT1_PNSt15iterator_traitsIS12_E10value_typeET2_T3_PNS13_IS18_E10value_typeET4_jRbjT5_S1E_jjP12ihipStream_tbEUljE_ZNSN_ISO_Lb0ESQ_SR_ST_SU_SY_EESZ_S10_S11_S12_S16_S17_S18_S1B_S1C_jS1D_jS1E_S1E_jjS1G_bEUljE0_EEESZ_S10_S11_S18_S1C_S1E_T6_T7_T9_mT8_S1G_bDpT10_ENKUlT_T0_E_clISt17integral_constantIbLb0EES1U_EEDaS1P_S1Q_EUlS1P_E_NS1_11comp_targetILNS1_3genE5ELNS1_11target_archE942ELNS1_3gpuE9ELNS1_3repE0EEENS1_30default_config_static_selectorELNS0_4arch9wavefront6targetE0EEEvS12_, .Lfunc_end122-_ZN7rocprim17ROCPRIM_400000_NS6detail17trampoline_kernelINS0_13select_configILj256ELj13ELNS0_17block_load_methodE3ELS4_3ELS4_3ELNS0_20block_scan_algorithmE0ELj4294967295EEENS1_25partition_config_selectorILNS1_17partition_subalgoE4EjNS0_10empty_typeEbEEZZNS1_14partition_implILS8_4ELb0ES6_15HIP_vector_typeIjLj2EENS0_17counting_iteratorIjlEEPS9_SG_NS0_5tupleIJPjSI_NS0_16reverse_iteratorISI_EEEEENSH_IJSG_SG_SG_EEES9_SI_JZNS1_25segmented_radix_sort_implINS0_14default_configELb0EPKhPhPKlPlN2at6native12_GLOBAL__N_18offset_tEEE10hipError_tPvRmT1_PNSt15iterator_traitsIS12_E10value_typeET2_T3_PNS13_IS18_E10value_typeET4_jRbjT5_S1E_jjP12ihipStream_tbEUljE_ZNSN_ISO_Lb0ESQ_SR_ST_SU_SY_EESZ_S10_S11_S12_S16_S17_S18_S1B_S1C_jS1D_jS1E_S1E_jjS1G_bEUljE0_EEESZ_S10_S11_S18_S1C_S1E_T6_T7_T9_mT8_S1G_bDpT10_ENKUlT_T0_E_clISt17integral_constantIbLb0EES1U_EEDaS1P_S1Q_EUlS1P_E_NS1_11comp_targetILNS1_3genE5ELNS1_11target_archE942ELNS1_3gpuE9ELNS1_3repE0EEENS1_30default_config_static_selectorELNS0_4arch9wavefront6targetE0EEEvS12_
                                        ; -- End function
	.set _ZN7rocprim17ROCPRIM_400000_NS6detail17trampoline_kernelINS0_13select_configILj256ELj13ELNS0_17block_load_methodE3ELS4_3ELS4_3ELNS0_20block_scan_algorithmE0ELj4294967295EEENS1_25partition_config_selectorILNS1_17partition_subalgoE4EjNS0_10empty_typeEbEEZZNS1_14partition_implILS8_4ELb0ES6_15HIP_vector_typeIjLj2EENS0_17counting_iteratorIjlEEPS9_SG_NS0_5tupleIJPjSI_NS0_16reverse_iteratorISI_EEEEENSH_IJSG_SG_SG_EEES9_SI_JZNS1_25segmented_radix_sort_implINS0_14default_configELb0EPKhPhPKlPlN2at6native12_GLOBAL__N_18offset_tEEE10hipError_tPvRmT1_PNSt15iterator_traitsIS12_E10value_typeET2_T3_PNS13_IS18_E10value_typeET4_jRbjT5_S1E_jjP12ihipStream_tbEUljE_ZNSN_ISO_Lb0ESQ_SR_ST_SU_SY_EESZ_S10_S11_S12_S16_S17_S18_S1B_S1C_jS1D_jS1E_S1E_jjS1G_bEUljE0_EEESZ_S10_S11_S18_S1C_S1E_T6_T7_T9_mT8_S1G_bDpT10_ENKUlT_T0_E_clISt17integral_constantIbLb0EES1U_EEDaS1P_S1Q_EUlS1P_E_NS1_11comp_targetILNS1_3genE5ELNS1_11target_archE942ELNS1_3gpuE9ELNS1_3repE0EEENS1_30default_config_static_selectorELNS0_4arch9wavefront6targetE0EEEvS12_.num_vgpr, 0
	.set _ZN7rocprim17ROCPRIM_400000_NS6detail17trampoline_kernelINS0_13select_configILj256ELj13ELNS0_17block_load_methodE3ELS4_3ELS4_3ELNS0_20block_scan_algorithmE0ELj4294967295EEENS1_25partition_config_selectorILNS1_17partition_subalgoE4EjNS0_10empty_typeEbEEZZNS1_14partition_implILS8_4ELb0ES6_15HIP_vector_typeIjLj2EENS0_17counting_iteratorIjlEEPS9_SG_NS0_5tupleIJPjSI_NS0_16reverse_iteratorISI_EEEEENSH_IJSG_SG_SG_EEES9_SI_JZNS1_25segmented_radix_sort_implINS0_14default_configELb0EPKhPhPKlPlN2at6native12_GLOBAL__N_18offset_tEEE10hipError_tPvRmT1_PNSt15iterator_traitsIS12_E10value_typeET2_T3_PNS13_IS18_E10value_typeET4_jRbjT5_S1E_jjP12ihipStream_tbEUljE_ZNSN_ISO_Lb0ESQ_SR_ST_SU_SY_EESZ_S10_S11_S12_S16_S17_S18_S1B_S1C_jS1D_jS1E_S1E_jjS1G_bEUljE0_EEESZ_S10_S11_S18_S1C_S1E_T6_T7_T9_mT8_S1G_bDpT10_ENKUlT_T0_E_clISt17integral_constantIbLb0EES1U_EEDaS1P_S1Q_EUlS1P_E_NS1_11comp_targetILNS1_3genE5ELNS1_11target_archE942ELNS1_3gpuE9ELNS1_3repE0EEENS1_30default_config_static_selectorELNS0_4arch9wavefront6targetE0EEEvS12_.num_agpr, 0
	.set _ZN7rocprim17ROCPRIM_400000_NS6detail17trampoline_kernelINS0_13select_configILj256ELj13ELNS0_17block_load_methodE3ELS4_3ELS4_3ELNS0_20block_scan_algorithmE0ELj4294967295EEENS1_25partition_config_selectorILNS1_17partition_subalgoE4EjNS0_10empty_typeEbEEZZNS1_14partition_implILS8_4ELb0ES6_15HIP_vector_typeIjLj2EENS0_17counting_iteratorIjlEEPS9_SG_NS0_5tupleIJPjSI_NS0_16reverse_iteratorISI_EEEEENSH_IJSG_SG_SG_EEES9_SI_JZNS1_25segmented_radix_sort_implINS0_14default_configELb0EPKhPhPKlPlN2at6native12_GLOBAL__N_18offset_tEEE10hipError_tPvRmT1_PNSt15iterator_traitsIS12_E10value_typeET2_T3_PNS13_IS18_E10value_typeET4_jRbjT5_S1E_jjP12ihipStream_tbEUljE_ZNSN_ISO_Lb0ESQ_SR_ST_SU_SY_EESZ_S10_S11_S12_S16_S17_S18_S1B_S1C_jS1D_jS1E_S1E_jjS1G_bEUljE0_EEESZ_S10_S11_S18_S1C_S1E_T6_T7_T9_mT8_S1G_bDpT10_ENKUlT_T0_E_clISt17integral_constantIbLb0EES1U_EEDaS1P_S1Q_EUlS1P_E_NS1_11comp_targetILNS1_3genE5ELNS1_11target_archE942ELNS1_3gpuE9ELNS1_3repE0EEENS1_30default_config_static_selectorELNS0_4arch9wavefront6targetE0EEEvS12_.numbered_sgpr, 0
	.set _ZN7rocprim17ROCPRIM_400000_NS6detail17trampoline_kernelINS0_13select_configILj256ELj13ELNS0_17block_load_methodE3ELS4_3ELS4_3ELNS0_20block_scan_algorithmE0ELj4294967295EEENS1_25partition_config_selectorILNS1_17partition_subalgoE4EjNS0_10empty_typeEbEEZZNS1_14partition_implILS8_4ELb0ES6_15HIP_vector_typeIjLj2EENS0_17counting_iteratorIjlEEPS9_SG_NS0_5tupleIJPjSI_NS0_16reverse_iteratorISI_EEEEENSH_IJSG_SG_SG_EEES9_SI_JZNS1_25segmented_radix_sort_implINS0_14default_configELb0EPKhPhPKlPlN2at6native12_GLOBAL__N_18offset_tEEE10hipError_tPvRmT1_PNSt15iterator_traitsIS12_E10value_typeET2_T3_PNS13_IS18_E10value_typeET4_jRbjT5_S1E_jjP12ihipStream_tbEUljE_ZNSN_ISO_Lb0ESQ_SR_ST_SU_SY_EESZ_S10_S11_S12_S16_S17_S18_S1B_S1C_jS1D_jS1E_S1E_jjS1G_bEUljE0_EEESZ_S10_S11_S18_S1C_S1E_T6_T7_T9_mT8_S1G_bDpT10_ENKUlT_T0_E_clISt17integral_constantIbLb0EES1U_EEDaS1P_S1Q_EUlS1P_E_NS1_11comp_targetILNS1_3genE5ELNS1_11target_archE942ELNS1_3gpuE9ELNS1_3repE0EEENS1_30default_config_static_selectorELNS0_4arch9wavefront6targetE0EEEvS12_.num_named_barrier, 0
	.set _ZN7rocprim17ROCPRIM_400000_NS6detail17trampoline_kernelINS0_13select_configILj256ELj13ELNS0_17block_load_methodE3ELS4_3ELS4_3ELNS0_20block_scan_algorithmE0ELj4294967295EEENS1_25partition_config_selectorILNS1_17partition_subalgoE4EjNS0_10empty_typeEbEEZZNS1_14partition_implILS8_4ELb0ES6_15HIP_vector_typeIjLj2EENS0_17counting_iteratorIjlEEPS9_SG_NS0_5tupleIJPjSI_NS0_16reverse_iteratorISI_EEEEENSH_IJSG_SG_SG_EEES9_SI_JZNS1_25segmented_radix_sort_implINS0_14default_configELb0EPKhPhPKlPlN2at6native12_GLOBAL__N_18offset_tEEE10hipError_tPvRmT1_PNSt15iterator_traitsIS12_E10value_typeET2_T3_PNS13_IS18_E10value_typeET4_jRbjT5_S1E_jjP12ihipStream_tbEUljE_ZNSN_ISO_Lb0ESQ_SR_ST_SU_SY_EESZ_S10_S11_S12_S16_S17_S18_S1B_S1C_jS1D_jS1E_S1E_jjS1G_bEUljE0_EEESZ_S10_S11_S18_S1C_S1E_T6_T7_T9_mT8_S1G_bDpT10_ENKUlT_T0_E_clISt17integral_constantIbLb0EES1U_EEDaS1P_S1Q_EUlS1P_E_NS1_11comp_targetILNS1_3genE5ELNS1_11target_archE942ELNS1_3gpuE9ELNS1_3repE0EEENS1_30default_config_static_selectorELNS0_4arch9wavefront6targetE0EEEvS12_.private_seg_size, 0
	.set _ZN7rocprim17ROCPRIM_400000_NS6detail17trampoline_kernelINS0_13select_configILj256ELj13ELNS0_17block_load_methodE3ELS4_3ELS4_3ELNS0_20block_scan_algorithmE0ELj4294967295EEENS1_25partition_config_selectorILNS1_17partition_subalgoE4EjNS0_10empty_typeEbEEZZNS1_14partition_implILS8_4ELb0ES6_15HIP_vector_typeIjLj2EENS0_17counting_iteratorIjlEEPS9_SG_NS0_5tupleIJPjSI_NS0_16reverse_iteratorISI_EEEEENSH_IJSG_SG_SG_EEES9_SI_JZNS1_25segmented_radix_sort_implINS0_14default_configELb0EPKhPhPKlPlN2at6native12_GLOBAL__N_18offset_tEEE10hipError_tPvRmT1_PNSt15iterator_traitsIS12_E10value_typeET2_T3_PNS13_IS18_E10value_typeET4_jRbjT5_S1E_jjP12ihipStream_tbEUljE_ZNSN_ISO_Lb0ESQ_SR_ST_SU_SY_EESZ_S10_S11_S12_S16_S17_S18_S1B_S1C_jS1D_jS1E_S1E_jjS1G_bEUljE0_EEESZ_S10_S11_S18_S1C_S1E_T6_T7_T9_mT8_S1G_bDpT10_ENKUlT_T0_E_clISt17integral_constantIbLb0EES1U_EEDaS1P_S1Q_EUlS1P_E_NS1_11comp_targetILNS1_3genE5ELNS1_11target_archE942ELNS1_3gpuE9ELNS1_3repE0EEENS1_30default_config_static_selectorELNS0_4arch9wavefront6targetE0EEEvS12_.uses_vcc, 0
	.set _ZN7rocprim17ROCPRIM_400000_NS6detail17trampoline_kernelINS0_13select_configILj256ELj13ELNS0_17block_load_methodE3ELS4_3ELS4_3ELNS0_20block_scan_algorithmE0ELj4294967295EEENS1_25partition_config_selectorILNS1_17partition_subalgoE4EjNS0_10empty_typeEbEEZZNS1_14partition_implILS8_4ELb0ES6_15HIP_vector_typeIjLj2EENS0_17counting_iteratorIjlEEPS9_SG_NS0_5tupleIJPjSI_NS0_16reverse_iteratorISI_EEEEENSH_IJSG_SG_SG_EEES9_SI_JZNS1_25segmented_radix_sort_implINS0_14default_configELb0EPKhPhPKlPlN2at6native12_GLOBAL__N_18offset_tEEE10hipError_tPvRmT1_PNSt15iterator_traitsIS12_E10value_typeET2_T3_PNS13_IS18_E10value_typeET4_jRbjT5_S1E_jjP12ihipStream_tbEUljE_ZNSN_ISO_Lb0ESQ_SR_ST_SU_SY_EESZ_S10_S11_S12_S16_S17_S18_S1B_S1C_jS1D_jS1E_S1E_jjS1G_bEUljE0_EEESZ_S10_S11_S18_S1C_S1E_T6_T7_T9_mT8_S1G_bDpT10_ENKUlT_T0_E_clISt17integral_constantIbLb0EES1U_EEDaS1P_S1Q_EUlS1P_E_NS1_11comp_targetILNS1_3genE5ELNS1_11target_archE942ELNS1_3gpuE9ELNS1_3repE0EEENS1_30default_config_static_selectorELNS0_4arch9wavefront6targetE0EEEvS12_.uses_flat_scratch, 0
	.set _ZN7rocprim17ROCPRIM_400000_NS6detail17trampoline_kernelINS0_13select_configILj256ELj13ELNS0_17block_load_methodE3ELS4_3ELS4_3ELNS0_20block_scan_algorithmE0ELj4294967295EEENS1_25partition_config_selectorILNS1_17partition_subalgoE4EjNS0_10empty_typeEbEEZZNS1_14partition_implILS8_4ELb0ES6_15HIP_vector_typeIjLj2EENS0_17counting_iteratorIjlEEPS9_SG_NS0_5tupleIJPjSI_NS0_16reverse_iteratorISI_EEEEENSH_IJSG_SG_SG_EEES9_SI_JZNS1_25segmented_radix_sort_implINS0_14default_configELb0EPKhPhPKlPlN2at6native12_GLOBAL__N_18offset_tEEE10hipError_tPvRmT1_PNSt15iterator_traitsIS12_E10value_typeET2_T3_PNS13_IS18_E10value_typeET4_jRbjT5_S1E_jjP12ihipStream_tbEUljE_ZNSN_ISO_Lb0ESQ_SR_ST_SU_SY_EESZ_S10_S11_S12_S16_S17_S18_S1B_S1C_jS1D_jS1E_S1E_jjS1G_bEUljE0_EEESZ_S10_S11_S18_S1C_S1E_T6_T7_T9_mT8_S1G_bDpT10_ENKUlT_T0_E_clISt17integral_constantIbLb0EES1U_EEDaS1P_S1Q_EUlS1P_E_NS1_11comp_targetILNS1_3genE5ELNS1_11target_archE942ELNS1_3gpuE9ELNS1_3repE0EEENS1_30default_config_static_selectorELNS0_4arch9wavefront6targetE0EEEvS12_.has_dyn_sized_stack, 0
	.set _ZN7rocprim17ROCPRIM_400000_NS6detail17trampoline_kernelINS0_13select_configILj256ELj13ELNS0_17block_load_methodE3ELS4_3ELS4_3ELNS0_20block_scan_algorithmE0ELj4294967295EEENS1_25partition_config_selectorILNS1_17partition_subalgoE4EjNS0_10empty_typeEbEEZZNS1_14partition_implILS8_4ELb0ES6_15HIP_vector_typeIjLj2EENS0_17counting_iteratorIjlEEPS9_SG_NS0_5tupleIJPjSI_NS0_16reverse_iteratorISI_EEEEENSH_IJSG_SG_SG_EEES9_SI_JZNS1_25segmented_radix_sort_implINS0_14default_configELb0EPKhPhPKlPlN2at6native12_GLOBAL__N_18offset_tEEE10hipError_tPvRmT1_PNSt15iterator_traitsIS12_E10value_typeET2_T3_PNS13_IS18_E10value_typeET4_jRbjT5_S1E_jjP12ihipStream_tbEUljE_ZNSN_ISO_Lb0ESQ_SR_ST_SU_SY_EESZ_S10_S11_S12_S16_S17_S18_S1B_S1C_jS1D_jS1E_S1E_jjS1G_bEUljE0_EEESZ_S10_S11_S18_S1C_S1E_T6_T7_T9_mT8_S1G_bDpT10_ENKUlT_T0_E_clISt17integral_constantIbLb0EES1U_EEDaS1P_S1Q_EUlS1P_E_NS1_11comp_targetILNS1_3genE5ELNS1_11target_archE942ELNS1_3gpuE9ELNS1_3repE0EEENS1_30default_config_static_selectorELNS0_4arch9wavefront6targetE0EEEvS12_.has_recursion, 0
	.set _ZN7rocprim17ROCPRIM_400000_NS6detail17trampoline_kernelINS0_13select_configILj256ELj13ELNS0_17block_load_methodE3ELS4_3ELS4_3ELNS0_20block_scan_algorithmE0ELj4294967295EEENS1_25partition_config_selectorILNS1_17partition_subalgoE4EjNS0_10empty_typeEbEEZZNS1_14partition_implILS8_4ELb0ES6_15HIP_vector_typeIjLj2EENS0_17counting_iteratorIjlEEPS9_SG_NS0_5tupleIJPjSI_NS0_16reverse_iteratorISI_EEEEENSH_IJSG_SG_SG_EEES9_SI_JZNS1_25segmented_radix_sort_implINS0_14default_configELb0EPKhPhPKlPlN2at6native12_GLOBAL__N_18offset_tEEE10hipError_tPvRmT1_PNSt15iterator_traitsIS12_E10value_typeET2_T3_PNS13_IS18_E10value_typeET4_jRbjT5_S1E_jjP12ihipStream_tbEUljE_ZNSN_ISO_Lb0ESQ_SR_ST_SU_SY_EESZ_S10_S11_S12_S16_S17_S18_S1B_S1C_jS1D_jS1E_S1E_jjS1G_bEUljE0_EEESZ_S10_S11_S18_S1C_S1E_T6_T7_T9_mT8_S1G_bDpT10_ENKUlT_T0_E_clISt17integral_constantIbLb0EES1U_EEDaS1P_S1Q_EUlS1P_E_NS1_11comp_targetILNS1_3genE5ELNS1_11target_archE942ELNS1_3gpuE9ELNS1_3repE0EEENS1_30default_config_static_selectorELNS0_4arch9wavefront6targetE0EEEvS12_.has_indirect_call, 0
	.section	.AMDGPU.csdata,"",@progbits
; Kernel info:
; codeLenInByte = 0
; TotalNumSgprs: 0
; NumVgprs: 0
; ScratchSize: 0
; MemoryBound: 0
; FloatMode: 240
; IeeeMode: 1
; LDSByteSize: 0 bytes/workgroup (compile time only)
; SGPRBlocks: 0
; VGPRBlocks: 0
; NumSGPRsForWavesPerEU: 1
; NumVGPRsForWavesPerEU: 1
; NamedBarCnt: 0
; Occupancy: 16
; WaveLimiterHint : 0
; COMPUTE_PGM_RSRC2:SCRATCH_EN: 0
; COMPUTE_PGM_RSRC2:USER_SGPR: 2
; COMPUTE_PGM_RSRC2:TRAP_HANDLER: 0
; COMPUTE_PGM_RSRC2:TGID_X_EN: 1
; COMPUTE_PGM_RSRC2:TGID_Y_EN: 0
; COMPUTE_PGM_RSRC2:TGID_Z_EN: 0
; COMPUTE_PGM_RSRC2:TIDIG_COMP_CNT: 0
	.section	.text._ZN7rocprim17ROCPRIM_400000_NS6detail17trampoline_kernelINS0_13select_configILj256ELj13ELNS0_17block_load_methodE3ELS4_3ELS4_3ELNS0_20block_scan_algorithmE0ELj4294967295EEENS1_25partition_config_selectorILNS1_17partition_subalgoE4EjNS0_10empty_typeEbEEZZNS1_14partition_implILS8_4ELb0ES6_15HIP_vector_typeIjLj2EENS0_17counting_iteratorIjlEEPS9_SG_NS0_5tupleIJPjSI_NS0_16reverse_iteratorISI_EEEEENSH_IJSG_SG_SG_EEES9_SI_JZNS1_25segmented_radix_sort_implINS0_14default_configELb0EPKhPhPKlPlN2at6native12_GLOBAL__N_18offset_tEEE10hipError_tPvRmT1_PNSt15iterator_traitsIS12_E10value_typeET2_T3_PNS13_IS18_E10value_typeET4_jRbjT5_S1E_jjP12ihipStream_tbEUljE_ZNSN_ISO_Lb0ESQ_SR_ST_SU_SY_EESZ_S10_S11_S12_S16_S17_S18_S1B_S1C_jS1D_jS1E_S1E_jjS1G_bEUljE0_EEESZ_S10_S11_S18_S1C_S1E_T6_T7_T9_mT8_S1G_bDpT10_ENKUlT_T0_E_clISt17integral_constantIbLb0EES1U_EEDaS1P_S1Q_EUlS1P_E_NS1_11comp_targetILNS1_3genE4ELNS1_11target_archE910ELNS1_3gpuE8ELNS1_3repE0EEENS1_30default_config_static_selectorELNS0_4arch9wavefront6targetE0EEEvS12_,"axG",@progbits,_ZN7rocprim17ROCPRIM_400000_NS6detail17trampoline_kernelINS0_13select_configILj256ELj13ELNS0_17block_load_methodE3ELS4_3ELS4_3ELNS0_20block_scan_algorithmE0ELj4294967295EEENS1_25partition_config_selectorILNS1_17partition_subalgoE4EjNS0_10empty_typeEbEEZZNS1_14partition_implILS8_4ELb0ES6_15HIP_vector_typeIjLj2EENS0_17counting_iteratorIjlEEPS9_SG_NS0_5tupleIJPjSI_NS0_16reverse_iteratorISI_EEEEENSH_IJSG_SG_SG_EEES9_SI_JZNS1_25segmented_radix_sort_implINS0_14default_configELb0EPKhPhPKlPlN2at6native12_GLOBAL__N_18offset_tEEE10hipError_tPvRmT1_PNSt15iterator_traitsIS12_E10value_typeET2_T3_PNS13_IS18_E10value_typeET4_jRbjT5_S1E_jjP12ihipStream_tbEUljE_ZNSN_ISO_Lb0ESQ_SR_ST_SU_SY_EESZ_S10_S11_S12_S16_S17_S18_S1B_S1C_jS1D_jS1E_S1E_jjS1G_bEUljE0_EEESZ_S10_S11_S18_S1C_S1E_T6_T7_T9_mT8_S1G_bDpT10_ENKUlT_T0_E_clISt17integral_constantIbLb0EES1U_EEDaS1P_S1Q_EUlS1P_E_NS1_11comp_targetILNS1_3genE4ELNS1_11target_archE910ELNS1_3gpuE8ELNS1_3repE0EEENS1_30default_config_static_selectorELNS0_4arch9wavefront6targetE0EEEvS12_,comdat
	.globl	_ZN7rocprim17ROCPRIM_400000_NS6detail17trampoline_kernelINS0_13select_configILj256ELj13ELNS0_17block_load_methodE3ELS4_3ELS4_3ELNS0_20block_scan_algorithmE0ELj4294967295EEENS1_25partition_config_selectorILNS1_17partition_subalgoE4EjNS0_10empty_typeEbEEZZNS1_14partition_implILS8_4ELb0ES6_15HIP_vector_typeIjLj2EENS0_17counting_iteratorIjlEEPS9_SG_NS0_5tupleIJPjSI_NS0_16reverse_iteratorISI_EEEEENSH_IJSG_SG_SG_EEES9_SI_JZNS1_25segmented_radix_sort_implINS0_14default_configELb0EPKhPhPKlPlN2at6native12_GLOBAL__N_18offset_tEEE10hipError_tPvRmT1_PNSt15iterator_traitsIS12_E10value_typeET2_T3_PNS13_IS18_E10value_typeET4_jRbjT5_S1E_jjP12ihipStream_tbEUljE_ZNSN_ISO_Lb0ESQ_SR_ST_SU_SY_EESZ_S10_S11_S12_S16_S17_S18_S1B_S1C_jS1D_jS1E_S1E_jjS1G_bEUljE0_EEESZ_S10_S11_S18_S1C_S1E_T6_T7_T9_mT8_S1G_bDpT10_ENKUlT_T0_E_clISt17integral_constantIbLb0EES1U_EEDaS1P_S1Q_EUlS1P_E_NS1_11comp_targetILNS1_3genE4ELNS1_11target_archE910ELNS1_3gpuE8ELNS1_3repE0EEENS1_30default_config_static_selectorELNS0_4arch9wavefront6targetE0EEEvS12_ ; -- Begin function _ZN7rocprim17ROCPRIM_400000_NS6detail17trampoline_kernelINS0_13select_configILj256ELj13ELNS0_17block_load_methodE3ELS4_3ELS4_3ELNS0_20block_scan_algorithmE0ELj4294967295EEENS1_25partition_config_selectorILNS1_17partition_subalgoE4EjNS0_10empty_typeEbEEZZNS1_14partition_implILS8_4ELb0ES6_15HIP_vector_typeIjLj2EENS0_17counting_iteratorIjlEEPS9_SG_NS0_5tupleIJPjSI_NS0_16reverse_iteratorISI_EEEEENSH_IJSG_SG_SG_EEES9_SI_JZNS1_25segmented_radix_sort_implINS0_14default_configELb0EPKhPhPKlPlN2at6native12_GLOBAL__N_18offset_tEEE10hipError_tPvRmT1_PNSt15iterator_traitsIS12_E10value_typeET2_T3_PNS13_IS18_E10value_typeET4_jRbjT5_S1E_jjP12ihipStream_tbEUljE_ZNSN_ISO_Lb0ESQ_SR_ST_SU_SY_EESZ_S10_S11_S12_S16_S17_S18_S1B_S1C_jS1D_jS1E_S1E_jjS1G_bEUljE0_EEESZ_S10_S11_S18_S1C_S1E_T6_T7_T9_mT8_S1G_bDpT10_ENKUlT_T0_E_clISt17integral_constantIbLb0EES1U_EEDaS1P_S1Q_EUlS1P_E_NS1_11comp_targetILNS1_3genE4ELNS1_11target_archE910ELNS1_3gpuE8ELNS1_3repE0EEENS1_30default_config_static_selectorELNS0_4arch9wavefront6targetE0EEEvS12_
	.p2align	8
	.type	_ZN7rocprim17ROCPRIM_400000_NS6detail17trampoline_kernelINS0_13select_configILj256ELj13ELNS0_17block_load_methodE3ELS4_3ELS4_3ELNS0_20block_scan_algorithmE0ELj4294967295EEENS1_25partition_config_selectorILNS1_17partition_subalgoE4EjNS0_10empty_typeEbEEZZNS1_14partition_implILS8_4ELb0ES6_15HIP_vector_typeIjLj2EENS0_17counting_iteratorIjlEEPS9_SG_NS0_5tupleIJPjSI_NS0_16reverse_iteratorISI_EEEEENSH_IJSG_SG_SG_EEES9_SI_JZNS1_25segmented_radix_sort_implINS0_14default_configELb0EPKhPhPKlPlN2at6native12_GLOBAL__N_18offset_tEEE10hipError_tPvRmT1_PNSt15iterator_traitsIS12_E10value_typeET2_T3_PNS13_IS18_E10value_typeET4_jRbjT5_S1E_jjP12ihipStream_tbEUljE_ZNSN_ISO_Lb0ESQ_SR_ST_SU_SY_EESZ_S10_S11_S12_S16_S17_S18_S1B_S1C_jS1D_jS1E_S1E_jjS1G_bEUljE0_EEESZ_S10_S11_S18_S1C_S1E_T6_T7_T9_mT8_S1G_bDpT10_ENKUlT_T0_E_clISt17integral_constantIbLb0EES1U_EEDaS1P_S1Q_EUlS1P_E_NS1_11comp_targetILNS1_3genE4ELNS1_11target_archE910ELNS1_3gpuE8ELNS1_3repE0EEENS1_30default_config_static_selectorELNS0_4arch9wavefront6targetE0EEEvS12_,@function
_ZN7rocprim17ROCPRIM_400000_NS6detail17trampoline_kernelINS0_13select_configILj256ELj13ELNS0_17block_load_methodE3ELS4_3ELS4_3ELNS0_20block_scan_algorithmE0ELj4294967295EEENS1_25partition_config_selectorILNS1_17partition_subalgoE4EjNS0_10empty_typeEbEEZZNS1_14partition_implILS8_4ELb0ES6_15HIP_vector_typeIjLj2EENS0_17counting_iteratorIjlEEPS9_SG_NS0_5tupleIJPjSI_NS0_16reverse_iteratorISI_EEEEENSH_IJSG_SG_SG_EEES9_SI_JZNS1_25segmented_radix_sort_implINS0_14default_configELb0EPKhPhPKlPlN2at6native12_GLOBAL__N_18offset_tEEE10hipError_tPvRmT1_PNSt15iterator_traitsIS12_E10value_typeET2_T3_PNS13_IS18_E10value_typeET4_jRbjT5_S1E_jjP12ihipStream_tbEUljE_ZNSN_ISO_Lb0ESQ_SR_ST_SU_SY_EESZ_S10_S11_S12_S16_S17_S18_S1B_S1C_jS1D_jS1E_S1E_jjS1G_bEUljE0_EEESZ_S10_S11_S18_S1C_S1E_T6_T7_T9_mT8_S1G_bDpT10_ENKUlT_T0_E_clISt17integral_constantIbLb0EES1U_EEDaS1P_S1Q_EUlS1P_E_NS1_11comp_targetILNS1_3genE4ELNS1_11target_archE910ELNS1_3gpuE8ELNS1_3repE0EEENS1_30default_config_static_selectorELNS0_4arch9wavefront6targetE0EEEvS12_: ; @_ZN7rocprim17ROCPRIM_400000_NS6detail17trampoline_kernelINS0_13select_configILj256ELj13ELNS0_17block_load_methodE3ELS4_3ELS4_3ELNS0_20block_scan_algorithmE0ELj4294967295EEENS1_25partition_config_selectorILNS1_17partition_subalgoE4EjNS0_10empty_typeEbEEZZNS1_14partition_implILS8_4ELb0ES6_15HIP_vector_typeIjLj2EENS0_17counting_iteratorIjlEEPS9_SG_NS0_5tupleIJPjSI_NS0_16reverse_iteratorISI_EEEEENSH_IJSG_SG_SG_EEES9_SI_JZNS1_25segmented_radix_sort_implINS0_14default_configELb0EPKhPhPKlPlN2at6native12_GLOBAL__N_18offset_tEEE10hipError_tPvRmT1_PNSt15iterator_traitsIS12_E10value_typeET2_T3_PNS13_IS18_E10value_typeET4_jRbjT5_S1E_jjP12ihipStream_tbEUljE_ZNSN_ISO_Lb0ESQ_SR_ST_SU_SY_EESZ_S10_S11_S12_S16_S17_S18_S1B_S1C_jS1D_jS1E_S1E_jjS1G_bEUljE0_EEESZ_S10_S11_S18_S1C_S1E_T6_T7_T9_mT8_S1G_bDpT10_ENKUlT_T0_E_clISt17integral_constantIbLb0EES1U_EEDaS1P_S1Q_EUlS1P_E_NS1_11comp_targetILNS1_3genE4ELNS1_11target_archE910ELNS1_3gpuE8ELNS1_3repE0EEENS1_30default_config_static_selectorELNS0_4arch9wavefront6targetE0EEEvS12_
; %bb.0:
	.section	.rodata,"a",@progbits
	.p2align	6, 0x0
	.amdhsa_kernel _ZN7rocprim17ROCPRIM_400000_NS6detail17trampoline_kernelINS0_13select_configILj256ELj13ELNS0_17block_load_methodE3ELS4_3ELS4_3ELNS0_20block_scan_algorithmE0ELj4294967295EEENS1_25partition_config_selectorILNS1_17partition_subalgoE4EjNS0_10empty_typeEbEEZZNS1_14partition_implILS8_4ELb0ES6_15HIP_vector_typeIjLj2EENS0_17counting_iteratorIjlEEPS9_SG_NS0_5tupleIJPjSI_NS0_16reverse_iteratorISI_EEEEENSH_IJSG_SG_SG_EEES9_SI_JZNS1_25segmented_radix_sort_implINS0_14default_configELb0EPKhPhPKlPlN2at6native12_GLOBAL__N_18offset_tEEE10hipError_tPvRmT1_PNSt15iterator_traitsIS12_E10value_typeET2_T3_PNS13_IS18_E10value_typeET4_jRbjT5_S1E_jjP12ihipStream_tbEUljE_ZNSN_ISO_Lb0ESQ_SR_ST_SU_SY_EESZ_S10_S11_S12_S16_S17_S18_S1B_S1C_jS1D_jS1E_S1E_jjS1G_bEUljE0_EEESZ_S10_S11_S18_S1C_S1E_T6_T7_T9_mT8_S1G_bDpT10_ENKUlT_T0_E_clISt17integral_constantIbLb0EES1U_EEDaS1P_S1Q_EUlS1P_E_NS1_11comp_targetILNS1_3genE4ELNS1_11target_archE910ELNS1_3gpuE8ELNS1_3repE0EEENS1_30default_config_static_selectorELNS0_4arch9wavefront6targetE0EEEvS12_
		.amdhsa_group_segment_fixed_size 0
		.amdhsa_private_segment_fixed_size 0
		.amdhsa_kernarg_size 176
		.amdhsa_user_sgpr_count 2
		.amdhsa_user_sgpr_dispatch_ptr 0
		.amdhsa_user_sgpr_queue_ptr 0
		.amdhsa_user_sgpr_kernarg_segment_ptr 1
		.amdhsa_user_sgpr_dispatch_id 0
		.amdhsa_user_sgpr_kernarg_preload_length 0
		.amdhsa_user_sgpr_kernarg_preload_offset 0
		.amdhsa_user_sgpr_private_segment_size 0
		.amdhsa_wavefront_size32 1
		.amdhsa_uses_dynamic_stack 0
		.amdhsa_enable_private_segment 0
		.amdhsa_system_sgpr_workgroup_id_x 1
		.amdhsa_system_sgpr_workgroup_id_y 0
		.amdhsa_system_sgpr_workgroup_id_z 0
		.amdhsa_system_sgpr_workgroup_info 0
		.amdhsa_system_vgpr_workitem_id 0
		.amdhsa_next_free_vgpr 1
		.amdhsa_next_free_sgpr 1
		.amdhsa_named_barrier_count 0
		.amdhsa_reserve_vcc 0
		.amdhsa_float_round_mode_32 0
		.amdhsa_float_round_mode_16_64 0
		.amdhsa_float_denorm_mode_32 3
		.amdhsa_float_denorm_mode_16_64 3
		.amdhsa_fp16_overflow 0
		.amdhsa_memory_ordered 1
		.amdhsa_forward_progress 1
		.amdhsa_inst_pref_size 0
		.amdhsa_round_robin_scheduling 0
		.amdhsa_exception_fp_ieee_invalid_op 0
		.amdhsa_exception_fp_denorm_src 0
		.amdhsa_exception_fp_ieee_div_zero 0
		.amdhsa_exception_fp_ieee_overflow 0
		.amdhsa_exception_fp_ieee_underflow 0
		.amdhsa_exception_fp_ieee_inexact 0
		.amdhsa_exception_int_div_zero 0
	.end_amdhsa_kernel
	.section	.text._ZN7rocprim17ROCPRIM_400000_NS6detail17trampoline_kernelINS0_13select_configILj256ELj13ELNS0_17block_load_methodE3ELS4_3ELS4_3ELNS0_20block_scan_algorithmE0ELj4294967295EEENS1_25partition_config_selectorILNS1_17partition_subalgoE4EjNS0_10empty_typeEbEEZZNS1_14partition_implILS8_4ELb0ES6_15HIP_vector_typeIjLj2EENS0_17counting_iteratorIjlEEPS9_SG_NS0_5tupleIJPjSI_NS0_16reverse_iteratorISI_EEEEENSH_IJSG_SG_SG_EEES9_SI_JZNS1_25segmented_radix_sort_implINS0_14default_configELb0EPKhPhPKlPlN2at6native12_GLOBAL__N_18offset_tEEE10hipError_tPvRmT1_PNSt15iterator_traitsIS12_E10value_typeET2_T3_PNS13_IS18_E10value_typeET4_jRbjT5_S1E_jjP12ihipStream_tbEUljE_ZNSN_ISO_Lb0ESQ_SR_ST_SU_SY_EESZ_S10_S11_S12_S16_S17_S18_S1B_S1C_jS1D_jS1E_S1E_jjS1G_bEUljE0_EEESZ_S10_S11_S18_S1C_S1E_T6_T7_T9_mT8_S1G_bDpT10_ENKUlT_T0_E_clISt17integral_constantIbLb0EES1U_EEDaS1P_S1Q_EUlS1P_E_NS1_11comp_targetILNS1_3genE4ELNS1_11target_archE910ELNS1_3gpuE8ELNS1_3repE0EEENS1_30default_config_static_selectorELNS0_4arch9wavefront6targetE0EEEvS12_,"axG",@progbits,_ZN7rocprim17ROCPRIM_400000_NS6detail17trampoline_kernelINS0_13select_configILj256ELj13ELNS0_17block_load_methodE3ELS4_3ELS4_3ELNS0_20block_scan_algorithmE0ELj4294967295EEENS1_25partition_config_selectorILNS1_17partition_subalgoE4EjNS0_10empty_typeEbEEZZNS1_14partition_implILS8_4ELb0ES6_15HIP_vector_typeIjLj2EENS0_17counting_iteratorIjlEEPS9_SG_NS0_5tupleIJPjSI_NS0_16reverse_iteratorISI_EEEEENSH_IJSG_SG_SG_EEES9_SI_JZNS1_25segmented_radix_sort_implINS0_14default_configELb0EPKhPhPKlPlN2at6native12_GLOBAL__N_18offset_tEEE10hipError_tPvRmT1_PNSt15iterator_traitsIS12_E10value_typeET2_T3_PNS13_IS18_E10value_typeET4_jRbjT5_S1E_jjP12ihipStream_tbEUljE_ZNSN_ISO_Lb0ESQ_SR_ST_SU_SY_EESZ_S10_S11_S12_S16_S17_S18_S1B_S1C_jS1D_jS1E_S1E_jjS1G_bEUljE0_EEESZ_S10_S11_S18_S1C_S1E_T6_T7_T9_mT8_S1G_bDpT10_ENKUlT_T0_E_clISt17integral_constantIbLb0EES1U_EEDaS1P_S1Q_EUlS1P_E_NS1_11comp_targetILNS1_3genE4ELNS1_11target_archE910ELNS1_3gpuE8ELNS1_3repE0EEENS1_30default_config_static_selectorELNS0_4arch9wavefront6targetE0EEEvS12_,comdat
.Lfunc_end123:
	.size	_ZN7rocprim17ROCPRIM_400000_NS6detail17trampoline_kernelINS0_13select_configILj256ELj13ELNS0_17block_load_methodE3ELS4_3ELS4_3ELNS0_20block_scan_algorithmE0ELj4294967295EEENS1_25partition_config_selectorILNS1_17partition_subalgoE4EjNS0_10empty_typeEbEEZZNS1_14partition_implILS8_4ELb0ES6_15HIP_vector_typeIjLj2EENS0_17counting_iteratorIjlEEPS9_SG_NS0_5tupleIJPjSI_NS0_16reverse_iteratorISI_EEEEENSH_IJSG_SG_SG_EEES9_SI_JZNS1_25segmented_radix_sort_implINS0_14default_configELb0EPKhPhPKlPlN2at6native12_GLOBAL__N_18offset_tEEE10hipError_tPvRmT1_PNSt15iterator_traitsIS12_E10value_typeET2_T3_PNS13_IS18_E10value_typeET4_jRbjT5_S1E_jjP12ihipStream_tbEUljE_ZNSN_ISO_Lb0ESQ_SR_ST_SU_SY_EESZ_S10_S11_S12_S16_S17_S18_S1B_S1C_jS1D_jS1E_S1E_jjS1G_bEUljE0_EEESZ_S10_S11_S18_S1C_S1E_T6_T7_T9_mT8_S1G_bDpT10_ENKUlT_T0_E_clISt17integral_constantIbLb0EES1U_EEDaS1P_S1Q_EUlS1P_E_NS1_11comp_targetILNS1_3genE4ELNS1_11target_archE910ELNS1_3gpuE8ELNS1_3repE0EEENS1_30default_config_static_selectorELNS0_4arch9wavefront6targetE0EEEvS12_, .Lfunc_end123-_ZN7rocprim17ROCPRIM_400000_NS6detail17trampoline_kernelINS0_13select_configILj256ELj13ELNS0_17block_load_methodE3ELS4_3ELS4_3ELNS0_20block_scan_algorithmE0ELj4294967295EEENS1_25partition_config_selectorILNS1_17partition_subalgoE4EjNS0_10empty_typeEbEEZZNS1_14partition_implILS8_4ELb0ES6_15HIP_vector_typeIjLj2EENS0_17counting_iteratorIjlEEPS9_SG_NS0_5tupleIJPjSI_NS0_16reverse_iteratorISI_EEEEENSH_IJSG_SG_SG_EEES9_SI_JZNS1_25segmented_radix_sort_implINS0_14default_configELb0EPKhPhPKlPlN2at6native12_GLOBAL__N_18offset_tEEE10hipError_tPvRmT1_PNSt15iterator_traitsIS12_E10value_typeET2_T3_PNS13_IS18_E10value_typeET4_jRbjT5_S1E_jjP12ihipStream_tbEUljE_ZNSN_ISO_Lb0ESQ_SR_ST_SU_SY_EESZ_S10_S11_S12_S16_S17_S18_S1B_S1C_jS1D_jS1E_S1E_jjS1G_bEUljE0_EEESZ_S10_S11_S18_S1C_S1E_T6_T7_T9_mT8_S1G_bDpT10_ENKUlT_T0_E_clISt17integral_constantIbLb0EES1U_EEDaS1P_S1Q_EUlS1P_E_NS1_11comp_targetILNS1_3genE4ELNS1_11target_archE910ELNS1_3gpuE8ELNS1_3repE0EEENS1_30default_config_static_selectorELNS0_4arch9wavefront6targetE0EEEvS12_
                                        ; -- End function
	.set _ZN7rocprim17ROCPRIM_400000_NS6detail17trampoline_kernelINS0_13select_configILj256ELj13ELNS0_17block_load_methodE3ELS4_3ELS4_3ELNS0_20block_scan_algorithmE0ELj4294967295EEENS1_25partition_config_selectorILNS1_17partition_subalgoE4EjNS0_10empty_typeEbEEZZNS1_14partition_implILS8_4ELb0ES6_15HIP_vector_typeIjLj2EENS0_17counting_iteratorIjlEEPS9_SG_NS0_5tupleIJPjSI_NS0_16reverse_iteratorISI_EEEEENSH_IJSG_SG_SG_EEES9_SI_JZNS1_25segmented_radix_sort_implINS0_14default_configELb0EPKhPhPKlPlN2at6native12_GLOBAL__N_18offset_tEEE10hipError_tPvRmT1_PNSt15iterator_traitsIS12_E10value_typeET2_T3_PNS13_IS18_E10value_typeET4_jRbjT5_S1E_jjP12ihipStream_tbEUljE_ZNSN_ISO_Lb0ESQ_SR_ST_SU_SY_EESZ_S10_S11_S12_S16_S17_S18_S1B_S1C_jS1D_jS1E_S1E_jjS1G_bEUljE0_EEESZ_S10_S11_S18_S1C_S1E_T6_T7_T9_mT8_S1G_bDpT10_ENKUlT_T0_E_clISt17integral_constantIbLb0EES1U_EEDaS1P_S1Q_EUlS1P_E_NS1_11comp_targetILNS1_3genE4ELNS1_11target_archE910ELNS1_3gpuE8ELNS1_3repE0EEENS1_30default_config_static_selectorELNS0_4arch9wavefront6targetE0EEEvS12_.num_vgpr, 0
	.set _ZN7rocprim17ROCPRIM_400000_NS6detail17trampoline_kernelINS0_13select_configILj256ELj13ELNS0_17block_load_methodE3ELS4_3ELS4_3ELNS0_20block_scan_algorithmE0ELj4294967295EEENS1_25partition_config_selectorILNS1_17partition_subalgoE4EjNS0_10empty_typeEbEEZZNS1_14partition_implILS8_4ELb0ES6_15HIP_vector_typeIjLj2EENS0_17counting_iteratorIjlEEPS9_SG_NS0_5tupleIJPjSI_NS0_16reverse_iteratorISI_EEEEENSH_IJSG_SG_SG_EEES9_SI_JZNS1_25segmented_radix_sort_implINS0_14default_configELb0EPKhPhPKlPlN2at6native12_GLOBAL__N_18offset_tEEE10hipError_tPvRmT1_PNSt15iterator_traitsIS12_E10value_typeET2_T3_PNS13_IS18_E10value_typeET4_jRbjT5_S1E_jjP12ihipStream_tbEUljE_ZNSN_ISO_Lb0ESQ_SR_ST_SU_SY_EESZ_S10_S11_S12_S16_S17_S18_S1B_S1C_jS1D_jS1E_S1E_jjS1G_bEUljE0_EEESZ_S10_S11_S18_S1C_S1E_T6_T7_T9_mT8_S1G_bDpT10_ENKUlT_T0_E_clISt17integral_constantIbLb0EES1U_EEDaS1P_S1Q_EUlS1P_E_NS1_11comp_targetILNS1_3genE4ELNS1_11target_archE910ELNS1_3gpuE8ELNS1_3repE0EEENS1_30default_config_static_selectorELNS0_4arch9wavefront6targetE0EEEvS12_.num_agpr, 0
	.set _ZN7rocprim17ROCPRIM_400000_NS6detail17trampoline_kernelINS0_13select_configILj256ELj13ELNS0_17block_load_methodE3ELS4_3ELS4_3ELNS0_20block_scan_algorithmE0ELj4294967295EEENS1_25partition_config_selectorILNS1_17partition_subalgoE4EjNS0_10empty_typeEbEEZZNS1_14partition_implILS8_4ELb0ES6_15HIP_vector_typeIjLj2EENS0_17counting_iteratorIjlEEPS9_SG_NS0_5tupleIJPjSI_NS0_16reverse_iteratorISI_EEEEENSH_IJSG_SG_SG_EEES9_SI_JZNS1_25segmented_radix_sort_implINS0_14default_configELb0EPKhPhPKlPlN2at6native12_GLOBAL__N_18offset_tEEE10hipError_tPvRmT1_PNSt15iterator_traitsIS12_E10value_typeET2_T3_PNS13_IS18_E10value_typeET4_jRbjT5_S1E_jjP12ihipStream_tbEUljE_ZNSN_ISO_Lb0ESQ_SR_ST_SU_SY_EESZ_S10_S11_S12_S16_S17_S18_S1B_S1C_jS1D_jS1E_S1E_jjS1G_bEUljE0_EEESZ_S10_S11_S18_S1C_S1E_T6_T7_T9_mT8_S1G_bDpT10_ENKUlT_T0_E_clISt17integral_constantIbLb0EES1U_EEDaS1P_S1Q_EUlS1P_E_NS1_11comp_targetILNS1_3genE4ELNS1_11target_archE910ELNS1_3gpuE8ELNS1_3repE0EEENS1_30default_config_static_selectorELNS0_4arch9wavefront6targetE0EEEvS12_.numbered_sgpr, 0
	.set _ZN7rocprim17ROCPRIM_400000_NS6detail17trampoline_kernelINS0_13select_configILj256ELj13ELNS0_17block_load_methodE3ELS4_3ELS4_3ELNS0_20block_scan_algorithmE0ELj4294967295EEENS1_25partition_config_selectorILNS1_17partition_subalgoE4EjNS0_10empty_typeEbEEZZNS1_14partition_implILS8_4ELb0ES6_15HIP_vector_typeIjLj2EENS0_17counting_iteratorIjlEEPS9_SG_NS0_5tupleIJPjSI_NS0_16reverse_iteratorISI_EEEEENSH_IJSG_SG_SG_EEES9_SI_JZNS1_25segmented_radix_sort_implINS0_14default_configELb0EPKhPhPKlPlN2at6native12_GLOBAL__N_18offset_tEEE10hipError_tPvRmT1_PNSt15iterator_traitsIS12_E10value_typeET2_T3_PNS13_IS18_E10value_typeET4_jRbjT5_S1E_jjP12ihipStream_tbEUljE_ZNSN_ISO_Lb0ESQ_SR_ST_SU_SY_EESZ_S10_S11_S12_S16_S17_S18_S1B_S1C_jS1D_jS1E_S1E_jjS1G_bEUljE0_EEESZ_S10_S11_S18_S1C_S1E_T6_T7_T9_mT8_S1G_bDpT10_ENKUlT_T0_E_clISt17integral_constantIbLb0EES1U_EEDaS1P_S1Q_EUlS1P_E_NS1_11comp_targetILNS1_3genE4ELNS1_11target_archE910ELNS1_3gpuE8ELNS1_3repE0EEENS1_30default_config_static_selectorELNS0_4arch9wavefront6targetE0EEEvS12_.num_named_barrier, 0
	.set _ZN7rocprim17ROCPRIM_400000_NS6detail17trampoline_kernelINS0_13select_configILj256ELj13ELNS0_17block_load_methodE3ELS4_3ELS4_3ELNS0_20block_scan_algorithmE0ELj4294967295EEENS1_25partition_config_selectorILNS1_17partition_subalgoE4EjNS0_10empty_typeEbEEZZNS1_14partition_implILS8_4ELb0ES6_15HIP_vector_typeIjLj2EENS0_17counting_iteratorIjlEEPS9_SG_NS0_5tupleIJPjSI_NS0_16reverse_iteratorISI_EEEEENSH_IJSG_SG_SG_EEES9_SI_JZNS1_25segmented_radix_sort_implINS0_14default_configELb0EPKhPhPKlPlN2at6native12_GLOBAL__N_18offset_tEEE10hipError_tPvRmT1_PNSt15iterator_traitsIS12_E10value_typeET2_T3_PNS13_IS18_E10value_typeET4_jRbjT5_S1E_jjP12ihipStream_tbEUljE_ZNSN_ISO_Lb0ESQ_SR_ST_SU_SY_EESZ_S10_S11_S12_S16_S17_S18_S1B_S1C_jS1D_jS1E_S1E_jjS1G_bEUljE0_EEESZ_S10_S11_S18_S1C_S1E_T6_T7_T9_mT8_S1G_bDpT10_ENKUlT_T0_E_clISt17integral_constantIbLb0EES1U_EEDaS1P_S1Q_EUlS1P_E_NS1_11comp_targetILNS1_3genE4ELNS1_11target_archE910ELNS1_3gpuE8ELNS1_3repE0EEENS1_30default_config_static_selectorELNS0_4arch9wavefront6targetE0EEEvS12_.private_seg_size, 0
	.set _ZN7rocprim17ROCPRIM_400000_NS6detail17trampoline_kernelINS0_13select_configILj256ELj13ELNS0_17block_load_methodE3ELS4_3ELS4_3ELNS0_20block_scan_algorithmE0ELj4294967295EEENS1_25partition_config_selectorILNS1_17partition_subalgoE4EjNS0_10empty_typeEbEEZZNS1_14partition_implILS8_4ELb0ES6_15HIP_vector_typeIjLj2EENS0_17counting_iteratorIjlEEPS9_SG_NS0_5tupleIJPjSI_NS0_16reverse_iteratorISI_EEEEENSH_IJSG_SG_SG_EEES9_SI_JZNS1_25segmented_radix_sort_implINS0_14default_configELb0EPKhPhPKlPlN2at6native12_GLOBAL__N_18offset_tEEE10hipError_tPvRmT1_PNSt15iterator_traitsIS12_E10value_typeET2_T3_PNS13_IS18_E10value_typeET4_jRbjT5_S1E_jjP12ihipStream_tbEUljE_ZNSN_ISO_Lb0ESQ_SR_ST_SU_SY_EESZ_S10_S11_S12_S16_S17_S18_S1B_S1C_jS1D_jS1E_S1E_jjS1G_bEUljE0_EEESZ_S10_S11_S18_S1C_S1E_T6_T7_T9_mT8_S1G_bDpT10_ENKUlT_T0_E_clISt17integral_constantIbLb0EES1U_EEDaS1P_S1Q_EUlS1P_E_NS1_11comp_targetILNS1_3genE4ELNS1_11target_archE910ELNS1_3gpuE8ELNS1_3repE0EEENS1_30default_config_static_selectorELNS0_4arch9wavefront6targetE0EEEvS12_.uses_vcc, 0
	.set _ZN7rocprim17ROCPRIM_400000_NS6detail17trampoline_kernelINS0_13select_configILj256ELj13ELNS0_17block_load_methodE3ELS4_3ELS4_3ELNS0_20block_scan_algorithmE0ELj4294967295EEENS1_25partition_config_selectorILNS1_17partition_subalgoE4EjNS0_10empty_typeEbEEZZNS1_14partition_implILS8_4ELb0ES6_15HIP_vector_typeIjLj2EENS0_17counting_iteratorIjlEEPS9_SG_NS0_5tupleIJPjSI_NS0_16reverse_iteratorISI_EEEEENSH_IJSG_SG_SG_EEES9_SI_JZNS1_25segmented_radix_sort_implINS0_14default_configELb0EPKhPhPKlPlN2at6native12_GLOBAL__N_18offset_tEEE10hipError_tPvRmT1_PNSt15iterator_traitsIS12_E10value_typeET2_T3_PNS13_IS18_E10value_typeET4_jRbjT5_S1E_jjP12ihipStream_tbEUljE_ZNSN_ISO_Lb0ESQ_SR_ST_SU_SY_EESZ_S10_S11_S12_S16_S17_S18_S1B_S1C_jS1D_jS1E_S1E_jjS1G_bEUljE0_EEESZ_S10_S11_S18_S1C_S1E_T6_T7_T9_mT8_S1G_bDpT10_ENKUlT_T0_E_clISt17integral_constantIbLb0EES1U_EEDaS1P_S1Q_EUlS1P_E_NS1_11comp_targetILNS1_3genE4ELNS1_11target_archE910ELNS1_3gpuE8ELNS1_3repE0EEENS1_30default_config_static_selectorELNS0_4arch9wavefront6targetE0EEEvS12_.uses_flat_scratch, 0
	.set _ZN7rocprim17ROCPRIM_400000_NS6detail17trampoline_kernelINS0_13select_configILj256ELj13ELNS0_17block_load_methodE3ELS4_3ELS4_3ELNS0_20block_scan_algorithmE0ELj4294967295EEENS1_25partition_config_selectorILNS1_17partition_subalgoE4EjNS0_10empty_typeEbEEZZNS1_14partition_implILS8_4ELb0ES6_15HIP_vector_typeIjLj2EENS0_17counting_iteratorIjlEEPS9_SG_NS0_5tupleIJPjSI_NS0_16reverse_iteratorISI_EEEEENSH_IJSG_SG_SG_EEES9_SI_JZNS1_25segmented_radix_sort_implINS0_14default_configELb0EPKhPhPKlPlN2at6native12_GLOBAL__N_18offset_tEEE10hipError_tPvRmT1_PNSt15iterator_traitsIS12_E10value_typeET2_T3_PNS13_IS18_E10value_typeET4_jRbjT5_S1E_jjP12ihipStream_tbEUljE_ZNSN_ISO_Lb0ESQ_SR_ST_SU_SY_EESZ_S10_S11_S12_S16_S17_S18_S1B_S1C_jS1D_jS1E_S1E_jjS1G_bEUljE0_EEESZ_S10_S11_S18_S1C_S1E_T6_T7_T9_mT8_S1G_bDpT10_ENKUlT_T0_E_clISt17integral_constantIbLb0EES1U_EEDaS1P_S1Q_EUlS1P_E_NS1_11comp_targetILNS1_3genE4ELNS1_11target_archE910ELNS1_3gpuE8ELNS1_3repE0EEENS1_30default_config_static_selectorELNS0_4arch9wavefront6targetE0EEEvS12_.has_dyn_sized_stack, 0
	.set _ZN7rocprim17ROCPRIM_400000_NS6detail17trampoline_kernelINS0_13select_configILj256ELj13ELNS0_17block_load_methodE3ELS4_3ELS4_3ELNS0_20block_scan_algorithmE0ELj4294967295EEENS1_25partition_config_selectorILNS1_17partition_subalgoE4EjNS0_10empty_typeEbEEZZNS1_14partition_implILS8_4ELb0ES6_15HIP_vector_typeIjLj2EENS0_17counting_iteratorIjlEEPS9_SG_NS0_5tupleIJPjSI_NS0_16reverse_iteratorISI_EEEEENSH_IJSG_SG_SG_EEES9_SI_JZNS1_25segmented_radix_sort_implINS0_14default_configELb0EPKhPhPKlPlN2at6native12_GLOBAL__N_18offset_tEEE10hipError_tPvRmT1_PNSt15iterator_traitsIS12_E10value_typeET2_T3_PNS13_IS18_E10value_typeET4_jRbjT5_S1E_jjP12ihipStream_tbEUljE_ZNSN_ISO_Lb0ESQ_SR_ST_SU_SY_EESZ_S10_S11_S12_S16_S17_S18_S1B_S1C_jS1D_jS1E_S1E_jjS1G_bEUljE0_EEESZ_S10_S11_S18_S1C_S1E_T6_T7_T9_mT8_S1G_bDpT10_ENKUlT_T0_E_clISt17integral_constantIbLb0EES1U_EEDaS1P_S1Q_EUlS1P_E_NS1_11comp_targetILNS1_3genE4ELNS1_11target_archE910ELNS1_3gpuE8ELNS1_3repE0EEENS1_30default_config_static_selectorELNS0_4arch9wavefront6targetE0EEEvS12_.has_recursion, 0
	.set _ZN7rocprim17ROCPRIM_400000_NS6detail17trampoline_kernelINS0_13select_configILj256ELj13ELNS0_17block_load_methodE3ELS4_3ELS4_3ELNS0_20block_scan_algorithmE0ELj4294967295EEENS1_25partition_config_selectorILNS1_17partition_subalgoE4EjNS0_10empty_typeEbEEZZNS1_14partition_implILS8_4ELb0ES6_15HIP_vector_typeIjLj2EENS0_17counting_iteratorIjlEEPS9_SG_NS0_5tupleIJPjSI_NS0_16reverse_iteratorISI_EEEEENSH_IJSG_SG_SG_EEES9_SI_JZNS1_25segmented_radix_sort_implINS0_14default_configELb0EPKhPhPKlPlN2at6native12_GLOBAL__N_18offset_tEEE10hipError_tPvRmT1_PNSt15iterator_traitsIS12_E10value_typeET2_T3_PNS13_IS18_E10value_typeET4_jRbjT5_S1E_jjP12ihipStream_tbEUljE_ZNSN_ISO_Lb0ESQ_SR_ST_SU_SY_EESZ_S10_S11_S12_S16_S17_S18_S1B_S1C_jS1D_jS1E_S1E_jjS1G_bEUljE0_EEESZ_S10_S11_S18_S1C_S1E_T6_T7_T9_mT8_S1G_bDpT10_ENKUlT_T0_E_clISt17integral_constantIbLb0EES1U_EEDaS1P_S1Q_EUlS1P_E_NS1_11comp_targetILNS1_3genE4ELNS1_11target_archE910ELNS1_3gpuE8ELNS1_3repE0EEENS1_30default_config_static_selectorELNS0_4arch9wavefront6targetE0EEEvS12_.has_indirect_call, 0
	.section	.AMDGPU.csdata,"",@progbits
; Kernel info:
; codeLenInByte = 0
; TotalNumSgprs: 0
; NumVgprs: 0
; ScratchSize: 0
; MemoryBound: 0
; FloatMode: 240
; IeeeMode: 1
; LDSByteSize: 0 bytes/workgroup (compile time only)
; SGPRBlocks: 0
; VGPRBlocks: 0
; NumSGPRsForWavesPerEU: 1
; NumVGPRsForWavesPerEU: 1
; NamedBarCnt: 0
; Occupancy: 16
; WaveLimiterHint : 0
; COMPUTE_PGM_RSRC2:SCRATCH_EN: 0
; COMPUTE_PGM_RSRC2:USER_SGPR: 2
; COMPUTE_PGM_RSRC2:TRAP_HANDLER: 0
; COMPUTE_PGM_RSRC2:TGID_X_EN: 1
; COMPUTE_PGM_RSRC2:TGID_Y_EN: 0
; COMPUTE_PGM_RSRC2:TGID_Z_EN: 0
; COMPUTE_PGM_RSRC2:TIDIG_COMP_CNT: 0
	.section	.text._ZN7rocprim17ROCPRIM_400000_NS6detail17trampoline_kernelINS0_13select_configILj256ELj13ELNS0_17block_load_methodE3ELS4_3ELS4_3ELNS0_20block_scan_algorithmE0ELj4294967295EEENS1_25partition_config_selectorILNS1_17partition_subalgoE4EjNS0_10empty_typeEbEEZZNS1_14partition_implILS8_4ELb0ES6_15HIP_vector_typeIjLj2EENS0_17counting_iteratorIjlEEPS9_SG_NS0_5tupleIJPjSI_NS0_16reverse_iteratorISI_EEEEENSH_IJSG_SG_SG_EEES9_SI_JZNS1_25segmented_radix_sort_implINS0_14default_configELb0EPKhPhPKlPlN2at6native12_GLOBAL__N_18offset_tEEE10hipError_tPvRmT1_PNSt15iterator_traitsIS12_E10value_typeET2_T3_PNS13_IS18_E10value_typeET4_jRbjT5_S1E_jjP12ihipStream_tbEUljE_ZNSN_ISO_Lb0ESQ_SR_ST_SU_SY_EESZ_S10_S11_S12_S16_S17_S18_S1B_S1C_jS1D_jS1E_S1E_jjS1G_bEUljE0_EEESZ_S10_S11_S18_S1C_S1E_T6_T7_T9_mT8_S1G_bDpT10_ENKUlT_T0_E_clISt17integral_constantIbLb0EES1U_EEDaS1P_S1Q_EUlS1P_E_NS1_11comp_targetILNS1_3genE3ELNS1_11target_archE908ELNS1_3gpuE7ELNS1_3repE0EEENS1_30default_config_static_selectorELNS0_4arch9wavefront6targetE0EEEvS12_,"axG",@progbits,_ZN7rocprim17ROCPRIM_400000_NS6detail17trampoline_kernelINS0_13select_configILj256ELj13ELNS0_17block_load_methodE3ELS4_3ELS4_3ELNS0_20block_scan_algorithmE0ELj4294967295EEENS1_25partition_config_selectorILNS1_17partition_subalgoE4EjNS0_10empty_typeEbEEZZNS1_14partition_implILS8_4ELb0ES6_15HIP_vector_typeIjLj2EENS0_17counting_iteratorIjlEEPS9_SG_NS0_5tupleIJPjSI_NS0_16reverse_iteratorISI_EEEEENSH_IJSG_SG_SG_EEES9_SI_JZNS1_25segmented_radix_sort_implINS0_14default_configELb0EPKhPhPKlPlN2at6native12_GLOBAL__N_18offset_tEEE10hipError_tPvRmT1_PNSt15iterator_traitsIS12_E10value_typeET2_T3_PNS13_IS18_E10value_typeET4_jRbjT5_S1E_jjP12ihipStream_tbEUljE_ZNSN_ISO_Lb0ESQ_SR_ST_SU_SY_EESZ_S10_S11_S12_S16_S17_S18_S1B_S1C_jS1D_jS1E_S1E_jjS1G_bEUljE0_EEESZ_S10_S11_S18_S1C_S1E_T6_T7_T9_mT8_S1G_bDpT10_ENKUlT_T0_E_clISt17integral_constantIbLb0EES1U_EEDaS1P_S1Q_EUlS1P_E_NS1_11comp_targetILNS1_3genE3ELNS1_11target_archE908ELNS1_3gpuE7ELNS1_3repE0EEENS1_30default_config_static_selectorELNS0_4arch9wavefront6targetE0EEEvS12_,comdat
	.globl	_ZN7rocprim17ROCPRIM_400000_NS6detail17trampoline_kernelINS0_13select_configILj256ELj13ELNS0_17block_load_methodE3ELS4_3ELS4_3ELNS0_20block_scan_algorithmE0ELj4294967295EEENS1_25partition_config_selectorILNS1_17partition_subalgoE4EjNS0_10empty_typeEbEEZZNS1_14partition_implILS8_4ELb0ES6_15HIP_vector_typeIjLj2EENS0_17counting_iteratorIjlEEPS9_SG_NS0_5tupleIJPjSI_NS0_16reverse_iteratorISI_EEEEENSH_IJSG_SG_SG_EEES9_SI_JZNS1_25segmented_radix_sort_implINS0_14default_configELb0EPKhPhPKlPlN2at6native12_GLOBAL__N_18offset_tEEE10hipError_tPvRmT1_PNSt15iterator_traitsIS12_E10value_typeET2_T3_PNS13_IS18_E10value_typeET4_jRbjT5_S1E_jjP12ihipStream_tbEUljE_ZNSN_ISO_Lb0ESQ_SR_ST_SU_SY_EESZ_S10_S11_S12_S16_S17_S18_S1B_S1C_jS1D_jS1E_S1E_jjS1G_bEUljE0_EEESZ_S10_S11_S18_S1C_S1E_T6_T7_T9_mT8_S1G_bDpT10_ENKUlT_T0_E_clISt17integral_constantIbLb0EES1U_EEDaS1P_S1Q_EUlS1P_E_NS1_11comp_targetILNS1_3genE3ELNS1_11target_archE908ELNS1_3gpuE7ELNS1_3repE0EEENS1_30default_config_static_selectorELNS0_4arch9wavefront6targetE0EEEvS12_ ; -- Begin function _ZN7rocprim17ROCPRIM_400000_NS6detail17trampoline_kernelINS0_13select_configILj256ELj13ELNS0_17block_load_methodE3ELS4_3ELS4_3ELNS0_20block_scan_algorithmE0ELj4294967295EEENS1_25partition_config_selectorILNS1_17partition_subalgoE4EjNS0_10empty_typeEbEEZZNS1_14partition_implILS8_4ELb0ES6_15HIP_vector_typeIjLj2EENS0_17counting_iteratorIjlEEPS9_SG_NS0_5tupleIJPjSI_NS0_16reverse_iteratorISI_EEEEENSH_IJSG_SG_SG_EEES9_SI_JZNS1_25segmented_radix_sort_implINS0_14default_configELb0EPKhPhPKlPlN2at6native12_GLOBAL__N_18offset_tEEE10hipError_tPvRmT1_PNSt15iterator_traitsIS12_E10value_typeET2_T3_PNS13_IS18_E10value_typeET4_jRbjT5_S1E_jjP12ihipStream_tbEUljE_ZNSN_ISO_Lb0ESQ_SR_ST_SU_SY_EESZ_S10_S11_S12_S16_S17_S18_S1B_S1C_jS1D_jS1E_S1E_jjS1G_bEUljE0_EEESZ_S10_S11_S18_S1C_S1E_T6_T7_T9_mT8_S1G_bDpT10_ENKUlT_T0_E_clISt17integral_constantIbLb0EES1U_EEDaS1P_S1Q_EUlS1P_E_NS1_11comp_targetILNS1_3genE3ELNS1_11target_archE908ELNS1_3gpuE7ELNS1_3repE0EEENS1_30default_config_static_selectorELNS0_4arch9wavefront6targetE0EEEvS12_
	.p2align	8
	.type	_ZN7rocprim17ROCPRIM_400000_NS6detail17trampoline_kernelINS0_13select_configILj256ELj13ELNS0_17block_load_methodE3ELS4_3ELS4_3ELNS0_20block_scan_algorithmE0ELj4294967295EEENS1_25partition_config_selectorILNS1_17partition_subalgoE4EjNS0_10empty_typeEbEEZZNS1_14partition_implILS8_4ELb0ES6_15HIP_vector_typeIjLj2EENS0_17counting_iteratorIjlEEPS9_SG_NS0_5tupleIJPjSI_NS0_16reverse_iteratorISI_EEEEENSH_IJSG_SG_SG_EEES9_SI_JZNS1_25segmented_radix_sort_implINS0_14default_configELb0EPKhPhPKlPlN2at6native12_GLOBAL__N_18offset_tEEE10hipError_tPvRmT1_PNSt15iterator_traitsIS12_E10value_typeET2_T3_PNS13_IS18_E10value_typeET4_jRbjT5_S1E_jjP12ihipStream_tbEUljE_ZNSN_ISO_Lb0ESQ_SR_ST_SU_SY_EESZ_S10_S11_S12_S16_S17_S18_S1B_S1C_jS1D_jS1E_S1E_jjS1G_bEUljE0_EEESZ_S10_S11_S18_S1C_S1E_T6_T7_T9_mT8_S1G_bDpT10_ENKUlT_T0_E_clISt17integral_constantIbLb0EES1U_EEDaS1P_S1Q_EUlS1P_E_NS1_11comp_targetILNS1_3genE3ELNS1_11target_archE908ELNS1_3gpuE7ELNS1_3repE0EEENS1_30default_config_static_selectorELNS0_4arch9wavefront6targetE0EEEvS12_,@function
_ZN7rocprim17ROCPRIM_400000_NS6detail17trampoline_kernelINS0_13select_configILj256ELj13ELNS0_17block_load_methodE3ELS4_3ELS4_3ELNS0_20block_scan_algorithmE0ELj4294967295EEENS1_25partition_config_selectorILNS1_17partition_subalgoE4EjNS0_10empty_typeEbEEZZNS1_14partition_implILS8_4ELb0ES6_15HIP_vector_typeIjLj2EENS0_17counting_iteratorIjlEEPS9_SG_NS0_5tupleIJPjSI_NS0_16reverse_iteratorISI_EEEEENSH_IJSG_SG_SG_EEES9_SI_JZNS1_25segmented_radix_sort_implINS0_14default_configELb0EPKhPhPKlPlN2at6native12_GLOBAL__N_18offset_tEEE10hipError_tPvRmT1_PNSt15iterator_traitsIS12_E10value_typeET2_T3_PNS13_IS18_E10value_typeET4_jRbjT5_S1E_jjP12ihipStream_tbEUljE_ZNSN_ISO_Lb0ESQ_SR_ST_SU_SY_EESZ_S10_S11_S12_S16_S17_S18_S1B_S1C_jS1D_jS1E_S1E_jjS1G_bEUljE0_EEESZ_S10_S11_S18_S1C_S1E_T6_T7_T9_mT8_S1G_bDpT10_ENKUlT_T0_E_clISt17integral_constantIbLb0EES1U_EEDaS1P_S1Q_EUlS1P_E_NS1_11comp_targetILNS1_3genE3ELNS1_11target_archE908ELNS1_3gpuE7ELNS1_3repE0EEENS1_30default_config_static_selectorELNS0_4arch9wavefront6targetE0EEEvS12_: ; @_ZN7rocprim17ROCPRIM_400000_NS6detail17trampoline_kernelINS0_13select_configILj256ELj13ELNS0_17block_load_methodE3ELS4_3ELS4_3ELNS0_20block_scan_algorithmE0ELj4294967295EEENS1_25partition_config_selectorILNS1_17partition_subalgoE4EjNS0_10empty_typeEbEEZZNS1_14partition_implILS8_4ELb0ES6_15HIP_vector_typeIjLj2EENS0_17counting_iteratorIjlEEPS9_SG_NS0_5tupleIJPjSI_NS0_16reverse_iteratorISI_EEEEENSH_IJSG_SG_SG_EEES9_SI_JZNS1_25segmented_radix_sort_implINS0_14default_configELb0EPKhPhPKlPlN2at6native12_GLOBAL__N_18offset_tEEE10hipError_tPvRmT1_PNSt15iterator_traitsIS12_E10value_typeET2_T3_PNS13_IS18_E10value_typeET4_jRbjT5_S1E_jjP12ihipStream_tbEUljE_ZNSN_ISO_Lb0ESQ_SR_ST_SU_SY_EESZ_S10_S11_S12_S16_S17_S18_S1B_S1C_jS1D_jS1E_S1E_jjS1G_bEUljE0_EEESZ_S10_S11_S18_S1C_S1E_T6_T7_T9_mT8_S1G_bDpT10_ENKUlT_T0_E_clISt17integral_constantIbLb0EES1U_EEDaS1P_S1Q_EUlS1P_E_NS1_11comp_targetILNS1_3genE3ELNS1_11target_archE908ELNS1_3gpuE7ELNS1_3repE0EEENS1_30default_config_static_selectorELNS0_4arch9wavefront6targetE0EEEvS12_
; %bb.0:
	.section	.rodata,"a",@progbits
	.p2align	6, 0x0
	.amdhsa_kernel _ZN7rocprim17ROCPRIM_400000_NS6detail17trampoline_kernelINS0_13select_configILj256ELj13ELNS0_17block_load_methodE3ELS4_3ELS4_3ELNS0_20block_scan_algorithmE0ELj4294967295EEENS1_25partition_config_selectorILNS1_17partition_subalgoE4EjNS0_10empty_typeEbEEZZNS1_14partition_implILS8_4ELb0ES6_15HIP_vector_typeIjLj2EENS0_17counting_iteratorIjlEEPS9_SG_NS0_5tupleIJPjSI_NS0_16reverse_iteratorISI_EEEEENSH_IJSG_SG_SG_EEES9_SI_JZNS1_25segmented_radix_sort_implINS0_14default_configELb0EPKhPhPKlPlN2at6native12_GLOBAL__N_18offset_tEEE10hipError_tPvRmT1_PNSt15iterator_traitsIS12_E10value_typeET2_T3_PNS13_IS18_E10value_typeET4_jRbjT5_S1E_jjP12ihipStream_tbEUljE_ZNSN_ISO_Lb0ESQ_SR_ST_SU_SY_EESZ_S10_S11_S12_S16_S17_S18_S1B_S1C_jS1D_jS1E_S1E_jjS1G_bEUljE0_EEESZ_S10_S11_S18_S1C_S1E_T6_T7_T9_mT8_S1G_bDpT10_ENKUlT_T0_E_clISt17integral_constantIbLb0EES1U_EEDaS1P_S1Q_EUlS1P_E_NS1_11comp_targetILNS1_3genE3ELNS1_11target_archE908ELNS1_3gpuE7ELNS1_3repE0EEENS1_30default_config_static_selectorELNS0_4arch9wavefront6targetE0EEEvS12_
		.amdhsa_group_segment_fixed_size 0
		.amdhsa_private_segment_fixed_size 0
		.amdhsa_kernarg_size 176
		.amdhsa_user_sgpr_count 2
		.amdhsa_user_sgpr_dispatch_ptr 0
		.amdhsa_user_sgpr_queue_ptr 0
		.amdhsa_user_sgpr_kernarg_segment_ptr 1
		.amdhsa_user_sgpr_dispatch_id 0
		.amdhsa_user_sgpr_kernarg_preload_length 0
		.amdhsa_user_sgpr_kernarg_preload_offset 0
		.amdhsa_user_sgpr_private_segment_size 0
		.amdhsa_wavefront_size32 1
		.amdhsa_uses_dynamic_stack 0
		.amdhsa_enable_private_segment 0
		.amdhsa_system_sgpr_workgroup_id_x 1
		.amdhsa_system_sgpr_workgroup_id_y 0
		.amdhsa_system_sgpr_workgroup_id_z 0
		.amdhsa_system_sgpr_workgroup_info 0
		.amdhsa_system_vgpr_workitem_id 0
		.amdhsa_next_free_vgpr 1
		.amdhsa_next_free_sgpr 1
		.amdhsa_named_barrier_count 0
		.amdhsa_reserve_vcc 0
		.amdhsa_float_round_mode_32 0
		.amdhsa_float_round_mode_16_64 0
		.amdhsa_float_denorm_mode_32 3
		.amdhsa_float_denorm_mode_16_64 3
		.amdhsa_fp16_overflow 0
		.amdhsa_memory_ordered 1
		.amdhsa_forward_progress 1
		.amdhsa_inst_pref_size 0
		.amdhsa_round_robin_scheduling 0
		.amdhsa_exception_fp_ieee_invalid_op 0
		.amdhsa_exception_fp_denorm_src 0
		.amdhsa_exception_fp_ieee_div_zero 0
		.amdhsa_exception_fp_ieee_overflow 0
		.amdhsa_exception_fp_ieee_underflow 0
		.amdhsa_exception_fp_ieee_inexact 0
		.amdhsa_exception_int_div_zero 0
	.end_amdhsa_kernel
	.section	.text._ZN7rocprim17ROCPRIM_400000_NS6detail17trampoline_kernelINS0_13select_configILj256ELj13ELNS0_17block_load_methodE3ELS4_3ELS4_3ELNS0_20block_scan_algorithmE0ELj4294967295EEENS1_25partition_config_selectorILNS1_17partition_subalgoE4EjNS0_10empty_typeEbEEZZNS1_14partition_implILS8_4ELb0ES6_15HIP_vector_typeIjLj2EENS0_17counting_iteratorIjlEEPS9_SG_NS0_5tupleIJPjSI_NS0_16reverse_iteratorISI_EEEEENSH_IJSG_SG_SG_EEES9_SI_JZNS1_25segmented_radix_sort_implINS0_14default_configELb0EPKhPhPKlPlN2at6native12_GLOBAL__N_18offset_tEEE10hipError_tPvRmT1_PNSt15iterator_traitsIS12_E10value_typeET2_T3_PNS13_IS18_E10value_typeET4_jRbjT5_S1E_jjP12ihipStream_tbEUljE_ZNSN_ISO_Lb0ESQ_SR_ST_SU_SY_EESZ_S10_S11_S12_S16_S17_S18_S1B_S1C_jS1D_jS1E_S1E_jjS1G_bEUljE0_EEESZ_S10_S11_S18_S1C_S1E_T6_T7_T9_mT8_S1G_bDpT10_ENKUlT_T0_E_clISt17integral_constantIbLb0EES1U_EEDaS1P_S1Q_EUlS1P_E_NS1_11comp_targetILNS1_3genE3ELNS1_11target_archE908ELNS1_3gpuE7ELNS1_3repE0EEENS1_30default_config_static_selectorELNS0_4arch9wavefront6targetE0EEEvS12_,"axG",@progbits,_ZN7rocprim17ROCPRIM_400000_NS6detail17trampoline_kernelINS0_13select_configILj256ELj13ELNS0_17block_load_methodE3ELS4_3ELS4_3ELNS0_20block_scan_algorithmE0ELj4294967295EEENS1_25partition_config_selectorILNS1_17partition_subalgoE4EjNS0_10empty_typeEbEEZZNS1_14partition_implILS8_4ELb0ES6_15HIP_vector_typeIjLj2EENS0_17counting_iteratorIjlEEPS9_SG_NS0_5tupleIJPjSI_NS0_16reverse_iteratorISI_EEEEENSH_IJSG_SG_SG_EEES9_SI_JZNS1_25segmented_radix_sort_implINS0_14default_configELb0EPKhPhPKlPlN2at6native12_GLOBAL__N_18offset_tEEE10hipError_tPvRmT1_PNSt15iterator_traitsIS12_E10value_typeET2_T3_PNS13_IS18_E10value_typeET4_jRbjT5_S1E_jjP12ihipStream_tbEUljE_ZNSN_ISO_Lb0ESQ_SR_ST_SU_SY_EESZ_S10_S11_S12_S16_S17_S18_S1B_S1C_jS1D_jS1E_S1E_jjS1G_bEUljE0_EEESZ_S10_S11_S18_S1C_S1E_T6_T7_T9_mT8_S1G_bDpT10_ENKUlT_T0_E_clISt17integral_constantIbLb0EES1U_EEDaS1P_S1Q_EUlS1P_E_NS1_11comp_targetILNS1_3genE3ELNS1_11target_archE908ELNS1_3gpuE7ELNS1_3repE0EEENS1_30default_config_static_selectorELNS0_4arch9wavefront6targetE0EEEvS12_,comdat
.Lfunc_end124:
	.size	_ZN7rocprim17ROCPRIM_400000_NS6detail17trampoline_kernelINS0_13select_configILj256ELj13ELNS0_17block_load_methodE3ELS4_3ELS4_3ELNS0_20block_scan_algorithmE0ELj4294967295EEENS1_25partition_config_selectorILNS1_17partition_subalgoE4EjNS0_10empty_typeEbEEZZNS1_14partition_implILS8_4ELb0ES6_15HIP_vector_typeIjLj2EENS0_17counting_iteratorIjlEEPS9_SG_NS0_5tupleIJPjSI_NS0_16reverse_iteratorISI_EEEEENSH_IJSG_SG_SG_EEES9_SI_JZNS1_25segmented_radix_sort_implINS0_14default_configELb0EPKhPhPKlPlN2at6native12_GLOBAL__N_18offset_tEEE10hipError_tPvRmT1_PNSt15iterator_traitsIS12_E10value_typeET2_T3_PNS13_IS18_E10value_typeET4_jRbjT5_S1E_jjP12ihipStream_tbEUljE_ZNSN_ISO_Lb0ESQ_SR_ST_SU_SY_EESZ_S10_S11_S12_S16_S17_S18_S1B_S1C_jS1D_jS1E_S1E_jjS1G_bEUljE0_EEESZ_S10_S11_S18_S1C_S1E_T6_T7_T9_mT8_S1G_bDpT10_ENKUlT_T0_E_clISt17integral_constantIbLb0EES1U_EEDaS1P_S1Q_EUlS1P_E_NS1_11comp_targetILNS1_3genE3ELNS1_11target_archE908ELNS1_3gpuE7ELNS1_3repE0EEENS1_30default_config_static_selectorELNS0_4arch9wavefront6targetE0EEEvS12_, .Lfunc_end124-_ZN7rocprim17ROCPRIM_400000_NS6detail17trampoline_kernelINS0_13select_configILj256ELj13ELNS0_17block_load_methodE3ELS4_3ELS4_3ELNS0_20block_scan_algorithmE0ELj4294967295EEENS1_25partition_config_selectorILNS1_17partition_subalgoE4EjNS0_10empty_typeEbEEZZNS1_14partition_implILS8_4ELb0ES6_15HIP_vector_typeIjLj2EENS0_17counting_iteratorIjlEEPS9_SG_NS0_5tupleIJPjSI_NS0_16reverse_iteratorISI_EEEEENSH_IJSG_SG_SG_EEES9_SI_JZNS1_25segmented_radix_sort_implINS0_14default_configELb0EPKhPhPKlPlN2at6native12_GLOBAL__N_18offset_tEEE10hipError_tPvRmT1_PNSt15iterator_traitsIS12_E10value_typeET2_T3_PNS13_IS18_E10value_typeET4_jRbjT5_S1E_jjP12ihipStream_tbEUljE_ZNSN_ISO_Lb0ESQ_SR_ST_SU_SY_EESZ_S10_S11_S12_S16_S17_S18_S1B_S1C_jS1D_jS1E_S1E_jjS1G_bEUljE0_EEESZ_S10_S11_S18_S1C_S1E_T6_T7_T9_mT8_S1G_bDpT10_ENKUlT_T0_E_clISt17integral_constantIbLb0EES1U_EEDaS1P_S1Q_EUlS1P_E_NS1_11comp_targetILNS1_3genE3ELNS1_11target_archE908ELNS1_3gpuE7ELNS1_3repE0EEENS1_30default_config_static_selectorELNS0_4arch9wavefront6targetE0EEEvS12_
                                        ; -- End function
	.set _ZN7rocprim17ROCPRIM_400000_NS6detail17trampoline_kernelINS0_13select_configILj256ELj13ELNS0_17block_load_methodE3ELS4_3ELS4_3ELNS0_20block_scan_algorithmE0ELj4294967295EEENS1_25partition_config_selectorILNS1_17partition_subalgoE4EjNS0_10empty_typeEbEEZZNS1_14partition_implILS8_4ELb0ES6_15HIP_vector_typeIjLj2EENS0_17counting_iteratorIjlEEPS9_SG_NS0_5tupleIJPjSI_NS0_16reverse_iteratorISI_EEEEENSH_IJSG_SG_SG_EEES9_SI_JZNS1_25segmented_radix_sort_implINS0_14default_configELb0EPKhPhPKlPlN2at6native12_GLOBAL__N_18offset_tEEE10hipError_tPvRmT1_PNSt15iterator_traitsIS12_E10value_typeET2_T3_PNS13_IS18_E10value_typeET4_jRbjT5_S1E_jjP12ihipStream_tbEUljE_ZNSN_ISO_Lb0ESQ_SR_ST_SU_SY_EESZ_S10_S11_S12_S16_S17_S18_S1B_S1C_jS1D_jS1E_S1E_jjS1G_bEUljE0_EEESZ_S10_S11_S18_S1C_S1E_T6_T7_T9_mT8_S1G_bDpT10_ENKUlT_T0_E_clISt17integral_constantIbLb0EES1U_EEDaS1P_S1Q_EUlS1P_E_NS1_11comp_targetILNS1_3genE3ELNS1_11target_archE908ELNS1_3gpuE7ELNS1_3repE0EEENS1_30default_config_static_selectorELNS0_4arch9wavefront6targetE0EEEvS12_.num_vgpr, 0
	.set _ZN7rocprim17ROCPRIM_400000_NS6detail17trampoline_kernelINS0_13select_configILj256ELj13ELNS0_17block_load_methodE3ELS4_3ELS4_3ELNS0_20block_scan_algorithmE0ELj4294967295EEENS1_25partition_config_selectorILNS1_17partition_subalgoE4EjNS0_10empty_typeEbEEZZNS1_14partition_implILS8_4ELb0ES6_15HIP_vector_typeIjLj2EENS0_17counting_iteratorIjlEEPS9_SG_NS0_5tupleIJPjSI_NS0_16reverse_iteratorISI_EEEEENSH_IJSG_SG_SG_EEES9_SI_JZNS1_25segmented_radix_sort_implINS0_14default_configELb0EPKhPhPKlPlN2at6native12_GLOBAL__N_18offset_tEEE10hipError_tPvRmT1_PNSt15iterator_traitsIS12_E10value_typeET2_T3_PNS13_IS18_E10value_typeET4_jRbjT5_S1E_jjP12ihipStream_tbEUljE_ZNSN_ISO_Lb0ESQ_SR_ST_SU_SY_EESZ_S10_S11_S12_S16_S17_S18_S1B_S1C_jS1D_jS1E_S1E_jjS1G_bEUljE0_EEESZ_S10_S11_S18_S1C_S1E_T6_T7_T9_mT8_S1G_bDpT10_ENKUlT_T0_E_clISt17integral_constantIbLb0EES1U_EEDaS1P_S1Q_EUlS1P_E_NS1_11comp_targetILNS1_3genE3ELNS1_11target_archE908ELNS1_3gpuE7ELNS1_3repE0EEENS1_30default_config_static_selectorELNS0_4arch9wavefront6targetE0EEEvS12_.num_agpr, 0
	.set _ZN7rocprim17ROCPRIM_400000_NS6detail17trampoline_kernelINS0_13select_configILj256ELj13ELNS0_17block_load_methodE3ELS4_3ELS4_3ELNS0_20block_scan_algorithmE0ELj4294967295EEENS1_25partition_config_selectorILNS1_17partition_subalgoE4EjNS0_10empty_typeEbEEZZNS1_14partition_implILS8_4ELb0ES6_15HIP_vector_typeIjLj2EENS0_17counting_iteratorIjlEEPS9_SG_NS0_5tupleIJPjSI_NS0_16reverse_iteratorISI_EEEEENSH_IJSG_SG_SG_EEES9_SI_JZNS1_25segmented_radix_sort_implINS0_14default_configELb0EPKhPhPKlPlN2at6native12_GLOBAL__N_18offset_tEEE10hipError_tPvRmT1_PNSt15iterator_traitsIS12_E10value_typeET2_T3_PNS13_IS18_E10value_typeET4_jRbjT5_S1E_jjP12ihipStream_tbEUljE_ZNSN_ISO_Lb0ESQ_SR_ST_SU_SY_EESZ_S10_S11_S12_S16_S17_S18_S1B_S1C_jS1D_jS1E_S1E_jjS1G_bEUljE0_EEESZ_S10_S11_S18_S1C_S1E_T6_T7_T9_mT8_S1G_bDpT10_ENKUlT_T0_E_clISt17integral_constantIbLb0EES1U_EEDaS1P_S1Q_EUlS1P_E_NS1_11comp_targetILNS1_3genE3ELNS1_11target_archE908ELNS1_3gpuE7ELNS1_3repE0EEENS1_30default_config_static_selectorELNS0_4arch9wavefront6targetE0EEEvS12_.numbered_sgpr, 0
	.set _ZN7rocprim17ROCPRIM_400000_NS6detail17trampoline_kernelINS0_13select_configILj256ELj13ELNS0_17block_load_methodE3ELS4_3ELS4_3ELNS0_20block_scan_algorithmE0ELj4294967295EEENS1_25partition_config_selectorILNS1_17partition_subalgoE4EjNS0_10empty_typeEbEEZZNS1_14partition_implILS8_4ELb0ES6_15HIP_vector_typeIjLj2EENS0_17counting_iteratorIjlEEPS9_SG_NS0_5tupleIJPjSI_NS0_16reverse_iteratorISI_EEEEENSH_IJSG_SG_SG_EEES9_SI_JZNS1_25segmented_radix_sort_implINS0_14default_configELb0EPKhPhPKlPlN2at6native12_GLOBAL__N_18offset_tEEE10hipError_tPvRmT1_PNSt15iterator_traitsIS12_E10value_typeET2_T3_PNS13_IS18_E10value_typeET4_jRbjT5_S1E_jjP12ihipStream_tbEUljE_ZNSN_ISO_Lb0ESQ_SR_ST_SU_SY_EESZ_S10_S11_S12_S16_S17_S18_S1B_S1C_jS1D_jS1E_S1E_jjS1G_bEUljE0_EEESZ_S10_S11_S18_S1C_S1E_T6_T7_T9_mT8_S1G_bDpT10_ENKUlT_T0_E_clISt17integral_constantIbLb0EES1U_EEDaS1P_S1Q_EUlS1P_E_NS1_11comp_targetILNS1_3genE3ELNS1_11target_archE908ELNS1_3gpuE7ELNS1_3repE0EEENS1_30default_config_static_selectorELNS0_4arch9wavefront6targetE0EEEvS12_.num_named_barrier, 0
	.set _ZN7rocprim17ROCPRIM_400000_NS6detail17trampoline_kernelINS0_13select_configILj256ELj13ELNS0_17block_load_methodE3ELS4_3ELS4_3ELNS0_20block_scan_algorithmE0ELj4294967295EEENS1_25partition_config_selectorILNS1_17partition_subalgoE4EjNS0_10empty_typeEbEEZZNS1_14partition_implILS8_4ELb0ES6_15HIP_vector_typeIjLj2EENS0_17counting_iteratorIjlEEPS9_SG_NS0_5tupleIJPjSI_NS0_16reverse_iteratorISI_EEEEENSH_IJSG_SG_SG_EEES9_SI_JZNS1_25segmented_radix_sort_implINS0_14default_configELb0EPKhPhPKlPlN2at6native12_GLOBAL__N_18offset_tEEE10hipError_tPvRmT1_PNSt15iterator_traitsIS12_E10value_typeET2_T3_PNS13_IS18_E10value_typeET4_jRbjT5_S1E_jjP12ihipStream_tbEUljE_ZNSN_ISO_Lb0ESQ_SR_ST_SU_SY_EESZ_S10_S11_S12_S16_S17_S18_S1B_S1C_jS1D_jS1E_S1E_jjS1G_bEUljE0_EEESZ_S10_S11_S18_S1C_S1E_T6_T7_T9_mT8_S1G_bDpT10_ENKUlT_T0_E_clISt17integral_constantIbLb0EES1U_EEDaS1P_S1Q_EUlS1P_E_NS1_11comp_targetILNS1_3genE3ELNS1_11target_archE908ELNS1_3gpuE7ELNS1_3repE0EEENS1_30default_config_static_selectorELNS0_4arch9wavefront6targetE0EEEvS12_.private_seg_size, 0
	.set _ZN7rocprim17ROCPRIM_400000_NS6detail17trampoline_kernelINS0_13select_configILj256ELj13ELNS0_17block_load_methodE3ELS4_3ELS4_3ELNS0_20block_scan_algorithmE0ELj4294967295EEENS1_25partition_config_selectorILNS1_17partition_subalgoE4EjNS0_10empty_typeEbEEZZNS1_14partition_implILS8_4ELb0ES6_15HIP_vector_typeIjLj2EENS0_17counting_iteratorIjlEEPS9_SG_NS0_5tupleIJPjSI_NS0_16reverse_iteratorISI_EEEEENSH_IJSG_SG_SG_EEES9_SI_JZNS1_25segmented_radix_sort_implINS0_14default_configELb0EPKhPhPKlPlN2at6native12_GLOBAL__N_18offset_tEEE10hipError_tPvRmT1_PNSt15iterator_traitsIS12_E10value_typeET2_T3_PNS13_IS18_E10value_typeET4_jRbjT5_S1E_jjP12ihipStream_tbEUljE_ZNSN_ISO_Lb0ESQ_SR_ST_SU_SY_EESZ_S10_S11_S12_S16_S17_S18_S1B_S1C_jS1D_jS1E_S1E_jjS1G_bEUljE0_EEESZ_S10_S11_S18_S1C_S1E_T6_T7_T9_mT8_S1G_bDpT10_ENKUlT_T0_E_clISt17integral_constantIbLb0EES1U_EEDaS1P_S1Q_EUlS1P_E_NS1_11comp_targetILNS1_3genE3ELNS1_11target_archE908ELNS1_3gpuE7ELNS1_3repE0EEENS1_30default_config_static_selectorELNS0_4arch9wavefront6targetE0EEEvS12_.uses_vcc, 0
	.set _ZN7rocprim17ROCPRIM_400000_NS6detail17trampoline_kernelINS0_13select_configILj256ELj13ELNS0_17block_load_methodE3ELS4_3ELS4_3ELNS0_20block_scan_algorithmE0ELj4294967295EEENS1_25partition_config_selectorILNS1_17partition_subalgoE4EjNS0_10empty_typeEbEEZZNS1_14partition_implILS8_4ELb0ES6_15HIP_vector_typeIjLj2EENS0_17counting_iteratorIjlEEPS9_SG_NS0_5tupleIJPjSI_NS0_16reverse_iteratorISI_EEEEENSH_IJSG_SG_SG_EEES9_SI_JZNS1_25segmented_radix_sort_implINS0_14default_configELb0EPKhPhPKlPlN2at6native12_GLOBAL__N_18offset_tEEE10hipError_tPvRmT1_PNSt15iterator_traitsIS12_E10value_typeET2_T3_PNS13_IS18_E10value_typeET4_jRbjT5_S1E_jjP12ihipStream_tbEUljE_ZNSN_ISO_Lb0ESQ_SR_ST_SU_SY_EESZ_S10_S11_S12_S16_S17_S18_S1B_S1C_jS1D_jS1E_S1E_jjS1G_bEUljE0_EEESZ_S10_S11_S18_S1C_S1E_T6_T7_T9_mT8_S1G_bDpT10_ENKUlT_T0_E_clISt17integral_constantIbLb0EES1U_EEDaS1P_S1Q_EUlS1P_E_NS1_11comp_targetILNS1_3genE3ELNS1_11target_archE908ELNS1_3gpuE7ELNS1_3repE0EEENS1_30default_config_static_selectorELNS0_4arch9wavefront6targetE0EEEvS12_.uses_flat_scratch, 0
	.set _ZN7rocprim17ROCPRIM_400000_NS6detail17trampoline_kernelINS0_13select_configILj256ELj13ELNS0_17block_load_methodE3ELS4_3ELS4_3ELNS0_20block_scan_algorithmE0ELj4294967295EEENS1_25partition_config_selectorILNS1_17partition_subalgoE4EjNS0_10empty_typeEbEEZZNS1_14partition_implILS8_4ELb0ES6_15HIP_vector_typeIjLj2EENS0_17counting_iteratorIjlEEPS9_SG_NS0_5tupleIJPjSI_NS0_16reverse_iteratorISI_EEEEENSH_IJSG_SG_SG_EEES9_SI_JZNS1_25segmented_radix_sort_implINS0_14default_configELb0EPKhPhPKlPlN2at6native12_GLOBAL__N_18offset_tEEE10hipError_tPvRmT1_PNSt15iterator_traitsIS12_E10value_typeET2_T3_PNS13_IS18_E10value_typeET4_jRbjT5_S1E_jjP12ihipStream_tbEUljE_ZNSN_ISO_Lb0ESQ_SR_ST_SU_SY_EESZ_S10_S11_S12_S16_S17_S18_S1B_S1C_jS1D_jS1E_S1E_jjS1G_bEUljE0_EEESZ_S10_S11_S18_S1C_S1E_T6_T7_T9_mT8_S1G_bDpT10_ENKUlT_T0_E_clISt17integral_constantIbLb0EES1U_EEDaS1P_S1Q_EUlS1P_E_NS1_11comp_targetILNS1_3genE3ELNS1_11target_archE908ELNS1_3gpuE7ELNS1_3repE0EEENS1_30default_config_static_selectorELNS0_4arch9wavefront6targetE0EEEvS12_.has_dyn_sized_stack, 0
	.set _ZN7rocprim17ROCPRIM_400000_NS6detail17trampoline_kernelINS0_13select_configILj256ELj13ELNS0_17block_load_methodE3ELS4_3ELS4_3ELNS0_20block_scan_algorithmE0ELj4294967295EEENS1_25partition_config_selectorILNS1_17partition_subalgoE4EjNS0_10empty_typeEbEEZZNS1_14partition_implILS8_4ELb0ES6_15HIP_vector_typeIjLj2EENS0_17counting_iteratorIjlEEPS9_SG_NS0_5tupleIJPjSI_NS0_16reverse_iteratorISI_EEEEENSH_IJSG_SG_SG_EEES9_SI_JZNS1_25segmented_radix_sort_implINS0_14default_configELb0EPKhPhPKlPlN2at6native12_GLOBAL__N_18offset_tEEE10hipError_tPvRmT1_PNSt15iterator_traitsIS12_E10value_typeET2_T3_PNS13_IS18_E10value_typeET4_jRbjT5_S1E_jjP12ihipStream_tbEUljE_ZNSN_ISO_Lb0ESQ_SR_ST_SU_SY_EESZ_S10_S11_S12_S16_S17_S18_S1B_S1C_jS1D_jS1E_S1E_jjS1G_bEUljE0_EEESZ_S10_S11_S18_S1C_S1E_T6_T7_T9_mT8_S1G_bDpT10_ENKUlT_T0_E_clISt17integral_constantIbLb0EES1U_EEDaS1P_S1Q_EUlS1P_E_NS1_11comp_targetILNS1_3genE3ELNS1_11target_archE908ELNS1_3gpuE7ELNS1_3repE0EEENS1_30default_config_static_selectorELNS0_4arch9wavefront6targetE0EEEvS12_.has_recursion, 0
	.set _ZN7rocprim17ROCPRIM_400000_NS6detail17trampoline_kernelINS0_13select_configILj256ELj13ELNS0_17block_load_methodE3ELS4_3ELS4_3ELNS0_20block_scan_algorithmE0ELj4294967295EEENS1_25partition_config_selectorILNS1_17partition_subalgoE4EjNS0_10empty_typeEbEEZZNS1_14partition_implILS8_4ELb0ES6_15HIP_vector_typeIjLj2EENS0_17counting_iteratorIjlEEPS9_SG_NS0_5tupleIJPjSI_NS0_16reverse_iteratorISI_EEEEENSH_IJSG_SG_SG_EEES9_SI_JZNS1_25segmented_radix_sort_implINS0_14default_configELb0EPKhPhPKlPlN2at6native12_GLOBAL__N_18offset_tEEE10hipError_tPvRmT1_PNSt15iterator_traitsIS12_E10value_typeET2_T3_PNS13_IS18_E10value_typeET4_jRbjT5_S1E_jjP12ihipStream_tbEUljE_ZNSN_ISO_Lb0ESQ_SR_ST_SU_SY_EESZ_S10_S11_S12_S16_S17_S18_S1B_S1C_jS1D_jS1E_S1E_jjS1G_bEUljE0_EEESZ_S10_S11_S18_S1C_S1E_T6_T7_T9_mT8_S1G_bDpT10_ENKUlT_T0_E_clISt17integral_constantIbLb0EES1U_EEDaS1P_S1Q_EUlS1P_E_NS1_11comp_targetILNS1_3genE3ELNS1_11target_archE908ELNS1_3gpuE7ELNS1_3repE0EEENS1_30default_config_static_selectorELNS0_4arch9wavefront6targetE0EEEvS12_.has_indirect_call, 0
	.section	.AMDGPU.csdata,"",@progbits
; Kernel info:
; codeLenInByte = 0
; TotalNumSgprs: 0
; NumVgprs: 0
; ScratchSize: 0
; MemoryBound: 0
; FloatMode: 240
; IeeeMode: 1
; LDSByteSize: 0 bytes/workgroup (compile time only)
; SGPRBlocks: 0
; VGPRBlocks: 0
; NumSGPRsForWavesPerEU: 1
; NumVGPRsForWavesPerEU: 1
; NamedBarCnt: 0
; Occupancy: 16
; WaveLimiterHint : 0
; COMPUTE_PGM_RSRC2:SCRATCH_EN: 0
; COMPUTE_PGM_RSRC2:USER_SGPR: 2
; COMPUTE_PGM_RSRC2:TRAP_HANDLER: 0
; COMPUTE_PGM_RSRC2:TGID_X_EN: 1
; COMPUTE_PGM_RSRC2:TGID_Y_EN: 0
; COMPUTE_PGM_RSRC2:TGID_Z_EN: 0
; COMPUTE_PGM_RSRC2:TIDIG_COMP_CNT: 0
	.section	.text._ZN7rocprim17ROCPRIM_400000_NS6detail17trampoline_kernelINS0_13select_configILj256ELj13ELNS0_17block_load_methodE3ELS4_3ELS4_3ELNS0_20block_scan_algorithmE0ELj4294967295EEENS1_25partition_config_selectorILNS1_17partition_subalgoE4EjNS0_10empty_typeEbEEZZNS1_14partition_implILS8_4ELb0ES6_15HIP_vector_typeIjLj2EENS0_17counting_iteratorIjlEEPS9_SG_NS0_5tupleIJPjSI_NS0_16reverse_iteratorISI_EEEEENSH_IJSG_SG_SG_EEES9_SI_JZNS1_25segmented_radix_sort_implINS0_14default_configELb0EPKhPhPKlPlN2at6native12_GLOBAL__N_18offset_tEEE10hipError_tPvRmT1_PNSt15iterator_traitsIS12_E10value_typeET2_T3_PNS13_IS18_E10value_typeET4_jRbjT5_S1E_jjP12ihipStream_tbEUljE_ZNSN_ISO_Lb0ESQ_SR_ST_SU_SY_EESZ_S10_S11_S12_S16_S17_S18_S1B_S1C_jS1D_jS1E_S1E_jjS1G_bEUljE0_EEESZ_S10_S11_S18_S1C_S1E_T6_T7_T9_mT8_S1G_bDpT10_ENKUlT_T0_E_clISt17integral_constantIbLb0EES1U_EEDaS1P_S1Q_EUlS1P_E_NS1_11comp_targetILNS1_3genE2ELNS1_11target_archE906ELNS1_3gpuE6ELNS1_3repE0EEENS1_30default_config_static_selectorELNS0_4arch9wavefront6targetE0EEEvS12_,"axG",@progbits,_ZN7rocprim17ROCPRIM_400000_NS6detail17trampoline_kernelINS0_13select_configILj256ELj13ELNS0_17block_load_methodE3ELS4_3ELS4_3ELNS0_20block_scan_algorithmE0ELj4294967295EEENS1_25partition_config_selectorILNS1_17partition_subalgoE4EjNS0_10empty_typeEbEEZZNS1_14partition_implILS8_4ELb0ES6_15HIP_vector_typeIjLj2EENS0_17counting_iteratorIjlEEPS9_SG_NS0_5tupleIJPjSI_NS0_16reverse_iteratorISI_EEEEENSH_IJSG_SG_SG_EEES9_SI_JZNS1_25segmented_radix_sort_implINS0_14default_configELb0EPKhPhPKlPlN2at6native12_GLOBAL__N_18offset_tEEE10hipError_tPvRmT1_PNSt15iterator_traitsIS12_E10value_typeET2_T3_PNS13_IS18_E10value_typeET4_jRbjT5_S1E_jjP12ihipStream_tbEUljE_ZNSN_ISO_Lb0ESQ_SR_ST_SU_SY_EESZ_S10_S11_S12_S16_S17_S18_S1B_S1C_jS1D_jS1E_S1E_jjS1G_bEUljE0_EEESZ_S10_S11_S18_S1C_S1E_T6_T7_T9_mT8_S1G_bDpT10_ENKUlT_T0_E_clISt17integral_constantIbLb0EES1U_EEDaS1P_S1Q_EUlS1P_E_NS1_11comp_targetILNS1_3genE2ELNS1_11target_archE906ELNS1_3gpuE6ELNS1_3repE0EEENS1_30default_config_static_selectorELNS0_4arch9wavefront6targetE0EEEvS12_,comdat
	.globl	_ZN7rocprim17ROCPRIM_400000_NS6detail17trampoline_kernelINS0_13select_configILj256ELj13ELNS0_17block_load_methodE3ELS4_3ELS4_3ELNS0_20block_scan_algorithmE0ELj4294967295EEENS1_25partition_config_selectorILNS1_17partition_subalgoE4EjNS0_10empty_typeEbEEZZNS1_14partition_implILS8_4ELb0ES6_15HIP_vector_typeIjLj2EENS0_17counting_iteratorIjlEEPS9_SG_NS0_5tupleIJPjSI_NS0_16reverse_iteratorISI_EEEEENSH_IJSG_SG_SG_EEES9_SI_JZNS1_25segmented_radix_sort_implINS0_14default_configELb0EPKhPhPKlPlN2at6native12_GLOBAL__N_18offset_tEEE10hipError_tPvRmT1_PNSt15iterator_traitsIS12_E10value_typeET2_T3_PNS13_IS18_E10value_typeET4_jRbjT5_S1E_jjP12ihipStream_tbEUljE_ZNSN_ISO_Lb0ESQ_SR_ST_SU_SY_EESZ_S10_S11_S12_S16_S17_S18_S1B_S1C_jS1D_jS1E_S1E_jjS1G_bEUljE0_EEESZ_S10_S11_S18_S1C_S1E_T6_T7_T9_mT8_S1G_bDpT10_ENKUlT_T0_E_clISt17integral_constantIbLb0EES1U_EEDaS1P_S1Q_EUlS1P_E_NS1_11comp_targetILNS1_3genE2ELNS1_11target_archE906ELNS1_3gpuE6ELNS1_3repE0EEENS1_30default_config_static_selectorELNS0_4arch9wavefront6targetE0EEEvS12_ ; -- Begin function _ZN7rocprim17ROCPRIM_400000_NS6detail17trampoline_kernelINS0_13select_configILj256ELj13ELNS0_17block_load_methodE3ELS4_3ELS4_3ELNS0_20block_scan_algorithmE0ELj4294967295EEENS1_25partition_config_selectorILNS1_17partition_subalgoE4EjNS0_10empty_typeEbEEZZNS1_14partition_implILS8_4ELb0ES6_15HIP_vector_typeIjLj2EENS0_17counting_iteratorIjlEEPS9_SG_NS0_5tupleIJPjSI_NS0_16reverse_iteratorISI_EEEEENSH_IJSG_SG_SG_EEES9_SI_JZNS1_25segmented_radix_sort_implINS0_14default_configELb0EPKhPhPKlPlN2at6native12_GLOBAL__N_18offset_tEEE10hipError_tPvRmT1_PNSt15iterator_traitsIS12_E10value_typeET2_T3_PNS13_IS18_E10value_typeET4_jRbjT5_S1E_jjP12ihipStream_tbEUljE_ZNSN_ISO_Lb0ESQ_SR_ST_SU_SY_EESZ_S10_S11_S12_S16_S17_S18_S1B_S1C_jS1D_jS1E_S1E_jjS1G_bEUljE0_EEESZ_S10_S11_S18_S1C_S1E_T6_T7_T9_mT8_S1G_bDpT10_ENKUlT_T0_E_clISt17integral_constantIbLb0EES1U_EEDaS1P_S1Q_EUlS1P_E_NS1_11comp_targetILNS1_3genE2ELNS1_11target_archE906ELNS1_3gpuE6ELNS1_3repE0EEENS1_30default_config_static_selectorELNS0_4arch9wavefront6targetE0EEEvS12_
	.p2align	8
	.type	_ZN7rocprim17ROCPRIM_400000_NS6detail17trampoline_kernelINS0_13select_configILj256ELj13ELNS0_17block_load_methodE3ELS4_3ELS4_3ELNS0_20block_scan_algorithmE0ELj4294967295EEENS1_25partition_config_selectorILNS1_17partition_subalgoE4EjNS0_10empty_typeEbEEZZNS1_14partition_implILS8_4ELb0ES6_15HIP_vector_typeIjLj2EENS0_17counting_iteratorIjlEEPS9_SG_NS0_5tupleIJPjSI_NS0_16reverse_iteratorISI_EEEEENSH_IJSG_SG_SG_EEES9_SI_JZNS1_25segmented_radix_sort_implINS0_14default_configELb0EPKhPhPKlPlN2at6native12_GLOBAL__N_18offset_tEEE10hipError_tPvRmT1_PNSt15iterator_traitsIS12_E10value_typeET2_T3_PNS13_IS18_E10value_typeET4_jRbjT5_S1E_jjP12ihipStream_tbEUljE_ZNSN_ISO_Lb0ESQ_SR_ST_SU_SY_EESZ_S10_S11_S12_S16_S17_S18_S1B_S1C_jS1D_jS1E_S1E_jjS1G_bEUljE0_EEESZ_S10_S11_S18_S1C_S1E_T6_T7_T9_mT8_S1G_bDpT10_ENKUlT_T0_E_clISt17integral_constantIbLb0EES1U_EEDaS1P_S1Q_EUlS1P_E_NS1_11comp_targetILNS1_3genE2ELNS1_11target_archE906ELNS1_3gpuE6ELNS1_3repE0EEENS1_30default_config_static_selectorELNS0_4arch9wavefront6targetE0EEEvS12_,@function
_ZN7rocprim17ROCPRIM_400000_NS6detail17trampoline_kernelINS0_13select_configILj256ELj13ELNS0_17block_load_methodE3ELS4_3ELS4_3ELNS0_20block_scan_algorithmE0ELj4294967295EEENS1_25partition_config_selectorILNS1_17partition_subalgoE4EjNS0_10empty_typeEbEEZZNS1_14partition_implILS8_4ELb0ES6_15HIP_vector_typeIjLj2EENS0_17counting_iteratorIjlEEPS9_SG_NS0_5tupleIJPjSI_NS0_16reverse_iteratorISI_EEEEENSH_IJSG_SG_SG_EEES9_SI_JZNS1_25segmented_radix_sort_implINS0_14default_configELb0EPKhPhPKlPlN2at6native12_GLOBAL__N_18offset_tEEE10hipError_tPvRmT1_PNSt15iterator_traitsIS12_E10value_typeET2_T3_PNS13_IS18_E10value_typeET4_jRbjT5_S1E_jjP12ihipStream_tbEUljE_ZNSN_ISO_Lb0ESQ_SR_ST_SU_SY_EESZ_S10_S11_S12_S16_S17_S18_S1B_S1C_jS1D_jS1E_S1E_jjS1G_bEUljE0_EEESZ_S10_S11_S18_S1C_S1E_T6_T7_T9_mT8_S1G_bDpT10_ENKUlT_T0_E_clISt17integral_constantIbLb0EES1U_EEDaS1P_S1Q_EUlS1P_E_NS1_11comp_targetILNS1_3genE2ELNS1_11target_archE906ELNS1_3gpuE6ELNS1_3repE0EEENS1_30default_config_static_selectorELNS0_4arch9wavefront6targetE0EEEvS12_: ; @_ZN7rocprim17ROCPRIM_400000_NS6detail17trampoline_kernelINS0_13select_configILj256ELj13ELNS0_17block_load_methodE3ELS4_3ELS4_3ELNS0_20block_scan_algorithmE0ELj4294967295EEENS1_25partition_config_selectorILNS1_17partition_subalgoE4EjNS0_10empty_typeEbEEZZNS1_14partition_implILS8_4ELb0ES6_15HIP_vector_typeIjLj2EENS0_17counting_iteratorIjlEEPS9_SG_NS0_5tupleIJPjSI_NS0_16reverse_iteratorISI_EEEEENSH_IJSG_SG_SG_EEES9_SI_JZNS1_25segmented_radix_sort_implINS0_14default_configELb0EPKhPhPKlPlN2at6native12_GLOBAL__N_18offset_tEEE10hipError_tPvRmT1_PNSt15iterator_traitsIS12_E10value_typeET2_T3_PNS13_IS18_E10value_typeET4_jRbjT5_S1E_jjP12ihipStream_tbEUljE_ZNSN_ISO_Lb0ESQ_SR_ST_SU_SY_EESZ_S10_S11_S12_S16_S17_S18_S1B_S1C_jS1D_jS1E_S1E_jjS1G_bEUljE0_EEESZ_S10_S11_S18_S1C_S1E_T6_T7_T9_mT8_S1G_bDpT10_ENKUlT_T0_E_clISt17integral_constantIbLb0EES1U_EEDaS1P_S1Q_EUlS1P_E_NS1_11comp_targetILNS1_3genE2ELNS1_11target_archE906ELNS1_3gpuE6ELNS1_3repE0EEENS1_30default_config_static_selectorELNS0_4arch9wavefront6targetE0EEEvS12_
; %bb.0:
	.section	.rodata,"a",@progbits
	.p2align	6, 0x0
	.amdhsa_kernel _ZN7rocprim17ROCPRIM_400000_NS6detail17trampoline_kernelINS0_13select_configILj256ELj13ELNS0_17block_load_methodE3ELS4_3ELS4_3ELNS0_20block_scan_algorithmE0ELj4294967295EEENS1_25partition_config_selectorILNS1_17partition_subalgoE4EjNS0_10empty_typeEbEEZZNS1_14partition_implILS8_4ELb0ES6_15HIP_vector_typeIjLj2EENS0_17counting_iteratorIjlEEPS9_SG_NS0_5tupleIJPjSI_NS0_16reverse_iteratorISI_EEEEENSH_IJSG_SG_SG_EEES9_SI_JZNS1_25segmented_radix_sort_implINS0_14default_configELb0EPKhPhPKlPlN2at6native12_GLOBAL__N_18offset_tEEE10hipError_tPvRmT1_PNSt15iterator_traitsIS12_E10value_typeET2_T3_PNS13_IS18_E10value_typeET4_jRbjT5_S1E_jjP12ihipStream_tbEUljE_ZNSN_ISO_Lb0ESQ_SR_ST_SU_SY_EESZ_S10_S11_S12_S16_S17_S18_S1B_S1C_jS1D_jS1E_S1E_jjS1G_bEUljE0_EEESZ_S10_S11_S18_S1C_S1E_T6_T7_T9_mT8_S1G_bDpT10_ENKUlT_T0_E_clISt17integral_constantIbLb0EES1U_EEDaS1P_S1Q_EUlS1P_E_NS1_11comp_targetILNS1_3genE2ELNS1_11target_archE906ELNS1_3gpuE6ELNS1_3repE0EEENS1_30default_config_static_selectorELNS0_4arch9wavefront6targetE0EEEvS12_
		.amdhsa_group_segment_fixed_size 0
		.amdhsa_private_segment_fixed_size 0
		.amdhsa_kernarg_size 176
		.amdhsa_user_sgpr_count 2
		.amdhsa_user_sgpr_dispatch_ptr 0
		.amdhsa_user_sgpr_queue_ptr 0
		.amdhsa_user_sgpr_kernarg_segment_ptr 1
		.amdhsa_user_sgpr_dispatch_id 0
		.amdhsa_user_sgpr_kernarg_preload_length 0
		.amdhsa_user_sgpr_kernarg_preload_offset 0
		.amdhsa_user_sgpr_private_segment_size 0
		.amdhsa_wavefront_size32 1
		.amdhsa_uses_dynamic_stack 0
		.amdhsa_enable_private_segment 0
		.amdhsa_system_sgpr_workgroup_id_x 1
		.amdhsa_system_sgpr_workgroup_id_y 0
		.amdhsa_system_sgpr_workgroup_id_z 0
		.amdhsa_system_sgpr_workgroup_info 0
		.amdhsa_system_vgpr_workitem_id 0
		.amdhsa_next_free_vgpr 1
		.amdhsa_next_free_sgpr 1
		.amdhsa_named_barrier_count 0
		.amdhsa_reserve_vcc 0
		.amdhsa_float_round_mode_32 0
		.amdhsa_float_round_mode_16_64 0
		.amdhsa_float_denorm_mode_32 3
		.amdhsa_float_denorm_mode_16_64 3
		.amdhsa_fp16_overflow 0
		.amdhsa_memory_ordered 1
		.amdhsa_forward_progress 1
		.amdhsa_inst_pref_size 0
		.amdhsa_round_robin_scheduling 0
		.amdhsa_exception_fp_ieee_invalid_op 0
		.amdhsa_exception_fp_denorm_src 0
		.amdhsa_exception_fp_ieee_div_zero 0
		.amdhsa_exception_fp_ieee_overflow 0
		.amdhsa_exception_fp_ieee_underflow 0
		.amdhsa_exception_fp_ieee_inexact 0
		.amdhsa_exception_int_div_zero 0
	.end_amdhsa_kernel
	.section	.text._ZN7rocprim17ROCPRIM_400000_NS6detail17trampoline_kernelINS0_13select_configILj256ELj13ELNS0_17block_load_methodE3ELS4_3ELS4_3ELNS0_20block_scan_algorithmE0ELj4294967295EEENS1_25partition_config_selectorILNS1_17partition_subalgoE4EjNS0_10empty_typeEbEEZZNS1_14partition_implILS8_4ELb0ES6_15HIP_vector_typeIjLj2EENS0_17counting_iteratorIjlEEPS9_SG_NS0_5tupleIJPjSI_NS0_16reverse_iteratorISI_EEEEENSH_IJSG_SG_SG_EEES9_SI_JZNS1_25segmented_radix_sort_implINS0_14default_configELb0EPKhPhPKlPlN2at6native12_GLOBAL__N_18offset_tEEE10hipError_tPvRmT1_PNSt15iterator_traitsIS12_E10value_typeET2_T3_PNS13_IS18_E10value_typeET4_jRbjT5_S1E_jjP12ihipStream_tbEUljE_ZNSN_ISO_Lb0ESQ_SR_ST_SU_SY_EESZ_S10_S11_S12_S16_S17_S18_S1B_S1C_jS1D_jS1E_S1E_jjS1G_bEUljE0_EEESZ_S10_S11_S18_S1C_S1E_T6_T7_T9_mT8_S1G_bDpT10_ENKUlT_T0_E_clISt17integral_constantIbLb0EES1U_EEDaS1P_S1Q_EUlS1P_E_NS1_11comp_targetILNS1_3genE2ELNS1_11target_archE906ELNS1_3gpuE6ELNS1_3repE0EEENS1_30default_config_static_selectorELNS0_4arch9wavefront6targetE0EEEvS12_,"axG",@progbits,_ZN7rocprim17ROCPRIM_400000_NS6detail17trampoline_kernelINS0_13select_configILj256ELj13ELNS0_17block_load_methodE3ELS4_3ELS4_3ELNS0_20block_scan_algorithmE0ELj4294967295EEENS1_25partition_config_selectorILNS1_17partition_subalgoE4EjNS0_10empty_typeEbEEZZNS1_14partition_implILS8_4ELb0ES6_15HIP_vector_typeIjLj2EENS0_17counting_iteratorIjlEEPS9_SG_NS0_5tupleIJPjSI_NS0_16reverse_iteratorISI_EEEEENSH_IJSG_SG_SG_EEES9_SI_JZNS1_25segmented_radix_sort_implINS0_14default_configELb0EPKhPhPKlPlN2at6native12_GLOBAL__N_18offset_tEEE10hipError_tPvRmT1_PNSt15iterator_traitsIS12_E10value_typeET2_T3_PNS13_IS18_E10value_typeET4_jRbjT5_S1E_jjP12ihipStream_tbEUljE_ZNSN_ISO_Lb0ESQ_SR_ST_SU_SY_EESZ_S10_S11_S12_S16_S17_S18_S1B_S1C_jS1D_jS1E_S1E_jjS1G_bEUljE0_EEESZ_S10_S11_S18_S1C_S1E_T6_T7_T9_mT8_S1G_bDpT10_ENKUlT_T0_E_clISt17integral_constantIbLb0EES1U_EEDaS1P_S1Q_EUlS1P_E_NS1_11comp_targetILNS1_3genE2ELNS1_11target_archE906ELNS1_3gpuE6ELNS1_3repE0EEENS1_30default_config_static_selectorELNS0_4arch9wavefront6targetE0EEEvS12_,comdat
.Lfunc_end125:
	.size	_ZN7rocprim17ROCPRIM_400000_NS6detail17trampoline_kernelINS0_13select_configILj256ELj13ELNS0_17block_load_methodE3ELS4_3ELS4_3ELNS0_20block_scan_algorithmE0ELj4294967295EEENS1_25partition_config_selectorILNS1_17partition_subalgoE4EjNS0_10empty_typeEbEEZZNS1_14partition_implILS8_4ELb0ES6_15HIP_vector_typeIjLj2EENS0_17counting_iteratorIjlEEPS9_SG_NS0_5tupleIJPjSI_NS0_16reverse_iteratorISI_EEEEENSH_IJSG_SG_SG_EEES9_SI_JZNS1_25segmented_radix_sort_implINS0_14default_configELb0EPKhPhPKlPlN2at6native12_GLOBAL__N_18offset_tEEE10hipError_tPvRmT1_PNSt15iterator_traitsIS12_E10value_typeET2_T3_PNS13_IS18_E10value_typeET4_jRbjT5_S1E_jjP12ihipStream_tbEUljE_ZNSN_ISO_Lb0ESQ_SR_ST_SU_SY_EESZ_S10_S11_S12_S16_S17_S18_S1B_S1C_jS1D_jS1E_S1E_jjS1G_bEUljE0_EEESZ_S10_S11_S18_S1C_S1E_T6_T7_T9_mT8_S1G_bDpT10_ENKUlT_T0_E_clISt17integral_constantIbLb0EES1U_EEDaS1P_S1Q_EUlS1P_E_NS1_11comp_targetILNS1_3genE2ELNS1_11target_archE906ELNS1_3gpuE6ELNS1_3repE0EEENS1_30default_config_static_selectorELNS0_4arch9wavefront6targetE0EEEvS12_, .Lfunc_end125-_ZN7rocprim17ROCPRIM_400000_NS6detail17trampoline_kernelINS0_13select_configILj256ELj13ELNS0_17block_load_methodE3ELS4_3ELS4_3ELNS0_20block_scan_algorithmE0ELj4294967295EEENS1_25partition_config_selectorILNS1_17partition_subalgoE4EjNS0_10empty_typeEbEEZZNS1_14partition_implILS8_4ELb0ES6_15HIP_vector_typeIjLj2EENS0_17counting_iteratorIjlEEPS9_SG_NS0_5tupleIJPjSI_NS0_16reverse_iteratorISI_EEEEENSH_IJSG_SG_SG_EEES9_SI_JZNS1_25segmented_radix_sort_implINS0_14default_configELb0EPKhPhPKlPlN2at6native12_GLOBAL__N_18offset_tEEE10hipError_tPvRmT1_PNSt15iterator_traitsIS12_E10value_typeET2_T3_PNS13_IS18_E10value_typeET4_jRbjT5_S1E_jjP12ihipStream_tbEUljE_ZNSN_ISO_Lb0ESQ_SR_ST_SU_SY_EESZ_S10_S11_S12_S16_S17_S18_S1B_S1C_jS1D_jS1E_S1E_jjS1G_bEUljE0_EEESZ_S10_S11_S18_S1C_S1E_T6_T7_T9_mT8_S1G_bDpT10_ENKUlT_T0_E_clISt17integral_constantIbLb0EES1U_EEDaS1P_S1Q_EUlS1P_E_NS1_11comp_targetILNS1_3genE2ELNS1_11target_archE906ELNS1_3gpuE6ELNS1_3repE0EEENS1_30default_config_static_selectorELNS0_4arch9wavefront6targetE0EEEvS12_
                                        ; -- End function
	.set _ZN7rocprim17ROCPRIM_400000_NS6detail17trampoline_kernelINS0_13select_configILj256ELj13ELNS0_17block_load_methodE3ELS4_3ELS4_3ELNS0_20block_scan_algorithmE0ELj4294967295EEENS1_25partition_config_selectorILNS1_17partition_subalgoE4EjNS0_10empty_typeEbEEZZNS1_14partition_implILS8_4ELb0ES6_15HIP_vector_typeIjLj2EENS0_17counting_iteratorIjlEEPS9_SG_NS0_5tupleIJPjSI_NS0_16reverse_iteratorISI_EEEEENSH_IJSG_SG_SG_EEES9_SI_JZNS1_25segmented_radix_sort_implINS0_14default_configELb0EPKhPhPKlPlN2at6native12_GLOBAL__N_18offset_tEEE10hipError_tPvRmT1_PNSt15iterator_traitsIS12_E10value_typeET2_T3_PNS13_IS18_E10value_typeET4_jRbjT5_S1E_jjP12ihipStream_tbEUljE_ZNSN_ISO_Lb0ESQ_SR_ST_SU_SY_EESZ_S10_S11_S12_S16_S17_S18_S1B_S1C_jS1D_jS1E_S1E_jjS1G_bEUljE0_EEESZ_S10_S11_S18_S1C_S1E_T6_T7_T9_mT8_S1G_bDpT10_ENKUlT_T0_E_clISt17integral_constantIbLb0EES1U_EEDaS1P_S1Q_EUlS1P_E_NS1_11comp_targetILNS1_3genE2ELNS1_11target_archE906ELNS1_3gpuE6ELNS1_3repE0EEENS1_30default_config_static_selectorELNS0_4arch9wavefront6targetE0EEEvS12_.num_vgpr, 0
	.set _ZN7rocprim17ROCPRIM_400000_NS6detail17trampoline_kernelINS0_13select_configILj256ELj13ELNS0_17block_load_methodE3ELS4_3ELS4_3ELNS0_20block_scan_algorithmE0ELj4294967295EEENS1_25partition_config_selectorILNS1_17partition_subalgoE4EjNS0_10empty_typeEbEEZZNS1_14partition_implILS8_4ELb0ES6_15HIP_vector_typeIjLj2EENS0_17counting_iteratorIjlEEPS9_SG_NS0_5tupleIJPjSI_NS0_16reverse_iteratorISI_EEEEENSH_IJSG_SG_SG_EEES9_SI_JZNS1_25segmented_radix_sort_implINS0_14default_configELb0EPKhPhPKlPlN2at6native12_GLOBAL__N_18offset_tEEE10hipError_tPvRmT1_PNSt15iterator_traitsIS12_E10value_typeET2_T3_PNS13_IS18_E10value_typeET4_jRbjT5_S1E_jjP12ihipStream_tbEUljE_ZNSN_ISO_Lb0ESQ_SR_ST_SU_SY_EESZ_S10_S11_S12_S16_S17_S18_S1B_S1C_jS1D_jS1E_S1E_jjS1G_bEUljE0_EEESZ_S10_S11_S18_S1C_S1E_T6_T7_T9_mT8_S1G_bDpT10_ENKUlT_T0_E_clISt17integral_constantIbLb0EES1U_EEDaS1P_S1Q_EUlS1P_E_NS1_11comp_targetILNS1_3genE2ELNS1_11target_archE906ELNS1_3gpuE6ELNS1_3repE0EEENS1_30default_config_static_selectorELNS0_4arch9wavefront6targetE0EEEvS12_.num_agpr, 0
	.set _ZN7rocprim17ROCPRIM_400000_NS6detail17trampoline_kernelINS0_13select_configILj256ELj13ELNS0_17block_load_methodE3ELS4_3ELS4_3ELNS0_20block_scan_algorithmE0ELj4294967295EEENS1_25partition_config_selectorILNS1_17partition_subalgoE4EjNS0_10empty_typeEbEEZZNS1_14partition_implILS8_4ELb0ES6_15HIP_vector_typeIjLj2EENS0_17counting_iteratorIjlEEPS9_SG_NS0_5tupleIJPjSI_NS0_16reverse_iteratorISI_EEEEENSH_IJSG_SG_SG_EEES9_SI_JZNS1_25segmented_radix_sort_implINS0_14default_configELb0EPKhPhPKlPlN2at6native12_GLOBAL__N_18offset_tEEE10hipError_tPvRmT1_PNSt15iterator_traitsIS12_E10value_typeET2_T3_PNS13_IS18_E10value_typeET4_jRbjT5_S1E_jjP12ihipStream_tbEUljE_ZNSN_ISO_Lb0ESQ_SR_ST_SU_SY_EESZ_S10_S11_S12_S16_S17_S18_S1B_S1C_jS1D_jS1E_S1E_jjS1G_bEUljE0_EEESZ_S10_S11_S18_S1C_S1E_T6_T7_T9_mT8_S1G_bDpT10_ENKUlT_T0_E_clISt17integral_constantIbLb0EES1U_EEDaS1P_S1Q_EUlS1P_E_NS1_11comp_targetILNS1_3genE2ELNS1_11target_archE906ELNS1_3gpuE6ELNS1_3repE0EEENS1_30default_config_static_selectorELNS0_4arch9wavefront6targetE0EEEvS12_.numbered_sgpr, 0
	.set _ZN7rocprim17ROCPRIM_400000_NS6detail17trampoline_kernelINS0_13select_configILj256ELj13ELNS0_17block_load_methodE3ELS4_3ELS4_3ELNS0_20block_scan_algorithmE0ELj4294967295EEENS1_25partition_config_selectorILNS1_17partition_subalgoE4EjNS0_10empty_typeEbEEZZNS1_14partition_implILS8_4ELb0ES6_15HIP_vector_typeIjLj2EENS0_17counting_iteratorIjlEEPS9_SG_NS0_5tupleIJPjSI_NS0_16reverse_iteratorISI_EEEEENSH_IJSG_SG_SG_EEES9_SI_JZNS1_25segmented_radix_sort_implINS0_14default_configELb0EPKhPhPKlPlN2at6native12_GLOBAL__N_18offset_tEEE10hipError_tPvRmT1_PNSt15iterator_traitsIS12_E10value_typeET2_T3_PNS13_IS18_E10value_typeET4_jRbjT5_S1E_jjP12ihipStream_tbEUljE_ZNSN_ISO_Lb0ESQ_SR_ST_SU_SY_EESZ_S10_S11_S12_S16_S17_S18_S1B_S1C_jS1D_jS1E_S1E_jjS1G_bEUljE0_EEESZ_S10_S11_S18_S1C_S1E_T6_T7_T9_mT8_S1G_bDpT10_ENKUlT_T0_E_clISt17integral_constantIbLb0EES1U_EEDaS1P_S1Q_EUlS1P_E_NS1_11comp_targetILNS1_3genE2ELNS1_11target_archE906ELNS1_3gpuE6ELNS1_3repE0EEENS1_30default_config_static_selectorELNS0_4arch9wavefront6targetE0EEEvS12_.num_named_barrier, 0
	.set _ZN7rocprim17ROCPRIM_400000_NS6detail17trampoline_kernelINS0_13select_configILj256ELj13ELNS0_17block_load_methodE3ELS4_3ELS4_3ELNS0_20block_scan_algorithmE0ELj4294967295EEENS1_25partition_config_selectorILNS1_17partition_subalgoE4EjNS0_10empty_typeEbEEZZNS1_14partition_implILS8_4ELb0ES6_15HIP_vector_typeIjLj2EENS0_17counting_iteratorIjlEEPS9_SG_NS0_5tupleIJPjSI_NS0_16reverse_iteratorISI_EEEEENSH_IJSG_SG_SG_EEES9_SI_JZNS1_25segmented_radix_sort_implINS0_14default_configELb0EPKhPhPKlPlN2at6native12_GLOBAL__N_18offset_tEEE10hipError_tPvRmT1_PNSt15iterator_traitsIS12_E10value_typeET2_T3_PNS13_IS18_E10value_typeET4_jRbjT5_S1E_jjP12ihipStream_tbEUljE_ZNSN_ISO_Lb0ESQ_SR_ST_SU_SY_EESZ_S10_S11_S12_S16_S17_S18_S1B_S1C_jS1D_jS1E_S1E_jjS1G_bEUljE0_EEESZ_S10_S11_S18_S1C_S1E_T6_T7_T9_mT8_S1G_bDpT10_ENKUlT_T0_E_clISt17integral_constantIbLb0EES1U_EEDaS1P_S1Q_EUlS1P_E_NS1_11comp_targetILNS1_3genE2ELNS1_11target_archE906ELNS1_3gpuE6ELNS1_3repE0EEENS1_30default_config_static_selectorELNS0_4arch9wavefront6targetE0EEEvS12_.private_seg_size, 0
	.set _ZN7rocprim17ROCPRIM_400000_NS6detail17trampoline_kernelINS0_13select_configILj256ELj13ELNS0_17block_load_methodE3ELS4_3ELS4_3ELNS0_20block_scan_algorithmE0ELj4294967295EEENS1_25partition_config_selectorILNS1_17partition_subalgoE4EjNS0_10empty_typeEbEEZZNS1_14partition_implILS8_4ELb0ES6_15HIP_vector_typeIjLj2EENS0_17counting_iteratorIjlEEPS9_SG_NS0_5tupleIJPjSI_NS0_16reverse_iteratorISI_EEEEENSH_IJSG_SG_SG_EEES9_SI_JZNS1_25segmented_radix_sort_implINS0_14default_configELb0EPKhPhPKlPlN2at6native12_GLOBAL__N_18offset_tEEE10hipError_tPvRmT1_PNSt15iterator_traitsIS12_E10value_typeET2_T3_PNS13_IS18_E10value_typeET4_jRbjT5_S1E_jjP12ihipStream_tbEUljE_ZNSN_ISO_Lb0ESQ_SR_ST_SU_SY_EESZ_S10_S11_S12_S16_S17_S18_S1B_S1C_jS1D_jS1E_S1E_jjS1G_bEUljE0_EEESZ_S10_S11_S18_S1C_S1E_T6_T7_T9_mT8_S1G_bDpT10_ENKUlT_T0_E_clISt17integral_constantIbLb0EES1U_EEDaS1P_S1Q_EUlS1P_E_NS1_11comp_targetILNS1_3genE2ELNS1_11target_archE906ELNS1_3gpuE6ELNS1_3repE0EEENS1_30default_config_static_selectorELNS0_4arch9wavefront6targetE0EEEvS12_.uses_vcc, 0
	.set _ZN7rocprim17ROCPRIM_400000_NS6detail17trampoline_kernelINS0_13select_configILj256ELj13ELNS0_17block_load_methodE3ELS4_3ELS4_3ELNS0_20block_scan_algorithmE0ELj4294967295EEENS1_25partition_config_selectorILNS1_17partition_subalgoE4EjNS0_10empty_typeEbEEZZNS1_14partition_implILS8_4ELb0ES6_15HIP_vector_typeIjLj2EENS0_17counting_iteratorIjlEEPS9_SG_NS0_5tupleIJPjSI_NS0_16reverse_iteratorISI_EEEEENSH_IJSG_SG_SG_EEES9_SI_JZNS1_25segmented_radix_sort_implINS0_14default_configELb0EPKhPhPKlPlN2at6native12_GLOBAL__N_18offset_tEEE10hipError_tPvRmT1_PNSt15iterator_traitsIS12_E10value_typeET2_T3_PNS13_IS18_E10value_typeET4_jRbjT5_S1E_jjP12ihipStream_tbEUljE_ZNSN_ISO_Lb0ESQ_SR_ST_SU_SY_EESZ_S10_S11_S12_S16_S17_S18_S1B_S1C_jS1D_jS1E_S1E_jjS1G_bEUljE0_EEESZ_S10_S11_S18_S1C_S1E_T6_T7_T9_mT8_S1G_bDpT10_ENKUlT_T0_E_clISt17integral_constantIbLb0EES1U_EEDaS1P_S1Q_EUlS1P_E_NS1_11comp_targetILNS1_3genE2ELNS1_11target_archE906ELNS1_3gpuE6ELNS1_3repE0EEENS1_30default_config_static_selectorELNS0_4arch9wavefront6targetE0EEEvS12_.uses_flat_scratch, 0
	.set _ZN7rocprim17ROCPRIM_400000_NS6detail17trampoline_kernelINS0_13select_configILj256ELj13ELNS0_17block_load_methodE3ELS4_3ELS4_3ELNS0_20block_scan_algorithmE0ELj4294967295EEENS1_25partition_config_selectorILNS1_17partition_subalgoE4EjNS0_10empty_typeEbEEZZNS1_14partition_implILS8_4ELb0ES6_15HIP_vector_typeIjLj2EENS0_17counting_iteratorIjlEEPS9_SG_NS0_5tupleIJPjSI_NS0_16reverse_iteratorISI_EEEEENSH_IJSG_SG_SG_EEES9_SI_JZNS1_25segmented_radix_sort_implINS0_14default_configELb0EPKhPhPKlPlN2at6native12_GLOBAL__N_18offset_tEEE10hipError_tPvRmT1_PNSt15iterator_traitsIS12_E10value_typeET2_T3_PNS13_IS18_E10value_typeET4_jRbjT5_S1E_jjP12ihipStream_tbEUljE_ZNSN_ISO_Lb0ESQ_SR_ST_SU_SY_EESZ_S10_S11_S12_S16_S17_S18_S1B_S1C_jS1D_jS1E_S1E_jjS1G_bEUljE0_EEESZ_S10_S11_S18_S1C_S1E_T6_T7_T9_mT8_S1G_bDpT10_ENKUlT_T0_E_clISt17integral_constantIbLb0EES1U_EEDaS1P_S1Q_EUlS1P_E_NS1_11comp_targetILNS1_3genE2ELNS1_11target_archE906ELNS1_3gpuE6ELNS1_3repE0EEENS1_30default_config_static_selectorELNS0_4arch9wavefront6targetE0EEEvS12_.has_dyn_sized_stack, 0
	.set _ZN7rocprim17ROCPRIM_400000_NS6detail17trampoline_kernelINS0_13select_configILj256ELj13ELNS0_17block_load_methodE3ELS4_3ELS4_3ELNS0_20block_scan_algorithmE0ELj4294967295EEENS1_25partition_config_selectorILNS1_17partition_subalgoE4EjNS0_10empty_typeEbEEZZNS1_14partition_implILS8_4ELb0ES6_15HIP_vector_typeIjLj2EENS0_17counting_iteratorIjlEEPS9_SG_NS0_5tupleIJPjSI_NS0_16reverse_iteratorISI_EEEEENSH_IJSG_SG_SG_EEES9_SI_JZNS1_25segmented_radix_sort_implINS0_14default_configELb0EPKhPhPKlPlN2at6native12_GLOBAL__N_18offset_tEEE10hipError_tPvRmT1_PNSt15iterator_traitsIS12_E10value_typeET2_T3_PNS13_IS18_E10value_typeET4_jRbjT5_S1E_jjP12ihipStream_tbEUljE_ZNSN_ISO_Lb0ESQ_SR_ST_SU_SY_EESZ_S10_S11_S12_S16_S17_S18_S1B_S1C_jS1D_jS1E_S1E_jjS1G_bEUljE0_EEESZ_S10_S11_S18_S1C_S1E_T6_T7_T9_mT8_S1G_bDpT10_ENKUlT_T0_E_clISt17integral_constantIbLb0EES1U_EEDaS1P_S1Q_EUlS1P_E_NS1_11comp_targetILNS1_3genE2ELNS1_11target_archE906ELNS1_3gpuE6ELNS1_3repE0EEENS1_30default_config_static_selectorELNS0_4arch9wavefront6targetE0EEEvS12_.has_recursion, 0
	.set _ZN7rocprim17ROCPRIM_400000_NS6detail17trampoline_kernelINS0_13select_configILj256ELj13ELNS0_17block_load_methodE3ELS4_3ELS4_3ELNS0_20block_scan_algorithmE0ELj4294967295EEENS1_25partition_config_selectorILNS1_17partition_subalgoE4EjNS0_10empty_typeEbEEZZNS1_14partition_implILS8_4ELb0ES6_15HIP_vector_typeIjLj2EENS0_17counting_iteratorIjlEEPS9_SG_NS0_5tupleIJPjSI_NS0_16reverse_iteratorISI_EEEEENSH_IJSG_SG_SG_EEES9_SI_JZNS1_25segmented_radix_sort_implINS0_14default_configELb0EPKhPhPKlPlN2at6native12_GLOBAL__N_18offset_tEEE10hipError_tPvRmT1_PNSt15iterator_traitsIS12_E10value_typeET2_T3_PNS13_IS18_E10value_typeET4_jRbjT5_S1E_jjP12ihipStream_tbEUljE_ZNSN_ISO_Lb0ESQ_SR_ST_SU_SY_EESZ_S10_S11_S12_S16_S17_S18_S1B_S1C_jS1D_jS1E_S1E_jjS1G_bEUljE0_EEESZ_S10_S11_S18_S1C_S1E_T6_T7_T9_mT8_S1G_bDpT10_ENKUlT_T0_E_clISt17integral_constantIbLb0EES1U_EEDaS1P_S1Q_EUlS1P_E_NS1_11comp_targetILNS1_3genE2ELNS1_11target_archE906ELNS1_3gpuE6ELNS1_3repE0EEENS1_30default_config_static_selectorELNS0_4arch9wavefront6targetE0EEEvS12_.has_indirect_call, 0
	.section	.AMDGPU.csdata,"",@progbits
; Kernel info:
; codeLenInByte = 0
; TotalNumSgprs: 0
; NumVgprs: 0
; ScratchSize: 0
; MemoryBound: 0
; FloatMode: 240
; IeeeMode: 1
; LDSByteSize: 0 bytes/workgroup (compile time only)
; SGPRBlocks: 0
; VGPRBlocks: 0
; NumSGPRsForWavesPerEU: 1
; NumVGPRsForWavesPerEU: 1
; NamedBarCnt: 0
; Occupancy: 16
; WaveLimiterHint : 0
; COMPUTE_PGM_RSRC2:SCRATCH_EN: 0
; COMPUTE_PGM_RSRC2:USER_SGPR: 2
; COMPUTE_PGM_RSRC2:TRAP_HANDLER: 0
; COMPUTE_PGM_RSRC2:TGID_X_EN: 1
; COMPUTE_PGM_RSRC2:TGID_Y_EN: 0
; COMPUTE_PGM_RSRC2:TGID_Z_EN: 0
; COMPUTE_PGM_RSRC2:TIDIG_COMP_CNT: 0
	.section	.text._ZN7rocprim17ROCPRIM_400000_NS6detail17trampoline_kernelINS0_13select_configILj256ELj13ELNS0_17block_load_methodE3ELS4_3ELS4_3ELNS0_20block_scan_algorithmE0ELj4294967295EEENS1_25partition_config_selectorILNS1_17partition_subalgoE4EjNS0_10empty_typeEbEEZZNS1_14partition_implILS8_4ELb0ES6_15HIP_vector_typeIjLj2EENS0_17counting_iteratorIjlEEPS9_SG_NS0_5tupleIJPjSI_NS0_16reverse_iteratorISI_EEEEENSH_IJSG_SG_SG_EEES9_SI_JZNS1_25segmented_radix_sort_implINS0_14default_configELb0EPKhPhPKlPlN2at6native12_GLOBAL__N_18offset_tEEE10hipError_tPvRmT1_PNSt15iterator_traitsIS12_E10value_typeET2_T3_PNS13_IS18_E10value_typeET4_jRbjT5_S1E_jjP12ihipStream_tbEUljE_ZNSN_ISO_Lb0ESQ_SR_ST_SU_SY_EESZ_S10_S11_S12_S16_S17_S18_S1B_S1C_jS1D_jS1E_S1E_jjS1G_bEUljE0_EEESZ_S10_S11_S18_S1C_S1E_T6_T7_T9_mT8_S1G_bDpT10_ENKUlT_T0_E_clISt17integral_constantIbLb0EES1U_EEDaS1P_S1Q_EUlS1P_E_NS1_11comp_targetILNS1_3genE10ELNS1_11target_archE1200ELNS1_3gpuE4ELNS1_3repE0EEENS1_30default_config_static_selectorELNS0_4arch9wavefront6targetE0EEEvS12_,"axG",@progbits,_ZN7rocprim17ROCPRIM_400000_NS6detail17trampoline_kernelINS0_13select_configILj256ELj13ELNS0_17block_load_methodE3ELS4_3ELS4_3ELNS0_20block_scan_algorithmE0ELj4294967295EEENS1_25partition_config_selectorILNS1_17partition_subalgoE4EjNS0_10empty_typeEbEEZZNS1_14partition_implILS8_4ELb0ES6_15HIP_vector_typeIjLj2EENS0_17counting_iteratorIjlEEPS9_SG_NS0_5tupleIJPjSI_NS0_16reverse_iteratorISI_EEEEENSH_IJSG_SG_SG_EEES9_SI_JZNS1_25segmented_radix_sort_implINS0_14default_configELb0EPKhPhPKlPlN2at6native12_GLOBAL__N_18offset_tEEE10hipError_tPvRmT1_PNSt15iterator_traitsIS12_E10value_typeET2_T3_PNS13_IS18_E10value_typeET4_jRbjT5_S1E_jjP12ihipStream_tbEUljE_ZNSN_ISO_Lb0ESQ_SR_ST_SU_SY_EESZ_S10_S11_S12_S16_S17_S18_S1B_S1C_jS1D_jS1E_S1E_jjS1G_bEUljE0_EEESZ_S10_S11_S18_S1C_S1E_T6_T7_T9_mT8_S1G_bDpT10_ENKUlT_T0_E_clISt17integral_constantIbLb0EES1U_EEDaS1P_S1Q_EUlS1P_E_NS1_11comp_targetILNS1_3genE10ELNS1_11target_archE1200ELNS1_3gpuE4ELNS1_3repE0EEENS1_30default_config_static_selectorELNS0_4arch9wavefront6targetE0EEEvS12_,comdat
	.globl	_ZN7rocprim17ROCPRIM_400000_NS6detail17trampoline_kernelINS0_13select_configILj256ELj13ELNS0_17block_load_methodE3ELS4_3ELS4_3ELNS0_20block_scan_algorithmE0ELj4294967295EEENS1_25partition_config_selectorILNS1_17partition_subalgoE4EjNS0_10empty_typeEbEEZZNS1_14partition_implILS8_4ELb0ES6_15HIP_vector_typeIjLj2EENS0_17counting_iteratorIjlEEPS9_SG_NS0_5tupleIJPjSI_NS0_16reverse_iteratorISI_EEEEENSH_IJSG_SG_SG_EEES9_SI_JZNS1_25segmented_radix_sort_implINS0_14default_configELb0EPKhPhPKlPlN2at6native12_GLOBAL__N_18offset_tEEE10hipError_tPvRmT1_PNSt15iterator_traitsIS12_E10value_typeET2_T3_PNS13_IS18_E10value_typeET4_jRbjT5_S1E_jjP12ihipStream_tbEUljE_ZNSN_ISO_Lb0ESQ_SR_ST_SU_SY_EESZ_S10_S11_S12_S16_S17_S18_S1B_S1C_jS1D_jS1E_S1E_jjS1G_bEUljE0_EEESZ_S10_S11_S18_S1C_S1E_T6_T7_T9_mT8_S1G_bDpT10_ENKUlT_T0_E_clISt17integral_constantIbLb0EES1U_EEDaS1P_S1Q_EUlS1P_E_NS1_11comp_targetILNS1_3genE10ELNS1_11target_archE1200ELNS1_3gpuE4ELNS1_3repE0EEENS1_30default_config_static_selectorELNS0_4arch9wavefront6targetE0EEEvS12_ ; -- Begin function _ZN7rocprim17ROCPRIM_400000_NS6detail17trampoline_kernelINS0_13select_configILj256ELj13ELNS0_17block_load_methodE3ELS4_3ELS4_3ELNS0_20block_scan_algorithmE0ELj4294967295EEENS1_25partition_config_selectorILNS1_17partition_subalgoE4EjNS0_10empty_typeEbEEZZNS1_14partition_implILS8_4ELb0ES6_15HIP_vector_typeIjLj2EENS0_17counting_iteratorIjlEEPS9_SG_NS0_5tupleIJPjSI_NS0_16reverse_iteratorISI_EEEEENSH_IJSG_SG_SG_EEES9_SI_JZNS1_25segmented_radix_sort_implINS0_14default_configELb0EPKhPhPKlPlN2at6native12_GLOBAL__N_18offset_tEEE10hipError_tPvRmT1_PNSt15iterator_traitsIS12_E10value_typeET2_T3_PNS13_IS18_E10value_typeET4_jRbjT5_S1E_jjP12ihipStream_tbEUljE_ZNSN_ISO_Lb0ESQ_SR_ST_SU_SY_EESZ_S10_S11_S12_S16_S17_S18_S1B_S1C_jS1D_jS1E_S1E_jjS1G_bEUljE0_EEESZ_S10_S11_S18_S1C_S1E_T6_T7_T9_mT8_S1G_bDpT10_ENKUlT_T0_E_clISt17integral_constantIbLb0EES1U_EEDaS1P_S1Q_EUlS1P_E_NS1_11comp_targetILNS1_3genE10ELNS1_11target_archE1200ELNS1_3gpuE4ELNS1_3repE0EEENS1_30default_config_static_selectorELNS0_4arch9wavefront6targetE0EEEvS12_
	.p2align	8
	.type	_ZN7rocprim17ROCPRIM_400000_NS6detail17trampoline_kernelINS0_13select_configILj256ELj13ELNS0_17block_load_methodE3ELS4_3ELS4_3ELNS0_20block_scan_algorithmE0ELj4294967295EEENS1_25partition_config_selectorILNS1_17partition_subalgoE4EjNS0_10empty_typeEbEEZZNS1_14partition_implILS8_4ELb0ES6_15HIP_vector_typeIjLj2EENS0_17counting_iteratorIjlEEPS9_SG_NS0_5tupleIJPjSI_NS0_16reverse_iteratorISI_EEEEENSH_IJSG_SG_SG_EEES9_SI_JZNS1_25segmented_radix_sort_implINS0_14default_configELb0EPKhPhPKlPlN2at6native12_GLOBAL__N_18offset_tEEE10hipError_tPvRmT1_PNSt15iterator_traitsIS12_E10value_typeET2_T3_PNS13_IS18_E10value_typeET4_jRbjT5_S1E_jjP12ihipStream_tbEUljE_ZNSN_ISO_Lb0ESQ_SR_ST_SU_SY_EESZ_S10_S11_S12_S16_S17_S18_S1B_S1C_jS1D_jS1E_S1E_jjS1G_bEUljE0_EEESZ_S10_S11_S18_S1C_S1E_T6_T7_T9_mT8_S1G_bDpT10_ENKUlT_T0_E_clISt17integral_constantIbLb0EES1U_EEDaS1P_S1Q_EUlS1P_E_NS1_11comp_targetILNS1_3genE10ELNS1_11target_archE1200ELNS1_3gpuE4ELNS1_3repE0EEENS1_30default_config_static_selectorELNS0_4arch9wavefront6targetE0EEEvS12_,@function
_ZN7rocprim17ROCPRIM_400000_NS6detail17trampoline_kernelINS0_13select_configILj256ELj13ELNS0_17block_load_methodE3ELS4_3ELS4_3ELNS0_20block_scan_algorithmE0ELj4294967295EEENS1_25partition_config_selectorILNS1_17partition_subalgoE4EjNS0_10empty_typeEbEEZZNS1_14partition_implILS8_4ELb0ES6_15HIP_vector_typeIjLj2EENS0_17counting_iteratorIjlEEPS9_SG_NS0_5tupleIJPjSI_NS0_16reverse_iteratorISI_EEEEENSH_IJSG_SG_SG_EEES9_SI_JZNS1_25segmented_radix_sort_implINS0_14default_configELb0EPKhPhPKlPlN2at6native12_GLOBAL__N_18offset_tEEE10hipError_tPvRmT1_PNSt15iterator_traitsIS12_E10value_typeET2_T3_PNS13_IS18_E10value_typeET4_jRbjT5_S1E_jjP12ihipStream_tbEUljE_ZNSN_ISO_Lb0ESQ_SR_ST_SU_SY_EESZ_S10_S11_S12_S16_S17_S18_S1B_S1C_jS1D_jS1E_S1E_jjS1G_bEUljE0_EEESZ_S10_S11_S18_S1C_S1E_T6_T7_T9_mT8_S1G_bDpT10_ENKUlT_T0_E_clISt17integral_constantIbLb0EES1U_EEDaS1P_S1Q_EUlS1P_E_NS1_11comp_targetILNS1_3genE10ELNS1_11target_archE1200ELNS1_3gpuE4ELNS1_3repE0EEENS1_30default_config_static_selectorELNS0_4arch9wavefront6targetE0EEEvS12_: ; @_ZN7rocprim17ROCPRIM_400000_NS6detail17trampoline_kernelINS0_13select_configILj256ELj13ELNS0_17block_load_methodE3ELS4_3ELS4_3ELNS0_20block_scan_algorithmE0ELj4294967295EEENS1_25partition_config_selectorILNS1_17partition_subalgoE4EjNS0_10empty_typeEbEEZZNS1_14partition_implILS8_4ELb0ES6_15HIP_vector_typeIjLj2EENS0_17counting_iteratorIjlEEPS9_SG_NS0_5tupleIJPjSI_NS0_16reverse_iteratorISI_EEEEENSH_IJSG_SG_SG_EEES9_SI_JZNS1_25segmented_radix_sort_implINS0_14default_configELb0EPKhPhPKlPlN2at6native12_GLOBAL__N_18offset_tEEE10hipError_tPvRmT1_PNSt15iterator_traitsIS12_E10value_typeET2_T3_PNS13_IS18_E10value_typeET4_jRbjT5_S1E_jjP12ihipStream_tbEUljE_ZNSN_ISO_Lb0ESQ_SR_ST_SU_SY_EESZ_S10_S11_S12_S16_S17_S18_S1B_S1C_jS1D_jS1E_S1E_jjS1G_bEUljE0_EEESZ_S10_S11_S18_S1C_S1E_T6_T7_T9_mT8_S1G_bDpT10_ENKUlT_T0_E_clISt17integral_constantIbLb0EES1U_EEDaS1P_S1Q_EUlS1P_E_NS1_11comp_targetILNS1_3genE10ELNS1_11target_archE1200ELNS1_3gpuE4ELNS1_3repE0EEENS1_30default_config_static_selectorELNS0_4arch9wavefront6targetE0EEEvS12_
; %bb.0:
	.section	.rodata,"a",@progbits
	.p2align	6, 0x0
	.amdhsa_kernel _ZN7rocprim17ROCPRIM_400000_NS6detail17trampoline_kernelINS0_13select_configILj256ELj13ELNS0_17block_load_methodE3ELS4_3ELS4_3ELNS0_20block_scan_algorithmE0ELj4294967295EEENS1_25partition_config_selectorILNS1_17partition_subalgoE4EjNS0_10empty_typeEbEEZZNS1_14partition_implILS8_4ELb0ES6_15HIP_vector_typeIjLj2EENS0_17counting_iteratorIjlEEPS9_SG_NS0_5tupleIJPjSI_NS0_16reverse_iteratorISI_EEEEENSH_IJSG_SG_SG_EEES9_SI_JZNS1_25segmented_radix_sort_implINS0_14default_configELb0EPKhPhPKlPlN2at6native12_GLOBAL__N_18offset_tEEE10hipError_tPvRmT1_PNSt15iterator_traitsIS12_E10value_typeET2_T3_PNS13_IS18_E10value_typeET4_jRbjT5_S1E_jjP12ihipStream_tbEUljE_ZNSN_ISO_Lb0ESQ_SR_ST_SU_SY_EESZ_S10_S11_S12_S16_S17_S18_S1B_S1C_jS1D_jS1E_S1E_jjS1G_bEUljE0_EEESZ_S10_S11_S18_S1C_S1E_T6_T7_T9_mT8_S1G_bDpT10_ENKUlT_T0_E_clISt17integral_constantIbLb0EES1U_EEDaS1P_S1Q_EUlS1P_E_NS1_11comp_targetILNS1_3genE10ELNS1_11target_archE1200ELNS1_3gpuE4ELNS1_3repE0EEENS1_30default_config_static_selectorELNS0_4arch9wavefront6targetE0EEEvS12_
		.amdhsa_group_segment_fixed_size 0
		.amdhsa_private_segment_fixed_size 0
		.amdhsa_kernarg_size 176
		.amdhsa_user_sgpr_count 2
		.amdhsa_user_sgpr_dispatch_ptr 0
		.amdhsa_user_sgpr_queue_ptr 0
		.amdhsa_user_sgpr_kernarg_segment_ptr 1
		.amdhsa_user_sgpr_dispatch_id 0
		.amdhsa_user_sgpr_kernarg_preload_length 0
		.amdhsa_user_sgpr_kernarg_preload_offset 0
		.amdhsa_user_sgpr_private_segment_size 0
		.amdhsa_wavefront_size32 1
		.amdhsa_uses_dynamic_stack 0
		.amdhsa_enable_private_segment 0
		.amdhsa_system_sgpr_workgroup_id_x 1
		.amdhsa_system_sgpr_workgroup_id_y 0
		.amdhsa_system_sgpr_workgroup_id_z 0
		.amdhsa_system_sgpr_workgroup_info 0
		.amdhsa_system_vgpr_workitem_id 0
		.amdhsa_next_free_vgpr 1
		.amdhsa_next_free_sgpr 1
		.amdhsa_named_barrier_count 0
		.amdhsa_reserve_vcc 0
		.amdhsa_float_round_mode_32 0
		.amdhsa_float_round_mode_16_64 0
		.amdhsa_float_denorm_mode_32 3
		.amdhsa_float_denorm_mode_16_64 3
		.amdhsa_fp16_overflow 0
		.amdhsa_memory_ordered 1
		.amdhsa_forward_progress 1
		.amdhsa_inst_pref_size 0
		.amdhsa_round_robin_scheduling 0
		.amdhsa_exception_fp_ieee_invalid_op 0
		.amdhsa_exception_fp_denorm_src 0
		.amdhsa_exception_fp_ieee_div_zero 0
		.amdhsa_exception_fp_ieee_overflow 0
		.amdhsa_exception_fp_ieee_underflow 0
		.amdhsa_exception_fp_ieee_inexact 0
		.amdhsa_exception_int_div_zero 0
	.end_amdhsa_kernel
	.section	.text._ZN7rocprim17ROCPRIM_400000_NS6detail17trampoline_kernelINS0_13select_configILj256ELj13ELNS0_17block_load_methodE3ELS4_3ELS4_3ELNS0_20block_scan_algorithmE0ELj4294967295EEENS1_25partition_config_selectorILNS1_17partition_subalgoE4EjNS0_10empty_typeEbEEZZNS1_14partition_implILS8_4ELb0ES6_15HIP_vector_typeIjLj2EENS0_17counting_iteratorIjlEEPS9_SG_NS0_5tupleIJPjSI_NS0_16reverse_iteratorISI_EEEEENSH_IJSG_SG_SG_EEES9_SI_JZNS1_25segmented_radix_sort_implINS0_14default_configELb0EPKhPhPKlPlN2at6native12_GLOBAL__N_18offset_tEEE10hipError_tPvRmT1_PNSt15iterator_traitsIS12_E10value_typeET2_T3_PNS13_IS18_E10value_typeET4_jRbjT5_S1E_jjP12ihipStream_tbEUljE_ZNSN_ISO_Lb0ESQ_SR_ST_SU_SY_EESZ_S10_S11_S12_S16_S17_S18_S1B_S1C_jS1D_jS1E_S1E_jjS1G_bEUljE0_EEESZ_S10_S11_S18_S1C_S1E_T6_T7_T9_mT8_S1G_bDpT10_ENKUlT_T0_E_clISt17integral_constantIbLb0EES1U_EEDaS1P_S1Q_EUlS1P_E_NS1_11comp_targetILNS1_3genE10ELNS1_11target_archE1200ELNS1_3gpuE4ELNS1_3repE0EEENS1_30default_config_static_selectorELNS0_4arch9wavefront6targetE0EEEvS12_,"axG",@progbits,_ZN7rocprim17ROCPRIM_400000_NS6detail17trampoline_kernelINS0_13select_configILj256ELj13ELNS0_17block_load_methodE3ELS4_3ELS4_3ELNS0_20block_scan_algorithmE0ELj4294967295EEENS1_25partition_config_selectorILNS1_17partition_subalgoE4EjNS0_10empty_typeEbEEZZNS1_14partition_implILS8_4ELb0ES6_15HIP_vector_typeIjLj2EENS0_17counting_iteratorIjlEEPS9_SG_NS0_5tupleIJPjSI_NS0_16reverse_iteratorISI_EEEEENSH_IJSG_SG_SG_EEES9_SI_JZNS1_25segmented_radix_sort_implINS0_14default_configELb0EPKhPhPKlPlN2at6native12_GLOBAL__N_18offset_tEEE10hipError_tPvRmT1_PNSt15iterator_traitsIS12_E10value_typeET2_T3_PNS13_IS18_E10value_typeET4_jRbjT5_S1E_jjP12ihipStream_tbEUljE_ZNSN_ISO_Lb0ESQ_SR_ST_SU_SY_EESZ_S10_S11_S12_S16_S17_S18_S1B_S1C_jS1D_jS1E_S1E_jjS1G_bEUljE0_EEESZ_S10_S11_S18_S1C_S1E_T6_T7_T9_mT8_S1G_bDpT10_ENKUlT_T0_E_clISt17integral_constantIbLb0EES1U_EEDaS1P_S1Q_EUlS1P_E_NS1_11comp_targetILNS1_3genE10ELNS1_11target_archE1200ELNS1_3gpuE4ELNS1_3repE0EEENS1_30default_config_static_selectorELNS0_4arch9wavefront6targetE0EEEvS12_,comdat
.Lfunc_end126:
	.size	_ZN7rocprim17ROCPRIM_400000_NS6detail17trampoline_kernelINS0_13select_configILj256ELj13ELNS0_17block_load_methodE3ELS4_3ELS4_3ELNS0_20block_scan_algorithmE0ELj4294967295EEENS1_25partition_config_selectorILNS1_17partition_subalgoE4EjNS0_10empty_typeEbEEZZNS1_14partition_implILS8_4ELb0ES6_15HIP_vector_typeIjLj2EENS0_17counting_iteratorIjlEEPS9_SG_NS0_5tupleIJPjSI_NS0_16reverse_iteratorISI_EEEEENSH_IJSG_SG_SG_EEES9_SI_JZNS1_25segmented_radix_sort_implINS0_14default_configELb0EPKhPhPKlPlN2at6native12_GLOBAL__N_18offset_tEEE10hipError_tPvRmT1_PNSt15iterator_traitsIS12_E10value_typeET2_T3_PNS13_IS18_E10value_typeET4_jRbjT5_S1E_jjP12ihipStream_tbEUljE_ZNSN_ISO_Lb0ESQ_SR_ST_SU_SY_EESZ_S10_S11_S12_S16_S17_S18_S1B_S1C_jS1D_jS1E_S1E_jjS1G_bEUljE0_EEESZ_S10_S11_S18_S1C_S1E_T6_T7_T9_mT8_S1G_bDpT10_ENKUlT_T0_E_clISt17integral_constantIbLb0EES1U_EEDaS1P_S1Q_EUlS1P_E_NS1_11comp_targetILNS1_3genE10ELNS1_11target_archE1200ELNS1_3gpuE4ELNS1_3repE0EEENS1_30default_config_static_selectorELNS0_4arch9wavefront6targetE0EEEvS12_, .Lfunc_end126-_ZN7rocprim17ROCPRIM_400000_NS6detail17trampoline_kernelINS0_13select_configILj256ELj13ELNS0_17block_load_methodE3ELS4_3ELS4_3ELNS0_20block_scan_algorithmE0ELj4294967295EEENS1_25partition_config_selectorILNS1_17partition_subalgoE4EjNS0_10empty_typeEbEEZZNS1_14partition_implILS8_4ELb0ES6_15HIP_vector_typeIjLj2EENS0_17counting_iteratorIjlEEPS9_SG_NS0_5tupleIJPjSI_NS0_16reverse_iteratorISI_EEEEENSH_IJSG_SG_SG_EEES9_SI_JZNS1_25segmented_radix_sort_implINS0_14default_configELb0EPKhPhPKlPlN2at6native12_GLOBAL__N_18offset_tEEE10hipError_tPvRmT1_PNSt15iterator_traitsIS12_E10value_typeET2_T3_PNS13_IS18_E10value_typeET4_jRbjT5_S1E_jjP12ihipStream_tbEUljE_ZNSN_ISO_Lb0ESQ_SR_ST_SU_SY_EESZ_S10_S11_S12_S16_S17_S18_S1B_S1C_jS1D_jS1E_S1E_jjS1G_bEUljE0_EEESZ_S10_S11_S18_S1C_S1E_T6_T7_T9_mT8_S1G_bDpT10_ENKUlT_T0_E_clISt17integral_constantIbLb0EES1U_EEDaS1P_S1Q_EUlS1P_E_NS1_11comp_targetILNS1_3genE10ELNS1_11target_archE1200ELNS1_3gpuE4ELNS1_3repE0EEENS1_30default_config_static_selectorELNS0_4arch9wavefront6targetE0EEEvS12_
                                        ; -- End function
	.set _ZN7rocprim17ROCPRIM_400000_NS6detail17trampoline_kernelINS0_13select_configILj256ELj13ELNS0_17block_load_methodE3ELS4_3ELS4_3ELNS0_20block_scan_algorithmE0ELj4294967295EEENS1_25partition_config_selectorILNS1_17partition_subalgoE4EjNS0_10empty_typeEbEEZZNS1_14partition_implILS8_4ELb0ES6_15HIP_vector_typeIjLj2EENS0_17counting_iteratorIjlEEPS9_SG_NS0_5tupleIJPjSI_NS0_16reverse_iteratorISI_EEEEENSH_IJSG_SG_SG_EEES9_SI_JZNS1_25segmented_radix_sort_implINS0_14default_configELb0EPKhPhPKlPlN2at6native12_GLOBAL__N_18offset_tEEE10hipError_tPvRmT1_PNSt15iterator_traitsIS12_E10value_typeET2_T3_PNS13_IS18_E10value_typeET4_jRbjT5_S1E_jjP12ihipStream_tbEUljE_ZNSN_ISO_Lb0ESQ_SR_ST_SU_SY_EESZ_S10_S11_S12_S16_S17_S18_S1B_S1C_jS1D_jS1E_S1E_jjS1G_bEUljE0_EEESZ_S10_S11_S18_S1C_S1E_T6_T7_T9_mT8_S1G_bDpT10_ENKUlT_T0_E_clISt17integral_constantIbLb0EES1U_EEDaS1P_S1Q_EUlS1P_E_NS1_11comp_targetILNS1_3genE10ELNS1_11target_archE1200ELNS1_3gpuE4ELNS1_3repE0EEENS1_30default_config_static_selectorELNS0_4arch9wavefront6targetE0EEEvS12_.num_vgpr, 0
	.set _ZN7rocprim17ROCPRIM_400000_NS6detail17trampoline_kernelINS0_13select_configILj256ELj13ELNS0_17block_load_methodE3ELS4_3ELS4_3ELNS0_20block_scan_algorithmE0ELj4294967295EEENS1_25partition_config_selectorILNS1_17partition_subalgoE4EjNS0_10empty_typeEbEEZZNS1_14partition_implILS8_4ELb0ES6_15HIP_vector_typeIjLj2EENS0_17counting_iteratorIjlEEPS9_SG_NS0_5tupleIJPjSI_NS0_16reverse_iteratorISI_EEEEENSH_IJSG_SG_SG_EEES9_SI_JZNS1_25segmented_radix_sort_implINS0_14default_configELb0EPKhPhPKlPlN2at6native12_GLOBAL__N_18offset_tEEE10hipError_tPvRmT1_PNSt15iterator_traitsIS12_E10value_typeET2_T3_PNS13_IS18_E10value_typeET4_jRbjT5_S1E_jjP12ihipStream_tbEUljE_ZNSN_ISO_Lb0ESQ_SR_ST_SU_SY_EESZ_S10_S11_S12_S16_S17_S18_S1B_S1C_jS1D_jS1E_S1E_jjS1G_bEUljE0_EEESZ_S10_S11_S18_S1C_S1E_T6_T7_T9_mT8_S1G_bDpT10_ENKUlT_T0_E_clISt17integral_constantIbLb0EES1U_EEDaS1P_S1Q_EUlS1P_E_NS1_11comp_targetILNS1_3genE10ELNS1_11target_archE1200ELNS1_3gpuE4ELNS1_3repE0EEENS1_30default_config_static_selectorELNS0_4arch9wavefront6targetE0EEEvS12_.num_agpr, 0
	.set _ZN7rocprim17ROCPRIM_400000_NS6detail17trampoline_kernelINS0_13select_configILj256ELj13ELNS0_17block_load_methodE3ELS4_3ELS4_3ELNS0_20block_scan_algorithmE0ELj4294967295EEENS1_25partition_config_selectorILNS1_17partition_subalgoE4EjNS0_10empty_typeEbEEZZNS1_14partition_implILS8_4ELb0ES6_15HIP_vector_typeIjLj2EENS0_17counting_iteratorIjlEEPS9_SG_NS0_5tupleIJPjSI_NS0_16reverse_iteratorISI_EEEEENSH_IJSG_SG_SG_EEES9_SI_JZNS1_25segmented_radix_sort_implINS0_14default_configELb0EPKhPhPKlPlN2at6native12_GLOBAL__N_18offset_tEEE10hipError_tPvRmT1_PNSt15iterator_traitsIS12_E10value_typeET2_T3_PNS13_IS18_E10value_typeET4_jRbjT5_S1E_jjP12ihipStream_tbEUljE_ZNSN_ISO_Lb0ESQ_SR_ST_SU_SY_EESZ_S10_S11_S12_S16_S17_S18_S1B_S1C_jS1D_jS1E_S1E_jjS1G_bEUljE0_EEESZ_S10_S11_S18_S1C_S1E_T6_T7_T9_mT8_S1G_bDpT10_ENKUlT_T0_E_clISt17integral_constantIbLb0EES1U_EEDaS1P_S1Q_EUlS1P_E_NS1_11comp_targetILNS1_3genE10ELNS1_11target_archE1200ELNS1_3gpuE4ELNS1_3repE0EEENS1_30default_config_static_selectorELNS0_4arch9wavefront6targetE0EEEvS12_.numbered_sgpr, 0
	.set _ZN7rocprim17ROCPRIM_400000_NS6detail17trampoline_kernelINS0_13select_configILj256ELj13ELNS0_17block_load_methodE3ELS4_3ELS4_3ELNS0_20block_scan_algorithmE0ELj4294967295EEENS1_25partition_config_selectorILNS1_17partition_subalgoE4EjNS0_10empty_typeEbEEZZNS1_14partition_implILS8_4ELb0ES6_15HIP_vector_typeIjLj2EENS0_17counting_iteratorIjlEEPS9_SG_NS0_5tupleIJPjSI_NS0_16reverse_iteratorISI_EEEEENSH_IJSG_SG_SG_EEES9_SI_JZNS1_25segmented_radix_sort_implINS0_14default_configELb0EPKhPhPKlPlN2at6native12_GLOBAL__N_18offset_tEEE10hipError_tPvRmT1_PNSt15iterator_traitsIS12_E10value_typeET2_T3_PNS13_IS18_E10value_typeET4_jRbjT5_S1E_jjP12ihipStream_tbEUljE_ZNSN_ISO_Lb0ESQ_SR_ST_SU_SY_EESZ_S10_S11_S12_S16_S17_S18_S1B_S1C_jS1D_jS1E_S1E_jjS1G_bEUljE0_EEESZ_S10_S11_S18_S1C_S1E_T6_T7_T9_mT8_S1G_bDpT10_ENKUlT_T0_E_clISt17integral_constantIbLb0EES1U_EEDaS1P_S1Q_EUlS1P_E_NS1_11comp_targetILNS1_3genE10ELNS1_11target_archE1200ELNS1_3gpuE4ELNS1_3repE0EEENS1_30default_config_static_selectorELNS0_4arch9wavefront6targetE0EEEvS12_.num_named_barrier, 0
	.set _ZN7rocprim17ROCPRIM_400000_NS6detail17trampoline_kernelINS0_13select_configILj256ELj13ELNS0_17block_load_methodE3ELS4_3ELS4_3ELNS0_20block_scan_algorithmE0ELj4294967295EEENS1_25partition_config_selectorILNS1_17partition_subalgoE4EjNS0_10empty_typeEbEEZZNS1_14partition_implILS8_4ELb0ES6_15HIP_vector_typeIjLj2EENS0_17counting_iteratorIjlEEPS9_SG_NS0_5tupleIJPjSI_NS0_16reverse_iteratorISI_EEEEENSH_IJSG_SG_SG_EEES9_SI_JZNS1_25segmented_radix_sort_implINS0_14default_configELb0EPKhPhPKlPlN2at6native12_GLOBAL__N_18offset_tEEE10hipError_tPvRmT1_PNSt15iterator_traitsIS12_E10value_typeET2_T3_PNS13_IS18_E10value_typeET4_jRbjT5_S1E_jjP12ihipStream_tbEUljE_ZNSN_ISO_Lb0ESQ_SR_ST_SU_SY_EESZ_S10_S11_S12_S16_S17_S18_S1B_S1C_jS1D_jS1E_S1E_jjS1G_bEUljE0_EEESZ_S10_S11_S18_S1C_S1E_T6_T7_T9_mT8_S1G_bDpT10_ENKUlT_T0_E_clISt17integral_constantIbLb0EES1U_EEDaS1P_S1Q_EUlS1P_E_NS1_11comp_targetILNS1_3genE10ELNS1_11target_archE1200ELNS1_3gpuE4ELNS1_3repE0EEENS1_30default_config_static_selectorELNS0_4arch9wavefront6targetE0EEEvS12_.private_seg_size, 0
	.set _ZN7rocprim17ROCPRIM_400000_NS6detail17trampoline_kernelINS0_13select_configILj256ELj13ELNS0_17block_load_methodE3ELS4_3ELS4_3ELNS0_20block_scan_algorithmE0ELj4294967295EEENS1_25partition_config_selectorILNS1_17partition_subalgoE4EjNS0_10empty_typeEbEEZZNS1_14partition_implILS8_4ELb0ES6_15HIP_vector_typeIjLj2EENS0_17counting_iteratorIjlEEPS9_SG_NS0_5tupleIJPjSI_NS0_16reverse_iteratorISI_EEEEENSH_IJSG_SG_SG_EEES9_SI_JZNS1_25segmented_radix_sort_implINS0_14default_configELb0EPKhPhPKlPlN2at6native12_GLOBAL__N_18offset_tEEE10hipError_tPvRmT1_PNSt15iterator_traitsIS12_E10value_typeET2_T3_PNS13_IS18_E10value_typeET4_jRbjT5_S1E_jjP12ihipStream_tbEUljE_ZNSN_ISO_Lb0ESQ_SR_ST_SU_SY_EESZ_S10_S11_S12_S16_S17_S18_S1B_S1C_jS1D_jS1E_S1E_jjS1G_bEUljE0_EEESZ_S10_S11_S18_S1C_S1E_T6_T7_T9_mT8_S1G_bDpT10_ENKUlT_T0_E_clISt17integral_constantIbLb0EES1U_EEDaS1P_S1Q_EUlS1P_E_NS1_11comp_targetILNS1_3genE10ELNS1_11target_archE1200ELNS1_3gpuE4ELNS1_3repE0EEENS1_30default_config_static_selectorELNS0_4arch9wavefront6targetE0EEEvS12_.uses_vcc, 0
	.set _ZN7rocprim17ROCPRIM_400000_NS6detail17trampoline_kernelINS0_13select_configILj256ELj13ELNS0_17block_load_methodE3ELS4_3ELS4_3ELNS0_20block_scan_algorithmE0ELj4294967295EEENS1_25partition_config_selectorILNS1_17partition_subalgoE4EjNS0_10empty_typeEbEEZZNS1_14partition_implILS8_4ELb0ES6_15HIP_vector_typeIjLj2EENS0_17counting_iteratorIjlEEPS9_SG_NS0_5tupleIJPjSI_NS0_16reverse_iteratorISI_EEEEENSH_IJSG_SG_SG_EEES9_SI_JZNS1_25segmented_radix_sort_implINS0_14default_configELb0EPKhPhPKlPlN2at6native12_GLOBAL__N_18offset_tEEE10hipError_tPvRmT1_PNSt15iterator_traitsIS12_E10value_typeET2_T3_PNS13_IS18_E10value_typeET4_jRbjT5_S1E_jjP12ihipStream_tbEUljE_ZNSN_ISO_Lb0ESQ_SR_ST_SU_SY_EESZ_S10_S11_S12_S16_S17_S18_S1B_S1C_jS1D_jS1E_S1E_jjS1G_bEUljE0_EEESZ_S10_S11_S18_S1C_S1E_T6_T7_T9_mT8_S1G_bDpT10_ENKUlT_T0_E_clISt17integral_constantIbLb0EES1U_EEDaS1P_S1Q_EUlS1P_E_NS1_11comp_targetILNS1_3genE10ELNS1_11target_archE1200ELNS1_3gpuE4ELNS1_3repE0EEENS1_30default_config_static_selectorELNS0_4arch9wavefront6targetE0EEEvS12_.uses_flat_scratch, 0
	.set _ZN7rocprim17ROCPRIM_400000_NS6detail17trampoline_kernelINS0_13select_configILj256ELj13ELNS0_17block_load_methodE3ELS4_3ELS4_3ELNS0_20block_scan_algorithmE0ELj4294967295EEENS1_25partition_config_selectorILNS1_17partition_subalgoE4EjNS0_10empty_typeEbEEZZNS1_14partition_implILS8_4ELb0ES6_15HIP_vector_typeIjLj2EENS0_17counting_iteratorIjlEEPS9_SG_NS0_5tupleIJPjSI_NS0_16reverse_iteratorISI_EEEEENSH_IJSG_SG_SG_EEES9_SI_JZNS1_25segmented_radix_sort_implINS0_14default_configELb0EPKhPhPKlPlN2at6native12_GLOBAL__N_18offset_tEEE10hipError_tPvRmT1_PNSt15iterator_traitsIS12_E10value_typeET2_T3_PNS13_IS18_E10value_typeET4_jRbjT5_S1E_jjP12ihipStream_tbEUljE_ZNSN_ISO_Lb0ESQ_SR_ST_SU_SY_EESZ_S10_S11_S12_S16_S17_S18_S1B_S1C_jS1D_jS1E_S1E_jjS1G_bEUljE0_EEESZ_S10_S11_S18_S1C_S1E_T6_T7_T9_mT8_S1G_bDpT10_ENKUlT_T0_E_clISt17integral_constantIbLb0EES1U_EEDaS1P_S1Q_EUlS1P_E_NS1_11comp_targetILNS1_3genE10ELNS1_11target_archE1200ELNS1_3gpuE4ELNS1_3repE0EEENS1_30default_config_static_selectorELNS0_4arch9wavefront6targetE0EEEvS12_.has_dyn_sized_stack, 0
	.set _ZN7rocprim17ROCPRIM_400000_NS6detail17trampoline_kernelINS0_13select_configILj256ELj13ELNS0_17block_load_methodE3ELS4_3ELS4_3ELNS0_20block_scan_algorithmE0ELj4294967295EEENS1_25partition_config_selectorILNS1_17partition_subalgoE4EjNS0_10empty_typeEbEEZZNS1_14partition_implILS8_4ELb0ES6_15HIP_vector_typeIjLj2EENS0_17counting_iteratorIjlEEPS9_SG_NS0_5tupleIJPjSI_NS0_16reverse_iteratorISI_EEEEENSH_IJSG_SG_SG_EEES9_SI_JZNS1_25segmented_radix_sort_implINS0_14default_configELb0EPKhPhPKlPlN2at6native12_GLOBAL__N_18offset_tEEE10hipError_tPvRmT1_PNSt15iterator_traitsIS12_E10value_typeET2_T3_PNS13_IS18_E10value_typeET4_jRbjT5_S1E_jjP12ihipStream_tbEUljE_ZNSN_ISO_Lb0ESQ_SR_ST_SU_SY_EESZ_S10_S11_S12_S16_S17_S18_S1B_S1C_jS1D_jS1E_S1E_jjS1G_bEUljE0_EEESZ_S10_S11_S18_S1C_S1E_T6_T7_T9_mT8_S1G_bDpT10_ENKUlT_T0_E_clISt17integral_constantIbLb0EES1U_EEDaS1P_S1Q_EUlS1P_E_NS1_11comp_targetILNS1_3genE10ELNS1_11target_archE1200ELNS1_3gpuE4ELNS1_3repE0EEENS1_30default_config_static_selectorELNS0_4arch9wavefront6targetE0EEEvS12_.has_recursion, 0
	.set _ZN7rocprim17ROCPRIM_400000_NS6detail17trampoline_kernelINS0_13select_configILj256ELj13ELNS0_17block_load_methodE3ELS4_3ELS4_3ELNS0_20block_scan_algorithmE0ELj4294967295EEENS1_25partition_config_selectorILNS1_17partition_subalgoE4EjNS0_10empty_typeEbEEZZNS1_14partition_implILS8_4ELb0ES6_15HIP_vector_typeIjLj2EENS0_17counting_iteratorIjlEEPS9_SG_NS0_5tupleIJPjSI_NS0_16reverse_iteratorISI_EEEEENSH_IJSG_SG_SG_EEES9_SI_JZNS1_25segmented_radix_sort_implINS0_14default_configELb0EPKhPhPKlPlN2at6native12_GLOBAL__N_18offset_tEEE10hipError_tPvRmT1_PNSt15iterator_traitsIS12_E10value_typeET2_T3_PNS13_IS18_E10value_typeET4_jRbjT5_S1E_jjP12ihipStream_tbEUljE_ZNSN_ISO_Lb0ESQ_SR_ST_SU_SY_EESZ_S10_S11_S12_S16_S17_S18_S1B_S1C_jS1D_jS1E_S1E_jjS1G_bEUljE0_EEESZ_S10_S11_S18_S1C_S1E_T6_T7_T9_mT8_S1G_bDpT10_ENKUlT_T0_E_clISt17integral_constantIbLb0EES1U_EEDaS1P_S1Q_EUlS1P_E_NS1_11comp_targetILNS1_3genE10ELNS1_11target_archE1200ELNS1_3gpuE4ELNS1_3repE0EEENS1_30default_config_static_selectorELNS0_4arch9wavefront6targetE0EEEvS12_.has_indirect_call, 0
	.section	.AMDGPU.csdata,"",@progbits
; Kernel info:
; codeLenInByte = 0
; TotalNumSgprs: 0
; NumVgprs: 0
; ScratchSize: 0
; MemoryBound: 0
; FloatMode: 240
; IeeeMode: 1
; LDSByteSize: 0 bytes/workgroup (compile time only)
; SGPRBlocks: 0
; VGPRBlocks: 0
; NumSGPRsForWavesPerEU: 1
; NumVGPRsForWavesPerEU: 1
; NamedBarCnt: 0
; Occupancy: 16
; WaveLimiterHint : 0
; COMPUTE_PGM_RSRC2:SCRATCH_EN: 0
; COMPUTE_PGM_RSRC2:USER_SGPR: 2
; COMPUTE_PGM_RSRC2:TRAP_HANDLER: 0
; COMPUTE_PGM_RSRC2:TGID_X_EN: 1
; COMPUTE_PGM_RSRC2:TGID_Y_EN: 0
; COMPUTE_PGM_RSRC2:TGID_Z_EN: 0
; COMPUTE_PGM_RSRC2:TIDIG_COMP_CNT: 0
	.section	.text._ZN7rocprim17ROCPRIM_400000_NS6detail17trampoline_kernelINS0_13select_configILj256ELj13ELNS0_17block_load_methodE3ELS4_3ELS4_3ELNS0_20block_scan_algorithmE0ELj4294967295EEENS1_25partition_config_selectorILNS1_17partition_subalgoE4EjNS0_10empty_typeEbEEZZNS1_14partition_implILS8_4ELb0ES6_15HIP_vector_typeIjLj2EENS0_17counting_iteratorIjlEEPS9_SG_NS0_5tupleIJPjSI_NS0_16reverse_iteratorISI_EEEEENSH_IJSG_SG_SG_EEES9_SI_JZNS1_25segmented_radix_sort_implINS0_14default_configELb0EPKhPhPKlPlN2at6native12_GLOBAL__N_18offset_tEEE10hipError_tPvRmT1_PNSt15iterator_traitsIS12_E10value_typeET2_T3_PNS13_IS18_E10value_typeET4_jRbjT5_S1E_jjP12ihipStream_tbEUljE_ZNSN_ISO_Lb0ESQ_SR_ST_SU_SY_EESZ_S10_S11_S12_S16_S17_S18_S1B_S1C_jS1D_jS1E_S1E_jjS1G_bEUljE0_EEESZ_S10_S11_S18_S1C_S1E_T6_T7_T9_mT8_S1G_bDpT10_ENKUlT_T0_E_clISt17integral_constantIbLb0EES1U_EEDaS1P_S1Q_EUlS1P_E_NS1_11comp_targetILNS1_3genE9ELNS1_11target_archE1100ELNS1_3gpuE3ELNS1_3repE0EEENS1_30default_config_static_selectorELNS0_4arch9wavefront6targetE0EEEvS12_,"axG",@progbits,_ZN7rocprim17ROCPRIM_400000_NS6detail17trampoline_kernelINS0_13select_configILj256ELj13ELNS0_17block_load_methodE3ELS4_3ELS4_3ELNS0_20block_scan_algorithmE0ELj4294967295EEENS1_25partition_config_selectorILNS1_17partition_subalgoE4EjNS0_10empty_typeEbEEZZNS1_14partition_implILS8_4ELb0ES6_15HIP_vector_typeIjLj2EENS0_17counting_iteratorIjlEEPS9_SG_NS0_5tupleIJPjSI_NS0_16reverse_iteratorISI_EEEEENSH_IJSG_SG_SG_EEES9_SI_JZNS1_25segmented_radix_sort_implINS0_14default_configELb0EPKhPhPKlPlN2at6native12_GLOBAL__N_18offset_tEEE10hipError_tPvRmT1_PNSt15iterator_traitsIS12_E10value_typeET2_T3_PNS13_IS18_E10value_typeET4_jRbjT5_S1E_jjP12ihipStream_tbEUljE_ZNSN_ISO_Lb0ESQ_SR_ST_SU_SY_EESZ_S10_S11_S12_S16_S17_S18_S1B_S1C_jS1D_jS1E_S1E_jjS1G_bEUljE0_EEESZ_S10_S11_S18_S1C_S1E_T6_T7_T9_mT8_S1G_bDpT10_ENKUlT_T0_E_clISt17integral_constantIbLb0EES1U_EEDaS1P_S1Q_EUlS1P_E_NS1_11comp_targetILNS1_3genE9ELNS1_11target_archE1100ELNS1_3gpuE3ELNS1_3repE0EEENS1_30default_config_static_selectorELNS0_4arch9wavefront6targetE0EEEvS12_,comdat
	.globl	_ZN7rocprim17ROCPRIM_400000_NS6detail17trampoline_kernelINS0_13select_configILj256ELj13ELNS0_17block_load_methodE3ELS4_3ELS4_3ELNS0_20block_scan_algorithmE0ELj4294967295EEENS1_25partition_config_selectorILNS1_17partition_subalgoE4EjNS0_10empty_typeEbEEZZNS1_14partition_implILS8_4ELb0ES6_15HIP_vector_typeIjLj2EENS0_17counting_iteratorIjlEEPS9_SG_NS0_5tupleIJPjSI_NS0_16reverse_iteratorISI_EEEEENSH_IJSG_SG_SG_EEES9_SI_JZNS1_25segmented_radix_sort_implINS0_14default_configELb0EPKhPhPKlPlN2at6native12_GLOBAL__N_18offset_tEEE10hipError_tPvRmT1_PNSt15iterator_traitsIS12_E10value_typeET2_T3_PNS13_IS18_E10value_typeET4_jRbjT5_S1E_jjP12ihipStream_tbEUljE_ZNSN_ISO_Lb0ESQ_SR_ST_SU_SY_EESZ_S10_S11_S12_S16_S17_S18_S1B_S1C_jS1D_jS1E_S1E_jjS1G_bEUljE0_EEESZ_S10_S11_S18_S1C_S1E_T6_T7_T9_mT8_S1G_bDpT10_ENKUlT_T0_E_clISt17integral_constantIbLb0EES1U_EEDaS1P_S1Q_EUlS1P_E_NS1_11comp_targetILNS1_3genE9ELNS1_11target_archE1100ELNS1_3gpuE3ELNS1_3repE0EEENS1_30default_config_static_selectorELNS0_4arch9wavefront6targetE0EEEvS12_ ; -- Begin function _ZN7rocprim17ROCPRIM_400000_NS6detail17trampoline_kernelINS0_13select_configILj256ELj13ELNS0_17block_load_methodE3ELS4_3ELS4_3ELNS0_20block_scan_algorithmE0ELj4294967295EEENS1_25partition_config_selectorILNS1_17partition_subalgoE4EjNS0_10empty_typeEbEEZZNS1_14partition_implILS8_4ELb0ES6_15HIP_vector_typeIjLj2EENS0_17counting_iteratorIjlEEPS9_SG_NS0_5tupleIJPjSI_NS0_16reverse_iteratorISI_EEEEENSH_IJSG_SG_SG_EEES9_SI_JZNS1_25segmented_radix_sort_implINS0_14default_configELb0EPKhPhPKlPlN2at6native12_GLOBAL__N_18offset_tEEE10hipError_tPvRmT1_PNSt15iterator_traitsIS12_E10value_typeET2_T3_PNS13_IS18_E10value_typeET4_jRbjT5_S1E_jjP12ihipStream_tbEUljE_ZNSN_ISO_Lb0ESQ_SR_ST_SU_SY_EESZ_S10_S11_S12_S16_S17_S18_S1B_S1C_jS1D_jS1E_S1E_jjS1G_bEUljE0_EEESZ_S10_S11_S18_S1C_S1E_T6_T7_T9_mT8_S1G_bDpT10_ENKUlT_T0_E_clISt17integral_constantIbLb0EES1U_EEDaS1P_S1Q_EUlS1P_E_NS1_11comp_targetILNS1_3genE9ELNS1_11target_archE1100ELNS1_3gpuE3ELNS1_3repE0EEENS1_30default_config_static_selectorELNS0_4arch9wavefront6targetE0EEEvS12_
	.p2align	8
	.type	_ZN7rocprim17ROCPRIM_400000_NS6detail17trampoline_kernelINS0_13select_configILj256ELj13ELNS0_17block_load_methodE3ELS4_3ELS4_3ELNS0_20block_scan_algorithmE0ELj4294967295EEENS1_25partition_config_selectorILNS1_17partition_subalgoE4EjNS0_10empty_typeEbEEZZNS1_14partition_implILS8_4ELb0ES6_15HIP_vector_typeIjLj2EENS0_17counting_iteratorIjlEEPS9_SG_NS0_5tupleIJPjSI_NS0_16reverse_iteratorISI_EEEEENSH_IJSG_SG_SG_EEES9_SI_JZNS1_25segmented_radix_sort_implINS0_14default_configELb0EPKhPhPKlPlN2at6native12_GLOBAL__N_18offset_tEEE10hipError_tPvRmT1_PNSt15iterator_traitsIS12_E10value_typeET2_T3_PNS13_IS18_E10value_typeET4_jRbjT5_S1E_jjP12ihipStream_tbEUljE_ZNSN_ISO_Lb0ESQ_SR_ST_SU_SY_EESZ_S10_S11_S12_S16_S17_S18_S1B_S1C_jS1D_jS1E_S1E_jjS1G_bEUljE0_EEESZ_S10_S11_S18_S1C_S1E_T6_T7_T9_mT8_S1G_bDpT10_ENKUlT_T0_E_clISt17integral_constantIbLb0EES1U_EEDaS1P_S1Q_EUlS1P_E_NS1_11comp_targetILNS1_3genE9ELNS1_11target_archE1100ELNS1_3gpuE3ELNS1_3repE0EEENS1_30default_config_static_selectorELNS0_4arch9wavefront6targetE0EEEvS12_,@function
_ZN7rocprim17ROCPRIM_400000_NS6detail17trampoline_kernelINS0_13select_configILj256ELj13ELNS0_17block_load_methodE3ELS4_3ELS4_3ELNS0_20block_scan_algorithmE0ELj4294967295EEENS1_25partition_config_selectorILNS1_17partition_subalgoE4EjNS0_10empty_typeEbEEZZNS1_14partition_implILS8_4ELb0ES6_15HIP_vector_typeIjLj2EENS0_17counting_iteratorIjlEEPS9_SG_NS0_5tupleIJPjSI_NS0_16reverse_iteratorISI_EEEEENSH_IJSG_SG_SG_EEES9_SI_JZNS1_25segmented_radix_sort_implINS0_14default_configELb0EPKhPhPKlPlN2at6native12_GLOBAL__N_18offset_tEEE10hipError_tPvRmT1_PNSt15iterator_traitsIS12_E10value_typeET2_T3_PNS13_IS18_E10value_typeET4_jRbjT5_S1E_jjP12ihipStream_tbEUljE_ZNSN_ISO_Lb0ESQ_SR_ST_SU_SY_EESZ_S10_S11_S12_S16_S17_S18_S1B_S1C_jS1D_jS1E_S1E_jjS1G_bEUljE0_EEESZ_S10_S11_S18_S1C_S1E_T6_T7_T9_mT8_S1G_bDpT10_ENKUlT_T0_E_clISt17integral_constantIbLb0EES1U_EEDaS1P_S1Q_EUlS1P_E_NS1_11comp_targetILNS1_3genE9ELNS1_11target_archE1100ELNS1_3gpuE3ELNS1_3repE0EEENS1_30default_config_static_selectorELNS0_4arch9wavefront6targetE0EEEvS12_: ; @_ZN7rocprim17ROCPRIM_400000_NS6detail17trampoline_kernelINS0_13select_configILj256ELj13ELNS0_17block_load_methodE3ELS4_3ELS4_3ELNS0_20block_scan_algorithmE0ELj4294967295EEENS1_25partition_config_selectorILNS1_17partition_subalgoE4EjNS0_10empty_typeEbEEZZNS1_14partition_implILS8_4ELb0ES6_15HIP_vector_typeIjLj2EENS0_17counting_iteratorIjlEEPS9_SG_NS0_5tupleIJPjSI_NS0_16reverse_iteratorISI_EEEEENSH_IJSG_SG_SG_EEES9_SI_JZNS1_25segmented_radix_sort_implINS0_14default_configELb0EPKhPhPKlPlN2at6native12_GLOBAL__N_18offset_tEEE10hipError_tPvRmT1_PNSt15iterator_traitsIS12_E10value_typeET2_T3_PNS13_IS18_E10value_typeET4_jRbjT5_S1E_jjP12ihipStream_tbEUljE_ZNSN_ISO_Lb0ESQ_SR_ST_SU_SY_EESZ_S10_S11_S12_S16_S17_S18_S1B_S1C_jS1D_jS1E_S1E_jjS1G_bEUljE0_EEESZ_S10_S11_S18_S1C_S1E_T6_T7_T9_mT8_S1G_bDpT10_ENKUlT_T0_E_clISt17integral_constantIbLb0EES1U_EEDaS1P_S1Q_EUlS1P_E_NS1_11comp_targetILNS1_3genE9ELNS1_11target_archE1100ELNS1_3gpuE3ELNS1_3repE0EEENS1_30default_config_static_selectorELNS0_4arch9wavefront6targetE0EEEvS12_
; %bb.0:
	.section	.rodata,"a",@progbits
	.p2align	6, 0x0
	.amdhsa_kernel _ZN7rocprim17ROCPRIM_400000_NS6detail17trampoline_kernelINS0_13select_configILj256ELj13ELNS0_17block_load_methodE3ELS4_3ELS4_3ELNS0_20block_scan_algorithmE0ELj4294967295EEENS1_25partition_config_selectorILNS1_17partition_subalgoE4EjNS0_10empty_typeEbEEZZNS1_14partition_implILS8_4ELb0ES6_15HIP_vector_typeIjLj2EENS0_17counting_iteratorIjlEEPS9_SG_NS0_5tupleIJPjSI_NS0_16reverse_iteratorISI_EEEEENSH_IJSG_SG_SG_EEES9_SI_JZNS1_25segmented_radix_sort_implINS0_14default_configELb0EPKhPhPKlPlN2at6native12_GLOBAL__N_18offset_tEEE10hipError_tPvRmT1_PNSt15iterator_traitsIS12_E10value_typeET2_T3_PNS13_IS18_E10value_typeET4_jRbjT5_S1E_jjP12ihipStream_tbEUljE_ZNSN_ISO_Lb0ESQ_SR_ST_SU_SY_EESZ_S10_S11_S12_S16_S17_S18_S1B_S1C_jS1D_jS1E_S1E_jjS1G_bEUljE0_EEESZ_S10_S11_S18_S1C_S1E_T6_T7_T9_mT8_S1G_bDpT10_ENKUlT_T0_E_clISt17integral_constantIbLb0EES1U_EEDaS1P_S1Q_EUlS1P_E_NS1_11comp_targetILNS1_3genE9ELNS1_11target_archE1100ELNS1_3gpuE3ELNS1_3repE0EEENS1_30default_config_static_selectorELNS0_4arch9wavefront6targetE0EEEvS12_
		.amdhsa_group_segment_fixed_size 0
		.amdhsa_private_segment_fixed_size 0
		.amdhsa_kernarg_size 176
		.amdhsa_user_sgpr_count 2
		.amdhsa_user_sgpr_dispatch_ptr 0
		.amdhsa_user_sgpr_queue_ptr 0
		.amdhsa_user_sgpr_kernarg_segment_ptr 1
		.amdhsa_user_sgpr_dispatch_id 0
		.amdhsa_user_sgpr_kernarg_preload_length 0
		.amdhsa_user_sgpr_kernarg_preload_offset 0
		.amdhsa_user_sgpr_private_segment_size 0
		.amdhsa_wavefront_size32 1
		.amdhsa_uses_dynamic_stack 0
		.amdhsa_enable_private_segment 0
		.amdhsa_system_sgpr_workgroup_id_x 1
		.amdhsa_system_sgpr_workgroup_id_y 0
		.amdhsa_system_sgpr_workgroup_id_z 0
		.amdhsa_system_sgpr_workgroup_info 0
		.amdhsa_system_vgpr_workitem_id 0
		.amdhsa_next_free_vgpr 1
		.amdhsa_next_free_sgpr 1
		.amdhsa_named_barrier_count 0
		.amdhsa_reserve_vcc 0
		.amdhsa_float_round_mode_32 0
		.amdhsa_float_round_mode_16_64 0
		.amdhsa_float_denorm_mode_32 3
		.amdhsa_float_denorm_mode_16_64 3
		.amdhsa_fp16_overflow 0
		.amdhsa_memory_ordered 1
		.amdhsa_forward_progress 1
		.amdhsa_inst_pref_size 0
		.amdhsa_round_robin_scheduling 0
		.amdhsa_exception_fp_ieee_invalid_op 0
		.amdhsa_exception_fp_denorm_src 0
		.amdhsa_exception_fp_ieee_div_zero 0
		.amdhsa_exception_fp_ieee_overflow 0
		.amdhsa_exception_fp_ieee_underflow 0
		.amdhsa_exception_fp_ieee_inexact 0
		.amdhsa_exception_int_div_zero 0
	.end_amdhsa_kernel
	.section	.text._ZN7rocprim17ROCPRIM_400000_NS6detail17trampoline_kernelINS0_13select_configILj256ELj13ELNS0_17block_load_methodE3ELS4_3ELS4_3ELNS0_20block_scan_algorithmE0ELj4294967295EEENS1_25partition_config_selectorILNS1_17partition_subalgoE4EjNS0_10empty_typeEbEEZZNS1_14partition_implILS8_4ELb0ES6_15HIP_vector_typeIjLj2EENS0_17counting_iteratorIjlEEPS9_SG_NS0_5tupleIJPjSI_NS0_16reverse_iteratorISI_EEEEENSH_IJSG_SG_SG_EEES9_SI_JZNS1_25segmented_radix_sort_implINS0_14default_configELb0EPKhPhPKlPlN2at6native12_GLOBAL__N_18offset_tEEE10hipError_tPvRmT1_PNSt15iterator_traitsIS12_E10value_typeET2_T3_PNS13_IS18_E10value_typeET4_jRbjT5_S1E_jjP12ihipStream_tbEUljE_ZNSN_ISO_Lb0ESQ_SR_ST_SU_SY_EESZ_S10_S11_S12_S16_S17_S18_S1B_S1C_jS1D_jS1E_S1E_jjS1G_bEUljE0_EEESZ_S10_S11_S18_S1C_S1E_T6_T7_T9_mT8_S1G_bDpT10_ENKUlT_T0_E_clISt17integral_constantIbLb0EES1U_EEDaS1P_S1Q_EUlS1P_E_NS1_11comp_targetILNS1_3genE9ELNS1_11target_archE1100ELNS1_3gpuE3ELNS1_3repE0EEENS1_30default_config_static_selectorELNS0_4arch9wavefront6targetE0EEEvS12_,"axG",@progbits,_ZN7rocprim17ROCPRIM_400000_NS6detail17trampoline_kernelINS0_13select_configILj256ELj13ELNS0_17block_load_methodE3ELS4_3ELS4_3ELNS0_20block_scan_algorithmE0ELj4294967295EEENS1_25partition_config_selectorILNS1_17partition_subalgoE4EjNS0_10empty_typeEbEEZZNS1_14partition_implILS8_4ELb0ES6_15HIP_vector_typeIjLj2EENS0_17counting_iteratorIjlEEPS9_SG_NS0_5tupleIJPjSI_NS0_16reverse_iteratorISI_EEEEENSH_IJSG_SG_SG_EEES9_SI_JZNS1_25segmented_radix_sort_implINS0_14default_configELb0EPKhPhPKlPlN2at6native12_GLOBAL__N_18offset_tEEE10hipError_tPvRmT1_PNSt15iterator_traitsIS12_E10value_typeET2_T3_PNS13_IS18_E10value_typeET4_jRbjT5_S1E_jjP12ihipStream_tbEUljE_ZNSN_ISO_Lb0ESQ_SR_ST_SU_SY_EESZ_S10_S11_S12_S16_S17_S18_S1B_S1C_jS1D_jS1E_S1E_jjS1G_bEUljE0_EEESZ_S10_S11_S18_S1C_S1E_T6_T7_T9_mT8_S1G_bDpT10_ENKUlT_T0_E_clISt17integral_constantIbLb0EES1U_EEDaS1P_S1Q_EUlS1P_E_NS1_11comp_targetILNS1_3genE9ELNS1_11target_archE1100ELNS1_3gpuE3ELNS1_3repE0EEENS1_30default_config_static_selectorELNS0_4arch9wavefront6targetE0EEEvS12_,comdat
.Lfunc_end127:
	.size	_ZN7rocprim17ROCPRIM_400000_NS6detail17trampoline_kernelINS0_13select_configILj256ELj13ELNS0_17block_load_methodE3ELS4_3ELS4_3ELNS0_20block_scan_algorithmE0ELj4294967295EEENS1_25partition_config_selectorILNS1_17partition_subalgoE4EjNS0_10empty_typeEbEEZZNS1_14partition_implILS8_4ELb0ES6_15HIP_vector_typeIjLj2EENS0_17counting_iteratorIjlEEPS9_SG_NS0_5tupleIJPjSI_NS0_16reverse_iteratorISI_EEEEENSH_IJSG_SG_SG_EEES9_SI_JZNS1_25segmented_radix_sort_implINS0_14default_configELb0EPKhPhPKlPlN2at6native12_GLOBAL__N_18offset_tEEE10hipError_tPvRmT1_PNSt15iterator_traitsIS12_E10value_typeET2_T3_PNS13_IS18_E10value_typeET4_jRbjT5_S1E_jjP12ihipStream_tbEUljE_ZNSN_ISO_Lb0ESQ_SR_ST_SU_SY_EESZ_S10_S11_S12_S16_S17_S18_S1B_S1C_jS1D_jS1E_S1E_jjS1G_bEUljE0_EEESZ_S10_S11_S18_S1C_S1E_T6_T7_T9_mT8_S1G_bDpT10_ENKUlT_T0_E_clISt17integral_constantIbLb0EES1U_EEDaS1P_S1Q_EUlS1P_E_NS1_11comp_targetILNS1_3genE9ELNS1_11target_archE1100ELNS1_3gpuE3ELNS1_3repE0EEENS1_30default_config_static_selectorELNS0_4arch9wavefront6targetE0EEEvS12_, .Lfunc_end127-_ZN7rocprim17ROCPRIM_400000_NS6detail17trampoline_kernelINS0_13select_configILj256ELj13ELNS0_17block_load_methodE3ELS4_3ELS4_3ELNS0_20block_scan_algorithmE0ELj4294967295EEENS1_25partition_config_selectorILNS1_17partition_subalgoE4EjNS0_10empty_typeEbEEZZNS1_14partition_implILS8_4ELb0ES6_15HIP_vector_typeIjLj2EENS0_17counting_iteratorIjlEEPS9_SG_NS0_5tupleIJPjSI_NS0_16reverse_iteratorISI_EEEEENSH_IJSG_SG_SG_EEES9_SI_JZNS1_25segmented_radix_sort_implINS0_14default_configELb0EPKhPhPKlPlN2at6native12_GLOBAL__N_18offset_tEEE10hipError_tPvRmT1_PNSt15iterator_traitsIS12_E10value_typeET2_T3_PNS13_IS18_E10value_typeET4_jRbjT5_S1E_jjP12ihipStream_tbEUljE_ZNSN_ISO_Lb0ESQ_SR_ST_SU_SY_EESZ_S10_S11_S12_S16_S17_S18_S1B_S1C_jS1D_jS1E_S1E_jjS1G_bEUljE0_EEESZ_S10_S11_S18_S1C_S1E_T6_T7_T9_mT8_S1G_bDpT10_ENKUlT_T0_E_clISt17integral_constantIbLb0EES1U_EEDaS1P_S1Q_EUlS1P_E_NS1_11comp_targetILNS1_3genE9ELNS1_11target_archE1100ELNS1_3gpuE3ELNS1_3repE0EEENS1_30default_config_static_selectorELNS0_4arch9wavefront6targetE0EEEvS12_
                                        ; -- End function
	.set _ZN7rocprim17ROCPRIM_400000_NS6detail17trampoline_kernelINS0_13select_configILj256ELj13ELNS0_17block_load_methodE3ELS4_3ELS4_3ELNS0_20block_scan_algorithmE0ELj4294967295EEENS1_25partition_config_selectorILNS1_17partition_subalgoE4EjNS0_10empty_typeEbEEZZNS1_14partition_implILS8_4ELb0ES6_15HIP_vector_typeIjLj2EENS0_17counting_iteratorIjlEEPS9_SG_NS0_5tupleIJPjSI_NS0_16reverse_iteratorISI_EEEEENSH_IJSG_SG_SG_EEES9_SI_JZNS1_25segmented_radix_sort_implINS0_14default_configELb0EPKhPhPKlPlN2at6native12_GLOBAL__N_18offset_tEEE10hipError_tPvRmT1_PNSt15iterator_traitsIS12_E10value_typeET2_T3_PNS13_IS18_E10value_typeET4_jRbjT5_S1E_jjP12ihipStream_tbEUljE_ZNSN_ISO_Lb0ESQ_SR_ST_SU_SY_EESZ_S10_S11_S12_S16_S17_S18_S1B_S1C_jS1D_jS1E_S1E_jjS1G_bEUljE0_EEESZ_S10_S11_S18_S1C_S1E_T6_T7_T9_mT8_S1G_bDpT10_ENKUlT_T0_E_clISt17integral_constantIbLb0EES1U_EEDaS1P_S1Q_EUlS1P_E_NS1_11comp_targetILNS1_3genE9ELNS1_11target_archE1100ELNS1_3gpuE3ELNS1_3repE0EEENS1_30default_config_static_selectorELNS0_4arch9wavefront6targetE0EEEvS12_.num_vgpr, 0
	.set _ZN7rocprim17ROCPRIM_400000_NS6detail17trampoline_kernelINS0_13select_configILj256ELj13ELNS0_17block_load_methodE3ELS4_3ELS4_3ELNS0_20block_scan_algorithmE0ELj4294967295EEENS1_25partition_config_selectorILNS1_17partition_subalgoE4EjNS0_10empty_typeEbEEZZNS1_14partition_implILS8_4ELb0ES6_15HIP_vector_typeIjLj2EENS0_17counting_iteratorIjlEEPS9_SG_NS0_5tupleIJPjSI_NS0_16reverse_iteratorISI_EEEEENSH_IJSG_SG_SG_EEES9_SI_JZNS1_25segmented_radix_sort_implINS0_14default_configELb0EPKhPhPKlPlN2at6native12_GLOBAL__N_18offset_tEEE10hipError_tPvRmT1_PNSt15iterator_traitsIS12_E10value_typeET2_T3_PNS13_IS18_E10value_typeET4_jRbjT5_S1E_jjP12ihipStream_tbEUljE_ZNSN_ISO_Lb0ESQ_SR_ST_SU_SY_EESZ_S10_S11_S12_S16_S17_S18_S1B_S1C_jS1D_jS1E_S1E_jjS1G_bEUljE0_EEESZ_S10_S11_S18_S1C_S1E_T6_T7_T9_mT8_S1G_bDpT10_ENKUlT_T0_E_clISt17integral_constantIbLb0EES1U_EEDaS1P_S1Q_EUlS1P_E_NS1_11comp_targetILNS1_3genE9ELNS1_11target_archE1100ELNS1_3gpuE3ELNS1_3repE0EEENS1_30default_config_static_selectorELNS0_4arch9wavefront6targetE0EEEvS12_.num_agpr, 0
	.set _ZN7rocprim17ROCPRIM_400000_NS6detail17trampoline_kernelINS0_13select_configILj256ELj13ELNS0_17block_load_methodE3ELS4_3ELS4_3ELNS0_20block_scan_algorithmE0ELj4294967295EEENS1_25partition_config_selectorILNS1_17partition_subalgoE4EjNS0_10empty_typeEbEEZZNS1_14partition_implILS8_4ELb0ES6_15HIP_vector_typeIjLj2EENS0_17counting_iteratorIjlEEPS9_SG_NS0_5tupleIJPjSI_NS0_16reverse_iteratorISI_EEEEENSH_IJSG_SG_SG_EEES9_SI_JZNS1_25segmented_radix_sort_implINS0_14default_configELb0EPKhPhPKlPlN2at6native12_GLOBAL__N_18offset_tEEE10hipError_tPvRmT1_PNSt15iterator_traitsIS12_E10value_typeET2_T3_PNS13_IS18_E10value_typeET4_jRbjT5_S1E_jjP12ihipStream_tbEUljE_ZNSN_ISO_Lb0ESQ_SR_ST_SU_SY_EESZ_S10_S11_S12_S16_S17_S18_S1B_S1C_jS1D_jS1E_S1E_jjS1G_bEUljE0_EEESZ_S10_S11_S18_S1C_S1E_T6_T7_T9_mT8_S1G_bDpT10_ENKUlT_T0_E_clISt17integral_constantIbLb0EES1U_EEDaS1P_S1Q_EUlS1P_E_NS1_11comp_targetILNS1_3genE9ELNS1_11target_archE1100ELNS1_3gpuE3ELNS1_3repE0EEENS1_30default_config_static_selectorELNS0_4arch9wavefront6targetE0EEEvS12_.numbered_sgpr, 0
	.set _ZN7rocprim17ROCPRIM_400000_NS6detail17trampoline_kernelINS0_13select_configILj256ELj13ELNS0_17block_load_methodE3ELS4_3ELS4_3ELNS0_20block_scan_algorithmE0ELj4294967295EEENS1_25partition_config_selectorILNS1_17partition_subalgoE4EjNS0_10empty_typeEbEEZZNS1_14partition_implILS8_4ELb0ES6_15HIP_vector_typeIjLj2EENS0_17counting_iteratorIjlEEPS9_SG_NS0_5tupleIJPjSI_NS0_16reverse_iteratorISI_EEEEENSH_IJSG_SG_SG_EEES9_SI_JZNS1_25segmented_radix_sort_implINS0_14default_configELb0EPKhPhPKlPlN2at6native12_GLOBAL__N_18offset_tEEE10hipError_tPvRmT1_PNSt15iterator_traitsIS12_E10value_typeET2_T3_PNS13_IS18_E10value_typeET4_jRbjT5_S1E_jjP12ihipStream_tbEUljE_ZNSN_ISO_Lb0ESQ_SR_ST_SU_SY_EESZ_S10_S11_S12_S16_S17_S18_S1B_S1C_jS1D_jS1E_S1E_jjS1G_bEUljE0_EEESZ_S10_S11_S18_S1C_S1E_T6_T7_T9_mT8_S1G_bDpT10_ENKUlT_T0_E_clISt17integral_constantIbLb0EES1U_EEDaS1P_S1Q_EUlS1P_E_NS1_11comp_targetILNS1_3genE9ELNS1_11target_archE1100ELNS1_3gpuE3ELNS1_3repE0EEENS1_30default_config_static_selectorELNS0_4arch9wavefront6targetE0EEEvS12_.num_named_barrier, 0
	.set _ZN7rocprim17ROCPRIM_400000_NS6detail17trampoline_kernelINS0_13select_configILj256ELj13ELNS0_17block_load_methodE3ELS4_3ELS4_3ELNS0_20block_scan_algorithmE0ELj4294967295EEENS1_25partition_config_selectorILNS1_17partition_subalgoE4EjNS0_10empty_typeEbEEZZNS1_14partition_implILS8_4ELb0ES6_15HIP_vector_typeIjLj2EENS0_17counting_iteratorIjlEEPS9_SG_NS0_5tupleIJPjSI_NS0_16reverse_iteratorISI_EEEEENSH_IJSG_SG_SG_EEES9_SI_JZNS1_25segmented_radix_sort_implINS0_14default_configELb0EPKhPhPKlPlN2at6native12_GLOBAL__N_18offset_tEEE10hipError_tPvRmT1_PNSt15iterator_traitsIS12_E10value_typeET2_T3_PNS13_IS18_E10value_typeET4_jRbjT5_S1E_jjP12ihipStream_tbEUljE_ZNSN_ISO_Lb0ESQ_SR_ST_SU_SY_EESZ_S10_S11_S12_S16_S17_S18_S1B_S1C_jS1D_jS1E_S1E_jjS1G_bEUljE0_EEESZ_S10_S11_S18_S1C_S1E_T6_T7_T9_mT8_S1G_bDpT10_ENKUlT_T0_E_clISt17integral_constantIbLb0EES1U_EEDaS1P_S1Q_EUlS1P_E_NS1_11comp_targetILNS1_3genE9ELNS1_11target_archE1100ELNS1_3gpuE3ELNS1_3repE0EEENS1_30default_config_static_selectorELNS0_4arch9wavefront6targetE0EEEvS12_.private_seg_size, 0
	.set _ZN7rocprim17ROCPRIM_400000_NS6detail17trampoline_kernelINS0_13select_configILj256ELj13ELNS0_17block_load_methodE3ELS4_3ELS4_3ELNS0_20block_scan_algorithmE0ELj4294967295EEENS1_25partition_config_selectorILNS1_17partition_subalgoE4EjNS0_10empty_typeEbEEZZNS1_14partition_implILS8_4ELb0ES6_15HIP_vector_typeIjLj2EENS0_17counting_iteratorIjlEEPS9_SG_NS0_5tupleIJPjSI_NS0_16reverse_iteratorISI_EEEEENSH_IJSG_SG_SG_EEES9_SI_JZNS1_25segmented_radix_sort_implINS0_14default_configELb0EPKhPhPKlPlN2at6native12_GLOBAL__N_18offset_tEEE10hipError_tPvRmT1_PNSt15iterator_traitsIS12_E10value_typeET2_T3_PNS13_IS18_E10value_typeET4_jRbjT5_S1E_jjP12ihipStream_tbEUljE_ZNSN_ISO_Lb0ESQ_SR_ST_SU_SY_EESZ_S10_S11_S12_S16_S17_S18_S1B_S1C_jS1D_jS1E_S1E_jjS1G_bEUljE0_EEESZ_S10_S11_S18_S1C_S1E_T6_T7_T9_mT8_S1G_bDpT10_ENKUlT_T0_E_clISt17integral_constantIbLb0EES1U_EEDaS1P_S1Q_EUlS1P_E_NS1_11comp_targetILNS1_3genE9ELNS1_11target_archE1100ELNS1_3gpuE3ELNS1_3repE0EEENS1_30default_config_static_selectorELNS0_4arch9wavefront6targetE0EEEvS12_.uses_vcc, 0
	.set _ZN7rocprim17ROCPRIM_400000_NS6detail17trampoline_kernelINS0_13select_configILj256ELj13ELNS0_17block_load_methodE3ELS4_3ELS4_3ELNS0_20block_scan_algorithmE0ELj4294967295EEENS1_25partition_config_selectorILNS1_17partition_subalgoE4EjNS0_10empty_typeEbEEZZNS1_14partition_implILS8_4ELb0ES6_15HIP_vector_typeIjLj2EENS0_17counting_iteratorIjlEEPS9_SG_NS0_5tupleIJPjSI_NS0_16reverse_iteratorISI_EEEEENSH_IJSG_SG_SG_EEES9_SI_JZNS1_25segmented_radix_sort_implINS0_14default_configELb0EPKhPhPKlPlN2at6native12_GLOBAL__N_18offset_tEEE10hipError_tPvRmT1_PNSt15iterator_traitsIS12_E10value_typeET2_T3_PNS13_IS18_E10value_typeET4_jRbjT5_S1E_jjP12ihipStream_tbEUljE_ZNSN_ISO_Lb0ESQ_SR_ST_SU_SY_EESZ_S10_S11_S12_S16_S17_S18_S1B_S1C_jS1D_jS1E_S1E_jjS1G_bEUljE0_EEESZ_S10_S11_S18_S1C_S1E_T6_T7_T9_mT8_S1G_bDpT10_ENKUlT_T0_E_clISt17integral_constantIbLb0EES1U_EEDaS1P_S1Q_EUlS1P_E_NS1_11comp_targetILNS1_3genE9ELNS1_11target_archE1100ELNS1_3gpuE3ELNS1_3repE0EEENS1_30default_config_static_selectorELNS0_4arch9wavefront6targetE0EEEvS12_.uses_flat_scratch, 0
	.set _ZN7rocprim17ROCPRIM_400000_NS6detail17trampoline_kernelINS0_13select_configILj256ELj13ELNS0_17block_load_methodE3ELS4_3ELS4_3ELNS0_20block_scan_algorithmE0ELj4294967295EEENS1_25partition_config_selectorILNS1_17partition_subalgoE4EjNS0_10empty_typeEbEEZZNS1_14partition_implILS8_4ELb0ES6_15HIP_vector_typeIjLj2EENS0_17counting_iteratorIjlEEPS9_SG_NS0_5tupleIJPjSI_NS0_16reverse_iteratorISI_EEEEENSH_IJSG_SG_SG_EEES9_SI_JZNS1_25segmented_radix_sort_implINS0_14default_configELb0EPKhPhPKlPlN2at6native12_GLOBAL__N_18offset_tEEE10hipError_tPvRmT1_PNSt15iterator_traitsIS12_E10value_typeET2_T3_PNS13_IS18_E10value_typeET4_jRbjT5_S1E_jjP12ihipStream_tbEUljE_ZNSN_ISO_Lb0ESQ_SR_ST_SU_SY_EESZ_S10_S11_S12_S16_S17_S18_S1B_S1C_jS1D_jS1E_S1E_jjS1G_bEUljE0_EEESZ_S10_S11_S18_S1C_S1E_T6_T7_T9_mT8_S1G_bDpT10_ENKUlT_T0_E_clISt17integral_constantIbLb0EES1U_EEDaS1P_S1Q_EUlS1P_E_NS1_11comp_targetILNS1_3genE9ELNS1_11target_archE1100ELNS1_3gpuE3ELNS1_3repE0EEENS1_30default_config_static_selectorELNS0_4arch9wavefront6targetE0EEEvS12_.has_dyn_sized_stack, 0
	.set _ZN7rocprim17ROCPRIM_400000_NS6detail17trampoline_kernelINS0_13select_configILj256ELj13ELNS0_17block_load_methodE3ELS4_3ELS4_3ELNS0_20block_scan_algorithmE0ELj4294967295EEENS1_25partition_config_selectorILNS1_17partition_subalgoE4EjNS0_10empty_typeEbEEZZNS1_14partition_implILS8_4ELb0ES6_15HIP_vector_typeIjLj2EENS0_17counting_iteratorIjlEEPS9_SG_NS0_5tupleIJPjSI_NS0_16reverse_iteratorISI_EEEEENSH_IJSG_SG_SG_EEES9_SI_JZNS1_25segmented_radix_sort_implINS0_14default_configELb0EPKhPhPKlPlN2at6native12_GLOBAL__N_18offset_tEEE10hipError_tPvRmT1_PNSt15iterator_traitsIS12_E10value_typeET2_T3_PNS13_IS18_E10value_typeET4_jRbjT5_S1E_jjP12ihipStream_tbEUljE_ZNSN_ISO_Lb0ESQ_SR_ST_SU_SY_EESZ_S10_S11_S12_S16_S17_S18_S1B_S1C_jS1D_jS1E_S1E_jjS1G_bEUljE0_EEESZ_S10_S11_S18_S1C_S1E_T6_T7_T9_mT8_S1G_bDpT10_ENKUlT_T0_E_clISt17integral_constantIbLb0EES1U_EEDaS1P_S1Q_EUlS1P_E_NS1_11comp_targetILNS1_3genE9ELNS1_11target_archE1100ELNS1_3gpuE3ELNS1_3repE0EEENS1_30default_config_static_selectorELNS0_4arch9wavefront6targetE0EEEvS12_.has_recursion, 0
	.set _ZN7rocprim17ROCPRIM_400000_NS6detail17trampoline_kernelINS0_13select_configILj256ELj13ELNS0_17block_load_methodE3ELS4_3ELS4_3ELNS0_20block_scan_algorithmE0ELj4294967295EEENS1_25partition_config_selectorILNS1_17partition_subalgoE4EjNS0_10empty_typeEbEEZZNS1_14partition_implILS8_4ELb0ES6_15HIP_vector_typeIjLj2EENS0_17counting_iteratorIjlEEPS9_SG_NS0_5tupleIJPjSI_NS0_16reverse_iteratorISI_EEEEENSH_IJSG_SG_SG_EEES9_SI_JZNS1_25segmented_radix_sort_implINS0_14default_configELb0EPKhPhPKlPlN2at6native12_GLOBAL__N_18offset_tEEE10hipError_tPvRmT1_PNSt15iterator_traitsIS12_E10value_typeET2_T3_PNS13_IS18_E10value_typeET4_jRbjT5_S1E_jjP12ihipStream_tbEUljE_ZNSN_ISO_Lb0ESQ_SR_ST_SU_SY_EESZ_S10_S11_S12_S16_S17_S18_S1B_S1C_jS1D_jS1E_S1E_jjS1G_bEUljE0_EEESZ_S10_S11_S18_S1C_S1E_T6_T7_T9_mT8_S1G_bDpT10_ENKUlT_T0_E_clISt17integral_constantIbLb0EES1U_EEDaS1P_S1Q_EUlS1P_E_NS1_11comp_targetILNS1_3genE9ELNS1_11target_archE1100ELNS1_3gpuE3ELNS1_3repE0EEENS1_30default_config_static_selectorELNS0_4arch9wavefront6targetE0EEEvS12_.has_indirect_call, 0
	.section	.AMDGPU.csdata,"",@progbits
; Kernel info:
; codeLenInByte = 0
; TotalNumSgprs: 0
; NumVgprs: 0
; ScratchSize: 0
; MemoryBound: 0
; FloatMode: 240
; IeeeMode: 1
; LDSByteSize: 0 bytes/workgroup (compile time only)
; SGPRBlocks: 0
; VGPRBlocks: 0
; NumSGPRsForWavesPerEU: 1
; NumVGPRsForWavesPerEU: 1
; NamedBarCnt: 0
; Occupancy: 16
; WaveLimiterHint : 0
; COMPUTE_PGM_RSRC2:SCRATCH_EN: 0
; COMPUTE_PGM_RSRC2:USER_SGPR: 2
; COMPUTE_PGM_RSRC2:TRAP_HANDLER: 0
; COMPUTE_PGM_RSRC2:TGID_X_EN: 1
; COMPUTE_PGM_RSRC2:TGID_Y_EN: 0
; COMPUTE_PGM_RSRC2:TGID_Z_EN: 0
; COMPUTE_PGM_RSRC2:TIDIG_COMP_CNT: 0
	.section	.text._ZN7rocprim17ROCPRIM_400000_NS6detail17trampoline_kernelINS0_13select_configILj256ELj13ELNS0_17block_load_methodE3ELS4_3ELS4_3ELNS0_20block_scan_algorithmE0ELj4294967295EEENS1_25partition_config_selectorILNS1_17partition_subalgoE4EjNS0_10empty_typeEbEEZZNS1_14partition_implILS8_4ELb0ES6_15HIP_vector_typeIjLj2EENS0_17counting_iteratorIjlEEPS9_SG_NS0_5tupleIJPjSI_NS0_16reverse_iteratorISI_EEEEENSH_IJSG_SG_SG_EEES9_SI_JZNS1_25segmented_radix_sort_implINS0_14default_configELb0EPKhPhPKlPlN2at6native12_GLOBAL__N_18offset_tEEE10hipError_tPvRmT1_PNSt15iterator_traitsIS12_E10value_typeET2_T3_PNS13_IS18_E10value_typeET4_jRbjT5_S1E_jjP12ihipStream_tbEUljE_ZNSN_ISO_Lb0ESQ_SR_ST_SU_SY_EESZ_S10_S11_S12_S16_S17_S18_S1B_S1C_jS1D_jS1E_S1E_jjS1G_bEUljE0_EEESZ_S10_S11_S18_S1C_S1E_T6_T7_T9_mT8_S1G_bDpT10_ENKUlT_T0_E_clISt17integral_constantIbLb0EES1U_EEDaS1P_S1Q_EUlS1P_E_NS1_11comp_targetILNS1_3genE8ELNS1_11target_archE1030ELNS1_3gpuE2ELNS1_3repE0EEENS1_30default_config_static_selectorELNS0_4arch9wavefront6targetE0EEEvS12_,"axG",@progbits,_ZN7rocprim17ROCPRIM_400000_NS6detail17trampoline_kernelINS0_13select_configILj256ELj13ELNS0_17block_load_methodE3ELS4_3ELS4_3ELNS0_20block_scan_algorithmE0ELj4294967295EEENS1_25partition_config_selectorILNS1_17partition_subalgoE4EjNS0_10empty_typeEbEEZZNS1_14partition_implILS8_4ELb0ES6_15HIP_vector_typeIjLj2EENS0_17counting_iteratorIjlEEPS9_SG_NS0_5tupleIJPjSI_NS0_16reverse_iteratorISI_EEEEENSH_IJSG_SG_SG_EEES9_SI_JZNS1_25segmented_radix_sort_implINS0_14default_configELb0EPKhPhPKlPlN2at6native12_GLOBAL__N_18offset_tEEE10hipError_tPvRmT1_PNSt15iterator_traitsIS12_E10value_typeET2_T3_PNS13_IS18_E10value_typeET4_jRbjT5_S1E_jjP12ihipStream_tbEUljE_ZNSN_ISO_Lb0ESQ_SR_ST_SU_SY_EESZ_S10_S11_S12_S16_S17_S18_S1B_S1C_jS1D_jS1E_S1E_jjS1G_bEUljE0_EEESZ_S10_S11_S18_S1C_S1E_T6_T7_T9_mT8_S1G_bDpT10_ENKUlT_T0_E_clISt17integral_constantIbLb0EES1U_EEDaS1P_S1Q_EUlS1P_E_NS1_11comp_targetILNS1_3genE8ELNS1_11target_archE1030ELNS1_3gpuE2ELNS1_3repE0EEENS1_30default_config_static_selectorELNS0_4arch9wavefront6targetE0EEEvS12_,comdat
	.globl	_ZN7rocprim17ROCPRIM_400000_NS6detail17trampoline_kernelINS0_13select_configILj256ELj13ELNS0_17block_load_methodE3ELS4_3ELS4_3ELNS0_20block_scan_algorithmE0ELj4294967295EEENS1_25partition_config_selectorILNS1_17partition_subalgoE4EjNS0_10empty_typeEbEEZZNS1_14partition_implILS8_4ELb0ES6_15HIP_vector_typeIjLj2EENS0_17counting_iteratorIjlEEPS9_SG_NS0_5tupleIJPjSI_NS0_16reverse_iteratorISI_EEEEENSH_IJSG_SG_SG_EEES9_SI_JZNS1_25segmented_radix_sort_implINS0_14default_configELb0EPKhPhPKlPlN2at6native12_GLOBAL__N_18offset_tEEE10hipError_tPvRmT1_PNSt15iterator_traitsIS12_E10value_typeET2_T3_PNS13_IS18_E10value_typeET4_jRbjT5_S1E_jjP12ihipStream_tbEUljE_ZNSN_ISO_Lb0ESQ_SR_ST_SU_SY_EESZ_S10_S11_S12_S16_S17_S18_S1B_S1C_jS1D_jS1E_S1E_jjS1G_bEUljE0_EEESZ_S10_S11_S18_S1C_S1E_T6_T7_T9_mT8_S1G_bDpT10_ENKUlT_T0_E_clISt17integral_constantIbLb0EES1U_EEDaS1P_S1Q_EUlS1P_E_NS1_11comp_targetILNS1_3genE8ELNS1_11target_archE1030ELNS1_3gpuE2ELNS1_3repE0EEENS1_30default_config_static_selectorELNS0_4arch9wavefront6targetE0EEEvS12_ ; -- Begin function _ZN7rocprim17ROCPRIM_400000_NS6detail17trampoline_kernelINS0_13select_configILj256ELj13ELNS0_17block_load_methodE3ELS4_3ELS4_3ELNS0_20block_scan_algorithmE0ELj4294967295EEENS1_25partition_config_selectorILNS1_17partition_subalgoE4EjNS0_10empty_typeEbEEZZNS1_14partition_implILS8_4ELb0ES6_15HIP_vector_typeIjLj2EENS0_17counting_iteratorIjlEEPS9_SG_NS0_5tupleIJPjSI_NS0_16reverse_iteratorISI_EEEEENSH_IJSG_SG_SG_EEES9_SI_JZNS1_25segmented_radix_sort_implINS0_14default_configELb0EPKhPhPKlPlN2at6native12_GLOBAL__N_18offset_tEEE10hipError_tPvRmT1_PNSt15iterator_traitsIS12_E10value_typeET2_T3_PNS13_IS18_E10value_typeET4_jRbjT5_S1E_jjP12ihipStream_tbEUljE_ZNSN_ISO_Lb0ESQ_SR_ST_SU_SY_EESZ_S10_S11_S12_S16_S17_S18_S1B_S1C_jS1D_jS1E_S1E_jjS1G_bEUljE0_EEESZ_S10_S11_S18_S1C_S1E_T6_T7_T9_mT8_S1G_bDpT10_ENKUlT_T0_E_clISt17integral_constantIbLb0EES1U_EEDaS1P_S1Q_EUlS1P_E_NS1_11comp_targetILNS1_3genE8ELNS1_11target_archE1030ELNS1_3gpuE2ELNS1_3repE0EEENS1_30default_config_static_selectorELNS0_4arch9wavefront6targetE0EEEvS12_
	.p2align	8
	.type	_ZN7rocprim17ROCPRIM_400000_NS6detail17trampoline_kernelINS0_13select_configILj256ELj13ELNS0_17block_load_methodE3ELS4_3ELS4_3ELNS0_20block_scan_algorithmE0ELj4294967295EEENS1_25partition_config_selectorILNS1_17partition_subalgoE4EjNS0_10empty_typeEbEEZZNS1_14partition_implILS8_4ELb0ES6_15HIP_vector_typeIjLj2EENS0_17counting_iteratorIjlEEPS9_SG_NS0_5tupleIJPjSI_NS0_16reverse_iteratorISI_EEEEENSH_IJSG_SG_SG_EEES9_SI_JZNS1_25segmented_radix_sort_implINS0_14default_configELb0EPKhPhPKlPlN2at6native12_GLOBAL__N_18offset_tEEE10hipError_tPvRmT1_PNSt15iterator_traitsIS12_E10value_typeET2_T3_PNS13_IS18_E10value_typeET4_jRbjT5_S1E_jjP12ihipStream_tbEUljE_ZNSN_ISO_Lb0ESQ_SR_ST_SU_SY_EESZ_S10_S11_S12_S16_S17_S18_S1B_S1C_jS1D_jS1E_S1E_jjS1G_bEUljE0_EEESZ_S10_S11_S18_S1C_S1E_T6_T7_T9_mT8_S1G_bDpT10_ENKUlT_T0_E_clISt17integral_constantIbLb0EES1U_EEDaS1P_S1Q_EUlS1P_E_NS1_11comp_targetILNS1_3genE8ELNS1_11target_archE1030ELNS1_3gpuE2ELNS1_3repE0EEENS1_30default_config_static_selectorELNS0_4arch9wavefront6targetE0EEEvS12_,@function
_ZN7rocprim17ROCPRIM_400000_NS6detail17trampoline_kernelINS0_13select_configILj256ELj13ELNS0_17block_load_methodE3ELS4_3ELS4_3ELNS0_20block_scan_algorithmE0ELj4294967295EEENS1_25partition_config_selectorILNS1_17partition_subalgoE4EjNS0_10empty_typeEbEEZZNS1_14partition_implILS8_4ELb0ES6_15HIP_vector_typeIjLj2EENS0_17counting_iteratorIjlEEPS9_SG_NS0_5tupleIJPjSI_NS0_16reverse_iteratorISI_EEEEENSH_IJSG_SG_SG_EEES9_SI_JZNS1_25segmented_radix_sort_implINS0_14default_configELb0EPKhPhPKlPlN2at6native12_GLOBAL__N_18offset_tEEE10hipError_tPvRmT1_PNSt15iterator_traitsIS12_E10value_typeET2_T3_PNS13_IS18_E10value_typeET4_jRbjT5_S1E_jjP12ihipStream_tbEUljE_ZNSN_ISO_Lb0ESQ_SR_ST_SU_SY_EESZ_S10_S11_S12_S16_S17_S18_S1B_S1C_jS1D_jS1E_S1E_jjS1G_bEUljE0_EEESZ_S10_S11_S18_S1C_S1E_T6_T7_T9_mT8_S1G_bDpT10_ENKUlT_T0_E_clISt17integral_constantIbLb0EES1U_EEDaS1P_S1Q_EUlS1P_E_NS1_11comp_targetILNS1_3genE8ELNS1_11target_archE1030ELNS1_3gpuE2ELNS1_3repE0EEENS1_30default_config_static_selectorELNS0_4arch9wavefront6targetE0EEEvS12_: ; @_ZN7rocprim17ROCPRIM_400000_NS6detail17trampoline_kernelINS0_13select_configILj256ELj13ELNS0_17block_load_methodE3ELS4_3ELS4_3ELNS0_20block_scan_algorithmE0ELj4294967295EEENS1_25partition_config_selectorILNS1_17partition_subalgoE4EjNS0_10empty_typeEbEEZZNS1_14partition_implILS8_4ELb0ES6_15HIP_vector_typeIjLj2EENS0_17counting_iteratorIjlEEPS9_SG_NS0_5tupleIJPjSI_NS0_16reverse_iteratorISI_EEEEENSH_IJSG_SG_SG_EEES9_SI_JZNS1_25segmented_radix_sort_implINS0_14default_configELb0EPKhPhPKlPlN2at6native12_GLOBAL__N_18offset_tEEE10hipError_tPvRmT1_PNSt15iterator_traitsIS12_E10value_typeET2_T3_PNS13_IS18_E10value_typeET4_jRbjT5_S1E_jjP12ihipStream_tbEUljE_ZNSN_ISO_Lb0ESQ_SR_ST_SU_SY_EESZ_S10_S11_S12_S16_S17_S18_S1B_S1C_jS1D_jS1E_S1E_jjS1G_bEUljE0_EEESZ_S10_S11_S18_S1C_S1E_T6_T7_T9_mT8_S1G_bDpT10_ENKUlT_T0_E_clISt17integral_constantIbLb0EES1U_EEDaS1P_S1Q_EUlS1P_E_NS1_11comp_targetILNS1_3genE8ELNS1_11target_archE1030ELNS1_3gpuE2ELNS1_3repE0EEENS1_30default_config_static_selectorELNS0_4arch9wavefront6targetE0EEEvS12_
; %bb.0:
	.section	.rodata,"a",@progbits
	.p2align	6, 0x0
	.amdhsa_kernel _ZN7rocprim17ROCPRIM_400000_NS6detail17trampoline_kernelINS0_13select_configILj256ELj13ELNS0_17block_load_methodE3ELS4_3ELS4_3ELNS0_20block_scan_algorithmE0ELj4294967295EEENS1_25partition_config_selectorILNS1_17partition_subalgoE4EjNS0_10empty_typeEbEEZZNS1_14partition_implILS8_4ELb0ES6_15HIP_vector_typeIjLj2EENS0_17counting_iteratorIjlEEPS9_SG_NS0_5tupleIJPjSI_NS0_16reverse_iteratorISI_EEEEENSH_IJSG_SG_SG_EEES9_SI_JZNS1_25segmented_radix_sort_implINS0_14default_configELb0EPKhPhPKlPlN2at6native12_GLOBAL__N_18offset_tEEE10hipError_tPvRmT1_PNSt15iterator_traitsIS12_E10value_typeET2_T3_PNS13_IS18_E10value_typeET4_jRbjT5_S1E_jjP12ihipStream_tbEUljE_ZNSN_ISO_Lb0ESQ_SR_ST_SU_SY_EESZ_S10_S11_S12_S16_S17_S18_S1B_S1C_jS1D_jS1E_S1E_jjS1G_bEUljE0_EEESZ_S10_S11_S18_S1C_S1E_T6_T7_T9_mT8_S1G_bDpT10_ENKUlT_T0_E_clISt17integral_constantIbLb0EES1U_EEDaS1P_S1Q_EUlS1P_E_NS1_11comp_targetILNS1_3genE8ELNS1_11target_archE1030ELNS1_3gpuE2ELNS1_3repE0EEENS1_30default_config_static_selectorELNS0_4arch9wavefront6targetE0EEEvS12_
		.amdhsa_group_segment_fixed_size 0
		.amdhsa_private_segment_fixed_size 0
		.amdhsa_kernarg_size 176
		.amdhsa_user_sgpr_count 2
		.amdhsa_user_sgpr_dispatch_ptr 0
		.amdhsa_user_sgpr_queue_ptr 0
		.amdhsa_user_sgpr_kernarg_segment_ptr 1
		.amdhsa_user_sgpr_dispatch_id 0
		.amdhsa_user_sgpr_kernarg_preload_length 0
		.amdhsa_user_sgpr_kernarg_preload_offset 0
		.amdhsa_user_sgpr_private_segment_size 0
		.amdhsa_wavefront_size32 1
		.amdhsa_uses_dynamic_stack 0
		.amdhsa_enable_private_segment 0
		.amdhsa_system_sgpr_workgroup_id_x 1
		.amdhsa_system_sgpr_workgroup_id_y 0
		.amdhsa_system_sgpr_workgroup_id_z 0
		.amdhsa_system_sgpr_workgroup_info 0
		.amdhsa_system_vgpr_workitem_id 0
		.amdhsa_next_free_vgpr 1
		.amdhsa_next_free_sgpr 1
		.amdhsa_named_barrier_count 0
		.amdhsa_reserve_vcc 0
		.amdhsa_float_round_mode_32 0
		.amdhsa_float_round_mode_16_64 0
		.amdhsa_float_denorm_mode_32 3
		.amdhsa_float_denorm_mode_16_64 3
		.amdhsa_fp16_overflow 0
		.amdhsa_memory_ordered 1
		.amdhsa_forward_progress 1
		.amdhsa_inst_pref_size 0
		.amdhsa_round_robin_scheduling 0
		.amdhsa_exception_fp_ieee_invalid_op 0
		.amdhsa_exception_fp_denorm_src 0
		.amdhsa_exception_fp_ieee_div_zero 0
		.amdhsa_exception_fp_ieee_overflow 0
		.amdhsa_exception_fp_ieee_underflow 0
		.amdhsa_exception_fp_ieee_inexact 0
		.amdhsa_exception_int_div_zero 0
	.end_amdhsa_kernel
	.section	.text._ZN7rocprim17ROCPRIM_400000_NS6detail17trampoline_kernelINS0_13select_configILj256ELj13ELNS0_17block_load_methodE3ELS4_3ELS4_3ELNS0_20block_scan_algorithmE0ELj4294967295EEENS1_25partition_config_selectorILNS1_17partition_subalgoE4EjNS0_10empty_typeEbEEZZNS1_14partition_implILS8_4ELb0ES6_15HIP_vector_typeIjLj2EENS0_17counting_iteratorIjlEEPS9_SG_NS0_5tupleIJPjSI_NS0_16reverse_iteratorISI_EEEEENSH_IJSG_SG_SG_EEES9_SI_JZNS1_25segmented_radix_sort_implINS0_14default_configELb0EPKhPhPKlPlN2at6native12_GLOBAL__N_18offset_tEEE10hipError_tPvRmT1_PNSt15iterator_traitsIS12_E10value_typeET2_T3_PNS13_IS18_E10value_typeET4_jRbjT5_S1E_jjP12ihipStream_tbEUljE_ZNSN_ISO_Lb0ESQ_SR_ST_SU_SY_EESZ_S10_S11_S12_S16_S17_S18_S1B_S1C_jS1D_jS1E_S1E_jjS1G_bEUljE0_EEESZ_S10_S11_S18_S1C_S1E_T6_T7_T9_mT8_S1G_bDpT10_ENKUlT_T0_E_clISt17integral_constantIbLb0EES1U_EEDaS1P_S1Q_EUlS1P_E_NS1_11comp_targetILNS1_3genE8ELNS1_11target_archE1030ELNS1_3gpuE2ELNS1_3repE0EEENS1_30default_config_static_selectorELNS0_4arch9wavefront6targetE0EEEvS12_,"axG",@progbits,_ZN7rocprim17ROCPRIM_400000_NS6detail17trampoline_kernelINS0_13select_configILj256ELj13ELNS0_17block_load_methodE3ELS4_3ELS4_3ELNS0_20block_scan_algorithmE0ELj4294967295EEENS1_25partition_config_selectorILNS1_17partition_subalgoE4EjNS0_10empty_typeEbEEZZNS1_14partition_implILS8_4ELb0ES6_15HIP_vector_typeIjLj2EENS0_17counting_iteratorIjlEEPS9_SG_NS0_5tupleIJPjSI_NS0_16reverse_iteratorISI_EEEEENSH_IJSG_SG_SG_EEES9_SI_JZNS1_25segmented_radix_sort_implINS0_14default_configELb0EPKhPhPKlPlN2at6native12_GLOBAL__N_18offset_tEEE10hipError_tPvRmT1_PNSt15iterator_traitsIS12_E10value_typeET2_T3_PNS13_IS18_E10value_typeET4_jRbjT5_S1E_jjP12ihipStream_tbEUljE_ZNSN_ISO_Lb0ESQ_SR_ST_SU_SY_EESZ_S10_S11_S12_S16_S17_S18_S1B_S1C_jS1D_jS1E_S1E_jjS1G_bEUljE0_EEESZ_S10_S11_S18_S1C_S1E_T6_T7_T9_mT8_S1G_bDpT10_ENKUlT_T0_E_clISt17integral_constantIbLb0EES1U_EEDaS1P_S1Q_EUlS1P_E_NS1_11comp_targetILNS1_3genE8ELNS1_11target_archE1030ELNS1_3gpuE2ELNS1_3repE0EEENS1_30default_config_static_selectorELNS0_4arch9wavefront6targetE0EEEvS12_,comdat
.Lfunc_end128:
	.size	_ZN7rocprim17ROCPRIM_400000_NS6detail17trampoline_kernelINS0_13select_configILj256ELj13ELNS0_17block_load_methodE3ELS4_3ELS4_3ELNS0_20block_scan_algorithmE0ELj4294967295EEENS1_25partition_config_selectorILNS1_17partition_subalgoE4EjNS0_10empty_typeEbEEZZNS1_14partition_implILS8_4ELb0ES6_15HIP_vector_typeIjLj2EENS0_17counting_iteratorIjlEEPS9_SG_NS0_5tupleIJPjSI_NS0_16reverse_iteratorISI_EEEEENSH_IJSG_SG_SG_EEES9_SI_JZNS1_25segmented_radix_sort_implINS0_14default_configELb0EPKhPhPKlPlN2at6native12_GLOBAL__N_18offset_tEEE10hipError_tPvRmT1_PNSt15iterator_traitsIS12_E10value_typeET2_T3_PNS13_IS18_E10value_typeET4_jRbjT5_S1E_jjP12ihipStream_tbEUljE_ZNSN_ISO_Lb0ESQ_SR_ST_SU_SY_EESZ_S10_S11_S12_S16_S17_S18_S1B_S1C_jS1D_jS1E_S1E_jjS1G_bEUljE0_EEESZ_S10_S11_S18_S1C_S1E_T6_T7_T9_mT8_S1G_bDpT10_ENKUlT_T0_E_clISt17integral_constantIbLb0EES1U_EEDaS1P_S1Q_EUlS1P_E_NS1_11comp_targetILNS1_3genE8ELNS1_11target_archE1030ELNS1_3gpuE2ELNS1_3repE0EEENS1_30default_config_static_selectorELNS0_4arch9wavefront6targetE0EEEvS12_, .Lfunc_end128-_ZN7rocprim17ROCPRIM_400000_NS6detail17trampoline_kernelINS0_13select_configILj256ELj13ELNS0_17block_load_methodE3ELS4_3ELS4_3ELNS0_20block_scan_algorithmE0ELj4294967295EEENS1_25partition_config_selectorILNS1_17partition_subalgoE4EjNS0_10empty_typeEbEEZZNS1_14partition_implILS8_4ELb0ES6_15HIP_vector_typeIjLj2EENS0_17counting_iteratorIjlEEPS9_SG_NS0_5tupleIJPjSI_NS0_16reverse_iteratorISI_EEEEENSH_IJSG_SG_SG_EEES9_SI_JZNS1_25segmented_radix_sort_implINS0_14default_configELb0EPKhPhPKlPlN2at6native12_GLOBAL__N_18offset_tEEE10hipError_tPvRmT1_PNSt15iterator_traitsIS12_E10value_typeET2_T3_PNS13_IS18_E10value_typeET4_jRbjT5_S1E_jjP12ihipStream_tbEUljE_ZNSN_ISO_Lb0ESQ_SR_ST_SU_SY_EESZ_S10_S11_S12_S16_S17_S18_S1B_S1C_jS1D_jS1E_S1E_jjS1G_bEUljE0_EEESZ_S10_S11_S18_S1C_S1E_T6_T7_T9_mT8_S1G_bDpT10_ENKUlT_T0_E_clISt17integral_constantIbLb0EES1U_EEDaS1P_S1Q_EUlS1P_E_NS1_11comp_targetILNS1_3genE8ELNS1_11target_archE1030ELNS1_3gpuE2ELNS1_3repE0EEENS1_30default_config_static_selectorELNS0_4arch9wavefront6targetE0EEEvS12_
                                        ; -- End function
	.set _ZN7rocprim17ROCPRIM_400000_NS6detail17trampoline_kernelINS0_13select_configILj256ELj13ELNS0_17block_load_methodE3ELS4_3ELS4_3ELNS0_20block_scan_algorithmE0ELj4294967295EEENS1_25partition_config_selectorILNS1_17partition_subalgoE4EjNS0_10empty_typeEbEEZZNS1_14partition_implILS8_4ELb0ES6_15HIP_vector_typeIjLj2EENS0_17counting_iteratorIjlEEPS9_SG_NS0_5tupleIJPjSI_NS0_16reverse_iteratorISI_EEEEENSH_IJSG_SG_SG_EEES9_SI_JZNS1_25segmented_radix_sort_implINS0_14default_configELb0EPKhPhPKlPlN2at6native12_GLOBAL__N_18offset_tEEE10hipError_tPvRmT1_PNSt15iterator_traitsIS12_E10value_typeET2_T3_PNS13_IS18_E10value_typeET4_jRbjT5_S1E_jjP12ihipStream_tbEUljE_ZNSN_ISO_Lb0ESQ_SR_ST_SU_SY_EESZ_S10_S11_S12_S16_S17_S18_S1B_S1C_jS1D_jS1E_S1E_jjS1G_bEUljE0_EEESZ_S10_S11_S18_S1C_S1E_T6_T7_T9_mT8_S1G_bDpT10_ENKUlT_T0_E_clISt17integral_constantIbLb0EES1U_EEDaS1P_S1Q_EUlS1P_E_NS1_11comp_targetILNS1_3genE8ELNS1_11target_archE1030ELNS1_3gpuE2ELNS1_3repE0EEENS1_30default_config_static_selectorELNS0_4arch9wavefront6targetE0EEEvS12_.num_vgpr, 0
	.set _ZN7rocprim17ROCPRIM_400000_NS6detail17trampoline_kernelINS0_13select_configILj256ELj13ELNS0_17block_load_methodE3ELS4_3ELS4_3ELNS0_20block_scan_algorithmE0ELj4294967295EEENS1_25partition_config_selectorILNS1_17partition_subalgoE4EjNS0_10empty_typeEbEEZZNS1_14partition_implILS8_4ELb0ES6_15HIP_vector_typeIjLj2EENS0_17counting_iteratorIjlEEPS9_SG_NS0_5tupleIJPjSI_NS0_16reverse_iteratorISI_EEEEENSH_IJSG_SG_SG_EEES9_SI_JZNS1_25segmented_radix_sort_implINS0_14default_configELb0EPKhPhPKlPlN2at6native12_GLOBAL__N_18offset_tEEE10hipError_tPvRmT1_PNSt15iterator_traitsIS12_E10value_typeET2_T3_PNS13_IS18_E10value_typeET4_jRbjT5_S1E_jjP12ihipStream_tbEUljE_ZNSN_ISO_Lb0ESQ_SR_ST_SU_SY_EESZ_S10_S11_S12_S16_S17_S18_S1B_S1C_jS1D_jS1E_S1E_jjS1G_bEUljE0_EEESZ_S10_S11_S18_S1C_S1E_T6_T7_T9_mT8_S1G_bDpT10_ENKUlT_T0_E_clISt17integral_constantIbLb0EES1U_EEDaS1P_S1Q_EUlS1P_E_NS1_11comp_targetILNS1_3genE8ELNS1_11target_archE1030ELNS1_3gpuE2ELNS1_3repE0EEENS1_30default_config_static_selectorELNS0_4arch9wavefront6targetE0EEEvS12_.num_agpr, 0
	.set _ZN7rocprim17ROCPRIM_400000_NS6detail17trampoline_kernelINS0_13select_configILj256ELj13ELNS0_17block_load_methodE3ELS4_3ELS4_3ELNS0_20block_scan_algorithmE0ELj4294967295EEENS1_25partition_config_selectorILNS1_17partition_subalgoE4EjNS0_10empty_typeEbEEZZNS1_14partition_implILS8_4ELb0ES6_15HIP_vector_typeIjLj2EENS0_17counting_iteratorIjlEEPS9_SG_NS0_5tupleIJPjSI_NS0_16reverse_iteratorISI_EEEEENSH_IJSG_SG_SG_EEES9_SI_JZNS1_25segmented_radix_sort_implINS0_14default_configELb0EPKhPhPKlPlN2at6native12_GLOBAL__N_18offset_tEEE10hipError_tPvRmT1_PNSt15iterator_traitsIS12_E10value_typeET2_T3_PNS13_IS18_E10value_typeET4_jRbjT5_S1E_jjP12ihipStream_tbEUljE_ZNSN_ISO_Lb0ESQ_SR_ST_SU_SY_EESZ_S10_S11_S12_S16_S17_S18_S1B_S1C_jS1D_jS1E_S1E_jjS1G_bEUljE0_EEESZ_S10_S11_S18_S1C_S1E_T6_T7_T9_mT8_S1G_bDpT10_ENKUlT_T0_E_clISt17integral_constantIbLb0EES1U_EEDaS1P_S1Q_EUlS1P_E_NS1_11comp_targetILNS1_3genE8ELNS1_11target_archE1030ELNS1_3gpuE2ELNS1_3repE0EEENS1_30default_config_static_selectorELNS0_4arch9wavefront6targetE0EEEvS12_.numbered_sgpr, 0
	.set _ZN7rocprim17ROCPRIM_400000_NS6detail17trampoline_kernelINS0_13select_configILj256ELj13ELNS0_17block_load_methodE3ELS4_3ELS4_3ELNS0_20block_scan_algorithmE0ELj4294967295EEENS1_25partition_config_selectorILNS1_17partition_subalgoE4EjNS0_10empty_typeEbEEZZNS1_14partition_implILS8_4ELb0ES6_15HIP_vector_typeIjLj2EENS0_17counting_iteratorIjlEEPS9_SG_NS0_5tupleIJPjSI_NS0_16reverse_iteratorISI_EEEEENSH_IJSG_SG_SG_EEES9_SI_JZNS1_25segmented_radix_sort_implINS0_14default_configELb0EPKhPhPKlPlN2at6native12_GLOBAL__N_18offset_tEEE10hipError_tPvRmT1_PNSt15iterator_traitsIS12_E10value_typeET2_T3_PNS13_IS18_E10value_typeET4_jRbjT5_S1E_jjP12ihipStream_tbEUljE_ZNSN_ISO_Lb0ESQ_SR_ST_SU_SY_EESZ_S10_S11_S12_S16_S17_S18_S1B_S1C_jS1D_jS1E_S1E_jjS1G_bEUljE0_EEESZ_S10_S11_S18_S1C_S1E_T6_T7_T9_mT8_S1G_bDpT10_ENKUlT_T0_E_clISt17integral_constantIbLb0EES1U_EEDaS1P_S1Q_EUlS1P_E_NS1_11comp_targetILNS1_3genE8ELNS1_11target_archE1030ELNS1_3gpuE2ELNS1_3repE0EEENS1_30default_config_static_selectorELNS0_4arch9wavefront6targetE0EEEvS12_.num_named_barrier, 0
	.set _ZN7rocprim17ROCPRIM_400000_NS6detail17trampoline_kernelINS0_13select_configILj256ELj13ELNS0_17block_load_methodE3ELS4_3ELS4_3ELNS0_20block_scan_algorithmE0ELj4294967295EEENS1_25partition_config_selectorILNS1_17partition_subalgoE4EjNS0_10empty_typeEbEEZZNS1_14partition_implILS8_4ELb0ES6_15HIP_vector_typeIjLj2EENS0_17counting_iteratorIjlEEPS9_SG_NS0_5tupleIJPjSI_NS0_16reverse_iteratorISI_EEEEENSH_IJSG_SG_SG_EEES9_SI_JZNS1_25segmented_radix_sort_implINS0_14default_configELb0EPKhPhPKlPlN2at6native12_GLOBAL__N_18offset_tEEE10hipError_tPvRmT1_PNSt15iterator_traitsIS12_E10value_typeET2_T3_PNS13_IS18_E10value_typeET4_jRbjT5_S1E_jjP12ihipStream_tbEUljE_ZNSN_ISO_Lb0ESQ_SR_ST_SU_SY_EESZ_S10_S11_S12_S16_S17_S18_S1B_S1C_jS1D_jS1E_S1E_jjS1G_bEUljE0_EEESZ_S10_S11_S18_S1C_S1E_T6_T7_T9_mT8_S1G_bDpT10_ENKUlT_T0_E_clISt17integral_constantIbLb0EES1U_EEDaS1P_S1Q_EUlS1P_E_NS1_11comp_targetILNS1_3genE8ELNS1_11target_archE1030ELNS1_3gpuE2ELNS1_3repE0EEENS1_30default_config_static_selectorELNS0_4arch9wavefront6targetE0EEEvS12_.private_seg_size, 0
	.set _ZN7rocprim17ROCPRIM_400000_NS6detail17trampoline_kernelINS0_13select_configILj256ELj13ELNS0_17block_load_methodE3ELS4_3ELS4_3ELNS0_20block_scan_algorithmE0ELj4294967295EEENS1_25partition_config_selectorILNS1_17partition_subalgoE4EjNS0_10empty_typeEbEEZZNS1_14partition_implILS8_4ELb0ES6_15HIP_vector_typeIjLj2EENS0_17counting_iteratorIjlEEPS9_SG_NS0_5tupleIJPjSI_NS0_16reverse_iteratorISI_EEEEENSH_IJSG_SG_SG_EEES9_SI_JZNS1_25segmented_radix_sort_implINS0_14default_configELb0EPKhPhPKlPlN2at6native12_GLOBAL__N_18offset_tEEE10hipError_tPvRmT1_PNSt15iterator_traitsIS12_E10value_typeET2_T3_PNS13_IS18_E10value_typeET4_jRbjT5_S1E_jjP12ihipStream_tbEUljE_ZNSN_ISO_Lb0ESQ_SR_ST_SU_SY_EESZ_S10_S11_S12_S16_S17_S18_S1B_S1C_jS1D_jS1E_S1E_jjS1G_bEUljE0_EEESZ_S10_S11_S18_S1C_S1E_T6_T7_T9_mT8_S1G_bDpT10_ENKUlT_T0_E_clISt17integral_constantIbLb0EES1U_EEDaS1P_S1Q_EUlS1P_E_NS1_11comp_targetILNS1_3genE8ELNS1_11target_archE1030ELNS1_3gpuE2ELNS1_3repE0EEENS1_30default_config_static_selectorELNS0_4arch9wavefront6targetE0EEEvS12_.uses_vcc, 0
	.set _ZN7rocprim17ROCPRIM_400000_NS6detail17trampoline_kernelINS0_13select_configILj256ELj13ELNS0_17block_load_methodE3ELS4_3ELS4_3ELNS0_20block_scan_algorithmE0ELj4294967295EEENS1_25partition_config_selectorILNS1_17partition_subalgoE4EjNS0_10empty_typeEbEEZZNS1_14partition_implILS8_4ELb0ES6_15HIP_vector_typeIjLj2EENS0_17counting_iteratorIjlEEPS9_SG_NS0_5tupleIJPjSI_NS0_16reverse_iteratorISI_EEEEENSH_IJSG_SG_SG_EEES9_SI_JZNS1_25segmented_radix_sort_implINS0_14default_configELb0EPKhPhPKlPlN2at6native12_GLOBAL__N_18offset_tEEE10hipError_tPvRmT1_PNSt15iterator_traitsIS12_E10value_typeET2_T3_PNS13_IS18_E10value_typeET4_jRbjT5_S1E_jjP12ihipStream_tbEUljE_ZNSN_ISO_Lb0ESQ_SR_ST_SU_SY_EESZ_S10_S11_S12_S16_S17_S18_S1B_S1C_jS1D_jS1E_S1E_jjS1G_bEUljE0_EEESZ_S10_S11_S18_S1C_S1E_T6_T7_T9_mT8_S1G_bDpT10_ENKUlT_T0_E_clISt17integral_constantIbLb0EES1U_EEDaS1P_S1Q_EUlS1P_E_NS1_11comp_targetILNS1_3genE8ELNS1_11target_archE1030ELNS1_3gpuE2ELNS1_3repE0EEENS1_30default_config_static_selectorELNS0_4arch9wavefront6targetE0EEEvS12_.uses_flat_scratch, 0
	.set _ZN7rocprim17ROCPRIM_400000_NS6detail17trampoline_kernelINS0_13select_configILj256ELj13ELNS0_17block_load_methodE3ELS4_3ELS4_3ELNS0_20block_scan_algorithmE0ELj4294967295EEENS1_25partition_config_selectorILNS1_17partition_subalgoE4EjNS0_10empty_typeEbEEZZNS1_14partition_implILS8_4ELb0ES6_15HIP_vector_typeIjLj2EENS0_17counting_iteratorIjlEEPS9_SG_NS0_5tupleIJPjSI_NS0_16reverse_iteratorISI_EEEEENSH_IJSG_SG_SG_EEES9_SI_JZNS1_25segmented_radix_sort_implINS0_14default_configELb0EPKhPhPKlPlN2at6native12_GLOBAL__N_18offset_tEEE10hipError_tPvRmT1_PNSt15iterator_traitsIS12_E10value_typeET2_T3_PNS13_IS18_E10value_typeET4_jRbjT5_S1E_jjP12ihipStream_tbEUljE_ZNSN_ISO_Lb0ESQ_SR_ST_SU_SY_EESZ_S10_S11_S12_S16_S17_S18_S1B_S1C_jS1D_jS1E_S1E_jjS1G_bEUljE0_EEESZ_S10_S11_S18_S1C_S1E_T6_T7_T9_mT8_S1G_bDpT10_ENKUlT_T0_E_clISt17integral_constantIbLb0EES1U_EEDaS1P_S1Q_EUlS1P_E_NS1_11comp_targetILNS1_3genE8ELNS1_11target_archE1030ELNS1_3gpuE2ELNS1_3repE0EEENS1_30default_config_static_selectorELNS0_4arch9wavefront6targetE0EEEvS12_.has_dyn_sized_stack, 0
	.set _ZN7rocprim17ROCPRIM_400000_NS6detail17trampoline_kernelINS0_13select_configILj256ELj13ELNS0_17block_load_methodE3ELS4_3ELS4_3ELNS0_20block_scan_algorithmE0ELj4294967295EEENS1_25partition_config_selectorILNS1_17partition_subalgoE4EjNS0_10empty_typeEbEEZZNS1_14partition_implILS8_4ELb0ES6_15HIP_vector_typeIjLj2EENS0_17counting_iteratorIjlEEPS9_SG_NS0_5tupleIJPjSI_NS0_16reverse_iteratorISI_EEEEENSH_IJSG_SG_SG_EEES9_SI_JZNS1_25segmented_radix_sort_implINS0_14default_configELb0EPKhPhPKlPlN2at6native12_GLOBAL__N_18offset_tEEE10hipError_tPvRmT1_PNSt15iterator_traitsIS12_E10value_typeET2_T3_PNS13_IS18_E10value_typeET4_jRbjT5_S1E_jjP12ihipStream_tbEUljE_ZNSN_ISO_Lb0ESQ_SR_ST_SU_SY_EESZ_S10_S11_S12_S16_S17_S18_S1B_S1C_jS1D_jS1E_S1E_jjS1G_bEUljE0_EEESZ_S10_S11_S18_S1C_S1E_T6_T7_T9_mT8_S1G_bDpT10_ENKUlT_T0_E_clISt17integral_constantIbLb0EES1U_EEDaS1P_S1Q_EUlS1P_E_NS1_11comp_targetILNS1_3genE8ELNS1_11target_archE1030ELNS1_3gpuE2ELNS1_3repE0EEENS1_30default_config_static_selectorELNS0_4arch9wavefront6targetE0EEEvS12_.has_recursion, 0
	.set _ZN7rocprim17ROCPRIM_400000_NS6detail17trampoline_kernelINS0_13select_configILj256ELj13ELNS0_17block_load_methodE3ELS4_3ELS4_3ELNS0_20block_scan_algorithmE0ELj4294967295EEENS1_25partition_config_selectorILNS1_17partition_subalgoE4EjNS0_10empty_typeEbEEZZNS1_14partition_implILS8_4ELb0ES6_15HIP_vector_typeIjLj2EENS0_17counting_iteratorIjlEEPS9_SG_NS0_5tupleIJPjSI_NS0_16reverse_iteratorISI_EEEEENSH_IJSG_SG_SG_EEES9_SI_JZNS1_25segmented_radix_sort_implINS0_14default_configELb0EPKhPhPKlPlN2at6native12_GLOBAL__N_18offset_tEEE10hipError_tPvRmT1_PNSt15iterator_traitsIS12_E10value_typeET2_T3_PNS13_IS18_E10value_typeET4_jRbjT5_S1E_jjP12ihipStream_tbEUljE_ZNSN_ISO_Lb0ESQ_SR_ST_SU_SY_EESZ_S10_S11_S12_S16_S17_S18_S1B_S1C_jS1D_jS1E_S1E_jjS1G_bEUljE0_EEESZ_S10_S11_S18_S1C_S1E_T6_T7_T9_mT8_S1G_bDpT10_ENKUlT_T0_E_clISt17integral_constantIbLb0EES1U_EEDaS1P_S1Q_EUlS1P_E_NS1_11comp_targetILNS1_3genE8ELNS1_11target_archE1030ELNS1_3gpuE2ELNS1_3repE0EEENS1_30default_config_static_selectorELNS0_4arch9wavefront6targetE0EEEvS12_.has_indirect_call, 0
	.section	.AMDGPU.csdata,"",@progbits
; Kernel info:
; codeLenInByte = 0
; TotalNumSgprs: 0
; NumVgprs: 0
; ScratchSize: 0
; MemoryBound: 0
; FloatMode: 240
; IeeeMode: 1
; LDSByteSize: 0 bytes/workgroup (compile time only)
; SGPRBlocks: 0
; VGPRBlocks: 0
; NumSGPRsForWavesPerEU: 1
; NumVGPRsForWavesPerEU: 1
; NamedBarCnt: 0
; Occupancy: 16
; WaveLimiterHint : 0
; COMPUTE_PGM_RSRC2:SCRATCH_EN: 0
; COMPUTE_PGM_RSRC2:USER_SGPR: 2
; COMPUTE_PGM_RSRC2:TRAP_HANDLER: 0
; COMPUTE_PGM_RSRC2:TGID_X_EN: 1
; COMPUTE_PGM_RSRC2:TGID_Y_EN: 0
; COMPUTE_PGM_RSRC2:TGID_Z_EN: 0
; COMPUTE_PGM_RSRC2:TIDIG_COMP_CNT: 0
	.section	.text._ZN7rocprim17ROCPRIM_400000_NS6detail17trampoline_kernelINS0_13select_configILj256ELj13ELNS0_17block_load_methodE3ELS4_3ELS4_3ELNS0_20block_scan_algorithmE0ELj4294967295EEENS1_25partition_config_selectorILNS1_17partition_subalgoE4EjNS0_10empty_typeEbEEZZNS1_14partition_implILS8_4ELb0ES6_15HIP_vector_typeIjLj2EENS0_17counting_iteratorIjlEEPS9_SG_NS0_5tupleIJPjSI_NS0_16reverse_iteratorISI_EEEEENSH_IJSG_SG_SG_EEES9_SI_JZNS1_25segmented_radix_sort_implINS0_14default_configELb0EPKhPhPKlPlN2at6native12_GLOBAL__N_18offset_tEEE10hipError_tPvRmT1_PNSt15iterator_traitsIS12_E10value_typeET2_T3_PNS13_IS18_E10value_typeET4_jRbjT5_S1E_jjP12ihipStream_tbEUljE_ZNSN_ISO_Lb0ESQ_SR_ST_SU_SY_EESZ_S10_S11_S12_S16_S17_S18_S1B_S1C_jS1D_jS1E_S1E_jjS1G_bEUljE0_EEESZ_S10_S11_S18_S1C_S1E_T6_T7_T9_mT8_S1G_bDpT10_ENKUlT_T0_E_clISt17integral_constantIbLb1EES1U_EEDaS1P_S1Q_EUlS1P_E_NS1_11comp_targetILNS1_3genE0ELNS1_11target_archE4294967295ELNS1_3gpuE0ELNS1_3repE0EEENS1_30default_config_static_selectorELNS0_4arch9wavefront6targetE0EEEvS12_,"axG",@progbits,_ZN7rocprim17ROCPRIM_400000_NS6detail17trampoline_kernelINS0_13select_configILj256ELj13ELNS0_17block_load_methodE3ELS4_3ELS4_3ELNS0_20block_scan_algorithmE0ELj4294967295EEENS1_25partition_config_selectorILNS1_17partition_subalgoE4EjNS0_10empty_typeEbEEZZNS1_14partition_implILS8_4ELb0ES6_15HIP_vector_typeIjLj2EENS0_17counting_iteratorIjlEEPS9_SG_NS0_5tupleIJPjSI_NS0_16reverse_iteratorISI_EEEEENSH_IJSG_SG_SG_EEES9_SI_JZNS1_25segmented_radix_sort_implINS0_14default_configELb0EPKhPhPKlPlN2at6native12_GLOBAL__N_18offset_tEEE10hipError_tPvRmT1_PNSt15iterator_traitsIS12_E10value_typeET2_T3_PNS13_IS18_E10value_typeET4_jRbjT5_S1E_jjP12ihipStream_tbEUljE_ZNSN_ISO_Lb0ESQ_SR_ST_SU_SY_EESZ_S10_S11_S12_S16_S17_S18_S1B_S1C_jS1D_jS1E_S1E_jjS1G_bEUljE0_EEESZ_S10_S11_S18_S1C_S1E_T6_T7_T9_mT8_S1G_bDpT10_ENKUlT_T0_E_clISt17integral_constantIbLb1EES1U_EEDaS1P_S1Q_EUlS1P_E_NS1_11comp_targetILNS1_3genE0ELNS1_11target_archE4294967295ELNS1_3gpuE0ELNS1_3repE0EEENS1_30default_config_static_selectorELNS0_4arch9wavefront6targetE0EEEvS12_,comdat
	.globl	_ZN7rocprim17ROCPRIM_400000_NS6detail17trampoline_kernelINS0_13select_configILj256ELj13ELNS0_17block_load_methodE3ELS4_3ELS4_3ELNS0_20block_scan_algorithmE0ELj4294967295EEENS1_25partition_config_selectorILNS1_17partition_subalgoE4EjNS0_10empty_typeEbEEZZNS1_14partition_implILS8_4ELb0ES6_15HIP_vector_typeIjLj2EENS0_17counting_iteratorIjlEEPS9_SG_NS0_5tupleIJPjSI_NS0_16reverse_iteratorISI_EEEEENSH_IJSG_SG_SG_EEES9_SI_JZNS1_25segmented_radix_sort_implINS0_14default_configELb0EPKhPhPKlPlN2at6native12_GLOBAL__N_18offset_tEEE10hipError_tPvRmT1_PNSt15iterator_traitsIS12_E10value_typeET2_T3_PNS13_IS18_E10value_typeET4_jRbjT5_S1E_jjP12ihipStream_tbEUljE_ZNSN_ISO_Lb0ESQ_SR_ST_SU_SY_EESZ_S10_S11_S12_S16_S17_S18_S1B_S1C_jS1D_jS1E_S1E_jjS1G_bEUljE0_EEESZ_S10_S11_S18_S1C_S1E_T6_T7_T9_mT8_S1G_bDpT10_ENKUlT_T0_E_clISt17integral_constantIbLb1EES1U_EEDaS1P_S1Q_EUlS1P_E_NS1_11comp_targetILNS1_3genE0ELNS1_11target_archE4294967295ELNS1_3gpuE0ELNS1_3repE0EEENS1_30default_config_static_selectorELNS0_4arch9wavefront6targetE0EEEvS12_ ; -- Begin function _ZN7rocprim17ROCPRIM_400000_NS6detail17trampoline_kernelINS0_13select_configILj256ELj13ELNS0_17block_load_methodE3ELS4_3ELS4_3ELNS0_20block_scan_algorithmE0ELj4294967295EEENS1_25partition_config_selectorILNS1_17partition_subalgoE4EjNS0_10empty_typeEbEEZZNS1_14partition_implILS8_4ELb0ES6_15HIP_vector_typeIjLj2EENS0_17counting_iteratorIjlEEPS9_SG_NS0_5tupleIJPjSI_NS0_16reverse_iteratorISI_EEEEENSH_IJSG_SG_SG_EEES9_SI_JZNS1_25segmented_radix_sort_implINS0_14default_configELb0EPKhPhPKlPlN2at6native12_GLOBAL__N_18offset_tEEE10hipError_tPvRmT1_PNSt15iterator_traitsIS12_E10value_typeET2_T3_PNS13_IS18_E10value_typeET4_jRbjT5_S1E_jjP12ihipStream_tbEUljE_ZNSN_ISO_Lb0ESQ_SR_ST_SU_SY_EESZ_S10_S11_S12_S16_S17_S18_S1B_S1C_jS1D_jS1E_S1E_jjS1G_bEUljE0_EEESZ_S10_S11_S18_S1C_S1E_T6_T7_T9_mT8_S1G_bDpT10_ENKUlT_T0_E_clISt17integral_constantIbLb1EES1U_EEDaS1P_S1Q_EUlS1P_E_NS1_11comp_targetILNS1_3genE0ELNS1_11target_archE4294967295ELNS1_3gpuE0ELNS1_3repE0EEENS1_30default_config_static_selectorELNS0_4arch9wavefront6targetE0EEEvS12_
	.p2align	8
	.type	_ZN7rocprim17ROCPRIM_400000_NS6detail17trampoline_kernelINS0_13select_configILj256ELj13ELNS0_17block_load_methodE3ELS4_3ELS4_3ELNS0_20block_scan_algorithmE0ELj4294967295EEENS1_25partition_config_selectorILNS1_17partition_subalgoE4EjNS0_10empty_typeEbEEZZNS1_14partition_implILS8_4ELb0ES6_15HIP_vector_typeIjLj2EENS0_17counting_iteratorIjlEEPS9_SG_NS0_5tupleIJPjSI_NS0_16reverse_iteratorISI_EEEEENSH_IJSG_SG_SG_EEES9_SI_JZNS1_25segmented_radix_sort_implINS0_14default_configELb0EPKhPhPKlPlN2at6native12_GLOBAL__N_18offset_tEEE10hipError_tPvRmT1_PNSt15iterator_traitsIS12_E10value_typeET2_T3_PNS13_IS18_E10value_typeET4_jRbjT5_S1E_jjP12ihipStream_tbEUljE_ZNSN_ISO_Lb0ESQ_SR_ST_SU_SY_EESZ_S10_S11_S12_S16_S17_S18_S1B_S1C_jS1D_jS1E_S1E_jjS1G_bEUljE0_EEESZ_S10_S11_S18_S1C_S1E_T6_T7_T9_mT8_S1G_bDpT10_ENKUlT_T0_E_clISt17integral_constantIbLb1EES1U_EEDaS1P_S1Q_EUlS1P_E_NS1_11comp_targetILNS1_3genE0ELNS1_11target_archE4294967295ELNS1_3gpuE0ELNS1_3repE0EEENS1_30default_config_static_selectorELNS0_4arch9wavefront6targetE0EEEvS12_,@function
_ZN7rocprim17ROCPRIM_400000_NS6detail17trampoline_kernelINS0_13select_configILj256ELj13ELNS0_17block_load_methodE3ELS4_3ELS4_3ELNS0_20block_scan_algorithmE0ELj4294967295EEENS1_25partition_config_selectorILNS1_17partition_subalgoE4EjNS0_10empty_typeEbEEZZNS1_14partition_implILS8_4ELb0ES6_15HIP_vector_typeIjLj2EENS0_17counting_iteratorIjlEEPS9_SG_NS0_5tupleIJPjSI_NS0_16reverse_iteratorISI_EEEEENSH_IJSG_SG_SG_EEES9_SI_JZNS1_25segmented_radix_sort_implINS0_14default_configELb0EPKhPhPKlPlN2at6native12_GLOBAL__N_18offset_tEEE10hipError_tPvRmT1_PNSt15iterator_traitsIS12_E10value_typeET2_T3_PNS13_IS18_E10value_typeET4_jRbjT5_S1E_jjP12ihipStream_tbEUljE_ZNSN_ISO_Lb0ESQ_SR_ST_SU_SY_EESZ_S10_S11_S12_S16_S17_S18_S1B_S1C_jS1D_jS1E_S1E_jjS1G_bEUljE0_EEESZ_S10_S11_S18_S1C_S1E_T6_T7_T9_mT8_S1G_bDpT10_ENKUlT_T0_E_clISt17integral_constantIbLb1EES1U_EEDaS1P_S1Q_EUlS1P_E_NS1_11comp_targetILNS1_3genE0ELNS1_11target_archE4294967295ELNS1_3gpuE0ELNS1_3repE0EEENS1_30default_config_static_selectorELNS0_4arch9wavefront6targetE0EEEvS12_: ; @_ZN7rocprim17ROCPRIM_400000_NS6detail17trampoline_kernelINS0_13select_configILj256ELj13ELNS0_17block_load_methodE3ELS4_3ELS4_3ELNS0_20block_scan_algorithmE0ELj4294967295EEENS1_25partition_config_selectorILNS1_17partition_subalgoE4EjNS0_10empty_typeEbEEZZNS1_14partition_implILS8_4ELb0ES6_15HIP_vector_typeIjLj2EENS0_17counting_iteratorIjlEEPS9_SG_NS0_5tupleIJPjSI_NS0_16reverse_iteratorISI_EEEEENSH_IJSG_SG_SG_EEES9_SI_JZNS1_25segmented_radix_sort_implINS0_14default_configELb0EPKhPhPKlPlN2at6native12_GLOBAL__N_18offset_tEEE10hipError_tPvRmT1_PNSt15iterator_traitsIS12_E10value_typeET2_T3_PNS13_IS18_E10value_typeET4_jRbjT5_S1E_jjP12ihipStream_tbEUljE_ZNSN_ISO_Lb0ESQ_SR_ST_SU_SY_EESZ_S10_S11_S12_S16_S17_S18_S1B_S1C_jS1D_jS1E_S1E_jjS1G_bEUljE0_EEESZ_S10_S11_S18_S1C_S1E_T6_T7_T9_mT8_S1G_bDpT10_ENKUlT_T0_E_clISt17integral_constantIbLb1EES1U_EEDaS1P_S1Q_EUlS1P_E_NS1_11comp_targetILNS1_3genE0ELNS1_11target_archE4294967295ELNS1_3gpuE0ELNS1_3repE0EEENS1_30default_config_static_selectorELNS0_4arch9wavefront6targetE0EEEvS12_
; %bb.0:
	s_endpgm
	.section	.rodata,"a",@progbits
	.p2align	6, 0x0
	.amdhsa_kernel _ZN7rocprim17ROCPRIM_400000_NS6detail17trampoline_kernelINS0_13select_configILj256ELj13ELNS0_17block_load_methodE3ELS4_3ELS4_3ELNS0_20block_scan_algorithmE0ELj4294967295EEENS1_25partition_config_selectorILNS1_17partition_subalgoE4EjNS0_10empty_typeEbEEZZNS1_14partition_implILS8_4ELb0ES6_15HIP_vector_typeIjLj2EENS0_17counting_iteratorIjlEEPS9_SG_NS0_5tupleIJPjSI_NS0_16reverse_iteratorISI_EEEEENSH_IJSG_SG_SG_EEES9_SI_JZNS1_25segmented_radix_sort_implINS0_14default_configELb0EPKhPhPKlPlN2at6native12_GLOBAL__N_18offset_tEEE10hipError_tPvRmT1_PNSt15iterator_traitsIS12_E10value_typeET2_T3_PNS13_IS18_E10value_typeET4_jRbjT5_S1E_jjP12ihipStream_tbEUljE_ZNSN_ISO_Lb0ESQ_SR_ST_SU_SY_EESZ_S10_S11_S12_S16_S17_S18_S1B_S1C_jS1D_jS1E_S1E_jjS1G_bEUljE0_EEESZ_S10_S11_S18_S1C_S1E_T6_T7_T9_mT8_S1G_bDpT10_ENKUlT_T0_E_clISt17integral_constantIbLb1EES1U_EEDaS1P_S1Q_EUlS1P_E_NS1_11comp_targetILNS1_3genE0ELNS1_11target_archE4294967295ELNS1_3gpuE0ELNS1_3repE0EEENS1_30default_config_static_selectorELNS0_4arch9wavefront6targetE0EEEvS12_
		.amdhsa_group_segment_fixed_size 0
		.amdhsa_private_segment_fixed_size 0
		.amdhsa_kernarg_size 184
		.amdhsa_user_sgpr_count 2
		.amdhsa_user_sgpr_dispatch_ptr 0
		.amdhsa_user_sgpr_queue_ptr 0
		.amdhsa_user_sgpr_kernarg_segment_ptr 1
		.amdhsa_user_sgpr_dispatch_id 0
		.amdhsa_user_sgpr_kernarg_preload_length 0
		.amdhsa_user_sgpr_kernarg_preload_offset 0
		.amdhsa_user_sgpr_private_segment_size 0
		.amdhsa_wavefront_size32 1
		.amdhsa_uses_dynamic_stack 0
		.amdhsa_enable_private_segment 0
		.amdhsa_system_sgpr_workgroup_id_x 1
		.amdhsa_system_sgpr_workgroup_id_y 0
		.amdhsa_system_sgpr_workgroup_id_z 0
		.amdhsa_system_sgpr_workgroup_info 0
		.amdhsa_system_vgpr_workitem_id 0
		.amdhsa_next_free_vgpr 1
		.amdhsa_next_free_sgpr 1
		.amdhsa_named_barrier_count 0
		.amdhsa_reserve_vcc 0
		.amdhsa_float_round_mode_32 0
		.amdhsa_float_round_mode_16_64 0
		.amdhsa_float_denorm_mode_32 3
		.amdhsa_float_denorm_mode_16_64 3
		.amdhsa_fp16_overflow 0
		.amdhsa_memory_ordered 1
		.amdhsa_forward_progress 1
		.amdhsa_inst_pref_size 1
		.amdhsa_round_robin_scheduling 0
		.amdhsa_exception_fp_ieee_invalid_op 0
		.amdhsa_exception_fp_denorm_src 0
		.amdhsa_exception_fp_ieee_div_zero 0
		.amdhsa_exception_fp_ieee_overflow 0
		.amdhsa_exception_fp_ieee_underflow 0
		.amdhsa_exception_fp_ieee_inexact 0
		.amdhsa_exception_int_div_zero 0
	.end_amdhsa_kernel
	.section	.text._ZN7rocprim17ROCPRIM_400000_NS6detail17trampoline_kernelINS0_13select_configILj256ELj13ELNS0_17block_load_methodE3ELS4_3ELS4_3ELNS0_20block_scan_algorithmE0ELj4294967295EEENS1_25partition_config_selectorILNS1_17partition_subalgoE4EjNS0_10empty_typeEbEEZZNS1_14partition_implILS8_4ELb0ES6_15HIP_vector_typeIjLj2EENS0_17counting_iteratorIjlEEPS9_SG_NS0_5tupleIJPjSI_NS0_16reverse_iteratorISI_EEEEENSH_IJSG_SG_SG_EEES9_SI_JZNS1_25segmented_radix_sort_implINS0_14default_configELb0EPKhPhPKlPlN2at6native12_GLOBAL__N_18offset_tEEE10hipError_tPvRmT1_PNSt15iterator_traitsIS12_E10value_typeET2_T3_PNS13_IS18_E10value_typeET4_jRbjT5_S1E_jjP12ihipStream_tbEUljE_ZNSN_ISO_Lb0ESQ_SR_ST_SU_SY_EESZ_S10_S11_S12_S16_S17_S18_S1B_S1C_jS1D_jS1E_S1E_jjS1G_bEUljE0_EEESZ_S10_S11_S18_S1C_S1E_T6_T7_T9_mT8_S1G_bDpT10_ENKUlT_T0_E_clISt17integral_constantIbLb1EES1U_EEDaS1P_S1Q_EUlS1P_E_NS1_11comp_targetILNS1_3genE0ELNS1_11target_archE4294967295ELNS1_3gpuE0ELNS1_3repE0EEENS1_30default_config_static_selectorELNS0_4arch9wavefront6targetE0EEEvS12_,"axG",@progbits,_ZN7rocprim17ROCPRIM_400000_NS6detail17trampoline_kernelINS0_13select_configILj256ELj13ELNS0_17block_load_methodE3ELS4_3ELS4_3ELNS0_20block_scan_algorithmE0ELj4294967295EEENS1_25partition_config_selectorILNS1_17partition_subalgoE4EjNS0_10empty_typeEbEEZZNS1_14partition_implILS8_4ELb0ES6_15HIP_vector_typeIjLj2EENS0_17counting_iteratorIjlEEPS9_SG_NS0_5tupleIJPjSI_NS0_16reverse_iteratorISI_EEEEENSH_IJSG_SG_SG_EEES9_SI_JZNS1_25segmented_radix_sort_implINS0_14default_configELb0EPKhPhPKlPlN2at6native12_GLOBAL__N_18offset_tEEE10hipError_tPvRmT1_PNSt15iterator_traitsIS12_E10value_typeET2_T3_PNS13_IS18_E10value_typeET4_jRbjT5_S1E_jjP12ihipStream_tbEUljE_ZNSN_ISO_Lb0ESQ_SR_ST_SU_SY_EESZ_S10_S11_S12_S16_S17_S18_S1B_S1C_jS1D_jS1E_S1E_jjS1G_bEUljE0_EEESZ_S10_S11_S18_S1C_S1E_T6_T7_T9_mT8_S1G_bDpT10_ENKUlT_T0_E_clISt17integral_constantIbLb1EES1U_EEDaS1P_S1Q_EUlS1P_E_NS1_11comp_targetILNS1_3genE0ELNS1_11target_archE4294967295ELNS1_3gpuE0ELNS1_3repE0EEENS1_30default_config_static_selectorELNS0_4arch9wavefront6targetE0EEEvS12_,comdat
.Lfunc_end129:
	.size	_ZN7rocprim17ROCPRIM_400000_NS6detail17trampoline_kernelINS0_13select_configILj256ELj13ELNS0_17block_load_methodE3ELS4_3ELS4_3ELNS0_20block_scan_algorithmE0ELj4294967295EEENS1_25partition_config_selectorILNS1_17partition_subalgoE4EjNS0_10empty_typeEbEEZZNS1_14partition_implILS8_4ELb0ES6_15HIP_vector_typeIjLj2EENS0_17counting_iteratorIjlEEPS9_SG_NS0_5tupleIJPjSI_NS0_16reverse_iteratorISI_EEEEENSH_IJSG_SG_SG_EEES9_SI_JZNS1_25segmented_radix_sort_implINS0_14default_configELb0EPKhPhPKlPlN2at6native12_GLOBAL__N_18offset_tEEE10hipError_tPvRmT1_PNSt15iterator_traitsIS12_E10value_typeET2_T3_PNS13_IS18_E10value_typeET4_jRbjT5_S1E_jjP12ihipStream_tbEUljE_ZNSN_ISO_Lb0ESQ_SR_ST_SU_SY_EESZ_S10_S11_S12_S16_S17_S18_S1B_S1C_jS1D_jS1E_S1E_jjS1G_bEUljE0_EEESZ_S10_S11_S18_S1C_S1E_T6_T7_T9_mT8_S1G_bDpT10_ENKUlT_T0_E_clISt17integral_constantIbLb1EES1U_EEDaS1P_S1Q_EUlS1P_E_NS1_11comp_targetILNS1_3genE0ELNS1_11target_archE4294967295ELNS1_3gpuE0ELNS1_3repE0EEENS1_30default_config_static_selectorELNS0_4arch9wavefront6targetE0EEEvS12_, .Lfunc_end129-_ZN7rocprim17ROCPRIM_400000_NS6detail17trampoline_kernelINS0_13select_configILj256ELj13ELNS0_17block_load_methodE3ELS4_3ELS4_3ELNS0_20block_scan_algorithmE0ELj4294967295EEENS1_25partition_config_selectorILNS1_17partition_subalgoE4EjNS0_10empty_typeEbEEZZNS1_14partition_implILS8_4ELb0ES6_15HIP_vector_typeIjLj2EENS0_17counting_iteratorIjlEEPS9_SG_NS0_5tupleIJPjSI_NS0_16reverse_iteratorISI_EEEEENSH_IJSG_SG_SG_EEES9_SI_JZNS1_25segmented_radix_sort_implINS0_14default_configELb0EPKhPhPKlPlN2at6native12_GLOBAL__N_18offset_tEEE10hipError_tPvRmT1_PNSt15iterator_traitsIS12_E10value_typeET2_T3_PNS13_IS18_E10value_typeET4_jRbjT5_S1E_jjP12ihipStream_tbEUljE_ZNSN_ISO_Lb0ESQ_SR_ST_SU_SY_EESZ_S10_S11_S12_S16_S17_S18_S1B_S1C_jS1D_jS1E_S1E_jjS1G_bEUljE0_EEESZ_S10_S11_S18_S1C_S1E_T6_T7_T9_mT8_S1G_bDpT10_ENKUlT_T0_E_clISt17integral_constantIbLb1EES1U_EEDaS1P_S1Q_EUlS1P_E_NS1_11comp_targetILNS1_3genE0ELNS1_11target_archE4294967295ELNS1_3gpuE0ELNS1_3repE0EEENS1_30default_config_static_selectorELNS0_4arch9wavefront6targetE0EEEvS12_
                                        ; -- End function
	.set _ZN7rocprim17ROCPRIM_400000_NS6detail17trampoline_kernelINS0_13select_configILj256ELj13ELNS0_17block_load_methodE3ELS4_3ELS4_3ELNS0_20block_scan_algorithmE0ELj4294967295EEENS1_25partition_config_selectorILNS1_17partition_subalgoE4EjNS0_10empty_typeEbEEZZNS1_14partition_implILS8_4ELb0ES6_15HIP_vector_typeIjLj2EENS0_17counting_iteratorIjlEEPS9_SG_NS0_5tupleIJPjSI_NS0_16reverse_iteratorISI_EEEEENSH_IJSG_SG_SG_EEES9_SI_JZNS1_25segmented_radix_sort_implINS0_14default_configELb0EPKhPhPKlPlN2at6native12_GLOBAL__N_18offset_tEEE10hipError_tPvRmT1_PNSt15iterator_traitsIS12_E10value_typeET2_T3_PNS13_IS18_E10value_typeET4_jRbjT5_S1E_jjP12ihipStream_tbEUljE_ZNSN_ISO_Lb0ESQ_SR_ST_SU_SY_EESZ_S10_S11_S12_S16_S17_S18_S1B_S1C_jS1D_jS1E_S1E_jjS1G_bEUljE0_EEESZ_S10_S11_S18_S1C_S1E_T6_T7_T9_mT8_S1G_bDpT10_ENKUlT_T0_E_clISt17integral_constantIbLb1EES1U_EEDaS1P_S1Q_EUlS1P_E_NS1_11comp_targetILNS1_3genE0ELNS1_11target_archE4294967295ELNS1_3gpuE0ELNS1_3repE0EEENS1_30default_config_static_selectorELNS0_4arch9wavefront6targetE0EEEvS12_.num_vgpr, 0
	.set _ZN7rocprim17ROCPRIM_400000_NS6detail17trampoline_kernelINS0_13select_configILj256ELj13ELNS0_17block_load_methodE3ELS4_3ELS4_3ELNS0_20block_scan_algorithmE0ELj4294967295EEENS1_25partition_config_selectorILNS1_17partition_subalgoE4EjNS0_10empty_typeEbEEZZNS1_14partition_implILS8_4ELb0ES6_15HIP_vector_typeIjLj2EENS0_17counting_iteratorIjlEEPS9_SG_NS0_5tupleIJPjSI_NS0_16reverse_iteratorISI_EEEEENSH_IJSG_SG_SG_EEES9_SI_JZNS1_25segmented_radix_sort_implINS0_14default_configELb0EPKhPhPKlPlN2at6native12_GLOBAL__N_18offset_tEEE10hipError_tPvRmT1_PNSt15iterator_traitsIS12_E10value_typeET2_T3_PNS13_IS18_E10value_typeET4_jRbjT5_S1E_jjP12ihipStream_tbEUljE_ZNSN_ISO_Lb0ESQ_SR_ST_SU_SY_EESZ_S10_S11_S12_S16_S17_S18_S1B_S1C_jS1D_jS1E_S1E_jjS1G_bEUljE0_EEESZ_S10_S11_S18_S1C_S1E_T6_T7_T9_mT8_S1G_bDpT10_ENKUlT_T0_E_clISt17integral_constantIbLb1EES1U_EEDaS1P_S1Q_EUlS1P_E_NS1_11comp_targetILNS1_3genE0ELNS1_11target_archE4294967295ELNS1_3gpuE0ELNS1_3repE0EEENS1_30default_config_static_selectorELNS0_4arch9wavefront6targetE0EEEvS12_.num_agpr, 0
	.set _ZN7rocprim17ROCPRIM_400000_NS6detail17trampoline_kernelINS0_13select_configILj256ELj13ELNS0_17block_load_methodE3ELS4_3ELS4_3ELNS0_20block_scan_algorithmE0ELj4294967295EEENS1_25partition_config_selectorILNS1_17partition_subalgoE4EjNS0_10empty_typeEbEEZZNS1_14partition_implILS8_4ELb0ES6_15HIP_vector_typeIjLj2EENS0_17counting_iteratorIjlEEPS9_SG_NS0_5tupleIJPjSI_NS0_16reverse_iteratorISI_EEEEENSH_IJSG_SG_SG_EEES9_SI_JZNS1_25segmented_radix_sort_implINS0_14default_configELb0EPKhPhPKlPlN2at6native12_GLOBAL__N_18offset_tEEE10hipError_tPvRmT1_PNSt15iterator_traitsIS12_E10value_typeET2_T3_PNS13_IS18_E10value_typeET4_jRbjT5_S1E_jjP12ihipStream_tbEUljE_ZNSN_ISO_Lb0ESQ_SR_ST_SU_SY_EESZ_S10_S11_S12_S16_S17_S18_S1B_S1C_jS1D_jS1E_S1E_jjS1G_bEUljE0_EEESZ_S10_S11_S18_S1C_S1E_T6_T7_T9_mT8_S1G_bDpT10_ENKUlT_T0_E_clISt17integral_constantIbLb1EES1U_EEDaS1P_S1Q_EUlS1P_E_NS1_11comp_targetILNS1_3genE0ELNS1_11target_archE4294967295ELNS1_3gpuE0ELNS1_3repE0EEENS1_30default_config_static_selectorELNS0_4arch9wavefront6targetE0EEEvS12_.numbered_sgpr, 0
	.set _ZN7rocprim17ROCPRIM_400000_NS6detail17trampoline_kernelINS0_13select_configILj256ELj13ELNS0_17block_load_methodE3ELS4_3ELS4_3ELNS0_20block_scan_algorithmE0ELj4294967295EEENS1_25partition_config_selectorILNS1_17partition_subalgoE4EjNS0_10empty_typeEbEEZZNS1_14partition_implILS8_4ELb0ES6_15HIP_vector_typeIjLj2EENS0_17counting_iteratorIjlEEPS9_SG_NS0_5tupleIJPjSI_NS0_16reverse_iteratorISI_EEEEENSH_IJSG_SG_SG_EEES9_SI_JZNS1_25segmented_radix_sort_implINS0_14default_configELb0EPKhPhPKlPlN2at6native12_GLOBAL__N_18offset_tEEE10hipError_tPvRmT1_PNSt15iterator_traitsIS12_E10value_typeET2_T3_PNS13_IS18_E10value_typeET4_jRbjT5_S1E_jjP12ihipStream_tbEUljE_ZNSN_ISO_Lb0ESQ_SR_ST_SU_SY_EESZ_S10_S11_S12_S16_S17_S18_S1B_S1C_jS1D_jS1E_S1E_jjS1G_bEUljE0_EEESZ_S10_S11_S18_S1C_S1E_T6_T7_T9_mT8_S1G_bDpT10_ENKUlT_T0_E_clISt17integral_constantIbLb1EES1U_EEDaS1P_S1Q_EUlS1P_E_NS1_11comp_targetILNS1_3genE0ELNS1_11target_archE4294967295ELNS1_3gpuE0ELNS1_3repE0EEENS1_30default_config_static_selectorELNS0_4arch9wavefront6targetE0EEEvS12_.num_named_barrier, 0
	.set _ZN7rocprim17ROCPRIM_400000_NS6detail17trampoline_kernelINS0_13select_configILj256ELj13ELNS0_17block_load_methodE3ELS4_3ELS4_3ELNS0_20block_scan_algorithmE0ELj4294967295EEENS1_25partition_config_selectorILNS1_17partition_subalgoE4EjNS0_10empty_typeEbEEZZNS1_14partition_implILS8_4ELb0ES6_15HIP_vector_typeIjLj2EENS0_17counting_iteratorIjlEEPS9_SG_NS0_5tupleIJPjSI_NS0_16reverse_iteratorISI_EEEEENSH_IJSG_SG_SG_EEES9_SI_JZNS1_25segmented_radix_sort_implINS0_14default_configELb0EPKhPhPKlPlN2at6native12_GLOBAL__N_18offset_tEEE10hipError_tPvRmT1_PNSt15iterator_traitsIS12_E10value_typeET2_T3_PNS13_IS18_E10value_typeET4_jRbjT5_S1E_jjP12ihipStream_tbEUljE_ZNSN_ISO_Lb0ESQ_SR_ST_SU_SY_EESZ_S10_S11_S12_S16_S17_S18_S1B_S1C_jS1D_jS1E_S1E_jjS1G_bEUljE0_EEESZ_S10_S11_S18_S1C_S1E_T6_T7_T9_mT8_S1G_bDpT10_ENKUlT_T0_E_clISt17integral_constantIbLb1EES1U_EEDaS1P_S1Q_EUlS1P_E_NS1_11comp_targetILNS1_3genE0ELNS1_11target_archE4294967295ELNS1_3gpuE0ELNS1_3repE0EEENS1_30default_config_static_selectorELNS0_4arch9wavefront6targetE0EEEvS12_.private_seg_size, 0
	.set _ZN7rocprim17ROCPRIM_400000_NS6detail17trampoline_kernelINS0_13select_configILj256ELj13ELNS0_17block_load_methodE3ELS4_3ELS4_3ELNS0_20block_scan_algorithmE0ELj4294967295EEENS1_25partition_config_selectorILNS1_17partition_subalgoE4EjNS0_10empty_typeEbEEZZNS1_14partition_implILS8_4ELb0ES6_15HIP_vector_typeIjLj2EENS0_17counting_iteratorIjlEEPS9_SG_NS0_5tupleIJPjSI_NS0_16reverse_iteratorISI_EEEEENSH_IJSG_SG_SG_EEES9_SI_JZNS1_25segmented_radix_sort_implINS0_14default_configELb0EPKhPhPKlPlN2at6native12_GLOBAL__N_18offset_tEEE10hipError_tPvRmT1_PNSt15iterator_traitsIS12_E10value_typeET2_T3_PNS13_IS18_E10value_typeET4_jRbjT5_S1E_jjP12ihipStream_tbEUljE_ZNSN_ISO_Lb0ESQ_SR_ST_SU_SY_EESZ_S10_S11_S12_S16_S17_S18_S1B_S1C_jS1D_jS1E_S1E_jjS1G_bEUljE0_EEESZ_S10_S11_S18_S1C_S1E_T6_T7_T9_mT8_S1G_bDpT10_ENKUlT_T0_E_clISt17integral_constantIbLb1EES1U_EEDaS1P_S1Q_EUlS1P_E_NS1_11comp_targetILNS1_3genE0ELNS1_11target_archE4294967295ELNS1_3gpuE0ELNS1_3repE0EEENS1_30default_config_static_selectorELNS0_4arch9wavefront6targetE0EEEvS12_.uses_vcc, 0
	.set _ZN7rocprim17ROCPRIM_400000_NS6detail17trampoline_kernelINS0_13select_configILj256ELj13ELNS0_17block_load_methodE3ELS4_3ELS4_3ELNS0_20block_scan_algorithmE0ELj4294967295EEENS1_25partition_config_selectorILNS1_17partition_subalgoE4EjNS0_10empty_typeEbEEZZNS1_14partition_implILS8_4ELb0ES6_15HIP_vector_typeIjLj2EENS0_17counting_iteratorIjlEEPS9_SG_NS0_5tupleIJPjSI_NS0_16reverse_iteratorISI_EEEEENSH_IJSG_SG_SG_EEES9_SI_JZNS1_25segmented_radix_sort_implINS0_14default_configELb0EPKhPhPKlPlN2at6native12_GLOBAL__N_18offset_tEEE10hipError_tPvRmT1_PNSt15iterator_traitsIS12_E10value_typeET2_T3_PNS13_IS18_E10value_typeET4_jRbjT5_S1E_jjP12ihipStream_tbEUljE_ZNSN_ISO_Lb0ESQ_SR_ST_SU_SY_EESZ_S10_S11_S12_S16_S17_S18_S1B_S1C_jS1D_jS1E_S1E_jjS1G_bEUljE0_EEESZ_S10_S11_S18_S1C_S1E_T6_T7_T9_mT8_S1G_bDpT10_ENKUlT_T0_E_clISt17integral_constantIbLb1EES1U_EEDaS1P_S1Q_EUlS1P_E_NS1_11comp_targetILNS1_3genE0ELNS1_11target_archE4294967295ELNS1_3gpuE0ELNS1_3repE0EEENS1_30default_config_static_selectorELNS0_4arch9wavefront6targetE0EEEvS12_.uses_flat_scratch, 0
	.set _ZN7rocprim17ROCPRIM_400000_NS6detail17trampoline_kernelINS0_13select_configILj256ELj13ELNS0_17block_load_methodE3ELS4_3ELS4_3ELNS0_20block_scan_algorithmE0ELj4294967295EEENS1_25partition_config_selectorILNS1_17partition_subalgoE4EjNS0_10empty_typeEbEEZZNS1_14partition_implILS8_4ELb0ES6_15HIP_vector_typeIjLj2EENS0_17counting_iteratorIjlEEPS9_SG_NS0_5tupleIJPjSI_NS0_16reverse_iteratorISI_EEEEENSH_IJSG_SG_SG_EEES9_SI_JZNS1_25segmented_radix_sort_implINS0_14default_configELb0EPKhPhPKlPlN2at6native12_GLOBAL__N_18offset_tEEE10hipError_tPvRmT1_PNSt15iterator_traitsIS12_E10value_typeET2_T3_PNS13_IS18_E10value_typeET4_jRbjT5_S1E_jjP12ihipStream_tbEUljE_ZNSN_ISO_Lb0ESQ_SR_ST_SU_SY_EESZ_S10_S11_S12_S16_S17_S18_S1B_S1C_jS1D_jS1E_S1E_jjS1G_bEUljE0_EEESZ_S10_S11_S18_S1C_S1E_T6_T7_T9_mT8_S1G_bDpT10_ENKUlT_T0_E_clISt17integral_constantIbLb1EES1U_EEDaS1P_S1Q_EUlS1P_E_NS1_11comp_targetILNS1_3genE0ELNS1_11target_archE4294967295ELNS1_3gpuE0ELNS1_3repE0EEENS1_30default_config_static_selectorELNS0_4arch9wavefront6targetE0EEEvS12_.has_dyn_sized_stack, 0
	.set _ZN7rocprim17ROCPRIM_400000_NS6detail17trampoline_kernelINS0_13select_configILj256ELj13ELNS0_17block_load_methodE3ELS4_3ELS4_3ELNS0_20block_scan_algorithmE0ELj4294967295EEENS1_25partition_config_selectorILNS1_17partition_subalgoE4EjNS0_10empty_typeEbEEZZNS1_14partition_implILS8_4ELb0ES6_15HIP_vector_typeIjLj2EENS0_17counting_iteratorIjlEEPS9_SG_NS0_5tupleIJPjSI_NS0_16reverse_iteratorISI_EEEEENSH_IJSG_SG_SG_EEES9_SI_JZNS1_25segmented_radix_sort_implINS0_14default_configELb0EPKhPhPKlPlN2at6native12_GLOBAL__N_18offset_tEEE10hipError_tPvRmT1_PNSt15iterator_traitsIS12_E10value_typeET2_T3_PNS13_IS18_E10value_typeET4_jRbjT5_S1E_jjP12ihipStream_tbEUljE_ZNSN_ISO_Lb0ESQ_SR_ST_SU_SY_EESZ_S10_S11_S12_S16_S17_S18_S1B_S1C_jS1D_jS1E_S1E_jjS1G_bEUljE0_EEESZ_S10_S11_S18_S1C_S1E_T6_T7_T9_mT8_S1G_bDpT10_ENKUlT_T0_E_clISt17integral_constantIbLb1EES1U_EEDaS1P_S1Q_EUlS1P_E_NS1_11comp_targetILNS1_3genE0ELNS1_11target_archE4294967295ELNS1_3gpuE0ELNS1_3repE0EEENS1_30default_config_static_selectorELNS0_4arch9wavefront6targetE0EEEvS12_.has_recursion, 0
	.set _ZN7rocprim17ROCPRIM_400000_NS6detail17trampoline_kernelINS0_13select_configILj256ELj13ELNS0_17block_load_methodE3ELS4_3ELS4_3ELNS0_20block_scan_algorithmE0ELj4294967295EEENS1_25partition_config_selectorILNS1_17partition_subalgoE4EjNS0_10empty_typeEbEEZZNS1_14partition_implILS8_4ELb0ES6_15HIP_vector_typeIjLj2EENS0_17counting_iteratorIjlEEPS9_SG_NS0_5tupleIJPjSI_NS0_16reverse_iteratorISI_EEEEENSH_IJSG_SG_SG_EEES9_SI_JZNS1_25segmented_radix_sort_implINS0_14default_configELb0EPKhPhPKlPlN2at6native12_GLOBAL__N_18offset_tEEE10hipError_tPvRmT1_PNSt15iterator_traitsIS12_E10value_typeET2_T3_PNS13_IS18_E10value_typeET4_jRbjT5_S1E_jjP12ihipStream_tbEUljE_ZNSN_ISO_Lb0ESQ_SR_ST_SU_SY_EESZ_S10_S11_S12_S16_S17_S18_S1B_S1C_jS1D_jS1E_S1E_jjS1G_bEUljE0_EEESZ_S10_S11_S18_S1C_S1E_T6_T7_T9_mT8_S1G_bDpT10_ENKUlT_T0_E_clISt17integral_constantIbLb1EES1U_EEDaS1P_S1Q_EUlS1P_E_NS1_11comp_targetILNS1_3genE0ELNS1_11target_archE4294967295ELNS1_3gpuE0ELNS1_3repE0EEENS1_30default_config_static_selectorELNS0_4arch9wavefront6targetE0EEEvS12_.has_indirect_call, 0
	.section	.AMDGPU.csdata,"",@progbits
; Kernel info:
; codeLenInByte = 4
; TotalNumSgprs: 0
; NumVgprs: 0
; ScratchSize: 0
; MemoryBound: 0
; FloatMode: 240
; IeeeMode: 1
; LDSByteSize: 0 bytes/workgroup (compile time only)
; SGPRBlocks: 0
; VGPRBlocks: 0
; NumSGPRsForWavesPerEU: 1
; NumVGPRsForWavesPerEU: 1
; NamedBarCnt: 0
; Occupancy: 16
; WaveLimiterHint : 0
; COMPUTE_PGM_RSRC2:SCRATCH_EN: 0
; COMPUTE_PGM_RSRC2:USER_SGPR: 2
; COMPUTE_PGM_RSRC2:TRAP_HANDLER: 0
; COMPUTE_PGM_RSRC2:TGID_X_EN: 1
; COMPUTE_PGM_RSRC2:TGID_Y_EN: 0
; COMPUTE_PGM_RSRC2:TGID_Z_EN: 0
; COMPUTE_PGM_RSRC2:TIDIG_COMP_CNT: 0
	.section	.text._ZN7rocprim17ROCPRIM_400000_NS6detail17trampoline_kernelINS0_13select_configILj256ELj13ELNS0_17block_load_methodE3ELS4_3ELS4_3ELNS0_20block_scan_algorithmE0ELj4294967295EEENS1_25partition_config_selectorILNS1_17partition_subalgoE4EjNS0_10empty_typeEbEEZZNS1_14partition_implILS8_4ELb0ES6_15HIP_vector_typeIjLj2EENS0_17counting_iteratorIjlEEPS9_SG_NS0_5tupleIJPjSI_NS0_16reverse_iteratorISI_EEEEENSH_IJSG_SG_SG_EEES9_SI_JZNS1_25segmented_radix_sort_implINS0_14default_configELb0EPKhPhPKlPlN2at6native12_GLOBAL__N_18offset_tEEE10hipError_tPvRmT1_PNSt15iterator_traitsIS12_E10value_typeET2_T3_PNS13_IS18_E10value_typeET4_jRbjT5_S1E_jjP12ihipStream_tbEUljE_ZNSN_ISO_Lb0ESQ_SR_ST_SU_SY_EESZ_S10_S11_S12_S16_S17_S18_S1B_S1C_jS1D_jS1E_S1E_jjS1G_bEUljE0_EEESZ_S10_S11_S18_S1C_S1E_T6_T7_T9_mT8_S1G_bDpT10_ENKUlT_T0_E_clISt17integral_constantIbLb1EES1U_EEDaS1P_S1Q_EUlS1P_E_NS1_11comp_targetILNS1_3genE5ELNS1_11target_archE942ELNS1_3gpuE9ELNS1_3repE0EEENS1_30default_config_static_selectorELNS0_4arch9wavefront6targetE0EEEvS12_,"axG",@progbits,_ZN7rocprim17ROCPRIM_400000_NS6detail17trampoline_kernelINS0_13select_configILj256ELj13ELNS0_17block_load_methodE3ELS4_3ELS4_3ELNS0_20block_scan_algorithmE0ELj4294967295EEENS1_25partition_config_selectorILNS1_17partition_subalgoE4EjNS0_10empty_typeEbEEZZNS1_14partition_implILS8_4ELb0ES6_15HIP_vector_typeIjLj2EENS0_17counting_iteratorIjlEEPS9_SG_NS0_5tupleIJPjSI_NS0_16reverse_iteratorISI_EEEEENSH_IJSG_SG_SG_EEES9_SI_JZNS1_25segmented_radix_sort_implINS0_14default_configELb0EPKhPhPKlPlN2at6native12_GLOBAL__N_18offset_tEEE10hipError_tPvRmT1_PNSt15iterator_traitsIS12_E10value_typeET2_T3_PNS13_IS18_E10value_typeET4_jRbjT5_S1E_jjP12ihipStream_tbEUljE_ZNSN_ISO_Lb0ESQ_SR_ST_SU_SY_EESZ_S10_S11_S12_S16_S17_S18_S1B_S1C_jS1D_jS1E_S1E_jjS1G_bEUljE0_EEESZ_S10_S11_S18_S1C_S1E_T6_T7_T9_mT8_S1G_bDpT10_ENKUlT_T0_E_clISt17integral_constantIbLb1EES1U_EEDaS1P_S1Q_EUlS1P_E_NS1_11comp_targetILNS1_3genE5ELNS1_11target_archE942ELNS1_3gpuE9ELNS1_3repE0EEENS1_30default_config_static_selectorELNS0_4arch9wavefront6targetE0EEEvS12_,comdat
	.globl	_ZN7rocprim17ROCPRIM_400000_NS6detail17trampoline_kernelINS0_13select_configILj256ELj13ELNS0_17block_load_methodE3ELS4_3ELS4_3ELNS0_20block_scan_algorithmE0ELj4294967295EEENS1_25partition_config_selectorILNS1_17partition_subalgoE4EjNS0_10empty_typeEbEEZZNS1_14partition_implILS8_4ELb0ES6_15HIP_vector_typeIjLj2EENS0_17counting_iteratorIjlEEPS9_SG_NS0_5tupleIJPjSI_NS0_16reverse_iteratorISI_EEEEENSH_IJSG_SG_SG_EEES9_SI_JZNS1_25segmented_radix_sort_implINS0_14default_configELb0EPKhPhPKlPlN2at6native12_GLOBAL__N_18offset_tEEE10hipError_tPvRmT1_PNSt15iterator_traitsIS12_E10value_typeET2_T3_PNS13_IS18_E10value_typeET4_jRbjT5_S1E_jjP12ihipStream_tbEUljE_ZNSN_ISO_Lb0ESQ_SR_ST_SU_SY_EESZ_S10_S11_S12_S16_S17_S18_S1B_S1C_jS1D_jS1E_S1E_jjS1G_bEUljE0_EEESZ_S10_S11_S18_S1C_S1E_T6_T7_T9_mT8_S1G_bDpT10_ENKUlT_T0_E_clISt17integral_constantIbLb1EES1U_EEDaS1P_S1Q_EUlS1P_E_NS1_11comp_targetILNS1_3genE5ELNS1_11target_archE942ELNS1_3gpuE9ELNS1_3repE0EEENS1_30default_config_static_selectorELNS0_4arch9wavefront6targetE0EEEvS12_ ; -- Begin function _ZN7rocprim17ROCPRIM_400000_NS6detail17trampoline_kernelINS0_13select_configILj256ELj13ELNS0_17block_load_methodE3ELS4_3ELS4_3ELNS0_20block_scan_algorithmE0ELj4294967295EEENS1_25partition_config_selectorILNS1_17partition_subalgoE4EjNS0_10empty_typeEbEEZZNS1_14partition_implILS8_4ELb0ES6_15HIP_vector_typeIjLj2EENS0_17counting_iteratorIjlEEPS9_SG_NS0_5tupleIJPjSI_NS0_16reverse_iteratorISI_EEEEENSH_IJSG_SG_SG_EEES9_SI_JZNS1_25segmented_radix_sort_implINS0_14default_configELb0EPKhPhPKlPlN2at6native12_GLOBAL__N_18offset_tEEE10hipError_tPvRmT1_PNSt15iterator_traitsIS12_E10value_typeET2_T3_PNS13_IS18_E10value_typeET4_jRbjT5_S1E_jjP12ihipStream_tbEUljE_ZNSN_ISO_Lb0ESQ_SR_ST_SU_SY_EESZ_S10_S11_S12_S16_S17_S18_S1B_S1C_jS1D_jS1E_S1E_jjS1G_bEUljE0_EEESZ_S10_S11_S18_S1C_S1E_T6_T7_T9_mT8_S1G_bDpT10_ENKUlT_T0_E_clISt17integral_constantIbLb1EES1U_EEDaS1P_S1Q_EUlS1P_E_NS1_11comp_targetILNS1_3genE5ELNS1_11target_archE942ELNS1_3gpuE9ELNS1_3repE0EEENS1_30default_config_static_selectorELNS0_4arch9wavefront6targetE0EEEvS12_
	.p2align	8
	.type	_ZN7rocprim17ROCPRIM_400000_NS6detail17trampoline_kernelINS0_13select_configILj256ELj13ELNS0_17block_load_methodE3ELS4_3ELS4_3ELNS0_20block_scan_algorithmE0ELj4294967295EEENS1_25partition_config_selectorILNS1_17partition_subalgoE4EjNS0_10empty_typeEbEEZZNS1_14partition_implILS8_4ELb0ES6_15HIP_vector_typeIjLj2EENS0_17counting_iteratorIjlEEPS9_SG_NS0_5tupleIJPjSI_NS0_16reverse_iteratorISI_EEEEENSH_IJSG_SG_SG_EEES9_SI_JZNS1_25segmented_radix_sort_implINS0_14default_configELb0EPKhPhPKlPlN2at6native12_GLOBAL__N_18offset_tEEE10hipError_tPvRmT1_PNSt15iterator_traitsIS12_E10value_typeET2_T3_PNS13_IS18_E10value_typeET4_jRbjT5_S1E_jjP12ihipStream_tbEUljE_ZNSN_ISO_Lb0ESQ_SR_ST_SU_SY_EESZ_S10_S11_S12_S16_S17_S18_S1B_S1C_jS1D_jS1E_S1E_jjS1G_bEUljE0_EEESZ_S10_S11_S18_S1C_S1E_T6_T7_T9_mT8_S1G_bDpT10_ENKUlT_T0_E_clISt17integral_constantIbLb1EES1U_EEDaS1P_S1Q_EUlS1P_E_NS1_11comp_targetILNS1_3genE5ELNS1_11target_archE942ELNS1_3gpuE9ELNS1_3repE0EEENS1_30default_config_static_selectorELNS0_4arch9wavefront6targetE0EEEvS12_,@function
_ZN7rocprim17ROCPRIM_400000_NS6detail17trampoline_kernelINS0_13select_configILj256ELj13ELNS0_17block_load_methodE3ELS4_3ELS4_3ELNS0_20block_scan_algorithmE0ELj4294967295EEENS1_25partition_config_selectorILNS1_17partition_subalgoE4EjNS0_10empty_typeEbEEZZNS1_14partition_implILS8_4ELb0ES6_15HIP_vector_typeIjLj2EENS0_17counting_iteratorIjlEEPS9_SG_NS0_5tupleIJPjSI_NS0_16reverse_iteratorISI_EEEEENSH_IJSG_SG_SG_EEES9_SI_JZNS1_25segmented_radix_sort_implINS0_14default_configELb0EPKhPhPKlPlN2at6native12_GLOBAL__N_18offset_tEEE10hipError_tPvRmT1_PNSt15iterator_traitsIS12_E10value_typeET2_T3_PNS13_IS18_E10value_typeET4_jRbjT5_S1E_jjP12ihipStream_tbEUljE_ZNSN_ISO_Lb0ESQ_SR_ST_SU_SY_EESZ_S10_S11_S12_S16_S17_S18_S1B_S1C_jS1D_jS1E_S1E_jjS1G_bEUljE0_EEESZ_S10_S11_S18_S1C_S1E_T6_T7_T9_mT8_S1G_bDpT10_ENKUlT_T0_E_clISt17integral_constantIbLb1EES1U_EEDaS1P_S1Q_EUlS1P_E_NS1_11comp_targetILNS1_3genE5ELNS1_11target_archE942ELNS1_3gpuE9ELNS1_3repE0EEENS1_30default_config_static_selectorELNS0_4arch9wavefront6targetE0EEEvS12_: ; @_ZN7rocprim17ROCPRIM_400000_NS6detail17trampoline_kernelINS0_13select_configILj256ELj13ELNS0_17block_load_methodE3ELS4_3ELS4_3ELNS0_20block_scan_algorithmE0ELj4294967295EEENS1_25partition_config_selectorILNS1_17partition_subalgoE4EjNS0_10empty_typeEbEEZZNS1_14partition_implILS8_4ELb0ES6_15HIP_vector_typeIjLj2EENS0_17counting_iteratorIjlEEPS9_SG_NS0_5tupleIJPjSI_NS0_16reverse_iteratorISI_EEEEENSH_IJSG_SG_SG_EEES9_SI_JZNS1_25segmented_radix_sort_implINS0_14default_configELb0EPKhPhPKlPlN2at6native12_GLOBAL__N_18offset_tEEE10hipError_tPvRmT1_PNSt15iterator_traitsIS12_E10value_typeET2_T3_PNS13_IS18_E10value_typeET4_jRbjT5_S1E_jjP12ihipStream_tbEUljE_ZNSN_ISO_Lb0ESQ_SR_ST_SU_SY_EESZ_S10_S11_S12_S16_S17_S18_S1B_S1C_jS1D_jS1E_S1E_jjS1G_bEUljE0_EEESZ_S10_S11_S18_S1C_S1E_T6_T7_T9_mT8_S1G_bDpT10_ENKUlT_T0_E_clISt17integral_constantIbLb1EES1U_EEDaS1P_S1Q_EUlS1P_E_NS1_11comp_targetILNS1_3genE5ELNS1_11target_archE942ELNS1_3gpuE9ELNS1_3repE0EEENS1_30default_config_static_selectorELNS0_4arch9wavefront6targetE0EEEvS12_
; %bb.0:
	.section	.rodata,"a",@progbits
	.p2align	6, 0x0
	.amdhsa_kernel _ZN7rocprim17ROCPRIM_400000_NS6detail17trampoline_kernelINS0_13select_configILj256ELj13ELNS0_17block_load_methodE3ELS4_3ELS4_3ELNS0_20block_scan_algorithmE0ELj4294967295EEENS1_25partition_config_selectorILNS1_17partition_subalgoE4EjNS0_10empty_typeEbEEZZNS1_14partition_implILS8_4ELb0ES6_15HIP_vector_typeIjLj2EENS0_17counting_iteratorIjlEEPS9_SG_NS0_5tupleIJPjSI_NS0_16reverse_iteratorISI_EEEEENSH_IJSG_SG_SG_EEES9_SI_JZNS1_25segmented_radix_sort_implINS0_14default_configELb0EPKhPhPKlPlN2at6native12_GLOBAL__N_18offset_tEEE10hipError_tPvRmT1_PNSt15iterator_traitsIS12_E10value_typeET2_T3_PNS13_IS18_E10value_typeET4_jRbjT5_S1E_jjP12ihipStream_tbEUljE_ZNSN_ISO_Lb0ESQ_SR_ST_SU_SY_EESZ_S10_S11_S12_S16_S17_S18_S1B_S1C_jS1D_jS1E_S1E_jjS1G_bEUljE0_EEESZ_S10_S11_S18_S1C_S1E_T6_T7_T9_mT8_S1G_bDpT10_ENKUlT_T0_E_clISt17integral_constantIbLb1EES1U_EEDaS1P_S1Q_EUlS1P_E_NS1_11comp_targetILNS1_3genE5ELNS1_11target_archE942ELNS1_3gpuE9ELNS1_3repE0EEENS1_30default_config_static_selectorELNS0_4arch9wavefront6targetE0EEEvS12_
		.amdhsa_group_segment_fixed_size 0
		.amdhsa_private_segment_fixed_size 0
		.amdhsa_kernarg_size 184
		.amdhsa_user_sgpr_count 2
		.amdhsa_user_sgpr_dispatch_ptr 0
		.amdhsa_user_sgpr_queue_ptr 0
		.amdhsa_user_sgpr_kernarg_segment_ptr 1
		.amdhsa_user_sgpr_dispatch_id 0
		.amdhsa_user_sgpr_kernarg_preload_length 0
		.amdhsa_user_sgpr_kernarg_preload_offset 0
		.amdhsa_user_sgpr_private_segment_size 0
		.amdhsa_wavefront_size32 1
		.amdhsa_uses_dynamic_stack 0
		.amdhsa_enable_private_segment 0
		.amdhsa_system_sgpr_workgroup_id_x 1
		.amdhsa_system_sgpr_workgroup_id_y 0
		.amdhsa_system_sgpr_workgroup_id_z 0
		.amdhsa_system_sgpr_workgroup_info 0
		.amdhsa_system_vgpr_workitem_id 0
		.amdhsa_next_free_vgpr 1
		.amdhsa_next_free_sgpr 1
		.amdhsa_named_barrier_count 0
		.amdhsa_reserve_vcc 0
		.amdhsa_float_round_mode_32 0
		.amdhsa_float_round_mode_16_64 0
		.amdhsa_float_denorm_mode_32 3
		.amdhsa_float_denorm_mode_16_64 3
		.amdhsa_fp16_overflow 0
		.amdhsa_memory_ordered 1
		.amdhsa_forward_progress 1
		.amdhsa_inst_pref_size 0
		.amdhsa_round_robin_scheduling 0
		.amdhsa_exception_fp_ieee_invalid_op 0
		.amdhsa_exception_fp_denorm_src 0
		.amdhsa_exception_fp_ieee_div_zero 0
		.amdhsa_exception_fp_ieee_overflow 0
		.amdhsa_exception_fp_ieee_underflow 0
		.amdhsa_exception_fp_ieee_inexact 0
		.amdhsa_exception_int_div_zero 0
	.end_amdhsa_kernel
	.section	.text._ZN7rocprim17ROCPRIM_400000_NS6detail17trampoline_kernelINS0_13select_configILj256ELj13ELNS0_17block_load_methodE3ELS4_3ELS4_3ELNS0_20block_scan_algorithmE0ELj4294967295EEENS1_25partition_config_selectorILNS1_17partition_subalgoE4EjNS0_10empty_typeEbEEZZNS1_14partition_implILS8_4ELb0ES6_15HIP_vector_typeIjLj2EENS0_17counting_iteratorIjlEEPS9_SG_NS0_5tupleIJPjSI_NS0_16reverse_iteratorISI_EEEEENSH_IJSG_SG_SG_EEES9_SI_JZNS1_25segmented_radix_sort_implINS0_14default_configELb0EPKhPhPKlPlN2at6native12_GLOBAL__N_18offset_tEEE10hipError_tPvRmT1_PNSt15iterator_traitsIS12_E10value_typeET2_T3_PNS13_IS18_E10value_typeET4_jRbjT5_S1E_jjP12ihipStream_tbEUljE_ZNSN_ISO_Lb0ESQ_SR_ST_SU_SY_EESZ_S10_S11_S12_S16_S17_S18_S1B_S1C_jS1D_jS1E_S1E_jjS1G_bEUljE0_EEESZ_S10_S11_S18_S1C_S1E_T6_T7_T9_mT8_S1G_bDpT10_ENKUlT_T0_E_clISt17integral_constantIbLb1EES1U_EEDaS1P_S1Q_EUlS1P_E_NS1_11comp_targetILNS1_3genE5ELNS1_11target_archE942ELNS1_3gpuE9ELNS1_3repE0EEENS1_30default_config_static_selectorELNS0_4arch9wavefront6targetE0EEEvS12_,"axG",@progbits,_ZN7rocprim17ROCPRIM_400000_NS6detail17trampoline_kernelINS0_13select_configILj256ELj13ELNS0_17block_load_methodE3ELS4_3ELS4_3ELNS0_20block_scan_algorithmE0ELj4294967295EEENS1_25partition_config_selectorILNS1_17partition_subalgoE4EjNS0_10empty_typeEbEEZZNS1_14partition_implILS8_4ELb0ES6_15HIP_vector_typeIjLj2EENS0_17counting_iteratorIjlEEPS9_SG_NS0_5tupleIJPjSI_NS0_16reverse_iteratorISI_EEEEENSH_IJSG_SG_SG_EEES9_SI_JZNS1_25segmented_radix_sort_implINS0_14default_configELb0EPKhPhPKlPlN2at6native12_GLOBAL__N_18offset_tEEE10hipError_tPvRmT1_PNSt15iterator_traitsIS12_E10value_typeET2_T3_PNS13_IS18_E10value_typeET4_jRbjT5_S1E_jjP12ihipStream_tbEUljE_ZNSN_ISO_Lb0ESQ_SR_ST_SU_SY_EESZ_S10_S11_S12_S16_S17_S18_S1B_S1C_jS1D_jS1E_S1E_jjS1G_bEUljE0_EEESZ_S10_S11_S18_S1C_S1E_T6_T7_T9_mT8_S1G_bDpT10_ENKUlT_T0_E_clISt17integral_constantIbLb1EES1U_EEDaS1P_S1Q_EUlS1P_E_NS1_11comp_targetILNS1_3genE5ELNS1_11target_archE942ELNS1_3gpuE9ELNS1_3repE0EEENS1_30default_config_static_selectorELNS0_4arch9wavefront6targetE0EEEvS12_,comdat
.Lfunc_end130:
	.size	_ZN7rocprim17ROCPRIM_400000_NS6detail17trampoline_kernelINS0_13select_configILj256ELj13ELNS0_17block_load_methodE3ELS4_3ELS4_3ELNS0_20block_scan_algorithmE0ELj4294967295EEENS1_25partition_config_selectorILNS1_17partition_subalgoE4EjNS0_10empty_typeEbEEZZNS1_14partition_implILS8_4ELb0ES6_15HIP_vector_typeIjLj2EENS0_17counting_iteratorIjlEEPS9_SG_NS0_5tupleIJPjSI_NS0_16reverse_iteratorISI_EEEEENSH_IJSG_SG_SG_EEES9_SI_JZNS1_25segmented_radix_sort_implINS0_14default_configELb0EPKhPhPKlPlN2at6native12_GLOBAL__N_18offset_tEEE10hipError_tPvRmT1_PNSt15iterator_traitsIS12_E10value_typeET2_T3_PNS13_IS18_E10value_typeET4_jRbjT5_S1E_jjP12ihipStream_tbEUljE_ZNSN_ISO_Lb0ESQ_SR_ST_SU_SY_EESZ_S10_S11_S12_S16_S17_S18_S1B_S1C_jS1D_jS1E_S1E_jjS1G_bEUljE0_EEESZ_S10_S11_S18_S1C_S1E_T6_T7_T9_mT8_S1G_bDpT10_ENKUlT_T0_E_clISt17integral_constantIbLb1EES1U_EEDaS1P_S1Q_EUlS1P_E_NS1_11comp_targetILNS1_3genE5ELNS1_11target_archE942ELNS1_3gpuE9ELNS1_3repE0EEENS1_30default_config_static_selectorELNS0_4arch9wavefront6targetE0EEEvS12_, .Lfunc_end130-_ZN7rocprim17ROCPRIM_400000_NS6detail17trampoline_kernelINS0_13select_configILj256ELj13ELNS0_17block_load_methodE3ELS4_3ELS4_3ELNS0_20block_scan_algorithmE0ELj4294967295EEENS1_25partition_config_selectorILNS1_17partition_subalgoE4EjNS0_10empty_typeEbEEZZNS1_14partition_implILS8_4ELb0ES6_15HIP_vector_typeIjLj2EENS0_17counting_iteratorIjlEEPS9_SG_NS0_5tupleIJPjSI_NS0_16reverse_iteratorISI_EEEEENSH_IJSG_SG_SG_EEES9_SI_JZNS1_25segmented_radix_sort_implINS0_14default_configELb0EPKhPhPKlPlN2at6native12_GLOBAL__N_18offset_tEEE10hipError_tPvRmT1_PNSt15iterator_traitsIS12_E10value_typeET2_T3_PNS13_IS18_E10value_typeET4_jRbjT5_S1E_jjP12ihipStream_tbEUljE_ZNSN_ISO_Lb0ESQ_SR_ST_SU_SY_EESZ_S10_S11_S12_S16_S17_S18_S1B_S1C_jS1D_jS1E_S1E_jjS1G_bEUljE0_EEESZ_S10_S11_S18_S1C_S1E_T6_T7_T9_mT8_S1G_bDpT10_ENKUlT_T0_E_clISt17integral_constantIbLb1EES1U_EEDaS1P_S1Q_EUlS1P_E_NS1_11comp_targetILNS1_3genE5ELNS1_11target_archE942ELNS1_3gpuE9ELNS1_3repE0EEENS1_30default_config_static_selectorELNS0_4arch9wavefront6targetE0EEEvS12_
                                        ; -- End function
	.set _ZN7rocprim17ROCPRIM_400000_NS6detail17trampoline_kernelINS0_13select_configILj256ELj13ELNS0_17block_load_methodE3ELS4_3ELS4_3ELNS0_20block_scan_algorithmE0ELj4294967295EEENS1_25partition_config_selectorILNS1_17partition_subalgoE4EjNS0_10empty_typeEbEEZZNS1_14partition_implILS8_4ELb0ES6_15HIP_vector_typeIjLj2EENS0_17counting_iteratorIjlEEPS9_SG_NS0_5tupleIJPjSI_NS0_16reverse_iteratorISI_EEEEENSH_IJSG_SG_SG_EEES9_SI_JZNS1_25segmented_radix_sort_implINS0_14default_configELb0EPKhPhPKlPlN2at6native12_GLOBAL__N_18offset_tEEE10hipError_tPvRmT1_PNSt15iterator_traitsIS12_E10value_typeET2_T3_PNS13_IS18_E10value_typeET4_jRbjT5_S1E_jjP12ihipStream_tbEUljE_ZNSN_ISO_Lb0ESQ_SR_ST_SU_SY_EESZ_S10_S11_S12_S16_S17_S18_S1B_S1C_jS1D_jS1E_S1E_jjS1G_bEUljE0_EEESZ_S10_S11_S18_S1C_S1E_T6_T7_T9_mT8_S1G_bDpT10_ENKUlT_T0_E_clISt17integral_constantIbLb1EES1U_EEDaS1P_S1Q_EUlS1P_E_NS1_11comp_targetILNS1_3genE5ELNS1_11target_archE942ELNS1_3gpuE9ELNS1_3repE0EEENS1_30default_config_static_selectorELNS0_4arch9wavefront6targetE0EEEvS12_.num_vgpr, 0
	.set _ZN7rocprim17ROCPRIM_400000_NS6detail17trampoline_kernelINS0_13select_configILj256ELj13ELNS0_17block_load_methodE3ELS4_3ELS4_3ELNS0_20block_scan_algorithmE0ELj4294967295EEENS1_25partition_config_selectorILNS1_17partition_subalgoE4EjNS0_10empty_typeEbEEZZNS1_14partition_implILS8_4ELb0ES6_15HIP_vector_typeIjLj2EENS0_17counting_iteratorIjlEEPS9_SG_NS0_5tupleIJPjSI_NS0_16reverse_iteratorISI_EEEEENSH_IJSG_SG_SG_EEES9_SI_JZNS1_25segmented_radix_sort_implINS0_14default_configELb0EPKhPhPKlPlN2at6native12_GLOBAL__N_18offset_tEEE10hipError_tPvRmT1_PNSt15iterator_traitsIS12_E10value_typeET2_T3_PNS13_IS18_E10value_typeET4_jRbjT5_S1E_jjP12ihipStream_tbEUljE_ZNSN_ISO_Lb0ESQ_SR_ST_SU_SY_EESZ_S10_S11_S12_S16_S17_S18_S1B_S1C_jS1D_jS1E_S1E_jjS1G_bEUljE0_EEESZ_S10_S11_S18_S1C_S1E_T6_T7_T9_mT8_S1G_bDpT10_ENKUlT_T0_E_clISt17integral_constantIbLb1EES1U_EEDaS1P_S1Q_EUlS1P_E_NS1_11comp_targetILNS1_3genE5ELNS1_11target_archE942ELNS1_3gpuE9ELNS1_3repE0EEENS1_30default_config_static_selectorELNS0_4arch9wavefront6targetE0EEEvS12_.num_agpr, 0
	.set _ZN7rocprim17ROCPRIM_400000_NS6detail17trampoline_kernelINS0_13select_configILj256ELj13ELNS0_17block_load_methodE3ELS4_3ELS4_3ELNS0_20block_scan_algorithmE0ELj4294967295EEENS1_25partition_config_selectorILNS1_17partition_subalgoE4EjNS0_10empty_typeEbEEZZNS1_14partition_implILS8_4ELb0ES6_15HIP_vector_typeIjLj2EENS0_17counting_iteratorIjlEEPS9_SG_NS0_5tupleIJPjSI_NS0_16reverse_iteratorISI_EEEEENSH_IJSG_SG_SG_EEES9_SI_JZNS1_25segmented_radix_sort_implINS0_14default_configELb0EPKhPhPKlPlN2at6native12_GLOBAL__N_18offset_tEEE10hipError_tPvRmT1_PNSt15iterator_traitsIS12_E10value_typeET2_T3_PNS13_IS18_E10value_typeET4_jRbjT5_S1E_jjP12ihipStream_tbEUljE_ZNSN_ISO_Lb0ESQ_SR_ST_SU_SY_EESZ_S10_S11_S12_S16_S17_S18_S1B_S1C_jS1D_jS1E_S1E_jjS1G_bEUljE0_EEESZ_S10_S11_S18_S1C_S1E_T6_T7_T9_mT8_S1G_bDpT10_ENKUlT_T0_E_clISt17integral_constantIbLb1EES1U_EEDaS1P_S1Q_EUlS1P_E_NS1_11comp_targetILNS1_3genE5ELNS1_11target_archE942ELNS1_3gpuE9ELNS1_3repE0EEENS1_30default_config_static_selectorELNS0_4arch9wavefront6targetE0EEEvS12_.numbered_sgpr, 0
	.set _ZN7rocprim17ROCPRIM_400000_NS6detail17trampoline_kernelINS0_13select_configILj256ELj13ELNS0_17block_load_methodE3ELS4_3ELS4_3ELNS0_20block_scan_algorithmE0ELj4294967295EEENS1_25partition_config_selectorILNS1_17partition_subalgoE4EjNS0_10empty_typeEbEEZZNS1_14partition_implILS8_4ELb0ES6_15HIP_vector_typeIjLj2EENS0_17counting_iteratorIjlEEPS9_SG_NS0_5tupleIJPjSI_NS0_16reverse_iteratorISI_EEEEENSH_IJSG_SG_SG_EEES9_SI_JZNS1_25segmented_radix_sort_implINS0_14default_configELb0EPKhPhPKlPlN2at6native12_GLOBAL__N_18offset_tEEE10hipError_tPvRmT1_PNSt15iterator_traitsIS12_E10value_typeET2_T3_PNS13_IS18_E10value_typeET4_jRbjT5_S1E_jjP12ihipStream_tbEUljE_ZNSN_ISO_Lb0ESQ_SR_ST_SU_SY_EESZ_S10_S11_S12_S16_S17_S18_S1B_S1C_jS1D_jS1E_S1E_jjS1G_bEUljE0_EEESZ_S10_S11_S18_S1C_S1E_T6_T7_T9_mT8_S1G_bDpT10_ENKUlT_T0_E_clISt17integral_constantIbLb1EES1U_EEDaS1P_S1Q_EUlS1P_E_NS1_11comp_targetILNS1_3genE5ELNS1_11target_archE942ELNS1_3gpuE9ELNS1_3repE0EEENS1_30default_config_static_selectorELNS0_4arch9wavefront6targetE0EEEvS12_.num_named_barrier, 0
	.set _ZN7rocprim17ROCPRIM_400000_NS6detail17trampoline_kernelINS0_13select_configILj256ELj13ELNS0_17block_load_methodE3ELS4_3ELS4_3ELNS0_20block_scan_algorithmE0ELj4294967295EEENS1_25partition_config_selectorILNS1_17partition_subalgoE4EjNS0_10empty_typeEbEEZZNS1_14partition_implILS8_4ELb0ES6_15HIP_vector_typeIjLj2EENS0_17counting_iteratorIjlEEPS9_SG_NS0_5tupleIJPjSI_NS0_16reverse_iteratorISI_EEEEENSH_IJSG_SG_SG_EEES9_SI_JZNS1_25segmented_radix_sort_implINS0_14default_configELb0EPKhPhPKlPlN2at6native12_GLOBAL__N_18offset_tEEE10hipError_tPvRmT1_PNSt15iterator_traitsIS12_E10value_typeET2_T3_PNS13_IS18_E10value_typeET4_jRbjT5_S1E_jjP12ihipStream_tbEUljE_ZNSN_ISO_Lb0ESQ_SR_ST_SU_SY_EESZ_S10_S11_S12_S16_S17_S18_S1B_S1C_jS1D_jS1E_S1E_jjS1G_bEUljE0_EEESZ_S10_S11_S18_S1C_S1E_T6_T7_T9_mT8_S1G_bDpT10_ENKUlT_T0_E_clISt17integral_constantIbLb1EES1U_EEDaS1P_S1Q_EUlS1P_E_NS1_11comp_targetILNS1_3genE5ELNS1_11target_archE942ELNS1_3gpuE9ELNS1_3repE0EEENS1_30default_config_static_selectorELNS0_4arch9wavefront6targetE0EEEvS12_.private_seg_size, 0
	.set _ZN7rocprim17ROCPRIM_400000_NS6detail17trampoline_kernelINS0_13select_configILj256ELj13ELNS0_17block_load_methodE3ELS4_3ELS4_3ELNS0_20block_scan_algorithmE0ELj4294967295EEENS1_25partition_config_selectorILNS1_17partition_subalgoE4EjNS0_10empty_typeEbEEZZNS1_14partition_implILS8_4ELb0ES6_15HIP_vector_typeIjLj2EENS0_17counting_iteratorIjlEEPS9_SG_NS0_5tupleIJPjSI_NS0_16reverse_iteratorISI_EEEEENSH_IJSG_SG_SG_EEES9_SI_JZNS1_25segmented_radix_sort_implINS0_14default_configELb0EPKhPhPKlPlN2at6native12_GLOBAL__N_18offset_tEEE10hipError_tPvRmT1_PNSt15iterator_traitsIS12_E10value_typeET2_T3_PNS13_IS18_E10value_typeET4_jRbjT5_S1E_jjP12ihipStream_tbEUljE_ZNSN_ISO_Lb0ESQ_SR_ST_SU_SY_EESZ_S10_S11_S12_S16_S17_S18_S1B_S1C_jS1D_jS1E_S1E_jjS1G_bEUljE0_EEESZ_S10_S11_S18_S1C_S1E_T6_T7_T9_mT8_S1G_bDpT10_ENKUlT_T0_E_clISt17integral_constantIbLb1EES1U_EEDaS1P_S1Q_EUlS1P_E_NS1_11comp_targetILNS1_3genE5ELNS1_11target_archE942ELNS1_3gpuE9ELNS1_3repE0EEENS1_30default_config_static_selectorELNS0_4arch9wavefront6targetE0EEEvS12_.uses_vcc, 0
	.set _ZN7rocprim17ROCPRIM_400000_NS6detail17trampoline_kernelINS0_13select_configILj256ELj13ELNS0_17block_load_methodE3ELS4_3ELS4_3ELNS0_20block_scan_algorithmE0ELj4294967295EEENS1_25partition_config_selectorILNS1_17partition_subalgoE4EjNS0_10empty_typeEbEEZZNS1_14partition_implILS8_4ELb0ES6_15HIP_vector_typeIjLj2EENS0_17counting_iteratorIjlEEPS9_SG_NS0_5tupleIJPjSI_NS0_16reverse_iteratorISI_EEEEENSH_IJSG_SG_SG_EEES9_SI_JZNS1_25segmented_radix_sort_implINS0_14default_configELb0EPKhPhPKlPlN2at6native12_GLOBAL__N_18offset_tEEE10hipError_tPvRmT1_PNSt15iterator_traitsIS12_E10value_typeET2_T3_PNS13_IS18_E10value_typeET4_jRbjT5_S1E_jjP12ihipStream_tbEUljE_ZNSN_ISO_Lb0ESQ_SR_ST_SU_SY_EESZ_S10_S11_S12_S16_S17_S18_S1B_S1C_jS1D_jS1E_S1E_jjS1G_bEUljE0_EEESZ_S10_S11_S18_S1C_S1E_T6_T7_T9_mT8_S1G_bDpT10_ENKUlT_T0_E_clISt17integral_constantIbLb1EES1U_EEDaS1P_S1Q_EUlS1P_E_NS1_11comp_targetILNS1_3genE5ELNS1_11target_archE942ELNS1_3gpuE9ELNS1_3repE0EEENS1_30default_config_static_selectorELNS0_4arch9wavefront6targetE0EEEvS12_.uses_flat_scratch, 0
	.set _ZN7rocprim17ROCPRIM_400000_NS6detail17trampoline_kernelINS0_13select_configILj256ELj13ELNS0_17block_load_methodE3ELS4_3ELS4_3ELNS0_20block_scan_algorithmE0ELj4294967295EEENS1_25partition_config_selectorILNS1_17partition_subalgoE4EjNS0_10empty_typeEbEEZZNS1_14partition_implILS8_4ELb0ES6_15HIP_vector_typeIjLj2EENS0_17counting_iteratorIjlEEPS9_SG_NS0_5tupleIJPjSI_NS0_16reverse_iteratorISI_EEEEENSH_IJSG_SG_SG_EEES9_SI_JZNS1_25segmented_radix_sort_implINS0_14default_configELb0EPKhPhPKlPlN2at6native12_GLOBAL__N_18offset_tEEE10hipError_tPvRmT1_PNSt15iterator_traitsIS12_E10value_typeET2_T3_PNS13_IS18_E10value_typeET4_jRbjT5_S1E_jjP12ihipStream_tbEUljE_ZNSN_ISO_Lb0ESQ_SR_ST_SU_SY_EESZ_S10_S11_S12_S16_S17_S18_S1B_S1C_jS1D_jS1E_S1E_jjS1G_bEUljE0_EEESZ_S10_S11_S18_S1C_S1E_T6_T7_T9_mT8_S1G_bDpT10_ENKUlT_T0_E_clISt17integral_constantIbLb1EES1U_EEDaS1P_S1Q_EUlS1P_E_NS1_11comp_targetILNS1_3genE5ELNS1_11target_archE942ELNS1_3gpuE9ELNS1_3repE0EEENS1_30default_config_static_selectorELNS0_4arch9wavefront6targetE0EEEvS12_.has_dyn_sized_stack, 0
	.set _ZN7rocprim17ROCPRIM_400000_NS6detail17trampoline_kernelINS0_13select_configILj256ELj13ELNS0_17block_load_methodE3ELS4_3ELS4_3ELNS0_20block_scan_algorithmE0ELj4294967295EEENS1_25partition_config_selectorILNS1_17partition_subalgoE4EjNS0_10empty_typeEbEEZZNS1_14partition_implILS8_4ELb0ES6_15HIP_vector_typeIjLj2EENS0_17counting_iteratorIjlEEPS9_SG_NS0_5tupleIJPjSI_NS0_16reverse_iteratorISI_EEEEENSH_IJSG_SG_SG_EEES9_SI_JZNS1_25segmented_radix_sort_implINS0_14default_configELb0EPKhPhPKlPlN2at6native12_GLOBAL__N_18offset_tEEE10hipError_tPvRmT1_PNSt15iterator_traitsIS12_E10value_typeET2_T3_PNS13_IS18_E10value_typeET4_jRbjT5_S1E_jjP12ihipStream_tbEUljE_ZNSN_ISO_Lb0ESQ_SR_ST_SU_SY_EESZ_S10_S11_S12_S16_S17_S18_S1B_S1C_jS1D_jS1E_S1E_jjS1G_bEUljE0_EEESZ_S10_S11_S18_S1C_S1E_T6_T7_T9_mT8_S1G_bDpT10_ENKUlT_T0_E_clISt17integral_constantIbLb1EES1U_EEDaS1P_S1Q_EUlS1P_E_NS1_11comp_targetILNS1_3genE5ELNS1_11target_archE942ELNS1_3gpuE9ELNS1_3repE0EEENS1_30default_config_static_selectorELNS0_4arch9wavefront6targetE0EEEvS12_.has_recursion, 0
	.set _ZN7rocprim17ROCPRIM_400000_NS6detail17trampoline_kernelINS0_13select_configILj256ELj13ELNS0_17block_load_methodE3ELS4_3ELS4_3ELNS0_20block_scan_algorithmE0ELj4294967295EEENS1_25partition_config_selectorILNS1_17partition_subalgoE4EjNS0_10empty_typeEbEEZZNS1_14partition_implILS8_4ELb0ES6_15HIP_vector_typeIjLj2EENS0_17counting_iteratorIjlEEPS9_SG_NS0_5tupleIJPjSI_NS0_16reverse_iteratorISI_EEEEENSH_IJSG_SG_SG_EEES9_SI_JZNS1_25segmented_radix_sort_implINS0_14default_configELb0EPKhPhPKlPlN2at6native12_GLOBAL__N_18offset_tEEE10hipError_tPvRmT1_PNSt15iterator_traitsIS12_E10value_typeET2_T3_PNS13_IS18_E10value_typeET4_jRbjT5_S1E_jjP12ihipStream_tbEUljE_ZNSN_ISO_Lb0ESQ_SR_ST_SU_SY_EESZ_S10_S11_S12_S16_S17_S18_S1B_S1C_jS1D_jS1E_S1E_jjS1G_bEUljE0_EEESZ_S10_S11_S18_S1C_S1E_T6_T7_T9_mT8_S1G_bDpT10_ENKUlT_T0_E_clISt17integral_constantIbLb1EES1U_EEDaS1P_S1Q_EUlS1P_E_NS1_11comp_targetILNS1_3genE5ELNS1_11target_archE942ELNS1_3gpuE9ELNS1_3repE0EEENS1_30default_config_static_selectorELNS0_4arch9wavefront6targetE0EEEvS12_.has_indirect_call, 0
	.section	.AMDGPU.csdata,"",@progbits
; Kernel info:
; codeLenInByte = 0
; TotalNumSgprs: 0
; NumVgprs: 0
; ScratchSize: 0
; MemoryBound: 0
; FloatMode: 240
; IeeeMode: 1
; LDSByteSize: 0 bytes/workgroup (compile time only)
; SGPRBlocks: 0
; VGPRBlocks: 0
; NumSGPRsForWavesPerEU: 1
; NumVGPRsForWavesPerEU: 1
; NamedBarCnt: 0
; Occupancy: 16
; WaveLimiterHint : 0
; COMPUTE_PGM_RSRC2:SCRATCH_EN: 0
; COMPUTE_PGM_RSRC2:USER_SGPR: 2
; COMPUTE_PGM_RSRC2:TRAP_HANDLER: 0
; COMPUTE_PGM_RSRC2:TGID_X_EN: 1
; COMPUTE_PGM_RSRC2:TGID_Y_EN: 0
; COMPUTE_PGM_RSRC2:TGID_Z_EN: 0
; COMPUTE_PGM_RSRC2:TIDIG_COMP_CNT: 0
	.section	.text._ZN7rocprim17ROCPRIM_400000_NS6detail17trampoline_kernelINS0_13select_configILj256ELj13ELNS0_17block_load_methodE3ELS4_3ELS4_3ELNS0_20block_scan_algorithmE0ELj4294967295EEENS1_25partition_config_selectorILNS1_17partition_subalgoE4EjNS0_10empty_typeEbEEZZNS1_14partition_implILS8_4ELb0ES6_15HIP_vector_typeIjLj2EENS0_17counting_iteratorIjlEEPS9_SG_NS0_5tupleIJPjSI_NS0_16reverse_iteratorISI_EEEEENSH_IJSG_SG_SG_EEES9_SI_JZNS1_25segmented_radix_sort_implINS0_14default_configELb0EPKhPhPKlPlN2at6native12_GLOBAL__N_18offset_tEEE10hipError_tPvRmT1_PNSt15iterator_traitsIS12_E10value_typeET2_T3_PNS13_IS18_E10value_typeET4_jRbjT5_S1E_jjP12ihipStream_tbEUljE_ZNSN_ISO_Lb0ESQ_SR_ST_SU_SY_EESZ_S10_S11_S12_S16_S17_S18_S1B_S1C_jS1D_jS1E_S1E_jjS1G_bEUljE0_EEESZ_S10_S11_S18_S1C_S1E_T6_T7_T9_mT8_S1G_bDpT10_ENKUlT_T0_E_clISt17integral_constantIbLb1EES1U_EEDaS1P_S1Q_EUlS1P_E_NS1_11comp_targetILNS1_3genE4ELNS1_11target_archE910ELNS1_3gpuE8ELNS1_3repE0EEENS1_30default_config_static_selectorELNS0_4arch9wavefront6targetE0EEEvS12_,"axG",@progbits,_ZN7rocprim17ROCPRIM_400000_NS6detail17trampoline_kernelINS0_13select_configILj256ELj13ELNS0_17block_load_methodE3ELS4_3ELS4_3ELNS0_20block_scan_algorithmE0ELj4294967295EEENS1_25partition_config_selectorILNS1_17partition_subalgoE4EjNS0_10empty_typeEbEEZZNS1_14partition_implILS8_4ELb0ES6_15HIP_vector_typeIjLj2EENS0_17counting_iteratorIjlEEPS9_SG_NS0_5tupleIJPjSI_NS0_16reverse_iteratorISI_EEEEENSH_IJSG_SG_SG_EEES9_SI_JZNS1_25segmented_radix_sort_implINS0_14default_configELb0EPKhPhPKlPlN2at6native12_GLOBAL__N_18offset_tEEE10hipError_tPvRmT1_PNSt15iterator_traitsIS12_E10value_typeET2_T3_PNS13_IS18_E10value_typeET4_jRbjT5_S1E_jjP12ihipStream_tbEUljE_ZNSN_ISO_Lb0ESQ_SR_ST_SU_SY_EESZ_S10_S11_S12_S16_S17_S18_S1B_S1C_jS1D_jS1E_S1E_jjS1G_bEUljE0_EEESZ_S10_S11_S18_S1C_S1E_T6_T7_T9_mT8_S1G_bDpT10_ENKUlT_T0_E_clISt17integral_constantIbLb1EES1U_EEDaS1P_S1Q_EUlS1P_E_NS1_11comp_targetILNS1_3genE4ELNS1_11target_archE910ELNS1_3gpuE8ELNS1_3repE0EEENS1_30default_config_static_selectorELNS0_4arch9wavefront6targetE0EEEvS12_,comdat
	.globl	_ZN7rocprim17ROCPRIM_400000_NS6detail17trampoline_kernelINS0_13select_configILj256ELj13ELNS0_17block_load_methodE3ELS4_3ELS4_3ELNS0_20block_scan_algorithmE0ELj4294967295EEENS1_25partition_config_selectorILNS1_17partition_subalgoE4EjNS0_10empty_typeEbEEZZNS1_14partition_implILS8_4ELb0ES6_15HIP_vector_typeIjLj2EENS0_17counting_iteratorIjlEEPS9_SG_NS0_5tupleIJPjSI_NS0_16reverse_iteratorISI_EEEEENSH_IJSG_SG_SG_EEES9_SI_JZNS1_25segmented_radix_sort_implINS0_14default_configELb0EPKhPhPKlPlN2at6native12_GLOBAL__N_18offset_tEEE10hipError_tPvRmT1_PNSt15iterator_traitsIS12_E10value_typeET2_T3_PNS13_IS18_E10value_typeET4_jRbjT5_S1E_jjP12ihipStream_tbEUljE_ZNSN_ISO_Lb0ESQ_SR_ST_SU_SY_EESZ_S10_S11_S12_S16_S17_S18_S1B_S1C_jS1D_jS1E_S1E_jjS1G_bEUljE0_EEESZ_S10_S11_S18_S1C_S1E_T6_T7_T9_mT8_S1G_bDpT10_ENKUlT_T0_E_clISt17integral_constantIbLb1EES1U_EEDaS1P_S1Q_EUlS1P_E_NS1_11comp_targetILNS1_3genE4ELNS1_11target_archE910ELNS1_3gpuE8ELNS1_3repE0EEENS1_30default_config_static_selectorELNS0_4arch9wavefront6targetE0EEEvS12_ ; -- Begin function _ZN7rocprim17ROCPRIM_400000_NS6detail17trampoline_kernelINS0_13select_configILj256ELj13ELNS0_17block_load_methodE3ELS4_3ELS4_3ELNS0_20block_scan_algorithmE0ELj4294967295EEENS1_25partition_config_selectorILNS1_17partition_subalgoE4EjNS0_10empty_typeEbEEZZNS1_14partition_implILS8_4ELb0ES6_15HIP_vector_typeIjLj2EENS0_17counting_iteratorIjlEEPS9_SG_NS0_5tupleIJPjSI_NS0_16reverse_iteratorISI_EEEEENSH_IJSG_SG_SG_EEES9_SI_JZNS1_25segmented_radix_sort_implINS0_14default_configELb0EPKhPhPKlPlN2at6native12_GLOBAL__N_18offset_tEEE10hipError_tPvRmT1_PNSt15iterator_traitsIS12_E10value_typeET2_T3_PNS13_IS18_E10value_typeET4_jRbjT5_S1E_jjP12ihipStream_tbEUljE_ZNSN_ISO_Lb0ESQ_SR_ST_SU_SY_EESZ_S10_S11_S12_S16_S17_S18_S1B_S1C_jS1D_jS1E_S1E_jjS1G_bEUljE0_EEESZ_S10_S11_S18_S1C_S1E_T6_T7_T9_mT8_S1G_bDpT10_ENKUlT_T0_E_clISt17integral_constantIbLb1EES1U_EEDaS1P_S1Q_EUlS1P_E_NS1_11comp_targetILNS1_3genE4ELNS1_11target_archE910ELNS1_3gpuE8ELNS1_3repE0EEENS1_30default_config_static_selectorELNS0_4arch9wavefront6targetE0EEEvS12_
	.p2align	8
	.type	_ZN7rocprim17ROCPRIM_400000_NS6detail17trampoline_kernelINS0_13select_configILj256ELj13ELNS0_17block_load_methodE3ELS4_3ELS4_3ELNS0_20block_scan_algorithmE0ELj4294967295EEENS1_25partition_config_selectorILNS1_17partition_subalgoE4EjNS0_10empty_typeEbEEZZNS1_14partition_implILS8_4ELb0ES6_15HIP_vector_typeIjLj2EENS0_17counting_iteratorIjlEEPS9_SG_NS0_5tupleIJPjSI_NS0_16reverse_iteratorISI_EEEEENSH_IJSG_SG_SG_EEES9_SI_JZNS1_25segmented_radix_sort_implINS0_14default_configELb0EPKhPhPKlPlN2at6native12_GLOBAL__N_18offset_tEEE10hipError_tPvRmT1_PNSt15iterator_traitsIS12_E10value_typeET2_T3_PNS13_IS18_E10value_typeET4_jRbjT5_S1E_jjP12ihipStream_tbEUljE_ZNSN_ISO_Lb0ESQ_SR_ST_SU_SY_EESZ_S10_S11_S12_S16_S17_S18_S1B_S1C_jS1D_jS1E_S1E_jjS1G_bEUljE0_EEESZ_S10_S11_S18_S1C_S1E_T6_T7_T9_mT8_S1G_bDpT10_ENKUlT_T0_E_clISt17integral_constantIbLb1EES1U_EEDaS1P_S1Q_EUlS1P_E_NS1_11comp_targetILNS1_3genE4ELNS1_11target_archE910ELNS1_3gpuE8ELNS1_3repE0EEENS1_30default_config_static_selectorELNS0_4arch9wavefront6targetE0EEEvS12_,@function
_ZN7rocprim17ROCPRIM_400000_NS6detail17trampoline_kernelINS0_13select_configILj256ELj13ELNS0_17block_load_methodE3ELS4_3ELS4_3ELNS0_20block_scan_algorithmE0ELj4294967295EEENS1_25partition_config_selectorILNS1_17partition_subalgoE4EjNS0_10empty_typeEbEEZZNS1_14partition_implILS8_4ELb0ES6_15HIP_vector_typeIjLj2EENS0_17counting_iteratorIjlEEPS9_SG_NS0_5tupleIJPjSI_NS0_16reverse_iteratorISI_EEEEENSH_IJSG_SG_SG_EEES9_SI_JZNS1_25segmented_radix_sort_implINS0_14default_configELb0EPKhPhPKlPlN2at6native12_GLOBAL__N_18offset_tEEE10hipError_tPvRmT1_PNSt15iterator_traitsIS12_E10value_typeET2_T3_PNS13_IS18_E10value_typeET4_jRbjT5_S1E_jjP12ihipStream_tbEUljE_ZNSN_ISO_Lb0ESQ_SR_ST_SU_SY_EESZ_S10_S11_S12_S16_S17_S18_S1B_S1C_jS1D_jS1E_S1E_jjS1G_bEUljE0_EEESZ_S10_S11_S18_S1C_S1E_T6_T7_T9_mT8_S1G_bDpT10_ENKUlT_T0_E_clISt17integral_constantIbLb1EES1U_EEDaS1P_S1Q_EUlS1P_E_NS1_11comp_targetILNS1_3genE4ELNS1_11target_archE910ELNS1_3gpuE8ELNS1_3repE0EEENS1_30default_config_static_selectorELNS0_4arch9wavefront6targetE0EEEvS12_: ; @_ZN7rocprim17ROCPRIM_400000_NS6detail17trampoline_kernelINS0_13select_configILj256ELj13ELNS0_17block_load_methodE3ELS4_3ELS4_3ELNS0_20block_scan_algorithmE0ELj4294967295EEENS1_25partition_config_selectorILNS1_17partition_subalgoE4EjNS0_10empty_typeEbEEZZNS1_14partition_implILS8_4ELb0ES6_15HIP_vector_typeIjLj2EENS0_17counting_iteratorIjlEEPS9_SG_NS0_5tupleIJPjSI_NS0_16reverse_iteratorISI_EEEEENSH_IJSG_SG_SG_EEES9_SI_JZNS1_25segmented_radix_sort_implINS0_14default_configELb0EPKhPhPKlPlN2at6native12_GLOBAL__N_18offset_tEEE10hipError_tPvRmT1_PNSt15iterator_traitsIS12_E10value_typeET2_T3_PNS13_IS18_E10value_typeET4_jRbjT5_S1E_jjP12ihipStream_tbEUljE_ZNSN_ISO_Lb0ESQ_SR_ST_SU_SY_EESZ_S10_S11_S12_S16_S17_S18_S1B_S1C_jS1D_jS1E_S1E_jjS1G_bEUljE0_EEESZ_S10_S11_S18_S1C_S1E_T6_T7_T9_mT8_S1G_bDpT10_ENKUlT_T0_E_clISt17integral_constantIbLb1EES1U_EEDaS1P_S1Q_EUlS1P_E_NS1_11comp_targetILNS1_3genE4ELNS1_11target_archE910ELNS1_3gpuE8ELNS1_3repE0EEENS1_30default_config_static_selectorELNS0_4arch9wavefront6targetE0EEEvS12_
; %bb.0:
	.section	.rodata,"a",@progbits
	.p2align	6, 0x0
	.amdhsa_kernel _ZN7rocprim17ROCPRIM_400000_NS6detail17trampoline_kernelINS0_13select_configILj256ELj13ELNS0_17block_load_methodE3ELS4_3ELS4_3ELNS0_20block_scan_algorithmE0ELj4294967295EEENS1_25partition_config_selectorILNS1_17partition_subalgoE4EjNS0_10empty_typeEbEEZZNS1_14partition_implILS8_4ELb0ES6_15HIP_vector_typeIjLj2EENS0_17counting_iteratorIjlEEPS9_SG_NS0_5tupleIJPjSI_NS0_16reverse_iteratorISI_EEEEENSH_IJSG_SG_SG_EEES9_SI_JZNS1_25segmented_radix_sort_implINS0_14default_configELb0EPKhPhPKlPlN2at6native12_GLOBAL__N_18offset_tEEE10hipError_tPvRmT1_PNSt15iterator_traitsIS12_E10value_typeET2_T3_PNS13_IS18_E10value_typeET4_jRbjT5_S1E_jjP12ihipStream_tbEUljE_ZNSN_ISO_Lb0ESQ_SR_ST_SU_SY_EESZ_S10_S11_S12_S16_S17_S18_S1B_S1C_jS1D_jS1E_S1E_jjS1G_bEUljE0_EEESZ_S10_S11_S18_S1C_S1E_T6_T7_T9_mT8_S1G_bDpT10_ENKUlT_T0_E_clISt17integral_constantIbLb1EES1U_EEDaS1P_S1Q_EUlS1P_E_NS1_11comp_targetILNS1_3genE4ELNS1_11target_archE910ELNS1_3gpuE8ELNS1_3repE0EEENS1_30default_config_static_selectorELNS0_4arch9wavefront6targetE0EEEvS12_
		.amdhsa_group_segment_fixed_size 0
		.amdhsa_private_segment_fixed_size 0
		.amdhsa_kernarg_size 184
		.amdhsa_user_sgpr_count 2
		.amdhsa_user_sgpr_dispatch_ptr 0
		.amdhsa_user_sgpr_queue_ptr 0
		.amdhsa_user_sgpr_kernarg_segment_ptr 1
		.amdhsa_user_sgpr_dispatch_id 0
		.amdhsa_user_sgpr_kernarg_preload_length 0
		.amdhsa_user_sgpr_kernarg_preload_offset 0
		.amdhsa_user_sgpr_private_segment_size 0
		.amdhsa_wavefront_size32 1
		.amdhsa_uses_dynamic_stack 0
		.amdhsa_enable_private_segment 0
		.amdhsa_system_sgpr_workgroup_id_x 1
		.amdhsa_system_sgpr_workgroup_id_y 0
		.amdhsa_system_sgpr_workgroup_id_z 0
		.amdhsa_system_sgpr_workgroup_info 0
		.amdhsa_system_vgpr_workitem_id 0
		.amdhsa_next_free_vgpr 1
		.amdhsa_next_free_sgpr 1
		.amdhsa_named_barrier_count 0
		.amdhsa_reserve_vcc 0
		.amdhsa_float_round_mode_32 0
		.amdhsa_float_round_mode_16_64 0
		.amdhsa_float_denorm_mode_32 3
		.amdhsa_float_denorm_mode_16_64 3
		.amdhsa_fp16_overflow 0
		.amdhsa_memory_ordered 1
		.amdhsa_forward_progress 1
		.amdhsa_inst_pref_size 0
		.amdhsa_round_robin_scheduling 0
		.amdhsa_exception_fp_ieee_invalid_op 0
		.amdhsa_exception_fp_denorm_src 0
		.amdhsa_exception_fp_ieee_div_zero 0
		.amdhsa_exception_fp_ieee_overflow 0
		.amdhsa_exception_fp_ieee_underflow 0
		.amdhsa_exception_fp_ieee_inexact 0
		.amdhsa_exception_int_div_zero 0
	.end_amdhsa_kernel
	.section	.text._ZN7rocprim17ROCPRIM_400000_NS6detail17trampoline_kernelINS0_13select_configILj256ELj13ELNS0_17block_load_methodE3ELS4_3ELS4_3ELNS0_20block_scan_algorithmE0ELj4294967295EEENS1_25partition_config_selectorILNS1_17partition_subalgoE4EjNS0_10empty_typeEbEEZZNS1_14partition_implILS8_4ELb0ES6_15HIP_vector_typeIjLj2EENS0_17counting_iteratorIjlEEPS9_SG_NS0_5tupleIJPjSI_NS0_16reverse_iteratorISI_EEEEENSH_IJSG_SG_SG_EEES9_SI_JZNS1_25segmented_radix_sort_implINS0_14default_configELb0EPKhPhPKlPlN2at6native12_GLOBAL__N_18offset_tEEE10hipError_tPvRmT1_PNSt15iterator_traitsIS12_E10value_typeET2_T3_PNS13_IS18_E10value_typeET4_jRbjT5_S1E_jjP12ihipStream_tbEUljE_ZNSN_ISO_Lb0ESQ_SR_ST_SU_SY_EESZ_S10_S11_S12_S16_S17_S18_S1B_S1C_jS1D_jS1E_S1E_jjS1G_bEUljE0_EEESZ_S10_S11_S18_S1C_S1E_T6_T7_T9_mT8_S1G_bDpT10_ENKUlT_T0_E_clISt17integral_constantIbLb1EES1U_EEDaS1P_S1Q_EUlS1P_E_NS1_11comp_targetILNS1_3genE4ELNS1_11target_archE910ELNS1_3gpuE8ELNS1_3repE0EEENS1_30default_config_static_selectorELNS0_4arch9wavefront6targetE0EEEvS12_,"axG",@progbits,_ZN7rocprim17ROCPRIM_400000_NS6detail17trampoline_kernelINS0_13select_configILj256ELj13ELNS0_17block_load_methodE3ELS4_3ELS4_3ELNS0_20block_scan_algorithmE0ELj4294967295EEENS1_25partition_config_selectorILNS1_17partition_subalgoE4EjNS0_10empty_typeEbEEZZNS1_14partition_implILS8_4ELb0ES6_15HIP_vector_typeIjLj2EENS0_17counting_iteratorIjlEEPS9_SG_NS0_5tupleIJPjSI_NS0_16reverse_iteratorISI_EEEEENSH_IJSG_SG_SG_EEES9_SI_JZNS1_25segmented_radix_sort_implINS0_14default_configELb0EPKhPhPKlPlN2at6native12_GLOBAL__N_18offset_tEEE10hipError_tPvRmT1_PNSt15iterator_traitsIS12_E10value_typeET2_T3_PNS13_IS18_E10value_typeET4_jRbjT5_S1E_jjP12ihipStream_tbEUljE_ZNSN_ISO_Lb0ESQ_SR_ST_SU_SY_EESZ_S10_S11_S12_S16_S17_S18_S1B_S1C_jS1D_jS1E_S1E_jjS1G_bEUljE0_EEESZ_S10_S11_S18_S1C_S1E_T6_T7_T9_mT8_S1G_bDpT10_ENKUlT_T0_E_clISt17integral_constantIbLb1EES1U_EEDaS1P_S1Q_EUlS1P_E_NS1_11comp_targetILNS1_3genE4ELNS1_11target_archE910ELNS1_3gpuE8ELNS1_3repE0EEENS1_30default_config_static_selectorELNS0_4arch9wavefront6targetE0EEEvS12_,comdat
.Lfunc_end131:
	.size	_ZN7rocprim17ROCPRIM_400000_NS6detail17trampoline_kernelINS0_13select_configILj256ELj13ELNS0_17block_load_methodE3ELS4_3ELS4_3ELNS0_20block_scan_algorithmE0ELj4294967295EEENS1_25partition_config_selectorILNS1_17partition_subalgoE4EjNS0_10empty_typeEbEEZZNS1_14partition_implILS8_4ELb0ES6_15HIP_vector_typeIjLj2EENS0_17counting_iteratorIjlEEPS9_SG_NS0_5tupleIJPjSI_NS0_16reverse_iteratorISI_EEEEENSH_IJSG_SG_SG_EEES9_SI_JZNS1_25segmented_radix_sort_implINS0_14default_configELb0EPKhPhPKlPlN2at6native12_GLOBAL__N_18offset_tEEE10hipError_tPvRmT1_PNSt15iterator_traitsIS12_E10value_typeET2_T3_PNS13_IS18_E10value_typeET4_jRbjT5_S1E_jjP12ihipStream_tbEUljE_ZNSN_ISO_Lb0ESQ_SR_ST_SU_SY_EESZ_S10_S11_S12_S16_S17_S18_S1B_S1C_jS1D_jS1E_S1E_jjS1G_bEUljE0_EEESZ_S10_S11_S18_S1C_S1E_T6_T7_T9_mT8_S1G_bDpT10_ENKUlT_T0_E_clISt17integral_constantIbLb1EES1U_EEDaS1P_S1Q_EUlS1P_E_NS1_11comp_targetILNS1_3genE4ELNS1_11target_archE910ELNS1_3gpuE8ELNS1_3repE0EEENS1_30default_config_static_selectorELNS0_4arch9wavefront6targetE0EEEvS12_, .Lfunc_end131-_ZN7rocprim17ROCPRIM_400000_NS6detail17trampoline_kernelINS0_13select_configILj256ELj13ELNS0_17block_load_methodE3ELS4_3ELS4_3ELNS0_20block_scan_algorithmE0ELj4294967295EEENS1_25partition_config_selectorILNS1_17partition_subalgoE4EjNS0_10empty_typeEbEEZZNS1_14partition_implILS8_4ELb0ES6_15HIP_vector_typeIjLj2EENS0_17counting_iteratorIjlEEPS9_SG_NS0_5tupleIJPjSI_NS0_16reverse_iteratorISI_EEEEENSH_IJSG_SG_SG_EEES9_SI_JZNS1_25segmented_radix_sort_implINS0_14default_configELb0EPKhPhPKlPlN2at6native12_GLOBAL__N_18offset_tEEE10hipError_tPvRmT1_PNSt15iterator_traitsIS12_E10value_typeET2_T3_PNS13_IS18_E10value_typeET4_jRbjT5_S1E_jjP12ihipStream_tbEUljE_ZNSN_ISO_Lb0ESQ_SR_ST_SU_SY_EESZ_S10_S11_S12_S16_S17_S18_S1B_S1C_jS1D_jS1E_S1E_jjS1G_bEUljE0_EEESZ_S10_S11_S18_S1C_S1E_T6_T7_T9_mT8_S1G_bDpT10_ENKUlT_T0_E_clISt17integral_constantIbLb1EES1U_EEDaS1P_S1Q_EUlS1P_E_NS1_11comp_targetILNS1_3genE4ELNS1_11target_archE910ELNS1_3gpuE8ELNS1_3repE0EEENS1_30default_config_static_selectorELNS0_4arch9wavefront6targetE0EEEvS12_
                                        ; -- End function
	.set _ZN7rocprim17ROCPRIM_400000_NS6detail17trampoline_kernelINS0_13select_configILj256ELj13ELNS0_17block_load_methodE3ELS4_3ELS4_3ELNS0_20block_scan_algorithmE0ELj4294967295EEENS1_25partition_config_selectorILNS1_17partition_subalgoE4EjNS0_10empty_typeEbEEZZNS1_14partition_implILS8_4ELb0ES6_15HIP_vector_typeIjLj2EENS0_17counting_iteratorIjlEEPS9_SG_NS0_5tupleIJPjSI_NS0_16reverse_iteratorISI_EEEEENSH_IJSG_SG_SG_EEES9_SI_JZNS1_25segmented_radix_sort_implINS0_14default_configELb0EPKhPhPKlPlN2at6native12_GLOBAL__N_18offset_tEEE10hipError_tPvRmT1_PNSt15iterator_traitsIS12_E10value_typeET2_T3_PNS13_IS18_E10value_typeET4_jRbjT5_S1E_jjP12ihipStream_tbEUljE_ZNSN_ISO_Lb0ESQ_SR_ST_SU_SY_EESZ_S10_S11_S12_S16_S17_S18_S1B_S1C_jS1D_jS1E_S1E_jjS1G_bEUljE0_EEESZ_S10_S11_S18_S1C_S1E_T6_T7_T9_mT8_S1G_bDpT10_ENKUlT_T0_E_clISt17integral_constantIbLb1EES1U_EEDaS1P_S1Q_EUlS1P_E_NS1_11comp_targetILNS1_3genE4ELNS1_11target_archE910ELNS1_3gpuE8ELNS1_3repE0EEENS1_30default_config_static_selectorELNS0_4arch9wavefront6targetE0EEEvS12_.num_vgpr, 0
	.set _ZN7rocprim17ROCPRIM_400000_NS6detail17trampoline_kernelINS0_13select_configILj256ELj13ELNS0_17block_load_methodE3ELS4_3ELS4_3ELNS0_20block_scan_algorithmE0ELj4294967295EEENS1_25partition_config_selectorILNS1_17partition_subalgoE4EjNS0_10empty_typeEbEEZZNS1_14partition_implILS8_4ELb0ES6_15HIP_vector_typeIjLj2EENS0_17counting_iteratorIjlEEPS9_SG_NS0_5tupleIJPjSI_NS0_16reverse_iteratorISI_EEEEENSH_IJSG_SG_SG_EEES9_SI_JZNS1_25segmented_radix_sort_implINS0_14default_configELb0EPKhPhPKlPlN2at6native12_GLOBAL__N_18offset_tEEE10hipError_tPvRmT1_PNSt15iterator_traitsIS12_E10value_typeET2_T3_PNS13_IS18_E10value_typeET4_jRbjT5_S1E_jjP12ihipStream_tbEUljE_ZNSN_ISO_Lb0ESQ_SR_ST_SU_SY_EESZ_S10_S11_S12_S16_S17_S18_S1B_S1C_jS1D_jS1E_S1E_jjS1G_bEUljE0_EEESZ_S10_S11_S18_S1C_S1E_T6_T7_T9_mT8_S1G_bDpT10_ENKUlT_T0_E_clISt17integral_constantIbLb1EES1U_EEDaS1P_S1Q_EUlS1P_E_NS1_11comp_targetILNS1_3genE4ELNS1_11target_archE910ELNS1_3gpuE8ELNS1_3repE0EEENS1_30default_config_static_selectorELNS0_4arch9wavefront6targetE0EEEvS12_.num_agpr, 0
	.set _ZN7rocprim17ROCPRIM_400000_NS6detail17trampoline_kernelINS0_13select_configILj256ELj13ELNS0_17block_load_methodE3ELS4_3ELS4_3ELNS0_20block_scan_algorithmE0ELj4294967295EEENS1_25partition_config_selectorILNS1_17partition_subalgoE4EjNS0_10empty_typeEbEEZZNS1_14partition_implILS8_4ELb0ES6_15HIP_vector_typeIjLj2EENS0_17counting_iteratorIjlEEPS9_SG_NS0_5tupleIJPjSI_NS0_16reverse_iteratorISI_EEEEENSH_IJSG_SG_SG_EEES9_SI_JZNS1_25segmented_radix_sort_implINS0_14default_configELb0EPKhPhPKlPlN2at6native12_GLOBAL__N_18offset_tEEE10hipError_tPvRmT1_PNSt15iterator_traitsIS12_E10value_typeET2_T3_PNS13_IS18_E10value_typeET4_jRbjT5_S1E_jjP12ihipStream_tbEUljE_ZNSN_ISO_Lb0ESQ_SR_ST_SU_SY_EESZ_S10_S11_S12_S16_S17_S18_S1B_S1C_jS1D_jS1E_S1E_jjS1G_bEUljE0_EEESZ_S10_S11_S18_S1C_S1E_T6_T7_T9_mT8_S1G_bDpT10_ENKUlT_T0_E_clISt17integral_constantIbLb1EES1U_EEDaS1P_S1Q_EUlS1P_E_NS1_11comp_targetILNS1_3genE4ELNS1_11target_archE910ELNS1_3gpuE8ELNS1_3repE0EEENS1_30default_config_static_selectorELNS0_4arch9wavefront6targetE0EEEvS12_.numbered_sgpr, 0
	.set _ZN7rocprim17ROCPRIM_400000_NS6detail17trampoline_kernelINS0_13select_configILj256ELj13ELNS0_17block_load_methodE3ELS4_3ELS4_3ELNS0_20block_scan_algorithmE0ELj4294967295EEENS1_25partition_config_selectorILNS1_17partition_subalgoE4EjNS0_10empty_typeEbEEZZNS1_14partition_implILS8_4ELb0ES6_15HIP_vector_typeIjLj2EENS0_17counting_iteratorIjlEEPS9_SG_NS0_5tupleIJPjSI_NS0_16reverse_iteratorISI_EEEEENSH_IJSG_SG_SG_EEES9_SI_JZNS1_25segmented_radix_sort_implINS0_14default_configELb0EPKhPhPKlPlN2at6native12_GLOBAL__N_18offset_tEEE10hipError_tPvRmT1_PNSt15iterator_traitsIS12_E10value_typeET2_T3_PNS13_IS18_E10value_typeET4_jRbjT5_S1E_jjP12ihipStream_tbEUljE_ZNSN_ISO_Lb0ESQ_SR_ST_SU_SY_EESZ_S10_S11_S12_S16_S17_S18_S1B_S1C_jS1D_jS1E_S1E_jjS1G_bEUljE0_EEESZ_S10_S11_S18_S1C_S1E_T6_T7_T9_mT8_S1G_bDpT10_ENKUlT_T0_E_clISt17integral_constantIbLb1EES1U_EEDaS1P_S1Q_EUlS1P_E_NS1_11comp_targetILNS1_3genE4ELNS1_11target_archE910ELNS1_3gpuE8ELNS1_3repE0EEENS1_30default_config_static_selectorELNS0_4arch9wavefront6targetE0EEEvS12_.num_named_barrier, 0
	.set _ZN7rocprim17ROCPRIM_400000_NS6detail17trampoline_kernelINS0_13select_configILj256ELj13ELNS0_17block_load_methodE3ELS4_3ELS4_3ELNS0_20block_scan_algorithmE0ELj4294967295EEENS1_25partition_config_selectorILNS1_17partition_subalgoE4EjNS0_10empty_typeEbEEZZNS1_14partition_implILS8_4ELb0ES6_15HIP_vector_typeIjLj2EENS0_17counting_iteratorIjlEEPS9_SG_NS0_5tupleIJPjSI_NS0_16reverse_iteratorISI_EEEEENSH_IJSG_SG_SG_EEES9_SI_JZNS1_25segmented_radix_sort_implINS0_14default_configELb0EPKhPhPKlPlN2at6native12_GLOBAL__N_18offset_tEEE10hipError_tPvRmT1_PNSt15iterator_traitsIS12_E10value_typeET2_T3_PNS13_IS18_E10value_typeET4_jRbjT5_S1E_jjP12ihipStream_tbEUljE_ZNSN_ISO_Lb0ESQ_SR_ST_SU_SY_EESZ_S10_S11_S12_S16_S17_S18_S1B_S1C_jS1D_jS1E_S1E_jjS1G_bEUljE0_EEESZ_S10_S11_S18_S1C_S1E_T6_T7_T9_mT8_S1G_bDpT10_ENKUlT_T0_E_clISt17integral_constantIbLb1EES1U_EEDaS1P_S1Q_EUlS1P_E_NS1_11comp_targetILNS1_3genE4ELNS1_11target_archE910ELNS1_3gpuE8ELNS1_3repE0EEENS1_30default_config_static_selectorELNS0_4arch9wavefront6targetE0EEEvS12_.private_seg_size, 0
	.set _ZN7rocprim17ROCPRIM_400000_NS6detail17trampoline_kernelINS0_13select_configILj256ELj13ELNS0_17block_load_methodE3ELS4_3ELS4_3ELNS0_20block_scan_algorithmE0ELj4294967295EEENS1_25partition_config_selectorILNS1_17partition_subalgoE4EjNS0_10empty_typeEbEEZZNS1_14partition_implILS8_4ELb0ES6_15HIP_vector_typeIjLj2EENS0_17counting_iteratorIjlEEPS9_SG_NS0_5tupleIJPjSI_NS0_16reverse_iteratorISI_EEEEENSH_IJSG_SG_SG_EEES9_SI_JZNS1_25segmented_radix_sort_implINS0_14default_configELb0EPKhPhPKlPlN2at6native12_GLOBAL__N_18offset_tEEE10hipError_tPvRmT1_PNSt15iterator_traitsIS12_E10value_typeET2_T3_PNS13_IS18_E10value_typeET4_jRbjT5_S1E_jjP12ihipStream_tbEUljE_ZNSN_ISO_Lb0ESQ_SR_ST_SU_SY_EESZ_S10_S11_S12_S16_S17_S18_S1B_S1C_jS1D_jS1E_S1E_jjS1G_bEUljE0_EEESZ_S10_S11_S18_S1C_S1E_T6_T7_T9_mT8_S1G_bDpT10_ENKUlT_T0_E_clISt17integral_constantIbLb1EES1U_EEDaS1P_S1Q_EUlS1P_E_NS1_11comp_targetILNS1_3genE4ELNS1_11target_archE910ELNS1_3gpuE8ELNS1_3repE0EEENS1_30default_config_static_selectorELNS0_4arch9wavefront6targetE0EEEvS12_.uses_vcc, 0
	.set _ZN7rocprim17ROCPRIM_400000_NS6detail17trampoline_kernelINS0_13select_configILj256ELj13ELNS0_17block_load_methodE3ELS4_3ELS4_3ELNS0_20block_scan_algorithmE0ELj4294967295EEENS1_25partition_config_selectorILNS1_17partition_subalgoE4EjNS0_10empty_typeEbEEZZNS1_14partition_implILS8_4ELb0ES6_15HIP_vector_typeIjLj2EENS0_17counting_iteratorIjlEEPS9_SG_NS0_5tupleIJPjSI_NS0_16reverse_iteratorISI_EEEEENSH_IJSG_SG_SG_EEES9_SI_JZNS1_25segmented_radix_sort_implINS0_14default_configELb0EPKhPhPKlPlN2at6native12_GLOBAL__N_18offset_tEEE10hipError_tPvRmT1_PNSt15iterator_traitsIS12_E10value_typeET2_T3_PNS13_IS18_E10value_typeET4_jRbjT5_S1E_jjP12ihipStream_tbEUljE_ZNSN_ISO_Lb0ESQ_SR_ST_SU_SY_EESZ_S10_S11_S12_S16_S17_S18_S1B_S1C_jS1D_jS1E_S1E_jjS1G_bEUljE0_EEESZ_S10_S11_S18_S1C_S1E_T6_T7_T9_mT8_S1G_bDpT10_ENKUlT_T0_E_clISt17integral_constantIbLb1EES1U_EEDaS1P_S1Q_EUlS1P_E_NS1_11comp_targetILNS1_3genE4ELNS1_11target_archE910ELNS1_3gpuE8ELNS1_3repE0EEENS1_30default_config_static_selectorELNS0_4arch9wavefront6targetE0EEEvS12_.uses_flat_scratch, 0
	.set _ZN7rocprim17ROCPRIM_400000_NS6detail17trampoline_kernelINS0_13select_configILj256ELj13ELNS0_17block_load_methodE3ELS4_3ELS4_3ELNS0_20block_scan_algorithmE0ELj4294967295EEENS1_25partition_config_selectorILNS1_17partition_subalgoE4EjNS0_10empty_typeEbEEZZNS1_14partition_implILS8_4ELb0ES6_15HIP_vector_typeIjLj2EENS0_17counting_iteratorIjlEEPS9_SG_NS0_5tupleIJPjSI_NS0_16reverse_iteratorISI_EEEEENSH_IJSG_SG_SG_EEES9_SI_JZNS1_25segmented_radix_sort_implINS0_14default_configELb0EPKhPhPKlPlN2at6native12_GLOBAL__N_18offset_tEEE10hipError_tPvRmT1_PNSt15iterator_traitsIS12_E10value_typeET2_T3_PNS13_IS18_E10value_typeET4_jRbjT5_S1E_jjP12ihipStream_tbEUljE_ZNSN_ISO_Lb0ESQ_SR_ST_SU_SY_EESZ_S10_S11_S12_S16_S17_S18_S1B_S1C_jS1D_jS1E_S1E_jjS1G_bEUljE0_EEESZ_S10_S11_S18_S1C_S1E_T6_T7_T9_mT8_S1G_bDpT10_ENKUlT_T0_E_clISt17integral_constantIbLb1EES1U_EEDaS1P_S1Q_EUlS1P_E_NS1_11comp_targetILNS1_3genE4ELNS1_11target_archE910ELNS1_3gpuE8ELNS1_3repE0EEENS1_30default_config_static_selectorELNS0_4arch9wavefront6targetE0EEEvS12_.has_dyn_sized_stack, 0
	.set _ZN7rocprim17ROCPRIM_400000_NS6detail17trampoline_kernelINS0_13select_configILj256ELj13ELNS0_17block_load_methodE3ELS4_3ELS4_3ELNS0_20block_scan_algorithmE0ELj4294967295EEENS1_25partition_config_selectorILNS1_17partition_subalgoE4EjNS0_10empty_typeEbEEZZNS1_14partition_implILS8_4ELb0ES6_15HIP_vector_typeIjLj2EENS0_17counting_iteratorIjlEEPS9_SG_NS0_5tupleIJPjSI_NS0_16reverse_iteratorISI_EEEEENSH_IJSG_SG_SG_EEES9_SI_JZNS1_25segmented_radix_sort_implINS0_14default_configELb0EPKhPhPKlPlN2at6native12_GLOBAL__N_18offset_tEEE10hipError_tPvRmT1_PNSt15iterator_traitsIS12_E10value_typeET2_T3_PNS13_IS18_E10value_typeET4_jRbjT5_S1E_jjP12ihipStream_tbEUljE_ZNSN_ISO_Lb0ESQ_SR_ST_SU_SY_EESZ_S10_S11_S12_S16_S17_S18_S1B_S1C_jS1D_jS1E_S1E_jjS1G_bEUljE0_EEESZ_S10_S11_S18_S1C_S1E_T6_T7_T9_mT8_S1G_bDpT10_ENKUlT_T0_E_clISt17integral_constantIbLb1EES1U_EEDaS1P_S1Q_EUlS1P_E_NS1_11comp_targetILNS1_3genE4ELNS1_11target_archE910ELNS1_3gpuE8ELNS1_3repE0EEENS1_30default_config_static_selectorELNS0_4arch9wavefront6targetE0EEEvS12_.has_recursion, 0
	.set _ZN7rocprim17ROCPRIM_400000_NS6detail17trampoline_kernelINS0_13select_configILj256ELj13ELNS0_17block_load_methodE3ELS4_3ELS4_3ELNS0_20block_scan_algorithmE0ELj4294967295EEENS1_25partition_config_selectorILNS1_17partition_subalgoE4EjNS0_10empty_typeEbEEZZNS1_14partition_implILS8_4ELb0ES6_15HIP_vector_typeIjLj2EENS0_17counting_iteratorIjlEEPS9_SG_NS0_5tupleIJPjSI_NS0_16reverse_iteratorISI_EEEEENSH_IJSG_SG_SG_EEES9_SI_JZNS1_25segmented_radix_sort_implINS0_14default_configELb0EPKhPhPKlPlN2at6native12_GLOBAL__N_18offset_tEEE10hipError_tPvRmT1_PNSt15iterator_traitsIS12_E10value_typeET2_T3_PNS13_IS18_E10value_typeET4_jRbjT5_S1E_jjP12ihipStream_tbEUljE_ZNSN_ISO_Lb0ESQ_SR_ST_SU_SY_EESZ_S10_S11_S12_S16_S17_S18_S1B_S1C_jS1D_jS1E_S1E_jjS1G_bEUljE0_EEESZ_S10_S11_S18_S1C_S1E_T6_T7_T9_mT8_S1G_bDpT10_ENKUlT_T0_E_clISt17integral_constantIbLb1EES1U_EEDaS1P_S1Q_EUlS1P_E_NS1_11comp_targetILNS1_3genE4ELNS1_11target_archE910ELNS1_3gpuE8ELNS1_3repE0EEENS1_30default_config_static_selectorELNS0_4arch9wavefront6targetE0EEEvS12_.has_indirect_call, 0
	.section	.AMDGPU.csdata,"",@progbits
; Kernel info:
; codeLenInByte = 0
; TotalNumSgprs: 0
; NumVgprs: 0
; ScratchSize: 0
; MemoryBound: 0
; FloatMode: 240
; IeeeMode: 1
; LDSByteSize: 0 bytes/workgroup (compile time only)
; SGPRBlocks: 0
; VGPRBlocks: 0
; NumSGPRsForWavesPerEU: 1
; NumVGPRsForWavesPerEU: 1
; NamedBarCnt: 0
; Occupancy: 16
; WaveLimiterHint : 0
; COMPUTE_PGM_RSRC2:SCRATCH_EN: 0
; COMPUTE_PGM_RSRC2:USER_SGPR: 2
; COMPUTE_PGM_RSRC2:TRAP_HANDLER: 0
; COMPUTE_PGM_RSRC2:TGID_X_EN: 1
; COMPUTE_PGM_RSRC2:TGID_Y_EN: 0
; COMPUTE_PGM_RSRC2:TGID_Z_EN: 0
; COMPUTE_PGM_RSRC2:TIDIG_COMP_CNT: 0
	.section	.text._ZN7rocprim17ROCPRIM_400000_NS6detail17trampoline_kernelINS0_13select_configILj256ELj13ELNS0_17block_load_methodE3ELS4_3ELS4_3ELNS0_20block_scan_algorithmE0ELj4294967295EEENS1_25partition_config_selectorILNS1_17partition_subalgoE4EjNS0_10empty_typeEbEEZZNS1_14partition_implILS8_4ELb0ES6_15HIP_vector_typeIjLj2EENS0_17counting_iteratorIjlEEPS9_SG_NS0_5tupleIJPjSI_NS0_16reverse_iteratorISI_EEEEENSH_IJSG_SG_SG_EEES9_SI_JZNS1_25segmented_radix_sort_implINS0_14default_configELb0EPKhPhPKlPlN2at6native12_GLOBAL__N_18offset_tEEE10hipError_tPvRmT1_PNSt15iterator_traitsIS12_E10value_typeET2_T3_PNS13_IS18_E10value_typeET4_jRbjT5_S1E_jjP12ihipStream_tbEUljE_ZNSN_ISO_Lb0ESQ_SR_ST_SU_SY_EESZ_S10_S11_S12_S16_S17_S18_S1B_S1C_jS1D_jS1E_S1E_jjS1G_bEUljE0_EEESZ_S10_S11_S18_S1C_S1E_T6_T7_T9_mT8_S1G_bDpT10_ENKUlT_T0_E_clISt17integral_constantIbLb1EES1U_EEDaS1P_S1Q_EUlS1P_E_NS1_11comp_targetILNS1_3genE3ELNS1_11target_archE908ELNS1_3gpuE7ELNS1_3repE0EEENS1_30default_config_static_selectorELNS0_4arch9wavefront6targetE0EEEvS12_,"axG",@progbits,_ZN7rocprim17ROCPRIM_400000_NS6detail17trampoline_kernelINS0_13select_configILj256ELj13ELNS0_17block_load_methodE3ELS4_3ELS4_3ELNS0_20block_scan_algorithmE0ELj4294967295EEENS1_25partition_config_selectorILNS1_17partition_subalgoE4EjNS0_10empty_typeEbEEZZNS1_14partition_implILS8_4ELb0ES6_15HIP_vector_typeIjLj2EENS0_17counting_iteratorIjlEEPS9_SG_NS0_5tupleIJPjSI_NS0_16reverse_iteratorISI_EEEEENSH_IJSG_SG_SG_EEES9_SI_JZNS1_25segmented_radix_sort_implINS0_14default_configELb0EPKhPhPKlPlN2at6native12_GLOBAL__N_18offset_tEEE10hipError_tPvRmT1_PNSt15iterator_traitsIS12_E10value_typeET2_T3_PNS13_IS18_E10value_typeET4_jRbjT5_S1E_jjP12ihipStream_tbEUljE_ZNSN_ISO_Lb0ESQ_SR_ST_SU_SY_EESZ_S10_S11_S12_S16_S17_S18_S1B_S1C_jS1D_jS1E_S1E_jjS1G_bEUljE0_EEESZ_S10_S11_S18_S1C_S1E_T6_T7_T9_mT8_S1G_bDpT10_ENKUlT_T0_E_clISt17integral_constantIbLb1EES1U_EEDaS1P_S1Q_EUlS1P_E_NS1_11comp_targetILNS1_3genE3ELNS1_11target_archE908ELNS1_3gpuE7ELNS1_3repE0EEENS1_30default_config_static_selectorELNS0_4arch9wavefront6targetE0EEEvS12_,comdat
	.globl	_ZN7rocprim17ROCPRIM_400000_NS6detail17trampoline_kernelINS0_13select_configILj256ELj13ELNS0_17block_load_methodE3ELS4_3ELS4_3ELNS0_20block_scan_algorithmE0ELj4294967295EEENS1_25partition_config_selectorILNS1_17partition_subalgoE4EjNS0_10empty_typeEbEEZZNS1_14partition_implILS8_4ELb0ES6_15HIP_vector_typeIjLj2EENS0_17counting_iteratorIjlEEPS9_SG_NS0_5tupleIJPjSI_NS0_16reverse_iteratorISI_EEEEENSH_IJSG_SG_SG_EEES9_SI_JZNS1_25segmented_radix_sort_implINS0_14default_configELb0EPKhPhPKlPlN2at6native12_GLOBAL__N_18offset_tEEE10hipError_tPvRmT1_PNSt15iterator_traitsIS12_E10value_typeET2_T3_PNS13_IS18_E10value_typeET4_jRbjT5_S1E_jjP12ihipStream_tbEUljE_ZNSN_ISO_Lb0ESQ_SR_ST_SU_SY_EESZ_S10_S11_S12_S16_S17_S18_S1B_S1C_jS1D_jS1E_S1E_jjS1G_bEUljE0_EEESZ_S10_S11_S18_S1C_S1E_T6_T7_T9_mT8_S1G_bDpT10_ENKUlT_T0_E_clISt17integral_constantIbLb1EES1U_EEDaS1P_S1Q_EUlS1P_E_NS1_11comp_targetILNS1_3genE3ELNS1_11target_archE908ELNS1_3gpuE7ELNS1_3repE0EEENS1_30default_config_static_selectorELNS0_4arch9wavefront6targetE0EEEvS12_ ; -- Begin function _ZN7rocprim17ROCPRIM_400000_NS6detail17trampoline_kernelINS0_13select_configILj256ELj13ELNS0_17block_load_methodE3ELS4_3ELS4_3ELNS0_20block_scan_algorithmE0ELj4294967295EEENS1_25partition_config_selectorILNS1_17partition_subalgoE4EjNS0_10empty_typeEbEEZZNS1_14partition_implILS8_4ELb0ES6_15HIP_vector_typeIjLj2EENS0_17counting_iteratorIjlEEPS9_SG_NS0_5tupleIJPjSI_NS0_16reverse_iteratorISI_EEEEENSH_IJSG_SG_SG_EEES9_SI_JZNS1_25segmented_radix_sort_implINS0_14default_configELb0EPKhPhPKlPlN2at6native12_GLOBAL__N_18offset_tEEE10hipError_tPvRmT1_PNSt15iterator_traitsIS12_E10value_typeET2_T3_PNS13_IS18_E10value_typeET4_jRbjT5_S1E_jjP12ihipStream_tbEUljE_ZNSN_ISO_Lb0ESQ_SR_ST_SU_SY_EESZ_S10_S11_S12_S16_S17_S18_S1B_S1C_jS1D_jS1E_S1E_jjS1G_bEUljE0_EEESZ_S10_S11_S18_S1C_S1E_T6_T7_T9_mT8_S1G_bDpT10_ENKUlT_T0_E_clISt17integral_constantIbLb1EES1U_EEDaS1P_S1Q_EUlS1P_E_NS1_11comp_targetILNS1_3genE3ELNS1_11target_archE908ELNS1_3gpuE7ELNS1_3repE0EEENS1_30default_config_static_selectorELNS0_4arch9wavefront6targetE0EEEvS12_
	.p2align	8
	.type	_ZN7rocprim17ROCPRIM_400000_NS6detail17trampoline_kernelINS0_13select_configILj256ELj13ELNS0_17block_load_methodE3ELS4_3ELS4_3ELNS0_20block_scan_algorithmE0ELj4294967295EEENS1_25partition_config_selectorILNS1_17partition_subalgoE4EjNS0_10empty_typeEbEEZZNS1_14partition_implILS8_4ELb0ES6_15HIP_vector_typeIjLj2EENS0_17counting_iteratorIjlEEPS9_SG_NS0_5tupleIJPjSI_NS0_16reverse_iteratorISI_EEEEENSH_IJSG_SG_SG_EEES9_SI_JZNS1_25segmented_radix_sort_implINS0_14default_configELb0EPKhPhPKlPlN2at6native12_GLOBAL__N_18offset_tEEE10hipError_tPvRmT1_PNSt15iterator_traitsIS12_E10value_typeET2_T3_PNS13_IS18_E10value_typeET4_jRbjT5_S1E_jjP12ihipStream_tbEUljE_ZNSN_ISO_Lb0ESQ_SR_ST_SU_SY_EESZ_S10_S11_S12_S16_S17_S18_S1B_S1C_jS1D_jS1E_S1E_jjS1G_bEUljE0_EEESZ_S10_S11_S18_S1C_S1E_T6_T7_T9_mT8_S1G_bDpT10_ENKUlT_T0_E_clISt17integral_constantIbLb1EES1U_EEDaS1P_S1Q_EUlS1P_E_NS1_11comp_targetILNS1_3genE3ELNS1_11target_archE908ELNS1_3gpuE7ELNS1_3repE0EEENS1_30default_config_static_selectorELNS0_4arch9wavefront6targetE0EEEvS12_,@function
_ZN7rocprim17ROCPRIM_400000_NS6detail17trampoline_kernelINS0_13select_configILj256ELj13ELNS0_17block_load_methodE3ELS4_3ELS4_3ELNS0_20block_scan_algorithmE0ELj4294967295EEENS1_25partition_config_selectorILNS1_17partition_subalgoE4EjNS0_10empty_typeEbEEZZNS1_14partition_implILS8_4ELb0ES6_15HIP_vector_typeIjLj2EENS0_17counting_iteratorIjlEEPS9_SG_NS0_5tupleIJPjSI_NS0_16reverse_iteratorISI_EEEEENSH_IJSG_SG_SG_EEES9_SI_JZNS1_25segmented_radix_sort_implINS0_14default_configELb0EPKhPhPKlPlN2at6native12_GLOBAL__N_18offset_tEEE10hipError_tPvRmT1_PNSt15iterator_traitsIS12_E10value_typeET2_T3_PNS13_IS18_E10value_typeET4_jRbjT5_S1E_jjP12ihipStream_tbEUljE_ZNSN_ISO_Lb0ESQ_SR_ST_SU_SY_EESZ_S10_S11_S12_S16_S17_S18_S1B_S1C_jS1D_jS1E_S1E_jjS1G_bEUljE0_EEESZ_S10_S11_S18_S1C_S1E_T6_T7_T9_mT8_S1G_bDpT10_ENKUlT_T0_E_clISt17integral_constantIbLb1EES1U_EEDaS1P_S1Q_EUlS1P_E_NS1_11comp_targetILNS1_3genE3ELNS1_11target_archE908ELNS1_3gpuE7ELNS1_3repE0EEENS1_30default_config_static_selectorELNS0_4arch9wavefront6targetE0EEEvS12_: ; @_ZN7rocprim17ROCPRIM_400000_NS6detail17trampoline_kernelINS0_13select_configILj256ELj13ELNS0_17block_load_methodE3ELS4_3ELS4_3ELNS0_20block_scan_algorithmE0ELj4294967295EEENS1_25partition_config_selectorILNS1_17partition_subalgoE4EjNS0_10empty_typeEbEEZZNS1_14partition_implILS8_4ELb0ES6_15HIP_vector_typeIjLj2EENS0_17counting_iteratorIjlEEPS9_SG_NS0_5tupleIJPjSI_NS0_16reverse_iteratorISI_EEEEENSH_IJSG_SG_SG_EEES9_SI_JZNS1_25segmented_radix_sort_implINS0_14default_configELb0EPKhPhPKlPlN2at6native12_GLOBAL__N_18offset_tEEE10hipError_tPvRmT1_PNSt15iterator_traitsIS12_E10value_typeET2_T3_PNS13_IS18_E10value_typeET4_jRbjT5_S1E_jjP12ihipStream_tbEUljE_ZNSN_ISO_Lb0ESQ_SR_ST_SU_SY_EESZ_S10_S11_S12_S16_S17_S18_S1B_S1C_jS1D_jS1E_S1E_jjS1G_bEUljE0_EEESZ_S10_S11_S18_S1C_S1E_T6_T7_T9_mT8_S1G_bDpT10_ENKUlT_T0_E_clISt17integral_constantIbLb1EES1U_EEDaS1P_S1Q_EUlS1P_E_NS1_11comp_targetILNS1_3genE3ELNS1_11target_archE908ELNS1_3gpuE7ELNS1_3repE0EEENS1_30default_config_static_selectorELNS0_4arch9wavefront6targetE0EEEvS12_
; %bb.0:
	.section	.rodata,"a",@progbits
	.p2align	6, 0x0
	.amdhsa_kernel _ZN7rocprim17ROCPRIM_400000_NS6detail17trampoline_kernelINS0_13select_configILj256ELj13ELNS0_17block_load_methodE3ELS4_3ELS4_3ELNS0_20block_scan_algorithmE0ELj4294967295EEENS1_25partition_config_selectorILNS1_17partition_subalgoE4EjNS0_10empty_typeEbEEZZNS1_14partition_implILS8_4ELb0ES6_15HIP_vector_typeIjLj2EENS0_17counting_iteratorIjlEEPS9_SG_NS0_5tupleIJPjSI_NS0_16reverse_iteratorISI_EEEEENSH_IJSG_SG_SG_EEES9_SI_JZNS1_25segmented_radix_sort_implINS0_14default_configELb0EPKhPhPKlPlN2at6native12_GLOBAL__N_18offset_tEEE10hipError_tPvRmT1_PNSt15iterator_traitsIS12_E10value_typeET2_T3_PNS13_IS18_E10value_typeET4_jRbjT5_S1E_jjP12ihipStream_tbEUljE_ZNSN_ISO_Lb0ESQ_SR_ST_SU_SY_EESZ_S10_S11_S12_S16_S17_S18_S1B_S1C_jS1D_jS1E_S1E_jjS1G_bEUljE0_EEESZ_S10_S11_S18_S1C_S1E_T6_T7_T9_mT8_S1G_bDpT10_ENKUlT_T0_E_clISt17integral_constantIbLb1EES1U_EEDaS1P_S1Q_EUlS1P_E_NS1_11comp_targetILNS1_3genE3ELNS1_11target_archE908ELNS1_3gpuE7ELNS1_3repE0EEENS1_30default_config_static_selectorELNS0_4arch9wavefront6targetE0EEEvS12_
		.amdhsa_group_segment_fixed_size 0
		.amdhsa_private_segment_fixed_size 0
		.amdhsa_kernarg_size 184
		.amdhsa_user_sgpr_count 2
		.amdhsa_user_sgpr_dispatch_ptr 0
		.amdhsa_user_sgpr_queue_ptr 0
		.amdhsa_user_sgpr_kernarg_segment_ptr 1
		.amdhsa_user_sgpr_dispatch_id 0
		.amdhsa_user_sgpr_kernarg_preload_length 0
		.amdhsa_user_sgpr_kernarg_preload_offset 0
		.amdhsa_user_sgpr_private_segment_size 0
		.amdhsa_wavefront_size32 1
		.amdhsa_uses_dynamic_stack 0
		.amdhsa_enable_private_segment 0
		.amdhsa_system_sgpr_workgroup_id_x 1
		.amdhsa_system_sgpr_workgroup_id_y 0
		.amdhsa_system_sgpr_workgroup_id_z 0
		.amdhsa_system_sgpr_workgroup_info 0
		.amdhsa_system_vgpr_workitem_id 0
		.amdhsa_next_free_vgpr 1
		.amdhsa_next_free_sgpr 1
		.amdhsa_named_barrier_count 0
		.amdhsa_reserve_vcc 0
		.amdhsa_float_round_mode_32 0
		.amdhsa_float_round_mode_16_64 0
		.amdhsa_float_denorm_mode_32 3
		.amdhsa_float_denorm_mode_16_64 3
		.amdhsa_fp16_overflow 0
		.amdhsa_memory_ordered 1
		.amdhsa_forward_progress 1
		.amdhsa_inst_pref_size 0
		.amdhsa_round_robin_scheduling 0
		.amdhsa_exception_fp_ieee_invalid_op 0
		.amdhsa_exception_fp_denorm_src 0
		.amdhsa_exception_fp_ieee_div_zero 0
		.amdhsa_exception_fp_ieee_overflow 0
		.amdhsa_exception_fp_ieee_underflow 0
		.amdhsa_exception_fp_ieee_inexact 0
		.amdhsa_exception_int_div_zero 0
	.end_amdhsa_kernel
	.section	.text._ZN7rocprim17ROCPRIM_400000_NS6detail17trampoline_kernelINS0_13select_configILj256ELj13ELNS0_17block_load_methodE3ELS4_3ELS4_3ELNS0_20block_scan_algorithmE0ELj4294967295EEENS1_25partition_config_selectorILNS1_17partition_subalgoE4EjNS0_10empty_typeEbEEZZNS1_14partition_implILS8_4ELb0ES6_15HIP_vector_typeIjLj2EENS0_17counting_iteratorIjlEEPS9_SG_NS0_5tupleIJPjSI_NS0_16reverse_iteratorISI_EEEEENSH_IJSG_SG_SG_EEES9_SI_JZNS1_25segmented_radix_sort_implINS0_14default_configELb0EPKhPhPKlPlN2at6native12_GLOBAL__N_18offset_tEEE10hipError_tPvRmT1_PNSt15iterator_traitsIS12_E10value_typeET2_T3_PNS13_IS18_E10value_typeET4_jRbjT5_S1E_jjP12ihipStream_tbEUljE_ZNSN_ISO_Lb0ESQ_SR_ST_SU_SY_EESZ_S10_S11_S12_S16_S17_S18_S1B_S1C_jS1D_jS1E_S1E_jjS1G_bEUljE0_EEESZ_S10_S11_S18_S1C_S1E_T6_T7_T9_mT8_S1G_bDpT10_ENKUlT_T0_E_clISt17integral_constantIbLb1EES1U_EEDaS1P_S1Q_EUlS1P_E_NS1_11comp_targetILNS1_3genE3ELNS1_11target_archE908ELNS1_3gpuE7ELNS1_3repE0EEENS1_30default_config_static_selectorELNS0_4arch9wavefront6targetE0EEEvS12_,"axG",@progbits,_ZN7rocprim17ROCPRIM_400000_NS6detail17trampoline_kernelINS0_13select_configILj256ELj13ELNS0_17block_load_methodE3ELS4_3ELS4_3ELNS0_20block_scan_algorithmE0ELj4294967295EEENS1_25partition_config_selectorILNS1_17partition_subalgoE4EjNS0_10empty_typeEbEEZZNS1_14partition_implILS8_4ELb0ES6_15HIP_vector_typeIjLj2EENS0_17counting_iteratorIjlEEPS9_SG_NS0_5tupleIJPjSI_NS0_16reverse_iteratorISI_EEEEENSH_IJSG_SG_SG_EEES9_SI_JZNS1_25segmented_radix_sort_implINS0_14default_configELb0EPKhPhPKlPlN2at6native12_GLOBAL__N_18offset_tEEE10hipError_tPvRmT1_PNSt15iterator_traitsIS12_E10value_typeET2_T3_PNS13_IS18_E10value_typeET4_jRbjT5_S1E_jjP12ihipStream_tbEUljE_ZNSN_ISO_Lb0ESQ_SR_ST_SU_SY_EESZ_S10_S11_S12_S16_S17_S18_S1B_S1C_jS1D_jS1E_S1E_jjS1G_bEUljE0_EEESZ_S10_S11_S18_S1C_S1E_T6_T7_T9_mT8_S1G_bDpT10_ENKUlT_T0_E_clISt17integral_constantIbLb1EES1U_EEDaS1P_S1Q_EUlS1P_E_NS1_11comp_targetILNS1_3genE3ELNS1_11target_archE908ELNS1_3gpuE7ELNS1_3repE0EEENS1_30default_config_static_selectorELNS0_4arch9wavefront6targetE0EEEvS12_,comdat
.Lfunc_end132:
	.size	_ZN7rocprim17ROCPRIM_400000_NS6detail17trampoline_kernelINS0_13select_configILj256ELj13ELNS0_17block_load_methodE3ELS4_3ELS4_3ELNS0_20block_scan_algorithmE0ELj4294967295EEENS1_25partition_config_selectorILNS1_17partition_subalgoE4EjNS0_10empty_typeEbEEZZNS1_14partition_implILS8_4ELb0ES6_15HIP_vector_typeIjLj2EENS0_17counting_iteratorIjlEEPS9_SG_NS0_5tupleIJPjSI_NS0_16reverse_iteratorISI_EEEEENSH_IJSG_SG_SG_EEES9_SI_JZNS1_25segmented_radix_sort_implINS0_14default_configELb0EPKhPhPKlPlN2at6native12_GLOBAL__N_18offset_tEEE10hipError_tPvRmT1_PNSt15iterator_traitsIS12_E10value_typeET2_T3_PNS13_IS18_E10value_typeET4_jRbjT5_S1E_jjP12ihipStream_tbEUljE_ZNSN_ISO_Lb0ESQ_SR_ST_SU_SY_EESZ_S10_S11_S12_S16_S17_S18_S1B_S1C_jS1D_jS1E_S1E_jjS1G_bEUljE0_EEESZ_S10_S11_S18_S1C_S1E_T6_T7_T9_mT8_S1G_bDpT10_ENKUlT_T0_E_clISt17integral_constantIbLb1EES1U_EEDaS1P_S1Q_EUlS1P_E_NS1_11comp_targetILNS1_3genE3ELNS1_11target_archE908ELNS1_3gpuE7ELNS1_3repE0EEENS1_30default_config_static_selectorELNS0_4arch9wavefront6targetE0EEEvS12_, .Lfunc_end132-_ZN7rocprim17ROCPRIM_400000_NS6detail17trampoline_kernelINS0_13select_configILj256ELj13ELNS0_17block_load_methodE3ELS4_3ELS4_3ELNS0_20block_scan_algorithmE0ELj4294967295EEENS1_25partition_config_selectorILNS1_17partition_subalgoE4EjNS0_10empty_typeEbEEZZNS1_14partition_implILS8_4ELb0ES6_15HIP_vector_typeIjLj2EENS0_17counting_iteratorIjlEEPS9_SG_NS0_5tupleIJPjSI_NS0_16reverse_iteratorISI_EEEEENSH_IJSG_SG_SG_EEES9_SI_JZNS1_25segmented_radix_sort_implINS0_14default_configELb0EPKhPhPKlPlN2at6native12_GLOBAL__N_18offset_tEEE10hipError_tPvRmT1_PNSt15iterator_traitsIS12_E10value_typeET2_T3_PNS13_IS18_E10value_typeET4_jRbjT5_S1E_jjP12ihipStream_tbEUljE_ZNSN_ISO_Lb0ESQ_SR_ST_SU_SY_EESZ_S10_S11_S12_S16_S17_S18_S1B_S1C_jS1D_jS1E_S1E_jjS1G_bEUljE0_EEESZ_S10_S11_S18_S1C_S1E_T6_T7_T9_mT8_S1G_bDpT10_ENKUlT_T0_E_clISt17integral_constantIbLb1EES1U_EEDaS1P_S1Q_EUlS1P_E_NS1_11comp_targetILNS1_3genE3ELNS1_11target_archE908ELNS1_3gpuE7ELNS1_3repE0EEENS1_30default_config_static_selectorELNS0_4arch9wavefront6targetE0EEEvS12_
                                        ; -- End function
	.set _ZN7rocprim17ROCPRIM_400000_NS6detail17trampoline_kernelINS0_13select_configILj256ELj13ELNS0_17block_load_methodE3ELS4_3ELS4_3ELNS0_20block_scan_algorithmE0ELj4294967295EEENS1_25partition_config_selectorILNS1_17partition_subalgoE4EjNS0_10empty_typeEbEEZZNS1_14partition_implILS8_4ELb0ES6_15HIP_vector_typeIjLj2EENS0_17counting_iteratorIjlEEPS9_SG_NS0_5tupleIJPjSI_NS0_16reverse_iteratorISI_EEEEENSH_IJSG_SG_SG_EEES9_SI_JZNS1_25segmented_radix_sort_implINS0_14default_configELb0EPKhPhPKlPlN2at6native12_GLOBAL__N_18offset_tEEE10hipError_tPvRmT1_PNSt15iterator_traitsIS12_E10value_typeET2_T3_PNS13_IS18_E10value_typeET4_jRbjT5_S1E_jjP12ihipStream_tbEUljE_ZNSN_ISO_Lb0ESQ_SR_ST_SU_SY_EESZ_S10_S11_S12_S16_S17_S18_S1B_S1C_jS1D_jS1E_S1E_jjS1G_bEUljE0_EEESZ_S10_S11_S18_S1C_S1E_T6_T7_T9_mT8_S1G_bDpT10_ENKUlT_T0_E_clISt17integral_constantIbLb1EES1U_EEDaS1P_S1Q_EUlS1P_E_NS1_11comp_targetILNS1_3genE3ELNS1_11target_archE908ELNS1_3gpuE7ELNS1_3repE0EEENS1_30default_config_static_selectorELNS0_4arch9wavefront6targetE0EEEvS12_.num_vgpr, 0
	.set _ZN7rocprim17ROCPRIM_400000_NS6detail17trampoline_kernelINS0_13select_configILj256ELj13ELNS0_17block_load_methodE3ELS4_3ELS4_3ELNS0_20block_scan_algorithmE0ELj4294967295EEENS1_25partition_config_selectorILNS1_17partition_subalgoE4EjNS0_10empty_typeEbEEZZNS1_14partition_implILS8_4ELb0ES6_15HIP_vector_typeIjLj2EENS0_17counting_iteratorIjlEEPS9_SG_NS0_5tupleIJPjSI_NS0_16reverse_iteratorISI_EEEEENSH_IJSG_SG_SG_EEES9_SI_JZNS1_25segmented_radix_sort_implINS0_14default_configELb0EPKhPhPKlPlN2at6native12_GLOBAL__N_18offset_tEEE10hipError_tPvRmT1_PNSt15iterator_traitsIS12_E10value_typeET2_T3_PNS13_IS18_E10value_typeET4_jRbjT5_S1E_jjP12ihipStream_tbEUljE_ZNSN_ISO_Lb0ESQ_SR_ST_SU_SY_EESZ_S10_S11_S12_S16_S17_S18_S1B_S1C_jS1D_jS1E_S1E_jjS1G_bEUljE0_EEESZ_S10_S11_S18_S1C_S1E_T6_T7_T9_mT8_S1G_bDpT10_ENKUlT_T0_E_clISt17integral_constantIbLb1EES1U_EEDaS1P_S1Q_EUlS1P_E_NS1_11comp_targetILNS1_3genE3ELNS1_11target_archE908ELNS1_3gpuE7ELNS1_3repE0EEENS1_30default_config_static_selectorELNS0_4arch9wavefront6targetE0EEEvS12_.num_agpr, 0
	.set _ZN7rocprim17ROCPRIM_400000_NS6detail17trampoline_kernelINS0_13select_configILj256ELj13ELNS0_17block_load_methodE3ELS4_3ELS4_3ELNS0_20block_scan_algorithmE0ELj4294967295EEENS1_25partition_config_selectorILNS1_17partition_subalgoE4EjNS0_10empty_typeEbEEZZNS1_14partition_implILS8_4ELb0ES6_15HIP_vector_typeIjLj2EENS0_17counting_iteratorIjlEEPS9_SG_NS0_5tupleIJPjSI_NS0_16reverse_iteratorISI_EEEEENSH_IJSG_SG_SG_EEES9_SI_JZNS1_25segmented_radix_sort_implINS0_14default_configELb0EPKhPhPKlPlN2at6native12_GLOBAL__N_18offset_tEEE10hipError_tPvRmT1_PNSt15iterator_traitsIS12_E10value_typeET2_T3_PNS13_IS18_E10value_typeET4_jRbjT5_S1E_jjP12ihipStream_tbEUljE_ZNSN_ISO_Lb0ESQ_SR_ST_SU_SY_EESZ_S10_S11_S12_S16_S17_S18_S1B_S1C_jS1D_jS1E_S1E_jjS1G_bEUljE0_EEESZ_S10_S11_S18_S1C_S1E_T6_T7_T9_mT8_S1G_bDpT10_ENKUlT_T0_E_clISt17integral_constantIbLb1EES1U_EEDaS1P_S1Q_EUlS1P_E_NS1_11comp_targetILNS1_3genE3ELNS1_11target_archE908ELNS1_3gpuE7ELNS1_3repE0EEENS1_30default_config_static_selectorELNS0_4arch9wavefront6targetE0EEEvS12_.numbered_sgpr, 0
	.set _ZN7rocprim17ROCPRIM_400000_NS6detail17trampoline_kernelINS0_13select_configILj256ELj13ELNS0_17block_load_methodE3ELS4_3ELS4_3ELNS0_20block_scan_algorithmE0ELj4294967295EEENS1_25partition_config_selectorILNS1_17partition_subalgoE4EjNS0_10empty_typeEbEEZZNS1_14partition_implILS8_4ELb0ES6_15HIP_vector_typeIjLj2EENS0_17counting_iteratorIjlEEPS9_SG_NS0_5tupleIJPjSI_NS0_16reverse_iteratorISI_EEEEENSH_IJSG_SG_SG_EEES9_SI_JZNS1_25segmented_radix_sort_implINS0_14default_configELb0EPKhPhPKlPlN2at6native12_GLOBAL__N_18offset_tEEE10hipError_tPvRmT1_PNSt15iterator_traitsIS12_E10value_typeET2_T3_PNS13_IS18_E10value_typeET4_jRbjT5_S1E_jjP12ihipStream_tbEUljE_ZNSN_ISO_Lb0ESQ_SR_ST_SU_SY_EESZ_S10_S11_S12_S16_S17_S18_S1B_S1C_jS1D_jS1E_S1E_jjS1G_bEUljE0_EEESZ_S10_S11_S18_S1C_S1E_T6_T7_T9_mT8_S1G_bDpT10_ENKUlT_T0_E_clISt17integral_constantIbLb1EES1U_EEDaS1P_S1Q_EUlS1P_E_NS1_11comp_targetILNS1_3genE3ELNS1_11target_archE908ELNS1_3gpuE7ELNS1_3repE0EEENS1_30default_config_static_selectorELNS0_4arch9wavefront6targetE0EEEvS12_.num_named_barrier, 0
	.set _ZN7rocprim17ROCPRIM_400000_NS6detail17trampoline_kernelINS0_13select_configILj256ELj13ELNS0_17block_load_methodE3ELS4_3ELS4_3ELNS0_20block_scan_algorithmE0ELj4294967295EEENS1_25partition_config_selectorILNS1_17partition_subalgoE4EjNS0_10empty_typeEbEEZZNS1_14partition_implILS8_4ELb0ES6_15HIP_vector_typeIjLj2EENS0_17counting_iteratorIjlEEPS9_SG_NS0_5tupleIJPjSI_NS0_16reverse_iteratorISI_EEEEENSH_IJSG_SG_SG_EEES9_SI_JZNS1_25segmented_radix_sort_implINS0_14default_configELb0EPKhPhPKlPlN2at6native12_GLOBAL__N_18offset_tEEE10hipError_tPvRmT1_PNSt15iterator_traitsIS12_E10value_typeET2_T3_PNS13_IS18_E10value_typeET4_jRbjT5_S1E_jjP12ihipStream_tbEUljE_ZNSN_ISO_Lb0ESQ_SR_ST_SU_SY_EESZ_S10_S11_S12_S16_S17_S18_S1B_S1C_jS1D_jS1E_S1E_jjS1G_bEUljE0_EEESZ_S10_S11_S18_S1C_S1E_T6_T7_T9_mT8_S1G_bDpT10_ENKUlT_T0_E_clISt17integral_constantIbLb1EES1U_EEDaS1P_S1Q_EUlS1P_E_NS1_11comp_targetILNS1_3genE3ELNS1_11target_archE908ELNS1_3gpuE7ELNS1_3repE0EEENS1_30default_config_static_selectorELNS0_4arch9wavefront6targetE0EEEvS12_.private_seg_size, 0
	.set _ZN7rocprim17ROCPRIM_400000_NS6detail17trampoline_kernelINS0_13select_configILj256ELj13ELNS0_17block_load_methodE3ELS4_3ELS4_3ELNS0_20block_scan_algorithmE0ELj4294967295EEENS1_25partition_config_selectorILNS1_17partition_subalgoE4EjNS0_10empty_typeEbEEZZNS1_14partition_implILS8_4ELb0ES6_15HIP_vector_typeIjLj2EENS0_17counting_iteratorIjlEEPS9_SG_NS0_5tupleIJPjSI_NS0_16reverse_iteratorISI_EEEEENSH_IJSG_SG_SG_EEES9_SI_JZNS1_25segmented_radix_sort_implINS0_14default_configELb0EPKhPhPKlPlN2at6native12_GLOBAL__N_18offset_tEEE10hipError_tPvRmT1_PNSt15iterator_traitsIS12_E10value_typeET2_T3_PNS13_IS18_E10value_typeET4_jRbjT5_S1E_jjP12ihipStream_tbEUljE_ZNSN_ISO_Lb0ESQ_SR_ST_SU_SY_EESZ_S10_S11_S12_S16_S17_S18_S1B_S1C_jS1D_jS1E_S1E_jjS1G_bEUljE0_EEESZ_S10_S11_S18_S1C_S1E_T6_T7_T9_mT8_S1G_bDpT10_ENKUlT_T0_E_clISt17integral_constantIbLb1EES1U_EEDaS1P_S1Q_EUlS1P_E_NS1_11comp_targetILNS1_3genE3ELNS1_11target_archE908ELNS1_3gpuE7ELNS1_3repE0EEENS1_30default_config_static_selectorELNS0_4arch9wavefront6targetE0EEEvS12_.uses_vcc, 0
	.set _ZN7rocprim17ROCPRIM_400000_NS6detail17trampoline_kernelINS0_13select_configILj256ELj13ELNS0_17block_load_methodE3ELS4_3ELS4_3ELNS0_20block_scan_algorithmE0ELj4294967295EEENS1_25partition_config_selectorILNS1_17partition_subalgoE4EjNS0_10empty_typeEbEEZZNS1_14partition_implILS8_4ELb0ES6_15HIP_vector_typeIjLj2EENS0_17counting_iteratorIjlEEPS9_SG_NS0_5tupleIJPjSI_NS0_16reverse_iteratorISI_EEEEENSH_IJSG_SG_SG_EEES9_SI_JZNS1_25segmented_radix_sort_implINS0_14default_configELb0EPKhPhPKlPlN2at6native12_GLOBAL__N_18offset_tEEE10hipError_tPvRmT1_PNSt15iterator_traitsIS12_E10value_typeET2_T3_PNS13_IS18_E10value_typeET4_jRbjT5_S1E_jjP12ihipStream_tbEUljE_ZNSN_ISO_Lb0ESQ_SR_ST_SU_SY_EESZ_S10_S11_S12_S16_S17_S18_S1B_S1C_jS1D_jS1E_S1E_jjS1G_bEUljE0_EEESZ_S10_S11_S18_S1C_S1E_T6_T7_T9_mT8_S1G_bDpT10_ENKUlT_T0_E_clISt17integral_constantIbLb1EES1U_EEDaS1P_S1Q_EUlS1P_E_NS1_11comp_targetILNS1_3genE3ELNS1_11target_archE908ELNS1_3gpuE7ELNS1_3repE0EEENS1_30default_config_static_selectorELNS0_4arch9wavefront6targetE0EEEvS12_.uses_flat_scratch, 0
	.set _ZN7rocprim17ROCPRIM_400000_NS6detail17trampoline_kernelINS0_13select_configILj256ELj13ELNS0_17block_load_methodE3ELS4_3ELS4_3ELNS0_20block_scan_algorithmE0ELj4294967295EEENS1_25partition_config_selectorILNS1_17partition_subalgoE4EjNS0_10empty_typeEbEEZZNS1_14partition_implILS8_4ELb0ES6_15HIP_vector_typeIjLj2EENS0_17counting_iteratorIjlEEPS9_SG_NS0_5tupleIJPjSI_NS0_16reverse_iteratorISI_EEEEENSH_IJSG_SG_SG_EEES9_SI_JZNS1_25segmented_radix_sort_implINS0_14default_configELb0EPKhPhPKlPlN2at6native12_GLOBAL__N_18offset_tEEE10hipError_tPvRmT1_PNSt15iterator_traitsIS12_E10value_typeET2_T3_PNS13_IS18_E10value_typeET4_jRbjT5_S1E_jjP12ihipStream_tbEUljE_ZNSN_ISO_Lb0ESQ_SR_ST_SU_SY_EESZ_S10_S11_S12_S16_S17_S18_S1B_S1C_jS1D_jS1E_S1E_jjS1G_bEUljE0_EEESZ_S10_S11_S18_S1C_S1E_T6_T7_T9_mT8_S1G_bDpT10_ENKUlT_T0_E_clISt17integral_constantIbLb1EES1U_EEDaS1P_S1Q_EUlS1P_E_NS1_11comp_targetILNS1_3genE3ELNS1_11target_archE908ELNS1_3gpuE7ELNS1_3repE0EEENS1_30default_config_static_selectorELNS0_4arch9wavefront6targetE0EEEvS12_.has_dyn_sized_stack, 0
	.set _ZN7rocprim17ROCPRIM_400000_NS6detail17trampoline_kernelINS0_13select_configILj256ELj13ELNS0_17block_load_methodE3ELS4_3ELS4_3ELNS0_20block_scan_algorithmE0ELj4294967295EEENS1_25partition_config_selectorILNS1_17partition_subalgoE4EjNS0_10empty_typeEbEEZZNS1_14partition_implILS8_4ELb0ES6_15HIP_vector_typeIjLj2EENS0_17counting_iteratorIjlEEPS9_SG_NS0_5tupleIJPjSI_NS0_16reverse_iteratorISI_EEEEENSH_IJSG_SG_SG_EEES9_SI_JZNS1_25segmented_radix_sort_implINS0_14default_configELb0EPKhPhPKlPlN2at6native12_GLOBAL__N_18offset_tEEE10hipError_tPvRmT1_PNSt15iterator_traitsIS12_E10value_typeET2_T3_PNS13_IS18_E10value_typeET4_jRbjT5_S1E_jjP12ihipStream_tbEUljE_ZNSN_ISO_Lb0ESQ_SR_ST_SU_SY_EESZ_S10_S11_S12_S16_S17_S18_S1B_S1C_jS1D_jS1E_S1E_jjS1G_bEUljE0_EEESZ_S10_S11_S18_S1C_S1E_T6_T7_T9_mT8_S1G_bDpT10_ENKUlT_T0_E_clISt17integral_constantIbLb1EES1U_EEDaS1P_S1Q_EUlS1P_E_NS1_11comp_targetILNS1_3genE3ELNS1_11target_archE908ELNS1_3gpuE7ELNS1_3repE0EEENS1_30default_config_static_selectorELNS0_4arch9wavefront6targetE0EEEvS12_.has_recursion, 0
	.set _ZN7rocprim17ROCPRIM_400000_NS6detail17trampoline_kernelINS0_13select_configILj256ELj13ELNS0_17block_load_methodE3ELS4_3ELS4_3ELNS0_20block_scan_algorithmE0ELj4294967295EEENS1_25partition_config_selectorILNS1_17partition_subalgoE4EjNS0_10empty_typeEbEEZZNS1_14partition_implILS8_4ELb0ES6_15HIP_vector_typeIjLj2EENS0_17counting_iteratorIjlEEPS9_SG_NS0_5tupleIJPjSI_NS0_16reverse_iteratorISI_EEEEENSH_IJSG_SG_SG_EEES9_SI_JZNS1_25segmented_radix_sort_implINS0_14default_configELb0EPKhPhPKlPlN2at6native12_GLOBAL__N_18offset_tEEE10hipError_tPvRmT1_PNSt15iterator_traitsIS12_E10value_typeET2_T3_PNS13_IS18_E10value_typeET4_jRbjT5_S1E_jjP12ihipStream_tbEUljE_ZNSN_ISO_Lb0ESQ_SR_ST_SU_SY_EESZ_S10_S11_S12_S16_S17_S18_S1B_S1C_jS1D_jS1E_S1E_jjS1G_bEUljE0_EEESZ_S10_S11_S18_S1C_S1E_T6_T7_T9_mT8_S1G_bDpT10_ENKUlT_T0_E_clISt17integral_constantIbLb1EES1U_EEDaS1P_S1Q_EUlS1P_E_NS1_11comp_targetILNS1_3genE3ELNS1_11target_archE908ELNS1_3gpuE7ELNS1_3repE0EEENS1_30default_config_static_selectorELNS0_4arch9wavefront6targetE0EEEvS12_.has_indirect_call, 0
	.section	.AMDGPU.csdata,"",@progbits
; Kernel info:
; codeLenInByte = 0
; TotalNumSgprs: 0
; NumVgprs: 0
; ScratchSize: 0
; MemoryBound: 0
; FloatMode: 240
; IeeeMode: 1
; LDSByteSize: 0 bytes/workgroup (compile time only)
; SGPRBlocks: 0
; VGPRBlocks: 0
; NumSGPRsForWavesPerEU: 1
; NumVGPRsForWavesPerEU: 1
; NamedBarCnt: 0
; Occupancy: 16
; WaveLimiterHint : 0
; COMPUTE_PGM_RSRC2:SCRATCH_EN: 0
; COMPUTE_PGM_RSRC2:USER_SGPR: 2
; COMPUTE_PGM_RSRC2:TRAP_HANDLER: 0
; COMPUTE_PGM_RSRC2:TGID_X_EN: 1
; COMPUTE_PGM_RSRC2:TGID_Y_EN: 0
; COMPUTE_PGM_RSRC2:TGID_Z_EN: 0
; COMPUTE_PGM_RSRC2:TIDIG_COMP_CNT: 0
	.section	.text._ZN7rocprim17ROCPRIM_400000_NS6detail17trampoline_kernelINS0_13select_configILj256ELj13ELNS0_17block_load_methodE3ELS4_3ELS4_3ELNS0_20block_scan_algorithmE0ELj4294967295EEENS1_25partition_config_selectorILNS1_17partition_subalgoE4EjNS0_10empty_typeEbEEZZNS1_14partition_implILS8_4ELb0ES6_15HIP_vector_typeIjLj2EENS0_17counting_iteratorIjlEEPS9_SG_NS0_5tupleIJPjSI_NS0_16reverse_iteratorISI_EEEEENSH_IJSG_SG_SG_EEES9_SI_JZNS1_25segmented_radix_sort_implINS0_14default_configELb0EPKhPhPKlPlN2at6native12_GLOBAL__N_18offset_tEEE10hipError_tPvRmT1_PNSt15iterator_traitsIS12_E10value_typeET2_T3_PNS13_IS18_E10value_typeET4_jRbjT5_S1E_jjP12ihipStream_tbEUljE_ZNSN_ISO_Lb0ESQ_SR_ST_SU_SY_EESZ_S10_S11_S12_S16_S17_S18_S1B_S1C_jS1D_jS1E_S1E_jjS1G_bEUljE0_EEESZ_S10_S11_S18_S1C_S1E_T6_T7_T9_mT8_S1G_bDpT10_ENKUlT_T0_E_clISt17integral_constantIbLb1EES1U_EEDaS1P_S1Q_EUlS1P_E_NS1_11comp_targetILNS1_3genE2ELNS1_11target_archE906ELNS1_3gpuE6ELNS1_3repE0EEENS1_30default_config_static_selectorELNS0_4arch9wavefront6targetE0EEEvS12_,"axG",@progbits,_ZN7rocprim17ROCPRIM_400000_NS6detail17trampoline_kernelINS0_13select_configILj256ELj13ELNS0_17block_load_methodE3ELS4_3ELS4_3ELNS0_20block_scan_algorithmE0ELj4294967295EEENS1_25partition_config_selectorILNS1_17partition_subalgoE4EjNS0_10empty_typeEbEEZZNS1_14partition_implILS8_4ELb0ES6_15HIP_vector_typeIjLj2EENS0_17counting_iteratorIjlEEPS9_SG_NS0_5tupleIJPjSI_NS0_16reverse_iteratorISI_EEEEENSH_IJSG_SG_SG_EEES9_SI_JZNS1_25segmented_radix_sort_implINS0_14default_configELb0EPKhPhPKlPlN2at6native12_GLOBAL__N_18offset_tEEE10hipError_tPvRmT1_PNSt15iterator_traitsIS12_E10value_typeET2_T3_PNS13_IS18_E10value_typeET4_jRbjT5_S1E_jjP12ihipStream_tbEUljE_ZNSN_ISO_Lb0ESQ_SR_ST_SU_SY_EESZ_S10_S11_S12_S16_S17_S18_S1B_S1C_jS1D_jS1E_S1E_jjS1G_bEUljE0_EEESZ_S10_S11_S18_S1C_S1E_T6_T7_T9_mT8_S1G_bDpT10_ENKUlT_T0_E_clISt17integral_constantIbLb1EES1U_EEDaS1P_S1Q_EUlS1P_E_NS1_11comp_targetILNS1_3genE2ELNS1_11target_archE906ELNS1_3gpuE6ELNS1_3repE0EEENS1_30default_config_static_selectorELNS0_4arch9wavefront6targetE0EEEvS12_,comdat
	.globl	_ZN7rocprim17ROCPRIM_400000_NS6detail17trampoline_kernelINS0_13select_configILj256ELj13ELNS0_17block_load_methodE3ELS4_3ELS4_3ELNS0_20block_scan_algorithmE0ELj4294967295EEENS1_25partition_config_selectorILNS1_17partition_subalgoE4EjNS0_10empty_typeEbEEZZNS1_14partition_implILS8_4ELb0ES6_15HIP_vector_typeIjLj2EENS0_17counting_iteratorIjlEEPS9_SG_NS0_5tupleIJPjSI_NS0_16reverse_iteratorISI_EEEEENSH_IJSG_SG_SG_EEES9_SI_JZNS1_25segmented_radix_sort_implINS0_14default_configELb0EPKhPhPKlPlN2at6native12_GLOBAL__N_18offset_tEEE10hipError_tPvRmT1_PNSt15iterator_traitsIS12_E10value_typeET2_T3_PNS13_IS18_E10value_typeET4_jRbjT5_S1E_jjP12ihipStream_tbEUljE_ZNSN_ISO_Lb0ESQ_SR_ST_SU_SY_EESZ_S10_S11_S12_S16_S17_S18_S1B_S1C_jS1D_jS1E_S1E_jjS1G_bEUljE0_EEESZ_S10_S11_S18_S1C_S1E_T6_T7_T9_mT8_S1G_bDpT10_ENKUlT_T0_E_clISt17integral_constantIbLb1EES1U_EEDaS1P_S1Q_EUlS1P_E_NS1_11comp_targetILNS1_3genE2ELNS1_11target_archE906ELNS1_3gpuE6ELNS1_3repE0EEENS1_30default_config_static_selectorELNS0_4arch9wavefront6targetE0EEEvS12_ ; -- Begin function _ZN7rocprim17ROCPRIM_400000_NS6detail17trampoline_kernelINS0_13select_configILj256ELj13ELNS0_17block_load_methodE3ELS4_3ELS4_3ELNS0_20block_scan_algorithmE0ELj4294967295EEENS1_25partition_config_selectorILNS1_17partition_subalgoE4EjNS0_10empty_typeEbEEZZNS1_14partition_implILS8_4ELb0ES6_15HIP_vector_typeIjLj2EENS0_17counting_iteratorIjlEEPS9_SG_NS0_5tupleIJPjSI_NS0_16reverse_iteratorISI_EEEEENSH_IJSG_SG_SG_EEES9_SI_JZNS1_25segmented_radix_sort_implINS0_14default_configELb0EPKhPhPKlPlN2at6native12_GLOBAL__N_18offset_tEEE10hipError_tPvRmT1_PNSt15iterator_traitsIS12_E10value_typeET2_T3_PNS13_IS18_E10value_typeET4_jRbjT5_S1E_jjP12ihipStream_tbEUljE_ZNSN_ISO_Lb0ESQ_SR_ST_SU_SY_EESZ_S10_S11_S12_S16_S17_S18_S1B_S1C_jS1D_jS1E_S1E_jjS1G_bEUljE0_EEESZ_S10_S11_S18_S1C_S1E_T6_T7_T9_mT8_S1G_bDpT10_ENKUlT_T0_E_clISt17integral_constantIbLb1EES1U_EEDaS1P_S1Q_EUlS1P_E_NS1_11comp_targetILNS1_3genE2ELNS1_11target_archE906ELNS1_3gpuE6ELNS1_3repE0EEENS1_30default_config_static_selectorELNS0_4arch9wavefront6targetE0EEEvS12_
	.p2align	8
	.type	_ZN7rocprim17ROCPRIM_400000_NS6detail17trampoline_kernelINS0_13select_configILj256ELj13ELNS0_17block_load_methodE3ELS4_3ELS4_3ELNS0_20block_scan_algorithmE0ELj4294967295EEENS1_25partition_config_selectorILNS1_17partition_subalgoE4EjNS0_10empty_typeEbEEZZNS1_14partition_implILS8_4ELb0ES6_15HIP_vector_typeIjLj2EENS0_17counting_iteratorIjlEEPS9_SG_NS0_5tupleIJPjSI_NS0_16reverse_iteratorISI_EEEEENSH_IJSG_SG_SG_EEES9_SI_JZNS1_25segmented_radix_sort_implINS0_14default_configELb0EPKhPhPKlPlN2at6native12_GLOBAL__N_18offset_tEEE10hipError_tPvRmT1_PNSt15iterator_traitsIS12_E10value_typeET2_T3_PNS13_IS18_E10value_typeET4_jRbjT5_S1E_jjP12ihipStream_tbEUljE_ZNSN_ISO_Lb0ESQ_SR_ST_SU_SY_EESZ_S10_S11_S12_S16_S17_S18_S1B_S1C_jS1D_jS1E_S1E_jjS1G_bEUljE0_EEESZ_S10_S11_S18_S1C_S1E_T6_T7_T9_mT8_S1G_bDpT10_ENKUlT_T0_E_clISt17integral_constantIbLb1EES1U_EEDaS1P_S1Q_EUlS1P_E_NS1_11comp_targetILNS1_3genE2ELNS1_11target_archE906ELNS1_3gpuE6ELNS1_3repE0EEENS1_30default_config_static_selectorELNS0_4arch9wavefront6targetE0EEEvS12_,@function
_ZN7rocprim17ROCPRIM_400000_NS6detail17trampoline_kernelINS0_13select_configILj256ELj13ELNS0_17block_load_methodE3ELS4_3ELS4_3ELNS0_20block_scan_algorithmE0ELj4294967295EEENS1_25partition_config_selectorILNS1_17partition_subalgoE4EjNS0_10empty_typeEbEEZZNS1_14partition_implILS8_4ELb0ES6_15HIP_vector_typeIjLj2EENS0_17counting_iteratorIjlEEPS9_SG_NS0_5tupleIJPjSI_NS0_16reverse_iteratorISI_EEEEENSH_IJSG_SG_SG_EEES9_SI_JZNS1_25segmented_radix_sort_implINS0_14default_configELb0EPKhPhPKlPlN2at6native12_GLOBAL__N_18offset_tEEE10hipError_tPvRmT1_PNSt15iterator_traitsIS12_E10value_typeET2_T3_PNS13_IS18_E10value_typeET4_jRbjT5_S1E_jjP12ihipStream_tbEUljE_ZNSN_ISO_Lb0ESQ_SR_ST_SU_SY_EESZ_S10_S11_S12_S16_S17_S18_S1B_S1C_jS1D_jS1E_S1E_jjS1G_bEUljE0_EEESZ_S10_S11_S18_S1C_S1E_T6_T7_T9_mT8_S1G_bDpT10_ENKUlT_T0_E_clISt17integral_constantIbLb1EES1U_EEDaS1P_S1Q_EUlS1P_E_NS1_11comp_targetILNS1_3genE2ELNS1_11target_archE906ELNS1_3gpuE6ELNS1_3repE0EEENS1_30default_config_static_selectorELNS0_4arch9wavefront6targetE0EEEvS12_: ; @_ZN7rocprim17ROCPRIM_400000_NS6detail17trampoline_kernelINS0_13select_configILj256ELj13ELNS0_17block_load_methodE3ELS4_3ELS4_3ELNS0_20block_scan_algorithmE0ELj4294967295EEENS1_25partition_config_selectorILNS1_17partition_subalgoE4EjNS0_10empty_typeEbEEZZNS1_14partition_implILS8_4ELb0ES6_15HIP_vector_typeIjLj2EENS0_17counting_iteratorIjlEEPS9_SG_NS0_5tupleIJPjSI_NS0_16reverse_iteratorISI_EEEEENSH_IJSG_SG_SG_EEES9_SI_JZNS1_25segmented_radix_sort_implINS0_14default_configELb0EPKhPhPKlPlN2at6native12_GLOBAL__N_18offset_tEEE10hipError_tPvRmT1_PNSt15iterator_traitsIS12_E10value_typeET2_T3_PNS13_IS18_E10value_typeET4_jRbjT5_S1E_jjP12ihipStream_tbEUljE_ZNSN_ISO_Lb0ESQ_SR_ST_SU_SY_EESZ_S10_S11_S12_S16_S17_S18_S1B_S1C_jS1D_jS1E_S1E_jjS1G_bEUljE0_EEESZ_S10_S11_S18_S1C_S1E_T6_T7_T9_mT8_S1G_bDpT10_ENKUlT_T0_E_clISt17integral_constantIbLb1EES1U_EEDaS1P_S1Q_EUlS1P_E_NS1_11comp_targetILNS1_3genE2ELNS1_11target_archE906ELNS1_3gpuE6ELNS1_3repE0EEENS1_30default_config_static_selectorELNS0_4arch9wavefront6targetE0EEEvS12_
; %bb.0:
	.section	.rodata,"a",@progbits
	.p2align	6, 0x0
	.amdhsa_kernel _ZN7rocprim17ROCPRIM_400000_NS6detail17trampoline_kernelINS0_13select_configILj256ELj13ELNS0_17block_load_methodE3ELS4_3ELS4_3ELNS0_20block_scan_algorithmE0ELj4294967295EEENS1_25partition_config_selectorILNS1_17partition_subalgoE4EjNS0_10empty_typeEbEEZZNS1_14partition_implILS8_4ELb0ES6_15HIP_vector_typeIjLj2EENS0_17counting_iteratorIjlEEPS9_SG_NS0_5tupleIJPjSI_NS0_16reverse_iteratorISI_EEEEENSH_IJSG_SG_SG_EEES9_SI_JZNS1_25segmented_radix_sort_implINS0_14default_configELb0EPKhPhPKlPlN2at6native12_GLOBAL__N_18offset_tEEE10hipError_tPvRmT1_PNSt15iterator_traitsIS12_E10value_typeET2_T3_PNS13_IS18_E10value_typeET4_jRbjT5_S1E_jjP12ihipStream_tbEUljE_ZNSN_ISO_Lb0ESQ_SR_ST_SU_SY_EESZ_S10_S11_S12_S16_S17_S18_S1B_S1C_jS1D_jS1E_S1E_jjS1G_bEUljE0_EEESZ_S10_S11_S18_S1C_S1E_T6_T7_T9_mT8_S1G_bDpT10_ENKUlT_T0_E_clISt17integral_constantIbLb1EES1U_EEDaS1P_S1Q_EUlS1P_E_NS1_11comp_targetILNS1_3genE2ELNS1_11target_archE906ELNS1_3gpuE6ELNS1_3repE0EEENS1_30default_config_static_selectorELNS0_4arch9wavefront6targetE0EEEvS12_
		.amdhsa_group_segment_fixed_size 0
		.amdhsa_private_segment_fixed_size 0
		.amdhsa_kernarg_size 184
		.amdhsa_user_sgpr_count 2
		.amdhsa_user_sgpr_dispatch_ptr 0
		.amdhsa_user_sgpr_queue_ptr 0
		.amdhsa_user_sgpr_kernarg_segment_ptr 1
		.amdhsa_user_sgpr_dispatch_id 0
		.amdhsa_user_sgpr_kernarg_preload_length 0
		.amdhsa_user_sgpr_kernarg_preload_offset 0
		.amdhsa_user_sgpr_private_segment_size 0
		.amdhsa_wavefront_size32 1
		.amdhsa_uses_dynamic_stack 0
		.amdhsa_enable_private_segment 0
		.amdhsa_system_sgpr_workgroup_id_x 1
		.amdhsa_system_sgpr_workgroup_id_y 0
		.amdhsa_system_sgpr_workgroup_id_z 0
		.amdhsa_system_sgpr_workgroup_info 0
		.amdhsa_system_vgpr_workitem_id 0
		.amdhsa_next_free_vgpr 1
		.amdhsa_next_free_sgpr 1
		.amdhsa_named_barrier_count 0
		.amdhsa_reserve_vcc 0
		.amdhsa_float_round_mode_32 0
		.amdhsa_float_round_mode_16_64 0
		.amdhsa_float_denorm_mode_32 3
		.amdhsa_float_denorm_mode_16_64 3
		.amdhsa_fp16_overflow 0
		.amdhsa_memory_ordered 1
		.amdhsa_forward_progress 1
		.amdhsa_inst_pref_size 0
		.amdhsa_round_robin_scheduling 0
		.amdhsa_exception_fp_ieee_invalid_op 0
		.amdhsa_exception_fp_denorm_src 0
		.amdhsa_exception_fp_ieee_div_zero 0
		.amdhsa_exception_fp_ieee_overflow 0
		.amdhsa_exception_fp_ieee_underflow 0
		.amdhsa_exception_fp_ieee_inexact 0
		.amdhsa_exception_int_div_zero 0
	.end_amdhsa_kernel
	.section	.text._ZN7rocprim17ROCPRIM_400000_NS6detail17trampoline_kernelINS0_13select_configILj256ELj13ELNS0_17block_load_methodE3ELS4_3ELS4_3ELNS0_20block_scan_algorithmE0ELj4294967295EEENS1_25partition_config_selectorILNS1_17partition_subalgoE4EjNS0_10empty_typeEbEEZZNS1_14partition_implILS8_4ELb0ES6_15HIP_vector_typeIjLj2EENS0_17counting_iteratorIjlEEPS9_SG_NS0_5tupleIJPjSI_NS0_16reverse_iteratorISI_EEEEENSH_IJSG_SG_SG_EEES9_SI_JZNS1_25segmented_radix_sort_implINS0_14default_configELb0EPKhPhPKlPlN2at6native12_GLOBAL__N_18offset_tEEE10hipError_tPvRmT1_PNSt15iterator_traitsIS12_E10value_typeET2_T3_PNS13_IS18_E10value_typeET4_jRbjT5_S1E_jjP12ihipStream_tbEUljE_ZNSN_ISO_Lb0ESQ_SR_ST_SU_SY_EESZ_S10_S11_S12_S16_S17_S18_S1B_S1C_jS1D_jS1E_S1E_jjS1G_bEUljE0_EEESZ_S10_S11_S18_S1C_S1E_T6_T7_T9_mT8_S1G_bDpT10_ENKUlT_T0_E_clISt17integral_constantIbLb1EES1U_EEDaS1P_S1Q_EUlS1P_E_NS1_11comp_targetILNS1_3genE2ELNS1_11target_archE906ELNS1_3gpuE6ELNS1_3repE0EEENS1_30default_config_static_selectorELNS0_4arch9wavefront6targetE0EEEvS12_,"axG",@progbits,_ZN7rocprim17ROCPRIM_400000_NS6detail17trampoline_kernelINS0_13select_configILj256ELj13ELNS0_17block_load_methodE3ELS4_3ELS4_3ELNS0_20block_scan_algorithmE0ELj4294967295EEENS1_25partition_config_selectorILNS1_17partition_subalgoE4EjNS0_10empty_typeEbEEZZNS1_14partition_implILS8_4ELb0ES6_15HIP_vector_typeIjLj2EENS0_17counting_iteratorIjlEEPS9_SG_NS0_5tupleIJPjSI_NS0_16reverse_iteratorISI_EEEEENSH_IJSG_SG_SG_EEES9_SI_JZNS1_25segmented_radix_sort_implINS0_14default_configELb0EPKhPhPKlPlN2at6native12_GLOBAL__N_18offset_tEEE10hipError_tPvRmT1_PNSt15iterator_traitsIS12_E10value_typeET2_T3_PNS13_IS18_E10value_typeET4_jRbjT5_S1E_jjP12ihipStream_tbEUljE_ZNSN_ISO_Lb0ESQ_SR_ST_SU_SY_EESZ_S10_S11_S12_S16_S17_S18_S1B_S1C_jS1D_jS1E_S1E_jjS1G_bEUljE0_EEESZ_S10_S11_S18_S1C_S1E_T6_T7_T9_mT8_S1G_bDpT10_ENKUlT_T0_E_clISt17integral_constantIbLb1EES1U_EEDaS1P_S1Q_EUlS1P_E_NS1_11comp_targetILNS1_3genE2ELNS1_11target_archE906ELNS1_3gpuE6ELNS1_3repE0EEENS1_30default_config_static_selectorELNS0_4arch9wavefront6targetE0EEEvS12_,comdat
.Lfunc_end133:
	.size	_ZN7rocprim17ROCPRIM_400000_NS6detail17trampoline_kernelINS0_13select_configILj256ELj13ELNS0_17block_load_methodE3ELS4_3ELS4_3ELNS0_20block_scan_algorithmE0ELj4294967295EEENS1_25partition_config_selectorILNS1_17partition_subalgoE4EjNS0_10empty_typeEbEEZZNS1_14partition_implILS8_4ELb0ES6_15HIP_vector_typeIjLj2EENS0_17counting_iteratorIjlEEPS9_SG_NS0_5tupleIJPjSI_NS0_16reverse_iteratorISI_EEEEENSH_IJSG_SG_SG_EEES9_SI_JZNS1_25segmented_radix_sort_implINS0_14default_configELb0EPKhPhPKlPlN2at6native12_GLOBAL__N_18offset_tEEE10hipError_tPvRmT1_PNSt15iterator_traitsIS12_E10value_typeET2_T3_PNS13_IS18_E10value_typeET4_jRbjT5_S1E_jjP12ihipStream_tbEUljE_ZNSN_ISO_Lb0ESQ_SR_ST_SU_SY_EESZ_S10_S11_S12_S16_S17_S18_S1B_S1C_jS1D_jS1E_S1E_jjS1G_bEUljE0_EEESZ_S10_S11_S18_S1C_S1E_T6_T7_T9_mT8_S1G_bDpT10_ENKUlT_T0_E_clISt17integral_constantIbLb1EES1U_EEDaS1P_S1Q_EUlS1P_E_NS1_11comp_targetILNS1_3genE2ELNS1_11target_archE906ELNS1_3gpuE6ELNS1_3repE0EEENS1_30default_config_static_selectorELNS0_4arch9wavefront6targetE0EEEvS12_, .Lfunc_end133-_ZN7rocprim17ROCPRIM_400000_NS6detail17trampoline_kernelINS0_13select_configILj256ELj13ELNS0_17block_load_methodE3ELS4_3ELS4_3ELNS0_20block_scan_algorithmE0ELj4294967295EEENS1_25partition_config_selectorILNS1_17partition_subalgoE4EjNS0_10empty_typeEbEEZZNS1_14partition_implILS8_4ELb0ES6_15HIP_vector_typeIjLj2EENS0_17counting_iteratorIjlEEPS9_SG_NS0_5tupleIJPjSI_NS0_16reverse_iteratorISI_EEEEENSH_IJSG_SG_SG_EEES9_SI_JZNS1_25segmented_radix_sort_implINS0_14default_configELb0EPKhPhPKlPlN2at6native12_GLOBAL__N_18offset_tEEE10hipError_tPvRmT1_PNSt15iterator_traitsIS12_E10value_typeET2_T3_PNS13_IS18_E10value_typeET4_jRbjT5_S1E_jjP12ihipStream_tbEUljE_ZNSN_ISO_Lb0ESQ_SR_ST_SU_SY_EESZ_S10_S11_S12_S16_S17_S18_S1B_S1C_jS1D_jS1E_S1E_jjS1G_bEUljE0_EEESZ_S10_S11_S18_S1C_S1E_T6_T7_T9_mT8_S1G_bDpT10_ENKUlT_T0_E_clISt17integral_constantIbLb1EES1U_EEDaS1P_S1Q_EUlS1P_E_NS1_11comp_targetILNS1_3genE2ELNS1_11target_archE906ELNS1_3gpuE6ELNS1_3repE0EEENS1_30default_config_static_selectorELNS0_4arch9wavefront6targetE0EEEvS12_
                                        ; -- End function
	.set _ZN7rocprim17ROCPRIM_400000_NS6detail17trampoline_kernelINS0_13select_configILj256ELj13ELNS0_17block_load_methodE3ELS4_3ELS4_3ELNS0_20block_scan_algorithmE0ELj4294967295EEENS1_25partition_config_selectorILNS1_17partition_subalgoE4EjNS0_10empty_typeEbEEZZNS1_14partition_implILS8_4ELb0ES6_15HIP_vector_typeIjLj2EENS0_17counting_iteratorIjlEEPS9_SG_NS0_5tupleIJPjSI_NS0_16reverse_iteratorISI_EEEEENSH_IJSG_SG_SG_EEES9_SI_JZNS1_25segmented_radix_sort_implINS0_14default_configELb0EPKhPhPKlPlN2at6native12_GLOBAL__N_18offset_tEEE10hipError_tPvRmT1_PNSt15iterator_traitsIS12_E10value_typeET2_T3_PNS13_IS18_E10value_typeET4_jRbjT5_S1E_jjP12ihipStream_tbEUljE_ZNSN_ISO_Lb0ESQ_SR_ST_SU_SY_EESZ_S10_S11_S12_S16_S17_S18_S1B_S1C_jS1D_jS1E_S1E_jjS1G_bEUljE0_EEESZ_S10_S11_S18_S1C_S1E_T6_T7_T9_mT8_S1G_bDpT10_ENKUlT_T0_E_clISt17integral_constantIbLb1EES1U_EEDaS1P_S1Q_EUlS1P_E_NS1_11comp_targetILNS1_3genE2ELNS1_11target_archE906ELNS1_3gpuE6ELNS1_3repE0EEENS1_30default_config_static_selectorELNS0_4arch9wavefront6targetE0EEEvS12_.num_vgpr, 0
	.set _ZN7rocprim17ROCPRIM_400000_NS6detail17trampoline_kernelINS0_13select_configILj256ELj13ELNS0_17block_load_methodE3ELS4_3ELS4_3ELNS0_20block_scan_algorithmE0ELj4294967295EEENS1_25partition_config_selectorILNS1_17partition_subalgoE4EjNS0_10empty_typeEbEEZZNS1_14partition_implILS8_4ELb0ES6_15HIP_vector_typeIjLj2EENS0_17counting_iteratorIjlEEPS9_SG_NS0_5tupleIJPjSI_NS0_16reverse_iteratorISI_EEEEENSH_IJSG_SG_SG_EEES9_SI_JZNS1_25segmented_radix_sort_implINS0_14default_configELb0EPKhPhPKlPlN2at6native12_GLOBAL__N_18offset_tEEE10hipError_tPvRmT1_PNSt15iterator_traitsIS12_E10value_typeET2_T3_PNS13_IS18_E10value_typeET4_jRbjT5_S1E_jjP12ihipStream_tbEUljE_ZNSN_ISO_Lb0ESQ_SR_ST_SU_SY_EESZ_S10_S11_S12_S16_S17_S18_S1B_S1C_jS1D_jS1E_S1E_jjS1G_bEUljE0_EEESZ_S10_S11_S18_S1C_S1E_T6_T7_T9_mT8_S1G_bDpT10_ENKUlT_T0_E_clISt17integral_constantIbLb1EES1U_EEDaS1P_S1Q_EUlS1P_E_NS1_11comp_targetILNS1_3genE2ELNS1_11target_archE906ELNS1_3gpuE6ELNS1_3repE0EEENS1_30default_config_static_selectorELNS0_4arch9wavefront6targetE0EEEvS12_.num_agpr, 0
	.set _ZN7rocprim17ROCPRIM_400000_NS6detail17trampoline_kernelINS0_13select_configILj256ELj13ELNS0_17block_load_methodE3ELS4_3ELS4_3ELNS0_20block_scan_algorithmE0ELj4294967295EEENS1_25partition_config_selectorILNS1_17partition_subalgoE4EjNS0_10empty_typeEbEEZZNS1_14partition_implILS8_4ELb0ES6_15HIP_vector_typeIjLj2EENS0_17counting_iteratorIjlEEPS9_SG_NS0_5tupleIJPjSI_NS0_16reverse_iteratorISI_EEEEENSH_IJSG_SG_SG_EEES9_SI_JZNS1_25segmented_radix_sort_implINS0_14default_configELb0EPKhPhPKlPlN2at6native12_GLOBAL__N_18offset_tEEE10hipError_tPvRmT1_PNSt15iterator_traitsIS12_E10value_typeET2_T3_PNS13_IS18_E10value_typeET4_jRbjT5_S1E_jjP12ihipStream_tbEUljE_ZNSN_ISO_Lb0ESQ_SR_ST_SU_SY_EESZ_S10_S11_S12_S16_S17_S18_S1B_S1C_jS1D_jS1E_S1E_jjS1G_bEUljE0_EEESZ_S10_S11_S18_S1C_S1E_T6_T7_T9_mT8_S1G_bDpT10_ENKUlT_T0_E_clISt17integral_constantIbLb1EES1U_EEDaS1P_S1Q_EUlS1P_E_NS1_11comp_targetILNS1_3genE2ELNS1_11target_archE906ELNS1_3gpuE6ELNS1_3repE0EEENS1_30default_config_static_selectorELNS0_4arch9wavefront6targetE0EEEvS12_.numbered_sgpr, 0
	.set _ZN7rocprim17ROCPRIM_400000_NS6detail17trampoline_kernelINS0_13select_configILj256ELj13ELNS0_17block_load_methodE3ELS4_3ELS4_3ELNS0_20block_scan_algorithmE0ELj4294967295EEENS1_25partition_config_selectorILNS1_17partition_subalgoE4EjNS0_10empty_typeEbEEZZNS1_14partition_implILS8_4ELb0ES6_15HIP_vector_typeIjLj2EENS0_17counting_iteratorIjlEEPS9_SG_NS0_5tupleIJPjSI_NS0_16reverse_iteratorISI_EEEEENSH_IJSG_SG_SG_EEES9_SI_JZNS1_25segmented_radix_sort_implINS0_14default_configELb0EPKhPhPKlPlN2at6native12_GLOBAL__N_18offset_tEEE10hipError_tPvRmT1_PNSt15iterator_traitsIS12_E10value_typeET2_T3_PNS13_IS18_E10value_typeET4_jRbjT5_S1E_jjP12ihipStream_tbEUljE_ZNSN_ISO_Lb0ESQ_SR_ST_SU_SY_EESZ_S10_S11_S12_S16_S17_S18_S1B_S1C_jS1D_jS1E_S1E_jjS1G_bEUljE0_EEESZ_S10_S11_S18_S1C_S1E_T6_T7_T9_mT8_S1G_bDpT10_ENKUlT_T0_E_clISt17integral_constantIbLb1EES1U_EEDaS1P_S1Q_EUlS1P_E_NS1_11comp_targetILNS1_3genE2ELNS1_11target_archE906ELNS1_3gpuE6ELNS1_3repE0EEENS1_30default_config_static_selectorELNS0_4arch9wavefront6targetE0EEEvS12_.num_named_barrier, 0
	.set _ZN7rocprim17ROCPRIM_400000_NS6detail17trampoline_kernelINS0_13select_configILj256ELj13ELNS0_17block_load_methodE3ELS4_3ELS4_3ELNS0_20block_scan_algorithmE0ELj4294967295EEENS1_25partition_config_selectorILNS1_17partition_subalgoE4EjNS0_10empty_typeEbEEZZNS1_14partition_implILS8_4ELb0ES6_15HIP_vector_typeIjLj2EENS0_17counting_iteratorIjlEEPS9_SG_NS0_5tupleIJPjSI_NS0_16reverse_iteratorISI_EEEEENSH_IJSG_SG_SG_EEES9_SI_JZNS1_25segmented_radix_sort_implINS0_14default_configELb0EPKhPhPKlPlN2at6native12_GLOBAL__N_18offset_tEEE10hipError_tPvRmT1_PNSt15iterator_traitsIS12_E10value_typeET2_T3_PNS13_IS18_E10value_typeET4_jRbjT5_S1E_jjP12ihipStream_tbEUljE_ZNSN_ISO_Lb0ESQ_SR_ST_SU_SY_EESZ_S10_S11_S12_S16_S17_S18_S1B_S1C_jS1D_jS1E_S1E_jjS1G_bEUljE0_EEESZ_S10_S11_S18_S1C_S1E_T6_T7_T9_mT8_S1G_bDpT10_ENKUlT_T0_E_clISt17integral_constantIbLb1EES1U_EEDaS1P_S1Q_EUlS1P_E_NS1_11comp_targetILNS1_3genE2ELNS1_11target_archE906ELNS1_3gpuE6ELNS1_3repE0EEENS1_30default_config_static_selectorELNS0_4arch9wavefront6targetE0EEEvS12_.private_seg_size, 0
	.set _ZN7rocprim17ROCPRIM_400000_NS6detail17trampoline_kernelINS0_13select_configILj256ELj13ELNS0_17block_load_methodE3ELS4_3ELS4_3ELNS0_20block_scan_algorithmE0ELj4294967295EEENS1_25partition_config_selectorILNS1_17partition_subalgoE4EjNS0_10empty_typeEbEEZZNS1_14partition_implILS8_4ELb0ES6_15HIP_vector_typeIjLj2EENS0_17counting_iteratorIjlEEPS9_SG_NS0_5tupleIJPjSI_NS0_16reverse_iteratorISI_EEEEENSH_IJSG_SG_SG_EEES9_SI_JZNS1_25segmented_radix_sort_implINS0_14default_configELb0EPKhPhPKlPlN2at6native12_GLOBAL__N_18offset_tEEE10hipError_tPvRmT1_PNSt15iterator_traitsIS12_E10value_typeET2_T3_PNS13_IS18_E10value_typeET4_jRbjT5_S1E_jjP12ihipStream_tbEUljE_ZNSN_ISO_Lb0ESQ_SR_ST_SU_SY_EESZ_S10_S11_S12_S16_S17_S18_S1B_S1C_jS1D_jS1E_S1E_jjS1G_bEUljE0_EEESZ_S10_S11_S18_S1C_S1E_T6_T7_T9_mT8_S1G_bDpT10_ENKUlT_T0_E_clISt17integral_constantIbLb1EES1U_EEDaS1P_S1Q_EUlS1P_E_NS1_11comp_targetILNS1_3genE2ELNS1_11target_archE906ELNS1_3gpuE6ELNS1_3repE0EEENS1_30default_config_static_selectorELNS0_4arch9wavefront6targetE0EEEvS12_.uses_vcc, 0
	.set _ZN7rocprim17ROCPRIM_400000_NS6detail17trampoline_kernelINS0_13select_configILj256ELj13ELNS0_17block_load_methodE3ELS4_3ELS4_3ELNS0_20block_scan_algorithmE0ELj4294967295EEENS1_25partition_config_selectorILNS1_17partition_subalgoE4EjNS0_10empty_typeEbEEZZNS1_14partition_implILS8_4ELb0ES6_15HIP_vector_typeIjLj2EENS0_17counting_iteratorIjlEEPS9_SG_NS0_5tupleIJPjSI_NS0_16reverse_iteratorISI_EEEEENSH_IJSG_SG_SG_EEES9_SI_JZNS1_25segmented_radix_sort_implINS0_14default_configELb0EPKhPhPKlPlN2at6native12_GLOBAL__N_18offset_tEEE10hipError_tPvRmT1_PNSt15iterator_traitsIS12_E10value_typeET2_T3_PNS13_IS18_E10value_typeET4_jRbjT5_S1E_jjP12ihipStream_tbEUljE_ZNSN_ISO_Lb0ESQ_SR_ST_SU_SY_EESZ_S10_S11_S12_S16_S17_S18_S1B_S1C_jS1D_jS1E_S1E_jjS1G_bEUljE0_EEESZ_S10_S11_S18_S1C_S1E_T6_T7_T9_mT8_S1G_bDpT10_ENKUlT_T0_E_clISt17integral_constantIbLb1EES1U_EEDaS1P_S1Q_EUlS1P_E_NS1_11comp_targetILNS1_3genE2ELNS1_11target_archE906ELNS1_3gpuE6ELNS1_3repE0EEENS1_30default_config_static_selectorELNS0_4arch9wavefront6targetE0EEEvS12_.uses_flat_scratch, 0
	.set _ZN7rocprim17ROCPRIM_400000_NS6detail17trampoline_kernelINS0_13select_configILj256ELj13ELNS0_17block_load_methodE3ELS4_3ELS4_3ELNS0_20block_scan_algorithmE0ELj4294967295EEENS1_25partition_config_selectorILNS1_17partition_subalgoE4EjNS0_10empty_typeEbEEZZNS1_14partition_implILS8_4ELb0ES6_15HIP_vector_typeIjLj2EENS0_17counting_iteratorIjlEEPS9_SG_NS0_5tupleIJPjSI_NS0_16reverse_iteratorISI_EEEEENSH_IJSG_SG_SG_EEES9_SI_JZNS1_25segmented_radix_sort_implINS0_14default_configELb0EPKhPhPKlPlN2at6native12_GLOBAL__N_18offset_tEEE10hipError_tPvRmT1_PNSt15iterator_traitsIS12_E10value_typeET2_T3_PNS13_IS18_E10value_typeET4_jRbjT5_S1E_jjP12ihipStream_tbEUljE_ZNSN_ISO_Lb0ESQ_SR_ST_SU_SY_EESZ_S10_S11_S12_S16_S17_S18_S1B_S1C_jS1D_jS1E_S1E_jjS1G_bEUljE0_EEESZ_S10_S11_S18_S1C_S1E_T6_T7_T9_mT8_S1G_bDpT10_ENKUlT_T0_E_clISt17integral_constantIbLb1EES1U_EEDaS1P_S1Q_EUlS1P_E_NS1_11comp_targetILNS1_3genE2ELNS1_11target_archE906ELNS1_3gpuE6ELNS1_3repE0EEENS1_30default_config_static_selectorELNS0_4arch9wavefront6targetE0EEEvS12_.has_dyn_sized_stack, 0
	.set _ZN7rocprim17ROCPRIM_400000_NS6detail17trampoline_kernelINS0_13select_configILj256ELj13ELNS0_17block_load_methodE3ELS4_3ELS4_3ELNS0_20block_scan_algorithmE0ELj4294967295EEENS1_25partition_config_selectorILNS1_17partition_subalgoE4EjNS0_10empty_typeEbEEZZNS1_14partition_implILS8_4ELb0ES6_15HIP_vector_typeIjLj2EENS0_17counting_iteratorIjlEEPS9_SG_NS0_5tupleIJPjSI_NS0_16reverse_iteratorISI_EEEEENSH_IJSG_SG_SG_EEES9_SI_JZNS1_25segmented_radix_sort_implINS0_14default_configELb0EPKhPhPKlPlN2at6native12_GLOBAL__N_18offset_tEEE10hipError_tPvRmT1_PNSt15iterator_traitsIS12_E10value_typeET2_T3_PNS13_IS18_E10value_typeET4_jRbjT5_S1E_jjP12ihipStream_tbEUljE_ZNSN_ISO_Lb0ESQ_SR_ST_SU_SY_EESZ_S10_S11_S12_S16_S17_S18_S1B_S1C_jS1D_jS1E_S1E_jjS1G_bEUljE0_EEESZ_S10_S11_S18_S1C_S1E_T6_T7_T9_mT8_S1G_bDpT10_ENKUlT_T0_E_clISt17integral_constantIbLb1EES1U_EEDaS1P_S1Q_EUlS1P_E_NS1_11comp_targetILNS1_3genE2ELNS1_11target_archE906ELNS1_3gpuE6ELNS1_3repE0EEENS1_30default_config_static_selectorELNS0_4arch9wavefront6targetE0EEEvS12_.has_recursion, 0
	.set _ZN7rocprim17ROCPRIM_400000_NS6detail17trampoline_kernelINS0_13select_configILj256ELj13ELNS0_17block_load_methodE3ELS4_3ELS4_3ELNS0_20block_scan_algorithmE0ELj4294967295EEENS1_25partition_config_selectorILNS1_17partition_subalgoE4EjNS0_10empty_typeEbEEZZNS1_14partition_implILS8_4ELb0ES6_15HIP_vector_typeIjLj2EENS0_17counting_iteratorIjlEEPS9_SG_NS0_5tupleIJPjSI_NS0_16reverse_iteratorISI_EEEEENSH_IJSG_SG_SG_EEES9_SI_JZNS1_25segmented_radix_sort_implINS0_14default_configELb0EPKhPhPKlPlN2at6native12_GLOBAL__N_18offset_tEEE10hipError_tPvRmT1_PNSt15iterator_traitsIS12_E10value_typeET2_T3_PNS13_IS18_E10value_typeET4_jRbjT5_S1E_jjP12ihipStream_tbEUljE_ZNSN_ISO_Lb0ESQ_SR_ST_SU_SY_EESZ_S10_S11_S12_S16_S17_S18_S1B_S1C_jS1D_jS1E_S1E_jjS1G_bEUljE0_EEESZ_S10_S11_S18_S1C_S1E_T6_T7_T9_mT8_S1G_bDpT10_ENKUlT_T0_E_clISt17integral_constantIbLb1EES1U_EEDaS1P_S1Q_EUlS1P_E_NS1_11comp_targetILNS1_3genE2ELNS1_11target_archE906ELNS1_3gpuE6ELNS1_3repE0EEENS1_30default_config_static_selectorELNS0_4arch9wavefront6targetE0EEEvS12_.has_indirect_call, 0
	.section	.AMDGPU.csdata,"",@progbits
; Kernel info:
; codeLenInByte = 0
; TotalNumSgprs: 0
; NumVgprs: 0
; ScratchSize: 0
; MemoryBound: 0
; FloatMode: 240
; IeeeMode: 1
; LDSByteSize: 0 bytes/workgroup (compile time only)
; SGPRBlocks: 0
; VGPRBlocks: 0
; NumSGPRsForWavesPerEU: 1
; NumVGPRsForWavesPerEU: 1
; NamedBarCnt: 0
; Occupancy: 16
; WaveLimiterHint : 0
; COMPUTE_PGM_RSRC2:SCRATCH_EN: 0
; COMPUTE_PGM_RSRC2:USER_SGPR: 2
; COMPUTE_PGM_RSRC2:TRAP_HANDLER: 0
; COMPUTE_PGM_RSRC2:TGID_X_EN: 1
; COMPUTE_PGM_RSRC2:TGID_Y_EN: 0
; COMPUTE_PGM_RSRC2:TGID_Z_EN: 0
; COMPUTE_PGM_RSRC2:TIDIG_COMP_CNT: 0
	.section	.text._ZN7rocprim17ROCPRIM_400000_NS6detail17trampoline_kernelINS0_13select_configILj256ELj13ELNS0_17block_load_methodE3ELS4_3ELS4_3ELNS0_20block_scan_algorithmE0ELj4294967295EEENS1_25partition_config_selectorILNS1_17partition_subalgoE4EjNS0_10empty_typeEbEEZZNS1_14partition_implILS8_4ELb0ES6_15HIP_vector_typeIjLj2EENS0_17counting_iteratorIjlEEPS9_SG_NS0_5tupleIJPjSI_NS0_16reverse_iteratorISI_EEEEENSH_IJSG_SG_SG_EEES9_SI_JZNS1_25segmented_radix_sort_implINS0_14default_configELb0EPKhPhPKlPlN2at6native12_GLOBAL__N_18offset_tEEE10hipError_tPvRmT1_PNSt15iterator_traitsIS12_E10value_typeET2_T3_PNS13_IS18_E10value_typeET4_jRbjT5_S1E_jjP12ihipStream_tbEUljE_ZNSN_ISO_Lb0ESQ_SR_ST_SU_SY_EESZ_S10_S11_S12_S16_S17_S18_S1B_S1C_jS1D_jS1E_S1E_jjS1G_bEUljE0_EEESZ_S10_S11_S18_S1C_S1E_T6_T7_T9_mT8_S1G_bDpT10_ENKUlT_T0_E_clISt17integral_constantIbLb1EES1U_EEDaS1P_S1Q_EUlS1P_E_NS1_11comp_targetILNS1_3genE10ELNS1_11target_archE1200ELNS1_3gpuE4ELNS1_3repE0EEENS1_30default_config_static_selectorELNS0_4arch9wavefront6targetE0EEEvS12_,"axG",@progbits,_ZN7rocprim17ROCPRIM_400000_NS6detail17trampoline_kernelINS0_13select_configILj256ELj13ELNS0_17block_load_methodE3ELS4_3ELS4_3ELNS0_20block_scan_algorithmE0ELj4294967295EEENS1_25partition_config_selectorILNS1_17partition_subalgoE4EjNS0_10empty_typeEbEEZZNS1_14partition_implILS8_4ELb0ES6_15HIP_vector_typeIjLj2EENS0_17counting_iteratorIjlEEPS9_SG_NS0_5tupleIJPjSI_NS0_16reverse_iteratorISI_EEEEENSH_IJSG_SG_SG_EEES9_SI_JZNS1_25segmented_radix_sort_implINS0_14default_configELb0EPKhPhPKlPlN2at6native12_GLOBAL__N_18offset_tEEE10hipError_tPvRmT1_PNSt15iterator_traitsIS12_E10value_typeET2_T3_PNS13_IS18_E10value_typeET4_jRbjT5_S1E_jjP12ihipStream_tbEUljE_ZNSN_ISO_Lb0ESQ_SR_ST_SU_SY_EESZ_S10_S11_S12_S16_S17_S18_S1B_S1C_jS1D_jS1E_S1E_jjS1G_bEUljE0_EEESZ_S10_S11_S18_S1C_S1E_T6_T7_T9_mT8_S1G_bDpT10_ENKUlT_T0_E_clISt17integral_constantIbLb1EES1U_EEDaS1P_S1Q_EUlS1P_E_NS1_11comp_targetILNS1_3genE10ELNS1_11target_archE1200ELNS1_3gpuE4ELNS1_3repE0EEENS1_30default_config_static_selectorELNS0_4arch9wavefront6targetE0EEEvS12_,comdat
	.globl	_ZN7rocprim17ROCPRIM_400000_NS6detail17trampoline_kernelINS0_13select_configILj256ELj13ELNS0_17block_load_methodE3ELS4_3ELS4_3ELNS0_20block_scan_algorithmE0ELj4294967295EEENS1_25partition_config_selectorILNS1_17partition_subalgoE4EjNS0_10empty_typeEbEEZZNS1_14partition_implILS8_4ELb0ES6_15HIP_vector_typeIjLj2EENS0_17counting_iteratorIjlEEPS9_SG_NS0_5tupleIJPjSI_NS0_16reverse_iteratorISI_EEEEENSH_IJSG_SG_SG_EEES9_SI_JZNS1_25segmented_radix_sort_implINS0_14default_configELb0EPKhPhPKlPlN2at6native12_GLOBAL__N_18offset_tEEE10hipError_tPvRmT1_PNSt15iterator_traitsIS12_E10value_typeET2_T3_PNS13_IS18_E10value_typeET4_jRbjT5_S1E_jjP12ihipStream_tbEUljE_ZNSN_ISO_Lb0ESQ_SR_ST_SU_SY_EESZ_S10_S11_S12_S16_S17_S18_S1B_S1C_jS1D_jS1E_S1E_jjS1G_bEUljE0_EEESZ_S10_S11_S18_S1C_S1E_T6_T7_T9_mT8_S1G_bDpT10_ENKUlT_T0_E_clISt17integral_constantIbLb1EES1U_EEDaS1P_S1Q_EUlS1P_E_NS1_11comp_targetILNS1_3genE10ELNS1_11target_archE1200ELNS1_3gpuE4ELNS1_3repE0EEENS1_30default_config_static_selectorELNS0_4arch9wavefront6targetE0EEEvS12_ ; -- Begin function _ZN7rocprim17ROCPRIM_400000_NS6detail17trampoline_kernelINS0_13select_configILj256ELj13ELNS0_17block_load_methodE3ELS4_3ELS4_3ELNS0_20block_scan_algorithmE0ELj4294967295EEENS1_25partition_config_selectorILNS1_17partition_subalgoE4EjNS0_10empty_typeEbEEZZNS1_14partition_implILS8_4ELb0ES6_15HIP_vector_typeIjLj2EENS0_17counting_iteratorIjlEEPS9_SG_NS0_5tupleIJPjSI_NS0_16reverse_iteratorISI_EEEEENSH_IJSG_SG_SG_EEES9_SI_JZNS1_25segmented_radix_sort_implINS0_14default_configELb0EPKhPhPKlPlN2at6native12_GLOBAL__N_18offset_tEEE10hipError_tPvRmT1_PNSt15iterator_traitsIS12_E10value_typeET2_T3_PNS13_IS18_E10value_typeET4_jRbjT5_S1E_jjP12ihipStream_tbEUljE_ZNSN_ISO_Lb0ESQ_SR_ST_SU_SY_EESZ_S10_S11_S12_S16_S17_S18_S1B_S1C_jS1D_jS1E_S1E_jjS1G_bEUljE0_EEESZ_S10_S11_S18_S1C_S1E_T6_T7_T9_mT8_S1G_bDpT10_ENKUlT_T0_E_clISt17integral_constantIbLb1EES1U_EEDaS1P_S1Q_EUlS1P_E_NS1_11comp_targetILNS1_3genE10ELNS1_11target_archE1200ELNS1_3gpuE4ELNS1_3repE0EEENS1_30default_config_static_selectorELNS0_4arch9wavefront6targetE0EEEvS12_
	.p2align	8
	.type	_ZN7rocprim17ROCPRIM_400000_NS6detail17trampoline_kernelINS0_13select_configILj256ELj13ELNS0_17block_load_methodE3ELS4_3ELS4_3ELNS0_20block_scan_algorithmE0ELj4294967295EEENS1_25partition_config_selectorILNS1_17partition_subalgoE4EjNS0_10empty_typeEbEEZZNS1_14partition_implILS8_4ELb0ES6_15HIP_vector_typeIjLj2EENS0_17counting_iteratorIjlEEPS9_SG_NS0_5tupleIJPjSI_NS0_16reverse_iteratorISI_EEEEENSH_IJSG_SG_SG_EEES9_SI_JZNS1_25segmented_radix_sort_implINS0_14default_configELb0EPKhPhPKlPlN2at6native12_GLOBAL__N_18offset_tEEE10hipError_tPvRmT1_PNSt15iterator_traitsIS12_E10value_typeET2_T3_PNS13_IS18_E10value_typeET4_jRbjT5_S1E_jjP12ihipStream_tbEUljE_ZNSN_ISO_Lb0ESQ_SR_ST_SU_SY_EESZ_S10_S11_S12_S16_S17_S18_S1B_S1C_jS1D_jS1E_S1E_jjS1G_bEUljE0_EEESZ_S10_S11_S18_S1C_S1E_T6_T7_T9_mT8_S1G_bDpT10_ENKUlT_T0_E_clISt17integral_constantIbLb1EES1U_EEDaS1P_S1Q_EUlS1P_E_NS1_11comp_targetILNS1_3genE10ELNS1_11target_archE1200ELNS1_3gpuE4ELNS1_3repE0EEENS1_30default_config_static_selectorELNS0_4arch9wavefront6targetE0EEEvS12_,@function
_ZN7rocprim17ROCPRIM_400000_NS6detail17trampoline_kernelINS0_13select_configILj256ELj13ELNS0_17block_load_methodE3ELS4_3ELS4_3ELNS0_20block_scan_algorithmE0ELj4294967295EEENS1_25partition_config_selectorILNS1_17partition_subalgoE4EjNS0_10empty_typeEbEEZZNS1_14partition_implILS8_4ELb0ES6_15HIP_vector_typeIjLj2EENS0_17counting_iteratorIjlEEPS9_SG_NS0_5tupleIJPjSI_NS0_16reverse_iteratorISI_EEEEENSH_IJSG_SG_SG_EEES9_SI_JZNS1_25segmented_radix_sort_implINS0_14default_configELb0EPKhPhPKlPlN2at6native12_GLOBAL__N_18offset_tEEE10hipError_tPvRmT1_PNSt15iterator_traitsIS12_E10value_typeET2_T3_PNS13_IS18_E10value_typeET4_jRbjT5_S1E_jjP12ihipStream_tbEUljE_ZNSN_ISO_Lb0ESQ_SR_ST_SU_SY_EESZ_S10_S11_S12_S16_S17_S18_S1B_S1C_jS1D_jS1E_S1E_jjS1G_bEUljE0_EEESZ_S10_S11_S18_S1C_S1E_T6_T7_T9_mT8_S1G_bDpT10_ENKUlT_T0_E_clISt17integral_constantIbLb1EES1U_EEDaS1P_S1Q_EUlS1P_E_NS1_11comp_targetILNS1_3genE10ELNS1_11target_archE1200ELNS1_3gpuE4ELNS1_3repE0EEENS1_30default_config_static_selectorELNS0_4arch9wavefront6targetE0EEEvS12_: ; @_ZN7rocprim17ROCPRIM_400000_NS6detail17trampoline_kernelINS0_13select_configILj256ELj13ELNS0_17block_load_methodE3ELS4_3ELS4_3ELNS0_20block_scan_algorithmE0ELj4294967295EEENS1_25partition_config_selectorILNS1_17partition_subalgoE4EjNS0_10empty_typeEbEEZZNS1_14partition_implILS8_4ELb0ES6_15HIP_vector_typeIjLj2EENS0_17counting_iteratorIjlEEPS9_SG_NS0_5tupleIJPjSI_NS0_16reverse_iteratorISI_EEEEENSH_IJSG_SG_SG_EEES9_SI_JZNS1_25segmented_radix_sort_implINS0_14default_configELb0EPKhPhPKlPlN2at6native12_GLOBAL__N_18offset_tEEE10hipError_tPvRmT1_PNSt15iterator_traitsIS12_E10value_typeET2_T3_PNS13_IS18_E10value_typeET4_jRbjT5_S1E_jjP12ihipStream_tbEUljE_ZNSN_ISO_Lb0ESQ_SR_ST_SU_SY_EESZ_S10_S11_S12_S16_S17_S18_S1B_S1C_jS1D_jS1E_S1E_jjS1G_bEUljE0_EEESZ_S10_S11_S18_S1C_S1E_T6_T7_T9_mT8_S1G_bDpT10_ENKUlT_T0_E_clISt17integral_constantIbLb1EES1U_EEDaS1P_S1Q_EUlS1P_E_NS1_11comp_targetILNS1_3genE10ELNS1_11target_archE1200ELNS1_3gpuE4ELNS1_3repE0EEENS1_30default_config_static_selectorELNS0_4arch9wavefront6targetE0EEEvS12_
; %bb.0:
	.section	.rodata,"a",@progbits
	.p2align	6, 0x0
	.amdhsa_kernel _ZN7rocprim17ROCPRIM_400000_NS6detail17trampoline_kernelINS0_13select_configILj256ELj13ELNS0_17block_load_methodE3ELS4_3ELS4_3ELNS0_20block_scan_algorithmE0ELj4294967295EEENS1_25partition_config_selectorILNS1_17partition_subalgoE4EjNS0_10empty_typeEbEEZZNS1_14partition_implILS8_4ELb0ES6_15HIP_vector_typeIjLj2EENS0_17counting_iteratorIjlEEPS9_SG_NS0_5tupleIJPjSI_NS0_16reverse_iteratorISI_EEEEENSH_IJSG_SG_SG_EEES9_SI_JZNS1_25segmented_radix_sort_implINS0_14default_configELb0EPKhPhPKlPlN2at6native12_GLOBAL__N_18offset_tEEE10hipError_tPvRmT1_PNSt15iterator_traitsIS12_E10value_typeET2_T3_PNS13_IS18_E10value_typeET4_jRbjT5_S1E_jjP12ihipStream_tbEUljE_ZNSN_ISO_Lb0ESQ_SR_ST_SU_SY_EESZ_S10_S11_S12_S16_S17_S18_S1B_S1C_jS1D_jS1E_S1E_jjS1G_bEUljE0_EEESZ_S10_S11_S18_S1C_S1E_T6_T7_T9_mT8_S1G_bDpT10_ENKUlT_T0_E_clISt17integral_constantIbLb1EES1U_EEDaS1P_S1Q_EUlS1P_E_NS1_11comp_targetILNS1_3genE10ELNS1_11target_archE1200ELNS1_3gpuE4ELNS1_3repE0EEENS1_30default_config_static_selectorELNS0_4arch9wavefront6targetE0EEEvS12_
		.amdhsa_group_segment_fixed_size 0
		.amdhsa_private_segment_fixed_size 0
		.amdhsa_kernarg_size 184
		.amdhsa_user_sgpr_count 2
		.amdhsa_user_sgpr_dispatch_ptr 0
		.amdhsa_user_sgpr_queue_ptr 0
		.amdhsa_user_sgpr_kernarg_segment_ptr 1
		.amdhsa_user_sgpr_dispatch_id 0
		.amdhsa_user_sgpr_kernarg_preload_length 0
		.amdhsa_user_sgpr_kernarg_preload_offset 0
		.amdhsa_user_sgpr_private_segment_size 0
		.amdhsa_wavefront_size32 1
		.amdhsa_uses_dynamic_stack 0
		.amdhsa_enable_private_segment 0
		.amdhsa_system_sgpr_workgroup_id_x 1
		.amdhsa_system_sgpr_workgroup_id_y 0
		.amdhsa_system_sgpr_workgroup_id_z 0
		.amdhsa_system_sgpr_workgroup_info 0
		.amdhsa_system_vgpr_workitem_id 0
		.amdhsa_next_free_vgpr 1
		.amdhsa_next_free_sgpr 1
		.amdhsa_named_barrier_count 0
		.amdhsa_reserve_vcc 0
		.amdhsa_float_round_mode_32 0
		.amdhsa_float_round_mode_16_64 0
		.amdhsa_float_denorm_mode_32 3
		.amdhsa_float_denorm_mode_16_64 3
		.amdhsa_fp16_overflow 0
		.amdhsa_memory_ordered 1
		.amdhsa_forward_progress 1
		.amdhsa_inst_pref_size 0
		.amdhsa_round_robin_scheduling 0
		.amdhsa_exception_fp_ieee_invalid_op 0
		.amdhsa_exception_fp_denorm_src 0
		.amdhsa_exception_fp_ieee_div_zero 0
		.amdhsa_exception_fp_ieee_overflow 0
		.amdhsa_exception_fp_ieee_underflow 0
		.amdhsa_exception_fp_ieee_inexact 0
		.amdhsa_exception_int_div_zero 0
	.end_amdhsa_kernel
	.section	.text._ZN7rocprim17ROCPRIM_400000_NS6detail17trampoline_kernelINS0_13select_configILj256ELj13ELNS0_17block_load_methodE3ELS4_3ELS4_3ELNS0_20block_scan_algorithmE0ELj4294967295EEENS1_25partition_config_selectorILNS1_17partition_subalgoE4EjNS0_10empty_typeEbEEZZNS1_14partition_implILS8_4ELb0ES6_15HIP_vector_typeIjLj2EENS0_17counting_iteratorIjlEEPS9_SG_NS0_5tupleIJPjSI_NS0_16reverse_iteratorISI_EEEEENSH_IJSG_SG_SG_EEES9_SI_JZNS1_25segmented_radix_sort_implINS0_14default_configELb0EPKhPhPKlPlN2at6native12_GLOBAL__N_18offset_tEEE10hipError_tPvRmT1_PNSt15iterator_traitsIS12_E10value_typeET2_T3_PNS13_IS18_E10value_typeET4_jRbjT5_S1E_jjP12ihipStream_tbEUljE_ZNSN_ISO_Lb0ESQ_SR_ST_SU_SY_EESZ_S10_S11_S12_S16_S17_S18_S1B_S1C_jS1D_jS1E_S1E_jjS1G_bEUljE0_EEESZ_S10_S11_S18_S1C_S1E_T6_T7_T9_mT8_S1G_bDpT10_ENKUlT_T0_E_clISt17integral_constantIbLb1EES1U_EEDaS1P_S1Q_EUlS1P_E_NS1_11comp_targetILNS1_3genE10ELNS1_11target_archE1200ELNS1_3gpuE4ELNS1_3repE0EEENS1_30default_config_static_selectorELNS0_4arch9wavefront6targetE0EEEvS12_,"axG",@progbits,_ZN7rocprim17ROCPRIM_400000_NS6detail17trampoline_kernelINS0_13select_configILj256ELj13ELNS0_17block_load_methodE3ELS4_3ELS4_3ELNS0_20block_scan_algorithmE0ELj4294967295EEENS1_25partition_config_selectorILNS1_17partition_subalgoE4EjNS0_10empty_typeEbEEZZNS1_14partition_implILS8_4ELb0ES6_15HIP_vector_typeIjLj2EENS0_17counting_iteratorIjlEEPS9_SG_NS0_5tupleIJPjSI_NS0_16reverse_iteratorISI_EEEEENSH_IJSG_SG_SG_EEES9_SI_JZNS1_25segmented_radix_sort_implINS0_14default_configELb0EPKhPhPKlPlN2at6native12_GLOBAL__N_18offset_tEEE10hipError_tPvRmT1_PNSt15iterator_traitsIS12_E10value_typeET2_T3_PNS13_IS18_E10value_typeET4_jRbjT5_S1E_jjP12ihipStream_tbEUljE_ZNSN_ISO_Lb0ESQ_SR_ST_SU_SY_EESZ_S10_S11_S12_S16_S17_S18_S1B_S1C_jS1D_jS1E_S1E_jjS1G_bEUljE0_EEESZ_S10_S11_S18_S1C_S1E_T6_T7_T9_mT8_S1G_bDpT10_ENKUlT_T0_E_clISt17integral_constantIbLb1EES1U_EEDaS1P_S1Q_EUlS1P_E_NS1_11comp_targetILNS1_3genE10ELNS1_11target_archE1200ELNS1_3gpuE4ELNS1_3repE0EEENS1_30default_config_static_selectorELNS0_4arch9wavefront6targetE0EEEvS12_,comdat
.Lfunc_end134:
	.size	_ZN7rocprim17ROCPRIM_400000_NS6detail17trampoline_kernelINS0_13select_configILj256ELj13ELNS0_17block_load_methodE3ELS4_3ELS4_3ELNS0_20block_scan_algorithmE0ELj4294967295EEENS1_25partition_config_selectorILNS1_17partition_subalgoE4EjNS0_10empty_typeEbEEZZNS1_14partition_implILS8_4ELb0ES6_15HIP_vector_typeIjLj2EENS0_17counting_iteratorIjlEEPS9_SG_NS0_5tupleIJPjSI_NS0_16reverse_iteratorISI_EEEEENSH_IJSG_SG_SG_EEES9_SI_JZNS1_25segmented_radix_sort_implINS0_14default_configELb0EPKhPhPKlPlN2at6native12_GLOBAL__N_18offset_tEEE10hipError_tPvRmT1_PNSt15iterator_traitsIS12_E10value_typeET2_T3_PNS13_IS18_E10value_typeET4_jRbjT5_S1E_jjP12ihipStream_tbEUljE_ZNSN_ISO_Lb0ESQ_SR_ST_SU_SY_EESZ_S10_S11_S12_S16_S17_S18_S1B_S1C_jS1D_jS1E_S1E_jjS1G_bEUljE0_EEESZ_S10_S11_S18_S1C_S1E_T6_T7_T9_mT8_S1G_bDpT10_ENKUlT_T0_E_clISt17integral_constantIbLb1EES1U_EEDaS1P_S1Q_EUlS1P_E_NS1_11comp_targetILNS1_3genE10ELNS1_11target_archE1200ELNS1_3gpuE4ELNS1_3repE0EEENS1_30default_config_static_selectorELNS0_4arch9wavefront6targetE0EEEvS12_, .Lfunc_end134-_ZN7rocprim17ROCPRIM_400000_NS6detail17trampoline_kernelINS0_13select_configILj256ELj13ELNS0_17block_load_methodE3ELS4_3ELS4_3ELNS0_20block_scan_algorithmE0ELj4294967295EEENS1_25partition_config_selectorILNS1_17partition_subalgoE4EjNS0_10empty_typeEbEEZZNS1_14partition_implILS8_4ELb0ES6_15HIP_vector_typeIjLj2EENS0_17counting_iteratorIjlEEPS9_SG_NS0_5tupleIJPjSI_NS0_16reverse_iteratorISI_EEEEENSH_IJSG_SG_SG_EEES9_SI_JZNS1_25segmented_radix_sort_implINS0_14default_configELb0EPKhPhPKlPlN2at6native12_GLOBAL__N_18offset_tEEE10hipError_tPvRmT1_PNSt15iterator_traitsIS12_E10value_typeET2_T3_PNS13_IS18_E10value_typeET4_jRbjT5_S1E_jjP12ihipStream_tbEUljE_ZNSN_ISO_Lb0ESQ_SR_ST_SU_SY_EESZ_S10_S11_S12_S16_S17_S18_S1B_S1C_jS1D_jS1E_S1E_jjS1G_bEUljE0_EEESZ_S10_S11_S18_S1C_S1E_T6_T7_T9_mT8_S1G_bDpT10_ENKUlT_T0_E_clISt17integral_constantIbLb1EES1U_EEDaS1P_S1Q_EUlS1P_E_NS1_11comp_targetILNS1_3genE10ELNS1_11target_archE1200ELNS1_3gpuE4ELNS1_3repE0EEENS1_30default_config_static_selectorELNS0_4arch9wavefront6targetE0EEEvS12_
                                        ; -- End function
	.set _ZN7rocprim17ROCPRIM_400000_NS6detail17trampoline_kernelINS0_13select_configILj256ELj13ELNS0_17block_load_methodE3ELS4_3ELS4_3ELNS0_20block_scan_algorithmE0ELj4294967295EEENS1_25partition_config_selectorILNS1_17partition_subalgoE4EjNS0_10empty_typeEbEEZZNS1_14partition_implILS8_4ELb0ES6_15HIP_vector_typeIjLj2EENS0_17counting_iteratorIjlEEPS9_SG_NS0_5tupleIJPjSI_NS0_16reverse_iteratorISI_EEEEENSH_IJSG_SG_SG_EEES9_SI_JZNS1_25segmented_radix_sort_implINS0_14default_configELb0EPKhPhPKlPlN2at6native12_GLOBAL__N_18offset_tEEE10hipError_tPvRmT1_PNSt15iterator_traitsIS12_E10value_typeET2_T3_PNS13_IS18_E10value_typeET4_jRbjT5_S1E_jjP12ihipStream_tbEUljE_ZNSN_ISO_Lb0ESQ_SR_ST_SU_SY_EESZ_S10_S11_S12_S16_S17_S18_S1B_S1C_jS1D_jS1E_S1E_jjS1G_bEUljE0_EEESZ_S10_S11_S18_S1C_S1E_T6_T7_T9_mT8_S1G_bDpT10_ENKUlT_T0_E_clISt17integral_constantIbLb1EES1U_EEDaS1P_S1Q_EUlS1P_E_NS1_11comp_targetILNS1_3genE10ELNS1_11target_archE1200ELNS1_3gpuE4ELNS1_3repE0EEENS1_30default_config_static_selectorELNS0_4arch9wavefront6targetE0EEEvS12_.num_vgpr, 0
	.set _ZN7rocprim17ROCPRIM_400000_NS6detail17trampoline_kernelINS0_13select_configILj256ELj13ELNS0_17block_load_methodE3ELS4_3ELS4_3ELNS0_20block_scan_algorithmE0ELj4294967295EEENS1_25partition_config_selectorILNS1_17partition_subalgoE4EjNS0_10empty_typeEbEEZZNS1_14partition_implILS8_4ELb0ES6_15HIP_vector_typeIjLj2EENS0_17counting_iteratorIjlEEPS9_SG_NS0_5tupleIJPjSI_NS0_16reverse_iteratorISI_EEEEENSH_IJSG_SG_SG_EEES9_SI_JZNS1_25segmented_radix_sort_implINS0_14default_configELb0EPKhPhPKlPlN2at6native12_GLOBAL__N_18offset_tEEE10hipError_tPvRmT1_PNSt15iterator_traitsIS12_E10value_typeET2_T3_PNS13_IS18_E10value_typeET4_jRbjT5_S1E_jjP12ihipStream_tbEUljE_ZNSN_ISO_Lb0ESQ_SR_ST_SU_SY_EESZ_S10_S11_S12_S16_S17_S18_S1B_S1C_jS1D_jS1E_S1E_jjS1G_bEUljE0_EEESZ_S10_S11_S18_S1C_S1E_T6_T7_T9_mT8_S1G_bDpT10_ENKUlT_T0_E_clISt17integral_constantIbLb1EES1U_EEDaS1P_S1Q_EUlS1P_E_NS1_11comp_targetILNS1_3genE10ELNS1_11target_archE1200ELNS1_3gpuE4ELNS1_3repE0EEENS1_30default_config_static_selectorELNS0_4arch9wavefront6targetE0EEEvS12_.num_agpr, 0
	.set _ZN7rocprim17ROCPRIM_400000_NS6detail17trampoline_kernelINS0_13select_configILj256ELj13ELNS0_17block_load_methodE3ELS4_3ELS4_3ELNS0_20block_scan_algorithmE0ELj4294967295EEENS1_25partition_config_selectorILNS1_17partition_subalgoE4EjNS0_10empty_typeEbEEZZNS1_14partition_implILS8_4ELb0ES6_15HIP_vector_typeIjLj2EENS0_17counting_iteratorIjlEEPS9_SG_NS0_5tupleIJPjSI_NS0_16reverse_iteratorISI_EEEEENSH_IJSG_SG_SG_EEES9_SI_JZNS1_25segmented_radix_sort_implINS0_14default_configELb0EPKhPhPKlPlN2at6native12_GLOBAL__N_18offset_tEEE10hipError_tPvRmT1_PNSt15iterator_traitsIS12_E10value_typeET2_T3_PNS13_IS18_E10value_typeET4_jRbjT5_S1E_jjP12ihipStream_tbEUljE_ZNSN_ISO_Lb0ESQ_SR_ST_SU_SY_EESZ_S10_S11_S12_S16_S17_S18_S1B_S1C_jS1D_jS1E_S1E_jjS1G_bEUljE0_EEESZ_S10_S11_S18_S1C_S1E_T6_T7_T9_mT8_S1G_bDpT10_ENKUlT_T0_E_clISt17integral_constantIbLb1EES1U_EEDaS1P_S1Q_EUlS1P_E_NS1_11comp_targetILNS1_3genE10ELNS1_11target_archE1200ELNS1_3gpuE4ELNS1_3repE0EEENS1_30default_config_static_selectorELNS0_4arch9wavefront6targetE0EEEvS12_.numbered_sgpr, 0
	.set _ZN7rocprim17ROCPRIM_400000_NS6detail17trampoline_kernelINS0_13select_configILj256ELj13ELNS0_17block_load_methodE3ELS4_3ELS4_3ELNS0_20block_scan_algorithmE0ELj4294967295EEENS1_25partition_config_selectorILNS1_17partition_subalgoE4EjNS0_10empty_typeEbEEZZNS1_14partition_implILS8_4ELb0ES6_15HIP_vector_typeIjLj2EENS0_17counting_iteratorIjlEEPS9_SG_NS0_5tupleIJPjSI_NS0_16reverse_iteratorISI_EEEEENSH_IJSG_SG_SG_EEES9_SI_JZNS1_25segmented_radix_sort_implINS0_14default_configELb0EPKhPhPKlPlN2at6native12_GLOBAL__N_18offset_tEEE10hipError_tPvRmT1_PNSt15iterator_traitsIS12_E10value_typeET2_T3_PNS13_IS18_E10value_typeET4_jRbjT5_S1E_jjP12ihipStream_tbEUljE_ZNSN_ISO_Lb0ESQ_SR_ST_SU_SY_EESZ_S10_S11_S12_S16_S17_S18_S1B_S1C_jS1D_jS1E_S1E_jjS1G_bEUljE0_EEESZ_S10_S11_S18_S1C_S1E_T6_T7_T9_mT8_S1G_bDpT10_ENKUlT_T0_E_clISt17integral_constantIbLb1EES1U_EEDaS1P_S1Q_EUlS1P_E_NS1_11comp_targetILNS1_3genE10ELNS1_11target_archE1200ELNS1_3gpuE4ELNS1_3repE0EEENS1_30default_config_static_selectorELNS0_4arch9wavefront6targetE0EEEvS12_.num_named_barrier, 0
	.set _ZN7rocprim17ROCPRIM_400000_NS6detail17trampoline_kernelINS0_13select_configILj256ELj13ELNS0_17block_load_methodE3ELS4_3ELS4_3ELNS0_20block_scan_algorithmE0ELj4294967295EEENS1_25partition_config_selectorILNS1_17partition_subalgoE4EjNS0_10empty_typeEbEEZZNS1_14partition_implILS8_4ELb0ES6_15HIP_vector_typeIjLj2EENS0_17counting_iteratorIjlEEPS9_SG_NS0_5tupleIJPjSI_NS0_16reverse_iteratorISI_EEEEENSH_IJSG_SG_SG_EEES9_SI_JZNS1_25segmented_radix_sort_implINS0_14default_configELb0EPKhPhPKlPlN2at6native12_GLOBAL__N_18offset_tEEE10hipError_tPvRmT1_PNSt15iterator_traitsIS12_E10value_typeET2_T3_PNS13_IS18_E10value_typeET4_jRbjT5_S1E_jjP12ihipStream_tbEUljE_ZNSN_ISO_Lb0ESQ_SR_ST_SU_SY_EESZ_S10_S11_S12_S16_S17_S18_S1B_S1C_jS1D_jS1E_S1E_jjS1G_bEUljE0_EEESZ_S10_S11_S18_S1C_S1E_T6_T7_T9_mT8_S1G_bDpT10_ENKUlT_T0_E_clISt17integral_constantIbLb1EES1U_EEDaS1P_S1Q_EUlS1P_E_NS1_11comp_targetILNS1_3genE10ELNS1_11target_archE1200ELNS1_3gpuE4ELNS1_3repE0EEENS1_30default_config_static_selectorELNS0_4arch9wavefront6targetE0EEEvS12_.private_seg_size, 0
	.set _ZN7rocprim17ROCPRIM_400000_NS6detail17trampoline_kernelINS0_13select_configILj256ELj13ELNS0_17block_load_methodE3ELS4_3ELS4_3ELNS0_20block_scan_algorithmE0ELj4294967295EEENS1_25partition_config_selectorILNS1_17partition_subalgoE4EjNS0_10empty_typeEbEEZZNS1_14partition_implILS8_4ELb0ES6_15HIP_vector_typeIjLj2EENS0_17counting_iteratorIjlEEPS9_SG_NS0_5tupleIJPjSI_NS0_16reverse_iteratorISI_EEEEENSH_IJSG_SG_SG_EEES9_SI_JZNS1_25segmented_radix_sort_implINS0_14default_configELb0EPKhPhPKlPlN2at6native12_GLOBAL__N_18offset_tEEE10hipError_tPvRmT1_PNSt15iterator_traitsIS12_E10value_typeET2_T3_PNS13_IS18_E10value_typeET4_jRbjT5_S1E_jjP12ihipStream_tbEUljE_ZNSN_ISO_Lb0ESQ_SR_ST_SU_SY_EESZ_S10_S11_S12_S16_S17_S18_S1B_S1C_jS1D_jS1E_S1E_jjS1G_bEUljE0_EEESZ_S10_S11_S18_S1C_S1E_T6_T7_T9_mT8_S1G_bDpT10_ENKUlT_T0_E_clISt17integral_constantIbLb1EES1U_EEDaS1P_S1Q_EUlS1P_E_NS1_11comp_targetILNS1_3genE10ELNS1_11target_archE1200ELNS1_3gpuE4ELNS1_3repE0EEENS1_30default_config_static_selectorELNS0_4arch9wavefront6targetE0EEEvS12_.uses_vcc, 0
	.set _ZN7rocprim17ROCPRIM_400000_NS6detail17trampoline_kernelINS0_13select_configILj256ELj13ELNS0_17block_load_methodE3ELS4_3ELS4_3ELNS0_20block_scan_algorithmE0ELj4294967295EEENS1_25partition_config_selectorILNS1_17partition_subalgoE4EjNS0_10empty_typeEbEEZZNS1_14partition_implILS8_4ELb0ES6_15HIP_vector_typeIjLj2EENS0_17counting_iteratorIjlEEPS9_SG_NS0_5tupleIJPjSI_NS0_16reverse_iteratorISI_EEEEENSH_IJSG_SG_SG_EEES9_SI_JZNS1_25segmented_radix_sort_implINS0_14default_configELb0EPKhPhPKlPlN2at6native12_GLOBAL__N_18offset_tEEE10hipError_tPvRmT1_PNSt15iterator_traitsIS12_E10value_typeET2_T3_PNS13_IS18_E10value_typeET4_jRbjT5_S1E_jjP12ihipStream_tbEUljE_ZNSN_ISO_Lb0ESQ_SR_ST_SU_SY_EESZ_S10_S11_S12_S16_S17_S18_S1B_S1C_jS1D_jS1E_S1E_jjS1G_bEUljE0_EEESZ_S10_S11_S18_S1C_S1E_T6_T7_T9_mT8_S1G_bDpT10_ENKUlT_T0_E_clISt17integral_constantIbLb1EES1U_EEDaS1P_S1Q_EUlS1P_E_NS1_11comp_targetILNS1_3genE10ELNS1_11target_archE1200ELNS1_3gpuE4ELNS1_3repE0EEENS1_30default_config_static_selectorELNS0_4arch9wavefront6targetE0EEEvS12_.uses_flat_scratch, 0
	.set _ZN7rocprim17ROCPRIM_400000_NS6detail17trampoline_kernelINS0_13select_configILj256ELj13ELNS0_17block_load_methodE3ELS4_3ELS4_3ELNS0_20block_scan_algorithmE0ELj4294967295EEENS1_25partition_config_selectorILNS1_17partition_subalgoE4EjNS0_10empty_typeEbEEZZNS1_14partition_implILS8_4ELb0ES6_15HIP_vector_typeIjLj2EENS0_17counting_iteratorIjlEEPS9_SG_NS0_5tupleIJPjSI_NS0_16reverse_iteratorISI_EEEEENSH_IJSG_SG_SG_EEES9_SI_JZNS1_25segmented_radix_sort_implINS0_14default_configELb0EPKhPhPKlPlN2at6native12_GLOBAL__N_18offset_tEEE10hipError_tPvRmT1_PNSt15iterator_traitsIS12_E10value_typeET2_T3_PNS13_IS18_E10value_typeET4_jRbjT5_S1E_jjP12ihipStream_tbEUljE_ZNSN_ISO_Lb0ESQ_SR_ST_SU_SY_EESZ_S10_S11_S12_S16_S17_S18_S1B_S1C_jS1D_jS1E_S1E_jjS1G_bEUljE0_EEESZ_S10_S11_S18_S1C_S1E_T6_T7_T9_mT8_S1G_bDpT10_ENKUlT_T0_E_clISt17integral_constantIbLb1EES1U_EEDaS1P_S1Q_EUlS1P_E_NS1_11comp_targetILNS1_3genE10ELNS1_11target_archE1200ELNS1_3gpuE4ELNS1_3repE0EEENS1_30default_config_static_selectorELNS0_4arch9wavefront6targetE0EEEvS12_.has_dyn_sized_stack, 0
	.set _ZN7rocprim17ROCPRIM_400000_NS6detail17trampoline_kernelINS0_13select_configILj256ELj13ELNS0_17block_load_methodE3ELS4_3ELS4_3ELNS0_20block_scan_algorithmE0ELj4294967295EEENS1_25partition_config_selectorILNS1_17partition_subalgoE4EjNS0_10empty_typeEbEEZZNS1_14partition_implILS8_4ELb0ES6_15HIP_vector_typeIjLj2EENS0_17counting_iteratorIjlEEPS9_SG_NS0_5tupleIJPjSI_NS0_16reverse_iteratorISI_EEEEENSH_IJSG_SG_SG_EEES9_SI_JZNS1_25segmented_radix_sort_implINS0_14default_configELb0EPKhPhPKlPlN2at6native12_GLOBAL__N_18offset_tEEE10hipError_tPvRmT1_PNSt15iterator_traitsIS12_E10value_typeET2_T3_PNS13_IS18_E10value_typeET4_jRbjT5_S1E_jjP12ihipStream_tbEUljE_ZNSN_ISO_Lb0ESQ_SR_ST_SU_SY_EESZ_S10_S11_S12_S16_S17_S18_S1B_S1C_jS1D_jS1E_S1E_jjS1G_bEUljE0_EEESZ_S10_S11_S18_S1C_S1E_T6_T7_T9_mT8_S1G_bDpT10_ENKUlT_T0_E_clISt17integral_constantIbLb1EES1U_EEDaS1P_S1Q_EUlS1P_E_NS1_11comp_targetILNS1_3genE10ELNS1_11target_archE1200ELNS1_3gpuE4ELNS1_3repE0EEENS1_30default_config_static_selectorELNS0_4arch9wavefront6targetE0EEEvS12_.has_recursion, 0
	.set _ZN7rocprim17ROCPRIM_400000_NS6detail17trampoline_kernelINS0_13select_configILj256ELj13ELNS0_17block_load_methodE3ELS4_3ELS4_3ELNS0_20block_scan_algorithmE0ELj4294967295EEENS1_25partition_config_selectorILNS1_17partition_subalgoE4EjNS0_10empty_typeEbEEZZNS1_14partition_implILS8_4ELb0ES6_15HIP_vector_typeIjLj2EENS0_17counting_iteratorIjlEEPS9_SG_NS0_5tupleIJPjSI_NS0_16reverse_iteratorISI_EEEEENSH_IJSG_SG_SG_EEES9_SI_JZNS1_25segmented_radix_sort_implINS0_14default_configELb0EPKhPhPKlPlN2at6native12_GLOBAL__N_18offset_tEEE10hipError_tPvRmT1_PNSt15iterator_traitsIS12_E10value_typeET2_T3_PNS13_IS18_E10value_typeET4_jRbjT5_S1E_jjP12ihipStream_tbEUljE_ZNSN_ISO_Lb0ESQ_SR_ST_SU_SY_EESZ_S10_S11_S12_S16_S17_S18_S1B_S1C_jS1D_jS1E_S1E_jjS1G_bEUljE0_EEESZ_S10_S11_S18_S1C_S1E_T6_T7_T9_mT8_S1G_bDpT10_ENKUlT_T0_E_clISt17integral_constantIbLb1EES1U_EEDaS1P_S1Q_EUlS1P_E_NS1_11comp_targetILNS1_3genE10ELNS1_11target_archE1200ELNS1_3gpuE4ELNS1_3repE0EEENS1_30default_config_static_selectorELNS0_4arch9wavefront6targetE0EEEvS12_.has_indirect_call, 0
	.section	.AMDGPU.csdata,"",@progbits
; Kernel info:
; codeLenInByte = 0
; TotalNumSgprs: 0
; NumVgprs: 0
; ScratchSize: 0
; MemoryBound: 0
; FloatMode: 240
; IeeeMode: 1
; LDSByteSize: 0 bytes/workgroup (compile time only)
; SGPRBlocks: 0
; VGPRBlocks: 0
; NumSGPRsForWavesPerEU: 1
; NumVGPRsForWavesPerEU: 1
; NamedBarCnt: 0
; Occupancy: 16
; WaveLimiterHint : 0
; COMPUTE_PGM_RSRC2:SCRATCH_EN: 0
; COMPUTE_PGM_RSRC2:USER_SGPR: 2
; COMPUTE_PGM_RSRC2:TRAP_HANDLER: 0
; COMPUTE_PGM_RSRC2:TGID_X_EN: 1
; COMPUTE_PGM_RSRC2:TGID_Y_EN: 0
; COMPUTE_PGM_RSRC2:TGID_Z_EN: 0
; COMPUTE_PGM_RSRC2:TIDIG_COMP_CNT: 0
	.section	.text._ZN7rocprim17ROCPRIM_400000_NS6detail17trampoline_kernelINS0_13select_configILj256ELj13ELNS0_17block_load_methodE3ELS4_3ELS4_3ELNS0_20block_scan_algorithmE0ELj4294967295EEENS1_25partition_config_selectorILNS1_17partition_subalgoE4EjNS0_10empty_typeEbEEZZNS1_14partition_implILS8_4ELb0ES6_15HIP_vector_typeIjLj2EENS0_17counting_iteratorIjlEEPS9_SG_NS0_5tupleIJPjSI_NS0_16reverse_iteratorISI_EEEEENSH_IJSG_SG_SG_EEES9_SI_JZNS1_25segmented_radix_sort_implINS0_14default_configELb0EPKhPhPKlPlN2at6native12_GLOBAL__N_18offset_tEEE10hipError_tPvRmT1_PNSt15iterator_traitsIS12_E10value_typeET2_T3_PNS13_IS18_E10value_typeET4_jRbjT5_S1E_jjP12ihipStream_tbEUljE_ZNSN_ISO_Lb0ESQ_SR_ST_SU_SY_EESZ_S10_S11_S12_S16_S17_S18_S1B_S1C_jS1D_jS1E_S1E_jjS1G_bEUljE0_EEESZ_S10_S11_S18_S1C_S1E_T6_T7_T9_mT8_S1G_bDpT10_ENKUlT_T0_E_clISt17integral_constantIbLb1EES1U_EEDaS1P_S1Q_EUlS1P_E_NS1_11comp_targetILNS1_3genE9ELNS1_11target_archE1100ELNS1_3gpuE3ELNS1_3repE0EEENS1_30default_config_static_selectorELNS0_4arch9wavefront6targetE0EEEvS12_,"axG",@progbits,_ZN7rocprim17ROCPRIM_400000_NS6detail17trampoline_kernelINS0_13select_configILj256ELj13ELNS0_17block_load_methodE3ELS4_3ELS4_3ELNS0_20block_scan_algorithmE0ELj4294967295EEENS1_25partition_config_selectorILNS1_17partition_subalgoE4EjNS0_10empty_typeEbEEZZNS1_14partition_implILS8_4ELb0ES6_15HIP_vector_typeIjLj2EENS0_17counting_iteratorIjlEEPS9_SG_NS0_5tupleIJPjSI_NS0_16reverse_iteratorISI_EEEEENSH_IJSG_SG_SG_EEES9_SI_JZNS1_25segmented_radix_sort_implINS0_14default_configELb0EPKhPhPKlPlN2at6native12_GLOBAL__N_18offset_tEEE10hipError_tPvRmT1_PNSt15iterator_traitsIS12_E10value_typeET2_T3_PNS13_IS18_E10value_typeET4_jRbjT5_S1E_jjP12ihipStream_tbEUljE_ZNSN_ISO_Lb0ESQ_SR_ST_SU_SY_EESZ_S10_S11_S12_S16_S17_S18_S1B_S1C_jS1D_jS1E_S1E_jjS1G_bEUljE0_EEESZ_S10_S11_S18_S1C_S1E_T6_T7_T9_mT8_S1G_bDpT10_ENKUlT_T0_E_clISt17integral_constantIbLb1EES1U_EEDaS1P_S1Q_EUlS1P_E_NS1_11comp_targetILNS1_3genE9ELNS1_11target_archE1100ELNS1_3gpuE3ELNS1_3repE0EEENS1_30default_config_static_selectorELNS0_4arch9wavefront6targetE0EEEvS12_,comdat
	.globl	_ZN7rocprim17ROCPRIM_400000_NS6detail17trampoline_kernelINS0_13select_configILj256ELj13ELNS0_17block_load_methodE3ELS4_3ELS4_3ELNS0_20block_scan_algorithmE0ELj4294967295EEENS1_25partition_config_selectorILNS1_17partition_subalgoE4EjNS0_10empty_typeEbEEZZNS1_14partition_implILS8_4ELb0ES6_15HIP_vector_typeIjLj2EENS0_17counting_iteratorIjlEEPS9_SG_NS0_5tupleIJPjSI_NS0_16reverse_iteratorISI_EEEEENSH_IJSG_SG_SG_EEES9_SI_JZNS1_25segmented_radix_sort_implINS0_14default_configELb0EPKhPhPKlPlN2at6native12_GLOBAL__N_18offset_tEEE10hipError_tPvRmT1_PNSt15iterator_traitsIS12_E10value_typeET2_T3_PNS13_IS18_E10value_typeET4_jRbjT5_S1E_jjP12ihipStream_tbEUljE_ZNSN_ISO_Lb0ESQ_SR_ST_SU_SY_EESZ_S10_S11_S12_S16_S17_S18_S1B_S1C_jS1D_jS1E_S1E_jjS1G_bEUljE0_EEESZ_S10_S11_S18_S1C_S1E_T6_T7_T9_mT8_S1G_bDpT10_ENKUlT_T0_E_clISt17integral_constantIbLb1EES1U_EEDaS1P_S1Q_EUlS1P_E_NS1_11comp_targetILNS1_3genE9ELNS1_11target_archE1100ELNS1_3gpuE3ELNS1_3repE0EEENS1_30default_config_static_selectorELNS0_4arch9wavefront6targetE0EEEvS12_ ; -- Begin function _ZN7rocprim17ROCPRIM_400000_NS6detail17trampoline_kernelINS0_13select_configILj256ELj13ELNS0_17block_load_methodE3ELS4_3ELS4_3ELNS0_20block_scan_algorithmE0ELj4294967295EEENS1_25partition_config_selectorILNS1_17partition_subalgoE4EjNS0_10empty_typeEbEEZZNS1_14partition_implILS8_4ELb0ES6_15HIP_vector_typeIjLj2EENS0_17counting_iteratorIjlEEPS9_SG_NS0_5tupleIJPjSI_NS0_16reverse_iteratorISI_EEEEENSH_IJSG_SG_SG_EEES9_SI_JZNS1_25segmented_radix_sort_implINS0_14default_configELb0EPKhPhPKlPlN2at6native12_GLOBAL__N_18offset_tEEE10hipError_tPvRmT1_PNSt15iterator_traitsIS12_E10value_typeET2_T3_PNS13_IS18_E10value_typeET4_jRbjT5_S1E_jjP12ihipStream_tbEUljE_ZNSN_ISO_Lb0ESQ_SR_ST_SU_SY_EESZ_S10_S11_S12_S16_S17_S18_S1B_S1C_jS1D_jS1E_S1E_jjS1G_bEUljE0_EEESZ_S10_S11_S18_S1C_S1E_T6_T7_T9_mT8_S1G_bDpT10_ENKUlT_T0_E_clISt17integral_constantIbLb1EES1U_EEDaS1P_S1Q_EUlS1P_E_NS1_11comp_targetILNS1_3genE9ELNS1_11target_archE1100ELNS1_3gpuE3ELNS1_3repE0EEENS1_30default_config_static_selectorELNS0_4arch9wavefront6targetE0EEEvS12_
	.p2align	8
	.type	_ZN7rocprim17ROCPRIM_400000_NS6detail17trampoline_kernelINS0_13select_configILj256ELj13ELNS0_17block_load_methodE3ELS4_3ELS4_3ELNS0_20block_scan_algorithmE0ELj4294967295EEENS1_25partition_config_selectorILNS1_17partition_subalgoE4EjNS0_10empty_typeEbEEZZNS1_14partition_implILS8_4ELb0ES6_15HIP_vector_typeIjLj2EENS0_17counting_iteratorIjlEEPS9_SG_NS0_5tupleIJPjSI_NS0_16reverse_iteratorISI_EEEEENSH_IJSG_SG_SG_EEES9_SI_JZNS1_25segmented_radix_sort_implINS0_14default_configELb0EPKhPhPKlPlN2at6native12_GLOBAL__N_18offset_tEEE10hipError_tPvRmT1_PNSt15iterator_traitsIS12_E10value_typeET2_T3_PNS13_IS18_E10value_typeET4_jRbjT5_S1E_jjP12ihipStream_tbEUljE_ZNSN_ISO_Lb0ESQ_SR_ST_SU_SY_EESZ_S10_S11_S12_S16_S17_S18_S1B_S1C_jS1D_jS1E_S1E_jjS1G_bEUljE0_EEESZ_S10_S11_S18_S1C_S1E_T6_T7_T9_mT8_S1G_bDpT10_ENKUlT_T0_E_clISt17integral_constantIbLb1EES1U_EEDaS1P_S1Q_EUlS1P_E_NS1_11comp_targetILNS1_3genE9ELNS1_11target_archE1100ELNS1_3gpuE3ELNS1_3repE0EEENS1_30default_config_static_selectorELNS0_4arch9wavefront6targetE0EEEvS12_,@function
_ZN7rocprim17ROCPRIM_400000_NS6detail17trampoline_kernelINS0_13select_configILj256ELj13ELNS0_17block_load_methodE3ELS4_3ELS4_3ELNS0_20block_scan_algorithmE0ELj4294967295EEENS1_25partition_config_selectorILNS1_17partition_subalgoE4EjNS0_10empty_typeEbEEZZNS1_14partition_implILS8_4ELb0ES6_15HIP_vector_typeIjLj2EENS0_17counting_iteratorIjlEEPS9_SG_NS0_5tupleIJPjSI_NS0_16reverse_iteratorISI_EEEEENSH_IJSG_SG_SG_EEES9_SI_JZNS1_25segmented_radix_sort_implINS0_14default_configELb0EPKhPhPKlPlN2at6native12_GLOBAL__N_18offset_tEEE10hipError_tPvRmT1_PNSt15iterator_traitsIS12_E10value_typeET2_T3_PNS13_IS18_E10value_typeET4_jRbjT5_S1E_jjP12ihipStream_tbEUljE_ZNSN_ISO_Lb0ESQ_SR_ST_SU_SY_EESZ_S10_S11_S12_S16_S17_S18_S1B_S1C_jS1D_jS1E_S1E_jjS1G_bEUljE0_EEESZ_S10_S11_S18_S1C_S1E_T6_T7_T9_mT8_S1G_bDpT10_ENKUlT_T0_E_clISt17integral_constantIbLb1EES1U_EEDaS1P_S1Q_EUlS1P_E_NS1_11comp_targetILNS1_3genE9ELNS1_11target_archE1100ELNS1_3gpuE3ELNS1_3repE0EEENS1_30default_config_static_selectorELNS0_4arch9wavefront6targetE0EEEvS12_: ; @_ZN7rocprim17ROCPRIM_400000_NS6detail17trampoline_kernelINS0_13select_configILj256ELj13ELNS0_17block_load_methodE3ELS4_3ELS4_3ELNS0_20block_scan_algorithmE0ELj4294967295EEENS1_25partition_config_selectorILNS1_17partition_subalgoE4EjNS0_10empty_typeEbEEZZNS1_14partition_implILS8_4ELb0ES6_15HIP_vector_typeIjLj2EENS0_17counting_iteratorIjlEEPS9_SG_NS0_5tupleIJPjSI_NS0_16reverse_iteratorISI_EEEEENSH_IJSG_SG_SG_EEES9_SI_JZNS1_25segmented_radix_sort_implINS0_14default_configELb0EPKhPhPKlPlN2at6native12_GLOBAL__N_18offset_tEEE10hipError_tPvRmT1_PNSt15iterator_traitsIS12_E10value_typeET2_T3_PNS13_IS18_E10value_typeET4_jRbjT5_S1E_jjP12ihipStream_tbEUljE_ZNSN_ISO_Lb0ESQ_SR_ST_SU_SY_EESZ_S10_S11_S12_S16_S17_S18_S1B_S1C_jS1D_jS1E_S1E_jjS1G_bEUljE0_EEESZ_S10_S11_S18_S1C_S1E_T6_T7_T9_mT8_S1G_bDpT10_ENKUlT_T0_E_clISt17integral_constantIbLb1EES1U_EEDaS1P_S1Q_EUlS1P_E_NS1_11comp_targetILNS1_3genE9ELNS1_11target_archE1100ELNS1_3gpuE3ELNS1_3repE0EEENS1_30default_config_static_selectorELNS0_4arch9wavefront6targetE0EEEvS12_
; %bb.0:
	.section	.rodata,"a",@progbits
	.p2align	6, 0x0
	.amdhsa_kernel _ZN7rocprim17ROCPRIM_400000_NS6detail17trampoline_kernelINS0_13select_configILj256ELj13ELNS0_17block_load_methodE3ELS4_3ELS4_3ELNS0_20block_scan_algorithmE0ELj4294967295EEENS1_25partition_config_selectorILNS1_17partition_subalgoE4EjNS0_10empty_typeEbEEZZNS1_14partition_implILS8_4ELb0ES6_15HIP_vector_typeIjLj2EENS0_17counting_iteratorIjlEEPS9_SG_NS0_5tupleIJPjSI_NS0_16reverse_iteratorISI_EEEEENSH_IJSG_SG_SG_EEES9_SI_JZNS1_25segmented_radix_sort_implINS0_14default_configELb0EPKhPhPKlPlN2at6native12_GLOBAL__N_18offset_tEEE10hipError_tPvRmT1_PNSt15iterator_traitsIS12_E10value_typeET2_T3_PNS13_IS18_E10value_typeET4_jRbjT5_S1E_jjP12ihipStream_tbEUljE_ZNSN_ISO_Lb0ESQ_SR_ST_SU_SY_EESZ_S10_S11_S12_S16_S17_S18_S1B_S1C_jS1D_jS1E_S1E_jjS1G_bEUljE0_EEESZ_S10_S11_S18_S1C_S1E_T6_T7_T9_mT8_S1G_bDpT10_ENKUlT_T0_E_clISt17integral_constantIbLb1EES1U_EEDaS1P_S1Q_EUlS1P_E_NS1_11comp_targetILNS1_3genE9ELNS1_11target_archE1100ELNS1_3gpuE3ELNS1_3repE0EEENS1_30default_config_static_selectorELNS0_4arch9wavefront6targetE0EEEvS12_
		.amdhsa_group_segment_fixed_size 0
		.amdhsa_private_segment_fixed_size 0
		.amdhsa_kernarg_size 184
		.amdhsa_user_sgpr_count 2
		.amdhsa_user_sgpr_dispatch_ptr 0
		.amdhsa_user_sgpr_queue_ptr 0
		.amdhsa_user_sgpr_kernarg_segment_ptr 1
		.amdhsa_user_sgpr_dispatch_id 0
		.amdhsa_user_sgpr_kernarg_preload_length 0
		.amdhsa_user_sgpr_kernarg_preload_offset 0
		.amdhsa_user_sgpr_private_segment_size 0
		.amdhsa_wavefront_size32 1
		.amdhsa_uses_dynamic_stack 0
		.amdhsa_enable_private_segment 0
		.amdhsa_system_sgpr_workgroup_id_x 1
		.amdhsa_system_sgpr_workgroup_id_y 0
		.amdhsa_system_sgpr_workgroup_id_z 0
		.amdhsa_system_sgpr_workgroup_info 0
		.amdhsa_system_vgpr_workitem_id 0
		.amdhsa_next_free_vgpr 1
		.amdhsa_next_free_sgpr 1
		.amdhsa_named_barrier_count 0
		.amdhsa_reserve_vcc 0
		.amdhsa_float_round_mode_32 0
		.amdhsa_float_round_mode_16_64 0
		.amdhsa_float_denorm_mode_32 3
		.amdhsa_float_denorm_mode_16_64 3
		.amdhsa_fp16_overflow 0
		.amdhsa_memory_ordered 1
		.amdhsa_forward_progress 1
		.amdhsa_inst_pref_size 0
		.amdhsa_round_robin_scheduling 0
		.amdhsa_exception_fp_ieee_invalid_op 0
		.amdhsa_exception_fp_denorm_src 0
		.amdhsa_exception_fp_ieee_div_zero 0
		.amdhsa_exception_fp_ieee_overflow 0
		.amdhsa_exception_fp_ieee_underflow 0
		.amdhsa_exception_fp_ieee_inexact 0
		.amdhsa_exception_int_div_zero 0
	.end_amdhsa_kernel
	.section	.text._ZN7rocprim17ROCPRIM_400000_NS6detail17trampoline_kernelINS0_13select_configILj256ELj13ELNS0_17block_load_methodE3ELS4_3ELS4_3ELNS0_20block_scan_algorithmE0ELj4294967295EEENS1_25partition_config_selectorILNS1_17partition_subalgoE4EjNS0_10empty_typeEbEEZZNS1_14partition_implILS8_4ELb0ES6_15HIP_vector_typeIjLj2EENS0_17counting_iteratorIjlEEPS9_SG_NS0_5tupleIJPjSI_NS0_16reverse_iteratorISI_EEEEENSH_IJSG_SG_SG_EEES9_SI_JZNS1_25segmented_radix_sort_implINS0_14default_configELb0EPKhPhPKlPlN2at6native12_GLOBAL__N_18offset_tEEE10hipError_tPvRmT1_PNSt15iterator_traitsIS12_E10value_typeET2_T3_PNS13_IS18_E10value_typeET4_jRbjT5_S1E_jjP12ihipStream_tbEUljE_ZNSN_ISO_Lb0ESQ_SR_ST_SU_SY_EESZ_S10_S11_S12_S16_S17_S18_S1B_S1C_jS1D_jS1E_S1E_jjS1G_bEUljE0_EEESZ_S10_S11_S18_S1C_S1E_T6_T7_T9_mT8_S1G_bDpT10_ENKUlT_T0_E_clISt17integral_constantIbLb1EES1U_EEDaS1P_S1Q_EUlS1P_E_NS1_11comp_targetILNS1_3genE9ELNS1_11target_archE1100ELNS1_3gpuE3ELNS1_3repE0EEENS1_30default_config_static_selectorELNS0_4arch9wavefront6targetE0EEEvS12_,"axG",@progbits,_ZN7rocprim17ROCPRIM_400000_NS6detail17trampoline_kernelINS0_13select_configILj256ELj13ELNS0_17block_load_methodE3ELS4_3ELS4_3ELNS0_20block_scan_algorithmE0ELj4294967295EEENS1_25partition_config_selectorILNS1_17partition_subalgoE4EjNS0_10empty_typeEbEEZZNS1_14partition_implILS8_4ELb0ES6_15HIP_vector_typeIjLj2EENS0_17counting_iteratorIjlEEPS9_SG_NS0_5tupleIJPjSI_NS0_16reverse_iteratorISI_EEEEENSH_IJSG_SG_SG_EEES9_SI_JZNS1_25segmented_radix_sort_implINS0_14default_configELb0EPKhPhPKlPlN2at6native12_GLOBAL__N_18offset_tEEE10hipError_tPvRmT1_PNSt15iterator_traitsIS12_E10value_typeET2_T3_PNS13_IS18_E10value_typeET4_jRbjT5_S1E_jjP12ihipStream_tbEUljE_ZNSN_ISO_Lb0ESQ_SR_ST_SU_SY_EESZ_S10_S11_S12_S16_S17_S18_S1B_S1C_jS1D_jS1E_S1E_jjS1G_bEUljE0_EEESZ_S10_S11_S18_S1C_S1E_T6_T7_T9_mT8_S1G_bDpT10_ENKUlT_T0_E_clISt17integral_constantIbLb1EES1U_EEDaS1P_S1Q_EUlS1P_E_NS1_11comp_targetILNS1_3genE9ELNS1_11target_archE1100ELNS1_3gpuE3ELNS1_3repE0EEENS1_30default_config_static_selectorELNS0_4arch9wavefront6targetE0EEEvS12_,comdat
.Lfunc_end135:
	.size	_ZN7rocprim17ROCPRIM_400000_NS6detail17trampoline_kernelINS0_13select_configILj256ELj13ELNS0_17block_load_methodE3ELS4_3ELS4_3ELNS0_20block_scan_algorithmE0ELj4294967295EEENS1_25partition_config_selectorILNS1_17partition_subalgoE4EjNS0_10empty_typeEbEEZZNS1_14partition_implILS8_4ELb0ES6_15HIP_vector_typeIjLj2EENS0_17counting_iteratorIjlEEPS9_SG_NS0_5tupleIJPjSI_NS0_16reverse_iteratorISI_EEEEENSH_IJSG_SG_SG_EEES9_SI_JZNS1_25segmented_radix_sort_implINS0_14default_configELb0EPKhPhPKlPlN2at6native12_GLOBAL__N_18offset_tEEE10hipError_tPvRmT1_PNSt15iterator_traitsIS12_E10value_typeET2_T3_PNS13_IS18_E10value_typeET4_jRbjT5_S1E_jjP12ihipStream_tbEUljE_ZNSN_ISO_Lb0ESQ_SR_ST_SU_SY_EESZ_S10_S11_S12_S16_S17_S18_S1B_S1C_jS1D_jS1E_S1E_jjS1G_bEUljE0_EEESZ_S10_S11_S18_S1C_S1E_T6_T7_T9_mT8_S1G_bDpT10_ENKUlT_T0_E_clISt17integral_constantIbLb1EES1U_EEDaS1P_S1Q_EUlS1P_E_NS1_11comp_targetILNS1_3genE9ELNS1_11target_archE1100ELNS1_3gpuE3ELNS1_3repE0EEENS1_30default_config_static_selectorELNS0_4arch9wavefront6targetE0EEEvS12_, .Lfunc_end135-_ZN7rocprim17ROCPRIM_400000_NS6detail17trampoline_kernelINS0_13select_configILj256ELj13ELNS0_17block_load_methodE3ELS4_3ELS4_3ELNS0_20block_scan_algorithmE0ELj4294967295EEENS1_25partition_config_selectorILNS1_17partition_subalgoE4EjNS0_10empty_typeEbEEZZNS1_14partition_implILS8_4ELb0ES6_15HIP_vector_typeIjLj2EENS0_17counting_iteratorIjlEEPS9_SG_NS0_5tupleIJPjSI_NS0_16reverse_iteratorISI_EEEEENSH_IJSG_SG_SG_EEES9_SI_JZNS1_25segmented_radix_sort_implINS0_14default_configELb0EPKhPhPKlPlN2at6native12_GLOBAL__N_18offset_tEEE10hipError_tPvRmT1_PNSt15iterator_traitsIS12_E10value_typeET2_T3_PNS13_IS18_E10value_typeET4_jRbjT5_S1E_jjP12ihipStream_tbEUljE_ZNSN_ISO_Lb0ESQ_SR_ST_SU_SY_EESZ_S10_S11_S12_S16_S17_S18_S1B_S1C_jS1D_jS1E_S1E_jjS1G_bEUljE0_EEESZ_S10_S11_S18_S1C_S1E_T6_T7_T9_mT8_S1G_bDpT10_ENKUlT_T0_E_clISt17integral_constantIbLb1EES1U_EEDaS1P_S1Q_EUlS1P_E_NS1_11comp_targetILNS1_3genE9ELNS1_11target_archE1100ELNS1_3gpuE3ELNS1_3repE0EEENS1_30default_config_static_selectorELNS0_4arch9wavefront6targetE0EEEvS12_
                                        ; -- End function
	.set _ZN7rocprim17ROCPRIM_400000_NS6detail17trampoline_kernelINS0_13select_configILj256ELj13ELNS0_17block_load_methodE3ELS4_3ELS4_3ELNS0_20block_scan_algorithmE0ELj4294967295EEENS1_25partition_config_selectorILNS1_17partition_subalgoE4EjNS0_10empty_typeEbEEZZNS1_14partition_implILS8_4ELb0ES6_15HIP_vector_typeIjLj2EENS0_17counting_iteratorIjlEEPS9_SG_NS0_5tupleIJPjSI_NS0_16reverse_iteratorISI_EEEEENSH_IJSG_SG_SG_EEES9_SI_JZNS1_25segmented_radix_sort_implINS0_14default_configELb0EPKhPhPKlPlN2at6native12_GLOBAL__N_18offset_tEEE10hipError_tPvRmT1_PNSt15iterator_traitsIS12_E10value_typeET2_T3_PNS13_IS18_E10value_typeET4_jRbjT5_S1E_jjP12ihipStream_tbEUljE_ZNSN_ISO_Lb0ESQ_SR_ST_SU_SY_EESZ_S10_S11_S12_S16_S17_S18_S1B_S1C_jS1D_jS1E_S1E_jjS1G_bEUljE0_EEESZ_S10_S11_S18_S1C_S1E_T6_T7_T9_mT8_S1G_bDpT10_ENKUlT_T0_E_clISt17integral_constantIbLb1EES1U_EEDaS1P_S1Q_EUlS1P_E_NS1_11comp_targetILNS1_3genE9ELNS1_11target_archE1100ELNS1_3gpuE3ELNS1_3repE0EEENS1_30default_config_static_selectorELNS0_4arch9wavefront6targetE0EEEvS12_.num_vgpr, 0
	.set _ZN7rocprim17ROCPRIM_400000_NS6detail17trampoline_kernelINS0_13select_configILj256ELj13ELNS0_17block_load_methodE3ELS4_3ELS4_3ELNS0_20block_scan_algorithmE0ELj4294967295EEENS1_25partition_config_selectorILNS1_17partition_subalgoE4EjNS0_10empty_typeEbEEZZNS1_14partition_implILS8_4ELb0ES6_15HIP_vector_typeIjLj2EENS0_17counting_iteratorIjlEEPS9_SG_NS0_5tupleIJPjSI_NS0_16reverse_iteratorISI_EEEEENSH_IJSG_SG_SG_EEES9_SI_JZNS1_25segmented_radix_sort_implINS0_14default_configELb0EPKhPhPKlPlN2at6native12_GLOBAL__N_18offset_tEEE10hipError_tPvRmT1_PNSt15iterator_traitsIS12_E10value_typeET2_T3_PNS13_IS18_E10value_typeET4_jRbjT5_S1E_jjP12ihipStream_tbEUljE_ZNSN_ISO_Lb0ESQ_SR_ST_SU_SY_EESZ_S10_S11_S12_S16_S17_S18_S1B_S1C_jS1D_jS1E_S1E_jjS1G_bEUljE0_EEESZ_S10_S11_S18_S1C_S1E_T6_T7_T9_mT8_S1G_bDpT10_ENKUlT_T0_E_clISt17integral_constantIbLb1EES1U_EEDaS1P_S1Q_EUlS1P_E_NS1_11comp_targetILNS1_3genE9ELNS1_11target_archE1100ELNS1_3gpuE3ELNS1_3repE0EEENS1_30default_config_static_selectorELNS0_4arch9wavefront6targetE0EEEvS12_.num_agpr, 0
	.set _ZN7rocprim17ROCPRIM_400000_NS6detail17trampoline_kernelINS0_13select_configILj256ELj13ELNS0_17block_load_methodE3ELS4_3ELS4_3ELNS0_20block_scan_algorithmE0ELj4294967295EEENS1_25partition_config_selectorILNS1_17partition_subalgoE4EjNS0_10empty_typeEbEEZZNS1_14partition_implILS8_4ELb0ES6_15HIP_vector_typeIjLj2EENS0_17counting_iteratorIjlEEPS9_SG_NS0_5tupleIJPjSI_NS0_16reverse_iteratorISI_EEEEENSH_IJSG_SG_SG_EEES9_SI_JZNS1_25segmented_radix_sort_implINS0_14default_configELb0EPKhPhPKlPlN2at6native12_GLOBAL__N_18offset_tEEE10hipError_tPvRmT1_PNSt15iterator_traitsIS12_E10value_typeET2_T3_PNS13_IS18_E10value_typeET4_jRbjT5_S1E_jjP12ihipStream_tbEUljE_ZNSN_ISO_Lb0ESQ_SR_ST_SU_SY_EESZ_S10_S11_S12_S16_S17_S18_S1B_S1C_jS1D_jS1E_S1E_jjS1G_bEUljE0_EEESZ_S10_S11_S18_S1C_S1E_T6_T7_T9_mT8_S1G_bDpT10_ENKUlT_T0_E_clISt17integral_constantIbLb1EES1U_EEDaS1P_S1Q_EUlS1P_E_NS1_11comp_targetILNS1_3genE9ELNS1_11target_archE1100ELNS1_3gpuE3ELNS1_3repE0EEENS1_30default_config_static_selectorELNS0_4arch9wavefront6targetE0EEEvS12_.numbered_sgpr, 0
	.set _ZN7rocprim17ROCPRIM_400000_NS6detail17trampoline_kernelINS0_13select_configILj256ELj13ELNS0_17block_load_methodE3ELS4_3ELS4_3ELNS0_20block_scan_algorithmE0ELj4294967295EEENS1_25partition_config_selectorILNS1_17partition_subalgoE4EjNS0_10empty_typeEbEEZZNS1_14partition_implILS8_4ELb0ES6_15HIP_vector_typeIjLj2EENS0_17counting_iteratorIjlEEPS9_SG_NS0_5tupleIJPjSI_NS0_16reverse_iteratorISI_EEEEENSH_IJSG_SG_SG_EEES9_SI_JZNS1_25segmented_radix_sort_implINS0_14default_configELb0EPKhPhPKlPlN2at6native12_GLOBAL__N_18offset_tEEE10hipError_tPvRmT1_PNSt15iterator_traitsIS12_E10value_typeET2_T3_PNS13_IS18_E10value_typeET4_jRbjT5_S1E_jjP12ihipStream_tbEUljE_ZNSN_ISO_Lb0ESQ_SR_ST_SU_SY_EESZ_S10_S11_S12_S16_S17_S18_S1B_S1C_jS1D_jS1E_S1E_jjS1G_bEUljE0_EEESZ_S10_S11_S18_S1C_S1E_T6_T7_T9_mT8_S1G_bDpT10_ENKUlT_T0_E_clISt17integral_constantIbLb1EES1U_EEDaS1P_S1Q_EUlS1P_E_NS1_11comp_targetILNS1_3genE9ELNS1_11target_archE1100ELNS1_3gpuE3ELNS1_3repE0EEENS1_30default_config_static_selectorELNS0_4arch9wavefront6targetE0EEEvS12_.num_named_barrier, 0
	.set _ZN7rocprim17ROCPRIM_400000_NS6detail17trampoline_kernelINS0_13select_configILj256ELj13ELNS0_17block_load_methodE3ELS4_3ELS4_3ELNS0_20block_scan_algorithmE0ELj4294967295EEENS1_25partition_config_selectorILNS1_17partition_subalgoE4EjNS0_10empty_typeEbEEZZNS1_14partition_implILS8_4ELb0ES6_15HIP_vector_typeIjLj2EENS0_17counting_iteratorIjlEEPS9_SG_NS0_5tupleIJPjSI_NS0_16reverse_iteratorISI_EEEEENSH_IJSG_SG_SG_EEES9_SI_JZNS1_25segmented_radix_sort_implINS0_14default_configELb0EPKhPhPKlPlN2at6native12_GLOBAL__N_18offset_tEEE10hipError_tPvRmT1_PNSt15iterator_traitsIS12_E10value_typeET2_T3_PNS13_IS18_E10value_typeET4_jRbjT5_S1E_jjP12ihipStream_tbEUljE_ZNSN_ISO_Lb0ESQ_SR_ST_SU_SY_EESZ_S10_S11_S12_S16_S17_S18_S1B_S1C_jS1D_jS1E_S1E_jjS1G_bEUljE0_EEESZ_S10_S11_S18_S1C_S1E_T6_T7_T9_mT8_S1G_bDpT10_ENKUlT_T0_E_clISt17integral_constantIbLb1EES1U_EEDaS1P_S1Q_EUlS1P_E_NS1_11comp_targetILNS1_3genE9ELNS1_11target_archE1100ELNS1_3gpuE3ELNS1_3repE0EEENS1_30default_config_static_selectorELNS0_4arch9wavefront6targetE0EEEvS12_.private_seg_size, 0
	.set _ZN7rocprim17ROCPRIM_400000_NS6detail17trampoline_kernelINS0_13select_configILj256ELj13ELNS0_17block_load_methodE3ELS4_3ELS4_3ELNS0_20block_scan_algorithmE0ELj4294967295EEENS1_25partition_config_selectorILNS1_17partition_subalgoE4EjNS0_10empty_typeEbEEZZNS1_14partition_implILS8_4ELb0ES6_15HIP_vector_typeIjLj2EENS0_17counting_iteratorIjlEEPS9_SG_NS0_5tupleIJPjSI_NS0_16reverse_iteratorISI_EEEEENSH_IJSG_SG_SG_EEES9_SI_JZNS1_25segmented_radix_sort_implINS0_14default_configELb0EPKhPhPKlPlN2at6native12_GLOBAL__N_18offset_tEEE10hipError_tPvRmT1_PNSt15iterator_traitsIS12_E10value_typeET2_T3_PNS13_IS18_E10value_typeET4_jRbjT5_S1E_jjP12ihipStream_tbEUljE_ZNSN_ISO_Lb0ESQ_SR_ST_SU_SY_EESZ_S10_S11_S12_S16_S17_S18_S1B_S1C_jS1D_jS1E_S1E_jjS1G_bEUljE0_EEESZ_S10_S11_S18_S1C_S1E_T6_T7_T9_mT8_S1G_bDpT10_ENKUlT_T0_E_clISt17integral_constantIbLb1EES1U_EEDaS1P_S1Q_EUlS1P_E_NS1_11comp_targetILNS1_3genE9ELNS1_11target_archE1100ELNS1_3gpuE3ELNS1_3repE0EEENS1_30default_config_static_selectorELNS0_4arch9wavefront6targetE0EEEvS12_.uses_vcc, 0
	.set _ZN7rocprim17ROCPRIM_400000_NS6detail17trampoline_kernelINS0_13select_configILj256ELj13ELNS0_17block_load_methodE3ELS4_3ELS4_3ELNS0_20block_scan_algorithmE0ELj4294967295EEENS1_25partition_config_selectorILNS1_17partition_subalgoE4EjNS0_10empty_typeEbEEZZNS1_14partition_implILS8_4ELb0ES6_15HIP_vector_typeIjLj2EENS0_17counting_iteratorIjlEEPS9_SG_NS0_5tupleIJPjSI_NS0_16reverse_iteratorISI_EEEEENSH_IJSG_SG_SG_EEES9_SI_JZNS1_25segmented_radix_sort_implINS0_14default_configELb0EPKhPhPKlPlN2at6native12_GLOBAL__N_18offset_tEEE10hipError_tPvRmT1_PNSt15iterator_traitsIS12_E10value_typeET2_T3_PNS13_IS18_E10value_typeET4_jRbjT5_S1E_jjP12ihipStream_tbEUljE_ZNSN_ISO_Lb0ESQ_SR_ST_SU_SY_EESZ_S10_S11_S12_S16_S17_S18_S1B_S1C_jS1D_jS1E_S1E_jjS1G_bEUljE0_EEESZ_S10_S11_S18_S1C_S1E_T6_T7_T9_mT8_S1G_bDpT10_ENKUlT_T0_E_clISt17integral_constantIbLb1EES1U_EEDaS1P_S1Q_EUlS1P_E_NS1_11comp_targetILNS1_3genE9ELNS1_11target_archE1100ELNS1_3gpuE3ELNS1_3repE0EEENS1_30default_config_static_selectorELNS0_4arch9wavefront6targetE0EEEvS12_.uses_flat_scratch, 0
	.set _ZN7rocprim17ROCPRIM_400000_NS6detail17trampoline_kernelINS0_13select_configILj256ELj13ELNS0_17block_load_methodE3ELS4_3ELS4_3ELNS0_20block_scan_algorithmE0ELj4294967295EEENS1_25partition_config_selectorILNS1_17partition_subalgoE4EjNS0_10empty_typeEbEEZZNS1_14partition_implILS8_4ELb0ES6_15HIP_vector_typeIjLj2EENS0_17counting_iteratorIjlEEPS9_SG_NS0_5tupleIJPjSI_NS0_16reverse_iteratorISI_EEEEENSH_IJSG_SG_SG_EEES9_SI_JZNS1_25segmented_radix_sort_implINS0_14default_configELb0EPKhPhPKlPlN2at6native12_GLOBAL__N_18offset_tEEE10hipError_tPvRmT1_PNSt15iterator_traitsIS12_E10value_typeET2_T3_PNS13_IS18_E10value_typeET4_jRbjT5_S1E_jjP12ihipStream_tbEUljE_ZNSN_ISO_Lb0ESQ_SR_ST_SU_SY_EESZ_S10_S11_S12_S16_S17_S18_S1B_S1C_jS1D_jS1E_S1E_jjS1G_bEUljE0_EEESZ_S10_S11_S18_S1C_S1E_T6_T7_T9_mT8_S1G_bDpT10_ENKUlT_T0_E_clISt17integral_constantIbLb1EES1U_EEDaS1P_S1Q_EUlS1P_E_NS1_11comp_targetILNS1_3genE9ELNS1_11target_archE1100ELNS1_3gpuE3ELNS1_3repE0EEENS1_30default_config_static_selectorELNS0_4arch9wavefront6targetE0EEEvS12_.has_dyn_sized_stack, 0
	.set _ZN7rocprim17ROCPRIM_400000_NS6detail17trampoline_kernelINS0_13select_configILj256ELj13ELNS0_17block_load_methodE3ELS4_3ELS4_3ELNS0_20block_scan_algorithmE0ELj4294967295EEENS1_25partition_config_selectorILNS1_17partition_subalgoE4EjNS0_10empty_typeEbEEZZNS1_14partition_implILS8_4ELb0ES6_15HIP_vector_typeIjLj2EENS0_17counting_iteratorIjlEEPS9_SG_NS0_5tupleIJPjSI_NS0_16reverse_iteratorISI_EEEEENSH_IJSG_SG_SG_EEES9_SI_JZNS1_25segmented_radix_sort_implINS0_14default_configELb0EPKhPhPKlPlN2at6native12_GLOBAL__N_18offset_tEEE10hipError_tPvRmT1_PNSt15iterator_traitsIS12_E10value_typeET2_T3_PNS13_IS18_E10value_typeET4_jRbjT5_S1E_jjP12ihipStream_tbEUljE_ZNSN_ISO_Lb0ESQ_SR_ST_SU_SY_EESZ_S10_S11_S12_S16_S17_S18_S1B_S1C_jS1D_jS1E_S1E_jjS1G_bEUljE0_EEESZ_S10_S11_S18_S1C_S1E_T6_T7_T9_mT8_S1G_bDpT10_ENKUlT_T0_E_clISt17integral_constantIbLb1EES1U_EEDaS1P_S1Q_EUlS1P_E_NS1_11comp_targetILNS1_3genE9ELNS1_11target_archE1100ELNS1_3gpuE3ELNS1_3repE0EEENS1_30default_config_static_selectorELNS0_4arch9wavefront6targetE0EEEvS12_.has_recursion, 0
	.set _ZN7rocprim17ROCPRIM_400000_NS6detail17trampoline_kernelINS0_13select_configILj256ELj13ELNS0_17block_load_methodE3ELS4_3ELS4_3ELNS0_20block_scan_algorithmE0ELj4294967295EEENS1_25partition_config_selectorILNS1_17partition_subalgoE4EjNS0_10empty_typeEbEEZZNS1_14partition_implILS8_4ELb0ES6_15HIP_vector_typeIjLj2EENS0_17counting_iteratorIjlEEPS9_SG_NS0_5tupleIJPjSI_NS0_16reverse_iteratorISI_EEEEENSH_IJSG_SG_SG_EEES9_SI_JZNS1_25segmented_radix_sort_implINS0_14default_configELb0EPKhPhPKlPlN2at6native12_GLOBAL__N_18offset_tEEE10hipError_tPvRmT1_PNSt15iterator_traitsIS12_E10value_typeET2_T3_PNS13_IS18_E10value_typeET4_jRbjT5_S1E_jjP12ihipStream_tbEUljE_ZNSN_ISO_Lb0ESQ_SR_ST_SU_SY_EESZ_S10_S11_S12_S16_S17_S18_S1B_S1C_jS1D_jS1E_S1E_jjS1G_bEUljE0_EEESZ_S10_S11_S18_S1C_S1E_T6_T7_T9_mT8_S1G_bDpT10_ENKUlT_T0_E_clISt17integral_constantIbLb1EES1U_EEDaS1P_S1Q_EUlS1P_E_NS1_11comp_targetILNS1_3genE9ELNS1_11target_archE1100ELNS1_3gpuE3ELNS1_3repE0EEENS1_30default_config_static_selectorELNS0_4arch9wavefront6targetE0EEEvS12_.has_indirect_call, 0
	.section	.AMDGPU.csdata,"",@progbits
; Kernel info:
; codeLenInByte = 0
; TotalNumSgprs: 0
; NumVgprs: 0
; ScratchSize: 0
; MemoryBound: 0
; FloatMode: 240
; IeeeMode: 1
; LDSByteSize: 0 bytes/workgroup (compile time only)
; SGPRBlocks: 0
; VGPRBlocks: 0
; NumSGPRsForWavesPerEU: 1
; NumVGPRsForWavesPerEU: 1
; NamedBarCnt: 0
; Occupancy: 16
; WaveLimiterHint : 0
; COMPUTE_PGM_RSRC2:SCRATCH_EN: 0
; COMPUTE_PGM_RSRC2:USER_SGPR: 2
; COMPUTE_PGM_RSRC2:TRAP_HANDLER: 0
; COMPUTE_PGM_RSRC2:TGID_X_EN: 1
; COMPUTE_PGM_RSRC2:TGID_Y_EN: 0
; COMPUTE_PGM_RSRC2:TGID_Z_EN: 0
; COMPUTE_PGM_RSRC2:TIDIG_COMP_CNT: 0
	.section	.text._ZN7rocprim17ROCPRIM_400000_NS6detail17trampoline_kernelINS0_13select_configILj256ELj13ELNS0_17block_load_methodE3ELS4_3ELS4_3ELNS0_20block_scan_algorithmE0ELj4294967295EEENS1_25partition_config_selectorILNS1_17partition_subalgoE4EjNS0_10empty_typeEbEEZZNS1_14partition_implILS8_4ELb0ES6_15HIP_vector_typeIjLj2EENS0_17counting_iteratorIjlEEPS9_SG_NS0_5tupleIJPjSI_NS0_16reverse_iteratorISI_EEEEENSH_IJSG_SG_SG_EEES9_SI_JZNS1_25segmented_radix_sort_implINS0_14default_configELb0EPKhPhPKlPlN2at6native12_GLOBAL__N_18offset_tEEE10hipError_tPvRmT1_PNSt15iterator_traitsIS12_E10value_typeET2_T3_PNS13_IS18_E10value_typeET4_jRbjT5_S1E_jjP12ihipStream_tbEUljE_ZNSN_ISO_Lb0ESQ_SR_ST_SU_SY_EESZ_S10_S11_S12_S16_S17_S18_S1B_S1C_jS1D_jS1E_S1E_jjS1G_bEUljE0_EEESZ_S10_S11_S18_S1C_S1E_T6_T7_T9_mT8_S1G_bDpT10_ENKUlT_T0_E_clISt17integral_constantIbLb1EES1U_EEDaS1P_S1Q_EUlS1P_E_NS1_11comp_targetILNS1_3genE8ELNS1_11target_archE1030ELNS1_3gpuE2ELNS1_3repE0EEENS1_30default_config_static_selectorELNS0_4arch9wavefront6targetE0EEEvS12_,"axG",@progbits,_ZN7rocprim17ROCPRIM_400000_NS6detail17trampoline_kernelINS0_13select_configILj256ELj13ELNS0_17block_load_methodE3ELS4_3ELS4_3ELNS0_20block_scan_algorithmE0ELj4294967295EEENS1_25partition_config_selectorILNS1_17partition_subalgoE4EjNS0_10empty_typeEbEEZZNS1_14partition_implILS8_4ELb0ES6_15HIP_vector_typeIjLj2EENS0_17counting_iteratorIjlEEPS9_SG_NS0_5tupleIJPjSI_NS0_16reverse_iteratorISI_EEEEENSH_IJSG_SG_SG_EEES9_SI_JZNS1_25segmented_radix_sort_implINS0_14default_configELb0EPKhPhPKlPlN2at6native12_GLOBAL__N_18offset_tEEE10hipError_tPvRmT1_PNSt15iterator_traitsIS12_E10value_typeET2_T3_PNS13_IS18_E10value_typeET4_jRbjT5_S1E_jjP12ihipStream_tbEUljE_ZNSN_ISO_Lb0ESQ_SR_ST_SU_SY_EESZ_S10_S11_S12_S16_S17_S18_S1B_S1C_jS1D_jS1E_S1E_jjS1G_bEUljE0_EEESZ_S10_S11_S18_S1C_S1E_T6_T7_T9_mT8_S1G_bDpT10_ENKUlT_T0_E_clISt17integral_constantIbLb1EES1U_EEDaS1P_S1Q_EUlS1P_E_NS1_11comp_targetILNS1_3genE8ELNS1_11target_archE1030ELNS1_3gpuE2ELNS1_3repE0EEENS1_30default_config_static_selectorELNS0_4arch9wavefront6targetE0EEEvS12_,comdat
	.globl	_ZN7rocprim17ROCPRIM_400000_NS6detail17trampoline_kernelINS0_13select_configILj256ELj13ELNS0_17block_load_methodE3ELS4_3ELS4_3ELNS0_20block_scan_algorithmE0ELj4294967295EEENS1_25partition_config_selectorILNS1_17partition_subalgoE4EjNS0_10empty_typeEbEEZZNS1_14partition_implILS8_4ELb0ES6_15HIP_vector_typeIjLj2EENS0_17counting_iteratorIjlEEPS9_SG_NS0_5tupleIJPjSI_NS0_16reverse_iteratorISI_EEEEENSH_IJSG_SG_SG_EEES9_SI_JZNS1_25segmented_radix_sort_implINS0_14default_configELb0EPKhPhPKlPlN2at6native12_GLOBAL__N_18offset_tEEE10hipError_tPvRmT1_PNSt15iterator_traitsIS12_E10value_typeET2_T3_PNS13_IS18_E10value_typeET4_jRbjT5_S1E_jjP12ihipStream_tbEUljE_ZNSN_ISO_Lb0ESQ_SR_ST_SU_SY_EESZ_S10_S11_S12_S16_S17_S18_S1B_S1C_jS1D_jS1E_S1E_jjS1G_bEUljE0_EEESZ_S10_S11_S18_S1C_S1E_T6_T7_T9_mT8_S1G_bDpT10_ENKUlT_T0_E_clISt17integral_constantIbLb1EES1U_EEDaS1P_S1Q_EUlS1P_E_NS1_11comp_targetILNS1_3genE8ELNS1_11target_archE1030ELNS1_3gpuE2ELNS1_3repE0EEENS1_30default_config_static_selectorELNS0_4arch9wavefront6targetE0EEEvS12_ ; -- Begin function _ZN7rocprim17ROCPRIM_400000_NS6detail17trampoline_kernelINS0_13select_configILj256ELj13ELNS0_17block_load_methodE3ELS4_3ELS4_3ELNS0_20block_scan_algorithmE0ELj4294967295EEENS1_25partition_config_selectorILNS1_17partition_subalgoE4EjNS0_10empty_typeEbEEZZNS1_14partition_implILS8_4ELb0ES6_15HIP_vector_typeIjLj2EENS0_17counting_iteratorIjlEEPS9_SG_NS0_5tupleIJPjSI_NS0_16reverse_iteratorISI_EEEEENSH_IJSG_SG_SG_EEES9_SI_JZNS1_25segmented_radix_sort_implINS0_14default_configELb0EPKhPhPKlPlN2at6native12_GLOBAL__N_18offset_tEEE10hipError_tPvRmT1_PNSt15iterator_traitsIS12_E10value_typeET2_T3_PNS13_IS18_E10value_typeET4_jRbjT5_S1E_jjP12ihipStream_tbEUljE_ZNSN_ISO_Lb0ESQ_SR_ST_SU_SY_EESZ_S10_S11_S12_S16_S17_S18_S1B_S1C_jS1D_jS1E_S1E_jjS1G_bEUljE0_EEESZ_S10_S11_S18_S1C_S1E_T6_T7_T9_mT8_S1G_bDpT10_ENKUlT_T0_E_clISt17integral_constantIbLb1EES1U_EEDaS1P_S1Q_EUlS1P_E_NS1_11comp_targetILNS1_3genE8ELNS1_11target_archE1030ELNS1_3gpuE2ELNS1_3repE0EEENS1_30default_config_static_selectorELNS0_4arch9wavefront6targetE0EEEvS12_
	.p2align	8
	.type	_ZN7rocprim17ROCPRIM_400000_NS6detail17trampoline_kernelINS0_13select_configILj256ELj13ELNS0_17block_load_methodE3ELS4_3ELS4_3ELNS0_20block_scan_algorithmE0ELj4294967295EEENS1_25partition_config_selectorILNS1_17partition_subalgoE4EjNS0_10empty_typeEbEEZZNS1_14partition_implILS8_4ELb0ES6_15HIP_vector_typeIjLj2EENS0_17counting_iteratorIjlEEPS9_SG_NS0_5tupleIJPjSI_NS0_16reverse_iteratorISI_EEEEENSH_IJSG_SG_SG_EEES9_SI_JZNS1_25segmented_radix_sort_implINS0_14default_configELb0EPKhPhPKlPlN2at6native12_GLOBAL__N_18offset_tEEE10hipError_tPvRmT1_PNSt15iterator_traitsIS12_E10value_typeET2_T3_PNS13_IS18_E10value_typeET4_jRbjT5_S1E_jjP12ihipStream_tbEUljE_ZNSN_ISO_Lb0ESQ_SR_ST_SU_SY_EESZ_S10_S11_S12_S16_S17_S18_S1B_S1C_jS1D_jS1E_S1E_jjS1G_bEUljE0_EEESZ_S10_S11_S18_S1C_S1E_T6_T7_T9_mT8_S1G_bDpT10_ENKUlT_T0_E_clISt17integral_constantIbLb1EES1U_EEDaS1P_S1Q_EUlS1P_E_NS1_11comp_targetILNS1_3genE8ELNS1_11target_archE1030ELNS1_3gpuE2ELNS1_3repE0EEENS1_30default_config_static_selectorELNS0_4arch9wavefront6targetE0EEEvS12_,@function
_ZN7rocprim17ROCPRIM_400000_NS6detail17trampoline_kernelINS0_13select_configILj256ELj13ELNS0_17block_load_methodE3ELS4_3ELS4_3ELNS0_20block_scan_algorithmE0ELj4294967295EEENS1_25partition_config_selectorILNS1_17partition_subalgoE4EjNS0_10empty_typeEbEEZZNS1_14partition_implILS8_4ELb0ES6_15HIP_vector_typeIjLj2EENS0_17counting_iteratorIjlEEPS9_SG_NS0_5tupleIJPjSI_NS0_16reverse_iteratorISI_EEEEENSH_IJSG_SG_SG_EEES9_SI_JZNS1_25segmented_radix_sort_implINS0_14default_configELb0EPKhPhPKlPlN2at6native12_GLOBAL__N_18offset_tEEE10hipError_tPvRmT1_PNSt15iterator_traitsIS12_E10value_typeET2_T3_PNS13_IS18_E10value_typeET4_jRbjT5_S1E_jjP12ihipStream_tbEUljE_ZNSN_ISO_Lb0ESQ_SR_ST_SU_SY_EESZ_S10_S11_S12_S16_S17_S18_S1B_S1C_jS1D_jS1E_S1E_jjS1G_bEUljE0_EEESZ_S10_S11_S18_S1C_S1E_T6_T7_T9_mT8_S1G_bDpT10_ENKUlT_T0_E_clISt17integral_constantIbLb1EES1U_EEDaS1P_S1Q_EUlS1P_E_NS1_11comp_targetILNS1_3genE8ELNS1_11target_archE1030ELNS1_3gpuE2ELNS1_3repE0EEENS1_30default_config_static_selectorELNS0_4arch9wavefront6targetE0EEEvS12_: ; @_ZN7rocprim17ROCPRIM_400000_NS6detail17trampoline_kernelINS0_13select_configILj256ELj13ELNS0_17block_load_methodE3ELS4_3ELS4_3ELNS0_20block_scan_algorithmE0ELj4294967295EEENS1_25partition_config_selectorILNS1_17partition_subalgoE4EjNS0_10empty_typeEbEEZZNS1_14partition_implILS8_4ELb0ES6_15HIP_vector_typeIjLj2EENS0_17counting_iteratorIjlEEPS9_SG_NS0_5tupleIJPjSI_NS0_16reverse_iteratorISI_EEEEENSH_IJSG_SG_SG_EEES9_SI_JZNS1_25segmented_radix_sort_implINS0_14default_configELb0EPKhPhPKlPlN2at6native12_GLOBAL__N_18offset_tEEE10hipError_tPvRmT1_PNSt15iterator_traitsIS12_E10value_typeET2_T3_PNS13_IS18_E10value_typeET4_jRbjT5_S1E_jjP12ihipStream_tbEUljE_ZNSN_ISO_Lb0ESQ_SR_ST_SU_SY_EESZ_S10_S11_S12_S16_S17_S18_S1B_S1C_jS1D_jS1E_S1E_jjS1G_bEUljE0_EEESZ_S10_S11_S18_S1C_S1E_T6_T7_T9_mT8_S1G_bDpT10_ENKUlT_T0_E_clISt17integral_constantIbLb1EES1U_EEDaS1P_S1Q_EUlS1P_E_NS1_11comp_targetILNS1_3genE8ELNS1_11target_archE1030ELNS1_3gpuE2ELNS1_3repE0EEENS1_30default_config_static_selectorELNS0_4arch9wavefront6targetE0EEEvS12_
; %bb.0:
	.section	.rodata,"a",@progbits
	.p2align	6, 0x0
	.amdhsa_kernel _ZN7rocprim17ROCPRIM_400000_NS6detail17trampoline_kernelINS0_13select_configILj256ELj13ELNS0_17block_load_methodE3ELS4_3ELS4_3ELNS0_20block_scan_algorithmE0ELj4294967295EEENS1_25partition_config_selectorILNS1_17partition_subalgoE4EjNS0_10empty_typeEbEEZZNS1_14partition_implILS8_4ELb0ES6_15HIP_vector_typeIjLj2EENS0_17counting_iteratorIjlEEPS9_SG_NS0_5tupleIJPjSI_NS0_16reverse_iteratorISI_EEEEENSH_IJSG_SG_SG_EEES9_SI_JZNS1_25segmented_radix_sort_implINS0_14default_configELb0EPKhPhPKlPlN2at6native12_GLOBAL__N_18offset_tEEE10hipError_tPvRmT1_PNSt15iterator_traitsIS12_E10value_typeET2_T3_PNS13_IS18_E10value_typeET4_jRbjT5_S1E_jjP12ihipStream_tbEUljE_ZNSN_ISO_Lb0ESQ_SR_ST_SU_SY_EESZ_S10_S11_S12_S16_S17_S18_S1B_S1C_jS1D_jS1E_S1E_jjS1G_bEUljE0_EEESZ_S10_S11_S18_S1C_S1E_T6_T7_T9_mT8_S1G_bDpT10_ENKUlT_T0_E_clISt17integral_constantIbLb1EES1U_EEDaS1P_S1Q_EUlS1P_E_NS1_11comp_targetILNS1_3genE8ELNS1_11target_archE1030ELNS1_3gpuE2ELNS1_3repE0EEENS1_30default_config_static_selectorELNS0_4arch9wavefront6targetE0EEEvS12_
		.amdhsa_group_segment_fixed_size 0
		.amdhsa_private_segment_fixed_size 0
		.amdhsa_kernarg_size 184
		.amdhsa_user_sgpr_count 2
		.amdhsa_user_sgpr_dispatch_ptr 0
		.amdhsa_user_sgpr_queue_ptr 0
		.amdhsa_user_sgpr_kernarg_segment_ptr 1
		.amdhsa_user_sgpr_dispatch_id 0
		.amdhsa_user_sgpr_kernarg_preload_length 0
		.amdhsa_user_sgpr_kernarg_preload_offset 0
		.amdhsa_user_sgpr_private_segment_size 0
		.amdhsa_wavefront_size32 1
		.amdhsa_uses_dynamic_stack 0
		.amdhsa_enable_private_segment 0
		.amdhsa_system_sgpr_workgroup_id_x 1
		.amdhsa_system_sgpr_workgroup_id_y 0
		.amdhsa_system_sgpr_workgroup_id_z 0
		.amdhsa_system_sgpr_workgroup_info 0
		.amdhsa_system_vgpr_workitem_id 0
		.amdhsa_next_free_vgpr 1
		.amdhsa_next_free_sgpr 1
		.amdhsa_named_barrier_count 0
		.amdhsa_reserve_vcc 0
		.amdhsa_float_round_mode_32 0
		.amdhsa_float_round_mode_16_64 0
		.amdhsa_float_denorm_mode_32 3
		.amdhsa_float_denorm_mode_16_64 3
		.amdhsa_fp16_overflow 0
		.amdhsa_memory_ordered 1
		.amdhsa_forward_progress 1
		.amdhsa_inst_pref_size 0
		.amdhsa_round_robin_scheduling 0
		.amdhsa_exception_fp_ieee_invalid_op 0
		.amdhsa_exception_fp_denorm_src 0
		.amdhsa_exception_fp_ieee_div_zero 0
		.amdhsa_exception_fp_ieee_overflow 0
		.amdhsa_exception_fp_ieee_underflow 0
		.amdhsa_exception_fp_ieee_inexact 0
		.amdhsa_exception_int_div_zero 0
	.end_amdhsa_kernel
	.section	.text._ZN7rocprim17ROCPRIM_400000_NS6detail17trampoline_kernelINS0_13select_configILj256ELj13ELNS0_17block_load_methodE3ELS4_3ELS4_3ELNS0_20block_scan_algorithmE0ELj4294967295EEENS1_25partition_config_selectorILNS1_17partition_subalgoE4EjNS0_10empty_typeEbEEZZNS1_14partition_implILS8_4ELb0ES6_15HIP_vector_typeIjLj2EENS0_17counting_iteratorIjlEEPS9_SG_NS0_5tupleIJPjSI_NS0_16reverse_iteratorISI_EEEEENSH_IJSG_SG_SG_EEES9_SI_JZNS1_25segmented_radix_sort_implINS0_14default_configELb0EPKhPhPKlPlN2at6native12_GLOBAL__N_18offset_tEEE10hipError_tPvRmT1_PNSt15iterator_traitsIS12_E10value_typeET2_T3_PNS13_IS18_E10value_typeET4_jRbjT5_S1E_jjP12ihipStream_tbEUljE_ZNSN_ISO_Lb0ESQ_SR_ST_SU_SY_EESZ_S10_S11_S12_S16_S17_S18_S1B_S1C_jS1D_jS1E_S1E_jjS1G_bEUljE0_EEESZ_S10_S11_S18_S1C_S1E_T6_T7_T9_mT8_S1G_bDpT10_ENKUlT_T0_E_clISt17integral_constantIbLb1EES1U_EEDaS1P_S1Q_EUlS1P_E_NS1_11comp_targetILNS1_3genE8ELNS1_11target_archE1030ELNS1_3gpuE2ELNS1_3repE0EEENS1_30default_config_static_selectorELNS0_4arch9wavefront6targetE0EEEvS12_,"axG",@progbits,_ZN7rocprim17ROCPRIM_400000_NS6detail17trampoline_kernelINS0_13select_configILj256ELj13ELNS0_17block_load_methodE3ELS4_3ELS4_3ELNS0_20block_scan_algorithmE0ELj4294967295EEENS1_25partition_config_selectorILNS1_17partition_subalgoE4EjNS0_10empty_typeEbEEZZNS1_14partition_implILS8_4ELb0ES6_15HIP_vector_typeIjLj2EENS0_17counting_iteratorIjlEEPS9_SG_NS0_5tupleIJPjSI_NS0_16reverse_iteratorISI_EEEEENSH_IJSG_SG_SG_EEES9_SI_JZNS1_25segmented_radix_sort_implINS0_14default_configELb0EPKhPhPKlPlN2at6native12_GLOBAL__N_18offset_tEEE10hipError_tPvRmT1_PNSt15iterator_traitsIS12_E10value_typeET2_T3_PNS13_IS18_E10value_typeET4_jRbjT5_S1E_jjP12ihipStream_tbEUljE_ZNSN_ISO_Lb0ESQ_SR_ST_SU_SY_EESZ_S10_S11_S12_S16_S17_S18_S1B_S1C_jS1D_jS1E_S1E_jjS1G_bEUljE0_EEESZ_S10_S11_S18_S1C_S1E_T6_T7_T9_mT8_S1G_bDpT10_ENKUlT_T0_E_clISt17integral_constantIbLb1EES1U_EEDaS1P_S1Q_EUlS1P_E_NS1_11comp_targetILNS1_3genE8ELNS1_11target_archE1030ELNS1_3gpuE2ELNS1_3repE0EEENS1_30default_config_static_selectorELNS0_4arch9wavefront6targetE0EEEvS12_,comdat
.Lfunc_end136:
	.size	_ZN7rocprim17ROCPRIM_400000_NS6detail17trampoline_kernelINS0_13select_configILj256ELj13ELNS0_17block_load_methodE3ELS4_3ELS4_3ELNS0_20block_scan_algorithmE0ELj4294967295EEENS1_25partition_config_selectorILNS1_17partition_subalgoE4EjNS0_10empty_typeEbEEZZNS1_14partition_implILS8_4ELb0ES6_15HIP_vector_typeIjLj2EENS0_17counting_iteratorIjlEEPS9_SG_NS0_5tupleIJPjSI_NS0_16reverse_iteratorISI_EEEEENSH_IJSG_SG_SG_EEES9_SI_JZNS1_25segmented_radix_sort_implINS0_14default_configELb0EPKhPhPKlPlN2at6native12_GLOBAL__N_18offset_tEEE10hipError_tPvRmT1_PNSt15iterator_traitsIS12_E10value_typeET2_T3_PNS13_IS18_E10value_typeET4_jRbjT5_S1E_jjP12ihipStream_tbEUljE_ZNSN_ISO_Lb0ESQ_SR_ST_SU_SY_EESZ_S10_S11_S12_S16_S17_S18_S1B_S1C_jS1D_jS1E_S1E_jjS1G_bEUljE0_EEESZ_S10_S11_S18_S1C_S1E_T6_T7_T9_mT8_S1G_bDpT10_ENKUlT_T0_E_clISt17integral_constantIbLb1EES1U_EEDaS1P_S1Q_EUlS1P_E_NS1_11comp_targetILNS1_3genE8ELNS1_11target_archE1030ELNS1_3gpuE2ELNS1_3repE0EEENS1_30default_config_static_selectorELNS0_4arch9wavefront6targetE0EEEvS12_, .Lfunc_end136-_ZN7rocprim17ROCPRIM_400000_NS6detail17trampoline_kernelINS0_13select_configILj256ELj13ELNS0_17block_load_methodE3ELS4_3ELS4_3ELNS0_20block_scan_algorithmE0ELj4294967295EEENS1_25partition_config_selectorILNS1_17partition_subalgoE4EjNS0_10empty_typeEbEEZZNS1_14partition_implILS8_4ELb0ES6_15HIP_vector_typeIjLj2EENS0_17counting_iteratorIjlEEPS9_SG_NS0_5tupleIJPjSI_NS0_16reverse_iteratorISI_EEEEENSH_IJSG_SG_SG_EEES9_SI_JZNS1_25segmented_radix_sort_implINS0_14default_configELb0EPKhPhPKlPlN2at6native12_GLOBAL__N_18offset_tEEE10hipError_tPvRmT1_PNSt15iterator_traitsIS12_E10value_typeET2_T3_PNS13_IS18_E10value_typeET4_jRbjT5_S1E_jjP12ihipStream_tbEUljE_ZNSN_ISO_Lb0ESQ_SR_ST_SU_SY_EESZ_S10_S11_S12_S16_S17_S18_S1B_S1C_jS1D_jS1E_S1E_jjS1G_bEUljE0_EEESZ_S10_S11_S18_S1C_S1E_T6_T7_T9_mT8_S1G_bDpT10_ENKUlT_T0_E_clISt17integral_constantIbLb1EES1U_EEDaS1P_S1Q_EUlS1P_E_NS1_11comp_targetILNS1_3genE8ELNS1_11target_archE1030ELNS1_3gpuE2ELNS1_3repE0EEENS1_30default_config_static_selectorELNS0_4arch9wavefront6targetE0EEEvS12_
                                        ; -- End function
	.set _ZN7rocprim17ROCPRIM_400000_NS6detail17trampoline_kernelINS0_13select_configILj256ELj13ELNS0_17block_load_methodE3ELS4_3ELS4_3ELNS0_20block_scan_algorithmE0ELj4294967295EEENS1_25partition_config_selectorILNS1_17partition_subalgoE4EjNS0_10empty_typeEbEEZZNS1_14partition_implILS8_4ELb0ES6_15HIP_vector_typeIjLj2EENS0_17counting_iteratorIjlEEPS9_SG_NS0_5tupleIJPjSI_NS0_16reverse_iteratorISI_EEEEENSH_IJSG_SG_SG_EEES9_SI_JZNS1_25segmented_radix_sort_implINS0_14default_configELb0EPKhPhPKlPlN2at6native12_GLOBAL__N_18offset_tEEE10hipError_tPvRmT1_PNSt15iterator_traitsIS12_E10value_typeET2_T3_PNS13_IS18_E10value_typeET4_jRbjT5_S1E_jjP12ihipStream_tbEUljE_ZNSN_ISO_Lb0ESQ_SR_ST_SU_SY_EESZ_S10_S11_S12_S16_S17_S18_S1B_S1C_jS1D_jS1E_S1E_jjS1G_bEUljE0_EEESZ_S10_S11_S18_S1C_S1E_T6_T7_T9_mT8_S1G_bDpT10_ENKUlT_T0_E_clISt17integral_constantIbLb1EES1U_EEDaS1P_S1Q_EUlS1P_E_NS1_11comp_targetILNS1_3genE8ELNS1_11target_archE1030ELNS1_3gpuE2ELNS1_3repE0EEENS1_30default_config_static_selectorELNS0_4arch9wavefront6targetE0EEEvS12_.num_vgpr, 0
	.set _ZN7rocprim17ROCPRIM_400000_NS6detail17trampoline_kernelINS0_13select_configILj256ELj13ELNS0_17block_load_methodE3ELS4_3ELS4_3ELNS0_20block_scan_algorithmE0ELj4294967295EEENS1_25partition_config_selectorILNS1_17partition_subalgoE4EjNS0_10empty_typeEbEEZZNS1_14partition_implILS8_4ELb0ES6_15HIP_vector_typeIjLj2EENS0_17counting_iteratorIjlEEPS9_SG_NS0_5tupleIJPjSI_NS0_16reverse_iteratorISI_EEEEENSH_IJSG_SG_SG_EEES9_SI_JZNS1_25segmented_radix_sort_implINS0_14default_configELb0EPKhPhPKlPlN2at6native12_GLOBAL__N_18offset_tEEE10hipError_tPvRmT1_PNSt15iterator_traitsIS12_E10value_typeET2_T3_PNS13_IS18_E10value_typeET4_jRbjT5_S1E_jjP12ihipStream_tbEUljE_ZNSN_ISO_Lb0ESQ_SR_ST_SU_SY_EESZ_S10_S11_S12_S16_S17_S18_S1B_S1C_jS1D_jS1E_S1E_jjS1G_bEUljE0_EEESZ_S10_S11_S18_S1C_S1E_T6_T7_T9_mT8_S1G_bDpT10_ENKUlT_T0_E_clISt17integral_constantIbLb1EES1U_EEDaS1P_S1Q_EUlS1P_E_NS1_11comp_targetILNS1_3genE8ELNS1_11target_archE1030ELNS1_3gpuE2ELNS1_3repE0EEENS1_30default_config_static_selectorELNS0_4arch9wavefront6targetE0EEEvS12_.num_agpr, 0
	.set _ZN7rocprim17ROCPRIM_400000_NS6detail17trampoline_kernelINS0_13select_configILj256ELj13ELNS0_17block_load_methodE3ELS4_3ELS4_3ELNS0_20block_scan_algorithmE0ELj4294967295EEENS1_25partition_config_selectorILNS1_17partition_subalgoE4EjNS0_10empty_typeEbEEZZNS1_14partition_implILS8_4ELb0ES6_15HIP_vector_typeIjLj2EENS0_17counting_iteratorIjlEEPS9_SG_NS0_5tupleIJPjSI_NS0_16reverse_iteratorISI_EEEEENSH_IJSG_SG_SG_EEES9_SI_JZNS1_25segmented_radix_sort_implINS0_14default_configELb0EPKhPhPKlPlN2at6native12_GLOBAL__N_18offset_tEEE10hipError_tPvRmT1_PNSt15iterator_traitsIS12_E10value_typeET2_T3_PNS13_IS18_E10value_typeET4_jRbjT5_S1E_jjP12ihipStream_tbEUljE_ZNSN_ISO_Lb0ESQ_SR_ST_SU_SY_EESZ_S10_S11_S12_S16_S17_S18_S1B_S1C_jS1D_jS1E_S1E_jjS1G_bEUljE0_EEESZ_S10_S11_S18_S1C_S1E_T6_T7_T9_mT8_S1G_bDpT10_ENKUlT_T0_E_clISt17integral_constantIbLb1EES1U_EEDaS1P_S1Q_EUlS1P_E_NS1_11comp_targetILNS1_3genE8ELNS1_11target_archE1030ELNS1_3gpuE2ELNS1_3repE0EEENS1_30default_config_static_selectorELNS0_4arch9wavefront6targetE0EEEvS12_.numbered_sgpr, 0
	.set _ZN7rocprim17ROCPRIM_400000_NS6detail17trampoline_kernelINS0_13select_configILj256ELj13ELNS0_17block_load_methodE3ELS4_3ELS4_3ELNS0_20block_scan_algorithmE0ELj4294967295EEENS1_25partition_config_selectorILNS1_17partition_subalgoE4EjNS0_10empty_typeEbEEZZNS1_14partition_implILS8_4ELb0ES6_15HIP_vector_typeIjLj2EENS0_17counting_iteratorIjlEEPS9_SG_NS0_5tupleIJPjSI_NS0_16reverse_iteratorISI_EEEEENSH_IJSG_SG_SG_EEES9_SI_JZNS1_25segmented_radix_sort_implINS0_14default_configELb0EPKhPhPKlPlN2at6native12_GLOBAL__N_18offset_tEEE10hipError_tPvRmT1_PNSt15iterator_traitsIS12_E10value_typeET2_T3_PNS13_IS18_E10value_typeET4_jRbjT5_S1E_jjP12ihipStream_tbEUljE_ZNSN_ISO_Lb0ESQ_SR_ST_SU_SY_EESZ_S10_S11_S12_S16_S17_S18_S1B_S1C_jS1D_jS1E_S1E_jjS1G_bEUljE0_EEESZ_S10_S11_S18_S1C_S1E_T6_T7_T9_mT8_S1G_bDpT10_ENKUlT_T0_E_clISt17integral_constantIbLb1EES1U_EEDaS1P_S1Q_EUlS1P_E_NS1_11comp_targetILNS1_3genE8ELNS1_11target_archE1030ELNS1_3gpuE2ELNS1_3repE0EEENS1_30default_config_static_selectorELNS0_4arch9wavefront6targetE0EEEvS12_.num_named_barrier, 0
	.set _ZN7rocprim17ROCPRIM_400000_NS6detail17trampoline_kernelINS0_13select_configILj256ELj13ELNS0_17block_load_methodE3ELS4_3ELS4_3ELNS0_20block_scan_algorithmE0ELj4294967295EEENS1_25partition_config_selectorILNS1_17partition_subalgoE4EjNS0_10empty_typeEbEEZZNS1_14partition_implILS8_4ELb0ES6_15HIP_vector_typeIjLj2EENS0_17counting_iteratorIjlEEPS9_SG_NS0_5tupleIJPjSI_NS0_16reverse_iteratorISI_EEEEENSH_IJSG_SG_SG_EEES9_SI_JZNS1_25segmented_radix_sort_implINS0_14default_configELb0EPKhPhPKlPlN2at6native12_GLOBAL__N_18offset_tEEE10hipError_tPvRmT1_PNSt15iterator_traitsIS12_E10value_typeET2_T3_PNS13_IS18_E10value_typeET4_jRbjT5_S1E_jjP12ihipStream_tbEUljE_ZNSN_ISO_Lb0ESQ_SR_ST_SU_SY_EESZ_S10_S11_S12_S16_S17_S18_S1B_S1C_jS1D_jS1E_S1E_jjS1G_bEUljE0_EEESZ_S10_S11_S18_S1C_S1E_T6_T7_T9_mT8_S1G_bDpT10_ENKUlT_T0_E_clISt17integral_constantIbLb1EES1U_EEDaS1P_S1Q_EUlS1P_E_NS1_11comp_targetILNS1_3genE8ELNS1_11target_archE1030ELNS1_3gpuE2ELNS1_3repE0EEENS1_30default_config_static_selectorELNS0_4arch9wavefront6targetE0EEEvS12_.private_seg_size, 0
	.set _ZN7rocprim17ROCPRIM_400000_NS6detail17trampoline_kernelINS0_13select_configILj256ELj13ELNS0_17block_load_methodE3ELS4_3ELS4_3ELNS0_20block_scan_algorithmE0ELj4294967295EEENS1_25partition_config_selectorILNS1_17partition_subalgoE4EjNS0_10empty_typeEbEEZZNS1_14partition_implILS8_4ELb0ES6_15HIP_vector_typeIjLj2EENS0_17counting_iteratorIjlEEPS9_SG_NS0_5tupleIJPjSI_NS0_16reverse_iteratorISI_EEEEENSH_IJSG_SG_SG_EEES9_SI_JZNS1_25segmented_radix_sort_implINS0_14default_configELb0EPKhPhPKlPlN2at6native12_GLOBAL__N_18offset_tEEE10hipError_tPvRmT1_PNSt15iterator_traitsIS12_E10value_typeET2_T3_PNS13_IS18_E10value_typeET4_jRbjT5_S1E_jjP12ihipStream_tbEUljE_ZNSN_ISO_Lb0ESQ_SR_ST_SU_SY_EESZ_S10_S11_S12_S16_S17_S18_S1B_S1C_jS1D_jS1E_S1E_jjS1G_bEUljE0_EEESZ_S10_S11_S18_S1C_S1E_T6_T7_T9_mT8_S1G_bDpT10_ENKUlT_T0_E_clISt17integral_constantIbLb1EES1U_EEDaS1P_S1Q_EUlS1P_E_NS1_11comp_targetILNS1_3genE8ELNS1_11target_archE1030ELNS1_3gpuE2ELNS1_3repE0EEENS1_30default_config_static_selectorELNS0_4arch9wavefront6targetE0EEEvS12_.uses_vcc, 0
	.set _ZN7rocprim17ROCPRIM_400000_NS6detail17trampoline_kernelINS0_13select_configILj256ELj13ELNS0_17block_load_methodE3ELS4_3ELS4_3ELNS0_20block_scan_algorithmE0ELj4294967295EEENS1_25partition_config_selectorILNS1_17partition_subalgoE4EjNS0_10empty_typeEbEEZZNS1_14partition_implILS8_4ELb0ES6_15HIP_vector_typeIjLj2EENS0_17counting_iteratorIjlEEPS9_SG_NS0_5tupleIJPjSI_NS0_16reverse_iteratorISI_EEEEENSH_IJSG_SG_SG_EEES9_SI_JZNS1_25segmented_radix_sort_implINS0_14default_configELb0EPKhPhPKlPlN2at6native12_GLOBAL__N_18offset_tEEE10hipError_tPvRmT1_PNSt15iterator_traitsIS12_E10value_typeET2_T3_PNS13_IS18_E10value_typeET4_jRbjT5_S1E_jjP12ihipStream_tbEUljE_ZNSN_ISO_Lb0ESQ_SR_ST_SU_SY_EESZ_S10_S11_S12_S16_S17_S18_S1B_S1C_jS1D_jS1E_S1E_jjS1G_bEUljE0_EEESZ_S10_S11_S18_S1C_S1E_T6_T7_T9_mT8_S1G_bDpT10_ENKUlT_T0_E_clISt17integral_constantIbLb1EES1U_EEDaS1P_S1Q_EUlS1P_E_NS1_11comp_targetILNS1_3genE8ELNS1_11target_archE1030ELNS1_3gpuE2ELNS1_3repE0EEENS1_30default_config_static_selectorELNS0_4arch9wavefront6targetE0EEEvS12_.uses_flat_scratch, 0
	.set _ZN7rocprim17ROCPRIM_400000_NS6detail17trampoline_kernelINS0_13select_configILj256ELj13ELNS0_17block_load_methodE3ELS4_3ELS4_3ELNS0_20block_scan_algorithmE0ELj4294967295EEENS1_25partition_config_selectorILNS1_17partition_subalgoE4EjNS0_10empty_typeEbEEZZNS1_14partition_implILS8_4ELb0ES6_15HIP_vector_typeIjLj2EENS0_17counting_iteratorIjlEEPS9_SG_NS0_5tupleIJPjSI_NS0_16reverse_iteratorISI_EEEEENSH_IJSG_SG_SG_EEES9_SI_JZNS1_25segmented_radix_sort_implINS0_14default_configELb0EPKhPhPKlPlN2at6native12_GLOBAL__N_18offset_tEEE10hipError_tPvRmT1_PNSt15iterator_traitsIS12_E10value_typeET2_T3_PNS13_IS18_E10value_typeET4_jRbjT5_S1E_jjP12ihipStream_tbEUljE_ZNSN_ISO_Lb0ESQ_SR_ST_SU_SY_EESZ_S10_S11_S12_S16_S17_S18_S1B_S1C_jS1D_jS1E_S1E_jjS1G_bEUljE0_EEESZ_S10_S11_S18_S1C_S1E_T6_T7_T9_mT8_S1G_bDpT10_ENKUlT_T0_E_clISt17integral_constantIbLb1EES1U_EEDaS1P_S1Q_EUlS1P_E_NS1_11comp_targetILNS1_3genE8ELNS1_11target_archE1030ELNS1_3gpuE2ELNS1_3repE0EEENS1_30default_config_static_selectorELNS0_4arch9wavefront6targetE0EEEvS12_.has_dyn_sized_stack, 0
	.set _ZN7rocprim17ROCPRIM_400000_NS6detail17trampoline_kernelINS0_13select_configILj256ELj13ELNS0_17block_load_methodE3ELS4_3ELS4_3ELNS0_20block_scan_algorithmE0ELj4294967295EEENS1_25partition_config_selectorILNS1_17partition_subalgoE4EjNS0_10empty_typeEbEEZZNS1_14partition_implILS8_4ELb0ES6_15HIP_vector_typeIjLj2EENS0_17counting_iteratorIjlEEPS9_SG_NS0_5tupleIJPjSI_NS0_16reverse_iteratorISI_EEEEENSH_IJSG_SG_SG_EEES9_SI_JZNS1_25segmented_radix_sort_implINS0_14default_configELb0EPKhPhPKlPlN2at6native12_GLOBAL__N_18offset_tEEE10hipError_tPvRmT1_PNSt15iterator_traitsIS12_E10value_typeET2_T3_PNS13_IS18_E10value_typeET4_jRbjT5_S1E_jjP12ihipStream_tbEUljE_ZNSN_ISO_Lb0ESQ_SR_ST_SU_SY_EESZ_S10_S11_S12_S16_S17_S18_S1B_S1C_jS1D_jS1E_S1E_jjS1G_bEUljE0_EEESZ_S10_S11_S18_S1C_S1E_T6_T7_T9_mT8_S1G_bDpT10_ENKUlT_T0_E_clISt17integral_constantIbLb1EES1U_EEDaS1P_S1Q_EUlS1P_E_NS1_11comp_targetILNS1_3genE8ELNS1_11target_archE1030ELNS1_3gpuE2ELNS1_3repE0EEENS1_30default_config_static_selectorELNS0_4arch9wavefront6targetE0EEEvS12_.has_recursion, 0
	.set _ZN7rocprim17ROCPRIM_400000_NS6detail17trampoline_kernelINS0_13select_configILj256ELj13ELNS0_17block_load_methodE3ELS4_3ELS4_3ELNS0_20block_scan_algorithmE0ELj4294967295EEENS1_25partition_config_selectorILNS1_17partition_subalgoE4EjNS0_10empty_typeEbEEZZNS1_14partition_implILS8_4ELb0ES6_15HIP_vector_typeIjLj2EENS0_17counting_iteratorIjlEEPS9_SG_NS0_5tupleIJPjSI_NS0_16reverse_iteratorISI_EEEEENSH_IJSG_SG_SG_EEES9_SI_JZNS1_25segmented_radix_sort_implINS0_14default_configELb0EPKhPhPKlPlN2at6native12_GLOBAL__N_18offset_tEEE10hipError_tPvRmT1_PNSt15iterator_traitsIS12_E10value_typeET2_T3_PNS13_IS18_E10value_typeET4_jRbjT5_S1E_jjP12ihipStream_tbEUljE_ZNSN_ISO_Lb0ESQ_SR_ST_SU_SY_EESZ_S10_S11_S12_S16_S17_S18_S1B_S1C_jS1D_jS1E_S1E_jjS1G_bEUljE0_EEESZ_S10_S11_S18_S1C_S1E_T6_T7_T9_mT8_S1G_bDpT10_ENKUlT_T0_E_clISt17integral_constantIbLb1EES1U_EEDaS1P_S1Q_EUlS1P_E_NS1_11comp_targetILNS1_3genE8ELNS1_11target_archE1030ELNS1_3gpuE2ELNS1_3repE0EEENS1_30default_config_static_selectorELNS0_4arch9wavefront6targetE0EEEvS12_.has_indirect_call, 0
	.section	.AMDGPU.csdata,"",@progbits
; Kernel info:
; codeLenInByte = 0
; TotalNumSgprs: 0
; NumVgprs: 0
; ScratchSize: 0
; MemoryBound: 0
; FloatMode: 240
; IeeeMode: 1
; LDSByteSize: 0 bytes/workgroup (compile time only)
; SGPRBlocks: 0
; VGPRBlocks: 0
; NumSGPRsForWavesPerEU: 1
; NumVGPRsForWavesPerEU: 1
; NamedBarCnt: 0
; Occupancy: 16
; WaveLimiterHint : 0
; COMPUTE_PGM_RSRC2:SCRATCH_EN: 0
; COMPUTE_PGM_RSRC2:USER_SGPR: 2
; COMPUTE_PGM_RSRC2:TRAP_HANDLER: 0
; COMPUTE_PGM_RSRC2:TGID_X_EN: 1
; COMPUTE_PGM_RSRC2:TGID_Y_EN: 0
; COMPUTE_PGM_RSRC2:TGID_Z_EN: 0
; COMPUTE_PGM_RSRC2:TIDIG_COMP_CNT: 0
	.section	.text._ZN7rocprim17ROCPRIM_400000_NS6detail17trampoline_kernelINS0_13select_configILj256ELj13ELNS0_17block_load_methodE3ELS4_3ELS4_3ELNS0_20block_scan_algorithmE0ELj4294967295EEENS1_25partition_config_selectorILNS1_17partition_subalgoE4EjNS0_10empty_typeEbEEZZNS1_14partition_implILS8_4ELb0ES6_15HIP_vector_typeIjLj2EENS0_17counting_iteratorIjlEEPS9_SG_NS0_5tupleIJPjSI_NS0_16reverse_iteratorISI_EEEEENSH_IJSG_SG_SG_EEES9_SI_JZNS1_25segmented_radix_sort_implINS0_14default_configELb0EPKhPhPKlPlN2at6native12_GLOBAL__N_18offset_tEEE10hipError_tPvRmT1_PNSt15iterator_traitsIS12_E10value_typeET2_T3_PNS13_IS18_E10value_typeET4_jRbjT5_S1E_jjP12ihipStream_tbEUljE_ZNSN_ISO_Lb0ESQ_SR_ST_SU_SY_EESZ_S10_S11_S12_S16_S17_S18_S1B_S1C_jS1D_jS1E_S1E_jjS1G_bEUljE0_EEESZ_S10_S11_S18_S1C_S1E_T6_T7_T9_mT8_S1G_bDpT10_ENKUlT_T0_E_clISt17integral_constantIbLb1EES1T_IbLb0EEEEDaS1P_S1Q_EUlS1P_E_NS1_11comp_targetILNS1_3genE0ELNS1_11target_archE4294967295ELNS1_3gpuE0ELNS1_3repE0EEENS1_30default_config_static_selectorELNS0_4arch9wavefront6targetE0EEEvS12_,"axG",@progbits,_ZN7rocprim17ROCPRIM_400000_NS6detail17trampoline_kernelINS0_13select_configILj256ELj13ELNS0_17block_load_methodE3ELS4_3ELS4_3ELNS0_20block_scan_algorithmE0ELj4294967295EEENS1_25partition_config_selectorILNS1_17partition_subalgoE4EjNS0_10empty_typeEbEEZZNS1_14partition_implILS8_4ELb0ES6_15HIP_vector_typeIjLj2EENS0_17counting_iteratorIjlEEPS9_SG_NS0_5tupleIJPjSI_NS0_16reverse_iteratorISI_EEEEENSH_IJSG_SG_SG_EEES9_SI_JZNS1_25segmented_radix_sort_implINS0_14default_configELb0EPKhPhPKlPlN2at6native12_GLOBAL__N_18offset_tEEE10hipError_tPvRmT1_PNSt15iterator_traitsIS12_E10value_typeET2_T3_PNS13_IS18_E10value_typeET4_jRbjT5_S1E_jjP12ihipStream_tbEUljE_ZNSN_ISO_Lb0ESQ_SR_ST_SU_SY_EESZ_S10_S11_S12_S16_S17_S18_S1B_S1C_jS1D_jS1E_S1E_jjS1G_bEUljE0_EEESZ_S10_S11_S18_S1C_S1E_T6_T7_T9_mT8_S1G_bDpT10_ENKUlT_T0_E_clISt17integral_constantIbLb1EES1T_IbLb0EEEEDaS1P_S1Q_EUlS1P_E_NS1_11comp_targetILNS1_3genE0ELNS1_11target_archE4294967295ELNS1_3gpuE0ELNS1_3repE0EEENS1_30default_config_static_selectorELNS0_4arch9wavefront6targetE0EEEvS12_,comdat
	.globl	_ZN7rocprim17ROCPRIM_400000_NS6detail17trampoline_kernelINS0_13select_configILj256ELj13ELNS0_17block_load_methodE3ELS4_3ELS4_3ELNS0_20block_scan_algorithmE0ELj4294967295EEENS1_25partition_config_selectorILNS1_17partition_subalgoE4EjNS0_10empty_typeEbEEZZNS1_14partition_implILS8_4ELb0ES6_15HIP_vector_typeIjLj2EENS0_17counting_iteratorIjlEEPS9_SG_NS0_5tupleIJPjSI_NS0_16reverse_iteratorISI_EEEEENSH_IJSG_SG_SG_EEES9_SI_JZNS1_25segmented_radix_sort_implINS0_14default_configELb0EPKhPhPKlPlN2at6native12_GLOBAL__N_18offset_tEEE10hipError_tPvRmT1_PNSt15iterator_traitsIS12_E10value_typeET2_T3_PNS13_IS18_E10value_typeET4_jRbjT5_S1E_jjP12ihipStream_tbEUljE_ZNSN_ISO_Lb0ESQ_SR_ST_SU_SY_EESZ_S10_S11_S12_S16_S17_S18_S1B_S1C_jS1D_jS1E_S1E_jjS1G_bEUljE0_EEESZ_S10_S11_S18_S1C_S1E_T6_T7_T9_mT8_S1G_bDpT10_ENKUlT_T0_E_clISt17integral_constantIbLb1EES1T_IbLb0EEEEDaS1P_S1Q_EUlS1P_E_NS1_11comp_targetILNS1_3genE0ELNS1_11target_archE4294967295ELNS1_3gpuE0ELNS1_3repE0EEENS1_30default_config_static_selectorELNS0_4arch9wavefront6targetE0EEEvS12_ ; -- Begin function _ZN7rocprim17ROCPRIM_400000_NS6detail17trampoline_kernelINS0_13select_configILj256ELj13ELNS0_17block_load_methodE3ELS4_3ELS4_3ELNS0_20block_scan_algorithmE0ELj4294967295EEENS1_25partition_config_selectorILNS1_17partition_subalgoE4EjNS0_10empty_typeEbEEZZNS1_14partition_implILS8_4ELb0ES6_15HIP_vector_typeIjLj2EENS0_17counting_iteratorIjlEEPS9_SG_NS0_5tupleIJPjSI_NS0_16reverse_iteratorISI_EEEEENSH_IJSG_SG_SG_EEES9_SI_JZNS1_25segmented_radix_sort_implINS0_14default_configELb0EPKhPhPKlPlN2at6native12_GLOBAL__N_18offset_tEEE10hipError_tPvRmT1_PNSt15iterator_traitsIS12_E10value_typeET2_T3_PNS13_IS18_E10value_typeET4_jRbjT5_S1E_jjP12ihipStream_tbEUljE_ZNSN_ISO_Lb0ESQ_SR_ST_SU_SY_EESZ_S10_S11_S12_S16_S17_S18_S1B_S1C_jS1D_jS1E_S1E_jjS1G_bEUljE0_EEESZ_S10_S11_S18_S1C_S1E_T6_T7_T9_mT8_S1G_bDpT10_ENKUlT_T0_E_clISt17integral_constantIbLb1EES1T_IbLb0EEEEDaS1P_S1Q_EUlS1P_E_NS1_11comp_targetILNS1_3genE0ELNS1_11target_archE4294967295ELNS1_3gpuE0ELNS1_3repE0EEENS1_30default_config_static_selectorELNS0_4arch9wavefront6targetE0EEEvS12_
	.p2align	8
	.type	_ZN7rocprim17ROCPRIM_400000_NS6detail17trampoline_kernelINS0_13select_configILj256ELj13ELNS0_17block_load_methodE3ELS4_3ELS4_3ELNS0_20block_scan_algorithmE0ELj4294967295EEENS1_25partition_config_selectorILNS1_17partition_subalgoE4EjNS0_10empty_typeEbEEZZNS1_14partition_implILS8_4ELb0ES6_15HIP_vector_typeIjLj2EENS0_17counting_iteratorIjlEEPS9_SG_NS0_5tupleIJPjSI_NS0_16reverse_iteratorISI_EEEEENSH_IJSG_SG_SG_EEES9_SI_JZNS1_25segmented_radix_sort_implINS0_14default_configELb0EPKhPhPKlPlN2at6native12_GLOBAL__N_18offset_tEEE10hipError_tPvRmT1_PNSt15iterator_traitsIS12_E10value_typeET2_T3_PNS13_IS18_E10value_typeET4_jRbjT5_S1E_jjP12ihipStream_tbEUljE_ZNSN_ISO_Lb0ESQ_SR_ST_SU_SY_EESZ_S10_S11_S12_S16_S17_S18_S1B_S1C_jS1D_jS1E_S1E_jjS1G_bEUljE0_EEESZ_S10_S11_S18_S1C_S1E_T6_T7_T9_mT8_S1G_bDpT10_ENKUlT_T0_E_clISt17integral_constantIbLb1EES1T_IbLb0EEEEDaS1P_S1Q_EUlS1P_E_NS1_11comp_targetILNS1_3genE0ELNS1_11target_archE4294967295ELNS1_3gpuE0ELNS1_3repE0EEENS1_30default_config_static_selectorELNS0_4arch9wavefront6targetE0EEEvS12_,@function
_ZN7rocprim17ROCPRIM_400000_NS6detail17trampoline_kernelINS0_13select_configILj256ELj13ELNS0_17block_load_methodE3ELS4_3ELS4_3ELNS0_20block_scan_algorithmE0ELj4294967295EEENS1_25partition_config_selectorILNS1_17partition_subalgoE4EjNS0_10empty_typeEbEEZZNS1_14partition_implILS8_4ELb0ES6_15HIP_vector_typeIjLj2EENS0_17counting_iteratorIjlEEPS9_SG_NS0_5tupleIJPjSI_NS0_16reverse_iteratorISI_EEEEENSH_IJSG_SG_SG_EEES9_SI_JZNS1_25segmented_radix_sort_implINS0_14default_configELb0EPKhPhPKlPlN2at6native12_GLOBAL__N_18offset_tEEE10hipError_tPvRmT1_PNSt15iterator_traitsIS12_E10value_typeET2_T3_PNS13_IS18_E10value_typeET4_jRbjT5_S1E_jjP12ihipStream_tbEUljE_ZNSN_ISO_Lb0ESQ_SR_ST_SU_SY_EESZ_S10_S11_S12_S16_S17_S18_S1B_S1C_jS1D_jS1E_S1E_jjS1G_bEUljE0_EEESZ_S10_S11_S18_S1C_S1E_T6_T7_T9_mT8_S1G_bDpT10_ENKUlT_T0_E_clISt17integral_constantIbLb1EES1T_IbLb0EEEEDaS1P_S1Q_EUlS1P_E_NS1_11comp_targetILNS1_3genE0ELNS1_11target_archE4294967295ELNS1_3gpuE0ELNS1_3repE0EEENS1_30default_config_static_selectorELNS0_4arch9wavefront6targetE0EEEvS12_: ; @_ZN7rocprim17ROCPRIM_400000_NS6detail17trampoline_kernelINS0_13select_configILj256ELj13ELNS0_17block_load_methodE3ELS4_3ELS4_3ELNS0_20block_scan_algorithmE0ELj4294967295EEENS1_25partition_config_selectorILNS1_17partition_subalgoE4EjNS0_10empty_typeEbEEZZNS1_14partition_implILS8_4ELb0ES6_15HIP_vector_typeIjLj2EENS0_17counting_iteratorIjlEEPS9_SG_NS0_5tupleIJPjSI_NS0_16reverse_iteratorISI_EEEEENSH_IJSG_SG_SG_EEES9_SI_JZNS1_25segmented_radix_sort_implINS0_14default_configELb0EPKhPhPKlPlN2at6native12_GLOBAL__N_18offset_tEEE10hipError_tPvRmT1_PNSt15iterator_traitsIS12_E10value_typeET2_T3_PNS13_IS18_E10value_typeET4_jRbjT5_S1E_jjP12ihipStream_tbEUljE_ZNSN_ISO_Lb0ESQ_SR_ST_SU_SY_EESZ_S10_S11_S12_S16_S17_S18_S1B_S1C_jS1D_jS1E_S1E_jjS1G_bEUljE0_EEESZ_S10_S11_S18_S1C_S1E_T6_T7_T9_mT8_S1G_bDpT10_ENKUlT_T0_E_clISt17integral_constantIbLb1EES1T_IbLb0EEEEDaS1P_S1Q_EUlS1P_E_NS1_11comp_targetILNS1_3genE0ELNS1_11target_archE4294967295ELNS1_3gpuE0ELNS1_3repE0EEENS1_30default_config_static_selectorELNS0_4arch9wavefront6targetE0EEEvS12_
; %bb.0:
	s_endpgm
	.section	.rodata,"a",@progbits
	.p2align	6, 0x0
	.amdhsa_kernel _ZN7rocprim17ROCPRIM_400000_NS6detail17trampoline_kernelINS0_13select_configILj256ELj13ELNS0_17block_load_methodE3ELS4_3ELS4_3ELNS0_20block_scan_algorithmE0ELj4294967295EEENS1_25partition_config_selectorILNS1_17partition_subalgoE4EjNS0_10empty_typeEbEEZZNS1_14partition_implILS8_4ELb0ES6_15HIP_vector_typeIjLj2EENS0_17counting_iteratorIjlEEPS9_SG_NS0_5tupleIJPjSI_NS0_16reverse_iteratorISI_EEEEENSH_IJSG_SG_SG_EEES9_SI_JZNS1_25segmented_radix_sort_implINS0_14default_configELb0EPKhPhPKlPlN2at6native12_GLOBAL__N_18offset_tEEE10hipError_tPvRmT1_PNSt15iterator_traitsIS12_E10value_typeET2_T3_PNS13_IS18_E10value_typeET4_jRbjT5_S1E_jjP12ihipStream_tbEUljE_ZNSN_ISO_Lb0ESQ_SR_ST_SU_SY_EESZ_S10_S11_S12_S16_S17_S18_S1B_S1C_jS1D_jS1E_S1E_jjS1G_bEUljE0_EEESZ_S10_S11_S18_S1C_S1E_T6_T7_T9_mT8_S1G_bDpT10_ENKUlT_T0_E_clISt17integral_constantIbLb1EES1T_IbLb0EEEEDaS1P_S1Q_EUlS1P_E_NS1_11comp_targetILNS1_3genE0ELNS1_11target_archE4294967295ELNS1_3gpuE0ELNS1_3repE0EEENS1_30default_config_static_selectorELNS0_4arch9wavefront6targetE0EEEvS12_
		.amdhsa_group_segment_fixed_size 0
		.amdhsa_private_segment_fixed_size 0
		.amdhsa_kernarg_size 176
		.amdhsa_user_sgpr_count 2
		.amdhsa_user_sgpr_dispatch_ptr 0
		.amdhsa_user_sgpr_queue_ptr 0
		.amdhsa_user_sgpr_kernarg_segment_ptr 1
		.amdhsa_user_sgpr_dispatch_id 0
		.amdhsa_user_sgpr_kernarg_preload_length 0
		.amdhsa_user_sgpr_kernarg_preload_offset 0
		.amdhsa_user_sgpr_private_segment_size 0
		.amdhsa_wavefront_size32 1
		.amdhsa_uses_dynamic_stack 0
		.amdhsa_enable_private_segment 0
		.amdhsa_system_sgpr_workgroup_id_x 1
		.amdhsa_system_sgpr_workgroup_id_y 0
		.amdhsa_system_sgpr_workgroup_id_z 0
		.amdhsa_system_sgpr_workgroup_info 0
		.amdhsa_system_vgpr_workitem_id 0
		.amdhsa_next_free_vgpr 1
		.amdhsa_next_free_sgpr 1
		.amdhsa_named_barrier_count 0
		.amdhsa_reserve_vcc 0
		.amdhsa_float_round_mode_32 0
		.amdhsa_float_round_mode_16_64 0
		.amdhsa_float_denorm_mode_32 3
		.amdhsa_float_denorm_mode_16_64 3
		.amdhsa_fp16_overflow 0
		.amdhsa_memory_ordered 1
		.amdhsa_forward_progress 1
		.amdhsa_inst_pref_size 1
		.amdhsa_round_robin_scheduling 0
		.amdhsa_exception_fp_ieee_invalid_op 0
		.amdhsa_exception_fp_denorm_src 0
		.amdhsa_exception_fp_ieee_div_zero 0
		.amdhsa_exception_fp_ieee_overflow 0
		.amdhsa_exception_fp_ieee_underflow 0
		.amdhsa_exception_fp_ieee_inexact 0
		.amdhsa_exception_int_div_zero 0
	.end_amdhsa_kernel
	.section	.text._ZN7rocprim17ROCPRIM_400000_NS6detail17trampoline_kernelINS0_13select_configILj256ELj13ELNS0_17block_load_methodE3ELS4_3ELS4_3ELNS0_20block_scan_algorithmE0ELj4294967295EEENS1_25partition_config_selectorILNS1_17partition_subalgoE4EjNS0_10empty_typeEbEEZZNS1_14partition_implILS8_4ELb0ES6_15HIP_vector_typeIjLj2EENS0_17counting_iteratorIjlEEPS9_SG_NS0_5tupleIJPjSI_NS0_16reverse_iteratorISI_EEEEENSH_IJSG_SG_SG_EEES9_SI_JZNS1_25segmented_radix_sort_implINS0_14default_configELb0EPKhPhPKlPlN2at6native12_GLOBAL__N_18offset_tEEE10hipError_tPvRmT1_PNSt15iterator_traitsIS12_E10value_typeET2_T3_PNS13_IS18_E10value_typeET4_jRbjT5_S1E_jjP12ihipStream_tbEUljE_ZNSN_ISO_Lb0ESQ_SR_ST_SU_SY_EESZ_S10_S11_S12_S16_S17_S18_S1B_S1C_jS1D_jS1E_S1E_jjS1G_bEUljE0_EEESZ_S10_S11_S18_S1C_S1E_T6_T7_T9_mT8_S1G_bDpT10_ENKUlT_T0_E_clISt17integral_constantIbLb1EES1T_IbLb0EEEEDaS1P_S1Q_EUlS1P_E_NS1_11comp_targetILNS1_3genE0ELNS1_11target_archE4294967295ELNS1_3gpuE0ELNS1_3repE0EEENS1_30default_config_static_selectorELNS0_4arch9wavefront6targetE0EEEvS12_,"axG",@progbits,_ZN7rocprim17ROCPRIM_400000_NS6detail17trampoline_kernelINS0_13select_configILj256ELj13ELNS0_17block_load_methodE3ELS4_3ELS4_3ELNS0_20block_scan_algorithmE0ELj4294967295EEENS1_25partition_config_selectorILNS1_17partition_subalgoE4EjNS0_10empty_typeEbEEZZNS1_14partition_implILS8_4ELb0ES6_15HIP_vector_typeIjLj2EENS0_17counting_iteratorIjlEEPS9_SG_NS0_5tupleIJPjSI_NS0_16reverse_iteratorISI_EEEEENSH_IJSG_SG_SG_EEES9_SI_JZNS1_25segmented_radix_sort_implINS0_14default_configELb0EPKhPhPKlPlN2at6native12_GLOBAL__N_18offset_tEEE10hipError_tPvRmT1_PNSt15iterator_traitsIS12_E10value_typeET2_T3_PNS13_IS18_E10value_typeET4_jRbjT5_S1E_jjP12ihipStream_tbEUljE_ZNSN_ISO_Lb0ESQ_SR_ST_SU_SY_EESZ_S10_S11_S12_S16_S17_S18_S1B_S1C_jS1D_jS1E_S1E_jjS1G_bEUljE0_EEESZ_S10_S11_S18_S1C_S1E_T6_T7_T9_mT8_S1G_bDpT10_ENKUlT_T0_E_clISt17integral_constantIbLb1EES1T_IbLb0EEEEDaS1P_S1Q_EUlS1P_E_NS1_11comp_targetILNS1_3genE0ELNS1_11target_archE4294967295ELNS1_3gpuE0ELNS1_3repE0EEENS1_30default_config_static_selectorELNS0_4arch9wavefront6targetE0EEEvS12_,comdat
.Lfunc_end137:
	.size	_ZN7rocprim17ROCPRIM_400000_NS6detail17trampoline_kernelINS0_13select_configILj256ELj13ELNS0_17block_load_methodE3ELS4_3ELS4_3ELNS0_20block_scan_algorithmE0ELj4294967295EEENS1_25partition_config_selectorILNS1_17partition_subalgoE4EjNS0_10empty_typeEbEEZZNS1_14partition_implILS8_4ELb0ES6_15HIP_vector_typeIjLj2EENS0_17counting_iteratorIjlEEPS9_SG_NS0_5tupleIJPjSI_NS0_16reverse_iteratorISI_EEEEENSH_IJSG_SG_SG_EEES9_SI_JZNS1_25segmented_radix_sort_implINS0_14default_configELb0EPKhPhPKlPlN2at6native12_GLOBAL__N_18offset_tEEE10hipError_tPvRmT1_PNSt15iterator_traitsIS12_E10value_typeET2_T3_PNS13_IS18_E10value_typeET4_jRbjT5_S1E_jjP12ihipStream_tbEUljE_ZNSN_ISO_Lb0ESQ_SR_ST_SU_SY_EESZ_S10_S11_S12_S16_S17_S18_S1B_S1C_jS1D_jS1E_S1E_jjS1G_bEUljE0_EEESZ_S10_S11_S18_S1C_S1E_T6_T7_T9_mT8_S1G_bDpT10_ENKUlT_T0_E_clISt17integral_constantIbLb1EES1T_IbLb0EEEEDaS1P_S1Q_EUlS1P_E_NS1_11comp_targetILNS1_3genE0ELNS1_11target_archE4294967295ELNS1_3gpuE0ELNS1_3repE0EEENS1_30default_config_static_selectorELNS0_4arch9wavefront6targetE0EEEvS12_, .Lfunc_end137-_ZN7rocprim17ROCPRIM_400000_NS6detail17trampoline_kernelINS0_13select_configILj256ELj13ELNS0_17block_load_methodE3ELS4_3ELS4_3ELNS0_20block_scan_algorithmE0ELj4294967295EEENS1_25partition_config_selectorILNS1_17partition_subalgoE4EjNS0_10empty_typeEbEEZZNS1_14partition_implILS8_4ELb0ES6_15HIP_vector_typeIjLj2EENS0_17counting_iteratorIjlEEPS9_SG_NS0_5tupleIJPjSI_NS0_16reverse_iteratorISI_EEEEENSH_IJSG_SG_SG_EEES9_SI_JZNS1_25segmented_radix_sort_implINS0_14default_configELb0EPKhPhPKlPlN2at6native12_GLOBAL__N_18offset_tEEE10hipError_tPvRmT1_PNSt15iterator_traitsIS12_E10value_typeET2_T3_PNS13_IS18_E10value_typeET4_jRbjT5_S1E_jjP12ihipStream_tbEUljE_ZNSN_ISO_Lb0ESQ_SR_ST_SU_SY_EESZ_S10_S11_S12_S16_S17_S18_S1B_S1C_jS1D_jS1E_S1E_jjS1G_bEUljE0_EEESZ_S10_S11_S18_S1C_S1E_T6_T7_T9_mT8_S1G_bDpT10_ENKUlT_T0_E_clISt17integral_constantIbLb1EES1T_IbLb0EEEEDaS1P_S1Q_EUlS1P_E_NS1_11comp_targetILNS1_3genE0ELNS1_11target_archE4294967295ELNS1_3gpuE0ELNS1_3repE0EEENS1_30default_config_static_selectorELNS0_4arch9wavefront6targetE0EEEvS12_
                                        ; -- End function
	.set _ZN7rocprim17ROCPRIM_400000_NS6detail17trampoline_kernelINS0_13select_configILj256ELj13ELNS0_17block_load_methodE3ELS4_3ELS4_3ELNS0_20block_scan_algorithmE0ELj4294967295EEENS1_25partition_config_selectorILNS1_17partition_subalgoE4EjNS0_10empty_typeEbEEZZNS1_14partition_implILS8_4ELb0ES6_15HIP_vector_typeIjLj2EENS0_17counting_iteratorIjlEEPS9_SG_NS0_5tupleIJPjSI_NS0_16reverse_iteratorISI_EEEEENSH_IJSG_SG_SG_EEES9_SI_JZNS1_25segmented_radix_sort_implINS0_14default_configELb0EPKhPhPKlPlN2at6native12_GLOBAL__N_18offset_tEEE10hipError_tPvRmT1_PNSt15iterator_traitsIS12_E10value_typeET2_T3_PNS13_IS18_E10value_typeET4_jRbjT5_S1E_jjP12ihipStream_tbEUljE_ZNSN_ISO_Lb0ESQ_SR_ST_SU_SY_EESZ_S10_S11_S12_S16_S17_S18_S1B_S1C_jS1D_jS1E_S1E_jjS1G_bEUljE0_EEESZ_S10_S11_S18_S1C_S1E_T6_T7_T9_mT8_S1G_bDpT10_ENKUlT_T0_E_clISt17integral_constantIbLb1EES1T_IbLb0EEEEDaS1P_S1Q_EUlS1P_E_NS1_11comp_targetILNS1_3genE0ELNS1_11target_archE4294967295ELNS1_3gpuE0ELNS1_3repE0EEENS1_30default_config_static_selectorELNS0_4arch9wavefront6targetE0EEEvS12_.num_vgpr, 0
	.set _ZN7rocprim17ROCPRIM_400000_NS6detail17trampoline_kernelINS0_13select_configILj256ELj13ELNS0_17block_load_methodE3ELS4_3ELS4_3ELNS0_20block_scan_algorithmE0ELj4294967295EEENS1_25partition_config_selectorILNS1_17partition_subalgoE4EjNS0_10empty_typeEbEEZZNS1_14partition_implILS8_4ELb0ES6_15HIP_vector_typeIjLj2EENS0_17counting_iteratorIjlEEPS9_SG_NS0_5tupleIJPjSI_NS0_16reverse_iteratorISI_EEEEENSH_IJSG_SG_SG_EEES9_SI_JZNS1_25segmented_radix_sort_implINS0_14default_configELb0EPKhPhPKlPlN2at6native12_GLOBAL__N_18offset_tEEE10hipError_tPvRmT1_PNSt15iterator_traitsIS12_E10value_typeET2_T3_PNS13_IS18_E10value_typeET4_jRbjT5_S1E_jjP12ihipStream_tbEUljE_ZNSN_ISO_Lb0ESQ_SR_ST_SU_SY_EESZ_S10_S11_S12_S16_S17_S18_S1B_S1C_jS1D_jS1E_S1E_jjS1G_bEUljE0_EEESZ_S10_S11_S18_S1C_S1E_T6_T7_T9_mT8_S1G_bDpT10_ENKUlT_T0_E_clISt17integral_constantIbLb1EES1T_IbLb0EEEEDaS1P_S1Q_EUlS1P_E_NS1_11comp_targetILNS1_3genE0ELNS1_11target_archE4294967295ELNS1_3gpuE0ELNS1_3repE0EEENS1_30default_config_static_selectorELNS0_4arch9wavefront6targetE0EEEvS12_.num_agpr, 0
	.set _ZN7rocprim17ROCPRIM_400000_NS6detail17trampoline_kernelINS0_13select_configILj256ELj13ELNS0_17block_load_methodE3ELS4_3ELS4_3ELNS0_20block_scan_algorithmE0ELj4294967295EEENS1_25partition_config_selectorILNS1_17partition_subalgoE4EjNS0_10empty_typeEbEEZZNS1_14partition_implILS8_4ELb0ES6_15HIP_vector_typeIjLj2EENS0_17counting_iteratorIjlEEPS9_SG_NS0_5tupleIJPjSI_NS0_16reverse_iteratorISI_EEEEENSH_IJSG_SG_SG_EEES9_SI_JZNS1_25segmented_radix_sort_implINS0_14default_configELb0EPKhPhPKlPlN2at6native12_GLOBAL__N_18offset_tEEE10hipError_tPvRmT1_PNSt15iterator_traitsIS12_E10value_typeET2_T3_PNS13_IS18_E10value_typeET4_jRbjT5_S1E_jjP12ihipStream_tbEUljE_ZNSN_ISO_Lb0ESQ_SR_ST_SU_SY_EESZ_S10_S11_S12_S16_S17_S18_S1B_S1C_jS1D_jS1E_S1E_jjS1G_bEUljE0_EEESZ_S10_S11_S18_S1C_S1E_T6_T7_T9_mT8_S1G_bDpT10_ENKUlT_T0_E_clISt17integral_constantIbLb1EES1T_IbLb0EEEEDaS1P_S1Q_EUlS1P_E_NS1_11comp_targetILNS1_3genE0ELNS1_11target_archE4294967295ELNS1_3gpuE0ELNS1_3repE0EEENS1_30default_config_static_selectorELNS0_4arch9wavefront6targetE0EEEvS12_.numbered_sgpr, 0
	.set _ZN7rocprim17ROCPRIM_400000_NS6detail17trampoline_kernelINS0_13select_configILj256ELj13ELNS0_17block_load_methodE3ELS4_3ELS4_3ELNS0_20block_scan_algorithmE0ELj4294967295EEENS1_25partition_config_selectorILNS1_17partition_subalgoE4EjNS0_10empty_typeEbEEZZNS1_14partition_implILS8_4ELb0ES6_15HIP_vector_typeIjLj2EENS0_17counting_iteratorIjlEEPS9_SG_NS0_5tupleIJPjSI_NS0_16reverse_iteratorISI_EEEEENSH_IJSG_SG_SG_EEES9_SI_JZNS1_25segmented_radix_sort_implINS0_14default_configELb0EPKhPhPKlPlN2at6native12_GLOBAL__N_18offset_tEEE10hipError_tPvRmT1_PNSt15iterator_traitsIS12_E10value_typeET2_T3_PNS13_IS18_E10value_typeET4_jRbjT5_S1E_jjP12ihipStream_tbEUljE_ZNSN_ISO_Lb0ESQ_SR_ST_SU_SY_EESZ_S10_S11_S12_S16_S17_S18_S1B_S1C_jS1D_jS1E_S1E_jjS1G_bEUljE0_EEESZ_S10_S11_S18_S1C_S1E_T6_T7_T9_mT8_S1G_bDpT10_ENKUlT_T0_E_clISt17integral_constantIbLb1EES1T_IbLb0EEEEDaS1P_S1Q_EUlS1P_E_NS1_11comp_targetILNS1_3genE0ELNS1_11target_archE4294967295ELNS1_3gpuE0ELNS1_3repE0EEENS1_30default_config_static_selectorELNS0_4arch9wavefront6targetE0EEEvS12_.num_named_barrier, 0
	.set _ZN7rocprim17ROCPRIM_400000_NS6detail17trampoline_kernelINS0_13select_configILj256ELj13ELNS0_17block_load_methodE3ELS4_3ELS4_3ELNS0_20block_scan_algorithmE0ELj4294967295EEENS1_25partition_config_selectorILNS1_17partition_subalgoE4EjNS0_10empty_typeEbEEZZNS1_14partition_implILS8_4ELb0ES6_15HIP_vector_typeIjLj2EENS0_17counting_iteratorIjlEEPS9_SG_NS0_5tupleIJPjSI_NS0_16reverse_iteratorISI_EEEEENSH_IJSG_SG_SG_EEES9_SI_JZNS1_25segmented_radix_sort_implINS0_14default_configELb0EPKhPhPKlPlN2at6native12_GLOBAL__N_18offset_tEEE10hipError_tPvRmT1_PNSt15iterator_traitsIS12_E10value_typeET2_T3_PNS13_IS18_E10value_typeET4_jRbjT5_S1E_jjP12ihipStream_tbEUljE_ZNSN_ISO_Lb0ESQ_SR_ST_SU_SY_EESZ_S10_S11_S12_S16_S17_S18_S1B_S1C_jS1D_jS1E_S1E_jjS1G_bEUljE0_EEESZ_S10_S11_S18_S1C_S1E_T6_T7_T9_mT8_S1G_bDpT10_ENKUlT_T0_E_clISt17integral_constantIbLb1EES1T_IbLb0EEEEDaS1P_S1Q_EUlS1P_E_NS1_11comp_targetILNS1_3genE0ELNS1_11target_archE4294967295ELNS1_3gpuE0ELNS1_3repE0EEENS1_30default_config_static_selectorELNS0_4arch9wavefront6targetE0EEEvS12_.private_seg_size, 0
	.set _ZN7rocprim17ROCPRIM_400000_NS6detail17trampoline_kernelINS0_13select_configILj256ELj13ELNS0_17block_load_methodE3ELS4_3ELS4_3ELNS0_20block_scan_algorithmE0ELj4294967295EEENS1_25partition_config_selectorILNS1_17partition_subalgoE4EjNS0_10empty_typeEbEEZZNS1_14partition_implILS8_4ELb0ES6_15HIP_vector_typeIjLj2EENS0_17counting_iteratorIjlEEPS9_SG_NS0_5tupleIJPjSI_NS0_16reverse_iteratorISI_EEEEENSH_IJSG_SG_SG_EEES9_SI_JZNS1_25segmented_radix_sort_implINS0_14default_configELb0EPKhPhPKlPlN2at6native12_GLOBAL__N_18offset_tEEE10hipError_tPvRmT1_PNSt15iterator_traitsIS12_E10value_typeET2_T3_PNS13_IS18_E10value_typeET4_jRbjT5_S1E_jjP12ihipStream_tbEUljE_ZNSN_ISO_Lb0ESQ_SR_ST_SU_SY_EESZ_S10_S11_S12_S16_S17_S18_S1B_S1C_jS1D_jS1E_S1E_jjS1G_bEUljE0_EEESZ_S10_S11_S18_S1C_S1E_T6_T7_T9_mT8_S1G_bDpT10_ENKUlT_T0_E_clISt17integral_constantIbLb1EES1T_IbLb0EEEEDaS1P_S1Q_EUlS1P_E_NS1_11comp_targetILNS1_3genE0ELNS1_11target_archE4294967295ELNS1_3gpuE0ELNS1_3repE0EEENS1_30default_config_static_selectorELNS0_4arch9wavefront6targetE0EEEvS12_.uses_vcc, 0
	.set _ZN7rocprim17ROCPRIM_400000_NS6detail17trampoline_kernelINS0_13select_configILj256ELj13ELNS0_17block_load_methodE3ELS4_3ELS4_3ELNS0_20block_scan_algorithmE0ELj4294967295EEENS1_25partition_config_selectorILNS1_17partition_subalgoE4EjNS0_10empty_typeEbEEZZNS1_14partition_implILS8_4ELb0ES6_15HIP_vector_typeIjLj2EENS0_17counting_iteratorIjlEEPS9_SG_NS0_5tupleIJPjSI_NS0_16reverse_iteratorISI_EEEEENSH_IJSG_SG_SG_EEES9_SI_JZNS1_25segmented_radix_sort_implINS0_14default_configELb0EPKhPhPKlPlN2at6native12_GLOBAL__N_18offset_tEEE10hipError_tPvRmT1_PNSt15iterator_traitsIS12_E10value_typeET2_T3_PNS13_IS18_E10value_typeET4_jRbjT5_S1E_jjP12ihipStream_tbEUljE_ZNSN_ISO_Lb0ESQ_SR_ST_SU_SY_EESZ_S10_S11_S12_S16_S17_S18_S1B_S1C_jS1D_jS1E_S1E_jjS1G_bEUljE0_EEESZ_S10_S11_S18_S1C_S1E_T6_T7_T9_mT8_S1G_bDpT10_ENKUlT_T0_E_clISt17integral_constantIbLb1EES1T_IbLb0EEEEDaS1P_S1Q_EUlS1P_E_NS1_11comp_targetILNS1_3genE0ELNS1_11target_archE4294967295ELNS1_3gpuE0ELNS1_3repE0EEENS1_30default_config_static_selectorELNS0_4arch9wavefront6targetE0EEEvS12_.uses_flat_scratch, 0
	.set _ZN7rocprim17ROCPRIM_400000_NS6detail17trampoline_kernelINS0_13select_configILj256ELj13ELNS0_17block_load_methodE3ELS4_3ELS4_3ELNS0_20block_scan_algorithmE0ELj4294967295EEENS1_25partition_config_selectorILNS1_17partition_subalgoE4EjNS0_10empty_typeEbEEZZNS1_14partition_implILS8_4ELb0ES6_15HIP_vector_typeIjLj2EENS0_17counting_iteratorIjlEEPS9_SG_NS0_5tupleIJPjSI_NS0_16reverse_iteratorISI_EEEEENSH_IJSG_SG_SG_EEES9_SI_JZNS1_25segmented_radix_sort_implINS0_14default_configELb0EPKhPhPKlPlN2at6native12_GLOBAL__N_18offset_tEEE10hipError_tPvRmT1_PNSt15iterator_traitsIS12_E10value_typeET2_T3_PNS13_IS18_E10value_typeET4_jRbjT5_S1E_jjP12ihipStream_tbEUljE_ZNSN_ISO_Lb0ESQ_SR_ST_SU_SY_EESZ_S10_S11_S12_S16_S17_S18_S1B_S1C_jS1D_jS1E_S1E_jjS1G_bEUljE0_EEESZ_S10_S11_S18_S1C_S1E_T6_T7_T9_mT8_S1G_bDpT10_ENKUlT_T0_E_clISt17integral_constantIbLb1EES1T_IbLb0EEEEDaS1P_S1Q_EUlS1P_E_NS1_11comp_targetILNS1_3genE0ELNS1_11target_archE4294967295ELNS1_3gpuE0ELNS1_3repE0EEENS1_30default_config_static_selectorELNS0_4arch9wavefront6targetE0EEEvS12_.has_dyn_sized_stack, 0
	.set _ZN7rocprim17ROCPRIM_400000_NS6detail17trampoline_kernelINS0_13select_configILj256ELj13ELNS0_17block_load_methodE3ELS4_3ELS4_3ELNS0_20block_scan_algorithmE0ELj4294967295EEENS1_25partition_config_selectorILNS1_17partition_subalgoE4EjNS0_10empty_typeEbEEZZNS1_14partition_implILS8_4ELb0ES6_15HIP_vector_typeIjLj2EENS0_17counting_iteratorIjlEEPS9_SG_NS0_5tupleIJPjSI_NS0_16reverse_iteratorISI_EEEEENSH_IJSG_SG_SG_EEES9_SI_JZNS1_25segmented_radix_sort_implINS0_14default_configELb0EPKhPhPKlPlN2at6native12_GLOBAL__N_18offset_tEEE10hipError_tPvRmT1_PNSt15iterator_traitsIS12_E10value_typeET2_T3_PNS13_IS18_E10value_typeET4_jRbjT5_S1E_jjP12ihipStream_tbEUljE_ZNSN_ISO_Lb0ESQ_SR_ST_SU_SY_EESZ_S10_S11_S12_S16_S17_S18_S1B_S1C_jS1D_jS1E_S1E_jjS1G_bEUljE0_EEESZ_S10_S11_S18_S1C_S1E_T6_T7_T9_mT8_S1G_bDpT10_ENKUlT_T0_E_clISt17integral_constantIbLb1EES1T_IbLb0EEEEDaS1P_S1Q_EUlS1P_E_NS1_11comp_targetILNS1_3genE0ELNS1_11target_archE4294967295ELNS1_3gpuE0ELNS1_3repE0EEENS1_30default_config_static_selectorELNS0_4arch9wavefront6targetE0EEEvS12_.has_recursion, 0
	.set _ZN7rocprim17ROCPRIM_400000_NS6detail17trampoline_kernelINS0_13select_configILj256ELj13ELNS0_17block_load_methodE3ELS4_3ELS4_3ELNS0_20block_scan_algorithmE0ELj4294967295EEENS1_25partition_config_selectorILNS1_17partition_subalgoE4EjNS0_10empty_typeEbEEZZNS1_14partition_implILS8_4ELb0ES6_15HIP_vector_typeIjLj2EENS0_17counting_iteratorIjlEEPS9_SG_NS0_5tupleIJPjSI_NS0_16reverse_iteratorISI_EEEEENSH_IJSG_SG_SG_EEES9_SI_JZNS1_25segmented_radix_sort_implINS0_14default_configELb0EPKhPhPKlPlN2at6native12_GLOBAL__N_18offset_tEEE10hipError_tPvRmT1_PNSt15iterator_traitsIS12_E10value_typeET2_T3_PNS13_IS18_E10value_typeET4_jRbjT5_S1E_jjP12ihipStream_tbEUljE_ZNSN_ISO_Lb0ESQ_SR_ST_SU_SY_EESZ_S10_S11_S12_S16_S17_S18_S1B_S1C_jS1D_jS1E_S1E_jjS1G_bEUljE0_EEESZ_S10_S11_S18_S1C_S1E_T6_T7_T9_mT8_S1G_bDpT10_ENKUlT_T0_E_clISt17integral_constantIbLb1EES1T_IbLb0EEEEDaS1P_S1Q_EUlS1P_E_NS1_11comp_targetILNS1_3genE0ELNS1_11target_archE4294967295ELNS1_3gpuE0ELNS1_3repE0EEENS1_30default_config_static_selectorELNS0_4arch9wavefront6targetE0EEEvS12_.has_indirect_call, 0
	.section	.AMDGPU.csdata,"",@progbits
; Kernel info:
; codeLenInByte = 4
; TotalNumSgprs: 0
; NumVgprs: 0
; ScratchSize: 0
; MemoryBound: 0
; FloatMode: 240
; IeeeMode: 1
; LDSByteSize: 0 bytes/workgroup (compile time only)
; SGPRBlocks: 0
; VGPRBlocks: 0
; NumSGPRsForWavesPerEU: 1
; NumVGPRsForWavesPerEU: 1
; NamedBarCnt: 0
; Occupancy: 16
; WaveLimiterHint : 0
; COMPUTE_PGM_RSRC2:SCRATCH_EN: 0
; COMPUTE_PGM_RSRC2:USER_SGPR: 2
; COMPUTE_PGM_RSRC2:TRAP_HANDLER: 0
; COMPUTE_PGM_RSRC2:TGID_X_EN: 1
; COMPUTE_PGM_RSRC2:TGID_Y_EN: 0
; COMPUTE_PGM_RSRC2:TGID_Z_EN: 0
; COMPUTE_PGM_RSRC2:TIDIG_COMP_CNT: 0
	.section	.text._ZN7rocprim17ROCPRIM_400000_NS6detail17trampoline_kernelINS0_13select_configILj256ELj13ELNS0_17block_load_methodE3ELS4_3ELS4_3ELNS0_20block_scan_algorithmE0ELj4294967295EEENS1_25partition_config_selectorILNS1_17partition_subalgoE4EjNS0_10empty_typeEbEEZZNS1_14partition_implILS8_4ELb0ES6_15HIP_vector_typeIjLj2EENS0_17counting_iteratorIjlEEPS9_SG_NS0_5tupleIJPjSI_NS0_16reverse_iteratorISI_EEEEENSH_IJSG_SG_SG_EEES9_SI_JZNS1_25segmented_radix_sort_implINS0_14default_configELb0EPKhPhPKlPlN2at6native12_GLOBAL__N_18offset_tEEE10hipError_tPvRmT1_PNSt15iterator_traitsIS12_E10value_typeET2_T3_PNS13_IS18_E10value_typeET4_jRbjT5_S1E_jjP12ihipStream_tbEUljE_ZNSN_ISO_Lb0ESQ_SR_ST_SU_SY_EESZ_S10_S11_S12_S16_S17_S18_S1B_S1C_jS1D_jS1E_S1E_jjS1G_bEUljE0_EEESZ_S10_S11_S18_S1C_S1E_T6_T7_T9_mT8_S1G_bDpT10_ENKUlT_T0_E_clISt17integral_constantIbLb1EES1T_IbLb0EEEEDaS1P_S1Q_EUlS1P_E_NS1_11comp_targetILNS1_3genE5ELNS1_11target_archE942ELNS1_3gpuE9ELNS1_3repE0EEENS1_30default_config_static_selectorELNS0_4arch9wavefront6targetE0EEEvS12_,"axG",@progbits,_ZN7rocprim17ROCPRIM_400000_NS6detail17trampoline_kernelINS0_13select_configILj256ELj13ELNS0_17block_load_methodE3ELS4_3ELS4_3ELNS0_20block_scan_algorithmE0ELj4294967295EEENS1_25partition_config_selectorILNS1_17partition_subalgoE4EjNS0_10empty_typeEbEEZZNS1_14partition_implILS8_4ELb0ES6_15HIP_vector_typeIjLj2EENS0_17counting_iteratorIjlEEPS9_SG_NS0_5tupleIJPjSI_NS0_16reverse_iteratorISI_EEEEENSH_IJSG_SG_SG_EEES9_SI_JZNS1_25segmented_radix_sort_implINS0_14default_configELb0EPKhPhPKlPlN2at6native12_GLOBAL__N_18offset_tEEE10hipError_tPvRmT1_PNSt15iterator_traitsIS12_E10value_typeET2_T3_PNS13_IS18_E10value_typeET4_jRbjT5_S1E_jjP12ihipStream_tbEUljE_ZNSN_ISO_Lb0ESQ_SR_ST_SU_SY_EESZ_S10_S11_S12_S16_S17_S18_S1B_S1C_jS1D_jS1E_S1E_jjS1G_bEUljE0_EEESZ_S10_S11_S18_S1C_S1E_T6_T7_T9_mT8_S1G_bDpT10_ENKUlT_T0_E_clISt17integral_constantIbLb1EES1T_IbLb0EEEEDaS1P_S1Q_EUlS1P_E_NS1_11comp_targetILNS1_3genE5ELNS1_11target_archE942ELNS1_3gpuE9ELNS1_3repE0EEENS1_30default_config_static_selectorELNS0_4arch9wavefront6targetE0EEEvS12_,comdat
	.globl	_ZN7rocprim17ROCPRIM_400000_NS6detail17trampoline_kernelINS0_13select_configILj256ELj13ELNS0_17block_load_methodE3ELS4_3ELS4_3ELNS0_20block_scan_algorithmE0ELj4294967295EEENS1_25partition_config_selectorILNS1_17partition_subalgoE4EjNS0_10empty_typeEbEEZZNS1_14partition_implILS8_4ELb0ES6_15HIP_vector_typeIjLj2EENS0_17counting_iteratorIjlEEPS9_SG_NS0_5tupleIJPjSI_NS0_16reverse_iteratorISI_EEEEENSH_IJSG_SG_SG_EEES9_SI_JZNS1_25segmented_radix_sort_implINS0_14default_configELb0EPKhPhPKlPlN2at6native12_GLOBAL__N_18offset_tEEE10hipError_tPvRmT1_PNSt15iterator_traitsIS12_E10value_typeET2_T3_PNS13_IS18_E10value_typeET4_jRbjT5_S1E_jjP12ihipStream_tbEUljE_ZNSN_ISO_Lb0ESQ_SR_ST_SU_SY_EESZ_S10_S11_S12_S16_S17_S18_S1B_S1C_jS1D_jS1E_S1E_jjS1G_bEUljE0_EEESZ_S10_S11_S18_S1C_S1E_T6_T7_T9_mT8_S1G_bDpT10_ENKUlT_T0_E_clISt17integral_constantIbLb1EES1T_IbLb0EEEEDaS1P_S1Q_EUlS1P_E_NS1_11comp_targetILNS1_3genE5ELNS1_11target_archE942ELNS1_3gpuE9ELNS1_3repE0EEENS1_30default_config_static_selectorELNS0_4arch9wavefront6targetE0EEEvS12_ ; -- Begin function _ZN7rocprim17ROCPRIM_400000_NS6detail17trampoline_kernelINS0_13select_configILj256ELj13ELNS0_17block_load_methodE3ELS4_3ELS4_3ELNS0_20block_scan_algorithmE0ELj4294967295EEENS1_25partition_config_selectorILNS1_17partition_subalgoE4EjNS0_10empty_typeEbEEZZNS1_14partition_implILS8_4ELb0ES6_15HIP_vector_typeIjLj2EENS0_17counting_iteratorIjlEEPS9_SG_NS0_5tupleIJPjSI_NS0_16reverse_iteratorISI_EEEEENSH_IJSG_SG_SG_EEES9_SI_JZNS1_25segmented_radix_sort_implINS0_14default_configELb0EPKhPhPKlPlN2at6native12_GLOBAL__N_18offset_tEEE10hipError_tPvRmT1_PNSt15iterator_traitsIS12_E10value_typeET2_T3_PNS13_IS18_E10value_typeET4_jRbjT5_S1E_jjP12ihipStream_tbEUljE_ZNSN_ISO_Lb0ESQ_SR_ST_SU_SY_EESZ_S10_S11_S12_S16_S17_S18_S1B_S1C_jS1D_jS1E_S1E_jjS1G_bEUljE0_EEESZ_S10_S11_S18_S1C_S1E_T6_T7_T9_mT8_S1G_bDpT10_ENKUlT_T0_E_clISt17integral_constantIbLb1EES1T_IbLb0EEEEDaS1P_S1Q_EUlS1P_E_NS1_11comp_targetILNS1_3genE5ELNS1_11target_archE942ELNS1_3gpuE9ELNS1_3repE0EEENS1_30default_config_static_selectorELNS0_4arch9wavefront6targetE0EEEvS12_
	.p2align	8
	.type	_ZN7rocprim17ROCPRIM_400000_NS6detail17trampoline_kernelINS0_13select_configILj256ELj13ELNS0_17block_load_methodE3ELS4_3ELS4_3ELNS0_20block_scan_algorithmE0ELj4294967295EEENS1_25partition_config_selectorILNS1_17partition_subalgoE4EjNS0_10empty_typeEbEEZZNS1_14partition_implILS8_4ELb0ES6_15HIP_vector_typeIjLj2EENS0_17counting_iteratorIjlEEPS9_SG_NS0_5tupleIJPjSI_NS0_16reverse_iteratorISI_EEEEENSH_IJSG_SG_SG_EEES9_SI_JZNS1_25segmented_radix_sort_implINS0_14default_configELb0EPKhPhPKlPlN2at6native12_GLOBAL__N_18offset_tEEE10hipError_tPvRmT1_PNSt15iterator_traitsIS12_E10value_typeET2_T3_PNS13_IS18_E10value_typeET4_jRbjT5_S1E_jjP12ihipStream_tbEUljE_ZNSN_ISO_Lb0ESQ_SR_ST_SU_SY_EESZ_S10_S11_S12_S16_S17_S18_S1B_S1C_jS1D_jS1E_S1E_jjS1G_bEUljE0_EEESZ_S10_S11_S18_S1C_S1E_T6_T7_T9_mT8_S1G_bDpT10_ENKUlT_T0_E_clISt17integral_constantIbLb1EES1T_IbLb0EEEEDaS1P_S1Q_EUlS1P_E_NS1_11comp_targetILNS1_3genE5ELNS1_11target_archE942ELNS1_3gpuE9ELNS1_3repE0EEENS1_30default_config_static_selectorELNS0_4arch9wavefront6targetE0EEEvS12_,@function
_ZN7rocprim17ROCPRIM_400000_NS6detail17trampoline_kernelINS0_13select_configILj256ELj13ELNS0_17block_load_methodE3ELS4_3ELS4_3ELNS0_20block_scan_algorithmE0ELj4294967295EEENS1_25partition_config_selectorILNS1_17partition_subalgoE4EjNS0_10empty_typeEbEEZZNS1_14partition_implILS8_4ELb0ES6_15HIP_vector_typeIjLj2EENS0_17counting_iteratorIjlEEPS9_SG_NS0_5tupleIJPjSI_NS0_16reverse_iteratorISI_EEEEENSH_IJSG_SG_SG_EEES9_SI_JZNS1_25segmented_radix_sort_implINS0_14default_configELb0EPKhPhPKlPlN2at6native12_GLOBAL__N_18offset_tEEE10hipError_tPvRmT1_PNSt15iterator_traitsIS12_E10value_typeET2_T3_PNS13_IS18_E10value_typeET4_jRbjT5_S1E_jjP12ihipStream_tbEUljE_ZNSN_ISO_Lb0ESQ_SR_ST_SU_SY_EESZ_S10_S11_S12_S16_S17_S18_S1B_S1C_jS1D_jS1E_S1E_jjS1G_bEUljE0_EEESZ_S10_S11_S18_S1C_S1E_T6_T7_T9_mT8_S1G_bDpT10_ENKUlT_T0_E_clISt17integral_constantIbLb1EES1T_IbLb0EEEEDaS1P_S1Q_EUlS1P_E_NS1_11comp_targetILNS1_3genE5ELNS1_11target_archE942ELNS1_3gpuE9ELNS1_3repE0EEENS1_30default_config_static_selectorELNS0_4arch9wavefront6targetE0EEEvS12_: ; @_ZN7rocprim17ROCPRIM_400000_NS6detail17trampoline_kernelINS0_13select_configILj256ELj13ELNS0_17block_load_methodE3ELS4_3ELS4_3ELNS0_20block_scan_algorithmE0ELj4294967295EEENS1_25partition_config_selectorILNS1_17partition_subalgoE4EjNS0_10empty_typeEbEEZZNS1_14partition_implILS8_4ELb0ES6_15HIP_vector_typeIjLj2EENS0_17counting_iteratorIjlEEPS9_SG_NS0_5tupleIJPjSI_NS0_16reverse_iteratorISI_EEEEENSH_IJSG_SG_SG_EEES9_SI_JZNS1_25segmented_radix_sort_implINS0_14default_configELb0EPKhPhPKlPlN2at6native12_GLOBAL__N_18offset_tEEE10hipError_tPvRmT1_PNSt15iterator_traitsIS12_E10value_typeET2_T3_PNS13_IS18_E10value_typeET4_jRbjT5_S1E_jjP12ihipStream_tbEUljE_ZNSN_ISO_Lb0ESQ_SR_ST_SU_SY_EESZ_S10_S11_S12_S16_S17_S18_S1B_S1C_jS1D_jS1E_S1E_jjS1G_bEUljE0_EEESZ_S10_S11_S18_S1C_S1E_T6_T7_T9_mT8_S1G_bDpT10_ENKUlT_T0_E_clISt17integral_constantIbLb1EES1T_IbLb0EEEEDaS1P_S1Q_EUlS1P_E_NS1_11comp_targetILNS1_3genE5ELNS1_11target_archE942ELNS1_3gpuE9ELNS1_3repE0EEENS1_30default_config_static_selectorELNS0_4arch9wavefront6targetE0EEEvS12_
; %bb.0:
	.section	.rodata,"a",@progbits
	.p2align	6, 0x0
	.amdhsa_kernel _ZN7rocprim17ROCPRIM_400000_NS6detail17trampoline_kernelINS0_13select_configILj256ELj13ELNS0_17block_load_methodE3ELS4_3ELS4_3ELNS0_20block_scan_algorithmE0ELj4294967295EEENS1_25partition_config_selectorILNS1_17partition_subalgoE4EjNS0_10empty_typeEbEEZZNS1_14partition_implILS8_4ELb0ES6_15HIP_vector_typeIjLj2EENS0_17counting_iteratorIjlEEPS9_SG_NS0_5tupleIJPjSI_NS0_16reverse_iteratorISI_EEEEENSH_IJSG_SG_SG_EEES9_SI_JZNS1_25segmented_radix_sort_implINS0_14default_configELb0EPKhPhPKlPlN2at6native12_GLOBAL__N_18offset_tEEE10hipError_tPvRmT1_PNSt15iterator_traitsIS12_E10value_typeET2_T3_PNS13_IS18_E10value_typeET4_jRbjT5_S1E_jjP12ihipStream_tbEUljE_ZNSN_ISO_Lb0ESQ_SR_ST_SU_SY_EESZ_S10_S11_S12_S16_S17_S18_S1B_S1C_jS1D_jS1E_S1E_jjS1G_bEUljE0_EEESZ_S10_S11_S18_S1C_S1E_T6_T7_T9_mT8_S1G_bDpT10_ENKUlT_T0_E_clISt17integral_constantIbLb1EES1T_IbLb0EEEEDaS1P_S1Q_EUlS1P_E_NS1_11comp_targetILNS1_3genE5ELNS1_11target_archE942ELNS1_3gpuE9ELNS1_3repE0EEENS1_30default_config_static_selectorELNS0_4arch9wavefront6targetE0EEEvS12_
		.amdhsa_group_segment_fixed_size 0
		.amdhsa_private_segment_fixed_size 0
		.amdhsa_kernarg_size 176
		.amdhsa_user_sgpr_count 2
		.amdhsa_user_sgpr_dispatch_ptr 0
		.amdhsa_user_sgpr_queue_ptr 0
		.amdhsa_user_sgpr_kernarg_segment_ptr 1
		.amdhsa_user_sgpr_dispatch_id 0
		.amdhsa_user_sgpr_kernarg_preload_length 0
		.amdhsa_user_sgpr_kernarg_preload_offset 0
		.amdhsa_user_sgpr_private_segment_size 0
		.amdhsa_wavefront_size32 1
		.amdhsa_uses_dynamic_stack 0
		.amdhsa_enable_private_segment 0
		.amdhsa_system_sgpr_workgroup_id_x 1
		.amdhsa_system_sgpr_workgroup_id_y 0
		.amdhsa_system_sgpr_workgroup_id_z 0
		.amdhsa_system_sgpr_workgroup_info 0
		.amdhsa_system_vgpr_workitem_id 0
		.amdhsa_next_free_vgpr 1
		.amdhsa_next_free_sgpr 1
		.amdhsa_named_barrier_count 0
		.amdhsa_reserve_vcc 0
		.amdhsa_float_round_mode_32 0
		.amdhsa_float_round_mode_16_64 0
		.amdhsa_float_denorm_mode_32 3
		.amdhsa_float_denorm_mode_16_64 3
		.amdhsa_fp16_overflow 0
		.amdhsa_memory_ordered 1
		.amdhsa_forward_progress 1
		.amdhsa_inst_pref_size 0
		.amdhsa_round_robin_scheduling 0
		.amdhsa_exception_fp_ieee_invalid_op 0
		.amdhsa_exception_fp_denorm_src 0
		.amdhsa_exception_fp_ieee_div_zero 0
		.amdhsa_exception_fp_ieee_overflow 0
		.amdhsa_exception_fp_ieee_underflow 0
		.amdhsa_exception_fp_ieee_inexact 0
		.amdhsa_exception_int_div_zero 0
	.end_amdhsa_kernel
	.section	.text._ZN7rocprim17ROCPRIM_400000_NS6detail17trampoline_kernelINS0_13select_configILj256ELj13ELNS0_17block_load_methodE3ELS4_3ELS4_3ELNS0_20block_scan_algorithmE0ELj4294967295EEENS1_25partition_config_selectorILNS1_17partition_subalgoE4EjNS0_10empty_typeEbEEZZNS1_14partition_implILS8_4ELb0ES6_15HIP_vector_typeIjLj2EENS0_17counting_iteratorIjlEEPS9_SG_NS0_5tupleIJPjSI_NS0_16reverse_iteratorISI_EEEEENSH_IJSG_SG_SG_EEES9_SI_JZNS1_25segmented_radix_sort_implINS0_14default_configELb0EPKhPhPKlPlN2at6native12_GLOBAL__N_18offset_tEEE10hipError_tPvRmT1_PNSt15iterator_traitsIS12_E10value_typeET2_T3_PNS13_IS18_E10value_typeET4_jRbjT5_S1E_jjP12ihipStream_tbEUljE_ZNSN_ISO_Lb0ESQ_SR_ST_SU_SY_EESZ_S10_S11_S12_S16_S17_S18_S1B_S1C_jS1D_jS1E_S1E_jjS1G_bEUljE0_EEESZ_S10_S11_S18_S1C_S1E_T6_T7_T9_mT8_S1G_bDpT10_ENKUlT_T0_E_clISt17integral_constantIbLb1EES1T_IbLb0EEEEDaS1P_S1Q_EUlS1P_E_NS1_11comp_targetILNS1_3genE5ELNS1_11target_archE942ELNS1_3gpuE9ELNS1_3repE0EEENS1_30default_config_static_selectorELNS0_4arch9wavefront6targetE0EEEvS12_,"axG",@progbits,_ZN7rocprim17ROCPRIM_400000_NS6detail17trampoline_kernelINS0_13select_configILj256ELj13ELNS0_17block_load_methodE3ELS4_3ELS4_3ELNS0_20block_scan_algorithmE0ELj4294967295EEENS1_25partition_config_selectorILNS1_17partition_subalgoE4EjNS0_10empty_typeEbEEZZNS1_14partition_implILS8_4ELb0ES6_15HIP_vector_typeIjLj2EENS0_17counting_iteratorIjlEEPS9_SG_NS0_5tupleIJPjSI_NS0_16reverse_iteratorISI_EEEEENSH_IJSG_SG_SG_EEES9_SI_JZNS1_25segmented_radix_sort_implINS0_14default_configELb0EPKhPhPKlPlN2at6native12_GLOBAL__N_18offset_tEEE10hipError_tPvRmT1_PNSt15iterator_traitsIS12_E10value_typeET2_T3_PNS13_IS18_E10value_typeET4_jRbjT5_S1E_jjP12ihipStream_tbEUljE_ZNSN_ISO_Lb0ESQ_SR_ST_SU_SY_EESZ_S10_S11_S12_S16_S17_S18_S1B_S1C_jS1D_jS1E_S1E_jjS1G_bEUljE0_EEESZ_S10_S11_S18_S1C_S1E_T6_T7_T9_mT8_S1G_bDpT10_ENKUlT_T0_E_clISt17integral_constantIbLb1EES1T_IbLb0EEEEDaS1P_S1Q_EUlS1P_E_NS1_11comp_targetILNS1_3genE5ELNS1_11target_archE942ELNS1_3gpuE9ELNS1_3repE0EEENS1_30default_config_static_selectorELNS0_4arch9wavefront6targetE0EEEvS12_,comdat
.Lfunc_end138:
	.size	_ZN7rocprim17ROCPRIM_400000_NS6detail17trampoline_kernelINS0_13select_configILj256ELj13ELNS0_17block_load_methodE3ELS4_3ELS4_3ELNS0_20block_scan_algorithmE0ELj4294967295EEENS1_25partition_config_selectorILNS1_17partition_subalgoE4EjNS0_10empty_typeEbEEZZNS1_14partition_implILS8_4ELb0ES6_15HIP_vector_typeIjLj2EENS0_17counting_iteratorIjlEEPS9_SG_NS0_5tupleIJPjSI_NS0_16reverse_iteratorISI_EEEEENSH_IJSG_SG_SG_EEES9_SI_JZNS1_25segmented_radix_sort_implINS0_14default_configELb0EPKhPhPKlPlN2at6native12_GLOBAL__N_18offset_tEEE10hipError_tPvRmT1_PNSt15iterator_traitsIS12_E10value_typeET2_T3_PNS13_IS18_E10value_typeET4_jRbjT5_S1E_jjP12ihipStream_tbEUljE_ZNSN_ISO_Lb0ESQ_SR_ST_SU_SY_EESZ_S10_S11_S12_S16_S17_S18_S1B_S1C_jS1D_jS1E_S1E_jjS1G_bEUljE0_EEESZ_S10_S11_S18_S1C_S1E_T6_T7_T9_mT8_S1G_bDpT10_ENKUlT_T0_E_clISt17integral_constantIbLb1EES1T_IbLb0EEEEDaS1P_S1Q_EUlS1P_E_NS1_11comp_targetILNS1_3genE5ELNS1_11target_archE942ELNS1_3gpuE9ELNS1_3repE0EEENS1_30default_config_static_selectorELNS0_4arch9wavefront6targetE0EEEvS12_, .Lfunc_end138-_ZN7rocprim17ROCPRIM_400000_NS6detail17trampoline_kernelINS0_13select_configILj256ELj13ELNS0_17block_load_methodE3ELS4_3ELS4_3ELNS0_20block_scan_algorithmE0ELj4294967295EEENS1_25partition_config_selectorILNS1_17partition_subalgoE4EjNS0_10empty_typeEbEEZZNS1_14partition_implILS8_4ELb0ES6_15HIP_vector_typeIjLj2EENS0_17counting_iteratorIjlEEPS9_SG_NS0_5tupleIJPjSI_NS0_16reverse_iteratorISI_EEEEENSH_IJSG_SG_SG_EEES9_SI_JZNS1_25segmented_radix_sort_implINS0_14default_configELb0EPKhPhPKlPlN2at6native12_GLOBAL__N_18offset_tEEE10hipError_tPvRmT1_PNSt15iterator_traitsIS12_E10value_typeET2_T3_PNS13_IS18_E10value_typeET4_jRbjT5_S1E_jjP12ihipStream_tbEUljE_ZNSN_ISO_Lb0ESQ_SR_ST_SU_SY_EESZ_S10_S11_S12_S16_S17_S18_S1B_S1C_jS1D_jS1E_S1E_jjS1G_bEUljE0_EEESZ_S10_S11_S18_S1C_S1E_T6_T7_T9_mT8_S1G_bDpT10_ENKUlT_T0_E_clISt17integral_constantIbLb1EES1T_IbLb0EEEEDaS1P_S1Q_EUlS1P_E_NS1_11comp_targetILNS1_3genE5ELNS1_11target_archE942ELNS1_3gpuE9ELNS1_3repE0EEENS1_30default_config_static_selectorELNS0_4arch9wavefront6targetE0EEEvS12_
                                        ; -- End function
	.set _ZN7rocprim17ROCPRIM_400000_NS6detail17trampoline_kernelINS0_13select_configILj256ELj13ELNS0_17block_load_methodE3ELS4_3ELS4_3ELNS0_20block_scan_algorithmE0ELj4294967295EEENS1_25partition_config_selectorILNS1_17partition_subalgoE4EjNS0_10empty_typeEbEEZZNS1_14partition_implILS8_4ELb0ES6_15HIP_vector_typeIjLj2EENS0_17counting_iteratorIjlEEPS9_SG_NS0_5tupleIJPjSI_NS0_16reverse_iteratorISI_EEEEENSH_IJSG_SG_SG_EEES9_SI_JZNS1_25segmented_radix_sort_implINS0_14default_configELb0EPKhPhPKlPlN2at6native12_GLOBAL__N_18offset_tEEE10hipError_tPvRmT1_PNSt15iterator_traitsIS12_E10value_typeET2_T3_PNS13_IS18_E10value_typeET4_jRbjT5_S1E_jjP12ihipStream_tbEUljE_ZNSN_ISO_Lb0ESQ_SR_ST_SU_SY_EESZ_S10_S11_S12_S16_S17_S18_S1B_S1C_jS1D_jS1E_S1E_jjS1G_bEUljE0_EEESZ_S10_S11_S18_S1C_S1E_T6_T7_T9_mT8_S1G_bDpT10_ENKUlT_T0_E_clISt17integral_constantIbLb1EES1T_IbLb0EEEEDaS1P_S1Q_EUlS1P_E_NS1_11comp_targetILNS1_3genE5ELNS1_11target_archE942ELNS1_3gpuE9ELNS1_3repE0EEENS1_30default_config_static_selectorELNS0_4arch9wavefront6targetE0EEEvS12_.num_vgpr, 0
	.set _ZN7rocprim17ROCPRIM_400000_NS6detail17trampoline_kernelINS0_13select_configILj256ELj13ELNS0_17block_load_methodE3ELS4_3ELS4_3ELNS0_20block_scan_algorithmE0ELj4294967295EEENS1_25partition_config_selectorILNS1_17partition_subalgoE4EjNS0_10empty_typeEbEEZZNS1_14partition_implILS8_4ELb0ES6_15HIP_vector_typeIjLj2EENS0_17counting_iteratorIjlEEPS9_SG_NS0_5tupleIJPjSI_NS0_16reverse_iteratorISI_EEEEENSH_IJSG_SG_SG_EEES9_SI_JZNS1_25segmented_radix_sort_implINS0_14default_configELb0EPKhPhPKlPlN2at6native12_GLOBAL__N_18offset_tEEE10hipError_tPvRmT1_PNSt15iterator_traitsIS12_E10value_typeET2_T3_PNS13_IS18_E10value_typeET4_jRbjT5_S1E_jjP12ihipStream_tbEUljE_ZNSN_ISO_Lb0ESQ_SR_ST_SU_SY_EESZ_S10_S11_S12_S16_S17_S18_S1B_S1C_jS1D_jS1E_S1E_jjS1G_bEUljE0_EEESZ_S10_S11_S18_S1C_S1E_T6_T7_T9_mT8_S1G_bDpT10_ENKUlT_T0_E_clISt17integral_constantIbLb1EES1T_IbLb0EEEEDaS1P_S1Q_EUlS1P_E_NS1_11comp_targetILNS1_3genE5ELNS1_11target_archE942ELNS1_3gpuE9ELNS1_3repE0EEENS1_30default_config_static_selectorELNS0_4arch9wavefront6targetE0EEEvS12_.num_agpr, 0
	.set _ZN7rocprim17ROCPRIM_400000_NS6detail17trampoline_kernelINS0_13select_configILj256ELj13ELNS0_17block_load_methodE3ELS4_3ELS4_3ELNS0_20block_scan_algorithmE0ELj4294967295EEENS1_25partition_config_selectorILNS1_17partition_subalgoE4EjNS0_10empty_typeEbEEZZNS1_14partition_implILS8_4ELb0ES6_15HIP_vector_typeIjLj2EENS0_17counting_iteratorIjlEEPS9_SG_NS0_5tupleIJPjSI_NS0_16reverse_iteratorISI_EEEEENSH_IJSG_SG_SG_EEES9_SI_JZNS1_25segmented_radix_sort_implINS0_14default_configELb0EPKhPhPKlPlN2at6native12_GLOBAL__N_18offset_tEEE10hipError_tPvRmT1_PNSt15iterator_traitsIS12_E10value_typeET2_T3_PNS13_IS18_E10value_typeET4_jRbjT5_S1E_jjP12ihipStream_tbEUljE_ZNSN_ISO_Lb0ESQ_SR_ST_SU_SY_EESZ_S10_S11_S12_S16_S17_S18_S1B_S1C_jS1D_jS1E_S1E_jjS1G_bEUljE0_EEESZ_S10_S11_S18_S1C_S1E_T6_T7_T9_mT8_S1G_bDpT10_ENKUlT_T0_E_clISt17integral_constantIbLb1EES1T_IbLb0EEEEDaS1P_S1Q_EUlS1P_E_NS1_11comp_targetILNS1_3genE5ELNS1_11target_archE942ELNS1_3gpuE9ELNS1_3repE0EEENS1_30default_config_static_selectorELNS0_4arch9wavefront6targetE0EEEvS12_.numbered_sgpr, 0
	.set _ZN7rocprim17ROCPRIM_400000_NS6detail17trampoline_kernelINS0_13select_configILj256ELj13ELNS0_17block_load_methodE3ELS4_3ELS4_3ELNS0_20block_scan_algorithmE0ELj4294967295EEENS1_25partition_config_selectorILNS1_17partition_subalgoE4EjNS0_10empty_typeEbEEZZNS1_14partition_implILS8_4ELb0ES6_15HIP_vector_typeIjLj2EENS0_17counting_iteratorIjlEEPS9_SG_NS0_5tupleIJPjSI_NS0_16reverse_iteratorISI_EEEEENSH_IJSG_SG_SG_EEES9_SI_JZNS1_25segmented_radix_sort_implINS0_14default_configELb0EPKhPhPKlPlN2at6native12_GLOBAL__N_18offset_tEEE10hipError_tPvRmT1_PNSt15iterator_traitsIS12_E10value_typeET2_T3_PNS13_IS18_E10value_typeET4_jRbjT5_S1E_jjP12ihipStream_tbEUljE_ZNSN_ISO_Lb0ESQ_SR_ST_SU_SY_EESZ_S10_S11_S12_S16_S17_S18_S1B_S1C_jS1D_jS1E_S1E_jjS1G_bEUljE0_EEESZ_S10_S11_S18_S1C_S1E_T6_T7_T9_mT8_S1G_bDpT10_ENKUlT_T0_E_clISt17integral_constantIbLb1EES1T_IbLb0EEEEDaS1P_S1Q_EUlS1P_E_NS1_11comp_targetILNS1_3genE5ELNS1_11target_archE942ELNS1_3gpuE9ELNS1_3repE0EEENS1_30default_config_static_selectorELNS0_4arch9wavefront6targetE0EEEvS12_.num_named_barrier, 0
	.set _ZN7rocprim17ROCPRIM_400000_NS6detail17trampoline_kernelINS0_13select_configILj256ELj13ELNS0_17block_load_methodE3ELS4_3ELS4_3ELNS0_20block_scan_algorithmE0ELj4294967295EEENS1_25partition_config_selectorILNS1_17partition_subalgoE4EjNS0_10empty_typeEbEEZZNS1_14partition_implILS8_4ELb0ES6_15HIP_vector_typeIjLj2EENS0_17counting_iteratorIjlEEPS9_SG_NS0_5tupleIJPjSI_NS0_16reverse_iteratorISI_EEEEENSH_IJSG_SG_SG_EEES9_SI_JZNS1_25segmented_radix_sort_implINS0_14default_configELb0EPKhPhPKlPlN2at6native12_GLOBAL__N_18offset_tEEE10hipError_tPvRmT1_PNSt15iterator_traitsIS12_E10value_typeET2_T3_PNS13_IS18_E10value_typeET4_jRbjT5_S1E_jjP12ihipStream_tbEUljE_ZNSN_ISO_Lb0ESQ_SR_ST_SU_SY_EESZ_S10_S11_S12_S16_S17_S18_S1B_S1C_jS1D_jS1E_S1E_jjS1G_bEUljE0_EEESZ_S10_S11_S18_S1C_S1E_T6_T7_T9_mT8_S1G_bDpT10_ENKUlT_T0_E_clISt17integral_constantIbLb1EES1T_IbLb0EEEEDaS1P_S1Q_EUlS1P_E_NS1_11comp_targetILNS1_3genE5ELNS1_11target_archE942ELNS1_3gpuE9ELNS1_3repE0EEENS1_30default_config_static_selectorELNS0_4arch9wavefront6targetE0EEEvS12_.private_seg_size, 0
	.set _ZN7rocprim17ROCPRIM_400000_NS6detail17trampoline_kernelINS0_13select_configILj256ELj13ELNS0_17block_load_methodE3ELS4_3ELS4_3ELNS0_20block_scan_algorithmE0ELj4294967295EEENS1_25partition_config_selectorILNS1_17partition_subalgoE4EjNS0_10empty_typeEbEEZZNS1_14partition_implILS8_4ELb0ES6_15HIP_vector_typeIjLj2EENS0_17counting_iteratorIjlEEPS9_SG_NS0_5tupleIJPjSI_NS0_16reverse_iteratorISI_EEEEENSH_IJSG_SG_SG_EEES9_SI_JZNS1_25segmented_radix_sort_implINS0_14default_configELb0EPKhPhPKlPlN2at6native12_GLOBAL__N_18offset_tEEE10hipError_tPvRmT1_PNSt15iterator_traitsIS12_E10value_typeET2_T3_PNS13_IS18_E10value_typeET4_jRbjT5_S1E_jjP12ihipStream_tbEUljE_ZNSN_ISO_Lb0ESQ_SR_ST_SU_SY_EESZ_S10_S11_S12_S16_S17_S18_S1B_S1C_jS1D_jS1E_S1E_jjS1G_bEUljE0_EEESZ_S10_S11_S18_S1C_S1E_T6_T7_T9_mT8_S1G_bDpT10_ENKUlT_T0_E_clISt17integral_constantIbLb1EES1T_IbLb0EEEEDaS1P_S1Q_EUlS1P_E_NS1_11comp_targetILNS1_3genE5ELNS1_11target_archE942ELNS1_3gpuE9ELNS1_3repE0EEENS1_30default_config_static_selectorELNS0_4arch9wavefront6targetE0EEEvS12_.uses_vcc, 0
	.set _ZN7rocprim17ROCPRIM_400000_NS6detail17trampoline_kernelINS0_13select_configILj256ELj13ELNS0_17block_load_methodE3ELS4_3ELS4_3ELNS0_20block_scan_algorithmE0ELj4294967295EEENS1_25partition_config_selectorILNS1_17partition_subalgoE4EjNS0_10empty_typeEbEEZZNS1_14partition_implILS8_4ELb0ES6_15HIP_vector_typeIjLj2EENS0_17counting_iteratorIjlEEPS9_SG_NS0_5tupleIJPjSI_NS0_16reverse_iteratorISI_EEEEENSH_IJSG_SG_SG_EEES9_SI_JZNS1_25segmented_radix_sort_implINS0_14default_configELb0EPKhPhPKlPlN2at6native12_GLOBAL__N_18offset_tEEE10hipError_tPvRmT1_PNSt15iterator_traitsIS12_E10value_typeET2_T3_PNS13_IS18_E10value_typeET4_jRbjT5_S1E_jjP12ihipStream_tbEUljE_ZNSN_ISO_Lb0ESQ_SR_ST_SU_SY_EESZ_S10_S11_S12_S16_S17_S18_S1B_S1C_jS1D_jS1E_S1E_jjS1G_bEUljE0_EEESZ_S10_S11_S18_S1C_S1E_T6_T7_T9_mT8_S1G_bDpT10_ENKUlT_T0_E_clISt17integral_constantIbLb1EES1T_IbLb0EEEEDaS1P_S1Q_EUlS1P_E_NS1_11comp_targetILNS1_3genE5ELNS1_11target_archE942ELNS1_3gpuE9ELNS1_3repE0EEENS1_30default_config_static_selectorELNS0_4arch9wavefront6targetE0EEEvS12_.uses_flat_scratch, 0
	.set _ZN7rocprim17ROCPRIM_400000_NS6detail17trampoline_kernelINS0_13select_configILj256ELj13ELNS0_17block_load_methodE3ELS4_3ELS4_3ELNS0_20block_scan_algorithmE0ELj4294967295EEENS1_25partition_config_selectorILNS1_17partition_subalgoE4EjNS0_10empty_typeEbEEZZNS1_14partition_implILS8_4ELb0ES6_15HIP_vector_typeIjLj2EENS0_17counting_iteratorIjlEEPS9_SG_NS0_5tupleIJPjSI_NS0_16reverse_iteratorISI_EEEEENSH_IJSG_SG_SG_EEES9_SI_JZNS1_25segmented_radix_sort_implINS0_14default_configELb0EPKhPhPKlPlN2at6native12_GLOBAL__N_18offset_tEEE10hipError_tPvRmT1_PNSt15iterator_traitsIS12_E10value_typeET2_T3_PNS13_IS18_E10value_typeET4_jRbjT5_S1E_jjP12ihipStream_tbEUljE_ZNSN_ISO_Lb0ESQ_SR_ST_SU_SY_EESZ_S10_S11_S12_S16_S17_S18_S1B_S1C_jS1D_jS1E_S1E_jjS1G_bEUljE0_EEESZ_S10_S11_S18_S1C_S1E_T6_T7_T9_mT8_S1G_bDpT10_ENKUlT_T0_E_clISt17integral_constantIbLb1EES1T_IbLb0EEEEDaS1P_S1Q_EUlS1P_E_NS1_11comp_targetILNS1_3genE5ELNS1_11target_archE942ELNS1_3gpuE9ELNS1_3repE0EEENS1_30default_config_static_selectorELNS0_4arch9wavefront6targetE0EEEvS12_.has_dyn_sized_stack, 0
	.set _ZN7rocprim17ROCPRIM_400000_NS6detail17trampoline_kernelINS0_13select_configILj256ELj13ELNS0_17block_load_methodE3ELS4_3ELS4_3ELNS0_20block_scan_algorithmE0ELj4294967295EEENS1_25partition_config_selectorILNS1_17partition_subalgoE4EjNS0_10empty_typeEbEEZZNS1_14partition_implILS8_4ELb0ES6_15HIP_vector_typeIjLj2EENS0_17counting_iteratorIjlEEPS9_SG_NS0_5tupleIJPjSI_NS0_16reverse_iteratorISI_EEEEENSH_IJSG_SG_SG_EEES9_SI_JZNS1_25segmented_radix_sort_implINS0_14default_configELb0EPKhPhPKlPlN2at6native12_GLOBAL__N_18offset_tEEE10hipError_tPvRmT1_PNSt15iterator_traitsIS12_E10value_typeET2_T3_PNS13_IS18_E10value_typeET4_jRbjT5_S1E_jjP12ihipStream_tbEUljE_ZNSN_ISO_Lb0ESQ_SR_ST_SU_SY_EESZ_S10_S11_S12_S16_S17_S18_S1B_S1C_jS1D_jS1E_S1E_jjS1G_bEUljE0_EEESZ_S10_S11_S18_S1C_S1E_T6_T7_T9_mT8_S1G_bDpT10_ENKUlT_T0_E_clISt17integral_constantIbLb1EES1T_IbLb0EEEEDaS1P_S1Q_EUlS1P_E_NS1_11comp_targetILNS1_3genE5ELNS1_11target_archE942ELNS1_3gpuE9ELNS1_3repE0EEENS1_30default_config_static_selectorELNS0_4arch9wavefront6targetE0EEEvS12_.has_recursion, 0
	.set _ZN7rocprim17ROCPRIM_400000_NS6detail17trampoline_kernelINS0_13select_configILj256ELj13ELNS0_17block_load_methodE3ELS4_3ELS4_3ELNS0_20block_scan_algorithmE0ELj4294967295EEENS1_25partition_config_selectorILNS1_17partition_subalgoE4EjNS0_10empty_typeEbEEZZNS1_14partition_implILS8_4ELb0ES6_15HIP_vector_typeIjLj2EENS0_17counting_iteratorIjlEEPS9_SG_NS0_5tupleIJPjSI_NS0_16reverse_iteratorISI_EEEEENSH_IJSG_SG_SG_EEES9_SI_JZNS1_25segmented_radix_sort_implINS0_14default_configELb0EPKhPhPKlPlN2at6native12_GLOBAL__N_18offset_tEEE10hipError_tPvRmT1_PNSt15iterator_traitsIS12_E10value_typeET2_T3_PNS13_IS18_E10value_typeET4_jRbjT5_S1E_jjP12ihipStream_tbEUljE_ZNSN_ISO_Lb0ESQ_SR_ST_SU_SY_EESZ_S10_S11_S12_S16_S17_S18_S1B_S1C_jS1D_jS1E_S1E_jjS1G_bEUljE0_EEESZ_S10_S11_S18_S1C_S1E_T6_T7_T9_mT8_S1G_bDpT10_ENKUlT_T0_E_clISt17integral_constantIbLb1EES1T_IbLb0EEEEDaS1P_S1Q_EUlS1P_E_NS1_11comp_targetILNS1_3genE5ELNS1_11target_archE942ELNS1_3gpuE9ELNS1_3repE0EEENS1_30default_config_static_selectorELNS0_4arch9wavefront6targetE0EEEvS12_.has_indirect_call, 0
	.section	.AMDGPU.csdata,"",@progbits
; Kernel info:
; codeLenInByte = 0
; TotalNumSgprs: 0
; NumVgprs: 0
; ScratchSize: 0
; MemoryBound: 0
; FloatMode: 240
; IeeeMode: 1
; LDSByteSize: 0 bytes/workgroup (compile time only)
; SGPRBlocks: 0
; VGPRBlocks: 0
; NumSGPRsForWavesPerEU: 1
; NumVGPRsForWavesPerEU: 1
; NamedBarCnt: 0
; Occupancy: 16
; WaveLimiterHint : 0
; COMPUTE_PGM_RSRC2:SCRATCH_EN: 0
; COMPUTE_PGM_RSRC2:USER_SGPR: 2
; COMPUTE_PGM_RSRC2:TRAP_HANDLER: 0
; COMPUTE_PGM_RSRC2:TGID_X_EN: 1
; COMPUTE_PGM_RSRC2:TGID_Y_EN: 0
; COMPUTE_PGM_RSRC2:TGID_Z_EN: 0
; COMPUTE_PGM_RSRC2:TIDIG_COMP_CNT: 0
	.section	.text._ZN7rocprim17ROCPRIM_400000_NS6detail17trampoline_kernelINS0_13select_configILj256ELj13ELNS0_17block_load_methodE3ELS4_3ELS4_3ELNS0_20block_scan_algorithmE0ELj4294967295EEENS1_25partition_config_selectorILNS1_17partition_subalgoE4EjNS0_10empty_typeEbEEZZNS1_14partition_implILS8_4ELb0ES6_15HIP_vector_typeIjLj2EENS0_17counting_iteratorIjlEEPS9_SG_NS0_5tupleIJPjSI_NS0_16reverse_iteratorISI_EEEEENSH_IJSG_SG_SG_EEES9_SI_JZNS1_25segmented_radix_sort_implINS0_14default_configELb0EPKhPhPKlPlN2at6native12_GLOBAL__N_18offset_tEEE10hipError_tPvRmT1_PNSt15iterator_traitsIS12_E10value_typeET2_T3_PNS13_IS18_E10value_typeET4_jRbjT5_S1E_jjP12ihipStream_tbEUljE_ZNSN_ISO_Lb0ESQ_SR_ST_SU_SY_EESZ_S10_S11_S12_S16_S17_S18_S1B_S1C_jS1D_jS1E_S1E_jjS1G_bEUljE0_EEESZ_S10_S11_S18_S1C_S1E_T6_T7_T9_mT8_S1G_bDpT10_ENKUlT_T0_E_clISt17integral_constantIbLb1EES1T_IbLb0EEEEDaS1P_S1Q_EUlS1P_E_NS1_11comp_targetILNS1_3genE4ELNS1_11target_archE910ELNS1_3gpuE8ELNS1_3repE0EEENS1_30default_config_static_selectorELNS0_4arch9wavefront6targetE0EEEvS12_,"axG",@progbits,_ZN7rocprim17ROCPRIM_400000_NS6detail17trampoline_kernelINS0_13select_configILj256ELj13ELNS0_17block_load_methodE3ELS4_3ELS4_3ELNS0_20block_scan_algorithmE0ELj4294967295EEENS1_25partition_config_selectorILNS1_17partition_subalgoE4EjNS0_10empty_typeEbEEZZNS1_14partition_implILS8_4ELb0ES6_15HIP_vector_typeIjLj2EENS0_17counting_iteratorIjlEEPS9_SG_NS0_5tupleIJPjSI_NS0_16reverse_iteratorISI_EEEEENSH_IJSG_SG_SG_EEES9_SI_JZNS1_25segmented_radix_sort_implINS0_14default_configELb0EPKhPhPKlPlN2at6native12_GLOBAL__N_18offset_tEEE10hipError_tPvRmT1_PNSt15iterator_traitsIS12_E10value_typeET2_T3_PNS13_IS18_E10value_typeET4_jRbjT5_S1E_jjP12ihipStream_tbEUljE_ZNSN_ISO_Lb0ESQ_SR_ST_SU_SY_EESZ_S10_S11_S12_S16_S17_S18_S1B_S1C_jS1D_jS1E_S1E_jjS1G_bEUljE0_EEESZ_S10_S11_S18_S1C_S1E_T6_T7_T9_mT8_S1G_bDpT10_ENKUlT_T0_E_clISt17integral_constantIbLb1EES1T_IbLb0EEEEDaS1P_S1Q_EUlS1P_E_NS1_11comp_targetILNS1_3genE4ELNS1_11target_archE910ELNS1_3gpuE8ELNS1_3repE0EEENS1_30default_config_static_selectorELNS0_4arch9wavefront6targetE0EEEvS12_,comdat
	.globl	_ZN7rocprim17ROCPRIM_400000_NS6detail17trampoline_kernelINS0_13select_configILj256ELj13ELNS0_17block_load_methodE3ELS4_3ELS4_3ELNS0_20block_scan_algorithmE0ELj4294967295EEENS1_25partition_config_selectorILNS1_17partition_subalgoE4EjNS0_10empty_typeEbEEZZNS1_14partition_implILS8_4ELb0ES6_15HIP_vector_typeIjLj2EENS0_17counting_iteratorIjlEEPS9_SG_NS0_5tupleIJPjSI_NS0_16reverse_iteratorISI_EEEEENSH_IJSG_SG_SG_EEES9_SI_JZNS1_25segmented_radix_sort_implINS0_14default_configELb0EPKhPhPKlPlN2at6native12_GLOBAL__N_18offset_tEEE10hipError_tPvRmT1_PNSt15iterator_traitsIS12_E10value_typeET2_T3_PNS13_IS18_E10value_typeET4_jRbjT5_S1E_jjP12ihipStream_tbEUljE_ZNSN_ISO_Lb0ESQ_SR_ST_SU_SY_EESZ_S10_S11_S12_S16_S17_S18_S1B_S1C_jS1D_jS1E_S1E_jjS1G_bEUljE0_EEESZ_S10_S11_S18_S1C_S1E_T6_T7_T9_mT8_S1G_bDpT10_ENKUlT_T0_E_clISt17integral_constantIbLb1EES1T_IbLb0EEEEDaS1P_S1Q_EUlS1P_E_NS1_11comp_targetILNS1_3genE4ELNS1_11target_archE910ELNS1_3gpuE8ELNS1_3repE0EEENS1_30default_config_static_selectorELNS0_4arch9wavefront6targetE0EEEvS12_ ; -- Begin function _ZN7rocprim17ROCPRIM_400000_NS6detail17trampoline_kernelINS0_13select_configILj256ELj13ELNS0_17block_load_methodE3ELS4_3ELS4_3ELNS0_20block_scan_algorithmE0ELj4294967295EEENS1_25partition_config_selectorILNS1_17partition_subalgoE4EjNS0_10empty_typeEbEEZZNS1_14partition_implILS8_4ELb0ES6_15HIP_vector_typeIjLj2EENS0_17counting_iteratorIjlEEPS9_SG_NS0_5tupleIJPjSI_NS0_16reverse_iteratorISI_EEEEENSH_IJSG_SG_SG_EEES9_SI_JZNS1_25segmented_radix_sort_implINS0_14default_configELb0EPKhPhPKlPlN2at6native12_GLOBAL__N_18offset_tEEE10hipError_tPvRmT1_PNSt15iterator_traitsIS12_E10value_typeET2_T3_PNS13_IS18_E10value_typeET4_jRbjT5_S1E_jjP12ihipStream_tbEUljE_ZNSN_ISO_Lb0ESQ_SR_ST_SU_SY_EESZ_S10_S11_S12_S16_S17_S18_S1B_S1C_jS1D_jS1E_S1E_jjS1G_bEUljE0_EEESZ_S10_S11_S18_S1C_S1E_T6_T7_T9_mT8_S1G_bDpT10_ENKUlT_T0_E_clISt17integral_constantIbLb1EES1T_IbLb0EEEEDaS1P_S1Q_EUlS1P_E_NS1_11comp_targetILNS1_3genE4ELNS1_11target_archE910ELNS1_3gpuE8ELNS1_3repE0EEENS1_30default_config_static_selectorELNS0_4arch9wavefront6targetE0EEEvS12_
	.p2align	8
	.type	_ZN7rocprim17ROCPRIM_400000_NS6detail17trampoline_kernelINS0_13select_configILj256ELj13ELNS0_17block_load_methodE3ELS4_3ELS4_3ELNS0_20block_scan_algorithmE0ELj4294967295EEENS1_25partition_config_selectorILNS1_17partition_subalgoE4EjNS0_10empty_typeEbEEZZNS1_14partition_implILS8_4ELb0ES6_15HIP_vector_typeIjLj2EENS0_17counting_iteratorIjlEEPS9_SG_NS0_5tupleIJPjSI_NS0_16reverse_iteratorISI_EEEEENSH_IJSG_SG_SG_EEES9_SI_JZNS1_25segmented_radix_sort_implINS0_14default_configELb0EPKhPhPKlPlN2at6native12_GLOBAL__N_18offset_tEEE10hipError_tPvRmT1_PNSt15iterator_traitsIS12_E10value_typeET2_T3_PNS13_IS18_E10value_typeET4_jRbjT5_S1E_jjP12ihipStream_tbEUljE_ZNSN_ISO_Lb0ESQ_SR_ST_SU_SY_EESZ_S10_S11_S12_S16_S17_S18_S1B_S1C_jS1D_jS1E_S1E_jjS1G_bEUljE0_EEESZ_S10_S11_S18_S1C_S1E_T6_T7_T9_mT8_S1G_bDpT10_ENKUlT_T0_E_clISt17integral_constantIbLb1EES1T_IbLb0EEEEDaS1P_S1Q_EUlS1P_E_NS1_11comp_targetILNS1_3genE4ELNS1_11target_archE910ELNS1_3gpuE8ELNS1_3repE0EEENS1_30default_config_static_selectorELNS0_4arch9wavefront6targetE0EEEvS12_,@function
_ZN7rocprim17ROCPRIM_400000_NS6detail17trampoline_kernelINS0_13select_configILj256ELj13ELNS0_17block_load_methodE3ELS4_3ELS4_3ELNS0_20block_scan_algorithmE0ELj4294967295EEENS1_25partition_config_selectorILNS1_17partition_subalgoE4EjNS0_10empty_typeEbEEZZNS1_14partition_implILS8_4ELb0ES6_15HIP_vector_typeIjLj2EENS0_17counting_iteratorIjlEEPS9_SG_NS0_5tupleIJPjSI_NS0_16reverse_iteratorISI_EEEEENSH_IJSG_SG_SG_EEES9_SI_JZNS1_25segmented_radix_sort_implINS0_14default_configELb0EPKhPhPKlPlN2at6native12_GLOBAL__N_18offset_tEEE10hipError_tPvRmT1_PNSt15iterator_traitsIS12_E10value_typeET2_T3_PNS13_IS18_E10value_typeET4_jRbjT5_S1E_jjP12ihipStream_tbEUljE_ZNSN_ISO_Lb0ESQ_SR_ST_SU_SY_EESZ_S10_S11_S12_S16_S17_S18_S1B_S1C_jS1D_jS1E_S1E_jjS1G_bEUljE0_EEESZ_S10_S11_S18_S1C_S1E_T6_T7_T9_mT8_S1G_bDpT10_ENKUlT_T0_E_clISt17integral_constantIbLb1EES1T_IbLb0EEEEDaS1P_S1Q_EUlS1P_E_NS1_11comp_targetILNS1_3genE4ELNS1_11target_archE910ELNS1_3gpuE8ELNS1_3repE0EEENS1_30default_config_static_selectorELNS0_4arch9wavefront6targetE0EEEvS12_: ; @_ZN7rocprim17ROCPRIM_400000_NS6detail17trampoline_kernelINS0_13select_configILj256ELj13ELNS0_17block_load_methodE3ELS4_3ELS4_3ELNS0_20block_scan_algorithmE0ELj4294967295EEENS1_25partition_config_selectorILNS1_17partition_subalgoE4EjNS0_10empty_typeEbEEZZNS1_14partition_implILS8_4ELb0ES6_15HIP_vector_typeIjLj2EENS0_17counting_iteratorIjlEEPS9_SG_NS0_5tupleIJPjSI_NS0_16reverse_iteratorISI_EEEEENSH_IJSG_SG_SG_EEES9_SI_JZNS1_25segmented_radix_sort_implINS0_14default_configELb0EPKhPhPKlPlN2at6native12_GLOBAL__N_18offset_tEEE10hipError_tPvRmT1_PNSt15iterator_traitsIS12_E10value_typeET2_T3_PNS13_IS18_E10value_typeET4_jRbjT5_S1E_jjP12ihipStream_tbEUljE_ZNSN_ISO_Lb0ESQ_SR_ST_SU_SY_EESZ_S10_S11_S12_S16_S17_S18_S1B_S1C_jS1D_jS1E_S1E_jjS1G_bEUljE0_EEESZ_S10_S11_S18_S1C_S1E_T6_T7_T9_mT8_S1G_bDpT10_ENKUlT_T0_E_clISt17integral_constantIbLb1EES1T_IbLb0EEEEDaS1P_S1Q_EUlS1P_E_NS1_11comp_targetILNS1_3genE4ELNS1_11target_archE910ELNS1_3gpuE8ELNS1_3repE0EEENS1_30default_config_static_selectorELNS0_4arch9wavefront6targetE0EEEvS12_
; %bb.0:
	.section	.rodata,"a",@progbits
	.p2align	6, 0x0
	.amdhsa_kernel _ZN7rocprim17ROCPRIM_400000_NS6detail17trampoline_kernelINS0_13select_configILj256ELj13ELNS0_17block_load_methodE3ELS4_3ELS4_3ELNS0_20block_scan_algorithmE0ELj4294967295EEENS1_25partition_config_selectorILNS1_17partition_subalgoE4EjNS0_10empty_typeEbEEZZNS1_14partition_implILS8_4ELb0ES6_15HIP_vector_typeIjLj2EENS0_17counting_iteratorIjlEEPS9_SG_NS0_5tupleIJPjSI_NS0_16reverse_iteratorISI_EEEEENSH_IJSG_SG_SG_EEES9_SI_JZNS1_25segmented_radix_sort_implINS0_14default_configELb0EPKhPhPKlPlN2at6native12_GLOBAL__N_18offset_tEEE10hipError_tPvRmT1_PNSt15iterator_traitsIS12_E10value_typeET2_T3_PNS13_IS18_E10value_typeET4_jRbjT5_S1E_jjP12ihipStream_tbEUljE_ZNSN_ISO_Lb0ESQ_SR_ST_SU_SY_EESZ_S10_S11_S12_S16_S17_S18_S1B_S1C_jS1D_jS1E_S1E_jjS1G_bEUljE0_EEESZ_S10_S11_S18_S1C_S1E_T6_T7_T9_mT8_S1G_bDpT10_ENKUlT_T0_E_clISt17integral_constantIbLb1EES1T_IbLb0EEEEDaS1P_S1Q_EUlS1P_E_NS1_11comp_targetILNS1_3genE4ELNS1_11target_archE910ELNS1_3gpuE8ELNS1_3repE0EEENS1_30default_config_static_selectorELNS0_4arch9wavefront6targetE0EEEvS12_
		.amdhsa_group_segment_fixed_size 0
		.amdhsa_private_segment_fixed_size 0
		.amdhsa_kernarg_size 176
		.amdhsa_user_sgpr_count 2
		.amdhsa_user_sgpr_dispatch_ptr 0
		.amdhsa_user_sgpr_queue_ptr 0
		.amdhsa_user_sgpr_kernarg_segment_ptr 1
		.amdhsa_user_sgpr_dispatch_id 0
		.amdhsa_user_sgpr_kernarg_preload_length 0
		.amdhsa_user_sgpr_kernarg_preload_offset 0
		.amdhsa_user_sgpr_private_segment_size 0
		.amdhsa_wavefront_size32 1
		.amdhsa_uses_dynamic_stack 0
		.amdhsa_enable_private_segment 0
		.amdhsa_system_sgpr_workgroup_id_x 1
		.amdhsa_system_sgpr_workgroup_id_y 0
		.amdhsa_system_sgpr_workgroup_id_z 0
		.amdhsa_system_sgpr_workgroup_info 0
		.amdhsa_system_vgpr_workitem_id 0
		.amdhsa_next_free_vgpr 1
		.amdhsa_next_free_sgpr 1
		.amdhsa_named_barrier_count 0
		.amdhsa_reserve_vcc 0
		.amdhsa_float_round_mode_32 0
		.amdhsa_float_round_mode_16_64 0
		.amdhsa_float_denorm_mode_32 3
		.amdhsa_float_denorm_mode_16_64 3
		.amdhsa_fp16_overflow 0
		.amdhsa_memory_ordered 1
		.amdhsa_forward_progress 1
		.amdhsa_inst_pref_size 0
		.amdhsa_round_robin_scheduling 0
		.amdhsa_exception_fp_ieee_invalid_op 0
		.amdhsa_exception_fp_denorm_src 0
		.amdhsa_exception_fp_ieee_div_zero 0
		.amdhsa_exception_fp_ieee_overflow 0
		.amdhsa_exception_fp_ieee_underflow 0
		.amdhsa_exception_fp_ieee_inexact 0
		.amdhsa_exception_int_div_zero 0
	.end_amdhsa_kernel
	.section	.text._ZN7rocprim17ROCPRIM_400000_NS6detail17trampoline_kernelINS0_13select_configILj256ELj13ELNS0_17block_load_methodE3ELS4_3ELS4_3ELNS0_20block_scan_algorithmE0ELj4294967295EEENS1_25partition_config_selectorILNS1_17partition_subalgoE4EjNS0_10empty_typeEbEEZZNS1_14partition_implILS8_4ELb0ES6_15HIP_vector_typeIjLj2EENS0_17counting_iteratorIjlEEPS9_SG_NS0_5tupleIJPjSI_NS0_16reverse_iteratorISI_EEEEENSH_IJSG_SG_SG_EEES9_SI_JZNS1_25segmented_radix_sort_implINS0_14default_configELb0EPKhPhPKlPlN2at6native12_GLOBAL__N_18offset_tEEE10hipError_tPvRmT1_PNSt15iterator_traitsIS12_E10value_typeET2_T3_PNS13_IS18_E10value_typeET4_jRbjT5_S1E_jjP12ihipStream_tbEUljE_ZNSN_ISO_Lb0ESQ_SR_ST_SU_SY_EESZ_S10_S11_S12_S16_S17_S18_S1B_S1C_jS1D_jS1E_S1E_jjS1G_bEUljE0_EEESZ_S10_S11_S18_S1C_S1E_T6_T7_T9_mT8_S1G_bDpT10_ENKUlT_T0_E_clISt17integral_constantIbLb1EES1T_IbLb0EEEEDaS1P_S1Q_EUlS1P_E_NS1_11comp_targetILNS1_3genE4ELNS1_11target_archE910ELNS1_3gpuE8ELNS1_3repE0EEENS1_30default_config_static_selectorELNS0_4arch9wavefront6targetE0EEEvS12_,"axG",@progbits,_ZN7rocprim17ROCPRIM_400000_NS6detail17trampoline_kernelINS0_13select_configILj256ELj13ELNS0_17block_load_methodE3ELS4_3ELS4_3ELNS0_20block_scan_algorithmE0ELj4294967295EEENS1_25partition_config_selectorILNS1_17partition_subalgoE4EjNS0_10empty_typeEbEEZZNS1_14partition_implILS8_4ELb0ES6_15HIP_vector_typeIjLj2EENS0_17counting_iteratorIjlEEPS9_SG_NS0_5tupleIJPjSI_NS0_16reverse_iteratorISI_EEEEENSH_IJSG_SG_SG_EEES9_SI_JZNS1_25segmented_radix_sort_implINS0_14default_configELb0EPKhPhPKlPlN2at6native12_GLOBAL__N_18offset_tEEE10hipError_tPvRmT1_PNSt15iterator_traitsIS12_E10value_typeET2_T3_PNS13_IS18_E10value_typeET4_jRbjT5_S1E_jjP12ihipStream_tbEUljE_ZNSN_ISO_Lb0ESQ_SR_ST_SU_SY_EESZ_S10_S11_S12_S16_S17_S18_S1B_S1C_jS1D_jS1E_S1E_jjS1G_bEUljE0_EEESZ_S10_S11_S18_S1C_S1E_T6_T7_T9_mT8_S1G_bDpT10_ENKUlT_T0_E_clISt17integral_constantIbLb1EES1T_IbLb0EEEEDaS1P_S1Q_EUlS1P_E_NS1_11comp_targetILNS1_3genE4ELNS1_11target_archE910ELNS1_3gpuE8ELNS1_3repE0EEENS1_30default_config_static_selectorELNS0_4arch9wavefront6targetE0EEEvS12_,comdat
.Lfunc_end139:
	.size	_ZN7rocprim17ROCPRIM_400000_NS6detail17trampoline_kernelINS0_13select_configILj256ELj13ELNS0_17block_load_methodE3ELS4_3ELS4_3ELNS0_20block_scan_algorithmE0ELj4294967295EEENS1_25partition_config_selectorILNS1_17partition_subalgoE4EjNS0_10empty_typeEbEEZZNS1_14partition_implILS8_4ELb0ES6_15HIP_vector_typeIjLj2EENS0_17counting_iteratorIjlEEPS9_SG_NS0_5tupleIJPjSI_NS0_16reverse_iteratorISI_EEEEENSH_IJSG_SG_SG_EEES9_SI_JZNS1_25segmented_radix_sort_implINS0_14default_configELb0EPKhPhPKlPlN2at6native12_GLOBAL__N_18offset_tEEE10hipError_tPvRmT1_PNSt15iterator_traitsIS12_E10value_typeET2_T3_PNS13_IS18_E10value_typeET4_jRbjT5_S1E_jjP12ihipStream_tbEUljE_ZNSN_ISO_Lb0ESQ_SR_ST_SU_SY_EESZ_S10_S11_S12_S16_S17_S18_S1B_S1C_jS1D_jS1E_S1E_jjS1G_bEUljE0_EEESZ_S10_S11_S18_S1C_S1E_T6_T7_T9_mT8_S1G_bDpT10_ENKUlT_T0_E_clISt17integral_constantIbLb1EES1T_IbLb0EEEEDaS1P_S1Q_EUlS1P_E_NS1_11comp_targetILNS1_3genE4ELNS1_11target_archE910ELNS1_3gpuE8ELNS1_3repE0EEENS1_30default_config_static_selectorELNS0_4arch9wavefront6targetE0EEEvS12_, .Lfunc_end139-_ZN7rocprim17ROCPRIM_400000_NS6detail17trampoline_kernelINS0_13select_configILj256ELj13ELNS0_17block_load_methodE3ELS4_3ELS4_3ELNS0_20block_scan_algorithmE0ELj4294967295EEENS1_25partition_config_selectorILNS1_17partition_subalgoE4EjNS0_10empty_typeEbEEZZNS1_14partition_implILS8_4ELb0ES6_15HIP_vector_typeIjLj2EENS0_17counting_iteratorIjlEEPS9_SG_NS0_5tupleIJPjSI_NS0_16reverse_iteratorISI_EEEEENSH_IJSG_SG_SG_EEES9_SI_JZNS1_25segmented_radix_sort_implINS0_14default_configELb0EPKhPhPKlPlN2at6native12_GLOBAL__N_18offset_tEEE10hipError_tPvRmT1_PNSt15iterator_traitsIS12_E10value_typeET2_T3_PNS13_IS18_E10value_typeET4_jRbjT5_S1E_jjP12ihipStream_tbEUljE_ZNSN_ISO_Lb0ESQ_SR_ST_SU_SY_EESZ_S10_S11_S12_S16_S17_S18_S1B_S1C_jS1D_jS1E_S1E_jjS1G_bEUljE0_EEESZ_S10_S11_S18_S1C_S1E_T6_T7_T9_mT8_S1G_bDpT10_ENKUlT_T0_E_clISt17integral_constantIbLb1EES1T_IbLb0EEEEDaS1P_S1Q_EUlS1P_E_NS1_11comp_targetILNS1_3genE4ELNS1_11target_archE910ELNS1_3gpuE8ELNS1_3repE0EEENS1_30default_config_static_selectorELNS0_4arch9wavefront6targetE0EEEvS12_
                                        ; -- End function
	.set _ZN7rocprim17ROCPRIM_400000_NS6detail17trampoline_kernelINS0_13select_configILj256ELj13ELNS0_17block_load_methodE3ELS4_3ELS4_3ELNS0_20block_scan_algorithmE0ELj4294967295EEENS1_25partition_config_selectorILNS1_17partition_subalgoE4EjNS0_10empty_typeEbEEZZNS1_14partition_implILS8_4ELb0ES6_15HIP_vector_typeIjLj2EENS0_17counting_iteratorIjlEEPS9_SG_NS0_5tupleIJPjSI_NS0_16reverse_iteratorISI_EEEEENSH_IJSG_SG_SG_EEES9_SI_JZNS1_25segmented_radix_sort_implINS0_14default_configELb0EPKhPhPKlPlN2at6native12_GLOBAL__N_18offset_tEEE10hipError_tPvRmT1_PNSt15iterator_traitsIS12_E10value_typeET2_T3_PNS13_IS18_E10value_typeET4_jRbjT5_S1E_jjP12ihipStream_tbEUljE_ZNSN_ISO_Lb0ESQ_SR_ST_SU_SY_EESZ_S10_S11_S12_S16_S17_S18_S1B_S1C_jS1D_jS1E_S1E_jjS1G_bEUljE0_EEESZ_S10_S11_S18_S1C_S1E_T6_T7_T9_mT8_S1G_bDpT10_ENKUlT_T0_E_clISt17integral_constantIbLb1EES1T_IbLb0EEEEDaS1P_S1Q_EUlS1P_E_NS1_11comp_targetILNS1_3genE4ELNS1_11target_archE910ELNS1_3gpuE8ELNS1_3repE0EEENS1_30default_config_static_selectorELNS0_4arch9wavefront6targetE0EEEvS12_.num_vgpr, 0
	.set _ZN7rocprim17ROCPRIM_400000_NS6detail17trampoline_kernelINS0_13select_configILj256ELj13ELNS0_17block_load_methodE3ELS4_3ELS4_3ELNS0_20block_scan_algorithmE0ELj4294967295EEENS1_25partition_config_selectorILNS1_17partition_subalgoE4EjNS0_10empty_typeEbEEZZNS1_14partition_implILS8_4ELb0ES6_15HIP_vector_typeIjLj2EENS0_17counting_iteratorIjlEEPS9_SG_NS0_5tupleIJPjSI_NS0_16reverse_iteratorISI_EEEEENSH_IJSG_SG_SG_EEES9_SI_JZNS1_25segmented_radix_sort_implINS0_14default_configELb0EPKhPhPKlPlN2at6native12_GLOBAL__N_18offset_tEEE10hipError_tPvRmT1_PNSt15iterator_traitsIS12_E10value_typeET2_T3_PNS13_IS18_E10value_typeET4_jRbjT5_S1E_jjP12ihipStream_tbEUljE_ZNSN_ISO_Lb0ESQ_SR_ST_SU_SY_EESZ_S10_S11_S12_S16_S17_S18_S1B_S1C_jS1D_jS1E_S1E_jjS1G_bEUljE0_EEESZ_S10_S11_S18_S1C_S1E_T6_T7_T9_mT8_S1G_bDpT10_ENKUlT_T0_E_clISt17integral_constantIbLb1EES1T_IbLb0EEEEDaS1P_S1Q_EUlS1P_E_NS1_11comp_targetILNS1_3genE4ELNS1_11target_archE910ELNS1_3gpuE8ELNS1_3repE0EEENS1_30default_config_static_selectorELNS0_4arch9wavefront6targetE0EEEvS12_.num_agpr, 0
	.set _ZN7rocprim17ROCPRIM_400000_NS6detail17trampoline_kernelINS0_13select_configILj256ELj13ELNS0_17block_load_methodE3ELS4_3ELS4_3ELNS0_20block_scan_algorithmE0ELj4294967295EEENS1_25partition_config_selectorILNS1_17partition_subalgoE4EjNS0_10empty_typeEbEEZZNS1_14partition_implILS8_4ELb0ES6_15HIP_vector_typeIjLj2EENS0_17counting_iteratorIjlEEPS9_SG_NS0_5tupleIJPjSI_NS0_16reverse_iteratorISI_EEEEENSH_IJSG_SG_SG_EEES9_SI_JZNS1_25segmented_radix_sort_implINS0_14default_configELb0EPKhPhPKlPlN2at6native12_GLOBAL__N_18offset_tEEE10hipError_tPvRmT1_PNSt15iterator_traitsIS12_E10value_typeET2_T3_PNS13_IS18_E10value_typeET4_jRbjT5_S1E_jjP12ihipStream_tbEUljE_ZNSN_ISO_Lb0ESQ_SR_ST_SU_SY_EESZ_S10_S11_S12_S16_S17_S18_S1B_S1C_jS1D_jS1E_S1E_jjS1G_bEUljE0_EEESZ_S10_S11_S18_S1C_S1E_T6_T7_T9_mT8_S1G_bDpT10_ENKUlT_T0_E_clISt17integral_constantIbLb1EES1T_IbLb0EEEEDaS1P_S1Q_EUlS1P_E_NS1_11comp_targetILNS1_3genE4ELNS1_11target_archE910ELNS1_3gpuE8ELNS1_3repE0EEENS1_30default_config_static_selectorELNS0_4arch9wavefront6targetE0EEEvS12_.numbered_sgpr, 0
	.set _ZN7rocprim17ROCPRIM_400000_NS6detail17trampoline_kernelINS0_13select_configILj256ELj13ELNS0_17block_load_methodE3ELS4_3ELS4_3ELNS0_20block_scan_algorithmE0ELj4294967295EEENS1_25partition_config_selectorILNS1_17partition_subalgoE4EjNS0_10empty_typeEbEEZZNS1_14partition_implILS8_4ELb0ES6_15HIP_vector_typeIjLj2EENS0_17counting_iteratorIjlEEPS9_SG_NS0_5tupleIJPjSI_NS0_16reverse_iteratorISI_EEEEENSH_IJSG_SG_SG_EEES9_SI_JZNS1_25segmented_radix_sort_implINS0_14default_configELb0EPKhPhPKlPlN2at6native12_GLOBAL__N_18offset_tEEE10hipError_tPvRmT1_PNSt15iterator_traitsIS12_E10value_typeET2_T3_PNS13_IS18_E10value_typeET4_jRbjT5_S1E_jjP12ihipStream_tbEUljE_ZNSN_ISO_Lb0ESQ_SR_ST_SU_SY_EESZ_S10_S11_S12_S16_S17_S18_S1B_S1C_jS1D_jS1E_S1E_jjS1G_bEUljE0_EEESZ_S10_S11_S18_S1C_S1E_T6_T7_T9_mT8_S1G_bDpT10_ENKUlT_T0_E_clISt17integral_constantIbLb1EES1T_IbLb0EEEEDaS1P_S1Q_EUlS1P_E_NS1_11comp_targetILNS1_3genE4ELNS1_11target_archE910ELNS1_3gpuE8ELNS1_3repE0EEENS1_30default_config_static_selectorELNS0_4arch9wavefront6targetE0EEEvS12_.num_named_barrier, 0
	.set _ZN7rocprim17ROCPRIM_400000_NS6detail17trampoline_kernelINS0_13select_configILj256ELj13ELNS0_17block_load_methodE3ELS4_3ELS4_3ELNS0_20block_scan_algorithmE0ELj4294967295EEENS1_25partition_config_selectorILNS1_17partition_subalgoE4EjNS0_10empty_typeEbEEZZNS1_14partition_implILS8_4ELb0ES6_15HIP_vector_typeIjLj2EENS0_17counting_iteratorIjlEEPS9_SG_NS0_5tupleIJPjSI_NS0_16reverse_iteratorISI_EEEEENSH_IJSG_SG_SG_EEES9_SI_JZNS1_25segmented_radix_sort_implINS0_14default_configELb0EPKhPhPKlPlN2at6native12_GLOBAL__N_18offset_tEEE10hipError_tPvRmT1_PNSt15iterator_traitsIS12_E10value_typeET2_T3_PNS13_IS18_E10value_typeET4_jRbjT5_S1E_jjP12ihipStream_tbEUljE_ZNSN_ISO_Lb0ESQ_SR_ST_SU_SY_EESZ_S10_S11_S12_S16_S17_S18_S1B_S1C_jS1D_jS1E_S1E_jjS1G_bEUljE0_EEESZ_S10_S11_S18_S1C_S1E_T6_T7_T9_mT8_S1G_bDpT10_ENKUlT_T0_E_clISt17integral_constantIbLb1EES1T_IbLb0EEEEDaS1P_S1Q_EUlS1P_E_NS1_11comp_targetILNS1_3genE4ELNS1_11target_archE910ELNS1_3gpuE8ELNS1_3repE0EEENS1_30default_config_static_selectorELNS0_4arch9wavefront6targetE0EEEvS12_.private_seg_size, 0
	.set _ZN7rocprim17ROCPRIM_400000_NS6detail17trampoline_kernelINS0_13select_configILj256ELj13ELNS0_17block_load_methodE3ELS4_3ELS4_3ELNS0_20block_scan_algorithmE0ELj4294967295EEENS1_25partition_config_selectorILNS1_17partition_subalgoE4EjNS0_10empty_typeEbEEZZNS1_14partition_implILS8_4ELb0ES6_15HIP_vector_typeIjLj2EENS0_17counting_iteratorIjlEEPS9_SG_NS0_5tupleIJPjSI_NS0_16reverse_iteratorISI_EEEEENSH_IJSG_SG_SG_EEES9_SI_JZNS1_25segmented_radix_sort_implINS0_14default_configELb0EPKhPhPKlPlN2at6native12_GLOBAL__N_18offset_tEEE10hipError_tPvRmT1_PNSt15iterator_traitsIS12_E10value_typeET2_T3_PNS13_IS18_E10value_typeET4_jRbjT5_S1E_jjP12ihipStream_tbEUljE_ZNSN_ISO_Lb0ESQ_SR_ST_SU_SY_EESZ_S10_S11_S12_S16_S17_S18_S1B_S1C_jS1D_jS1E_S1E_jjS1G_bEUljE0_EEESZ_S10_S11_S18_S1C_S1E_T6_T7_T9_mT8_S1G_bDpT10_ENKUlT_T0_E_clISt17integral_constantIbLb1EES1T_IbLb0EEEEDaS1P_S1Q_EUlS1P_E_NS1_11comp_targetILNS1_3genE4ELNS1_11target_archE910ELNS1_3gpuE8ELNS1_3repE0EEENS1_30default_config_static_selectorELNS0_4arch9wavefront6targetE0EEEvS12_.uses_vcc, 0
	.set _ZN7rocprim17ROCPRIM_400000_NS6detail17trampoline_kernelINS0_13select_configILj256ELj13ELNS0_17block_load_methodE3ELS4_3ELS4_3ELNS0_20block_scan_algorithmE0ELj4294967295EEENS1_25partition_config_selectorILNS1_17partition_subalgoE4EjNS0_10empty_typeEbEEZZNS1_14partition_implILS8_4ELb0ES6_15HIP_vector_typeIjLj2EENS0_17counting_iteratorIjlEEPS9_SG_NS0_5tupleIJPjSI_NS0_16reverse_iteratorISI_EEEEENSH_IJSG_SG_SG_EEES9_SI_JZNS1_25segmented_radix_sort_implINS0_14default_configELb0EPKhPhPKlPlN2at6native12_GLOBAL__N_18offset_tEEE10hipError_tPvRmT1_PNSt15iterator_traitsIS12_E10value_typeET2_T3_PNS13_IS18_E10value_typeET4_jRbjT5_S1E_jjP12ihipStream_tbEUljE_ZNSN_ISO_Lb0ESQ_SR_ST_SU_SY_EESZ_S10_S11_S12_S16_S17_S18_S1B_S1C_jS1D_jS1E_S1E_jjS1G_bEUljE0_EEESZ_S10_S11_S18_S1C_S1E_T6_T7_T9_mT8_S1G_bDpT10_ENKUlT_T0_E_clISt17integral_constantIbLb1EES1T_IbLb0EEEEDaS1P_S1Q_EUlS1P_E_NS1_11comp_targetILNS1_3genE4ELNS1_11target_archE910ELNS1_3gpuE8ELNS1_3repE0EEENS1_30default_config_static_selectorELNS0_4arch9wavefront6targetE0EEEvS12_.uses_flat_scratch, 0
	.set _ZN7rocprim17ROCPRIM_400000_NS6detail17trampoline_kernelINS0_13select_configILj256ELj13ELNS0_17block_load_methodE3ELS4_3ELS4_3ELNS0_20block_scan_algorithmE0ELj4294967295EEENS1_25partition_config_selectorILNS1_17partition_subalgoE4EjNS0_10empty_typeEbEEZZNS1_14partition_implILS8_4ELb0ES6_15HIP_vector_typeIjLj2EENS0_17counting_iteratorIjlEEPS9_SG_NS0_5tupleIJPjSI_NS0_16reverse_iteratorISI_EEEEENSH_IJSG_SG_SG_EEES9_SI_JZNS1_25segmented_radix_sort_implINS0_14default_configELb0EPKhPhPKlPlN2at6native12_GLOBAL__N_18offset_tEEE10hipError_tPvRmT1_PNSt15iterator_traitsIS12_E10value_typeET2_T3_PNS13_IS18_E10value_typeET4_jRbjT5_S1E_jjP12ihipStream_tbEUljE_ZNSN_ISO_Lb0ESQ_SR_ST_SU_SY_EESZ_S10_S11_S12_S16_S17_S18_S1B_S1C_jS1D_jS1E_S1E_jjS1G_bEUljE0_EEESZ_S10_S11_S18_S1C_S1E_T6_T7_T9_mT8_S1G_bDpT10_ENKUlT_T0_E_clISt17integral_constantIbLb1EES1T_IbLb0EEEEDaS1P_S1Q_EUlS1P_E_NS1_11comp_targetILNS1_3genE4ELNS1_11target_archE910ELNS1_3gpuE8ELNS1_3repE0EEENS1_30default_config_static_selectorELNS0_4arch9wavefront6targetE0EEEvS12_.has_dyn_sized_stack, 0
	.set _ZN7rocprim17ROCPRIM_400000_NS6detail17trampoline_kernelINS0_13select_configILj256ELj13ELNS0_17block_load_methodE3ELS4_3ELS4_3ELNS0_20block_scan_algorithmE0ELj4294967295EEENS1_25partition_config_selectorILNS1_17partition_subalgoE4EjNS0_10empty_typeEbEEZZNS1_14partition_implILS8_4ELb0ES6_15HIP_vector_typeIjLj2EENS0_17counting_iteratorIjlEEPS9_SG_NS0_5tupleIJPjSI_NS0_16reverse_iteratorISI_EEEEENSH_IJSG_SG_SG_EEES9_SI_JZNS1_25segmented_radix_sort_implINS0_14default_configELb0EPKhPhPKlPlN2at6native12_GLOBAL__N_18offset_tEEE10hipError_tPvRmT1_PNSt15iterator_traitsIS12_E10value_typeET2_T3_PNS13_IS18_E10value_typeET4_jRbjT5_S1E_jjP12ihipStream_tbEUljE_ZNSN_ISO_Lb0ESQ_SR_ST_SU_SY_EESZ_S10_S11_S12_S16_S17_S18_S1B_S1C_jS1D_jS1E_S1E_jjS1G_bEUljE0_EEESZ_S10_S11_S18_S1C_S1E_T6_T7_T9_mT8_S1G_bDpT10_ENKUlT_T0_E_clISt17integral_constantIbLb1EES1T_IbLb0EEEEDaS1P_S1Q_EUlS1P_E_NS1_11comp_targetILNS1_3genE4ELNS1_11target_archE910ELNS1_3gpuE8ELNS1_3repE0EEENS1_30default_config_static_selectorELNS0_4arch9wavefront6targetE0EEEvS12_.has_recursion, 0
	.set _ZN7rocprim17ROCPRIM_400000_NS6detail17trampoline_kernelINS0_13select_configILj256ELj13ELNS0_17block_load_methodE3ELS4_3ELS4_3ELNS0_20block_scan_algorithmE0ELj4294967295EEENS1_25partition_config_selectorILNS1_17partition_subalgoE4EjNS0_10empty_typeEbEEZZNS1_14partition_implILS8_4ELb0ES6_15HIP_vector_typeIjLj2EENS0_17counting_iteratorIjlEEPS9_SG_NS0_5tupleIJPjSI_NS0_16reverse_iteratorISI_EEEEENSH_IJSG_SG_SG_EEES9_SI_JZNS1_25segmented_radix_sort_implINS0_14default_configELb0EPKhPhPKlPlN2at6native12_GLOBAL__N_18offset_tEEE10hipError_tPvRmT1_PNSt15iterator_traitsIS12_E10value_typeET2_T3_PNS13_IS18_E10value_typeET4_jRbjT5_S1E_jjP12ihipStream_tbEUljE_ZNSN_ISO_Lb0ESQ_SR_ST_SU_SY_EESZ_S10_S11_S12_S16_S17_S18_S1B_S1C_jS1D_jS1E_S1E_jjS1G_bEUljE0_EEESZ_S10_S11_S18_S1C_S1E_T6_T7_T9_mT8_S1G_bDpT10_ENKUlT_T0_E_clISt17integral_constantIbLb1EES1T_IbLb0EEEEDaS1P_S1Q_EUlS1P_E_NS1_11comp_targetILNS1_3genE4ELNS1_11target_archE910ELNS1_3gpuE8ELNS1_3repE0EEENS1_30default_config_static_selectorELNS0_4arch9wavefront6targetE0EEEvS12_.has_indirect_call, 0
	.section	.AMDGPU.csdata,"",@progbits
; Kernel info:
; codeLenInByte = 0
; TotalNumSgprs: 0
; NumVgprs: 0
; ScratchSize: 0
; MemoryBound: 0
; FloatMode: 240
; IeeeMode: 1
; LDSByteSize: 0 bytes/workgroup (compile time only)
; SGPRBlocks: 0
; VGPRBlocks: 0
; NumSGPRsForWavesPerEU: 1
; NumVGPRsForWavesPerEU: 1
; NamedBarCnt: 0
; Occupancy: 16
; WaveLimiterHint : 0
; COMPUTE_PGM_RSRC2:SCRATCH_EN: 0
; COMPUTE_PGM_RSRC2:USER_SGPR: 2
; COMPUTE_PGM_RSRC2:TRAP_HANDLER: 0
; COMPUTE_PGM_RSRC2:TGID_X_EN: 1
; COMPUTE_PGM_RSRC2:TGID_Y_EN: 0
; COMPUTE_PGM_RSRC2:TGID_Z_EN: 0
; COMPUTE_PGM_RSRC2:TIDIG_COMP_CNT: 0
	.section	.text._ZN7rocprim17ROCPRIM_400000_NS6detail17trampoline_kernelINS0_13select_configILj256ELj13ELNS0_17block_load_methodE3ELS4_3ELS4_3ELNS0_20block_scan_algorithmE0ELj4294967295EEENS1_25partition_config_selectorILNS1_17partition_subalgoE4EjNS0_10empty_typeEbEEZZNS1_14partition_implILS8_4ELb0ES6_15HIP_vector_typeIjLj2EENS0_17counting_iteratorIjlEEPS9_SG_NS0_5tupleIJPjSI_NS0_16reverse_iteratorISI_EEEEENSH_IJSG_SG_SG_EEES9_SI_JZNS1_25segmented_radix_sort_implINS0_14default_configELb0EPKhPhPKlPlN2at6native12_GLOBAL__N_18offset_tEEE10hipError_tPvRmT1_PNSt15iterator_traitsIS12_E10value_typeET2_T3_PNS13_IS18_E10value_typeET4_jRbjT5_S1E_jjP12ihipStream_tbEUljE_ZNSN_ISO_Lb0ESQ_SR_ST_SU_SY_EESZ_S10_S11_S12_S16_S17_S18_S1B_S1C_jS1D_jS1E_S1E_jjS1G_bEUljE0_EEESZ_S10_S11_S18_S1C_S1E_T6_T7_T9_mT8_S1G_bDpT10_ENKUlT_T0_E_clISt17integral_constantIbLb1EES1T_IbLb0EEEEDaS1P_S1Q_EUlS1P_E_NS1_11comp_targetILNS1_3genE3ELNS1_11target_archE908ELNS1_3gpuE7ELNS1_3repE0EEENS1_30default_config_static_selectorELNS0_4arch9wavefront6targetE0EEEvS12_,"axG",@progbits,_ZN7rocprim17ROCPRIM_400000_NS6detail17trampoline_kernelINS0_13select_configILj256ELj13ELNS0_17block_load_methodE3ELS4_3ELS4_3ELNS0_20block_scan_algorithmE0ELj4294967295EEENS1_25partition_config_selectorILNS1_17partition_subalgoE4EjNS0_10empty_typeEbEEZZNS1_14partition_implILS8_4ELb0ES6_15HIP_vector_typeIjLj2EENS0_17counting_iteratorIjlEEPS9_SG_NS0_5tupleIJPjSI_NS0_16reverse_iteratorISI_EEEEENSH_IJSG_SG_SG_EEES9_SI_JZNS1_25segmented_radix_sort_implINS0_14default_configELb0EPKhPhPKlPlN2at6native12_GLOBAL__N_18offset_tEEE10hipError_tPvRmT1_PNSt15iterator_traitsIS12_E10value_typeET2_T3_PNS13_IS18_E10value_typeET4_jRbjT5_S1E_jjP12ihipStream_tbEUljE_ZNSN_ISO_Lb0ESQ_SR_ST_SU_SY_EESZ_S10_S11_S12_S16_S17_S18_S1B_S1C_jS1D_jS1E_S1E_jjS1G_bEUljE0_EEESZ_S10_S11_S18_S1C_S1E_T6_T7_T9_mT8_S1G_bDpT10_ENKUlT_T0_E_clISt17integral_constantIbLb1EES1T_IbLb0EEEEDaS1P_S1Q_EUlS1P_E_NS1_11comp_targetILNS1_3genE3ELNS1_11target_archE908ELNS1_3gpuE7ELNS1_3repE0EEENS1_30default_config_static_selectorELNS0_4arch9wavefront6targetE0EEEvS12_,comdat
	.globl	_ZN7rocprim17ROCPRIM_400000_NS6detail17trampoline_kernelINS0_13select_configILj256ELj13ELNS0_17block_load_methodE3ELS4_3ELS4_3ELNS0_20block_scan_algorithmE0ELj4294967295EEENS1_25partition_config_selectorILNS1_17partition_subalgoE4EjNS0_10empty_typeEbEEZZNS1_14partition_implILS8_4ELb0ES6_15HIP_vector_typeIjLj2EENS0_17counting_iteratorIjlEEPS9_SG_NS0_5tupleIJPjSI_NS0_16reverse_iteratorISI_EEEEENSH_IJSG_SG_SG_EEES9_SI_JZNS1_25segmented_radix_sort_implINS0_14default_configELb0EPKhPhPKlPlN2at6native12_GLOBAL__N_18offset_tEEE10hipError_tPvRmT1_PNSt15iterator_traitsIS12_E10value_typeET2_T3_PNS13_IS18_E10value_typeET4_jRbjT5_S1E_jjP12ihipStream_tbEUljE_ZNSN_ISO_Lb0ESQ_SR_ST_SU_SY_EESZ_S10_S11_S12_S16_S17_S18_S1B_S1C_jS1D_jS1E_S1E_jjS1G_bEUljE0_EEESZ_S10_S11_S18_S1C_S1E_T6_T7_T9_mT8_S1G_bDpT10_ENKUlT_T0_E_clISt17integral_constantIbLb1EES1T_IbLb0EEEEDaS1P_S1Q_EUlS1P_E_NS1_11comp_targetILNS1_3genE3ELNS1_11target_archE908ELNS1_3gpuE7ELNS1_3repE0EEENS1_30default_config_static_selectorELNS0_4arch9wavefront6targetE0EEEvS12_ ; -- Begin function _ZN7rocprim17ROCPRIM_400000_NS6detail17trampoline_kernelINS0_13select_configILj256ELj13ELNS0_17block_load_methodE3ELS4_3ELS4_3ELNS0_20block_scan_algorithmE0ELj4294967295EEENS1_25partition_config_selectorILNS1_17partition_subalgoE4EjNS0_10empty_typeEbEEZZNS1_14partition_implILS8_4ELb0ES6_15HIP_vector_typeIjLj2EENS0_17counting_iteratorIjlEEPS9_SG_NS0_5tupleIJPjSI_NS0_16reverse_iteratorISI_EEEEENSH_IJSG_SG_SG_EEES9_SI_JZNS1_25segmented_radix_sort_implINS0_14default_configELb0EPKhPhPKlPlN2at6native12_GLOBAL__N_18offset_tEEE10hipError_tPvRmT1_PNSt15iterator_traitsIS12_E10value_typeET2_T3_PNS13_IS18_E10value_typeET4_jRbjT5_S1E_jjP12ihipStream_tbEUljE_ZNSN_ISO_Lb0ESQ_SR_ST_SU_SY_EESZ_S10_S11_S12_S16_S17_S18_S1B_S1C_jS1D_jS1E_S1E_jjS1G_bEUljE0_EEESZ_S10_S11_S18_S1C_S1E_T6_T7_T9_mT8_S1G_bDpT10_ENKUlT_T0_E_clISt17integral_constantIbLb1EES1T_IbLb0EEEEDaS1P_S1Q_EUlS1P_E_NS1_11comp_targetILNS1_3genE3ELNS1_11target_archE908ELNS1_3gpuE7ELNS1_3repE0EEENS1_30default_config_static_selectorELNS0_4arch9wavefront6targetE0EEEvS12_
	.p2align	8
	.type	_ZN7rocprim17ROCPRIM_400000_NS6detail17trampoline_kernelINS0_13select_configILj256ELj13ELNS0_17block_load_methodE3ELS4_3ELS4_3ELNS0_20block_scan_algorithmE0ELj4294967295EEENS1_25partition_config_selectorILNS1_17partition_subalgoE4EjNS0_10empty_typeEbEEZZNS1_14partition_implILS8_4ELb0ES6_15HIP_vector_typeIjLj2EENS0_17counting_iteratorIjlEEPS9_SG_NS0_5tupleIJPjSI_NS0_16reverse_iteratorISI_EEEEENSH_IJSG_SG_SG_EEES9_SI_JZNS1_25segmented_radix_sort_implINS0_14default_configELb0EPKhPhPKlPlN2at6native12_GLOBAL__N_18offset_tEEE10hipError_tPvRmT1_PNSt15iterator_traitsIS12_E10value_typeET2_T3_PNS13_IS18_E10value_typeET4_jRbjT5_S1E_jjP12ihipStream_tbEUljE_ZNSN_ISO_Lb0ESQ_SR_ST_SU_SY_EESZ_S10_S11_S12_S16_S17_S18_S1B_S1C_jS1D_jS1E_S1E_jjS1G_bEUljE0_EEESZ_S10_S11_S18_S1C_S1E_T6_T7_T9_mT8_S1G_bDpT10_ENKUlT_T0_E_clISt17integral_constantIbLb1EES1T_IbLb0EEEEDaS1P_S1Q_EUlS1P_E_NS1_11comp_targetILNS1_3genE3ELNS1_11target_archE908ELNS1_3gpuE7ELNS1_3repE0EEENS1_30default_config_static_selectorELNS0_4arch9wavefront6targetE0EEEvS12_,@function
_ZN7rocprim17ROCPRIM_400000_NS6detail17trampoline_kernelINS0_13select_configILj256ELj13ELNS0_17block_load_methodE3ELS4_3ELS4_3ELNS0_20block_scan_algorithmE0ELj4294967295EEENS1_25partition_config_selectorILNS1_17partition_subalgoE4EjNS0_10empty_typeEbEEZZNS1_14partition_implILS8_4ELb0ES6_15HIP_vector_typeIjLj2EENS0_17counting_iteratorIjlEEPS9_SG_NS0_5tupleIJPjSI_NS0_16reverse_iteratorISI_EEEEENSH_IJSG_SG_SG_EEES9_SI_JZNS1_25segmented_radix_sort_implINS0_14default_configELb0EPKhPhPKlPlN2at6native12_GLOBAL__N_18offset_tEEE10hipError_tPvRmT1_PNSt15iterator_traitsIS12_E10value_typeET2_T3_PNS13_IS18_E10value_typeET4_jRbjT5_S1E_jjP12ihipStream_tbEUljE_ZNSN_ISO_Lb0ESQ_SR_ST_SU_SY_EESZ_S10_S11_S12_S16_S17_S18_S1B_S1C_jS1D_jS1E_S1E_jjS1G_bEUljE0_EEESZ_S10_S11_S18_S1C_S1E_T6_T7_T9_mT8_S1G_bDpT10_ENKUlT_T0_E_clISt17integral_constantIbLb1EES1T_IbLb0EEEEDaS1P_S1Q_EUlS1P_E_NS1_11comp_targetILNS1_3genE3ELNS1_11target_archE908ELNS1_3gpuE7ELNS1_3repE0EEENS1_30default_config_static_selectorELNS0_4arch9wavefront6targetE0EEEvS12_: ; @_ZN7rocprim17ROCPRIM_400000_NS6detail17trampoline_kernelINS0_13select_configILj256ELj13ELNS0_17block_load_methodE3ELS4_3ELS4_3ELNS0_20block_scan_algorithmE0ELj4294967295EEENS1_25partition_config_selectorILNS1_17partition_subalgoE4EjNS0_10empty_typeEbEEZZNS1_14partition_implILS8_4ELb0ES6_15HIP_vector_typeIjLj2EENS0_17counting_iteratorIjlEEPS9_SG_NS0_5tupleIJPjSI_NS0_16reverse_iteratorISI_EEEEENSH_IJSG_SG_SG_EEES9_SI_JZNS1_25segmented_radix_sort_implINS0_14default_configELb0EPKhPhPKlPlN2at6native12_GLOBAL__N_18offset_tEEE10hipError_tPvRmT1_PNSt15iterator_traitsIS12_E10value_typeET2_T3_PNS13_IS18_E10value_typeET4_jRbjT5_S1E_jjP12ihipStream_tbEUljE_ZNSN_ISO_Lb0ESQ_SR_ST_SU_SY_EESZ_S10_S11_S12_S16_S17_S18_S1B_S1C_jS1D_jS1E_S1E_jjS1G_bEUljE0_EEESZ_S10_S11_S18_S1C_S1E_T6_T7_T9_mT8_S1G_bDpT10_ENKUlT_T0_E_clISt17integral_constantIbLb1EES1T_IbLb0EEEEDaS1P_S1Q_EUlS1P_E_NS1_11comp_targetILNS1_3genE3ELNS1_11target_archE908ELNS1_3gpuE7ELNS1_3repE0EEENS1_30default_config_static_selectorELNS0_4arch9wavefront6targetE0EEEvS12_
; %bb.0:
	.section	.rodata,"a",@progbits
	.p2align	6, 0x0
	.amdhsa_kernel _ZN7rocprim17ROCPRIM_400000_NS6detail17trampoline_kernelINS0_13select_configILj256ELj13ELNS0_17block_load_methodE3ELS4_3ELS4_3ELNS0_20block_scan_algorithmE0ELj4294967295EEENS1_25partition_config_selectorILNS1_17partition_subalgoE4EjNS0_10empty_typeEbEEZZNS1_14partition_implILS8_4ELb0ES6_15HIP_vector_typeIjLj2EENS0_17counting_iteratorIjlEEPS9_SG_NS0_5tupleIJPjSI_NS0_16reverse_iteratorISI_EEEEENSH_IJSG_SG_SG_EEES9_SI_JZNS1_25segmented_radix_sort_implINS0_14default_configELb0EPKhPhPKlPlN2at6native12_GLOBAL__N_18offset_tEEE10hipError_tPvRmT1_PNSt15iterator_traitsIS12_E10value_typeET2_T3_PNS13_IS18_E10value_typeET4_jRbjT5_S1E_jjP12ihipStream_tbEUljE_ZNSN_ISO_Lb0ESQ_SR_ST_SU_SY_EESZ_S10_S11_S12_S16_S17_S18_S1B_S1C_jS1D_jS1E_S1E_jjS1G_bEUljE0_EEESZ_S10_S11_S18_S1C_S1E_T6_T7_T9_mT8_S1G_bDpT10_ENKUlT_T0_E_clISt17integral_constantIbLb1EES1T_IbLb0EEEEDaS1P_S1Q_EUlS1P_E_NS1_11comp_targetILNS1_3genE3ELNS1_11target_archE908ELNS1_3gpuE7ELNS1_3repE0EEENS1_30default_config_static_selectorELNS0_4arch9wavefront6targetE0EEEvS12_
		.amdhsa_group_segment_fixed_size 0
		.amdhsa_private_segment_fixed_size 0
		.amdhsa_kernarg_size 176
		.amdhsa_user_sgpr_count 2
		.amdhsa_user_sgpr_dispatch_ptr 0
		.amdhsa_user_sgpr_queue_ptr 0
		.amdhsa_user_sgpr_kernarg_segment_ptr 1
		.amdhsa_user_sgpr_dispatch_id 0
		.amdhsa_user_sgpr_kernarg_preload_length 0
		.amdhsa_user_sgpr_kernarg_preload_offset 0
		.amdhsa_user_sgpr_private_segment_size 0
		.amdhsa_wavefront_size32 1
		.amdhsa_uses_dynamic_stack 0
		.amdhsa_enable_private_segment 0
		.amdhsa_system_sgpr_workgroup_id_x 1
		.amdhsa_system_sgpr_workgroup_id_y 0
		.amdhsa_system_sgpr_workgroup_id_z 0
		.amdhsa_system_sgpr_workgroup_info 0
		.amdhsa_system_vgpr_workitem_id 0
		.amdhsa_next_free_vgpr 1
		.amdhsa_next_free_sgpr 1
		.amdhsa_named_barrier_count 0
		.amdhsa_reserve_vcc 0
		.amdhsa_float_round_mode_32 0
		.amdhsa_float_round_mode_16_64 0
		.amdhsa_float_denorm_mode_32 3
		.amdhsa_float_denorm_mode_16_64 3
		.amdhsa_fp16_overflow 0
		.amdhsa_memory_ordered 1
		.amdhsa_forward_progress 1
		.amdhsa_inst_pref_size 0
		.amdhsa_round_robin_scheduling 0
		.amdhsa_exception_fp_ieee_invalid_op 0
		.amdhsa_exception_fp_denorm_src 0
		.amdhsa_exception_fp_ieee_div_zero 0
		.amdhsa_exception_fp_ieee_overflow 0
		.amdhsa_exception_fp_ieee_underflow 0
		.amdhsa_exception_fp_ieee_inexact 0
		.amdhsa_exception_int_div_zero 0
	.end_amdhsa_kernel
	.section	.text._ZN7rocprim17ROCPRIM_400000_NS6detail17trampoline_kernelINS0_13select_configILj256ELj13ELNS0_17block_load_methodE3ELS4_3ELS4_3ELNS0_20block_scan_algorithmE0ELj4294967295EEENS1_25partition_config_selectorILNS1_17partition_subalgoE4EjNS0_10empty_typeEbEEZZNS1_14partition_implILS8_4ELb0ES6_15HIP_vector_typeIjLj2EENS0_17counting_iteratorIjlEEPS9_SG_NS0_5tupleIJPjSI_NS0_16reverse_iteratorISI_EEEEENSH_IJSG_SG_SG_EEES9_SI_JZNS1_25segmented_radix_sort_implINS0_14default_configELb0EPKhPhPKlPlN2at6native12_GLOBAL__N_18offset_tEEE10hipError_tPvRmT1_PNSt15iterator_traitsIS12_E10value_typeET2_T3_PNS13_IS18_E10value_typeET4_jRbjT5_S1E_jjP12ihipStream_tbEUljE_ZNSN_ISO_Lb0ESQ_SR_ST_SU_SY_EESZ_S10_S11_S12_S16_S17_S18_S1B_S1C_jS1D_jS1E_S1E_jjS1G_bEUljE0_EEESZ_S10_S11_S18_S1C_S1E_T6_T7_T9_mT8_S1G_bDpT10_ENKUlT_T0_E_clISt17integral_constantIbLb1EES1T_IbLb0EEEEDaS1P_S1Q_EUlS1P_E_NS1_11comp_targetILNS1_3genE3ELNS1_11target_archE908ELNS1_3gpuE7ELNS1_3repE0EEENS1_30default_config_static_selectorELNS0_4arch9wavefront6targetE0EEEvS12_,"axG",@progbits,_ZN7rocprim17ROCPRIM_400000_NS6detail17trampoline_kernelINS0_13select_configILj256ELj13ELNS0_17block_load_methodE3ELS4_3ELS4_3ELNS0_20block_scan_algorithmE0ELj4294967295EEENS1_25partition_config_selectorILNS1_17partition_subalgoE4EjNS0_10empty_typeEbEEZZNS1_14partition_implILS8_4ELb0ES6_15HIP_vector_typeIjLj2EENS0_17counting_iteratorIjlEEPS9_SG_NS0_5tupleIJPjSI_NS0_16reverse_iteratorISI_EEEEENSH_IJSG_SG_SG_EEES9_SI_JZNS1_25segmented_radix_sort_implINS0_14default_configELb0EPKhPhPKlPlN2at6native12_GLOBAL__N_18offset_tEEE10hipError_tPvRmT1_PNSt15iterator_traitsIS12_E10value_typeET2_T3_PNS13_IS18_E10value_typeET4_jRbjT5_S1E_jjP12ihipStream_tbEUljE_ZNSN_ISO_Lb0ESQ_SR_ST_SU_SY_EESZ_S10_S11_S12_S16_S17_S18_S1B_S1C_jS1D_jS1E_S1E_jjS1G_bEUljE0_EEESZ_S10_S11_S18_S1C_S1E_T6_T7_T9_mT8_S1G_bDpT10_ENKUlT_T0_E_clISt17integral_constantIbLb1EES1T_IbLb0EEEEDaS1P_S1Q_EUlS1P_E_NS1_11comp_targetILNS1_3genE3ELNS1_11target_archE908ELNS1_3gpuE7ELNS1_3repE0EEENS1_30default_config_static_selectorELNS0_4arch9wavefront6targetE0EEEvS12_,comdat
.Lfunc_end140:
	.size	_ZN7rocprim17ROCPRIM_400000_NS6detail17trampoline_kernelINS0_13select_configILj256ELj13ELNS0_17block_load_methodE3ELS4_3ELS4_3ELNS0_20block_scan_algorithmE0ELj4294967295EEENS1_25partition_config_selectorILNS1_17partition_subalgoE4EjNS0_10empty_typeEbEEZZNS1_14partition_implILS8_4ELb0ES6_15HIP_vector_typeIjLj2EENS0_17counting_iteratorIjlEEPS9_SG_NS0_5tupleIJPjSI_NS0_16reverse_iteratorISI_EEEEENSH_IJSG_SG_SG_EEES9_SI_JZNS1_25segmented_radix_sort_implINS0_14default_configELb0EPKhPhPKlPlN2at6native12_GLOBAL__N_18offset_tEEE10hipError_tPvRmT1_PNSt15iterator_traitsIS12_E10value_typeET2_T3_PNS13_IS18_E10value_typeET4_jRbjT5_S1E_jjP12ihipStream_tbEUljE_ZNSN_ISO_Lb0ESQ_SR_ST_SU_SY_EESZ_S10_S11_S12_S16_S17_S18_S1B_S1C_jS1D_jS1E_S1E_jjS1G_bEUljE0_EEESZ_S10_S11_S18_S1C_S1E_T6_T7_T9_mT8_S1G_bDpT10_ENKUlT_T0_E_clISt17integral_constantIbLb1EES1T_IbLb0EEEEDaS1P_S1Q_EUlS1P_E_NS1_11comp_targetILNS1_3genE3ELNS1_11target_archE908ELNS1_3gpuE7ELNS1_3repE0EEENS1_30default_config_static_selectorELNS0_4arch9wavefront6targetE0EEEvS12_, .Lfunc_end140-_ZN7rocprim17ROCPRIM_400000_NS6detail17trampoline_kernelINS0_13select_configILj256ELj13ELNS0_17block_load_methodE3ELS4_3ELS4_3ELNS0_20block_scan_algorithmE0ELj4294967295EEENS1_25partition_config_selectorILNS1_17partition_subalgoE4EjNS0_10empty_typeEbEEZZNS1_14partition_implILS8_4ELb0ES6_15HIP_vector_typeIjLj2EENS0_17counting_iteratorIjlEEPS9_SG_NS0_5tupleIJPjSI_NS0_16reverse_iteratorISI_EEEEENSH_IJSG_SG_SG_EEES9_SI_JZNS1_25segmented_radix_sort_implINS0_14default_configELb0EPKhPhPKlPlN2at6native12_GLOBAL__N_18offset_tEEE10hipError_tPvRmT1_PNSt15iterator_traitsIS12_E10value_typeET2_T3_PNS13_IS18_E10value_typeET4_jRbjT5_S1E_jjP12ihipStream_tbEUljE_ZNSN_ISO_Lb0ESQ_SR_ST_SU_SY_EESZ_S10_S11_S12_S16_S17_S18_S1B_S1C_jS1D_jS1E_S1E_jjS1G_bEUljE0_EEESZ_S10_S11_S18_S1C_S1E_T6_T7_T9_mT8_S1G_bDpT10_ENKUlT_T0_E_clISt17integral_constantIbLb1EES1T_IbLb0EEEEDaS1P_S1Q_EUlS1P_E_NS1_11comp_targetILNS1_3genE3ELNS1_11target_archE908ELNS1_3gpuE7ELNS1_3repE0EEENS1_30default_config_static_selectorELNS0_4arch9wavefront6targetE0EEEvS12_
                                        ; -- End function
	.set _ZN7rocprim17ROCPRIM_400000_NS6detail17trampoline_kernelINS0_13select_configILj256ELj13ELNS0_17block_load_methodE3ELS4_3ELS4_3ELNS0_20block_scan_algorithmE0ELj4294967295EEENS1_25partition_config_selectorILNS1_17partition_subalgoE4EjNS0_10empty_typeEbEEZZNS1_14partition_implILS8_4ELb0ES6_15HIP_vector_typeIjLj2EENS0_17counting_iteratorIjlEEPS9_SG_NS0_5tupleIJPjSI_NS0_16reverse_iteratorISI_EEEEENSH_IJSG_SG_SG_EEES9_SI_JZNS1_25segmented_radix_sort_implINS0_14default_configELb0EPKhPhPKlPlN2at6native12_GLOBAL__N_18offset_tEEE10hipError_tPvRmT1_PNSt15iterator_traitsIS12_E10value_typeET2_T3_PNS13_IS18_E10value_typeET4_jRbjT5_S1E_jjP12ihipStream_tbEUljE_ZNSN_ISO_Lb0ESQ_SR_ST_SU_SY_EESZ_S10_S11_S12_S16_S17_S18_S1B_S1C_jS1D_jS1E_S1E_jjS1G_bEUljE0_EEESZ_S10_S11_S18_S1C_S1E_T6_T7_T9_mT8_S1G_bDpT10_ENKUlT_T0_E_clISt17integral_constantIbLb1EES1T_IbLb0EEEEDaS1P_S1Q_EUlS1P_E_NS1_11comp_targetILNS1_3genE3ELNS1_11target_archE908ELNS1_3gpuE7ELNS1_3repE0EEENS1_30default_config_static_selectorELNS0_4arch9wavefront6targetE0EEEvS12_.num_vgpr, 0
	.set _ZN7rocprim17ROCPRIM_400000_NS6detail17trampoline_kernelINS0_13select_configILj256ELj13ELNS0_17block_load_methodE3ELS4_3ELS4_3ELNS0_20block_scan_algorithmE0ELj4294967295EEENS1_25partition_config_selectorILNS1_17partition_subalgoE4EjNS0_10empty_typeEbEEZZNS1_14partition_implILS8_4ELb0ES6_15HIP_vector_typeIjLj2EENS0_17counting_iteratorIjlEEPS9_SG_NS0_5tupleIJPjSI_NS0_16reverse_iteratorISI_EEEEENSH_IJSG_SG_SG_EEES9_SI_JZNS1_25segmented_radix_sort_implINS0_14default_configELb0EPKhPhPKlPlN2at6native12_GLOBAL__N_18offset_tEEE10hipError_tPvRmT1_PNSt15iterator_traitsIS12_E10value_typeET2_T3_PNS13_IS18_E10value_typeET4_jRbjT5_S1E_jjP12ihipStream_tbEUljE_ZNSN_ISO_Lb0ESQ_SR_ST_SU_SY_EESZ_S10_S11_S12_S16_S17_S18_S1B_S1C_jS1D_jS1E_S1E_jjS1G_bEUljE0_EEESZ_S10_S11_S18_S1C_S1E_T6_T7_T9_mT8_S1G_bDpT10_ENKUlT_T0_E_clISt17integral_constantIbLb1EES1T_IbLb0EEEEDaS1P_S1Q_EUlS1P_E_NS1_11comp_targetILNS1_3genE3ELNS1_11target_archE908ELNS1_3gpuE7ELNS1_3repE0EEENS1_30default_config_static_selectorELNS0_4arch9wavefront6targetE0EEEvS12_.num_agpr, 0
	.set _ZN7rocprim17ROCPRIM_400000_NS6detail17trampoline_kernelINS0_13select_configILj256ELj13ELNS0_17block_load_methodE3ELS4_3ELS4_3ELNS0_20block_scan_algorithmE0ELj4294967295EEENS1_25partition_config_selectorILNS1_17partition_subalgoE4EjNS0_10empty_typeEbEEZZNS1_14partition_implILS8_4ELb0ES6_15HIP_vector_typeIjLj2EENS0_17counting_iteratorIjlEEPS9_SG_NS0_5tupleIJPjSI_NS0_16reverse_iteratorISI_EEEEENSH_IJSG_SG_SG_EEES9_SI_JZNS1_25segmented_radix_sort_implINS0_14default_configELb0EPKhPhPKlPlN2at6native12_GLOBAL__N_18offset_tEEE10hipError_tPvRmT1_PNSt15iterator_traitsIS12_E10value_typeET2_T3_PNS13_IS18_E10value_typeET4_jRbjT5_S1E_jjP12ihipStream_tbEUljE_ZNSN_ISO_Lb0ESQ_SR_ST_SU_SY_EESZ_S10_S11_S12_S16_S17_S18_S1B_S1C_jS1D_jS1E_S1E_jjS1G_bEUljE0_EEESZ_S10_S11_S18_S1C_S1E_T6_T7_T9_mT8_S1G_bDpT10_ENKUlT_T0_E_clISt17integral_constantIbLb1EES1T_IbLb0EEEEDaS1P_S1Q_EUlS1P_E_NS1_11comp_targetILNS1_3genE3ELNS1_11target_archE908ELNS1_3gpuE7ELNS1_3repE0EEENS1_30default_config_static_selectorELNS0_4arch9wavefront6targetE0EEEvS12_.numbered_sgpr, 0
	.set _ZN7rocprim17ROCPRIM_400000_NS6detail17trampoline_kernelINS0_13select_configILj256ELj13ELNS0_17block_load_methodE3ELS4_3ELS4_3ELNS0_20block_scan_algorithmE0ELj4294967295EEENS1_25partition_config_selectorILNS1_17partition_subalgoE4EjNS0_10empty_typeEbEEZZNS1_14partition_implILS8_4ELb0ES6_15HIP_vector_typeIjLj2EENS0_17counting_iteratorIjlEEPS9_SG_NS0_5tupleIJPjSI_NS0_16reverse_iteratorISI_EEEEENSH_IJSG_SG_SG_EEES9_SI_JZNS1_25segmented_radix_sort_implINS0_14default_configELb0EPKhPhPKlPlN2at6native12_GLOBAL__N_18offset_tEEE10hipError_tPvRmT1_PNSt15iterator_traitsIS12_E10value_typeET2_T3_PNS13_IS18_E10value_typeET4_jRbjT5_S1E_jjP12ihipStream_tbEUljE_ZNSN_ISO_Lb0ESQ_SR_ST_SU_SY_EESZ_S10_S11_S12_S16_S17_S18_S1B_S1C_jS1D_jS1E_S1E_jjS1G_bEUljE0_EEESZ_S10_S11_S18_S1C_S1E_T6_T7_T9_mT8_S1G_bDpT10_ENKUlT_T0_E_clISt17integral_constantIbLb1EES1T_IbLb0EEEEDaS1P_S1Q_EUlS1P_E_NS1_11comp_targetILNS1_3genE3ELNS1_11target_archE908ELNS1_3gpuE7ELNS1_3repE0EEENS1_30default_config_static_selectorELNS0_4arch9wavefront6targetE0EEEvS12_.num_named_barrier, 0
	.set _ZN7rocprim17ROCPRIM_400000_NS6detail17trampoline_kernelINS0_13select_configILj256ELj13ELNS0_17block_load_methodE3ELS4_3ELS4_3ELNS0_20block_scan_algorithmE0ELj4294967295EEENS1_25partition_config_selectorILNS1_17partition_subalgoE4EjNS0_10empty_typeEbEEZZNS1_14partition_implILS8_4ELb0ES6_15HIP_vector_typeIjLj2EENS0_17counting_iteratorIjlEEPS9_SG_NS0_5tupleIJPjSI_NS0_16reverse_iteratorISI_EEEEENSH_IJSG_SG_SG_EEES9_SI_JZNS1_25segmented_radix_sort_implINS0_14default_configELb0EPKhPhPKlPlN2at6native12_GLOBAL__N_18offset_tEEE10hipError_tPvRmT1_PNSt15iterator_traitsIS12_E10value_typeET2_T3_PNS13_IS18_E10value_typeET4_jRbjT5_S1E_jjP12ihipStream_tbEUljE_ZNSN_ISO_Lb0ESQ_SR_ST_SU_SY_EESZ_S10_S11_S12_S16_S17_S18_S1B_S1C_jS1D_jS1E_S1E_jjS1G_bEUljE0_EEESZ_S10_S11_S18_S1C_S1E_T6_T7_T9_mT8_S1G_bDpT10_ENKUlT_T0_E_clISt17integral_constantIbLb1EES1T_IbLb0EEEEDaS1P_S1Q_EUlS1P_E_NS1_11comp_targetILNS1_3genE3ELNS1_11target_archE908ELNS1_3gpuE7ELNS1_3repE0EEENS1_30default_config_static_selectorELNS0_4arch9wavefront6targetE0EEEvS12_.private_seg_size, 0
	.set _ZN7rocprim17ROCPRIM_400000_NS6detail17trampoline_kernelINS0_13select_configILj256ELj13ELNS0_17block_load_methodE3ELS4_3ELS4_3ELNS0_20block_scan_algorithmE0ELj4294967295EEENS1_25partition_config_selectorILNS1_17partition_subalgoE4EjNS0_10empty_typeEbEEZZNS1_14partition_implILS8_4ELb0ES6_15HIP_vector_typeIjLj2EENS0_17counting_iteratorIjlEEPS9_SG_NS0_5tupleIJPjSI_NS0_16reverse_iteratorISI_EEEEENSH_IJSG_SG_SG_EEES9_SI_JZNS1_25segmented_radix_sort_implINS0_14default_configELb0EPKhPhPKlPlN2at6native12_GLOBAL__N_18offset_tEEE10hipError_tPvRmT1_PNSt15iterator_traitsIS12_E10value_typeET2_T3_PNS13_IS18_E10value_typeET4_jRbjT5_S1E_jjP12ihipStream_tbEUljE_ZNSN_ISO_Lb0ESQ_SR_ST_SU_SY_EESZ_S10_S11_S12_S16_S17_S18_S1B_S1C_jS1D_jS1E_S1E_jjS1G_bEUljE0_EEESZ_S10_S11_S18_S1C_S1E_T6_T7_T9_mT8_S1G_bDpT10_ENKUlT_T0_E_clISt17integral_constantIbLb1EES1T_IbLb0EEEEDaS1P_S1Q_EUlS1P_E_NS1_11comp_targetILNS1_3genE3ELNS1_11target_archE908ELNS1_3gpuE7ELNS1_3repE0EEENS1_30default_config_static_selectorELNS0_4arch9wavefront6targetE0EEEvS12_.uses_vcc, 0
	.set _ZN7rocprim17ROCPRIM_400000_NS6detail17trampoline_kernelINS0_13select_configILj256ELj13ELNS0_17block_load_methodE3ELS4_3ELS4_3ELNS0_20block_scan_algorithmE0ELj4294967295EEENS1_25partition_config_selectorILNS1_17partition_subalgoE4EjNS0_10empty_typeEbEEZZNS1_14partition_implILS8_4ELb0ES6_15HIP_vector_typeIjLj2EENS0_17counting_iteratorIjlEEPS9_SG_NS0_5tupleIJPjSI_NS0_16reverse_iteratorISI_EEEEENSH_IJSG_SG_SG_EEES9_SI_JZNS1_25segmented_radix_sort_implINS0_14default_configELb0EPKhPhPKlPlN2at6native12_GLOBAL__N_18offset_tEEE10hipError_tPvRmT1_PNSt15iterator_traitsIS12_E10value_typeET2_T3_PNS13_IS18_E10value_typeET4_jRbjT5_S1E_jjP12ihipStream_tbEUljE_ZNSN_ISO_Lb0ESQ_SR_ST_SU_SY_EESZ_S10_S11_S12_S16_S17_S18_S1B_S1C_jS1D_jS1E_S1E_jjS1G_bEUljE0_EEESZ_S10_S11_S18_S1C_S1E_T6_T7_T9_mT8_S1G_bDpT10_ENKUlT_T0_E_clISt17integral_constantIbLb1EES1T_IbLb0EEEEDaS1P_S1Q_EUlS1P_E_NS1_11comp_targetILNS1_3genE3ELNS1_11target_archE908ELNS1_3gpuE7ELNS1_3repE0EEENS1_30default_config_static_selectorELNS0_4arch9wavefront6targetE0EEEvS12_.uses_flat_scratch, 0
	.set _ZN7rocprim17ROCPRIM_400000_NS6detail17trampoline_kernelINS0_13select_configILj256ELj13ELNS0_17block_load_methodE3ELS4_3ELS4_3ELNS0_20block_scan_algorithmE0ELj4294967295EEENS1_25partition_config_selectorILNS1_17partition_subalgoE4EjNS0_10empty_typeEbEEZZNS1_14partition_implILS8_4ELb0ES6_15HIP_vector_typeIjLj2EENS0_17counting_iteratorIjlEEPS9_SG_NS0_5tupleIJPjSI_NS0_16reverse_iteratorISI_EEEEENSH_IJSG_SG_SG_EEES9_SI_JZNS1_25segmented_radix_sort_implINS0_14default_configELb0EPKhPhPKlPlN2at6native12_GLOBAL__N_18offset_tEEE10hipError_tPvRmT1_PNSt15iterator_traitsIS12_E10value_typeET2_T3_PNS13_IS18_E10value_typeET4_jRbjT5_S1E_jjP12ihipStream_tbEUljE_ZNSN_ISO_Lb0ESQ_SR_ST_SU_SY_EESZ_S10_S11_S12_S16_S17_S18_S1B_S1C_jS1D_jS1E_S1E_jjS1G_bEUljE0_EEESZ_S10_S11_S18_S1C_S1E_T6_T7_T9_mT8_S1G_bDpT10_ENKUlT_T0_E_clISt17integral_constantIbLb1EES1T_IbLb0EEEEDaS1P_S1Q_EUlS1P_E_NS1_11comp_targetILNS1_3genE3ELNS1_11target_archE908ELNS1_3gpuE7ELNS1_3repE0EEENS1_30default_config_static_selectorELNS0_4arch9wavefront6targetE0EEEvS12_.has_dyn_sized_stack, 0
	.set _ZN7rocprim17ROCPRIM_400000_NS6detail17trampoline_kernelINS0_13select_configILj256ELj13ELNS0_17block_load_methodE3ELS4_3ELS4_3ELNS0_20block_scan_algorithmE0ELj4294967295EEENS1_25partition_config_selectorILNS1_17partition_subalgoE4EjNS0_10empty_typeEbEEZZNS1_14partition_implILS8_4ELb0ES6_15HIP_vector_typeIjLj2EENS0_17counting_iteratorIjlEEPS9_SG_NS0_5tupleIJPjSI_NS0_16reverse_iteratorISI_EEEEENSH_IJSG_SG_SG_EEES9_SI_JZNS1_25segmented_radix_sort_implINS0_14default_configELb0EPKhPhPKlPlN2at6native12_GLOBAL__N_18offset_tEEE10hipError_tPvRmT1_PNSt15iterator_traitsIS12_E10value_typeET2_T3_PNS13_IS18_E10value_typeET4_jRbjT5_S1E_jjP12ihipStream_tbEUljE_ZNSN_ISO_Lb0ESQ_SR_ST_SU_SY_EESZ_S10_S11_S12_S16_S17_S18_S1B_S1C_jS1D_jS1E_S1E_jjS1G_bEUljE0_EEESZ_S10_S11_S18_S1C_S1E_T6_T7_T9_mT8_S1G_bDpT10_ENKUlT_T0_E_clISt17integral_constantIbLb1EES1T_IbLb0EEEEDaS1P_S1Q_EUlS1P_E_NS1_11comp_targetILNS1_3genE3ELNS1_11target_archE908ELNS1_3gpuE7ELNS1_3repE0EEENS1_30default_config_static_selectorELNS0_4arch9wavefront6targetE0EEEvS12_.has_recursion, 0
	.set _ZN7rocprim17ROCPRIM_400000_NS6detail17trampoline_kernelINS0_13select_configILj256ELj13ELNS0_17block_load_methodE3ELS4_3ELS4_3ELNS0_20block_scan_algorithmE0ELj4294967295EEENS1_25partition_config_selectorILNS1_17partition_subalgoE4EjNS0_10empty_typeEbEEZZNS1_14partition_implILS8_4ELb0ES6_15HIP_vector_typeIjLj2EENS0_17counting_iteratorIjlEEPS9_SG_NS0_5tupleIJPjSI_NS0_16reverse_iteratorISI_EEEEENSH_IJSG_SG_SG_EEES9_SI_JZNS1_25segmented_radix_sort_implINS0_14default_configELb0EPKhPhPKlPlN2at6native12_GLOBAL__N_18offset_tEEE10hipError_tPvRmT1_PNSt15iterator_traitsIS12_E10value_typeET2_T3_PNS13_IS18_E10value_typeET4_jRbjT5_S1E_jjP12ihipStream_tbEUljE_ZNSN_ISO_Lb0ESQ_SR_ST_SU_SY_EESZ_S10_S11_S12_S16_S17_S18_S1B_S1C_jS1D_jS1E_S1E_jjS1G_bEUljE0_EEESZ_S10_S11_S18_S1C_S1E_T6_T7_T9_mT8_S1G_bDpT10_ENKUlT_T0_E_clISt17integral_constantIbLb1EES1T_IbLb0EEEEDaS1P_S1Q_EUlS1P_E_NS1_11comp_targetILNS1_3genE3ELNS1_11target_archE908ELNS1_3gpuE7ELNS1_3repE0EEENS1_30default_config_static_selectorELNS0_4arch9wavefront6targetE0EEEvS12_.has_indirect_call, 0
	.section	.AMDGPU.csdata,"",@progbits
; Kernel info:
; codeLenInByte = 0
; TotalNumSgprs: 0
; NumVgprs: 0
; ScratchSize: 0
; MemoryBound: 0
; FloatMode: 240
; IeeeMode: 1
; LDSByteSize: 0 bytes/workgroup (compile time only)
; SGPRBlocks: 0
; VGPRBlocks: 0
; NumSGPRsForWavesPerEU: 1
; NumVGPRsForWavesPerEU: 1
; NamedBarCnt: 0
; Occupancy: 16
; WaveLimiterHint : 0
; COMPUTE_PGM_RSRC2:SCRATCH_EN: 0
; COMPUTE_PGM_RSRC2:USER_SGPR: 2
; COMPUTE_PGM_RSRC2:TRAP_HANDLER: 0
; COMPUTE_PGM_RSRC2:TGID_X_EN: 1
; COMPUTE_PGM_RSRC2:TGID_Y_EN: 0
; COMPUTE_PGM_RSRC2:TGID_Z_EN: 0
; COMPUTE_PGM_RSRC2:TIDIG_COMP_CNT: 0
	.section	.text._ZN7rocprim17ROCPRIM_400000_NS6detail17trampoline_kernelINS0_13select_configILj256ELj13ELNS0_17block_load_methodE3ELS4_3ELS4_3ELNS0_20block_scan_algorithmE0ELj4294967295EEENS1_25partition_config_selectorILNS1_17partition_subalgoE4EjNS0_10empty_typeEbEEZZNS1_14partition_implILS8_4ELb0ES6_15HIP_vector_typeIjLj2EENS0_17counting_iteratorIjlEEPS9_SG_NS0_5tupleIJPjSI_NS0_16reverse_iteratorISI_EEEEENSH_IJSG_SG_SG_EEES9_SI_JZNS1_25segmented_radix_sort_implINS0_14default_configELb0EPKhPhPKlPlN2at6native12_GLOBAL__N_18offset_tEEE10hipError_tPvRmT1_PNSt15iterator_traitsIS12_E10value_typeET2_T3_PNS13_IS18_E10value_typeET4_jRbjT5_S1E_jjP12ihipStream_tbEUljE_ZNSN_ISO_Lb0ESQ_SR_ST_SU_SY_EESZ_S10_S11_S12_S16_S17_S18_S1B_S1C_jS1D_jS1E_S1E_jjS1G_bEUljE0_EEESZ_S10_S11_S18_S1C_S1E_T6_T7_T9_mT8_S1G_bDpT10_ENKUlT_T0_E_clISt17integral_constantIbLb1EES1T_IbLb0EEEEDaS1P_S1Q_EUlS1P_E_NS1_11comp_targetILNS1_3genE2ELNS1_11target_archE906ELNS1_3gpuE6ELNS1_3repE0EEENS1_30default_config_static_selectorELNS0_4arch9wavefront6targetE0EEEvS12_,"axG",@progbits,_ZN7rocprim17ROCPRIM_400000_NS6detail17trampoline_kernelINS0_13select_configILj256ELj13ELNS0_17block_load_methodE3ELS4_3ELS4_3ELNS0_20block_scan_algorithmE0ELj4294967295EEENS1_25partition_config_selectorILNS1_17partition_subalgoE4EjNS0_10empty_typeEbEEZZNS1_14partition_implILS8_4ELb0ES6_15HIP_vector_typeIjLj2EENS0_17counting_iteratorIjlEEPS9_SG_NS0_5tupleIJPjSI_NS0_16reverse_iteratorISI_EEEEENSH_IJSG_SG_SG_EEES9_SI_JZNS1_25segmented_radix_sort_implINS0_14default_configELb0EPKhPhPKlPlN2at6native12_GLOBAL__N_18offset_tEEE10hipError_tPvRmT1_PNSt15iterator_traitsIS12_E10value_typeET2_T3_PNS13_IS18_E10value_typeET4_jRbjT5_S1E_jjP12ihipStream_tbEUljE_ZNSN_ISO_Lb0ESQ_SR_ST_SU_SY_EESZ_S10_S11_S12_S16_S17_S18_S1B_S1C_jS1D_jS1E_S1E_jjS1G_bEUljE0_EEESZ_S10_S11_S18_S1C_S1E_T6_T7_T9_mT8_S1G_bDpT10_ENKUlT_T0_E_clISt17integral_constantIbLb1EES1T_IbLb0EEEEDaS1P_S1Q_EUlS1P_E_NS1_11comp_targetILNS1_3genE2ELNS1_11target_archE906ELNS1_3gpuE6ELNS1_3repE0EEENS1_30default_config_static_selectorELNS0_4arch9wavefront6targetE0EEEvS12_,comdat
	.globl	_ZN7rocprim17ROCPRIM_400000_NS6detail17trampoline_kernelINS0_13select_configILj256ELj13ELNS0_17block_load_methodE3ELS4_3ELS4_3ELNS0_20block_scan_algorithmE0ELj4294967295EEENS1_25partition_config_selectorILNS1_17partition_subalgoE4EjNS0_10empty_typeEbEEZZNS1_14partition_implILS8_4ELb0ES6_15HIP_vector_typeIjLj2EENS0_17counting_iteratorIjlEEPS9_SG_NS0_5tupleIJPjSI_NS0_16reverse_iteratorISI_EEEEENSH_IJSG_SG_SG_EEES9_SI_JZNS1_25segmented_radix_sort_implINS0_14default_configELb0EPKhPhPKlPlN2at6native12_GLOBAL__N_18offset_tEEE10hipError_tPvRmT1_PNSt15iterator_traitsIS12_E10value_typeET2_T3_PNS13_IS18_E10value_typeET4_jRbjT5_S1E_jjP12ihipStream_tbEUljE_ZNSN_ISO_Lb0ESQ_SR_ST_SU_SY_EESZ_S10_S11_S12_S16_S17_S18_S1B_S1C_jS1D_jS1E_S1E_jjS1G_bEUljE0_EEESZ_S10_S11_S18_S1C_S1E_T6_T7_T9_mT8_S1G_bDpT10_ENKUlT_T0_E_clISt17integral_constantIbLb1EES1T_IbLb0EEEEDaS1P_S1Q_EUlS1P_E_NS1_11comp_targetILNS1_3genE2ELNS1_11target_archE906ELNS1_3gpuE6ELNS1_3repE0EEENS1_30default_config_static_selectorELNS0_4arch9wavefront6targetE0EEEvS12_ ; -- Begin function _ZN7rocprim17ROCPRIM_400000_NS6detail17trampoline_kernelINS0_13select_configILj256ELj13ELNS0_17block_load_methodE3ELS4_3ELS4_3ELNS0_20block_scan_algorithmE0ELj4294967295EEENS1_25partition_config_selectorILNS1_17partition_subalgoE4EjNS0_10empty_typeEbEEZZNS1_14partition_implILS8_4ELb0ES6_15HIP_vector_typeIjLj2EENS0_17counting_iteratorIjlEEPS9_SG_NS0_5tupleIJPjSI_NS0_16reverse_iteratorISI_EEEEENSH_IJSG_SG_SG_EEES9_SI_JZNS1_25segmented_radix_sort_implINS0_14default_configELb0EPKhPhPKlPlN2at6native12_GLOBAL__N_18offset_tEEE10hipError_tPvRmT1_PNSt15iterator_traitsIS12_E10value_typeET2_T3_PNS13_IS18_E10value_typeET4_jRbjT5_S1E_jjP12ihipStream_tbEUljE_ZNSN_ISO_Lb0ESQ_SR_ST_SU_SY_EESZ_S10_S11_S12_S16_S17_S18_S1B_S1C_jS1D_jS1E_S1E_jjS1G_bEUljE0_EEESZ_S10_S11_S18_S1C_S1E_T6_T7_T9_mT8_S1G_bDpT10_ENKUlT_T0_E_clISt17integral_constantIbLb1EES1T_IbLb0EEEEDaS1P_S1Q_EUlS1P_E_NS1_11comp_targetILNS1_3genE2ELNS1_11target_archE906ELNS1_3gpuE6ELNS1_3repE0EEENS1_30default_config_static_selectorELNS0_4arch9wavefront6targetE0EEEvS12_
	.p2align	8
	.type	_ZN7rocprim17ROCPRIM_400000_NS6detail17trampoline_kernelINS0_13select_configILj256ELj13ELNS0_17block_load_methodE3ELS4_3ELS4_3ELNS0_20block_scan_algorithmE0ELj4294967295EEENS1_25partition_config_selectorILNS1_17partition_subalgoE4EjNS0_10empty_typeEbEEZZNS1_14partition_implILS8_4ELb0ES6_15HIP_vector_typeIjLj2EENS0_17counting_iteratorIjlEEPS9_SG_NS0_5tupleIJPjSI_NS0_16reverse_iteratorISI_EEEEENSH_IJSG_SG_SG_EEES9_SI_JZNS1_25segmented_radix_sort_implINS0_14default_configELb0EPKhPhPKlPlN2at6native12_GLOBAL__N_18offset_tEEE10hipError_tPvRmT1_PNSt15iterator_traitsIS12_E10value_typeET2_T3_PNS13_IS18_E10value_typeET4_jRbjT5_S1E_jjP12ihipStream_tbEUljE_ZNSN_ISO_Lb0ESQ_SR_ST_SU_SY_EESZ_S10_S11_S12_S16_S17_S18_S1B_S1C_jS1D_jS1E_S1E_jjS1G_bEUljE0_EEESZ_S10_S11_S18_S1C_S1E_T6_T7_T9_mT8_S1G_bDpT10_ENKUlT_T0_E_clISt17integral_constantIbLb1EES1T_IbLb0EEEEDaS1P_S1Q_EUlS1P_E_NS1_11comp_targetILNS1_3genE2ELNS1_11target_archE906ELNS1_3gpuE6ELNS1_3repE0EEENS1_30default_config_static_selectorELNS0_4arch9wavefront6targetE0EEEvS12_,@function
_ZN7rocprim17ROCPRIM_400000_NS6detail17trampoline_kernelINS0_13select_configILj256ELj13ELNS0_17block_load_methodE3ELS4_3ELS4_3ELNS0_20block_scan_algorithmE0ELj4294967295EEENS1_25partition_config_selectorILNS1_17partition_subalgoE4EjNS0_10empty_typeEbEEZZNS1_14partition_implILS8_4ELb0ES6_15HIP_vector_typeIjLj2EENS0_17counting_iteratorIjlEEPS9_SG_NS0_5tupleIJPjSI_NS0_16reverse_iteratorISI_EEEEENSH_IJSG_SG_SG_EEES9_SI_JZNS1_25segmented_radix_sort_implINS0_14default_configELb0EPKhPhPKlPlN2at6native12_GLOBAL__N_18offset_tEEE10hipError_tPvRmT1_PNSt15iterator_traitsIS12_E10value_typeET2_T3_PNS13_IS18_E10value_typeET4_jRbjT5_S1E_jjP12ihipStream_tbEUljE_ZNSN_ISO_Lb0ESQ_SR_ST_SU_SY_EESZ_S10_S11_S12_S16_S17_S18_S1B_S1C_jS1D_jS1E_S1E_jjS1G_bEUljE0_EEESZ_S10_S11_S18_S1C_S1E_T6_T7_T9_mT8_S1G_bDpT10_ENKUlT_T0_E_clISt17integral_constantIbLb1EES1T_IbLb0EEEEDaS1P_S1Q_EUlS1P_E_NS1_11comp_targetILNS1_3genE2ELNS1_11target_archE906ELNS1_3gpuE6ELNS1_3repE0EEENS1_30default_config_static_selectorELNS0_4arch9wavefront6targetE0EEEvS12_: ; @_ZN7rocprim17ROCPRIM_400000_NS6detail17trampoline_kernelINS0_13select_configILj256ELj13ELNS0_17block_load_methodE3ELS4_3ELS4_3ELNS0_20block_scan_algorithmE0ELj4294967295EEENS1_25partition_config_selectorILNS1_17partition_subalgoE4EjNS0_10empty_typeEbEEZZNS1_14partition_implILS8_4ELb0ES6_15HIP_vector_typeIjLj2EENS0_17counting_iteratorIjlEEPS9_SG_NS0_5tupleIJPjSI_NS0_16reverse_iteratorISI_EEEEENSH_IJSG_SG_SG_EEES9_SI_JZNS1_25segmented_radix_sort_implINS0_14default_configELb0EPKhPhPKlPlN2at6native12_GLOBAL__N_18offset_tEEE10hipError_tPvRmT1_PNSt15iterator_traitsIS12_E10value_typeET2_T3_PNS13_IS18_E10value_typeET4_jRbjT5_S1E_jjP12ihipStream_tbEUljE_ZNSN_ISO_Lb0ESQ_SR_ST_SU_SY_EESZ_S10_S11_S12_S16_S17_S18_S1B_S1C_jS1D_jS1E_S1E_jjS1G_bEUljE0_EEESZ_S10_S11_S18_S1C_S1E_T6_T7_T9_mT8_S1G_bDpT10_ENKUlT_T0_E_clISt17integral_constantIbLb1EES1T_IbLb0EEEEDaS1P_S1Q_EUlS1P_E_NS1_11comp_targetILNS1_3genE2ELNS1_11target_archE906ELNS1_3gpuE6ELNS1_3repE0EEENS1_30default_config_static_selectorELNS0_4arch9wavefront6targetE0EEEvS12_
; %bb.0:
	.section	.rodata,"a",@progbits
	.p2align	6, 0x0
	.amdhsa_kernel _ZN7rocprim17ROCPRIM_400000_NS6detail17trampoline_kernelINS0_13select_configILj256ELj13ELNS0_17block_load_methodE3ELS4_3ELS4_3ELNS0_20block_scan_algorithmE0ELj4294967295EEENS1_25partition_config_selectorILNS1_17partition_subalgoE4EjNS0_10empty_typeEbEEZZNS1_14partition_implILS8_4ELb0ES6_15HIP_vector_typeIjLj2EENS0_17counting_iteratorIjlEEPS9_SG_NS0_5tupleIJPjSI_NS0_16reverse_iteratorISI_EEEEENSH_IJSG_SG_SG_EEES9_SI_JZNS1_25segmented_radix_sort_implINS0_14default_configELb0EPKhPhPKlPlN2at6native12_GLOBAL__N_18offset_tEEE10hipError_tPvRmT1_PNSt15iterator_traitsIS12_E10value_typeET2_T3_PNS13_IS18_E10value_typeET4_jRbjT5_S1E_jjP12ihipStream_tbEUljE_ZNSN_ISO_Lb0ESQ_SR_ST_SU_SY_EESZ_S10_S11_S12_S16_S17_S18_S1B_S1C_jS1D_jS1E_S1E_jjS1G_bEUljE0_EEESZ_S10_S11_S18_S1C_S1E_T6_T7_T9_mT8_S1G_bDpT10_ENKUlT_T0_E_clISt17integral_constantIbLb1EES1T_IbLb0EEEEDaS1P_S1Q_EUlS1P_E_NS1_11comp_targetILNS1_3genE2ELNS1_11target_archE906ELNS1_3gpuE6ELNS1_3repE0EEENS1_30default_config_static_selectorELNS0_4arch9wavefront6targetE0EEEvS12_
		.amdhsa_group_segment_fixed_size 0
		.amdhsa_private_segment_fixed_size 0
		.amdhsa_kernarg_size 176
		.amdhsa_user_sgpr_count 2
		.amdhsa_user_sgpr_dispatch_ptr 0
		.amdhsa_user_sgpr_queue_ptr 0
		.amdhsa_user_sgpr_kernarg_segment_ptr 1
		.amdhsa_user_sgpr_dispatch_id 0
		.amdhsa_user_sgpr_kernarg_preload_length 0
		.amdhsa_user_sgpr_kernarg_preload_offset 0
		.amdhsa_user_sgpr_private_segment_size 0
		.amdhsa_wavefront_size32 1
		.amdhsa_uses_dynamic_stack 0
		.amdhsa_enable_private_segment 0
		.amdhsa_system_sgpr_workgroup_id_x 1
		.amdhsa_system_sgpr_workgroup_id_y 0
		.amdhsa_system_sgpr_workgroup_id_z 0
		.amdhsa_system_sgpr_workgroup_info 0
		.amdhsa_system_vgpr_workitem_id 0
		.amdhsa_next_free_vgpr 1
		.amdhsa_next_free_sgpr 1
		.amdhsa_named_barrier_count 0
		.amdhsa_reserve_vcc 0
		.amdhsa_float_round_mode_32 0
		.amdhsa_float_round_mode_16_64 0
		.amdhsa_float_denorm_mode_32 3
		.amdhsa_float_denorm_mode_16_64 3
		.amdhsa_fp16_overflow 0
		.amdhsa_memory_ordered 1
		.amdhsa_forward_progress 1
		.amdhsa_inst_pref_size 0
		.amdhsa_round_robin_scheduling 0
		.amdhsa_exception_fp_ieee_invalid_op 0
		.amdhsa_exception_fp_denorm_src 0
		.amdhsa_exception_fp_ieee_div_zero 0
		.amdhsa_exception_fp_ieee_overflow 0
		.amdhsa_exception_fp_ieee_underflow 0
		.amdhsa_exception_fp_ieee_inexact 0
		.amdhsa_exception_int_div_zero 0
	.end_amdhsa_kernel
	.section	.text._ZN7rocprim17ROCPRIM_400000_NS6detail17trampoline_kernelINS0_13select_configILj256ELj13ELNS0_17block_load_methodE3ELS4_3ELS4_3ELNS0_20block_scan_algorithmE0ELj4294967295EEENS1_25partition_config_selectorILNS1_17partition_subalgoE4EjNS0_10empty_typeEbEEZZNS1_14partition_implILS8_4ELb0ES6_15HIP_vector_typeIjLj2EENS0_17counting_iteratorIjlEEPS9_SG_NS0_5tupleIJPjSI_NS0_16reverse_iteratorISI_EEEEENSH_IJSG_SG_SG_EEES9_SI_JZNS1_25segmented_radix_sort_implINS0_14default_configELb0EPKhPhPKlPlN2at6native12_GLOBAL__N_18offset_tEEE10hipError_tPvRmT1_PNSt15iterator_traitsIS12_E10value_typeET2_T3_PNS13_IS18_E10value_typeET4_jRbjT5_S1E_jjP12ihipStream_tbEUljE_ZNSN_ISO_Lb0ESQ_SR_ST_SU_SY_EESZ_S10_S11_S12_S16_S17_S18_S1B_S1C_jS1D_jS1E_S1E_jjS1G_bEUljE0_EEESZ_S10_S11_S18_S1C_S1E_T6_T7_T9_mT8_S1G_bDpT10_ENKUlT_T0_E_clISt17integral_constantIbLb1EES1T_IbLb0EEEEDaS1P_S1Q_EUlS1P_E_NS1_11comp_targetILNS1_3genE2ELNS1_11target_archE906ELNS1_3gpuE6ELNS1_3repE0EEENS1_30default_config_static_selectorELNS0_4arch9wavefront6targetE0EEEvS12_,"axG",@progbits,_ZN7rocprim17ROCPRIM_400000_NS6detail17trampoline_kernelINS0_13select_configILj256ELj13ELNS0_17block_load_methodE3ELS4_3ELS4_3ELNS0_20block_scan_algorithmE0ELj4294967295EEENS1_25partition_config_selectorILNS1_17partition_subalgoE4EjNS0_10empty_typeEbEEZZNS1_14partition_implILS8_4ELb0ES6_15HIP_vector_typeIjLj2EENS0_17counting_iteratorIjlEEPS9_SG_NS0_5tupleIJPjSI_NS0_16reverse_iteratorISI_EEEEENSH_IJSG_SG_SG_EEES9_SI_JZNS1_25segmented_radix_sort_implINS0_14default_configELb0EPKhPhPKlPlN2at6native12_GLOBAL__N_18offset_tEEE10hipError_tPvRmT1_PNSt15iterator_traitsIS12_E10value_typeET2_T3_PNS13_IS18_E10value_typeET4_jRbjT5_S1E_jjP12ihipStream_tbEUljE_ZNSN_ISO_Lb0ESQ_SR_ST_SU_SY_EESZ_S10_S11_S12_S16_S17_S18_S1B_S1C_jS1D_jS1E_S1E_jjS1G_bEUljE0_EEESZ_S10_S11_S18_S1C_S1E_T6_T7_T9_mT8_S1G_bDpT10_ENKUlT_T0_E_clISt17integral_constantIbLb1EES1T_IbLb0EEEEDaS1P_S1Q_EUlS1P_E_NS1_11comp_targetILNS1_3genE2ELNS1_11target_archE906ELNS1_3gpuE6ELNS1_3repE0EEENS1_30default_config_static_selectorELNS0_4arch9wavefront6targetE0EEEvS12_,comdat
.Lfunc_end141:
	.size	_ZN7rocprim17ROCPRIM_400000_NS6detail17trampoline_kernelINS0_13select_configILj256ELj13ELNS0_17block_load_methodE3ELS4_3ELS4_3ELNS0_20block_scan_algorithmE0ELj4294967295EEENS1_25partition_config_selectorILNS1_17partition_subalgoE4EjNS0_10empty_typeEbEEZZNS1_14partition_implILS8_4ELb0ES6_15HIP_vector_typeIjLj2EENS0_17counting_iteratorIjlEEPS9_SG_NS0_5tupleIJPjSI_NS0_16reverse_iteratorISI_EEEEENSH_IJSG_SG_SG_EEES9_SI_JZNS1_25segmented_radix_sort_implINS0_14default_configELb0EPKhPhPKlPlN2at6native12_GLOBAL__N_18offset_tEEE10hipError_tPvRmT1_PNSt15iterator_traitsIS12_E10value_typeET2_T3_PNS13_IS18_E10value_typeET4_jRbjT5_S1E_jjP12ihipStream_tbEUljE_ZNSN_ISO_Lb0ESQ_SR_ST_SU_SY_EESZ_S10_S11_S12_S16_S17_S18_S1B_S1C_jS1D_jS1E_S1E_jjS1G_bEUljE0_EEESZ_S10_S11_S18_S1C_S1E_T6_T7_T9_mT8_S1G_bDpT10_ENKUlT_T0_E_clISt17integral_constantIbLb1EES1T_IbLb0EEEEDaS1P_S1Q_EUlS1P_E_NS1_11comp_targetILNS1_3genE2ELNS1_11target_archE906ELNS1_3gpuE6ELNS1_3repE0EEENS1_30default_config_static_selectorELNS0_4arch9wavefront6targetE0EEEvS12_, .Lfunc_end141-_ZN7rocprim17ROCPRIM_400000_NS6detail17trampoline_kernelINS0_13select_configILj256ELj13ELNS0_17block_load_methodE3ELS4_3ELS4_3ELNS0_20block_scan_algorithmE0ELj4294967295EEENS1_25partition_config_selectorILNS1_17partition_subalgoE4EjNS0_10empty_typeEbEEZZNS1_14partition_implILS8_4ELb0ES6_15HIP_vector_typeIjLj2EENS0_17counting_iteratorIjlEEPS9_SG_NS0_5tupleIJPjSI_NS0_16reverse_iteratorISI_EEEEENSH_IJSG_SG_SG_EEES9_SI_JZNS1_25segmented_radix_sort_implINS0_14default_configELb0EPKhPhPKlPlN2at6native12_GLOBAL__N_18offset_tEEE10hipError_tPvRmT1_PNSt15iterator_traitsIS12_E10value_typeET2_T3_PNS13_IS18_E10value_typeET4_jRbjT5_S1E_jjP12ihipStream_tbEUljE_ZNSN_ISO_Lb0ESQ_SR_ST_SU_SY_EESZ_S10_S11_S12_S16_S17_S18_S1B_S1C_jS1D_jS1E_S1E_jjS1G_bEUljE0_EEESZ_S10_S11_S18_S1C_S1E_T6_T7_T9_mT8_S1G_bDpT10_ENKUlT_T0_E_clISt17integral_constantIbLb1EES1T_IbLb0EEEEDaS1P_S1Q_EUlS1P_E_NS1_11comp_targetILNS1_3genE2ELNS1_11target_archE906ELNS1_3gpuE6ELNS1_3repE0EEENS1_30default_config_static_selectorELNS0_4arch9wavefront6targetE0EEEvS12_
                                        ; -- End function
	.set _ZN7rocprim17ROCPRIM_400000_NS6detail17trampoline_kernelINS0_13select_configILj256ELj13ELNS0_17block_load_methodE3ELS4_3ELS4_3ELNS0_20block_scan_algorithmE0ELj4294967295EEENS1_25partition_config_selectorILNS1_17partition_subalgoE4EjNS0_10empty_typeEbEEZZNS1_14partition_implILS8_4ELb0ES6_15HIP_vector_typeIjLj2EENS0_17counting_iteratorIjlEEPS9_SG_NS0_5tupleIJPjSI_NS0_16reverse_iteratorISI_EEEEENSH_IJSG_SG_SG_EEES9_SI_JZNS1_25segmented_radix_sort_implINS0_14default_configELb0EPKhPhPKlPlN2at6native12_GLOBAL__N_18offset_tEEE10hipError_tPvRmT1_PNSt15iterator_traitsIS12_E10value_typeET2_T3_PNS13_IS18_E10value_typeET4_jRbjT5_S1E_jjP12ihipStream_tbEUljE_ZNSN_ISO_Lb0ESQ_SR_ST_SU_SY_EESZ_S10_S11_S12_S16_S17_S18_S1B_S1C_jS1D_jS1E_S1E_jjS1G_bEUljE0_EEESZ_S10_S11_S18_S1C_S1E_T6_T7_T9_mT8_S1G_bDpT10_ENKUlT_T0_E_clISt17integral_constantIbLb1EES1T_IbLb0EEEEDaS1P_S1Q_EUlS1P_E_NS1_11comp_targetILNS1_3genE2ELNS1_11target_archE906ELNS1_3gpuE6ELNS1_3repE0EEENS1_30default_config_static_selectorELNS0_4arch9wavefront6targetE0EEEvS12_.num_vgpr, 0
	.set _ZN7rocprim17ROCPRIM_400000_NS6detail17trampoline_kernelINS0_13select_configILj256ELj13ELNS0_17block_load_methodE3ELS4_3ELS4_3ELNS0_20block_scan_algorithmE0ELj4294967295EEENS1_25partition_config_selectorILNS1_17partition_subalgoE4EjNS0_10empty_typeEbEEZZNS1_14partition_implILS8_4ELb0ES6_15HIP_vector_typeIjLj2EENS0_17counting_iteratorIjlEEPS9_SG_NS0_5tupleIJPjSI_NS0_16reverse_iteratorISI_EEEEENSH_IJSG_SG_SG_EEES9_SI_JZNS1_25segmented_radix_sort_implINS0_14default_configELb0EPKhPhPKlPlN2at6native12_GLOBAL__N_18offset_tEEE10hipError_tPvRmT1_PNSt15iterator_traitsIS12_E10value_typeET2_T3_PNS13_IS18_E10value_typeET4_jRbjT5_S1E_jjP12ihipStream_tbEUljE_ZNSN_ISO_Lb0ESQ_SR_ST_SU_SY_EESZ_S10_S11_S12_S16_S17_S18_S1B_S1C_jS1D_jS1E_S1E_jjS1G_bEUljE0_EEESZ_S10_S11_S18_S1C_S1E_T6_T7_T9_mT8_S1G_bDpT10_ENKUlT_T0_E_clISt17integral_constantIbLb1EES1T_IbLb0EEEEDaS1P_S1Q_EUlS1P_E_NS1_11comp_targetILNS1_3genE2ELNS1_11target_archE906ELNS1_3gpuE6ELNS1_3repE0EEENS1_30default_config_static_selectorELNS0_4arch9wavefront6targetE0EEEvS12_.num_agpr, 0
	.set _ZN7rocprim17ROCPRIM_400000_NS6detail17trampoline_kernelINS0_13select_configILj256ELj13ELNS0_17block_load_methodE3ELS4_3ELS4_3ELNS0_20block_scan_algorithmE0ELj4294967295EEENS1_25partition_config_selectorILNS1_17partition_subalgoE4EjNS0_10empty_typeEbEEZZNS1_14partition_implILS8_4ELb0ES6_15HIP_vector_typeIjLj2EENS0_17counting_iteratorIjlEEPS9_SG_NS0_5tupleIJPjSI_NS0_16reverse_iteratorISI_EEEEENSH_IJSG_SG_SG_EEES9_SI_JZNS1_25segmented_radix_sort_implINS0_14default_configELb0EPKhPhPKlPlN2at6native12_GLOBAL__N_18offset_tEEE10hipError_tPvRmT1_PNSt15iterator_traitsIS12_E10value_typeET2_T3_PNS13_IS18_E10value_typeET4_jRbjT5_S1E_jjP12ihipStream_tbEUljE_ZNSN_ISO_Lb0ESQ_SR_ST_SU_SY_EESZ_S10_S11_S12_S16_S17_S18_S1B_S1C_jS1D_jS1E_S1E_jjS1G_bEUljE0_EEESZ_S10_S11_S18_S1C_S1E_T6_T7_T9_mT8_S1G_bDpT10_ENKUlT_T0_E_clISt17integral_constantIbLb1EES1T_IbLb0EEEEDaS1P_S1Q_EUlS1P_E_NS1_11comp_targetILNS1_3genE2ELNS1_11target_archE906ELNS1_3gpuE6ELNS1_3repE0EEENS1_30default_config_static_selectorELNS0_4arch9wavefront6targetE0EEEvS12_.numbered_sgpr, 0
	.set _ZN7rocprim17ROCPRIM_400000_NS6detail17trampoline_kernelINS0_13select_configILj256ELj13ELNS0_17block_load_methodE3ELS4_3ELS4_3ELNS0_20block_scan_algorithmE0ELj4294967295EEENS1_25partition_config_selectorILNS1_17partition_subalgoE4EjNS0_10empty_typeEbEEZZNS1_14partition_implILS8_4ELb0ES6_15HIP_vector_typeIjLj2EENS0_17counting_iteratorIjlEEPS9_SG_NS0_5tupleIJPjSI_NS0_16reverse_iteratorISI_EEEEENSH_IJSG_SG_SG_EEES9_SI_JZNS1_25segmented_radix_sort_implINS0_14default_configELb0EPKhPhPKlPlN2at6native12_GLOBAL__N_18offset_tEEE10hipError_tPvRmT1_PNSt15iterator_traitsIS12_E10value_typeET2_T3_PNS13_IS18_E10value_typeET4_jRbjT5_S1E_jjP12ihipStream_tbEUljE_ZNSN_ISO_Lb0ESQ_SR_ST_SU_SY_EESZ_S10_S11_S12_S16_S17_S18_S1B_S1C_jS1D_jS1E_S1E_jjS1G_bEUljE0_EEESZ_S10_S11_S18_S1C_S1E_T6_T7_T9_mT8_S1G_bDpT10_ENKUlT_T0_E_clISt17integral_constantIbLb1EES1T_IbLb0EEEEDaS1P_S1Q_EUlS1P_E_NS1_11comp_targetILNS1_3genE2ELNS1_11target_archE906ELNS1_3gpuE6ELNS1_3repE0EEENS1_30default_config_static_selectorELNS0_4arch9wavefront6targetE0EEEvS12_.num_named_barrier, 0
	.set _ZN7rocprim17ROCPRIM_400000_NS6detail17trampoline_kernelINS0_13select_configILj256ELj13ELNS0_17block_load_methodE3ELS4_3ELS4_3ELNS0_20block_scan_algorithmE0ELj4294967295EEENS1_25partition_config_selectorILNS1_17partition_subalgoE4EjNS0_10empty_typeEbEEZZNS1_14partition_implILS8_4ELb0ES6_15HIP_vector_typeIjLj2EENS0_17counting_iteratorIjlEEPS9_SG_NS0_5tupleIJPjSI_NS0_16reverse_iteratorISI_EEEEENSH_IJSG_SG_SG_EEES9_SI_JZNS1_25segmented_radix_sort_implINS0_14default_configELb0EPKhPhPKlPlN2at6native12_GLOBAL__N_18offset_tEEE10hipError_tPvRmT1_PNSt15iterator_traitsIS12_E10value_typeET2_T3_PNS13_IS18_E10value_typeET4_jRbjT5_S1E_jjP12ihipStream_tbEUljE_ZNSN_ISO_Lb0ESQ_SR_ST_SU_SY_EESZ_S10_S11_S12_S16_S17_S18_S1B_S1C_jS1D_jS1E_S1E_jjS1G_bEUljE0_EEESZ_S10_S11_S18_S1C_S1E_T6_T7_T9_mT8_S1G_bDpT10_ENKUlT_T0_E_clISt17integral_constantIbLb1EES1T_IbLb0EEEEDaS1P_S1Q_EUlS1P_E_NS1_11comp_targetILNS1_3genE2ELNS1_11target_archE906ELNS1_3gpuE6ELNS1_3repE0EEENS1_30default_config_static_selectorELNS0_4arch9wavefront6targetE0EEEvS12_.private_seg_size, 0
	.set _ZN7rocprim17ROCPRIM_400000_NS6detail17trampoline_kernelINS0_13select_configILj256ELj13ELNS0_17block_load_methodE3ELS4_3ELS4_3ELNS0_20block_scan_algorithmE0ELj4294967295EEENS1_25partition_config_selectorILNS1_17partition_subalgoE4EjNS0_10empty_typeEbEEZZNS1_14partition_implILS8_4ELb0ES6_15HIP_vector_typeIjLj2EENS0_17counting_iteratorIjlEEPS9_SG_NS0_5tupleIJPjSI_NS0_16reverse_iteratorISI_EEEEENSH_IJSG_SG_SG_EEES9_SI_JZNS1_25segmented_radix_sort_implINS0_14default_configELb0EPKhPhPKlPlN2at6native12_GLOBAL__N_18offset_tEEE10hipError_tPvRmT1_PNSt15iterator_traitsIS12_E10value_typeET2_T3_PNS13_IS18_E10value_typeET4_jRbjT5_S1E_jjP12ihipStream_tbEUljE_ZNSN_ISO_Lb0ESQ_SR_ST_SU_SY_EESZ_S10_S11_S12_S16_S17_S18_S1B_S1C_jS1D_jS1E_S1E_jjS1G_bEUljE0_EEESZ_S10_S11_S18_S1C_S1E_T6_T7_T9_mT8_S1G_bDpT10_ENKUlT_T0_E_clISt17integral_constantIbLb1EES1T_IbLb0EEEEDaS1P_S1Q_EUlS1P_E_NS1_11comp_targetILNS1_3genE2ELNS1_11target_archE906ELNS1_3gpuE6ELNS1_3repE0EEENS1_30default_config_static_selectorELNS0_4arch9wavefront6targetE0EEEvS12_.uses_vcc, 0
	.set _ZN7rocprim17ROCPRIM_400000_NS6detail17trampoline_kernelINS0_13select_configILj256ELj13ELNS0_17block_load_methodE3ELS4_3ELS4_3ELNS0_20block_scan_algorithmE0ELj4294967295EEENS1_25partition_config_selectorILNS1_17partition_subalgoE4EjNS0_10empty_typeEbEEZZNS1_14partition_implILS8_4ELb0ES6_15HIP_vector_typeIjLj2EENS0_17counting_iteratorIjlEEPS9_SG_NS0_5tupleIJPjSI_NS0_16reverse_iteratorISI_EEEEENSH_IJSG_SG_SG_EEES9_SI_JZNS1_25segmented_radix_sort_implINS0_14default_configELb0EPKhPhPKlPlN2at6native12_GLOBAL__N_18offset_tEEE10hipError_tPvRmT1_PNSt15iterator_traitsIS12_E10value_typeET2_T3_PNS13_IS18_E10value_typeET4_jRbjT5_S1E_jjP12ihipStream_tbEUljE_ZNSN_ISO_Lb0ESQ_SR_ST_SU_SY_EESZ_S10_S11_S12_S16_S17_S18_S1B_S1C_jS1D_jS1E_S1E_jjS1G_bEUljE0_EEESZ_S10_S11_S18_S1C_S1E_T6_T7_T9_mT8_S1G_bDpT10_ENKUlT_T0_E_clISt17integral_constantIbLb1EES1T_IbLb0EEEEDaS1P_S1Q_EUlS1P_E_NS1_11comp_targetILNS1_3genE2ELNS1_11target_archE906ELNS1_3gpuE6ELNS1_3repE0EEENS1_30default_config_static_selectorELNS0_4arch9wavefront6targetE0EEEvS12_.uses_flat_scratch, 0
	.set _ZN7rocprim17ROCPRIM_400000_NS6detail17trampoline_kernelINS0_13select_configILj256ELj13ELNS0_17block_load_methodE3ELS4_3ELS4_3ELNS0_20block_scan_algorithmE0ELj4294967295EEENS1_25partition_config_selectorILNS1_17partition_subalgoE4EjNS0_10empty_typeEbEEZZNS1_14partition_implILS8_4ELb0ES6_15HIP_vector_typeIjLj2EENS0_17counting_iteratorIjlEEPS9_SG_NS0_5tupleIJPjSI_NS0_16reverse_iteratorISI_EEEEENSH_IJSG_SG_SG_EEES9_SI_JZNS1_25segmented_radix_sort_implINS0_14default_configELb0EPKhPhPKlPlN2at6native12_GLOBAL__N_18offset_tEEE10hipError_tPvRmT1_PNSt15iterator_traitsIS12_E10value_typeET2_T3_PNS13_IS18_E10value_typeET4_jRbjT5_S1E_jjP12ihipStream_tbEUljE_ZNSN_ISO_Lb0ESQ_SR_ST_SU_SY_EESZ_S10_S11_S12_S16_S17_S18_S1B_S1C_jS1D_jS1E_S1E_jjS1G_bEUljE0_EEESZ_S10_S11_S18_S1C_S1E_T6_T7_T9_mT8_S1G_bDpT10_ENKUlT_T0_E_clISt17integral_constantIbLb1EES1T_IbLb0EEEEDaS1P_S1Q_EUlS1P_E_NS1_11comp_targetILNS1_3genE2ELNS1_11target_archE906ELNS1_3gpuE6ELNS1_3repE0EEENS1_30default_config_static_selectorELNS0_4arch9wavefront6targetE0EEEvS12_.has_dyn_sized_stack, 0
	.set _ZN7rocprim17ROCPRIM_400000_NS6detail17trampoline_kernelINS0_13select_configILj256ELj13ELNS0_17block_load_methodE3ELS4_3ELS4_3ELNS0_20block_scan_algorithmE0ELj4294967295EEENS1_25partition_config_selectorILNS1_17partition_subalgoE4EjNS0_10empty_typeEbEEZZNS1_14partition_implILS8_4ELb0ES6_15HIP_vector_typeIjLj2EENS0_17counting_iteratorIjlEEPS9_SG_NS0_5tupleIJPjSI_NS0_16reverse_iteratorISI_EEEEENSH_IJSG_SG_SG_EEES9_SI_JZNS1_25segmented_radix_sort_implINS0_14default_configELb0EPKhPhPKlPlN2at6native12_GLOBAL__N_18offset_tEEE10hipError_tPvRmT1_PNSt15iterator_traitsIS12_E10value_typeET2_T3_PNS13_IS18_E10value_typeET4_jRbjT5_S1E_jjP12ihipStream_tbEUljE_ZNSN_ISO_Lb0ESQ_SR_ST_SU_SY_EESZ_S10_S11_S12_S16_S17_S18_S1B_S1C_jS1D_jS1E_S1E_jjS1G_bEUljE0_EEESZ_S10_S11_S18_S1C_S1E_T6_T7_T9_mT8_S1G_bDpT10_ENKUlT_T0_E_clISt17integral_constantIbLb1EES1T_IbLb0EEEEDaS1P_S1Q_EUlS1P_E_NS1_11comp_targetILNS1_3genE2ELNS1_11target_archE906ELNS1_3gpuE6ELNS1_3repE0EEENS1_30default_config_static_selectorELNS0_4arch9wavefront6targetE0EEEvS12_.has_recursion, 0
	.set _ZN7rocprim17ROCPRIM_400000_NS6detail17trampoline_kernelINS0_13select_configILj256ELj13ELNS0_17block_load_methodE3ELS4_3ELS4_3ELNS0_20block_scan_algorithmE0ELj4294967295EEENS1_25partition_config_selectorILNS1_17partition_subalgoE4EjNS0_10empty_typeEbEEZZNS1_14partition_implILS8_4ELb0ES6_15HIP_vector_typeIjLj2EENS0_17counting_iteratorIjlEEPS9_SG_NS0_5tupleIJPjSI_NS0_16reverse_iteratorISI_EEEEENSH_IJSG_SG_SG_EEES9_SI_JZNS1_25segmented_radix_sort_implINS0_14default_configELb0EPKhPhPKlPlN2at6native12_GLOBAL__N_18offset_tEEE10hipError_tPvRmT1_PNSt15iterator_traitsIS12_E10value_typeET2_T3_PNS13_IS18_E10value_typeET4_jRbjT5_S1E_jjP12ihipStream_tbEUljE_ZNSN_ISO_Lb0ESQ_SR_ST_SU_SY_EESZ_S10_S11_S12_S16_S17_S18_S1B_S1C_jS1D_jS1E_S1E_jjS1G_bEUljE0_EEESZ_S10_S11_S18_S1C_S1E_T6_T7_T9_mT8_S1G_bDpT10_ENKUlT_T0_E_clISt17integral_constantIbLb1EES1T_IbLb0EEEEDaS1P_S1Q_EUlS1P_E_NS1_11comp_targetILNS1_3genE2ELNS1_11target_archE906ELNS1_3gpuE6ELNS1_3repE0EEENS1_30default_config_static_selectorELNS0_4arch9wavefront6targetE0EEEvS12_.has_indirect_call, 0
	.section	.AMDGPU.csdata,"",@progbits
; Kernel info:
; codeLenInByte = 0
; TotalNumSgprs: 0
; NumVgprs: 0
; ScratchSize: 0
; MemoryBound: 0
; FloatMode: 240
; IeeeMode: 1
; LDSByteSize: 0 bytes/workgroup (compile time only)
; SGPRBlocks: 0
; VGPRBlocks: 0
; NumSGPRsForWavesPerEU: 1
; NumVGPRsForWavesPerEU: 1
; NamedBarCnt: 0
; Occupancy: 16
; WaveLimiterHint : 0
; COMPUTE_PGM_RSRC2:SCRATCH_EN: 0
; COMPUTE_PGM_RSRC2:USER_SGPR: 2
; COMPUTE_PGM_RSRC2:TRAP_HANDLER: 0
; COMPUTE_PGM_RSRC2:TGID_X_EN: 1
; COMPUTE_PGM_RSRC2:TGID_Y_EN: 0
; COMPUTE_PGM_RSRC2:TGID_Z_EN: 0
; COMPUTE_PGM_RSRC2:TIDIG_COMP_CNT: 0
	.section	.text._ZN7rocprim17ROCPRIM_400000_NS6detail17trampoline_kernelINS0_13select_configILj256ELj13ELNS0_17block_load_methodE3ELS4_3ELS4_3ELNS0_20block_scan_algorithmE0ELj4294967295EEENS1_25partition_config_selectorILNS1_17partition_subalgoE4EjNS0_10empty_typeEbEEZZNS1_14partition_implILS8_4ELb0ES6_15HIP_vector_typeIjLj2EENS0_17counting_iteratorIjlEEPS9_SG_NS0_5tupleIJPjSI_NS0_16reverse_iteratorISI_EEEEENSH_IJSG_SG_SG_EEES9_SI_JZNS1_25segmented_radix_sort_implINS0_14default_configELb0EPKhPhPKlPlN2at6native12_GLOBAL__N_18offset_tEEE10hipError_tPvRmT1_PNSt15iterator_traitsIS12_E10value_typeET2_T3_PNS13_IS18_E10value_typeET4_jRbjT5_S1E_jjP12ihipStream_tbEUljE_ZNSN_ISO_Lb0ESQ_SR_ST_SU_SY_EESZ_S10_S11_S12_S16_S17_S18_S1B_S1C_jS1D_jS1E_S1E_jjS1G_bEUljE0_EEESZ_S10_S11_S18_S1C_S1E_T6_T7_T9_mT8_S1G_bDpT10_ENKUlT_T0_E_clISt17integral_constantIbLb1EES1T_IbLb0EEEEDaS1P_S1Q_EUlS1P_E_NS1_11comp_targetILNS1_3genE10ELNS1_11target_archE1200ELNS1_3gpuE4ELNS1_3repE0EEENS1_30default_config_static_selectorELNS0_4arch9wavefront6targetE0EEEvS12_,"axG",@progbits,_ZN7rocprim17ROCPRIM_400000_NS6detail17trampoline_kernelINS0_13select_configILj256ELj13ELNS0_17block_load_methodE3ELS4_3ELS4_3ELNS0_20block_scan_algorithmE0ELj4294967295EEENS1_25partition_config_selectorILNS1_17partition_subalgoE4EjNS0_10empty_typeEbEEZZNS1_14partition_implILS8_4ELb0ES6_15HIP_vector_typeIjLj2EENS0_17counting_iteratorIjlEEPS9_SG_NS0_5tupleIJPjSI_NS0_16reverse_iteratorISI_EEEEENSH_IJSG_SG_SG_EEES9_SI_JZNS1_25segmented_radix_sort_implINS0_14default_configELb0EPKhPhPKlPlN2at6native12_GLOBAL__N_18offset_tEEE10hipError_tPvRmT1_PNSt15iterator_traitsIS12_E10value_typeET2_T3_PNS13_IS18_E10value_typeET4_jRbjT5_S1E_jjP12ihipStream_tbEUljE_ZNSN_ISO_Lb0ESQ_SR_ST_SU_SY_EESZ_S10_S11_S12_S16_S17_S18_S1B_S1C_jS1D_jS1E_S1E_jjS1G_bEUljE0_EEESZ_S10_S11_S18_S1C_S1E_T6_T7_T9_mT8_S1G_bDpT10_ENKUlT_T0_E_clISt17integral_constantIbLb1EES1T_IbLb0EEEEDaS1P_S1Q_EUlS1P_E_NS1_11comp_targetILNS1_3genE10ELNS1_11target_archE1200ELNS1_3gpuE4ELNS1_3repE0EEENS1_30default_config_static_selectorELNS0_4arch9wavefront6targetE0EEEvS12_,comdat
	.globl	_ZN7rocprim17ROCPRIM_400000_NS6detail17trampoline_kernelINS0_13select_configILj256ELj13ELNS0_17block_load_methodE3ELS4_3ELS4_3ELNS0_20block_scan_algorithmE0ELj4294967295EEENS1_25partition_config_selectorILNS1_17partition_subalgoE4EjNS0_10empty_typeEbEEZZNS1_14partition_implILS8_4ELb0ES6_15HIP_vector_typeIjLj2EENS0_17counting_iteratorIjlEEPS9_SG_NS0_5tupleIJPjSI_NS0_16reverse_iteratorISI_EEEEENSH_IJSG_SG_SG_EEES9_SI_JZNS1_25segmented_radix_sort_implINS0_14default_configELb0EPKhPhPKlPlN2at6native12_GLOBAL__N_18offset_tEEE10hipError_tPvRmT1_PNSt15iterator_traitsIS12_E10value_typeET2_T3_PNS13_IS18_E10value_typeET4_jRbjT5_S1E_jjP12ihipStream_tbEUljE_ZNSN_ISO_Lb0ESQ_SR_ST_SU_SY_EESZ_S10_S11_S12_S16_S17_S18_S1B_S1C_jS1D_jS1E_S1E_jjS1G_bEUljE0_EEESZ_S10_S11_S18_S1C_S1E_T6_T7_T9_mT8_S1G_bDpT10_ENKUlT_T0_E_clISt17integral_constantIbLb1EES1T_IbLb0EEEEDaS1P_S1Q_EUlS1P_E_NS1_11comp_targetILNS1_3genE10ELNS1_11target_archE1200ELNS1_3gpuE4ELNS1_3repE0EEENS1_30default_config_static_selectorELNS0_4arch9wavefront6targetE0EEEvS12_ ; -- Begin function _ZN7rocprim17ROCPRIM_400000_NS6detail17trampoline_kernelINS0_13select_configILj256ELj13ELNS0_17block_load_methodE3ELS4_3ELS4_3ELNS0_20block_scan_algorithmE0ELj4294967295EEENS1_25partition_config_selectorILNS1_17partition_subalgoE4EjNS0_10empty_typeEbEEZZNS1_14partition_implILS8_4ELb0ES6_15HIP_vector_typeIjLj2EENS0_17counting_iteratorIjlEEPS9_SG_NS0_5tupleIJPjSI_NS0_16reverse_iteratorISI_EEEEENSH_IJSG_SG_SG_EEES9_SI_JZNS1_25segmented_radix_sort_implINS0_14default_configELb0EPKhPhPKlPlN2at6native12_GLOBAL__N_18offset_tEEE10hipError_tPvRmT1_PNSt15iterator_traitsIS12_E10value_typeET2_T3_PNS13_IS18_E10value_typeET4_jRbjT5_S1E_jjP12ihipStream_tbEUljE_ZNSN_ISO_Lb0ESQ_SR_ST_SU_SY_EESZ_S10_S11_S12_S16_S17_S18_S1B_S1C_jS1D_jS1E_S1E_jjS1G_bEUljE0_EEESZ_S10_S11_S18_S1C_S1E_T6_T7_T9_mT8_S1G_bDpT10_ENKUlT_T0_E_clISt17integral_constantIbLb1EES1T_IbLb0EEEEDaS1P_S1Q_EUlS1P_E_NS1_11comp_targetILNS1_3genE10ELNS1_11target_archE1200ELNS1_3gpuE4ELNS1_3repE0EEENS1_30default_config_static_selectorELNS0_4arch9wavefront6targetE0EEEvS12_
	.p2align	8
	.type	_ZN7rocprim17ROCPRIM_400000_NS6detail17trampoline_kernelINS0_13select_configILj256ELj13ELNS0_17block_load_methodE3ELS4_3ELS4_3ELNS0_20block_scan_algorithmE0ELj4294967295EEENS1_25partition_config_selectorILNS1_17partition_subalgoE4EjNS0_10empty_typeEbEEZZNS1_14partition_implILS8_4ELb0ES6_15HIP_vector_typeIjLj2EENS0_17counting_iteratorIjlEEPS9_SG_NS0_5tupleIJPjSI_NS0_16reverse_iteratorISI_EEEEENSH_IJSG_SG_SG_EEES9_SI_JZNS1_25segmented_radix_sort_implINS0_14default_configELb0EPKhPhPKlPlN2at6native12_GLOBAL__N_18offset_tEEE10hipError_tPvRmT1_PNSt15iterator_traitsIS12_E10value_typeET2_T3_PNS13_IS18_E10value_typeET4_jRbjT5_S1E_jjP12ihipStream_tbEUljE_ZNSN_ISO_Lb0ESQ_SR_ST_SU_SY_EESZ_S10_S11_S12_S16_S17_S18_S1B_S1C_jS1D_jS1E_S1E_jjS1G_bEUljE0_EEESZ_S10_S11_S18_S1C_S1E_T6_T7_T9_mT8_S1G_bDpT10_ENKUlT_T0_E_clISt17integral_constantIbLb1EES1T_IbLb0EEEEDaS1P_S1Q_EUlS1P_E_NS1_11comp_targetILNS1_3genE10ELNS1_11target_archE1200ELNS1_3gpuE4ELNS1_3repE0EEENS1_30default_config_static_selectorELNS0_4arch9wavefront6targetE0EEEvS12_,@function
_ZN7rocprim17ROCPRIM_400000_NS6detail17trampoline_kernelINS0_13select_configILj256ELj13ELNS0_17block_load_methodE3ELS4_3ELS4_3ELNS0_20block_scan_algorithmE0ELj4294967295EEENS1_25partition_config_selectorILNS1_17partition_subalgoE4EjNS0_10empty_typeEbEEZZNS1_14partition_implILS8_4ELb0ES6_15HIP_vector_typeIjLj2EENS0_17counting_iteratorIjlEEPS9_SG_NS0_5tupleIJPjSI_NS0_16reverse_iteratorISI_EEEEENSH_IJSG_SG_SG_EEES9_SI_JZNS1_25segmented_radix_sort_implINS0_14default_configELb0EPKhPhPKlPlN2at6native12_GLOBAL__N_18offset_tEEE10hipError_tPvRmT1_PNSt15iterator_traitsIS12_E10value_typeET2_T3_PNS13_IS18_E10value_typeET4_jRbjT5_S1E_jjP12ihipStream_tbEUljE_ZNSN_ISO_Lb0ESQ_SR_ST_SU_SY_EESZ_S10_S11_S12_S16_S17_S18_S1B_S1C_jS1D_jS1E_S1E_jjS1G_bEUljE0_EEESZ_S10_S11_S18_S1C_S1E_T6_T7_T9_mT8_S1G_bDpT10_ENKUlT_T0_E_clISt17integral_constantIbLb1EES1T_IbLb0EEEEDaS1P_S1Q_EUlS1P_E_NS1_11comp_targetILNS1_3genE10ELNS1_11target_archE1200ELNS1_3gpuE4ELNS1_3repE0EEENS1_30default_config_static_selectorELNS0_4arch9wavefront6targetE0EEEvS12_: ; @_ZN7rocprim17ROCPRIM_400000_NS6detail17trampoline_kernelINS0_13select_configILj256ELj13ELNS0_17block_load_methodE3ELS4_3ELS4_3ELNS0_20block_scan_algorithmE0ELj4294967295EEENS1_25partition_config_selectorILNS1_17partition_subalgoE4EjNS0_10empty_typeEbEEZZNS1_14partition_implILS8_4ELb0ES6_15HIP_vector_typeIjLj2EENS0_17counting_iteratorIjlEEPS9_SG_NS0_5tupleIJPjSI_NS0_16reverse_iteratorISI_EEEEENSH_IJSG_SG_SG_EEES9_SI_JZNS1_25segmented_radix_sort_implINS0_14default_configELb0EPKhPhPKlPlN2at6native12_GLOBAL__N_18offset_tEEE10hipError_tPvRmT1_PNSt15iterator_traitsIS12_E10value_typeET2_T3_PNS13_IS18_E10value_typeET4_jRbjT5_S1E_jjP12ihipStream_tbEUljE_ZNSN_ISO_Lb0ESQ_SR_ST_SU_SY_EESZ_S10_S11_S12_S16_S17_S18_S1B_S1C_jS1D_jS1E_S1E_jjS1G_bEUljE0_EEESZ_S10_S11_S18_S1C_S1E_T6_T7_T9_mT8_S1G_bDpT10_ENKUlT_T0_E_clISt17integral_constantIbLb1EES1T_IbLb0EEEEDaS1P_S1Q_EUlS1P_E_NS1_11comp_targetILNS1_3genE10ELNS1_11target_archE1200ELNS1_3gpuE4ELNS1_3repE0EEENS1_30default_config_static_selectorELNS0_4arch9wavefront6targetE0EEEvS12_
; %bb.0:
	.section	.rodata,"a",@progbits
	.p2align	6, 0x0
	.amdhsa_kernel _ZN7rocprim17ROCPRIM_400000_NS6detail17trampoline_kernelINS0_13select_configILj256ELj13ELNS0_17block_load_methodE3ELS4_3ELS4_3ELNS0_20block_scan_algorithmE0ELj4294967295EEENS1_25partition_config_selectorILNS1_17partition_subalgoE4EjNS0_10empty_typeEbEEZZNS1_14partition_implILS8_4ELb0ES6_15HIP_vector_typeIjLj2EENS0_17counting_iteratorIjlEEPS9_SG_NS0_5tupleIJPjSI_NS0_16reverse_iteratorISI_EEEEENSH_IJSG_SG_SG_EEES9_SI_JZNS1_25segmented_radix_sort_implINS0_14default_configELb0EPKhPhPKlPlN2at6native12_GLOBAL__N_18offset_tEEE10hipError_tPvRmT1_PNSt15iterator_traitsIS12_E10value_typeET2_T3_PNS13_IS18_E10value_typeET4_jRbjT5_S1E_jjP12ihipStream_tbEUljE_ZNSN_ISO_Lb0ESQ_SR_ST_SU_SY_EESZ_S10_S11_S12_S16_S17_S18_S1B_S1C_jS1D_jS1E_S1E_jjS1G_bEUljE0_EEESZ_S10_S11_S18_S1C_S1E_T6_T7_T9_mT8_S1G_bDpT10_ENKUlT_T0_E_clISt17integral_constantIbLb1EES1T_IbLb0EEEEDaS1P_S1Q_EUlS1P_E_NS1_11comp_targetILNS1_3genE10ELNS1_11target_archE1200ELNS1_3gpuE4ELNS1_3repE0EEENS1_30default_config_static_selectorELNS0_4arch9wavefront6targetE0EEEvS12_
		.amdhsa_group_segment_fixed_size 0
		.amdhsa_private_segment_fixed_size 0
		.amdhsa_kernarg_size 176
		.amdhsa_user_sgpr_count 2
		.amdhsa_user_sgpr_dispatch_ptr 0
		.amdhsa_user_sgpr_queue_ptr 0
		.amdhsa_user_sgpr_kernarg_segment_ptr 1
		.amdhsa_user_sgpr_dispatch_id 0
		.amdhsa_user_sgpr_kernarg_preload_length 0
		.amdhsa_user_sgpr_kernarg_preload_offset 0
		.amdhsa_user_sgpr_private_segment_size 0
		.amdhsa_wavefront_size32 1
		.amdhsa_uses_dynamic_stack 0
		.amdhsa_enable_private_segment 0
		.amdhsa_system_sgpr_workgroup_id_x 1
		.amdhsa_system_sgpr_workgroup_id_y 0
		.amdhsa_system_sgpr_workgroup_id_z 0
		.amdhsa_system_sgpr_workgroup_info 0
		.amdhsa_system_vgpr_workitem_id 0
		.amdhsa_next_free_vgpr 1
		.amdhsa_next_free_sgpr 1
		.amdhsa_named_barrier_count 0
		.amdhsa_reserve_vcc 0
		.amdhsa_float_round_mode_32 0
		.amdhsa_float_round_mode_16_64 0
		.amdhsa_float_denorm_mode_32 3
		.amdhsa_float_denorm_mode_16_64 3
		.amdhsa_fp16_overflow 0
		.amdhsa_memory_ordered 1
		.amdhsa_forward_progress 1
		.amdhsa_inst_pref_size 0
		.amdhsa_round_robin_scheduling 0
		.amdhsa_exception_fp_ieee_invalid_op 0
		.amdhsa_exception_fp_denorm_src 0
		.amdhsa_exception_fp_ieee_div_zero 0
		.amdhsa_exception_fp_ieee_overflow 0
		.amdhsa_exception_fp_ieee_underflow 0
		.amdhsa_exception_fp_ieee_inexact 0
		.amdhsa_exception_int_div_zero 0
	.end_amdhsa_kernel
	.section	.text._ZN7rocprim17ROCPRIM_400000_NS6detail17trampoline_kernelINS0_13select_configILj256ELj13ELNS0_17block_load_methodE3ELS4_3ELS4_3ELNS0_20block_scan_algorithmE0ELj4294967295EEENS1_25partition_config_selectorILNS1_17partition_subalgoE4EjNS0_10empty_typeEbEEZZNS1_14partition_implILS8_4ELb0ES6_15HIP_vector_typeIjLj2EENS0_17counting_iteratorIjlEEPS9_SG_NS0_5tupleIJPjSI_NS0_16reverse_iteratorISI_EEEEENSH_IJSG_SG_SG_EEES9_SI_JZNS1_25segmented_radix_sort_implINS0_14default_configELb0EPKhPhPKlPlN2at6native12_GLOBAL__N_18offset_tEEE10hipError_tPvRmT1_PNSt15iterator_traitsIS12_E10value_typeET2_T3_PNS13_IS18_E10value_typeET4_jRbjT5_S1E_jjP12ihipStream_tbEUljE_ZNSN_ISO_Lb0ESQ_SR_ST_SU_SY_EESZ_S10_S11_S12_S16_S17_S18_S1B_S1C_jS1D_jS1E_S1E_jjS1G_bEUljE0_EEESZ_S10_S11_S18_S1C_S1E_T6_T7_T9_mT8_S1G_bDpT10_ENKUlT_T0_E_clISt17integral_constantIbLb1EES1T_IbLb0EEEEDaS1P_S1Q_EUlS1P_E_NS1_11comp_targetILNS1_3genE10ELNS1_11target_archE1200ELNS1_3gpuE4ELNS1_3repE0EEENS1_30default_config_static_selectorELNS0_4arch9wavefront6targetE0EEEvS12_,"axG",@progbits,_ZN7rocprim17ROCPRIM_400000_NS6detail17trampoline_kernelINS0_13select_configILj256ELj13ELNS0_17block_load_methodE3ELS4_3ELS4_3ELNS0_20block_scan_algorithmE0ELj4294967295EEENS1_25partition_config_selectorILNS1_17partition_subalgoE4EjNS0_10empty_typeEbEEZZNS1_14partition_implILS8_4ELb0ES6_15HIP_vector_typeIjLj2EENS0_17counting_iteratorIjlEEPS9_SG_NS0_5tupleIJPjSI_NS0_16reverse_iteratorISI_EEEEENSH_IJSG_SG_SG_EEES9_SI_JZNS1_25segmented_radix_sort_implINS0_14default_configELb0EPKhPhPKlPlN2at6native12_GLOBAL__N_18offset_tEEE10hipError_tPvRmT1_PNSt15iterator_traitsIS12_E10value_typeET2_T3_PNS13_IS18_E10value_typeET4_jRbjT5_S1E_jjP12ihipStream_tbEUljE_ZNSN_ISO_Lb0ESQ_SR_ST_SU_SY_EESZ_S10_S11_S12_S16_S17_S18_S1B_S1C_jS1D_jS1E_S1E_jjS1G_bEUljE0_EEESZ_S10_S11_S18_S1C_S1E_T6_T7_T9_mT8_S1G_bDpT10_ENKUlT_T0_E_clISt17integral_constantIbLb1EES1T_IbLb0EEEEDaS1P_S1Q_EUlS1P_E_NS1_11comp_targetILNS1_3genE10ELNS1_11target_archE1200ELNS1_3gpuE4ELNS1_3repE0EEENS1_30default_config_static_selectorELNS0_4arch9wavefront6targetE0EEEvS12_,comdat
.Lfunc_end142:
	.size	_ZN7rocprim17ROCPRIM_400000_NS6detail17trampoline_kernelINS0_13select_configILj256ELj13ELNS0_17block_load_methodE3ELS4_3ELS4_3ELNS0_20block_scan_algorithmE0ELj4294967295EEENS1_25partition_config_selectorILNS1_17partition_subalgoE4EjNS0_10empty_typeEbEEZZNS1_14partition_implILS8_4ELb0ES6_15HIP_vector_typeIjLj2EENS0_17counting_iteratorIjlEEPS9_SG_NS0_5tupleIJPjSI_NS0_16reverse_iteratorISI_EEEEENSH_IJSG_SG_SG_EEES9_SI_JZNS1_25segmented_radix_sort_implINS0_14default_configELb0EPKhPhPKlPlN2at6native12_GLOBAL__N_18offset_tEEE10hipError_tPvRmT1_PNSt15iterator_traitsIS12_E10value_typeET2_T3_PNS13_IS18_E10value_typeET4_jRbjT5_S1E_jjP12ihipStream_tbEUljE_ZNSN_ISO_Lb0ESQ_SR_ST_SU_SY_EESZ_S10_S11_S12_S16_S17_S18_S1B_S1C_jS1D_jS1E_S1E_jjS1G_bEUljE0_EEESZ_S10_S11_S18_S1C_S1E_T6_T7_T9_mT8_S1G_bDpT10_ENKUlT_T0_E_clISt17integral_constantIbLb1EES1T_IbLb0EEEEDaS1P_S1Q_EUlS1P_E_NS1_11comp_targetILNS1_3genE10ELNS1_11target_archE1200ELNS1_3gpuE4ELNS1_3repE0EEENS1_30default_config_static_selectorELNS0_4arch9wavefront6targetE0EEEvS12_, .Lfunc_end142-_ZN7rocprim17ROCPRIM_400000_NS6detail17trampoline_kernelINS0_13select_configILj256ELj13ELNS0_17block_load_methodE3ELS4_3ELS4_3ELNS0_20block_scan_algorithmE0ELj4294967295EEENS1_25partition_config_selectorILNS1_17partition_subalgoE4EjNS0_10empty_typeEbEEZZNS1_14partition_implILS8_4ELb0ES6_15HIP_vector_typeIjLj2EENS0_17counting_iteratorIjlEEPS9_SG_NS0_5tupleIJPjSI_NS0_16reverse_iteratorISI_EEEEENSH_IJSG_SG_SG_EEES9_SI_JZNS1_25segmented_radix_sort_implINS0_14default_configELb0EPKhPhPKlPlN2at6native12_GLOBAL__N_18offset_tEEE10hipError_tPvRmT1_PNSt15iterator_traitsIS12_E10value_typeET2_T3_PNS13_IS18_E10value_typeET4_jRbjT5_S1E_jjP12ihipStream_tbEUljE_ZNSN_ISO_Lb0ESQ_SR_ST_SU_SY_EESZ_S10_S11_S12_S16_S17_S18_S1B_S1C_jS1D_jS1E_S1E_jjS1G_bEUljE0_EEESZ_S10_S11_S18_S1C_S1E_T6_T7_T9_mT8_S1G_bDpT10_ENKUlT_T0_E_clISt17integral_constantIbLb1EES1T_IbLb0EEEEDaS1P_S1Q_EUlS1P_E_NS1_11comp_targetILNS1_3genE10ELNS1_11target_archE1200ELNS1_3gpuE4ELNS1_3repE0EEENS1_30default_config_static_selectorELNS0_4arch9wavefront6targetE0EEEvS12_
                                        ; -- End function
	.set _ZN7rocprim17ROCPRIM_400000_NS6detail17trampoline_kernelINS0_13select_configILj256ELj13ELNS0_17block_load_methodE3ELS4_3ELS4_3ELNS0_20block_scan_algorithmE0ELj4294967295EEENS1_25partition_config_selectorILNS1_17partition_subalgoE4EjNS0_10empty_typeEbEEZZNS1_14partition_implILS8_4ELb0ES6_15HIP_vector_typeIjLj2EENS0_17counting_iteratorIjlEEPS9_SG_NS0_5tupleIJPjSI_NS0_16reverse_iteratorISI_EEEEENSH_IJSG_SG_SG_EEES9_SI_JZNS1_25segmented_radix_sort_implINS0_14default_configELb0EPKhPhPKlPlN2at6native12_GLOBAL__N_18offset_tEEE10hipError_tPvRmT1_PNSt15iterator_traitsIS12_E10value_typeET2_T3_PNS13_IS18_E10value_typeET4_jRbjT5_S1E_jjP12ihipStream_tbEUljE_ZNSN_ISO_Lb0ESQ_SR_ST_SU_SY_EESZ_S10_S11_S12_S16_S17_S18_S1B_S1C_jS1D_jS1E_S1E_jjS1G_bEUljE0_EEESZ_S10_S11_S18_S1C_S1E_T6_T7_T9_mT8_S1G_bDpT10_ENKUlT_T0_E_clISt17integral_constantIbLb1EES1T_IbLb0EEEEDaS1P_S1Q_EUlS1P_E_NS1_11comp_targetILNS1_3genE10ELNS1_11target_archE1200ELNS1_3gpuE4ELNS1_3repE0EEENS1_30default_config_static_selectorELNS0_4arch9wavefront6targetE0EEEvS12_.num_vgpr, 0
	.set _ZN7rocprim17ROCPRIM_400000_NS6detail17trampoline_kernelINS0_13select_configILj256ELj13ELNS0_17block_load_methodE3ELS4_3ELS4_3ELNS0_20block_scan_algorithmE0ELj4294967295EEENS1_25partition_config_selectorILNS1_17partition_subalgoE4EjNS0_10empty_typeEbEEZZNS1_14partition_implILS8_4ELb0ES6_15HIP_vector_typeIjLj2EENS0_17counting_iteratorIjlEEPS9_SG_NS0_5tupleIJPjSI_NS0_16reverse_iteratorISI_EEEEENSH_IJSG_SG_SG_EEES9_SI_JZNS1_25segmented_radix_sort_implINS0_14default_configELb0EPKhPhPKlPlN2at6native12_GLOBAL__N_18offset_tEEE10hipError_tPvRmT1_PNSt15iterator_traitsIS12_E10value_typeET2_T3_PNS13_IS18_E10value_typeET4_jRbjT5_S1E_jjP12ihipStream_tbEUljE_ZNSN_ISO_Lb0ESQ_SR_ST_SU_SY_EESZ_S10_S11_S12_S16_S17_S18_S1B_S1C_jS1D_jS1E_S1E_jjS1G_bEUljE0_EEESZ_S10_S11_S18_S1C_S1E_T6_T7_T9_mT8_S1G_bDpT10_ENKUlT_T0_E_clISt17integral_constantIbLb1EES1T_IbLb0EEEEDaS1P_S1Q_EUlS1P_E_NS1_11comp_targetILNS1_3genE10ELNS1_11target_archE1200ELNS1_3gpuE4ELNS1_3repE0EEENS1_30default_config_static_selectorELNS0_4arch9wavefront6targetE0EEEvS12_.num_agpr, 0
	.set _ZN7rocprim17ROCPRIM_400000_NS6detail17trampoline_kernelINS0_13select_configILj256ELj13ELNS0_17block_load_methodE3ELS4_3ELS4_3ELNS0_20block_scan_algorithmE0ELj4294967295EEENS1_25partition_config_selectorILNS1_17partition_subalgoE4EjNS0_10empty_typeEbEEZZNS1_14partition_implILS8_4ELb0ES6_15HIP_vector_typeIjLj2EENS0_17counting_iteratorIjlEEPS9_SG_NS0_5tupleIJPjSI_NS0_16reverse_iteratorISI_EEEEENSH_IJSG_SG_SG_EEES9_SI_JZNS1_25segmented_radix_sort_implINS0_14default_configELb0EPKhPhPKlPlN2at6native12_GLOBAL__N_18offset_tEEE10hipError_tPvRmT1_PNSt15iterator_traitsIS12_E10value_typeET2_T3_PNS13_IS18_E10value_typeET4_jRbjT5_S1E_jjP12ihipStream_tbEUljE_ZNSN_ISO_Lb0ESQ_SR_ST_SU_SY_EESZ_S10_S11_S12_S16_S17_S18_S1B_S1C_jS1D_jS1E_S1E_jjS1G_bEUljE0_EEESZ_S10_S11_S18_S1C_S1E_T6_T7_T9_mT8_S1G_bDpT10_ENKUlT_T0_E_clISt17integral_constantIbLb1EES1T_IbLb0EEEEDaS1P_S1Q_EUlS1P_E_NS1_11comp_targetILNS1_3genE10ELNS1_11target_archE1200ELNS1_3gpuE4ELNS1_3repE0EEENS1_30default_config_static_selectorELNS0_4arch9wavefront6targetE0EEEvS12_.numbered_sgpr, 0
	.set _ZN7rocprim17ROCPRIM_400000_NS6detail17trampoline_kernelINS0_13select_configILj256ELj13ELNS0_17block_load_methodE3ELS4_3ELS4_3ELNS0_20block_scan_algorithmE0ELj4294967295EEENS1_25partition_config_selectorILNS1_17partition_subalgoE4EjNS0_10empty_typeEbEEZZNS1_14partition_implILS8_4ELb0ES6_15HIP_vector_typeIjLj2EENS0_17counting_iteratorIjlEEPS9_SG_NS0_5tupleIJPjSI_NS0_16reverse_iteratorISI_EEEEENSH_IJSG_SG_SG_EEES9_SI_JZNS1_25segmented_radix_sort_implINS0_14default_configELb0EPKhPhPKlPlN2at6native12_GLOBAL__N_18offset_tEEE10hipError_tPvRmT1_PNSt15iterator_traitsIS12_E10value_typeET2_T3_PNS13_IS18_E10value_typeET4_jRbjT5_S1E_jjP12ihipStream_tbEUljE_ZNSN_ISO_Lb0ESQ_SR_ST_SU_SY_EESZ_S10_S11_S12_S16_S17_S18_S1B_S1C_jS1D_jS1E_S1E_jjS1G_bEUljE0_EEESZ_S10_S11_S18_S1C_S1E_T6_T7_T9_mT8_S1G_bDpT10_ENKUlT_T0_E_clISt17integral_constantIbLb1EES1T_IbLb0EEEEDaS1P_S1Q_EUlS1P_E_NS1_11comp_targetILNS1_3genE10ELNS1_11target_archE1200ELNS1_3gpuE4ELNS1_3repE0EEENS1_30default_config_static_selectorELNS0_4arch9wavefront6targetE0EEEvS12_.num_named_barrier, 0
	.set _ZN7rocprim17ROCPRIM_400000_NS6detail17trampoline_kernelINS0_13select_configILj256ELj13ELNS0_17block_load_methodE3ELS4_3ELS4_3ELNS0_20block_scan_algorithmE0ELj4294967295EEENS1_25partition_config_selectorILNS1_17partition_subalgoE4EjNS0_10empty_typeEbEEZZNS1_14partition_implILS8_4ELb0ES6_15HIP_vector_typeIjLj2EENS0_17counting_iteratorIjlEEPS9_SG_NS0_5tupleIJPjSI_NS0_16reverse_iteratorISI_EEEEENSH_IJSG_SG_SG_EEES9_SI_JZNS1_25segmented_radix_sort_implINS0_14default_configELb0EPKhPhPKlPlN2at6native12_GLOBAL__N_18offset_tEEE10hipError_tPvRmT1_PNSt15iterator_traitsIS12_E10value_typeET2_T3_PNS13_IS18_E10value_typeET4_jRbjT5_S1E_jjP12ihipStream_tbEUljE_ZNSN_ISO_Lb0ESQ_SR_ST_SU_SY_EESZ_S10_S11_S12_S16_S17_S18_S1B_S1C_jS1D_jS1E_S1E_jjS1G_bEUljE0_EEESZ_S10_S11_S18_S1C_S1E_T6_T7_T9_mT8_S1G_bDpT10_ENKUlT_T0_E_clISt17integral_constantIbLb1EES1T_IbLb0EEEEDaS1P_S1Q_EUlS1P_E_NS1_11comp_targetILNS1_3genE10ELNS1_11target_archE1200ELNS1_3gpuE4ELNS1_3repE0EEENS1_30default_config_static_selectorELNS0_4arch9wavefront6targetE0EEEvS12_.private_seg_size, 0
	.set _ZN7rocprim17ROCPRIM_400000_NS6detail17trampoline_kernelINS0_13select_configILj256ELj13ELNS0_17block_load_methodE3ELS4_3ELS4_3ELNS0_20block_scan_algorithmE0ELj4294967295EEENS1_25partition_config_selectorILNS1_17partition_subalgoE4EjNS0_10empty_typeEbEEZZNS1_14partition_implILS8_4ELb0ES6_15HIP_vector_typeIjLj2EENS0_17counting_iteratorIjlEEPS9_SG_NS0_5tupleIJPjSI_NS0_16reverse_iteratorISI_EEEEENSH_IJSG_SG_SG_EEES9_SI_JZNS1_25segmented_radix_sort_implINS0_14default_configELb0EPKhPhPKlPlN2at6native12_GLOBAL__N_18offset_tEEE10hipError_tPvRmT1_PNSt15iterator_traitsIS12_E10value_typeET2_T3_PNS13_IS18_E10value_typeET4_jRbjT5_S1E_jjP12ihipStream_tbEUljE_ZNSN_ISO_Lb0ESQ_SR_ST_SU_SY_EESZ_S10_S11_S12_S16_S17_S18_S1B_S1C_jS1D_jS1E_S1E_jjS1G_bEUljE0_EEESZ_S10_S11_S18_S1C_S1E_T6_T7_T9_mT8_S1G_bDpT10_ENKUlT_T0_E_clISt17integral_constantIbLb1EES1T_IbLb0EEEEDaS1P_S1Q_EUlS1P_E_NS1_11comp_targetILNS1_3genE10ELNS1_11target_archE1200ELNS1_3gpuE4ELNS1_3repE0EEENS1_30default_config_static_selectorELNS0_4arch9wavefront6targetE0EEEvS12_.uses_vcc, 0
	.set _ZN7rocprim17ROCPRIM_400000_NS6detail17trampoline_kernelINS0_13select_configILj256ELj13ELNS0_17block_load_methodE3ELS4_3ELS4_3ELNS0_20block_scan_algorithmE0ELj4294967295EEENS1_25partition_config_selectorILNS1_17partition_subalgoE4EjNS0_10empty_typeEbEEZZNS1_14partition_implILS8_4ELb0ES6_15HIP_vector_typeIjLj2EENS0_17counting_iteratorIjlEEPS9_SG_NS0_5tupleIJPjSI_NS0_16reverse_iteratorISI_EEEEENSH_IJSG_SG_SG_EEES9_SI_JZNS1_25segmented_radix_sort_implINS0_14default_configELb0EPKhPhPKlPlN2at6native12_GLOBAL__N_18offset_tEEE10hipError_tPvRmT1_PNSt15iterator_traitsIS12_E10value_typeET2_T3_PNS13_IS18_E10value_typeET4_jRbjT5_S1E_jjP12ihipStream_tbEUljE_ZNSN_ISO_Lb0ESQ_SR_ST_SU_SY_EESZ_S10_S11_S12_S16_S17_S18_S1B_S1C_jS1D_jS1E_S1E_jjS1G_bEUljE0_EEESZ_S10_S11_S18_S1C_S1E_T6_T7_T9_mT8_S1G_bDpT10_ENKUlT_T0_E_clISt17integral_constantIbLb1EES1T_IbLb0EEEEDaS1P_S1Q_EUlS1P_E_NS1_11comp_targetILNS1_3genE10ELNS1_11target_archE1200ELNS1_3gpuE4ELNS1_3repE0EEENS1_30default_config_static_selectorELNS0_4arch9wavefront6targetE0EEEvS12_.uses_flat_scratch, 0
	.set _ZN7rocprim17ROCPRIM_400000_NS6detail17trampoline_kernelINS0_13select_configILj256ELj13ELNS0_17block_load_methodE3ELS4_3ELS4_3ELNS0_20block_scan_algorithmE0ELj4294967295EEENS1_25partition_config_selectorILNS1_17partition_subalgoE4EjNS0_10empty_typeEbEEZZNS1_14partition_implILS8_4ELb0ES6_15HIP_vector_typeIjLj2EENS0_17counting_iteratorIjlEEPS9_SG_NS0_5tupleIJPjSI_NS0_16reverse_iteratorISI_EEEEENSH_IJSG_SG_SG_EEES9_SI_JZNS1_25segmented_radix_sort_implINS0_14default_configELb0EPKhPhPKlPlN2at6native12_GLOBAL__N_18offset_tEEE10hipError_tPvRmT1_PNSt15iterator_traitsIS12_E10value_typeET2_T3_PNS13_IS18_E10value_typeET4_jRbjT5_S1E_jjP12ihipStream_tbEUljE_ZNSN_ISO_Lb0ESQ_SR_ST_SU_SY_EESZ_S10_S11_S12_S16_S17_S18_S1B_S1C_jS1D_jS1E_S1E_jjS1G_bEUljE0_EEESZ_S10_S11_S18_S1C_S1E_T6_T7_T9_mT8_S1G_bDpT10_ENKUlT_T0_E_clISt17integral_constantIbLb1EES1T_IbLb0EEEEDaS1P_S1Q_EUlS1P_E_NS1_11comp_targetILNS1_3genE10ELNS1_11target_archE1200ELNS1_3gpuE4ELNS1_3repE0EEENS1_30default_config_static_selectorELNS0_4arch9wavefront6targetE0EEEvS12_.has_dyn_sized_stack, 0
	.set _ZN7rocprim17ROCPRIM_400000_NS6detail17trampoline_kernelINS0_13select_configILj256ELj13ELNS0_17block_load_methodE3ELS4_3ELS4_3ELNS0_20block_scan_algorithmE0ELj4294967295EEENS1_25partition_config_selectorILNS1_17partition_subalgoE4EjNS0_10empty_typeEbEEZZNS1_14partition_implILS8_4ELb0ES6_15HIP_vector_typeIjLj2EENS0_17counting_iteratorIjlEEPS9_SG_NS0_5tupleIJPjSI_NS0_16reverse_iteratorISI_EEEEENSH_IJSG_SG_SG_EEES9_SI_JZNS1_25segmented_radix_sort_implINS0_14default_configELb0EPKhPhPKlPlN2at6native12_GLOBAL__N_18offset_tEEE10hipError_tPvRmT1_PNSt15iterator_traitsIS12_E10value_typeET2_T3_PNS13_IS18_E10value_typeET4_jRbjT5_S1E_jjP12ihipStream_tbEUljE_ZNSN_ISO_Lb0ESQ_SR_ST_SU_SY_EESZ_S10_S11_S12_S16_S17_S18_S1B_S1C_jS1D_jS1E_S1E_jjS1G_bEUljE0_EEESZ_S10_S11_S18_S1C_S1E_T6_T7_T9_mT8_S1G_bDpT10_ENKUlT_T0_E_clISt17integral_constantIbLb1EES1T_IbLb0EEEEDaS1P_S1Q_EUlS1P_E_NS1_11comp_targetILNS1_3genE10ELNS1_11target_archE1200ELNS1_3gpuE4ELNS1_3repE0EEENS1_30default_config_static_selectorELNS0_4arch9wavefront6targetE0EEEvS12_.has_recursion, 0
	.set _ZN7rocprim17ROCPRIM_400000_NS6detail17trampoline_kernelINS0_13select_configILj256ELj13ELNS0_17block_load_methodE3ELS4_3ELS4_3ELNS0_20block_scan_algorithmE0ELj4294967295EEENS1_25partition_config_selectorILNS1_17partition_subalgoE4EjNS0_10empty_typeEbEEZZNS1_14partition_implILS8_4ELb0ES6_15HIP_vector_typeIjLj2EENS0_17counting_iteratorIjlEEPS9_SG_NS0_5tupleIJPjSI_NS0_16reverse_iteratorISI_EEEEENSH_IJSG_SG_SG_EEES9_SI_JZNS1_25segmented_radix_sort_implINS0_14default_configELb0EPKhPhPKlPlN2at6native12_GLOBAL__N_18offset_tEEE10hipError_tPvRmT1_PNSt15iterator_traitsIS12_E10value_typeET2_T3_PNS13_IS18_E10value_typeET4_jRbjT5_S1E_jjP12ihipStream_tbEUljE_ZNSN_ISO_Lb0ESQ_SR_ST_SU_SY_EESZ_S10_S11_S12_S16_S17_S18_S1B_S1C_jS1D_jS1E_S1E_jjS1G_bEUljE0_EEESZ_S10_S11_S18_S1C_S1E_T6_T7_T9_mT8_S1G_bDpT10_ENKUlT_T0_E_clISt17integral_constantIbLb1EES1T_IbLb0EEEEDaS1P_S1Q_EUlS1P_E_NS1_11comp_targetILNS1_3genE10ELNS1_11target_archE1200ELNS1_3gpuE4ELNS1_3repE0EEENS1_30default_config_static_selectorELNS0_4arch9wavefront6targetE0EEEvS12_.has_indirect_call, 0
	.section	.AMDGPU.csdata,"",@progbits
; Kernel info:
; codeLenInByte = 0
; TotalNumSgprs: 0
; NumVgprs: 0
; ScratchSize: 0
; MemoryBound: 0
; FloatMode: 240
; IeeeMode: 1
; LDSByteSize: 0 bytes/workgroup (compile time only)
; SGPRBlocks: 0
; VGPRBlocks: 0
; NumSGPRsForWavesPerEU: 1
; NumVGPRsForWavesPerEU: 1
; NamedBarCnt: 0
; Occupancy: 16
; WaveLimiterHint : 0
; COMPUTE_PGM_RSRC2:SCRATCH_EN: 0
; COMPUTE_PGM_RSRC2:USER_SGPR: 2
; COMPUTE_PGM_RSRC2:TRAP_HANDLER: 0
; COMPUTE_PGM_RSRC2:TGID_X_EN: 1
; COMPUTE_PGM_RSRC2:TGID_Y_EN: 0
; COMPUTE_PGM_RSRC2:TGID_Z_EN: 0
; COMPUTE_PGM_RSRC2:TIDIG_COMP_CNT: 0
	.section	.text._ZN7rocprim17ROCPRIM_400000_NS6detail17trampoline_kernelINS0_13select_configILj256ELj13ELNS0_17block_load_methodE3ELS4_3ELS4_3ELNS0_20block_scan_algorithmE0ELj4294967295EEENS1_25partition_config_selectorILNS1_17partition_subalgoE4EjNS0_10empty_typeEbEEZZNS1_14partition_implILS8_4ELb0ES6_15HIP_vector_typeIjLj2EENS0_17counting_iteratorIjlEEPS9_SG_NS0_5tupleIJPjSI_NS0_16reverse_iteratorISI_EEEEENSH_IJSG_SG_SG_EEES9_SI_JZNS1_25segmented_radix_sort_implINS0_14default_configELb0EPKhPhPKlPlN2at6native12_GLOBAL__N_18offset_tEEE10hipError_tPvRmT1_PNSt15iterator_traitsIS12_E10value_typeET2_T3_PNS13_IS18_E10value_typeET4_jRbjT5_S1E_jjP12ihipStream_tbEUljE_ZNSN_ISO_Lb0ESQ_SR_ST_SU_SY_EESZ_S10_S11_S12_S16_S17_S18_S1B_S1C_jS1D_jS1E_S1E_jjS1G_bEUljE0_EEESZ_S10_S11_S18_S1C_S1E_T6_T7_T9_mT8_S1G_bDpT10_ENKUlT_T0_E_clISt17integral_constantIbLb1EES1T_IbLb0EEEEDaS1P_S1Q_EUlS1P_E_NS1_11comp_targetILNS1_3genE9ELNS1_11target_archE1100ELNS1_3gpuE3ELNS1_3repE0EEENS1_30default_config_static_selectorELNS0_4arch9wavefront6targetE0EEEvS12_,"axG",@progbits,_ZN7rocprim17ROCPRIM_400000_NS6detail17trampoline_kernelINS0_13select_configILj256ELj13ELNS0_17block_load_methodE3ELS4_3ELS4_3ELNS0_20block_scan_algorithmE0ELj4294967295EEENS1_25partition_config_selectorILNS1_17partition_subalgoE4EjNS0_10empty_typeEbEEZZNS1_14partition_implILS8_4ELb0ES6_15HIP_vector_typeIjLj2EENS0_17counting_iteratorIjlEEPS9_SG_NS0_5tupleIJPjSI_NS0_16reverse_iteratorISI_EEEEENSH_IJSG_SG_SG_EEES9_SI_JZNS1_25segmented_radix_sort_implINS0_14default_configELb0EPKhPhPKlPlN2at6native12_GLOBAL__N_18offset_tEEE10hipError_tPvRmT1_PNSt15iterator_traitsIS12_E10value_typeET2_T3_PNS13_IS18_E10value_typeET4_jRbjT5_S1E_jjP12ihipStream_tbEUljE_ZNSN_ISO_Lb0ESQ_SR_ST_SU_SY_EESZ_S10_S11_S12_S16_S17_S18_S1B_S1C_jS1D_jS1E_S1E_jjS1G_bEUljE0_EEESZ_S10_S11_S18_S1C_S1E_T6_T7_T9_mT8_S1G_bDpT10_ENKUlT_T0_E_clISt17integral_constantIbLb1EES1T_IbLb0EEEEDaS1P_S1Q_EUlS1P_E_NS1_11comp_targetILNS1_3genE9ELNS1_11target_archE1100ELNS1_3gpuE3ELNS1_3repE0EEENS1_30default_config_static_selectorELNS0_4arch9wavefront6targetE0EEEvS12_,comdat
	.globl	_ZN7rocprim17ROCPRIM_400000_NS6detail17trampoline_kernelINS0_13select_configILj256ELj13ELNS0_17block_load_methodE3ELS4_3ELS4_3ELNS0_20block_scan_algorithmE0ELj4294967295EEENS1_25partition_config_selectorILNS1_17partition_subalgoE4EjNS0_10empty_typeEbEEZZNS1_14partition_implILS8_4ELb0ES6_15HIP_vector_typeIjLj2EENS0_17counting_iteratorIjlEEPS9_SG_NS0_5tupleIJPjSI_NS0_16reverse_iteratorISI_EEEEENSH_IJSG_SG_SG_EEES9_SI_JZNS1_25segmented_radix_sort_implINS0_14default_configELb0EPKhPhPKlPlN2at6native12_GLOBAL__N_18offset_tEEE10hipError_tPvRmT1_PNSt15iterator_traitsIS12_E10value_typeET2_T3_PNS13_IS18_E10value_typeET4_jRbjT5_S1E_jjP12ihipStream_tbEUljE_ZNSN_ISO_Lb0ESQ_SR_ST_SU_SY_EESZ_S10_S11_S12_S16_S17_S18_S1B_S1C_jS1D_jS1E_S1E_jjS1G_bEUljE0_EEESZ_S10_S11_S18_S1C_S1E_T6_T7_T9_mT8_S1G_bDpT10_ENKUlT_T0_E_clISt17integral_constantIbLb1EES1T_IbLb0EEEEDaS1P_S1Q_EUlS1P_E_NS1_11comp_targetILNS1_3genE9ELNS1_11target_archE1100ELNS1_3gpuE3ELNS1_3repE0EEENS1_30default_config_static_selectorELNS0_4arch9wavefront6targetE0EEEvS12_ ; -- Begin function _ZN7rocprim17ROCPRIM_400000_NS6detail17trampoline_kernelINS0_13select_configILj256ELj13ELNS0_17block_load_methodE3ELS4_3ELS4_3ELNS0_20block_scan_algorithmE0ELj4294967295EEENS1_25partition_config_selectorILNS1_17partition_subalgoE4EjNS0_10empty_typeEbEEZZNS1_14partition_implILS8_4ELb0ES6_15HIP_vector_typeIjLj2EENS0_17counting_iteratorIjlEEPS9_SG_NS0_5tupleIJPjSI_NS0_16reverse_iteratorISI_EEEEENSH_IJSG_SG_SG_EEES9_SI_JZNS1_25segmented_radix_sort_implINS0_14default_configELb0EPKhPhPKlPlN2at6native12_GLOBAL__N_18offset_tEEE10hipError_tPvRmT1_PNSt15iterator_traitsIS12_E10value_typeET2_T3_PNS13_IS18_E10value_typeET4_jRbjT5_S1E_jjP12ihipStream_tbEUljE_ZNSN_ISO_Lb0ESQ_SR_ST_SU_SY_EESZ_S10_S11_S12_S16_S17_S18_S1B_S1C_jS1D_jS1E_S1E_jjS1G_bEUljE0_EEESZ_S10_S11_S18_S1C_S1E_T6_T7_T9_mT8_S1G_bDpT10_ENKUlT_T0_E_clISt17integral_constantIbLb1EES1T_IbLb0EEEEDaS1P_S1Q_EUlS1P_E_NS1_11comp_targetILNS1_3genE9ELNS1_11target_archE1100ELNS1_3gpuE3ELNS1_3repE0EEENS1_30default_config_static_selectorELNS0_4arch9wavefront6targetE0EEEvS12_
	.p2align	8
	.type	_ZN7rocprim17ROCPRIM_400000_NS6detail17trampoline_kernelINS0_13select_configILj256ELj13ELNS0_17block_load_methodE3ELS4_3ELS4_3ELNS0_20block_scan_algorithmE0ELj4294967295EEENS1_25partition_config_selectorILNS1_17partition_subalgoE4EjNS0_10empty_typeEbEEZZNS1_14partition_implILS8_4ELb0ES6_15HIP_vector_typeIjLj2EENS0_17counting_iteratorIjlEEPS9_SG_NS0_5tupleIJPjSI_NS0_16reverse_iteratorISI_EEEEENSH_IJSG_SG_SG_EEES9_SI_JZNS1_25segmented_radix_sort_implINS0_14default_configELb0EPKhPhPKlPlN2at6native12_GLOBAL__N_18offset_tEEE10hipError_tPvRmT1_PNSt15iterator_traitsIS12_E10value_typeET2_T3_PNS13_IS18_E10value_typeET4_jRbjT5_S1E_jjP12ihipStream_tbEUljE_ZNSN_ISO_Lb0ESQ_SR_ST_SU_SY_EESZ_S10_S11_S12_S16_S17_S18_S1B_S1C_jS1D_jS1E_S1E_jjS1G_bEUljE0_EEESZ_S10_S11_S18_S1C_S1E_T6_T7_T9_mT8_S1G_bDpT10_ENKUlT_T0_E_clISt17integral_constantIbLb1EES1T_IbLb0EEEEDaS1P_S1Q_EUlS1P_E_NS1_11comp_targetILNS1_3genE9ELNS1_11target_archE1100ELNS1_3gpuE3ELNS1_3repE0EEENS1_30default_config_static_selectorELNS0_4arch9wavefront6targetE0EEEvS12_,@function
_ZN7rocprim17ROCPRIM_400000_NS6detail17trampoline_kernelINS0_13select_configILj256ELj13ELNS0_17block_load_methodE3ELS4_3ELS4_3ELNS0_20block_scan_algorithmE0ELj4294967295EEENS1_25partition_config_selectorILNS1_17partition_subalgoE4EjNS0_10empty_typeEbEEZZNS1_14partition_implILS8_4ELb0ES6_15HIP_vector_typeIjLj2EENS0_17counting_iteratorIjlEEPS9_SG_NS0_5tupleIJPjSI_NS0_16reverse_iteratorISI_EEEEENSH_IJSG_SG_SG_EEES9_SI_JZNS1_25segmented_radix_sort_implINS0_14default_configELb0EPKhPhPKlPlN2at6native12_GLOBAL__N_18offset_tEEE10hipError_tPvRmT1_PNSt15iterator_traitsIS12_E10value_typeET2_T3_PNS13_IS18_E10value_typeET4_jRbjT5_S1E_jjP12ihipStream_tbEUljE_ZNSN_ISO_Lb0ESQ_SR_ST_SU_SY_EESZ_S10_S11_S12_S16_S17_S18_S1B_S1C_jS1D_jS1E_S1E_jjS1G_bEUljE0_EEESZ_S10_S11_S18_S1C_S1E_T6_T7_T9_mT8_S1G_bDpT10_ENKUlT_T0_E_clISt17integral_constantIbLb1EES1T_IbLb0EEEEDaS1P_S1Q_EUlS1P_E_NS1_11comp_targetILNS1_3genE9ELNS1_11target_archE1100ELNS1_3gpuE3ELNS1_3repE0EEENS1_30default_config_static_selectorELNS0_4arch9wavefront6targetE0EEEvS12_: ; @_ZN7rocprim17ROCPRIM_400000_NS6detail17trampoline_kernelINS0_13select_configILj256ELj13ELNS0_17block_load_methodE3ELS4_3ELS4_3ELNS0_20block_scan_algorithmE0ELj4294967295EEENS1_25partition_config_selectorILNS1_17partition_subalgoE4EjNS0_10empty_typeEbEEZZNS1_14partition_implILS8_4ELb0ES6_15HIP_vector_typeIjLj2EENS0_17counting_iteratorIjlEEPS9_SG_NS0_5tupleIJPjSI_NS0_16reverse_iteratorISI_EEEEENSH_IJSG_SG_SG_EEES9_SI_JZNS1_25segmented_radix_sort_implINS0_14default_configELb0EPKhPhPKlPlN2at6native12_GLOBAL__N_18offset_tEEE10hipError_tPvRmT1_PNSt15iterator_traitsIS12_E10value_typeET2_T3_PNS13_IS18_E10value_typeET4_jRbjT5_S1E_jjP12ihipStream_tbEUljE_ZNSN_ISO_Lb0ESQ_SR_ST_SU_SY_EESZ_S10_S11_S12_S16_S17_S18_S1B_S1C_jS1D_jS1E_S1E_jjS1G_bEUljE0_EEESZ_S10_S11_S18_S1C_S1E_T6_T7_T9_mT8_S1G_bDpT10_ENKUlT_T0_E_clISt17integral_constantIbLb1EES1T_IbLb0EEEEDaS1P_S1Q_EUlS1P_E_NS1_11comp_targetILNS1_3genE9ELNS1_11target_archE1100ELNS1_3gpuE3ELNS1_3repE0EEENS1_30default_config_static_selectorELNS0_4arch9wavefront6targetE0EEEvS12_
; %bb.0:
	.section	.rodata,"a",@progbits
	.p2align	6, 0x0
	.amdhsa_kernel _ZN7rocprim17ROCPRIM_400000_NS6detail17trampoline_kernelINS0_13select_configILj256ELj13ELNS0_17block_load_methodE3ELS4_3ELS4_3ELNS0_20block_scan_algorithmE0ELj4294967295EEENS1_25partition_config_selectorILNS1_17partition_subalgoE4EjNS0_10empty_typeEbEEZZNS1_14partition_implILS8_4ELb0ES6_15HIP_vector_typeIjLj2EENS0_17counting_iteratorIjlEEPS9_SG_NS0_5tupleIJPjSI_NS0_16reverse_iteratorISI_EEEEENSH_IJSG_SG_SG_EEES9_SI_JZNS1_25segmented_radix_sort_implINS0_14default_configELb0EPKhPhPKlPlN2at6native12_GLOBAL__N_18offset_tEEE10hipError_tPvRmT1_PNSt15iterator_traitsIS12_E10value_typeET2_T3_PNS13_IS18_E10value_typeET4_jRbjT5_S1E_jjP12ihipStream_tbEUljE_ZNSN_ISO_Lb0ESQ_SR_ST_SU_SY_EESZ_S10_S11_S12_S16_S17_S18_S1B_S1C_jS1D_jS1E_S1E_jjS1G_bEUljE0_EEESZ_S10_S11_S18_S1C_S1E_T6_T7_T9_mT8_S1G_bDpT10_ENKUlT_T0_E_clISt17integral_constantIbLb1EES1T_IbLb0EEEEDaS1P_S1Q_EUlS1P_E_NS1_11comp_targetILNS1_3genE9ELNS1_11target_archE1100ELNS1_3gpuE3ELNS1_3repE0EEENS1_30default_config_static_selectorELNS0_4arch9wavefront6targetE0EEEvS12_
		.amdhsa_group_segment_fixed_size 0
		.amdhsa_private_segment_fixed_size 0
		.amdhsa_kernarg_size 176
		.amdhsa_user_sgpr_count 2
		.amdhsa_user_sgpr_dispatch_ptr 0
		.amdhsa_user_sgpr_queue_ptr 0
		.amdhsa_user_sgpr_kernarg_segment_ptr 1
		.amdhsa_user_sgpr_dispatch_id 0
		.amdhsa_user_sgpr_kernarg_preload_length 0
		.amdhsa_user_sgpr_kernarg_preload_offset 0
		.amdhsa_user_sgpr_private_segment_size 0
		.amdhsa_wavefront_size32 1
		.amdhsa_uses_dynamic_stack 0
		.amdhsa_enable_private_segment 0
		.amdhsa_system_sgpr_workgroup_id_x 1
		.amdhsa_system_sgpr_workgroup_id_y 0
		.amdhsa_system_sgpr_workgroup_id_z 0
		.amdhsa_system_sgpr_workgroup_info 0
		.amdhsa_system_vgpr_workitem_id 0
		.amdhsa_next_free_vgpr 1
		.amdhsa_next_free_sgpr 1
		.amdhsa_named_barrier_count 0
		.amdhsa_reserve_vcc 0
		.amdhsa_float_round_mode_32 0
		.amdhsa_float_round_mode_16_64 0
		.amdhsa_float_denorm_mode_32 3
		.amdhsa_float_denorm_mode_16_64 3
		.amdhsa_fp16_overflow 0
		.amdhsa_memory_ordered 1
		.amdhsa_forward_progress 1
		.amdhsa_inst_pref_size 0
		.amdhsa_round_robin_scheduling 0
		.amdhsa_exception_fp_ieee_invalid_op 0
		.amdhsa_exception_fp_denorm_src 0
		.amdhsa_exception_fp_ieee_div_zero 0
		.amdhsa_exception_fp_ieee_overflow 0
		.amdhsa_exception_fp_ieee_underflow 0
		.amdhsa_exception_fp_ieee_inexact 0
		.amdhsa_exception_int_div_zero 0
	.end_amdhsa_kernel
	.section	.text._ZN7rocprim17ROCPRIM_400000_NS6detail17trampoline_kernelINS0_13select_configILj256ELj13ELNS0_17block_load_methodE3ELS4_3ELS4_3ELNS0_20block_scan_algorithmE0ELj4294967295EEENS1_25partition_config_selectorILNS1_17partition_subalgoE4EjNS0_10empty_typeEbEEZZNS1_14partition_implILS8_4ELb0ES6_15HIP_vector_typeIjLj2EENS0_17counting_iteratorIjlEEPS9_SG_NS0_5tupleIJPjSI_NS0_16reverse_iteratorISI_EEEEENSH_IJSG_SG_SG_EEES9_SI_JZNS1_25segmented_radix_sort_implINS0_14default_configELb0EPKhPhPKlPlN2at6native12_GLOBAL__N_18offset_tEEE10hipError_tPvRmT1_PNSt15iterator_traitsIS12_E10value_typeET2_T3_PNS13_IS18_E10value_typeET4_jRbjT5_S1E_jjP12ihipStream_tbEUljE_ZNSN_ISO_Lb0ESQ_SR_ST_SU_SY_EESZ_S10_S11_S12_S16_S17_S18_S1B_S1C_jS1D_jS1E_S1E_jjS1G_bEUljE0_EEESZ_S10_S11_S18_S1C_S1E_T6_T7_T9_mT8_S1G_bDpT10_ENKUlT_T0_E_clISt17integral_constantIbLb1EES1T_IbLb0EEEEDaS1P_S1Q_EUlS1P_E_NS1_11comp_targetILNS1_3genE9ELNS1_11target_archE1100ELNS1_3gpuE3ELNS1_3repE0EEENS1_30default_config_static_selectorELNS0_4arch9wavefront6targetE0EEEvS12_,"axG",@progbits,_ZN7rocprim17ROCPRIM_400000_NS6detail17trampoline_kernelINS0_13select_configILj256ELj13ELNS0_17block_load_methodE3ELS4_3ELS4_3ELNS0_20block_scan_algorithmE0ELj4294967295EEENS1_25partition_config_selectorILNS1_17partition_subalgoE4EjNS0_10empty_typeEbEEZZNS1_14partition_implILS8_4ELb0ES6_15HIP_vector_typeIjLj2EENS0_17counting_iteratorIjlEEPS9_SG_NS0_5tupleIJPjSI_NS0_16reverse_iteratorISI_EEEEENSH_IJSG_SG_SG_EEES9_SI_JZNS1_25segmented_radix_sort_implINS0_14default_configELb0EPKhPhPKlPlN2at6native12_GLOBAL__N_18offset_tEEE10hipError_tPvRmT1_PNSt15iterator_traitsIS12_E10value_typeET2_T3_PNS13_IS18_E10value_typeET4_jRbjT5_S1E_jjP12ihipStream_tbEUljE_ZNSN_ISO_Lb0ESQ_SR_ST_SU_SY_EESZ_S10_S11_S12_S16_S17_S18_S1B_S1C_jS1D_jS1E_S1E_jjS1G_bEUljE0_EEESZ_S10_S11_S18_S1C_S1E_T6_T7_T9_mT8_S1G_bDpT10_ENKUlT_T0_E_clISt17integral_constantIbLb1EES1T_IbLb0EEEEDaS1P_S1Q_EUlS1P_E_NS1_11comp_targetILNS1_3genE9ELNS1_11target_archE1100ELNS1_3gpuE3ELNS1_3repE0EEENS1_30default_config_static_selectorELNS0_4arch9wavefront6targetE0EEEvS12_,comdat
.Lfunc_end143:
	.size	_ZN7rocprim17ROCPRIM_400000_NS6detail17trampoline_kernelINS0_13select_configILj256ELj13ELNS0_17block_load_methodE3ELS4_3ELS4_3ELNS0_20block_scan_algorithmE0ELj4294967295EEENS1_25partition_config_selectorILNS1_17partition_subalgoE4EjNS0_10empty_typeEbEEZZNS1_14partition_implILS8_4ELb0ES6_15HIP_vector_typeIjLj2EENS0_17counting_iteratorIjlEEPS9_SG_NS0_5tupleIJPjSI_NS0_16reverse_iteratorISI_EEEEENSH_IJSG_SG_SG_EEES9_SI_JZNS1_25segmented_radix_sort_implINS0_14default_configELb0EPKhPhPKlPlN2at6native12_GLOBAL__N_18offset_tEEE10hipError_tPvRmT1_PNSt15iterator_traitsIS12_E10value_typeET2_T3_PNS13_IS18_E10value_typeET4_jRbjT5_S1E_jjP12ihipStream_tbEUljE_ZNSN_ISO_Lb0ESQ_SR_ST_SU_SY_EESZ_S10_S11_S12_S16_S17_S18_S1B_S1C_jS1D_jS1E_S1E_jjS1G_bEUljE0_EEESZ_S10_S11_S18_S1C_S1E_T6_T7_T9_mT8_S1G_bDpT10_ENKUlT_T0_E_clISt17integral_constantIbLb1EES1T_IbLb0EEEEDaS1P_S1Q_EUlS1P_E_NS1_11comp_targetILNS1_3genE9ELNS1_11target_archE1100ELNS1_3gpuE3ELNS1_3repE0EEENS1_30default_config_static_selectorELNS0_4arch9wavefront6targetE0EEEvS12_, .Lfunc_end143-_ZN7rocprim17ROCPRIM_400000_NS6detail17trampoline_kernelINS0_13select_configILj256ELj13ELNS0_17block_load_methodE3ELS4_3ELS4_3ELNS0_20block_scan_algorithmE0ELj4294967295EEENS1_25partition_config_selectorILNS1_17partition_subalgoE4EjNS0_10empty_typeEbEEZZNS1_14partition_implILS8_4ELb0ES6_15HIP_vector_typeIjLj2EENS0_17counting_iteratorIjlEEPS9_SG_NS0_5tupleIJPjSI_NS0_16reverse_iteratorISI_EEEEENSH_IJSG_SG_SG_EEES9_SI_JZNS1_25segmented_radix_sort_implINS0_14default_configELb0EPKhPhPKlPlN2at6native12_GLOBAL__N_18offset_tEEE10hipError_tPvRmT1_PNSt15iterator_traitsIS12_E10value_typeET2_T3_PNS13_IS18_E10value_typeET4_jRbjT5_S1E_jjP12ihipStream_tbEUljE_ZNSN_ISO_Lb0ESQ_SR_ST_SU_SY_EESZ_S10_S11_S12_S16_S17_S18_S1B_S1C_jS1D_jS1E_S1E_jjS1G_bEUljE0_EEESZ_S10_S11_S18_S1C_S1E_T6_T7_T9_mT8_S1G_bDpT10_ENKUlT_T0_E_clISt17integral_constantIbLb1EES1T_IbLb0EEEEDaS1P_S1Q_EUlS1P_E_NS1_11comp_targetILNS1_3genE9ELNS1_11target_archE1100ELNS1_3gpuE3ELNS1_3repE0EEENS1_30default_config_static_selectorELNS0_4arch9wavefront6targetE0EEEvS12_
                                        ; -- End function
	.set _ZN7rocprim17ROCPRIM_400000_NS6detail17trampoline_kernelINS0_13select_configILj256ELj13ELNS0_17block_load_methodE3ELS4_3ELS4_3ELNS0_20block_scan_algorithmE0ELj4294967295EEENS1_25partition_config_selectorILNS1_17partition_subalgoE4EjNS0_10empty_typeEbEEZZNS1_14partition_implILS8_4ELb0ES6_15HIP_vector_typeIjLj2EENS0_17counting_iteratorIjlEEPS9_SG_NS0_5tupleIJPjSI_NS0_16reverse_iteratorISI_EEEEENSH_IJSG_SG_SG_EEES9_SI_JZNS1_25segmented_radix_sort_implINS0_14default_configELb0EPKhPhPKlPlN2at6native12_GLOBAL__N_18offset_tEEE10hipError_tPvRmT1_PNSt15iterator_traitsIS12_E10value_typeET2_T3_PNS13_IS18_E10value_typeET4_jRbjT5_S1E_jjP12ihipStream_tbEUljE_ZNSN_ISO_Lb0ESQ_SR_ST_SU_SY_EESZ_S10_S11_S12_S16_S17_S18_S1B_S1C_jS1D_jS1E_S1E_jjS1G_bEUljE0_EEESZ_S10_S11_S18_S1C_S1E_T6_T7_T9_mT8_S1G_bDpT10_ENKUlT_T0_E_clISt17integral_constantIbLb1EES1T_IbLb0EEEEDaS1P_S1Q_EUlS1P_E_NS1_11comp_targetILNS1_3genE9ELNS1_11target_archE1100ELNS1_3gpuE3ELNS1_3repE0EEENS1_30default_config_static_selectorELNS0_4arch9wavefront6targetE0EEEvS12_.num_vgpr, 0
	.set _ZN7rocprim17ROCPRIM_400000_NS6detail17trampoline_kernelINS0_13select_configILj256ELj13ELNS0_17block_load_methodE3ELS4_3ELS4_3ELNS0_20block_scan_algorithmE0ELj4294967295EEENS1_25partition_config_selectorILNS1_17partition_subalgoE4EjNS0_10empty_typeEbEEZZNS1_14partition_implILS8_4ELb0ES6_15HIP_vector_typeIjLj2EENS0_17counting_iteratorIjlEEPS9_SG_NS0_5tupleIJPjSI_NS0_16reverse_iteratorISI_EEEEENSH_IJSG_SG_SG_EEES9_SI_JZNS1_25segmented_radix_sort_implINS0_14default_configELb0EPKhPhPKlPlN2at6native12_GLOBAL__N_18offset_tEEE10hipError_tPvRmT1_PNSt15iterator_traitsIS12_E10value_typeET2_T3_PNS13_IS18_E10value_typeET4_jRbjT5_S1E_jjP12ihipStream_tbEUljE_ZNSN_ISO_Lb0ESQ_SR_ST_SU_SY_EESZ_S10_S11_S12_S16_S17_S18_S1B_S1C_jS1D_jS1E_S1E_jjS1G_bEUljE0_EEESZ_S10_S11_S18_S1C_S1E_T6_T7_T9_mT8_S1G_bDpT10_ENKUlT_T0_E_clISt17integral_constantIbLb1EES1T_IbLb0EEEEDaS1P_S1Q_EUlS1P_E_NS1_11comp_targetILNS1_3genE9ELNS1_11target_archE1100ELNS1_3gpuE3ELNS1_3repE0EEENS1_30default_config_static_selectorELNS0_4arch9wavefront6targetE0EEEvS12_.num_agpr, 0
	.set _ZN7rocprim17ROCPRIM_400000_NS6detail17trampoline_kernelINS0_13select_configILj256ELj13ELNS0_17block_load_methodE3ELS4_3ELS4_3ELNS0_20block_scan_algorithmE0ELj4294967295EEENS1_25partition_config_selectorILNS1_17partition_subalgoE4EjNS0_10empty_typeEbEEZZNS1_14partition_implILS8_4ELb0ES6_15HIP_vector_typeIjLj2EENS0_17counting_iteratorIjlEEPS9_SG_NS0_5tupleIJPjSI_NS0_16reverse_iteratorISI_EEEEENSH_IJSG_SG_SG_EEES9_SI_JZNS1_25segmented_radix_sort_implINS0_14default_configELb0EPKhPhPKlPlN2at6native12_GLOBAL__N_18offset_tEEE10hipError_tPvRmT1_PNSt15iterator_traitsIS12_E10value_typeET2_T3_PNS13_IS18_E10value_typeET4_jRbjT5_S1E_jjP12ihipStream_tbEUljE_ZNSN_ISO_Lb0ESQ_SR_ST_SU_SY_EESZ_S10_S11_S12_S16_S17_S18_S1B_S1C_jS1D_jS1E_S1E_jjS1G_bEUljE0_EEESZ_S10_S11_S18_S1C_S1E_T6_T7_T9_mT8_S1G_bDpT10_ENKUlT_T0_E_clISt17integral_constantIbLb1EES1T_IbLb0EEEEDaS1P_S1Q_EUlS1P_E_NS1_11comp_targetILNS1_3genE9ELNS1_11target_archE1100ELNS1_3gpuE3ELNS1_3repE0EEENS1_30default_config_static_selectorELNS0_4arch9wavefront6targetE0EEEvS12_.numbered_sgpr, 0
	.set _ZN7rocprim17ROCPRIM_400000_NS6detail17trampoline_kernelINS0_13select_configILj256ELj13ELNS0_17block_load_methodE3ELS4_3ELS4_3ELNS0_20block_scan_algorithmE0ELj4294967295EEENS1_25partition_config_selectorILNS1_17partition_subalgoE4EjNS0_10empty_typeEbEEZZNS1_14partition_implILS8_4ELb0ES6_15HIP_vector_typeIjLj2EENS0_17counting_iteratorIjlEEPS9_SG_NS0_5tupleIJPjSI_NS0_16reverse_iteratorISI_EEEEENSH_IJSG_SG_SG_EEES9_SI_JZNS1_25segmented_radix_sort_implINS0_14default_configELb0EPKhPhPKlPlN2at6native12_GLOBAL__N_18offset_tEEE10hipError_tPvRmT1_PNSt15iterator_traitsIS12_E10value_typeET2_T3_PNS13_IS18_E10value_typeET4_jRbjT5_S1E_jjP12ihipStream_tbEUljE_ZNSN_ISO_Lb0ESQ_SR_ST_SU_SY_EESZ_S10_S11_S12_S16_S17_S18_S1B_S1C_jS1D_jS1E_S1E_jjS1G_bEUljE0_EEESZ_S10_S11_S18_S1C_S1E_T6_T7_T9_mT8_S1G_bDpT10_ENKUlT_T0_E_clISt17integral_constantIbLb1EES1T_IbLb0EEEEDaS1P_S1Q_EUlS1P_E_NS1_11comp_targetILNS1_3genE9ELNS1_11target_archE1100ELNS1_3gpuE3ELNS1_3repE0EEENS1_30default_config_static_selectorELNS0_4arch9wavefront6targetE0EEEvS12_.num_named_barrier, 0
	.set _ZN7rocprim17ROCPRIM_400000_NS6detail17trampoline_kernelINS0_13select_configILj256ELj13ELNS0_17block_load_methodE3ELS4_3ELS4_3ELNS0_20block_scan_algorithmE0ELj4294967295EEENS1_25partition_config_selectorILNS1_17partition_subalgoE4EjNS0_10empty_typeEbEEZZNS1_14partition_implILS8_4ELb0ES6_15HIP_vector_typeIjLj2EENS0_17counting_iteratorIjlEEPS9_SG_NS0_5tupleIJPjSI_NS0_16reverse_iteratorISI_EEEEENSH_IJSG_SG_SG_EEES9_SI_JZNS1_25segmented_radix_sort_implINS0_14default_configELb0EPKhPhPKlPlN2at6native12_GLOBAL__N_18offset_tEEE10hipError_tPvRmT1_PNSt15iterator_traitsIS12_E10value_typeET2_T3_PNS13_IS18_E10value_typeET4_jRbjT5_S1E_jjP12ihipStream_tbEUljE_ZNSN_ISO_Lb0ESQ_SR_ST_SU_SY_EESZ_S10_S11_S12_S16_S17_S18_S1B_S1C_jS1D_jS1E_S1E_jjS1G_bEUljE0_EEESZ_S10_S11_S18_S1C_S1E_T6_T7_T9_mT8_S1G_bDpT10_ENKUlT_T0_E_clISt17integral_constantIbLb1EES1T_IbLb0EEEEDaS1P_S1Q_EUlS1P_E_NS1_11comp_targetILNS1_3genE9ELNS1_11target_archE1100ELNS1_3gpuE3ELNS1_3repE0EEENS1_30default_config_static_selectorELNS0_4arch9wavefront6targetE0EEEvS12_.private_seg_size, 0
	.set _ZN7rocprim17ROCPRIM_400000_NS6detail17trampoline_kernelINS0_13select_configILj256ELj13ELNS0_17block_load_methodE3ELS4_3ELS4_3ELNS0_20block_scan_algorithmE0ELj4294967295EEENS1_25partition_config_selectorILNS1_17partition_subalgoE4EjNS0_10empty_typeEbEEZZNS1_14partition_implILS8_4ELb0ES6_15HIP_vector_typeIjLj2EENS0_17counting_iteratorIjlEEPS9_SG_NS0_5tupleIJPjSI_NS0_16reverse_iteratorISI_EEEEENSH_IJSG_SG_SG_EEES9_SI_JZNS1_25segmented_radix_sort_implINS0_14default_configELb0EPKhPhPKlPlN2at6native12_GLOBAL__N_18offset_tEEE10hipError_tPvRmT1_PNSt15iterator_traitsIS12_E10value_typeET2_T3_PNS13_IS18_E10value_typeET4_jRbjT5_S1E_jjP12ihipStream_tbEUljE_ZNSN_ISO_Lb0ESQ_SR_ST_SU_SY_EESZ_S10_S11_S12_S16_S17_S18_S1B_S1C_jS1D_jS1E_S1E_jjS1G_bEUljE0_EEESZ_S10_S11_S18_S1C_S1E_T6_T7_T9_mT8_S1G_bDpT10_ENKUlT_T0_E_clISt17integral_constantIbLb1EES1T_IbLb0EEEEDaS1P_S1Q_EUlS1P_E_NS1_11comp_targetILNS1_3genE9ELNS1_11target_archE1100ELNS1_3gpuE3ELNS1_3repE0EEENS1_30default_config_static_selectorELNS0_4arch9wavefront6targetE0EEEvS12_.uses_vcc, 0
	.set _ZN7rocprim17ROCPRIM_400000_NS6detail17trampoline_kernelINS0_13select_configILj256ELj13ELNS0_17block_load_methodE3ELS4_3ELS4_3ELNS0_20block_scan_algorithmE0ELj4294967295EEENS1_25partition_config_selectorILNS1_17partition_subalgoE4EjNS0_10empty_typeEbEEZZNS1_14partition_implILS8_4ELb0ES6_15HIP_vector_typeIjLj2EENS0_17counting_iteratorIjlEEPS9_SG_NS0_5tupleIJPjSI_NS0_16reverse_iteratorISI_EEEEENSH_IJSG_SG_SG_EEES9_SI_JZNS1_25segmented_radix_sort_implINS0_14default_configELb0EPKhPhPKlPlN2at6native12_GLOBAL__N_18offset_tEEE10hipError_tPvRmT1_PNSt15iterator_traitsIS12_E10value_typeET2_T3_PNS13_IS18_E10value_typeET4_jRbjT5_S1E_jjP12ihipStream_tbEUljE_ZNSN_ISO_Lb0ESQ_SR_ST_SU_SY_EESZ_S10_S11_S12_S16_S17_S18_S1B_S1C_jS1D_jS1E_S1E_jjS1G_bEUljE0_EEESZ_S10_S11_S18_S1C_S1E_T6_T7_T9_mT8_S1G_bDpT10_ENKUlT_T0_E_clISt17integral_constantIbLb1EES1T_IbLb0EEEEDaS1P_S1Q_EUlS1P_E_NS1_11comp_targetILNS1_3genE9ELNS1_11target_archE1100ELNS1_3gpuE3ELNS1_3repE0EEENS1_30default_config_static_selectorELNS0_4arch9wavefront6targetE0EEEvS12_.uses_flat_scratch, 0
	.set _ZN7rocprim17ROCPRIM_400000_NS6detail17trampoline_kernelINS0_13select_configILj256ELj13ELNS0_17block_load_methodE3ELS4_3ELS4_3ELNS0_20block_scan_algorithmE0ELj4294967295EEENS1_25partition_config_selectorILNS1_17partition_subalgoE4EjNS0_10empty_typeEbEEZZNS1_14partition_implILS8_4ELb0ES6_15HIP_vector_typeIjLj2EENS0_17counting_iteratorIjlEEPS9_SG_NS0_5tupleIJPjSI_NS0_16reverse_iteratorISI_EEEEENSH_IJSG_SG_SG_EEES9_SI_JZNS1_25segmented_radix_sort_implINS0_14default_configELb0EPKhPhPKlPlN2at6native12_GLOBAL__N_18offset_tEEE10hipError_tPvRmT1_PNSt15iterator_traitsIS12_E10value_typeET2_T3_PNS13_IS18_E10value_typeET4_jRbjT5_S1E_jjP12ihipStream_tbEUljE_ZNSN_ISO_Lb0ESQ_SR_ST_SU_SY_EESZ_S10_S11_S12_S16_S17_S18_S1B_S1C_jS1D_jS1E_S1E_jjS1G_bEUljE0_EEESZ_S10_S11_S18_S1C_S1E_T6_T7_T9_mT8_S1G_bDpT10_ENKUlT_T0_E_clISt17integral_constantIbLb1EES1T_IbLb0EEEEDaS1P_S1Q_EUlS1P_E_NS1_11comp_targetILNS1_3genE9ELNS1_11target_archE1100ELNS1_3gpuE3ELNS1_3repE0EEENS1_30default_config_static_selectorELNS0_4arch9wavefront6targetE0EEEvS12_.has_dyn_sized_stack, 0
	.set _ZN7rocprim17ROCPRIM_400000_NS6detail17trampoline_kernelINS0_13select_configILj256ELj13ELNS0_17block_load_methodE3ELS4_3ELS4_3ELNS0_20block_scan_algorithmE0ELj4294967295EEENS1_25partition_config_selectorILNS1_17partition_subalgoE4EjNS0_10empty_typeEbEEZZNS1_14partition_implILS8_4ELb0ES6_15HIP_vector_typeIjLj2EENS0_17counting_iteratorIjlEEPS9_SG_NS0_5tupleIJPjSI_NS0_16reverse_iteratorISI_EEEEENSH_IJSG_SG_SG_EEES9_SI_JZNS1_25segmented_radix_sort_implINS0_14default_configELb0EPKhPhPKlPlN2at6native12_GLOBAL__N_18offset_tEEE10hipError_tPvRmT1_PNSt15iterator_traitsIS12_E10value_typeET2_T3_PNS13_IS18_E10value_typeET4_jRbjT5_S1E_jjP12ihipStream_tbEUljE_ZNSN_ISO_Lb0ESQ_SR_ST_SU_SY_EESZ_S10_S11_S12_S16_S17_S18_S1B_S1C_jS1D_jS1E_S1E_jjS1G_bEUljE0_EEESZ_S10_S11_S18_S1C_S1E_T6_T7_T9_mT8_S1G_bDpT10_ENKUlT_T0_E_clISt17integral_constantIbLb1EES1T_IbLb0EEEEDaS1P_S1Q_EUlS1P_E_NS1_11comp_targetILNS1_3genE9ELNS1_11target_archE1100ELNS1_3gpuE3ELNS1_3repE0EEENS1_30default_config_static_selectorELNS0_4arch9wavefront6targetE0EEEvS12_.has_recursion, 0
	.set _ZN7rocprim17ROCPRIM_400000_NS6detail17trampoline_kernelINS0_13select_configILj256ELj13ELNS0_17block_load_methodE3ELS4_3ELS4_3ELNS0_20block_scan_algorithmE0ELj4294967295EEENS1_25partition_config_selectorILNS1_17partition_subalgoE4EjNS0_10empty_typeEbEEZZNS1_14partition_implILS8_4ELb0ES6_15HIP_vector_typeIjLj2EENS0_17counting_iteratorIjlEEPS9_SG_NS0_5tupleIJPjSI_NS0_16reverse_iteratorISI_EEEEENSH_IJSG_SG_SG_EEES9_SI_JZNS1_25segmented_radix_sort_implINS0_14default_configELb0EPKhPhPKlPlN2at6native12_GLOBAL__N_18offset_tEEE10hipError_tPvRmT1_PNSt15iterator_traitsIS12_E10value_typeET2_T3_PNS13_IS18_E10value_typeET4_jRbjT5_S1E_jjP12ihipStream_tbEUljE_ZNSN_ISO_Lb0ESQ_SR_ST_SU_SY_EESZ_S10_S11_S12_S16_S17_S18_S1B_S1C_jS1D_jS1E_S1E_jjS1G_bEUljE0_EEESZ_S10_S11_S18_S1C_S1E_T6_T7_T9_mT8_S1G_bDpT10_ENKUlT_T0_E_clISt17integral_constantIbLb1EES1T_IbLb0EEEEDaS1P_S1Q_EUlS1P_E_NS1_11comp_targetILNS1_3genE9ELNS1_11target_archE1100ELNS1_3gpuE3ELNS1_3repE0EEENS1_30default_config_static_selectorELNS0_4arch9wavefront6targetE0EEEvS12_.has_indirect_call, 0
	.section	.AMDGPU.csdata,"",@progbits
; Kernel info:
; codeLenInByte = 0
; TotalNumSgprs: 0
; NumVgprs: 0
; ScratchSize: 0
; MemoryBound: 0
; FloatMode: 240
; IeeeMode: 1
; LDSByteSize: 0 bytes/workgroup (compile time only)
; SGPRBlocks: 0
; VGPRBlocks: 0
; NumSGPRsForWavesPerEU: 1
; NumVGPRsForWavesPerEU: 1
; NamedBarCnt: 0
; Occupancy: 16
; WaveLimiterHint : 0
; COMPUTE_PGM_RSRC2:SCRATCH_EN: 0
; COMPUTE_PGM_RSRC2:USER_SGPR: 2
; COMPUTE_PGM_RSRC2:TRAP_HANDLER: 0
; COMPUTE_PGM_RSRC2:TGID_X_EN: 1
; COMPUTE_PGM_RSRC2:TGID_Y_EN: 0
; COMPUTE_PGM_RSRC2:TGID_Z_EN: 0
; COMPUTE_PGM_RSRC2:TIDIG_COMP_CNT: 0
	.section	.text._ZN7rocprim17ROCPRIM_400000_NS6detail17trampoline_kernelINS0_13select_configILj256ELj13ELNS0_17block_load_methodE3ELS4_3ELS4_3ELNS0_20block_scan_algorithmE0ELj4294967295EEENS1_25partition_config_selectorILNS1_17partition_subalgoE4EjNS0_10empty_typeEbEEZZNS1_14partition_implILS8_4ELb0ES6_15HIP_vector_typeIjLj2EENS0_17counting_iteratorIjlEEPS9_SG_NS0_5tupleIJPjSI_NS0_16reverse_iteratorISI_EEEEENSH_IJSG_SG_SG_EEES9_SI_JZNS1_25segmented_radix_sort_implINS0_14default_configELb0EPKhPhPKlPlN2at6native12_GLOBAL__N_18offset_tEEE10hipError_tPvRmT1_PNSt15iterator_traitsIS12_E10value_typeET2_T3_PNS13_IS18_E10value_typeET4_jRbjT5_S1E_jjP12ihipStream_tbEUljE_ZNSN_ISO_Lb0ESQ_SR_ST_SU_SY_EESZ_S10_S11_S12_S16_S17_S18_S1B_S1C_jS1D_jS1E_S1E_jjS1G_bEUljE0_EEESZ_S10_S11_S18_S1C_S1E_T6_T7_T9_mT8_S1G_bDpT10_ENKUlT_T0_E_clISt17integral_constantIbLb1EES1T_IbLb0EEEEDaS1P_S1Q_EUlS1P_E_NS1_11comp_targetILNS1_3genE8ELNS1_11target_archE1030ELNS1_3gpuE2ELNS1_3repE0EEENS1_30default_config_static_selectorELNS0_4arch9wavefront6targetE0EEEvS12_,"axG",@progbits,_ZN7rocprim17ROCPRIM_400000_NS6detail17trampoline_kernelINS0_13select_configILj256ELj13ELNS0_17block_load_methodE3ELS4_3ELS4_3ELNS0_20block_scan_algorithmE0ELj4294967295EEENS1_25partition_config_selectorILNS1_17partition_subalgoE4EjNS0_10empty_typeEbEEZZNS1_14partition_implILS8_4ELb0ES6_15HIP_vector_typeIjLj2EENS0_17counting_iteratorIjlEEPS9_SG_NS0_5tupleIJPjSI_NS0_16reverse_iteratorISI_EEEEENSH_IJSG_SG_SG_EEES9_SI_JZNS1_25segmented_radix_sort_implINS0_14default_configELb0EPKhPhPKlPlN2at6native12_GLOBAL__N_18offset_tEEE10hipError_tPvRmT1_PNSt15iterator_traitsIS12_E10value_typeET2_T3_PNS13_IS18_E10value_typeET4_jRbjT5_S1E_jjP12ihipStream_tbEUljE_ZNSN_ISO_Lb0ESQ_SR_ST_SU_SY_EESZ_S10_S11_S12_S16_S17_S18_S1B_S1C_jS1D_jS1E_S1E_jjS1G_bEUljE0_EEESZ_S10_S11_S18_S1C_S1E_T6_T7_T9_mT8_S1G_bDpT10_ENKUlT_T0_E_clISt17integral_constantIbLb1EES1T_IbLb0EEEEDaS1P_S1Q_EUlS1P_E_NS1_11comp_targetILNS1_3genE8ELNS1_11target_archE1030ELNS1_3gpuE2ELNS1_3repE0EEENS1_30default_config_static_selectorELNS0_4arch9wavefront6targetE0EEEvS12_,comdat
	.globl	_ZN7rocprim17ROCPRIM_400000_NS6detail17trampoline_kernelINS0_13select_configILj256ELj13ELNS0_17block_load_methodE3ELS4_3ELS4_3ELNS0_20block_scan_algorithmE0ELj4294967295EEENS1_25partition_config_selectorILNS1_17partition_subalgoE4EjNS0_10empty_typeEbEEZZNS1_14partition_implILS8_4ELb0ES6_15HIP_vector_typeIjLj2EENS0_17counting_iteratorIjlEEPS9_SG_NS0_5tupleIJPjSI_NS0_16reverse_iteratorISI_EEEEENSH_IJSG_SG_SG_EEES9_SI_JZNS1_25segmented_radix_sort_implINS0_14default_configELb0EPKhPhPKlPlN2at6native12_GLOBAL__N_18offset_tEEE10hipError_tPvRmT1_PNSt15iterator_traitsIS12_E10value_typeET2_T3_PNS13_IS18_E10value_typeET4_jRbjT5_S1E_jjP12ihipStream_tbEUljE_ZNSN_ISO_Lb0ESQ_SR_ST_SU_SY_EESZ_S10_S11_S12_S16_S17_S18_S1B_S1C_jS1D_jS1E_S1E_jjS1G_bEUljE0_EEESZ_S10_S11_S18_S1C_S1E_T6_T7_T9_mT8_S1G_bDpT10_ENKUlT_T0_E_clISt17integral_constantIbLb1EES1T_IbLb0EEEEDaS1P_S1Q_EUlS1P_E_NS1_11comp_targetILNS1_3genE8ELNS1_11target_archE1030ELNS1_3gpuE2ELNS1_3repE0EEENS1_30default_config_static_selectorELNS0_4arch9wavefront6targetE0EEEvS12_ ; -- Begin function _ZN7rocprim17ROCPRIM_400000_NS6detail17trampoline_kernelINS0_13select_configILj256ELj13ELNS0_17block_load_methodE3ELS4_3ELS4_3ELNS0_20block_scan_algorithmE0ELj4294967295EEENS1_25partition_config_selectorILNS1_17partition_subalgoE4EjNS0_10empty_typeEbEEZZNS1_14partition_implILS8_4ELb0ES6_15HIP_vector_typeIjLj2EENS0_17counting_iteratorIjlEEPS9_SG_NS0_5tupleIJPjSI_NS0_16reverse_iteratorISI_EEEEENSH_IJSG_SG_SG_EEES9_SI_JZNS1_25segmented_radix_sort_implINS0_14default_configELb0EPKhPhPKlPlN2at6native12_GLOBAL__N_18offset_tEEE10hipError_tPvRmT1_PNSt15iterator_traitsIS12_E10value_typeET2_T3_PNS13_IS18_E10value_typeET4_jRbjT5_S1E_jjP12ihipStream_tbEUljE_ZNSN_ISO_Lb0ESQ_SR_ST_SU_SY_EESZ_S10_S11_S12_S16_S17_S18_S1B_S1C_jS1D_jS1E_S1E_jjS1G_bEUljE0_EEESZ_S10_S11_S18_S1C_S1E_T6_T7_T9_mT8_S1G_bDpT10_ENKUlT_T0_E_clISt17integral_constantIbLb1EES1T_IbLb0EEEEDaS1P_S1Q_EUlS1P_E_NS1_11comp_targetILNS1_3genE8ELNS1_11target_archE1030ELNS1_3gpuE2ELNS1_3repE0EEENS1_30default_config_static_selectorELNS0_4arch9wavefront6targetE0EEEvS12_
	.p2align	8
	.type	_ZN7rocprim17ROCPRIM_400000_NS6detail17trampoline_kernelINS0_13select_configILj256ELj13ELNS0_17block_load_methodE3ELS4_3ELS4_3ELNS0_20block_scan_algorithmE0ELj4294967295EEENS1_25partition_config_selectorILNS1_17partition_subalgoE4EjNS0_10empty_typeEbEEZZNS1_14partition_implILS8_4ELb0ES6_15HIP_vector_typeIjLj2EENS0_17counting_iteratorIjlEEPS9_SG_NS0_5tupleIJPjSI_NS0_16reverse_iteratorISI_EEEEENSH_IJSG_SG_SG_EEES9_SI_JZNS1_25segmented_radix_sort_implINS0_14default_configELb0EPKhPhPKlPlN2at6native12_GLOBAL__N_18offset_tEEE10hipError_tPvRmT1_PNSt15iterator_traitsIS12_E10value_typeET2_T3_PNS13_IS18_E10value_typeET4_jRbjT5_S1E_jjP12ihipStream_tbEUljE_ZNSN_ISO_Lb0ESQ_SR_ST_SU_SY_EESZ_S10_S11_S12_S16_S17_S18_S1B_S1C_jS1D_jS1E_S1E_jjS1G_bEUljE0_EEESZ_S10_S11_S18_S1C_S1E_T6_T7_T9_mT8_S1G_bDpT10_ENKUlT_T0_E_clISt17integral_constantIbLb1EES1T_IbLb0EEEEDaS1P_S1Q_EUlS1P_E_NS1_11comp_targetILNS1_3genE8ELNS1_11target_archE1030ELNS1_3gpuE2ELNS1_3repE0EEENS1_30default_config_static_selectorELNS0_4arch9wavefront6targetE0EEEvS12_,@function
_ZN7rocprim17ROCPRIM_400000_NS6detail17trampoline_kernelINS0_13select_configILj256ELj13ELNS0_17block_load_methodE3ELS4_3ELS4_3ELNS0_20block_scan_algorithmE0ELj4294967295EEENS1_25partition_config_selectorILNS1_17partition_subalgoE4EjNS0_10empty_typeEbEEZZNS1_14partition_implILS8_4ELb0ES6_15HIP_vector_typeIjLj2EENS0_17counting_iteratorIjlEEPS9_SG_NS0_5tupleIJPjSI_NS0_16reverse_iteratorISI_EEEEENSH_IJSG_SG_SG_EEES9_SI_JZNS1_25segmented_radix_sort_implINS0_14default_configELb0EPKhPhPKlPlN2at6native12_GLOBAL__N_18offset_tEEE10hipError_tPvRmT1_PNSt15iterator_traitsIS12_E10value_typeET2_T3_PNS13_IS18_E10value_typeET4_jRbjT5_S1E_jjP12ihipStream_tbEUljE_ZNSN_ISO_Lb0ESQ_SR_ST_SU_SY_EESZ_S10_S11_S12_S16_S17_S18_S1B_S1C_jS1D_jS1E_S1E_jjS1G_bEUljE0_EEESZ_S10_S11_S18_S1C_S1E_T6_T7_T9_mT8_S1G_bDpT10_ENKUlT_T0_E_clISt17integral_constantIbLb1EES1T_IbLb0EEEEDaS1P_S1Q_EUlS1P_E_NS1_11comp_targetILNS1_3genE8ELNS1_11target_archE1030ELNS1_3gpuE2ELNS1_3repE0EEENS1_30default_config_static_selectorELNS0_4arch9wavefront6targetE0EEEvS12_: ; @_ZN7rocprim17ROCPRIM_400000_NS6detail17trampoline_kernelINS0_13select_configILj256ELj13ELNS0_17block_load_methodE3ELS4_3ELS4_3ELNS0_20block_scan_algorithmE0ELj4294967295EEENS1_25partition_config_selectorILNS1_17partition_subalgoE4EjNS0_10empty_typeEbEEZZNS1_14partition_implILS8_4ELb0ES6_15HIP_vector_typeIjLj2EENS0_17counting_iteratorIjlEEPS9_SG_NS0_5tupleIJPjSI_NS0_16reverse_iteratorISI_EEEEENSH_IJSG_SG_SG_EEES9_SI_JZNS1_25segmented_radix_sort_implINS0_14default_configELb0EPKhPhPKlPlN2at6native12_GLOBAL__N_18offset_tEEE10hipError_tPvRmT1_PNSt15iterator_traitsIS12_E10value_typeET2_T3_PNS13_IS18_E10value_typeET4_jRbjT5_S1E_jjP12ihipStream_tbEUljE_ZNSN_ISO_Lb0ESQ_SR_ST_SU_SY_EESZ_S10_S11_S12_S16_S17_S18_S1B_S1C_jS1D_jS1E_S1E_jjS1G_bEUljE0_EEESZ_S10_S11_S18_S1C_S1E_T6_T7_T9_mT8_S1G_bDpT10_ENKUlT_T0_E_clISt17integral_constantIbLb1EES1T_IbLb0EEEEDaS1P_S1Q_EUlS1P_E_NS1_11comp_targetILNS1_3genE8ELNS1_11target_archE1030ELNS1_3gpuE2ELNS1_3repE0EEENS1_30default_config_static_selectorELNS0_4arch9wavefront6targetE0EEEvS12_
; %bb.0:
	.section	.rodata,"a",@progbits
	.p2align	6, 0x0
	.amdhsa_kernel _ZN7rocprim17ROCPRIM_400000_NS6detail17trampoline_kernelINS0_13select_configILj256ELj13ELNS0_17block_load_methodE3ELS4_3ELS4_3ELNS0_20block_scan_algorithmE0ELj4294967295EEENS1_25partition_config_selectorILNS1_17partition_subalgoE4EjNS0_10empty_typeEbEEZZNS1_14partition_implILS8_4ELb0ES6_15HIP_vector_typeIjLj2EENS0_17counting_iteratorIjlEEPS9_SG_NS0_5tupleIJPjSI_NS0_16reverse_iteratorISI_EEEEENSH_IJSG_SG_SG_EEES9_SI_JZNS1_25segmented_radix_sort_implINS0_14default_configELb0EPKhPhPKlPlN2at6native12_GLOBAL__N_18offset_tEEE10hipError_tPvRmT1_PNSt15iterator_traitsIS12_E10value_typeET2_T3_PNS13_IS18_E10value_typeET4_jRbjT5_S1E_jjP12ihipStream_tbEUljE_ZNSN_ISO_Lb0ESQ_SR_ST_SU_SY_EESZ_S10_S11_S12_S16_S17_S18_S1B_S1C_jS1D_jS1E_S1E_jjS1G_bEUljE0_EEESZ_S10_S11_S18_S1C_S1E_T6_T7_T9_mT8_S1G_bDpT10_ENKUlT_T0_E_clISt17integral_constantIbLb1EES1T_IbLb0EEEEDaS1P_S1Q_EUlS1P_E_NS1_11comp_targetILNS1_3genE8ELNS1_11target_archE1030ELNS1_3gpuE2ELNS1_3repE0EEENS1_30default_config_static_selectorELNS0_4arch9wavefront6targetE0EEEvS12_
		.amdhsa_group_segment_fixed_size 0
		.amdhsa_private_segment_fixed_size 0
		.amdhsa_kernarg_size 176
		.amdhsa_user_sgpr_count 2
		.amdhsa_user_sgpr_dispatch_ptr 0
		.amdhsa_user_sgpr_queue_ptr 0
		.amdhsa_user_sgpr_kernarg_segment_ptr 1
		.amdhsa_user_sgpr_dispatch_id 0
		.amdhsa_user_sgpr_kernarg_preload_length 0
		.amdhsa_user_sgpr_kernarg_preload_offset 0
		.amdhsa_user_sgpr_private_segment_size 0
		.amdhsa_wavefront_size32 1
		.amdhsa_uses_dynamic_stack 0
		.amdhsa_enable_private_segment 0
		.amdhsa_system_sgpr_workgroup_id_x 1
		.amdhsa_system_sgpr_workgroup_id_y 0
		.amdhsa_system_sgpr_workgroup_id_z 0
		.amdhsa_system_sgpr_workgroup_info 0
		.amdhsa_system_vgpr_workitem_id 0
		.amdhsa_next_free_vgpr 1
		.amdhsa_next_free_sgpr 1
		.amdhsa_named_barrier_count 0
		.amdhsa_reserve_vcc 0
		.amdhsa_float_round_mode_32 0
		.amdhsa_float_round_mode_16_64 0
		.amdhsa_float_denorm_mode_32 3
		.amdhsa_float_denorm_mode_16_64 3
		.amdhsa_fp16_overflow 0
		.amdhsa_memory_ordered 1
		.amdhsa_forward_progress 1
		.amdhsa_inst_pref_size 0
		.amdhsa_round_robin_scheduling 0
		.amdhsa_exception_fp_ieee_invalid_op 0
		.amdhsa_exception_fp_denorm_src 0
		.amdhsa_exception_fp_ieee_div_zero 0
		.amdhsa_exception_fp_ieee_overflow 0
		.amdhsa_exception_fp_ieee_underflow 0
		.amdhsa_exception_fp_ieee_inexact 0
		.amdhsa_exception_int_div_zero 0
	.end_amdhsa_kernel
	.section	.text._ZN7rocprim17ROCPRIM_400000_NS6detail17trampoline_kernelINS0_13select_configILj256ELj13ELNS0_17block_load_methodE3ELS4_3ELS4_3ELNS0_20block_scan_algorithmE0ELj4294967295EEENS1_25partition_config_selectorILNS1_17partition_subalgoE4EjNS0_10empty_typeEbEEZZNS1_14partition_implILS8_4ELb0ES6_15HIP_vector_typeIjLj2EENS0_17counting_iteratorIjlEEPS9_SG_NS0_5tupleIJPjSI_NS0_16reverse_iteratorISI_EEEEENSH_IJSG_SG_SG_EEES9_SI_JZNS1_25segmented_radix_sort_implINS0_14default_configELb0EPKhPhPKlPlN2at6native12_GLOBAL__N_18offset_tEEE10hipError_tPvRmT1_PNSt15iterator_traitsIS12_E10value_typeET2_T3_PNS13_IS18_E10value_typeET4_jRbjT5_S1E_jjP12ihipStream_tbEUljE_ZNSN_ISO_Lb0ESQ_SR_ST_SU_SY_EESZ_S10_S11_S12_S16_S17_S18_S1B_S1C_jS1D_jS1E_S1E_jjS1G_bEUljE0_EEESZ_S10_S11_S18_S1C_S1E_T6_T7_T9_mT8_S1G_bDpT10_ENKUlT_T0_E_clISt17integral_constantIbLb1EES1T_IbLb0EEEEDaS1P_S1Q_EUlS1P_E_NS1_11comp_targetILNS1_3genE8ELNS1_11target_archE1030ELNS1_3gpuE2ELNS1_3repE0EEENS1_30default_config_static_selectorELNS0_4arch9wavefront6targetE0EEEvS12_,"axG",@progbits,_ZN7rocprim17ROCPRIM_400000_NS6detail17trampoline_kernelINS0_13select_configILj256ELj13ELNS0_17block_load_methodE3ELS4_3ELS4_3ELNS0_20block_scan_algorithmE0ELj4294967295EEENS1_25partition_config_selectorILNS1_17partition_subalgoE4EjNS0_10empty_typeEbEEZZNS1_14partition_implILS8_4ELb0ES6_15HIP_vector_typeIjLj2EENS0_17counting_iteratorIjlEEPS9_SG_NS0_5tupleIJPjSI_NS0_16reverse_iteratorISI_EEEEENSH_IJSG_SG_SG_EEES9_SI_JZNS1_25segmented_radix_sort_implINS0_14default_configELb0EPKhPhPKlPlN2at6native12_GLOBAL__N_18offset_tEEE10hipError_tPvRmT1_PNSt15iterator_traitsIS12_E10value_typeET2_T3_PNS13_IS18_E10value_typeET4_jRbjT5_S1E_jjP12ihipStream_tbEUljE_ZNSN_ISO_Lb0ESQ_SR_ST_SU_SY_EESZ_S10_S11_S12_S16_S17_S18_S1B_S1C_jS1D_jS1E_S1E_jjS1G_bEUljE0_EEESZ_S10_S11_S18_S1C_S1E_T6_T7_T9_mT8_S1G_bDpT10_ENKUlT_T0_E_clISt17integral_constantIbLb1EES1T_IbLb0EEEEDaS1P_S1Q_EUlS1P_E_NS1_11comp_targetILNS1_3genE8ELNS1_11target_archE1030ELNS1_3gpuE2ELNS1_3repE0EEENS1_30default_config_static_selectorELNS0_4arch9wavefront6targetE0EEEvS12_,comdat
.Lfunc_end144:
	.size	_ZN7rocprim17ROCPRIM_400000_NS6detail17trampoline_kernelINS0_13select_configILj256ELj13ELNS0_17block_load_methodE3ELS4_3ELS4_3ELNS0_20block_scan_algorithmE0ELj4294967295EEENS1_25partition_config_selectorILNS1_17partition_subalgoE4EjNS0_10empty_typeEbEEZZNS1_14partition_implILS8_4ELb0ES6_15HIP_vector_typeIjLj2EENS0_17counting_iteratorIjlEEPS9_SG_NS0_5tupleIJPjSI_NS0_16reverse_iteratorISI_EEEEENSH_IJSG_SG_SG_EEES9_SI_JZNS1_25segmented_radix_sort_implINS0_14default_configELb0EPKhPhPKlPlN2at6native12_GLOBAL__N_18offset_tEEE10hipError_tPvRmT1_PNSt15iterator_traitsIS12_E10value_typeET2_T3_PNS13_IS18_E10value_typeET4_jRbjT5_S1E_jjP12ihipStream_tbEUljE_ZNSN_ISO_Lb0ESQ_SR_ST_SU_SY_EESZ_S10_S11_S12_S16_S17_S18_S1B_S1C_jS1D_jS1E_S1E_jjS1G_bEUljE0_EEESZ_S10_S11_S18_S1C_S1E_T6_T7_T9_mT8_S1G_bDpT10_ENKUlT_T0_E_clISt17integral_constantIbLb1EES1T_IbLb0EEEEDaS1P_S1Q_EUlS1P_E_NS1_11comp_targetILNS1_3genE8ELNS1_11target_archE1030ELNS1_3gpuE2ELNS1_3repE0EEENS1_30default_config_static_selectorELNS0_4arch9wavefront6targetE0EEEvS12_, .Lfunc_end144-_ZN7rocprim17ROCPRIM_400000_NS6detail17trampoline_kernelINS0_13select_configILj256ELj13ELNS0_17block_load_methodE3ELS4_3ELS4_3ELNS0_20block_scan_algorithmE0ELj4294967295EEENS1_25partition_config_selectorILNS1_17partition_subalgoE4EjNS0_10empty_typeEbEEZZNS1_14partition_implILS8_4ELb0ES6_15HIP_vector_typeIjLj2EENS0_17counting_iteratorIjlEEPS9_SG_NS0_5tupleIJPjSI_NS0_16reverse_iteratorISI_EEEEENSH_IJSG_SG_SG_EEES9_SI_JZNS1_25segmented_radix_sort_implINS0_14default_configELb0EPKhPhPKlPlN2at6native12_GLOBAL__N_18offset_tEEE10hipError_tPvRmT1_PNSt15iterator_traitsIS12_E10value_typeET2_T3_PNS13_IS18_E10value_typeET4_jRbjT5_S1E_jjP12ihipStream_tbEUljE_ZNSN_ISO_Lb0ESQ_SR_ST_SU_SY_EESZ_S10_S11_S12_S16_S17_S18_S1B_S1C_jS1D_jS1E_S1E_jjS1G_bEUljE0_EEESZ_S10_S11_S18_S1C_S1E_T6_T7_T9_mT8_S1G_bDpT10_ENKUlT_T0_E_clISt17integral_constantIbLb1EES1T_IbLb0EEEEDaS1P_S1Q_EUlS1P_E_NS1_11comp_targetILNS1_3genE8ELNS1_11target_archE1030ELNS1_3gpuE2ELNS1_3repE0EEENS1_30default_config_static_selectorELNS0_4arch9wavefront6targetE0EEEvS12_
                                        ; -- End function
	.set _ZN7rocprim17ROCPRIM_400000_NS6detail17trampoline_kernelINS0_13select_configILj256ELj13ELNS0_17block_load_methodE3ELS4_3ELS4_3ELNS0_20block_scan_algorithmE0ELj4294967295EEENS1_25partition_config_selectorILNS1_17partition_subalgoE4EjNS0_10empty_typeEbEEZZNS1_14partition_implILS8_4ELb0ES6_15HIP_vector_typeIjLj2EENS0_17counting_iteratorIjlEEPS9_SG_NS0_5tupleIJPjSI_NS0_16reverse_iteratorISI_EEEEENSH_IJSG_SG_SG_EEES9_SI_JZNS1_25segmented_radix_sort_implINS0_14default_configELb0EPKhPhPKlPlN2at6native12_GLOBAL__N_18offset_tEEE10hipError_tPvRmT1_PNSt15iterator_traitsIS12_E10value_typeET2_T3_PNS13_IS18_E10value_typeET4_jRbjT5_S1E_jjP12ihipStream_tbEUljE_ZNSN_ISO_Lb0ESQ_SR_ST_SU_SY_EESZ_S10_S11_S12_S16_S17_S18_S1B_S1C_jS1D_jS1E_S1E_jjS1G_bEUljE0_EEESZ_S10_S11_S18_S1C_S1E_T6_T7_T9_mT8_S1G_bDpT10_ENKUlT_T0_E_clISt17integral_constantIbLb1EES1T_IbLb0EEEEDaS1P_S1Q_EUlS1P_E_NS1_11comp_targetILNS1_3genE8ELNS1_11target_archE1030ELNS1_3gpuE2ELNS1_3repE0EEENS1_30default_config_static_selectorELNS0_4arch9wavefront6targetE0EEEvS12_.num_vgpr, 0
	.set _ZN7rocprim17ROCPRIM_400000_NS6detail17trampoline_kernelINS0_13select_configILj256ELj13ELNS0_17block_load_methodE3ELS4_3ELS4_3ELNS0_20block_scan_algorithmE0ELj4294967295EEENS1_25partition_config_selectorILNS1_17partition_subalgoE4EjNS0_10empty_typeEbEEZZNS1_14partition_implILS8_4ELb0ES6_15HIP_vector_typeIjLj2EENS0_17counting_iteratorIjlEEPS9_SG_NS0_5tupleIJPjSI_NS0_16reverse_iteratorISI_EEEEENSH_IJSG_SG_SG_EEES9_SI_JZNS1_25segmented_radix_sort_implINS0_14default_configELb0EPKhPhPKlPlN2at6native12_GLOBAL__N_18offset_tEEE10hipError_tPvRmT1_PNSt15iterator_traitsIS12_E10value_typeET2_T3_PNS13_IS18_E10value_typeET4_jRbjT5_S1E_jjP12ihipStream_tbEUljE_ZNSN_ISO_Lb0ESQ_SR_ST_SU_SY_EESZ_S10_S11_S12_S16_S17_S18_S1B_S1C_jS1D_jS1E_S1E_jjS1G_bEUljE0_EEESZ_S10_S11_S18_S1C_S1E_T6_T7_T9_mT8_S1G_bDpT10_ENKUlT_T0_E_clISt17integral_constantIbLb1EES1T_IbLb0EEEEDaS1P_S1Q_EUlS1P_E_NS1_11comp_targetILNS1_3genE8ELNS1_11target_archE1030ELNS1_3gpuE2ELNS1_3repE0EEENS1_30default_config_static_selectorELNS0_4arch9wavefront6targetE0EEEvS12_.num_agpr, 0
	.set _ZN7rocprim17ROCPRIM_400000_NS6detail17trampoline_kernelINS0_13select_configILj256ELj13ELNS0_17block_load_methodE3ELS4_3ELS4_3ELNS0_20block_scan_algorithmE0ELj4294967295EEENS1_25partition_config_selectorILNS1_17partition_subalgoE4EjNS0_10empty_typeEbEEZZNS1_14partition_implILS8_4ELb0ES6_15HIP_vector_typeIjLj2EENS0_17counting_iteratorIjlEEPS9_SG_NS0_5tupleIJPjSI_NS0_16reverse_iteratorISI_EEEEENSH_IJSG_SG_SG_EEES9_SI_JZNS1_25segmented_radix_sort_implINS0_14default_configELb0EPKhPhPKlPlN2at6native12_GLOBAL__N_18offset_tEEE10hipError_tPvRmT1_PNSt15iterator_traitsIS12_E10value_typeET2_T3_PNS13_IS18_E10value_typeET4_jRbjT5_S1E_jjP12ihipStream_tbEUljE_ZNSN_ISO_Lb0ESQ_SR_ST_SU_SY_EESZ_S10_S11_S12_S16_S17_S18_S1B_S1C_jS1D_jS1E_S1E_jjS1G_bEUljE0_EEESZ_S10_S11_S18_S1C_S1E_T6_T7_T9_mT8_S1G_bDpT10_ENKUlT_T0_E_clISt17integral_constantIbLb1EES1T_IbLb0EEEEDaS1P_S1Q_EUlS1P_E_NS1_11comp_targetILNS1_3genE8ELNS1_11target_archE1030ELNS1_3gpuE2ELNS1_3repE0EEENS1_30default_config_static_selectorELNS0_4arch9wavefront6targetE0EEEvS12_.numbered_sgpr, 0
	.set _ZN7rocprim17ROCPRIM_400000_NS6detail17trampoline_kernelINS0_13select_configILj256ELj13ELNS0_17block_load_methodE3ELS4_3ELS4_3ELNS0_20block_scan_algorithmE0ELj4294967295EEENS1_25partition_config_selectorILNS1_17partition_subalgoE4EjNS0_10empty_typeEbEEZZNS1_14partition_implILS8_4ELb0ES6_15HIP_vector_typeIjLj2EENS0_17counting_iteratorIjlEEPS9_SG_NS0_5tupleIJPjSI_NS0_16reverse_iteratorISI_EEEEENSH_IJSG_SG_SG_EEES9_SI_JZNS1_25segmented_radix_sort_implINS0_14default_configELb0EPKhPhPKlPlN2at6native12_GLOBAL__N_18offset_tEEE10hipError_tPvRmT1_PNSt15iterator_traitsIS12_E10value_typeET2_T3_PNS13_IS18_E10value_typeET4_jRbjT5_S1E_jjP12ihipStream_tbEUljE_ZNSN_ISO_Lb0ESQ_SR_ST_SU_SY_EESZ_S10_S11_S12_S16_S17_S18_S1B_S1C_jS1D_jS1E_S1E_jjS1G_bEUljE0_EEESZ_S10_S11_S18_S1C_S1E_T6_T7_T9_mT8_S1G_bDpT10_ENKUlT_T0_E_clISt17integral_constantIbLb1EES1T_IbLb0EEEEDaS1P_S1Q_EUlS1P_E_NS1_11comp_targetILNS1_3genE8ELNS1_11target_archE1030ELNS1_3gpuE2ELNS1_3repE0EEENS1_30default_config_static_selectorELNS0_4arch9wavefront6targetE0EEEvS12_.num_named_barrier, 0
	.set _ZN7rocprim17ROCPRIM_400000_NS6detail17trampoline_kernelINS0_13select_configILj256ELj13ELNS0_17block_load_methodE3ELS4_3ELS4_3ELNS0_20block_scan_algorithmE0ELj4294967295EEENS1_25partition_config_selectorILNS1_17partition_subalgoE4EjNS0_10empty_typeEbEEZZNS1_14partition_implILS8_4ELb0ES6_15HIP_vector_typeIjLj2EENS0_17counting_iteratorIjlEEPS9_SG_NS0_5tupleIJPjSI_NS0_16reverse_iteratorISI_EEEEENSH_IJSG_SG_SG_EEES9_SI_JZNS1_25segmented_radix_sort_implINS0_14default_configELb0EPKhPhPKlPlN2at6native12_GLOBAL__N_18offset_tEEE10hipError_tPvRmT1_PNSt15iterator_traitsIS12_E10value_typeET2_T3_PNS13_IS18_E10value_typeET4_jRbjT5_S1E_jjP12ihipStream_tbEUljE_ZNSN_ISO_Lb0ESQ_SR_ST_SU_SY_EESZ_S10_S11_S12_S16_S17_S18_S1B_S1C_jS1D_jS1E_S1E_jjS1G_bEUljE0_EEESZ_S10_S11_S18_S1C_S1E_T6_T7_T9_mT8_S1G_bDpT10_ENKUlT_T0_E_clISt17integral_constantIbLb1EES1T_IbLb0EEEEDaS1P_S1Q_EUlS1P_E_NS1_11comp_targetILNS1_3genE8ELNS1_11target_archE1030ELNS1_3gpuE2ELNS1_3repE0EEENS1_30default_config_static_selectorELNS0_4arch9wavefront6targetE0EEEvS12_.private_seg_size, 0
	.set _ZN7rocprim17ROCPRIM_400000_NS6detail17trampoline_kernelINS0_13select_configILj256ELj13ELNS0_17block_load_methodE3ELS4_3ELS4_3ELNS0_20block_scan_algorithmE0ELj4294967295EEENS1_25partition_config_selectorILNS1_17partition_subalgoE4EjNS0_10empty_typeEbEEZZNS1_14partition_implILS8_4ELb0ES6_15HIP_vector_typeIjLj2EENS0_17counting_iteratorIjlEEPS9_SG_NS0_5tupleIJPjSI_NS0_16reverse_iteratorISI_EEEEENSH_IJSG_SG_SG_EEES9_SI_JZNS1_25segmented_radix_sort_implINS0_14default_configELb0EPKhPhPKlPlN2at6native12_GLOBAL__N_18offset_tEEE10hipError_tPvRmT1_PNSt15iterator_traitsIS12_E10value_typeET2_T3_PNS13_IS18_E10value_typeET4_jRbjT5_S1E_jjP12ihipStream_tbEUljE_ZNSN_ISO_Lb0ESQ_SR_ST_SU_SY_EESZ_S10_S11_S12_S16_S17_S18_S1B_S1C_jS1D_jS1E_S1E_jjS1G_bEUljE0_EEESZ_S10_S11_S18_S1C_S1E_T6_T7_T9_mT8_S1G_bDpT10_ENKUlT_T0_E_clISt17integral_constantIbLb1EES1T_IbLb0EEEEDaS1P_S1Q_EUlS1P_E_NS1_11comp_targetILNS1_3genE8ELNS1_11target_archE1030ELNS1_3gpuE2ELNS1_3repE0EEENS1_30default_config_static_selectorELNS0_4arch9wavefront6targetE0EEEvS12_.uses_vcc, 0
	.set _ZN7rocprim17ROCPRIM_400000_NS6detail17trampoline_kernelINS0_13select_configILj256ELj13ELNS0_17block_load_methodE3ELS4_3ELS4_3ELNS0_20block_scan_algorithmE0ELj4294967295EEENS1_25partition_config_selectorILNS1_17partition_subalgoE4EjNS0_10empty_typeEbEEZZNS1_14partition_implILS8_4ELb0ES6_15HIP_vector_typeIjLj2EENS0_17counting_iteratorIjlEEPS9_SG_NS0_5tupleIJPjSI_NS0_16reverse_iteratorISI_EEEEENSH_IJSG_SG_SG_EEES9_SI_JZNS1_25segmented_radix_sort_implINS0_14default_configELb0EPKhPhPKlPlN2at6native12_GLOBAL__N_18offset_tEEE10hipError_tPvRmT1_PNSt15iterator_traitsIS12_E10value_typeET2_T3_PNS13_IS18_E10value_typeET4_jRbjT5_S1E_jjP12ihipStream_tbEUljE_ZNSN_ISO_Lb0ESQ_SR_ST_SU_SY_EESZ_S10_S11_S12_S16_S17_S18_S1B_S1C_jS1D_jS1E_S1E_jjS1G_bEUljE0_EEESZ_S10_S11_S18_S1C_S1E_T6_T7_T9_mT8_S1G_bDpT10_ENKUlT_T0_E_clISt17integral_constantIbLb1EES1T_IbLb0EEEEDaS1P_S1Q_EUlS1P_E_NS1_11comp_targetILNS1_3genE8ELNS1_11target_archE1030ELNS1_3gpuE2ELNS1_3repE0EEENS1_30default_config_static_selectorELNS0_4arch9wavefront6targetE0EEEvS12_.uses_flat_scratch, 0
	.set _ZN7rocprim17ROCPRIM_400000_NS6detail17trampoline_kernelINS0_13select_configILj256ELj13ELNS0_17block_load_methodE3ELS4_3ELS4_3ELNS0_20block_scan_algorithmE0ELj4294967295EEENS1_25partition_config_selectorILNS1_17partition_subalgoE4EjNS0_10empty_typeEbEEZZNS1_14partition_implILS8_4ELb0ES6_15HIP_vector_typeIjLj2EENS0_17counting_iteratorIjlEEPS9_SG_NS0_5tupleIJPjSI_NS0_16reverse_iteratorISI_EEEEENSH_IJSG_SG_SG_EEES9_SI_JZNS1_25segmented_radix_sort_implINS0_14default_configELb0EPKhPhPKlPlN2at6native12_GLOBAL__N_18offset_tEEE10hipError_tPvRmT1_PNSt15iterator_traitsIS12_E10value_typeET2_T3_PNS13_IS18_E10value_typeET4_jRbjT5_S1E_jjP12ihipStream_tbEUljE_ZNSN_ISO_Lb0ESQ_SR_ST_SU_SY_EESZ_S10_S11_S12_S16_S17_S18_S1B_S1C_jS1D_jS1E_S1E_jjS1G_bEUljE0_EEESZ_S10_S11_S18_S1C_S1E_T6_T7_T9_mT8_S1G_bDpT10_ENKUlT_T0_E_clISt17integral_constantIbLb1EES1T_IbLb0EEEEDaS1P_S1Q_EUlS1P_E_NS1_11comp_targetILNS1_3genE8ELNS1_11target_archE1030ELNS1_3gpuE2ELNS1_3repE0EEENS1_30default_config_static_selectorELNS0_4arch9wavefront6targetE0EEEvS12_.has_dyn_sized_stack, 0
	.set _ZN7rocprim17ROCPRIM_400000_NS6detail17trampoline_kernelINS0_13select_configILj256ELj13ELNS0_17block_load_methodE3ELS4_3ELS4_3ELNS0_20block_scan_algorithmE0ELj4294967295EEENS1_25partition_config_selectorILNS1_17partition_subalgoE4EjNS0_10empty_typeEbEEZZNS1_14partition_implILS8_4ELb0ES6_15HIP_vector_typeIjLj2EENS0_17counting_iteratorIjlEEPS9_SG_NS0_5tupleIJPjSI_NS0_16reverse_iteratorISI_EEEEENSH_IJSG_SG_SG_EEES9_SI_JZNS1_25segmented_radix_sort_implINS0_14default_configELb0EPKhPhPKlPlN2at6native12_GLOBAL__N_18offset_tEEE10hipError_tPvRmT1_PNSt15iterator_traitsIS12_E10value_typeET2_T3_PNS13_IS18_E10value_typeET4_jRbjT5_S1E_jjP12ihipStream_tbEUljE_ZNSN_ISO_Lb0ESQ_SR_ST_SU_SY_EESZ_S10_S11_S12_S16_S17_S18_S1B_S1C_jS1D_jS1E_S1E_jjS1G_bEUljE0_EEESZ_S10_S11_S18_S1C_S1E_T6_T7_T9_mT8_S1G_bDpT10_ENKUlT_T0_E_clISt17integral_constantIbLb1EES1T_IbLb0EEEEDaS1P_S1Q_EUlS1P_E_NS1_11comp_targetILNS1_3genE8ELNS1_11target_archE1030ELNS1_3gpuE2ELNS1_3repE0EEENS1_30default_config_static_selectorELNS0_4arch9wavefront6targetE0EEEvS12_.has_recursion, 0
	.set _ZN7rocprim17ROCPRIM_400000_NS6detail17trampoline_kernelINS0_13select_configILj256ELj13ELNS0_17block_load_methodE3ELS4_3ELS4_3ELNS0_20block_scan_algorithmE0ELj4294967295EEENS1_25partition_config_selectorILNS1_17partition_subalgoE4EjNS0_10empty_typeEbEEZZNS1_14partition_implILS8_4ELb0ES6_15HIP_vector_typeIjLj2EENS0_17counting_iteratorIjlEEPS9_SG_NS0_5tupleIJPjSI_NS0_16reverse_iteratorISI_EEEEENSH_IJSG_SG_SG_EEES9_SI_JZNS1_25segmented_radix_sort_implINS0_14default_configELb0EPKhPhPKlPlN2at6native12_GLOBAL__N_18offset_tEEE10hipError_tPvRmT1_PNSt15iterator_traitsIS12_E10value_typeET2_T3_PNS13_IS18_E10value_typeET4_jRbjT5_S1E_jjP12ihipStream_tbEUljE_ZNSN_ISO_Lb0ESQ_SR_ST_SU_SY_EESZ_S10_S11_S12_S16_S17_S18_S1B_S1C_jS1D_jS1E_S1E_jjS1G_bEUljE0_EEESZ_S10_S11_S18_S1C_S1E_T6_T7_T9_mT8_S1G_bDpT10_ENKUlT_T0_E_clISt17integral_constantIbLb1EES1T_IbLb0EEEEDaS1P_S1Q_EUlS1P_E_NS1_11comp_targetILNS1_3genE8ELNS1_11target_archE1030ELNS1_3gpuE2ELNS1_3repE0EEENS1_30default_config_static_selectorELNS0_4arch9wavefront6targetE0EEEvS12_.has_indirect_call, 0
	.section	.AMDGPU.csdata,"",@progbits
; Kernel info:
; codeLenInByte = 0
; TotalNumSgprs: 0
; NumVgprs: 0
; ScratchSize: 0
; MemoryBound: 0
; FloatMode: 240
; IeeeMode: 1
; LDSByteSize: 0 bytes/workgroup (compile time only)
; SGPRBlocks: 0
; VGPRBlocks: 0
; NumSGPRsForWavesPerEU: 1
; NumVGPRsForWavesPerEU: 1
; NamedBarCnt: 0
; Occupancy: 16
; WaveLimiterHint : 0
; COMPUTE_PGM_RSRC2:SCRATCH_EN: 0
; COMPUTE_PGM_RSRC2:USER_SGPR: 2
; COMPUTE_PGM_RSRC2:TRAP_HANDLER: 0
; COMPUTE_PGM_RSRC2:TGID_X_EN: 1
; COMPUTE_PGM_RSRC2:TGID_Y_EN: 0
; COMPUTE_PGM_RSRC2:TGID_Z_EN: 0
; COMPUTE_PGM_RSRC2:TIDIG_COMP_CNT: 0
	.section	.text._ZN7rocprim17ROCPRIM_400000_NS6detail17trampoline_kernelINS0_13select_configILj256ELj13ELNS0_17block_load_methodE3ELS4_3ELS4_3ELNS0_20block_scan_algorithmE0ELj4294967295EEENS1_25partition_config_selectorILNS1_17partition_subalgoE4EjNS0_10empty_typeEbEEZZNS1_14partition_implILS8_4ELb0ES6_15HIP_vector_typeIjLj2EENS0_17counting_iteratorIjlEEPS9_SG_NS0_5tupleIJPjSI_NS0_16reverse_iteratorISI_EEEEENSH_IJSG_SG_SG_EEES9_SI_JZNS1_25segmented_radix_sort_implINS0_14default_configELb0EPKhPhPKlPlN2at6native12_GLOBAL__N_18offset_tEEE10hipError_tPvRmT1_PNSt15iterator_traitsIS12_E10value_typeET2_T3_PNS13_IS18_E10value_typeET4_jRbjT5_S1E_jjP12ihipStream_tbEUljE_ZNSN_ISO_Lb0ESQ_SR_ST_SU_SY_EESZ_S10_S11_S12_S16_S17_S18_S1B_S1C_jS1D_jS1E_S1E_jjS1G_bEUljE0_EEESZ_S10_S11_S18_S1C_S1E_T6_T7_T9_mT8_S1G_bDpT10_ENKUlT_T0_E_clISt17integral_constantIbLb0EES1T_IbLb1EEEEDaS1P_S1Q_EUlS1P_E_NS1_11comp_targetILNS1_3genE0ELNS1_11target_archE4294967295ELNS1_3gpuE0ELNS1_3repE0EEENS1_30default_config_static_selectorELNS0_4arch9wavefront6targetE0EEEvS12_,"axG",@progbits,_ZN7rocprim17ROCPRIM_400000_NS6detail17trampoline_kernelINS0_13select_configILj256ELj13ELNS0_17block_load_methodE3ELS4_3ELS4_3ELNS0_20block_scan_algorithmE0ELj4294967295EEENS1_25partition_config_selectorILNS1_17partition_subalgoE4EjNS0_10empty_typeEbEEZZNS1_14partition_implILS8_4ELb0ES6_15HIP_vector_typeIjLj2EENS0_17counting_iteratorIjlEEPS9_SG_NS0_5tupleIJPjSI_NS0_16reverse_iteratorISI_EEEEENSH_IJSG_SG_SG_EEES9_SI_JZNS1_25segmented_radix_sort_implINS0_14default_configELb0EPKhPhPKlPlN2at6native12_GLOBAL__N_18offset_tEEE10hipError_tPvRmT1_PNSt15iterator_traitsIS12_E10value_typeET2_T3_PNS13_IS18_E10value_typeET4_jRbjT5_S1E_jjP12ihipStream_tbEUljE_ZNSN_ISO_Lb0ESQ_SR_ST_SU_SY_EESZ_S10_S11_S12_S16_S17_S18_S1B_S1C_jS1D_jS1E_S1E_jjS1G_bEUljE0_EEESZ_S10_S11_S18_S1C_S1E_T6_T7_T9_mT8_S1G_bDpT10_ENKUlT_T0_E_clISt17integral_constantIbLb0EES1T_IbLb1EEEEDaS1P_S1Q_EUlS1P_E_NS1_11comp_targetILNS1_3genE0ELNS1_11target_archE4294967295ELNS1_3gpuE0ELNS1_3repE0EEENS1_30default_config_static_selectorELNS0_4arch9wavefront6targetE0EEEvS12_,comdat
	.globl	_ZN7rocprim17ROCPRIM_400000_NS6detail17trampoline_kernelINS0_13select_configILj256ELj13ELNS0_17block_load_methodE3ELS4_3ELS4_3ELNS0_20block_scan_algorithmE0ELj4294967295EEENS1_25partition_config_selectorILNS1_17partition_subalgoE4EjNS0_10empty_typeEbEEZZNS1_14partition_implILS8_4ELb0ES6_15HIP_vector_typeIjLj2EENS0_17counting_iteratorIjlEEPS9_SG_NS0_5tupleIJPjSI_NS0_16reverse_iteratorISI_EEEEENSH_IJSG_SG_SG_EEES9_SI_JZNS1_25segmented_radix_sort_implINS0_14default_configELb0EPKhPhPKlPlN2at6native12_GLOBAL__N_18offset_tEEE10hipError_tPvRmT1_PNSt15iterator_traitsIS12_E10value_typeET2_T3_PNS13_IS18_E10value_typeET4_jRbjT5_S1E_jjP12ihipStream_tbEUljE_ZNSN_ISO_Lb0ESQ_SR_ST_SU_SY_EESZ_S10_S11_S12_S16_S17_S18_S1B_S1C_jS1D_jS1E_S1E_jjS1G_bEUljE0_EEESZ_S10_S11_S18_S1C_S1E_T6_T7_T9_mT8_S1G_bDpT10_ENKUlT_T0_E_clISt17integral_constantIbLb0EES1T_IbLb1EEEEDaS1P_S1Q_EUlS1P_E_NS1_11comp_targetILNS1_3genE0ELNS1_11target_archE4294967295ELNS1_3gpuE0ELNS1_3repE0EEENS1_30default_config_static_selectorELNS0_4arch9wavefront6targetE0EEEvS12_ ; -- Begin function _ZN7rocprim17ROCPRIM_400000_NS6detail17trampoline_kernelINS0_13select_configILj256ELj13ELNS0_17block_load_methodE3ELS4_3ELS4_3ELNS0_20block_scan_algorithmE0ELj4294967295EEENS1_25partition_config_selectorILNS1_17partition_subalgoE4EjNS0_10empty_typeEbEEZZNS1_14partition_implILS8_4ELb0ES6_15HIP_vector_typeIjLj2EENS0_17counting_iteratorIjlEEPS9_SG_NS0_5tupleIJPjSI_NS0_16reverse_iteratorISI_EEEEENSH_IJSG_SG_SG_EEES9_SI_JZNS1_25segmented_radix_sort_implINS0_14default_configELb0EPKhPhPKlPlN2at6native12_GLOBAL__N_18offset_tEEE10hipError_tPvRmT1_PNSt15iterator_traitsIS12_E10value_typeET2_T3_PNS13_IS18_E10value_typeET4_jRbjT5_S1E_jjP12ihipStream_tbEUljE_ZNSN_ISO_Lb0ESQ_SR_ST_SU_SY_EESZ_S10_S11_S12_S16_S17_S18_S1B_S1C_jS1D_jS1E_S1E_jjS1G_bEUljE0_EEESZ_S10_S11_S18_S1C_S1E_T6_T7_T9_mT8_S1G_bDpT10_ENKUlT_T0_E_clISt17integral_constantIbLb0EES1T_IbLb1EEEEDaS1P_S1Q_EUlS1P_E_NS1_11comp_targetILNS1_3genE0ELNS1_11target_archE4294967295ELNS1_3gpuE0ELNS1_3repE0EEENS1_30default_config_static_selectorELNS0_4arch9wavefront6targetE0EEEvS12_
	.p2align	8
	.type	_ZN7rocprim17ROCPRIM_400000_NS6detail17trampoline_kernelINS0_13select_configILj256ELj13ELNS0_17block_load_methodE3ELS4_3ELS4_3ELNS0_20block_scan_algorithmE0ELj4294967295EEENS1_25partition_config_selectorILNS1_17partition_subalgoE4EjNS0_10empty_typeEbEEZZNS1_14partition_implILS8_4ELb0ES6_15HIP_vector_typeIjLj2EENS0_17counting_iteratorIjlEEPS9_SG_NS0_5tupleIJPjSI_NS0_16reverse_iteratorISI_EEEEENSH_IJSG_SG_SG_EEES9_SI_JZNS1_25segmented_radix_sort_implINS0_14default_configELb0EPKhPhPKlPlN2at6native12_GLOBAL__N_18offset_tEEE10hipError_tPvRmT1_PNSt15iterator_traitsIS12_E10value_typeET2_T3_PNS13_IS18_E10value_typeET4_jRbjT5_S1E_jjP12ihipStream_tbEUljE_ZNSN_ISO_Lb0ESQ_SR_ST_SU_SY_EESZ_S10_S11_S12_S16_S17_S18_S1B_S1C_jS1D_jS1E_S1E_jjS1G_bEUljE0_EEESZ_S10_S11_S18_S1C_S1E_T6_T7_T9_mT8_S1G_bDpT10_ENKUlT_T0_E_clISt17integral_constantIbLb0EES1T_IbLb1EEEEDaS1P_S1Q_EUlS1P_E_NS1_11comp_targetILNS1_3genE0ELNS1_11target_archE4294967295ELNS1_3gpuE0ELNS1_3repE0EEENS1_30default_config_static_selectorELNS0_4arch9wavefront6targetE0EEEvS12_,@function
_ZN7rocprim17ROCPRIM_400000_NS6detail17trampoline_kernelINS0_13select_configILj256ELj13ELNS0_17block_load_methodE3ELS4_3ELS4_3ELNS0_20block_scan_algorithmE0ELj4294967295EEENS1_25partition_config_selectorILNS1_17partition_subalgoE4EjNS0_10empty_typeEbEEZZNS1_14partition_implILS8_4ELb0ES6_15HIP_vector_typeIjLj2EENS0_17counting_iteratorIjlEEPS9_SG_NS0_5tupleIJPjSI_NS0_16reverse_iteratorISI_EEEEENSH_IJSG_SG_SG_EEES9_SI_JZNS1_25segmented_radix_sort_implINS0_14default_configELb0EPKhPhPKlPlN2at6native12_GLOBAL__N_18offset_tEEE10hipError_tPvRmT1_PNSt15iterator_traitsIS12_E10value_typeET2_T3_PNS13_IS18_E10value_typeET4_jRbjT5_S1E_jjP12ihipStream_tbEUljE_ZNSN_ISO_Lb0ESQ_SR_ST_SU_SY_EESZ_S10_S11_S12_S16_S17_S18_S1B_S1C_jS1D_jS1E_S1E_jjS1G_bEUljE0_EEESZ_S10_S11_S18_S1C_S1E_T6_T7_T9_mT8_S1G_bDpT10_ENKUlT_T0_E_clISt17integral_constantIbLb0EES1T_IbLb1EEEEDaS1P_S1Q_EUlS1P_E_NS1_11comp_targetILNS1_3genE0ELNS1_11target_archE4294967295ELNS1_3gpuE0ELNS1_3repE0EEENS1_30default_config_static_selectorELNS0_4arch9wavefront6targetE0EEEvS12_: ; @_ZN7rocprim17ROCPRIM_400000_NS6detail17trampoline_kernelINS0_13select_configILj256ELj13ELNS0_17block_load_methodE3ELS4_3ELS4_3ELNS0_20block_scan_algorithmE0ELj4294967295EEENS1_25partition_config_selectorILNS1_17partition_subalgoE4EjNS0_10empty_typeEbEEZZNS1_14partition_implILS8_4ELb0ES6_15HIP_vector_typeIjLj2EENS0_17counting_iteratorIjlEEPS9_SG_NS0_5tupleIJPjSI_NS0_16reverse_iteratorISI_EEEEENSH_IJSG_SG_SG_EEES9_SI_JZNS1_25segmented_radix_sort_implINS0_14default_configELb0EPKhPhPKlPlN2at6native12_GLOBAL__N_18offset_tEEE10hipError_tPvRmT1_PNSt15iterator_traitsIS12_E10value_typeET2_T3_PNS13_IS18_E10value_typeET4_jRbjT5_S1E_jjP12ihipStream_tbEUljE_ZNSN_ISO_Lb0ESQ_SR_ST_SU_SY_EESZ_S10_S11_S12_S16_S17_S18_S1B_S1C_jS1D_jS1E_S1E_jjS1G_bEUljE0_EEESZ_S10_S11_S18_S1C_S1E_T6_T7_T9_mT8_S1G_bDpT10_ENKUlT_T0_E_clISt17integral_constantIbLb0EES1T_IbLb1EEEEDaS1P_S1Q_EUlS1P_E_NS1_11comp_targetILNS1_3genE0ELNS1_11target_archE4294967295ELNS1_3gpuE0ELNS1_3repE0EEENS1_30default_config_static_selectorELNS0_4arch9wavefront6targetE0EEEvS12_
; %bb.0:
	s_clause 0x7
	s_load_b64 s[34:35], s[0:1], 0x10
	s_load_b128 s[28:31], s[0:1], 0x28
	s_load_b64 s[14:15], s[0:1], 0x38
	s_load_b128 s[24:27], s[0:1], 0x58
	s_load_b64 s[4:5], s[0:1], 0x68
	s_load_b64 s[36:37], s[0:1], 0x78
	;; [unrolled: 1-line block ×3, first 2 shown]
	s_load_b256 s[16:23], s[0:1], 0x90
	v_cmp_eq_u32_e64 s2, 0, v0
	s_and_saveexec_b32 s3, s2
	s_cbranch_execz .LBB145_4
; %bb.1:
	s_mov_b32 s7, exec_lo
	s_mov_b32 s6, exec_lo
	v_mbcnt_lo_u32_b32 v1, s7, 0
                                        ; implicit-def: $vgpr2
	s_delay_alu instid0(VALU_DEP_1)
	v_cmpx_eq_u32_e32 0, v1
	s_cbranch_execz .LBB145_3
; %bb.2:
	s_load_b64 s[8:9], s[0:1], 0x88
	s_bcnt1_i32_b32 s7, s7
	s_delay_alu instid0(SALU_CYCLE_1)
	v_dual_mov_b32 v2, 0 :: v_dual_mov_b32 v3, s7
	s_wait_xcnt 0x0
	s_wait_kmcnt 0x0
	global_atomic_add_u32 v2, v2, v3, s[8:9] th:TH_ATOMIC_RETURN scope:SCOPE_DEV
.LBB145_3:
	s_wait_xcnt 0x0
	s_or_b32 exec_lo, exec_lo, s6
	s_wait_loadcnt 0x0
	v_readfirstlane_b32 s6, v2
	s_delay_alu instid0(VALU_DEP_1)
	v_dual_mov_b32 v2, 0 :: v_dual_add_nc_u32 v1, s6, v1
	ds_store_b32 v2, v1
.LBB145_4:
	s_or_b32 exec_lo, exec_lo, s3
	v_mov_b32_e32 v1, 0
	s_clause 0x1
	s_load_b32 s3, s[0:1], 0x8
	s_load_b32 s6, s[0:1], 0x80
	s_wait_dscnt 0x0
	s_barrier_signal -1
	s_barrier_wait -1
	ds_load_b32 v6, v1
	s_wait_dscnt 0x0
	s_barrier_signal -1
	s_barrier_wait -1
	s_wait_kmcnt 0x0
	global_load_b128 v[2:5], v1, s[26:27]
	s_mov_b32 s1, 0
	s_add_co_i32 s3, s3, s34
	s_mul_i32 s0, s6, 0xd00
	s_add_co_i32 s6, s6, -1
	s_add_nc_u64 s[8:9], s[34:35], s[0:1]
	s_delay_alu instid0(SALU_CYCLE_1)
	v_cmp_gt_u64_e64 s1, s[4:5], s[8:9]
	v_mul_lo_u32 v14, 0xd00, v6
	s_wait_xcnt 0x0
	v_readfirstlane_b32 s27, v6
	v_cmp_ne_u32_e32 vcc_lo, s6, v6
	s_cmp_eq_u32 s27, s6
	s_cselect_b32 s26, -1, 0
	s_or_b32 s1, s1, vcc_lo
	v_add3_u32 v1, v14, s3, v0
	s_and_b32 vcc_lo, exec_lo, s1
	s_mov_b32 s3, -1
	s_delay_alu instid0(VALU_DEP_1)
	v_add_nc_u32_e32 v6, 0x100, v1
	v_add_nc_u32_e32 v7, 0x200, v1
	;; [unrolled: 1-line block ×12, first 2 shown]
	s_cbranch_vccz .LBB145_6
; %bb.5:
	v_lshlrev_b32_e32 v19, 2, v0
	s_mov_b32 s3, 0
	ds_store_2addr_stride64_b32 v19, v1, v6 offset1:4
	ds_store_2addr_stride64_b32 v19, v7, v8 offset0:8 offset1:12
	ds_store_2addr_stride64_b32 v19, v9, v10 offset0:16 offset1:20
	;; [unrolled: 1-line block ×5, first 2 shown]
	ds_store_b32 v19, v18 offset:12288
	s_wait_loadcnt_dscnt 0x0
	s_barrier_signal -1
	s_barrier_wait -1
.LBB145_6:
	s_and_not1_b32 vcc_lo, exec_lo, s3
	s_add_co_i32 s0, s0, s34
	s_cbranch_vccnz .LBB145_8
; %bb.7:
	v_lshlrev_b32_e32 v19, 2, v0
	ds_store_2addr_stride64_b32 v19, v1, v6 offset1:4
	ds_store_2addr_stride64_b32 v19, v7, v8 offset0:8 offset1:12
	ds_store_2addr_stride64_b32 v19, v9, v10 offset0:16 offset1:20
	;; [unrolled: 1-line block ×5, first 2 shown]
	ds_store_b32 v19, v18 offset:12288
	s_wait_loadcnt_dscnt 0x0
	s_barrier_signal -1
	s_barrier_wait -1
.LBB145_8:
	v_mul_u32_u24_e32 v15, 13, v0
	s_wait_loadcnt 0x0
	v_cndmask_b32_e64 v35, 0, 1, s1
	s_sub_co_i32 s33, s4, s0
	s_and_not1_b32 vcc_lo, exec_lo, s1
	v_lshlrev_b32_e32 v1, 2, v15
	ds_load_b32 v34, v1 offset:48
	ds_load_2addr_b32 v[16:17], v1 offset0:10 offset1:11
	ds_load_2addr_b32 v[18:19], v1 offset0:8 offset1:9
	;; [unrolled: 1-line block ×4, first 2 shown]
	ds_load_2addr_b32 v[26:27], v1 offset1:1
	ds_load_2addr_b32 v[24:25], v1 offset0:2 offset1:3
	s_wait_dscnt 0x0
	s_barrier_signal -1
	s_barrier_wait -1
	s_cbranch_vccnz .LBB145_36
; %bb.9:
	v_dual_add_nc_u32 v1, s17, v26 :: v_dual_add_nc_u32 v6, s19, v26
	s_mov_b32 s41, 0
	s_mov_b32 s40, 0
	s_mov_b32 s1, exec_lo
	s_delay_alu instid0(VALU_DEP_1) | instskip(SKIP_1) | instid1(VALU_DEP_1)
	v_mul_lo_u32 v1, v1, s16
	v_mul_lo_u32 v6, v6, s18
	v_sub_nc_u32_e32 v1, v1, v6
	s_delay_alu instid0(VALU_DEP_1)
	v_cmp_lt_u32_e32 vcc_lo, s20, v1
	v_cmpx_ge_u32_e64 s20, v1
	s_cbranch_execz .LBB145_11
; %bb.10:
	v_dual_add_nc_u32 v1, s22, v26 :: v_dual_add_nc_u32 v6, s38, v26
	s_delay_alu instid0(VALU_DEP_1) | instskip(NEXT) | instid1(VALU_DEP_2)
	v_mul_lo_u32 v1, v1, s21
	v_mul_lo_u32 v6, v6, s23
	s_delay_alu instid0(VALU_DEP_1) | instskip(NEXT) | instid1(VALU_DEP_1)
	v_sub_nc_u32_e32 v1, v1, v6
	v_cmp_lt_u32_e64 s0, s39, v1
	s_and_b32 s40, s0, exec_lo
.LBB145_11:
	s_or_b32 exec_lo, exec_lo, s1
	v_dual_add_nc_u32 v1, s17, v27 :: v_dual_add_nc_u32 v6, s19, v27
	s_mov_b32 s3, exec_lo
	s_delay_alu instid0(VALU_DEP_1) | instskip(NEXT) | instid1(VALU_DEP_2)
	v_mul_lo_u32 v1, v1, s16
	v_mul_lo_u32 v6, v6, s18
	s_delay_alu instid0(VALU_DEP_1) | instskip(NEXT) | instid1(VALU_DEP_1)
	v_sub_nc_u32_e32 v1, v1, v6
	v_cmp_lt_u32_e64 s0, s20, v1
	v_cmpx_ge_u32_e64 s20, v1
	s_cbranch_execz .LBB145_13
; %bb.12:
	v_dual_add_nc_u32 v1, s22, v27 :: v_dual_add_nc_u32 v6, s38, v27
	s_delay_alu instid0(VALU_DEP_1) | instskip(NEXT) | instid1(VALU_DEP_2)
	v_mul_lo_u32 v1, v1, s21
	v_mul_lo_u32 v6, v6, s23
	s_delay_alu instid0(VALU_DEP_1) | instskip(NEXT) | instid1(VALU_DEP_1)
	v_sub_nc_u32_e32 v1, v1, v6
	v_cmp_lt_u32_e64 s1, s39, v1
	s_and_b32 s41, s1, exec_lo
.LBB145_13:
	s_or_b32 exec_lo, exec_lo, s3
	v_dual_add_nc_u32 v1, s17, v24 :: v_dual_add_nc_u32 v6, s19, v24
	s_mov_b32 s43, 0
	s_mov_b32 s42, 0
	s_mov_b32 s4, exec_lo
	s_delay_alu instid0(VALU_DEP_1) | instskip(SKIP_1) | instid1(VALU_DEP_1)
	v_mul_lo_u32 v1, v1, s16
	v_mul_lo_u32 v6, v6, s18
	v_sub_nc_u32_e32 v1, v1, v6
	s_delay_alu instid0(VALU_DEP_1)
	v_cmp_lt_u32_e64 s1, s20, v1
	v_cmpx_ge_u32_e64 s20, v1
	s_cbranch_execz .LBB145_15
; %bb.14:
	v_dual_add_nc_u32 v1, s22, v24 :: v_dual_add_nc_u32 v6, s38, v24
	s_delay_alu instid0(VALU_DEP_1) | instskip(NEXT) | instid1(VALU_DEP_2)
	v_mul_lo_u32 v1, v1, s21
	v_mul_lo_u32 v6, v6, s23
	s_delay_alu instid0(VALU_DEP_1) | instskip(NEXT) | instid1(VALU_DEP_1)
	v_sub_nc_u32_e32 v1, v1, v6
	v_cmp_lt_u32_e64 s3, s39, v1
	s_and_b32 s42, s3, exec_lo
.LBB145_15:
	s_or_b32 exec_lo, exec_lo, s4
	v_dual_add_nc_u32 v1, s17, v25 :: v_dual_add_nc_u32 v6, s19, v25
	s_mov_b32 s5, exec_lo
	s_delay_alu instid0(VALU_DEP_1) | instskip(NEXT) | instid1(VALU_DEP_2)
	v_mul_lo_u32 v1, v1, s16
	v_mul_lo_u32 v6, v6, s18
	s_delay_alu instid0(VALU_DEP_1) | instskip(NEXT) | instid1(VALU_DEP_1)
	v_sub_nc_u32_e32 v1, v1, v6
	v_cmp_lt_u32_e64 s3, s20, v1
	v_cmpx_ge_u32_e64 s20, v1
	s_cbranch_execz .LBB145_17
; %bb.16:
	v_dual_add_nc_u32 v1, s22, v25 :: v_dual_add_nc_u32 v6, s38, v25
	s_delay_alu instid0(VALU_DEP_1) | instskip(NEXT) | instid1(VALU_DEP_2)
	v_mul_lo_u32 v1, v1, s21
	v_mul_lo_u32 v6, v6, s23
	s_delay_alu instid0(VALU_DEP_1) | instskip(NEXT) | instid1(VALU_DEP_1)
	v_sub_nc_u32_e32 v1, v1, v6
	v_cmp_lt_u32_e64 s4, s39, v1
	s_and_b32 s43, s4, exec_lo
.LBB145_17:
	s_or_b32 exec_lo, exec_lo, s5
	v_dual_add_nc_u32 v1, s17, v22 :: v_dual_add_nc_u32 v6, s19, v22
	s_mov_b32 s45, 0
	s_mov_b32 s44, 0
	s_mov_b32 s6, exec_lo
	s_delay_alu instid0(VALU_DEP_1) | instskip(SKIP_1) | instid1(VALU_DEP_1)
	v_mul_lo_u32 v1, v1, s16
	v_mul_lo_u32 v6, v6, s18
	v_sub_nc_u32_e32 v1, v1, v6
	s_delay_alu instid0(VALU_DEP_1)
	v_cmp_lt_u32_e64 s4, s20, v1
	;; [unrolled: 44-line block ×6, first 2 shown]
	v_cmpx_ge_u32_e64 s20, v1
	s_cbranch_execz .LBB145_35
; %bb.34:
	v_dual_add_nc_u32 v1, s22, v34 :: v_dual_add_nc_u32 v6, s38, v34
	s_delay_alu instid0(VALU_DEP_1) | instskip(NEXT) | instid1(VALU_DEP_2)
	v_mul_lo_u32 v1, v1, s21
	v_mul_lo_u32 v6, v6, s23
	s_delay_alu instid0(VALU_DEP_1) | instskip(NEXT) | instid1(VALU_DEP_1)
	v_sub_nc_u32_e32 v1, v1, v6
	v_cmp_lt_u32_e64 s13, s39, v1
	s_and_b32 s53, s13, exec_lo
.LBB145_35:
	s_or_b32 exec_lo, exec_lo, s54
	v_cndmask_b32_e64 v6, 0, 1, s0
	v_cndmask_b32_e64 v8, 0, 1, s3
	v_cndmask_b32_e64 v1, 0, 1, vcc_lo
	v_cndmask_b32_e64 v7, 0, 1, s1
	v_cndmask_b32_e64 v10, 0, 1, s5
	v_lshlrev_b16 v6, 8, v6
	v_lshlrev_b16 v8, 8, v8
	v_cndmask_b32_e64 v12, 0, 1, s7
	v_cndmask_b32_e64 v28, 0, 1, s9
	;; [unrolled: 1-line block ×3, first 2 shown]
	v_or_b32_e32 v1, v1, v6
	v_or_b32_e32 v6, v7, v8
	v_cndmask_b32_e64 v8, 0, 1, s42
	v_cndmask_b32_e64 v9, 0, 1, s4
	;; [unrolled: 1-line block ×4, first 2 shown]
	v_lshlrev_b32_e32 v6, 16, v6
	v_and_b32_e32 v1, 0xffff, v1
	v_cndmask_b32_e64 v38, 0, 1, s46
	v_cndmask_b32_e64 v41, 0, 1, s44
	;; [unrolled: 1-line block ×4, first 2 shown]
	v_or_b32_e32 v36, v1, v6
	v_lshlrev_b16 v1, 8, v10
	v_lshlrev_b16 v6, 8, v12
	;; [unrolled: 1-line block ×5, first 2 shown]
	v_cndmask_b32_e64 v11, 0, 1, s6
	v_cndmask_b32_e64 v30, 0, 1, s52
	;; [unrolled: 1-line block ×6, first 2 shown]
	v_lshlrev_b16 v28, 8, v44
	v_or_b32_e32 v8, v42, v8
	v_or_b32_e32 v1, v9, v1
	;; [unrolled: 1-line block ×4, first 2 shown]
	v_lshlrev_b16 v12, 8, v41
	v_lshlrev_b16 v13, 8, v38
	v_cndmask_b32_e64 v32, 0, 1, s50
	v_cndmask_b32_e64 v37, 0, 1, s47
	v_lshlrev_b16 v29, 8, v30
	v_or_b32_e32 v7, v7, v12
	v_or_b32_e32 v12, v40, v13
	;; [unrolled: 1-line block ×4, first 2 shown]
	v_lshlrev_b16 v28, 8, v33
	v_dual_lshlrev_b32 v10, 16, v10 :: v_dual_lshlrev_b32 v8, 16, v8
	v_and_b32_e32 v1, 0xffff, v1
	s_delay_alu instid0(VALU_DEP_4) | instskip(NEXT) | instid1(VALU_DEP_4)
	v_and_b32_e32 v11, 0xffff, v11
	v_or_b32_e32 v13, v37, v28
	v_or_b32_e32 v28, v32, v29
	v_and_b32_e32 v7, 0xffff, v7
	v_dual_lshlrev_b32 v12, 16, v12 :: v_dual_lshlrev_b32 v6, 16, v6
	s_delay_alu instid0(VALU_DEP_4) | instskip(NEXT) | instid1(VALU_DEP_4)
	v_and_b32_e32 v13, 0xffff, v13
	v_lshlrev_b32_e32 v28, 16, v28
	v_and_b32_e32 v9, 0xffff, v9
	v_cndmask_b32_e64 v39, 0, 1, s51
	v_cndmask_b32_e64 v43, 0, 1, s53
	v_or_b32_e32 v38, v1, v6
	v_or_b32_e32 v42, v11, v8
	;; [unrolled: 1-line block ×5, first 2 shown]
	s_and_b32 vcc_lo, exec_lo, s48
	s_add_co_i32 s5, s33, 0xd00
	s_cbranch_vccnz .LBB145_37
	s_branch .LBB145_114
.LBB145_36:
                                        ; implicit-def: $vgpr43
                                        ; implicit-def: $vgpr39
                                        ; implicit-def: $vgpr40
                                        ; implicit-def: $vgpr37
                                        ; implicit-def: $vgpr42
                                        ; implicit-def: $vgpr41
                                        ; implicit-def: $vgpr38
                                        ; implicit-def: $vgpr36
	s_add_co_i32 s5, s33, 0xd00
	s_cbranch_execz .LBB145_114
.LBB145_37:
	v_dual_mov_b32 v6, 0 :: v_dual_mov_b32 v1, 0
	s_mov_b32 s1, exec_lo
	v_cmpx_gt_u32_e64 s5, v15
	s_cbranch_execz .LBB145_41
; %bb.38:
	v_dual_add_nc_u32 v1, s17, v26 :: v_dual_add_nc_u32 v6, s19, v26
	s_mov_b32 s4, 0
	s_mov_b32 s3, exec_lo
	s_delay_alu instid0(VALU_DEP_1) | instskip(NEXT) | instid1(VALU_DEP_2)
	v_mul_lo_u32 v1, v1, s16
	v_mul_lo_u32 v6, v6, s18
	s_delay_alu instid0(VALU_DEP_1) | instskip(NEXT) | instid1(VALU_DEP_1)
	v_sub_nc_u32_e32 v1, v1, v6
	v_cmp_lt_u32_e32 vcc_lo, s20, v1
	v_cmpx_ge_u32_e64 s20, v1
	s_cbranch_execz .LBB145_40
; %bb.39:
	v_dual_add_nc_u32 v1, s22, v26 :: v_dual_add_nc_u32 v6, s38, v26
	s_delay_alu instid0(VALU_DEP_1) | instskip(NEXT) | instid1(VALU_DEP_2)
	v_mul_lo_u32 v1, v1, s21
	v_mul_lo_u32 v6, v6, s23
	s_delay_alu instid0(VALU_DEP_1) | instskip(NEXT) | instid1(VALU_DEP_1)
	v_sub_nc_u32_e32 v1, v1, v6
	v_cmp_lt_u32_e64 s0, s39, v1
	s_and_b32 s4, s0, exec_lo
.LBB145_40:
	s_or_b32 exec_lo, exec_lo, s3
	v_cndmask_b32_e64 v6, 0, 1, s4
	v_cndmask_b32_e64 v1, 0, 1, vcc_lo
.LBB145_41:
	s_or_b32 exec_lo, exec_lo, s1
	s_delay_alu instid0(VALU_DEP_2) | instskip(SKIP_1) | instid1(VALU_DEP_2)
	v_lshlrev_b16 v6, 8, v6
	v_lshlrev_b16 v13, 8, 0
                                        ; implicit-def: $vgpr9
                                        ; implicit-def: $vgpr11
                                        ; implicit-def: $vgpr8
                                        ; implicit-def: $vgpr12
	v_and_b32_e32 v10, 0xffff, v6
	v_add_nc_u32_e32 v7, 1, v15
                                        ; implicit-def: $vgpr6
	s_delay_alu instid0(VALU_DEP_2) | instskip(NEXT) | instid1(VALU_DEP_2)
	v_lshrrev_b32_e32 v28, 8, v10
	v_cmp_le_u32_e32 vcc_lo, s5, v7
                                        ; implicit-def: $vgpr7
	s_and_saveexec_b32 s0, vcc_lo
	s_delay_alu instid0(SALU_CYCLE_1)
	s_xor_b32 s0, exec_lo, s0
	s_cbranch_execz .LBB145_43
; %bb.42:
	v_lshlrev_b16 v6, 8, v28
	v_bitop3_b16 v7, 0, v13, 0xff bitop3:0xec
	v_and_b32_e32 v12, 0xff, v1
                                        ; implicit-def: $vgpr1
                                        ; implicit-def: $vgpr13
                                        ; implicit-def: $vgpr28
	v_mov_b32_e32 v9, 0
	s_delay_alu instid0(VALU_DEP_4) | instskip(SKIP_3) | instid1(VALU_DEP_4)
	v_bitop3_b16 v10, v10, v6, 0xff bitop3:0xec
	v_mov_b32_e32 v6, 0
	v_and_b32_e32 v8, 0xffff, v7
	v_and_b32_e32 v7, 0xffff, v7
	;; [unrolled: 1-line block ×3, first 2 shown]
                                        ; implicit-def: $vgpr10
.LBB145_43:
	s_and_not1_saveexec_b32 s1, s0
	s_cbranch_execz .LBB145_47
; %bb.44:
	v_dual_add_nc_u32 v6, s17, v27 :: v_dual_add_nc_u32 v7, s19, v27
	s_mov_b32 s3, 0
	s_mov_b32 s4, exec_lo
	s_delay_alu instid0(VALU_DEP_1) | instskip(NEXT) | instid1(VALU_DEP_2)
	v_mul_lo_u32 v6, v6, s16
	v_mul_lo_u32 v7, v7, s18
	s_delay_alu instid0(VALU_DEP_1) | instskip(NEXT) | instid1(VALU_DEP_1)
	v_sub_nc_u32_e32 v6, v6, v7
	v_cmp_lt_u32_e32 vcc_lo, s20, v6
	v_cmpx_ge_u32_e64 s20, v6
	s_cbranch_execz .LBB145_46
; %bb.45:
	v_dual_add_nc_u32 v6, s22, v27 :: v_dual_add_nc_u32 v7, s38, v27
	s_delay_alu instid0(VALU_DEP_1) | instskip(NEXT) | instid1(VALU_DEP_2)
	v_mul_lo_u32 v6, v6, s21
	v_mul_lo_u32 v7, v7, s23
	s_delay_alu instid0(VALU_DEP_1) | instskip(NEXT) | instid1(VALU_DEP_1)
	v_sub_nc_u32_e32 v6, v6, v7
	v_cmp_lt_u32_e64 s0, s39, v6
	s_and_b32 s3, s0, exec_lo
.LBB145_46:
	s_or_b32 exec_lo, exec_lo, s4
	v_cndmask_b32_e64 v6, 0, 1, vcc_lo
	v_lshlrev_b16 v7, 8, v28
	v_cndmask_b32_e64 v11, 0, 1, s3
	v_mov_b32_e32 v9, 0
	s_delay_alu instid0(VALU_DEP_4) | instskip(NEXT) | instid1(VALU_DEP_4)
	v_lshlrev_b16 v6, 8, v6
	v_bitop3_b16 v7, v10, v7, 0xff bitop3:0xec
	v_bitop3_b16 v10, 0, v13, 0xff bitop3:0xec
	s_delay_alu instid0(VALU_DEP_3) | instskip(NEXT) | instid1(VALU_DEP_3)
	v_bitop3_b16 v1, v1, v6, 0xff bitop3:0xec
	v_and_b32_e32 v7, 0xffff, v7
	v_mov_b32_e32 v6, 0
	s_delay_alu instid0(VALU_DEP_4) | instskip(NEXT) | instid1(VALU_DEP_4)
	v_and_b32_e32 v8, 0xffff, v10
	v_and_b32_e32 v12, 0xffff, v1
	s_delay_alu instid0(VALU_DEP_4)
	v_lshl_or_b32 v11, v11, 16, v7
	v_and_b32_e32 v7, 0xffff, v10
.LBB145_47:
	s_or_b32 exec_lo, exec_lo, s1
	s_delay_alu instid0(VALU_DEP_3) | instskip(NEXT) | instid1(VALU_DEP_1)
	v_dual_add_nc_u32 v1, 2, v15 :: v_dual_lshrrev_b32 v13, 8, v12
                                        ; implicit-def: $vgpr10
	v_cmp_le_u32_e32 vcc_lo, s5, v1
                                        ; implicit-def: $vgpr1
	s_and_saveexec_b32 s0, vcc_lo
	s_delay_alu instid0(SALU_CYCLE_1)
	s_xor_b32 s0, exec_lo, s0
	s_cbranch_execz .LBB145_49
; %bb.48:
	v_lshlrev_b16 v1, 8, v13
	v_and_b32_e32 v13, 0xff0000, v11
	v_perm_b32 v8, v8, v8, 0x3060504
	s_delay_alu instid0(VALU_DEP_3) | instskip(NEXT) | instid1(VALU_DEP_1)
	v_bitop3_b16 v1, v12, v1, 0xff bitop3:0xec
	v_and_b32_e32 v1, 0xffff, v1
	s_delay_alu instid0(VALU_DEP_1)
	v_and_or_b32 v10, 0xff000000, v12, v1
	v_perm_b32 v1, v11, v13, 0x3020504
                                        ; implicit-def: $vgpr13
                                        ; implicit-def: $vgpr12
                                        ; implicit-def: $vgpr11
.LBB145_49:
	s_and_not1_saveexec_b32 s1, s0
	s_cbranch_execz .LBB145_53
; %bb.50:
	v_dual_add_nc_u32 v1, s17, v24 :: v_dual_add_nc_u32 v10, s19, v24
	s_mov_b32 s3, 0
	s_mov_b32 s4, exec_lo
	s_delay_alu instid0(VALU_DEP_1) | instskip(NEXT) | instid1(VALU_DEP_2)
	v_mul_lo_u32 v1, v1, s16
	v_mul_lo_u32 v10, v10, s18
	s_delay_alu instid0(VALU_DEP_1) | instskip(NEXT) | instid1(VALU_DEP_1)
	v_sub_nc_u32_e32 v1, v1, v10
	v_cmp_lt_u32_e32 vcc_lo, s20, v1
	v_cmpx_ge_u32_e64 s20, v1
	s_cbranch_execz .LBB145_52
; %bb.51:
	v_dual_add_nc_u32 v1, s22, v24 :: v_dual_add_nc_u32 v10, s38, v24
	s_delay_alu instid0(VALU_DEP_1) | instskip(NEXT) | instid1(VALU_DEP_2)
	v_mul_lo_u32 v1, v1, s21
	v_mul_lo_u32 v10, v10, s23
	s_delay_alu instid0(VALU_DEP_1) | instskip(NEXT) | instid1(VALU_DEP_1)
	v_sub_nc_u32_e32 v1, v1, v10
	v_cmp_lt_u32_e64 s0, s39, v1
	s_and_b32 s3, s0, exec_lo
.LBB145_52:
	s_or_b32 exec_lo, exec_lo, s4
	v_dual_lshrrev_b32 v1, 24, v12 :: v_dual_lshrrev_b32 v29, 8, v11
	v_cndmask_b32_e64 v10, 0, 1, s3
	v_cndmask_b32_e64 v28, 0, 1, vcc_lo
	v_lshlrev_b16 v13, 8, v13
	s_delay_alu instid0(VALU_DEP_4)
	v_lshlrev_b16 v1, 8, v1
	v_lshrrev_b32_e32 v30, 16, v11
	v_lshlrev_b16 v10, 8, v10
	v_lshlrev_b16 v29, 8, v29
	v_bitop3_b16 v12, v12, v13, 0xff bitop3:0xec
	v_or_b32_e32 v1, v28, v1
	s_delay_alu instid0(VALU_DEP_4) | instskip(NEXT) | instid1(VALU_DEP_4)
	v_bitop3_b16 v10, v30, v10, 0xff bitop3:0xec
	v_bitop3_b16 v11, v11, v29, 0xff bitop3:0xec
	s_delay_alu instid0(VALU_DEP_4) | instskip(NEXT) | instid1(VALU_DEP_3)
	v_and_b32_e32 v12, 0xffff, v12
	v_dual_lshlrev_b32 v1, 16, v1 :: v_dual_lshlrev_b32 v13, 16, v10
	s_delay_alu instid0(VALU_DEP_3) | instskip(NEXT) | instid1(VALU_DEP_2)
	v_and_b32_e32 v11, 0xffff, v11
	v_or_b32_e32 v10, v12, v1
	s_delay_alu instid0(VALU_DEP_2)
	v_or_b32_e32 v1, v11, v13
.LBB145_53:
	s_or_b32 exec_lo, exec_lo, s1
	v_dual_add_nc_u32 v12, 3, v15 :: v_dual_lshrrev_b32 v13, 24, v9
	v_lshrrev_b32_e32 v11, 16, v9
                                        ; implicit-def: $vgpr36
	s_delay_alu instid0(VALU_DEP_2) | instskip(SKIP_2) | instid1(SALU_CYCLE_1)
	v_cmp_le_u32_e32 vcc_lo, s5, v12
	v_lshrrev_b32_e32 v12, 8, v9
                                        ; implicit-def: $vgpr9
	s_and_saveexec_b32 s0, vcc_lo
	s_xor_b32 s0, exec_lo, s0
	s_cbranch_execz .LBB145_55
; %bb.54:
	v_lshlrev_b16 v9, 8, v13
	v_lshlrev_b16 v12, 8, v12
	v_perm_b32 v8, v8, v8, 0x3060504
	v_perm_b32 v7, v7, v7, 0x3060504
                                        ; implicit-def: $vgpr13
	s_delay_alu instid0(VALU_DEP_4) | instskip(SKIP_2) | instid1(VALU_DEP_3)
	v_bitop3_b16 v9, v11, v9, 0xff bitop3:0xec
	v_and_b32_e32 v11, 0xff0000, v10
	v_and_b32_e32 v12, 0xffff, v12
	v_lshlrev_b32_e32 v9, 16, v9
	s_delay_alu instid0(VALU_DEP_3) | instskip(NEXT) | instid1(VALU_DEP_2)
	v_perm_b32 v36, v10, v11, 0x3020504
                                        ; implicit-def: $vgpr10
                                        ; implicit-def: $vgpr11
	v_or_b32_e32 v9, v12, v9
                                        ; implicit-def: $vgpr12
.LBB145_55:
	s_and_not1_saveexec_b32 s1, s0
	s_cbranch_execz .LBB145_59
; %bb.56:
	v_dual_add_nc_u32 v9, s17, v25 :: v_dual_add_nc_u32 v28, s19, v25
	s_mov_b32 s3, 0
	s_mov_b32 s4, exec_lo
	s_delay_alu instid0(VALU_DEP_1) | instskip(NEXT) | instid1(VALU_DEP_2)
	v_mul_lo_u32 v9, v9, s16
	v_mul_lo_u32 v28, v28, s18
	s_delay_alu instid0(VALU_DEP_1) | instskip(NEXT) | instid1(VALU_DEP_1)
	v_sub_nc_u32_e32 v9, v9, v28
	v_cmp_lt_u32_e32 vcc_lo, s20, v9
	v_cmpx_ge_u32_e64 s20, v9
	s_cbranch_execz .LBB145_58
; %bb.57:
	v_dual_add_nc_u32 v9, s22, v25 :: v_dual_add_nc_u32 v28, s38, v25
	s_delay_alu instid0(VALU_DEP_1) | instskip(NEXT) | instid1(VALU_DEP_2)
	v_mul_lo_u32 v9, v9, s21
	v_mul_lo_u32 v28, v28, s23
	s_delay_alu instid0(VALU_DEP_1) | instskip(NEXT) | instid1(VALU_DEP_1)
	v_sub_nc_u32_e32 v9, v9, v28
	v_cmp_lt_u32_e64 s0, s39, v9
	s_and_b32 s3, s0, exec_lo
.LBB145_58:
	s_or_b32 exec_lo, exec_lo, s4
	v_cndmask_b32_e64 v9, 0, 1, vcc_lo
	v_dual_lshrrev_b32 v28, 8, v10 :: v_dual_lshrrev_b32 v30, 16, v10
	v_cndmask_b32_e64 v29, 0, 1, s3
	v_lshlrev_b16 v13, 8, v13
	s_delay_alu instid0(VALU_DEP_4) | instskip(NEXT) | instid1(VALU_DEP_4)
	v_lshlrev_b16 v9, 8, v9
	v_lshlrev_b16 v28, 8, v28
	;; [unrolled: 1-line block ×3, first 2 shown]
	s_delay_alu instid0(VALU_DEP_4) | instskip(NEXT) | instid1(VALU_DEP_4)
	v_bitop3_b16 v11, v11, v13, 0xff bitop3:0xec
	v_bitop3_b16 v9, v30, v9, 0xff bitop3:0xec
	s_delay_alu instid0(VALU_DEP_4) | instskip(NEXT) | instid1(VALU_DEP_3)
	v_bitop3_b16 v10, v10, v28, 0xff bitop3:0xec
	v_dual_lshlrev_b32 v11, 16, v11 :: v_dual_bitop2_b32 v12, v29, v12 bitop3:0x54
	s_delay_alu instid0(VALU_DEP_3) | instskip(NEXT) | instid1(VALU_DEP_3)
	v_lshlrev_b32_e32 v9, 16, v9
	v_and_b32_e32 v10, 0xffff, v10
	s_delay_alu instid0(VALU_DEP_3) | instskip(NEXT) | instid1(VALU_DEP_2)
	v_and_b32_e32 v12, 0xffff, v12
	v_or_b32_e32 v36, v10, v9
	s_delay_alu instid0(VALU_DEP_2)
	v_or_b32_e32 v9, v12, v11
.LBB145_59:
	s_or_b32 exec_lo, exec_lo, s1
	v_dual_add_nc_u32 v10, 4, v15 :: v_dual_lshrrev_b32 v28, 8, v8
	v_dual_lshrrev_b32 v11, 16, v8 :: v_dual_lshrrev_b32 v29, 24, v8
	s_delay_alu instid0(VALU_DEP_3) | instskip(NEXT) | instid1(VALU_DEP_3)
	v_dual_lshrrev_b32 v13, 24, v9 :: v_dual_lshrrev_b32 v12, 16, v9
	v_cmp_le_u32_e32 vcc_lo, s5, v10
                                        ; implicit-def: $vgpr8
                                        ; implicit-def: $vgpr10
	s_and_saveexec_b32 s0, vcc_lo
	s_delay_alu instid0(SALU_CYCLE_1)
	s_xor_b32 s0, exec_lo, s0
	s_cbranch_execz .LBB145_61
; %bb.60:
	v_lshlrev_b16 v8, 8, v29
	v_lshlrev_b16 v10, 8, v28
	;; [unrolled: 1-line block ×3, first 2 shown]
	v_perm_b32 v7, v7, v7, 0x3060504
                                        ; implicit-def: $vgpr28
                                        ; implicit-def: $vgpr29
	s_delay_alu instid0(VALU_DEP_4) | instskip(NEXT) | instid1(VALU_DEP_4)
	v_bitop3_b16 v8, v11, v8, 0xff bitop3:0xec
	v_and_b32_e32 v10, 0xffff, v10
	s_delay_alu instid0(VALU_DEP_4) | instskip(NEXT) | instid1(VALU_DEP_3)
	v_bitop3_b16 v11, v12, v13, 0xff bitop3:0xec
                                        ; implicit-def: $vgpr13
	v_lshlrev_b32_e32 v12, 16, v8
	s_delay_alu instid0(VALU_DEP_2) | instskip(NEXT) | instid1(VALU_DEP_2)
	v_perm_b32 v8, v11, v9, 0x5040c00
                                        ; implicit-def: $vgpr9
                                        ; implicit-def: $vgpr11
	v_or_b32_e32 v10, v10, v12
                                        ; implicit-def: $vgpr12
.LBB145_61:
	s_and_not1_saveexec_b32 s1, s0
	s_cbranch_execz .LBB145_65
; %bb.62:
	v_dual_add_nc_u32 v8, s17, v22 :: v_dual_add_nc_u32 v10, s19, v22
	s_mov_b32 s3, 0
	s_mov_b32 s4, exec_lo
	s_delay_alu instid0(VALU_DEP_1) | instskip(NEXT) | instid1(VALU_DEP_2)
	v_mul_lo_u32 v8, v8, s16
	v_mul_lo_u32 v10, v10, s18
	s_delay_alu instid0(VALU_DEP_1) | instskip(NEXT) | instid1(VALU_DEP_1)
	v_sub_nc_u32_e32 v8, v8, v10
	v_cmp_lt_u32_e32 vcc_lo, s20, v8
	v_cmpx_ge_u32_e64 s20, v8
	s_cbranch_execz .LBB145_64
; %bb.63:
	v_dual_add_nc_u32 v8, s22, v22 :: v_dual_add_nc_u32 v10, s38, v22
	s_delay_alu instid0(VALU_DEP_1) | instskip(NEXT) | instid1(VALU_DEP_2)
	v_mul_lo_u32 v8, v8, s21
	v_mul_lo_u32 v10, v10, s23
	s_delay_alu instid0(VALU_DEP_1) | instskip(NEXT) | instid1(VALU_DEP_1)
	v_sub_nc_u32_e32 v8, v8, v10
	v_cmp_lt_u32_e64 s0, s39, v8
	s_and_b32 s3, s0, exec_lo
.LBB145_64:
	s_or_b32 exec_lo, exec_lo, s4
	v_cndmask_b32_e64 v8, 0, 1, s3
	v_cndmask_b32_e64 v10, 0, 1, vcc_lo
	v_lshlrev_b16 v29, 8, v29
	v_lshlrev_b16 v28, 8, v28
	;; [unrolled: 1-line block ×4, first 2 shown]
	s_delay_alu instid0(VALU_DEP_4) | instskip(NEXT) | instid1(VALU_DEP_4)
	v_bitop3_b16 v11, v11, v29, 0xff bitop3:0xec
	v_or_b32_e32 v10, v10, v28
	s_delay_alu instid0(VALU_DEP_4) | instskip(NEXT) | instid1(VALU_DEP_4)
	v_bitop3_b16 v12, v12, v13, 0xff bitop3:0xec
	v_bitop3_b16 v8, v9, v8, 0xff bitop3:0xec
	s_delay_alu instid0(VALU_DEP_4) | instskip(NEXT) | instid1(VALU_DEP_4)
	v_lshlrev_b32_e32 v9, 16, v11
	v_and_b32_e32 v10, 0xffff, v10
	s_delay_alu instid0(VALU_DEP_4) | instskip(NEXT) | instid1(VALU_DEP_4)
	v_lshlrev_b32_e32 v11, 16, v12
	v_and_b32_e32 v8, 0xffff, v8
	s_delay_alu instid0(VALU_DEP_3) | instskip(NEXT) | instid1(VALU_DEP_2)
	v_or_b32_e32 v10, v10, v9
	v_or_b32_e32 v8, v8, v11
.LBB145_65:
	s_or_b32 exec_lo, exec_lo, s1
	s_delay_alu instid0(VALU_DEP_1) | instskip(NEXT) | instid1(VALU_DEP_2)
	v_dual_add_nc_u32 v9, 5, v15 :: v_dual_lshrrev_b32 v12, 16, v10
	v_dual_lshrrev_b32 v13, 24, v10 :: v_dual_lshrrev_b32 v28, 8, v8
                                        ; implicit-def: $vgpr11
	s_delay_alu instid0(VALU_DEP_2) | instskip(SKIP_1) | instid1(SALU_CYCLE_1)
	v_cmp_le_u32_e32 vcc_lo, s5, v9
                                        ; implicit-def: $vgpr9
	s_and_saveexec_b32 s0, vcc_lo
	s_xor_b32 s0, exec_lo, s0
	s_cbranch_execz .LBB145_67
; %bb.66:
	v_lshlrev_b16 v9, 8, v28
	v_lshlrev_b16 v11, 8, v13
	v_perm_b32 v7, v7, v7, 0x3060504
                                        ; implicit-def: $vgpr13
                                        ; implicit-def: $vgpr28
	s_delay_alu instid0(VALU_DEP_3) | instskip(NEXT) | instid1(VALU_DEP_3)
	v_bitop3_b16 v9, v8, v9, 0xff bitop3:0xec
	v_bitop3_b16 v11, v12, v11, 0xff bitop3:0xec
                                        ; implicit-def: $vgpr12
	s_delay_alu instid0(VALU_DEP_2) | instskip(NEXT) | instid1(VALU_DEP_2)
	v_and_b32_e32 v9, 0xffff, v9
	v_perm_b32 v11, v11, v10, 0x5040c00
                                        ; implicit-def: $vgpr10
	s_delay_alu instid0(VALU_DEP_2)
	v_and_or_b32 v9, 0xff000000, v8, v9
                                        ; implicit-def: $vgpr8
.LBB145_67:
	s_and_not1_saveexec_b32 s1, s0
	s_cbranch_execz .LBB145_71
; %bb.68:
	v_dual_add_nc_u32 v9, s17, v23 :: v_dual_add_nc_u32 v11, s19, v23
	s_mov_b32 s3, 0
	s_mov_b32 s4, exec_lo
	s_delay_alu instid0(VALU_DEP_1) | instskip(NEXT) | instid1(VALU_DEP_2)
	v_mul_lo_u32 v9, v9, s16
	v_mul_lo_u32 v11, v11, s18
	s_delay_alu instid0(VALU_DEP_1) | instskip(NEXT) | instid1(VALU_DEP_1)
	v_sub_nc_u32_e32 v9, v9, v11
	v_cmp_lt_u32_e32 vcc_lo, s20, v9
	v_cmpx_ge_u32_e64 s20, v9
	s_cbranch_execz .LBB145_70
; %bb.69:
	v_dual_add_nc_u32 v9, s22, v23 :: v_dual_add_nc_u32 v11, s38, v23
	s_delay_alu instid0(VALU_DEP_1) | instskip(NEXT) | instid1(VALU_DEP_2)
	v_mul_lo_u32 v9, v9, s21
	v_mul_lo_u32 v11, v11, s23
	s_delay_alu instid0(VALU_DEP_1) | instskip(NEXT) | instid1(VALU_DEP_1)
	v_sub_nc_u32_e32 v9, v9, v11
	v_cmp_lt_u32_e64 s0, s39, v9
	s_and_b32 s3, s0, exec_lo
.LBB145_70:
	s_or_b32 exec_lo, exec_lo, s4
	v_cndmask_b32_e64 v9, 0, 1, vcc_lo
	v_lshrrev_b32_e32 v11, 24, v8
	v_cndmask_b32_e64 v29, 0, 1, s3
	v_lshlrev_b16 v13, 8, v13
	v_lshlrev_b16 v28, 8, v28
	;; [unrolled: 1-line block ×4, first 2 shown]
	s_delay_alu instid0(VALU_DEP_4) | instskip(NEXT) | instid1(VALU_DEP_4)
	v_bitop3_b16 v12, v12, v13, 0xff bitop3:0xec
	v_bitop3_b16 v8, v8, v28, 0xff bitop3:0xec
	s_delay_alu instid0(VALU_DEP_4) | instskip(NEXT) | instid1(VALU_DEP_3)
	v_bitop3_b16 v9, v10, v9, 0xff bitop3:0xec
	v_dual_lshlrev_b32 v11, 16, v12 :: v_dual_bitop2_b32 v10, v29, v11 bitop3:0x54
	s_delay_alu instid0(VALU_DEP_3) | instskip(NEXT) | instid1(VALU_DEP_3)
	v_and_b32_e32 v8, 0xffff, v8
	v_and_b32_e32 v9, 0xffff, v9
	s_delay_alu instid0(VALU_DEP_1) | instskip(NEXT) | instid1(VALU_DEP_1)
	v_dual_lshlrev_b32 v10, 16, v10 :: v_dual_bitop2_b32 v11, v9, v11 bitop3:0x54
	v_or_b32_e32 v9, v8, v10
.LBB145_71:
	s_or_b32 exec_lo, exec_lo, s1
	v_add_nc_u32_e32 v8, 6, v15
	s_delay_alu instid0(VALU_DEP_3) | instskip(NEXT) | instid1(VALU_DEP_2)
	v_lshrrev_b32_e32 v10, 8, v11
                                        ; implicit-def: $vgpr37
	v_cmp_le_u32_e32 vcc_lo, s5, v8
                                        ; implicit-def: $vgpr8
	s_and_saveexec_b32 s0, vcc_lo
	s_delay_alu instid0(SALU_CYCLE_1)
	s_xor_b32 s0, exec_lo, s0
	s_cbranch_execz .LBB145_73
; %bb.72:
	v_lshlrev_b16 v8, 8, v10
	v_and_b32_e32 v10, 0xff0000, v9
	v_perm_b32 v7, v7, v7, 0x3060504
	s_delay_alu instid0(VALU_DEP_3) | instskip(NEXT) | instid1(VALU_DEP_3)
	v_bitop3_b16 v8, v11, v8, 0xff bitop3:0xec
	v_perm_b32 v37, v9, v10, 0x3020504
                                        ; implicit-def: $vgpr10
                                        ; implicit-def: $vgpr9
	s_delay_alu instid0(VALU_DEP_2) | instskip(NEXT) | instid1(VALU_DEP_1)
	v_and_b32_e32 v8, 0xffff, v8
	v_and_or_b32 v8, 0xff000000, v11, v8
                                        ; implicit-def: $vgpr11
.LBB145_73:
	s_and_not1_saveexec_b32 s1, s0
	s_cbranch_execz .LBB145_77
; %bb.74:
	v_dual_add_nc_u32 v8, s17, v20 :: v_dual_add_nc_u32 v12, s19, v20
	s_mov_b32 s3, 0
	s_mov_b32 s4, exec_lo
	s_delay_alu instid0(VALU_DEP_1) | instskip(NEXT) | instid1(VALU_DEP_2)
	v_mul_lo_u32 v8, v8, s16
	v_mul_lo_u32 v12, v12, s18
	s_delay_alu instid0(VALU_DEP_1) | instskip(NEXT) | instid1(VALU_DEP_1)
	v_sub_nc_u32_e32 v8, v8, v12
	v_cmp_lt_u32_e32 vcc_lo, s20, v8
	v_cmpx_ge_u32_e64 s20, v8
	s_cbranch_execz .LBB145_76
; %bb.75:
	v_dual_add_nc_u32 v8, s22, v20 :: v_dual_add_nc_u32 v12, s38, v20
	s_delay_alu instid0(VALU_DEP_1) | instskip(NEXT) | instid1(VALU_DEP_2)
	v_mul_lo_u32 v8, v8, s21
	v_mul_lo_u32 v12, v12, s23
	s_delay_alu instid0(VALU_DEP_1) | instskip(NEXT) | instid1(VALU_DEP_1)
	v_sub_nc_u32_e32 v8, v8, v12
	v_cmp_lt_u32_e64 s0, s39, v8
	s_and_b32 s3, s0, exec_lo
.LBB145_76:
	s_or_b32 exec_lo, exec_lo, s4
	v_dual_lshrrev_b32 v8, 24, v11 :: v_dual_lshrrev_b32 v28, 8, v9
	v_cndmask_b32_e64 v12, 0, 1, s3
	v_cndmask_b32_e64 v13, 0, 1, vcc_lo
	v_lshlrev_b16 v10, 8, v10
	s_delay_alu instid0(VALU_DEP_4)
	v_lshlrev_b16 v8, 8, v8
	v_lshrrev_b32_e32 v29, 16, v9
	v_lshlrev_b16 v12, 8, v12
	v_lshlrev_b16 v28, 8, v28
	v_bitop3_b16 v10, v11, v10, 0xff bitop3:0xec
	v_or_b32_e32 v8, v13, v8
	s_delay_alu instid0(VALU_DEP_4) | instskip(NEXT) | instid1(VALU_DEP_4)
	v_bitop3_b16 v11, v29, v12, 0xff bitop3:0xec
	v_bitop3_b16 v9, v9, v28, 0xff bitop3:0xec
	s_delay_alu instid0(VALU_DEP_4) | instskip(NEXT) | instid1(VALU_DEP_3)
	v_and_b32_e32 v10, 0xffff, v10
	v_dual_lshlrev_b32 v8, 16, v8 :: v_dual_lshlrev_b32 v11, 16, v11
	s_delay_alu instid0(VALU_DEP_3) | instskip(NEXT) | instid1(VALU_DEP_2)
	v_and_b32_e32 v9, 0xffff, v9
	v_or_b32_e32 v8, v10, v8
	s_delay_alu instid0(VALU_DEP_2)
	v_or_b32_e32 v37, v9, v11
.LBB145_77:
	s_or_b32 exec_lo, exec_lo, s1
	v_add_nc_u32_e32 v11, 7, v15
	v_dual_lshrrev_b32 v9, 8, v7 :: v_dual_lshrrev_b32 v10, 16, v7
                                        ; implicit-def: $vgpr38
	s_delay_alu instid0(VALU_DEP_2) | instskip(SKIP_2) | instid1(SALU_CYCLE_1)
	v_cmp_le_u32_e32 vcc_lo, s5, v11
	v_lshrrev_b32_e32 v11, 24, v7
                                        ; implicit-def: $vgpr7
	s_and_saveexec_b32 s0, vcc_lo
	s_xor_b32 s0, exec_lo, s0
	s_cbranch_execz .LBB145_79
; %bb.78:
	s_delay_alu instid0(VALU_DEP_1) | instskip(SKIP_1) | instid1(VALU_DEP_2)
	v_lshlrev_b16 v7, 8, v11
	v_lshlrev_b16 v9, 8, v9
                                        ; implicit-def: $vgpr11
	v_bitop3_b16 v7, v10, v7, 0xff bitop3:0xec
	v_and_b32_e32 v10, 0xff0000, v8
	s_delay_alu instid0(VALU_DEP_3) | instskip(NEXT) | instid1(VALU_DEP_3)
	v_and_b32_e32 v9, 0xffff, v9
	v_lshlrev_b32_e32 v7, 16, v7
	s_delay_alu instid0(VALU_DEP_3) | instskip(NEXT) | instid1(VALU_DEP_2)
	v_perm_b32 v38, v8, v10, 0x3020504
                                        ; implicit-def: $vgpr8
                                        ; implicit-def: $vgpr10
	v_or_b32_e32 v7, v9, v7
                                        ; implicit-def: $vgpr9
.LBB145_79:
	s_and_not1_saveexec_b32 s1, s0
	s_cbranch_execz .LBB145_83
; %bb.80:
	v_dual_add_nc_u32 v7, s17, v21 :: v_dual_add_nc_u32 v12, s19, v21
	s_mov_b32 s3, 0
	s_mov_b32 s4, exec_lo
	s_delay_alu instid0(VALU_DEP_1) | instskip(NEXT) | instid1(VALU_DEP_2)
	v_mul_lo_u32 v7, v7, s16
	v_mul_lo_u32 v12, v12, s18
	s_delay_alu instid0(VALU_DEP_1) | instskip(NEXT) | instid1(VALU_DEP_1)
	v_sub_nc_u32_e32 v7, v7, v12
	v_cmp_lt_u32_e32 vcc_lo, s20, v7
	v_cmpx_ge_u32_e64 s20, v7
	s_cbranch_execz .LBB145_82
; %bb.81:
	v_dual_add_nc_u32 v7, s22, v21 :: v_dual_add_nc_u32 v12, s38, v21
	s_delay_alu instid0(VALU_DEP_1) | instskip(NEXT) | instid1(VALU_DEP_2)
	v_mul_lo_u32 v7, v7, s21
	v_mul_lo_u32 v12, v12, s23
	s_delay_alu instid0(VALU_DEP_1) | instskip(NEXT) | instid1(VALU_DEP_1)
	v_sub_nc_u32_e32 v7, v7, v12
	v_cmp_lt_u32_e64 s0, s39, v7
	s_and_b32 s3, s0, exec_lo
.LBB145_82:
	s_or_b32 exec_lo, exec_lo, s4
	v_cndmask_b32_e64 v7, 0, 1, vcc_lo
	v_dual_lshrrev_b32 v12, 8, v8 :: v_dual_lshrrev_b32 v28, 16, v8
	v_cndmask_b32_e64 v13, 0, 1, s3
	v_lshlrev_b16 v11, 8, v11
	s_delay_alu instid0(VALU_DEP_4) | instskip(NEXT) | instid1(VALU_DEP_4)
	v_lshlrev_b16 v7, 8, v7
	v_lshlrev_b16 v12, 8, v12
	;; [unrolled: 1-line block ×3, first 2 shown]
	s_delay_alu instid0(VALU_DEP_4) | instskip(NEXT) | instid1(VALU_DEP_4)
	v_bitop3_b16 v10, v10, v11, 0xff bitop3:0xec
	v_bitop3_b16 v7, v28, v7, 0xff bitop3:0xec
	s_delay_alu instid0(VALU_DEP_4) | instskip(NEXT) | instid1(VALU_DEP_3)
	v_bitop3_b16 v8, v8, v12, 0xff bitop3:0xec
	v_dual_lshlrev_b32 v10, 16, v10 :: v_dual_bitop2_b32 v9, v13, v9 bitop3:0x54
	s_delay_alu instid0(VALU_DEP_3) | instskip(NEXT) | instid1(VALU_DEP_3)
	v_lshlrev_b32_e32 v7, 16, v7
	v_and_b32_e32 v8, 0xffff, v8
	s_delay_alu instid0(VALU_DEP_3) | instskip(NEXT) | instid1(VALU_DEP_2)
	v_and_b32_e32 v9, 0xffff, v9
	v_or_b32_e32 v38, v8, v7
	s_delay_alu instid0(VALU_DEP_2)
	v_or_b32_e32 v7, v9, v10
.LBB145_83:
	s_or_b32 exec_lo, exec_lo, s1
	v_dual_add_nc_u32 v8, 8, v15 :: v_dual_lshrrev_b32 v13, 24, v6
	s_delay_alu instid0(VALU_DEP_2) | instskip(SKIP_1) | instid1(VALU_DEP_3)
	v_dual_lshrrev_b32 v9, 16, v7 :: v_dual_lshrrev_b32 v10, 24, v7
	v_dual_lshrrev_b32 v11, 16, v6 :: v_dual_lshrrev_b32 v12, 8, v6
	v_cmp_le_u32_e32 vcc_lo, s5, v8
                                        ; implicit-def: $vgpr6
                                        ; implicit-def: $vgpr8
	s_and_saveexec_b32 s0, vcc_lo
	s_delay_alu instid0(SALU_CYCLE_1)
	s_xor_b32 s0, exec_lo, s0
	s_cbranch_execz .LBB145_85
; %bb.84:
	v_lshlrev_b16 v6, 8, v13
	v_lshlrev_b16 v8, 8, v12
	;; [unrolled: 1-line block ×3, first 2 shown]
	v_perm_b32 v1, v1, v1, 0x3060504
                                        ; implicit-def: $vgpr13
                                        ; implicit-def: $vgpr12
	s_delay_alu instid0(VALU_DEP_4) | instskip(NEXT) | instid1(VALU_DEP_4)
	v_bitop3_b16 v6, v11, v6, 0xff bitop3:0xec
	v_and_b32_e32 v8, 0xffff, v8
	s_delay_alu instid0(VALU_DEP_4) | instskip(NEXT) | instid1(VALU_DEP_3)
	v_bitop3_b16 v9, v9, v10, 0xff bitop3:0xec
                                        ; implicit-def: $vgpr10
                                        ; implicit-def: $vgpr11
	v_lshlrev_b32_e32 v6, 16, v6
	s_delay_alu instid0(VALU_DEP_1) | instskip(NEXT) | instid1(VALU_DEP_3)
	v_or_b32_e32 v8, v8, v6
	v_perm_b32 v6, v9, v7, 0x5040c00
                                        ; implicit-def: $vgpr7
                                        ; implicit-def: $vgpr9
.LBB145_85:
	s_and_not1_saveexec_b32 s1, s0
	s_cbranch_execz .LBB145_89
; %bb.86:
	v_dual_add_nc_u32 v6, s17, v18 :: v_dual_add_nc_u32 v8, s19, v18
	s_mov_b32 s3, 0
	s_mov_b32 s4, exec_lo
	s_delay_alu instid0(VALU_DEP_1) | instskip(NEXT) | instid1(VALU_DEP_2)
	v_mul_lo_u32 v6, v6, s16
	v_mul_lo_u32 v8, v8, s18
	s_delay_alu instid0(VALU_DEP_1) | instskip(NEXT) | instid1(VALU_DEP_1)
	v_sub_nc_u32_e32 v6, v6, v8
	v_cmp_lt_u32_e32 vcc_lo, s20, v6
	v_cmpx_ge_u32_e64 s20, v6
	s_cbranch_execz .LBB145_88
; %bb.87:
	v_dual_add_nc_u32 v6, s22, v18 :: v_dual_add_nc_u32 v8, s38, v18
	s_delay_alu instid0(VALU_DEP_1) | instskip(NEXT) | instid1(VALU_DEP_2)
	v_mul_lo_u32 v6, v6, s21
	v_mul_lo_u32 v8, v8, s23
	s_delay_alu instid0(VALU_DEP_1) | instskip(NEXT) | instid1(VALU_DEP_1)
	v_sub_nc_u32_e32 v6, v6, v8
	v_cmp_lt_u32_e64 s0, s39, v6
	s_and_b32 s3, s0, exec_lo
.LBB145_88:
	s_or_b32 exec_lo, exec_lo, s4
	v_cndmask_b32_e64 v6, 0, 1, s3
	v_cndmask_b32_e64 v8, 0, 1, vcc_lo
	v_lshlrev_b16 v13, 8, v13
	v_lshlrev_b16 v12, 8, v12
	;; [unrolled: 1-line block ×4, first 2 shown]
	s_delay_alu instid0(VALU_DEP_4) | instskip(NEXT) | instid1(VALU_DEP_4)
	v_bitop3_b16 v11, v11, v13, 0xff bitop3:0xec
	v_or_b32_e32 v8, v8, v12
	s_delay_alu instid0(VALU_DEP_4) | instskip(NEXT) | instid1(VALU_DEP_4)
	v_bitop3_b16 v9, v9, v10, 0xff bitop3:0xec
	v_bitop3_b16 v6, v7, v6, 0xff bitop3:0xec
	s_delay_alu instid0(VALU_DEP_4) | instskip(NEXT) | instid1(VALU_DEP_4)
	v_lshlrev_b32_e32 v7, 16, v11
	v_and_b32_e32 v8, 0xffff, v8
	s_delay_alu instid0(VALU_DEP_4) | instskip(NEXT) | instid1(VALU_DEP_4)
	v_lshlrev_b32_e32 v9, 16, v9
	v_and_b32_e32 v6, 0xffff, v6
	s_delay_alu instid0(VALU_DEP_3) | instskip(NEXT) | instid1(VALU_DEP_2)
	v_or_b32_e32 v8, v8, v7
	v_or_b32_e32 v6, v6, v9
.LBB145_89:
	s_or_b32 exec_lo, exec_lo, s1
	s_delay_alu instid0(VALU_DEP_1) | instskip(NEXT) | instid1(VALU_DEP_3)
	v_dual_add_nc_u32 v7, 9, v15 :: v_dual_lshrrev_b32 v11, 8, v6
	v_dual_lshrrev_b32 v12, 24, v8 :: v_dual_lshrrev_b32 v10, 16, v8
                                        ; implicit-def: $vgpr9
	s_delay_alu instid0(VALU_DEP_2) | instskip(SKIP_1) | instid1(SALU_CYCLE_1)
	v_cmp_le_u32_e32 vcc_lo, s5, v7
                                        ; implicit-def: $vgpr7
	s_and_saveexec_b32 s0, vcc_lo
	s_xor_b32 s0, exec_lo, s0
	s_cbranch_execz .LBB145_91
; %bb.90:
	v_lshlrev_b16 v7, 8, v11
	v_lshlrev_b16 v9, 8, v12
	v_perm_b32 v1, v1, v1, 0x3060504
                                        ; implicit-def: $vgpr11
                                        ; implicit-def: $vgpr12
	s_delay_alu instid0(VALU_DEP_3) | instskip(NEXT) | instid1(VALU_DEP_3)
	v_bitop3_b16 v7, v6, v7, 0xff bitop3:0xec
	v_bitop3_b16 v9, v10, v9, 0xff bitop3:0xec
                                        ; implicit-def: $vgpr10
	s_delay_alu instid0(VALU_DEP_2) | instskip(NEXT) | instid1(VALU_DEP_2)
	v_and_b32_e32 v7, 0xffff, v7
	v_perm_b32 v9, v9, v8, 0x5040c00
                                        ; implicit-def: $vgpr8
	s_delay_alu instid0(VALU_DEP_2)
	v_and_or_b32 v7, 0xff000000, v6, v7
                                        ; implicit-def: $vgpr6
.LBB145_91:
	s_and_not1_saveexec_b32 s1, s0
	s_cbranch_execz .LBB145_95
; %bb.92:
	v_dual_add_nc_u32 v7, s17, v19 :: v_dual_add_nc_u32 v9, s19, v19
	s_mov_b32 s3, 0
	s_mov_b32 s4, exec_lo
	s_delay_alu instid0(VALU_DEP_1) | instskip(NEXT) | instid1(VALU_DEP_2)
	v_mul_lo_u32 v7, v7, s16
	v_mul_lo_u32 v9, v9, s18
	s_delay_alu instid0(VALU_DEP_1) | instskip(NEXT) | instid1(VALU_DEP_1)
	v_sub_nc_u32_e32 v7, v7, v9
	v_cmp_lt_u32_e32 vcc_lo, s20, v7
	v_cmpx_ge_u32_e64 s20, v7
	s_cbranch_execz .LBB145_94
; %bb.93:
	v_dual_add_nc_u32 v7, s22, v19 :: v_dual_add_nc_u32 v9, s38, v19
	s_delay_alu instid0(VALU_DEP_1) | instskip(NEXT) | instid1(VALU_DEP_2)
	v_mul_lo_u32 v7, v7, s21
	v_mul_lo_u32 v9, v9, s23
	s_delay_alu instid0(VALU_DEP_1) | instskip(NEXT) | instid1(VALU_DEP_1)
	v_sub_nc_u32_e32 v7, v7, v9
	v_cmp_lt_u32_e64 s0, s39, v7
	s_and_b32 s3, s0, exec_lo
.LBB145_94:
	s_or_b32 exec_lo, exec_lo, s4
	v_cndmask_b32_e64 v7, 0, 1, vcc_lo
	v_lshrrev_b32_e32 v9, 24, v6
	v_cndmask_b32_e64 v13, 0, 1, s3
	v_lshlrev_b16 v12, 8, v12
	v_lshlrev_b16 v11, 8, v11
	;; [unrolled: 1-line block ×4, first 2 shown]
	s_delay_alu instid0(VALU_DEP_4) | instskip(NEXT) | instid1(VALU_DEP_4)
	v_bitop3_b16 v10, v10, v12, 0xff bitop3:0xec
	v_bitop3_b16 v6, v6, v11, 0xff bitop3:0xec
	s_delay_alu instid0(VALU_DEP_4) | instskip(NEXT) | instid1(VALU_DEP_3)
	v_bitop3_b16 v7, v8, v7, 0xff bitop3:0xec
	v_dual_lshlrev_b32 v9, 16, v10 :: v_dual_bitop2_b32 v8, v13, v9 bitop3:0x54
	s_delay_alu instid0(VALU_DEP_3) | instskip(NEXT) | instid1(VALU_DEP_3)
	v_and_b32_e32 v6, 0xffff, v6
	v_and_b32_e32 v7, 0xffff, v7
	s_delay_alu instid0(VALU_DEP_1) | instskip(NEXT) | instid1(VALU_DEP_1)
	v_dual_lshlrev_b32 v8, 16, v8 :: v_dual_bitop2_b32 v9, v7, v9 bitop3:0x54
	v_or_b32_e32 v7, v6, v8
.LBB145_95:
	s_or_b32 exec_lo, exec_lo, s1
	s_delay_alu instid0(VALU_DEP_2) | instskip(NEXT) | instid1(VALU_DEP_1)
	v_dual_add_nc_u32 v6, 10, v15 :: v_dual_lshrrev_b32 v8, 8, v9
                                        ; implicit-def: $vgpr40
	v_cmp_le_u32_e32 vcc_lo, s5, v6
                                        ; implicit-def: $vgpr6
	s_and_saveexec_b32 s0, vcc_lo
	s_delay_alu instid0(SALU_CYCLE_1)
	s_xor_b32 s0, exec_lo, s0
	s_cbranch_execz .LBB145_97
; %bb.96:
	v_lshlrev_b16 v6, 8, v8
	v_and_b32_e32 v8, 0xff0000, v7
	v_perm_b32 v1, v1, v1, 0x3060504
	s_delay_alu instid0(VALU_DEP_3) | instskip(NEXT) | instid1(VALU_DEP_3)
	v_bitop3_b16 v6, v9, v6, 0xff bitop3:0xec
	v_perm_b32 v40, v7, v8, 0x3020504
                                        ; implicit-def: $vgpr8
                                        ; implicit-def: $vgpr7
	s_delay_alu instid0(VALU_DEP_2) | instskip(NEXT) | instid1(VALU_DEP_1)
	v_and_b32_e32 v6, 0xffff, v6
	v_and_or_b32 v6, 0xff000000, v9, v6
                                        ; implicit-def: $vgpr9
.LBB145_97:
	s_and_not1_saveexec_b32 s1, s0
	s_cbranch_execz .LBB145_101
; %bb.98:
	v_dual_add_nc_u32 v6, s17, v16 :: v_dual_add_nc_u32 v10, s19, v16
	s_mov_b32 s3, 0
	s_mov_b32 s4, exec_lo
	s_delay_alu instid0(VALU_DEP_1) | instskip(NEXT) | instid1(VALU_DEP_2)
	v_mul_lo_u32 v6, v6, s16
	v_mul_lo_u32 v10, v10, s18
	s_delay_alu instid0(VALU_DEP_1) | instskip(NEXT) | instid1(VALU_DEP_1)
	v_sub_nc_u32_e32 v6, v6, v10
	v_cmp_lt_u32_e32 vcc_lo, s20, v6
	v_cmpx_ge_u32_e64 s20, v6
	s_cbranch_execz .LBB145_100
; %bb.99:
	v_dual_add_nc_u32 v6, s22, v16 :: v_dual_add_nc_u32 v10, s38, v16
	s_delay_alu instid0(VALU_DEP_1) | instskip(NEXT) | instid1(VALU_DEP_2)
	v_mul_lo_u32 v6, v6, s21
	v_mul_lo_u32 v10, v10, s23
	s_delay_alu instid0(VALU_DEP_1) | instskip(NEXT) | instid1(VALU_DEP_1)
	v_sub_nc_u32_e32 v6, v6, v10
	v_cmp_lt_u32_e64 s0, s39, v6
	s_and_b32 s3, s0, exec_lo
.LBB145_100:
	s_or_b32 exec_lo, exec_lo, s4
	v_dual_lshrrev_b32 v6, 24, v9 :: v_dual_lshrrev_b32 v12, 8, v7
	v_cndmask_b32_e64 v10, 0, 1, s3
	v_cndmask_b32_e64 v11, 0, 1, vcc_lo
	v_lshlrev_b16 v8, 8, v8
	s_delay_alu instid0(VALU_DEP_4)
	v_lshlrev_b16 v6, 8, v6
	v_lshrrev_b32_e32 v13, 16, v7
	v_lshlrev_b16 v10, 8, v10
	v_lshlrev_b16 v12, 8, v12
	v_bitop3_b16 v8, v9, v8, 0xff bitop3:0xec
	v_or_b32_e32 v6, v11, v6
	s_delay_alu instid0(VALU_DEP_4) | instskip(NEXT) | instid1(VALU_DEP_4)
	v_bitop3_b16 v9, v13, v10, 0xff bitop3:0xec
	v_bitop3_b16 v7, v7, v12, 0xff bitop3:0xec
	s_delay_alu instid0(VALU_DEP_4) | instskip(NEXT) | instid1(VALU_DEP_3)
	v_and_b32_e32 v8, 0xffff, v8
	v_dual_lshlrev_b32 v6, 16, v6 :: v_dual_lshlrev_b32 v9, 16, v9
	s_delay_alu instid0(VALU_DEP_3) | instskip(NEXT) | instid1(VALU_DEP_2)
	v_and_b32_e32 v7, 0xffff, v7
	v_or_b32_e32 v6, v8, v6
	s_delay_alu instid0(VALU_DEP_2)
	v_or_b32_e32 v40, v7, v9
.LBB145_101:
	s_or_b32 exec_lo, exec_lo, s1
	v_dual_add_nc_u32 v7, 11, v15 :: v_dual_mov_b32 v39, 0
	s_mov_b32 s0, exec_lo
                                        ; implicit-def: $vgpr41
	s_delay_alu instid0(VALU_DEP_1)
	v_cmpx_le_u32_e64 s5, v7
	s_xor_b32 s0, exec_lo, s0
; %bb.102:
	v_and_b32_e32 v7, 0xff0000, v6
	v_perm_b32 v1, v1, v1, 0x3060504
	s_delay_alu instid0(VALU_DEP_2)
	v_perm_b32 v41, v6, v7, 0x3020504
                                        ; implicit-def: $vgpr6
; %bb.103:
	s_and_not1_saveexec_b32 s1, s0
	s_cbranch_execz .LBB145_107
; %bb.104:
	v_dual_add_nc_u32 v7, s17, v17 :: v_dual_add_nc_u32 v8, s19, v17
	s_mov_b32 s3, 0
	s_mov_b32 s4, exec_lo
	s_delay_alu instid0(VALU_DEP_1) | instskip(NEXT) | instid1(VALU_DEP_2)
	v_mul_lo_u32 v7, v7, s16
	v_mul_lo_u32 v8, v8, s18
	s_delay_alu instid0(VALU_DEP_1) | instskip(NEXT) | instid1(VALU_DEP_1)
	v_sub_nc_u32_e32 v7, v7, v8
	v_cmp_lt_u32_e32 vcc_lo, s20, v7
	v_cmpx_ge_u32_e64 s20, v7
	s_cbranch_execz .LBB145_106
; %bb.105:
	v_dual_add_nc_u32 v7, s22, v17 :: v_dual_add_nc_u32 v8, s38, v17
	s_delay_alu instid0(VALU_DEP_1) | instskip(NEXT) | instid1(VALU_DEP_2)
	v_mul_lo_u32 v7, v7, s21
	v_mul_lo_u32 v8, v8, s23
	s_delay_alu instid0(VALU_DEP_1) | instskip(NEXT) | instid1(VALU_DEP_1)
	v_sub_nc_u32_e32 v7, v7, v8
	v_cmp_lt_u32_e64 s0, s39, v7
	s_and_b32 s3, s0, exec_lo
.LBB145_106:
	s_or_b32 exec_lo, exec_lo, s4
	v_cndmask_b32_e64 v7, 0, 1, vcc_lo
	v_dual_lshrrev_b32 v8, 8, v6 :: v_dual_lshrrev_b32 v9, 16, v6
	v_cndmask_b32_e64 v39, 0, 1, s3
	s_delay_alu instid0(VALU_DEP_3) | instskip(NEXT) | instid1(VALU_DEP_3)
	v_lshlrev_b16 v7, 8, v7
	v_lshlrev_b16 v8, 8, v8
	s_delay_alu instid0(VALU_DEP_2) | instskip(NEXT) | instid1(VALU_DEP_2)
	v_bitop3_b16 v7, v9, v7, 0xff bitop3:0xec
	v_bitop3_b16 v6, v6, v8, 0xff bitop3:0xec
	s_delay_alu instid0(VALU_DEP_2) | instskip(NEXT) | instid1(VALU_DEP_2)
	v_lshlrev_b32_e32 v7, 16, v7
	v_and_b32_e32 v6, 0xffff, v6
	s_delay_alu instid0(VALU_DEP_1)
	v_or_b32_e32 v41, v6, v7
.LBB145_107:
	s_or_b32 exec_lo, exec_lo, s1
	v_dual_add_nc_u32 v8, 12, v15 :: v_dual_lshrrev_b32 v6, 8, v1
	v_dual_lshrrev_b32 v7, 16, v1 :: v_dual_lshrrev_b32 v1, 24, v1
	s_mov_b32 s0, exec_lo
                                        ; implicit-def: $vgpr42
	s_delay_alu instid0(VALU_DEP_2)
	v_cmpx_le_u32_e64 s5, v8
	s_xor_b32 s0, exec_lo, s0
; %bb.108:
	s_delay_alu instid0(VALU_DEP_2) | instskip(SKIP_1) | instid1(VALU_DEP_2)
	v_lshlrev_b16 v1, 8, v1
	v_lshlrev_b16 v6, 8, v6
	v_bitop3_b16 v1, v7, v1, 0xff bitop3:0xec
	s_delay_alu instid0(VALU_DEP_2) | instskip(NEXT) | instid1(VALU_DEP_2)
	v_and_b32_e32 v6, 0xffff, v6
                                        ; implicit-def: $vgpr7
	v_lshlrev_b32_e32 v1, 16, v1
	s_delay_alu instid0(VALU_DEP_1)
	v_or_b32_e32 v42, v6, v1
                                        ; implicit-def: $vgpr1
                                        ; implicit-def: $vgpr6
; %bb.109:
	s_or_saveexec_b32 s1, s0
	v_mov_b32_e32 v43, 0
	s_xor_b32 exec_lo, exec_lo, s1
	s_cbranch_execz .LBB145_113
; %bb.110:
	v_dual_add_nc_u32 v8, s19, v34 :: v_dual_add_nc_u32 v9, s17, v34
	s_mov_b32 s3, 0
	s_mov_b32 s4, exec_lo
	s_delay_alu instid0(VALU_DEP_1) | instskip(NEXT) | instid1(VALU_DEP_2)
	v_mul_lo_u32 v8, v8, s18
	v_mul_lo_u32 v9, v9, s16
	s_delay_alu instid0(VALU_DEP_1) | instskip(NEXT) | instid1(VALU_DEP_1)
	v_sub_nc_u32_e32 v8, v9, v8
	v_cmp_lt_u32_e32 vcc_lo, s20, v8
	v_cmpx_ge_u32_e64 s20, v8
	s_cbranch_execz .LBB145_112
; %bb.111:
	v_dual_add_nc_u32 v8, s38, v34 :: v_dual_add_nc_u32 v9, s22, v34
	s_delay_alu instid0(VALU_DEP_1) | instskip(NEXT) | instid1(VALU_DEP_2)
	v_mul_lo_u32 v8, v8, s23
	v_mul_lo_u32 v9, v9, s21
	s_delay_alu instid0(VALU_DEP_1) | instskip(NEXT) | instid1(VALU_DEP_1)
	v_sub_nc_u32_e32 v8, v9, v8
	v_cmp_lt_u32_e64 s0, s39, v8
	s_and_b32 s3, s0, exec_lo
.LBB145_112:
	s_or_b32 exec_lo, exec_lo, s4
	v_cndmask_b32_e64 v8, 0, 1, vcc_lo
	v_lshlrev_b16 v1, 8, v1
	v_lshlrev_b16 v6, 8, v6
	v_cndmask_b32_e64 v43, 0, 1, s3
	s_delay_alu instid0(VALU_DEP_3) | instskip(NEXT) | instid1(VALU_DEP_1)
	v_bitop3_b16 v1, v7, v1, 0xff bitop3:0xec
	v_dual_lshlrev_b32 v1, 16, v1 :: v_dual_bitop2_b32 v6, v8, v6 bitop3:0x54
	s_delay_alu instid0(VALU_DEP_1) | instskip(NEXT) | instid1(VALU_DEP_1)
	v_and_b32_e32 v6, 0xffff, v6
	v_or_b32_e32 v42, v6, v1
.LBB145_113:
	s_or_b32 exec_lo, exec_lo, s1
.LBB145_114:
	v_and_b32_e32 v66, 0xff, v36
	s_delay_alu instid0(VALU_DEP_2)
	v_bfe_u32 v67, v42, 8, 8
	v_bfe_u32 v64, v36, 8, 8
	;; [unrolled: 1-line block ×4, first 2 shown]
	v_dual_lshrrev_b32 v49, 24, v42 :: v_dual_lshrrev_b32 v48, 24, v36
	v_and_b32_e32 v62, 0xff, v37
	v_and_b32_e32 v60, 0xff, v38
	v_bfe_u32 v61, v37, 8, 8
	v_add3_u32 v1, v64, v66, v63
	v_add3_u32 v6, v65, v67, v49
	v_bfe_u32 v58, v38, 8, 8
	v_bfe_u32 v59, v37, 16, 8
	;; [unrolled: 1-line block ×3, first 2 shown]
	v_dual_lshrrev_b32 v47, 24, v37 :: v_dual_lshrrev_b32 v46, 24, v38
	v_add3_u32 v1, v1, v48, v60
	v_add3_u32 v6, v6, v62, v61
	v_and_b32_e32 v57, 0xff, v40
	v_and_b32_e32 v53, 0xff, v41
	v_bfe_u32 v55, v40, 8, 8
	v_add3_u32 v1, v1, v58, v56
	v_add3_u32 v6, v6, v59, v47
	v_bfe_u32 v52, v41, 8, 8
	v_bfe_u32 v54, v40, 16, 8
	;; [unrolled: 1-line block ×3, first 2 shown]
	v_dual_lshrrev_b32 v45, 24, v40 :: v_dual_lshrrev_b32 v44, 24, v41
	v_add3_u32 v1, v1, v46, v53
	v_add3_u32 v6, v6, v57, v55
	v_mbcnt_lo_u32_b32 v68, -1, 0
	v_and_b32_e32 v50, 0xff, v39
	v_and_b32_e32 v7, 0xff, v42
	;; [unrolled: 1-line block ×3, first 2 shown]
	v_add3_u32 v1, v1, v52, v51
	v_add3_u32 v6, v6, v54, v45
	v_and_b32_e32 v70, 15, v68
	v_and_b32_e32 v72, 16, v68
	v_dual_lshrrev_b32 v69, 5, v0 :: v_dual_bitop2_b32 v71, 31, v0 bitop3:0x54
	v_add3_u32 v73, v1, v44, v7
	v_add3_u32 v74, v6, v50, v8
	v_cmp_eq_u32_e64 s1, 0, v70
	v_cmp_lt_u32_e64 s0, 1, v70
	v_cmp_lt_u32_e64 s3, 3, v70
	s_cmp_lg_u32 s27, 0
	s_mov_b32 s4, -1
	v_cmp_lt_u32_e32 vcc_lo, 7, v70
	s_cbranch_scc0 .LBB145_135
; %bb.115:
	v_mov_b32_dpp v1, v74 row_shr:1 row_mask:0xf bank_mask:0xf
	v_mov_b32_dpp v6, v73 row_shr:1 row_mask:0xf bank_mask:0xf
	s_mov_b32 s4, exec_lo
	s_delay_alu instid0(VALU_DEP_1) | instskip(NEXT) | instid1(VALU_DEP_1)
	v_dual_add_nc_u32 v1, v1, v74 :: v_dual_add_nc_u32 v6, v6, v73
	v_dual_cndmask_b32 v1, v1, v74, s1 :: v_dual_cndmask_b32 v6, v6, v73, s1
	s_delay_alu instid0(VALU_DEP_1) | instskip(NEXT) | instid1(VALU_DEP_2)
	v_mov_b32_dpp v7, v1 row_shr:2 row_mask:0xf bank_mask:0xf
	v_mov_b32_dpp v8, v6 row_shr:2 row_mask:0xf bank_mask:0xf
	s_delay_alu instid0(VALU_DEP_1) | instskip(NEXT) | instid1(VALU_DEP_1)
	v_dual_add_nc_u32 v7, v1, v7 :: v_dual_add_nc_u32 v8, v6, v8
	v_dual_cndmask_b32 v1, v1, v7, s0 :: v_dual_cndmask_b32 v6, v6, v8, s0
	s_delay_alu instid0(VALU_DEP_1) | instskip(NEXT) | instid1(VALU_DEP_2)
	v_mov_b32_dpp v7, v1 row_shr:4 row_mask:0xf bank_mask:0xf
	v_mov_b32_dpp v8, v6 row_shr:4 row_mask:0xf bank_mask:0xf
	;; [unrolled: 6-line block ×3, first 2 shown]
	s_delay_alu instid0(VALU_DEP_1) | instskip(NEXT) | instid1(VALU_DEP_1)
	v_dual_add_nc_u32 v7, v1, v7 :: v_dual_add_nc_u32 v8, v6, v8
	v_dual_cndmask_b32 v1, v1, v7 :: v_dual_cndmask_b32 v6, v6, v8
	v_cmp_eq_u32_e32 vcc_lo, 0, v72
	ds_swizzle_b32 v7, v1 offset:swizzle(BROADCAST,32,15)
	ds_swizzle_b32 v8, v6 offset:swizzle(BROADCAST,32,15)
	s_wait_dscnt 0x0
	v_dual_add_nc_u32 v7, v1, v7 :: v_dual_add_nc_u32 v8, v6, v8
	v_cmpx_eq_u32_e64 v0, v71
; %bb.116:
	s_delay_alu instid0(VALU_DEP_2) | instskip(NEXT) | instid1(VALU_DEP_3)
	v_dual_cndmask_b32 v10, v8, v6 :: v_dual_lshlrev_b32 v9, 3, v69
	v_cndmask_b32_e32 v11, v7, v1, vcc_lo
	ds_store_b64 v9, v[10:11]
; %bb.117:
	s_or_b32 exec_lo, exec_lo, s4
	s_delay_alu instid0(SALU_CYCLE_1)
	s_mov_b32 s4, exec_lo
	s_wait_dscnt 0x0
	s_barrier_signal -1
	s_barrier_wait -1
	v_cmpx_gt_u32_e32 8, v0
	s_cbranch_execz .LBB145_119
; %bb.118:
	v_lshlrev_b32_e32 v9, 3, v0
	ds_load_b64 v[10:11], v9
	s_wait_dscnt 0x0
	v_mov_b32_dpp v12, v10 row_shr:1 row_mask:0xf bank_mask:0xf
	v_mov_b32_dpp v13, v11 row_shr:1 row_mask:0xf bank_mask:0xf
	s_delay_alu instid0(VALU_DEP_2) | instskip(NEXT) | instid1(VALU_DEP_2)
	v_dual_add_nc_u32 v12, v12, v10 :: v_dual_bitop2_b32 v28, 7, v68 bitop3:0x40
	v_add_nc_u32_e32 v13, v13, v11
	s_delay_alu instid0(VALU_DEP_2) | instskip(NEXT) | instid1(VALU_DEP_1)
	v_cmp_eq_u32_e64 s3, 0, v28
	v_dual_cndmask_b32 v11, v13, v11, s3 :: v_dual_cndmask_b32 v10, v12, v10, s3
	v_cmp_lt_u32_e64 s3, 1, v28
	s_delay_alu instid0(VALU_DEP_2) | instskip(NEXT) | instid1(VALU_DEP_3)
	v_mov_b32_dpp v13, v11 row_shr:2 row_mask:0xf bank_mask:0xf
	v_mov_b32_dpp v12, v10 row_shr:2 row_mask:0xf bank_mask:0xf
	s_delay_alu instid0(VALU_DEP_1) | instskip(NEXT) | instid1(VALU_DEP_1)
	v_dual_add_nc_u32 v13, v11, v13 :: v_dual_add_nc_u32 v12, v10, v12
	v_dual_cndmask_b32 v11, v11, v13, s3 :: v_dual_cndmask_b32 v10, v10, v12, s3
	v_cmp_lt_u32_e64 s3, 3, v28
	s_delay_alu instid0(VALU_DEP_2) | instskip(NEXT) | instid1(VALU_DEP_3)
	v_mov_b32_dpp v13, v11 row_shr:4 row_mask:0xf bank_mask:0xf
	v_mov_b32_dpp v12, v10 row_shr:4 row_mask:0xf bank_mask:0xf
	s_delay_alu instid0(VALU_DEP_1) | instskip(NEXT) | instid1(VALU_DEP_1)
	v_dual_cndmask_b32 v13, 0, v13, s3 :: v_dual_cndmask_b32 v12, 0, v12, s3
	v_dual_add_nc_u32 v11, v13, v11 :: v_dual_add_nc_u32 v10, v12, v10
	ds_store_b64 v9, v[10:11]
.LBB145_119:
	s_or_b32 exec_lo, exec_lo, s4
	v_dual_cndmask_b32 v1, v7, v1 :: v_dual_cndmask_b32 v6, v8, v6
	s_mov_b32 s4, exec_lo
	v_cmp_gt_u32_e32 vcc_lo, 32, v0
	s_wait_dscnt 0x0
	s_barrier_signal -1
	s_barrier_wait -1
                                        ; implicit-def: $vgpr28
	v_cmpx_lt_u32_e32 31, v0
	s_cbranch_execz .LBB145_121
; %bb.120:
	v_lshl_add_u32 v7, v69, 3, -8
	ds_load_b64 v[28:29], v7
	s_wait_dscnt 0x0
	v_dual_add_nc_u32 v1, v29, v1 :: v_dual_add_nc_u32 v6, v28, v6
.LBB145_121:
	s_or_b32 exec_lo, exec_lo, s4
	v_sub_co_u32 v7, s3, v68, 1
	s_delay_alu instid0(VALU_DEP_1) | instskip(NEXT) | instid1(VALU_DEP_1)
	v_cmp_gt_i32_e64 s4, 0, v7
	v_cndmask_b32_e64 v7, v7, v68, s4
	s_delay_alu instid0(VALU_DEP_1)
	v_lshlrev_b32_e32 v7, 2, v7
	ds_bpermute_b32 v75, v7, v6
	ds_bpermute_b32 v1, v7, v1
	s_and_saveexec_b32 s4, vcc_lo
	s_cbranch_execz .LBB145_140
; %bb.122:
	v_mov_b32_e32 v9, 0
	ds_load_b64 v[6:7], v9 offset:56
	s_and_saveexec_b32 s6, s3
	s_cbranch_execz .LBB145_124
; %bb.123:
	s_add_co_i32 s8, s27, 32
	s_mov_b32 s9, 0
	v_mov_b32_e32 v8, 1
	s_lshl_b64 s[8:9], s[8:9], 4
	s_delay_alu instid0(SALU_CYCLE_1) | instskip(NEXT) | instid1(SALU_CYCLE_1)
	s_add_nc_u64 s[8:9], s[36:37], s[8:9]
	v_mov_b64_e32 v[10:11], s[8:9]
	s_wait_dscnt 0x0
	;;#ASMSTART
	global_store_b128 v[10:11], v[6:9] off scope:SCOPE_DEV	
s_wait_storecnt 0x0
	;;#ASMEND
.LBB145_124:
	s_or_b32 exec_lo, exec_lo, s6
	v_xad_u32 v30, v68, -1, s27
	s_mov_b32 s7, 0
	s_mov_b32 s6, exec_lo
	s_delay_alu instid0(VALU_DEP_1) | instskip(NEXT) | instid1(VALU_DEP_1)
	v_add_nc_u32_e32 v8, 32, v30
	v_lshl_add_u64 v[8:9], v[8:9], 4, s[36:37]
	;;#ASMSTART
	global_load_b128 v[10:13], v[8:9] off scope:SCOPE_DEV	
s_wait_loadcnt 0x0
	;;#ASMEND
	v_and_b32_e32 v13, 0xff, v12
	s_delay_alu instid0(VALU_DEP_1)
	v_cmpx_eq_u16_e32 0, v13
	s_cbranch_execz .LBB145_127
.LBB145_125:                            ; =>This Inner Loop Header: Depth=1
	;;#ASMSTART
	global_load_b128 v[10:13], v[8:9] off scope:SCOPE_DEV	
s_wait_loadcnt 0x0
	;;#ASMEND
	v_and_b32_e32 v13, 0xff, v12
	s_delay_alu instid0(VALU_DEP_1) | instskip(SKIP_1) | instid1(SALU_CYCLE_1)
	v_cmp_ne_u16_e32 vcc_lo, 0, v13
	s_or_b32 s7, vcc_lo, s7
	s_and_not1_b32 exec_lo, exec_lo, s7
	s_cbranch_execnz .LBB145_125
; %bb.126:
	s_or_b32 exec_lo, exec_lo, s7
.LBB145_127:
	s_delay_alu instid0(SALU_CYCLE_1) | instskip(SKIP_4) | instid1(VALU_DEP_1)
	s_or_b32 exec_lo, exec_lo, s6
	v_cmp_ne_u32_e32 vcc_lo, 31, v68
	v_lshlrev_b32_e64 v77, v68, -1
	v_lshl_or_b32 v84, v68, 2, 64
	v_add_co_ci_u32_e64 v8, null, 0, v68, vcc_lo
	v_lshlrev_b32_e32 v76, 2, v8
	v_and_b32_e32 v8, 0xff, v12
	s_delay_alu instid0(VALU_DEP_1)
	v_cmp_eq_u16_e32 vcc_lo, 2, v8
	v_and_b32_e32 v13, vcc_lo, v77
	ds_bpermute_b32 v9, v76, v11
	ds_bpermute_b32 v8, v76, v10
	v_cmp_gt_u32_e32 vcc_lo, 30, v68
	v_or_b32_e32 v13, 0x80000000, v13
	v_cndmask_b32_e64 v31, 0, 2, vcc_lo
	s_delay_alu instid0(VALU_DEP_2) | instskip(NEXT) | instid1(VALU_DEP_2)
	v_ctz_i32_b32_e32 v13, v13
	v_add_lshl_u32 v78, v31, v68, 2
	s_delay_alu instid0(VALU_DEP_2) | instskip(SKIP_2) | instid1(VALU_DEP_1)
	v_cmp_lt_u32_e32 vcc_lo, v68, v13
	s_wait_dscnt 0x0
	v_dual_add_nc_u32 v9, v9, v11 :: v_dual_add_nc_u32 v8, v8, v10
	v_dual_cndmask_b32 v9, v11, v9 :: v_dual_cndmask_b32 v8, v10, v8
	v_cmp_gt_u32_e32 vcc_lo, 28, v68
	ds_bpermute_b32 v10, v78, v9
	ds_bpermute_b32 v11, v78, v8
	v_add_nc_u32_e32 v79, 2, v68
	v_cndmask_b32_e64 v31, 0, 4, vcc_lo
	s_delay_alu instid0(VALU_DEP_1) | instskip(SKIP_4) | instid1(VALU_DEP_2)
	v_add_lshl_u32 v80, v31, v68, 2
	s_wait_dscnt 0x1
	v_add_nc_u32_e32 v10, v9, v10
	v_cmp_gt_u32_e32 vcc_lo, v79, v13
	s_wait_dscnt 0x0
	v_dual_add_nc_u32 v11, v8, v11 :: v_dual_cndmask_b32 v9, v10, v9, vcc_lo
	ds_bpermute_b32 v10, v80, v9
	v_cndmask_b32_e32 v8, v11, v8, vcc_lo
	v_cmp_gt_u32_e32 vcc_lo, 24, v68
	v_cndmask_b32_e64 v31, 0, 8, vcc_lo
	s_delay_alu instid0(VALU_DEP_1)
	v_add_lshl_u32 v82, v31, v68, 2
	s_wait_dscnt 0x0
	v_dual_mov_b32 v31, 0 :: v_dual_add_nc_u32 v10, v9, v10
	ds_bpermute_b32 v11, v80, v8
	s_wait_dscnt 0x0
	v_dual_add_nc_u32 v81, 4, v68 :: v_dual_add_nc_u32 v11, v8, v11
	s_delay_alu instid0(VALU_DEP_1) | instskip(NEXT) | instid1(VALU_DEP_2)
	v_cmp_gt_u32_e32 vcc_lo, v81, v13
	v_dual_cndmask_b32 v9, v10, v9 :: v_dual_cndmask_b32 v8, v11, v8
	ds_bpermute_b32 v10, v82, v9
	ds_bpermute_b32 v11, v82, v8
	s_wait_dscnt 0x1
	v_dual_add_nc_u32 v83, 8, v68 :: v_dual_add_nc_u32 v10, v9, v10
	s_delay_alu instid0(VALU_DEP_1) | instskip(SKIP_1) | instid1(VALU_DEP_2)
	v_cmp_gt_u32_e32 vcc_lo, v83, v13
	s_wait_dscnt 0x0
	v_dual_add_nc_u32 v11, v8, v11 :: v_dual_cndmask_b32 v9, v10, v9, vcc_lo
	s_delay_alu instid0(VALU_DEP_1) | instskip(SKIP_3) | instid1(VALU_DEP_1)
	v_cndmask_b32_e32 v8, v11, v8, vcc_lo
	ds_bpermute_b32 v11, v84, v9
	ds_bpermute_b32 v10, v84, v8
	v_add_nc_u32_e32 v85, 16, v68
	v_cmp_le_u32_e32 vcc_lo, v85, v13
	s_wait_dscnt 0x0
	v_dual_cndmask_b32 v11, 0, v11 :: v_dual_cndmask_b32 v10, 0, v10
	s_delay_alu instid0(VALU_DEP_1)
	v_dual_add_nc_u32 v11, v11, v9 :: v_dual_add_nc_u32 v10, v10, v8
	s_branch .LBB145_131
.LBB145_128:                            ;   in Loop: Header=BB145_131 Depth=1
	s_or_b32 exec_lo, exec_lo, s7
.LBB145_129:                            ;   in Loop: Header=BB145_131 Depth=1
	s_delay_alu instid0(SALU_CYCLE_1)
	s_or_b32 exec_lo, exec_lo, s6
	ds_bpermute_b32 v13, v76, v10
	ds_bpermute_b32 v32, v76, v11
	v_and_b32_e32 v33, 0xff, v12
	v_subrev_nc_u32_e32 v30, 32, v30
	s_mov_b32 s6, 0
	s_delay_alu instid0(VALU_DEP_2) | instskip(SKIP_1) | instid1(VALU_DEP_1)
	v_cmp_eq_u16_e32 vcc_lo, 2, v33
	v_and_or_b32 v33, vcc_lo, v77, 0x80000000
	v_ctz_i32_b32_e32 v33, v33
	s_wait_dscnt 0x0
	v_dual_add_nc_u32 v13, v13, v10 :: v_dual_add_nc_u32 v32, v32, v11
	s_delay_alu instid0(VALU_DEP_2) | instskip(NEXT) | instid1(VALU_DEP_2)
	v_cmp_lt_u32_e32 vcc_lo, v68, v33
	v_dual_cndmask_b32 v11, v11, v32 :: v_dual_cndmask_b32 v10, v10, v13
	v_cmp_gt_u32_e32 vcc_lo, v79, v33
	ds_bpermute_b32 v32, v78, v11
	ds_bpermute_b32 v13, v78, v10
	s_wait_dscnt 0x0
	v_dual_add_nc_u32 v32, v11, v32 :: v_dual_add_nc_u32 v13, v10, v13
	s_delay_alu instid0(VALU_DEP_1)
	v_dual_cndmask_b32 v11, v32, v11 :: v_dual_cndmask_b32 v10, v13, v10
	v_cmp_gt_u32_e32 vcc_lo, v81, v33
	ds_bpermute_b32 v32, v80, v11
	ds_bpermute_b32 v13, v80, v10
	s_wait_dscnt 0x0
	v_dual_add_nc_u32 v32, v11, v32 :: v_dual_add_nc_u32 v13, v10, v13
	s_delay_alu instid0(VALU_DEP_1)
	;; [unrolled: 7-line block ×3, first 2 shown]
	v_dual_cndmask_b32 v11, v32, v11 :: v_dual_cndmask_b32 v10, v13, v10
	v_cmp_le_u32_e32 vcc_lo, v85, v33
	ds_bpermute_b32 v32, v84, v11
	ds_bpermute_b32 v13, v84, v10
	s_wait_dscnt 0x0
	v_dual_cndmask_b32 v32, 0, v32 :: v_dual_cndmask_b32 v13, 0, v13
	s_delay_alu instid0(VALU_DEP_1) | instskip(NEXT) | instid1(VALU_DEP_2)
	v_add3_u32 v11, v11, v9, v32
	v_add3_u32 v10, v10, v8, v13
.LBB145_130:                            ;   in Loop: Header=BB145_131 Depth=1
	s_and_b32 vcc_lo, exec_lo, s6
	s_cbranch_vccnz .LBB145_136
.LBB145_131:                            ; =>This Loop Header: Depth=1
                                        ;     Child Loop BB145_134 Depth 2
	v_and_b32_e32 v8, 0xff, v12
	s_mov_b32 s6, -1
                                        ; implicit-def: $vgpr12
	s_delay_alu instid0(VALU_DEP_1)
	v_cmp_ne_u16_e32 vcc_lo, 2, v8
	v_mov_b64_e32 v[8:9], v[10:11]
                                        ; implicit-def: $vgpr10_vgpr11
	s_cmp_lg_u32 vcc_lo, exec_lo
	s_cbranch_scc1 .LBB145_130
; %bb.132:                              ;   in Loop: Header=BB145_131 Depth=1
	v_lshl_add_u64 v[32:33], v[30:31], 4, s[36:37]
	;;#ASMSTART
	global_load_b128 v[10:13], v[32:33] off scope:SCOPE_DEV	
s_wait_loadcnt 0x0
	;;#ASMEND
	v_and_b32_e32 v13, 0xff, v12
	s_mov_b32 s6, exec_lo
	s_delay_alu instid0(VALU_DEP_1)
	v_cmpx_eq_u16_e32 0, v13
	s_cbranch_execz .LBB145_129
; %bb.133:                              ;   in Loop: Header=BB145_131 Depth=1
	s_mov_b32 s7, 0
.LBB145_134:                            ;   Parent Loop BB145_131 Depth=1
                                        ; =>  This Inner Loop Header: Depth=2
	;;#ASMSTART
	global_load_b128 v[10:13], v[32:33] off scope:SCOPE_DEV	
s_wait_loadcnt 0x0
	;;#ASMEND
	v_and_b32_e32 v13, 0xff, v12
	s_delay_alu instid0(VALU_DEP_1) | instskip(SKIP_1) | instid1(SALU_CYCLE_1)
	v_cmp_ne_u16_e32 vcc_lo, 0, v13
	s_or_b32 s7, vcc_lo, s7
	s_and_not1_b32 exec_lo, exec_lo, s7
	s_cbranch_execnz .LBB145_134
	s_branch .LBB145_128
.LBB145_135:
                                        ; implicit-def: $vgpr1
                                        ; implicit-def: $vgpr8
                                        ; implicit-def: $vgpr10
                                        ; implicit-def: $vgpr12
                                        ; implicit-def: $vgpr28
	s_and_b32 vcc_lo, exec_lo, s4
	s_cbranch_vccnz .LBB145_141
	s_branch .LBB145_150
.LBB145_136:
	s_and_saveexec_b32 s6, s3
	s_cbranch_execz .LBB145_138
; %bb.137:
	s_add_co_i32 s8, s27, 32
	s_mov_b32 s9, 0
	v_dual_mov_b32 v12, 2 :: v_dual_mov_b32 v13, 0
	s_lshl_b64 s[8:9], s[8:9], 4
	v_dual_add_nc_u32 v11, v9, v7 :: v_dual_add_nc_u32 v10, v8, v6
	s_add_nc_u64 s[8:9], s[36:37], s[8:9]
	s_delay_alu instid0(SALU_CYCLE_1)
	v_mov_b64_e32 v[30:31], s[8:9]
	;;#ASMSTART
	global_store_b128 v[30:31], v[10:13] off scope:SCOPE_DEV	
s_wait_storecnt 0x0
	;;#ASMEND
	ds_store_b128 v13, v[6:9] offset:13312
.LBB145_138:
	s_or_b32 exec_lo, exec_lo, s6
	s_delay_alu instid0(SALU_CYCLE_1)
	s_and_b32 exec_lo, exec_lo, s2
; %bb.139:
	v_mov_b32_e32 v6, 0
	ds_store_b64 v6, v[8:9] offset:56
.LBB145_140:
	s_or_b32 exec_lo, exec_lo, s4
	s_wait_dscnt 0x0
	v_dual_mov_b32 v6, 0 :: v_dual_cndmask_b32 v1, v1, v29, s3
	s_barrier_signal -1
	s_barrier_wait -1
	ds_load_b64 v[12:13], v6 offset:56
	s_wait_dscnt 0x0
	s_barrier_signal -1
	s_barrier_wait -1
	ds_load_b128 v[6:9], v6 offset:13312
	v_cndmask_b32_e64 v10, v75, v28, s3
	s_delay_alu instid0(VALU_DEP_1) | instskip(SKIP_2) | instid1(VALU_DEP_2)
	v_dual_add_nc_u32 v1, v13, v1 :: v_dual_add_nc_u32 v11, v12, v10
	s_wait_dscnt 0x0
	v_mov_b32_e32 v10, v9
	v_dual_cndmask_b32 v1, v1, v13, s2 :: v_dual_cndmask_b32 v28, v11, v12, s2
	v_mov_b32_e32 v12, v7
	s_branch .LBB145_150
.LBB145_141:
	v_mov_b32_dpp v1, v73 row_shr:1 row_mask:0xf bank_mask:0xf
	v_mov_b32_dpp v6, v74 row_shr:1 row_mask:0xf bank_mask:0xf
	v_cmp_lt_u32_e32 vcc_lo, 3, v70
	s_delay_alu instid0(VALU_DEP_2) | instskip(NEXT) | instid1(VALU_DEP_1)
	v_dual_add_nc_u32 v1, v1, v73 :: v_dual_add_nc_u32 v6, v6, v74
	v_dual_cndmask_b32 v1, v1, v73, s1 :: v_dual_cndmask_b32 v6, v6, v74, s1
	s_mov_b32 s1, exec_lo
	s_delay_alu instid0(VALU_DEP_1) | instskip(NEXT) | instid1(VALU_DEP_2)
	v_mov_b32_dpp v7, v1 row_shr:2 row_mask:0xf bank_mask:0xf
	v_mov_b32_dpp v8, v6 row_shr:2 row_mask:0xf bank_mask:0xf
	s_delay_alu instid0(VALU_DEP_1) | instskip(NEXT) | instid1(VALU_DEP_1)
	v_dual_add_nc_u32 v7, v1, v7 :: v_dual_add_nc_u32 v8, v6, v8
	v_dual_cndmask_b32 v1, v1, v7, s0 :: v_dual_cndmask_b32 v6, v6, v8, s0
	s_delay_alu instid0(VALU_DEP_1) | instskip(NEXT) | instid1(VALU_DEP_2)
	v_mov_b32_dpp v7, v1 row_shr:4 row_mask:0xf bank_mask:0xf
	v_mov_b32_dpp v8, v6 row_shr:4 row_mask:0xf bank_mask:0xf
	s_delay_alu instid0(VALU_DEP_1) | instskip(NEXT) | instid1(VALU_DEP_1)
	v_dual_add_nc_u32 v7, v1, v7 :: v_dual_add_nc_u32 v8, v6, v8
	v_dual_cndmask_b32 v7, v1, v7 :: v_dual_cndmask_b32 v6, v6, v8
	v_cmp_lt_u32_e32 vcc_lo, 7, v70
	s_delay_alu instid0(VALU_DEP_2) | instskip(NEXT) | instid1(VALU_DEP_3)
	v_mov_b32_dpp v1, v7 row_shr:8 row_mask:0xf bank_mask:0xf
	v_mov_b32_dpp v8, v6 row_shr:8 row_mask:0xf bank_mask:0xf
	s_delay_alu instid0(VALU_DEP_1) | instskip(NEXT) | instid1(VALU_DEP_1)
	v_dual_add_nc_u32 v9, v7, v1 :: v_dual_add_nc_u32 v1, v6, v8
	v_cndmask_b32_e32 v1, v6, v1, vcc_lo
	s_delay_alu instid0(VALU_DEP_2)
	v_cndmask_b32_e32 v6, v7, v9, vcc_lo
	v_cmp_eq_u32_e32 vcc_lo, 0, v72
	ds_swizzle_b32 v8, v6 offset:swizzle(BROADCAST,32,15)
	s_wait_dscnt 0x0
	v_add_nc_u32_e32 v8, v6, v8
	ds_swizzle_b32 v7, v1 offset:swizzle(BROADCAST,32,15)
	s_wait_dscnt 0x0
	v_add_nc_u32_e32 v7, v1, v7
	v_cmpx_eq_u32_e64 v0, v71
; %bb.142:
	s_delay_alu instid0(VALU_DEP_2)
	v_dual_cndmask_b32 v10, v8, v6 :: v_dual_cndmask_b32 v11, v7, v1
	v_lshlrev_b32_e32 v9, 3, v69
	ds_store_b64 v9, v[10:11]
; %bb.143:
	s_or_b32 exec_lo, exec_lo, s1
	s_delay_alu instid0(SALU_CYCLE_1)
	s_mov_b32 s1, exec_lo
	s_wait_dscnt 0x0
	s_barrier_signal -1
	s_barrier_wait -1
	v_cmpx_gt_u32_e32 8, v0
	s_cbranch_execz .LBB145_145
; %bb.144:
	v_lshlrev_b32_e32 v9, 3, v0
	ds_load_b64 v[10:11], v9
	s_wait_dscnt 0x0
	v_mov_b32_dpp v12, v10 row_shr:1 row_mask:0xf bank_mask:0xf
	v_mov_b32_dpp v13, v11 row_shr:1 row_mask:0xf bank_mask:0xf
	s_delay_alu instid0(VALU_DEP_2) | instskip(NEXT) | instid1(VALU_DEP_2)
	v_dual_add_nc_u32 v12, v12, v10 :: v_dual_bitop2_b32 v28, 7, v68 bitop3:0x40
	v_add_nc_u32_e32 v13, v13, v11
	s_delay_alu instid0(VALU_DEP_2) | instskip(NEXT) | instid1(VALU_DEP_1)
	v_cmp_eq_u32_e64 s0, 0, v28
	v_dual_cndmask_b32 v11, v13, v11, s0 :: v_dual_cndmask_b32 v10, v12, v10, s0
	v_cmp_lt_u32_e64 s0, 1, v28
	s_delay_alu instid0(VALU_DEP_2) | instskip(NEXT) | instid1(VALU_DEP_3)
	v_mov_b32_dpp v13, v11 row_shr:2 row_mask:0xf bank_mask:0xf
	v_mov_b32_dpp v12, v10 row_shr:2 row_mask:0xf bank_mask:0xf
	s_delay_alu instid0(VALU_DEP_1) | instskip(NEXT) | instid1(VALU_DEP_1)
	v_dual_add_nc_u32 v13, v11, v13 :: v_dual_add_nc_u32 v12, v10, v12
	v_dual_cndmask_b32 v11, v11, v13, s0 :: v_dual_cndmask_b32 v10, v10, v12, s0
	v_cmp_lt_u32_e64 s0, 3, v28
	s_delay_alu instid0(VALU_DEP_2) | instskip(NEXT) | instid1(VALU_DEP_3)
	v_mov_b32_dpp v13, v11 row_shr:4 row_mask:0xf bank_mask:0xf
	v_mov_b32_dpp v12, v10 row_shr:4 row_mask:0xf bank_mask:0xf
	s_delay_alu instid0(VALU_DEP_1) | instskip(NEXT) | instid1(VALU_DEP_1)
	v_dual_cndmask_b32 v13, 0, v13, s0 :: v_dual_cndmask_b32 v12, 0, v12, s0
	v_dual_add_nc_u32 v11, v13, v11 :: v_dual_add_nc_u32 v10, v12, v10
	ds_store_b64 v9, v[10:11]
.LBB145_145:
	s_or_b32 exec_lo, exec_lo, s1
	v_dual_mov_b32 v9, 0 :: v_dual_mov_b32 v10, 0
	v_mov_b32_e32 v11, 0
	s_mov_b32 s1, exec_lo
	s_wait_dscnt 0x0
	s_barrier_signal -1
	s_barrier_wait -1
	v_cmpx_lt_u32_e32 31, v0
; %bb.146:
	v_lshl_add_u32 v10, v69, 3, -8
	ds_load_b64 v[10:11], v10
; %bb.147:
	s_or_b32 exec_lo, exec_lo, s1
	v_sub_co_u32 v12, s0, v68, 1
	v_dual_cndmask_b32 v6, v8, v6 :: v_dual_cndmask_b32 v1, v7, v1
	s_delay_alu instid0(VALU_DEP_2) | instskip(SKIP_1) | instid1(VALU_DEP_1)
	v_cmp_gt_i32_e64 s1, 0, v12
	s_wait_dscnt 0x0
	v_dual_add_nc_u32 v6, v10, v6 :: v_dual_cndmask_b32 v8, v12, v68, s1
	s_delay_alu instid0(VALU_DEP_1)
	v_dual_lshlrev_b32 v7, 2, v8 :: v_dual_add_nc_u32 v8, v11, v1
	ds_bpermute_b32 v1, v7, v6
	ds_bpermute_b32 v12, v7, v8
	ds_load_b64 v[6:7], v9 offset:56
	s_and_saveexec_b32 s1, s2
	s_cbranch_execz .LBB145_149
; %bb.148:
	s_add_nc_u64 s[6:7], s[36:37], 0x200
	v_dual_mov_b32 v8, 2 :: v_dual_mov_b32 v9, 0
	v_mov_b64_e32 v[28:29], s[6:7]
	s_wait_dscnt 0x0
	;;#ASMSTART
	global_store_b128 v[28:29], v[6:9] off scope:SCOPE_DEV	
s_wait_storecnt 0x0
	;;#ASMEND
.LBB145_149:
	s_or_b32 exec_lo, exec_lo, s1
	s_wait_dscnt 0x1
	v_dual_cndmask_b32 v9, v12, v11, s0 :: v_dual_cndmask_b32 v11, v1, v10, s0
	v_dual_mov_b32 v10, 0 :: v_dual_mov_b32 v8, 0
	s_wait_dscnt 0x0
	v_mov_b32_e32 v12, v7
	s_delay_alu instid0(VALU_DEP_3)
	v_cndmask_b32_e64 v1, v9, 0, s2
	v_cndmask_b32_e64 v28, v11, 0, s2
	s_barrier_signal -1
	s_barrier_wait -1
.LBB145_150:
	s_delay_alu instid0(VALU_DEP_1) | instskip(SKIP_2) | instid1(VALU_DEP_3)
	v_dual_add_nc_u32 v74, v1, v67 :: v_dual_add_nc_u32 v75, v28, v66
	v_dual_lshrrev_b32 v72, 16, v42 :: v_dual_lshrrev_b32 v7, 8, v42
	v_dual_lshrrev_b32 v73, 8, v36 :: v_dual_lshrrev_b32 v71, 16, v36
	v_dual_add_nc_u32 v65, v74, v65 :: v_dual_add_nc_u32 v64, v75, v64
	v_dual_mov_b32 v9, 0 :: v_dual_lshlrev_b32 v66, 1, v6
	s_delay_alu instid0(VALU_DEP_2) | instskip(NEXT) | instid1(VALU_DEP_3)
	v_dual_add_nc_u32 v76, v65, v49 :: v_dual_bitop2_b32 v36, 1, v36 bitop3:0x40
	v_add_nc_u32_e32 v63, v64, v63
	v_dual_sub_nc_u32 v28, v28, v8 :: v_dual_sub_nc_u32 v1, v1, v10
	s_delay_alu instid0(VALU_DEP_3) | instskip(NEXT) | instid1(VALU_DEP_3)
	v_dual_add_nc_u32 v62, v76, v62 :: v_dual_bitop2_b32 v77, 1, v7 bitop3:0x40
	v_dual_mov_b32 v7, v9 :: v_dual_add_nc_u32 v78, v63, v48
	v_mov_b32_e32 v11, v9
	s_delay_alu instid0(VALU_DEP_3) | instskip(SKIP_1) | instid1(VALU_DEP_4)
	v_dual_add_nc_u32 v1, v1, v6 :: v_dual_add_nc_u32 v61, v62, v61
	v_add3_u32 v15, v66, v12, v15
	v_add_nc_u32_e32 v60, v78, v60
	s_delay_alu instid0(VALU_DEP_3) | instskip(NEXT) | instid1(VALU_DEP_4)
	v_dual_sub_nc_u32 v74, v74, v10 :: v_dual_add_nc_u32 v81, v28, v1
	v_dual_add_nc_u32 v79, v61, v59 :: v_dual_sub_nc_u32 v75, v75, v8
	s_delay_alu instid0(VALU_DEP_3) | instskip(SKIP_1) | instid1(VALU_DEP_4)
	v_add_nc_u32_e32 v80, v60, v58
	v_cmp_eq_u32_e32 vcc_lo, 1, v77
	v_dual_add_nc_u32 v74, v74, v6 :: v_dual_sub_nc_u32 v64, v64, v8
	s_delay_alu instid0(VALU_DEP_3) | instskip(SKIP_2) | instid1(VALU_DEP_3)
	v_dual_add_nc_u32 v82, v79, v47 :: v_dual_add_nc_u32 v56, v80, v56
	v_dual_sub_nc_u32 v81, v15, v81 :: v_dual_sub_nc_u32 v65, v65, v10
	v_sub_nc_u64_e32 v[58:59], v[4:5], v[6:7]
	v_dual_add_nc_u32 v57, v82, v57 :: v_dual_add_nc_u32 v83, v56, v46
	s_delay_alu instid0(VALU_DEP_3) | instskip(SKIP_1) | instid1(VALU_DEP_3)
	v_dual_cndmask_b32 v1, v81, v1, vcc_lo :: v_dual_add_nc_u32 v81, v74, v75
	v_cmp_eq_u32_e32 vcc_lo, 1, v36
	v_dual_add_nc_u32 v55, v57, v55 :: v_dual_add_nc_u32 v77, v83, v53
	v_and_b32_e32 v72, 1, v72
	v_dual_sub_nc_u32 v63, v63, v8 :: v_dual_bitop2_b32 v49, 1, v49 bitop3:0x40
	s_delay_alu instid0(VALU_DEP_3) | instskip(NEXT) | instid1(VALU_DEP_4)
	v_dual_cndmask_b32 v1, v1, v28 :: v_dual_add_nc_u32 v28, v55, v54
	v_add_nc_u32_e32 v36, v77, v52
	v_add_nc_u32_e32 v54, v65, v6
	v_add_nc_u64_e32 v[52:53], v[58:59], v[10:11]
	s_delay_alu instid0(VALU_DEP_4)
	v_lshlrev_b32_e32 v1, 2, v1
	v_add_nc_u32_e32 v58, v28, v45
	v_dual_add_nc_u32 v51, v36, v51 :: v_dual_sub_nc_u32 v59, v15, v81
	v_add_nc_u32_e32 v65, v54, v64
	ds_store_b32 v1, v26
	v_dual_add_nc_u32 v1, v58, v50 :: v_dual_add_nc_u32 v26, v51, v44
	v_dual_sub_nc_u32 v73, v76, v10 :: v_dual_bitop2_b32 v50, 1, v73 bitop3:0x40
	v_dual_sub_nc_u32 v65, v15, v65 :: v_dual_add_nc_u32 v59, 1, v59
	v_cmp_eq_u32_e32 vcc_lo, 1, v72
	s_delay_alu instid0(VALU_DEP_3) | instskip(NEXT) | instid1(VALU_DEP_3)
	v_dual_add_nc_u32 v73, v73, v6 :: v_dual_bitop2_b32 v71, 1, v71 bitop3:0x40
	v_add_nc_u32_e32 v65, 2, v65
	v_dual_lshrrev_b32 v70, 8, v37 :: v_dual_lshrrev_b32 v69, 16, v37
	v_cndmask_b32_e32 v59, v59, v74, vcc_lo
	v_cmp_eq_u32_e32 vcc_lo, 1, v49
	v_dual_add_nc_u32 v72, v63, v73 :: v_dual_lshrrev_b32 v33, 16, v38
	v_dual_lshrrev_b32 v68, 8, v38 :: v_dual_lshrrev_b32 v31, 16, v40
	v_dual_cndmask_b32 v49, v65, v54 :: v_dual_lshrrev_b32 v32, 8, v40
	v_cmp_eq_u32_e32 vcc_lo, 1, v50
	s_delay_alu instid0(VALU_DEP_4)
	v_dual_sub_nc_u32 v54, v15, v72 :: v_dual_lshrrev_b32 v30, 8, v41
	v_dual_lshrrev_b32 v29, 16, v41 :: v_dual_sub_nc_u32 v1, v1, v10
	v_cndmask_b32_e32 v50, v59, v75, vcc_lo
	v_cmp_eq_u32_e32 vcc_lo, 1, v71
	v_dual_sub_nc_u32 v59, v62, v10 :: v_dual_bitop2_b32 v37, 1, v37 bitop3:0x40
	v_dual_add_nc_u32 v54, 3, v54 :: v_dual_bitop2_b32 v48, 1, v48 bitop3:0x40
	v_cndmask_b32_e32 v49, v49, v64, vcc_lo
	v_dual_sub_nc_u32 v62, v78, v8 :: v_dual_lshlrev_b32 v50, 2, v50
	s_delay_alu instid0(VALU_DEP_4) | instskip(SKIP_1) | instid1(VALU_DEP_4)
	v_add_nc_u32_e32 v59, v59, v6
	v_cmp_eq_u32_e32 vcc_lo, 1, v37
	v_lshlrev_b32_e32 v49, 2, v49
	v_add_nc_u64_e32 v[2:3], v[2:3], v[8:9]
	ds_store_b32 v50, v27
	v_dual_sub_nc_u32 v27, v61, v10 :: v_dual_cndmask_b32 v37, v54, v73, vcc_lo
	v_add_nc_u32_e32 v54, v62, v59
	v_cmp_eq_u32_e32 vcc_lo, 1, v48
	ds_store_b32 v49, v24
	v_dual_sub_nc_u32 v48, v60, v8 :: v_dual_sub_nc_u32 v50, v79, v10
	v_dual_cndmask_b32 v37, v37, v63 :: v_dual_sub_nc_u32 v24, v15, v54
	v_dual_add_nc_u32 v27, v27, v6 :: v_dual_mov_b32 v67, v9
	s_delay_alu instid0(VALU_DEP_2) | instskip(NEXT) | instid1(VALU_DEP_3)
	v_dual_mov_b32 v13, v9 :: v_dual_add_nc_u32 v24, 4, v24
	v_dual_lshlrev_b32 v37, 2, v37 :: v_dual_bitop2_b32 v49, 1, v70 bitop3:0x40
	s_delay_alu instid0(VALU_DEP_3)
	v_add_nc_u32_e32 v54, v48, v27
	s_mov_b32 s0, -1
	v_and_b32_e32 v40, 1, v40
	ds_store_b32 v37, v25
	v_cmp_eq_u32_e32 vcc_lo, 1, v49
	v_dual_sub_nc_u32 v49, v80, v8 :: v_dual_bitop2_b32 v38, 1, v38 bitop3:0x40
	v_dual_add_nc_u32 v50, v50, v6 :: v_dual_bitop2_b32 v37, 1, v69 bitop3:0x40
	v_cndmask_b32_e32 v24, v24, v59, vcc_lo
	s_delay_alu instid0(VALU_DEP_3) | instskip(SKIP_1) | instid1(VALU_DEP_3)
	v_cmp_eq_u32_e32 vcc_lo, 1, v38
	v_and_b32_e32 v32, 1, v32
	v_dual_cndmask_b32 v24, v24, v62, vcc_lo :: v_dual_bitop2_b32 v31, 1, v31 bitop3:0x40
	v_sub_nc_u32_e32 v54, v15, v54
	v_cmp_eq_u32_e32 vcc_lo, 1, v37
	s_delay_alu instid0(VALU_DEP_3) | instskip(NEXT) | instid1(VALU_DEP_3)
	v_dual_sub_nc_u32 v37, v57, v10 :: v_dual_lshlrev_b32 v24, 2, v24
	v_add_nc_u32_e32 v38, 5, v54
	v_dual_add_nc_u32 v25, v49, v50 :: v_dual_bitop2_b32 v54, 1, v68 bitop3:0x40
	ds_store_b32 v24, v22
	v_dual_cndmask_b32 v27, v38, v27, vcc_lo :: v_dual_sub_nc_u32 v25, v15, v25
	v_and_b32_e32 v22, 1, v47
	v_cmp_eq_u32_e32 vcc_lo, 1, v54
	v_dual_sub_nc_u32 v38, v55, v10 :: v_dual_sub_nc_u32 v47, v77, v8
	s_delay_alu instid0(VALU_DEP_4) | instskip(SKIP_3) | instid1(VALU_DEP_3)
	v_dual_cndmask_b32 v25, v27, v48 :: v_dual_add_nc_u32 v24, 6, v25
	v_sub_nc_u32_e32 v27, v82, v10
	v_cmp_eq_u32_e32 vcc_lo, 1, v22
	v_and_b32_e32 v33, 1, v33
	v_dual_lshlrev_b32 v25, 2, v25 :: v_dual_add_nc_u32 v27, v27, v6
	v_cndmask_b32_e32 v22, v24, v50, vcc_lo
	v_sub_nc_u32_e32 v24, v56, v8
	s_delay_alu instid0(VALU_DEP_4)
	v_cmp_eq_u32_e32 vcc_lo, 1, v33
	ds_store_b32 v25, v23
	v_dual_sub_nc_u32 v23, v83, v8 :: v_dual_add_nc_u32 v25, v37, v6
	v_dual_cndmask_b32 v22, v22, v49 :: v_dual_add_nc_u32 v33, v24, v27
	v_and_b32_e32 v37, 1, v46
	v_cmp_eq_u32_e32 vcc_lo, 1, v40
	s_delay_alu instid0(VALU_DEP_4) | instskip(NEXT) | instid1(VALU_DEP_4)
	v_add_nc_u32_e32 v46, v23, v25
	v_dual_sub_nc_u32 v33, v15, v33 :: v_dual_lshlrev_b32 v22, 2, v22
	s_delay_alu instid0(VALU_DEP_1)
	v_dual_sub_nc_u32 v46, v15, v46 :: v_dual_add_nc_u32 v33, 7, v33
	v_add_nc_u32_e32 v38, v38, v6
	ds_store_b32 v22, v20
	v_dual_cndmask_b32 v27, v33, v27, vcc_lo :: v_dual_bitop2_b32 v22, 1, v45 bitop3:0x40
	v_cmp_eq_u32_e32 vcc_lo, 1, v37
	v_add_nc_u32_e32 v33, v47, v38
	s_delay_alu instid0(VALU_DEP_3) | instskip(SKIP_2) | instid1(VALU_DEP_3)
	v_dual_add_nc_u32 v40, 8, v46 :: v_dual_cndmask_b32 v24, v27, v24, vcc_lo
	v_and_b32_e32 v27, 1, v41
	v_cmp_eq_u32_e32 vcc_lo, 1, v32
	v_dual_sub_nc_u32 v33, v15, v33 :: v_dual_lshlrev_b32 v24, 2, v24
	s_delay_alu instid0(VALU_DEP_4) | instskip(NEXT) | instid1(VALU_DEP_4)
	v_cndmask_b32_e32 v25, v40, v25, vcc_lo
	v_cmp_eq_u32_e32 vcc_lo, 1, v27
	s_delay_alu instid0(VALU_DEP_3) | instskip(NEXT) | instid1(VALU_DEP_3)
	v_dual_add_nc_u32 v32, 9, v33 :: v_dual_bitop2_b32 v27, 1, v30 bitop3:0x40
	v_dual_cndmask_b32 v23, v25, v23 :: v_dual_sub_nc_u32 v30, v36, v8
	v_sub_nc_u32_e32 v25, v28, v10
	v_cmp_eq_u32_e32 vcc_lo, 1, v31
	s_delay_alu instid0(VALU_DEP_2)
	v_dual_lshlrev_b32 v23, 2, v23 :: v_dual_add_nc_u32 v25, v25, v6
	v_cndmask_b32_e32 v28, v32, v38, vcc_lo
	v_cmp_eq_u32_e32 vcc_lo, 1, v27
	ds_store_b32 v24, v21
	ds_store_b32 v23, v18
	v_sub_nc_u32_e32 v21, v58, v10
	v_dual_add_nc_u32 v20, v30, v25 :: v_dual_sub_nc_u32 v23, v51, v8
	v_dual_cndmask_b32 v27, v28, v47 :: v_dual_sub_nc_u32 v8, v26, v8
	s_delay_alu instid0(VALU_DEP_2) | instskip(NEXT) | instid1(VALU_DEP_2)
	v_dual_add_nc_u32 v1, v1, v6 :: v_dual_sub_nc_u32 v20, v15, v20
	v_dual_add_nc_u32 v21, v21, v6 :: v_dual_lshlrev_b32 v18, 2, v27
	v_cmp_eq_u32_e32 vcc_lo, 1, v22
	s_delay_alu instid0(VALU_DEP_3) | instskip(SKIP_3) | instid1(VALU_DEP_1)
	v_dual_add_nc_u32 v22, v8, v1 :: v_dual_add_nc_u32 v20, 10, v20
	ds_store_b32 v18, v19
	v_cndmask_b32_e32 v20, v20, v25, vcc_lo
	v_add_nc_u32_e32 v26, v23, v21
	v_dual_sub_nc_u32 v18, v15, v26 :: v_dual_bitop2_b32 v24, 1, v29 bitop3:0x40
	s_delay_alu instid0(VALU_DEP_1) | instskip(SKIP_1) | instid1(VALU_DEP_3)
	v_cmp_eq_u32_e32 vcc_lo, 1, v24
	v_dual_sub_nc_u32 v15, v15, v22 :: v_dual_bitop2_b32 v24, 1, v39 bitop3:0x40
	v_dual_add_nc_u32 v25, 11, v18 :: v_dual_bitop2_b32 v22, 1, v44 bitop3:0x40
	v_cndmask_b32_e32 v20, v20, v30, vcc_lo
	s_delay_alu instid0(VALU_DEP_3) | instskip(SKIP_4) | instid1(VALU_DEP_4)
	v_cmp_eq_u32_e32 vcc_lo, 1, v24
	v_and_b32_e32 v26, 1, v43
	v_dual_add_nc_u32 v15, 12, v15 :: v_dual_bitop2_b32 v24, 1, v42 bitop3:0x40
	v_add_nc_u64_e32 v[18:19], v[12:13], v[66:67]
	v_cndmask_b32_e32 v21, v25, v21, vcc_lo
	v_cmp_eq_u32_e32 vcc_lo, 1, v26
	s_delay_alu instid0(VALU_DEP_4)
	v_dual_cndmask_b32 v1, v15, v1 :: v_dual_lshlrev_b32 v20, 2, v20
	v_cmp_eq_u32_e32 vcc_lo, 1, v22
	v_add_nc_u64_e32 v[18:19], v[18:19], v[52:53]
	v_mov_b32_e32 v15, v9
	ds_store_b32 v20, v16
	v_cndmask_b32_e32 v21, v21, v23, vcc_lo
	v_cmp_eq_u32_e32 vcc_lo, 1, v24
	s_delay_alu instid0(VALU_DEP_2)
	v_dual_cndmask_b32 v1, v1, v8 :: v_dual_lshlrev_b32 v22, 2, v21
	v_add_nc_u64_e32 v[8:9], s[34:35], v[14:15]
	v_add_nc_u64_e32 v[14:15], v[18:19], v[2:3]
	v_lshlrev_b64_e32 v[18:19], 2, v[52:53]
	v_lshlrev_b64_e32 v[20:21], 2, v[2:3]
	v_lshlrev_b32_e32 v1, 2, v1
	v_cmp_ne_u32_e32 vcc_lo, 1, v35
	v_sub_nc_u64_e32 v[14:15], v[8:9], v[14:15]
	v_add_nc_u64_e32 v[8:9], s[30:31], v[18:19]
	v_add_nc_u32_e32 v18, v6, v12
	ds_store_b32 v22, v17
	ds_store_b32 v1, v34
	v_add_nc_u64_e32 v[16:17], s[28:29], v[20:21]
	s_wait_dscnt 0x0
	s_barrier_signal -1
	s_barrier_wait -1
	s_cbranch_vccz .LBB145_154
; %bb.151:
	s_and_b32 vcc_lo, exec_lo, s0
	s_cbranch_vccnz .LBB145_259
.LBB145_152:
	s_and_b32 s0, s2, s26
	s_delay_alu instid0(SALU_CYCLE_1)
	s_and_saveexec_b32 s1, s0
	s_cbranch_execnz .LBB145_377
.LBB145_153:
	s_sendmsg sendmsg(MSG_DEALLOC_VGPRS)
	s_endpgm
.LBB145_154:
	s_mov_b32 s0, exec_lo
	v_cmpx_ge_u32_e64 v0, v6
	s_xor_b32 s0, exec_lo, s0
	s_cbranch_execz .LBB145_160
; %bb.155:
	v_mov_b32_e32 v1, 0
	s_mov_b32 s1, exec_lo
	v_cmpx_ge_u32_e64 v0, v18
	s_xor_b32 s1, exec_lo, s1
	s_cbranch_execz .LBB145_157
; %bb.156:
	v_lshlrev_b32_e32 v19, 2, v0
	v_add_nc_u64_e32 v[20:21], v[14:15], v[0:1]
	ds_load_b32 v1, v19
	v_lshlrev_b64_e32 v[20:21], 2, v[20:21]
	s_delay_alu instid0(VALU_DEP_1)
	v_sub_nc_u64_e32 v[20:21], s[14:15], v[20:21]
	s_wait_dscnt 0x0
	global_store_b32 v[20:21], v1, off offset:-4
.LBB145_157:
	s_wait_xcnt 0x0
	s_and_not1_saveexec_b32 s1, s1
	s_cbranch_execz .LBB145_159
; %bb.158:
	v_lshlrev_b32_e32 v1, 2, v0
	v_readfirstlane_b32 s6, v8
	v_readfirstlane_b32 s7, v9
	ds_load_b32 v1, v1
	s_wait_dscnt 0x0
	global_store_b32 v0, v1, s[6:7] scale_offset
.LBB145_159:
	s_wait_xcnt 0x0
	s_or_b32 exec_lo, exec_lo, s1
.LBB145_160:
	s_and_not1_saveexec_b32 s0, s0
	s_cbranch_execz .LBB145_162
; %bb.161:
	v_lshlrev_b32_e32 v1, 2, v0
	v_readfirstlane_b32 s6, v16
	v_readfirstlane_b32 s7, v17
	ds_load_b32 v1, v1
	s_wait_dscnt 0x0
	global_store_b32 v0, v1, s[6:7] scale_offset
.LBB145_162:
	s_wait_xcnt 0x0
	s_or_b32 exec_lo, exec_lo, s0
	v_or_b32_e32 v1, 0x100, v0
	s_mov_b32 s0, exec_lo
	s_delay_alu instid0(VALU_DEP_1)
	v_cmpx_ge_u32_e64 v1, v6
	s_xor_b32 s0, exec_lo, s0
	s_cbranch_execz .LBB145_168
; %bb.163:
	s_mov_b32 s1, exec_lo
	v_cmpx_ge_u32_e64 v1, v18
	s_xor_b32 s1, exec_lo, s1
	s_cbranch_execz .LBB145_165
; %bb.164:
	v_dual_mov_b32 v1, 0 :: v_dual_lshlrev_b32 v19, 2, v0
	s_delay_alu instid0(VALU_DEP_1) | instskip(SKIP_2) | instid1(VALU_DEP_1)
	v_add_nc_u64_e32 v[20:21], v[14:15], v[0:1]
	ds_load_b32 v1, v19 offset:1024
	v_lshlrev_b64_e32 v[20:21], 2, v[20:21]
	v_sub_nc_u64_e32 v[20:21], s[14:15], v[20:21]
	s_wait_dscnt 0x0
	global_store_b32 v[20:21], v1, off offset:-1028
.LBB145_165:
	s_wait_xcnt 0x0
	s_and_not1_saveexec_b32 s1, s1
	s_cbranch_execz .LBB145_167
; %bb.166:
	v_lshlrev_b32_e32 v1, 2, v0
	v_readfirstlane_b32 s6, v8
	v_readfirstlane_b32 s7, v9
	ds_load_b32 v1, v1 offset:1024
	s_wait_dscnt 0x0
	global_store_b32 v0, v1, s[6:7] offset:1024 scale_offset
.LBB145_167:
	s_wait_xcnt 0x0
	s_or_b32 exec_lo, exec_lo, s1
.LBB145_168:
	s_and_not1_saveexec_b32 s0, s0
	s_cbranch_execz .LBB145_170
; %bb.169:
	v_lshlrev_b32_e32 v1, 2, v0
	v_readfirstlane_b32 s6, v16
	v_readfirstlane_b32 s7, v17
	ds_load_b32 v1, v1 offset:1024
	s_wait_dscnt 0x0
	global_store_b32 v0, v1, s[6:7] offset:1024 scale_offset
.LBB145_170:
	s_wait_xcnt 0x0
	s_or_b32 exec_lo, exec_lo, s0
	v_or_b32_e32 v1, 0x200, v0
	s_mov_b32 s0, exec_lo
	s_delay_alu instid0(VALU_DEP_1)
	v_cmpx_ge_u32_e64 v1, v6
	s_xor_b32 s0, exec_lo, s0
	s_cbranch_execz .LBB145_176
; %bb.171:
	s_mov_b32 s1, exec_lo
	v_cmpx_ge_u32_e64 v1, v18
	s_xor_b32 s1, exec_lo, s1
	s_cbranch_execz .LBB145_173
; %bb.172:
	v_dual_mov_b32 v1, 0 :: v_dual_lshlrev_b32 v19, 2, v0
	s_delay_alu instid0(VALU_DEP_1) | instskip(SKIP_2) | instid1(VALU_DEP_1)
	v_add_nc_u64_e32 v[20:21], v[14:15], v[0:1]
	ds_load_b32 v1, v19 offset:2048
	v_lshlrev_b64_e32 v[20:21], 2, v[20:21]
	v_sub_nc_u64_e32 v[20:21], s[14:15], v[20:21]
	s_wait_dscnt 0x0
	global_store_b32 v[20:21], v1, off offset:-2052
.LBB145_173:
	s_wait_xcnt 0x0
	s_and_not1_saveexec_b32 s1, s1
	s_cbranch_execz .LBB145_175
; %bb.174:
	v_lshlrev_b32_e32 v1, 2, v0
	v_readfirstlane_b32 s6, v8
	v_readfirstlane_b32 s7, v9
	ds_load_b32 v1, v1 offset:2048
	s_wait_dscnt 0x0
	global_store_b32 v0, v1, s[6:7] offset:2048 scale_offset
.LBB145_175:
	s_wait_xcnt 0x0
	s_or_b32 exec_lo, exec_lo, s1
.LBB145_176:
	s_and_not1_saveexec_b32 s0, s0
	s_cbranch_execz .LBB145_178
; %bb.177:
	v_lshlrev_b32_e32 v1, 2, v0
	v_readfirstlane_b32 s6, v16
	v_readfirstlane_b32 s7, v17
	ds_load_b32 v1, v1 offset:2048
	s_wait_dscnt 0x0
	global_store_b32 v0, v1, s[6:7] offset:2048 scale_offset
.LBB145_178:
	;; [unrolled: 47-line block ×12, first 2 shown]
	s_wait_xcnt 0x0
	s_or_b32 exec_lo, exec_lo, s0
	s_branch .LBB145_152
.LBB145_259:
	s_mov_b32 s0, exec_lo
	v_cmpx_gt_u32_e64 s5, v0
	s_cbranch_execz .LBB145_268
; %bb.260:
	s_mov_b32 s1, exec_lo
	v_cmpx_ge_u32_e64 v0, v6
	s_xor_b32 s1, exec_lo, s1
	s_cbranch_execz .LBB145_266
; %bb.261:
	v_mov_b32_e32 v1, 0
	s_mov_b32 s3, exec_lo
	v_cmpx_ge_u32_e64 v0, v18
	s_xor_b32 s3, exec_lo, s3
	s_cbranch_execz .LBB145_263
; %bb.262:
	v_lshlrev_b32_e32 v19, 2, v0
	v_add_nc_u64_e32 v[20:21], v[14:15], v[0:1]
	ds_load_b32 v1, v19
	v_lshlrev_b64_e32 v[20:21], 2, v[20:21]
	s_delay_alu instid0(VALU_DEP_1)
	v_sub_nc_u64_e32 v[20:21], s[14:15], v[20:21]
	s_wait_dscnt 0x0
	global_store_b32 v[20:21], v1, off offset:-4
.LBB145_263:
	s_wait_xcnt 0x0
	s_and_not1_saveexec_b32 s3, s3
	s_cbranch_execz .LBB145_265
; %bb.264:
	v_lshlrev_b32_e32 v1, 2, v0
	v_readfirstlane_b32 s6, v8
	v_readfirstlane_b32 s7, v9
	ds_load_b32 v1, v1
	s_wait_dscnt 0x0
	global_store_b32 v0, v1, s[6:7] scale_offset
.LBB145_265:
	s_wait_xcnt 0x0
	s_or_b32 exec_lo, exec_lo, s3
.LBB145_266:
	s_and_not1_saveexec_b32 s1, s1
	s_cbranch_execz .LBB145_268
; %bb.267:
	v_lshlrev_b32_e32 v1, 2, v0
	v_readfirstlane_b32 s6, v16
	v_readfirstlane_b32 s7, v17
	ds_load_b32 v1, v1
	s_wait_dscnt 0x0
	global_store_b32 v0, v1, s[6:7] scale_offset
.LBB145_268:
	s_wait_xcnt 0x0
	s_or_b32 exec_lo, exec_lo, s0
	v_or_b32_e32 v1, 0x100, v0
	s_mov_b32 s0, exec_lo
	s_delay_alu instid0(VALU_DEP_1)
	v_cmpx_gt_u32_e64 s5, v1
	s_cbranch_execz .LBB145_277
; %bb.269:
	s_mov_b32 s1, exec_lo
	v_cmpx_ge_u32_e64 v1, v6
	s_xor_b32 s1, exec_lo, s1
	s_cbranch_execz .LBB145_275
; %bb.270:
	s_mov_b32 s3, exec_lo
	v_cmpx_ge_u32_e64 v1, v18
	s_xor_b32 s3, exec_lo, s3
	s_cbranch_execz .LBB145_272
; %bb.271:
	v_dual_mov_b32 v1, 0 :: v_dual_lshlrev_b32 v19, 2, v0
	s_delay_alu instid0(VALU_DEP_1) | instskip(SKIP_2) | instid1(VALU_DEP_1)
	v_add_nc_u64_e32 v[20:21], v[14:15], v[0:1]
	ds_load_b32 v1, v19 offset:1024
	v_lshlrev_b64_e32 v[20:21], 2, v[20:21]
	v_sub_nc_u64_e32 v[20:21], s[14:15], v[20:21]
	s_wait_dscnt 0x0
	global_store_b32 v[20:21], v1, off offset:-1028
.LBB145_272:
	s_wait_xcnt 0x0
	s_and_not1_saveexec_b32 s3, s3
	s_cbranch_execz .LBB145_274
; %bb.273:
	v_lshlrev_b32_e32 v1, 2, v0
	v_readfirstlane_b32 s6, v8
	v_readfirstlane_b32 s7, v9
	ds_load_b32 v1, v1 offset:1024
	s_wait_dscnt 0x0
	global_store_b32 v0, v1, s[6:7] offset:1024 scale_offset
.LBB145_274:
	s_wait_xcnt 0x0
	s_or_b32 exec_lo, exec_lo, s3
.LBB145_275:
	s_and_not1_saveexec_b32 s1, s1
	s_cbranch_execz .LBB145_277
; %bb.276:
	v_lshlrev_b32_e32 v1, 2, v0
	v_readfirstlane_b32 s6, v16
	v_readfirstlane_b32 s7, v17
	ds_load_b32 v1, v1 offset:1024
	s_wait_dscnt 0x0
	global_store_b32 v0, v1, s[6:7] offset:1024 scale_offset
.LBB145_277:
	s_wait_xcnt 0x0
	s_or_b32 exec_lo, exec_lo, s0
	v_or_b32_e32 v1, 0x200, v0
	s_mov_b32 s0, exec_lo
	s_delay_alu instid0(VALU_DEP_1)
	v_cmpx_gt_u32_e64 s5, v1
	s_cbranch_execz .LBB145_286
; %bb.278:
	s_mov_b32 s1, exec_lo
	v_cmpx_ge_u32_e64 v1, v6
	s_xor_b32 s1, exec_lo, s1
	s_cbranch_execz .LBB145_284
; %bb.279:
	s_mov_b32 s3, exec_lo
	v_cmpx_ge_u32_e64 v1, v18
	s_xor_b32 s3, exec_lo, s3
	s_cbranch_execz .LBB145_281
; %bb.280:
	v_dual_mov_b32 v1, 0 :: v_dual_lshlrev_b32 v19, 2, v0
	s_delay_alu instid0(VALU_DEP_1) | instskip(SKIP_2) | instid1(VALU_DEP_1)
	v_add_nc_u64_e32 v[20:21], v[14:15], v[0:1]
	ds_load_b32 v1, v19 offset:2048
	v_lshlrev_b64_e32 v[20:21], 2, v[20:21]
	v_sub_nc_u64_e32 v[20:21], s[14:15], v[20:21]
	s_wait_dscnt 0x0
	global_store_b32 v[20:21], v1, off offset:-2052
.LBB145_281:
	s_wait_xcnt 0x0
	s_and_not1_saveexec_b32 s3, s3
	s_cbranch_execz .LBB145_283
; %bb.282:
	v_lshlrev_b32_e32 v1, 2, v0
	v_readfirstlane_b32 s6, v8
	v_readfirstlane_b32 s7, v9
	ds_load_b32 v1, v1 offset:2048
	s_wait_dscnt 0x0
	global_store_b32 v0, v1, s[6:7] offset:2048 scale_offset
.LBB145_283:
	s_wait_xcnt 0x0
	s_or_b32 exec_lo, exec_lo, s3
.LBB145_284:
	s_and_not1_saveexec_b32 s1, s1
	s_cbranch_execz .LBB145_286
; %bb.285:
	v_lshlrev_b32_e32 v1, 2, v0
	v_readfirstlane_b32 s6, v16
	v_readfirstlane_b32 s7, v17
	ds_load_b32 v1, v1 offset:2048
	s_wait_dscnt 0x0
	global_store_b32 v0, v1, s[6:7] offset:2048 scale_offset
.LBB145_286:
	;; [unrolled: 51-line block ×11, first 2 shown]
	s_wait_xcnt 0x0
	s_or_b32 exec_lo, exec_lo, s0
	v_or_b32_e32 v1, 0xc00, v0
	s_mov_b32 s0, exec_lo
	s_delay_alu instid0(VALU_DEP_1)
	v_cmpx_gt_u32_e64 s5, v1
	s_cbranch_execz .LBB145_376
; %bb.368:
	s_mov_b32 s1, exec_lo
	v_cmpx_ge_u32_e64 v1, v6
	s_xor_b32 s1, exec_lo, s1
	s_cbranch_execz .LBB145_374
; %bb.369:
	s_mov_b32 s3, exec_lo
	v_cmpx_ge_u32_e64 v1, v18
	s_xor_b32 s3, exec_lo, s3
	s_cbranch_execz .LBB145_371
; %bb.370:
	v_dual_mov_b32 v1, 0 :: v_dual_lshlrev_b32 v8, 2, v0
	s_delay_alu instid0(VALU_DEP_1) | instskip(SKIP_2) | instid1(VALU_DEP_1)
	v_add_nc_u64_e32 v[0:1], v[14:15], v[0:1]
	ds_load_b32 v8, v8 offset:12288
	v_lshlrev_b64_e32 v[0:1], 2, v[0:1]
	v_sub_nc_u64_e32 v[0:1], s[14:15], v[0:1]
	s_wait_dscnt 0x0
	global_store_b32 v[0:1], v8, off offset:-12292
                                        ; implicit-def: $vgpr0
                                        ; implicit-def: $vgpr8_vgpr9
.LBB145_371:
	s_wait_xcnt 0x0
	s_and_not1_saveexec_b32 s3, s3
	s_cbranch_execz .LBB145_373
; %bb.372:
	v_lshlrev_b32_e32 v1, 2, v0
	v_readfirstlane_b32 s4, v8
	v_readfirstlane_b32 s5, v9
	ds_load_b32 v1, v1 offset:12288
	s_wait_dscnt 0x0
	global_store_b32 v0, v1, s[4:5] offset:12288 scale_offset
.LBB145_373:
	s_wait_xcnt 0x0
	s_or_b32 exec_lo, exec_lo, s3
                                        ; implicit-def: $vgpr0
                                        ; implicit-def: $vgpr16_vgpr17
.LBB145_374:
	s_and_not1_saveexec_b32 s1, s1
	s_cbranch_execz .LBB145_376
; %bb.375:
	v_lshlrev_b32_e32 v1, 2, v0
	v_readfirstlane_b32 s4, v16
	v_readfirstlane_b32 s5, v17
	ds_load_b32 v1, v1 offset:12288
	s_wait_dscnt 0x0
	global_store_b32 v0, v1, s[4:5] offset:12288 scale_offset
.LBB145_376:
	s_wait_xcnt 0x0
	s_or_b32 exec_lo, exec_lo, s0
	s_and_b32 s0, s2, s26
	s_delay_alu instid0(SALU_CYCLE_1)
	s_and_saveexec_b32 s1, s0
	s_cbranch_execz .LBB145_153
.LBB145_377:
	v_add_nc_u64_e32 v[0:1], v[4:5], v[12:13]
	v_add_nc_u64_e32 v[2:3], v[2:3], v[6:7]
	s_delay_alu instid0(VALU_DEP_2)
	v_add_nc_u64_e32 v[4:5], v[0:1], v[10:11]
	v_mov_b32_e32 v0, 0
	global_store_b128 v0, v[2:5], s[24:25]
	s_sendmsg sendmsg(MSG_DEALLOC_VGPRS)
	s_endpgm
	.section	.rodata,"a",@progbits
	.p2align	6, 0x0
	.amdhsa_kernel _ZN7rocprim17ROCPRIM_400000_NS6detail17trampoline_kernelINS0_13select_configILj256ELj13ELNS0_17block_load_methodE3ELS4_3ELS4_3ELNS0_20block_scan_algorithmE0ELj4294967295EEENS1_25partition_config_selectorILNS1_17partition_subalgoE4EjNS0_10empty_typeEbEEZZNS1_14partition_implILS8_4ELb0ES6_15HIP_vector_typeIjLj2EENS0_17counting_iteratorIjlEEPS9_SG_NS0_5tupleIJPjSI_NS0_16reverse_iteratorISI_EEEEENSH_IJSG_SG_SG_EEES9_SI_JZNS1_25segmented_radix_sort_implINS0_14default_configELb0EPKhPhPKlPlN2at6native12_GLOBAL__N_18offset_tEEE10hipError_tPvRmT1_PNSt15iterator_traitsIS12_E10value_typeET2_T3_PNS13_IS18_E10value_typeET4_jRbjT5_S1E_jjP12ihipStream_tbEUljE_ZNSN_ISO_Lb0ESQ_SR_ST_SU_SY_EESZ_S10_S11_S12_S16_S17_S18_S1B_S1C_jS1D_jS1E_S1E_jjS1G_bEUljE0_EEESZ_S10_S11_S18_S1C_S1E_T6_T7_T9_mT8_S1G_bDpT10_ENKUlT_T0_E_clISt17integral_constantIbLb0EES1T_IbLb1EEEEDaS1P_S1Q_EUlS1P_E_NS1_11comp_targetILNS1_3genE0ELNS1_11target_archE4294967295ELNS1_3gpuE0ELNS1_3repE0EEENS1_30default_config_static_selectorELNS0_4arch9wavefront6targetE0EEEvS12_
		.amdhsa_group_segment_fixed_size 13328
		.amdhsa_private_segment_fixed_size 0
		.amdhsa_kernarg_size 184
		.amdhsa_user_sgpr_count 2
		.amdhsa_user_sgpr_dispatch_ptr 0
		.amdhsa_user_sgpr_queue_ptr 0
		.amdhsa_user_sgpr_kernarg_segment_ptr 1
		.amdhsa_user_sgpr_dispatch_id 0
		.amdhsa_user_sgpr_kernarg_preload_length 0
		.amdhsa_user_sgpr_kernarg_preload_offset 0
		.amdhsa_user_sgpr_private_segment_size 0
		.amdhsa_wavefront_size32 1
		.amdhsa_uses_dynamic_stack 0
		.amdhsa_enable_private_segment 0
		.amdhsa_system_sgpr_workgroup_id_x 1
		.amdhsa_system_sgpr_workgroup_id_y 0
		.amdhsa_system_sgpr_workgroup_id_z 0
		.amdhsa_system_sgpr_workgroup_info 0
		.amdhsa_system_vgpr_workitem_id 0
		.amdhsa_next_free_vgpr 86
		.amdhsa_next_free_sgpr 55
		.amdhsa_named_barrier_count 0
		.amdhsa_reserve_vcc 1
		.amdhsa_float_round_mode_32 0
		.amdhsa_float_round_mode_16_64 0
		.amdhsa_float_denorm_mode_32 3
		.amdhsa_float_denorm_mode_16_64 3
		.amdhsa_fp16_overflow 0
		.amdhsa_memory_ordered 1
		.amdhsa_forward_progress 1
		.amdhsa_inst_pref_size 140
		.amdhsa_round_robin_scheduling 0
		.amdhsa_exception_fp_ieee_invalid_op 0
		.amdhsa_exception_fp_denorm_src 0
		.amdhsa_exception_fp_ieee_div_zero 0
		.amdhsa_exception_fp_ieee_overflow 0
		.amdhsa_exception_fp_ieee_underflow 0
		.amdhsa_exception_fp_ieee_inexact 0
		.amdhsa_exception_int_div_zero 0
	.end_amdhsa_kernel
	.section	.text._ZN7rocprim17ROCPRIM_400000_NS6detail17trampoline_kernelINS0_13select_configILj256ELj13ELNS0_17block_load_methodE3ELS4_3ELS4_3ELNS0_20block_scan_algorithmE0ELj4294967295EEENS1_25partition_config_selectorILNS1_17partition_subalgoE4EjNS0_10empty_typeEbEEZZNS1_14partition_implILS8_4ELb0ES6_15HIP_vector_typeIjLj2EENS0_17counting_iteratorIjlEEPS9_SG_NS0_5tupleIJPjSI_NS0_16reverse_iteratorISI_EEEEENSH_IJSG_SG_SG_EEES9_SI_JZNS1_25segmented_radix_sort_implINS0_14default_configELb0EPKhPhPKlPlN2at6native12_GLOBAL__N_18offset_tEEE10hipError_tPvRmT1_PNSt15iterator_traitsIS12_E10value_typeET2_T3_PNS13_IS18_E10value_typeET4_jRbjT5_S1E_jjP12ihipStream_tbEUljE_ZNSN_ISO_Lb0ESQ_SR_ST_SU_SY_EESZ_S10_S11_S12_S16_S17_S18_S1B_S1C_jS1D_jS1E_S1E_jjS1G_bEUljE0_EEESZ_S10_S11_S18_S1C_S1E_T6_T7_T9_mT8_S1G_bDpT10_ENKUlT_T0_E_clISt17integral_constantIbLb0EES1T_IbLb1EEEEDaS1P_S1Q_EUlS1P_E_NS1_11comp_targetILNS1_3genE0ELNS1_11target_archE4294967295ELNS1_3gpuE0ELNS1_3repE0EEENS1_30default_config_static_selectorELNS0_4arch9wavefront6targetE0EEEvS12_,"axG",@progbits,_ZN7rocprim17ROCPRIM_400000_NS6detail17trampoline_kernelINS0_13select_configILj256ELj13ELNS0_17block_load_methodE3ELS4_3ELS4_3ELNS0_20block_scan_algorithmE0ELj4294967295EEENS1_25partition_config_selectorILNS1_17partition_subalgoE4EjNS0_10empty_typeEbEEZZNS1_14partition_implILS8_4ELb0ES6_15HIP_vector_typeIjLj2EENS0_17counting_iteratorIjlEEPS9_SG_NS0_5tupleIJPjSI_NS0_16reverse_iteratorISI_EEEEENSH_IJSG_SG_SG_EEES9_SI_JZNS1_25segmented_radix_sort_implINS0_14default_configELb0EPKhPhPKlPlN2at6native12_GLOBAL__N_18offset_tEEE10hipError_tPvRmT1_PNSt15iterator_traitsIS12_E10value_typeET2_T3_PNS13_IS18_E10value_typeET4_jRbjT5_S1E_jjP12ihipStream_tbEUljE_ZNSN_ISO_Lb0ESQ_SR_ST_SU_SY_EESZ_S10_S11_S12_S16_S17_S18_S1B_S1C_jS1D_jS1E_S1E_jjS1G_bEUljE0_EEESZ_S10_S11_S18_S1C_S1E_T6_T7_T9_mT8_S1G_bDpT10_ENKUlT_T0_E_clISt17integral_constantIbLb0EES1T_IbLb1EEEEDaS1P_S1Q_EUlS1P_E_NS1_11comp_targetILNS1_3genE0ELNS1_11target_archE4294967295ELNS1_3gpuE0ELNS1_3repE0EEENS1_30default_config_static_selectorELNS0_4arch9wavefront6targetE0EEEvS12_,comdat
.Lfunc_end145:
	.size	_ZN7rocprim17ROCPRIM_400000_NS6detail17trampoline_kernelINS0_13select_configILj256ELj13ELNS0_17block_load_methodE3ELS4_3ELS4_3ELNS0_20block_scan_algorithmE0ELj4294967295EEENS1_25partition_config_selectorILNS1_17partition_subalgoE4EjNS0_10empty_typeEbEEZZNS1_14partition_implILS8_4ELb0ES6_15HIP_vector_typeIjLj2EENS0_17counting_iteratorIjlEEPS9_SG_NS0_5tupleIJPjSI_NS0_16reverse_iteratorISI_EEEEENSH_IJSG_SG_SG_EEES9_SI_JZNS1_25segmented_radix_sort_implINS0_14default_configELb0EPKhPhPKlPlN2at6native12_GLOBAL__N_18offset_tEEE10hipError_tPvRmT1_PNSt15iterator_traitsIS12_E10value_typeET2_T3_PNS13_IS18_E10value_typeET4_jRbjT5_S1E_jjP12ihipStream_tbEUljE_ZNSN_ISO_Lb0ESQ_SR_ST_SU_SY_EESZ_S10_S11_S12_S16_S17_S18_S1B_S1C_jS1D_jS1E_S1E_jjS1G_bEUljE0_EEESZ_S10_S11_S18_S1C_S1E_T6_T7_T9_mT8_S1G_bDpT10_ENKUlT_T0_E_clISt17integral_constantIbLb0EES1T_IbLb1EEEEDaS1P_S1Q_EUlS1P_E_NS1_11comp_targetILNS1_3genE0ELNS1_11target_archE4294967295ELNS1_3gpuE0ELNS1_3repE0EEENS1_30default_config_static_selectorELNS0_4arch9wavefront6targetE0EEEvS12_, .Lfunc_end145-_ZN7rocprim17ROCPRIM_400000_NS6detail17trampoline_kernelINS0_13select_configILj256ELj13ELNS0_17block_load_methodE3ELS4_3ELS4_3ELNS0_20block_scan_algorithmE0ELj4294967295EEENS1_25partition_config_selectorILNS1_17partition_subalgoE4EjNS0_10empty_typeEbEEZZNS1_14partition_implILS8_4ELb0ES6_15HIP_vector_typeIjLj2EENS0_17counting_iteratorIjlEEPS9_SG_NS0_5tupleIJPjSI_NS0_16reverse_iteratorISI_EEEEENSH_IJSG_SG_SG_EEES9_SI_JZNS1_25segmented_radix_sort_implINS0_14default_configELb0EPKhPhPKlPlN2at6native12_GLOBAL__N_18offset_tEEE10hipError_tPvRmT1_PNSt15iterator_traitsIS12_E10value_typeET2_T3_PNS13_IS18_E10value_typeET4_jRbjT5_S1E_jjP12ihipStream_tbEUljE_ZNSN_ISO_Lb0ESQ_SR_ST_SU_SY_EESZ_S10_S11_S12_S16_S17_S18_S1B_S1C_jS1D_jS1E_S1E_jjS1G_bEUljE0_EEESZ_S10_S11_S18_S1C_S1E_T6_T7_T9_mT8_S1G_bDpT10_ENKUlT_T0_E_clISt17integral_constantIbLb0EES1T_IbLb1EEEEDaS1P_S1Q_EUlS1P_E_NS1_11comp_targetILNS1_3genE0ELNS1_11target_archE4294967295ELNS1_3gpuE0ELNS1_3repE0EEENS1_30default_config_static_selectorELNS0_4arch9wavefront6targetE0EEEvS12_
                                        ; -- End function
	.set _ZN7rocprim17ROCPRIM_400000_NS6detail17trampoline_kernelINS0_13select_configILj256ELj13ELNS0_17block_load_methodE3ELS4_3ELS4_3ELNS0_20block_scan_algorithmE0ELj4294967295EEENS1_25partition_config_selectorILNS1_17partition_subalgoE4EjNS0_10empty_typeEbEEZZNS1_14partition_implILS8_4ELb0ES6_15HIP_vector_typeIjLj2EENS0_17counting_iteratorIjlEEPS9_SG_NS0_5tupleIJPjSI_NS0_16reverse_iteratorISI_EEEEENSH_IJSG_SG_SG_EEES9_SI_JZNS1_25segmented_radix_sort_implINS0_14default_configELb0EPKhPhPKlPlN2at6native12_GLOBAL__N_18offset_tEEE10hipError_tPvRmT1_PNSt15iterator_traitsIS12_E10value_typeET2_T3_PNS13_IS18_E10value_typeET4_jRbjT5_S1E_jjP12ihipStream_tbEUljE_ZNSN_ISO_Lb0ESQ_SR_ST_SU_SY_EESZ_S10_S11_S12_S16_S17_S18_S1B_S1C_jS1D_jS1E_S1E_jjS1G_bEUljE0_EEESZ_S10_S11_S18_S1C_S1E_T6_T7_T9_mT8_S1G_bDpT10_ENKUlT_T0_E_clISt17integral_constantIbLb0EES1T_IbLb1EEEEDaS1P_S1Q_EUlS1P_E_NS1_11comp_targetILNS1_3genE0ELNS1_11target_archE4294967295ELNS1_3gpuE0ELNS1_3repE0EEENS1_30default_config_static_selectorELNS0_4arch9wavefront6targetE0EEEvS12_.num_vgpr, 86
	.set _ZN7rocprim17ROCPRIM_400000_NS6detail17trampoline_kernelINS0_13select_configILj256ELj13ELNS0_17block_load_methodE3ELS4_3ELS4_3ELNS0_20block_scan_algorithmE0ELj4294967295EEENS1_25partition_config_selectorILNS1_17partition_subalgoE4EjNS0_10empty_typeEbEEZZNS1_14partition_implILS8_4ELb0ES6_15HIP_vector_typeIjLj2EENS0_17counting_iteratorIjlEEPS9_SG_NS0_5tupleIJPjSI_NS0_16reverse_iteratorISI_EEEEENSH_IJSG_SG_SG_EEES9_SI_JZNS1_25segmented_radix_sort_implINS0_14default_configELb0EPKhPhPKlPlN2at6native12_GLOBAL__N_18offset_tEEE10hipError_tPvRmT1_PNSt15iterator_traitsIS12_E10value_typeET2_T3_PNS13_IS18_E10value_typeET4_jRbjT5_S1E_jjP12ihipStream_tbEUljE_ZNSN_ISO_Lb0ESQ_SR_ST_SU_SY_EESZ_S10_S11_S12_S16_S17_S18_S1B_S1C_jS1D_jS1E_S1E_jjS1G_bEUljE0_EEESZ_S10_S11_S18_S1C_S1E_T6_T7_T9_mT8_S1G_bDpT10_ENKUlT_T0_E_clISt17integral_constantIbLb0EES1T_IbLb1EEEEDaS1P_S1Q_EUlS1P_E_NS1_11comp_targetILNS1_3genE0ELNS1_11target_archE4294967295ELNS1_3gpuE0ELNS1_3repE0EEENS1_30default_config_static_selectorELNS0_4arch9wavefront6targetE0EEEvS12_.num_agpr, 0
	.set _ZN7rocprim17ROCPRIM_400000_NS6detail17trampoline_kernelINS0_13select_configILj256ELj13ELNS0_17block_load_methodE3ELS4_3ELS4_3ELNS0_20block_scan_algorithmE0ELj4294967295EEENS1_25partition_config_selectorILNS1_17partition_subalgoE4EjNS0_10empty_typeEbEEZZNS1_14partition_implILS8_4ELb0ES6_15HIP_vector_typeIjLj2EENS0_17counting_iteratorIjlEEPS9_SG_NS0_5tupleIJPjSI_NS0_16reverse_iteratorISI_EEEEENSH_IJSG_SG_SG_EEES9_SI_JZNS1_25segmented_radix_sort_implINS0_14default_configELb0EPKhPhPKlPlN2at6native12_GLOBAL__N_18offset_tEEE10hipError_tPvRmT1_PNSt15iterator_traitsIS12_E10value_typeET2_T3_PNS13_IS18_E10value_typeET4_jRbjT5_S1E_jjP12ihipStream_tbEUljE_ZNSN_ISO_Lb0ESQ_SR_ST_SU_SY_EESZ_S10_S11_S12_S16_S17_S18_S1B_S1C_jS1D_jS1E_S1E_jjS1G_bEUljE0_EEESZ_S10_S11_S18_S1C_S1E_T6_T7_T9_mT8_S1G_bDpT10_ENKUlT_T0_E_clISt17integral_constantIbLb0EES1T_IbLb1EEEEDaS1P_S1Q_EUlS1P_E_NS1_11comp_targetILNS1_3genE0ELNS1_11target_archE4294967295ELNS1_3gpuE0ELNS1_3repE0EEENS1_30default_config_static_selectorELNS0_4arch9wavefront6targetE0EEEvS12_.numbered_sgpr, 55
	.set _ZN7rocprim17ROCPRIM_400000_NS6detail17trampoline_kernelINS0_13select_configILj256ELj13ELNS0_17block_load_methodE3ELS4_3ELS4_3ELNS0_20block_scan_algorithmE0ELj4294967295EEENS1_25partition_config_selectorILNS1_17partition_subalgoE4EjNS0_10empty_typeEbEEZZNS1_14partition_implILS8_4ELb0ES6_15HIP_vector_typeIjLj2EENS0_17counting_iteratorIjlEEPS9_SG_NS0_5tupleIJPjSI_NS0_16reverse_iteratorISI_EEEEENSH_IJSG_SG_SG_EEES9_SI_JZNS1_25segmented_radix_sort_implINS0_14default_configELb0EPKhPhPKlPlN2at6native12_GLOBAL__N_18offset_tEEE10hipError_tPvRmT1_PNSt15iterator_traitsIS12_E10value_typeET2_T3_PNS13_IS18_E10value_typeET4_jRbjT5_S1E_jjP12ihipStream_tbEUljE_ZNSN_ISO_Lb0ESQ_SR_ST_SU_SY_EESZ_S10_S11_S12_S16_S17_S18_S1B_S1C_jS1D_jS1E_S1E_jjS1G_bEUljE0_EEESZ_S10_S11_S18_S1C_S1E_T6_T7_T9_mT8_S1G_bDpT10_ENKUlT_T0_E_clISt17integral_constantIbLb0EES1T_IbLb1EEEEDaS1P_S1Q_EUlS1P_E_NS1_11comp_targetILNS1_3genE0ELNS1_11target_archE4294967295ELNS1_3gpuE0ELNS1_3repE0EEENS1_30default_config_static_selectorELNS0_4arch9wavefront6targetE0EEEvS12_.num_named_barrier, 0
	.set _ZN7rocprim17ROCPRIM_400000_NS6detail17trampoline_kernelINS0_13select_configILj256ELj13ELNS0_17block_load_methodE3ELS4_3ELS4_3ELNS0_20block_scan_algorithmE0ELj4294967295EEENS1_25partition_config_selectorILNS1_17partition_subalgoE4EjNS0_10empty_typeEbEEZZNS1_14partition_implILS8_4ELb0ES6_15HIP_vector_typeIjLj2EENS0_17counting_iteratorIjlEEPS9_SG_NS0_5tupleIJPjSI_NS0_16reverse_iteratorISI_EEEEENSH_IJSG_SG_SG_EEES9_SI_JZNS1_25segmented_radix_sort_implINS0_14default_configELb0EPKhPhPKlPlN2at6native12_GLOBAL__N_18offset_tEEE10hipError_tPvRmT1_PNSt15iterator_traitsIS12_E10value_typeET2_T3_PNS13_IS18_E10value_typeET4_jRbjT5_S1E_jjP12ihipStream_tbEUljE_ZNSN_ISO_Lb0ESQ_SR_ST_SU_SY_EESZ_S10_S11_S12_S16_S17_S18_S1B_S1C_jS1D_jS1E_S1E_jjS1G_bEUljE0_EEESZ_S10_S11_S18_S1C_S1E_T6_T7_T9_mT8_S1G_bDpT10_ENKUlT_T0_E_clISt17integral_constantIbLb0EES1T_IbLb1EEEEDaS1P_S1Q_EUlS1P_E_NS1_11comp_targetILNS1_3genE0ELNS1_11target_archE4294967295ELNS1_3gpuE0ELNS1_3repE0EEENS1_30default_config_static_selectorELNS0_4arch9wavefront6targetE0EEEvS12_.private_seg_size, 0
	.set _ZN7rocprim17ROCPRIM_400000_NS6detail17trampoline_kernelINS0_13select_configILj256ELj13ELNS0_17block_load_methodE3ELS4_3ELS4_3ELNS0_20block_scan_algorithmE0ELj4294967295EEENS1_25partition_config_selectorILNS1_17partition_subalgoE4EjNS0_10empty_typeEbEEZZNS1_14partition_implILS8_4ELb0ES6_15HIP_vector_typeIjLj2EENS0_17counting_iteratorIjlEEPS9_SG_NS0_5tupleIJPjSI_NS0_16reverse_iteratorISI_EEEEENSH_IJSG_SG_SG_EEES9_SI_JZNS1_25segmented_radix_sort_implINS0_14default_configELb0EPKhPhPKlPlN2at6native12_GLOBAL__N_18offset_tEEE10hipError_tPvRmT1_PNSt15iterator_traitsIS12_E10value_typeET2_T3_PNS13_IS18_E10value_typeET4_jRbjT5_S1E_jjP12ihipStream_tbEUljE_ZNSN_ISO_Lb0ESQ_SR_ST_SU_SY_EESZ_S10_S11_S12_S16_S17_S18_S1B_S1C_jS1D_jS1E_S1E_jjS1G_bEUljE0_EEESZ_S10_S11_S18_S1C_S1E_T6_T7_T9_mT8_S1G_bDpT10_ENKUlT_T0_E_clISt17integral_constantIbLb0EES1T_IbLb1EEEEDaS1P_S1Q_EUlS1P_E_NS1_11comp_targetILNS1_3genE0ELNS1_11target_archE4294967295ELNS1_3gpuE0ELNS1_3repE0EEENS1_30default_config_static_selectorELNS0_4arch9wavefront6targetE0EEEvS12_.uses_vcc, 1
	.set _ZN7rocprim17ROCPRIM_400000_NS6detail17trampoline_kernelINS0_13select_configILj256ELj13ELNS0_17block_load_methodE3ELS4_3ELS4_3ELNS0_20block_scan_algorithmE0ELj4294967295EEENS1_25partition_config_selectorILNS1_17partition_subalgoE4EjNS0_10empty_typeEbEEZZNS1_14partition_implILS8_4ELb0ES6_15HIP_vector_typeIjLj2EENS0_17counting_iteratorIjlEEPS9_SG_NS0_5tupleIJPjSI_NS0_16reverse_iteratorISI_EEEEENSH_IJSG_SG_SG_EEES9_SI_JZNS1_25segmented_radix_sort_implINS0_14default_configELb0EPKhPhPKlPlN2at6native12_GLOBAL__N_18offset_tEEE10hipError_tPvRmT1_PNSt15iterator_traitsIS12_E10value_typeET2_T3_PNS13_IS18_E10value_typeET4_jRbjT5_S1E_jjP12ihipStream_tbEUljE_ZNSN_ISO_Lb0ESQ_SR_ST_SU_SY_EESZ_S10_S11_S12_S16_S17_S18_S1B_S1C_jS1D_jS1E_S1E_jjS1G_bEUljE0_EEESZ_S10_S11_S18_S1C_S1E_T6_T7_T9_mT8_S1G_bDpT10_ENKUlT_T0_E_clISt17integral_constantIbLb0EES1T_IbLb1EEEEDaS1P_S1Q_EUlS1P_E_NS1_11comp_targetILNS1_3genE0ELNS1_11target_archE4294967295ELNS1_3gpuE0ELNS1_3repE0EEENS1_30default_config_static_selectorELNS0_4arch9wavefront6targetE0EEEvS12_.uses_flat_scratch, 0
	.set _ZN7rocprim17ROCPRIM_400000_NS6detail17trampoline_kernelINS0_13select_configILj256ELj13ELNS0_17block_load_methodE3ELS4_3ELS4_3ELNS0_20block_scan_algorithmE0ELj4294967295EEENS1_25partition_config_selectorILNS1_17partition_subalgoE4EjNS0_10empty_typeEbEEZZNS1_14partition_implILS8_4ELb0ES6_15HIP_vector_typeIjLj2EENS0_17counting_iteratorIjlEEPS9_SG_NS0_5tupleIJPjSI_NS0_16reverse_iteratorISI_EEEEENSH_IJSG_SG_SG_EEES9_SI_JZNS1_25segmented_radix_sort_implINS0_14default_configELb0EPKhPhPKlPlN2at6native12_GLOBAL__N_18offset_tEEE10hipError_tPvRmT1_PNSt15iterator_traitsIS12_E10value_typeET2_T3_PNS13_IS18_E10value_typeET4_jRbjT5_S1E_jjP12ihipStream_tbEUljE_ZNSN_ISO_Lb0ESQ_SR_ST_SU_SY_EESZ_S10_S11_S12_S16_S17_S18_S1B_S1C_jS1D_jS1E_S1E_jjS1G_bEUljE0_EEESZ_S10_S11_S18_S1C_S1E_T6_T7_T9_mT8_S1G_bDpT10_ENKUlT_T0_E_clISt17integral_constantIbLb0EES1T_IbLb1EEEEDaS1P_S1Q_EUlS1P_E_NS1_11comp_targetILNS1_3genE0ELNS1_11target_archE4294967295ELNS1_3gpuE0ELNS1_3repE0EEENS1_30default_config_static_selectorELNS0_4arch9wavefront6targetE0EEEvS12_.has_dyn_sized_stack, 0
	.set _ZN7rocprim17ROCPRIM_400000_NS6detail17trampoline_kernelINS0_13select_configILj256ELj13ELNS0_17block_load_methodE3ELS4_3ELS4_3ELNS0_20block_scan_algorithmE0ELj4294967295EEENS1_25partition_config_selectorILNS1_17partition_subalgoE4EjNS0_10empty_typeEbEEZZNS1_14partition_implILS8_4ELb0ES6_15HIP_vector_typeIjLj2EENS0_17counting_iteratorIjlEEPS9_SG_NS0_5tupleIJPjSI_NS0_16reverse_iteratorISI_EEEEENSH_IJSG_SG_SG_EEES9_SI_JZNS1_25segmented_radix_sort_implINS0_14default_configELb0EPKhPhPKlPlN2at6native12_GLOBAL__N_18offset_tEEE10hipError_tPvRmT1_PNSt15iterator_traitsIS12_E10value_typeET2_T3_PNS13_IS18_E10value_typeET4_jRbjT5_S1E_jjP12ihipStream_tbEUljE_ZNSN_ISO_Lb0ESQ_SR_ST_SU_SY_EESZ_S10_S11_S12_S16_S17_S18_S1B_S1C_jS1D_jS1E_S1E_jjS1G_bEUljE0_EEESZ_S10_S11_S18_S1C_S1E_T6_T7_T9_mT8_S1G_bDpT10_ENKUlT_T0_E_clISt17integral_constantIbLb0EES1T_IbLb1EEEEDaS1P_S1Q_EUlS1P_E_NS1_11comp_targetILNS1_3genE0ELNS1_11target_archE4294967295ELNS1_3gpuE0ELNS1_3repE0EEENS1_30default_config_static_selectorELNS0_4arch9wavefront6targetE0EEEvS12_.has_recursion, 0
	.set _ZN7rocprim17ROCPRIM_400000_NS6detail17trampoline_kernelINS0_13select_configILj256ELj13ELNS0_17block_load_methodE3ELS4_3ELS4_3ELNS0_20block_scan_algorithmE0ELj4294967295EEENS1_25partition_config_selectorILNS1_17partition_subalgoE4EjNS0_10empty_typeEbEEZZNS1_14partition_implILS8_4ELb0ES6_15HIP_vector_typeIjLj2EENS0_17counting_iteratorIjlEEPS9_SG_NS0_5tupleIJPjSI_NS0_16reverse_iteratorISI_EEEEENSH_IJSG_SG_SG_EEES9_SI_JZNS1_25segmented_radix_sort_implINS0_14default_configELb0EPKhPhPKlPlN2at6native12_GLOBAL__N_18offset_tEEE10hipError_tPvRmT1_PNSt15iterator_traitsIS12_E10value_typeET2_T3_PNS13_IS18_E10value_typeET4_jRbjT5_S1E_jjP12ihipStream_tbEUljE_ZNSN_ISO_Lb0ESQ_SR_ST_SU_SY_EESZ_S10_S11_S12_S16_S17_S18_S1B_S1C_jS1D_jS1E_S1E_jjS1G_bEUljE0_EEESZ_S10_S11_S18_S1C_S1E_T6_T7_T9_mT8_S1G_bDpT10_ENKUlT_T0_E_clISt17integral_constantIbLb0EES1T_IbLb1EEEEDaS1P_S1Q_EUlS1P_E_NS1_11comp_targetILNS1_3genE0ELNS1_11target_archE4294967295ELNS1_3gpuE0ELNS1_3repE0EEENS1_30default_config_static_selectorELNS0_4arch9wavefront6targetE0EEEvS12_.has_indirect_call, 0
	.section	.AMDGPU.csdata,"",@progbits
; Kernel info:
; codeLenInByte = 17828
; TotalNumSgprs: 57
; NumVgprs: 86
; ScratchSize: 0
; MemoryBound: 0
; FloatMode: 240
; IeeeMode: 1
; LDSByteSize: 13328 bytes/workgroup (compile time only)
; SGPRBlocks: 0
; VGPRBlocks: 5
; NumSGPRsForWavesPerEU: 57
; NumVGPRsForWavesPerEU: 86
; NamedBarCnt: 0
; Occupancy: 10
; WaveLimiterHint : 1
; COMPUTE_PGM_RSRC2:SCRATCH_EN: 0
; COMPUTE_PGM_RSRC2:USER_SGPR: 2
; COMPUTE_PGM_RSRC2:TRAP_HANDLER: 0
; COMPUTE_PGM_RSRC2:TGID_X_EN: 1
; COMPUTE_PGM_RSRC2:TGID_Y_EN: 0
; COMPUTE_PGM_RSRC2:TGID_Z_EN: 0
; COMPUTE_PGM_RSRC2:TIDIG_COMP_CNT: 0
	.section	.text._ZN7rocprim17ROCPRIM_400000_NS6detail17trampoline_kernelINS0_13select_configILj256ELj13ELNS0_17block_load_methodE3ELS4_3ELS4_3ELNS0_20block_scan_algorithmE0ELj4294967295EEENS1_25partition_config_selectorILNS1_17partition_subalgoE4EjNS0_10empty_typeEbEEZZNS1_14partition_implILS8_4ELb0ES6_15HIP_vector_typeIjLj2EENS0_17counting_iteratorIjlEEPS9_SG_NS0_5tupleIJPjSI_NS0_16reverse_iteratorISI_EEEEENSH_IJSG_SG_SG_EEES9_SI_JZNS1_25segmented_radix_sort_implINS0_14default_configELb0EPKhPhPKlPlN2at6native12_GLOBAL__N_18offset_tEEE10hipError_tPvRmT1_PNSt15iterator_traitsIS12_E10value_typeET2_T3_PNS13_IS18_E10value_typeET4_jRbjT5_S1E_jjP12ihipStream_tbEUljE_ZNSN_ISO_Lb0ESQ_SR_ST_SU_SY_EESZ_S10_S11_S12_S16_S17_S18_S1B_S1C_jS1D_jS1E_S1E_jjS1G_bEUljE0_EEESZ_S10_S11_S18_S1C_S1E_T6_T7_T9_mT8_S1G_bDpT10_ENKUlT_T0_E_clISt17integral_constantIbLb0EES1T_IbLb1EEEEDaS1P_S1Q_EUlS1P_E_NS1_11comp_targetILNS1_3genE5ELNS1_11target_archE942ELNS1_3gpuE9ELNS1_3repE0EEENS1_30default_config_static_selectorELNS0_4arch9wavefront6targetE0EEEvS12_,"axG",@progbits,_ZN7rocprim17ROCPRIM_400000_NS6detail17trampoline_kernelINS0_13select_configILj256ELj13ELNS0_17block_load_methodE3ELS4_3ELS4_3ELNS0_20block_scan_algorithmE0ELj4294967295EEENS1_25partition_config_selectorILNS1_17partition_subalgoE4EjNS0_10empty_typeEbEEZZNS1_14partition_implILS8_4ELb0ES6_15HIP_vector_typeIjLj2EENS0_17counting_iteratorIjlEEPS9_SG_NS0_5tupleIJPjSI_NS0_16reverse_iteratorISI_EEEEENSH_IJSG_SG_SG_EEES9_SI_JZNS1_25segmented_radix_sort_implINS0_14default_configELb0EPKhPhPKlPlN2at6native12_GLOBAL__N_18offset_tEEE10hipError_tPvRmT1_PNSt15iterator_traitsIS12_E10value_typeET2_T3_PNS13_IS18_E10value_typeET4_jRbjT5_S1E_jjP12ihipStream_tbEUljE_ZNSN_ISO_Lb0ESQ_SR_ST_SU_SY_EESZ_S10_S11_S12_S16_S17_S18_S1B_S1C_jS1D_jS1E_S1E_jjS1G_bEUljE0_EEESZ_S10_S11_S18_S1C_S1E_T6_T7_T9_mT8_S1G_bDpT10_ENKUlT_T0_E_clISt17integral_constantIbLb0EES1T_IbLb1EEEEDaS1P_S1Q_EUlS1P_E_NS1_11comp_targetILNS1_3genE5ELNS1_11target_archE942ELNS1_3gpuE9ELNS1_3repE0EEENS1_30default_config_static_selectorELNS0_4arch9wavefront6targetE0EEEvS12_,comdat
	.globl	_ZN7rocprim17ROCPRIM_400000_NS6detail17trampoline_kernelINS0_13select_configILj256ELj13ELNS0_17block_load_methodE3ELS4_3ELS4_3ELNS0_20block_scan_algorithmE0ELj4294967295EEENS1_25partition_config_selectorILNS1_17partition_subalgoE4EjNS0_10empty_typeEbEEZZNS1_14partition_implILS8_4ELb0ES6_15HIP_vector_typeIjLj2EENS0_17counting_iteratorIjlEEPS9_SG_NS0_5tupleIJPjSI_NS0_16reverse_iteratorISI_EEEEENSH_IJSG_SG_SG_EEES9_SI_JZNS1_25segmented_radix_sort_implINS0_14default_configELb0EPKhPhPKlPlN2at6native12_GLOBAL__N_18offset_tEEE10hipError_tPvRmT1_PNSt15iterator_traitsIS12_E10value_typeET2_T3_PNS13_IS18_E10value_typeET4_jRbjT5_S1E_jjP12ihipStream_tbEUljE_ZNSN_ISO_Lb0ESQ_SR_ST_SU_SY_EESZ_S10_S11_S12_S16_S17_S18_S1B_S1C_jS1D_jS1E_S1E_jjS1G_bEUljE0_EEESZ_S10_S11_S18_S1C_S1E_T6_T7_T9_mT8_S1G_bDpT10_ENKUlT_T0_E_clISt17integral_constantIbLb0EES1T_IbLb1EEEEDaS1P_S1Q_EUlS1P_E_NS1_11comp_targetILNS1_3genE5ELNS1_11target_archE942ELNS1_3gpuE9ELNS1_3repE0EEENS1_30default_config_static_selectorELNS0_4arch9wavefront6targetE0EEEvS12_ ; -- Begin function _ZN7rocprim17ROCPRIM_400000_NS6detail17trampoline_kernelINS0_13select_configILj256ELj13ELNS0_17block_load_methodE3ELS4_3ELS4_3ELNS0_20block_scan_algorithmE0ELj4294967295EEENS1_25partition_config_selectorILNS1_17partition_subalgoE4EjNS0_10empty_typeEbEEZZNS1_14partition_implILS8_4ELb0ES6_15HIP_vector_typeIjLj2EENS0_17counting_iteratorIjlEEPS9_SG_NS0_5tupleIJPjSI_NS0_16reverse_iteratorISI_EEEEENSH_IJSG_SG_SG_EEES9_SI_JZNS1_25segmented_radix_sort_implINS0_14default_configELb0EPKhPhPKlPlN2at6native12_GLOBAL__N_18offset_tEEE10hipError_tPvRmT1_PNSt15iterator_traitsIS12_E10value_typeET2_T3_PNS13_IS18_E10value_typeET4_jRbjT5_S1E_jjP12ihipStream_tbEUljE_ZNSN_ISO_Lb0ESQ_SR_ST_SU_SY_EESZ_S10_S11_S12_S16_S17_S18_S1B_S1C_jS1D_jS1E_S1E_jjS1G_bEUljE0_EEESZ_S10_S11_S18_S1C_S1E_T6_T7_T9_mT8_S1G_bDpT10_ENKUlT_T0_E_clISt17integral_constantIbLb0EES1T_IbLb1EEEEDaS1P_S1Q_EUlS1P_E_NS1_11comp_targetILNS1_3genE5ELNS1_11target_archE942ELNS1_3gpuE9ELNS1_3repE0EEENS1_30default_config_static_selectorELNS0_4arch9wavefront6targetE0EEEvS12_
	.p2align	8
	.type	_ZN7rocprim17ROCPRIM_400000_NS6detail17trampoline_kernelINS0_13select_configILj256ELj13ELNS0_17block_load_methodE3ELS4_3ELS4_3ELNS0_20block_scan_algorithmE0ELj4294967295EEENS1_25partition_config_selectorILNS1_17partition_subalgoE4EjNS0_10empty_typeEbEEZZNS1_14partition_implILS8_4ELb0ES6_15HIP_vector_typeIjLj2EENS0_17counting_iteratorIjlEEPS9_SG_NS0_5tupleIJPjSI_NS0_16reverse_iteratorISI_EEEEENSH_IJSG_SG_SG_EEES9_SI_JZNS1_25segmented_radix_sort_implINS0_14default_configELb0EPKhPhPKlPlN2at6native12_GLOBAL__N_18offset_tEEE10hipError_tPvRmT1_PNSt15iterator_traitsIS12_E10value_typeET2_T3_PNS13_IS18_E10value_typeET4_jRbjT5_S1E_jjP12ihipStream_tbEUljE_ZNSN_ISO_Lb0ESQ_SR_ST_SU_SY_EESZ_S10_S11_S12_S16_S17_S18_S1B_S1C_jS1D_jS1E_S1E_jjS1G_bEUljE0_EEESZ_S10_S11_S18_S1C_S1E_T6_T7_T9_mT8_S1G_bDpT10_ENKUlT_T0_E_clISt17integral_constantIbLb0EES1T_IbLb1EEEEDaS1P_S1Q_EUlS1P_E_NS1_11comp_targetILNS1_3genE5ELNS1_11target_archE942ELNS1_3gpuE9ELNS1_3repE0EEENS1_30default_config_static_selectorELNS0_4arch9wavefront6targetE0EEEvS12_,@function
_ZN7rocprim17ROCPRIM_400000_NS6detail17trampoline_kernelINS0_13select_configILj256ELj13ELNS0_17block_load_methodE3ELS4_3ELS4_3ELNS0_20block_scan_algorithmE0ELj4294967295EEENS1_25partition_config_selectorILNS1_17partition_subalgoE4EjNS0_10empty_typeEbEEZZNS1_14partition_implILS8_4ELb0ES6_15HIP_vector_typeIjLj2EENS0_17counting_iteratorIjlEEPS9_SG_NS0_5tupleIJPjSI_NS0_16reverse_iteratorISI_EEEEENSH_IJSG_SG_SG_EEES9_SI_JZNS1_25segmented_radix_sort_implINS0_14default_configELb0EPKhPhPKlPlN2at6native12_GLOBAL__N_18offset_tEEE10hipError_tPvRmT1_PNSt15iterator_traitsIS12_E10value_typeET2_T3_PNS13_IS18_E10value_typeET4_jRbjT5_S1E_jjP12ihipStream_tbEUljE_ZNSN_ISO_Lb0ESQ_SR_ST_SU_SY_EESZ_S10_S11_S12_S16_S17_S18_S1B_S1C_jS1D_jS1E_S1E_jjS1G_bEUljE0_EEESZ_S10_S11_S18_S1C_S1E_T6_T7_T9_mT8_S1G_bDpT10_ENKUlT_T0_E_clISt17integral_constantIbLb0EES1T_IbLb1EEEEDaS1P_S1Q_EUlS1P_E_NS1_11comp_targetILNS1_3genE5ELNS1_11target_archE942ELNS1_3gpuE9ELNS1_3repE0EEENS1_30default_config_static_selectorELNS0_4arch9wavefront6targetE0EEEvS12_: ; @_ZN7rocprim17ROCPRIM_400000_NS6detail17trampoline_kernelINS0_13select_configILj256ELj13ELNS0_17block_load_methodE3ELS4_3ELS4_3ELNS0_20block_scan_algorithmE0ELj4294967295EEENS1_25partition_config_selectorILNS1_17partition_subalgoE4EjNS0_10empty_typeEbEEZZNS1_14partition_implILS8_4ELb0ES6_15HIP_vector_typeIjLj2EENS0_17counting_iteratorIjlEEPS9_SG_NS0_5tupleIJPjSI_NS0_16reverse_iteratorISI_EEEEENSH_IJSG_SG_SG_EEES9_SI_JZNS1_25segmented_radix_sort_implINS0_14default_configELb0EPKhPhPKlPlN2at6native12_GLOBAL__N_18offset_tEEE10hipError_tPvRmT1_PNSt15iterator_traitsIS12_E10value_typeET2_T3_PNS13_IS18_E10value_typeET4_jRbjT5_S1E_jjP12ihipStream_tbEUljE_ZNSN_ISO_Lb0ESQ_SR_ST_SU_SY_EESZ_S10_S11_S12_S16_S17_S18_S1B_S1C_jS1D_jS1E_S1E_jjS1G_bEUljE0_EEESZ_S10_S11_S18_S1C_S1E_T6_T7_T9_mT8_S1G_bDpT10_ENKUlT_T0_E_clISt17integral_constantIbLb0EES1T_IbLb1EEEEDaS1P_S1Q_EUlS1P_E_NS1_11comp_targetILNS1_3genE5ELNS1_11target_archE942ELNS1_3gpuE9ELNS1_3repE0EEENS1_30default_config_static_selectorELNS0_4arch9wavefront6targetE0EEEvS12_
; %bb.0:
	.section	.rodata,"a",@progbits
	.p2align	6, 0x0
	.amdhsa_kernel _ZN7rocprim17ROCPRIM_400000_NS6detail17trampoline_kernelINS0_13select_configILj256ELj13ELNS0_17block_load_methodE3ELS4_3ELS4_3ELNS0_20block_scan_algorithmE0ELj4294967295EEENS1_25partition_config_selectorILNS1_17partition_subalgoE4EjNS0_10empty_typeEbEEZZNS1_14partition_implILS8_4ELb0ES6_15HIP_vector_typeIjLj2EENS0_17counting_iteratorIjlEEPS9_SG_NS0_5tupleIJPjSI_NS0_16reverse_iteratorISI_EEEEENSH_IJSG_SG_SG_EEES9_SI_JZNS1_25segmented_radix_sort_implINS0_14default_configELb0EPKhPhPKlPlN2at6native12_GLOBAL__N_18offset_tEEE10hipError_tPvRmT1_PNSt15iterator_traitsIS12_E10value_typeET2_T3_PNS13_IS18_E10value_typeET4_jRbjT5_S1E_jjP12ihipStream_tbEUljE_ZNSN_ISO_Lb0ESQ_SR_ST_SU_SY_EESZ_S10_S11_S12_S16_S17_S18_S1B_S1C_jS1D_jS1E_S1E_jjS1G_bEUljE0_EEESZ_S10_S11_S18_S1C_S1E_T6_T7_T9_mT8_S1G_bDpT10_ENKUlT_T0_E_clISt17integral_constantIbLb0EES1T_IbLb1EEEEDaS1P_S1Q_EUlS1P_E_NS1_11comp_targetILNS1_3genE5ELNS1_11target_archE942ELNS1_3gpuE9ELNS1_3repE0EEENS1_30default_config_static_selectorELNS0_4arch9wavefront6targetE0EEEvS12_
		.amdhsa_group_segment_fixed_size 0
		.amdhsa_private_segment_fixed_size 0
		.amdhsa_kernarg_size 184
		.amdhsa_user_sgpr_count 2
		.amdhsa_user_sgpr_dispatch_ptr 0
		.amdhsa_user_sgpr_queue_ptr 0
		.amdhsa_user_sgpr_kernarg_segment_ptr 1
		.amdhsa_user_sgpr_dispatch_id 0
		.amdhsa_user_sgpr_kernarg_preload_length 0
		.amdhsa_user_sgpr_kernarg_preload_offset 0
		.amdhsa_user_sgpr_private_segment_size 0
		.amdhsa_wavefront_size32 1
		.amdhsa_uses_dynamic_stack 0
		.amdhsa_enable_private_segment 0
		.amdhsa_system_sgpr_workgroup_id_x 1
		.amdhsa_system_sgpr_workgroup_id_y 0
		.amdhsa_system_sgpr_workgroup_id_z 0
		.amdhsa_system_sgpr_workgroup_info 0
		.amdhsa_system_vgpr_workitem_id 0
		.amdhsa_next_free_vgpr 1
		.amdhsa_next_free_sgpr 1
		.amdhsa_named_barrier_count 0
		.amdhsa_reserve_vcc 0
		.amdhsa_float_round_mode_32 0
		.amdhsa_float_round_mode_16_64 0
		.amdhsa_float_denorm_mode_32 3
		.amdhsa_float_denorm_mode_16_64 3
		.amdhsa_fp16_overflow 0
		.amdhsa_memory_ordered 1
		.amdhsa_forward_progress 1
		.amdhsa_inst_pref_size 0
		.amdhsa_round_robin_scheduling 0
		.amdhsa_exception_fp_ieee_invalid_op 0
		.amdhsa_exception_fp_denorm_src 0
		.amdhsa_exception_fp_ieee_div_zero 0
		.amdhsa_exception_fp_ieee_overflow 0
		.amdhsa_exception_fp_ieee_underflow 0
		.amdhsa_exception_fp_ieee_inexact 0
		.amdhsa_exception_int_div_zero 0
	.end_amdhsa_kernel
	.section	.text._ZN7rocprim17ROCPRIM_400000_NS6detail17trampoline_kernelINS0_13select_configILj256ELj13ELNS0_17block_load_methodE3ELS4_3ELS4_3ELNS0_20block_scan_algorithmE0ELj4294967295EEENS1_25partition_config_selectorILNS1_17partition_subalgoE4EjNS0_10empty_typeEbEEZZNS1_14partition_implILS8_4ELb0ES6_15HIP_vector_typeIjLj2EENS0_17counting_iteratorIjlEEPS9_SG_NS0_5tupleIJPjSI_NS0_16reverse_iteratorISI_EEEEENSH_IJSG_SG_SG_EEES9_SI_JZNS1_25segmented_radix_sort_implINS0_14default_configELb0EPKhPhPKlPlN2at6native12_GLOBAL__N_18offset_tEEE10hipError_tPvRmT1_PNSt15iterator_traitsIS12_E10value_typeET2_T3_PNS13_IS18_E10value_typeET4_jRbjT5_S1E_jjP12ihipStream_tbEUljE_ZNSN_ISO_Lb0ESQ_SR_ST_SU_SY_EESZ_S10_S11_S12_S16_S17_S18_S1B_S1C_jS1D_jS1E_S1E_jjS1G_bEUljE0_EEESZ_S10_S11_S18_S1C_S1E_T6_T7_T9_mT8_S1G_bDpT10_ENKUlT_T0_E_clISt17integral_constantIbLb0EES1T_IbLb1EEEEDaS1P_S1Q_EUlS1P_E_NS1_11comp_targetILNS1_3genE5ELNS1_11target_archE942ELNS1_3gpuE9ELNS1_3repE0EEENS1_30default_config_static_selectorELNS0_4arch9wavefront6targetE0EEEvS12_,"axG",@progbits,_ZN7rocprim17ROCPRIM_400000_NS6detail17trampoline_kernelINS0_13select_configILj256ELj13ELNS0_17block_load_methodE3ELS4_3ELS4_3ELNS0_20block_scan_algorithmE0ELj4294967295EEENS1_25partition_config_selectorILNS1_17partition_subalgoE4EjNS0_10empty_typeEbEEZZNS1_14partition_implILS8_4ELb0ES6_15HIP_vector_typeIjLj2EENS0_17counting_iteratorIjlEEPS9_SG_NS0_5tupleIJPjSI_NS0_16reverse_iteratorISI_EEEEENSH_IJSG_SG_SG_EEES9_SI_JZNS1_25segmented_radix_sort_implINS0_14default_configELb0EPKhPhPKlPlN2at6native12_GLOBAL__N_18offset_tEEE10hipError_tPvRmT1_PNSt15iterator_traitsIS12_E10value_typeET2_T3_PNS13_IS18_E10value_typeET4_jRbjT5_S1E_jjP12ihipStream_tbEUljE_ZNSN_ISO_Lb0ESQ_SR_ST_SU_SY_EESZ_S10_S11_S12_S16_S17_S18_S1B_S1C_jS1D_jS1E_S1E_jjS1G_bEUljE0_EEESZ_S10_S11_S18_S1C_S1E_T6_T7_T9_mT8_S1G_bDpT10_ENKUlT_T0_E_clISt17integral_constantIbLb0EES1T_IbLb1EEEEDaS1P_S1Q_EUlS1P_E_NS1_11comp_targetILNS1_3genE5ELNS1_11target_archE942ELNS1_3gpuE9ELNS1_3repE0EEENS1_30default_config_static_selectorELNS0_4arch9wavefront6targetE0EEEvS12_,comdat
.Lfunc_end146:
	.size	_ZN7rocprim17ROCPRIM_400000_NS6detail17trampoline_kernelINS0_13select_configILj256ELj13ELNS0_17block_load_methodE3ELS4_3ELS4_3ELNS0_20block_scan_algorithmE0ELj4294967295EEENS1_25partition_config_selectorILNS1_17partition_subalgoE4EjNS0_10empty_typeEbEEZZNS1_14partition_implILS8_4ELb0ES6_15HIP_vector_typeIjLj2EENS0_17counting_iteratorIjlEEPS9_SG_NS0_5tupleIJPjSI_NS0_16reverse_iteratorISI_EEEEENSH_IJSG_SG_SG_EEES9_SI_JZNS1_25segmented_radix_sort_implINS0_14default_configELb0EPKhPhPKlPlN2at6native12_GLOBAL__N_18offset_tEEE10hipError_tPvRmT1_PNSt15iterator_traitsIS12_E10value_typeET2_T3_PNS13_IS18_E10value_typeET4_jRbjT5_S1E_jjP12ihipStream_tbEUljE_ZNSN_ISO_Lb0ESQ_SR_ST_SU_SY_EESZ_S10_S11_S12_S16_S17_S18_S1B_S1C_jS1D_jS1E_S1E_jjS1G_bEUljE0_EEESZ_S10_S11_S18_S1C_S1E_T6_T7_T9_mT8_S1G_bDpT10_ENKUlT_T0_E_clISt17integral_constantIbLb0EES1T_IbLb1EEEEDaS1P_S1Q_EUlS1P_E_NS1_11comp_targetILNS1_3genE5ELNS1_11target_archE942ELNS1_3gpuE9ELNS1_3repE0EEENS1_30default_config_static_selectorELNS0_4arch9wavefront6targetE0EEEvS12_, .Lfunc_end146-_ZN7rocprim17ROCPRIM_400000_NS6detail17trampoline_kernelINS0_13select_configILj256ELj13ELNS0_17block_load_methodE3ELS4_3ELS4_3ELNS0_20block_scan_algorithmE0ELj4294967295EEENS1_25partition_config_selectorILNS1_17partition_subalgoE4EjNS0_10empty_typeEbEEZZNS1_14partition_implILS8_4ELb0ES6_15HIP_vector_typeIjLj2EENS0_17counting_iteratorIjlEEPS9_SG_NS0_5tupleIJPjSI_NS0_16reverse_iteratorISI_EEEEENSH_IJSG_SG_SG_EEES9_SI_JZNS1_25segmented_radix_sort_implINS0_14default_configELb0EPKhPhPKlPlN2at6native12_GLOBAL__N_18offset_tEEE10hipError_tPvRmT1_PNSt15iterator_traitsIS12_E10value_typeET2_T3_PNS13_IS18_E10value_typeET4_jRbjT5_S1E_jjP12ihipStream_tbEUljE_ZNSN_ISO_Lb0ESQ_SR_ST_SU_SY_EESZ_S10_S11_S12_S16_S17_S18_S1B_S1C_jS1D_jS1E_S1E_jjS1G_bEUljE0_EEESZ_S10_S11_S18_S1C_S1E_T6_T7_T9_mT8_S1G_bDpT10_ENKUlT_T0_E_clISt17integral_constantIbLb0EES1T_IbLb1EEEEDaS1P_S1Q_EUlS1P_E_NS1_11comp_targetILNS1_3genE5ELNS1_11target_archE942ELNS1_3gpuE9ELNS1_3repE0EEENS1_30default_config_static_selectorELNS0_4arch9wavefront6targetE0EEEvS12_
                                        ; -- End function
	.set _ZN7rocprim17ROCPRIM_400000_NS6detail17trampoline_kernelINS0_13select_configILj256ELj13ELNS0_17block_load_methodE3ELS4_3ELS4_3ELNS0_20block_scan_algorithmE0ELj4294967295EEENS1_25partition_config_selectorILNS1_17partition_subalgoE4EjNS0_10empty_typeEbEEZZNS1_14partition_implILS8_4ELb0ES6_15HIP_vector_typeIjLj2EENS0_17counting_iteratorIjlEEPS9_SG_NS0_5tupleIJPjSI_NS0_16reverse_iteratorISI_EEEEENSH_IJSG_SG_SG_EEES9_SI_JZNS1_25segmented_radix_sort_implINS0_14default_configELb0EPKhPhPKlPlN2at6native12_GLOBAL__N_18offset_tEEE10hipError_tPvRmT1_PNSt15iterator_traitsIS12_E10value_typeET2_T3_PNS13_IS18_E10value_typeET4_jRbjT5_S1E_jjP12ihipStream_tbEUljE_ZNSN_ISO_Lb0ESQ_SR_ST_SU_SY_EESZ_S10_S11_S12_S16_S17_S18_S1B_S1C_jS1D_jS1E_S1E_jjS1G_bEUljE0_EEESZ_S10_S11_S18_S1C_S1E_T6_T7_T9_mT8_S1G_bDpT10_ENKUlT_T0_E_clISt17integral_constantIbLb0EES1T_IbLb1EEEEDaS1P_S1Q_EUlS1P_E_NS1_11comp_targetILNS1_3genE5ELNS1_11target_archE942ELNS1_3gpuE9ELNS1_3repE0EEENS1_30default_config_static_selectorELNS0_4arch9wavefront6targetE0EEEvS12_.num_vgpr, 0
	.set _ZN7rocprim17ROCPRIM_400000_NS6detail17trampoline_kernelINS0_13select_configILj256ELj13ELNS0_17block_load_methodE3ELS4_3ELS4_3ELNS0_20block_scan_algorithmE0ELj4294967295EEENS1_25partition_config_selectorILNS1_17partition_subalgoE4EjNS0_10empty_typeEbEEZZNS1_14partition_implILS8_4ELb0ES6_15HIP_vector_typeIjLj2EENS0_17counting_iteratorIjlEEPS9_SG_NS0_5tupleIJPjSI_NS0_16reverse_iteratorISI_EEEEENSH_IJSG_SG_SG_EEES9_SI_JZNS1_25segmented_radix_sort_implINS0_14default_configELb0EPKhPhPKlPlN2at6native12_GLOBAL__N_18offset_tEEE10hipError_tPvRmT1_PNSt15iterator_traitsIS12_E10value_typeET2_T3_PNS13_IS18_E10value_typeET4_jRbjT5_S1E_jjP12ihipStream_tbEUljE_ZNSN_ISO_Lb0ESQ_SR_ST_SU_SY_EESZ_S10_S11_S12_S16_S17_S18_S1B_S1C_jS1D_jS1E_S1E_jjS1G_bEUljE0_EEESZ_S10_S11_S18_S1C_S1E_T6_T7_T9_mT8_S1G_bDpT10_ENKUlT_T0_E_clISt17integral_constantIbLb0EES1T_IbLb1EEEEDaS1P_S1Q_EUlS1P_E_NS1_11comp_targetILNS1_3genE5ELNS1_11target_archE942ELNS1_3gpuE9ELNS1_3repE0EEENS1_30default_config_static_selectorELNS0_4arch9wavefront6targetE0EEEvS12_.num_agpr, 0
	.set _ZN7rocprim17ROCPRIM_400000_NS6detail17trampoline_kernelINS0_13select_configILj256ELj13ELNS0_17block_load_methodE3ELS4_3ELS4_3ELNS0_20block_scan_algorithmE0ELj4294967295EEENS1_25partition_config_selectorILNS1_17partition_subalgoE4EjNS0_10empty_typeEbEEZZNS1_14partition_implILS8_4ELb0ES6_15HIP_vector_typeIjLj2EENS0_17counting_iteratorIjlEEPS9_SG_NS0_5tupleIJPjSI_NS0_16reverse_iteratorISI_EEEEENSH_IJSG_SG_SG_EEES9_SI_JZNS1_25segmented_radix_sort_implINS0_14default_configELb0EPKhPhPKlPlN2at6native12_GLOBAL__N_18offset_tEEE10hipError_tPvRmT1_PNSt15iterator_traitsIS12_E10value_typeET2_T3_PNS13_IS18_E10value_typeET4_jRbjT5_S1E_jjP12ihipStream_tbEUljE_ZNSN_ISO_Lb0ESQ_SR_ST_SU_SY_EESZ_S10_S11_S12_S16_S17_S18_S1B_S1C_jS1D_jS1E_S1E_jjS1G_bEUljE0_EEESZ_S10_S11_S18_S1C_S1E_T6_T7_T9_mT8_S1G_bDpT10_ENKUlT_T0_E_clISt17integral_constantIbLb0EES1T_IbLb1EEEEDaS1P_S1Q_EUlS1P_E_NS1_11comp_targetILNS1_3genE5ELNS1_11target_archE942ELNS1_3gpuE9ELNS1_3repE0EEENS1_30default_config_static_selectorELNS0_4arch9wavefront6targetE0EEEvS12_.numbered_sgpr, 0
	.set _ZN7rocprim17ROCPRIM_400000_NS6detail17trampoline_kernelINS0_13select_configILj256ELj13ELNS0_17block_load_methodE3ELS4_3ELS4_3ELNS0_20block_scan_algorithmE0ELj4294967295EEENS1_25partition_config_selectorILNS1_17partition_subalgoE4EjNS0_10empty_typeEbEEZZNS1_14partition_implILS8_4ELb0ES6_15HIP_vector_typeIjLj2EENS0_17counting_iteratorIjlEEPS9_SG_NS0_5tupleIJPjSI_NS0_16reverse_iteratorISI_EEEEENSH_IJSG_SG_SG_EEES9_SI_JZNS1_25segmented_radix_sort_implINS0_14default_configELb0EPKhPhPKlPlN2at6native12_GLOBAL__N_18offset_tEEE10hipError_tPvRmT1_PNSt15iterator_traitsIS12_E10value_typeET2_T3_PNS13_IS18_E10value_typeET4_jRbjT5_S1E_jjP12ihipStream_tbEUljE_ZNSN_ISO_Lb0ESQ_SR_ST_SU_SY_EESZ_S10_S11_S12_S16_S17_S18_S1B_S1C_jS1D_jS1E_S1E_jjS1G_bEUljE0_EEESZ_S10_S11_S18_S1C_S1E_T6_T7_T9_mT8_S1G_bDpT10_ENKUlT_T0_E_clISt17integral_constantIbLb0EES1T_IbLb1EEEEDaS1P_S1Q_EUlS1P_E_NS1_11comp_targetILNS1_3genE5ELNS1_11target_archE942ELNS1_3gpuE9ELNS1_3repE0EEENS1_30default_config_static_selectorELNS0_4arch9wavefront6targetE0EEEvS12_.num_named_barrier, 0
	.set _ZN7rocprim17ROCPRIM_400000_NS6detail17trampoline_kernelINS0_13select_configILj256ELj13ELNS0_17block_load_methodE3ELS4_3ELS4_3ELNS0_20block_scan_algorithmE0ELj4294967295EEENS1_25partition_config_selectorILNS1_17partition_subalgoE4EjNS0_10empty_typeEbEEZZNS1_14partition_implILS8_4ELb0ES6_15HIP_vector_typeIjLj2EENS0_17counting_iteratorIjlEEPS9_SG_NS0_5tupleIJPjSI_NS0_16reverse_iteratorISI_EEEEENSH_IJSG_SG_SG_EEES9_SI_JZNS1_25segmented_radix_sort_implINS0_14default_configELb0EPKhPhPKlPlN2at6native12_GLOBAL__N_18offset_tEEE10hipError_tPvRmT1_PNSt15iterator_traitsIS12_E10value_typeET2_T3_PNS13_IS18_E10value_typeET4_jRbjT5_S1E_jjP12ihipStream_tbEUljE_ZNSN_ISO_Lb0ESQ_SR_ST_SU_SY_EESZ_S10_S11_S12_S16_S17_S18_S1B_S1C_jS1D_jS1E_S1E_jjS1G_bEUljE0_EEESZ_S10_S11_S18_S1C_S1E_T6_T7_T9_mT8_S1G_bDpT10_ENKUlT_T0_E_clISt17integral_constantIbLb0EES1T_IbLb1EEEEDaS1P_S1Q_EUlS1P_E_NS1_11comp_targetILNS1_3genE5ELNS1_11target_archE942ELNS1_3gpuE9ELNS1_3repE0EEENS1_30default_config_static_selectorELNS0_4arch9wavefront6targetE0EEEvS12_.private_seg_size, 0
	.set _ZN7rocprim17ROCPRIM_400000_NS6detail17trampoline_kernelINS0_13select_configILj256ELj13ELNS0_17block_load_methodE3ELS4_3ELS4_3ELNS0_20block_scan_algorithmE0ELj4294967295EEENS1_25partition_config_selectorILNS1_17partition_subalgoE4EjNS0_10empty_typeEbEEZZNS1_14partition_implILS8_4ELb0ES6_15HIP_vector_typeIjLj2EENS0_17counting_iteratorIjlEEPS9_SG_NS0_5tupleIJPjSI_NS0_16reverse_iteratorISI_EEEEENSH_IJSG_SG_SG_EEES9_SI_JZNS1_25segmented_radix_sort_implINS0_14default_configELb0EPKhPhPKlPlN2at6native12_GLOBAL__N_18offset_tEEE10hipError_tPvRmT1_PNSt15iterator_traitsIS12_E10value_typeET2_T3_PNS13_IS18_E10value_typeET4_jRbjT5_S1E_jjP12ihipStream_tbEUljE_ZNSN_ISO_Lb0ESQ_SR_ST_SU_SY_EESZ_S10_S11_S12_S16_S17_S18_S1B_S1C_jS1D_jS1E_S1E_jjS1G_bEUljE0_EEESZ_S10_S11_S18_S1C_S1E_T6_T7_T9_mT8_S1G_bDpT10_ENKUlT_T0_E_clISt17integral_constantIbLb0EES1T_IbLb1EEEEDaS1P_S1Q_EUlS1P_E_NS1_11comp_targetILNS1_3genE5ELNS1_11target_archE942ELNS1_3gpuE9ELNS1_3repE0EEENS1_30default_config_static_selectorELNS0_4arch9wavefront6targetE0EEEvS12_.uses_vcc, 0
	.set _ZN7rocprim17ROCPRIM_400000_NS6detail17trampoline_kernelINS0_13select_configILj256ELj13ELNS0_17block_load_methodE3ELS4_3ELS4_3ELNS0_20block_scan_algorithmE0ELj4294967295EEENS1_25partition_config_selectorILNS1_17partition_subalgoE4EjNS0_10empty_typeEbEEZZNS1_14partition_implILS8_4ELb0ES6_15HIP_vector_typeIjLj2EENS0_17counting_iteratorIjlEEPS9_SG_NS0_5tupleIJPjSI_NS0_16reverse_iteratorISI_EEEEENSH_IJSG_SG_SG_EEES9_SI_JZNS1_25segmented_radix_sort_implINS0_14default_configELb0EPKhPhPKlPlN2at6native12_GLOBAL__N_18offset_tEEE10hipError_tPvRmT1_PNSt15iterator_traitsIS12_E10value_typeET2_T3_PNS13_IS18_E10value_typeET4_jRbjT5_S1E_jjP12ihipStream_tbEUljE_ZNSN_ISO_Lb0ESQ_SR_ST_SU_SY_EESZ_S10_S11_S12_S16_S17_S18_S1B_S1C_jS1D_jS1E_S1E_jjS1G_bEUljE0_EEESZ_S10_S11_S18_S1C_S1E_T6_T7_T9_mT8_S1G_bDpT10_ENKUlT_T0_E_clISt17integral_constantIbLb0EES1T_IbLb1EEEEDaS1P_S1Q_EUlS1P_E_NS1_11comp_targetILNS1_3genE5ELNS1_11target_archE942ELNS1_3gpuE9ELNS1_3repE0EEENS1_30default_config_static_selectorELNS0_4arch9wavefront6targetE0EEEvS12_.uses_flat_scratch, 0
	.set _ZN7rocprim17ROCPRIM_400000_NS6detail17trampoline_kernelINS0_13select_configILj256ELj13ELNS0_17block_load_methodE3ELS4_3ELS4_3ELNS0_20block_scan_algorithmE0ELj4294967295EEENS1_25partition_config_selectorILNS1_17partition_subalgoE4EjNS0_10empty_typeEbEEZZNS1_14partition_implILS8_4ELb0ES6_15HIP_vector_typeIjLj2EENS0_17counting_iteratorIjlEEPS9_SG_NS0_5tupleIJPjSI_NS0_16reverse_iteratorISI_EEEEENSH_IJSG_SG_SG_EEES9_SI_JZNS1_25segmented_radix_sort_implINS0_14default_configELb0EPKhPhPKlPlN2at6native12_GLOBAL__N_18offset_tEEE10hipError_tPvRmT1_PNSt15iterator_traitsIS12_E10value_typeET2_T3_PNS13_IS18_E10value_typeET4_jRbjT5_S1E_jjP12ihipStream_tbEUljE_ZNSN_ISO_Lb0ESQ_SR_ST_SU_SY_EESZ_S10_S11_S12_S16_S17_S18_S1B_S1C_jS1D_jS1E_S1E_jjS1G_bEUljE0_EEESZ_S10_S11_S18_S1C_S1E_T6_T7_T9_mT8_S1G_bDpT10_ENKUlT_T0_E_clISt17integral_constantIbLb0EES1T_IbLb1EEEEDaS1P_S1Q_EUlS1P_E_NS1_11comp_targetILNS1_3genE5ELNS1_11target_archE942ELNS1_3gpuE9ELNS1_3repE0EEENS1_30default_config_static_selectorELNS0_4arch9wavefront6targetE0EEEvS12_.has_dyn_sized_stack, 0
	.set _ZN7rocprim17ROCPRIM_400000_NS6detail17trampoline_kernelINS0_13select_configILj256ELj13ELNS0_17block_load_methodE3ELS4_3ELS4_3ELNS0_20block_scan_algorithmE0ELj4294967295EEENS1_25partition_config_selectorILNS1_17partition_subalgoE4EjNS0_10empty_typeEbEEZZNS1_14partition_implILS8_4ELb0ES6_15HIP_vector_typeIjLj2EENS0_17counting_iteratorIjlEEPS9_SG_NS0_5tupleIJPjSI_NS0_16reverse_iteratorISI_EEEEENSH_IJSG_SG_SG_EEES9_SI_JZNS1_25segmented_radix_sort_implINS0_14default_configELb0EPKhPhPKlPlN2at6native12_GLOBAL__N_18offset_tEEE10hipError_tPvRmT1_PNSt15iterator_traitsIS12_E10value_typeET2_T3_PNS13_IS18_E10value_typeET4_jRbjT5_S1E_jjP12ihipStream_tbEUljE_ZNSN_ISO_Lb0ESQ_SR_ST_SU_SY_EESZ_S10_S11_S12_S16_S17_S18_S1B_S1C_jS1D_jS1E_S1E_jjS1G_bEUljE0_EEESZ_S10_S11_S18_S1C_S1E_T6_T7_T9_mT8_S1G_bDpT10_ENKUlT_T0_E_clISt17integral_constantIbLb0EES1T_IbLb1EEEEDaS1P_S1Q_EUlS1P_E_NS1_11comp_targetILNS1_3genE5ELNS1_11target_archE942ELNS1_3gpuE9ELNS1_3repE0EEENS1_30default_config_static_selectorELNS0_4arch9wavefront6targetE0EEEvS12_.has_recursion, 0
	.set _ZN7rocprim17ROCPRIM_400000_NS6detail17trampoline_kernelINS0_13select_configILj256ELj13ELNS0_17block_load_methodE3ELS4_3ELS4_3ELNS0_20block_scan_algorithmE0ELj4294967295EEENS1_25partition_config_selectorILNS1_17partition_subalgoE4EjNS0_10empty_typeEbEEZZNS1_14partition_implILS8_4ELb0ES6_15HIP_vector_typeIjLj2EENS0_17counting_iteratorIjlEEPS9_SG_NS0_5tupleIJPjSI_NS0_16reverse_iteratorISI_EEEEENSH_IJSG_SG_SG_EEES9_SI_JZNS1_25segmented_radix_sort_implINS0_14default_configELb0EPKhPhPKlPlN2at6native12_GLOBAL__N_18offset_tEEE10hipError_tPvRmT1_PNSt15iterator_traitsIS12_E10value_typeET2_T3_PNS13_IS18_E10value_typeET4_jRbjT5_S1E_jjP12ihipStream_tbEUljE_ZNSN_ISO_Lb0ESQ_SR_ST_SU_SY_EESZ_S10_S11_S12_S16_S17_S18_S1B_S1C_jS1D_jS1E_S1E_jjS1G_bEUljE0_EEESZ_S10_S11_S18_S1C_S1E_T6_T7_T9_mT8_S1G_bDpT10_ENKUlT_T0_E_clISt17integral_constantIbLb0EES1T_IbLb1EEEEDaS1P_S1Q_EUlS1P_E_NS1_11comp_targetILNS1_3genE5ELNS1_11target_archE942ELNS1_3gpuE9ELNS1_3repE0EEENS1_30default_config_static_selectorELNS0_4arch9wavefront6targetE0EEEvS12_.has_indirect_call, 0
	.section	.AMDGPU.csdata,"",@progbits
; Kernel info:
; codeLenInByte = 0
; TotalNumSgprs: 0
; NumVgprs: 0
; ScratchSize: 0
; MemoryBound: 0
; FloatMode: 240
; IeeeMode: 1
; LDSByteSize: 0 bytes/workgroup (compile time only)
; SGPRBlocks: 0
; VGPRBlocks: 0
; NumSGPRsForWavesPerEU: 1
; NumVGPRsForWavesPerEU: 1
; NamedBarCnt: 0
; Occupancy: 16
; WaveLimiterHint : 0
; COMPUTE_PGM_RSRC2:SCRATCH_EN: 0
; COMPUTE_PGM_RSRC2:USER_SGPR: 2
; COMPUTE_PGM_RSRC2:TRAP_HANDLER: 0
; COMPUTE_PGM_RSRC2:TGID_X_EN: 1
; COMPUTE_PGM_RSRC2:TGID_Y_EN: 0
; COMPUTE_PGM_RSRC2:TGID_Z_EN: 0
; COMPUTE_PGM_RSRC2:TIDIG_COMP_CNT: 0
	.section	.text._ZN7rocprim17ROCPRIM_400000_NS6detail17trampoline_kernelINS0_13select_configILj256ELj13ELNS0_17block_load_methodE3ELS4_3ELS4_3ELNS0_20block_scan_algorithmE0ELj4294967295EEENS1_25partition_config_selectorILNS1_17partition_subalgoE4EjNS0_10empty_typeEbEEZZNS1_14partition_implILS8_4ELb0ES6_15HIP_vector_typeIjLj2EENS0_17counting_iteratorIjlEEPS9_SG_NS0_5tupleIJPjSI_NS0_16reverse_iteratorISI_EEEEENSH_IJSG_SG_SG_EEES9_SI_JZNS1_25segmented_radix_sort_implINS0_14default_configELb0EPKhPhPKlPlN2at6native12_GLOBAL__N_18offset_tEEE10hipError_tPvRmT1_PNSt15iterator_traitsIS12_E10value_typeET2_T3_PNS13_IS18_E10value_typeET4_jRbjT5_S1E_jjP12ihipStream_tbEUljE_ZNSN_ISO_Lb0ESQ_SR_ST_SU_SY_EESZ_S10_S11_S12_S16_S17_S18_S1B_S1C_jS1D_jS1E_S1E_jjS1G_bEUljE0_EEESZ_S10_S11_S18_S1C_S1E_T6_T7_T9_mT8_S1G_bDpT10_ENKUlT_T0_E_clISt17integral_constantIbLb0EES1T_IbLb1EEEEDaS1P_S1Q_EUlS1P_E_NS1_11comp_targetILNS1_3genE4ELNS1_11target_archE910ELNS1_3gpuE8ELNS1_3repE0EEENS1_30default_config_static_selectorELNS0_4arch9wavefront6targetE0EEEvS12_,"axG",@progbits,_ZN7rocprim17ROCPRIM_400000_NS6detail17trampoline_kernelINS0_13select_configILj256ELj13ELNS0_17block_load_methodE3ELS4_3ELS4_3ELNS0_20block_scan_algorithmE0ELj4294967295EEENS1_25partition_config_selectorILNS1_17partition_subalgoE4EjNS0_10empty_typeEbEEZZNS1_14partition_implILS8_4ELb0ES6_15HIP_vector_typeIjLj2EENS0_17counting_iteratorIjlEEPS9_SG_NS0_5tupleIJPjSI_NS0_16reverse_iteratorISI_EEEEENSH_IJSG_SG_SG_EEES9_SI_JZNS1_25segmented_radix_sort_implINS0_14default_configELb0EPKhPhPKlPlN2at6native12_GLOBAL__N_18offset_tEEE10hipError_tPvRmT1_PNSt15iterator_traitsIS12_E10value_typeET2_T3_PNS13_IS18_E10value_typeET4_jRbjT5_S1E_jjP12ihipStream_tbEUljE_ZNSN_ISO_Lb0ESQ_SR_ST_SU_SY_EESZ_S10_S11_S12_S16_S17_S18_S1B_S1C_jS1D_jS1E_S1E_jjS1G_bEUljE0_EEESZ_S10_S11_S18_S1C_S1E_T6_T7_T9_mT8_S1G_bDpT10_ENKUlT_T0_E_clISt17integral_constantIbLb0EES1T_IbLb1EEEEDaS1P_S1Q_EUlS1P_E_NS1_11comp_targetILNS1_3genE4ELNS1_11target_archE910ELNS1_3gpuE8ELNS1_3repE0EEENS1_30default_config_static_selectorELNS0_4arch9wavefront6targetE0EEEvS12_,comdat
	.globl	_ZN7rocprim17ROCPRIM_400000_NS6detail17trampoline_kernelINS0_13select_configILj256ELj13ELNS0_17block_load_methodE3ELS4_3ELS4_3ELNS0_20block_scan_algorithmE0ELj4294967295EEENS1_25partition_config_selectorILNS1_17partition_subalgoE4EjNS0_10empty_typeEbEEZZNS1_14partition_implILS8_4ELb0ES6_15HIP_vector_typeIjLj2EENS0_17counting_iteratorIjlEEPS9_SG_NS0_5tupleIJPjSI_NS0_16reverse_iteratorISI_EEEEENSH_IJSG_SG_SG_EEES9_SI_JZNS1_25segmented_radix_sort_implINS0_14default_configELb0EPKhPhPKlPlN2at6native12_GLOBAL__N_18offset_tEEE10hipError_tPvRmT1_PNSt15iterator_traitsIS12_E10value_typeET2_T3_PNS13_IS18_E10value_typeET4_jRbjT5_S1E_jjP12ihipStream_tbEUljE_ZNSN_ISO_Lb0ESQ_SR_ST_SU_SY_EESZ_S10_S11_S12_S16_S17_S18_S1B_S1C_jS1D_jS1E_S1E_jjS1G_bEUljE0_EEESZ_S10_S11_S18_S1C_S1E_T6_T7_T9_mT8_S1G_bDpT10_ENKUlT_T0_E_clISt17integral_constantIbLb0EES1T_IbLb1EEEEDaS1P_S1Q_EUlS1P_E_NS1_11comp_targetILNS1_3genE4ELNS1_11target_archE910ELNS1_3gpuE8ELNS1_3repE0EEENS1_30default_config_static_selectorELNS0_4arch9wavefront6targetE0EEEvS12_ ; -- Begin function _ZN7rocprim17ROCPRIM_400000_NS6detail17trampoline_kernelINS0_13select_configILj256ELj13ELNS0_17block_load_methodE3ELS4_3ELS4_3ELNS0_20block_scan_algorithmE0ELj4294967295EEENS1_25partition_config_selectorILNS1_17partition_subalgoE4EjNS0_10empty_typeEbEEZZNS1_14partition_implILS8_4ELb0ES6_15HIP_vector_typeIjLj2EENS0_17counting_iteratorIjlEEPS9_SG_NS0_5tupleIJPjSI_NS0_16reverse_iteratorISI_EEEEENSH_IJSG_SG_SG_EEES9_SI_JZNS1_25segmented_radix_sort_implINS0_14default_configELb0EPKhPhPKlPlN2at6native12_GLOBAL__N_18offset_tEEE10hipError_tPvRmT1_PNSt15iterator_traitsIS12_E10value_typeET2_T3_PNS13_IS18_E10value_typeET4_jRbjT5_S1E_jjP12ihipStream_tbEUljE_ZNSN_ISO_Lb0ESQ_SR_ST_SU_SY_EESZ_S10_S11_S12_S16_S17_S18_S1B_S1C_jS1D_jS1E_S1E_jjS1G_bEUljE0_EEESZ_S10_S11_S18_S1C_S1E_T6_T7_T9_mT8_S1G_bDpT10_ENKUlT_T0_E_clISt17integral_constantIbLb0EES1T_IbLb1EEEEDaS1P_S1Q_EUlS1P_E_NS1_11comp_targetILNS1_3genE4ELNS1_11target_archE910ELNS1_3gpuE8ELNS1_3repE0EEENS1_30default_config_static_selectorELNS0_4arch9wavefront6targetE0EEEvS12_
	.p2align	8
	.type	_ZN7rocprim17ROCPRIM_400000_NS6detail17trampoline_kernelINS0_13select_configILj256ELj13ELNS0_17block_load_methodE3ELS4_3ELS4_3ELNS0_20block_scan_algorithmE0ELj4294967295EEENS1_25partition_config_selectorILNS1_17partition_subalgoE4EjNS0_10empty_typeEbEEZZNS1_14partition_implILS8_4ELb0ES6_15HIP_vector_typeIjLj2EENS0_17counting_iteratorIjlEEPS9_SG_NS0_5tupleIJPjSI_NS0_16reverse_iteratorISI_EEEEENSH_IJSG_SG_SG_EEES9_SI_JZNS1_25segmented_radix_sort_implINS0_14default_configELb0EPKhPhPKlPlN2at6native12_GLOBAL__N_18offset_tEEE10hipError_tPvRmT1_PNSt15iterator_traitsIS12_E10value_typeET2_T3_PNS13_IS18_E10value_typeET4_jRbjT5_S1E_jjP12ihipStream_tbEUljE_ZNSN_ISO_Lb0ESQ_SR_ST_SU_SY_EESZ_S10_S11_S12_S16_S17_S18_S1B_S1C_jS1D_jS1E_S1E_jjS1G_bEUljE0_EEESZ_S10_S11_S18_S1C_S1E_T6_T7_T9_mT8_S1G_bDpT10_ENKUlT_T0_E_clISt17integral_constantIbLb0EES1T_IbLb1EEEEDaS1P_S1Q_EUlS1P_E_NS1_11comp_targetILNS1_3genE4ELNS1_11target_archE910ELNS1_3gpuE8ELNS1_3repE0EEENS1_30default_config_static_selectorELNS0_4arch9wavefront6targetE0EEEvS12_,@function
_ZN7rocprim17ROCPRIM_400000_NS6detail17trampoline_kernelINS0_13select_configILj256ELj13ELNS0_17block_load_methodE3ELS4_3ELS4_3ELNS0_20block_scan_algorithmE0ELj4294967295EEENS1_25partition_config_selectorILNS1_17partition_subalgoE4EjNS0_10empty_typeEbEEZZNS1_14partition_implILS8_4ELb0ES6_15HIP_vector_typeIjLj2EENS0_17counting_iteratorIjlEEPS9_SG_NS0_5tupleIJPjSI_NS0_16reverse_iteratorISI_EEEEENSH_IJSG_SG_SG_EEES9_SI_JZNS1_25segmented_radix_sort_implINS0_14default_configELb0EPKhPhPKlPlN2at6native12_GLOBAL__N_18offset_tEEE10hipError_tPvRmT1_PNSt15iterator_traitsIS12_E10value_typeET2_T3_PNS13_IS18_E10value_typeET4_jRbjT5_S1E_jjP12ihipStream_tbEUljE_ZNSN_ISO_Lb0ESQ_SR_ST_SU_SY_EESZ_S10_S11_S12_S16_S17_S18_S1B_S1C_jS1D_jS1E_S1E_jjS1G_bEUljE0_EEESZ_S10_S11_S18_S1C_S1E_T6_T7_T9_mT8_S1G_bDpT10_ENKUlT_T0_E_clISt17integral_constantIbLb0EES1T_IbLb1EEEEDaS1P_S1Q_EUlS1P_E_NS1_11comp_targetILNS1_3genE4ELNS1_11target_archE910ELNS1_3gpuE8ELNS1_3repE0EEENS1_30default_config_static_selectorELNS0_4arch9wavefront6targetE0EEEvS12_: ; @_ZN7rocprim17ROCPRIM_400000_NS6detail17trampoline_kernelINS0_13select_configILj256ELj13ELNS0_17block_load_methodE3ELS4_3ELS4_3ELNS0_20block_scan_algorithmE0ELj4294967295EEENS1_25partition_config_selectorILNS1_17partition_subalgoE4EjNS0_10empty_typeEbEEZZNS1_14partition_implILS8_4ELb0ES6_15HIP_vector_typeIjLj2EENS0_17counting_iteratorIjlEEPS9_SG_NS0_5tupleIJPjSI_NS0_16reverse_iteratorISI_EEEEENSH_IJSG_SG_SG_EEES9_SI_JZNS1_25segmented_radix_sort_implINS0_14default_configELb0EPKhPhPKlPlN2at6native12_GLOBAL__N_18offset_tEEE10hipError_tPvRmT1_PNSt15iterator_traitsIS12_E10value_typeET2_T3_PNS13_IS18_E10value_typeET4_jRbjT5_S1E_jjP12ihipStream_tbEUljE_ZNSN_ISO_Lb0ESQ_SR_ST_SU_SY_EESZ_S10_S11_S12_S16_S17_S18_S1B_S1C_jS1D_jS1E_S1E_jjS1G_bEUljE0_EEESZ_S10_S11_S18_S1C_S1E_T6_T7_T9_mT8_S1G_bDpT10_ENKUlT_T0_E_clISt17integral_constantIbLb0EES1T_IbLb1EEEEDaS1P_S1Q_EUlS1P_E_NS1_11comp_targetILNS1_3genE4ELNS1_11target_archE910ELNS1_3gpuE8ELNS1_3repE0EEENS1_30default_config_static_selectorELNS0_4arch9wavefront6targetE0EEEvS12_
; %bb.0:
	.section	.rodata,"a",@progbits
	.p2align	6, 0x0
	.amdhsa_kernel _ZN7rocprim17ROCPRIM_400000_NS6detail17trampoline_kernelINS0_13select_configILj256ELj13ELNS0_17block_load_methodE3ELS4_3ELS4_3ELNS0_20block_scan_algorithmE0ELj4294967295EEENS1_25partition_config_selectorILNS1_17partition_subalgoE4EjNS0_10empty_typeEbEEZZNS1_14partition_implILS8_4ELb0ES6_15HIP_vector_typeIjLj2EENS0_17counting_iteratorIjlEEPS9_SG_NS0_5tupleIJPjSI_NS0_16reverse_iteratorISI_EEEEENSH_IJSG_SG_SG_EEES9_SI_JZNS1_25segmented_radix_sort_implINS0_14default_configELb0EPKhPhPKlPlN2at6native12_GLOBAL__N_18offset_tEEE10hipError_tPvRmT1_PNSt15iterator_traitsIS12_E10value_typeET2_T3_PNS13_IS18_E10value_typeET4_jRbjT5_S1E_jjP12ihipStream_tbEUljE_ZNSN_ISO_Lb0ESQ_SR_ST_SU_SY_EESZ_S10_S11_S12_S16_S17_S18_S1B_S1C_jS1D_jS1E_S1E_jjS1G_bEUljE0_EEESZ_S10_S11_S18_S1C_S1E_T6_T7_T9_mT8_S1G_bDpT10_ENKUlT_T0_E_clISt17integral_constantIbLb0EES1T_IbLb1EEEEDaS1P_S1Q_EUlS1P_E_NS1_11comp_targetILNS1_3genE4ELNS1_11target_archE910ELNS1_3gpuE8ELNS1_3repE0EEENS1_30default_config_static_selectorELNS0_4arch9wavefront6targetE0EEEvS12_
		.amdhsa_group_segment_fixed_size 0
		.amdhsa_private_segment_fixed_size 0
		.amdhsa_kernarg_size 184
		.amdhsa_user_sgpr_count 2
		.amdhsa_user_sgpr_dispatch_ptr 0
		.amdhsa_user_sgpr_queue_ptr 0
		.amdhsa_user_sgpr_kernarg_segment_ptr 1
		.amdhsa_user_sgpr_dispatch_id 0
		.amdhsa_user_sgpr_kernarg_preload_length 0
		.amdhsa_user_sgpr_kernarg_preload_offset 0
		.amdhsa_user_sgpr_private_segment_size 0
		.amdhsa_wavefront_size32 1
		.amdhsa_uses_dynamic_stack 0
		.amdhsa_enable_private_segment 0
		.amdhsa_system_sgpr_workgroup_id_x 1
		.amdhsa_system_sgpr_workgroup_id_y 0
		.amdhsa_system_sgpr_workgroup_id_z 0
		.amdhsa_system_sgpr_workgroup_info 0
		.amdhsa_system_vgpr_workitem_id 0
		.amdhsa_next_free_vgpr 1
		.amdhsa_next_free_sgpr 1
		.amdhsa_named_barrier_count 0
		.amdhsa_reserve_vcc 0
		.amdhsa_float_round_mode_32 0
		.amdhsa_float_round_mode_16_64 0
		.amdhsa_float_denorm_mode_32 3
		.amdhsa_float_denorm_mode_16_64 3
		.amdhsa_fp16_overflow 0
		.amdhsa_memory_ordered 1
		.amdhsa_forward_progress 1
		.amdhsa_inst_pref_size 0
		.amdhsa_round_robin_scheduling 0
		.amdhsa_exception_fp_ieee_invalid_op 0
		.amdhsa_exception_fp_denorm_src 0
		.amdhsa_exception_fp_ieee_div_zero 0
		.amdhsa_exception_fp_ieee_overflow 0
		.amdhsa_exception_fp_ieee_underflow 0
		.amdhsa_exception_fp_ieee_inexact 0
		.amdhsa_exception_int_div_zero 0
	.end_amdhsa_kernel
	.section	.text._ZN7rocprim17ROCPRIM_400000_NS6detail17trampoline_kernelINS0_13select_configILj256ELj13ELNS0_17block_load_methodE3ELS4_3ELS4_3ELNS0_20block_scan_algorithmE0ELj4294967295EEENS1_25partition_config_selectorILNS1_17partition_subalgoE4EjNS0_10empty_typeEbEEZZNS1_14partition_implILS8_4ELb0ES6_15HIP_vector_typeIjLj2EENS0_17counting_iteratorIjlEEPS9_SG_NS0_5tupleIJPjSI_NS0_16reverse_iteratorISI_EEEEENSH_IJSG_SG_SG_EEES9_SI_JZNS1_25segmented_radix_sort_implINS0_14default_configELb0EPKhPhPKlPlN2at6native12_GLOBAL__N_18offset_tEEE10hipError_tPvRmT1_PNSt15iterator_traitsIS12_E10value_typeET2_T3_PNS13_IS18_E10value_typeET4_jRbjT5_S1E_jjP12ihipStream_tbEUljE_ZNSN_ISO_Lb0ESQ_SR_ST_SU_SY_EESZ_S10_S11_S12_S16_S17_S18_S1B_S1C_jS1D_jS1E_S1E_jjS1G_bEUljE0_EEESZ_S10_S11_S18_S1C_S1E_T6_T7_T9_mT8_S1G_bDpT10_ENKUlT_T0_E_clISt17integral_constantIbLb0EES1T_IbLb1EEEEDaS1P_S1Q_EUlS1P_E_NS1_11comp_targetILNS1_3genE4ELNS1_11target_archE910ELNS1_3gpuE8ELNS1_3repE0EEENS1_30default_config_static_selectorELNS0_4arch9wavefront6targetE0EEEvS12_,"axG",@progbits,_ZN7rocprim17ROCPRIM_400000_NS6detail17trampoline_kernelINS0_13select_configILj256ELj13ELNS0_17block_load_methodE3ELS4_3ELS4_3ELNS0_20block_scan_algorithmE0ELj4294967295EEENS1_25partition_config_selectorILNS1_17partition_subalgoE4EjNS0_10empty_typeEbEEZZNS1_14partition_implILS8_4ELb0ES6_15HIP_vector_typeIjLj2EENS0_17counting_iteratorIjlEEPS9_SG_NS0_5tupleIJPjSI_NS0_16reverse_iteratorISI_EEEEENSH_IJSG_SG_SG_EEES9_SI_JZNS1_25segmented_radix_sort_implINS0_14default_configELb0EPKhPhPKlPlN2at6native12_GLOBAL__N_18offset_tEEE10hipError_tPvRmT1_PNSt15iterator_traitsIS12_E10value_typeET2_T3_PNS13_IS18_E10value_typeET4_jRbjT5_S1E_jjP12ihipStream_tbEUljE_ZNSN_ISO_Lb0ESQ_SR_ST_SU_SY_EESZ_S10_S11_S12_S16_S17_S18_S1B_S1C_jS1D_jS1E_S1E_jjS1G_bEUljE0_EEESZ_S10_S11_S18_S1C_S1E_T6_T7_T9_mT8_S1G_bDpT10_ENKUlT_T0_E_clISt17integral_constantIbLb0EES1T_IbLb1EEEEDaS1P_S1Q_EUlS1P_E_NS1_11comp_targetILNS1_3genE4ELNS1_11target_archE910ELNS1_3gpuE8ELNS1_3repE0EEENS1_30default_config_static_selectorELNS0_4arch9wavefront6targetE0EEEvS12_,comdat
.Lfunc_end147:
	.size	_ZN7rocprim17ROCPRIM_400000_NS6detail17trampoline_kernelINS0_13select_configILj256ELj13ELNS0_17block_load_methodE3ELS4_3ELS4_3ELNS0_20block_scan_algorithmE0ELj4294967295EEENS1_25partition_config_selectorILNS1_17partition_subalgoE4EjNS0_10empty_typeEbEEZZNS1_14partition_implILS8_4ELb0ES6_15HIP_vector_typeIjLj2EENS0_17counting_iteratorIjlEEPS9_SG_NS0_5tupleIJPjSI_NS0_16reverse_iteratorISI_EEEEENSH_IJSG_SG_SG_EEES9_SI_JZNS1_25segmented_radix_sort_implINS0_14default_configELb0EPKhPhPKlPlN2at6native12_GLOBAL__N_18offset_tEEE10hipError_tPvRmT1_PNSt15iterator_traitsIS12_E10value_typeET2_T3_PNS13_IS18_E10value_typeET4_jRbjT5_S1E_jjP12ihipStream_tbEUljE_ZNSN_ISO_Lb0ESQ_SR_ST_SU_SY_EESZ_S10_S11_S12_S16_S17_S18_S1B_S1C_jS1D_jS1E_S1E_jjS1G_bEUljE0_EEESZ_S10_S11_S18_S1C_S1E_T6_T7_T9_mT8_S1G_bDpT10_ENKUlT_T0_E_clISt17integral_constantIbLb0EES1T_IbLb1EEEEDaS1P_S1Q_EUlS1P_E_NS1_11comp_targetILNS1_3genE4ELNS1_11target_archE910ELNS1_3gpuE8ELNS1_3repE0EEENS1_30default_config_static_selectorELNS0_4arch9wavefront6targetE0EEEvS12_, .Lfunc_end147-_ZN7rocprim17ROCPRIM_400000_NS6detail17trampoline_kernelINS0_13select_configILj256ELj13ELNS0_17block_load_methodE3ELS4_3ELS4_3ELNS0_20block_scan_algorithmE0ELj4294967295EEENS1_25partition_config_selectorILNS1_17partition_subalgoE4EjNS0_10empty_typeEbEEZZNS1_14partition_implILS8_4ELb0ES6_15HIP_vector_typeIjLj2EENS0_17counting_iteratorIjlEEPS9_SG_NS0_5tupleIJPjSI_NS0_16reverse_iteratorISI_EEEEENSH_IJSG_SG_SG_EEES9_SI_JZNS1_25segmented_radix_sort_implINS0_14default_configELb0EPKhPhPKlPlN2at6native12_GLOBAL__N_18offset_tEEE10hipError_tPvRmT1_PNSt15iterator_traitsIS12_E10value_typeET2_T3_PNS13_IS18_E10value_typeET4_jRbjT5_S1E_jjP12ihipStream_tbEUljE_ZNSN_ISO_Lb0ESQ_SR_ST_SU_SY_EESZ_S10_S11_S12_S16_S17_S18_S1B_S1C_jS1D_jS1E_S1E_jjS1G_bEUljE0_EEESZ_S10_S11_S18_S1C_S1E_T6_T7_T9_mT8_S1G_bDpT10_ENKUlT_T0_E_clISt17integral_constantIbLb0EES1T_IbLb1EEEEDaS1P_S1Q_EUlS1P_E_NS1_11comp_targetILNS1_3genE4ELNS1_11target_archE910ELNS1_3gpuE8ELNS1_3repE0EEENS1_30default_config_static_selectorELNS0_4arch9wavefront6targetE0EEEvS12_
                                        ; -- End function
	.set _ZN7rocprim17ROCPRIM_400000_NS6detail17trampoline_kernelINS0_13select_configILj256ELj13ELNS0_17block_load_methodE3ELS4_3ELS4_3ELNS0_20block_scan_algorithmE0ELj4294967295EEENS1_25partition_config_selectorILNS1_17partition_subalgoE4EjNS0_10empty_typeEbEEZZNS1_14partition_implILS8_4ELb0ES6_15HIP_vector_typeIjLj2EENS0_17counting_iteratorIjlEEPS9_SG_NS0_5tupleIJPjSI_NS0_16reverse_iteratorISI_EEEEENSH_IJSG_SG_SG_EEES9_SI_JZNS1_25segmented_radix_sort_implINS0_14default_configELb0EPKhPhPKlPlN2at6native12_GLOBAL__N_18offset_tEEE10hipError_tPvRmT1_PNSt15iterator_traitsIS12_E10value_typeET2_T3_PNS13_IS18_E10value_typeET4_jRbjT5_S1E_jjP12ihipStream_tbEUljE_ZNSN_ISO_Lb0ESQ_SR_ST_SU_SY_EESZ_S10_S11_S12_S16_S17_S18_S1B_S1C_jS1D_jS1E_S1E_jjS1G_bEUljE0_EEESZ_S10_S11_S18_S1C_S1E_T6_T7_T9_mT8_S1G_bDpT10_ENKUlT_T0_E_clISt17integral_constantIbLb0EES1T_IbLb1EEEEDaS1P_S1Q_EUlS1P_E_NS1_11comp_targetILNS1_3genE4ELNS1_11target_archE910ELNS1_3gpuE8ELNS1_3repE0EEENS1_30default_config_static_selectorELNS0_4arch9wavefront6targetE0EEEvS12_.num_vgpr, 0
	.set _ZN7rocprim17ROCPRIM_400000_NS6detail17trampoline_kernelINS0_13select_configILj256ELj13ELNS0_17block_load_methodE3ELS4_3ELS4_3ELNS0_20block_scan_algorithmE0ELj4294967295EEENS1_25partition_config_selectorILNS1_17partition_subalgoE4EjNS0_10empty_typeEbEEZZNS1_14partition_implILS8_4ELb0ES6_15HIP_vector_typeIjLj2EENS0_17counting_iteratorIjlEEPS9_SG_NS0_5tupleIJPjSI_NS0_16reverse_iteratorISI_EEEEENSH_IJSG_SG_SG_EEES9_SI_JZNS1_25segmented_radix_sort_implINS0_14default_configELb0EPKhPhPKlPlN2at6native12_GLOBAL__N_18offset_tEEE10hipError_tPvRmT1_PNSt15iterator_traitsIS12_E10value_typeET2_T3_PNS13_IS18_E10value_typeET4_jRbjT5_S1E_jjP12ihipStream_tbEUljE_ZNSN_ISO_Lb0ESQ_SR_ST_SU_SY_EESZ_S10_S11_S12_S16_S17_S18_S1B_S1C_jS1D_jS1E_S1E_jjS1G_bEUljE0_EEESZ_S10_S11_S18_S1C_S1E_T6_T7_T9_mT8_S1G_bDpT10_ENKUlT_T0_E_clISt17integral_constantIbLb0EES1T_IbLb1EEEEDaS1P_S1Q_EUlS1P_E_NS1_11comp_targetILNS1_3genE4ELNS1_11target_archE910ELNS1_3gpuE8ELNS1_3repE0EEENS1_30default_config_static_selectorELNS0_4arch9wavefront6targetE0EEEvS12_.num_agpr, 0
	.set _ZN7rocprim17ROCPRIM_400000_NS6detail17trampoline_kernelINS0_13select_configILj256ELj13ELNS0_17block_load_methodE3ELS4_3ELS4_3ELNS0_20block_scan_algorithmE0ELj4294967295EEENS1_25partition_config_selectorILNS1_17partition_subalgoE4EjNS0_10empty_typeEbEEZZNS1_14partition_implILS8_4ELb0ES6_15HIP_vector_typeIjLj2EENS0_17counting_iteratorIjlEEPS9_SG_NS0_5tupleIJPjSI_NS0_16reverse_iteratorISI_EEEEENSH_IJSG_SG_SG_EEES9_SI_JZNS1_25segmented_radix_sort_implINS0_14default_configELb0EPKhPhPKlPlN2at6native12_GLOBAL__N_18offset_tEEE10hipError_tPvRmT1_PNSt15iterator_traitsIS12_E10value_typeET2_T3_PNS13_IS18_E10value_typeET4_jRbjT5_S1E_jjP12ihipStream_tbEUljE_ZNSN_ISO_Lb0ESQ_SR_ST_SU_SY_EESZ_S10_S11_S12_S16_S17_S18_S1B_S1C_jS1D_jS1E_S1E_jjS1G_bEUljE0_EEESZ_S10_S11_S18_S1C_S1E_T6_T7_T9_mT8_S1G_bDpT10_ENKUlT_T0_E_clISt17integral_constantIbLb0EES1T_IbLb1EEEEDaS1P_S1Q_EUlS1P_E_NS1_11comp_targetILNS1_3genE4ELNS1_11target_archE910ELNS1_3gpuE8ELNS1_3repE0EEENS1_30default_config_static_selectorELNS0_4arch9wavefront6targetE0EEEvS12_.numbered_sgpr, 0
	.set _ZN7rocprim17ROCPRIM_400000_NS6detail17trampoline_kernelINS0_13select_configILj256ELj13ELNS0_17block_load_methodE3ELS4_3ELS4_3ELNS0_20block_scan_algorithmE0ELj4294967295EEENS1_25partition_config_selectorILNS1_17partition_subalgoE4EjNS0_10empty_typeEbEEZZNS1_14partition_implILS8_4ELb0ES6_15HIP_vector_typeIjLj2EENS0_17counting_iteratorIjlEEPS9_SG_NS0_5tupleIJPjSI_NS0_16reverse_iteratorISI_EEEEENSH_IJSG_SG_SG_EEES9_SI_JZNS1_25segmented_radix_sort_implINS0_14default_configELb0EPKhPhPKlPlN2at6native12_GLOBAL__N_18offset_tEEE10hipError_tPvRmT1_PNSt15iterator_traitsIS12_E10value_typeET2_T3_PNS13_IS18_E10value_typeET4_jRbjT5_S1E_jjP12ihipStream_tbEUljE_ZNSN_ISO_Lb0ESQ_SR_ST_SU_SY_EESZ_S10_S11_S12_S16_S17_S18_S1B_S1C_jS1D_jS1E_S1E_jjS1G_bEUljE0_EEESZ_S10_S11_S18_S1C_S1E_T6_T7_T9_mT8_S1G_bDpT10_ENKUlT_T0_E_clISt17integral_constantIbLb0EES1T_IbLb1EEEEDaS1P_S1Q_EUlS1P_E_NS1_11comp_targetILNS1_3genE4ELNS1_11target_archE910ELNS1_3gpuE8ELNS1_3repE0EEENS1_30default_config_static_selectorELNS0_4arch9wavefront6targetE0EEEvS12_.num_named_barrier, 0
	.set _ZN7rocprim17ROCPRIM_400000_NS6detail17trampoline_kernelINS0_13select_configILj256ELj13ELNS0_17block_load_methodE3ELS4_3ELS4_3ELNS0_20block_scan_algorithmE0ELj4294967295EEENS1_25partition_config_selectorILNS1_17partition_subalgoE4EjNS0_10empty_typeEbEEZZNS1_14partition_implILS8_4ELb0ES6_15HIP_vector_typeIjLj2EENS0_17counting_iteratorIjlEEPS9_SG_NS0_5tupleIJPjSI_NS0_16reverse_iteratorISI_EEEEENSH_IJSG_SG_SG_EEES9_SI_JZNS1_25segmented_radix_sort_implINS0_14default_configELb0EPKhPhPKlPlN2at6native12_GLOBAL__N_18offset_tEEE10hipError_tPvRmT1_PNSt15iterator_traitsIS12_E10value_typeET2_T3_PNS13_IS18_E10value_typeET4_jRbjT5_S1E_jjP12ihipStream_tbEUljE_ZNSN_ISO_Lb0ESQ_SR_ST_SU_SY_EESZ_S10_S11_S12_S16_S17_S18_S1B_S1C_jS1D_jS1E_S1E_jjS1G_bEUljE0_EEESZ_S10_S11_S18_S1C_S1E_T6_T7_T9_mT8_S1G_bDpT10_ENKUlT_T0_E_clISt17integral_constantIbLb0EES1T_IbLb1EEEEDaS1P_S1Q_EUlS1P_E_NS1_11comp_targetILNS1_3genE4ELNS1_11target_archE910ELNS1_3gpuE8ELNS1_3repE0EEENS1_30default_config_static_selectorELNS0_4arch9wavefront6targetE0EEEvS12_.private_seg_size, 0
	.set _ZN7rocprim17ROCPRIM_400000_NS6detail17trampoline_kernelINS0_13select_configILj256ELj13ELNS0_17block_load_methodE3ELS4_3ELS4_3ELNS0_20block_scan_algorithmE0ELj4294967295EEENS1_25partition_config_selectorILNS1_17partition_subalgoE4EjNS0_10empty_typeEbEEZZNS1_14partition_implILS8_4ELb0ES6_15HIP_vector_typeIjLj2EENS0_17counting_iteratorIjlEEPS9_SG_NS0_5tupleIJPjSI_NS0_16reverse_iteratorISI_EEEEENSH_IJSG_SG_SG_EEES9_SI_JZNS1_25segmented_radix_sort_implINS0_14default_configELb0EPKhPhPKlPlN2at6native12_GLOBAL__N_18offset_tEEE10hipError_tPvRmT1_PNSt15iterator_traitsIS12_E10value_typeET2_T3_PNS13_IS18_E10value_typeET4_jRbjT5_S1E_jjP12ihipStream_tbEUljE_ZNSN_ISO_Lb0ESQ_SR_ST_SU_SY_EESZ_S10_S11_S12_S16_S17_S18_S1B_S1C_jS1D_jS1E_S1E_jjS1G_bEUljE0_EEESZ_S10_S11_S18_S1C_S1E_T6_T7_T9_mT8_S1G_bDpT10_ENKUlT_T0_E_clISt17integral_constantIbLb0EES1T_IbLb1EEEEDaS1P_S1Q_EUlS1P_E_NS1_11comp_targetILNS1_3genE4ELNS1_11target_archE910ELNS1_3gpuE8ELNS1_3repE0EEENS1_30default_config_static_selectorELNS0_4arch9wavefront6targetE0EEEvS12_.uses_vcc, 0
	.set _ZN7rocprim17ROCPRIM_400000_NS6detail17trampoline_kernelINS0_13select_configILj256ELj13ELNS0_17block_load_methodE3ELS4_3ELS4_3ELNS0_20block_scan_algorithmE0ELj4294967295EEENS1_25partition_config_selectorILNS1_17partition_subalgoE4EjNS0_10empty_typeEbEEZZNS1_14partition_implILS8_4ELb0ES6_15HIP_vector_typeIjLj2EENS0_17counting_iteratorIjlEEPS9_SG_NS0_5tupleIJPjSI_NS0_16reverse_iteratorISI_EEEEENSH_IJSG_SG_SG_EEES9_SI_JZNS1_25segmented_radix_sort_implINS0_14default_configELb0EPKhPhPKlPlN2at6native12_GLOBAL__N_18offset_tEEE10hipError_tPvRmT1_PNSt15iterator_traitsIS12_E10value_typeET2_T3_PNS13_IS18_E10value_typeET4_jRbjT5_S1E_jjP12ihipStream_tbEUljE_ZNSN_ISO_Lb0ESQ_SR_ST_SU_SY_EESZ_S10_S11_S12_S16_S17_S18_S1B_S1C_jS1D_jS1E_S1E_jjS1G_bEUljE0_EEESZ_S10_S11_S18_S1C_S1E_T6_T7_T9_mT8_S1G_bDpT10_ENKUlT_T0_E_clISt17integral_constantIbLb0EES1T_IbLb1EEEEDaS1P_S1Q_EUlS1P_E_NS1_11comp_targetILNS1_3genE4ELNS1_11target_archE910ELNS1_3gpuE8ELNS1_3repE0EEENS1_30default_config_static_selectorELNS0_4arch9wavefront6targetE0EEEvS12_.uses_flat_scratch, 0
	.set _ZN7rocprim17ROCPRIM_400000_NS6detail17trampoline_kernelINS0_13select_configILj256ELj13ELNS0_17block_load_methodE3ELS4_3ELS4_3ELNS0_20block_scan_algorithmE0ELj4294967295EEENS1_25partition_config_selectorILNS1_17partition_subalgoE4EjNS0_10empty_typeEbEEZZNS1_14partition_implILS8_4ELb0ES6_15HIP_vector_typeIjLj2EENS0_17counting_iteratorIjlEEPS9_SG_NS0_5tupleIJPjSI_NS0_16reverse_iteratorISI_EEEEENSH_IJSG_SG_SG_EEES9_SI_JZNS1_25segmented_radix_sort_implINS0_14default_configELb0EPKhPhPKlPlN2at6native12_GLOBAL__N_18offset_tEEE10hipError_tPvRmT1_PNSt15iterator_traitsIS12_E10value_typeET2_T3_PNS13_IS18_E10value_typeET4_jRbjT5_S1E_jjP12ihipStream_tbEUljE_ZNSN_ISO_Lb0ESQ_SR_ST_SU_SY_EESZ_S10_S11_S12_S16_S17_S18_S1B_S1C_jS1D_jS1E_S1E_jjS1G_bEUljE0_EEESZ_S10_S11_S18_S1C_S1E_T6_T7_T9_mT8_S1G_bDpT10_ENKUlT_T0_E_clISt17integral_constantIbLb0EES1T_IbLb1EEEEDaS1P_S1Q_EUlS1P_E_NS1_11comp_targetILNS1_3genE4ELNS1_11target_archE910ELNS1_3gpuE8ELNS1_3repE0EEENS1_30default_config_static_selectorELNS0_4arch9wavefront6targetE0EEEvS12_.has_dyn_sized_stack, 0
	.set _ZN7rocprim17ROCPRIM_400000_NS6detail17trampoline_kernelINS0_13select_configILj256ELj13ELNS0_17block_load_methodE3ELS4_3ELS4_3ELNS0_20block_scan_algorithmE0ELj4294967295EEENS1_25partition_config_selectorILNS1_17partition_subalgoE4EjNS0_10empty_typeEbEEZZNS1_14partition_implILS8_4ELb0ES6_15HIP_vector_typeIjLj2EENS0_17counting_iteratorIjlEEPS9_SG_NS0_5tupleIJPjSI_NS0_16reverse_iteratorISI_EEEEENSH_IJSG_SG_SG_EEES9_SI_JZNS1_25segmented_radix_sort_implINS0_14default_configELb0EPKhPhPKlPlN2at6native12_GLOBAL__N_18offset_tEEE10hipError_tPvRmT1_PNSt15iterator_traitsIS12_E10value_typeET2_T3_PNS13_IS18_E10value_typeET4_jRbjT5_S1E_jjP12ihipStream_tbEUljE_ZNSN_ISO_Lb0ESQ_SR_ST_SU_SY_EESZ_S10_S11_S12_S16_S17_S18_S1B_S1C_jS1D_jS1E_S1E_jjS1G_bEUljE0_EEESZ_S10_S11_S18_S1C_S1E_T6_T7_T9_mT8_S1G_bDpT10_ENKUlT_T0_E_clISt17integral_constantIbLb0EES1T_IbLb1EEEEDaS1P_S1Q_EUlS1P_E_NS1_11comp_targetILNS1_3genE4ELNS1_11target_archE910ELNS1_3gpuE8ELNS1_3repE0EEENS1_30default_config_static_selectorELNS0_4arch9wavefront6targetE0EEEvS12_.has_recursion, 0
	.set _ZN7rocprim17ROCPRIM_400000_NS6detail17trampoline_kernelINS0_13select_configILj256ELj13ELNS0_17block_load_methodE3ELS4_3ELS4_3ELNS0_20block_scan_algorithmE0ELj4294967295EEENS1_25partition_config_selectorILNS1_17partition_subalgoE4EjNS0_10empty_typeEbEEZZNS1_14partition_implILS8_4ELb0ES6_15HIP_vector_typeIjLj2EENS0_17counting_iteratorIjlEEPS9_SG_NS0_5tupleIJPjSI_NS0_16reverse_iteratorISI_EEEEENSH_IJSG_SG_SG_EEES9_SI_JZNS1_25segmented_radix_sort_implINS0_14default_configELb0EPKhPhPKlPlN2at6native12_GLOBAL__N_18offset_tEEE10hipError_tPvRmT1_PNSt15iterator_traitsIS12_E10value_typeET2_T3_PNS13_IS18_E10value_typeET4_jRbjT5_S1E_jjP12ihipStream_tbEUljE_ZNSN_ISO_Lb0ESQ_SR_ST_SU_SY_EESZ_S10_S11_S12_S16_S17_S18_S1B_S1C_jS1D_jS1E_S1E_jjS1G_bEUljE0_EEESZ_S10_S11_S18_S1C_S1E_T6_T7_T9_mT8_S1G_bDpT10_ENKUlT_T0_E_clISt17integral_constantIbLb0EES1T_IbLb1EEEEDaS1P_S1Q_EUlS1P_E_NS1_11comp_targetILNS1_3genE4ELNS1_11target_archE910ELNS1_3gpuE8ELNS1_3repE0EEENS1_30default_config_static_selectorELNS0_4arch9wavefront6targetE0EEEvS12_.has_indirect_call, 0
	.section	.AMDGPU.csdata,"",@progbits
; Kernel info:
; codeLenInByte = 0
; TotalNumSgprs: 0
; NumVgprs: 0
; ScratchSize: 0
; MemoryBound: 0
; FloatMode: 240
; IeeeMode: 1
; LDSByteSize: 0 bytes/workgroup (compile time only)
; SGPRBlocks: 0
; VGPRBlocks: 0
; NumSGPRsForWavesPerEU: 1
; NumVGPRsForWavesPerEU: 1
; NamedBarCnt: 0
; Occupancy: 16
; WaveLimiterHint : 0
; COMPUTE_PGM_RSRC2:SCRATCH_EN: 0
; COMPUTE_PGM_RSRC2:USER_SGPR: 2
; COMPUTE_PGM_RSRC2:TRAP_HANDLER: 0
; COMPUTE_PGM_RSRC2:TGID_X_EN: 1
; COMPUTE_PGM_RSRC2:TGID_Y_EN: 0
; COMPUTE_PGM_RSRC2:TGID_Z_EN: 0
; COMPUTE_PGM_RSRC2:TIDIG_COMP_CNT: 0
	.section	.text._ZN7rocprim17ROCPRIM_400000_NS6detail17trampoline_kernelINS0_13select_configILj256ELj13ELNS0_17block_load_methodE3ELS4_3ELS4_3ELNS0_20block_scan_algorithmE0ELj4294967295EEENS1_25partition_config_selectorILNS1_17partition_subalgoE4EjNS0_10empty_typeEbEEZZNS1_14partition_implILS8_4ELb0ES6_15HIP_vector_typeIjLj2EENS0_17counting_iteratorIjlEEPS9_SG_NS0_5tupleIJPjSI_NS0_16reverse_iteratorISI_EEEEENSH_IJSG_SG_SG_EEES9_SI_JZNS1_25segmented_radix_sort_implINS0_14default_configELb0EPKhPhPKlPlN2at6native12_GLOBAL__N_18offset_tEEE10hipError_tPvRmT1_PNSt15iterator_traitsIS12_E10value_typeET2_T3_PNS13_IS18_E10value_typeET4_jRbjT5_S1E_jjP12ihipStream_tbEUljE_ZNSN_ISO_Lb0ESQ_SR_ST_SU_SY_EESZ_S10_S11_S12_S16_S17_S18_S1B_S1C_jS1D_jS1E_S1E_jjS1G_bEUljE0_EEESZ_S10_S11_S18_S1C_S1E_T6_T7_T9_mT8_S1G_bDpT10_ENKUlT_T0_E_clISt17integral_constantIbLb0EES1T_IbLb1EEEEDaS1P_S1Q_EUlS1P_E_NS1_11comp_targetILNS1_3genE3ELNS1_11target_archE908ELNS1_3gpuE7ELNS1_3repE0EEENS1_30default_config_static_selectorELNS0_4arch9wavefront6targetE0EEEvS12_,"axG",@progbits,_ZN7rocprim17ROCPRIM_400000_NS6detail17trampoline_kernelINS0_13select_configILj256ELj13ELNS0_17block_load_methodE3ELS4_3ELS4_3ELNS0_20block_scan_algorithmE0ELj4294967295EEENS1_25partition_config_selectorILNS1_17partition_subalgoE4EjNS0_10empty_typeEbEEZZNS1_14partition_implILS8_4ELb0ES6_15HIP_vector_typeIjLj2EENS0_17counting_iteratorIjlEEPS9_SG_NS0_5tupleIJPjSI_NS0_16reverse_iteratorISI_EEEEENSH_IJSG_SG_SG_EEES9_SI_JZNS1_25segmented_radix_sort_implINS0_14default_configELb0EPKhPhPKlPlN2at6native12_GLOBAL__N_18offset_tEEE10hipError_tPvRmT1_PNSt15iterator_traitsIS12_E10value_typeET2_T3_PNS13_IS18_E10value_typeET4_jRbjT5_S1E_jjP12ihipStream_tbEUljE_ZNSN_ISO_Lb0ESQ_SR_ST_SU_SY_EESZ_S10_S11_S12_S16_S17_S18_S1B_S1C_jS1D_jS1E_S1E_jjS1G_bEUljE0_EEESZ_S10_S11_S18_S1C_S1E_T6_T7_T9_mT8_S1G_bDpT10_ENKUlT_T0_E_clISt17integral_constantIbLb0EES1T_IbLb1EEEEDaS1P_S1Q_EUlS1P_E_NS1_11comp_targetILNS1_3genE3ELNS1_11target_archE908ELNS1_3gpuE7ELNS1_3repE0EEENS1_30default_config_static_selectorELNS0_4arch9wavefront6targetE0EEEvS12_,comdat
	.globl	_ZN7rocprim17ROCPRIM_400000_NS6detail17trampoline_kernelINS0_13select_configILj256ELj13ELNS0_17block_load_methodE3ELS4_3ELS4_3ELNS0_20block_scan_algorithmE0ELj4294967295EEENS1_25partition_config_selectorILNS1_17partition_subalgoE4EjNS0_10empty_typeEbEEZZNS1_14partition_implILS8_4ELb0ES6_15HIP_vector_typeIjLj2EENS0_17counting_iteratorIjlEEPS9_SG_NS0_5tupleIJPjSI_NS0_16reverse_iteratorISI_EEEEENSH_IJSG_SG_SG_EEES9_SI_JZNS1_25segmented_radix_sort_implINS0_14default_configELb0EPKhPhPKlPlN2at6native12_GLOBAL__N_18offset_tEEE10hipError_tPvRmT1_PNSt15iterator_traitsIS12_E10value_typeET2_T3_PNS13_IS18_E10value_typeET4_jRbjT5_S1E_jjP12ihipStream_tbEUljE_ZNSN_ISO_Lb0ESQ_SR_ST_SU_SY_EESZ_S10_S11_S12_S16_S17_S18_S1B_S1C_jS1D_jS1E_S1E_jjS1G_bEUljE0_EEESZ_S10_S11_S18_S1C_S1E_T6_T7_T9_mT8_S1G_bDpT10_ENKUlT_T0_E_clISt17integral_constantIbLb0EES1T_IbLb1EEEEDaS1P_S1Q_EUlS1P_E_NS1_11comp_targetILNS1_3genE3ELNS1_11target_archE908ELNS1_3gpuE7ELNS1_3repE0EEENS1_30default_config_static_selectorELNS0_4arch9wavefront6targetE0EEEvS12_ ; -- Begin function _ZN7rocprim17ROCPRIM_400000_NS6detail17trampoline_kernelINS0_13select_configILj256ELj13ELNS0_17block_load_methodE3ELS4_3ELS4_3ELNS0_20block_scan_algorithmE0ELj4294967295EEENS1_25partition_config_selectorILNS1_17partition_subalgoE4EjNS0_10empty_typeEbEEZZNS1_14partition_implILS8_4ELb0ES6_15HIP_vector_typeIjLj2EENS0_17counting_iteratorIjlEEPS9_SG_NS0_5tupleIJPjSI_NS0_16reverse_iteratorISI_EEEEENSH_IJSG_SG_SG_EEES9_SI_JZNS1_25segmented_radix_sort_implINS0_14default_configELb0EPKhPhPKlPlN2at6native12_GLOBAL__N_18offset_tEEE10hipError_tPvRmT1_PNSt15iterator_traitsIS12_E10value_typeET2_T3_PNS13_IS18_E10value_typeET4_jRbjT5_S1E_jjP12ihipStream_tbEUljE_ZNSN_ISO_Lb0ESQ_SR_ST_SU_SY_EESZ_S10_S11_S12_S16_S17_S18_S1B_S1C_jS1D_jS1E_S1E_jjS1G_bEUljE0_EEESZ_S10_S11_S18_S1C_S1E_T6_T7_T9_mT8_S1G_bDpT10_ENKUlT_T0_E_clISt17integral_constantIbLb0EES1T_IbLb1EEEEDaS1P_S1Q_EUlS1P_E_NS1_11comp_targetILNS1_3genE3ELNS1_11target_archE908ELNS1_3gpuE7ELNS1_3repE0EEENS1_30default_config_static_selectorELNS0_4arch9wavefront6targetE0EEEvS12_
	.p2align	8
	.type	_ZN7rocprim17ROCPRIM_400000_NS6detail17trampoline_kernelINS0_13select_configILj256ELj13ELNS0_17block_load_methodE3ELS4_3ELS4_3ELNS0_20block_scan_algorithmE0ELj4294967295EEENS1_25partition_config_selectorILNS1_17partition_subalgoE4EjNS0_10empty_typeEbEEZZNS1_14partition_implILS8_4ELb0ES6_15HIP_vector_typeIjLj2EENS0_17counting_iteratorIjlEEPS9_SG_NS0_5tupleIJPjSI_NS0_16reverse_iteratorISI_EEEEENSH_IJSG_SG_SG_EEES9_SI_JZNS1_25segmented_radix_sort_implINS0_14default_configELb0EPKhPhPKlPlN2at6native12_GLOBAL__N_18offset_tEEE10hipError_tPvRmT1_PNSt15iterator_traitsIS12_E10value_typeET2_T3_PNS13_IS18_E10value_typeET4_jRbjT5_S1E_jjP12ihipStream_tbEUljE_ZNSN_ISO_Lb0ESQ_SR_ST_SU_SY_EESZ_S10_S11_S12_S16_S17_S18_S1B_S1C_jS1D_jS1E_S1E_jjS1G_bEUljE0_EEESZ_S10_S11_S18_S1C_S1E_T6_T7_T9_mT8_S1G_bDpT10_ENKUlT_T0_E_clISt17integral_constantIbLb0EES1T_IbLb1EEEEDaS1P_S1Q_EUlS1P_E_NS1_11comp_targetILNS1_3genE3ELNS1_11target_archE908ELNS1_3gpuE7ELNS1_3repE0EEENS1_30default_config_static_selectorELNS0_4arch9wavefront6targetE0EEEvS12_,@function
_ZN7rocprim17ROCPRIM_400000_NS6detail17trampoline_kernelINS0_13select_configILj256ELj13ELNS0_17block_load_methodE3ELS4_3ELS4_3ELNS0_20block_scan_algorithmE0ELj4294967295EEENS1_25partition_config_selectorILNS1_17partition_subalgoE4EjNS0_10empty_typeEbEEZZNS1_14partition_implILS8_4ELb0ES6_15HIP_vector_typeIjLj2EENS0_17counting_iteratorIjlEEPS9_SG_NS0_5tupleIJPjSI_NS0_16reverse_iteratorISI_EEEEENSH_IJSG_SG_SG_EEES9_SI_JZNS1_25segmented_radix_sort_implINS0_14default_configELb0EPKhPhPKlPlN2at6native12_GLOBAL__N_18offset_tEEE10hipError_tPvRmT1_PNSt15iterator_traitsIS12_E10value_typeET2_T3_PNS13_IS18_E10value_typeET4_jRbjT5_S1E_jjP12ihipStream_tbEUljE_ZNSN_ISO_Lb0ESQ_SR_ST_SU_SY_EESZ_S10_S11_S12_S16_S17_S18_S1B_S1C_jS1D_jS1E_S1E_jjS1G_bEUljE0_EEESZ_S10_S11_S18_S1C_S1E_T6_T7_T9_mT8_S1G_bDpT10_ENKUlT_T0_E_clISt17integral_constantIbLb0EES1T_IbLb1EEEEDaS1P_S1Q_EUlS1P_E_NS1_11comp_targetILNS1_3genE3ELNS1_11target_archE908ELNS1_3gpuE7ELNS1_3repE0EEENS1_30default_config_static_selectorELNS0_4arch9wavefront6targetE0EEEvS12_: ; @_ZN7rocprim17ROCPRIM_400000_NS6detail17trampoline_kernelINS0_13select_configILj256ELj13ELNS0_17block_load_methodE3ELS4_3ELS4_3ELNS0_20block_scan_algorithmE0ELj4294967295EEENS1_25partition_config_selectorILNS1_17partition_subalgoE4EjNS0_10empty_typeEbEEZZNS1_14partition_implILS8_4ELb0ES6_15HIP_vector_typeIjLj2EENS0_17counting_iteratorIjlEEPS9_SG_NS0_5tupleIJPjSI_NS0_16reverse_iteratorISI_EEEEENSH_IJSG_SG_SG_EEES9_SI_JZNS1_25segmented_radix_sort_implINS0_14default_configELb0EPKhPhPKlPlN2at6native12_GLOBAL__N_18offset_tEEE10hipError_tPvRmT1_PNSt15iterator_traitsIS12_E10value_typeET2_T3_PNS13_IS18_E10value_typeET4_jRbjT5_S1E_jjP12ihipStream_tbEUljE_ZNSN_ISO_Lb0ESQ_SR_ST_SU_SY_EESZ_S10_S11_S12_S16_S17_S18_S1B_S1C_jS1D_jS1E_S1E_jjS1G_bEUljE0_EEESZ_S10_S11_S18_S1C_S1E_T6_T7_T9_mT8_S1G_bDpT10_ENKUlT_T0_E_clISt17integral_constantIbLb0EES1T_IbLb1EEEEDaS1P_S1Q_EUlS1P_E_NS1_11comp_targetILNS1_3genE3ELNS1_11target_archE908ELNS1_3gpuE7ELNS1_3repE0EEENS1_30default_config_static_selectorELNS0_4arch9wavefront6targetE0EEEvS12_
; %bb.0:
	.section	.rodata,"a",@progbits
	.p2align	6, 0x0
	.amdhsa_kernel _ZN7rocprim17ROCPRIM_400000_NS6detail17trampoline_kernelINS0_13select_configILj256ELj13ELNS0_17block_load_methodE3ELS4_3ELS4_3ELNS0_20block_scan_algorithmE0ELj4294967295EEENS1_25partition_config_selectorILNS1_17partition_subalgoE4EjNS0_10empty_typeEbEEZZNS1_14partition_implILS8_4ELb0ES6_15HIP_vector_typeIjLj2EENS0_17counting_iteratorIjlEEPS9_SG_NS0_5tupleIJPjSI_NS0_16reverse_iteratorISI_EEEEENSH_IJSG_SG_SG_EEES9_SI_JZNS1_25segmented_radix_sort_implINS0_14default_configELb0EPKhPhPKlPlN2at6native12_GLOBAL__N_18offset_tEEE10hipError_tPvRmT1_PNSt15iterator_traitsIS12_E10value_typeET2_T3_PNS13_IS18_E10value_typeET4_jRbjT5_S1E_jjP12ihipStream_tbEUljE_ZNSN_ISO_Lb0ESQ_SR_ST_SU_SY_EESZ_S10_S11_S12_S16_S17_S18_S1B_S1C_jS1D_jS1E_S1E_jjS1G_bEUljE0_EEESZ_S10_S11_S18_S1C_S1E_T6_T7_T9_mT8_S1G_bDpT10_ENKUlT_T0_E_clISt17integral_constantIbLb0EES1T_IbLb1EEEEDaS1P_S1Q_EUlS1P_E_NS1_11comp_targetILNS1_3genE3ELNS1_11target_archE908ELNS1_3gpuE7ELNS1_3repE0EEENS1_30default_config_static_selectorELNS0_4arch9wavefront6targetE0EEEvS12_
		.amdhsa_group_segment_fixed_size 0
		.amdhsa_private_segment_fixed_size 0
		.amdhsa_kernarg_size 184
		.amdhsa_user_sgpr_count 2
		.amdhsa_user_sgpr_dispatch_ptr 0
		.amdhsa_user_sgpr_queue_ptr 0
		.amdhsa_user_sgpr_kernarg_segment_ptr 1
		.amdhsa_user_sgpr_dispatch_id 0
		.amdhsa_user_sgpr_kernarg_preload_length 0
		.amdhsa_user_sgpr_kernarg_preload_offset 0
		.amdhsa_user_sgpr_private_segment_size 0
		.amdhsa_wavefront_size32 1
		.amdhsa_uses_dynamic_stack 0
		.amdhsa_enable_private_segment 0
		.amdhsa_system_sgpr_workgroup_id_x 1
		.amdhsa_system_sgpr_workgroup_id_y 0
		.amdhsa_system_sgpr_workgroup_id_z 0
		.amdhsa_system_sgpr_workgroup_info 0
		.amdhsa_system_vgpr_workitem_id 0
		.amdhsa_next_free_vgpr 1
		.amdhsa_next_free_sgpr 1
		.amdhsa_named_barrier_count 0
		.amdhsa_reserve_vcc 0
		.amdhsa_float_round_mode_32 0
		.amdhsa_float_round_mode_16_64 0
		.amdhsa_float_denorm_mode_32 3
		.amdhsa_float_denorm_mode_16_64 3
		.amdhsa_fp16_overflow 0
		.amdhsa_memory_ordered 1
		.amdhsa_forward_progress 1
		.amdhsa_inst_pref_size 0
		.amdhsa_round_robin_scheduling 0
		.amdhsa_exception_fp_ieee_invalid_op 0
		.amdhsa_exception_fp_denorm_src 0
		.amdhsa_exception_fp_ieee_div_zero 0
		.amdhsa_exception_fp_ieee_overflow 0
		.amdhsa_exception_fp_ieee_underflow 0
		.amdhsa_exception_fp_ieee_inexact 0
		.amdhsa_exception_int_div_zero 0
	.end_amdhsa_kernel
	.section	.text._ZN7rocprim17ROCPRIM_400000_NS6detail17trampoline_kernelINS0_13select_configILj256ELj13ELNS0_17block_load_methodE3ELS4_3ELS4_3ELNS0_20block_scan_algorithmE0ELj4294967295EEENS1_25partition_config_selectorILNS1_17partition_subalgoE4EjNS0_10empty_typeEbEEZZNS1_14partition_implILS8_4ELb0ES6_15HIP_vector_typeIjLj2EENS0_17counting_iteratorIjlEEPS9_SG_NS0_5tupleIJPjSI_NS0_16reverse_iteratorISI_EEEEENSH_IJSG_SG_SG_EEES9_SI_JZNS1_25segmented_radix_sort_implINS0_14default_configELb0EPKhPhPKlPlN2at6native12_GLOBAL__N_18offset_tEEE10hipError_tPvRmT1_PNSt15iterator_traitsIS12_E10value_typeET2_T3_PNS13_IS18_E10value_typeET4_jRbjT5_S1E_jjP12ihipStream_tbEUljE_ZNSN_ISO_Lb0ESQ_SR_ST_SU_SY_EESZ_S10_S11_S12_S16_S17_S18_S1B_S1C_jS1D_jS1E_S1E_jjS1G_bEUljE0_EEESZ_S10_S11_S18_S1C_S1E_T6_T7_T9_mT8_S1G_bDpT10_ENKUlT_T0_E_clISt17integral_constantIbLb0EES1T_IbLb1EEEEDaS1P_S1Q_EUlS1P_E_NS1_11comp_targetILNS1_3genE3ELNS1_11target_archE908ELNS1_3gpuE7ELNS1_3repE0EEENS1_30default_config_static_selectorELNS0_4arch9wavefront6targetE0EEEvS12_,"axG",@progbits,_ZN7rocprim17ROCPRIM_400000_NS6detail17trampoline_kernelINS0_13select_configILj256ELj13ELNS0_17block_load_methodE3ELS4_3ELS4_3ELNS0_20block_scan_algorithmE0ELj4294967295EEENS1_25partition_config_selectorILNS1_17partition_subalgoE4EjNS0_10empty_typeEbEEZZNS1_14partition_implILS8_4ELb0ES6_15HIP_vector_typeIjLj2EENS0_17counting_iteratorIjlEEPS9_SG_NS0_5tupleIJPjSI_NS0_16reverse_iteratorISI_EEEEENSH_IJSG_SG_SG_EEES9_SI_JZNS1_25segmented_radix_sort_implINS0_14default_configELb0EPKhPhPKlPlN2at6native12_GLOBAL__N_18offset_tEEE10hipError_tPvRmT1_PNSt15iterator_traitsIS12_E10value_typeET2_T3_PNS13_IS18_E10value_typeET4_jRbjT5_S1E_jjP12ihipStream_tbEUljE_ZNSN_ISO_Lb0ESQ_SR_ST_SU_SY_EESZ_S10_S11_S12_S16_S17_S18_S1B_S1C_jS1D_jS1E_S1E_jjS1G_bEUljE0_EEESZ_S10_S11_S18_S1C_S1E_T6_T7_T9_mT8_S1G_bDpT10_ENKUlT_T0_E_clISt17integral_constantIbLb0EES1T_IbLb1EEEEDaS1P_S1Q_EUlS1P_E_NS1_11comp_targetILNS1_3genE3ELNS1_11target_archE908ELNS1_3gpuE7ELNS1_3repE0EEENS1_30default_config_static_selectorELNS0_4arch9wavefront6targetE0EEEvS12_,comdat
.Lfunc_end148:
	.size	_ZN7rocprim17ROCPRIM_400000_NS6detail17trampoline_kernelINS0_13select_configILj256ELj13ELNS0_17block_load_methodE3ELS4_3ELS4_3ELNS0_20block_scan_algorithmE0ELj4294967295EEENS1_25partition_config_selectorILNS1_17partition_subalgoE4EjNS0_10empty_typeEbEEZZNS1_14partition_implILS8_4ELb0ES6_15HIP_vector_typeIjLj2EENS0_17counting_iteratorIjlEEPS9_SG_NS0_5tupleIJPjSI_NS0_16reverse_iteratorISI_EEEEENSH_IJSG_SG_SG_EEES9_SI_JZNS1_25segmented_radix_sort_implINS0_14default_configELb0EPKhPhPKlPlN2at6native12_GLOBAL__N_18offset_tEEE10hipError_tPvRmT1_PNSt15iterator_traitsIS12_E10value_typeET2_T3_PNS13_IS18_E10value_typeET4_jRbjT5_S1E_jjP12ihipStream_tbEUljE_ZNSN_ISO_Lb0ESQ_SR_ST_SU_SY_EESZ_S10_S11_S12_S16_S17_S18_S1B_S1C_jS1D_jS1E_S1E_jjS1G_bEUljE0_EEESZ_S10_S11_S18_S1C_S1E_T6_T7_T9_mT8_S1G_bDpT10_ENKUlT_T0_E_clISt17integral_constantIbLb0EES1T_IbLb1EEEEDaS1P_S1Q_EUlS1P_E_NS1_11comp_targetILNS1_3genE3ELNS1_11target_archE908ELNS1_3gpuE7ELNS1_3repE0EEENS1_30default_config_static_selectorELNS0_4arch9wavefront6targetE0EEEvS12_, .Lfunc_end148-_ZN7rocprim17ROCPRIM_400000_NS6detail17trampoline_kernelINS0_13select_configILj256ELj13ELNS0_17block_load_methodE3ELS4_3ELS4_3ELNS0_20block_scan_algorithmE0ELj4294967295EEENS1_25partition_config_selectorILNS1_17partition_subalgoE4EjNS0_10empty_typeEbEEZZNS1_14partition_implILS8_4ELb0ES6_15HIP_vector_typeIjLj2EENS0_17counting_iteratorIjlEEPS9_SG_NS0_5tupleIJPjSI_NS0_16reverse_iteratorISI_EEEEENSH_IJSG_SG_SG_EEES9_SI_JZNS1_25segmented_radix_sort_implINS0_14default_configELb0EPKhPhPKlPlN2at6native12_GLOBAL__N_18offset_tEEE10hipError_tPvRmT1_PNSt15iterator_traitsIS12_E10value_typeET2_T3_PNS13_IS18_E10value_typeET4_jRbjT5_S1E_jjP12ihipStream_tbEUljE_ZNSN_ISO_Lb0ESQ_SR_ST_SU_SY_EESZ_S10_S11_S12_S16_S17_S18_S1B_S1C_jS1D_jS1E_S1E_jjS1G_bEUljE0_EEESZ_S10_S11_S18_S1C_S1E_T6_T7_T9_mT8_S1G_bDpT10_ENKUlT_T0_E_clISt17integral_constantIbLb0EES1T_IbLb1EEEEDaS1P_S1Q_EUlS1P_E_NS1_11comp_targetILNS1_3genE3ELNS1_11target_archE908ELNS1_3gpuE7ELNS1_3repE0EEENS1_30default_config_static_selectorELNS0_4arch9wavefront6targetE0EEEvS12_
                                        ; -- End function
	.set _ZN7rocprim17ROCPRIM_400000_NS6detail17trampoline_kernelINS0_13select_configILj256ELj13ELNS0_17block_load_methodE3ELS4_3ELS4_3ELNS0_20block_scan_algorithmE0ELj4294967295EEENS1_25partition_config_selectorILNS1_17partition_subalgoE4EjNS0_10empty_typeEbEEZZNS1_14partition_implILS8_4ELb0ES6_15HIP_vector_typeIjLj2EENS0_17counting_iteratorIjlEEPS9_SG_NS0_5tupleIJPjSI_NS0_16reverse_iteratorISI_EEEEENSH_IJSG_SG_SG_EEES9_SI_JZNS1_25segmented_radix_sort_implINS0_14default_configELb0EPKhPhPKlPlN2at6native12_GLOBAL__N_18offset_tEEE10hipError_tPvRmT1_PNSt15iterator_traitsIS12_E10value_typeET2_T3_PNS13_IS18_E10value_typeET4_jRbjT5_S1E_jjP12ihipStream_tbEUljE_ZNSN_ISO_Lb0ESQ_SR_ST_SU_SY_EESZ_S10_S11_S12_S16_S17_S18_S1B_S1C_jS1D_jS1E_S1E_jjS1G_bEUljE0_EEESZ_S10_S11_S18_S1C_S1E_T6_T7_T9_mT8_S1G_bDpT10_ENKUlT_T0_E_clISt17integral_constantIbLb0EES1T_IbLb1EEEEDaS1P_S1Q_EUlS1P_E_NS1_11comp_targetILNS1_3genE3ELNS1_11target_archE908ELNS1_3gpuE7ELNS1_3repE0EEENS1_30default_config_static_selectorELNS0_4arch9wavefront6targetE0EEEvS12_.num_vgpr, 0
	.set _ZN7rocprim17ROCPRIM_400000_NS6detail17trampoline_kernelINS0_13select_configILj256ELj13ELNS0_17block_load_methodE3ELS4_3ELS4_3ELNS0_20block_scan_algorithmE0ELj4294967295EEENS1_25partition_config_selectorILNS1_17partition_subalgoE4EjNS0_10empty_typeEbEEZZNS1_14partition_implILS8_4ELb0ES6_15HIP_vector_typeIjLj2EENS0_17counting_iteratorIjlEEPS9_SG_NS0_5tupleIJPjSI_NS0_16reverse_iteratorISI_EEEEENSH_IJSG_SG_SG_EEES9_SI_JZNS1_25segmented_radix_sort_implINS0_14default_configELb0EPKhPhPKlPlN2at6native12_GLOBAL__N_18offset_tEEE10hipError_tPvRmT1_PNSt15iterator_traitsIS12_E10value_typeET2_T3_PNS13_IS18_E10value_typeET4_jRbjT5_S1E_jjP12ihipStream_tbEUljE_ZNSN_ISO_Lb0ESQ_SR_ST_SU_SY_EESZ_S10_S11_S12_S16_S17_S18_S1B_S1C_jS1D_jS1E_S1E_jjS1G_bEUljE0_EEESZ_S10_S11_S18_S1C_S1E_T6_T7_T9_mT8_S1G_bDpT10_ENKUlT_T0_E_clISt17integral_constantIbLb0EES1T_IbLb1EEEEDaS1P_S1Q_EUlS1P_E_NS1_11comp_targetILNS1_3genE3ELNS1_11target_archE908ELNS1_3gpuE7ELNS1_3repE0EEENS1_30default_config_static_selectorELNS0_4arch9wavefront6targetE0EEEvS12_.num_agpr, 0
	.set _ZN7rocprim17ROCPRIM_400000_NS6detail17trampoline_kernelINS0_13select_configILj256ELj13ELNS0_17block_load_methodE3ELS4_3ELS4_3ELNS0_20block_scan_algorithmE0ELj4294967295EEENS1_25partition_config_selectorILNS1_17partition_subalgoE4EjNS0_10empty_typeEbEEZZNS1_14partition_implILS8_4ELb0ES6_15HIP_vector_typeIjLj2EENS0_17counting_iteratorIjlEEPS9_SG_NS0_5tupleIJPjSI_NS0_16reverse_iteratorISI_EEEEENSH_IJSG_SG_SG_EEES9_SI_JZNS1_25segmented_radix_sort_implINS0_14default_configELb0EPKhPhPKlPlN2at6native12_GLOBAL__N_18offset_tEEE10hipError_tPvRmT1_PNSt15iterator_traitsIS12_E10value_typeET2_T3_PNS13_IS18_E10value_typeET4_jRbjT5_S1E_jjP12ihipStream_tbEUljE_ZNSN_ISO_Lb0ESQ_SR_ST_SU_SY_EESZ_S10_S11_S12_S16_S17_S18_S1B_S1C_jS1D_jS1E_S1E_jjS1G_bEUljE0_EEESZ_S10_S11_S18_S1C_S1E_T6_T7_T9_mT8_S1G_bDpT10_ENKUlT_T0_E_clISt17integral_constantIbLb0EES1T_IbLb1EEEEDaS1P_S1Q_EUlS1P_E_NS1_11comp_targetILNS1_3genE3ELNS1_11target_archE908ELNS1_3gpuE7ELNS1_3repE0EEENS1_30default_config_static_selectorELNS0_4arch9wavefront6targetE0EEEvS12_.numbered_sgpr, 0
	.set _ZN7rocprim17ROCPRIM_400000_NS6detail17trampoline_kernelINS0_13select_configILj256ELj13ELNS0_17block_load_methodE3ELS4_3ELS4_3ELNS0_20block_scan_algorithmE0ELj4294967295EEENS1_25partition_config_selectorILNS1_17partition_subalgoE4EjNS0_10empty_typeEbEEZZNS1_14partition_implILS8_4ELb0ES6_15HIP_vector_typeIjLj2EENS0_17counting_iteratorIjlEEPS9_SG_NS0_5tupleIJPjSI_NS0_16reverse_iteratorISI_EEEEENSH_IJSG_SG_SG_EEES9_SI_JZNS1_25segmented_radix_sort_implINS0_14default_configELb0EPKhPhPKlPlN2at6native12_GLOBAL__N_18offset_tEEE10hipError_tPvRmT1_PNSt15iterator_traitsIS12_E10value_typeET2_T3_PNS13_IS18_E10value_typeET4_jRbjT5_S1E_jjP12ihipStream_tbEUljE_ZNSN_ISO_Lb0ESQ_SR_ST_SU_SY_EESZ_S10_S11_S12_S16_S17_S18_S1B_S1C_jS1D_jS1E_S1E_jjS1G_bEUljE0_EEESZ_S10_S11_S18_S1C_S1E_T6_T7_T9_mT8_S1G_bDpT10_ENKUlT_T0_E_clISt17integral_constantIbLb0EES1T_IbLb1EEEEDaS1P_S1Q_EUlS1P_E_NS1_11comp_targetILNS1_3genE3ELNS1_11target_archE908ELNS1_3gpuE7ELNS1_3repE0EEENS1_30default_config_static_selectorELNS0_4arch9wavefront6targetE0EEEvS12_.num_named_barrier, 0
	.set _ZN7rocprim17ROCPRIM_400000_NS6detail17trampoline_kernelINS0_13select_configILj256ELj13ELNS0_17block_load_methodE3ELS4_3ELS4_3ELNS0_20block_scan_algorithmE0ELj4294967295EEENS1_25partition_config_selectorILNS1_17partition_subalgoE4EjNS0_10empty_typeEbEEZZNS1_14partition_implILS8_4ELb0ES6_15HIP_vector_typeIjLj2EENS0_17counting_iteratorIjlEEPS9_SG_NS0_5tupleIJPjSI_NS0_16reverse_iteratorISI_EEEEENSH_IJSG_SG_SG_EEES9_SI_JZNS1_25segmented_radix_sort_implINS0_14default_configELb0EPKhPhPKlPlN2at6native12_GLOBAL__N_18offset_tEEE10hipError_tPvRmT1_PNSt15iterator_traitsIS12_E10value_typeET2_T3_PNS13_IS18_E10value_typeET4_jRbjT5_S1E_jjP12ihipStream_tbEUljE_ZNSN_ISO_Lb0ESQ_SR_ST_SU_SY_EESZ_S10_S11_S12_S16_S17_S18_S1B_S1C_jS1D_jS1E_S1E_jjS1G_bEUljE0_EEESZ_S10_S11_S18_S1C_S1E_T6_T7_T9_mT8_S1G_bDpT10_ENKUlT_T0_E_clISt17integral_constantIbLb0EES1T_IbLb1EEEEDaS1P_S1Q_EUlS1P_E_NS1_11comp_targetILNS1_3genE3ELNS1_11target_archE908ELNS1_3gpuE7ELNS1_3repE0EEENS1_30default_config_static_selectorELNS0_4arch9wavefront6targetE0EEEvS12_.private_seg_size, 0
	.set _ZN7rocprim17ROCPRIM_400000_NS6detail17trampoline_kernelINS0_13select_configILj256ELj13ELNS0_17block_load_methodE3ELS4_3ELS4_3ELNS0_20block_scan_algorithmE0ELj4294967295EEENS1_25partition_config_selectorILNS1_17partition_subalgoE4EjNS0_10empty_typeEbEEZZNS1_14partition_implILS8_4ELb0ES6_15HIP_vector_typeIjLj2EENS0_17counting_iteratorIjlEEPS9_SG_NS0_5tupleIJPjSI_NS0_16reverse_iteratorISI_EEEEENSH_IJSG_SG_SG_EEES9_SI_JZNS1_25segmented_radix_sort_implINS0_14default_configELb0EPKhPhPKlPlN2at6native12_GLOBAL__N_18offset_tEEE10hipError_tPvRmT1_PNSt15iterator_traitsIS12_E10value_typeET2_T3_PNS13_IS18_E10value_typeET4_jRbjT5_S1E_jjP12ihipStream_tbEUljE_ZNSN_ISO_Lb0ESQ_SR_ST_SU_SY_EESZ_S10_S11_S12_S16_S17_S18_S1B_S1C_jS1D_jS1E_S1E_jjS1G_bEUljE0_EEESZ_S10_S11_S18_S1C_S1E_T6_T7_T9_mT8_S1G_bDpT10_ENKUlT_T0_E_clISt17integral_constantIbLb0EES1T_IbLb1EEEEDaS1P_S1Q_EUlS1P_E_NS1_11comp_targetILNS1_3genE3ELNS1_11target_archE908ELNS1_3gpuE7ELNS1_3repE0EEENS1_30default_config_static_selectorELNS0_4arch9wavefront6targetE0EEEvS12_.uses_vcc, 0
	.set _ZN7rocprim17ROCPRIM_400000_NS6detail17trampoline_kernelINS0_13select_configILj256ELj13ELNS0_17block_load_methodE3ELS4_3ELS4_3ELNS0_20block_scan_algorithmE0ELj4294967295EEENS1_25partition_config_selectorILNS1_17partition_subalgoE4EjNS0_10empty_typeEbEEZZNS1_14partition_implILS8_4ELb0ES6_15HIP_vector_typeIjLj2EENS0_17counting_iteratorIjlEEPS9_SG_NS0_5tupleIJPjSI_NS0_16reverse_iteratorISI_EEEEENSH_IJSG_SG_SG_EEES9_SI_JZNS1_25segmented_radix_sort_implINS0_14default_configELb0EPKhPhPKlPlN2at6native12_GLOBAL__N_18offset_tEEE10hipError_tPvRmT1_PNSt15iterator_traitsIS12_E10value_typeET2_T3_PNS13_IS18_E10value_typeET4_jRbjT5_S1E_jjP12ihipStream_tbEUljE_ZNSN_ISO_Lb0ESQ_SR_ST_SU_SY_EESZ_S10_S11_S12_S16_S17_S18_S1B_S1C_jS1D_jS1E_S1E_jjS1G_bEUljE0_EEESZ_S10_S11_S18_S1C_S1E_T6_T7_T9_mT8_S1G_bDpT10_ENKUlT_T0_E_clISt17integral_constantIbLb0EES1T_IbLb1EEEEDaS1P_S1Q_EUlS1P_E_NS1_11comp_targetILNS1_3genE3ELNS1_11target_archE908ELNS1_3gpuE7ELNS1_3repE0EEENS1_30default_config_static_selectorELNS0_4arch9wavefront6targetE0EEEvS12_.uses_flat_scratch, 0
	.set _ZN7rocprim17ROCPRIM_400000_NS6detail17trampoline_kernelINS0_13select_configILj256ELj13ELNS0_17block_load_methodE3ELS4_3ELS4_3ELNS0_20block_scan_algorithmE0ELj4294967295EEENS1_25partition_config_selectorILNS1_17partition_subalgoE4EjNS0_10empty_typeEbEEZZNS1_14partition_implILS8_4ELb0ES6_15HIP_vector_typeIjLj2EENS0_17counting_iteratorIjlEEPS9_SG_NS0_5tupleIJPjSI_NS0_16reverse_iteratorISI_EEEEENSH_IJSG_SG_SG_EEES9_SI_JZNS1_25segmented_radix_sort_implINS0_14default_configELb0EPKhPhPKlPlN2at6native12_GLOBAL__N_18offset_tEEE10hipError_tPvRmT1_PNSt15iterator_traitsIS12_E10value_typeET2_T3_PNS13_IS18_E10value_typeET4_jRbjT5_S1E_jjP12ihipStream_tbEUljE_ZNSN_ISO_Lb0ESQ_SR_ST_SU_SY_EESZ_S10_S11_S12_S16_S17_S18_S1B_S1C_jS1D_jS1E_S1E_jjS1G_bEUljE0_EEESZ_S10_S11_S18_S1C_S1E_T6_T7_T9_mT8_S1G_bDpT10_ENKUlT_T0_E_clISt17integral_constantIbLb0EES1T_IbLb1EEEEDaS1P_S1Q_EUlS1P_E_NS1_11comp_targetILNS1_3genE3ELNS1_11target_archE908ELNS1_3gpuE7ELNS1_3repE0EEENS1_30default_config_static_selectorELNS0_4arch9wavefront6targetE0EEEvS12_.has_dyn_sized_stack, 0
	.set _ZN7rocprim17ROCPRIM_400000_NS6detail17trampoline_kernelINS0_13select_configILj256ELj13ELNS0_17block_load_methodE3ELS4_3ELS4_3ELNS0_20block_scan_algorithmE0ELj4294967295EEENS1_25partition_config_selectorILNS1_17partition_subalgoE4EjNS0_10empty_typeEbEEZZNS1_14partition_implILS8_4ELb0ES6_15HIP_vector_typeIjLj2EENS0_17counting_iteratorIjlEEPS9_SG_NS0_5tupleIJPjSI_NS0_16reverse_iteratorISI_EEEEENSH_IJSG_SG_SG_EEES9_SI_JZNS1_25segmented_radix_sort_implINS0_14default_configELb0EPKhPhPKlPlN2at6native12_GLOBAL__N_18offset_tEEE10hipError_tPvRmT1_PNSt15iterator_traitsIS12_E10value_typeET2_T3_PNS13_IS18_E10value_typeET4_jRbjT5_S1E_jjP12ihipStream_tbEUljE_ZNSN_ISO_Lb0ESQ_SR_ST_SU_SY_EESZ_S10_S11_S12_S16_S17_S18_S1B_S1C_jS1D_jS1E_S1E_jjS1G_bEUljE0_EEESZ_S10_S11_S18_S1C_S1E_T6_T7_T9_mT8_S1G_bDpT10_ENKUlT_T0_E_clISt17integral_constantIbLb0EES1T_IbLb1EEEEDaS1P_S1Q_EUlS1P_E_NS1_11comp_targetILNS1_3genE3ELNS1_11target_archE908ELNS1_3gpuE7ELNS1_3repE0EEENS1_30default_config_static_selectorELNS0_4arch9wavefront6targetE0EEEvS12_.has_recursion, 0
	.set _ZN7rocprim17ROCPRIM_400000_NS6detail17trampoline_kernelINS0_13select_configILj256ELj13ELNS0_17block_load_methodE3ELS4_3ELS4_3ELNS0_20block_scan_algorithmE0ELj4294967295EEENS1_25partition_config_selectorILNS1_17partition_subalgoE4EjNS0_10empty_typeEbEEZZNS1_14partition_implILS8_4ELb0ES6_15HIP_vector_typeIjLj2EENS0_17counting_iteratorIjlEEPS9_SG_NS0_5tupleIJPjSI_NS0_16reverse_iteratorISI_EEEEENSH_IJSG_SG_SG_EEES9_SI_JZNS1_25segmented_radix_sort_implINS0_14default_configELb0EPKhPhPKlPlN2at6native12_GLOBAL__N_18offset_tEEE10hipError_tPvRmT1_PNSt15iterator_traitsIS12_E10value_typeET2_T3_PNS13_IS18_E10value_typeET4_jRbjT5_S1E_jjP12ihipStream_tbEUljE_ZNSN_ISO_Lb0ESQ_SR_ST_SU_SY_EESZ_S10_S11_S12_S16_S17_S18_S1B_S1C_jS1D_jS1E_S1E_jjS1G_bEUljE0_EEESZ_S10_S11_S18_S1C_S1E_T6_T7_T9_mT8_S1G_bDpT10_ENKUlT_T0_E_clISt17integral_constantIbLb0EES1T_IbLb1EEEEDaS1P_S1Q_EUlS1P_E_NS1_11comp_targetILNS1_3genE3ELNS1_11target_archE908ELNS1_3gpuE7ELNS1_3repE0EEENS1_30default_config_static_selectorELNS0_4arch9wavefront6targetE0EEEvS12_.has_indirect_call, 0
	.section	.AMDGPU.csdata,"",@progbits
; Kernel info:
; codeLenInByte = 0
; TotalNumSgprs: 0
; NumVgprs: 0
; ScratchSize: 0
; MemoryBound: 0
; FloatMode: 240
; IeeeMode: 1
; LDSByteSize: 0 bytes/workgroup (compile time only)
; SGPRBlocks: 0
; VGPRBlocks: 0
; NumSGPRsForWavesPerEU: 1
; NumVGPRsForWavesPerEU: 1
; NamedBarCnt: 0
; Occupancy: 16
; WaveLimiterHint : 0
; COMPUTE_PGM_RSRC2:SCRATCH_EN: 0
; COMPUTE_PGM_RSRC2:USER_SGPR: 2
; COMPUTE_PGM_RSRC2:TRAP_HANDLER: 0
; COMPUTE_PGM_RSRC2:TGID_X_EN: 1
; COMPUTE_PGM_RSRC2:TGID_Y_EN: 0
; COMPUTE_PGM_RSRC2:TGID_Z_EN: 0
; COMPUTE_PGM_RSRC2:TIDIG_COMP_CNT: 0
	.section	.text._ZN7rocprim17ROCPRIM_400000_NS6detail17trampoline_kernelINS0_13select_configILj256ELj13ELNS0_17block_load_methodE3ELS4_3ELS4_3ELNS0_20block_scan_algorithmE0ELj4294967295EEENS1_25partition_config_selectorILNS1_17partition_subalgoE4EjNS0_10empty_typeEbEEZZNS1_14partition_implILS8_4ELb0ES6_15HIP_vector_typeIjLj2EENS0_17counting_iteratorIjlEEPS9_SG_NS0_5tupleIJPjSI_NS0_16reverse_iteratorISI_EEEEENSH_IJSG_SG_SG_EEES9_SI_JZNS1_25segmented_radix_sort_implINS0_14default_configELb0EPKhPhPKlPlN2at6native12_GLOBAL__N_18offset_tEEE10hipError_tPvRmT1_PNSt15iterator_traitsIS12_E10value_typeET2_T3_PNS13_IS18_E10value_typeET4_jRbjT5_S1E_jjP12ihipStream_tbEUljE_ZNSN_ISO_Lb0ESQ_SR_ST_SU_SY_EESZ_S10_S11_S12_S16_S17_S18_S1B_S1C_jS1D_jS1E_S1E_jjS1G_bEUljE0_EEESZ_S10_S11_S18_S1C_S1E_T6_T7_T9_mT8_S1G_bDpT10_ENKUlT_T0_E_clISt17integral_constantIbLb0EES1T_IbLb1EEEEDaS1P_S1Q_EUlS1P_E_NS1_11comp_targetILNS1_3genE2ELNS1_11target_archE906ELNS1_3gpuE6ELNS1_3repE0EEENS1_30default_config_static_selectorELNS0_4arch9wavefront6targetE0EEEvS12_,"axG",@progbits,_ZN7rocprim17ROCPRIM_400000_NS6detail17trampoline_kernelINS0_13select_configILj256ELj13ELNS0_17block_load_methodE3ELS4_3ELS4_3ELNS0_20block_scan_algorithmE0ELj4294967295EEENS1_25partition_config_selectorILNS1_17partition_subalgoE4EjNS0_10empty_typeEbEEZZNS1_14partition_implILS8_4ELb0ES6_15HIP_vector_typeIjLj2EENS0_17counting_iteratorIjlEEPS9_SG_NS0_5tupleIJPjSI_NS0_16reverse_iteratorISI_EEEEENSH_IJSG_SG_SG_EEES9_SI_JZNS1_25segmented_radix_sort_implINS0_14default_configELb0EPKhPhPKlPlN2at6native12_GLOBAL__N_18offset_tEEE10hipError_tPvRmT1_PNSt15iterator_traitsIS12_E10value_typeET2_T3_PNS13_IS18_E10value_typeET4_jRbjT5_S1E_jjP12ihipStream_tbEUljE_ZNSN_ISO_Lb0ESQ_SR_ST_SU_SY_EESZ_S10_S11_S12_S16_S17_S18_S1B_S1C_jS1D_jS1E_S1E_jjS1G_bEUljE0_EEESZ_S10_S11_S18_S1C_S1E_T6_T7_T9_mT8_S1G_bDpT10_ENKUlT_T0_E_clISt17integral_constantIbLb0EES1T_IbLb1EEEEDaS1P_S1Q_EUlS1P_E_NS1_11comp_targetILNS1_3genE2ELNS1_11target_archE906ELNS1_3gpuE6ELNS1_3repE0EEENS1_30default_config_static_selectorELNS0_4arch9wavefront6targetE0EEEvS12_,comdat
	.globl	_ZN7rocprim17ROCPRIM_400000_NS6detail17trampoline_kernelINS0_13select_configILj256ELj13ELNS0_17block_load_methodE3ELS4_3ELS4_3ELNS0_20block_scan_algorithmE0ELj4294967295EEENS1_25partition_config_selectorILNS1_17partition_subalgoE4EjNS0_10empty_typeEbEEZZNS1_14partition_implILS8_4ELb0ES6_15HIP_vector_typeIjLj2EENS0_17counting_iteratorIjlEEPS9_SG_NS0_5tupleIJPjSI_NS0_16reverse_iteratorISI_EEEEENSH_IJSG_SG_SG_EEES9_SI_JZNS1_25segmented_radix_sort_implINS0_14default_configELb0EPKhPhPKlPlN2at6native12_GLOBAL__N_18offset_tEEE10hipError_tPvRmT1_PNSt15iterator_traitsIS12_E10value_typeET2_T3_PNS13_IS18_E10value_typeET4_jRbjT5_S1E_jjP12ihipStream_tbEUljE_ZNSN_ISO_Lb0ESQ_SR_ST_SU_SY_EESZ_S10_S11_S12_S16_S17_S18_S1B_S1C_jS1D_jS1E_S1E_jjS1G_bEUljE0_EEESZ_S10_S11_S18_S1C_S1E_T6_T7_T9_mT8_S1G_bDpT10_ENKUlT_T0_E_clISt17integral_constantIbLb0EES1T_IbLb1EEEEDaS1P_S1Q_EUlS1P_E_NS1_11comp_targetILNS1_3genE2ELNS1_11target_archE906ELNS1_3gpuE6ELNS1_3repE0EEENS1_30default_config_static_selectorELNS0_4arch9wavefront6targetE0EEEvS12_ ; -- Begin function _ZN7rocprim17ROCPRIM_400000_NS6detail17trampoline_kernelINS0_13select_configILj256ELj13ELNS0_17block_load_methodE3ELS4_3ELS4_3ELNS0_20block_scan_algorithmE0ELj4294967295EEENS1_25partition_config_selectorILNS1_17partition_subalgoE4EjNS0_10empty_typeEbEEZZNS1_14partition_implILS8_4ELb0ES6_15HIP_vector_typeIjLj2EENS0_17counting_iteratorIjlEEPS9_SG_NS0_5tupleIJPjSI_NS0_16reverse_iteratorISI_EEEEENSH_IJSG_SG_SG_EEES9_SI_JZNS1_25segmented_radix_sort_implINS0_14default_configELb0EPKhPhPKlPlN2at6native12_GLOBAL__N_18offset_tEEE10hipError_tPvRmT1_PNSt15iterator_traitsIS12_E10value_typeET2_T3_PNS13_IS18_E10value_typeET4_jRbjT5_S1E_jjP12ihipStream_tbEUljE_ZNSN_ISO_Lb0ESQ_SR_ST_SU_SY_EESZ_S10_S11_S12_S16_S17_S18_S1B_S1C_jS1D_jS1E_S1E_jjS1G_bEUljE0_EEESZ_S10_S11_S18_S1C_S1E_T6_T7_T9_mT8_S1G_bDpT10_ENKUlT_T0_E_clISt17integral_constantIbLb0EES1T_IbLb1EEEEDaS1P_S1Q_EUlS1P_E_NS1_11comp_targetILNS1_3genE2ELNS1_11target_archE906ELNS1_3gpuE6ELNS1_3repE0EEENS1_30default_config_static_selectorELNS0_4arch9wavefront6targetE0EEEvS12_
	.p2align	8
	.type	_ZN7rocprim17ROCPRIM_400000_NS6detail17trampoline_kernelINS0_13select_configILj256ELj13ELNS0_17block_load_methodE3ELS4_3ELS4_3ELNS0_20block_scan_algorithmE0ELj4294967295EEENS1_25partition_config_selectorILNS1_17partition_subalgoE4EjNS0_10empty_typeEbEEZZNS1_14partition_implILS8_4ELb0ES6_15HIP_vector_typeIjLj2EENS0_17counting_iteratorIjlEEPS9_SG_NS0_5tupleIJPjSI_NS0_16reverse_iteratorISI_EEEEENSH_IJSG_SG_SG_EEES9_SI_JZNS1_25segmented_radix_sort_implINS0_14default_configELb0EPKhPhPKlPlN2at6native12_GLOBAL__N_18offset_tEEE10hipError_tPvRmT1_PNSt15iterator_traitsIS12_E10value_typeET2_T3_PNS13_IS18_E10value_typeET4_jRbjT5_S1E_jjP12ihipStream_tbEUljE_ZNSN_ISO_Lb0ESQ_SR_ST_SU_SY_EESZ_S10_S11_S12_S16_S17_S18_S1B_S1C_jS1D_jS1E_S1E_jjS1G_bEUljE0_EEESZ_S10_S11_S18_S1C_S1E_T6_T7_T9_mT8_S1G_bDpT10_ENKUlT_T0_E_clISt17integral_constantIbLb0EES1T_IbLb1EEEEDaS1P_S1Q_EUlS1P_E_NS1_11comp_targetILNS1_3genE2ELNS1_11target_archE906ELNS1_3gpuE6ELNS1_3repE0EEENS1_30default_config_static_selectorELNS0_4arch9wavefront6targetE0EEEvS12_,@function
_ZN7rocprim17ROCPRIM_400000_NS6detail17trampoline_kernelINS0_13select_configILj256ELj13ELNS0_17block_load_methodE3ELS4_3ELS4_3ELNS0_20block_scan_algorithmE0ELj4294967295EEENS1_25partition_config_selectorILNS1_17partition_subalgoE4EjNS0_10empty_typeEbEEZZNS1_14partition_implILS8_4ELb0ES6_15HIP_vector_typeIjLj2EENS0_17counting_iteratorIjlEEPS9_SG_NS0_5tupleIJPjSI_NS0_16reverse_iteratorISI_EEEEENSH_IJSG_SG_SG_EEES9_SI_JZNS1_25segmented_radix_sort_implINS0_14default_configELb0EPKhPhPKlPlN2at6native12_GLOBAL__N_18offset_tEEE10hipError_tPvRmT1_PNSt15iterator_traitsIS12_E10value_typeET2_T3_PNS13_IS18_E10value_typeET4_jRbjT5_S1E_jjP12ihipStream_tbEUljE_ZNSN_ISO_Lb0ESQ_SR_ST_SU_SY_EESZ_S10_S11_S12_S16_S17_S18_S1B_S1C_jS1D_jS1E_S1E_jjS1G_bEUljE0_EEESZ_S10_S11_S18_S1C_S1E_T6_T7_T9_mT8_S1G_bDpT10_ENKUlT_T0_E_clISt17integral_constantIbLb0EES1T_IbLb1EEEEDaS1P_S1Q_EUlS1P_E_NS1_11comp_targetILNS1_3genE2ELNS1_11target_archE906ELNS1_3gpuE6ELNS1_3repE0EEENS1_30default_config_static_selectorELNS0_4arch9wavefront6targetE0EEEvS12_: ; @_ZN7rocprim17ROCPRIM_400000_NS6detail17trampoline_kernelINS0_13select_configILj256ELj13ELNS0_17block_load_methodE3ELS4_3ELS4_3ELNS0_20block_scan_algorithmE0ELj4294967295EEENS1_25partition_config_selectorILNS1_17partition_subalgoE4EjNS0_10empty_typeEbEEZZNS1_14partition_implILS8_4ELb0ES6_15HIP_vector_typeIjLj2EENS0_17counting_iteratorIjlEEPS9_SG_NS0_5tupleIJPjSI_NS0_16reverse_iteratorISI_EEEEENSH_IJSG_SG_SG_EEES9_SI_JZNS1_25segmented_radix_sort_implINS0_14default_configELb0EPKhPhPKlPlN2at6native12_GLOBAL__N_18offset_tEEE10hipError_tPvRmT1_PNSt15iterator_traitsIS12_E10value_typeET2_T3_PNS13_IS18_E10value_typeET4_jRbjT5_S1E_jjP12ihipStream_tbEUljE_ZNSN_ISO_Lb0ESQ_SR_ST_SU_SY_EESZ_S10_S11_S12_S16_S17_S18_S1B_S1C_jS1D_jS1E_S1E_jjS1G_bEUljE0_EEESZ_S10_S11_S18_S1C_S1E_T6_T7_T9_mT8_S1G_bDpT10_ENKUlT_T0_E_clISt17integral_constantIbLb0EES1T_IbLb1EEEEDaS1P_S1Q_EUlS1P_E_NS1_11comp_targetILNS1_3genE2ELNS1_11target_archE906ELNS1_3gpuE6ELNS1_3repE0EEENS1_30default_config_static_selectorELNS0_4arch9wavefront6targetE0EEEvS12_
; %bb.0:
	.section	.rodata,"a",@progbits
	.p2align	6, 0x0
	.amdhsa_kernel _ZN7rocprim17ROCPRIM_400000_NS6detail17trampoline_kernelINS0_13select_configILj256ELj13ELNS0_17block_load_methodE3ELS4_3ELS4_3ELNS0_20block_scan_algorithmE0ELj4294967295EEENS1_25partition_config_selectorILNS1_17partition_subalgoE4EjNS0_10empty_typeEbEEZZNS1_14partition_implILS8_4ELb0ES6_15HIP_vector_typeIjLj2EENS0_17counting_iteratorIjlEEPS9_SG_NS0_5tupleIJPjSI_NS0_16reverse_iteratorISI_EEEEENSH_IJSG_SG_SG_EEES9_SI_JZNS1_25segmented_radix_sort_implINS0_14default_configELb0EPKhPhPKlPlN2at6native12_GLOBAL__N_18offset_tEEE10hipError_tPvRmT1_PNSt15iterator_traitsIS12_E10value_typeET2_T3_PNS13_IS18_E10value_typeET4_jRbjT5_S1E_jjP12ihipStream_tbEUljE_ZNSN_ISO_Lb0ESQ_SR_ST_SU_SY_EESZ_S10_S11_S12_S16_S17_S18_S1B_S1C_jS1D_jS1E_S1E_jjS1G_bEUljE0_EEESZ_S10_S11_S18_S1C_S1E_T6_T7_T9_mT8_S1G_bDpT10_ENKUlT_T0_E_clISt17integral_constantIbLb0EES1T_IbLb1EEEEDaS1P_S1Q_EUlS1P_E_NS1_11comp_targetILNS1_3genE2ELNS1_11target_archE906ELNS1_3gpuE6ELNS1_3repE0EEENS1_30default_config_static_selectorELNS0_4arch9wavefront6targetE0EEEvS12_
		.amdhsa_group_segment_fixed_size 0
		.amdhsa_private_segment_fixed_size 0
		.amdhsa_kernarg_size 184
		.amdhsa_user_sgpr_count 2
		.amdhsa_user_sgpr_dispatch_ptr 0
		.amdhsa_user_sgpr_queue_ptr 0
		.amdhsa_user_sgpr_kernarg_segment_ptr 1
		.amdhsa_user_sgpr_dispatch_id 0
		.amdhsa_user_sgpr_kernarg_preload_length 0
		.amdhsa_user_sgpr_kernarg_preload_offset 0
		.amdhsa_user_sgpr_private_segment_size 0
		.amdhsa_wavefront_size32 1
		.amdhsa_uses_dynamic_stack 0
		.amdhsa_enable_private_segment 0
		.amdhsa_system_sgpr_workgroup_id_x 1
		.amdhsa_system_sgpr_workgroup_id_y 0
		.amdhsa_system_sgpr_workgroup_id_z 0
		.amdhsa_system_sgpr_workgroup_info 0
		.amdhsa_system_vgpr_workitem_id 0
		.amdhsa_next_free_vgpr 1
		.amdhsa_next_free_sgpr 1
		.amdhsa_named_barrier_count 0
		.amdhsa_reserve_vcc 0
		.amdhsa_float_round_mode_32 0
		.amdhsa_float_round_mode_16_64 0
		.amdhsa_float_denorm_mode_32 3
		.amdhsa_float_denorm_mode_16_64 3
		.amdhsa_fp16_overflow 0
		.amdhsa_memory_ordered 1
		.amdhsa_forward_progress 1
		.amdhsa_inst_pref_size 0
		.amdhsa_round_robin_scheduling 0
		.amdhsa_exception_fp_ieee_invalid_op 0
		.amdhsa_exception_fp_denorm_src 0
		.amdhsa_exception_fp_ieee_div_zero 0
		.amdhsa_exception_fp_ieee_overflow 0
		.amdhsa_exception_fp_ieee_underflow 0
		.amdhsa_exception_fp_ieee_inexact 0
		.amdhsa_exception_int_div_zero 0
	.end_amdhsa_kernel
	.section	.text._ZN7rocprim17ROCPRIM_400000_NS6detail17trampoline_kernelINS0_13select_configILj256ELj13ELNS0_17block_load_methodE3ELS4_3ELS4_3ELNS0_20block_scan_algorithmE0ELj4294967295EEENS1_25partition_config_selectorILNS1_17partition_subalgoE4EjNS0_10empty_typeEbEEZZNS1_14partition_implILS8_4ELb0ES6_15HIP_vector_typeIjLj2EENS0_17counting_iteratorIjlEEPS9_SG_NS0_5tupleIJPjSI_NS0_16reverse_iteratorISI_EEEEENSH_IJSG_SG_SG_EEES9_SI_JZNS1_25segmented_radix_sort_implINS0_14default_configELb0EPKhPhPKlPlN2at6native12_GLOBAL__N_18offset_tEEE10hipError_tPvRmT1_PNSt15iterator_traitsIS12_E10value_typeET2_T3_PNS13_IS18_E10value_typeET4_jRbjT5_S1E_jjP12ihipStream_tbEUljE_ZNSN_ISO_Lb0ESQ_SR_ST_SU_SY_EESZ_S10_S11_S12_S16_S17_S18_S1B_S1C_jS1D_jS1E_S1E_jjS1G_bEUljE0_EEESZ_S10_S11_S18_S1C_S1E_T6_T7_T9_mT8_S1G_bDpT10_ENKUlT_T0_E_clISt17integral_constantIbLb0EES1T_IbLb1EEEEDaS1P_S1Q_EUlS1P_E_NS1_11comp_targetILNS1_3genE2ELNS1_11target_archE906ELNS1_3gpuE6ELNS1_3repE0EEENS1_30default_config_static_selectorELNS0_4arch9wavefront6targetE0EEEvS12_,"axG",@progbits,_ZN7rocprim17ROCPRIM_400000_NS6detail17trampoline_kernelINS0_13select_configILj256ELj13ELNS0_17block_load_methodE3ELS4_3ELS4_3ELNS0_20block_scan_algorithmE0ELj4294967295EEENS1_25partition_config_selectorILNS1_17partition_subalgoE4EjNS0_10empty_typeEbEEZZNS1_14partition_implILS8_4ELb0ES6_15HIP_vector_typeIjLj2EENS0_17counting_iteratorIjlEEPS9_SG_NS0_5tupleIJPjSI_NS0_16reverse_iteratorISI_EEEEENSH_IJSG_SG_SG_EEES9_SI_JZNS1_25segmented_radix_sort_implINS0_14default_configELb0EPKhPhPKlPlN2at6native12_GLOBAL__N_18offset_tEEE10hipError_tPvRmT1_PNSt15iterator_traitsIS12_E10value_typeET2_T3_PNS13_IS18_E10value_typeET4_jRbjT5_S1E_jjP12ihipStream_tbEUljE_ZNSN_ISO_Lb0ESQ_SR_ST_SU_SY_EESZ_S10_S11_S12_S16_S17_S18_S1B_S1C_jS1D_jS1E_S1E_jjS1G_bEUljE0_EEESZ_S10_S11_S18_S1C_S1E_T6_T7_T9_mT8_S1G_bDpT10_ENKUlT_T0_E_clISt17integral_constantIbLb0EES1T_IbLb1EEEEDaS1P_S1Q_EUlS1P_E_NS1_11comp_targetILNS1_3genE2ELNS1_11target_archE906ELNS1_3gpuE6ELNS1_3repE0EEENS1_30default_config_static_selectorELNS0_4arch9wavefront6targetE0EEEvS12_,comdat
.Lfunc_end149:
	.size	_ZN7rocprim17ROCPRIM_400000_NS6detail17trampoline_kernelINS0_13select_configILj256ELj13ELNS0_17block_load_methodE3ELS4_3ELS4_3ELNS0_20block_scan_algorithmE0ELj4294967295EEENS1_25partition_config_selectorILNS1_17partition_subalgoE4EjNS0_10empty_typeEbEEZZNS1_14partition_implILS8_4ELb0ES6_15HIP_vector_typeIjLj2EENS0_17counting_iteratorIjlEEPS9_SG_NS0_5tupleIJPjSI_NS0_16reverse_iteratorISI_EEEEENSH_IJSG_SG_SG_EEES9_SI_JZNS1_25segmented_radix_sort_implINS0_14default_configELb0EPKhPhPKlPlN2at6native12_GLOBAL__N_18offset_tEEE10hipError_tPvRmT1_PNSt15iterator_traitsIS12_E10value_typeET2_T3_PNS13_IS18_E10value_typeET4_jRbjT5_S1E_jjP12ihipStream_tbEUljE_ZNSN_ISO_Lb0ESQ_SR_ST_SU_SY_EESZ_S10_S11_S12_S16_S17_S18_S1B_S1C_jS1D_jS1E_S1E_jjS1G_bEUljE0_EEESZ_S10_S11_S18_S1C_S1E_T6_T7_T9_mT8_S1G_bDpT10_ENKUlT_T0_E_clISt17integral_constantIbLb0EES1T_IbLb1EEEEDaS1P_S1Q_EUlS1P_E_NS1_11comp_targetILNS1_3genE2ELNS1_11target_archE906ELNS1_3gpuE6ELNS1_3repE0EEENS1_30default_config_static_selectorELNS0_4arch9wavefront6targetE0EEEvS12_, .Lfunc_end149-_ZN7rocprim17ROCPRIM_400000_NS6detail17trampoline_kernelINS0_13select_configILj256ELj13ELNS0_17block_load_methodE3ELS4_3ELS4_3ELNS0_20block_scan_algorithmE0ELj4294967295EEENS1_25partition_config_selectorILNS1_17partition_subalgoE4EjNS0_10empty_typeEbEEZZNS1_14partition_implILS8_4ELb0ES6_15HIP_vector_typeIjLj2EENS0_17counting_iteratorIjlEEPS9_SG_NS0_5tupleIJPjSI_NS0_16reverse_iteratorISI_EEEEENSH_IJSG_SG_SG_EEES9_SI_JZNS1_25segmented_radix_sort_implINS0_14default_configELb0EPKhPhPKlPlN2at6native12_GLOBAL__N_18offset_tEEE10hipError_tPvRmT1_PNSt15iterator_traitsIS12_E10value_typeET2_T3_PNS13_IS18_E10value_typeET4_jRbjT5_S1E_jjP12ihipStream_tbEUljE_ZNSN_ISO_Lb0ESQ_SR_ST_SU_SY_EESZ_S10_S11_S12_S16_S17_S18_S1B_S1C_jS1D_jS1E_S1E_jjS1G_bEUljE0_EEESZ_S10_S11_S18_S1C_S1E_T6_T7_T9_mT8_S1G_bDpT10_ENKUlT_T0_E_clISt17integral_constantIbLb0EES1T_IbLb1EEEEDaS1P_S1Q_EUlS1P_E_NS1_11comp_targetILNS1_3genE2ELNS1_11target_archE906ELNS1_3gpuE6ELNS1_3repE0EEENS1_30default_config_static_selectorELNS0_4arch9wavefront6targetE0EEEvS12_
                                        ; -- End function
	.set _ZN7rocprim17ROCPRIM_400000_NS6detail17trampoline_kernelINS0_13select_configILj256ELj13ELNS0_17block_load_methodE3ELS4_3ELS4_3ELNS0_20block_scan_algorithmE0ELj4294967295EEENS1_25partition_config_selectorILNS1_17partition_subalgoE4EjNS0_10empty_typeEbEEZZNS1_14partition_implILS8_4ELb0ES6_15HIP_vector_typeIjLj2EENS0_17counting_iteratorIjlEEPS9_SG_NS0_5tupleIJPjSI_NS0_16reverse_iteratorISI_EEEEENSH_IJSG_SG_SG_EEES9_SI_JZNS1_25segmented_radix_sort_implINS0_14default_configELb0EPKhPhPKlPlN2at6native12_GLOBAL__N_18offset_tEEE10hipError_tPvRmT1_PNSt15iterator_traitsIS12_E10value_typeET2_T3_PNS13_IS18_E10value_typeET4_jRbjT5_S1E_jjP12ihipStream_tbEUljE_ZNSN_ISO_Lb0ESQ_SR_ST_SU_SY_EESZ_S10_S11_S12_S16_S17_S18_S1B_S1C_jS1D_jS1E_S1E_jjS1G_bEUljE0_EEESZ_S10_S11_S18_S1C_S1E_T6_T7_T9_mT8_S1G_bDpT10_ENKUlT_T0_E_clISt17integral_constantIbLb0EES1T_IbLb1EEEEDaS1P_S1Q_EUlS1P_E_NS1_11comp_targetILNS1_3genE2ELNS1_11target_archE906ELNS1_3gpuE6ELNS1_3repE0EEENS1_30default_config_static_selectorELNS0_4arch9wavefront6targetE0EEEvS12_.num_vgpr, 0
	.set _ZN7rocprim17ROCPRIM_400000_NS6detail17trampoline_kernelINS0_13select_configILj256ELj13ELNS0_17block_load_methodE3ELS4_3ELS4_3ELNS0_20block_scan_algorithmE0ELj4294967295EEENS1_25partition_config_selectorILNS1_17partition_subalgoE4EjNS0_10empty_typeEbEEZZNS1_14partition_implILS8_4ELb0ES6_15HIP_vector_typeIjLj2EENS0_17counting_iteratorIjlEEPS9_SG_NS0_5tupleIJPjSI_NS0_16reverse_iteratorISI_EEEEENSH_IJSG_SG_SG_EEES9_SI_JZNS1_25segmented_radix_sort_implINS0_14default_configELb0EPKhPhPKlPlN2at6native12_GLOBAL__N_18offset_tEEE10hipError_tPvRmT1_PNSt15iterator_traitsIS12_E10value_typeET2_T3_PNS13_IS18_E10value_typeET4_jRbjT5_S1E_jjP12ihipStream_tbEUljE_ZNSN_ISO_Lb0ESQ_SR_ST_SU_SY_EESZ_S10_S11_S12_S16_S17_S18_S1B_S1C_jS1D_jS1E_S1E_jjS1G_bEUljE0_EEESZ_S10_S11_S18_S1C_S1E_T6_T7_T9_mT8_S1G_bDpT10_ENKUlT_T0_E_clISt17integral_constantIbLb0EES1T_IbLb1EEEEDaS1P_S1Q_EUlS1P_E_NS1_11comp_targetILNS1_3genE2ELNS1_11target_archE906ELNS1_3gpuE6ELNS1_3repE0EEENS1_30default_config_static_selectorELNS0_4arch9wavefront6targetE0EEEvS12_.num_agpr, 0
	.set _ZN7rocprim17ROCPRIM_400000_NS6detail17trampoline_kernelINS0_13select_configILj256ELj13ELNS0_17block_load_methodE3ELS4_3ELS4_3ELNS0_20block_scan_algorithmE0ELj4294967295EEENS1_25partition_config_selectorILNS1_17partition_subalgoE4EjNS0_10empty_typeEbEEZZNS1_14partition_implILS8_4ELb0ES6_15HIP_vector_typeIjLj2EENS0_17counting_iteratorIjlEEPS9_SG_NS0_5tupleIJPjSI_NS0_16reverse_iteratorISI_EEEEENSH_IJSG_SG_SG_EEES9_SI_JZNS1_25segmented_radix_sort_implINS0_14default_configELb0EPKhPhPKlPlN2at6native12_GLOBAL__N_18offset_tEEE10hipError_tPvRmT1_PNSt15iterator_traitsIS12_E10value_typeET2_T3_PNS13_IS18_E10value_typeET4_jRbjT5_S1E_jjP12ihipStream_tbEUljE_ZNSN_ISO_Lb0ESQ_SR_ST_SU_SY_EESZ_S10_S11_S12_S16_S17_S18_S1B_S1C_jS1D_jS1E_S1E_jjS1G_bEUljE0_EEESZ_S10_S11_S18_S1C_S1E_T6_T7_T9_mT8_S1G_bDpT10_ENKUlT_T0_E_clISt17integral_constantIbLb0EES1T_IbLb1EEEEDaS1P_S1Q_EUlS1P_E_NS1_11comp_targetILNS1_3genE2ELNS1_11target_archE906ELNS1_3gpuE6ELNS1_3repE0EEENS1_30default_config_static_selectorELNS0_4arch9wavefront6targetE0EEEvS12_.numbered_sgpr, 0
	.set _ZN7rocprim17ROCPRIM_400000_NS6detail17trampoline_kernelINS0_13select_configILj256ELj13ELNS0_17block_load_methodE3ELS4_3ELS4_3ELNS0_20block_scan_algorithmE0ELj4294967295EEENS1_25partition_config_selectorILNS1_17partition_subalgoE4EjNS0_10empty_typeEbEEZZNS1_14partition_implILS8_4ELb0ES6_15HIP_vector_typeIjLj2EENS0_17counting_iteratorIjlEEPS9_SG_NS0_5tupleIJPjSI_NS0_16reverse_iteratorISI_EEEEENSH_IJSG_SG_SG_EEES9_SI_JZNS1_25segmented_radix_sort_implINS0_14default_configELb0EPKhPhPKlPlN2at6native12_GLOBAL__N_18offset_tEEE10hipError_tPvRmT1_PNSt15iterator_traitsIS12_E10value_typeET2_T3_PNS13_IS18_E10value_typeET4_jRbjT5_S1E_jjP12ihipStream_tbEUljE_ZNSN_ISO_Lb0ESQ_SR_ST_SU_SY_EESZ_S10_S11_S12_S16_S17_S18_S1B_S1C_jS1D_jS1E_S1E_jjS1G_bEUljE0_EEESZ_S10_S11_S18_S1C_S1E_T6_T7_T9_mT8_S1G_bDpT10_ENKUlT_T0_E_clISt17integral_constantIbLb0EES1T_IbLb1EEEEDaS1P_S1Q_EUlS1P_E_NS1_11comp_targetILNS1_3genE2ELNS1_11target_archE906ELNS1_3gpuE6ELNS1_3repE0EEENS1_30default_config_static_selectorELNS0_4arch9wavefront6targetE0EEEvS12_.num_named_barrier, 0
	.set _ZN7rocprim17ROCPRIM_400000_NS6detail17trampoline_kernelINS0_13select_configILj256ELj13ELNS0_17block_load_methodE3ELS4_3ELS4_3ELNS0_20block_scan_algorithmE0ELj4294967295EEENS1_25partition_config_selectorILNS1_17partition_subalgoE4EjNS0_10empty_typeEbEEZZNS1_14partition_implILS8_4ELb0ES6_15HIP_vector_typeIjLj2EENS0_17counting_iteratorIjlEEPS9_SG_NS0_5tupleIJPjSI_NS0_16reverse_iteratorISI_EEEEENSH_IJSG_SG_SG_EEES9_SI_JZNS1_25segmented_radix_sort_implINS0_14default_configELb0EPKhPhPKlPlN2at6native12_GLOBAL__N_18offset_tEEE10hipError_tPvRmT1_PNSt15iterator_traitsIS12_E10value_typeET2_T3_PNS13_IS18_E10value_typeET4_jRbjT5_S1E_jjP12ihipStream_tbEUljE_ZNSN_ISO_Lb0ESQ_SR_ST_SU_SY_EESZ_S10_S11_S12_S16_S17_S18_S1B_S1C_jS1D_jS1E_S1E_jjS1G_bEUljE0_EEESZ_S10_S11_S18_S1C_S1E_T6_T7_T9_mT8_S1G_bDpT10_ENKUlT_T0_E_clISt17integral_constantIbLb0EES1T_IbLb1EEEEDaS1P_S1Q_EUlS1P_E_NS1_11comp_targetILNS1_3genE2ELNS1_11target_archE906ELNS1_3gpuE6ELNS1_3repE0EEENS1_30default_config_static_selectorELNS0_4arch9wavefront6targetE0EEEvS12_.private_seg_size, 0
	.set _ZN7rocprim17ROCPRIM_400000_NS6detail17trampoline_kernelINS0_13select_configILj256ELj13ELNS0_17block_load_methodE3ELS4_3ELS4_3ELNS0_20block_scan_algorithmE0ELj4294967295EEENS1_25partition_config_selectorILNS1_17partition_subalgoE4EjNS0_10empty_typeEbEEZZNS1_14partition_implILS8_4ELb0ES6_15HIP_vector_typeIjLj2EENS0_17counting_iteratorIjlEEPS9_SG_NS0_5tupleIJPjSI_NS0_16reverse_iteratorISI_EEEEENSH_IJSG_SG_SG_EEES9_SI_JZNS1_25segmented_radix_sort_implINS0_14default_configELb0EPKhPhPKlPlN2at6native12_GLOBAL__N_18offset_tEEE10hipError_tPvRmT1_PNSt15iterator_traitsIS12_E10value_typeET2_T3_PNS13_IS18_E10value_typeET4_jRbjT5_S1E_jjP12ihipStream_tbEUljE_ZNSN_ISO_Lb0ESQ_SR_ST_SU_SY_EESZ_S10_S11_S12_S16_S17_S18_S1B_S1C_jS1D_jS1E_S1E_jjS1G_bEUljE0_EEESZ_S10_S11_S18_S1C_S1E_T6_T7_T9_mT8_S1G_bDpT10_ENKUlT_T0_E_clISt17integral_constantIbLb0EES1T_IbLb1EEEEDaS1P_S1Q_EUlS1P_E_NS1_11comp_targetILNS1_3genE2ELNS1_11target_archE906ELNS1_3gpuE6ELNS1_3repE0EEENS1_30default_config_static_selectorELNS0_4arch9wavefront6targetE0EEEvS12_.uses_vcc, 0
	.set _ZN7rocprim17ROCPRIM_400000_NS6detail17trampoline_kernelINS0_13select_configILj256ELj13ELNS0_17block_load_methodE3ELS4_3ELS4_3ELNS0_20block_scan_algorithmE0ELj4294967295EEENS1_25partition_config_selectorILNS1_17partition_subalgoE4EjNS0_10empty_typeEbEEZZNS1_14partition_implILS8_4ELb0ES6_15HIP_vector_typeIjLj2EENS0_17counting_iteratorIjlEEPS9_SG_NS0_5tupleIJPjSI_NS0_16reverse_iteratorISI_EEEEENSH_IJSG_SG_SG_EEES9_SI_JZNS1_25segmented_radix_sort_implINS0_14default_configELb0EPKhPhPKlPlN2at6native12_GLOBAL__N_18offset_tEEE10hipError_tPvRmT1_PNSt15iterator_traitsIS12_E10value_typeET2_T3_PNS13_IS18_E10value_typeET4_jRbjT5_S1E_jjP12ihipStream_tbEUljE_ZNSN_ISO_Lb0ESQ_SR_ST_SU_SY_EESZ_S10_S11_S12_S16_S17_S18_S1B_S1C_jS1D_jS1E_S1E_jjS1G_bEUljE0_EEESZ_S10_S11_S18_S1C_S1E_T6_T7_T9_mT8_S1G_bDpT10_ENKUlT_T0_E_clISt17integral_constantIbLb0EES1T_IbLb1EEEEDaS1P_S1Q_EUlS1P_E_NS1_11comp_targetILNS1_3genE2ELNS1_11target_archE906ELNS1_3gpuE6ELNS1_3repE0EEENS1_30default_config_static_selectorELNS0_4arch9wavefront6targetE0EEEvS12_.uses_flat_scratch, 0
	.set _ZN7rocprim17ROCPRIM_400000_NS6detail17trampoline_kernelINS0_13select_configILj256ELj13ELNS0_17block_load_methodE3ELS4_3ELS4_3ELNS0_20block_scan_algorithmE0ELj4294967295EEENS1_25partition_config_selectorILNS1_17partition_subalgoE4EjNS0_10empty_typeEbEEZZNS1_14partition_implILS8_4ELb0ES6_15HIP_vector_typeIjLj2EENS0_17counting_iteratorIjlEEPS9_SG_NS0_5tupleIJPjSI_NS0_16reverse_iteratorISI_EEEEENSH_IJSG_SG_SG_EEES9_SI_JZNS1_25segmented_radix_sort_implINS0_14default_configELb0EPKhPhPKlPlN2at6native12_GLOBAL__N_18offset_tEEE10hipError_tPvRmT1_PNSt15iterator_traitsIS12_E10value_typeET2_T3_PNS13_IS18_E10value_typeET4_jRbjT5_S1E_jjP12ihipStream_tbEUljE_ZNSN_ISO_Lb0ESQ_SR_ST_SU_SY_EESZ_S10_S11_S12_S16_S17_S18_S1B_S1C_jS1D_jS1E_S1E_jjS1G_bEUljE0_EEESZ_S10_S11_S18_S1C_S1E_T6_T7_T9_mT8_S1G_bDpT10_ENKUlT_T0_E_clISt17integral_constantIbLb0EES1T_IbLb1EEEEDaS1P_S1Q_EUlS1P_E_NS1_11comp_targetILNS1_3genE2ELNS1_11target_archE906ELNS1_3gpuE6ELNS1_3repE0EEENS1_30default_config_static_selectorELNS0_4arch9wavefront6targetE0EEEvS12_.has_dyn_sized_stack, 0
	.set _ZN7rocprim17ROCPRIM_400000_NS6detail17trampoline_kernelINS0_13select_configILj256ELj13ELNS0_17block_load_methodE3ELS4_3ELS4_3ELNS0_20block_scan_algorithmE0ELj4294967295EEENS1_25partition_config_selectorILNS1_17partition_subalgoE4EjNS0_10empty_typeEbEEZZNS1_14partition_implILS8_4ELb0ES6_15HIP_vector_typeIjLj2EENS0_17counting_iteratorIjlEEPS9_SG_NS0_5tupleIJPjSI_NS0_16reverse_iteratorISI_EEEEENSH_IJSG_SG_SG_EEES9_SI_JZNS1_25segmented_radix_sort_implINS0_14default_configELb0EPKhPhPKlPlN2at6native12_GLOBAL__N_18offset_tEEE10hipError_tPvRmT1_PNSt15iterator_traitsIS12_E10value_typeET2_T3_PNS13_IS18_E10value_typeET4_jRbjT5_S1E_jjP12ihipStream_tbEUljE_ZNSN_ISO_Lb0ESQ_SR_ST_SU_SY_EESZ_S10_S11_S12_S16_S17_S18_S1B_S1C_jS1D_jS1E_S1E_jjS1G_bEUljE0_EEESZ_S10_S11_S18_S1C_S1E_T6_T7_T9_mT8_S1G_bDpT10_ENKUlT_T0_E_clISt17integral_constantIbLb0EES1T_IbLb1EEEEDaS1P_S1Q_EUlS1P_E_NS1_11comp_targetILNS1_3genE2ELNS1_11target_archE906ELNS1_3gpuE6ELNS1_3repE0EEENS1_30default_config_static_selectorELNS0_4arch9wavefront6targetE0EEEvS12_.has_recursion, 0
	.set _ZN7rocprim17ROCPRIM_400000_NS6detail17trampoline_kernelINS0_13select_configILj256ELj13ELNS0_17block_load_methodE3ELS4_3ELS4_3ELNS0_20block_scan_algorithmE0ELj4294967295EEENS1_25partition_config_selectorILNS1_17partition_subalgoE4EjNS0_10empty_typeEbEEZZNS1_14partition_implILS8_4ELb0ES6_15HIP_vector_typeIjLj2EENS0_17counting_iteratorIjlEEPS9_SG_NS0_5tupleIJPjSI_NS0_16reverse_iteratorISI_EEEEENSH_IJSG_SG_SG_EEES9_SI_JZNS1_25segmented_radix_sort_implINS0_14default_configELb0EPKhPhPKlPlN2at6native12_GLOBAL__N_18offset_tEEE10hipError_tPvRmT1_PNSt15iterator_traitsIS12_E10value_typeET2_T3_PNS13_IS18_E10value_typeET4_jRbjT5_S1E_jjP12ihipStream_tbEUljE_ZNSN_ISO_Lb0ESQ_SR_ST_SU_SY_EESZ_S10_S11_S12_S16_S17_S18_S1B_S1C_jS1D_jS1E_S1E_jjS1G_bEUljE0_EEESZ_S10_S11_S18_S1C_S1E_T6_T7_T9_mT8_S1G_bDpT10_ENKUlT_T0_E_clISt17integral_constantIbLb0EES1T_IbLb1EEEEDaS1P_S1Q_EUlS1P_E_NS1_11comp_targetILNS1_3genE2ELNS1_11target_archE906ELNS1_3gpuE6ELNS1_3repE0EEENS1_30default_config_static_selectorELNS0_4arch9wavefront6targetE0EEEvS12_.has_indirect_call, 0
	.section	.AMDGPU.csdata,"",@progbits
; Kernel info:
; codeLenInByte = 0
; TotalNumSgprs: 0
; NumVgprs: 0
; ScratchSize: 0
; MemoryBound: 0
; FloatMode: 240
; IeeeMode: 1
; LDSByteSize: 0 bytes/workgroup (compile time only)
; SGPRBlocks: 0
; VGPRBlocks: 0
; NumSGPRsForWavesPerEU: 1
; NumVGPRsForWavesPerEU: 1
; NamedBarCnt: 0
; Occupancy: 16
; WaveLimiterHint : 0
; COMPUTE_PGM_RSRC2:SCRATCH_EN: 0
; COMPUTE_PGM_RSRC2:USER_SGPR: 2
; COMPUTE_PGM_RSRC2:TRAP_HANDLER: 0
; COMPUTE_PGM_RSRC2:TGID_X_EN: 1
; COMPUTE_PGM_RSRC2:TGID_Y_EN: 0
; COMPUTE_PGM_RSRC2:TGID_Z_EN: 0
; COMPUTE_PGM_RSRC2:TIDIG_COMP_CNT: 0
	.section	.text._ZN7rocprim17ROCPRIM_400000_NS6detail17trampoline_kernelINS0_13select_configILj256ELj13ELNS0_17block_load_methodE3ELS4_3ELS4_3ELNS0_20block_scan_algorithmE0ELj4294967295EEENS1_25partition_config_selectorILNS1_17partition_subalgoE4EjNS0_10empty_typeEbEEZZNS1_14partition_implILS8_4ELb0ES6_15HIP_vector_typeIjLj2EENS0_17counting_iteratorIjlEEPS9_SG_NS0_5tupleIJPjSI_NS0_16reverse_iteratorISI_EEEEENSH_IJSG_SG_SG_EEES9_SI_JZNS1_25segmented_radix_sort_implINS0_14default_configELb0EPKhPhPKlPlN2at6native12_GLOBAL__N_18offset_tEEE10hipError_tPvRmT1_PNSt15iterator_traitsIS12_E10value_typeET2_T3_PNS13_IS18_E10value_typeET4_jRbjT5_S1E_jjP12ihipStream_tbEUljE_ZNSN_ISO_Lb0ESQ_SR_ST_SU_SY_EESZ_S10_S11_S12_S16_S17_S18_S1B_S1C_jS1D_jS1E_S1E_jjS1G_bEUljE0_EEESZ_S10_S11_S18_S1C_S1E_T6_T7_T9_mT8_S1G_bDpT10_ENKUlT_T0_E_clISt17integral_constantIbLb0EES1T_IbLb1EEEEDaS1P_S1Q_EUlS1P_E_NS1_11comp_targetILNS1_3genE10ELNS1_11target_archE1200ELNS1_3gpuE4ELNS1_3repE0EEENS1_30default_config_static_selectorELNS0_4arch9wavefront6targetE0EEEvS12_,"axG",@progbits,_ZN7rocprim17ROCPRIM_400000_NS6detail17trampoline_kernelINS0_13select_configILj256ELj13ELNS0_17block_load_methodE3ELS4_3ELS4_3ELNS0_20block_scan_algorithmE0ELj4294967295EEENS1_25partition_config_selectorILNS1_17partition_subalgoE4EjNS0_10empty_typeEbEEZZNS1_14partition_implILS8_4ELb0ES6_15HIP_vector_typeIjLj2EENS0_17counting_iteratorIjlEEPS9_SG_NS0_5tupleIJPjSI_NS0_16reverse_iteratorISI_EEEEENSH_IJSG_SG_SG_EEES9_SI_JZNS1_25segmented_radix_sort_implINS0_14default_configELb0EPKhPhPKlPlN2at6native12_GLOBAL__N_18offset_tEEE10hipError_tPvRmT1_PNSt15iterator_traitsIS12_E10value_typeET2_T3_PNS13_IS18_E10value_typeET4_jRbjT5_S1E_jjP12ihipStream_tbEUljE_ZNSN_ISO_Lb0ESQ_SR_ST_SU_SY_EESZ_S10_S11_S12_S16_S17_S18_S1B_S1C_jS1D_jS1E_S1E_jjS1G_bEUljE0_EEESZ_S10_S11_S18_S1C_S1E_T6_T7_T9_mT8_S1G_bDpT10_ENKUlT_T0_E_clISt17integral_constantIbLb0EES1T_IbLb1EEEEDaS1P_S1Q_EUlS1P_E_NS1_11comp_targetILNS1_3genE10ELNS1_11target_archE1200ELNS1_3gpuE4ELNS1_3repE0EEENS1_30default_config_static_selectorELNS0_4arch9wavefront6targetE0EEEvS12_,comdat
	.globl	_ZN7rocprim17ROCPRIM_400000_NS6detail17trampoline_kernelINS0_13select_configILj256ELj13ELNS0_17block_load_methodE3ELS4_3ELS4_3ELNS0_20block_scan_algorithmE0ELj4294967295EEENS1_25partition_config_selectorILNS1_17partition_subalgoE4EjNS0_10empty_typeEbEEZZNS1_14partition_implILS8_4ELb0ES6_15HIP_vector_typeIjLj2EENS0_17counting_iteratorIjlEEPS9_SG_NS0_5tupleIJPjSI_NS0_16reverse_iteratorISI_EEEEENSH_IJSG_SG_SG_EEES9_SI_JZNS1_25segmented_radix_sort_implINS0_14default_configELb0EPKhPhPKlPlN2at6native12_GLOBAL__N_18offset_tEEE10hipError_tPvRmT1_PNSt15iterator_traitsIS12_E10value_typeET2_T3_PNS13_IS18_E10value_typeET4_jRbjT5_S1E_jjP12ihipStream_tbEUljE_ZNSN_ISO_Lb0ESQ_SR_ST_SU_SY_EESZ_S10_S11_S12_S16_S17_S18_S1B_S1C_jS1D_jS1E_S1E_jjS1G_bEUljE0_EEESZ_S10_S11_S18_S1C_S1E_T6_T7_T9_mT8_S1G_bDpT10_ENKUlT_T0_E_clISt17integral_constantIbLb0EES1T_IbLb1EEEEDaS1P_S1Q_EUlS1P_E_NS1_11comp_targetILNS1_3genE10ELNS1_11target_archE1200ELNS1_3gpuE4ELNS1_3repE0EEENS1_30default_config_static_selectorELNS0_4arch9wavefront6targetE0EEEvS12_ ; -- Begin function _ZN7rocprim17ROCPRIM_400000_NS6detail17trampoline_kernelINS0_13select_configILj256ELj13ELNS0_17block_load_methodE3ELS4_3ELS4_3ELNS0_20block_scan_algorithmE0ELj4294967295EEENS1_25partition_config_selectorILNS1_17partition_subalgoE4EjNS0_10empty_typeEbEEZZNS1_14partition_implILS8_4ELb0ES6_15HIP_vector_typeIjLj2EENS0_17counting_iteratorIjlEEPS9_SG_NS0_5tupleIJPjSI_NS0_16reverse_iteratorISI_EEEEENSH_IJSG_SG_SG_EEES9_SI_JZNS1_25segmented_radix_sort_implINS0_14default_configELb0EPKhPhPKlPlN2at6native12_GLOBAL__N_18offset_tEEE10hipError_tPvRmT1_PNSt15iterator_traitsIS12_E10value_typeET2_T3_PNS13_IS18_E10value_typeET4_jRbjT5_S1E_jjP12ihipStream_tbEUljE_ZNSN_ISO_Lb0ESQ_SR_ST_SU_SY_EESZ_S10_S11_S12_S16_S17_S18_S1B_S1C_jS1D_jS1E_S1E_jjS1G_bEUljE0_EEESZ_S10_S11_S18_S1C_S1E_T6_T7_T9_mT8_S1G_bDpT10_ENKUlT_T0_E_clISt17integral_constantIbLb0EES1T_IbLb1EEEEDaS1P_S1Q_EUlS1P_E_NS1_11comp_targetILNS1_3genE10ELNS1_11target_archE1200ELNS1_3gpuE4ELNS1_3repE0EEENS1_30default_config_static_selectorELNS0_4arch9wavefront6targetE0EEEvS12_
	.p2align	8
	.type	_ZN7rocprim17ROCPRIM_400000_NS6detail17trampoline_kernelINS0_13select_configILj256ELj13ELNS0_17block_load_methodE3ELS4_3ELS4_3ELNS0_20block_scan_algorithmE0ELj4294967295EEENS1_25partition_config_selectorILNS1_17partition_subalgoE4EjNS0_10empty_typeEbEEZZNS1_14partition_implILS8_4ELb0ES6_15HIP_vector_typeIjLj2EENS0_17counting_iteratorIjlEEPS9_SG_NS0_5tupleIJPjSI_NS0_16reverse_iteratorISI_EEEEENSH_IJSG_SG_SG_EEES9_SI_JZNS1_25segmented_radix_sort_implINS0_14default_configELb0EPKhPhPKlPlN2at6native12_GLOBAL__N_18offset_tEEE10hipError_tPvRmT1_PNSt15iterator_traitsIS12_E10value_typeET2_T3_PNS13_IS18_E10value_typeET4_jRbjT5_S1E_jjP12ihipStream_tbEUljE_ZNSN_ISO_Lb0ESQ_SR_ST_SU_SY_EESZ_S10_S11_S12_S16_S17_S18_S1B_S1C_jS1D_jS1E_S1E_jjS1G_bEUljE0_EEESZ_S10_S11_S18_S1C_S1E_T6_T7_T9_mT8_S1G_bDpT10_ENKUlT_T0_E_clISt17integral_constantIbLb0EES1T_IbLb1EEEEDaS1P_S1Q_EUlS1P_E_NS1_11comp_targetILNS1_3genE10ELNS1_11target_archE1200ELNS1_3gpuE4ELNS1_3repE0EEENS1_30default_config_static_selectorELNS0_4arch9wavefront6targetE0EEEvS12_,@function
_ZN7rocprim17ROCPRIM_400000_NS6detail17trampoline_kernelINS0_13select_configILj256ELj13ELNS0_17block_load_methodE3ELS4_3ELS4_3ELNS0_20block_scan_algorithmE0ELj4294967295EEENS1_25partition_config_selectorILNS1_17partition_subalgoE4EjNS0_10empty_typeEbEEZZNS1_14partition_implILS8_4ELb0ES6_15HIP_vector_typeIjLj2EENS0_17counting_iteratorIjlEEPS9_SG_NS0_5tupleIJPjSI_NS0_16reverse_iteratorISI_EEEEENSH_IJSG_SG_SG_EEES9_SI_JZNS1_25segmented_radix_sort_implINS0_14default_configELb0EPKhPhPKlPlN2at6native12_GLOBAL__N_18offset_tEEE10hipError_tPvRmT1_PNSt15iterator_traitsIS12_E10value_typeET2_T3_PNS13_IS18_E10value_typeET4_jRbjT5_S1E_jjP12ihipStream_tbEUljE_ZNSN_ISO_Lb0ESQ_SR_ST_SU_SY_EESZ_S10_S11_S12_S16_S17_S18_S1B_S1C_jS1D_jS1E_S1E_jjS1G_bEUljE0_EEESZ_S10_S11_S18_S1C_S1E_T6_T7_T9_mT8_S1G_bDpT10_ENKUlT_T0_E_clISt17integral_constantIbLb0EES1T_IbLb1EEEEDaS1P_S1Q_EUlS1P_E_NS1_11comp_targetILNS1_3genE10ELNS1_11target_archE1200ELNS1_3gpuE4ELNS1_3repE0EEENS1_30default_config_static_selectorELNS0_4arch9wavefront6targetE0EEEvS12_: ; @_ZN7rocprim17ROCPRIM_400000_NS6detail17trampoline_kernelINS0_13select_configILj256ELj13ELNS0_17block_load_methodE3ELS4_3ELS4_3ELNS0_20block_scan_algorithmE0ELj4294967295EEENS1_25partition_config_selectorILNS1_17partition_subalgoE4EjNS0_10empty_typeEbEEZZNS1_14partition_implILS8_4ELb0ES6_15HIP_vector_typeIjLj2EENS0_17counting_iteratorIjlEEPS9_SG_NS0_5tupleIJPjSI_NS0_16reverse_iteratorISI_EEEEENSH_IJSG_SG_SG_EEES9_SI_JZNS1_25segmented_radix_sort_implINS0_14default_configELb0EPKhPhPKlPlN2at6native12_GLOBAL__N_18offset_tEEE10hipError_tPvRmT1_PNSt15iterator_traitsIS12_E10value_typeET2_T3_PNS13_IS18_E10value_typeET4_jRbjT5_S1E_jjP12ihipStream_tbEUljE_ZNSN_ISO_Lb0ESQ_SR_ST_SU_SY_EESZ_S10_S11_S12_S16_S17_S18_S1B_S1C_jS1D_jS1E_S1E_jjS1G_bEUljE0_EEESZ_S10_S11_S18_S1C_S1E_T6_T7_T9_mT8_S1G_bDpT10_ENKUlT_T0_E_clISt17integral_constantIbLb0EES1T_IbLb1EEEEDaS1P_S1Q_EUlS1P_E_NS1_11comp_targetILNS1_3genE10ELNS1_11target_archE1200ELNS1_3gpuE4ELNS1_3repE0EEENS1_30default_config_static_selectorELNS0_4arch9wavefront6targetE0EEEvS12_
; %bb.0:
	.section	.rodata,"a",@progbits
	.p2align	6, 0x0
	.amdhsa_kernel _ZN7rocprim17ROCPRIM_400000_NS6detail17trampoline_kernelINS0_13select_configILj256ELj13ELNS0_17block_load_methodE3ELS4_3ELS4_3ELNS0_20block_scan_algorithmE0ELj4294967295EEENS1_25partition_config_selectorILNS1_17partition_subalgoE4EjNS0_10empty_typeEbEEZZNS1_14partition_implILS8_4ELb0ES6_15HIP_vector_typeIjLj2EENS0_17counting_iteratorIjlEEPS9_SG_NS0_5tupleIJPjSI_NS0_16reverse_iteratorISI_EEEEENSH_IJSG_SG_SG_EEES9_SI_JZNS1_25segmented_radix_sort_implINS0_14default_configELb0EPKhPhPKlPlN2at6native12_GLOBAL__N_18offset_tEEE10hipError_tPvRmT1_PNSt15iterator_traitsIS12_E10value_typeET2_T3_PNS13_IS18_E10value_typeET4_jRbjT5_S1E_jjP12ihipStream_tbEUljE_ZNSN_ISO_Lb0ESQ_SR_ST_SU_SY_EESZ_S10_S11_S12_S16_S17_S18_S1B_S1C_jS1D_jS1E_S1E_jjS1G_bEUljE0_EEESZ_S10_S11_S18_S1C_S1E_T6_T7_T9_mT8_S1G_bDpT10_ENKUlT_T0_E_clISt17integral_constantIbLb0EES1T_IbLb1EEEEDaS1P_S1Q_EUlS1P_E_NS1_11comp_targetILNS1_3genE10ELNS1_11target_archE1200ELNS1_3gpuE4ELNS1_3repE0EEENS1_30default_config_static_selectorELNS0_4arch9wavefront6targetE0EEEvS12_
		.amdhsa_group_segment_fixed_size 0
		.amdhsa_private_segment_fixed_size 0
		.amdhsa_kernarg_size 184
		.amdhsa_user_sgpr_count 2
		.amdhsa_user_sgpr_dispatch_ptr 0
		.amdhsa_user_sgpr_queue_ptr 0
		.amdhsa_user_sgpr_kernarg_segment_ptr 1
		.amdhsa_user_sgpr_dispatch_id 0
		.amdhsa_user_sgpr_kernarg_preload_length 0
		.amdhsa_user_sgpr_kernarg_preload_offset 0
		.amdhsa_user_sgpr_private_segment_size 0
		.amdhsa_wavefront_size32 1
		.amdhsa_uses_dynamic_stack 0
		.amdhsa_enable_private_segment 0
		.amdhsa_system_sgpr_workgroup_id_x 1
		.amdhsa_system_sgpr_workgroup_id_y 0
		.amdhsa_system_sgpr_workgroup_id_z 0
		.amdhsa_system_sgpr_workgroup_info 0
		.amdhsa_system_vgpr_workitem_id 0
		.amdhsa_next_free_vgpr 1
		.amdhsa_next_free_sgpr 1
		.amdhsa_named_barrier_count 0
		.amdhsa_reserve_vcc 0
		.amdhsa_float_round_mode_32 0
		.amdhsa_float_round_mode_16_64 0
		.amdhsa_float_denorm_mode_32 3
		.amdhsa_float_denorm_mode_16_64 3
		.amdhsa_fp16_overflow 0
		.amdhsa_memory_ordered 1
		.amdhsa_forward_progress 1
		.amdhsa_inst_pref_size 0
		.amdhsa_round_robin_scheduling 0
		.amdhsa_exception_fp_ieee_invalid_op 0
		.amdhsa_exception_fp_denorm_src 0
		.amdhsa_exception_fp_ieee_div_zero 0
		.amdhsa_exception_fp_ieee_overflow 0
		.amdhsa_exception_fp_ieee_underflow 0
		.amdhsa_exception_fp_ieee_inexact 0
		.amdhsa_exception_int_div_zero 0
	.end_amdhsa_kernel
	.section	.text._ZN7rocprim17ROCPRIM_400000_NS6detail17trampoline_kernelINS0_13select_configILj256ELj13ELNS0_17block_load_methodE3ELS4_3ELS4_3ELNS0_20block_scan_algorithmE0ELj4294967295EEENS1_25partition_config_selectorILNS1_17partition_subalgoE4EjNS0_10empty_typeEbEEZZNS1_14partition_implILS8_4ELb0ES6_15HIP_vector_typeIjLj2EENS0_17counting_iteratorIjlEEPS9_SG_NS0_5tupleIJPjSI_NS0_16reverse_iteratorISI_EEEEENSH_IJSG_SG_SG_EEES9_SI_JZNS1_25segmented_radix_sort_implINS0_14default_configELb0EPKhPhPKlPlN2at6native12_GLOBAL__N_18offset_tEEE10hipError_tPvRmT1_PNSt15iterator_traitsIS12_E10value_typeET2_T3_PNS13_IS18_E10value_typeET4_jRbjT5_S1E_jjP12ihipStream_tbEUljE_ZNSN_ISO_Lb0ESQ_SR_ST_SU_SY_EESZ_S10_S11_S12_S16_S17_S18_S1B_S1C_jS1D_jS1E_S1E_jjS1G_bEUljE0_EEESZ_S10_S11_S18_S1C_S1E_T6_T7_T9_mT8_S1G_bDpT10_ENKUlT_T0_E_clISt17integral_constantIbLb0EES1T_IbLb1EEEEDaS1P_S1Q_EUlS1P_E_NS1_11comp_targetILNS1_3genE10ELNS1_11target_archE1200ELNS1_3gpuE4ELNS1_3repE0EEENS1_30default_config_static_selectorELNS0_4arch9wavefront6targetE0EEEvS12_,"axG",@progbits,_ZN7rocprim17ROCPRIM_400000_NS6detail17trampoline_kernelINS0_13select_configILj256ELj13ELNS0_17block_load_methodE3ELS4_3ELS4_3ELNS0_20block_scan_algorithmE0ELj4294967295EEENS1_25partition_config_selectorILNS1_17partition_subalgoE4EjNS0_10empty_typeEbEEZZNS1_14partition_implILS8_4ELb0ES6_15HIP_vector_typeIjLj2EENS0_17counting_iteratorIjlEEPS9_SG_NS0_5tupleIJPjSI_NS0_16reverse_iteratorISI_EEEEENSH_IJSG_SG_SG_EEES9_SI_JZNS1_25segmented_radix_sort_implINS0_14default_configELb0EPKhPhPKlPlN2at6native12_GLOBAL__N_18offset_tEEE10hipError_tPvRmT1_PNSt15iterator_traitsIS12_E10value_typeET2_T3_PNS13_IS18_E10value_typeET4_jRbjT5_S1E_jjP12ihipStream_tbEUljE_ZNSN_ISO_Lb0ESQ_SR_ST_SU_SY_EESZ_S10_S11_S12_S16_S17_S18_S1B_S1C_jS1D_jS1E_S1E_jjS1G_bEUljE0_EEESZ_S10_S11_S18_S1C_S1E_T6_T7_T9_mT8_S1G_bDpT10_ENKUlT_T0_E_clISt17integral_constantIbLb0EES1T_IbLb1EEEEDaS1P_S1Q_EUlS1P_E_NS1_11comp_targetILNS1_3genE10ELNS1_11target_archE1200ELNS1_3gpuE4ELNS1_3repE0EEENS1_30default_config_static_selectorELNS0_4arch9wavefront6targetE0EEEvS12_,comdat
.Lfunc_end150:
	.size	_ZN7rocprim17ROCPRIM_400000_NS6detail17trampoline_kernelINS0_13select_configILj256ELj13ELNS0_17block_load_methodE3ELS4_3ELS4_3ELNS0_20block_scan_algorithmE0ELj4294967295EEENS1_25partition_config_selectorILNS1_17partition_subalgoE4EjNS0_10empty_typeEbEEZZNS1_14partition_implILS8_4ELb0ES6_15HIP_vector_typeIjLj2EENS0_17counting_iteratorIjlEEPS9_SG_NS0_5tupleIJPjSI_NS0_16reverse_iteratorISI_EEEEENSH_IJSG_SG_SG_EEES9_SI_JZNS1_25segmented_radix_sort_implINS0_14default_configELb0EPKhPhPKlPlN2at6native12_GLOBAL__N_18offset_tEEE10hipError_tPvRmT1_PNSt15iterator_traitsIS12_E10value_typeET2_T3_PNS13_IS18_E10value_typeET4_jRbjT5_S1E_jjP12ihipStream_tbEUljE_ZNSN_ISO_Lb0ESQ_SR_ST_SU_SY_EESZ_S10_S11_S12_S16_S17_S18_S1B_S1C_jS1D_jS1E_S1E_jjS1G_bEUljE0_EEESZ_S10_S11_S18_S1C_S1E_T6_T7_T9_mT8_S1G_bDpT10_ENKUlT_T0_E_clISt17integral_constantIbLb0EES1T_IbLb1EEEEDaS1P_S1Q_EUlS1P_E_NS1_11comp_targetILNS1_3genE10ELNS1_11target_archE1200ELNS1_3gpuE4ELNS1_3repE0EEENS1_30default_config_static_selectorELNS0_4arch9wavefront6targetE0EEEvS12_, .Lfunc_end150-_ZN7rocprim17ROCPRIM_400000_NS6detail17trampoline_kernelINS0_13select_configILj256ELj13ELNS0_17block_load_methodE3ELS4_3ELS4_3ELNS0_20block_scan_algorithmE0ELj4294967295EEENS1_25partition_config_selectorILNS1_17partition_subalgoE4EjNS0_10empty_typeEbEEZZNS1_14partition_implILS8_4ELb0ES6_15HIP_vector_typeIjLj2EENS0_17counting_iteratorIjlEEPS9_SG_NS0_5tupleIJPjSI_NS0_16reverse_iteratorISI_EEEEENSH_IJSG_SG_SG_EEES9_SI_JZNS1_25segmented_radix_sort_implINS0_14default_configELb0EPKhPhPKlPlN2at6native12_GLOBAL__N_18offset_tEEE10hipError_tPvRmT1_PNSt15iterator_traitsIS12_E10value_typeET2_T3_PNS13_IS18_E10value_typeET4_jRbjT5_S1E_jjP12ihipStream_tbEUljE_ZNSN_ISO_Lb0ESQ_SR_ST_SU_SY_EESZ_S10_S11_S12_S16_S17_S18_S1B_S1C_jS1D_jS1E_S1E_jjS1G_bEUljE0_EEESZ_S10_S11_S18_S1C_S1E_T6_T7_T9_mT8_S1G_bDpT10_ENKUlT_T0_E_clISt17integral_constantIbLb0EES1T_IbLb1EEEEDaS1P_S1Q_EUlS1P_E_NS1_11comp_targetILNS1_3genE10ELNS1_11target_archE1200ELNS1_3gpuE4ELNS1_3repE0EEENS1_30default_config_static_selectorELNS0_4arch9wavefront6targetE0EEEvS12_
                                        ; -- End function
	.set _ZN7rocprim17ROCPRIM_400000_NS6detail17trampoline_kernelINS0_13select_configILj256ELj13ELNS0_17block_load_methodE3ELS4_3ELS4_3ELNS0_20block_scan_algorithmE0ELj4294967295EEENS1_25partition_config_selectorILNS1_17partition_subalgoE4EjNS0_10empty_typeEbEEZZNS1_14partition_implILS8_4ELb0ES6_15HIP_vector_typeIjLj2EENS0_17counting_iteratorIjlEEPS9_SG_NS0_5tupleIJPjSI_NS0_16reverse_iteratorISI_EEEEENSH_IJSG_SG_SG_EEES9_SI_JZNS1_25segmented_radix_sort_implINS0_14default_configELb0EPKhPhPKlPlN2at6native12_GLOBAL__N_18offset_tEEE10hipError_tPvRmT1_PNSt15iterator_traitsIS12_E10value_typeET2_T3_PNS13_IS18_E10value_typeET4_jRbjT5_S1E_jjP12ihipStream_tbEUljE_ZNSN_ISO_Lb0ESQ_SR_ST_SU_SY_EESZ_S10_S11_S12_S16_S17_S18_S1B_S1C_jS1D_jS1E_S1E_jjS1G_bEUljE0_EEESZ_S10_S11_S18_S1C_S1E_T6_T7_T9_mT8_S1G_bDpT10_ENKUlT_T0_E_clISt17integral_constantIbLb0EES1T_IbLb1EEEEDaS1P_S1Q_EUlS1P_E_NS1_11comp_targetILNS1_3genE10ELNS1_11target_archE1200ELNS1_3gpuE4ELNS1_3repE0EEENS1_30default_config_static_selectorELNS0_4arch9wavefront6targetE0EEEvS12_.num_vgpr, 0
	.set _ZN7rocprim17ROCPRIM_400000_NS6detail17trampoline_kernelINS0_13select_configILj256ELj13ELNS0_17block_load_methodE3ELS4_3ELS4_3ELNS0_20block_scan_algorithmE0ELj4294967295EEENS1_25partition_config_selectorILNS1_17partition_subalgoE4EjNS0_10empty_typeEbEEZZNS1_14partition_implILS8_4ELb0ES6_15HIP_vector_typeIjLj2EENS0_17counting_iteratorIjlEEPS9_SG_NS0_5tupleIJPjSI_NS0_16reverse_iteratorISI_EEEEENSH_IJSG_SG_SG_EEES9_SI_JZNS1_25segmented_radix_sort_implINS0_14default_configELb0EPKhPhPKlPlN2at6native12_GLOBAL__N_18offset_tEEE10hipError_tPvRmT1_PNSt15iterator_traitsIS12_E10value_typeET2_T3_PNS13_IS18_E10value_typeET4_jRbjT5_S1E_jjP12ihipStream_tbEUljE_ZNSN_ISO_Lb0ESQ_SR_ST_SU_SY_EESZ_S10_S11_S12_S16_S17_S18_S1B_S1C_jS1D_jS1E_S1E_jjS1G_bEUljE0_EEESZ_S10_S11_S18_S1C_S1E_T6_T7_T9_mT8_S1G_bDpT10_ENKUlT_T0_E_clISt17integral_constantIbLb0EES1T_IbLb1EEEEDaS1P_S1Q_EUlS1P_E_NS1_11comp_targetILNS1_3genE10ELNS1_11target_archE1200ELNS1_3gpuE4ELNS1_3repE0EEENS1_30default_config_static_selectorELNS0_4arch9wavefront6targetE0EEEvS12_.num_agpr, 0
	.set _ZN7rocprim17ROCPRIM_400000_NS6detail17trampoline_kernelINS0_13select_configILj256ELj13ELNS0_17block_load_methodE3ELS4_3ELS4_3ELNS0_20block_scan_algorithmE0ELj4294967295EEENS1_25partition_config_selectorILNS1_17partition_subalgoE4EjNS0_10empty_typeEbEEZZNS1_14partition_implILS8_4ELb0ES6_15HIP_vector_typeIjLj2EENS0_17counting_iteratorIjlEEPS9_SG_NS0_5tupleIJPjSI_NS0_16reverse_iteratorISI_EEEEENSH_IJSG_SG_SG_EEES9_SI_JZNS1_25segmented_radix_sort_implINS0_14default_configELb0EPKhPhPKlPlN2at6native12_GLOBAL__N_18offset_tEEE10hipError_tPvRmT1_PNSt15iterator_traitsIS12_E10value_typeET2_T3_PNS13_IS18_E10value_typeET4_jRbjT5_S1E_jjP12ihipStream_tbEUljE_ZNSN_ISO_Lb0ESQ_SR_ST_SU_SY_EESZ_S10_S11_S12_S16_S17_S18_S1B_S1C_jS1D_jS1E_S1E_jjS1G_bEUljE0_EEESZ_S10_S11_S18_S1C_S1E_T6_T7_T9_mT8_S1G_bDpT10_ENKUlT_T0_E_clISt17integral_constantIbLb0EES1T_IbLb1EEEEDaS1P_S1Q_EUlS1P_E_NS1_11comp_targetILNS1_3genE10ELNS1_11target_archE1200ELNS1_3gpuE4ELNS1_3repE0EEENS1_30default_config_static_selectorELNS0_4arch9wavefront6targetE0EEEvS12_.numbered_sgpr, 0
	.set _ZN7rocprim17ROCPRIM_400000_NS6detail17trampoline_kernelINS0_13select_configILj256ELj13ELNS0_17block_load_methodE3ELS4_3ELS4_3ELNS0_20block_scan_algorithmE0ELj4294967295EEENS1_25partition_config_selectorILNS1_17partition_subalgoE4EjNS0_10empty_typeEbEEZZNS1_14partition_implILS8_4ELb0ES6_15HIP_vector_typeIjLj2EENS0_17counting_iteratorIjlEEPS9_SG_NS0_5tupleIJPjSI_NS0_16reverse_iteratorISI_EEEEENSH_IJSG_SG_SG_EEES9_SI_JZNS1_25segmented_radix_sort_implINS0_14default_configELb0EPKhPhPKlPlN2at6native12_GLOBAL__N_18offset_tEEE10hipError_tPvRmT1_PNSt15iterator_traitsIS12_E10value_typeET2_T3_PNS13_IS18_E10value_typeET4_jRbjT5_S1E_jjP12ihipStream_tbEUljE_ZNSN_ISO_Lb0ESQ_SR_ST_SU_SY_EESZ_S10_S11_S12_S16_S17_S18_S1B_S1C_jS1D_jS1E_S1E_jjS1G_bEUljE0_EEESZ_S10_S11_S18_S1C_S1E_T6_T7_T9_mT8_S1G_bDpT10_ENKUlT_T0_E_clISt17integral_constantIbLb0EES1T_IbLb1EEEEDaS1P_S1Q_EUlS1P_E_NS1_11comp_targetILNS1_3genE10ELNS1_11target_archE1200ELNS1_3gpuE4ELNS1_3repE0EEENS1_30default_config_static_selectorELNS0_4arch9wavefront6targetE0EEEvS12_.num_named_barrier, 0
	.set _ZN7rocprim17ROCPRIM_400000_NS6detail17trampoline_kernelINS0_13select_configILj256ELj13ELNS0_17block_load_methodE3ELS4_3ELS4_3ELNS0_20block_scan_algorithmE0ELj4294967295EEENS1_25partition_config_selectorILNS1_17partition_subalgoE4EjNS0_10empty_typeEbEEZZNS1_14partition_implILS8_4ELb0ES6_15HIP_vector_typeIjLj2EENS0_17counting_iteratorIjlEEPS9_SG_NS0_5tupleIJPjSI_NS0_16reverse_iteratorISI_EEEEENSH_IJSG_SG_SG_EEES9_SI_JZNS1_25segmented_radix_sort_implINS0_14default_configELb0EPKhPhPKlPlN2at6native12_GLOBAL__N_18offset_tEEE10hipError_tPvRmT1_PNSt15iterator_traitsIS12_E10value_typeET2_T3_PNS13_IS18_E10value_typeET4_jRbjT5_S1E_jjP12ihipStream_tbEUljE_ZNSN_ISO_Lb0ESQ_SR_ST_SU_SY_EESZ_S10_S11_S12_S16_S17_S18_S1B_S1C_jS1D_jS1E_S1E_jjS1G_bEUljE0_EEESZ_S10_S11_S18_S1C_S1E_T6_T7_T9_mT8_S1G_bDpT10_ENKUlT_T0_E_clISt17integral_constantIbLb0EES1T_IbLb1EEEEDaS1P_S1Q_EUlS1P_E_NS1_11comp_targetILNS1_3genE10ELNS1_11target_archE1200ELNS1_3gpuE4ELNS1_3repE0EEENS1_30default_config_static_selectorELNS0_4arch9wavefront6targetE0EEEvS12_.private_seg_size, 0
	.set _ZN7rocprim17ROCPRIM_400000_NS6detail17trampoline_kernelINS0_13select_configILj256ELj13ELNS0_17block_load_methodE3ELS4_3ELS4_3ELNS0_20block_scan_algorithmE0ELj4294967295EEENS1_25partition_config_selectorILNS1_17partition_subalgoE4EjNS0_10empty_typeEbEEZZNS1_14partition_implILS8_4ELb0ES6_15HIP_vector_typeIjLj2EENS0_17counting_iteratorIjlEEPS9_SG_NS0_5tupleIJPjSI_NS0_16reverse_iteratorISI_EEEEENSH_IJSG_SG_SG_EEES9_SI_JZNS1_25segmented_radix_sort_implINS0_14default_configELb0EPKhPhPKlPlN2at6native12_GLOBAL__N_18offset_tEEE10hipError_tPvRmT1_PNSt15iterator_traitsIS12_E10value_typeET2_T3_PNS13_IS18_E10value_typeET4_jRbjT5_S1E_jjP12ihipStream_tbEUljE_ZNSN_ISO_Lb0ESQ_SR_ST_SU_SY_EESZ_S10_S11_S12_S16_S17_S18_S1B_S1C_jS1D_jS1E_S1E_jjS1G_bEUljE0_EEESZ_S10_S11_S18_S1C_S1E_T6_T7_T9_mT8_S1G_bDpT10_ENKUlT_T0_E_clISt17integral_constantIbLb0EES1T_IbLb1EEEEDaS1P_S1Q_EUlS1P_E_NS1_11comp_targetILNS1_3genE10ELNS1_11target_archE1200ELNS1_3gpuE4ELNS1_3repE0EEENS1_30default_config_static_selectorELNS0_4arch9wavefront6targetE0EEEvS12_.uses_vcc, 0
	.set _ZN7rocprim17ROCPRIM_400000_NS6detail17trampoline_kernelINS0_13select_configILj256ELj13ELNS0_17block_load_methodE3ELS4_3ELS4_3ELNS0_20block_scan_algorithmE0ELj4294967295EEENS1_25partition_config_selectorILNS1_17partition_subalgoE4EjNS0_10empty_typeEbEEZZNS1_14partition_implILS8_4ELb0ES6_15HIP_vector_typeIjLj2EENS0_17counting_iteratorIjlEEPS9_SG_NS0_5tupleIJPjSI_NS0_16reverse_iteratorISI_EEEEENSH_IJSG_SG_SG_EEES9_SI_JZNS1_25segmented_radix_sort_implINS0_14default_configELb0EPKhPhPKlPlN2at6native12_GLOBAL__N_18offset_tEEE10hipError_tPvRmT1_PNSt15iterator_traitsIS12_E10value_typeET2_T3_PNS13_IS18_E10value_typeET4_jRbjT5_S1E_jjP12ihipStream_tbEUljE_ZNSN_ISO_Lb0ESQ_SR_ST_SU_SY_EESZ_S10_S11_S12_S16_S17_S18_S1B_S1C_jS1D_jS1E_S1E_jjS1G_bEUljE0_EEESZ_S10_S11_S18_S1C_S1E_T6_T7_T9_mT8_S1G_bDpT10_ENKUlT_T0_E_clISt17integral_constantIbLb0EES1T_IbLb1EEEEDaS1P_S1Q_EUlS1P_E_NS1_11comp_targetILNS1_3genE10ELNS1_11target_archE1200ELNS1_3gpuE4ELNS1_3repE0EEENS1_30default_config_static_selectorELNS0_4arch9wavefront6targetE0EEEvS12_.uses_flat_scratch, 0
	.set _ZN7rocprim17ROCPRIM_400000_NS6detail17trampoline_kernelINS0_13select_configILj256ELj13ELNS0_17block_load_methodE3ELS4_3ELS4_3ELNS0_20block_scan_algorithmE0ELj4294967295EEENS1_25partition_config_selectorILNS1_17partition_subalgoE4EjNS0_10empty_typeEbEEZZNS1_14partition_implILS8_4ELb0ES6_15HIP_vector_typeIjLj2EENS0_17counting_iteratorIjlEEPS9_SG_NS0_5tupleIJPjSI_NS0_16reverse_iteratorISI_EEEEENSH_IJSG_SG_SG_EEES9_SI_JZNS1_25segmented_radix_sort_implINS0_14default_configELb0EPKhPhPKlPlN2at6native12_GLOBAL__N_18offset_tEEE10hipError_tPvRmT1_PNSt15iterator_traitsIS12_E10value_typeET2_T3_PNS13_IS18_E10value_typeET4_jRbjT5_S1E_jjP12ihipStream_tbEUljE_ZNSN_ISO_Lb0ESQ_SR_ST_SU_SY_EESZ_S10_S11_S12_S16_S17_S18_S1B_S1C_jS1D_jS1E_S1E_jjS1G_bEUljE0_EEESZ_S10_S11_S18_S1C_S1E_T6_T7_T9_mT8_S1G_bDpT10_ENKUlT_T0_E_clISt17integral_constantIbLb0EES1T_IbLb1EEEEDaS1P_S1Q_EUlS1P_E_NS1_11comp_targetILNS1_3genE10ELNS1_11target_archE1200ELNS1_3gpuE4ELNS1_3repE0EEENS1_30default_config_static_selectorELNS0_4arch9wavefront6targetE0EEEvS12_.has_dyn_sized_stack, 0
	.set _ZN7rocprim17ROCPRIM_400000_NS6detail17trampoline_kernelINS0_13select_configILj256ELj13ELNS0_17block_load_methodE3ELS4_3ELS4_3ELNS0_20block_scan_algorithmE0ELj4294967295EEENS1_25partition_config_selectorILNS1_17partition_subalgoE4EjNS0_10empty_typeEbEEZZNS1_14partition_implILS8_4ELb0ES6_15HIP_vector_typeIjLj2EENS0_17counting_iteratorIjlEEPS9_SG_NS0_5tupleIJPjSI_NS0_16reverse_iteratorISI_EEEEENSH_IJSG_SG_SG_EEES9_SI_JZNS1_25segmented_radix_sort_implINS0_14default_configELb0EPKhPhPKlPlN2at6native12_GLOBAL__N_18offset_tEEE10hipError_tPvRmT1_PNSt15iterator_traitsIS12_E10value_typeET2_T3_PNS13_IS18_E10value_typeET4_jRbjT5_S1E_jjP12ihipStream_tbEUljE_ZNSN_ISO_Lb0ESQ_SR_ST_SU_SY_EESZ_S10_S11_S12_S16_S17_S18_S1B_S1C_jS1D_jS1E_S1E_jjS1G_bEUljE0_EEESZ_S10_S11_S18_S1C_S1E_T6_T7_T9_mT8_S1G_bDpT10_ENKUlT_T0_E_clISt17integral_constantIbLb0EES1T_IbLb1EEEEDaS1P_S1Q_EUlS1P_E_NS1_11comp_targetILNS1_3genE10ELNS1_11target_archE1200ELNS1_3gpuE4ELNS1_3repE0EEENS1_30default_config_static_selectorELNS0_4arch9wavefront6targetE0EEEvS12_.has_recursion, 0
	.set _ZN7rocprim17ROCPRIM_400000_NS6detail17trampoline_kernelINS0_13select_configILj256ELj13ELNS0_17block_load_methodE3ELS4_3ELS4_3ELNS0_20block_scan_algorithmE0ELj4294967295EEENS1_25partition_config_selectorILNS1_17partition_subalgoE4EjNS0_10empty_typeEbEEZZNS1_14partition_implILS8_4ELb0ES6_15HIP_vector_typeIjLj2EENS0_17counting_iteratorIjlEEPS9_SG_NS0_5tupleIJPjSI_NS0_16reverse_iteratorISI_EEEEENSH_IJSG_SG_SG_EEES9_SI_JZNS1_25segmented_radix_sort_implINS0_14default_configELb0EPKhPhPKlPlN2at6native12_GLOBAL__N_18offset_tEEE10hipError_tPvRmT1_PNSt15iterator_traitsIS12_E10value_typeET2_T3_PNS13_IS18_E10value_typeET4_jRbjT5_S1E_jjP12ihipStream_tbEUljE_ZNSN_ISO_Lb0ESQ_SR_ST_SU_SY_EESZ_S10_S11_S12_S16_S17_S18_S1B_S1C_jS1D_jS1E_S1E_jjS1G_bEUljE0_EEESZ_S10_S11_S18_S1C_S1E_T6_T7_T9_mT8_S1G_bDpT10_ENKUlT_T0_E_clISt17integral_constantIbLb0EES1T_IbLb1EEEEDaS1P_S1Q_EUlS1P_E_NS1_11comp_targetILNS1_3genE10ELNS1_11target_archE1200ELNS1_3gpuE4ELNS1_3repE0EEENS1_30default_config_static_selectorELNS0_4arch9wavefront6targetE0EEEvS12_.has_indirect_call, 0
	.section	.AMDGPU.csdata,"",@progbits
; Kernel info:
; codeLenInByte = 0
; TotalNumSgprs: 0
; NumVgprs: 0
; ScratchSize: 0
; MemoryBound: 0
; FloatMode: 240
; IeeeMode: 1
; LDSByteSize: 0 bytes/workgroup (compile time only)
; SGPRBlocks: 0
; VGPRBlocks: 0
; NumSGPRsForWavesPerEU: 1
; NumVGPRsForWavesPerEU: 1
; NamedBarCnt: 0
; Occupancy: 16
; WaveLimiterHint : 0
; COMPUTE_PGM_RSRC2:SCRATCH_EN: 0
; COMPUTE_PGM_RSRC2:USER_SGPR: 2
; COMPUTE_PGM_RSRC2:TRAP_HANDLER: 0
; COMPUTE_PGM_RSRC2:TGID_X_EN: 1
; COMPUTE_PGM_RSRC2:TGID_Y_EN: 0
; COMPUTE_PGM_RSRC2:TGID_Z_EN: 0
; COMPUTE_PGM_RSRC2:TIDIG_COMP_CNT: 0
	.section	.text._ZN7rocprim17ROCPRIM_400000_NS6detail17trampoline_kernelINS0_13select_configILj256ELj13ELNS0_17block_load_methodE3ELS4_3ELS4_3ELNS0_20block_scan_algorithmE0ELj4294967295EEENS1_25partition_config_selectorILNS1_17partition_subalgoE4EjNS0_10empty_typeEbEEZZNS1_14partition_implILS8_4ELb0ES6_15HIP_vector_typeIjLj2EENS0_17counting_iteratorIjlEEPS9_SG_NS0_5tupleIJPjSI_NS0_16reverse_iteratorISI_EEEEENSH_IJSG_SG_SG_EEES9_SI_JZNS1_25segmented_radix_sort_implINS0_14default_configELb0EPKhPhPKlPlN2at6native12_GLOBAL__N_18offset_tEEE10hipError_tPvRmT1_PNSt15iterator_traitsIS12_E10value_typeET2_T3_PNS13_IS18_E10value_typeET4_jRbjT5_S1E_jjP12ihipStream_tbEUljE_ZNSN_ISO_Lb0ESQ_SR_ST_SU_SY_EESZ_S10_S11_S12_S16_S17_S18_S1B_S1C_jS1D_jS1E_S1E_jjS1G_bEUljE0_EEESZ_S10_S11_S18_S1C_S1E_T6_T7_T9_mT8_S1G_bDpT10_ENKUlT_T0_E_clISt17integral_constantIbLb0EES1T_IbLb1EEEEDaS1P_S1Q_EUlS1P_E_NS1_11comp_targetILNS1_3genE9ELNS1_11target_archE1100ELNS1_3gpuE3ELNS1_3repE0EEENS1_30default_config_static_selectorELNS0_4arch9wavefront6targetE0EEEvS12_,"axG",@progbits,_ZN7rocprim17ROCPRIM_400000_NS6detail17trampoline_kernelINS0_13select_configILj256ELj13ELNS0_17block_load_methodE3ELS4_3ELS4_3ELNS0_20block_scan_algorithmE0ELj4294967295EEENS1_25partition_config_selectorILNS1_17partition_subalgoE4EjNS0_10empty_typeEbEEZZNS1_14partition_implILS8_4ELb0ES6_15HIP_vector_typeIjLj2EENS0_17counting_iteratorIjlEEPS9_SG_NS0_5tupleIJPjSI_NS0_16reverse_iteratorISI_EEEEENSH_IJSG_SG_SG_EEES9_SI_JZNS1_25segmented_radix_sort_implINS0_14default_configELb0EPKhPhPKlPlN2at6native12_GLOBAL__N_18offset_tEEE10hipError_tPvRmT1_PNSt15iterator_traitsIS12_E10value_typeET2_T3_PNS13_IS18_E10value_typeET4_jRbjT5_S1E_jjP12ihipStream_tbEUljE_ZNSN_ISO_Lb0ESQ_SR_ST_SU_SY_EESZ_S10_S11_S12_S16_S17_S18_S1B_S1C_jS1D_jS1E_S1E_jjS1G_bEUljE0_EEESZ_S10_S11_S18_S1C_S1E_T6_T7_T9_mT8_S1G_bDpT10_ENKUlT_T0_E_clISt17integral_constantIbLb0EES1T_IbLb1EEEEDaS1P_S1Q_EUlS1P_E_NS1_11comp_targetILNS1_3genE9ELNS1_11target_archE1100ELNS1_3gpuE3ELNS1_3repE0EEENS1_30default_config_static_selectorELNS0_4arch9wavefront6targetE0EEEvS12_,comdat
	.globl	_ZN7rocprim17ROCPRIM_400000_NS6detail17trampoline_kernelINS0_13select_configILj256ELj13ELNS0_17block_load_methodE3ELS4_3ELS4_3ELNS0_20block_scan_algorithmE0ELj4294967295EEENS1_25partition_config_selectorILNS1_17partition_subalgoE4EjNS0_10empty_typeEbEEZZNS1_14partition_implILS8_4ELb0ES6_15HIP_vector_typeIjLj2EENS0_17counting_iteratorIjlEEPS9_SG_NS0_5tupleIJPjSI_NS0_16reverse_iteratorISI_EEEEENSH_IJSG_SG_SG_EEES9_SI_JZNS1_25segmented_radix_sort_implINS0_14default_configELb0EPKhPhPKlPlN2at6native12_GLOBAL__N_18offset_tEEE10hipError_tPvRmT1_PNSt15iterator_traitsIS12_E10value_typeET2_T3_PNS13_IS18_E10value_typeET4_jRbjT5_S1E_jjP12ihipStream_tbEUljE_ZNSN_ISO_Lb0ESQ_SR_ST_SU_SY_EESZ_S10_S11_S12_S16_S17_S18_S1B_S1C_jS1D_jS1E_S1E_jjS1G_bEUljE0_EEESZ_S10_S11_S18_S1C_S1E_T6_T7_T9_mT8_S1G_bDpT10_ENKUlT_T0_E_clISt17integral_constantIbLb0EES1T_IbLb1EEEEDaS1P_S1Q_EUlS1P_E_NS1_11comp_targetILNS1_3genE9ELNS1_11target_archE1100ELNS1_3gpuE3ELNS1_3repE0EEENS1_30default_config_static_selectorELNS0_4arch9wavefront6targetE0EEEvS12_ ; -- Begin function _ZN7rocprim17ROCPRIM_400000_NS6detail17trampoline_kernelINS0_13select_configILj256ELj13ELNS0_17block_load_methodE3ELS4_3ELS4_3ELNS0_20block_scan_algorithmE0ELj4294967295EEENS1_25partition_config_selectorILNS1_17partition_subalgoE4EjNS0_10empty_typeEbEEZZNS1_14partition_implILS8_4ELb0ES6_15HIP_vector_typeIjLj2EENS0_17counting_iteratorIjlEEPS9_SG_NS0_5tupleIJPjSI_NS0_16reverse_iteratorISI_EEEEENSH_IJSG_SG_SG_EEES9_SI_JZNS1_25segmented_radix_sort_implINS0_14default_configELb0EPKhPhPKlPlN2at6native12_GLOBAL__N_18offset_tEEE10hipError_tPvRmT1_PNSt15iterator_traitsIS12_E10value_typeET2_T3_PNS13_IS18_E10value_typeET4_jRbjT5_S1E_jjP12ihipStream_tbEUljE_ZNSN_ISO_Lb0ESQ_SR_ST_SU_SY_EESZ_S10_S11_S12_S16_S17_S18_S1B_S1C_jS1D_jS1E_S1E_jjS1G_bEUljE0_EEESZ_S10_S11_S18_S1C_S1E_T6_T7_T9_mT8_S1G_bDpT10_ENKUlT_T0_E_clISt17integral_constantIbLb0EES1T_IbLb1EEEEDaS1P_S1Q_EUlS1P_E_NS1_11comp_targetILNS1_3genE9ELNS1_11target_archE1100ELNS1_3gpuE3ELNS1_3repE0EEENS1_30default_config_static_selectorELNS0_4arch9wavefront6targetE0EEEvS12_
	.p2align	8
	.type	_ZN7rocprim17ROCPRIM_400000_NS6detail17trampoline_kernelINS0_13select_configILj256ELj13ELNS0_17block_load_methodE3ELS4_3ELS4_3ELNS0_20block_scan_algorithmE0ELj4294967295EEENS1_25partition_config_selectorILNS1_17partition_subalgoE4EjNS0_10empty_typeEbEEZZNS1_14partition_implILS8_4ELb0ES6_15HIP_vector_typeIjLj2EENS0_17counting_iteratorIjlEEPS9_SG_NS0_5tupleIJPjSI_NS0_16reverse_iteratorISI_EEEEENSH_IJSG_SG_SG_EEES9_SI_JZNS1_25segmented_radix_sort_implINS0_14default_configELb0EPKhPhPKlPlN2at6native12_GLOBAL__N_18offset_tEEE10hipError_tPvRmT1_PNSt15iterator_traitsIS12_E10value_typeET2_T3_PNS13_IS18_E10value_typeET4_jRbjT5_S1E_jjP12ihipStream_tbEUljE_ZNSN_ISO_Lb0ESQ_SR_ST_SU_SY_EESZ_S10_S11_S12_S16_S17_S18_S1B_S1C_jS1D_jS1E_S1E_jjS1G_bEUljE0_EEESZ_S10_S11_S18_S1C_S1E_T6_T7_T9_mT8_S1G_bDpT10_ENKUlT_T0_E_clISt17integral_constantIbLb0EES1T_IbLb1EEEEDaS1P_S1Q_EUlS1P_E_NS1_11comp_targetILNS1_3genE9ELNS1_11target_archE1100ELNS1_3gpuE3ELNS1_3repE0EEENS1_30default_config_static_selectorELNS0_4arch9wavefront6targetE0EEEvS12_,@function
_ZN7rocprim17ROCPRIM_400000_NS6detail17trampoline_kernelINS0_13select_configILj256ELj13ELNS0_17block_load_methodE3ELS4_3ELS4_3ELNS0_20block_scan_algorithmE0ELj4294967295EEENS1_25partition_config_selectorILNS1_17partition_subalgoE4EjNS0_10empty_typeEbEEZZNS1_14partition_implILS8_4ELb0ES6_15HIP_vector_typeIjLj2EENS0_17counting_iteratorIjlEEPS9_SG_NS0_5tupleIJPjSI_NS0_16reverse_iteratorISI_EEEEENSH_IJSG_SG_SG_EEES9_SI_JZNS1_25segmented_radix_sort_implINS0_14default_configELb0EPKhPhPKlPlN2at6native12_GLOBAL__N_18offset_tEEE10hipError_tPvRmT1_PNSt15iterator_traitsIS12_E10value_typeET2_T3_PNS13_IS18_E10value_typeET4_jRbjT5_S1E_jjP12ihipStream_tbEUljE_ZNSN_ISO_Lb0ESQ_SR_ST_SU_SY_EESZ_S10_S11_S12_S16_S17_S18_S1B_S1C_jS1D_jS1E_S1E_jjS1G_bEUljE0_EEESZ_S10_S11_S18_S1C_S1E_T6_T7_T9_mT8_S1G_bDpT10_ENKUlT_T0_E_clISt17integral_constantIbLb0EES1T_IbLb1EEEEDaS1P_S1Q_EUlS1P_E_NS1_11comp_targetILNS1_3genE9ELNS1_11target_archE1100ELNS1_3gpuE3ELNS1_3repE0EEENS1_30default_config_static_selectorELNS0_4arch9wavefront6targetE0EEEvS12_: ; @_ZN7rocprim17ROCPRIM_400000_NS6detail17trampoline_kernelINS0_13select_configILj256ELj13ELNS0_17block_load_methodE3ELS4_3ELS4_3ELNS0_20block_scan_algorithmE0ELj4294967295EEENS1_25partition_config_selectorILNS1_17partition_subalgoE4EjNS0_10empty_typeEbEEZZNS1_14partition_implILS8_4ELb0ES6_15HIP_vector_typeIjLj2EENS0_17counting_iteratorIjlEEPS9_SG_NS0_5tupleIJPjSI_NS0_16reverse_iteratorISI_EEEEENSH_IJSG_SG_SG_EEES9_SI_JZNS1_25segmented_radix_sort_implINS0_14default_configELb0EPKhPhPKlPlN2at6native12_GLOBAL__N_18offset_tEEE10hipError_tPvRmT1_PNSt15iterator_traitsIS12_E10value_typeET2_T3_PNS13_IS18_E10value_typeET4_jRbjT5_S1E_jjP12ihipStream_tbEUljE_ZNSN_ISO_Lb0ESQ_SR_ST_SU_SY_EESZ_S10_S11_S12_S16_S17_S18_S1B_S1C_jS1D_jS1E_S1E_jjS1G_bEUljE0_EEESZ_S10_S11_S18_S1C_S1E_T6_T7_T9_mT8_S1G_bDpT10_ENKUlT_T0_E_clISt17integral_constantIbLb0EES1T_IbLb1EEEEDaS1P_S1Q_EUlS1P_E_NS1_11comp_targetILNS1_3genE9ELNS1_11target_archE1100ELNS1_3gpuE3ELNS1_3repE0EEENS1_30default_config_static_selectorELNS0_4arch9wavefront6targetE0EEEvS12_
; %bb.0:
	.section	.rodata,"a",@progbits
	.p2align	6, 0x0
	.amdhsa_kernel _ZN7rocprim17ROCPRIM_400000_NS6detail17trampoline_kernelINS0_13select_configILj256ELj13ELNS0_17block_load_methodE3ELS4_3ELS4_3ELNS0_20block_scan_algorithmE0ELj4294967295EEENS1_25partition_config_selectorILNS1_17partition_subalgoE4EjNS0_10empty_typeEbEEZZNS1_14partition_implILS8_4ELb0ES6_15HIP_vector_typeIjLj2EENS0_17counting_iteratorIjlEEPS9_SG_NS0_5tupleIJPjSI_NS0_16reverse_iteratorISI_EEEEENSH_IJSG_SG_SG_EEES9_SI_JZNS1_25segmented_radix_sort_implINS0_14default_configELb0EPKhPhPKlPlN2at6native12_GLOBAL__N_18offset_tEEE10hipError_tPvRmT1_PNSt15iterator_traitsIS12_E10value_typeET2_T3_PNS13_IS18_E10value_typeET4_jRbjT5_S1E_jjP12ihipStream_tbEUljE_ZNSN_ISO_Lb0ESQ_SR_ST_SU_SY_EESZ_S10_S11_S12_S16_S17_S18_S1B_S1C_jS1D_jS1E_S1E_jjS1G_bEUljE0_EEESZ_S10_S11_S18_S1C_S1E_T6_T7_T9_mT8_S1G_bDpT10_ENKUlT_T0_E_clISt17integral_constantIbLb0EES1T_IbLb1EEEEDaS1P_S1Q_EUlS1P_E_NS1_11comp_targetILNS1_3genE9ELNS1_11target_archE1100ELNS1_3gpuE3ELNS1_3repE0EEENS1_30default_config_static_selectorELNS0_4arch9wavefront6targetE0EEEvS12_
		.amdhsa_group_segment_fixed_size 0
		.amdhsa_private_segment_fixed_size 0
		.amdhsa_kernarg_size 184
		.amdhsa_user_sgpr_count 2
		.amdhsa_user_sgpr_dispatch_ptr 0
		.amdhsa_user_sgpr_queue_ptr 0
		.amdhsa_user_sgpr_kernarg_segment_ptr 1
		.amdhsa_user_sgpr_dispatch_id 0
		.amdhsa_user_sgpr_kernarg_preload_length 0
		.amdhsa_user_sgpr_kernarg_preload_offset 0
		.amdhsa_user_sgpr_private_segment_size 0
		.amdhsa_wavefront_size32 1
		.amdhsa_uses_dynamic_stack 0
		.amdhsa_enable_private_segment 0
		.amdhsa_system_sgpr_workgroup_id_x 1
		.amdhsa_system_sgpr_workgroup_id_y 0
		.amdhsa_system_sgpr_workgroup_id_z 0
		.amdhsa_system_sgpr_workgroup_info 0
		.amdhsa_system_vgpr_workitem_id 0
		.amdhsa_next_free_vgpr 1
		.amdhsa_next_free_sgpr 1
		.amdhsa_named_barrier_count 0
		.amdhsa_reserve_vcc 0
		.amdhsa_float_round_mode_32 0
		.amdhsa_float_round_mode_16_64 0
		.amdhsa_float_denorm_mode_32 3
		.amdhsa_float_denorm_mode_16_64 3
		.amdhsa_fp16_overflow 0
		.amdhsa_memory_ordered 1
		.amdhsa_forward_progress 1
		.amdhsa_inst_pref_size 0
		.amdhsa_round_robin_scheduling 0
		.amdhsa_exception_fp_ieee_invalid_op 0
		.amdhsa_exception_fp_denorm_src 0
		.amdhsa_exception_fp_ieee_div_zero 0
		.amdhsa_exception_fp_ieee_overflow 0
		.amdhsa_exception_fp_ieee_underflow 0
		.amdhsa_exception_fp_ieee_inexact 0
		.amdhsa_exception_int_div_zero 0
	.end_amdhsa_kernel
	.section	.text._ZN7rocprim17ROCPRIM_400000_NS6detail17trampoline_kernelINS0_13select_configILj256ELj13ELNS0_17block_load_methodE3ELS4_3ELS4_3ELNS0_20block_scan_algorithmE0ELj4294967295EEENS1_25partition_config_selectorILNS1_17partition_subalgoE4EjNS0_10empty_typeEbEEZZNS1_14partition_implILS8_4ELb0ES6_15HIP_vector_typeIjLj2EENS0_17counting_iteratorIjlEEPS9_SG_NS0_5tupleIJPjSI_NS0_16reverse_iteratorISI_EEEEENSH_IJSG_SG_SG_EEES9_SI_JZNS1_25segmented_radix_sort_implINS0_14default_configELb0EPKhPhPKlPlN2at6native12_GLOBAL__N_18offset_tEEE10hipError_tPvRmT1_PNSt15iterator_traitsIS12_E10value_typeET2_T3_PNS13_IS18_E10value_typeET4_jRbjT5_S1E_jjP12ihipStream_tbEUljE_ZNSN_ISO_Lb0ESQ_SR_ST_SU_SY_EESZ_S10_S11_S12_S16_S17_S18_S1B_S1C_jS1D_jS1E_S1E_jjS1G_bEUljE0_EEESZ_S10_S11_S18_S1C_S1E_T6_T7_T9_mT8_S1G_bDpT10_ENKUlT_T0_E_clISt17integral_constantIbLb0EES1T_IbLb1EEEEDaS1P_S1Q_EUlS1P_E_NS1_11comp_targetILNS1_3genE9ELNS1_11target_archE1100ELNS1_3gpuE3ELNS1_3repE0EEENS1_30default_config_static_selectorELNS0_4arch9wavefront6targetE0EEEvS12_,"axG",@progbits,_ZN7rocprim17ROCPRIM_400000_NS6detail17trampoline_kernelINS0_13select_configILj256ELj13ELNS0_17block_load_methodE3ELS4_3ELS4_3ELNS0_20block_scan_algorithmE0ELj4294967295EEENS1_25partition_config_selectorILNS1_17partition_subalgoE4EjNS0_10empty_typeEbEEZZNS1_14partition_implILS8_4ELb0ES6_15HIP_vector_typeIjLj2EENS0_17counting_iteratorIjlEEPS9_SG_NS0_5tupleIJPjSI_NS0_16reverse_iteratorISI_EEEEENSH_IJSG_SG_SG_EEES9_SI_JZNS1_25segmented_radix_sort_implINS0_14default_configELb0EPKhPhPKlPlN2at6native12_GLOBAL__N_18offset_tEEE10hipError_tPvRmT1_PNSt15iterator_traitsIS12_E10value_typeET2_T3_PNS13_IS18_E10value_typeET4_jRbjT5_S1E_jjP12ihipStream_tbEUljE_ZNSN_ISO_Lb0ESQ_SR_ST_SU_SY_EESZ_S10_S11_S12_S16_S17_S18_S1B_S1C_jS1D_jS1E_S1E_jjS1G_bEUljE0_EEESZ_S10_S11_S18_S1C_S1E_T6_T7_T9_mT8_S1G_bDpT10_ENKUlT_T0_E_clISt17integral_constantIbLb0EES1T_IbLb1EEEEDaS1P_S1Q_EUlS1P_E_NS1_11comp_targetILNS1_3genE9ELNS1_11target_archE1100ELNS1_3gpuE3ELNS1_3repE0EEENS1_30default_config_static_selectorELNS0_4arch9wavefront6targetE0EEEvS12_,comdat
.Lfunc_end151:
	.size	_ZN7rocprim17ROCPRIM_400000_NS6detail17trampoline_kernelINS0_13select_configILj256ELj13ELNS0_17block_load_methodE3ELS4_3ELS4_3ELNS0_20block_scan_algorithmE0ELj4294967295EEENS1_25partition_config_selectorILNS1_17partition_subalgoE4EjNS0_10empty_typeEbEEZZNS1_14partition_implILS8_4ELb0ES6_15HIP_vector_typeIjLj2EENS0_17counting_iteratorIjlEEPS9_SG_NS0_5tupleIJPjSI_NS0_16reverse_iteratorISI_EEEEENSH_IJSG_SG_SG_EEES9_SI_JZNS1_25segmented_radix_sort_implINS0_14default_configELb0EPKhPhPKlPlN2at6native12_GLOBAL__N_18offset_tEEE10hipError_tPvRmT1_PNSt15iterator_traitsIS12_E10value_typeET2_T3_PNS13_IS18_E10value_typeET4_jRbjT5_S1E_jjP12ihipStream_tbEUljE_ZNSN_ISO_Lb0ESQ_SR_ST_SU_SY_EESZ_S10_S11_S12_S16_S17_S18_S1B_S1C_jS1D_jS1E_S1E_jjS1G_bEUljE0_EEESZ_S10_S11_S18_S1C_S1E_T6_T7_T9_mT8_S1G_bDpT10_ENKUlT_T0_E_clISt17integral_constantIbLb0EES1T_IbLb1EEEEDaS1P_S1Q_EUlS1P_E_NS1_11comp_targetILNS1_3genE9ELNS1_11target_archE1100ELNS1_3gpuE3ELNS1_3repE0EEENS1_30default_config_static_selectorELNS0_4arch9wavefront6targetE0EEEvS12_, .Lfunc_end151-_ZN7rocprim17ROCPRIM_400000_NS6detail17trampoline_kernelINS0_13select_configILj256ELj13ELNS0_17block_load_methodE3ELS4_3ELS4_3ELNS0_20block_scan_algorithmE0ELj4294967295EEENS1_25partition_config_selectorILNS1_17partition_subalgoE4EjNS0_10empty_typeEbEEZZNS1_14partition_implILS8_4ELb0ES6_15HIP_vector_typeIjLj2EENS0_17counting_iteratorIjlEEPS9_SG_NS0_5tupleIJPjSI_NS0_16reverse_iteratorISI_EEEEENSH_IJSG_SG_SG_EEES9_SI_JZNS1_25segmented_radix_sort_implINS0_14default_configELb0EPKhPhPKlPlN2at6native12_GLOBAL__N_18offset_tEEE10hipError_tPvRmT1_PNSt15iterator_traitsIS12_E10value_typeET2_T3_PNS13_IS18_E10value_typeET4_jRbjT5_S1E_jjP12ihipStream_tbEUljE_ZNSN_ISO_Lb0ESQ_SR_ST_SU_SY_EESZ_S10_S11_S12_S16_S17_S18_S1B_S1C_jS1D_jS1E_S1E_jjS1G_bEUljE0_EEESZ_S10_S11_S18_S1C_S1E_T6_T7_T9_mT8_S1G_bDpT10_ENKUlT_T0_E_clISt17integral_constantIbLb0EES1T_IbLb1EEEEDaS1P_S1Q_EUlS1P_E_NS1_11comp_targetILNS1_3genE9ELNS1_11target_archE1100ELNS1_3gpuE3ELNS1_3repE0EEENS1_30default_config_static_selectorELNS0_4arch9wavefront6targetE0EEEvS12_
                                        ; -- End function
	.set _ZN7rocprim17ROCPRIM_400000_NS6detail17trampoline_kernelINS0_13select_configILj256ELj13ELNS0_17block_load_methodE3ELS4_3ELS4_3ELNS0_20block_scan_algorithmE0ELj4294967295EEENS1_25partition_config_selectorILNS1_17partition_subalgoE4EjNS0_10empty_typeEbEEZZNS1_14partition_implILS8_4ELb0ES6_15HIP_vector_typeIjLj2EENS0_17counting_iteratorIjlEEPS9_SG_NS0_5tupleIJPjSI_NS0_16reverse_iteratorISI_EEEEENSH_IJSG_SG_SG_EEES9_SI_JZNS1_25segmented_radix_sort_implINS0_14default_configELb0EPKhPhPKlPlN2at6native12_GLOBAL__N_18offset_tEEE10hipError_tPvRmT1_PNSt15iterator_traitsIS12_E10value_typeET2_T3_PNS13_IS18_E10value_typeET4_jRbjT5_S1E_jjP12ihipStream_tbEUljE_ZNSN_ISO_Lb0ESQ_SR_ST_SU_SY_EESZ_S10_S11_S12_S16_S17_S18_S1B_S1C_jS1D_jS1E_S1E_jjS1G_bEUljE0_EEESZ_S10_S11_S18_S1C_S1E_T6_T7_T9_mT8_S1G_bDpT10_ENKUlT_T0_E_clISt17integral_constantIbLb0EES1T_IbLb1EEEEDaS1P_S1Q_EUlS1P_E_NS1_11comp_targetILNS1_3genE9ELNS1_11target_archE1100ELNS1_3gpuE3ELNS1_3repE0EEENS1_30default_config_static_selectorELNS0_4arch9wavefront6targetE0EEEvS12_.num_vgpr, 0
	.set _ZN7rocprim17ROCPRIM_400000_NS6detail17trampoline_kernelINS0_13select_configILj256ELj13ELNS0_17block_load_methodE3ELS4_3ELS4_3ELNS0_20block_scan_algorithmE0ELj4294967295EEENS1_25partition_config_selectorILNS1_17partition_subalgoE4EjNS0_10empty_typeEbEEZZNS1_14partition_implILS8_4ELb0ES6_15HIP_vector_typeIjLj2EENS0_17counting_iteratorIjlEEPS9_SG_NS0_5tupleIJPjSI_NS0_16reverse_iteratorISI_EEEEENSH_IJSG_SG_SG_EEES9_SI_JZNS1_25segmented_radix_sort_implINS0_14default_configELb0EPKhPhPKlPlN2at6native12_GLOBAL__N_18offset_tEEE10hipError_tPvRmT1_PNSt15iterator_traitsIS12_E10value_typeET2_T3_PNS13_IS18_E10value_typeET4_jRbjT5_S1E_jjP12ihipStream_tbEUljE_ZNSN_ISO_Lb0ESQ_SR_ST_SU_SY_EESZ_S10_S11_S12_S16_S17_S18_S1B_S1C_jS1D_jS1E_S1E_jjS1G_bEUljE0_EEESZ_S10_S11_S18_S1C_S1E_T6_T7_T9_mT8_S1G_bDpT10_ENKUlT_T0_E_clISt17integral_constantIbLb0EES1T_IbLb1EEEEDaS1P_S1Q_EUlS1P_E_NS1_11comp_targetILNS1_3genE9ELNS1_11target_archE1100ELNS1_3gpuE3ELNS1_3repE0EEENS1_30default_config_static_selectorELNS0_4arch9wavefront6targetE0EEEvS12_.num_agpr, 0
	.set _ZN7rocprim17ROCPRIM_400000_NS6detail17trampoline_kernelINS0_13select_configILj256ELj13ELNS0_17block_load_methodE3ELS4_3ELS4_3ELNS0_20block_scan_algorithmE0ELj4294967295EEENS1_25partition_config_selectorILNS1_17partition_subalgoE4EjNS0_10empty_typeEbEEZZNS1_14partition_implILS8_4ELb0ES6_15HIP_vector_typeIjLj2EENS0_17counting_iteratorIjlEEPS9_SG_NS0_5tupleIJPjSI_NS0_16reverse_iteratorISI_EEEEENSH_IJSG_SG_SG_EEES9_SI_JZNS1_25segmented_radix_sort_implINS0_14default_configELb0EPKhPhPKlPlN2at6native12_GLOBAL__N_18offset_tEEE10hipError_tPvRmT1_PNSt15iterator_traitsIS12_E10value_typeET2_T3_PNS13_IS18_E10value_typeET4_jRbjT5_S1E_jjP12ihipStream_tbEUljE_ZNSN_ISO_Lb0ESQ_SR_ST_SU_SY_EESZ_S10_S11_S12_S16_S17_S18_S1B_S1C_jS1D_jS1E_S1E_jjS1G_bEUljE0_EEESZ_S10_S11_S18_S1C_S1E_T6_T7_T9_mT8_S1G_bDpT10_ENKUlT_T0_E_clISt17integral_constantIbLb0EES1T_IbLb1EEEEDaS1P_S1Q_EUlS1P_E_NS1_11comp_targetILNS1_3genE9ELNS1_11target_archE1100ELNS1_3gpuE3ELNS1_3repE0EEENS1_30default_config_static_selectorELNS0_4arch9wavefront6targetE0EEEvS12_.numbered_sgpr, 0
	.set _ZN7rocprim17ROCPRIM_400000_NS6detail17trampoline_kernelINS0_13select_configILj256ELj13ELNS0_17block_load_methodE3ELS4_3ELS4_3ELNS0_20block_scan_algorithmE0ELj4294967295EEENS1_25partition_config_selectorILNS1_17partition_subalgoE4EjNS0_10empty_typeEbEEZZNS1_14partition_implILS8_4ELb0ES6_15HIP_vector_typeIjLj2EENS0_17counting_iteratorIjlEEPS9_SG_NS0_5tupleIJPjSI_NS0_16reverse_iteratorISI_EEEEENSH_IJSG_SG_SG_EEES9_SI_JZNS1_25segmented_radix_sort_implINS0_14default_configELb0EPKhPhPKlPlN2at6native12_GLOBAL__N_18offset_tEEE10hipError_tPvRmT1_PNSt15iterator_traitsIS12_E10value_typeET2_T3_PNS13_IS18_E10value_typeET4_jRbjT5_S1E_jjP12ihipStream_tbEUljE_ZNSN_ISO_Lb0ESQ_SR_ST_SU_SY_EESZ_S10_S11_S12_S16_S17_S18_S1B_S1C_jS1D_jS1E_S1E_jjS1G_bEUljE0_EEESZ_S10_S11_S18_S1C_S1E_T6_T7_T9_mT8_S1G_bDpT10_ENKUlT_T0_E_clISt17integral_constantIbLb0EES1T_IbLb1EEEEDaS1P_S1Q_EUlS1P_E_NS1_11comp_targetILNS1_3genE9ELNS1_11target_archE1100ELNS1_3gpuE3ELNS1_3repE0EEENS1_30default_config_static_selectorELNS0_4arch9wavefront6targetE0EEEvS12_.num_named_barrier, 0
	.set _ZN7rocprim17ROCPRIM_400000_NS6detail17trampoline_kernelINS0_13select_configILj256ELj13ELNS0_17block_load_methodE3ELS4_3ELS4_3ELNS0_20block_scan_algorithmE0ELj4294967295EEENS1_25partition_config_selectorILNS1_17partition_subalgoE4EjNS0_10empty_typeEbEEZZNS1_14partition_implILS8_4ELb0ES6_15HIP_vector_typeIjLj2EENS0_17counting_iteratorIjlEEPS9_SG_NS0_5tupleIJPjSI_NS0_16reverse_iteratorISI_EEEEENSH_IJSG_SG_SG_EEES9_SI_JZNS1_25segmented_radix_sort_implINS0_14default_configELb0EPKhPhPKlPlN2at6native12_GLOBAL__N_18offset_tEEE10hipError_tPvRmT1_PNSt15iterator_traitsIS12_E10value_typeET2_T3_PNS13_IS18_E10value_typeET4_jRbjT5_S1E_jjP12ihipStream_tbEUljE_ZNSN_ISO_Lb0ESQ_SR_ST_SU_SY_EESZ_S10_S11_S12_S16_S17_S18_S1B_S1C_jS1D_jS1E_S1E_jjS1G_bEUljE0_EEESZ_S10_S11_S18_S1C_S1E_T6_T7_T9_mT8_S1G_bDpT10_ENKUlT_T0_E_clISt17integral_constantIbLb0EES1T_IbLb1EEEEDaS1P_S1Q_EUlS1P_E_NS1_11comp_targetILNS1_3genE9ELNS1_11target_archE1100ELNS1_3gpuE3ELNS1_3repE0EEENS1_30default_config_static_selectorELNS0_4arch9wavefront6targetE0EEEvS12_.private_seg_size, 0
	.set _ZN7rocprim17ROCPRIM_400000_NS6detail17trampoline_kernelINS0_13select_configILj256ELj13ELNS0_17block_load_methodE3ELS4_3ELS4_3ELNS0_20block_scan_algorithmE0ELj4294967295EEENS1_25partition_config_selectorILNS1_17partition_subalgoE4EjNS0_10empty_typeEbEEZZNS1_14partition_implILS8_4ELb0ES6_15HIP_vector_typeIjLj2EENS0_17counting_iteratorIjlEEPS9_SG_NS0_5tupleIJPjSI_NS0_16reverse_iteratorISI_EEEEENSH_IJSG_SG_SG_EEES9_SI_JZNS1_25segmented_radix_sort_implINS0_14default_configELb0EPKhPhPKlPlN2at6native12_GLOBAL__N_18offset_tEEE10hipError_tPvRmT1_PNSt15iterator_traitsIS12_E10value_typeET2_T3_PNS13_IS18_E10value_typeET4_jRbjT5_S1E_jjP12ihipStream_tbEUljE_ZNSN_ISO_Lb0ESQ_SR_ST_SU_SY_EESZ_S10_S11_S12_S16_S17_S18_S1B_S1C_jS1D_jS1E_S1E_jjS1G_bEUljE0_EEESZ_S10_S11_S18_S1C_S1E_T6_T7_T9_mT8_S1G_bDpT10_ENKUlT_T0_E_clISt17integral_constantIbLb0EES1T_IbLb1EEEEDaS1P_S1Q_EUlS1P_E_NS1_11comp_targetILNS1_3genE9ELNS1_11target_archE1100ELNS1_3gpuE3ELNS1_3repE0EEENS1_30default_config_static_selectorELNS0_4arch9wavefront6targetE0EEEvS12_.uses_vcc, 0
	.set _ZN7rocprim17ROCPRIM_400000_NS6detail17trampoline_kernelINS0_13select_configILj256ELj13ELNS0_17block_load_methodE3ELS4_3ELS4_3ELNS0_20block_scan_algorithmE0ELj4294967295EEENS1_25partition_config_selectorILNS1_17partition_subalgoE4EjNS0_10empty_typeEbEEZZNS1_14partition_implILS8_4ELb0ES6_15HIP_vector_typeIjLj2EENS0_17counting_iteratorIjlEEPS9_SG_NS0_5tupleIJPjSI_NS0_16reverse_iteratorISI_EEEEENSH_IJSG_SG_SG_EEES9_SI_JZNS1_25segmented_radix_sort_implINS0_14default_configELb0EPKhPhPKlPlN2at6native12_GLOBAL__N_18offset_tEEE10hipError_tPvRmT1_PNSt15iterator_traitsIS12_E10value_typeET2_T3_PNS13_IS18_E10value_typeET4_jRbjT5_S1E_jjP12ihipStream_tbEUljE_ZNSN_ISO_Lb0ESQ_SR_ST_SU_SY_EESZ_S10_S11_S12_S16_S17_S18_S1B_S1C_jS1D_jS1E_S1E_jjS1G_bEUljE0_EEESZ_S10_S11_S18_S1C_S1E_T6_T7_T9_mT8_S1G_bDpT10_ENKUlT_T0_E_clISt17integral_constantIbLb0EES1T_IbLb1EEEEDaS1P_S1Q_EUlS1P_E_NS1_11comp_targetILNS1_3genE9ELNS1_11target_archE1100ELNS1_3gpuE3ELNS1_3repE0EEENS1_30default_config_static_selectorELNS0_4arch9wavefront6targetE0EEEvS12_.uses_flat_scratch, 0
	.set _ZN7rocprim17ROCPRIM_400000_NS6detail17trampoline_kernelINS0_13select_configILj256ELj13ELNS0_17block_load_methodE3ELS4_3ELS4_3ELNS0_20block_scan_algorithmE0ELj4294967295EEENS1_25partition_config_selectorILNS1_17partition_subalgoE4EjNS0_10empty_typeEbEEZZNS1_14partition_implILS8_4ELb0ES6_15HIP_vector_typeIjLj2EENS0_17counting_iteratorIjlEEPS9_SG_NS0_5tupleIJPjSI_NS0_16reverse_iteratorISI_EEEEENSH_IJSG_SG_SG_EEES9_SI_JZNS1_25segmented_radix_sort_implINS0_14default_configELb0EPKhPhPKlPlN2at6native12_GLOBAL__N_18offset_tEEE10hipError_tPvRmT1_PNSt15iterator_traitsIS12_E10value_typeET2_T3_PNS13_IS18_E10value_typeET4_jRbjT5_S1E_jjP12ihipStream_tbEUljE_ZNSN_ISO_Lb0ESQ_SR_ST_SU_SY_EESZ_S10_S11_S12_S16_S17_S18_S1B_S1C_jS1D_jS1E_S1E_jjS1G_bEUljE0_EEESZ_S10_S11_S18_S1C_S1E_T6_T7_T9_mT8_S1G_bDpT10_ENKUlT_T0_E_clISt17integral_constantIbLb0EES1T_IbLb1EEEEDaS1P_S1Q_EUlS1P_E_NS1_11comp_targetILNS1_3genE9ELNS1_11target_archE1100ELNS1_3gpuE3ELNS1_3repE0EEENS1_30default_config_static_selectorELNS0_4arch9wavefront6targetE0EEEvS12_.has_dyn_sized_stack, 0
	.set _ZN7rocprim17ROCPRIM_400000_NS6detail17trampoline_kernelINS0_13select_configILj256ELj13ELNS0_17block_load_methodE3ELS4_3ELS4_3ELNS0_20block_scan_algorithmE0ELj4294967295EEENS1_25partition_config_selectorILNS1_17partition_subalgoE4EjNS0_10empty_typeEbEEZZNS1_14partition_implILS8_4ELb0ES6_15HIP_vector_typeIjLj2EENS0_17counting_iteratorIjlEEPS9_SG_NS0_5tupleIJPjSI_NS0_16reverse_iteratorISI_EEEEENSH_IJSG_SG_SG_EEES9_SI_JZNS1_25segmented_radix_sort_implINS0_14default_configELb0EPKhPhPKlPlN2at6native12_GLOBAL__N_18offset_tEEE10hipError_tPvRmT1_PNSt15iterator_traitsIS12_E10value_typeET2_T3_PNS13_IS18_E10value_typeET4_jRbjT5_S1E_jjP12ihipStream_tbEUljE_ZNSN_ISO_Lb0ESQ_SR_ST_SU_SY_EESZ_S10_S11_S12_S16_S17_S18_S1B_S1C_jS1D_jS1E_S1E_jjS1G_bEUljE0_EEESZ_S10_S11_S18_S1C_S1E_T6_T7_T9_mT8_S1G_bDpT10_ENKUlT_T0_E_clISt17integral_constantIbLb0EES1T_IbLb1EEEEDaS1P_S1Q_EUlS1P_E_NS1_11comp_targetILNS1_3genE9ELNS1_11target_archE1100ELNS1_3gpuE3ELNS1_3repE0EEENS1_30default_config_static_selectorELNS0_4arch9wavefront6targetE0EEEvS12_.has_recursion, 0
	.set _ZN7rocprim17ROCPRIM_400000_NS6detail17trampoline_kernelINS0_13select_configILj256ELj13ELNS0_17block_load_methodE3ELS4_3ELS4_3ELNS0_20block_scan_algorithmE0ELj4294967295EEENS1_25partition_config_selectorILNS1_17partition_subalgoE4EjNS0_10empty_typeEbEEZZNS1_14partition_implILS8_4ELb0ES6_15HIP_vector_typeIjLj2EENS0_17counting_iteratorIjlEEPS9_SG_NS0_5tupleIJPjSI_NS0_16reverse_iteratorISI_EEEEENSH_IJSG_SG_SG_EEES9_SI_JZNS1_25segmented_radix_sort_implINS0_14default_configELb0EPKhPhPKlPlN2at6native12_GLOBAL__N_18offset_tEEE10hipError_tPvRmT1_PNSt15iterator_traitsIS12_E10value_typeET2_T3_PNS13_IS18_E10value_typeET4_jRbjT5_S1E_jjP12ihipStream_tbEUljE_ZNSN_ISO_Lb0ESQ_SR_ST_SU_SY_EESZ_S10_S11_S12_S16_S17_S18_S1B_S1C_jS1D_jS1E_S1E_jjS1G_bEUljE0_EEESZ_S10_S11_S18_S1C_S1E_T6_T7_T9_mT8_S1G_bDpT10_ENKUlT_T0_E_clISt17integral_constantIbLb0EES1T_IbLb1EEEEDaS1P_S1Q_EUlS1P_E_NS1_11comp_targetILNS1_3genE9ELNS1_11target_archE1100ELNS1_3gpuE3ELNS1_3repE0EEENS1_30default_config_static_selectorELNS0_4arch9wavefront6targetE0EEEvS12_.has_indirect_call, 0
	.section	.AMDGPU.csdata,"",@progbits
; Kernel info:
; codeLenInByte = 0
; TotalNumSgprs: 0
; NumVgprs: 0
; ScratchSize: 0
; MemoryBound: 0
; FloatMode: 240
; IeeeMode: 1
; LDSByteSize: 0 bytes/workgroup (compile time only)
; SGPRBlocks: 0
; VGPRBlocks: 0
; NumSGPRsForWavesPerEU: 1
; NumVGPRsForWavesPerEU: 1
; NamedBarCnt: 0
; Occupancy: 16
; WaveLimiterHint : 0
; COMPUTE_PGM_RSRC2:SCRATCH_EN: 0
; COMPUTE_PGM_RSRC2:USER_SGPR: 2
; COMPUTE_PGM_RSRC2:TRAP_HANDLER: 0
; COMPUTE_PGM_RSRC2:TGID_X_EN: 1
; COMPUTE_PGM_RSRC2:TGID_Y_EN: 0
; COMPUTE_PGM_RSRC2:TGID_Z_EN: 0
; COMPUTE_PGM_RSRC2:TIDIG_COMP_CNT: 0
	.section	.text._ZN7rocprim17ROCPRIM_400000_NS6detail17trampoline_kernelINS0_13select_configILj256ELj13ELNS0_17block_load_methodE3ELS4_3ELS4_3ELNS0_20block_scan_algorithmE0ELj4294967295EEENS1_25partition_config_selectorILNS1_17partition_subalgoE4EjNS0_10empty_typeEbEEZZNS1_14partition_implILS8_4ELb0ES6_15HIP_vector_typeIjLj2EENS0_17counting_iteratorIjlEEPS9_SG_NS0_5tupleIJPjSI_NS0_16reverse_iteratorISI_EEEEENSH_IJSG_SG_SG_EEES9_SI_JZNS1_25segmented_radix_sort_implINS0_14default_configELb0EPKhPhPKlPlN2at6native12_GLOBAL__N_18offset_tEEE10hipError_tPvRmT1_PNSt15iterator_traitsIS12_E10value_typeET2_T3_PNS13_IS18_E10value_typeET4_jRbjT5_S1E_jjP12ihipStream_tbEUljE_ZNSN_ISO_Lb0ESQ_SR_ST_SU_SY_EESZ_S10_S11_S12_S16_S17_S18_S1B_S1C_jS1D_jS1E_S1E_jjS1G_bEUljE0_EEESZ_S10_S11_S18_S1C_S1E_T6_T7_T9_mT8_S1G_bDpT10_ENKUlT_T0_E_clISt17integral_constantIbLb0EES1T_IbLb1EEEEDaS1P_S1Q_EUlS1P_E_NS1_11comp_targetILNS1_3genE8ELNS1_11target_archE1030ELNS1_3gpuE2ELNS1_3repE0EEENS1_30default_config_static_selectorELNS0_4arch9wavefront6targetE0EEEvS12_,"axG",@progbits,_ZN7rocprim17ROCPRIM_400000_NS6detail17trampoline_kernelINS0_13select_configILj256ELj13ELNS0_17block_load_methodE3ELS4_3ELS4_3ELNS0_20block_scan_algorithmE0ELj4294967295EEENS1_25partition_config_selectorILNS1_17partition_subalgoE4EjNS0_10empty_typeEbEEZZNS1_14partition_implILS8_4ELb0ES6_15HIP_vector_typeIjLj2EENS0_17counting_iteratorIjlEEPS9_SG_NS0_5tupleIJPjSI_NS0_16reverse_iteratorISI_EEEEENSH_IJSG_SG_SG_EEES9_SI_JZNS1_25segmented_radix_sort_implINS0_14default_configELb0EPKhPhPKlPlN2at6native12_GLOBAL__N_18offset_tEEE10hipError_tPvRmT1_PNSt15iterator_traitsIS12_E10value_typeET2_T3_PNS13_IS18_E10value_typeET4_jRbjT5_S1E_jjP12ihipStream_tbEUljE_ZNSN_ISO_Lb0ESQ_SR_ST_SU_SY_EESZ_S10_S11_S12_S16_S17_S18_S1B_S1C_jS1D_jS1E_S1E_jjS1G_bEUljE0_EEESZ_S10_S11_S18_S1C_S1E_T6_T7_T9_mT8_S1G_bDpT10_ENKUlT_T0_E_clISt17integral_constantIbLb0EES1T_IbLb1EEEEDaS1P_S1Q_EUlS1P_E_NS1_11comp_targetILNS1_3genE8ELNS1_11target_archE1030ELNS1_3gpuE2ELNS1_3repE0EEENS1_30default_config_static_selectorELNS0_4arch9wavefront6targetE0EEEvS12_,comdat
	.globl	_ZN7rocprim17ROCPRIM_400000_NS6detail17trampoline_kernelINS0_13select_configILj256ELj13ELNS0_17block_load_methodE3ELS4_3ELS4_3ELNS0_20block_scan_algorithmE0ELj4294967295EEENS1_25partition_config_selectorILNS1_17partition_subalgoE4EjNS0_10empty_typeEbEEZZNS1_14partition_implILS8_4ELb0ES6_15HIP_vector_typeIjLj2EENS0_17counting_iteratorIjlEEPS9_SG_NS0_5tupleIJPjSI_NS0_16reverse_iteratorISI_EEEEENSH_IJSG_SG_SG_EEES9_SI_JZNS1_25segmented_radix_sort_implINS0_14default_configELb0EPKhPhPKlPlN2at6native12_GLOBAL__N_18offset_tEEE10hipError_tPvRmT1_PNSt15iterator_traitsIS12_E10value_typeET2_T3_PNS13_IS18_E10value_typeET4_jRbjT5_S1E_jjP12ihipStream_tbEUljE_ZNSN_ISO_Lb0ESQ_SR_ST_SU_SY_EESZ_S10_S11_S12_S16_S17_S18_S1B_S1C_jS1D_jS1E_S1E_jjS1G_bEUljE0_EEESZ_S10_S11_S18_S1C_S1E_T6_T7_T9_mT8_S1G_bDpT10_ENKUlT_T0_E_clISt17integral_constantIbLb0EES1T_IbLb1EEEEDaS1P_S1Q_EUlS1P_E_NS1_11comp_targetILNS1_3genE8ELNS1_11target_archE1030ELNS1_3gpuE2ELNS1_3repE0EEENS1_30default_config_static_selectorELNS0_4arch9wavefront6targetE0EEEvS12_ ; -- Begin function _ZN7rocprim17ROCPRIM_400000_NS6detail17trampoline_kernelINS0_13select_configILj256ELj13ELNS0_17block_load_methodE3ELS4_3ELS4_3ELNS0_20block_scan_algorithmE0ELj4294967295EEENS1_25partition_config_selectorILNS1_17partition_subalgoE4EjNS0_10empty_typeEbEEZZNS1_14partition_implILS8_4ELb0ES6_15HIP_vector_typeIjLj2EENS0_17counting_iteratorIjlEEPS9_SG_NS0_5tupleIJPjSI_NS0_16reverse_iteratorISI_EEEEENSH_IJSG_SG_SG_EEES9_SI_JZNS1_25segmented_radix_sort_implINS0_14default_configELb0EPKhPhPKlPlN2at6native12_GLOBAL__N_18offset_tEEE10hipError_tPvRmT1_PNSt15iterator_traitsIS12_E10value_typeET2_T3_PNS13_IS18_E10value_typeET4_jRbjT5_S1E_jjP12ihipStream_tbEUljE_ZNSN_ISO_Lb0ESQ_SR_ST_SU_SY_EESZ_S10_S11_S12_S16_S17_S18_S1B_S1C_jS1D_jS1E_S1E_jjS1G_bEUljE0_EEESZ_S10_S11_S18_S1C_S1E_T6_T7_T9_mT8_S1G_bDpT10_ENKUlT_T0_E_clISt17integral_constantIbLb0EES1T_IbLb1EEEEDaS1P_S1Q_EUlS1P_E_NS1_11comp_targetILNS1_3genE8ELNS1_11target_archE1030ELNS1_3gpuE2ELNS1_3repE0EEENS1_30default_config_static_selectorELNS0_4arch9wavefront6targetE0EEEvS12_
	.p2align	8
	.type	_ZN7rocprim17ROCPRIM_400000_NS6detail17trampoline_kernelINS0_13select_configILj256ELj13ELNS0_17block_load_methodE3ELS4_3ELS4_3ELNS0_20block_scan_algorithmE0ELj4294967295EEENS1_25partition_config_selectorILNS1_17partition_subalgoE4EjNS0_10empty_typeEbEEZZNS1_14partition_implILS8_4ELb0ES6_15HIP_vector_typeIjLj2EENS0_17counting_iteratorIjlEEPS9_SG_NS0_5tupleIJPjSI_NS0_16reverse_iteratorISI_EEEEENSH_IJSG_SG_SG_EEES9_SI_JZNS1_25segmented_radix_sort_implINS0_14default_configELb0EPKhPhPKlPlN2at6native12_GLOBAL__N_18offset_tEEE10hipError_tPvRmT1_PNSt15iterator_traitsIS12_E10value_typeET2_T3_PNS13_IS18_E10value_typeET4_jRbjT5_S1E_jjP12ihipStream_tbEUljE_ZNSN_ISO_Lb0ESQ_SR_ST_SU_SY_EESZ_S10_S11_S12_S16_S17_S18_S1B_S1C_jS1D_jS1E_S1E_jjS1G_bEUljE0_EEESZ_S10_S11_S18_S1C_S1E_T6_T7_T9_mT8_S1G_bDpT10_ENKUlT_T0_E_clISt17integral_constantIbLb0EES1T_IbLb1EEEEDaS1P_S1Q_EUlS1P_E_NS1_11comp_targetILNS1_3genE8ELNS1_11target_archE1030ELNS1_3gpuE2ELNS1_3repE0EEENS1_30default_config_static_selectorELNS0_4arch9wavefront6targetE0EEEvS12_,@function
_ZN7rocprim17ROCPRIM_400000_NS6detail17trampoline_kernelINS0_13select_configILj256ELj13ELNS0_17block_load_methodE3ELS4_3ELS4_3ELNS0_20block_scan_algorithmE0ELj4294967295EEENS1_25partition_config_selectorILNS1_17partition_subalgoE4EjNS0_10empty_typeEbEEZZNS1_14partition_implILS8_4ELb0ES6_15HIP_vector_typeIjLj2EENS0_17counting_iteratorIjlEEPS9_SG_NS0_5tupleIJPjSI_NS0_16reverse_iteratorISI_EEEEENSH_IJSG_SG_SG_EEES9_SI_JZNS1_25segmented_radix_sort_implINS0_14default_configELb0EPKhPhPKlPlN2at6native12_GLOBAL__N_18offset_tEEE10hipError_tPvRmT1_PNSt15iterator_traitsIS12_E10value_typeET2_T3_PNS13_IS18_E10value_typeET4_jRbjT5_S1E_jjP12ihipStream_tbEUljE_ZNSN_ISO_Lb0ESQ_SR_ST_SU_SY_EESZ_S10_S11_S12_S16_S17_S18_S1B_S1C_jS1D_jS1E_S1E_jjS1G_bEUljE0_EEESZ_S10_S11_S18_S1C_S1E_T6_T7_T9_mT8_S1G_bDpT10_ENKUlT_T0_E_clISt17integral_constantIbLb0EES1T_IbLb1EEEEDaS1P_S1Q_EUlS1P_E_NS1_11comp_targetILNS1_3genE8ELNS1_11target_archE1030ELNS1_3gpuE2ELNS1_3repE0EEENS1_30default_config_static_selectorELNS0_4arch9wavefront6targetE0EEEvS12_: ; @_ZN7rocprim17ROCPRIM_400000_NS6detail17trampoline_kernelINS0_13select_configILj256ELj13ELNS0_17block_load_methodE3ELS4_3ELS4_3ELNS0_20block_scan_algorithmE0ELj4294967295EEENS1_25partition_config_selectorILNS1_17partition_subalgoE4EjNS0_10empty_typeEbEEZZNS1_14partition_implILS8_4ELb0ES6_15HIP_vector_typeIjLj2EENS0_17counting_iteratorIjlEEPS9_SG_NS0_5tupleIJPjSI_NS0_16reverse_iteratorISI_EEEEENSH_IJSG_SG_SG_EEES9_SI_JZNS1_25segmented_radix_sort_implINS0_14default_configELb0EPKhPhPKlPlN2at6native12_GLOBAL__N_18offset_tEEE10hipError_tPvRmT1_PNSt15iterator_traitsIS12_E10value_typeET2_T3_PNS13_IS18_E10value_typeET4_jRbjT5_S1E_jjP12ihipStream_tbEUljE_ZNSN_ISO_Lb0ESQ_SR_ST_SU_SY_EESZ_S10_S11_S12_S16_S17_S18_S1B_S1C_jS1D_jS1E_S1E_jjS1G_bEUljE0_EEESZ_S10_S11_S18_S1C_S1E_T6_T7_T9_mT8_S1G_bDpT10_ENKUlT_T0_E_clISt17integral_constantIbLb0EES1T_IbLb1EEEEDaS1P_S1Q_EUlS1P_E_NS1_11comp_targetILNS1_3genE8ELNS1_11target_archE1030ELNS1_3gpuE2ELNS1_3repE0EEENS1_30default_config_static_selectorELNS0_4arch9wavefront6targetE0EEEvS12_
; %bb.0:
	.section	.rodata,"a",@progbits
	.p2align	6, 0x0
	.amdhsa_kernel _ZN7rocprim17ROCPRIM_400000_NS6detail17trampoline_kernelINS0_13select_configILj256ELj13ELNS0_17block_load_methodE3ELS4_3ELS4_3ELNS0_20block_scan_algorithmE0ELj4294967295EEENS1_25partition_config_selectorILNS1_17partition_subalgoE4EjNS0_10empty_typeEbEEZZNS1_14partition_implILS8_4ELb0ES6_15HIP_vector_typeIjLj2EENS0_17counting_iteratorIjlEEPS9_SG_NS0_5tupleIJPjSI_NS0_16reverse_iteratorISI_EEEEENSH_IJSG_SG_SG_EEES9_SI_JZNS1_25segmented_radix_sort_implINS0_14default_configELb0EPKhPhPKlPlN2at6native12_GLOBAL__N_18offset_tEEE10hipError_tPvRmT1_PNSt15iterator_traitsIS12_E10value_typeET2_T3_PNS13_IS18_E10value_typeET4_jRbjT5_S1E_jjP12ihipStream_tbEUljE_ZNSN_ISO_Lb0ESQ_SR_ST_SU_SY_EESZ_S10_S11_S12_S16_S17_S18_S1B_S1C_jS1D_jS1E_S1E_jjS1G_bEUljE0_EEESZ_S10_S11_S18_S1C_S1E_T6_T7_T9_mT8_S1G_bDpT10_ENKUlT_T0_E_clISt17integral_constantIbLb0EES1T_IbLb1EEEEDaS1P_S1Q_EUlS1P_E_NS1_11comp_targetILNS1_3genE8ELNS1_11target_archE1030ELNS1_3gpuE2ELNS1_3repE0EEENS1_30default_config_static_selectorELNS0_4arch9wavefront6targetE0EEEvS12_
		.amdhsa_group_segment_fixed_size 0
		.amdhsa_private_segment_fixed_size 0
		.amdhsa_kernarg_size 184
		.amdhsa_user_sgpr_count 2
		.amdhsa_user_sgpr_dispatch_ptr 0
		.amdhsa_user_sgpr_queue_ptr 0
		.amdhsa_user_sgpr_kernarg_segment_ptr 1
		.amdhsa_user_sgpr_dispatch_id 0
		.amdhsa_user_sgpr_kernarg_preload_length 0
		.amdhsa_user_sgpr_kernarg_preload_offset 0
		.amdhsa_user_sgpr_private_segment_size 0
		.amdhsa_wavefront_size32 1
		.amdhsa_uses_dynamic_stack 0
		.amdhsa_enable_private_segment 0
		.amdhsa_system_sgpr_workgroup_id_x 1
		.amdhsa_system_sgpr_workgroup_id_y 0
		.amdhsa_system_sgpr_workgroup_id_z 0
		.amdhsa_system_sgpr_workgroup_info 0
		.amdhsa_system_vgpr_workitem_id 0
		.amdhsa_next_free_vgpr 1
		.amdhsa_next_free_sgpr 1
		.amdhsa_named_barrier_count 0
		.amdhsa_reserve_vcc 0
		.amdhsa_float_round_mode_32 0
		.amdhsa_float_round_mode_16_64 0
		.amdhsa_float_denorm_mode_32 3
		.amdhsa_float_denorm_mode_16_64 3
		.amdhsa_fp16_overflow 0
		.amdhsa_memory_ordered 1
		.amdhsa_forward_progress 1
		.amdhsa_inst_pref_size 0
		.amdhsa_round_robin_scheduling 0
		.amdhsa_exception_fp_ieee_invalid_op 0
		.amdhsa_exception_fp_denorm_src 0
		.amdhsa_exception_fp_ieee_div_zero 0
		.amdhsa_exception_fp_ieee_overflow 0
		.amdhsa_exception_fp_ieee_underflow 0
		.amdhsa_exception_fp_ieee_inexact 0
		.amdhsa_exception_int_div_zero 0
	.end_amdhsa_kernel
	.section	.text._ZN7rocprim17ROCPRIM_400000_NS6detail17trampoline_kernelINS0_13select_configILj256ELj13ELNS0_17block_load_methodE3ELS4_3ELS4_3ELNS0_20block_scan_algorithmE0ELj4294967295EEENS1_25partition_config_selectorILNS1_17partition_subalgoE4EjNS0_10empty_typeEbEEZZNS1_14partition_implILS8_4ELb0ES6_15HIP_vector_typeIjLj2EENS0_17counting_iteratorIjlEEPS9_SG_NS0_5tupleIJPjSI_NS0_16reverse_iteratorISI_EEEEENSH_IJSG_SG_SG_EEES9_SI_JZNS1_25segmented_radix_sort_implINS0_14default_configELb0EPKhPhPKlPlN2at6native12_GLOBAL__N_18offset_tEEE10hipError_tPvRmT1_PNSt15iterator_traitsIS12_E10value_typeET2_T3_PNS13_IS18_E10value_typeET4_jRbjT5_S1E_jjP12ihipStream_tbEUljE_ZNSN_ISO_Lb0ESQ_SR_ST_SU_SY_EESZ_S10_S11_S12_S16_S17_S18_S1B_S1C_jS1D_jS1E_S1E_jjS1G_bEUljE0_EEESZ_S10_S11_S18_S1C_S1E_T6_T7_T9_mT8_S1G_bDpT10_ENKUlT_T0_E_clISt17integral_constantIbLb0EES1T_IbLb1EEEEDaS1P_S1Q_EUlS1P_E_NS1_11comp_targetILNS1_3genE8ELNS1_11target_archE1030ELNS1_3gpuE2ELNS1_3repE0EEENS1_30default_config_static_selectorELNS0_4arch9wavefront6targetE0EEEvS12_,"axG",@progbits,_ZN7rocprim17ROCPRIM_400000_NS6detail17trampoline_kernelINS0_13select_configILj256ELj13ELNS0_17block_load_methodE3ELS4_3ELS4_3ELNS0_20block_scan_algorithmE0ELj4294967295EEENS1_25partition_config_selectorILNS1_17partition_subalgoE4EjNS0_10empty_typeEbEEZZNS1_14partition_implILS8_4ELb0ES6_15HIP_vector_typeIjLj2EENS0_17counting_iteratorIjlEEPS9_SG_NS0_5tupleIJPjSI_NS0_16reverse_iteratorISI_EEEEENSH_IJSG_SG_SG_EEES9_SI_JZNS1_25segmented_radix_sort_implINS0_14default_configELb0EPKhPhPKlPlN2at6native12_GLOBAL__N_18offset_tEEE10hipError_tPvRmT1_PNSt15iterator_traitsIS12_E10value_typeET2_T3_PNS13_IS18_E10value_typeET4_jRbjT5_S1E_jjP12ihipStream_tbEUljE_ZNSN_ISO_Lb0ESQ_SR_ST_SU_SY_EESZ_S10_S11_S12_S16_S17_S18_S1B_S1C_jS1D_jS1E_S1E_jjS1G_bEUljE0_EEESZ_S10_S11_S18_S1C_S1E_T6_T7_T9_mT8_S1G_bDpT10_ENKUlT_T0_E_clISt17integral_constantIbLb0EES1T_IbLb1EEEEDaS1P_S1Q_EUlS1P_E_NS1_11comp_targetILNS1_3genE8ELNS1_11target_archE1030ELNS1_3gpuE2ELNS1_3repE0EEENS1_30default_config_static_selectorELNS0_4arch9wavefront6targetE0EEEvS12_,comdat
.Lfunc_end152:
	.size	_ZN7rocprim17ROCPRIM_400000_NS6detail17trampoline_kernelINS0_13select_configILj256ELj13ELNS0_17block_load_methodE3ELS4_3ELS4_3ELNS0_20block_scan_algorithmE0ELj4294967295EEENS1_25partition_config_selectorILNS1_17partition_subalgoE4EjNS0_10empty_typeEbEEZZNS1_14partition_implILS8_4ELb0ES6_15HIP_vector_typeIjLj2EENS0_17counting_iteratorIjlEEPS9_SG_NS0_5tupleIJPjSI_NS0_16reverse_iteratorISI_EEEEENSH_IJSG_SG_SG_EEES9_SI_JZNS1_25segmented_radix_sort_implINS0_14default_configELb0EPKhPhPKlPlN2at6native12_GLOBAL__N_18offset_tEEE10hipError_tPvRmT1_PNSt15iterator_traitsIS12_E10value_typeET2_T3_PNS13_IS18_E10value_typeET4_jRbjT5_S1E_jjP12ihipStream_tbEUljE_ZNSN_ISO_Lb0ESQ_SR_ST_SU_SY_EESZ_S10_S11_S12_S16_S17_S18_S1B_S1C_jS1D_jS1E_S1E_jjS1G_bEUljE0_EEESZ_S10_S11_S18_S1C_S1E_T6_T7_T9_mT8_S1G_bDpT10_ENKUlT_T0_E_clISt17integral_constantIbLb0EES1T_IbLb1EEEEDaS1P_S1Q_EUlS1P_E_NS1_11comp_targetILNS1_3genE8ELNS1_11target_archE1030ELNS1_3gpuE2ELNS1_3repE0EEENS1_30default_config_static_selectorELNS0_4arch9wavefront6targetE0EEEvS12_, .Lfunc_end152-_ZN7rocprim17ROCPRIM_400000_NS6detail17trampoline_kernelINS0_13select_configILj256ELj13ELNS0_17block_load_methodE3ELS4_3ELS4_3ELNS0_20block_scan_algorithmE0ELj4294967295EEENS1_25partition_config_selectorILNS1_17partition_subalgoE4EjNS0_10empty_typeEbEEZZNS1_14partition_implILS8_4ELb0ES6_15HIP_vector_typeIjLj2EENS0_17counting_iteratorIjlEEPS9_SG_NS0_5tupleIJPjSI_NS0_16reverse_iteratorISI_EEEEENSH_IJSG_SG_SG_EEES9_SI_JZNS1_25segmented_radix_sort_implINS0_14default_configELb0EPKhPhPKlPlN2at6native12_GLOBAL__N_18offset_tEEE10hipError_tPvRmT1_PNSt15iterator_traitsIS12_E10value_typeET2_T3_PNS13_IS18_E10value_typeET4_jRbjT5_S1E_jjP12ihipStream_tbEUljE_ZNSN_ISO_Lb0ESQ_SR_ST_SU_SY_EESZ_S10_S11_S12_S16_S17_S18_S1B_S1C_jS1D_jS1E_S1E_jjS1G_bEUljE0_EEESZ_S10_S11_S18_S1C_S1E_T6_T7_T9_mT8_S1G_bDpT10_ENKUlT_T0_E_clISt17integral_constantIbLb0EES1T_IbLb1EEEEDaS1P_S1Q_EUlS1P_E_NS1_11comp_targetILNS1_3genE8ELNS1_11target_archE1030ELNS1_3gpuE2ELNS1_3repE0EEENS1_30default_config_static_selectorELNS0_4arch9wavefront6targetE0EEEvS12_
                                        ; -- End function
	.set _ZN7rocprim17ROCPRIM_400000_NS6detail17trampoline_kernelINS0_13select_configILj256ELj13ELNS0_17block_load_methodE3ELS4_3ELS4_3ELNS0_20block_scan_algorithmE0ELj4294967295EEENS1_25partition_config_selectorILNS1_17partition_subalgoE4EjNS0_10empty_typeEbEEZZNS1_14partition_implILS8_4ELb0ES6_15HIP_vector_typeIjLj2EENS0_17counting_iteratorIjlEEPS9_SG_NS0_5tupleIJPjSI_NS0_16reverse_iteratorISI_EEEEENSH_IJSG_SG_SG_EEES9_SI_JZNS1_25segmented_radix_sort_implINS0_14default_configELb0EPKhPhPKlPlN2at6native12_GLOBAL__N_18offset_tEEE10hipError_tPvRmT1_PNSt15iterator_traitsIS12_E10value_typeET2_T3_PNS13_IS18_E10value_typeET4_jRbjT5_S1E_jjP12ihipStream_tbEUljE_ZNSN_ISO_Lb0ESQ_SR_ST_SU_SY_EESZ_S10_S11_S12_S16_S17_S18_S1B_S1C_jS1D_jS1E_S1E_jjS1G_bEUljE0_EEESZ_S10_S11_S18_S1C_S1E_T6_T7_T9_mT8_S1G_bDpT10_ENKUlT_T0_E_clISt17integral_constantIbLb0EES1T_IbLb1EEEEDaS1P_S1Q_EUlS1P_E_NS1_11comp_targetILNS1_3genE8ELNS1_11target_archE1030ELNS1_3gpuE2ELNS1_3repE0EEENS1_30default_config_static_selectorELNS0_4arch9wavefront6targetE0EEEvS12_.num_vgpr, 0
	.set _ZN7rocprim17ROCPRIM_400000_NS6detail17trampoline_kernelINS0_13select_configILj256ELj13ELNS0_17block_load_methodE3ELS4_3ELS4_3ELNS0_20block_scan_algorithmE0ELj4294967295EEENS1_25partition_config_selectorILNS1_17partition_subalgoE4EjNS0_10empty_typeEbEEZZNS1_14partition_implILS8_4ELb0ES6_15HIP_vector_typeIjLj2EENS0_17counting_iteratorIjlEEPS9_SG_NS0_5tupleIJPjSI_NS0_16reverse_iteratorISI_EEEEENSH_IJSG_SG_SG_EEES9_SI_JZNS1_25segmented_radix_sort_implINS0_14default_configELb0EPKhPhPKlPlN2at6native12_GLOBAL__N_18offset_tEEE10hipError_tPvRmT1_PNSt15iterator_traitsIS12_E10value_typeET2_T3_PNS13_IS18_E10value_typeET4_jRbjT5_S1E_jjP12ihipStream_tbEUljE_ZNSN_ISO_Lb0ESQ_SR_ST_SU_SY_EESZ_S10_S11_S12_S16_S17_S18_S1B_S1C_jS1D_jS1E_S1E_jjS1G_bEUljE0_EEESZ_S10_S11_S18_S1C_S1E_T6_T7_T9_mT8_S1G_bDpT10_ENKUlT_T0_E_clISt17integral_constantIbLb0EES1T_IbLb1EEEEDaS1P_S1Q_EUlS1P_E_NS1_11comp_targetILNS1_3genE8ELNS1_11target_archE1030ELNS1_3gpuE2ELNS1_3repE0EEENS1_30default_config_static_selectorELNS0_4arch9wavefront6targetE0EEEvS12_.num_agpr, 0
	.set _ZN7rocprim17ROCPRIM_400000_NS6detail17trampoline_kernelINS0_13select_configILj256ELj13ELNS0_17block_load_methodE3ELS4_3ELS4_3ELNS0_20block_scan_algorithmE0ELj4294967295EEENS1_25partition_config_selectorILNS1_17partition_subalgoE4EjNS0_10empty_typeEbEEZZNS1_14partition_implILS8_4ELb0ES6_15HIP_vector_typeIjLj2EENS0_17counting_iteratorIjlEEPS9_SG_NS0_5tupleIJPjSI_NS0_16reverse_iteratorISI_EEEEENSH_IJSG_SG_SG_EEES9_SI_JZNS1_25segmented_radix_sort_implINS0_14default_configELb0EPKhPhPKlPlN2at6native12_GLOBAL__N_18offset_tEEE10hipError_tPvRmT1_PNSt15iterator_traitsIS12_E10value_typeET2_T3_PNS13_IS18_E10value_typeET4_jRbjT5_S1E_jjP12ihipStream_tbEUljE_ZNSN_ISO_Lb0ESQ_SR_ST_SU_SY_EESZ_S10_S11_S12_S16_S17_S18_S1B_S1C_jS1D_jS1E_S1E_jjS1G_bEUljE0_EEESZ_S10_S11_S18_S1C_S1E_T6_T7_T9_mT8_S1G_bDpT10_ENKUlT_T0_E_clISt17integral_constantIbLb0EES1T_IbLb1EEEEDaS1P_S1Q_EUlS1P_E_NS1_11comp_targetILNS1_3genE8ELNS1_11target_archE1030ELNS1_3gpuE2ELNS1_3repE0EEENS1_30default_config_static_selectorELNS0_4arch9wavefront6targetE0EEEvS12_.numbered_sgpr, 0
	.set _ZN7rocprim17ROCPRIM_400000_NS6detail17trampoline_kernelINS0_13select_configILj256ELj13ELNS0_17block_load_methodE3ELS4_3ELS4_3ELNS0_20block_scan_algorithmE0ELj4294967295EEENS1_25partition_config_selectorILNS1_17partition_subalgoE4EjNS0_10empty_typeEbEEZZNS1_14partition_implILS8_4ELb0ES6_15HIP_vector_typeIjLj2EENS0_17counting_iteratorIjlEEPS9_SG_NS0_5tupleIJPjSI_NS0_16reverse_iteratorISI_EEEEENSH_IJSG_SG_SG_EEES9_SI_JZNS1_25segmented_radix_sort_implINS0_14default_configELb0EPKhPhPKlPlN2at6native12_GLOBAL__N_18offset_tEEE10hipError_tPvRmT1_PNSt15iterator_traitsIS12_E10value_typeET2_T3_PNS13_IS18_E10value_typeET4_jRbjT5_S1E_jjP12ihipStream_tbEUljE_ZNSN_ISO_Lb0ESQ_SR_ST_SU_SY_EESZ_S10_S11_S12_S16_S17_S18_S1B_S1C_jS1D_jS1E_S1E_jjS1G_bEUljE0_EEESZ_S10_S11_S18_S1C_S1E_T6_T7_T9_mT8_S1G_bDpT10_ENKUlT_T0_E_clISt17integral_constantIbLb0EES1T_IbLb1EEEEDaS1P_S1Q_EUlS1P_E_NS1_11comp_targetILNS1_3genE8ELNS1_11target_archE1030ELNS1_3gpuE2ELNS1_3repE0EEENS1_30default_config_static_selectorELNS0_4arch9wavefront6targetE0EEEvS12_.num_named_barrier, 0
	.set _ZN7rocprim17ROCPRIM_400000_NS6detail17trampoline_kernelINS0_13select_configILj256ELj13ELNS0_17block_load_methodE3ELS4_3ELS4_3ELNS0_20block_scan_algorithmE0ELj4294967295EEENS1_25partition_config_selectorILNS1_17partition_subalgoE4EjNS0_10empty_typeEbEEZZNS1_14partition_implILS8_4ELb0ES6_15HIP_vector_typeIjLj2EENS0_17counting_iteratorIjlEEPS9_SG_NS0_5tupleIJPjSI_NS0_16reverse_iteratorISI_EEEEENSH_IJSG_SG_SG_EEES9_SI_JZNS1_25segmented_radix_sort_implINS0_14default_configELb0EPKhPhPKlPlN2at6native12_GLOBAL__N_18offset_tEEE10hipError_tPvRmT1_PNSt15iterator_traitsIS12_E10value_typeET2_T3_PNS13_IS18_E10value_typeET4_jRbjT5_S1E_jjP12ihipStream_tbEUljE_ZNSN_ISO_Lb0ESQ_SR_ST_SU_SY_EESZ_S10_S11_S12_S16_S17_S18_S1B_S1C_jS1D_jS1E_S1E_jjS1G_bEUljE0_EEESZ_S10_S11_S18_S1C_S1E_T6_T7_T9_mT8_S1G_bDpT10_ENKUlT_T0_E_clISt17integral_constantIbLb0EES1T_IbLb1EEEEDaS1P_S1Q_EUlS1P_E_NS1_11comp_targetILNS1_3genE8ELNS1_11target_archE1030ELNS1_3gpuE2ELNS1_3repE0EEENS1_30default_config_static_selectorELNS0_4arch9wavefront6targetE0EEEvS12_.private_seg_size, 0
	.set _ZN7rocprim17ROCPRIM_400000_NS6detail17trampoline_kernelINS0_13select_configILj256ELj13ELNS0_17block_load_methodE3ELS4_3ELS4_3ELNS0_20block_scan_algorithmE0ELj4294967295EEENS1_25partition_config_selectorILNS1_17partition_subalgoE4EjNS0_10empty_typeEbEEZZNS1_14partition_implILS8_4ELb0ES6_15HIP_vector_typeIjLj2EENS0_17counting_iteratorIjlEEPS9_SG_NS0_5tupleIJPjSI_NS0_16reverse_iteratorISI_EEEEENSH_IJSG_SG_SG_EEES9_SI_JZNS1_25segmented_radix_sort_implINS0_14default_configELb0EPKhPhPKlPlN2at6native12_GLOBAL__N_18offset_tEEE10hipError_tPvRmT1_PNSt15iterator_traitsIS12_E10value_typeET2_T3_PNS13_IS18_E10value_typeET4_jRbjT5_S1E_jjP12ihipStream_tbEUljE_ZNSN_ISO_Lb0ESQ_SR_ST_SU_SY_EESZ_S10_S11_S12_S16_S17_S18_S1B_S1C_jS1D_jS1E_S1E_jjS1G_bEUljE0_EEESZ_S10_S11_S18_S1C_S1E_T6_T7_T9_mT8_S1G_bDpT10_ENKUlT_T0_E_clISt17integral_constantIbLb0EES1T_IbLb1EEEEDaS1P_S1Q_EUlS1P_E_NS1_11comp_targetILNS1_3genE8ELNS1_11target_archE1030ELNS1_3gpuE2ELNS1_3repE0EEENS1_30default_config_static_selectorELNS0_4arch9wavefront6targetE0EEEvS12_.uses_vcc, 0
	.set _ZN7rocprim17ROCPRIM_400000_NS6detail17trampoline_kernelINS0_13select_configILj256ELj13ELNS0_17block_load_methodE3ELS4_3ELS4_3ELNS0_20block_scan_algorithmE0ELj4294967295EEENS1_25partition_config_selectorILNS1_17partition_subalgoE4EjNS0_10empty_typeEbEEZZNS1_14partition_implILS8_4ELb0ES6_15HIP_vector_typeIjLj2EENS0_17counting_iteratorIjlEEPS9_SG_NS0_5tupleIJPjSI_NS0_16reverse_iteratorISI_EEEEENSH_IJSG_SG_SG_EEES9_SI_JZNS1_25segmented_radix_sort_implINS0_14default_configELb0EPKhPhPKlPlN2at6native12_GLOBAL__N_18offset_tEEE10hipError_tPvRmT1_PNSt15iterator_traitsIS12_E10value_typeET2_T3_PNS13_IS18_E10value_typeET4_jRbjT5_S1E_jjP12ihipStream_tbEUljE_ZNSN_ISO_Lb0ESQ_SR_ST_SU_SY_EESZ_S10_S11_S12_S16_S17_S18_S1B_S1C_jS1D_jS1E_S1E_jjS1G_bEUljE0_EEESZ_S10_S11_S18_S1C_S1E_T6_T7_T9_mT8_S1G_bDpT10_ENKUlT_T0_E_clISt17integral_constantIbLb0EES1T_IbLb1EEEEDaS1P_S1Q_EUlS1P_E_NS1_11comp_targetILNS1_3genE8ELNS1_11target_archE1030ELNS1_3gpuE2ELNS1_3repE0EEENS1_30default_config_static_selectorELNS0_4arch9wavefront6targetE0EEEvS12_.uses_flat_scratch, 0
	.set _ZN7rocprim17ROCPRIM_400000_NS6detail17trampoline_kernelINS0_13select_configILj256ELj13ELNS0_17block_load_methodE3ELS4_3ELS4_3ELNS0_20block_scan_algorithmE0ELj4294967295EEENS1_25partition_config_selectorILNS1_17partition_subalgoE4EjNS0_10empty_typeEbEEZZNS1_14partition_implILS8_4ELb0ES6_15HIP_vector_typeIjLj2EENS0_17counting_iteratorIjlEEPS9_SG_NS0_5tupleIJPjSI_NS0_16reverse_iteratorISI_EEEEENSH_IJSG_SG_SG_EEES9_SI_JZNS1_25segmented_radix_sort_implINS0_14default_configELb0EPKhPhPKlPlN2at6native12_GLOBAL__N_18offset_tEEE10hipError_tPvRmT1_PNSt15iterator_traitsIS12_E10value_typeET2_T3_PNS13_IS18_E10value_typeET4_jRbjT5_S1E_jjP12ihipStream_tbEUljE_ZNSN_ISO_Lb0ESQ_SR_ST_SU_SY_EESZ_S10_S11_S12_S16_S17_S18_S1B_S1C_jS1D_jS1E_S1E_jjS1G_bEUljE0_EEESZ_S10_S11_S18_S1C_S1E_T6_T7_T9_mT8_S1G_bDpT10_ENKUlT_T0_E_clISt17integral_constantIbLb0EES1T_IbLb1EEEEDaS1P_S1Q_EUlS1P_E_NS1_11comp_targetILNS1_3genE8ELNS1_11target_archE1030ELNS1_3gpuE2ELNS1_3repE0EEENS1_30default_config_static_selectorELNS0_4arch9wavefront6targetE0EEEvS12_.has_dyn_sized_stack, 0
	.set _ZN7rocprim17ROCPRIM_400000_NS6detail17trampoline_kernelINS0_13select_configILj256ELj13ELNS0_17block_load_methodE3ELS4_3ELS4_3ELNS0_20block_scan_algorithmE0ELj4294967295EEENS1_25partition_config_selectorILNS1_17partition_subalgoE4EjNS0_10empty_typeEbEEZZNS1_14partition_implILS8_4ELb0ES6_15HIP_vector_typeIjLj2EENS0_17counting_iteratorIjlEEPS9_SG_NS0_5tupleIJPjSI_NS0_16reverse_iteratorISI_EEEEENSH_IJSG_SG_SG_EEES9_SI_JZNS1_25segmented_radix_sort_implINS0_14default_configELb0EPKhPhPKlPlN2at6native12_GLOBAL__N_18offset_tEEE10hipError_tPvRmT1_PNSt15iterator_traitsIS12_E10value_typeET2_T3_PNS13_IS18_E10value_typeET4_jRbjT5_S1E_jjP12ihipStream_tbEUljE_ZNSN_ISO_Lb0ESQ_SR_ST_SU_SY_EESZ_S10_S11_S12_S16_S17_S18_S1B_S1C_jS1D_jS1E_S1E_jjS1G_bEUljE0_EEESZ_S10_S11_S18_S1C_S1E_T6_T7_T9_mT8_S1G_bDpT10_ENKUlT_T0_E_clISt17integral_constantIbLb0EES1T_IbLb1EEEEDaS1P_S1Q_EUlS1P_E_NS1_11comp_targetILNS1_3genE8ELNS1_11target_archE1030ELNS1_3gpuE2ELNS1_3repE0EEENS1_30default_config_static_selectorELNS0_4arch9wavefront6targetE0EEEvS12_.has_recursion, 0
	.set _ZN7rocprim17ROCPRIM_400000_NS6detail17trampoline_kernelINS0_13select_configILj256ELj13ELNS0_17block_load_methodE3ELS4_3ELS4_3ELNS0_20block_scan_algorithmE0ELj4294967295EEENS1_25partition_config_selectorILNS1_17partition_subalgoE4EjNS0_10empty_typeEbEEZZNS1_14partition_implILS8_4ELb0ES6_15HIP_vector_typeIjLj2EENS0_17counting_iteratorIjlEEPS9_SG_NS0_5tupleIJPjSI_NS0_16reverse_iteratorISI_EEEEENSH_IJSG_SG_SG_EEES9_SI_JZNS1_25segmented_radix_sort_implINS0_14default_configELb0EPKhPhPKlPlN2at6native12_GLOBAL__N_18offset_tEEE10hipError_tPvRmT1_PNSt15iterator_traitsIS12_E10value_typeET2_T3_PNS13_IS18_E10value_typeET4_jRbjT5_S1E_jjP12ihipStream_tbEUljE_ZNSN_ISO_Lb0ESQ_SR_ST_SU_SY_EESZ_S10_S11_S12_S16_S17_S18_S1B_S1C_jS1D_jS1E_S1E_jjS1G_bEUljE0_EEESZ_S10_S11_S18_S1C_S1E_T6_T7_T9_mT8_S1G_bDpT10_ENKUlT_T0_E_clISt17integral_constantIbLb0EES1T_IbLb1EEEEDaS1P_S1Q_EUlS1P_E_NS1_11comp_targetILNS1_3genE8ELNS1_11target_archE1030ELNS1_3gpuE2ELNS1_3repE0EEENS1_30default_config_static_selectorELNS0_4arch9wavefront6targetE0EEEvS12_.has_indirect_call, 0
	.section	.AMDGPU.csdata,"",@progbits
; Kernel info:
; codeLenInByte = 0
; TotalNumSgprs: 0
; NumVgprs: 0
; ScratchSize: 0
; MemoryBound: 0
; FloatMode: 240
; IeeeMode: 1
; LDSByteSize: 0 bytes/workgroup (compile time only)
; SGPRBlocks: 0
; VGPRBlocks: 0
; NumSGPRsForWavesPerEU: 1
; NumVGPRsForWavesPerEU: 1
; NamedBarCnt: 0
; Occupancy: 16
; WaveLimiterHint : 0
; COMPUTE_PGM_RSRC2:SCRATCH_EN: 0
; COMPUTE_PGM_RSRC2:USER_SGPR: 2
; COMPUTE_PGM_RSRC2:TRAP_HANDLER: 0
; COMPUTE_PGM_RSRC2:TGID_X_EN: 1
; COMPUTE_PGM_RSRC2:TGID_Y_EN: 0
; COMPUTE_PGM_RSRC2:TGID_Z_EN: 0
; COMPUTE_PGM_RSRC2:TIDIG_COMP_CNT: 0
	.section	.text._ZN7rocprim17ROCPRIM_400000_NS6detail17trampoline_kernelINS0_13select_configILj256ELj13ELNS0_17block_load_methodE3ELS4_3ELS4_3ELNS0_20block_scan_algorithmE0ELj4294967295EEENS1_25partition_config_selectorILNS1_17partition_subalgoE3EjNS0_10empty_typeEbEEZZNS1_14partition_implILS8_3ELb0ES6_jNS0_17counting_iteratorIjlEEPS9_SE_NS0_5tupleIJPjSE_EEENSF_IJSE_SE_EEES9_SG_JZNS1_25segmented_radix_sort_implINS0_14default_configELb0EPKhPhPKlPlN2at6native12_GLOBAL__N_18offset_tEEE10hipError_tPvRmT1_PNSt15iterator_traitsISY_E10value_typeET2_T3_PNSZ_IS14_E10value_typeET4_jRbjT5_S1A_jjP12ihipStream_tbEUljE_EEESV_SW_SX_S14_S18_S1A_T6_T7_T9_mT8_S1C_bDpT10_ENKUlT_T0_E_clISt17integral_constantIbLb0EES1P_EEDaS1K_S1L_EUlS1K_E_NS1_11comp_targetILNS1_3genE0ELNS1_11target_archE4294967295ELNS1_3gpuE0ELNS1_3repE0EEENS1_30default_config_static_selectorELNS0_4arch9wavefront6targetE0EEEvSY_,"axG",@progbits,_ZN7rocprim17ROCPRIM_400000_NS6detail17trampoline_kernelINS0_13select_configILj256ELj13ELNS0_17block_load_methodE3ELS4_3ELS4_3ELNS0_20block_scan_algorithmE0ELj4294967295EEENS1_25partition_config_selectorILNS1_17partition_subalgoE3EjNS0_10empty_typeEbEEZZNS1_14partition_implILS8_3ELb0ES6_jNS0_17counting_iteratorIjlEEPS9_SE_NS0_5tupleIJPjSE_EEENSF_IJSE_SE_EEES9_SG_JZNS1_25segmented_radix_sort_implINS0_14default_configELb0EPKhPhPKlPlN2at6native12_GLOBAL__N_18offset_tEEE10hipError_tPvRmT1_PNSt15iterator_traitsISY_E10value_typeET2_T3_PNSZ_IS14_E10value_typeET4_jRbjT5_S1A_jjP12ihipStream_tbEUljE_EEESV_SW_SX_S14_S18_S1A_T6_T7_T9_mT8_S1C_bDpT10_ENKUlT_T0_E_clISt17integral_constantIbLb0EES1P_EEDaS1K_S1L_EUlS1K_E_NS1_11comp_targetILNS1_3genE0ELNS1_11target_archE4294967295ELNS1_3gpuE0ELNS1_3repE0EEENS1_30default_config_static_selectorELNS0_4arch9wavefront6targetE0EEEvSY_,comdat
	.globl	_ZN7rocprim17ROCPRIM_400000_NS6detail17trampoline_kernelINS0_13select_configILj256ELj13ELNS0_17block_load_methodE3ELS4_3ELS4_3ELNS0_20block_scan_algorithmE0ELj4294967295EEENS1_25partition_config_selectorILNS1_17partition_subalgoE3EjNS0_10empty_typeEbEEZZNS1_14partition_implILS8_3ELb0ES6_jNS0_17counting_iteratorIjlEEPS9_SE_NS0_5tupleIJPjSE_EEENSF_IJSE_SE_EEES9_SG_JZNS1_25segmented_radix_sort_implINS0_14default_configELb0EPKhPhPKlPlN2at6native12_GLOBAL__N_18offset_tEEE10hipError_tPvRmT1_PNSt15iterator_traitsISY_E10value_typeET2_T3_PNSZ_IS14_E10value_typeET4_jRbjT5_S1A_jjP12ihipStream_tbEUljE_EEESV_SW_SX_S14_S18_S1A_T6_T7_T9_mT8_S1C_bDpT10_ENKUlT_T0_E_clISt17integral_constantIbLb0EES1P_EEDaS1K_S1L_EUlS1K_E_NS1_11comp_targetILNS1_3genE0ELNS1_11target_archE4294967295ELNS1_3gpuE0ELNS1_3repE0EEENS1_30default_config_static_selectorELNS0_4arch9wavefront6targetE0EEEvSY_ ; -- Begin function _ZN7rocprim17ROCPRIM_400000_NS6detail17trampoline_kernelINS0_13select_configILj256ELj13ELNS0_17block_load_methodE3ELS4_3ELS4_3ELNS0_20block_scan_algorithmE0ELj4294967295EEENS1_25partition_config_selectorILNS1_17partition_subalgoE3EjNS0_10empty_typeEbEEZZNS1_14partition_implILS8_3ELb0ES6_jNS0_17counting_iteratorIjlEEPS9_SE_NS0_5tupleIJPjSE_EEENSF_IJSE_SE_EEES9_SG_JZNS1_25segmented_radix_sort_implINS0_14default_configELb0EPKhPhPKlPlN2at6native12_GLOBAL__N_18offset_tEEE10hipError_tPvRmT1_PNSt15iterator_traitsISY_E10value_typeET2_T3_PNSZ_IS14_E10value_typeET4_jRbjT5_S1A_jjP12ihipStream_tbEUljE_EEESV_SW_SX_S14_S18_S1A_T6_T7_T9_mT8_S1C_bDpT10_ENKUlT_T0_E_clISt17integral_constantIbLb0EES1P_EEDaS1K_S1L_EUlS1K_E_NS1_11comp_targetILNS1_3genE0ELNS1_11target_archE4294967295ELNS1_3gpuE0ELNS1_3repE0EEENS1_30default_config_static_selectorELNS0_4arch9wavefront6targetE0EEEvSY_
	.p2align	8
	.type	_ZN7rocprim17ROCPRIM_400000_NS6detail17trampoline_kernelINS0_13select_configILj256ELj13ELNS0_17block_load_methodE3ELS4_3ELS4_3ELNS0_20block_scan_algorithmE0ELj4294967295EEENS1_25partition_config_selectorILNS1_17partition_subalgoE3EjNS0_10empty_typeEbEEZZNS1_14partition_implILS8_3ELb0ES6_jNS0_17counting_iteratorIjlEEPS9_SE_NS0_5tupleIJPjSE_EEENSF_IJSE_SE_EEES9_SG_JZNS1_25segmented_radix_sort_implINS0_14default_configELb0EPKhPhPKlPlN2at6native12_GLOBAL__N_18offset_tEEE10hipError_tPvRmT1_PNSt15iterator_traitsISY_E10value_typeET2_T3_PNSZ_IS14_E10value_typeET4_jRbjT5_S1A_jjP12ihipStream_tbEUljE_EEESV_SW_SX_S14_S18_S1A_T6_T7_T9_mT8_S1C_bDpT10_ENKUlT_T0_E_clISt17integral_constantIbLb0EES1P_EEDaS1K_S1L_EUlS1K_E_NS1_11comp_targetILNS1_3genE0ELNS1_11target_archE4294967295ELNS1_3gpuE0ELNS1_3repE0EEENS1_30default_config_static_selectorELNS0_4arch9wavefront6targetE0EEEvSY_,@function
_ZN7rocprim17ROCPRIM_400000_NS6detail17trampoline_kernelINS0_13select_configILj256ELj13ELNS0_17block_load_methodE3ELS4_3ELS4_3ELNS0_20block_scan_algorithmE0ELj4294967295EEENS1_25partition_config_selectorILNS1_17partition_subalgoE3EjNS0_10empty_typeEbEEZZNS1_14partition_implILS8_3ELb0ES6_jNS0_17counting_iteratorIjlEEPS9_SE_NS0_5tupleIJPjSE_EEENSF_IJSE_SE_EEES9_SG_JZNS1_25segmented_radix_sort_implINS0_14default_configELb0EPKhPhPKlPlN2at6native12_GLOBAL__N_18offset_tEEE10hipError_tPvRmT1_PNSt15iterator_traitsISY_E10value_typeET2_T3_PNSZ_IS14_E10value_typeET4_jRbjT5_S1A_jjP12ihipStream_tbEUljE_EEESV_SW_SX_S14_S18_S1A_T6_T7_T9_mT8_S1C_bDpT10_ENKUlT_T0_E_clISt17integral_constantIbLb0EES1P_EEDaS1K_S1L_EUlS1K_E_NS1_11comp_targetILNS1_3genE0ELNS1_11target_archE4294967295ELNS1_3gpuE0ELNS1_3repE0EEENS1_30default_config_static_selectorELNS0_4arch9wavefront6targetE0EEEvSY_: ; @_ZN7rocprim17ROCPRIM_400000_NS6detail17trampoline_kernelINS0_13select_configILj256ELj13ELNS0_17block_load_methodE3ELS4_3ELS4_3ELNS0_20block_scan_algorithmE0ELj4294967295EEENS1_25partition_config_selectorILNS1_17partition_subalgoE3EjNS0_10empty_typeEbEEZZNS1_14partition_implILS8_3ELb0ES6_jNS0_17counting_iteratorIjlEEPS9_SE_NS0_5tupleIJPjSE_EEENSF_IJSE_SE_EEES9_SG_JZNS1_25segmented_radix_sort_implINS0_14default_configELb0EPKhPhPKlPlN2at6native12_GLOBAL__N_18offset_tEEE10hipError_tPvRmT1_PNSt15iterator_traitsISY_E10value_typeET2_T3_PNSZ_IS14_E10value_typeET4_jRbjT5_S1A_jjP12ihipStream_tbEUljE_EEESV_SW_SX_S14_S18_S1A_T6_T7_T9_mT8_S1C_bDpT10_ENKUlT_T0_E_clISt17integral_constantIbLb0EES1P_EEDaS1K_S1L_EUlS1K_E_NS1_11comp_targetILNS1_3genE0ELNS1_11target_archE4294967295ELNS1_3gpuE0ELNS1_3repE0EEENS1_30default_config_static_selectorELNS0_4arch9wavefront6targetE0EEEvSY_
; %bb.0:
	s_clause 0x4
	s_load_b128 s[8:11], s[0:1], 0x48
	s_load_b32 s2, s[0:1], 0x70
	s_load_b64 s[12:13], s[0:1], 0x10
	s_load_b64 s[14:15], s[0:1], 0x58
	s_load_b32 s20, s[0:1], 0x8
	s_bfe_u32 s3, ttmp6, 0x4000c
	s_and_b32 s4, ttmp6, 15
	s_add_co_i32 s3, s3, 1
	s_getreg_b32 s5, hwreg(HW_REG_IB_STS2, 6, 4)
	s_mul_i32 s3, ttmp9, s3
	s_mov_b32 s17, 0
	s_add_co_i32 s16, s4, s3
	s_cmp_eq_u32 s5, 0
	s_clause 0x1
	s_load_b32 s3, s[0:1], 0x88
	s_load_b128 s[4:7], s[0:1], 0x78
	s_cselect_b32 s24, ttmp9, s16
	v_lshlrev_b32_e32 v19, 2, v0
	s_wait_kmcnt 0x0
	s_load_b64 s[18:19], s[10:11], 0x0
	s_mul_i32 s16, s2, 0xd00
	s_add_co_i32 s2, s2, -1
	s_add_co_i32 s21, s16, s12
	s_wait_xcnt 0x0
	s_add_nc_u64 s[10:11], s[12:13], s[16:17]
	s_sub_co_i32 s23, s14, s21
	v_cmp_gt_u64_e64 s11, s[14:15], s[10:11]
	s_addk_co_i32 s23, 0xd00
	s_cmp_eq_u32 s24, s2
	s_mul_i32 s10, s24, 0xd00
	s_cselect_b32 s22, -1, 0
	s_cmp_lg_u32 s24, s2
	s_mov_b32 s17, -1
	s_cselect_b32 s2, -1, 0
	s_add_co_i32 s16, s20, s10
	s_or_b32 s11, s2, s11
	s_add_co_i32 s16, s16, s12
	s_and_b32 vcc_lo, exec_lo, s11
	v_add_nc_u32_e32 v1, s16, v0
	s_cbranch_vccz .LBB153_2
; %bb.1:
	s_delay_alu instid0(VALU_DEP_1)
	v_add_nc_u32_e32 v2, 0x100, v1
	v_add_nc_u32_e32 v3, 0x200, v1
	;; [unrolled: 1-line block ×12, first 2 shown]
	ds_store_2addr_stride64_b32 v19, v1, v2 offset1:4
	ds_store_2addr_stride64_b32 v19, v3, v4 offset0:8 offset1:12
	ds_store_2addr_stride64_b32 v19, v5, v6 offset0:16 offset1:20
	;; [unrolled: 1-line block ×5, first 2 shown]
	ds_store_b32 v19, v13 offset:12288
	s_wait_dscnt 0x0
	s_barrier_signal -1
	s_mov_b32 s17, 0
	s_barrier_wait -1
.LBB153_2:
	v_cmp_gt_u32_e64 s2, s23, v0
	v_or_b32_e32 v40, 0x100, v0
	v_or_b32_e32 v38, 0x200, v0
	;; [unrolled: 1-line block ×12, first 2 shown]
	s_and_not1_b32 vcc_lo, exec_lo, s17
	s_cbranch_vccnz .LBB153_4
; %bb.3:
	v_dual_add_nc_u32 v2, s16, v40 :: v_dual_cndmask_b32 v1, 0, v1, s2
	v_cmp_gt_u32_e32 vcc_lo, s23, v40
	v_dual_add_nc_u32 v3, s16, v38 :: v_dual_add_nc_u32 v4, s16, v36
	v_dual_add_nc_u32 v7, s16, v30 :: v_dual_add_nc_u32 v8, s16, v28
	s_delay_alu instid0(VALU_DEP_4)
	v_cndmask_b32_e32 v2, 0, v2, vcc_lo
	v_cmp_gt_u32_e32 vcc_lo, s23, v38
	v_dual_add_nc_u32 v11, s16, v22 :: v_dual_add_nc_u32 v12, s16, v20
	v_cndmask_b32_e32 v3, 0, v3, vcc_lo
	v_cmp_gt_u32_e32 vcc_lo, s23, v36
	v_dual_cndmask_b32 v4, 0, v4 :: v_dual_add_nc_u32 v5, s16, v34
	v_cmp_gt_u32_e32 vcc_lo, s23, v34
	s_delay_alu instid0(VALU_DEP_2) | instskip(SKIP_1) | instid1(VALU_DEP_2)
	v_dual_cndmask_b32 v5, 0, v5 :: v_dual_add_nc_u32 v6, s16, v32
	v_cmp_gt_u32_e32 vcc_lo, s23, v32
	v_cndmask_b32_e32 v6, 0, v6, vcc_lo
	v_cmp_gt_u32_e32 vcc_lo, s23, v30
	v_cndmask_b32_e32 v7, 0, v7, vcc_lo
	v_cmp_gt_u32_e32 vcc_lo, s23, v28
	v_dual_cndmask_b32 v8, 0, v8 :: v_dual_add_nc_u32 v9, s16, v26
	v_cmp_gt_u32_e32 vcc_lo, s23, v26
	s_delay_alu instid0(VALU_DEP_2) | instskip(SKIP_1) | instid1(VALU_DEP_2)
	v_dual_cndmask_b32 v9, 0, v9 :: v_dual_add_nc_u32 v10, s16, v24
	v_cmp_gt_u32_e32 vcc_lo, s23, v24
	v_cndmask_b32_e32 v10, 0, v10, vcc_lo
	v_cmp_gt_u32_e32 vcc_lo, s23, v22
	v_cndmask_b32_e32 v11, 0, v11, vcc_lo
	v_cmp_gt_u32_e32 vcc_lo, s23, v20
	v_dual_cndmask_b32 v12, 0, v12 :: v_dual_add_nc_u32 v13, s16, v18
	v_cmp_gt_u32_e32 vcc_lo, s23, v18
	s_delay_alu instid0(VALU_DEP_2)
	v_cndmask_b32_e32 v13, 0, v13, vcc_lo
	ds_store_2addr_stride64_b32 v19, v1, v2 offset1:4
	ds_store_2addr_stride64_b32 v19, v3, v4 offset0:8 offset1:12
	ds_store_2addr_stride64_b32 v19, v5, v6 offset0:16 offset1:20
	ds_store_2addr_stride64_b32 v19, v7, v8 offset0:24 offset1:28
	ds_store_2addr_stride64_b32 v19, v9, v10 offset0:32 offset1:36
	ds_store_2addr_stride64_b32 v19, v11, v12 offset0:40 offset1:44
	ds_store_b32 v19, v13 offset:12288
	s_wait_dscnt 0x0
	s_barrier_signal -1
	s_barrier_wait -1
.LBB153_4:
	v_mul_u32_u24_e32 v23, 13, v0
	v_cndmask_b32_e64 v21, 0, 1, s11
	s_and_not1_b32 vcc_lo, exec_lo, s11
	s_delay_alu instid0(VALU_DEP_2)
	v_lshlrev_b32_e32 v2, 2, v23
	ds_load_2addr_b32 v[50:51], v2 offset0:2 offset1:3
	ds_load_2addr_b32 v[46:47], v2 offset0:6 offset1:7
	;; [unrolled: 1-line block ×3, first 2 shown]
	ds_load_2addr_b32 v[52:53], v2 offset1:1
	ds_load_2addr_b32 v[42:43], v2 offset0:10 offset1:11
	ds_load_b32 v1, v2 offset:48
	ds_load_2addr_b32 v[44:45], v2 offset0:8 offset1:9
	s_wait_dscnt 0x0
	s_barrier_signal -1
	s_barrier_wait -1
	s_cbranch_vccnz .LBB153_6
; %bb.5:
	v_dual_add_nc_u32 v2, s5, v51 :: v_dual_add_nc_u32 v3, s5, v53
	v_dual_add_nc_u32 v4, s5, v52 :: v_dual_add_nc_u32 v5, s5, v50
	;; [unrolled: 1-line block ×4, first 2 shown]
	s_delay_alu instid0(VALU_DEP_3) | instskip(NEXT) | instid1(VALU_DEP_4)
	v_mul_lo_u32 v5, v5, s4
	v_mul_lo_u32 v4, v4, s4
	;; [unrolled: 1-line block ×8, first 2 shown]
	v_dual_add_nc_u32 v10, s5, v48 :: v_dual_add_nc_u32 v11, s7, v48
	v_dual_add_nc_u32 v14, s7, v43 :: v_dual_add_nc_u32 v15, s5, v42
	;; [unrolled: 1-line block ×3, first 2 shown]
	s_delay_alu instid0(VALU_DEP_3)
	v_mul_lo_u32 v10, v10, s4
	v_dual_sub_nc_u32 v2, v2, v6 :: v_dual_sub_nc_u32 v3, v3, v7
	v_dual_sub_nc_u32 v4, v4, v8 :: v_dual_sub_nc_u32 v5, v5, v9
	v_dual_add_nc_u32 v6, s5, v49 :: v_dual_add_nc_u32 v7, s7, v49
	v_dual_add_nc_u32 v8, s5, v47 :: v_dual_add_nc_u32 v9, s7, v47
	v_mul_lo_u32 v11, v11, s6
	s_delay_alu instid0(VALU_DEP_3) | instskip(NEXT) | instid1(VALU_DEP_4)
	v_mul_lo_u32 v6, v6, s4
	v_mul_lo_u32 v7, v7, s6
	s_delay_alu instid0(VALU_DEP_4)
	v_mul_lo_u32 v8, v8, s4
	v_mul_lo_u32 v9, v9, s6
	v_cmp_lt_u32_e32 vcc_lo, s3, v2
	v_dual_add_nc_u32 v12, s5, v46 :: v_dual_add_nc_u32 v13, s5, v44
	v_mul_lo_u32 v14, v14, s6
	v_mul_lo_u32 v16, v16, s6
	v_cndmask_b32_e64 v2, 0, 1, vcc_lo
	v_cmp_lt_u32_e32 vcc_lo, s3, v3
	v_mul_lo_u32 v13, v13, s4
	v_dual_sub_nc_u32 v6, v6, v7 :: v_dual_add_nc_u32 v7, s7, v46
	v_dual_sub_nc_u32 v8, v8, v9 :: v_dual_sub_nc_u32 v9, v10, v11
	v_dual_add_nc_u32 v11, s5, v45 :: v_dual_add_nc_u32 v10, s5, v43
	v_cndmask_b32_e64 v3, 0, 1, vcc_lo
	s_delay_alu instid0(VALU_DEP_4)
	v_cmp_lt_u32_e32 vcc_lo, s3, v6
	v_mul_lo_u32 v12, v12, s4
	v_mul_lo_u32 v7, v7, s6
	;; [unrolled: 1-line block ×4, first 2 shown]
	v_cndmask_b32_e64 v6, 0, 1, vcc_lo
	v_cmp_lt_u32_e32 vcc_lo, s3, v8
	v_lshlrev_b16 v3, 8, v3
	v_add_nc_u32_e32 v25, s7, v42
	v_mul_lo_u32 v17, v17, s6
	v_lshlrev_b16 v6, 8, v6
	v_cndmask_b32_e64 v8, 0, 1, vcc_lo
	v_cmp_lt_u32_e32 vcc_lo, s3, v4
	v_dual_sub_nc_u32 v7, v12, v7 :: v_dual_sub_nc_u32 v10, v10, v14
	v_mul_lo_u32 v12, v15, s4
	v_mul_lo_u32 v15, v25, s6
	v_dual_add_nc_u32 v25, s7, v1 :: v_dual_lshrrev_b32 v3, 8, v3
	v_sub_nc_u32_e32 v11, v11, v16
	v_cndmask_b32_e64 v4, 0, 1, vcc_lo
	v_cmp_lt_u32_e32 vcc_lo, s3, v10
	v_dual_lshrrev_b32 v6, 8, v6 :: v_dual_add_nc_u32 v14, s5, v1
	v_mul_lo_u32 v16, v25, s6
	v_lshlrev_b16 v2, 8, v2
	v_cndmask_b32_e64 v10, 0, 1, vcc_lo
	v_cmp_lt_u32_e32 vcc_lo, s3, v11
	v_mul_lo_u32 v14, v14, s4
	v_dual_sub_nc_u32 v13, v13, v17 :: v_dual_sub_nc_u32 v12, v12, v15
	v_lshlrev_b16 v3, 8, v3
	v_cndmask_b32_e64 v11, 0, 1, vcc_lo
	v_cmp_lt_u32_e32 vcc_lo, s3, v5
	v_lshrrev_b32_e32 v2, 8, v2
	v_lshlrev_b16 v8, 8, v8
	v_or_b32_e32 v3, v4, v3
	v_lshlrev_b16 v4, 8, v10
	v_cndmask_b32_e64 v5, 0, 1, vcc_lo
	v_cmp_lt_u32_e32 vcc_lo, s3, v9
	v_lshlrev_b16 v10, 8, v11
	v_sub_nc_u32_e32 v11, v14, v16
	v_lshlrev_b16 v2, 8, v2
	v_lshrrev_b32_e32 v4, 8, v4
	v_cndmask_b32_e64 v9, 0, 1, vcc_lo
	v_cmp_lt_u32_e32 vcc_lo, s3, v7
	v_lshrrev_b32_e32 v10, 8, v10
	v_lshlrev_b16 v6, 8, v6
	v_or_b32_e32 v2, v5, v2
	v_lshlrev_b16 v4, 8, v4
	v_cndmask_b32_e64 v7, 0, 1, vcc_lo
	v_cmp_lt_u32_e32 vcc_lo, s3, v13
	v_lshlrev_b16 v10, 8, v10
	v_or_b32_e32 v5, v9, v6
	v_and_b32_e32 v3, 0xffff, v3
	v_dual_lshlrev_b32 v2, 16, v2 :: v_dual_bitop2_b32 v6, v7, v8 bitop3:0x54
	v_cndmask_b32_e64 v13, 0, 1, vcc_lo
	v_cmp_lt_u32_e32 vcc_lo, s3, v12
	s_delay_alu instid0(VALU_DEP_3) | instskip(SKIP_4) | instid1(VALU_DEP_4)
	v_lshlrev_b32_e32 v6, 16, v6
	v_and_b32_e32 v5, 0xffff, v5
	v_or_b32_e32 v35, v3, v2
	v_cndmask_b32_e64 v12, 0, 1, vcc_lo
	v_cmp_lt_u32_e32 vcc_lo, s3, v11
	v_or_b32_e32 v31, v5, v6
	s_delay_alu instid0(VALU_DEP_3) | instskip(SKIP_2) | instid1(VALU_DEP_3)
	v_or_b32_e32 v4, v12, v4
	v_or_b32_e32 v7, v13, v10
	v_cndmask_b32_e64 v25, 0, 1, vcc_lo
	v_lshlrev_b32_e32 v4, 16, v4
	s_delay_alu instid0(VALU_DEP_3) | instskip(NEXT) | instid1(VALU_DEP_1)
	v_and_b32_e32 v7, 0xffff, v7
	v_or_b32_e32 v27, v7, v4
	s_load_b64 s[20:21], s[0:1], 0x68
	s_cbranch_execz .LBB153_7
	s_branch .LBB153_34
.LBB153_6:
                                        ; implicit-def: $vgpr25
                                        ; implicit-def: $vgpr27
                                        ; implicit-def: $vgpr31
                                        ; implicit-def: $vgpr35
	s_load_b64 s[20:21], s[0:1], 0x68
.LBB153_7:
	v_dual_mov_b32 v3, 0 :: v_dual_mov_b32 v2, 0
	s_mov_b32 s2, exec_lo
	v_cmpx_gt_u32_e64 s23, v23
	s_cbranch_execz .LBB153_9
; %bb.8:
	v_dual_add_nc_u32 v2, s5, v52 :: v_dual_add_nc_u32 v4, s7, v52
	s_delay_alu instid0(VALU_DEP_1) | instskip(NEXT) | instid1(VALU_DEP_2)
	v_mul_lo_u32 v2, v2, s4
	v_mul_lo_u32 v4, v4, s6
	s_delay_alu instid0(VALU_DEP_1) | instskip(NEXT) | instid1(VALU_DEP_1)
	v_sub_nc_u32_e32 v2, v2, v4
	v_cmp_lt_u32_e32 vcc_lo, s3, v2
	v_cndmask_b32_e64 v2, 0, 1, vcc_lo
.LBB153_9:
	s_or_b32 exec_lo, exec_lo, s2
	v_add_nc_u32_e32 v4, 1, v23
	s_mov_b32 s2, exec_lo
	s_delay_alu instid0(VALU_DEP_1)
	v_cmpx_gt_u32_e64 s23, v4
	s_cbranch_execz .LBB153_11
; %bb.10:
	v_dual_add_nc_u32 v3, s5, v53 :: v_dual_add_nc_u32 v4, s7, v53
	s_delay_alu instid0(VALU_DEP_1) | instskip(NEXT) | instid1(VALU_DEP_2)
	v_mul_lo_u32 v3, v3, s4
	v_mul_lo_u32 v4, v4, s6
	s_delay_alu instid0(VALU_DEP_1) | instskip(NEXT) | instid1(VALU_DEP_1)
	v_sub_nc_u32_e32 v3, v3, v4
	v_cmp_lt_u32_e32 vcc_lo, s3, v3
	v_cndmask_b32_e64 v3, 0, 1, vcc_lo
.LBB153_11:
	s_or_b32 exec_lo, exec_lo, s2
	v_dual_mov_b32 v5, 0 :: v_dual_add_nc_u32 v4, 2, v23
	s_delay_alu instid0(VALU_DEP_1)
	v_cmp_gt_u32_e32 vcc_lo, s23, v4
	v_mov_b32_e32 v4, 0
	s_and_saveexec_b32 s2, vcc_lo
	s_cbranch_execz .LBB153_13
; %bb.12:
	v_dual_add_nc_u32 v4, s5, v50 :: v_dual_add_nc_u32 v6, s7, v50
	s_delay_alu instid0(VALU_DEP_1) | instskip(NEXT) | instid1(VALU_DEP_2)
	v_mul_lo_u32 v4, v4, s4
	v_mul_lo_u32 v6, v6, s6
	s_delay_alu instid0(VALU_DEP_1) | instskip(NEXT) | instid1(VALU_DEP_1)
	v_sub_nc_u32_e32 v4, v4, v6
	v_cmp_lt_u32_e32 vcc_lo, s3, v4
	v_cndmask_b32_e64 v4, 0, 1, vcc_lo
.LBB153_13:
	s_or_b32 exec_lo, exec_lo, s2
	v_add_nc_u32_e32 v6, 3, v23
	s_mov_b32 s2, exec_lo
	s_delay_alu instid0(VALU_DEP_1)
	v_cmpx_gt_u32_e64 s23, v6
	s_cbranch_execz .LBB153_15
; %bb.14:
	v_dual_add_nc_u32 v5, s5, v51 :: v_dual_add_nc_u32 v6, s7, v51
	s_delay_alu instid0(VALU_DEP_1) | instskip(NEXT) | instid1(VALU_DEP_2)
	v_mul_lo_u32 v5, v5, s4
	v_mul_lo_u32 v6, v6, s6
	s_delay_alu instid0(VALU_DEP_1) | instskip(NEXT) | instid1(VALU_DEP_1)
	v_sub_nc_u32_e32 v5, v5, v6
	v_cmp_lt_u32_e32 vcc_lo, s3, v5
	v_cndmask_b32_e64 v5, 0, 1, vcc_lo
.LBB153_15:
	s_or_b32 exec_lo, exec_lo, s2
	v_dual_mov_b32 v7, 0 :: v_dual_add_nc_u32 v6, 4, v23
	s_delay_alu instid0(VALU_DEP_1)
	v_cmp_gt_u32_e32 vcc_lo, s23, v6
	v_mov_b32_e32 v6, 0
	s_and_saveexec_b32 s2, vcc_lo
	;; [unrolled: 33-line block ×5, first 2 shown]
	s_cbranch_execz .LBB153_29
; %bb.28:
	v_dual_add_nc_u32 v12, s5, v42 :: v_dual_add_nc_u32 v14, s7, v42
	s_delay_alu instid0(VALU_DEP_1) | instskip(NEXT) | instid1(VALU_DEP_2)
	v_mul_lo_u32 v12, v12, s4
	v_mul_lo_u32 v14, v14, s6
	s_delay_alu instid0(VALU_DEP_1) | instskip(NEXT) | instid1(VALU_DEP_1)
	v_sub_nc_u32_e32 v12, v12, v14
	v_cmp_lt_u32_e32 vcc_lo, s3, v12
	v_cndmask_b32_e64 v12, 0, 1, vcc_lo
.LBB153_29:
	s_or_b32 exec_lo, exec_lo, s2
	v_add_nc_u32_e32 v14, 11, v23
	s_mov_b32 s2, exec_lo
	s_delay_alu instid0(VALU_DEP_1)
	v_cmpx_gt_u32_e64 s23, v14
	s_cbranch_execz .LBB153_31
; %bb.30:
	v_dual_add_nc_u32 v13, s5, v43 :: v_dual_add_nc_u32 v14, s7, v43
	s_delay_alu instid0(VALU_DEP_1) | instskip(NEXT) | instid1(VALU_DEP_2)
	v_mul_lo_u32 v13, v13, s4
	v_mul_lo_u32 v14, v14, s6
	s_delay_alu instid0(VALU_DEP_1) | instskip(NEXT) | instid1(VALU_DEP_1)
	v_sub_nc_u32_e32 v13, v13, v14
	v_cmp_lt_u32_e32 vcc_lo, s3, v13
	v_cndmask_b32_e64 v13, 0, 1, vcc_lo
.LBB153_31:
	s_or_b32 exec_lo, exec_lo, s2
	v_dual_mov_b32 v25, 0 :: v_dual_add_nc_u32 v14, 12, v23
	s_mov_b32 s2, exec_lo
	s_delay_alu instid0(VALU_DEP_1)
	v_cmpx_gt_u32_e64 s23, v14
	s_cbranch_execz .LBB153_33
; %bb.32:
	v_dual_add_nc_u32 v14, s7, v1 :: v_dual_add_nc_u32 v15, s5, v1
	s_delay_alu instid0(VALU_DEP_1) | instskip(NEXT) | instid1(VALU_DEP_2)
	v_mul_lo_u32 v14, v14, s6
	v_mul_lo_u32 v15, v15, s4
	s_delay_alu instid0(VALU_DEP_1) | instskip(NEXT) | instid1(VALU_DEP_1)
	v_sub_nc_u32_e32 v14, v15, v14
	v_cmp_lt_u32_e32 vcc_lo, s3, v14
	v_cndmask_b32_e64 v25, 0, 1, vcc_lo
.LBB153_33:
	s_or_b32 exec_lo, exec_lo, s2
	v_lshlrev_b16 v5, 8, v5
	v_lshlrev_b16 v7, 8, v7
	;; [unrolled: 1-line block ×5, first 2 shown]
	v_or_b32_e32 v4, v4, v5
	v_or_b32_e32 v5, v6, v7
	v_or_b32_e32 v6, v8, v9
	s_delay_alu instid0(VALU_DEP_4) | instskip(NEXT) | instid1(VALU_DEP_3)
	v_or_b32_e32 v7, v10, v11
	v_and_b32_e32 v5, 0xffff, v5
	s_delay_alu instid0(VALU_DEP_3) | instskip(SKIP_3) | instid1(VALU_DEP_4)
	v_dual_lshlrev_b32 v6, 16, v6 :: v_dual_bitop2_b32 v2, v2, v3 bitop3:0x54
	v_lshlrev_b32_e32 v4, 16, v4
	v_lshlrev_b16 v3, 8, v13
	v_and_b32_e32 v7, 0xffff, v7
	v_or_b32_e32 v31, v5, v6
	v_and_b32_e32 v2, 0xffff, v2
	s_delay_alu instid0(VALU_DEP_4) | instskip(NEXT) | instid1(VALU_DEP_1)
	v_or_b32_e32 v3, v12, v3
	v_dual_lshlrev_b32 v3, 16, v3 :: v_dual_bitop2_b32 v35, v2, v4 bitop3:0x54
	s_delay_alu instid0(VALU_DEP_1)
	v_or_b32_e32 v27, v7, v3
.LBB153_34:
	s_delay_alu instid0(VALU_DEP_2)
	v_bfe_u32 v39, v35, 16, 8
	v_bfe_u32 v41, v35, 8, 8
	v_and_b32_e32 v55, 0xff, v35
	v_and_b32_e32 v56, 0xff, v31
	v_mbcnt_lo_u32_b32 v62, -1, 0
	v_lshrrev_b32_e32 v37, 24, v35
	v_bfe_u32 v57, v31, 16, 8
	v_add3_u32 v2, v41, v55, v39
	v_bfe_u32 v58, v31, 8, 8
	v_and_b32_e32 v4, 15, v62
	s_load_b64 s[16:17], s[0:1], 0x28
	v_dual_lshrrev_b32 v33, 24, v31 :: v_dual_lshrrev_b32 v63, 5, v0
	v_add3_u32 v2, v2, v37, v56
	v_and_b32_e32 v59, 0xff, v27
	v_bfe_u32 v60, v27, 16, 8
	v_bfe_u32 v61, v27, 8, 8
	v_dual_lshrrev_b32 v29, 24, v27 :: v_dual_bitop2_b32 v5, 31, v0 bitop3:0x54
	v_add3_u32 v2, v2, v58, v57
	v_and_b32_e32 v3, 0xff, v25
	v_and_b32_e32 v6, 16, v62
	v_cmp_eq_u32_e64 s5, 0, v4
	v_cmp_lt_u32_e64 s4, 1, v4
	v_add3_u32 v2, v2, v33, v59
	v_cmp_lt_u32_e64 s3, 3, v4
	v_cmp_lt_u32_e64 s2, 7, v4
	s_wait_xcnt 0x0
	v_cmp_eq_u32_e64 s1, 0, v6
	v_cmp_eq_u32_e64 s0, v0, v5
	v_add3_u32 v2, v2, v61, v60
	s_cmp_lg_u32 s24, 0
	s_mov_b32 s6, -1
	s_delay_alu instid0(VALU_DEP_1)
	v_add3_u32 v64, v2, v29, v3
	s_cbranch_scc0 .LBB153_56
; %bb.35:
	s_delay_alu instid0(VALU_DEP_1) | instskip(NEXT) | instid1(VALU_DEP_1)
	v_mov_b32_dpp v2, v64 row_shr:1 row_mask:0xf bank_mask:0xf
	v_cndmask_b32_e64 v2, v2, 0, s5
	s_delay_alu instid0(VALU_DEP_1) | instskip(NEXT) | instid1(VALU_DEP_1)
	v_add_nc_u32_e32 v2, v2, v64
	v_mov_b32_dpp v3, v2 row_shr:2 row_mask:0xf bank_mask:0xf
	s_delay_alu instid0(VALU_DEP_1) | instskip(NEXT) | instid1(VALU_DEP_1)
	v_cndmask_b32_e64 v3, 0, v3, s4
	v_add_nc_u32_e32 v2, v2, v3
	s_delay_alu instid0(VALU_DEP_1) | instskip(NEXT) | instid1(VALU_DEP_1)
	v_mov_b32_dpp v3, v2 row_shr:4 row_mask:0xf bank_mask:0xf
	v_cndmask_b32_e64 v3, 0, v3, s3
	s_delay_alu instid0(VALU_DEP_1) | instskip(NEXT) | instid1(VALU_DEP_1)
	v_add_nc_u32_e32 v2, v2, v3
	v_mov_b32_dpp v3, v2 row_shr:8 row_mask:0xf bank_mask:0xf
	s_delay_alu instid0(VALU_DEP_1) | instskip(NEXT) | instid1(VALU_DEP_1)
	v_cndmask_b32_e64 v3, 0, v3, s2
	v_add_nc_u32_e32 v2, v2, v3
	ds_swizzle_b32 v3, v2 offset:swizzle(BROADCAST,32,15)
	s_wait_dscnt 0x0
	v_cndmask_b32_e64 v3, v3, 0, s1
	s_delay_alu instid0(VALU_DEP_1)
	v_add_nc_u32_e32 v2, v2, v3
	s_and_saveexec_b32 s6, s0
; %bb.36:
	v_lshlrev_b32_e32 v3, 2, v63
	ds_store_b32 v3, v2
; %bb.37:
	s_or_b32 exec_lo, exec_lo, s6
	s_delay_alu instid0(SALU_CYCLE_1)
	s_mov_b32 s6, exec_lo
	s_wait_dscnt 0x0
	s_barrier_signal -1
	s_barrier_wait -1
	v_cmpx_gt_u32_e32 8, v0
	s_cbranch_execz .LBB153_39
; %bb.38:
	ds_load_b32 v3, v19
	s_wait_dscnt 0x0
	v_mov_b32_dpp v5, v3 row_shr:1 row_mask:0xf bank_mask:0xf
	v_and_b32_e32 v4, 7, v62
	s_delay_alu instid0(VALU_DEP_1) | instskip(NEXT) | instid1(VALU_DEP_3)
	v_cmp_ne_u32_e32 vcc_lo, 0, v4
	v_cndmask_b32_e32 v5, 0, v5, vcc_lo
	v_cmp_lt_u32_e32 vcc_lo, 1, v4
	s_delay_alu instid0(VALU_DEP_2) | instskip(NEXT) | instid1(VALU_DEP_1)
	v_add_nc_u32_e32 v3, v5, v3
	v_mov_b32_dpp v5, v3 row_shr:2 row_mask:0xf bank_mask:0xf
	s_delay_alu instid0(VALU_DEP_1) | instskip(SKIP_1) | instid1(VALU_DEP_2)
	v_cndmask_b32_e32 v5, 0, v5, vcc_lo
	v_cmp_lt_u32_e32 vcc_lo, 3, v4
	v_add_nc_u32_e32 v3, v3, v5
	s_delay_alu instid0(VALU_DEP_1) | instskip(NEXT) | instid1(VALU_DEP_1)
	v_mov_b32_dpp v5, v3 row_shr:4 row_mask:0xf bank_mask:0xf
	v_cndmask_b32_e32 v4, 0, v5, vcc_lo
	s_delay_alu instid0(VALU_DEP_1)
	v_add_nc_u32_e32 v3, v3, v4
	ds_store_b32 v19, v3
.LBB153_39:
	s_or_b32 exec_lo, exec_lo, s6
	s_delay_alu instid0(SALU_CYCLE_1)
	s_mov_b32 s7, exec_lo
	v_cmp_gt_u32_e32 vcc_lo, 32, v0
	s_wait_dscnt 0x0
	s_barrier_signal -1
	s_barrier_wait -1
                                        ; implicit-def: $vgpr10
	v_cmpx_lt_u32_e32 31, v0
	s_cbranch_execz .LBB153_41
; %bb.40:
	v_lshl_add_u32 v3, v63, 2, -4
	ds_load_b32 v10, v3
	s_wait_dscnt 0x0
	v_add_nc_u32_e32 v2, v10, v2
.LBB153_41:
	s_or_b32 exec_lo, exec_lo, s7
	v_sub_co_u32 v3, s6, v62, 1
	s_delay_alu instid0(VALU_DEP_1) | instskip(NEXT) | instid1(VALU_DEP_1)
	v_cmp_gt_i32_e64 s7, 0, v3
	v_cndmask_b32_e64 v3, v3, v62, s7
	s_delay_alu instid0(VALU_DEP_1)
	v_lshlrev_b32_e32 v3, 2, v3
	ds_bpermute_b32 v11, v3, v2
	s_and_saveexec_b32 s7, vcc_lo
	s_cbranch_execz .LBB153_61
; %bb.42:
	v_mov_b32_e32 v9, 0
	ds_load_b32 v2, v9 offset:28
	s_and_saveexec_b32 s11, s6
	s_cbranch_execz .LBB153_44
; %bb.43:
	s_add_co_i32 s25, s24, 32
	s_delay_alu instid0(SALU_CYCLE_1)
	v_dual_mov_b32 v3, 1 :: v_dual_mov_b32 v4, s25
	s_wait_dscnt 0x0
	s_wait_kmcnt 0x0
	global_store_b64 v4, v[2:3], s[20:21] scale_offset scope:SCOPE_DEV
.LBB153_44:
	s_wait_xcnt 0x0
	s_or_b32 exec_lo, exec_lo, s11
	v_xad_u32 v4, v62, -1, s24
	s_mov_b32 s25, 0
	s_mov_b32 s11, exec_lo
	s_delay_alu instid0(VALU_DEP_1)
	v_add_nc_u32_e32 v8, 32, v4
	s_wait_kmcnt 0x0
	global_load_b64 v[6:7], v8, s[20:21] scale_offset scope:SCOPE_DEV
	s_wait_loadcnt 0x0
	v_and_b32_e32 v3, 0xff, v7
	s_wait_xcnt 0x0
	s_delay_alu instid0(VALU_DEP_1)
	v_cmpx_eq_u16_e32 0, v3
	s_cbranch_execz .LBB153_48
; %bb.45:
	v_lshl_add_u64 v[8:9], v[8:9], 3, s[20:21]
.LBB153_46:                             ; =>This Inner Loop Header: Depth=1
	global_load_b64 v[6:7], v[8:9], off scope:SCOPE_DEV
	s_wait_loadcnt 0x0
	v_and_b32_e32 v3, 0xff, v7
	s_delay_alu instid0(VALU_DEP_1)
	v_cmp_ne_u16_e32 vcc_lo, 0, v3
	s_or_b32 s25, vcc_lo, s25
	s_wait_xcnt 0x0
	s_and_not1_b32 exec_lo, exec_lo, s25
	s_cbranch_execnz .LBB153_46
; %bb.47:
	s_or_b32 exec_lo, exec_lo, s25
.LBB153_48:
	s_delay_alu instid0(SALU_CYCLE_1)
	s_or_b32 exec_lo, exec_lo, s11
	v_cmp_ne_u32_e32 vcc_lo, 31, v62
	v_lshlrev_b32_e64 v13, v62, -1
	v_dual_add_nc_u32 v15, 2, v62 :: v_dual_add_nc_u32 v17, 4, v62
	v_dual_add_nc_u32 v65, 8, v62 :: v_dual_add_nc_u32 v67, 16, v62
	v_add_co_ci_u32_e64 v3, null, 0, v62, vcc_lo
	v_lshl_or_b32 v66, v62, 2, 64
	s_delay_alu instid0(VALU_DEP_2)
	v_lshlrev_b32_e32 v12, 2, v3
	v_and_b32_e32 v3, 0xff, v7
	ds_bpermute_b32 v5, v12, v6
	v_cmp_eq_u16_e32 vcc_lo, 2, v3
	v_and_or_b32 v3, vcc_lo, v13, 0x80000000
	v_cmp_gt_u32_e32 vcc_lo, 30, v62
	s_delay_alu instid0(VALU_DEP_2) | instskip(SKIP_1) | instid1(VALU_DEP_2)
	v_ctz_i32_b32_e32 v3, v3
	v_cndmask_b32_e64 v8, 0, 2, vcc_lo
	v_cmp_lt_u32_e32 vcc_lo, v62, v3
	s_delay_alu instid0(VALU_DEP_2)
	v_add_lshl_u32 v14, v8, v62, 2
	s_wait_dscnt 0x0
	v_cndmask_b32_e32 v5, 0, v5, vcc_lo
	v_cmp_gt_u32_e32 vcc_lo, 28, v62
	v_cndmask_b32_e64 v8, 0, 4, vcc_lo
	v_cmp_le_u32_e32 vcc_lo, v15, v3
	s_delay_alu instid0(VALU_DEP_4) | instskip(NEXT) | instid1(VALU_DEP_3)
	v_add_nc_u32_e32 v5, v5, v6
	v_add_lshl_u32 v16, v8, v62, 2
	ds_bpermute_b32 v6, v14, v5
	s_wait_dscnt 0x0
	v_cndmask_b32_e32 v6, 0, v6, vcc_lo
	v_cmp_gt_u32_e32 vcc_lo, 24, v62
	v_cndmask_b32_e64 v8, 0, 8, vcc_lo
	v_cmp_le_u32_e32 vcc_lo, v17, v3
	s_delay_alu instid0(VALU_DEP_4) | instskip(NEXT) | instid1(VALU_DEP_3)
	v_add_nc_u32_e32 v5, v5, v6
	v_add_lshl_u32 v54, v8, v62, 2
	ds_bpermute_b32 v6, v16, v5
	s_wait_dscnt 0x0
	v_cndmask_b32_e32 v6, 0, v6, vcc_lo
	v_cmp_le_u32_e32 vcc_lo, v65, v3
	s_delay_alu instid0(VALU_DEP_2) | instskip(SKIP_4) | instid1(VALU_DEP_2)
	v_add_nc_u32_e32 v5, v5, v6
	ds_bpermute_b32 v6, v54, v5
	s_wait_dscnt 0x0
	v_cndmask_b32_e32 v6, 0, v6, vcc_lo
	v_cmp_le_u32_e32 vcc_lo, v67, v3
	v_add_nc_u32_e32 v5, v5, v6
	ds_bpermute_b32 v6, v66, v5
	s_wait_dscnt 0x0
	v_cndmask_b32_e32 v3, 0, v6, vcc_lo
	s_delay_alu instid0(VALU_DEP_1)
	v_dual_mov_b32 v5, 0 :: v_dual_add_nc_u32 v6, v5, v3
	s_branch .LBB153_52
.LBB153_49:                             ;   in Loop: Header=BB153_52 Depth=1
	s_or_b32 exec_lo, exec_lo, s25
.LBB153_50:                             ;   in Loop: Header=BB153_52 Depth=1
	s_delay_alu instid0(SALU_CYCLE_1)
	s_or_b32 exec_lo, exec_lo, s11
	v_and_b32_e32 v8, 0xff, v7
	ds_bpermute_b32 v9, v12, v6
	v_subrev_nc_u32_e32 v4, 32, v4
	s_mov_b32 s11, 0
	v_cmp_eq_u16_e32 vcc_lo, 2, v8
	v_and_or_b32 v8, vcc_lo, v13, 0x80000000
	s_delay_alu instid0(VALU_DEP_1) | instskip(NEXT) | instid1(VALU_DEP_1)
	v_ctz_i32_b32_e32 v8, v8
	v_cmp_lt_u32_e32 vcc_lo, v62, v8
	s_wait_dscnt 0x0
	v_cndmask_b32_e32 v9, 0, v9, vcc_lo
	v_cmp_le_u32_e32 vcc_lo, v15, v8
	s_delay_alu instid0(VALU_DEP_2) | instskip(SKIP_4) | instid1(VALU_DEP_2)
	v_add_nc_u32_e32 v6, v9, v6
	ds_bpermute_b32 v9, v14, v6
	s_wait_dscnt 0x0
	v_cndmask_b32_e32 v9, 0, v9, vcc_lo
	v_cmp_le_u32_e32 vcc_lo, v17, v8
	v_add_nc_u32_e32 v6, v6, v9
	ds_bpermute_b32 v9, v16, v6
	s_wait_dscnt 0x0
	v_cndmask_b32_e32 v9, 0, v9, vcc_lo
	v_cmp_le_u32_e32 vcc_lo, v65, v8
	s_delay_alu instid0(VALU_DEP_2) | instskip(SKIP_4) | instid1(VALU_DEP_2)
	v_add_nc_u32_e32 v6, v6, v9
	ds_bpermute_b32 v9, v54, v6
	s_wait_dscnt 0x0
	v_cndmask_b32_e32 v9, 0, v9, vcc_lo
	v_cmp_le_u32_e32 vcc_lo, v67, v8
	v_add_nc_u32_e32 v6, v6, v9
	ds_bpermute_b32 v9, v66, v6
	s_wait_dscnt 0x0
	v_cndmask_b32_e32 v8, 0, v9, vcc_lo
	s_delay_alu instid0(VALU_DEP_1)
	v_add3_u32 v6, v8, v3, v6
.LBB153_51:                             ;   in Loop: Header=BB153_52 Depth=1
	s_and_b32 vcc_lo, exec_lo, s11
	s_cbranch_vccnz .LBB153_57
.LBB153_52:                             ; =>This Loop Header: Depth=1
                                        ;     Child Loop BB153_55 Depth 2
	v_and_b32_e32 v3, 0xff, v7
	s_mov_b32 s11, -1
                                        ; implicit-def: $vgpr7
	s_delay_alu instid0(VALU_DEP_1)
	v_cmp_ne_u16_e32 vcc_lo, 2, v3
	v_mov_b32_e32 v3, v6
                                        ; implicit-def: $vgpr6
	s_cmp_lg_u32 vcc_lo, exec_lo
	s_cbranch_scc1 .LBB153_51
; %bb.53:                               ;   in Loop: Header=BB153_52 Depth=1
	global_load_b64 v[6:7], v4, s[20:21] scale_offset scope:SCOPE_DEV
	s_mov_b32 s11, exec_lo
	s_wait_loadcnt 0x0
	v_and_b32_e32 v8, 0xff, v7
	s_wait_xcnt 0x0
	s_delay_alu instid0(VALU_DEP_1)
	v_cmpx_eq_u16_e32 0, v8
	s_cbranch_execz .LBB153_50
; %bb.54:                               ;   in Loop: Header=BB153_52 Depth=1
	v_lshl_add_u64 v[8:9], v[4:5], 3, s[20:21]
	s_mov_b32 s25, 0
.LBB153_55:                             ;   Parent Loop BB153_52 Depth=1
                                        ; =>  This Inner Loop Header: Depth=2
	global_load_b64 v[6:7], v[8:9], off scope:SCOPE_DEV
	s_wait_loadcnt 0x0
	v_and_b32_e32 v68, 0xff, v7
	s_delay_alu instid0(VALU_DEP_1)
	v_cmp_ne_u16_e32 vcc_lo, 0, v68
	s_or_b32 s25, vcc_lo, s25
	s_wait_xcnt 0x0
	s_and_not1_b32 exec_lo, exec_lo, s25
	s_cbranch_execnz .LBB153_55
	s_branch .LBB153_49
.LBB153_56:
                                        ; implicit-def: $vgpr2_vgpr3_vgpr4_vgpr5_vgpr6_vgpr7_vgpr8_vgpr9_vgpr10_vgpr11_vgpr12_vgpr13_vgpr14_vgpr15_vgpr16_vgpr17
                                        ; implicit-def: $vgpr54
                                        ; implicit-def: $vgpr16
	s_and_b32 vcc_lo, exec_lo, s6
	s_cbranch_vccnz .LBB153_62
	s_branch .LBB153_71
.LBB153_57:
	s_and_saveexec_b32 s11, s6
	s_cbranch_execz .LBB153_59
; %bb.58:
	s_add_co_i32 s24, s24, 32
	v_dual_mov_b32 v5, 2 :: v_dual_add_nc_u32 v4, v3, v2
	v_dual_mov_b32 v6, s24 :: v_dual_mov_b32 v7, 0
	global_store_b64 v6, v[4:5], s[20:21] scale_offset scope:SCOPE_DEV
	ds_store_b64 v7, v[2:3] offset:13312
.LBB153_59:
	s_wait_xcnt 0x0
	s_or_b32 exec_lo, exec_lo, s11
	v_cmp_eq_u32_e32 vcc_lo, 0, v0
	s_and_b32 exec_lo, exec_lo, vcc_lo
; %bb.60:
	v_mov_b32_e32 v2, 0
	ds_store_b32 v2, v3 offset:28
.LBB153_61:
	s_or_b32 exec_lo, exec_lo, s7
	s_wait_dscnt 0x0
	v_dual_mov_b32 v12, 0 :: v_dual_cndmask_b32 v3, v11, v10, s6
	s_wait_storecnt 0x0
	s_barrier_signal -1
	s_barrier_wait -1
	ds_load_b32 v2, v12 offset:28
	v_cmp_ne_u32_e32 vcc_lo, 0, v0
	s_wait_dscnt 0x0
	s_barrier_signal -1
	s_barrier_wait -1
	v_cndmask_b32_e32 v3, 0, v3, vcc_lo
	ds_load_b64 v[16:17], v12 offset:13312
	v_add_nc_u32_e32 v2, v2, v3
	s_wait_dscnt 0x0
	s_delay_alu instid0(VALU_DEP_1) | instskip(NEXT) | instid1(VALU_DEP_1)
	v_dual_mov_b32 v54, v17 :: v_dual_add_nc_u32 v3, v2, v55
	v_add_nc_u32_e32 v4, v3, v41
	s_delay_alu instid0(VALU_DEP_1) | instskip(NEXT) | instid1(VALU_DEP_1)
	v_add_nc_u32_e32 v5, v4, v39
	v_add_nc_u32_e32 v6, v5, v37
	s_delay_alu instid0(VALU_DEP_1) | instskip(NEXT) | instid1(VALU_DEP_1)
	v_add_nc_u32_e32 v7, v6, v56
	;; [unrolled: 3-line block ×5, first 2 shown]
	v_add_nc_u32_e32 v14, v13, v29
	s_branch .LBB153_71
.LBB153_62:
	v_mov_b32_dpp v2, v64 row_shr:1 row_mask:0xf bank_mask:0xf
	s_delay_alu instid0(VALU_DEP_1) | instskip(NEXT) | instid1(VALU_DEP_1)
	v_cndmask_b32_e64 v2, v2, 0, s5
	v_add_nc_u32_e32 v2, v2, v64
	s_delay_alu instid0(VALU_DEP_1) | instskip(NEXT) | instid1(VALU_DEP_1)
	v_mov_b32_dpp v3, v2 row_shr:2 row_mask:0xf bank_mask:0xf
	v_cndmask_b32_e64 v3, 0, v3, s4
	s_delay_alu instid0(VALU_DEP_1) | instskip(NEXT) | instid1(VALU_DEP_1)
	v_add_nc_u32_e32 v2, v2, v3
	v_mov_b32_dpp v3, v2 row_shr:4 row_mask:0xf bank_mask:0xf
	s_delay_alu instid0(VALU_DEP_1) | instskip(NEXT) | instid1(VALU_DEP_1)
	v_cndmask_b32_e64 v3, 0, v3, s3
	v_add_nc_u32_e32 v2, v2, v3
	s_delay_alu instid0(VALU_DEP_1) | instskip(NEXT) | instid1(VALU_DEP_1)
	v_mov_b32_dpp v3, v2 row_shr:8 row_mask:0xf bank_mask:0xf
	v_cndmask_b32_e64 v3, 0, v3, s2
	s_delay_alu instid0(VALU_DEP_1) | instskip(SKIP_3) | instid1(VALU_DEP_1)
	v_add_nc_u32_e32 v2, v2, v3
	ds_swizzle_b32 v3, v2 offset:swizzle(BROADCAST,32,15)
	s_wait_dscnt 0x0
	v_cndmask_b32_e64 v3, v3, 0, s1
	v_add_nc_u32_e32 v2, v2, v3
	s_and_saveexec_b32 s1, s0
; %bb.63:
	v_lshlrev_b32_e32 v3, 2, v63
	ds_store_b32 v3, v2
; %bb.64:
	s_or_b32 exec_lo, exec_lo, s1
	s_delay_alu instid0(SALU_CYCLE_1)
	s_mov_b32 s0, exec_lo
	s_wait_dscnt 0x0
	s_barrier_signal -1
	s_barrier_wait -1
	v_cmpx_gt_u32_e32 8, v0
	s_cbranch_execz .LBB153_66
; %bb.65:
	ds_load_b32 v3, v19
	s_wait_dscnt 0x0
	v_mov_b32_dpp v5, v3 row_shr:1 row_mask:0xf bank_mask:0xf
	v_and_b32_e32 v4, 7, v62
	s_delay_alu instid0(VALU_DEP_1) | instskip(NEXT) | instid1(VALU_DEP_3)
	v_cmp_ne_u32_e32 vcc_lo, 0, v4
	v_cndmask_b32_e32 v5, 0, v5, vcc_lo
	v_cmp_lt_u32_e32 vcc_lo, 1, v4
	s_delay_alu instid0(VALU_DEP_2) | instskip(NEXT) | instid1(VALU_DEP_1)
	v_add_nc_u32_e32 v3, v5, v3
	v_mov_b32_dpp v5, v3 row_shr:2 row_mask:0xf bank_mask:0xf
	s_delay_alu instid0(VALU_DEP_1) | instskip(SKIP_1) | instid1(VALU_DEP_2)
	v_cndmask_b32_e32 v5, 0, v5, vcc_lo
	v_cmp_lt_u32_e32 vcc_lo, 3, v4
	v_add_nc_u32_e32 v3, v3, v5
	s_delay_alu instid0(VALU_DEP_1) | instskip(NEXT) | instid1(VALU_DEP_1)
	v_mov_b32_dpp v5, v3 row_shr:4 row_mask:0xf bank_mask:0xf
	v_cndmask_b32_e32 v4, 0, v5, vcc_lo
	s_delay_alu instid0(VALU_DEP_1)
	v_add_nc_u32_e32 v3, v3, v4
	ds_store_b32 v19, v3
.LBB153_66:
	s_or_b32 exec_lo, exec_lo, s0
	v_dual_mov_b32 v4, 0 :: v_dual_mov_b32 v3, 0
	s_mov_b32 s0, exec_lo
	s_wait_dscnt 0x0
	s_barrier_signal -1
	s_barrier_wait -1
	v_cmpx_lt_u32_e32 31, v0
; %bb.67:
	v_lshl_add_u32 v3, v63, 2, -4
	ds_load_b32 v3, v3
; %bb.68:
	s_or_b32 exec_lo, exec_lo, s0
	v_sub_co_u32 v5, vcc_lo, v62, 1
	ds_load_b32 v16, v4 offset:28
	v_cmp_gt_i32_e64 s0, 0, v5
	s_delay_alu instid0(VALU_DEP_1) | instskip(SKIP_3) | instid1(VALU_DEP_3)
	v_cndmask_b32_e64 v5, v5, v62, s0
	s_wait_dscnt 0x1
	v_add_nc_u32_e32 v2, v3, v2
	v_cmp_eq_u32_e64 s0, 0, v0
	v_lshlrev_b32_e32 v5, 2, v5
	ds_bpermute_b32 v2, v5, v2
	s_and_saveexec_b32 s1, s0
	s_cbranch_execz .LBB153_70
; %bb.69:
	v_dual_mov_b32 v4, 0 :: v_dual_mov_b32 v17, 2
	s_wait_dscnt 0x1
	s_wait_kmcnt 0x0
	global_store_b64 v4, v[16:17], s[20:21] offset:256 scope:SCOPE_DEV
.LBB153_70:
	s_wait_xcnt 0x0
	s_or_b32 exec_lo, exec_lo, s1
	s_wait_dscnt 0x0
	v_cndmask_b32_e32 v2, v2, v3, vcc_lo
	s_wait_storecnt 0x0
	s_barrier_signal -1
	s_barrier_wait -1
	s_delay_alu instid0(VALU_DEP_1) | instskip(NEXT) | instid1(VALU_DEP_1)
	v_cndmask_b32_e64 v2, v2, 0, s0
	v_dual_mov_b32 v54, 0 :: v_dual_add_nc_u32 v3, v2, v55
	s_delay_alu instid0(VALU_DEP_1) | instskip(NEXT) | instid1(VALU_DEP_1)
	v_add_nc_u32_e32 v4, v3, v41
	v_add_nc_u32_e32 v5, v4, v39
	s_delay_alu instid0(VALU_DEP_1) | instskip(NEXT) | instid1(VALU_DEP_1)
	v_add_nc_u32_e32 v6, v5, v37
	v_add_nc_u32_e32 v7, v6, v56
	;; [unrolled: 3-line block ×5, first 2 shown]
	s_delay_alu instid0(VALU_DEP_1)
	v_add_nc_u32_e32 v14, v13, v29
.LBB153_71:
	v_dual_lshrrev_b32 v55, 16, v35 :: v_dual_lshrrev_b32 v56, 8, v35
	v_dual_add_nc_u32 v23, v16, v23 :: v_dual_sub_nc_u32 v3, v3, v54
	v_dual_sub_nc_u32 v2, v2, v54 :: v_dual_bitop2_b32 v35, 1, v35 bitop3:0x40
	s_delay_alu instid0(VALU_DEP_3) | instskip(NEXT) | instid1(VALU_DEP_4)
	v_dual_sub_nc_u32 v4, v4, v54 :: v_dual_bitop2_b32 v56, 1, v56 bitop3:0x40
	v_and_b32_e32 v55, 1, v55
	s_delay_alu instid0(VALU_DEP_3) | instskip(NEXT) | instid1(VALU_DEP_4)
	v_dual_sub_nc_u32 v57, v23, v3 :: v_dual_sub_nc_u32 v58, v23, v2
	v_cmp_eq_u32_e32 vcc_lo, 1, v35
	s_delay_alu instid0(VALU_DEP_4) | instskip(NEXT) | instid1(VALU_DEP_3)
	v_dual_sub_nc_u32 v5, v5, v54 :: v_dual_sub_nc_u32 v59, v23, v4
	v_dual_add_nc_u32 v57, 1, v57 :: v_dual_sub_nc_u32 v6, v6, v54
	s_delay_alu instid0(VALU_DEP_4) | instskip(SKIP_1) | instid1(VALU_DEP_4)
	v_cndmask_b32_e32 v2, v58, v2, vcc_lo
	v_cmp_eq_u32_e32 vcc_lo, 1, v56
	v_dual_sub_nc_u32 v35, v23, v5 :: v_dual_add_nc_u32 v56, 2, v59
	v_dual_lshrrev_b32 v41, 8, v31 :: v_dual_lshrrev_b32 v39, 16, v31
	v_dual_cndmask_b32 v3, v57, v3, vcc_lo :: v_dual_bitop2_b32 v37, 1, v37 bitop3:0x40
	v_lshlrev_b32_e32 v2, 2, v2
	v_cmp_eq_u32_e32 vcc_lo, 1, v55
	v_add_nc_u32_e32 v35, 3, v35
	s_delay_alu instid0(VALU_DEP_4)
	v_lshlrev_b32_e32 v3, 2, v3
	v_dual_lshrrev_b32 v15, 16, v27 :: v_dual_lshrrev_b32 v17, 8, v27
	v_cndmask_b32_e32 v4, v56, v4, vcc_lo
	v_cmp_eq_u32_e32 vcc_lo, 1, v37
	ds_store_b32 v2, v52
	ds_store_b32 v3, v53
	v_dual_lshlrev_b32 v3, 2, v4 :: v_dual_cndmask_b32 v5, v35, v5, vcc_lo
	s_delay_alu instid0(VALU_DEP_1) | instskip(SKIP_1) | instid1(VALU_DEP_2)
	v_dual_sub_nc_u32 v2, v23, v6 :: v_dual_lshlrev_b32 v4, 2, v5
	v_dual_sub_nc_u32 v5, v7, v54 :: v_dual_bitop2_b32 v7, 1, v31 bitop3:0x40
	v_add_nc_u32_e32 v2, 4, v2
	ds_store_b32 v3, v50
	ds_store_b32 v4, v51
	v_sub_nc_u32_e32 v3, v23, v5
	v_cmp_eq_u32_e32 vcc_lo, 1, v7
	s_delay_alu instid0(VALU_DEP_2) | instskip(SKIP_1) | instid1(VALU_DEP_2)
	v_dual_sub_nc_u32 v4, v8, v54 :: v_dual_add_nc_u32 v3, 5, v3
	v_dual_cndmask_b32 v2, v2, v6, vcc_lo :: v_dual_bitop2_b32 v6, 1, v41 bitop3:0x40
	v_dual_sub_nc_u32 v7, v9, v54 :: v_dual_sub_nc_u32 v8, v23, v4
	s_delay_alu instid0(VALU_DEP_2) | instskip(NEXT) | instid1(VALU_DEP_2)
	v_cmp_eq_u32_e32 vcc_lo, 1, v6
	v_dual_lshlrev_b32 v2, 2, v2 :: v_dual_add_nc_u32 v8, 6, v8
	v_cndmask_b32_e32 v3, v3, v5, vcc_lo
	s_delay_alu instid0(VALU_DEP_4)
	v_sub_nc_u32_e32 v5, v23, v7
	v_and_b32_e32 v6, 1, v39
	ds_store_b32 v2, v48
	v_dual_lshlrev_b32 v3, 2, v3 :: v_dual_add_nc_u32 v5, 7, v5
	v_cmp_eq_u32_e32 vcc_lo, 1, v6
	v_dual_sub_nc_u32 v6, v11, v54 :: v_dual_bitop2_b32 v2, 1, v33 bitop3:0x40
	ds_store_b32 v3, v49
	v_cndmask_b32_e32 v4, v8, v4, vcc_lo
	v_cmp_eq_u32_e32 vcc_lo, 1, v2
	s_delay_alu instid0(VALU_DEP_2)
	v_dual_lshlrev_b32 v4, 2, v4 :: v_dual_cndmask_b32 v2, v5, v7, vcc_lo
	v_dual_sub_nc_u32 v5, v10, v54 :: v_dual_bitop2_b32 v7, 1, v17 bitop3:0x40
	v_sub_nc_u32_e32 v3, v23, v6
	ds_store_b32 v4, v46
	v_dual_sub_nc_u32 v4, v23, v5 :: v_dual_lshlrev_b32 v2, 2, v2
	v_add_nc_u32_e32 v3, 9, v3
	v_cmp_eq_u32_e32 vcc_lo, 1, v7
	s_delay_alu instid0(VALU_DEP_3) | instskip(SKIP_3) | instid1(VALU_DEP_2)
	v_dual_sub_nc_u32 v7, v12, v54 :: v_dual_add_nc_u32 v4, 8, v4
	ds_store_b32 v2, v47
	v_dual_cndmask_b32 v3, v3, v6, vcc_lo :: v_dual_bitop2_b32 v2, 1, v27 bitop3:0x40
	v_dual_sub_nc_u32 v6, v13, v54 :: v_dual_sub_nc_u32 v8, v14, v54
	v_cmp_eq_u32_e32 vcc_lo, 1, v2
	v_dual_cndmask_b32 v2, v4, v5 :: v_dual_sub_nc_u32 v5, v23, v7
	s_delay_alu instid0(VALU_DEP_3) | instskip(SKIP_1) | instid1(VALU_DEP_3)
	v_dual_sub_nc_u32 v4, v23, v6 :: v_dual_sub_nc_u32 v9, v23, v8
	v_and_b32_e32 v10, 1, v15
	v_dual_lshlrev_b32 v2, 2, v2 :: v_dual_bitop2_b32 v12, 1, v25 bitop3:0x40
	s_delay_alu instid0(VALU_DEP_3) | instskip(NEXT) | instid1(VALU_DEP_1)
	v_dual_add_nc_u32 v4, 11, v4 :: v_dual_bitop2_b32 v11, 1, v29 bitop3:0x40
	v_cmp_eq_u32_e32 vcc_lo, 1, v11
	s_delay_alu instid0(VALU_DEP_2) | instskip(SKIP_3) | instid1(VALU_DEP_1)
	v_cndmask_b32_e32 v4, v4, v6, vcc_lo
	v_cmp_eq_u32_e32 vcc_lo, 1, v10
	v_add_nc_u32_e32 v9, 12, v9
	v_add_nc_u32_e32 v5, 10, v5
	v_cndmask_b32_e32 v5, v5, v7, vcc_lo
	v_cmp_eq_u32_e32 vcc_lo, 1, v12
	s_delay_alu instid0(VALU_DEP_2) | instskip(SKIP_3) | instid1(VALU_DEP_3)
	v_dual_lshlrev_b32 v3, 2, v3 :: v_dual_lshlrev_b32 v5, 2, v5
	v_cndmask_b32_e32 v6, v9, v8, vcc_lo
	v_lshlrev_b32_e32 v4, 2, v4
	v_cmp_ne_u32_e32 vcc_lo, 1, v21
	v_lshlrev_b32_e32 v6, 2, v6
	ds_store_b32 v2, v44
	ds_store_b32 v3, v45
	;; [unrolled: 1-line block ×5, first 2 shown]
	s_wait_dscnt 0x0
	s_barrier_signal -1
	s_barrier_wait -1
	ds_load_2addr_stride64_b32 v[14:15], v19 offset1:4
	ds_load_2addr_stride64_b32 v[12:13], v19 offset0:8 offset1:12
	ds_load_2addr_stride64_b32 v[10:11], v19 offset0:16 offset1:20
	;; [unrolled: 1-line block ×5, first 2 shown]
	ds_load_b32 v46, v19 offset:12288
	v_mov_b32_e32 v1, 0
	s_and_b32 vcc_lo, exec_lo, vcc_lo
	s_delay_alu instid0(VALU_DEP_1) | instskip(SKIP_3) | instid1(VALU_DEP_3)
	v_dual_mov_b32 v29, v1 :: v_dual_mov_b32 v55, v1
	v_dual_mov_b32 v41, v1 :: v_dual_mov_b32 v39, v1
	;; [unrolled: 1-line block ×3, first 2 shown]
	s_wait_kmcnt 0x0
	v_add_nc_u64_e32 v[2:3], s[18:19], v[54:55]
	v_dual_mov_b32 v33, v1 :: v_dual_mov_b32 v31, v1
	v_dual_mov_b32 v27, v1 :: v_dual_mov_b32 v25, v1
	;; [unrolled: 1-line block ×3, first 2 shown]
	v_mov_b32_e32 v19, v1
	s_cbranch_vccnz .LBB153_125
; %bb.72:
	v_mov_b32_e32 v17, v1
	s_mov_b32 s11, 0
	v_sub_nc_u64_e64 v[42:43], v[2:3], s[12:13]
	s_sub_nc_u64 s[0:1], s[14:15], s[10:11]
	s_delay_alu instid0(VALU_DEP_2) | instid1(SALU_CYCLE_1)
	v_add_nc_u64_e32 v[44:45], s[0:1], v[16:17]
	s_mov_b32 s0, exec_lo
	s_delay_alu instid0(VALU_DEP_1)
	v_add_nc_u64_e32 v[42:43], v[44:45], v[42:43]
                                        ; implicit-def: $vgpr44_vgpr45
	v_cmpx_ge_u32_e64 v0, v16
	s_xor_b32 s0, exec_lo, s0
; %bb.73:
	v_not_b32_e32 v44, v0
	s_delay_alu instid0(VALU_DEP_1) | instskip(NEXT) | instid1(VALU_DEP_1)
	v_ashrrev_i32_e32 v45, 31, v44
	v_add_nc_u64_e32 v[44:45], v[42:43], v[44:45]
; %bb.74:
	s_and_not1_saveexec_b32 s0, s0
; %bb.75:
	v_add_nc_u64_e32 v[44:45], v[2:3], v[0:1]
; %bb.76:
	s_or_b32 exec_lo, exec_lo, s0
	s_delay_alu instid0(VALU_DEP_1)
	v_lshl_add_u64 v[44:45], v[44:45], 2, s[16:17]
	s_mov_b32 s0, exec_lo
	s_wait_dscnt 0x6
	global_store_b32 v[44:45], v14, off
                                        ; implicit-def: $vgpr44_vgpr45
	s_wait_xcnt 0x0
	v_cmpx_ge_u32_e64 v40, v16
	s_xor_b32 s0, exec_lo, s0
; %bb.77:
	v_xor_b32_e32 v44, 0xfffffeff, v0
	s_delay_alu instid0(VALU_DEP_1) | instskip(NEXT) | instid1(VALU_DEP_1)
	v_ashrrev_i32_e32 v45, 31, v44
	v_add_nc_u64_e32 v[44:45], v[42:43], v[44:45]
; %bb.78:
	s_and_not1_saveexec_b32 s0, s0
; %bb.79:
	v_add_nc_u64_e32 v[44:45], v[2:3], v[40:41]
; %bb.80:
	s_or_b32 exec_lo, exec_lo, s0
	s_delay_alu instid0(VALU_DEP_1)
	v_lshl_add_u64 v[44:45], v[44:45], 2, s[16:17]
	s_mov_b32 s0, exec_lo
	global_store_b32 v[44:45], v15, off
                                        ; implicit-def: $vgpr44_vgpr45
	s_wait_xcnt 0x0
	v_cmpx_ge_u32_e64 v38, v16
	s_xor_b32 s0, exec_lo, s0
; %bb.81:
	v_xor_b32_e32 v44, 0xfffffdff, v0
	s_delay_alu instid0(VALU_DEP_1) | instskip(NEXT) | instid1(VALU_DEP_1)
	v_ashrrev_i32_e32 v45, 31, v44
	v_add_nc_u64_e32 v[44:45], v[42:43], v[44:45]
; %bb.82:
	s_and_not1_saveexec_b32 s0, s0
; %bb.83:
	v_add_nc_u64_e32 v[44:45], v[2:3], v[38:39]
; %bb.84:
	s_or_b32 exec_lo, exec_lo, s0
	s_delay_alu instid0(VALU_DEP_1)
	v_lshl_add_u64 v[44:45], v[44:45], 2, s[16:17]
	s_mov_b32 s0, exec_lo
	s_wait_dscnt 0x5
	global_store_b32 v[44:45], v12, off
                                        ; implicit-def: $vgpr44_vgpr45
	s_wait_xcnt 0x0
	v_cmpx_ge_u32_e64 v36, v16
	s_xor_b32 s0, exec_lo, s0
; %bb.85:
	v_xor_b32_e32 v44, 0xfffffcff, v0
	s_delay_alu instid0(VALU_DEP_1) | instskip(NEXT) | instid1(VALU_DEP_1)
	v_ashrrev_i32_e32 v45, 31, v44
	v_add_nc_u64_e32 v[44:45], v[42:43], v[44:45]
; %bb.86:
	s_and_not1_saveexec_b32 s0, s0
; %bb.87:
	v_add_nc_u64_e32 v[44:45], v[2:3], v[36:37]
; %bb.88:
	s_or_b32 exec_lo, exec_lo, s0
	s_delay_alu instid0(VALU_DEP_1)
	v_lshl_add_u64 v[44:45], v[44:45], 2, s[16:17]
	s_mov_b32 s0, exec_lo
	global_store_b32 v[44:45], v13, off
                                        ; implicit-def: $vgpr44_vgpr45
	s_wait_xcnt 0x0
	v_cmpx_ge_u32_e64 v34, v16
	s_xor_b32 s0, exec_lo, s0
; %bb.89:
	v_xor_b32_e32 v44, 0xfffffbff, v0
	;; [unrolled: 39-line block ×6, first 2 shown]
	s_delay_alu instid0(VALU_DEP_1) | instskip(NEXT) | instid1(VALU_DEP_1)
	v_ashrrev_i32_e32 v45, 31, v44
	v_add_nc_u64_e32 v[44:45], v[42:43], v[44:45]
; %bb.122:
	s_and_not1_saveexec_b32 s0, s0
; %bb.123:
	v_add_nc_u64_e32 v[44:45], v[2:3], v[18:19]
; %bb.124:
	s_or_b32 exec_lo, exec_lo, s0
	s_mov_b32 s0, -1
	s_branch .LBB153_205
.LBB153_125:
	s_mov_b32 s0, 0
                                        ; implicit-def: $vgpr44_vgpr45
	s_cbranch_execz .LBB153_205
; %bb.126:
	s_mov_b32 s11, 0
	v_mov_b32_e32 v17, 0
	s_add_nc_u64 s[2:3], s[12:13], s[10:11]
	s_mov_b32 s1, exec_lo
	s_sub_nc_u64 s[2:3], s[14:15], s[2:3]
	s_delay_alu instid0(VALU_DEP_1) | instid1(SALU_CYCLE_1)
	v_add_nc_u64_e32 v[42:43], s[2:3], v[16:17]
	s_delay_alu instid0(VALU_DEP_1)
	v_add_nc_u64_e32 v[42:43], v[42:43], v[2:3]
	v_cmpx_gt_u32_e64 s23, v0
	s_cbranch_execz .LBB153_162
; %bb.127:
	s_mov_b32 s2, exec_lo
                                        ; implicit-def: $vgpr44_vgpr45
	v_cmpx_ge_u32_e64 v0, v16
	s_xor_b32 s2, exec_lo, s2
; %bb.128:
	v_not_b32_e32 v44, v0
	s_delay_alu instid0(VALU_DEP_1) | instskip(NEXT) | instid1(VALU_DEP_1)
	v_ashrrev_i32_e32 v45, 31, v44
	v_add_nc_u64_e32 v[44:45], v[42:43], v[44:45]
; %bb.129:
	s_and_not1_saveexec_b32 s2, s2
; %bb.130:
	v_add_nc_u64_e32 v[44:45], v[2:3], v[0:1]
; %bb.131:
	s_or_b32 exec_lo, exec_lo, s2
	s_delay_alu instid0(VALU_DEP_1) | instskip(SKIP_4) | instid1(SALU_CYCLE_1)
	v_lshl_add_u64 v[44:45], v[44:45], 2, s[16:17]
	s_wait_dscnt 0x6
	global_store_b32 v[44:45], v14, off
	s_wait_xcnt 0x0
	s_or_b32 exec_lo, exec_lo, s1
	s_mov_b32 s1, exec_lo
	v_cmpx_gt_u32_e64 s23, v40
	s_cbranch_execnz .LBB153_163
.LBB153_132:
	s_or_b32 exec_lo, exec_lo, s1
	s_delay_alu instid0(SALU_CYCLE_1)
	s_mov_b32 s1, exec_lo
	v_cmpx_gt_u32_e64 s23, v38
	s_cbranch_execz .LBB153_168
.LBB153_133:
	s_mov_b32 s2, exec_lo
                                        ; implicit-def: $vgpr14_vgpr15
	v_cmpx_ge_u32_e64 v38, v16
	s_xor_b32 s2, exec_lo, s2
	s_cbranch_execz .LBB153_135
; %bb.134:
	s_wait_dscnt 0x6
	v_xor_b32_e32 v14, 0xfffffdff, v0
                                        ; implicit-def: $vgpr38_vgpr39
	s_delay_alu instid0(VALU_DEP_1) | instskip(NEXT) | instid1(VALU_DEP_1)
	v_ashrrev_i32_e32 v15, 31, v14
	v_add_nc_u64_e32 v[14:15], v[42:43], v[14:15]
.LBB153_135:
	s_and_not1_saveexec_b32 s2, s2
	s_cbranch_execz .LBB153_137
; %bb.136:
	s_wait_dscnt 0x6
	v_add_nc_u64_e32 v[14:15], v[2:3], v[38:39]
.LBB153_137:
	s_or_b32 exec_lo, exec_lo, s2
	s_wait_dscnt 0x6
	s_delay_alu instid0(VALU_DEP_1) | instskip(SKIP_4) | instid1(SALU_CYCLE_1)
	v_lshl_add_u64 v[14:15], v[14:15], 2, s[16:17]
	s_wait_dscnt 0x5
	global_store_b32 v[14:15], v12, off
	s_wait_xcnt 0x0
	s_or_b32 exec_lo, exec_lo, s1
	s_mov_b32 s1, exec_lo
	v_cmpx_gt_u32_e64 s23, v36
	s_cbranch_execnz .LBB153_169
.LBB153_138:
	s_or_b32 exec_lo, exec_lo, s1
	s_delay_alu instid0(SALU_CYCLE_1)
	s_mov_b32 s1, exec_lo
	v_cmpx_gt_u32_e64 s23, v34
	s_cbranch_execz .LBB153_174
.LBB153_139:
	s_mov_b32 s2, exec_lo
                                        ; implicit-def: $vgpr12_vgpr13
	v_cmpx_ge_u32_e64 v34, v16
	s_xor_b32 s2, exec_lo, s2
	s_cbranch_execz .LBB153_141
; %bb.140:
	s_wait_dscnt 0x5
	v_xor_b32_e32 v12, 0xfffffbff, v0
                                        ; implicit-def: $vgpr34_vgpr35
	s_delay_alu instid0(VALU_DEP_1) | instskip(NEXT) | instid1(VALU_DEP_1)
	v_ashrrev_i32_e32 v13, 31, v12
	v_add_nc_u64_e32 v[12:13], v[42:43], v[12:13]
.LBB153_141:
	s_and_not1_saveexec_b32 s2, s2
	s_cbranch_execz .LBB153_143
; %bb.142:
	s_wait_dscnt 0x5
	v_add_nc_u64_e32 v[12:13], v[2:3], v[34:35]
.LBB153_143:
	s_or_b32 exec_lo, exec_lo, s2
	s_wait_dscnt 0x5
	s_delay_alu instid0(VALU_DEP_1) | instskip(SKIP_4) | instid1(SALU_CYCLE_1)
	v_lshl_add_u64 v[12:13], v[12:13], 2, s[16:17]
	s_wait_dscnt 0x4
	global_store_b32 v[12:13], v10, off
	s_wait_xcnt 0x0
	s_or_b32 exec_lo, exec_lo, s1
	s_mov_b32 s1, exec_lo
	v_cmpx_gt_u32_e64 s23, v32
	s_cbranch_execnz .LBB153_175
.LBB153_144:
	s_or_b32 exec_lo, exec_lo, s1
	s_delay_alu instid0(SALU_CYCLE_1)
	s_mov_b32 s1, exec_lo
	v_cmpx_gt_u32_e64 s23, v30
	s_cbranch_execz .LBB153_180
.LBB153_145:
	s_mov_b32 s2, exec_lo
                                        ; implicit-def: $vgpr10_vgpr11
	v_cmpx_ge_u32_e64 v30, v16
	s_xor_b32 s2, exec_lo, s2
	s_cbranch_execz .LBB153_147
; %bb.146:
	s_wait_dscnt 0x4
	v_xor_b32_e32 v10, 0xfffff9ff, v0
                                        ; implicit-def: $vgpr30_vgpr31
	s_delay_alu instid0(VALU_DEP_1) | instskip(NEXT) | instid1(VALU_DEP_1)
	v_ashrrev_i32_e32 v11, 31, v10
	v_add_nc_u64_e32 v[10:11], v[42:43], v[10:11]
.LBB153_147:
	s_and_not1_saveexec_b32 s2, s2
	s_cbranch_execz .LBB153_149
; %bb.148:
	s_wait_dscnt 0x4
	v_add_nc_u64_e32 v[10:11], v[2:3], v[30:31]
.LBB153_149:
	s_or_b32 exec_lo, exec_lo, s2
	s_wait_dscnt 0x4
	s_delay_alu instid0(VALU_DEP_1) | instskip(SKIP_4) | instid1(SALU_CYCLE_1)
	v_lshl_add_u64 v[10:11], v[10:11], 2, s[16:17]
	s_wait_dscnt 0x3
	global_store_b32 v[10:11], v8, off
	s_wait_xcnt 0x0
	s_or_b32 exec_lo, exec_lo, s1
	s_mov_b32 s1, exec_lo
	v_cmpx_gt_u32_e64 s23, v28
	s_cbranch_execnz .LBB153_181
.LBB153_150:
	s_or_b32 exec_lo, exec_lo, s1
	s_delay_alu instid0(SALU_CYCLE_1)
	s_mov_b32 s1, exec_lo
	v_cmpx_gt_u32_e64 s23, v26
	s_cbranch_execz .LBB153_186
.LBB153_151:
	s_mov_b32 s2, exec_lo
                                        ; implicit-def: $vgpr8_vgpr9
	v_cmpx_ge_u32_e64 v26, v16
	s_xor_b32 s2, exec_lo, s2
	s_cbranch_execz .LBB153_153
; %bb.152:
	s_wait_dscnt 0x3
	v_xor_b32_e32 v8, 0xfffff7ff, v0
                                        ; implicit-def: $vgpr26_vgpr27
	s_delay_alu instid0(VALU_DEP_1) | instskip(NEXT) | instid1(VALU_DEP_1)
	v_ashrrev_i32_e32 v9, 31, v8
	v_add_nc_u64_e32 v[8:9], v[42:43], v[8:9]
.LBB153_153:
	s_and_not1_saveexec_b32 s2, s2
	s_cbranch_execz .LBB153_155
; %bb.154:
	s_wait_dscnt 0x3
	v_add_nc_u64_e32 v[8:9], v[2:3], v[26:27]
.LBB153_155:
	s_or_b32 exec_lo, exec_lo, s2
	s_wait_dscnt 0x3
	s_delay_alu instid0(VALU_DEP_1) | instskip(SKIP_4) | instid1(SALU_CYCLE_1)
	v_lshl_add_u64 v[8:9], v[8:9], 2, s[16:17]
	s_wait_dscnt 0x2
	global_store_b32 v[8:9], v6, off
	s_wait_xcnt 0x0
	s_or_b32 exec_lo, exec_lo, s1
	s_mov_b32 s1, exec_lo
	v_cmpx_gt_u32_e64 s23, v24
	s_cbranch_execnz .LBB153_187
.LBB153_156:
	s_or_b32 exec_lo, exec_lo, s1
	s_delay_alu instid0(SALU_CYCLE_1)
	s_mov_b32 s1, exec_lo
	v_cmpx_gt_u32_e64 s23, v22
	s_cbranch_execz .LBB153_192
.LBB153_157:
	s_mov_b32 s2, exec_lo
                                        ; implicit-def: $vgpr6_vgpr7
	v_cmpx_ge_u32_e64 v22, v16
	s_xor_b32 s2, exec_lo, s2
	s_cbranch_execz .LBB153_159
; %bb.158:
	s_wait_dscnt 0x2
	v_xor_b32_e32 v6, 0xfffff5ff, v0
                                        ; implicit-def: $vgpr22_vgpr23
	s_delay_alu instid0(VALU_DEP_1) | instskip(NEXT) | instid1(VALU_DEP_1)
	v_ashrrev_i32_e32 v7, 31, v6
	v_add_nc_u64_e32 v[6:7], v[42:43], v[6:7]
.LBB153_159:
	s_and_not1_saveexec_b32 s2, s2
	s_cbranch_execz .LBB153_161
; %bb.160:
	s_wait_dscnt 0x2
	v_add_nc_u64_e32 v[6:7], v[2:3], v[22:23]
.LBB153_161:
	s_or_b32 exec_lo, exec_lo, s2
	s_wait_dscnt 0x2
	s_delay_alu instid0(VALU_DEP_1) | instskip(SKIP_4) | instid1(SALU_CYCLE_1)
	v_lshl_add_u64 v[6:7], v[6:7], 2, s[16:17]
	s_wait_dscnt 0x1
	global_store_b32 v[6:7], v4, off
	s_wait_xcnt 0x0
	s_or_b32 exec_lo, exec_lo, s1
	s_mov_b32 s1, exec_lo
	v_cmpx_gt_u32_e64 s23, v20
	s_cbranch_execz .LBB153_198
	s_branch .LBB153_193
.LBB153_162:
	s_or_b32 exec_lo, exec_lo, s1
	s_delay_alu instid0(SALU_CYCLE_1)
	s_mov_b32 s1, exec_lo
	v_cmpx_gt_u32_e64 s23, v40
	s_cbranch_execz .LBB153_132
.LBB153_163:
	s_mov_b32 s2, exec_lo
                                        ; implicit-def: $vgpr44_vgpr45
	v_cmpx_ge_u32_e64 v40, v16
	s_xor_b32 s2, exec_lo, s2
; %bb.164:
	v_xor_b32_e32 v40, 0xfffffeff, v0
	s_delay_alu instid0(VALU_DEP_1) | instskip(NEXT) | instid1(VALU_DEP_1)
	v_ashrrev_i32_e32 v41, 31, v40
	v_add_nc_u64_e32 v[44:45], v[42:43], v[40:41]
                                        ; implicit-def: $vgpr40_vgpr41
; %bb.165:
	s_and_not1_saveexec_b32 s2, s2
; %bb.166:
	v_add_nc_u64_e32 v[44:45], v[2:3], v[40:41]
; %bb.167:
	s_or_b32 exec_lo, exec_lo, s2
	s_delay_alu instid0(VALU_DEP_1) | instskip(SKIP_4) | instid1(SALU_CYCLE_1)
	v_lshl_add_u64 v[40:41], v[44:45], 2, s[16:17]
	s_wait_dscnt 0x6
	global_store_b32 v[40:41], v15, off
	s_wait_xcnt 0x0
	s_or_b32 exec_lo, exec_lo, s1
	s_mov_b32 s1, exec_lo
	v_cmpx_gt_u32_e64 s23, v38
	s_cbranch_execnz .LBB153_133
.LBB153_168:
	s_or_b32 exec_lo, exec_lo, s1
	s_delay_alu instid0(SALU_CYCLE_1)
	s_mov_b32 s1, exec_lo
	v_cmpx_gt_u32_e64 s23, v36
	s_cbranch_execz .LBB153_138
.LBB153_169:
	s_mov_b32 s2, exec_lo
                                        ; implicit-def: $vgpr14_vgpr15
	v_cmpx_ge_u32_e64 v36, v16
	s_xor_b32 s2, exec_lo, s2
	s_cbranch_execz .LBB153_171
; %bb.170:
	s_wait_dscnt 0x6
	v_xor_b32_e32 v14, 0xfffffcff, v0
                                        ; implicit-def: $vgpr36_vgpr37
	s_delay_alu instid0(VALU_DEP_1) | instskip(NEXT) | instid1(VALU_DEP_1)
	v_ashrrev_i32_e32 v15, 31, v14
	v_add_nc_u64_e32 v[14:15], v[42:43], v[14:15]
.LBB153_171:
	s_and_not1_saveexec_b32 s2, s2
	s_cbranch_execz .LBB153_173
; %bb.172:
	s_wait_dscnt 0x6
	v_add_nc_u64_e32 v[14:15], v[2:3], v[36:37]
.LBB153_173:
	s_or_b32 exec_lo, exec_lo, s2
	s_wait_dscnt 0x6
	s_delay_alu instid0(VALU_DEP_1) | instskip(SKIP_4) | instid1(SALU_CYCLE_1)
	v_lshl_add_u64 v[14:15], v[14:15], 2, s[16:17]
	s_wait_dscnt 0x5
	global_store_b32 v[14:15], v13, off
	s_wait_xcnt 0x0
	s_or_b32 exec_lo, exec_lo, s1
	s_mov_b32 s1, exec_lo
	v_cmpx_gt_u32_e64 s23, v34
	s_cbranch_execnz .LBB153_139
.LBB153_174:
	s_or_b32 exec_lo, exec_lo, s1
	s_delay_alu instid0(SALU_CYCLE_1)
	s_mov_b32 s1, exec_lo
	v_cmpx_gt_u32_e64 s23, v32
	s_cbranch_execz .LBB153_144
.LBB153_175:
	s_mov_b32 s2, exec_lo
                                        ; implicit-def: $vgpr12_vgpr13
	v_cmpx_ge_u32_e64 v32, v16
	s_xor_b32 s2, exec_lo, s2
	s_cbranch_execz .LBB153_177
; %bb.176:
	s_wait_dscnt 0x5
	v_xor_b32_e32 v12, 0xfffffaff, v0
                                        ; implicit-def: $vgpr32_vgpr33
	s_delay_alu instid0(VALU_DEP_1) | instskip(NEXT) | instid1(VALU_DEP_1)
	v_ashrrev_i32_e32 v13, 31, v12
	v_add_nc_u64_e32 v[12:13], v[42:43], v[12:13]
.LBB153_177:
	s_and_not1_saveexec_b32 s2, s2
	s_cbranch_execz .LBB153_179
; %bb.178:
	s_wait_dscnt 0x5
	v_add_nc_u64_e32 v[12:13], v[2:3], v[32:33]
.LBB153_179:
	s_or_b32 exec_lo, exec_lo, s2
	s_wait_dscnt 0x5
	s_delay_alu instid0(VALU_DEP_1) | instskip(SKIP_4) | instid1(SALU_CYCLE_1)
	v_lshl_add_u64 v[12:13], v[12:13], 2, s[16:17]
	s_wait_dscnt 0x4
	global_store_b32 v[12:13], v11, off
	s_wait_xcnt 0x0
	s_or_b32 exec_lo, exec_lo, s1
	s_mov_b32 s1, exec_lo
	v_cmpx_gt_u32_e64 s23, v30
	s_cbranch_execnz .LBB153_145
.LBB153_180:
	s_or_b32 exec_lo, exec_lo, s1
	s_delay_alu instid0(SALU_CYCLE_1)
	s_mov_b32 s1, exec_lo
	v_cmpx_gt_u32_e64 s23, v28
	s_cbranch_execz .LBB153_150
.LBB153_181:
	s_mov_b32 s2, exec_lo
                                        ; implicit-def: $vgpr10_vgpr11
	v_cmpx_ge_u32_e64 v28, v16
	s_xor_b32 s2, exec_lo, s2
	s_cbranch_execz .LBB153_183
; %bb.182:
	s_wait_dscnt 0x4
	v_xor_b32_e32 v10, 0xfffff8ff, v0
                                        ; implicit-def: $vgpr28_vgpr29
	s_delay_alu instid0(VALU_DEP_1) | instskip(NEXT) | instid1(VALU_DEP_1)
	v_ashrrev_i32_e32 v11, 31, v10
	v_add_nc_u64_e32 v[10:11], v[42:43], v[10:11]
.LBB153_183:
	s_and_not1_saveexec_b32 s2, s2
	s_cbranch_execz .LBB153_185
; %bb.184:
	s_wait_dscnt 0x4
	v_add_nc_u64_e32 v[10:11], v[2:3], v[28:29]
.LBB153_185:
	s_or_b32 exec_lo, exec_lo, s2
	s_wait_dscnt 0x4
	s_delay_alu instid0(VALU_DEP_1) | instskip(SKIP_4) | instid1(SALU_CYCLE_1)
	v_lshl_add_u64 v[10:11], v[10:11], 2, s[16:17]
	s_wait_dscnt 0x3
	global_store_b32 v[10:11], v9, off
	s_wait_xcnt 0x0
	s_or_b32 exec_lo, exec_lo, s1
	s_mov_b32 s1, exec_lo
	v_cmpx_gt_u32_e64 s23, v26
	s_cbranch_execnz .LBB153_151
.LBB153_186:
	s_or_b32 exec_lo, exec_lo, s1
	s_delay_alu instid0(SALU_CYCLE_1)
	s_mov_b32 s1, exec_lo
	v_cmpx_gt_u32_e64 s23, v24
	s_cbranch_execz .LBB153_156
.LBB153_187:
	s_mov_b32 s2, exec_lo
                                        ; implicit-def: $vgpr8_vgpr9
	v_cmpx_ge_u32_e64 v24, v16
	s_xor_b32 s2, exec_lo, s2
	s_cbranch_execz .LBB153_189
; %bb.188:
	s_wait_dscnt 0x3
	v_xor_b32_e32 v8, 0xfffff6ff, v0
                                        ; implicit-def: $vgpr24_vgpr25
	s_delay_alu instid0(VALU_DEP_1) | instskip(NEXT) | instid1(VALU_DEP_1)
	v_ashrrev_i32_e32 v9, 31, v8
	v_add_nc_u64_e32 v[8:9], v[42:43], v[8:9]
.LBB153_189:
	s_and_not1_saveexec_b32 s2, s2
	s_cbranch_execz .LBB153_191
; %bb.190:
	s_wait_dscnt 0x3
	v_add_nc_u64_e32 v[8:9], v[2:3], v[24:25]
.LBB153_191:
	s_or_b32 exec_lo, exec_lo, s2
	s_wait_dscnt 0x3
	s_delay_alu instid0(VALU_DEP_1) | instskip(SKIP_4) | instid1(SALU_CYCLE_1)
	v_lshl_add_u64 v[8:9], v[8:9], 2, s[16:17]
	s_wait_dscnt 0x2
	global_store_b32 v[8:9], v7, off
	s_wait_xcnt 0x0
	s_or_b32 exec_lo, exec_lo, s1
	s_mov_b32 s1, exec_lo
	v_cmpx_gt_u32_e64 s23, v22
	s_cbranch_execnz .LBB153_157
.LBB153_192:
	s_or_b32 exec_lo, exec_lo, s1
	s_delay_alu instid0(SALU_CYCLE_1)
	s_mov_b32 s1, exec_lo
	v_cmpx_gt_u32_e64 s23, v20
	s_cbranch_execz .LBB153_198
.LBB153_193:
	s_mov_b32 s2, exec_lo
                                        ; implicit-def: $vgpr6_vgpr7
	v_cmpx_ge_u32_e64 v20, v16
	s_xor_b32 s2, exec_lo, s2
	s_cbranch_execz .LBB153_195
; %bb.194:
	s_wait_dscnt 0x2
	v_xor_b32_e32 v6, 0xfffff4ff, v0
                                        ; implicit-def: $vgpr20_vgpr21
	s_delay_alu instid0(VALU_DEP_1) | instskip(NEXT) | instid1(VALU_DEP_1)
	v_ashrrev_i32_e32 v7, 31, v6
	v_add_nc_u64_e32 v[6:7], v[42:43], v[6:7]
.LBB153_195:
	s_and_not1_saveexec_b32 s2, s2
	s_cbranch_execz .LBB153_197
; %bb.196:
	s_wait_dscnt 0x2
	v_add_nc_u64_e32 v[6:7], v[2:3], v[20:21]
.LBB153_197:
	s_or_b32 exec_lo, exec_lo, s2
	s_wait_dscnt 0x2
	s_delay_alu instid0(VALU_DEP_1)
	v_lshl_add_u64 v[6:7], v[6:7], 2, s[16:17]
	s_wait_dscnt 0x1
	global_store_b32 v[6:7], v5, off
.LBB153_198:
	s_wait_xcnt 0x0
	s_or_b32 exec_lo, exec_lo, s1
	s_delay_alu instid0(SALU_CYCLE_1)
	s_mov_b32 s1, exec_lo
                                        ; implicit-def: $vgpr44_vgpr45
	v_cmpx_gt_u32_e64 s23, v18
	s_cbranch_execz .LBB153_204
; %bb.199:
	s_mov_b32 s2, exec_lo
                                        ; implicit-def: $vgpr44_vgpr45
	v_cmpx_ge_u32_e64 v18, v16
	s_xor_b32 s2, exec_lo, s2
	s_cbranch_execz .LBB153_201
; %bb.200:
	s_wait_dscnt 0x1
	v_xor_b32_e32 v4, 0xfffff3ff, v0
                                        ; implicit-def: $vgpr18_vgpr19
	s_delay_alu instid0(VALU_DEP_1) | instskip(NEXT) | instid1(VALU_DEP_1)
	v_ashrrev_i32_e32 v5, 31, v4
	v_add_nc_u64_e32 v[44:45], v[42:43], v[4:5]
.LBB153_201:
	s_and_not1_saveexec_b32 s2, s2
; %bb.202:
	v_add_nc_u64_e32 v[44:45], v[2:3], v[18:19]
; %bb.203:
	s_or_b32 exec_lo, exec_lo, s2
	s_delay_alu instid0(SALU_CYCLE_1)
	s_or_b32 s0, s0, exec_lo
.LBB153_204:
	s_or_b32 exec_lo, exec_lo, s1
.LBB153_205:
	s_and_saveexec_b32 s1, s0
	s_cbranch_execz .LBB153_207
; %bb.206:
	s_wait_dscnt 0x1
	v_lshl_add_u64 v[4:5], v[44:45], 2, s[16:17]
	s_wait_dscnt 0x0
	global_store_b32 v[4:5], v46, off
.LBB153_207:
	s_wait_xcnt 0x0
	s_or_b32 exec_lo, exec_lo, s1
	v_cmp_eq_u32_e32 vcc_lo, 0, v0
	s_and_b32 s0, vcc_lo, s22
	s_delay_alu instid0(SALU_CYCLE_1)
	s_and_saveexec_b32 s1, s0
	s_cbranch_execz .LBB153_209
; %bb.208:
	v_mov_b32_e32 v17, 0
	s_delay_alu instid0(VALU_DEP_1)
	v_add_nc_u64_e32 v[0:1], v[2:3], v[16:17]
	global_store_b64 v17, v[0:1], s[8:9]
.LBB153_209:
	s_sendmsg sendmsg(MSG_DEALLOC_VGPRS)
	s_endpgm
	.section	.rodata,"a",@progbits
	.p2align	6, 0x0
	.amdhsa_kernel _ZN7rocprim17ROCPRIM_400000_NS6detail17trampoline_kernelINS0_13select_configILj256ELj13ELNS0_17block_load_methodE3ELS4_3ELS4_3ELNS0_20block_scan_algorithmE0ELj4294967295EEENS1_25partition_config_selectorILNS1_17partition_subalgoE3EjNS0_10empty_typeEbEEZZNS1_14partition_implILS8_3ELb0ES6_jNS0_17counting_iteratorIjlEEPS9_SE_NS0_5tupleIJPjSE_EEENSF_IJSE_SE_EEES9_SG_JZNS1_25segmented_radix_sort_implINS0_14default_configELb0EPKhPhPKlPlN2at6native12_GLOBAL__N_18offset_tEEE10hipError_tPvRmT1_PNSt15iterator_traitsISY_E10value_typeET2_T3_PNSZ_IS14_E10value_typeET4_jRbjT5_S1A_jjP12ihipStream_tbEUljE_EEESV_SW_SX_S14_S18_S1A_T6_T7_T9_mT8_S1C_bDpT10_ENKUlT_T0_E_clISt17integral_constantIbLb0EES1P_EEDaS1K_S1L_EUlS1K_E_NS1_11comp_targetILNS1_3genE0ELNS1_11target_archE4294967295ELNS1_3gpuE0ELNS1_3repE0EEENS1_30default_config_static_selectorELNS0_4arch9wavefront6targetE0EEEvSY_
		.amdhsa_group_segment_fixed_size 13320
		.amdhsa_private_segment_fixed_size 0
		.amdhsa_kernarg_size 144
		.amdhsa_user_sgpr_count 2
		.amdhsa_user_sgpr_dispatch_ptr 0
		.amdhsa_user_sgpr_queue_ptr 0
		.amdhsa_user_sgpr_kernarg_segment_ptr 1
		.amdhsa_user_sgpr_dispatch_id 0
		.amdhsa_user_sgpr_kernarg_preload_length 0
		.amdhsa_user_sgpr_kernarg_preload_offset 0
		.amdhsa_user_sgpr_private_segment_size 0
		.amdhsa_wavefront_size32 1
		.amdhsa_uses_dynamic_stack 0
		.amdhsa_enable_private_segment 0
		.amdhsa_system_sgpr_workgroup_id_x 1
		.amdhsa_system_sgpr_workgroup_id_y 0
		.amdhsa_system_sgpr_workgroup_id_z 0
		.amdhsa_system_sgpr_workgroup_info 0
		.amdhsa_system_vgpr_workitem_id 0
		.amdhsa_next_free_vgpr 69
		.amdhsa_next_free_sgpr 26
		.amdhsa_named_barrier_count 0
		.amdhsa_reserve_vcc 1
		.amdhsa_float_round_mode_32 0
		.amdhsa_float_round_mode_16_64 0
		.amdhsa_float_denorm_mode_32 3
		.amdhsa_float_denorm_mode_16_64 3
		.amdhsa_fp16_overflow 0
		.amdhsa_memory_ordered 1
		.amdhsa_forward_progress 1
		.amdhsa_inst_pref_size 70
		.amdhsa_round_robin_scheduling 0
		.amdhsa_exception_fp_ieee_invalid_op 0
		.amdhsa_exception_fp_denorm_src 0
		.amdhsa_exception_fp_ieee_div_zero 0
		.amdhsa_exception_fp_ieee_overflow 0
		.amdhsa_exception_fp_ieee_underflow 0
		.amdhsa_exception_fp_ieee_inexact 0
		.amdhsa_exception_int_div_zero 0
	.end_amdhsa_kernel
	.section	.text._ZN7rocprim17ROCPRIM_400000_NS6detail17trampoline_kernelINS0_13select_configILj256ELj13ELNS0_17block_load_methodE3ELS4_3ELS4_3ELNS0_20block_scan_algorithmE0ELj4294967295EEENS1_25partition_config_selectorILNS1_17partition_subalgoE3EjNS0_10empty_typeEbEEZZNS1_14partition_implILS8_3ELb0ES6_jNS0_17counting_iteratorIjlEEPS9_SE_NS0_5tupleIJPjSE_EEENSF_IJSE_SE_EEES9_SG_JZNS1_25segmented_radix_sort_implINS0_14default_configELb0EPKhPhPKlPlN2at6native12_GLOBAL__N_18offset_tEEE10hipError_tPvRmT1_PNSt15iterator_traitsISY_E10value_typeET2_T3_PNSZ_IS14_E10value_typeET4_jRbjT5_S1A_jjP12ihipStream_tbEUljE_EEESV_SW_SX_S14_S18_S1A_T6_T7_T9_mT8_S1C_bDpT10_ENKUlT_T0_E_clISt17integral_constantIbLb0EES1P_EEDaS1K_S1L_EUlS1K_E_NS1_11comp_targetILNS1_3genE0ELNS1_11target_archE4294967295ELNS1_3gpuE0ELNS1_3repE0EEENS1_30default_config_static_selectorELNS0_4arch9wavefront6targetE0EEEvSY_,"axG",@progbits,_ZN7rocprim17ROCPRIM_400000_NS6detail17trampoline_kernelINS0_13select_configILj256ELj13ELNS0_17block_load_methodE3ELS4_3ELS4_3ELNS0_20block_scan_algorithmE0ELj4294967295EEENS1_25partition_config_selectorILNS1_17partition_subalgoE3EjNS0_10empty_typeEbEEZZNS1_14partition_implILS8_3ELb0ES6_jNS0_17counting_iteratorIjlEEPS9_SE_NS0_5tupleIJPjSE_EEENSF_IJSE_SE_EEES9_SG_JZNS1_25segmented_radix_sort_implINS0_14default_configELb0EPKhPhPKlPlN2at6native12_GLOBAL__N_18offset_tEEE10hipError_tPvRmT1_PNSt15iterator_traitsISY_E10value_typeET2_T3_PNSZ_IS14_E10value_typeET4_jRbjT5_S1A_jjP12ihipStream_tbEUljE_EEESV_SW_SX_S14_S18_S1A_T6_T7_T9_mT8_S1C_bDpT10_ENKUlT_T0_E_clISt17integral_constantIbLb0EES1P_EEDaS1K_S1L_EUlS1K_E_NS1_11comp_targetILNS1_3genE0ELNS1_11target_archE4294967295ELNS1_3gpuE0ELNS1_3repE0EEENS1_30default_config_static_selectorELNS0_4arch9wavefront6targetE0EEEvSY_,comdat
.Lfunc_end153:
	.size	_ZN7rocprim17ROCPRIM_400000_NS6detail17trampoline_kernelINS0_13select_configILj256ELj13ELNS0_17block_load_methodE3ELS4_3ELS4_3ELNS0_20block_scan_algorithmE0ELj4294967295EEENS1_25partition_config_selectorILNS1_17partition_subalgoE3EjNS0_10empty_typeEbEEZZNS1_14partition_implILS8_3ELb0ES6_jNS0_17counting_iteratorIjlEEPS9_SE_NS0_5tupleIJPjSE_EEENSF_IJSE_SE_EEES9_SG_JZNS1_25segmented_radix_sort_implINS0_14default_configELb0EPKhPhPKlPlN2at6native12_GLOBAL__N_18offset_tEEE10hipError_tPvRmT1_PNSt15iterator_traitsISY_E10value_typeET2_T3_PNSZ_IS14_E10value_typeET4_jRbjT5_S1A_jjP12ihipStream_tbEUljE_EEESV_SW_SX_S14_S18_S1A_T6_T7_T9_mT8_S1C_bDpT10_ENKUlT_T0_E_clISt17integral_constantIbLb0EES1P_EEDaS1K_S1L_EUlS1K_E_NS1_11comp_targetILNS1_3genE0ELNS1_11target_archE4294967295ELNS1_3gpuE0ELNS1_3repE0EEENS1_30default_config_static_selectorELNS0_4arch9wavefront6targetE0EEEvSY_, .Lfunc_end153-_ZN7rocprim17ROCPRIM_400000_NS6detail17trampoline_kernelINS0_13select_configILj256ELj13ELNS0_17block_load_methodE3ELS4_3ELS4_3ELNS0_20block_scan_algorithmE0ELj4294967295EEENS1_25partition_config_selectorILNS1_17partition_subalgoE3EjNS0_10empty_typeEbEEZZNS1_14partition_implILS8_3ELb0ES6_jNS0_17counting_iteratorIjlEEPS9_SE_NS0_5tupleIJPjSE_EEENSF_IJSE_SE_EEES9_SG_JZNS1_25segmented_radix_sort_implINS0_14default_configELb0EPKhPhPKlPlN2at6native12_GLOBAL__N_18offset_tEEE10hipError_tPvRmT1_PNSt15iterator_traitsISY_E10value_typeET2_T3_PNSZ_IS14_E10value_typeET4_jRbjT5_S1A_jjP12ihipStream_tbEUljE_EEESV_SW_SX_S14_S18_S1A_T6_T7_T9_mT8_S1C_bDpT10_ENKUlT_T0_E_clISt17integral_constantIbLb0EES1P_EEDaS1K_S1L_EUlS1K_E_NS1_11comp_targetILNS1_3genE0ELNS1_11target_archE4294967295ELNS1_3gpuE0ELNS1_3repE0EEENS1_30default_config_static_selectorELNS0_4arch9wavefront6targetE0EEEvSY_
                                        ; -- End function
	.set _ZN7rocprim17ROCPRIM_400000_NS6detail17trampoline_kernelINS0_13select_configILj256ELj13ELNS0_17block_load_methodE3ELS4_3ELS4_3ELNS0_20block_scan_algorithmE0ELj4294967295EEENS1_25partition_config_selectorILNS1_17partition_subalgoE3EjNS0_10empty_typeEbEEZZNS1_14partition_implILS8_3ELb0ES6_jNS0_17counting_iteratorIjlEEPS9_SE_NS0_5tupleIJPjSE_EEENSF_IJSE_SE_EEES9_SG_JZNS1_25segmented_radix_sort_implINS0_14default_configELb0EPKhPhPKlPlN2at6native12_GLOBAL__N_18offset_tEEE10hipError_tPvRmT1_PNSt15iterator_traitsISY_E10value_typeET2_T3_PNSZ_IS14_E10value_typeET4_jRbjT5_S1A_jjP12ihipStream_tbEUljE_EEESV_SW_SX_S14_S18_S1A_T6_T7_T9_mT8_S1C_bDpT10_ENKUlT_T0_E_clISt17integral_constantIbLb0EES1P_EEDaS1K_S1L_EUlS1K_E_NS1_11comp_targetILNS1_3genE0ELNS1_11target_archE4294967295ELNS1_3gpuE0ELNS1_3repE0EEENS1_30default_config_static_selectorELNS0_4arch9wavefront6targetE0EEEvSY_.num_vgpr, 69
	.set _ZN7rocprim17ROCPRIM_400000_NS6detail17trampoline_kernelINS0_13select_configILj256ELj13ELNS0_17block_load_methodE3ELS4_3ELS4_3ELNS0_20block_scan_algorithmE0ELj4294967295EEENS1_25partition_config_selectorILNS1_17partition_subalgoE3EjNS0_10empty_typeEbEEZZNS1_14partition_implILS8_3ELb0ES6_jNS0_17counting_iteratorIjlEEPS9_SE_NS0_5tupleIJPjSE_EEENSF_IJSE_SE_EEES9_SG_JZNS1_25segmented_radix_sort_implINS0_14default_configELb0EPKhPhPKlPlN2at6native12_GLOBAL__N_18offset_tEEE10hipError_tPvRmT1_PNSt15iterator_traitsISY_E10value_typeET2_T3_PNSZ_IS14_E10value_typeET4_jRbjT5_S1A_jjP12ihipStream_tbEUljE_EEESV_SW_SX_S14_S18_S1A_T6_T7_T9_mT8_S1C_bDpT10_ENKUlT_T0_E_clISt17integral_constantIbLb0EES1P_EEDaS1K_S1L_EUlS1K_E_NS1_11comp_targetILNS1_3genE0ELNS1_11target_archE4294967295ELNS1_3gpuE0ELNS1_3repE0EEENS1_30default_config_static_selectorELNS0_4arch9wavefront6targetE0EEEvSY_.num_agpr, 0
	.set _ZN7rocprim17ROCPRIM_400000_NS6detail17trampoline_kernelINS0_13select_configILj256ELj13ELNS0_17block_load_methodE3ELS4_3ELS4_3ELNS0_20block_scan_algorithmE0ELj4294967295EEENS1_25partition_config_selectorILNS1_17partition_subalgoE3EjNS0_10empty_typeEbEEZZNS1_14partition_implILS8_3ELb0ES6_jNS0_17counting_iteratorIjlEEPS9_SE_NS0_5tupleIJPjSE_EEENSF_IJSE_SE_EEES9_SG_JZNS1_25segmented_radix_sort_implINS0_14default_configELb0EPKhPhPKlPlN2at6native12_GLOBAL__N_18offset_tEEE10hipError_tPvRmT1_PNSt15iterator_traitsISY_E10value_typeET2_T3_PNSZ_IS14_E10value_typeET4_jRbjT5_S1A_jjP12ihipStream_tbEUljE_EEESV_SW_SX_S14_S18_S1A_T6_T7_T9_mT8_S1C_bDpT10_ENKUlT_T0_E_clISt17integral_constantIbLb0EES1P_EEDaS1K_S1L_EUlS1K_E_NS1_11comp_targetILNS1_3genE0ELNS1_11target_archE4294967295ELNS1_3gpuE0ELNS1_3repE0EEENS1_30default_config_static_selectorELNS0_4arch9wavefront6targetE0EEEvSY_.numbered_sgpr, 26
	.set _ZN7rocprim17ROCPRIM_400000_NS6detail17trampoline_kernelINS0_13select_configILj256ELj13ELNS0_17block_load_methodE3ELS4_3ELS4_3ELNS0_20block_scan_algorithmE0ELj4294967295EEENS1_25partition_config_selectorILNS1_17partition_subalgoE3EjNS0_10empty_typeEbEEZZNS1_14partition_implILS8_3ELb0ES6_jNS0_17counting_iteratorIjlEEPS9_SE_NS0_5tupleIJPjSE_EEENSF_IJSE_SE_EEES9_SG_JZNS1_25segmented_radix_sort_implINS0_14default_configELb0EPKhPhPKlPlN2at6native12_GLOBAL__N_18offset_tEEE10hipError_tPvRmT1_PNSt15iterator_traitsISY_E10value_typeET2_T3_PNSZ_IS14_E10value_typeET4_jRbjT5_S1A_jjP12ihipStream_tbEUljE_EEESV_SW_SX_S14_S18_S1A_T6_T7_T9_mT8_S1C_bDpT10_ENKUlT_T0_E_clISt17integral_constantIbLb0EES1P_EEDaS1K_S1L_EUlS1K_E_NS1_11comp_targetILNS1_3genE0ELNS1_11target_archE4294967295ELNS1_3gpuE0ELNS1_3repE0EEENS1_30default_config_static_selectorELNS0_4arch9wavefront6targetE0EEEvSY_.num_named_barrier, 0
	.set _ZN7rocprim17ROCPRIM_400000_NS6detail17trampoline_kernelINS0_13select_configILj256ELj13ELNS0_17block_load_methodE3ELS4_3ELS4_3ELNS0_20block_scan_algorithmE0ELj4294967295EEENS1_25partition_config_selectorILNS1_17partition_subalgoE3EjNS0_10empty_typeEbEEZZNS1_14partition_implILS8_3ELb0ES6_jNS0_17counting_iteratorIjlEEPS9_SE_NS0_5tupleIJPjSE_EEENSF_IJSE_SE_EEES9_SG_JZNS1_25segmented_radix_sort_implINS0_14default_configELb0EPKhPhPKlPlN2at6native12_GLOBAL__N_18offset_tEEE10hipError_tPvRmT1_PNSt15iterator_traitsISY_E10value_typeET2_T3_PNSZ_IS14_E10value_typeET4_jRbjT5_S1A_jjP12ihipStream_tbEUljE_EEESV_SW_SX_S14_S18_S1A_T6_T7_T9_mT8_S1C_bDpT10_ENKUlT_T0_E_clISt17integral_constantIbLb0EES1P_EEDaS1K_S1L_EUlS1K_E_NS1_11comp_targetILNS1_3genE0ELNS1_11target_archE4294967295ELNS1_3gpuE0ELNS1_3repE0EEENS1_30default_config_static_selectorELNS0_4arch9wavefront6targetE0EEEvSY_.private_seg_size, 0
	.set _ZN7rocprim17ROCPRIM_400000_NS6detail17trampoline_kernelINS0_13select_configILj256ELj13ELNS0_17block_load_methodE3ELS4_3ELS4_3ELNS0_20block_scan_algorithmE0ELj4294967295EEENS1_25partition_config_selectorILNS1_17partition_subalgoE3EjNS0_10empty_typeEbEEZZNS1_14partition_implILS8_3ELb0ES6_jNS0_17counting_iteratorIjlEEPS9_SE_NS0_5tupleIJPjSE_EEENSF_IJSE_SE_EEES9_SG_JZNS1_25segmented_radix_sort_implINS0_14default_configELb0EPKhPhPKlPlN2at6native12_GLOBAL__N_18offset_tEEE10hipError_tPvRmT1_PNSt15iterator_traitsISY_E10value_typeET2_T3_PNSZ_IS14_E10value_typeET4_jRbjT5_S1A_jjP12ihipStream_tbEUljE_EEESV_SW_SX_S14_S18_S1A_T6_T7_T9_mT8_S1C_bDpT10_ENKUlT_T0_E_clISt17integral_constantIbLb0EES1P_EEDaS1K_S1L_EUlS1K_E_NS1_11comp_targetILNS1_3genE0ELNS1_11target_archE4294967295ELNS1_3gpuE0ELNS1_3repE0EEENS1_30default_config_static_selectorELNS0_4arch9wavefront6targetE0EEEvSY_.uses_vcc, 1
	.set _ZN7rocprim17ROCPRIM_400000_NS6detail17trampoline_kernelINS0_13select_configILj256ELj13ELNS0_17block_load_methodE3ELS4_3ELS4_3ELNS0_20block_scan_algorithmE0ELj4294967295EEENS1_25partition_config_selectorILNS1_17partition_subalgoE3EjNS0_10empty_typeEbEEZZNS1_14partition_implILS8_3ELb0ES6_jNS0_17counting_iteratorIjlEEPS9_SE_NS0_5tupleIJPjSE_EEENSF_IJSE_SE_EEES9_SG_JZNS1_25segmented_radix_sort_implINS0_14default_configELb0EPKhPhPKlPlN2at6native12_GLOBAL__N_18offset_tEEE10hipError_tPvRmT1_PNSt15iterator_traitsISY_E10value_typeET2_T3_PNSZ_IS14_E10value_typeET4_jRbjT5_S1A_jjP12ihipStream_tbEUljE_EEESV_SW_SX_S14_S18_S1A_T6_T7_T9_mT8_S1C_bDpT10_ENKUlT_T0_E_clISt17integral_constantIbLb0EES1P_EEDaS1K_S1L_EUlS1K_E_NS1_11comp_targetILNS1_3genE0ELNS1_11target_archE4294967295ELNS1_3gpuE0ELNS1_3repE0EEENS1_30default_config_static_selectorELNS0_4arch9wavefront6targetE0EEEvSY_.uses_flat_scratch, 0
	.set _ZN7rocprim17ROCPRIM_400000_NS6detail17trampoline_kernelINS0_13select_configILj256ELj13ELNS0_17block_load_methodE3ELS4_3ELS4_3ELNS0_20block_scan_algorithmE0ELj4294967295EEENS1_25partition_config_selectorILNS1_17partition_subalgoE3EjNS0_10empty_typeEbEEZZNS1_14partition_implILS8_3ELb0ES6_jNS0_17counting_iteratorIjlEEPS9_SE_NS0_5tupleIJPjSE_EEENSF_IJSE_SE_EEES9_SG_JZNS1_25segmented_radix_sort_implINS0_14default_configELb0EPKhPhPKlPlN2at6native12_GLOBAL__N_18offset_tEEE10hipError_tPvRmT1_PNSt15iterator_traitsISY_E10value_typeET2_T3_PNSZ_IS14_E10value_typeET4_jRbjT5_S1A_jjP12ihipStream_tbEUljE_EEESV_SW_SX_S14_S18_S1A_T6_T7_T9_mT8_S1C_bDpT10_ENKUlT_T0_E_clISt17integral_constantIbLb0EES1P_EEDaS1K_S1L_EUlS1K_E_NS1_11comp_targetILNS1_3genE0ELNS1_11target_archE4294967295ELNS1_3gpuE0ELNS1_3repE0EEENS1_30default_config_static_selectorELNS0_4arch9wavefront6targetE0EEEvSY_.has_dyn_sized_stack, 0
	.set _ZN7rocprim17ROCPRIM_400000_NS6detail17trampoline_kernelINS0_13select_configILj256ELj13ELNS0_17block_load_methodE3ELS4_3ELS4_3ELNS0_20block_scan_algorithmE0ELj4294967295EEENS1_25partition_config_selectorILNS1_17partition_subalgoE3EjNS0_10empty_typeEbEEZZNS1_14partition_implILS8_3ELb0ES6_jNS0_17counting_iteratorIjlEEPS9_SE_NS0_5tupleIJPjSE_EEENSF_IJSE_SE_EEES9_SG_JZNS1_25segmented_radix_sort_implINS0_14default_configELb0EPKhPhPKlPlN2at6native12_GLOBAL__N_18offset_tEEE10hipError_tPvRmT1_PNSt15iterator_traitsISY_E10value_typeET2_T3_PNSZ_IS14_E10value_typeET4_jRbjT5_S1A_jjP12ihipStream_tbEUljE_EEESV_SW_SX_S14_S18_S1A_T6_T7_T9_mT8_S1C_bDpT10_ENKUlT_T0_E_clISt17integral_constantIbLb0EES1P_EEDaS1K_S1L_EUlS1K_E_NS1_11comp_targetILNS1_3genE0ELNS1_11target_archE4294967295ELNS1_3gpuE0ELNS1_3repE0EEENS1_30default_config_static_selectorELNS0_4arch9wavefront6targetE0EEEvSY_.has_recursion, 0
	.set _ZN7rocprim17ROCPRIM_400000_NS6detail17trampoline_kernelINS0_13select_configILj256ELj13ELNS0_17block_load_methodE3ELS4_3ELS4_3ELNS0_20block_scan_algorithmE0ELj4294967295EEENS1_25partition_config_selectorILNS1_17partition_subalgoE3EjNS0_10empty_typeEbEEZZNS1_14partition_implILS8_3ELb0ES6_jNS0_17counting_iteratorIjlEEPS9_SE_NS0_5tupleIJPjSE_EEENSF_IJSE_SE_EEES9_SG_JZNS1_25segmented_radix_sort_implINS0_14default_configELb0EPKhPhPKlPlN2at6native12_GLOBAL__N_18offset_tEEE10hipError_tPvRmT1_PNSt15iterator_traitsISY_E10value_typeET2_T3_PNSZ_IS14_E10value_typeET4_jRbjT5_S1A_jjP12ihipStream_tbEUljE_EEESV_SW_SX_S14_S18_S1A_T6_T7_T9_mT8_S1C_bDpT10_ENKUlT_T0_E_clISt17integral_constantIbLb0EES1P_EEDaS1K_S1L_EUlS1K_E_NS1_11comp_targetILNS1_3genE0ELNS1_11target_archE4294967295ELNS1_3gpuE0ELNS1_3repE0EEENS1_30default_config_static_selectorELNS0_4arch9wavefront6targetE0EEEvSY_.has_indirect_call, 0
	.section	.AMDGPU.csdata,"",@progbits
; Kernel info:
; codeLenInByte = 8920
; TotalNumSgprs: 28
; NumVgprs: 69
; ScratchSize: 0
; MemoryBound: 0
; FloatMode: 240
; IeeeMode: 1
; LDSByteSize: 13320 bytes/workgroup (compile time only)
; SGPRBlocks: 0
; VGPRBlocks: 4
; NumSGPRsForWavesPerEU: 28
; NumVGPRsForWavesPerEU: 69
; NamedBarCnt: 0
; Occupancy: 12
; WaveLimiterHint : 0
; COMPUTE_PGM_RSRC2:SCRATCH_EN: 0
; COMPUTE_PGM_RSRC2:USER_SGPR: 2
; COMPUTE_PGM_RSRC2:TRAP_HANDLER: 0
; COMPUTE_PGM_RSRC2:TGID_X_EN: 1
; COMPUTE_PGM_RSRC2:TGID_Y_EN: 0
; COMPUTE_PGM_RSRC2:TGID_Z_EN: 0
; COMPUTE_PGM_RSRC2:TIDIG_COMP_CNT: 0
	.section	.text._ZN7rocprim17ROCPRIM_400000_NS6detail17trampoline_kernelINS0_13select_configILj256ELj13ELNS0_17block_load_methodE3ELS4_3ELS4_3ELNS0_20block_scan_algorithmE0ELj4294967295EEENS1_25partition_config_selectorILNS1_17partition_subalgoE3EjNS0_10empty_typeEbEEZZNS1_14partition_implILS8_3ELb0ES6_jNS0_17counting_iteratorIjlEEPS9_SE_NS0_5tupleIJPjSE_EEENSF_IJSE_SE_EEES9_SG_JZNS1_25segmented_radix_sort_implINS0_14default_configELb0EPKhPhPKlPlN2at6native12_GLOBAL__N_18offset_tEEE10hipError_tPvRmT1_PNSt15iterator_traitsISY_E10value_typeET2_T3_PNSZ_IS14_E10value_typeET4_jRbjT5_S1A_jjP12ihipStream_tbEUljE_EEESV_SW_SX_S14_S18_S1A_T6_T7_T9_mT8_S1C_bDpT10_ENKUlT_T0_E_clISt17integral_constantIbLb0EES1P_EEDaS1K_S1L_EUlS1K_E_NS1_11comp_targetILNS1_3genE5ELNS1_11target_archE942ELNS1_3gpuE9ELNS1_3repE0EEENS1_30default_config_static_selectorELNS0_4arch9wavefront6targetE0EEEvSY_,"axG",@progbits,_ZN7rocprim17ROCPRIM_400000_NS6detail17trampoline_kernelINS0_13select_configILj256ELj13ELNS0_17block_load_methodE3ELS4_3ELS4_3ELNS0_20block_scan_algorithmE0ELj4294967295EEENS1_25partition_config_selectorILNS1_17partition_subalgoE3EjNS0_10empty_typeEbEEZZNS1_14partition_implILS8_3ELb0ES6_jNS0_17counting_iteratorIjlEEPS9_SE_NS0_5tupleIJPjSE_EEENSF_IJSE_SE_EEES9_SG_JZNS1_25segmented_radix_sort_implINS0_14default_configELb0EPKhPhPKlPlN2at6native12_GLOBAL__N_18offset_tEEE10hipError_tPvRmT1_PNSt15iterator_traitsISY_E10value_typeET2_T3_PNSZ_IS14_E10value_typeET4_jRbjT5_S1A_jjP12ihipStream_tbEUljE_EEESV_SW_SX_S14_S18_S1A_T6_T7_T9_mT8_S1C_bDpT10_ENKUlT_T0_E_clISt17integral_constantIbLb0EES1P_EEDaS1K_S1L_EUlS1K_E_NS1_11comp_targetILNS1_3genE5ELNS1_11target_archE942ELNS1_3gpuE9ELNS1_3repE0EEENS1_30default_config_static_selectorELNS0_4arch9wavefront6targetE0EEEvSY_,comdat
	.globl	_ZN7rocprim17ROCPRIM_400000_NS6detail17trampoline_kernelINS0_13select_configILj256ELj13ELNS0_17block_load_methodE3ELS4_3ELS4_3ELNS0_20block_scan_algorithmE0ELj4294967295EEENS1_25partition_config_selectorILNS1_17partition_subalgoE3EjNS0_10empty_typeEbEEZZNS1_14partition_implILS8_3ELb0ES6_jNS0_17counting_iteratorIjlEEPS9_SE_NS0_5tupleIJPjSE_EEENSF_IJSE_SE_EEES9_SG_JZNS1_25segmented_radix_sort_implINS0_14default_configELb0EPKhPhPKlPlN2at6native12_GLOBAL__N_18offset_tEEE10hipError_tPvRmT1_PNSt15iterator_traitsISY_E10value_typeET2_T3_PNSZ_IS14_E10value_typeET4_jRbjT5_S1A_jjP12ihipStream_tbEUljE_EEESV_SW_SX_S14_S18_S1A_T6_T7_T9_mT8_S1C_bDpT10_ENKUlT_T0_E_clISt17integral_constantIbLb0EES1P_EEDaS1K_S1L_EUlS1K_E_NS1_11comp_targetILNS1_3genE5ELNS1_11target_archE942ELNS1_3gpuE9ELNS1_3repE0EEENS1_30default_config_static_selectorELNS0_4arch9wavefront6targetE0EEEvSY_ ; -- Begin function _ZN7rocprim17ROCPRIM_400000_NS6detail17trampoline_kernelINS0_13select_configILj256ELj13ELNS0_17block_load_methodE3ELS4_3ELS4_3ELNS0_20block_scan_algorithmE0ELj4294967295EEENS1_25partition_config_selectorILNS1_17partition_subalgoE3EjNS0_10empty_typeEbEEZZNS1_14partition_implILS8_3ELb0ES6_jNS0_17counting_iteratorIjlEEPS9_SE_NS0_5tupleIJPjSE_EEENSF_IJSE_SE_EEES9_SG_JZNS1_25segmented_radix_sort_implINS0_14default_configELb0EPKhPhPKlPlN2at6native12_GLOBAL__N_18offset_tEEE10hipError_tPvRmT1_PNSt15iterator_traitsISY_E10value_typeET2_T3_PNSZ_IS14_E10value_typeET4_jRbjT5_S1A_jjP12ihipStream_tbEUljE_EEESV_SW_SX_S14_S18_S1A_T6_T7_T9_mT8_S1C_bDpT10_ENKUlT_T0_E_clISt17integral_constantIbLb0EES1P_EEDaS1K_S1L_EUlS1K_E_NS1_11comp_targetILNS1_3genE5ELNS1_11target_archE942ELNS1_3gpuE9ELNS1_3repE0EEENS1_30default_config_static_selectorELNS0_4arch9wavefront6targetE0EEEvSY_
	.p2align	8
	.type	_ZN7rocprim17ROCPRIM_400000_NS6detail17trampoline_kernelINS0_13select_configILj256ELj13ELNS0_17block_load_methodE3ELS4_3ELS4_3ELNS0_20block_scan_algorithmE0ELj4294967295EEENS1_25partition_config_selectorILNS1_17partition_subalgoE3EjNS0_10empty_typeEbEEZZNS1_14partition_implILS8_3ELb0ES6_jNS0_17counting_iteratorIjlEEPS9_SE_NS0_5tupleIJPjSE_EEENSF_IJSE_SE_EEES9_SG_JZNS1_25segmented_radix_sort_implINS0_14default_configELb0EPKhPhPKlPlN2at6native12_GLOBAL__N_18offset_tEEE10hipError_tPvRmT1_PNSt15iterator_traitsISY_E10value_typeET2_T3_PNSZ_IS14_E10value_typeET4_jRbjT5_S1A_jjP12ihipStream_tbEUljE_EEESV_SW_SX_S14_S18_S1A_T6_T7_T9_mT8_S1C_bDpT10_ENKUlT_T0_E_clISt17integral_constantIbLb0EES1P_EEDaS1K_S1L_EUlS1K_E_NS1_11comp_targetILNS1_3genE5ELNS1_11target_archE942ELNS1_3gpuE9ELNS1_3repE0EEENS1_30default_config_static_selectorELNS0_4arch9wavefront6targetE0EEEvSY_,@function
_ZN7rocprim17ROCPRIM_400000_NS6detail17trampoline_kernelINS0_13select_configILj256ELj13ELNS0_17block_load_methodE3ELS4_3ELS4_3ELNS0_20block_scan_algorithmE0ELj4294967295EEENS1_25partition_config_selectorILNS1_17partition_subalgoE3EjNS0_10empty_typeEbEEZZNS1_14partition_implILS8_3ELb0ES6_jNS0_17counting_iteratorIjlEEPS9_SE_NS0_5tupleIJPjSE_EEENSF_IJSE_SE_EEES9_SG_JZNS1_25segmented_radix_sort_implINS0_14default_configELb0EPKhPhPKlPlN2at6native12_GLOBAL__N_18offset_tEEE10hipError_tPvRmT1_PNSt15iterator_traitsISY_E10value_typeET2_T3_PNSZ_IS14_E10value_typeET4_jRbjT5_S1A_jjP12ihipStream_tbEUljE_EEESV_SW_SX_S14_S18_S1A_T6_T7_T9_mT8_S1C_bDpT10_ENKUlT_T0_E_clISt17integral_constantIbLb0EES1P_EEDaS1K_S1L_EUlS1K_E_NS1_11comp_targetILNS1_3genE5ELNS1_11target_archE942ELNS1_3gpuE9ELNS1_3repE0EEENS1_30default_config_static_selectorELNS0_4arch9wavefront6targetE0EEEvSY_: ; @_ZN7rocprim17ROCPRIM_400000_NS6detail17trampoline_kernelINS0_13select_configILj256ELj13ELNS0_17block_load_methodE3ELS4_3ELS4_3ELNS0_20block_scan_algorithmE0ELj4294967295EEENS1_25partition_config_selectorILNS1_17partition_subalgoE3EjNS0_10empty_typeEbEEZZNS1_14partition_implILS8_3ELb0ES6_jNS0_17counting_iteratorIjlEEPS9_SE_NS0_5tupleIJPjSE_EEENSF_IJSE_SE_EEES9_SG_JZNS1_25segmented_radix_sort_implINS0_14default_configELb0EPKhPhPKlPlN2at6native12_GLOBAL__N_18offset_tEEE10hipError_tPvRmT1_PNSt15iterator_traitsISY_E10value_typeET2_T3_PNSZ_IS14_E10value_typeET4_jRbjT5_S1A_jjP12ihipStream_tbEUljE_EEESV_SW_SX_S14_S18_S1A_T6_T7_T9_mT8_S1C_bDpT10_ENKUlT_T0_E_clISt17integral_constantIbLb0EES1P_EEDaS1K_S1L_EUlS1K_E_NS1_11comp_targetILNS1_3genE5ELNS1_11target_archE942ELNS1_3gpuE9ELNS1_3repE0EEENS1_30default_config_static_selectorELNS0_4arch9wavefront6targetE0EEEvSY_
; %bb.0:
	.section	.rodata,"a",@progbits
	.p2align	6, 0x0
	.amdhsa_kernel _ZN7rocprim17ROCPRIM_400000_NS6detail17trampoline_kernelINS0_13select_configILj256ELj13ELNS0_17block_load_methodE3ELS4_3ELS4_3ELNS0_20block_scan_algorithmE0ELj4294967295EEENS1_25partition_config_selectorILNS1_17partition_subalgoE3EjNS0_10empty_typeEbEEZZNS1_14partition_implILS8_3ELb0ES6_jNS0_17counting_iteratorIjlEEPS9_SE_NS0_5tupleIJPjSE_EEENSF_IJSE_SE_EEES9_SG_JZNS1_25segmented_radix_sort_implINS0_14default_configELb0EPKhPhPKlPlN2at6native12_GLOBAL__N_18offset_tEEE10hipError_tPvRmT1_PNSt15iterator_traitsISY_E10value_typeET2_T3_PNSZ_IS14_E10value_typeET4_jRbjT5_S1A_jjP12ihipStream_tbEUljE_EEESV_SW_SX_S14_S18_S1A_T6_T7_T9_mT8_S1C_bDpT10_ENKUlT_T0_E_clISt17integral_constantIbLb0EES1P_EEDaS1K_S1L_EUlS1K_E_NS1_11comp_targetILNS1_3genE5ELNS1_11target_archE942ELNS1_3gpuE9ELNS1_3repE0EEENS1_30default_config_static_selectorELNS0_4arch9wavefront6targetE0EEEvSY_
		.amdhsa_group_segment_fixed_size 0
		.amdhsa_private_segment_fixed_size 0
		.amdhsa_kernarg_size 144
		.amdhsa_user_sgpr_count 2
		.amdhsa_user_sgpr_dispatch_ptr 0
		.amdhsa_user_sgpr_queue_ptr 0
		.amdhsa_user_sgpr_kernarg_segment_ptr 1
		.amdhsa_user_sgpr_dispatch_id 0
		.amdhsa_user_sgpr_kernarg_preload_length 0
		.amdhsa_user_sgpr_kernarg_preload_offset 0
		.amdhsa_user_sgpr_private_segment_size 0
		.amdhsa_wavefront_size32 1
		.amdhsa_uses_dynamic_stack 0
		.amdhsa_enable_private_segment 0
		.amdhsa_system_sgpr_workgroup_id_x 1
		.amdhsa_system_sgpr_workgroup_id_y 0
		.amdhsa_system_sgpr_workgroup_id_z 0
		.amdhsa_system_sgpr_workgroup_info 0
		.amdhsa_system_vgpr_workitem_id 0
		.amdhsa_next_free_vgpr 1
		.amdhsa_next_free_sgpr 1
		.amdhsa_named_barrier_count 0
		.amdhsa_reserve_vcc 0
		.amdhsa_float_round_mode_32 0
		.amdhsa_float_round_mode_16_64 0
		.amdhsa_float_denorm_mode_32 3
		.amdhsa_float_denorm_mode_16_64 3
		.amdhsa_fp16_overflow 0
		.amdhsa_memory_ordered 1
		.amdhsa_forward_progress 1
		.amdhsa_inst_pref_size 0
		.amdhsa_round_robin_scheduling 0
		.amdhsa_exception_fp_ieee_invalid_op 0
		.amdhsa_exception_fp_denorm_src 0
		.amdhsa_exception_fp_ieee_div_zero 0
		.amdhsa_exception_fp_ieee_overflow 0
		.amdhsa_exception_fp_ieee_underflow 0
		.amdhsa_exception_fp_ieee_inexact 0
		.amdhsa_exception_int_div_zero 0
	.end_amdhsa_kernel
	.section	.text._ZN7rocprim17ROCPRIM_400000_NS6detail17trampoline_kernelINS0_13select_configILj256ELj13ELNS0_17block_load_methodE3ELS4_3ELS4_3ELNS0_20block_scan_algorithmE0ELj4294967295EEENS1_25partition_config_selectorILNS1_17partition_subalgoE3EjNS0_10empty_typeEbEEZZNS1_14partition_implILS8_3ELb0ES6_jNS0_17counting_iteratorIjlEEPS9_SE_NS0_5tupleIJPjSE_EEENSF_IJSE_SE_EEES9_SG_JZNS1_25segmented_radix_sort_implINS0_14default_configELb0EPKhPhPKlPlN2at6native12_GLOBAL__N_18offset_tEEE10hipError_tPvRmT1_PNSt15iterator_traitsISY_E10value_typeET2_T3_PNSZ_IS14_E10value_typeET4_jRbjT5_S1A_jjP12ihipStream_tbEUljE_EEESV_SW_SX_S14_S18_S1A_T6_T7_T9_mT8_S1C_bDpT10_ENKUlT_T0_E_clISt17integral_constantIbLb0EES1P_EEDaS1K_S1L_EUlS1K_E_NS1_11comp_targetILNS1_3genE5ELNS1_11target_archE942ELNS1_3gpuE9ELNS1_3repE0EEENS1_30default_config_static_selectorELNS0_4arch9wavefront6targetE0EEEvSY_,"axG",@progbits,_ZN7rocprim17ROCPRIM_400000_NS6detail17trampoline_kernelINS0_13select_configILj256ELj13ELNS0_17block_load_methodE3ELS4_3ELS4_3ELNS0_20block_scan_algorithmE0ELj4294967295EEENS1_25partition_config_selectorILNS1_17partition_subalgoE3EjNS0_10empty_typeEbEEZZNS1_14partition_implILS8_3ELb0ES6_jNS0_17counting_iteratorIjlEEPS9_SE_NS0_5tupleIJPjSE_EEENSF_IJSE_SE_EEES9_SG_JZNS1_25segmented_radix_sort_implINS0_14default_configELb0EPKhPhPKlPlN2at6native12_GLOBAL__N_18offset_tEEE10hipError_tPvRmT1_PNSt15iterator_traitsISY_E10value_typeET2_T3_PNSZ_IS14_E10value_typeET4_jRbjT5_S1A_jjP12ihipStream_tbEUljE_EEESV_SW_SX_S14_S18_S1A_T6_T7_T9_mT8_S1C_bDpT10_ENKUlT_T0_E_clISt17integral_constantIbLb0EES1P_EEDaS1K_S1L_EUlS1K_E_NS1_11comp_targetILNS1_3genE5ELNS1_11target_archE942ELNS1_3gpuE9ELNS1_3repE0EEENS1_30default_config_static_selectorELNS0_4arch9wavefront6targetE0EEEvSY_,comdat
.Lfunc_end154:
	.size	_ZN7rocprim17ROCPRIM_400000_NS6detail17trampoline_kernelINS0_13select_configILj256ELj13ELNS0_17block_load_methodE3ELS4_3ELS4_3ELNS0_20block_scan_algorithmE0ELj4294967295EEENS1_25partition_config_selectorILNS1_17partition_subalgoE3EjNS0_10empty_typeEbEEZZNS1_14partition_implILS8_3ELb0ES6_jNS0_17counting_iteratorIjlEEPS9_SE_NS0_5tupleIJPjSE_EEENSF_IJSE_SE_EEES9_SG_JZNS1_25segmented_radix_sort_implINS0_14default_configELb0EPKhPhPKlPlN2at6native12_GLOBAL__N_18offset_tEEE10hipError_tPvRmT1_PNSt15iterator_traitsISY_E10value_typeET2_T3_PNSZ_IS14_E10value_typeET4_jRbjT5_S1A_jjP12ihipStream_tbEUljE_EEESV_SW_SX_S14_S18_S1A_T6_T7_T9_mT8_S1C_bDpT10_ENKUlT_T0_E_clISt17integral_constantIbLb0EES1P_EEDaS1K_S1L_EUlS1K_E_NS1_11comp_targetILNS1_3genE5ELNS1_11target_archE942ELNS1_3gpuE9ELNS1_3repE0EEENS1_30default_config_static_selectorELNS0_4arch9wavefront6targetE0EEEvSY_, .Lfunc_end154-_ZN7rocprim17ROCPRIM_400000_NS6detail17trampoline_kernelINS0_13select_configILj256ELj13ELNS0_17block_load_methodE3ELS4_3ELS4_3ELNS0_20block_scan_algorithmE0ELj4294967295EEENS1_25partition_config_selectorILNS1_17partition_subalgoE3EjNS0_10empty_typeEbEEZZNS1_14partition_implILS8_3ELb0ES6_jNS0_17counting_iteratorIjlEEPS9_SE_NS0_5tupleIJPjSE_EEENSF_IJSE_SE_EEES9_SG_JZNS1_25segmented_radix_sort_implINS0_14default_configELb0EPKhPhPKlPlN2at6native12_GLOBAL__N_18offset_tEEE10hipError_tPvRmT1_PNSt15iterator_traitsISY_E10value_typeET2_T3_PNSZ_IS14_E10value_typeET4_jRbjT5_S1A_jjP12ihipStream_tbEUljE_EEESV_SW_SX_S14_S18_S1A_T6_T7_T9_mT8_S1C_bDpT10_ENKUlT_T0_E_clISt17integral_constantIbLb0EES1P_EEDaS1K_S1L_EUlS1K_E_NS1_11comp_targetILNS1_3genE5ELNS1_11target_archE942ELNS1_3gpuE9ELNS1_3repE0EEENS1_30default_config_static_selectorELNS0_4arch9wavefront6targetE0EEEvSY_
                                        ; -- End function
	.set _ZN7rocprim17ROCPRIM_400000_NS6detail17trampoline_kernelINS0_13select_configILj256ELj13ELNS0_17block_load_methodE3ELS4_3ELS4_3ELNS0_20block_scan_algorithmE0ELj4294967295EEENS1_25partition_config_selectorILNS1_17partition_subalgoE3EjNS0_10empty_typeEbEEZZNS1_14partition_implILS8_3ELb0ES6_jNS0_17counting_iteratorIjlEEPS9_SE_NS0_5tupleIJPjSE_EEENSF_IJSE_SE_EEES9_SG_JZNS1_25segmented_radix_sort_implINS0_14default_configELb0EPKhPhPKlPlN2at6native12_GLOBAL__N_18offset_tEEE10hipError_tPvRmT1_PNSt15iterator_traitsISY_E10value_typeET2_T3_PNSZ_IS14_E10value_typeET4_jRbjT5_S1A_jjP12ihipStream_tbEUljE_EEESV_SW_SX_S14_S18_S1A_T6_T7_T9_mT8_S1C_bDpT10_ENKUlT_T0_E_clISt17integral_constantIbLb0EES1P_EEDaS1K_S1L_EUlS1K_E_NS1_11comp_targetILNS1_3genE5ELNS1_11target_archE942ELNS1_3gpuE9ELNS1_3repE0EEENS1_30default_config_static_selectorELNS0_4arch9wavefront6targetE0EEEvSY_.num_vgpr, 0
	.set _ZN7rocprim17ROCPRIM_400000_NS6detail17trampoline_kernelINS0_13select_configILj256ELj13ELNS0_17block_load_methodE3ELS4_3ELS4_3ELNS0_20block_scan_algorithmE0ELj4294967295EEENS1_25partition_config_selectorILNS1_17partition_subalgoE3EjNS0_10empty_typeEbEEZZNS1_14partition_implILS8_3ELb0ES6_jNS0_17counting_iteratorIjlEEPS9_SE_NS0_5tupleIJPjSE_EEENSF_IJSE_SE_EEES9_SG_JZNS1_25segmented_radix_sort_implINS0_14default_configELb0EPKhPhPKlPlN2at6native12_GLOBAL__N_18offset_tEEE10hipError_tPvRmT1_PNSt15iterator_traitsISY_E10value_typeET2_T3_PNSZ_IS14_E10value_typeET4_jRbjT5_S1A_jjP12ihipStream_tbEUljE_EEESV_SW_SX_S14_S18_S1A_T6_T7_T9_mT8_S1C_bDpT10_ENKUlT_T0_E_clISt17integral_constantIbLb0EES1P_EEDaS1K_S1L_EUlS1K_E_NS1_11comp_targetILNS1_3genE5ELNS1_11target_archE942ELNS1_3gpuE9ELNS1_3repE0EEENS1_30default_config_static_selectorELNS0_4arch9wavefront6targetE0EEEvSY_.num_agpr, 0
	.set _ZN7rocprim17ROCPRIM_400000_NS6detail17trampoline_kernelINS0_13select_configILj256ELj13ELNS0_17block_load_methodE3ELS4_3ELS4_3ELNS0_20block_scan_algorithmE0ELj4294967295EEENS1_25partition_config_selectorILNS1_17partition_subalgoE3EjNS0_10empty_typeEbEEZZNS1_14partition_implILS8_3ELb0ES6_jNS0_17counting_iteratorIjlEEPS9_SE_NS0_5tupleIJPjSE_EEENSF_IJSE_SE_EEES9_SG_JZNS1_25segmented_radix_sort_implINS0_14default_configELb0EPKhPhPKlPlN2at6native12_GLOBAL__N_18offset_tEEE10hipError_tPvRmT1_PNSt15iterator_traitsISY_E10value_typeET2_T3_PNSZ_IS14_E10value_typeET4_jRbjT5_S1A_jjP12ihipStream_tbEUljE_EEESV_SW_SX_S14_S18_S1A_T6_T7_T9_mT8_S1C_bDpT10_ENKUlT_T0_E_clISt17integral_constantIbLb0EES1P_EEDaS1K_S1L_EUlS1K_E_NS1_11comp_targetILNS1_3genE5ELNS1_11target_archE942ELNS1_3gpuE9ELNS1_3repE0EEENS1_30default_config_static_selectorELNS0_4arch9wavefront6targetE0EEEvSY_.numbered_sgpr, 0
	.set _ZN7rocprim17ROCPRIM_400000_NS6detail17trampoline_kernelINS0_13select_configILj256ELj13ELNS0_17block_load_methodE3ELS4_3ELS4_3ELNS0_20block_scan_algorithmE0ELj4294967295EEENS1_25partition_config_selectorILNS1_17partition_subalgoE3EjNS0_10empty_typeEbEEZZNS1_14partition_implILS8_3ELb0ES6_jNS0_17counting_iteratorIjlEEPS9_SE_NS0_5tupleIJPjSE_EEENSF_IJSE_SE_EEES9_SG_JZNS1_25segmented_radix_sort_implINS0_14default_configELb0EPKhPhPKlPlN2at6native12_GLOBAL__N_18offset_tEEE10hipError_tPvRmT1_PNSt15iterator_traitsISY_E10value_typeET2_T3_PNSZ_IS14_E10value_typeET4_jRbjT5_S1A_jjP12ihipStream_tbEUljE_EEESV_SW_SX_S14_S18_S1A_T6_T7_T9_mT8_S1C_bDpT10_ENKUlT_T0_E_clISt17integral_constantIbLb0EES1P_EEDaS1K_S1L_EUlS1K_E_NS1_11comp_targetILNS1_3genE5ELNS1_11target_archE942ELNS1_3gpuE9ELNS1_3repE0EEENS1_30default_config_static_selectorELNS0_4arch9wavefront6targetE0EEEvSY_.num_named_barrier, 0
	.set _ZN7rocprim17ROCPRIM_400000_NS6detail17trampoline_kernelINS0_13select_configILj256ELj13ELNS0_17block_load_methodE3ELS4_3ELS4_3ELNS0_20block_scan_algorithmE0ELj4294967295EEENS1_25partition_config_selectorILNS1_17partition_subalgoE3EjNS0_10empty_typeEbEEZZNS1_14partition_implILS8_3ELb0ES6_jNS0_17counting_iteratorIjlEEPS9_SE_NS0_5tupleIJPjSE_EEENSF_IJSE_SE_EEES9_SG_JZNS1_25segmented_radix_sort_implINS0_14default_configELb0EPKhPhPKlPlN2at6native12_GLOBAL__N_18offset_tEEE10hipError_tPvRmT1_PNSt15iterator_traitsISY_E10value_typeET2_T3_PNSZ_IS14_E10value_typeET4_jRbjT5_S1A_jjP12ihipStream_tbEUljE_EEESV_SW_SX_S14_S18_S1A_T6_T7_T9_mT8_S1C_bDpT10_ENKUlT_T0_E_clISt17integral_constantIbLb0EES1P_EEDaS1K_S1L_EUlS1K_E_NS1_11comp_targetILNS1_3genE5ELNS1_11target_archE942ELNS1_3gpuE9ELNS1_3repE0EEENS1_30default_config_static_selectorELNS0_4arch9wavefront6targetE0EEEvSY_.private_seg_size, 0
	.set _ZN7rocprim17ROCPRIM_400000_NS6detail17trampoline_kernelINS0_13select_configILj256ELj13ELNS0_17block_load_methodE3ELS4_3ELS4_3ELNS0_20block_scan_algorithmE0ELj4294967295EEENS1_25partition_config_selectorILNS1_17partition_subalgoE3EjNS0_10empty_typeEbEEZZNS1_14partition_implILS8_3ELb0ES6_jNS0_17counting_iteratorIjlEEPS9_SE_NS0_5tupleIJPjSE_EEENSF_IJSE_SE_EEES9_SG_JZNS1_25segmented_radix_sort_implINS0_14default_configELb0EPKhPhPKlPlN2at6native12_GLOBAL__N_18offset_tEEE10hipError_tPvRmT1_PNSt15iterator_traitsISY_E10value_typeET2_T3_PNSZ_IS14_E10value_typeET4_jRbjT5_S1A_jjP12ihipStream_tbEUljE_EEESV_SW_SX_S14_S18_S1A_T6_T7_T9_mT8_S1C_bDpT10_ENKUlT_T0_E_clISt17integral_constantIbLb0EES1P_EEDaS1K_S1L_EUlS1K_E_NS1_11comp_targetILNS1_3genE5ELNS1_11target_archE942ELNS1_3gpuE9ELNS1_3repE0EEENS1_30default_config_static_selectorELNS0_4arch9wavefront6targetE0EEEvSY_.uses_vcc, 0
	.set _ZN7rocprim17ROCPRIM_400000_NS6detail17trampoline_kernelINS0_13select_configILj256ELj13ELNS0_17block_load_methodE3ELS4_3ELS4_3ELNS0_20block_scan_algorithmE0ELj4294967295EEENS1_25partition_config_selectorILNS1_17partition_subalgoE3EjNS0_10empty_typeEbEEZZNS1_14partition_implILS8_3ELb0ES6_jNS0_17counting_iteratorIjlEEPS9_SE_NS0_5tupleIJPjSE_EEENSF_IJSE_SE_EEES9_SG_JZNS1_25segmented_radix_sort_implINS0_14default_configELb0EPKhPhPKlPlN2at6native12_GLOBAL__N_18offset_tEEE10hipError_tPvRmT1_PNSt15iterator_traitsISY_E10value_typeET2_T3_PNSZ_IS14_E10value_typeET4_jRbjT5_S1A_jjP12ihipStream_tbEUljE_EEESV_SW_SX_S14_S18_S1A_T6_T7_T9_mT8_S1C_bDpT10_ENKUlT_T0_E_clISt17integral_constantIbLb0EES1P_EEDaS1K_S1L_EUlS1K_E_NS1_11comp_targetILNS1_3genE5ELNS1_11target_archE942ELNS1_3gpuE9ELNS1_3repE0EEENS1_30default_config_static_selectorELNS0_4arch9wavefront6targetE0EEEvSY_.uses_flat_scratch, 0
	.set _ZN7rocprim17ROCPRIM_400000_NS6detail17trampoline_kernelINS0_13select_configILj256ELj13ELNS0_17block_load_methodE3ELS4_3ELS4_3ELNS0_20block_scan_algorithmE0ELj4294967295EEENS1_25partition_config_selectorILNS1_17partition_subalgoE3EjNS0_10empty_typeEbEEZZNS1_14partition_implILS8_3ELb0ES6_jNS0_17counting_iteratorIjlEEPS9_SE_NS0_5tupleIJPjSE_EEENSF_IJSE_SE_EEES9_SG_JZNS1_25segmented_radix_sort_implINS0_14default_configELb0EPKhPhPKlPlN2at6native12_GLOBAL__N_18offset_tEEE10hipError_tPvRmT1_PNSt15iterator_traitsISY_E10value_typeET2_T3_PNSZ_IS14_E10value_typeET4_jRbjT5_S1A_jjP12ihipStream_tbEUljE_EEESV_SW_SX_S14_S18_S1A_T6_T7_T9_mT8_S1C_bDpT10_ENKUlT_T0_E_clISt17integral_constantIbLb0EES1P_EEDaS1K_S1L_EUlS1K_E_NS1_11comp_targetILNS1_3genE5ELNS1_11target_archE942ELNS1_3gpuE9ELNS1_3repE0EEENS1_30default_config_static_selectorELNS0_4arch9wavefront6targetE0EEEvSY_.has_dyn_sized_stack, 0
	.set _ZN7rocprim17ROCPRIM_400000_NS6detail17trampoline_kernelINS0_13select_configILj256ELj13ELNS0_17block_load_methodE3ELS4_3ELS4_3ELNS0_20block_scan_algorithmE0ELj4294967295EEENS1_25partition_config_selectorILNS1_17partition_subalgoE3EjNS0_10empty_typeEbEEZZNS1_14partition_implILS8_3ELb0ES6_jNS0_17counting_iteratorIjlEEPS9_SE_NS0_5tupleIJPjSE_EEENSF_IJSE_SE_EEES9_SG_JZNS1_25segmented_radix_sort_implINS0_14default_configELb0EPKhPhPKlPlN2at6native12_GLOBAL__N_18offset_tEEE10hipError_tPvRmT1_PNSt15iterator_traitsISY_E10value_typeET2_T3_PNSZ_IS14_E10value_typeET4_jRbjT5_S1A_jjP12ihipStream_tbEUljE_EEESV_SW_SX_S14_S18_S1A_T6_T7_T9_mT8_S1C_bDpT10_ENKUlT_T0_E_clISt17integral_constantIbLb0EES1P_EEDaS1K_S1L_EUlS1K_E_NS1_11comp_targetILNS1_3genE5ELNS1_11target_archE942ELNS1_3gpuE9ELNS1_3repE0EEENS1_30default_config_static_selectorELNS0_4arch9wavefront6targetE0EEEvSY_.has_recursion, 0
	.set _ZN7rocprim17ROCPRIM_400000_NS6detail17trampoline_kernelINS0_13select_configILj256ELj13ELNS0_17block_load_methodE3ELS4_3ELS4_3ELNS0_20block_scan_algorithmE0ELj4294967295EEENS1_25partition_config_selectorILNS1_17partition_subalgoE3EjNS0_10empty_typeEbEEZZNS1_14partition_implILS8_3ELb0ES6_jNS0_17counting_iteratorIjlEEPS9_SE_NS0_5tupleIJPjSE_EEENSF_IJSE_SE_EEES9_SG_JZNS1_25segmented_radix_sort_implINS0_14default_configELb0EPKhPhPKlPlN2at6native12_GLOBAL__N_18offset_tEEE10hipError_tPvRmT1_PNSt15iterator_traitsISY_E10value_typeET2_T3_PNSZ_IS14_E10value_typeET4_jRbjT5_S1A_jjP12ihipStream_tbEUljE_EEESV_SW_SX_S14_S18_S1A_T6_T7_T9_mT8_S1C_bDpT10_ENKUlT_T0_E_clISt17integral_constantIbLb0EES1P_EEDaS1K_S1L_EUlS1K_E_NS1_11comp_targetILNS1_3genE5ELNS1_11target_archE942ELNS1_3gpuE9ELNS1_3repE0EEENS1_30default_config_static_selectorELNS0_4arch9wavefront6targetE0EEEvSY_.has_indirect_call, 0
	.section	.AMDGPU.csdata,"",@progbits
; Kernel info:
; codeLenInByte = 0
; TotalNumSgprs: 0
; NumVgprs: 0
; ScratchSize: 0
; MemoryBound: 0
; FloatMode: 240
; IeeeMode: 1
; LDSByteSize: 0 bytes/workgroup (compile time only)
; SGPRBlocks: 0
; VGPRBlocks: 0
; NumSGPRsForWavesPerEU: 1
; NumVGPRsForWavesPerEU: 1
; NamedBarCnt: 0
; Occupancy: 16
; WaveLimiterHint : 0
; COMPUTE_PGM_RSRC2:SCRATCH_EN: 0
; COMPUTE_PGM_RSRC2:USER_SGPR: 2
; COMPUTE_PGM_RSRC2:TRAP_HANDLER: 0
; COMPUTE_PGM_RSRC2:TGID_X_EN: 1
; COMPUTE_PGM_RSRC2:TGID_Y_EN: 0
; COMPUTE_PGM_RSRC2:TGID_Z_EN: 0
; COMPUTE_PGM_RSRC2:TIDIG_COMP_CNT: 0
	.section	.text._ZN7rocprim17ROCPRIM_400000_NS6detail17trampoline_kernelINS0_13select_configILj256ELj13ELNS0_17block_load_methodE3ELS4_3ELS4_3ELNS0_20block_scan_algorithmE0ELj4294967295EEENS1_25partition_config_selectorILNS1_17partition_subalgoE3EjNS0_10empty_typeEbEEZZNS1_14partition_implILS8_3ELb0ES6_jNS0_17counting_iteratorIjlEEPS9_SE_NS0_5tupleIJPjSE_EEENSF_IJSE_SE_EEES9_SG_JZNS1_25segmented_radix_sort_implINS0_14default_configELb0EPKhPhPKlPlN2at6native12_GLOBAL__N_18offset_tEEE10hipError_tPvRmT1_PNSt15iterator_traitsISY_E10value_typeET2_T3_PNSZ_IS14_E10value_typeET4_jRbjT5_S1A_jjP12ihipStream_tbEUljE_EEESV_SW_SX_S14_S18_S1A_T6_T7_T9_mT8_S1C_bDpT10_ENKUlT_T0_E_clISt17integral_constantIbLb0EES1P_EEDaS1K_S1L_EUlS1K_E_NS1_11comp_targetILNS1_3genE4ELNS1_11target_archE910ELNS1_3gpuE8ELNS1_3repE0EEENS1_30default_config_static_selectorELNS0_4arch9wavefront6targetE0EEEvSY_,"axG",@progbits,_ZN7rocprim17ROCPRIM_400000_NS6detail17trampoline_kernelINS0_13select_configILj256ELj13ELNS0_17block_load_methodE3ELS4_3ELS4_3ELNS0_20block_scan_algorithmE0ELj4294967295EEENS1_25partition_config_selectorILNS1_17partition_subalgoE3EjNS0_10empty_typeEbEEZZNS1_14partition_implILS8_3ELb0ES6_jNS0_17counting_iteratorIjlEEPS9_SE_NS0_5tupleIJPjSE_EEENSF_IJSE_SE_EEES9_SG_JZNS1_25segmented_radix_sort_implINS0_14default_configELb0EPKhPhPKlPlN2at6native12_GLOBAL__N_18offset_tEEE10hipError_tPvRmT1_PNSt15iterator_traitsISY_E10value_typeET2_T3_PNSZ_IS14_E10value_typeET4_jRbjT5_S1A_jjP12ihipStream_tbEUljE_EEESV_SW_SX_S14_S18_S1A_T6_T7_T9_mT8_S1C_bDpT10_ENKUlT_T0_E_clISt17integral_constantIbLb0EES1P_EEDaS1K_S1L_EUlS1K_E_NS1_11comp_targetILNS1_3genE4ELNS1_11target_archE910ELNS1_3gpuE8ELNS1_3repE0EEENS1_30default_config_static_selectorELNS0_4arch9wavefront6targetE0EEEvSY_,comdat
	.globl	_ZN7rocprim17ROCPRIM_400000_NS6detail17trampoline_kernelINS0_13select_configILj256ELj13ELNS0_17block_load_methodE3ELS4_3ELS4_3ELNS0_20block_scan_algorithmE0ELj4294967295EEENS1_25partition_config_selectorILNS1_17partition_subalgoE3EjNS0_10empty_typeEbEEZZNS1_14partition_implILS8_3ELb0ES6_jNS0_17counting_iteratorIjlEEPS9_SE_NS0_5tupleIJPjSE_EEENSF_IJSE_SE_EEES9_SG_JZNS1_25segmented_radix_sort_implINS0_14default_configELb0EPKhPhPKlPlN2at6native12_GLOBAL__N_18offset_tEEE10hipError_tPvRmT1_PNSt15iterator_traitsISY_E10value_typeET2_T3_PNSZ_IS14_E10value_typeET4_jRbjT5_S1A_jjP12ihipStream_tbEUljE_EEESV_SW_SX_S14_S18_S1A_T6_T7_T9_mT8_S1C_bDpT10_ENKUlT_T0_E_clISt17integral_constantIbLb0EES1P_EEDaS1K_S1L_EUlS1K_E_NS1_11comp_targetILNS1_3genE4ELNS1_11target_archE910ELNS1_3gpuE8ELNS1_3repE0EEENS1_30default_config_static_selectorELNS0_4arch9wavefront6targetE0EEEvSY_ ; -- Begin function _ZN7rocprim17ROCPRIM_400000_NS6detail17trampoline_kernelINS0_13select_configILj256ELj13ELNS0_17block_load_methodE3ELS4_3ELS4_3ELNS0_20block_scan_algorithmE0ELj4294967295EEENS1_25partition_config_selectorILNS1_17partition_subalgoE3EjNS0_10empty_typeEbEEZZNS1_14partition_implILS8_3ELb0ES6_jNS0_17counting_iteratorIjlEEPS9_SE_NS0_5tupleIJPjSE_EEENSF_IJSE_SE_EEES9_SG_JZNS1_25segmented_radix_sort_implINS0_14default_configELb0EPKhPhPKlPlN2at6native12_GLOBAL__N_18offset_tEEE10hipError_tPvRmT1_PNSt15iterator_traitsISY_E10value_typeET2_T3_PNSZ_IS14_E10value_typeET4_jRbjT5_S1A_jjP12ihipStream_tbEUljE_EEESV_SW_SX_S14_S18_S1A_T6_T7_T9_mT8_S1C_bDpT10_ENKUlT_T0_E_clISt17integral_constantIbLb0EES1P_EEDaS1K_S1L_EUlS1K_E_NS1_11comp_targetILNS1_3genE4ELNS1_11target_archE910ELNS1_3gpuE8ELNS1_3repE0EEENS1_30default_config_static_selectorELNS0_4arch9wavefront6targetE0EEEvSY_
	.p2align	8
	.type	_ZN7rocprim17ROCPRIM_400000_NS6detail17trampoline_kernelINS0_13select_configILj256ELj13ELNS0_17block_load_methodE3ELS4_3ELS4_3ELNS0_20block_scan_algorithmE0ELj4294967295EEENS1_25partition_config_selectorILNS1_17partition_subalgoE3EjNS0_10empty_typeEbEEZZNS1_14partition_implILS8_3ELb0ES6_jNS0_17counting_iteratorIjlEEPS9_SE_NS0_5tupleIJPjSE_EEENSF_IJSE_SE_EEES9_SG_JZNS1_25segmented_radix_sort_implINS0_14default_configELb0EPKhPhPKlPlN2at6native12_GLOBAL__N_18offset_tEEE10hipError_tPvRmT1_PNSt15iterator_traitsISY_E10value_typeET2_T3_PNSZ_IS14_E10value_typeET4_jRbjT5_S1A_jjP12ihipStream_tbEUljE_EEESV_SW_SX_S14_S18_S1A_T6_T7_T9_mT8_S1C_bDpT10_ENKUlT_T0_E_clISt17integral_constantIbLb0EES1P_EEDaS1K_S1L_EUlS1K_E_NS1_11comp_targetILNS1_3genE4ELNS1_11target_archE910ELNS1_3gpuE8ELNS1_3repE0EEENS1_30default_config_static_selectorELNS0_4arch9wavefront6targetE0EEEvSY_,@function
_ZN7rocprim17ROCPRIM_400000_NS6detail17trampoline_kernelINS0_13select_configILj256ELj13ELNS0_17block_load_methodE3ELS4_3ELS4_3ELNS0_20block_scan_algorithmE0ELj4294967295EEENS1_25partition_config_selectorILNS1_17partition_subalgoE3EjNS0_10empty_typeEbEEZZNS1_14partition_implILS8_3ELb0ES6_jNS0_17counting_iteratorIjlEEPS9_SE_NS0_5tupleIJPjSE_EEENSF_IJSE_SE_EEES9_SG_JZNS1_25segmented_radix_sort_implINS0_14default_configELb0EPKhPhPKlPlN2at6native12_GLOBAL__N_18offset_tEEE10hipError_tPvRmT1_PNSt15iterator_traitsISY_E10value_typeET2_T3_PNSZ_IS14_E10value_typeET4_jRbjT5_S1A_jjP12ihipStream_tbEUljE_EEESV_SW_SX_S14_S18_S1A_T6_T7_T9_mT8_S1C_bDpT10_ENKUlT_T0_E_clISt17integral_constantIbLb0EES1P_EEDaS1K_S1L_EUlS1K_E_NS1_11comp_targetILNS1_3genE4ELNS1_11target_archE910ELNS1_3gpuE8ELNS1_3repE0EEENS1_30default_config_static_selectorELNS0_4arch9wavefront6targetE0EEEvSY_: ; @_ZN7rocprim17ROCPRIM_400000_NS6detail17trampoline_kernelINS0_13select_configILj256ELj13ELNS0_17block_load_methodE3ELS4_3ELS4_3ELNS0_20block_scan_algorithmE0ELj4294967295EEENS1_25partition_config_selectorILNS1_17partition_subalgoE3EjNS0_10empty_typeEbEEZZNS1_14partition_implILS8_3ELb0ES6_jNS0_17counting_iteratorIjlEEPS9_SE_NS0_5tupleIJPjSE_EEENSF_IJSE_SE_EEES9_SG_JZNS1_25segmented_radix_sort_implINS0_14default_configELb0EPKhPhPKlPlN2at6native12_GLOBAL__N_18offset_tEEE10hipError_tPvRmT1_PNSt15iterator_traitsISY_E10value_typeET2_T3_PNSZ_IS14_E10value_typeET4_jRbjT5_S1A_jjP12ihipStream_tbEUljE_EEESV_SW_SX_S14_S18_S1A_T6_T7_T9_mT8_S1C_bDpT10_ENKUlT_T0_E_clISt17integral_constantIbLb0EES1P_EEDaS1K_S1L_EUlS1K_E_NS1_11comp_targetILNS1_3genE4ELNS1_11target_archE910ELNS1_3gpuE8ELNS1_3repE0EEENS1_30default_config_static_selectorELNS0_4arch9wavefront6targetE0EEEvSY_
; %bb.0:
	.section	.rodata,"a",@progbits
	.p2align	6, 0x0
	.amdhsa_kernel _ZN7rocprim17ROCPRIM_400000_NS6detail17trampoline_kernelINS0_13select_configILj256ELj13ELNS0_17block_load_methodE3ELS4_3ELS4_3ELNS0_20block_scan_algorithmE0ELj4294967295EEENS1_25partition_config_selectorILNS1_17partition_subalgoE3EjNS0_10empty_typeEbEEZZNS1_14partition_implILS8_3ELb0ES6_jNS0_17counting_iteratorIjlEEPS9_SE_NS0_5tupleIJPjSE_EEENSF_IJSE_SE_EEES9_SG_JZNS1_25segmented_radix_sort_implINS0_14default_configELb0EPKhPhPKlPlN2at6native12_GLOBAL__N_18offset_tEEE10hipError_tPvRmT1_PNSt15iterator_traitsISY_E10value_typeET2_T3_PNSZ_IS14_E10value_typeET4_jRbjT5_S1A_jjP12ihipStream_tbEUljE_EEESV_SW_SX_S14_S18_S1A_T6_T7_T9_mT8_S1C_bDpT10_ENKUlT_T0_E_clISt17integral_constantIbLb0EES1P_EEDaS1K_S1L_EUlS1K_E_NS1_11comp_targetILNS1_3genE4ELNS1_11target_archE910ELNS1_3gpuE8ELNS1_3repE0EEENS1_30default_config_static_selectorELNS0_4arch9wavefront6targetE0EEEvSY_
		.amdhsa_group_segment_fixed_size 0
		.amdhsa_private_segment_fixed_size 0
		.amdhsa_kernarg_size 144
		.amdhsa_user_sgpr_count 2
		.amdhsa_user_sgpr_dispatch_ptr 0
		.amdhsa_user_sgpr_queue_ptr 0
		.amdhsa_user_sgpr_kernarg_segment_ptr 1
		.amdhsa_user_sgpr_dispatch_id 0
		.amdhsa_user_sgpr_kernarg_preload_length 0
		.amdhsa_user_sgpr_kernarg_preload_offset 0
		.amdhsa_user_sgpr_private_segment_size 0
		.amdhsa_wavefront_size32 1
		.amdhsa_uses_dynamic_stack 0
		.amdhsa_enable_private_segment 0
		.amdhsa_system_sgpr_workgroup_id_x 1
		.amdhsa_system_sgpr_workgroup_id_y 0
		.amdhsa_system_sgpr_workgroup_id_z 0
		.amdhsa_system_sgpr_workgroup_info 0
		.amdhsa_system_vgpr_workitem_id 0
		.amdhsa_next_free_vgpr 1
		.amdhsa_next_free_sgpr 1
		.amdhsa_named_barrier_count 0
		.amdhsa_reserve_vcc 0
		.amdhsa_float_round_mode_32 0
		.amdhsa_float_round_mode_16_64 0
		.amdhsa_float_denorm_mode_32 3
		.amdhsa_float_denorm_mode_16_64 3
		.amdhsa_fp16_overflow 0
		.amdhsa_memory_ordered 1
		.amdhsa_forward_progress 1
		.amdhsa_inst_pref_size 0
		.amdhsa_round_robin_scheduling 0
		.amdhsa_exception_fp_ieee_invalid_op 0
		.amdhsa_exception_fp_denorm_src 0
		.amdhsa_exception_fp_ieee_div_zero 0
		.amdhsa_exception_fp_ieee_overflow 0
		.amdhsa_exception_fp_ieee_underflow 0
		.amdhsa_exception_fp_ieee_inexact 0
		.amdhsa_exception_int_div_zero 0
	.end_amdhsa_kernel
	.section	.text._ZN7rocprim17ROCPRIM_400000_NS6detail17trampoline_kernelINS0_13select_configILj256ELj13ELNS0_17block_load_methodE3ELS4_3ELS4_3ELNS0_20block_scan_algorithmE0ELj4294967295EEENS1_25partition_config_selectorILNS1_17partition_subalgoE3EjNS0_10empty_typeEbEEZZNS1_14partition_implILS8_3ELb0ES6_jNS0_17counting_iteratorIjlEEPS9_SE_NS0_5tupleIJPjSE_EEENSF_IJSE_SE_EEES9_SG_JZNS1_25segmented_radix_sort_implINS0_14default_configELb0EPKhPhPKlPlN2at6native12_GLOBAL__N_18offset_tEEE10hipError_tPvRmT1_PNSt15iterator_traitsISY_E10value_typeET2_T3_PNSZ_IS14_E10value_typeET4_jRbjT5_S1A_jjP12ihipStream_tbEUljE_EEESV_SW_SX_S14_S18_S1A_T6_T7_T9_mT8_S1C_bDpT10_ENKUlT_T0_E_clISt17integral_constantIbLb0EES1P_EEDaS1K_S1L_EUlS1K_E_NS1_11comp_targetILNS1_3genE4ELNS1_11target_archE910ELNS1_3gpuE8ELNS1_3repE0EEENS1_30default_config_static_selectorELNS0_4arch9wavefront6targetE0EEEvSY_,"axG",@progbits,_ZN7rocprim17ROCPRIM_400000_NS6detail17trampoline_kernelINS0_13select_configILj256ELj13ELNS0_17block_load_methodE3ELS4_3ELS4_3ELNS0_20block_scan_algorithmE0ELj4294967295EEENS1_25partition_config_selectorILNS1_17partition_subalgoE3EjNS0_10empty_typeEbEEZZNS1_14partition_implILS8_3ELb0ES6_jNS0_17counting_iteratorIjlEEPS9_SE_NS0_5tupleIJPjSE_EEENSF_IJSE_SE_EEES9_SG_JZNS1_25segmented_radix_sort_implINS0_14default_configELb0EPKhPhPKlPlN2at6native12_GLOBAL__N_18offset_tEEE10hipError_tPvRmT1_PNSt15iterator_traitsISY_E10value_typeET2_T3_PNSZ_IS14_E10value_typeET4_jRbjT5_S1A_jjP12ihipStream_tbEUljE_EEESV_SW_SX_S14_S18_S1A_T6_T7_T9_mT8_S1C_bDpT10_ENKUlT_T0_E_clISt17integral_constantIbLb0EES1P_EEDaS1K_S1L_EUlS1K_E_NS1_11comp_targetILNS1_3genE4ELNS1_11target_archE910ELNS1_3gpuE8ELNS1_3repE0EEENS1_30default_config_static_selectorELNS0_4arch9wavefront6targetE0EEEvSY_,comdat
.Lfunc_end155:
	.size	_ZN7rocprim17ROCPRIM_400000_NS6detail17trampoline_kernelINS0_13select_configILj256ELj13ELNS0_17block_load_methodE3ELS4_3ELS4_3ELNS0_20block_scan_algorithmE0ELj4294967295EEENS1_25partition_config_selectorILNS1_17partition_subalgoE3EjNS0_10empty_typeEbEEZZNS1_14partition_implILS8_3ELb0ES6_jNS0_17counting_iteratorIjlEEPS9_SE_NS0_5tupleIJPjSE_EEENSF_IJSE_SE_EEES9_SG_JZNS1_25segmented_radix_sort_implINS0_14default_configELb0EPKhPhPKlPlN2at6native12_GLOBAL__N_18offset_tEEE10hipError_tPvRmT1_PNSt15iterator_traitsISY_E10value_typeET2_T3_PNSZ_IS14_E10value_typeET4_jRbjT5_S1A_jjP12ihipStream_tbEUljE_EEESV_SW_SX_S14_S18_S1A_T6_T7_T9_mT8_S1C_bDpT10_ENKUlT_T0_E_clISt17integral_constantIbLb0EES1P_EEDaS1K_S1L_EUlS1K_E_NS1_11comp_targetILNS1_3genE4ELNS1_11target_archE910ELNS1_3gpuE8ELNS1_3repE0EEENS1_30default_config_static_selectorELNS0_4arch9wavefront6targetE0EEEvSY_, .Lfunc_end155-_ZN7rocprim17ROCPRIM_400000_NS6detail17trampoline_kernelINS0_13select_configILj256ELj13ELNS0_17block_load_methodE3ELS4_3ELS4_3ELNS0_20block_scan_algorithmE0ELj4294967295EEENS1_25partition_config_selectorILNS1_17partition_subalgoE3EjNS0_10empty_typeEbEEZZNS1_14partition_implILS8_3ELb0ES6_jNS0_17counting_iteratorIjlEEPS9_SE_NS0_5tupleIJPjSE_EEENSF_IJSE_SE_EEES9_SG_JZNS1_25segmented_radix_sort_implINS0_14default_configELb0EPKhPhPKlPlN2at6native12_GLOBAL__N_18offset_tEEE10hipError_tPvRmT1_PNSt15iterator_traitsISY_E10value_typeET2_T3_PNSZ_IS14_E10value_typeET4_jRbjT5_S1A_jjP12ihipStream_tbEUljE_EEESV_SW_SX_S14_S18_S1A_T6_T7_T9_mT8_S1C_bDpT10_ENKUlT_T0_E_clISt17integral_constantIbLb0EES1P_EEDaS1K_S1L_EUlS1K_E_NS1_11comp_targetILNS1_3genE4ELNS1_11target_archE910ELNS1_3gpuE8ELNS1_3repE0EEENS1_30default_config_static_selectorELNS0_4arch9wavefront6targetE0EEEvSY_
                                        ; -- End function
	.set _ZN7rocprim17ROCPRIM_400000_NS6detail17trampoline_kernelINS0_13select_configILj256ELj13ELNS0_17block_load_methodE3ELS4_3ELS4_3ELNS0_20block_scan_algorithmE0ELj4294967295EEENS1_25partition_config_selectorILNS1_17partition_subalgoE3EjNS0_10empty_typeEbEEZZNS1_14partition_implILS8_3ELb0ES6_jNS0_17counting_iteratorIjlEEPS9_SE_NS0_5tupleIJPjSE_EEENSF_IJSE_SE_EEES9_SG_JZNS1_25segmented_radix_sort_implINS0_14default_configELb0EPKhPhPKlPlN2at6native12_GLOBAL__N_18offset_tEEE10hipError_tPvRmT1_PNSt15iterator_traitsISY_E10value_typeET2_T3_PNSZ_IS14_E10value_typeET4_jRbjT5_S1A_jjP12ihipStream_tbEUljE_EEESV_SW_SX_S14_S18_S1A_T6_T7_T9_mT8_S1C_bDpT10_ENKUlT_T0_E_clISt17integral_constantIbLb0EES1P_EEDaS1K_S1L_EUlS1K_E_NS1_11comp_targetILNS1_3genE4ELNS1_11target_archE910ELNS1_3gpuE8ELNS1_3repE0EEENS1_30default_config_static_selectorELNS0_4arch9wavefront6targetE0EEEvSY_.num_vgpr, 0
	.set _ZN7rocprim17ROCPRIM_400000_NS6detail17trampoline_kernelINS0_13select_configILj256ELj13ELNS0_17block_load_methodE3ELS4_3ELS4_3ELNS0_20block_scan_algorithmE0ELj4294967295EEENS1_25partition_config_selectorILNS1_17partition_subalgoE3EjNS0_10empty_typeEbEEZZNS1_14partition_implILS8_3ELb0ES6_jNS0_17counting_iteratorIjlEEPS9_SE_NS0_5tupleIJPjSE_EEENSF_IJSE_SE_EEES9_SG_JZNS1_25segmented_radix_sort_implINS0_14default_configELb0EPKhPhPKlPlN2at6native12_GLOBAL__N_18offset_tEEE10hipError_tPvRmT1_PNSt15iterator_traitsISY_E10value_typeET2_T3_PNSZ_IS14_E10value_typeET4_jRbjT5_S1A_jjP12ihipStream_tbEUljE_EEESV_SW_SX_S14_S18_S1A_T6_T7_T9_mT8_S1C_bDpT10_ENKUlT_T0_E_clISt17integral_constantIbLb0EES1P_EEDaS1K_S1L_EUlS1K_E_NS1_11comp_targetILNS1_3genE4ELNS1_11target_archE910ELNS1_3gpuE8ELNS1_3repE0EEENS1_30default_config_static_selectorELNS0_4arch9wavefront6targetE0EEEvSY_.num_agpr, 0
	.set _ZN7rocprim17ROCPRIM_400000_NS6detail17trampoline_kernelINS0_13select_configILj256ELj13ELNS0_17block_load_methodE3ELS4_3ELS4_3ELNS0_20block_scan_algorithmE0ELj4294967295EEENS1_25partition_config_selectorILNS1_17partition_subalgoE3EjNS0_10empty_typeEbEEZZNS1_14partition_implILS8_3ELb0ES6_jNS0_17counting_iteratorIjlEEPS9_SE_NS0_5tupleIJPjSE_EEENSF_IJSE_SE_EEES9_SG_JZNS1_25segmented_radix_sort_implINS0_14default_configELb0EPKhPhPKlPlN2at6native12_GLOBAL__N_18offset_tEEE10hipError_tPvRmT1_PNSt15iterator_traitsISY_E10value_typeET2_T3_PNSZ_IS14_E10value_typeET4_jRbjT5_S1A_jjP12ihipStream_tbEUljE_EEESV_SW_SX_S14_S18_S1A_T6_T7_T9_mT8_S1C_bDpT10_ENKUlT_T0_E_clISt17integral_constantIbLb0EES1P_EEDaS1K_S1L_EUlS1K_E_NS1_11comp_targetILNS1_3genE4ELNS1_11target_archE910ELNS1_3gpuE8ELNS1_3repE0EEENS1_30default_config_static_selectorELNS0_4arch9wavefront6targetE0EEEvSY_.numbered_sgpr, 0
	.set _ZN7rocprim17ROCPRIM_400000_NS6detail17trampoline_kernelINS0_13select_configILj256ELj13ELNS0_17block_load_methodE3ELS4_3ELS4_3ELNS0_20block_scan_algorithmE0ELj4294967295EEENS1_25partition_config_selectorILNS1_17partition_subalgoE3EjNS0_10empty_typeEbEEZZNS1_14partition_implILS8_3ELb0ES6_jNS0_17counting_iteratorIjlEEPS9_SE_NS0_5tupleIJPjSE_EEENSF_IJSE_SE_EEES9_SG_JZNS1_25segmented_radix_sort_implINS0_14default_configELb0EPKhPhPKlPlN2at6native12_GLOBAL__N_18offset_tEEE10hipError_tPvRmT1_PNSt15iterator_traitsISY_E10value_typeET2_T3_PNSZ_IS14_E10value_typeET4_jRbjT5_S1A_jjP12ihipStream_tbEUljE_EEESV_SW_SX_S14_S18_S1A_T6_T7_T9_mT8_S1C_bDpT10_ENKUlT_T0_E_clISt17integral_constantIbLb0EES1P_EEDaS1K_S1L_EUlS1K_E_NS1_11comp_targetILNS1_3genE4ELNS1_11target_archE910ELNS1_3gpuE8ELNS1_3repE0EEENS1_30default_config_static_selectorELNS0_4arch9wavefront6targetE0EEEvSY_.num_named_barrier, 0
	.set _ZN7rocprim17ROCPRIM_400000_NS6detail17trampoline_kernelINS0_13select_configILj256ELj13ELNS0_17block_load_methodE3ELS4_3ELS4_3ELNS0_20block_scan_algorithmE0ELj4294967295EEENS1_25partition_config_selectorILNS1_17partition_subalgoE3EjNS0_10empty_typeEbEEZZNS1_14partition_implILS8_3ELb0ES6_jNS0_17counting_iteratorIjlEEPS9_SE_NS0_5tupleIJPjSE_EEENSF_IJSE_SE_EEES9_SG_JZNS1_25segmented_radix_sort_implINS0_14default_configELb0EPKhPhPKlPlN2at6native12_GLOBAL__N_18offset_tEEE10hipError_tPvRmT1_PNSt15iterator_traitsISY_E10value_typeET2_T3_PNSZ_IS14_E10value_typeET4_jRbjT5_S1A_jjP12ihipStream_tbEUljE_EEESV_SW_SX_S14_S18_S1A_T6_T7_T9_mT8_S1C_bDpT10_ENKUlT_T0_E_clISt17integral_constantIbLb0EES1P_EEDaS1K_S1L_EUlS1K_E_NS1_11comp_targetILNS1_3genE4ELNS1_11target_archE910ELNS1_3gpuE8ELNS1_3repE0EEENS1_30default_config_static_selectorELNS0_4arch9wavefront6targetE0EEEvSY_.private_seg_size, 0
	.set _ZN7rocprim17ROCPRIM_400000_NS6detail17trampoline_kernelINS0_13select_configILj256ELj13ELNS0_17block_load_methodE3ELS4_3ELS4_3ELNS0_20block_scan_algorithmE0ELj4294967295EEENS1_25partition_config_selectorILNS1_17partition_subalgoE3EjNS0_10empty_typeEbEEZZNS1_14partition_implILS8_3ELb0ES6_jNS0_17counting_iteratorIjlEEPS9_SE_NS0_5tupleIJPjSE_EEENSF_IJSE_SE_EEES9_SG_JZNS1_25segmented_radix_sort_implINS0_14default_configELb0EPKhPhPKlPlN2at6native12_GLOBAL__N_18offset_tEEE10hipError_tPvRmT1_PNSt15iterator_traitsISY_E10value_typeET2_T3_PNSZ_IS14_E10value_typeET4_jRbjT5_S1A_jjP12ihipStream_tbEUljE_EEESV_SW_SX_S14_S18_S1A_T6_T7_T9_mT8_S1C_bDpT10_ENKUlT_T0_E_clISt17integral_constantIbLb0EES1P_EEDaS1K_S1L_EUlS1K_E_NS1_11comp_targetILNS1_3genE4ELNS1_11target_archE910ELNS1_3gpuE8ELNS1_3repE0EEENS1_30default_config_static_selectorELNS0_4arch9wavefront6targetE0EEEvSY_.uses_vcc, 0
	.set _ZN7rocprim17ROCPRIM_400000_NS6detail17trampoline_kernelINS0_13select_configILj256ELj13ELNS0_17block_load_methodE3ELS4_3ELS4_3ELNS0_20block_scan_algorithmE0ELj4294967295EEENS1_25partition_config_selectorILNS1_17partition_subalgoE3EjNS0_10empty_typeEbEEZZNS1_14partition_implILS8_3ELb0ES6_jNS0_17counting_iteratorIjlEEPS9_SE_NS0_5tupleIJPjSE_EEENSF_IJSE_SE_EEES9_SG_JZNS1_25segmented_radix_sort_implINS0_14default_configELb0EPKhPhPKlPlN2at6native12_GLOBAL__N_18offset_tEEE10hipError_tPvRmT1_PNSt15iterator_traitsISY_E10value_typeET2_T3_PNSZ_IS14_E10value_typeET4_jRbjT5_S1A_jjP12ihipStream_tbEUljE_EEESV_SW_SX_S14_S18_S1A_T6_T7_T9_mT8_S1C_bDpT10_ENKUlT_T0_E_clISt17integral_constantIbLb0EES1P_EEDaS1K_S1L_EUlS1K_E_NS1_11comp_targetILNS1_3genE4ELNS1_11target_archE910ELNS1_3gpuE8ELNS1_3repE0EEENS1_30default_config_static_selectorELNS0_4arch9wavefront6targetE0EEEvSY_.uses_flat_scratch, 0
	.set _ZN7rocprim17ROCPRIM_400000_NS6detail17trampoline_kernelINS0_13select_configILj256ELj13ELNS0_17block_load_methodE3ELS4_3ELS4_3ELNS0_20block_scan_algorithmE0ELj4294967295EEENS1_25partition_config_selectorILNS1_17partition_subalgoE3EjNS0_10empty_typeEbEEZZNS1_14partition_implILS8_3ELb0ES6_jNS0_17counting_iteratorIjlEEPS9_SE_NS0_5tupleIJPjSE_EEENSF_IJSE_SE_EEES9_SG_JZNS1_25segmented_radix_sort_implINS0_14default_configELb0EPKhPhPKlPlN2at6native12_GLOBAL__N_18offset_tEEE10hipError_tPvRmT1_PNSt15iterator_traitsISY_E10value_typeET2_T3_PNSZ_IS14_E10value_typeET4_jRbjT5_S1A_jjP12ihipStream_tbEUljE_EEESV_SW_SX_S14_S18_S1A_T6_T7_T9_mT8_S1C_bDpT10_ENKUlT_T0_E_clISt17integral_constantIbLb0EES1P_EEDaS1K_S1L_EUlS1K_E_NS1_11comp_targetILNS1_3genE4ELNS1_11target_archE910ELNS1_3gpuE8ELNS1_3repE0EEENS1_30default_config_static_selectorELNS0_4arch9wavefront6targetE0EEEvSY_.has_dyn_sized_stack, 0
	.set _ZN7rocprim17ROCPRIM_400000_NS6detail17trampoline_kernelINS0_13select_configILj256ELj13ELNS0_17block_load_methodE3ELS4_3ELS4_3ELNS0_20block_scan_algorithmE0ELj4294967295EEENS1_25partition_config_selectorILNS1_17partition_subalgoE3EjNS0_10empty_typeEbEEZZNS1_14partition_implILS8_3ELb0ES6_jNS0_17counting_iteratorIjlEEPS9_SE_NS0_5tupleIJPjSE_EEENSF_IJSE_SE_EEES9_SG_JZNS1_25segmented_radix_sort_implINS0_14default_configELb0EPKhPhPKlPlN2at6native12_GLOBAL__N_18offset_tEEE10hipError_tPvRmT1_PNSt15iterator_traitsISY_E10value_typeET2_T3_PNSZ_IS14_E10value_typeET4_jRbjT5_S1A_jjP12ihipStream_tbEUljE_EEESV_SW_SX_S14_S18_S1A_T6_T7_T9_mT8_S1C_bDpT10_ENKUlT_T0_E_clISt17integral_constantIbLb0EES1P_EEDaS1K_S1L_EUlS1K_E_NS1_11comp_targetILNS1_3genE4ELNS1_11target_archE910ELNS1_3gpuE8ELNS1_3repE0EEENS1_30default_config_static_selectorELNS0_4arch9wavefront6targetE0EEEvSY_.has_recursion, 0
	.set _ZN7rocprim17ROCPRIM_400000_NS6detail17trampoline_kernelINS0_13select_configILj256ELj13ELNS0_17block_load_methodE3ELS4_3ELS4_3ELNS0_20block_scan_algorithmE0ELj4294967295EEENS1_25partition_config_selectorILNS1_17partition_subalgoE3EjNS0_10empty_typeEbEEZZNS1_14partition_implILS8_3ELb0ES6_jNS0_17counting_iteratorIjlEEPS9_SE_NS0_5tupleIJPjSE_EEENSF_IJSE_SE_EEES9_SG_JZNS1_25segmented_radix_sort_implINS0_14default_configELb0EPKhPhPKlPlN2at6native12_GLOBAL__N_18offset_tEEE10hipError_tPvRmT1_PNSt15iterator_traitsISY_E10value_typeET2_T3_PNSZ_IS14_E10value_typeET4_jRbjT5_S1A_jjP12ihipStream_tbEUljE_EEESV_SW_SX_S14_S18_S1A_T6_T7_T9_mT8_S1C_bDpT10_ENKUlT_T0_E_clISt17integral_constantIbLb0EES1P_EEDaS1K_S1L_EUlS1K_E_NS1_11comp_targetILNS1_3genE4ELNS1_11target_archE910ELNS1_3gpuE8ELNS1_3repE0EEENS1_30default_config_static_selectorELNS0_4arch9wavefront6targetE0EEEvSY_.has_indirect_call, 0
	.section	.AMDGPU.csdata,"",@progbits
; Kernel info:
; codeLenInByte = 0
; TotalNumSgprs: 0
; NumVgprs: 0
; ScratchSize: 0
; MemoryBound: 0
; FloatMode: 240
; IeeeMode: 1
; LDSByteSize: 0 bytes/workgroup (compile time only)
; SGPRBlocks: 0
; VGPRBlocks: 0
; NumSGPRsForWavesPerEU: 1
; NumVGPRsForWavesPerEU: 1
; NamedBarCnt: 0
; Occupancy: 16
; WaveLimiterHint : 0
; COMPUTE_PGM_RSRC2:SCRATCH_EN: 0
; COMPUTE_PGM_RSRC2:USER_SGPR: 2
; COMPUTE_PGM_RSRC2:TRAP_HANDLER: 0
; COMPUTE_PGM_RSRC2:TGID_X_EN: 1
; COMPUTE_PGM_RSRC2:TGID_Y_EN: 0
; COMPUTE_PGM_RSRC2:TGID_Z_EN: 0
; COMPUTE_PGM_RSRC2:TIDIG_COMP_CNT: 0
	.section	.text._ZN7rocprim17ROCPRIM_400000_NS6detail17trampoline_kernelINS0_13select_configILj256ELj13ELNS0_17block_load_methodE3ELS4_3ELS4_3ELNS0_20block_scan_algorithmE0ELj4294967295EEENS1_25partition_config_selectorILNS1_17partition_subalgoE3EjNS0_10empty_typeEbEEZZNS1_14partition_implILS8_3ELb0ES6_jNS0_17counting_iteratorIjlEEPS9_SE_NS0_5tupleIJPjSE_EEENSF_IJSE_SE_EEES9_SG_JZNS1_25segmented_radix_sort_implINS0_14default_configELb0EPKhPhPKlPlN2at6native12_GLOBAL__N_18offset_tEEE10hipError_tPvRmT1_PNSt15iterator_traitsISY_E10value_typeET2_T3_PNSZ_IS14_E10value_typeET4_jRbjT5_S1A_jjP12ihipStream_tbEUljE_EEESV_SW_SX_S14_S18_S1A_T6_T7_T9_mT8_S1C_bDpT10_ENKUlT_T0_E_clISt17integral_constantIbLb0EES1P_EEDaS1K_S1L_EUlS1K_E_NS1_11comp_targetILNS1_3genE3ELNS1_11target_archE908ELNS1_3gpuE7ELNS1_3repE0EEENS1_30default_config_static_selectorELNS0_4arch9wavefront6targetE0EEEvSY_,"axG",@progbits,_ZN7rocprim17ROCPRIM_400000_NS6detail17trampoline_kernelINS0_13select_configILj256ELj13ELNS0_17block_load_methodE3ELS4_3ELS4_3ELNS0_20block_scan_algorithmE0ELj4294967295EEENS1_25partition_config_selectorILNS1_17partition_subalgoE3EjNS0_10empty_typeEbEEZZNS1_14partition_implILS8_3ELb0ES6_jNS0_17counting_iteratorIjlEEPS9_SE_NS0_5tupleIJPjSE_EEENSF_IJSE_SE_EEES9_SG_JZNS1_25segmented_radix_sort_implINS0_14default_configELb0EPKhPhPKlPlN2at6native12_GLOBAL__N_18offset_tEEE10hipError_tPvRmT1_PNSt15iterator_traitsISY_E10value_typeET2_T3_PNSZ_IS14_E10value_typeET4_jRbjT5_S1A_jjP12ihipStream_tbEUljE_EEESV_SW_SX_S14_S18_S1A_T6_T7_T9_mT8_S1C_bDpT10_ENKUlT_T0_E_clISt17integral_constantIbLb0EES1P_EEDaS1K_S1L_EUlS1K_E_NS1_11comp_targetILNS1_3genE3ELNS1_11target_archE908ELNS1_3gpuE7ELNS1_3repE0EEENS1_30default_config_static_selectorELNS0_4arch9wavefront6targetE0EEEvSY_,comdat
	.globl	_ZN7rocprim17ROCPRIM_400000_NS6detail17trampoline_kernelINS0_13select_configILj256ELj13ELNS0_17block_load_methodE3ELS4_3ELS4_3ELNS0_20block_scan_algorithmE0ELj4294967295EEENS1_25partition_config_selectorILNS1_17partition_subalgoE3EjNS0_10empty_typeEbEEZZNS1_14partition_implILS8_3ELb0ES6_jNS0_17counting_iteratorIjlEEPS9_SE_NS0_5tupleIJPjSE_EEENSF_IJSE_SE_EEES9_SG_JZNS1_25segmented_radix_sort_implINS0_14default_configELb0EPKhPhPKlPlN2at6native12_GLOBAL__N_18offset_tEEE10hipError_tPvRmT1_PNSt15iterator_traitsISY_E10value_typeET2_T3_PNSZ_IS14_E10value_typeET4_jRbjT5_S1A_jjP12ihipStream_tbEUljE_EEESV_SW_SX_S14_S18_S1A_T6_T7_T9_mT8_S1C_bDpT10_ENKUlT_T0_E_clISt17integral_constantIbLb0EES1P_EEDaS1K_S1L_EUlS1K_E_NS1_11comp_targetILNS1_3genE3ELNS1_11target_archE908ELNS1_3gpuE7ELNS1_3repE0EEENS1_30default_config_static_selectorELNS0_4arch9wavefront6targetE0EEEvSY_ ; -- Begin function _ZN7rocprim17ROCPRIM_400000_NS6detail17trampoline_kernelINS0_13select_configILj256ELj13ELNS0_17block_load_methodE3ELS4_3ELS4_3ELNS0_20block_scan_algorithmE0ELj4294967295EEENS1_25partition_config_selectorILNS1_17partition_subalgoE3EjNS0_10empty_typeEbEEZZNS1_14partition_implILS8_3ELb0ES6_jNS0_17counting_iteratorIjlEEPS9_SE_NS0_5tupleIJPjSE_EEENSF_IJSE_SE_EEES9_SG_JZNS1_25segmented_radix_sort_implINS0_14default_configELb0EPKhPhPKlPlN2at6native12_GLOBAL__N_18offset_tEEE10hipError_tPvRmT1_PNSt15iterator_traitsISY_E10value_typeET2_T3_PNSZ_IS14_E10value_typeET4_jRbjT5_S1A_jjP12ihipStream_tbEUljE_EEESV_SW_SX_S14_S18_S1A_T6_T7_T9_mT8_S1C_bDpT10_ENKUlT_T0_E_clISt17integral_constantIbLb0EES1P_EEDaS1K_S1L_EUlS1K_E_NS1_11comp_targetILNS1_3genE3ELNS1_11target_archE908ELNS1_3gpuE7ELNS1_3repE0EEENS1_30default_config_static_selectorELNS0_4arch9wavefront6targetE0EEEvSY_
	.p2align	8
	.type	_ZN7rocprim17ROCPRIM_400000_NS6detail17trampoline_kernelINS0_13select_configILj256ELj13ELNS0_17block_load_methodE3ELS4_3ELS4_3ELNS0_20block_scan_algorithmE0ELj4294967295EEENS1_25partition_config_selectorILNS1_17partition_subalgoE3EjNS0_10empty_typeEbEEZZNS1_14partition_implILS8_3ELb0ES6_jNS0_17counting_iteratorIjlEEPS9_SE_NS0_5tupleIJPjSE_EEENSF_IJSE_SE_EEES9_SG_JZNS1_25segmented_radix_sort_implINS0_14default_configELb0EPKhPhPKlPlN2at6native12_GLOBAL__N_18offset_tEEE10hipError_tPvRmT1_PNSt15iterator_traitsISY_E10value_typeET2_T3_PNSZ_IS14_E10value_typeET4_jRbjT5_S1A_jjP12ihipStream_tbEUljE_EEESV_SW_SX_S14_S18_S1A_T6_T7_T9_mT8_S1C_bDpT10_ENKUlT_T0_E_clISt17integral_constantIbLb0EES1P_EEDaS1K_S1L_EUlS1K_E_NS1_11comp_targetILNS1_3genE3ELNS1_11target_archE908ELNS1_3gpuE7ELNS1_3repE0EEENS1_30default_config_static_selectorELNS0_4arch9wavefront6targetE0EEEvSY_,@function
_ZN7rocprim17ROCPRIM_400000_NS6detail17trampoline_kernelINS0_13select_configILj256ELj13ELNS0_17block_load_methodE3ELS4_3ELS4_3ELNS0_20block_scan_algorithmE0ELj4294967295EEENS1_25partition_config_selectorILNS1_17partition_subalgoE3EjNS0_10empty_typeEbEEZZNS1_14partition_implILS8_3ELb0ES6_jNS0_17counting_iteratorIjlEEPS9_SE_NS0_5tupleIJPjSE_EEENSF_IJSE_SE_EEES9_SG_JZNS1_25segmented_radix_sort_implINS0_14default_configELb0EPKhPhPKlPlN2at6native12_GLOBAL__N_18offset_tEEE10hipError_tPvRmT1_PNSt15iterator_traitsISY_E10value_typeET2_T3_PNSZ_IS14_E10value_typeET4_jRbjT5_S1A_jjP12ihipStream_tbEUljE_EEESV_SW_SX_S14_S18_S1A_T6_T7_T9_mT8_S1C_bDpT10_ENKUlT_T0_E_clISt17integral_constantIbLb0EES1P_EEDaS1K_S1L_EUlS1K_E_NS1_11comp_targetILNS1_3genE3ELNS1_11target_archE908ELNS1_3gpuE7ELNS1_3repE0EEENS1_30default_config_static_selectorELNS0_4arch9wavefront6targetE0EEEvSY_: ; @_ZN7rocprim17ROCPRIM_400000_NS6detail17trampoline_kernelINS0_13select_configILj256ELj13ELNS0_17block_load_methodE3ELS4_3ELS4_3ELNS0_20block_scan_algorithmE0ELj4294967295EEENS1_25partition_config_selectorILNS1_17partition_subalgoE3EjNS0_10empty_typeEbEEZZNS1_14partition_implILS8_3ELb0ES6_jNS0_17counting_iteratorIjlEEPS9_SE_NS0_5tupleIJPjSE_EEENSF_IJSE_SE_EEES9_SG_JZNS1_25segmented_radix_sort_implINS0_14default_configELb0EPKhPhPKlPlN2at6native12_GLOBAL__N_18offset_tEEE10hipError_tPvRmT1_PNSt15iterator_traitsISY_E10value_typeET2_T3_PNSZ_IS14_E10value_typeET4_jRbjT5_S1A_jjP12ihipStream_tbEUljE_EEESV_SW_SX_S14_S18_S1A_T6_T7_T9_mT8_S1C_bDpT10_ENKUlT_T0_E_clISt17integral_constantIbLb0EES1P_EEDaS1K_S1L_EUlS1K_E_NS1_11comp_targetILNS1_3genE3ELNS1_11target_archE908ELNS1_3gpuE7ELNS1_3repE0EEENS1_30default_config_static_selectorELNS0_4arch9wavefront6targetE0EEEvSY_
; %bb.0:
	.section	.rodata,"a",@progbits
	.p2align	6, 0x0
	.amdhsa_kernel _ZN7rocprim17ROCPRIM_400000_NS6detail17trampoline_kernelINS0_13select_configILj256ELj13ELNS0_17block_load_methodE3ELS4_3ELS4_3ELNS0_20block_scan_algorithmE0ELj4294967295EEENS1_25partition_config_selectorILNS1_17partition_subalgoE3EjNS0_10empty_typeEbEEZZNS1_14partition_implILS8_3ELb0ES6_jNS0_17counting_iteratorIjlEEPS9_SE_NS0_5tupleIJPjSE_EEENSF_IJSE_SE_EEES9_SG_JZNS1_25segmented_radix_sort_implINS0_14default_configELb0EPKhPhPKlPlN2at6native12_GLOBAL__N_18offset_tEEE10hipError_tPvRmT1_PNSt15iterator_traitsISY_E10value_typeET2_T3_PNSZ_IS14_E10value_typeET4_jRbjT5_S1A_jjP12ihipStream_tbEUljE_EEESV_SW_SX_S14_S18_S1A_T6_T7_T9_mT8_S1C_bDpT10_ENKUlT_T0_E_clISt17integral_constantIbLb0EES1P_EEDaS1K_S1L_EUlS1K_E_NS1_11comp_targetILNS1_3genE3ELNS1_11target_archE908ELNS1_3gpuE7ELNS1_3repE0EEENS1_30default_config_static_selectorELNS0_4arch9wavefront6targetE0EEEvSY_
		.amdhsa_group_segment_fixed_size 0
		.amdhsa_private_segment_fixed_size 0
		.amdhsa_kernarg_size 144
		.amdhsa_user_sgpr_count 2
		.amdhsa_user_sgpr_dispatch_ptr 0
		.amdhsa_user_sgpr_queue_ptr 0
		.amdhsa_user_sgpr_kernarg_segment_ptr 1
		.amdhsa_user_sgpr_dispatch_id 0
		.amdhsa_user_sgpr_kernarg_preload_length 0
		.amdhsa_user_sgpr_kernarg_preload_offset 0
		.amdhsa_user_sgpr_private_segment_size 0
		.amdhsa_wavefront_size32 1
		.amdhsa_uses_dynamic_stack 0
		.amdhsa_enable_private_segment 0
		.amdhsa_system_sgpr_workgroup_id_x 1
		.amdhsa_system_sgpr_workgroup_id_y 0
		.amdhsa_system_sgpr_workgroup_id_z 0
		.amdhsa_system_sgpr_workgroup_info 0
		.amdhsa_system_vgpr_workitem_id 0
		.amdhsa_next_free_vgpr 1
		.amdhsa_next_free_sgpr 1
		.amdhsa_named_barrier_count 0
		.amdhsa_reserve_vcc 0
		.amdhsa_float_round_mode_32 0
		.amdhsa_float_round_mode_16_64 0
		.amdhsa_float_denorm_mode_32 3
		.amdhsa_float_denorm_mode_16_64 3
		.amdhsa_fp16_overflow 0
		.amdhsa_memory_ordered 1
		.amdhsa_forward_progress 1
		.amdhsa_inst_pref_size 0
		.amdhsa_round_robin_scheduling 0
		.amdhsa_exception_fp_ieee_invalid_op 0
		.amdhsa_exception_fp_denorm_src 0
		.amdhsa_exception_fp_ieee_div_zero 0
		.amdhsa_exception_fp_ieee_overflow 0
		.amdhsa_exception_fp_ieee_underflow 0
		.amdhsa_exception_fp_ieee_inexact 0
		.amdhsa_exception_int_div_zero 0
	.end_amdhsa_kernel
	.section	.text._ZN7rocprim17ROCPRIM_400000_NS6detail17trampoline_kernelINS0_13select_configILj256ELj13ELNS0_17block_load_methodE3ELS4_3ELS4_3ELNS0_20block_scan_algorithmE0ELj4294967295EEENS1_25partition_config_selectorILNS1_17partition_subalgoE3EjNS0_10empty_typeEbEEZZNS1_14partition_implILS8_3ELb0ES6_jNS0_17counting_iteratorIjlEEPS9_SE_NS0_5tupleIJPjSE_EEENSF_IJSE_SE_EEES9_SG_JZNS1_25segmented_radix_sort_implINS0_14default_configELb0EPKhPhPKlPlN2at6native12_GLOBAL__N_18offset_tEEE10hipError_tPvRmT1_PNSt15iterator_traitsISY_E10value_typeET2_T3_PNSZ_IS14_E10value_typeET4_jRbjT5_S1A_jjP12ihipStream_tbEUljE_EEESV_SW_SX_S14_S18_S1A_T6_T7_T9_mT8_S1C_bDpT10_ENKUlT_T0_E_clISt17integral_constantIbLb0EES1P_EEDaS1K_S1L_EUlS1K_E_NS1_11comp_targetILNS1_3genE3ELNS1_11target_archE908ELNS1_3gpuE7ELNS1_3repE0EEENS1_30default_config_static_selectorELNS0_4arch9wavefront6targetE0EEEvSY_,"axG",@progbits,_ZN7rocprim17ROCPRIM_400000_NS6detail17trampoline_kernelINS0_13select_configILj256ELj13ELNS0_17block_load_methodE3ELS4_3ELS4_3ELNS0_20block_scan_algorithmE0ELj4294967295EEENS1_25partition_config_selectorILNS1_17partition_subalgoE3EjNS0_10empty_typeEbEEZZNS1_14partition_implILS8_3ELb0ES6_jNS0_17counting_iteratorIjlEEPS9_SE_NS0_5tupleIJPjSE_EEENSF_IJSE_SE_EEES9_SG_JZNS1_25segmented_radix_sort_implINS0_14default_configELb0EPKhPhPKlPlN2at6native12_GLOBAL__N_18offset_tEEE10hipError_tPvRmT1_PNSt15iterator_traitsISY_E10value_typeET2_T3_PNSZ_IS14_E10value_typeET4_jRbjT5_S1A_jjP12ihipStream_tbEUljE_EEESV_SW_SX_S14_S18_S1A_T6_T7_T9_mT8_S1C_bDpT10_ENKUlT_T0_E_clISt17integral_constantIbLb0EES1P_EEDaS1K_S1L_EUlS1K_E_NS1_11comp_targetILNS1_3genE3ELNS1_11target_archE908ELNS1_3gpuE7ELNS1_3repE0EEENS1_30default_config_static_selectorELNS0_4arch9wavefront6targetE0EEEvSY_,comdat
.Lfunc_end156:
	.size	_ZN7rocprim17ROCPRIM_400000_NS6detail17trampoline_kernelINS0_13select_configILj256ELj13ELNS0_17block_load_methodE3ELS4_3ELS4_3ELNS0_20block_scan_algorithmE0ELj4294967295EEENS1_25partition_config_selectorILNS1_17partition_subalgoE3EjNS0_10empty_typeEbEEZZNS1_14partition_implILS8_3ELb0ES6_jNS0_17counting_iteratorIjlEEPS9_SE_NS0_5tupleIJPjSE_EEENSF_IJSE_SE_EEES9_SG_JZNS1_25segmented_radix_sort_implINS0_14default_configELb0EPKhPhPKlPlN2at6native12_GLOBAL__N_18offset_tEEE10hipError_tPvRmT1_PNSt15iterator_traitsISY_E10value_typeET2_T3_PNSZ_IS14_E10value_typeET4_jRbjT5_S1A_jjP12ihipStream_tbEUljE_EEESV_SW_SX_S14_S18_S1A_T6_T7_T9_mT8_S1C_bDpT10_ENKUlT_T0_E_clISt17integral_constantIbLb0EES1P_EEDaS1K_S1L_EUlS1K_E_NS1_11comp_targetILNS1_3genE3ELNS1_11target_archE908ELNS1_3gpuE7ELNS1_3repE0EEENS1_30default_config_static_selectorELNS0_4arch9wavefront6targetE0EEEvSY_, .Lfunc_end156-_ZN7rocprim17ROCPRIM_400000_NS6detail17trampoline_kernelINS0_13select_configILj256ELj13ELNS0_17block_load_methodE3ELS4_3ELS4_3ELNS0_20block_scan_algorithmE0ELj4294967295EEENS1_25partition_config_selectorILNS1_17partition_subalgoE3EjNS0_10empty_typeEbEEZZNS1_14partition_implILS8_3ELb0ES6_jNS0_17counting_iteratorIjlEEPS9_SE_NS0_5tupleIJPjSE_EEENSF_IJSE_SE_EEES9_SG_JZNS1_25segmented_radix_sort_implINS0_14default_configELb0EPKhPhPKlPlN2at6native12_GLOBAL__N_18offset_tEEE10hipError_tPvRmT1_PNSt15iterator_traitsISY_E10value_typeET2_T3_PNSZ_IS14_E10value_typeET4_jRbjT5_S1A_jjP12ihipStream_tbEUljE_EEESV_SW_SX_S14_S18_S1A_T6_T7_T9_mT8_S1C_bDpT10_ENKUlT_T0_E_clISt17integral_constantIbLb0EES1P_EEDaS1K_S1L_EUlS1K_E_NS1_11comp_targetILNS1_3genE3ELNS1_11target_archE908ELNS1_3gpuE7ELNS1_3repE0EEENS1_30default_config_static_selectorELNS0_4arch9wavefront6targetE0EEEvSY_
                                        ; -- End function
	.set _ZN7rocprim17ROCPRIM_400000_NS6detail17trampoline_kernelINS0_13select_configILj256ELj13ELNS0_17block_load_methodE3ELS4_3ELS4_3ELNS0_20block_scan_algorithmE0ELj4294967295EEENS1_25partition_config_selectorILNS1_17partition_subalgoE3EjNS0_10empty_typeEbEEZZNS1_14partition_implILS8_3ELb0ES6_jNS0_17counting_iteratorIjlEEPS9_SE_NS0_5tupleIJPjSE_EEENSF_IJSE_SE_EEES9_SG_JZNS1_25segmented_radix_sort_implINS0_14default_configELb0EPKhPhPKlPlN2at6native12_GLOBAL__N_18offset_tEEE10hipError_tPvRmT1_PNSt15iterator_traitsISY_E10value_typeET2_T3_PNSZ_IS14_E10value_typeET4_jRbjT5_S1A_jjP12ihipStream_tbEUljE_EEESV_SW_SX_S14_S18_S1A_T6_T7_T9_mT8_S1C_bDpT10_ENKUlT_T0_E_clISt17integral_constantIbLb0EES1P_EEDaS1K_S1L_EUlS1K_E_NS1_11comp_targetILNS1_3genE3ELNS1_11target_archE908ELNS1_3gpuE7ELNS1_3repE0EEENS1_30default_config_static_selectorELNS0_4arch9wavefront6targetE0EEEvSY_.num_vgpr, 0
	.set _ZN7rocprim17ROCPRIM_400000_NS6detail17trampoline_kernelINS0_13select_configILj256ELj13ELNS0_17block_load_methodE3ELS4_3ELS4_3ELNS0_20block_scan_algorithmE0ELj4294967295EEENS1_25partition_config_selectorILNS1_17partition_subalgoE3EjNS0_10empty_typeEbEEZZNS1_14partition_implILS8_3ELb0ES6_jNS0_17counting_iteratorIjlEEPS9_SE_NS0_5tupleIJPjSE_EEENSF_IJSE_SE_EEES9_SG_JZNS1_25segmented_radix_sort_implINS0_14default_configELb0EPKhPhPKlPlN2at6native12_GLOBAL__N_18offset_tEEE10hipError_tPvRmT1_PNSt15iterator_traitsISY_E10value_typeET2_T3_PNSZ_IS14_E10value_typeET4_jRbjT5_S1A_jjP12ihipStream_tbEUljE_EEESV_SW_SX_S14_S18_S1A_T6_T7_T9_mT8_S1C_bDpT10_ENKUlT_T0_E_clISt17integral_constantIbLb0EES1P_EEDaS1K_S1L_EUlS1K_E_NS1_11comp_targetILNS1_3genE3ELNS1_11target_archE908ELNS1_3gpuE7ELNS1_3repE0EEENS1_30default_config_static_selectorELNS0_4arch9wavefront6targetE0EEEvSY_.num_agpr, 0
	.set _ZN7rocprim17ROCPRIM_400000_NS6detail17trampoline_kernelINS0_13select_configILj256ELj13ELNS0_17block_load_methodE3ELS4_3ELS4_3ELNS0_20block_scan_algorithmE0ELj4294967295EEENS1_25partition_config_selectorILNS1_17partition_subalgoE3EjNS0_10empty_typeEbEEZZNS1_14partition_implILS8_3ELb0ES6_jNS0_17counting_iteratorIjlEEPS9_SE_NS0_5tupleIJPjSE_EEENSF_IJSE_SE_EEES9_SG_JZNS1_25segmented_radix_sort_implINS0_14default_configELb0EPKhPhPKlPlN2at6native12_GLOBAL__N_18offset_tEEE10hipError_tPvRmT1_PNSt15iterator_traitsISY_E10value_typeET2_T3_PNSZ_IS14_E10value_typeET4_jRbjT5_S1A_jjP12ihipStream_tbEUljE_EEESV_SW_SX_S14_S18_S1A_T6_T7_T9_mT8_S1C_bDpT10_ENKUlT_T0_E_clISt17integral_constantIbLb0EES1P_EEDaS1K_S1L_EUlS1K_E_NS1_11comp_targetILNS1_3genE3ELNS1_11target_archE908ELNS1_3gpuE7ELNS1_3repE0EEENS1_30default_config_static_selectorELNS0_4arch9wavefront6targetE0EEEvSY_.numbered_sgpr, 0
	.set _ZN7rocprim17ROCPRIM_400000_NS6detail17trampoline_kernelINS0_13select_configILj256ELj13ELNS0_17block_load_methodE3ELS4_3ELS4_3ELNS0_20block_scan_algorithmE0ELj4294967295EEENS1_25partition_config_selectorILNS1_17partition_subalgoE3EjNS0_10empty_typeEbEEZZNS1_14partition_implILS8_3ELb0ES6_jNS0_17counting_iteratorIjlEEPS9_SE_NS0_5tupleIJPjSE_EEENSF_IJSE_SE_EEES9_SG_JZNS1_25segmented_radix_sort_implINS0_14default_configELb0EPKhPhPKlPlN2at6native12_GLOBAL__N_18offset_tEEE10hipError_tPvRmT1_PNSt15iterator_traitsISY_E10value_typeET2_T3_PNSZ_IS14_E10value_typeET4_jRbjT5_S1A_jjP12ihipStream_tbEUljE_EEESV_SW_SX_S14_S18_S1A_T6_T7_T9_mT8_S1C_bDpT10_ENKUlT_T0_E_clISt17integral_constantIbLb0EES1P_EEDaS1K_S1L_EUlS1K_E_NS1_11comp_targetILNS1_3genE3ELNS1_11target_archE908ELNS1_3gpuE7ELNS1_3repE0EEENS1_30default_config_static_selectorELNS0_4arch9wavefront6targetE0EEEvSY_.num_named_barrier, 0
	.set _ZN7rocprim17ROCPRIM_400000_NS6detail17trampoline_kernelINS0_13select_configILj256ELj13ELNS0_17block_load_methodE3ELS4_3ELS4_3ELNS0_20block_scan_algorithmE0ELj4294967295EEENS1_25partition_config_selectorILNS1_17partition_subalgoE3EjNS0_10empty_typeEbEEZZNS1_14partition_implILS8_3ELb0ES6_jNS0_17counting_iteratorIjlEEPS9_SE_NS0_5tupleIJPjSE_EEENSF_IJSE_SE_EEES9_SG_JZNS1_25segmented_radix_sort_implINS0_14default_configELb0EPKhPhPKlPlN2at6native12_GLOBAL__N_18offset_tEEE10hipError_tPvRmT1_PNSt15iterator_traitsISY_E10value_typeET2_T3_PNSZ_IS14_E10value_typeET4_jRbjT5_S1A_jjP12ihipStream_tbEUljE_EEESV_SW_SX_S14_S18_S1A_T6_T7_T9_mT8_S1C_bDpT10_ENKUlT_T0_E_clISt17integral_constantIbLb0EES1P_EEDaS1K_S1L_EUlS1K_E_NS1_11comp_targetILNS1_3genE3ELNS1_11target_archE908ELNS1_3gpuE7ELNS1_3repE0EEENS1_30default_config_static_selectorELNS0_4arch9wavefront6targetE0EEEvSY_.private_seg_size, 0
	.set _ZN7rocprim17ROCPRIM_400000_NS6detail17trampoline_kernelINS0_13select_configILj256ELj13ELNS0_17block_load_methodE3ELS4_3ELS4_3ELNS0_20block_scan_algorithmE0ELj4294967295EEENS1_25partition_config_selectorILNS1_17partition_subalgoE3EjNS0_10empty_typeEbEEZZNS1_14partition_implILS8_3ELb0ES6_jNS0_17counting_iteratorIjlEEPS9_SE_NS0_5tupleIJPjSE_EEENSF_IJSE_SE_EEES9_SG_JZNS1_25segmented_radix_sort_implINS0_14default_configELb0EPKhPhPKlPlN2at6native12_GLOBAL__N_18offset_tEEE10hipError_tPvRmT1_PNSt15iterator_traitsISY_E10value_typeET2_T3_PNSZ_IS14_E10value_typeET4_jRbjT5_S1A_jjP12ihipStream_tbEUljE_EEESV_SW_SX_S14_S18_S1A_T6_T7_T9_mT8_S1C_bDpT10_ENKUlT_T0_E_clISt17integral_constantIbLb0EES1P_EEDaS1K_S1L_EUlS1K_E_NS1_11comp_targetILNS1_3genE3ELNS1_11target_archE908ELNS1_3gpuE7ELNS1_3repE0EEENS1_30default_config_static_selectorELNS0_4arch9wavefront6targetE0EEEvSY_.uses_vcc, 0
	.set _ZN7rocprim17ROCPRIM_400000_NS6detail17trampoline_kernelINS0_13select_configILj256ELj13ELNS0_17block_load_methodE3ELS4_3ELS4_3ELNS0_20block_scan_algorithmE0ELj4294967295EEENS1_25partition_config_selectorILNS1_17partition_subalgoE3EjNS0_10empty_typeEbEEZZNS1_14partition_implILS8_3ELb0ES6_jNS0_17counting_iteratorIjlEEPS9_SE_NS0_5tupleIJPjSE_EEENSF_IJSE_SE_EEES9_SG_JZNS1_25segmented_radix_sort_implINS0_14default_configELb0EPKhPhPKlPlN2at6native12_GLOBAL__N_18offset_tEEE10hipError_tPvRmT1_PNSt15iterator_traitsISY_E10value_typeET2_T3_PNSZ_IS14_E10value_typeET4_jRbjT5_S1A_jjP12ihipStream_tbEUljE_EEESV_SW_SX_S14_S18_S1A_T6_T7_T9_mT8_S1C_bDpT10_ENKUlT_T0_E_clISt17integral_constantIbLb0EES1P_EEDaS1K_S1L_EUlS1K_E_NS1_11comp_targetILNS1_3genE3ELNS1_11target_archE908ELNS1_3gpuE7ELNS1_3repE0EEENS1_30default_config_static_selectorELNS0_4arch9wavefront6targetE0EEEvSY_.uses_flat_scratch, 0
	.set _ZN7rocprim17ROCPRIM_400000_NS6detail17trampoline_kernelINS0_13select_configILj256ELj13ELNS0_17block_load_methodE3ELS4_3ELS4_3ELNS0_20block_scan_algorithmE0ELj4294967295EEENS1_25partition_config_selectorILNS1_17partition_subalgoE3EjNS0_10empty_typeEbEEZZNS1_14partition_implILS8_3ELb0ES6_jNS0_17counting_iteratorIjlEEPS9_SE_NS0_5tupleIJPjSE_EEENSF_IJSE_SE_EEES9_SG_JZNS1_25segmented_radix_sort_implINS0_14default_configELb0EPKhPhPKlPlN2at6native12_GLOBAL__N_18offset_tEEE10hipError_tPvRmT1_PNSt15iterator_traitsISY_E10value_typeET2_T3_PNSZ_IS14_E10value_typeET4_jRbjT5_S1A_jjP12ihipStream_tbEUljE_EEESV_SW_SX_S14_S18_S1A_T6_T7_T9_mT8_S1C_bDpT10_ENKUlT_T0_E_clISt17integral_constantIbLb0EES1P_EEDaS1K_S1L_EUlS1K_E_NS1_11comp_targetILNS1_3genE3ELNS1_11target_archE908ELNS1_3gpuE7ELNS1_3repE0EEENS1_30default_config_static_selectorELNS0_4arch9wavefront6targetE0EEEvSY_.has_dyn_sized_stack, 0
	.set _ZN7rocprim17ROCPRIM_400000_NS6detail17trampoline_kernelINS0_13select_configILj256ELj13ELNS0_17block_load_methodE3ELS4_3ELS4_3ELNS0_20block_scan_algorithmE0ELj4294967295EEENS1_25partition_config_selectorILNS1_17partition_subalgoE3EjNS0_10empty_typeEbEEZZNS1_14partition_implILS8_3ELb0ES6_jNS0_17counting_iteratorIjlEEPS9_SE_NS0_5tupleIJPjSE_EEENSF_IJSE_SE_EEES9_SG_JZNS1_25segmented_radix_sort_implINS0_14default_configELb0EPKhPhPKlPlN2at6native12_GLOBAL__N_18offset_tEEE10hipError_tPvRmT1_PNSt15iterator_traitsISY_E10value_typeET2_T3_PNSZ_IS14_E10value_typeET4_jRbjT5_S1A_jjP12ihipStream_tbEUljE_EEESV_SW_SX_S14_S18_S1A_T6_T7_T9_mT8_S1C_bDpT10_ENKUlT_T0_E_clISt17integral_constantIbLb0EES1P_EEDaS1K_S1L_EUlS1K_E_NS1_11comp_targetILNS1_3genE3ELNS1_11target_archE908ELNS1_3gpuE7ELNS1_3repE0EEENS1_30default_config_static_selectorELNS0_4arch9wavefront6targetE0EEEvSY_.has_recursion, 0
	.set _ZN7rocprim17ROCPRIM_400000_NS6detail17trampoline_kernelINS0_13select_configILj256ELj13ELNS0_17block_load_methodE3ELS4_3ELS4_3ELNS0_20block_scan_algorithmE0ELj4294967295EEENS1_25partition_config_selectorILNS1_17partition_subalgoE3EjNS0_10empty_typeEbEEZZNS1_14partition_implILS8_3ELb0ES6_jNS0_17counting_iteratorIjlEEPS9_SE_NS0_5tupleIJPjSE_EEENSF_IJSE_SE_EEES9_SG_JZNS1_25segmented_radix_sort_implINS0_14default_configELb0EPKhPhPKlPlN2at6native12_GLOBAL__N_18offset_tEEE10hipError_tPvRmT1_PNSt15iterator_traitsISY_E10value_typeET2_T3_PNSZ_IS14_E10value_typeET4_jRbjT5_S1A_jjP12ihipStream_tbEUljE_EEESV_SW_SX_S14_S18_S1A_T6_T7_T9_mT8_S1C_bDpT10_ENKUlT_T0_E_clISt17integral_constantIbLb0EES1P_EEDaS1K_S1L_EUlS1K_E_NS1_11comp_targetILNS1_3genE3ELNS1_11target_archE908ELNS1_3gpuE7ELNS1_3repE0EEENS1_30default_config_static_selectorELNS0_4arch9wavefront6targetE0EEEvSY_.has_indirect_call, 0
	.section	.AMDGPU.csdata,"",@progbits
; Kernel info:
; codeLenInByte = 0
; TotalNumSgprs: 0
; NumVgprs: 0
; ScratchSize: 0
; MemoryBound: 0
; FloatMode: 240
; IeeeMode: 1
; LDSByteSize: 0 bytes/workgroup (compile time only)
; SGPRBlocks: 0
; VGPRBlocks: 0
; NumSGPRsForWavesPerEU: 1
; NumVGPRsForWavesPerEU: 1
; NamedBarCnt: 0
; Occupancy: 16
; WaveLimiterHint : 0
; COMPUTE_PGM_RSRC2:SCRATCH_EN: 0
; COMPUTE_PGM_RSRC2:USER_SGPR: 2
; COMPUTE_PGM_RSRC2:TRAP_HANDLER: 0
; COMPUTE_PGM_RSRC2:TGID_X_EN: 1
; COMPUTE_PGM_RSRC2:TGID_Y_EN: 0
; COMPUTE_PGM_RSRC2:TGID_Z_EN: 0
; COMPUTE_PGM_RSRC2:TIDIG_COMP_CNT: 0
	.section	.text._ZN7rocprim17ROCPRIM_400000_NS6detail17trampoline_kernelINS0_13select_configILj256ELj13ELNS0_17block_load_methodE3ELS4_3ELS4_3ELNS0_20block_scan_algorithmE0ELj4294967295EEENS1_25partition_config_selectorILNS1_17partition_subalgoE3EjNS0_10empty_typeEbEEZZNS1_14partition_implILS8_3ELb0ES6_jNS0_17counting_iteratorIjlEEPS9_SE_NS0_5tupleIJPjSE_EEENSF_IJSE_SE_EEES9_SG_JZNS1_25segmented_radix_sort_implINS0_14default_configELb0EPKhPhPKlPlN2at6native12_GLOBAL__N_18offset_tEEE10hipError_tPvRmT1_PNSt15iterator_traitsISY_E10value_typeET2_T3_PNSZ_IS14_E10value_typeET4_jRbjT5_S1A_jjP12ihipStream_tbEUljE_EEESV_SW_SX_S14_S18_S1A_T6_T7_T9_mT8_S1C_bDpT10_ENKUlT_T0_E_clISt17integral_constantIbLb0EES1P_EEDaS1K_S1L_EUlS1K_E_NS1_11comp_targetILNS1_3genE2ELNS1_11target_archE906ELNS1_3gpuE6ELNS1_3repE0EEENS1_30default_config_static_selectorELNS0_4arch9wavefront6targetE0EEEvSY_,"axG",@progbits,_ZN7rocprim17ROCPRIM_400000_NS6detail17trampoline_kernelINS0_13select_configILj256ELj13ELNS0_17block_load_methodE3ELS4_3ELS4_3ELNS0_20block_scan_algorithmE0ELj4294967295EEENS1_25partition_config_selectorILNS1_17partition_subalgoE3EjNS0_10empty_typeEbEEZZNS1_14partition_implILS8_3ELb0ES6_jNS0_17counting_iteratorIjlEEPS9_SE_NS0_5tupleIJPjSE_EEENSF_IJSE_SE_EEES9_SG_JZNS1_25segmented_radix_sort_implINS0_14default_configELb0EPKhPhPKlPlN2at6native12_GLOBAL__N_18offset_tEEE10hipError_tPvRmT1_PNSt15iterator_traitsISY_E10value_typeET2_T3_PNSZ_IS14_E10value_typeET4_jRbjT5_S1A_jjP12ihipStream_tbEUljE_EEESV_SW_SX_S14_S18_S1A_T6_T7_T9_mT8_S1C_bDpT10_ENKUlT_T0_E_clISt17integral_constantIbLb0EES1P_EEDaS1K_S1L_EUlS1K_E_NS1_11comp_targetILNS1_3genE2ELNS1_11target_archE906ELNS1_3gpuE6ELNS1_3repE0EEENS1_30default_config_static_selectorELNS0_4arch9wavefront6targetE0EEEvSY_,comdat
	.globl	_ZN7rocprim17ROCPRIM_400000_NS6detail17trampoline_kernelINS0_13select_configILj256ELj13ELNS0_17block_load_methodE3ELS4_3ELS4_3ELNS0_20block_scan_algorithmE0ELj4294967295EEENS1_25partition_config_selectorILNS1_17partition_subalgoE3EjNS0_10empty_typeEbEEZZNS1_14partition_implILS8_3ELb0ES6_jNS0_17counting_iteratorIjlEEPS9_SE_NS0_5tupleIJPjSE_EEENSF_IJSE_SE_EEES9_SG_JZNS1_25segmented_radix_sort_implINS0_14default_configELb0EPKhPhPKlPlN2at6native12_GLOBAL__N_18offset_tEEE10hipError_tPvRmT1_PNSt15iterator_traitsISY_E10value_typeET2_T3_PNSZ_IS14_E10value_typeET4_jRbjT5_S1A_jjP12ihipStream_tbEUljE_EEESV_SW_SX_S14_S18_S1A_T6_T7_T9_mT8_S1C_bDpT10_ENKUlT_T0_E_clISt17integral_constantIbLb0EES1P_EEDaS1K_S1L_EUlS1K_E_NS1_11comp_targetILNS1_3genE2ELNS1_11target_archE906ELNS1_3gpuE6ELNS1_3repE0EEENS1_30default_config_static_selectorELNS0_4arch9wavefront6targetE0EEEvSY_ ; -- Begin function _ZN7rocprim17ROCPRIM_400000_NS6detail17trampoline_kernelINS0_13select_configILj256ELj13ELNS0_17block_load_methodE3ELS4_3ELS4_3ELNS0_20block_scan_algorithmE0ELj4294967295EEENS1_25partition_config_selectorILNS1_17partition_subalgoE3EjNS0_10empty_typeEbEEZZNS1_14partition_implILS8_3ELb0ES6_jNS0_17counting_iteratorIjlEEPS9_SE_NS0_5tupleIJPjSE_EEENSF_IJSE_SE_EEES9_SG_JZNS1_25segmented_radix_sort_implINS0_14default_configELb0EPKhPhPKlPlN2at6native12_GLOBAL__N_18offset_tEEE10hipError_tPvRmT1_PNSt15iterator_traitsISY_E10value_typeET2_T3_PNSZ_IS14_E10value_typeET4_jRbjT5_S1A_jjP12ihipStream_tbEUljE_EEESV_SW_SX_S14_S18_S1A_T6_T7_T9_mT8_S1C_bDpT10_ENKUlT_T0_E_clISt17integral_constantIbLb0EES1P_EEDaS1K_S1L_EUlS1K_E_NS1_11comp_targetILNS1_3genE2ELNS1_11target_archE906ELNS1_3gpuE6ELNS1_3repE0EEENS1_30default_config_static_selectorELNS0_4arch9wavefront6targetE0EEEvSY_
	.p2align	8
	.type	_ZN7rocprim17ROCPRIM_400000_NS6detail17trampoline_kernelINS0_13select_configILj256ELj13ELNS0_17block_load_methodE3ELS4_3ELS4_3ELNS0_20block_scan_algorithmE0ELj4294967295EEENS1_25partition_config_selectorILNS1_17partition_subalgoE3EjNS0_10empty_typeEbEEZZNS1_14partition_implILS8_3ELb0ES6_jNS0_17counting_iteratorIjlEEPS9_SE_NS0_5tupleIJPjSE_EEENSF_IJSE_SE_EEES9_SG_JZNS1_25segmented_radix_sort_implINS0_14default_configELb0EPKhPhPKlPlN2at6native12_GLOBAL__N_18offset_tEEE10hipError_tPvRmT1_PNSt15iterator_traitsISY_E10value_typeET2_T3_PNSZ_IS14_E10value_typeET4_jRbjT5_S1A_jjP12ihipStream_tbEUljE_EEESV_SW_SX_S14_S18_S1A_T6_T7_T9_mT8_S1C_bDpT10_ENKUlT_T0_E_clISt17integral_constantIbLb0EES1P_EEDaS1K_S1L_EUlS1K_E_NS1_11comp_targetILNS1_3genE2ELNS1_11target_archE906ELNS1_3gpuE6ELNS1_3repE0EEENS1_30default_config_static_selectorELNS0_4arch9wavefront6targetE0EEEvSY_,@function
_ZN7rocprim17ROCPRIM_400000_NS6detail17trampoline_kernelINS0_13select_configILj256ELj13ELNS0_17block_load_methodE3ELS4_3ELS4_3ELNS0_20block_scan_algorithmE0ELj4294967295EEENS1_25partition_config_selectorILNS1_17partition_subalgoE3EjNS0_10empty_typeEbEEZZNS1_14partition_implILS8_3ELb0ES6_jNS0_17counting_iteratorIjlEEPS9_SE_NS0_5tupleIJPjSE_EEENSF_IJSE_SE_EEES9_SG_JZNS1_25segmented_radix_sort_implINS0_14default_configELb0EPKhPhPKlPlN2at6native12_GLOBAL__N_18offset_tEEE10hipError_tPvRmT1_PNSt15iterator_traitsISY_E10value_typeET2_T3_PNSZ_IS14_E10value_typeET4_jRbjT5_S1A_jjP12ihipStream_tbEUljE_EEESV_SW_SX_S14_S18_S1A_T6_T7_T9_mT8_S1C_bDpT10_ENKUlT_T0_E_clISt17integral_constantIbLb0EES1P_EEDaS1K_S1L_EUlS1K_E_NS1_11comp_targetILNS1_3genE2ELNS1_11target_archE906ELNS1_3gpuE6ELNS1_3repE0EEENS1_30default_config_static_selectorELNS0_4arch9wavefront6targetE0EEEvSY_: ; @_ZN7rocprim17ROCPRIM_400000_NS6detail17trampoline_kernelINS0_13select_configILj256ELj13ELNS0_17block_load_methodE3ELS4_3ELS4_3ELNS0_20block_scan_algorithmE0ELj4294967295EEENS1_25partition_config_selectorILNS1_17partition_subalgoE3EjNS0_10empty_typeEbEEZZNS1_14partition_implILS8_3ELb0ES6_jNS0_17counting_iteratorIjlEEPS9_SE_NS0_5tupleIJPjSE_EEENSF_IJSE_SE_EEES9_SG_JZNS1_25segmented_radix_sort_implINS0_14default_configELb0EPKhPhPKlPlN2at6native12_GLOBAL__N_18offset_tEEE10hipError_tPvRmT1_PNSt15iterator_traitsISY_E10value_typeET2_T3_PNSZ_IS14_E10value_typeET4_jRbjT5_S1A_jjP12ihipStream_tbEUljE_EEESV_SW_SX_S14_S18_S1A_T6_T7_T9_mT8_S1C_bDpT10_ENKUlT_T0_E_clISt17integral_constantIbLb0EES1P_EEDaS1K_S1L_EUlS1K_E_NS1_11comp_targetILNS1_3genE2ELNS1_11target_archE906ELNS1_3gpuE6ELNS1_3repE0EEENS1_30default_config_static_selectorELNS0_4arch9wavefront6targetE0EEEvSY_
; %bb.0:
	.section	.rodata,"a",@progbits
	.p2align	6, 0x0
	.amdhsa_kernel _ZN7rocprim17ROCPRIM_400000_NS6detail17trampoline_kernelINS0_13select_configILj256ELj13ELNS0_17block_load_methodE3ELS4_3ELS4_3ELNS0_20block_scan_algorithmE0ELj4294967295EEENS1_25partition_config_selectorILNS1_17partition_subalgoE3EjNS0_10empty_typeEbEEZZNS1_14partition_implILS8_3ELb0ES6_jNS0_17counting_iteratorIjlEEPS9_SE_NS0_5tupleIJPjSE_EEENSF_IJSE_SE_EEES9_SG_JZNS1_25segmented_radix_sort_implINS0_14default_configELb0EPKhPhPKlPlN2at6native12_GLOBAL__N_18offset_tEEE10hipError_tPvRmT1_PNSt15iterator_traitsISY_E10value_typeET2_T3_PNSZ_IS14_E10value_typeET4_jRbjT5_S1A_jjP12ihipStream_tbEUljE_EEESV_SW_SX_S14_S18_S1A_T6_T7_T9_mT8_S1C_bDpT10_ENKUlT_T0_E_clISt17integral_constantIbLb0EES1P_EEDaS1K_S1L_EUlS1K_E_NS1_11comp_targetILNS1_3genE2ELNS1_11target_archE906ELNS1_3gpuE6ELNS1_3repE0EEENS1_30default_config_static_selectorELNS0_4arch9wavefront6targetE0EEEvSY_
		.amdhsa_group_segment_fixed_size 0
		.amdhsa_private_segment_fixed_size 0
		.amdhsa_kernarg_size 144
		.amdhsa_user_sgpr_count 2
		.amdhsa_user_sgpr_dispatch_ptr 0
		.amdhsa_user_sgpr_queue_ptr 0
		.amdhsa_user_sgpr_kernarg_segment_ptr 1
		.amdhsa_user_sgpr_dispatch_id 0
		.amdhsa_user_sgpr_kernarg_preload_length 0
		.amdhsa_user_sgpr_kernarg_preload_offset 0
		.amdhsa_user_sgpr_private_segment_size 0
		.amdhsa_wavefront_size32 1
		.amdhsa_uses_dynamic_stack 0
		.amdhsa_enable_private_segment 0
		.amdhsa_system_sgpr_workgroup_id_x 1
		.amdhsa_system_sgpr_workgroup_id_y 0
		.amdhsa_system_sgpr_workgroup_id_z 0
		.amdhsa_system_sgpr_workgroup_info 0
		.amdhsa_system_vgpr_workitem_id 0
		.amdhsa_next_free_vgpr 1
		.amdhsa_next_free_sgpr 1
		.amdhsa_named_barrier_count 0
		.amdhsa_reserve_vcc 0
		.amdhsa_float_round_mode_32 0
		.amdhsa_float_round_mode_16_64 0
		.amdhsa_float_denorm_mode_32 3
		.amdhsa_float_denorm_mode_16_64 3
		.amdhsa_fp16_overflow 0
		.amdhsa_memory_ordered 1
		.amdhsa_forward_progress 1
		.amdhsa_inst_pref_size 0
		.amdhsa_round_robin_scheduling 0
		.amdhsa_exception_fp_ieee_invalid_op 0
		.amdhsa_exception_fp_denorm_src 0
		.amdhsa_exception_fp_ieee_div_zero 0
		.amdhsa_exception_fp_ieee_overflow 0
		.amdhsa_exception_fp_ieee_underflow 0
		.amdhsa_exception_fp_ieee_inexact 0
		.amdhsa_exception_int_div_zero 0
	.end_amdhsa_kernel
	.section	.text._ZN7rocprim17ROCPRIM_400000_NS6detail17trampoline_kernelINS0_13select_configILj256ELj13ELNS0_17block_load_methodE3ELS4_3ELS4_3ELNS0_20block_scan_algorithmE0ELj4294967295EEENS1_25partition_config_selectorILNS1_17partition_subalgoE3EjNS0_10empty_typeEbEEZZNS1_14partition_implILS8_3ELb0ES6_jNS0_17counting_iteratorIjlEEPS9_SE_NS0_5tupleIJPjSE_EEENSF_IJSE_SE_EEES9_SG_JZNS1_25segmented_radix_sort_implINS0_14default_configELb0EPKhPhPKlPlN2at6native12_GLOBAL__N_18offset_tEEE10hipError_tPvRmT1_PNSt15iterator_traitsISY_E10value_typeET2_T3_PNSZ_IS14_E10value_typeET4_jRbjT5_S1A_jjP12ihipStream_tbEUljE_EEESV_SW_SX_S14_S18_S1A_T6_T7_T9_mT8_S1C_bDpT10_ENKUlT_T0_E_clISt17integral_constantIbLb0EES1P_EEDaS1K_S1L_EUlS1K_E_NS1_11comp_targetILNS1_3genE2ELNS1_11target_archE906ELNS1_3gpuE6ELNS1_3repE0EEENS1_30default_config_static_selectorELNS0_4arch9wavefront6targetE0EEEvSY_,"axG",@progbits,_ZN7rocprim17ROCPRIM_400000_NS6detail17trampoline_kernelINS0_13select_configILj256ELj13ELNS0_17block_load_methodE3ELS4_3ELS4_3ELNS0_20block_scan_algorithmE0ELj4294967295EEENS1_25partition_config_selectorILNS1_17partition_subalgoE3EjNS0_10empty_typeEbEEZZNS1_14partition_implILS8_3ELb0ES6_jNS0_17counting_iteratorIjlEEPS9_SE_NS0_5tupleIJPjSE_EEENSF_IJSE_SE_EEES9_SG_JZNS1_25segmented_radix_sort_implINS0_14default_configELb0EPKhPhPKlPlN2at6native12_GLOBAL__N_18offset_tEEE10hipError_tPvRmT1_PNSt15iterator_traitsISY_E10value_typeET2_T3_PNSZ_IS14_E10value_typeET4_jRbjT5_S1A_jjP12ihipStream_tbEUljE_EEESV_SW_SX_S14_S18_S1A_T6_T7_T9_mT8_S1C_bDpT10_ENKUlT_T0_E_clISt17integral_constantIbLb0EES1P_EEDaS1K_S1L_EUlS1K_E_NS1_11comp_targetILNS1_3genE2ELNS1_11target_archE906ELNS1_3gpuE6ELNS1_3repE0EEENS1_30default_config_static_selectorELNS0_4arch9wavefront6targetE0EEEvSY_,comdat
.Lfunc_end157:
	.size	_ZN7rocprim17ROCPRIM_400000_NS6detail17trampoline_kernelINS0_13select_configILj256ELj13ELNS0_17block_load_methodE3ELS4_3ELS4_3ELNS0_20block_scan_algorithmE0ELj4294967295EEENS1_25partition_config_selectorILNS1_17partition_subalgoE3EjNS0_10empty_typeEbEEZZNS1_14partition_implILS8_3ELb0ES6_jNS0_17counting_iteratorIjlEEPS9_SE_NS0_5tupleIJPjSE_EEENSF_IJSE_SE_EEES9_SG_JZNS1_25segmented_radix_sort_implINS0_14default_configELb0EPKhPhPKlPlN2at6native12_GLOBAL__N_18offset_tEEE10hipError_tPvRmT1_PNSt15iterator_traitsISY_E10value_typeET2_T3_PNSZ_IS14_E10value_typeET4_jRbjT5_S1A_jjP12ihipStream_tbEUljE_EEESV_SW_SX_S14_S18_S1A_T6_T7_T9_mT8_S1C_bDpT10_ENKUlT_T0_E_clISt17integral_constantIbLb0EES1P_EEDaS1K_S1L_EUlS1K_E_NS1_11comp_targetILNS1_3genE2ELNS1_11target_archE906ELNS1_3gpuE6ELNS1_3repE0EEENS1_30default_config_static_selectorELNS0_4arch9wavefront6targetE0EEEvSY_, .Lfunc_end157-_ZN7rocprim17ROCPRIM_400000_NS6detail17trampoline_kernelINS0_13select_configILj256ELj13ELNS0_17block_load_methodE3ELS4_3ELS4_3ELNS0_20block_scan_algorithmE0ELj4294967295EEENS1_25partition_config_selectorILNS1_17partition_subalgoE3EjNS0_10empty_typeEbEEZZNS1_14partition_implILS8_3ELb0ES6_jNS0_17counting_iteratorIjlEEPS9_SE_NS0_5tupleIJPjSE_EEENSF_IJSE_SE_EEES9_SG_JZNS1_25segmented_radix_sort_implINS0_14default_configELb0EPKhPhPKlPlN2at6native12_GLOBAL__N_18offset_tEEE10hipError_tPvRmT1_PNSt15iterator_traitsISY_E10value_typeET2_T3_PNSZ_IS14_E10value_typeET4_jRbjT5_S1A_jjP12ihipStream_tbEUljE_EEESV_SW_SX_S14_S18_S1A_T6_T7_T9_mT8_S1C_bDpT10_ENKUlT_T0_E_clISt17integral_constantIbLb0EES1P_EEDaS1K_S1L_EUlS1K_E_NS1_11comp_targetILNS1_3genE2ELNS1_11target_archE906ELNS1_3gpuE6ELNS1_3repE0EEENS1_30default_config_static_selectorELNS0_4arch9wavefront6targetE0EEEvSY_
                                        ; -- End function
	.set _ZN7rocprim17ROCPRIM_400000_NS6detail17trampoline_kernelINS0_13select_configILj256ELj13ELNS0_17block_load_methodE3ELS4_3ELS4_3ELNS0_20block_scan_algorithmE0ELj4294967295EEENS1_25partition_config_selectorILNS1_17partition_subalgoE3EjNS0_10empty_typeEbEEZZNS1_14partition_implILS8_3ELb0ES6_jNS0_17counting_iteratorIjlEEPS9_SE_NS0_5tupleIJPjSE_EEENSF_IJSE_SE_EEES9_SG_JZNS1_25segmented_radix_sort_implINS0_14default_configELb0EPKhPhPKlPlN2at6native12_GLOBAL__N_18offset_tEEE10hipError_tPvRmT1_PNSt15iterator_traitsISY_E10value_typeET2_T3_PNSZ_IS14_E10value_typeET4_jRbjT5_S1A_jjP12ihipStream_tbEUljE_EEESV_SW_SX_S14_S18_S1A_T6_T7_T9_mT8_S1C_bDpT10_ENKUlT_T0_E_clISt17integral_constantIbLb0EES1P_EEDaS1K_S1L_EUlS1K_E_NS1_11comp_targetILNS1_3genE2ELNS1_11target_archE906ELNS1_3gpuE6ELNS1_3repE0EEENS1_30default_config_static_selectorELNS0_4arch9wavefront6targetE0EEEvSY_.num_vgpr, 0
	.set _ZN7rocprim17ROCPRIM_400000_NS6detail17trampoline_kernelINS0_13select_configILj256ELj13ELNS0_17block_load_methodE3ELS4_3ELS4_3ELNS0_20block_scan_algorithmE0ELj4294967295EEENS1_25partition_config_selectorILNS1_17partition_subalgoE3EjNS0_10empty_typeEbEEZZNS1_14partition_implILS8_3ELb0ES6_jNS0_17counting_iteratorIjlEEPS9_SE_NS0_5tupleIJPjSE_EEENSF_IJSE_SE_EEES9_SG_JZNS1_25segmented_radix_sort_implINS0_14default_configELb0EPKhPhPKlPlN2at6native12_GLOBAL__N_18offset_tEEE10hipError_tPvRmT1_PNSt15iterator_traitsISY_E10value_typeET2_T3_PNSZ_IS14_E10value_typeET4_jRbjT5_S1A_jjP12ihipStream_tbEUljE_EEESV_SW_SX_S14_S18_S1A_T6_T7_T9_mT8_S1C_bDpT10_ENKUlT_T0_E_clISt17integral_constantIbLb0EES1P_EEDaS1K_S1L_EUlS1K_E_NS1_11comp_targetILNS1_3genE2ELNS1_11target_archE906ELNS1_3gpuE6ELNS1_3repE0EEENS1_30default_config_static_selectorELNS0_4arch9wavefront6targetE0EEEvSY_.num_agpr, 0
	.set _ZN7rocprim17ROCPRIM_400000_NS6detail17trampoline_kernelINS0_13select_configILj256ELj13ELNS0_17block_load_methodE3ELS4_3ELS4_3ELNS0_20block_scan_algorithmE0ELj4294967295EEENS1_25partition_config_selectorILNS1_17partition_subalgoE3EjNS0_10empty_typeEbEEZZNS1_14partition_implILS8_3ELb0ES6_jNS0_17counting_iteratorIjlEEPS9_SE_NS0_5tupleIJPjSE_EEENSF_IJSE_SE_EEES9_SG_JZNS1_25segmented_radix_sort_implINS0_14default_configELb0EPKhPhPKlPlN2at6native12_GLOBAL__N_18offset_tEEE10hipError_tPvRmT1_PNSt15iterator_traitsISY_E10value_typeET2_T3_PNSZ_IS14_E10value_typeET4_jRbjT5_S1A_jjP12ihipStream_tbEUljE_EEESV_SW_SX_S14_S18_S1A_T6_T7_T9_mT8_S1C_bDpT10_ENKUlT_T0_E_clISt17integral_constantIbLb0EES1P_EEDaS1K_S1L_EUlS1K_E_NS1_11comp_targetILNS1_3genE2ELNS1_11target_archE906ELNS1_3gpuE6ELNS1_3repE0EEENS1_30default_config_static_selectorELNS0_4arch9wavefront6targetE0EEEvSY_.numbered_sgpr, 0
	.set _ZN7rocprim17ROCPRIM_400000_NS6detail17trampoline_kernelINS0_13select_configILj256ELj13ELNS0_17block_load_methodE3ELS4_3ELS4_3ELNS0_20block_scan_algorithmE0ELj4294967295EEENS1_25partition_config_selectorILNS1_17partition_subalgoE3EjNS0_10empty_typeEbEEZZNS1_14partition_implILS8_3ELb0ES6_jNS0_17counting_iteratorIjlEEPS9_SE_NS0_5tupleIJPjSE_EEENSF_IJSE_SE_EEES9_SG_JZNS1_25segmented_radix_sort_implINS0_14default_configELb0EPKhPhPKlPlN2at6native12_GLOBAL__N_18offset_tEEE10hipError_tPvRmT1_PNSt15iterator_traitsISY_E10value_typeET2_T3_PNSZ_IS14_E10value_typeET4_jRbjT5_S1A_jjP12ihipStream_tbEUljE_EEESV_SW_SX_S14_S18_S1A_T6_T7_T9_mT8_S1C_bDpT10_ENKUlT_T0_E_clISt17integral_constantIbLb0EES1P_EEDaS1K_S1L_EUlS1K_E_NS1_11comp_targetILNS1_3genE2ELNS1_11target_archE906ELNS1_3gpuE6ELNS1_3repE0EEENS1_30default_config_static_selectorELNS0_4arch9wavefront6targetE0EEEvSY_.num_named_barrier, 0
	.set _ZN7rocprim17ROCPRIM_400000_NS6detail17trampoline_kernelINS0_13select_configILj256ELj13ELNS0_17block_load_methodE3ELS4_3ELS4_3ELNS0_20block_scan_algorithmE0ELj4294967295EEENS1_25partition_config_selectorILNS1_17partition_subalgoE3EjNS0_10empty_typeEbEEZZNS1_14partition_implILS8_3ELb0ES6_jNS0_17counting_iteratorIjlEEPS9_SE_NS0_5tupleIJPjSE_EEENSF_IJSE_SE_EEES9_SG_JZNS1_25segmented_radix_sort_implINS0_14default_configELb0EPKhPhPKlPlN2at6native12_GLOBAL__N_18offset_tEEE10hipError_tPvRmT1_PNSt15iterator_traitsISY_E10value_typeET2_T3_PNSZ_IS14_E10value_typeET4_jRbjT5_S1A_jjP12ihipStream_tbEUljE_EEESV_SW_SX_S14_S18_S1A_T6_T7_T9_mT8_S1C_bDpT10_ENKUlT_T0_E_clISt17integral_constantIbLb0EES1P_EEDaS1K_S1L_EUlS1K_E_NS1_11comp_targetILNS1_3genE2ELNS1_11target_archE906ELNS1_3gpuE6ELNS1_3repE0EEENS1_30default_config_static_selectorELNS0_4arch9wavefront6targetE0EEEvSY_.private_seg_size, 0
	.set _ZN7rocprim17ROCPRIM_400000_NS6detail17trampoline_kernelINS0_13select_configILj256ELj13ELNS0_17block_load_methodE3ELS4_3ELS4_3ELNS0_20block_scan_algorithmE0ELj4294967295EEENS1_25partition_config_selectorILNS1_17partition_subalgoE3EjNS0_10empty_typeEbEEZZNS1_14partition_implILS8_3ELb0ES6_jNS0_17counting_iteratorIjlEEPS9_SE_NS0_5tupleIJPjSE_EEENSF_IJSE_SE_EEES9_SG_JZNS1_25segmented_radix_sort_implINS0_14default_configELb0EPKhPhPKlPlN2at6native12_GLOBAL__N_18offset_tEEE10hipError_tPvRmT1_PNSt15iterator_traitsISY_E10value_typeET2_T3_PNSZ_IS14_E10value_typeET4_jRbjT5_S1A_jjP12ihipStream_tbEUljE_EEESV_SW_SX_S14_S18_S1A_T6_T7_T9_mT8_S1C_bDpT10_ENKUlT_T0_E_clISt17integral_constantIbLb0EES1P_EEDaS1K_S1L_EUlS1K_E_NS1_11comp_targetILNS1_3genE2ELNS1_11target_archE906ELNS1_3gpuE6ELNS1_3repE0EEENS1_30default_config_static_selectorELNS0_4arch9wavefront6targetE0EEEvSY_.uses_vcc, 0
	.set _ZN7rocprim17ROCPRIM_400000_NS6detail17trampoline_kernelINS0_13select_configILj256ELj13ELNS0_17block_load_methodE3ELS4_3ELS4_3ELNS0_20block_scan_algorithmE0ELj4294967295EEENS1_25partition_config_selectorILNS1_17partition_subalgoE3EjNS0_10empty_typeEbEEZZNS1_14partition_implILS8_3ELb0ES6_jNS0_17counting_iteratorIjlEEPS9_SE_NS0_5tupleIJPjSE_EEENSF_IJSE_SE_EEES9_SG_JZNS1_25segmented_radix_sort_implINS0_14default_configELb0EPKhPhPKlPlN2at6native12_GLOBAL__N_18offset_tEEE10hipError_tPvRmT1_PNSt15iterator_traitsISY_E10value_typeET2_T3_PNSZ_IS14_E10value_typeET4_jRbjT5_S1A_jjP12ihipStream_tbEUljE_EEESV_SW_SX_S14_S18_S1A_T6_T7_T9_mT8_S1C_bDpT10_ENKUlT_T0_E_clISt17integral_constantIbLb0EES1P_EEDaS1K_S1L_EUlS1K_E_NS1_11comp_targetILNS1_3genE2ELNS1_11target_archE906ELNS1_3gpuE6ELNS1_3repE0EEENS1_30default_config_static_selectorELNS0_4arch9wavefront6targetE0EEEvSY_.uses_flat_scratch, 0
	.set _ZN7rocprim17ROCPRIM_400000_NS6detail17trampoline_kernelINS0_13select_configILj256ELj13ELNS0_17block_load_methodE3ELS4_3ELS4_3ELNS0_20block_scan_algorithmE0ELj4294967295EEENS1_25partition_config_selectorILNS1_17partition_subalgoE3EjNS0_10empty_typeEbEEZZNS1_14partition_implILS8_3ELb0ES6_jNS0_17counting_iteratorIjlEEPS9_SE_NS0_5tupleIJPjSE_EEENSF_IJSE_SE_EEES9_SG_JZNS1_25segmented_radix_sort_implINS0_14default_configELb0EPKhPhPKlPlN2at6native12_GLOBAL__N_18offset_tEEE10hipError_tPvRmT1_PNSt15iterator_traitsISY_E10value_typeET2_T3_PNSZ_IS14_E10value_typeET4_jRbjT5_S1A_jjP12ihipStream_tbEUljE_EEESV_SW_SX_S14_S18_S1A_T6_T7_T9_mT8_S1C_bDpT10_ENKUlT_T0_E_clISt17integral_constantIbLb0EES1P_EEDaS1K_S1L_EUlS1K_E_NS1_11comp_targetILNS1_3genE2ELNS1_11target_archE906ELNS1_3gpuE6ELNS1_3repE0EEENS1_30default_config_static_selectorELNS0_4arch9wavefront6targetE0EEEvSY_.has_dyn_sized_stack, 0
	.set _ZN7rocprim17ROCPRIM_400000_NS6detail17trampoline_kernelINS0_13select_configILj256ELj13ELNS0_17block_load_methodE3ELS4_3ELS4_3ELNS0_20block_scan_algorithmE0ELj4294967295EEENS1_25partition_config_selectorILNS1_17partition_subalgoE3EjNS0_10empty_typeEbEEZZNS1_14partition_implILS8_3ELb0ES6_jNS0_17counting_iteratorIjlEEPS9_SE_NS0_5tupleIJPjSE_EEENSF_IJSE_SE_EEES9_SG_JZNS1_25segmented_radix_sort_implINS0_14default_configELb0EPKhPhPKlPlN2at6native12_GLOBAL__N_18offset_tEEE10hipError_tPvRmT1_PNSt15iterator_traitsISY_E10value_typeET2_T3_PNSZ_IS14_E10value_typeET4_jRbjT5_S1A_jjP12ihipStream_tbEUljE_EEESV_SW_SX_S14_S18_S1A_T6_T7_T9_mT8_S1C_bDpT10_ENKUlT_T0_E_clISt17integral_constantIbLb0EES1P_EEDaS1K_S1L_EUlS1K_E_NS1_11comp_targetILNS1_3genE2ELNS1_11target_archE906ELNS1_3gpuE6ELNS1_3repE0EEENS1_30default_config_static_selectorELNS0_4arch9wavefront6targetE0EEEvSY_.has_recursion, 0
	.set _ZN7rocprim17ROCPRIM_400000_NS6detail17trampoline_kernelINS0_13select_configILj256ELj13ELNS0_17block_load_methodE3ELS4_3ELS4_3ELNS0_20block_scan_algorithmE0ELj4294967295EEENS1_25partition_config_selectorILNS1_17partition_subalgoE3EjNS0_10empty_typeEbEEZZNS1_14partition_implILS8_3ELb0ES6_jNS0_17counting_iteratorIjlEEPS9_SE_NS0_5tupleIJPjSE_EEENSF_IJSE_SE_EEES9_SG_JZNS1_25segmented_radix_sort_implINS0_14default_configELb0EPKhPhPKlPlN2at6native12_GLOBAL__N_18offset_tEEE10hipError_tPvRmT1_PNSt15iterator_traitsISY_E10value_typeET2_T3_PNSZ_IS14_E10value_typeET4_jRbjT5_S1A_jjP12ihipStream_tbEUljE_EEESV_SW_SX_S14_S18_S1A_T6_T7_T9_mT8_S1C_bDpT10_ENKUlT_T0_E_clISt17integral_constantIbLb0EES1P_EEDaS1K_S1L_EUlS1K_E_NS1_11comp_targetILNS1_3genE2ELNS1_11target_archE906ELNS1_3gpuE6ELNS1_3repE0EEENS1_30default_config_static_selectorELNS0_4arch9wavefront6targetE0EEEvSY_.has_indirect_call, 0
	.section	.AMDGPU.csdata,"",@progbits
; Kernel info:
; codeLenInByte = 0
; TotalNumSgprs: 0
; NumVgprs: 0
; ScratchSize: 0
; MemoryBound: 0
; FloatMode: 240
; IeeeMode: 1
; LDSByteSize: 0 bytes/workgroup (compile time only)
; SGPRBlocks: 0
; VGPRBlocks: 0
; NumSGPRsForWavesPerEU: 1
; NumVGPRsForWavesPerEU: 1
; NamedBarCnt: 0
; Occupancy: 16
; WaveLimiterHint : 0
; COMPUTE_PGM_RSRC2:SCRATCH_EN: 0
; COMPUTE_PGM_RSRC2:USER_SGPR: 2
; COMPUTE_PGM_RSRC2:TRAP_HANDLER: 0
; COMPUTE_PGM_RSRC2:TGID_X_EN: 1
; COMPUTE_PGM_RSRC2:TGID_Y_EN: 0
; COMPUTE_PGM_RSRC2:TGID_Z_EN: 0
; COMPUTE_PGM_RSRC2:TIDIG_COMP_CNT: 0
	.section	.text._ZN7rocprim17ROCPRIM_400000_NS6detail17trampoline_kernelINS0_13select_configILj256ELj13ELNS0_17block_load_methodE3ELS4_3ELS4_3ELNS0_20block_scan_algorithmE0ELj4294967295EEENS1_25partition_config_selectorILNS1_17partition_subalgoE3EjNS0_10empty_typeEbEEZZNS1_14partition_implILS8_3ELb0ES6_jNS0_17counting_iteratorIjlEEPS9_SE_NS0_5tupleIJPjSE_EEENSF_IJSE_SE_EEES9_SG_JZNS1_25segmented_radix_sort_implINS0_14default_configELb0EPKhPhPKlPlN2at6native12_GLOBAL__N_18offset_tEEE10hipError_tPvRmT1_PNSt15iterator_traitsISY_E10value_typeET2_T3_PNSZ_IS14_E10value_typeET4_jRbjT5_S1A_jjP12ihipStream_tbEUljE_EEESV_SW_SX_S14_S18_S1A_T6_T7_T9_mT8_S1C_bDpT10_ENKUlT_T0_E_clISt17integral_constantIbLb0EES1P_EEDaS1K_S1L_EUlS1K_E_NS1_11comp_targetILNS1_3genE10ELNS1_11target_archE1200ELNS1_3gpuE4ELNS1_3repE0EEENS1_30default_config_static_selectorELNS0_4arch9wavefront6targetE0EEEvSY_,"axG",@progbits,_ZN7rocprim17ROCPRIM_400000_NS6detail17trampoline_kernelINS0_13select_configILj256ELj13ELNS0_17block_load_methodE3ELS4_3ELS4_3ELNS0_20block_scan_algorithmE0ELj4294967295EEENS1_25partition_config_selectorILNS1_17partition_subalgoE3EjNS0_10empty_typeEbEEZZNS1_14partition_implILS8_3ELb0ES6_jNS0_17counting_iteratorIjlEEPS9_SE_NS0_5tupleIJPjSE_EEENSF_IJSE_SE_EEES9_SG_JZNS1_25segmented_radix_sort_implINS0_14default_configELb0EPKhPhPKlPlN2at6native12_GLOBAL__N_18offset_tEEE10hipError_tPvRmT1_PNSt15iterator_traitsISY_E10value_typeET2_T3_PNSZ_IS14_E10value_typeET4_jRbjT5_S1A_jjP12ihipStream_tbEUljE_EEESV_SW_SX_S14_S18_S1A_T6_T7_T9_mT8_S1C_bDpT10_ENKUlT_T0_E_clISt17integral_constantIbLb0EES1P_EEDaS1K_S1L_EUlS1K_E_NS1_11comp_targetILNS1_3genE10ELNS1_11target_archE1200ELNS1_3gpuE4ELNS1_3repE0EEENS1_30default_config_static_selectorELNS0_4arch9wavefront6targetE0EEEvSY_,comdat
	.globl	_ZN7rocprim17ROCPRIM_400000_NS6detail17trampoline_kernelINS0_13select_configILj256ELj13ELNS0_17block_load_methodE3ELS4_3ELS4_3ELNS0_20block_scan_algorithmE0ELj4294967295EEENS1_25partition_config_selectorILNS1_17partition_subalgoE3EjNS0_10empty_typeEbEEZZNS1_14partition_implILS8_3ELb0ES6_jNS0_17counting_iteratorIjlEEPS9_SE_NS0_5tupleIJPjSE_EEENSF_IJSE_SE_EEES9_SG_JZNS1_25segmented_radix_sort_implINS0_14default_configELb0EPKhPhPKlPlN2at6native12_GLOBAL__N_18offset_tEEE10hipError_tPvRmT1_PNSt15iterator_traitsISY_E10value_typeET2_T3_PNSZ_IS14_E10value_typeET4_jRbjT5_S1A_jjP12ihipStream_tbEUljE_EEESV_SW_SX_S14_S18_S1A_T6_T7_T9_mT8_S1C_bDpT10_ENKUlT_T0_E_clISt17integral_constantIbLb0EES1P_EEDaS1K_S1L_EUlS1K_E_NS1_11comp_targetILNS1_3genE10ELNS1_11target_archE1200ELNS1_3gpuE4ELNS1_3repE0EEENS1_30default_config_static_selectorELNS0_4arch9wavefront6targetE0EEEvSY_ ; -- Begin function _ZN7rocprim17ROCPRIM_400000_NS6detail17trampoline_kernelINS0_13select_configILj256ELj13ELNS0_17block_load_methodE3ELS4_3ELS4_3ELNS0_20block_scan_algorithmE0ELj4294967295EEENS1_25partition_config_selectorILNS1_17partition_subalgoE3EjNS0_10empty_typeEbEEZZNS1_14partition_implILS8_3ELb0ES6_jNS0_17counting_iteratorIjlEEPS9_SE_NS0_5tupleIJPjSE_EEENSF_IJSE_SE_EEES9_SG_JZNS1_25segmented_radix_sort_implINS0_14default_configELb0EPKhPhPKlPlN2at6native12_GLOBAL__N_18offset_tEEE10hipError_tPvRmT1_PNSt15iterator_traitsISY_E10value_typeET2_T3_PNSZ_IS14_E10value_typeET4_jRbjT5_S1A_jjP12ihipStream_tbEUljE_EEESV_SW_SX_S14_S18_S1A_T6_T7_T9_mT8_S1C_bDpT10_ENKUlT_T0_E_clISt17integral_constantIbLb0EES1P_EEDaS1K_S1L_EUlS1K_E_NS1_11comp_targetILNS1_3genE10ELNS1_11target_archE1200ELNS1_3gpuE4ELNS1_3repE0EEENS1_30default_config_static_selectorELNS0_4arch9wavefront6targetE0EEEvSY_
	.p2align	8
	.type	_ZN7rocprim17ROCPRIM_400000_NS6detail17trampoline_kernelINS0_13select_configILj256ELj13ELNS0_17block_load_methodE3ELS4_3ELS4_3ELNS0_20block_scan_algorithmE0ELj4294967295EEENS1_25partition_config_selectorILNS1_17partition_subalgoE3EjNS0_10empty_typeEbEEZZNS1_14partition_implILS8_3ELb0ES6_jNS0_17counting_iteratorIjlEEPS9_SE_NS0_5tupleIJPjSE_EEENSF_IJSE_SE_EEES9_SG_JZNS1_25segmented_radix_sort_implINS0_14default_configELb0EPKhPhPKlPlN2at6native12_GLOBAL__N_18offset_tEEE10hipError_tPvRmT1_PNSt15iterator_traitsISY_E10value_typeET2_T3_PNSZ_IS14_E10value_typeET4_jRbjT5_S1A_jjP12ihipStream_tbEUljE_EEESV_SW_SX_S14_S18_S1A_T6_T7_T9_mT8_S1C_bDpT10_ENKUlT_T0_E_clISt17integral_constantIbLb0EES1P_EEDaS1K_S1L_EUlS1K_E_NS1_11comp_targetILNS1_3genE10ELNS1_11target_archE1200ELNS1_3gpuE4ELNS1_3repE0EEENS1_30default_config_static_selectorELNS0_4arch9wavefront6targetE0EEEvSY_,@function
_ZN7rocprim17ROCPRIM_400000_NS6detail17trampoline_kernelINS0_13select_configILj256ELj13ELNS0_17block_load_methodE3ELS4_3ELS4_3ELNS0_20block_scan_algorithmE0ELj4294967295EEENS1_25partition_config_selectorILNS1_17partition_subalgoE3EjNS0_10empty_typeEbEEZZNS1_14partition_implILS8_3ELb0ES6_jNS0_17counting_iteratorIjlEEPS9_SE_NS0_5tupleIJPjSE_EEENSF_IJSE_SE_EEES9_SG_JZNS1_25segmented_radix_sort_implINS0_14default_configELb0EPKhPhPKlPlN2at6native12_GLOBAL__N_18offset_tEEE10hipError_tPvRmT1_PNSt15iterator_traitsISY_E10value_typeET2_T3_PNSZ_IS14_E10value_typeET4_jRbjT5_S1A_jjP12ihipStream_tbEUljE_EEESV_SW_SX_S14_S18_S1A_T6_T7_T9_mT8_S1C_bDpT10_ENKUlT_T0_E_clISt17integral_constantIbLb0EES1P_EEDaS1K_S1L_EUlS1K_E_NS1_11comp_targetILNS1_3genE10ELNS1_11target_archE1200ELNS1_3gpuE4ELNS1_3repE0EEENS1_30default_config_static_selectorELNS0_4arch9wavefront6targetE0EEEvSY_: ; @_ZN7rocprim17ROCPRIM_400000_NS6detail17trampoline_kernelINS0_13select_configILj256ELj13ELNS0_17block_load_methodE3ELS4_3ELS4_3ELNS0_20block_scan_algorithmE0ELj4294967295EEENS1_25partition_config_selectorILNS1_17partition_subalgoE3EjNS0_10empty_typeEbEEZZNS1_14partition_implILS8_3ELb0ES6_jNS0_17counting_iteratorIjlEEPS9_SE_NS0_5tupleIJPjSE_EEENSF_IJSE_SE_EEES9_SG_JZNS1_25segmented_radix_sort_implINS0_14default_configELb0EPKhPhPKlPlN2at6native12_GLOBAL__N_18offset_tEEE10hipError_tPvRmT1_PNSt15iterator_traitsISY_E10value_typeET2_T3_PNSZ_IS14_E10value_typeET4_jRbjT5_S1A_jjP12ihipStream_tbEUljE_EEESV_SW_SX_S14_S18_S1A_T6_T7_T9_mT8_S1C_bDpT10_ENKUlT_T0_E_clISt17integral_constantIbLb0EES1P_EEDaS1K_S1L_EUlS1K_E_NS1_11comp_targetILNS1_3genE10ELNS1_11target_archE1200ELNS1_3gpuE4ELNS1_3repE0EEENS1_30default_config_static_selectorELNS0_4arch9wavefront6targetE0EEEvSY_
; %bb.0:
	.section	.rodata,"a",@progbits
	.p2align	6, 0x0
	.amdhsa_kernel _ZN7rocprim17ROCPRIM_400000_NS6detail17trampoline_kernelINS0_13select_configILj256ELj13ELNS0_17block_load_methodE3ELS4_3ELS4_3ELNS0_20block_scan_algorithmE0ELj4294967295EEENS1_25partition_config_selectorILNS1_17partition_subalgoE3EjNS0_10empty_typeEbEEZZNS1_14partition_implILS8_3ELb0ES6_jNS0_17counting_iteratorIjlEEPS9_SE_NS0_5tupleIJPjSE_EEENSF_IJSE_SE_EEES9_SG_JZNS1_25segmented_radix_sort_implINS0_14default_configELb0EPKhPhPKlPlN2at6native12_GLOBAL__N_18offset_tEEE10hipError_tPvRmT1_PNSt15iterator_traitsISY_E10value_typeET2_T3_PNSZ_IS14_E10value_typeET4_jRbjT5_S1A_jjP12ihipStream_tbEUljE_EEESV_SW_SX_S14_S18_S1A_T6_T7_T9_mT8_S1C_bDpT10_ENKUlT_T0_E_clISt17integral_constantIbLb0EES1P_EEDaS1K_S1L_EUlS1K_E_NS1_11comp_targetILNS1_3genE10ELNS1_11target_archE1200ELNS1_3gpuE4ELNS1_3repE0EEENS1_30default_config_static_selectorELNS0_4arch9wavefront6targetE0EEEvSY_
		.amdhsa_group_segment_fixed_size 0
		.amdhsa_private_segment_fixed_size 0
		.amdhsa_kernarg_size 144
		.amdhsa_user_sgpr_count 2
		.amdhsa_user_sgpr_dispatch_ptr 0
		.amdhsa_user_sgpr_queue_ptr 0
		.amdhsa_user_sgpr_kernarg_segment_ptr 1
		.amdhsa_user_sgpr_dispatch_id 0
		.amdhsa_user_sgpr_kernarg_preload_length 0
		.amdhsa_user_sgpr_kernarg_preload_offset 0
		.amdhsa_user_sgpr_private_segment_size 0
		.amdhsa_wavefront_size32 1
		.amdhsa_uses_dynamic_stack 0
		.amdhsa_enable_private_segment 0
		.amdhsa_system_sgpr_workgroup_id_x 1
		.amdhsa_system_sgpr_workgroup_id_y 0
		.amdhsa_system_sgpr_workgroup_id_z 0
		.amdhsa_system_sgpr_workgroup_info 0
		.amdhsa_system_vgpr_workitem_id 0
		.amdhsa_next_free_vgpr 1
		.amdhsa_next_free_sgpr 1
		.amdhsa_named_barrier_count 0
		.amdhsa_reserve_vcc 0
		.amdhsa_float_round_mode_32 0
		.amdhsa_float_round_mode_16_64 0
		.amdhsa_float_denorm_mode_32 3
		.amdhsa_float_denorm_mode_16_64 3
		.amdhsa_fp16_overflow 0
		.amdhsa_memory_ordered 1
		.amdhsa_forward_progress 1
		.amdhsa_inst_pref_size 0
		.amdhsa_round_robin_scheduling 0
		.amdhsa_exception_fp_ieee_invalid_op 0
		.amdhsa_exception_fp_denorm_src 0
		.amdhsa_exception_fp_ieee_div_zero 0
		.amdhsa_exception_fp_ieee_overflow 0
		.amdhsa_exception_fp_ieee_underflow 0
		.amdhsa_exception_fp_ieee_inexact 0
		.amdhsa_exception_int_div_zero 0
	.end_amdhsa_kernel
	.section	.text._ZN7rocprim17ROCPRIM_400000_NS6detail17trampoline_kernelINS0_13select_configILj256ELj13ELNS0_17block_load_methodE3ELS4_3ELS4_3ELNS0_20block_scan_algorithmE0ELj4294967295EEENS1_25partition_config_selectorILNS1_17partition_subalgoE3EjNS0_10empty_typeEbEEZZNS1_14partition_implILS8_3ELb0ES6_jNS0_17counting_iteratorIjlEEPS9_SE_NS0_5tupleIJPjSE_EEENSF_IJSE_SE_EEES9_SG_JZNS1_25segmented_radix_sort_implINS0_14default_configELb0EPKhPhPKlPlN2at6native12_GLOBAL__N_18offset_tEEE10hipError_tPvRmT1_PNSt15iterator_traitsISY_E10value_typeET2_T3_PNSZ_IS14_E10value_typeET4_jRbjT5_S1A_jjP12ihipStream_tbEUljE_EEESV_SW_SX_S14_S18_S1A_T6_T7_T9_mT8_S1C_bDpT10_ENKUlT_T0_E_clISt17integral_constantIbLb0EES1P_EEDaS1K_S1L_EUlS1K_E_NS1_11comp_targetILNS1_3genE10ELNS1_11target_archE1200ELNS1_3gpuE4ELNS1_3repE0EEENS1_30default_config_static_selectorELNS0_4arch9wavefront6targetE0EEEvSY_,"axG",@progbits,_ZN7rocprim17ROCPRIM_400000_NS6detail17trampoline_kernelINS0_13select_configILj256ELj13ELNS0_17block_load_methodE3ELS4_3ELS4_3ELNS0_20block_scan_algorithmE0ELj4294967295EEENS1_25partition_config_selectorILNS1_17partition_subalgoE3EjNS0_10empty_typeEbEEZZNS1_14partition_implILS8_3ELb0ES6_jNS0_17counting_iteratorIjlEEPS9_SE_NS0_5tupleIJPjSE_EEENSF_IJSE_SE_EEES9_SG_JZNS1_25segmented_radix_sort_implINS0_14default_configELb0EPKhPhPKlPlN2at6native12_GLOBAL__N_18offset_tEEE10hipError_tPvRmT1_PNSt15iterator_traitsISY_E10value_typeET2_T3_PNSZ_IS14_E10value_typeET4_jRbjT5_S1A_jjP12ihipStream_tbEUljE_EEESV_SW_SX_S14_S18_S1A_T6_T7_T9_mT8_S1C_bDpT10_ENKUlT_T0_E_clISt17integral_constantIbLb0EES1P_EEDaS1K_S1L_EUlS1K_E_NS1_11comp_targetILNS1_3genE10ELNS1_11target_archE1200ELNS1_3gpuE4ELNS1_3repE0EEENS1_30default_config_static_selectorELNS0_4arch9wavefront6targetE0EEEvSY_,comdat
.Lfunc_end158:
	.size	_ZN7rocprim17ROCPRIM_400000_NS6detail17trampoline_kernelINS0_13select_configILj256ELj13ELNS0_17block_load_methodE3ELS4_3ELS4_3ELNS0_20block_scan_algorithmE0ELj4294967295EEENS1_25partition_config_selectorILNS1_17partition_subalgoE3EjNS0_10empty_typeEbEEZZNS1_14partition_implILS8_3ELb0ES6_jNS0_17counting_iteratorIjlEEPS9_SE_NS0_5tupleIJPjSE_EEENSF_IJSE_SE_EEES9_SG_JZNS1_25segmented_radix_sort_implINS0_14default_configELb0EPKhPhPKlPlN2at6native12_GLOBAL__N_18offset_tEEE10hipError_tPvRmT1_PNSt15iterator_traitsISY_E10value_typeET2_T3_PNSZ_IS14_E10value_typeET4_jRbjT5_S1A_jjP12ihipStream_tbEUljE_EEESV_SW_SX_S14_S18_S1A_T6_T7_T9_mT8_S1C_bDpT10_ENKUlT_T0_E_clISt17integral_constantIbLb0EES1P_EEDaS1K_S1L_EUlS1K_E_NS1_11comp_targetILNS1_3genE10ELNS1_11target_archE1200ELNS1_3gpuE4ELNS1_3repE0EEENS1_30default_config_static_selectorELNS0_4arch9wavefront6targetE0EEEvSY_, .Lfunc_end158-_ZN7rocprim17ROCPRIM_400000_NS6detail17trampoline_kernelINS0_13select_configILj256ELj13ELNS0_17block_load_methodE3ELS4_3ELS4_3ELNS0_20block_scan_algorithmE0ELj4294967295EEENS1_25partition_config_selectorILNS1_17partition_subalgoE3EjNS0_10empty_typeEbEEZZNS1_14partition_implILS8_3ELb0ES6_jNS0_17counting_iteratorIjlEEPS9_SE_NS0_5tupleIJPjSE_EEENSF_IJSE_SE_EEES9_SG_JZNS1_25segmented_radix_sort_implINS0_14default_configELb0EPKhPhPKlPlN2at6native12_GLOBAL__N_18offset_tEEE10hipError_tPvRmT1_PNSt15iterator_traitsISY_E10value_typeET2_T3_PNSZ_IS14_E10value_typeET4_jRbjT5_S1A_jjP12ihipStream_tbEUljE_EEESV_SW_SX_S14_S18_S1A_T6_T7_T9_mT8_S1C_bDpT10_ENKUlT_T0_E_clISt17integral_constantIbLb0EES1P_EEDaS1K_S1L_EUlS1K_E_NS1_11comp_targetILNS1_3genE10ELNS1_11target_archE1200ELNS1_3gpuE4ELNS1_3repE0EEENS1_30default_config_static_selectorELNS0_4arch9wavefront6targetE0EEEvSY_
                                        ; -- End function
	.set _ZN7rocprim17ROCPRIM_400000_NS6detail17trampoline_kernelINS0_13select_configILj256ELj13ELNS0_17block_load_methodE3ELS4_3ELS4_3ELNS0_20block_scan_algorithmE0ELj4294967295EEENS1_25partition_config_selectorILNS1_17partition_subalgoE3EjNS0_10empty_typeEbEEZZNS1_14partition_implILS8_3ELb0ES6_jNS0_17counting_iteratorIjlEEPS9_SE_NS0_5tupleIJPjSE_EEENSF_IJSE_SE_EEES9_SG_JZNS1_25segmented_radix_sort_implINS0_14default_configELb0EPKhPhPKlPlN2at6native12_GLOBAL__N_18offset_tEEE10hipError_tPvRmT1_PNSt15iterator_traitsISY_E10value_typeET2_T3_PNSZ_IS14_E10value_typeET4_jRbjT5_S1A_jjP12ihipStream_tbEUljE_EEESV_SW_SX_S14_S18_S1A_T6_T7_T9_mT8_S1C_bDpT10_ENKUlT_T0_E_clISt17integral_constantIbLb0EES1P_EEDaS1K_S1L_EUlS1K_E_NS1_11comp_targetILNS1_3genE10ELNS1_11target_archE1200ELNS1_3gpuE4ELNS1_3repE0EEENS1_30default_config_static_selectorELNS0_4arch9wavefront6targetE0EEEvSY_.num_vgpr, 0
	.set _ZN7rocprim17ROCPRIM_400000_NS6detail17trampoline_kernelINS0_13select_configILj256ELj13ELNS0_17block_load_methodE3ELS4_3ELS4_3ELNS0_20block_scan_algorithmE0ELj4294967295EEENS1_25partition_config_selectorILNS1_17partition_subalgoE3EjNS0_10empty_typeEbEEZZNS1_14partition_implILS8_3ELb0ES6_jNS0_17counting_iteratorIjlEEPS9_SE_NS0_5tupleIJPjSE_EEENSF_IJSE_SE_EEES9_SG_JZNS1_25segmented_radix_sort_implINS0_14default_configELb0EPKhPhPKlPlN2at6native12_GLOBAL__N_18offset_tEEE10hipError_tPvRmT1_PNSt15iterator_traitsISY_E10value_typeET2_T3_PNSZ_IS14_E10value_typeET4_jRbjT5_S1A_jjP12ihipStream_tbEUljE_EEESV_SW_SX_S14_S18_S1A_T6_T7_T9_mT8_S1C_bDpT10_ENKUlT_T0_E_clISt17integral_constantIbLb0EES1P_EEDaS1K_S1L_EUlS1K_E_NS1_11comp_targetILNS1_3genE10ELNS1_11target_archE1200ELNS1_3gpuE4ELNS1_3repE0EEENS1_30default_config_static_selectorELNS0_4arch9wavefront6targetE0EEEvSY_.num_agpr, 0
	.set _ZN7rocprim17ROCPRIM_400000_NS6detail17trampoline_kernelINS0_13select_configILj256ELj13ELNS0_17block_load_methodE3ELS4_3ELS4_3ELNS0_20block_scan_algorithmE0ELj4294967295EEENS1_25partition_config_selectorILNS1_17partition_subalgoE3EjNS0_10empty_typeEbEEZZNS1_14partition_implILS8_3ELb0ES6_jNS0_17counting_iteratorIjlEEPS9_SE_NS0_5tupleIJPjSE_EEENSF_IJSE_SE_EEES9_SG_JZNS1_25segmented_radix_sort_implINS0_14default_configELb0EPKhPhPKlPlN2at6native12_GLOBAL__N_18offset_tEEE10hipError_tPvRmT1_PNSt15iterator_traitsISY_E10value_typeET2_T3_PNSZ_IS14_E10value_typeET4_jRbjT5_S1A_jjP12ihipStream_tbEUljE_EEESV_SW_SX_S14_S18_S1A_T6_T7_T9_mT8_S1C_bDpT10_ENKUlT_T0_E_clISt17integral_constantIbLb0EES1P_EEDaS1K_S1L_EUlS1K_E_NS1_11comp_targetILNS1_3genE10ELNS1_11target_archE1200ELNS1_3gpuE4ELNS1_3repE0EEENS1_30default_config_static_selectorELNS0_4arch9wavefront6targetE0EEEvSY_.numbered_sgpr, 0
	.set _ZN7rocprim17ROCPRIM_400000_NS6detail17trampoline_kernelINS0_13select_configILj256ELj13ELNS0_17block_load_methodE3ELS4_3ELS4_3ELNS0_20block_scan_algorithmE0ELj4294967295EEENS1_25partition_config_selectorILNS1_17partition_subalgoE3EjNS0_10empty_typeEbEEZZNS1_14partition_implILS8_3ELb0ES6_jNS0_17counting_iteratorIjlEEPS9_SE_NS0_5tupleIJPjSE_EEENSF_IJSE_SE_EEES9_SG_JZNS1_25segmented_radix_sort_implINS0_14default_configELb0EPKhPhPKlPlN2at6native12_GLOBAL__N_18offset_tEEE10hipError_tPvRmT1_PNSt15iterator_traitsISY_E10value_typeET2_T3_PNSZ_IS14_E10value_typeET4_jRbjT5_S1A_jjP12ihipStream_tbEUljE_EEESV_SW_SX_S14_S18_S1A_T6_T7_T9_mT8_S1C_bDpT10_ENKUlT_T0_E_clISt17integral_constantIbLb0EES1P_EEDaS1K_S1L_EUlS1K_E_NS1_11comp_targetILNS1_3genE10ELNS1_11target_archE1200ELNS1_3gpuE4ELNS1_3repE0EEENS1_30default_config_static_selectorELNS0_4arch9wavefront6targetE0EEEvSY_.num_named_barrier, 0
	.set _ZN7rocprim17ROCPRIM_400000_NS6detail17trampoline_kernelINS0_13select_configILj256ELj13ELNS0_17block_load_methodE3ELS4_3ELS4_3ELNS0_20block_scan_algorithmE0ELj4294967295EEENS1_25partition_config_selectorILNS1_17partition_subalgoE3EjNS0_10empty_typeEbEEZZNS1_14partition_implILS8_3ELb0ES6_jNS0_17counting_iteratorIjlEEPS9_SE_NS0_5tupleIJPjSE_EEENSF_IJSE_SE_EEES9_SG_JZNS1_25segmented_radix_sort_implINS0_14default_configELb0EPKhPhPKlPlN2at6native12_GLOBAL__N_18offset_tEEE10hipError_tPvRmT1_PNSt15iterator_traitsISY_E10value_typeET2_T3_PNSZ_IS14_E10value_typeET4_jRbjT5_S1A_jjP12ihipStream_tbEUljE_EEESV_SW_SX_S14_S18_S1A_T6_T7_T9_mT8_S1C_bDpT10_ENKUlT_T0_E_clISt17integral_constantIbLb0EES1P_EEDaS1K_S1L_EUlS1K_E_NS1_11comp_targetILNS1_3genE10ELNS1_11target_archE1200ELNS1_3gpuE4ELNS1_3repE0EEENS1_30default_config_static_selectorELNS0_4arch9wavefront6targetE0EEEvSY_.private_seg_size, 0
	.set _ZN7rocprim17ROCPRIM_400000_NS6detail17trampoline_kernelINS0_13select_configILj256ELj13ELNS0_17block_load_methodE3ELS4_3ELS4_3ELNS0_20block_scan_algorithmE0ELj4294967295EEENS1_25partition_config_selectorILNS1_17partition_subalgoE3EjNS0_10empty_typeEbEEZZNS1_14partition_implILS8_3ELb0ES6_jNS0_17counting_iteratorIjlEEPS9_SE_NS0_5tupleIJPjSE_EEENSF_IJSE_SE_EEES9_SG_JZNS1_25segmented_radix_sort_implINS0_14default_configELb0EPKhPhPKlPlN2at6native12_GLOBAL__N_18offset_tEEE10hipError_tPvRmT1_PNSt15iterator_traitsISY_E10value_typeET2_T3_PNSZ_IS14_E10value_typeET4_jRbjT5_S1A_jjP12ihipStream_tbEUljE_EEESV_SW_SX_S14_S18_S1A_T6_T7_T9_mT8_S1C_bDpT10_ENKUlT_T0_E_clISt17integral_constantIbLb0EES1P_EEDaS1K_S1L_EUlS1K_E_NS1_11comp_targetILNS1_3genE10ELNS1_11target_archE1200ELNS1_3gpuE4ELNS1_3repE0EEENS1_30default_config_static_selectorELNS0_4arch9wavefront6targetE0EEEvSY_.uses_vcc, 0
	.set _ZN7rocprim17ROCPRIM_400000_NS6detail17trampoline_kernelINS0_13select_configILj256ELj13ELNS0_17block_load_methodE3ELS4_3ELS4_3ELNS0_20block_scan_algorithmE0ELj4294967295EEENS1_25partition_config_selectorILNS1_17partition_subalgoE3EjNS0_10empty_typeEbEEZZNS1_14partition_implILS8_3ELb0ES6_jNS0_17counting_iteratorIjlEEPS9_SE_NS0_5tupleIJPjSE_EEENSF_IJSE_SE_EEES9_SG_JZNS1_25segmented_radix_sort_implINS0_14default_configELb0EPKhPhPKlPlN2at6native12_GLOBAL__N_18offset_tEEE10hipError_tPvRmT1_PNSt15iterator_traitsISY_E10value_typeET2_T3_PNSZ_IS14_E10value_typeET4_jRbjT5_S1A_jjP12ihipStream_tbEUljE_EEESV_SW_SX_S14_S18_S1A_T6_T7_T9_mT8_S1C_bDpT10_ENKUlT_T0_E_clISt17integral_constantIbLb0EES1P_EEDaS1K_S1L_EUlS1K_E_NS1_11comp_targetILNS1_3genE10ELNS1_11target_archE1200ELNS1_3gpuE4ELNS1_3repE0EEENS1_30default_config_static_selectorELNS0_4arch9wavefront6targetE0EEEvSY_.uses_flat_scratch, 0
	.set _ZN7rocprim17ROCPRIM_400000_NS6detail17trampoline_kernelINS0_13select_configILj256ELj13ELNS0_17block_load_methodE3ELS4_3ELS4_3ELNS0_20block_scan_algorithmE0ELj4294967295EEENS1_25partition_config_selectorILNS1_17partition_subalgoE3EjNS0_10empty_typeEbEEZZNS1_14partition_implILS8_3ELb0ES6_jNS0_17counting_iteratorIjlEEPS9_SE_NS0_5tupleIJPjSE_EEENSF_IJSE_SE_EEES9_SG_JZNS1_25segmented_radix_sort_implINS0_14default_configELb0EPKhPhPKlPlN2at6native12_GLOBAL__N_18offset_tEEE10hipError_tPvRmT1_PNSt15iterator_traitsISY_E10value_typeET2_T3_PNSZ_IS14_E10value_typeET4_jRbjT5_S1A_jjP12ihipStream_tbEUljE_EEESV_SW_SX_S14_S18_S1A_T6_T7_T9_mT8_S1C_bDpT10_ENKUlT_T0_E_clISt17integral_constantIbLb0EES1P_EEDaS1K_S1L_EUlS1K_E_NS1_11comp_targetILNS1_3genE10ELNS1_11target_archE1200ELNS1_3gpuE4ELNS1_3repE0EEENS1_30default_config_static_selectorELNS0_4arch9wavefront6targetE0EEEvSY_.has_dyn_sized_stack, 0
	.set _ZN7rocprim17ROCPRIM_400000_NS6detail17trampoline_kernelINS0_13select_configILj256ELj13ELNS0_17block_load_methodE3ELS4_3ELS4_3ELNS0_20block_scan_algorithmE0ELj4294967295EEENS1_25partition_config_selectorILNS1_17partition_subalgoE3EjNS0_10empty_typeEbEEZZNS1_14partition_implILS8_3ELb0ES6_jNS0_17counting_iteratorIjlEEPS9_SE_NS0_5tupleIJPjSE_EEENSF_IJSE_SE_EEES9_SG_JZNS1_25segmented_radix_sort_implINS0_14default_configELb0EPKhPhPKlPlN2at6native12_GLOBAL__N_18offset_tEEE10hipError_tPvRmT1_PNSt15iterator_traitsISY_E10value_typeET2_T3_PNSZ_IS14_E10value_typeET4_jRbjT5_S1A_jjP12ihipStream_tbEUljE_EEESV_SW_SX_S14_S18_S1A_T6_T7_T9_mT8_S1C_bDpT10_ENKUlT_T0_E_clISt17integral_constantIbLb0EES1P_EEDaS1K_S1L_EUlS1K_E_NS1_11comp_targetILNS1_3genE10ELNS1_11target_archE1200ELNS1_3gpuE4ELNS1_3repE0EEENS1_30default_config_static_selectorELNS0_4arch9wavefront6targetE0EEEvSY_.has_recursion, 0
	.set _ZN7rocprim17ROCPRIM_400000_NS6detail17trampoline_kernelINS0_13select_configILj256ELj13ELNS0_17block_load_methodE3ELS4_3ELS4_3ELNS0_20block_scan_algorithmE0ELj4294967295EEENS1_25partition_config_selectorILNS1_17partition_subalgoE3EjNS0_10empty_typeEbEEZZNS1_14partition_implILS8_3ELb0ES6_jNS0_17counting_iteratorIjlEEPS9_SE_NS0_5tupleIJPjSE_EEENSF_IJSE_SE_EEES9_SG_JZNS1_25segmented_radix_sort_implINS0_14default_configELb0EPKhPhPKlPlN2at6native12_GLOBAL__N_18offset_tEEE10hipError_tPvRmT1_PNSt15iterator_traitsISY_E10value_typeET2_T3_PNSZ_IS14_E10value_typeET4_jRbjT5_S1A_jjP12ihipStream_tbEUljE_EEESV_SW_SX_S14_S18_S1A_T6_T7_T9_mT8_S1C_bDpT10_ENKUlT_T0_E_clISt17integral_constantIbLb0EES1P_EEDaS1K_S1L_EUlS1K_E_NS1_11comp_targetILNS1_3genE10ELNS1_11target_archE1200ELNS1_3gpuE4ELNS1_3repE0EEENS1_30default_config_static_selectorELNS0_4arch9wavefront6targetE0EEEvSY_.has_indirect_call, 0
	.section	.AMDGPU.csdata,"",@progbits
; Kernel info:
; codeLenInByte = 0
; TotalNumSgprs: 0
; NumVgprs: 0
; ScratchSize: 0
; MemoryBound: 0
; FloatMode: 240
; IeeeMode: 1
; LDSByteSize: 0 bytes/workgroup (compile time only)
; SGPRBlocks: 0
; VGPRBlocks: 0
; NumSGPRsForWavesPerEU: 1
; NumVGPRsForWavesPerEU: 1
; NamedBarCnt: 0
; Occupancy: 16
; WaveLimiterHint : 0
; COMPUTE_PGM_RSRC2:SCRATCH_EN: 0
; COMPUTE_PGM_RSRC2:USER_SGPR: 2
; COMPUTE_PGM_RSRC2:TRAP_HANDLER: 0
; COMPUTE_PGM_RSRC2:TGID_X_EN: 1
; COMPUTE_PGM_RSRC2:TGID_Y_EN: 0
; COMPUTE_PGM_RSRC2:TGID_Z_EN: 0
; COMPUTE_PGM_RSRC2:TIDIG_COMP_CNT: 0
	.section	.text._ZN7rocprim17ROCPRIM_400000_NS6detail17trampoline_kernelINS0_13select_configILj256ELj13ELNS0_17block_load_methodE3ELS4_3ELS4_3ELNS0_20block_scan_algorithmE0ELj4294967295EEENS1_25partition_config_selectorILNS1_17partition_subalgoE3EjNS0_10empty_typeEbEEZZNS1_14partition_implILS8_3ELb0ES6_jNS0_17counting_iteratorIjlEEPS9_SE_NS0_5tupleIJPjSE_EEENSF_IJSE_SE_EEES9_SG_JZNS1_25segmented_radix_sort_implINS0_14default_configELb0EPKhPhPKlPlN2at6native12_GLOBAL__N_18offset_tEEE10hipError_tPvRmT1_PNSt15iterator_traitsISY_E10value_typeET2_T3_PNSZ_IS14_E10value_typeET4_jRbjT5_S1A_jjP12ihipStream_tbEUljE_EEESV_SW_SX_S14_S18_S1A_T6_T7_T9_mT8_S1C_bDpT10_ENKUlT_T0_E_clISt17integral_constantIbLb0EES1P_EEDaS1K_S1L_EUlS1K_E_NS1_11comp_targetILNS1_3genE9ELNS1_11target_archE1100ELNS1_3gpuE3ELNS1_3repE0EEENS1_30default_config_static_selectorELNS0_4arch9wavefront6targetE0EEEvSY_,"axG",@progbits,_ZN7rocprim17ROCPRIM_400000_NS6detail17trampoline_kernelINS0_13select_configILj256ELj13ELNS0_17block_load_methodE3ELS4_3ELS4_3ELNS0_20block_scan_algorithmE0ELj4294967295EEENS1_25partition_config_selectorILNS1_17partition_subalgoE3EjNS0_10empty_typeEbEEZZNS1_14partition_implILS8_3ELb0ES6_jNS0_17counting_iteratorIjlEEPS9_SE_NS0_5tupleIJPjSE_EEENSF_IJSE_SE_EEES9_SG_JZNS1_25segmented_radix_sort_implINS0_14default_configELb0EPKhPhPKlPlN2at6native12_GLOBAL__N_18offset_tEEE10hipError_tPvRmT1_PNSt15iterator_traitsISY_E10value_typeET2_T3_PNSZ_IS14_E10value_typeET4_jRbjT5_S1A_jjP12ihipStream_tbEUljE_EEESV_SW_SX_S14_S18_S1A_T6_T7_T9_mT8_S1C_bDpT10_ENKUlT_T0_E_clISt17integral_constantIbLb0EES1P_EEDaS1K_S1L_EUlS1K_E_NS1_11comp_targetILNS1_3genE9ELNS1_11target_archE1100ELNS1_3gpuE3ELNS1_3repE0EEENS1_30default_config_static_selectorELNS0_4arch9wavefront6targetE0EEEvSY_,comdat
	.globl	_ZN7rocprim17ROCPRIM_400000_NS6detail17trampoline_kernelINS0_13select_configILj256ELj13ELNS0_17block_load_methodE3ELS4_3ELS4_3ELNS0_20block_scan_algorithmE0ELj4294967295EEENS1_25partition_config_selectorILNS1_17partition_subalgoE3EjNS0_10empty_typeEbEEZZNS1_14partition_implILS8_3ELb0ES6_jNS0_17counting_iteratorIjlEEPS9_SE_NS0_5tupleIJPjSE_EEENSF_IJSE_SE_EEES9_SG_JZNS1_25segmented_radix_sort_implINS0_14default_configELb0EPKhPhPKlPlN2at6native12_GLOBAL__N_18offset_tEEE10hipError_tPvRmT1_PNSt15iterator_traitsISY_E10value_typeET2_T3_PNSZ_IS14_E10value_typeET4_jRbjT5_S1A_jjP12ihipStream_tbEUljE_EEESV_SW_SX_S14_S18_S1A_T6_T7_T9_mT8_S1C_bDpT10_ENKUlT_T0_E_clISt17integral_constantIbLb0EES1P_EEDaS1K_S1L_EUlS1K_E_NS1_11comp_targetILNS1_3genE9ELNS1_11target_archE1100ELNS1_3gpuE3ELNS1_3repE0EEENS1_30default_config_static_selectorELNS0_4arch9wavefront6targetE0EEEvSY_ ; -- Begin function _ZN7rocprim17ROCPRIM_400000_NS6detail17trampoline_kernelINS0_13select_configILj256ELj13ELNS0_17block_load_methodE3ELS4_3ELS4_3ELNS0_20block_scan_algorithmE0ELj4294967295EEENS1_25partition_config_selectorILNS1_17partition_subalgoE3EjNS0_10empty_typeEbEEZZNS1_14partition_implILS8_3ELb0ES6_jNS0_17counting_iteratorIjlEEPS9_SE_NS0_5tupleIJPjSE_EEENSF_IJSE_SE_EEES9_SG_JZNS1_25segmented_radix_sort_implINS0_14default_configELb0EPKhPhPKlPlN2at6native12_GLOBAL__N_18offset_tEEE10hipError_tPvRmT1_PNSt15iterator_traitsISY_E10value_typeET2_T3_PNSZ_IS14_E10value_typeET4_jRbjT5_S1A_jjP12ihipStream_tbEUljE_EEESV_SW_SX_S14_S18_S1A_T6_T7_T9_mT8_S1C_bDpT10_ENKUlT_T0_E_clISt17integral_constantIbLb0EES1P_EEDaS1K_S1L_EUlS1K_E_NS1_11comp_targetILNS1_3genE9ELNS1_11target_archE1100ELNS1_3gpuE3ELNS1_3repE0EEENS1_30default_config_static_selectorELNS0_4arch9wavefront6targetE0EEEvSY_
	.p2align	8
	.type	_ZN7rocprim17ROCPRIM_400000_NS6detail17trampoline_kernelINS0_13select_configILj256ELj13ELNS0_17block_load_methodE3ELS4_3ELS4_3ELNS0_20block_scan_algorithmE0ELj4294967295EEENS1_25partition_config_selectorILNS1_17partition_subalgoE3EjNS0_10empty_typeEbEEZZNS1_14partition_implILS8_3ELb0ES6_jNS0_17counting_iteratorIjlEEPS9_SE_NS0_5tupleIJPjSE_EEENSF_IJSE_SE_EEES9_SG_JZNS1_25segmented_radix_sort_implINS0_14default_configELb0EPKhPhPKlPlN2at6native12_GLOBAL__N_18offset_tEEE10hipError_tPvRmT1_PNSt15iterator_traitsISY_E10value_typeET2_T3_PNSZ_IS14_E10value_typeET4_jRbjT5_S1A_jjP12ihipStream_tbEUljE_EEESV_SW_SX_S14_S18_S1A_T6_T7_T9_mT8_S1C_bDpT10_ENKUlT_T0_E_clISt17integral_constantIbLb0EES1P_EEDaS1K_S1L_EUlS1K_E_NS1_11comp_targetILNS1_3genE9ELNS1_11target_archE1100ELNS1_3gpuE3ELNS1_3repE0EEENS1_30default_config_static_selectorELNS0_4arch9wavefront6targetE0EEEvSY_,@function
_ZN7rocprim17ROCPRIM_400000_NS6detail17trampoline_kernelINS0_13select_configILj256ELj13ELNS0_17block_load_methodE3ELS4_3ELS4_3ELNS0_20block_scan_algorithmE0ELj4294967295EEENS1_25partition_config_selectorILNS1_17partition_subalgoE3EjNS0_10empty_typeEbEEZZNS1_14partition_implILS8_3ELb0ES6_jNS0_17counting_iteratorIjlEEPS9_SE_NS0_5tupleIJPjSE_EEENSF_IJSE_SE_EEES9_SG_JZNS1_25segmented_radix_sort_implINS0_14default_configELb0EPKhPhPKlPlN2at6native12_GLOBAL__N_18offset_tEEE10hipError_tPvRmT1_PNSt15iterator_traitsISY_E10value_typeET2_T3_PNSZ_IS14_E10value_typeET4_jRbjT5_S1A_jjP12ihipStream_tbEUljE_EEESV_SW_SX_S14_S18_S1A_T6_T7_T9_mT8_S1C_bDpT10_ENKUlT_T0_E_clISt17integral_constantIbLb0EES1P_EEDaS1K_S1L_EUlS1K_E_NS1_11comp_targetILNS1_3genE9ELNS1_11target_archE1100ELNS1_3gpuE3ELNS1_3repE0EEENS1_30default_config_static_selectorELNS0_4arch9wavefront6targetE0EEEvSY_: ; @_ZN7rocprim17ROCPRIM_400000_NS6detail17trampoline_kernelINS0_13select_configILj256ELj13ELNS0_17block_load_methodE3ELS4_3ELS4_3ELNS0_20block_scan_algorithmE0ELj4294967295EEENS1_25partition_config_selectorILNS1_17partition_subalgoE3EjNS0_10empty_typeEbEEZZNS1_14partition_implILS8_3ELb0ES6_jNS0_17counting_iteratorIjlEEPS9_SE_NS0_5tupleIJPjSE_EEENSF_IJSE_SE_EEES9_SG_JZNS1_25segmented_radix_sort_implINS0_14default_configELb0EPKhPhPKlPlN2at6native12_GLOBAL__N_18offset_tEEE10hipError_tPvRmT1_PNSt15iterator_traitsISY_E10value_typeET2_T3_PNSZ_IS14_E10value_typeET4_jRbjT5_S1A_jjP12ihipStream_tbEUljE_EEESV_SW_SX_S14_S18_S1A_T6_T7_T9_mT8_S1C_bDpT10_ENKUlT_T0_E_clISt17integral_constantIbLb0EES1P_EEDaS1K_S1L_EUlS1K_E_NS1_11comp_targetILNS1_3genE9ELNS1_11target_archE1100ELNS1_3gpuE3ELNS1_3repE0EEENS1_30default_config_static_selectorELNS0_4arch9wavefront6targetE0EEEvSY_
; %bb.0:
	.section	.rodata,"a",@progbits
	.p2align	6, 0x0
	.amdhsa_kernel _ZN7rocprim17ROCPRIM_400000_NS6detail17trampoline_kernelINS0_13select_configILj256ELj13ELNS0_17block_load_methodE3ELS4_3ELS4_3ELNS0_20block_scan_algorithmE0ELj4294967295EEENS1_25partition_config_selectorILNS1_17partition_subalgoE3EjNS0_10empty_typeEbEEZZNS1_14partition_implILS8_3ELb0ES6_jNS0_17counting_iteratorIjlEEPS9_SE_NS0_5tupleIJPjSE_EEENSF_IJSE_SE_EEES9_SG_JZNS1_25segmented_radix_sort_implINS0_14default_configELb0EPKhPhPKlPlN2at6native12_GLOBAL__N_18offset_tEEE10hipError_tPvRmT1_PNSt15iterator_traitsISY_E10value_typeET2_T3_PNSZ_IS14_E10value_typeET4_jRbjT5_S1A_jjP12ihipStream_tbEUljE_EEESV_SW_SX_S14_S18_S1A_T6_T7_T9_mT8_S1C_bDpT10_ENKUlT_T0_E_clISt17integral_constantIbLb0EES1P_EEDaS1K_S1L_EUlS1K_E_NS1_11comp_targetILNS1_3genE9ELNS1_11target_archE1100ELNS1_3gpuE3ELNS1_3repE0EEENS1_30default_config_static_selectorELNS0_4arch9wavefront6targetE0EEEvSY_
		.amdhsa_group_segment_fixed_size 0
		.amdhsa_private_segment_fixed_size 0
		.amdhsa_kernarg_size 144
		.amdhsa_user_sgpr_count 2
		.amdhsa_user_sgpr_dispatch_ptr 0
		.amdhsa_user_sgpr_queue_ptr 0
		.amdhsa_user_sgpr_kernarg_segment_ptr 1
		.amdhsa_user_sgpr_dispatch_id 0
		.amdhsa_user_sgpr_kernarg_preload_length 0
		.amdhsa_user_sgpr_kernarg_preload_offset 0
		.amdhsa_user_sgpr_private_segment_size 0
		.amdhsa_wavefront_size32 1
		.amdhsa_uses_dynamic_stack 0
		.amdhsa_enable_private_segment 0
		.amdhsa_system_sgpr_workgroup_id_x 1
		.amdhsa_system_sgpr_workgroup_id_y 0
		.amdhsa_system_sgpr_workgroup_id_z 0
		.amdhsa_system_sgpr_workgroup_info 0
		.amdhsa_system_vgpr_workitem_id 0
		.amdhsa_next_free_vgpr 1
		.amdhsa_next_free_sgpr 1
		.amdhsa_named_barrier_count 0
		.amdhsa_reserve_vcc 0
		.amdhsa_float_round_mode_32 0
		.amdhsa_float_round_mode_16_64 0
		.amdhsa_float_denorm_mode_32 3
		.amdhsa_float_denorm_mode_16_64 3
		.amdhsa_fp16_overflow 0
		.amdhsa_memory_ordered 1
		.amdhsa_forward_progress 1
		.amdhsa_inst_pref_size 0
		.amdhsa_round_robin_scheduling 0
		.amdhsa_exception_fp_ieee_invalid_op 0
		.amdhsa_exception_fp_denorm_src 0
		.amdhsa_exception_fp_ieee_div_zero 0
		.amdhsa_exception_fp_ieee_overflow 0
		.amdhsa_exception_fp_ieee_underflow 0
		.amdhsa_exception_fp_ieee_inexact 0
		.amdhsa_exception_int_div_zero 0
	.end_amdhsa_kernel
	.section	.text._ZN7rocprim17ROCPRIM_400000_NS6detail17trampoline_kernelINS0_13select_configILj256ELj13ELNS0_17block_load_methodE3ELS4_3ELS4_3ELNS0_20block_scan_algorithmE0ELj4294967295EEENS1_25partition_config_selectorILNS1_17partition_subalgoE3EjNS0_10empty_typeEbEEZZNS1_14partition_implILS8_3ELb0ES6_jNS0_17counting_iteratorIjlEEPS9_SE_NS0_5tupleIJPjSE_EEENSF_IJSE_SE_EEES9_SG_JZNS1_25segmented_radix_sort_implINS0_14default_configELb0EPKhPhPKlPlN2at6native12_GLOBAL__N_18offset_tEEE10hipError_tPvRmT1_PNSt15iterator_traitsISY_E10value_typeET2_T3_PNSZ_IS14_E10value_typeET4_jRbjT5_S1A_jjP12ihipStream_tbEUljE_EEESV_SW_SX_S14_S18_S1A_T6_T7_T9_mT8_S1C_bDpT10_ENKUlT_T0_E_clISt17integral_constantIbLb0EES1P_EEDaS1K_S1L_EUlS1K_E_NS1_11comp_targetILNS1_3genE9ELNS1_11target_archE1100ELNS1_3gpuE3ELNS1_3repE0EEENS1_30default_config_static_selectorELNS0_4arch9wavefront6targetE0EEEvSY_,"axG",@progbits,_ZN7rocprim17ROCPRIM_400000_NS6detail17trampoline_kernelINS0_13select_configILj256ELj13ELNS0_17block_load_methodE3ELS4_3ELS4_3ELNS0_20block_scan_algorithmE0ELj4294967295EEENS1_25partition_config_selectorILNS1_17partition_subalgoE3EjNS0_10empty_typeEbEEZZNS1_14partition_implILS8_3ELb0ES6_jNS0_17counting_iteratorIjlEEPS9_SE_NS0_5tupleIJPjSE_EEENSF_IJSE_SE_EEES9_SG_JZNS1_25segmented_radix_sort_implINS0_14default_configELb0EPKhPhPKlPlN2at6native12_GLOBAL__N_18offset_tEEE10hipError_tPvRmT1_PNSt15iterator_traitsISY_E10value_typeET2_T3_PNSZ_IS14_E10value_typeET4_jRbjT5_S1A_jjP12ihipStream_tbEUljE_EEESV_SW_SX_S14_S18_S1A_T6_T7_T9_mT8_S1C_bDpT10_ENKUlT_T0_E_clISt17integral_constantIbLb0EES1P_EEDaS1K_S1L_EUlS1K_E_NS1_11comp_targetILNS1_3genE9ELNS1_11target_archE1100ELNS1_3gpuE3ELNS1_3repE0EEENS1_30default_config_static_selectorELNS0_4arch9wavefront6targetE0EEEvSY_,comdat
.Lfunc_end159:
	.size	_ZN7rocprim17ROCPRIM_400000_NS6detail17trampoline_kernelINS0_13select_configILj256ELj13ELNS0_17block_load_methodE3ELS4_3ELS4_3ELNS0_20block_scan_algorithmE0ELj4294967295EEENS1_25partition_config_selectorILNS1_17partition_subalgoE3EjNS0_10empty_typeEbEEZZNS1_14partition_implILS8_3ELb0ES6_jNS0_17counting_iteratorIjlEEPS9_SE_NS0_5tupleIJPjSE_EEENSF_IJSE_SE_EEES9_SG_JZNS1_25segmented_radix_sort_implINS0_14default_configELb0EPKhPhPKlPlN2at6native12_GLOBAL__N_18offset_tEEE10hipError_tPvRmT1_PNSt15iterator_traitsISY_E10value_typeET2_T3_PNSZ_IS14_E10value_typeET4_jRbjT5_S1A_jjP12ihipStream_tbEUljE_EEESV_SW_SX_S14_S18_S1A_T6_T7_T9_mT8_S1C_bDpT10_ENKUlT_T0_E_clISt17integral_constantIbLb0EES1P_EEDaS1K_S1L_EUlS1K_E_NS1_11comp_targetILNS1_3genE9ELNS1_11target_archE1100ELNS1_3gpuE3ELNS1_3repE0EEENS1_30default_config_static_selectorELNS0_4arch9wavefront6targetE0EEEvSY_, .Lfunc_end159-_ZN7rocprim17ROCPRIM_400000_NS6detail17trampoline_kernelINS0_13select_configILj256ELj13ELNS0_17block_load_methodE3ELS4_3ELS4_3ELNS0_20block_scan_algorithmE0ELj4294967295EEENS1_25partition_config_selectorILNS1_17partition_subalgoE3EjNS0_10empty_typeEbEEZZNS1_14partition_implILS8_3ELb0ES6_jNS0_17counting_iteratorIjlEEPS9_SE_NS0_5tupleIJPjSE_EEENSF_IJSE_SE_EEES9_SG_JZNS1_25segmented_radix_sort_implINS0_14default_configELb0EPKhPhPKlPlN2at6native12_GLOBAL__N_18offset_tEEE10hipError_tPvRmT1_PNSt15iterator_traitsISY_E10value_typeET2_T3_PNSZ_IS14_E10value_typeET4_jRbjT5_S1A_jjP12ihipStream_tbEUljE_EEESV_SW_SX_S14_S18_S1A_T6_T7_T9_mT8_S1C_bDpT10_ENKUlT_T0_E_clISt17integral_constantIbLb0EES1P_EEDaS1K_S1L_EUlS1K_E_NS1_11comp_targetILNS1_3genE9ELNS1_11target_archE1100ELNS1_3gpuE3ELNS1_3repE0EEENS1_30default_config_static_selectorELNS0_4arch9wavefront6targetE0EEEvSY_
                                        ; -- End function
	.set _ZN7rocprim17ROCPRIM_400000_NS6detail17trampoline_kernelINS0_13select_configILj256ELj13ELNS0_17block_load_methodE3ELS4_3ELS4_3ELNS0_20block_scan_algorithmE0ELj4294967295EEENS1_25partition_config_selectorILNS1_17partition_subalgoE3EjNS0_10empty_typeEbEEZZNS1_14partition_implILS8_3ELb0ES6_jNS0_17counting_iteratorIjlEEPS9_SE_NS0_5tupleIJPjSE_EEENSF_IJSE_SE_EEES9_SG_JZNS1_25segmented_radix_sort_implINS0_14default_configELb0EPKhPhPKlPlN2at6native12_GLOBAL__N_18offset_tEEE10hipError_tPvRmT1_PNSt15iterator_traitsISY_E10value_typeET2_T3_PNSZ_IS14_E10value_typeET4_jRbjT5_S1A_jjP12ihipStream_tbEUljE_EEESV_SW_SX_S14_S18_S1A_T6_T7_T9_mT8_S1C_bDpT10_ENKUlT_T0_E_clISt17integral_constantIbLb0EES1P_EEDaS1K_S1L_EUlS1K_E_NS1_11comp_targetILNS1_3genE9ELNS1_11target_archE1100ELNS1_3gpuE3ELNS1_3repE0EEENS1_30default_config_static_selectorELNS0_4arch9wavefront6targetE0EEEvSY_.num_vgpr, 0
	.set _ZN7rocprim17ROCPRIM_400000_NS6detail17trampoline_kernelINS0_13select_configILj256ELj13ELNS0_17block_load_methodE3ELS4_3ELS4_3ELNS0_20block_scan_algorithmE0ELj4294967295EEENS1_25partition_config_selectorILNS1_17partition_subalgoE3EjNS0_10empty_typeEbEEZZNS1_14partition_implILS8_3ELb0ES6_jNS0_17counting_iteratorIjlEEPS9_SE_NS0_5tupleIJPjSE_EEENSF_IJSE_SE_EEES9_SG_JZNS1_25segmented_radix_sort_implINS0_14default_configELb0EPKhPhPKlPlN2at6native12_GLOBAL__N_18offset_tEEE10hipError_tPvRmT1_PNSt15iterator_traitsISY_E10value_typeET2_T3_PNSZ_IS14_E10value_typeET4_jRbjT5_S1A_jjP12ihipStream_tbEUljE_EEESV_SW_SX_S14_S18_S1A_T6_T7_T9_mT8_S1C_bDpT10_ENKUlT_T0_E_clISt17integral_constantIbLb0EES1P_EEDaS1K_S1L_EUlS1K_E_NS1_11comp_targetILNS1_3genE9ELNS1_11target_archE1100ELNS1_3gpuE3ELNS1_3repE0EEENS1_30default_config_static_selectorELNS0_4arch9wavefront6targetE0EEEvSY_.num_agpr, 0
	.set _ZN7rocprim17ROCPRIM_400000_NS6detail17trampoline_kernelINS0_13select_configILj256ELj13ELNS0_17block_load_methodE3ELS4_3ELS4_3ELNS0_20block_scan_algorithmE0ELj4294967295EEENS1_25partition_config_selectorILNS1_17partition_subalgoE3EjNS0_10empty_typeEbEEZZNS1_14partition_implILS8_3ELb0ES6_jNS0_17counting_iteratorIjlEEPS9_SE_NS0_5tupleIJPjSE_EEENSF_IJSE_SE_EEES9_SG_JZNS1_25segmented_radix_sort_implINS0_14default_configELb0EPKhPhPKlPlN2at6native12_GLOBAL__N_18offset_tEEE10hipError_tPvRmT1_PNSt15iterator_traitsISY_E10value_typeET2_T3_PNSZ_IS14_E10value_typeET4_jRbjT5_S1A_jjP12ihipStream_tbEUljE_EEESV_SW_SX_S14_S18_S1A_T6_T7_T9_mT8_S1C_bDpT10_ENKUlT_T0_E_clISt17integral_constantIbLb0EES1P_EEDaS1K_S1L_EUlS1K_E_NS1_11comp_targetILNS1_3genE9ELNS1_11target_archE1100ELNS1_3gpuE3ELNS1_3repE0EEENS1_30default_config_static_selectorELNS0_4arch9wavefront6targetE0EEEvSY_.numbered_sgpr, 0
	.set _ZN7rocprim17ROCPRIM_400000_NS6detail17trampoline_kernelINS0_13select_configILj256ELj13ELNS0_17block_load_methodE3ELS4_3ELS4_3ELNS0_20block_scan_algorithmE0ELj4294967295EEENS1_25partition_config_selectorILNS1_17partition_subalgoE3EjNS0_10empty_typeEbEEZZNS1_14partition_implILS8_3ELb0ES6_jNS0_17counting_iteratorIjlEEPS9_SE_NS0_5tupleIJPjSE_EEENSF_IJSE_SE_EEES9_SG_JZNS1_25segmented_radix_sort_implINS0_14default_configELb0EPKhPhPKlPlN2at6native12_GLOBAL__N_18offset_tEEE10hipError_tPvRmT1_PNSt15iterator_traitsISY_E10value_typeET2_T3_PNSZ_IS14_E10value_typeET4_jRbjT5_S1A_jjP12ihipStream_tbEUljE_EEESV_SW_SX_S14_S18_S1A_T6_T7_T9_mT8_S1C_bDpT10_ENKUlT_T0_E_clISt17integral_constantIbLb0EES1P_EEDaS1K_S1L_EUlS1K_E_NS1_11comp_targetILNS1_3genE9ELNS1_11target_archE1100ELNS1_3gpuE3ELNS1_3repE0EEENS1_30default_config_static_selectorELNS0_4arch9wavefront6targetE0EEEvSY_.num_named_barrier, 0
	.set _ZN7rocprim17ROCPRIM_400000_NS6detail17trampoline_kernelINS0_13select_configILj256ELj13ELNS0_17block_load_methodE3ELS4_3ELS4_3ELNS0_20block_scan_algorithmE0ELj4294967295EEENS1_25partition_config_selectorILNS1_17partition_subalgoE3EjNS0_10empty_typeEbEEZZNS1_14partition_implILS8_3ELb0ES6_jNS0_17counting_iteratorIjlEEPS9_SE_NS0_5tupleIJPjSE_EEENSF_IJSE_SE_EEES9_SG_JZNS1_25segmented_radix_sort_implINS0_14default_configELb0EPKhPhPKlPlN2at6native12_GLOBAL__N_18offset_tEEE10hipError_tPvRmT1_PNSt15iterator_traitsISY_E10value_typeET2_T3_PNSZ_IS14_E10value_typeET4_jRbjT5_S1A_jjP12ihipStream_tbEUljE_EEESV_SW_SX_S14_S18_S1A_T6_T7_T9_mT8_S1C_bDpT10_ENKUlT_T0_E_clISt17integral_constantIbLb0EES1P_EEDaS1K_S1L_EUlS1K_E_NS1_11comp_targetILNS1_3genE9ELNS1_11target_archE1100ELNS1_3gpuE3ELNS1_3repE0EEENS1_30default_config_static_selectorELNS0_4arch9wavefront6targetE0EEEvSY_.private_seg_size, 0
	.set _ZN7rocprim17ROCPRIM_400000_NS6detail17trampoline_kernelINS0_13select_configILj256ELj13ELNS0_17block_load_methodE3ELS4_3ELS4_3ELNS0_20block_scan_algorithmE0ELj4294967295EEENS1_25partition_config_selectorILNS1_17partition_subalgoE3EjNS0_10empty_typeEbEEZZNS1_14partition_implILS8_3ELb0ES6_jNS0_17counting_iteratorIjlEEPS9_SE_NS0_5tupleIJPjSE_EEENSF_IJSE_SE_EEES9_SG_JZNS1_25segmented_radix_sort_implINS0_14default_configELb0EPKhPhPKlPlN2at6native12_GLOBAL__N_18offset_tEEE10hipError_tPvRmT1_PNSt15iterator_traitsISY_E10value_typeET2_T3_PNSZ_IS14_E10value_typeET4_jRbjT5_S1A_jjP12ihipStream_tbEUljE_EEESV_SW_SX_S14_S18_S1A_T6_T7_T9_mT8_S1C_bDpT10_ENKUlT_T0_E_clISt17integral_constantIbLb0EES1P_EEDaS1K_S1L_EUlS1K_E_NS1_11comp_targetILNS1_3genE9ELNS1_11target_archE1100ELNS1_3gpuE3ELNS1_3repE0EEENS1_30default_config_static_selectorELNS0_4arch9wavefront6targetE0EEEvSY_.uses_vcc, 0
	.set _ZN7rocprim17ROCPRIM_400000_NS6detail17trampoline_kernelINS0_13select_configILj256ELj13ELNS0_17block_load_methodE3ELS4_3ELS4_3ELNS0_20block_scan_algorithmE0ELj4294967295EEENS1_25partition_config_selectorILNS1_17partition_subalgoE3EjNS0_10empty_typeEbEEZZNS1_14partition_implILS8_3ELb0ES6_jNS0_17counting_iteratorIjlEEPS9_SE_NS0_5tupleIJPjSE_EEENSF_IJSE_SE_EEES9_SG_JZNS1_25segmented_radix_sort_implINS0_14default_configELb0EPKhPhPKlPlN2at6native12_GLOBAL__N_18offset_tEEE10hipError_tPvRmT1_PNSt15iterator_traitsISY_E10value_typeET2_T3_PNSZ_IS14_E10value_typeET4_jRbjT5_S1A_jjP12ihipStream_tbEUljE_EEESV_SW_SX_S14_S18_S1A_T6_T7_T9_mT8_S1C_bDpT10_ENKUlT_T0_E_clISt17integral_constantIbLb0EES1P_EEDaS1K_S1L_EUlS1K_E_NS1_11comp_targetILNS1_3genE9ELNS1_11target_archE1100ELNS1_3gpuE3ELNS1_3repE0EEENS1_30default_config_static_selectorELNS0_4arch9wavefront6targetE0EEEvSY_.uses_flat_scratch, 0
	.set _ZN7rocprim17ROCPRIM_400000_NS6detail17trampoline_kernelINS0_13select_configILj256ELj13ELNS0_17block_load_methodE3ELS4_3ELS4_3ELNS0_20block_scan_algorithmE0ELj4294967295EEENS1_25partition_config_selectorILNS1_17partition_subalgoE3EjNS0_10empty_typeEbEEZZNS1_14partition_implILS8_3ELb0ES6_jNS0_17counting_iteratorIjlEEPS9_SE_NS0_5tupleIJPjSE_EEENSF_IJSE_SE_EEES9_SG_JZNS1_25segmented_radix_sort_implINS0_14default_configELb0EPKhPhPKlPlN2at6native12_GLOBAL__N_18offset_tEEE10hipError_tPvRmT1_PNSt15iterator_traitsISY_E10value_typeET2_T3_PNSZ_IS14_E10value_typeET4_jRbjT5_S1A_jjP12ihipStream_tbEUljE_EEESV_SW_SX_S14_S18_S1A_T6_T7_T9_mT8_S1C_bDpT10_ENKUlT_T0_E_clISt17integral_constantIbLb0EES1P_EEDaS1K_S1L_EUlS1K_E_NS1_11comp_targetILNS1_3genE9ELNS1_11target_archE1100ELNS1_3gpuE3ELNS1_3repE0EEENS1_30default_config_static_selectorELNS0_4arch9wavefront6targetE0EEEvSY_.has_dyn_sized_stack, 0
	.set _ZN7rocprim17ROCPRIM_400000_NS6detail17trampoline_kernelINS0_13select_configILj256ELj13ELNS0_17block_load_methodE3ELS4_3ELS4_3ELNS0_20block_scan_algorithmE0ELj4294967295EEENS1_25partition_config_selectorILNS1_17partition_subalgoE3EjNS0_10empty_typeEbEEZZNS1_14partition_implILS8_3ELb0ES6_jNS0_17counting_iteratorIjlEEPS9_SE_NS0_5tupleIJPjSE_EEENSF_IJSE_SE_EEES9_SG_JZNS1_25segmented_radix_sort_implINS0_14default_configELb0EPKhPhPKlPlN2at6native12_GLOBAL__N_18offset_tEEE10hipError_tPvRmT1_PNSt15iterator_traitsISY_E10value_typeET2_T3_PNSZ_IS14_E10value_typeET4_jRbjT5_S1A_jjP12ihipStream_tbEUljE_EEESV_SW_SX_S14_S18_S1A_T6_T7_T9_mT8_S1C_bDpT10_ENKUlT_T0_E_clISt17integral_constantIbLb0EES1P_EEDaS1K_S1L_EUlS1K_E_NS1_11comp_targetILNS1_3genE9ELNS1_11target_archE1100ELNS1_3gpuE3ELNS1_3repE0EEENS1_30default_config_static_selectorELNS0_4arch9wavefront6targetE0EEEvSY_.has_recursion, 0
	.set _ZN7rocprim17ROCPRIM_400000_NS6detail17trampoline_kernelINS0_13select_configILj256ELj13ELNS0_17block_load_methodE3ELS4_3ELS4_3ELNS0_20block_scan_algorithmE0ELj4294967295EEENS1_25partition_config_selectorILNS1_17partition_subalgoE3EjNS0_10empty_typeEbEEZZNS1_14partition_implILS8_3ELb0ES6_jNS0_17counting_iteratorIjlEEPS9_SE_NS0_5tupleIJPjSE_EEENSF_IJSE_SE_EEES9_SG_JZNS1_25segmented_radix_sort_implINS0_14default_configELb0EPKhPhPKlPlN2at6native12_GLOBAL__N_18offset_tEEE10hipError_tPvRmT1_PNSt15iterator_traitsISY_E10value_typeET2_T3_PNSZ_IS14_E10value_typeET4_jRbjT5_S1A_jjP12ihipStream_tbEUljE_EEESV_SW_SX_S14_S18_S1A_T6_T7_T9_mT8_S1C_bDpT10_ENKUlT_T0_E_clISt17integral_constantIbLb0EES1P_EEDaS1K_S1L_EUlS1K_E_NS1_11comp_targetILNS1_3genE9ELNS1_11target_archE1100ELNS1_3gpuE3ELNS1_3repE0EEENS1_30default_config_static_selectorELNS0_4arch9wavefront6targetE0EEEvSY_.has_indirect_call, 0
	.section	.AMDGPU.csdata,"",@progbits
; Kernel info:
; codeLenInByte = 0
; TotalNumSgprs: 0
; NumVgprs: 0
; ScratchSize: 0
; MemoryBound: 0
; FloatMode: 240
; IeeeMode: 1
; LDSByteSize: 0 bytes/workgroup (compile time only)
; SGPRBlocks: 0
; VGPRBlocks: 0
; NumSGPRsForWavesPerEU: 1
; NumVGPRsForWavesPerEU: 1
; NamedBarCnt: 0
; Occupancy: 16
; WaveLimiterHint : 0
; COMPUTE_PGM_RSRC2:SCRATCH_EN: 0
; COMPUTE_PGM_RSRC2:USER_SGPR: 2
; COMPUTE_PGM_RSRC2:TRAP_HANDLER: 0
; COMPUTE_PGM_RSRC2:TGID_X_EN: 1
; COMPUTE_PGM_RSRC2:TGID_Y_EN: 0
; COMPUTE_PGM_RSRC2:TGID_Z_EN: 0
; COMPUTE_PGM_RSRC2:TIDIG_COMP_CNT: 0
	.section	.text._ZN7rocprim17ROCPRIM_400000_NS6detail17trampoline_kernelINS0_13select_configILj256ELj13ELNS0_17block_load_methodE3ELS4_3ELS4_3ELNS0_20block_scan_algorithmE0ELj4294967295EEENS1_25partition_config_selectorILNS1_17partition_subalgoE3EjNS0_10empty_typeEbEEZZNS1_14partition_implILS8_3ELb0ES6_jNS0_17counting_iteratorIjlEEPS9_SE_NS0_5tupleIJPjSE_EEENSF_IJSE_SE_EEES9_SG_JZNS1_25segmented_radix_sort_implINS0_14default_configELb0EPKhPhPKlPlN2at6native12_GLOBAL__N_18offset_tEEE10hipError_tPvRmT1_PNSt15iterator_traitsISY_E10value_typeET2_T3_PNSZ_IS14_E10value_typeET4_jRbjT5_S1A_jjP12ihipStream_tbEUljE_EEESV_SW_SX_S14_S18_S1A_T6_T7_T9_mT8_S1C_bDpT10_ENKUlT_T0_E_clISt17integral_constantIbLb0EES1P_EEDaS1K_S1L_EUlS1K_E_NS1_11comp_targetILNS1_3genE8ELNS1_11target_archE1030ELNS1_3gpuE2ELNS1_3repE0EEENS1_30default_config_static_selectorELNS0_4arch9wavefront6targetE0EEEvSY_,"axG",@progbits,_ZN7rocprim17ROCPRIM_400000_NS6detail17trampoline_kernelINS0_13select_configILj256ELj13ELNS0_17block_load_methodE3ELS4_3ELS4_3ELNS0_20block_scan_algorithmE0ELj4294967295EEENS1_25partition_config_selectorILNS1_17partition_subalgoE3EjNS0_10empty_typeEbEEZZNS1_14partition_implILS8_3ELb0ES6_jNS0_17counting_iteratorIjlEEPS9_SE_NS0_5tupleIJPjSE_EEENSF_IJSE_SE_EEES9_SG_JZNS1_25segmented_radix_sort_implINS0_14default_configELb0EPKhPhPKlPlN2at6native12_GLOBAL__N_18offset_tEEE10hipError_tPvRmT1_PNSt15iterator_traitsISY_E10value_typeET2_T3_PNSZ_IS14_E10value_typeET4_jRbjT5_S1A_jjP12ihipStream_tbEUljE_EEESV_SW_SX_S14_S18_S1A_T6_T7_T9_mT8_S1C_bDpT10_ENKUlT_T0_E_clISt17integral_constantIbLb0EES1P_EEDaS1K_S1L_EUlS1K_E_NS1_11comp_targetILNS1_3genE8ELNS1_11target_archE1030ELNS1_3gpuE2ELNS1_3repE0EEENS1_30default_config_static_selectorELNS0_4arch9wavefront6targetE0EEEvSY_,comdat
	.globl	_ZN7rocprim17ROCPRIM_400000_NS6detail17trampoline_kernelINS0_13select_configILj256ELj13ELNS0_17block_load_methodE3ELS4_3ELS4_3ELNS0_20block_scan_algorithmE0ELj4294967295EEENS1_25partition_config_selectorILNS1_17partition_subalgoE3EjNS0_10empty_typeEbEEZZNS1_14partition_implILS8_3ELb0ES6_jNS0_17counting_iteratorIjlEEPS9_SE_NS0_5tupleIJPjSE_EEENSF_IJSE_SE_EEES9_SG_JZNS1_25segmented_radix_sort_implINS0_14default_configELb0EPKhPhPKlPlN2at6native12_GLOBAL__N_18offset_tEEE10hipError_tPvRmT1_PNSt15iterator_traitsISY_E10value_typeET2_T3_PNSZ_IS14_E10value_typeET4_jRbjT5_S1A_jjP12ihipStream_tbEUljE_EEESV_SW_SX_S14_S18_S1A_T6_T7_T9_mT8_S1C_bDpT10_ENKUlT_T0_E_clISt17integral_constantIbLb0EES1P_EEDaS1K_S1L_EUlS1K_E_NS1_11comp_targetILNS1_3genE8ELNS1_11target_archE1030ELNS1_3gpuE2ELNS1_3repE0EEENS1_30default_config_static_selectorELNS0_4arch9wavefront6targetE0EEEvSY_ ; -- Begin function _ZN7rocprim17ROCPRIM_400000_NS6detail17trampoline_kernelINS0_13select_configILj256ELj13ELNS0_17block_load_methodE3ELS4_3ELS4_3ELNS0_20block_scan_algorithmE0ELj4294967295EEENS1_25partition_config_selectorILNS1_17partition_subalgoE3EjNS0_10empty_typeEbEEZZNS1_14partition_implILS8_3ELb0ES6_jNS0_17counting_iteratorIjlEEPS9_SE_NS0_5tupleIJPjSE_EEENSF_IJSE_SE_EEES9_SG_JZNS1_25segmented_radix_sort_implINS0_14default_configELb0EPKhPhPKlPlN2at6native12_GLOBAL__N_18offset_tEEE10hipError_tPvRmT1_PNSt15iterator_traitsISY_E10value_typeET2_T3_PNSZ_IS14_E10value_typeET4_jRbjT5_S1A_jjP12ihipStream_tbEUljE_EEESV_SW_SX_S14_S18_S1A_T6_T7_T9_mT8_S1C_bDpT10_ENKUlT_T0_E_clISt17integral_constantIbLb0EES1P_EEDaS1K_S1L_EUlS1K_E_NS1_11comp_targetILNS1_3genE8ELNS1_11target_archE1030ELNS1_3gpuE2ELNS1_3repE0EEENS1_30default_config_static_selectorELNS0_4arch9wavefront6targetE0EEEvSY_
	.p2align	8
	.type	_ZN7rocprim17ROCPRIM_400000_NS6detail17trampoline_kernelINS0_13select_configILj256ELj13ELNS0_17block_load_methodE3ELS4_3ELS4_3ELNS0_20block_scan_algorithmE0ELj4294967295EEENS1_25partition_config_selectorILNS1_17partition_subalgoE3EjNS0_10empty_typeEbEEZZNS1_14partition_implILS8_3ELb0ES6_jNS0_17counting_iteratorIjlEEPS9_SE_NS0_5tupleIJPjSE_EEENSF_IJSE_SE_EEES9_SG_JZNS1_25segmented_radix_sort_implINS0_14default_configELb0EPKhPhPKlPlN2at6native12_GLOBAL__N_18offset_tEEE10hipError_tPvRmT1_PNSt15iterator_traitsISY_E10value_typeET2_T3_PNSZ_IS14_E10value_typeET4_jRbjT5_S1A_jjP12ihipStream_tbEUljE_EEESV_SW_SX_S14_S18_S1A_T6_T7_T9_mT8_S1C_bDpT10_ENKUlT_T0_E_clISt17integral_constantIbLb0EES1P_EEDaS1K_S1L_EUlS1K_E_NS1_11comp_targetILNS1_3genE8ELNS1_11target_archE1030ELNS1_3gpuE2ELNS1_3repE0EEENS1_30default_config_static_selectorELNS0_4arch9wavefront6targetE0EEEvSY_,@function
_ZN7rocprim17ROCPRIM_400000_NS6detail17trampoline_kernelINS0_13select_configILj256ELj13ELNS0_17block_load_methodE3ELS4_3ELS4_3ELNS0_20block_scan_algorithmE0ELj4294967295EEENS1_25partition_config_selectorILNS1_17partition_subalgoE3EjNS0_10empty_typeEbEEZZNS1_14partition_implILS8_3ELb0ES6_jNS0_17counting_iteratorIjlEEPS9_SE_NS0_5tupleIJPjSE_EEENSF_IJSE_SE_EEES9_SG_JZNS1_25segmented_radix_sort_implINS0_14default_configELb0EPKhPhPKlPlN2at6native12_GLOBAL__N_18offset_tEEE10hipError_tPvRmT1_PNSt15iterator_traitsISY_E10value_typeET2_T3_PNSZ_IS14_E10value_typeET4_jRbjT5_S1A_jjP12ihipStream_tbEUljE_EEESV_SW_SX_S14_S18_S1A_T6_T7_T9_mT8_S1C_bDpT10_ENKUlT_T0_E_clISt17integral_constantIbLb0EES1P_EEDaS1K_S1L_EUlS1K_E_NS1_11comp_targetILNS1_3genE8ELNS1_11target_archE1030ELNS1_3gpuE2ELNS1_3repE0EEENS1_30default_config_static_selectorELNS0_4arch9wavefront6targetE0EEEvSY_: ; @_ZN7rocprim17ROCPRIM_400000_NS6detail17trampoline_kernelINS0_13select_configILj256ELj13ELNS0_17block_load_methodE3ELS4_3ELS4_3ELNS0_20block_scan_algorithmE0ELj4294967295EEENS1_25partition_config_selectorILNS1_17partition_subalgoE3EjNS0_10empty_typeEbEEZZNS1_14partition_implILS8_3ELb0ES6_jNS0_17counting_iteratorIjlEEPS9_SE_NS0_5tupleIJPjSE_EEENSF_IJSE_SE_EEES9_SG_JZNS1_25segmented_radix_sort_implINS0_14default_configELb0EPKhPhPKlPlN2at6native12_GLOBAL__N_18offset_tEEE10hipError_tPvRmT1_PNSt15iterator_traitsISY_E10value_typeET2_T3_PNSZ_IS14_E10value_typeET4_jRbjT5_S1A_jjP12ihipStream_tbEUljE_EEESV_SW_SX_S14_S18_S1A_T6_T7_T9_mT8_S1C_bDpT10_ENKUlT_T0_E_clISt17integral_constantIbLb0EES1P_EEDaS1K_S1L_EUlS1K_E_NS1_11comp_targetILNS1_3genE8ELNS1_11target_archE1030ELNS1_3gpuE2ELNS1_3repE0EEENS1_30default_config_static_selectorELNS0_4arch9wavefront6targetE0EEEvSY_
; %bb.0:
	.section	.rodata,"a",@progbits
	.p2align	6, 0x0
	.amdhsa_kernel _ZN7rocprim17ROCPRIM_400000_NS6detail17trampoline_kernelINS0_13select_configILj256ELj13ELNS0_17block_load_methodE3ELS4_3ELS4_3ELNS0_20block_scan_algorithmE0ELj4294967295EEENS1_25partition_config_selectorILNS1_17partition_subalgoE3EjNS0_10empty_typeEbEEZZNS1_14partition_implILS8_3ELb0ES6_jNS0_17counting_iteratorIjlEEPS9_SE_NS0_5tupleIJPjSE_EEENSF_IJSE_SE_EEES9_SG_JZNS1_25segmented_radix_sort_implINS0_14default_configELb0EPKhPhPKlPlN2at6native12_GLOBAL__N_18offset_tEEE10hipError_tPvRmT1_PNSt15iterator_traitsISY_E10value_typeET2_T3_PNSZ_IS14_E10value_typeET4_jRbjT5_S1A_jjP12ihipStream_tbEUljE_EEESV_SW_SX_S14_S18_S1A_T6_T7_T9_mT8_S1C_bDpT10_ENKUlT_T0_E_clISt17integral_constantIbLb0EES1P_EEDaS1K_S1L_EUlS1K_E_NS1_11comp_targetILNS1_3genE8ELNS1_11target_archE1030ELNS1_3gpuE2ELNS1_3repE0EEENS1_30default_config_static_selectorELNS0_4arch9wavefront6targetE0EEEvSY_
		.amdhsa_group_segment_fixed_size 0
		.amdhsa_private_segment_fixed_size 0
		.amdhsa_kernarg_size 144
		.amdhsa_user_sgpr_count 2
		.amdhsa_user_sgpr_dispatch_ptr 0
		.amdhsa_user_sgpr_queue_ptr 0
		.amdhsa_user_sgpr_kernarg_segment_ptr 1
		.amdhsa_user_sgpr_dispatch_id 0
		.amdhsa_user_sgpr_kernarg_preload_length 0
		.amdhsa_user_sgpr_kernarg_preload_offset 0
		.amdhsa_user_sgpr_private_segment_size 0
		.amdhsa_wavefront_size32 1
		.amdhsa_uses_dynamic_stack 0
		.amdhsa_enable_private_segment 0
		.amdhsa_system_sgpr_workgroup_id_x 1
		.amdhsa_system_sgpr_workgroup_id_y 0
		.amdhsa_system_sgpr_workgroup_id_z 0
		.amdhsa_system_sgpr_workgroup_info 0
		.amdhsa_system_vgpr_workitem_id 0
		.amdhsa_next_free_vgpr 1
		.amdhsa_next_free_sgpr 1
		.amdhsa_named_barrier_count 0
		.amdhsa_reserve_vcc 0
		.amdhsa_float_round_mode_32 0
		.amdhsa_float_round_mode_16_64 0
		.amdhsa_float_denorm_mode_32 3
		.amdhsa_float_denorm_mode_16_64 3
		.amdhsa_fp16_overflow 0
		.amdhsa_memory_ordered 1
		.amdhsa_forward_progress 1
		.amdhsa_inst_pref_size 0
		.amdhsa_round_robin_scheduling 0
		.amdhsa_exception_fp_ieee_invalid_op 0
		.amdhsa_exception_fp_denorm_src 0
		.amdhsa_exception_fp_ieee_div_zero 0
		.amdhsa_exception_fp_ieee_overflow 0
		.amdhsa_exception_fp_ieee_underflow 0
		.amdhsa_exception_fp_ieee_inexact 0
		.amdhsa_exception_int_div_zero 0
	.end_amdhsa_kernel
	.section	.text._ZN7rocprim17ROCPRIM_400000_NS6detail17trampoline_kernelINS0_13select_configILj256ELj13ELNS0_17block_load_methodE3ELS4_3ELS4_3ELNS0_20block_scan_algorithmE0ELj4294967295EEENS1_25partition_config_selectorILNS1_17partition_subalgoE3EjNS0_10empty_typeEbEEZZNS1_14partition_implILS8_3ELb0ES6_jNS0_17counting_iteratorIjlEEPS9_SE_NS0_5tupleIJPjSE_EEENSF_IJSE_SE_EEES9_SG_JZNS1_25segmented_radix_sort_implINS0_14default_configELb0EPKhPhPKlPlN2at6native12_GLOBAL__N_18offset_tEEE10hipError_tPvRmT1_PNSt15iterator_traitsISY_E10value_typeET2_T3_PNSZ_IS14_E10value_typeET4_jRbjT5_S1A_jjP12ihipStream_tbEUljE_EEESV_SW_SX_S14_S18_S1A_T6_T7_T9_mT8_S1C_bDpT10_ENKUlT_T0_E_clISt17integral_constantIbLb0EES1P_EEDaS1K_S1L_EUlS1K_E_NS1_11comp_targetILNS1_3genE8ELNS1_11target_archE1030ELNS1_3gpuE2ELNS1_3repE0EEENS1_30default_config_static_selectorELNS0_4arch9wavefront6targetE0EEEvSY_,"axG",@progbits,_ZN7rocprim17ROCPRIM_400000_NS6detail17trampoline_kernelINS0_13select_configILj256ELj13ELNS0_17block_load_methodE3ELS4_3ELS4_3ELNS0_20block_scan_algorithmE0ELj4294967295EEENS1_25partition_config_selectorILNS1_17partition_subalgoE3EjNS0_10empty_typeEbEEZZNS1_14partition_implILS8_3ELb0ES6_jNS0_17counting_iteratorIjlEEPS9_SE_NS0_5tupleIJPjSE_EEENSF_IJSE_SE_EEES9_SG_JZNS1_25segmented_radix_sort_implINS0_14default_configELb0EPKhPhPKlPlN2at6native12_GLOBAL__N_18offset_tEEE10hipError_tPvRmT1_PNSt15iterator_traitsISY_E10value_typeET2_T3_PNSZ_IS14_E10value_typeET4_jRbjT5_S1A_jjP12ihipStream_tbEUljE_EEESV_SW_SX_S14_S18_S1A_T6_T7_T9_mT8_S1C_bDpT10_ENKUlT_T0_E_clISt17integral_constantIbLb0EES1P_EEDaS1K_S1L_EUlS1K_E_NS1_11comp_targetILNS1_3genE8ELNS1_11target_archE1030ELNS1_3gpuE2ELNS1_3repE0EEENS1_30default_config_static_selectorELNS0_4arch9wavefront6targetE0EEEvSY_,comdat
.Lfunc_end160:
	.size	_ZN7rocprim17ROCPRIM_400000_NS6detail17trampoline_kernelINS0_13select_configILj256ELj13ELNS0_17block_load_methodE3ELS4_3ELS4_3ELNS0_20block_scan_algorithmE0ELj4294967295EEENS1_25partition_config_selectorILNS1_17partition_subalgoE3EjNS0_10empty_typeEbEEZZNS1_14partition_implILS8_3ELb0ES6_jNS0_17counting_iteratorIjlEEPS9_SE_NS0_5tupleIJPjSE_EEENSF_IJSE_SE_EEES9_SG_JZNS1_25segmented_radix_sort_implINS0_14default_configELb0EPKhPhPKlPlN2at6native12_GLOBAL__N_18offset_tEEE10hipError_tPvRmT1_PNSt15iterator_traitsISY_E10value_typeET2_T3_PNSZ_IS14_E10value_typeET4_jRbjT5_S1A_jjP12ihipStream_tbEUljE_EEESV_SW_SX_S14_S18_S1A_T6_T7_T9_mT8_S1C_bDpT10_ENKUlT_T0_E_clISt17integral_constantIbLb0EES1P_EEDaS1K_S1L_EUlS1K_E_NS1_11comp_targetILNS1_3genE8ELNS1_11target_archE1030ELNS1_3gpuE2ELNS1_3repE0EEENS1_30default_config_static_selectorELNS0_4arch9wavefront6targetE0EEEvSY_, .Lfunc_end160-_ZN7rocprim17ROCPRIM_400000_NS6detail17trampoline_kernelINS0_13select_configILj256ELj13ELNS0_17block_load_methodE3ELS4_3ELS4_3ELNS0_20block_scan_algorithmE0ELj4294967295EEENS1_25partition_config_selectorILNS1_17partition_subalgoE3EjNS0_10empty_typeEbEEZZNS1_14partition_implILS8_3ELb0ES6_jNS0_17counting_iteratorIjlEEPS9_SE_NS0_5tupleIJPjSE_EEENSF_IJSE_SE_EEES9_SG_JZNS1_25segmented_radix_sort_implINS0_14default_configELb0EPKhPhPKlPlN2at6native12_GLOBAL__N_18offset_tEEE10hipError_tPvRmT1_PNSt15iterator_traitsISY_E10value_typeET2_T3_PNSZ_IS14_E10value_typeET4_jRbjT5_S1A_jjP12ihipStream_tbEUljE_EEESV_SW_SX_S14_S18_S1A_T6_T7_T9_mT8_S1C_bDpT10_ENKUlT_T0_E_clISt17integral_constantIbLb0EES1P_EEDaS1K_S1L_EUlS1K_E_NS1_11comp_targetILNS1_3genE8ELNS1_11target_archE1030ELNS1_3gpuE2ELNS1_3repE0EEENS1_30default_config_static_selectorELNS0_4arch9wavefront6targetE0EEEvSY_
                                        ; -- End function
	.set _ZN7rocprim17ROCPRIM_400000_NS6detail17trampoline_kernelINS0_13select_configILj256ELj13ELNS0_17block_load_methodE3ELS4_3ELS4_3ELNS0_20block_scan_algorithmE0ELj4294967295EEENS1_25partition_config_selectorILNS1_17partition_subalgoE3EjNS0_10empty_typeEbEEZZNS1_14partition_implILS8_3ELb0ES6_jNS0_17counting_iteratorIjlEEPS9_SE_NS0_5tupleIJPjSE_EEENSF_IJSE_SE_EEES9_SG_JZNS1_25segmented_radix_sort_implINS0_14default_configELb0EPKhPhPKlPlN2at6native12_GLOBAL__N_18offset_tEEE10hipError_tPvRmT1_PNSt15iterator_traitsISY_E10value_typeET2_T3_PNSZ_IS14_E10value_typeET4_jRbjT5_S1A_jjP12ihipStream_tbEUljE_EEESV_SW_SX_S14_S18_S1A_T6_T7_T9_mT8_S1C_bDpT10_ENKUlT_T0_E_clISt17integral_constantIbLb0EES1P_EEDaS1K_S1L_EUlS1K_E_NS1_11comp_targetILNS1_3genE8ELNS1_11target_archE1030ELNS1_3gpuE2ELNS1_3repE0EEENS1_30default_config_static_selectorELNS0_4arch9wavefront6targetE0EEEvSY_.num_vgpr, 0
	.set _ZN7rocprim17ROCPRIM_400000_NS6detail17trampoline_kernelINS0_13select_configILj256ELj13ELNS0_17block_load_methodE3ELS4_3ELS4_3ELNS0_20block_scan_algorithmE0ELj4294967295EEENS1_25partition_config_selectorILNS1_17partition_subalgoE3EjNS0_10empty_typeEbEEZZNS1_14partition_implILS8_3ELb0ES6_jNS0_17counting_iteratorIjlEEPS9_SE_NS0_5tupleIJPjSE_EEENSF_IJSE_SE_EEES9_SG_JZNS1_25segmented_radix_sort_implINS0_14default_configELb0EPKhPhPKlPlN2at6native12_GLOBAL__N_18offset_tEEE10hipError_tPvRmT1_PNSt15iterator_traitsISY_E10value_typeET2_T3_PNSZ_IS14_E10value_typeET4_jRbjT5_S1A_jjP12ihipStream_tbEUljE_EEESV_SW_SX_S14_S18_S1A_T6_T7_T9_mT8_S1C_bDpT10_ENKUlT_T0_E_clISt17integral_constantIbLb0EES1P_EEDaS1K_S1L_EUlS1K_E_NS1_11comp_targetILNS1_3genE8ELNS1_11target_archE1030ELNS1_3gpuE2ELNS1_3repE0EEENS1_30default_config_static_selectorELNS0_4arch9wavefront6targetE0EEEvSY_.num_agpr, 0
	.set _ZN7rocprim17ROCPRIM_400000_NS6detail17trampoline_kernelINS0_13select_configILj256ELj13ELNS0_17block_load_methodE3ELS4_3ELS4_3ELNS0_20block_scan_algorithmE0ELj4294967295EEENS1_25partition_config_selectorILNS1_17partition_subalgoE3EjNS0_10empty_typeEbEEZZNS1_14partition_implILS8_3ELb0ES6_jNS0_17counting_iteratorIjlEEPS9_SE_NS0_5tupleIJPjSE_EEENSF_IJSE_SE_EEES9_SG_JZNS1_25segmented_radix_sort_implINS0_14default_configELb0EPKhPhPKlPlN2at6native12_GLOBAL__N_18offset_tEEE10hipError_tPvRmT1_PNSt15iterator_traitsISY_E10value_typeET2_T3_PNSZ_IS14_E10value_typeET4_jRbjT5_S1A_jjP12ihipStream_tbEUljE_EEESV_SW_SX_S14_S18_S1A_T6_T7_T9_mT8_S1C_bDpT10_ENKUlT_T0_E_clISt17integral_constantIbLb0EES1P_EEDaS1K_S1L_EUlS1K_E_NS1_11comp_targetILNS1_3genE8ELNS1_11target_archE1030ELNS1_3gpuE2ELNS1_3repE0EEENS1_30default_config_static_selectorELNS0_4arch9wavefront6targetE0EEEvSY_.numbered_sgpr, 0
	.set _ZN7rocprim17ROCPRIM_400000_NS6detail17trampoline_kernelINS0_13select_configILj256ELj13ELNS0_17block_load_methodE3ELS4_3ELS4_3ELNS0_20block_scan_algorithmE0ELj4294967295EEENS1_25partition_config_selectorILNS1_17partition_subalgoE3EjNS0_10empty_typeEbEEZZNS1_14partition_implILS8_3ELb0ES6_jNS0_17counting_iteratorIjlEEPS9_SE_NS0_5tupleIJPjSE_EEENSF_IJSE_SE_EEES9_SG_JZNS1_25segmented_radix_sort_implINS0_14default_configELb0EPKhPhPKlPlN2at6native12_GLOBAL__N_18offset_tEEE10hipError_tPvRmT1_PNSt15iterator_traitsISY_E10value_typeET2_T3_PNSZ_IS14_E10value_typeET4_jRbjT5_S1A_jjP12ihipStream_tbEUljE_EEESV_SW_SX_S14_S18_S1A_T6_T7_T9_mT8_S1C_bDpT10_ENKUlT_T0_E_clISt17integral_constantIbLb0EES1P_EEDaS1K_S1L_EUlS1K_E_NS1_11comp_targetILNS1_3genE8ELNS1_11target_archE1030ELNS1_3gpuE2ELNS1_3repE0EEENS1_30default_config_static_selectorELNS0_4arch9wavefront6targetE0EEEvSY_.num_named_barrier, 0
	.set _ZN7rocprim17ROCPRIM_400000_NS6detail17trampoline_kernelINS0_13select_configILj256ELj13ELNS0_17block_load_methodE3ELS4_3ELS4_3ELNS0_20block_scan_algorithmE0ELj4294967295EEENS1_25partition_config_selectorILNS1_17partition_subalgoE3EjNS0_10empty_typeEbEEZZNS1_14partition_implILS8_3ELb0ES6_jNS0_17counting_iteratorIjlEEPS9_SE_NS0_5tupleIJPjSE_EEENSF_IJSE_SE_EEES9_SG_JZNS1_25segmented_radix_sort_implINS0_14default_configELb0EPKhPhPKlPlN2at6native12_GLOBAL__N_18offset_tEEE10hipError_tPvRmT1_PNSt15iterator_traitsISY_E10value_typeET2_T3_PNSZ_IS14_E10value_typeET4_jRbjT5_S1A_jjP12ihipStream_tbEUljE_EEESV_SW_SX_S14_S18_S1A_T6_T7_T9_mT8_S1C_bDpT10_ENKUlT_T0_E_clISt17integral_constantIbLb0EES1P_EEDaS1K_S1L_EUlS1K_E_NS1_11comp_targetILNS1_3genE8ELNS1_11target_archE1030ELNS1_3gpuE2ELNS1_3repE0EEENS1_30default_config_static_selectorELNS0_4arch9wavefront6targetE0EEEvSY_.private_seg_size, 0
	.set _ZN7rocprim17ROCPRIM_400000_NS6detail17trampoline_kernelINS0_13select_configILj256ELj13ELNS0_17block_load_methodE3ELS4_3ELS4_3ELNS0_20block_scan_algorithmE0ELj4294967295EEENS1_25partition_config_selectorILNS1_17partition_subalgoE3EjNS0_10empty_typeEbEEZZNS1_14partition_implILS8_3ELb0ES6_jNS0_17counting_iteratorIjlEEPS9_SE_NS0_5tupleIJPjSE_EEENSF_IJSE_SE_EEES9_SG_JZNS1_25segmented_radix_sort_implINS0_14default_configELb0EPKhPhPKlPlN2at6native12_GLOBAL__N_18offset_tEEE10hipError_tPvRmT1_PNSt15iterator_traitsISY_E10value_typeET2_T3_PNSZ_IS14_E10value_typeET4_jRbjT5_S1A_jjP12ihipStream_tbEUljE_EEESV_SW_SX_S14_S18_S1A_T6_T7_T9_mT8_S1C_bDpT10_ENKUlT_T0_E_clISt17integral_constantIbLb0EES1P_EEDaS1K_S1L_EUlS1K_E_NS1_11comp_targetILNS1_3genE8ELNS1_11target_archE1030ELNS1_3gpuE2ELNS1_3repE0EEENS1_30default_config_static_selectorELNS0_4arch9wavefront6targetE0EEEvSY_.uses_vcc, 0
	.set _ZN7rocprim17ROCPRIM_400000_NS6detail17trampoline_kernelINS0_13select_configILj256ELj13ELNS0_17block_load_methodE3ELS4_3ELS4_3ELNS0_20block_scan_algorithmE0ELj4294967295EEENS1_25partition_config_selectorILNS1_17partition_subalgoE3EjNS0_10empty_typeEbEEZZNS1_14partition_implILS8_3ELb0ES6_jNS0_17counting_iteratorIjlEEPS9_SE_NS0_5tupleIJPjSE_EEENSF_IJSE_SE_EEES9_SG_JZNS1_25segmented_radix_sort_implINS0_14default_configELb0EPKhPhPKlPlN2at6native12_GLOBAL__N_18offset_tEEE10hipError_tPvRmT1_PNSt15iterator_traitsISY_E10value_typeET2_T3_PNSZ_IS14_E10value_typeET4_jRbjT5_S1A_jjP12ihipStream_tbEUljE_EEESV_SW_SX_S14_S18_S1A_T6_T7_T9_mT8_S1C_bDpT10_ENKUlT_T0_E_clISt17integral_constantIbLb0EES1P_EEDaS1K_S1L_EUlS1K_E_NS1_11comp_targetILNS1_3genE8ELNS1_11target_archE1030ELNS1_3gpuE2ELNS1_3repE0EEENS1_30default_config_static_selectorELNS0_4arch9wavefront6targetE0EEEvSY_.uses_flat_scratch, 0
	.set _ZN7rocprim17ROCPRIM_400000_NS6detail17trampoline_kernelINS0_13select_configILj256ELj13ELNS0_17block_load_methodE3ELS4_3ELS4_3ELNS0_20block_scan_algorithmE0ELj4294967295EEENS1_25partition_config_selectorILNS1_17partition_subalgoE3EjNS0_10empty_typeEbEEZZNS1_14partition_implILS8_3ELb0ES6_jNS0_17counting_iteratorIjlEEPS9_SE_NS0_5tupleIJPjSE_EEENSF_IJSE_SE_EEES9_SG_JZNS1_25segmented_radix_sort_implINS0_14default_configELb0EPKhPhPKlPlN2at6native12_GLOBAL__N_18offset_tEEE10hipError_tPvRmT1_PNSt15iterator_traitsISY_E10value_typeET2_T3_PNSZ_IS14_E10value_typeET4_jRbjT5_S1A_jjP12ihipStream_tbEUljE_EEESV_SW_SX_S14_S18_S1A_T6_T7_T9_mT8_S1C_bDpT10_ENKUlT_T0_E_clISt17integral_constantIbLb0EES1P_EEDaS1K_S1L_EUlS1K_E_NS1_11comp_targetILNS1_3genE8ELNS1_11target_archE1030ELNS1_3gpuE2ELNS1_3repE0EEENS1_30default_config_static_selectorELNS0_4arch9wavefront6targetE0EEEvSY_.has_dyn_sized_stack, 0
	.set _ZN7rocprim17ROCPRIM_400000_NS6detail17trampoline_kernelINS0_13select_configILj256ELj13ELNS0_17block_load_methodE3ELS4_3ELS4_3ELNS0_20block_scan_algorithmE0ELj4294967295EEENS1_25partition_config_selectorILNS1_17partition_subalgoE3EjNS0_10empty_typeEbEEZZNS1_14partition_implILS8_3ELb0ES6_jNS0_17counting_iteratorIjlEEPS9_SE_NS0_5tupleIJPjSE_EEENSF_IJSE_SE_EEES9_SG_JZNS1_25segmented_radix_sort_implINS0_14default_configELb0EPKhPhPKlPlN2at6native12_GLOBAL__N_18offset_tEEE10hipError_tPvRmT1_PNSt15iterator_traitsISY_E10value_typeET2_T3_PNSZ_IS14_E10value_typeET4_jRbjT5_S1A_jjP12ihipStream_tbEUljE_EEESV_SW_SX_S14_S18_S1A_T6_T7_T9_mT8_S1C_bDpT10_ENKUlT_T0_E_clISt17integral_constantIbLb0EES1P_EEDaS1K_S1L_EUlS1K_E_NS1_11comp_targetILNS1_3genE8ELNS1_11target_archE1030ELNS1_3gpuE2ELNS1_3repE0EEENS1_30default_config_static_selectorELNS0_4arch9wavefront6targetE0EEEvSY_.has_recursion, 0
	.set _ZN7rocprim17ROCPRIM_400000_NS6detail17trampoline_kernelINS0_13select_configILj256ELj13ELNS0_17block_load_methodE3ELS4_3ELS4_3ELNS0_20block_scan_algorithmE0ELj4294967295EEENS1_25partition_config_selectorILNS1_17partition_subalgoE3EjNS0_10empty_typeEbEEZZNS1_14partition_implILS8_3ELb0ES6_jNS0_17counting_iteratorIjlEEPS9_SE_NS0_5tupleIJPjSE_EEENSF_IJSE_SE_EEES9_SG_JZNS1_25segmented_radix_sort_implINS0_14default_configELb0EPKhPhPKlPlN2at6native12_GLOBAL__N_18offset_tEEE10hipError_tPvRmT1_PNSt15iterator_traitsISY_E10value_typeET2_T3_PNSZ_IS14_E10value_typeET4_jRbjT5_S1A_jjP12ihipStream_tbEUljE_EEESV_SW_SX_S14_S18_S1A_T6_T7_T9_mT8_S1C_bDpT10_ENKUlT_T0_E_clISt17integral_constantIbLb0EES1P_EEDaS1K_S1L_EUlS1K_E_NS1_11comp_targetILNS1_3genE8ELNS1_11target_archE1030ELNS1_3gpuE2ELNS1_3repE0EEENS1_30default_config_static_selectorELNS0_4arch9wavefront6targetE0EEEvSY_.has_indirect_call, 0
	.section	.AMDGPU.csdata,"",@progbits
; Kernel info:
; codeLenInByte = 0
; TotalNumSgprs: 0
; NumVgprs: 0
; ScratchSize: 0
; MemoryBound: 0
; FloatMode: 240
; IeeeMode: 1
; LDSByteSize: 0 bytes/workgroup (compile time only)
; SGPRBlocks: 0
; VGPRBlocks: 0
; NumSGPRsForWavesPerEU: 1
; NumVGPRsForWavesPerEU: 1
; NamedBarCnt: 0
; Occupancy: 16
; WaveLimiterHint : 0
; COMPUTE_PGM_RSRC2:SCRATCH_EN: 0
; COMPUTE_PGM_RSRC2:USER_SGPR: 2
; COMPUTE_PGM_RSRC2:TRAP_HANDLER: 0
; COMPUTE_PGM_RSRC2:TGID_X_EN: 1
; COMPUTE_PGM_RSRC2:TGID_Y_EN: 0
; COMPUTE_PGM_RSRC2:TGID_Z_EN: 0
; COMPUTE_PGM_RSRC2:TIDIG_COMP_CNT: 0
	.section	.text._ZN7rocprim17ROCPRIM_400000_NS6detail17trampoline_kernelINS0_13select_configILj256ELj13ELNS0_17block_load_methodE3ELS4_3ELS4_3ELNS0_20block_scan_algorithmE0ELj4294967295EEENS1_25partition_config_selectorILNS1_17partition_subalgoE3EjNS0_10empty_typeEbEEZZNS1_14partition_implILS8_3ELb0ES6_jNS0_17counting_iteratorIjlEEPS9_SE_NS0_5tupleIJPjSE_EEENSF_IJSE_SE_EEES9_SG_JZNS1_25segmented_radix_sort_implINS0_14default_configELb0EPKhPhPKlPlN2at6native12_GLOBAL__N_18offset_tEEE10hipError_tPvRmT1_PNSt15iterator_traitsISY_E10value_typeET2_T3_PNSZ_IS14_E10value_typeET4_jRbjT5_S1A_jjP12ihipStream_tbEUljE_EEESV_SW_SX_S14_S18_S1A_T6_T7_T9_mT8_S1C_bDpT10_ENKUlT_T0_E_clISt17integral_constantIbLb1EES1P_EEDaS1K_S1L_EUlS1K_E_NS1_11comp_targetILNS1_3genE0ELNS1_11target_archE4294967295ELNS1_3gpuE0ELNS1_3repE0EEENS1_30default_config_static_selectorELNS0_4arch9wavefront6targetE0EEEvSY_,"axG",@progbits,_ZN7rocprim17ROCPRIM_400000_NS6detail17trampoline_kernelINS0_13select_configILj256ELj13ELNS0_17block_load_methodE3ELS4_3ELS4_3ELNS0_20block_scan_algorithmE0ELj4294967295EEENS1_25partition_config_selectorILNS1_17partition_subalgoE3EjNS0_10empty_typeEbEEZZNS1_14partition_implILS8_3ELb0ES6_jNS0_17counting_iteratorIjlEEPS9_SE_NS0_5tupleIJPjSE_EEENSF_IJSE_SE_EEES9_SG_JZNS1_25segmented_radix_sort_implINS0_14default_configELb0EPKhPhPKlPlN2at6native12_GLOBAL__N_18offset_tEEE10hipError_tPvRmT1_PNSt15iterator_traitsISY_E10value_typeET2_T3_PNSZ_IS14_E10value_typeET4_jRbjT5_S1A_jjP12ihipStream_tbEUljE_EEESV_SW_SX_S14_S18_S1A_T6_T7_T9_mT8_S1C_bDpT10_ENKUlT_T0_E_clISt17integral_constantIbLb1EES1P_EEDaS1K_S1L_EUlS1K_E_NS1_11comp_targetILNS1_3genE0ELNS1_11target_archE4294967295ELNS1_3gpuE0ELNS1_3repE0EEENS1_30default_config_static_selectorELNS0_4arch9wavefront6targetE0EEEvSY_,comdat
	.globl	_ZN7rocprim17ROCPRIM_400000_NS6detail17trampoline_kernelINS0_13select_configILj256ELj13ELNS0_17block_load_methodE3ELS4_3ELS4_3ELNS0_20block_scan_algorithmE0ELj4294967295EEENS1_25partition_config_selectorILNS1_17partition_subalgoE3EjNS0_10empty_typeEbEEZZNS1_14partition_implILS8_3ELb0ES6_jNS0_17counting_iteratorIjlEEPS9_SE_NS0_5tupleIJPjSE_EEENSF_IJSE_SE_EEES9_SG_JZNS1_25segmented_radix_sort_implINS0_14default_configELb0EPKhPhPKlPlN2at6native12_GLOBAL__N_18offset_tEEE10hipError_tPvRmT1_PNSt15iterator_traitsISY_E10value_typeET2_T3_PNSZ_IS14_E10value_typeET4_jRbjT5_S1A_jjP12ihipStream_tbEUljE_EEESV_SW_SX_S14_S18_S1A_T6_T7_T9_mT8_S1C_bDpT10_ENKUlT_T0_E_clISt17integral_constantIbLb1EES1P_EEDaS1K_S1L_EUlS1K_E_NS1_11comp_targetILNS1_3genE0ELNS1_11target_archE4294967295ELNS1_3gpuE0ELNS1_3repE0EEENS1_30default_config_static_selectorELNS0_4arch9wavefront6targetE0EEEvSY_ ; -- Begin function _ZN7rocprim17ROCPRIM_400000_NS6detail17trampoline_kernelINS0_13select_configILj256ELj13ELNS0_17block_load_methodE3ELS4_3ELS4_3ELNS0_20block_scan_algorithmE0ELj4294967295EEENS1_25partition_config_selectorILNS1_17partition_subalgoE3EjNS0_10empty_typeEbEEZZNS1_14partition_implILS8_3ELb0ES6_jNS0_17counting_iteratorIjlEEPS9_SE_NS0_5tupleIJPjSE_EEENSF_IJSE_SE_EEES9_SG_JZNS1_25segmented_radix_sort_implINS0_14default_configELb0EPKhPhPKlPlN2at6native12_GLOBAL__N_18offset_tEEE10hipError_tPvRmT1_PNSt15iterator_traitsISY_E10value_typeET2_T3_PNSZ_IS14_E10value_typeET4_jRbjT5_S1A_jjP12ihipStream_tbEUljE_EEESV_SW_SX_S14_S18_S1A_T6_T7_T9_mT8_S1C_bDpT10_ENKUlT_T0_E_clISt17integral_constantIbLb1EES1P_EEDaS1K_S1L_EUlS1K_E_NS1_11comp_targetILNS1_3genE0ELNS1_11target_archE4294967295ELNS1_3gpuE0ELNS1_3repE0EEENS1_30default_config_static_selectorELNS0_4arch9wavefront6targetE0EEEvSY_
	.p2align	8
	.type	_ZN7rocprim17ROCPRIM_400000_NS6detail17trampoline_kernelINS0_13select_configILj256ELj13ELNS0_17block_load_methodE3ELS4_3ELS4_3ELNS0_20block_scan_algorithmE0ELj4294967295EEENS1_25partition_config_selectorILNS1_17partition_subalgoE3EjNS0_10empty_typeEbEEZZNS1_14partition_implILS8_3ELb0ES6_jNS0_17counting_iteratorIjlEEPS9_SE_NS0_5tupleIJPjSE_EEENSF_IJSE_SE_EEES9_SG_JZNS1_25segmented_radix_sort_implINS0_14default_configELb0EPKhPhPKlPlN2at6native12_GLOBAL__N_18offset_tEEE10hipError_tPvRmT1_PNSt15iterator_traitsISY_E10value_typeET2_T3_PNSZ_IS14_E10value_typeET4_jRbjT5_S1A_jjP12ihipStream_tbEUljE_EEESV_SW_SX_S14_S18_S1A_T6_T7_T9_mT8_S1C_bDpT10_ENKUlT_T0_E_clISt17integral_constantIbLb1EES1P_EEDaS1K_S1L_EUlS1K_E_NS1_11comp_targetILNS1_3genE0ELNS1_11target_archE4294967295ELNS1_3gpuE0ELNS1_3repE0EEENS1_30default_config_static_selectorELNS0_4arch9wavefront6targetE0EEEvSY_,@function
_ZN7rocprim17ROCPRIM_400000_NS6detail17trampoline_kernelINS0_13select_configILj256ELj13ELNS0_17block_load_methodE3ELS4_3ELS4_3ELNS0_20block_scan_algorithmE0ELj4294967295EEENS1_25partition_config_selectorILNS1_17partition_subalgoE3EjNS0_10empty_typeEbEEZZNS1_14partition_implILS8_3ELb0ES6_jNS0_17counting_iteratorIjlEEPS9_SE_NS0_5tupleIJPjSE_EEENSF_IJSE_SE_EEES9_SG_JZNS1_25segmented_radix_sort_implINS0_14default_configELb0EPKhPhPKlPlN2at6native12_GLOBAL__N_18offset_tEEE10hipError_tPvRmT1_PNSt15iterator_traitsISY_E10value_typeET2_T3_PNSZ_IS14_E10value_typeET4_jRbjT5_S1A_jjP12ihipStream_tbEUljE_EEESV_SW_SX_S14_S18_S1A_T6_T7_T9_mT8_S1C_bDpT10_ENKUlT_T0_E_clISt17integral_constantIbLb1EES1P_EEDaS1K_S1L_EUlS1K_E_NS1_11comp_targetILNS1_3genE0ELNS1_11target_archE4294967295ELNS1_3gpuE0ELNS1_3repE0EEENS1_30default_config_static_selectorELNS0_4arch9wavefront6targetE0EEEvSY_: ; @_ZN7rocprim17ROCPRIM_400000_NS6detail17trampoline_kernelINS0_13select_configILj256ELj13ELNS0_17block_load_methodE3ELS4_3ELS4_3ELNS0_20block_scan_algorithmE0ELj4294967295EEENS1_25partition_config_selectorILNS1_17partition_subalgoE3EjNS0_10empty_typeEbEEZZNS1_14partition_implILS8_3ELb0ES6_jNS0_17counting_iteratorIjlEEPS9_SE_NS0_5tupleIJPjSE_EEENSF_IJSE_SE_EEES9_SG_JZNS1_25segmented_radix_sort_implINS0_14default_configELb0EPKhPhPKlPlN2at6native12_GLOBAL__N_18offset_tEEE10hipError_tPvRmT1_PNSt15iterator_traitsISY_E10value_typeET2_T3_PNSZ_IS14_E10value_typeET4_jRbjT5_S1A_jjP12ihipStream_tbEUljE_EEESV_SW_SX_S14_S18_S1A_T6_T7_T9_mT8_S1C_bDpT10_ENKUlT_T0_E_clISt17integral_constantIbLb1EES1P_EEDaS1K_S1L_EUlS1K_E_NS1_11comp_targetILNS1_3genE0ELNS1_11target_archE4294967295ELNS1_3gpuE0ELNS1_3repE0EEENS1_30default_config_static_selectorELNS0_4arch9wavefront6targetE0EEEvSY_
; %bb.0:
	s_endpgm
	.section	.rodata,"a",@progbits
	.p2align	6, 0x0
	.amdhsa_kernel _ZN7rocprim17ROCPRIM_400000_NS6detail17trampoline_kernelINS0_13select_configILj256ELj13ELNS0_17block_load_methodE3ELS4_3ELS4_3ELNS0_20block_scan_algorithmE0ELj4294967295EEENS1_25partition_config_selectorILNS1_17partition_subalgoE3EjNS0_10empty_typeEbEEZZNS1_14partition_implILS8_3ELb0ES6_jNS0_17counting_iteratorIjlEEPS9_SE_NS0_5tupleIJPjSE_EEENSF_IJSE_SE_EEES9_SG_JZNS1_25segmented_radix_sort_implINS0_14default_configELb0EPKhPhPKlPlN2at6native12_GLOBAL__N_18offset_tEEE10hipError_tPvRmT1_PNSt15iterator_traitsISY_E10value_typeET2_T3_PNSZ_IS14_E10value_typeET4_jRbjT5_S1A_jjP12ihipStream_tbEUljE_EEESV_SW_SX_S14_S18_S1A_T6_T7_T9_mT8_S1C_bDpT10_ENKUlT_T0_E_clISt17integral_constantIbLb1EES1P_EEDaS1K_S1L_EUlS1K_E_NS1_11comp_targetILNS1_3genE0ELNS1_11target_archE4294967295ELNS1_3gpuE0ELNS1_3repE0EEENS1_30default_config_static_selectorELNS0_4arch9wavefront6targetE0EEEvSY_
		.amdhsa_group_segment_fixed_size 0
		.amdhsa_private_segment_fixed_size 0
		.amdhsa_kernarg_size 152
		.amdhsa_user_sgpr_count 2
		.amdhsa_user_sgpr_dispatch_ptr 0
		.amdhsa_user_sgpr_queue_ptr 0
		.amdhsa_user_sgpr_kernarg_segment_ptr 1
		.amdhsa_user_sgpr_dispatch_id 0
		.amdhsa_user_sgpr_kernarg_preload_length 0
		.amdhsa_user_sgpr_kernarg_preload_offset 0
		.amdhsa_user_sgpr_private_segment_size 0
		.amdhsa_wavefront_size32 1
		.amdhsa_uses_dynamic_stack 0
		.amdhsa_enable_private_segment 0
		.amdhsa_system_sgpr_workgroup_id_x 1
		.amdhsa_system_sgpr_workgroup_id_y 0
		.amdhsa_system_sgpr_workgroup_id_z 0
		.amdhsa_system_sgpr_workgroup_info 0
		.amdhsa_system_vgpr_workitem_id 0
		.amdhsa_next_free_vgpr 1
		.amdhsa_next_free_sgpr 1
		.amdhsa_named_barrier_count 0
		.amdhsa_reserve_vcc 0
		.amdhsa_float_round_mode_32 0
		.amdhsa_float_round_mode_16_64 0
		.amdhsa_float_denorm_mode_32 3
		.amdhsa_float_denorm_mode_16_64 3
		.amdhsa_fp16_overflow 0
		.amdhsa_memory_ordered 1
		.amdhsa_forward_progress 1
		.amdhsa_inst_pref_size 1
		.amdhsa_round_robin_scheduling 0
		.amdhsa_exception_fp_ieee_invalid_op 0
		.amdhsa_exception_fp_denorm_src 0
		.amdhsa_exception_fp_ieee_div_zero 0
		.amdhsa_exception_fp_ieee_overflow 0
		.amdhsa_exception_fp_ieee_underflow 0
		.amdhsa_exception_fp_ieee_inexact 0
		.amdhsa_exception_int_div_zero 0
	.end_amdhsa_kernel
	.section	.text._ZN7rocprim17ROCPRIM_400000_NS6detail17trampoline_kernelINS0_13select_configILj256ELj13ELNS0_17block_load_methodE3ELS4_3ELS4_3ELNS0_20block_scan_algorithmE0ELj4294967295EEENS1_25partition_config_selectorILNS1_17partition_subalgoE3EjNS0_10empty_typeEbEEZZNS1_14partition_implILS8_3ELb0ES6_jNS0_17counting_iteratorIjlEEPS9_SE_NS0_5tupleIJPjSE_EEENSF_IJSE_SE_EEES9_SG_JZNS1_25segmented_radix_sort_implINS0_14default_configELb0EPKhPhPKlPlN2at6native12_GLOBAL__N_18offset_tEEE10hipError_tPvRmT1_PNSt15iterator_traitsISY_E10value_typeET2_T3_PNSZ_IS14_E10value_typeET4_jRbjT5_S1A_jjP12ihipStream_tbEUljE_EEESV_SW_SX_S14_S18_S1A_T6_T7_T9_mT8_S1C_bDpT10_ENKUlT_T0_E_clISt17integral_constantIbLb1EES1P_EEDaS1K_S1L_EUlS1K_E_NS1_11comp_targetILNS1_3genE0ELNS1_11target_archE4294967295ELNS1_3gpuE0ELNS1_3repE0EEENS1_30default_config_static_selectorELNS0_4arch9wavefront6targetE0EEEvSY_,"axG",@progbits,_ZN7rocprim17ROCPRIM_400000_NS6detail17trampoline_kernelINS0_13select_configILj256ELj13ELNS0_17block_load_methodE3ELS4_3ELS4_3ELNS0_20block_scan_algorithmE0ELj4294967295EEENS1_25partition_config_selectorILNS1_17partition_subalgoE3EjNS0_10empty_typeEbEEZZNS1_14partition_implILS8_3ELb0ES6_jNS0_17counting_iteratorIjlEEPS9_SE_NS0_5tupleIJPjSE_EEENSF_IJSE_SE_EEES9_SG_JZNS1_25segmented_radix_sort_implINS0_14default_configELb0EPKhPhPKlPlN2at6native12_GLOBAL__N_18offset_tEEE10hipError_tPvRmT1_PNSt15iterator_traitsISY_E10value_typeET2_T3_PNSZ_IS14_E10value_typeET4_jRbjT5_S1A_jjP12ihipStream_tbEUljE_EEESV_SW_SX_S14_S18_S1A_T6_T7_T9_mT8_S1C_bDpT10_ENKUlT_T0_E_clISt17integral_constantIbLb1EES1P_EEDaS1K_S1L_EUlS1K_E_NS1_11comp_targetILNS1_3genE0ELNS1_11target_archE4294967295ELNS1_3gpuE0ELNS1_3repE0EEENS1_30default_config_static_selectorELNS0_4arch9wavefront6targetE0EEEvSY_,comdat
.Lfunc_end161:
	.size	_ZN7rocprim17ROCPRIM_400000_NS6detail17trampoline_kernelINS0_13select_configILj256ELj13ELNS0_17block_load_methodE3ELS4_3ELS4_3ELNS0_20block_scan_algorithmE0ELj4294967295EEENS1_25partition_config_selectorILNS1_17partition_subalgoE3EjNS0_10empty_typeEbEEZZNS1_14partition_implILS8_3ELb0ES6_jNS0_17counting_iteratorIjlEEPS9_SE_NS0_5tupleIJPjSE_EEENSF_IJSE_SE_EEES9_SG_JZNS1_25segmented_radix_sort_implINS0_14default_configELb0EPKhPhPKlPlN2at6native12_GLOBAL__N_18offset_tEEE10hipError_tPvRmT1_PNSt15iterator_traitsISY_E10value_typeET2_T3_PNSZ_IS14_E10value_typeET4_jRbjT5_S1A_jjP12ihipStream_tbEUljE_EEESV_SW_SX_S14_S18_S1A_T6_T7_T9_mT8_S1C_bDpT10_ENKUlT_T0_E_clISt17integral_constantIbLb1EES1P_EEDaS1K_S1L_EUlS1K_E_NS1_11comp_targetILNS1_3genE0ELNS1_11target_archE4294967295ELNS1_3gpuE0ELNS1_3repE0EEENS1_30default_config_static_selectorELNS0_4arch9wavefront6targetE0EEEvSY_, .Lfunc_end161-_ZN7rocprim17ROCPRIM_400000_NS6detail17trampoline_kernelINS0_13select_configILj256ELj13ELNS0_17block_load_methodE3ELS4_3ELS4_3ELNS0_20block_scan_algorithmE0ELj4294967295EEENS1_25partition_config_selectorILNS1_17partition_subalgoE3EjNS0_10empty_typeEbEEZZNS1_14partition_implILS8_3ELb0ES6_jNS0_17counting_iteratorIjlEEPS9_SE_NS0_5tupleIJPjSE_EEENSF_IJSE_SE_EEES9_SG_JZNS1_25segmented_radix_sort_implINS0_14default_configELb0EPKhPhPKlPlN2at6native12_GLOBAL__N_18offset_tEEE10hipError_tPvRmT1_PNSt15iterator_traitsISY_E10value_typeET2_T3_PNSZ_IS14_E10value_typeET4_jRbjT5_S1A_jjP12ihipStream_tbEUljE_EEESV_SW_SX_S14_S18_S1A_T6_T7_T9_mT8_S1C_bDpT10_ENKUlT_T0_E_clISt17integral_constantIbLb1EES1P_EEDaS1K_S1L_EUlS1K_E_NS1_11comp_targetILNS1_3genE0ELNS1_11target_archE4294967295ELNS1_3gpuE0ELNS1_3repE0EEENS1_30default_config_static_selectorELNS0_4arch9wavefront6targetE0EEEvSY_
                                        ; -- End function
	.set _ZN7rocprim17ROCPRIM_400000_NS6detail17trampoline_kernelINS0_13select_configILj256ELj13ELNS0_17block_load_methodE3ELS4_3ELS4_3ELNS0_20block_scan_algorithmE0ELj4294967295EEENS1_25partition_config_selectorILNS1_17partition_subalgoE3EjNS0_10empty_typeEbEEZZNS1_14partition_implILS8_3ELb0ES6_jNS0_17counting_iteratorIjlEEPS9_SE_NS0_5tupleIJPjSE_EEENSF_IJSE_SE_EEES9_SG_JZNS1_25segmented_radix_sort_implINS0_14default_configELb0EPKhPhPKlPlN2at6native12_GLOBAL__N_18offset_tEEE10hipError_tPvRmT1_PNSt15iterator_traitsISY_E10value_typeET2_T3_PNSZ_IS14_E10value_typeET4_jRbjT5_S1A_jjP12ihipStream_tbEUljE_EEESV_SW_SX_S14_S18_S1A_T6_T7_T9_mT8_S1C_bDpT10_ENKUlT_T0_E_clISt17integral_constantIbLb1EES1P_EEDaS1K_S1L_EUlS1K_E_NS1_11comp_targetILNS1_3genE0ELNS1_11target_archE4294967295ELNS1_3gpuE0ELNS1_3repE0EEENS1_30default_config_static_selectorELNS0_4arch9wavefront6targetE0EEEvSY_.num_vgpr, 0
	.set _ZN7rocprim17ROCPRIM_400000_NS6detail17trampoline_kernelINS0_13select_configILj256ELj13ELNS0_17block_load_methodE3ELS4_3ELS4_3ELNS0_20block_scan_algorithmE0ELj4294967295EEENS1_25partition_config_selectorILNS1_17partition_subalgoE3EjNS0_10empty_typeEbEEZZNS1_14partition_implILS8_3ELb0ES6_jNS0_17counting_iteratorIjlEEPS9_SE_NS0_5tupleIJPjSE_EEENSF_IJSE_SE_EEES9_SG_JZNS1_25segmented_radix_sort_implINS0_14default_configELb0EPKhPhPKlPlN2at6native12_GLOBAL__N_18offset_tEEE10hipError_tPvRmT1_PNSt15iterator_traitsISY_E10value_typeET2_T3_PNSZ_IS14_E10value_typeET4_jRbjT5_S1A_jjP12ihipStream_tbEUljE_EEESV_SW_SX_S14_S18_S1A_T6_T7_T9_mT8_S1C_bDpT10_ENKUlT_T0_E_clISt17integral_constantIbLb1EES1P_EEDaS1K_S1L_EUlS1K_E_NS1_11comp_targetILNS1_3genE0ELNS1_11target_archE4294967295ELNS1_3gpuE0ELNS1_3repE0EEENS1_30default_config_static_selectorELNS0_4arch9wavefront6targetE0EEEvSY_.num_agpr, 0
	.set _ZN7rocprim17ROCPRIM_400000_NS6detail17trampoline_kernelINS0_13select_configILj256ELj13ELNS0_17block_load_methodE3ELS4_3ELS4_3ELNS0_20block_scan_algorithmE0ELj4294967295EEENS1_25partition_config_selectorILNS1_17partition_subalgoE3EjNS0_10empty_typeEbEEZZNS1_14partition_implILS8_3ELb0ES6_jNS0_17counting_iteratorIjlEEPS9_SE_NS0_5tupleIJPjSE_EEENSF_IJSE_SE_EEES9_SG_JZNS1_25segmented_radix_sort_implINS0_14default_configELb0EPKhPhPKlPlN2at6native12_GLOBAL__N_18offset_tEEE10hipError_tPvRmT1_PNSt15iterator_traitsISY_E10value_typeET2_T3_PNSZ_IS14_E10value_typeET4_jRbjT5_S1A_jjP12ihipStream_tbEUljE_EEESV_SW_SX_S14_S18_S1A_T6_T7_T9_mT8_S1C_bDpT10_ENKUlT_T0_E_clISt17integral_constantIbLb1EES1P_EEDaS1K_S1L_EUlS1K_E_NS1_11comp_targetILNS1_3genE0ELNS1_11target_archE4294967295ELNS1_3gpuE0ELNS1_3repE0EEENS1_30default_config_static_selectorELNS0_4arch9wavefront6targetE0EEEvSY_.numbered_sgpr, 0
	.set _ZN7rocprim17ROCPRIM_400000_NS6detail17trampoline_kernelINS0_13select_configILj256ELj13ELNS0_17block_load_methodE3ELS4_3ELS4_3ELNS0_20block_scan_algorithmE0ELj4294967295EEENS1_25partition_config_selectorILNS1_17partition_subalgoE3EjNS0_10empty_typeEbEEZZNS1_14partition_implILS8_3ELb0ES6_jNS0_17counting_iteratorIjlEEPS9_SE_NS0_5tupleIJPjSE_EEENSF_IJSE_SE_EEES9_SG_JZNS1_25segmented_radix_sort_implINS0_14default_configELb0EPKhPhPKlPlN2at6native12_GLOBAL__N_18offset_tEEE10hipError_tPvRmT1_PNSt15iterator_traitsISY_E10value_typeET2_T3_PNSZ_IS14_E10value_typeET4_jRbjT5_S1A_jjP12ihipStream_tbEUljE_EEESV_SW_SX_S14_S18_S1A_T6_T7_T9_mT8_S1C_bDpT10_ENKUlT_T0_E_clISt17integral_constantIbLb1EES1P_EEDaS1K_S1L_EUlS1K_E_NS1_11comp_targetILNS1_3genE0ELNS1_11target_archE4294967295ELNS1_3gpuE0ELNS1_3repE0EEENS1_30default_config_static_selectorELNS0_4arch9wavefront6targetE0EEEvSY_.num_named_barrier, 0
	.set _ZN7rocprim17ROCPRIM_400000_NS6detail17trampoline_kernelINS0_13select_configILj256ELj13ELNS0_17block_load_methodE3ELS4_3ELS4_3ELNS0_20block_scan_algorithmE0ELj4294967295EEENS1_25partition_config_selectorILNS1_17partition_subalgoE3EjNS0_10empty_typeEbEEZZNS1_14partition_implILS8_3ELb0ES6_jNS0_17counting_iteratorIjlEEPS9_SE_NS0_5tupleIJPjSE_EEENSF_IJSE_SE_EEES9_SG_JZNS1_25segmented_radix_sort_implINS0_14default_configELb0EPKhPhPKlPlN2at6native12_GLOBAL__N_18offset_tEEE10hipError_tPvRmT1_PNSt15iterator_traitsISY_E10value_typeET2_T3_PNSZ_IS14_E10value_typeET4_jRbjT5_S1A_jjP12ihipStream_tbEUljE_EEESV_SW_SX_S14_S18_S1A_T6_T7_T9_mT8_S1C_bDpT10_ENKUlT_T0_E_clISt17integral_constantIbLb1EES1P_EEDaS1K_S1L_EUlS1K_E_NS1_11comp_targetILNS1_3genE0ELNS1_11target_archE4294967295ELNS1_3gpuE0ELNS1_3repE0EEENS1_30default_config_static_selectorELNS0_4arch9wavefront6targetE0EEEvSY_.private_seg_size, 0
	.set _ZN7rocprim17ROCPRIM_400000_NS6detail17trampoline_kernelINS0_13select_configILj256ELj13ELNS0_17block_load_methodE3ELS4_3ELS4_3ELNS0_20block_scan_algorithmE0ELj4294967295EEENS1_25partition_config_selectorILNS1_17partition_subalgoE3EjNS0_10empty_typeEbEEZZNS1_14partition_implILS8_3ELb0ES6_jNS0_17counting_iteratorIjlEEPS9_SE_NS0_5tupleIJPjSE_EEENSF_IJSE_SE_EEES9_SG_JZNS1_25segmented_radix_sort_implINS0_14default_configELb0EPKhPhPKlPlN2at6native12_GLOBAL__N_18offset_tEEE10hipError_tPvRmT1_PNSt15iterator_traitsISY_E10value_typeET2_T3_PNSZ_IS14_E10value_typeET4_jRbjT5_S1A_jjP12ihipStream_tbEUljE_EEESV_SW_SX_S14_S18_S1A_T6_T7_T9_mT8_S1C_bDpT10_ENKUlT_T0_E_clISt17integral_constantIbLb1EES1P_EEDaS1K_S1L_EUlS1K_E_NS1_11comp_targetILNS1_3genE0ELNS1_11target_archE4294967295ELNS1_3gpuE0ELNS1_3repE0EEENS1_30default_config_static_selectorELNS0_4arch9wavefront6targetE0EEEvSY_.uses_vcc, 0
	.set _ZN7rocprim17ROCPRIM_400000_NS6detail17trampoline_kernelINS0_13select_configILj256ELj13ELNS0_17block_load_methodE3ELS4_3ELS4_3ELNS0_20block_scan_algorithmE0ELj4294967295EEENS1_25partition_config_selectorILNS1_17partition_subalgoE3EjNS0_10empty_typeEbEEZZNS1_14partition_implILS8_3ELb0ES6_jNS0_17counting_iteratorIjlEEPS9_SE_NS0_5tupleIJPjSE_EEENSF_IJSE_SE_EEES9_SG_JZNS1_25segmented_radix_sort_implINS0_14default_configELb0EPKhPhPKlPlN2at6native12_GLOBAL__N_18offset_tEEE10hipError_tPvRmT1_PNSt15iterator_traitsISY_E10value_typeET2_T3_PNSZ_IS14_E10value_typeET4_jRbjT5_S1A_jjP12ihipStream_tbEUljE_EEESV_SW_SX_S14_S18_S1A_T6_T7_T9_mT8_S1C_bDpT10_ENKUlT_T0_E_clISt17integral_constantIbLb1EES1P_EEDaS1K_S1L_EUlS1K_E_NS1_11comp_targetILNS1_3genE0ELNS1_11target_archE4294967295ELNS1_3gpuE0ELNS1_3repE0EEENS1_30default_config_static_selectorELNS0_4arch9wavefront6targetE0EEEvSY_.uses_flat_scratch, 0
	.set _ZN7rocprim17ROCPRIM_400000_NS6detail17trampoline_kernelINS0_13select_configILj256ELj13ELNS0_17block_load_methodE3ELS4_3ELS4_3ELNS0_20block_scan_algorithmE0ELj4294967295EEENS1_25partition_config_selectorILNS1_17partition_subalgoE3EjNS0_10empty_typeEbEEZZNS1_14partition_implILS8_3ELb0ES6_jNS0_17counting_iteratorIjlEEPS9_SE_NS0_5tupleIJPjSE_EEENSF_IJSE_SE_EEES9_SG_JZNS1_25segmented_radix_sort_implINS0_14default_configELb0EPKhPhPKlPlN2at6native12_GLOBAL__N_18offset_tEEE10hipError_tPvRmT1_PNSt15iterator_traitsISY_E10value_typeET2_T3_PNSZ_IS14_E10value_typeET4_jRbjT5_S1A_jjP12ihipStream_tbEUljE_EEESV_SW_SX_S14_S18_S1A_T6_T7_T9_mT8_S1C_bDpT10_ENKUlT_T0_E_clISt17integral_constantIbLb1EES1P_EEDaS1K_S1L_EUlS1K_E_NS1_11comp_targetILNS1_3genE0ELNS1_11target_archE4294967295ELNS1_3gpuE0ELNS1_3repE0EEENS1_30default_config_static_selectorELNS0_4arch9wavefront6targetE0EEEvSY_.has_dyn_sized_stack, 0
	.set _ZN7rocprim17ROCPRIM_400000_NS6detail17trampoline_kernelINS0_13select_configILj256ELj13ELNS0_17block_load_methodE3ELS4_3ELS4_3ELNS0_20block_scan_algorithmE0ELj4294967295EEENS1_25partition_config_selectorILNS1_17partition_subalgoE3EjNS0_10empty_typeEbEEZZNS1_14partition_implILS8_3ELb0ES6_jNS0_17counting_iteratorIjlEEPS9_SE_NS0_5tupleIJPjSE_EEENSF_IJSE_SE_EEES9_SG_JZNS1_25segmented_radix_sort_implINS0_14default_configELb0EPKhPhPKlPlN2at6native12_GLOBAL__N_18offset_tEEE10hipError_tPvRmT1_PNSt15iterator_traitsISY_E10value_typeET2_T3_PNSZ_IS14_E10value_typeET4_jRbjT5_S1A_jjP12ihipStream_tbEUljE_EEESV_SW_SX_S14_S18_S1A_T6_T7_T9_mT8_S1C_bDpT10_ENKUlT_T0_E_clISt17integral_constantIbLb1EES1P_EEDaS1K_S1L_EUlS1K_E_NS1_11comp_targetILNS1_3genE0ELNS1_11target_archE4294967295ELNS1_3gpuE0ELNS1_3repE0EEENS1_30default_config_static_selectorELNS0_4arch9wavefront6targetE0EEEvSY_.has_recursion, 0
	.set _ZN7rocprim17ROCPRIM_400000_NS6detail17trampoline_kernelINS0_13select_configILj256ELj13ELNS0_17block_load_methodE3ELS4_3ELS4_3ELNS0_20block_scan_algorithmE0ELj4294967295EEENS1_25partition_config_selectorILNS1_17partition_subalgoE3EjNS0_10empty_typeEbEEZZNS1_14partition_implILS8_3ELb0ES6_jNS0_17counting_iteratorIjlEEPS9_SE_NS0_5tupleIJPjSE_EEENSF_IJSE_SE_EEES9_SG_JZNS1_25segmented_radix_sort_implINS0_14default_configELb0EPKhPhPKlPlN2at6native12_GLOBAL__N_18offset_tEEE10hipError_tPvRmT1_PNSt15iterator_traitsISY_E10value_typeET2_T3_PNSZ_IS14_E10value_typeET4_jRbjT5_S1A_jjP12ihipStream_tbEUljE_EEESV_SW_SX_S14_S18_S1A_T6_T7_T9_mT8_S1C_bDpT10_ENKUlT_T0_E_clISt17integral_constantIbLb1EES1P_EEDaS1K_S1L_EUlS1K_E_NS1_11comp_targetILNS1_3genE0ELNS1_11target_archE4294967295ELNS1_3gpuE0ELNS1_3repE0EEENS1_30default_config_static_selectorELNS0_4arch9wavefront6targetE0EEEvSY_.has_indirect_call, 0
	.section	.AMDGPU.csdata,"",@progbits
; Kernel info:
; codeLenInByte = 4
; TotalNumSgprs: 0
; NumVgprs: 0
; ScratchSize: 0
; MemoryBound: 0
; FloatMode: 240
; IeeeMode: 1
; LDSByteSize: 0 bytes/workgroup (compile time only)
; SGPRBlocks: 0
; VGPRBlocks: 0
; NumSGPRsForWavesPerEU: 1
; NumVGPRsForWavesPerEU: 1
; NamedBarCnt: 0
; Occupancy: 16
; WaveLimiterHint : 0
; COMPUTE_PGM_RSRC2:SCRATCH_EN: 0
; COMPUTE_PGM_RSRC2:USER_SGPR: 2
; COMPUTE_PGM_RSRC2:TRAP_HANDLER: 0
; COMPUTE_PGM_RSRC2:TGID_X_EN: 1
; COMPUTE_PGM_RSRC2:TGID_Y_EN: 0
; COMPUTE_PGM_RSRC2:TGID_Z_EN: 0
; COMPUTE_PGM_RSRC2:TIDIG_COMP_CNT: 0
	.section	.text._ZN7rocprim17ROCPRIM_400000_NS6detail17trampoline_kernelINS0_13select_configILj256ELj13ELNS0_17block_load_methodE3ELS4_3ELS4_3ELNS0_20block_scan_algorithmE0ELj4294967295EEENS1_25partition_config_selectorILNS1_17partition_subalgoE3EjNS0_10empty_typeEbEEZZNS1_14partition_implILS8_3ELb0ES6_jNS0_17counting_iteratorIjlEEPS9_SE_NS0_5tupleIJPjSE_EEENSF_IJSE_SE_EEES9_SG_JZNS1_25segmented_radix_sort_implINS0_14default_configELb0EPKhPhPKlPlN2at6native12_GLOBAL__N_18offset_tEEE10hipError_tPvRmT1_PNSt15iterator_traitsISY_E10value_typeET2_T3_PNSZ_IS14_E10value_typeET4_jRbjT5_S1A_jjP12ihipStream_tbEUljE_EEESV_SW_SX_S14_S18_S1A_T6_T7_T9_mT8_S1C_bDpT10_ENKUlT_T0_E_clISt17integral_constantIbLb1EES1P_EEDaS1K_S1L_EUlS1K_E_NS1_11comp_targetILNS1_3genE5ELNS1_11target_archE942ELNS1_3gpuE9ELNS1_3repE0EEENS1_30default_config_static_selectorELNS0_4arch9wavefront6targetE0EEEvSY_,"axG",@progbits,_ZN7rocprim17ROCPRIM_400000_NS6detail17trampoline_kernelINS0_13select_configILj256ELj13ELNS0_17block_load_methodE3ELS4_3ELS4_3ELNS0_20block_scan_algorithmE0ELj4294967295EEENS1_25partition_config_selectorILNS1_17partition_subalgoE3EjNS0_10empty_typeEbEEZZNS1_14partition_implILS8_3ELb0ES6_jNS0_17counting_iteratorIjlEEPS9_SE_NS0_5tupleIJPjSE_EEENSF_IJSE_SE_EEES9_SG_JZNS1_25segmented_radix_sort_implINS0_14default_configELb0EPKhPhPKlPlN2at6native12_GLOBAL__N_18offset_tEEE10hipError_tPvRmT1_PNSt15iterator_traitsISY_E10value_typeET2_T3_PNSZ_IS14_E10value_typeET4_jRbjT5_S1A_jjP12ihipStream_tbEUljE_EEESV_SW_SX_S14_S18_S1A_T6_T7_T9_mT8_S1C_bDpT10_ENKUlT_T0_E_clISt17integral_constantIbLb1EES1P_EEDaS1K_S1L_EUlS1K_E_NS1_11comp_targetILNS1_3genE5ELNS1_11target_archE942ELNS1_3gpuE9ELNS1_3repE0EEENS1_30default_config_static_selectorELNS0_4arch9wavefront6targetE0EEEvSY_,comdat
	.globl	_ZN7rocprim17ROCPRIM_400000_NS6detail17trampoline_kernelINS0_13select_configILj256ELj13ELNS0_17block_load_methodE3ELS4_3ELS4_3ELNS0_20block_scan_algorithmE0ELj4294967295EEENS1_25partition_config_selectorILNS1_17partition_subalgoE3EjNS0_10empty_typeEbEEZZNS1_14partition_implILS8_3ELb0ES6_jNS0_17counting_iteratorIjlEEPS9_SE_NS0_5tupleIJPjSE_EEENSF_IJSE_SE_EEES9_SG_JZNS1_25segmented_radix_sort_implINS0_14default_configELb0EPKhPhPKlPlN2at6native12_GLOBAL__N_18offset_tEEE10hipError_tPvRmT1_PNSt15iterator_traitsISY_E10value_typeET2_T3_PNSZ_IS14_E10value_typeET4_jRbjT5_S1A_jjP12ihipStream_tbEUljE_EEESV_SW_SX_S14_S18_S1A_T6_T7_T9_mT8_S1C_bDpT10_ENKUlT_T0_E_clISt17integral_constantIbLb1EES1P_EEDaS1K_S1L_EUlS1K_E_NS1_11comp_targetILNS1_3genE5ELNS1_11target_archE942ELNS1_3gpuE9ELNS1_3repE0EEENS1_30default_config_static_selectorELNS0_4arch9wavefront6targetE0EEEvSY_ ; -- Begin function _ZN7rocprim17ROCPRIM_400000_NS6detail17trampoline_kernelINS0_13select_configILj256ELj13ELNS0_17block_load_methodE3ELS4_3ELS4_3ELNS0_20block_scan_algorithmE0ELj4294967295EEENS1_25partition_config_selectorILNS1_17partition_subalgoE3EjNS0_10empty_typeEbEEZZNS1_14partition_implILS8_3ELb0ES6_jNS0_17counting_iteratorIjlEEPS9_SE_NS0_5tupleIJPjSE_EEENSF_IJSE_SE_EEES9_SG_JZNS1_25segmented_radix_sort_implINS0_14default_configELb0EPKhPhPKlPlN2at6native12_GLOBAL__N_18offset_tEEE10hipError_tPvRmT1_PNSt15iterator_traitsISY_E10value_typeET2_T3_PNSZ_IS14_E10value_typeET4_jRbjT5_S1A_jjP12ihipStream_tbEUljE_EEESV_SW_SX_S14_S18_S1A_T6_T7_T9_mT8_S1C_bDpT10_ENKUlT_T0_E_clISt17integral_constantIbLb1EES1P_EEDaS1K_S1L_EUlS1K_E_NS1_11comp_targetILNS1_3genE5ELNS1_11target_archE942ELNS1_3gpuE9ELNS1_3repE0EEENS1_30default_config_static_selectorELNS0_4arch9wavefront6targetE0EEEvSY_
	.p2align	8
	.type	_ZN7rocprim17ROCPRIM_400000_NS6detail17trampoline_kernelINS0_13select_configILj256ELj13ELNS0_17block_load_methodE3ELS4_3ELS4_3ELNS0_20block_scan_algorithmE0ELj4294967295EEENS1_25partition_config_selectorILNS1_17partition_subalgoE3EjNS0_10empty_typeEbEEZZNS1_14partition_implILS8_3ELb0ES6_jNS0_17counting_iteratorIjlEEPS9_SE_NS0_5tupleIJPjSE_EEENSF_IJSE_SE_EEES9_SG_JZNS1_25segmented_radix_sort_implINS0_14default_configELb0EPKhPhPKlPlN2at6native12_GLOBAL__N_18offset_tEEE10hipError_tPvRmT1_PNSt15iterator_traitsISY_E10value_typeET2_T3_PNSZ_IS14_E10value_typeET4_jRbjT5_S1A_jjP12ihipStream_tbEUljE_EEESV_SW_SX_S14_S18_S1A_T6_T7_T9_mT8_S1C_bDpT10_ENKUlT_T0_E_clISt17integral_constantIbLb1EES1P_EEDaS1K_S1L_EUlS1K_E_NS1_11comp_targetILNS1_3genE5ELNS1_11target_archE942ELNS1_3gpuE9ELNS1_3repE0EEENS1_30default_config_static_selectorELNS0_4arch9wavefront6targetE0EEEvSY_,@function
_ZN7rocprim17ROCPRIM_400000_NS6detail17trampoline_kernelINS0_13select_configILj256ELj13ELNS0_17block_load_methodE3ELS4_3ELS4_3ELNS0_20block_scan_algorithmE0ELj4294967295EEENS1_25partition_config_selectorILNS1_17partition_subalgoE3EjNS0_10empty_typeEbEEZZNS1_14partition_implILS8_3ELb0ES6_jNS0_17counting_iteratorIjlEEPS9_SE_NS0_5tupleIJPjSE_EEENSF_IJSE_SE_EEES9_SG_JZNS1_25segmented_radix_sort_implINS0_14default_configELb0EPKhPhPKlPlN2at6native12_GLOBAL__N_18offset_tEEE10hipError_tPvRmT1_PNSt15iterator_traitsISY_E10value_typeET2_T3_PNSZ_IS14_E10value_typeET4_jRbjT5_S1A_jjP12ihipStream_tbEUljE_EEESV_SW_SX_S14_S18_S1A_T6_T7_T9_mT8_S1C_bDpT10_ENKUlT_T0_E_clISt17integral_constantIbLb1EES1P_EEDaS1K_S1L_EUlS1K_E_NS1_11comp_targetILNS1_3genE5ELNS1_11target_archE942ELNS1_3gpuE9ELNS1_3repE0EEENS1_30default_config_static_selectorELNS0_4arch9wavefront6targetE0EEEvSY_: ; @_ZN7rocprim17ROCPRIM_400000_NS6detail17trampoline_kernelINS0_13select_configILj256ELj13ELNS0_17block_load_methodE3ELS4_3ELS4_3ELNS0_20block_scan_algorithmE0ELj4294967295EEENS1_25partition_config_selectorILNS1_17partition_subalgoE3EjNS0_10empty_typeEbEEZZNS1_14partition_implILS8_3ELb0ES6_jNS0_17counting_iteratorIjlEEPS9_SE_NS0_5tupleIJPjSE_EEENSF_IJSE_SE_EEES9_SG_JZNS1_25segmented_radix_sort_implINS0_14default_configELb0EPKhPhPKlPlN2at6native12_GLOBAL__N_18offset_tEEE10hipError_tPvRmT1_PNSt15iterator_traitsISY_E10value_typeET2_T3_PNSZ_IS14_E10value_typeET4_jRbjT5_S1A_jjP12ihipStream_tbEUljE_EEESV_SW_SX_S14_S18_S1A_T6_T7_T9_mT8_S1C_bDpT10_ENKUlT_T0_E_clISt17integral_constantIbLb1EES1P_EEDaS1K_S1L_EUlS1K_E_NS1_11comp_targetILNS1_3genE5ELNS1_11target_archE942ELNS1_3gpuE9ELNS1_3repE0EEENS1_30default_config_static_selectorELNS0_4arch9wavefront6targetE0EEEvSY_
; %bb.0:
	.section	.rodata,"a",@progbits
	.p2align	6, 0x0
	.amdhsa_kernel _ZN7rocprim17ROCPRIM_400000_NS6detail17trampoline_kernelINS0_13select_configILj256ELj13ELNS0_17block_load_methodE3ELS4_3ELS4_3ELNS0_20block_scan_algorithmE0ELj4294967295EEENS1_25partition_config_selectorILNS1_17partition_subalgoE3EjNS0_10empty_typeEbEEZZNS1_14partition_implILS8_3ELb0ES6_jNS0_17counting_iteratorIjlEEPS9_SE_NS0_5tupleIJPjSE_EEENSF_IJSE_SE_EEES9_SG_JZNS1_25segmented_radix_sort_implINS0_14default_configELb0EPKhPhPKlPlN2at6native12_GLOBAL__N_18offset_tEEE10hipError_tPvRmT1_PNSt15iterator_traitsISY_E10value_typeET2_T3_PNSZ_IS14_E10value_typeET4_jRbjT5_S1A_jjP12ihipStream_tbEUljE_EEESV_SW_SX_S14_S18_S1A_T6_T7_T9_mT8_S1C_bDpT10_ENKUlT_T0_E_clISt17integral_constantIbLb1EES1P_EEDaS1K_S1L_EUlS1K_E_NS1_11comp_targetILNS1_3genE5ELNS1_11target_archE942ELNS1_3gpuE9ELNS1_3repE0EEENS1_30default_config_static_selectorELNS0_4arch9wavefront6targetE0EEEvSY_
		.amdhsa_group_segment_fixed_size 0
		.amdhsa_private_segment_fixed_size 0
		.amdhsa_kernarg_size 152
		.amdhsa_user_sgpr_count 2
		.amdhsa_user_sgpr_dispatch_ptr 0
		.amdhsa_user_sgpr_queue_ptr 0
		.amdhsa_user_sgpr_kernarg_segment_ptr 1
		.amdhsa_user_sgpr_dispatch_id 0
		.amdhsa_user_sgpr_kernarg_preload_length 0
		.amdhsa_user_sgpr_kernarg_preload_offset 0
		.amdhsa_user_sgpr_private_segment_size 0
		.amdhsa_wavefront_size32 1
		.amdhsa_uses_dynamic_stack 0
		.amdhsa_enable_private_segment 0
		.amdhsa_system_sgpr_workgroup_id_x 1
		.amdhsa_system_sgpr_workgroup_id_y 0
		.amdhsa_system_sgpr_workgroup_id_z 0
		.amdhsa_system_sgpr_workgroup_info 0
		.amdhsa_system_vgpr_workitem_id 0
		.amdhsa_next_free_vgpr 1
		.amdhsa_next_free_sgpr 1
		.amdhsa_named_barrier_count 0
		.amdhsa_reserve_vcc 0
		.amdhsa_float_round_mode_32 0
		.amdhsa_float_round_mode_16_64 0
		.amdhsa_float_denorm_mode_32 3
		.amdhsa_float_denorm_mode_16_64 3
		.amdhsa_fp16_overflow 0
		.amdhsa_memory_ordered 1
		.amdhsa_forward_progress 1
		.amdhsa_inst_pref_size 0
		.amdhsa_round_robin_scheduling 0
		.amdhsa_exception_fp_ieee_invalid_op 0
		.amdhsa_exception_fp_denorm_src 0
		.amdhsa_exception_fp_ieee_div_zero 0
		.amdhsa_exception_fp_ieee_overflow 0
		.amdhsa_exception_fp_ieee_underflow 0
		.amdhsa_exception_fp_ieee_inexact 0
		.amdhsa_exception_int_div_zero 0
	.end_amdhsa_kernel
	.section	.text._ZN7rocprim17ROCPRIM_400000_NS6detail17trampoline_kernelINS0_13select_configILj256ELj13ELNS0_17block_load_methodE3ELS4_3ELS4_3ELNS0_20block_scan_algorithmE0ELj4294967295EEENS1_25partition_config_selectorILNS1_17partition_subalgoE3EjNS0_10empty_typeEbEEZZNS1_14partition_implILS8_3ELb0ES6_jNS0_17counting_iteratorIjlEEPS9_SE_NS0_5tupleIJPjSE_EEENSF_IJSE_SE_EEES9_SG_JZNS1_25segmented_radix_sort_implINS0_14default_configELb0EPKhPhPKlPlN2at6native12_GLOBAL__N_18offset_tEEE10hipError_tPvRmT1_PNSt15iterator_traitsISY_E10value_typeET2_T3_PNSZ_IS14_E10value_typeET4_jRbjT5_S1A_jjP12ihipStream_tbEUljE_EEESV_SW_SX_S14_S18_S1A_T6_T7_T9_mT8_S1C_bDpT10_ENKUlT_T0_E_clISt17integral_constantIbLb1EES1P_EEDaS1K_S1L_EUlS1K_E_NS1_11comp_targetILNS1_3genE5ELNS1_11target_archE942ELNS1_3gpuE9ELNS1_3repE0EEENS1_30default_config_static_selectorELNS0_4arch9wavefront6targetE0EEEvSY_,"axG",@progbits,_ZN7rocprim17ROCPRIM_400000_NS6detail17trampoline_kernelINS0_13select_configILj256ELj13ELNS0_17block_load_methodE3ELS4_3ELS4_3ELNS0_20block_scan_algorithmE0ELj4294967295EEENS1_25partition_config_selectorILNS1_17partition_subalgoE3EjNS0_10empty_typeEbEEZZNS1_14partition_implILS8_3ELb0ES6_jNS0_17counting_iteratorIjlEEPS9_SE_NS0_5tupleIJPjSE_EEENSF_IJSE_SE_EEES9_SG_JZNS1_25segmented_radix_sort_implINS0_14default_configELb0EPKhPhPKlPlN2at6native12_GLOBAL__N_18offset_tEEE10hipError_tPvRmT1_PNSt15iterator_traitsISY_E10value_typeET2_T3_PNSZ_IS14_E10value_typeET4_jRbjT5_S1A_jjP12ihipStream_tbEUljE_EEESV_SW_SX_S14_S18_S1A_T6_T7_T9_mT8_S1C_bDpT10_ENKUlT_T0_E_clISt17integral_constantIbLb1EES1P_EEDaS1K_S1L_EUlS1K_E_NS1_11comp_targetILNS1_3genE5ELNS1_11target_archE942ELNS1_3gpuE9ELNS1_3repE0EEENS1_30default_config_static_selectorELNS0_4arch9wavefront6targetE0EEEvSY_,comdat
.Lfunc_end162:
	.size	_ZN7rocprim17ROCPRIM_400000_NS6detail17trampoline_kernelINS0_13select_configILj256ELj13ELNS0_17block_load_methodE3ELS4_3ELS4_3ELNS0_20block_scan_algorithmE0ELj4294967295EEENS1_25partition_config_selectorILNS1_17partition_subalgoE3EjNS0_10empty_typeEbEEZZNS1_14partition_implILS8_3ELb0ES6_jNS0_17counting_iteratorIjlEEPS9_SE_NS0_5tupleIJPjSE_EEENSF_IJSE_SE_EEES9_SG_JZNS1_25segmented_radix_sort_implINS0_14default_configELb0EPKhPhPKlPlN2at6native12_GLOBAL__N_18offset_tEEE10hipError_tPvRmT1_PNSt15iterator_traitsISY_E10value_typeET2_T3_PNSZ_IS14_E10value_typeET4_jRbjT5_S1A_jjP12ihipStream_tbEUljE_EEESV_SW_SX_S14_S18_S1A_T6_T7_T9_mT8_S1C_bDpT10_ENKUlT_T0_E_clISt17integral_constantIbLb1EES1P_EEDaS1K_S1L_EUlS1K_E_NS1_11comp_targetILNS1_3genE5ELNS1_11target_archE942ELNS1_3gpuE9ELNS1_3repE0EEENS1_30default_config_static_selectorELNS0_4arch9wavefront6targetE0EEEvSY_, .Lfunc_end162-_ZN7rocprim17ROCPRIM_400000_NS6detail17trampoline_kernelINS0_13select_configILj256ELj13ELNS0_17block_load_methodE3ELS4_3ELS4_3ELNS0_20block_scan_algorithmE0ELj4294967295EEENS1_25partition_config_selectorILNS1_17partition_subalgoE3EjNS0_10empty_typeEbEEZZNS1_14partition_implILS8_3ELb0ES6_jNS0_17counting_iteratorIjlEEPS9_SE_NS0_5tupleIJPjSE_EEENSF_IJSE_SE_EEES9_SG_JZNS1_25segmented_radix_sort_implINS0_14default_configELb0EPKhPhPKlPlN2at6native12_GLOBAL__N_18offset_tEEE10hipError_tPvRmT1_PNSt15iterator_traitsISY_E10value_typeET2_T3_PNSZ_IS14_E10value_typeET4_jRbjT5_S1A_jjP12ihipStream_tbEUljE_EEESV_SW_SX_S14_S18_S1A_T6_T7_T9_mT8_S1C_bDpT10_ENKUlT_T0_E_clISt17integral_constantIbLb1EES1P_EEDaS1K_S1L_EUlS1K_E_NS1_11comp_targetILNS1_3genE5ELNS1_11target_archE942ELNS1_3gpuE9ELNS1_3repE0EEENS1_30default_config_static_selectorELNS0_4arch9wavefront6targetE0EEEvSY_
                                        ; -- End function
	.set _ZN7rocprim17ROCPRIM_400000_NS6detail17trampoline_kernelINS0_13select_configILj256ELj13ELNS0_17block_load_methodE3ELS4_3ELS4_3ELNS0_20block_scan_algorithmE0ELj4294967295EEENS1_25partition_config_selectorILNS1_17partition_subalgoE3EjNS0_10empty_typeEbEEZZNS1_14partition_implILS8_3ELb0ES6_jNS0_17counting_iteratorIjlEEPS9_SE_NS0_5tupleIJPjSE_EEENSF_IJSE_SE_EEES9_SG_JZNS1_25segmented_radix_sort_implINS0_14default_configELb0EPKhPhPKlPlN2at6native12_GLOBAL__N_18offset_tEEE10hipError_tPvRmT1_PNSt15iterator_traitsISY_E10value_typeET2_T3_PNSZ_IS14_E10value_typeET4_jRbjT5_S1A_jjP12ihipStream_tbEUljE_EEESV_SW_SX_S14_S18_S1A_T6_T7_T9_mT8_S1C_bDpT10_ENKUlT_T0_E_clISt17integral_constantIbLb1EES1P_EEDaS1K_S1L_EUlS1K_E_NS1_11comp_targetILNS1_3genE5ELNS1_11target_archE942ELNS1_3gpuE9ELNS1_3repE0EEENS1_30default_config_static_selectorELNS0_4arch9wavefront6targetE0EEEvSY_.num_vgpr, 0
	.set _ZN7rocprim17ROCPRIM_400000_NS6detail17trampoline_kernelINS0_13select_configILj256ELj13ELNS0_17block_load_methodE3ELS4_3ELS4_3ELNS0_20block_scan_algorithmE0ELj4294967295EEENS1_25partition_config_selectorILNS1_17partition_subalgoE3EjNS0_10empty_typeEbEEZZNS1_14partition_implILS8_3ELb0ES6_jNS0_17counting_iteratorIjlEEPS9_SE_NS0_5tupleIJPjSE_EEENSF_IJSE_SE_EEES9_SG_JZNS1_25segmented_radix_sort_implINS0_14default_configELb0EPKhPhPKlPlN2at6native12_GLOBAL__N_18offset_tEEE10hipError_tPvRmT1_PNSt15iterator_traitsISY_E10value_typeET2_T3_PNSZ_IS14_E10value_typeET4_jRbjT5_S1A_jjP12ihipStream_tbEUljE_EEESV_SW_SX_S14_S18_S1A_T6_T7_T9_mT8_S1C_bDpT10_ENKUlT_T0_E_clISt17integral_constantIbLb1EES1P_EEDaS1K_S1L_EUlS1K_E_NS1_11comp_targetILNS1_3genE5ELNS1_11target_archE942ELNS1_3gpuE9ELNS1_3repE0EEENS1_30default_config_static_selectorELNS0_4arch9wavefront6targetE0EEEvSY_.num_agpr, 0
	.set _ZN7rocprim17ROCPRIM_400000_NS6detail17trampoline_kernelINS0_13select_configILj256ELj13ELNS0_17block_load_methodE3ELS4_3ELS4_3ELNS0_20block_scan_algorithmE0ELj4294967295EEENS1_25partition_config_selectorILNS1_17partition_subalgoE3EjNS0_10empty_typeEbEEZZNS1_14partition_implILS8_3ELb0ES6_jNS0_17counting_iteratorIjlEEPS9_SE_NS0_5tupleIJPjSE_EEENSF_IJSE_SE_EEES9_SG_JZNS1_25segmented_radix_sort_implINS0_14default_configELb0EPKhPhPKlPlN2at6native12_GLOBAL__N_18offset_tEEE10hipError_tPvRmT1_PNSt15iterator_traitsISY_E10value_typeET2_T3_PNSZ_IS14_E10value_typeET4_jRbjT5_S1A_jjP12ihipStream_tbEUljE_EEESV_SW_SX_S14_S18_S1A_T6_T7_T9_mT8_S1C_bDpT10_ENKUlT_T0_E_clISt17integral_constantIbLb1EES1P_EEDaS1K_S1L_EUlS1K_E_NS1_11comp_targetILNS1_3genE5ELNS1_11target_archE942ELNS1_3gpuE9ELNS1_3repE0EEENS1_30default_config_static_selectorELNS0_4arch9wavefront6targetE0EEEvSY_.numbered_sgpr, 0
	.set _ZN7rocprim17ROCPRIM_400000_NS6detail17trampoline_kernelINS0_13select_configILj256ELj13ELNS0_17block_load_methodE3ELS4_3ELS4_3ELNS0_20block_scan_algorithmE0ELj4294967295EEENS1_25partition_config_selectorILNS1_17partition_subalgoE3EjNS0_10empty_typeEbEEZZNS1_14partition_implILS8_3ELb0ES6_jNS0_17counting_iteratorIjlEEPS9_SE_NS0_5tupleIJPjSE_EEENSF_IJSE_SE_EEES9_SG_JZNS1_25segmented_radix_sort_implINS0_14default_configELb0EPKhPhPKlPlN2at6native12_GLOBAL__N_18offset_tEEE10hipError_tPvRmT1_PNSt15iterator_traitsISY_E10value_typeET2_T3_PNSZ_IS14_E10value_typeET4_jRbjT5_S1A_jjP12ihipStream_tbEUljE_EEESV_SW_SX_S14_S18_S1A_T6_T7_T9_mT8_S1C_bDpT10_ENKUlT_T0_E_clISt17integral_constantIbLb1EES1P_EEDaS1K_S1L_EUlS1K_E_NS1_11comp_targetILNS1_3genE5ELNS1_11target_archE942ELNS1_3gpuE9ELNS1_3repE0EEENS1_30default_config_static_selectorELNS0_4arch9wavefront6targetE0EEEvSY_.num_named_barrier, 0
	.set _ZN7rocprim17ROCPRIM_400000_NS6detail17trampoline_kernelINS0_13select_configILj256ELj13ELNS0_17block_load_methodE3ELS4_3ELS4_3ELNS0_20block_scan_algorithmE0ELj4294967295EEENS1_25partition_config_selectorILNS1_17partition_subalgoE3EjNS0_10empty_typeEbEEZZNS1_14partition_implILS8_3ELb0ES6_jNS0_17counting_iteratorIjlEEPS9_SE_NS0_5tupleIJPjSE_EEENSF_IJSE_SE_EEES9_SG_JZNS1_25segmented_radix_sort_implINS0_14default_configELb0EPKhPhPKlPlN2at6native12_GLOBAL__N_18offset_tEEE10hipError_tPvRmT1_PNSt15iterator_traitsISY_E10value_typeET2_T3_PNSZ_IS14_E10value_typeET4_jRbjT5_S1A_jjP12ihipStream_tbEUljE_EEESV_SW_SX_S14_S18_S1A_T6_T7_T9_mT8_S1C_bDpT10_ENKUlT_T0_E_clISt17integral_constantIbLb1EES1P_EEDaS1K_S1L_EUlS1K_E_NS1_11comp_targetILNS1_3genE5ELNS1_11target_archE942ELNS1_3gpuE9ELNS1_3repE0EEENS1_30default_config_static_selectorELNS0_4arch9wavefront6targetE0EEEvSY_.private_seg_size, 0
	.set _ZN7rocprim17ROCPRIM_400000_NS6detail17trampoline_kernelINS0_13select_configILj256ELj13ELNS0_17block_load_methodE3ELS4_3ELS4_3ELNS0_20block_scan_algorithmE0ELj4294967295EEENS1_25partition_config_selectorILNS1_17partition_subalgoE3EjNS0_10empty_typeEbEEZZNS1_14partition_implILS8_3ELb0ES6_jNS0_17counting_iteratorIjlEEPS9_SE_NS0_5tupleIJPjSE_EEENSF_IJSE_SE_EEES9_SG_JZNS1_25segmented_radix_sort_implINS0_14default_configELb0EPKhPhPKlPlN2at6native12_GLOBAL__N_18offset_tEEE10hipError_tPvRmT1_PNSt15iterator_traitsISY_E10value_typeET2_T3_PNSZ_IS14_E10value_typeET4_jRbjT5_S1A_jjP12ihipStream_tbEUljE_EEESV_SW_SX_S14_S18_S1A_T6_T7_T9_mT8_S1C_bDpT10_ENKUlT_T0_E_clISt17integral_constantIbLb1EES1P_EEDaS1K_S1L_EUlS1K_E_NS1_11comp_targetILNS1_3genE5ELNS1_11target_archE942ELNS1_3gpuE9ELNS1_3repE0EEENS1_30default_config_static_selectorELNS0_4arch9wavefront6targetE0EEEvSY_.uses_vcc, 0
	.set _ZN7rocprim17ROCPRIM_400000_NS6detail17trampoline_kernelINS0_13select_configILj256ELj13ELNS0_17block_load_methodE3ELS4_3ELS4_3ELNS0_20block_scan_algorithmE0ELj4294967295EEENS1_25partition_config_selectorILNS1_17partition_subalgoE3EjNS0_10empty_typeEbEEZZNS1_14partition_implILS8_3ELb0ES6_jNS0_17counting_iteratorIjlEEPS9_SE_NS0_5tupleIJPjSE_EEENSF_IJSE_SE_EEES9_SG_JZNS1_25segmented_radix_sort_implINS0_14default_configELb0EPKhPhPKlPlN2at6native12_GLOBAL__N_18offset_tEEE10hipError_tPvRmT1_PNSt15iterator_traitsISY_E10value_typeET2_T3_PNSZ_IS14_E10value_typeET4_jRbjT5_S1A_jjP12ihipStream_tbEUljE_EEESV_SW_SX_S14_S18_S1A_T6_T7_T9_mT8_S1C_bDpT10_ENKUlT_T0_E_clISt17integral_constantIbLb1EES1P_EEDaS1K_S1L_EUlS1K_E_NS1_11comp_targetILNS1_3genE5ELNS1_11target_archE942ELNS1_3gpuE9ELNS1_3repE0EEENS1_30default_config_static_selectorELNS0_4arch9wavefront6targetE0EEEvSY_.uses_flat_scratch, 0
	.set _ZN7rocprim17ROCPRIM_400000_NS6detail17trampoline_kernelINS0_13select_configILj256ELj13ELNS0_17block_load_methodE3ELS4_3ELS4_3ELNS0_20block_scan_algorithmE0ELj4294967295EEENS1_25partition_config_selectorILNS1_17partition_subalgoE3EjNS0_10empty_typeEbEEZZNS1_14partition_implILS8_3ELb0ES6_jNS0_17counting_iteratorIjlEEPS9_SE_NS0_5tupleIJPjSE_EEENSF_IJSE_SE_EEES9_SG_JZNS1_25segmented_radix_sort_implINS0_14default_configELb0EPKhPhPKlPlN2at6native12_GLOBAL__N_18offset_tEEE10hipError_tPvRmT1_PNSt15iterator_traitsISY_E10value_typeET2_T3_PNSZ_IS14_E10value_typeET4_jRbjT5_S1A_jjP12ihipStream_tbEUljE_EEESV_SW_SX_S14_S18_S1A_T6_T7_T9_mT8_S1C_bDpT10_ENKUlT_T0_E_clISt17integral_constantIbLb1EES1P_EEDaS1K_S1L_EUlS1K_E_NS1_11comp_targetILNS1_3genE5ELNS1_11target_archE942ELNS1_3gpuE9ELNS1_3repE0EEENS1_30default_config_static_selectorELNS0_4arch9wavefront6targetE0EEEvSY_.has_dyn_sized_stack, 0
	.set _ZN7rocprim17ROCPRIM_400000_NS6detail17trampoline_kernelINS0_13select_configILj256ELj13ELNS0_17block_load_methodE3ELS4_3ELS4_3ELNS0_20block_scan_algorithmE0ELj4294967295EEENS1_25partition_config_selectorILNS1_17partition_subalgoE3EjNS0_10empty_typeEbEEZZNS1_14partition_implILS8_3ELb0ES6_jNS0_17counting_iteratorIjlEEPS9_SE_NS0_5tupleIJPjSE_EEENSF_IJSE_SE_EEES9_SG_JZNS1_25segmented_radix_sort_implINS0_14default_configELb0EPKhPhPKlPlN2at6native12_GLOBAL__N_18offset_tEEE10hipError_tPvRmT1_PNSt15iterator_traitsISY_E10value_typeET2_T3_PNSZ_IS14_E10value_typeET4_jRbjT5_S1A_jjP12ihipStream_tbEUljE_EEESV_SW_SX_S14_S18_S1A_T6_T7_T9_mT8_S1C_bDpT10_ENKUlT_T0_E_clISt17integral_constantIbLb1EES1P_EEDaS1K_S1L_EUlS1K_E_NS1_11comp_targetILNS1_3genE5ELNS1_11target_archE942ELNS1_3gpuE9ELNS1_3repE0EEENS1_30default_config_static_selectorELNS0_4arch9wavefront6targetE0EEEvSY_.has_recursion, 0
	.set _ZN7rocprim17ROCPRIM_400000_NS6detail17trampoline_kernelINS0_13select_configILj256ELj13ELNS0_17block_load_methodE3ELS4_3ELS4_3ELNS0_20block_scan_algorithmE0ELj4294967295EEENS1_25partition_config_selectorILNS1_17partition_subalgoE3EjNS0_10empty_typeEbEEZZNS1_14partition_implILS8_3ELb0ES6_jNS0_17counting_iteratorIjlEEPS9_SE_NS0_5tupleIJPjSE_EEENSF_IJSE_SE_EEES9_SG_JZNS1_25segmented_radix_sort_implINS0_14default_configELb0EPKhPhPKlPlN2at6native12_GLOBAL__N_18offset_tEEE10hipError_tPvRmT1_PNSt15iterator_traitsISY_E10value_typeET2_T3_PNSZ_IS14_E10value_typeET4_jRbjT5_S1A_jjP12ihipStream_tbEUljE_EEESV_SW_SX_S14_S18_S1A_T6_T7_T9_mT8_S1C_bDpT10_ENKUlT_T0_E_clISt17integral_constantIbLb1EES1P_EEDaS1K_S1L_EUlS1K_E_NS1_11comp_targetILNS1_3genE5ELNS1_11target_archE942ELNS1_3gpuE9ELNS1_3repE0EEENS1_30default_config_static_selectorELNS0_4arch9wavefront6targetE0EEEvSY_.has_indirect_call, 0
	.section	.AMDGPU.csdata,"",@progbits
; Kernel info:
; codeLenInByte = 0
; TotalNumSgprs: 0
; NumVgprs: 0
; ScratchSize: 0
; MemoryBound: 0
; FloatMode: 240
; IeeeMode: 1
; LDSByteSize: 0 bytes/workgroup (compile time only)
; SGPRBlocks: 0
; VGPRBlocks: 0
; NumSGPRsForWavesPerEU: 1
; NumVGPRsForWavesPerEU: 1
; NamedBarCnt: 0
; Occupancy: 16
; WaveLimiterHint : 0
; COMPUTE_PGM_RSRC2:SCRATCH_EN: 0
; COMPUTE_PGM_RSRC2:USER_SGPR: 2
; COMPUTE_PGM_RSRC2:TRAP_HANDLER: 0
; COMPUTE_PGM_RSRC2:TGID_X_EN: 1
; COMPUTE_PGM_RSRC2:TGID_Y_EN: 0
; COMPUTE_PGM_RSRC2:TGID_Z_EN: 0
; COMPUTE_PGM_RSRC2:TIDIG_COMP_CNT: 0
	.section	.text._ZN7rocprim17ROCPRIM_400000_NS6detail17trampoline_kernelINS0_13select_configILj256ELj13ELNS0_17block_load_methodE3ELS4_3ELS4_3ELNS0_20block_scan_algorithmE0ELj4294967295EEENS1_25partition_config_selectorILNS1_17partition_subalgoE3EjNS0_10empty_typeEbEEZZNS1_14partition_implILS8_3ELb0ES6_jNS0_17counting_iteratorIjlEEPS9_SE_NS0_5tupleIJPjSE_EEENSF_IJSE_SE_EEES9_SG_JZNS1_25segmented_radix_sort_implINS0_14default_configELb0EPKhPhPKlPlN2at6native12_GLOBAL__N_18offset_tEEE10hipError_tPvRmT1_PNSt15iterator_traitsISY_E10value_typeET2_T3_PNSZ_IS14_E10value_typeET4_jRbjT5_S1A_jjP12ihipStream_tbEUljE_EEESV_SW_SX_S14_S18_S1A_T6_T7_T9_mT8_S1C_bDpT10_ENKUlT_T0_E_clISt17integral_constantIbLb1EES1P_EEDaS1K_S1L_EUlS1K_E_NS1_11comp_targetILNS1_3genE4ELNS1_11target_archE910ELNS1_3gpuE8ELNS1_3repE0EEENS1_30default_config_static_selectorELNS0_4arch9wavefront6targetE0EEEvSY_,"axG",@progbits,_ZN7rocprim17ROCPRIM_400000_NS6detail17trampoline_kernelINS0_13select_configILj256ELj13ELNS0_17block_load_methodE3ELS4_3ELS4_3ELNS0_20block_scan_algorithmE0ELj4294967295EEENS1_25partition_config_selectorILNS1_17partition_subalgoE3EjNS0_10empty_typeEbEEZZNS1_14partition_implILS8_3ELb0ES6_jNS0_17counting_iteratorIjlEEPS9_SE_NS0_5tupleIJPjSE_EEENSF_IJSE_SE_EEES9_SG_JZNS1_25segmented_radix_sort_implINS0_14default_configELb0EPKhPhPKlPlN2at6native12_GLOBAL__N_18offset_tEEE10hipError_tPvRmT1_PNSt15iterator_traitsISY_E10value_typeET2_T3_PNSZ_IS14_E10value_typeET4_jRbjT5_S1A_jjP12ihipStream_tbEUljE_EEESV_SW_SX_S14_S18_S1A_T6_T7_T9_mT8_S1C_bDpT10_ENKUlT_T0_E_clISt17integral_constantIbLb1EES1P_EEDaS1K_S1L_EUlS1K_E_NS1_11comp_targetILNS1_3genE4ELNS1_11target_archE910ELNS1_3gpuE8ELNS1_3repE0EEENS1_30default_config_static_selectorELNS0_4arch9wavefront6targetE0EEEvSY_,comdat
	.globl	_ZN7rocprim17ROCPRIM_400000_NS6detail17trampoline_kernelINS0_13select_configILj256ELj13ELNS0_17block_load_methodE3ELS4_3ELS4_3ELNS0_20block_scan_algorithmE0ELj4294967295EEENS1_25partition_config_selectorILNS1_17partition_subalgoE3EjNS0_10empty_typeEbEEZZNS1_14partition_implILS8_3ELb0ES6_jNS0_17counting_iteratorIjlEEPS9_SE_NS0_5tupleIJPjSE_EEENSF_IJSE_SE_EEES9_SG_JZNS1_25segmented_radix_sort_implINS0_14default_configELb0EPKhPhPKlPlN2at6native12_GLOBAL__N_18offset_tEEE10hipError_tPvRmT1_PNSt15iterator_traitsISY_E10value_typeET2_T3_PNSZ_IS14_E10value_typeET4_jRbjT5_S1A_jjP12ihipStream_tbEUljE_EEESV_SW_SX_S14_S18_S1A_T6_T7_T9_mT8_S1C_bDpT10_ENKUlT_T0_E_clISt17integral_constantIbLb1EES1P_EEDaS1K_S1L_EUlS1K_E_NS1_11comp_targetILNS1_3genE4ELNS1_11target_archE910ELNS1_3gpuE8ELNS1_3repE0EEENS1_30default_config_static_selectorELNS0_4arch9wavefront6targetE0EEEvSY_ ; -- Begin function _ZN7rocprim17ROCPRIM_400000_NS6detail17trampoline_kernelINS0_13select_configILj256ELj13ELNS0_17block_load_methodE3ELS4_3ELS4_3ELNS0_20block_scan_algorithmE0ELj4294967295EEENS1_25partition_config_selectorILNS1_17partition_subalgoE3EjNS0_10empty_typeEbEEZZNS1_14partition_implILS8_3ELb0ES6_jNS0_17counting_iteratorIjlEEPS9_SE_NS0_5tupleIJPjSE_EEENSF_IJSE_SE_EEES9_SG_JZNS1_25segmented_radix_sort_implINS0_14default_configELb0EPKhPhPKlPlN2at6native12_GLOBAL__N_18offset_tEEE10hipError_tPvRmT1_PNSt15iterator_traitsISY_E10value_typeET2_T3_PNSZ_IS14_E10value_typeET4_jRbjT5_S1A_jjP12ihipStream_tbEUljE_EEESV_SW_SX_S14_S18_S1A_T6_T7_T9_mT8_S1C_bDpT10_ENKUlT_T0_E_clISt17integral_constantIbLb1EES1P_EEDaS1K_S1L_EUlS1K_E_NS1_11comp_targetILNS1_3genE4ELNS1_11target_archE910ELNS1_3gpuE8ELNS1_3repE0EEENS1_30default_config_static_selectorELNS0_4arch9wavefront6targetE0EEEvSY_
	.p2align	8
	.type	_ZN7rocprim17ROCPRIM_400000_NS6detail17trampoline_kernelINS0_13select_configILj256ELj13ELNS0_17block_load_methodE3ELS4_3ELS4_3ELNS0_20block_scan_algorithmE0ELj4294967295EEENS1_25partition_config_selectorILNS1_17partition_subalgoE3EjNS0_10empty_typeEbEEZZNS1_14partition_implILS8_3ELb0ES6_jNS0_17counting_iteratorIjlEEPS9_SE_NS0_5tupleIJPjSE_EEENSF_IJSE_SE_EEES9_SG_JZNS1_25segmented_radix_sort_implINS0_14default_configELb0EPKhPhPKlPlN2at6native12_GLOBAL__N_18offset_tEEE10hipError_tPvRmT1_PNSt15iterator_traitsISY_E10value_typeET2_T3_PNSZ_IS14_E10value_typeET4_jRbjT5_S1A_jjP12ihipStream_tbEUljE_EEESV_SW_SX_S14_S18_S1A_T6_T7_T9_mT8_S1C_bDpT10_ENKUlT_T0_E_clISt17integral_constantIbLb1EES1P_EEDaS1K_S1L_EUlS1K_E_NS1_11comp_targetILNS1_3genE4ELNS1_11target_archE910ELNS1_3gpuE8ELNS1_3repE0EEENS1_30default_config_static_selectorELNS0_4arch9wavefront6targetE0EEEvSY_,@function
_ZN7rocprim17ROCPRIM_400000_NS6detail17trampoline_kernelINS0_13select_configILj256ELj13ELNS0_17block_load_methodE3ELS4_3ELS4_3ELNS0_20block_scan_algorithmE0ELj4294967295EEENS1_25partition_config_selectorILNS1_17partition_subalgoE3EjNS0_10empty_typeEbEEZZNS1_14partition_implILS8_3ELb0ES6_jNS0_17counting_iteratorIjlEEPS9_SE_NS0_5tupleIJPjSE_EEENSF_IJSE_SE_EEES9_SG_JZNS1_25segmented_radix_sort_implINS0_14default_configELb0EPKhPhPKlPlN2at6native12_GLOBAL__N_18offset_tEEE10hipError_tPvRmT1_PNSt15iterator_traitsISY_E10value_typeET2_T3_PNSZ_IS14_E10value_typeET4_jRbjT5_S1A_jjP12ihipStream_tbEUljE_EEESV_SW_SX_S14_S18_S1A_T6_T7_T9_mT8_S1C_bDpT10_ENKUlT_T0_E_clISt17integral_constantIbLb1EES1P_EEDaS1K_S1L_EUlS1K_E_NS1_11comp_targetILNS1_3genE4ELNS1_11target_archE910ELNS1_3gpuE8ELNS1_3repE0EEENS1_30default_config_static_selectorELNS0_4arch9wavefront6targetE0EEEvSY_: ; @_ZN7rocprim17ROCPRIM_400000_NS6detail17trampoline_kernelINS0_13select_configILj256ELj13ELNS0_17block_load_methodE3ELS4_3ELS4_3ELNS0_20block_scan_algorithmE0ELj4294967295EEENS1_25partition_config_selectorILNS1_17partition_subalgoE3EjNS0_10empty_typeEbEEZZNS1_14partition_implILS8_3ELb0ES6_jNS0_17counting_iteratorIjlEEPS9_SE_NS0_5tupleIJPjSE_EEENSF_IJSE_SE_EEES9_SG_JZNS1_25segmented_radix_sort_implINS0_14default_configELb0EPKhPhPKlPlN2at6native12_GLOBAL__N_18offset_tEEE10hipError_tPvRmT1_PNSt15iterator_traitsISY_E10value_typeET2_T3_PNSZ_IS14_E10value_typeET4_jRbjT5_S1A_jjP12ihipStream_tbEUljE_EEESV_SW_SX_S14_S18_S1A_T6_T7_T9_mT8_S1C_bDpT10_ENKUlT_T0_E_clISt17integral_constantIbLb1EES1P_EEDaS1K_S1L_EUlS1K_E_NS1_11comp_targetILNS1_3genE4ELNS1_11target_archE910ELNS1_3gpuE8ELNS1_3repE0EEENS1_30default_config_static_selectorELNS0_4arch9wavefront6targetE0EEEvSY_
; %bb.0:
	.section	.rodata,"a",@progbits
	.p2align	6, 0x0
	.amdhsa_kernel _ZN7rocprim17ROCPRIM_400000_NS6detail17trampoline_kernelINS0_13select_configILj256ELj13ELNS0_17block_load_methodE3ELS4_3ELS4_3ELNS0_20block_scan_algorithmE0ELj4294967295EEENS1_25partition_config_selectorILNS1_17partition_subalgoE3EjNS0_10empty_typeEbEEZZNS1_14partition_implILS8_3ELb0ES6_jNS0_17counting_iteratorIjlEEPS9_SE_NS0_5tupleIJPjSE_EEENSF_IJSE_SE_EEES9_SG_JZNS1_25segmented_radix_sort_implINS0_14default_configELb0EPKhPhPKlPlN2at6native12_GLOBAL__N_18offset_tEEE10hipError_tPvRmT1_PNSt15iterator_traitsISY_E10value_typeET2_T3_PNSZ_IS14_E10value_typeET4_jRbjT5_S1A_jjP12ihipStream_tbEUljE_EEESV_SW_SX_S14_S18_S1A_T6_T7_T9_mT8_S1C_bDpT10_ENKUlT_T0_E_clISt17integral_constantIbLb1EES1P_EEDaS1K_S1L_EUlS1K_E_NS1_11comp_targetILNS1_3genE4ELNS1_11target_archE910ELNS1_3gpuE8ELNS1_3repE0EEENS1_30default_config_static_selectorELNS0_4arch9wavefront6targetE0EEEvSY_
		.amdhsa_group_segment_fixed_size 0
		.amdhsa_private_segment_fixed_size 0
		.amdhsa_kernarg_size 152
		.amdhsa_user_sgpr_count 2
		.amdhsa_user_sgpr_dispatch_ptr 0
		.amdhsa_user_sgpr_queue_ptr 0
		.amdhsa_user_sgpr_kernarg_segment_ptr 1
		.amdhsa_user_sgpr_dispatch_id 0
		.amdhsa_user_sgpr_kernarg_preload_length 0
		.amdhsa_user_sgpr_kernarg_preload_offset 0
		.amdhsa_user_sgpr_private_segment_size 0
		.amdhsa_wavefront_size32 1
		.amdhsa_uses_dynamic_stack 0
		.amdhsa_enable_private_segment 0
		.amdhsa_system_sgpr_workgroup_id_x 1
		.amdhsa_system_sgpr_workgroup_id_y 0
		.amdhsa_system_sgpr_workgroup_id_z 0
		.amdhsa_system_sgpr_workgroup_info 0
		.amdhsa_system_vgpr_workitem_id 0
		.amdhsa_next_free_vgpr 1
		.amdhsa_next_free_sgpr 1
		.amdhsa_named_barrier_count 0
		.amdhsa_reserve_vcc 0
		.amdhsa_float_round_mode_32 0
		.amdhsa_float_round_mode_16_64 0
		.amdhsa_float_denorm_mode_32 3
		.amdhsa_float_denorm_mode_16_64 3
		.amdhsa_fp16_overflow 0
		.amdhsa_memory_ordered 1
		.amdhsa_forward_progress 1
		.amdhsa_inst_pref_size 0
		.amdhsa_round_robin_scheduling 0
		.amdhsa_exception_fp_ieee_invalid_op 0
		.amdhsa_exception_fp_denorm_src 0
		.amdhsa_exception_fp_ieee_div_zero 0
		.amdhsa_exception_fp_ieee_overflow 0
		.amdhsa_exception_fp_ieee_underflow 0
		.amdhsa_exception_fp_ieee_inexact 0
		.amdhsa_exception_int_div_zero 0
	.end_amdhsa_kernel
	.section	.text._ZN7rocprim17ROCPRIM_400000_NS6detail17trampoline_kernelINS0_13select_configILj256ELj13ELNS0_17block_load_methodE3ELS4_3ELS4_3ELNS0_20block_scan_algorithmE0ELj4294967295EEENS1_25partition_config_selectorILNS1_17partition_subalgoE3EjNS0_10empty_typeEbEEZZNS1_14partition_implILS8_3ELb0ES6_jNS0_17counting_iteratorIjlEEPS9_SE_NS0_5tupleIJPjSE_EEENSF_IJSE_SE_EEES9_SG_JZNS1_25segmented_radix_sort_implINS0_14default_configELb0EPKhPhPKlPlN2at6native12_GLOBAL__N_18offset_tEEE10hipError_tPvRmT1_PNSt15iterator_traitsISY_E10value_typeET2_T3_PNSZ_IS14_E10value_typeET4_jRbjT5_S1A_jjP12ihipStream_tbEUljE_EEESV_SW_SX_S14_S18_S1A_T6_T7_T9_mT8_S1C_bDpT10_ENKUlT_T0_E_clISt17integral_constantIbLb1EES1P_EEDaS1K_S1L_EUlS1K_E_NS1_11comp_targetILNS1_3genE4ELNS1_11target_archE910ELNS1_3gpuE8ELNS1_3repE0EEENS1_30default_config_static_selectorELNS0_4arch9wavefront6targetE0EEEvSY_,"axG",@progbits,_ZN7rocprim17ROCPRIM_400000_NS6detail17trampoline_kernelINS0_13select_configILj256ELj13ELNS0_17block_load_methodE3ELS4_3ELS4_3ELNS0_20block_scan_algorithmE0ELj4294967295EEENS1_25partition_config_selectorILNS1_17partition_subalgoE3EjNS0_10empty_typeEbEEZZNS1_14partition_implILS8_3ELb0ES6_jNS0_17counting_iteratorIjlEEPS9_SE_NS0_5tupleIJPjSE_EEENSF_IJSE_SE_EEES9_SG_JZNS1_25segmented_radix_sort_implINS0_14default_configELb0EPKhPhPKlPlN2at6native12_GLOBAL__N_18offset_tEEE10hipError_tPvRmT1_PNSt15iterator_traitsISY_E10value_typeET2_T3_PNSZ_IS14_E10value_typeET4_jRbjT5_S1A_jjP12ihipStream_tbEUljE_EEESV_SW_SX_S14_S18_S1A_T6_T7_T9_mT8_S1C_bDpT10_ENKUlT_T0_E_clISt17integral_constantIbLb1EES1P_EEDaS1K_S1L_EUlS1K_E_NS1_11comp_targetILNS1_3genE4ELNS1_11target_archE910ELNS1_3gpuE8ELNS1_3repE0EEENS1_30default_config_static_selectorELNS0_4arch9wavefront6targetE0EEEvSY_,comdat
.Lfunc_end163:
	.size	_ZN7rocprim17ROCPRIM_400000_NS6detail17trampoline_kernelINS0_13select_configILj256ELj13ELNS0_17block_load_methodE3ELS4_3ELS4_3ELNS0_20block_scan_algorithmE0ELj4294967295EEENS1_25partition_config_selectorILNS1_17partition_subalgoE3EjNS0_10empty_typeEbEEZZNS1_14partition_implILS8_3ELb0ES6_jNS0_17counting_iteratorIjlEEPS9_SE_NS0_5tupleIJPjSE_EEENSF_IJSE_SE_EEES9_SG_JZNS1_25segmented_radix_sort_implINS0_14default_configELb0EPKhPhPKlPlN2at6native12_GLOBAL__N_18offset_tEEE10hipError_tPvRmT1_PNSt15iterator_traitsISY_E10value_typeET2_T3_PNSZ_IS14_E10value_typeET4_jRbjT5_S1A_jjP12ihipStream_tbEUljE_EEESV_SW_SX_S14_S18_S1A_T6_T7_T9_mT8_S1C_bDpT10_ENKUlT_T0_E_clISt17integral_constantIbLb1EES1P_EEDaS1K_S1L_EUlS1K_E_NS1_11comp_targetILNS1_3genE4ELNS1_11target_archE910ELNS1_3gpuE8ELNS1_3repE0EEENS1_30default_config_static_selectorELNS0_4arch9wavefront6targetE0EEEvSY_, .Lfunc_end163-_ZN7rocprim17ROCPRIM_400000_NS6detail17trampoline_kernelINS0_13select_configILj256ELj13ELNS0_17block_load_methodE3ELS4_3ELS4_3ELNS0_20block_scan_algorithmE0ELj4294967295EEENS1_25partition_config_selectorILNS1_17partition_subalgoE3EjNS0_10empty_typeEbEEZZNS1_14partition_implILS8_3ELb0ES6_jNS0_17counting_iteratorIjlEEPS9_SE_NS0_5tupleIJPjSE_EEENSF_IJSE_SE_EEES9_SG_JZNS1_25segmented_radix_sort_implINS0_14default_configELb0EPKhPhPKlPlN2at6native12_GLOBAL__N_18offset_tEEE10hipError_tPvRmT1_PNSt15iterator_traitsISY_E10value_typeET2_T3_PNSZ_IS14_E10value_typeET4_jRbjT5_S1A_jjP12ihipStream_tbEUljE_EEESV_SW_SX_S14_S18_S1A_T6_T7_T9_mT8_S1C_bDpT10_ENKUlT_T0_E_clISt17integral_constantIbLb1EES1P_EEDaS1K_S1L_EUlS1K_E_NS1_11comp_targetILNS1_3genE4ELNS1_11target_archE910ELNS1_3gpuE8ELNS1_3repE0EEENS1_30default_config_static_selectorELNS0_4arch9wavefront6targetE0EEEvSY_
                                        ; -- End function
	.set _ZN7rocprim17ROCPRIM_400000_NS6detail17trampoline_kernelINS0_13select_configILj256ELj13ELNS0_17block_load_methodE3ELS4_3ELS4_3ELNS0_20block_scan_algorithmE0ELj4294967295EEENS1_25partition_config_selectorILNS1_17partition_subalgoE3EjNS0_10empty_typeEbEEZZNS1_14partition_implILS8_3ELb0ES6_jNS0_17counting_iteratorIjlEEPS9_SE_NS0_5tupleIJPjSE_EEENSF_IJSE_SE_EEES9_SG_JZNS1_25segmented_radix_sort_implINS0_14default_configELb0EPKhPhPKlPlN2at6native12_GLOBAL__N_18offset_tEEE10hipError_tPvRmT1_PNSt15iterator_traitsISY_E10value_typeET2_T3_PNSZ_IS14_E10value_typeET4_jRbjT5_S1A_jjP12ihipStream_tbEUljE_EEESV_SW_SX_S14_S18_S1A_T6_T7_T9_mT8_S1C_bDpT10_ENKUlT_T0_E_clISt17integral_constantIbLb1EES1P_EEDaS1K_S1L_EUlS1K_E_NS1_11comp_targetILNS1_3genE4ELNS1_11target_archE910ELNS1_3gpuE8ELNS1_3repE0EEENS1_30default_config_static_selectorELNS0_4arch9wavefront6targetE0EEEvSY_.num_vgpr, 0
	.set _ZN7rocprim17ROCPRIM_400000_NS6detail17trampoline_kernelINS0_13select_configILj256ELj13ELNS0_17block_load_methodE3ELS4_3ELS4_3ELNS0_20block_scan_algorithmE0ELj4294967295EEENS1_25partition_config_selectorILNS1_17partition_subalgoE3EjNS0_10empty_typeEbEEZZNS1_14partition_implILS8_3ELb0ES6_jNS0_17counting_iteratorIjlEEPS9_SE_NS0_5tupleIJPjSE_EEENSF_IJSE_SE_EEES9_SG_JZNS1_25segmented_radix_sort_implINS0_14default_configELb0EPKhPhPKlPlN2at6native12_GLOBAL__N_18offset_tEEE10hipError_tPvRmT1_PNSt15iterator_traitsISY_E10value_typeET2_T3_PNSZ_IS14_E10value_typeET4_jRbjT5_S1A_jjP12ihipStream_tbEUljE_EEESV_SW_SX_S14_S18_S1A_T6_T7_T9_mT8_S1C_bDpT10_ENKUlT_T0_E_clISt17integral_constantIbLb1EES1P_EEDaS1K_S1L_EUlS1K_E_NS1_11comp_targetILNS1_3genE4ELNS1_11target_archE910ELNS1_3gpuE8ELNS1_3repE0EEENS1_30default_config_static_selectorELNS0_4arch9wavefront6targetE0EEEvSY_.num_agpr, 0
	.set _ZN7rocprim17ROCPRIM_400000_NS6detail17trampoline_kernelINS0_13select_configILj256ELj13ELNS0_17block_load_methodE3ELS4_3ELS4_3ELNS0_20block_scan_algorithmE0ELj4294967295EEENS1_25partition_config_selectorILNS1_17partition_subalgoE3EjNS0_10empty_typeEbEEZZNS1_14partition_implILS8_3ELb0ES6_jNS0_17counting_iteratorIjlEEPS9_SE_NS0_5tupleIJPjSE_EEENSF_IJSE_SE_EEES9_SG_JZNS1_25segmented_radix_sort_implINS0_14default_configELb0EPKhPhPKlPlN2at6native12_GLOBAL__N_18offset_tEEE10hipError_tPvRmT1_PNSt15iterator_traitsISY_E10value_typeET2_T3_PNSZ_IS14_E10value_typeET4_jRbjT5_S1A_jjP12ihipStream_tbEUljE_EEESV_SW_SX_S14_S18_S1A_T6_T7_T9_mT8_S1C_bDpT10_ENKUlT_T0_E_clISt17integral_constantIbLb1EES1P_EEDaS1K_S1L_EUlS1K_E_NS1_11comp_targetILNS1_3genE4ELNS1_11target_archE910ELNS1_3gpuE8ELNS1_3repE0EEENS1_30default_config_static_selectorELNS0_4arch9wavefront6targetE0EEEvSY_.numbered_sgpr, 0
	.set _ZN7rocprim17ROCPRIM_400000_NS6detail17trampoline_kernelINS0_13select_configILj256ELj13ELNS0_17block_load_methodE3ELS4_3ELS4_3ELNS0_20block_scan_algorithmE0ELj4294967295EEENS1_25partition_config_selectorILNS1_17partition_subalgoE3EjNS0_10empty_typeEbEEZZNS1_14partition_implILS8_3ELb0ES6_jNS0_17counting_iteratorIjlEEPS9_SE_NS0_5tupleIJPjSE_EEENSF_IJSE_SE_EEES9_SG_JZNS1_25segmented_radix_sort_implINS0_14default_configELb0EPKhPhPKlPlN2at6native12_GLOBAL__N_18offset_tEEE10hipError_tPvRmT1_PNSt15iterator_traitsISY_E10value_typeET2_T3_PNSZ_IS14_E10value_typeET4_jRbjT5_S1A_jjP12ihipStream_tbEUljE_EEESV_SW_SX_S14_S18_S1A_T6_T7_T9_mT8_S1C_bDpT10_ENKUlT_T0_E_clISt17integral_constantIbLb1EES1P_EEDaS1K_S1L_EUlS1K_E_NS1_11comp_targetILNS1_3genE4ELNS1_11target_archE910ELNS1_3gpuE8ELNS1_3repE0EEENS1_30default_config_static_selectorELNS0_4arch9wavefront6targetE0EEEvSY_.num_named_barrier, 0
	.set _ZN7rocprim17ROCPRIM_400000_NS6detail17trampoline_kernelINS0_13select_configILj256ELj13ELNS0_17block_load_methodE3ELS4_3ELS4_3ELNS0_20block_scan_algorithmE0ELj4294967295EEENS1_25partition_config_selectorILNS1_17partition_subalgoE3EjNS0_10empty_typeEbEEZZNS1_14partition_implILS8_3ELb0ES6_jNS0_17counting_iteratorIjlEEPS9_SE_NS0_5tupleIJPjSE_EEENSF_IJSE_SE_EEES9_SG_JZNS1_25segmented_radix_sort_implINS0_14default_configELb0EPKhPhPKlPlN2at6native12_GLOBAL__N_18offset_tEEE10hipError_tPvRmT1_PNSt15iterator_traitsISY_E10value_typeET2_T3_PNSZ_IS14_E10value_typeET4_jRbjT5_S1A_jjP12ihipStream_tbEUljE_EEESV_SW_SX_S14_S18_S1A_T6_T7_T9_mT8_S1C_bDpT10_ENKUlT_T0_E_clISt17integral_constantIbLb1EES1P_EEDaS1K_S1L_EUlS1K_E_NS1_11comp_targetILNS1_3genE4ELNS1_11target_archE910ELNS1_3gpuE8ELNS1_3repE0EEENS1_30default_config_static_selectorELNS0_4arch9wavefront6targetE0EEEvSY_.private_seg_size, 0
	.set _ZN7rocprim17ROCPRIM_400000_NS6detail17trampoline_kernelINS0_13select_configILj256ELj13ELNS0_17block_load_methodE3ELS4_3ELS4_3ELNS0_20block_scan_algorithmE0ELj4294967295EEENS1_25partition_config_selectorILNS1_17partition_subalgoE3EjNS0_10empty_typeEbEEZZNS1_14partition_implILS8_3ELb0ES6_jNS0_17counting_iteratorIjlEEPS9_SE_NS0_5tupleIJPjSE_EEENSF_IJSE_SE_EEES9_SG_JZNS1_25segmented_radix_sort_implINS0_14default_configELb0EPKhPhPKlPlN2at6native12_GLOBAL__N_18offset_tEEE10hipError_tPvRmT1_PNSt15iterator_traitsISY_E10value_typeET2_T3_PNSZ_IS14_E10value_typeET4_jRbjT5_S1A_jjP12ihipStream_tbEUljE_EEESV_SW_SX_S14_S18_S1A_T6_T7_T9_mT8_S1C_bDpT10_ENKUlT_T0_E_clISt17integral_constantIbLb1EES1P_EEDaS1K_S1L_EUlS1K_E_NS1_11comp_targetILNS1_3genE4ELNS1_11target_archE910ELNS1_3gpuE8ELNS1_3repE0EEENS1_30default_config_static_selectorELNS0_4arch9wavefront6targetE0EEEvSY_.uses_vcc, 0
	.set _ZN7rocprim17ROCPRIM_400000_NS6detail17trampoline_kernelINS0_13select_configILj256ELj13ELNS0_17block_load_methodE3ELS4_3ELS4_3ELNS0_20block_scan_algorithmE0ELj4294967295EEENS1_25partition_config_selectorILNS1_17partition_subalgoE3EjNS0_10empty_typeEbEEZZNS1_14partition_implILS8_3ELb0ES6_jNS0_17counting_iteratorIjlEEPS9_SE_NS0_5tupleIJPjSE_EEENSF_IJSE_SE_EEES9_SG_JZNS1_25segmented_radix_sort_implINS0_14default_configELb0EPKhPhPKlPlN2at6native12_GLOBAL__N_18offset_tEEE10hipError_tPvRmT1_PNSt15iterator_traitsISY_E10value_typeET2_T3_PNSZ_IS14_E10value_typeET4_jRbjT5_S1A_jjP12ihipStream_tbEUljE_EEESV_SW_SX_S14_S18_S1A_T6_T7_T9_mT8_S1C_bDpT10_ENKUlT_T0_E_clISt17integral_constantIbLb1EES1P_EEDaS1K_S1L_EUlS1K_E_NS1_11comp_targetILNS1_3genE4ELNS1_11target_archE910ELNS1_3gpuE8ELNS1_3repE0EEENS1_30default_config_static_selectorELNS0_4arch9wavefront6targetE0EEEvSY_.uses_flat_scratch, 0
	.set _ZN7rocprim17ROCPRIM_400000_NS6detail17trampoline_kernelINS0_13select_configILj256ELj13ELNS0_17block_load_methodE3ELS4_3ELS4_3ELNS0_20block_scan_algorithmE0ELj4294967295EEENS1_25partition_config_selectorILNS1_17partition_subalgoE3EjNS0_10empty_typeEbEEZZNS1_14partition_implILS8_3ELb0ES6_jNS0_17counting_iteratorIjlEEPS9_SE_NS0_5tupleIJPjSE_EEENSF_IJSE_SE_EEES9_SG_JZNS1_25segmented_radix_sort_implINS0_14default_configELb0EPKhPhPKlPlN2at6native12_GLOBAL__N_18offset_tEEE10hipError_tPvRmT1_PNSt15iterator_traitsISY_E10value_typeET2_T3_PNSZ_IS14_E10value_typeET4_jRbjT5_S1A_jjP12ihipStream_tbEUljE_EEESV_SW_SX_S14_S18_S1A_T6_T7_T9_mT8_S1C_bDpT10_ENKUlT_T0_E_clISt17integral_constantIbLb1EES1P_EEDaS1K_S1L_EUlS1K_E_NS1_11comp_targetILNS1_3genE4ELNS1_11target_archE910ELNS1_3gpuE8ELNS1_3repE0EEENS1_30default_config_static_selectorELNS0_4arch9wavefront6targetE0EEEvSY_.has_dyn_sized_stack, 0
	.set _ZN7rocprim17ROCPRIM_400000_NS6detail17trampoline_kernelINS0_13select_configILj256ELj13ELNS0_17block_load_methodE3ELS4_3ELS4_3ELNS0_20block_scan_algorithmE0ELj4294967295EEENS1_25partition_config_selectorILNS1_17partition_subalgoE3EjNS0_10empty_typeEbEEZZNS1_14partition_implILS8_3ELb0ES6_jNS0_17counting_iteratorIjlEEPS9_SE_NS0_5tupleIJPjSE_EEENSF_IJSE_SE_EEES9_SG_JZNS1_25segmented_radix_sort_implINS0_14default_configELb0EPKhPhPKlPlN2at6native12_GLOBAL__N_18offset_tEEE10hipError_tPvRmT1_PNSt15iterator_traitsISY_E10value_typeET2_T3_PNSZ_IS14_E10value_typeET4_jRbjT5_S1A_jjP12ihipStream_tbEUljE_EEESV_SW_SX_S14_S18_S1A_T6_T7_T9_mT8_S1C_bDpT10_ENKUlT_T0_E_clISt17integral_constantIbLb1EES1P_EEDaS1K_S1L_EUlS1K_E_NS1_11comp_targetILNS1_3genE4ELNS1_11target_archE910ELNS1_3gpuE8ELNS1_3repE0EEENS1_30default_config_static_selectorELNS0_4arch9wavefront6targetE0EEEvSY_.has_recursion, 0
	.set _ZN7rocprim17ROCPRIM_400000_NS6detail17trampoline_kernelINS0_13select_configILj256ELj13ELNS0_17block_load_methodE3ELS4_3ELS4_3ELNS0_20block_scan_algorithmE0ELj4294967295EEENS1_25partition_config_selectorILNS1_17partition_subalgoE3EjNS0_10empty_typeEbEEZZNS1_14partition_implILS8_3ELb0ES6_jNS0_17counting_iteratorIjlEEPS9_SE_NS0_5tupleIJPjSE_EEENSF_IJSE_SE_EEES9_SG_JZNS1_25segmented_radix_sort_implINS0_14default_configELb0EPKhPhPKlPlN2at6native12_GLOBAL__N_18offset_tEEE10hipError_tPvRmT1_PNSt15iterator_traitsISY_E10value_typeET2_T3_PNSZ_IS14_E10value_typeET4_jRbjT5_S1A_jjP12ihipStream_tbEUljE_EEESV_SW_SX_S14_S18_S1A_T6_T7_T9_mT8_S1C_bDpT10_ENKUlT_T0_E_clISt17integral_constantIbLb1EES1P_EEDaS1K_S1L_EUlS1K_E_NS1_11comp_targetILNS1_3genE4ELNS1_11target_archE910ELNS1_3gpuE8ELNS1_3repE0EEENS1_30default_config_static_selectorELNS0_4arch9wavefront6targetE0EEEvSY_.has_indirect_call, 0
	.section	.AMDGPU.csdata,"",@progbits
; Kernel info:
; codeLenInByte = 0
; TotalNumSgprs: 0
; NumVgprs: 0
; ScratchSize: 0
; MemoryBound: 0
; FloatMode: 240
; IeeeMode: 1
; LDSByteSize: 0 bytes/workgroup (compile time only)
; SGPRBlocks: 0
; VGPRBlocks: 0
; NumSGPRsForWavesPerEU: 1
; NumVGPRsForWavesPerEU: 1
; NamedBarCnt: 0
; Occupancy: 16
; WaveLimiterHint : 0
; COMPUTE_PGM_RSRC2:SCRATCH_EN: 0
; COMPUTE_PGM_RSRC2:USER_SGPR: 2
; COMPUTE_PGM_RSRC2:TRAP_HANDLER: 0
; COMPUTE_PGM_RSRC2:TGID_X_EN: 1
; COMPUTE_PGM_RSRC2:TGID_Y_EN: 0
; COMPUTE_PGM_RSRC2:TGID_Z_EN: 0
; COMPUTE_PGM_RSRC2:TIDIG_COMP_CNT: 0
	.section	.text._ZN7rocprim17ROCPRIM_400000_NS6detail17trampoline_kernelINS0_13select_configILj256ELj13ELNS0_17block_load_methodE3ELS4_3ELS4_3ELNS0_20block_scan_algorithmE0ELj4294967295EEENS1_25partition_config_selectorILNS1_17partition_subalgoE3EjNS0_10empty_typeEbEEZZNS1_14partition_implILS8_3ELb0ES6_jNS0_17counting_iteratorIjlEEPS9_SE_NS0_5tupleIJPjSE_EEENSF_IJSE_SE_EEES9_SG_JZNS1_25segmented_radix_sort_implINS0_14default_configELb0EPKhPhPKlPlN2at6native12_GLOBAL__N_18offset_tEEE10hipError_tPvRmT1_PNSt15iterator_traitsISY_E10value_typeET2_T3_PNSZ_IS14_E10value_typeET4_jRbjT5_S1A_jjP12ihipStream_tbEUljE_EEESV_SW_SX_S14_S18_S1A_T6_T7_T9_mT8_S1C_bDpT10_ENKUlT_T0_E_clISt17integral_constantIbLb1EES1P_EEDaS1K_S1L_EUlS1K_E_NS1_11comp_targetILNS1_3genE3ELNS1_11target_archE908ELNS1_3gpuE7ELNS1_3repE0EEENS1_30default_config_static_selectorELNS0_4arch9wavefront6targetE0EEEvSY_,"axG",@progbits,_ZN7rocprim17ROCPRIM_400000_NS6detail17trampoline_kernelINS0_13select_configILj256ELj13ELNS0_17block_load_methodE3ELS4_3ELS4_3ELNS0_20block_scan_algorithmE0ELj4294967295EEENS1_25partition_config_selectorILNS1_17partition_subalgoE3EjNS0_10empty_typeEbEEZZNS1_14partition_implILS8_3ELb0ES6_jNS0_17counting_iteratorIjlEEPS9_SE_NS0_5tupleIJPjSE_EEENSF_IJSE_SE_EEES9_SG_JZNS1_25segmented_radix_sort_implINS0_14default_configELb0EPKhPhPKlPlN2at6native12_GLOBAL__N_18offset_tEEE10hipError_tPvRmT1_PNSt15iterator_traitsISY_E10value_typeET2_T3_PNSZ_IS14_E10value_typeET4_jRbjT5_S1A_jjP12ihipStream_tbEUljE_EEESV_SW_SX_S14_S18_S1A_T6_T7_T9_mT8_S1C_bDpT10_ENKUlT_T0_E_clISt17integral_constantIbLb1EES1P_EEDaS1K_S1L_EUlS1K_E_NS1_11comp_targetILNS1_3genE3ELNS1_11target_archE908ELNS1_3gpuE7ELNS1_3repE0EEENS1_30default_config_static_selectorELNS0_4arch9wavefront6targetE0EEEvSY_,comdat
	.globl	_ZN7rocprim17ROCPRIM_400000_NS6detail17trampoline_kernelINS0_13select_configILj256ELj13ELNS0_17block_load_methodE3ELS4_3ELS4_3ELNS0_20block_scan_algorithmE0ELj4294967295EEENS1_25partition_config_selectorILNS1_17partition_subalgoE3EjNS0_10empty_typeEbEEZZNS1_14partition_implILS8_3ELb0ES6_jNS0_17counting_iteratorIjlEEPS9_SE_NS0_5tupleIJPjSE_EEENSF_IJSE_SE_EEES9_SG_JZNS1_25segmented_radix_sort_implINS0_14default_configELb0EPKhPhPKlPlN2at6native12_GLOBAL__N_18offset_tEEE10hipError_tPvRmT1_PNSt15iterator_traitsISY_E10value_typeET2_T3_PNSZ_IS14_E10value_typeET4_jRbjT5_S1A_jjP12ihipStream_tbEUljE_EEESV_SW_SX_S14_S18_S1A_T6_T7_T9_mT8_S1C_bDpT10_ENKUlT_T0_E_clISt17integral_constantIbLb1EES1P_EEDaS1K_S1L_EUlS1K_E_NS1_11comp_targetILNS1_3genE3ELNS1_11target_archE908ELNS1_3gpuE7ELNS1_3repE0EEENS1_30default_config_static_selectorELNS0_4arch9wavefront6targetE0EEEvSY_ ; -- Begin function _ZN7rocprim17ROCPRIM_400000_NS6detail17trampoline_kernelINS0_13select_configILj256ELj13ELNS0_17block_load_methodE3ELS4_3ELS4_3ELNS0_20block_scan_algorithmE0ELj4294967295EEENS1_25partition_config_selectorILNS1_17partition_subalgoE3EjNS0_10empty_typeEbEEZZNS1_14partition_implILS8_3ELb0ES6_jNS0_17counting_iteratorIjlEEPS9_SE_NS0_5tupleIJPjSE_EEENSF_IJSE_SE_EEES9_SG_JZNS1_25segmented_radix_sort_implINS0_14default_configELb0EPKhPhPKlPlN2at6native12_GLOBAL__N_18offset_tEEE10hipError_tPvRmT1_PNSt15iterator_traitsISY_E10value_typeET2_T3_PNSZ_IS14_E10value_typeET4_jRbjT5_S1A_jjP12ihipStream_tbEUljE_EEESV_SW_SX_S14_S18_S1A_T6_T7_T9_mT8_S1C_bDpT10_ENKUlT_T0_E_clISt17integral_constantIbLb1EES1P_EEDaS1K_S1L_EUlS1K_E_NS1_11comp_targetILNS1_3genE3ELNS1_11target_archE908ELNS1_3gpuE7ELNS1_3repE0EEENS1_30default_config_static_selectorELNS0_4arch9wavefront6targetE0EEEvSY_
	.p2align	8
	.type	_ZN7rocprim17ROCPRIM_400000_NS6detail17trampoline_kernelINS0_13select_configILj256ELj13ELNS0_17block_load_methodE3ELS4_3ELS4_3ELNS0_20block_scan_algorithmE0ELj4294967295EEENS1_25partition_config_selectorILNS1_17partition_subalgoE3EjNS0_10empty_typeEbEEZZNS1_14partition_implILS8_3ELb0ES6_jNS0_17counting_iteratorIjlEEPS9_SE_NS0_5tupleIJPjSE_EEENSF_IJSE_SE_EEES9_SG_JZNS1_25segmented_radix_sort_implINS0_14default_configELb0EPKhPhPKlPlN2at6native12_GLOBAL__N_18offset_tEEE10hipError_tPvRmT1_PNSt15iterator_traitsISY_E10value_typeET2_T3_PNSZ_IS14_E10value_typeET4_jRbjT5_S1A_jjP12ihipStream_tbEUljE_EEESV_SW_SX_S14_S18_S1A_T6_T7_T9_mT8_S1C_bDpT10_ENKUlT_T0_E_clISt17integral_constantIbLb1EES1P_EEDaS1K_S1L_EUlS1K_E_NS1_11comp_targetILNS1_3genE3ELNS1_11target_archE908ELNS1_3gpuE7ELNS1_3repE0EEENS1_30default_config_static_selectorELNS0_4arch9wavefront6targetE0EEEvSY_,@function
_ZN7rocprim17ROCPRIM_400000_NS6detail17trampoline_kernelINS0_13select_configILj256ELj13ELNS0_17block_load_methodE3ELS4_3ELS4_3ELNS0_20block_scan_algorithmE0ELj4294967295EEENS1_25partition_config_selectorILNS1_17partition_subalgoE3EjNS0_10empty_typeEbEEZZNS1_14partition_implILS8_3ELb0ES6_jNS0_17counting_iteratorIjlEEPS9_SE_NS0_5tupleIJPjSE_EEENSF_IJSE_SE_EEES9_SG_JZNS1_25segmented_radix_sort_implINS0_14default_configELb0EPKhPhPKlPlN2at6native12_GLOBAL__N_18offset_tEEE10hipError_tPvRmT1_PNSt15iterator_traitsISY_E10value_typeET2_T3_PNSZ_IS14_E10value_typeET4_jRbjT5_S1A_jjP12ihipStream_tbEUljE_EEESV_SW_SX_S14_S18_S1A_T6_T7_T9_mT8_S1C_bDpT10_ENKUlT_T0_E_clISt17integral_constantIbLb1EES1P_EEDaS1K_S1L_EUlS1K_E_NS1_11comp_targetILNS1_3genE3ELNS1_11target_archE908ELNS1_3gpuE7ELNS1_3repE0EEENS1_30default_config_static_selectorELNS0_4arch9wavefront6targetE0EEEvSY_: ; @_ZN7rocprim17ROCPRIM_400000_NS6detail17trampoline_kernelINS0_13select_configILj256ELj13ELNS0_17block_load_methodE3ELS4_3ELS4_3ELNS0_20block_scan_algorithmE0ELj4294967295EEENS1_25partition_config_selectorILNS1_17partition_subalgoE3EjNS0_10empty_typeEbEEZZNS1_14partition_implILS8_3ELb0ES6_jNS0_17counting_iteratorIjlEEPS9_SE_NS0_5tupleIJPjSE_EEENSF_IJSE_SE_EEES9_SG_JZNS1_25segmented_radix_sort_implINS0_14default_configELb0EPKhPhPKlPlN2at6native12_GLOBAL__N_18offset_tEEE10hipError_tPvRmT1_PNSt15iterator_traitsISY_E10value_typeET2_T3_PNSZ_IS14_E10value_typeET4_jRbjT5_S1A_jjP12ihipStream_tbEUljE_EEESV_SW_SX_S14_S18_S1A_T6_T7_T9_mT8_S1C_bDpT10_ENKUlT_T0_E_clISt17integral_constantIbLb1EES1P_EEDaS1K_S1L_EUlS1K_E_NS1_11comp_targetILNS1_3genE3ELNS1_11target_archE908ELNS1_3gpuE7ELNS1_3repE0EEENS1_30default_config_static_selectorELNS0_4arch9wavefront6targetE0EEEvSY_
; %bb.0:
	.section	.rodata,"a",@progbits
	.p2align	6, 0x0
	.amdhsa_kernel _ZN7rocprim17ROCPRIM_400000_NS6detail17trampoline_kernelINS0_13select_configILj256ELj13ELNS0_17block_load_methodE3ELS4_3ELS4_3ELNS0_20block_scan_algorithmE0ELj4294967295EEENS1_25partition_config_selectorILNS1_17partition_subalgoE3EjNS0_10empty_typeEbEEZZNS1_14partition_implILS8_3ELb0ES6_jNS0_17counting_iteratorIjlEEPS9_SE_NS0_5tupleIJPjSE_EEENSF_IJSE_SE_EEES9_SG_JZNS1_25segmented_radix_sort_implINS0_14default_configELb0EPKhPhPKlPlN2at6native12_GLOBAL__N_18offset_tEEE10hipError_tPvRmT1_PNSt15iterator_traitsISY_E10value_typeET2_T3_PNSZ_IS14_E10value_typeET4_jRbjT5_S1A_jjP12ihipStream_tbEUljE_EEESV_SW_SX_S14_S18_S1A_T6_T7_T9_mT8_S1C_bDpT10_ENKUlT_T0_E_clISt17integral_constantIbLb1EES1P_EEDaS1K_S1L_EUlS1K_E_NS1_11comp_targetILNS1_3genE3ELNS1_11target_archE908ELNS1_3gpuE7ELNS1_3repE0EEENS1_30default_config_static_selectorELNS0_4arch9wavefront6targetE0EEEvSY_
		.amdhsa_group_segment_fixed_size 0
		.amdhsa_private_segment_fixed_size 0
		.amdhsa_kernarg_size 152
		.amdhsa_user_sgpr_count 2
		.amdhsa_user_sgpr_dispatch_ptr 0
		.amdhsa_user_sgpr_queue_ptr 0
		.amdhsa_user_sgpr_kernarg_segment_ptr 1
		.amdhsa_user_sgpr_dispatch_id 0
		.amdhsa_user_sgpr_kernarg_preload_length 0
		.amdhsa_user_sgpr_kernarg_preload_offset 0
		.amdhsa_user_sgpr_private_segment_size 0
		.amdhsa_wavefront_size32 1
		.amdhsa_uses_dynamic_stack 0
		.amdhsa_enable_private_segment 0
		.amdhsa_system_sgpr_workgroup_id_x 1
		.amdhsa_system_sgpr_workgroup_id_y 0
		.amdhsa_system_sgpr_workgroup_id_z 0
		.amdhsa_system_sgpr_workgroup_info 0
		.amdhsa_system_vgpr_workitem_id 0
		.amdhsa_next_free_vgpr 1
		.amdhsa_next_free_sgpr 1
		.amdhsa_named_barrier_count 0
		.amdhsa_reserve_vcc 0
		.amdhsa_float_round_mode_32 0
		.amdhsa_float_round_mode_16_64 0
		.amdhsa_float_denorm_mode_32 3
		.amdhsa_float_denorm_mode_16_64 3
		.amdhsa_fp16_overflow 0
		.amdhsa_memory_ordered 1
		.amdhsa_forward_progress 1
		.amdhsa_inst_pref_size 0
		.amdhsa_round_robin_scheduling 0
		.amdhsa_exception_fp_ieee_invalid_op 0
		.amdhsa_exception_fp_denorm_src 0
		.amdhsa_exception_fp_ieee_div_zero 0
		.amdhsa_exception_fp_ieee_overflow 0
		.amdhsa_exception_fp_ieee_underflow 0
		.amdhsa_exception_fp_ieee_inexact 0
		.amdhsa_exception_int_div_zero 0
	.end_amdhsa_kernel
	.section	.text._ZN7rocprim17ROCPRIM_400000_NS6detail17trampoline_kernelINS0_13select_configILj256ELj13ELNS0_17block_load_methodE3ELS4_3ELS4_3ELNS0_20block_scan_algorithmE0ELj4294967295EEENS1_25partition_config_selectorILNS1_17partition_subalgoE3EjNS0_10empty_typeEbEEZZNS1_14partition_implILS8_3ELb0ES6_jNS0_17counting_iteratorIjlEEPS9_SE_NS0_5tupleIJPjSE_EEENSF_IJSE_SE_EEES9_SG_JZNS1_25segmented_radix_sort_implINS0_14default_configELb0EPKhPhPKlPlN2at6native12_GLOBAL__N_18offset_tEEE10hipError_tPvRmT1_PNSt15iterator_traitsISY_E10value_typeET2_T3_PNSZ_IS14_E10value_typeET4_jRbjT5_S1A_jjP12ihipStream_tbEUljE_EEESV_SW_SX_S14_S18_S1A_T6_T7_T9_mT8_S1C_bDpT10_ENKUlT_T0_E_clISt17integral_constantIbLb1EES1P_EEDaS1K_S1L_EUlS1K_E_NS1_11comp_targetILNS1_3genE3ELNS1_11target_archE908ELNS1_3gpuE7ELNS1_3repE0EEENS1_30default_config_static_selectorELNS0_4arch9wavefront6targetE0EEEvSY_,"axG",@progbits,_ZN7rocprim17ROCPRIM_400000_NS6detail17trampoline_kernelINS0_13select_configILj256ELj13ELNS0_17block_load_methodE3ELS4_3ELS4_3ELNS0_20block_scan_algorithmE0ELj4294967295EEENS1_25partition_config_selectorILNS1_17partition_subalgoE3EjNS0_10empty_typeEbEEZZNS1_14partition_implILS8_3ELb0ES6_jNS0_17counting_iteratorIjlEEPS9_SE_NS0_5tupleIJPjSE_EEENSF_IJSE_SE_EEES9_SG_JZNS1_25segmented_radix_sort_implINS0_14default_configELb0EPKhPhPKlPlN2at6native12_GLOBAL__N_18offset_tEEE10hipError_tPvRmT1_PNSt15iterator_traitsISY_E10value_typeET2_T3_PNSZ_IS14_E10value_typeET4_jRbjT5_S1A_jjP12ihipStream_tbEUljE_EEESV_SW_SX_S14_S18_S1A_T6_T7_T9_mT8_S1C_bDpT10_ENKUlT_T0_E_clISt17integral_constantIbLb1EES1P_EEDaS1K_S1L_EUlS1K_E_NS1_11comp_targetILNS1_3genE3ELNS1_11target_archE908ELNS1_3gpuE7ELNS1_3repE0EEENS1_30default_config_static_selectorELNS0_4arch9wavefront6targetE0EEEvSY_,comdat
.Lfunc_end164:
	.size	_ZN7rocprim17ROCPRIM_400000_NS6detail17trampoline_kernelINS0_13select_configILj256ELj13ELNS0_17block_load_methodE3ELS4_3ELS4_3ELNS0_20block_scan_algorithmE0ELj4294967295EEENS1_25partition_config_selectorILNS1_17partition_subalgoE3EjNS0_10empty_typeEbEEZZNS1_14partition_implILS8_3ELb0ES6_jNS0_17counting_iteratorIjlEEPS9_SE_NS0_5tupleIJPjSE_EEENSF_IJSE_SE_EEES9_SG_JZNS1_25segmented_radix_sort_implINS0_14default_configELb0EPKhPhPKlPlN2at6native12_GLOBAL__N_18offset_tEEE10hipError_tPvRmT1_PNSt15iterator_traitsISY_E10value_typeET2_T3_PNSZ_IS14_E10value_typeET4_jRbjT5_S1A_jjP12ihipStream_tbEUljE_EEESV_SW_SX_S14_S18_S1A_T6_T7_T9_mT8_S1C_bDpT10_ENKUlT_T0_E_clISt17integral_constantIbLb1EES1P_EEDaS1K_S1L_EUlS1K_E_NS1_11comp_targetILNS1_3genE3ELNS1_11target_archE908ELNS1_3gpuE7ELNS1_3repE0EEENS1_30default_config_static_selectorELNS0_4arch9wavefront6targetE0EEEvSY_, .Lfunc_end164-_ZN7rocprim17ROCPRIM_400000_NS6detail17trampoline_kernelINS0_13select_configILj256ELj13ELNS0_17block_load_methodE3ELS4_3ELS4_3ELNS0_20block_scan_algorithmE0ELj4294967295EEENS1_25partition_config_selectorILNS1_17partition_subalgoE3EjNS0_10empty_typeEbEEZZNS1_14partition_implILS8_3ELb0ES6_jNS0_17counting_iteratorIjlEEPS9_SE_NS0_5tupleIJPjSE_EEENSF_IJSE_SE_EEES9_SG_JZNS1_25segmented_radix_sort_implINS0_14default_configELb0EPKhPhPKlPlN2at6native12_GLOBAL__N_18offset_tEEE10hipError_tPvRmT1_PNSt15iterator_traitsISY_E10value_typeET2_T3_PNSZ_IS14_E10value_typeET4_jRbjT5_S1A_jjP12ihipStream_tbEUljE_EEESV_SW_SX_S14_S18_S1A_T6_T7_T9_mT8_S1C_bDpT10_ENKUlT_T0_E_clISt17integral_constantIbLb1EES1P_EEDaS1K_S1L_EUlS1K_E_NS1_11comp_targetILNS1_3genE3ELNS1_11target_archE908ELNS1_3gpuE7ELNS1_3repE0EEENS1_30default_config_static_selectorELNS0_4arch9wavefront6targetE0EEEvSY_
                                        ; -- End function
	.set _ZN7rocprim17ROCPRIM_400000_NS6detail17trampoline_kernelINS0_13select_configILj256ELj13ELNS0_17block_load_methodE3ELS4_3ELS4_3ELNS0_20block_scan_algorithmE0ELj4294967295EEENS1_25partition_config_selectorILNS1_17partition_subalgoE3EjNS0_10empty_typeEbEEZZNS1_14partition_implILS8_3ELb0ES6_jNS0_17counting_iteratorIjlEEPS9_SE_NS0_5tupleIJPjSE_EEENSF_IJSE_SE_EEES9_SG_JZNS1_25segmented_radix_sort_implINS0_14default_configELb0EPKhPhPKlPlN2at6native12_GLOBAL__N_18offset_tEEE10hipError_tPvRmT1_PNSt15iterator_traitsISY_E10value_typeET2_T3_PNSZ_IS14_E10value_typeET4_jRbjT5_S1A_jjP12ihipStream_tbEUljE_EEESV_SW_SX_S14_S18_S1A_T6_T7_T9_mT8_S1C_bDpT10_ENKUlT_T0_E_clISt17integral_constantIbLb1EES1P_EEDaS1K_S1L_EUlS1K_E_NS1_11comp_targetILNS1_3genE3ELNS1_11target_archE908ELNS1_3gpuE7ELNS1_3repE0EEENS1_30default_config_static_selectorELNS0_4arch9wavefront6targetE0EEEvSY_.num_vgpr, 0
	.set _ZN7rocprim17ROCPRIM_400000_NS6detail17trampoline_kernelINS0_13select_configILj256ELj13ELNS0_17block_load_methodE3ELS4_3ELS4_3ELNS0_20block_scan_algorithmE0ELj4294967295EEENS1_25partition_config_selectorILNS1_17partition_subalgoE3EjNS0_10empty_typeEbEEZZNS1_14partition_implILS8_3ELb0ES6_jNS0_17counting_iteratorIjlEEPS9_SE_NS0_5tupleIJPjSE_EEENSF_IJSE_SE_EEES9_SG_JZNS1_25segmented_radix_sort_implINS0_14default_configELb0EPKhPhPKlPlN2at6native12_GLOBAL__N_18offset_tEEE10hipError_tPvRmT1_PNSt15iterator_traitsISY_E10value_typeET2_T3_PNSZ_IS14_E10value_typeET4_jRbjT5_S1A_jjP12ihipStream_tbEUljE_EEESV_SW_SX_S14_S18_S1A_T6_T7_T9_mT8_S1C_bDpT10_ENKUlT_T0_E_clISt17integral_constantIbLb1EES1P_EEDaS1K_S1L_EUlS1K_E_NS1_11comp_targetILNS1_3genE3ELNS1_11target_archE908ELNS1_3gpuE7ELNS1_3repE0EEENS1_30default_config_static_selectorELNS0_4arch9wavefront6targetE0EEEvSY_.num_agpr, 0
	.set _ZN7rocprim17ROCPRIM_400000_NS6detail17trampoline_kernelINS0_13select_configILj256ELj13ELNS0_17block_load_methodE3ELS4_3ELS4_3ELNS0_20block_scan_algorithmE0ELj4294967295EEENS1_25partition_config_selectorILNS1_17partition_subalgoE3EjNS0_10empty_typeEbEEZZNS1_14partition_implILS8_3ELb0ES6_jNS0_17counting_iteratorIjlEEPS9_SE_NS0_5tupleIJPjSE_EEENSF_IJSE_SE_EEES9_SG_JZNS1_25segmented_radix_sort_implINS0_14default_configELb0EPKhPhPKlPlN2at6native12_GLOBAL__N_18offset_tEEE10hipError_tPvRmT1_PNSt15iterator_traitsISY_E10value_typeET2_T3_PNSZ_IS14_E10value_typeET4_jRbjT5_S1A_jjP12ihipStream_tbEUljE_EEESV_SW_SX_S14_S18_S1A_T6_T7_T9_mT8_S1C_bDpT10_ENKUlT_T0_E_clISt17integral_constantIbLb1EES1P_EEDaS1K_S1L_EUlS1K_E_NS1_11comp_targetILNS1_3genE3ELNS1_11target_archE908ELNS1_3gpuE7ELNS1_3repE0EEENS1_30default_config_static_selectorELNS0_4arch9wavefront6targetE0EEEvSY_.numbered_sgpr, 0
	.set _ZN7rocprim17ROCPRIM_400000_NS6detail17trampoline_kernelINS0_13select_configILj256ELj13ELNS0_17block_load_methodE3ELS4_3ELS4_3ELNS0_20block_scan_algorithmE0ELj4294967295EEENS1_25partition_config_selectorILNS1_17partition_subalgoE3EjNS0_10empty_typeEbEEZZNS1_14partition_implILS8_3ELb0ES6_jNS0_17counting_iteratorIjlEEPS9_SE_NS0_5tupleIJPjSE_EEENSF_IJSE_SE_EEES9_SG_JZNS1_25segmented_radix_sort_implINS0_14default_configELb0EPKhPhPKlPlN2at6native12_GLOBAL__N_18offset_tEEE10hipError_tPvRmT1_PNSt15iterator_traitsISY_E10value_typeET2_T3_PNSZ_IS14_E10value_typeET4_jRbjT5_S1A_jjP12ihipStream_tbEUljE_EEESV_SW_SX_S14_S18_S1A_T6_T7_T9_mT8_S1C_bDpT10_ENKUlT_T0_E_clISt17integral_constantIbLb1EES1P_EEDaS1K_S1L_EUlS1K_E_NS1_11comp_targetILNS1_3genE3ELNS1_11target_archE908ELNS1_3gpuE7ELNS1_3repE0EEENS1_30default_config_static_selectorELNS0_4arch9wavefront6targetE0EEEvSY_.num_named_barrier, 0
	.set _ZN7rocprim17ROCPRIM_400000_NS6detail17trampoline_kernelINS0_13select_configILj256ELj13ELNS0_17block_load_methodE3ELS4_3ELS4_3ELNS0_20block_scan_algorithmE0ELj4294967295EEENS1_25partition_config_selectorILNS1_17partition_subalgoE3EjNS0_10empty_typeEbEEZZNS1_14partition_implILS8_3ELb0ES6_jNS0_17counting_iteratorIjlEEPS9_SE_NS0_5tupleIJPjSE_EEENSF_IJSE_SE_EEES9_SG_JZNS1_25segmented_radix_sort_implINS0_14default_configELb0EPKhPhPKlPlN2at6native12_GLOBAL__N_18offset_tEEE10hipError_tPvRmT1_PNSt15iterator_traitsISY_E10value_typeET2_T3_PNSZ_IS14_E10value_typeET4_jRbjT5_S1A_jjP12ihipStream_tbEUljE_EEESV_SW_SX_S14_S18_S1A_T6_T7_T9_mT8_S1C_bDpT10_ENKUlT_T0_E_clISt17integral_constantIbLb1EES1P_EEDaS1K_S1L_EUlS1K_E_NS1_11comp_targetILNS1_3genE3ELNS1_11target_archE908ELNS1_3gpuE7ELNS1_3repE0EEENS1_30default_config_static_selectorELNS0_4arch9wavefront6targetE0EEEvSY_.private_seg_size, 0
	.set _ZN7rocprim17ROCPRIM_400000_NS6detail17trampoline_kernelINS0_13select_configILj256ELj13ELNS0_17block_load_methodE3ELS4_3ELS4_3ELNS0_20block_scan_algorithmE0ELj4294967295EEENS1_25partition_config_selectorILNS1_17partition_subalgoE3EjNS0_10empty_typeEbEEZZNS1_14partition_implILS8_3ELb0ES6_jNS0_17counting_iteratorIjlEEPS9_SE_NS0_5tupleIJPjSE_EEENSF_IJSE_SE_EEES9_SG_JZNS1_25segmented_radix_sort_implINS0_14default_configELb0EPKhPhPKlPlN2at6native12_GLOBAL__N_18offset_tEEE10hipError_tPvRmT1_PNSt15iterator_traitsISY_E10value_typeET2_T3_PNSZ_IS14_E10value_typeET4_jRbjT5_S1A_jjP12ihipStream_tbEUljE_EEESV_SW_SX_S14_S18_S1A_T6_T7_T9_mT8_S1C_bDpT10_ENKUlT_T0_E_clISt17integral_constantIbLb1EES1P_EEDaS1K_S1L_EUlS1K_E_NS1_11comp_targetILNS1_3genE3ELNS1_11target_archE908ELNS1_3gpuE7ELNS1_3repE0EEENS1_30default_config_static_selectorELNS0_4arch9wavefront6targetE0EEEvSY_.uses_vcc, 0
	.set _ZN7rocprim17ROCPRIM_400000_NS6detail17trampoline_kernelINS0_13select_configILj256ELj13ELNS0_17block_load_methodE3ELS4_3ELS4_3ELNS0_20block_scan_algorithmE0ELj4294967295EEENS1_25partition_config_selectorILNS1_17partition_subalgoE3EjNS0_10empty_typeEbEEZZNS1_14partition_implILS8_3ELb0ES6_jNS0_17counting_iteratorIjlEEPS9_SE_NS0_5tupleIJPjSE_EEENSF_IJSE_SE_EEES9_SG_JZNS1_25segmented_radix_sort_implINS0_14default_configELb0EPKhPhPKlPlN2at6native12_GLOBAL__N_18offset_tEEE10hipError_tPvRmT1_PNSt15iterator_traitsISY_E10value_typeET2_T3_PNSZ_IS14_E10value_typeET4_jRbjT5_S1A_jjP12ihipStream_tbEUljE_EEESV_SW_SX_S14_S18_S1A_T6_T7_T9_mT8_S1C_bDpT10_ENKUlT_T0_E_clISt17integral_constantIbLb1EES1P_EEDaS1K_S1L_EUlS1K_E_NS1_11comp_targetILNS1_3genE3ELNS1_11target_archE908ELNS1_3gpuE7ELNS1_3repE0EEENS1_30default_config_static_selectorELNS0_4arch9wavefront6targetE0EEEvSY_.uses_flat_scratch, 0
	.set _ZN7rocprim17ROCPRIM_400000_NS6detail17trampoline_kernelINS0_13select_configILj256ELj13ELNS0_17block_load_methodE3ELS4_3ELS4_3ELNS0_20block_scan_algorithmE0ELj4294967295EEENS1_25partition_config_selectorILNS1_17partition_subalgoE3EjNS0_10empty_typeEbEEZZNS1_14partition_implILS8_3ELb0ES6_jNS0_17counting_iteratorIjlEEPS9_SE_NS0_5tupleIJPjSE_EEENSF_IJSE_SE_EEES9_SG_JZNS1_25segmented_radix_sort_implINS0_14default_configELb0EPKhPhPKlPlN2at6native12_GLOBAL__N_18offset_tEEE10hipError_tPvRmT1_PNSt15iterator_traitsISY_E10value_typeET2_T3_PNSZ_IS14_E10value_typeET4_jRbjT5_S1A_jjP12ihipStream_tbEUljE_EEESV_SW_SX_S14_S18_S1A_T6_T7_T9_mT8_S1C_bDpT10_ENKUlT_T0_E_clISt17integral_constantIbLb1EES1P_EEDaS1K_S1L_EUlS1K_E_NS1_11comp_targetILNS1_3genE3ELNS1_11target_archE908ELNS1_3gpuE7ELNS1_3repE0EEENS1_30default_config_static_selectorELNS0_4arch9wavefront6targetE0EEEvSY_.has_dyn_sized_stack, 0
	.set _ZN7rocprim17ROCPRIM_400000_NS6detail17trampoline_kernelINS0_13select_configILj256ELj13ELNS0_17block_load_methodE3ELS4_3ELS4_3ELNS0_20block_scan_algorithmE0ELj4294967295EEENS1_25partition_config_selectorILNS1_17partition_subalgoE3EjNS0_10empty_typeEbEEZZNS1_14partition_implILS8_3ELb0ES6_jNS0_17counting_iteratorIjlEEPS9_SE_NS0_5tupleIJPjSE_EEENSF_IJSE_SE_EEES9_SG_JZNS1_25segmented_radix_sort_implINS0_14default_configELb0EPKhPhPKlPlN2at6native12_GLOBAL__N_18offset_tEEE10hipError_tPvRmT1_PNSt15iterator_traitsISY_E10value_typeET2_T3_PNSZ_IS14_E10value_typeET4_jRbjT5_S1A_jjP12ihipStream_tbEUljE_EEESV_SW_SX_S14_S18_S1A_T6_T7_T9_mT8_S1C_bDpT10_ENKUlT_T0_E_clISt17integral_constantIbLb1EES1P_EEDaS1K_S1L_EUlS1K_E_NS1_11comp_targetILNS1_3genE3ELNS1_11target_archE908ELNS1_3gpuE7ELNS1_3repE0EEENS1_30default_config_static_selectorELNS0_4arch9wavefront6targetE0EEEvSY_.has_recursion, 0
	.set _ZN7rocprim17ROCPRIM_400000_NS6detail17trampoline_kernelINS0_13select_configILj256ELj13ELNS0_17block_load_methodE3ELS4_3ELS4_3ELNS0_20block_scan_algorithmE0ELj4294967295EEENS1_25partition_config_selectorILNS1_17partition_subalgoE3EjNS0_10empty_typeEbEEZZNS1_14partition_implILS8_3ELb0ES6_jNS0_17counting_iteratorIjlEEPS9_SE_NS0_5tupleIJPjSE_EEENSF_IJSE_SE_EEES9_SG_JZNS1_25segmented_radix_sort_implINS0_14default_configELb0EPKhPhPKlPlN2at6native12_GLOBAL__N_18offset_tEEE10hipError_tPvRmT1_PNSt15iterator_traitsISY_E10value_typeET2_T3_PNSZ_IS14_E10value_typeET4_jRbjT5_S1A_jjP12ihipStream_tbEUljE_EEESV_SW_SX_S14_S18_S1A_T6_T7_T9_mT8_S1C_bDpT10_ENKUlT_T0_E_clISt17integral_constantIbLb1EES1P_EEDaS1K_S1L_EUlS1K_E_NS1_11comp_targetILNS1_3genE3ELNS1_11target_archE908ELNS1_3gpuE7ELNS1_3repE0EEENS1_30default_config_static_selectorELNS0_4arch9wavefront6targetE0EEEvSY_.has_indirect_call, 0
	.section	.AMDGPU.csdata,"",@progbits
; Kernel info:
; codeLenInByte = 0
; TotalNumSgprs: 0
; NumVgprs: 0
; ScratchSize: 0
; MemoryBound: 0
; FloatMode: 240
; IeeeMode: 1
; LDSByteSize: 0 bytes/workgroup (compile time only)
; SGPRBlocks: 0
; VGPRBlocks: 0
; NumSGPRsForWavesPerEU: 1
; NumVGPRsForWavesPerEU: 1
; NamedBarCnt: 0
; Occupancy: 16
; WaveLimiterHint : 0
; COMPUTE_PGM_RSRC2:SCRATCH_EN: 0
; COMPUTE_PGM_RSRC2:USER_SGPR: 2
; COMPUTE_PGM_RSRC2:TRAP_HANDLER: 0
; COMPUTE_PGM_RSRC2:TGID_X_EN: 1
; COMPUTE_PGM_RSRC2:TGID_Y_EN: 0
; COMPUTE_PGM_RSRC2:TGID_Z_EN: 0
; COMPUTE_PGM_RSRC2:TIDIG_COMP_CNT: 0
	.section	.text._ZN7rocprim17ROCPRIM_400000_NS6detail17trampoline_kernelINS0_13select_configILj256ELj13ELNS0_17block_load_methodE3ELS4_3ELS4_3ELNS0_20block_scan_algorithmE0ELj4294967295EEENS1_25partition_config_selectorILNS1_17partition_subalgoE3EjNS0_10empty_typeEbEEZZNS1_14partition_implILS8_3ELb0ES6_jNS0_17counting_iteratorIjlEEPS9_SE_NS0_5tupleIJPjSE_EEENSF_IJSE_SE_EEES9_SG_JZNS1_25segmented_radix_sort_implINS0_14default_configELb0EPKhPhPKlPlN2at6native12_GLOBAL__N_18offset_tEEE10hipError_tPvRmT1_PNSt15iterator_traitsISY_E10value_typeET2_T3_PNSZ_IS14_E10value_typeET4_jRbjT5_S1A_jjP12ihipStream_tbEUljE_EEESV_SW_SX_S14_S18_S1A_T6_T7_T9_mT8_S1C_bDpT10_ENKUlT_T0_E_clISt17integral_constantIbLb1EES1P_EEDaS1K_S1L_EUlS1K_E_NS1_11comp_targetILNS1_3genE2ELNS1_11target_archE906ELNS1_3gpuE6ELNS1_3repE0EEENS1_30default_config_static_selectorELNS0_4arch9wavefront6targetE0EEEvSY_,"axG",@progbits,_ZN7rocprim17ROCPRIM_400000_NS6detail17trampoline_kernelINS0_13select_configILj256ELj13ELNS0_17block_load_methodE3ELS4_3ELS4_3ELNS0_20block_scan_algorithmE0ELj4294967295EEENS1_25partition_config_selectorILNS1_17partition_subalgoE3EjNS0_10empty_typeEbEEZZNS1_14partition_implILS8_3ELb0ES6_jNS0_17counting_iteratorIjlEEPS9_SE_NS0_5tupleIJPjSE_EEENSF_IJSE_SE_EEES9_SG_JZNS1_25segmented_radix_sort_implINS0_14default_configELb0EPKhPhPKlPlN2at6native12_GLOBAL__N_18offset_tEEE10hipError_tPvRmT1_PNSt15iterator_traitsISY_E10value_typeET2_T3_PNSZ_IS14_E10value_typeET4_jRbjT5_S1A_jjP12ihipStream_tbEUljE_EEESV_SW_SX_S14_S18_S1A_T6_T7_T9_mT8_S1C_bDpT10_ENKUlT_T0_E_clISt17integral_constantIbLb1EES1P_EEDaS1K_S1L_EUlS1K_E_NS1_11comp_targetILNS1_3genE2ELNS1_11target_archE906ELNS1_3gpuE6ELNS1_3repE0EEENS1_30default_config_static_selectorELNS0_4arch9wavefront6targetE0EEEvSY_,comdat
	.globl	_ZN7rocprim17ROCPRIM_400000_NS6detail17trampoline_kernelINS0_13select_configILj256ELj13ELNS0_17block_load_methodE3ELS4_3ELS4_3ELNS0_20block_scan_algorithmE0ELj4294967295EEENS1_25partition_config_selectorILNS1_17partition_subalgoE3EjNS0_10empty_typeEbEEZZNS1_14partition_implILS8_3ELb0ES6_jNS0_17counting_iteratorIjlEEPS9_SE_NS0_5tupleIJPjSE_EEENSF_IJSE_SE_EEES9_SG_JZNS1_25segmented_radix_sort_implINS0_14default_configELb0EPKhPhPKlPlN2at6native12_GLOBAL__N_18offset_tEEE10hipError_tPvRmT1_PNSt15iterator_traitsISY_E10value_typeET2_T3_PNSZ_IS14_E10value_typeET4_jRbjT5_S1A_jjP12ihipStream_tbEUljE_EEESV_SW_SX_S14_S18_S1A_T6_T7_T9_mT8_S1C_bDpT10_ENKUlT_T0_E_clISt17integral_constantIbLb1EES1P_EEDaS1K_S1L_EUlS1K_E_NS1_11comp_targetILNS1_3genE2ELNS1_11target_archE906ELNS1_3gpuE6ELNS1_3repE0EEENS1_30default_config_static_selectorELNS0_4arch9wavefront6targetE0EEEvSY_ ; -- Begin function _ZN7rocprim17ROCPRIM_400000_NS6detail17trampoline_kernelINS0_13select_configILj256ELj13ELNS0_17block_load_methodE3ELS4_3ELS4_3ELNS0_20block_scan_algorithmE0ELj4294967295EEENS1_25partition_config_selectorILNS1_17partition_subalgoE3EjNS0_10empty_typeEbEEZZNS1_14partition_implILS8_3ELb0ES6_jNS0_17counting_iteratorIjlEEPS9_SE_NS0_5tupleIJPjSE_EEENSF_IJSE_SE_EEES9_SG_JZNS1_25segmented_radix_sort_implINS0_14default_configELb0EPKhPhPKlPlN2at6native12_GLOBAL__N_18offset_tEEE10hipError_tPvRmT1_PNSt15iterator_traitsISY_E10value_typeET2_T3_PNSZ_IS14_E10value_typeET4_jRbjT5_S1A_jjP12ihipStream_tbEUljE_EEESV_SW_SX_S14_S18_S1A_T6_T7_T9_mT8_S1C_bDpT10_ENKUlT_T0_E_clISt17integral_constantIbLb1EES1P_EEDaS1K_S1L_EUlS1K_E_NS1_11comp_targetILNS1_3genE2ELNS1_11target_archE906ELNS1_3gpuE6ELNS1_3repE0EEENS1_30default_config_static_selectorELNS0_4arch9wavefront6targetE0EEEvSY_
	.p2align	8
	.type	_ZN7rocprim17ROCPRIM_400000_NS6detail17trampoline_kernelINS0_13select_configILj256ELj13ELNS0_17block_load_methodE3ELS4_3ELS4_3ELNS0_20block_scan_algorithmE0ELj4294967295EEENS1_25partition_config_selectorILNS1_17partition_subalgoE3EjNS0_10empty_typeEbEEZZNS1_14partition_implILS8_3ELb0ES6_jNS0_17counting_iteratorIjlEEPS9_SE_NS0_5tupleIJPjSE_EEENSF_IJSE_SE_EEES9_SG_JZNS1_25segmented_radix_sort_implINS0_14default_configELb0EPKhPhPKlPlN2at6native12_GLOBAL__N_18offset_tEEE10hipError_tPvRmT1_PNSt15iterator_traitsISY_E10value_typeET2_T3_PNSZ_IS14_E10value_typeET4_jRbjT5_S1A_jjP12ihipStream_tbEUljE_EEESV_SW_SX_S14_S18_S1A_T6_T7_T9_mT8_S1C_bDpT10_ENKUlT_T0_E_clISt17integral_constantIbLb1EES1P_EEDaS1K_S1L_EUlS1K_E_NS1_11comp_targetILNS1_3genE2ELNS1_11target_archE906ELNS1_3gpuE6ELNS1_3repE0EEENS1_30default_config_static_selectorELNS0_4arch9wavefront6targetE0EEEvSY_,@function
_ZN7rocprim17ROCPRIM_400000_NS6detail17trampoline_kernelINS0_13select_configILj256ELj13ELNS0_17block_load_methodE3ELS4_3ELS4_3ELNS0_20block_scan_algorithmE0ELj4294967295EEENS1_25partition_config_selectorILNS1_17partition_subalgoE3EjNS0_10empty_typeEbEEZZNS1_14partition_implILS8_3ELb0ES6_jNS0_17counting_iteratorIjlEEPS9_SE_NS0_5tupleIJPjSE_EEENSF_IJSE_SE_EEES9_SG_JZNS1_25segmented_radix_sort_implINS0_14default_configELb0EPKhPhPKlPlN2at6native12_GLOBAL__N_18offset_tEEE10hipError_tPvRmT1_PNSt15iterator_traitsISY_E10value_typeET2_T3_PNSZ_IS14_E10value_typeET4_jRbjT5_S1A_jjP12ihipStream_tbEUljE_EEESV_SW_SX_S14_S18_S1A_T6_T7_T9_mT8_S1C_bDpT10_ENKUlT_T0_E_clISt17integral_constantIbLb1EES1P_EEDaS1K_S1L_EUlS1K_E_NS1_11comp_targetILNS1_3genE2ELNS1_11target_archE906ELNS1_3gpuE6ELNS1_3repE0EEENS1_30default_config_static_selectorELNS0_4arch9wavefront6targetE0EEEvSY_: ; @_ZN7rocprim17ROCPRIM_400000_NS6detail17trampoline_kernelINS0_13select_configILj256ELj13ELNS0_17block_load_methodE3ELS4_3ELS4_3ELNS0_20block_scan_algorithmE0ELj4294967295EEENS1_25partition_config_selectorILNS1_17partition_subalgoE3EjNS0_10empty_typeEbEEZZNS1_14partition_implILS8_3ELb0ES6_jNS0_17counting_iteratorIjlEEPS9_SE_NS0_5tupleIJPjSE_EEENSF_IJSE_SE_EEES9_SG_JZNS1_25segmented_radix_sort_implINS0_14default_configELb0EPKhPhPKlPlN2at6native12_GLOBAL__N_18offset_tEEE10hipError_tPvRmT1_PNSt15iterator_traitsISY_E10value_typeET2_T3_PNSZ_IS14_E10value_typeET4_jRbjT5_S1A_jjP12ihipStream_tbEUljE_EEESV_SW_SX_S14_S18_S1A_T6_T7_T9_mT8_S1C_bDpT10_ENKUlT_T0_E_clISt17integral_constantIbLb1EES1P_EEDaS1K_S1L_EUlS1K_E_NS1_11comp_targetILNS1_3genE2ELNS1_11target_archE906ELNS1_3gpuE6ELNS1_3repE0EEENS1_30default_config_static_selectorELNS0_4arch9wavefront6targetE0EEEvSY_
; %bb.0:
	.section	.rodata,"a",@progbits
	.p2align	6, 0x0
	.amdhsa_kernel _ZN7rocprim17ROCPRIM_400000_NS6detail17trampoline_kernelINS0_13select_configILj256ELj13ELNS0_17block_load_methodE3ELS4_3ELS4_3ELNS0_20block_scan_algorithmE0ELj4294967295EEENS1_25partition_config_selectorILNS1_17partition_subalgoE3EjNS0_10empty_typeEbEEZZNS1_14partition_implILS8_3ELb0ES6_jNS0_17counting_iteratorIjlEEPS9_SE_NS0_5tupleIJPjSE_EEENSF_IJSE_SE_EEES9_SG_JZNS1_25segmented_radix_sort_implINS0_14default_configELb0EPKhPhPKlPlN2at6native12_GLOBAL__N_18offset_tEEE10hipError_tPvRmT1_PNSt15iterator_traitsISY_E10value_typeET2_T3_PNSZ_IS14_E10value_typeET4_jRbjT5_S1A_jjP12ihipStream_tbEUljE_EEESV_SW_SX_S14_S18_S1A_T6_T7_T9_mT8_S1C_bDpT10_ENKUlT_T0_E_clISt17integral_constantIbLb1EES1P_EEDaS1K_S1L_EUlS1K_E_NS1_11comp_targetILNS1_3genE2ELNS1_11target_archE906ELNS1_3gpuE6ELNS1_3repE0EEENS1_30default_config_static_selectorELNS0_4arch9wavefront6targetE0EEEvSY_
		.amdhsa_group_segment_fixed_size 0
		.amdhsa_private_segment_fixed_size 0
		.amdhsa_kernarg_size 152
		.amdhsa_user_sgpr_count 2
		.amdhsa_user_sgpr_dispatch_ptr 0
		.amdhsa_user_sgpr_queue_ptr 0
		.amdhsa_user_sgpr_kernarg_segment_ptr 1
		.amdhsa_user_sgpr_dispatch_id 0
		.amdhsa_user_sgpr_kernarg_preload_length 0
		.amdhsa_user_sgpr_kernarg_preload_offset 0
		.amdhsa_user_sgpr_private_segment_size 0
		.amdhsa_wavefront_size32 1
		.amdhsa_uses_dynamic_stack 0
		.amdhsa_enable_private_segment 0
		.amdhsa_system_sgpr_workgroup_id_x 1
		.amdhsa_system_sgpr_workgroup_id_y 0
		.amdhsa_system_sgpr_workgroup_id_z 0
		.amdhsa_system_sgpr_workgroup_info 0
		.amdhsa_system_vgpr_workitem_id 0
		.amdhsa_next_free_vgpr 1
		.amdhsa_next_free_sgpr 1
		.amdhsa_named_barrier_count 0
		.amdhsa_reserve_vcc 0
		.amdhsa_float_round_mode_32 0
		.amdhsa_float_round_mode_16_64 0
		.amdhsa_float_denorm_mode_32 3
		.amdhsa_float_denorm_mode_16_64 3
		.amdhsa_fp16_overflow 0
		.amdhsa_memory_ordered 1
		.amdhsa_forward_progress 1
		.amdhsa_inst_pref_size 0
		.amdhsa_round_robin_scheduling 0
		.amdhsa_exception_fp_ieee_invalid_op 0
		.amdhsa_exception_fp_denorm_src 0
		.amdhsa_exception_fp_ieee_div_zero 0
		.amdhsa_exception_fp_ieee_overflow 0
		.amdhsa_exception_fp_ieee_underflow 0
		.amdhsa_exception_fp_ieee_inexact 0
		.amdhsa_exception_int_div_zero 0
	.end_amdhsa_kernel
	.section	.text._ZN7rocprim17ROCPRIM_400000_NS6detail17trampoline_kernelINS0_13select_configILj256ELj13ELNS0_17block_load_methodE3ELS4_3ELS4_3ELNS0_20block_scan_algorithmE0ELj4294967295EEENS1_25partition_config_selectorILNS1_17partition_subalgoE3EjNS0_10empty_typeEbEEZZNS1_14partition_implILS8_3ELb0ES6_jNS0_17counting_iteratorIjlEEPS9_SE_NS0_5tupleIJPjSE_EEENSF_IJSE_SE_EEES9_SG_JZNS1_25segmented_radix_sort_implINS0_14default_configELb0EPKhPhPKlPlN2at6native12_GLOBAL__N_18offset_tEEE10hipError_tPvRmT1_PNSt15iterator_traitsISY_E10value_typeET2_T3_PNSZ_IS14_E10value_typeET4_jRbjT5_S1A_jjP12ihipStream_tbEUljE_EEESV_SW_SX_S14_S18_S1A_T6_T7_T9_mT8_S1C_bDpT10_ENKUlT_T0_E_clISt17integral_constantIbLb1EES1P_EEDaS1K_S1L_EUlS1K_E_NS1_11comp_targetILNS1_3genE2ELNS1_11target_archE906ELNS1_3gpuE6ELNS1_3repE0EEENS1_30default_config_static_selectorELNS0_4arch9wavefront6targetE0EEEvSY_,"axG",@progbits,_ZN7rocprim17ROCPRIM_400000_NS6detail17trampoline_kernelINS0_13select_configILj256ELj13ELNS0_17block_load_methodE3ELS4_3ELS4_3ELNS0_20block_scan_algorithmE0ELj4294967295EEENS1_25partition_config_selectorILNS1_17partition_subalgoE3EjNS0_10empty_typeEbEEZZNS1_14partition_implILS8_3ELb0ES6_jNS0_17counting_iteratorIjlEEPS9_SE_NS0_5tupleIJPjSE_EEENSF_IJSE_SE_EEES9_SG_JZNS1_25segmented_radix_sort_implINS0_14default_configELb0EPKhPhPKlPlN2at6native12_GLOBAL__N_18offset_tEEE10hipError_tPvRmT1_PNSt15iterator_traitsISY_E10value_typeET2_T3_PNSZ_IS14_E10value_typeET4_jRbjT5_S1A_jjP12ihipStream_tbEUljE_EEESV_SW_SX_S14_S18_S1A_T6_T7_T9_mT8_S1C_bDpT10_ENKUlT_T0_E_clISt17integral_constantIbLb1EES1P_EEDaS1K_S1L_EUlS1K_E_NS1_11comp_targetILNS1_3genE2ELNS1_11target_archE906ELNS1_3gpuE6ELNS1_3repE0EEENS1_30default_config_static_selectorELNS0_4arch9wavefront6targetE0EEEvSY_,comdat
.Lfunc_end165:
	.size	_ZN7rocprim17ROCPRIM_400000_NS6detail17trampoline_kernelINS0_13select_configILj256ELj13ELNS0_17block_load_methodE3ELS4_3ELS4_3ELNS0_20block_scan_algorithmE0ELj4294967295EEENS1_25partition_config_selectorILNS1_17partition_subalgoE3EjNS0_10empty_typeEbEEZZNS1_14partition_implILS8_3ELb0ES6_jNS0_17counting_iteratorIjlEEPS9_SE_NS0_5tupleIJPjSE_EEENSF_IJSE_SE_EEES9_SG_JZNS1_25segmented_radix_sort_implINS0_14default_configELb0EPKhPhPKlPlN2at6native12_GLOBAL__N_18offset_tEEE10hipError_tPvRmT1_PNSt15iterator_traitsISY_E10value_typeET2_T3_PNSZ_IS14_E10value_typeET4_jRbjT5_S1A_jjP12ihipStream_tbEUljE_EEESV_SW_SX_S14_S18_S1A_T6_T7_T9_mT8_S1C_bDpT10_ENKUlT_T0_E_clISt17integral_constantIbLb1EES1P_EEDaS1K_S1L_EUlS1K_E_NS1_11comp_targetILNS1_3genE2ELNS1_11target_archE906ELNS1_3gpuE6ELNS1_3repE0EEENS1_30default_config_static_selectorELNS0_4arch9wavefront6targetE0EEEvSY_, .Lfunc_end165-_ZN7rocprim17ROCPRIM_400000_NS6detail17trampoline_kernelINS0_13select_configILj256ELj13ELNS0_17block_load_methodE3ELS4_3ELS4_3ELNS0_20block_scan_algorithmE0ELj4294967295EEENS1_25partition_config_selectorILNS1_17partition_subalgoE3EjNS0_10empty_typeEbEEZZNS1_14partition_implILS8_3ELb0ES6_jNS0_17counting_iteratorIjlEEPS9_SE_NS0_5tupleIJPjSE_EEENSF_IJSE_SE_EEES9_SG_JZNS1_25segmented_radix_sort_implINS0_14default_configELb0EPKhPhPKlPlN2at6native12_GLOBAL__N_18offset_tEEE10hipError_tPvRmT1_PNSt15iterator_traitsISY_E10value_typeET2_T3_PNSZ_IS14_E10value_typeET4_jRbjT5_S1A_jjP12ihipStream_tbEUljE_EEESV_SW_SX_S14_S18_S1A_T6_T7_T9_mT8_S1C_bDpT10_ENKUlT_T0_E_clISt17integral_constantIbLb1EES1P_EEDaS1K_S1L_EUlS1K_E_NS1_11comp_targetILNS1_3genE2ELNS1_11target_archE906ELNS1_3gpuE6ELNS1_3repE0EEENS1_30default_config_static_selectorELNS0_4arch9wavefront6targetE0EEEvSY_
                                        ; -- End function
	.set _ZN7rocprim17ROCPRIM_400000_NS6detail17trampoline_kernelINS0_13select_configILj256ELj13ELNS0_17block_load_methodE3ELS4_3ELS4_3ELNS0_20block_scan_algorithmE0ELj4294967295EEENS1_25partition_config_selectorILNS1_17partition_subalgoE3EjNS0_10empty_typeEbEEZZNS1_14partition_implILS8_3ELb0ES6_jNS0_17counting_iteratorIjlEEPS9_SE_NS0_5tupleIJPjSE_EEENSF_IJSE_SE_EEES9_SG_JZNS1_25segmented_radix_sort_implINS0_14default_configELb0EPKhPhPKlPlN2at6native12_GLOBAL__N_18offset_tEEE10hipError_tPvRmT1_PNSt15iterator_traitsISY_E10value_typeET2_T3_PNSZ_IS14_E10value_typeET4_jRbjT5_S1A_jjP12ihipStream_tbEUljE_EEESV_SW_SX_S14_S18_S1A_T6_T7_T9_mT8_S1C_bDpT10_ENKUlT_T0_E_clISt17integral_constantIbLb1EES1P_EEDaS1K_S1L_EUlS1K_E_NS1_11comp_targetILNS1_3genE2ELNS1_11target_archE906ELNS1_3gpuE6ELNS1_3repE0EEENS1_30default_config_static_selectorELNS0_4arch9wavefront6targetE0EEEvSY_.num_vgpr, 0
	.set _ZN7rocprim17ROCPRIM_400000_NS6detail17trampoline_kernelINS0_13select_configILj256ELj13ELNS0_17block_load_methodE3ELS4_3ELS4_3ELNS0_20block_scan_algorithmE0ELj4294967295EEENS1_25partition_config_selectorILNS1_17partition_subalgoE3EjNS0_10empty_typeEbEEZZNS1_14partition_implILS8_3ELb0ES6_jNS0_17counting_iteratorIjlEEPS9_SE_NS0_5tupleIJPjSE_EEENSF_IJSE_SE_EEES9_SG_JZNS1_25segmented_radix_sort_implINS0_14default_configELb0EPKhPhPKlPlN2at6native12_GLOBAL__N_18offset_tEEE10hipError_tPvRmT1_PNSt15iterator_traitsISY_E10value_typeET2_T3_PNSZ_IS14_E10value_typeET4_jRbjT5_S1A_jjP12ihipStream_tbEUljE_EEESV_SW_SX_S14_S18_S1A_T6_T7_T9_mT8_S1C_bDpT10_ENKUlT_T0_E_clISt17integral_constantIbLb1EES1P_EEDaS1K_S1L_EUlS1K_E_NS1_11comp_targetILNS1_3genE2ELNS1_11target_archE906ELNS1_3gpuE6ELNS1_3repE0EEENS1_30default_config_static_selectorELNS0_4arch9wavefront6targetE0EEEvSY_.num_agpr, 0
	.set _ZN7rocprim17ROCPRIM_400000_NS6detail17trampoline_kernelINS0_13select_configILj256ELj13ELNS0_17block_load_methodE3ELS4_3ELS4_3ELNS0_20block_scan_algorithmE0ELj4294967295EEENS1_25partition_config_selectorILNS1_17partition_subalgoE3EjNS0_10empty_typeEbEEZZNS1_14partition_implILS8_3ELb0ES6_jNS0_17counting_iteratorIjlEEPS9_SE_NS0_5tupleIJPjSE_EEENSF_IJSE_SE_EEES9_SG_JZNS1_25segmented_radix_sort_implINS0_14default_configELb0EPKhPhPKlPlN2at6native12_GLOBAL__N_18offset_tEEE10hipError_tPvRmT1_PNSt15iterator_traitsISY_E10value_typeET2_T3_PNSZ_IS14_E10value_typeET4_jRbjT5_S1A_jjP12ihipStream_tbEUljE_EEESV_SW_SX_S14_S18_S1A_T6_T7_T9_mT8_S1C_bDpT10_ENKUlT_T0_E_clISt17integral_constantIbLb1EES1P_EEDaS1K_S1L_EUlS1K_E_NS1_11comp_targetILNS1_3genE2ELNS1_11target_archE906ELNS1_3gpuE6ELNS1_3repE0EEENS1_30default_config_static_selectorELNS0_4arch9wavefront6targetE0EEEvSY_.numbered_sgpr, 0
	.set _ZN7rocprim17ROCPRIM_400000_NS6detail17trampoline_kernelINS0_13select_configILj256ELj13ELNS0_17block_load_methodE3ELS4_3ELS4_3ELNS0_20block_scan_algorithmE0ELj4294967295EEENS1_25partition_config_selectorILNS1_17partition_subalgoE3EjNS0_10empty_typeEbEEZZNS1_14partition_implILS8_3ELb0ES6_jNS0_17counting_iteratorIjlEEPS9_SE_NS0_5tupleIJPjSE_EEENSF_IJSE_SE_EEES9_SG_JZNS1_25segmented_radix_sort_implINS0_14default_configELb0EPKhPhPKlPlN2at6native12_GLOBAL__N_18offset_tEEE10hipError_tPvRmT1_PNSt15iterator_traitsISY_E10value_typeET2_T3_PNSZ_IS14_E10value_typeET4_jRbjT5_S1A_jjP12ihipStream_tbEUljE_EEESV_SW_SX_S14_S18_S1A_T6_T7_T9_mT8_S1C_bDpT10_ENKUlT_T0_E_clISt17integral_constantIbLb1EES1P_EEDaS1K_S1L_EUlS1K_E_NS1_11comp_targetILNS1_3genE2ELNS1_11target_archE906ELNS1_3gpuE6ELNS1_3repE0EEENS1_30default_config_static_selectorELNS0_4arch9wavefront6targetE0EEEvSY_.num_named_barrier, 0
	.set _ZN7rocprim17ROCPRIM_400000_NS6detail17trampoline_kernelINS0_13select_configILj256ELj13ELNS0_17block_load_methodE3ELS4_3ELS4_3ELNS0_20block_scan_algorithmE0ELj4294967295EEENS1_25partition_config_selectorILNS1_17partition_subalgoE3EjNS0_10empty_typeEbEEZZNS1_14partition_implILS8_3ELb0ES6_jNS0_17counting_iteratorIjlEEPS9_SE_NS0_5tupleIJPjSE_EEENSF_IJSE_SE_EEES9_SG_JZNS1_25segmented_radix_sort_implINS0_14default_configELb0EPKhPhPKlPlN2at6native12_GLOBAL__N_18offset_tEEE10hipError_tPvRmT1_PNSt15iterator_traitsISY_E10value_typeET2_T3_PNSZ_IS14_E10value_typeET4_jRbjT5_S1A_jjP12ihipStream_tbEUljE_EEESV_SW_SX_S14_S18_S1A_T6_T7_T9_mT8_S1C_bDpT10_ENKUlT_T0_E_clISt17integral_constantIbLb1EES1P_EEDaS1K_S1L_EUlS1K_E_NS1_11comp_targetILNS1_3genE2ELNS1_11target_archE906ELNS1_3gpuE6ELNS1_3repE0EEENS1_30default_config_static_selectorELNS0_4arch9wavefront6targetE0EEEvSY_.private_seg_size, 0
	.set _ZN7rocprim17ROCPRIM_400000_NS6detail17trampoline_kernelINS0_13select_configILj256ELj13ELNS0_17block_load_methodE3ELS4_3ELS4_3ELNS0_20block_scan_algorithmE0ELj4294967295EEENS1_25partition_config_selectorILNS1_17partition_subalgoE3EjNS0_10empty_typeEbEEZZNS1_14partition_implILS8_3ELb0ES6_jNS0_17counting_iteratorIjlEEPS9_SE_NS0_5tupleIJPjSE_EEENSF_IJSE_SE_EEES9_SG_JZNS1_25segmented_radix_sort_implINS0_14default_configELb0EPKhPhPKlPlN2at6native12_GLOBAL__N_18offset_tEEE10hipError_tPvRmT1_PNSt15iterator_traitsISY_E10value_typeET2_T3_PNSZ_IS14_E10value_typeET4_jRbjT5_S1A_jjP12ihipStream_tbEUljE_EEESV_SW_SX_S14_S18_S1A_T6_T7_T9_mT8_S1C_bDpT10_ENKUlT_T0_E_clISt17integral_constantIbLb1EES1P_EEDaS1K_S1L_EUlS1K_E_NS1_11comp_targetILNS1_3genE2ELNS1_11target_archE906ELNS1_3gpuE6ELNS1_3repE0EEENS1_30default_config_static_selectorELNS0_4arch9wavefront6targetE0EEEvSY_.uses_vcc, 0
	.set _ZN7rocprim17ROCPRIM_400000_NS6detail17trampoline_kernelINS0_13select_configILj256ELj13ELNS0_17block_load_methodE3ELS4_3ELS4_3ELNS0_20block_scan_algorithmE0ELj4294967295EEENS1_25partition_config_selectorILNS1_17partition_subalgoE3EjNS0_10empty_typeEbEEZZNS1_14partition_implILS8_3ELb0ES6_jNS0_17counting_iteratorIjlEEPS9_SE_NS0_5tupleIJPjSE_EEENSF_IJSE_SE_EEES9_SG_JZNS1_25segmented_radix_sort_implINS0_14default_configELb0EPKhPhPKlPlN2at6native12_GLOBAL__N_18offset_tEEE10hipError_tPvRmT1_PNSt15iterator_traitsISY_E10value_typeET2_T3_PNSZ_IS14_E10value_typeET4_jRbjT5_S1A_jjP12ihipStream_tbEUljE_EEESV_SW_SX_S14_S18_S1A_T6_T7_T9_mT8_S1C_bDpT10_ENKUlT_T0_E_clISt17integral_constantIbLb1EES1P_EEDaS1K_S1L_EUlS1K_E_NS1_11comp_targetILNS1_3genE2ELNS1_11target_archE906ELNS1_3gpuE6ELNS1_3repE0EEENS1_30default_config_static_selectorELNS0_4arch9wavefront6targetE0EEEvSY_.uses_flat_scratch, 0
	.set _ZN7rocprim17ROCPRIM_400000_NS6detail17trampoline_kernelINS0_13select_configILj256ELj13ELNS0_17block_load_methodE3ELS4_3ELS4_3ELNS0_20block_scan_algorithmE0ELj4294967295EEENS1_25partition_config_selectorILNS1_17partition_subalgoE3EjNS0_10empty_typeEbEEZZNS1_14partition_implILS8_3ELb0ES6_jNS0_17counting_iteratorIjlEEPS9_SE_NS0_5tupleIJPjSE_EEENSF_IJSE_SE_EEES9_SG_JZNS1_25segmented_radix_sort_implINS0_14default_configELb0EPKhPhPKlPlN2at6native12_GLOBAL__N_18offset_tEEE10hipError_tPvRmT1_PNSt15iterator_traitsISY_E10value_typeET2_T3_PNSZ_IS14_E10value_typeET4_jRbjT5_S1A_jjP12ihipStream_tbEUljE_EEESV_SW_SX_S14_S18_S1A_T6_T7_T9_mT8_S1C_bDpT10_ENKUlT_T0_E_clISt17integral_constantIbLb1EES1P_EEDaS1K_S1L_EUlS1K_E_NS1_11comp_targetILNS1_3genE2ELNS1_11target_archE906ELNS1_3gpuE6ELNS1_3repE0EEENS1_30default_config_static_selectorELNS0_4arch9wavefront6targetE0EEEvSY_.has_dyn_sized_stack, 0
	.set _ZN7rocprim17ROCPRIM_400000_NS6detail17trampoline_kernelINS0_13select_configILj256ELj13ELNS0_17block_load_methodE3ELS4_3ELS4_3ELNS0_20block_scan_algorithmE0ELj4294967295EEENS1_25partition_config_selectorILNS1_17partition_subalgoE3EjNS0_10empty_typeEbEEZZNS1_14partition_implILS8_3ELb0ES6_jNS0_17counting_iteratorIjlEEPS9_SE_NS0_5tupleIJPjSE_EEENSF_IJSE_SE_EEES9_SG_JZNS1_25segmented_radix_sort_implINS0_14default_configELb0EPKhPhPKlPlN2at6native12_GLOBAL__N_18offset_tEEE10hipError_tPvRmT1_PNSt15iterator_traitsISY_E10value_typeET2_T3_PNSZ_IS14_E10value_typeET4_jRbjT5_S1A_jjP12ihipStream_tbEUljE_EEESV_SW_SX_S14_S18_S1A_T6_T7_T9_mT8_S1C_bDpT10_ENKUlT_T0_E_clISt17integral_constantIbLb1EES1P_EEDaS1K_S1L_EUlS1K_E_NS1_11comp_targetILNS1_3genE2ELNS1_11target_archE906ELNS1_3gpuE6ELNS1_3repE0EEENS1_30default_config_static_selectorELNS0_4arch9wavefront6targetE0EEEvSY_.has_recursion, 0
	.set _ZN7rocprim17ROCPRIM_400000_NS6detail17trampoline_kernelINS0_13select_configILj256ELj13ELNS0_17block_load_methodE3ELS4_3ELS4_3ELNS0_20block_scan_algorithmE0ELj4294967295EEENS1_25partition_config_selectorILNS1_17partition_subalgoE3EjNS0_10empty_typeEbEEZZNS1_14partition_implILS8_3ELb0ES6_jNS0_17counting_iteratorIjlEEPS9_SE_NS0_5tupleIJPjSE_EEENSF_IJSE_SE_EEES9_SG_JZNS1_25segmented_radix_sort_implINS0_14default_configELb0EPKhPhPKlPlN2at6native12_GLOBAL__N_18offset_tEEE10hipError_tPvRmT1_PNSt15iterator_traitsISY_E10value_typeET2_T3_PNSZ_IS14_E10value_typeET4_jRbjT5_S1A_jjP12ihipStream_tbEUljE_EEESV_SW_SX_S14_S18_S1A_T6_T7_T9_mT8_S1C_bDpT10_ENKUlT_T0_E_clISt17integral_constantIbLb1EES1P_EEDaS1K_S1L_EUlS1K_E_NS1_11comp_targetILNS1_3genE2ELNS1_11target_archE906ELNS1_3gpuE6ELNS1_3repE0EEENS1_30default_config_static_selectorELNS0_4arch9wavefront6targetE0EEEvSY_.has_indirect_call, 0
	.section	.AMDGPU.csdata,"",@progbits
; Kernel info:
; codeLenInByte = 0
; TotalNumSgprs: 0
; NumVgprs: 0
; ScratchSize: 0
; MemoryBound: 0
; FloatMode: 240
; IeeeMode: 1
; LDSByteSize: 0 bytes/workgroup (compile time only)
; SGPRBlocks: 0
; VGPRBlocks: 0
; NumSGPRsForWavesPerEU: 1
; NumVGPRsForWavesPerEU: 1
; NamedBarCnt: 0
; Occupancy: 16
; WaveLimiterHint : 0
; COMPUTE_PGM_RSRC2:SCRATCH_EN: 0
; COMPUTE_PGM_RSRC2:USER_SGPR: 2
; COMPUTE_PGM_RSRC2:TRAP_HANDLER: 0
; COMPUTE_PGM_RSRC2:TGID_X_EN: 1
; COMPUTE_PGM_RSRC2:TGID_Y_EN: 0
; COMPUTE_PGM_RSRC2:TGID_Z_EN: 0
; COMPUTE_PGM_RSRC2:TIDIG_COMP_CNT: 0
	.section	.text._ZN7rocprim17ROCPRIM_400000_NS6detail17trampoline_kernelINS0_13select_configILj256ELj13ELNS0_17block_load_methodE3ELS4_3ELS4_3ELNS0_20block_scan_algorithmE0ELj4294967295EEENS1_25partition_config_selectorILNS1_17partition_subalgoE3EjNS0_10empty_typeEbEEZZNS1_14partition_implILS8_3ELb0ES6_jNS0_17counting_iteratorIjlEEPS9_SE_NS0_5tupleIJPjSE_EEENSF_IJSE_SE_EEES9_SG_JZNS1_25segmented_radix_sort_implINS0_14default_configELb0EPKhPhPKlPlN2at6native12_GLOBAL__N_18offset_tEEE10hipError_tPvRmT1_PNSt15iterator_traitsISY_E10value_typeET2_T3_PNSZ_IS14_E10value_typeET4_jRbjT5_S1A_jjP12ihipStream_tbEUljE_EEESV_SW_SX_S14_S18_S1A_T6_T7_T9_mT8_S1C_bDpT10_ENKUlT_T0_E_clISt17integral_constantIbLb1EES1P_EEDaS1K_S1L_EUlS1K_E_NS1_11comp_targetILNS1_3genE10ELNS1_11target_archE1200ELNS1_3gpuE4ELNS1_3repE0EEENS1_30default_config_static_selectorELNS0_4arch9wavefront6targetE0EEEvSY_,"axG",@progbits,_ZN7rocprim17ROCPRIM_400000_NS6detail17trampoline_kernelINS0_13select_configILj256ELj13ELNS0_17block_load_methodE3ELS4_3ELS4_3ELNS0_20block_scan_algorithmE0ELj4294967295EEENS1_25partition_config_selectorILNS1_17partition_subalgoE3EjNS0_10empty_typeEbEEZZNS1_14partition_implILS8_3ELb0ES6_jNS0_17counting_iteratorIjlEEPS9_SE_NS0_5tupleIJPjSE_EEENSF_IJSE_SE_EEES9_SG_JZNS1_25segmented_radix_sort_implINS0_14default_configELb0EPKhPhPKlPlN2at6native12_GLOBAL__N_18offset_tEEE10hipError_tPvRmT1_PNSt15iterator_traitsISY_E10value_typeET2_T3_PNSZ_IS14_E10value_typeET4_jRbjT5_S1A_jjP12ihipStream_tbEUljE_EEESV_SW_SX_S14_S18_S1A_T6_T7_T9_mT8_S1C_bDpT10_ENKUlT_T0_E_clISt17integral_constantIbLb1EES1P_EEDaS1K_S1L_EUlS1K_E_NS1_11comp_targetILNS1_3genE10ELNS1_11target_archE1200ELNS1_3gpuE4ELNS1_3repE0EEENS1_30default_config_static_selectorELNS0_4arch9wavefront6targetE0EEEvSY_,comdat
	.globl	_ZN7rocprim17ROCPRIM_400000_NS6detail17trampoline_kernelINS0_13select_configILj256ELj13ELNS0_17block_load_methodE3ELS4_3ELS4_3ELNS0_20block_scan_algorithmE0ELj4294967295EEENS1_25partition_config_selectorILNS1_17partition_subalgoE3EjNS0_10empty_typeEbEEZZNS1_14partition_implILS8_3ELb0ES6_jNS0_17counting_iteratorIjlEEPS9_SE_NS0_5tupleIJPjSE_EEENSF_IJSE_SE_EEES9_SG_JZNS1_25segmented_radix_sort_implINS0_14default_configELb0EPKhPhPKlPlN2at6native12_GLOBAL__N_18offset_tEEE10hipError_tPvRmT1_PNSt15iterator_traitsISY_E10value_typeET2_T3_PNSZ_IS14_E10value_typeET4_jRbjT5_S1A_jjP12ihipStream_tbEUljE_EEESV_SW_SX_S14_S18_S1A_T6_T7_T9_mT8_S1C_bDpT10_ENKUlT_T0_E_clISt17integral_constantIbLb1EES1P_EEDaS1K_S1L_EUlS1K_E_NS1_11comp_targetILNS1_3genE10ELNS1_11target_archE1200ELNS1_3gpuE4ELNS1_3repE0EEENS1_30default_config_static_selectorELNS0_4arch9wavefront6targetE0EEEvSY_ ; -- Begin function _ZN7rocprim17ROCPRIM_400000_NS6detail17trampoline_kernelINS0_13select_configILj256ELj13ELNS0_17block_load_methodE3ELS4_3ELS4_3ELNS0_20block_scan_algorithmE0ELj4294967295EEENS1_25partition_config_selectorILNS1_17partition_subalgoE3EjNS0_10empty_typeEbEEZZNS1_14partition_implILS8_3ELb0ES6_jNS0_17counting_iteratorIjlEEPS9_SE_NS0_5tupleIJPjSE_EEENSF_IJSE_SE_EEES9_SG_JZNS1_25segmented_radix_sort_implINS0_14default_configELb0EPKhPhPKlPlN2at6native12_GLOBAL__N_18offset_tEEE10hipError_tPvRmT1_PNSt15iterator_traitsISY_E10value_typeET2_T3_PNSZ_IS14_E10value_typeET4_jRbjT5_S1A_jjP12ihipStream_tbEUljE_EEESV_SW_SX_S14_S18_S1A_T6_T7_T9_mT8_S1C_bDpT10_ENKUlT_T0_E_clISt17integral_constantIbLb1EES1P_EEDaS1K_S1L_EUlS1K_E_NS1_11comp_targetILNS1_3genE10ELNS1_11target_archE1200ELNS1_3gpuE4ELNS1_3repE0EEENS1_30default_config_static_selectorELNS0_4arch9wavefront6targetE0EEEvSY_
	.p2align	8
	.type	_ZN7rocprim17ROCPRIM_400000_NS6detail17trampoline_kernelINS0_13select_configILj256ELj13ELNS0_17block_load_methodE3ELS4_3ELS4_3ELNS0_20block_scan_algorithmE0ELj4294967295EEENS1_25partition_config_selectorILNS1_17partition_subalgoE3EjNS0_10empty_typeEbEEZZNS1_14partition_implILS8_3ELb0ES6_jNS0_17counting_iteratorIjlEEPS9_SE_NS0_5tupleIJPjSE_EEENSF_IJSE_SE_EEES9_SG_JZNS1_25segmented_radix_sort_implINS0_14default_configELb0EPKhPhPKlPlN2at6native12_GLOBAL__N_18offset_tEEE10hipError_tPvRmT1_PNSt15iterator_traitsISY_E10value_typeET2_T3_PNSZ_IS14_E10value_typeET4_jRbjT5_S1A_jjP12ihipStream_tbEUljE_EEESV_SW_SX_S14_S18_S1A_T6_T7_T9_mT8_S1C_bDpT10_ENKUlT_T0_E_clISt17integral_constantIbLb1EES1P_EEDaS1K_S1L_EUlS1K_E_NS1_11comp_targetILNS1_3genE10ELNS1_11target_archE1200ELNS1_3gpuE4ELNS1_3repE0EEENS1_30default_config_static_selectorELNS0_4arch9wavefront6targetE0EEEvSY_,@function
_ZN7rocprim17ROCPRIM_400000_NS6detail17trampoline_kernelINS0_13select_configILj256ELj13ELNS0_17block_load_methodE3ELS4_3ELS4_3ELNS0_20block_scan_algorithmE0ELj4294967295EEENS1_25partition_config_selectorILNS1_17partition_subalgoE3EjNS0_10empty_typeEbEEZZNS1_14partition_implILS8_3ELb0ES6_jNS0_17counting_iteratorIjlEEPS9_SE_NS0_5tupleIJPjSE_EEENSF_IJSE_SE_EEES9_SG_JZNS1_25segmented_radix_sort_implINS0_14default_configELb0EPKhPhPKlPlN2at6native12_GLOBAL__N_18offset_tEEE10hipError_tPvRmT1_PNSt15iterator_traitsISY_E10value_typeET2_T3_PNSZ_IS14_E10value_typeET4_jRbjT5_S1A_jjP12ihipStream_tbEUljE_EEESV_SW_SX_S14_S18_S1A_T6_T7_T9_mT8_S1C_bDpT10_ENKUlT_T0_E_clISt17integral_constantIbLb1EES1P_EEDaS1K_S1L_EUlS1K_E_NS1_11comp_targetILNS1_3genE10ELNS1_11target_archE1200ELNS1_3gpuE4ELNS1_3repE0EEENS1_30default_config_static_selectorELNS0_4arch9wavefront6targetE0EEEvSY_: ; @_ZN7rocprim17ROCPRIM_400000_NS6detail17trampoline_kernelINS0_13select_configILj256ELj13ELNS0_17block_load_methodE3ELS4_3ELS4_3ELNS0_20block_scan_algorithmE0ELj4294967295EEENS1_25partition_config_selectorILNS1_17partition_subalgoE3EjNS0_10empty_typeEbEEZZNS1_14partition_implILS8_3ELb0ES6_jNS0_17counting_iteratorIjlEEPS9_SE_NS0_5tupleIJPjSE_EEENSF_IJSE_SE_EEES9_SG_JZNS1_25segmented_radix_sort_implINS0_14default_configELb0EPKhPhPKlPlN2at6native12_GLOBAL__N_18offset_tEEE10hipError_tPvRmT1_PNSt15iterator_traitsISY_E10value_typeET2_T3_PNSZ_IS14_E10value_typeET4_jRbjT5_S1A_jjP12ihipStream_tbEUljE_EEESV_SW_SX_S14_S18_S1A_T6_T7_T9_mT8_S1C_bDpT10_ENKUlT_T0_E_clISt17integral_constantIbLb1EES1P_EEDaS1K_S1L_EUlS1K_E_NS1_11comp_targetILNS1_3genE10ELNS1_11target_archE1200ELNS1_3gpuE4ELNS1_3repE0EEENS1_30default_config_static_selectorELNS0_4arch9wavefront6targetE0EEEvSY_
; %bb.0:
	.section	.rodata,"a",@progbits
	.p2align	6, 0x0
	.amdhsa_kernel _ZN7rocprim17ROCPRIM_400000_NS6detail17trampoline_kernelINS0_13select_configILj256ELj13ELNS0_17block_load_methodE3ELS4_3ELS4_3ELNS0_20block_scan_algorithmE0ELj4294967295EEENS1_25partition_config_selectorILNS1_17partition_subalgoE3EjNS0_10empty_typeEbEEZZNS1_14partition_implILS8_3ELb0ES6_jNS0_17counting_iteratorIjlEEPS9_SE_NS0_5tupleIJPjSE_EEENSF_IJSE_SE_EEES9_SG_JZNS1_25segmented_radix_sort_implINS0_14default_configELb0EPKhPhPKlPlN2at6native12_GLOBAL__N_18offset_tEEE10hipError_tPvRmT1_PNSt15iterator_traitsISY_E10value_typeET2_T3_PNSZ_IS14_E10value_typeET4_jRbjT5_S1A_jjP12ihipStream_tbEUljE_EEESV_SW_SX_S14_S18_S1A_T6_T7_T9_mT8_S1C_bDpT10_ENKUlT_T0_E_clISt17integral_constantIbLb1EES1P_EEDaS1K_S1L_EUlS1K_E_NS1_11comp_targetILNS1_3genE10ELNS1_11target_archE1200ELNS1_3gpuE4ELNS1_3repE0EEENS1_30default_config_static_selectorELNS0_4arch9wavefront6targetE0EEEvSY_
		.amdhsa_group_segment_fixed_size 0
		.amdhsa_private_segment_fixed_size 0
		.amdhsa_kernarg_size 152
		.amdhsa_user_sgpr_count 2
		.amdhsa_user_sgpr_dispatch_ptr 0
		.amdhsa_user_sgpr_queue_ptr 0
		.amdhsa_user_sgpr_kernarg_segment_ptr 1
		.amdhsa_user_sgpr_dispatch_id 0
		.amdhsa_user_sgpr_kernarg_preload_length 0
		.amdhsa_user_sgpr_kernarg_preload_offset 0
		.amdhsa_user_sgpr_private_segment_size 0
		.amdhsa_wavefront_size32 1
		.amdhsa_uses_dynamic_stack 0
		.amdhsa_enable_private_segment 0
		.amdhsa_system_sgpr_workgroup_id_x 1
		.amdhsa_system_sgpr_workgroup_id_y 0
		.amdhsa_system_sgpr_workgroup_id_z 0
		.amdhsa_system_sgpr_workgroup_info 0
		.amdhsa_system_vgpr_workitem_id 0
		.amdhsa_next_free_vgpr 1
		.amdhsa_next_free_sgpr 1
		.amdhsa_named_barrier_count 0
		.amdhsa_reserve_vcc 0
		.amdhsa_float_round_mode_32 0
		.amdhsa_float_round_mode_16_64 0
		.amdhsa_float_denorm_mode_32 3
		.amdhsa_float_denorm_mode_16_64 3
		.amdhsa_fp16_overflow 0
		.amdhsa_memory_ordered 1
		.amdhsa_forward_progress 1
		.amdhsa_inst_pref_size 0
		.amdhsa_round_robin_scheduling 0
		.amdhsa_exception_fp_ieee_invalid_op 0
		.amdhsa_exception_fp_denorm_src 0
		.amdhsa_exception_fp_ieee_div_zero 0
		.amdhsa_exception_fp_ieee_overflow 0
		.amdhsa_exception_fp_ieee_underflow 0
		.amdhsa_exception_fp_ieee_inexact 0
		.amdhsa_exception_int_div_zero 0
	.end_amdhsa_kernel
	.section	.text._ZN7rocprim17ROCPRIM_400000_NS6detail17trampoline_kernelINS0_13select_configILj256ELj13ELNS0_17block_load_methodE3ELS4_3ELS4_3ELNS0_20block_scan_algorithmE0ELj4294967295EEENS1_25partition_config_selectorILNS1_17partition_subalgoE3EjNS0_10empty_typeEbEEZZNS1_14partition_implILS8_3ELb0ES6_jNS0_17counting_iteratorIjlEEPS9_SE_NS0_5tupleIJPjSE_EEENSF_IJSE_SE_EEES9_SG_JZNS1_25segmented_radix_sort_implINS0_14default_configELb0EPKhPhPKlPlN2at6native12_GLOBAL__N_18offset_tEEE10hipError_tPvRmT1_PNSt15iterator_traitsISY_E10value_typeET2_T3_PNSZ_IS14_E10value_typeET4_jRbjT5_S1A_jjP12ihipStream_tbEUljE_EEESV_SW_SX_S14_S18_S1A_T6_T7_T9_mT8_S1C_bDpT10_ENKUlT_T0_E_clISt17integral_constantIbLb1EES1P_EEDaS1K_S1L_EUlS1K_E_NS1_11comp_targetILNS1_3genE10ELNS1_11target_archE1200ELNS1_3gpuE4ELNS1_3repE0EEENS1_30default_config_static_selectorELNS0_4arch9wavefront6targetE0EEEvSY_,"axG",@progbits,_ZN7rocprim17ROCPRIM_400000_NS6detail17trampoline_kernelINS0_13select_configILj256ELj13ELNS0_17block_load_methodE3ELS4_3ELS4_3ELNS0_20block_scan_algorithmE0ELj4294967295EEENS1_25partition_config_selectorILNS1_17partition_subalgoE3EjNS0_10empty_typeEbEEZZNS1_14partition_implILS8_3ELb0ES6_jNS0_17counting_iteratorIjlEEPS9_SE_NS0_5tupleIJPjSE_EEENSF_IJSE_SE_EEES9_SG_JZNS1_25segmented_radix_sort_implINS0_14default_configELb0EPKhPhPKlPlN2at6native12_GLOBAL__N_18offset_tEEE10hipError_tPvRmT1_PNSt15iterator_traitsISY_E10value_typeET2_T3_PNSZ_IS14_E10value_typeET4_jRbjT5_S1A_jjP12ihipStream_tbEUljE_EEESV_SW_SX_S14_S18_S1A_T6_T7_T9_mT8_S1C_bDpT10_ENKUlT_T0_E_clISt17integral_constantIbLb1EES1P_EEDaS1K_S1L_EUlS1K_E_NS1_11comp_targetILNS1_3genE10ELNS1_11target_archE1200ELNS1_3gpuE4ELNS1_3repE0EEENS1_30default_config_static_selectorELNS0_4arch9wavefront6targetE0EEEvSY_,comdat
.Lfunc_end166:
	.size	_ZN7rocprim17ROCPRIM_400000_NS6detail17trampoline_kernelINS0_13select_configILj256ELj13ELNS0_17block_load_methodE3ELS4_3ELS4_3ELNS0_20block_scan_algorithmE0ELj4294967295EEENS1_25partition_config_selectorILNS1_17partition_subalgoE3EjNS0_10empty_typeEbEEZZNS1_14partition_implILS8_3ELb0ES6_jNS0_17counting_iteratorIjlEEPS9_SE_NS0_5tupleIJPjSE_EEENSF_IJSE_SE_EEES9_SG_JZNS1_25segmented_radix_sort_implINS0_14default_configELb0EPKhPhPKlPlN2at6native12_GLOBAL__N_18offset_tEEE10hipError_tPvRmT1_PNSt15iterator_traitsISY_E10value_typeET2_T3_PNSZ_IS14_E10value_typeET4_jRbjT5_S1A_jjP12ihipStream_tbEUljE_EEESV_SW_SX_S14_S18_S1A_T6_T7_T9_mT8_S1C_bDpT10_ENKUlT_T0_E_clISt17integral_constantIbLb1EES1P_EEDaS1K_S1L_EUlS1K_E_NS1_11comp_targetILNS1_3genE10ELNS1_11target_archE1200ELNS1_3gpuE4ELNS1_3repE0EEENS1_30default_config_static_selectorELNS0_4arch9wavefront6targetE0EEEvSY_, .Lfunc_end166-_ZN7rocprim17ROCPRIM_400000_NS6detail17trampoline_kernelINS0_13select_configILj256ELj13ELNS0_17block_load_methodE3ELS4_3ELS4_3ELNS0_20block_scan_algorithmE0ELj4294967295EEENS1_25partition_config_selectorILNS1_17partition_subalgoE3EjNS0_10empty_typeEbEEZZNS1_14partition_implILS8_3ELb0ES6_jNS0_17counting_iteratorIjlEEPS9_SE_NS0_5tupleIJPjSE_EEENSF_IJSE_SE_EEES9_SG_JZNS1_25segmented_radix_sort_implINS0_14default_configELb0EPKhPhPKlPlN2at6native12_GLOBAL__N_18offset_tEEE10hipError_tPvRmT1_PNSt15iterator_traitsISY_E10value_typeET2_T3_PNSZ_IS14_E10value_typeET4_jRbjT5_S1A_jjP12ihipStream_tbEUljE_EEESV_SW_SX_S14_S18_S1A_T6_T7_T9_mT8_S1C_bDpT10_ENKUlT_T0_E_clISt17integral_constantIbLb1EES1P_EEDaS1K_S1L_EUlS1K_E_NS1_11comp_targetILNS1_3genE10ELNS1_11target_archE1200ELNS1_3gpuE4ELNS1_3repE0EEENS1_30default_config_static_selectorELNS0_4arch9wavefront6targetE0EEEvSY_
                                        ; -- End function
	.set _ZN7rocprim17ROCPRIM_400000_NS6detail17trampoline_kernelINS0_13select_configILj256ELj13ELNS0_17block_load_methodE3ELS4_3ELS4_3ELNS0_20block_scan_algorithmE0ELj4294967295EEENS1_25partition_config_selectorILNS1_17partition_subalgoE3EjNS0_10empty_typeEbEEZZNS1_14partition_implILS8_3ELb0ES6_jNS0_17counting_iteratorIjlEEPS9_SE_NS0_5tupleIJPjSE_EEENSF_IJSE_SE_EEES9_SG_JZNS1_25segmented_radix_sort_implINS0_14default_configELb0EPKhPhPKlPlN2at6native12_GLOBAL__N_18offset_tEEE10hipError_tPvRmT1_PNSt15iterator_traitsISY_E10value_typeET2_T3_PNSZ_IS14_E10value_typeET4_jRbjT5_S1A_jjP12ihipStream_tbEUljE_EEESV_SW_SX_S14_S18_S1A_T6_T7_T9_mT8_S1C_bDpT10_ENKUlT_T0_E_clISt17integral_constantIbLb1EES1P_EEDaS1K_S1L_EUlS1K_E_NS1_11comp_targetILNS1_3genE10ELNS1_11target_archE1200ELNS1_3gpuE4ELNS1_3repE0EEENS1_30default_config_static_selectorELNS0_4arch9wavefront6targetE0EEEvSY_.num_vgpr, 0
	.set _ZN7rocprim17ROCPRIM_400000_NS6detail17trampoline_kernelINS0_13select_configILj256ELj13ELNS0_17block_load_methodE3ELS4_3ELS4_3ELNS0_20block_scan_algorithmE0ELj4294967295EEENS1_25partition_config_selectorILNS1_17partition_subalgoE3EjNS0_10empty_typeEbEEZZNS1_14partition_implILS8_3ELb0ES6_jNS0_17counting_iteratorIjlEEPS9_SE_NS0_5tupleIJPjSE_EEENSF_IJSE_SE_EEES9_SG_JZNS1_25segmented_radix_sort_implINS0_14default_configELb0EPKhPhPKlPlN2at6native12_GLOBAL__N_18offset_tEEE10hipError_tPvRmT1_PNSt15iterator_traitsISY_E10value_typeET2_T3_PNSZ_IS14_E10value_typeET4_jRbjT5_S1A_jjP12ihipStream_tbEUljE_EEESV_SW_SX_S14_S18_S1A_T6_T7_T9_mT8_S1C_bDpT10_ENKUlT_T0_E_clISt17integral_constantIbLb1EES1P_EEDaS1K_S1L_EUlS1K_E_NS1_11comp_targetILNS1_3genE10ELNS1_11target_archE1200ELNS1_3gpuE4ELNS1_3repE0EEENS1_30default_config_static_selectorELNS0_4arch9wavefront6targetE0EEEvSY_.num_agpr, 0
	.set _ZN7rocprim17ROCPRIM_400000_NS6detail17trampoline_kernelINS0_13select_configILj256ELj13ELNS0_17block_load_methodE3ELS4_3ELS4_3ELNS0_20block_scan_algorithmE0ELj4294967295EEENS1_25partition_config_selectorILNS1_17partition_subalgoE3EjNS0_10empty_typeEbEEZZNS1_14partition_implILS8_3ELb0ES6_jNS0_17counting_iteratorIjlEEPS9_SE_NS0_5tupleIJPjSE_EEENSF_IJSE_SE_EEES9_SG_JZNS1_25segmented_radix_sort_implINS0_14default_configELb0EPKhPhPKlPlN2at6native12_GLOBAL__N_18offset_tEEE10hipError_tPvRmT1_PNSt15iterator_traitsISY_E10value_typeET2_T3_PNSZ_IS14_E10value_typeET4_jRbjT5_S1A_jjP12ihipStream_tbEUljE_EEESV_SW_SX_S14_S18_S1A_T6_T7_T9_mT8_S1C_bDpT10_ENKUlT_T0_E_clISt17integral_constantIbLb1EES1P_EEDaS1K_S1L_EUlS1K_E_NS1_11comp_targetILNS1_3genE10ELNS1_11target_archE1200ELNS1_3gpuE4ELNS1_3repE0EEENS1_30default_config_static_selectorELNS0_4arch9wavefront6targetE0EEEvSY_.numbered_sgpr, 0
	.set _ZN7rocprim17ROCPRIM_400000_NS6detail17trampoline_kernelINS0_13select_configILj256ELj13ELNS0_17block_load_methodE3ELS4_3ELS4_3ELNS0_20block_scan_algorithmE0ELj4294967295EEENS1_25partition_config_selectorILNS1_17partition_subalgoE3EjNS0_10empty_typeEbEEZZNS1_14partition_implILS8_3ELb0ES6_jNS0_17counting_iteratorIjlEEPS9_SE_NS0_5tupleIJPjSE_EEENSF_IJSE_SE_EEES9_SG_JZNS1_25segmented_radix_sort_implINS0_14default_configELb0EPKhPhPKlPlN2at6native12_GLOBAL__N_18offset_tEEE10hipError_tPvRmT1_PNSt15iterator_traitsISY_E10value_typeET2_T3_PNSZ_IS14_E10value_typeET4_jRbjT5_S1A_jjP12ihipStream_tbEUljE_EEESV_SW_SX_S14_S18_S1A_T6_T7_T9_mT8_S1C_bDpT10_ENKUlT_T0_E_clISt17integral_constantIbLb1EES1P_EEDaS1K_S1L_EUlS1K_E_NS1_11comp_targetILNS1_3genE10ELNS1_11target_archE1200ELNS1_3gpuE4ELNS1_3repE0EEENS1_30default_config_static_selectorELNS0_4arch9wavefront6targetE0EEEvSY_.num_named_barrier, 0
	.set _ZN7rocprim17ROCPRIM_400000_NS6detail17trampoline_kernelINS0_13select_configILj256ELj13ELNS0_17block_load_methodE3ELS4_3ELS4_3ELNS0_20block_scan_algorithmE0ELj4294967295EEENS1_25partition_config_selectorILNS1_17partition_subalgoE3EjNS0_10empty_typeEbEEZZNS1_14partition_implILS8_3ELb0ES6_jNS0_17counting_iteratorIjlEEPS9_SE_NS0_5tupleIJPjSE_EEENSF_IJSE_SE_EEES9_SG_JZNS1_25segmented_radix_sort_implINS0_14default_configELb0EPKhPhPKlPlN2at6native12_GLOBAL__N_18offset_tEEE10hipError_tPvRmT1_PNSt15iterator_traitsISY_E10value_typeET2_T3_PNSZ_IS14_E10value_typeET4_jRbjT5_S1A_jjP12ihipStream_tbEUljE_EEESV_SW_SX_S14_S18_S1A_T6_T7_T9_mT8_S1C_bDpT10_ENKUlT_T0_E_clISt17integral_constantIbLb1EES1P_EEDaS1K_S1L_EUlS1K_E_NS1_11comp_targetILNS1_3genE10ELNS1_11target_archE1200ELNS1_3gpuE4ELNS1_3repE0EEENS1_30default_config_static_selectorELNS0_4arch9wavefront6targetE0EEEvSY_.private_seg_size, 0
	.set _ZN7rocprim17ROCPRIM_400000_NS6detail17trampoline_kernelINS0_13select_configILj256ELj13ELNS0_17block_load_methodE3ELS4_3ELS4_3ELNS0_20block_scan_algorithmE0ELj4294967295EEENS1_25partition_config_selectorILNS1_17partition_subalgoE3EjNS0_10empty_typeEbEEZZNS1_14partition_implILS8_3ELb0ES6_jNS0_17counting_iteratorIjlEEPS9_SE_NS0_5tupleIJPjSE_EEENSF_IJSE_SE_EEES9_SG_JZNS1_25segmented_radix_sort_implINS0_14default_configELb0EPKhPhPKlPlN2at6native12_GLOBAL__N_18offset_tEEE10hipError_tPvRmT1_PNSt15iterator_traitsISY_E10value_typeET2_T3_PNSZ_IS14_E10value_typeET4_jRbjT5_S1A_jjP12ihipStream_tbEUljE_EEESV_SW_SX_S14_S18_S1A_T6_T7_T9_mT8_S1C_bDpT10_ENKUlT_T0_E_clISt17integral_constantIbLb1EES1P_EEDaS1K_S1L_EUlS1K_E_NS1_11comp_targetILNS1_3genE10ELNS1_11target_archE1200ELNS1_3gpuE4ELNS1_3repE0EEENS1_30default_config_static_selectorELNS0_4arch9wavefront6targetE0EEEvSY_.uses_vcc, 0
	.set _ZN7rocprim17ROCPRIM_400000_NS6detail17trampoline_kernelINS0_13select_configILj256ELj13ELNS0_17block_load_methodE3ELS4_3ELS4_3ELNS0_20block_scan_algorithmE0ELj4294967295EEENS1_25partition_config_selectorILNS1_17partition_subalgoE3EjNS0_10empty_typeEbEEZZNS1_14partition_implILS8_3ELb0ES6_jNS0_17counting_iteratorIjlEEPS9_SE_NS0_5tupleIJPjSE_EEENSF_IJSE_SE_EEES9_SG_JZNS1_25segmented_radix_sort_implINS0_14default_configELb0EPKhPhPKlPlN2at6native12_GLOBAL__N_18offset_tEEE10hipError_tPvRmT1_PNSt15iterator_traitsISY_E10value_typeET2_T3_PNSZ_IS14_E10value_typeET4_jRbjT5_S1A_jjP12ihipStream_tbEUljE_EEESV_SW_SX_S14_S18_S1A_T6_T7_T9_mT8_S1C_bDpT10_ENKUlT_T0_E_clISt17integral_constantIbLb1EES1P_EEDaS1K_S1L_EUlS1K_E_NS1_11comp_targetILNS1_3genE10ELNS1_11target_archE1200ELNS1_3gpuE4ELNS1_3repE0EEENS1_30default_config_static_selectorELNS0_4arch9wavefront6targetE0EEEvSY_.uses_flat_scratch, 0
	.set _ZN7rocprim17ROCPRIM_400000_NS6detail17trampoline_kernelINS0_13select_configILj256ELj13ELNS0_17block_load_methodE3ELS4_3ELS4_3ELNS0_20block_scan_algorithmE0ELj4294967295EEENS1_25partition_config_selectorILNS1_17partition_subalgoE3EjNS0_10empty_typeEbEEZZNS1_14partition_implILS8_3ELb0ES6_jNS0_17counting_iteratorIjlEEPS9_SE_NS0_5tupleIJPjSE_EEENSF_IJSE_SE_EEES9_SG_JZNS1_25segmented_radix_sort_implINS0_14default_configELb0EPKhPhPKlPlN2at6native12_GLOBAL__N_18offset_tEEE10hipError_tPvRmT1_PNSt15iterator_traitsISY_E10value_typeET2_T3_PNSZ_IS14_E10value_typeET4_jRbjT5_S1A_jjP12ihipStream_tbEUljE_EEESV_SW_SX_S14_S18_S1A_T6_T7_T9_mT8_S1C_bDpT10_ENKUlT_T0_E_clISt17integral_constantIbLb1EES1P_EEDaS1K_S1L_EUlS1K_E_NS1_11comp_targetILNS1_3genE10ELNS1_11target_archE1200ELNS1_3gpuE4ELNS1_3repE0EEENS1_30default_config_static_selectorELNS0_4arch9wavefront6targetE0EEEvSY_.has_dyn_sized_stack, 0
	.set _ZN7rocprim17ROCPRIM_400000_NS6detail17trampoline_kernelINS0_13select_configILj256ELj13ELNS0_17block_load_methodE3ELS4_3ELS4_3ELNS0_20block_scan_algorithmE0ELj4294967295EEENS1_25partition_config_selectorILNS1_17partition_subalgoE3EjNS0_10empty_typeEbEEZZNS1_14partition_implILS8_3ELb0ES6_jNS0_17counting_iteratorIjlEEPS9_SE_NS0_5tupleIJPjSE_EEENSF_IJSE_SE_EEES9_SG_JZNS1_25segmented_radix_sort_implINS0_14default_configELb0EPKhPhPKlPlN2at6native12_GLOBAL__N_18offset_tEEE10hipError_tPvRmT1_PNSt15iterator_traitsISY_E10value_typeET2_T3_PNSZ_IS14_E10value_typeET4_jRbjT5_S1A_jjP12ihipStream_tbEUljE_EEESV_SW_SX_S14_S18_S1A_T6_T7_T9_mT8_S1C_bDpT10_ENKUlT_T0_E_clISt17integral_constantIbLb1EES1P_EEDaS1K_S1L_EUlS1K_E_NS1_11comp_targetILNS1_3genE10ELNS1_11target_archE1200ELNS1_3gpuE4ELNS1_3repE0EEENS1_30default_config_static_selectorELNS0_4arch9wavefront6targetE0EEEvSY_.has_recursion, 0
	.set _ZN7rocprim17ROCPRIM_400000_NS6detail17trampoline_kernelINS0_13select_configILj256ELj13ELNS0_17block_load_methodE3ELS4_3ELS4_3ELNS0_20block_scan_algorithmE0ELj4294967295EEENS1_25partition_config_selectorILNS1_17partition_subalgoE3EjNS0_10empty_typeEbEEZZNS1_14partition_implILS8_3ELb0ES6_jNS0_17counting_iteratorIjlEEPS9_SE_NS0_5tupleIJPjSE_EEENSF_IJSE_SE_EEES9_SG_JZNS1_25segmented_radix_sort_implINS0_14default_configELb0EPKhPhPKlPlN2at6native12_GLOBAL__N_18offset_tEEE10hipError_tPvRmT1_PNSt15iterator_traitsISY_E10value_typeET2_T3_PNSZ_IS14_E10value_typeET4_jRbjT5_S1A_jjP12ihipStream_tbEUljE_EEESV_SW_SX_S14_S18_S1A_T6_T7_T9_mT8_S1C_bDpT10_ENKUlT_T0_E_clISt17integral_constantIbLb1EES1P_EEDaS1K_S1L_EUlS1K_E_NS1_11comp_targetILNS1_3genE10ELNS1_11target_archE1200ELNS1_3gpuE4ELNS1_3repE0EEENS1_30default_config_static_selectorELNS0_4arch9wavefront6targetE0EEEvSY_.has_indirect_call, 0
	.section	.AMDGPU.csdata,"",@progbits
; Kernel info:
; codeLenInByte = 0
; TotalNumSgprs: 0
; NumVgprs: 0
; ScratchSize: 0
; MemoryBound: 0
; FloatMode: 240
; IeeeMode: 1
; LDSByteSize: 0 bytes/workgroup (compile time only)
; SGPRBlocks: 0
; VGPRBlocks: 0
; NumSGPRsForWavesPerEU: 1
; NumVGPRsForWavesPerEU: 1
; NamedBarCnt: 0
; Occupancy: 16
; WaveLimiterHint : 0
; COMPUTE_PGM_RSRC2:SCRATCH_EN: 0
; COMPUTE_PGM_RSRC2:USER_SGPR: 2
; COMPUTE_PGM_RSRC2:TRAP_HANDLER: 0
; COMPUTE_PGM_RSRC2:TGID_X_EN: 1
; COMPUTE_PGM_RSRC2:TGID_Y_EN: 0
; COMPUTE_PGM_RSRC2:TGID_Z_EN: 0
; COMPUTE_PGM_RSRC2:TIDIG_COMP_CNT: 0
	.section	.text._ZN7rocprim17ROCPRIM_400000_NS6detail17trampoline_kernelINS0_13select_configILj256ELj13ELNS0_17block_load_methodE3ELS4_3ELS4_3ELNS0_20block_scan_algorithmE0ELj4294967295EEENS1_25partition_config_selectorILNS1_17partition_subalgoE3EjNS0_10empty_typeEbEEZZNS1_14partition_implILS8_3ELb0ES6_jNS0_17counting_iteratorIjlEEPS9_SE_NS0_5tupleIJPjSE_EEENSF_IJSE_SE_EEES9_SG_JZNS1_25segmented_radix_sort_implINS0_14default_configELb0EPKhPhPKlPlN2at6native12_GLOBAL__N_18offset_tEEE10hipError_tPvRmT1_PNSt15iterator_traitsISY_E10value_typeET2_T3_PNSZ_IS14_E10value_typeET4_jRbjT5_S1A_jjP12ihipStream_tbEUljE_EEESV_SW_SX_S14_S18_S1A_T6_T7_T9_mT8_S1C_bDpT10_ENKUlT_T0_E_clISt17integral_constantIbLb1EES1P_EEDaS1K_S1L_EUlS1K_E_NS1_11comp_targetILNS1_3genE9ELNS1_11target_archE1100ELNS1_3gpuE3ELNS1_3repE0EEENS1_30default_config_static_selectorELNS0_4arch9wavefront6targetE0EEEvSY_,"axG",@progbits,_ZN7rocprim17ROCPRIM_400000_NS6detail17trampoline_kernelINS0_13select_configILj256ELj13ELNS0_17block_load_methodE3ELS4_3ELS4_3ELNS0_20block_scan_algorithmE0ELj4294967295EEENS1_25partition_config_selectorILNS1_17partition_subalgoE3EjNS0_10empty_typeEbEEZZNS1_14partition_implILS8_3ELb0ES6_jNS0_17counting_iteratorIjlEEPS9_SE_NS0_5tupleIJPjSE_EEENSF_IJSE_SE_EEES9_SG_JZNS1_25segmented_radix_sort_implINS0_14default_configELb0EPKhPhPKlPlN2at6native12_GLOBAL__N_18offset_tEEE10hipError_tPvRmT1_PNSt15iterator_traitsISY_E10value_typeET2_T3_PNSZ_IS14_E10value_typeET4_jRbjT5_S1A_jjP12ihipStream_tbEUljE_EEESV_SW_SX_S14_S18_S1A_T6_T7_T9_mT8_S1C_bDpT10_ENKUlT_T0_E_clISt17integral_constantIbLb1EES1P_EEDaS1K_S1L_EUlS1K_E_NS1_11comp_targetILNS1_3genE9ELNS1_11target_archE1100ELNS1_3gpuE3ELNS1_3repE0EEENS1_30default_config_static_selectorELNS0_4arch9wavefront6targetE0EEEvSY_,comdat
	.globl	_ZN7rocprim17ROCPRIM_400000_NS6detail17trampoline_kernelINS0_13select_configILj256ELj13ELNS0_17block_load_methodE3ELS4_3ELS4_3ELNS0_20block_scan_algorithmE0ELj4294967295EEENS1_25partition_config_selectorILNS1_17partition_subalgoE3EjNS0_10empty_typeEbEEZZNS1_14partition_implILS8_3ELb0ES6_jNS0_17counting_iteratorIjlEEPS9_SE_NS0_5tupleIJPjSE_EEENSF_IJSE_SE_EEES9_SG_JZNS1_25segmented_radix_sort_implINS0_14default_configELb0EPKhPhPKlPlN2at6native12_GLOBAL__N_18offset_tEEE10hipError_tPvRmT1_PNSt15iterator_traitsISY_E10value_typeET2_T3_PNSZ_IS14_E10value_typeET4_jRbjT5_S1A_jjP12ihipStream_tbEUljE_EEESV_SW_SX_S14_S18_S1A_T6_T7_T9_mT8_S1C_bDpT10_ENKUlT_T0_E_clISt17integral_constantIbLb1EES1P_EEDaS1K_S1L_EUlS1K_E_NS1_11comp_targetILNS1_3genE9ELNS1_11target_archE1100ELNS1_3gpuE3ELNS1_3repE0EEENS1_30default_config_static_selectorELNS0_4arch9wavefront6targetE0EEEvSY_ ; -- Begin function _ZN7rocprim17ROCPRIM_400000_NS6detail17trampoline_kernelINS0_13select_configILj256ELj13ELNS0_17block_load_methodE3ELS4_3ELS4_3ELNS0_20block_scan_algorithmE0ELj4294967295EEENS1_25partition_config_selectorILNS1_17partition_subalgoE3EjNS0_10empty_typeEbEEZZNS1_14partition_implILS8_3ELb0ES6_jNS0_17counting_iteratorIjlEEPS9_SE_NS0_5tupleIJPjSE_EEENSF_IJSE_SE_EEES9_SG_JZNS1_25segmented_radix_sort_implINS0_14default_configELb0EPKhPhPKlPlN2at6native12_GLOBAL__N_18offset_tEEE10hipError_tPvRmT1_PNSt15iterator_traitsISY_E10value_typeET2_T3_PNSZ_IS14_E10value_typeET4_jRbjT5_S1A_jjP12ihipStream_tbEUljE_EEESV_SW_SX_S14_S18_S1A_T6_T7_T9_mT8_S1C_bDpT10_ENKUlT_T0_E_clISt17integral_constantIbLb1EES1P_EEDaS1K_S1L_EUlS1K_E_NS1_11comp_targetILNS1_3genE9ELNS1_11target_archE1100ELNS1_3gpuE3ELNS1_3repE0EEENS1_30default_config_static_selectorELNS0_4arch9wavefront6targetE0EEEvSY_
	.p2align	8
	.type	_ZN7rocprim17ROCPRIM_400000_NS6detail17trampoline_kernelINS0_13select_configILj256ELj13ELNS0_17block_load_methodE3ELS4_3ELS4_3ELNS0_20block_scan_algorithmE0ELj4294967295EEENS1_25partition_config_selectorILNS1_17partition_subalgoE3EjNS0_10empty_typeEbEEZZNS1_14partition_implILS8_3ELb0ES6_jNS0_17counting_iteratorIjlEEPS9_SE_NS0_5tupleIJPjSE_EEENSF_IJSE_SE_EEES9_SG_JZNS1_25segmented_radix_sort_implINS0_14default_configELb0EPKhPhPKlPlN2at6native12_GLOBAL__N_18offset_tEEE10hipError_tPvRmT1_PNSt15iterator_traitsISY_E10value_typeET2_T3_PNSZ_IS14_E10value_typeET4_jRbjT5_S1A_jjP12ihipStream_tbEUljE_EEESV_SW_SX_S14_S18_S1A_T6_T7_T9_mT8_S1C_bDpT10_ENKUlT_T0_E_clISt17integral_constantIbLb1EES1P_EEDaS1K_S1L_EUlS1K_E_NS1_11comp_targetILNS1_3genE9ELNS1_11target_archE1100ELNS1_3gpuE3ELNS1_3repE0EEENS1_30default_config_static_selectorELNS0_4arch9wavefront6targetE0EEEvSY_,@function
_ZN7rocprim17ROCPRIM_400000_NS6detail17trampoline_kernelINS0_13select_configILj256ELj13ELNS0_17block_load_methodE3ELS4_3ELS4_3ELNS0_20block_scan_algorithmE0ELj4294967295EEENS1_25partition_config_selectorILNS1_17partition_subalgoE3EjNS0_10empty_typeEbEEZZNS1_14partition_implILS8_3ELb0ES6_jNS0_17counting_iteratorIjlEEPS9_SE_NS0_5tupleIJPjSE_EEENSF_IJSE_SE_EEES9_SG_JZNS1_25segmented_radix_sort_implINS0_14default_configELb0EPKhPhPKlPlN2at6native12_GLOBAL__N_18offset_tEEE10hipError_tPvRmT1_PNSt15iterator_traitsISY_E10value_typeET2_T3_PNSZ_IS14_E10value_typeET4_jRbjT5_S1A_jjP12ihipStream_tbEUljE_EEESV_SW_SX_S14_S18_S1A_T6_T7_T9_mT8_S1C_bDpT10_ENKUlT_T0_E_clISt17integral_constantIbLb1EES1P_EEDaS1K_S1L_EUlS1K_E_NS1_11comp_targetILNS1_3genE9ELNS1_11target_archE1100ELNS1_3gpuE3ELNS1_3repE0EEENS1_30default_config_static_selectorELNS0_4arch9wavefront6targetE0EEEvSY_: ; @_ZN7rocprim17ROCPRIM_400000_NS6detail17trampoline_kernelINS0_13select_configILj256ELj13ELNS0_17block_load_methodE3ELS4_3ELS4_3ELNS0_20block_scan_algorithmE0ELj4294967295EEENS1_25partition_config_selectorILNS1_17partition_subalgoE3EjNS0_10empty_typeEbEEZZNS1_14partition_implILS8_3ELb0ES6_jNS0_17counting_iteratorIjlEEPS9_SE_NS0_5tupleIJPjSE_EEENSF_IJSE_SE_EEES9_SG_JZNS1_25segmented_radix_sort_implINS0_14default_configELb0EPKhPhPKlPlN2at6native12_GLOBAL__N_18offset_tEEE10hipError_tPvRmT1_PNSt15iterator_traitsISY_E10value_typeET2_T3_PNSZ_IS14_E10value_typeET4_jRbjT5_S1A_jjP12ihipStream_tbEUljE_EEESV_SW_SX_S14_S18_S1A_T6_T7_T9_mT8_S1C_bDpT10_ENKUlT_T0_E_clISt17integral_constantIbLb1EES1P_EEDaS1K_S1L_EUlS1K_E_NS1_11comp_targetILNS1_3genE9ELNS1_11target_archE1100ELNS1_3gpuE3ELNS1_3repE0EEENS1_30default_config_static_selectorELNS0_4arch9wavefront6targetE0EEEvSY_
; %bb.0:
	.section	.rodata,"a",@progbits
	.p2align	6, 0x0
	.amdhsa_kernel _ZN7rocprim17ROCPRIM_400000_NS6detail17trampoline_kernelINS0_13select_configILj256ELj13ELNS0_17block_load_methodE3ELS4_3ELS4_3ELNS0_20block_scan_algorithmE0ELj4294967295EEENS1_25partition_config_selectorILNS1_17partition_subalgoE3EjNS0_10empty_typeEbEEZZNS1_14partition_implILS8_3ELb0ES6_jNS0_17counting_iteratorIjlEEPS9_SE_NS0_5tupleIJPjSE_EEENSF_IJSE_SE_EEES9_SG_JZNS1_25segmented_radix_sort_implINS0_14default_configELb0EPKhPhPKlPlN2at6native12_GLOBAL__N_18offset_tEEE10hipError_tPvRmT1_PNSt15iterator_traitsISY_E10value_typeET2_T3_PNSZ_IS14_E10value_typeET4_jRbjT5_S1A_jjP12ihipStream_tbEUljE_EEESV_SW_SX_S14_S18_S1A_T6_T7_T9_mT8_S1C_bDpT10_ENKUlT_T0_E_clISt17integral_constantIbLb1EES1P_EEDaS1K_S1L_EUlS1K_E_NS1_11comp_targetILNS1_3genE9ELNS1_11target_archE1100ELNS1_3gpuE3ELNS1_3repE0EEENS1_30default_config_static_selectorELNS0_4arch9wavefront6targetE0EEEvSY_
		.amdhsa_group_segment_fixed_size 0
		.amdhsa_private_segment_fixed_size 0
		.amdhsa_kernarg_size 152
		.amdhsa_user_sgpr_count 2
		.amdhsa_user_sgpr_dispatch_ptr 0
		.amdhsa_user_sgpr_queue_ptr 0
		.amdhsa_user_sgpr_kernarg_segment_ptr 1
		.amdhsa_user_sgpr_dispatch_id 0
		.amdhsa_user_sgpr_kernarg_preload_length 0
		.amdhsa_user_sgpr_kernarg_preload_offset 0
		.amdhsa_user_sgpr_private_segment_size 0
		.amdhsa_wavefront_size32 1
		.amdhsa_uses_dynamic_stack 0
		.amdhsa_enable_private_segment 0
		.amdhsa_system_sgpr_workgroup_id_x 1
		.amdhsa_system_sgpr_workgroup_id_y 0
		.amdhsa_system_sgpr_workgroup_id_z 0
		.amdhsa_system_sgpr_workgroup_info 0
		.amdhsa_system_vgpr_workitem_id 0
		.amdhsa_next_free_vgpr 1
		.amdhsa_next_free_sgpr 1
		.amdhsa_named_barrier_count 0
		.amdhsa_reserve_vcc 0
		.amdhsa_float_round_mode_32 0
		.amdhsa_float_round_mode_16_64 0
		.amdhsa_float_denorm_mode_32 3
		.amdhsa_float_denorm_mode_16_64 3
		.amdhsa_fp16_overflow 0
		.amdhsa_memory_ordered 1
		.amdhsa_forward_progress 1
		.amdhsa_inst_pref_size 0
		.amdhsa_round_robin_scheduling 0
		.amdhsa_exception_fp_ieee_invalid_op 0
		.amdhsa_exception_fp_denorm_src 0
		.amdhsa_exception_fp_ieee_div_zero 0
		.amdhsa_exception_fp_ieee_overflow 0
		.amdhsa_exception_fp_ieee_underflow 0
		.amdhsa_exception_fp_ieee_inexact 0
		.amdhsa_exception_int_div_zero 0
	.end_amdhsa_kernel
	.section	.text._ZN7rocprim17ROCPRIM_400000_NS6detail17trampoline_kernelINS0_13select_configILj256ELj13ELNS0_17block_load_methodE3ELS4_3ELS4_3ELNS0_20block_scan_algorithmE0ELj4294967295EEENS1_25partition_config_selectorILNS1_17partition_subalgoE3EjNS0_10empty_typeEbEEZZNS1_14partition_implILS8_3ELb0ES6_jNS0_17counting_iteratorIjlEEPS9_SE_NS0_5tupleIJPjSE_EEENSF_IJSE_SE_EEES9_SG_JZNS1_25segmented_radix_sort_implINS0_14default_configELb0EPKhPhPKlPlN2at6native12_GLOBAL__N_18offset_tEEE10hipError_tPvRmT1_PNSt15iterator_traitsISY_E10value_typeET2_T3_PNSZ_IS14_E10value_typeET4_jRbjT5_S1A_jjP12ihipStream_tbEUljE_EEESV_SW_SX_S14_S18_S1A_T6_T7_T9_mT8_S1C_bDpT10_ENKUlT_T0_E_clISt17integral_constantIbLb1EES1P_EEDaS1K_S1L_EUlS1K_E_NS1_11comp_targetILNS1_3genE9ELNS1_11target_archE1100ELNS1_3gpuE3ELNS1_3repE0EEENS1_30default_config_static_selectorELNS0_4arch9wavefront6targetE0EEEvSY_,"axG",@progbits,_ZN7rocprim17ROCPRIM_400000_NS6detail17trampoline_kernelINS0_13select_configILj256ELj13ELNS0_17block_load_methodE3ELS4_3ELS4_3ELNS0_20block_scan_algorithmE0ELj4294967295EEENS1_25partition_config_selectorILNS1_17partition_subalgoE3EjNS0_10empty_typeEbEEZZNS1_14partition_implILS8_3ELb0ES6_jNS0_17counting_iteratorIjlEEPS9_SE_NS0_5tupleIJPjSE_EEENSF_IJSE_SE_EEES9_SG_JZNS1_25segmented_radix_sort_implINS0_14default_configELb0EPKhPhPKlPlN2at6native12_GLOBAL__N_18offset_tEEE10hipError_tPvRmT1_PNSt15iterator_traitsISY_E10value_typeET2_T3_PNSZ_IS14_E10value_typeET4_jRbjT5_S1A_jjP12ihipStream_tbEUljE_EEESV_SW_SX_S14_S18_S1A_T6_T7_T9_mT8_S1C_bDpT10_ENKUlT_T0_E_clISt17integral_constantIbLb1EES1P_EEDaS1K_S1L_EUlS1K_E_NS1_11comp_targetILNS1_3genE9ELNS1_11target_archE1100ELNS1_3gpuE3ELNS1_3repE0EEENS1_30default_config_static_selectorELNS0_4arch9wavefront6targetE0EEEvSY_,comdat
.Lfunc_end167:
	.size	_ZN7rocprim17ROCPRIM_400000_NS6detail17trampoline_kernelINS0_13select_configILj256ELj13ELNS0_17block_load_methodE3ELS4_3ELS4_3ELNS0_20block_scan_algorithmE0ELj4294967295EEENS1_25partition_config_selectorILNS1_17partition_subalgoE3EjNS0_10empty_typeEbEEZZNS1_14partition_implILS8_3ELb0ES6_jNS0_17counting_iteratorIjlEEPS9_SE_NS0_5tupleIJPjSE_EEENSF_IJSE_SE_EEES9_SG_JZNS1_25segmented_radix_sort_implINS0_14default_configELb0EPKhPhPKlPlN2at6native12_GLOBAL__N_18offset_tEEE10hipError_tPvRmT1_PNSt15iterator_traitsISY_E10value_typeET2_T3_PNSZ_IS14_E10value_typeET4_jRbjT5_S1A_jjP12ihipStream_tbEUljE_EEESV_SW_SX_S14_S18_S1A_T6_T7_T9_mT8_S1C_bDpT10_ENKUlT_T0_E_clISt17integral_constantIbLb1EES1P_EEDaS1K_S1L_EUlS1K_E_NS1_11comp_targetILNS1_3genE9ELNS1_11target_archE1100ELNS1_3gpuE3ELNS1_3repE0EEENS1_30default_config_static_selectorELNS0_4arch9wavefront6targetE0EEEvSY_, .Lfunc_end167-_ZN7rocprim17ROCPRIM_400000_NS6detail17trampoline_kernelINS0_13select_configILj256ELj13ELNS0_17block_load_methodE3ELS4_3ELS4_3ELNS0_20block_scan_algorithmE0ELj4294967295EEENS1_25partition_config_selectorILNS1_17partition_subalgoE3EjNS0_10empty_typeEbEEZZNS1_14partition_implILS8_3ELb0ES6_jNS0_17counting_iteratorIjlEEPS9_SE_NS0_5tupleIJPjSE_EEENSF_IJSE_SE_EEES9_SG_JZNS1_25segmented_radix_sort_implINS0_14default_configELb0EPKhPhPKlPlN2at6native12_GLOBAL__N_18offset_tEEE10hipError_tPvRmT1_PNSt15iterator_traitsISY_E10value_typeET2_T3_PNSZ_IS14_E10value_typeET4_jRbjT5_S1A_jjP12ihipStream_tbEUljE_EEESV_SW_SX_S14_S18_S1A_T6_T7_T9_mT8_S1C_bDpT10_ENKUlT_T0_E_clISt17integral_constantIbLb1EES1P_EEDaS1K_S1L_EUlS1K_E_NS1_11comp_targetILNS1_3genE9ELNS1_11target_archE1100ELNS1_3gpuE3ELNS1_3repE0EEENS1_30default_config_static_selectorELNS0_4arch9wavefront6targetE0EEEvSY_
                                        ; -- End function
	.set _ZN7rocprim17ROCPRIM_400000_NS6detail17trampoline_kernelINS0_13select_configILj256ELj13ELNS0_17block_load_methodE3ELS4_3ELS4_3ELNS0_20block_scan_algorithmE0ELj4294967295EEENS1_25partition_config_selectorILNS1_17partition_subalgoE3EjNS0_10empty_typeEbEEZZNS1_14partition_implILS8_3ELb0ES6_jNS0_17counting_iteratorIjlEEPS9_SE_NS0_5tupleIJPjSE_EEENSF_IJSE_SE_EEES9_SG_JZNS1_25segmented_radix_sort_implINS0_14default_configELb0EPKhPhPKlPlN2at6native12_GLOBAL__N_18offset_tEEE10hipError_tPvRmT1_PNSt15iterator_traitsISY_E10value_typeET2_T3_PNSZ_IS14_E10value_typeET4_jRbjT5_S1A_jjP12ihipStream_tbEUljE_EEESV_SW_SX_S14_S18_S1A_T6_T7_T9_mT8_S1C_bDpT10_ENKUlT_T0_E_clISt17integral_constantIbLb1EES1P_EEDaS1K_S1L_EUlS1K_E_NS1_11comp_targetILNS1_3genE9ELNS1_11target_archE1100ELNS1_3gpuE3ELNS1_3repE0EEENS1_30default_config_static_selectorELNS0_4arch9wavefront6targetE0EEEvSY_.num_vgpr, 0
	.set _ZN7rocprim17ROCPRIM_400000_NS6detail17trampoline_kernelINS0_13select_configILj256ELj13ELNS0_17block_load_methodE3ELS4_3ELS4_3ELNS0_20block_scan_algorithmE0ELj4294967295EEENS1_25partition_config_selectorILNS1_17partition_subalgoE3EjNS0_10empty_typeEbEEZZNS1_14partition_implILS8_3ELb0ES6_jNS0_17counting_iteratorIjlEEPS9_SE_NS0_5tupleIJPjSE_EEENSF_IJSE_SE_EEES9_SG_JZNS1_25segmented_radix_sort_implINS0_14default_configELb0EPKhPhPKlPlN2at6native12_GLOBAL__N_18offset_tEEE10hipError_tPvRmT1_PNSt15iterator_traitsISY_E10value_typeET2_T3_PNSZ_IS14_E10value_typeET4_jRbjT5_S1A_jjP12ihipStream_tbEUljE_EEESV_SW_SX_S14_S18_S1A_T6_T7_T9_mT8_S1C_bDpT10_ENKUlT_T0_E_clISt17integral_constantIbLb1EES1P_EEDaS1K_S1L_EUlS1K_E_NS1_11comp_targetILNS1_3genE9ELNS1_11target_archE1100ELNS1_3gpuE3ELNS1_3repE0EEENS1_30default_config_static_selectorELNS0_4arch9wavefront6targetE0EEEvSY_.num_agpr, 0
	.set _ZN7rocprim17ROCPRIM_400000_NS6detail17trampoline_kernelINS0_13select_configILj256ELj13ELNS0_17block_load_methodE3ELS4_3ELS4_3ELNS0_20block_scan_algorithmE0ELj4294967295EEENS1_25partition_config_selectorILNS1_17partition_subalgoE3EjNS0_10empty_typeEbEEZZNS1_14partition_implILS8_3ELb0ES6_jNS0_17counting_iteratorIjlEEPS9_SE_NS0_5tupleIJPjSE_EEENSF_IJSE_SE_EEES9_SG_JZNS1_25segmented_radix_sort_implINS0_14default_configELb0EPKhPhPKlPlN2at6native12_GLOBAL__N_18offset_tEEE10hipError_tPvRmT1_PNSt15iterator_traitsISY_E10value_typeET2_T3_PNSZ_IS14_E10value_typeET4_jRbjT5_S1A_jjP12ihipStream_tbEUljE_EEESV_SW_SX_S14_S18_S1A_T6_T7_T9_mT8_S1C_bDpT10_ENKUlT_T0_E_clISt17integral_constantIbLb1EES1P_EEDaS1K_S1L_EUlS1K_E_NS1_11comp_targetILNS1_3genE9ELNS1_11target_archE1100ELNS1_3gpuE3ELNS1_3repE0EEENS1_30default_config_static_selectorELNS0_4arch9wavefront6targetE0EEEvSY_.numbered_sgpr, 0
	.set _ZN7rocprim17ROCPRIM_400000_NS6detail17trampoline_kernelINS0_13select_configILj256ELj13ELNS0_17block_load_methodE3ELS4_3ELS4_3ELNS0_20block_scan_algorithmE0ELj4294967295EEENS1_25partition_config_selectorILNS1_17partition_subalgoE3EjNS0_10empty_typeEbEEZZNS1_14partition_implILS8_3ELb0ES6_jNS0_17counting_iteratorIjlEEPS9_SE_NS0_5tupleIJPjSE_EEENSF_IJSE_SE_EEES9_SG_JZNS1_25segmented_radix_sort_implINS0_14default_configELb0EPKhPhPKlPlN2at6native12_GLOBAL__N_18offset_tEEE10hipError_tPvRmT1_PNSt15iterator_traitsISY_E10value_typeET2_T3_PNSZ_IS14_E10value_typeET4_jRbjT5_S1A_jjP12ihipStream_tbEUljE_EEESV_SW_SX_S14_S18_S1A_T6_T7_T9_mT8_S1C_bDpT10_ENKUlT_T0_E_clISt17integral_constantIbLb1EES1P_EEDaS1K_S1L_EUlS1K_E_NS1_11comp_targetILNS1_3genE9ELNS1_11target_archE1100ELNS1_3gpuE3ELNS1_3repE0EEENS1_30default_config_static_selectorELNS0_4arch9wavefront6targetE0EEEvSY_.num_named_barrier, 0
	.set _ZN7rocprim17ROCPRIM_400000_NS6detail17trampoline_kernelINS0_13select_configILj256ELj13ELNS0_17block_load_methodE3ELS4_3ELS4_3ELNS0_20block_scan_algorithmE0ELj4294967295EEENS1_25partition_config_selectorILNS1_17partition_subalgoE3EjNS0_10empty_typeEbEEZZNS1_14partition_implILS8_3ELb0ES6_jNS0_17counting_iteratorIjlEEPS9_SE_NS0_5tupleIJPjSE_EEENSF_IJSE_SE_EEES9_SG_JZNS1_25segmented_radix_sort_implINS0_14default_configELb0EPKhPhPKlPlN2at6native12_GLOBAL__N_18offset_tEEE10hipError_tPvRmT1_PNSt15iterator_traitsISY_E10value_typeET2_T3_PNSZ_IS14_E10value_typeET4_jRbjT5_S1A_jjP12ihipStream_tbEUljE_EEESV_SW_SX_S14_S18_S1A_T6_T7_T9_mT8_S1C_bDpT10_ENKUlT_T0_E_clISt17integral_constantIbLb1EES1P_EEDaS1K_S1L_EUlS1K_E_NS1_11comp_targetILNS1_3genE9ELNS1_11target_archE1100ELNS1_3gpuE3ELNS1_3repE0EEENS1_30default_config_static_selectorELNS0_4arch9wavefront6targetE0EEEvSY_.private_seg_size, 0
	.set _ZN7rocprim17ROCPRIM_400000_NS6detail17trampoline_kernelINS0_13select_configILj256ELj13ELNS0_17block_load_methodE3ELS4_3ELS4_3ELNS0_20block_scan_algorithmE0ELj4294967295EEENS1_25partition_config_selectorILNS1_17partition_subalgoE3EjNS0_10empty_typeEbEEZZNS1_14partition_implILS8_3ELb0ES6_jNS0_17counting_iteratorIjlEEPS9_SE_NS0_5tupleIJPjSE_EEENSF_IJSE_SE_EEES9_SG_JZNS1_25segmented_radix_sort_implINS0_14default_configELb0EPKhPhPKlPlN2at6native12_GLOBAL__N_18offset_tEEE10hipError_tPvRmT1_PNSt15iterator_traitsISY_E10value_typeET2_T3_PNSZ_IS14_E10value_typeET4_jRbjT5_S1A_jjP12ihipStream_tbEUljE_EEESV_SW_SX_S14_S18_S1A_T6_T7_T9_mT8_S1C_bDpT10_ENKUlT_T0_E_clISt17integral_constantIbLb1EES1P_EEDaS1K_S1L_EUlS1K_E_NS1_11comp_targetILNS1_3genE9ELNS1_11target_archE1100ELNS1_3gpuE3ELNS1_3repE0EEENS1_30default_config_static_selectorELNS0_4arch9wavefront6targetE0EEEvSY_.uses_vcc, 0
	.set _ZN7rocprim17ROCPRIM_400000_NS6detail17trampoline_kernelINS0_13select_configILj256ELj13ELNS0_17block_load_methodE3ELS4_3ELS4_3ELNS0_20block_scan_algorithmE0ELj4294967295EEENS1_25partition_config_selectorILNS1_17partition_subalgoE3EjNS0_10empty_typeEbEEZZNS1_14partition_implILS8_3ELb0ES6_jNS0_17counting_iteratorIjlEEPS9_SE_NS0_5tupleIJPjSE_EEENSF_IJSE_SE_EEES9_SG_JZNS1_25segmented_radix_sort_implINS0_14default_configELb0EPKhPhPKlPlN2at6native12_GLOBAL__N_18offset_tEEE10hipError_tPvRmT1_PNSt15iterator_traitsISY_E10value_typeET2_T3_PNSZ_IS14_E10value_typeET4_jRbjT5_S1A_jjP12ihipStream_tbEUljE_EEESV_SW_SX_S14_S18_S1A_T6_T7_T9_mT8_S1C_bDpT10_ENKUlT_T0_E_clISt17integral_constantIbLb1EES1P_EEDaS1K_S1L_EUlS1K_E_NS1_11comp_targetILNS1_3genE9ELNS1_11target_archE1100ELNS1_3gpuE3ELNS1_3repE0EEENS1_30default_config_static_selectorELNS0_4arch9wavefront6targetE0EEEvSY_.uses_flat_scratch, 0
	.set _ZN7rocprim17ROCPRIM_400000_NS6detail17trampoline_kernelINS0_13select_configILj256ELj13ELNS0_17block_load_methodE3ELS4_3ELS4_3ELNS0_20block_scan_algorithmE0ELj4294967295EEENS1_25partition_config_selectorILNS1_17partition_subalgoE3EjNS0_10empty_typeEbEEZZNS1_14partition_implILS8_3ELb0ES6_jNS0_17counting_iteratorIjlEEPS9_SE_NS0_5tupleIJPjSE_EEENSF_IJSE_SE_EEES9_SG_JZNS1_25segmented_radix_sort_implINS0_14default_configELb0EPKhPhPKlPlN2at6native12_GLOBAL__N_18offset_tEEE10hipError_tPvRmT1_PNSt15iterator_traitsISY_E10value_typeET2_T3_PNSZ_IS14_E10value_typeET4_jRbjT5_S1A_jjP12ihipStream_tbEUljE_EEESV_SW_SX_S14_S18_S1A_T6_T7_T9_mT8_S1C_bDpT10_ENKUlT_T0_E_clISt17integral_constantIbLb1EES1P_EEDaS1K_S1L_EUlS1K_E_NS1_11comp_targetILNS1_3genE9ELNS1_11target_archE1100ELNS1_3gpuE3ELNS1_3repE0EEENS1_30default_config_static_selectorELNS0_4arch9wavefront6targetE0EEEvSY_.has_dyn_sized_stack, 0
	.set _ZN7rocprim17ROCPRIM_400000_NS6detail17trampoline_kernelINS0_13select_configILj256ELj13ELNS0_17block_load_methodE3ELS4_3ELS4_3ELNS0_20block_scan_algorithmE0ELj4294967295EEENS1_25partition_config_selectorILNS1_17partition_subalgoE3EjNS0_10empty_typeEbEEZZNS1_14partition_implILS8_3ELb0ES6_jNS0_17counting_iteratorIjlEEPS9_SE_NS0_5tupleIJPjSE_EEENSF_IJSE_SE_EEES9_SG_JZNS1_25segmented_radix_sort_implINS0_14default_configELb0EPKhPhPKlPlN2at6native12_GLOBAL__N_18offset_tEEE10hipError_tPvRmT1_PNSt15iterator_traitsISY_E10value_typeET2_T3_PNSZ_IS14_E10value_typeET4_jRbjT5_S1A_jjP12ihipStream_tbEUljE_EEESV_SW_SX_S14_S18_S1A_T6_T7_T9_mT8_S1C_bDpT10_ENKUlT_T0_E_clISt17integral_constantIbLb1EES1P_EEDaS1K_S1L_EUlS1K_E_NS1_11comp_targetILNS1_3genE9ELNS1_11target_archE1100ELNS1_3gpuE3ELNS1_3repE0EEENS1_30default_config_static_selectorELNS0_4arch9wavefront6targetE0EEEvSY_.has_recursion, 0
	.set _ZN7rocprim17ROCPRIM_400000_NS6detail17trampoline_kernelINS0_13select_configILj256ELj13ELNS0_17block_load_methodE3ELS4_3ELS4_3ELNS0_20block_scan_algorithmE0ELj4294967295EEENS1_25partition_config_selectorILNS1_17partition_subalgoE3EjNS0_10empty_typeEbEEZZNS1_14partition_implILS8_3ELb0ES6_jNS0_17counting_iteratorIjlEEPS9_SE_NS0_5tupleIJPjSE_EEENSF_IJSE_SE_EEES9_SG_JZNS1_25segmented_radix_sort_implINS0_14default_configELb0EPKhPhPKlPlN2at6native12_GLOBAL__N_18offset_tEEE10hipError_tPvRmT1_PNSt15iterator_traitsISY_E10value_typeET2_T3_PNSZ_IS14_E10value_typeET4_jRbjT5_S1A_jjP12ihipStream_tbEUljE_EEESV_SW_SX_S14_S18_S1A_T6_T7_T9_mT8_S1C_bDpT10_ENKUlT_T0_E_clISt17integral_constantIbLb1EES1P_EEDaS1K_S1L_EUlS1K_E_NS1_11comp_targetILNS1_3genE9ELNS1_11target_archE1100ELNS1_3gpuE3ELNS1_3repE0EEENS1_30default_config_static_selectorELNS0_4arch9wavefront6targetE0EEEvSY_.has_indirect_call, 0
	.section	.AMDGPU.csdata,"",@progbits
; Kernel info:
; codeLenInByte = 0
; TotalNumSgprs: 0
; NumVgprs: 0
; ScratchSize: 0
; MemoryBound: 0
; FloatMode: 240
; IeeeMode: 1
; LDSByteSize: 0 bytes/workgroup (compile time only)
; SGPRBlocks: 0
; VGPRBlocks: 0
; NumSGPRsForWavesPerEU: 1
; NumVGPRsForWavesPerEU: 1
; NamedBarCnt: 0
; Occupancy: 16
; WaveLimiterHint : 0
; COMPUTE_PGM_RSRC2:SCRATCH_EN: 0
; COMPUTE_PGM_RSRC2:USER_SGPR: 2
; COMPUTE_PGM_RSRC2:TRAP_HANDLER: 0
; COMPUTE_PGM_RSRC2:TGID_X_EN: 1
; COMPUTE_PGM_RSRC2:TGID_Y_EN: 0
; COMPUTE_PGM_RSRC2:TGID_Z_EN: 0
; COMPUTE_PGM_RSRC2:TIDIG_COMP_CNT: 0
	.section	.text._ZN7rocprim17ROCPRIM_400000_NS6detail17trampoline_kernelINS0_13select_configILj256ELj13ELNS0_17block_load_methodE3ELS4_3ELS4_3ELNS0_20block_scan_algorithmE0ELj4294967295EEENS1_25partition_config_selectorILNS1_17partition_subalgoE3EjNS0_10empty_typeEbEEZZNS1_14partition_implILS8_3ELb0ES6_jNS0_17counting_iteratorIjlEEPS9_SE_NS0_5tupleIJPjSE_EEENSF_IJSE_SE_EEES9_SG_JZNS1_25segmented_radix_sort_implINS0_14default_configELb0EPKhPhPKlPlN2at6native12_GLOBAL__N_18offset_tEEE10hipError_tPvRmT1_PNSt15iterator_traitsISY_E10value_typeET2_T3_PNSZ_IS14_E10value_typeET4_jRbjT5_S1A_jjP12ihipStream_tbEUljE_EEESV_SW_SX_S14_S18_S1A_T6_T7_T9_mT8_S1C_bDpT10_ENKUlT_T0_E_clISt17integral_constantIbLb1EES1P_EEDaS1K_S1L_EUlS1K_E_NS1_11comp_targetILNS1_3genE8ELNS1_11target_archE1030ELNS1_3gpuE2ELNS1_3repE0EEENS1_30default_config_static_selectorELNS0_4arch9wavefront6targetE0EEEvSY_,"axG",@progbits,_ZN7rocprim17ROCPRIM_400000_NS6detail17trampoline_kernelINS0_13select_configILj256ELj13ELNS0_17block_load_methodE3ELS4_3ELS4_3ELNS0_20block_scan_algorithmE0ELj4294967295EEENS1_25partition_config_selectorILNS1_17partition_subalgoE3EjNS0_10empty_typeEbEEZZNS1_14partition_implILS8_3ELb0ES6_jNS0_17counting_iteratorIjlEEPS9_SE_NS0_5tupleIJPjSE_EEENSF_IJSE_SE_EEES9_SG_JZNS1_25segmented_radix_sort_implINS0_14default_configELb0EPKhPhPKlPlN2at6native12_GLOBAL__N_18offset_tEEE10hipError_tPvRmT1_PNSt15iterator_traitsISY_E10value_typeET2_T3_PNSZ_IS14_E10value_typeET4_jRbjT5_S1A_jjP12ihipStream_tbEUljE_EEESV_SW_SX_S14_S18_S1A_T6_T7_T9_mT8_S1C_bDpT10_ENKUlT_T0_E_clISt17integral_constantIbLb1EES1P_EEDaS1K_S1L_EUlS1K_E_NS1_11comp_targetILNS1_3genE8ELNS1_11target_archE1030ELNS1_3gpuE2ELNS1_3repE0EEENS1_30default_config_static_selectorELNS0_4arch9wavefront6targetE0EEEvSY_,comdat
	.globl	_ZN7rocprim17ROCPRIM_400000_NS6detail17trampoline_kernelINS0_13select_configILj256ELj13ELNS0_17block_load_methodE3ELS4_3ELS4_3ELNS0_20block_scan_algorithmE0ELj4294967295EEENS1_25partition_config_selectorILNS1_17partition_subalgoE3EjNS0_10empty_typeEbEEZZNS1_14partition_implILS8_3ELb0ES6_jNS0_17counting_iteratorIjlEEPS9_SE_NS0_5tupleIJPjSE_EEENSF_IJSE_SE_EEES9_SG_JZNS1_25segmented_radix_sort_implINS0_14default_configELb0EPKhPhPKlPlN2at6native12_GLOBAL__N_18offset_tEEE10hipError_tPvRmT1_PNSt15iterator_traitsISY_E10value_typeET2_T3_PNSZ_IS14_E10value_typeET4_jRbjT5_S1A_jjP12ihipStream_tbEUljE_EEESV_SW_SX_S14_S18_S1A_T6_T7_T9_mT8_S1C_bDpT10_ENKUlT_T0_E_clISt17integral_constantIbLb1EES1P_EEDaS1K_S1L_EUlS1K_E_NS1_11comp_targetILNS1_3genE8ELNS1_11target_archE1030ELNS1_3gpuE2ELNS1_3repE0EEENS1_30default_config_static_selectorELNS0_4arch9wavefront6targetE0EEEvSY_ ; -- Begin function _ZN7rocprim17ROCPRIM_400000_NS6detail17trampoline_kernelINS0_13select_configILj256ELj13ELNS0_17block_load_methodE3ELS4_3ELS4_3ELNS0_20block_scan_algorithmE0ELj4294967295EEENS1_25partition_config_selectorILNS1_17partition_subalgoE3EjNS0_10empty_typeEbEEZZNS1_14partition_implILS8_3ELb0ES6_jNS0_17counting_iteratorIjlEEPS9_SE_NS0_5tupleIJPjSE_EEENSF_IJSE_SE_EEES9_SG_JZNS1_25segmented_radix_sort_implINS0_14default_configELb0EPKhPhPKlPlN2at6native12_GLOBAL__N_18offset_tEEE10hipError_tPvRmT1_PNSt15iterator_traitsISY_E10value_typeET2_T3_PNSZ_IS14_E10value_typeET4_jRbjT5_S1A_jjP12ihipStream_tbEUljE_EEESV_SW_SX_S14_S18_S1A_T6_T7_T9_mT8_S1C_bDpT10_ENKUlT_T0_E_clISt17integral_constantIbLb1EES1P_EEDaS1K_S1L_EUlS1K_E_NS1_11comp_targetILNS1_3genE8ELNS1_11target_archE1030ELNS1_3gpuE2ELNS1_3repE0EEENS1_30default_config_static_selectorELNS0_4arch9wavefront6targetE0EEEvSY_
	.p2align	8
	.type	_ZN7rocprim17ROCPRIM_400000_NS6detail17trampoline_kernelINS0_13select_configILj256ELj13ELNS0_17block_load_methodE3ELS4_3ELS4_3ELNS0_20block_scan_algorithmE0ELj4294967295EEENS1_25partition_config_selectorILNS1_17partition_subalgoE3EjNS0_10empty_typeEbEEZZNS1_14partition_implILS8_3ELb0ES6_jNS0_17counting_iteratorIjlEEPS9_SE_NS0_5tupleIJPjSE_EEENSF_IJSE_SE_EEES9_SG_JZNS1_25segmented_radix_sort_implINS0_14default_configELb0EPKhPhPKlPlN2at6native12_GLOBAL__N_18offset_tEEE10hipError_tPvRmT1_PNSt15iterator_traitsISY_E10value_typeET2_T3_PNSZ_IS14_E10value_typeET4_jRbjT5_S1A_jjP12ihipStream_tbEUljE_EEESV_SW_SX_S14_S18_S1A_T6_T7_T9_mT8_S1C_bDpT10_ENKUlT_T0_E_clISt17integral_constantIbLb1EES1P_EEDaS1K_S1L_EUlS1K_E_NS1_11comp_targetILNS1_3genE8ELNS1_11target_archE1030ELNS1_3gpuE2ELNS1_3repE0EEENS1_30default_config_static_selectorELNS0_4arch9wavefront6targetE0EEEvSY_,@function
_ZN7rocprim17ROCPRIM_400000_NS6detail17trampoline_kernelINS0_13select_configILj256ELj13ELNS0_17block_load_methodE3ELS4_3ELS4_3ELNS0_20block_scan_algorithmE0ELj4294967295EEENS1_25partition_config_selectorILNS1_17partition_subalgoE3EjNS0_10empty_typeEbEEZZNS1_14partition_implILS8_3ELb0ES6_jNS0_17counting_iteratorIjlEEPS9_SE_NS0_5tupleIJPjSE_EEENSF_IJSE_SE_EEES9_SG_JZNS1_25segmented_radix_sort_implINS0_14default_configELb0EPKhPhPKlPlN2at6native12_GLOBAL__N_18offset_tEEE10hipError_tPvRmT1_PNSt15iterator_traitsISY_E10value_typeET2_T3_PNSZ_IS14_E10value_typeET4_jRbjT5_S1A_jjP12ihipStream_tbEUljE_EEESV_SW_SX_S14_S18_S1A_T6_T7_T9_mT8_S1C_bDpT10_ENKUlT_T0_E_clISt17integral_constantIbLb1EES1P_EEDaS1K_S1L_EUlS1K_E_NS1_11comp_targetILNS1_3genE8ELNS1_11target_archE1030ELNS1_3gpuE2ELNS1_3repE0EEENS1_30default_config_static_selectorELNS0_4arch9wavefront6targetE0EEEvSY_: ; @_ZN7rocprim17ROCPRIM_400000_NS6detail17trampoline_kernelINS0_13select_configILj256ELj13ELNS0_17block_load_methodE3ELS4_3ELS4_3ELNS0_20block_scan_algorithmE0ELj4294967295EEENS1_25partition_config_selectorILNS1_17partition_subalgoE3EjNS0_10empty_typeEbEEZZNS1_14partition_implILS8_3ELb0ES6_jNS0_17counting_iteratorIjlEEPS9_SE_NS0_5tupleIJPjSE_EEENSF_IJSE_SE_EEES9_SG_JZNS1_25segmented_radix_sort_implINS0_14default_configELb0EPKhPhPKlPlN2at6native12_GLOBAL__N_18offset_tEEE10hipError_tPvRmT1_PNSt15iterator_traitsISY_E10value_typeET2_T3_PNSZ_IS14_E10value_typeET4_jRbjT5_S1A_jjP12ihipStream_tbEUljE_EEESV_SW_SX_S14_S18_S1A_T6_T7_T9_mT8_S1C_bDpT10_ENKUlT_T0_E_clISt17integral_constantIbLb1EES1P_EEDaS1K_S1L_EUlS1K_E_NS1_11comp_targetILNS1_3genE8ELNS1_11target_archE1030ELNS1_3gpuE2ELNS1_3repE0EEENS1_30default_config_static_selectorELNS0_4arch9wavefront6targetE0EEEvSY_
; %bb.0:
	.section	.rodata,"a",@progbits
	.p2align	6, 0x0
	.amdhsa_kernel _ZN7rocprim17ROCPRIM_400000_NS6detail17trampoline_kernelINS0_13select_configILj256ELj13ELNS0_17block_load_methodE3ELS4_3ELS4_3ELNS0_20block_scan_algorithmE0ELj4294967295EEENS1_25partition_config_selectorILNS1_17partition_subalgoE3EjNS0_10empty_typeEbEEZZNS1_14partition_implILS8_3ELb0ES6_jNS0_17counting_iteratorIjlEEPS9_SE_NS0_5tupleIJPjSE_EEENSF_IJSE_SE_EEES9_SG_JZNS1_25segmented_radix_sort_implINS0_14default_configELb0EPKhPhPKlPlN2at6native12_GLOBAL__N_18offset_tEEE10hipError_tPvRmT1_PNSt15iterator_traitsISY_E10value_typeET2_T3_PNSZ_IS14_E10value_typeET4_jRbjT5_S1A_jjP12ihipStream_tbEUljE_EEESV_SW_SX_S14_S18_S1A_T6_T7_T9_mT8_S1C_bDpT10_ENKUlT_T0_E_clISt17integral_constantIbLb1EES1P_EEDaS1K_S1L_EUlS1K_E_NS1_11comp_targetILNS1_3genE8ELNS1_11target_archE1030ELNS1_3gpuE2ELNS1_3repE0EEENS1_30default_config_static_selectorELNS0_4arch9wavefront6targetE0EEEvSY_
		.amdhsa_group_segment_fixed_size 0
		.amdhsa_private_segment_fixed_size 0
		.amdhsa_kernarg_size 152
		.amdhsa_user_sgpr_count 2
		.amdhsa_user_sgpr_dispatch_ptr 0
		.amdhsa_user_sgpr_queue_ptr 0
		.amdhsa_user_sgpr_kernarg_segment_ptr 1
		.amdhsa_user_sgpr_dispatch_id 0
		.amdhsa_user_sgpr_kernarg_preload_length 0
		.amdhsa_user_sgpr_kernarg_preload_offset 0
		.amdhsa_user_sgpr_private_segment_size 0
		.amdhsa_wavefront_size32 1
		.amdhsa_uses_dynamic_stack 0
		.amdhsa_enable_private_segment 0
		.amdhsa_system_sgpr_workgroup_id_x 1
		.amdhsa_system_sgpr_workgroup_id_y 0
		.amdhsa_system_sgpr_workgroup_id_z 0
		.amdhsa_system_sgpr_workgroup_info 0
		.amdhsa_system_vgpr_workitem_id 0
		.amdhsa_next_free_vgpr 1
		.amdhsa_next_free_sgpr 1
		.amdhsa_named_barrier_count 0
		.amdhsa_reserve_vcc 0
		.amdhsa_float_round_mode_32 0
		.amdhsa_float_round_mode_16_64 0
		.amdhsa_float_denorm_mode_32 3
		.amdhsa_float_denorm_mode_16_64 3
		.amdhsa_fp16_overflow 0
		.amdhsa_memory_ordered 1
		.amdhsa_forward_progress 1
		.amdhsa_inst_pref_size 0
		.amdhsa_round_robin_scheduling 0
		.amdhsa_exception_fp_ieee_invalid_op 0
		.amdhsa_exception_fp_denorm_src 0
		.amdhsa_exception_fp_ieee_div_zero 0
		.amdhsa_exception_fp_ieee_overflow 0
		.amdhsa_exception_fp_ieee_underflow 0
		.amdhsa_exception_fp_ieee_inexact 0
		.amdhsa_exception_int_div_zero 0
	.end_amdhsa_kernel
	.section	.text._ZN7rocprim17ROCPRIM_400000_NS6detail17trampoline_kernelINS0_13select_configILj256ELj13ELNS0_17block_load_methodE3ELS4_3ELS4_3ELNS0_20block_scan_algorithmE0ELj4294967295EEENS1_25partition_config_selectorILNS1_17partition_subalgoE3EjNS0_10empty_typeEbEEZZNS1_14partition_implILS8_3ELb0ES6_jNS0_17counting_iteratorIjlEEPS9_SE_NS0_5tupleIJPjSE_EEENSF_IJSE_SE_EEES9_SG_JZNS1_25segmented_radix_sort_implINS0_14default_configELb0EPKhPhPKlPlN2at6native12_GLOBAL__N_18offset_tEEE10hipError_tPvRmT1_PNSt15iterator_traitsISY_E10value_typeET2_T3_PNSZ_IS14_E10value_typeET4_jRbjT5_S1A_jjP12ihipStream_tbEUljE_EEESV_SW_SX_S14_S18_S1A_T6_T7_T9_mT8_S1C_bDpT10_ENKUlT_T0_E_clISt17integral_constantIbLb1EES1P_EEDaS1K_S1L_EUlS1K_E_NS1_11comp_targetILNS1_3genE8ELNS1_11target_archE1030ELNS1_3gpuE2ELNS1_3repE0EEENS1_30default_config_static_selectorELNS0_4arch9wavefront6targetE0EEEvSY_,"axG",@progbits,_ZN7rocprim17ROCPRIM_400000_NS6detail17trampoline_kernelINS0_13select_configILj256ELj13ELNS0_17block_load_methodE3ELS4_3ELS4_3ELNS0_20block_scan_algorithmE0ELj4294967295EEENS1_25partition_config_selectorILNS1_17partition_subalgoE3EjNS0_10empty_typeEbEEZZNS1_14partition_implILS8_3ELb0ES6_jNS0_17counting_iteratorIjlEEPS9_SE_NS0_5tupleIJPjSE_EEENSF_IJSE_SE_EEES9_SG_JZNS1_25segmented_radix_sort_implINS0_14default_configELb0EPKhPhPKlPlN2at6native12_GLOBAL__N_18offset_tEEE10hipError_tPvRmT1_PNSt15iterator_traitsISY_E10value_typeET2_T3_PNSZ_IS14_E10value_typeET4_jRbjT5_S1A_jjP12ihipStream_tbEUljE_EEESV_SW_SX_S14_S18_S1A_T6_T7_T9_mT8_S1C_bDpT10_ENKUlT_T0_E_clISt17integral_constantIbLb1EES1P_EEDaS1K_S1L_EUlS1K_E_NS1_11comp_targetILNS1_3genE8ELNS1_11target_archE1030ELNS1_3gpuE2ELNS1_3repE0EEENS1_30default_config_static_selectorELNS0_4arch9wavefront6targetE0EEEvSY_,comdat
.Lfunc_end168:
	.size	_ZN7rocprim17ROCPRIM_400000_NS6detail17trampoline_kernelINS0_13select_configILj256ELj13ELNS0_17block_load_methodE3ELS4_3ELS4_3ELNS0_20block_scan_algorithmE0ELj4294967295EEENS1_25partition_config_selectorILNS1_17partition_subalgoE3EjNS0_10empty_typeEbEEZZNS1_14partition_implILS8_3ELb0ES6_jNS0_17counting_iteratorIjlEEPS9_SE_NS0_5tupleIJPjSE_EEENSF_IJSE_SE_EEES9_SG_JZNS1_25segmented_radix_sort_implINS0_14default_configELb0EPKhPhPKlPlN2at6native12_GLOBAL__N_18offset_tEEE10hipError_tPvRmT1_PNSt15iterator_traitsISY_E10value_typeET2_T3_PNSZ_IS14_E10value_typeET4_jRbjT5_S1A_jjP12ihipStream_tbEUljE_EEESV_SW_SX_S14_S18_S1A_T6_T7_T9_mT8_S1C_bDpT10_ENKUlT_T0_E_clISt17integral_constantIbLb1EES1P_EEDaS1K_S1L_EUlS1K_E_NS1_11comp_targetILNS1_3genE8ELNS1_11target_archE1030ELNS1_3gpuE2ELNS1_3repE0EEENS1_30default_config_static_selectorELNS0_4arch9wavefront6targetE0EEEvSY_, .Lfunc_end168-_ZN7rocprim17ROCPRIM_400000_NS6detail17trampoline_kernelINS0_13select_configILj256ELj13ELNS0_17block_load_methodE3ELS4_3ELS4_3ELNS0_20block_scan_algorithmE0ELj4294967295EEENS1_25partition_config_selectorILNS1_17partition_subalgoE3EjNS0_10empty_typeEbEEZZNS1_14partition_implILS8_3ELb0ES6_jNS0_17counting_iteratorIjlEEPS9_SE_NS0_5tupleIJPjSE_EEENSF_IJSE_SE_EEES9_SG_JZNS1_25segmented_radix_sort_implINS0_14default_configELb0EPKhPhPKlPlN2at6native12_GLOBAL__N_18offset_tEEE10hipError_tPvRmT1_PNSt15iterator_traitsISY_E10value_typeET2_T3_PNSZ_IS14_E10value_typeET4_jRbjT5_S1A_jjP12ihipStream_tbEUljE_EEESV_SW_SX_S14_S18_S1A_T6_T7_T9_mT8_S1C_bDpT10_ENKUlT_T0_E_clISt17integral_constantIbLb1EES1P_EEDaS1K_S1L_EUlS1K_E_NS1_11comp_targetILNS1_3genE8ELNS1_11target_archE1030ELNS1_3gpuE2ELNS1_3repE0EEENS1_30default_config_static_selectorELNS0_4arch9wavefront6targetE0EEEvSY_
                                        ; -- End function
	.set _ZN7rocprim17ROCPRIM_400000_NS6detail17trampoline_kernelINS0_13select_configILj256ELj13ELNS0_17block_load_methodE3ELS4_3ELS4_3ELNS0_20block_scan_algorithmE0ELj4294967295EEENS1_25partition_config_selectorILNS1_17partition_subalgoE3EjNS0_10empty_typeEbEEZZNS1_14partition_implILS8_3ELb0ES6_jNS0_17counting_iteratorIjlEEPS9_SE_NS0_5tupleIJPjSE_EEENSF_IJSE_SE_EEES9_SG_JZNS1_25segmented_radix_sort_implINS0_14default_configELb0EPKhPhPKlPlN2at6native12_GLOBAL__N_18offset_tEEE10hipError_tPvRmT1_PNSt15iterator_traitsISY_E10value_typeET2_T3_PNSZ_IS14_E10value_typeET4_jRbjT5_S1A_jjP12ihipStream_tbEUljE_EEESV_SW_SX_S14_S18_S1A_T6_T7_T9_mT8_S1C_bDpT10_ENKUlT_T0_E_clISt17integral_constantIbLb1EES1P_EEDaS1K_S1L_EUlS1K_E_NS1_11comp_targetILNS1_3genE8ELNS1_11target_archE1030ELNS1_3gpuE2ELNS1_3repE0EEENS1_30default_config_static_selectorELNS0_4arch9wavefront6targetE0EEEvSY_.num_vgpr, 0
	.set _ZN7rocprim17ROCPRIM_400000_NS6detail17trampoline_kernelINS0_13select_configILj256ELj13ELNS0_17block_load_methodE3ELS4_3ELS4_3ELNS0_20block_scan_algorithmE0ELj4294967295EEENS1_25partition_config_selectorILNS1_17partition_subalgoE3EjNS0_10empty_typeEbEEZZNS1_14partition_implILS8_3ELb0ES6_jNS0_17counting_iteratorIjlEEPS9_SE_NS0_5tupleIJPjSE_EEENSF_IJSE_SE_EEES9_SG_JZNS1_25segmented_radix_sort_implINS0_14default_configELb0EPKhPhPKlPlN2at6native12_GLOBAL__N_18offset_tEEE10hipError_tPvRmT1_PNSt15iterator_traitsISY_E10value_typeET2_T3_PNSZ_IS14_E10value_typeET4_jRbjT5_S1A_jjP12ihipStream_tbEUljE_EEESV_SW_SX_S14_S18_S1A_T6_T7_T9_mT8_S1C_bDpT10_ENKUlT_T0_E_clISt17integral_constantIbLb1EES1P_EEDaS1K_S1L_EUlS1K_E_NS1_11comp_targetILNS1_3genE8ELNS1_11target_archE1030ELNS1_3gpuE2ELNS1_3repE0EEENS1_30default_config_static_selectorELNS0_4arch9wavefront6targetE0EEEvSY_.num_agpr, 0
	.set _ZN7rocprim17ROCPRIM_400000_NS6detail17trampoline_kernelINS0_13select_configILj256ELj13ELNS0_17block_load_methodE3ELS4_3ELS4_3ELNS0_20block_scan_algorithmE0ELj4294967295EEENS1_25partition_config_selectorILNS1_17partition_subalgoE3EjNS0_10empty_typeEbEEZZNS1_14partition_implILS8_3ELb0ES6_jNS0_17counting_iteratorIjlEEPS9_SE_NS0_5tupleIJPjSE_EEENSF_IJSE_SE_EEES9_SG_JZNS1_25segmented_radix_sort_implINS0_14default_configELb0EPKhPhPKlPlN2at6native12_GLOBAL__N_18offset_tEEE10hipError_tPvRmT1_PNSt15iterator_traitsISY_E10value_typeET2_T3_PNSZ_IS14_E10value_typeET4_jRbjT5_S1A_jjP12ihipStream_tbEUljE_EEESV_SW_SX_S14_S18_S1A_T6_T7_T9_mT8_S1C_bDpT10_ENKUlT_T0_E_clISt17integral_constantIbLb1EES1P_EEDaS1K_S1L_EUlS1K_E_NS1_11comp_targetILNS1_3genE8ELNS1_11target_archE1030ELNS1_3gpuE2ELNS1_3repE0EEENS1_30default_config_static_selectorELNS0_4arch9wavefront6targetE0EEEvSY_.numbered_sgpr, 0
	.set _ZN7rocprim17ROCPRIM_400000_NS6detail17trampoline_kernelINS0_13select_configILj256ELj13ELNS0_17block_load_methodE3ELS4_3ELS4_3ELNS0_20block_scan_algorithmE0ELj4294967295EEENS1_25partition_config_selectorILNS1_17partition_subalgoE3EjNS0_10empty_typeEbEEZZNS1_14partition_implILS8_3ELb0ES6_jNS0_17counting_iteratorIjlEEPS9_SE_NS0_5tupleIJPjSE_EEENSF_IJSE_SE_EEES9_SG_JZNS1_25segmented_radix_sort_implINS0_14default_configELb0EPKhPhPKlPlN2at6native12_GLOBAL__N_18offset_tEEE10hipError_tPvRmT1_PNSt15iterator_traitsISY_E10value_typeET2_T3_PNSZ_IS14_E10value_typeET4_jRbjT5_S1A_jjP12ihipStream_tbEUljE_EEESV_SW_SX_S14_S18_S1A_T6_T7_T9_mT8_S1C_bDpT10_ENKUlT_T0_E_clISt17integral_constantIbLb1EES1P_EEDaS1K_S1L_EUlS1K_E_NS1_11comp_targetILNS1_3genE8ELNS1_11target_archE1030ELNS1_3gpuE2ELNS1_3repE0EEENS1_30default_config_static_selectorELNS0_4arch9wavefront6targetE0EEEvSY_.num_named_barrier, 0
	.set _ZN7rocprim17ROCPRIM_400000_NS6detail17trampoline_kernelINS0_13select_configILj256ELj13ELNS0_17block_load_methodE3ELS4_3ELS4_3ELNS0_20block_scan_algorithmE0ELj4294967295EEENS1_25partition_config_selectorILNS1_17partition_subalgoE3EjNS0_10empty_typeEbEEZZNS1_14partition_implILS8_3ELb0ES6_jNS0_17counting_iteratorIjlEEPS9_SE_NS0_5tupleIJPjSE_EEENSF_IJSE_SE_EEES9_SG_JZNS1_25segmented_radix_sort_implINS0_14default_configELb0EPKhPhPKlPlN2at6native12_GLOBAL__N_18offset_tEEE10hipError_tPvRmT1_PNSt15iterator_traitsISY_E10value_typeET2_T3_PNSZ_IS14_E10value_typeET4_jRbjT5_S1A_jjP12ihipStream_tbEUljE_EEESV_SW_SX_S14_S18_S1A_T6_T7_T9_mT8_S1C_bDpT10_ENKUlT_T0_E_clISt17integral_constantIbLb1EES1P_EEDaS1K_S1L_EUlS1K_E_NS1_11comp_targetILNS1_3genE8ELNS1_11target_archE1030ELNS1_3gpuE2ELNS1_3repE0EEENS1_30default_config_static_selectorELNS0_4arch9wavefront6targetE0EEEvSY_.private_seg_size, 0
	.set _ZN7rocprim17ROCPRIM_400000_NS6detail17trampoline_kernelINS0_13select_configILj256ELj13ELNS0_17block_load_methodE3ELS4_3ELS4_3ELNS0_20block_scan_algorithmE0ELj4294967295EEENS1_25partition_config_selectorILNS1_17partition_subalgoE3EjNS0_10empty_typeEbEEZZNS1_14partition_implILS8_3ELb0ES6_jNS0_17counting_iteratorIjlEEPS9_SE_NS0_5tupleIJPjSE_EEENSF_IJSE_SE_EEES9_SG_JZNS1_25segmented_radix_sort_implINS0_14default_configELb0EPKhPhPKlPlN2at6native12_GLOBAL__N_18offset_tEEE10hipError_tPvRmT1_PNSt15iterator_traitsISY_E10value_typeET2_T3_PNSZ_IS14_E10value_typeET4_jRbjT5_S1A_jjP12ihipStream_tbEUljE_EEESV_SW_SX_S14_S18_S1A_T6_T7_T9_mT8_S1C_bDpT10_ENKUlT_T0_E_clISt17integral_constantIbLb1EES1P_EEDaS1K_S1L_EUlS1K_E_NS1_11comp_targetILNS1_3genE8ELNS1_11target_archE1030ELNS1_3gpuE2ELNS1_3repE0EEENS1_30default_config_static_selectorELNS0_4arch9wavefront6targetE0EEEvSY_.uses_vcc, 0
	.set _ZN7rocprim17ROCPRIM_400000_NS6detail17trampoline_kernelINS0_13select_configILj256ELj13ELNS0_17block_load_methodE3ELS4_3ELS4_3ELNS0_20block_scan_algorithmE0ELj4294967295EEENS1_25partition_config_selectorILNS1_17partition_subalgoE3EjNS0_10empty_typeEbEEZZNS1_14partition_implILS8_3ELb0ES6_jNS0_17counting_iteratorIjlEEPS9_SE_NS0_5tupleIJPjSE_EEENSF_IJSE_SE_EEES9_SG_JZNS1_25segmented_radix_sort_implINS0_14default_configELb0EPKhPhPKlPlN2at6native12_GLOBAL__N_18offset_tEEE10hipError_tPvRmT1_PNSt15iterator_traitsISY_E10value_typeET2_T3_PNSZ_IS14_E10value_typeET4_jRbjT5_S1A_jjP12ihipStream_tbEUljE_EEESV_SW_SX_S14_S18_S1A_T6_T7_T9_mT8_S1C_bDpT10_ENKUlT_T0_E_clISt17integral_constantIbLb1EES1P_EEDaS1K_S1L_EUlS1K_E_NS1_11comp_targetILNS1_3genE8ELNS1_11target_archE1030ELNS1_3gpuE2ELNS1_3repE0EEENS1_30default_config_static_selectorELNS0_4arch9wavefront6targetE0EEEvSY_.uses_flat_scratch, 0
	.set _ZN7rocprim17ROCPRIM_400000_NS6detail17trampoline_kernelINS0_13select_configILj256ELj13ELNS0_17block_load_methodE3ELS4_3ELS4_3ELNS0_20block_scan_algorithmE0ELj4294967295EEENS1_25partition_config_selectorILNS1_17partition_subalgoE3EjNS0_10empty_typeEbEEZZNS1_14partition_implILS8_3ELb0ES6_jNS0_17counting_iteratorIjlEEPS9_SE_NS0_5tupleIJPjSE_EEENSF_IJSE_SE_EEES9_SG_JZNS1_25segmented_radix_sort_implINS0_14default_configELb0EPKhPhPKlPlN2at6native12_GLOBAL__N_18offset_tEEE10hipError_tPvRmT1_PNSt15iterator_traitsISY_E10value_typeET2_T3_PNSZ_IS14_E10value_typeET4_jRbjT5_S1A_jjP12ihipStream_tbEUljE_EEESV_SW_SX_S14_S18_S1A_T6_T7_T9_mT8_S1C_bDpT10_ENKUlT_T0_E_clISt17integral_constantIbLb1EES1P_EEDaS1K_S1L_EUlS1K_E_NS1_11comp_targetILNS1_3genE8ELNS1_11target_archE1030ELNS1_3gpuE2ELNS1_3repE0EEENS1_30default_config_static_selectorELNS0_4arch9wavefront6targetE0EEEvSY_.has_dyn_sized_stack, 0
	.set _ZN7rocprim17ROCPRIM_400000_NS6detail17trampoline_kernelINS0_13select_configILj256ELj13ELNS0_17block_load_methodE3ELS4_3ELS4_3ELNS0_20block_scan_algorithmE0ELj4294967295EEENS1_25partition_config_selectorILNS1_17partition_subalgoE3EjNS0_10empty_typeEbEEZZNS1_14partition_implILS8_3ELb0ES6_jNS0_17counting_iteratorIjlEEPS9_SE_NS0_5tupleIJPjSE_EEENSF_IJSE_SE_EEES9_SG_JZNS1_25segmented_radix_sort_implINS0_14default_configELb0EPKhPhPKlPlN2at6native12_GLOBAL__N_18offset_tEEE10hipError_tPvRmT1_PNSt15iterator_traitsISY_E10value_typeET2_T3_PNSZ_IS14_E10value_typeET4_jRbjT5_S1A_jjP12ihipStream_tbEUljE_EEESV_SW_SX_S14_S18_S1A_T6_T7_T9_mT8_S1C_bDpT10_ENKUlT_T0_E_clISt17integral_constantIbLb1EES1P_EEDaS1K_S1L_EUlS1K_E_NS1_11comp_targetILNS1_3genE8ELNS1_11target_archE1030ELNS1_3gpuE2ELNS1_3repE0EEENS1_30default_config_static_selectorELNS0_4arch9wavefront6targetE0EEEvSY_.has_recursion, 0
	.set _ZN7rocprim17ROCPRIM_400000_NS6detail17trampoline_kernelINS0_13select_configILj256ELj13ELNS0_17block_load_methodE3ELS4_3ELS4_3ELNS0_20block_scan_algorithmE0ELj4294967295EEENS1_25partition_config_selectorILNS1_17partition_subalgoE3EjNS0_10empty_typeEbEEZZNS1_14partition_implILS8_3ELb0ES6_jNS0_17counting_iteratorIjlEEPS9_SE_NS0_5tupleIJPjSE_EEENSF_IJSE_SE_EEES9_SG_JZNS1_25segmented_radix_sort_implINS0_14default_configELb0EPKhPhPKlPlN2at6native12_GLOBAL__N_18offset_tEEE10hipError_tPvRmT1_PNSt15iterator_traitsISY_E10value_typeET2_T3_PNSZ_IS14_E10value_typeET4_jRbjT5_S1A_jjP12ihipStream_tbEUljE_EEESV_SW_SX_S14_S18_S1A_T6_T7_T9_mT8_S1C_bDpT10_ENKUlT_T0_E_clISt17integral_constantIbLb1EES1P_EEDaS1K_S1L_EUlS1K_E_NS1_11comp_targetILNS1_3genE8ELNS1_11target_archE1030ELNS1_3gpuE2ELNS1_3repE0EEENS1_30default_config_static_selectorELNS0_4arch9wavefront6targetE0EEEvSY_.has_indirect_call, 0
	.section	.AMDGPU.csdata,"",@progbits
; Kernel info:
; codeLenInByte = 0
; TotalNumSgprs: 0
; NumVgprs: 0
; ScratchSize: 0
; MemoryBound: 0
; FloatMode: 240
; IeeeMode: 1
; LDSByteSize: 0 bytes/workgroup (compile time only)
; SGPRBlocks: 0
; VGPRBlocks: 0
; NumSGPRsForWavesPerEU: 1
; NumVGPRsForWavesPerEU: 1
; NamedBarCnt: 0
; Occupancy: 16
; WaveLimiterHint : 0
; COMPUTE_PGM_RSRC2:SCRATCH_EN: 0
; COMPUTE_PGM_RSRC2:USER_SGPR: 2
; COMPUTE_PGM_RSRC2:TRAP_HANDLER: 0
; COMPUTE_PGM_RSRC2:TGID_X_EN: 1
; COMPUTE_PGM_RSRC2:TGID_Y_EN: 0
; COMPUTE_PGM_RSRC2:TGID_Z_EN: 0
; COMPUTE_PGM_RSRC2:TIDIG_COMP_CNT: 0
	.section	.text._ZN7rocprim17ROCPRIM_400000_NS6detail17trampoline_kernelINS0_13select_configILj256ELj13ELNS0_17block_load_methodE3ELS4_3ELS4_3ELNS0_20block_scan_algorithmE0ELj4294967295EEENS1_25partition_config_selectorILNS1_17partition_subalgoE3EjNS0_10empty_typeEbEEZZNS1_14partition_implILS8_3ELb0ES6_jNS0_17counting_iteratorIjlEEPS9_SE_NS0_5tupleIJPjSE_EEENSF_IJSE_SE_EEES9_SG_JZNS1_25segmented_radix_sort_implINS0_14default_configELb0EPKhPhPKlPlN2at6native12_GLOBAL__N_18offset_tEEE10hipError_tPvRmT1_PNSt15iterator_traitsISY_E10value_typeET2_T3_PNSZ_IS14_E10value_typeET4_jRbjT5_S1A_jjP12ihipStream_tbEUljE_EEESV_SW_SX_S14_S18_S1A_T6_T7_T9_mT8_S1C_bDpT10_ENKUlT_T0_E_clISt17integral_constantIbLb1EES1O_IbLb0EEEEDaS1K_S1L_EUlS1K_E_NS1_11comp_targetILNS1_3genE0ELNS1_11target_archE4294967295ELNS1_3gpuE0ELNS1_3repE0EEENS1_30default_config_static_selectorELNS0_4arch9wavefront6targetE0EEEvSY_,"axG",@progbits,_ZN7rocprim17ROCPRIM_400000_NS6detail17trampoline_kernelINS0_13select_configILj256ELj13ELNS0_17block_load_methodE3ELS4_3ELS4_3ELNS0_20block_scan_algorithmE0ELj4294967295EEENS1_25partition_config_selectorILNS1_17partition_subalgoE3EjNS0_10empty_typeEbEEZZNS1_14partition_implILS8_3ELb0ES6_jNS0_17counting_iteratorIjlEEPS9_SE_NS0_5tupleIJPjSE_EEENSF_IJSE_SE_EEES9_SG_JZNS1_25segmented_radix_sort_implINS0_14default_configELb0EPKhPhPKlPlN2at6native12_GLOBAL__N_18offset_tEEE10hipError_tPvRmT1_PNSt15iterator_traitsISY_E10value_typeET2_T3_PNSZ_IS14_E10value_typeET4_jRbjT5_S1A_jjP12ihipStream_tbEUljE_EEESV_SW_SX_S14_S18_S1A_T6_T7_T9_mT8_S1C_bDpT10_ENKUlT_T0_E_clISt17integral_constantIbLb1EES1O_IbLb0EEEEDaS1K_S1L_EUlS1K_E_NS1_11comp_targetILNS1_3genE0ELNS1_11target_archE4294967295ELNS1_3gpuE0ELNS1_3repE0EEENS1_30default_config_static_selectorELNS0_4arch9wavefront6targetE0EEEvSY_,comdat
	.globl	_ZN7rocprim17ROCPRIM_400000_NS6detail17trampoline_kernelINS0_13select_configILj256ELj13ELNS0_17block_load_methodE3ELS4_3ELS4_3ELNS0_20block_scan_algorithmE0ELj4294967295EEENS1_25partition_config_selectorILNS1_17partition_subalgoE3EjNS0_10empty_typeEbEEZZNS1_14partition_implILS8_3ELb0ES6_jNS0_17counting_iteratorIjlEEPS9_SE_NS0_5tupleIJPjSE_EEENSF_IJSE_SE_EEES9_SG_JZNS1_25segmented_radix_sort_implINS0_14default_configELb0EPKhPhPKlPlN2at6native12_GLOBAL__N_18offset_tEEE10hipError_tPvRmT1_PNSt15iterator_traitsISY_E10value_typeET2_T3_PNSZ_IS14_E10value_typeET4_jRbjT5_S1A_jjP12ihipStream_tbEUljE_EEESV_SW_SX_S14_S18_S1A_T6_T7_T9_mT8_S1C_bDpT10_ENKUlT_T0_E_clISt17integral_constantIbLb1EES1O_IbLb0EEEEDaS1K_S1L_EUlS1K_E_NS1_11comp_targetILNS1_3genE0ELNS1_11target_archE4294967295ELNS1_3gpuE0ELNS1_3repE0EEENS1_30default_config_static_selectorELNS0_4arch9wavefront6targetE0EEEvSY_ ; -- Begin function _ZN7rocprim17ROCPRIM_400000_NS6detail17trampoline_kernelINS0_13select_configILj256ELj13ELNS0_17block_load_methodE3ELS4_3ELS4_3ELNS0_20block_scan_algorithmE0ELj4294967295EEENS1_25partition_config_selectorILNS1_17partition_subalgoE3EjNS0_10empty_typeEbEEZZNS1_14partition_implILS8_3ELb0ES6_jNS0_17counting_iteratorIjlEEPS9_SE_NS0_5tupleIJPjSE_EEENSF_IJSE_SE_EEES9_SG_JZNS1_25segmented_radix_sort_implINS0_14default_configELb0EPKhPhPKlPlN2at6native12_GLOBAL__N_18offset_tEEE10hipError_tPvRmT1_PNSt15iterator_traitsISY_E10value_typeET2_T3_PNSZ_IS14_E10value_typeET4_jRbjT5_S1A_jjP12ihipStream_tbEUljE_EEESV_SW_SX_S14_S18_S1A_T6_T7_T9_mT8_S1C_bDpT10_ENKUlT_T0_E_clISt17integral_constantIbLb1EES1O_IbLb0EEEEDaS1K_S1L_EUlS1K_E_NS1_11comp_targetILNS1_3genE0ELNS1_11target_archE4294967295ELNS1_3gpuE0ELNS1_3repE0EEENS1_30default_config_static_selectorELNS0_4arch9wavefront6targetE0EEEvSY_
	.p2align	8
	.type	_ZN7rocprim17ROCPRIM_400000_NS6detail17trampoline_kernelINS0_13select_configILj256ELj13ELNS0_17block_load_methodE3ELS4_3ELS4_3ELNS0_20block_scan_algorithmE0ELj4294967295EEENS1_25partition_config_selectorILNS1_17partition_subalgoE3EjNS0_10empty_typeEbEEZZNS1_14partition_implILS8_3ELb0ES6_jNS0_17counting_iteratorIjlEEPS9_SE_NS0_5tupleIJPjSE_EEENSF_IJSE_SE_EEES9_SG_JZNS1_25segmented_radix_sort_implINS0_14default_configELb0EPKhPhPKlPlN2at6native12_GLOBAL__N_18offset_tEEE10hipError_tPvRmT1_PNSt15iterator_traitsISY_E10value_typeET2_T3_PNSZ_IS14_E10value_typeET4_jRbjT5_S1A_jjP12ihipStream_tbEUljE_EEESV_SW_SX_S14_S18_S1A_T6_T7_T9_mT8_S1C_bDpT10_ENKUlT_T0_E_clISt17integral_constantIbLb1EES1O_IbLb0EEEEDaS1K_S1L_EUlS1K_E_NS1_11comp_targetILNS1_3genE0ELNS1_11target_archE4294967295ELNS1_3gpuE0ELNS1_3repE0EEENS1_30default_config_static_selectorELNS0_4arch9wavefront6targetE0EEEvSY_,@function
_ZN7rocprim17ROCPRIM_400000_NS6detail17trampoline_kernelINS0_13select_configILj256ELj13ELNS0_17block_load_methodE3ELS4_3ELS4_3ELNS0_20block_scan_algorithmE0ELj4294967295EEENS1_25partition_config_selectorILNS1_17partition_subalgoE3EjNS0_10empty_typeEbEEZZNS1_14partition_implILS8_3ELb0ES6_jNS0_17counting_iteratorIjlEEPS9_SE_NS0_5tupleIJPjSE_EEENSF_IJSE_SE_EEES9_SG_JZNS1_25segmented_radix_sort_implINS0_14default_configELb0EPKhPhPKlPlN2at6native12_GLOBAL__N_18offset_tEEE10hipError_tPvRmT1_PNSt15iterator_traitsISY_E10value_typeET2_T3_PNSZ_IS14_E10value_typeET4_jRbjT5_S1A_jjP12ihipStream_tbEUljE_EEESV_SW_SX_S14_S18_S1A_T6_T7_T9_mT8_S1C_bDpT10_ENKUlT_T0_E_clISt17integral_constantIbLb1EES1O_IbLb0EEEEDaS1K_S1L_EUlS1K_E_NS1_11comp_targetILNS1_3genE0ELNS1_11target_archE4294967295ELNS1_3gpuE0ELNS1_3repE0EEENS1_30default_config_static_selectorELNS0_4arch9wavefront6targetE0EEEvSY_: ; @_ZN7rocprim17ROCPRIM_400000_NS6detail17trampoline_kernelINS0_13select_configILj256ELj13ELNS0_17block_load_methodE3ELS4_3ELS4_3ELNS0_20block_scan_algorithmE0ELj4294967295EEENS1_25partition_config_selectorILNS1_17partition_subalgoE3EjNS0_10empty_typeEbEEZZNS1_14partition_implILS8_3ELb0ES6_jNS0_17counting_iteratorIjlEEPS9_SE_NS0_5tupleIJPjSE_EEENSF_IJSE_SE_EEES9_SG_JZNS1_25segmented_radix_sort_implINS0_14default_configELb0EPKhPhPKlPlN2at6native12_GLOBAL__N_18offset_tEEE10hipError_tPvRmT1_PNSt15iterator_traitsISY_E10value_typeET2_T3_PNSZ_IS14_E10value_typeET4_jRbjT5_S1A_jjP12ihipStream_tbEUljE_EEESV_SW_SX_S14_S18_S1A_T6_T7_T9_mT8_S1C_bDpT10_ENKUlT_T0_E_clISt17integral_constantIbLb1EES1O_IbLb0EEEEDaS1K_S1L_EUlS1K_E_NS1_11comp_targetILNS1_3genE0ELNS1_11target_archE4294967295ELNS1_3gpuE0ELNS1_3repE0EEENS1_30default_config_static_selectorELNS0_4arch9wavefront6targetE0EEEvSY_
; %bb.0:
	s_endpgm
	.section	.rodata,"a",@progbits
	.p2align	6, 0x0
	.amdhsa_kernel _ZN7rocprim17ROCPRIM_400000_NS6detail17trampoline_kernelINS0_13select_configILj256ELj13ELNS0_17block_load_methodE3ELS4_3ELS4_3ELNS0_20block_scan_algorithmE0ELj4294967295EEENS1_25partition_config_selectorILNS1_17partition_subalgoE3EjNS0_10empty_typeEbEEZZNS1_14partition_implILS8_3ELb0ES6_jNS0_17counting_iteratorIjlEEPS9_SE_NS0_5tupleIJPjSE_EEENSF_IJSE_SE_EEES9_SG_JZNS1_25segmented_radix_sort_implINS0_14default_configELb0EPKhPhPKlPlN2at6native12_GLOBAL__N_18offset_tEEE10hipError_tPvRmT1_PNSt15iterator_traitsISY_E10value_typeET2_T3_PNSZ_IS14_E10value_typeET4_jRbjT5_S1A_jjP12ihipStream_tbEUljE_EEESV_SW_SX_S14_S18_S1A_T6_T7_T9_mT8_S1C_bDpT10_ENKUlT_T0_E_clISt17integral_constantIbLb1EES1O_IbLb0EEEEDaS1K_S1L_EUlS1K_E_NS1_11comp_targetILNS1_3genE0ELNS1_11target_archE4294967295ELNS1_3gpuE0ELNS1_3repE0EEENS1_30default_config_static_selectorELNS0_4arch9wavefront6targetE0EEEvSY_
		.amdhsa_group_segment_fixed_size 0
		.amdhsa_private_segment_fixed_size 0
		.amdhsa_kernarg_size 144
		.amdhsa_user_sgpr_count 2
		.amdhsa_user_sgpr_dispatch_ptr 0
		.amdhsa_user_sgpr_queue_ptr 0
		.amdhsa_user_sgpr_kernarg_segment_ptr 1
		.amdhsa_user_sgpr_dispatch_id 0
		.amdhsa_user_sgpr_kernarg_preload_length 0
		.amdhsa_user_sgpr_kernarg_preload_offset 0
		.amdhsa_user_sgpr_private_segment_size 0
		.amdhsa_wavefront_size32 1
		.amdhsa_uses_dynamic_stack 0
		.amdhsa_enable_private_segment 0
		.amdhsa_system_sgpr_workgroup_id_x 1
		.amdhsa_system_sgpr_workgroup_id_y 0
		.amdhsa_system_sgpr_workgroup_id_z 0
		.amdhsa_system_sgpr_workgroup_info 0
		.amdhsa_system_vgpr_workitem_id 0
		.amdhsa_next_free_vgpr 1
		.amdhsa_next_free_sgpr 1
		.amdhsa_named_barrier_count 0
		.amdhsa_reserve_vcc 0
		.amdhsa_float_round_mode_32 0
		.amdhsa_float_round_mode_16_64 0
		.amdhsa_float_denorm_mode_32 3
		.amdhsa_float_denorm_mode_16_64 3
		.amdhsa_fp16_overflow 0
		.amdhsa_memory_ordered 1
		.amdhsa_forward_progress 1
		.amdhsa_inst_pref_size 1
		.amdhsa_round_robin_scheduling 0
		.amdhsa_exception_fp_ieee_invalid_op 0
		.amdhsa_exception_fp_denorm_src 0
		.amdhsa_exception_fp_ieee_div_zero 0
		.amdhsa_exception_fp_ieee_overflow 0
		.amdhsa_exception_fp_ieee_underflow 0
		.amdhsa_exception_fp_ieee_inexact 0
		.amdhsa_exception_int_div_zero 0
	.end_amdhsa_kernel
	.section	.text._ZN7rocprim17ROCPRIM_400000_NS6detail17trampoline_kernelINS0_13select_configILj256ELj13ELNS0_17block_load_methodE3ELS4_3ELS4_3ELNS0_20block_scan_algorithmE0ELj4294967295EEENS1_25partition_config_selectorILNS1_17partition_subalgoE3EjNS0_10empty_typeEbEEZZNS1_14partition_implILS8_3ELb0ES6_jNS0_17counting_iteratorIjlEEPS9_SE_NS0_5tupleIJPjSE_EEENSF_IJSE_SE_EEES9_SG_JZNS1_25segmented_radix_sort_implINS0_14default_configELb0EPKhPhPKlPlN2at6native12_GLOBAL__N_18offset_tEEE10hipError_tPvRmT1_PNSt15iterator_traitsISY_E10value_typeET2_T3_PNSZ_IS14_E10value_typeET4_jRbjT5_S1A_jjP12ihipStream_tbEUljE_EEESV_SW_SX_S14_S18_S1A_T6_T7_T9_mT8_S1C_bDpT10_ENKUlT_T0_E_clISt17integral_constantIbLb1EES1O_IbLb0EEEEDaS1K_S1L_EUlS1K_E_NS1_11comp_targetILNS1_3genE0ELNS1_11target_archE4294967295ELNS1_3gpuE0ELNS1_3repE0EEENS1_30default_config_static_selectorELNS0_4arch9wavefront6targetE0EEEvSY_,"axG",@progbits,_ZN7rocprim17ROCPRIM_400000_NS6detail17trampoline_kernelINS0_13select_configILj256ELj13ELNS0_17block_load_methodE3ELS4_3ELS4_3ELNS0_20block_scan_algorithmE0ELj4294967295EEENS1_25partition_config_selectorILNS1_17partition_subalgoE3EjNS0_10empty_typeEbEEZZNS1_14partition_implILS8_3ELb0ES6_jNS0_17counting_iteratorIjlEEPS9_SE_NS0_5tupleIJPjSE_EEENSF_IJSE_SE_EEES9_SG_JZNS1_25segmented_radix_sort_implINS0_14default_configELb0EPKhPhPKlPlN2at6native12_GLOBAL__N_18offset_tEEE10hipError_tPvRmT1_PNSt15iterator_traitsISY_E10value_typeET2_T3_PNSZ_IS14_E10value_typeET4_jRbjT5_S1A_jjP12ihipStream_tbEUljE_EEESV_SW_SX_S14_S18_S1A_T6_T7_T9_mT8_S1C_bDpT10_ENKUlT_T0_E_clISt17integral_constantIbLb1EES1O_IbLb0EEEEDaS1K_S1L_EUlS1K_E_NS1_11comp_targetILNS1_3genE0ELNS1_11target_archE4294967295ELNS1_3gpuE0ELNS1_3repE0EEENS1_30default_config_static_selectorELNS0_4arch9wavefront6targetE0EEEvSY_,comdat
.Lfunc_end169:
	.size	_ZN7rocprim17ROCPRIM_400000_NS6detail17trampoline_kernelINS0_13select_configILj256ELj13ELNS0_17block_load_methodE3ELS4_3ELS4_3ELNS0_20block_scan_algorithmE0ELj4294967295EEENS1_25partition_config_selectorILNS1_17partition_subalgoE3EjNS0_10empty_typeEbEEZZNS1_14partition_implILS8_3ELb0ES6_jNS0_17counting_iteratorIjlEEPS9_SE_NS0_5tupleIJPjSE_EEENSF_IJSE_SE_EEES9_SG_JZNS1_25segmented_radix_sort_implINS0_14default_configELb0EPKhPhPKlPlN2at6native12_GLOBAL__N_18offset_tEEE10hipError_tPvRmT1_PNSt15iterator_traitsISY_E10value_typeET2_T3_PNSZ_IS14_E10value_typeET4_jRbjT5_S1A_jjP12ihipStream_tbEUljE_EEESV_SW_SX_S14_S18_S1A_T6_T7_T9_mT8_S1C_bDpT10_ENKUlT_T0_E_clISt17integral_constantIbLb1EES1O_IbLb0EEEEDaS1K_S1L_EUlS1K_E_NS1_11comp_targetILNS1_3genE0ELNS1_11target_archE4294967295ELNS1_3gpuE0ELNS1_3repE0EEENS1_30default_config_static_selectorELNS0_4arch9wavefront6targetE0EEEvSY_, .Lfunc_end169-_ZN7rocprim17ROCPRIM_400000_NS6detail17trampoline_kernelINS0_13select_configILj256ELj13ELNS0_17block_load_methodE3ELS4_3ELS4_3ELNS0_20block_scan_algorithmE0ELj4294967295EEENS1_25partition_config_selectorILNS1_17partition_subalgoE3EjNS0_10empty_typeEbEEZZNS1_14partition_implILS8_3ELb0ES6_jNS0_17counting_iteratorIjlEEPS9_SE_NS0_5tupleIJPjSE_EEENSF_IJSE_SE_EEES9_SG_JZNS1_25segmented_radix_sort_implINS0_14default_configELb0EPKhPhPKlPlN2at6native12_GLOBAL__N_18offset_tEEE10hipError_tPvRmT1_PNSt15iterator_traitsISY_E10value_typeET2_T3_PNSZ_IS14_E10value_typeET4_jRbjT5_S1A_jjP12ihipStream_tbEUljE_EEESV_SW_SX_S14_S18_S1A_T6_T7_T9_mT8_S1C_bDpT10_ENKUlT_T0_E_clISt17integral_constantIbLb1EES1O_IbLb0EEEEDaS1K_S1L_EUlS1K_E_NS1_11comp_targetILNS1_3genE0ELNS1_11target_archE4294967295ELNS1_3gpuE0ELNS1_3repE0EEENS1_30default_config_static_selectorELNS0_4arch9wavefront6targetE0EEEvSY_
                                        ; -- End function
	.set _ZN7rocprim17ROCPRIM_400000_NS6detail17trampoline_kernelINS0_13select_configILj256ELj13ELNS0_17block_load_methodE3ELS4_3ELS4_3ELNS0_20block_scan_algorithmE0ELj4294967295EEENS1_25partition_config_selectorILNS1_17partition_subalgoE3EjNS0_10empty_typeEbEEZZNS1_14partition_implILS8_3ELb0ES6_jNS0_17counting_iteratorIjlEEPS9_SE_NS0_5tupleIJPjSE_EEENSF_IJSE_SE_EEES9_SG_JZNS1_25segmented_radix_sort_implINS0_14default_configELb0EPKhPhPKlPlN2at6native12_GLOBAL__N_18offset_tEEE10hipError_tPvRmT1_PNSt15iterator_traitsISY_E10value_typeET2_T3_PNSZ_IS14_E10value_typeET4_jRbjT5_S1A_jjP12ihipStream_tbEUljE_EEESV_SW_SX_S14_S18_S1A_T6_T7_T9_mT8_S1C_bDpT10_ENKUlT_T0_E_clISt17integral_constantIbLb1EES1O_IbLb0EEEEDaS1K_S1L_EUlS1K_E_NS1_11comp_targetILNS1_3genE0ELNS1_11target_archE4294967295ELNS1_3gpuE0ELNS1_3repE0EEENS1_30default_config_static_selectorELNS0_4arch9wavefront6targetE0EEEvSY_.num_vgpr, 0
	.set _ZN7rocprim17ROCPRIM_400000_NS6detail17trampoline_kernelINS0_13select_configILj256ELj13ELNS0_17block_load_methodE3ELS4_3ELS4_3ELNS0_20block_scan_algorithmE0ELj4294967295EEENS1_25partition_config_selectorILNS1_17partition_subalgoE3EjNS0_10empty_typeEbEEZZNS1_14partition_implILS8_3ELb0ES6_jNS0_17counting_iteratorIjlEEPS9_SE_NS0_5tupleIJPjSE_EEENSF_IJSE_SE_EEES9_SG_JZNS1_25segmented_radix_sort_implINS0_14default_configELb0EPKhPhPKlPlN2at6native12_GLOBAL__N_18offset_tEEE10hipError_tPvRmT1_PNSt15iterator_traitsISY_E10value_typeET2_T3_PNSZ_IS14_E10value_typeET4_jRbjT5_S1A_jjP12ihipStream_tbEUljE_EEESV_SW_SX_S14_S18_S1A_T6_T7_T9_mT8_S1C_bDpT10_ENKUlT_T0_E_clISt17integral_constantIbLb1EES1O_IbLb0EEEEDaS1K_S1L_EUlS1K_E_NS1_11comp_targetILNS1_3genE0ELNS1_11target_archE4294967295ELNS1_3gpuE0ELNS1_3repE0EEENS1_30default_config_static_selectorELNS0_4arch9wavefront6targetE0EEEvSY_.num_agpr, 0
	.set _ZN7rocprim17ROCPRIM_400000_NS6detail17trampoline_kernelINS0_13select_configILj256ELj13ELNS0_17block_load_methodE3ELS4_3ELS4_3ELNS0_20block_scan_algorithmE0ELj4294967295EEENS1_25partition_config_selectorILNS1_17partition_subalgoE3EjNS0_10empty_typeEbEEZZNS1_14partition_implILS8_3ELb0ES6_jNS0_17counting_iteratorIjlEEPS9_SE_NS0_5tupleIJPjSE_EEENSF_IJSE_SE_EEES9_SG_JZNS1_25segmented_radix_sort_implINS0_14default_configELb0EPKhPhPKlPlN2at6native12_GLOBAL__N_18offset_tEEE10hipError_tPvRmT1_PNSt15iterator_traitsISY_E10value_typeET2_T3_PNSZ_IS14_E10value_typeET4_jRbjT5_S1A_jjP12ihipStream_tbEUljE_EEESV_SW_SX_S14_S18_S1A_T6_T7_T9_mT8_S1C_bDpT10_ENKUlT_T0_E_clISt17integral_constantIbLb1EES1O_IbLb0EEEEDaS1K_S1L_EUlS1K_E_NS1_11comp_targetILNS1_3genE0ELNS1_11target_archE4294967295ELNS1_3gpuE0ELNS1_3repE0EEENS1_30default_config_static_selectorELNS0_4arch9wavefront6targetE0EEEvSY_.numbered_sgpr, 0
	.set _ZN7rocprim17ROCPRIM_400000_NS6detail17trampoline_kernelINS0_13select_configILj256ELj13ELNS0_17block_load_methodE3ELS4_3ELS4_3ELNS0_20block_scan_algorithmE0ELj4294967295EEENS1_25partition_config_selectorILNS1_17partition_subalgoE3EjNS0_10empty_typeEbEEZZNS1_14partition_implILS8_3ELb0ES6_jNS0_17counting_iteratorIjlEEPS9_SE_NS0_5tupleIJPjSE_EEENSF_IJSE_SE_EEES9_SG_JZNS1_25segmented_radix_sort_implINS0_14default_configELb0EPKhPhPKlPlN2at6native12_GLOBAL__N_18offset_tEEE10hipError_tPvRmT1_PNSt15iterator_traitsISY_E10value_typeET2_T3_PNSZ_IS14_E10value_typeET4_jRbjT5_S1A_jjP12ihipStream_tbEUljE_EEESV_SW_SX_S14_S18_S1A_T6_T7_T9_mT8_S1C_bDpT10_ENKUlT_T0_E_clISt17integral_constantIbLb1EES1O_IbLb0EEEEDaS1K_S1L_EUlS1K_E_NS1_11comp_targetILNS1_3genE0ELNS1_11target_archE4294967295ELNS1_3gpuE0ELNS1_3repE0EEENS1_30default_config_static_selectorELNS0_4arch9wavefront6targetE0EEEvSY_.num_named_barrier, 0
	.set _ZN7rocprim17ROCPRIM_400000_NS6detail17trampoline_kernelINS0_13select_configILj256ELj13ELNS0_17block_load_methodE3ELS4_3ELS4_3ELNS0_20block_scan_algorithmE0ELj4294967295EEENS1_25partition_config_selectorILNS1_17partition_subalgoE3EjNS0_10empty_typeEbEEZZNS1_14partition_implILS8_3ELb0ES6_jNS0_17counting_iteratorIjlEEPS9_SE_NS0_5tupleIJPjSE_EEENSF_IJSE_SE_EEES9_SG_JZNS1_25segmented_radix_sort_implINS0_14default_configELb0EPKhPhPKlPlN2at6native12_GLOBAL__N_18offset_tEEE10hipError_tPvRmT1_PNSt15iterator_traitsISY_E10value_typeET2_T3_PNSZ_IS14_E10value_typeET4_jRbjT5_S1A_jjP12ihipStream_tbEUljE_EEESV_SW_SX_S14_S18_S1A_T6_T7_T9_mT8_S1C_bDpT10_ENKUlT_T0_E_clISt17integral_constantIbLb1EES1O_IbLb0EEEEDaS1K_S1L_EUlS1K_E_NS1_11comp_targetILNS1_3genE0ELNS1_11target_archE4294967295ELNS1_3gpuE0ELNS1_3repE0EEENS1_30default_config_static_selectorELNS0_4arch9wavefront6targetE0EEEvSY_.private_seg_size, 0
	.set _ZN7rocprim17ROCPRIM_400000_NS6detail17trampoline_kernelINS0_13select_configILj256ELj13ELNS0_17block_load_methodE3ELS4_3ELS4_3ELNS0_20block_scan_algorithmE0ELj4294967295EEENS1_25partition_config_selectorILNS1_17partition_subalgoE3EjNS0_10empty_typeEbEEZZNS1_14partition_implILS8_3ELb0ES6_jNS0_17counting_iteratorIjlEEPS9_SE_NS0_5tupleIJPjSE_EEENSF_IJSE_SE_EEES9_SG_JZNS1_25segmented_radix_sort_implINS0_14default_configELb0EPKhPhPKlPlN2at6native12_GLOBAL__N_18offset_tEEE10hipError_tPvRmT1_PNSt15iterator_traitsISY_E10value_typeET2_T3_PNSZ_IS14_E10value_typeET4_jRbjT5_S1A_jjP12ihipStream_tbEUljE_EEESV_SW_SX_S14_S18_S1A_T6_T7_T9_mT8_S1C_bDpT10_ENKUlT_T0_E_clISt17integral_constantIbLb1EES1O_IbLb0EEEEDaS1K_S1L_EUlS1K_E_NS1_11comp_targetILNS1_3genE0ELNS1_11target_archE4294967295ELNS1_3gpuE0ELNS1_3repE0EEENS1_30default_config_static_selectorELNS0_4arch9wavefront6targetE0EEEvSY_.uses_vcc, 0
	.set _ZN7rocprim17ROCPRIM_400000_NS6detail17trampoline_kernelINS0_13select_configILj256ELj13ELNS0_17block_load_methodE3ELS4_3ELS4_3ELNS0_20block_scan_algorithmE0ELj4294967295EEENS1_25partition_config_selectorILNS1_17partition_subalgoE3EjNS0_10empty_typeEbEEZZNS1_14partition_implILS8_3ELb0ES6_jNS0_17counting_iteratorIjlEEPS9_SE_NS0_5tupleIJPjSE_EEENSF_IJSE_SE_EEES9_SG_JZNS1_25segmented_radix_sort_implINS0_14default_configELb0EPKhPhPKlPlN2at6native12_GLOBAL__N_18offset_tEEE10hipError_tPvRmT1_PNSt15iterator_traitsISY_E10value_typeET2_T3_PNSZ_IS14_E10value_typeET4_jRbjT5_S1A_jjP12ihipStream_tbEUljE_EEESV_SW_SX_S14_S18_S1A_T6_T7_T9_mT8_S1C_bDpT10_ENKUlT_T0_E_clISt17integral_constantIbLb1EES1O_IbLb0EEEEDaS1K_S1L_EUlS1K_E_NS1_11comp_targetILNS1_3genE0ELNS1_11target_archE4294967295ELNS1_3gpuE0ELNS1_3repE0EEENS1_30default_config_static_selectorELNS0_4arch9wavefront6targetE0EEEvSY_.uses_flat_scratch, 0
	.set _ZN7rocprim17ROCPRIM_400000_NS6detail17trampoline_kernelINS0_13select_configILj256ELj13ELNS0_17block_load_methodE3ELS4_3ELS4_3ELNS0_20block_scan_algorithmE0ELj4294967295EEENS1_25partition_config_selectorILNS1_17partition_subalgoE3EjNS0_10empty_typeEbEEZZNS1_14partition_implILS8_3ELb0ES6_jNS0_17counting_iteratorIjlEEPS9_SE_NS0_5tupleIJPjSE_EEENSF_IJSE_SE_EEES9_SG_JZNS1_25segmented_radix_sort_implINS0_14default_configELb0EPKhPhPKlPlN2at6native12_GLOBAL__N_18offset_tEEE10hipError_tPvRmT1_PNSt15iterator_traitsISY_E10value_typeET2_T3_PNSZ_IS14_E10value_typeET4_jRbjT5_S1A_jjP12ihipStream_tbEUljE_EEESV_SW_SX_S14_S18_S1A_T6_T7_T9_mT8_S1C_bDpT10_ENKUlT_T0_E_clISt17integral_constantIbLb1EES1O_IbLb0EEEEDaS1K_S1L_EUlS1K_E_NS1_11comp_targetILNS1_3genE0ELNS1_11target_archE4294967295ELNS1_3gpuE0ELNS1_3repE0EEENS1_30default_config_static_selectorELNS0_4arch9wavefront6targetE0EEEvSY_.has_dyn_sized_stack, 0
	.set _ZN7rocprim17ROCPRIM_400000_NS6detail17trampoline_kernelINS0_13select_configILj256ELj13ELNS0_17block_load_methodE3ELS4_3ELS4_3ELNS0_20block_scan_algorithmE0ELj4294967295EEENS1_25partition_config_selectorILNS1_17partition_subalgoE3EjNS0_10empty_typeEbEEZZNS1_14partition_implILS8_3ELb0ES6_jNS0_17counting_iteratorIjlEEPS9_SE_NS0_5tupleIJPjSE_EEENSF_IJSE_SE_EEES9_SG_JZNS1_25segmented_radix_sort_implINS0_14default_configELb0EPKhPhPKlPlN2at6native12_GLOBAL__N_18offset_tEEE10hipError_tPvRmT1_PNSt15iterator_traitsISY_E10value_typeET2_T3_PNSZ_IS14_E10value_typeET4_jRbjT5_S1A_jjP12ihipStream_tbEUljE_EEESV_SW_SX_S14_S18_S1A_T6_T7_T9_mT8_S1C_bDpT10_ENKUlT_T0_E_clISt17integral_constantIbLb1EES1O_IbLb0EEEEDaS1K_S1L_EUlS1K_E_NS1_11comp_targetILNS1_3genE0ELNS1_11target_archE4294967295ELNS1_3gpuE0ELNS1_3repE0EEENS1_30default_config_static_selectorELNS0_4arch9wavefront6targetE0EEEvSY_.has_recursion, 0
	.set _ZN7rocprim17ROCPRIM_400000_NS6detail17trampoline_kernelINS0_13select_configILj256ELj13ELNS0_17block_load_methodE3ELS4_3ELS4_3ELNS0_20block_scan_algorithmE0ELj4294967295EEENS1_25partition_config_selectorILNS1_17partition_subalgoE3EjNS0_10empty_typeEbEEZZNS1_14partition_implILS8_3ELb0ES6_jNS0_17counting_iteratorIjlEEPS9_SE_NS0_5tupleIJPjSE_EEENSF_IJSE_SE_EEES9_SG_JZNS1_25segmented_radix_sort_implINS0_14default_configELb0EPKhPhPKlPlN2at6native12_GLOBAL__N_18offset_tEEE10hipError_tPvRmT1_PNSt15iterator_traitsISY_E10value_typeET2_T3_PNSZ_IS14_E10value_typeET4_jRbjT5_S1A_jjP12ihipStream_tbEUljE_EEESV_SW_SX_S14_S18_S1A_T6_T7_T9_mT8_S1C_bDpT10_ENKUlT_T0_E_clISt17integral_constantIbLb1EES1O_IbLb0EEEEDaS1K_S1L_EUlS1K_E_NS1_11comp_targetILNS1_3genE0ELNS1_11target_archE4294967295ELNS1_3gpuE0ELNS1_3repE0EEENS1_30default_config_static_selectorELNS0_4arch9wavefront6targetE0EEEvSY_.has_indirect_call, 0
	.section	.AMDGPU.csdata,"",@progbits
; Kernel info:
; codeLenInByte = 4
; TotalNumSgprs: 0
; NumVgprs: 0
; ScratchSize: 0
; MemoryBound: 0
; FloatMode: 240
; IeeeMode: 1
; LDSByteSize: 0 bytes/workgroup (compile time only)
; SGPRBlocks: 0
; VGPRBlocks: 0
; NumSGPRsForWavesPerEU: 1
; NumVGPRsForWavesPerEU: 1
; NamedBarCnt: 0
; Occupancy: 16
; WaveLimiterHint : 0
; COMPUTE_PGM_RSRC2:SCRATCH_EN: 0
; COMPUTE_PGM_RSRC2:USER_SGPR: 2
; COMPUTE_PGM_RSRC2:TRAP_HANDLER: 0
; COMPUTE_PGM_RSRC2:TGID_X_EN: 1
; COMPUTE_PGM_RSRC2:TGID_Y_EN: 0
; COMPUTE_PGM_RSRC2:TGID_Z_EN: 0
; COMPUTE_PGM_RSRC2:TIDIG_COMP_CNT: 0
	.section	.text._ZN7rocprim17ROCPRIM_400000_NS6detail17trampoline_kernelINS0_13select_configILj256ELj13ELNS0_17block_load_methodE3ELS4_3ELS4_3ELNS0_20block_scan_algorithmE0ELj4294967295EEENS1_25partition_config_selectorILNS1_17partition_subalgoE3EjNS0_10empty_typeEbEEZZNS1_14partition_implILS8_3ELb0ES6_jNS0_17counting_iteratorIjlEEPS9_SE_NS0_5tupleIJPjSE_EEENSF_IJSE_SE_EEES9_SG_JZNS1_25segmented_radix_sort_implINS0_14default_configELb0EPKhPhPKlPlN2at6native12_GLOBAL__N_18offset_tEEE10hipError_tPvRmT1_PNSt15iterator_traitsISY_E10value_typeET2_T3_PNSZ_IS14_E10value_typeET4_jRbjT5_S1A_jjP12ihipStream_tbEUljE_EEESV_SW_SX_S14_S18_S1A_T6_T7_T9_mT8_S1C_bDpT10_ENKUlT_T0_E_clISt17integral_constantIbLb1EES1O_IbLb0EEEEDaS1K_S1L_EUlS1K_E_NS1_11comp_targetILNS1_3genE5ELNS1_11target_archE942ELNS1_3gpuE9ELNS1_3repE0EEENS1_30default_config_static_selectorELNS0_4arch9wavefront6targetE0EEEvSY_,"axG",@progbits,_ZN7rocprim17ROCPRIM_400000_NS6detail17trampoline_kernelINS0_13select_configILj256ELj13ELNS0_17block_load_methodE3ELS4_3ELS4_3ELNS0_20block_scan_algorithmE0ELj4294967295EEENS1_25partition_config_selectorILNS1_17partition_subalgoE3EjNS0_10empty_typeEbEEZZNS1_14partition_implILS8_3ELb0ES6_jNS0_17counting_iteratorIjlEEPS9_SE_NS0_5tupleIJPjSE_EEENSF_IJSE_SE_EEES9_SG_JZNS1_25segmented_radix_sort_implINS0_14default_configELb0EPKhPhPKlPlN2at6native12_GLOBAL__N_18offset_tEEE10hipError_tPvRmT1_PNSt15iterator_traitsISY_E10value_typeET2_T3_PNSZ_IS14_E10value_typeET4_jRbjT5_S1A_jjP12ihipStream_tbEUljE_EEESV_SW_SX_S14_S18_S1A_T6_T7_T9_mT8_S1C_bDpT10_ENKUlT_T0_E_clISt17integral_constantIbLb1EES1O_IbLb0EEEEDaS1K_S1L_EUlS1K_E_NS1_11comp_targetILNS1_3genE5ELNS1_11target_archE942ELNS1_3gpuE9ELNS1_3repE0EEENS1_30default_config_static_selectorELNS0_4arch9wavefront6targetE0EEEvSY_,comdat
	.globl	_ZN7rocprim17ROCPRIM_400000_NS6detail17trampoline_kernelINS0_13select_configILj256ELj13ELNS0_17block_load_methodE3ELS4_3ELS4_3ELNS0_20block_scan_algorithmE0ELj4294967295EEENS1_25partition_config_selectorILNS1_17partition_subalgoE3EjNS0_10empty_typeEbEEZZNS1_14partition_implILS8_3ELb0ES6_jNS0_17counting_iteratorIjlEEPS9_SE_NS0_5tupleIJPjSE_EEENSF_IJSE_SE_EEES9_SG_JZNS1_25segmented_radix_sort_implINS0_14default_configELb0EPKhPhPKlPlN2at6native12_GLOBAL__N_18offset_tEEE10hipError_tPvRmT1_PNSt15iterator_traitsISY_E10value_typeET2_T3_PNSZ_IS14_E10value_typeET4_jRbjT5_S1A_jjP12ihipStream_tbEUljE_EEESV_SW_SX_S14_S18_S1A_T6_T7_T9_mT8_S1C_bDpT10_ENKUlT_T0_E_clISt17integral_constantIbLb1EES1O_IbLb0EEEEDaS1K_S1L_EUlS1K_E_NS1_11comp_targetILNS1_3genE5ELNS1_11target_archE942ELNS1_3gpuE9ELNS1_3repE0EEENS1_30default_config_static_selectorELNS0_4arch9wavefront6targetE0EEEvSY_ ; -- Begin function _ZN7rocprim17ROCPRIM_400000_NS6detail17trampoline_kernelINS0_13select_configILj256ELj13ELNS0_17block_load_methodE3ELS4_3ELS4_3ELNS0_20block_scan_algorithmE0ELj4294967295EEENS1_25partition_config_selectorILNS1_17partition_subalgoE3EjNS0_10empty_typeEbEEZZNS1_14partition_implILS8_3ELb0ES6_jNS0_17counting_iteratorIjlEEPS9_SE_NS0_5tupleIJPjSE_EEENSF_IJSE_SE_EEES9_SG_JZNS1_25segmented_radix_sort_implINS0_14default_configELb0EPKhPhPKlPlN2at6native12_GLOBAL__N_18offset_tEEE10hipError_tPvRmT1_PNSt15iterator_traitsISY_E10value_typeET2_T3_PNSZ_IS14_E10value_typeET4_jRbjT5_S1A_jjP12ihipStream_tbEUljE_EEESV_SW_SX_S14_S18_S1A_T6_T7_T9_mT8_S1C_bDpT10_ENKUlT_T0_E_clISt17integral_constantIbLb1EES1O_IbLb0EEEEDaS1K_S1L_EUlS1K_E_NS1_11comp_targetILNS1_3genE5ELNS1_11target_archE942ELNS1_3gpuE9ELNS1_3repE0EEENS1_30default_config_static_selectorELNS0_4arch9wavefront6targetE0EEEvSY_
	.p2align	8
	.type	_ZN7rocprim17ROCPRIM_400000_NS6detail17trampoline_kernelINS0_13select_configILj256ELj13ELNS0_17block_load_methodE3ELS4_3ELS4_3ELNS0_20block_scan_algorithmE0ELj4294967295EEENS1_25partition_config_selectorILNS1_17partition_subalgoE3EjNS0_10empty_typeEbEEZZNS1_14partition_implILS8_3ELb0ES6_jNS0_17counting_iteratorIjlEEPS9_SE_NS0_5tupleIJPjSE_EEENSF_IJSE_SE_EEES9_SG_JZNS1_25segmented_radix_sort_implINS0_14default_configELb0EPKhPhPKlPlN2at6native12_GLOBAL__N_18offset_tEEE10hipError_tPvRmT1_PNSt15iterator_traitsISY_E10value_typeET2_T3_PNSZ_IS14_E10value_typeET4_jRbjT5_S1A_jjP12ihipStream_tbEUljE_EEESV_SW_SX_S14_S18_S1A_T6_T7_T9_mT8_S1C_bDpT10_ENKUlT_T0_E_clISt17integral_constantIbLb1EES1O_IbLb0EEEEDaS1K_S1L_EUlS1K_E_NS1_11comp_targetILNS1_3genE5ELNS1_11target_archE942ELNS1_3gpuE9ELNS1_3repE0EEENS1_30default_config_static_selectorELNS0_4arch9wavefront6targetE0EEEvSY_,@function
_ZN7rocprim17ROCPRIM_400000_NS6detail17trampoline_kernelINS0_13select_configILj256ELj13ELNS0_17block_load_methodE3ELS4_3ELS4_3ELNS0_20block_scan_algorithmE0ELj4294967295EEENS1_25partition_config_selectorILNS1_17partition_subalgoE3EjNS0_10empty_typeEbEEZZNS1_14partition_implILS8_3ELb0ES6_jNS0_17counting_iteratorIjlEEPS9_SE_NS0_5tupleIJPjSE_EEENSF_IJSE_SE_EEES9_SG_JZNS1_25segmented_radix_sort_implINS0_14default_configELb0EPKhPhPKlPlN2at6native12_GLOBAL__N_18offset_tEEE10hipError_tPvRmT1_PNSt15iterator_traitsISY_E10value_typeET2_T3_PNSZ_IS14_E10value_typeET4_jRbjT5_S1A_jjP12ihipStream_tbEUljE_EEESV_SW_SX_S14_S18_S1A_T6_T7_T9_mT8_S1C_bDpT10_ENKUlT_T0_E_clISt17integral_constantIbLb1EES1O_IbLb0EEEEDaS1K_S1L_EUlS1K_E_NS1_11comp_targetILNS1_3genE5ELNS1_11target_archE942ELNS1_3gpuE9ELNS1_3repE0EEENS1_30default_config_static_selectorELNS0_4arch9wavefront6targetE0EEEvSY_: ; @_ZN7rocprim17ROCPRIM_400000_NS6detail17trampoline_kernelINS0_13select_configILj256ELj13ELNS0_17block_load_methodE3ELS4_3ELS4_3ELNS0_20block_scan_algorithmE0ELj4294967295EEENS1_25partition_config_selectorILNS1_17partition_subalgoE3EjNS0_10empty_typeEbEEZZNS1_14partition_implILS8_3ELb0ES6_jNS0_17counting_iteratorIjlEEPS9_SE_NS0_5tupleIJPjSE_EEENSF_IJSE_SE_EEES9_SG_JZNS1_25segmented_radix_sort_implINS0_14default_configELb0EPKhPhPKlPlN2at6native12_GLOBAL__N_18offset_tEEE10hipError_tPvRmT1_PNSt15iterator_traitsISY_E10value_typeET2_T3_PNSZ_IS14_E10value_typeET4_jRbjT5_S1A_jjP12ihipStream_tbEUljE_EEESV_SW_SX_S14_S18_S1A_T6_T7_T9_mT8_S1C_bDpT10_ENKUlT_T0_E_clISt17integral_constantIbLb1EES1O_IbLb0EEEEDaS1K_S1L_EUlS1K_E_NS1_11comp_targetILNS1_3genE5ELNS1_11target_archE942ELNS1_3gpuE9ELNS1_3repE0EEENS1_30default_config_static_selectorELNS0_4arch9wavefront6targetE0EEEvSY_
; %bb.0:
	.section	.rodata,"a",@progbits
	.p2align	6, 0x0
	.amdhsa_kernel _ZN7rocprim17ROCPRIM_400000_NS6detail17trampoline_kernelINS0_13select_configILj256ELj13ELNS0_17block_load_methodE3ELS4_3ELS4_3ELNS0_20block_scan_algorithmE0ELj4294967295EEENS1_25partition_config_selectorILNS1_17partition_subalgoE3EjNS0_10empty_typeEbEEZZNS1_14partition_implILS8_3ELb0ES6_jNS0_17counting_iteratorIjlEEPS9_SE_NS0_5tupleIJPjSE_EEENSF_IJSE_SE_EEES9_SG_JZNS1_25segmented_radix_sort_implINS0_14default_configELb0EPKhPhPKlPlN2at6native12_GLOBAL__N_18offset_tEEE10hipError_tPvRmT1_PNSt15iterator_traitsISY_E10value_typeET2_T3_PNSZ_IS14_E10value_typeET4_jRbjT5_S1A_jjP12ihipStream_tbEUljE_EEESV_SW_SX_S14_S18_S1A_T6_T7_T9_mT8_S1C_bDpT10_ENKUlT_T0_E_clISt17integral_constantIbLb1EES1O_IbLb0EEEEDaS1K_S1L_EUlS1K_E_NS1_11comp_targetILNS1_3genE5ELNS1_11target_archE942ELNS1_3gpuE9ELNS1_3repE0EEENS1_30default_config_static_selectorELNS0_4arch9wavefront6targetE0EEEvSY_
		.amdhsa_group_segment_fixed_size 0
		.amdhsa_private_segment_fixed_size 0
		.amdhsa_kernarg_size 144
		.amdhsa_user_sgpr_count 2
		.amdhsa_user_sgpr_dispatch_ptr 0
		.amdhsa_user_sgpr_queue_ptr 0
		.amdhsa_user_sgpr_kernarg_segment_ptr 1
		.amdhsa_user_sgpr_dispatch_id 0
		.amdhsa_user_sgpr_kernarg_preload_length 0
		.amdhsa_user_sgpr_kernarg_preload_offset 0
		.amdhsa_user_sgpr_private_segment_size 0
		.amdhsa_wavefront_size32 1
		.amdhsa_uses_dynamic_stack 0
		.amdhsa_enable_private_segment 0
		.amdhsa_system_sgpr_workgroup_id_x 1
		.amdhsa_system_sgpr_workgroup_id_y 0
		.amdhsa_system_sgpr_workgroup_id_z 0
		.amdhsa_system_sgpr_workgroup_info 0
		.amdhsa_system_vgpr_workitem_id 0
		.amdhsa_next_free_vgpr 1
		.amdhsa_next_free_sgpr 1
		.amdhsa_named_barrier_count 0
		.amdhsa_reserve_vcc 0
		.amdhsa_float_round_mode_32 0
		.amdhsa_float_round_mode_16_64 0
		.amdhsa_float_denorm_mode_32 3
		.amdhsa_float_denorm_mode_16_64 3
		.amdhsa_fp16_overflow 0
		.amdhsa_memory_ordered 1
		.amdhsa_forward_progress 1
		.amdhsa_inst_pref_size 0
		.amdhsa_round_robin_scheduling 0
		.amdhsa_exception_fp_ieee_invalid_op 0
		.amdhsa_exception_fp_denorm_src 0
		.amdhsa_exception_fp_ieee_div_zero 0
		.amdhsa_exception_fp_ieee_overflow 0
		.amdhsa_exception_fp_ieee_underflow 0
		.amdhsa_exception_fp_ieee_inexact 0
		.amdhsa_exception_int_div_zero 0
	.end_amdhsa_kernel
	.section	.text._ZN7rocprim17ROCPRIM_400000_NS6detail17trampoline_kernelINS0_13select_configILj256ELj13ELNS0_17block_load_methodE3ELS4_3ELS4_3ELNS0_20block_scan_algorithmE0ELj4294967295EEENS1_25partition_config_selectorILNS1_17partition_subalgoE3EjNS0_10empty_typeEbEEZZNS1_14partition_implILS8_3ELb0ES6_jNS0_17counting_iteratorIjlEEPS9_SE_NS0_5tupleIJPjSE_EEENSF_IJSE_SE_EEES9_SG_JZNS1_25segmented_radix_sort_implINS0_14default_configELb0EPKhPhPKlPlN2at6native12_GLOBAL__N_18offset_tEEE10hipError_tPvRmT1_PNSt15iterator_traitsISY_E10value_typeET2_T3_PNSZ_IS14_E10value_typeET4_jRbjT5_S1A_jjP12ihipStream_tbEUljE_EEESV_SW_SX_S14_S18_S1A_T6_T7_T9_mT8_S1C_bDpT10_ENKUlT_T0_E_clISt17integral_constantIbLb1EES1O_IbLb0EEEEDaS1K_S1L_EUlS1K_E_NS1_11comp_targetILNS1_3genE5ELNS1_11target_archE942ELNS1_3gpuE9ELNS1_3repE0EEENS1_30default_config_static_selectorELNS0_4arch9wavefront6targetE0EEEvSY_,"axG",@progbits,_ZN7rocprim17ROCPRIM_400000_NS6detail17trampoline_kernelINS0_13select_configILj256ELj13ELNS0_17block_load_methodE3ELS4_3ELS4_3ELNS0_20block_scan_algorithmE0ELj4294967295EEENS1_25partition_config_selectorILNS1_17partition_subalgoE3EjNS0_10empty_typeEbEEZZNS1_14partition_implILS8_3ELb0ES6_jNS0_17counting_iteratorIjlEEPS9_SE_NS0_5tupleIJPjSE_EEENSF_IJSE_SE_EEES9_SG_JZNS1_25segmented_radix_sort_implINS0_14default_configELb0EPKhPhPKlPlN2at6native12_GLOBAL__N_18offset_tEEE10hipError_tPvRmT1_PNSt15iterator_traitsISY_E10value_typeET2_T3_PNSZ_IS14_E10value_typeET4_jRbjT5_S1A_jjP12ihipStream_tbEUljE_EEESV_SW_SX_S14_S18_S1A_T6_T7_T9_mT8_S1C_bDpT10_ENKUlT_T0_E_clISt17integral_constantIbLb1EES1O_IbLb0EEEEDaS1K_S1L_EUlS1K_E_NS1_11comp_targetILNS1_3genE5ELNS1_11target_archE942ELNS1_3gpuE9ELNS1_3repE0EEENS1_30default_config_static_selectorELNS0_4arch9wavefront6targetE0EEEvSY_,comdat
.Lfunc_end170:
	.size	_ZN7rocprim17ROCPRIM_400000_NS6detail17trampoline_kernelINS0_13select_configILj256ELj13ELNS0_17block_load_methodE3ELS4_3ELS4_3ELNS0_20block_scan_algorithmE0ELj4294967295EEENS1_25partition_config_selectorILNS1_17partition_subalgoE3EjNS0_10empty_typeEbEEZZNS1_14partition_implILS8_3ELb0ES6_jNS0_17counting_iteratorIjlEEPS9_SE_NS0_5tupleIJPjSE_EEENSF_IJSE_SE_EEES9_SG_JZNS1_25segmented_radix_sort_implINS0_14default_configELb0EPKhPhPKlPlN2at6native12_GLOBAL__N_18offset_tEEE10hipError_tPvRmT1_PNSt15iterator_traitsISY_E10value_typeET2_T3_PNSZ_IS14_E10value_typeET4_jRbjT5_S1A_jjP12ihipStream_tbEUljE_EEESV_SW_SX_S14_S18_S1A_T6_T7_T9_mT8_S1C_bDpT10_ENKUlT_T0_E_clISt17integral_constantIbLb1EES1O_IbLb0EEEEDaS1K_S1L_EUlS1K_E_NS1_11comp_targetILNS1_3genE5ELNS1_11target_archE942ELNS1_3gpuE9ELNS1_3repE0EEENS1_30default_config_static_selectorELNS0_4arch9wavefront6targetE0EEEvSY_, .Lfunc_end170-_ZN7rocprim17ROCPRIM_400000_NS6detail17trampoline_kernelINS0_13select_configILj256ELj13ELNS0_17block_load_methodE3ELS4_3ELS4_3ELNS0_20block_scan_algorithmE0ELj4294967295EEENS1_25partition_config_selectorILNS1_17partition_subalgoE3EjNS0_10empty_typeEbEEZZNS1_14partition_implILS8_3ELb0ES6_jNS0_17counting_iteratorIjlEEPS9_SE_NS0_5tupleIJPjSE_EEENSF_IJSE_SE_EEES9_SG_JZNS1_25segmented_radix_sort_implINS0_14default_configELb0EPKhPhPKlPlN2at6native12_GLOBAL__N_18offset_tEEE10hipError_tPvRmT1_PNSt15iterator_traitsISY_E10value_typeET2_T3_PNSZ_IS14_E10value_typeET4_jRbjT5_S1A_jjP12ihipStream_tbEUljE_EEESV_SW_SX_S14_S18_S1A_T6_T7_T9_mT8_S1C_bDpT10_ENKUlT_T0_E_clISt17integral_constantIbLb1EES1O_IbLb0EEEEDaS1K_S1L_EUlS1K_E_NS1_11comp_targetILNS1_3genE5ELNS1_11target_archE942ELNS1_3gpuE9ELNS1_3repE0EEENS1_30default_config_static_selectorELNS0_4arch9wavefront6targetE0EEEvSY_
                                        ; -- End function
	.set _ZN7rocprim17ROCPRIM_400000_NS6detail17trampoline_kernelINS0_13select_configILj256ELj13ELNS0_17block_load_methodE3ELS4_3ELS4_3ELNS0_20block_scan_algorithmE0ELj4294967295EEENS1_25partition_config_selectorILNS1_17partition_subalgoE3EjNS0_10empty_typeEbEEZZNS1_14partition_implILS8_3ELb0ES6_jNS0_17counting_iteratorIjlEEPS9_SE_NS0_5tupleIJPjSE_EEENSF_IJSE_SE_EEES9_SG_JZNS1_25segmented_radix_sort_implINS0_14default_configELb0EPKhPhPKlPlN2at6native12_GLOBAL__N_18offset_tEEE10hipError_tPvRmT1_PNSt15iterator_traitsISY_E10value_typeET2_T3_PNSZ_IS14_E10value_typeET4_jRbjT5_S1A_jjP12ihipStream_tbEUljE_EEESV_SW_SX_S14_S18_S1A_T6_T7_T9_mT8_S1C_bDpT10_ENKUlT_T0_E_clISt17integral_constantIbLb1EES1O_IbLb0EEEEDaS1K_S1L_EUlS1K_E_NS1_11comp_targetILNS1_3genE5ELNS1_11target_archE942ELNS1_3gpuE9ELNS1_3repE0EEENS1_30default_config_static_selectorELNS0_4arch9wavefront6targetE0EEEvSY_.num_vgpr, 0
	.set _ZN7rocprim17ROCPRIM_400000_NS6detail17trampoline_kernelINS0_13select_configILj256ELj13ELNS0_17block_load_methodE3ELS4_3ELS4_3ELNS0_20block_scan_algorithmE0ELj4294967295EEENS1_25partition_config_selectorILNS1_17partition_subalgoE3EjNS0_10empty_typeEbEEZZNS1_14partition_implILS8_3ELb0ES6_jNS0_17counting_iteratorIjlEEPS9_SE_NS0_5tupleIJPjSE_EEENSF_IJSE_SE_EEES9_SG_JZNS1_25segmented_radix_sort_implINS0_14default_configELb0EPKhPhPKlPlN2at6native12_GLOBAL__N_18offset_tEEE10hipError_tPvRmT1_PNSt15iterator_traitsISY_E10value_typeET2_T3_PNSZ_IS14_E10value_typeET4_jRbjT5_S1A_jjP12ihipStream_tbEUljE_EEESV_SW_SX_S14_S18_S1A_T6_T7_T9_mT8_S1C_bDpT10_ENKUlT_T0_E_clISt17integral_constantIbLb1EES1O_IbLb0EEEEDaS1K_S1L_EUlS1K_E_NS1_11comp_targetILNS1_3genE5ELNS1_11target_archE942ELNS1_3gpuE9ELNS1_3repE0EEENS1_30default_config_static_selectorELNS0_4arch9wavefront6targetE0EEEvSY_.num_agpr, 0
	.set _ZN7rocprim17ROCPRIM_400000_NS6detail17trampoline_kernelINS0_13select_configILj256ELj13ELNS0_17block_load_methodE3ELS4_3ELS4_3ELNS0_20block_scan_algorithmE0ELj4294967295EEENS1_25partition_config_selectorILNS1_17partition_subalgoE3EjNS0_10empty_typeEbEEZZNS1_14partition_implILS8_3ELb0ES6_jNS0_17counting_iteratorIjlEEPS9_SE_NS0_5tupleIJPjSE_EEENSF_IJSE_SE_EEES9_SG_JZNS1_25segmented_radix_sort_implINS0_14default_configELb0EPKhPhPKlPlN2at6native12_GLOBAL__N_18offset_tEEE10hipError_tPvRmT1_PNSt15iterator_traitsISY_E10value_typeET2_T3_PNSZ_IS14_E10value_typeET4_jRbjT5_S1A_jjP12ihipStream_tbEUljE_EEESV_SW_SX_S14_S18_S1A_T6_T7_T9_mT8_S1C_bDpT10_ENKUlT_T0_E_clISt17integral_constantIbLb1EES1O_IbLb0EEEEDaS1K_S1L_EUlS1K_E_NS1_11comp_targetILNS1_3genE5ELNS1_11target_archE942ELNS1_3gpuE9ELNS1_3repE0EEENS1_30default_config_static_selectorELNS0_4arch9wavefront6targetE0EEEvSY_.numbered_sgpr, 0
	.set _ZN7rocprim17ROCPRIM_400000_NS6detail17trampoline_kernelINS0_13select_configILj256ELj13ELNS0_17block_load_methodE3ELS4_3ELS4_3ELNS0_20block_scan_algorithmE0ELj4294967295EEENS1_25partition_config_selectorILNS1_17partition_subalgoE3EjNS0_10empty_typeEbEEZZNS1_14partition_implILS8_3ELb0ES6_jNS0_17counting_iteratorIjlEEPS9_SE_NS0_5tupleIJPjSE_EEENSF_IJSE_SE_EEES9_SG_JZNS1_25segmented_radix_sort_implINS0_14default_configELb0EPKhPhPKlPlN2at6native12_GLOBAL__N_18offset_tEEE10hipError_tPvRmT1_PNSt15iterator_traitsISY_E10value_typeET2_T3_PNSZ_IS14_E10value_typeET4_jRbjT5_S1A_jjP12ihipStream_tbEUljE_EEESV_SW_SX_S14_S18_S1A_T6_T7_T9_mT8_S1C_bDpT10_ENKUlT_T0_E_clISt17integral_constantIbLb1EES1O_IbLb0EEEEDaS1K_S1L_EUlS1K_E_NS1_11comp_targetILNS1_3genE5ELNS1_11target_archE942ELNS1_3gpuE9ELNS1_3repE0EEENS1_30default_config_static_selectorELNS0_4arch9wavefront6targetE0EEEvSY_.num_named_barrier, 0
	.set _ZN7rocprim17ROCPRIM_400000_NS6detail17trampoline_kernelINS0_13select_configILj256ELj13ELNS0_17block_load_methodE3ELS4_3ELS4_3ELNS0_20block_scan_algorithmE0ELj4294967295EEENS1_25partition_config_selectorILNS1_17partition_subalgoE3EjNS0_10empty_typeEbEEZZNS1_14partition_implILS8_3ELb0ES6_jNS0_17counting_iteratorIjlEEPS9_SE_NS0_5tupleIJPjSE_EEENSF_IJSE_SE_EEES9_SG_JZNS1_25segmented_radix_sort_implINS0_14default_configELb0EPKhPhPKlPlN2at6native12_GLOBAL__N_18offset_tEEE10hipError_tPvRmT1_PNSt15iterator_traitsISY_E10value_typeET2_T3_PNSZ_IS14_E10value_typeET4_jRbjT5_S1A_jjP12ihipStream_tbEUljE_EEESV_SW_SX_S14_S18_S1A_T6_T7_T9_mT8_S1C_bDpT10_ENKUlT_T0_E_clISt17integral_constantIbLb1EES1O_IbLb0EEEEDaS1K_S1L_EUlS1K_E_NS1_11comp_targetILNS1_3genE5ELNS1_11target_archE942ELNS1_3gpuE9ELNS1_3repE0EEENS1_30default_config_static_selectorELNS0_4arch9wavefront6targetE0EEEvSY_.private_seg_size, 0
	.set _ZN7rocprim17ROCPRIM_400000_NS6detail17trampoline_kernelINS0_13select_configILj256ELj13ELNS0_17block_load_methodE3ELS4_3ELS4_3ELNS0_20block_scan_algorithmE0ELj4294967295EEENS1_25partition_config_selectorILNS1_17partition_subalgoE3EjNS0_10empty_typeEbEEZZNS1_14partition_implILS8_3ELb0ES6_jNS0_17counting_iteratorIjlEEPS9_SE_NS0_5tupleIJPjSE_EEENSF_IJSE_SE_EEES9_SG_JZNS1_25segmented_radix_sort_implINS0_14default_configELb0EPKhPhPKlPlN2at6native12_GLOBAL__N_18offset_tEEE10hipError_tPvRmT1_PNSt15iterator_traitsISY_E10value_typeET2_T3_PNSZ_IS14_E10value_typeET4_jRbjT5_S1A_jjP12ihipStream_tbEUljE_EEESV_SW_SX_S14_S18_S1A_T6_T7_T9_mT8_S1C_bDpT10_ENKUlT_T0_E_clISt17integral_constantIbLb1EES1O_IbLb0EEEEDaS1K_S1L_EUlS1K_E_NS1_11comp_targetILNS1_3genE5ELNS1_11target_archE942ELNS1_3gpuE9ELNS1_3repE0EEENS1_30default_config_static_selectorELNS0_4arch9wavefront6targetE0EEEvSY_.uses_vcc, 0
	.set _ZN7rocprim17ROCPRIM_400000_NS6detail17trampoline_kernelINS0_13select_configILj256ELj13ELNS0_17block_load_methodE3ELS4_3ELS4_3ELNS0_20block_scan_algorithmE0ELj4294967295EEENS1_25partition_config_selectorILNS1_17partition_subalgoE3EjNS0_10empty_typeEbEEZZNS1_14partition_implILS8_3ELb0ES6_jNS0_17counting_iteratorIjlEEPS9_SE_NS0_5tupleIJPjSE_EEENSF_IJSE_SE_EEES9_SG_JZNS1_25segmented_radix_sort_implINS0_14default_configELb0EPKhPhPKlPlN2at6native12_GLOBAL__N_18offset_tEEE10hipError_tPvRmT1_PNSt15iterator_traitsISY_E10value_typeET2_T3_PNSZ_IS14_E10value_typeET4_jRbjT5_S1A_jjP12ihipStream_tbEUljE_EEESV_SW_SX_S14_S18_S1A_T6_T7_T9_mT8_S1C_bDpT10_ENKUlT_T0_E_clISt17integral_constantIbLb1EES1O_IbLb0EEEEDaS1K_S1L_EUlS1K_E_NS1_11comp_targetILNS1_3genE5ELNS1_11target_archE942ELNS1_3gpuE9ELNS1_3repE0EEENS1_30default_config_static_selectorELNS0_4arch9wavefront6targetE0EEEvSY_.uses_flat_scratch, 0
	.set _ZN7rocprim17ROCPRIM_400000_NS6detail17trampoline_kernelINS0_13select_configILj256ELj13ELNS0_17block_load_methodE3ELS4_3ELS4_3ELNS0_20block_scan_algorithmE0ELj4294967295EEENS1_25partition_config_selectorILNS1_17partition_subalgoE3EjNS0_10empty_typeEbEEZZNS1_14partition_implILS8_3ELb0ES6_jNS0_17counting_iteratorIjlEEPS9_SE_NS0_5tupleIJPjSE_EEENSF_IJSE_SE_EEES9_SG_JZNS1_25segmented_radix_sort_implINS0_14default_configELb0EPKhPhPKlPlN2at6native12_GLOBAL__N_18offset_tEEE10hipError_tPvRmT1_PNSt15iterator_traitsISY_E10value_typeET2_T3_PNSZ_IS14_E10value_typeET4_jRbjT5_S1A_jjP12ihipStream_tbEUljE_EEESV_SW_SX_S14_S18_S1A_T6_T7_T9_mT8_S1C_bDpT10_ENKUlT_T0_E_clISt17integral_constantIbLb1EES1O_IbLb0EEEEDaS1K_S1L_EUlS1K_E_NS1_11comp_targetILNS1_3genE5ELNS1_11target_archE942ELNS1_3gpuE9ELNS1_3repE0EEENS1_30default_config_static_selectorELNS0_4arch9wavefront6targetE0EEEvSY_.has_dyn_sized_stack, 0
	.set _ZN7rocprim17ROCPRIM_400000_NS6detail17trampoline_kernelINS0_13select_configILj256ELj13ELNS0_17block_load_methodE3ELS4_3ELS4_3ELNS0_20block_scan_algorithmE0ELj4294967295EEENS1_25partition_config_selectorILNS1_17partition_subalgoE3EjNS0_10empty_typeEbEEZZNS1_14partition_implILS8_3ELb0ES6_jNS0_17counting_iteratorIjlEEPS9_SE_NS0_5tupleIJPjSE_EEENSF_IJSE_SE_EEES9_SG_JZNS1_25segmented_radix_sort_implINS0_14default_configELb0EPKhPhPKlPlN2at6native12_GLOBAL__N_18offset_tEEE10hipError_tPvRmT1_PNSt15iterator_traitsISY_E10value_typeET2_T3_PNSZ_IS14_E10value_typeET4_jRbjT5_S1A_jjP12ihipStream_tbEUljE_EEESV_SW_SX_S14_S18_S1A_T6_T7_T9_mT8_S1C_bDpT10_ENKUlT_T0_E_clISt17integral_constantIbLb1EES1O_IbLb0EEEEDaS1K_S1L_EUlS1K_E_NS1_11comp_targetILNS1_3genE5ELNS1_11target_archE942ELNS1_3gpuE9ELNS1_3repE0EEENS1_30default_config_static_selectorELNS0_4arch9wavefront6targetE0EEEvSY_.has_recursion, 0
	.set _ZN7rocprim17ROCPRIM_400000_NS6detail17trampoline_kernelINS0_13select_configILj256ELj13ELNS0_17block_load_methodE3ELS4_3ELS4_3ELNS0_20block_scan_algorithmE0ELj4294967295EEENS1_25partition_config_selectorILNS1_17partition_subalgoE3EjNS0_10empty_typeEbEEZZNS1_14partition_implILS8_3ELb0ES6_jNS0_17counting_iteratorIjlEEPS9_SE_NS0_5tupleIJPjSE_EEENSF_IJSE_SE_EEES9_SG_JZNS1_25segmented_radix_sort_implINS0_14default_configELb0EPKhPhPKlPlN2at6native12_GLOBAL__N_18offset_tEEE10hipError_tPvRmT1_PNSt15iterator_traitsISY_E10value_typeET2_T3_PNSZ_IS14_E10value_typeET4_jRbjT5_S1A_jjP12ihipStream_tbEUljE_EEESV_SW_SX_S14_S18_S1A_T6_T7_T9_mT8_S1C_bDpT10_ENKUlT_T0_E_clISt17integral_constantIbLb1EES1O_IbLb0EEEEDaS1K_S1L_EUlS1K_E_NS1_11comp_targetILNS1_3genE5ELNS1_11target_archE942ELNS1_3gpuE9ELNS1_3repE0EEENS1_30default_config_static_selectorELNS0_4arch9wavefront6targetE0EEEvSY_.has_indirect_call, 0
	.section	.AMDGPU.csdata,"",@progbits
; Kernel info:
; codeLenInByte = 0
; TotalNumSgprs: 0
; NumVgprs: 0
; ScratchSize: 0
; MemoryBound: 0
; FloatMode: 240
; IeeeMode: 1
; LDSByteSize: 0 bytes/workgroup (compile time only)
; SGPRBlocks: 0
; VGPRBlocks: 0
; NumSGPRsForWavesPerEU: 1
; NumVGPRsForWavesPerEU: 1
; NamedBarCnt: 0
; Occupancy: 16
; WaveLimiterHint : 0
; COMPUTE_PGM_RSRC2:SCRATCH_EN: 0
; COMPUTE_PGM_RSRC2:USER_SGPR: 2
; COMPUTE_PGM_RSRC2:TRAP_HANDLER: 0
; COMPUTE_PGM_RSRC2:TGID_X_EN: 1
; COMPUTE_PGM_RSRC2:TGID_Y_EN: 0
; COMPUTE_PGM_RSRC2:TGID_Z_EN: 0
; COMPUTE_PGM_RSRC2:TIDIG_COMP_CNT: 0
	.section	.text._ZN7rocprim17ROCPRIM_400000_NS6detail17trampoline_kernelINS0_13select_configILj256ELj13ELNS0_17block_load_methodE3ELS4_3ELS4_3ELNS0_20block_scan_algorithmE0ELj4294967295EEENS1_25partition_config_selectorILNS1_17partition_subalgoE3EjNS0_10empty_typeEbEEZZNS1_14partition_implILS8_3ELb0ES6_jNS0_17counting_iteratorIjlEEPS9_SE_NS0_5tupleIJPjSE_EEENSF_IJSE_SE_EEES9_SG_JZNS1_25segmented_radix_sort_implINS0_14default_configELb0EPKhPhPKlPlN2at6native12_GLOBAL__N_18offset_tEEE10hipError_tPvRmT1_PNSt15iterator_traitsISY_E10value_typeET2_T3_PNSZ_IS14_E10value_typeET4_jRbjT5_S1A_jjP12ihipStream_tbEUljE_EEESV_SW_SX_S14_S18_S1A_T6_T7_T9_mT8_S1C_bDpT10_ENKUlT_T0_E_clISt17integral_constantIbLb1EES1O_IbLb0EEEEDaS1K_S1L_EUlS1K_E_NS1_11comp_targetILNS1_3genE4ELNS1_11target_archE910ELNS1_3gpuE8ELNS1_3repE0EEENS1_30default_config_static_selectorELNS0_4arch9wavefront6targetE0EEEvSY_,"axG",@progbits,_ZN7rocprim17ROCPRIM_400000_NS6detail17trampoline_kernelINS0_13select_configILj256ELj13ELNS0_17block_load_methodE3ELS4_3ELS4_3ELNS0_20block_scan_algorithmE0ELj4294967295EEENS1_25partition_config_selectorILNS1_17partition_subalgoE3EjNS0_10empty_typeEbEEZZNS1_14partition_implILS8_3ELb0ES6_jNS0_17counting_iteratorIjlEEPS9_SE_NS0_5tupleIJPjSE_EEENSF_IJSE_SE_EEES9_SG_JZNS1_25segmented_radix_sort_implINS0_14default_configELb0EPKhPhPKlPlN2at6native12_GLOBAL__N_18offset_tEEE10hipError_tPvRmT1_PNSt15iterator_traitsISY_E10value_typeET2_T3_PNSZ_IS14_E10value_typeET4_jRbjT5_S1A_jjP12ihipStream_tbEUljE_EEESV_SW_SX_S14_S18_S1A_T6_T7_T9_mT8_S1C_bDpT10_ENKUlT_T0_E_clISt17integral_constantIbLb1EES1O_IbLb0EEEEDaS1K_S1L_EUlS1K_E_NS1_11comp_targetILNS1_3genE4ELNS1_11target_archE910ELNS1_3gpuE8ELNS1_3repE0EEENS1_30default_config_static_selectorELNS0_4arch9wavefront6targetE0EEEvSY_,comdat
	.globl	_ZN7rocprim17ROCPRIM_400000_NS6detail17trampoline_kernelINS0_13select_configILj256ELj13ELNS0_17block_load_methodE3ELS4_3ELS4_3ELNS0_20block_scan_algorithmE0ELj4294967295EEENS1_25partition_config_selectorILNS1_17partition_subalgoE3EjNS0_10empty_typeEbEEZZNS1_14partition_implILS8_3ELb0ES6_jNS0_17counting_iteratorIjlEEPS9_SE_NS0_5tupleIJPjSE_EEENSF_IJSE_SE_EEES9_SG_JZNS1_25segmented_radix_sort_implINS0_14default_configELb0EPKhPhPKlPlN2at6native12_GLOBAL__N_18offset_tEEE10hipError_tPvRmT1_PNSt15iterator_traitsISY_E10value_typeET2_T3_PNSZ_IS14_E10value_typeET4_jRbjT5_S1A_jjP12ihipStream_tbEUljE_EEESV_SW_SX_S14_S18_S1A_T6_T7_T9_mT8_S1C_bDpT10_ENKUlT_T0_E_clISt17integral_constantIbLb1EES1O_IbLb0EEEEDaS1K_S1L_EUlS1K_E_NS1_11comp_targetILNS1_3genE4ELNS1_11target_archE910ELNS1_3gpuE8ELNS1_3repE0EEENS1_30default_config_static_selectorELNS0_4arch9wavefront6targetE0EEEvSY_ ; -- Begin function _ZN7rocprim17ROCPRIM_400000_NS6detail17trampoline_kernelINS0_13select_configILj256ELj13ELNS0_17block_load_methodE3ELS4_3ELS4_3ELNS0_20block_scan_algorithmE0ELj4294967295EEENS1_25partition_config_selectorILNS1_17partition_subalgoE3EjNS0_10empty_typeEbEEZZNS1_14partition_implILS8_3ELb0ES6_jNS0_17counting_iteratorIjlEEPS9_SE_NS0_5tupleIJPjSE_EEENSF_IJSE_SE_EEES9_SG_JZNS1_25segmented_radix_sort_implINS0_14default_configELb0EPKhPhPKlPlN2at6native12_GLOBAL__N_18offset_tEEE10hipError_tPvRmT1_PNSt15iterator_traitsISY_E10value_typeET2_T3_PNSZ_IS14_E10value_typeET4_jRbjT5_S1A_jjP12ihipStream_tbEUljE_EEESV_SW_SX_S14_S18_S1A_T6_T7_T9_mT8_S1C_bDpT10_ENKUlT_T0_E_clISt17integral_constantIbLb1EES1O_IbLb0EEEEDaS1K_S1L_EUlS1K_E_NS1_11comp_targetILNS1_3genE4ELNS1_11target_archE910ELNS1_3gpuE8ELNS1_3repE0EEENS1_30default_config_static_selectorELNS0_4arch9wavefront6targetE0EEEvSY_
	.p2align	8
	.type	_ZN7rocprim17ROCPRIM_400000_NS6detail17trampoline_kernelINS0_13select_configILj256ELj13ELNS0_17block_load_methodE3ELS4_3ELS4_3ELNS0_20block_scan_algorithmE0ELj4294967295EEENS1_25partition_config_selectorILNS1_17partition_subalgoE3EjNS0_10empty_typeEbEEZZNS1_14partition_implILS8_3ELb0ES6_jNS0_17counting_iteratorIjlEEPS9_SE_NS0_5tupleIJPjSE_EEENSF_IJSE_SE_EEES9_SG_JZNS1_25segmented_radix_sort_implINS0_14default_configELb0EPKhPhPKlPlN2at6native12_GLOBAL__N_18offset_tEEE10hipError_tPvRmT1_PNSt15iterator_traitsISY_E10value_typeET2_T3_PNSZ_IS14_E10value_typeET4_jRbjT5_S1A_jjP12ihipStream_tbEUljE_EEESV_SW_SX_S14_S18_S1A_T6_T7_T9_mT8_S1C_bDpT10_ENKUlT_T0_E_clISt17integral_constantIbLb1EES1O_IbLb0EEEEDaS1K_S1L_EUlS1K_E_NS1_11comp_targetILNS1_3genE4ELNS1_11target_archE910ELNS1_3gpuE8ELNS1_3repE0EEENS1_30default_config_static_selectorELNS0_4arch9wavefront6targetE0EEEvSY_,@function
_ZN7rocprim17ROCPRIM_400000_NS6detail17trampoline_kernelINS0_13select_configILj256ELj13ELNS0_17block_load_methodE3ELS4_3ELS4_3ELNS0_20block_scan_algorithmE0ELj4294967295EEENS1_25partition_config_selectorILNS1_17partition_subalgoE3EjNS0_10empty_typeEbEEZZNS1_14partition_implILS8_3ELb0ES6_jNS0_17counting_iteratorIjlEEPS9_SE_NS0_5tupleIJPjSE_EEENSF_IJSE_SE_EEES9_SG_JZNS1_25segmented_radix_sort_implINS0_14default_configELb0EPKhPhPKlPlN2at6native12_GLOBAL__N_18offset_tEEE10hipError_tPvRmT1_PNSt15iterator_traitsISY_E10value_typeET2_T3_PNSZ_IS14_E10value_typeET4_jRbjT5_S1A_jjP12ihipStream_tbEUljE_EEESV_SW_SX_S14_S18_S1A_T6_T7_T9_mT8_S1C_bDpT10_ENKUlT_T0_E_clISt17integral_constantIbLb1EES1O_IbLb0EEEEDaS1K_S1L_EUlS1K_E_NS1_11comp_targetILNS1_3genE4ELNS1_11target_archE910ELNS1_3gpuE8ELNS1_3repE0EEENS1_30default_config_static_selectorELNS0_4arch9wavefront6targetE0EEEvSY_: ; @_ZN7rocprim17ROCPRIM_400000_NS6detail17trampoline_kernelINS0_13select_configILj256ELj13ELNS0_17block_load_methodE3ELS4_3ELS4_3ELNS0_20block_scan_algorithmE0ELj4294967295EEENS1_25partition_config_selectorILNS1_17partition_subalgoE3EjNS0_10empty_typeEbEEZZNS1_14partition_implILS8_3ELb0ES6_jNS0_17counting_iteratorIjlEEPS9_SE_NS0_5tupleIJPjSE_EEENSF_IJSE_SE_EEES9_SG_JZNS1_25segmented_radix_sort_implINS0_14default_configELb0EPKhPhPKlPlN2at6native12_GLOBAL__N_18offset_tEEE10hipError_tPvRmT1_PNSt15iterator_traitsISY_E10value_typeET2_T3_PNSZ_IS14_E10value_typeET4_jRbjT5_S1A_jjP12ihipStream_tbEUljE_EEESV_SW_SX_S14_S18_S1A_T6_T7_T9_mT8_S1C_bDpT10_ENKUlT_T0_E_clISt17integral_constantIbLb1EES1O_IbLb0EEEEDaS1K_S1L_EUlS1K_E_NS1_11comp_targetILNS1_3genE4ELNS1_11target_archE910ELNS1_3gpuE8ELNS1_3repE0EEENS1_30default_config_static_selectorELNS0_4arch9wavefront6targetE0EEEvSY_
; %bb.0:
	.section	.rodata,"a",@progbits
	.p2align	6, 0x0
	.amdhsa_kernel _ZN7rocprim17ROCPRIM_400000_NS6detail17trampoline_kernelINS0_13select_configILj256ELj13ELNS0_17block_load_methodE3ELS4_3ELS4_3ELNS0_20block_scan_algorithmE0ELj4294967295EEENS1_25partition_config_selectorILNS1_17partition_subalgoE3EjNS0_10empty_typeEbEEZZNS1_14partition_implILS8_3ELb0ES6_jNS0_17counting_iteratorIjlEEPS9_SE_NS0_5tupleIJPjSE_EEENSF_IJSE_SE_EEES9_SG_JZNS1_25segmented_radix_sort_implINS0_14default_configELb0EPKhPhPKlPlN2at6native12_GLOBAL__N_18offset_tEEE10hipError_tPvRmT1_PNSt15iterator_traitsISY_E10value_typeET2_T3_PNSZ_IS14_E10value_typeET4_jRbjT5_S1A_jjP12ihipStream_tbEUljE_EEESV_SW_SX_S14_S18_S1A_T6_T7_T9_mT8_S1C_bDpT10_ENKUlT_T0_E_clISt17integral_constantIbLb1EES1O_IbLb0EEEEDaS1K_S1L_EUlS1K_E_NS1_11comp_targetILNS1_3genE4ELNS1_11target_archE910ELNS1_3gpuE8ELNS1_3repE0EEENS1_30default_config_static_selectorELNS0_4arch9wavefront6targetE0EEEvSY_
		.amdhsa_group_segment_fixed_size 0
		.amdhsa_private_segment_fixed_size 0
		.amdhsa_kernarg_size 144
		.amdhsa_user_sgpr_count 2
		.amdhsa_user_sgpr_dispatch_ptr 0
		.amdhsa_user_sgpr_queue_ptr 0
		.amdhsa_user_sgpr_kernarg_segment_ptr 1
		.amdhsa_user_sgpr_dispatch_id 0
		.amdhsa_user_sgpr_kernarg_preload_length 0
		.amdhsa_user_sgpr_kernarg_preload_offset 0
		.amdhsa_user_sgpr_private_segment_size 0
		.amdhsa_wavefront_size32 1
		.amdhsa_uses_dynamic_stack 0
		.amdhsa_enable_private_segment 0
		.amdhsa_system_sgpr_workgroup_id_x 1
		.amdhsa_system_sgpr_workgroup_id_y 0
		.amdhsa_system_sgpr_workgroup_id_z 0
		.amdhsa_system_sgpr_workgroup_info 0
		.amdhsa_system_vgpr_workitem_id 0
		.amdhsa_next_free_vgpr 1
		.amdhsa_next_free_sgpr 1
		.amdhsa_named_barrier_count 0
		.amdhsa_reserve_vcc 0
		.amdhsa_float_round_mode_32 0
		.amdhsa_float_round_mode_16_64 0
		.amdhsa_float_denorm_mode_32 3
		.amdhsa_float_denorm_mode_16_64 3
		.amdhsa_fp16_overflow 0
		.amdhsa_memory_ordered 1
		.amdhsa_forward_progress 1
		.amdhsa_inst_pref_size 0
		.amdhsa_round_robin_scheduling 0
		.amdhsa_exception_fp_ieee_invalid_op 0
		.amdhsa_exception_fp_denorm_src 0
		.amdhsa_exception_fp_ieee_div_zero 0
		.amdhsa_exception_fp_ieee_overflow 0
		.amdhsa_exception_fp_ieee_underflow 0
		.amdhsa_exception_fp_ieee_inexact 0
		.amdhsa_exception_int_div_zero 0
	.end_amdhsa_kernel
	.section	.text._ZN7rocprim17ROCPRIM_400000_NS6detail17trampoline_kernelINS0_13select_configILj256ELj13ELNS0_17block_load_methodE3ELS4_3ELS4_3ELNS0_20block_scan_algorithmE0ELj4294967295EEENS1_25partition_config_selectorILNS1_17partition_subalgoE3EjNS0_10empty_typeEbEEZZNS1_14partition_implILS8_3ELb0ES6_jNS0_17counting_iteratorIjlEEPS9_SE_NS0_5tupleIJPjSE_EEENSF_IJSE_SE_EEES9_SG_JZNS1_25segmented_radix_sort_implINS0_14default_configELb0EPKhPhPKlPlN2at6native12_GLOBAL__N_18offset_tEEE10hipError_tPvRmT1_PNSt15iterator_traitsISY_E10value_typeET2_T3_PNSZ_IS14_E10value_typeET4_jRbjT5_S1A_jjP12ihipStream_tbEUljE_EEESV_SW_SX_S14_S18_S1A_T6_T7_T9_mT8_S1C_bDpT10_ENKUlT_T0_E_clISt17integral_constantIbLb1EES1O_IbLb0EEEEDaS1K_S1L_EUlS1K_E_NS1_11comp_targetILNS1_3genE4ELNS1_11target_archE910ELNS1_3gpuE8ELNS1_3repE0EEENS1_30default_config_static_selectorELNS0_4arch9wavefront6targetE0EEEvSY_,"axG",@progbits,_ZN7rocprim17ROCPRIM_400000_NS6detail17trampoline_kernelINS0_13select_configILj256ELj13ELNS0_17block_load_methodE3ELS4_3ELS4_3ELNS0_20block_scan_algorithmE0ELj4294967295EEENS1_25partition_config_selectorILNS1_17partition_subalgoE3EjNS0_10empty_typeEbEEZZNS1_14partition_implILS8_3ELb0ES6_jNS0_17counting_iteratorIjlEEPS9_SE_NS0_5tupleIJPjSE_EEENSF_IJSE_SE_EEES9_SG_JZNS1_25segmented_radix_sort_implINS0_14default_configELb0EPKhPhPKlPlN2at6native12_GLOBAL__N_18offset_tEEE10hipError_tPvRmT1_PNSt15iterator_traitsISY_E10value_typeET2_T3_PNSZ_IS14_E10value_typeET4_jRbjT5_S1A_jjP12ihipStream_tbEUljE_EEESV_SW_SX_S14_S18_S1A_T6_T7_T9_mT8_S1C_bDpT10_ENKUlT_T0_E_clISt17integral_constantIbLb1EES1O_IbLb0EEEEDaS1K_S1L_EUlS1K_E_NS1_11comp_targetILNS1_3genE4ELNS1_11target_archE910ELNS1_3gpuE8ELNS1_3repE0EEENS1_30default_config_static_selectorELNS0_4arch9wavefront6targetE0EEEvSY_,comdat
.Lfunc_end171:
	.size	_ZN7rocprim17ROCPRIM_400000_NS6detail17trampoline_kernelINS0_13select_configILj256ELj13ELNS0_17block_load_methodE3ELS4_3ELS4_3ELNS0_20block_scan_algorithmE0ELj4294967295EEENS1_25partition_config_selectorILNS1_17partition_subalgoE3EjNS0_10empty_typeEbEEZZNS1_14partition_implILS8_3ELb0ES6_jNS0_17counting_iteratorIjlEEPS9_SE_NS0_5tupleIJPjSE_EEENSF_IJSE_SE_EEES9_SG_JZNS1_25segmented_radix_sort_implINS0_14default_configELb0EPKhPhPKlPlN2at6native12_GLOBAL__N_18offset_tEEE10hipError_tPvRmT1_PNSt15iterator_traitsISY_E10value_typeET2_T3_PNSZ_IS14_E10value_typeET4_jRbjT5_S1A_jjP12ihipStream_tbEUljE_EEESV_SW_SX_S14_S18_S1A_T6_T7_T9_mT8_S1C_bDpT10_ENKUlT_T0_E_clISt17integral_constantIbLb1EES1O_IbLb0EEEEDaS1K_S1L_EUlS1K_E_NS1_11comp_targetILNS1_3genE4ELNS1_11target_archE910ELNS1_3gpuE8ELNS1_3repE0EEENS1_30default_config_static_selectorELNS0_4arch9wavefront6targetE0EEEvSY_, .Lfunc_end171-_ZN7rocprim17ROCPRIM_400000_NS6detail17trampoline_kernelINS0_13select_configILj256ELj13ELNS0_17block_load_methodE3ELS4_3ELS4_3ELNS0_20block_scan_algorithmE0ELj4294967295EEENS1_25partition_config_selectorILNS1_17partition_subalgoE3EjNS0_10empty_typeEbEEZZNS1_14partition_implILS8_3ELb0ES6_jNS0_17counting_iteratorIjlEEPS9_SE_NS0_5tupleIJPjSE_EEENSF_IJSE_SE_EEES9_SG_JZNS1_25segmented_radix_sort_implINS0_14default_configELb0EPKhPhPKlPlN2at6native12_GLOBAL__N_18offset_tEEE10hipError_tPvRmT1_PNSt15iterator_traitsISY_E10value_typeET2_T3_PNSZ_IS14_E10value_typeET4_jRbjT5_S1A_jjP12ihipStream_tbEUljE_EEESV_SW_SX_S14_S18_S1A_T6_T7_T9_mT8_S1C_bDpT10_ENKUlT_T0_E_clISt17integral_constantIbLb1EES1O_IbLb0EEEEDaS1K_S1L_EUlS1K_E_NS1_11comp_targetILNS1_3genE4ELNS1_11target_archE910ELNS1_3gpuE8ELNS1_3repE0EEENS1_30default_config_static_selectorELNS0_4arch9wavefront6targetE0EEEvSY_
                                        ; -- End function
	.set _ZN7rocprim17ROCPRIM_400000_NS6detail17trampoline_kernelINS0_13select_configILj256ELj13ELNS0_17block_load_methodE3ELS4_3ELS4_3ELNS0_20block_scan_algorithmE0ELj4294967295EEENS1_25partition_config_selectorILNS1_17partition_subalgoE3EjNS0_10empty_typeEbEEZZNS1_14partition_implILS8_3ELb0ES6_jNS0_17counting_iteratorIjlEEPS9_SE_NS0_5tupleIJPjSE_EEENSF_IJSE_SE_EEES9_SG_JZNS1_25segmented_radix_sort_implINS0_14default_configELb0EPKhPhPKlPlN2at6native12_GLOBAL__N_18offset_tEEE10hipError_tPvRmT1_PNSt15iterator_traitsISY_E10value_typeET2_T3_PNSZ_IS14_E10value_typeET4_jRbjT5_S1A_jjP12ihipStream_tbEUljE_EEESV_SW_SX_S14_S18_S1A_T6_T7_T9_mT8_S1C_bDpT10_ENKUlT_T0_E_clISt17integral_constantIbLb1EES1O_IbLb0EEEEDaS1K_S1L_EUlS1K_E_NS1_11comp_targetILNS1_3genE4ELNS1_11target_archE910ELNS1_3gpuE8ELNS1_3repE0EEENS1_30default_config_static_selectorELNS0_4arch9wavefront6targetE0EEEvSY_.num_vgpr, 0
	.set _ZN7rocprim17ROCPRIM_400000_NS6detail17trampoline_kernelINS0_13select_configILj256ELj13ELNS0_17block_load_methodE3ELS4_3ELS4_3ELNS0_20block_scan_algorithmE0ELj4294967295EEENS1_25partition_config_selectorILNS1_17partition_subalgoE3EjNS0_10empty_typeEbEEZZNS1_14partition_implILS8_3ELb0ES6_jNS0_17counting_iteratorIjlEEPS9_SE_NS0_5tupleIJPjSE_EEENSF_IJSE_SE_EEES9_SG_JZNS1_25segmented_radix_sort_implINS0_14default_configELb0EPKhPhPKlPlN2at6native12_GLOBAL__N_18offset_tEEE10hipError_tPvRmT1_PNSt15iterator_traitsISY_E10value_typeET2_T3_PNSZ_IS14_E10value_typeET4_jRbjT5_S1A_jjP12ihipStream_tbEUljE_EEESV_SW_SX_S14_S18_S1A_T6_T7_T9_mT8_S1C_bDpT10_ENKUlT_T0_E_clISt17integral_constantIbLb1EES1O_IbLb0EEEEDaS1K_S1L_EUlS1K_E_NS1_11comp_targetILNS1_3genE4ELNS1_11target_archE910ELNS1_3gpuE8ELNS1_3repE0EEENS1_30default_config_static_selectorELNS0_4arch9wavefront6targetE0EEEvSY_.num_agpr, 0
	.set _ZN7rocprim17ROCPRIM_400000_NS6detail17trampoline_kernelINS0_13select_configILj256ELj13ELNS0_17block_load_methodE3ELS4_3ELS4_3ELNS0_20block_scan_algorithmE0ELj4294967295EEENS1_25partition_config_selectorILNS1_17partition_subalgoE3EjNS0_10empty_typeEbEEZZNS1_14partition_implILS8_3ELb0ES6_jNS0_17counting_iteratorIjlEEPS9_SE_NS0_5tupleIJPjSE_EEENSF_IJSE_SE_EEES9_SG_JZNS1_25segmented_radix_sort_implINS0_14default_configELb0EPKhPhPKlPlN2at6native12_GLOBAL__N_18offset_tEEE10hipError_tPvRmT1_PNSt15iterator_traitsISY_E10value_typeET2_T3_PNSZ_IS14_E10value_typeET4_jRbjT5_S1A_jjP12ihipStream_tbEUljE_EEESV_SW_SX_S14_S18_S1A_T6_T7_T9_mT8_S1C_bDpT10_ENKUlT_T0_E_clISt17integral_constantIbLb1EES1O_IbLb0EEEEDaS1K_S1L_EUlS1K_E_NS1_11comp_targetILNS1_3genE4ELNS1_11target_archE910ELNS1_3gpuE8ELNS1_3repE0EEENS1_30default_config_static_selectorELNS0_4arch9wavefront6targetE0EEEvSY_.numbered_sgpr, 0
	.set _ZN7rocprim17ROCPRIM_400000_NS6detail17trampoline_kernelINS0_13select_configILj256ELj13ELNS0_17block_load_methodE3ELS4_3ELS4_3ELNS0_20block_scan_algorithmE0ELj4294967295EEENS1_25partition_config_selectorILNS1_17partition_subalgoE3EjNS0_10empty_typeEbEEZZNS1_14partition_implILS8_3ELb0ES6_jNS0_17counting_iteratorIjlEEPS9_SE_NS0_5tupleIJPjSE_EEENSF_IJSE_SE_EEES9_SG_JZNS1_25segmented_radix_sort_implINS0_14default_configELb0EPKhPhPKlPlN2at6native12_GLOBAL__N_18offset_tEEE10hipError_tPvRmT1_PNSt15iterator_traitsISY_E10value_typeET2_T3_PNSZ_IS14_E10value_typeET4_jRbjT5_S1A_jjP12ihipStream_tbEUljE_EEESV_SW_SX_S14_S18_S1A_T6_T7_T9_mT8_S1C_bDpT10_ENKUlT_T0_E_clISt17integral_constantIbLb1EES1O_IbLb0EEEEDaS1K_S1L_EUlS1K_E_NS1_11comp_targetILNS1_3genE4ELNS1_11target_archE910ELNS1_3gpuE8ELNS1_3repE0EEENS1_30default_config_static_selectorELNS0_4arch9wavefront6targetE0EEEvSY_.num_named_barrier, 0
	.set _ZN7rocprim17ROCPRIM_400000_NS6detail17trampoline_kernelINS0_13select_configILj256ELj13ELNS0_17block_load_methodE3ELS4_3ELS4_3ELNS0_20block_scan_algorithmE0ELj4294967295EEENS1_25partition_config_selectorILNS1_17partition_subalgoE3EjNS0_10empty_typeEbEEZZNS1_14partition_implILS8_3ELb0ES6_jNS0_17counting_iteratorIjlEEPS9_SE_NS0_5tupleIJPjSE_EEENSF_IJSE_SE_EEES9_SG_JZNS1_25segmented_radix_sort_implINS0_14default_configELb0EPKhPhPKlPlN2at6native12_GLOBAL__N_18offset_tEEE10hipError_tPvRmT1_PNSt15iterator_traitsISY_E10value_typeET2_T3_PNSZ_IS14_E10value_typeET4_jRbjT5_S1A_jjP12ihipStream_tbEUljE_EEESV_SW_SX_S14_S18_S1A_T6_T7_T9_mT8_S1C_bDpT10_ENKUlT_T0_E_clISt17integral_constantIbLb1EES1O_IbLb0EEEEDaS1K_S1L_EUlS1K_E_NS1_11comp_targetILNS1_3genE4ELNS1_11target_archE910ELNS1_3gpuE8ELNS1_3repE0EEENS1_30default_config_static_selectorELNS0_4arch9wavefront6targetE0EEEvSY_.private_seg_size, 0
	.set _ZN7rocprim17ROCPRIM_400000_NS6detail17trampoline_kernelINS0_13select_configILj256ELj13ELNS0_17block_load_methodE3ELS4_3ELS4_3ELNS0_20block_scan_algorithmE0ELj4294967295EEENS1_25partition_config_selectorILNS1_17partition_subalgoE3EjNS0_10empty_typeEbEEZZNS1_14partition_implILS8_3ELb0ES6_jNS0_17counting_iteratorIjlEEPS9_SE_NS0_5tupleIJPjSE_EEENSF_IJSE_SE_EEES9_SG_JZNS1_25segmented_radix_sort_implINS0_14default_configELb0EPKhPhPKlPlN2at6native12_GLOBAL__N_18offset_tEEE10hipError_tPvRmT1_PNSt15iterator_traitsISY_E10value_typeET2_T3_PNSZ_IS14_E10value_typeET4_jRbjT5_S1A_jjP12ihipStream_tbEUljE_EEESV_SW_SX_S14_S18_S1A_T6_T7_T9_mT8_S1C_bDpT10_ENKUlT_T0_E_clISt17integral_constantIbLb1EES1O_IbLb0EEEEDaS1K_S1L_EUlS1K_E_NS1_11comp_targetILNS1_3genE4ELNS1_11target_archE910ELNS1_3gpuE8ELNS1_3repE0EEENS1_30default_config_static_selectorELNS0_4arch9wavefront6targetE0EEEvSY_.uses_vcc, 0
	.set _ZN7rocprim17ROCPRIM_400000_NS6detail17trampoline_kernelINS0_13select_configILj256ELj13ELNS0_17block_load_methodE3ELS4_3ELS4_3ELNS0_20block_scan_algorithmE0ELj4294967295EEENS1_25partition_config_selectorILNS1_17partition_subalgoE3EjNS0_10empty_typeEbEEZZNS1_14partition_implILS8_3ELb0ES6_jNS0_17counting_iteratorIjlEEPS9_SE_NS0_5tupleIJPjSE_EEENSF_IJSE_SE_EEES9_SG_JZNS1_25segmented_radix_sort_implINS0_14default_configELb0EPKhPhPKlPlN2at6native12_GLOBAL__N_18offset_tEEE10hipError_tPvRmT1_PNSt15iterator_traitsISY_E10value_typeET2_T3_PNSZ_IS14_E10value_typeET4_jRbjT5_S1A_jjP12ihipStream_tbEUljE_EEESV_SW_SX_S14_S18_S1A_T6_T7_T9_mT8_S1C_bDpT10_ENKUlT_T0_E_clISt17integral_constantIbLb1EES1O_IbLb0EEEEDaS1K_S1L_EUlS1K_E_NS1_11comp_targetILNS1_3genE4ELNS1_11target_archE910ELNS1_3gpuE8ELNS1_3repE0EEENS1_30default_config_static_selectorELNS0_4arch9wavefront6targetE0EEEvSY_.uses_flat_scratch, 0
	.set _ZN7rocprim17ROCPRIM_400000_NS6detail17trampoline_kernelINS0_13select_configILj256ELj13ELNS0_17block_load_methodE3ELS4_3ELS4_3ELNS0_20block_scan_algorithmE0ELj4294967295EEENS1_25partition_config_selectorILNS1_17partition_subalgoE3EjNS0_10empty_typeEbEEZZNS1_14partition_implILS8_3ELb0ES6_jNS0_17counting_iteratorIjlEEPS9_SE_NS0_5tupleIJPjSE_EEENSF_IJSE_SE_EEES9_SG_JZNS1_25segmented_radix_sort_implINS0_14default_configELb0EPKhPhPKlPlN2at6native12_GLOBAL__N_18offset_tEEE10hipError_tPvRmT1_PNSt15iterator_traitsISY_E10value_typeET2_T3_PNSZ_IS14_E10value_typeET4_jRbjT5_S1A_jjP12ihipStream_tbEUljE_EEESV_SW_SX_S14_S18_S1A_T6_T7_T9_mT8_S1C_bDpT10_ENKUlT_T0_E_clISt17integral_constantIbLb1EES1O_IbLb0EEEEDaS1K_S1L_EUlS1K_E_NS1_11comp_targetILNS1_3genE4ELNS1_11target_archE910ELNS1_3gpuE8ELNS1_3repE0EEENS1_30default_config_static_selectorELNS0_4arch9wavefront6targetE0EEEvSY_.has_dyn_sized_stack, 0
	.set _ZN7rocprim17ROCPRIM_400000_NS6detail17trampoline_kernelINS0_13select_configILj256ELj13ELNS0_17block_load_methodE3ELS4_3ELS4_3ELNS0_20block_scan_algorithmE0ELj4294967295EEENS1_25partition_config_selectorILNS1_17partition_subalgoE3EjNS0_10empty_typeEbEEZZNS1_14partition_implILS8_3ELb0ES6_jNS0_17counting_iteratorIjlEEPS9_SE_NS0_5tupleIJPjSE_EEENSF_IJSE_SE_EEES9_SG_JZNS1_25segmented_radix_sort_implINS0_14default_configELb0EPKhPhPKlPlN2at6native12_GLOBAL__N_18offset_tEEE10hipError_tPvRmT1_PNSt15iterator_traitsISY_E10value_typeET2_T3_PNSZ_IS14_E10value_typeET4_jRbjT5_S1A_jjP12ihipStream_tbEUljE_EEESV_SW_SX_S14_S18_S1A_T6_T7_T9_mT8_S1C_bDpT10_ENKUlT_T0_E_clISt17integral_constantIbLb1EES1O_IbLb0EEEEDaS1K_S1L_EUlS1K_E_NS1_11comp_targetILNS1_3genE4ELNS1_11target_archE910ELNS1_3gpuE8ELNS1_3repE0EEENS1_30default_config_static_selectorELNS0_4arch9wavefront6targetE0EEEvSY_.has_recursion, 0
	.set _ZN7rocprim17ROCPRIM_400000_NS6detail17trampoline_kernelINS0_13select_configILj256ELj13ELNS0_17block_load_methodE3ELS4_3ELS4_3ELNS0_20block_scan_algorithmE0ELj4294967295EEENS1_25partition_config_selectorILNS1_17partition_subalgoE3EjNS0_10empty_typeEbEEZZNS1_14partition_implILS8_3ELb0ES6_jNS0_17counting_iteratorIjlEEPS9_SE_NS0_5tupleIJPjSE_EEENSF_IJSE_SE_EEES9_SG_JZNS1_25segmented_radix_sort_implINS0_14default_configELb0EPKhPhPKlPlN2at6native12_GLOBAL__N_18offset_tEEE10hipError_tPvRmT1_PNSt15iterator_traitsISY_E10value_typeET2_T3_PNSZ_IS14_E10value_typeET4_jRbjT5_S1A_jjP12ihipStream_tbEUljE_EEESV_SW_SX_S14_S18_S1A_T6_T7_T9_mT8_S1C_bDpT10_ENKUlT_T0_E_clISt17integral_constantIbLb1EES1O_IbLb0EEEEDaS1K_S1L_EUlS1K_E_NS1_11comp_targetILNS1_3genE4ELNS1_11target_archE910ELNS1_3gpuE8ELNS1_3repE0EEENS1_30default_config_static_selectorELNS0_4arch9wavefront6targetE0EEEvSY_.has_indirect_call, 0
	.section	.AMDGPU.csdata,"",@progbits
; Kernel info:
; codeLenInByte = 0
; TotalNumSgprs: 0
; NumVgprs: 0
; ScratchSize: 0
; MemoryBound: 0
; FloatMode: 240
; IeeeMode: 1
; LDSByteSize: 0 bytes/workgroup (compile time only)
; SGPRBlocks: 0
; VGPRBlocks: 0
; NumSGPRsForWavesPerEU: 1
; NumVGPRsForWavesPerEU: 1
; NamedBarCnt: 0
; Occupancy: 16
; WaveLimiterHint : 0
; COMPUTE_PGM_RSRC2:SCRATCH_EN: 0
; COMPUTE_PGM_RSRC2:USER_SGPR: 2
; COMPUTE_PGM_RSRC2:TRAP_HANDLER: 0
; COMPUTE_PGM_RSRC2:TGID_X_EN: 1
; COMPUTE_PGM_RSRC2:TGID_Y_EN: 0
; COMPUTE_PGM_RSRC2:TGID_Z_EN: 0
; COMPUTE_PGM_RSRC2:TIDIG_COMP_CNT: 0
	.section	.text._ZN7rocprim17ROCPRIM_400000_NS6detail17trampoline_kernelINS0_13select_configILj256ELj13ELNS0_17block_load_methodE3ELS4_3ELS4_3ELNS0_20block_scan_algorithmE0ELj4294967295EEENS1_25partition_config_selectorILNS1_17partition_subalgoE3EjNS0_10empty_typeEbEEZZNS1_14partition_implILS8_3ELb0ES6_jNS0_17counting_iteratorIjlEEPS9_SE_NS0_5tupleIJPjSE_EEENSF_IJSE_SE_EEES9_SG_JZNS1_25segmented_radix_sort_implINS0_14default_configELb0EPKhPhPKlPlN2at6native12_GLOBAL__N_18offset_tEEE10hipError_tPvRmT1_PNSt15iterator_traitsISY_E10value_typeET2_T3_PNSZ_IS14_E10value_typeET4_jRbjT5_S1A_jjP12ihipStream_tbEUljE_EEESV_SW_SX_S14_S18_S1A_T6_T7_T9_mT8_S1C_bDpT10_ENKUlT_T0_E_clISt17integral_constantIbLb1EES1O_IbLb0EEEEDaS1K_S1L_EUlS1K_E_NS1_11comp_targetILNS1_3genE3ELNS1_11target_archE908ELNS1_3gpuE7ELNS1_3repE0EEENS1_30default_config_static_selectorELNS0_4arch9wavefront6targetE0EEEvSY_,"axG",@progbits,_ZN7rocprim17ROCPRIM_400000_NS6detail17trampoline_kernelINS0_13select_configILj256ELj13ELNS0_17block_load_methodE3ELS4_3ELS4_3ELNS0_20block_scan_algorithmE0ELj4294967295EEENS1_25partition_config_selectorILNS1_17partition_subalgoE3EjNS0_10empty_typeEbEEZZNS1_14partition_implILS8_3ELb0ES6_jNS0_17counting_iteratorIjlEEPS9_SE_NS0_5tupleIJPjSE_EEENSF_IJSE_SE_EEES9_SG_JZNS1_25segmented_radix_sort_implINS0_14default_configELb0EPKhPhPKlPlN2at6native12_GLOBAL__N_18offset_tEEE10hipError_tPvRmT1_PNSt15iterator_traitsISY_E10value_typeET2_T3_PNSZ_IS14_E10value_typeET4_jRbjT5_S1A_jjP12ihipStream_tbEUljE_EEESV_SW_SX_S14_S18_S1A_T6_T7_T9_mT8_S1C_bDpT10_ENKUlT_T0_E_clISt17integral_constantIbLb1EES1O_IbLb0EEEEDaS1K_S1L_EUlS1K_E_NS1_11comp_targetILNS1_3genE3ELNS1_11target_archE908ELNS1_3gpuE7ELNS1_3repE0EEENS1_30default_config_static_selectorELNS0_4arch9wavefront6targetE0EEEvSY_,comdat
	.globl	_ZN7rocprim17ROCPRIM_400000_NS6detail17trampoline_kernelINS0_13select_configILj256ELj13ELNS0_17block_load_methodE3ELS4_3ELS4_3ELNS0_20block_scan_algorithmE0ELj4294967295EEENS1_25partition_config_selectorILNS1_17partition_subalgoE3EjNS0_10empty_typeEbEEZZNS1_14partition_implILS8_3ELb0ES6_jNS0_17counting_iteratorIjlEEPS9_SE_NS0_5tupleIJPjSE_EEENSF_IJSE_SE_EEES9_SG_JZNS1_25segmented_radix_sort_implINS0_14default_configELb0EPKhPhPKlPlN2at6native12_GLOBAL__N_18offset_tEEE10hipError_tPvRmT1_PNSt15iterator_traitsISY_E10value_typeET2_T3_PNSZ_IS14_E10value_typeET4_jRbjT5_S1A_jjP12ihipStream_tbEUljE_EEESV_SW_SX_S14_S18_S1A_T6_T7_T9_mT8_S1C_bDpT10_ENKUlT_T0_E_clISt17integral_constantIbLb1EES1O_IbLb0EEEEDaS1K_S1L_EUlS1K_E_NS1_11comp_targetILNS1_3genE3ELNS1_11target_archE908ELNS1_3gpuE7ELNS1_3repE0EEENS1_30default_config_static_selectorELNS0_4arch9wavefront6targetE0EEEvSY_ ; -- Begin function _ZN7rocprim17ROCPRIM_400000_NS6detail17trampoline_kernelINS0_13select_configILj256ELj13ELNS0_17block_load_methodE3ELS4_3ELS4_3ELNS0_20block_scan_algorithmE0ELj4294967295EEENS1_25partition_config_selectorILNS1_17partition_subalgoE3EjNS0_10empty_typeEbEEZZNS1_14partition_implILS8_3ELb0ES6_jNS0_17counting_iteratorIjlEEPS9_SE_NS0_5tupleIJPjSE_EEENSF_IJSE_SE_EEES9_SG_JZNS1_25segmented_radix_sort_implINS0_14default_configELb0EPKhPhPKlPlN2at6native12_GLOBAL__N_18offset_tEEE10hipError_tPvRmT1_PNSt15iterator_traitsISY_E10value_typeET2_T3_PNSZ_IS14_E10value_typeET4_jRbjT5_S1A_jjP12ihipStream_tbEUljE_EEESV_SW_SX_S14_S18_S1A_T6_T7_T9_mT8_S1C_bDpT10_ENKUlT_T0_E_clISt17integral_constantIbLb1EES1O_IbLb0EEEEDaS1K_S1L_EUlS1K_E_NS1_11comp_targetILNS1_3genE3ELNS1_11target_archE908ELNS1_3gpuE7ELNS1_3repE0EEENS1_30default_config_static_selectorELNS0_4arch9wavefront6targetE0EEEvSY_
	.p2align	8
	.type	_ZN7rocprim17ROCPRIM_400000_NS6detail17trampoline_kernelINS0_13select_configILj256ELj13ELNS0_17block_load_methodE3ELS4_3ELS4_3ELNS0_20block_scan_algorithmE0ELj4294967295EEENS1_25partition_config_selectorILNS1_17partition_subalgoE3EjNS0_10empty_typeEbEEZZNS1_14partition_implILS8_3ELb0ES6_jNS0_17counting_iteratorIjlEEPS9_SE_NS0_5tupleIJPjSE_EEENSF_IJSE_SE_EEES9_SG_JZNS1_25segmented_radix_sort_implINS0_14default_configELb0EPKhPhPKlPlN2at6native12_GLOBAL__N_18offset_tEEE10hipError_tPvRmT1_PNSt15iterator_traitsISY_E10value_typeET2_T3_PNSZ_IS14_E10value_typeET4_jRbjT5_S1A_jjP12ihipStream_tbEUljE_EEESV_SW_SX_S14_S18_S1A_T6_T7_T9_mT8_S1C_bDpT10_ENKUlT_T0_E_clISt17integral_constantIbLb1EES1O_IbLb0EEEEDaS1K_S1L_EUlS1K_E_NS1_11comp_targetILNS1_3genE3ELNS1_11target_archE908ELNS1_3gpuE7ELNS1_3repE0EEENS1_30default_config_static_selectorELNS0_4arch9wavefront6targetE0EEEvSY_,@function
_ZN7rocprim17ROCPRIM_400000_NS6detail17trampoline_kernelINS0_13select_configILj256ELj13ELNS0_17block_load_methodE3ELS4_3ELS4_3ELNS0_20block_scan_algorithmE0ELj4294967295EEENS1_25partition_config_selectorILNS1_17partition_subalgoE3EjNS0_10empty_typeEbEEZZNS1_14partition_implILS8_3ELb0ES6_jNS0_17counting_iteratorIjlEEPS9_SE_NS0_5tupleIJPjSE_EEENSF_IJSE_SE_EEES9_SG_JZNS1_25segmented_radix_sort_implINS0_14default_configELb0EPKhPhPKlPlN2at6native12_GLOBAL__N_18offset_tEEE10hipError_tPvRmT1_PNSt15iterator_traitsISY_E10value_typeET2_T3_PNSZ_IS14_E10value_typeET4_jRbjT5_S1A_jjP12ihipStream_tbEUljE_EEESV_SW_SX_S14_S18_S1A_T6_T7_T9_mT8_S1C_bDpT10_ENKUlT_T0_E_clISt17integral_constantIbLb1EES1O_IbLb0EEEEDaS1K_S1L_EUlS1K_E_NS1_11comp_targetILNS1_3genE3ELNS1_11target_archE908ELNS1_3gpuE7ELNS1_3repE0EEENS1_30default_config_static_selectorELNS0_4arch9wavefront6targetE0EEEvSY_: ; @_ZN7rocprim17ROCPRIM_400000_NS6detail17trampoline_kernelINS0_13select_configILj256ELj13ELNS0_17block_load_methodE3ELS4_3ELS4_3ELNS0_20block_scan_algorithmE0ELj4294967295EEENS1_25partition_config_selectorILNS1_17partition_subalgoE3EjNS0_10empty_typeEbEEZZNS1_14partition_implILS8_3ELb0ES6_jNS0_17counting_iteratorIjlEEPS9_SE_NS0_5tupleIJPjSE_EEENSF_IJSE_SE_EEES9_SG_JZNS1_25segmented_radix_sort_implINS0_14default_configELb0EPKhPhPKlPlN2at6native12_GLOBAL__N_18offset_tEEE10hipError_tPvRmT1_PNSt15iterator_traitsISY_E10value_typeET2_T3_PNSZ_IS14_E10value_typeET4_jRbjT5_S1A_jjP12ihipStream_tbEUljE_EEESV_SW_SX_S14_S18_S1A_T6_T7_T9_mT8_S1C_bDpT10_ENKUlT_T0_E_clISt17integral_constantIbLb1EES1O_IbLb0EEEEDaS1K_S1L_EUlS1K_E_NS1_11comp_targetILNS1_3genE3ELNS1_11target_archE908ELNS1_3gpuE7ELNS1_3repE0EEENS1_30default_config_static_selectorELNS0_4arch9wavefront6targetE0EEEvSY_
; %bb.0:
	.section	.rodata,"a",@progbits
	.p2align	6, 0x0
	.amdhsa_kernel _ZN7rocprim17ROCPRIM_400000_NS6detail17trampoline_kernelINS0_13select_configILj256ELj13ELNS0_17block_load_methodE3ELS4_3ELS4_3ELNS0_20block_scan_algorithmE0ELj4294967295EEENS1_25partition_config_selectorILNS1_17partition_subalgoE3EjNS0_10empty_typeEbEEZZNS1_14partition_implILS8_3ELb0ES6_jNS0_17counting_iteratorIjlEEPS9_SE_NS0_5tupleIJPjSE_EEENSF_IJSE_SE_EEES9_SG_JZNS1_25segmented_radix_sort_implINS0_14default_configELb0EPKhPhPKlPlN2at6native12_GLOBAL__N_18offset_tEEE10hipError_tPvRmT1_PNSt15iterator_traitsISY_E10value_typeET2_T3_PNSZ_IS14_E10value_typeET4_jRbjT5_S1A_jjP12ihipStream_tbEUljE_EEESV_SW_SX_S14_S18_S1A_T6_T7_T9_mT8_S1C_bDpT10_ENKUlT_T0_E_clISt17integral_constantIbLb1EES1O_IbLb0EEEEDaS1K_S1L_EUlS1K_E_NS1_11comp_targetILNS1_3genE3ELNS1_11target_archE908ELNS1_3gpuE7ELNS1_3repE0EEENS1_30default_config_static_selectorELNS0_4arch9wavefront6targetE0EEEvSY_
		.amdhsa_group_segment_fixed_size 0
		.amdhsa_private_segment_fixed_size 0
		.amdhsa_kernarg_size 144
		.amdhsa_user_sgpr_count 2
		.amdhsa_user_sgpr_dispatch_ptr 0
		.amdhsa_user_sgpr_queue_ptr 0
		.amdhsa_user_sgpr_kernarg_segment_ptr 1
		.amdhsa_user_sgpr_dispatch_id 0
		.amdhsa_user_sgpr_kernarg_preload_length 0
		.amdhsa_user_sgpr_kernarg_preload_offset 0
		.amdhsa_user_sgpr_private_segment_size 0
		.amdhsa_wavefront_size32 1
		.amdhsa_uses_dynamic_stack 0
		.amdhsa_enable_private_segment 0
		.amdhsa_system_sgpr_workgroup_id_x 1
		.amdhsa_system_sgpr_workgroup_id_y 0
		.amdhsa_system_sgpr_workgroup_id_z 0
		.amdhsa_system_sgpr_workgroup_info 0
		.amdhsa_system_vgpr_workitem_id 0
		.amdhsa_next_free_vgpr 1
		.amdhsa_next_free_sgpr 1
		.amdhsa_named_barrier_count 0
		.amdhsa_reserve_vcc 0
		.amdhsa_float_round_mode_32 0
		.amdhsa_float_round_mode_16_64 0
		.amdhsa_float_denorm_mode_32 3
		.amdhsa_float_denorm_mode_16_64 3
		.amdhsa_fp16_overflow 0
		.amdhsa_memory_ordered 1
		.amdhsa_forward_progress 1
		.amdhsa_inst_pref_size 0
		.amdhsa_round_robin_scheduling 0
		.amdhsa_exception_fp_ieee_invalid_op 0
		.amdhsa_exception_fp_denorm_src 0
		.amdhsa_exception_fp_ieee_div_zero 0
		.amdhsa_exception_fp_ieee_overflow 0
		.amdhsa_exception_fp_ieee_underflow 0
		.amdhsa_exception_fp_ieee_inexact 0
		.amdhsa_exception_int_div_zero 0
	.end_amdhsa_kernel
	.section	.text._ZN7rocprim17ROCPRIM_400000_NS6detail17trampoline_kernelINS0_13select_configILj256ELj13ELNS0_17block_load_methodE3ELS4_3ELS4_3ELNS0_20block_scan_algorithmE0ELj4294967295EEENS1_25partition_config_selectorILNS1_17partition_subalgoE3EjNS0_10empty_typeEbEEZZNS1_14partition_implILS8_3ELb0ES6_jNS0_17counting_iteratorIjlEEPS9_SE_NS0_5tupleIJPjSE_EEENSF_IJSE_SE_EEES9_SG_JZNS1_25segmented_radix_sort_implINS0_14default_configELb0EPKhPhPKlPlN2at6native12_GLOBAL__N_18offset_tEEE10hipError_tPvRmT1_PNSt15iterator_traitsISY_E10value_typeET2_T3_PNSZ_IS14_E10value_typeET4_jRbjT5_S1A_jjP12ihipStream_tbEUljE_EEESV_SW_SX_S14_S18_S1A_T6_T7_T9_mT8_S1C_bDpT10_ENKUlT_T0_E_clISt17integral_constantIbLb1EES1O_IbLb0EEEEDaS1K_S1L_EUlS1K_E_NS1_11comp_targetILNS1_3genE3ELNS1_11target_archE908ELNS1_3gpuE7ELNS1_3repE0EEENS1_30default_config_static_selectorELNS0_4arch9wavefront6targetE0EEEvSY_,"axG",@progbits,_ZN7rocprim17ROCPRIM_400000_NS6detail17trampoline_kernelINS0_13select_configILj256ELj13ELNS0_17block_load_methodE3ELS4_3ELS4_3ELNS0_20block_scan_algorithmE0ELj4294967295EEENS1_25partition_config_selectorILNS1_17partition_subalgoE3EjNS0_10empty_typeEbEEZZNS1_14partition_implILS8_3ELb0ES6_jNS0_17counting_iteratorIjlEEPS9_SE_NS0_5tupleIJPjSE_EEENSF_IJSE_SE_EEES9_SG_JZNS1_25segmented_radix_sort_implINS0_14default_configELb0EPKhPhPKlPlN2at6native12_GLOBAL__N_18offset_tEEE10hipError_tPvRmT1_PNSt15iterator_traitsISY_E10value_typeET2_T3_PNSZ_IS14_E10value_typeET4_jRbjT5_S1A_jjP12ihipStream_tbEUljE_EEESV_SW_SX_S14_S18_S1A_T6_T7_T9_mT8_S1C_bDpT10_ENKUlT_T0_E_clISt17integral_constantIbLb1EES1O_IbLb0EEEEDaS1K_S1L_EUlS1K_E_NS1_11comp_targetILNS1_3genE3ELNS1_11target_archE908ELNS1_3gpuE7ELNS1_3repE0EEENS1_30default_config_static_selectorELNS0_4arch9wavefront6targetE0EEEvSY_,comdat
.Lfunc_end172:
	.size	_ZN7rocprim17ROCPRIM_400000_NS6detail17trampoline_kernelINS0_13select_configILj256ELj13ELNS0_17block_load_methodE3ELS4_3ELS4_3ELNS0_20block_scan_algorithmE0ELj4294967295EEENS1_25partition_config_selectorILNS1_17partition_subalgoE3EjNS0_10empty_typeEbEEZZNS1_14partition_implILS8_3ELb0ES6_jNS0_17counting_iteratorIjlEEPS9_SE_NS0_5tupleIJPjSE_EEENSF_IJSE_SE_EEES9_SG_JZNS1_25segmented_radix_sort_implINS0_14default_configELb0EPKhPhPKlPlN2at6native12_GLOBAL__N_18offset_tEEE10hipError_tPvRmT1_PNSt15iterator_traitsISY_E10value_typeET2_T3_PNSZ_IS14_E10value_typeET4_jRbjT5_S1A_jjP12ihipStream_tbEUljE_EEESV_SW_SX_S14_S18_S1A_T6_T7_T9_mT8_S1C_bDpT10_ENKUlT_T0_E_clISt17integral_constantIbLb1EES1O_IbLb0EEEEDaS1K_S1L_EUlS1K_E_NS1_11comp_targetILNS1_3genE3ELNS1_11target_archE908ELNS1_3gpuE7ELNS1_3repE0EEENS1_30default_config_static_selectorELNS0_4arch9wavefront6targetE0EEEvSY_, .Lfunc_end172-_ZN7rocprim17ROCPRIM_400000_NS6detail17trampoline_kernelINS0_13select_configILj256ELj13ELNS0_17block_load_methodE3ELS4_3ELS4_3ELNS0_20block_scan_algorithmE0ELj4294967295EEENS1_25partition_config_selectorILNS1_17partition_subalgoE3EjNS0_10empty_typeEbEEZZNS1_14partition_implILS8_3ELb0ES6_jNS0_17counting_iteratorIjlEEPS9_SE_NS0_5tupleIJPjSE_EEENSF_IJSE_SE_EEES9_SG_JZNS1_25segmented_radix_sort_implINS0_14default_configELb0EPKhPhPKlPlN2at6native12_GLOBAL__N_18offset_tEEE10hipError_tPvRmT1_PNSt15iterator_traitsISY_E10value_typeET2_T3_PNSZ_IS14_E10value_typeET4_jRbjT5_S1A_jjP12ihipStream_tbEUljE_EEESV_SW_SX_S14_S18_S1A_T6_T7_T9_mT8_S1C_bDpT10_ENKUlT_T0_E_clISt17integral_constantIbLb1EES1O_IbLb0EEEEDaS1K_S1L_EUlS1K_E_NS1_11comp_targetILNS1_3genE3ELNS1_11target_archE908ELNS1_3gpuE7ELNS1_3repE0EEENS1_30default_config_static_selectorELNS0_4arch9wavefront6targetE0EEEvSY_
                                        ; -- End function
	.set _ZN7rocprim17ROCPRIM_400000_NS6detail17trampoline_kernelINS0_13select_configILj256ELj13ELNS0_17block_load_methodE3ELS4_3ELS4_3ELNS0_20block_scan_algorithmE0ELj4294967295EEENS1_25partition_config_selectorILNS1_17partition_subalgoE3EjNS0_10empty_typeEbEEZZNS1_14partition_implILS8_3ELb0ES6_jNS0_17counting_iteratorIjlEEPS9_SE_NS0_5tupleIJPjSE_EEENSF_IJSE_SE_EEES9_SG_JZNS1_25segmented_radix_sort_implINS0_14default_configELb0EPKhPhPKlPlN2at6native12_GLOBAL__N_18offset_tEEE10hipError_tPvRmT1_PNSt15iterator_traitsISY_E10value_typeET2_T3_PNSZ_IS14_E10value_typeET4_jRbjT5_S1A_jjP12ihipStream_tbEUljE_EEESV_SW_SX_S14_S18_S1A_T6_T7_T9_mT8_S1C_bDpT10_ENKUlT_T0_E_clISt17integral_constantIbLb1EES1O_IbLb0EEEEDaS1K_S1L_EUlS1K_E_NS1_11comp_targetILNS1_3genE3ELNS1_11target_archE908ELNS1_3gpuE7ELNS1_3repE0EEENS1_30default_config_static_selectorELNS0_4arch9wavefront6targetE0EEEvSY_.num_vgpr, 0
	.set _ZN7rocprim17ROCPRIM_400000_NS6detail17trampoline_kernelINS0_13select_configILj256ELj13ELNS0_17block_load_methodE3ELS4_3ELS4_3ELNS0_20block_scan_algorithmE0ELj4294967295EEENS1_25partition_config_selectorILNS1_17partition_subalgoE3EjNS0_10empty_typeEbEEZZNS1_14partition_implILS8_3ELb0ES6_jNS0_17counting_iteratorIjlEEPS9_SE_NS0_5tupleIJPjSE_EEENSF_IJSE_SE_EEES9_SG_JZNS1_25segmented_radix_sort_implINS0_14default_configELb0EPKhPhPKlPlN2at6native12_GLOBAL__N_18offset_tEEE10hipError_tPvRmT1_PNSt15iterator_traitsISY_E10value_typeET2_T3_PNSZ_IS14_E10value_typeET4_jRbjT5_S1A_jjP12ihipStream_tbEUljE_EEESV_SW_SX_S14_S18_S1A_T6_T7_T9_mT8_S1C_bDpT10_ENKUlT_T0_E_clISt17integral_constantIbLb1EES1O_IbLb0EEEEDaS1K_S1L_EUlS1K_E_NS1_11comp_targetILNS1_3genE3ELNS1_11target_archE908ELNS1_3gpuE7ELNS1_3repE0EEENS1_30default_config_static_selectorELNS0_4arch9wavefront6targetE0EEEvSY_.num_agpr, 0
	.set _ZN7rocprim17ROCPRIM_400000_NS6detail17trampoline_kernelINS0_13select_configILj256ELj13ELNS0_17block_load_methodE3ELS4_3ELS4_3ELNS0_20block_scan_algorithmE0ELj4294967295EEENS1_25partition_config_selectorILNS1_17partition_subalgoE3EjNS0_10empty_typeEbEEZZNS1_14partition_implILS8_3ELb0ES6_jNS0_17counting_iteratorIjlEEPS9_SE_NS0_5tupleIJPjSE_EEENSF_IJSE_SE_EEES9_SG_JZNS1_25segmented_radix_sort_implINS0_14default_configELb0EPKhPhPKlPlN2at6native12_GLOBAL__N_18offset_tEEE10hipError_tPvRmT1_PNSt15iterator_traitsISY_E10value_typeET2_T3_PNSZ_IS14_E10value_typeET4_jRbjT5_S1A_jjP12ihipStream_tbEUljE_EEESV_SW_SX_S14_S18_S1A_T6_T7_T9_mT8_S1C_bDpT10_ENKUlT_T0_E_clISt17integral_constantIbLb1EES1O_IbLb0EEEEDaS1K_S1L_EUlS1K_E_NS1_11comp_targetILNS1_3genE3ELNS1_11target_archE908ELNS1_3gpuE7ELNS1_3repE0EEENS1_30default_config_static_selectorELNS0_4arch9wavefront6targetE0EEEvSY_.numbered_sgpr, 0
	.set _ZN7rocprim17ROCPRIM_400000_NS6detail17trampoline_kernelINS0_13select_configILj256ELj13ELNS0_17block_load_methodE3ELS4_3ELS4_3ELNS0_20block_scan_algorithmE0ELj4294967295EEENS1_25partition_config_selectorILNS1_17partition_subalgoE3EjNS0_10empty_typeEbEEZZNS1_14partition_implILS8_3ELb0ES6_jNS0_17counting_iteratorIjlEEPS9_SE_NS0_5tupleIJPjSE_EEENSF_IJSE_SE_EEES9_SG_JZNS1_25segmented_radix_sort_implINS0_14default_configELb0EPKhPhPKlPlN2at6native12_GLOBAL__N_18offset_tEEE10hipError_tPvRmT1_PNSt15iterator_traitsISY_E10value_typeET2_T3_PNSZ_IS14_E10value_typeET4_jRbjT5_S1A_jjP12ihipStream_tbEUljE_EEESV_SW_SX_S14_S18_S1A_T6_T7_T9_mT8_S1C_bDpT10_ENKUlT_T0_E_clISt17integral_constantIbLb1EES1O_IbLb0EEEEDaS1K_S1L_EUlS1K_E_NS1_11comp_targetILNS1_3genE3ELNS1_11target_archE908ELNS1_3gpuE7ELNS1_3repE0EEENS1_30default_config_static_selectorELNS0_4arch9wavefront6targetE0EEEvSY_.num_named_barrier, 0
	.set _ZN7rocprim17ROCPRIM_400000_NS6detail17trampoline_kernelINS0_13select_configILj256ELj13ELNS0_17block_load_methodE3ELS4_3ELS4_3ELNS0_20block_scan_algorithmE0ELj4294967295EEENS1_25partition_config_selectorILNS1_17partition_subalgoE3EjNS0_10empty_typeEbEEZZNS1_14partition_implILS8_3ELb0ES6_jNS0_17counting_iteratorIjlEEPS9_SE_NS0_5tupleIJPjSE_EEENSF_IJSE_SE_EEES9_SG_JZNS1_25segmented_radix_sort_implINS0_14default_configELb0EPKhPhPKlPlN2at6native12_GLOBAL__N_18offset_tEEE10hipError_tPvRmT1_PNSt15iterator_traitsISY_E10value_typeET2_T3_PNSZ_IS14_E10value_typeET4_jRbjT5_S1A_jjP12ihipStream_tbEUljE_EEESV_SW_SX_S14_S18_S1A_T6_T7_T9_mT8_S1C_bDpT10_ENKUlT_T0_E_clISt17integral_constantIbLb1EES1O_IbLb0EEEEDaS1K_S1L_EUlS1K_E_NS1_11comp_targetILNS1_3genE3ELNS1_11target_archE908ELNS1_3gpuE7ELNS1_3repE0EEENS1_30default_config_static_selectorELNS0_4arch9wavefront6targetE0EEEvSY_.private_seg_size, 0
	.set _ZN7rocprim17ROCPRIM_400000_NS6detail17trampoline_kernelINS0_13select_configILj256ELj13ELNS0_17block_load_methodE3ELS4_3ELS4_3ELNS0_20block_scan_algorithmE0ELj4294967295EEENS1_25partition_config_selectorILNS1_17partition_subalgoE3EjNS0_10empty_typeEbEEZZNS1_14partition_implILS8_3ELb0ES6_jNS0_17counting_iteratorIjlEEPS9_SE_NS0_5tupleIJPjSE_EEENSF_IJSE_SE_EEES9_SG_JZNS1_25segmented_radix_sort_implINS0_14default_configELb0EPKhPhPKlPlN2at6native12_GLOBAL__N_18offset_tEEE10hipError_tPvRmT1_PNSt15iterator_traitsISY_E10value_typeET2_T3_PNSZ_IS14_E10value_typeET4_jRbjT5_S1A_jjP12ihipStream_tbEUljE_EEESV_SW_SX_S14_S18_S1A_T6_T7_T9_mT8_S1C_bDpT10_ENKUlT_T0_E_clISt17integral_constantIbLb1EES1O_IbLb0EEEEDaS1K_S1L_EUlS1K_E_NS1_11comp_targetILNS1_3genE3ELNS1_11target_archE908ELNS1_3gpuE7ELNS1_3repE0EEENS1_30default_config_static_selectorELNS0_4arch9wavefront6targetE0EEEvSY_.uses_vcc, 0
	.set _ZN7rocprim17ROCPRIM_400000_NS6detail17trampoline_kernelINS0_13select_configILj256ELj13ELNS0_17block_load_methodE3ELS4_3ELS4_3ELNS0_20block_scan_algorithmE0ELj4294967295EEENS1_25partition_config_selectorILNS1_17partition_subalgoE3EjNS0_10empty_typeEbEEZZNS1_14partition_implILS8_3ELb0ES6_jNS0_17counting_iteratorIjlEEPS9_SE_NS0_5tupleIJPjSE_EEENSF_IJSE_SE_EEES9_SG_JZNS1_25segmented_radix_sort_implINS0_14default_configELb0EPKhPhPKlPlN2at6native12_GLOBAL__N_18offset_tEEE10hipError_tPvRmT1_PNSt15iterator_traitsISY_E10value_typeET2_T3_PNSZ_IS14_E10value_typeET4_jRbjT5_S1A_jjP12ihipStream_tbEUljE_EEESV_SW_SX_S14_S18_S1A_T6_T7_T9_mT8_S1C_bDpT10_ENKUlT_T0_E_clISt17integral_constantIbLb1EES1O_IbLb0EEEEDaS1K_S1L_EUlS1K_E_NS1_11comp_targetILNS1_3genE3ELNS1_11target_archE908ELNS1_3gpuE7ELNS1_3repE0EEENS1_30default_config_static_selectorELNS0_4arch9wavefront6targetE0EEEvSY_.uses_flat_scratch, 0
	.set _ZN7rocprim17ROCPRIM_400000_NS6detail17trampoline_kernelINS0_13select_configILj256ELj13ELNS0_17block_load_methodE3ELS4_3ELS4_3ELNS0_20block_scan_algorithmE0ELj4294967295EEENS1_25partition_config_selectorILNS1_17partition_subalgoE3EjNS0_10empty_typeEbEEZZNS1_14partition_implILS8_3ELb0ES6_jNS0_17counting_iteratorIjlEEPS9_SE_NS0_5tupleIJPjSE_EEENSF_IJSE_SE_EEES9_SG_JZNS1_25segmented_radix_sort_implINS0_14default_configELb0EPKhPhPKlPlN2at6native12_GLOBAL__N_18offset_tEEE10hipError_tPvRmT1_PNSt15iterator_traitsISY_E10value_typeET2_T3_PNSZ_IS14_E10value_typeET4_jRbjT5_S1A_jjP12ihipStream_tbEUljE_EEESV_SW_SX_S14_S18_S1A_T6_T7_T9_mT8_S1C_bDpT10_ENKUlT_T0_E_clISt17integral_constantIbLb1EES1O_IbLb0EEEEDaS1K_S1L_EUlS1K_E_NS1_11comp_targetILNS1_3genE3ELNS1_11target_archE908ELNS1_3gpuE7ELNS1_3repE0EEENS1_30default_config_static_selectorELNS0_4arch9wavefront6targetE0EEEvSY_.has_dyn_sized_stack, 0
	.set _ZN7rocprim17ROCPRIM_400000_NS6detail17trampoline_kernelINS0_13select_configILj256ELj13ELNS0_17block_load_methodE3ELS4_3ELS4_3ELNS0_20block_scan_algorithmE0ELj4294967295EEENS1_25partition_config_selectorILNS1_17partition_subalgoE3EjNS0_10empty_typeEbEEZZNS1_14partition_implILS8_3ELb0ES6_jNS0_17counting_iteratorIjlEEPS9_SE_NS0_5tupleIJPjSE_EEENSF_IJSE_SE_EEES9_SG_JZNS1_25segmented_radix_sort_implINS0_14default_configELb0EPKhPhPKlPlN2at6native12_GLOBAL__N_18offset_tEEE10hipError_tPvRmT1_PNSt15iterator_traitsISY_E10value_typeET2_T3_PNSZ_IS14_E10value_typeET4_jRbjT5_S1A_jjP12ihipStream_tbEUljE_EEESV_SW_SX_S14_S18_S1A_T6_T7_T9_mT8_S1C_bDpT10_ENKUlT_T0_E_clISt17integral_constantIbLb1EES1O_IbLb0EEEEDaS1K_S1L_EUlS1K_E_NS1_11comp_targetILNS1_3genE3ELNS1_11target_archE908ELNS1_3gpuE7ELNS1_3repE0EEENS1_30default_config_static_selectorELNS0_4arch9wavefront6targetE0EEEvSY_.has_recursion, 0
	.set _ZN7rocprim17ROCPRIM_400000_NS6detail17trampoline_kernelINS0_13select_configILj256ELj13ELNS0_17block_load_methodE3ELS4_3ELS4_3ELNS0_20block_scan_algorithmE0ELj4294967295EEENS1_25partition_config_selectorILNS1_17partition_subalgoE3EjNS0_10empty_typeEbEEZZNS1_14partition_implILS8_3ELb0ES6_jNS0_17counting_iteratorIjlEEPS9_SE_NS0_5tupleIJPjSE_EEENSF_IJSE_SE_EEES9_SG_JZNS1_25segmented_radix_sort_implINS0_14default_configELb0EPKhPhPKlPlN2at6native12_GLOBAL__N_18offset_tEEE10hipError_tPvRmT1_PNSt15iterator_traitsISY_E10value_typeET2_T3_PNSZ_IS14_E10value_typeET4_jRbjT5_S1A_jjP12ihipStream_tbEUljE_EEESV_SW_SX_S14_S18_S1A_T6_T7_T9_mT8_S1C_bDpT10_ENKUlT_T0_E_clISt17integral_constantIbLb1EES1O_IbLb0EEEEDaS1K_S1L_EUlS1K_E_NS1_11comp_targetILNS1_3genE3ELNS1_11target_archE908ELNS1_3gpuE7ELNS1_3repE0EEENS1_30default_config_static_selectorELNS0_4arch9wavefront6targetE0EEEvSY_.has_indirect_call, 0
	.section	.AMDGPU.csdata,"",@progbits
; Kernel info:
; codeLenInByte = 0
; TotalNumSgprs: 0
; NumVgprs: 0
; ScratchSize: 0
; MemoryBound: 0
; FloatMode: 240
; IeeeMode: 1
; LDSByteSize: 0 bytes/workgroup (compile time only)
; SGPRBlocks: 0
; VGPRBlocks: 0
; NumSGPRsForWavesPerEU: 1
; NumVGPRsForWavesPerEU: 1
; NamedBarCnt: 0
; Occupancy: 16
; WaveLimiterHint : 0
; COMPUTE_PGM_RSRC2:SCRATCH_EN: 0
; COMPUTE_PGM_RSRC2:USER_SGPR: 2
; COMPUTE_PGM_RSRC2:TRAP_HANDLER: 0
; COMPUTE_PGM_RSRC2:TGID_X_EN: 1
; COMPUTE_PGM_RSRC2:TGID_Y_EN: 0
; COMPUTE_PGM_RSRC2:TGID_Z_EN: 0
; COMPUTE_PGM_RSRC2:TIDIG_COMP_CNT: 0
	.section	.text._ZN7rocprim17ROCPRIM_400000_NS6detail17trampoline_kernelINS0_13select_configILj256ELj13ELNS0_17block_load_methodE3ELS4_3ELS4_3ELNS0_20block_scan_algorithmE0ELj4294967295EEENS1_25partition_config_selectorILNS1_17partition_subalgoE3EjNS0_10empty_typeEbEEZZNS1_14partition_implILS8_3ELb0ES6_jNS0_17counting_iteratorIjlEEPS9_SE_NS0_5tupleIJPjSE_EEENSF_IJSE_SE_EEES9_SG_JZNS1_25segmented_radix_sort_implINS0_14default_configELb0EPKhPhPKlPlN2at6native12_GLOBAL__N_18offset_tEEE10hipError_tPvRmT1_PNSt15iterator_traitsISY_E10value_typeET2_T3_PNSZ_IS14_E10value_typeET4_jRbjT5_S1A_jjP12ihipStream_tbEUljE_EEESV_SW_SX_S14_S18_S1A_T6_T7_T9_mT8_S1C_bDpT10_ENKUlT_T0_E_clISt17integral_constantIbLb1EES1O_IbLb0EEEEDaS1K_S1L_EUlS1K_E_NS1_11comp_targetILNS1_3genE2ELNS1_11target_archE906ELNS1_3gpuE6ELNS1_3repE0EEENS1_30default_config_static_selectorELNS0_4arch9wavefront6targetE0EEEvSY_,"axG",@progbits,_ZN7rocprim17ROCPRIM_400000_NS6detail17trampoline_kernelINS0_13select_configILj256ELj13ELNS0_17block_load_methodE3ELS4_3ELS4_3ELNS0_20block_scan_algorithmE0ELj4294967295EEENS1_25partition_config_selectorILNS1_17partition_subalgoE3EjNS0_10empty_typeEbEEZZNS1_14partition_implILS8_3ELb0ES6_jNS0_17counting_iteratorIjlEEPS9_SE_NS0_5tupleIJPjSE_EEENSF_IJSE_SE_EEES9_SG_JZNS1_25segmented_radix_sort_implINS0_14default_configELb0EPKhPhPKlPlN2at6native12_GLOBAL__N_18offset_tEEE10hipError_tPvRmT1_PNSt15iterator_traitsISY_E10value_typeET2_T3_PNSZ_IS14_E10value_typeET4_jRbjT5_S1A_jjP12ihipStream_tbEUljE_EEESV_SW_SX_S14_S18_S1A_T6_T7_T9_mT8_S1C_bDpT10_ENKUlT_T0_E_clISt17integral_constantIbLb1EES1O_IbLb0EEEEDaS1K_S1L_EUlS1K_E_NS1_11comp_targetILNS1_3genE2ELNS1_11target_archE906ELNS1_3gpuE6ELNS1_3repE0EEENS1_30default_config_static_selectorELNS0_4arch9wavefront6targetE0EEEvSY_,comdat
	.globl	_ZN7rocprim17ROCPRIM_400000_NS6detail17trampoline_kernelINS0_13select_configILj256ELj13ELNS0_17block_load_methodE3ELS4_3ELS4_3ELNS0_20block_scan_algorithmE0ELj4294967295EEENS1_25partition_config_selectorILNS1_17partition_subalgoE3EjNS0_10empty_typeEbEEZZNS1_14partition_implILS8_3ELb0ES6_jNS0_17counting_iteratorIjlEEPS9_SE_NS0_5tupleIJPjSE_EEENSF_IJSE_SE_EEES9_SG_JZNS1_25segmented_radix_sort_implINS0_14default_configELb0EPKhPhPKlPlN2at6native12_GLOBAL__N_18offset_tEEE10hipError_tPvRmT1_PNSt15iterator_traitsISY_E10value_typeET2_T3_PNSZ_IS14_E10value_typeET4_jRbjT5_S1A_jjP12ihipStream_tbEUljE_EEESV_SW_SX_S14_S18_S1A_T6_T7_T9_mT8_S1C_bDpT10_ENKUlT_T0_E_clISt17integral_constantIbLb1EES1O_IbLb0EEEEDaS1K_S1L_EUlS1K_E_NS1_11comp_targetILNS1_3genE2ELNS1_11target_archE906ELNS1_3gpuE6ELNS1_3repE0EEENS1_30default_config_static_selectorELNS0_4arch9wavefront6targetE0EEEvSY_ ; -- Begin function _ZN7rocprim17ROCPRIM_400000_NS6detail17trampoline_kernelINS0_13select_configILj256ELj13ELNS0_17block_load_methodE3ELS4_3ELS4_3ELNS0_20block_scan_algorithmE0ELj4294967295EEENS1_25partition_config_selectorILNS1_17partition_subalgoE3EjNS0_10empty_typeEbEEZZNS1_14partition_implILS8_3ELb0ES6_jNS0_17counting_iteratorIjlEEPS9_SE_NS0_5tupleIJPjSE_EEENSF_IJSE_SE_EEES9_SG_JZNS1_25segmented_radix_sort_implINS0_14default_configELb0EPKhPhPKlPlN2at6native12_GLOBAL__N_18offset_tEEE10hipError_tPvRmT1_PNSt15iterator_traitsISY_E10value_typeET2_T3_PNSZ_IS14_E10value_typeET4_jRbjT5_S1A_jjP12ihipStream_tbEUljE_EEESV_SW_SX_S14_S18_S1A_T6_T7_T9_mT8_S1C_bDpT10_ENKUlT_T0_E_clISt17integral_constantIbLb1EES1O_IbLb0EEEEDaS1K_S1L_EUlS1K_E_NS1_11comp_targetILNS1_3genE2ELNS1_11target_archE906ELNS1_3gpuE6ELNS1_3repE0EEENS1_30default_config_static_selectorELNS0_4arch9wavefront6targetE0EEEvSY_
	.p2align	8
	.type	_ZN7rocprim17ROCPRIM_400000_NS6detail17trampoline_kernelINS0_13select_configILj256ELj13ELNS0_17block_load_methodE3ELS4_3ELS4_3ELNS0_20block_scan_algorithmE0ELj4294967295EEENS1_25partition_config_selectorILNS1_17partition_subalgoE3EjNS0_10empty_typeEbEEZZNS1_14partition_implILS8_3ELb0ES6_jNS0_17counting_iteratorIjlEEPS9_SE_NS0_5tupleIJPjSE_EEENSF_IJSE_SE_EEES9_SG_JZNS1_25segmented_radix_sort_implINS0_14default_configELb0EPKhPhPKlPlN2at6native12_GLOBAL__N_18offset_tEEE10hipError_tPvRmT1_PNSt15iterator_traitsISY_E10value_typeET2_T3_PNSZ_IS14_E10value_typeET4_jRbjT5_S1A_jjP12ihipStream_tbEUljE_EEESV_SW_SX_S14_S18_S1A_T6_T7_T9_mT8_S1C_bDpT10_ENKUlT_T0_E_clISt17integral_constantIbLb1EES1O_IbLb0EEEEDaS1K_S1L_EUlS1K_E_NS1_11comp_targetILNS1_3genE2ELNS1_11target_archE906ELNS1_3gpuE6ELNS1_3repE0EEENS1_30default_config_static_selectorELNS0_4arch9wavefront6targetE0EEEvSY_,@function
_ZN7rocprim17ROCPRIM_400000_NS6detail17trampoline_kernelINS0_13select_configILj256ELj13ELNS0_17block_load_methodE3ELS4_3ELS4_3ELNS0_20block_scan_algorithmE0ELj4294967295EEENS1_25partition_config_selectorILNS1_17partition_subalgoE3EjNS0_10empty_typeEbEEZZNS1_14partition_implILS8_3ELb0ES6_jNS0_17counting_iteratorIjlEEPS9_SE_NS0_5tupleIJPjSE_EEENSF_IJSE_SE_EEES9_SG_JZNS1_25segmented_radix_sort_implINS0_14default_configELb0EPKhPhPKlPlN2at6native12_GLOBAL__N_18offset_tEEE10hipError_tPvRmT1_PNSt15iterator_traitsISY_E10value_typeET2_T3_PNSZ_IS14_E10value_typeET4_jRbjT5_S1A_jjP12ihipStream_tbEUljE_EEESV_SW_SX_S14_S18_S1A_T6_T7_T9_mT8_S1C_bDpT10_ENKUlT_T0_E_clISt17integral_constantIbLb1EES1O_IbLb0EEEEDaS1K_S1L_EUlS1K_E_NS1_11comp_targetILNS1_3genE2ELNS1_11target_archE906ELNS1_3gpuE6ELNS1_3repE0EEENS1_30default_config_static_selectorELNS0_4arch9wavefront6targetE0EEEvSY_: ; @_ZN7rocprim17ROCPRIM_400000_NS6detail17trampoline_kernelINS0_13select_configILj256ELj13ELNS0_17block_load_methodE3ELS4_3ELS4_3ELNS0_20block_scan_algorithmE0ELj4294967295EEENS1_25partition_config_selectorILNS1_17partition_subalgoE3EjNS0_10empty_typeEbEEZZNS1_14partition_implILS8_3ELb0ES6_jNS0_17counting_iteratorIjlEEPS9_SE_NS0_5tupleIJPjSE_EEENSF_IJSE_SE_EEES9_SG_JZNS1_25segmented_radix_sort_implINS0_14default_configELb0EPKhPhPKlPlN2at6native12_GLOBAL__N_18offset_tEEE10hipError_tPvRmT1_PNSt15iterator_traitsISY_E10value_typeET2_T3_PNSZ_IS14_E10value_typeET4_jRbjT5_S1A_jjP12ihipStream_tbEUljE_EEESV_SW_SX_S14_S18_S1A_T6_T7_T9_mT8_S1C_bDpT10_ENKUlT_T0_E_clISt17integral_constantIbLb1EES1O_IbLb0EEEEDaS1K_S1L_EUlS1K_E_NS1_11comp_targetILNS1_3genE2ELNS1_11target_archE906ELNS1_3gpuE6ELNS1_3repE0EEENS1_30default_config_static_selectorELNS0_4arch9wavefront6targetE0EEEvSY_
; %bb.0:
	.section	.rodata,"a",@progbits
	.p2align	6, 0x0
	.amdhsa_kernel _ZN7rocprim17ROCPRIM_400000_NS6detail17trampoline_kernelINS0_13select_configILj256ELj13ELNS0_17block_load_methodE3ELS4_3ELS4_3ELNS0_20block_scan_algorithmE0ELj4294967295EEENS1_25partition_config_selectorILNS1_17partition_subalgoE3EjNS0_10empty_typeEbEEZZNS1_14partition_implILS8_3ELb0ES6_jNS0_17counting_iteratorIjlEEPS9_SE_NS0_5tupleIJPjSE_EEENSF_IJSE_SE_EEES9_SG_JZNS1_25segmented_radix_sort_implINS0_14default_configELb0EPKhPhPKlPlN2at6native12_GLOBAL__N_18offset_tEEE10hipError_tPvRmT1_PNSt15iterator_traitsISY_E10value_typeET2_T3_PNSZ_IS14_E10value_typeET4_jRbjT5_S1A_jjP12ihipStream_tbEUljE_EEESV_SW_SX_S14_S18_S1A_T6_T7_T9_mT8_S1C_bDpT10_ENKUlT_T0_E_clISt17integral_constantIbLb1EES1O_IbLb0EEEEDaS1K_S1L_EUlS1K_E_NS1_11comp_targetILNS1_3genE2ELNS1_11target_archE906ELNS1_3gpuE6ELNS1_3repE0EEENS1_30default_config_static_selectorELNS0_4arch9wavefront6targetE0EEEvSY_
		.amdhsa_group_segment_fixed_size 0
		.amdhsa_private_segment_fixed_size 0
		.amdhsa_kernarg_size 144
		.amdhsa_user_sgpr_count 2
		.amdhsa_user_sgpr_dispatch_ptr 0
		.amdhsa_user_sgpr_queue_ptr 0
		.amdhsa_user_sgpr_kernarg_segment_ptr 1
		.amdhsa_user_sgpr_dispatch_id 0
		.amdhsa_user_sgpr_kernarg_preload_length 0
		.amdhsa_user_sgpr_kernarg_preload_offset 0
		.amdhsa_user_sgpr_private_segment_size 0
		.amdhsa_wavefront_size32 1
		.amdhsa_uses_dynamic_stack 0
		.amdhsa_enable_private_segment 0
		.amdhsa_system_sgpr_workgroup_id_x 1
		.amdhsa_system_sgpr_workgroup_id_y 0
		.amdhsa_system_sgpr_workgroup_id_z 0
		.amdhsa_system_sgpr_workgroup_info 0
		.amdhsa_system_vgpr_workitem_id 0
		.amdhsa_next_free_vgpr 1
		.amdhsa_next_free_sgpr 1
		.amdhsa_named_barrier_count 0
		.amdhsa_reserve_vcc 0
		.amdhsa_float_round_mode_32 0
		.amdhsa_float_round_mode_16_64 0
		.amdhsa_float_denorm_mode_32 3
		.amdhsa_float_denorm_mode_16_64 3
		.amdhsa_fp16_overflow 0
		.amdhsa_memory_ordered 1
		.amdhsa_forward_progress 1
		.amdhsa_inst_pref_size 0
		.amdhsa_round_robin_scheduling 0
		.amdhsa_exception_fp_ieee_invalid_op 0
		.amdhsa_exception_fp_denorm_src 0
		.amdhsa_exception_fp_ieee_div_zero 0
		.amdhsa_exception_fp_ieee_overflow 0
		.amdhsa_exception_fp_ieee_underflow 0
		.amdhsa_exception_fp_ieee_inexact 0
		.amdhsa_exception_int_div_zero 0
	.end_amdhsa_kernel
	.section	.text._ZN7rocprim17ROCPRIM_400000_NS6detail17trampoline_kernelINS0_13select_configILj256ELj13ELNS0_17block_load_methodE3ELS4_3ELS4_3ELNS0_20block_scan_algorithmE0ELj4294967295EEENS1_25partition_config_selectorILNS1_17partition_subalgoE3EjNS0_10empty_typeEbEEZZNS1_14partition_implILS8_3ELb0ES6_jNS0_17counting_iteratorIjlEEPS9_SE_NS0_5tupleIJPjSE_EEENSF_IJSE_SE_EEES9_SG_JZNS1_25segmented_radix_sort_implINS0_14default_configELb0EPKhPhPKlPlN2at6native12_GLOBAL__N_18offset_tEEE10hipError_tPvRmT1_PNSt15iterator_traitsISY_E10value_typeET2_T3_PNSZ_IS14_E10value_typeET4_jRbjT5_S1A_jjP12ihipStream_tbEUljE_EEESV_SW_SX_S14_S18_S1A_T6_T7_T9_mT8_S1C_bDpT10_ENKUlT_T0_E_clISt17integral_constantIbLb1EES1O_IbLb0EEEEDaS1K_S1L_EUlS1K_E_NS1_11comp_targetILNS1_3genE2ELNS1_11target_archE906ELNS1_3gpuE6ELNS1_3repE0EEENS1_30default_config_static_selectorELNS0_4arch9wavefront6targetE0EEEvSY_,"axG",@progbits,_ZN7rocprim17ROCPRIM_400000_NS6detail17trampoline_kernelINS0_13select_configILj256ELj13ELNS0_17block_load_methodE3ELS4_3ELS4_3ELNS0_20block_scan_algorithmE0ELj4294967295EEENS1_25partition_config_selectorILNS1_17partition_subalgoE3EjNS0_10empty_typeEbEEZZNS1_14partition_implILS8_3ELb0ES6_jNS0_17counting_iteratorIjlEEPS9_SE_NS0_5tupleIJPjSE_EEENSF_IJSE_SE_EEES9_SG_JZNS1_25segmented_radix_sort_implINS0_14default_configELb0EPKhPhPKlPlN2at6native12_GLOBAL__N_18offset_tEEE10hipError_tPvRmT1_PNSt15iterator_traitsISY_E10value_typeET2_T3_PNSZ_IS14_E10value_typeET4_jRbjT5_S1A_jjP12ihipStream_tbEUljE_EEESV_SW_SX_S14_S18_S1A_T6_T7_T9_mT8_S1C_bDpT10_ENKUlT_T0_E_clISt17integral_constantIbLb1EES1O_IbLb0EEEEDaS1K_S1L_EUlS1K_E_NS1_11comp_targetILNS1_3genE2ELNS1_11target_archE906ELNS1_3gpuE6ELNS1_3repE0EEENS1_30default_config_static_selectorELNS0_4arch9wavefront6targetE0EEEvSY_,comdat
.Lfunc_end173:
	.size	_ZN7rocprim17ROCPRIM_400000_NS6detail17trampoline_kernelINS0_13select_configILj256ELj13ELNS0_17block_load_methodE3ELS4_3ELS4_3ELNS0_20block_scan_algorithmE0ELj4294967295EEENS1_25partition_config_selectorILNS1_17partition_subalgoE3EjNS0_10empty_typeEbEEZZNS1_14partition_implILS8_3ELb0ES6_jNS0_17counting_iteratorIjlEEPS9_SE_NS0_5tupleIJPjSE_EEENSF_IJSE_SE_EEES9_SG_JZNS1_25segmented_radix_sort_implINS0_14default_configELb0EPKhPhPKlPlN2at6native12_GLOBAL__N_18offset_tEEE10hipError_tPvRmT1_PNSt15iterator_traitsISY_E10value_typeET2_T3_PNSZ_IS14_E10value_typeET4_jRbjT5_S1A_jjP12ihipStream_tbEUljE_EEESV_SW_SX_S14_S18_S1A_T6_T7_T9_mT8_S1C_bDpT10_ENKUlT_T0_E_clISt17integral_constantIbLb1EES1O_IbLb0EEEEDaS1K_S1L_EUlS1K_E_NS1_11comp_targetILNS1_3genE2ELNS1_11target_archE906ELNS1_3gpuE6ELNS1_3repE0EEENS1_30default_config_static_selectorELNS0_4arch9wavefront6targetE0EEEvSY_, .Lfunc_end173-_ZN7rocprim17ROCPRIM_400000_NS6detail17trampoline_kernelINS0_13select_configILj256ELj13ELNS0_17block_load_methodE3ELS4_3ELS4_3ELNS0_20block_scan_algorithmE0ELj4294967295EEENS1_25partition_config_selectorILNS1_17partition_subalgoE3EjNS0_10empty_typeEbEEZZNS1_14partition_implILS8_3ELb0ES6_jNS0_17counting_iteratorIjlEEPS9_SE_NS0_5tupleIJPjSE_EEENSF_IJSE_SE_EEES9_SG_JZNS1_25segmented_radix_sort_implINS0_14default_configELb0EPKhPhPKlPlN2at6native12_GLOBAL__N_18offset_tEEE10hipError_tPvRmT1_PNSt15iterator_traitsISY_E10value_typeET2_T3_PNSZ_IS14_E10value_typeET4_jRbjT5_S1A_jjP12ihipStream_tbEUljE_EEESV_SW_SX_S14_S18_S1A_T6_T7_T9_mT8_S1C_bDpT10_ENKUlT_T0_E_clISt17integral_constantIbLb1EES1O_IbLb0EEEEDaS1K_S1L_EUlS1K_E_NS1_11comp_targetILNS1_3genE2ELNS1_11target_archE906ELNS1_3gpuE6ELNS1_3repE0EEENS1_30default_config_static_selectorELNS0_4arch9wavefront6targetE0EEEvSY_
                                        ; -- End function
	.set _ZN7rocprim17ROCPRIM_400000_NS6detail17trampoline_kernelINS0_13select_configILj256ELj13ELNS0_17block_load_methodE3ELS4_3ELS4_3ELNS0_20block_scan_algorithmE0ELj4294967295EEENS1_25partition_config_selectorILNS1_17partition_subalgoE3EjNS0_10empty_typeEbEEZZNS1_14partition_implILS8_3ELb0ES6_jNS0_17counting_iteratorIjlEEPS9_SE_NS0_5tupleIJPjSE_EEENSF_IJSE_SE_EEES9_SG_JZNS1_25segmented_radix_sort_implINS0_14default_configELb0EPKhPhPKlPlN2at6native12_GLOBAL__N_18offset_tEEE10hipError_tPvRmT1_PNSt15iterator_traitsISY_E10value_typeET2_T3_PNSZ_IS14_E10value_typeET4_jRbjT5_S1A_jjP12ihipStream_tbEUljE_EEESV_SW_SX_S14_S18_S1A_T6_T7_T9_mT8_S1C_bDpT10_ENKUlT_T0_E_clISt17integral_constantIbLb1EES1O_IbLb0EEEEDaS1K_S1L_EUlS1K_E_NS1_11comp_targetILNS1_3genE2ELNS1_11target_archE906ELNS1_3gpuE6ELNS1_3repE0EEENS1_30default_config_static_selectorELNS0_4arch9wavefront6targetE0EEEvSY_.num_vgpr, 0
	.set _ZN7rocprim17ROCPRIM_400000_NS6detail17trampoline_kernelINS0_13select_configILj256ELj13ELNS0_17block_load_methodE3ELS4_3ELS4_3ELNS0_20block_scan_algorithmE0ELj4294967295EEENS1_25partition_config_selectorILNS1_17partition_subalgoE3EjNS0_10empty_typeEbEEZZNS1_14partition_implILS8_3ELb0ES6_jNS0_17counting_iteratorIjlEEPS9_SE_NS0_5tupleIJPjSE_EEENSF_IJSE_SE_EEES9_SG_JZNS1_25segmented_radix_sort_implINS0_14default_configELb0EPKhPhPKlPlN2at6native12_GLOBAL__N_18offset_tEEE10hipError_tPvRmT1_PNSt15iterator_traitsISY_E10value_typeET2_T3_PNSZ_IS14_E10value_typeET4_jRbjT5_S1A_jjP12ihipStream_tbEUljE_EEESV_SW_SX_S14_S18_S1A_T6_T7_T9_mT8_S1C_bDpT10_ENKUlT_T0_E_clISt17integral_constantIbLb1EES1O_IbLb0EEEEDaS1K_S1L_EUlS1K_E_NS1_11comp_targetILNS1_3genE2ELNS1_11target_archE906ELNS1_3gpuE6ELNS1_3repE0EEENS1_30default_config_static_selectorELNS0_4arch9wavefront6targetE0EEEvSY_.num_agpr, 0
	.set _ZN7rocprim17ROCPRIM_400000_NS6detail17trampoline_kernelINS0_13select_configILj256ELj13ELNS0_17block_load_methodE3ELS4_3ELS4_3ELNS0_20block_scan_algorithmE0ELj4294967295EEENS1_25partition_config_selectorILNS1_17partition_subalgoE3EjNS0_10empty_typeEbEEZZNS1_14partition_implILS8_3ELb0ES6_jNS0_17counting_iteratorIjlEEPS9_SE_NS0_5tupleIJPjSE_EEENSF_IJSE_SE_EEES9_SG_JZNS1_25segmented_radix_sort_implINS0_14default_configELb0EPKhPhPKlPlN2at6native12_GLOBAL__N_18offset_tEEE10hipError_tPvRmT1_PNSt15iterator_traitsISY_E10value_typeET2_T3_PNSZ_IS14_E10value_typeET4_jRbjT5_S1A_jjP12ihipStream_tbEUljE_EEESV_SW_SX_S14_S18_S1A_T6_T7_T9_mT8_S1C_bDpT10_ENKUlT_T0_E_clISt17integral_constantIbLb1EES1O_IbLb0EEEEDaS1K_S1L_EUlS1K_E_NS1_11comp_targetILNS1_3genE2ELNS1_11target_archE906ELNS1_3gpuE6ELNS1_3repE0EEENS1_30default_config_static_selectorELNS0_4arch9wavefront6targetE0EEEvSY_.numbered_sgpr, 0
	.set _ZN7rocprim17ROCPRIM_400000_NS6detail17trampoline_kernelINS0_13select_configILj256ELj13ELNS0_17block_load_methodE3ELS4_3ELS4_3ELNS0_20block_scan_algorithmE0ELj4294967295EEENS1_25partition_config_selectorILNS1_17partition_subalgoE3EjNS0_10empty_typeEbEEZZNS1_14partition_implILS8_3ELb0ES6_jNS0_17counting_iteratorIjlEEPS9_SE_NS0_5tupleIJPjSE_EEENSF_IJSE_SE_EEES9_SG_JZNS1_25segmented_radix_sort_implINS0_14default_configELb0EPKhPhPKlPlN2at6native12_GLOBAL__N_18offset_tEEE10hipError_tPvRmT1_PNSt15iterator_traitsISY_E10value_typeET2_T3_PNSZ_IS14_E10value_typeET4_jRbjT5_S1A_jjP12ihipStream_tbEUljE_EEESV_SW_SX_S14_S18_S1A_T6_T7_T9_mT8_S1C_bDpT10_ENKUlT_T0_E_clISt17integral_constantIbLb1EES1O_IbLb0EEEEDaS1K_S1L_EUlS1K_E_NS1_11comp_targetILNS1_3genE2ELNS1_11target_archE906ELNS1_3gpuE6ELNS1_3repE0EEENS1_30default_config_static_selectorELNS0_4arch9wavefront6targetE0EEEvSY_.num_named_barrier, 0
	.set _ZN7rocprim17ROCPRIM_400000_NS6detail17trampoline_kernelINS0_13select_configILj256ELj13ELNS0_17block_load_methodE3ELS4_3ELS4_3ELNS0_20block_scan_algorithmE0ELj4294967295EEENS1_25partition_config_selectorILNS1_17partition_subalgoE3EjNS0_10empty_typeEbEEZZNS1_14partition_implILS8_3ELb0ES6_jNS0_17counting_iteratorIjlEEPS9_SE_NS0_5tupleIJPjSE_EEENSF_IJSE_SE_EEES9_SG_JZNS1_25segmented_radix_sort_implINS0_14default_configELb0EPKhPhPKlPlN2at6native12_GLOBAL__N_18offset_tEEE10hipError_tPvRmT1_PNSt15iterator_traitsISY_E10value_typeET2_T3_PNSZ_IS14_E10value_typeET4_jRbjT5_S1A_jjP12ihipStream_tbEUljE_EEESV_SW_SX_S14_S18_S1A_T6_T7_T9_mT8_S1C_bDpT10_ENKUlT_T0_E_clISt17integral_constantIbLb1EES1O_IbLb0EEEEDaS1K_S1L_EUlS1K_E_NS1_11comp_targetILNS1_3genE2ELNS1_11target_archE906ELNS1_3gpuE6ELNS1_3repE0EEENS1_30default_config_static_selectorELNS0_4arch9wavefront6targetE0EEEvSY_.private_seg_size, 0
	.set _ZN7rocprim17ROCPRIM_400000_NS6detail17trampoline_kernelINS0_13select_configILj256ELj13ELNS0_17block_load_methodE3ELS4_3ELS4_3ELNS0_20block_scan_algorithmE0ELj4294967295EEENS1_25partition_config_selectorILNS1_17partition_subalgoE3EjNS0_10empty_typeEbEEZZNS1_14partition_implILS8_3ELb0ES6_jNS0_17counting_iteratorIjlEEPS9_SE_NS0_5tupleIJPjSE_EEENSF_IJSE_SE_EEES9_SG_JZNS1_25segmented_radix_sort_implINS0_14default_configELb0EPKhPhPKlPlN2at6native12_GLOBAL__N_18offset_tEEE10hipError_tPvRmT1_PNSt15iterator_traitsISY_E10value_typeET2_T3_PNSZ_IS14_E10value_typeET4_jRbjT5_S1A_jjP12ihipStream_tbEUljE_EEESV_SW_SX_S14_S18_S1A_T6_T7_T9_mT8_S1C_bDpT10_ENKUlT_T0_E_clISt17integral_constantIbLb1EES1O_IbLb0EEEEDaS1K_S1L_EUlS1K_E_NS1_11comp_targetILNS1_3genE2ELNS1_11target_archE906ELNS1_3gpuE6ELNS1_3repE0EEENS1_30default_config_static_selectorELNS0_4arch9wavefront6targetE0EEEvSY_.uses_vcc, 0
	.set _ZN7rocprim17ROCPRIM_400000_NS6detail17trampoline_kernelINS0_13select_configILj256ELj13ELNS0_17block_load_methodE3ELS4_3ELS4_3ELNS0_20block_scan_algorithmE0ELj4294967295EEENS1_25partition_config_selectorILNS1_17partition_subalgoE3EjNS0_10empty_typeEbEEZZNS1_14partition_implILS8_3ELb0ES6_jNS0_17counting_iteratorIjlEEPS9_SE_NS0_5tupleIJPjSE_EEENSF_IJSE_SE_EEES9_SG_JZNS1_25segmented_radix_sort_implINS0_14default_configELb0EPKhPhPKlPlN2at6native12_GLOBAL__N_18offset_tEEE10hipError_tPvRmT1_PNSt15iterator_traitsISY_E10value_typeET2_T3_PNSZ_IS14_E10value_typeET4_jRbjT5_S1A_jjP12ihipStream_tbEUljE_EEESV_SW_SX_S14_S18_S1A_T6_T7_T9_mT8_S1C_bDpT10_ENKUlT_T0_E_clISt17integral_constantIbLb1EES1O_IbLb0EEEEDaS1K_S1L_EUlS1K_E_NS1_11comp_targetILNS1_3genE2ELNS1_11target_archE906ELNS1_3gpuE6ELNS1_3repE0EEENS1_30default_config_static_selectorELNS0_4arch9wavefront6targetE0EEEvSY_.uses_flat_scratch, 0
	.set _ZN7rocprim17ROCPRIM_400000_NS6detail17trampoline_kernelINS0_13select_configILj256ELj13ELNS0_17block_load_methodE3ELS4_3ELS4_3ELNS0_20block_scan_algorithmE0ELj4294967295EEENS1_25partition_config_selectorILNS1_17partition_subalgoE3EjNS0_10empty_typeEbEEZZNS1_14partition_implILS8_3ELb0ES6_jNS0_17counting_iteratorIjlEEPS9_SE_NS0_5tupleIJPjSE_EEENSF_IJSE_SE_EEES9_SG_JZNS1_25segmented_radix_sort_implINS0_14default_configELb0EPKhPhPKlPlN2at6native12_GLOBAL__N_18offset_tEEE10hipError_tPvRmT1_PNSt15iterator_traitsISY_E10value_typeET2_T3_PNSZ_IS14_E10value_typeET4_jRbjT5_S1A_jjP12ihipStream_tbEUljE_EEESV_SW_SX_S14_S18_S1A_T6_T7_T9_mT8_S1C_bDpT10_ENKUlT_T0_E_clISt17integral_constantIbLb1EES1O_IbLb0EEEEDaS1K_S1L_EUlS1K_E_NS1_11comp_targetILNS1_3genE2ELNS1_11target_archE906ELNS1_3gpuE6ELNS1_3repE0EEENS1_30default_config_static_selectorELNS0_4arch9wavefront6targetE0EEEvSY_.has_dyn_sized_stack, 0
	.set _ZN7rocprim17ROCPRIM_400000_NS6detail17trampoline_kernelINS0_13select_configILj256ELj13ELNS0_17block_load_methodE3ELS4_3ELS4_3ELNS0_20block_scan_algorithmE0ELj4294967295EEENS1_25partition_config_selectorILNS1_17partition_subalgoE3EjNS0_10empty_typeEbEEZZNS1_14partition_implILS8_3ELb0ES6_jNS0_17counting_iteratorIjlEEPS9_SE_NS0_5tupleIJPjSE_EEENSF_IJSE_SE_EEES9_SG_JZNS1_25segmented_radix_sort_implINS0_14default_configELb0EPKhPhPKlPlN2at6native12_GLOBAL__N_18offset_tEEE10hipError_tPvRmT1_PNSt15iterator_traitsISY_E10value_typeET2_T3_PNSZ_IS14_E10value_typeET4_jRbjT5_S1A_jjP12ihipStream_tbEUljE_EEESV_SW_SX_S14_S18_S1A_T6_T7_T9_mT8_S1C_bDpT10_ENKUlT_T0_E_clISt17integral_constantIbLb1EES1O_IbLb0EEEEDaS1K_S1L_EUlS1K_E_NS1_11comp_targetILNS1_3genE2ELNS1_11target_archE906ELNS1_3gpuE6ELNS1_3repE0EEENS1_30default_config_static_selectorELNS0_4arch9wavefront6targetE0EEEvSY_.has_recursion, 0
	.set _ZN7rocprim17ROCPRIM_400000_NS6detail17trampoline_kernelINS0_13select_configILj256ELj13ELNS0_17block_load_methodE3ELS4_3ELS4_3ELNS0_20block_scan_algorithmE0ELj4294967295EEENS1_25partition_config_selectorILNS1_17partition_subalgoE3EjNS0_10empty_typeEbEEZZNS1_14partition_implILS8_3ELb0ES6_jNS0_17counting_iteratorIjlEEPS9_SE_NS0_5tupleIJPjSE_EEENSF_IJSE_SE_EEES9_SG_JZNS1_25segmented_radix_sort_implINS0_14default_configELb0EPKhPhPKlPlN2at6native12_GLOBAL__N_18offset_tEEE10hipError_tPvRmT1_PNSt15iterator_traitsISY_E10value_typeET2_T3_PNSZ_IS14_E10value_typeET4_jRbjT5_S1A_jjP12ihipStream_tbEUljE_EEESV_SW_SX_S14_S18_S1A_T6_T7_T9_mT8_S1C_bDpT10_ENKUlT_T0_E_clISt17integral_constantIbLb1EES1O_IbLb0EEEEDaS1K_S1L_EUlS1K_E_NS1_11comp_targetILNS1_3genE2ELNS1_11target_archE906ELNS1_3gpuE6ELNS1_3repE0EEENS1_30default_config_static_selectorELNS0_4arch9wavefront6targetE0EEEvSY_.has_indirect_call, 0
	.section	.AMDGPU.csdata,"",@progbits
; Kernel info:
; codeLenInByte = 0
; TotalNumSgprs: 0
; NumVgprs: 0
; ScratchSize: 0
; MemoryBound: 0
; FloatMode: 240
; IeeeMode: 1
; LDSByteSize: 0 bytes/workgroup (compile time only)
; SGPRBlocks: 0
; VGPRBlocks: 0
; NumSGPRsForWavesPerEU: 1
; NumVGPRsForWavesPerEU: 1
; NamedBarCnt: 0
; Occupancy: 16
; WaveLimiterHint : 0
; COMPUTE_PGM_RSRC2:SCRATCH_EN: 0
; COMPUTE_PGM_RSRC2:USER_SGPR: 2
; COMPUTE_PGM_RSRC2:TRAP_HANDLER: 0
; COMPUTE_PGM_RSRC2:TGID_X_EN: 1
; COMPUTE_PGM_RSRC2:TGID_Y_EN: 0
; COMPUTE_PGM_RSRC2:TGID_Z_EN: 0
; COMPUTE_PGM_RSRC2:TIDIG_COMP_CNT: 0
	.section	.text._ZN7rocprim17ROCPRIM_400000_NS6detail17trampoline_kernelINS0_13select_configILj256ELj13ELNS0_17block_load_methodE3ELS4_3ELS4_3ELNS0_20block_scan_algorithmE0ELj4294967295EEENS1_25partition_config_selectorILNS1_17partition_subalgoE3EjNS0_10empty_typeEbEEZZNS1_14partition_implILS8_3ELb0ES6_jNS0_17counting_iteratorIjlEEPS9_SE_NS0_5tupleIJPjSE_EEENSF_IJSE_SE_EEES9_SG_JZNS1_25segmented_radix_sort_implINS0_14default_configELb0EPKhPhPKlPlN2at6native12_GLOBAL__N_18offset_tEEE10hipError_tPvRmT1_PNSt15iterator_traitsISY_E10value_typeET2_T3_PNSZ_IS14_E10value_typeET4_jRbjT5_S1A_jjP12ihipStream_tbEUljE_EEESV_SW_SX_S14_S18_S1A_T6_T7_T9_mT8_S1C_bDpT10_ENKUlT_T0_E_clISt17integral_constantIbLb1EES1O_IbLb0EEEEDaS1K_S1L_EUlS1K_E_NS1_11comp_targetILNS1_3genE10ELNS1_11target_archE1200ELNS1_3gpuE4ELNS1_3repE0EEENS1_30default_config_static_selectorELNS0_4arch9wavefront6targetE0EEEvSY_,"axG",@progbits,_ZN7rocprim17ROCPRIM_400000_NS6detail17trampoline_kernelINS0_13select_configILj256ELj13ELNS0_17block_load_methodE3ELS4_3ELS4_3ELNS0_20block_scan_algorithmE0ELj4294967295EEENS1_25partition_config_selectorILNS1_17partition_subalgoE3EjNS0_10empty_typeEbEEZZNS1_14partition_implILS8_3ELb0ES6_jNS0_17counting_iteratorIjlEEPS9_SE_NS0_5tupleIJPjSE_EEENSF_IJSE_SE_EEES9_SG_JZNS1_25segmented_radix_sort_implINS0_14default_configELb0EPKhPhPKlPlN2at6native12_GLOBAL__N_18offset_tEEE10hipError_tPvRmT1_PNSt15iterator_traitsISY_E10value_typeET2_T3_PNSZ_IS14_E10value_typeET4_jRbjT5_S1A_jjP12ihipStream_tbEUljE_EEESV_SW_SX_S14_S18_S1A_T6_T7_T9_mT8_S1C_bDpT10_ENKUlT_T0_E_clISt17integral_constantIbLb1EES1O_IbLb0EEEEDaS1K_S1L_EUlS1K_E_NS1_11comp_targetILNS1_3genE10ELNS1_11target_archE1200ELNS1_3gpuE4ELNS1_3repE0EEENS1_30default_config_static_selectorELNS0_4arch9wavefront6targetE0EEEvSY_,comdat
	.globl	_ZN7rocprim17ROCPRIM_400000_NS6detail17trampoline_kernelINS0_13select_configILj256ELj13ELNS0_17block_load_methodE3ELS4_3ELS4_3ELNS0_20block_scan_algorithmE0ELj4294967295EEENS1_25partition_config_selectorILNS1_17partition_subalgoE3EjNS0_10empty_typeEbEEZZNS1_14partition_implILS8_3ELb0ES6_jNS0_17counting_iteratorIjlEEPS9_SE_NS0_5tupleIJPjSE_EEENSF_IJSE_SE_EEES9_SG_JZNS1_25segmented_radix_sort_implINS0_14default_configELb0EPKhPhPKlPlN2at6native12_GLOBAL__N_18offset_tEEE10hipError_tPvRmT1_PNSt15iterator_traitsISY_E10value_typeET2_T3_PNSZ_IS14_E10value_typeET4_jRbjT5_S1A_jjP12ihipStream_tbEUljE_EEESV_SW_SX_S14_S18_S1A_T6_T7_T9_mT8_S1C_bDpT10_ENKUlT_T0_E_clISt17integral_constantIbLb1EES1O_IbLb0EEEEDaS1K_S1L_EUlS1K_E_NS1_11comp_targetILNS1_3genE10ELNS1_11target_archE1200ELNS1_3gpuE4ELNS1_3repE0EEENS1_30default_config_static_selectorELNS0_4arch9wavefront6targetE0EEEvSY_ ; -- Begin function _ZN7rocprim17ROCPRIM_400000_NS6detail17trampoline_kernelINS0_13select_configILj256ELj13ELNS0_17block_load_methodE3ELS4_3ELS4_3ELNS0_20block_scan_algorithmE0ELj4294967295EEENS1_25partition_config_selectorILNS1_17partition_subalgoE3EjNS0_10empty_typeEbEEZZNS1_14partition_implILS8_3ELb0ES6_jNS0_17counting_iteratorIjlEEPS9_SE_NS0_5tupleIJPjSE_EEENSF_IJSE_SE_EEES9_SG_JZNS1_25segmented_radix_sort_implINS0_14default_configELb0EPKhPhPKlPlN2at6native12_GLOBAL__N_18offset_tEEE10hipError_tPvRmT1_PNSt15iterator_traitsISY_E10value_typeET2_T3_PNSZ_IS14_E10value_typeET4_jRbjT5_S1A_jjP12ihipStream_tbEUljE_EEESV_SW_SX_S14_S18_S1A_T6_T7_T9_mT8_S1C_bDpT10_ENKUlT_T0_E_clISt17integral_constantIbLb1EES1O_IbLb0EEEEDaS1K_S1L_EUlS1K_E_NS1_11comp_targetILNS1_3genE10ELNS1_11target_archE1200ELNS1_3gpuE4ELNS1_3repE0EEENS1_30default_config_static_selectorELNS0_4arch9wavefront6targetE0EEEvSY_
	.p2align	8
	.type	_ZN7rocprim17ROCPRIM_400000_NS6detail17trampoline_kernelINS0_13select_configILj256ELj13ELNS0_17block_load_methodE3ELS4_3ELS4_3ELNS0_20block_scan_algorithmE0ELj4294967295EEENS1_25partition_config_selectorILNS1_17partition_subalgoE3EjNS0_10empty_typeEbEEZZNS1_14partition_implILS8_3ELb0ES6_jNS0_17counting_iteratorIjlEEPS9_SE_NS0_5tupleIJPjSE_EEENSF_IJSE_SE_EEES9_SG_JZNS1_25segmented_radix_sort_implINS0_14default_configELb0EPKhPhPKlPlN2at6native12_GLOBAL__N_18offset_tEEE10hipError_tPvRmT1_PNSt15iterator_traitsISY_E10value_typeET2_T3_PNSZ_IS14_E10value_typeET4_jRbjT5_S1A_jjP12ihipStream_tbEUljE_EEESV_SW_SX_S14_S18_S1A_T6_T7_T9_mT8_S1C_bDpT10_ENKUlT_T0_E_clISt17integral_constantIbLb1EES1O_IbLb0EEEEDaS1K_S1L_EUlS1K_E_NS1_11comp_targetILNS1_3genE10ELNS1_11target_archE1200ELNS1_3gpuE4ELNS1_3repE0EEENS1_30default_config_static_selectorELNS0_4arch9wavefront6targetE0EEEvSY_,@function
_ZN7rocprim17ROCPRIM_400000_NS6detail17trampoline_kernelINS0_13select_configILj256ELj13ELNS0_17block_load_methodE3ELS4_3ELS4_3ELNS0_20block_scan_algorithmE0ELj4294967295EEENS1_25partition_config_selectorILNS1_17partition_subalgoE3EjNS0_10empty_typeEbEEZZNS1_14partition_implILS8_3ELb0ES6_jNS0_17counting_iteratorIjlEEPS9_SE_NS0_5tupleIJPjSE_EEENSF_IJSE_SE_EEES9_SG_JZNS1_25segmented_radix_sort_implINS0_14default_configELb0EPKhPhPKlPlN2at6native12_GLOBAL__N_18offset_tEEE10hipError_tPvRmT1_PNSt15iterator_traitsISY_E10value_typeET2_T3_PNSZ_IS14_E10value_typeET4_jRbjT5_S1A_jjP12ihipStream_tbEUljE_EEESV_SW_SX_S14_S18_S1A_T6_T7_T9_mT8_S1C_bDpT10_ENKUlT_T0_E_clISt17integral_constantIbLb1EES1O_IbLb0EEEEDaS1K_S1L_EUlS1K_E_NS1_11comp_targetILNS1_3genE10ELNS1_11target_archE1200ELNS1_3gpuE4ELNS1_3repE0EEENS1_30default_config_static_selectorELNS0_4arch9wavefront6targetE0EEEvSY_: ; @_ZN7rocprim17ROCPRIM_400000_NS6detail17trampoline_kernelINS0_13select_configILj256ELj13ELNS0_17block_load_methodE3ELS4_3ELS4_3ELNS0_20block_scan_algorithmE0ELj4294967295EEENS1_25partition_config_selectorILNS1_17partition_subalgoE3EjNS0_10empty_typeEbEEZZNS1_14partition_implILS8_3ELb0ES6_jNS0_17counting_iteratorIjlEEPS9_SE_NS0_5tupleIJPjSE_EEENSF_IJSE_SE_EEES9_SG_JZNS1_25segmented_radix_sort_implINS0_14default_configELb0EPKhPhPKlPlN2at6native12_GLOBAL__N_18offset_tEEE10hipError_tPvRmT1_PNSt15iterator_traitsISY_E10value_typeET2_T3_PNSZ_IS14_E10value_typeET4_jRbjT5_S1A_jjP12ihipStream_tbEUljE_EEESV_SW_SX_S14_S18_S1A_T6_T7_T9_mT8_S1C_bDpT10_ENKUlT_T0_E_clISt17integral_constantIbLb1EES1O_IbLb0EEEEDaS1K_S1L_EUlS1K_E_NS1_11comp_targetILNS1_3genE10ELNS1_11target_archE1200ELNS1_3gpuE4ELNS1_3repE0EEENS1_30default_config_static_selectorELNS0_4arch9wavefront6targetE0EEEvSY_
; %bb.0:
	.section	.rodata,"a",@progbits
	.p2align	6, 0x0
	.amdhsa_kernel _ZN7rocprim17ROCPRIM_400000_NS6detail17trampoline_kernelINS0_13select_configILj256ELj13ELNS0_17block_load_methodE3ELS4_3ELS4_3ELNS0_20block_scan_algorithmE0ELj4294967295EEENS1_25partition_config_selectorILNS1_17partition_subalgoE3EjNS0_10empty_typeEbEEZZNS1_14partition_implILS8_3ELb0ES6_jNS0_17counting_iteratorIjlEEPS9_SE_NS0_5tupleIJPjSE_EEENSF_IJSE_SE_EEES9_SG_JZNS1_25segmented_radix_sort_implINS0_14default_configELb0EPKhPhPKlPlN2at6native12_GLOBAL__N_18offset_tEEE10hipError_tPvRmT1_PNSt15iterator_traitsISY_E10value_typeET2_T3_PNSZ_IS14_E10value_typeET4_jRbjT5_S1A_jjP12ihipStream_tbEUljE_EEESV_SW_SX_S14_S18_S1A_T6_T7_T9_mT8_S1C_bDpT10_ENKUlT_T0_E_clISt17integral_constantIbLb1EES1O_IbLb0EEEEDaS1K_S1L_EUlS1K_E_NS1_11comp_targetILNS1_3genE10ELNS1_11target_archE1200ELNS1_3gpuE4ELNS1_3repE0EEENS1_30default_config_static_selectorELNS0_4arch9wavefront6targetE0EEEvSY_
		.amdhsa_group_segment_fixed_size 0
		.amdhsa_private_segment_fixed_size 0
		.amdhsa_kernarg_size 144
		.amdhsa_user_sgpr_count 2
		.amdhsa_user_sgpr_dispatch_ptr 0
		.amdhsa_user_sgpr_queue_ptr 0
		.amdhsa_user_sgpr_kernarg_segment_ptr 1
		.amdhsa_user_sgpr_dispatch_id 0
		.amdhsa_user_sgpr_kernarg_preload_length 0
		.amdhsa_user_sgpr_kernarg_preload_offset 0
		.amdhsa_user_sgpr_private_segment_size 0
		.amdhsa_wavefront_size32 1
		.amdhsa_uses_dynamic_stack 0
		.amdhsa_enable_private_segment 0
		.amdhsa_system_sgpr_workgroup_id_x 1
		.amdhsa_system_sgpr_workgroup_id_y 0
		.amdhsa_system_sgpr_workgroup_id_z 0
		.amdhsa_system_sgpr_workgroup_info 0
		.amdhsa_system_vgpr_workitem_id 0
		.amdhsa_next_free_vgpr 1
		.amdhsa_next_free_sgpr 1
		.amdhsa_named_barrier_count 0
		.amdhsa_reserve_vcc 0
		.amdhsa_float_round_mode_32 0
		.amdhsa_float_round_mode_16_64 0
		.amdhsa_float_denorm_mode_32 3
		.amdhsa_float_denorm_mode_16_64 3
		.amdhsa_fp16_overflow 0
		.amdhsa_memory_ordered 1
		.amdhsa_forward_progress 1
		.amdhsa_inst_pref_size 0
		.amdhsa_round_robin_scheduling 0
		.amdhsa_exception_fp_ieee_invalid_op 0
		.amdhsa_exception_fp_denorm_src 0
		.amdhsa_exception_fp_ieee_div_zero 0
		.amdhsa_exception_fp_ieee_overflow 0
		.amdhsa_exception_fp_ieee_underflow 0
		.amdhsa_exception_fp_ieee_inexact 0
		.amdhsa_exception_int_div_zero 0
	.end_amdhsa_kernel
	.section	.text._ZN7rocprim17ROCPRIM_400000_NS6detail17trampoline_kernelINS0_13select_configILj256ELj13ELNS0_17block_load_methodE3ELS4_3ELS4_3ELNS0_20block_scan_algorithmE0ELj4294967295EEENS1_25partition_config_selectorILNS1_17partition_subalgoE3EjNS0_10empty_typeEbEEZZNS1_14partition_implILS8_3ELb0ES6_jNS0_17counting_iteratorIjlEEPS9_SE_NS0_5tupleIJPjSE_EEENSF_IJSE_SE_EEES9_SG_JZNS1_25segmented_radix_sort_implINS0_14default_configELb0EPKhPhPKlPlN2at6native12_GLOBAL__N_18offset_tEEE10hipError_tPvRmT1_PNSt15iterator_traitsISY_E10value_typeET2_T3_PNSZ_IS14_E10value_typeET4_jRbjT5_S1A_jjP12ihipStream_tbEUljE_EEESV_SW_SX_S14_S18_S1A_T6_T7_T9_mT8_S1C_bDpT10_ENKUlT_T0_E_clISt17integral_constantIbLb1EES1O_IbLb0EEEEDaS1K_S1L_EUlS1K_E_NS1_11comp_targetILNS1_3genE10ELNS1_11target_archE1200ELNS1_3gpuE4ELNS1_3repE0EEENS1_30default_config_static_selectorELNS0_4arch9wavefront6targetE0EEEvSY_,"axG",@progbits,_ZN7rocprim17ROCPRIM_400000_NS6detail17trampoline_kernelINS0_13select_configILj256ELj13ELNS0_17block_load_methodE3ELS4_3ELS4_3ELNS0_20block_scan_algorithmE0ELj4294967295EEENS1_25partition_config_selectorILNS1_17partition_subalgoE3EjNS0_10empty_typeEbEEZZNS1_14partition_implILS8_3ELb0ES6_jNS0_17counting_iteratorIjlEEPS9_SE_NS0_5tupleIJPjSE_EEENSF_IJSE_SE_EEES9_SG_JZNS1_25segmented_radix_sort_implINS0_14default_configELb0EPKhPhPKlPlN2at6native12_GLOBAL__N_18offset_tEEE10hipError_tPvRmT1_PNSt15iterator_traitsISY_E10value_typeET2_T3_PNSZ_IS14_E10value_typeET4_jRbjT5_S1A_jjP12ihipStream_tbEUljE_EEESV_SW_SX_S14_S18_S1A_T6_T7_T9_mT8_S1C_bDpT10_ENKUlT_T0_E_clISt17integral_constantIbLb1EES1O_IbLb0EEEEDaS1K_S1L_EUlS1K_E_NS1_11comp_targetILNS1_3genE10ELNS1_11target_archE1200ELNS1_3gpuE4ELNS1_3repE0EEENS1_30default_config_static_selectorELNS0_4arch9wavefront6targetE0EEEvSY_,comdat
.Lfunc_end174:
	.size	_ZN7rocprim17ROCPRIM_400000_NS6detail17trampoline_kernelINS0_13select_configILj256ELj13ELNS0_17block_load_methodE3ELS4_3ELS4_3ELNS0_20block_scan_algorithmE0ELj4294967295EEENS1_25partition_config_selectorILNS1_17partition_subalgoE3EjNS0_10empty_typeEbEEZZNS1_14partition_implILS8_3ELb0ES6_jNS0_17counting_iteratorIjlEEPS9_SE_NS0_5tupleIJPjSE_EEENSF_IJSE_SE_EEES9_SG_JZNS1_25segmented_radix_sort_implINS0_14default_configELb0EPKhPhPKlPlN2at6native12_GLOBAL__N_18offset_tEEE10hipError_tPvRmT1_PNSt15iterator_traitsISY_E10value_typeET2_T3_PNSZ_IS14_E10value_typeET4_jRbjT5_S1A_jjP12ihipStream_tbEUljE_EEESV_SW_SX_S14_S18_S1A_T6_T7_T9_mT8_S1C_bDpT10_ENKUlT_T0_E_clISt17integral_constantIbLb1EES1O_IbLb0EEEEDaS1K_S1L_EUlS1K_E_NS1_11comp_targetILNS1_3genE10ELNS1_11target_archE1200ELNS1_3gpuE4ELNS1_3repE0EEENS1_30default_config_static_selectorELNS0_4arch9wavefront6targetE0EEEvSY_, .Lfunc_end174-_ZN7rocprim17ROCPRIM_400000_NS6detail17trampoline_kernelINS0_13select_configILj256ELj13ELNS0_17block_load_methodE3ELS4_3ELS4_3ELNS0_20block_scan_algorithmE0ELj4294967295EEENS1_25partition_config_selectorILNS1_17partition_subalgoE3EjNS0_10empty_typeEbEEZZNS1_14partition_implILS8_3ELb0ES6_jNS0_17counting_iteratorIjlEEPS9_SE_NS0_5tupleIJPjSE_EEENSF_IJSE_SE_EEES9_SG_JZNS1_25segmented_radix_sort_implINS0_14default_configELb0EPKhPhPKlPlN2at6native12_GLOBAL__N_18offset_tEEE10hipError_tPvRmT1_PNSt15iterator_traitsISY_E10value_typeET2_T3_PNSZ_IS14_E10value_typeET4_jRbjT5_S1A_jjP12ihipStream_tbEUljE_EEESV_SW_SX_S14_S18_S1A_T6_T7_T9_mT8_S1C_bDpT10_ENKUlT_T0_E_clISt17integral_constantIbLb1EES1O_IbLb0EEEEDaS1K_S1L_EUlS1K_E_NS1_11comp_targetILNS1_3genE10ELNS1_11target_archE1200ELNS1_3gpuE4ELNS1_3repE0EEENS1_30default_config_static_selectorELNS0_4arch9wavefront6targetE0EEEvSY_
                                        ; -- End function
	.set _ZN7rocprim17ROCPRIM_400000_NS6detail17trampoline_kernelINS0_13select_configILj256ELj13ELNS0_17block_load_methodE3ELS4_3ELS4_3ELNS0_20block_scan_algorithmE0ELj4294967295EEENS1_25partition_config_selectorILNS1_17partition_subalgoE3EjNS0_10empty_typeEbEEZZNS1_14partition_implILS8_3ELb0ES6_jNS0_17counting_iteratorIjlEEPS9_SE_NS0_5tupleIJPjSE_EEENSF_IJSE_SE_EEES9_SG_JZNS1_25segmented_radix_sort_implINS0_14default_configELb0EPKhPhPKlPlN2at6native12_GLOBAL__N_18offset_tEEE10hipError_tPvRmT1_PNSt15iterator_traitsISY_E10value_typeET2_T3_PNSZ_IS14_E10value_typeET4_jRbjT5_S1A_jjP12ihipStream_tbEUljE_EEESV_SW_SX_S14_S18_S1A_T6_T7_T9_mT8_S1C_bDpT10_ENKUlT_T0_E_clISt17integral_constantIbLb1EES1O_IbLb0EEEEDaS1K_S1L_EUlS1K_E_NS1_11comp_targetILNS1_3genE10ELNS1_11target_archE1200ELNS1_3gpuE4ELNS1_3repE0EEENS1_30default_config_static_selectorELNS0_4arch9wavefront6targetE0EEEvSY_.num_vgpr, 0
	.set _ZN7rocprim17ROCPRIM_400000_NS6detail17trampoline_kernelINS0_13select_configILj256ELj13ELNS0_17block_load_methodE3ELS4_3ELS4_3ELNS0_20block_scan_algorithmE0ELj4294967295EEENS1_25partition_config_selectorILNS1_17partition_subalgoE3EjNS0_10empty_typeEbEEZZNS1_14partition_implILS8_3ELb0ES6_jNS0_17counting_iteratorIjlEEPS9_SE_NS0_5tupleIJPjSE_EEENSF_IJSE_SE_EEES9_SG_JZNS1_25segmented_radix_sort_implINS0_14default_configELb0EPKhPhPKlPlN2at6native12_GLOBAL__N_18offset_tEEE10hipError_tPvRmT1_PNSt15iterator_traitsISY_E10value_typeET2_T3_PNSZ_IS14_E10value_typeET4_jRbjT5_S1A_jjP12ihipStream_tbEUljE_EEESV_SW_SX_S14_S18_S1A_T6_T7_T9_mT8_S1C_bDpT10_ENKUlT_T0_E_clISt17integral_constantIbLb1EES1O_IbLb0EEEEDaS1K_S1L_EUlS1K_E_NS1_11comp_targetILNS1_3genE10ELNS1_11target_archE1200ELNS1_3gpuE4ELNS1_3repE0EEENS1_30default_config_static_selectorELNS0_4arch9wavefront6targetE0EEEvSY_.num_agpr, 0
	.set _ZN7rocprim17ROCPRIM_400000_NS6detail17trampoline_kernelINS0_13select_configILj256ELj13ELNS0_17block_load_methodE3ELS4_3ELS4_3ELNS0_20block_scan_algorithmE0ELj4294967295EEENS1_25partition_config_selectorILNS1_17partition_subalgoE3EjNS0_10empty_typeEbEEZZNS1_14partition_implILS8_3ELb0ES6_jNS0_17counting_iteratorIjlEEPS9_SE_NS0_5tupleIJPjSE_EEENSF_IJSE_SE_EEES9_SG_JZNS1_25segmented_radix_sort_implINS0_14default_configELb0EPKhPhPKlPlN2at6native12_GLOBAL__N_18offset_tEEE10hipError_tPvRmT1_PNSt15iterator_traitsISY_E10value_typeET2_T3_PNSZ_IS14_E10value_typeET4_jRbjT5_S1A_jjP12ihipStream_tbEUljE_EEESV_SW_SX_S14_S18_S1A_T6_T7_T9_mT8_S1C_bDpT10_ENKUlT_T0_E_clISt17integral_constantIbLb1EES1O_IbLb0EEEEDaS1K_S1L_EUlS1K_E_NS1_11comp_targetILNS1_3genE10ELNS1_11target_archE1200ELNS1_3gpuE4ELNS1_3repE0EEENS1_30default_config_static_selectorELNS0_4arch9wavefront6targetE0EEEvSY_.numbered_sgpr, 0
	.set _ZN7rocprim17ROCPRIM_400000_NS6detail17trampoline_kernelINS0_13select_configILj256ELj13ELNS0_17block_load_methodE3ELS4_3ELS4_3ELNS0_20block_scan_algorithmE0ELj4294967295EEENS1_25partition_config_selectorILNS1_17partition_subalgoE3EjNS0_10empty_typeEbEEZZNS1_14partition_implILS8_3ELb0ES6_jNS0_17counting_iteratorIjlEEPS9_SE_NS0_5tupleIJPjSE_EEENSF_IJSE_SE_EEES9_SG_JZNS1_25segmented_radix_sort_implINS0_14default_configELb0EPKhPhPKlPlN2at6native12_GLOBAL__N_18offset_tEEE10hipError_tPvRmT1_PNSt15iterator_traitsISY_E10value_typeET2_T3_PNSZ_IS14_E10value_typeET4_jRbjT5_S1A_jjP12ihipStream_tbEUljE_EEESV_SW_SX_S14_S18_S1A_T6_T7_T9_mT8_S1C_bDpT10_ENKUlT_T0_E_clISt17integral_constantIbLb1EES1O_IbLb0EEEEDaS1K_S1L_EUlS1K_E_NS1_11comp_targetILNS1_3genE10ELNS1_11target_archE1200ELNS1_3gpuE4ELNS1_3repE0EEENS1_30default_config_static_selectorELNS0_4arch9wavefront6targetE0EEEvSY_.num_named_barrier, 0
	.set _ZN7rocprim17ROCPRIM_400000_NS6detail17trampoline_kernelINS0_13select_configILj256ELj13ELNS0_17block_load_methodE3ELS4_3ELS4_3ELNS0_20block_scan_algorithmE0ELj4294967295EEENS1_25partition_config_selectorILNS1_17partition_subalgoE3EjNS0_10empty_typeEbEEZZNS1_14partition_implILS8_3ELb0ES6_jNS0_17counting_iteratorIjlEEPS9_SE_NS0_5tupleIJPjSE_EEENSF_IJSE_SE_EEES9_SG_JZNS1_25segmented_radix_sort_implINS0_14default_configELb0EPKhPhPKlPlN2at6native12_GLOBAL__N_18offset_tEEE10hipError_tPvRmT1_PNSt15iterator_traitsISY_E10value_typeET2_T3_PNSZ_IS14_E10value_typeET4_jRbjT5_S1A_jjP12ihipStream_tbEUljE_EEESV_SW_SX_S14_S18_S1A_T6_T7_T9_mT8_S1C_bDpT10_ENKUlT_T0_E_clISt17integral_constantIbLb1EES1O_IbLb0EEEEDaS1K_S1L_EUlS1K_E_NS1_11comp_targetILNS1_3genE10ELNS1_11target_archE1200ELNS1_3gpuE4ELNS1_3repE0EEENS1_30default_config_static_selectorELNS0_4arch9wavefront6targetE0EEEvSY_.private_seg_size, 0
	.set _ZN7rocprim17ROCPRIM_400000_NS6detail17trampoline_kernelINS0_13select_configILj256ELj13ELNS0_17block_load_methodE3ELS4_3ELS4_3ELNS0_20block_scan_algorithmE0ELj4294967295EEENS1_25partition_config_selectorILNS1_17partition_subalgoE3EjNS0_10empty_typeEbEEZZNS1_14partition_implILS8_3ELb0ES6_jNS0_17counting_iteratorIjlEEPS9_SE_NS0_5tupleIJPjSE_EEENSF_IJSE_SE_EEES9_SG_JZNS1_25segmented_radix_sort_implINS0_14default_configELb0EPKhPhPKlPlN2at6native12_GLOBAL__N_18offset_tEEE10hipError_tPvRmT1_PNSt15iterator_traitsISY_E10value_typeET2_T3_PNSZ_IS14_E10value_typeET4_jRbjT5_S1A_jjP12ihipStream_tbEUljE_EEESV_SW_SX_S14_S18_S1A_T6_T7_T9_mT8_S1C_bDpT10_ENKUlT_T0_E_clISt17integral_constantIbLb1EES1O_IbLb0EEEEDaS1K_S1L_EUlS1K_E_NS1_11comp_targetILNS1_3genE10ELNS1_11target_archE1200ELNS1_3gpuE4ELNS1_3repE0EEENS1_30default_config_static_selectorELNS0_4arch9wavefront6targetE0EEEvSY_.uses_vcc, 0
	.set _ZN7rocprim17ROCPRIM_400000_NS6detail17trampoline_kernelINS0_13select_configILj256ELj13ELNS0_17block_load_methodE3ELS4_3ELS4_3ELNS0_20block_scan_algorithmE0ELj4294967295EEENS1_25partition_config_selectorILNS1_17partition_subalgoE3EjNS0_10empty_typeEbEEZZNS1_14partition_implILS8_3ELb0ES6_jNS0_17counting_iteratorIjlEEPS9_SE_NS0_5tupleIJPjSE_EEENSF_IJSE_SE_EEES9_SG_JZNS1_25segmented_radix_sort_implINS0_14default_configELb0EPKhPhPKlPlN2at6native12_GLOBAL__N_18offset_tEEE10hipError_tPvRmT1_PNSt15iterator_traitsISY_E10value_typeET2_T3_PNSZ_IS14_E10value_typeET4_jRbjT5_S1A_jjP12ihipStream_tbEUljE_EEESV_SW_SX_S14_S18_S1A_T6_T7_T9_mT8_S1C_bDpT10_ENKUlT_T0_E_clISt17integral_constantIbLb1EES1O_IbLb0EEEEDaS1K_S1L_EUlS1K_E_NS1_11comp_targetILNS1_3genE10ELNS1_11target_archE1200ELNS1_3gpuE4ELNS1_3repE0EEENS1_30default_config_static_selectorELNS0_4arch9wavefront6targetE0EEEvSY_.uses_flat_scratch, 0
	.set _ZN7rocprim17ROCPRIM_400000_NS6detail17trampoline_kernelINS0_13select_configILj256ELj13ELNS0_17block_load_methodE3ELS4_3ELS4_3ELNS0_20block_scan_algorithmE0ELj4294967295EEENS1_25partition_config_selectorILNS1_17partition_subalgoE3EjNS0_10empty_typeEbEEZZNS1_14partition_implILS8_3ELb0ES6_jNS0_17counting_iteratorIjlEEPS9_SE_NS0_5tupleIJPjSE_EEENSF_IJSE_SE_EEES9_SG_JZNS1_25segmented_radix_sort_implINS0_14default_configELb0EPKhPhPKlPlN2at6native12_GLOBAL__N_18offset_tEEE10hipError_tPvRmT1_PNSt15iterator_traitsISY_E10value_typeET2_T3_PNSZ_IS14_E10value_typeET4_jRbjT5_S1A_jjP12ihipStream_tbEUljE_EEESV_SW_SX_S14_S18_S1A_T6_T7_T9_mT8_S1C_bDpT10_ENKUlT_T0_E_clISt17integral_constantIbLb1EES1O_IbLb0EEEEDaS1K_S1L_EUlS1K_E_NS1_11comp_targetILNS1_3genE10ELNS1_11target_archE1200ELNS1_3gpuE4ELNS1_3repE0EEENS1_30default_config_static_selectorELNS0_4arch9wavefront6targetE0EEEvSY_.has_dyn_sized_stack, 0
	.set _ZN7rocprim17ROCPRIM_400000_NS6detail17trampoline_kernelINS0_13select_configILj256ELj13ELNS0_17block_load_methodE3ELS4_3ELS4_3ELNS0_20block_scan_algorithmE0ELj4294967295EEENS1_25partition_config_selectorILNS1_17partition_subalgoE3EjNS0_10empty_typeEbEEZZNS1_14partition_implILS8_3ELb0ES6_jNS0_17counting_iteratorIjlEEPS9_SE_NS0_5tupleIJPjSE_EEENSF_IJSE_SE_EEES9_SG_JZNS1_25segmented_radix_sort_implINS0_14default_configELb0EPKhPhPKlPlN2at6native12_GLOBAL__N_18offset_tEEE10hipError_tPvRmT1_PNSt15iterator_traitsISY_E10value_typeET2_T3_PNSZ_IS14_E10value_typeET4_jRbjT5_S1A_jjP12ihipStream_tbEUljE_EEESV_SW_SX_S14_S18_S1A_T6_T7_T9_mT8_S1C_bDpT10_ENKUlT_T0_E_clISt17integral_constantIbLb1EES1O_IbLb0EEEEDaS1K_S1L_EUlS1K_E_NS1_11comp_targetILNS1_3genE10ELNS1_11target_archE1200ELNS1_3gpuE4ELNS1_3repE0EEENS1_30default_config_static_selectorELNS0_4arch9wavefront6targetE0EEEvSY_.has_recursion, 0
	.set _ZN7rocprim17ROCPRIM_400000_NS6detail17trampoline_kernelINS0_13select_configILj256ELj13ELNS0_17block_load_methodE3ELS4_3ELS4_3ELNS0_20block_scan_algorithmE0ELj4294967295EEENS1_25partition_config_selectorILNS1_17partition_subalgoE3EjNS0_10empty_typeEbEEZZNS1_14partition_implILS8_3ELb0ES6_jNS0_17counting_iteratorIjlEEPS9_SE_NS0_5tupleIJPjSE_EEENSF_IJSE_SE_EEES9_SG_JZNS1_25segmented_radix_sort_implINS0_14default_configELb0EPKhPhPKlPlN2at6native12_GLOBAL__N_18offset_tEEE10hipError_tPvRmT1_PNSt15iterator_traitsISY_E10value_typeET2_T3_PNSZ_IS14_E10value_typeET4_jRbjT5_S1A_jjP12ihipStream_tbEUljE_EEESV_SW_SX_S14_S18_S1A_T6_T7_T9_mT8_S1C_bDpT10_ENKUlT_T0_E_clISt17integral_constantIbLb1EES1O_IbLb0EEEEDaS1K_S1L_EUlS1K_E_NS1_11comp_targetILNS1_3genE10ELNS1_11target_archE1200ELNS1_3gpuE4ELNS1_3repE0EEENS1_30default_config_static_selectorELNS0_4arch9wavefront6targetE0EEEvSY_.has_indirect_call, 0
	.section	.AMDGPU.csdata,"",@progbits
; Kernel info:
; codeLenInByte = 0
; TotalNumSgprs: 0
; NumVgprs: 0
; ScratchSize: 0
; MemoryBound: 0
; FloatMode: 240
; IeeeMode: 1
; LDSByteSize: 0 bytes/workgroup (compile time only)
; SGPRBlocks: 0
; VGPRBlocks: 0
; NumSGPRsForWavesPerEU: 1
; NumVGPRsForWavesPerEU: 1
; NamedBarCnt: 0
; Occupancy: 16
; WaveLimiterHint : 0
; COMPUTE_PGM_RSRC2:SCRATCH_EN: 0
; COMPUTE_PGM_RSRC2:USER_SGPR: 2
; COMPUTE_PGM_RSRC2:TRAP_HANDLER: 0
; COMPUTE_PGM_RSRC2:TGID_X_EN: 1
; COMPUTE_PGM_RSRC2:TGID_Y_EN: 0
; COMPUTE_PGM_RSRC2:TGID_Z_EN: 0
; COMPUTE_PGM_RSRC2:TIDIG_COMP_CNT: 0
	.section	.text._ZN7rocprim17ROCPRIM_400000_NS6detail17trampoline_kernelINS0_13select_configILj256ELj13ELNS0_17block_load_methodE3ELS4_3ELS4_3ELNS0_20block_scan_algorithmE0ELj4294967295EEENS1_25partition_config_selectorILNS1_17partition_subalgoE3EjNS0_10empty_typeEbEEZZNS1_14partition_implILS8_3ELb0ES6_jNS0_17counting_iteratorIjlEEPS9_SE_NS0_5tupleIJPjSE_EEENSF_IJSE_SE_EEES9_SG_JZNS1_25segmented_radix_sort_implINS0_14default_configELb0EPKhPhPKlPlN2at6native12_GLOBAL__N_18offset_tEEE10hipError_tPvRmT1_PNSt15iterator_traitsISY_E10value_typeET2_T3_PNSZ_IS14_E10value_typeET4_jRbjT5_S1A_jjP12ihipStream_tbEUljE_EEESV_SW_SX_S14_S18_S1A_T6_T7_T9_mT8_S1C_bDpT10_ENKUlT_T0_E_clISt17integral_constantIbLb1EES1O_IbLb0EEEEDaS1K_S1L_EUlS1K_E_NS1_11comp_targetILNS1_3genE9ELNS1_11target_archE1100ELNS1_3gpuE3ELNS1_3repE0EEENS1_30default_config_static_selectorELNS0_4arch9wavefront6targetE0EEEvSY_,"axG",@progbits,_ZN7rocprim17ROCPRIM_400000_NS6detail17trampoline_kernelINS0_13select_configILj256ELj13ELNS0_17block_load_methodE3ELS4_3ELS4_3ELNS0_20block_scan_algorithmE0ELj4294967295EEENS1_25partition_config_selectorILNS1_17partition_subalgoE3EjNS0_10empty_typeEbEEZZNS1_14partition_implILS8_3ELb0ES6_jNS0_17counting_iteratorIjlEEPS9_SE_NS0_5tupleIJPjSE_EEENSF_IJSE_SE_EEES9_SG_JZNS1_25segmented_radix_sort_implINS0_14default_configELb0EPKhPhPKlPlN2at6native12_GLOBAL__N_18offset_tEEE10hipError_tPvRmT1_PNSt15iterator_traitsISY_E10value_typeET2_T3_PNSZ_IS14_E10value_typeET4_jRbjT5_S1A_jjP12ihipStream_tbEUljE_EEESV_SW_SX_S14_S18_S1A_T6_T7_T9_mT8_S1C_bDpT10_ENKUlT_T0_E_clISt17integral_constantIbLb1EES1O_IbLb0EEEEDaS1K_S1L_EUlS1K_E_NS1_11comp_targetILNS1_3genE9ELNS1_11target_archE1100ELNS1_3gpuE3ELNS1_3repE0EEENS1_30default_config_static_selectorELNS0_4arch9wavefront6targetE0EEEvSY_,comdat
	.globl	_ZN7rocprim17ROCPRIM_400000_NS6detail17trampoline_kernelINS0_13select_configILj256ELj13ELNS0_17block_load_methodE3ELS4_3ELS4_3ELNS0_20block_scan_algorithmE0ELj4294967295EEENS1_25partition_config_selectorILNS1_17partition_subalgoE3EjNS0_10empty_typeEbEEZZNS1_14partition_implILS8_3ELb0ES6_jNS0_17counting_iteratorIjlEEPS9_SE_NS0_5tupleIJPjSE_EEENSF_IJSE_SE_EEES9_SG_JZNS1_25segmented_radix_sort_implINS0_14default_configELb0EPKhPhPKlPlN2at6native12_GLOBAL__N_18offset_tEEE10hipError_tPvRmT1_PNSt15iterator_traitsISY_E10value_typeET2_T3_PNSZ_IS14_E10value_typeET4_jRbjT5_S1A_jjP12ihipStream_tbEUljE_EEESV_SW_SX_S14_S18_S1A_T6_T7_T9_mT8_S1C_bDpT10_ENKUlT_T0_E_clISt17integral_constantIbLb1EES1O_IbLb0EEEEDaS1K_S1L_EUlS1K_E_NS1_11comp_targetILNS1_3genE9ELNS1_11target_archE1100ELNS1_3gpuE3ELNS1_3repE0EEENS1_30default_config_static_selectorELNS0_4arch9wavefront6targetE0EEEvSY_ ; -- Begin function _ZN7rocprim17ROCPRIM_400000_NS6detail17trampoline_kernelINS0_13select_configILj256ELj13ELNS0_17block_load_methodE3ELS4_3ELS4_3ELNS0_20block_scan_algorithmE0ELj4294967295EEENS1_25partition_config_selectorILNS1_17partition_subalgoE3EjNS0_10empty_typeEbEEZZNS1_14partition_implILS8_3ELb0ES6_jNS0_17counting_iteratorIjlEEPS9_SE_NS0_5tupleIJPjSE_EEENSF_IJSE_SE_EEES9_SG_JZNS1_25segmented_radix_sort_implINS0_14default_configELb0EPKhPhPKlPlN2at6native12_GLOBAL__N_18offset_tEEE10hipError_tPvRmT1_PNSt15iterator_traitsISY_E10value_typeET2_T3_PNSZ_IS14_E10value_typeET4_jRbjT5_S1A_jjP12ihipStream_tbEUljE_EEESV_SW_SX_S14_S18_S1A_T6_T7_T9_mT8_S1C_bDpT10_ENKUlT_T0_E_clISt17integral_constantIbLb1EES1O_IbLb0EEEEDaS1K_S1L_EUlS1K_E_NS1_11comp_targetILNS1_3genE9ELNS1_11target_archE1100ELNS1_3gpuE3ELNS1_3repE0EEENS1_30default_config_static_selectorELNS0_4arch9wavefront6targetE0EEEvSY_
	.p2align	8
	.type	_ZN7rocprim17ROCPRIM_400000_NS6detail17trampoline_kernelINS0_13select_configILj256ELj13ELNS0_17block_load_methodE3ELS4_3ELS4_3ELNS0_20block_scan_algorithmE0ELj4294967295EEENS1_25partition_config_selectorILNS1_17partition_subalgoE3EjNS0_10empty_typeEbEEZZNS1_14partition_implILS8_3ELb0ES6_jNS0_17counting_iteratorIjlEEPS9_SE_NS0_5tupleIJPjSE_EEENSF_IJSE_SE_EEES9_SG_JZNS1_25segmented_radix_sort_implINS0_14default_configELb0EPKhPhPKlPlN2at6native12_GLOBAL__N_18offset_tEEE10hipError_tPvRmT1_PNSt15iterator_traitsISY_E10value_typeET2_T3_PNSZ_IS14_E10value_typeET4_jRbjT5_S1A_jjP12ihipStream_tbEUljE_EEESV_SW_SX_S14_S18_S1A_T6_T7_T9_mT8_S1C_bDpT10_ENKUlT_T0_E_clISt17integral_constantIbLb1EES1O_IbLb0EEEEDaS1K_S1L_EUlS1K_E_NS1_11comp_targetILNS1_3genE9ELNS1_11target_archE1100ELNS1_3gpuE3ELNS1_3repE0EEENS1_30default_config_static_selectorELNS0_4arch9wavefront6targetE0EEEvSY_,@function
_ZN7rocprim17ROCPRIM_400000_NS6detail17trampoline_kernelINS0_13select_configILj256ELj13ELNS0_17block_load_methodE3ELS4_3ELS4_3ELNS0_20block_scan_algorithmE0ELj4294967295EEENS1_25partition_config_selectorILNS1_17partition_subalgoE3EjNS0_10empty_typeEbEEZZNS1_14partition_implILS8_3ELb0ES6_jNS0_17counting_iteratorIjlEEPS9_SE_NS0_5tupleIJPjSE_EEENSF_IJSE_SE_EEES9_SG_JZNS1_25segmented_radix_sort_implINS0_14default_configELb0EPKhPhPKlPlN2at6native12_GLOBAL__N_18offset_tEEE10hipError_tPvRmT1_PNSt15iterator_traitsISY_E10value_typeET2_T3_PNSZ_IS14_E10value_typeET4_jRbjT5_S1A_jjP12ihipStream_tbEUljE_EEESV_SW_SX_S14_S18_S1A_T6_T7_T9_mT8_S1C_bDpT10_ENKUlT_T0_E_clISt17integral_constantIbLb1EES1O_IbLb0EEEEDaS1K_S1L_EUlS1K_E_NS1_11comp_targetILNS1_3genE9ELNS1_11target_archE1100ELNS1_3gpuE3ELNS1_3repE0EEENS1_30default_config_static_selectorELNS0_4arch9wavefront6targetE0EEEvSY_: ; @_ZN7rocprim17ROCPRIM_400000_NS6detail17trampoline_kernelINS0_13select_configILj256ELj13ELNS0_17block_load_methodE3ELS4_3ELS4_3ELNS0_20block_scan_algorithmE0ELj4294967295EEENS1_25partition_config_selectorILNS1_17partition_subalgoE3EjNS0_10empty_typeEbEEZZNS1_14partition_implILS8_3ELb0ES6_jNS0_17counting_iteratorIjlEEPS9_SE_NS0_5tupleIJPjSE_EEENSF_IJSE_SE_EEES9_SG_JZNS1_25segmented_radix_sort_implINS0_14default_configELb0EPKhPhPKlPlN2at6native12_GLOBAL__N_18offset_tEEE10hipError_tPvRmT1_PNSt15iterator_traitsISY_E10value_typeET2_T3_PNSZ_IS14_E10value_typeET4_jRbjT5_S1A_jjP12ihipStream_tbEUljE_EEESV_SW_SX_S14_S18_S1A_T6_T7_T9_mT8_S1C_bDpT10_ENKUlT_T0_E_clISt17integral_constantIbLb1EES1O_IbLb0EEEEDaS1K_S1L_EUlS1K_E_NS1_11comp_targetILNS1_3genE9ELNS1_11target_archE1100ELNS1_3gpuE3ELNS1_3repE0EEENS1_30default_config_static_selectorELNS0_4arch9wavefront6targetE0EEEvSY_
; %bb.0:
	.section	.rodata,"a",@progbits
	.p2align	6, 0x0
	.amdhsa_kernel _ZN7rocprim17ROCPRIM_400000_NS6detail17trampoline_kernelINS0_13select_configILj256ELj13ELNS0_17block_load_methodE3ELS4_3ELS4_3ELNS0_20block_scan_algorithmE0ELj4294967295EEENS1_25partition_config_selectorILNS1_17partition_subalgoE3EjNS0_10empty_typeEbEEZZNS1_14partition_implILS8_3ELb0ES6_jNS0_17counting_iteratorIjlEEPS9_SE_NS0_5tupleIJPjSE_EEENSF_IJSE_SE_EEES9_SG_JZNS1_25segmented_radix_sort_implINS0_14default_configELb0EPKhPhPKlPlN2at6native12_GLOBAL__N_18offset_tEEE10hipError_tPvRmT1_PNSt15iterator_traitsISY_E10value_typeET2_T3_PNSZ_IS14_E10value_typeET4_jRbjT5_S1A_jjP12ihipStream_tbEUljE_EEESV_SW_SX_S14_S18_S1A_T6_T7_T9_mT8_S1C_bDpT10_ENKUlT_T0_E_clISt17integral_constantIbLb1EES1O_IbLb0EEEEDaS1K_S1L_EUlS1K_E_NS1_11comp_targetILNS1_3genE9ELNS1_11target_archE1100ELNS1_3gpuE3ELNS1_3repE0EEENS1_30default_config_static_selectorELNS0_4arch9wavefront6targetE0EEEvSY_
		.amdhsa_group_segment_fixed_size 0
		.amdhsa_private_segment_fixed_size 0
		.amdhsa_kernarg_size 144
		.amdhsa_user_sgpr_count 2
		.amdhsa_user_sgpr_dispatch_ptr 0
		.amdhsa_user_sgpr_queue_ptr 0
		.amdhsa_user_sgpr_kernarg_segment_ptr 1
		.amdhsa_user_sgpr_dispatch_id 0
		.amdhsa_user_sgpr_kernarg_preload_length 0
		.amdhsa_user_sgpr_kernarg_preload_offset 0
		.amdhsa_user_sgpr_private_segment_size 0
		.amdhsa_wavefront_size32 1
		.amdhsa_uses_dynamic_stack 0
		.amdhsa_enable_private_segment 0
		.amdhsa_system_sgpr_workgroup_id_x 1
		.amdhsa_system_sgpr_workgroup_id_y 0
		.amdhsa_system_sgpr_workgroup_id_z 0
		.amdhsa_system_sgpr_workgroup_info 0
		.amdhsa_system_vgpr_workitem_id 0
		.amdhsa_next_free_vgpr 1
		.amdhsa_next_free_sgpr 1
		.amdhsa_named_barrier_count 0
		.amdhsa_reserve_vcc 0
		.amdhsa_float_round_mode_32 0
		.amdhsa_float_round_mode_16_64 0
		.amdhsa_float_denorm_mode_32 3
		.amdhsa_float_denorm_mode_16_64 3
		.amdhsa_fp16_overflow 0
		.amdhsa_memory_ordered 1
		.amdhsa_forward_progress 1
		.amdhsa_inst_pref_size 0
		.amdhsa_round_robin_scheduling 0
		.amdhsa_exception_fp_ieee_invalid_op 0
		.amdhsa_exception_fp_denorm_src 0
		.amdhsa_exception_fp_ieee_div_zero 0
		.amdhsa_exception_fp_ieee_overflow 0
		.amdhsa_exception_fp_ieee_underflow 0
		.amdhsa_exception_fp_ieee_inexact 0
		.amdhsa_exception_int_div_zero 0
	.end_amdhsa_kernel
	.section	.text._ZN7rocprim17ROCPRIM_400000_NS6detail17trampoline_kernelINS0_13select_configILj256ELj13ELNS0_17block_load_methodE3ELS4_3ELS4_3ELNS0_20block_scan_algorithmE0ELj4294967295EEENS1_25partition_config_selectorILNS1_17partition_subalgoE3EjNS0_10empty_typeEbEEZZNS1_14partition_implILS8_3ELb0ES6_jNS0_17counting_iteratorIjlEEPS9_SE_NS0_5tupleIJPjSE_EEENSF_IJSE_SE_EEES9_SG_JZNS1_25segmented_radix_sort_implINS0_14default_configELb0EPKhPhPKlPlN2at6native12_GLOBAL__N_18offset_tEEE10hipError_tPvRmT1_PNSt15iterator_traitsISY_E10value_typeET2_T3_PNSZ_IS14_E10value_typeET4_jRbjT5_S1A_jjP12ihipStream_tbEUljE_EEESV_SW_SX_S14_S18_S1A_T6_T7_T9_mT8_S1C_bDpT10_ENKUlT_T0_E_clISt17integral_constantIbLb1EES1O_IbLb0EEEEDaS1K_S1L_EUlS1K_E_NS1_11comp_targetILNS1_3genE9ELNS1_11target_archE1100ELNS1_3gpuE3ELNS1_3repE0EEENS1_30default_config_static_selectorELNS0_4arch9wavefront6targetE0EEEvSY_,"axG",@progbits,_ZN7rocprim17ROCPRIM_400000_NS6detail17trampoline_kernelINS0_13select_configILj256ELj13ELNS0_17block_load_methodE3ELS4_3ELS4_3ELNS0_20block_scan_algorithmE0ELj4294967295EEENS1_25partition_config_selectorILNS1_17partition_subalgoE3EjNS0_10empty_typeEbEEZZNS1_14partition_implILS8_3ELb0ES6_jNS0_17counting_iteratorIjlEEPS9_SE_NS0_5tupleIJPjSE_EEENSF_IJSE_SE_EEES9_SG_JZNS1_25segmented_radix_sort_implINS0_14default_configELb0EPKhPhPKlPlN2at6native12_GLOBAL__N_18offset_tEEE10hipError_tPvRmT1_PNSt15iterator_traitsISY_E10value_typeET2_T3_PNSZ_IS14_E10value_typeET4_jRbjT5_S1A_jjP12ihipStream_tbEUljE_EEESV_SW_SX_S14_S18_S1A_T6_T7_T9_mT8_S1C_bDpT10_ENKUlT_T0_E_clISt17integral_constantIbLb1EES1O_IbLb0EEEEDaS1K_S1L_EUlS1K_E_NS1_11comp_targetILNS1_3genE9ELNS1_11target_archE1100ELNS1_3gpuE3ELNS1_3repE0EEENS1_30default_config_static_selectorELNS0_4arch9wavefront6targetE0EEEvSY_,comdat
.Lfunc_end175:
	.size	_ZN7rocprim17ROCPRIM_400000_NS6detail17trampoline_kernelINS0_13select_configILj256ELj13ELNS0_17block_load_methodE3ELS4_3ELS4_3ELNS0_20block_scan_algorithmE0ELj4294967295EEENS1_25partition_config_selectorILNS1_17partition_subalgoE3EjNS0_10empty_typeEbEEZZNS1_14partition_implILS8_3ELb0ES6_jNS0_17counting_iteratorIjlEEPS9_SE_NS0_5tupleIJPjSE_EEENSF_IJSE_SE_EEES9_SG_JZNS1_25segmented_radix_sort_implINS0_14default_configELb0EPKhPhPKlPlN2at6native12_GLOBAL__N_18offset_tEEE10hipError_tPvRmT1_PNSt15iterator_traitsISY_E10value_typeET2_T3_PNSZ_IS14_E10value_typeET4_jRbjT5_S1A_jjP12ihipStream_tbEUljE_EEESV_SW_SX_S14_S18_S1A_T6_T7_T9_mT8_S1C_bDpT10_ENKUlT_T0_E_clISt17integral_constantIbLb1EES1O_IbLb0EEEEDaS1K_S1L_EUlS1K_E_NS1_11comp_targetILNS1_3genE9ELNS1_11target_archE1100ELNS1_3gpuE3ELNS1_3repE0EEENS1_30default_config_static_selectorELNS0_4arch9wavefront6targetE0EEEvSY_, .Lfunc_end175-_ZN7rocprim17ROCPRIM_400000_NS6detail17trampoline_kernelINS0_13select_configILj256ELj13ELNS0_17block_load_methodE3ELS4_3ELS4_3ELNS0_20block_scan_algorithmE0ELj4294967295EEENS1_25partition_config_selectorILNS1_17partition_subalgoE3EjNS0_10empty_typeEbEEZZNS1_14partition_implILS8_3ELb0ES6_jNS0_17counting_iteratorIjlEEPS9_SE_NS0_5tupleIJPjSE_EEENSF_IJSE_SE_EEES9_SG_JZNS1_25segmented_radix_sort_implINS0_14default_configELb0EPKhPhPKlPlN2at6native12_GLOBAL__N_18offset_tEEE10hipError_tPvRmT1_PNSt15iterator_traitsISY_E10value_typeET2_T3_PNSZ_IS14_E10value_typeET4_jRbjT5_S1A_jjP12ihipStream_tbEUljE_EEESV_SW_SX_S14_S18_S1A_T6_T7_T9_mT8_S1C_bDpT10_ENKUlT_T0_E_clISt17integral_constantIbLb1EES1O_IbLb0EEEEDaS1K_S1L_EUlS1K_E_NS1_11comp_targetILNS1_3genE9ELNS1_11target_archE1100ELNS1_3gpuE3ELNS1_3repE0EEENS1_30default_config_static_selectorELNS0_4arch9wavefront6targetE0EEEvSY_
                                        ; -- End function
	.set _ZN7rocprim17ROCPRIM_400000_NS6detail17trampoline_kernelINS0_13select_configILj256ELj13ELNS0_17block_load_methodE3ELS4_3ELS4_3ELNS0_20block_scan_algorithmE0ELj4294967295EEENS1_25partition_config_selectorILNS1_17partition_subalgoE3EjNS0_10empty_typeEbEEZZNS1_14partition_implILS8_3ELb0ES6_jNS0_17counting_iteratorIjlEEPS9_SE_NS0_5tupleIJPjSE_EEENSF_IJSE_SE_EEES9_SG_JZNS1_25segmented_radix_sort_implINS0_14default_configELb0EPKhPhPKlPlN2at6native12_GLOBAL__N_18offset_tEEE10hipError_tPvRmT1_PNSt15iterator_traitsISY_E10value_typeET2_T3_PNSZ_IS14_E10value_typeET4_jRbjT5_S1A_jjP12ihipStream_tbEUljE_EEESV_SW_SX_S14_S18_S1A_T6_T7_T9_mT8_S1C_bDpT10_ENKUlT_T0_E_clISt17integral_constantIbLb1EES1O_IbLb0EEEEDaS1K_S1L_EUlS1K_E_NS1_11comp_targetILNS1_3genE9ELNS1_11target_archE1100ELNS1_3gpuE3ELNS1_3repE0EEENS1_30default_config_static_selectorELNS0_4arch9wavefront6targetE0EEEvSY_.num_vgpr, 0
	.set _ZN7rocprim17ROCPRIM_400000_NS6detail17trampoline_kernelINS0_13select_configILj256ELj13ELNS0_17block_load_methodE3ELS4_3ELS4_3ELNS0_20block_scan_algorithmE0ELj4294967295EEENS1_25partition_config_selectorILNS1_17partition_subalgoE3EjNS0_10empty_typeEbEEZZNS1_14partition_implILS8_3ELb0ES6_jNS0_17counting_iteratorIjlEEPS9_SE_NS0_5tupleIJPjSE_EEENSF_IJSE_SE_EEES9_SG_JZNS1_25segmented_radix_sort_implINS0_14default_configELb0EPKhPhPKlPlN2at6native12_GLOBAL__N_18offset_tEEE10hipError_tPvRmT1_PNSt15iterator_traitsISY_E10value_typeET2_T3_PNSZ_IS14_E10value_typeET4_jRbjT5_S1A_jjP12ihipStream_tbEUljE_EEESV_SW_SX_S14_S18_S1A_T6_T7_T9_mT8_S1C_bDpT10_ENKUlT_T0_E_clISt17integral_constantIbLb1EES1O_IbLb0EEEEDaS1K_S1L_EUlS1K_E_NS1_11comp_targetILNS1_3genE9ELNS1_11target_archE1100ELNS1_3gpuE3ELNS1_3repE0EEENS1_30default_config_static_selectorELNS0_4arch9wavefront6targetE0EEEvSY_.num_agpr, 0
	.set _ZN7rocprim17ROCPRIM_400000_NS6detail17trampoline_kernelINS0_13select_configILj256ELj13ELNS0_17block_load_methodE3ELS4_3ELS4_3ELNS0_20block_scan_algorithmE0ELj4294967295EEENS1_25partition_config_selectorILNS1_17partition_subalgoE3EjNS0_10empty_typeEbEEZZNS1_14partition_implILS8_3ELb0ES6_jNS0_17counting_iteratorIjlEEPS9_SE_NS0_5tupleIJPjSE_EEENSF_IJSE_SE_EEES9_SG_JZNS1_25segmented_radix_sort_implINS0_14default_configELb0EPKhPhPKlPlN2at6native12_GLOBAL__N_18offset_tEEE10hipError_tPvRmT1_PNSt15iterator_traitsISY_E10value_typeET2_T3_PNSZ_IS14_E10value_typeET4_jRbjT5_S1A_jjP12ihipStream_tbEUljE_EEESV_SW_SX_S14_S18_S1A_T6_T7_T9_mT8_S1C_bDpT10_ENKUlT_T0_E_clISt17integral_constantIbLb1EES1O_IbLb0EEEEDaS1K_S1L_EUlS1K_E_NS1_11comp_targetILNS1_3genE9ELNS1_11target_archE1100ELNS1_3gpuE3ELNS1_3repE0EEENS1_30default_config_static_selectorELNS0_4arch9wavefront6targetE0EEEvSY_.numbered_sgpr, 0
	.set _ZN7rocprim17ROCPRIM_400000_NS6detail17trampoline_kernelINS0_13select_configILj256ELj13ELNS0_17block_load_methodE3ELS4_3ELS4_3ELNS0_20block_scan_algorithmE0ELj4294967295EEENS1_25partition_config_selectorILNS1_17partition_subalgoE3EjNS0_10empty_typeEbEEZZNS1_14partition_implILS8_3ELb0ES6_jNS0_17counting_iteratorIjlEEPS9_SE_NS0_5tupleIJPjSE_EEENSF_IJSE_SE_EEES9_SG_JZNS1_25segmented_radix_sort_implINS0_14default_configELb0EPKhPhPKlPlN2at6native12_GLOBAL__N_18offset_tEEE10hipError_tPvRmT1_PNSt15iterator_traitsISY_E10value_typeET2_T3_PNSZ_IS14_E10value_typeET4_jRbjT5_S1A_jjP12ihipStream_tbEUljE_EEESV_SW_SX_S14_S18_S1A_T6_T7_T9_mT8_S1C_bDpT10_ENKUlT_T0_E_clISt17integral_constantIbLb1EES1O_IbLb0EEEEDaS1K_S1L_EUlS1K_E_NS1_11comp_targetILNS1_3genE9ELNS1_11target_archE1100ELNS1_3gpuE3ELNS1_3repE0EEENS1_30default_config_static_selectorELNS0_4arch9wavefront6targetE0EEEvSY_.num_named_barrier, 0
	.set _ZN7rocprim17ROCPRIM_400000_NS6detail17trampoline_kernelINS0_13select_configILj256ELj13ELNS0_17block_load_methodE3ELS4_3ELS4_3ELNS0_20block_scan_algorithmE0ELj4294967295EEENS1_25partition_config_selectorILNS1_17partition_subalgoE3EjNS0_10empty_typeEbEEZZNS1_14partition_implILS8_3ELb0ES6_jNS0_17counting_iteratorIjlEEPS9_SE_NS0_5tupleIJPjSE_EEENSF_IJSE_SE_EEES9_SG_JZNS1_25segmented_radix_sort_implINS0_14default_configELb0EPKhPhPKlPlN2at6native12_GLOBAL__N_18offset_tEEE10hipError_tPvRmT1_PNSt15iterator_traitsISY_E10value_typeET2_T3_PNSZ_IS14_E10value_typeET4_jRbjT5_S1A_jjP12ihipStream_tbEUljE_EEESV_SW_SX_S14_S18_S1A_T6_T7_T9_mT8_S1C_bDpT10_ENKUlT_T0_E_clISt17integral_constantIbLb1EES1O_IbLb0EEEEDaS1K_S1L_EUlS1K_E_NS1_11comp_targetILNS1_3genE9ELNS1_11target_archE1100ELNS1_3gpuE3ELNS1_3repE0EEENS1_30default_config_static_selectorELNS0_4arch9wavefront6targetE0EEEvSY_.private_seg_size, 0
	.set _ZN7rocprim17ROCPRIM_400000_NS6detail17trampoline_kernelINS0_13select_configILj256ELj13ELNS0_17block_load_methodE3ELS4_3ELS4_3ELNS0_20block_scan_algorithmE0ELj4294967295EEENS1_25partition_config_selectorILNS1_17partition_subalgoE3EjNS0_10empty_typeEbEEZZNS1_14partition_implILS8_3ELb0ES6_jNS0_17counting_iteratorIjlEEPS9_SE_NS0_5tupleIJPjSE_EEENSF_IJSE_SE_EEES9_SG_JZNS1_25segmented_radix_sort_implINS0_14default_configELb0EPKhPhPKlPlN2at6native12_GLOBAL__N_18offset_tEEE10hipError_tPvRmT1_PNSt15iterator_traitsISY_E10value_typeET2_T3_PNSZ_IS14_E10value_typeET4_jRbjT5_S1A_jjP12ihipStream_tbEUljE_EEESV_SW_SX_S14_S18_S1A_T6_T7_T9_mT8_S1C_bDpT10_ENKUlT_T0_E_clISt17integral_constantIbLb1EES1O_IbLb0EEEEDaS1K_S1L_EUlS1K_E_NS1_11comp_targetILNS1_3genE9ELNS1_11target_archE1100ELNS1_3gpuE3ELNS1_3repE0EEENS1_30default_config_static_selectorELNS0_4arch9wavefront6targetE0EEEvSY_.uses_vcc, 0
	.set _ZN7rocprim17ROCPRIM_400000_NS6detail17trampoline_kernelINS0_13select_configILj256ELj13ELNS0_17block_load_methodE3ELS4_3ELS4_3ELNS0_20block_scan_algorithmE0ELj4294967295EEENS1_25partition_config_selectorILNS1_17partition_subalgoE3EjNS0_10empty_typeEbEEZZNS1_14partition_implILS8_3ELb0ES6_jNS0_17counting_iteratorIjlEEPS9_SE_NS0_5tupleIJPjSE_EEENSF_IJSE_SE_EEES9_SG_JZNS1_25segmented_radix_sort_implINS0_14default_configELb0EPKhPhPKlPlN2at6native12_GLOBAL__N_18offset_tEEE10hipError_tPvRmT1_PNSt15iterator_traitsISY_E10value_typeET2_T3_PNSZ_IS14_E10value_typeET4_jRbjT5_S1A_jjP12ihipStream_tbEUljE_EEESV_SW_SX_S14_S18_S1A_T6_T7_T9_mT8_S1C_bDpT10_ENKUlT_T0_E_clISt17integral_constantIbLb1EES1O_IbLb0EEEEDaS1K_S1L_EUlS1K_E_NS1_11comp_targetILNS1_3genE9ELNS1_11target_archE1100ELNS1_3gpuE3ELNS1_3repE0EEENS1_30default_config_static_selectorELNS0_4arch9wavefront6targetE0EEEvSY_.uses_flat_scratch, 0
	.set _ZN7rocprim17ROCPRIM_400000_NS6detail17trampoline_kernelINS0_13select_configILj256ELj13ELNS0_17block_load_methodE3ELS4_3ELS4_3ELNS0_20block_scan_algorithmE0ELj4294967295EEENS1_25partition_config_selectorILNS1_17partition_subalgoE3EjNS0_10empty_typeEbEEZZNS1_14partition_implILS8_3ELb0ES6_jNS0_17counting_iteratorIjlEEPS9_SE_NS0_5tupleIJPjSE_EEENSF_IJSE_SE_EEES9_SG_JZNS1_25segmented_radix_sort_implINS0_14default_configELb0EPKhPhPKlPlN2at6native12_GLOBAL__N_18offset_tEEE10hipError_tPvRmT1_PNSt15iterator_traitsISY_E10value_typeET2_T3_PNSZ_IS14_E10value_typeET4_jRbjT5_S1A_jjP12ihipStream_tbEUljE_EEESV_SW_SX_S14_S18_S1A_T6_T7_T9_mT8_S1C_bDpT10_ENKUlT_T0_E_clISt17integral_constantIbLb1EES1O_IbLb0EEEEDaS1K_S1L_EUlS1K_E_NS1_11comp_targetILNS1_3genE9ELNS1_11target_archE1100ELNS1_3gpuE3ELNS1_3repE0EEENS1_30default_config_static_selectorELNS0_4arch9wavefront6targetE0EEEvSY_.has_dyn_sized_stack, 0
	.set _ZN7rocprim17ROCPRIM_400000_NS6detail17trampoline_kernelINS0_13select_configILj256ELj13ELNS0_17block_load_methodE3ELS4_3ELS4_3ELNS0_20block_scan_algorithmE0ELj4294967295EEENS1_25partition_config_selectorILNS1_17partition_subalgoE3EjNS0_10empty_typeEbEEZZNS1_14partition_implILS8_3ELb0ES6_jNS0_17counting_iteratorIjlEEPS9_SE_NS0_5tupleIJPjSE_EEENSF_IJSE_SE_EEES9_SG_JZNS1_25segmented_radix_sort_implINS0_14default_configELb0EPKhPhPKlPlN2at6native12_GLOBAL__N_18offset_tEEE10hipError_tPvRmT1_PNSt15iterator_traitsISY_E10value_typeET2_T3_PNSZ_IS14_E10value_typeET4_jRbjT5_S1A_jjP12ihipStream_tbEUljE_EEESV_SW_SX_S14_S18_S1A_T6_T7_T9_mT8_S1C_bDpT10_ENKUlT_T0_E_clISt17integral_constantIbLb1EES1O_IbLb0EEEEDaS1K_S1L_EUlS1K_E_NS1_11comp_targetILNS1_3genE9ELNS1_11target_archE1100ELNS1_3gpuE3ELNS1_3repE0EEENS1_30default_config_static_selectorELNS0_4arch9wavefront6targetE0EEEvSY_.has_recursion, 0
	.set _ZN7rocprim17ROCPRIM_400000_NS6detail17trampoline_kernelINS0_13select_configILj256ELj13ELNS0_17block_load_methodE3ELS4_3ELS4_3ELNS0_20block_scan_algorithmE0ELj4294967295EEENS1_25partition_config_selectorILNS1_17partition_subalgoE3EjNS0_10empty_typeEbEEZZNS1_14partition_implILS8_3ELb0ES6_jNS0_17counting_iteratorIjlEEPS9_SE_NS0_5tupleIJPjSE_EEENSF_IJSE_SE_EEES9_SG_JZNS1_25segmented_radix_sort_implINS0_14default_configELb0EPKhPhPKlPlN2at6native12_GLOBAL__N_18offset_tEEE10hipError_tPvRmT1_PNSt15iterator_traitsISY_E10value_typeET2_T3_PNSZ_IS14_E10value_typeET4_jRbjT5_S1A_jjP12ihipStream_tbEUljE_EEESV_SW_SX_S14_S18_S1A_T6_T7_T9_mT8_S1C_bDpT10_ENKUlT_T0_E_clISt17integral_constantIbLb1EES1O_IbLb0EEEEDaS1K_S1L_EUlS1K_E_NS1_11comp_targetILNS1_3genE9ELNS1_11target_archE1100ELNS1_3gpuE3ELNS1_3repE0EEENS1_30default_config_static_selectorELNS0_4arch9wavefront6targetE0EEEvSY_.has_indirect_call, 0
	.section	.AMDGPU.csdata,"",@progbits
; Kernel info:
; codeLenInByte = 0
; TotalNumSgprs: 0
; NumVgprs: 0
; ScratchSize: 0
; MemoryBound: 0
; FloatMode: 240
; IeeeMode: 1
; LDSByteSize: 0 bytes/workgroup (compile time only)
; SGPRBlocks: 0
; VGPRBlocks: 0
; NumSGPRsForWavesPerEU: 1
; NumVGPRsForWavesPerEU: 1
; NamedBarCnt: 0
; Occupancy: 16
; WaveLimiterHint : 0
; COMPUTE_PGM_RSRC2:SCRATCH_EN: 0
; COMPUTE_PGM_RSRC2:USER_SGPR: 2
; COMPUTE_PGM_RSRC2:TRAP_HANDLER: 0
; COMPUTE_PGM_RSRC2:TGID_X_EN: 1
; COMPUTE_PGM_RSRC2:TGID_Y_EN: 0
; COMPUTE_PGM_RSRC2:TGID_Z_EN: 0
; COMPUTE_PGM_RSRC2:TIDIG_COMP_CNT: 0
	.section	.text._ZN7rocprim17ROCPRIM_400000_NS6detail17trampoline_kernelINS0_13select_configILj256ELj13ELNS0_17block_load_methodE3ELS4_3ELS4_3ELNS0_20block_scan_algorithmE0ELj4294967295EEENS1_25partition_config_selectorILNS1_17partition_subalgoE3EjNS0_10empty_typeEbEEZZNS1_14partition_implILS8_3ELb0ES6_jNS0_17counting_iteratorIjlEEPS9_SE_NS0_5tupleIJPjSE_EEENSF_IJSE_SE_EEES9_SG_JZNS1_25segmented_radix_sort_implINS0_14default_configELb0EPKhPhPKlPlN2at6native12_GLOBAL__N_18offset_tEEE10hipError_tPvRmT1_PNSt15iterator_traitsISY_E10value_typeET2_T3_PNSZ_IS14_E10value_typeET4_jRbjT5_S1A_jjP12ihipStream_tbEUljE_EEESV_SW_SX_S14_S18_S1A_T6_T7_T9_mT8_S1C_bDpT10_ENKUlT_T0_E_clISt17integral_constantIbLb1EES1O_IbLb0EEEEDaS1K_S1L_EUlS1K_E_NS1_11comp_targetILNS1_3genE8ELNS1_11target_archE1030ELNS1_3gpuE2ELNS1_3repE0EEENS1_30default_config_static_selectorELNS0_4arch9wavefront6targetE0EEEvSY_,"axG",@progbits,_ZN7rocprim17ROCPRIM_400000_NS6detail17trampoline_kernelINS0_13select_configILj256ELj13ELNS0_17block_load_methodE3ELS4_3ELS4_3ELNS0_20block_scan_algorithmE0ELj4294967295EEENS1_25partition_config_selectorILNS1_17partition_subalgoE3EjNS0_10empty_typeEbEEZZNS1_14partition_implILS8_3ELb0ES6_jNS0_17counting_iteratorIjlEEPS9_SE_NS0_5tupleIJPjSE_EEENSF_IJSE_SE_EEES9_SG_JZNS1_25segmented_radix_sort_implINS0_14default_configELb0EPKhPhPKlPlN2at6native12_GLOBAL__N_18offset_tEEE10hipError_tPvRmT1_PNSt15iterator_traitsISY_E10value_typeET2_T3_PNSZ_IS14_E10value_typeET4_jRbjT5_S1A_jjP12ihipStream_tbEUljE_EEESV_SW_SX_S14_S18_S1A_T6_T7_T9_mT8_S1C_bDpT10_ENKUlT_T0_E_clISt17integral_constantIbLb1EES1O_IbLb0EEEEDaS1K_S1L_EUlS1K_E_NS1_11comp_targetILNS1_3genE8ELNS1_11target_archE1030ELNS1_3gpuE2ELNS1_3repE0EEENS1_30default_config_static_selectorELNS0_4arch9wavefront6targetE0EEEvSY_,comdat
	.globl	_ZN7rocprim17ROCPRIM_400000_NS6detail17trampoline_kernelINS0_13select_configILj256ELj13ELNS0_17block_load_methodE3ELS4_3ELS4_3ELNS0_20block_scan_algorithmE0ELj4294967295EEENS1_25partition_config_selectorILNS1_17partition_subalgoE3EjNS0_10empty_typeEbEEZZNS1_14partition_implILS8_3ELb0ES6_jNS0_17counting_iteratorIjlEEPS9_SE_NS0_5tupleIJPjSE_EEENSF_IJSE_SE_EEES9_SG_JZNS1_25segmented_radix_sort_implINS0_14default_configELb0EPKhPhPKlPlN2at6native12_GLOBAL__N_18offset_tEEE10hipError_tPvRmT1_PNSt15iterator_traitsISY_E10value_typeET2_T3_PNSZ_IS14_E10value_typeET4_jRbjT5_S1A_jjP12ihipStream_tbEUljE_EEESV_SW_SX_S14_S18_S1A_T6_T7_T9_mT8_S1C_bDpT10_ENKUlT_T0_E_clISt17integral_constantIbLb1EES1O_IbLb0EEEEDaS1K_S1L_EUlS1K_E_NS1_11comp_targetILNS1_3genE8ELNS1_11target_archE1030ELNS1_3gpuE2ELNS1_3repE0EEENS1_30default_config_static_selectorELNS0_4arch9wavefront6targetE0EEEvSY_ ; -- Begin function _ZN7rocprim17ROCPRIM_400000_NS6detail17trampoline_kernelINS0_13select_configILj256ELj13ELNS0_17block_load_methodE3ELS4_3ELS4_3ELNS0_20block_scan_algorithmE0ELj4294967295EEENS1_25partition_config_selectorILNS1_17partition_subalgoE3EjNS0_10empty_typeEbEEZZNS1_14partition_implILS8_3ELb0ES6_jNS0_17counting_iteratorIjlEEPS9_SE_NS0_5tupleIJPjSE_EEENSF_IJSE_SE_EEES9_SG_JZNS1_25segmented_radix_sort_implINS0_14default_configELb0EPKhPhPKlPlN2at6native12_GLOBAL__N_18offset_tEEE10hipError_tPvRmT1_PNSt15iterator_traitsISY_E10value_typeET2_T3_PNSZ_IS14_E10value_typeET4_jRbjT5_S1A_jjP12ihipStream_tbEUljE_EEESV_SW_SX_S14_S18_S1A_T6_T7_T9_mT8_S1C_bDpT10_ENKUlT_T0_E_clISt17integral_constantIbLb1EES1O_IbLb0EEEEDaS1K_S1L_EUlS1K_E_NS1_11comp_targetILNS1_3genE8ELNS1_11target_archE1030ELNS1_3gpuE2ELNS1_3repE0EEENS1_30default_config_static_selectorELNS0_4arch9wavefront6targetE0EEEvSY_
	.p2align	8
	.type	_ZN7rocprim17ROCPRIM_400000_NS6detail17trampoline_kernelINS0_13select_configILj256ELj13ELNS0_17block_load_methodE3ELS4_3ELS4_3ELNS0_20block_scan_algorithmE0ELj4294967295EEENS1_25partition_config_selectorILNS1_17partition_subalgoE3EjNS0_10empty_typeEbEEZZNS1_14partition_implILS8_3ELb0ES6_jNS0_17counting_iteratorIjlEEPS9_SE_NS0_5tupleIJPjSE_EEENSF_IJSE_SE_EEES9_SG_JZNS1_25segmented_radix_sort_implINS0_14default_configELb0EPKhPhPKlPlN2at6native12_GLOBAL__N_18offset_tEEE10hipError_tPvRmT1_PNSt15iterator_traitsISY_E10value_typeET2_T3_PNSZ_IS14_E10value_typeET4_jRbjT5_S1A_jjP12ihipStream_tbEUljE_EEESV_SW_SX_S14_S18_S1A_T6_T7_T9_mT8_S1C_bDpT10_ENKUlT_T0_E_clISt17integral_constantIbLb1EES1O_IbLb0EEEEDaS1K_S1L_EUlS1K_E_NS1_11comp_targetILNS1_3genE8ELNS1_11target_archE1030ELNS1_3gpuE2ELNS1_3repE0EEENS1_30default_config_static_selectorELNS0_4arch9wavefront6targetE0EEEvSY_,@function
_ZN7rocprim17ROCPRIM_400000_NS6detail17trampoline_kernelINS0_13select_configILj256ELj13ELNS0_17block_load_methodE3ELS4_3ELS4_3ELNS0_20block_scan_algorithmE0ELj4294967295EEENS1_25partition_config_selectorILNS1_17partition_subalgoE3EjNS0_10empty_typeEbEEZZNS1_14partition_implILS8_3ELb0ES6_jNS0_17counting_iteratorIjlEEPS9_SE_NS0_5tupleIJPjSE_EEENSF_IJSE_SE_EEES9_SG_JZNS1_25segmented_radix_sort_implINS0_14default_configELb0EPKhPhPKlPlN2at6native12_GLOBAL__N_18offset_tEEE10hipError_tPvRmT1_PNSt15iterator_traitsISY_E10value_typeET2_T3_PNSZ_IS14_E10value_typeET4_jRbjT5_S1A_jjP12ihipStream_tbEUljE_EEESV_SW_SX_S14_S18_S1A_T6_T7_T9_mT8_S1C_bDpT10_ENKUlT_T0_E_clISt17integral_constantIbLb1EES1O_IbLb0EEEEDaS1K_S1L_EUlS1K_E_NS1_11comp_targetILNS1_3genE8ELNS1_11target_archE1030ELNS1_3gpuE2ELNS1_3repE0EEENS1_30default_config_static_selectorELNS0_4arch9wavefront6targetE0EEEvSY_: ; @_ZN7rocprim17ROCPRIM_400000_NS6detail17trampoline_kernelINS0_13select_configILj256ELj13ELNS0_17block_load_methodE3ELS4_3ELS4_3ELNS0_20block_scan_algorithmE0ELj4294967295EEENS1_25partition_config_selectorILNS1_17partition_subalgoE3EjNS0_10empty_typeEbEEZZNS1_14partition_implILS8_3ELb0ES6_jNS0_17counting_iteratorIjlEEPS9_SE_NS0_5tupleIJPjSE_EEENSF_IJSE_SE_EEES9_SG_JZNS1_25segmented_radix_sort_implINS0_14default_configELb0EPKhPhPKlPlN2at6native12_GLOBAL__N_18offset_tEEE10hipError_tPvRmT1_PNSt15iterator_traitsISY_E10value_typeET2_T3_PNSZ_IS14_E10value_typeET4_jRbjT5_S1A_jjP12ihipStream_tbEUljE_EEESV_SW_SX_S14_S18_S1A_T6_T7_T9_mT8_S1C_bDpT10_ENKUlT_T0_E_clISt17integral_constantIbLb1EES1O_IbLb0EEEEDaS1K_S1L_EUlS1K_E_NS1_11comp_targetILNS1_3genE8ELNS1_11target_archE1030ELNS1_3gpuE2ELNS1_3repE0EEENS1_30default_config_static_selectorELNS0_4arch9wavefront6targetE0EEEvSY_
; %bb.0:
	.section	.rodata,"a",@progbits
	.p2align	6, 0x0
	.amdhsa_kernel _ZN7rocprim17ROCPRIM_400000_NS6detail17trampoline_kernelINS0_13select_configILj256ELj13ELNS0_17block_load_methodE3ELS4_3ELS4_3ELNS0_20block_scan_algorithmE0ELj4294967295EEENS1_25partition_config_selectorILNS1_17partition_subalgoE3EjNS0_10empty_typeEbEEZZNS1_14partition_implILS8_3ELb0ES6_jNS0_17counting_iteratorIjlEEPS9_SE_NS0_5tupleIJPjSE_EEENSF_IJSE_SE_EEES9_SG_JZNS1_25segmented_radix_sort_implINS0_14default_configELb0EPKhPhPKlPlN2at6native12_GLOBAL__N_18offset_tEEE10hipError_tPvRmT1_PNSt15iterator_traitsISY_E10value_typeET2_T3_PNSZ_IS14_E10value_typeET4_jRbjT5_S1A_jjP12ihipStream_tbEUljE_EEESV_SW_SX_S14_S18_S1A_T6_T7_T9_mT8_S1C_bDpT10_ENKUlT_T0_E_clISt17integral_constantIbLb1EES1O_IbLb0EEEEDaS1K_S1L_EUlS1K_E_NS1_11comp_targetILNS1_3genE8ELNS1_11target_archE1030ELNS1_3gpuE2ELNS1_3repE0EEENS1_30default_config_static_selectorELNS0_4arch9wavefront6targetE0EEEvSY_
		.amdhsa_group_segment_fixed_size 0
		.amdhsa_private_segment_fixed_size 0
		.amdhsa_kernarg_size 144
		.amdhsa_user_sgpr_count 2
		.amdhsa_user_sgpr_dispatch_ptr 0
		.amdhsa_user_sgpr_queue_ptr 0
		.amdhsa_user_sgpr_kernarg_segment_ptr 1
		.amdhsa_user_sgpr_dispatch_id 0
		.amdhsa_user_sgpr_kernarg_preload_length 0
		.amdhsa_user_sgpr_kernarg_preload_offset 0
		.amdhsa_user_sgpr_private_segment_size 0
		.amdhsa_wavefront_size32 1
		.amdhsa_uses_dynamic_stack 0
		.amdhsa_enable_private_segment 0
		.amdhsa_system_sgpr_workgroup_id_x 1
		.amdhsa_system_sgpr_workgroup_id_y 0
		.amdhsa_system_sgpr_workgroup_id_z 0
		.amdhsa_system_sgpr_workgroup_info 0
		.amdhsa_system_vgpr_workitem_id 0
		.amdhsa_next_free_vgpr 1
		.amdhsa_next_free_sgpr 1
		.amdhsa_named_barrier_count 0
		.amdhsa_reserve_vcc 0
		.amdhsa_float_round_mode_32 0
		.amdhsa_float_round_mode_16_64 0
		.amdhsa_float_denorm_mode_32 3
		.amdhsa_float_denorm_mode_16_64 3
		.amdhsa_fp16_overflow 0
		.amdhsa_memory_ordered 1
		.amdhsa_forward_progress 1
		.amdhsa_inst_pref_size 0
		.amdhsa_round_robin_scheduling 0
		.amdhsa_exception_fp_ieee_invalid_op 0
		.amdhsa_exception_fp_denorm_src 0
		.amdhsa_exception_fp_ieee_div_zero 0
		.amdhsa_exception_fp_ieee_overflow 0
		.amdhsa_exception_fp_ieee_underflow 0
		.amdhsa_exception_fp_ieee_inexact 0
		.amdhsa_exception_int_div_zero 0
	.end_amdhsa_kernel
	.section	.text._ZN7rocprim17ROCPRIM_400000_NS6detail17trampoline_kernelINS0_13select_configILj256ELj13ELNS0_17block_load_methodE3ELS4_3ELS4_3ELNS0_20block_scan_algorithmE0ELj4294967295EEENS1_25partition_config_selectorILNS1_17partition_subalgoE3EjNS0_10empty_typeEbEEZZNS1_14partition_implILS8_3ELb0ES6_jNS0_17counting_iteratorIjlEEPS9_SE_NS0_5tupleIJPjSE_EEENSF_IJSE_SE_EEES9_SG_JZNS1_25segmented_radix_sort_implINS0_14default_configELb0EPKhPhPKlPlN2at6native12_GLOBAL__N_18offset_tEEE10hipError_tPvRmT1_PNSt15iterator_traitsISY_E10value_typeET2_T3_PNSZ_IS14_E10value_typeET4_jRbjT5_S1A_jjP12ihipStream_tbEUljE_EEESV_SW_SX_S14_S18_S1A_T6_T7_T9_mT8_S1C_bDpT10_ENKUlT_T0_E_clISt17integral_constantIbLb1EES1O_IbLb0EEEEDaS1K_S1L_EUlS1K_E_NS1_11comp_targetILNS1_3genE8ELNS1_11target_archE1030ELNS1_3gpuE2ELNS1_3repE0EEENS1_30default_config_static_selectorELNS0_4arch9wavefront6targetE0EEEvSY_,"axG",@progbits,_ZN7rocprim17ROCPRIM_400000_NS6detail17trampoline_kernelINS0_13select_configILj256ELj13ELNS0_17block_load_methodE3ELS4_3ELS4_3ELNS0_20block_scan_algorithmE0ELj4294967295EEENS1_25partition_config_selectorILNS1_17partition_subalgoE3EjNS0_10empty_typeEbEEZZNS1_14partition_implILS8_3ELb0ES6_jNS0_17counting_iteratorIjlEEPS9_SE_NS0_5tupleIJPjSE_EEENSF_IJSE_SE_EEES9_SG_JZNS1_25segmented_radix_sort_implINS0_14default_configELb0EPKhPhPKlPlN2at6native12_GLOBAL__N_18offset_tEEE10hipError_tPvRmT1_PNSt15iterator_traitsISY_E10value_typeET2_T3_PNSZ_IS14_E10value_typeET4_jRbjT5_S1A_jjP12ihipStream_tbEUljE_EEESV_SW_SX_S14_S18_S1A_T6_T7_T9_mT8_S1C_bDpT10_ENKUlT_T0_E_clISt17integral_constantIbLb1EES1O_IbLb0EEEEDaS1K_S1L_EUlS1K_E_NS1_11comp_targetILNS1_3genE8ELNS1_11target_archE1030ELNS1_3gpuE2ELNS1_3repE0EEENS1_30default_config_static_selectorELNS0_4arch9wavefront6targetE0EEEvSY_,comdat
.Lfunc_end176:
	.size	_ZN7rocprim17ROCPRIM_400000_NS6detail17trampoline_kernelINS0_13select_configILj256ELj13ELNS0_17block_load_methodE3ELS4_3ELS4_3ELNS0_20block_scan_algorithmE0ELj4294967295EEENS1_25partition_config_selectorILNS1_17partition_subalgoE3EjNS0_10empty_typeEbEEZZNS1_14partition_implILS8_3ELb0ES6_jNS0_17counting_iteratorIjlEEPS9_SE_NS0_5tupleIJPjSE_EEENSF_IJSE_SE_EEES9_SG_JZNS1_25segmented_radix_sort_implINS0_14default_configELb0EPKhPhPKlPlN2at6native12_GLOBAL__N_18offset_tEEE10hipError_tPvRmT1_PNSt15iterator_traitsISY_E10value_typeET2_T3_PNSZ_IS14_E10value_typeET4_jRbjT5_S1A_jjP12ihipStream_tbEUljE_EEESV_SW_SX_S14_S18_S1A_T6_T7_T9_mT8_S1C_bDpT10_ENKUlT_T0_E_clISt17integral_constantIbLb1EES1O_IbLb0EEEEDaS1K_S1L_EUlS1K_E_NS1_11comp_targetILNS1_3genE8ELNS1_11target_archE1030ELNS1_3gpuE2ELNS1_3repE0EEENS1_30default_config_static_selectorELNS0_4arch9wavefront6targetE0EEEvSY_, .Lfunc_end176-_ZN7rocprim17ROCPRIM_400000_NS6detail17trampoline_kernelINS0_13select_configILj256ELj13ELNS0_17block_load_methodE3ELS4_3ELS4_3ELNS0_20block_scan_algorithmE0ELj4294967295EEENS1_25partition_config_selectorILNS1_17partition_subalgoE3EjNS0_10empty_typeEbEEZZNS1_14partition_implILS8_3ELb0ES6_jNS0_17counting_iteratorIjlEEPS9_SE_NS0_5tupleIJPjSE_EEENSF_IJSE_SE_EEES9_SG_JZNS1_25segmented_radix_sort_implINS0_14default_configELb0EPKhPhPKlPlN2at6native12_GLOBAL__N_18offset_tEEE10hipError_tPvRmT1_PNSt15iterator_traitsISY_E10value_typeET2_T3_PNSZ_IS14_E10value_typeET4_jRbjT5_S1A_jjP12ihipStream_tbEUljE_EEESV_SW_SX_S14_S18_S1A_T6_T7_T9_mT8_S1C_bDpT10_ENKUlT_T0_E_clISt17integral_constantIbLb1EES1O_IbLb0EEEEDaS1K_S1L_EUlS1K_E_NS1_11comp_targetILNS1_3genE8ELNS1_11target_archE1030ELNS1_3gpuE2ELNS1_3repE0EEENS1_30default_config_static_selectorELNS0_4arch9wavefront6targetE0EEEvSY_
                                        ; -- End function
	.set _ZN7rocprim17ROCPRIM_400000_NS6detail17trampoline_kernelINS0_13select_configILj256ELj13ELNS0_17block_load_methodE3ELS4_3ELS4_3ELNS0_20block_scan_algorithmE0ELj4294967295EEENS1_25partition_config_selectorILNS1_17partition_subalgoE3EjNS0_10empty_typeEbEEZZNS1_14partition_implILS8_3ELb0ES6_jNS0_17counting_iteratorIjlEEPS9_SE_NS0_5tupleIJPjSE_EEENSF_IJSE_SE_EEES9_SG_JZNS1_25segmented_radix_sort_implINS0_14default_configELb0EPKhPhPKlPlN2at6native12_GLOBAL__N_18offset_tEEE10hipError_tPvRmT1_PNSt15iterator_traitsISY_E10value_typeET2_T3_PNSZ_IS14_E10value_typeET4_jRbjT5_S1A_jjP12ihipStream_tbEUljE_EEESV_SW_SX_S14_S18_S1A_T6_T7_T9_mT8_S1C_bDpT10_ENKUlT_T0_E_clISt17integral_constantIbLb1EES1O_IbLb0EEEEDaS1K_S1L_EUlS1K_E_NS1_11comp_targetILNS1_3genE8ELNS1_11target_archE1030ELNS1_3gpuE2ELNS1_3repE0EEENS1_30default_config_static_selectorELNS0_4arch9wavefront6targetE0EEEvSY_.num_vgpr, 0
	.set _ZN7rocprim17ROCPRIM_400000_NS6detail17trampoline_kernelINS0_13select_configILj256ELj13ELNS0_17block_load_methodE3ELS4_3ELS4_3ELNS0_20block_scan_algorithmE0ELj4294967295EEENS1_25partition_config_selectorILNS1_17partition_subalgoE3EjNS0_10empty_typeEbEEZZNS1_14partition_implILS8_3ELb0ES6_jNS0_17counting_iteratorIjlEEPS9_SE_NS0_5tupleIJPjSE_EEENSF_IJSE_SE_EEES9_SG_JZNS1_25segmented_radix_sort_implINS0_14default_configELb0EPKhPhPKlPlN2at6native12_GLOBAL__N_18offset_tEEE10hipError_tPvRmT1_PNSt15iterator_traitsISY_E10value_typeET2_T3_PNSZ_IS14_E10value_typeET4_jRbjT5_S1A_jjP12ihipStream_tbEUljE_EEESV_SW_SX_S14_S18_S1A_T6_T7_T9_mT8_S1C_bDpT10_ENKUlT_T0_E_clISt17integral_constantIbLb1EES1O_IbLb0EEEEDaS1K_S1L_EUlS1K_E_NS1_11comp_targetILNS1_3genE8ELNS1_11target_archE1030ELNS1_3gpuE2ELNS1_3repE0EEENS1_30default_config_static_selectorELNS0_4arch9wavefront6targetE0EEEvSY_.num_agpr, 0
	.set _ZN7rocprim17ROCPRIM_400000_NS6detail17trampoline_kernelINS0_13select_configILj256ELj13ELNS0_17block_load_methodE3ELS4_3ELS4_3ELNS0_20block_scan_algorithmE0ELj4294967295EEENS1_25partition_config_selectorILNS1_17partition_subalgoE3EjNS0_10empty_typeEbEEZZNS1_14partition_implILS8_3ELb0ES6_jNS0_17counting_iteratorIjlEEPS9_SE_NS0_5tupleIJPjSE_EEENSF_IJSE_SE_EEES9_SG_JZNS1_25segmented_radix_sort_implINS0_14default_configELb0EPKhPhPKlPlN2at6native12_GLOBAL__N_18offset_tEEE10hipError_tPvRmT1_PNSt15iterator_traitsISY_E10value_typeET2_T3_PNSZ_IS14_E10value_typeET4_jRbjT5_S1A_jjP12ihipStream_tbEUljE_EEESV_SW_SX_S14_S18_S1A_T6_T7_T9_mT8_S1C_bDpT10_ENKUlT_T0_E_clISt17integral_constantIbLb1EES1O_IbLb0EEEEDaS1K_S1L_EUlS1K_E_NS1_11comp_targetILNS1_3genE8ELNS1_11target_archE1030ELNS1_3gpuE2ELNS1_3repE0EEENS1_30default_config_static_selectorELNS0_4arch9wavefront6targetE0EEEvSY_.numbered_sgpr, 0
	.set _ZN7rocprim17ROCPRIM_400000_NS6detail17trampoline_kernelINS0_13select_configILj256ELj13ELNS0_17block_load_methodE3ELS4_3ELS4_3ELNS0_20block_scan_algorithmE0ELj4294967295EEENS1_25partition_config_selectorILNS1_17partition_subalgoE3EjNS0_10empty_typeEbEEZZNS1_14partition_implILS8_3ELb0ES6_jNS0_17counting_iteratorIjlEEPS9_SE_NS0_5tupleIJPjSE_EEENSF_IJSE_SE_EEES9_SG_JZNS1_25segmented_radix_sort_implINS0_14default_configELb0EPKhPhPKlPlN2at6native12_GLOBAL__N_18offset_tEEE10hipError_tPvRmT1_PNSt15iterator_traitsISY_E10value_typeET2_T3_PNSZ_IS14_E10value_typeET4_jRbjT5_S1A_jjP12ihipStream_tbEUljE_EEESV_SW_SX_S14_S18_S1A_T6_T7_T9_mT8_S1C_bDpT10_ENKUlT_T0_E_clISt17integral_constantIbLb1EES1O_IbLb0EEEEDaS1K_S1L_EUlS1K_E_NS1_11comp_targetILNS1_3genE8ELNS1_11target_archE1030ELNS1_3gpuE2ELNS1_3repE0EEENS1_30default_config_static_selectorELNS0_4arch9wavefront6targetE0EEEvSY_.num_named_barrier, 0
	.set _ZN7rocprim17ROCPRIM_400000_NS6detail17trampoline_kernelINS0_13select_configILj256ELj13ELNS0_17block_load_methodE3ELS4_3ELS4_3ELNS0_20block_scan_algorithmE0ELj4294967295EEENS1_25partition_config_selectorILNS1_17partition_subalgoE3EjNS0_10empty_typeEbEEZZNS1_14partition_implILS8_3ELb0ES6_jNS0_17counting_iteratorIjlEEPS9_SE_NS0_5tupleIJPjSE_EEENSF_IJSE_SE_EEES9_SG_JZNS1_25segmented_radix_sort_implINS0_14default_configELb0EPKhPhPKlPlN2at6native12_GLOBAL__N_18offset_tEEE10hipError_tPvRmT1_PNSt15iterator_traitsISY_E10value_typeET2_T3_PNSZ_IS14_E10value_typeET4_jRbjT5_S1A_jjP12ihipStream_tbEUljE_EEESV_SW_SX_S14_S18_S1A_T6_T7_T9_mT8_S1C_bDpT10_ENKUlT_T0_E_clISt17integral_constantIbLb1EES1O_IbLb0EEEEDaS1K_S1L_EUlS1K_E_NS1_11comp_targetILNS1_3genE8ELNS1_11target_archE1030ELNS1_3gpuE2ELNS1_3repE0EEENS1_30default_config_static_selectorELNS0_4arch9wavefront6targetE0EEEvSY_.private_seg_size, 0
	.set _ZN7rocprim17ROCPRIM_400000_NS6detail17trampoline_kernelINS0_13select_configILj256ELj13ELNS0_17block_load_methodE3ELS4_3ELS4_3ELNS0_20block_scan_algorithmE0ELj4294967295EEENS1_25partition_config_selectorILNS1_17partition_subalgoE3EjNS0_10empty_typeEbEEZZNS1_14partition_implILS8_3ELb0ES6_jNS0_17counting_iteratorIjlEEPS9_SE_NS0_5tupleIJPjSE_EEENSF_IJSE_SE_EEES9_SG_JZNS1_25segmented_radix_sort_implINS0_14default_configELb0EPKhPhPKlPlN2at6native12_GLOBAL__N_18offset_tEEE10hipError_tPvRmT1_PNSt15iterator_traitsISY_E10value_typeET2_T3_PNSZ_IS14_E10value_typeET4_jRbjT5_S1A_jjP12ihipStream_tbEUljE_EEESV_SW_SX_S14_S18_S1A_T6_T7_T9_mT8_S1C_bDpT10_ENKUlT_T0_E_clISt17integral_constantIbLb1EES1O_IbLb0EEEEDaS1K_S1L_EUlS1K_E_NS1_11comp_targetILNS1_3genE8ELNS1_11target_archE1030ELNS1_3gpuE2ELNS1_3repE0EEENS1_30default_config_static_selectorELNS0_4arch9wavefront6targetE0EEEvSY_.uses_vcc, 0
	.set _ZN7rocprim17ROCPRIM_400000_NS6detail17trampoline_kernelINS0_13select_configILj256ELj13ELNS0_17block_load_methodE3ELS4_3ELS4_3ELNS0_20block_scan_algorithmE0ELj4294967295EEENS1_25partition_config_selectorILNS1_17partition_subalgoE3EjNS0_10empty_typeEbEEZZNS1_14partition_implILS8_3ELb0ES6_jNS0_17counting_iteratorIjlEEPS9_SE_NS0_5tupleIJPjSE_EEENSF_IJSE_SE_EEES9_SG_JZNS1_25segmented_radix_sort_implINS0_14default_configELb0EPKhPhPKlPlN2at6native12_GLOBAL__N_18offset_tEEE10hipError_tPvRmT1_PNSt15iterator_traitsISY_E10value_typeET2_T3_PNSZ_IS14_E10value_typeET4_jRbjT5_S1A_jjP12ihipStream_tbEUljE_EEESV_SW_SX_S14_S18_S1A_T6_T7_T9_mT8_S1C_bDpT10_ENKUlT_T0_E_clISt17integral_constantIbLb1EES1O_IbLb0EEEEDaS1K_S1L_EUlS1K_E_NS1_11comp_targetILNS1_3genE8ELNS1_11target_archE1030ELNS1_3gpuE2ELNS1_3repE0EEENS1_30default_config_static_selectorELNS0_4arch9wavefront6targetE0EEEvSY_.uses_flat_scratch, 0
	.set _ZN7rocprim17ROCPRIM_400000_NS6detail17trampoline_kernelINS0_13select_configILj256ELj13ELNS0_17block_load_methodE3ELS4_3ELS4_3ELNS0_20block_scan_algorithmE0ELj4294967295EEENS1_25partition_config_selectorILNS1_17partition_subalgoE3EjNS0_10empty_typeEbEEZZNS1_14partition_implILS8_3ELb0ES6_jNS0_17counting_iteratorIjlEEPS9_SE_NS0_5tupleIJPjSE_EEENSF_IJSE_SE_EEES9_SG_JZNS1_25segmented_radix_sort_implINS0_14default_configELb0EPKhPhPKlPlN2at6native12_GLOBAL__N_18offset_tEEE10hipError_tPvRmT1_PNSt15iterator_traitsISY_E10value_typeET2_T3_PNSZ_IS14_E10value_typeET4_jRbjT5_S1A_jjP12ihipStream_tbEUljE_EEESV_SW_SX_S14_S18_S1A_T6_T7_T9_mT8_S1C_bDpT10_ENKUlT_T0_E_clISt17integral_constantIbLb1EES1O_IbLb0EEEEDaS1K_S1L_EUlS1K_E_NS1_11comp_targetILNS1_3genE8ELNS1_11target_archE1030ELNS1_3gpuE2ELNS1_3repE0EEENS1_30default_config_static_selectorELNS0_4arch9wavefront6targetE0EEEvSY_.has_dyn_sized_stack, 0
	.set _ZN7rocprim17ROCPRIM_400000_NS6detail17trampoline_kernelINS0_13select_configILj256ELj13ELNS0_17block_load_methodE3ELS4_3ELS4_3ELNS0_20block_scan_algorithmE0ELj4294967295EEENS1_25partition_config_selectorILNS1_17partition_subalgoE3EjNS0_10empty_typeEbEEZZNS1_14partition_implILS8_3ELb0ES6_jNS0_17counting_iteratorIjlEEPS9_SE_NS0_5tupleIJPjSE_EEENSF_IJSE_SE_EEES9_SG_JZNS1_25segmented_radix_sort_implINS0_14default_configELb0EPKhPhPKlPlN2at6native12_GLOBAL__N_18offset_tEEE10hipError_tPvRmT1_PNSt15iterator_traitsISY_E10value_typeET2_T3_PNSZ_IS14_E10value_typeET4_jRbjT5_S1A_jjP12ihipStream_tbEUljE_EEESV_SW_SX_S14_S18_S1A_T6_T7_T9_mT8_S1C_bDpT10_ENKUlT_T0_E_clISt17integral_constantIbLb1EES1O_IbLb0EEEEDaS1K_S1L_EUlS1K_E_NS1_11comp_targetILNS1_3genE8ELNS1_11target_archE1030ELNS1_3gpuE2ELNS1_3repE0EEENS1_30default_config_static_selectorELNS0_4arch9wavefront6targetE0EEEvSY_.has_recursion, 0
	.set _ZN7rocprim17ROCPRIM_400000_NS6detail17trampoline_kernelINS0_13select_configILj256ELj13ELNS0_17block_load_methodE3ELS4_3ELS4_3ELNS0_20block_scan_algorithmE0ELj4294967295EEENS1_25partition_config_selectorILNS1_17partition_subalgoE3EjNS0_10empty_typeEbEEZZNS1_14partition_implILS8_3ELb0ES6_jNS0_17counting_iteratorIjlEEPS9_SE_NS0_5tupleIJPjSE_EEENSF_IJSE_SE_EEES9_SG_JZNS1_25segmented_radix_sort_implINS0_14default_configELb0EPKhPhPKlPlN2at6native12_GLOBAL__N_18offset_tEEE10hipError_tPvRmT1_PNSt15iterator_traitsISY_E10value_typeET2_T3_PNSZ_IS14_E10value_typeET4_jRbjT5_S1A_jjP12ihipStream_tbEUljE_EEESV_SW_SX_S14_S18_S1A_T6_T7_T9_mT8_S1C_bDpT10_ENKUlT_T0_E_clISt17integral_constantIbLb1EES1O_IbLb0EEEEDaS1K_S1L_EUlS1K_E_NS1_11comp_targetILNS1_3genE8ELNS1_11target_archE1030ELNS1_3gpuE2ELNS1_3repE0EEENS1_30default_config_static_selectorELNS0_4arch9wavefront6targetE0EEEvSY_.has_indirect_call, 0
	.section	.AMDGPU.csdata,"",@progbits
; Kernel info:
; codeLenInByte = 0
; TotalNumSgprs: 0
; NumVgprs: 0
; ScratchSize: 0
; MemoryBound: 0
; FloatMode: 240
; IeeeMode: 1
; LDSByteSize: 0 bytes/workgroup (compile time only)
; SGPRBlocks: 0
; VGPRBlocks: 0
; NumSGPRsForWavesPerEU: 1
; NumVGPRsForWavesPerEU: 1
; NamedBarCnt: 0
; Occupancy: 16
; WaveLimiterHint : 0
; COMPUTE_PGM_RSRC2:SCRATCH_EN: 0
; COMPUTE_PGM_RSRC2:USER_SGPR: 2
; COMPUTE_PGM_RSRC2:TRAP_HANDLER: 0
; COMPUTE_PGM_RSRC2:TGID_X_EN: 1
; COMPUTE_PGM_RSRC2:TGID_Y_EN: 0
; COMPUTE_PGM_RSRC2:TGID_Z_EN: 0
; COMPUTE_PGM_RSRC2:TIDIG_COMP_CNT: 0
	.section	.text._ZN7rocprim17ROCPRIM_400000_NS6detail17trampoline_kernelINS0_13select_configILj256ELj13ELNS0_17block_load_methodE3ELS4_3ELS4_3ELNS0_20block_scan_algorithmE0ELj4294967295EEENS1_25partition_config_selectorILNS1_17partition_subalgoE3EjNS0_10empty_typeEbEEZZNS1_14partition_implILS8_3ELb0ES6_jNS0_17counting_iteratorIjlEEPS9_SE_NS0_5tupleIJPjSE_EEENSF_IJSE_SE_EEES9_SG_JZNS1_25segmented_radix_sort_implINS0_14default_configELb0EPKhPhPKlPlN2at6native12_GLOBAL__N_18offset_tEEE10hipError_tPvRmT1_PNSt15iterator_traitsISY_E10value_typeET2_T3_PNSZ_IS14_E10value_typeET4_jRbjT5_S1A_jjP12ihipStream_tbEUljE_EEESV_SW_SX_S14_S18_S1A_T6_T7_T9_mT8_S1C_bDpT10_ENKUlT_T0_E_clISt17integral_constantIbLb0EES1O_IbLb1EEEEDaS1K_S1L_EUlS1K_E_NS1_11comp_targetILNS1_3genE0ELNS1_11target_archE4294967295ELNS1_3gpuE0ELNS1_3repE0EEENS1_30default_config_static_selectorELNS0_4arch9wavefront6targetE0EEEvSY_,"axG",@progbits,_ZN7rocprim17ROCPRIM_400000_NS6detail17trampoline_kernelINS0_13select_configILj256ELj13ELNS0_17block_load_methodE3ELS4_3ELS4_3ELNS0_20block_scan_algorithmE0ELj4294967295EEENS1_25partition_config_selectorILNS1_17partition_subalgoE3EjNS0_10empty_typeEbEEZZNS1_14partition_implILS8_3ELb0ES6_jNS0_17counting_iteratorIjlEEPS9_SE_NS0_5tupleIJPjSE_EEENSF_IJSE_SE_EEES9_SG_JZNS1_25segmented_radix_sort_implINS0_14default_configELb0EPKhPhPKlPlN2at6native12_GLOBAL__N_18offset_tEEE10hipError_tPvRmT1_PNSt15iterator_traitsISY_E10value_typeET2_T3_PNSZ_IS14_E10value_typeET4_jRbjT5_S1A_jjP12ihipStream_tbEUljE_EEESV_SW_SX_S14_S18_S1A_T6_T7_T9_mT8_S1C_bDpT10_ENKUlT_T0_E_clISt17integral_constantIbLb0EES1O_IbLb1EEEEDaS1K_S1L_EUlS1K_E_NS1_11comp_targetILNS1_3genE0ELNS1_11target_archE4294967295ELNS1_3gpuE0ELNS1_3repE0EEENS1_30default_config_static_selectorELNS0_4arch9wavefront6targetE0EEEvSY_,comdat
	.globl	_ZN7rocprim17ROCPRIM_400000_NS6detail17trampoline_kernelINS0_13select_configILj256ELj13ELNS0_17block_load_methodE3ELS4_3ELS4_3ELNS0_20block_scan_algorithmE0ELj4294967295EEENS1_25partition_config_selectorILNS1_17partition_subalgoE3EjNS0_10empty_typeEbEEZZNS1_14partition_implILS8_3ELb0ES6_jNS0_17counting_iteratorIjlEEPS9_SE_NS0_5tupleIJPjSE_EEENSF_IJSE_SE_EEES9_SG_JZNS1_25segmented_radix_sort_implINS0_14default_configELb0EPKhPhPKlPlN2at6native12_GLOBAL__N_18offset_tEEE10hipError_tPvRmT1_PNSt15iterator_traitsISY_E10value_typeET2_T3_PNSZ_IS14_E10value_typeET4_jRbjT5_S1A_jjP12ihipStream_tbEUljE_EEESV_SW_SX_S14_S18_S1A_T6_T7_T9_mT8_S1C_bDpT10_ENKUlT_T0_E_clISt17integral_constantIbLb0EES1O_IbLb1EEEEDaS1K_S1L_EUlS1K_E_NS1_11comp_targetILNS1_3genE0ELNS1_11target_archE4294967295ELNS1_3gpuE0ELNS1_3repE0EEENS1_30default_config_static_selectorELNS0_4arch9wavefront6targetE0EEEvSY_ ; -- Begin function _ZN7rocprim17ROCPRIM_400000_NS6detail17trampoline_kernelINS0_13select_configILj256ELj13ELNS0_17block_load_methodE3ELS4_3ELS4_3ELNS0_20block_scan_algorithmE0ELj4294967295EEENS1_25partition_config_selectorILNS1_17partition_subalgoE3EjNS0_10empty_typeEbEEZZNS1_14partition_implILS8_3ELb0ES6_jNS0_17counting_iteratorIjlEEPS9_SE_NS0_5tupleIJPjSE_EEENSF_IJSE_SE_EEES9_SG_JZNS1_25segmented_radix_sort_implINS0_14default_configELb0EPKhPhPKlPlN2at6native12_GLOBAL__N_18offset_tEEE10hipError_tPvRmT1_PNSt15iterator_traitsISY_E10value_typeET2_T3_PNSZ_IS14_E10value_typeET4_jRbjT5_S1A_jjP12ihipStream_tbEUljE_EEESV_SW_SX_S14_S18_S1A_T6_T7_T9_mT8_S1C_bDpT10_ENKUlT_T0_E_clISt17integral_constantIbLb0EES1O_IbLb1EEEEDaS1K_S1L_EUlS1K_E_NS1_11comp_targetILNS1_3genE0ELNS1_11target_archE4294967295ELNS1_3gpuE0ELNS1_3repE0EEENS1_30default_config_static_selectorELNS0_4arch9wavefront6targetE0EEEvSY_
	.p2align	8
	.type	_ZN7rocprim17ROCPRIM_400000_NS6detail17trampoline_kernelINS0_13select_configILj256ELj13ELNS0_17block_load_methodE3ELS4_3ELS4_3ELNS0_20block_scan_algorithmE0ELj4294967295EEENS1_25partition_config_selectorILNS1_17partition_subalgoE3EjNS0_10empty_typeEbEEZZNS1_14partition_implILS8_3ELb0ES6_jNS0_17counting_iteratorIjlEEPS9_SE_NS0_5tupleIJPjSE_EEENSF_IJSE_SE_EEES9_SG_JZNS1_25segmented_radix_sort_implINS0_14default_configELb0EPKhPhPKlPlN2at6native12_GLOBAL__N_18offset_tEEE10hipError_tPvRmT1_PNSt15iterator_traitsISY_E10value_typeET2_T3_PNSZ_IS14_E10value_typeET4_jRbjT5_S1A_jjP12ihipStream_tbEUljE_EEESV_SW_SX_S14_S18_S1A_T6_T7_T9_mT8_S1C_bDpT10_ENKUlT_T0_E_clISt17integral_constantIbLb0EES1O_IbLb1EEEEDaS1K_S1L_EUlS1K_E_NS1_11comp_targetILNS1_3genE0ELNS1_11target_archE4294967295ELNS1_3gpuE0ELNS1_3repE0EEENS1_30default_config_static_selectorELNS0_4arch9wavefront6targetE0EEEvSY_,@function
_ZN7rocprim17ROCPRIM_400000_NS6detail17trampoline_kernelINS0_13select_configILj256ELj13ELNS0_17block_load_methodE3ELS4_3ELS4_3ELNS0_20block_scan_algorithmE0ELj4294967295EEENS1_25partition_config_selectorILNS1_17partition_subalgoE3EjNS0_10empty_typeEbEEZZNS1_14partition_implILS8_3ELb0ES6_jNS0_17counting_iteratorIjlEEPS9_SE_NS0_5tupleIJPjSE_EEENSF_IJSE_SE_EEES9_SG_JZNS1_25segmented_radix_sort_implINS0_14default_configELb0EPKhPhPKlPlN2at6native12_GLOBAL__N_18offset_tEEE10hipError_tPvRmT1_PNSt15iterator_traitsISY_E10value_typeET2_T3_PNSZ_IS14_E10value_typeET4_jRbjT5_S1A_jjP12ihipStream_tbEUljE_EEESV_SW_SX_S14_S18_S1A_T6_T7_T9_mT8_S1C_bDpT10_ENKUlT_T0_E_clISt17integral_constantIbLb0EES1O_IbLb1EEEEDaS1K_S1L_EUlS1K_E_NS1_11comp_targetILNS1_3genE0ELNS1_11target_archE4294967295ELNS1_3gpuE0ELNS1_3repE0EEENS1_30default_config_static_selectorELNS0_4arch9wavefront6targetE0EEEvSY_: ; @_ZN7rocprim17ROCPRIM_400000_NS6detail17trampoline_kernelINS0_13select_configILj256ELj13ELNS0_17block_load_methodE3ELS4_3ELS4_3ELNS0_20block_scan_algorithmE0ELj4294967295EEENS1_25partition_config_selectorILNS1_17partition_subalgoE3EjNS0_10empty_typeEbEEZZNS1_14partition_implILS8_3ELb0ES6_jNS0_17counting_iteratorIjlEEPS9_SE_NS0_5tupleIJPjSE_EEENSF_IJSE_SE_EEES9_SG_JZNS1_25segmented_radix_sort_implINS0_14default_configELb0EPKhPhPKlPlN2at6native12_GLOBAL__N_18offset_tEEE10hipError_tPvRmT1_PNSt15iterator_traitsISY_E10value_typeET2_T3_PNSZ_IS14_E10value_typeET4_jRbjT5_S1A_jjP12ihipStream_tbEUljE_EEESV_SW_SX_S14_S18_S1A_T6_T7_T9_mT8_S1C_bDpT10_ENKUlT_T0_E_clISt17integral_constantIbLb0EES1O_IbLb1EEEEDaS1K_S1L_EUlS1K_E_NS1_11comp_targetILNS1_3genE0ELNS1_11target_archE4294967295ELNS1_3gpuE0ELNS1_3repE0EEENS1_30default_config_static_selectorELNS0_4arch9wavefront6targetE0EEEvSY_
; %bb.0:
	s_clause 0x5
	s_load_b64 s[16:17], s[0:1], 0x10
	s_load_b128 s[12:15], s[0:1], 0x48
	s_load_b64 s[18:19], s[0:1], 0x58
	s_load_b64 s[20:21], s[0:1], 0x68
	s_load_b32 s3, s[0:1], 0x90
	s_load_b128 s[4:7], s[0:1], 0x80
	v_cmp_eq_u32_e64 s2, 0, v0
	s_and_saveexec_b32 s8, s2
	s_cbranch_execz .LBB177_4
; %bb.1:
	s_mov_b32 s10, exec_lo
	s_mov_b32 s9, exec_lo
	v_mbcnt_lo_u32_b32 v1, s10, 0
                                        ; implicit-def: $vgpr2
	s_delay_alu instid0(VALU_DEP_1)
	v_cmpx_eq_u32_e32 0, v1
	s_cbranch_execz .LBB177_3
; %bb.2:
	s_load_b64 s[22:23], s[0:1], 0x78
	s_bcnt1_i32_b32 s10, s10
	s_delay_alu instid0(SALU_CYCLE_1)
	v_dual_mov_b32 v2, 0 :: v_dual_mov_b32 v3, s10
	s_wait_xcnt 0x0
	s_wait_kmcnt 0x0
	global_atomic_add_u32 v2, v2, v3, s[22:23] th:TH_ATOMIC_RETURN scope:SCOPE_DEV
.LBB177_3:
	s_wait_xcnt 0x0
	s_or_b32 exec_lo, exec_lo, s9
	s_wait_loadcnt 0x0
	v_readfirstlane_b32 s9, v2
	s_delay_alu instid0(VALU_DEP_1)
	v_dual_mov_b32 v2, 0 :: v_dual_add_nc_u32 v1, s9, v1
	ds_store_b32 v2, v1
.LBB177_4:
	s_or_b32 exec_lo, exec_lo, s8
	v_dual_mov_b32 v1, 0 :: v_dual_lshlrev_b32 v19, 2, v0
	s_clause 0x2
	s_load_b32 s8, s[0:1], 0x8
	s_load_b64 s[10:11], s[0:1], 0x28
	s_load_b32 s9, s[0:1], 0x70
	s_wait_dscnt 0x0
	s_barrier_signal -1
	s_barrier_wait -1
	ds_load_b32 v4, v1
	s_wait_dscnt 0x0
	s_barrier_signal -1
	s_barrier_wait -1
	s_wait_kmcnt 0x0
	global_load_b64 v[42:43], v1, s[14:15]
	s_mov_b32 s1, 0
	s_add_co_i32 s8, s8, s16
	s_mul_i32 s0, s9, 0xd00
	s_add_co_i32 s9, s9, -1
	s_wait_xcnt 0x0
	s_add_nc_u64 s[14:15], s[16:17], s[0:1]
	s_add_co_i32 s0, s0, s16
	v_cmp_gt_u64_e64 s1, s[18:19], s[14:15]
	v_readfirstlane_b32 s23, v4
	s_sub_co_i32 s22, s18, s0
	v_cmp_ne_u32_e32 vcc_lo, s9, v4
	s_addk_co_i32 s22, 0xd00
	s_mov_b32 s15, -1
	s_cmp_eq_u32 s23, s9
	s_mul_i32 s14, s23, 0xd00
	s_cselect_b32 s9, -1, 0
	s_or_b32 s1, s1, vcc_lo
	s_delay_alu instid0(SALU_CYCLE_1)
	s_and_b32 vcc_lo, exec_lo, s1
	s_cbranch_vccz .LBB177_6
; %bb.5:
	v_add3_u32 v1, s14, s8, v0
	s_mov_b32 s15, 0
	s_delay_alu instid0(VALU_DEP_1)
	v_add_nc_u32_e32 v2, 0x100, v1
	v_add_nc_u32_e32 v3, 0x200, v1
	;; [unrolled: 1-line block ×12, first 2 shown]
	ds_store_2addr_stride64_b32 v19, v1, v2 offset1:4
	ds_store_2addr_stride64_b32 v19, v3, v5 offset0:8 offset1:12
	ds_store_2addr_stride64_b32 v19, v6, v7 offset0:16 offset1:20
	;; [unrolled: 1-line block ×5, first 2 shown]
	ds_store_b32 v19, v14 offset:12288
	s_wait_loadcnt_dscnt 0x0
	s_barrier_signal -1
	s_barrier_wait -1
.LBB177_6:
	v_cmp_gt_u32_e64 s0, s22, v0
	v_or_b32_e32 v40, 0x100, v0
	v_or_b32_e32 v38, 0x200, v0
	;; [unrolled: 1-line block ×12, first 2 shown]
	s_and_not1_b32 vcc_lo, exec_lo, s15
	s_cbranch_vccnz .LBB177_8
; %bb.7:
	s_add_co_i32 s8, s14, s8
	v_cmp_gt_u32_e32 vcc_lo, s22, v40
	v_dual_add_nc_u32 v1, s8, v0 :: v_dual_add_nc_u32 v3, s8, v38
	v_dual_add_nc_u32 v2, s8, v40 :: v_dual_add_nc_u32 v8, s8, v30
	s_delay_alu instid0(VALU_DEP_2) | instskip(NEXT) | instid1(VALU_DEP_2)
	v_dual_add_nc_u32 v9, s8, v28 :: v_dual_cndmask_b32 v1, 0, v1, s0
	v_dual_cndmask_b32 v2, 0, v2 :: v_dual_add_nc_u32 v5, s8, v36
	v_cmp_gt_u32_e32 vcc_lo, s22, v38
	v_dual_add_nc_u32 v12, s8, v22 :: v_dual_add_nc_u32 v13, s8, v20
	v_dual_add_nc_u32 v6, s8, v34 :: v_dual_add_nc_u32 v7, s8, v32
	v_cndmask_b32_e32 v3, 0, v3, vcc_lo
	v_cmp_gt_u32_e32 vcc_lo, s22, v36
	v_dual_add_nc_u32 v10, s8, v26 :: v_dual_add_nc_u32 v11, s8, v24
	v_cndmask_b32_e32 v5, 0, v5, vcc_lo
	v_cmp_gt_u32_e32 vcc_lo, s22, v34
	v_cndmask_b32_e32 v6, 0, v6, vcc_lo
	v_cmp_gt_u32_e32 vcc_lo, s22, v32
	v_cndmask_b32_e32 v7, 0, v7, vcc_lo
	v_cmp_gt_u32_e32 vcc_lo, s22, v30
	v_cndmask_b32_e32 v8, 0, v8, vcc_lo
	v_cmp_gt_u32_e32 vcc_lo, s22, v28
	v_cndmask_b32_e32 v9, 0, v9, vcc_lo
	v_cmp_gt_u32_e32 vcc_lo, s22, v26
	v_cndmask_b32_e32 v10, 0, v10, vcc_lo
	v_cmp_gt_u32_e32 vcc_lo, s22, v24
	v_cndmask_b32_e32 v11, 0, v11, vcc_lo
	v_cmp_gt_u32_e32 vcc_lo, s22, v22
	v_dual_add_nc_u32 v14, s8, v18 :: v_dual_cndmask_b32 v12, 0, v12, vcc_lo
	v_cmp_gt_u32_e32 vcc_lo, s22, v20
	v_cndmask_b32_e32 v13, 0, v13, vcc_lo
	v_cmp_gt_u32_e32 vcc_lo, s22, v18
	s_delay_alu instid0(VALU_DEP_4)
	v_cndmask_b32_e32 v14, 0, v14, vcc_lo
	ds_store_2addr_stride64_b32 v19, v1, v2 offset1:4
	ds_store_2addr_stride64_b32 v19, v3, v5 offset0:8 offset1:12
	ds_store_2addr_stride64_b32 v19, v6, v7 offset0:16 offset1:20
	;; [unrolled: 1-line block ×5, first 2 shown]
	ds_store_b32 v19, v14 offset:12288
	s_wait_loadcnt_dscnt 0x0
	s_barrier_signal -1
	s_barrier_wait -1
.LBB177_8:
	v_mul_u32_u24_e32 v23, 13, v0
	s_wait_loadcnt 0x0
	v_cndmask_b32_e64 v21, 0, 1, s1
	s_and_not1_b32 vcc_lo, exec_lo, s1
	s_delay_alu instid0(VALU_DEP_2)
	v_lshlrev_b32_e32 v2, 2, v23
	ds_load_2addr_b32 v[52:53], v2 offset0:2 offset1:3
	ds_load_2addr_b32 v[48:49], v2 offset0:6 offset1:7
	;; [unrolled: 1-line block ×3, first 2 shown]
	ds_load_2addr_b32 v[54:55], v2 offset1:1
	ds_load_2addr_b32 v[44:45], v2 offset0:10 offset1:11
	ds_load_b32 v1, v2 offset:48
	ds_load_2addr_b32 v[46:47], v2 offset0:8 offset1:9
	s_wait_dscnt 0x0
	s_barrier_signal -1
	s_barrier_wait -1
	s_cbranch_vccnz .LBB177_10
; %bb.9:
	v_dual_add_nc_u32 v2, s5, v53 :: v_dual_add_nc_u32 v3, s5, v55
	v_dual_add_nc_u32 v5, s5, v54 :: v_dual_add_nc_u32 v6, s5, v52
	;; [unrolled: 1-line block ×4, first 2 shown]
	s_delay_alu instid0(VALU_DEP_3) | instskip(NEXT) | instid1(VALU_DEP_4)
	v_mul_lo_u32 v6, v6, s4
	v_mul_lo_u32 v5, v5, s4
	;; [unrolled: 1-line block ×8, first 2 shown]
	v_dual_add_nc_u32 v11, s5, v50 :: v_dual_add_nc_u32 v12, s7, v50
	v_dual_add_nc_u32 v13, s5, v48 :: v_dual_add_nc_u32 v15, s7, v45
	v_add_nc_u32_e32 v16, s5, v44
	s_delay_alu instid0(VALU_DEP_3) | instskip(NEXT) | instid1(VALU_DEP_4)
	v_mul_lo_u32 v11, v11, s4
	v_mul_lo_u32 v12, v12, s6
	v_dual_sub_nc_u32 v2, v2, v7 :: v_dual_sub_nc_u32 v3, v3, v8
	v_dual_sub_nc_u32 v5, v5, v9 :: v_dual_sub_nc_u32 v6, v6, v10
	v_dual_add_nc_u32 v7, s5, v51 :: v_dual_add_nc_u32 v8, s7, v51
	v_dual_add_nc_u32 v9, s5, v49 :: v_dual_add_nc_u32 v10, s7, v49
	s_delay_alu instid0(VALU_DEP_4) | instskip(NEXT) | instid1(VALU_DEP_3)
	v_cmp_lt_u32_e32 vcc_lo, s3, v2
	v_mul_lo_u32 v7, v7, s4
	s_delay_alu instid0(VALU_DEP_4) | instskip(NEXT) | instid1(VALU_DEP_4)
	v_mul_lo_u32 v8, v8, s6
	v_mul_lo_u32 v9, v9, s4
	;; [unrolled: 1-line block ×3, first 2 shown]
	v_cndmask_b32_e64 v2, 0, 1, vcc_lo
	v_cmp_lt_u32_e32 vcc_lo, s3, v3
	v_dual_add_nc_u32 v17, s7, v47 :: v_dual_add_nc_u32 v25, s7, v46
	v_mul_lo_u32 v15, v15, s6
	v_add_nc_u32_e32 v14, s5, v46
	v_cndmask_b32_e64 v3, 0, 1, vcc_lo
	s_delay_alu instid0(VALU_DEP_4) | instskip(SKIP_4) | instid1(VALU_DEP_3)
	v_mul_lo_u32 v17, v17, s6
	v_sub_nc_u32_e32 v7, v7, v8
	v_dual_add_nc_u32 v8, s7, v48 :: v_dual_sub_nc_u32 v9, v9, v10
	v_dual_sub_nc_u32 v10, v11, v12 :: v_dual_add_nc_u32 v11, s5, v45
	v_mul_lo_u32 v13, v13, s4
	v_mul_lo_u32 v8, v8, s6
	v_add_nc_u32_e32 v12, s5, v47
	v_cmp_lt_u32_e32 vcc_lo, s3, v7
	v_mul_lo_u32 v11, v11, s4
	v_lshlrev_b16 v3, 8, v3
	v_mul_lo_u32 v14, v14, s4
	v_mul_lo_u32 v12, v12, s4
	v_cndmask_b32_e64 v7, 0, 1, vcc_lo
	v_cmp_lt_u32_e32 vcc_lo, s3, v9
	v_lshrrev_b32_e32 v3, 8, v3
	v_mul_lo_u32 v25, v25, s6
	v_sub_nc_u32_e32 v8, v13, v8
	v_lshlrev_b16 v7, 8, v7
	v_cndmask_b32_e64 v9, 0, 1, vcc_lo
	v_sub_nc_u32_e32 v11, v11, v15
	v_cmp_lt_u32_e32 vcc_lo, s3, v5
	s_delay_alu instid0(VALU_DEP_4)
	v_dual_add_nc_u32 v27, s7, v44 :: v_dual_lshrrev_b32 v7, 8, v7
	v_sub_nc_u32_e32 v12, v12, v17
	v_mul_lo_u32 v13, v16, s4
	v_cndmask_b32_e64 v5, 0, 1, vcc_lo
	v_cmp_lt_u32_e32 vcc_lo, s3, v11
	v_mul_lo_u32 v16, v27, s6
	v_dual_add_nc_u32 v15, s5, v1 :: v_dual_add_nc_u32 v27, s7, v1
	v_lshlrev_b16 v2, 8, v2
	v_cndmask_b32_e64 v11, 0, 1, vcc_lo
	v_cmp_lt_u32_e32 vcc_lo, s3, v12
	s_delay_alu instid0(VALU_DEP_4)
	v_mul_lo_u32 v15, v15, s4
	v_mul_lo_u32 v17, v27, s6
	v_sub_nc_u32_e32 v14, v14, v25
	v_lshlrev_b16 v3, 8, v3
	v_cndmask_b32_e64 v12, 0, 1, vcc_lo
	v_cmp_lt_u32_e32 vcc_lo, s3, v6
	v_dual_sub_nc_u32 v13, v13, v16 :: v_dual_lshrrev_b32 v2, 8, v2
	s_delay_alu instid0(VALU_DEP_4)
	v_or_b32_e32 v3, v5, v3
	v_lshlrev_b16 v5, 8, v11
	v_cndmask_b32_e64 v6, 0, 1, vcc_lo
	v_cmp_lt_u32_e32 vcc_lo, s3, v10
	v_lshlrev_b16 v11, 8, v12
	v_lshlrev_b16 v9, 8, v9
	v_sub_nc_u32_e32 v12, v15, v17
	v_lshlrev_b16 v2, 8, v2
	v_cndmask_b32_e64 v10, 0, 1, vcc_lo
	v_cmp_lt_u32_e32 vcc_lo, s3, v8
	v_lshlrev_b16 v7, 8, v7
	v_dual_lshrrev_b32 v11, 8, v11 :: v_dual_lshrrev_b32 v5, 8, v5
	v_or_b32_e32 v2, v6, v2
	v_cndmask_b32_e64 v8, 0, 1, vcc_lo
	v_cmp_lt_u32_e32 vcc_lo, s3, v14
	s_delay_alu instid0(VALU_DEP_4)
	v_lshlrev_b16 v11, 8, v11
	v_lshlrev_b16 v5, 8, v5
	v_dual_lshlrev_b32 v2, 16, v2 :: v_dual_bitop2_b32 v6, v10, v7 bitop3:0x54
	v_cndmask_b32_e64 v14, 0, 1, vcc_lo
	v_cmp_lt_u32_e32 vcc_lo, s3, v13
	v_or_b32_e32 v7, v8, v9
	v_and_b32_e32 v3, 0xffff, v3
	v_and_b32_e32 v6, 0xffff, v6
	v_cndmask_b32_e64 v13, 0, 1, vcc_lo
	s_delay_alu instid0(VALU_DEP_4) | instskip(SKIP_2) | instid1(VALU_DEP_4)
	v_lshlrev_b32_e32 v7, 16, v7
	v_cmp_lt_u32_e32 vcc_lo, s3, v12
	v_or_b32_e32 v35, v3, v2
	v_or_b32_e32 v5, v13, v5
	;; [unrolled: 1-line block ×3, first 2 shown]
	v_cndmask_b32_e64 v25, 0, 1, vcc_lo
	s_delay_alu instid0(VALU_DEP_3) | instskip(NEXT) | instid1(VALU_DEP_3)
	v_dual_lshlrev_b32 v5, 16, v5 :: v_dual_bitop2_b32 v31, v6, v7 bitop3:0x54
	v_and_b32_e32 v8, 0xffff, v8
	s_delay_alu instid0(VALU_DEP_1)
	v_or_b32_e32 v27, v8, v5
	s_cbranch_execz .LBB177_11
	s_branch .LBB177_38
.LBB177_10:
                                        ; implicit-def: $vgpr25
                                        ; implicit-def: $vgpr27
                                        ; implicit-def: $vgpr31
                                        ; implicit-def: $vgpr35
.LBB177_11:
	v_dual_mov_b32 v3, 0 :: v_dual_mov_b32 v2, 0
	s_mov_b32 s0, exec_lo
	v_cmpx_gt_u32_e64 s22, v23
	s_cbranch_execz .LBB177_13
; %bb.12:
	v_dual_add_nc_u32 v2, s5, v54 :: v_dual_add_nc_u32 v5, s7, v54
	s_delay_alu instid0(VALU_DEP_1) | instskip(NEXT) | instid1(VALU_DEP_2)
	v_mul_lo_u32 v2, v2, s4
	v_mul_lo_u32 v5, v5, s6
	s_delay_alu instid0(VALU_DEP_1) | instskip(NEXT) | instid1(VALU_DEP_1)
	v_sub_nc_u32_e32 v2, v2, v5
	v_cmp_lt_u32_e32 vcc_lo, s3, v2
	v_cndmask_b32_e64 v2, 0, 1, vcc_lo
.LBB177_13:
	s_or_b32 exec_lo, exec_lo, s0
	v_add_nc_u32_e32 v5, 1, v23
	s_mov_b32 s0, exec_lo
	s_delay_alu instid0(VALU_DEP_1)
	v_cmpx_gt_u32_e64 s22, v5
	s_cbranch_execz .LBB177_15
; %bb.14:
	v_dual_add_nc_u32 v3, s5, v55 :: v_dual_add_nc_u32 v5, s7, v55
	s_delay_alu instid0(VALU_DEP_1) | instskip(NEXT) | instid1(VALU_DEP_2)
	v_mul_lo_u32 v3, v3, s4
	v_mul_lo_u32 v5, v5, s6
	s_delay_alu instid0(VALU_DEP_1) | instskip(NEXT) | instid1(VALU_DEP_1)
	v_sub_nc_u32_e32 v3, v3, v5
	v_cmp_lt_u32_e32 vcc_lo, s3, v3
	v_cndmask_b32_e64 v3, 0, 1, vcc_lo
.LBB177_15:
	s_or_b32 exec_lo, exec_lo, s0
	v_dual_mov_b32 v6, 0 :: v_dual_add_nc_u32 v5, 2, v23
	s_delay_alu instid0(VALU_DEP_1)
	v_cmp_gt_u32_e32 vcc_lo, s22, v5
	v_mov_b32_e32 v5, 0
	s_and_saveexec_b32 s0, vcc_lo
	s_cbranch_execz .LBB177_17
; %bb.16:
	v_dual_add_nc_u32 v5, s5, v52 :: v_dual_add_nc_u32 v7, s7, v52
	s_delay_alu instid0(VALU_DEP_1) | instskip(NEXT) | instid1(VALU_DEP_2)
	v_mul_lo_u32 v5, v5, s4
	v_mul_lo_u32 v7, v7, s6
	s_delay_alu instid0(VALU_DEP_1) | instskip(NEXT) | instid1(VALU_DEP_1)
	v_sub_nc_u32_e32 v5, v5, v7
	v_cmp_lt_u32_e32 vcc_lo, s3, v5
	v_cndmask_b32_e64 v5, 0, 1, vcc_lo
.LBB177_17:
	s_or_b32 exec_lo, exec_lo, s0
	v_add_nc_u32_e32 v7, 3, v23
	s_mov_b32 s0, exec_lo
	s_delay_alu instid0(VALU_DEP_1)
	v_cmpx_gt_u32_e64 s22, v7
	s_cbranch_execz .LBB177_19
; %bb.18:
	v_dual_add_nc_u32 v6, s5, v53 :: v_dual_add_nc_u32 v7, s7, v53
	s_delay_alu instid0(VALU_DEP_1) | instskip(NEXT) | instid1(VALU_DEP_2)
	v_mul_lo_u32 v6, v6, s4
	v_mul_lo_u32 v7, v7, s6
	s_delay_alu instid0(VALU_DEP_1) | instskip(NEXT) | instid1(VALU_DEP_1)
	v_sub_nc_u32_e32 v6, v6, v7
	v_cmp_lt_u32_e32 vcc_lo, s3, v6
	v_cndmask_b32_e64 v6, 0, 1, vcc_lo
.LBB177_19:
	s_or_b32 exec_lo, exec_lo, s0
	v_dual_mov_b32 v8, 0 :: v_dual_add_nc_u32 v7, 4, v23
	s_delay_alu instid0(VALU_DEP_1)
	v_cmp_gt_u32_e32 vcc_lo, s22, v7
	v_mov_b32_e32 v7, 0
	s_and_saveexec_b32 s0, vcc_lo
	;; [unrolled: 33-line block ×5, first 2 shown]
	s_cbranch_execz .LBB177_33
; %bb.32:
	v_dual_add_nc_u32 v13, s5, v44 :: v_dual_add_nc_u32 v15, s7, v44
	s_delay_alu instid0(VALU_DEP_1) | instskip(NEXT) | instid1(VALU_DEP_2)
	v_mul_lo_u32 v13, v13, s4
	v_mul_lo_u32 v15, v15, s6
	s_delay_alu instid0(VALU_DEP_1) | instskip(NEXT) | instid1(VALU_DEP_1)
	v_sub_nc_u32_e32 v13, v13, v15
	v_cmp_lt_u32_e32 vcc_lo, s3, v13
	v_cndmask_b32_e64 v13, 0, 1, vcc_lo
.LBB177_33:
	s_or_b32 exec_lo, exec_lo, s0
	v_add_nc_u32_e32 v15, 11, v23
	s_mov_b32 s0, exec_lo
	s_delay_alu instid0(VALU_DEP_1)
	v_cmpx_gt_u32_e64 s22, v15
	s_cbranch_execz .LBB177_35
; %bb.34:
	v_dual_add_nc_u32 v14, s5, v45 :: v_dual_add_nc_u32 v15, s7, v45
	s_delay_alu instid0(VALU_DEP_1) | instskip(NEXT) | instid1(VALU_DEP_2)
	v_mul_lo_u32 v14, v14, s4
	v_mul_lo_u32 v15, v15, s6
	s_delay_alu instid0(VALU_DEP_1) | instskip(NEXT) | instid1(VALU_DEP_1)
	v_sub_nc_u32_e32 v14, v14, v15
	v_cmp_lt_u32_e32 vcc_lo, s3, v14
	v_cndmask_b32_e64 v14, 0, 1, vcc_lo
.LBB177_35:
	s_or_b32 exec_lo, exec_lo, s0
	v_dual_add_nc_u32 v15, 12, v23 :: v_dual_mov_b32 v25, 0
	s_mov_b32 s0, exec_lo
	s_delay_alu instid0(VALU_DEP_1)
	v_cmpx_gt_u32_e64 s22, v15
	s_cbranch_execz .LBB177_37
; %bb.36:
	v_dual_add_nc_u32 v15, s7, v1 :: v_dual_add_nc_u32 v16, s5, v1
	s_delay_alu instid0(VALU_DEP_1) | instskip(NEXT) | instid1(VALU_DEP_2)
	v_mul_lo_u32 v15, v15, s6
	v_mul_lo_u32 v16, v16, s4
	s_delay_alu instid0(VALU_DEP_1) | instskip(NEXT) | instid1(VALU_DEP_1)
	v_sub_nc_u32_e32 v15, v16, v15
	v_cmp_lt_u32_e32 vcc_lo, s3, v15
	v_cndmask_b32_e64 v25, 0, 1, vcc_lo
.LBB177_37:
	s_or_b32 exec_lo, exec_lo, s0
	v_lshlrev_b16 v6, 8, v6
	v_lshlrev_b16 v8, 8, v8
	;; [unrolled: 1-line block ×5, first 2 shown]
	v_or_b32_e32 v5, v5, v6
	v_or_b32_e32 v6, v7, v8
	;; [unrolled: 1-line block ×3, first 2 shown]
	s_delay_alu instid0(VALU_DEP_1) | instskip(NEXT) | instid1(VALU_DEP_4)
	v_dual_lshlrev_b32 v7, 16, v7 :: v_dual_bitop2_b32 v8, v11, v12 bitop3:0x54
	v_dual_lshlrev_b32 v5, 16, v5 :: v_dual_bitop2_b32 v2, v2, v3 bitop3:0x54
	v_lshlrev_b16 v3, 8, v14
	s_delay_alu instid0(VALU_DEP_3) | instskip(NEXT) | instid1(VALU_DEP_3)
	v_and_b32_e32 v8, 0xffff, v8
	v_and_b32_e32 v2, 0xffff, v2
	s_delay_alu instid0(VALU_DEP_3) | instskip(NEXT) | instid1(VALU_DEP_1)
	v_or_b32_e32 v3, v13, v3
	v_dual_lshlrev_b32 v3, 16, v3 :: v_dual_bitop2_b32 v35, v2, v5 bitop3:0x54
	v_and_b32_e32 v6, 0xffff, v6
	s_delay_alu instid0(VALU_DEP_2) | instskip(NEXT) | instid1(VALU_DEP_2)
	v_or_b32_e32 v27, v8, v3
	v_or_b32_e32 v31, v6, v7
.LBB177_38:
	s_delay_alu instid0(VALU_DEP_4) | instskip(SKIP_2) | instid1(VALU_DEP_4)
	v_bfe_u32 v39, v35, 16, 8
	v_bfe_u32 v41, v35, 8, 8
	v_and_b32_e32 v57, 0xff, v35
	v_and_b32_e32 v58, 0xff, v31
	v_mbcnt_lo_u32_b32 v64, -1, 0
	v_lshrrev_b32_e32 v37, 24, v35
	v_bfe_u32 v59, v31, 16, 8
	v_add3_u32 v2, v41, v57, v39
	v_bfe_u32 v60, v31, 8, 8
	v_dual_lshrrev_b32 v33, 24, v31 :: v_dual_bitop2_b32 v5, 15, v64 bitop3:0x40
	v_lshrrev_b32_e32 v65, 5, v0
	s_delay_alu instid0(VALU_DEP_4)
	v_add3_u32 v2, v2, v37, v58
	v_and_b32_e32 v61, 0xff, v27
	v_bfe_u32 v62, v27, 16, 8
	v_bfe_u32 v63, v27, 8, 8
	v_dual_lshrrev_b32 v29, 24, v27 :: v_dual_bitop2_b32 v6, 31, v0 bitop3:0x54
	v_add3_u32 v2, v2, v60, v59
	v_and_b32_e32 v3, 0xff, v25
	v_and_b32_e32 v7, 16, v64
	v_cmp_ne_u32_e32 vcc_lo, 0, v4
	v_cmp_eq_u32_e64 s6, 0, v5
	v_add3_u32 v2, v2, v33, v61
	v_cmp_lt_u32_e64 s5, 1, v5
	v_cmp_lt_u32_e64 s4, 3, v5
	;; [unrolled: 1-line block ×3, first 2 shown]
	v_cmp_eq_u32_e64 s1, 0, v7
	v_add3_u32 v2, v2, v63, v62
	v_cmp_eq_u32_e64 s0, v0, v6
	s_mov_b32 s7, -1
	v_add3_u32 v66, v2, v29, v3
	s_cbranch_vccz .LBB177_60
; %bb.39:
	s_delay_alu instid0(VALU_DEP_1) | instskip(NEXT) | instid1(VALU_DEP_1)
	v_mov_b32_dpp v2, v66 row_shr:1 row_mask:0xf bank_mask:0xf
	v_cndmask_b32_e64 v2, v2, 0, s6
	s_delay_alu instid0(VALU_DEP_1) | instskip(NEXT) | instid1(VALU_DEP_1)
	v_add_nc_u32_e32 v2, v2, v66
	v_mov_b32_dpp v3, v2 row_shr:2 row_mask:0xf bank_mask:0xf
	s_delay_alu instid0(VALU_DEP_1) | instskip(NEXT) | instid1(VALU_DEP_1)
	v_cndmask_b32_e64 v3, 0, v3, s5
	v_add_nc_u32_e32 v2, v2, v3
	s_delay_alu instid0(VALU_DEP_1) | instskip(NEXT) | instid1(VALU_DEP_1)
	v_mov_b32_dpp v3, v2 row_shr:4 row_mask:0xf bank_mask:0xf
	v_cndmask_b32_e64 v3, 0, v3, s4
	s_delay_alu instid0(VALU_DEP_1) | instskip(NEXT) | instid1(VALU_DEP_1)
	v_add_nc_u32_e32 v2, v2, v3
	v_mov_b32_dpp v3, v2 row_shr:8 row_mask:0xf bank_mask:0xf
	s_delay_alu instid0(VALU_DEP_1) | instskip(NEXT) | instid1(VALU_DEP_1)
	v_cndmask_b32_e64 v3, 0, v3, s3
	v_add_nc_u32_e32 v2, v2, v3
	ds_swizzle_b32 v3, v2 offset:swizzle(BROADCAST,32,15)
	s_wait_dscnt 0x0
	v_cndmask_b32_e64 v3, v3, 0, s1
	s_delay_alu instid0(VALU_DEP_1)
	v_add_nc_u32_e32 v2, v2, v3
	s_and_saveexec_b32 s7, s0
; %bb.40:
	v_lshlrev_b32_e32 v3, 2, v65
	ds_store_b32 v3, v2
; %bb.41:
	s_or_b32 exec_lo, exec_lo, s7
	s_delay_alu instid0(SALU_CYCLE_1)
	s_mov_b32 s7, exec_lo
	s_wait_dscnt 0x0
	s_barrier_signal -1
	s_barrier_wait -1
	v_cmpx_gt_u32_e32 8, v0
	s_cbranch_execz .LBB177_43
; %bb.42:
	ds_load_b32 v3, v19
	s_wait_dscnt 0x0
	v_mov_b32_dpp v6, v3 row_shr:1 row_mask:0xf bank_mask:0xf
	v_and_b32_e32 v5, 7, v64
	s_delay_alu instid0(VALU_DEP_1) | instskip(NEXT) | instid1(VALU_DEP_3)
	v_cmp_ne_u32_e32 vcc_lo, 0, v5
	v_cndmask_b32_e32 v6, 0, v6, vcc_lo
	v_cmp_lt_u32_e32 vcc_lo, 1, v5
	s_delay_alu instid0(VALU_DEP_2) | instskip(NEXT) | instid1(VALU_DEP_1)
	v_add_nc_u32_e32 v3, v6, v3
	v_mov_b32_dpp v6, v3 row_shr:2 row_mask:0xf bank_mask:0xf
	s_delay_alu instid0(VALU_DEP_1) | instskip(SKIP_1) | instid1(VALU_DEP_2)
	v_cndmask_b32_e32 v6, 0, v6, vcc_lo
	v_cmp_lt_u32_e32 vcc_lo, 3, v5
	v_add_nc_u32_e32 v3, v3, v6
	s_delay_alu instid0(VALU_DEP_1) | instskip(NEXT) | instid1(VALU_DEP_1)
	v_mov_b32_dpp v6, v3 row_shr:4 row_mask:0xf bank_mask:0xf
	v_cndmask_b32_e32 v5, 0, v6, vcc_lo
	s_delay_alu instid0(VALU_DEP_1)
	v_add_nc_u32_e32 v3, v3, v5
	ds_store_b32 v19, v3
.LBB177_43:
	s_or_b32 exec_lo, exec_lo, s7
	s_delay_alu instid0(SALU_CYCLE_1)
	s_mov_b32 s8, exec_lo
	v_cmp_gt_u32_e32 vcc_lo, 32, v0
	s_wait_dscnt 0x0
	s_barrier_signal -1
	s_barrier_wait -1
                                        ; implicit-def: $vgpr10
	v_cmpx_lt_u32_e32 31, v0
	s_cbranch_execz .LBB177_45
; %bb.44:
	v_lshl_add_u32 v3, v65, 2, -4
	ds_load_b32 v10, v3
	s_wait_dscnt 0x0
	v_add_nc_u32_e32 v2, v10, v2
.LBB177_45:
	s_or_b32 exec_lo, exec_lo, s8
	v_sub_co_u32 v3, s7, v64, 1
	s_delay_alu instid0(VALU_DEP_1) | instskip(NEXT) | instid1(VALU_DEP_1)
	v_cmp_gt_i32_e64 s8, 0, v3
	v_cndmask_b32_e64 v3, v3, v64, s8
	s_delay_alu instid0(VALU_DEP_1)
	v_lshlrev_b32_e32 v3, 2, v3
	ds_bpermute_b32 v11, v3, v2
	s_and_saveexec_b32 s8, vcc_lo
	s_cbranch_execz .LBB177_65
; %bb.46:
	v_dual_mov_b32 v9, 0 :: v_dual_add_nc_u32 v12, 32, v4
	ds_load_b32 v2, v9 offset:28
	s_and_saveexec_b32 s15, s7
	s_cbranch_execz .LBB177_48
; %bb.47:
	v_mov_b32_e32 v3, 1
	s_wait_dscnt 0x0
	global_store_b64 v12, v[2:3], s[20:21] scale_offset scope:SCOPE_DEV
.LBB177_48:
	s_wait_xcnt 0x0
	s_or_b32 exec_lo, exec_lo, s15
	v_xad_u32 v4, v64, -1, v4
	s_mov_b32 s23, 0
	s_mov_b32 s15, exec_lo
	s_delay_alu instid0(VALU_DEP_1) | instskip(SKIP_4) | instid1(VALU_DEP_1)
	v_add_nc_u32_e32 v8, 32, v4
	global_load_b64 v[6:7], v8, s[20:21] scale_offset scope:SCOPE_DEV
	s_wait_loadcnt 0x0
	v_and_b32_e32 v3, 0xff, v7
	s_wait_xcnt 0x0
	v_cmpx_eq_u16_e32 0, v3
	s_cbranch_execz .LBB177_52
; %bb.49:
	v_lshl_add_u64 v[8:9], v[8:9], 3, s[20:21]
.LBB177_50:                             ; =>This Inner Loop Header: Depth=1
	global_load_b64 v[6:7], v[8:9], off scope:SCOPE_DEV
	s_wait_loadcnt 0x0
	v_and_b32_e32 v3, 0xff, v7
	s_delay_alu instid0(VALU_DEP_1)
	v_cmp_ne_u16_e32 vcc_lo, 0, v3
	s_or_b32 s23, vcc_lo, s23
	s_wait_xcnt 0x0
	s_and_not1_b32 exec_lo, exec_lo, s23
	s_cbranch_execnz .LBB177_50
; %bb.51:
	s_or_b32 exec_lo, exec_lo, s23
.LBB177_52:
	s_delay_alu instid0(SALU_CYCLE_1)
	s_or_b32 exec_lo, exec_lo, s15
	v_cmp_ne_u32_e32 vcc_lo, 31, v64
	v_lshlrev_b32_e64 v14, v64, -1
	v_lshl_or_b32 v69, v64, 2, 64
	v_dual_add_nc_u32 v16, 2, v64 :: v_dual_add_nc_u32 v56, 4, v64
	v_add_co_ci_u32_e64 v3, null, 0, v64, vcc_lo
	v_dual_add_nc_u32 v68, 8, v64 :: v_dual_add_nc_u32 v70, 16, v64
	s_delay_alu instid0(VALU_DEP_2)
	v_lshlrev_b32_e32 v13, 2, v3
	v_and_b32_e32 v3, 0xff, v7
	ds_bpermute_b32 v5, v13, v6
	v_cmp_eq_u16_e32 vcc_lo, 2, v3
	v_and_or_b32 v3, vcc_lo, v14, 0x80000000
	v_cmp_gt_u32_e32 vcc_lo, 30, v64
	s_delay_alu instid0(VALU_DEP_2) | instskip(SKIP_1) | instid1(VALU_DEP_2)
	v_ctz_i32_b32_e32 v3, v3
	v_cndmask_b32_e64 v8, 0, 2, vcc_lo
	v_cmp_lt_u32_e32 vcc_lo, v64, v3
	s_delay_alu instid0(VALU_DEP_2) | instskip(SKIP_3) | instid1(VALU_DEP_2)
	v_add_lshl_u32 v15, v8, v64, 2
	s_wait_dscnt 0x0
	v_cndmask_b32_e32 v5, 0, v5, vcc_lo
	v_cmp_gt_u32_e32 vcc_lo, 28, v64
	v_add_nc_u32_e32 v5, v5, v6
	v_cndmask_b32_e64 v8, 0, 4, vcc_lo
	v_cmp_le_u32_e32 vcc_lo, v16, v3
	ds_bpermute_b32 v6, v15, v5
	v_add_lshl_u32 v17, v8, v64, 2
	s_wait_dscnt 0x0
	v_cndmask_b32_e32 v6, 0, v6, vcc_lo
	v_cmp_gt_u32_e32 vcc_lo, 24, v64
	v_cndmask_b32_e64 v8, 0, 8, vcc_lo
	v_cmp_le_u32_e32 vcc_lo, v56, v3
	s_delay_alu instid0(VALU_DEP_4) | instskip(NEXT) | instid1(VALU_DEP_3)
	v_add_nc_u32_e32 v5, v5, v6
	v_add_lshl_u32 v67, v8, v64, 2
	ds_bpermute_b32 v6, v17, v5
	s_wait_dscnt 0x0
	v_cndmask_b32_e32 v6, 0, v6, vcc_lo
	v_cmp_le_u32_e32 vcc_lo, v68, v3
	s_delay_alu instid0(VALU_DEP_2) | instskip(SKIP_4) | instid1(VALU_DEP_2)
	v_add_nc_u32_e32 v5, v5, v6
	ds_bpermute_b32 v6, v67, v5
	s_wait_dscnt 0x0
	v_cndmask_b32_e32 v6, 0, v6, vcc_lo
	v_cmp_le_u32_e32 vcc_lo, v70, v3
	v_add_nc_u32_e32 v5, v5, v6
	ds_bpermute_b32 v6, v69, v5
	s_wait_dscnt 0x0
	v_cndmask_b32_e32 v3, 0, v6, vcc_lo
	s_delay_alu instid0(VALU_DEP_1)
	v_dual_mov_b32 v5, 0 :: v_dual_add_nc_u32 v6, v5, v3
	s_branch .LBB177_56
.LBB177_53:                             ;   in Loop: Header=BB177_56 Depth=1
	s_or_b32 exec_lo, exec_lo, s23
.LBB177_54:                             ;   in Loop: Header=BB177_56 Depth=1
	s_delay_alu instid0(SALU_CYCLE_1)
	s_or_b32 exec_lo, exec_lo, s15
	v_and_b32_e32 v8, 0xff, v7
	ds_bpermute_b32 v9, v13, v6
	v_subrev_nc_u32_e32 v4, 32, v4
	s_mov_b32 s15, 0
	v_cmp_eq_u16_e32 vcc_lo, 2, v8
	v_and_or_b32 v8, vcc_lo, v14, 0x80000000
	s_delay_alu instid0(VALU_DEP_1) | instskip(NEXT) | instid1(VALU_DEP_1)
	v_ctz_i32_b32_e32 v8, v8
	v_cmp_lt_u32_e32 vcc_lo, v64, v8
	s_wait_dscnt 0x0
	v_cndmask_b32_e32 v9, 0, v9, vcc_lo
	v_cmp_le_u32_e32 vcc_lo, v16, v8
	s_delay_alu instid0(VALU_DEP_2) | instskip(SKIP_4) | instid1(VALU_DEP_2)
	v_add_nc_u32_e32 v6, v9, v6
	ds_bpermute_b32 v9, v15, v6
	s_wait_dscnt 0x0
	v_cndmask_b32_e32 v9, 0, v9, vcc_lo
	v_cmp_le_u32_e32 vcc_lo, v56, v8
	v_add_nc_u32_e32 v6, v6, v9
	ds_bpermute_b32 v9, v17, v6
	s_wait_dscnt 0x0
	v_cndmask_b32_e32 v9, 0, v9, vcc_lo
	v_cmp_le_u32_e32 vcc_lo, v68, v8
	s_delay_alu instid0(VALU_DEP_2) | instskip(SKIP_4) | instid1(VALU_DEP_2)
	v_add_nc_u32_e32 v6, v6, v9
	ds_bpermute_b32 v9, v67, v6
	s_wait_dscnt 0x0
	v_cndmask_b32_e32 v9, 0, v9, vcc_lo
	v_cmp_le_u32_e32 vcc_lo, v70, v8
	v_add_nc_u32_e32 v6, v6, v9
	ds_bpermute_b32 v9, v69, v6
	s_wait_dscnt 0x0
	v_cndmask_b32_e32 v8, 0, v9, vcc_lo
	s_delay_alu instid0(VALU_DEP_1)
	v_add3_u32 v6, v8, v3, v6
.LBB177_55:                             ;   in Loop: Header=BB177_56 Depth=1
	s_and_b32 vcc_lo, exec_lo, s15
	s_cbranch_vccnz .LBB177_61
.LBB177_56:                             ; =>This Loop Header: Depth=1
                                        ;     Child Loop BB177_59 Depth 2
	v_and_b32_e32 v3, 0xff, v7
	s_mov_b32 s15, -1
                                        ; implicit-def: $vgpr7
	s_delay_alu instid0(VALU_DEP_1)
	v_cmp_ne_u16_e32 vcc_lo, 2, v3
	v_mov_b32_e32 v3, v6
                                        ; implicit-def: $vgpr6
	s_cmp_lg_u32 vcc_lo, exec_lo
	s_cbranch_scc1 .LBB177_55
; %bb.57:                               ;   in Loop: Header=BB177_56 Depth=1
	global_load_b64 v[6:7], v4, s[20:21] scale_offset scope:SCOPE_DEV
	s_mov_b32 s15, exec_lo
	s_wait_loadcnt 0x0
	v_and_b32_e32 v8, 0xff, v7
	s_wait_xcnt 0x0
	s_delay_alu instid0(VALU_DEP_1)
	v_cmpx_eq_u16_e32 0, v8
	s_cbranch_execz .LBB177_54
; %bb.58:                               ;   in Loop: Header=BB177_56 Depth=1
	v_lshl_add_u64 v[8:9], v[4:5], 3, s[20:21]
	s_mov_b32 s23, 0
.LBB177_59:                             ;   Parent Loop BB177_56 Depth=1
                                        ; =>  This Inner Loop Header: Depth=2
	global_load_b64 v[6:7], v[8:9], off scope:SCOPE_DEV
	s_wait_loadcnt 0x0
	v_and_b32_e32 v71, 0xff, v7
	s_delay_alu instid0(VALU_DEP_1)
	v_cmp_ne_u16_e32 vcc_lo, 0, v71
	s_or_b32 s23, vcc_lo, s23
	s_wait_xcnt 0x0
	s_and_not1_b32 exec_lo, exec_lo, s23
	s_cbranch_execnz .LBB177_59
	s_branch .LBB177_53
.LBB177_60:
                                        ; implicit-def: $vgpr2_vgpr3_vgpr4_vgpr5_vgpr6_vgpr7_vgpr8_vgpr9_vgpr10_vgpr11_vgpr12_vgpr13_vgpr14_vgpr15_vgpr16_vgpr17
                                        ; implicit-def: $vgpr56
                                        ; implicit-def: $vgpr16
	s_and_b32 vcc_lo, exec_lo, s7
	s_cbranch_vccnz .LBB177_66
	s_branch .LBB177_75
.LBB177_61:
	s_and_saveexec_b32 s15, s7
	s_cbranch_execz .LBB177_63
; %bb.62:
	v_dual_mov_b32 v5, 2 :: v_dual_add_nc_u32 v4, v3, v2
	v_mov_b32_e32 v6, 0
	global_store_b64 v12, v[4:5], s[20:21] scale_offset scope:SCOPE_DEV
	ds_store_b64 v6, v[2:3] offset:13312
.LBB177_63:
	s_wait_xcnt 0x0
	s_or_b32 exec_lo, exec_lo, s15
	s_delay_alu instid0(SALU_CYCLE_1)
	s_and_b32 exec_lo, exec_lo, s2
; %bb.64:
	v_mov_b32_e32 v2, 0
	ds_store_b32 v2, v3 offset:28
.LBB177_65:
	s_or_b32 exec_lo, exec_lo, s8
	s_wait_dscnt 0x0
	v_dual_mov_b32 v12, 0 :: v_dual_cndmask_b32 v3, v11, v10, s7
	s_wait_storecnt 0x0
	s_barrier_signal -1
	s_barrier_wait -1
	ds_load_b32 v2, v12 offset:28
	v_cndmask_b32_e64 v3, v3, 0, s2
	s_wait_dscnt 0x0
	s_barrier_signal -1
	s_barrier_wait -1
	ds_load_b64 v[16:17], v12 offset:13312
	v_add_nc_u32_e32 v2, v2, v3
	s_wait_dscnt 0x0
	s_delay_alu instid0(VALU_DEP_1) | instskip(NEXT) | instid1(VALU_DEP_1)
	v_dual_mov_b32 v56, v17 :: v_dual_add_nc_u32 v3, v2, v57
	v_add_nc_u32_e32 v4, v3, v41
	s_delay_alu instid0(VALU_DEP_1) | instskip(NEXT) | instid1(VALU_DEP_1)
	v_add_nc_u32_e32 v5, v4, v39
	v_add_nc_u32_e32 v6, v5, v37
	s_delay_alu instid0(VALU_DEP_1) | instskip(NEXT) | instid1(VALU_DEP_1)
	v_add_nc_u32_e32 v7, v6, v58
	;; [unrolled: 3-line block ×5, first 2 shown]
	v_add_nc_u32_e32 v14, v13, v29
	s_branch .LBB177_75
.LBB177_66:
	v_mov_b32_dpp v2, v66 row_shr:1 row_mask:0xf bank_mask:0xf
	s_delay_alu instid0(VALU_DEP_1) | instskip(NEXT) | instid1(VALU_DEP_1)
	v_cndmask_b32_e64 v2, v2, 0, s6
	v_add_nc_u32_e32 v2, v2, v66
	s_delay_alu instid0(VALU_DEP_1) | instskip(NEXT) | instid1(VALU_DEP_1)
	v_mov_b32_dpp v3, v2 row_shr:2 row_mask:0xf bank_mask:0xf
	v_cndmask_b32_e64 v3, 0, v3, s5
	s_delay_alu instid0(VALU_DEP_1) | instskip(NEXT) | instid1(VALU_DEP_1)
	v_add_nc_u32_e32 v2, v2, v3
	v_mov_b32_dpp v3, v2 row_shr:4 row_mask:0xf bank_mask:0xf
	s_delay_alu instid0(VALU_DEP_1) | instskip(NEXT) | instid1(VALU_DEP_1)
	v_cndmask_b32_e64 v3, 0, v3, s4
	v_add_nc_u32_e32 v2, v2, v3
	s_delay_alu instid0(VALU_DEP_1) | instskip(NEXT) | instid1(VALU_DEP_1)
	v_mov_b32_dpp v3, v2 row_shr:8 row_mask:0xf bank_mask:0xf
	v_cndmask_b32_e64 v3, 0, v3, s3
	s_delay_alu instid0(VALU_DEP_1) | instskip(SKIP_3) | instid1(VALU_DEP_1)
	v_add_nc_u32_e32 v2, v2, v3
	ds_swizzle_b32 v3, v2 offset:swizzle(BROADCAST,32,15)
	s_wait_dscnt 0x0
	v_cndmask_b32_e64 v3, v3, 0, s1
	v_add_nc_u32_e32 v2, v2, v3
	s_and_saveexec_b32 s1, s0
; %bb.67:
	v_lshlrev_b32_e32 v3, 2, v65
	ds_store_b32 v3, v2
; %bb.68:
	s_or_b32 exec_lo, exec_lo, s1
	s_delay_alu instid0(SALU_CYCLE_1)
	s_mov_b32 s0, exec_lo
	s_wait_dscnt 0x0
	s_barrier_signal -1
	s_barrier_wait -1
	v_cmpx_gt_u32_e32 8, v0
	s_cbranch_execz .LBB177_70
; %bb.69:
	ds_load_b32 v3, v19
	s_wait_dscnt 0x0
	v_mov_b32_dpp v5, v3 row_shr:1 row_mask:0xf bank_mask:0xf
	v_and_b32_e32 v4, 7, v64
	s_delay_alu instid0(VALU_DEP_1) | instskip(NEXT) | instid1(VALU_DEP_3)
	v_cmp_ne_u32_e32 vcc_lo, 0, v4
	v_cndmask_b32_e32 v5, 0, v5, vcc_lo
	v_cmp_lt_u32_e32 vcc_lo, 1, v4
	s_delay_alu instid0(VALU_DEP_2) | instskip(NEXT) | instid1(VALU_DEP_1)
	v_add_nc_u32_e32 v3, v5, v3
	v_mov_b32_dpp v5, v3 row_shr:2 row_mask:0xf bank_mask:0xf
	s_delay_alu instid0(VALU_DEP_1) | instskip(SKIP_1) | instid1(VALU_DEP_2)
	v_cndmask_b32_e32 v5, 0, v5, vcc_lo
	v_cmp_lt_u32_e32 vcc_lo, 3, v4
	v_add_nc_u32_e32 v3, v3, v5
	s_delay_alu instid0(VALU_DEP_1) | instskip(NEXT) | instid1(VALU_DEP_1)
	v_mov_b32_dpp v5, v3 row_shr:4 row_mask:0xf bank_mask:0xf
	v_cndmask_b32_e32 v4, 0, v5, vcc_lo
	s_delay_alu instid0(VALU_DEP_1)
	v_add_nc_u32_e32 v3, v3, v4
	ds_store_b32 v19, v3
.LBB177_70:
	s_or_b32 exec_lo, exec_lo, s0
	v_dual_mov_b32 v4, 0 :: v_dual_mov_b32 v3, 0
	s_mov_b32 s0, exec_lo
	s_wait_dscnt 0x0
	s_barrier_signal -1
	s_barrier_wait -1
	v_cmpx_lt_u32_e32 31, v0
; %bb.71:
	v_lshl_add_u32 v3, v65, 2, -4
	ds_load_b32 v3, v3
; %bb.72:
	s_or_b32 exec_lo, exec_lo, s0
	v_sub_co_u32 v5, vcc_lo, v64, 1
	ds_load_b32 v16, v4 offset:28
	s_wait_dscnt 0x1
	v_add_nc_u32_e32 v2, v3, v2
	v_cmp_gt_i32_e64 s0, 0, v5
	s_delay_alu instid0(VALU_DEP_1) | instskip(NEXT) | instid1(VALU_DEP_1)
	v_cndmask_b32_e64 v5, v5, v64, s0
	v_lshlrev_b32_e32 v5, 2, v5
	ds_bpermute_b32 v2, v5, v2
	s_and_saveexec_b32 s0, s2
	s_cbranch_execz .LBB177_74
; %bb.73:
	v_dual_mov_b32 v4, 0 :: v_dual_mov_b32 v17, 2
	s_wait_dscnt 0x1
	global_store_b64 v4, v[16:17], s[20:21] offset:256 scope:SCOPE_DEV
.LBB177_74:
	s_wait_xcnt 0x0
	s_or_b32 exec_lo, exec_lo, s0
	s_wait_dscnt 0x0
	v_cndmask_b32_e32 v2, v2, v3, vcc_lo
	s_wait_storecnt 0x0
	s_barrier_signal -1
	s_barrier_wait -1
	s_delay_alu instid0(VALU_DEP_1) | instskip(NEXT) | instid1(VALU_DEP_1)
	v_cndmask_b32_e64 v2, v2, 0, s2
	v_dual_mov_b32 v56, 0 :: v_dual_add_nc_u32 v3, v2, v57
	s_delay_alu instid0(VALU_DEP_1) | instskip(NEXT) | instid1(VALU_DEP_1)
	v_add_nc_u32_e32 v4, v3, v41
	v_add_nc_u32_e32 v5, v4, v39
	s_delay_alu instid0(VALU_DEP_1) | instskip(NEXT) | instid1(VALU_DEP_1)
	v_add_nc_u32_e32 v6, v5, v37
	v_add_nc_u32_e32 v7, v6, v58
	;; [unrolled: 3-line block ×5, first 2 shown]
	s_delay_alu instid0(VALU_DEP_1)
	v_add_nc_u32_e32 v14, v13, v29
.LBB177_75:
	v_dual_lshrrev_b32 v57, 16, v35 :: v_dual_lshrrev_b32 v58, 8, v35
	v_dual_add_nc_u32 v23, v16, v23 :: v_dual_sub_nc_u32 v3, v3, v56
	v_dual_sub_nc_u32 v2, v2, v56 :: v_dual_bitop2_b32 v35, 1, v35 bitop3:0x40
	s_delay_alu instid0(VALU_DEP_3) | instskip(NEXT) | instid1(VALU_DEP_3)
	v_dual_sub_nc_u32 v4, v4, v56 :: v_dual_bitop2_b32 v58, 1, v58 bitop3:0x40
	v_dual_sub_nc_u32 v59, v23, v3 :: v_dual_bitop2_b32 v57, 1, v57 bitop3:0x40
	s_delay_alu instid0(VALU_DEP_3) | instskip(NEXT) | instid1(VALU_DEP_4)
	v_dual_sub_nc_u32 v60, v23, v2 :: v_dual_sub_nc_u32 v5, v5, v56
	v_cmp_eq_u32_e32 vcc_lo, 1, v35
	s_delay_alu instid0(VALU_DEP_3) | instskip(SKIP_1) | instid1(VALU_DEP_4)
	v_dual_sub_nc_u32 v61, v23, v4 :: v_dual_add_nc_u32 v59, 1, v59
	v_dual_lshrrev_b32 v41, 8, v31 :: v_dual_lshrrev_b32 v39, 16, v31
	v_cndmask_b32_e32 v2, v60, v2, vcc_lo
	v_cmp_eq_u32_e32 vcc_lo, 1, v58
	v_dual_lshrrev_b32 v15, 16, v27 :: v_dual_lshrrev_b32 v17, 8, v27
	v_cndmask_b32_e32 v3, v59, v3, vcc_lo
	s_delay_alu instid0(VALU_DEP_4)
	v_dual_sub_nc_u32 v35, v23, v5 :: v_dual_lshlrev_b32 v2, 2, v2
	v_and_b32_e32 v37, 1, v37
	v_add_nc_u32_e32 v58, 2, v61
	v_cmp_eq_u32_e32 vcc_lo, 1, v57
	v_lshlrev_b32_e32 v3, 2, v3
	v_add_nc_u32_e32 v35, 3, v35
	ds_store_b32 v2, v54
	ds_store_b32 v3, v55
	v_cndmask_b32_e32 v4, v58, v4, vcc_lo
	v_cmp_eq_u32_e32 vcc_lo, 1, v37
	v_dual_cndmask_b32 v5, v35, v5 :: v_dual_sub_nc_u32 v6, v6, v56
	s_delay_alu instid0(VALU_DEP_1) | instskip(NEXT) | instid1(VALU_DEP_2)
	v_dual_lshlrev_b32 v3, 2, v4 :: v_dual_lshlrev_b32 v4, 2, v5
	v_sub_nc_u32_e32 v2, v23, v6
	v_dual_sub_nc_u32 v5, v7, v56 :: v_dual_bitop2_b32 v7, 1, v31 bitop3:0x40
	s_delay_alu instid0(VALU_DEP_2)
	v_add_nc_u32_e32 v2, 4, v2
	ds_store_b32 v3, v52
	ds_store_b32 v4, v53
	v_cmp_eq_u32_e32 vcc_lo, 1, v7
	v_dual_sub_nc_u32 v4, v8, v56 :: v_dual_cndmask_b32 v2, v2, v6, vcc_lo
	v_sub_nc_u32_e32 v3, v23, v5
	v_dual_sub_nc_u32 v7, v9, v56 :: v_dual_bitop2_b32 v6, 1, v41 bitop3:0x40
	s_delay_alu instid0(VALU_DEP_2) | instskip(NEXT) | instid1(VALU_DEP_2)
	v_dual_lshlrev_b32 v2, 2, v2 :: v_dual_add_nc_u32 v3, 5, v3
	v_cmp_eq_u32_e32 vcc_lo, 1, v6
	v_dual_sub_nc_u32 v8, v23, v4 :: v_dual_bitop2_b32 v6, 1, v39 bitop3:0x40
	ds_store_b32 v2, v50
	v_and_b32_e32 v2, 1, v33
	v_cndmask_b32_e32 v3, v3, v5, vcc_lo
	v_dual_sub_nc_u32 v5, v23, v7 :: v_dual_add_nc_u32 v8, 6, v8
	v_cmp_eq_u32_e32 vcc_lo, 1, v6
	s_delay_alu instid0(VALU_DEP_3) | instskip(NEXT) | instid1(VALU_DEP_3)
	v_dual_sub_nc_u32 v6, v11, v56 :: v_dual_lshlrev_b32 v3, 2, v3
	v_dual_cndmask_b32 v4, v8, v4 :: v_dual_add_nc_u32 v5, 7, v5
	v_cmp_eq_u32_e32 vcc_lo, 1, v2
	ds_store_b32 v3, v51
	v_dual_sub_nc_u32 v3, v23, v6 :: v_dual_sub_nc_u32 v8, v14, v56
	v_dual_lshlrev_b32 v4, 2, v4 :: v_dual_cndmask_b32 v2, v5, v7, vcc_lo
	v_dual_sub_nc_u32 v5, v10, v56 :: v_dual_bitop2_b32 v7, 1, v17 bitop3:0x40
	s_delay_alu instid0(VALU_DEP_3)
	v_add_nc_u32_e32 v3, 9, v3
	ds_store_b32 v4, v48
	v_dual_lshlrev_b32 v2, 2, v2 :: v_dual_sub_nc_u32 v4, v23, v5
	v_cmp_eq_u32_e32 vcc_lo, 1, v7
	v_sub_nc_u32_e32 v7, v12, v56
	v_sub_nc_u32_e32 v9, v23, v8
	ds_store_b32 v2, v49
	v_dual_add_nc_u32 v4, 8, v4 :: v_dual_bitop2_b32 v2, 1, v27 bitop3:0x40
	v_dual_cndmask_b32 v3, v3, v6 :: v_dual_sub_nc_u32 v6, v13, v56
	s_delay_alu instid0(VALU_DEP_2) | instskip(NEXT) | instid1(VALU_DEP_2)
	v_cmp_eq_u32_e32 vcc_lo, 1, v2
	v_dual_cndmask_b32 v2, v4, v5, vcc_lo :: v_dual_sub_nc_u32 v4, v23, v6
	v_and_b32_e32 v10, 1, v15
	v_dual_sub_nc_u32 v5, v23, v7 :: v_dual_bitop2_b32 v12, 1, v25 bitop3:0x40
	s_delay_alu instid0(VALU_DEP_3) | instskip(SKIP_1) | instid1(VALU_DEP_1)
	v_dual_lshlrev_b32 v2, 2, v2 :: v_dual_add_nc_u32 v4, 11, v4
	v_and_b32_e32 v11, 1, v29
	v_cmp_eq_u32_e32 vcc_lo, 1, v11
	s_delay_alu instid0(VALU_DEP_3) | instskip(SKIP_3) | instid1(VALU_DEP_1)
	v_cndmask_b32_e32 v4, v4, v6, vcc_lo
	v_cmp_eq_u32_e32 vcc_lo, 1, v10
	v_add_nc_u32_e32 v9, 12, v9
	v_add_nc_u32_e32 v5, 10, v5
	v_cndmask_b32_e32 v5, v5, v7, vcc_lo
	v_cmp_eq_u32_e32 vcc_lo, 1, v12
	s_delay_alu instid0(VALU_DEP_2) | instskip(SKIP_3) | instid1(VALU_DEP_3)
	v_dual_lshlrev_b32 v3, 2, v3 :: v_dual_lshlrev_b32 v5, 2, v5
	v_cndmask_b32_e32 v6, v9, v8, vcc_lo
	v_lshlrev_b32_e32 v4, 2, v4
	v_cmp_ne_u32_e32 vcc_lo, 1, v21
	v_lshlrev_b32_e32 v6, 2, v6
	ds_store_b32 v2, v46
	ds_store_b32 v3, v47
	;; [unrolled: 1-line block ×5, first 2 shown]
	s_wait_dscnt 0x0
	s_barrier_signal -1
	s_barrier_wait -1
	ds_load_2addr_stride64_b32 v[14:15], v19 offset1:4
	ds_load_2addr_stride64_b32 v[12:13], v19 offset0:8 offset1:12
	ds_load_2addr_stride64_b32 v[10:11], v19 offset0:16 offset1:20
	;; [unrolled: 1-line block ×5, first 2 shown]
	ds_load_b32 v46, v19 offset:12288
	v_mov_b32_e32 v1, 0
	s_and_b32 vcc_lo, exec_lo, vcc_lo
	s_delay_alu instid0(VALU_DEP_1) | instskip(SKIP_2) | instid1(VALU_DEP_3)
	v_dual_mov_b32 v29, v1 :: v_dual_mov_b32 v57, v1
	v_dual_mov_b32 v41, v1 :: v_dual_mov_b32 v39, v1
	;; [unrolled: 1-line block ×3, first 2 shown]
	v_add_nc_u64_e32 v[2:3], v[42:43], v[56:57]
	v_dual_mov_b32 v33, v1 :: v_dual_mov_b32 v31, v1
	v_dual_mov_b32 v27, v1 :: v_dual_mov_b32 v25, v1
	;; [unrolled: 1-line block ×3, first 2 shown]
	v_mov_b32_e32 v19, v1
	s_cbranch_vccnz .LBB177_132
; %bb.76:
	v_mov_b32_e32 v17, v1
	s_mov_b32 s15, 0
	v_sub_nc_u64_e64 v[42:43], v[2:3], s[16:17]
	s_sub_nc_u64 s[0:1], s[18:19], s[14:15]
	s_delay_alu instid0(VALU_DEP_2) | instid1(SALU_CYCLE_1)
	v_add_nc_u64_e32 v[44:45], s[0:1], v[16:17]
	s_mov_b32 s0, exec_lo
	s_delay_alu instid0(VALU_DEP_1)
	v_add_nc_u64_e32 v[42:43], v[44:45], v[42:43]
                                        ; implicit-def: $vgpr44_vgpr45
	v_cmpx_ge_u32_e64 v0, v16
	s_xor_b32 s0, exec_lo, s0
; %bb.77:
	v_not_b32_e32 v44, v0
	s_delay_alu instid0(VALU_DEP_1) | instskip(NEXT) | instid1(VALU_DEP_1)
	v_ashrrev_i32_e32 v45, 31, v44
	v_add_nc_u64_e32 v[44:45], v[42:43], v[44:45]
; %bb.78:
	s_and_not1_saveexec_b32 s0, s0
; %bb.79:
	v_add_nc_u64_e32 v[44:45], v[2:3], v[0:1]
; %bb.80:
	s_or_b32 exec_lo, exec_lo, s0
	s_delay_alu instid0(VALU_DEP_1)
	v_lshl_add_u64 v[44:45], v[44:45], 2, s[10:11]
	s_mov_b32 s0, exec_lo
	s_wait_dscnt 0x6
	global_store_b32 v[44:45], v14, off
                                        ; implicit-def: $vgpr44_vgpr45
	s_wait_xcnt 0x0
	v_cmpx_ge_u32_e64 v40, v16
	s_xor_b32 s0, exec_lo, s0
; %bb.81:
	v_xor_b32_e32 v44, 0xfffffeff, v0
	s_delay_alu instid0(VALU_DEP_1) | instskip(NEXT) | instid1(VALU_DEP_1)
	v_ashrrev_i32_e32 v45, 31, v44
	v_add_nc_u64_e32 v[44:45], v[42:43], v[44:45]
; %bb.82:
	s_and_not1_saveexec_b32 s0, s0
; %bb.83:
	v_add_nc_u64_e32 v[44:45], v[2:3], v[40:41]
; %bb.84:
	s_or_b32 exec_lo, exec_lo, s0
	s_delay_alu instid0(VALU_DEP_1)
	v_lshl_add_u64 v[44:45], v[44:45], 2, s[10:11]
	s_mov_b32 s0, exec_lo
	global_store_b32 v[44:45], v15, off
                                        ; implicit-def: $vgpr44_vgpr45
	s_wait_xcnt 0x0
	v_cmpx_ge_u32_e64 v38, v16
	s_xor_b32 s0, exec_lo, s0
; %bb.85:
	v_xor_b32_e32 v44, 0xfffffdff, v0
	s_delay_alu instid0(VALU_DEP_1) | instskip(NEXT) | instid1(VALU_DEP_1)
	v_ashrrev_i32_e32 v45, 31, v44
	v_add_nc_u64_e32 v[44:45], v[42:43], v[44:45]
; %bb.86:
	s_and_not1_saveexec_b32 s0, s0
; %bb.87:
	v_add_nc_u64_e32 v[44:45], v[2:3], v[38:39]
; %bb.88:
	s_or_b32 exec_lo, exec_lo, s0
	s_delay_alu instid0(VALU_DEP_1)
	v_lshl_add_u64 v[44:45], v[44:45], 2, s[10:11]
	s_mov_b32 s0, exec_lo
	s_wait_dscnt 0x5
	global_store_b32 v[44:45], v12, off
                                        ; implicit-def: $vgpr44_vgpr45
	s_wait_xcnt 0x0
	v_cmpx_ge_u32_e64 v36, v16
	s_xor_b32 s0, exec_lo, s0
; %bb.89:
	v_xor_b32_e32 v44, 0xfffffcff, v0
	s_delay_alu instid0(VALU_DEP_1) | instskip(NEXT) | instid1(VALU_DEP_1)
	v_ashrrev_i32_e32 v45, 31, v44
	v_add_nc_u64_e32 v[44:45], v[42:43], v[44:45]
; %bb.90:
	s_and_not1_saveexec_b32 s0, s0
; %bb.91:
	v_add_nc_u64_e32 v[44:45], v[2:3], v[36:37]
; %bb.92:
	s_or_b32 exec_lo, exec_lo, s0
	s_delay_alu instid0(VALU_DEP_1)
	v_lshl_add_u64 v[44:45], v[44:45], 2, s[10:11]
	s_mov_b32 s0, exec_lo
	global_store_b32 v[44:45], v13, off
                                        ; implicit-def: $vgpr44_vgpr45
	s_wait_xcnt 0x0
	v_cmpx_ge_u32_e64 v34, v16
	s_xor_b32 s0, exec_lo, s0
; %bb.93:
	v_xor_b32_e32 v44, 0xfffffbff, v0
	;; [unrolled: 39-line block ×6, first 2 shown]
	s_delay_alu instid0(VALU_DEP_1) | instskip(NEXT) | instid1(VALU_DEP_1)
	v_ashrrev_i32_e32 v45, 31, v44
	v_add_nc_u64_e32 v[44:45], v[42:43], v[44:45]
; %bb.126:
	s_and_not1_saveexec_b32 s0, s0
; %bb.127:
	v_add_nc_u64_e32 v[44:45], v[2:3], v[18:19]
; %bb.128:
	s_or_b32 exec_lo, exec_lo, s0
	s_mov_b32 s0, -1
.LBB177_129:
	s_delay_alu instid0(SALU_CYCLE_1)
	s_and_saveexec_b32 s1, s0
	s_cbranch_execz .LBB177_212
.LBB177_130:
	s_delay_alu instid0(VALU_DEP_1)
	v_lshl_add_u64 v[0:1], v[44:45], 2, s[10:11]
	s_wait_dscnt 0x0
	global_store_b32 v[0:1], v46, off
	s_wait_xcnt 0x0
	s_or_b32 exec_lo, exec_lo, s1
	s_and_b32 s0, s2, s9
	s_delay_alu instid0(SALU_CYCLE_1)
	s_and_saveexec_b32 s1, s0
	s_cbranch_execnz .LBB177_213
.LBB177_131:
	s_sendmsg sendmsg(MSG_DEALLOC_VGPRS)
	s_endpgm
.LBB177_132:
	s_mov_b32 s0, 0
                                        ; implicit-def: $vgpr44_vgpr45
	s_cbranch_execz .LBB177_129
; %bb.133:
	s_mov_b32 s15, 0
	v_mov_b32_e32 v17, 0
	s_add_nc_u64 s[4:5], s[16:17], s[14:15]
	s_mov_b32 s1, exec_lo
	s_sub_nc_u64 s[4:5], s[18:19], s[4:5]
	s_delay_alu instid0(VALU_DEP_1) | instid1(SALU_CYCLE_1)
	v_add_nc_u64_e32 v[42:43], s[4:5], v[16:17]
	s_delay_alu instid0(VALU_DEP_1)
	v_add_nc_u64_e32 v[42:43], v[42:43], v[2:3]
	v_cmpx_gt_u32_e64 s22, v0
	s_cbranch_execz .LBB177_169
; %bb.134:
	s_mov_b32 s3, exec_lo
                                        ; implicit-def: $vgpr44_vgpr45
	v_cmpx_ge_u32_e64 v0, v16
	s_xor_b32 s3, exec_lo, s3
; %bb.135:
	v_not_b32_e32 v44, v0
	s_delay_alu instid0(VALU_DEP_1) | instskip(NEXT) | instid1(VALU_DEP_1)
	v_ashrrev_i32_e32 v45, 31, v44
	v_add_nc_u64_e32 v[44:45], v[42:43], v[44:45]
; %bb.136:
	s_and_not1_saveexec_b32 s3, s3
; %bb.137:
	v_add_nc_u64_e32 v[44:45], v[2:3], v[0:1]
; %bb.138:
	s_or_b32 exec_lo, exec_lo, s3
	s_delay_alu instid0(VALU_DEP_1) | instskip(SKIP_4) | instid1(SALU_CYCLE_1)
	v_lshl_add_u64 v[44:45], v[44:45], 2, s[10:11]
	s_wait_dscnt 0x6
	global_store_b32 v[44:45], v14, off
	s_wait_xcnt 0x0
	s_or_b32 exec_lo, exec_lo, s1
	s_mov_b32 s1, exec_lo
	v_cmpx_gt_u32_e64 s22, v40
	s_cbranch_execnz .LBB177_170
.LBB177_139:
	s_or_b32 exec_lo, exec_lo, s1
	s_delay_alu instid0(SALU_CYCLE_1)
	s_mov_b32 s1, exec_lo
	v_cmpx_gt_u32_e64 s22, v38
	s_cbranch_execz .LBB177_175
.LBB177_140:
	s_mov_b32 s3, exec_lo
                                        ; implicit-def: $vgpr14_vgpr15
	v_cmpx_ge_u32_e64 v38, v16
	s_xor_b32 s3, exec_lo, s3
	s_cbranch_execz .LBB177_142
; %bb.141:
	s_wait_dscnt 0x6
	v_xor_b32_e32 v14, 0xfffffdff, v0
                                        ; implicit-def: $vgpr38_vgpr39
	s_delay_alu instid0(VALU_DEP_1) | instskip(NEXT) | instid1(VALU_DEP_1)
	v_ashrrev_i32_e32 v15, 31, v14
	v_add_nc_u64_e32 v[14:15], v[42:43], v[14:15]
.LBB177_142:
	s_and_not1_saveexec_b32 s3, s3
	s_cbranch_execz .LBB177_144
; %bb.143:
	s_wait_dscnt 0x6
	v_add_nc_u64_e32 v[14:15], v[2:3], v[38:39]
.LBB177_144:
	s_or_b32 exec_lo, exec_lo, s3
	s_wait_dscnt 0x6
	s_delay_alu instid0(VALU_DEP_1) | instskip(SKIP_4) | instid1(SALU_CYCLE_1)
	v_lshl_add_u64 v[14:15], v[14:15], 2, s[10:11]
	s_wait_dscnt 0x5
	global_store_b32 v[14:15], v12, off
	s_wait_xcnt 0x0
	s_or_b32 exec_lo, exec_lo, s1
	s_mov_b32 s1, exec_lo
	v_cmpx_gt_u32_e64 s22, v36
	s_cbranch_execnz .LBB177_176
.LBB177_145:
	s_or_b32 exec_lo, exec_lo, s1
	s_delay_alu instid0(SALU_CYCLE_1)
	s_mov_b32 s1, exec_lo
	v_cmpx_gt_u32_e64 s22, v34
	s_cbranch_execz .LBB177_181
.LBB177_146:
	s_mov_b32 s3, exec_lo
                                        ; implicit-def: $vgpr12_vgpr13
	v_cmpx_ge_u32_e64 v34, v16
	s_xor_b32 s3, exec_lo, s3
	s_cbranch_execz .LBB177_148
; %bb.147:
	s_wait_dscnt 0x5
	v_xor_b32_e32 v12, 0xfffffbff, v0
                                        ; implicit-def: $vgpr34_vgpr35
	s_delay_alu instid0(VALU_DEP_1) | instskip(NEXT) | instid1(VALU_DEP_1)
	v_ashrrev_i32_e32 v13, 31, v12
	v_add_nc_u64_e32 v[12:13], v[42:43], v[12:13]
.LBB177_148:
	s_and_not1_saveexec_b32 s3, s3
	s_cbranch_execz .LBB177_150
; %bb.149:
	s_wait_dscnt 0x5
	v_add_nc_u64_e32 v[12:13], v[2:3], v[34:35]
.LBB177_150:
	s_or_b32 exec_lo, exec_lo, s3
	s_wait_dscnt 0x5
	s_delay_alu instid0(VALU_DEP_1) | instskip(SKIP_4) | instid1(SALU_CYCLE_1)
	v_lshl_add_u64 v[12:13], v[12:13], 2, s[10:11]
	s_wait_dscnt 0x4
	global_store_b32 v[12:13], v10, off
	s_wait_xcnt 0x0
	s_or_b32 exec_lo, exec_lo, s1
	s_mov_b32 s1, exec_lo
	v_cmpx_gt_u32_e64 s22, v32
	s_cbranch_execnz .LBB177_182
.LBB177_151:
	s_or_b32 exec_lo, exec_lo, s1
	s_delay_alu instid0(SALU_CYCLE_1)
	s_mov_b32 s1, exec_lo
	v_cmpx_gt_u32_e64 s22, v30
	s_cbranch_execz .LBB177_187
.LBB177_152:
	s_mov_b32 s3, exec_lo
                                        ; implicit-def: $vgpr10_vgpr11
	v_cmpx_ge_u32_e64 v30, v16
	s_xor_b32 s3, exec_lo, s3
	s_cbranch_execz .LBB177_154
; %bb.153:
	s_wait_dscnt 0x4
	v_xor_b32_e32 v10, 0xfffff9ff, v0
                                        ; implicit-def: $vgpr30_vgpr31
	s_delay_alu instid0(VALU_DEP_1) | instskip(NEXT) | instid1(VALU_DEP_1)
	v_ashrrev_i32_e32 v11, 31, v10
	v_add_nc_u64_e32 v[10:11], v[42:43], v[10:11]
.LBB177_154:
	s_and_not1_saveexec_b32 s3, s3
	s_cbranch_execz .LBB177_156
; %bb.155:
	s_wait_dscnt 0x4
	v_add_nc_u64_e32 v[10:11], v[2:3], v[30:31]
.LBB177_156:
	s_or_b32 exec_lo, exec_lo, s3
	s_wait_dscnt 0x4
	s_delay_alu instid0(VALU_DEP_1) | instskip(SKIP_4) | instid1(SALU_CYCLE_1)
	v_lshl_add_u64 v[10:11], v[10:11], 2, s[10:11]
	s_wait_dscnt 0x3
	global_store_b32 v[10:11], v8, off
	s_wait_xcnt 0x0
	s_or_b32 exec_lo, exec_lo, s1
	s_mov_b32 s1, exec_lo
	v_cmpx_gt_u32_e64 s22, v28
	s_cbranch_execnz .LBB177_188
.LBB177_157:
	s_or_b32 exec_lo, exec_lo, s1
	s_delay_alu instid0(SALU_CYCLE_1)
	s_mov_b32 s1, exec_lo
	v_cmpx_gt_u32_e64 s22, v26
	s_cbranch_execz .LBB177_193
.LBB177_158:
	s_mov_b32 s3, exec_lo
                                        ; implicit-def: $vgpr8_vgpr9
	v_cmpx_ge_u32_e64 v26, v16
	s_xor_b32 s3, exec_lo, s3
	s_cbranch_execz .LBB177_160
; %bb.159:
	s_wait_dscnt 0x3
	v_xor_b32_e32 v8, 0xfffff7ff, v0
                                        ; implicit-def: $vgpr26_vgpr27
	s_delay_alu instid0(VALU_DEP_1) | instskip(NEXT) | instid1(VALU_DEP_1)
	v_ashrrev_i32_e32 v9, 31, v8
	v_add_nc_u64_e32 v[8:9], v[42:43], v[8:9]
.LBB177_160:
	s_and_not1_saveexec_b32 s3, s3
	s_cbranch_execz .LBB177_162
; %bb.161:
	s_wait_dscnt 0x3
	v_add_nc_u64_e32 v[8:9], v[2:3], v[26:27]
.LBB177_162:
	s_or_b32 exec_lo, exec_lo, s3
	s_wait_dscnt 0x3
	s_delay_alu instid0(VALU_DEP_1) | instskip(SKIP_4) | instid1(SALU_CYCLE_1)
	v_lshl_add_u64 v[8:9], v[8:9], 2, s[10:11]
	s_wait_dscnt 0x2
	global_store_b32 v[8:9], v6, off
	s_wait_xcnt 0x0
	s_or_b32 exec_lo, exec_lo, s1
	s_mov_b32 s1, exec_lo
	v_cmpx_gt_u32_e64 s22, v24
	s_cbranch_execnz .LBB177_194
.LBB177_163:
	s_or_b32 exec_lo, exec_lo, s1
	s_delay_alu instid0(SALU_CYCLE_1)
	s_mov_b32 s1, exec_lo
	v_cmpx_gt_u32_e64 s22, v22
	s_cbranch_execz .LBB177_199
.LBB177_164:
	s_mov_b32 s3, exec_lo
                                        ; implicit-def: $vgpr6_vgpr7
	v_cmpx_ge_u32_e64 v22, v16
	s_xor_b32 s3, exec_lo, s3
	s_cbranch_execz .LBB177_166
; %bb.165:
	s_wait_dscnt 0x2
	v_xor_b32_e32 v6, 0xfffff5ff, v0
                                        ; implicit-def: $vgpr22_vgpr23
	s_delay_alu instid0(VALU_DEP_1) | instskip(NEXT) | instid1(VALU_DEP_1)
	v_ashrrev_i32_e32 v7, 31, v6
	v_add_nc_u64_e32 v[6:7], v[42:43], v[6:7]
.LBB177_166:
	s_and_not1_saveexec_b32 s3, s3
	s_cbranch_execz .LBB177_168
; %bb.167:
	s_wait_dscnt 0x2
	v_add_nc_u64_e32 v[6:7], v[2:3], v[22:23]
.LBB177_168:
	s_or_b32 exec_lo, exec_lo, s3
	s_wait_dscnt 0x2
	s_delay_alu instid0(VALU_DEP_1) | instskip(SKIP_4) | instid1(SALU_CYCLE_1)
	v_lshl_add_u64 v[6:7], v[6:7], 2, s[10:11]
	s_wait_dscnt 0x1
	global_store_b32 v[6:7], v4, off
	s_wait_xcnt 0x0
	s_or_b32 exec_lo, exec_lo, s1
	s_mov_b32 s1, exec_lo
	v_cmpx_gt_u32_e64 s22, v20
	s_cbranch_execz .LBB177_205
	s_branch .LBB177_200
.LBB177_169:
	s_or_b32 exec_lo, exec_lo, s1
	s_delay_alu instid0(SALU_CYCLE_1)
	s_mov_b32 s1, exec_lo
	v_cmpx_gt_u32_e64 s22, v40
	s_cbranch_execz .LBB177_139
.LBB177_170:
	s_mov_b32 s3, exec_lo
                                        ; implicit-def: $vgpr44_vgpr45
	v_cmpx_ge_u32_e64 v40, v16
	s_xor_b32 s3, exec_lo, s3
; %bb.171:
	v_xor_b32_e32 v40, 0xfffffeff, v0
	s_delay_alu instid0(VALU_DEP_1) | instskip(NEXT) | instid1(VALU_DEP_1)
	v_ashrrev_i32_e32 v41, 31, v40
	v_add_nc_u64_e32 v[44:45], v[42:43], v[40:41]
                                        ; implicit-def: $vgpr40_vgpr41
; %bb.172:
	s_and_not1_saveexec_b32 s3, s3
; %bb.173:
	v_add_nc_u64_e32 v[44:45], v[2:3], v[40:41]
; %bb.174:
	s_or_b32 exec_lo, exec_lo, s3
	s_delay_alu instid0(VALU_DEP_1) | instskip(SKIP_4) | instid1(SALU_CYCLE_1)
	v_lshl_add_u64 v[40:41], v[44:45], 2, s[10:11]
	s_wait_dscnt 0x6
	global_store_b32 v[40:41], v15, off
	s_wait_xcnt 0x0
	s_or_b32 exec_lo, exec_lo, s1
	s_mov_b32 s1, exec_lo
	v_cmpx_gt_u32_e64 s22, v38
	s_cbranch_execnz .LBB177_140
.LBB177_175:
	s_or_b32 exec_lo, exec_lo, s1
	s_delay_alu instid0(SALU_CYCLE_1)
	s_mov_b32 s1, exec_lo
	v_cmpx_gt_u32_e64 s22, v36
	s_cbranch_execz .LBB177_145
.LBB177_176:
	s_mov_b32 s3, exec_lo
                                        ; implicit-def: $vgpr14_vgpr15
	v_cmpx_ge_u32_e64 v36, v16
	s_xor_b32 s3, exec_lo, s3
	s_cbranch_execz .LBB177_178
; %bb.177:
	s_wait_dscnt 0x6
	v_xor_b32_e32 v14, 0xfffffcff, v0
                                        ; implicit-def: $vgpr36_vgpr37
	s_delay_alu instid0(VALU_DEP_1) | instskip(NEXT) | instid1(VALU_DEP_1)
	v_ashrrev_i32_e32 v15, 31, v14
	v_add_nc_u64_e32 v[14:15], v[42:43], v[14:15]
.LBB177_178:
	s_and_not1_saveexec_b32 s3, s3
	s_cbranch_execz .LBB177_180
; %bb.179:
	s_wait_dscnt 0x6
	v_add_nc_u64_e32 v[14:15], v[2:3], v[36:37]
.LBB177_180:
	s_or_b32 exec_lo, exec_lo, s3
	s_wait_dscnt 0x6
	s_delay_alu instid0(VALU_DEP_1) | instskip(SKIP_4) | instid1(SALU_CYCLE_1)
	v_lshl_add_u64 v[14:15], v[14:15], 2, s[10:11]
	s_wait_dscnt 0x5
	global_store_b32 v[14:15], v13, off
	s_wait_xcnt 0x0
	s_or_b32 exec_lo, exec_lo, s1
	s_mov_b32 s1, exec_lo
	v_cmpx_gt_u32_e64 s22, v34
	s_cbranch_execnz .LBB177_146
.LBB177_181:
	s_or_b32 exec_lo, exec_lo, s1
	s_delay_alu instid0(SALU_CYCLE_1)
	s_mov_b32 s1, exec_lo
	v_cmpx_gt_u32_e64 s22, v32
	s_cbranch_execz .LBB177_151
.LBB177_182:
	s_mov_b32 s3, exec_lo
                                        ; implicit-def: $vgpr12_vgpr13
	v_cmpx_ge_u32_e64 v32, v16
	s_xor_b32 s3, exec_lo, s3
	s_cbranch_execz .LBB177_184
; %bb.183:
	s_wait_dscnt 0x5
	v_xor_b32_e32 v12, 0xfffffaff, v0
                                        ; implicit-def: $vgpr32_vgpr33
	s_delay_alu instid0(VALU_DEP_1) | instskip(NEXT) | instid1(VALU_DEP_1)
	v_ashrrev_i32_e32 v13, 31, v12
	v_add_nc_u64_e32 v[12:13], v[42:43], v[12:13]
.LBB177_184:
	s_and_not1_saveexec_b32 s3, s3
	s_cbranch_execz .LBB177_186
; %bb.185:
	s_wait_dscnt 0x5
	v_add_nc_u64_e32 v[12:13], v[2:3], v[32:33]
.LBB177_186:
	s_or_b32 exec_lo, exec_lo, s3
	s_wait_dscnt 0x5
	s_delay_alu instid0(VALU_DEP_1) | instskip(SKIP_4) | instid1(SALU_CYCLE_1)
	v_lshl_add_u64 v[12:13], v[12:13], 2, s[10:11]
	s_wait_dscnt 0x4
	global_store_b32 v[12:13], v11, off
	s_wait_xcnt 0x0
	s_or_b32 exec_lo, exec_lo, s1
	s_mov_b32 s1, exec_lo
	v_cmpx_gt_u32_e64 s22, v30
	s_cbranch_execnz .LBB177_152
.LBB177_187:
	s_or_b32 exec_lo, exec_lo, s1
	s_delay_alu instid0(SALU_CYCLE_1)
	s_mov_b32 s1, exec_lo
	v_cmpx_gt_u32_e64 s22, v28
	s_cbranch_execz .LBB177_157
.LBB177_188:
	s_mov_b32 s3, exec_lo
                                        ; implicit-def: $vgpr10_vgpr11
	v_cmpx_ge_u32_e64 v28, v16
	s_xor_b32 s3, exec_lo, s3
	s_cbranch_execz .LBB177_190
; %bb.189:
	s_wait_dscnt 0x4
	v_xor_b32_e32 v10, 0xfffff8ff, v0
                                        ; implicit-def: $vgpr28_vgpr29
	s_delay_alu instid0(VALU_DEP_1) | instskip(NEXT) | instid1(VALU_DEP_1)
	v_ashrrev_i32_e32 v11, 31, v10
	v_add_nc_u64_e32 v[10:11], v[42:43], v[10:11]
.LBB177_190:
	s_and_not1_saveexec_b32 s3, s3
	s_cbranch_execz .LBB177_192
; %bb.191:
	s_wait_dscnt 0x4
	v_add_nc_u64_e32 v[10:11], v[2:3], v[28:29]
.LBB177_192:
	s_or_b32 exec_lo, exec_lo, s3
	s_wait_dscnt 0x4
	s_delay_alu instid0(VALU_DEP_1) | instskip(SKIP_4) | instid1(SALU_CYCLE_1)
	v_lshl_add_u64 v[10:11], v[10:11], 2, s[10:11]
	s_wait_dscnt 0x3
	global_store_b32 v[10:11], v9, off
	s_wait_xcnt 0x0
	s_or_b32 exec_lo, exec_lo, s1
	s_mov_b32 s1, exec_lo
	v_cmpx_gt_u32_e64 s22, v26
	s_cbranch_execnz .LBB177_158
.LBB177_193:
	s_or_b32 exec_lo, exec_lo, s1
	s_delay_alu instid0(SALU_CYCLE_1)
	s_mov_b32 s1, exec_lo
	v_cmpx_gt_u32_e64 s22, v24
	s_cbranch_execz .LBB177_163
.LBB177_194:
	s_mov_b32 s3, exec_lo
                                        ; implicit-def: $vgpr8_vgpr9
	v_cmpx_ge_u32_e64 v24, v16
	s_xor_b32 s3, exec_lo, s3
	s_cbranch_execz .LBB177_196
; %bb.195:
	s_wait_dscnt 0x3
	v_xor_b32_e32 v8, 0xfffff6ff, v0
                                        ; implicit-def: $vgpr24_vgpr25
	s_delay_alu instid0(VALU_DEP_1) | instskip(NEXT) | instid1(VALU_DEP_1)
	v_ashrrev_i32_e32 v9, 31, v8
	v_add_nc_u64_e32 v[8:9], v[42:43], v[8:9]
.LBB177_196:
	s_and_not1_saveexec_b32 s3, s3
	s_cbranch_execz .LBB177_198
; %bb.197:
	s_wait_dscnt 0x3
	v_add_nc_u64_e32 v[8:9], v[2:3], v[24:25]
.LBB177_198:
	s_or_b32 exec_lo, exec_lo, s3
	s_wait_dscnt 0x3
	s_delay_alu instid0(VALU_DEP_1) | instskip(SKIP_4) | instid1(SALU_CYCLE_1)
	v_lshl_add_u64 v[8:9], v[8:9], 2, s[10:11]
	s_wait_dscnt 0x2
	global_store_b32 v[8:9], v7, off
	s_wait_xcnt 0x0
	s_or_b32 exec_lo, exec_lo, s1
	s_mov_b32 s1, exec_lo
	v_cmpx_gt_u32_e64 s22, v22
	s_cbranch_execnz .LBB177_164
.LBB177_199:
	s_or_b32 exec_lo, exec_lo, s1
	s_delay_alu instid0(SALU_CYCLE_1)
	s_mov_b32 s1, exec_lo
	v_cmpx_gt_u32_e64 s22, v20
	s_cbranch_execz .LBB177_205
.LBB177_200:
	s_mov_b32 s3, exec_lo
                                        ; implicit-def: $vgpr6_vgpr7
	v_cmpx_ge_u32_e64 v20, v16
	s_xor_b32 s3, exec_lo, s3
	s_cbranch_execz .LBB177_202
; %bb.201:
	s_wait_dscnt 0x2
	v_xor_b32_e32 v6, 0xfffff4ff, v0
                                        ; implicit-def: $vgpr20_vgpr21
	s_delay_alu instid0(VALU_DEP_1) | instskip(NEXT) | instid1(VALU_DEP_1)
	v_ashrrev_i32_e32 v7, 31, v6
	v_add_nc_u64_e32 v[6:7], v[42:43], v[6:7]
.LBB177_202:
	s_and_not1_saveexec_b32 s3, s3
	s_cbranch_execz .LBB177_204
; %bb.203:
	s_wait_dscnt 0x2
	v_add_nc_u64_e32 v[6:7], v[2:3], v[20:21]
.LBB177_204:
	s_or_b32 exec_lo, exec_lo, s3
	s_wait_dscnt 0x2
	s_delay_alu instid0(VALU_DEP_1)
	v_lshl_add_u64 v[6:7], v[6:7], 2, s[10:11]
	s_wait_dscnt 0x1
	global_store_b32 v[6:7], v5, off
.LBB177_205:
	s_wait_xcnt 0x0
	s_or_b32 exec_lo, exec_lo, s1
	s_delay_alu instid0(SALU_CYCLE_1)
	s_mov_b32 s1, exec_lo
                                        ; implicit-def: $vgpr44_vgpr45
	v_cmpx_gt_u32_e64 s22, v18
	s_cbranch_execz .LBB177_211
; %bb.206:
	s_mov_b32 s3, exec_lo
                                        ; implicit-def: $vgpr44_vgpr45
	v_cmpx_ge_u32_e64 v18, v16
	s_xor_b32 s3, exec_lo, s3
; %bb.207:
	v_xor_b32_e32 v0, 0xfffff3ff, v0
                                        ; implicit-def: $vgpr18_vgpr19
	s_delay_alu instid0(VALU_DEP_1) | instskip(NEXT) | instid1(VALU_DEP_1)
	v_ashrrev_i32_e32 v1, 31, v0
	v_add_nc_u64_e32 v[44:45], v[42:43], v[0:1]
; %bb.208:
	s_and_not1_saveexec_b32 s3, s3
; %bb.209:
	v_add_nc_u64_e32 v[44:45], v[2:3], v[18:19]
; %bb.210:
	s_or_b32 exec_lo, exec_lo, s3
	s_delay_alu instid0(SALU_CYCLE_1)
	s_or_b32 s0, s0, exec_lo
.LBB177_211:
	s_or_b32 exec_lo, exec_lo, s1
	s_and_saveexec_b32 s1, s0
	s_cbranch_execnz .LBB177_130
.LBB177_212:
	s_or_b32 exec_lo, exec_lo, s1
	s_and_b32 s0, s2, s9
	s_delay_alu instid0(SALU_CYCLE_1)
	s_and_saveexec_b32 s1, s0
	s_cbranch_execz .LBB177_131
.LBB177_213:
	v_mov_b32_e32 v17, 0
	s_delay_alu instid0(VALU_DEP_1)
	v_add_nc_u64_e32 v[0:1], v[2:3], v[16:17]
	global_store_b64 v17, v[0:1], s[12:13]
	s_sendmsg sendmsg(MSG_DEALLOC_VGPRS)
	s_endpgm
	.section	.rodata,"a",@progbits
	.p2align	6, 0x0
	.amdhsa_kernel _ZN7rocprim17ROCPRIM_400000_NS6detail17trampoline_kernelINS0_13select_configILj256ELj13ELNS0_17block_load_methodE3ELS4_3ELS4_3ELNS0_20block_scan_algorithmE0ELj4294967295EEENS1_25partition_config_selectorILNS1_17partition_subalgoE3EjNS0_10empty_typeEbEEZZNS1_14partition_implILS8_3ELb0ES6_jNS0_17counting_iteratorIjlEEPS9_SE_NS0_5tupleIJPjSE_EEENSF_IJSE_SE_EEES9_SG_JZNS1_25segmented_radix_sort_implINS0_14default_configELb0EPKhPhPKlPlN2at6native12_GLOBAL__N_18offset_tEEE10hipError_tPvRmT1_PNSt15iterator_traitsISY_E10value_typeET2_T3_PNSZ_IS14_E10value_typeET4_jRbjT5_S1A_jjP12ihipStream_tbEUljE_EEESV_SW_SX_S14_S18_S1A_T6_T7_T9_mT8_S1C_bDpT10_ENKUlT_T0_E_clISt17integral_constantIbLb0EES1O_IbLb1EEEEDaS1K_S1L_EUlS1K_E_NS1_11comp_targetILNS1_3genE0ELNS1_11target_archE4294967295ELNS1_3gpuE0ELNS1_3repE0EEENS1_30default_config_static_selectorELNS0_4arch9wavefront6targetE0EEEvSY_
		.amdhsa_group_segment_fixed_size 13320
		.amdhsa_private_segment_fixed_size 0
		.amdhsa_kernarg_size 152
		.amdhsa_user_sgpr_count 2
		.amdhsa_user_sgpr_dispatch_ptr 0
		.amdhsa_user_sgpr_queue_ptr 0
		.amdhsa_user_sgpr_kernarg_segment_ptr 1
		.amdhsa_user_sgpr_dispatch_id 0
		.amdhsa_user_sgpr_kernarg_preload_length 0
		.amdhsa_user_sgpr_kernarg_preload_offset 0
		.amdhsa_user_sgpr_private_segment_size 0
		.amdhsa_wavefront_size32 1
		.amdhsa_uses_dynamic_stack 0
		.amdhsa_enable_private_segment 0
		.amdhsa_system_sgpr_workgroup_id_x 1
		.amdhsa_system_sgpr_workgroup_id_y 0
		.amdhsa_system_sgpr_workgroup_id_z 0
		.amdhsa_system_sgpr_workgroup_info 0
		.amdhsa_system_vgpr_workitem_id 0
		.amdhsa_next_free_vgpr 72
		.amdhsa_next_free_sgpr 24
		.amdhsa_named_barrier_count 0
		.amdhsa_reserve_vcc 1
		.amdhsa_float_round_mode_32 0
		.amdhsa_float_round_mode_16_64 0
		.amdhsa_float_denorm_mode_32 3
		.amdhsa_float_denorm_mode_16_64 3
		.amdhsa_fp16_overflow 0
		.amdhsa_memory_ordered 1
		.amdhsa_forward_progress 1
		.amdhsa_inst_pref_size 71
		.amdhsa_round_robin_scheduling 0
		.amdhsa_exception_fp_ieee_invalid_op 0
		.amdhsa_exception_fp_denorm_src 0
		.amdhsa_exception_fp_ieee_div_zero 0
		.amdhsa_exception_fp_ieee_overflow 0
		.amdhsa_exception_fp_ieee_underflow 0
		.amdhsa_exception_fp_ieee_inexact 0
		.amdhsa_exception_int_div_zero 0
	.end_amdhsa_kernel
	.section	.text._ZN7rocprim17ROCPRIM_400000_NS6detail17trampoline_kernelINS0_13select_configILj256ELj13ELNS0_17block_load_methodE3ELS4_3ELS4_3ELNS0_20block_scan_algorithmE0ELj4294967295EEENS1_25partition_config_selectorILNS1_17partition_subalgoE3EjNS0_10empty_typeEbEEZZNS1_14partition_implILS8_3ELb0ES6_jNS0_17counting_iteratorIjlEEPS9_SE_NS0_5tupleIJPjSE_EEENSF_IJSE_SE_EEES9_SG_JZNS1_25segmented_radix_sort_implINS0_14default_configELb0EPKhPhPKlPlN2at6native12_GLOBAL__N_18offset_tEEE10hipError_tPvRmT1_PNSt15iterator_traitsISY_E10value_typeET2_T3_PNSZ_IS14_E10value_typeET4_jRbjT5_S1A_jjP12ihipStream_tbEUljE_EEESV_SW_SX_S14_S18_S1A_T6_T7_T9_mT8_S1C_bDpT10_ENKUlT_T0_E_clISt17integral_constantIbLb0EES1O_IbLb1EEEEDaS1K_S1L_EUlS1K_E_NS1_11comp_targetILNS1_3genE0ELNS1_11target_archE4294967295ELNS1_3gpuE0ELNS1_3repE0EEENS1_30default_config_static_selectorELNS0_4arch9wavefront6targetE0EEEvSY_,"axG",@progbits,_ZN7rocprim17ROCPRIM_400000_NS6detail17trampoline_kernelINS0_13select_configILj256ELj13ELNS0_17block_load_methodE3ELS4_3ELS4_3ELNS0_20block_scan_algorithmE0ELj4294967295EEENS1_25partition_config_selectorILNS1_17partition_subalgoE3EjNS0_10empty_typeEbEEZZNS1_14partition_implILS8_3ELb0ES6_jNS0_17counting_iteratorIjlEEPS9_SE_NS0_5tupleIJPjSE_EEENSF_IJSE_SE_EEES9_SG_JZNS1_25segmented_radix_sort_implINS0_14default_configELb0EPKhPhPKlPlN2at6native12_GLOBAL__N_18offset_tEEE10hipError_tPvRmT1_PNSt15iterator_traitsISY_E10value_typeET2_T3_PNSZ_IS14_E10value_typeET4_jRbjT5_S1A_jjP12ihipStream_tbEUljE_EEESV_SW_SX_S14_S18_S1A_T6_T7_T9_mT8_S1C_bDpT10_ENKUlT_T0_E_clISt17integral_constantIbLb0EES1O_IbLb1EEEEDaS1K_S1L_EUlS1K_E_NS1_11comp_targetILNS1_3genE0ELNS1_11target_archE4294967295ELNS1_3gpuE0ELNS1_3repE0EEENS1_30default_config_static_selectorELNS0_4arch9wavefront6targetE0EEEvSY_,comdat
.Lfunc_end177:
	.size	_ZN7rocprim17ROCPRIM_400000_NS6detail17trampoline_kernelINS0_13select_configILj256ELj13ELNS0_17block_load_methodE3ELS4_3ELS4_3ELNS0_20block_scan_algorithmE0ELj4294967295EEENS1_25partition_config_selectorILNS1_17partition_subalgoE3EjNS0_10empty_typeEbEEZZNS1_14partition_implILS8_3ELb0ES6_jNS0_17counting_iteratorIjlEEPS9_SE_NS0_5tupleIJPjSE_EEENSF_IJSE_SE_EEES9_SG_JZNS1_25segmented_radix_sort_implINS0_14default_configELb0EPKhPhPKlPlN2at6native12_GLOBAL__N_18offset_tEEE10hipError_tPvRmT1_PNSt15iterator_traitsISY_E10value_typeET2_T3_PNSZ_IS14_E10value_typeET4_jRbjT5_S1A_jjP12ihipStream_tbEUljE_EEESV_SW_SX_S14_S18_S1A_T6_T7_T9_mT8_S1C_bDpT10_ENKUlT_T0_E_clISt17integral_constantIbLb0EES1O_IbLb1EEEEDaS1K_S1L_EUlS1K_E_NS1_11comp_targetILNS1_3genE0ELNS1_11target_archE4294967295ELNS1_3gpuE0ELNS1_3repE0EEENS1_30default_config_static_selectorELNS0_4arch9wavefront6targetE0EEEvSY_, .Lfunc_end177-_ZN7rocprim17ROCPRIM_400000_NS6detail17trampoline_kernelINS0_13select_configILj256ELj13ELNS0_17block_load_methodE3ELS4_3ELS4_3ELNS0_20block_scan_algorithmE0ELj4294967295EEENS1_25partition_config_selectorILNS1_17partition_subalgoE3EjNS0_10empty_typeEbEEZZNS1_14partition_implILS8_3ELb0ES6_jNS0_17counting_iteratorIjlEEPS9_SE_NS0_5tupleIJPjSE_EEENSF_IJSE_SE_EEES9_SG_JZNS1_25segmented_radix_sort_implINS0_14default_configELb0EPKhPhPKlPlN2at6native12_GLOBAL__N_18offset_tEEE10hipError_tPvRmT1_PNSt15iterator_traitsISY_E10value_typeET2_T3_PNSZ_IS14_E10value_typeET4_jRbjT5_S1A_jjP12ihipStream_tbEUljE_EEESV_SW_SX_S14_S18_S1A_T6_T7_T9_mT8_S1C_bDpT10_ENKUlT_T0_E_clISt17integral_constantIbLb0EES1O_IbLb1EEEEDaS1K_S1L_EUlS1K_E_NS1_11comp_targetILNS1_3genE0ELNS1_11target_archE4294967295ELNS1_3gpuE0ELNS1_3repE0EEENS1_30default_config_static_selectorELNS0_4arch9wavefront6targetE0EEEvSY_
                                        ; -- End function
	.set _ZN7rocprim17ROCPRIM_400000_NS6detail17trampoline_kernelINS0_13select_configILj256ELj13ELNS0_17block_load_methodE3ELS4_3ELS4_3ELNS0_20block_scan_algorithmE0ELj4294967295EEENS1_25partition_config_selectorILNS1_17partition_subalgoE3EjNS0_10empty_typeEbEEZZNS1_14partition_implILS8_3ELb0ES6_jNS0_17counting_iteratorIjlEEPS9_SE_NS0_5tupleIJPjSE_EEENSF_IJSE_SE_EEES9_SG_JZNS1_25segmented_radix_sort_implINS0_14default_configELb0EPKhPhPKlPlN2at6native12_GLOBAL__N_18offset_tEEE10hipError_tPvRmT1_PNSt15iterator_traitsISY_E10value_typeET2_T3_PNSZ_IS14_E10value_typeET4_jRbjT5_S1A_jjP12ihipStream_tbEUljE_EEESV_SW_SX_S14_S18_S1A_T6_T7_T9_mT8_S1C_bDpT10_ENKUlT_T0_E_clISt17integral_constantIbLb0EES1O_IbLb1EEEEDaS1K_S1L_EUlS1K_E_NS1_11comp_targetILNS1_3genE0ELNS1_11target_archE4294967295ELNS1_3gpuE0ELNS1_3repE0EEENS1_30default_config_static_selectorELNS0_4arch9wavefront6targetE0EEEvSY_.num_vgpr, 72
	.set _ZN7rocprim17ROCPRIM_400000_NS6detail17trampoline_kernelINS0_13select_configILj256ELj13ELNS0_17block_load_methodE3ELS4_3ELS4_3ELNS0_20block_scan_algorithmE0ELj4294967295EEENS1_25partition_config_selectorILNS1_17partition_subalgoE3EjNS0_10empty_typeEbEEZZNS1_14partition_implILS8_3ELb0ES6_jNS0_17counting_iteratorIjlEEPS9_SE_NS0_5tupleIJPjSE_EEENSF_IJSE_SE_EEES9_SG_JZNS1_25segmented_radix_sort_implINS0_14default_configELb0EPKhPhPKlPlN2at6native12_GLOBAL__N_18offset_tEEE10hipError_tPvRmT1_PNSt15iterator_traitsISY_E10value_typeET2_T3_PNSZ_IS14_E10value_typeET4_jRbjT5_S1A_jjP12ihipStream_tbEUljE_EEESV_SW_SX_S14_S18_S1A_T6_T7_T9_mT8_S1C_bDpT10_ENKUlT_T0_E_clISt17integral_constantIbLb0EES1O_IbLb1EEEEDaS1K_S1L_EUlS1K_E_NS1_11comp_targetILNS1_3genE0ELNS1_11target_archE4294967295ELNS1_3gpuE0ELNS1_3repE0EEENS1_30default_config_static_selectorELNS0_4arch9wavefront6targetE0EEEvSY_.num_agpr, 0
	.set _ZN7rocprim17ROCPRIM_400000_NS6detail17trampoline_kernelINS0_13select_configILj256ELj13ELNS0_17block_load_methodE3ELS4_3ELS4_3ELNS0_20block_scan_algorithmE0ELj4294967295EEENS1_25partition_config_selectorILNS1_17partition_subalgoE3EjNS0_10empty_typeEbEEZZNS1_14partition_implILS8_3ELb0ES6_jNS0_17counting_iteratorIjlEEPS9_SE_NS0_5tupleIJPjSE_EEENSF_IJSE_SE_EEES9_SG_JZNS1_25segmented_radix_sort_implINS0_14default_configELb0EPKhPhPKlPlN2at6native12_GLOBAL__N_18offset_tEEE10hipError_tPvRmT1_PNSt15iterator_traitsISY_E10value_typeET2_T3_PNSZ_IS14_E10value_typeET4_jRbjT5_S1A_jjP12ihipStream_tbEUljE_EEESV_SW_SX_S14_S18_S1A_T6_T7_T9_mT8_S1C_bDpT10_ENKUlT_T0_E_clISt17integral_constantIbLb0EES1O_IbLb1EEEEDaS1K_S1L_EUlS1K_E_NS1_11comp_targetILNS1_3genE0ELNS1_11target_archE4294967295ELNS1_3gpuE0ELNS1_3repE0EEENS1_30default_config_static_selectorELNS0_4arch9wavefront6targetE0EEEvSY_.numbered_sgpr, 24
	.set _ZN7rocprim17ROCPRIM_400000_NS6detail17trampoline_kernelINS0_13select_configILj256ELj13ELNS0_17block_load_methodE3ELS4_3ELS4_3ELNS0_20block_scan_algorithmE0ELj4294967295EEENS1_25partition_config_selectorILNS1_17partition_subalgoE3EjNS0_10empty_typeEbEEZZNS1_14partition_implILS8_3ELb0ES6_jNS0_17counting_iteratorIjlEEPS9_SE_NS0_5tupleIJPjSE_EEENSF_IJSE_SE_EEES9_SG_JZNS1_25segmented_radix_sort_implINS0_14default_configELb0EPKhPhPKlPlN2at6native12_GLOBAL__N_18offset_tEEE10hipError_tPvRmT1_PNSt15iterator_traitsISY_E10value_typeET2_T3_PNSZ_IS14_E10value_typeET4_jRbjT5_S1A_jjP12ihipStream_tbEUljE_EEESV_SW_SX_S14_S18_S1A_T6_T7_T9_mT8_S1C_bDpT10_ENKUlT_T0_E_clISt17integral_constantIbLb0EES1O_IbLb1EEEEDaS1K_S1L_EUlS1K_E_NS1_11comp_targetILNS1_3genE0ELNS1_11target_archE4294967295ELNS1_3gpuE0ELNS1_3repE0EEENS1_30default_config_static_selectorELNS0_4arch9wavefront6targetE0EEEvSY_.num_named_barrier, 0
	.set _ZN7rocprim17ROCPRIM_400000_NS6detail17trampoline_kernelINS0_13select_configILj256ELj13ELNS0_17block_load_methodE3ELS4_3ELS4_3ELNS0_20block_scan_algorithmE0ELj4294967295EEENS1_25partition_config_selectorILNS1_17partition_subalgoE3EjNS0_10empty_typeEbEEZZNS1_14partition_implILS8_3ELb0ES6_jNS0_17counting_iteratorIjlEEPS9_SE_NS0_5tupleIJPjSE_EEENSF_IJSE_SE_EEES9_SG_JZNS1_25segmented_radix_sort_implINS0_14default_configELb0EPKhPhPKlPlN2at6native12_GLOBAL__N_18offset_tEEE10hipError_tPvRmT1_PNSt15iterator_traitsISY_E10value_typeET2_T3_PNSZ_IS14_E10value_typeET4_jRbjT5_S1A_jjP12ihipStream_tbEUljE_EEESV_SW_SX_S14_S18_S1A_T6_T7_T9_mT8_S1C_bDpT10_ENKUlT_T0_E_clISt17integral_constantIbLb0EES1O_IbLb1EEEEDaS1K_S1L_EUlS1K_E_NS1_11comp_targetILNS1_3genE0ELNS1_11target_archE4294967295ELNS1_3gpuE0ELNS1_3repE0EEENS1_30default_config_static_selectorELNS0_4arch9wavefront6targetE0EEEvSY_.private_seg_size, 0
	.set _ZN7rocprim17ROCPRIM_400000_NS6detail17trampoline_kernelINS0_13select_configILj256ELj13ELNS0_17block_load_methodE3ELS4_3ELS4_3ELNS0_20block_scan_algorithmE0ELj4294967295EEENS1_25partition_config_selectorILNS1_17partition_subalgoE3EjNS0_10empty_typeEbEEZZNS1_14partition_implILS8_3ELb0ES6_jNS0_17counting_iteratorIjlEEPS9_SE_NS0_5tupleIJPjSE_EEENSF_IJSE_SE_EEES9_SG_JZNS1_25segmented_radix_sort_implINS0_14default_configELb0EPKhPhPKlPlN2at6native12_GLOBAL__N_18offset_tEEE10hipError_tPvRmT1_PNSt15iterator_traitsISY_E10value_typeET2_T3_PNSZ_IS14_E10value_typeET4_jRbjT5_S1A_jjP12ihipStream_tbEUljE_EEESV_SW_SX_S14_S18_S1A_T6_T7_T9_mT8_S1C_bDpT10_ENKUlT_T0_E_clISt17integral_constantIbLb0EES1O_IbLb1EEEEDaS1K_S1L_EUlS1K_E_NS1_11comp_targetILNS1_3genE0ELNS1_11target_archE4294967295ELNS1_3gpuE0ELNS1_3repE0EEENS1_30default_config_static_selectorELNS0_4arch9wavefront6targetE0EEEvSY_.uses_vcc, 1
	.set _ZN7rocprim17ROCPRIM_400000_NS6detail17trampoline_kernelINS0_13select_configILj256ELj13ELNS0_17block_load_methodE3ELS4_3ELS4_3ELNS0_20block_scan_algorithmE0ELj4294967295EEENS1_25partition_config_selectorILNS1_17partition_subalgoE3EjNS0_10empty_typeEbEEZZNS1_14partition_implILS8_3ELb0ES6_jNS0_17counting_iteratorIjlEEPS9_SE_NS0_5tupleIJPjSE_EEENSF_IJSE_SE_EEES9_SG_JZNS1_25segmented_radix_sort_implINS0_14default_configELb0EPKhPhPKlPlN2at6native12_GLOBAL__N_18offset_tEEE10hipError_tPvRmT1_PNSt15iterator_traitsISY_E10value_typeET2_T3_PNSZ_IS14_E10value_typeET4_jRbjT5_S1A_jjP12ihipStream_tbEUljE_EEESV_SW_SX_S14_S18_S1A_T6_T7_T9_mT8_S1C_bDpT10_ENKUlT_T0_E_clISt17integral_constantIbLb0EES1O_IbLb1EEEEDaS1K_S1L_EUlS1K_E_NS1_11comp_targetILNS1_3genE0ELNS1_11target_archE4294967295ELNS1_3gpuE0ELNS1_3repE0EEENS1_30default_config_static_selectorELNS0_4arch9wavefront6targetE0EEEvSY_.uses_flat_scratch, 0
	.set _ZN7rocprim17ROCPRIM_400000_NS6detail17trampoline_kernelINS0_13select_configILj256ELj13ELNS0_17block_load_methodE3ELS4_3ELS4_3ELNS0_20block_scan_algorithmE0ELj4294967295EEENS1_25partition_config_selectorILNS1_17partition_subalgoE3EjNS0_10empty_typeEbEEZZNS1_14partition_implILS8_3ELb0ES6_jNS0_17counting_iteratorIjlEEPS9_SE_NS0_5tupleIJPjSE_EEENSF_IJSE_SE_EEES9_SG_JZNS1_25segmented_radix_sort_implINS0_14default_configELb0EPKhPhPKlPlN2at6native12_GLOBAL__N_18offset_tEEE10hipError_tPvRmT1_PNSt15iterator_traitsISY_E10value_typeET2_T3_PNSZ_IS14_E10value_typeET4_jRbjT5_S1A_jjP12ihipStream_tbEUljE_EEESV_SW_SX_S14_S18_S1A_T6_T7_T9_mT8_S1C_bDpT10_ENKUlT_T0_E_clISt17integral_constantIbLb0EES1O_IbLb1EEEEDaS1K_S1L_EUlS1K_E_NS1_11comp_targetILNS1_3genE0ELNS1_11target_archE4294967295ELNS1_3gpuE0ELNS1_3repE0EEENS1_30default_config_static_selectorELNS0_4arch9wavefront6targetE0EEEvSY_.has_dyn_sized_stack, 0
	.set _ZN7rocprim17ROCPRIM_400000_NS6detail17trampoline_kernelINS0_13select_configILj256ELj13ELNS0_17block_load_methodE3ELS4_3ELS4_3ELNS0_20block_scan_algorithmE0ELj4294967295EEENS1_25partition_config_selectorILNS1_17partition_subalgoE3EjNS0_10empty_typeEbEEZZNS1_14partition_implILS8_3ELb0ES6_jNS0_17counting_iteratorIjlEEPS9_SE_NS0_5tupleIJPjSE_EEENSF_IJSE_SE_EEES9_SG_JZNS1_25segmented_radix_sort_implINS0_14default_configELb0EPKhPhPKlPlN2at6native12_GLOBAL__N_18offset_tEEE10hipError_tPvRmT1_PNSt15iterator_traitsISY_E10value_typeET2_T3_PNSZ_IS14_E10value_typeET4_jRbjT5_S1A_jjP12ihipStream_tbEUljE_EEESV_SW_SX_S14_S18_S1A_T6_T7_T9_mT8_S1C_bDpT10_ENKUlT_T0_E_clISt17integral_constantIbLb0EES1O_IbLb1EEEEDaS1K_S1L_EUlS1K_E_NS1_11comp_targetILNS1_3genE0ELNS1_11target_archE4294967295ELNS1_3gpuE0ELNS1_3repE0EEENS1_30default_config_static_selectorELNS0_4arch9wavefront6targetE0EEEvSY_.has_recursion, 0
	.set _ZN7rocprim17ROCPRIM_400000_NS6detail17trampoline_kernelINS0_13select_configILj256ELj13ELNS0_17block_load_methodE3ELS4_3ELS4_3ELNS0_20block_scan_algorithmE0ELj4294967295EEENS1_25partition_config_selectorILNS1_17partition_subalgoE3EjNS0_10empty_typeEbEEZZNS1_14partition_implILS8_3ELb0ES6_jNS0_17counting_iteratorIjlEEPS9_SE_NS0_5tupleIJPjSE_EEENSF_IJSE_SE_EEES9_SG_JZNS1_25segmented_radix_sort_implINS0_14default_configELb0EPKhPhPKlPlN2at6native12_GLOBAL__N_18offset_tEEE10hipError_tPvRmT1_PNSt15iterator_traitsISY_E10value_typeET2_T3_PNSZ_IS14_E10value_typeET4_jRbjT5_S1A_jjP12ihipStream_tbEUljE_EEESV_SW_SX_S14_S18_S1A_T6_T7_T9_mT8_S1C_bDpT10_ENKUlT_T0_E_clISt17integral_constantIbLb0EES1O_IbLb1EEEEDaS1K_S1L_EUlS1K_E_NS1_11comp_targetILNS1_3genE0ELNS1_11target_archE4294967295ELNS1_3gpuE0ELNS1_3repE0EEENS1_30default_config_static_selectorELNS0_4arch9wavefront6targetE0EEEvSY_.has_indirect_call, 0
	.section	.AMDGPU.csdata,"",@progbits
; Kernel info:
; codeLenInByte = 9040
; TotalNumSgprs: 26
; NumVgprs: 72
; ScratchSize: 0
; MemoryBound: 0
; FloatMode: 240
; IeeeMode: 1
; LDSByteSize: 13320 bytes/workgroup (compile time only)
; SGPRBlocks: 0
; VGPRBlocks: 4
; NumSGPRsForWavesPerEU: 26
; NumVGPRsForWavesPerEU: 72
; NamedBarCnt: 0
; Occupancy: 12
; WaveLimiterHint : 0
; COMPUTE_PGM_RSRC2:SCRATCH_EN: 0
; COMPUTE_PGM_RSRC2:USER_SGPR: 2
; COMPUTE_PGM_RSRC2:TRAP_HANDLER: 0
; COMPUTE_PGM_RSRC2:TGID_X_EN: 1
; COMPUTE_PGM_RSRC2:TGID_Y_EN: 0
; COMPUTE_PGM_RSRC2:TGID_Z_EN: 0
; COMPUTE_PGM_RSRC2:TIDIG_COMP_CNT: 0
	.section	.text._ZN7rocprim17ROCPRIM_400000_NS6detail17trampoline_kernelINS0_13select_configILj256ELj13ELNS0_17block_load_methodE3ELS4_3ELS4_3ELNS0_20block_scan_algorithmE0ELj4294967295EEENS1_25partition_config_selectorILNS1_17partition_subalgoE3EjNS0_10empty_typeEbEEZZNS1_14partition_implILS8_3ELb0ES6_jNS0_17counting_iteratorIjlEEPS9_SE_NS0_5tupleIJPjSE_EEENSF_IJSE_SE_EEES9_SG_JZNS1_25segmented_radix_sort_implINS0_14default_configELb0EPKhPhPKlPlN2at6native12_GLOBAL__N_18offset_tEEE10hipError_tPvRmT1_PNSt15iterator_traitsISY_E10value_typeET2_T3_PNSZ_IS14_E10value_typeET4_jRbjT5_S1A_jjP12ihipStream_tbEUljE_EEESV_SW_SX_S14_S18_S1A_T6_T7_T9_mT8_S1C_bDpT10_ENKUlT_T0_E_clISt17integral_constantIbLb0EES1O_IbLb1EEEEDaS1K_S1L_EUlS1K_E_NS1_11comp_targetILNS1_3genE5ELNS1_11target_archE942ELNS1_3gpuE9ELNS1_3repE0EEENS1_30default_config_static_selectorELNS0_4arch9wavefront6targetE0EEEvSY_,"axG",@progbits,_ZN7rocprim17ROCPRIM_400000_NS6detail17trampoline_kernelINS0_13select_configILj256ELj13ELNS0_17block_load_methodE3ELS4_3ELS4_3ELNS0_20block_scan_algorithmE0ELj4294967295EEENS1_25partition_config_selectorILNS1_17partition_subalgoE3EjNS0_10empty_typeEbEEZZNS1_14partition_implILS8_3ELb0ES6_jNS0_17counting_iteratorIjlEEPS9_SE_NS0_5tupleIJPjSE_EEENSF_IJSE_SE_EEES9_SG_JZNS1_25segmented_radix_sort_implINS0_14default_configELb0EPKhPhPKlPlN2at6native12_GLOBAL__N_18offset_tEEE10hipError_tPvRmT1_PNSt15iterator_traitsISY_E10value_typeET2_T3_PNSZ_IS14_E10value_typeET4_jRbjT5_S1A_jjP12ihipStream_tbEUljE_EEESV_SW_SX_S14_S18_S1A_T6_T7_T9_mT8_S1C_bDpT10_ENKUlT_T0_E_clISt17integral_constantIbLb0EES1O_IbLb1EEEEDaS1K_S1L_EUlS1K_E_NS1_11comp_targetILNS1_3genE5ELNS1_11target_archE942ELNS1_3gpuE9ELNS1_3repE0EEENS1_30default_config_static_selectorELNS0_4arch9wavefront6targetE0EEEvSY_,comdat
	.globl	_ZN7rocprim17ROCPRIM_400000_NS6detail17trampoline_kernelINS0_13select_configILj256ELj13ELNS0_17block_load_methodE3ELS4_3ELS4_3ELNS0_20block_scan_algorithmE0ELj4294967295EEENS1_25partition_config_selectorILNS1_17partition_subalgoE3EjNS0_10empty_typeEbEEZZNS1_14partition_implILS8_3ELb0ES6_jNS0_17counting_iteratorIjlEEPS9_SE_NS0_5tupleIJPjSE_EEENSF_IJSE_SE_EEES9_SG_JZNS1_25segmented_radix_sort_implINS0_14default_configELb0EPKhPhPKlPlN2at6native12_GLOBAL__N_18offset_tEEE10hipError_tPvRmT1_PNSt15iterator_traitsISY_E10value_typeET2_T3_PNSZ_IS14_E10value_typeET4_jRbjT5_S1A_jjP12ihipStream_tbEUljE_EEESV_SW_SX_S14_S18_S1A_T6_T7_T9_mT8_S1C_bDpT10_ENKUlT_T0_E_clISt17integral_constantIbLb0EES1O_IbLb1EEEEDaS1K_S1L_EUlS1K_E_NS1_11comp_targetILNS1_3genE5ELNS1_11target_archE942ELNS1_3gpuE9ELNS1_3repE0EEENS1_30default_config_static_selectorELNS0_4arch9wavefront6targetE0EEEvSY_ ; -- Begin function _ZN7rocprim17ROCPRIM_400000_NS6detail17trampoline_kernelINS0_13select_configILj256ELj13ELNS0_17block_load_methodE3ELS4_3ELS4_3ELNS0_20block_scan_algorithmE0ELj4294967295EEENS1_25partition_config_selectorILNS1_17partition_subalgoE3EjNS0_10empty_typeEbEEZZNS1_14partition_implILS8_3ELb0ES6_jNS0_17counting_iteratorIjlEEPS9_SE_NS0_5tupleIJPjSE_EEENSF_IJSE_SE_EEES9_SG_JZNS1_25segmented_radix_sort_implINS0_14default_configELb0EPKhPhPKlPlN2at6native12_GLOBAL__N_18offset_tEEE10hipError_tPvRmT1_PNSt15iterator_traitsISY_E10value_typeET2_T3_PNSZ_IS14_E10value_typeET4_jRbjT5_S1A_jjP12ihipStream_tbEUljE_EEESV_SW_SX_S14_S18_S1A_T6_T7_T9_mT8_S1C_bDpT10_ENKUlT_T0_E_clISt17integral_constantIbLb0EES1O_IbLb1EEEEDaS1K_S1L_EUlS1K_E_NS1_11comp_targetILNS1_3genE5ELNS1_11target_archE942ELNS1_3gpuE9ELNS1_3repE0EEENS1_30default_config_static_selectorELNS0_4arch9wavefront6targetE0EEEvSY_
	.p2align	8
	.type	_ZN7rocprim17ROCPRIM_400000_NS6detail17trampoline_kernelINS0_13select_configILj256ELj13ELNS0_17block_load_methodE3ELS4_3ELS4_3ELNS0_20block_scan_algorithmE0ELj4294967295EEENS1_25partition_config_selectorILNS1_17partition_subalgoE3EjNS0_10empty_typeEbEEZZNS1_14partition_implILS8_3ELb0ES6_jNS0_17counting_iteratorIjlEEPS9_SE_NS0_5tupleIJPjSE_EEENSF_IJSE_SE_EEES9_SG_JZNS1_25segmented_radix_sort_implINS0_14default_configELb0EPKhPhPKlPlN2at6native12_GLOBAL__N_18offset_tEEE10hipError_tPvRmT1_PNSt15iterator_traitsISY_E10value_typeET2_T3_PNSZ_IS14_E10value_typeET4_jRbjT5_S1A_jjP12ihipStream_tbEUljE_EEESV_SW_SX_S14_S18_S1A_T6_T7_T9_mT8_S1C_bDpT10_ENKUlT_T0_E_clISt17integral_constantIbLb0EES1O_IbLb1EEEEDaS1K_S1L_EUlS1K_E_NS1_11comp_targetILNS1_3genE5ELNS1_11target_archE942ELNS1_3gpuE9ELNS1_3repE0EEENS1_30default_config_static_selectorELNS0_4arch9wavefront6targetE0EEEvSY_,@function
_ZN7rocprim17ROCPRIM_400000_NS6detail17trampoline_kernelINS0_13select_configILj256ELj13ELNS0_17block_load_methodE3ELS4_3ELS4_3ELNS0_20block_scan_algorithmE0ELj4294967295EEENS1_25partition_config_selectorILNS1_17partition_subalgoE3EjNS0_10empty_typeEbEEZZNS1_14partition_implILS8_3ELb0ES6_jNS0_17counting_iteratorIjlEEPS9_SE_NS0_5tupleIJPjSE_EEENSF_IJSE_SE_EEES9_SG_JZNS1_25segmented_radix_sort_implINS0_14default_configELb0EPKhPhPKlPlN2at6native12_GLOBAL__N_18offset_tEEE10hipError_tPvRmT1_PNSt15iterator_traitsISY_E10value_typeET2_T3_PNSZ_IS14_E10value_typeET4_jRbjT5_S1A_jjP12ihipStream_tbEUljE_EEESV_SW_SX_S14_S18_S1A_T6_T7_T9_mT8_S1C_bDpT10_ENKUlT_T0_E_clISt17integral_constantIbLb0EES1O_IbLb1EEEEDaS1K_S1L_EUlS1K_E_NS1_11comp_targetILNS1_3genE5ELNS1_11target_archE942ELNS1_3gpuE9ELNS1_3repE0EEENS1_30default_config_static_selectorELNS0_4arch9wavefront6targetE0EEEvSY_: ; @_ZN7rocprim17ROCPRIM_400000_NS6detail17trampoline_kernelINS0_13select_configILj256ELj13ELNS0_17block_load_methodE3ELS4_3ELS4_3ELNS0_20block_scan_algorithmE0ELj4294967295EEENS1_25partition_config_selectorILNS1_17partition_subalgoE3EjNS0_10empty_typeEbEEZZNS1_14partition_implILS8_3ELb0ES6_jNS0_17counting_iteratorIjlEEPS9_SE_NS0_5tupleIJPjSE_EEENSF_IJSE_SE_EEES9_SG_JZNS1_25segmented_radix_sort_implINS0_14default_configELb0EPKhPhPKlPlN2at6native12_GLOBAL__N_18offset_tEEE10hipError_tPvRmT1_PNSt15iterator_traitsISY_E10value_typeET2_T3_PNSZ_IS14_E10value_typeET4_jRbjT5_S1A_jjP12ihipStream_tbEUljE_EEESV_SW_SX_S14_S18_S1A_T6_T7_T9_mT8_S1C_bDpT10_ENKUlT_T0_E_clISt17integral_constantIbLb0EES1O_IbLb1EEEEDaS1K_S1L_EUlS1K_E_NS1_11comp_targetILNS1_3genE5ELNS1_11target_archE942ELNS1_3gpuE9ELNS1_3repE0EEENS1_30default_config_static_selectorELNS0_4arch9wavefront6targetE0EEEvSY_
; %bb.0:
	.section	.rodata,"a",@progbits
	.p2align	6, 0x0
	.amdhsa_kernel _ZN7rocprim17ROCPRIM_400000_NS6detail17trampoline_kernelINS0_13select_configILj256ELj13ELNS0_17block_load_methodE3ELS4_3ELS4_3ELNS0_20block_scan_algorithmE0ELj4294967295EEENS1_25partition_config_selectorILNS1_17partition_subalgoE3EjNS0_10empty_typeEbEEZZNS1_14partition_implILS8_3ELb0ES6_jNS0_17counting_iteratorIjlEEPS9_SE_NS0_5tupleIJPjSE_EEENSF_IJSE_SE_EEES9_SG_JZNS1_25segmented_radix_sort_implINS0_14default_configELb0EPKhPhPKlPlN2at6native12_GLOBAL__N_18offset_tEEE10hipError_tPvRmT1_PNSt15iterator_traitsISY_E10value_typeET2_T3_PNSZ_IS14_E10value_typeET4_jRbjT5_S1A_jjP12ihipStream_tbEUljE_EEESV_SW_SX_S14_S18_S1A_T6_T7_T9_mT8_S1C_bDpT10_ENKUlT_T0_E_clISt17integral_constantIbLb0EES1O_IbLb1EEEEDaS1K_S1L_EUlS1K_E_NS1_11comp_targetILNS1_3genE5ELNS1_11target_archE942ELNS1_3gpuE9ELNS1_3repE0EEENS1_30default_config_static_selectorELNS0_4arch9wavefront6targetE0EEEvSY_
		.amdhsa_group_segment_fixed_size 0
		.amdhsa_private_segment_fixed_size 0
		.amdhsa_kernarg_size 152
		.amdhsa_user_sgpr_count 2
		.amdhsa_user_sgpr_dispatch_ptr 0
		.amdhsa_user_sgpr_queue_ptr 0
		.amdhsa_user_sgpr_kernarg_segment_ptr 1
		.amdhsa_user_sgpr_dispatch_id 0
		.amdhsa_user_sgpr_kernarg_preload_length 0
		.amdhsa_user_sgpr_kernarg_preload_offset 0
		.amdhsa_user_sgpr_private_segment_size 0
		.amdhsa_wavefront_size32 1
		.amdhsa_uses_dynamic_stack 0
		.amdhsa_enable_private_segment 0
		.amdhsa_system_sgpr_workgroup_id_x 1
		.amdhsa_system_sgpr_workgroup_id_y 0
		.amdhsa_system_sgpr_workgroup_id_z 0
		.amdhsa_system_sgpr_workgroup_info 0
		.amdhsa_system_vgpr_workitem_id 0
		.amdhsa_next_free_vgpr 1
		.amdhsa_next_free_sgpr 1
		.amdhsa_named_barrier_count 0
		.amdhsa_reserve_vcc 0
		.amdhsa_float_round_mode_32 0
		.amdhsa_float_round_mode_16_64 0
		.amdhsa_float_denorm_mode_32 3
		.amdhsa_float_denorm_mode_16_64 3
		.amdhsa_fp16_overflow 0
		.amdhsa_memory_ordered 1
		.amdhsa_forward_progress 1
		.amdhsa_inst_pref_size 0
		.amdhsa_round_robin_scheduling 0
		.amdhsa_exception_fp_ieee_invalid_op 0
		.amdhsa_exception_fp_denorm_src 0
		.amdhsa_exception_fp_ieee_div_zero 0
		.amdhsa_exception_fp_ieee_overflow 0
		.amdhsa_exception_fp_ieee_underflow 0
		.amdhsa_exception_fp_ieee_inexact 0
		.amdhsa_exception_int_div_zero 0
	.end_amdhsa_kernel
	.section	.text._ZN7rocprim17ROCPRIM_400000_NS6detail17trampoline_kernelINS0_13select_configILj256ELj13ELNS0_17block_load_methodE3ELS4_3ELS4_3ELNS0_20block_scan_algorithmE0ELj4294967295EEENS1_25partition_config_selectorILNS1_17partition_subalgoE3EjNS0_10empty_typeEbEEZZNS1_14partition_implILS8_3ELb0ES6_jNS0_17counting_iteratorIjlEEPS9_SE_NS0_5tupleIJPjSE_EEENSF_IJSE_SE_EEES9_SG_JZNS1_25segmented_radix_sort_implINS0_14default_configELb0EPKhPhPKlPlN2at6native12_GLOBAL__N_18offset_tEEE10hipError_tPvRmT1_PNSt15iterator_traitsISY_E10value_typeET2_T3_PNSZ_IS14_E10value_typeET4_jRbjT5_S1A_jjP12ihipStream_tbEUljE_EEESV_SW_SX_S14_S18_S1A_T6_T7_T9_mT8_S1C_bDpT10_ENKUlT_T0_E_clISt17integral_constantIbLb0EES1O_IbLb1EEEEDaS1K_S1L_EUlS1K_E_NS1_11comp_targetILNS1_3genE5ELNS1_11target_archE942ELNS1_3gpuE9ELNS1_3repE0EEENS1_30default_config_static_selectorELNS0_4arch9wavefront6targetE0EEEvSY_,"axG",@progbits,_ZN7rocprim17ROCPRIM_400000_NS6detail17trampoline_kernelINS0_13select_configILj256ELj13ELNS0_17block_load_methodE3ELS4_3ELS4_3ELNS0_20block_scan_algorithmE0ELj4294967295EEENS1_25partition_config_selectorILNS1_17partition_subalgoE3EjNS0_10empty_typeEbEEZZNS1_14partition_implILS8_3ELb0ES6_jNS0_17counting_iteratorIjlEEPS9_SE_NS0_5tupleIJPjSE_EEENSF_IJSE_SE_EEES9_SG_JZNS1_25segmented_radix_sort_implINS0_14default_configELb0EPKhPhPKlPlN2at6native12_GLOBAL__N_18offset_tEEE10hipError_tPvRmT1_PNSt15iterator_traitsISY_E10value_typeET2_T3_PNSZ_IS14_E10value_typeET4_jRbjT5_S1A_jjP12ihipStream_tbEUljE_EEESV_SW_SX_S14_S18_S1A_T6_T7_T9_mT8_S1C_bDpT10_ENKUlT_T0_E_clISt17integral_constantIbLb0EES1O_IbLb1EEEEDaS1K_S1L_EUlS1K_E_NS1_11comp_targetILNS1_3genE5ELNS1_11target_archE942ELNS1_3gpuE9ELNS1_3repE0EEENS1_30default_config_static_selectorELNS0_4arch9wavefront6targetE0EEEvSY_,comdat
.Lfunc_end178:
	.size	_ZN7rocprim17ROCPRIM_400000_NS6detail17trampoline_kernelINS0_13select_configILj256ELj13ELNS0_17block_load_methodE3ELS4_3ELS4_3ELNS0_20block_scan_algorithmE0ELj4294967295EEENS1_25partition_config_selectorILNS1_17partition_subalgoE3EjNS0_10empty_typeEbEEZZNS1_14partition_implILS8_3ELb0ES6_jNS0_17counting_iteratorIjlEEPS9_SE_NS0_5tupleIJPjSE_EEENSF_IJSE_SE_EEES9_SG_JZNS1_25segmented_radix_sort_implINS0_14default_configELb0EPKhPhPKlPlN2at6native12_GLOBAL__N_18offset_tEEE10hipError_tPvRmT1_PNSt15iterator_traitsISY_E10value_typeET2_T3_PNSZ_IS14_E10value_typeET4_jRbjT5_S1A_jjP12ihipStream_tbEUljE_EEESV_SW_SX_S14_S18_S1A_T6_T7_T9_mT8_S1C_bDpT10_ENKUlT_T0_E_clISt17integral_constantIbLb0EES1O_IbLb1EEEEDaS1K_S1L_EUlS1K_E_NS1_11comp_targetILNS1_3genE5ELNS1_11target_archE942ELNS1_3gpuE9ELNS1_3repE0EEENS1_30default_config_static_selectorELNS0_4arch9wavefront6targetE0EEEvSY_, .Lfunc_end178-_ZN7rocprim17ROCPRIM_400000_NS6detail17trampoline_kernelINS0_13select_configILj256ELj13ELNS0_17block_load_methodE3ELS4_3ELS4_3ELNS0_20block_scan_algorithmE0ELj4294967295EEENS1_25partition_config_selectorILNS1_17partition_subalgoE3EjNS0_10empty_typeEbEEZZNS1_14partition_implILS8_3ELb0ES6_jNS0_17counting_iteratorIjlEEPS9_SE_NS0_5tupleIJPjSE_EEENSF_IJSE_SE_EEES9_SG_JZNS1_25segmented_radix_sort_implINS0_14default_configELb0EPKhPhPKlPlN2at6native12_GLOBAL__N_18offset_tEEE10hipError_tPvRmT1_PNSt15iterator_traitsISY_E10value_typeET2_T3_PNSZ_IS14_E10value_typeET4_jRbjT5_S1A_jjP12ihipStream_tbEUljE_EEESV_SW_SX_S14_S18_S1A_T6_T7_T9_mT8_S1C_bDpT10_ENKUlT_T0_E_clISt17integral_constantIbLb0EES1O_IbLb1EEEEDaS1K_S1L_EUlS1K_E_NS1_11comp_targetILNS1_3genE5ELNS1_11target_archE942ELNS1_3gpuE9ELNS1_3repE0EEENS1_30default_config_static_selectorELNS0_4arch9wavefront6targetE0EEEvSY_
                                        ; -- End function
	.set _ZN7rocprim17ROCPRIM_400000_NS6detail17trampoline_kernelINS0_13select_configILj256ELj13ELNS0_17block_load_methodE3ELS4_3ELS4_3ELNS0_20block_scan_algorithmE0ELj4294967295EEENS1_25partition_config_selectorILNS1_17partition_subalgoE3EjNS0_10empty_typeEbEEZZNS1_14partition_implILS8_3ELb0ES6_jNS0_17counting_iteratorIjlEEPS9_SE_NS0_5tupleIJPjSE_EEENSF_IJSE_SE_EEES9_SG_JZNS1_25segmented_radix_sort_implINS0_14default_configELb0EPKhPhPKlPlN2at6native12_GLOBAL__N_18offset_tEEE10hipError_tPvRmT1_PNSt15iterator_traitsISY_E10value_typeET2_T3_PNSZ_IS14_E10value_typeET4_jRbjT5_S1A_jjP12ihipStream_tbEUljE_EEESV_SW_SX_S14_S18_S1A_T6_T7_T9_mT8_S1C_bDpT10_ENKUlT_T0_E_clISt17integral_constantIbLb0EES1O_IbLb1EEEEDaS1K_S1L_EUlS1K_E_NS1_11comp_targetILNS1_3genE5ELNS1_11target_archE942ELNS1_3gpuE9ELNS1_3repE0EEENS1_30default_config_static_selectorELNS0_4arch9wavefront6targetE0EEEvSY_.num_vgpr, 0
	.set _ZN7rocprim17ROCPRIM_400000_NS6detail17trampoline_kernelINS0_13select_configILj256ELj13ELNS0_17block_load_methodE3ELS4_3ELS4_3ELNS0_20block_scan_algorithmE0ELj4294967295EEENS1_25partition_config_selectorILNS1_17partition_subalgoE3EjNS0_10empty_typeEbEEZZNS1_14partition_implILS8_3ELb0ES6_jNS0_17counting_iteratorIjlEEPS9_SE_NS0_5tupleIJPjSE_EEENSF_IJSE_SE_EEES9_SG_JZNS1_25segmented_radix_sort_implINS0_14default_configELb0EPKhPhPKlPlN2at6native12_GLOBAL__N_18offset_tEEE10hipError_tPvRmT1_PNSt15iterator_traitsISY_E10value_typeET2_T3_PNSZ_IS14_E10value_typeET4_jRbjT5_S1A_jjP12ihipStream_tbEUljE_EEESV_SW_SX_S14_S18_S1A_T6_T7_T9_mT8_S1C_bDpT10_ENKUlT_T0_E_clISt17integral_constantIbLb0EES1O_IbLb1EEEEDaS1K_S1L_EUlS1K_E_NS1_11comp_targetILNS1_3genE5ELNS1_11target_archE942ELNS1_3gpuE9ELNS1_3repE0EEENS1_30default_config_static_selectorELNS0_4arch9wavefront6targetE0EEEvSY_.num_agpr, 0
	.set _ZN7rocprim17ROCPRIM_400000_NS6detail17trampoline_kernelINS0_13select_configILj256ELj13ELNS0_17block_load_methodE3ELS4_3ELS4_3ELNS0_20block_scan_algorithmE0ELj4294967295EEENS1_25partition_config_selectorILNS1_17partition_subalgoE3EjNS0_10empty_typeEbEEZZNS1_14partition_implILS8_3ELb0ES6_jNS0_17counting_iteratorIjlEEPS9_SE_NS0_5tupleIJPjSE_EEENSF_IJSE_SE_EEES9_SG_JZNS1_25segmented_radix_sort_implINS0_14default_configELb0EPKhPhPKlPlN2at6native12_GLOBAL__N_18offset_tEEE10hipError_tPvRmT1_PNSt15iterator_traitsISY_E10value_typeET2_T3_PNSZ_IS14_E10value_typeET4_jRbjT5_S1A_jjP12ihipStream_tbEUljE_EEESV_SW_SX_S14_S18_S1A_T6_T7_T9_mT8_S1C_bDpT10_ENKUlT_T0_E_clISt17integral_constantIbLb0EES1O_IbLb1EEEEDaS1K_S1L_EUlS1K_E_NS1_11comp_targetILNS1_3genE5ELNS1_11target_archE942ELNS1_3gpuE9ELNS1_3repE0EEENS1_30default_config_static_selectorELNS0_4arch9wavefront6targetE0EEEvSY_.numbered_sgpr, 0
	.set _ZN7rocprim17ROCPRIM_400000_NS6detail17trampoline_kernelINS0_13select_configILj256ELj13ELNS0_17block_load_methodE3ELS4_3ELS4_3ELNS0_20block_scan_algorithmE0ELj4294967295EEENS1_25partition_config_selectorILNS1_17partition_subalgoE3EjNS0_10empty_typeEbEEZZNS1_14partition_implILS8_3ELb0ES6_jNS0_17counting_iteratorIjlEEPS9_SE_NS0_5tupleIJPjSE_EEENSF_IJSE_SE_EEES9_SG_JZNS1_25segmented_radix_sort_implINS0_14default_configELb0EPKhPhPKlPlN2at6native12_GLOBAL__N_18offset_tEEE10hipError_tPvRmT1_PNSt15iterator_traitsISY_E10value_typeET2_T3_PNSZ_IS14_E10value_typeET4_jRbjT5_S1A_jjP12ihipStream_tbEUljE_EEESV_SW_SX_S14_S18_S1A_T6_T7_T9_mT8_S1C_bDpT10_ENKUlT_T0_E_clISt17integral_constantIbLb0EES1O_IbLb1EEEEDaS1K_S1L_EUlS1K_E_NS1_11comp_targetILNS1_3genE5ELNS1_11target_archE942ELNS1_3gpuE9ELNS1_3repE0EEENS1_30default_config_static_selectorELNS0_4arch9wavefront6targetE0EEEvSY_.num_named_barrier, 0
	.set _ZN7rocprim17ROCPRIM_400000_NS6detail17trampoline_kernelINS0_13select_configILj256ELj13ELNS0_17block_load_methodE3ELS4_3ELS4_3ELNS0_20block_scan_algorithmE0ELj4294967295EEENS1_25partition_config_selectorILNS1_17partition_subalgoE3EjNS0_10empty_typeEbEEZZNS1_14partition_implILS8_3ELb0ES6_jNS0_17counting_iteratorIjlEEPS9_SE_NS0_5tupleIJPjSE_EEENSF_IJSE_SE_EEES9_SG_JZNS1_25segmented_radix_sort_implINS0_14default_configELb0EPKhPhPKlPlN2at6native12_GLOBAL__N_18offset_tEEE10hipError_tPvRmT1_PNSt15iterator_traitsISY_E10value_typeET2_T3_PNSZ_IS14_E10value_typeET4_jRbjT5_S1A_jjP12ihipStream_tbEUljE_EEESV_SW_SX_S14_S18_S1A_T6_T7_T9_mT8_S1C_bDpT10_ENKUlT_T0_E_clISt17integral_constantIbLb0EES1O_IbLb1EEEEDaS1K_S1L_EUlS1K_E_NS1_11comp_targetILNS1_3genE5ELNS1_11target_archE942ELNS1_3gpuE9ELNS1_3repE0EEENS1_30default_config_static_selectorELNS0_4arch9wavefront6targetE0EEEvSY_.private_seg_size, 0
	.set _ZN7rocprim17ROCPRIM_400000_NS6detail17trampoline_kernelINS0_13select_configILj256ELj13ELNS0_17block_load_methodE3ELS4_3ELS4_3ELNS0_20block_scan_algorithmE0ELj4294967295EEENS1_25partition_config_selectorILNS1_17partition_subalgoE3EjNS0_10empty_typeEbEEZZNS1_14partition_implILS8_3ELb0ES6_jNS0_17counting_iteratorIjlEEPS9_SE_NS0_5tupleIJPjSE_EEENSF_IJSE_SE_EEES9_SG_JZNS1_25segmented_radix_sort_implINS0_14default_configELb0EPKhPhPKlPlN2at6native12_GLOBAL__N_18offset_tEEE10hipError_tPvRmT1_PNSt15iterator_traitsISY_E10value_typeET2_T3_PNSZ_IS14_E10value_typeET4_jRbjT5_S1A_jjP12ihipStream_tbEUljE_EEESV_SW_SX_S14_S18_S1A_T6_T7_T9_mT8_S1C_bDpT10_ENKUlT_T0_E_clISt17integral_constantIbLb0EES1O_IbLb1EEEEDaS1K_S1L_EUlS1K_E_NS1_11comp_targetILNS1_3genE5ELNS1_11target_archE942ELNS1_3gpuE9ELNS1_3repE0EEENS1_30default_config_static_selectorELNS0_4arch9wavefront6targetE0EEEvSY_.uses_vcc, 0
	.set _ZN7rocprim17ROCPRIM_400000_NS6detail17trampoline_kernelINS0_13select_configILj256ELj13ELNS0_17block_load_methodE3ELS4_3ELS4_3ELNS0_20block_scan_algorithmE0ELj4294967295EEENS1_25partition_config_selectorILNS1_17partition_subalgoE3EjNS0_10empty_typeEbEEZZNS1_14partition_implILS8_3ELb0ES6_jNS0_17counting_iteratorIjlEEPS9_SE_NS0_5tupleIJPjSE_EEENSF_IJSE_SE_EEES9_SG_JZNS1_25segmented_radix_sort_implINS0_14default_configELb0EPKhPhPKlPlN2at6native12_GLOBAL__N_18offset_tEEE10hipError_tPvRmT1_PNSt15iterator_traitsISY_E10value_typeET2_T3_PNSZ_IS14_E10value_typeET4_jRbjT5_S1A_jjP12ihipStream_tbEUljE_EEESV_SW_SX_S14_S18_S1A_T6_T7_T9_mT8_S1C_bDpT10_ENKUlT_T0_E_clISt17integral_constantIbLb0EES1O_IbLb1EEEEDaS1K_S1L_EUlS1K_E_NS1_11comp_targetILNS1_3genE5ELNS1_11target_archE942ELNS1_3gpuE9ELNS1_3repE0EEENS1_30default_config_static_selectorELNS0_4arch9wavefront6targetE0EEEvSY_.uses_flat_scratch, 0
	.set _ZN7rocprim17ROCPRIM_400000_NS6detail17trampoline_kernelINS0_13select_configILj256ELj13ELNS0_17block_load_methodE3ELS4_3ELS4_3ELNS0_20block_scan_algorithmE0ELj4294967295EEENS1_25partition_config_selectorILNS1_17partition_subalgoE3EjNS0_10empty_typeEbEEZZNS1_14partition_implILS8_3ELb0ES6_jNS0_17counting_iteratorIjlEEPS9_SE_NS0_5tupleIJPjSE_EEENSF_IJSE_SE_EEES9_SG_JZNS1_25segmented_radix_sort_implINS0_14default_configELb0EPKhPhPKlPlN2at6native12_GLOBAL__N_18offset_tEEE10hipError_tPvRmT1_PNSt15iterator_traitsISY_E10value_typeET2_T3_PNSZ_IS14_E10value_typeET4_jRbjT5_S1A_jjP12ihipStream_tbEUljE_EEESV_SW_SX_S14_S18_S1A_T6_T7_T9_mT8_S1C_bDpT10_ENKUlT_T0_E_clISt17integral_constantIbLb0EES1O_IbLb1EEEEDaS1K_S1L_EUlS1K_E_NS1_11comp_targetILNS1_3genE5ELNS1_11target_archE942ELNS1_3gpuE9ELNS1_3repE0EEENS1_30default_config_static_selectorELNS0_4arch9wavefront6targetE0EEEvSY_.has_dyn_sized_stack, 0
	.set _ZN7rocprim17ROCPRIM_400000_NS6detail17trampoline_kernelINS0_13select_configILj256ELj13ELNS0_17block_load_methodE3ELS4_3ELS4_3ELNS0_20block_scan_algorithmE0ELj4294967295EEENS1_25partition_config_selectorILNS1_17partition_subalgoE3EjNS0_10empty_typeEbEEZZNS1_14partition_implILS8_3ELb0ES6_jNS0_17counting_iteratorIjlEEPS9_SE_NS0_5tupleIJPjSE_EEENSF_IJSE_SE_EEES9_SG_JZNS1_25segmented_radix_sort_implINS0_14default_configELb0EPKhPhPKlPlN2at6native12_GLOBAL__N_18offset_tEEE10hipError_tPvRmT1_PNSt15iterator_traitsISY_E10value_typeET2_T3_PNSZ_IS14_E10value_typeET4_jRbjT5_S1A_jjP12ihipStream_tbEUljE_EEESV_SW_SX_S14_S18_S1A_T6_T7_T9_mT8_S1C_bDpT10_ENKUlT_T0_E_clISt17integral_constantIbLb0EES1O_IbLb1EEEEDaS1K_S1L_EUlS1K_E_NS1_11comp_targetILNS1_3genE5ELNS1_11target_archE942ELNS1_3gpuE9ELNS1_3repE0EEENS1_30default_config_static_selectorELNS0_4arch9wavefront6targetE0EEEvSY_.has_recursion, 0
	.set _ZN7rocprim17ROCPRIM_400000_NS6detail17trampoline_kernelINS0_13select_configILj256ELj13ELNS0_17block_load_methodE3ELS4_3ELS4_3ELNS0_20block_scan_algorithmE0ELj4294967295EEENS1_25partition_config_selectorILNS1_17partition_subalgoE3EjNS0_10empty_typeEbEEZZNS1_14partition_implILS8_3ELb0ES6_jNS0_17counting_iteratorIjlEEPS9_SE_NS0_5tupleIJPjSE_EEENSF_IJSE_SE_EEES9_SG_JZNS1_25segmented_radix_sort_implINS0_14default_configELb0EPKhPhPKlPlN2at6native12_GLOBAL__N_18offset_tEEE10hipError_tPvRmT1_PNSt15iterator_traitsISY_E10value_typeET2_T3_PNSZ_IS14_E10value_typeET4_jRbjT5_S1A_jjP12ihipStream_tbEUljE_EEESV_SW_SX_S14_S18_S1A_T6_T7_T9_mT8_S1C_bDpT10_ENKUlT_T0_E_clISt17integral_constantIbLb0EES1O_IbLb1EEEEDaS1K_S1L_EUlS1K_E_NS1_11comp_targetILNS1_3genE5ELNS1_11target_archE942ELNS1_3gpuE9ELNS1_3repE0EEENS1_30default_config_static_selectorELNS0_4arch9wavefront6targetE0EEEvSY_.has_indirect_call, 0
	.section	.AMDGPU.csdata,"",@progbits
; Kernel info:
; codeLenInByte = 0
; TotalNumSgprs: 0
; NumVgprs: 0
; ScratchSize: 0
; MemoryBound: 0
; FloatMode: 240
; IeeeMode: 1
; LDSByteSize: 0 bytes/workgroup (compile time only)
; SGPRBlocks: 0
; VGPRBlocks: 0
; NumSGPRsForWavesPerEU: 1
; NumVGPRsForWavesPerEU: 1
; NamedBarCnt: 0
; Occupancy: 16
; WaveLimiterHint : 0
; COMPUTE_PGM_RSRC2:SCRATCH_EN: 0
; COMPUTE_PGM_RSRC2:USER_SGPR: 2
; COMPUTE_PGM_RSRC2:TRAP_HANDLER: 0
; COMPUTE_PGM_RSRC2:TGID_X_EN: 1
; COMPUTE_PGM_RSRC2:TGID_Y_EN: 0
; COMPUTE_PGM_RSRC2:TGID_Z_EN: 0
; COMPUTE_PGM_RSRC2:TIDIG_COMP_CNT: 0
	.section	.text._ZN7rocprim17ROCPRIM_400000_NS6detail17trampoline_kernelINS0_13select_configILj256ELj13ELNS0_17block_load_methodE3ELS4_3ELS4_3ELNS0_20block_scan_algorithmE0ELj4294967295EEENS1_25partition_config_selectorILNS1_17partition_subalgoE3EjNS0_10empty_typeEbEEZZNS1_14partition_implILS8_3ELb0ES6_jNS0_17counting_iteratorIjlEEPS9_SE_NS0_5tupleIJPjSE_EEENSF_IJSE_SE_EEES9_SG_JZNS1_25segmented_radix_sort_implINS0_14default_configELb0EPKhPhPKlPlN2at6native12_GLOBAL__N_18offset_tEEE10hipError_tPvRmT1_PNSt15iterator_traitsISY_E10value_typeET2_T3_PNSZ_IS14_E10value_typeET4_jRbjT5_S1A_jjP12ihipStream_tbEUljE_EEESV_SW_SX_S14_S18_S1A_T6_T7_T9_mT8_S1C_bDpT10_ENKUlT_T0_E_clISt17integral_constantIbLb0EES1O_IbLb1EEEEDaS1K_S1L_EUlS1K_E_NS1_11comp_targetILNS1_3genE4ELNS1_11target_archE910ELNS1_3gpuE8ELNS1_3repE0EEENS1_30default_config_static_selectorELNS0_4arch9wavefront6targetE0EEEvSY_,"axG",@progbits,_ZN7rocprim17ROCPRIM_400000_NS6detail17trampoline_kernelINS0_13select_configILj256ELj13ELNS0_17block_load_methodE3ELS4_3ELS4_3ELNS0_20block_scan_algorithmE0ELj4294967295EEENS1_25partition_config_selectorILNS1_17partition_subalgoE3EjNS0_10empty_typeEbEEZZNS1_14partition_implILS8_3ELb0ES6_jNS0_17counting_iteratorIjlEEPS9_SE_NS0_5tupleIJPjSE_EEENSF_IJSE_SE_EEES9_SG_JZNS1_25segmented_radix_sort_implINS0_14default_configELb0EPKhPhPKlPlN2at6native12_GLOBAL__N_18offset_tEEE10hipError_tPvRmT1_PNSt15iterator_traitsISY_E10value_typeET2_T3_PNSZ_IS14_E10value_typeET4_jRbjT5_S1A_jjP12ihipStream_tbEUljE_EEESV_SW_SX_S14_S18_S1A_T6_T7_T9_mT8_S1C_bDpT10_ENKUlT_T0_E_clISt17integral_constantIbLb0EES1O_IbLb1EEEEDaS1K_S1L_EUlS1K_E_NS1_11comp_targetILNS1_3genE4ELNS1_11target_archE910ELNS1_3gpuE8ELNS1_3repE0EEENS1_30default_config_static_selectorELNS0_4arch9wavefront6targetE0EEEvSY_,comdat
	.globl	_ZN7rocprim17ROCPRIM_400000_NS6detail17trampoline_kernelINS0_13select_configILj256ELj13ELNS0_17block_load_methodE3ELS4_3ELS4_3ELNS0_20block_scan_algorithmE0ELj4294967295EEENS1_25partition_config_selectorILNS1_17partition_subalgoE3EjNS0_10empty_typeEbEEZZNS1_14partition_implILS8_3ELb0ES6_jNS0_17counting_iteratorIjlEEPS9_SE_NS0_5tupleIJPjSE_EEENSF_IJSE_SE_EEES9_SG_JZNS1_25segmented_radix_sort_implINS0_14default_configELb0EPKhPhPKlPlN2at6native12_GLOBAL__N_18offset_tEEE10hipError_tPvRmT1_PNSt15iterator_traitsISY_E10value_typeET2_T3_PNSZ_IS14_E10value_typeET4_jRbjT5_S1A_jjP12ihipStream_tbEUljE_EEESV_SW_SX_S14_S18_S1A_T6_T7_T9_mT8_S1C_bDpT10_ENKUlT_T0_E_clISt17integral_constantIbLb0EES1O_IbLb1EEEEDaS1K_S1L_EUlS1K_E_NS1_11comp_targetILNS1_3genE4ELNS1_11target_archE910ELNS1_3gpuE8ELNS1_3repE0EEENS1_30default_config_static_selectorELNS0_4arch9wavefront6targetE0EEEvSY_ ; -- Begin function _ZN7rocprim17ROCPRIM_400000_NS6detail17trampoline_kernelINS0_13select_configILj256ELj13ELNS0_17block_load_methodE3ELS4_3ELS4_3ELNS0_20block_scan_algorithmE0ELj4294967295EEENS1_25partition_config_selectorILNS1_17partition_subalgoE3EjNS0_10empty_typeEbEEZZNS1_14partition_implILS8_3ELb0ES6_jNS0_17counting_iteratorIjlEEPS9_SE_NS0_5tupleIJPjSE_EEENSF_IJSE_SE_EEES9_SG_JZNS1_25segmented_radix_sort_implINS0_14default_configELb0EPKhPhPKlPlN2at6native12_GLOBAL__N_18offset_tEEE10hipError_tPvRmT1_PNSt15iterator_traitsISY_E10value_typeET2_T3_PNSZ_IS14_E10value_typeET4_jRbjT5_S1A_jjP12ihipStream_tbEUljE_EEESV_SW_SX_S14_S18_S1A_T6_T7_T9_mT8_S1C_bDpT10_ENKUlT_T0_E_clISt17integral_constantIbLb0EES1O_IbLb1EEEEDaS1K_S1L_EUlS1K_E_NS1_11comp_targetILNS1_3genE4ELNS1_11target_archE910ELNS1_3gpuE8ELNS1_3repE0EEENS1_30default_config_static_selectorELNS0_4arch9wavefront6targetE0EEEvSY_
	.p2align	8
	.type	_ZN7rocprim17ROCPRIM_400000_NS6detail17trampoline_kernelINS0_13select_configILj256ELj13ELNS0_17block_load_methodE3ELS4_3ELS4_3ELNS0_20block_scan_algorithmE0ELj4294967295EEENS1_25partition_config_selectorILNS1_17partition_subalgoE3EjNS0_10empty_typeEbEEZZNS1_14partition_implILS8_3ELb0ES6_jNS0_17counting_iteratorIjlEEPS9_SE_NS0_5tupleIJPjSE_EEENSF_IJSE_SE_EEES9_SG_JZNS1_25segmented_radix_sort_implINS0_14default_configELb0EPKhPhPKlPlN2at6native12_GLOBAL__N_18offset_tEEE10hipError_tPvRmT1_PNSt15iterator_traitsISY_E10value_typeET2_T3_PNSZ_IS14_E10value_typeET4_jRbjT5_S1A_jjP12ihipStream_tbEUljE_EEESV_SW_SX_S14_S18_S1A_T6_T7_T9_mT8_S1C_bDpT10_ENKUlT_T0_E_clISt17integral_constantIbLb0EES1O_IbLb1EEEEDaS1K_S1L_EUlS1K_E_NS1_11comp_targetILNS1_3genE4ELNS1_11target_archE910ELNS1_3gpuE8ELNS1_3repE0EEENS1_30default_config_static_selectorELNS0_4arch9wavefront6targetE0EEEvSY_,@function
_ZN7rocprim17ROCPRIM_400000_NS6detail17trampoline_kernelINS0_13select_configILj256ELj13ELNS0_17block_load_methodE3ELS4_3ELS4_3ELNS0_20block_scan_algorithmE0ELj4294967295EEENS1_25partition_config_selectorILNS1_17partition_subalgoE3EjNS0_10empty_typeEbEEZZNS1_14partition_implILS8_3ELb0ES6_jNS0_17counting_iteratorIjlEEPS9_SE_NS0_5tupleIJPjSE_EEENSF_IJSE_SE_EEES9_SG_JZNS1_25segmented_radix_sort_implINS0_14default_configELb0EPKhPhPKlPlN2at6native12_GLOBAL__N_18offset_tEEE10hipError_tPvRmT1_PNSt15iterator_traitsISY_E10value_typeET2_T3_PNSZ_IS14_E10value_typeET4_jRbjT5_S1A_jjP12ihipStream_tbEUljE_EEESV_SW_SX_S14_S18_S1A_T6_T7_T9_mT8_S1C_bDpT10_ENKUlT_T0_E_clISt17integral_constantIbLb0EES1O_IbLb1EEEEDaS1K_S1L_EUlS1K_E_NS1_11comp_targetILNS1_3genE4ELNS1_11target_archE910ELNS1_3gpuE8ELNS1_3repE0EEENS1_30default_config_static_selectorELNS0_4arch9wavefront6targetE0EEEvSY_: ; @_ZN7rocprim17ROCPRIM_400000_NS6detail17trampoline_kernelINS0_13select_configILj256ELj13ELNS0_17block_load_methodE3ELS4_3ELS4_3ELNS0_20block_scan_algorithmE0ELj4294967295EEENS1_25partition_config_selectorILNS1_17partition_subalgoE3EjNS0_10empty_typeEbEEZZNS1_14partition_implILS8_3ELb0ES6_jNS0_17counting_iteratorIjlEEPS9_SE_NS0_5tupleIJPjSE_EEENSF_IJSE_SE_EEES9_SG_JZNS1_25segmented_radix_sort_implINS0_14default_configELb0EPKhPhPKlPlN2at6native12_GLOBAL__N_18offset_tEEE10hipError_tPvRmT1_PNSt15iterator_traitsISY_E10value_typeET2_T3_PNSZ_IS14_E10value_typeET4_jRbjT5_S1A_jjP12ihipStream_tbEUljE_EEESV_SW_SX_S14_S18_S1A_T6_T7_T9_mT8_S1C_bDpT10_ENKUlT_T0_E_clISt17integral_constantIbLb0EES1O_IbLb1EEEEDaS1K_S1L_EUlS1K_E_NS1_11comp_targetILNS1_3genE4ELNS1_11target_archE910ELNS1_3gpuE8ELNS1_3repE0EEENS1_30default_config_static_selectorELNS0_4arch9wavefront6targetE0EEEvSY_
; %bb.0:
	.section	.rodata,"a",@progbits
	.p2align	6, 0x0
	.amdhsa_kernel _ZN7rocprim17ROCPRIM_400000_NS6detail17trampoline_kernelINS0_13select_configILj256ELj13ELNS0_17block_load_methodE3ELS4_3ELS4_3ELNS0_20block_scan_algorithmE0ELj4294967295EEENS1_25partition_config_selectorILNS1_17partition_subalgoE3EjNS0_10empty_typeEbEEZZNS1_14partition_implILS8_3ELb0ES6_jNS0_17counting_iteratorIjlEEPS9_SE_NS0_5tupleIJPjSE_EEENSF_IJSE_SE_EEES9_SG_JZNS1_25segmented_radix_sort_implINS0_14default_configELb0EPKhPhPKlPlN2at6native12_GLOBAL__N_18offset_tEEE10hipError_tPvRmT1_PNSt15iterator_traitsISY_E10value_typeET2_T3_PNSZ_IS14_E10value_typeET4_jRbjT5_S1A_jjP12ihipStream_tbEUljE_EEESV_SW_SX_S14_S18_S1A_T6_T7_T9_mT8_S1C_bDpT10_ENKUlT_T0_E_clISt17integral_constantIbLb0EES1O_IbLb1EEEEDaS1K_S1L_EUlS1K_E_NS1_11comp_targetILNS1_3genE4ELNS1_11target_archE910ELNS1_3gpuE8ELNS1_3repE0EEENS1_30default_config_static_selectorELNS0_4arch9wavefront6targetE0EEEvSY_
		.amdhsa_group_segment_fixed_size 0
		.amdhsa_private_segment_fixed_size 0
		.amdhsa_kernarg_size 152
		.amdhsa_user_sgpr_count 2
		.amdhsa_user_sgpr_dispatch_ptr 0
		.amdhsa_user_sgpr_queue_ptr 0
		.amdhsa_user_sgpr_kernarg_segment_ptr 1
		.amdhsa_user_sgpr_dispatch_id 0
		.amdhsa_user_sgpr_kernarg_preload_length 0
		.amdhsa_user_sgpr_kernarg_preload_offset 0
		.amdhsa_user_sgpr_private_segment_size 0
		.amdhsa_wavefront_size32 1
		.amdhsa_uses_dynamic_stack 0
		.amdhsa_enable_private_segment 0
		.amdhsa_system_sgpr_workgroup_id_x 1
		.amdhsa_system_sgpr_workgroup_id_y 0
		.amdhsa_system_sgpr_workgroup_id_z 0
		.amdhsa_system_sgpr_workgroup_info 0
		.amdhsa_system_vgpr_workitem_id 0
		.amdhsa_next_free_vgpr 1
		.amdhsa_next_free_sgpr 1
		.amdhsa_named_barrier_count 0
		.amdhsa_reserve_vcc 0
		.amdhsa_float_round_mode_32 0
		.amdhsa_float_round_mode_16_64 0
		.amdhsa_float_denorm_mode_32 3
		.amdhsa_float_denorm_mode_16_64 3
		.amdhsa_fp16_overflow 0
		.amdhsa_memory_ordered 1
		.amdhsa_forward_progress 1
		.amdhsa_inst_pref_size 0
		.amdhsa_round_robin_scheduling 0
		.amdhsa_exception_fp_ieee_invalid_op 0
		.amdhsa_exception_fp_denorm_src 0
		.amdhsa_exception_fp_ieee_div_zero 0
		.amdhsa_exception_fp_ieee_overflow 0
		.amdhsa_exception_fp_ieee_underflow 0
		.amdhsa_exception_fp_ieee_inexact 0
		.amdhsa_exception_int_div_zero 0
	.end_amdhsa_kernel
	.section	.text._ZN7rocprim17ROCPRIM_400000_NS6detail17trampoline_kernelINS0_13select_configILj256ELj13ELNS0_17block_load_methodE3ELS4_3ELS4_3ELNS0_20block_scan_algorithmE0ELj4294967295EEENS1_25partition_config_selectorILNS1_17partition_subalgoE3EjNS0_10empty_typeEbEEZZNS1_14partition_implILS8_3ELb0ES6_jNS0_17counting_iteratorIjlEEPS9_SE_NS0_5tupleIJPjSE_EEENSF_IJSE_SE_EEES9_SG_JZNS1_25segmented_radix_sort_implINS0_14default_configELb0EPKhPhPKlPlN2at6native12_GLOBAL__N_18offset_tEEE10hipError_tPvRmT1_PNSt15iterator_traitsISY_E10value_typeET2_T3_PNSZ_IS14_E10value_typeET4_jRbjT5_S1A_jjP12ihipStream_tbEUljE_EEESV_SW_SX_S14_S18_S1A_T6_T7_T9_mT8_S1C_bDpT10_ENKUlT_T0_E_clISt17integral_constantIbLb0EES1O_IbLb1EEEEDaS1K_S1L_EUlS1K_E_NS1_11comp_targetILNS1_3genE4ELNS1_11target_archE910ELNS1_3gpuE8ELNS1_3repE0EEENS1_30default_config_static_selectorELNS0_4arch9wavefront6targetE0EEEvSY_,"axG",@progbits,_ZN7rocprim17ROCPRIM_400000_NS6detail17trampoline_kernelINS0_13select_configILj256ELj13ELNS0_17block_load_methodE3ELS4_3ELS4_3ELNS0_20block_scan_algorithmE0ELj4294967295EEENS1_25partition_config_selectorILNS1_17partition_subalgoE3EjNS0_10empty_typeEbEEZZNS1_14partition_implILS8_3ELb0ES6_jNS0_17counting_iteratorIjlEEPS9_SE_NS0_5tupleIJPjSE_EEENSF_IJSE_SE_EEES9_SG_JZNS1_25segmented_radix_sort_implINS0_14default_configELb0EPKhPhPKlPlN2at6native12_GLOBAL__N_18offset_tEEE10hipError_tPvRmT1_PNSt15iterator_traitsISY_E10value_typeET2_T3_PNSZ_IS14_E10value_typeET4_jRbjT5_S1A_jjP12ihipStream_tbEUljE_EEESV_SW_SX_S14_S18_S1A_T6_T7_T9_mT8_S1C_bDpT10_ENKUlT_T0_E_clISt17integral_constantIbLb0EES1O_IbLb1EEEEDaS1K_S1L_EUlS1K_E_NS1_11comp_targetILNS1_3genE4ELNS1_11target_archE910ELNS1_3gpuE8ELNS1_3repE0EEENS1_30default_config_static_selectorELNS0_4arch9wavefront6targetE0EEEvSY_,comdat
.Lfunc_end179:
	.size	_ZN7rocprim17ROCPRIM_400000_NS6detail17trampoline_kernelINS0_13select_configILj256ELj13ELNS0_17block_load_methodE3ELS4_3ELS4_3ELNS0_20block_scan_algorithmE0ELj4294967295EEENS1_25partition_config_selectorILNS1_17partition_subalgoE3EjNS0_10empty_typeEbEEZZNS1_14partition_implILS8_3ELb0ES6_jNS0_17counting_iteratorIjlEEPS9_SE_NS0_5tupleIJPjSE_EEENSF_IJSE_SE_EEES9_SG_JZNS1_25segmented_radix_sort_implINS0_14default_configELb0EPKhPhPKlPlN2at6native12_GLOBAL__N_18offset_tEEE10hipError_tPvRmT1_PNSt15iterator_traitsISY_E10value_typeET2_T3_PNSZ_IS14_E10value_typeET4_jRbjT5_S1A_jjP12ihipStream_tbEUljE_EEESV_SW_SX_S14_S18_S1A_T6_T7_T9_mT8_S1C_bDpT10_ENKUlT_T0_E_clISt17integral_constantIbLb0EES1O_IbLb1EEEEDaS1K_S1L_EUlS1K_E_NS1_11comp_targetILNS1_3genE4ELNS1_11target_archE910ELNS1_3gpuE8ELNS1_3repE0EEENS1_30default_config_static_selectorELNS0_4arch9wavefront6targetE0EEEvSY_, .Lfunc_end179-_ZN7rocprim17ROCPRIM_400000_NS6detail17trampoline_kernelINS0_13select_configILj256ELj13ELNS0_17block_load_methodE3ELS4_3ELS4_3ELNS0_20block_scan_algorithmE0ELj4294967295EEENS1_25partition_config_selectorILNS1_17partition_subalgoE3EjNS0_10empty_typeEbEEZZNS1_14partition_implILS8_3ELb0ES6_jNS0_17counting_iteratorIjlEEPS9_SE_NS0_5tupleIJPjSE_EEENSF_IJSE_SE_EEES9_SG_JZNS1_25segmented_radix_sort_implINS0_14default_configELb0EPKhPhPKlPlN2at6native12_GLOBAL__N_18offset_tEEE10hipError_tPvRmT1_PNSt15iterator_traitsISY_E10value_typeET2_T3_PNSZ_IS14_E10value_typeET4_jRbjT5_S1A_jjP12ihipStream_tbEUljE_EEESV_SW_SX_S14_S18_S1A_T6_T7_T9_mT8_S1C_bDpT10_ENKUlT_T0_E_clISt17integral_constantIbLb0EES1O_IbLb1EEEEDaS1K_S1L_EUlS1K_E_NS1_11comp_targetILNS1_3genE4ELNS1_11target_archE910ELNS1_3gpuE8ELNS1_3repE0EEENS1_30default_config_static_selectorELNS0_4arch9wavefront6targetE0EEEvSY_
                                        ; -- End function
	.set _ZN7rocprim17ROCPRIM_400000_NS6detail17trampoline_kernelINS0_13select_configILj256ELj13ELNS0_17block_load_methodE3ELS4_3ELS4_3ELNS0_20block_scan_algorithmE0ELj4294967295EEENS1_25partition_config_selectorILNS1_17partition_subalgoE3EjNS0_10empty_typeEbEEZZNS1_14partition_implILS8_3ELb0ES6_jNS0_17counting_iteratorIjlEEPS9_SE_NS0_5tupleIJPjSE_EEENSF_IJSE_SE_EEES9_SG_JZNS1_25segmented_radix_sort_implINS0_14default_configELb0EPKhPhPKlPlN2at6native12_GLOBAL__N_18offset_tEEE10hipError_tPvRmT1_PNSt15iterator_traitsISY_E10value_typeET2_T3_PNSZ_IS14_E10value_typeET4_jRbjT5_S1A_jjP12ihipStream_tbEUljE_EEESV_SW_SX_S14_S18_S1A_T6_T7_T9_mT8_S1C_bDpT10_ENKUlT_T0_E_clISt17integral_constantIbLb0EES1O_IbLb1EEEEDaS1K_S1L_EUlS1K_E_NS1_11comp_targetILNS1_3genE4ELNS1_11target_archE910ELNS1_3gpuE8ELNS1_3repE0EEENS1_30default_config_static_selectorELNS0_4arch9wavefront6targetE0EEEvSY_.num_vgpr, 0
	.set _ZN7rocprim17ROCPRIM_400000_NS6detail17trampoline_kernelINS0_13select_configILj256ELj13ELNS0_17block_load_methodE3ELS4_3ELS4_3ELNS0_20block_scan_algorithmE0ELj4294967295EEENS1_25partition_config_selectorILNS1_17partition_subalgoE3EjNS0_10empty_typeEbEEZZNS1_14partition_implILS8_3ELb0ES6_jNS0_17counting_iteratorIjlEEPS9_SE_NS0_5tupleIJPjSE_EEENSF_IJSE_SE_EEES9_SG_JZNS1_25segmented_radix_sort_implINS0_14default_configELb0EPKhPhPKlPlN2at6native12_GLOBAL__N_18offset_tEEE10hipError_tPvRmT1_PNSt15iterator_traitsISY_E10value_typeET2_T3_PNSZ_IS14_E10value_typeET4_jRbjT5_S1A_jjP12ihipStream_tbEUljE_EEESV_SW_SX_S14_S18_S1A_T6_T7_T9_mT8_S1C_bDpT10_ENKUlT_T0_E_clISt17integral_constantIbLb0EES1O_IbLb1EEEEDaS1K_S1L_EUlS1K_E_NS1_11comp_targetILNS1_3genE4ELNS1_11target_archE910ELNS1_3gpuE8ELNS1_3repE0EEENS1_30default_config_static_selectorELNS0_4arch9wavefront6targetE0EEEvSY_.num_agpr, 0
	.set _ZN7rocprim17ROCPRIM_400000_NS6detail17trampoline_kernelINS0_13select_configILj256ELj13ELNS0_17block_load_methodE3ELS4_3ELS4_3ELNS0_20block_scan_algorithmE0ELj4294967295EEENS1_25partition_config_selectorILNS1_17partition_subalgoE3EjNS0_10empty_typeEbEEZZNS1_14partition_implILS8_3ELb0ES6_jNS0_17counting_iteratorIjlEEPS9_SE_NS0_5tupleIJPjSE_EEENSF_IJSE_SE_EEES9_SG_JZNS1_25segmented_radix_sort_implINS0_14default_configELb0EPKhPhPKlPlN2at6native12_GLOBAL__N_18offset_tEEE10hipError_tPvRmT1_PNSt15iterator_traitsISY_E10value_typeET2_T3_PNSZ_IS14_E10value_typeET4_jRbjT5_S1A_jjP12ihipStream_tbEUljE_EEESV_SW_SX_S14_S18_S1A_T6_T7_T9_mT8_S1C_bDpT10_ENKUlT_T0_E_clISt17integral_constantIbLb0EES1O_IbLb1EEEEDaS1K_S1L_EUlS1K_E_NS1_11comp_targetILNS1_3genE4ELNS1_11target_archE910ELNS1_3gpuE8ELNS1_3repE0EEENS1_30default_config_static_selectorELNS0_4arch9wavefront6targetE0EEEvSY_.numbered_sgpr, 0
	.set _ZN7rocprim17ROCPRIM_400000_NS6detail17trampoline_kernelINS0_13select_configILj256ELj13ELNS0_17block_load_methodE3ELS4_3ELS4_3ELNS0_20block_scan_algorithmE0ELj4294967295EEENS1_25partition_config_selectorILNS1_17partition_subalgoE3EjNS0_10empty_typeEbEEZZNS1_14partition_implILS8_3ELb0ES6_jNS0_17counting_iteratorIjlEEPS9_SE_NS0_5tupleIJPjSE_EEENSF_IJSE_SE_EEES9_SG_JZNS1_25segmented_radix_sort_implINS0_14default_configELb0EPKhPhPKlPlN2at6native12_GLOBAL__N_18offset_tEEE10hipError_tPvRmT1_PNSt15iterator_traitsISY_E10value_typeET2_T3_PNSZ_IS14_E10value_typeET4_jRbjT5_S1A_jjP12ihipStream_tbEUljE_EEESV_SW_SX_S14_S18_S1A_T6_T7_T9_mT8_S1C_bDpT10_ENKUlT_T0_E_clISt17integral_constantIbLb0EES1O_IbLb1EEEEDaS1K_S1L_EUlS1K_E_NS1_11comp_targetILNS1_3genE4ELNS1_11target_archE910ELNS1_3gpuE8ELNS1_3repE0EEENS1_30default_config_static_selectorELNS0_4arch9wavefront6targetE0EEEvSY_.num_named_barrier, 0
	.set _ZN7rocprim17ROCPRIM_400000_NS6detail17trampoline_kernelINS0_13select_configILj256ELj13ELNS0_17block_load_methodE3ELS4_3ELS4_3ELNS0_20block_scan_algorithmE0ELj4294967295EEENS1_25partition_config_selectorILNS1_17partition_subalgoE3EjNS0_10empty_typeEbEEZZNS1_14partition_implILS8_3ELb0ES6_jNS0_17counting_iteratorIjlEEPS9_SE_NS0_5tupleIJPjSE_EEENSF_IJSE_SE_EEES9_SG_JZNS1_25segmented_radix_sort_implINS0_14default_configELb0EPKhPhPKlPlN2at6native12_GLOBAL__N_18offset_tEEE10hipError_tPvRmT1_PNSt15iterator_traitsISY_E10value_typeET2_T3_PNSZ_IS14_E10value_typeET4_jRbjT5_S1A_jjP12ihipStream_tbEUljE_EEESV_SW_SX_S14_S18_S1A_T6_T7_T9_mT8_S1C_bDpT10_ENKUlT_T0_E_clISt17integral_constantIbLb0EES1O_IbLb1EEEEDaS1K_S1L_EUlS1K_E_NS1_11comp_targetILNS1_3genE4ELNS1_11target_archE910ELNS1_3gpuE8ELNS1_3repE0EEENS1_30default_config_static_selectorELNS0_4arch9wavefront6targetE0EEEvSY_.private_seg_size, 0
	.set _ZN7rocprim17ROCPRIM_400000_NS6detail17trampoline_kernelINS0_13select_configILj256ELj13ELNS0_17block_load_methodE3ELS4_3ELS4_3ELNS0_20block_scan_algorithmE0ELj4294967295EEENS1_25partition_config_selectorILNS1_17partition_subalgoE3EjNS0_10empty_typeEbEEZZNS1_14partition_implILS8_3ELb0ES6_jNS0_17counting_iteratorIjlEEPS9_SE_NS0_5tupleIJPjSE_EEENSF_IJSE_SE_EEES9_SG_JZNS1_25segmented_radix_sort_implINS0_14default_configELb0EPKhPhPKlPlN2at6native12_GLOBAL__N_18offset_tEEE10hipError_tPvRmT1_PNSt15iterator_traitsISY_E10value_typeET2_T3_PNSZ_IS14_E10value_typeET4_jRbjT5_S1A_jjP12ihipStream_tbEUljE_EEESV_SW_SX_S14_S18_S1A_T6_T7_T9_mT8_S1C_bDpT10_ENKUlT_T0_E_clISt17integral_constantIbLb0EES1O_IbLb1EEEEDaS1K_S1L_EUlS1K_E_NS1_11comp_targetILNS1_3genE4ELNS1_11target_archE910ELNS1_3gpuE8ELNS1_3repE0EEENS1_30default_config_static_selectorELNS0_4arch9wavefront6targetE0EEEvSY_.uses_vcc, 0
	.set _ZN7rocprim17ROCPRIM_400000_NS6detail17trampoline_kernelINS0_13select_configILj256ELj13ELNS0_17block_load_methodE3ELS4_3ELS4_3ELNS0_20block_scan_algorithmE0ELj4294967295EEENS1_25partition_config_selectorILNS1_17partition_subalgoE3EjNS0_10empty_typeEbEEZZNS1_14partition_implILS8_3ELb0ES6_jNS0_17counting_iteratorIjlEEPS9_SE_NS0_5tupleIJPjSE_EEENSF_IJSE_SE_EEES9_SG_JZNS1_25segmented_radix_sort_implINS0_14default_configELb0EPKhPhPKlPlN2at6native12_GLOBAL__N_18offset_tEEE10hipError_tPvRmT1_PNSt15iterator_traitsISY_E10value_typeET2_T3_PNSZ_IS14_E10value_typeET4_jRbjT5_S1A_jjP12ihipStream_tbEUljE_EEESV_SW_SX_S14_S18_S1A_T6_T7_T9_mT8_S1C_bDpT10_ENKUlT_T0_E_clISt17integral_constantIbLb0EES1O_IbLb1EEEEDaS1K_S1L_EUlS1K_E_NS1_11comp_targetILNS1_3genE4ELNS1_11target_archE910ELNS1_3gpuE8ELNS1_3repE0EEENS1_30default_config_static_selectorELNS0_4arch9wavefront6targetE0EEEvSY_.uses_flat_scratch, 0
	.set _ZN7rocprim17ROCPRIM_400000_NS6detail17trampoline_kernelINS0_13select_configILj256ELj13ELNS0_17block_load_methodE3ELS4_3ELS4_3ELNS0_20block_scan_algorithmE0ELj4294967295EEENS1_25partition_config_selectorILNS1_17partition_subalgoE3EjNS0_10empty_typeEbEEZZNS1_14partition_implILS8_3ELb0ES6_jNS0_17counting_iteratorIjlEEPS9_SE_NS0_5tupleIJPjSE_EEENSF_IJSE_SE_EEES9_SG_JZNS1_25segmented_radix_sort_implINS0_14default_configELb0EPKhPhPKlPlN2at6native12_GLOBAL__N_18offset_tEEE10hipError_tPvRmT1_PNSt15iterator_traitsISY_E10value_typeET2_T3_PNSZ_IS14_E10value_typeET4_jRbjT5_S1A_jjP12ihipStream_tbEUljE_EEESV_SW_SX_S14_S18_S1A_T6_T7_T9_mT8_S1C_bDpT10_ENKUlT_T0_E_clISt17integral_constantIbLb0EES1O_IbLb1EEEEDaS1K_S1L_EUlS1K_E_NS1_11comp_targetILNS1_3genE4ELNS1_11target_archE910ELNS1_3gpuE8ELNS1_3repE0EEENS1_30default_config_static_selectorELNS0_4arch9wavefront6targetE0EEEvSY_.has_dyn_sized_stack, 0
	.set _ZN7rocprim17ROCPRIM_400000_NS6detail17trampoline_kernelINS0_13select_configILj256ELj13ELNS0_17block_load_methodE3ELS4_3ELS4_3ELNS0_20block_scan_algorithmE0ELj4294967295EEENS1_25partition_config_selectorILNS1_17partition_subalgoE3EjNS0_10empty_typeEbEEZZNS1_14partition_implILS8_3ELb0ES6_jNS0_17counting_iteratorIjlEEPS9_SE_NS0_5tupleIJPjSE_EEENSF_IJSE_SE_EEES9_SG_JZNS1_25segmented_radix_sort_implINS0_14default_configELb0EPKhPhPKlPlN2at6native12_GLOBAL__N_18offset_tEEE10hipError_tPvRmT1_PNSt15iterator_traitsISY_E10value_typeET2_T3_PNSZ_IS14_E10value_typeET4_jRbjT5_S1A_jjP12ihipStream_tbEUljE_EEESV_SW_SX_S14_S18_S1A_T6_T7_T9_mT8_S1C_bDpT10_ENKUlT_T0_E_clISt17integral_constantIbLb0EES1O_IbLb1EEEEDaS1K_S1L_EUlS1K_E_NS1_11comp_targetILNS1_3genE4ELNS1_11target_archE910ELNS1_3gpuE8ELNS1_3repE0EEENS1_30default_config_static_selectorELNS0_4arch9wavefront6targetE0EEEvSY_.has_recursion, 0
	.set _ZN7rocprim17ROCPRIM_400000_NS6detail17trampoline_kernelINS0_13select_configILj256ELj13ELNS0_17block_load_methodE3ELS4_3ELS4_3ELNS0_20block_scan_algorithmE0ELj4294967295EEENS1_25partition_config_selectorILNS1_17partition_subalgoE3EjNS0_10empty_typeEbEEZZNS1_14partition_implILS8_3ELb0ES6_jNS0_17counting_iteratorIjlEEPS9_SE_NS0_5tupleIJPjSE_EEENSF_IJSE_SE_EEES9_SG_JZNS1_25segmented_radix_sort_implINS0_14default_configELb0EPKhPhPKlPlN2at6native12_GLOBAL__N_18offset_tEEE10hipError_tPvRmT1_PNSt15iterator_traitsISY_E10value_typeET2_T3_PNSZ_IS14_E10value_typeET4_jRbjT5_S1A_jjP12ihipStream_tbEUljE_EEESV_SW_SX_S14_S18_S1A_T6_T7_T9_mT8_S1C_bDpT10_ENKUlT_T0_E_clISt17integral_constantIbLb0EES1O_IbLb1EEEEDaS1K_S1L_EUlS1K_E_NS1_11comp_targetILNS1_3genE4ELNS1_11target_archE910ELNS1_3gpuE8ELNS1_3repE0EEENS1_30default_config_static_selectorELNS0_4arch9wavefront6targetE0EEEvSY_.has_indirect_call, 0
	.section	.AMDGPU.csdata,"",@progbits
; Kernel info:
; codeLenInByte = 0
; TotalNumSgprs: 0
; NumVgprs: 0
; ScratchSize: 0
; MemoryBound: 0
; FloatMode: 240
; IeeeMode: 1
; LDSByteSize: 0 bytes/workgroup (compile time only)
; SGPRBlocks: 0
; VGPRBlocks: 0
; NumSGPRsForWavesPerEU: 1
; NumVGPRsForWavesPerEU: 1
; NamedBarCnt: 0
; Occupancy: 16
; WaveLimiterHint : 0
; COMPUTE_PGM_RSRC2:SCRATCH_EN: 0
; COMPUTE_PGM_RSRC2:USER_SGPR: 2
; COMPUTE_PGM_RSRC2:TRAP_HANDLER: 0
; COMPUTE_PGM_RSRC2:TGID_X_EN: 1
; COMPUTE_PGM_RSRC2:TGID_Y_EN: 0
; COMPUTE_PGM_RSRC2:TGID_Z_EN: 0
; COMPUTE_PGM_RSRC2:TIDIG_COMP_CNT: 0
	.section	.text._ZN7rocprim17ROCPRIM_400000_NS6detail17trampoline_kernelINS0_13select_configILj256ELj13ELNS0_17block_load_methodE3ELS4_3ELS4_3ELNS0_20block_scan_algorithmE0ELj4294967295EEENS1_25partition_config_selectorILNS1_17partition_subalgoE3EjNS0_10empty_typeEbEEZZNS1_14partition_implILS8_3ELb0ES6_jNS0_17counting_iteratorIjlEEPS9_SE_NS0_5tupleIJPjSE_EEENSF_IJSE_SE_EEES9_SG_JZNS1_25segmented_radix_sort_implINS0_14default_configELb0EPKhPhPKlPlN2at6native12_GLOBAL__N_18offset_tEEE10hipError_tPvRmT1_PNSt15iterator_traitsISY_E10value_typeET2_T3_PNSZ_IS14_E10value_typeET4_jRbjT5_S1A_jjP12ihipStream_tbEUljE_EEESV_SW_SX_S14_S18_S1A_T6_T7_T9_mT8_S1C_bDpT10_ENKUlT_T0_E_clISt17integral_constantIbLb0EES1O_IbLb1EEEEDaS1K_S1L_EUlS1K_E_NS1_11comp_targetILNS1_3genE3ELNS1_11target_archE908ELNS1_3gpuE7ELNS1_3repE0EEENS1_30default_config_static_selectorELNS0_4arch9wavefront6targetE0EEEvSY_,"axG",@progbits,_ZN7rocprim17ROCPRIM_400000_NS6detail17trampoline_kernelINS0_13select_configILj256ELj13ELNS0_17block_load_methodE3ELS4_3ELS4_3ELNS0_20block_scan_algorithmE0ELj4294967295EEENS1_25partition_config_selectorILNS1_17partition_subalgoE3EjNS0_10empty_typeEbEEZZNS1_14partition_implILS8_3ELb0ES6_jNS0_17counting_iteratorIjlEEPS9_SE_NS0_5tupleIJPjSE_EEENSF_IJSE_SE_EEES9_SG_JZNS1_25segmented_radix_sort_implINS0_14default_configELb0EPKhPhPKlPlN2at6native12_GLOBAL__N_18offset_tEEE10hipError_tPvRmT1_PNSt15iterator_traitsISY_E10value_typeET2_T3_PNSZ_IS14_E10value_typeET4_jRbjT5_S1A_jjP12ihipStream_tbEUljE_EEESV_SW_SX_S14_S18_S1A_T6_T7_T9_mT8_S1C_bDpT10_ENKUlT_T0_E_clISt17integral_constantIbLb0EES1O_IbLb1EEEEDaS1K_S1L_EUlS1K_E_NS1_11comp_targetILNS1_3genE3ELNS1_11target_archE908ELNS1_3gpuE7ELNS1_3repE0EEENS1_30default_config_static_selectorELNS0_4arch9wavefront6targetE0EEEvSY_,comdat
	.globl	_ZN7rocprim17ROCPRIM_400000_NS6detail17trampoline_kernelINS0_13select_configILj256ELj13ELNS0_17block_load_methodE3ELS4_3ELS4_3ELNS0_20block_scan_algorithmE0ELj4294967295EEENS1_25partition_config_selectorILNS1_17partition_subalgoE3EjNS0_10empty_typeEbEEZZNS1_14partition_implILS8_3ELb0ES6_jNS0_17counting_iteratorIjlEEPS9_SE_NS0_5tupleIJPjSE_EEENSF_IJSE_SE_EEES9_SG_JZNS1_25segmented_radix_sort_implINS0_14default_configELb0EPKhPhPKlPlN2at6native12_GLOBAL__N_18offset_tEEE10hipError_tPvRmT1_PNSt15iterator_traitsISY_E10value_typeET2_T3_PNSZ_IS14_E10value_typeET4_jRbjT5_S1A_jjP12ihipStream_tbEUljE_EEESV_SW_SX_S14_S18_S1A_T6_T7_T9_mT8_S1C_bDpT10_ENKUlT_T0_E_clISt17integral_constantIbLb0EES1O_IbLb1EEEEDaS1K_S1L_EUlS1K_E_NS1_11comp_targetILNS1_3genE3ELNS1_11target_archE908ELNS1_3gpuE7ELNS1_3repE0EEENS1_30default_config_static_selectorELNS0_4arch9wavefront6targetE0EEEvSY_ ; -- Begin function _ZN7rocprim17ROCPRIM_400000_NS6detail17trampoline_kernelINS0_13select_configILj256ELj13ELNS0_17block_load_methodE3ELS4_3ELS4_3ELNS0_20block_scan_algorithmE0ELj4294967295EEENS1_25partition_config_selectorILNS1_17partition_subalgoE3EjNS0_10empty_typeEbEEZZNS1_14partition_implILS8_3ELb0ES6_jNS0_17counting_iteratorIjlEEPS9_SE_NS0_5tupleIJPjSE_EEENSF_IJSE_SE_EEES9_SG_JZNS1_25segmented_radix_sort_implINS0_14default_configELb0EPKhPhPKlPlN2at6native12_GLOBAL__N_18offset_tEEE10hipError_tPvRmT1_PNSt15iterator_traitsISY_E10value_typeET2_T3_PNSZ_IS14_E10value_typeET4_jRbjT5_S1A_jjP12ihipStream_tbEUljE_EEESV_SW_SX_S14_S18_S1A_T6_T7_T9_mT8_S1C_bDpT10_ENKUlT_T0_E_clISt17integral_constantIbLb0EES1O_IbLb1EEEEDaS1K_S1L_EUlS1K_E_NS1_11comp_targetILNS1_3genE3ELNS1_11target_archE908ELNS1_3gpuE7ELNS1_3repE0EEENS1_30default_config_static_selectorELNS0_4arch9wavefront6targetE0EEEvSY_
	.p2align	8
	.type	_ZN7rocprim17ROCPRIM_400000_NS6detail17trampoline_kernelINS0_13select_configILj256ELj13ELNS0_17block_load_methodE3ELS4_3ELS4_3ELNS0_20block_scan_algorithmE0ELj4294967295EEENS1_25partition_config_selectorILNS1_17partition_subalgoE3EjNS0_10empty_typeEbEEZZNS1_14partition_implILS8_3ELb0ES6_jNS0_17counting_iteratorIjlEEPS9_SE_NS0_5tupleIJPjSE_EEENSF_IJSE_SE_EEES9_SG_JZNS1_25segmented_radix_sort_implINS0_14default_configELb0EPKhPhPKlPlN2at6native12_GLOBAL__N_18offset_tEEE10hipError_tPvRmT1_PNSt15iterator_traitsISY_E10value_typeET2_T3_PNSZ_IS14_E10value_typeET4_jRbjT5_S1A_jjP12ihipStream_tbEUljE_EEESV_SW_SX_S14_S18_S1A_T6_T7_T9_mT8_S1C_bDpT10_ENKUlT_T0_E_clISt17integral_constantIbLb0EES1O_IbLb1EEEEDaS1K_S1L_EUlS1K_E_NS1_11comp_targetILNS1_3genE3ELNS1_11target_archE908ELNS1_3gpuE7ELNS1_3repE0EEENS1_30default_config_static_selectorELNS0_4arch9wavefront6targetE0EEEvSY_,@function
_ZN7rocprim17ROCPRIM_400000_NS6detail17trampoline_kernelINS0_13select_configILj256ELj13ELNS0_17block_load_methodE3ELS4_3ELS4_3ELNS0_20block_scan_algorithmE0ELj4294967295EEENS1_25partition_config_selectorILNS1_17partition_subalgoE3EjNS0_10empty_typeEbEEZZNS1_14partition_implILS8_3ELb0ES6_jNS0_17counting_iteratorIjlEEPS9_SE_NS0_5tupleIJPjSE_EEENSF_IJSE_SE_EEES9_SG_JZNS1_25segmented_radix_sort_implINS0_14default_configELb0EPKhPhPKlPlN2at6native12_GLOBAL__N_18offset_tEEE10hipError_tPvRmT1_PNSt15iterator_traitsISY_E10value_typeET2_T3_PNSZ_IS14_E10value_typeET4_jRbjT5_S1A_jjP12ihipStream_tbEUljE_EEESV_SW_SX_S14_S18_S1A_T6_T7_T9_mT8_S1C_bDpT10_ENKUlT_T0_E_clISt17integral_constantIbLb0EES1O_IbLb1EEEEDaS1K_S1L_EUlS1K_E_NS1_11comp_targetILNS1_3genE3ELNS1_11target_archE908ELNS1_3gpuE7ELNS1_3repE0EEENS1_30default_config_static_selectorELNS0_4arch9wavefront6targetE0EEEvSY_: ; @_ZN7rocprim17ROCPRIM_400000_NS6detail17trampoline_kernelINS0_13select_configILj256ELj13ELNS0_17block_load_methodE3ELS4_3ELS4_3ELNS0_20block_scan_algorithmE0ELj4294967295EEENS1_25partition_config_selectorILNS1_17partition_subalgoE3EjNS0_10empty_typeEbEEZZNS1_14partition_implILS8_3ELb0ES6_jNS0_17counting_iteratorIjlEEPS9_SE_NS0_5tupleIJPjSE_EEENSF_IJSE_SE_EEES9_SG_JZNS1_25segmented_radix_sort_implINS0_14default_configELb0EPKhPhPKlPlN2at6native12_GLOBAL__N_18offset_tEEE10hipError_tPvRmT1_PNSt15iterator_traitsISY_E10value_typeET2_T3_PNSZ_IS14_E10value_typeET4_jRbjT5_S1A_jjP12ihipStream_tbEUljE_EEESV_SW_SX_S14_S18_S1A_T6_T7_T9_mT8_S1C_bDpT10_ENKUlT_T0_E_clISt17integral_constantIbLb0EES1O_IbLb1EEEEDaS1K_S1L_EUlS1K_E_NS1_11comp_targetILNS1_3genE3ELNS1_11target_archE908ELNS1_3gpuE7ELNS1_3repE0EEENS1_30default_config_static_selectorELNS0_4arch9wavefront6targetE0EEEvSY_
; %bb.0:
	.section	.rodata,"a",@progbits
	.p2align	6, 0x0
	.amdhsa_kernel _ZN7rocprim17ROCPRIM_400000_NS6detail17trampoline_kernelINS0_13select_configILj256ELj13ELNS0_17block_load_methodE3ELS4_3ELS4_3ELNS0_20block_scan_algorithmE0ELj4294967295EEENS1_25partition_config_selectorILNS1_17partition_subalgoE3EjNS0_10empty_typeEbEEZZNS1_14partition_implILS8_3ELb0ES6_jNS0_17counting_iteratorIjlEEPS9_SE_NS0_5tupleIJPjSE_EEENSF_IJSE_SE_EEES9_SG_JZNS1_25segmented_radix_sort_implINS0_14default_configELb0EPKhPhPKlPlN2at6native12_GLOBAL__N_18offset_tEEE10hipError_tPvRmT1_PNSt15iterator_traitsISY_E10value_typeET2_T3_PNSZ_IS14_E10value_typeET4_jRbjT5_S1A_jjP12ihipStream_tbEUljE_EEESV_SW_SX_S14_S18_S1A_T6_T7_T9_mT8_S1C_bDpT10_ENKUlT_T0_E_clISt17integral_constantIbLb0EES1O_IbLb1EEEEDaS1K_S1L_EUlS1K_E_NS1_11comp_targetILNS1_3genE3ELNS1_11target_archE908ELNS1_3gpuE7ELNS1_3repE0EEENS1_30default_config_static_selectorELNS0_4arch9wavefront6targetE0EEEvSY_
		.amdhsa_group_segment_fixed_size 0
		.amdhsa_private_segment_fixed_size 0
		.amdhsa_kernarg_size 152
		.amdhsa_user_sgpr_count 2
		.amdhsa_user_sgpr_dispatch_ptr 0
		.amdhsa_user_sgpr_queue_ptr 0
		.amdhsa_user_sgpr_kernarg_segment_ptr 1
		.amdhsa_user_sgpr_dispatch_id 0
		.amdhsa_user_sgpr_kernarg_preload_length 0
		.amdhsa_user_sgpr_kernarg_preload_offset 0
		.amdhsa_user_sgpr_private_segment_size 0
		.amdhsa_wavefront_size32 1
		.amdhsa_uses_dynamic_stack 0
		.amdhsa_enable_private_segment 0
		.amdhsa_system_sgpr_workgroup_id_x 1
		.amdhsa_system_sgpr_workgroup_id_y 0
		.amdhsa_system_sgpr_workgroup_id_z 0
		.amdhsa_system_sgpr_workgroup_info 0
		.amdhsa_system_vgpr_workitem_id 0
		.amdhsa_next_free_vgpr 1
		.amdhsa_next_free_sgpr 1
		.amdhsa_named_barrier_count 0
		.amdhsa_reserve_vcc 0
		.amdhsa_float_round_mode_32 0
		.amdhsa_float_round_mode_16_64 0
		.amdhsa_float_denorm_mode_32 3
		.amdhsa_float_denorm_mode_16_64 3
		.amdhsa_fp16_overflow 0
		.amdhsa_memory_ordered 1
		.amdhsa_forward_progress 1
		.amdhsa_inst_pref_size 0
		.amdhsa_round_robin_scheduling 0
		.amdhsa_exception_fp_ieee_invalid_op 0
		.amdhsa_exception_fp_denorm_src 0
		.amdhsa_exception_fp_ieee_div_zero 0
		.amdhsa_exception_fp_ieee_overflow 0
		.amdhsa_exception_fp_ieee_underflow 0
		.amdhsa_exception_fp_ieee_inexact 0
		.amdhsa_exception_int_div_zero 0
	.end_amdhsa_kernel
	.section	.text._ZN7rocprim17ROCPRIM_400000_NS6detail17trampoline_kernelINS0_13select_configILj256ELj13ELNS0_17block_load_methodE3ELS4_3ELS4_3ELNS0_20block_scan_algorithmE0ELj4294967295EEENS1_25partition_config_selectorILNS1_17partition_subalgoE3EjNS0_10empty_typeEbEEZZNS1_14partition_implILS8_3ELb0ES6_jNS0_17counting_iteratorIjlEEPS9_SE_NS0_5tupleIJPjSE_EEENSF_IJSE_SE_EEES9_SG_JZNS1_25segmented_radix_sort_implINS0_14default_configELb0EPKhPhPKlPlN2at6native12_GLOBAL__N_18offset_tEEE10hipError_tPvRmT1_PNSt15iterator_traitsISY_E10value_typeET2_T3_PNSZ_IS14_E10value_typeET4_jRbjT5_S1A_jjP12ihipStream_tbEUljE_EEESV_SW_SX_S14_S18_S1A_T6_T7_T9_mT8_S1C_bDpT10_ENKUlT_T0_E_clISt17integral_constantIbLb0EES1O_IbLb1EEEEDaS1K_S1L_EUlS1K_E_NS1_11comp_targetILNS1_3genE3ELNS1_11target_archE908ELNS1_3gpuE7ELNS1_3repE0EEENS1_30default_config_static_selectorELNS0_4arch9wavefront6targetE0EEEvSY_,"axG",@progbits,_ZN7rocprim17ROCPRIM_400000_NS6detail17trampoline_kernelINS0_13select_configILj256ELj13ELNS0_17block_load_methodE3ELS4_3ELS4_3ELNS0_20block_scan_algorithmE0ELj4294967295EEENS1_25partition_config_selectorILNS1_17partition_subalgoE3EjNS0_10empty_typeEbEEZZNS1_14partition_implILS8_3ELb0ES6_jNS0_17counting_iteratorIjlEEPS9_SE_NS0_5tupleIJPjSE_EEENSF_IJSE_SE_EEES9_SG_JZNS1_25segmented_radix_sort_implINS0_14default_configELb0EPKhPhPKlPlN2at6native12_GLOBAL__N_18offset_tEEE10hipError_tPvRmT1_PNSt15iterator_traitsISY_E10value_typeET2_T3_PNSZ_IS14_E10value_typeET4_jRbjT5_S1A_jjP12ihipStream_tbEUljE_EEESV_SW_SX_S14_S18_S1A_T6_T7_T9_mT8_S1C_bDpT10_ENKUlT_T0_E_clISt17integral_constantIbLb0EES1O_IbLb1EEEEDaS1K_S1L_EUlS1K_E_NS1_11comp_targetILNS1_3genE3ELNS1_11target_archE908ELNS1_3gpuE7ELNS1_3repE0EEENS1_30default_config_static_selectorELNS0_4arch9wavefront6targetE0EEEvSY_,comdat
.Lfunc_end180:
	.size	_ZN7rocprim17ROCPRIM_400000_NS6detail17trampoline_kernelINS0_13select_configILj256ELj13ELNS0_17block_load_methodE3ELS4_3ELS4_3ELNS0_20block_scan_algorithmE0ELj4294967295EEENS1_25partition_config_selectorILNS1_17partition_subalgoE3EjNS0_10empty_typeEbEEZZNS1_14partition_implILS8_3ELb0ES6_jNS0_17counting_iteratorIjlEEPS9_SE_NS0_5tupleIJPjSE_EEENSF_IJSE_SE_EEES9_SG_JZNS1_25segmented_radix_sort_implINS0_14default_configELb0EPKhPhPKlPlN2at6native12_GLOBAL__N_18offset_tEEE10hipError_tPvRmT1_PNSt15iterator_traitsISY_E10value_typeET2_T3_PNSZ_IS14_E10value_typeET4_jRbjT5_S1A_jjP12ihipStream_tbEUljE_EEESV_SW_SX_S14_S18_S1A_T6_T7_T9_mT8_S1C_bDpT10_ENKUlT_T0_E_clISt17integral_constantIbLb0EES1O_IbLb1EEEEDaS1K_S1L_EUlS1K_E_NS1_11comp_targetILNS1_3genE3ELNS1_11target_archE908ELNS1_3gpuE7ELNS1_3repE0EEENS1_30default_config_static_selectorELNS0_4arch9wavefront6targetE0EEEvSY_, .Lfunc_end180-_ZN7rocprim17ROCPRIM_400000_NS6detail17trampoline_kernelINS0_13select_configILj256ELj13ELNS0_17block_load_methodE3ELS4_3ELS4_3ELNS0_20block_scan_algorithmE0ELj4294967295EEENS1_25partition_config_selectorILNS1_17partition_subalgoE3EjNS0_10empty_typeEbEEZZNS1_14partition_implILS8_3ELb0ES6_jNS0_17counting_iteratorIjlEEPS9_SE_NS0_5tupleIJPjSE_EEENSF_IJSE_SE_EEES9_SG_JZNS1_25segmented_radix_sort_implINS0_14default_configELb0EPKhPhPKlPlN2at6native12_GLOBAL__N_18offset_tEEE10hipError_tPvRmT1_PNSt15iterator_traitsISY_E10value_typeET2_T3_PNSZ_IS14_E10value_typeET4_jRbjT5_S1A_jjP12ihipStream_tbEUljE_EEESV_SW_SX_S14_S18_S1A_T6_T7_T9_mT8_S1C_bDpT10_ENKUlT_T0_E_clISt17integral_constantIbLb0EES1O_IbLb1EEEEDaS1K_S1L_EUlS1K_E_NS1_11comp_targetILNS1_3genE3ELNS1_11target_archE908ELNS1_3gpuE7ELNS1_3repE0EEENS1_30default_config_static_selectorELNS0_4arch9wavefront6targetE0EEEvSY_
                                        ; -- End function
	.set _ZN7rocprim17ROCPRIM_400000_NS6detail17trampoline_kernelINS0_13select_configILj256ELj13ELNS0_17block_load_methodE3ELS4_3ELS4_3ELNS0_20block_scan_algorithmE0ELj4294967295EEENS1_25partition_config_selectorILNS1_17partition_subalgoE3EjNS0_10empty_typeEbEEZZNS1_14partition_implILS8_3ELb0ES6_jNS0_17counting_iteratorIjlEEPS9_SE_NS0_5tupleIJPjSE_EEENSF_IJSE_SE_EEES9_SG_JZNS1_25segmented_radix_sort_implINS0_14default_configELb0EPKhPhPKlPlN2at6native12_GLOBAL__N_18offset_tEEE10hipError_tPvRmT1_PNSt15iterator_traitsISY_E10value_typeET2_T3_PNSZ_IS14_E10value_typeET4_jRbjT5_S1A_jjP12ihipStream_tbEUljE_EEESV_SW_SX_S14_S18_S1A_T6_T7_T9_mT8_S1C_bDpT10_ENKUlT_T0_E_clISt17integral_constantIbLb0EES1O_IbLb1EEEEDaS1K_S1L_EUlS1K_E_NS1_11comp_targetILNS1_3genE3ELNS1_11target_archE908ELNS1_3gpuE7ELNS1_3repE0EEENS1_30default_config_static_selectorELNS0_4arch9wavefront6targetE0EEEvSY_.num_vgpr, 0
	.set _ZN7rocprim17ROCPRIM_400000_NS6detail17trampoline_kernelINS0_13select_configILj256ELj13ELNS0_17block_load_methodE3ELS4_3ELS4_3ELNS0_20block_scan_algorithmE0ELj4294967295EEENS1_25partition_config_selectorILNS1_17partition_subalgoE3EjNS0_10empty_typeEbEEZZNS1_14partition_implILS8_3ELb0ES6_jNS0_17counting_iteratorIjlEEPS9_SE_NS0_5tupleIJPjSE_EEENSF_IJSE_SE_EEES9_SG_JZNS1_25segmented_radix_sort_implINS0_14default_configELb0EPKhPhPKlPlN2at6native12_GLOBAL__N_18offset_tEEE10hipError_tPvRmT1_PNSt15iterator_traitsISY_E10value_typeET2_T3_PNSZ_IS14_E10value_typeET4_jRbjT5_S1A_jjP12ihipStream_tbEUljE_EEESV_SW_SX_S14_S18_S1A_T6_T7_T9_mT8_S1C_bDpT10_ENKUlT_T0_E_clISt17integral_constantIbLb0EES1O_IbLb1EEEEDaS1K_S1L_EUlS1K_E_NS1_11comp_targetILNS1_3genE3ELNS1_11target_archE908ELNS1_3gpuE7ELNS1_3repE0EEENS1_30default_config_static_selectorELNS0_4arch9wavefront6targetE0EEEvSY_.num_agpr, 0
	.set _ZN7rocprim17ROCPRIM_400000_NS6detail17trampoline_kernelINS0_13select_configILj256ELj13ELNS0_17block_load_methodE3ELS4_3ELS4_3ELNS0_20block_scan_algorithmE0ELj4294967295EEENS1_25partition_config_selectorILNS1_17partition_subalgoE3EjNS0_10empty_typeEbEEZZNS1_14partition_implILS8_3ELb0ES6_jNS0_17counting_iteratorIjlEEPS9_SE_NS0_5tupleIJPjSE_EEENSF_IJSE_SE_EEES9_SG_JZNS1_25segmented_radix_sort_implINS0_14default_configELb0EPKhPhPKlPlN2at6native12_GLOBAL__N_18offset_tEEE10hipError_tPvRmT1_PNSt15iterator_traitsISY_E10value_typeET2_T3_PNSZ_IS14_E10value_typeET4_jRbjT5_S1A_jjP12ihipStream_tbEUljE_EEESV_SW_SX_S14_S18_S1A_T6_T7_T9_mT8_S1C_bDpT10_ENKUlT_T0_E_clISt17integral_constantIbLb0EES1O_IbLb1EEEEDaS1K_S1L_EUlS1K_E_NS1_11comp_targetILNS1_3genE3ELNS1_11target_archE908ELNS1_3gpuE7ELNS1_3repE0EEENS1_30default_config_static_selectorELNS0_4arch9wavefront6targetE0EEEvSY_.numbered_sgpr, 0
	.set _ZN7rocprim17ROCPRIM_400000_NS6detail17trampoline_kernelINS0_13select_configILj256ELj13ELNS0_17block_load_methodE3ELS4_3ELS4_3ELNS0_20block_scan_algorithmE0ELj4294967295EEENS1_25partition_config_selectorILNS1_17partition_subalgoE3EjNS0_10empty_typeEbEEZZNS1_14partition_implILS8_3ELb0ES6_jNS0_17counting_iteratorIjlEEPS9_SE_NS0_5tupleIJPjSE_EEENSF_IJSE_SE_EEES9_SG_JZNS1_25segmented_radix_sort_implINS0_14default_configELb0EPKhPhPKlPlN2at6native12_GLOBAL__N_18offset_tEEE10hipError_tPvRmT1_PNSt15iterator_traitsISY_E10value_typeET2_T3_PNSZ_IS14_E10value_typeET4_jRbjT5_S1A_jjP12ihipStream_tbEUljE_EEESV_SW_SX_S14_S18_S1A_T6_T7_T9_mT8_S1C_bDpT10_ENKUlT_T0_E_clISt17integral_constantIbLb0EES1O_IbLb1EEEEDaS1K_S1L_EUlS1K_E_NS1_11comp_targetILNS1_3genE3ELNS1_11target_archE908ELNS1_3gpuE7ELNS1_3repE0EEENS1_30default_config_static_selectorELNS0_4arch9wavefront6targetE0EEEvSY_.num_named_barrier, 0
	.set _ZN7rocprim17ROCPRIM_400000_NS6detail17trampoline_kernelINS0_13select_configILj256ELj13ELNS0_17block_load_methodE3ELS4_3ELS4_3ELNS0_20block_scan_algorithmE0ELj4294967295EEENS1_25partition_config_selectorILNS1_17partition_subalgoE3EjNS0_10empty_typeEbEEZZNS1_14partition_implILS8_3ELb0ES6_jNS0_17counting_iteratorIjlEEPS9_SE_NS0_5tupleIJPjSE_EEENSF_IJSE_SE_EEES9_SG_JZNS1_25segmented_radix_sort_implINS0_14default_configELb0EPKhPhPKlPlN2at6native12_GLOBAL__N_18offset_tEEE10hipError_tPvRmT1_PNSt15iterator_traitsISY_E10value_typeET2_T3_PNSZ_IS14_E10value_typeET4_jRbjT5_S1A_jjP12ihipStream_tbEUljE_EEESV_SW_SX_S14_S18_S1A_T6_T7_T9_mT8_S1C_bDpT10_ENKUlT_T0_E_clISt17integral_constantIbLb0EES1O_IbLb1EEEEDaS1K_S1L_EUlS1K_E_NS1_11comp_targetILNS1_3genE3ELNS1_11target_archE908ELNS1_3gpuE7ELNS1_3repE0EEENS1_30default_config_static_selectorELNS0_4arch9wavefront6targetE0EEEvSY_.private_seg_size, 0
	.set _ZN7rocprim17ROCPRIM_400000_NS6detail17trampoline_kernelINS0_13select_configILj256ELj13ELNS0_17block_load_methodE3ELS4_3ELS4_3ELNS0_20block_scan_algorithmE0ELj4294967295EEENS1_25partition_config_selectorILNS1_17partition_subalgoE3EjNS0_10empty_typeEbEEZZNS1_14partition_implILS8_3ELb0ES6_jNS0_17counting_iteratorIjlEEPS9_SE_NS0_5tupleIJPjSE_EEENSF_IJSE_SE_EEES9_SG_JZNS1_25segmented_radix_sort_implINS0_14default_configELb0EPKhPhPKlPlN2at6native12_GLOBAL__N_18offset_tEEE10hipError_tPvRmT1_PNSt15iterator_traitsISY_E10value_typeET2_T3_PNSZ_IS14_E10value_typeET4_jRbjT5_S1A_jjP12ihipStream_tbEUljE_EEESV_SW_SX_S14_S18_S1A_T6_T7_T9_mT8_S1C_bDpT10_ENKUlT_T0_E_clISt17integral_constantIbLb0EES1O_IbLb1EEEEDaS1K_S1L_EUlS1K_E_NS1_11comp_targetILNS1_3genE3ELNS1_11target_archE908ELNS1_3gpuE7ELNS1_3repE0EEENS1_30default_config_static_selectorELNS0_4arch9wavefront6targetE0EEEvSY_.uses_vcc, 0
	.set _ZN7rocprim17ROCPRIM_400000_NS6detail17trampoline_kernelINS0_13select_configILj256ELj13ELNS0_17block_load_methodE3ELS4_3ELS4_3ELNS0_20block_scan_algorithmE0ELj4294967295EEENS1_25partition_config_selectorILNS1_17partition_subalgoE3EjNS0_10empty_typeEbEEZZNS1_14partition_implILS8_3ELb0ES6_jNS0_17counting_iteratorIjlEEPS9_SE_NS0_5tupleIJPjSE_EEENSF_IJSE_SE_EEES9_SG_JZNS1_25segmented_radix_sort_implINS0_14default_configELb0EPKhPhPKlPlN2at6native12_GLOBAL__N_18offset_tEEE10hipError_tPvRmT1_PNSt15iterator_traitsISY_E10value_typeET2_T3_PNSZ_IS14_E10value_typeET4_jRbjT5_S1A_jjP12ihipStream_tbEUljE_EEESV_SW_SX_S14_S18_S1A_T6_T7_T9_mT8_S1C_bDpT10_ENKUlT_T0_E_clISt17integral_constantIbLb0EES1O_IbLb1EEEEDaS1K_S1L_EUlS1K_E_NS1_11comp_targetILNS1_3genE3ELNS1_11target_archE908ELNS1_3gpuE7ELNS1_3repE0EEENS1_30default_config_static_selectorELNS0_4arch9wavefront6targetE0EEEvSY_.uses_flat_scratch, 0
	.set _ZN7rocprim17ROCPRIM_400000_NS6detail17trampoline_kernelINS0_13select_configILj256ELj13ELNS0_17block_load_methodE3ELS4_3ELS4_3ELNS0_20block_scan_algorithmE0ELj4294967295EEENS1_25partition_config_selectorILNS1_17partition_subalgoE3EjNS0_10empty_typeEbEEZZNS1_14partition_implILS8_3ELb0ES6_jNS0_17counting_iteratorIjlEEPS9_SE_NS0_5tupleIJPjSE_EEENSF_IJSE_SE_EEES9_SG_JZNS1_25segmented_radix_sort_implINS0_14default_configELb0EPKhPhPKlPlN2at6native12_GLOBAL__N_18offset_tEEE10hipError_tPvRmT1_PNSt15iterator_traitsISY_E10value_typeET2_T3_PNSZ_IS14_E10value_typeET4_jRbjT5_S1A_jjP12ihipStream_tbEUljE_EEESV_SW_SX_S14_S18_S1A_T6_T7_T9_mT8_S1C_bDpT10_ENKUlT_T0_E_clISt17integral_constantIbLb0EES1O_IbLb1EEEEDaS1K_S1L_EUlS1K_E_NS1_11comp_targetILNS1_3genE3ELNS1_11target_archE908ELNS1_3gpuE7ELNS1_3repE0EEENS1_30default_config_static_selectorELNS0_4arch9wavefront6targetE0EEEvSY_.has_dyn_sized_stack, 0
	.set _ZN7rocprim17ROCPRIM_400000_NS6detail17trampoline_kernelINS0_13select_configILj256ELj13ELNS0_17block_load_methodE3ELS4_3ELS4_3ELNS0_20block_scan_algorithmE0ELj4294967295EEENS1_25partition_config_selectorILNS1_17partition_subalgoE3EjNS0_10empty_typeEbEEZZNS1_14partition_implILS8_3ELb0ES6_jNS0_17counting_iteratorIjlEEPS9_SE_NS0_5tupleIJPjSE_EEENSF_IJSE_SE_EEES9_SG_JZNS1_25segmented_radix_sort_implINS0_14default_configELb0EPKhPhPKlPlN2at6native12_GLOBAL__N_18offset_tEEE10hipError_tPvRmT1_PNSt15iterator_traitsISY_E10value_typeET2_T3_PNSZ_IS14_E10value_typeET4_jRbjT5_S1A_jjP12ihipStream_tbEUljE_EEESV_SW_SX_S14_S18_S1A_T6_T7_T9_mT8_S1C_bDpT10_ENKUlT_T0_E_clISt17integral_constantIbLb0EES1O_IbLb1EEEEDaS1K_S1L_EUlS1K_E_NS1_11comp_targetILNS1_3genE3ELNS1_11target_archE908ELNS1_3gpuE7ELNS1_3repE0EEENS1_30default_config_static_selectorELNS0_4arch9wavefront6targetE0EEEvSY_.has_recursion, 0
	.set _ZN7rocprim17ROCPRIM_400000_NS6detail17trampoline_kernelINS0_13select_configILj256ELj13ELNS0_17block_load_methodE3ELS4_3ELS4_3ELNS0_20block_scan_algorithmE0ELj4294967295EEENS1_25partition_config_selectorILNS1_17partition_subalgoE3EjNS0_10empty_typeEbEEZZNS1_14partition_implILS8_3ELb0ES6_jNS0_17counting_iteratorIjlEEPS9_SE_NS0_5tupleIJPjSE_EEENSF_IJSE_SE_EEES9_SG_JZNS1_25segmented_radix_sort_implINS0_14default_configELb0EPKhPhPKlPlN2at6native12_GLOBAL__N_18offset_tEEE10hipError_tPvRmT1_PNSt15iterator_traitsISY_E10value_typeET2_T3_PNSZ_IS14_E10value_typeET4_jRbjT5_S1A_jjP12ihipStream_tbEUljE_EEESV_SW_SX_S14_S18_S1A_T6_T7_T9_mT8_S1C_bDpT10_ENKUlT_T0_E_clISt17integral_constantIbLb0EES1O_IbLb1EEEEDaS1K_S1L_EUlS1K_E_NS1_11comp_targetILNS1_3genE3ELNS1_11target_archE908ELNS1_3gpuE7ELNS1_3repE0EEENS1_30default_config_static_selectorELNS0_4arch9wavefront6targetE0EEEvSY_.has_indirect_call, 0
	.section	.AMDGPU.csdata,"",@progbits
; Kernel info:
; codeLenInByte = 0
; TotalNumSgprs: 0
; NumVgprs: 0
; ScratchSize: 0
; MemoryBound: 0
; FloatMode: 240
; IeeeMode: 1
; LDSByteSize: 0 bytes/workgroup (compile time only)
; SGPRBlocks: 0
; VGPRBlocks: 0
; NumSGPRsForWavesPerEU: 1
; NumVGPRsForWavesPerEU: 1
; NamedBarCnt: 0
; Occupancy: 16
; WaveLimiterHint : 0
; COMPUTE_PGM_RSRC2:SCRATCH_EN: 0
; COMPUTE_PGM_RSRC2:USER_SGPR: 2
; COMPUTE_PGM_RSRC2:TRAP_HANDLER: 0
; COMPUTE_PGM_RSRC2:TGID_X_EN: 1
; COMPUTE_PGM_RSRC2:TGID_Y_EN: 0
; COMPUTE_PGM_RSRC2:TGID_Z_EN: 0
; COMPUTE_PGM_RSRC2:TIDIG_COMP_CNT: 0
	.section	.text._ZN7rocprim17ROCPRIM_400000_NS6detail17trampoline_kernelINS0_13select_configILj256ELj13ELNS0_17block_load_methodE3ELS4_3ELS4_3ELNS0_20block_scan_algorithmE0ELj4294967295EEENS1_25partition_config_selectorILNS1_17partition_subalgoE3EjNS0_10empty_typeEbEEZZNS1_14partition_implILS8_3ELb0ES6_jNS0_17counting_iteratorIjlEEPS9_SE_NS0_5tupleIJPjSE_EEENSF_IJSE_SE_EEES9_SG_JZNS1_25segmented_radix_sort_implINS0_14default_configELb0EPKhPhPKlPlN2at6native12_GLOBAL__N_18offset_tEEE10hipError_tPvRmT1_PNSt15iterator_traitsISY_E10value_typeET2_T3_PNSZ_IS14_E10value_typeET4_jRbjT5_S1A_jjP12ihipStream_tbEUljE_EEESV_SW_SX_S14_S18_S1A_T6_T7_T9_mT8_S1C_bDpT10_ENKUlT_T0_E_clISt17integral_constantIbLb0EES1O_IbLb1EEEEDaS1K_S1L_EUlS1K_E_NS1_11comp_targetILNS1_3genE2ELNS1_11target_archE906ELNS1_3gpuE6ELNS1_3repE0EEENS1_30default_config_static_selectorELNS0_4arch9wavefront6targetE0EEEvSY_,"axG",@progbits,_ZN7rocprim17ROCPRIM_400000_NS6detail17trampoline_kernelINS0_13select_configILj256ELj13ELNS0_17block_load_methodE3ELS4_3ELS4_3ELNS0_20block_scan_algorithmE0ELj4294967295EEENS1_25partition_config_selectorILNS1_17partition_subalgoE3EjNS0_10empty_typeEbEEZZNS1_14partition_implILS8_3ELb0ES6_jNS0_17counting_iteratorIjlEEPS9_SE_NS0_5tupleIJPjSE_EEENSF_IJSE_SE_EEES9_SG_JZNS1_25segmented_radix_sort_implINS0_14default_configELb0EPKhPhPKlPlN2at6native12_GLOBAL__N_18offset_tEEE10hipError_tPvRmT1_PNSt15iterator_traitsISY_E10value_typeET2_T3_PNSZ_IS14_E10value_typeET4_jRbjT5_S1A_jjP12ihipStream_tbEUljE_EEESV_SW_SX_S14_S18_S1A_T6_T7_T9_mT8_S1C_bDpT10_ENKUlT_T0_E_clISt17integral_constantIbLb0EES1O_IbLb1EEEEDaS1K_S1L_EUlS1K_E_NS1_11comp_targetILNS1_3genE2ELNS1_11target_archE906ELNS1_3gpuE6ELNS1_3repE0EEENS1_30default_config_static_selectorELNS0_4arch9wavefront6targetE0EEEvSY_,comdat
	.globl	_ZN7rocprim17ROCPRIM_400000_NS6detail17trampoline_kernelINS0_13select_configILj256ELj13ELNS0_17block_load_methodE3ELS4_3ELS4_3ELNS0_20block_scan_algorithmE0ELj4294967295EEENS1_25partition_config_selectorILNS1_17partition_subalgoE3EjNS0_10empty_typeEbEEZZNS1_14partition_implILS8_3ELb0ES6_jNS0_17counting_iteratorIjlEEPS9_SE_NS0_5tupleIJPjSE_EEENSF_IJSE_SE_EEES9_SG_JZNS1_25segmented_radix_sort_implINS0_14default_configELb0EPKhPhPKlPlN2at6native12_GLOBAL__N_18offset_tEEE10hipError_tPvRmT1_PNSt15iterator_traitsISY_E10value_typeET2_T3_PNSZ_IS14_E10value_typeET4_jRbjT5_S1A_jjP12ihipStream_tbEUljE_EEESV_SW_SX_S14_S18_S1A_T6_T7_T9_mT8_S1C_bDpT10_ENKUlT_T0_E_clISt17integral_constantIbLb0EES1O_IbLb1EEEEDaS1K_S1L_EUlS1K_E_NS1_11comp_targetILNS1_3genE2ELNS1_11target_archE906ELNS1_3gpuE6ELNS1_3repE0EEENS1_30default_config_static_selectorELNS0_4arch9wavefront6targetE0EEEvSY_ ; -- Begin function _ZN7rocprim17ROCPRIM_400000_NS6detail17trampoline_kernelINS0_13select_configILj256ELj13ELNS0_17block_load_methodE3ELS4_3ELS4_3ELNS0_20block_scan_algorithmE0ELj4294967295EEENS1_25partition_config_selectorILNS1_17partition_subalgoE3EjNS0_10empty_typeEbEEZZNS1_14partition_implILS8_3ELb0ES6_jNS0_17counting_iteratorIjlEEPS9_SE_NS0_5tupleIJPjSE_EEENSF_IJSE_SE_EEES9_SG_JZNS1_25segmented_radix_sort_implINS0_14default_configELb0EPKhPhPKlPlN2at6native12_GLOBAL__N_18offset_tEEE10hipError_tPvRmT1_PNSt15iterator_traitsISY_E10value_typeET2_T3_PNSZ_IS14_E10value_typeET4_jRbjT5_S1A_jjP12ihipStream_tbEUljE_EEESV_SW_SX_S14_S18_S1A_T6_T7_T9_mT8_S1C_bDpT10_ENKUlT_T0_E_clISt17integral_constantIbLb0EES1O_IbLb1EEEEDaS1K_S1L_EUlS1K_E_NS1_11comp_targetILNS1_3genE2ELNS1_11target_archE906ELNS1_3gpuE6ELNS1_3repE0EEENS1_30default_config_static_selectorELNS0_4arch9wavefront6targetE0EEEvSY_
	.p2align	8
	.type	_ZN7rocprim17ROCPRIM_400000_NS6detail17trampoline_kernelINS0_13select_configILj256ELj13ELNS0_17block_load_methodE3ELS4_3ELS4_3ELNS0_20block_scan_algorithmE0ELj4294967295EEENS1_25partition_config_selectorILNS1_17partition_subalgoE3EjNS0_10empty_typeEbEEZZNS1_14partition_implILS8_3ELb0ES6_jNS0_17counting_iteratorIjlEEPS9_SE_NS0_5tupleIJPjSE_EEENSF_IJSE_SE_EEES9_SG_JZNS1_25segmented_radix_sort_implINS0_14default_configELb0EPKhPhPKlPlN2at6native12_GLOBAL__N_18offset_tEEE10hipError_tPvRmT1_PNSt15iterator_traitsISY_E10value_typeET2_T3_PNSZ_IS14_E10value_typeET4_jRbjT5_S1A_jjP12ihipStream_tbEUljE_EEESV_SW_SX_S14_S18_S1A_T6_T7_T9_mT8_S1C_bDpT10_ENKUlT_T0_E_clISt17integral_constantIbLb0EES1O_IbLb1EEEEDaS1K_S1L_EUlS1K_E_NS1_11comp_targetILNS1_3genE2ELNS1_11target_archE906ELNS1_3gpuE6ELNS1_3repE0EEENS1_30default_config_static_selectorELNS0_4arch9wavefront6targetE0EEEvSY_,@function
_ZN7rocprim17ROCPRIM_400000_NS6detail17trampoline_kernelINS0_13select_configILj256ELj13ELNS0_17block_load_methodE3ELS4_3ELS4_3ELNS0_20block_scan_algorithmE0ELj4294967295EEENS1_25partition_config_selectorILNS1_17partition_subalgoE3EjNS0_10empty_typeEbEEZZNS1_14partition_implILS8_3ELb0ES6_jNS0_17counting_iteratorIjlEEPS9_SE_NS0_5tupleIJPjSE_EEENSF_IJSE_SE_EEES9_SG_JZNS1_25segmented_radix_sort_implINS0_14default_configELb0EPKhPhPKlPlN2at6native12_GLOBAL__N_18offset_tEEE10hipError_tPvRmT1_PNSt15iterator_traitsISY_E10value_typeET2_T3_PNSZ_IS14_E10value_typeET4_jRbjT5_S1A_jjP12ihipStream_tbEUljE_EEESV_SW_SX_S14_S18_S1A_T6_T7_T9_mT8_S1C_bDpT10_ENKUlT_T0_E_clISt17integral_constantIbLb0EES1O_IbLb1EEEEDaS1K_S1L_EUlS1K_E_NS1_11comp_targetILNS1_3genE2ELNS1_11target_archE906ELNS1_3gpuE6ELNS1_3repE0EEENS1_30default_config_static_selectorELNS0_4arch9wavefront6targetE0EEEvSY_: ; @_ZN7rocprim17ROCPRIM_400000_NS6detail17trampoline_kernelINS0_13select_configILj256ELj13ELNS0_17block_load_methodE3ELS4_3ELS4_3ELNS0_20block_scan_algorithmE0ELj4294967295EEENS1_25partition_config_selectorILNS1_17partition_subalgoE3EjNS0_10empty_typeEbEEZZNS1_14partition_implILS8_3ELb0ES6_jNS0_17counting_iteratorIjlEEPS9_SE_NS0_5tupleIJPjSE_EEENSF_IJSE_SE_EEES9_SG_JZNS1_25segmented_radix_sort_implINS0_14default_configELb0EPKhPhPKlPlN2at6native12_GLOBAL__N_18offset_tEEE10hipError_tPvRmT1_PNSt15iterator_traitsISY_E10value_typeET2_T3_PNSZ_IS14_E10value_typeET4_jRbjT5_S1A_jjP12ihipStream_tbEUljE_EEESV_SW_SX_S14_S18_S1A_T6_T7_T9_mT8_S1C_bDpT10_ENKUlT_T0_E_clISt17integral_constantIbLb0EES1O_IbLb1EEEEDaS1K_S1L_EUlS1K_E_NS1_11comp_targetILNS1_3genE2ELNS1_11target_archE906ELNS1_3gpuE6ELNS1_3repE0EEENS1_30default_config_static_selectorELNS0_4arch9wavefront6targetE0EEEvSY_
; %bb.0:
	.section	.rodata,"a",@progbits
	.p2align	6, 0x0
	.amdhsa_kernel _ZN7rocprim17ROCPRIM_400000_NS6detail17trampoline_kernelINS0_13select_configILj256ELj13ELNS0_17block_load_methodE3ELS4_3ELS4_3ELNS0_20block_scan_algorithmE0ELj4294967295EEENS1_25partition_config_selectorILNS1_17partition_subalgoE3EjNS0_10empty_typeEbEEZZNS1_14partition_implILS8_3ELb0ES6_jNS0_17counting_iteratorIjlEEPS9_SE_NS0_5tupleIJPjSE_EEENSF_IJSE_SE_EEES9_SG_JZNS1_25segmented_radix_sort_implINS0_14default_configELb0EPKhPhPKlPlN2at6native12_GLOBAL__N_18offset_tEEE10hipError_tPvRmT1_PNSt15iterator_traitsISY_E10value_typeET2_T3_PNSZ_IS14_E10value_typeET4_jRbjT5_S1A_jjP12ihipStream_tbEUljE_EEESV_SW_SX_S14_S18_S1A_T6_T7_T9_mT8_S1C_bDpT10_ENKUlT_T0_E_clISt17integral_constantIbLb0EES1O_IbLb1EEEEDaS1K_S1L_EUlS1K_E_NS1_11comp_targetILNS1_3genE2ELNS1_11target_archE906ELNS1_3gpuE6ELNS1_3repE0EEENS1_30default_config_static_selectorELNS0_4arch9wavefront6targetE0EEEvSY_
		.amdhsa_group_segment_fixed_size 0
		.amdhsa_private_segment_fixed_size 0
		.amdhsa_kernarg_size 152
		.amdhsa_user_sgpr_count 2
		.amdhsa_user_sgpr_dispatch_ptr 0
		.amdhsa_user_sgpr_queue_ptr 0
		.amdhsa_user_sgpr_kernarg_segment_ptr 1
		.amdhsa_user_sgpr_dispatch_id 0
		.amdhsa_user_sgpr_kernarg_preload_length 0
		.amdhsa_user_sgpr_kernarg_preload_offset 0
		.amdhsa_user_sgpr_private_segment_size 0
		.amdhsa_wavefront_size32 1
		.amdhsa_uses_dynamic_stack 0
		.amdhsa_enable_private_segment 0
		.amdhsa_system_sgpr_workgroup_id_x 1
		.amdhsa_system_sgpr_workgroup_id_y 0
		.amdhsa_system_sgpr_workgroup_id_z 0
		.amdhsa_system_sgpr_workgroup_info 0
		.amdhsa_system_vgpr_workitem_id 0
		.amdhsa_next_free_vgpr 1
		.amdhsa_next_free_sgpr 1
		.amdhsa_named_barrier_count 0
		.amdhsa_reserve_vcc 0
		.amdhsa_float_round_mode_32 0
		.amdhsa_float_round_mode_16_64 0
		.amdhsa_float_denorm_mode_32 3
		.amdhsa_float_denorm_mode_16_64 3
		.amdhsa_fp16_overflow 0
		.amdhsa_memory_ordered 1
		.amdhsa_forward_progress 1
		.amdhsa_inst_pref_size 0
		.amdhsa_round_robin_scheduling 0
		.amdhsa_exception_fp_ieee_invalid_op 0
		.amdhsa_exception_fp_denorm_src 0
		.amdhsa_exception_fp_ieee_div_zero 0
		.amdhsa_exception_fp_ieee_overflow 0
		.amdhsa_exception_fp_ieee_underflow 0
		.amdhsa_exception_fp_ieee_inexact 0
		.amdhsa_exception_int_div_zero 0
	.end_amdhsa_kernel
	.section	.text._ZN7rocprim17ROCPRIM_400000_NS6detail17trampoline_kernelINS0_13select_configILj256ELj13ELNS0_17block_load_methodE3ELS4_3ELS4_3ELNS0_20block_scan_algorithmE0ELj4294967295EEENS1_25partition_config_selectorILNS1_17partition_subalgoE3EjNS0_10empty_typeEbEEZZNS1_14partition_implILS8_3ELb0ES6_jNS0_17counting_iteratorIjlEEPS9_SE_NS0_5tupleIJPjSE_EEENSF_IJSE_SE_EEES9_SG_JZNS1_25segmented_radix_sort_implINS0_14default_configELb0EPKhPhPKlPlN2at6native12_GLOBAL__N_18offset_tEEE10hipError_tPvRmT1_PNSt15iterator_traitsISY_E10value_typeET2_T3_PNSZ_IS14_E10value_typeET4_jRbjT5_S1A_jjP12ihipStream_tbEUljE_EEESV_SW_SX_S14_S18_S1A_T6_T7_T9_mT8_S1C_bDpT10_ENKUlT_T0_E_clISt17integral_constantIbLb0EES1O_IbLb1EEEEDaS1K_S1L_EUlS1K_E_NS1_11comp_targetILNS1_3genE2ELNS1_11target_archE906ELNS1_3gpuE6ELNS1_3repE0EEENS1_30default_config_static_selectorELNS0_4arch9wavefront6targetE0EEEvSY_,"axG",@progbits,_ZN7rocprim17ROCPRIM_400000_NS6detail17trampoline_kernelINS0_13select_configILj256ELj13ELNS0_17block_load_methodE3ELS4_3ELS4_3ELNS0_20block_scan_algorithmE0ELj4294967295EEENS1_25partition_config_selectorILNS1_17partition_subalgoE3EjNS0_10empty_typeEbEEZZNS1_14partition_implILS8_3ELb0ES6_jNS0_17counting_iteratorIjlEEPS9_SE_NS0_5tupleIJPjSE_EEENSF_IJSE_SE_EEES9_SG_JZNS1_25segmented_radix_sort_implINS0_14default_configELb0EPKhPhPKlPlN2at6native12_GLOBAL__N_18offset_tEEE10hipError_tPvRmT1_PNSt15iterator_traitsISY_E10value_typeET2_T3_PNSZ_IS14_E10value_typeET4_jRbjT5_S1A_jjP12ihipStream_tbEUljE_EEESV_SW_SX_S14_S18_S1A_T6_T7_T9_mT8_S1C_bDpT10_ENKUlT_T0_E_clISt17integral_constantIbLb0EES1O_IbLb1EEEEDaS1K_S1L_EUlS1K_E_NS1_11comp_targetILNS1_3genE2ELNS1_11target_archE906ELNS1_3gpuE6ELNS1_3repE0EEENS1_30default_config_static_selectorELNS0_4arch9wavefront6targetE0EEEvSY_,comdat
.Lfunc_end181:
	.size	_ZN7rocprim17ROCPRIM_400000_NS6detail17trampoline_kernelINS0_13select_configILj256ELj13ELNS0_17block_load_methodE3ELS4_3ELS4_3ELNS0_20block_scan_algorithmE0ELj4294967295EEENS1_25partition_config_selectorILNS1_17partition_subalgoE3EjNS0_10empty_typeEbEEZZNS1_14partition_implILS8_3ELb0ES6_jNS0_17counting_iteratorIjlEEPS9_SE_NS0_5tupleIJPjSE_EEENSF_IJSE_SE_EEES9_SG_JZNS1_25segmented_radix_sort_implINS0_14default_configELb0EPKhPhPKlPlN2at6native12_GLOBAL__N_18offset_tEEE10hipError_tPvRmT1_PNSt15iterator_traitsISY_E10value_typeET2_T3_PNSZ_IS14_E10value_typeET4_jRbjT5_S1A_jjP12ihipStream_tbEUljE_EEESV_SW_SX_S14_S18_S1A_T6_T7_T9_mT8_S1C_bDpT10_ENKUlT_T0_E_clISt17integral_constantIbLb0EES1O_IbLb1EEEEDaS1K_S1L_EUlS1K_E_NS1_11comp_targetILNS1_3genE2ELNS1_11target_archE906ELNS1_3gpuE6ELNS1_3repE0EEENS1_30default_config_static_selectorELNS0_4arch9wavefront6targetE0EEEvSY_, .Lfunc_end181-_ZN7rocprim17ROCPRIM_400000_NS6detail17trampoline_kernelINS0_13select_configILj256ELj13ELNS0_17block_load_methodE3ELS4_3ELS4_3ELNS0_20block_scan_algorithmE0ELj4294967295EEENS1_25partition_config_selectorILNS1_17partition_subalgoE3EjNS0_10empty_typeEbEEZZNS1_14partition_implILS8_3ELb0ES6_jNS0_17counting_iteratorIjlEEPS9_SE_NS0_5tupleIJPjSE_EEENSF_IJSE_SE_EEES9_SG_JZNS1_25segmented_radix_sort_implINS0_14default_configELb0EPKhPhPKlPlN2at6native12_GLOBAL__N_18offset_tEEE10hipError_tPvRmT1_PNSt15iterator_traitsISY_E10value_typeET2_T3_PNSZ_IS14_E10value_typeET4_jRbjT5_S1A_jjP12ihipStream_tbEUljE_EEESV_SW_SX_S14_S18_S1A_T6_T7_T9_mT8_S1C_bDpT10_ENKUlT_T0_E_clISt17integral_constantIbLb0EES1O_IbLb1EEEEDaS1K_S1L_EUlS1K_E_NS1_11comp_targetILNS1_3genE2ELNS1_11target_archE906ELNS1_3gpuE6ELNS1_3repE0EEENS1_30default_config_static_selectorELNS0_4arch9wavefront6targetE0EEEvSY_
                                        ; -- End function
	.set _ZN7rocprim17ROCPRIM_400000_NS6detail17trampoline_kernelINS0_13select_configILj256ELj13ELNS0_17block_load_methodE3ELS4_3ELS4_3ELNS0_20block_scan_algorithmE0ELj4294967295EEENS1_25partition_config_selectorILNS1_17partition_subalgoE3EjNS0_10empty_typeEbEEZZNS1_14partition_implILS8_3ELb0ES6_jNS0_17counting_iteratorIjlEEPS9_SE_NS0_5tupleIJPjSE_EEENSF_IJSE_SE_EEES9_SG_JZNS1_25segmented_radix_sort_implINS0_14default_configELb0EPKhPhPKlPlN2at6native12_GLOBAL__N_18offset_tEEE10hipError_tPvRmT1_PNSt15iterator_traitsISY_E10value_typeET2_T3_PNSZ_IS14_E10value_typeET4_jRbjT5_S1A_jjP12ihipStream_tbEUljE_EEESV_SW_SX_S14_S18_S1A_T6_T7_T9_mT8_S1C_bDpT10_ENKUlT_T0_E_clISt17integral_constantIbLb0EES1O_IbLb1EEEEDaS1K_S1L_EUlS1K_E_NS1_11comp_targetILNS1_3genE2ELNS1_11target_archE906ELNS1_3gpuE6ELNS1_3repE0EEENS1_30default_config_static_selectorELNS0_4arch9wavefront6targetE0EEEvSY_.num_vgpr, 0
	.set _ZN7rocprim17ROCPRIM_400000_NS6detail17trampoline_kernelINS0_13select_configILj256ELj13ELNS0_17block_load_methodE3ELS4_3ELS4_3ELNS0_20block_scan_algorithmE0ELj4294967295EEENS1_25partition_config_selectorILNS1_17partition_subalgoE3EjNS0_10empty_typeEbEEZZNS1_14partition_implILS8_3ELb0ES6_jNS0_17counting_iteratorIjlEEPS9_SE_NS0_5tupleIJPjSE_EEENSF_IJSE_SE_EEES9_SG_JZNS1_25segmented_radix_sort_implINS0_14default_configELb0EPKhPhPKlPlN2at6native12_GLOBAL__N_18offset_tEEE10hipError_tPvRmT1_PNSt15iterator_traitsISY_E10value_typeET2_T3_PNSZ_IS14_E10value_typeET4_jRbjT5_S1A_jjP12ihipStream_tbEUljE_EEESV_SW_SX_S14_S18_S1A_T6_T7_T9_mT8_S1C_bDpT10_ENKUlT_T0_E_clISt17integral_constantIbLb0EES1O_IbLb1EEEEDaS1K_S1L_EUlS1K_E_NS1_11comp_targetILNS1_3genE2ELNS1_11target_archE906ELNS1_3gpuE6ELNS1_3repE0EEENS1_30default_config_static_selectorELNS0_4arch9wavefront6targetE0EEEvSY_.num_agpr, 0
	.set _ZN7rocprim17ROCPRIM_400000_NS6detail17trampoline_kernelINS0_13select_configILj256ELj13ELNS0_17block_load_methodE3ELS4_3ELS4_3ELNS0_20block_scan_algorithmE0ELj4294967295EEENS1_25partition_config_selectorILNS1_17partition_subalgoE3EjNS0_10empty_typeEbEEZZNS1_14partition_implILS8_3ELb0ES6_jNS0_17counting_iteratorIjlEEPS9_SE_NS0_5tupleIJPjSE_EEENSF_IJSE_SE_EEES9_SG_JZNS1_25segmented_radix_sort_implINS0_14default_configELb0EPKhPhPKlPlN2at6native12_GLOBAL__N_18offset_tEEE10hipError_tPvRmT1_PNSt15iterator_traitsISY_E10value_typeET2_T3_PNSZ_IS14_E10value_typeET4_jRbjT5_S1A_jjP12ihipStream_tbEUljE_EEESV_SW_SX_S14_S18_S1A_T6_T7_T9_mT8_S1C_bDpT10_ENKUlT_T0_E_clISt17integral_constantIbLb0EES1O_IbLb1EEEEDaS1K_S1L_EUlS1K_E_NS1_11comp_targetILNS1_3genE2ELNS1_11target_archE906ELNS1_3gpuE6ELNS1_3repE0EEENS1_30default_config_static_selectorELNS0_4arch9wavefront6targetE0EEEvSY_.numbered_sgpr, 0
	.set _ZN7rocprim17ROCPRIM_400000_NS6detail17trampoline_kernelINS0_13select_configILj256ELj13ELNS0_17block_load_methodE3ELS4_3ELS4_3ELNS0_20block_scan_algorithmE0ELj4294967295EEENS1_25partition_config_selectorILNS1_17partition_subalgoE3EjNS0_10empty_typeEbEEZZNS1_14partition_implILS8_3ELb0ES6_jNS0_17counting_iteratorIjlEEPS9_SE_NS0_5tupleIJPjSE_EEENSF_IJSE_SE_EEES9_SG_JZNS1_25segmented_radix_sort_implINS0_14default_configELb0EPKhPhPKlPlN2at6native12_GLOBAL__N_18offset_tEEE10hipError_tPvRmT1_PNSt15iterator_traitsISY_E10value_typeET2_T3_PNSZ_IS14_E10value_typeET4_jRbjT5_S1A_jjP12ihipStream_tbEUljE_EEESV_SW_SX_S14_S18_S1A_T6_T7_T9_mT8_S1C_bDpT10_ENKUlT_T0_E_clISt17integral_constantIbLb0EES1O_IbLb1EEEEDaS1K_S1L_EUlS1K_E_NS1_11comp_targetILNS1_3genE2ELNS1_11target_archE906ELNS1_3gpuE6ELNS1_3repE0EEENS1_30default_config_static_selectorELNS0_4arch9wavefront6targetE0EEEvSY_.num_named_barrier, 0
	.set _ZN7rocprim17ROCPRIM_400000_NS6detail17trampoline_kernelINS0_13select_configILj256ELj13ELNS0_17block_load_methodE3ELS4_3ELS4_3ELNS0_20block_scan_algorithmE0ELj4294967295EEENS1_25partition_config_selectorILNS1_17partition_subalgoE3EjNS0_10empty_typeEbEEZZNS1_14partition_implILS8_3ELb0ES6_jNS0_17counting_iteratorIjlEEPS9_SE_NS0_5tupleIJPjSE_EEENSF_IJSE_SE_EEES9_SG_JZNS1_25segmented_radix_sort_implINS0_14default_configELb0EPKhPhPKlPlN2at6native12_GLOBAL__N_18offset_tEEE10hipError_tPvRmT1_PNSt15iterator_traitsISY_E10value_typeET2_T3_PNSZ_IS14_E10value_typeET4_jRbjT5_S1A_jjP12ihipStream_tbEUljE_EEESV_SW_SX_S14_S18_S1A_T6_T7_T9_mT8_S1C_bDpT10_ENKUlT_T0_E_clISt17integral_constantIbLb0EES1O_IbLb1EEEEDaS1K_S1L_EUlS1K_E_NS1_11comp_targetILNS1_3genE2ELNS1_11target_archE906ELNS1_3gpuE6ELNS1_3repE0EEENS1_30default_config_static_selectorELNS0_4arch9wavefront6targetE0EEEvSY_.private_seg_size, 0
	.set _ZN7rocprim17ROCPRIM_400000_NS6detail17trampoline_kernelINS0_13select_configILj256ELj13ELNS0_17block_load_methodE3ELS4_3ELS4_3ELNS0_20block_scan_algorithmE0ELj4294967295EEENS1_25partition_config_selectorILNS1_17partition_subalgoE3EjNS0_10empty_typeEbEEZZNS1_14partition_implILS8_3ELb0ES6_jNS0_17counting_iteratorIjlEEPS9_SE_NS0_5tupleIJPjSE_EEENSF_IJSE_SE_EEES9_SG_JZNS1_25segmented_radix_sort_implINS0_14default_configELb0EPKhPhPKlPlN2at6native12_GLOBAL__N_18offset_tEEE10hipError_tPvRmT1_PNSt15iterator_traitsISY_E10value_typeET2_T3_PNSZ_IS14_E10value_typeET4_jRbjT5_S1A_jjP12ihipStream_tbEUljE_EEESV_SW_SX_S14_S18_S1A_T6_T7_T9_mT8_S1C_bDpT10_ENKUlT_T0_E_clISt17integral_constantIbLb0EES1O_IbLb1EEEEDaS1K_S1L_EUlS1K_E_NS1_11comp_targetILNS1_3genE2ELNS1_11target_archE906ELNS1_3gpuE6ELNS1_3repE0EEENS1_30default_config_static_selectorELNS0_4arch9wavefront6targetE0EEEvSY_.uses_vcc, 0
	.set _ZN7rocprim17ROCPRIM_400000_NS6detail17trampoline_kernelINS0_13select_configILj256ELj13ELNS0_17block_load_methodE3ELS4_3ELS4_3ELNS0_20block_scan_algorithmE0ELj4294967295EEENS1_25partition_config_selectorILNS1_17partition_subalgoE3EjNS0_10empty_typeEbEEZZNS1_14partition_implILS8_3ELb0ES6_jNS0_17counting_iteratorIjlEEPS9_SE_NS0_5tupleIJPjSE_EEENSF_IJSE_SE_EEES9_SG_JZNS1_25segmented_radix_sort_implINS0_14default_configELb0EPKhPhPKlPlN2at6native12_GLOBAL__N_18offset_tEEE10hipError_tPvRmT1_PNSt15iterator_traitsISY_E10value_typeET2_T3_PNSZ_IS14_E10value_typeET4_jRbjT5_S1A_jjP12ihipStream_tbEUljE_EEESV_SW_SX_S14_S18_S1A_T6_T7_T9_mT8_S1C_bDpT10_ENKUlT_T0_E_clISt17integral_constantIbLb0EES1O_IbLb1EEEEDaS1K_S1L_EUlS1K_E_NS1_11comp_targetILNS1_3genE2ELNS1_11target_archE906ELNS1_3gpuE6ELNS1_3repE0EEENS1_30default_config_static_selectorELNS0_4arch9wavefront6targetE0EEEvSY_.uses_flat_scratch, 0
	.set _ZN7rocprim17ROCPRIM_400000_NS6detail17trampoline_kernelINS0_13select_configILj256ELj13ELNS0_17block_load_methodE3ELS4_3ELS4_3ELNS0_20block_scan_algorithmE0ELj4294967295EEENS1_25partition_config_selectorILNS1_17partition_subalgoE3EjNS0_10empty_typeEbEEZZNS1_14partition_implILS8_3ELb0ES6_jNS0_17counting_iteratorIjlEEPS9_SE_NS0_5tupleIJPjSE_EEENSF_IJSE_SE_EEES9_SG_JZNS1_25segmented_radix_sort_implINS0_14default_configELb0EPKhPhPKlPlN2at6native12_GLOBAL__N_18offset_tEEE10hipError_tPvRmT1_PNSt15iterator_traitsISY_E10value_typeET2_T3_PNSZ_IS14_E10value_typeET4_jRbjT5_S1A_jjP12ihipStream_tbEUljE_EEESV_SW_SX_S14_S18_S1A_T6_T7_T9_mT8_S1C_bDpT10_ENKUlT_T0_E_clISt17integral_constantIbLb0EES1O_IbLb1EEEEDaS1K_S1L_EUlS1K_E_NS1_11comp_targetILNS1_3genE2ELNS1_11target_archE906ELNS1_3gpuE6ELNS1_3repE0EEENS1_30default_config_static_selectorELNS0_4arch9wavefront6targetE0EEEvSY_.has_dyn_sized_stack, 0
	.set _ZN7rocprim17ROCPRIM_400000_NS6detail17trampoline_kernelINS0_13select_configILj256ELj13ELNS0_17block_load_methodE3ELS4_3ELS4_3ELNS0_20block_scan_algorithmE0ELj4294967295EEENS1_25partition_config_selectorILNS1_17partition_subalgoE3EjNS0_10empty_typeEbEEZZNS1_14partition_implILS8_3ELb0ES6_jNS0_17counting_iteratorIjlEEPS9_SE_NS0_5tupleIJPjSE_EEENSF_IJSE_SE_EEES9_SG_JZNS1_25segmented_radix_sort_implINS0_14default_configELb0EPKhPhPKlPlN2at6native12_GLOBAL__N_18offset_tEEE10hipError_tPvRmT1_PNSt15iterator_traitsISY_E10value_typeET2_T3_PNSZ_IS14_E10value_typeET4_jRbjT5_S1A_jjP12ihipStream_tbEUljE_EEESV_SW_SX_S14_S18_S1A_T6_T7_T9_mT8_S1C_bDpT10_ENKUlT_T0_E_clISt17integral_constantIbLb0EES1O_IbLb1EEEEDaS1K_S1L_EUlS1K_E_NS1_11comp_targetILNS1_3genE2ELNS1_11target_archE906ELNS1_3gpuE6ELNS1_3repE0EEENS1_30default_config_static_selectorELNS0_4arch9wavefront6targetE0EEEvSY_.has_recursion, 0
	.set _ZN7rocprim17ROCPRIM_400000_NS6detail17trampoline_kernelINS0_13select_configILj256ELj13ELNS0_17block_load_methodE3ELS4_3ELS4_3ELNS0_20block_scan_algorithmE0ELj4294967295EEENS1_25partition_config_selectorILNS1_17partition_subalgoE3EjNS0_10empty_typeEbEEZZNS1_14partition_implILS8_3ELb0ES6_jNS0_17counting_iteratorIjlEEPS9_SE_NS0_5tupleIJPjSE_EEENSF_IJSE_SE_EEES9_SG_JZNS1_25segmented_radix_sort_implINS0_14default_configELb0EPKhPhPKlPlN2at6native12_GLOBAL__N_18offset_tEEE10hipError_tPvRmT1_PNSt15iterator_traitsISY_E10value_typeET2_T3_PNSZ_IS14_E10value_typeET4_jRbjT5_S1A_jjP12ihipStream_tbEUljE_EEESV_SW_SX_S14_S18_S1A_T6_T7_T9_mT8_S1C_bDpT10_ENKUlT_T0_E_clISt17integral_constantIbLb0EES1O_IbLb1EEEEDaS1K_S1L_EUlS1K_E_NS1_11comp_targetILNS1_3genE2ELNS1_11target_archE906ELNS1_3gpuE6ELNS1_3repE0EEENS1_30default_config_static_selectorELNS0_4arch9wavefront6targetE0EEEvSY_.has_indirect_call, 0
	.section	.AMDGPU.csdata,"",@progbits
; Kernel info:
; codeLenInByte = 0
; TotalNumSgprs: 0
; NumVgprs: 0
; ScratchSize: 0
; MemoryBound: 0
; FloatMode: 240
; IeeeMode: 1
; LDSByteSize: 0 bytes/workgroup (compile time only)
; SGPRBlocks: 0
; VGPRBlocks: 0
; NumSGPRsForWavesPerEU: 1
; NumVGPRsForWavesPerEU: 1
; NamedBarCnt: 0
; Occupancy: 16
; WaveLimiterHint : 0
; COMPUTE_PGM_RSRC2:SCRATCH_EN: 0
; COMPUTE_PGM_RSRC2:USER_SGPR: 2
; COMPUTE_PGM_RSRC2:TRAP_HANDLER: 0
; COMPUTE_PGM_RSRC2:TGID_X_EN: 1
; COMPUTE_PGM_RSRC2:TGID_Y_EN: 0
; COMPUTE_PGM_RSRC2:TGID_Z_EN: 0
; COMPUTE_PGM_RSRC2:TIDIG_COMP_CNT: 0
	.section	.text._ZN7rocprim17ROCPRIM_400000_NS6detail17trampoline_kernelINS0_13select_configILj256ELj13ELNS0_17block_load_methodE3ELS4_3ELS4_3ELNS0_20block_scan_algorithmE0ELj4294967295EEENS1_25partition_config_selectorILNS1_17partition_subalgoE3EjNS0_10empty_typeEbEEZZNS1_14partition_implILS8_3ELb0ES6_jNS0_17counting_iteratorIjlEEPS9_SE_NS0_5tupleIJPjSE_EEENSF_IJSE_SE_EEES9_SG_JZNS1_25segmented_radix_sort_implINS0_14default_configELb0EPKhPhPKlPlN2at6native12_GLOBAL__N_18offset_tEEE10hipError_tPvRmT1_PNSt15iterator_traitsISY_E10value_typeET2_T3_PNSZ_IS14_E10value_typeET4_jRbjT5_S1A_jjP12ihipStream_tbEUljE_EEESV_SW_SX_S14_S18_S1A_T6_T7_T9_mT8_S1C_bDpT10_ENKUlT_T0_E_clISt17integral_constantIbLb0EES1O_IbLb1EEEEDaS1K_S1L_EUlS1K_E_NS1_11comp_targetILNS1_3genE10ELNS1_11target_archE1200ELNS1_3gpuE4ELNS1_3repE0EEENS1_30default_config_static_selectorELNS0_4arch9wavefront6targetE0EEEvSY_,"axG",@progbits,_ZN7rocprim17ROCPRIM_400000_NS6detail17trampoline_kernelINS0_13select_configILj256ELj13ELNS0_17block_load_methodE3ELS4_3ELS4_3ELNS0_20block_scan_algorithmE0ELj4294967295EEENS1_25partition_config_selectorILNS1_17partition_subalgoE3EjNS0_10empty_typeEbEEZZNS1_14partition_implILS8_3ELb0ES6_jNS0_17counting_iteratorIjlEEPS9_SE_NS0_5tupleIJPjSE_EEENSF_IJSE_SE_EEES9_SG_JZNS1_25segmented_radix_sort_implINS0_14default_configELb0EPKhPhPKlPlN2at6native12_GLOBAL__N_18offset_tEEE10hipError_tPvRmT1_PNSt15iterator_traitsISY_E10value_typeET2_T3_PNSZ_IS14_E10value_typeET4_jRbjT5_S1A_jjP12ihipStream_tbEUljE_EEESV_SW_SX_S14_S18_S1A_T6_T7_T9_mT8_S1C_bDpT10_ENKUlT_T0_E_clISt17integral_constantIbLb0EES1O_IbLb1EEEEDaS1K_S1L_EUlS1K_E_NS1_11comp_targetILNS1_3genE10ELNS1_11target_archE1200ELNS1_3gpuE4ELNS1_3repE0EEENS1_30default_config_static_selectorELNS0_4arch9wavefront6targetE0EEEvSY_,comdat
	.globl	_ZN7rocprim17ROCPRIM_400000_NS6detail17trampoline_kernelINS0_13select_configILj256ELj13ELNS0_17block_load_methodE3ELS4_3ELS4_3ELNS0_20block_scan_algorithmE0ELj4294967295EEENS1_25partition_config_selectorILNS1_17partition_subalgoE3EjNS0_10empty_typeEbEEZZNS1_14partition_implILS8_3ELb0ES6_jNS0_17counting_iteratorIjlEEPS9_SE_NS0_5tupleIJPjSE_EEENSF_IJSE_SE_EEES9_SG_JZNS1_25segmented_radix_sort_implINS0_14default_configELb0EPKhPhPKlPlN2at6native12_GLOBAL__N_18offset_tEEE10hipError_tPvRmT1_PNSt15iterator_traitsISY_E10value_typeET2_T3_PNSZ_IS14_E10value_typeET4_jRbjT5_S1A_jjP12ihipStream_tbEUljE_EEESV_SW_SX_S14_S18_S1A_T6_T7_T9_mT8_S1C_bDpT10_ENKUlT_T0_E_clISt17integral_constantIbLb0EES1O_IbLb1EEEEDaS1K_S1L_EUlS1K_E_NS1_11comp_targetILNS1_3genE10ELNS1_11target_archE1200ELNS1_3gpuE4ELNS1_3repE0EEENS1_30default_config_static_selectorELNS0_4arch9wavefront6targetE0EEEvSY_ ; -- Begin function _ZN7rocprim17ROCPRIM_400000_NS6detail17trampoline_kernelINS0_13select_configILj256ELj13ELNS0_17block_load_methodE3ELS4_3ELS4_3ELNS0_20block_scan_algorithmE0ELj4294967295EEENS1_25partition_config_selectorILNS1_17partition_subalgoE3EjNS0_10empty_typeEbEEZZNS1_14partition_implILS8_3ELb0ES6_jNS0_17counting_iteratorIjlEEPS9_SE_NS0_5tupleIJPjSE_EEENSF_IJSE_SE_EEES9_SG_JZNS1_25segmented_radix_sort_implINS0_14default_configELb0EPKhPhPKlPlN2at6native12_GLOBAL__N_18offset_tEEE10hipError_tPvRmT1_PNSt15iterator_traitsISY_E10value_typeET2_T3_PNSZ_IS14_E10value_typeET4_jRbjT5_S1A_jjP12ihipStream_tbEUljE_EEESV_SW_SX_S14_S18_S1A_T6_T7_T9_mT8_S1C_bDpT10_ENKUlT_T0_E_clISt17integral_constantIbLb0EES1O_IbLb1EEEEDaS1K_S1L_EUlS1K_E_NS1_11comp_targetILNS1_3genE10ELNS1_11target_archE1200ELNS1_3gpuE4ELNS1_3repE0EEENS1_30default_config_static_selectorELNS0_4arch9wavefront6targetE0EEEvSY_
	.p2align	8
	.type	_ZN7rocprim17ROCPRIM_400000_NS6detail17trampoline_kernelINS0_13select_configILj256ELj13ELNS0_17block_load_methodE3ELS4_3ELS4_3ELNS0_20block_scan_algorithmE0ELj4294967295EEENS1_25partition_config_selectorILNS1_17partition_subalgoE3EjNS0_10empty_typeEbEEZZNS1_14partition_implILS8_3ELb0ES6_jNS0_17counting_iteratorIjlEEPS9_SE_NS0_5tupleIJPjSE_EEENSF_IJSE_SE_EEES9_SG_JZNS1_25segmented_radix_sort_implINS0_14default_configELb0EPKhPhPKlPlN2at6native12_GLOBAL__N_18offset_tEEE10hipError_tPvRmT1_PNSt15iterator_traitsISY_E10value_typeET2_T3_PNSZ_IS14_E10value_typeET4_jRbjT5_S1A_jjP12ihipStream_tbEUljE_EEESV_SW_SX_S14_S18_S1A_T6_T7_T9_mT8_S1C_bDpT10_ENKUlT_T0_E_clISt17integral_constantIbLb0EES1O_IbLb1EEEEDaS1K_S1L_EUlS1K_E_NS1_11comp_targetILNS1_3genE10ELNS1_11target_archE1200ELNS1_3gpuE4ELNS1_3repE0EEENS1_30default_config_static_selectorELNS0_4arch9wavefront6targetE0EEEvSY_,@function
_ZN7rocprim17ROCPRIM_400000_NS6detail17trampoline_kernelINS0_13select_configILj256ELj13ELNS0_17block_load_methodE3ELS4_3ELS4_3ELNS0_20block_scan_algorithmE0ELj4294967295EEENS1_25partition_config_selectorILNS1_17partition_subalgoE3EjNS0_10empty_typeEbEEZZNS1_14partition_implILS8_3ELb0ES6_jNS0_17counting_iteratorIjlEEPS9_SE_NS0_5tupleIJPjSE_EEENSF_IJSE_SE_EEES9_SG_JZNS1_25segmented_radix_sort_implINS0_14default_configELb0EPKhPhPKlPlN2at6native12_GLOBAL__N_18offset_tEEE10hipError_tPvRmT1_PNSt15iterator_traitsISY_E10value_typeET2_T3_PNSZ_IS14_E10value_typeET4_jRbjT5_S1A_jjP12ihipStream_tbEUljE_EEESV_SW_SX_S14_S18_S1A_T6_T7_T9_mT8_S1C_bDpT10_ENKUlT_T0_E_clISt17integral_constantIbLb0EES1O_IbLb1EEEEDaS1K_S1L_EUlS1K_E_NS1_11comp_targetILNS1_3genE10ELNS1_11target_archE1200ELNS1_3gpuE4ELNS1_3repE0EEENS1_30default_config_static_selectorELNS0_4arch9wavefront6targetE0EEEvSY_: ; @_ZN7rocprim17ROCPRIM_400000_NS6detail17trampoline_kernelINS0_13select_configILj256ELj13ELNS0_17block_load_methodE3ELS4_3ELS4_3ELNS0_20block_scan_algorithmE0ELj4294967295EEENS1_25partition_config_selectorILNS1_17partition_subalgoE3EjNS0_10empty_typeEbEEZZNS1_14partition_implILS8_3ELb0ES6_jNS0_17counting_iteratorIjlEEPS9_SE_NS0_5tupleIJPjSE_EEENSF_IJSE_SE_EEES9_SG_JZNS1_25segmented_radix_sort_implINS0_14default_configELb0EPKhPhPKlPlN2at6native12_GLOBAL__N_18offset_tEEE10hipError_tPvRmT1_PNSt15iterator_traitsISY_E10value_typeET2_T3_PNSZ_IS14_E10value_typeET4_jRbjT5_S1A_jjP12ihipStream_tbEUljE_EEESV_SW_SX_S14_S18_S1A_T6_T7_T9_mT8_S1C_bDpT10_ENKUlT_T0_E_clISt17integral_constantIbLb0EES1O_IbLb1EEEEDaS1K_S1L_EUlS1K_E_NS1_11comp_targetILNS1_3genE10ELNS1_11target_archE1200ELNS1_3gpuE4ELNS1_3repE0EEENS1_30default_config_static_selectorELNS0_4arch9wavefront6targetE0EEEvSY_
; %bb.0:
	.section	.rodata,"a",@progbits
	.p2align	6, 0x0
	.amdhsa_kernel _ZN7rocprim17ROCPRIM_400000_NS6detail17trampoline_kernelINS0_13select_configILj256ELj13ELNS0_17block_load_methodE3ELS4_3ELS4_3ELNS0_20block_scan_algorithmE0ELj4294967295EEENS1_25partition_config_selectorILNS1_17partition_subalgoE3EjNS0_10empty_typeEbEEZZNS1_14partition_implILS8_3ELb0ES6_jNS0_17counting_iteratorIjlEEPS9_SE_NS0_5tupleIJPjSE_EEENSF_IJSE_SE_EEES9_SG_JZNS1_25segmented_radix_sort_implINS0_14default_configELb0EPKhPhPKlPlN2at6native12_GLOBAL__N_18offset_tEEE10hipError_tPvRmT1_PNSt15iterator_traitsISY_E10value_typeET2_T3_PNSZ_IS14_E10value_typeET4_jRbjT5_S1A_jjP12ihipStream_tbEUljE_EEESV_SW_SX_S14_S18_S1A_T6_T7_T9_mT8_S1C_bDpT10_ENKUlT_T0_E_clISt17integral_constantIbLb0EES1O_IbLb1EEEEDaS1K_S1L_EUlS1K_E_NS1_11comp_targetILNS1_3genE10ELNS1_11target_archE1200ELNS1_3gpuE4ELNS1_3repE0EEENS1_30default_config_static_selectorELNS0_4arch9wavefront6targetE0EEEvSY_
		.amdhsa_group_segment_fixed_size 0
		.amdhsa_private_segment_fixed_size 0
		.amdhsa_kernarg_size 152
		.amdhsa_user_sgpr_count 2
		.amdhsa_user_sgpr_dispatch_ptr 0
		.amdhsa_user_sgpr_queue_ptr 0
		.amdhsa_user_sgpr_kernarg_segment_ptr 1
		.amdhsa_user_sgpr_dispatch_id 0
		.amdhsa_user_sgpr_kernarg_preload_length 0
		.amdhsa_user_sgpr_kernarg_preload_offset 0
		.amdhsa_user_sgpr_private_segment_size 0
		.amdhsa_wavefront_size32 1
		.amdhsa_uses_dynamic_stack 0
		.amdhsa_enable_private_segment 0
		.amdhsa_system_sgpr_workgroup_id_x 1
		.amdhsa_system_sgpr_workgroup_id_y 0
		.amdhsa_system_sgpr_workgroup_id_z 0
		.amdhsa_system_sgpr_workgroup_info 0
		.amdhsa_system_vgpr_workitem_id 0
		.amdhsa_next_free_vgpr 1
		.amdhsa_next_free_sgpr 1
		.amdhsa_named_barrier_count 0
		.amdhsa_reserve_vcc 0
		.amdhsa_float_round_mode_32 0
		.amdhsa_float_round_mode_16_64 0
		.amdhsa_float_denorm_mode_32 3
		.amdhsa_float_denorm_mode_16_64 3
		.amdhsa_fp16_overflow 0
		.amdhsa_memory_ordered 1
		.amdhsa_forward_progress 1
		.amdhsa_inst_pref_size 0
		.amdhsa_round_robin_scheduling 0
		.amdhsa_exception_fp_ieee_invalid_op 0
		.amdhsa_exception_fp_denorm_src 0
		.amdhsa_exception_fp_ieee_div_zero 0
		.amdhsa_exception_fp_ieee_overflow 0
		.amdhsa_exception_fp_ieee_underflow 0
		.amdhsa_exception_fp_ieee_inexact 0
		.amdhsa_exception_int_div_zero 0
	.end_amdhsa_kernel
	.section	.text._ZN7rocprim17ROCPRIM_400000_NS6detail17trampoline_kernelINS0_13select_configILj256ELj13ELNS0_17block_load_methodE3ELS4_3ELS4_3ELNS0_20block_scan_algorithmE0ELj4294967295EEENS1_25partition_config_selectorILNS1_17partition_subalgoE3EjNS0_10empty_typeEbEEZZNS1_14partition_implILS8_3ELb0ES6_jNS0_17counting_iteratorIjlEEPS9_SE_NS0_5tupleIJPjSE_EEENSF_IJSE_SE_EEES9_SG_JZNS1_25segmented_radix_sort_implINS0_14default_configELb0EPKhPhPKlPlN2at6native12_GLOBAL__N_18offset_tEEE10hipError_tPvRmT1_PNSt15iterator_traitsISY_E10value_typeET2_T3_PNSZ_IS14_E10value_typeET4_jRbjT5_S1A_jjP12ihipStream_tbEUljE_EEESV_SW_SX_S14_S18_S1A_T6_T7_T9_mT8_S1C_bDpT10_ENKUlT_T0_E_clISt17integral_constantIbLb0EES1O_IbLb1EEEEDaS1K_S1L_EUlS1K_E_NS1_11comp_targetILNS1_3genE10ELNS1_11target_archE1200ELNS1_3gpuE4ELNS1_3repE0EEENS1_30default_config_static_selectorELNS0_4arch9wavefront6targetE0EEEvSY_,"axG",@progbits,_ZN7rocprim17ROCPRIM_400000_NS6detail17trampoline_kernelINS0_13select_configILj256ELj13ELNS0_17block_load_methodE3ELS4_3ELS4_3ELNS0_20block_scan_algorithmE0ELj4294967295EEENS1_25partition_config_selectorILNS1_17partition_subalgoE3EjNS0_10empty_typeEbEEZZNS1_14partition_implILS8_3ELb0ES6_jNS0_17counting_iteratorIjlEEPS9_SE_NS0_5tupleIJPjSE_EEENSF_IJSE_SE_EEES9_SG_JZNS1_25segmented_radix_sort_implINS0_14default_configELb0EPKhPhPKlPlN2at6native12_GLOBAL__N_18offset_tEEE10hipError_tPvRmT1_PNSt15iterator_traitsISY_E10value_typeET2_T3_PNSZ_IS14_E10value_typeET4_jRbjT5_S1A_jjP12ihipStream_tbEUljE_EEESV_SW_SX_S14_S18_S1A_T6_T7_T9_mT8_S1C_bDpT10_ENKUlT_T0_E_clISt17integral_constantIbLb0EES1O_IbLb1EEEEDaS1K_S1L_EUlS1K_E_NS1_11comp_targetILNS1_3genE10ELNS1_11target_archE1200ELNS1_3gpuE4ELNS1_3repE0EEENS1_30default_config_static_selectorELNS0_4arch9wavefront6targetE0EEEvSY_,comdat
.Lfunc_end182:
	.size	_ZN7rocprim17ROCPRIM_400000_NS6detail17trampoline_kernelINS0_13select_configILj256ELj13ELNS0_17block_load_methodE3ELS4_3ELS4_3ELNS0_20block_scan_algorithmE0ELj4294967295EEENS1_25partition_config_selectorILNS1_17partition_subalgoE3EjNS0_10empty_typeEbEEZZNS1_14partition_implILS8_3ELb0ES6_jNS0_17counting_iteratorIjlEEPS9_SE_NS0_5tupleIJPjSE_EEENSF_IJSE_SE_EEES9_SG_JZNS1_25segmented_radix_sort_implINS0_14default_configELb0EPKhPhPKlPlN2at6native12_GLOBAL__N_18offset_tEEE10hipError_tPvRmT1_PNSt15iterator_traitsISY_E10value_typeET2_T3_PNSZ_IS14_E10value_typeET4_jRbjT5_S1A_jjP12ihipStream_tbEUljE_EEESV_SW_SX_S14_S18_S1A_T6_T7_T9_mT8_S1C_bDpT10_ENKUlT_T0_E_clISt17integral_constantIbLb0EES1O_IbLb1EEEEDaS1K_S1L_EUlS1K_E_NS1_11comp_targetILNS1_3genE10ELNS1_11target_archE1200ELNS1_3gpuE4ELNS1_3repE0EEENS1_30default_config_static_selectorELNS0_4arch9wavefront6targetE0EEEvSY_, .Lfunc_end182-_ZN7rocprim17ROCPRIM_400000_NS6detail17trampoline_kernelINS0_13select_configILj256ELj13ELNS0_17block_load_methodE3ELS4_3ELS4_3ELNS0_20block_scan_algorithmE0ELj4294967295EEENS1_25partition_config_selectorILNS1_17partition_subalgoE3EjNS0_10empty_typeEbEEZZNS1_14partition_implILS8_3ELb0ES6_jNS0_17counting_iteratorIjlEEPS9_SE_NS0_5tupleIJPjSE_EEENSF_IJSE_SE_EEES9_SG_JZNS1_25segmented_radix_sort_implINS0_14default_configELb0EPKhPhPKlPlN2at6native12_GLOBAL__N_18offset_tEEE10hipError_tPvRmT1_PNSt15iterator_traitsISY_E10value_typeET2_T3_PNSZ_IS14_E10value_typeET4_jRbjT5_S1A_jjP12ihipStream_tbEUljE_EEESV_SW_SX_S14_S18_S1A_T6_T7_T9_mT8_S1C_bDpT10_ENKUlT_T0_E_clISt17integral_constantIbLb0EES1O_IbLb1EEEEDaS1K_S1L_EUlS1K_E_NS1_11comp_targetILNS1_3genE10ELNS1_11target_archE1200ELNS1_3gpuE4ELNS1_3repE0EEENS1_30default_config_static_selectorELNS0_4arch9wavefront6targetE0EEEvSY_
                                        ; -- End function
	.set _ZN7rocprim17ROCPRIM_400000_NS6detail17trampoline_kernelINS0_13select_configILj256ELj13ELNS0_17block_load_methodE3ELS4_3ELS4_3ELNS0_20block_scan_algorithmE0ELj4294967295EEENS1_25partition_config_selectorILNS1_17partition_subalgoE3EjNS0_10empty_typeEbEEZZNS1_14partition_implILS8_3ELb0ES6_jNS0_17counting_iteratorIjlEEPS9_SE_NS0_5tupleIJPjSE_EEENSF_IJSE_SE_EEES9_SG_JZNS1_25segmented_radix_sort_implINS0_14default_configELb0EPKhPhPKlPlN2at6native12_GLOBAL__N_18offset_tEEE10hipError_tPvRmT1_PNSt15iterator_traitsISY_E10value_typeET2_T3_PNSZ_IS14_E10value_typeET4_jRbjT5_S1A_jjP12ihipStream_tbEUljE_EEESV_SW_SX_S14_S18_S1A_T6_T7_T9_mT8_S1C_bDpT10_ENKUlT_T0_E_clISt17integral_constantIbLb0EES1O_IbLb1EEEEDaS1K_S1L_EUlS1K_E_NS1_11comp_targetILNS1_3genE10ELNS1_11target_archE1200ELNS1_3gpuE4ELNS1_3repE0EEENS1_30default_config_static_selectorELNS0_4arch9wavefront6targetE0EEEvSY_.num_vgpr, 0
	.set _ZN7rocprim17ROCPRIM_400000_NS6detail17trampoline_kernelINS0_13select_configILj256ELj13ELNS0_17block_load_methodE3ELS4_3ELS4_3ELNS0_20block_scan_algorithmE0ELj4294967295EEENS1_25partition_config_selectorILNS1_17partition_subalgoE3EjNS0_10empty_typeEbEEZZNS1_14partition_implILS8_3ELb0ES6_jNS0_17counting_iteratorIjlEEPS9_SE_NS0_5tupleIJPjSE_EEENSF_IJSE_SE_EEES9_SG_JZNS1_25segmented_radix_sort_implINS0_14default_configELb0EPKhPhPKlPlN2at6native12_GLOBAL__N_18offset_tEEE10hipError_tPvRmT1_PNSt15iterator_traitsISY_E10value_typeET2_T3_PNSZ_IS14_E10value_typeET4_jRbjT5_S1A_jjP12ihipStream_tbEUljE_EEESV_SW_SX_S14_S18_S1A_T6_T7_T9_mT8_S1C_bDpT10_ENKUlT_T0_E_clISt17integral_constantIbLb0EES1O_IbLb1EEEEDaS1K_S1L_EUlS1K_E_NS1_11comp_targetILNS1_3genE10ELNS1_11target_archE1200ELNS1_3gpuE4ELNS1_3repE0EEENS1_30default_config_static_selectorELNS0_4arch9wavefront6targetE0EEEvSY_.num_agpr, 0
	.set _ZN7rocprim17ROCPRIM_400000_NS6detail17trampoline_kernelINS0_13select_configILj256ELj13ELNS0_17block_load_methodE3ELS4_3ELS4_3ELNS0_20block_scan_algorithmE0ELj4294967295EEENS1_25partition_config_selectorILNS1_17partition_subalgoE3EjNS0_10empty_typeEbEEZZNS1_14partition_implILS8_3ELb0ES6_jNS0_17counting_iteratorIjlEEPS9_SE_NS0_5tupleIJPjSE_EEENSF_IJSE_SE_EEES9_SG_JZNS1_25segmented_radix_sort_implINS0_14default_configELb0EPKhPhPKlPlN2at6native12_GLOBAL__N_18offset_tEEE10hipError_tPvRmT1_PNSt15iterator_traitsISY_E10value_typeET2_T3_PNSZ_IS14_E10value_typeET4_jRbjT5_S1A_jjP12ihipStream_tbEUljE_EEESV_SW_SX_S14_S18_S1A_T6_T7_T9_mT8_S1C_bDpT10_ENKUlT_T0_E_clISt17integral_constantIbLb0EES1O_IbLb1EEEEDaS1K_S1L_EUlS1K_E_NS1_11comp_targetILNS1_3genE10ELNS1_11target_archE1200ELNS1_3gpuE4ELNS1_3repE0EEENS1_30default_config_static_selectorELNS0_4arch9wavefront6targetE0EEEvSY_.numbered_sgpr, 0
	.set _ZN7rocprim17ROCPRIM_400000_NS6detail17trampoline_kernelINS0_13select_configILj256ELj13ELNS0_17block_load_methodE3ELS4_3ELS4_3ELNS0_20block_scan_algorithmE0ELj4294967295EEENS1_25partition_config_selectorILNS1_17partition_subalgoE3EjNS0_10empty_typeEbEEZZNS1_14partition_implILS8_3ELb0ES6_jNS0_17counting_iteratorIjlEEPS9_SE_NS0_5tupleIJPjSE_EEENSF_IJSE_SE_EEES9_SG_JZNS1_25segmented_radix_sort_implINS0_14default_configELb0EPKhPhPKlPlN2at6native12_GLOBAL__N_18offset_tEEE10hipError_tPvRmT1_PNSt15iterator_traitsISY_E10value_typeET2_T3_PNSZ_IS14_E10value_typeET4_jRbjT5_S1A_jjP12ihipStream_tbEUljE_EEESV_SW_SX_S14_S18_S1A_T6_T7_T9_mT8_S1C_bDpT10_ENKUlT_T0_E_clISt17integral_constantIbLb0EES1O_IbLb1EEEEDaS1K_S1L_EUlS1K_E_NS1_11comp_targetILNS1_3genE10ELNS1_11target_archE1200ELNS1_3gpuE4ELNS1_3repE0EEENS1_30default_config_static_selectorELNS0_4arch9wavefront6targetE0EEEvSY_.num_named_barrier, 0
	.set _ZN7rocprim17ROCPRIM_400000_NS6detail17trampoline_kernelINS0_13select_configILj256ELj13ELNS0_17block_load_methodE3ELS4_3ELS4_3ELNS0_20block_scan_algorithmE0ELj4294967295EEENS1_25partition_config_selectorILNS1_17partition_subalgoE3EjNS0_10empty_typeEbEEZZNS1_14partition_implILS8_3ELb0ES6_jNS0_17counting_iteratorIjlEEPS9_SE_NS0_5tupleIJPjSE_EEENSF_IJSE_SE_EEES9_SG_JZNS1_25segmented_radix_sort_implINS0_14default_configELb0EPKhPhPKlPlN2at6native12_GLOBAL__N_18offset_tEEE10hipError_tPvRmT1_PNSt15iterator_traitsISY_E10value_typeET2_T3_PNSZ_IS14_E10value_typeET4_jRbjT5_S1A_jjP12ihipStream_tbEUljE_EEESV_SW_SX_S14_S18_S1A_T6_T7_T9_mT8_S1C_bDpT10_ENKUlT_T0_E_clISt17integral_constantIbLb0EES1O_IbLb1EEEEDaS1K_S1L_EUlS1K_E_NS1_11comp_targetILNS1_3genE10ELNS1_11target_archE1200ELNS1_3gpuE4ELNS1_3repE0EEENS1_30default_config_static_selectorELNS0_4arch9wavefront6targetE0EEEvSY_.private_seg_size, 0
	.set _ZN7rocprim17ROCPRIM_400000_NS6detail17trampoline_kernelINS0_13select_configILj256ELj13ELNS0_17block_load_methodE3ELS4_3ELS4_3ELNS0_20block_scan_algorithmE0ELj4294967295EEENS1_25partition_config_selectorILNS1_17partition_subalgoE3EjNS0_10empty_typeEbEEZZNS1_14partition_implILS8_3ELb0ES6_jNS0_17counting_iteratorIjlEEPS9_SE_NS0_5tupleIJPjSE_EEENSF_IJSE_SE_EEES9_SG_JZNS1_25segmented_radix_sort_implINS0_14default_configELb0EPKhPhPKlPlN2at6native12_GLOBAL__N_18offset_tEEE10hipError_tPvRmT1_PNSt15iterator_traitsISY_E10value_typeET2_T3_PNSZ_IS14_E10value_typeET4_jRbjT5_S1A_jjP12ihipStream_tbEUljE_EEESV_SW_SX_S14_S18_S1A_T6_T7_T9_mT8_S1C_bDpT10_ENKUlT_T0_E_clISt17integral_constantIbLb0EES1O_IbLb1EEEEDaS1K_S1L_EUlS1K_E_NS1_11comp_targetILNS1_3genE10ELNS1_11target_archE1200ELNS1_3gpuE4ELNS1_3repE0EEENS1_30default_config_static_selectorELNS0_4arch9wavefront6targetE0EEEvSY_.uses_vcc, 0
	.set _ZN7rocprim17ROCPRIM_400000_NS6detail17trampoline_kernelINS0_13select_configILj256ELj13ELNS0_17block_load_methodE3ELS4_3ELS4_3ELNS0_20block_scan_algorithmE0ELj4294967295EEENS1_25partition_config_selectorILNS1_17partition_subalgoE3EjNS0_10empty_typeEbEEZZNS1_14partition_implILS8_3ELb0ES6_jNS0_17counting_iteratorIjlEEPS9_SE_NS0_5tupleIJPjSE_EEENSF_IJSE_SE_EEES9_SG_JZNS1_25segmented_radix_sort_implINS0_14default_configELb0EPKhPhPKlPlN2at6native12_GLOBAL__N_18offset_tEEE10hipError_tPvRmT1_PNSt15iterator_traitsISY_E10value_typeET2_T3_PNSZ_IS14_E10value_typeET4_jRbjT5_S1A_jjP12ihipStream_tbEUljE_EEESV_SW_SX_S14_S18_S1A_T6_T7_T9_mT8_S1C_bDpT10_ENKUlT_T0_E_clISt17integral_constantIbLb0EES1O_IbLb1EEEEDaS1K_S1L_EUlS1K_E_NS1_11comp_targetILNS1_3genE10ELNS1_11target_archE1200ELNS1_3gpuE4ELNS1_3repE0EEENS1_30default_config_static_selectorELNS0_4arch9wavefront6targetE0EEEvSY_.uses_flat_scratch, 0
	.set _ZN7rocprim17ROCPRIM_400000_NS6detail17trampoline_kernelINS0_13select_configILj256ELj13ELNS0_17block_load_methodE3ELS4_3ELS4_3ELNS0_20block_scan_algorithmE0ELj4294967295EEENS1_25partition_config_selectorILNS1_17partition_subalgoE3EjNS0_10empty_typeEbEEZZNS1_14partition_implILS8_3ELb0ES6_jNS0_17counting_iteratorIjlEEPS9_SE_NS0_5tupleIJPjSE_EEENSF_IJSE_SE_EEES9_SG_JZNS1_25segmented_radix_sort_implINS0_14default_configELb0EPKhPhPKlPlN2at6native12_GLOBAL__N_18offset_tEEE10hipError_tPvRmT1_PNSt15iterator_traitsISY_E10value_typeET2_T3_PNSZ_IS14_E10value_typeET4_jRbjT5_S1A_jjP12ihipStream_tbEUljE_EEESV_SW_SX_S14_S18_S1A_T6_T7_T9_mT8_S1C_bDpT10_ENKUlT_T0_E_clISt17integral_constantIbLb0EES1O_IbLb1EEEEDaS1K_S1L_EUlS1K_E_NS1_11comp_targetILNS1_3genE10ELNS1_11target_archE1200ELNS1_3gpuE4ELNS1_3repE0EEENS1_30default_config_static_selectorELNS0_4arch9wavefront6targetE0EEEvSY_.has_dyn_sized_stack, 0
	.set _ZN7rocprim17ROCPRIM_400000_NS6detail17trampoline_kernelINS0_13select_configILj256ELj13ELNS0_17block_load_methodE3ELS4_3ELS4_3ELNS0_20block_scan_algorithmE0ELj4294967295EEENS1_25partition_config_selectorILNS1_17partition_subalgoE3EjNS0_10empty_typeEbEEZZNS1_14partition_implILS8_3ELb0ES6_jNS0_17counting_iteratorIjlEEPS9_SE_NS0_5tupleIJPjSE_EEENSF_IJSE_SE_EEES9_SG_JZNS1_25segmented_radix_sort_implINS0_14default_configELb0EPKhPhPKlPlN2at6native12_GLOBAL__N_18offset_tEEE10hipError_tPvRmT1_PNSt15iterator_traitsISY_E10value_typeET2_T3_PNSZ_IS14_E10value_typeET4_jRbjT5_S1A_jjP12ihipStream_tbEUljE_EEESV_SW_SX_S14_S18_S1A_T6_T7_T9_mT8_S1C_bDpT10_ENKUlT_T0_E_clISt17integral_constantIbLb0EES1O_IbLb1EEEEDaS1K_S1L_EUlS1K_E_NS1_11comp_targetILNS1_3genE10ELNS1_11target_archE1200ELNS1_3gpuE4ELNS1_3repE0EEENS1_30default_config_static_selectorELNS0_4arch9wavefront6targetE0EEEvSY_.has_recursion, 0
	.set _ZN7rocprim17ROCPRIM_400000_NS6detail17trampoline_kernelINS0_13select_configILj256ELj13ELNS0_17block_load_methodE3ELS4_3ELS4_3ELNS0_20block_scan_algorithmE0ELj4294967295EEENS1_25partition_config_selectorILNS1_17partition_subalgoE3EjNS0_10empty_typeEbEEZZNS1_14partition_implILS8_3ELb0ES6_jNS0_17counting_iteratorIjlEEPS9_SE_NS0_5tupleIJPjSE_EEENSF_IJSE_SE_EEES9_SG_JZNS1_25segmented_radix_sort_implINS0_14default_configELb0EPKhPhPKlPlN2at6native12_GLOBAL__N_18offset_tEEE10hipError_tPvRmT1_PNSt15iterator_traitsISY_E10value_typeET2_T3_PNSZ_IS14_E10value_typeET4_jRbjT5_S1A_jjP12ihipStream_tbEUljE_EEESV_SW_SX_S14_S18_S1A_T6_T7_T9_mT8_S1C_bDpT10_ENKUlT_T0_E_clISt17integral_constantIbLb0EES1O_IbLb1EEEEDaS1K_S1L_EUlS1K_E_NS1_11comp_targetILNS1_3genE10ELNS1_11target_archE1200ELNS1_3gpuE4ELNS1_3repE0EEENS1_30default_config_static_selectorELNS0_4arch9wavefront6targetE0EEEvSY_.has_indirect_call, 0
	.section	.AMDGPU.csdata,"",@progbits
; Kernel info:
; codeLenInByte = 0
; TotalNumSgprs: 0
; NumVgprs: 0
; ScratchSize: 0
; MemoryBound: 0
; FloatMode: 240
; IeeeMode: 1
; LDSByteSize: 0 bytes/workgroup (compile time only)
; SGPRBlocks: 0
; VGPRBlocks: 0
; NumSGPRsForWavesPerEU: 1
; NumVGPRsForWavesPerEU: 1
; NamedBarCnt: 0
; Occupancy: 16
; WaveLimiterHint : 0
; COMPUTE_PGM_RSRC2:SCRATCH_EN: 0
; COMPUTE_PGM_RSRC2:USER_SGPR: 2
; COMPUTE_PGM_RSRC2:TRAP_HANDLER: 0
; COMPUTE_PGM_RSRC2:TGID_X_EN: 1
; COMPUTE_PGM_RSRC2:TGID_Y_EN: 0
; COMPUTE_PGM_RSRC2:TGID_Z_EN: 0
; COMPUTE_PGM_RSRC2:TIDIG_COMP_CNT: 0
	.section	.text._ZN7rocprim17ROCPRIM_400000_NS6detail17trampoline_kernelINS0_13select_configILj256ELj13ELNS0_17block_load_methodE3ELS4_3ELS4_3ELNS0_20block_scan_algorithmE0ELj4294967295EEENS1_25partition_config_selectorILNS1_17partition_subalgoE3EjNS0_10empty_typeEbEEZZNS1_14partition_implILS8_3ELb0ES6_jNS0_17counting_iteratorIjlEEPS9_SE_NS0_5tupleIJPjSE_EEENSF_IJSE_SE_EEES9_SG_JZNS1_25segmented_radix_sort_implINS0_14default_configELb0EPKhPhPKlPlN2at6native12_GLOBAL__N_18offset_tEEE10hipError_tPvRmT1_PNSt15iterator_traitsISY_E10value_typeET2_T3_PNSZ_IS14_E10value_typeET4_jRbjT5_S1A_jjP12ihipStream_tbEUljE_EEESV_SW_SX_S14_S18_S1A_T6_T7_T9_mT8_S1C_bDpT10_ENKUlT_T0_E_clISt17integral_constantIbLb0EES1O_IbLb1EEEEDaS1K_S1L_EUlS1K_E_NS1_11comp_targetILNS1_3genE9ELNS1_11target_archE1100ELNS1_3gpuE3ELNS1_3repE0EEENS1_30default_config_static_selectorELNS0_4arch9wavefront6targetE0EEEvSY_,"axG",@progbits,_ZN7rocprim17ROCPRIM_400000_NS6detail17trampoline_kernelINS0_13select_configILj256ELj13ELNS0_17block_load_methodE3ELS4_3ELS4_3ELNS0_20block_scan_algorithmE0ELj4294967295EEENS1_25partition_config_selectorILNS1_17partition_subalgoE3EjNS0_10empty_typeEbEEZZNS1_14partition_implILS8_3ELb0ES6_jNS0_17counting_iteratorIjlEEPS9_SE_NS0_5tupleIJPjSE_EEENSF_IJSE_SE_EEES9_SG_JZNS1_25segmented_radix_sort_implINS0_14default_configELb0EPKhPhPKlPlN2at6native12_GLOBAL__N_18offset_tEEE10hipError_tPvRmT1_PNSt15iterator_traitsISY_E10value_typeET2_T3_PNSZ_IS14_E10value_typeET4_jRbjT5_S1A_jjP12ihipStream_tbEUljE_EEESV_SW_SX_S14_S18_S1A_T6_T7_T9_mT8_S1C_bDpT10_ENKUlT_T0_E_clISt17integral_constantIbLb0EES1O_IbLb1EEEEDaS1K_S1L_EUlS1K_E_NS1_11comp_targetILNS1_3genE9ELNS1_11target_archE1100ELNS1_3gpuE3ELNS1_3repE0EEENS1_30default_config_static_selectorELNS0_4arch9wavefront6targetE0EEEvSY_,comdat
	.globl	_ZN7rocprim17ROCPRIM_400000_NS6detail17trampoline_kernelINS0_13select_configILj256ELj13ELNS0_17block_load_methodE3ELS4_3ELS4_3ELNS0_20block_scan_algorithmE0ELj4294967295EEENS1_25partition_config_selectorILNS1_17partition_subalgoE3EjNS0_10empty_typeEbEEZZNS1_14partition_implILS8_3ELb0ES6_jNS0_17counting_iteratorIjlEEPS9_SE_NS0_5tupleIJPjSE_EEENSF_IJSE_SE_EEES9_SG_JZNS1_25segmented_radix_sort_implINS0_14default_configELb0EPKhPhPKlPlN2at6native12_GLOBAL__N_18offset_tEEE10hipError_tPvRmT1_PNSt15iterator_traitsISY_E10value_typeET2_T3_PNSZ_IS14_E10value_typeET4_jRbjT5_S1A_jjP12ihipStream_tbEUljE_EEESV_SW_SX_S14_S18_S1A_T6_T7_T9_mT8_S1C_bDpT10_ENKUlT_T0_E_clISt17integral_constantIbLb0EES1O_IbLb1EEEEDaS1K_S1L_EUlS1K_E_NS1_11comp_targetILNS1_3genE9ELNS1_11target_archE1100ELNS1_3gpuE3ELNS1_3repE0EEENS1_30default_config_static_selectorELNS0_4arch9wavefront6targetE0EEEvSY_ ; -- Begin function _ZN7rocprim17ROCPRIM_400000_NS6detail17trampoline_kernelINS0_13select_configILj256ELj13ELNS0_17block_load_methodE3ELS4_3ELS4_3ELNS0_20block_scan_algorithmE0ELj4294967295EEENS1_25partition_config_selectorILNS1_17partition_subalgoE3EjNS0_10empty_typeEbEEZZNS1_14partition_implILS8_3ELb0ES6_jNS0_17counting_iteratorIjlEEPS9_SE_NS0_5tupleIJPjSE_EEENSF_IJSE_SE_EEES9_SG_JZNS1_25segmented_radix_sort_implINS0_14default_configELb0EPKhPhPKlPlN2at6native12_GLOBAL__N_18offset_tEEE10hipError_tPvRmT1_PNSt15iterator_traitsISY_E10value_typeET2_T3_PNSZ_IS14_E10value_typeET4_jRbjT5_S1A_jjP12ihipStream_tbEUljE_EEESV_SW_SX_S14_S18_S1A_T6_T7_T9_mT8_S1C_bDpT10_ENKUlT_T0_E_clISt17integral_constantIbLb0EES1O_IbLb1EEEEDaS1K_S1L_EUlS1K_E_NS1_11comp_targetILNS1_3genE9ELNS1_11target_archE1100ELNS1_3gpuE3ELNS1_3repE0EEENS1_30default_config_static_selectorELNS0_4arch9wavefront6targetE0EEEvSY_
	.p2align	8
	.type	_ZN7rocprim17ROCPRIM_400000_NS6detail17trampoline_kernelINS0_13select_configILj256ELj13ELNS0_17block_load_methodE3ELS4_3ELS4_3ELNS0_20block_scan_algorithmE0ELj4294967295EEENS1_25partition_config_selectorILNS1_17partition_subalgoE3EjNS0_10empty_typeEbEEZZNS1_14partition_implILS8_3ELb0ES6_jNS0_17counting_iteratorIjlEEPS9_SE_NS0_5tupleIJPjSE_EEENSF_IJSE_SE_EEES9_SG_JZNS1_25segmented_radix_sort_implINS0_14default_configELb0EPKhPhPKlPlN2at6native12_GLOBAL__N_18offset_tEEE10hipError_tPvRmT1_PNSt15iterator_traitsISY_E10value_typeET2_T3_PNSZ_IS14_E10value_typeET4_jRbjT5_S1A_jjP12ihipStream_tbEUljE_EEESV_SW_SX_S14_S18_S1A_T6_T7_T9_mT8_S1C_bDpT10_ENKUlT_T0_E_clISt17integral_constantIbLb0EES1O_IbLb1EEEEDaS1K_S1L_EUlS1K_E_NS1_11comp_targetILNS1_3genE9ELNS1_11target_archE1100ELNS1_3gpuE3ELNS1_3repE0EEENS1_30default_config_static_selectorELNS0_4arch9wavefront6targetE0EEEvSY_,@function
_ZN7rocprim17ROCPRIM_400000_NS6detail17trampoline_kernelINS0_13select_configILj256ELj13ELNS0_17block_load_methodE3ELS4_3ELS4_3ELNS0_20block_scan_algorithmE0ELj4294967295EEENS1_25partition_config_selectorILNS1_17partition_subalgoE3EjNS0_10empty_typeEbEEZZNS1_14partition_implILS8_3ELb0ES6_jNS0_17counting_iteratorIjlEEPS9_SE_NS0_5tupleIJPjSE_EEENSF_IJSE_SE_EEES9_SG_JZNS1_25segmented_radix_sort_implINS0_14default_configELb0EPKhPhPKlPlN2at6native12_GLOBAL__N_18offset_tEEE10hipError_tPvRmT1_PNSt15iterator_traitsISY_E10value_typeET2_T3_PNSZ_IS14_E10value_typeET4_jRbjT5_S1A_jjP12ihipStream_tbEUljE_EEESV_SW_SX_S14_S18_S1A_T6_T7_T9_mT8_S1C_bDpT10_ENKUlT_T0_E_clISt17integral_constantIbLb0EES1O_IbLb1EEEEDaS1K_S1L_EUlS1K_E_NS1_11comp_targetILNS1_3genE9ELNS1_11target_archE1100ELNS1_3gpuE3ELNS1_3repE0EEENS1_30default_config_static_selectorELNS0_4arch9wavefront6targetE0EEEvSY_: ; @_ZN7rocprim17ROCPRIM_400000_NS6detail17trampoline_kernelINS0_13select_configILj256ELj13ELNS0_17block_load_methodE3ELS4_3ELS4_3ELNS0_20block_scan_algorithmE0ELj4294967295EEENS1_25partition_config_selectorILNS1_17partition_subalgoE3EjNS0_10empty_typeEbEEZZNS1_14partition_implILS8_3ELb0ES6_jNS0_17counting_iteratorIjlEEPS9_SE_NS0_5tupleIJPjSE_EEENSF_IJSE_SE_EEES9_SG_JZNS1_25segmented_radix_sort_implINS0_14default_configELb0EPKhPhPKlPlN2at6native12_GLOBAL__N_18offset_tEEE10hipError_tPvRmT1_PNSt15iterator_traitsISY_E10value_typeET2_T3_PNSZ_IS14_E10value_typeET4_jRbjT5_S1A_jjP12ihipStream_tbEUljE_EEESV_SW_SX_S14_S18_S1A_T6_T7_T9_mT8_S1C_bDpT10_ENKUlT_T0_E_clISt17integral_constantIbLb0EES1O_IbLb1EEEEDaS1K_S1L_EUlS1K_E_NS1_11comp_targetILNS1_3genE9ELNS1_11target_archE1100ELNS1_3gpuE3ELNS1_3repE0EEENS1_30default_config_static_selectorELNS0_4arch9wavefront6targetE0EEEvSY_
; %bb.0:
	.section	.rodata,"a",@progbits
	.p2align	6, 0x0
	.amdhsa_kernel _ZN7rocprim17ROCPRIM_400000_NS6detail17trampoline_kernelINS0_13select_configILj256ELj13ELNS0_17block_load_methodE3ELS4_3ELS4_3ELNS0_20block_scan_algorithmE0ELj4294967295EEENS1_25partition_config_selectorILNS1_17partition_subalgoE3EjNS0_10empty_typeEbEEZZNS1_14partition_implILS8_3ELb0ES6_jNS0_17counting_iteratorIjlEEPS9_SE_NS0_5tupleIJPjSE_EEENSF_IJSE_SE_EEES9_SG_JZNS1_25segmented_radix_sort_implINS0_14default_configELb0EPKhPhPKlPlN2at6native12_GLOBAL__N_18offset_tEEE10hipError_tPvRmT1_PNSt15iterator_traitsISY_E10value_typeET2_T3_PNSZ_IS14_E10value_typeET4_jRbjT5_S1A_jjP12ihipStream_tbEUljE_EEESV_SW_SX_S14_S18_S1A_T6_T7_T9_mT8_S1C_bDpT10_ENKUlT_T0_E_clISt17integral_constantIbLb0EES1O_IbLb1EEEEDaS1K_S1L_EUlS1K_E_NS1_11comp_targetILNS1_3genE9ELNS1_11target_archE1100ELNS1_3gpuE3ELNS1_3repE0EEENS1_30default_config_static_selectorELNS0_4arch9wavefront6targetE0EEEvSY_
		.amdhsa_group_segment_fixed_size 0
		.amdhsa_private_segment_fixed_size 0
		.amdhsa_kernarg_size 152
		.amdhsa_user_sgpr_count 2
		.amdhsa_user_sgpr_dispatch_ptr 0
		.amdhsa_user_sgpr_queue_ptr 0
		.amdhsa_user_sgpr_kernarg_segment_ptr 1
		.amdhsa_user_sgpr_dispatch_id 0
		.amdhsa_user_sgpr_kernarg_preload_length 0
		.amdhsa_user_sgpr_kernarg_preload_offset 0
		.amdhsa_user_sgpr_private_segment_size 0
		.amdhsa_wavefront_size32 1
		.amdhsa_uses_dynamic_stack 0
		.amdhsa_enable_private_segment 0
		.amdhsa_system_sgpr_workgroup_id_x 1
		.amdhsa_system_sgpr_workgroup_id_y 0
		.amdhsa_system_sgpr_workgroup_id_z 0
		.amdhsa_system_sgpr_workgroup_info 0
		.amdhsa_system_vgpr_workitem_id 0
		.amdhsa_next_free_vgpr 1
		.amdhsa_next_free_sgpr 1
		.amdhsa_named_barrier_count 0
		.amdhsa_reserve_vcc 0
		.amdhsa_float_round_mode_32 0
		.amdhsa_float_round_mode_16_64 0
		.amdhsa_float_denorm_mode_32 3
		.amdhsa_float_denorm_mode_16_64 3
		.amdhsa_fp16_overflow 0
		.amdhsa_memory_ordered 1
		.amdhsa_forward_progress 1
		.amdhsa_inst_pref_size 0
		.amdhsa_round_robin_scheduling 0
		.amdhsa_exception_fp_ieee_invalid_op 0
		.amdhsa_exception_fp_denorm_src 0
		.amdhsa_exception_fp_ieee_div_zero 0
		.amdhsa_exception_fp_ieee_overflow 0
		.amdhsa_exception_fp_ieee_underflow 0
		.amdhsa_exception_fp_ieee_inexact 0
		.amdhsa_exception_int_div_zero 0
	.end_amdhsa_kernel
	.section	.text._ZN7rocprim17ROCPRIM_400000_NS6detail17trampoline_kernelINS0_13select_configILj256ELj13ELNS0_17block_load_methodE3ELS4_3ELS4_3ELNS0_20block_scan_algorithmE0ELj4294967295EEENS1_25partition_config_selectorILNS1_17partition_subalgoE3EjNS0_10empty_typeEbEEZZNS1_14partition_implILS8_3ELb0ES6_jNS0_17counting_iteratorIjlEEPS9_SE_NS0_5tupleIJPjSE_EEENSF_IJSE_SE_EEES9_SG_JZNS1_25segmented_radix_sort_implINS0_14default_configELb0EPKhPhPKlPlN2at6native12_GLOBAL__N_18offset_tEEE10hipError_tPvRmT1_PNSt15iterator_traitsISY_E10value_typeET2_T3_PNSZ_IS14_E10value_typeET4_jRbjT5_S1A_jjP12ihipStream_tbEUljE_EEESV_SW_SX_S14_S18_S1A_T6_T7_T9_mT8_S1C_bDpT10_ENKUlT_T0_E_clISt17integral_constantIbLb0EES1O_IbLb1EEEEDaS1K_S1L_EUlS1K_E_NS1_11comp_targetILNS1_3genE9ELNS1_11target_archE1100ELNS1_3gpuE3ELNS1_3repE0EEENS1_30default_config_static_selectorELNS0_4arch9wavefront6targetE0EEEvSY_,"axG",@progbits,_ZN7rocprim17ROCPRIM_400000_NS6detail17trampoline_kernelINS0_13select_configILj256ELj13ELNS0_17block_load_methodE3ELS4_3ELS4_3ELNS0_20block_scan_algorithmE0ELj4294967295EEENS1_25partition_config_selectorILNS1_17partition_subalgoE3EjNS0_10empty_typeEbEEZZNS1_14partition_implILS8_3ELb0ES6_jNS0_17counting_iteratorIjlEEPS9_SE_NS0_5tupleIJPjSE_EEENSF_IJSE_SE_EEES9_SG_JZNS1_25segmented_radix_sort_implINS0_14default_configELb0EPKhPhPKlPlN2at6native12_GLOBAL__N_18offset_tEEE10hipError_tPvRmT1_PNSt15iterator_traitsISY_E10value_typeET2_T3_PNSZ_IS14_E10value_typeET4_jRbjT5_S1A_jjP12ihipStream_tbEUljE_EEESV_SW_SX_S14_S18_S1A_T6_T7_T9_mT8_S1C_bDpT10_ENKUlT_T0_E_clISt17integral_constantIbLb0EES1O_IbLb1EEEEDaS1K_S1L_EUlS1K_E_NS1_11comp_targetILNS1_3genE9ELNS1_11target_archE1100ELNS1_3gpuE3ELNS1_3repE0EEENS1_30default_config_static_selectorELNS0_4arch9wavefront6targetE0EEEvSY_,comdat
.Lfunc_end183:
	.size	_ZN7rocprim17ROCPRIM_400000_NS6detail17trampoline_kernelINS0_13select_configILj256ELj13ELNS0_17block_load_methodE3ELS4_3ELS4_3ELNS0_20block_scan_algorithmE0ELj4294967295EEENS1_25partition_config_selectorILNS1_17partition_subalgoE3EjNS0_10empty_typeEbEEZZNS1_14partition_implILS8_3ELb0ES6_jNS0_17counting_iteratorIjlEEPS9_SE_NS0_5tupleIJPjSE_EEENSF_IJSE_SE_EEES9_SG_JZNS1_25segmented_radix_sort_implINS0_14default_configELb0EPKhPhPKlPlN2at6native12_GLOBAL__N_18offset_tEEE10hipError_tPvRmT1_PNSt15iterator_traitsISY_E10value_typeET2_T3_PNSZ_IS14_E10value_typeET4_jRbjT5_S1A_jjP12ihipStream_tbEUljE_EEESV_SW_SX_S14_S18_S1A_T6_T7_T9_mT8_S1C_bDpT10_ENKUlT_T0_E_clISt17integral_constantIbLb0EES1O_IbLb1EEEEDaS1K_S1L_EUlS1K_E_NS1_11comp_targetILNS1_3genE9ELNS1_11target_archE1100ELNS1_3gpuE3ELNS1_3repE0EEENS1_30default_config_static_selectorELNS0_4arch9wavefront6targetE0EEEvSY_, .Lfunc_end183-_ZN7rocprim17ROCPRIM_400000_NS6detail17trampoline_kernelINS0_13select_configILj256ELj13ELNS0_17block_load_methodE3ELS4_3ELS4_3ELNS0_20block_scan_algorithmE0ELj4294967295EEENS1_25partition_config_selectorILNS1_17partition_subalgoE3EjNS0_10empty_typeEbEEZZNS1_14partition_implILS8_3ELb0ES6_jNS0_17counting_iteratorIjlEEPS9_SE_NS0_5tupleIJPjSE_EEENSF_IJSE_SE_EEES9_SG_JZNS1_25segmented_radix_sort_implINS0_14default_configELb0EPKhPhPKlPlN2at6native12_GLOBAL__N_18offset_tEEE10hipError_tPvRmT1_PNSt15iterator_traitsISY_E10value_typeET2_T3_PNSZ_IS14_E10value_typeET4_jRbjT5_S1A_jjP12ihipStream_tbEUljE_EEESV_SW_SX_S14_S18_S1A_T6_T7_T9_mT8_S1C_bDpT10_ENKUlT_T0_E_clISt17integral_constantIbLb0EES1O_IbLb1EEEEDaS1K_S1L_EUlS1K_E_NS1_11comp_targetILNS1_3genE9ELNS1_11target_archE1100ELNS1_3gpuE3ELNS1_3repE0EEENS1_30default_config_static_selectorELNS0_4arch9wavefront6targetE0EEEvSY_
                                        ; -- End function
	.set _ZN7rocprim17ROCPRIM_400000_NS6detail17trampoline_kernelINS0_13select_configILj256ELj13ELNS0_17block_load_methodE3ELS4_3ELS4_3ELNS0_20block_scan_algorithmE0ELj4294967295EEENS1_25partition_config_selectorILNS1_17partition_subalgoE3EjNS0_10empty_typeEbEEZZNS1_14partition_implILS8_3ELb0ES6_jNS0_17counting_iteratorIjlEEPS9_SE_NS0_5tupleIJPjSE_EEENSF_IJSE_SE_EEES9_SG_JZNS1_25segmented_radix_sort_implINS0_14default_configELb0EPKhPhPKlPlN2at6native12_GLOBAL__N_18offset_tEEE10hipError_tPvRmT1_PNSt15iterator_traitsISY_E10value_typeET2_T3_PNSZ_IS14_E10value_typeET4_jRbjT5_S1A_jjP12ihipStream_tbEUljE_EEESV_SW_SX_S14_S18_S1A_T6_T7_T9_mT8_S1C_bDpT10_ENKUlT_T0_E_clISt17integral_constantIbLb0EES1O_IbLb1EEEEDaS1K_S1L_EUlS1K_E_NS1_11comp_targetILNS1_3genE9ELNS1_11target_archE1100ELNS1_3gpuE3ELNS1_3repE0EEENS1_30default_config_static_selectorELNS0_4arch9wavefront6targetE0EEEvSY_.num_vgpr, 0
	.set _ZN7rocprim17ROCPRIM_400000_NS6detail17trampoline_kernelINS0_13select_configILj256ELj13ELNS0_17block_load_methodE3ELS4_3ELS4_3ELNS0_20block_scan_algorithmE0ELj4294967295EEENS1_25partition_config_selectorILNS1_17partition_subalgoE3EjNS0_10empty_typeEbEEZZNS1_14partition_implILS8_3ELb0ES6_jNS0_17counting_iteratorIjlEEPS9_SE_NS0_5tupleIJPjSE_EEENSF_IJSE_SE_EEES9_SG_JZNS1_25segmented_radix_sort_implINS0_14default_configELb0EPKhPhPKlPlN2at6native12_GLOBAL__N_18offset_tEEE10hipError_tPvRmT1_PNSt15iterator_traitsISY_E10value_typeET2_T3_PNSZ_IS14_E10value_typeET4_jRbjT5_S1A_jjP12ihipStream_tbEUljE_EEESV_SW_SX_S14_S18_S1A_T6_T7_T9_mT8_S1C_bDpT10_ENKUlT_T0_E_clISt17integral_constantIbLb0EES1O_IbLb1EEEEDaS1K_S1L_EUlS1K_E_NS1_11comp_targetILNS1_3genE9ELNS1_11target_archE1100ELNS1_3gpuE3ELNS1_3repE0EEENS1_30default_config_static_selectorELNS0_4arch9wavefront6targetE0EEEvSY_.num_agpr, 0
	.set _ZN7rocprim17ROCPRIM_400000_NS6detail17trampoline_kernelINS0_13select_configILj256ELj13ELNS0_17block_load_methodE3ELS4_3ELS4_3ELNS0_20block_scan_algorithmE0ELj4294967295EEENS1_25partition_config_selectorILNS1_17partition_subalgoE3EjNS0_10empty_typeEbEEZZNS1_14partition_implILS8_3ELb0ES6_jNS0_17counting_iteratorIjlEEPS9_SE_NS0_5tupleIJPjSE_EEENSF_IJSE_SE_EEES9_SG_JZNS1_25segmented_radix_sort_implINS0_14default_configELb0EPKhPhPKlPlN2at6native12_GLOBAL__N_18offset_tEEE10hipError_tPvRmT1_PNSt15iterator_traitsISY_E10value_typeET2_T3_PNSZ_IS14_E10value_typeET4_jRbjT5_S1A_jjP12ihipStream_tbEUljE_EEESV_SW_SX_S14_S18_S1A_T6_T7_T9_mT8_S1C_bDpT10_ENKUlT_T0_E_clISt17integral_constantIbLb0EES1O_IbLb1EEEEDaS1K_S1L_EUlS1K_E_NS1_11comp_targetILNS1_3genE9ELNS1_11target_archE1100ELNS1_3gpuE3ELNS1_3repE0EEENS1_30default_config_static_selectorELNS0_4arch9wavefront6targetE0EEEvSY_.numbered_sgpr, 0
	.set _ZN7rocprim17ROCPRIM_400000_NS6detail17trampoline_kernelINS0_13select_configILj256ELj13ELNS0_17block_load_methodE3ELS4_3ELS4_3ELNS0_20block_scan_algorithmE0ELj4294967295EEENS1_25partition_config_selectorILNS1_17partition_subalgoE3EjNS0_10empty_typeEbEEZZNS1_14partition_implILS8_3ELb0ES6_jNS0_17counting_iteratorIjlEEPS9_SE_NS0_5tupleIJPjSE_EEENSF_IJSE_SE_EEES9_SG_JZNS1_25segmented_radix_sort_implINS0_14default_configELb0EPKhPhPKlPlN2at6native12_GLOBAL__N_18offset_tEEE10hipError_tPvRmT1_PNSt15iterator_traitsISY_E10value_typeET2_T3_PNSZ_IS14_E10value_typeET4_jRbjT5_S1A_jjP12ihipStream_tbEUljE_EEESV_SW_SX_S14_S18_S1A_T6_T7_T9_mT8_S1C_bDpT10_ENKUlT_T0_E_clISt17integral_constantIbLb0EES1O_IbLb1EEEEDaS1K_S1L_EUlS1K_E_NS1_11comp_targetILNS1_3genE9ELNS1_11target_archE1100ELNS1_3gpuE3ELNS1_3repE0EEENS1_30default_config_static_selectorELNS0_4arch9wavefront6targetE0EEEvSY_.num_named_barrier, 0
	.set _ZN7rocprim17ROCPRIM_400000_NS6detail17trampoline_kernelINS0_13select_configILj256ELj13ELNS0_17block_load_methodE3ELS4_3ELS4_3ELNS0_20block_scan_algorithmE0ELj4294967295EEENS1_25partition_config_selectorILNS1_17partition_subalgoE3EjNS0_10empty_typeEbEEZZNS1_14partition_implILS8_3ELb0ES6_jNS0_17counting_iteratorIjlEEPS9_SE_NS0_5tupleIJPjSE_EEENSF_IJSE_SE_EEES9_SG_JZNS1_25segmented_radix_sort_implINS0_14default_configELb0EPKhPhPKlPlN2at6native12_GLOBAL__N_18offset_tEEE10hipError_tPvRmT1_PNSt15iterator_traitsISY_E10value_typeET2_T3_PNSZ_IS14_E10value_typeET4_jRbjT5_S1A_jjP12ihipStream_tbEUljE_EEESV_SW_SX_S14_S18_S1A_T6_T7_T9_mT8_S1C_bDpT10_ENKUlT_T0_E_clISt17integral_constantIbLb0EES1O_IbLb1EEEEDaS1K_S1L_EUlS1K_E_NS1_11comp_targetILNS1_3genE9ELNS1_11target_archE1100ELNS1_3gpuE3ELNS1_3repE0EEENS1_30default_config_static_selectorELNS0_4arch9wavefront6targetE0EEEvSY_.private_seg_size, 0
	.set _ZN7rocprim17ROCPRIM_400000_NS6detail17trampoline_kernelINS0_13select_configILj256ELj13ELNS0_17block_load_methodE3ELS4_3ELS4_3ELNS0_20block_scan_algorithmE0ELj4294967295EEENS1_25partition_config_selectorILNS1_17partition_subalgoE3EjNS0_10empty_typeEbEEZZNS1_14partition_implILS8_3ELb0ES6_jNS0_17counting_iteratorIjlEEPS9_SE_NS0_5tupleIJPjSE_EEENSF_IJSE_SE_EEES9_SG_JZNS1_25segmented_radix_sort_implINS0_14default_configELb0EPKhPhPKlPlN2at6native12_GLOBAL__N_18offset_tEEE10hipError_tPvRmT1_PNSt15iterator_traitsISY_E10value_typeET2_T3_PNSZ_IS14_E10value_typeET4_jRbjT5_S1A_jjP12ihipStream_tbEUljE_EEESV_SW_SX_S14_S18_S1A_T6_T7_T9_mT8_S1C_bDpT10_ENKUlT_T0_E_clISt17integral_constantIbLb0EES1O_IbLb1EEEEDaS1K_S1L_EUlS1K_E_NS1_11comp_targetILNS1_3genE9ELNS1_11target_archE1100ELNS1_3gpuE3ELNS1_3repE0EEENS1_30default_config_static_selectorELNS0_4arch9wavefront6targetE0EEEvSY_.uses_vcc, 0
	.set _ZN7rocprim17ROCPRIM_400000_NS6detail17trampoline_kernelINS0_13select_configILj256ELj13ELNS0_17block_load_methodE3ELS4_3ELS4_3ELNS0_20block_scan_algorithmE0ELj4294967295EEENS1_25partition_config_selectorILNS1_17partition_subalgoE3EjNS0_10empty_typeEbEEZZNS1_14partition_implILS8_3ELb0ES6_jNS0_17counting_iteratorIjlEEPS9_SE_NS0_5tupleIJPjSE_EEENSF_IJSE_SE_EEES9_SG_JZNS1_25segmented_radix_sort_implINS0_14default_configELb0EPKhPhPKlPlN2at6native12_GLOBAL__N_18offset_tEEE10hipError_tPvRmT1_PNSt15iterator_traitsISY_E10value_typeET2_T3_PNSZ_IS14_E10value_typeET4_jRbjT5_S1A_jjP12ihipStream_tbEUljE_EEESV_SW_SX_S14_S18_S1A_T6_T7_T9_mT8_S1C_bDpT10_ENKUlT_T0_E_clISt17integral_constantIbLb0EES1O_IbLb1EEEEDaS1K_S1L_EUlS1K_E_NS1_11comp_targetILNS1_3genE9ELNS1_11target_archE1100ELNS1_3gpuE3ELNS1_3repE0EEENS1_30default_config_static_selectorELNS0_4arch9wavefront6targetE0EEEvSY_.uses_flat_scratch, 0
	.set _ZN7rocprim17ROCPRIM_400000_NS6detail17trampoline_kernelINS0_13select_configILj256ELj13ELNS0_17block_load_methodE3ELS4_3ELS4_3ELNS0_20block_scan_algorithmE0ELj4294967295EEENS1_25partition_config_selectorILNS1_17partition_subalgoE3EjNS0_10empty_typeEbEEZZNS1_14partition_implILS8_3ELb0ES6_jNS0_17counting_iteratorIjlEEPS9_SE_NS0_5tupleIJPjSE_EEENSF_IJSE_SE_EEES9_SG_JZNS1_25segmented_radix_sort_implINS0_14default_configELb0EPKhPhPKlPlN2at6native12_GLOBAL__N_18offset_tEEE10hipError_tPvRmT1_PNSt15iterator_traitsISY_E10value_typeET2_T3_PNSZ_IS14_E10value_typeET4_jRbjT5_S1A_jjP12ihipStream_tbEUljE_EEESV_SW_SX_S14_S18_S1A_T6_T7_T9_mT8_S1C_bDpT10_ENKUlT_T0_E_clISt17integral_constantIbLb0EES1O_IbLb1EEEEDaS1K_S1L_EUlS1K_E_NS1_11comp_targetILNS1_3genE9ELNS1_11target_archE1100ELNS1_3gpuE3ELNS1_3repE0EEENS1_30default_config_static_selectorELNS0_4arch9wavefront6targetE0EEEvSY_.has_dyn_sized_stack, 0
	.set _ZN7rocprim17ROCPRIM_400000_NS6detail17trampoline_kernelINS0_13select_configILj256ELj13ELNS0_17block_load_methodE3ELS4_3ELS4_3ELNS0_20block_scan_algorithmE0ELj4294967295EEENS1_25partition_config_selectorILNS1_17partition_subalgoE3EjNS0_10empty_typeEbEEZZNS1_14partition_implILS8_3ELb0ES6_jNS0_17counting_iteratorIjlEEPS9_SE_NS0_5tupleIJPjSE_EEENSF_IJSE_SE_EEES9_SG_JZNS1_25segmented_radix_sort_implINS0_14default_configELb0EPKhPhPKlPlN2at6native12_GLOBAL__N_18offset_tEEE10hipError_tPvRmT1_PNSt15iterator_traitsISY_E10value_typeET2_T3_PNSZ_IS14_E10value_typeET4_jRbjT5_S1A_jjP12ihipStream_tbEUljE_EEESV_SW_SX_S14_S18_S1A_T6_T7_T9_mT8_S1C_bDpT10_ENKUlT_T0_E_clISt17integral_constantIbLb0EES1O_IbLb1EEEEDaS1K_S1L_EUlS1K_E_NS1_11comp_targetILNS1_3genE9ELNS1_11target_archE1100ELNS1_3gpuE3ELNS1_3repE0EEENS1_30default_config_static_selectorELNS0_4arch9wavefront6targetE0EEEvSY_.has_recursion, 0
	.set _ZN7rocprim17ROCPRIM_400000_NS6detail17trampoline_kernelINS0_13select_configILj256ELj13ELNS0_17block_load_methodE3ELS4_3ELS4_3ELNS0_20block_scan_algorithmE0ELj4294967295EEENS1_25partition_config_selectorILNS1_17partition_subalgoE3EjNS0_10empty_typeEbEEZZNS1_14partition_implILS8_3ELb0ES6_jNS0_17counting_iteratorIjlEEPS9_SE_NS0_5tupleIJPjSE_EEENSF_IJSE_SE_EEES9_SG_JZNS1_25segmented_radix_sort_implINS0_14default_configELb0EPKhPhPKlPlN2at6native12_GLOBAL__N_18offset_tEEE10hipError_tPvRmT1_PNSt15iterator_traitsISY_E10value_typeET2_T3_PNSZ_IS14_E10value_typeET4_jRbjT5_S1A_jjP12ihipStream_tbEUljE_EEESV_SW_SX_S14_S18_S1A_T6_T7_T9_mT8_S1C_bDpT10_ENKUlT_T0_E_clISt17integral_constantIbLb0EES1O_IbLb1EEEEDaS1K_S1L_EUlS1K_E_NS1_11comp_targetILNS1_3genE9ELNS1_11target_archE1100ELNS1_3gpuE3ELNS1_3repE0EEENS1_30default_config_static_selectorELNS0_4arch9wavefront6targetE0EEEvSY_.has_indirect_call, 0
	.section	.AMDGPU.csdata,"",@progbits
; Kernel info:
; codeLenInByte = 0
; TotalNumSgprs: 0
; NumVgprs: 0
; ScratchSize: 0
; MemoryBound: 0
; FloatMode: 240
; IeeeMode: 1
; LDSByteSize: 0 bytes/workgroup (compile time only)
; SGPRBlocks: 0
; VGPRBlocks: 0
; NumSGPRsForWavesPerEU: 1
; NumVGPRsForWavesPerEU: 1
; NamedBarCnt: 0
; Occupancy: 16
; WaveLimiterHint : 0
; COMPUTE_PGM_RSRC2:SCRATCH_EN: 0
; COMPUTE_PGM_RSRC2:USER_SGPR: 2
; COMPUTE_PGM_RSRC2:TRAP_HANDLER: 0
; COMPUTE_PGM_RSRC2:TGID_X_EN: 1
; COMPUTE_PGM_RSRC2:TGID_Y_EN: 0
; COMPUTE_PGM_RSRC2:TGID_Z_EN: 0
; COMPUTE_PGM_RSRC2:TIDIG_COMP_CNT: 0
	.section	.text._ZN7rocprim17ROCPRIM_400000_NS6detail17trampoline_kernelINS0_13select_configILj256ELj13ELNS0_17block_load_methodE3ELS4_3ELS4_3ELNS0_20block_scan_algorithmE0ELj4294967295EEENS1_25partition_config_selectorILNS1_17partition_subalgoE3EjNS0_10empty_typeEbEEZZNS1_14partition_implILS8_3ELb0ES6_jNS0_17counting_iteratorIjlEEPS9_SE_NS0_5tupleIJPjSE_EEENSF_IJSE_SE_EEES9_SG_JZNS1_25segmented_radix_sort_implINS0_14default_configELb0EPKhPhPKlPlN2at6native12_GLOBAL__N_18offset_tEEE10hipError_tPvRmT1_PNSt15iterator_traitsISY_E10value_typeET2_T3_PNSZ_IS14_E10value_typeET4_jRbjT5_S1A_jjP12ihipStream_tbEUljE_EEESV_SW_SX_S14_S18_S1A_T6_T7_T9_mT8_S1C_bDpT10_ENKUlT_T0_E_clISt17integral_constantIbLb0EES1O_IbLb1EEEEDaS1K_S1L_EUlS1K_E_NS1_11comp_targetILNS1_3genE8ELNS1_11target_archE1030ELNS1_3gpuE2ELNS1_3repE0EEENS1_30default_config_static_selectorELNS0_4arch9wavefront6targetE0EEEvSY_,"axG",@progbits,_ZN7rocprim17ROCPRIM_400000_NS6detail17trampoline_kernelINS0_13select_configILj256ELj13ELNS0_17block_load_methodE3ELS4_3ELS4_3ELNS0_20block_scan_algorithmE0ELj4294967295EEENS1_25partition_config_selectorILNS1_17partition_subalgoE3EjNS0_10empty_typeEbEEZZNS1_14partition_implILS8_3ELb0ES6_jNS0_17counting_iteratorIjlEEPS9_SE_NS0_5tupleIJPjSE_EEENSF_IJSE_SE_EEES9_SG_JZNS1_25segmented_radix_sort_implINS0_14default_configELb0EPKhPhPKlPlN2at6native12_GLOBAL__N_18offset_tEEE10hipError_tPvRmT1_PNSt15iterator_traitsISY_E10value_typeET2_T3_PNSZ_IS14_E10value_typeET4_jRbjT5_S1A_jjP12ihipStream_tbEUljE_EEESV_SW_SX_S14_S18_S1A_T6_T7_T9_mT8_S1C_bDpT10_ENKUlT_T0_E_clISt17integral_constantIbLb0EES1O_IbLb1EEEEDaS1K_S1L_EUlS1K_E_NS1_11comp_targetILNS1_3genE8ELNS1_11target_archE1030ELNS1_3gpuE2ELNS1_3repE0EEENS1_30default_config_static_selectorELNS0_4arch9wavefront6targetE0EEEvSY_,comdat
	.globl	_ZN7rocprim17ROCPRIM_400000_NS6detail17trampoline_kernelINS0_13select_configILj256ELj13ELNS0_17block_load_methodE3ELS4_3ELS4_3ELNS0_20block_scan_algorithmE0ELj4294967295EEENS1_25partition_config_selectorILNS1_17partition_subalgoE3EjNS0_10empty_typeEbEEZZNS1_14partition_implILS8_3ELb0ES6_jNS0_17counting_iteratorIjlEEPS9_SE_NS0_5tupleIJPjSE_EEENSF_IJSE_SE_EEES9_SG_JZNS1_25segmented_radix_sort_implINS0_14default_configELb0EPKhPhPKlPlN2at6native12_GLOBAL__N_18offset_tEEE10hipError_tPvRmT1_PNSt15iterator_traitsISY_E10value_typeET2_T3_PNSZ_IS14_E10value_typeET4_jRbjT5_S1A_jjP12ihipStream_tbEUljE_EEESV_SW_SX_S14_S18_S1A_T6_T7_T9_mT8_S1C_bDpT10_ENKUlT_T0_E_clISt17integral_constantIbLb0EES1O_IbLb1EEEEDaS1K_S1L_EUlS1K_E_NS1_11comp_targetILNS1_3genE8ELNS1_11target_archE1030ELNS1_3gpuE2ELNS1_3repE0EEENS1_30default_config_static_selectorELNS0_4arch9wavefront6targetE0EEEvSY_ ; -- Begin function _ZN7rocprim17ROCPRIM_400000_NS6detail17trampoline_kernelINS0_13select_configILj256ELj13ELNS0_17block_load_methodE3ELS4_3ELS4_3ELNS0_20block_scan_algorithmE0ELj4294967295EEENS1_25partition_config_selectorILNS1_17partition_subalgoE3EjNS0_10empty_typeEbEEZZNS1_14partition_implILS8_3ELb0ES6_jNS0_17counting_iteratorIjlEEPS9_SE_NS0_5tupleIJPjSE_EEENSF_IJSE_SE_EEES9_SG_JZNS1_25segmented_radix_sort_implINS0_14default_configELb0EPKhPhPKlPlN2at6native12_GLOBAL__N_18offset_tEEE10hipError_tPvRmT1_PNSt15iterator_traitsISY_E10value_typeET2_T3_PNSZ_IS14_E10value_typeET4_jRbjT5_S1A_jjP12ihipStream_tbEUljE_EEESV_SW_SX_S14_S18_S1A_T6_T7_T9_mT8_S1C_bDpT10_ENKUlT_T0_E_clISt17integral_constantIbLb0EES1O_IbLb1EEEEDaS1K_S1L_EUlS1K_E_NS1_11comp_targetILNS1_3genE8ELNS1_11target_archE1030ELNS1_3gpuE2ELNS1_3repE0EEENS1_30default_config_static_selectorELNS0_4arch9wavefront6targetE0EEEvSY_
	.p2align	8
	.type	_ZN7rocprim17ROCPRIM_400000_NS6detail17trampoline_kernelINS0_13select_configILj256ELj13ELNS0_17block_load_methodE3ELS4_3ELS4_3ELNS0_20block_scan_algorithmE0ELj4294967295EEENS1_25partition_config_selectorILNS1_17partition_subalgoE3EjNS0_10empty_typeEbEEZZNS1_14partition_implILS8_3ELb0ES6_jNS0_17counting_iteratorIjlEEPS9_SE_NS0_5tupleIJPjSE_EEENSF_IJSE_SE_EEES9_SG_JZNS1_25segmented_radix_sort_implINS0_14default_configELb0EPKhPhPKlPlN2at6native12_GLOBAL__N_18offset_tEEE10hipError_tPvRmT1_PNSt15iterator_traitsISY_E10value_typeET2_T3_PNSZ_IS14_E10value_typeET4_jRbjT5_S1A_jjP12ihipStream_tbEUljE_EEESV_SW_SX_S14_S18_S1A_T6_T7_T9_mT8_S1C_bDpT10_ENKUlT_T0_E_clISt17integral_constantIbLb0EES1O_IbLb1EEEEDaS1K_S1L_EUlS1K_E_NS1_11comp_targetILNS1_3genE8ELNS1_11target_archE1030ELNS1_3gpuE2ELNS1_3repE0EEENS1_30default_config_static_selectorELNS0_4arch9wavefront6targetE0EEEvSY_,@function
_ZN7rocprim17ROCPRIM_400000_NS6detail17trampoline_kernelINS0_13select_configILj256ELj13ELNS0_17block_load_methodE3ELS4_3ELS4_3ELNS0_20block_scan_algorithmE0ELj4294967295EEENS1_25partition_config_selectorILNS1_17partition_subalgoE3EjNS0_10empty_typeEbEEZZNS1_14partition_implILS8_3ELb0ES6_jNS0_17counting_iteratorIjlEEPS9_SE_NS0_5tupleIJPjSE_EEENSF_IJSE_SE_EEES9_SG_JZNS1_25segmented_radix_sort_implINS0_14default_configELb0EPKhPhPKlPlN2at6native12_GLOBAL__N_18offset_tEEE10hipError_tPvRmT1_PNSt15iterator_traitsISY_E10value_typeET2_T3_PNSZ_IS14_E10value_typeET4_jRbjT5_S1A_jjP12ihipStream_tbEUljE_EEESV_SW_SX_S14_S18_S1A_T6_T7_T9_mT8_S1C_bDpT10_ENKUlT_T0_E_clISt17integral_constantIbLb0EES1O_IbLb1EEEEDaS1K_S1L_EUlS1K_E_NS1_11comp_targetILNS1_3genE8ELNS1_11target_archE1030ELNS1_3gpuE2ELNS1_3repE0EEENS1_30default_config_static_selectorELNS0_4arch9wavefront6targetE0EEEvSY_: ; @_ZN7rocprim17ROCPRIM_400000_NS6detail17trampoline_kernelINS0_13select_configILj256ELj13ELNS0_17block_load_methodE3ELS4_3ELS4_3ELNS0_20block_scan_algorithmE0ELj4294967295EEENS1_25partition_config_selectorILNS1_17partition_subalgoE3EjNS0_10empty_typeEbEEZZNS1_14partition_implILS8_3ELb0ES6_jNS0_17counting_iteratorIjlEEPS9_SE_NS0_5tupleIJPjSE_EEENSF_IJSE_SE_EEES9_SG_JZNS1_25segmented_radix_sort_implINS0_14default_configELb0EPKhPhPKlPlN2at6native12_GLOBAL__N_18offset_tEEE10hipError_tPvRmT1_PNSt15iterator_traitsISY_E10value_typeET2_T3_PNSZ_IS14_E10value_typeET4_jRbjT5_S1A_jjP12ihipStream_tbEUljE_EEESV_SW_SX_S14_S18_S1A_T6_T7_T9_mT8_S1C_bDpT10_ENKUlT_T0_E_clISt17integral_constantIbLb0EES1O_IbLb1EEEEDaS1K_S1L_EUlS1K_E_NS1_11comp_targetILNS1_3genE8ELNS1_11target_archE1030ELNS1_3gpuE2ELNS1_3repE0EEENS1_30default_config_static_selectorELNS0_4arch9wavefront6targetE0EEEvSY_
; %bb.0:
	.section	.rodata,"a",@progbits
	.p2align	6, 0x0
	.amdhsa_kernel _ZN7rocprim17ROCPRIM_400000_NS6detail17trampoline_kernelINS0_13select_configILj256ELj13ELNS0_17block_load_methodE3ELS4_3ELS4_3ELNS0_20block_scan_algorithmE0ELj4294967295EEENS1_25partition_config_selectorILNS1_17partition_subalgoE3EjNS0_10empty_typeEbEEZZNS1_14partition_implILS8_3ELb0ES6_jNS0_17counting_iteratorIjlEEPS9_SE_NS0_5tupleIJPjSE_EEENSF_IJSE_SE_EEES9_SG_JZNS1_25segmented_radix_sort_implINS0_14default_configELb0EPKhPhPKlPlN2at6native12_GLOBAL__N_18offset_tEEE10hipError_tPvRmT1_PNSt15iterator_traitsISY_E10value_typeET2_T3_PNSZ_IS14_E10value_typeET4_jRbjT5_S1A_jjP12ihipStream_tbEUljE_EEESV_SW_SX_S14_S18_S1A_T6_T7_T9_mT8_S1C_bDpT10_ENKUlT_T0_E_clISt17integral_constantIbLb0EES1O_IbLb1EEEEDaS1K_S1L_EUlS1K_E_NS1_11comp_targetILNS1_3genE8ELNS1_11target_archE1030ELNS1_3gpuE2ELNS1_3repE0EEENS1_30default_config_static_selectorELNS0_4arch9wavefront6targetE0EEEvSY_
		.amdhsa_group_segment_fixed_size 0
		.amdhsa_private_segment_fixed_size 0
		.amdhsa_kernarg_size 152
		.amdhsa_user_sgpr_count 2
		.amdhsa_user_sgpr_dispatch_ptr 0
		.amdhsa_user_sgpr_queue_ptr 0
		.amdhsa_user_sgpr_kernarg_segment_ptr 1
		.amdhsa_user_sgpr_dispatch_id 0
		.amdhsa_user_sgpr_kernarg_preload_length 0
		.amdhsa_user_sgpr_kernarg_preload_offset 0
		.amdhsa_user_sgpr_private_segment_size 0
		.amdhsa_wavefront_size32 1
		.amdhsa_uses_dynamic_stack 0
		.amdhsa_enable_private_segment 0
		.amdhsa_system_sgpr_workgroup_id_x 1
		.amdhsa_system_sgpr_workgroup_id_y 0
		.amdhsa_system_sgpr_workgroup_id_z 0
		.amdhsa_system_sgpr_workgroup_info 0
		.amdhsa_system_vgpr_workitem_id 0
		.amdhsa_next_free_vgpr 1
		.amdhsa_next_free_sgpr 1
		.amdhsa_named_barrier_count 0
		.amdhsa_reserve_vcc 0
		.amdhsa_float_round_mode_32 0
		.amdhsa_float_round_mode_16_64 0
		.amdhsa_float_denorm_mode_32 3
		.amdhsa_float_denorm_mode_16_64 3
		.amdhsa_fp16_overflow 0
		.amdhsa_memory_ordered 1
		.amdhsa_forward_progress 1
		.amdhsa_inst_pref_size 0
		.amdhsa_round_robin_scheduling 0
		.amdhsa_exception_fp_ieee_invalid_op 0
		.amdhsa_exception_fp_denorm_src 0
		.amdhsa_exception_fp_ieee_div_zero 0
		.amdhsa_exception_fp_ieee_overflow 0
		.amdhsa_exception_fp_ieee_underflow 0
		.amdhsa_exception_fp_ieee_inexact 0
		.amdhsa_exception_int_div_zero 0
	.end_amdhsa_kernel
	.section	.text._ZN7rocprim17ROCPRIM_400000_NS6detail17trampoline_kernelINS0_13select_configILj256ELj13ELNS0_17block_load_methodE3ELS4_3ELS4_3ELNS0_20block_scan_algorithmE0ELj4294967295EEENS1_25partition_config_selectorILNS1_17partition_subalgoE3EjNS0_10empty_typeEbEEZZNS1_14partition_implILS8_3ELb0ES6_jNS0_17counting_iteratorIjlEEPS9_SE_NS0_5tupleIJPjSE_EEENSF_IJSE_SE_EEES9_SG_JZNS1_25segmented_radix_sort_implINS0_14default_configELb0EPKhPhPKlPlN2at6native12_GLOBAL__N_18offset_tEEE10hipError_tPvRmT1_PNSt15iterator_traitsISY_E10value_typeET2_T3_PNSZ_IS14_E10value_typeET4_jRbjT5_S1A_jjP12ihipStream_tbEUljE_EEESV_SW_SX_S14_S18_S1A_T6_T7_T9_mT8_S1C_bDpT10_ENKUlT_T0_E_clISt17integral_constantIbLb0EES1O_IbLb1EEEEDaS1K_S1L_EUlS1K_E_NS1_11comp_targetILNS1_3genE8ELNS1_11target_archE1030ELNS1_3gpuE2ELNS1_3repE0EEENS1_30default_config_static_selectorELNS0_4arch9wavefront6targetE0EEEvSY_,"axG",@progbits,_ZN7rocprim17ROCPRIM_400000_NS6detail17trampoline_kernelINS0_13select_configILj256ELj13ELNS0_17block_load_methodE3ELS4_3ELS4_3ELNS0_20block_scan_algorithmE0ELj4294967295EEENS1_25partition_config_selectorILNS1_17partition_subalgoE3EjNS0_10empty_typeEbEEZZNS1_14partition_implILS8_3ELb0ES6_jNS0_17counting_iteratorIjlEEPS9_SE_NS0_5tupleIJPjSE_EEENSF_IJSE_SE_EEES9_SG_JZNS1_25segmented_radix_sort_implINS0_14default_configELb0EPKhPhPKlPlN2at6native12_GLOBAL__N_18offset_tEEE10hipError_tPvRmT1_PNSt15iterator_traitsISY_E10value_typeET2_T3_PNSZ_IS14_E10value_typeET4_jRbjT5_S1A_jjP12ihipStream_tbEUljE_EEESV_SW_SX_S14_S18_S1A_T6_T7_T9_mT8_S1C_bDpT10_ENKUlT_T0_E_clISt17integral_constantIbLb0EES1O_IbLb1EEEEDaS1K_S1L_EUlS1K_E_NS1_11comp_targetILNS1_3genE8ELNS1_11target_archE1030ELNS1_3gpuE2ELNS1_3repE0EEENS1_30default_config_static_selectorELNS0_4arch9wavefront6targetE0EEEvSY_,comdat
.Lfunc_end184:
	.size	_ZN7rocprim17ROCPRIM_400000_NS6detail17trampoline_kernelINS0_13select_configILj256ELj13ELNS0_17block_load_methodE3ELS4_3ELS4_3ELNS0_20block_scan_algorithmE0ELj4294967295EEENS1_25partition_config_selectorILNS1_17partition_subalgoE3EjNS0_10empty_typeEbEEZZNS1_14partition_implILS8_3ELb0ES6_jNS0_17counting_iteratorIjlEEPS9_SE_NS0_5tupleIJPjSE_EEENSF_IJSE_SE_EEES9_SG_JZNS1_25segmented_radix_sort_implINS0_14default_configELb0EPKhPhPKlPlN2at6native12_GLOBAL__N_18offset_tEEE10hipError_tPvRmT1_PNSt15iterator_traitsISY_E10value_typeET2_T3_PNSZ_IS14_E10value_typeET4_jRbjT5_S1A_jjP12ihipStream_tbEUljE_EEESV_SW_SX_S14_S18_S1A_T6_T7_T9_mT8_S1C_bDpT10_ENKUlT_T0_E_clISt17integral_constantIbLb0EES1O_IbLb1EEEEDaS1K_S1L_EUlS1K_E_NS1_11comp_targetILNS1_3genE8ELNS1_11target_archE1030ELNS1_3gpuE2ELNS1_3repE0EEENS1_30default_config_static_selectorELNS0_4arch9wavefront6targetE0EEEvSY_, .Lfunc_end184-_ZN7rocprim17ROCPRIM_400000_NS6detail17trampoline_kernelINS0_13select_configILj256ELj13ELNS0_17block_load_methodE3ELS4_3ELS4_3ELNS0_20block_scan_algorithmE0ELj4294967295EEENS1_25partition_config_selectorILNS1_17partition_subalgoE3EjNS0_10empty_typeEbEEZZNS1_14partition_implILS8_3ELb0ES6_jNS0_17counting_iteratorIjlEEPS9_SE_NS0_5tupleIJPjSE_EEENSF_IJSE_SE_EEES9_SG_JZNS1_25segmented_radix_sort_implINS0_14default_configELb0EPKhPhPKlPlN2at6native12_GLOBAL__N_18offset_tEEE10hipError_tPvRmT1_PNSt15iterator_traitsISY_E10value_typeET2_T3_PNSZ_IS14_E10value_typeET4_jRbjT5_S1A_jjP12ihipStream_tbEUljE_EEESV_SW_SX_S14_S18_S1A_T6_T7_T9_mT8_S1C_bDpT10_ENKUlT_T0_E_clISt17integral_constantIbLb0EES1O_IbLb1EEEEDaS1K_S1L_EUlS1K_E_NS1_11comp_targetILNS1_3genE8ELNS1_11target_archE1030ELNS1_3gpuE2ELNS1_3repE0EEENS1_30default_config_static_selectorELNS0_4arch9wavefront6targetE0EEEvSY_
                                        ; -- End function
	.set _ZN7rocprim17ROCPRIM_400000_NS6detail17trampoline_kernelINS0_13select_configILj256ELj13ELNS0_17block_load_methodE3ELS4_3ELS4_3ELNS0_20block_scan_algorithmE0ELj4294967295EEENS1_25partition_config_selectorILNS1_17partition_subalgoE3EjNS0_10empty_typeEbEEZZNS1_14partition_implILS8_3ELb0ES6_jNS0_17counting_iteratorIjlEEPS9_SE_NS0_5tupleIJPjSE_EEENSF_IJSE_SE_EEES9_SG_JZNS1_25segmented_radix_sort_implINS0_14default_configELb0EPKhPhPKlPlN2at6native12_GLOBAL__N_18offset_tEEE10hipError_tPvRmT1_PNSt15iterator_traitsISY_E10value_typeET2_T3_PNSZ_IS14_E10value_typeET4_jRbjT5_S1A_jjP12ihipStream_tbEUljE_EEESV_SW_SX_S14_S18_S1A_T6_T7_T9_mT8_S1C_bDpT10_ENKUlT_T0_E_clISt17integral_constantIbLb0EES1O_IbLb1EEEEDaS1K_S1L_EUlS1K_E_NS1_11comp_targetILNS1_3genE8ELNS1_11target_archE1030ELNS1_3gpuE2ELNS1_3repE0EEENS1_30default_config_static_selectorELNS0_4arch9wavefront6targetE0EEEvSY_.num_vgpr, 0
	.set _ZN7rocprim17ROCPRIM_400000_NS6detail17trampoline_kernelINS0_13select_configILj256ELj13ELNS0_17block_load_methodE3ELS4_3ELS4_3ELNS0_20block_scan_algorithmE0ELj4294967295EEENS1_25partition_config_selectorILNS1_17partition_subalgoE3EjNS0_10empty_typeEbEEZZNS1_14partition_implILS8_3ELb0ES6_jNS0_17counting_iteratorIjlEEPS9_SE_NS0_5tupleIJPjSE_EEENSF_IJSE_SE_EEES9_SG_JZNS1_25segmented_radix_sort_implINS0_14default_configELb0EPKhPhPKlPlN2at6native12_GLOBAL__N_18offset_tEEE10hipError_tPvRmT1_PNSt15iterator_traitsISY_E10value_typeET2_T3_PNSZ_IS14_E10value_typeET4_jRbjT5_S1A_jjP12ihipStream_tbEUljE_EEESV_SW_SX_S14_S18_S1A_T6_T7_T9_mT8_S1C_bDpT10_ENKUlT_T0_E_clISt17integral_constantIbLb0EES1O_IbLb1EEEEDaS1K_S1L_EUlS1K_E_NS1_11comp_targetILNS1_3genE8ELNS1_11target_archE1030ELNS1_3gpuE2ELNS1_3repE0EEENS1_30default_config_static_selectorELNS0_4arch9wavefront6targetE0EEEvSY_.num_agpr, 0
	.set _ZN7rocprim17ROCPRIM_400000_NS6detail17trampoline_kernelINS0_13select_configILj256ELj13ELNS0_17block_load_methodE3ELS4_3ELS4_3ELNS0_20block_scan_algorithmE0ELj4294967295EEENS1_25partition_config_selectorILNS1_17partition_subalgoE3EjNS0_10empty_typeEbEEZZNS1_14partition_implILS8_3ELb0ES6_jNS0_17counting_iteratorIjlEEPS9_SE_NS0_5tupleIJPjSE_EEENSF_IJSE_SE_EEES9_SG_JZNS1_25segmented_radix_sort_implINS0_14default_configELb0EPKhPhPKlPlN2at6native12_GLOBAL__N_18offset_tEEE10hipError_tPvRmT1_PNSt15iterator_traitsISY_E10value_typeET2_T3_PNSZ_IS14_E10value_typeET4_jRbjT5_S1A_jjP12ihipStream_tbEUljE_EEESV_SW_SX_S14_S18_S1A_T6_T7_T9_mT8_S1C_bDpT10_ENKUlT_T0_E_clISt17integral_constantIbLb0EES1O_IbLb1EEEEDaS1K_S1L_EUlS1K_E_NS1_11comp_targetILNS1_3genE8ELNS1_11target_archE1030ELNS1_3gpuE2ELNS1_3repE0EEENS1_30default_config_static_selectorELNS0_4arch9wavefront6targetE0EEEvSY_.numbered_sgpr, 0
	.set _ZN7rocprim17ROCPRIM_400000_NS6detail17trampoline_kernelINS0_13select_configILj256ELj13ELNS0_17block_load_methodE3ELS4_3ELS4_3ELNS0_20block_scan_algorithmE0ELj4294967295EEENS1_25partition_config_selectorILNS1_17partition_subalgoE3EjNS0_10empty_typeEbEEZZNS1_14partition_implILS8_3ELb0ES6_jNS0_17counting_iteratorIjlEEPS9_SE_NS0_5tupleIJPjSE_EEENSF_IJSE_SE_EEES9_SG_JZNS1_25segmented_radix_sort_implINS0_14default_configELb0EPKhPhPKlPlN2at6native12_GLOBAL__N_18offset_tEEE10hipError_tPvRmT1_PNSt15iterator_traitsISY_E10value_typeET2_T3_PNSZ_IS14_E10value_typeET4_jRbjT5_S1A_jjP12ihipStream_tbEUljE_EEESV_SW_SX_S14_S18_S1A_T6_T7_T9_mT8_S1C_bDpT10_ENKUlT_T0_E_clISt17integral_constantIbLb0EES1O_IbLb1EEEEDaS1K_S1L_EUlS1K_E_NS1_11comp_targetILNS1_3genE8ELNS1_11target_archE1030ELNS1_3gpuE2ELNS1_3repE0EEENS1_30default_config_static_selectorELNS0_4arch9wavefront6targetE0EEEvSY_.num_named_barrier, 0
	.set _ZN7rocprim17ROCPRIM_400000_NS6detail17trampoline_kernelINS0_13select_configILj256ELj13ELNS0_17block_load_methodE3ELS4_3ELS4_3ELNS0_20block_scan_algorithmE0ELj4294967295EEENS1_25partition_config_selectorILNS1_17partition_subalgoE3EjNS0_10empty_typeEbEEZZNS1_14partition_implILS8_3ELb0ES6_jNS0_17counting_iteratorIjlEEPS9_SE_NS0_5tupleIJPjSE_EEENSF_IJSE_SE_EEES9_SG_JZNS1_25segmented_radix_sort_implINS0_14default_configELb0EPKhPhPKlPlN2at6native12_GLOBAL__N_18offset_tEEE10hipError_tPvRmT1_PNSt15iterator_traitsISY_E10value_typeET2_T3_PNSZ_IS14_E10value_typeET4_jRbjT5_S1A_jjP12ihipStream_tbEUljE_EEESV_SW_SX_S14_S18_S1A_T6_T7_T9_mT8_S1C_bDpT10_ENKUlT_T0_E_clISt17integral_constantIbLb0EES1O_IbLb1EEEEDaS1K_S1L_EUlS1K_E_NS1_11comp_targetILNS1_3genE8ELNS1_11target_archE1030ELNS1_3gpuE2ELNS1_3repE0EEENS1_30default_config_static_selectorELNS0_4arch9wavefront6targetE0EEEvSY_.private_seg_size, 0
	.set _ZN7rocprim17ROCPRIM_400000_NS6detail17trampoline_kernelINS0_13select_configILj256ELj13ELNS0_17block_load_methodE3ELS4_3ELS4_3ELNS0_20block_scan_algorithmE0ELj4294967295EEENS1_25partition_config_selectorILNS1_17partition_subalgoE3EjNS0_10empty_typeEbEEZZNS1_14partition_implILS8_3ELb0ES6_jNS0_17counting_iteratorIjlEEPS9_SE_NS0_5tupleIJPjSE_EEENSF_IJSE_SE_EEES9_SG_JZNS1_25segmented_radix_sort_implINS0_14default_configELb0EPKhPhPKlPlN2at6native12_GLOBAL__N_18offset_tEEE10hipError_tPvRmT1_PNSt15iterator_traitsISY_E10value_typeET2_T3_PNSZ_IS14_E10value_typeET4_jRbjT5_S1A_jjP12ihipStream_tbEUljE_EEESV_SW_SX_S14_S18_S1A_T6_T7_T9_mT8_S1C_bDpT10_ENKUlT_T0_E_clISt17integral_constantIbLb0EES1O_IbLb1EEEEDaS1K_S1L_EUlS1K_E_NS1_11comp_targetILNS1_3genE8ELNS1_11target_archE1030ELNS1_3gpuE2ELNS1_3repE0EEENS1_30default_config_static_selectorELNS0_4arch9wavefront6targetE0EEEvSY_.uses_vcc, 0
	.set _ZN7rocprim17ROCPRIM_400000_NS6detail17trampoline_kernelINS0_13select_configILj256ELj13ELNS0_17block_load_methodE3ELS4_3ELS4_3ELNS0_20block_scan_algorithmE0ELj4294967295EEENS1_25partition_config_selectorILNS1_17partition_subalgoE3EjNS0_10empty_typeEbEEZZNS1_14partition_implILS8_3ELb0ES6_jNS0_17counting_iteratorIjlEEPS9_SE_NS0_5tupleIJPjSE_EEENSF_IJSE_SE_EEES9_SG_JZNS1_25segmented_radix_sort_implINS0_14default_configELb0EPKhPhPKlPlN2at6native12_GLOBAL__N_18offset_tEEE10hipError_tPvRmT1_PNSt15iterator_traitsISY_E10value_typeET2_T3_PNSZ_IS14_E10value_typeET4_jRbjT5_S1A_jjP12ihipStream_tbEUljE_EEESV_SW_SX_S14_S18_S1A_T6_T7_T9_mT8_S1C_bDpT10_ENKUlT_T0_E_clISt17integral_constantIbLb0EES1O_IbLb1EEEEDaS1K_S1L_EUlS1K_E_NS1_11comp_targetILNS1_3genE8ELNS1_11target_archE1030ELNS1_3gpuE2ELNS1_3repE0EEENS1_30default_config_static_selectorELNS0_4arch9wavefront6targetE0EEEvSY_.uses_flat_scratch, 0
	.set _ZN7rocprim17ROCPRIM_400000_NS6detail17trampoline_kernelINS0_13select_configILj256ELj13ELNS0_17block_load_methodE3ELS4_3ELS4_3ELNS0_20block_scan_algorithmE0ELj4294967295EEENS1_25partition_config_selectorILNS1_17partition_subalgoE3EjNS0_10empty_typeEbEEZZNS1_14partition_implILS8_3ELb0ES6_jNS0_17counting_iteratorIjlEEPS9_SE_NS0_5tupleIJPjSE_EEENSF_IJSE_SE_EEES9_SG_JZNS1_25segmented_radix_sort_implINS0_14default_configELb0EPKhPhPKlPlN2at6native12_GLOBAL__N_18offset_tEEE10hipError_tPvRmT1_PNSt15iterator_traitsISY_E10value_typeET2_T3_PNSZ_IS14_E10value_typeET4_jRbjT5_S1A_jjP12ihipStream_tbEUljE_EEESV_SW_SX_S14_S18_S1A_T6_T7_T9_mT8_S1C_bDpT10_ENKUlT_T0_E_clISt17integral_constantIbLb0EES1O_IbLb1EEEEDaS1K_S1L_EUlS1K_E_NS1_11comp_targetILNS1_3genE8ELNS1_11target_archE1030ELNS1_3gpuE2ELNS1_3repE0EEENS1_30default_config_static_selectorELNS0_4arch9wavefront6targetE0EEEvSY_.has_dyn_sized_stack, 0
	.set _ZN7rocprim17ROCPRIM_400000_NS6detail17trampoline_kernelINS0_13select_configILj256ELj13ELNS0_17block_load_methodE3ELS4_3ELS4_3ELNS0_20block_scan_algorithmE0ELj4294967295EEENS1_25partition_config_selectorILNS1_17partition_subalgoE3EjNS0_10empty_typeEbEEZZNS1_14partition_implILS8_3ELb0ES6_jNS0_17counting_iteratorIjlEEPS9_SE_NS0_5tupleIJPjSE_EEENSF_IJSE_SE_EEES9_SG_JZNS1_25segmented_radix_sort_implINS0_14default_configELb0EPKhPhPKlPlN2at6native12_GLOBAL__N_18offset_tEEE10hipError_tPvRmT1_PNSt15iterator_traitsISY_E10value_typeET2_T3_PNSZ_IS14_E10value_typeET4_jRbjT5_S1A_jjP12ihipStream_tbEUljE_EEESV_SW_SX_S14_S18_S1A_T6_T7_T9_mT8_S1C_bDpT10_ENKUlT_T0_E_clISt17integral_constantIbLb0EES1O_IbLb1EEEEDaS1K_S1L_EUlS1K_E_NS1_11comp_targetILNS1_3genE8ELNS1_11target_archE1030ELNS1_3gpuE2ELNS1_3repE0EEENS1_30default_config_static_selectorELNS0_4arch9wavefront6targetE0EEEvSY_.has_recursion, 0
	.set _ZN7rocprim17ROCPRIM_400000_NS6detail17trampoline_kernelINS0_13select_configILj256ELj13ELNS0_17block_load_methodE3ELS4_3ELS4_3ELNS0_20block_scan_algorithmE0ELj4294967295EEENS1_25partition_config_selectorILNS1_17partition_subalgoE3EjNS0_10empty_typeEbEEZZNS1_14partition_implILS8_3ELb0ES6_jNS0_17counting_iteratorIjlEEPS9_SE_NS0_5tupleIJPjSE_EEENSF_IJSE_SE_EEES9_SG_JZNS1_25segmented_radix_sort_implINS0_14default_configELb0EPKhPhPKlPlN2at6native12_GLOBAL__N_18offset_tEEE10hipError_tPvRmT1_PNSt15iterator_traitsISY_E10value_typeET2_T3_PNSZ_IS14_E10value_typeET4_jRbjT5_S1A_jjP12ihipStream_tbEUljE_EEESV_SW_SX_S14_S18_S1A_T6_T7_T9_mT8_S1C_bDpT10_ENKUlT_T0_E_clISt17integral_constantIbLb0EES1O_IbLb1EEEEDaS1K_S1L_EUlS1K_E_NS1_11comp_targetILNS1_3genE8ELNS1_11target_archE1030ELNS1_3gpuE2ELNS1_3repE0EEENS1_30default_config_static_selectorELNS0_4arch9wavefront6targetE0EEEvSY_.has_indirect_call, 0
	.section	.AMDGPU.csdata,"",@progbits
; Kernel info:
; codeLenInByte = 0
; TotalNumSgprs: 0
; NumVgprs: 0
; ScratchSize: 0
; MemoryBound: 0
; FloatMode: 240
; IeeeMode: 1
; LDSByteSize: 0 bytes/workgroup (compile time only)
; SGPRBlocks: 0
; VGPRBlocks: 0
; NumSGPRsForWavesPerEU: 1
; NumVGPRsForWavesPerEU: 1
; NamedBarCnt: 0
; Occupancy: 16
; WaveLimiterHint : 0
; COMPUTE_PGM_RSRC2:SCRATCH_EN: 0
; COMPUTE_PGM_RSRC2:USER_SGPR: 2
; COMPUTE_PGM_RSRC2:TRAP_HANDLER: 0
; COMPUTE_PGM_RSRC2:TGID_X_EN: 1
; COMPUTE_PGM_RSRC2:TGID_Y_EN: 0
; COMPUTE_PGM_RSRC2:TGID_Z_EN: 0
; COMPUTE_PGM_RSRC2:TIDIG_COMP_CNT: 0
	.text
	.p2align	2                               ; -- Begin function _ZN7rocprim17ROCPRIM_400000_NS6detail40segmented_radix_sort_single_block_helperIhlLj256ELj17ELb0EE4sortIPKhPhPKlPlEEbT_T0_T1_T2_jjjjRNS3_12storage_typeE
	.type	_ZN7rocprim17ROCPRIM_400000_NS6detail40segmented_radix_sort_single_block_helperIhlLj256ELj17ELb0EE4sortIPKhPhPKlPlEEbT_T0_T1_T2_jjjjRNS3_12storage_typeE,@function
_ZN7rocprim17ROCPRIM_400000_NS6detail40segmented_radix_sort_single_block_helperIhlLj256ELj17ELb0EE4sortIPKhPhPKlPlEEbT_T0_T1_T2_jjjjRNS3_12storage_typeE: ; @_ZN7rocprim17ROCPRIM_400000_NS6detail40segmented_radix_sort_single_block_helperIhlLj256ELj17ELb0EE4sortIPKhPhPKlPlEEbT_T0_T1_T2_jjjjRNS3_12storage_typeE
; %bb.0:
	s_wait_loadcnt_dscnt 0x0
	s_wait_kmcnt 0x0
	s_set_vgpr_msb 64                       ;  msbs: dst=1 src0=0 src1=0 src2=0
	v_sub_nc_u32_e32 v12 /*v268*/, v9, v8
	s_mov_b32 s20, exec_lo
	s_set_vgpr_msb 4                        ;  msbs: dst=0 src0=0 src1=1 src2=0
	s_delay_alu instid0(VALU_DEP_1)
	v_cmpx_gt_u32_e32 0x1101, v12 /*v268*/
	s_set_vgpr_msb 0                        ;  msbs: dst=0 src0=0 src1=0 src2=0
	s_cbranch_execz .LBB185_382
; %bb.1:
	v_bfe_u32 v9, v31, 10, 10
	v_bfe_u32 v15, v31, 20, 10
	v_and_b32_e32 v14, 0x3ff, v31
	v_mbcnt_lo_u32_b32 v16, -1, 0
	s_getreg_b32 s21, hwreg(HW_REG_IB_STS2, 6, 4)
	s_mov_b32 s0, exec_lo
	s_set_vgpr_msb 4                        ;  msbs: dst=0 src0=0 src1=1 src2=0
	v_cmpx_lt_u32_e32 0x800, v12 /*v268*/
	s_xor_b32 s22, exec_lo, s0
	s_set_vgpr_msb 0                        ;  msbs: dst=0 src0=0 src1=0 src2=0
	s_cbranch_execz .LBB185_151
; %bb.2:
	s_load_b64 s[0:1], s[8:9], 0x0
	s_bfe_u32 s3, ttmp6, 0x4000c
	s_bfe_u32 s5, ttmp6, 0x40010
	s_and_b32 s4, ttmp7, 0xffff
	s_add_co_i32 s3, s3, 1
	s_add_co_i32 s5, s5, 1
	s_and_b32 s2, ttmp6, 15
	s_bfe_u32 s6, ttmp6, 0x40004
	s_mul_i32 s3, ttmp9, s3
	s_mul_i32 s5, s4, s5
	s_add_co_i32 s2, s2, s3
	s_add_co_i32 s6, s6, s5
	s_cmp_eq_u32 s21, 0
	s_mov_b32 s3, 0
	s_cselect_b32 s2, ttmp9, s2
	s_cselect_b32 s4, s4, s6
	s_set_vgpr_msb 64                       ;  msbs: dst=1 src0=0 src1=0 src2=0
	v_dual_mov_b32 v27 /*v283*/, 0xff :: v_dual_mov_b32 v22 /*v278*/, 0xff
	v_dual_mov_b32 v23 /*v279*/, 0xff :: v_dual_mov_b32 v24 /*v280*/, 0xff
	s_wait_kmcnt 0x0
	s_cmp_lt_u32 s2, s0
	v_dual_mov_b32 v25 /*v281*/, 0xff :: v_dual_mov_b32 v26 /*v282*/, 0xff
	s_cselect_b32 s2, 12, 18
	s_cmp_lt_u32 s4, s1
	s_mov_b32 s1, s3
	s_cselect_b32 s0, 14, 20
	v_dual_mov_b32 v17 /*v273*/, 0xff :: v_dual_mov_b32 v18 /*v274*/, 0xff
	s_add_nc_u64 s[0:1], s[8:9], s[0:1]
	v_dual_mov_b32 v19 /*v275*/, 0xff :: v_dual_mov_b32 v20 /*v276*/, 0xff
	s_load_u16 s4, s[0:1], 0x0
	s_wait_xcnt 0x0
	s_add_nc_u64 s[0:1], s[8:9], s[2:3]
	v_dual_mov_b32 v21 /*v277*/, 0xff :: v_dual_mov_b32 v14 /*v270*/, 0xff
	s_load_u16 s0, s[0:1], 0x0
	s_set_vgpr_msb 0                        ;  msbs: dst=0 src0=0 src1=0 src2=0
	v_mov_b32_e32 v39, 0xff
	s_set_vgpr_msb 64                       ;  msbs: dst=1 src0=0 src1=0 src2=0
	v_dual_mov_b32 v13 /*v269*/, 0xff :: v_dual_mov_b32 v16 /*v272*/, 0xff
	v_mov_b32_e32 v15 /*v271*/, 0xff
	s_wait_kmcnt 0x0
	s_set_vgpr_msb 0                        ;  msbs: dst=0 src0=0 src1=0 src2=0
	v_mad_u32_u24 v9, v15, s4, v9
	v_mov_b32_e32 v15, 0xff
	s_delay_alu instid0(VALU_DEP_2) | instskip(SKIP_1) | instid1(VALU_DEP_1)
	v_mad_u32 v38, v9, s0, v14
	v_mov_b32_e32 v9, 0
	v_add_nc_u64_e32 v[18:19], v[0:1], v[8:9]
	v_mov_b32_e32 v17, v9
	s_delay_alu instid0(VALU_DEP_4) | instskip(NEXT) | instid1(VALU_DEP_2)
	v_and_b32_e32 v0, 0xffffffe0, v38
	v_add_nc_u64_e32 v[18:19], v[18:19], v[16:17]
	s_delay_alu instid0(VALU_DEP_2) | instskip(NEXT) | instid1(VALU_DEP_1)
	v_lshl_add_u32 v0, v0, 4, v0
	v_dual_mov_b32 v1, v9 :: v_dual_bitop2_b32 v17, v0, v16 bitop3:0x54
	s_set_vgpr_msb 4                        ;  msbs: dst=0 src0=0 src1=1 src2=0
	s_delay_alu instid0(VALU_DEP_1) | instskip(SKIP_1) | instid1(VALU_DEP_2)
	v_cmp_lt_u32_e32 vcc_lo, v17, v12 /*v268*/
	s_set_vgpr_msb 0                        ;  msbs: dst=0 src0=0 src1=0 src2=0
	v_add_nc_u64_e32 v[18:19], v[18:19], v[0:1]
	s_and_saveexec_b32 s0, vcc_lo
	s_cbranch_execz .LBB185_4
; %bb.3:
	s_set_vgpr_msb 64                       ;  msbs: dst=1 src0=0 src1=0 src2=0
	flat_load_u8 v27 /*v283*/, v[18:19]
	s_set_vgpr_msb 0                        ;  msbs: dst=0 src0=0 src1=0 src2=0
	v_mov_b32_e32 v15, 0xff
	s_set_vgpr_msb 64                       ;  msbs: dst=1 src0=0 src1=0 src2=0
	v_dual_mov_b32 v22 /*v278*/, 0xff :: v_dual_mov_b32 v23 /*v279*/, 0xff
	v_dual_mov_b32 v24 /*v280*/, 0xff :: v_dual_mov_b32 v25 /*v281*/, 0xff
	v_dual_mov_b32 v26 /*v282*/, 0xff :: v_dual_mov_b32 v17 /*v273*/, 0xff
	v_dual_mov_b32 v18 /*v274*/, 0xff :: v_dual_mov_b32 v19 /*v275*/, 0xff
	v_dual_mov_b32 v20 /*v276*/, 0xff :: v_dual_mov_b32 v21 /*v277*/, 0xff
	s_set_vgpr_msb 0                        ;  msbs: dst=0 src0=0 src1=0 src2=0
	v_mov_b32_e32 v39, 0xff
	s_set_vgpr_msb 64                       ;  msbs: dst=1 src0=0 src1=0 src2=0
	v_dual_mov_b32 v13 /*v269*/, 0xff :: v_dual_mov_b32 v14 /*v270*/, 0xff
	v_dual_mov_b32 v15 /*v271*/, 0xff :: v_dual_mov_b32 v16 /*v272*/, 0xff
.LBB185_4:
	s_wait_xcnt 0x0
	s_or_b32 exec_lo, exec_lo, s0
	s_set_vgpr_msb 0                        ;  msbs: dst=0 src0=0 src1=0 src2=0
	v_add_nc_u32_e32 v20, 32, v17
	s_set_vgpr_msb 4                        ;  msbs: dst=0 src0=0 src1=1 src2=0
	s_delay_alu instid0(VALU_DEP_1)
	v_cmp_lt_u32_e64 s0, v20, v12 /*v268*/
	s_and_saveexec_b32 s1, s0
	s_set_vgpr_msb 0                        ;  msbs: dst=0 src0=0 src1=0 src2=0
	s_cbranch_execz .LBB185_6
; %bb.5:
	s_set_vgpr_msb 64                       ;  msbs: dst=1 src0=0 src1=0 src2=0
	flat_load_u8 v22 /*v278*/, v[18:19] offset:32
.LBB185_6:
	s_wait_xcnt 0x0
	s_or_b32 exec_lo, exec_lo, s1
	s_set_vgpr_msb 0                        ;  msbs: dst=0 src0=0 src1=0 src2=0
	v_add_nc_u32_e32 v20, 64, v17
	s_set_vgpr_msb 4                        ;  msbs: dst=0 src0=0 src1=1 src2=0
	s_delay_alu instid0(VALU_DEP_1)
	v_cmp_lt_u32_e64 s1, v20, v12 /*v268*/
	s_and_saveexec_b32 s2, s1
	s_set_vgpr_msb 0                        ;  msbs: dst=0 src0=0 src1=0 src2=0
	s_cbranch_execz .LBB185_8
; %bb.7:
	s_set_vgpr_msb 64                       ;  msbs: dst=1 src0=0 src1=0 src2=0
	flat_load_u8 v23 /*v279*/, v[18:19] offset:64
.LBB185_8:
	;; [unrolled: 14-line block ×10, first 2 shown]
	s_wait_xcnt 0x0
	s_or_b32 exec_lo, exec_lo, s12
	s_set_vgpr_msb 0                        ;  msbs: dst=0 src0=0 src1=0 src2=0
	v_add_nc_u32_e32 v20, 0x160, v17
	s_set_vgpr_msb 4                        ;  msbs: dst=0 src0=0 src1=1 src2=0
	s_delay_alu instid0(VALU_DEP_1)
	v_cmp_lt_u32_e64 s12, v20, v12 /*v268*/
	s_and_saveexec_b32 s13, s12
	s_set_vgpr_msb 0                        ;  msbs: dst=0 src0=0 src1=0 src2=0
	s_cbranch_execz .LBB185_26
; %bb.25:
	flat_load_u8 v39, v[18:19] offset:352
.LBB185_26:
	s_wait_xcnt 0x0
	s_or_b32 exec_lo, exec_lo, s13
	v_add_nc_u32_e32 v20, 0x180, v17
	s_set_vgpr_msb 4                        ;  msbs: dst=0 src0=0 src1=1 src2=0
	s_delay_alu instid0(VALU_DEP_1)
	v_cmp_lt_u32_e64 s13, v20, v12 /*v268*/
	s_and_saveexec_b32 s14, s13
	s_set_vgpr_msb 0                        ;  msbs: dst=0 src0=0 src1=0 src2=0
	s_cbranch_execz .LBB185_28
; %bb.27:
	s_set_vgpr_msb 64                       ;  msbs: dst=1 src0=0 src1=0 src2=0
	flat_load_u8 v13 /*v269*/, v[18:19] offset:384
.LBB185_28:
	s_wait_xcnt 0x0
	s_or_b32 exec_lo, exec_lo, s14
	s_set_vgpr_msb 0                        ;  msbs: dst=0 src0=0 src1=0 src2=0
	v_add_nc_u32_e32 v20, 0x1a0, v17
	s_set_vgpr_msb 4                        ;  msbs: dst=0 src0=0 src1=1 src2=0
	s_delay_alu instid0(VALU_DEP_1)
	v_cmp_lt_u32_e64 s14, v20, v12 /*v268*/
	s_and_saveexec_b32 s15, s14
	s_set_vgpr_msb 0                        ;  msbs: dst=0 src0=0 src1=0 src2=0
	s_cbranch_execz .LBB185_30
; %bb.29:
	s_set_vgpr_msb 64                       ;  msbs: dst=1 src0=0 src1=0 src2=0
	flat_load_u8 v14 /*v270*/, v[18:19] offset:416
.LBB185_30:
	s_wait_xcnt 0x0
	s_or_b32 exec_lo, exec_lo, s15
	s_set_vgpr_msb 0                        ;  msbs: dst=0 src0=0 src1=0 src2=0
	;; [unrolled: 14-line block ×4, first 2 shown]
	v_add_nc_u32_e32 v17, 0x200, v17
	s_set_vgpr_msb 4                        ;  msbs: dst=0 src0=0 src1=1 src2=0
	s_delay_alu instid0(VALU_DEP_1)
	v_cmp_lt_u32_e64 s17, v17, v12 /*v268*/
	s_and_saveexec_b32 s18, s17
	s_set_vgpr_msb 0                        ;  msbs: dst=0 src0=0 src1=0 src2=0
	s_cbranch_execz .LBB185_36
; %bb.35:
	flat_load_u8 v15, v[18:19] offset:512
.LBB185_36:
	s_wait_xcnt 0x0
	s_or_b32 exec_lo, exec_lo, s18
	v_lshl_add_u64 v[4:5], v[8:9], 3, v[4:5]
	v_dual_mov_b32 v19, 0 :: v_dual_lshlrev_b32 v18, 3, v16
                                        ; implicit-def: $vgpr80_vgpr81
	s_delay_alu instid0(VALU_DEP_1) | instskip(NEXT) | instid1(VALU_DEP_1)
	v_add_nc_u64_e32 v[4:5], v[4:5], v[18:19]
	v_lshl_add_u64 v[0:1], v[0:1], 3, v[4:5]
	s_and_saveexec_b32 s18, vcc_lo
	s_cbranch_execnz .LBB185_204
; %bb.37:
	s_or_b32 exec_lo, exec_lo, s18
                                        ; implicit-def: $vgpr82_vgpr83
	s_and_saveexec_b32 s18, s0
	s_cbranch_execnz .LBB185_205
.LBB185_38:
	s_or_b32 exec_lo, exec_lo, s18
                                        ; implicit-def: $vgpr84_vgpr85
	s_and_saveexec_b32 s0, s1
	s_cbranch_execnz .LBB185_206
.LBB185_39:
	s_or_b32 exec_lo, exec_lo, s0
                                        ; implicit-def: $vgpr86_vgpr87
	s_and_saveexec_b32 s0, s2
	s_cbranch_execnz .LBB185_207
.LBB185_40:
	s_or_b32 exec_lo, exec_lo, s0
                                        ; implicit-def: $vgpr96_vgpr97
	s_and_saveexec_b32 s0, s3
	s_cbranch_execnz .LBB185_208
.LBB185_41:
	s_or_b32 exec_lo, exec_lo, s0
                                        ; implicit-def: $vgpr98_vgpr99
	s_and_saveexec_b32 s0, s4
	s_cbranch_execnz .LBB185_209
.LBB185_42:
	s_or_b32 exec_lo, exec_lo, s0
                                        ; implicit-def: $vgpr100_vgpr101
	s_and_saveexec_b32 s0, s5
	s_cbranch_execnz .LBB185_210
.LBB185_43:
	s_or_b32 exec_lo, exec_lo, s0
                                        ; implicit-def: $vgpr112_vgpr113
	s_and_saveexec_b32 s0, s6
	s_cbranch_execnz .LBB185_211
.LBB185_44:
	s_or_b32 exec_lo, exec_lo, s0
                                        ; implicit-def: $vgpr116_vgpr117
	s_and_saveexec_b32 s0, s7
	s_cbranch_execnz .LBB185_212
.LBB185_45:
	s_or_b32 exec_lo, exec_lo, s0
                                        ; implicit-def: $vgpr128_vgpr129
	s_and_saveexec_b32 s0, s10
	s_cbranch_execnz .LBB185_213
.LBB185_46:
	s_or_b32 exec_lo, exec_lo, s0
                                        ; implicit-def: $vgpr162_vgpr163
	s_and_saveexec_b32 s0, s11
	s_cbranch_execnz .LBB185_214
.LBB185_47:
	s_or_b32 exec_lo, exec_lo, s0
                                        ; implicit-def: $vgpr166_vgpr167
	s_and_saveexec_b32 s0, s12
	s_cbranch_execnz .LBB185_215
.LBB185_48:
	s_or_b32 exec_lo, exec_lo, s0
                                        ; implicit-def: $vgpr102_vgpr103
	s_and_saveexec_b32 s0, s13
	s_cbranch_execnz .LBB185_216
.LBB185_49:
	s_or_b32 exec_lo, exec_lo, s0
                                        ; implicit-def: $vgpr114_vgpr115
	s_and_saveexec_b32 s0, s14
	s_cbranch_execnz .LBB185_217
.LBB185_50:
	s_or_b32 exec_lo, exec_lo, s0
                                        ; implicit-def: $vgpr118_vgpr119
	s_and_saveexec_b32 s0, s15
	s_cbranch_execnz .LBB185_218
.LBB185_51:
	s_or_b32 exec_lo, exec_lo, s0
                                        ; implicit-def: $vgpr164_vgpr165
	s_and_saveexec_b32 s0, s16
	s_cbranch_execnz .LBB185_219
.LBB185_52:
	s_or_b32 exec_lo, exec_lo, s0
                                        ; implicit-def: $vgpr176_vgpr177
	s_and_saveexec_b32 s0, s17
	s_cbranch_execz .LBB185_54
.LBB185_53:
	flat_load_b64 v[176:177], v[0:1] offset:4096
.LBB185_54:
	s_wait_xcnt 0x0
	s_or_b32 exec_lo, exec_lo, s0
	v_lshl_add_u32 v0, v14, 5, v12
	v_and_b32_e32 v1, 0x3e0, v14
	v_sub_co_u32 v19, s3, v16, 1
	v_and_b32_e32 v4, 15, v16
	s_set_vgpr_msb 64                       ;  msbs: dst=1 src0=0 src1=0 src2=0
	v_dual_add_nc_u32 v28 /*v284*/, 32, v0 :: v_dual_add_nc_u32 v29 /*v285*/, 36, v0
	v_dual_add_nc_u32 v30 /*v286*/, 40, v0 :: v_dual_add_nc_u32 v31 /*v287*/, 44, v0
	;; [unrolled: 1-line block ×4, first 2 shown]
	s_set_vgpr_msb 0                        ;  msbs: dst=0 src0=0 src1=0 src2=0
	v_mul_u32_u24_e32 v0, 17, v1
	v_min_u32_e32 v5, 0xe0, v1
	v_mov_b32_e32 v1, 0
	v_cmp_gt_i32_e64 s7, 0, v19
	v_and_b32_e32 v17, 16, v16
	v_or_b32_e32 v0, v16, v0
	s_get_pc_i64 s[0:1]
	s_add_nc_u64 s[0:1], s[0:1], _ZN7rocprim17ROCPRIM_400000_NS16block_radix_sortIhLj256ELj17ElLj1ELj1ELj8ELNS0_26block_radix_rank_algorithmE2ELNS0_18block_padding_hintE2ELNS0_4arch9wavefront6targetE0EE19radix_bits_per_passE@rel64+4
	v_cmp_eq_u32_e32 vcc_lo, 0, v4
	s_load_b32 s23, s[0:1], 0x0
	s_wait_xcnt 0x0
	v_cmp_lt_u32_e64 s0, 1, v4
	v_cmp_lt_u32_e64 s1, 3, v4
	;; [unrolled: 1-line block ×3, first 2 shown]
	v_dual_cndmask_b32 v20, v19, v16, s7 :: v_dual_bitop2_b32 v18, 31, v5 bitop3:0x54
	v_cmp_eq_u32_e64 s4, 0, v17
	v_lshrrev_b32_e32 v17, 3, v14
	v_add_nc_u64_e32 v[4:5], v[12:13], v[0:1]
	v_and_b32_e32 v16, 7, v16
	v_cmp_eq_u32_e64 s5, v14, v18
	s_set_vgpr_msb 64                       ;  msbs: dst=1 src0=0 src1=0 src2=0
	v_lshrrev_b32_e32 v36 /*v292*/, 5, v38
	v_cmp_gt_u32_e64 s6, 8, v14
	v_cmp_lt_u32_e64 s7, 31, v14
	v_cmp_eq_u32_e64 s11, 0, v16
	s_set_vgpr_msb 0                        ;  msbs: dst=0 src0=0 src1=0 src2=0
	v_mad_nc_u64_u32 v[18:19], v0, 7, v[4:5]
	v_and_b32_e32 v0, 0x7c, v17
	v_cmp_lt_u32_e64 s12, 1, v16
	v_cmp_lt_u32_e64 s13, 3, v16
	v_mov_b64_e32 v[16:17], 0
	v_lshlrev_b32_e32 v5, 2, v20
	v_cmp_eq_u32_e64 s10, 0, v14
	v_add_nc_u32_e32 v19, v12, v0
	s_set_vgpr_msb 64                       ;  msbs: dst=1 src0=0 src1=0 src2=0
	v_lshl_add_u32 v37 /*v293*/, v14, 2, v12
	v_sub_nc_u32_e32 v46 /*v302*/, v11, v10
	s_mov_b32 s24, 0
	v_add_nc_u32_e32 v38 /*v294*/, 0x900, v18
	v_add_nc_u32_e32 v39 /*v295*/, 0xa00, v18
	;; [unrolled: 1-line block ×8, first 2 shown]
	s_wait_storecnt 0x0
	s_wait_loadcnt_dscnt 0x0
	s_barrier_signal -1
	s_barrier_wait -1
	s_set_vgpr_msb 0                        ;  msbs: dst=0 src0=0 src1=0 src2=0
	s_branch .LBB185_56
.LBB185_55:                             ;   in Loop: Header=BB185_56 Depth=1
	s_or_b32 exec_lo, exec_lo, s15
	s_delay_alu instid0(SALU_CYCLE_1) | instskip(NEXT) | instid1(SALU_CYCLE_1)
	s_and_b32 s14, exec_lo, s16
	s_or_b32 s24, s14, s24
	s_delay_alu instid0(SALU_CYCLE_1)
	s_and_not1_b32 exec_lo, exec_lo, s24
	s_cbranch_execz .LBB185_98
.LBB185_56:                             ; =>This Inner Loop Header: Depth=1
	s_wait_kmcnt 0x0
	s_set_vgpr_msb 4                        ;  msbs: dst=0 src0=0 src1=1 src2=0
	v_min_u32_e32 v0, s23, v46 /*v302*/
	v_and_b32_e32 v20, 0xff, v27 /*v283*/
	v_mov_b64_e32 v[30:31], v[82:83]
	v_mov_b64_e32 v[32:33], v[80:81]
	;; [unrolled: 1-line block ×3, first 2 shown]
	v_lshlrev_b32_e64 v82, v0, -1
	s_set_vgpr_msb 0                        ;  msbs: dst=0 src0=0 src1=0 src2=0
	v_lshrrev_b32_e32 v0, v10, v20
	v_mov_b64_e32 v[26:27], v[86:87]
	v_mov_b64_e32 v[24:25], v[96:97]
	;; [unrolled: 1-line block ×4, first 2 shown]
	v_bitop3_b32 v54, v0, v82, v0 bitop3:0x30
	v_mov_b64_e32 v[48:49], v[112:113]
	v_mov_b64_e32 v[20:21], v[116:117]
	;; [unrolled: 1-line block ×4, first 2 shown]
	v_lshlrev_b32_e32 v52, 30, v54
	v_bitop3_b32 v0, v0, 1, v82 bitop3:0x40
	v_lshlrev_b32_e32 v68, 25, v54
	v_mov_b64_e32 v[70:71], v[102:103]
	s_set_vgpr_msb 1                        ;  msbs: dst=0 src0=1 src1=0 src2=0
	ds_store_b64 v28 /*v284*/, v[16:17]
	ds_store_b64 v30 /*v286*/, v[16:17]
	s_set_vgpr_msb 0                        ;  msbs: dst=0 src0=0 src1=0 src2=0
	v_not_b32_e32 v55, v52
	v_add_co_u32 v0, s14, v0, -1
	s_delay_alu instid0(VALU_DEP_1) | instskip(NEXT) | instid1(VALU_DEP_3)
	v_cndmask_b32_e64 v53, 0, 1, s14
	v_dual_lshlrev_b32 v64, 29, v54 :: v_dual_ashrrev_i32 v55, 31, v55
	v_cmp_gt_i32_e64 s15, 0, v52
	s_set_vgpr_msb 1                        ;  msbs: dst=0 src0=1 src1=0 src2=0
	ds_store_b64 v32 /*v288*/, v[16:17]
	ds_store_b64 v34 /*v290*/, v[16:17]
	v_cmp_ne_u32_e64 s14, 0, v53
	v_lshlrev_b32_e32 v65, 28, v54
	s_set_vgpr_msb 0                        ;  msbs: dst=0 src0=0 src1=0 src2=0
	v_not_b32_e32 v66, v64
	v_xor_b32_e32 v55, s15, v55
	v_mov_b64_e32 v[52:53], v[166:167]
	v_xor_b32_e32 v0, s14, v0
	v_not_b32_e32 v67, v65
	v_cmp_gt_i32_e64 s14, 0, v64
	v_ashrrev_i32_e32 v64, 31, v66
	v_lshlrev_b32_e32 v66, 27, v54
	v_cmp_gt_i32_e64 s15, 0, v65
	v_ashrrev_i32_e32 v65, 31, v67
	v_bitop3_b32 v0, v0, v55, exec_lo bitop3:0x80
	v_dual_lshlrev_b32 v55, 26, v54 :: v_dual_bitop2_b32 v64, s14, v64 bitop3:0x14
	v_not_b32_e32 v67, v66
	s_delay_alu instid0(VALU_DEP_4) | instskip(SKIP_1) | instid1(VALU_DEP_4)
	v_xor_b32_e32 v65, s15, v65
	v_cmp_gt_i32_e64 s14, 0, v66
	v_not_b32_e32 v66, v55
	v_cmp_gt_i32_e64 s15, 0, v55
	v_dual_ashrrev_i32 v67, 31, v67 :: v_dual_lshlrev_b32 v55, 24, v54
	v_bitop3_b32 v0, v0, v65, v64 bitop3:0x80
	s_delay_alu instid0(VALU_DEP_4) | instskip(SKIP_1) | instid1(VALU_DEP_4)
	v_ashrrev_i32_e32 v66, 31, v66
	v_not_b32_e32 v64, v68
	v_xor_b32_e32 v65, s14, v67
	v_not_b32_e32 v67, v55
	v_cmp_gt_i32_e64 s14, 0, v68
	s_delay_alu instid0(VALU_DEP_4) | instskip(SKIP_1) | instid1(VALU_DEP_4)
	v_dual_ashrrev_i32 v64, 31, v64 :: v_dual_bitop2_b32 v66, s15, v66 bitop3:0x14
	v_cmp_gt_i32_e64 s15, 0, v55
	v_dual_ashrrev_i32 v55, 31, v67 :: v_dual_lshlrev_b32 v67, 3, v54
	s_delay_alu instid0(VALU_DEP_3) | instskip(NEXT) | instid1(VALU_DEP_4)
	v_bitop3_b32 v68, v0, v66, v65 bitop3:0x80
	v_xor_b32_e32 v69, s14, v64
	v_mov_b64_e32 v[64:65], v[164:165]
	s_delay_alu instid0(VALU_DEP_4)
	v_xor_b32_e32 v80, s15, v55
	s_set_vgpr_msb 4                        ;  msbs: dst=0 src0=0 src1=1 src2=0
	v_add_lshl_u32 v0, v67, v36 /*v292*/, 2
	v_mov_b64_e32 v[54:55], v[114:115]
	v_mov_b64_e32 v[66:67], v[118:119]
	s_wait_dscnt 0x0
	s_set_vgpr_msb 0                        ;  msbs: dst=0 src0=0 src1=0 src2=0
	v_bitop3_b32 v83, v68, v80, v69 bitop3:0x80
	v_add_nc_u64_e32 v[80:81], v[12:13], v[0:1]
	v_mov_b64_e32 v[68:69], v[176:177]
	s_barrier_signal -1
	s_barrier_wait -1
	v_mbcnt_lo_u32_b32 v0, v83, 0
	v_cmp_ne_u32_e64 s15, 0, v83
	s_delay_alu instid0(VALU_DEP_4) | instskip(NEXT) | instid1(VALU_DEP_3)
	v_add_nc_u64_e32 v[80:81], 32, v[80:81]
	v_cmp_eq_u32_e64 s14, 0, v0
	; wave barrier
	s_and_b32 s15, s15, s14
	s_delay_alu instid0(SALU_CYCLE_1)
	s_and_saveexec_b32 s14, s15
; %bb.57:                               ;   in Loop: Header=BB185_56 Depth=1
	v_bcnt_u32_b32 v81, v83, 0
	ds_store_b32 v80, v81
; %bb.58:                               ;   in Loop: Header=BB185_56 Depth=1
	s_or_b32 exec_lo, exec_lo, s14
	s_set_vgpr_msb 4                        ;  msbs: dst=0 src0=0 src1=1 src2=0
	v_and_b32_e32 v81, 0xff, v22 /*v278*/
	v_not_b32_e32 v98, v82
	; wave barrier
	s_set_vgpr_msb 0                        ;  msbs: dst=0 src0=0 src1=0 src2=0
	s_delay_alu instid0(VALU_DEP_2) | instskip(NEXT) | instid1(VALU_DEP_1)
	v_lshrrev_b32_e32 v81, v10, v81
	v_and_b32_e32 v82, v81, v98
	s_delay_alu instid0(VALU_DEP_1) | instskip(SKIP_1) | instid1(VALU_DEP_2)
	v_lshlrev_b32_e32 v85, 30, v82
	v_bitop3_b32 v81, v81, 1, v98 bitop3:0x80
	v_cmp_gt_i32_e64 s15, 0, v85
	s_delay_alu instid0(VALU_DEP_2) | instskip(NEXT) | instid1(VALU_DEP_1)
	v_add_co_u32 v81, s14, v81, -1
	v_cndmask_b32_e64 v84, 0, 1, s14
	s_delay_alu instid0(VALU_DEP_1) | instskip(SKIP_1) | instid1(VALU_DEP_1)
	v_cmp_ne_u32_e64 s14, 0, v84
	v_not_b32_e32 v84, v85
	v_dual_ashrrev_i32 v84, 31, v84 :: v_dual_lshlrev_b32 v86, 29, v82
	v_dual_lshlrev_b32 v87, 28, v82 :: v_dual_lshlrev_b32 v96, 27, v82
	v_lshlrev_b32_e32 v97, 26, v82
	s_set_vgpr_msb 16                       ;  msbs: dst=0 src0=0 src1=0 src2=1
	v_lshl_add_u32 v83, v82, 3, v36 /*v292*/
	v_cmp_gt_i32_e64 s16, 0, v86
	v_not_b32_e32 v85, v86
	v_not_b32_e32 v86, v87
	v_dual_lshlrev_b32 v99, 25, v82 :: v_dual_lshlrev_b32 v82, 24, v82
	v_cmp_gt_i32_e64 s17, 0, v87
	v_cmp_gt_i32_e64 s18, 0, v96
	v_not_b32_e32 v87, v96
	v_dual_ashrrev_i32 v86, 31, v86 :: v_dual_bitop2_b32 v81, s14, v81 bitop3:0x14
	v_dual_ashrrev_i32 v85, 31, v85 :: v_dual_bitop2_b32 v84, s15, v84 bitop3:0x14
	v_not_b32_e32 v96, v97
	v_cmp_gt_i32_e64 s19, 0, v97
	s_delay_alu instid0(VALU_DEP_3)
	v_dual_ashrrev_i32 v87, 31, v87 :: v_dual_bitop2_b32 v85, s16, v85 bitop3:0x14
	v_xor_b32_e32 v86, s17, v86
	v_bitop3_b32 v81, v81, v84, exec_lo bitop3:0x80
	v_ashrrev_i32_e32 v84, 31, v96
	v_not_b32_e32 v96, v99
	v_not_b32_e32 v97, v82
	v_xor_b32_e32 v87, s18, v87
	s_set_vgpr_msb 0                        ;  msbs: dst=0 src0=0 src1=0 src2=0
	v_bitop3_b32 v81, v81, v86, v85 bitop3:0x80
	v_xor_b32_e32 v84, s19, v84
	v_cmp_gt_i32_e64 s14, 0, v99
	v_ashrrev_i32_e32 v85, 31, v96
	v_cmp_gt_i32_e64 s15, 0, v82
	v_ashrrev_i32_e32 v82, 31, v97
	v_lshl_add_u32 v83, v83, 2, v12
	v_bitop3_b32 v84, v81, v84, v87 bitop3:0x80
	v_xor_b32_e32 v85, s14, v85
	s_delay_alu instid0(VALU_DEP_4) | instskip(SKIP_3) | instid1(VALU_DEP_1)
	v_xor_b32_e32 v82, s15, v82
	ds_load_b32 v81, v83 offset:32
	v_add_nc_u32_e32 v83, 32, v83
	; wave barrier
	v_bitop3_b32 v84, v84, v82, v85 bitop3:0x80
	v_mbcnt_lo_u32_b32 v82, v84, 0
	v_cmp_ne_u32_e64 s15, 0, v84
	s_delay_alu instid0(VALU_DEP_2) | instskip(SKIP_1) | instid1(SALU_CYCLE_1)
	v_cmp_eq_u32_e64 s14, 0, v82
	s_and_b32 s15, s15, s14
	s_and_saveexec_b32 s14, s15
	s_cbranch_execz .LBB185_60
; %bb.59:                               ;   in Loop: Header=BB185_56 Depth=1
	s_wait_dscnt 0x0
	v_bcnt_u32_b32 v84, v84, v81
	ds_store_b32 v83, v84
.LBB185_60:                             ;   in Loop: Header=BB185_56 Depth=1
	s_or_b32 exec_lo, exec_lo, s14
	s_set_vgpr_msb 4                        ;  msbs: dst=0 src0=0 src1=1 src2=0
	v_and_b32_e32 v84, 0xff, v23 /*v279*/
	; wave barrier
	s_set_vgpr_msb 0                        ;  msbs: dst=0 src0=0 src1=0 src2=0
	s_delay_alu instid0(VALU_DEP_1) | instskip(NEXT) | instid1(VALU_DEP_1)
	v_lshrrev_b32_e32 v84, v10, v84
	v_and_b32_e32 v85, v84, v98
	s_delay_alu instid0(VALU_DEP_1) | instskip(SKIP_1) | instid1(VALU_DEP_2)
	v_lshlrev_b32_e32 v96, 30, v85
	v_bitop3_b32 v84, v84, 1, v98 bitop3:0x80
	v_cmp_gt_i32_e64 s15, 0, v96
	s_delay_alu instid0(VALU_DEP_2) | instskip(NEXT) | instid1(VALU_DEP_1)
	v_add_co_u32 v84, s14, v84, -1
	v_cndmask_b32_e64 v87, 0, 1, s14
	s_delay_alu instid0(VALU_DEP_1) | instskip(SKIP_1) | instid1(VALU_DEP_1)
	v_cmp_ne_u32_e64 s14, 0, v87
	v_not_b32_e32 v87, v96
	v_dual_ashrrev_i32 v87, 31, v87 :: v_dual_lshlrev_b32 v97, 29, v85
	v_dual_lshlrev_b32 v99, 28, v85 :: v_dual_lshlrev_b32 v100, 27, v85
	v_lshlrev_b32_e32 v101, 26, v85
	s_set_vgpr_msb 16                       ;  msbs: dst=0 src0=0 src1=0 src2=1
	v_lshl_add_u32 v86, v85, 3, v36 /*v292*/
	v_cmp_gt_i32_e64 s16, 0, v97
	v_not_b32_e32 v96, v97
	v_not_b32_e32 v97, v99
	v_dual_lshlrev_b32 v102, 25, v85 :: v_dual_lshlrev_b32 v85, 24, v85
	v_cmp_gt_i32_e64 s17, 0, v99
	v_cmp_gt_i32_e64 s18, 0, v100
	v_not_b32_e32 v99, v100
	v_not_b32_e32 v100, v101
	v_dual_ashrrev_i32 v97, 31, v97 :: v_dual_bitop2_b32 v84, s14, v84 bitop3:0x14
	v_dual_ashrrev_i32 v96, 31, v96 :: v_dual_bitop2_b32 v87, s15, v87 bitop3:0x14
	v_cmp_gt_i32_e64 s19, 0, v101
	s_delay_alu instid0(VALU_DEP_4) | instskip(SKIP_1) | instid1(VALU_DEP_4)
	v_dual_ashrrev_i32 v99, 31, v99 :: v_dual_ashrrev_i32 v100, 31, v100
	v_not_b32_e32 v101, v85
	v_bitop3_b32 v84, v84, v87, exec_lo bitop3:0x80
	v_not_b32_e32 v87, v102
	v_xor_b32_e32 v96, s16, v96
	s_set_vgpr_msb 0                        ;  msbs: dst=0 src0=0 src1=0 src2=0
	v_lshl_add_u32 v86, v86, 2, v12
	v_xor_b32_e32 v97, s17, v97
	v_xor_b32_e32 v99, s18, v99
	;; [unrolled: 1-line block ×3, first 2 shown]
	v_cmp_gt_i32_e64 s14, 0, v102
	v_ashrrev_i32_e32 v87, 31, v87
	v_bitop3_b32 v84, v84, v97, v96 bitop3:0x80
	v_cmp_gt_i32_e64 s15, 0, v85
	s_delay_alu instid0(VALU_DEP_3) | instskip(NEXT) | instid1(VALU_DEP_3)
	v_dual_ashrrev_i32 v85, 31, v101 :: v_dual_bitop2_b32 v87, s14, v87 bitop3:0x14
	v_bitop3_b32 v96, v84, v100, v99 bitop3:0x80
	ds_load_b32 v84, v86 offset:32
	v_dual_add_nc_u32 v86, 32, v86 :: v_dual_bitop2_b32 v85, s15, v85 bitop3:0x14
	; wave barrier
	s_delay_alu instid0(VALU_DEP_1) | instskip(NEXT) | instid1(VALU_DEP_1)
	v_bitop3_b32 v87, v96, v85, v87 bitop3:0x80
	v_mbcnt_lo_u32_b32 v85, v87, 0
	v_cmp_ne_u32_e64 s15, 0, v87
	s_delay_alu instid0(VALU_DEP_2) | instskip(SKIP_1) | instid1(SALU_CYCLE_1)
	v_cmp_eq_u32_e64 s14, 0, v85
	s_and_b32 s15, s15, s14
	s_and_saveexec_b32 s14, s15
	s_cbranch_execz .LBB185_62
; %bb.61:                               ;   in Loop: Header=BB185_56 Depth=1
	s_wait_dscnt 0x0
	v_bcnt_u32_b32 v87, v87, v84
	ds_store_b32 v86, v87
.LBB185_62:                             ;   in Loop: Header=BB185_56 Depth=1
	s_or_b32 exec_lo, exec_lo, s14
	s_set_vgpr_msb 4                        ;  msbs: dst=0 src0=0 src1=1 src2=0
	v_and_b32_e32 v87, 0xff, v24 /*v280*/
	; wave barrier
	s_set_vgpr_msb 0                        ;  msbs: dst=0 src0=0 src1=0 src2=0
	s_delay_alu instid0(VALU_DEP_1) | instskip(NEXT) | instid1(VALU_DEP_1)
	v_lshrrev_b32_e32 v87, v10, v87
	v_and_b32_e32 v96, v87, v98
	s_delay_alu instid0(VALU_DEP_1) | instskip(SKIP_1) | instid1(VALU_DEP_2)
	v_lshlrev_b32_e32 v100, 30, v96
	v_bitop3_b32 v87, v87, 1, v98 bitop3:0x80
	v_cmp_gt_i32_e64 s15, 0, v100
	s_delay_alu instid0(VALU_DEP_2) | instskip(NEXT) | instid1(VALU_DEP_1)
	v_add_co_u32 v87, s14, v87, -1
	v_cndmask_b32_e64 v99, 0, 1, s14
	s_delay_alu instid0(VALU_DEP_1) | instskip(SKIP_1) | instid1(VALU_DEP_1)
	v_cmp_ne_u32_e64 s14, 0, v99
	v_not_b32_e32 v99, v100
	v_dual_ashrrev_i32 v99, 31, v99 :: v_dual_lshlrev_b32 v101, 29, v96
	v_dual_lshlrev_b32 v102, 28, v96 :: v_dual_lshlrev_b32 v103, 27, v96
	v_lshlrev_b32_e32 v112, 26, v96
	s_set_vgpr_msb 16                       ;  msbs: dst=0 src0=0 src1=0 src2=1
	v_lshl_add_u32 v97, v96, 3, v36 /*v292*/
	v_cmp_gt_i32_e64 s16, 0, v101
	v_not_b32_e32 v100, v101
	v_not_b32_e32 v101, v102
	v_dual_lshlrev_b32 v113, 25, v96 :: v_dual_lshlrev_b32 v96, 24, v96
	v_cmp_gt_i32_e64 s17, 0, v102
	v_cmp_gt_i32_e64 s18, 0, v103
	v_not_b32_e32 v102, v103
	v_not_b32_e32 v103, v112
	v_dual_ashrrev_i32 v100, 31, v100 :: v_dual_bitop2_b32 v87, s14, v87 bitop3:0x14
	v_dual_ashrrev_i32 v101, 31, v101 :: v_dual_bitop2_b32 v99, s15, v99 bitop3:0x14
	v_cmp_gt_i32_e64 s19, 0, v112
	s_delay_alu instid0(VALU_DEP_4) | instskip(SKIP_1) | instid1(VALU_DEP_4)
	v_dual_ashrrev_i32 v102, 31, v102 :: v_dual_ashrrev_i32 v103, 31, v103
	v_not_b32_e32 v112, v96
	v_xor_b32_e32 v101, s17, v101
	v_bitop3_b32 v87, v87, v99, exec_lo bitop3:0x80
	v_not_b32_e32 v99, v113
	v_xor_b32_e32 v100, s16, v100
	v_xor_b32_e32 v103, s19, v103
	v_cmp_gt_i32_e64 s14, 0, v113
	v_cmp_gt_i32_e64 s15, 0, v96
	v_dual_ashrrev_i32 v99, 31, v99 :: v_dual_ashrrev_i32 v96, 31, v112
	s_set_vgpr_msb 0                        ;  msbs: dst=0 src0=0 src1=0 src2=0
	v_bitop3_b32 v87, v87, v101, v100 bitop3:0x80
	v_lshl_add_u32 v97, v97, 2, v12
	v_xor_b32_e32 v102, s18, v102
	v_xor_b32_e32 v99, s14, v99
	;; [unrolled: 1-line block ×3, first 2 shown]
	s_delay_alu instid0(VALU_DEP_3) | instskip(SKIP_3) | instid1(VALU_DEP_1)
	v_bitop3_b32 v100, v87, v103, v102 bitop3:0x80
	ds_load_b32 v87, v97 offset:32
	v_add_nc_u32_e32 v97, 32, v97
	; wave barrier
	v_bitop3_b32 v99, v100, v96, v99 bitop3:0x80
	v_mbcnt_lo_u32_b32 v96, v99, 0
	v_cmp_ne_u32_e64 s15, 0, v99
	s_delay_alu instid0(VALU_DEP_2) | instskip(SKIP_1) | instid1(SALU_CYCLE_1)
	v_cmp_eq_u32_e64 s14, 0, v96
	s_and_b32 s15, s15, s14
	s_and_saveexec_b32 s14, s15
	s_cbranch_execz .LBB185_64
; %bb.63:                               ;   in Loop: Header=BB185_56 Depth=1
	s_wait_dscnt 0x0
	v_bcnt_u32_b32 v99, v99, v87
	ds_store_b32 v97, v99
.LBB185_64:                             ;   in Loop: Header=BB185_56 Depth=1
	s_or_b32 exec_lo, exec_lo, s14
	s_set_vgpr_msb 4                        ;  msbs: dst=0 src0=0 src1=1 src2=0
	v_and_b32_e32 v99, 0xff, v25 /*v281*/
	; wave barrier
	s_set_vgpr_msb 0                        ;  msbs: dst=0 src0=0 src1=0 src2=0
	s_delay_alu instid0(VALU_DEP_1) | instskip(NEXT) | instid1(VALU_DEP_1)
	v_lshrrev_b32_e32 v99, v10, v99
	v_and_b32_e32 v100, v99, v98
	s_delay_alu instid0(VALU_DEP_1) | instskip(SKIP_2) | instid1(VALU_DEP_3)
	v_lshlrev_b32_e32 v103, 30, v100
	v_bitop3_b32 v99, v99, 1, v98 bitop3:0x80
	v_lshlrev_b32_e32 v112, 29, v100
	v_cmp_gt_i32_e64 s15, 0, v103
	s_delay_alu instid0(VALU_DEP_3) | instskip(NEXT) | instid1(VALU_DEP_1)
	v_add_co_u32 v99, s14, v99, -1
	v_cndmask_b32_e64 v102, 0, 1, s14
	s_delay_alu instid0(VALU_DEP_1) | instskip(SKIP_2) | instid1(VALU_DEP_2)
	v_cmp_ne_u32_e64 s14, 0, v102
	v_not_b32_e32 v102, v103
	v_not_b32_e32 v103, v112
	v_dual_ashrrev_i32 v102, 31, v102 :: v_dual_bitop2_b32 v99, s14, v99 bitop3:0x14
	s_delay_alu instid0(VALU_DEP_2)
	v_dual_ashrrev_i32 v103, 31, v103 :: v_dual_lshlrev_b32 v113, 28, v100
	v_dual_lshlrev_b32 v114, 27, v100 :: v_dual_lshlrev_b32 v115, 26, v100
	v_cmp_gt_i32_e64 s16, 0, v112
	s_set_vgpr_msb 16                       ;  msbs: dst=0 src0=0 src1=0 src2=1
	v_lshl_add_u32 v101, v100, 3, v36 /*v292*/
	v_not_b32_e32 v112, v113
	v_dual_lshlrev_b32 v116, 25, v100 :: v_dual_lshlrev_b32 v100, 24, v100
	v_cmp_gt_i32_e64 s17, 0, v113
	v_cmp_gt_i32_e64 s18, 0, v114
	v_not_b32_e32 v113, v114
	v_not_b32_e32 v114, v115
	v_dual_ashrrev_i32 v112, 31, v112 :: v_dual_bitop2_b32 v102, s15, v102 bitop3:0x14
	v_cmp_gt_i32_e64 s19, 0, v115
	s_delay_alu instid0(VALU_DEP_3) | instskip(SKIP_1) | instid1(VALU_DEP_4)
	v_dual_ashrrev_i32 v113, 31, v113 :: v_dual_ashrrev_i32 v114, 31, v114
	v_not_b32_e32 v115, v100
	v_xor_b32_e32 v112, s17, v112
	v_bitop3_b32 v99, v99, v102, exec_lo bitop3:0x80
	v_not_b32_e32 v102, v116
	v_xor_b32_e32 v103, s16, v103
	v_xor_b32_e32 v113, s18, v113
	v_cmp_gt_i32_e64 s14, 0, v116
	v_cmp_gt_i32_e64 s15, 0, v100
	v_dual_ashrrev_i32 v102, 31, v102 :: v_dual_ashrrev_i32 v100, 31, v115
	s_set_vgpr_msb 0                        ;  msbs: dst=0 src0=0 src1=0 src2=0
	v_bitop3_b32 v99, v99, v112, v103 bitop3:0x80
	v_lshl_add_u32 v101, v101, 2, v12
	v_xor_b32_e32 v114, s19, v114
	v_xor_b32_e32 v102, s14, v102
	;; [unrolled: 1-line block ×3, first 2 shown]
	s_delay_alu instid0(VALU_DEP_3) | instskip(SKIP_3) | instid1(VALU_DEP_1)
	v_bitop3_b32 v103, v99, v114, v113 bitop3:0x80
	ds_load_b32 v99, v101 offset:32
	v_add_nc_u32_e32 v101, 32, v101
	; wave barrier
	v_bitop3_b32 v102, v103, v100, v102 bitop3:0x80
	v_mbcnt_lo_u32_b32 v100, v102, 0
	v_cmp_ne_u32_e64 s15, 0, v102
	s_delay_alu instid0(VALU_DEP_2) | instskip(SKIP_1) | instid1(SALU_CYCLE_1)
	v_cmp_eq_u32_e64 s14, 0, v100
	s_and_b32 s15, s15, s14
	s_and_saveexec_b32 s14, s15
	s_cbranch_execz .LBB185_66
; %bb.65:                               ;   in Loop: Header=BB185_56 Depth=1
	s_wait_dscnt 0x0
	v_bcnt_u32_b32 v102, v102, v99
	ds_store_b32 v101, v102
.LBB185_66:                             ;   in Loop: Header=BB185_56 Depth=1
	s_or_b32 exec_lo, exec_lo, s14
	s_set_vgpr_msb 4                        ;  msbs: dst=0 src0=0 src1=1 src2=0
	v_and_b32_e32 v102, 0xff, v26 /*v282*/
	; wave barrier
	s_set_vgpr_msb 0                        ;  msbs: dst=0 src0=0 src1=0 src2=0
	s_delay_alu instid0(VALU_DEP_1) | instskip(NEXT) | instid1(VALU_DEP_1)
	v_lshrrev_b32_e32 v102, v10, v102
	v_and_b32_e32 v103, v102, v98
	s_delay_alu instid0(VALU_DEP_1) | instskip(SKIP_1) | instid1(VALU_DEP_2)
	v_lshlrev_b32_e32 v114, 30, v103
	v_bitop3_b32 v102, v102, 1, v98 bitop3:0x80
	v_cmp_gt_i32_e64 s15, 0, v114
	s_delay_alu instid0(VALU_DEP_2) | instskip(NEXT) | instid1(VALU_DEP_1)
	v_add_co_u32 v102, s14, v102, -1
	v_cndmask_b32_e64 v113, 0, 1, s14
	s_delay_alu instid0(VALU_DEP_1) | instskip(SKIP_1) | instid1(VALU_DEP_1)
	v_cmp_ne_u32_e64 s14, 0, v113
	v_not_b32_e32 v113, v114
	v_dual_ashrrev_i32 v113, 31, v113 :: v_dual_lshlrev_b32 v115, 29, v103
	v_dual_lshlrev_b32 v116, 28, v103 :: v_dual_lshlrev_b32 v117, 27, v103
	v_lshlrev_b32_e32 v118, 26, v103
	s_set_vgpr_msb 16                       ;  msbs: dst=0 src0=0 src1=0 src2=1
	v_lshl_add_u32 v112, v103, 3, v36 /*v292*/
	v_cmp_gt_i32_e64 s16, 0, v115
	v_not_b32_e32 v114, v115
	v_not_b32_e32 v115, v116
	v_dual_lshlrev_b32 v119, 25, v103 :: v_dual_lshlrev_b32 v103, 24, v103
	v_cmp_gt_i32_e64 s17, 0, v116
	v_cmp_gt_i32_e64 s18, 0, v117
	v_not_b32_e32 v116, v117
	v_not_b32_e32 v117, v118
	v_dual_ashrrev_i32 v115, 31, v115 :: v_dual_bitop2_b32 v102, s14, v102 bitop3:0x14
	v_dual_ashrrev_i32 v114, 31, v114 :: v_dual_bitop2_b32 v113, s15, v113 bitop3:0x14
	v_cmp_gt_i32_e64 s19, 0, v118
	s_delay_alu instid0(VALU_DEP_4)
	v_dual_ashrrev_i32 v116, 31, v116 :: v_dual_ashrrev_i32 v117, 31, v117
	v_not_b32_e32 v118, v103
	v_xor_b32_e32 v115, s17, v115
	v_bitop3_b32 v102, v102, v113, exec_lo bitop3:0x80
	v_not_b32_e32 v113, v119
	v_xor_b32_e32 v114, s16, v114
	v_xor_b32_e32 v116, s18, v116
	v_cmp_gt_i32_e64 s14, 0, v119
	v_cmp_gt_i32_e64 s15, 0, v103
	v_dual_ashrrev_i32 v113, 31, v113 :: v_dual_ashrrev_i32 v103, 31, v118
	s_set_vgpr_msb 0                        ;  msbs: dst=0 src0=0 src1=0 src2=0
	v_bitop3_b32 v102, v102, v115, v114 bitop3:0x80
	v_lshl_add_u32 v112, v112, 2, v12
	v_xor_b32_e32 v117, s19, v117
	v_xor_b32_e32 v113, s14, v113
	;; [unrolled: 1-line block ×3, first 2 shown]
	s_delay_alu instid0(VALU_DEP_3) | instskip(SKIP_3) | instid1(VALU_DEP_1)
	v_bitop3_b32 v114, v102, v117, v116 bitop3:0x80
	ds_load_b32 v102, v112 offset:32
	v_add_nc_u32_e32 v112, 32, v112
	; wave barrier
	v_bitop3_b32 v113, v114, v103, v113 bitop3:0x80
	v_mbcnt_lo_u32_b32 v103, v113, 0
	v_cmp_ne_u32_e64 s15, 0, v113
	s_delay_alu instid0(VALU_DEP_2) | instskip(SKIP_1) | instid1(SALU_CYCLE_1)
	v_cmp_eq_u32_e64 s14, 0, v103
	s_and_b32 s15, s15, s14
	s_and_saveexec_b32 s14, s15
	s_cbranch_execz .LBB185_68
; %bb.67:                               ;   in Loop: Header=BB185_56 Depth=1
	s_wait_dscnt 0x0
	v_bcnt_u32_b32 v113, v113, v102
	ds_store_b32 v112, v113
.LBB185_68:                             ;   in Loop: Header=BB185_56 Depth=1
	s_or_b32 exec_lo, exec_lo, s14
	s_set_vgpr_msb 4                        ;  msbs: dst=0 src0=0 src1=1 src2=0
	v_and_b32_e32 v113, 0xff, v17 /*v273*/
	; wave barrier
	s_set_vgpr_msb 0                        ;  msbs: dst=0 src0=0 src1=0 src2=0
	s_delay_alu instid0(VALU_DEP_1) | instskip(NEXT) | instid1(VALU_DEP_1)
	v_lshrrev_b32_e32 v113, v10, v113
	v_and_b32_e32 v114, v113, v98
	s_delay_alu instid0(VALU_DEP_1) | instskip(SKIP_1) | instid1(VALU_DEP_2)
	v_lshlrev_b32_e32 v117, 30, v114
	v_bitop3_b32 v113, v113, 1, v98 bitop3:0x80
	v_cmp_gt_i32_e64 s15, 0, v117
	s_delay_alu instid0(VALU_DEP_2) | instskip(NEXT) | instid1(VALU_DEP_1)
	v_add_co_u32 v113, s14, v113, -1
	v_cndmask_b32_e64 v116, 0, 1, s14
	s_delay_alu instid0(VALU_DEP_1) | instskip(SKIP_1) | instid1(VALU_DEP_1)
	v_cmp_ne_u32_e64 s14, 0, v116
	v_not_b32_e32 v116, v117
	v_dual_ashrrev_i32 v116, 31, v116 :: v_dual_lshlrev_b32 v118, 29, v114
	v_dual_lshlrev_b32 v119, 28, v114 :: v_dual_lshlrev_b32 v128, 27, v114
	v_lshlrev_b32_e32 v129, 26, v114
	s_set_vgpr_msb 16                       ;  msbs: dst=0 src0=0 src1=0 src2=1
	v_lshl_add_u32 v115, v114, 3, v36 /*v292*/
	v_cmp_gt_i32_e64 s16, 0, v118
	v_not_b32_e32 v117, v118
	v_not_b32_e32 v118, v119
	v_dual_lshlrev_b32 v130, 25, v114 :: v_dual_lshlrev_b32 v114, 24, v114
	v_cmp_gt_i32_e64 s17, 0, v119
	v_cmp_gt_i32_e64 s18, 0, v128
	v_not_b32_e32 v119, v128
	v_not_b32_e32 v128, v129
	v_dual_ashrrev_i32 v118, 31, v118 :: v_dual_bitop2_b32 v113, s14, v113 bitop3:0x14
	v_dual_ashrrev_i32 v117, 31, v117 :: v_dual_bitop2_b32 v116, s15, v116 bitop3:0x14
	v_cmp_gt_i32_e64 s19, 0, v129
	s_delay_alu instid0(VALU_DEP_4)
	v_dual_ashrrev_i32 v119, 31, v119 :: v_dual_ashrrev_i32 v128, 31, v128
	v_not_b32_e32 v129, v114
	v_xor_b32_e32 v118, s17, v118
	v_bitop3_b32 v113, v113, v116, exec_lo bitop3:0x80
	v_not_b32_e32 v116, v130
	v_xor_b32_e32 v117, s16, v117
	v_xor_b32_e32 v119, s18, v119
	v_cmp_gt_i32_e64 s14, 0, v130
	v_cmp_gt_i32_e64 s15, 0, v114
	v_dual_ashrrev_i32 v116, 31, v116 :: v_dual_ashrrev_i32 v114, 31, v129
	s_set_vgpr_msb 0                        ;  msbs: dst=0 src0=0 src1=0 src2=0
	v_bitop3_b32 v113, v113, v118, v117 bitop3:0x80
	v_lshl_add_u32 v115, v115, 2, v12
	v_xor_b32_e32 v128, s19, v128
	v_xor_b32_e32 v116, s14, v116
	;; [unrolled: 1-line block ×3, first 2 shown]
	s_delay_alu instid0(VALU_DEP_3) | instskip(SKIP_3) | instid1(VALU_DEP_1)
	v_bitop3_b32 v117, v113, v128, v119 bitop3:0x80
	ds_load_b32 v113, v115 offset:32
	v_add_nc_u32_e32 v115, 32, v115
	; wave barrier
	v_bitop3_b32 v116, v117, v114, v116 bitop3:0x80
	v_mbcnt_lo_u32_b32 v114, v116, 0
	v_cmp_ne_u32_e64 s15, 0, v116
	s_delay_alu instid0(VALU_DEP_2) | instskip(SKIP_1) | instid1(SALU_CYCLE_1)
	v_cmp_eq_u32_e64 s14, 0, v114
	s_and_b32 s15, s15, s14
	s_and_saveexec_b32 s14, s15
	s_cbranch_execz .LBB185_70
; %bb.69:                               ;   in Loop: Header=BB185_56 Depth=1
	s_wait_dscnt 0x0
	v_bcnt_u32_b32 v116, v116, v113
	ds_store_b32 v115, v116
.LBB185_70:                             ;   in Loop: Header=BB185_56 Depth=1
	s_or_b32 exec_lo, exec_lo, s14
	s_set_vgpr_msb 4                        ;  msbs: dst=0 src0=0 src1=1 src2=0
	v_and_b32_e32 v116, 0xff, v18 /*v274*/
	; wave barrier
	s_set_vgpr_msb 0                        ;  msbs: dst=0 src0=0 src1=0 src2=0
	s_delay_alu instid0(VALU_DEP_1) | instskip(NEXT) | instid1(VALU_DEP_1)
	v_lshrrev_b32_e32 v116, v10, v116
	v_and_b32_e32 v117, v116, v98
	s_delay_alu instid0(VALU_DEP_1) | instskip(SKIP_1) | instid1(VALU_DEP_2)
	v_lshlrev_b32_e32 v128, 30, v117
	v_bitop3_b32 v116, v116, 1, v98 bitop3:0x80
	v_cmp_gt_i32_e64 s15, 0, v128
	s_delay_alu instid0(VALU_DEP_2) | instskip(NEXT) | instid1(VALU_DEP_1)
	v_add_co_u32 v116, s14, v116, -1
	v_cndmask_b32_e64 v119, 0, 1, s14
	s_delay_alu instid0(VALU_DEP_1) | instskip(SKIP_1) | instid1(VALU_DEP_1)
	v_cmp_ne_u32_e64 s14, 0, v119
	v_not_b32_e32 v119, v128
	v_dual_ashrrev_i32 v119, 31, v119 :: v_dual_lshlrev_b32 v129, 29, v117
	v_dual_lshlrev_b32 v130, 28, v117 :: v_dual_lshlrev_b32 v131, 27, v117
	v_lshlrev_b32_e32 v132, 26, v117
	s_set_vgpr_msb 16                       ;  msbs: dst=0 src0=0 src1=0 src2=1
	v_lshl_add_u32 v118, v117, 3, v36 /*v292*/
	v_cmp_gt_i32_e64 s16, 0, v129
	v_not_b32_e32 v128, v129
	v_not_b32_e32 v129, v130
	v_dual_lshlrev_b32 v133, 25, v117 :: v_dual_lshlrev_b32 v117, 24, v117
	v_cmp_gt_i32_e64 s17, 0, v130
	v_cmp_gt_i32_e64 s18, 0, v131
	v_not_b32_e32 v130, v131
	v_not_b32_e32 v131, v132
	v_dual_ashrrev_i32 v129, 31, v129 :: v_dual_bitop2_b32 v116, s14, v116 bitop3:0x14
	v_dual_ashrrev_i32 v128, 31, v128 :: v_dual_bitop2_b32 v119, s15, v119 bitop3:0x14
	v_cmp_gt_i32_e64 s19, 0, v132
	s_delay_alu instid0(VALU_DEP_4)
	v_dual_ashrrev_i32 v130, 31, v130 :: v_dual_ashrrev_i32 v131, 31, v131
	v_not_b32_e32 v132, v117
	v_xor_b32_e32 v129, s17, v129
	v_bitop3_b32 v116, v116, v119, exec_lo bitop3:0x80
	v_not_b32_e32 v119, v133
	v_xor_b32_e32 v128, s16, v128
	v_xor_b32_e32 v130, s18, v130
	v_cmp_gt_i32_e64 s14, 0, v133
	v_cmp_gt_i32_e64 s15, 0, v117
	v_dual_ashrrev_i32 v119, 31, v119 :: v_dual_ashrrev_i32 v117, 31, v132
	s_set_vgpr_msb 0                        ;  msbs: dst=0 src0=0 src1=0 src2=0
	v_bitop3_b32 v116, v116, v129, v128 bitop3:0x80
	v_lshl_add_u32 v118, v118, 2, v12
	v_xor_b32_e32 v131, s19, v131
	v_xor_b32_e32 v119, s14, v119
	;; [unrolled: 1-line block ×3, first 2 shown]
	s_delay_alu instid0(VALU_DEP_3) | instskip(SKIP_3) | instid1(VALU_DEP_1)
	v_bitop3_b32 v128, v116, v131, v130 bitop3:0x80
	ds_load_b32 v116, v118 offset:32
	v_add_nc_u32_e32 v118, 32, v118
	; wave barrier
	v_bitop3_b32 v119, v128, v117, v119 bitop3:0x80
	v_mbcnt_lo_u32_b32 v117, v119, 0
	v_cmp_ne_u32_e64 s15, 0, v119
	s_delay_alu instid0(VALU_DEP_2) | instskip(SKIP_1) | instid1(SALU_CYCLE_1)
	v_cmp_eq_u32_e64 s14, 0, v117
	s_and_b32 s15, s15, s14
	s_and_saveexec_b32 s14, s15
	s_cbranch_execz .LBB185_72
; %bb.71:                               ;   in Loop: Header=BB185_56 Depth=1
	s_wait_dscnt 0x0
	v_bcnt_u32_b32 v119, v119, v116
	ds_store_b32 v118, v119
.LBB185_72:                             ;   in Loop: Header=BB185_56 Depth=1
	s_or_b32 exec_lo, exec_lo, s14
	s_set_vgpr_msb 4                        ;  msbs: dst=0 src0=0 src1=1 src2=0
	v_and_b32_e32 v119, 0xff, v19 /*v275*/
	; wave barrier
	s_set_vgpr_msb 0                        ;  msbs: dst=0 src0=0 src1=0 src2=0
	s_delay_alu instid0(VALU_DEP_1) | instskip(NEXT) | instid1(VALU_DEP_1)
	v_lshrrev_b32_e32 v119, v10, v119
	v_and_b32_e32 v128, v119, v98
	s_delay_alu instid0(VALU_DEP_1) | instskip(SKIP_2) | instid1(VALU_DEP_3)
	v_lshlrev_b32_e32 v131, 30, v128
	v_bitop3_b32 v119, v119, 1, v98 bitop3:0x80
	v_lshlrev_b32_e32 v132, 29, v128
	v_cmp_gt_i32_e64 s15, 0, v131
	s_delay_alu instid0(VALU_DEP_3) | instskip(NEXT) | instid1(VALU_DEP_1)
	v_add_co_u32 v119, s14, v119, -1
	v_cndmask_b32_e64 v130, 0, 1, s14
	s_delay_alu instid0(VALU_DEP_1) | instskip(SKIP_2) | instid1(VALU_DEP_2)
	v_cmp_ne_u32_e64 s14, 0, v130
	v_not_b32_e32 v130, v131
	v_not_b32_e32 v131, v132
	v_dual_ashrrev_i32 v130, 31, v130 :: v_dual_bitop2_b32 v119, s14, v119 bitop3:0x14
	s_delay_alu instid0(VALU_DEP_2)
	v_dual_ashrrev_i32 v131, 31, v131 :: v_dual_lshlrev_b32 v133, 28, v128
	v_dual_lshlrev_b32 v134, 27, v128 :: v_dual_lshlrev_b32 v135, 26, v128
	v_cmp_gt_i32_e64 s16, 0, v132
	s_set_vgpr_msb 16                       ;  msbs: dst=0 src0=0 src1=0 src2=1
	v_lshl_add_u32 v129, v128, 3, v36 /*v292*/
	v_not_b32_e32 v132, v133
	v_dual_lshlrev_b32 v144, 25, v128 :: v_dual_lshlrev_b32 v128, 24, v128
	v_cmp_gt_i32_e64 s17, 0, v133
	v_cmp_gt_i32_e64 s18, 0, v134
	v_not_b32_e32 v133, v134
	v_not_b32_e32 v134, v135
	v_dual_ashrrev_i32 v132, 31, v132 :: v_dual_bitop2_b32 v130, s15, v130 bitop3:0x14
	v_cmp_gt_i32_e64 s19, 0, v135
	s_delay_alu instid0(VALU_DEP_3) | instskip(SKIP_1) | instid1(VALU_DEP_4)
	v_dual_ashrrev_i32 v133, 31, v133 :: v_dual_ashrrev_i32 v134, 31, v134
	v_not_b32_e32 v135, v128
	v_xor_b32_e32 v132, s17, v132
	v_bitop3_b32 v119, v119, v130, exec_lo bitop3:0x80
	v_not_b32_e32 v130, v144
	v_xor_b32_e32 v131, s16, v131
	v_xor_b32_e32 v133, s18, v133
	v_cmp_gt_i32_e64 s14, 0, v144
	v_cmp_gt_i32_e64 s15, 0, v128
	v_dual_ashrrev_i32 v130, 31, v130 :: v_dual_ashrrev_i32 v128, 31, v135
	s_set_vgpr_msb 0                        ;  msbs: dst=0 src0=0 src1=0 src2=0
	v_bitop3_b32 v119, v119, v132, v131 bitop3:0x80
	v_lshl_add_u32 v129, v129, 2, v12
	v_xor_b32_e32 v134, s19, v134
	v_xor_b32_e32 v130, s14, v130
	v_xor_b32_e32 v128, s15, v128
	s_delay_alu instid0(VALU_DEP_3) | instskip(SKIP_3) | instid1(VALU_DEP_1)
	v_bitop3_b32 v131, v119, v134, v133 bitop3:0x80
	ds_load_b32 v119, v129 offset:32
	v_add_nc_u32_e32 v129, 32, v129
	; wave barrier
	v_bitop3_b32 v130, v131, v128, v130 bitop3:0x80
	v_mbcnt_lo_u32_b32 v128, v130, 0
	v_cmp_ne_u32_e64 s15, 0, v130
	s_delay_alu instid0(VALU_DEP_2) | instskip(SKIP_1) | instid1(SALU_CYCLE_1)
	v_cmp_eq_u32_e64 s14, 0, v128
	s_and_b32 s15, s15, s14
	s_and_saveexec_b32 s14, s15
	s_cbranch_execz .LBB185_74
; %bb.73:                               ;   in Loop: Header=BB185_56 Depth=1
	s_wait_dscnt 0x0
	v_bcnt_u32_b32 v130, v130, v119
	ds_store_b32 v129, v130
.LBB185_74:                             ;   in Loop: Header=BB185_56 Depth=1
	s_or_b32 exec_lo, exec_lo, s14
	s_set_vgpr_msb 4                        ;  msbs: dst=0 src0=0 src1=1 src2=0
	v_and_b32_e32 v130, 0xff, v20 /*v276*/
	; wave barrier
	s_set_vgpr_msb 0                        ;  msbs: dst=0 src0=0 src1=0 src2=0
	s_delay_alu instid0(VALU_DEP_1) | instskip(NEXT) | instid1(VALU_DEP_1)
	v_lshrrev_b32_e32 v130, v10, v130
	v_and_b32_e32 v131, v130, v98
	s_delay_alu instid0(VALU_DEP_1) | instskip(SKIP_1) | instid1(VALU_DEP_2)
	v_lshlrev_b32_e32 v134, 30, v131
	v_bitop3_b32 v130, v130, 1, v98 bitop3:0x80
	v_cmp_gt_i32_e64 s15, 0, v134
	s_delay_alu instid0(VALU_DEP_2) | instskip(NEXT) | instid1(VALU_DEP_1)
	v_add_co_u32 v130, s14, v130, -1
	v_cndmask_b32_e64 v133, 0, 1, s14
	s_delay_alu instid0(VALU_DEP_1) | instskip(SKIP_1) | instid1(VALU_DEP_1)
	v_cmp_ne_u32_e64 s14, 0, v133
	v_not_b32_e32 v133, v134
	v_dual_ashrrev_i32 v133, 31, v133 :: v_dual_lshlrev_b32 v135, 29, v131
	v_dual_lshlrev_b32 v144, 28, v131 :: v_dual_lshlrev_b32 v145, 27, v131
	v_lshlrev_b32_e32 v146, 26, v131
	s_set_vgpr_msb 16                       ;  msbs: dst=0 src0=0 src1=0 src2=1
	v_lshl_add_u32 v132, v131, 3, v36 /*v292*/
	v_cmp_gt_i32_e64 s16, 0, v135
	v_not_b32_e32 v134, v135
	v_not_b32_e32 v135, v144
	v_dual_lshlrev_b32 v147, 25, v131 :: v_dual_lshlrev_b32 v131, 24, v131
	v_cmp_gt_i32_e64 s17, 0, v144
	v_cmp_gt_i32_e64 s18, 0, v145
	v_not_b32_e32 v144, v145
	v_not_b32_e32 v145, v146
	v_dual_ashrrev_i32 v135, 31, v135 :: v_dual_bitop2_b32 v130, s14, v130 bitop3:0x14
	v_dual_ashrrev_i32 v134, 31, v134 :: v_dual_bitop2_b32 v133, s15, v133 bitop3:0x14
	v_cmp_gt_i32_e64 s19, 0, v146
	s_delay_alu instid0(VALU_DEP_4)
	v_dual_ashrrev_i32 v144, 31, v144 :: v_dual_ashrrev_i32 v145, 31, v145
	v_not_b32_e32 v146, v131
	v_xor_b32_e32 v135, s17, v135
	v_bitop3_b32 v130, v130, v133, exec_lo bitop3:0x80
	v_not_b32_e32 v133, v147
	v_xor_b32_e32 v134, s16, v134
	v_xor_b32_e32 v144, s18, v144
	v_cmp_gt_i32_e64 s14, 0, v147
	v_cmp_gt_i32_e64 s15, 0, v131
	v_dual_ashrrev_i32 v133, 31, v133 :: v_dual_ashrrev_i32 v131, 31, v146
	s_set_vgpr_msb 0                        ;  msbs: dst=0 src0=0 src1=0 src2=0
	v_bitop3_b32 v130, v130, v135, v134 bitop3:0x80
	v_lshl_add_u32 v132, v132, 2, v12
	v_xor_b32_e32 v145, s19, v145
	v_xor_b32_e32 v133, s14, v133
	;; [unrolled: 1-line block ×3, first 2 shown]
	ds_load_b32 v162, v132 offset:32
	v_bitop3_b32 v130, v130, v145, v144 bitop3:0x80
	; wave barrier
	s_delay_alu instid0(VALU_DEP_1) | instskip(SKIP_1) | instid1(VALU_DEP_2)
	v_bitop3_b32 v131, v130, v131, v133 bitop3:0x80
	v_add_nc_u32_e32 v130, 32, v132
	v_mbcnt_lo_u32_b32 v163, v131, 0
	v_cmp_ne_u32_e64 s15, 0, v131
	s_delay_alu instid0(VALU_DEP_2) | instskip(SKIP_1) | instid1(SALU_CYCLE_1)
	v_cmp_eq_u32_e64 s14, 0, v163
	s_and_b32 s15, s15, s14
	s_and_saveexec_b32 s14, s15
	s_cbranch_execz .LBB185_76
; %bb.75:                               ;   in Loop: Header=BB185_56 Depth=1
	s_wait_dscnt 0x0
	v_bcnt_u32_b32 v131, v131, v162
	ds_store_b32 v130, v131
.LBB185_76:                             ;   in Loop: Header=BB185_56 Depth=1
	s_or_b32 exec_lo, exec_lo, s14
	s_set_vgpr_msb 4                        ;  msbs: dst=0 src0=0 src1=1 src2=0
	v_and_b32_e32 v131, 0xff, v21 /*v277*/
	; wave barrier
	s_set_vgpr_msb 0                        ;  msbs: dst=0 src0=0 src1=0 src2=0
	s_delay_alu instid0(VALU_DEP_1) | instskip(NEXT) | instid1(VALU_DEP_1)
	v_lshrrev_b32_e32 v131, v10, v131
	v_and_b32_e32 v132, v131, v98
	s_delay_alu instid0(VALU_DEP_1) | instskip(SKIP_2) | instid1(VALU_DEP_3)
	v_lshlrev_b32_e32 v135, 30, v132
	v_bitop3_b32 v131, v131, 1, v98 bitop3:0x80
	v_lshlrev_b32_e32 v144, 29, v132
	v_cmp_gt_i32_e64 s15, 0, v135
	s_delay_alu instid0(VALU_DEP_3) | instskip(NEXT) | instid1(VALU_DEP_1)
	v_add_co_u32 v131, s14, v131, -1
	v_cndmask_b32_e64 v134, 0, 1, s14
	s_delay_alu instid0(VALU_DEP_1) | instskip(SKIP_2) | instid1(VALU_DEP_2)
	v_cmp_ne_u32_e64 s14, 0, v134
	v_not_b32_e32 v134, v135
	v_not_b32_e32 v135, v144
	v_dual_ashrrev_i32 v134, 31, v134 :: v_dual_bitop2_b32 v131, s14, v131 bitop3:0x14
	s_delay_alu instid0(VALU_DEP_2)
	v_dual_ashrrev_i32 v135, 31, v135 :: v_dual_lshlrev_b32 v145, 28, v132
	v_dual_lshlrev_b32 v146, 27, v132 :: v_dual_lshlrev_b32 v147, 26, v132
	v_cmp_gt_i32_e64 s16, 0, v144
	s_set_vgpr_msb 16                       ;  msbs: dst=0 src0=0 src1=0 src2=1
	v_lshl_add_u32 v133, v132, 3, v36 /*v292*/
	v_not_b32_e32 v144, v145
	v_dual_lshlrev_b32 v148, 25, v132 :: v_dual_lshlrev_b32 v132, 24, v132
	v_cmp_gt_i32_e64 s17, 0, v145
	v_cmp_gt_i32_e64 s18, 0, v146
	v_not_b32_e32 v145, v146
	v_not_b32_e32 v146, v147
	v_dual_ashrrev_i32 v144, 31, v144 :: v_dual_bitop2_b32 v134, s15, v134 bitop3:0x14
	v_cmp_gt_i32_e64 s19, 0, v147
	s_delay_alu instid0(VALU_DEP_3) | instskip(SKIP_1) | instid1(VALU_DEP_4)
	v_dual_ashrrev_i32 v145, 31, v145 :: v_dual_ashrrev_i32 v146, 31, v146
	v_not_b32_e32 v147, v132
	v_xor_b32_e32 v144, s17, v144
	v_bitop3_b32 v131, v131, v134, exec_lo bitop3:0x80
	v_not_b32_e32 v134, v148
	v_xor_b32_e32 v135, s16, v135
	v_xor_b32_e32 v145, s18, v145
	v_cmp_gt_i32_e64 s14, 0, v148
	v_cmp_gt_i32_e64 s15, 0, v132
	v_dual_ashrrev_i32 v134, 31, v134 :: v_dual_ashrrev_i32 v132, 31, v147
	s_set_vgpr_msb 0                        ;  msbs: dst=0 src0=0 src1=0 src2=0
	v_bitop3_b32 v131, v131, v144, v135 bitop3:0x80
	v_lshl_add_u32 v133, v133, 2, v12
	v_xor_b32_e32 v146, s19, v146
	v_xor_b32_e32 v134, s14, v134
	;; [unrolled: 1-line block ×3, first 2 shown]
	ds_load_b32 v164, v133 offset:32
	v_bitop3_b32 v131, v131, v146, v145 bitop3:0x80
	; wave barrier
	s_delay_alu instid0(VALU_DEP_1) | instskip(SKIP_1) | instid1(VALU_DEP_2)
	v_bitop3_b32 v131, v131, v132, v134 bitop3:0x80
	v_add_nc_u32_e32 v132, 32, v133
	v_mbcnt_lo_u32_b32 v165, v131, 0
	v_cmp_ne_u32_e64 s15, 0, v131
	s_delay_alu instid0(VALU_DEP_2) | instskip(SKIP_1) | instid1(SALU_CYCLE_1)
	v_cmp_eq_u32_e64 s14, 0, v165
	s_and_b32 s15, s15, s14
	s_and_saveexec_b32 s14, s15
	s_cbranch_execz .LBB185_78
; %bb.77:                               ;   in Loop: Header=BB185_56 Depth=1
	s_wait_dscnt 0x0
	v_bcnt_u32_b32 v131, v131, v164
	ds_store_b32 v132, v131
.LBB185_78:                             ;   in Loop: Header=BB185_56 Depth=1
	s_or_b32 exec_lo, exec_lo, s14
	v_and_b32_e32 v131, 0xff, v39
	; wave barrier
	s_delay_alu instid0(VALU_DEP_1) | instskip(NEXT) | instid1(VALU_DEP_1)
	v_lshrrev_b32_e32 v131, v10, v131
	v_and_b32_e32 v133, v131, v98
	s_delay_alu instid0(VALU_DEP_1) | instskip(SKIP_1) | instid1(VALU_DEP_2)
	v_lshlrev_b32_e32 v144, 30, v133
	v_bitop3_b32 v131, v131, 1, v98 bitop3:0x80
	v_cmp_gt_i32_e64 s15, 0, v144
	s_delay_alu instid0(VALU_DEP_2) | instskip(NEXT) | instid1(VALU_DEP_1)
	v_add_co_u32 v131, s14, v131, -1
	v_cndmask_b32_e64 v135, 0, 1, s14
	s_delay_alu instid0(VALU_DEP_1) | instskip(SKIP_1) | instid1(VALU_DEP_1)
	v_cmp_ne_u32_e64 s14, 0, v135
	v_not_b32_e32 v135, v144
	v_dual_ashrrev_i32 v135, 31, v135 :: v_dual_lshlrev_b32 v145, 29, v133
	v_dual_lshlrev_b32 v146, 28, v133 :: v_dual_lshlrev_b32 v147, 27, v133
	v_lshlrev_b32_e32 v148, 26, v133
	s_set_vgpr_msb 16                       ;  msbs: dst=0 src0=0 src1=0 src2=1
	v_lshl_add_u32 v134, v133, 3, v36 /*v292*/
	v_cmp_gt_i32_e64 s16, 0, v145
	v_not_b32_e32 v144, v145
	v_not_b32_e32 v145, v146
	v_dual_lshlrev_b32 v149, 25, v133 :: v_dual_lshlrev_b32 v133, 24, v133
	v_cmp_gt_i32_e64 s17, 0, v146
	v_cmp_gt_i32_e64 s18, 0, v147
	v_not_b32_e32 v146, v147
	v_not_b32_e32 v147, v148
	v_dual_ashrrev_i32 v144, 31, v144 :: v_dual_bitop2_b32 v131, s14, v131 bitop3:0x14
	v_dual_ashrrev_i32 v145, 31, v145 :: v_dual_bitop2_b32 v135, s15, v135 bitop3:0x14
	v_cmp_gt_i32_e64 s19, 0, v148
	s_delay_alu instid0(VALU_DEP_4) | instskip(SKIP_1) | instid1(VALU_DEP_4)
	v_dual_ashrrev_i32 v146, 31, v146 :: v_dual_ashrrev_i32 v147, 31, v147
	v_not_b32_e32 v148, v133
	v_xor_b32_e32 v145, s17, v145
	v_bitop3_b32 v131, v131, v135, exec_lo bitop3:0x80
	v_not_b32_e32 v135, v149
	v_xor_b32_e32 v144, s16, v144
	v_xor_b32_e32 v146, s18, v146
	v_cmp_gt_i32_e64 s14, 0, v149
	v_cmp_gt_i32_e64 s15, 0, v133
	v_dual_ashrrev_i32 v135, 31, v135 :: v_dual_ashrrev_i32 v133, 31, v148
	s_set_vgpr_msb 0                        ;  msbs: dst=0 src0=0 src1=0 src2=0
	v_bitop3_b32 v131, v131, v145, v144 bitop3:0x80
	v_lshl_add_u32 v134, v134, 2, v12
	v_xor_b32_e32 v147, s19, v147
	v_xor_b32_e32 v135, s14, v135
	;; [unrolled: 1-line block ×3, first 2 shown]
	ds_load_b32 v166, v134 offset:32
	v_add_nc_u32_e32 v134, 32, v134
	v_bitop3_b32 v131, v131, v147, v146 bitop3:0x80
	; wave barrier
	s_delay_alu instid0(VALU_DEP_1) | instskip(NEXT) | instid1(VALU_DEP_1)
	v_bitop3_b32 v131, v131, v133, v135 bitop3:0x80
	v_mbcnt_lo_u32_b32 v167, v131, 0
	v_cmp_ne_u32_e64 s15, 0, v131
	s_delay_alu instid0(VALU_DEP_2) | instskip(SKIP_1) | instid1(SALU_CYCLE_1)
	v_cmp_eq_u32_e64 s14, 0, v167
	s_and_b32 s15, s15, s14
	s_and_saveexec_b32 s14, s15
	s_cbranch_execz .LBB185_80
; %bb.79:                               ;   in Loop: Header=BB185_56 Depth=1
	s_wait_dscnt 0x0
	v_bcnt_u32_b32 v131, v131, v166
	ds_store_b32 v134, v131
.LBB185_80:                             ;   in Loop: Header=BB185_56 Depth=1
	s_or_b32 exec_lo, exec_lo, s14
	s_set_vgpr_msb 4                        ;  msbs: dst=0 src0=0 src1=1 src2=0
	v_and_b32_e32 v131, 0xff, v13 /*v269*/
	; wave barrier
	s_set_vgpr_msb 0                        ;  msbs: dst=0 src0=0 src1=0 src2=0
	s_delay_alu instid0(VALU_DEP_1) | instskip(NEXT) | instid1(VALU_DEP_1)
	v_lshrrev_b32_e32 v131, v10, v131
	v_and_b32_e32 v133, v131, v98
	s_delay_alu instid0(VALU_DEP_1) | instskip(SKIP_1) | instid1(VALU_DEP_2)
	v_lshlrev_b32_e32 v145, 30, v133
	v_bitop3_b32 v131, v131, 1, v98 bitop3:0x80
	v_cmp_gt_i32_e64 s15, 0, v145
	s_delay_alu instid0(VALU_DEP_2) | instskip(NEXT) | instid1(VALU_DEP_1)
	v_add_co_u32 v131, s14, v131, -1
	v_cndmask_b32_e64 v144, 0, 1, s14
	s_delay_alu instid0(VALU_DEP_1) | instskip(SKIP_1) | instid1(VALU_DEP_1)
	v_cmp_ne_u32_e64 s14, 0, v144
	v_not_b32_e32 v144, v145
	v_dual_ashrrev_i32 v144, 31, v144 :: v_dual_lshlrev_b32 v146, 29, v133
	v_dual_lshlrev_b32 v147, 28, v133 :: v_dual_lshlrev_b32 v148, 27, v133
	v_lshlrev_b32_e32 v149, 26, v133
	s_set_vgpr_msb 16                       ;  msbs: dst=0 src0=0 src1=0 src2=1
	v_lshl_add_u32 v135, v133, 3, v36 /*v292*/
	v_cmp_gt_i32_e64 s16, 0, v146
	v_not_b32_e32 v145, v146
	v_not_b32_e32 v146, v147
	v_dual_lshlrev_b32 v150, 25, v133 :: v_dual_lshlrev_b32 v133, 24, v133
	v_cmp_gt_i32_e64 s17, 0, v147
	v_cmp_gt_i32_e64 s18, 0, v148
	v_not_b32_e32 v147, v148
	v_not_b32_e32 v148, v149
	v_dual_ashrrev_i32 v145, 31, v145 :: v_dual_bitop2_b32 v131, s14, v131 bitop3:0x14
	v_dual_ashrrev_i32 v146, 31, v146 :: v_dual_bitop2_b32 v144, s15, v144 bitop3:0x14
	v_cmp_gt_i32_e64 s19, 0, v149
	s_delay_alu instid0(VALU_DEP_4) | instskip(SKIP_1) | instid1(VALU_DEP_4)
	v_dual_ashrrev_i32 v147, 31, v147 :: v_dual_ashrrev_i32 v148, 31, v148
	v_not_b32_e32 v149, v133
	v_xor_b32_e32 v146, s17, v146
	v_bitop3_b32 v131, v131, v144, exec_lo bitop3:0x80
	v_not_b32_e32 v144, v150
	v_xor_b32_e32 v145, s16, v145
	v_xor_b32_e32 v147, s18, v147
	v_cmp_gt_i32_e64 s14, 0, v150
	v_cmp_gt_i32_e64 s15, 0, v133
	v_dual_ashrrev_i32 v144, 31, v144 :: v_dual_ashrrev_i32 v133, 31, v149
	s_set_vgpr_msb 0                        ;  msbs: dst=0 src0=0 src1=0 src2=0
	v_bitop3_b32 v131, v131, v146, v145 bitop3:0x80
	v_lshl_add_u32 v135, v135, 2, v12
	v_xor_b32_e32 v148, s19, v148
	v_xor_b32_e32 v144, s14, v144
	;; [unrolled: 1-line block ×3, first 2 shown]
	ds_load_b32 v176, v135 offset:32
	v_bitop3_b32 v131, v131, v148, v147 bitop3:0x80
	; wave barrier
	s_delay_alu instid0(VALU_DEP_1) | instskip(SKIP_1) | instid1(VALU_DEP_2)
	v_bitop3_b32 v131, v131, v133, v144 bitop3:0x80
	v_add_nc_u32_e32 v144, 32, v135
	v_mbcnt_lo_u32_b32 v177, v131, 0
	v_cmp_ne_u32_e64 s15, 0, v131
	s_delay_alu instid0(VALU_DEP_2) | instskip(SKIP_1) | instid1(SALU_CYCLE_1)
	v_cmp_eq_u32_e64 s14, 0, v177
	s_and_b32 s15, s15, s14
	s_and_saveexec_b32 s14, s15
	s_cbranch_execz .LBB185_82
; %bb.81:                               ;   in Loop: Header=BB185_56 Depth=1
	s_wait_dscnt 0x0
	v_bcnt_u32_b32 v131, v131, v176
	ds_store_b32 v144, v131
.LBB185_82:                             ;   in Loop: Header=BB185_56 Depth=1
	s_or_b32 exec_lo, exec_lo, s14
	s_set_vgpr_msb 4                        ;  msbs: dst=0 src0=0 src1=1 src2=0
	v_and_b32_e32 v131, 0xff, v14 /*v270*/
	; wave barrier
	s_set_vgpr_msb 0                        ;  msbs: dst=0 src0=0 src1=0 src2=0
	s_delay_alu instid0(VALU_DEP_1) | instskip(NEXT) | instid1(VALU_DEP_1)
	v_lshrrev_b32_e32 v131, v10, v131
	v_and_b32_e32 v133, v131, v98
	s_delay_alu instid0(VALU_DEP_1) | instskip(SKIP_1) | instid1(VALU_DEP_2)
	v_lshlrev_b32_e32 v146, 30, v133
	v_bitop3_b32 v131, v131, 1, v98 bitop3:0x80
	v_cmp_gt_i32_e64 s15, 0, v146
	s_delay_alu instid0(VALU_DEP_2) | instskip(NEXT) | instid1(VALU_DEP_1)
	v_add_co_u32 v131, s14, v131, -1
	v_cndmask_b32_e64 v145, 0, 1, s14
	s_delay_alu instid0(VALU_DEP_1) | instskip(SKIP_1) | instid1(VALU_DEP_1)
	v_cmp_ne_u32_e64 s14, 0, v145
	v_not_b32_e32 v145, v146
	v_ashrrev_i32_e32 v145, 31, v145
	v_dual_lshlrev_b32 v147, 29, v133 :: v_dual_lshlrev_b32 v148, 28, v133
	v_dual_lshlrev_b32 v149, 27, v133 :: v_dual_lshlrev_b32 v150, 26, v133
	s_set_vgpr_msb 16                       ;  msbs: dst=0 src0=0 src1=0 src2=1
	v_lshl_add_u32 v135, v133, 3, v36 /*v292*/
	s_delay_alu instid0(VALU_DEP_3)
	v_cmp_gt_i32_e64 s16, 0, v147
	v_not_b32_e32 v146, v147
	v_not_b32_e32 v147, v148
	v_dual_lshlrev_b32 v151, 25, v133 :: v_dual_lshlrev_b32 v133, 24, v133
	v_cmp_gt_i32_e64 s17, 0, v148
	v_cmp_gt_i32_e64 s18, 0, v149
	v_not_b32_e32 v148, v149
	v_not_b32_e32 v149, v150
	v_dual_ashrrev_i32 v146, 31, v146 :: v_dual_bitop2_b32 v131, s14, v131 bitop3:0x14
	v_dual_ashrrev_i32 v147, 31, v147 :: v_dual_bitop2_b32 v145, s15, v145 bitop3:0x14
	v_cmp_gt_i32_e64 s19, 0, v150
	s_delay_alu instid0(VALU_DEP_4) | instskip(SKIP_1) | instid1(VALU_DEP_4)
	v_dual_ashrrev_i32 v148, 31, v148 :: v_dual_ashrrev_i32 v149, 31, v149
	v_not_b32_e32 v150, v133
	v_xor_b32_e32 v147, s17, v147
	v_bitop3_b32 v131, v131, v145, exec_lo bitop3:0x80
	v_not_b32_e32 v145, v151
	v_xor_b32_e32 v146, s16, v146
	v_xor_b32_e32 v149, s19, v149
	v_cmp_gt_i32_e64 s14, 0, v151
	v_cmp_gt_i32_e64 s15, 0, v133
	v_dual_ashrrev_i32 v145, 31, v145 :: v_dual_ashrrev_i32 v133, 31, v150
	s_set_vgpr_msb 0                        ;  msbs: dst=0 src0=0 src1=0 src2=0
	v_bitop3_b32 v131, v131, v147, v146 bitop3:0x80
	v_lshl_add_u32 v135, v135, 2, v12
	v_xor_b32_e32 v148, s18, v148
	v_xor_b32_e32 v145, s14, v145
	s_delay_alu instid0(VALU_DEP_3) | instskip(NEXT) | instid1(VALU_DEP_3)
	v_dual_add_nc_u32 v146, 32, v135 :: v_dual_bitop2_b32 v133, s15, v133 bitop3:0x14
	v_bitop3_b32 v131, v131, v149, v148 bitop3:0x80
	ds_load_b32 v192, v135 offset:32
	; wave barrier
	v_bitop3_b32 v131, v131, v133, v145 bitop3:0x80
	s_delay_alu instid0(VALU_DEP_1) | instskip(SKIP_1) | instid1(VALU_DEP_2)
	v_mbcnt_lo_u32_b32 v193, v131, 0
	v_cmp_ne_u32_e64 s15, 0, v131
	v_cmp_eq_u32_e64 s14, 0, v193
	s_and_b32 s15, s15, s14
	s_delay_alu instid0(SALU_CYCLE_1)
	s_and_saveexec_b32 s14, s15
	s_cbranch_execz .LBB185_84
; %bb.83:                               ;   in Loop: Header=BB185_56 Depth=1
	s_wait_dscnt 0x0
	v_bcnt_u32_b32 v131, v131, v192
	ds_store_b32 v146, v131
.LBB185_84:                             ;   in Loop: Header=BB185_56 Depth=1
	s_or_b32 exec_lo, exec_lo, s14
	s_set_vgpr_msb 4                        ;  msbs: dst=0 src0=0 src1=1 src2=0
	v_and_b32_e32 v131, 0xff, v15 /*v271*/
	; wave barrier
	s_set_vgpr_msb 0                        ;  msbs: dst=0 src0=0 src1=0 src2=0
	s_delay_alu instid0(VALU_DEP_1) | instskip(NEXT) | instid1(VALU_DEP_1)
	v_lshrrev_b32_e32 v131, v10, v131
	v_and_b32_e32 v133, v131, v98
	s_delay_alu instid0(VALU_DEP_1) | instskip(SKIP_1) | instid1(VALU_DEP_2)
	v_lshlrev_b32_e32 v147, 30, v133
	v_bitop3_b32 v131, v131, 1, v98 bitop3:0x80
	v_cmp_gt_i32_e64 s15, 0, v147
	s_delay_alu instid0(VALU_DEP_2) | instskip(NEXT) | instid1(VALU_DEP_1)
	v_add_co_u32 v131, s14, v131, -1
	v_cndmask_b32_e64 v145, 0, 1, s14
	s_delay_alu instid0(VALU_DEP_1) | instskip(SKIP_1) | instid1(VALU_DEP_1)
	v_cmp_ne_u32_e64 s14, 0, v145
	v_not_b32_e32 v145, v147
	v_ashrrev_i32_e32 v145, 31, v145
	v_dual_lshlrev_b32 v148, 29, v133 :: v_dual_lshlrev_b32 v149, 28, v133
	v_dual_lshlrev_b32 v150, 27, v133 :: v_dual_lshlrev_b32 v151, 26, v133
	s_set_vgpr_msb 16                       ;  msbs: dst=0 src0=0 src1=0 src2=1
	v_lshl_add_u32 v135, v133, 3, v36 /*v292*/
	s_delay_alu instid0(VALU_DEP_3)
	v_cmp_gt_i32_e64 s16, 0, v148
	v_not_b32_e32 v147, v148
	v_not_b32_e32 v148, v149
	v_dual_lshlrev_b32 v160, 25, v133 :: v_dual_lshlrev_b32 v133, 24, v133
	v_cmp_gt_i32_e64 s17, 0, v149
	v_cmp_gt_i32_e64 s18, 0, v150
	v_not_b32_e32 v149, v150
	v_not_b32_e32 v150, v151
	v_dual_ashrrev_i32 v148, 31, v148 :: v_dual_bitop2_b32 v131, s14, v131 bitop3:0x14
	v_dual_ashrrev_i32 v147, 31, v147 :: v_dual_bitop2_b32 v145, s15, v145 bitop3:0x14
	v_cmp_gt_i32_e64 s19, 0, v151
	s_delay_alu instid0(VALU_DEP_4)
	v_dual_ashrrev_i32 v149, 31, v149 :: v_dual_ashrrev_i32 v150, 31, v150
	v_not_b32_e32 v151, v133
	v_xor_b32_e32 v148, s17, v148
	v_bitop3_b32 v131, v131, v145, exec_lo bitop3:0x80
	v_not_b32_e32 v145, v160
	v_xor_b32_e32 v147, s16, v147
	v_xor_b32_e32 v150, s19, v150
	v_cmp_gt_i32_e64 s14, 0, v160
	v_cmp_gt_i32_e64 s15, 0, v133
	v_dual_ashrrev_i32 v145, 31, v145 :: v_dual_ashrrev_i32 v133, 31, v151
	s_set_vgpr_msb 0                        ;  msbs: dst=0 src0=0 src1=0 src2=0
	v_bitop3_b32 v131, v131, v148, v147 bitop3:0x80
	v_lshl_add_u32 v135, v135, 2, v12
	v_xor_b32_e32 v149, s18, v149
	v_xor_b32_e32 v145, s14, v145
	s_delay_alu instid0(VALU_DEP_3) | instskip(NEXT) | instid1(VALU_DEP_3)
	v_dual_add_nc_u32 v148, 32, v135 :: v_dual_bitop2_b32 v133, s15, v133 bitop3:0x14
	v_bitop3_b32 v131, v131, v150, v149 bitop3:0x80
	ds_load_b32 v194, v135 offset:32
	; wave barrier
	v_bitop3_b32 v131, v131, v133, v145 bitop3:0x80
	s_delay_alu instid0(VALU_DEP_1) | instskip(SKIP_1) | instid1(VALU_DEP_2)
	v_mbcnt_lo_u32_b32 v195, v131, 0
	v_cmp_ne_u32_e64 s15, 0, v131
	v_cmp_eq_u32_e64 s14, 0, v195
	s_and_b32 s15, s15, s14
	s_delay_alu instid0(SALU_CYCLE_1)
	s_and_saveexec_b32 s14, s15
	s_cbranch_execz .LBB185_86
; %bb.85:                               ;   in Loop: Header=BB185_56 Depth=1
	s_wait_dscnt 0x0
	v_bcnt_u32_b32 v131, v131, v194
	ds_store_b32 v148, v131
.LBB185_86:                             ;   in Loop: Header=BB185_56 Depth=1
	s_or_b32 exec_lo, exec_lo, s14
	s_set_vgpr_msb 4                        ;  msbs: dst=0 src0=0 src1=1 src2=0
	v_and_b32_e32 v131, 0xff, v16 /*v272*/
	; wave barrier
	s_set_vgpr_msb 0                        ;  msbs: dst=0 src0=0 src1=0 src2=0
	s_delay_alu instid0(VALU_DEP_1) | instskip(NEXT) | instid1(VALU_DEP_1)
	v_lshrrev_b32_e32 v131, v10, v131
	v_and_b32_e32 v133, v131, v98
	s_delay_alu instid0(VALU_DEP_1) | instskip(SKIP_1) | instid1(VALU_DEP_2)
	v_lshlrev_b32_e32 v147, 30, v133
	v_bitop3_b32 v131, v131, 1, v98 bitop3:0x80
	v_cmp_gt_i32_e64 s15, 0, v147
	s_delay_alu instid0(VALU_DEP_2) | instskip(NEXT) | instid1(VALU_DEP_1)
	v_add_co_u32 v131, s14, v131, -1
	v_cndmask_b32_e64 v145, 0, 1, s14
	s_delay_alu instid0(VALU_DEP_1) | instskip(SKIP_1) | instid1(VALU_DEP_1)
	v_cmp_ne_u32_e64 s14, 0, v145
	v_not_b32_e32 v145, v147
	v_ashrrev_i32_e32 v145, 31, v145
	v_dual_lshlrev_b32 v149, 29, v133 :: v_dual_lshlrev_b32 v150, 28, v133
	v_dual_lshlrev_b32 v151, 27, v133 :: v_dual_lshlrev_b32 v160, 26, v133
	s_set_vgpr_msb 16                       ;  msbs: dst=0 src0=0 src1=0 src2=1
	v_lshl_add_u32 v135, v133, 3, v36 /*v292*/
	s_delay_alu instid0(VALU_DEP_3)
	v_cmp_gt_i32_e64 s16, 0, v149
	v_not_b32_e32 v147, v149
	v_not_b32_e32 v149, v150
	v_dual_lshlrev_b32 v161, 25, v133 :: v_dual_lshlrev_b32 v133, 24, v133
	v_cmp_gt_i32_e64 s17, 0, v150
	v_cmp_gt_i32_e64 s18, 0, v151
	v_not_b32_e32 v150, v151
	v_not_b32_e32 v151, v160
	v_dual_ashrrev_i32 v149, 31, v149 :: v_dual_bitop2_b32 v131, s14, v131 bitop3:0x14
	v_dual_ashrrev_i32 v147, 31, v147 :: v_dual_bitop2_b32 v145, s15, v145 bitop3:0x14
	v_cmp_gt_i32_e64 s19, 0, v160
	s_delay_alu instid0(VALU_DEP_4)
	v_dual_ashrrev_i32 v150, 31, v150 :: v_dual_ashrrev_i32 v151, 31, v151
	v_not_b32_e32 v160, v133
	v_xor_b32_e32 v149, s17, v149
	v_bitop3_b32 v131, v131, v145, exec_lo bitop3:0x80
	v_not_b32_e32 v145, v161
	v_xor_b32_e32 v147, s16, v147
	v_xor_b32_e32 v150, s18, v150
	;; [unrolled: 1-line block ×3, first 2 shown]
	v_cmp_gt_i32_e64 s14, 0, v161
	v_ashrrev_i32_e32 v145, 31, v145
	v_cmp_gt_i32_e64 s15, 0, v133
	v_ashrrev_i32_e32 v133, 31, v160
	s_set_vgpr_msb 0                        ;  msbs: dst=0 src0=0 src1=0 src2=0
	v_bitop3_b32 v131, v131, v149, v147 bitop3:0x80
	v_lshl_add_u32 v135, v135, 2, v12
	v_xor_b32_e32 v145, s14, v145
	v_xor_b32_e32 v133, s15, v133
	s_delay_alu instid0(VALU_DEP_4) | instskip(SKIP_3) | instid1(VALU_DEP_1)
	v_bitop3_b32 v131, v131, v151, v150 bitop3:0x80
	ds_load_b32 v197, v135 offset:32
	v_add_nc_u32_e32 v150, 32, v135
	; wave barrier
	v_bitop3_b32 v131, v131, v133, v145 bitop3:0x80
	v_mbcnt_lo_u32_b32 v199, v131, 0
	v_cmp_ne_u32_e64 s15, 0, v131
	s_delay_alu instid0(VALU_DEP_2) | instskip(SKIP_1) | instid1(SALU_CYCLE_1)
	v_cmp_eq_u32_e64 s14, 0, v199
	s_and_b32 s15, s15, s14
	s_and_saveexec_b32 s14, s15
	s_cbranch_execz .LBB185_88
; %bb.87:                               ;   in Loop: Header=BB185_56 Depth=1
	s_wait_dscnt 0x0
	v_bcnt_u32_b32 v131, v131, v197
	ds_store_b32 v150, v131
.LBB185_88:                             ;   in Loop: Header=BB185_56 Depth=1
	s_or_b32 exec_lo, exec_lo, s14
	v_and_b32_e32 v131, 0xff, v15
	; wave barrier
	s_delay_alu instid0(VALU_DEP_1) | instskip(NEXT) | instid1(VALU_DEP_1)
	v_lshrrev_b32_e32 v131, v10, v131
	v_and_b32_e32 v133, v131, v98
	s_delay_alu instid0(VALU_DEP_1) | instskip(SKIP_1) | instid1(VALU_DEP_2)
	v_lshlrev_b32_e32 v145, 30, v133
	v_bitop3_b32 v98, v131, 1, v98 bitop3:0x80
	v_cmp_gt_i32_e64 s15, 0, v145
	s_delay_alu instid0(VALU_DEP_2) | instskip(NEXT) | instid1(VALU_DEP_1)
	v_add_co_u32 v98, s14, v98, -1
	v_cndmask_b32_e64 v135, 0, 1, s14
	s_delay_alu instid0(VALU_DEP_1) | instskip(SKIP_1) | instid1(VALU_DEP_1)
	v_cmp_ne_u32_e64 s14, 0, v135
	v_not_b32_e32 v135, v145
	v_dual_ashrrev_i32 v135, 31, v135 :: v_dual_lshlrev_b32 v147, 29, v133
	v_lshlrev_b32_e32 v149, 28, v133
	s_set_vgpr_msb 16                       ;  msbs: dst=0 src0=0 src1=0 src2=1
	v_lshl_add_u32 v131, v133, 3, v36 /*v292*/
	v_dual_lshlrev_b32 v151, 27, v133 :: v_dual_lshlrev_b32 v160, 26, v133
	v_dual_lshlrev_b32 v161, 25, v133 :: v_dual_lshlrev_b32 v133, 24, v133
	v_cmp_gt_i32_e64 s16, 0, v147
	v_not_b32_e32 v145, v147
	v_not_b32_e32 v147, v149
	v_cmp_gt_i32_e64 s17, 0, v149
	v_cmp_gt_i32_e64 s18, 0, v151
	v_not_b32_e32 v149, v151
	v_cmp_gt_i32_e64 s19, 0, v160
	v_not_b32_e32 v151, v160
	v_dual_ashrrev_i32 v145, 31, v145 :: v_dual_bitop2_b32 v98, s14, v98 bitop3:0x14
	s_delay_alu instid0(VALU_DEP_4) | instskip(SKIP_2) | instid1(VALU_DEP_4)
	v_dual_ashrrev_i32 v147, 31, v147 :: v_dual_ashrrev_i32 v149, 31, v149
	v_not_b32_e32 v160, v133
	v_xor_b32_e32 v135, s15, v135
	v_dual_ashrrev_i32 v151, 31, v151 :: v_dual_bitop2_b32 v145, s16, v145 bitop3:0x14
	s_delay_alu instid0(VALU_DEP_4)
	v_xor_b32_e32 v147, s17, v147
	v_cmp_gt_i32_e64 s15, 0, v133
	v_ashrrev_i32_e32 v133, 31, v160
	v_bitop3_b32 v98, v98, v135, exec_lo bitop3:0x80
	v_not_b32_e32 v135, v161
	v_xor_b32_e32 v149, s18, v149
	v_xor_b32_e32 v151, s19, v151
	v_cmp_gt_i32_e64 s14, 0, v161
	s_set_vgpr_msb 0                        ;  msbs: dst=0 src0=0 src1=0 src2=0
	v_bitop3_b32 v98, v98, v147, v145 bitop3:0x80
	v_ashrrev_i32_e32 v135, 31, v135
	v_lshl_add_u32 v145, v131, 2, v12
	v_xor_b32_e32 v133, s15, v133
	s_delay_alu instid0(VALU_DEP_4) | instskip(NEXT) | instid1(VALU_DEP_4)
	v_bitop3_b32 v131, v98, v151, v149 bitop3:0x80
	v_xor_b32_e32 v135, s14, v135
	ds_load_b32 v98, v145 offset:32
	v_add_nc_u32_e32 v160, 32, v145
	; wave barrier
	v_bitop3_b32 v131, v131, v133, v135 bitop3:0x80
	s_delay_alu instid0(VALU_DEP_1) | instskip(SKIP_1) | instid1(VALU_DEP_2)
	v_mbcnt_lo_u32_b32 v209, v131, 0
	v_cmp_ne_u32_e64 s15, 0, v131
	v_cmp_eq_u32_e64 s14, 0, v209
	s_and_b32 s15, s15, s14
	s_delay_alu instid0(SALU_CYCLE_1)
	s_and_saveexec_b32 s14, s15
	s_cbranch_execz .LBB185_90
; %bb.89:                               ;   in Loop: Header=BB185_56 Depth=1
	s_wait_dscnt 0x0
	v_bcnt_u32_b32 v131, v131, v98
	ds_store_b32 v160, v131
.LBB185_90:                             ;   in Loop: Header=BB185_56 Depth=1
	s_or_b32 exec_lo, exec_lo, s14
	; wave barrier
	s_wait_dscnt 0x0
	s_barrier_signal -1
	s_barrier_wait -1
	s_set_vgpr_msb 1                        ;  msbs: dst=0 src0=1 src1=0 src2=0
	ds_load_b32 v149, v28 /*v284*/
	ds_load_b32 v147, v29 /*v285*/
	;; [unrolled: 1-line block ×8, first 2 shown]
	s_wait_dscnt 0x6
	s_set_vgpr_msb 0                        ;  msbs: dst=0 src0=0 src1=0 src2=0
	v_add_nc_u32_e32 v161, v147, v149
	s_wait_dscnt 0x4
	s_delay_alu instid0(VALU_DEP_1) | instskip(SKIP_1) | instid1(VALU_DEP_1)
	v_add3_u32 v161, v161, v135, v131
	s_wait_dscnt 0x2
	v_add3_u32 v161, v161, v133, v145
	s_wait_dscnt 0x0
	s_delay_alu instid0(VALU_DEP_1) | instskip(NEXT) | instid1(VALU_DEP_1)
	v_add3_u32 v151, v161, v178, v151
	v_mov_b32_dpp v161, v151 row_shr:1 row_mask:0xf bank_mask:0xf
	s_delay_alu instid0(VALU_DEP_1) | instskip(NEXT) | instid1(VALU_DEP_1)
	v_cndmask_b32_e64 v161, v161, 0, vcc_lo
	v_add_nc_u32_e32 v151, v161, v151
	s_delay_alu instid0(VALU_DEP_1) | instskip(NEXT) | instid1(VALU_DEP_1)
	v_mov_b32_dpp v161, v151 row_shr:2 row_mask:0xf bank_mask:0xf
	v_cndmask_b32_e64 v161, 0, v161, s0
	s_delay_alu instid0(VALU_DEP_1) | instskip(NEXT) | instid1(VALU_DEP_1)
	v_add_nc_u32_e32 v151, v151, v161
	v_mov_b32_dpp v161, v151 row_shr:4 row_mask:0xf bank_mask:0xf
	s_delay_alu instid0(VALU_DEP_1) | instskip(NEXT) | instid1(VALU_DEP_1)
	v_cndmask_b32_e64 v161, 0, v161, s1
	v_add_nc_u32_e32 v151, v151, v161
	s_delay_alu instid0(VALU_DEP_1) | instskip(NEXT) | instid1(VALU_DEP_1)
	v_mov_b32_dpp v161, v151 row_shr:8 row_mask:0xf bank_mask:0xf
	v_cndmask_b32_e64 v161, 0, v161, s2
	s_delay_alu instid0(VALU_DEP_1) | instskip(SKIP_3) | instid1(VALU_DEP_1)
	v_add_nc_u32_e32 v151, v151, v161
	ds_swizzle_b32 v161, v151 offset:swizzle(BROADCAST,32,15)
	s_wait_dscnt 0x0
	v_cndmask_b32_e64 v161, v161, 0, s4
	v_add_nc_u32_e32 v151, v151, v161
	s_and_saveexec_b32 s14, s5
; %bb.91:                               ;   in Loop: Header=BB185_56 Depth=1
	ds_store_b32 v19, v151
; %bb.92:                               ;   in Loop: Header=BB185_56 Depth=1
	s_or_b32 exec_lo, exec_lo, s14
	s_wait_dscnt 0x0
	s_barrier_signal -1
	s_barrier_wait -1
	s_and_saveexec_b32 s14, s6
	s_cbranch_execz .LBB185_94
; %bb.93:                               ;   in Loop: Header=BB185_56 Depth=1
	s_set_vgpr_msb 1                        ;  msbs: dst=0 src0=1 src1=0 src2=0
	ds_load_b32 v161, v37 /*v293*/
	s_wait_dscnt 0x0
	s_set_vgpr_msb 0                        ;  msbs: dst=0 src0=0 src1=0 src2=0
	v_mov_b32_dpp v179, v161 row_shr:1 row_mask:0xf bank_mask:0xf
	s_delay_alu instid0(VALU_DEP_1) | instskip(NEXT) | instid1(VALU_DEP_1)
	v_cndmask_b32_e64 v179, v179, 0, s11
	v_add_nc_u32_e32 v161, v179, v161
	s_delay_alu instid0(VALU_DEP_1) | instskip(NEXT) | instid1(VALU_DEP_1)
	v_mov_b32_dpp v179, v161 row_shr:2 row_mask:0xf bank_mask:0xf
	v_cndmask_b32_e64 v179, 0, v179, s12
	s_delay_alu instid0(VALU_DEP_1) | instskip(NEXT) | instid1(VALU_DEP_1)
	v_add_nc_u32_e32 v161, v161, v179
	v_mov_b32_dpp v179, v161 row_shr:4 row_mask:0xf bank_mask:0xf
	s_delay_alu instid0(VALU_DEP_1) | instskip(NEXT) | instid1(VALU_DEP_1)
	v_cndmask_b32_e64 v179, 0, v179, s13
	v_add_nc_u32_e32 v161, v161, v179
	s_set_vgpr_msb 1                        ;  msbs: dst=0 src0=1 src1=0 src2=0
	ds_store_b32 v37 /*v293*/, v161
.LBB185_94:                             ;   in Loop: Header=BB185_56 Depth=1
	s_or_b32 exec_lo, exec_lo, s14
	s_set_vgpr_msb 0                        ;  msbs: dst=0 src0=0 src1=0 src2=0
	v_mov_b32_e32 v161, 0
	s_wait_dscnt 0x0
	s_barrier_signal -1
	s_barrier_wait -1
	s_and_saveexec_b32 s14, s7
; %bb.95:                               ;   in Loop: Header=BB185_56 Depth=1
	v_add_nc_u32_e32 v161, -4, v19
	ds_load_b32 v161, v161
; %bb.96:                               ;   in Loop: Header=BB185_56 Depth=1
	s_or_b32 exec_lo, exec_lo, s14
	s_wait_dscnt 0x0
	v_add_nc_u32_e32 v151, v161, v151
	s_set_vgpr_msb 0x41                     ;  msbs: dst=1 src0=1 src1=0 src2=0
	v_dual_mov_b32 v47 /*v303*/, v27 /*v283*/ :: v_dual_mov_b32 v48 /*v304*/, v22 /*v278*/
	v_dual_mov_b32 v49 /*v305*/, v23 /*v279*/ :: v_dual_mov_b32 v50 /*v306*/, v24 /*v280*/
	s_set_vgpr_msb 0                        ;  msbs: dst=0 src0=0 src1=0 src2=0
	ds_bpermute_b32 v151, v5, v151
	s_set_vgpr_msb 0x41                     ;  msbs: dst=1 src0=1 src1=0 src2=0
	v_dual_mov_b32 v51 /*v307*/, v25 /*v281*/ :: v_dual_mov_b32 v52 /*v308*/, v26 /*v282*/
	v_dual_mov_b32 v53 /*v309*/, v17 /*v273*/ :: v_dual_mov_b32 v54 /*v310*/, v18 /*v274*/
	;; [unrolled: 1-line block ×4, first 2 shown]
	s_set_vgpr_msb 64                       ;  msbs: dst=1 src0=0 src1=0 src2=0
	v_mov_b32_e32 v58 /*v314*/, v39
	s_set_vgpr_msb 0x41                     ;  msbs: dst=1 src0=1 src1=0 src2=0
	v_dual_mov_b32 v60 /*v316*/, v14 /*v270*/ :: v_dual_mov_b32 v61 /*v317*/, v15 /*v271*/
	v_mov_b32_e32 v62 /*v318*/, v16 /*v272*/
	s_mov_b32 s16, -1
	s_mov_b32 s15, exec_lo
	s_wait_dscnt 0x0
	s_set_vgpr_msb 0                        ;  msbs: dst=0 src0=0 src1=0 src2=0
	v_dual_add_nc_u32 v10, 8, v10 :: v_dual_cndmask_b32 v151, v151, v161, s3
	s_delay_alu instid0(VALU_DEP_1) | instskip(NEXT) | instid1(VALU_DEP_1)
	v_cndmask_b32_e64 v179, v151, 0, s10
	v_dual_mov_b32 v151, v1 :: v_dual_add_nc_u32 v180, v179, v149
	s_delay_alu instid0(VALU_DEP_1)
	v_dual_mov_b32 v149, v1 :: v_dual_add_nc_u32 v181, v180, v147
	s_set_vgpr_msb 1                        ;  msbs: dst=0 src0=1 src1=0 src2=0
	ds_store_b32 v28 /*v284*/, v179
	ds_store_b32 v29 /*v285*/, v180
	ds_store_b32 v30 /*v286*/, v181
	s_set_vgpr_msb 0                        ;  msbs: dst=0 src0=0 src1=0 src2=0
	v_mov_b32_e32 v147, v1
	v_add_nc_u32_e32 v182, v181, v135
	v_dual_mov_b32 v179, v1 :: v_dual_mov_b32 v181, v1
	s_delay_alu instid0(VALU_DEP_2) | instskip(NEXT) | instid1(VALU_DEP_1)
	v_dual_mov_b32 v135, v1 :: v_dual_add_nc_u32 v183, v182, v131
	v_dual_mov_b32 v131, v1 :: v_dual_add_nc_u32 v196, v183, v133
	v_dual_mov_b32 v133, v1 :: v_dual_mov_b32 v161, v1
	s_delay_alu instid0(VALU_DEP_2) | instskip(NEXT) | instid1(VALU_DEP_1)
	v_dual_mov_b32 v145, v1 :: v_dual_add_nc_u32 v198, v196, v145
	v_add_nc_u32_e32 v178, v198, v178
	s_set_vgpr_msb 1                        ;  msbs: dst=0 src0=1 src1=0 src2=0
	ds_store_b32 v31 /*v287*/, v182
	ds_store_b32 v32 /*v288*/, v183
	;; [unrolled: 1-line block ×5, first 2 shown]
	s_wait_dscnt 0x0
	s_barrier_signal -1
	s_barrier_wait -1
	s_set_vgpr_msb 0                        ;  msbs: dst=0 src0=0 src1=0 src2=0
	ds_load_b32 v80, v80
	ds_load_b32 v83, v83
	;; [unrolled: 1-line block ×17, first 2 shown]
	v_mov_b32_e32 v183, v1
	s_wait_dscnt 0x0
	v_add_nc_u32_e32 v0, v80, v0
	v_add3_u32 v134, v82, v81, v83
	v_add3_u32 v148, v85, v84, v86
	;; [unrolled: 1-line block ×16, first 2 shown]
	v_dual_mov_b32 v209, v1 :: v_dual_mov_b32 v199, v1
	v_dual_mov_b32 v197, v1 :: v_dual_mov_b32 v195, v1
	v_mov_b32_e32 v193, v1
	v_add_nc_u64_e32 v[210:211], v[12:13], v[0:1]
	v_add_nc_u64_e32 v[212:213], v[12:13], v[134:135]
	;; [unrolled: 1-line block ×11, first 2 shown]
	s_set_vgpr_msb 64                       ;  msbs: dst=1 src0=0 src1=0 src2=0
	v_add_nc_u64_e32 v[0:1] /*v[256:257]*/, v[12:13], v[182:183]
	v_add_nc_u64_e32 v[2:3] /*v[258:259]*/, v[12:13], v[208:209]
	;; [unrolled: 1-line block ×5, first 2 shown]
	s_set_vgpr_msb 0                        ;  msbs: dst=0 src0=0 src1=0 src2=0
	v_mov_b32_e32 v131, v15
	s_set_vgpr_msb 64                       ;  msbs: dst=1 src0=0 src1=0 src2=0
	v_add_nc_u64_e32 v[10:11] /*v[266:267]*/, v[12:13], v[192:193]
                                        ; implicit-def: $vgpr80_vgpr81
                                        ; implicit-def: $vgpr82_vgpr83
                                        ; implicit-def: $vgpr84_vgpr85
                                        ; implicit-def: $vgpr86_vgpr87
                                        ; implicit-def: $vgpr96_vgpr97
                                        ; implicit-def: $vgpr98_vgpr99
                                        ; implicit-def: $vgpr100_vgpr101
                                        ; implicit-def: $vgpr112_vgpr113
                                        ; implicit-def: $vgpr116_vgpr117
                                        ; implicit-def: $vgpr128_vgpr129
                                        ; implicit-def: $vgpr162_vgpr163
                                        ; implicit-def: $vgpr166_vgpr167
                                        ; implicit-def: $vgpr102_vgpr103
                                        ; implicit-def: $vgpr114_vgpr115
                                        ; implicit-def: $vgpr118_vgpr119
                                        ; implicit-def: $vgpr164_vgpr165
                                        ; implicit-def: $vgpr176_vgpr177
	v_cmpx_lt_u32_e64 v10, v11
	s_set_vgpr_msb 0                        ;  msbs: dst=0 src0=0 src1=0 src2=0
	s_cbranch_execz .LBB185_55
; %bb.97:                               ;   in Loop: Header=BB185_56 Depth=1
	s_barrier_signal -1
	s_barrier_wait -1
	s_set_vgpr_msb 4                        ;  msbs: dst=0 src0=0 src1=1 src2=0
	ds_store_b8 v210, v27 /*v283*/
	ds_store_b8 v212, v22 /*v278*/
	;; [unrolled: 1-line block ×11, first 2 shown]
	s_set_vgpr_msb 1                        ;  msbs: dst=0 src0=1 src1=0 src2=0
	ds_store_b8 v0 /*v256*/, v39
	s_set_vgpr_msb 5                        ;  msbs: dst=0 src0=1 src1=1 src2=0
	ds_store_b8 v2 /*v258*/, v13 /*v269*/
	ds_store_b8 v4 /*v260*/, v14 /*v270*/
	;; [unrolled: 1-line block ×4, first 2 shown]
	s_set_vgpr_msb 1                        ;  msbs: dst=0 src0=1 src1=0 src2=0
	ds_store_b8 v10 /*v266*/, v15
	v_add_nc_u32_e32 v15, 0x200, v4
	v_add_nc_u32_e32 v39, 0x1e0, v4
	;; [unrolled: 1-line block ×6, first 2 shown]
	s_wait_dscnt 0x0
	s_barrier_signal -1
	s_barrier_wait -1
	s_set_vgpr_msb 0                        ;  msbs: dst=0 src0=0 src1=0 src2=0
	ds_load_u8 v15, v15
	s_set_vgpr_msb 64                       ;  msbs: dst=1 src0=0 src1=0 src2=0
	ds_load_u8 v16 /*v272*/, v39
	ds_load_u8 v15 /*v271*/, v80
	;; [unrolled: 1-line block ×4, first 2 shown]
	s_set_vgpr_msb 0                        ;  msbs: dst=0 src0=0 src1=0 src2=0
	ds_load_u8 v39, v83
	v_add_nc_u32_e32 v80, 0x140, v4
	v_add_nc_u32_e32 v81, 0x120, v4
	v_add_nc_u32_e32 v82, 0x100, v4
	v_add_nc_u32_e32 v83, 0xe0, v4
	v_add_nc_u32_e32 v84, 0xc0, v4
	s_set_vgpr_msb 64                       ;  msbs: dst=1 src0=0 src1=0 src2=0
	ds_load_u8 v21 /*v277*/, v80
	ds_load_u8 v20 /*v276*/, v81
	;; [unrolled: 1-line block ×5, first 2 shown]
	s_set_vgpr_msb 0                        ;  msbs: dst=0 src0=0 src1=0 src2=0
	v_add_nc_u32_e32 v80, 0xa0, v4
	v_add_nc_u32_e32 v81, 0x80, v4
	;; [unrolled: 1-line block ×3, first 2 shown]
	v_dual_add_nc_u32 v83, 64, v4 :: v_dual_add_nc_u32 v84, 32, v4
	s_set_vgpr_msb 64                       ;  msbs: dst=1 src0=0 src1=0 src2=0
	ds_load_u8 v26 /*v282*/, v80
	ds_load_u8 v25 /*v281*/, v81
	;; [unrolled: 1-line block ×5, first 2 shown]
	s_set_vgpr_msb 0                        ;  msbs: dst=0 src0=0 src1=0 src2=0
	v_mad_nc_u64_u32 v[80:81], v0, 7, v[210:211]
	v_mad_nc_u64_u32 v[82:83], v134, 7, v[212:213]
	;; [unrolled: 1-line block ×6, first 2 shown]
	s_set_vgpr_msb 64                       ;  msbs: dst=1 src0=0 src1=0 src2=0
	ds_load_u8 v27 /*v283*/, v4
	s_wait_dscnt 0x0
	s_barrier_signal -1
	s_barrier_wait -1
	ds_store_b64 v80, v[32:33]
	ds_store_b64 v82, v[30:31]
	;; [unrolled: 1-line block ×6, first 2 shown]
	s_set_vgpr_msb 0                        ;  msbs: dst=0 src0=0 src1=0 src2=0
	v_mad_nc_u64_u32 v[80:81], v150, 7, v[230:231]
	v_mad_nc_u64_u32 v[82:83], v160, 7, v[240:241]
	;; [unrolled: 1-line block ×5, first 2 shown]
	s_set_vgpr_msb 16                       ;  msbs: dst=0 src0=0 src1=0 src2=1
	v_mad_nc_u64_u32 v[98:99], v182, 7, v[0:1] /*v[256:257]*/
	v_mad_nc_u64_u32 v[100:101], v208, 7, v[2:3] /*v[258:259]*/
	;; [unrolled: 1-line block ×6, first 2 shown]
	ds_store_b64 v80, v[28:29]
	ds_store_b64 v82, v[48:49]
	;; [unrolled: 1-line block ×11, first 2 shown]
	v_add_nc_u32_e32 v96, 0x400, v18
	v_add_nc_u32_e32 v82, 0x100, v18
	;; [unrolled: 1-line block ×8, first 2 shown]
	s_wait_dscnt 0x0
	s_barrier_signal -1
	s_barrier_wait -1
	ds_load_b64 v[80:81], v18
	ds_load_b64 v[82:83], v82
	;; [unrolled: 1-line block ×9, first 2 shown]
	s_set_vgpr_msb 1                        ;  msbs: dst=0 src0=1 src1=0 src2=0
	ds_load_b64 v[128:129], v38 /*v294*/
	ds_load_b64 v[162:163], v39 /*v295*/
	;; [unrolled: 1-line block ×8, first 2 shown]
	s_set_vgpr_msb 0x44                     ;  msbs: dst=1 src0=0 src1=1 src2=0
	v_add_nc_u32_e32 v46 /*v302*/, -8, v46 /*v302*/
	s_xor_b32 s16, exec_lo, -1
	s_wait_dscnt 0x0
	s_barrier_signal -1
	s_barrier_wait -1
	s_set_vgpr_msb 0                        ;  msbs: dst=0 src0=0 src1=0 src2=0
	s_branch .LBB185_55
.LBB185_98:
	s_or_b32 exec_lo, exec_lo, s24
	v_dual_add_nc_u32 v1, v12, v14 :: v_dual_mov_b32 v39, 0
	v_lshl_add_u32 v0, v0, 3, v12
	v_lshl_add_u32 v10, v134, 3, v12
	;; [unrolled: 1-line block ×3, first 2 shown]
	s_barrier_signal -1
	s_barrier_wait -1
	s_set_vgpr_msb 4                        ;  msbs: dst=0 src0=0 src1=1 src2=0
	ds_store_b8 v210, v47 /*v303*/
	ds_store_b8 v212, v48 /*v304*/
	;; [unrolled: 1-line block ×11, first 2 shown]
	s_set_vgpr_msb 5                        ;  msbs: dst=0 src0=1 src1=1 src2=0
	ds_store_b8 v0 /*v256*/, v58 /*v314*/
	ds_store_b8 v2 /*v258*/, v59 /*v315*/
	;; [unrolled: 1-line block ×5, first 2 shown]
	s_set_vgpr_msb 1                        ;  msbs: dst=0 src0=1 src1=0 src2=0
	ds_store_b8 v10 /*v266*/, v131
	s_wait_dscnt 0x0
	s_barrier_signal -1
	s_barrier_wait -1
	s_set_vgpr_msb 0                        ;  msbs: dst=0 src0=0 src1=0 src2=0
	ds_load_u8 v102, v1
	ds_load_u8 v101, v1 offset:256
	ds_load_u8 v100, v1 offset:512
	;; [unrolled: 1-line block ×16, first 2 shown]
	s_wait_dscnt 0x0
	s_barrier_signal -1
	s_barrier_wait -1
	ds_store_b64 v0, v[32:33]
	ds_store_b64 v10, v[30:31]
	;; [unrolled: 1-line block ×3, first 2 shown]
	v_lshl_add_u32 v0, v130, 3, v12
	v_lshl_add_u32 v10, v132, 3, v12
	;; [unrolled: 1-line block ×5, first 2 shown]
	ds_store_b64 v0, v[26:27]
	ds_store_b64 v10, v[24:25]
	;; [unrolled: 1-line block ×5, first 2 shown]
	v_lshl_add_u32 v0, v144, 3, v12
	v_lshl_add_u32 v10, v178, 3, v12
	;; [unrolled: 1-line block ×5, first 2 shown]
	ds_store_b64 v0, v[20:21]
	ds_store_b64 v10, v[34:35]
	;; [unrolled: 1-line block ×5, first 2 shown]
	v_lshl_add_u32 v0, v198, 3, v12
	v_mul_u32_u24_e32 v13, 7, v14
	v_lshl_add_u32 v10, v196, 3, v12
	v_lshl_add_u32 v11, v194, 3, v12
	;; [unrolled: 1-line block ×3, first 2 shown]
	ds_store_b64 v0, v[54:55]
	ds_store_b64 v10, v[66:67]
	;; [unrolled: 1-line block ×4, first 2 shown]
	v_add_nc_u32_e32 v0, v1, v13
	s_wait_dscnt 0x0
	s_barrier_signal -1
	s_barrier_wait -1
	ds_load_2addr_stride64_b64 v[48:51], v0 offset1:4
	ds_load_2addr_stride64_b64 v[34:37], v0 offset0:8 offset1:12
	ds_load_2addr_stride64_b64 v[30:33], v0 offset0:16 offset1:20
	;; [unrolled: 1-line block ×7, first 2 shown]
	ds_load_b64 v[0:1], v0 offset:32768
	v_add_nc_u64_e32 v[2:3], v[2:3], v[8:9]
	s_set_vgpr_msb 4                        ;  msbs: dst=0 src0=0 src1=1 src2=0
	v_cmp_lt_u32_e32 vcc_lo, v38, v12 /*v268*/
	s_wait_dscnt 0x0
	s_barrier_signal -1
	s_barrier_wait -1
	s_set_vgpr_msb 0                        ;  msbs: dst=0 src0=0 src1=0 src2=0
	v_add_nc_u64_e32 v[2:3], v[2:3], v[38:39]
	s_and_saveexec_b32 s0, vcc_lo
	s_cbranch_execz .LBB185_100
; %bb.99:
	flat_store_b8 v[2:3], v102
.LBB185_100:
	s_wait_xcnt 0x0
	s_or_b32 exec_lo, exec_lo, s0
	v_add_nc_u32_e32 v52, 0x100, v38
	s_set_vgpr_msb 4                        ;  msbs: dst=0 src0=0 src1=1 src2=0
	s_delay_alu instid0(VALU_DEP_1)
	v_cmp_lt_u32_e64 s0, v52, v12 /*v268*/
	s_and_saveexec_b32 s1, s0
	s_set_vgpr_msb 0                        ;  msbs: dst=0 src0=0 src1=0 src2=0
	s_cbranch_execz .LBB185_102
; %bb.101:
	flat_store_b8 v[2:3], v101 offset:256
.LBB185_102:
	s_wait_xcnt 0x0
	s_or_b32 exec_lo, exec_lo, s1
	v_add_nc_u32_e32 v52, 0x200, v38
	s_set_vgpr_msb 4                        ;  msbs: dst=0 src0=0 src1=1 src2=0
	s_delay_alu instid0(VALU_DEP_1)
	v_cmp_lt_u32_e64 s1, v52, v12 /*v268*/
	s_and_saveexec_b32 s2, s1
	s_set_vgpr_msb 0                        ;  msbs: dst=0 src0=0 src1=0 src2=0
	s_cbranch_execz .LBB185_104
; %bb.103:
	flat_store_b8 v[2:3], v100 offset:512
.LBB185_104:
	;; [unrolled: 12-line block ×16, first 2 shown]
	s_wait_xcnt 0x0
	s_or_b32 exec_lo, exec_lo, s18
	v_lshl_add_u64 v[2:3], v[8:9], 3, v[6:7]
	s_delay_alu instid0(VALU_DEP_1)
	v_lshl_add_u64 v[2:3], v[38:39], 3, v[2:3]
	s_and_saveexec_b32 s18, vcc_lo
	s_cbranch_execnz .LBB185_220
; %bb.133:
	s_or_b32 exec_lo, exec_lo, s18
	s_and_saveexec_b32 s18, s0
	s_cbranch_execnz .LBB185_221
.LBB185_134:
	s_or_b32 exec_lo, exec_lo, s18
	s_and_saveexec_b32 s0, s1
	s_cbranch_execnz .LBB185_222
.LBB185_135:
	s_or_b32 exec_lo, exec_lo, s0
	s_and_saveexec_b32 s0, s2
	s_cbranch_execnz .LBB185_223
.LBB185_136:
	s_or_b32 exec_lo, exec_lo, s0
	s_and_saveexec_b32 s0, s3
	s_cbranch_execnz .LBB185_224
.LBB185_137:
	s_or_b32 exec_lo, exec_lo, s0
	s_and_saveexec_b32 s0, s4
	s_cbranch_execnz .LBB185_225
.LBB185_138:
	s_or_b32 exec_lo, exec_lo, s0
	s_and_saveexec_b32 s0, s5
	s_cbranch_execnz .LBB185_226
.LBB185_139:
	s_or_b32 exec_lo, exec_lo, s0
	s_and_saveexec_b32 s0, s6
	s_cbranch_execnz .LBB185_227
.LBB185_140:
	s_or_b32 exec_lo, exec_lo, s0
	s_and_saveexec_b32 s0, s7
	s_cbranch_execnz .LBB185_228
.LBB185_141:
	s_or_b32 exec_lo, exec_lo, s0
	s_and_saveexec_b32 s0, s10
	s_cbranch_execnz .LBB185_229
.LBB185_142:
	s_or_b32 exec_lo, exec_lo, s0
	s_and_saveexec_b32 s0, s11
	s_cbranch_execnz .LBB185_230
.LBB185_143:
	s_or_b32 exec_lo, exec_lo, s0
	s_and_saveexec_b32 s0, s12
	s_cbranch_execnz .LBB185_231
.LBB185_144:
	s_or_b32 exec_lo, exec_lo, s0
	s_and_saveexec_b32 s0, s13
	s_cbranch_execnz .LBB185_232
.LBB185_145:
	s_or_b32 exec_lo, exec_lo, s0
	s_and_saveexec_b32 s0, s14
	s_cbranch_execnz .LBB185_233
.LBB185_146:
	s_or_b32 exec_lo, exec_lo, s0
	s_and_saveexec_b32 s0, s15
	s_cbranch_execnz .LBB185_234
.LBB185_147:
	s_or_b32 exec_lo, exec_lo, s0
	s_and_saveexec_b32 s0, s16
	s_cbranch_execnz .LBB185_235
.LBB185_148:
	s_or_b32 exec_lo, exec_lo, s0
	s_and_saveexec_b32 s0, s17
	s_cbranch_execz .LBB185_150
.LBB185_149:
	flat_store_b64 v[2:3], v[0:1] offset:32768
.LBB185_150:
	s_wait_xcnt 0x0
	s_or_b32 exec_lo, exec_lo, s0
                                        ; implicit-def: $vgpr268
                                        ; implicit-def: $vgpr8
                                        ; implicit-def: $vgpr10
                                        ; implicit-def: $vgpr11
                                        ; implicit-def: $vgpr0_vgpr1
                                        ; implicit-def: $vgpr2_vgpr3
                                        ; implicit-def: $vgpr4_vgpr5
                                        ; implicit-def: $vgpr6_vgpr7
                                        ; implicit-def: $vgpr12_vgpr13
                                        ; implicit-def: $vgpr9
                                        ; implicit-def: $vgpr15
                                        ; implicit-def: $vgpr14
                                        ; implicit-def: $vgpr16
.LBB185_151:
	s_and_not1_saveexec_b32 s0, s22
	s_cbranch_execz .LBB185_382
; %bb.152:
	s_mov_b32 s0, exec_lo
	s_set_vgpr_msb 4                        ;  msbs: dst=0 src0=0 src1=1 src2=0
	v_cmpx_lt_u32_e32 0x400, v12 /*v268*/
	s_xor_b32 s22, exec_lo, s0
	s_set_vgpr_msb 0                        ;  msbs: dst=0 src0=0 src1=0 src2=0
	s_cbranch_execz .LBB185_262
; %bb.153:
	s_load_b64 s[0:1], s[8:9], 0x0
	s_bfe_u32 s3, ttmp6, 0x4000c
	s_bfe_u32 s5, ttmp6, 0x40010
	s_and_b32 s4, ttmp7, 0xffff
	s_add_co_i32 s3, s3, 1
	s_add_co_i32 s5, s5, 1
	s_and_b32 s2, ttmp6, 15
	s_bfe_u32 s6, ttmp6, 0x40004
	s_mul_i32 s3, ttmp9, s3
	s_mul_i32 s5, s4, s5
	s_add_co_i32 s2, s2, s3
	s_add_co_i32 s6, s6, s5
	s_cmp_eq_u32 s21, 0
	s_mov_b32 s3, 0
	s_cselect_b32 s2, ttmp9, s2
	s_cselect_b32 s4, s4, s6
	v_dual_mov_b32 v27, 0xff :: v_dual_mov_b32 v130, 0xff
	v_mov_b32_e32 v129, 0xff
	v_mov_b32_e32 v131, 0xff
	s_wait_kmcnt 0x0
	s_cmp_lt_u32 s2, s0
	v_mov_b32_e32 v133, 0xff
	s_cselect_b32 s2, 12, 18
	s_cmp_lt_u32 s4, s1
	s_mov_b32 s1, s3
	s_cselect_b32 s0, 14, 20
	v_mov_b32_e32 v132, 0xff
	s_add_nc_u64 s[0:1], s[8:9], s[0:1]
	v_mov_b32_e32 v128, 0xff
	s_load_u16 s4, s[0:1], 0x0
	s_wait_xcnt 0x0
	s_add_nc_u64 s[0:1], s[8:9], s[2:3]
	s_load_u16 s0, s[0:1], 0x0
	s_wait_kmcnt 0x0
	v_mad_u32_u24 v9, v15, s4, v9
	v_mov_b32_e32 v15, 0xff
	s_delay_alu instid0(VALU_DEP_2) | instskip(SKIP_1) | instid1(VALU_DEP_1)
	v_mad_u32 v26, v9, s0, v14
	v_mov_b32_e32 v9, 0
	v_add_nc_u64_e32 v[18:19], v[0:1], v[8:9]
	s_delay_alu instid0(VALU_DEP_3) | instskip(NEXT) | instid1(VALU_DEP_1)
	v_dual_mov_b32 v17, v9 :: v_dual_lshlrev_b32 v0, 3, v26
	v_and_b32_e32 v0, 0xffffff00, v0
	s_delay_alu instid0(VALU_DEP_2) | instskip(NEXT) | instid1(VALU_DEP_2)
	v_add_nc_u64_e32 v[18:19], v[18:19], v[16:17]
	v_dual_mov_b32 v1, v9 :: v_dual_bitop2_b32 v17, v0, v16 bitop3:0x54
	s_delay_alu instid0(VALU_DEP_1) | instskip(SKIP_1) | instid1(VALU_DEP_2)
	v_add_nc_u64_e32 v[18:19], v[18:19], v[0:1]
	s_set_vgpr_msb 4                        ;  msbs: dst=0 src0=0 src1=1 src2=0
	v_cmp_lt_u32_e32 vcc_lo, v17, v12 /*v268*/
	s_and_saveexec_b32 s0, vcc_lo
	s_set_vgpr_msb 0                        ;  msbs: dst=0 src0=0 src1=0 src2=0
	s_cbranch_execz .LBB185_155
; %bb.154:
	flat_load_u8 v27, v[18:19]
	v_dual_mov_b32 v15, 0xff :: v_dual_mov_b32 v128, 0xff
	v_dual_mov_b32 v129, 0xff :: v_dual_mov_b32 v132, 0xff
	;; [unrolled: 1-line block ×3, first 2 shown]
	v_mov_b32_e32 v133, 0xff
.LBB185_155:
	s_wait_xcnt 0x0
	s_or_b32 exec_lo, exec_lo, s0
	v_or_b32_e32 v20, 32, v17
	s_set_vgpr_msb 4                        ;  msbs: dst=0 src0=0 src1=1 src2=0
	s_delay_alu instid0(VALU_DEP_1)
	v_cmp_lt_u32_e64 s0, v20, v12 /*v268*/
	s_and_saveexec_b32 s1, s0
	s_set_vgpr_msb 0                        ;  msbs: dst=0 src0=0 src1=0 src2=0
	s_cbranch_execz .LBB185_157
; %bb.156:
	flat_load_u8 v128, v[18:19] offset:32
.LBB185_157:
	s_wait_xcnt 0x0
	s_or_b32 exec_lo, exec_lo, s1
	v_or_b32_e32 v20, 64, v17
	s_set_vgpr_msb 4                        ;  msbs: dst=0 src0=0 src1=1 src2=0
	s_delay_alu instid0(VALU_DEP_1)
	v_cmp_lt_u32_e64 s1, v20, v12 /*v268*/
	s_and_saveexec_b32 s2, s1
	s_set_vgpr_msb 0                        ;  msbs: dst=0 src0=0 src1=0 src2=0
	s_cbranch_execz .LBB185_159
; %bb.158:
	flat_load_u8 v129, v[18:19] offset:64
.LBB185_159:
	;; [unrolled: 12-line block ×7, first 2 shown]
	s_wait_xcnt 0x0
	s_or_b32 exec_lo, exec_lo, s7
	v_lshl_add_u64 v[4:5], v[8:9], 3, v[4:5]
	v_dual_mov_b32 v19, 0 :: v_dual_lshlrev_b32 v18, 3, v16
                                        ; implicit-def: $vgpr50_vgpr51
	s_delay_alu instid0(VALU_DEP_1) | instskip(NEXT) | instid1(VALU_DEP_1)
	v_add_nc_u64_e32 v[4:5], v[4:5], v[18:19]
	v_lshl_add_u64 v[0:1], v[0:1], 3, v[4:5]
	s_and_saveexec_b32 s7, vcc_lo
	s_cbranch_execnz .LBB185_295
; %bb.170:
	s_or_b32 exec_lo, exec_lo, s7
                                        ; implicit-def: $vgpr52_vgpr53
	s_and_saveexec_b32 s7, s0
	s_cbranch_execnz .LBB185_296
.LBB185_171:
	s_or_b32 exec_lo, exec_lo, s7
                                        ; implicit-def: $vgpr64_vgpr65
	s_and_saveexec_b32 s0, s1
	s_cbranch_execnz .LBB185_297
.LBB185_172:
	s_or_b32 exec_lo, exec_lo, s0
                                        ; implicit-def: $vgpr34_vgpr35
	s_and_saveexec_b32 s0, s2
	s_cbranch_execnz .LBB185_298
.LBB185_173:
	s_or_b32 exec_lo, exec_lo, s0
                                        ; implicit-def: $vgpr36_vgpr37
	s_and_saveexec_b32 s0, s3
	s_cbranch_execnz .LBB185_299
.LBB185_174:
	s_or_b32 exec_lo, exec_lo, s0
                                        ; implicit-def: $vgpr38_vgpr39
	s_and_saveexec_b32 s0, s4
	s_cbranch_execnz .LBB185_300
.LBB185_175:
	s_or_b32 exec_lo, exec_lo, s0
                                        ; implicit-def: $vgpr48_vgpr49
	s_and_saveexec_b32 s0, s5
	s_cbranch_execnz .LBB185_301
.LBB185_176:
	s_or_b32 exec_lo, exec_lo, s0
                                        ; implicit-def: $vgpr54_vgpr55
	s_and_saveexec_b32 s0, s6
	s_cbranch_execz .LBB185_178
.LBB185_177:
	flat_load_b64 v[54:55], v[0:1] offset:1792
.LBB185_178:
	s_wait_xcnt 0x0
	s_or_b32 exec_lo, exec_lo, s0
	v_lshl_add_u32 v0, v14, 5, v12
	v_lshlrev_b32_e32 v1, 3, v14
	v_sub_co_u32 v17, s2, v16, 1
	v_dual_lshrrev_b32 v150, 5, v26 :: v_dual_bitop2_b32 v4, 15, v16 bitop3:0x40
	s_delay_alu instid0(VALU_DEP_4)
	v_dual_add_nc_u32 v134, 32, v0 :: v_dual_add_nc_u32 v135, 36, v0
	v_dual_add_nc_u32 v144, 40, v0 :: v_dual_add_nc_u32 v145, 44, v0
	v_dual_add_nc_u32 v146, 48, v0 :: v_dual_add_nc_u32 v147, 52, v0
	v_dual_add_nc_u32 v148, 56, v0 :: v_dual_add_nc_u32 v149, 60, v0
	v_and_b32_e32 v0, 0x3e0, v14
	v_and_b32_e32 v5, 16, v16
	v_cmp_gt_i32_e64 s5, 0, v17
	s_get_pc_i64 s[0:1]
	s_add_nc_u64 s[0:1], s[0:1], _ZN7rocprim17ROCPRIM_400000_NS16block_radix_sortIhLj256ELj8ElLj1ELj1ELj8ELNS0_26block_radix_rank_algorithmE2ELNS0_18block_padding_hintE2ELNS0_4arch9wavefront6targetE0EE19radix_bits_per_passE@rel64+4
	v_cmp_eq_u32_e32 vcc_lo, 0, v4
	v_min_u32_e32 v0, 0xe0, v0
	s_load_b32 s23, s[0:1], 0x0
	s_wait_xcnt 0x0
	v_cmp_lt_u32_e64 s0, 1, v4
	v_cmp_lt_u32_e64 s1, 3, v4
	;; [unrolled: 1-line block ×3, first 2 shown]
	v_dual_lshrrev_b32 v4, 3, v14 :: v_dual_bitop2_b32 v0, 31, v0 bitop3:0x54
	v_cmp_eq_u32_e64 s4, 0, v5
	v_cndmask_b32_e64 v5, v17, v16, s5
	v_cmp_gt_u32_e64 s6, 8, v14
	s_delay_alu instid0(VALU_DEP_4) | instskip(SKIP_1) | instid1(VALU_DEP_4)
	v_cmp_eq_u32_e64 s5, v14, v0
	v_and_b32_e32 v0, 0x7c, v4
	v_dual_lshlrev_b32 v151, 2, v5 :: v_dual_bitop2_b32 v4, 7, v16 bitop3:0x40
	v_and_or_b32 v5, 0x1f00, v1, v16
	s_delay_alu instid0(VALU_DEP_3) | instskip(NEXT) | instid1(VALU_DEP_3)
	v_dual_mov_b32 v1, 0 :: v_dual_add_nc_u32 v160, v12, v0
	v_cmp_eq_u32_e64 s11, 0, v4
	v_cmp_lt_u32_e64 s12, 1, v4
	s_delay_alu instid0(VALU_DEP_4) | instskip(SKIP_4) | instid1(VALU_DEP_4)
	v_add_nc_u32_e32 v162, v12, v5
	v_mul_u32_u24_e32 v0, 7, v5
	v_cmp_lt_u32_e64 s13, 3, v4
	v_mov_b64_e32 v[4:5], 0
	v_cmp_lt_u32_e64 s7, 31, v14
	v_dual_add_nc_u32 v165, 64, v162 :: v_dual_add_nc_u32 v167, v162, v0
	v_cmp_eq_u32_e64 s10, 0, v14
	v_lshl_add_u32 v161, v14, 2, v12
	v_dual_add_nc_u32 v163, -4, v160 :: v_dual_add_nc_u32 v164, 32, v162
	v_add_nc_u32_e32 v166, 0x60, v162
	v_add_nc_u32_e32 v176, 0x80, v162
	;; [unrolled: 1-line block ×12, first 2 shown]
	v_sub_nc_u32_e32 v195, v11, v10
	s_mov_b32 s24, 0
	s_wait_storecnt 0x0
	s_wait_loadcnt_dscnt 0x0
	s_barrier_signal -1
	s_barrier_wait -1
	s_branch .LBB185_180
.LBB185_179:                            ;   in Loop: Header=BB185_180 Depth=1
	s_or_b32 exec_lo, exec_lo, s15
	s_delay_alu instid0(SALU_CYCLE_1) | instskip(NEXT) | instid1(SALU_CYCLE_1)
	s_and_b32 s14, exec_lo, s16
	s_or_b32 s24, s14, s24
	s_delay_alu instid0(SALU_CYCLE_1)
	s_and_not1_b32 exec_lo, exec_lo, s24
	s_cbranch_execz .LBB185_236
.LBB185_180:                            ; =>This Inner Loop Header: Depth=1
	s_wait_kmcnt 0x0
	v_min_u32_e32 v0, s23, v195
	v_and_b32_e32 v16, 0xff, v27
	v_mov_b64_e32 v[18:19], v[52:53]
	v_mov_b64_e32 v[20:21], v[64:65]
	ds_store_b64 v134, v[4:5]
	ds_store_b64 v144, v[4:5]
	v_lshlrev_b32_e64 v66, v0, -1
	v_lshrrev_b32_e32 v0, v10, v16
	v_mov_b64_e32 v[16:17], v[50:51]
	ds_store_b64 v146, v[4:5]
	ds_store_b64 v148, v[4:5]
	s_wait_dscnt 0x0
	s_barrier_signal -1
	v_bitop3_b32 v22, v0, 1, v66 bitop3:0x40
	v_bitop3_b32 v0, v0, v66, v0 bitop3:0x30
	s_barrier_wait -1
	s_delay_alu instid0(VALU_DEP_2) | instskip(NEXT) | instid1(VALU_DEP_1)
	v_add_co_u32 v22, s14, v22, -1
	v_cndmask_b32_e64 v23, 0, 1, s14
	s_delay_alu instid0(VALU_DEP_3) | instskip(SKIP_1) | instid1(VALU_DEP_3)
	v_dual_lshlrev_b32 v24, 30, v0 :: v_dual_lshlrev_b32 v25, 29, v0
	v_dual_lshlrev_b32 v28, 28, v0 :: v_dual_lshlrev_b32 v29, 27, v0
	v_cmp_ne_u32_e64 s14, 0, v23
	s_delay_alu instid0(VALU_DEP_3)
	v_not_b32_e32 v23, v24
	v_dual_lshlrev_b32 v30, 26, v0 :: v_dual_lshlrev_b32 v31, 25, v0
	v_cmp_gt_i32_e64 s15, 0, v24
	v_cmp_gt_i32_e64 s16, 0, v25
	v_not_b32_e32 v24, v25
	v_not_b32_e32 v25, v28
	v_dual_ashrrev_i32 v23, 31, v23 :: v_dual_lshlrev_b32 v32, 24, v0
	v_xor_b32_e32 v22, s14, v22
	v_cmp_gt_i32_e64 s17, 0, v28
	s_delay_alu instid0(VALU_DEP_4) | instskip(SKIP_3) | instid1(VALU_DEP_4)
	v_dual_ashrrev_i32 v24, 31, v24 :: v_dual_ashrrev_i32 v25, 31, v25
	v_not_b32_e32 v33, v30
	v_xor_b32_e32 v23, s15, v23
	v_not_b32_e32 v28, v29
	v_xor_b32_e32 v24, s16, v24
	v_xor_b32_e32 v25, s17, v25
	v_cmp_gt_i32_e64 s14, 0, v29
	v_bitop3_b32 v22, v22, v23, exec_lo bitop3:0x80
	v_ashrrev_i32_e32 v23, 31, v28
	v_cmp_gt_i32_e64 s15, 0, v30
	v_ashrrev_i32_e32 v28, 31, v33
	; wave barrier
	s_delay_alu instid0(VALU_DEP_4)
	v_bitop3_b32 v22, v22, v25, v24 bitop3:0x80
	v_not_b32_e32 v24, v31
	v_not_b32_e32 v25, v32
	v_xor_b32_e32 v23, s14, v23
	v_xor_b32_e32 v28, s15, v28
	v_cmp_gt_i32_e64 s14, 0, v31
	v_ashrrev_i32_e32 v24, 31, v24
	v_cmp_gt_i32_e64 s15, 0, v32
	v_dual_ashrrev_i32 v25, 31, v25 :: v_dual_lshlrev_b32 v0, 3, v0
	v_mov_b64_e32 v[32:33], v[34:35]
	v_bitop3_b32 v30, v22, v28, v23 bitop3:0x80
	v_xor_b32_e32 v31, s14, v24
	s_delay_alu instid0(VALU_DEP_4)
	v_xor_b32_e32 v34, s15, v25
	v_add_lshl_u32 v0, v0, v150, 2
	v_mov_b64_e32 v[22:23], v[36:37]
	v_mov_b64_e32 v[28:29], v[38:39]
	;; [unrolled: 1-line block ×3, first 2 shown]
	v_bitop3_b32 v36, v30, v34, v31 bitop3:0x80
	v_add_nc_u64_e32 v[34:35], v[12:13], v[0:1]
	v_mov_b64_e32 v[30:31], v[54:55]
	s_delay_alu instid0(VALU_DEP_3) | instskip(SKIP_1) | instid1(VALU_DEP_4)
	v_mbcnt_lo_u32_b32 v0, v36, 0
	v_cmp_ne_u32_e64 s15, 0, v36
	v_add_nc_u64_e32 v[34:35], 32, v[34:35]
	s_delay_alu instid0(VALU_DEP_3) | instskip(SKIP_1) | instid1(SALU_CYCLE_1)
	v_cmp_eq_u32_e64 s14, 0, v0
	s_and_b32 s15, s15, s14
	s_and_saveexec_b32 s14, s15
; %bb.181:                              ;   in Loop: Header=BB185_180 Depth=1
	v_bcnt_u32_b32 v35, v36, 0
	ds_store_b32 v34, v35
; %bb.182:                              ;   in Loop: Header=BB185_180 Depth=1
	s_or_b32 exec_lo, exec_lo, s14
	v_and_b32_e32 v35, 0xff, v128
	v_not_b32_e32 v49, v66
	; wave barrier
	s_delay_alu instid0(VALU_DEP_2) | instskip(NEXT) | instid1(VALU_DEP_1)
	v_lshrrev_b32_e32 v35, v10, v35
	v_and_b32_e32 v36, v35, v49
	s_delay_alu instid0(VALU_DEP_1) | instskip(SKIP_1) | instid1(VALU_DEP_2)
	v_lshlrev_b32_e32 v39, 30, v36
	v_bitop3_b32 v35, v35, 1, v49 bitop3:0x80
	v_cmp_gt_i32_e64 s15, 0, v39
	s_delay_alu instid0(VALU_DEP_2) | instskip(NEXT) | instid1(VALU_DEP_1)
	v_add_co_u32 v35, s14, v35, -1
	v_cndmask_b32_e64 v38, 0, 1, s14
	s_delay_alu instid0(VALU_DEP_1) | instskip(SKIP_1) | instid1(VALU_DEP_1)
	v_cmp_ne_u32_e64 s14, 0, v38
	v_not_b32_e32 v38, v39
	v_dual_ashrrev_i32 v38, 31, v38 :: v_dual_lshlrev_b32 v48, 29, v36
	v_dual_lshlrev_b32 v50, 28, v36 :: v_dual_lshlrev_b32 v51, 27, v36
	v_lshlrev_b32_e32 v52, 26, v36
	v_lshl_add_u32 v37, v36, 3, v150
	s_delay_alu instid0(VALU_DEP_4)
	v_cmp_gt_i32_e64 s16, 0, v48
	v_not_b32_e32 v39, v48
	v_not_b32_e32 v48, v50
	v_dual_lshlrev_b32 v53, 25, v36 :: v_dual_lshlrev_b32 v36, 24, v36
	v_cmp_gt_i32_e64 s17, 0, v50
	v_cmp_gt_i32_e64 s18, 0, v51
	v_not_b32_e32 v50, v51
	v_dual_ashrrev_i32 v48, 31, v48 :: v_dual_bitop2_b32 v35, s14, v35 bitop3:0x14
	v_dual_ashrrev_i32 v39, 31, v39 :: v_dual_bitop2_b32 v38, s15, v38 bitop3:0x14
	v_not_b32_e32 v51, v52
	v_cmp_gt_i32_e64 s19, 0, v52
	s_delay_alu instid0(VALU_DEP_3)
	v_dual_ashrrev_i32 v50, 31, v50 :: v_dual_bitop2_b32 v39, s16, v39 bitop3:0x14
	v_xor_b32_e32 v48, s17, v48
	v_bitop3_b32 v35, v35, v38, exec_lo bitop3:0x80
	v_ashrrev_i32_e32 v38, 31, v51
	v_not_b32_e32 v51, v53
	v_not_b32_e32 v52, v36
	v_xor_b32_e32 v50, s18, v50
	v_bitop3_b32 v35, v35, v48, v39 bitop3:0x80
	v_xor_b32_e32 v38, s19, v38
	v_cmp_gt_i32_e64 s14, 0, v53
	v_ashrrev_i32_e32 v39, 31, v51
	v_cmp_gt_i32_e64 s15, 0, v36
	v_ashrrev_i32_e32 v36, 31, v52
	v_lshl_add_u32 v37, v37, 2, v12
	v_bitop3_b32 v38, v35, v38, v50 bitop3:0x80
	v_xor_b32_e32 v39, s14, v39
	s_delay_alu instid0(VALU_DEP_4) | instskip(SKIP_3) | instid1(VALU_DEP_1)
	v_xor_b32_e32 v36, s15, v36
	ds_load_b32 v35, v37 offset:32
	v_add_nc_u32_e32 v37, 32, v37
	; wave barrier
	v_bitop3_b32 v38, v38, v36, v39 bitop3:0x80
	v_mbcnt_lo_u32_b32 v36, v38, 0
	v_cmp_ne_u32_e64 s15, 0, v38
	s_delay_alu instid0(VALU_DEP_2) | instskip(SKIP_1) | instid1(SALU_CYCLE_1)
	v_cmp_eq_u32_e64 s14, 0, v36
	s_and_b32 s15, s15, s14
	s_and_saveexec_b32 s14, s15
	s_cbranch_execz .LBB185_184
; %bb.183:                              ;   in Loop: Header=BB185_180 Depth=1
	s_wait_dscnt 0x0
	v_bcnt_u32_b32 v38, v38, v35
	ds_store_b32 v37, v38
.LBB185_184:                            ;   in Loop: Header=BB185_180 Depth=1
	s_or_b32 exec_lo, exec_lo, s14
	v_and_b32_e32 v38, 0xff, v129
	; wave barrier
	s_delay_alu instid0(VALU_DEP_1) | instskip(NEXT) | instid1(VALU_DEP_1)
	v_lshrrev_b32_e32 v38, v10, v38
	v_and_b32_e32 v39, v38, v49
	s_delay_alu instid0(VALU_DEP_1) | instskip(SKIP_1) | instid1(VALU_DEP_2)
	v_lshlrev_b32_e32 v51, 30, v39
	v_bitop3_b32 v38, v38, 1, v49 bitop3:0x80
	v_cmp_gt_i32_e64 s15, 0, v51
	s_delay_alu instid0(VALU_DEP_2) | instskip(NEXT) | instid1(VALU_DEP_1)
	v_add_co_u32 v38, s14, v38, -1
	v_cndmask_b32_e64 v50, 0, 1, s14
	s_delay_alu instid0(VALU_DEP_1) | instskip(SKIP_1) | instid1(VALU_DEP_1)
	v_cmp_ne_u32_e64 s14, 0, v50
	v_not_b32_e32 v50, v51
	v_dual_ashrrev_i32 v50, 31, v50 :: v_dual_lshlrev_b32 v52, 29, v39
	v_dual_lshlrev_b32 v53, 28, v39 :: v_dual_lshlrev_b32 v54, 27, v39
	v_lshlrev_b32_e32 v55, 26, v39
	v_lshl_add_u32 v48, v39, 3, v150
	s_delay_alu instid0(VALU_DEP_4)
	v_cmp_gt_i32_e64 s16, 0, v52
	v_not_b32_e32 v51, v52
	v_not_b32_e32 v52, v53
	v_dual_lshlrev_b32 v64, 25, v39 :: v_dual_lshlrev_b32 v39, 24, v39
	v_cmp_gt_i32_e64 s17, 0, v53
	v_cmp_gt_i32_e64 s18, 0, v54
	v_not_b32_e32 v53, v54
	v_not_b32_e32 v54, v55
	v_dual_ashrrev_i32 v51, 31, v51 :: v_dual_bitop2_b32 v38, s14, v38 bitop3:0x14
	v_dual_ashrrev_i32 v52, 31, v52 :: v_dual_bitop2_b32 v50, s15, v50 bitop3:0x14
	v_cmp_gt_i32_e64 s19, 0, v55
	s_delay_alu instid0(VALU_DEP_4) | instskip(SKIP_1) | instid1(VALU_DEP_4)
	v_dual_ashrrev_i32 v53, 31, v53 :: v_dual_ashrrev_i32 v54, 31, v54
	v_not_b32_e32 v55, v39
	v_xor_b32_e32 v52, s17, v52
	v_bitop3_b32 v38, v38, v50, exec_lo bitop3:0x80
	v_not_b32_e32 v50, v64
	v_xor_b32_e32 v51, s16, v51
	v_xor_b32_e32 v54, s19, v54
	v_cmp_gt_i32_e64 s14, 0, v64
	v_cmp_gt_i32_e64 s15, 0, v39
	v_dual_ashrrev_i32 v50, 31, v50 :: v_dual_ashrrev_i32 v39, 31, v55
	v_bitop3_b32 v38, v38, v52, v51 bitop3:0x80
	v_lshl_add_u32 v48, v48, 2, v12
	v_xor_b32_e32 v53, s18, v53
	s_delay_alu instid0(VALU_DEP_4) | instskip(SKIP_1) | instid1(VALU_DEP_3)
	v_xor_b32_e32 v50, s14, v50
	v_xor_b32_e32 v39, s15, v39
	v_bitop3_b32 v51, v38, v54, v53 bitop3:0x80
	ds_load_b32 v38, v48 offset:32
	v_add_nc_u32_e32 v48, 32, v48
	; wave barrier
	v_bitop3_b32 v50, v51, v39, v50 bitop3:0x80
	s_delay_alu instid0(VALU_DEP_1) | instskip(SKIP_1) | instid1(VALU_DEP_2)
	v_mbcnt_lo_u32_b32 v39, v50, 0
	v_cmp_ne_u32_e64 s15, 0, v50
	v_cmp_eq_u32_e64 s14, 0, v39
	s_and_b32 s15, s15, s14
	s_delay_alu instid0(SALU_CYCLE_1)
	s_and_saveexec_b32 s14, s15
	s_cbranch_execz .LBB185_186
; %bb.185:                              ;   in Loop: Header=BB185_180 Depth=1
	s_wait_dscnt 0x0
	v_bcnt_u32_b32 v50, v50, v38
	ds_store_b32 v48, v50
.LBB185_186:                            ;   in Loop: Header=BB185_180 Depth=1
	s_or_b32 exec_lo, exec_lo, s14
	v_and_b32_e32 v50, 0xff, v131
	; wave barrier
	s_delay_alu instid0(VALU_DEP_1) | instskip(NEXT) | instid1(VALU_DEP_1)
	v_lshrrev_b32_e32 v50, v10, v50
	v_and_b32_e32 v51, v50, v49
	s_delay_alu instid0(VALU_DEP_1) | instskip(SKIP_2) | instid1(VALU_DEP_3)
	v_lshlrev_b32_e32 v54, 30, v51
	v_bitop3_b32 v50, v50, 1, v49 bitop3:0x80
	v_lshlrev_b32_e32 v55, 29, v51
	v_cmp_gt_i32_e64 s15, 0, v54
	s_delay_alu instid0(VALU_DEP_3) | instskip(NEXT) | instid1(VALU_DEP_1)
	v_add_co_u32 v50, s14, v50, -1
	v_cndmask_b32_e64 v53, 0, 1, s14
	s_delay_alu instid0(VALU_DEP_1) | instskip(SKIP_2) | instid1(VALU_DEP_2)
	v_cmp_ne_u32_e64 s14, 0, v53
	v_not_b32_e32 v53, v54
	v_not_b32_e32 v54, v55
	v_dual_ashrrev_i32 v53, 31, v53 :: v_dual_bitop2_b32 v50, s14, v50 bitop3:0x14
	s_delay_alu instid0(VALU_DEP_2) | instskip(SKIP_3) | instid1(VALU_DEP_4)
	v_dual_ashrrev_i32 v54, 31, v54 :: v_dual_lshlrev_b32 v64, 28, v51
	v_dual_lshlrev_b32 v65, 27, v51 :: v_dual_lshlrev_b32 v66, 26, v51
	v_cmp_gt_i32_e64 s16, 0, v55
	v_lshl_add_u32 v52, v51, 3, v150
	v_not_b32_e32 v55, v64
	v_dual_lshlrev_b32 v67, 25, v51 :: v_dual_lshlrev_b32 v51, 24, v51
	v_cmp_gt_i32_e64 s17, 0, v64
	v_cmp_gt_i32_e64 s18, 0, v65
	v_not_b32_e32 v64, v65
	v_not_b32_e32 v65, v66
	v_dual_ashrrev_i32 v55, 31, v55 :: v_dual_bitop2_b32 v53, s15, v53 bitop3:0x14
	v_cmp_gt_i32_e64 s19, 0, v66
	s_delay_alu instid0(VALU_DEP_3) | instskip(SKIP_1) | instid1(VALU_DEP_4)
	v_dual_ashrrev_i32 v64, 31, v64 :: v_dual_ashrrev_i32 v65, 31, v65
	v_not_b32_e32 v66, v51
	v_xor_b32_e32 v55, s17, v55
	v_bitop3_b32 v50, v50, v53, exec_lo bitop3:0x80
	v_not_b32_e32 v53, v67
	v_xor_b32_e32 v54, s16, v54
	v_xor_b32_e32 v64, s18, v64
	v_cmp_gt_i32_e64 s14, 0, v67
	v_cmp_gt_i32_e64 s15, 0, v51
	v_dual_ashrrev_i32 v53, 31, v53 :: v_dual_ashrrev_i32 v51, 31, v66
	v_bitop3_b32 v50, v50, v55, v54 bitop3:0x80
	v_lshl_add_u32 v52, v52, 2, v12
	v_xor_b32_e32 v65, s19, v65
	s_delay_alu instid0(VALU_DEP_4) | instskip(SKIP_1) | instid1(VALU_DEP_3)
	v_xor_b32_e32 v53, s14, v53
	v_xor_b32_e32 v51, s15, v51
	v_bitop3_b32 v54, v50, v65, v64 bitop3:0x80
	ds_load_b32 v50, v52 offset:32
	v_add_nc_u32_e32 v52, 32, v52
	; wave barrier
	v_bitop3_b32 v53, v54, v51, v53 bitop3:0x80
	s_delay_alu instid0(VALU_DEP_1) | instskip(SKIP_1) | instid1(VALU_DEP_2)
	v_mbcnt_lo_u32_b32 v51, v53, 0
	v_cmp_ne_u32_e64 s15, 0, v53
	v_cmp_eq_u32_e64 s14, 0, v51
	s_and_b32 s15, s15, s14
	s_delay_alu instid0(SALU_CYCLE_1)
	s_and_saveexec_b32 s14, s15
	s_cbranch_execz .LBB185_188
; %bb.187:                              ;   in Loop: Header=BB185_180 Depth=1
	s_wait_dscnt 0x0
	v_bcnt_u32_b32 v53, v53, v50
	ds_store_b32 v52, v53
.LBB185_188:                            ;   in Loop: Header=BB185_180 Depth=1
	s_or_b32 exec_lo, exec_lo, s14
	v_and_b32_e32 v53, 0xff, v132
	; wave barrier
	s_delay_alu instid0(VALU_DEP_1) | instskip(NEXT) | instid1(VALU_DEP_1)
	v_lshrrev_b32_e32 v53, v10, v53
	v_and_b32_e32 v54, v53, v49
	s_delay_alu instid0(VALU_DEP_1) | instskip(SKIP_1) | instid1(VALU_DEP_2)
	v_lshlrev_b32_e32 v65, 30, v54
	v_bitop3_b32 v53, v53, 1, v49 bitop3:0x80
	v_cmp_gt_i32_e64 s15, 0, v65
	s_delay_alu instid0(VALU_DEP_2) | instskip(NEXT) | instid1(VALU_DEP_1)
	v_add_co_u32 v53, s14, v53, -1
	v_cndmask_b32_e64 v64, 0, 1, s14
	s_delay_alu instid0(VALU_DEP_1) | instskip(SKIP_1) | instid1(VALU_DEP_1)
	v_cmp_ne_u32_e64 s14, 0, v64
	v_not_b32_e32 v64, v65
	v_dual_ashrrev_i32 v64, 31, v64 :: v_dual_lshlrev_b32 v66, 29, v54
	v_dual_lshlrev_b32 v67, 28, v54 :: v_dual_lshlrev_b32 v68, 27, v54
	v_lshlrev_b32_e32 v69, 26, v54
	v_lshl_add_u32 v55, v54, 3, v150
	s_delay_alu instid0(VALU_DEP_4)
	v_cmp_gt_i32_e64 s16, 0, v66
	v_not_b32_e32 v65, v66
	v_not_b32_e32 v66, v67
	v_dual_lshlrev_b32 v70, 25, v54 :: v_dual_lshlrev_b32 v54, 24, v54
	v_cmp_gt_i32_e64 s17, 0, v67
	v_cmp_gt_i32_e64 s18, 0, v68
	v_not_b32_e32 v67, v68
	v_not_b32_e32 v68, v69
	v_dual_ashrrev_i32 v66, 31, v66 :: v_dual_bitop2_b32 v53, s14, v53 bitop3:0x14
	v_dual_ashrrev_i32 v65, 31, v65 :: v_dual_bitop2_b32 v64, s15, v64 bitop3:0x14
	v_cmp_gt_i32_e64 s19, 0, v69
	s_delay_alu instid0(VALU_DEP_4)
	v_dual_ashrrev_i32 v67, 31, v67 :: v_dual_ashrrev_i32 v68, 31, v68
	v_not_b32_e32 v69, v54
	v_xor_b32_e32 v66, s17, v66
	v_bitop3_b32 v53, v53, v64, exec_lo bitop3:0x80
	v_not_b32_e32 v64, v70
	v_xor_b32_e32 v65, s16, v65
	v_xor_b32_e32 v67, s18, v67
	v_cmp_gt_i32_e64 s14, 0, v70
	v_cmp_gt_i32_e64 s15, 0, v54
	v_dual_ashrrev_i32 v64, 31, v64 :: v_dual_ashrrev_i32 v54, 31, v69
	v_bitop3_b32 v53, v53, v66, v65 bitop3:0x80
	v_lshl_add_u32 v55, v55, 2, v12
	v_xor_b32_e32 v68, s19, v68
	s_delay_alu instid0(VALU_DEP_4) | instskip(SKIP_1) | instid1(VALU_DEP_3)
	v_xor_b32_e32 v64, s14, v64
	v_xor_b32_e32 v54, s15, v54
	v_bitop3_b32 v65, v53, v68, v67 bitop3:0x80
	ds_load_b32 v53, v55 offset:32
	v_add_nc_u32_e32 v55, 32, v55
	; wave barrier
	v_bitop3_b32 v64, v65, v54, v64 bitop3:0x80
	s_delay_alu instid0(VALU_DEP_1) | instskip(SKIP_1) | instid1(VALU_DEP_2)
	v_mbcnt_lo_u32_b32 v54, v64, 0
	v_cmp_ne_u32_e64 s15, 0, v64
	v_cmp_eq_u32_e64 s14, 0, v54
	s_and_b32 s15, s15, s14
	s_delay_alu instid0(SALU_CYCLE_1)
	s_and_saveexec_b32 s14, s15
	s_cbranch_execz .LBB185_190
; %bb.189:                              ;   in Loop: Header=BB185_180 Depth=1
	s_wait_dscnt 0x0
	v_bcnt_u32_b32 v64, v64, v53
	ds_store_b32 v55, v64
.LBB185_190:                            ;   in Loop: Header=BB185_180 Depth=1
	s_or_b32 exec_lo, exec_lo, s14
	v_and_b32_e32 v64, 0xff, v130
	; wave barrier
	s_delay_alu instid0(VALU_DEP_1) | instskip(NEXT) | instid1(VALU_DEP_1)
	v_lshrrev_b32_e32 v64, v10, v64
	v_and_b32_e32 v65, v64, v49
	s_delay_alu instid0(VALU_DEP_1) | instskip(SKIP_1) | instid1(VALU_DEP_2)
	v_lshlrev_b32_e32 v68, 30, v65
	v_bitop3_b32 v64, v64, 1, v49 bitop3:0x80
	v_cmp_gt_i32_e64 s15, 0, v68
	s_delay_alu instid0(VALU_DEP_2) | instskip(NEXT) | instid1(VALU_DEP_1)
	v_add_co_u32 v64, s14, v64, -1
	v_cndmask_b32_e64 v67, 0, 1, s14
	s_delay_alu instid0(VALU_DEP_1) | instskip(SKIP_1) | instid1(VALU_DEP_1)
	v_cmp_ne_u32_e64 s14, 0, v67
	v_not_b32_e32 v67, v68
	v_dual_ashrrev_i32 v67, 31, v67 :: v_dual_lshlrev_b32 v69, 29, v65
	v_dual_lshlrev_b32 v70, 28, v65 :: v_dual_lshlrev_b32 v71, 27, v65
	v_lshlrev_b32_e32 v80, 26, v65
	v_lshl_add_u32 v66, v65, 3, v150
	s_delay_alu instid0(VALU_DEP_4)
	v_cmp_gt_i32_e64 s16, 0, v69
	v_not_b32_e32 v68, v69
	v_not_b32_e32 v69, v70
	v_dual_lshlrev_b32 v81, 25, v65 :: v_dual_lshlrev_b32 v65, 24, v65
	v_cmp_gt_i32_e64 s17, 0, v70
	v_cmp_gt_i32_e64 s18, 0, v71
	v_not_b32_e32 v70, v71
	v_not_b32_e32 v71, v80
	v_dual_ashrrev_i32 v69, 31, v69 :: v_dual_bitop2_b32 v64, s14, v64 bitop3:0x14
	v_dual_ashrrev_i32 v68, 31, v68 :: v_dual_bitop2_b32 v67, s15, v67 bitop3:0x14
	v_cmp_gt_i32_e64 s19, 0, v80
	s_delay_alu instid0(VALU_DEP_4)
	v_dual_ashrrev_i32 v70, 31, v70 :: v_dual_ashrrev_i32 v71, 31, v71
	v_not_b32_e32 v80, v65
	v_xor_b32_e32 v69, s17, v69
	v_bitop3_b32 v64, v64, v67, exec_lo bitop3:0x80
	v_not_b32_e32 v67, v81
	v_xor_b32_e32 v68, s16, v68
	v_xor_b32_e32 v70, s18, v70
	v_cmp_gt_i32_e64 s14, 0, v81
	v_cmp_gt_i32_e64 s15, 0, v65
	v_dual_ashrrev_i32 v67, 31, v67 :: v_dual_ashrrev_i32 v65, 31, v80
	v_bitop3_b32 v64, v64, v69, v68 bitop3:0x80
	v_lshl_add_u32 v66, v66, 2, v12
	v_xor_b32_e32 v71, s19, v71
	s_delay_alu instid0(VALU_DEP_4) | instskip(SKIP_1) | instid1(VALU_DEP_3)
	v_xor_b32_e32 v67, s14, v67
	v_xor_b32_e32 v65, s15, v65
	v_bitop3_b32 v68, v64, v71, v70 bitop3:0x80
	ds_load_b32 v64, v66 offset:32
	v_add_nc_u32_e32 v66, 32, v66
	; wave barrier
	v_bitop3_b32 v67, v68, v65, v67 bitop3:0x80
	s_delay_alu instid0(VALU_DEP_1) | instskip(SKIP_1) | instid1(VALU_DEP_2)
	v_mbcnt_lo_u32_b32 v65, v67, 0
	v_cmp_ne_u32_e64 s15, 0, v67
	v_cmp_eq_u32_e64 s14, 0, v65
	s_and_b32 s15, s15, s14
	s_delay_alu instid0(SALU_CYCLE_1)
	s_and_saveexec_b32 s14, s15
	s_cbranch_execz .LBB185_192
; %bb.191:                              ;   in Loop: Header=BB185_180 Depth=1
	s_wait_dscnt 0x0
	v_bcnt_u32_b32 v67, v67, v64
	ds_store_b32 v66, v67
.LBB185_192:                            ;   in Loop: Header=BB185_180 Depth=1
	s_or_b32 exec_lo, exec_lo, s14
	v_and_b32_e32 v67, 0xff, v133
	; wave barrier
	s_delay_alu instid0(VALU_DEP_1) | instskip(NEXT) | instid1(VALU_DEP_1)
	v_lshrrev_b32_e32 v67, v10, v67
	v_and_b32_e32 v68, v67, v49
	s_delay_alu instid0(VALU_DEP_1) | instskip(SKIP_1) | instid1(VALU_DEP_2)
	v_lshlrev_b32_e32 v71, 30, v68
	v_bitop3_b32 v67, v67, 1, v49 bitop3:0x80
	v_cmp_gt_i32_e64 s15, 0, v71
	s_delay_alu instid0(VALU_DEP_2) | instskip(NEXT) | instid1(VALU_DEP_1)
	v_add_co_u32 v67, s14, v67, -1
	v_cndmask_b32_e64 v70, 0, 1, s14
	s_delay_alu instid0(VALU_DEP_1) | instskip(SKIP_1) | instid1(VALU_DEP_1)
	v_cmp_ne_u32_e64 s14, 0, v70
	v_not_b32_e32 v70, v71
	v_dual_ashrrev_i32 v70, 31, v70 :: v_dual_lshlrev_b32 v80, 29, v68
	v_dual_lshlrev_b32 v81, 28, v68 :: v_dual_lshlrev_b32 v82, 27, v68
	v_lshlrev_b32_e32 v83, 26, v68
	v_lshl_add_u32 v69, v68, 3, v150
	s_delay_alu instid0(VALU_DEP_4)
	v_cmp_gt_i32_e64 s16, 0, v80
	v_not_b32_e32 v71, v80
	v_not_b32_e32 v80, v81
	v_dual_lshlrev_b32 v84, 25, v68 :: v_dual_lshlrev_b32 v68, 24, v68
	v_cmp_gt_i32_e64 s17, 0, v81
	v_cmp_gt_i32_e64 s18, 0, v82
	v_not_b32_e32 v81, v82
	v_not_b32_e32 v82, v83
	v_dual_ashrrev_i32 v80, 31, v80 :: v_dual_bitop2_b32 v67, s14, v67 bitop3:0x14
	v_dual_ashrrev_i32 v71, 31, v71 :: v_dual_bitop2_b32 v70, s15, v70 bitop3:0x14
	v_cmp_gt_i32_e64 s19, 0, v83
	s_delay_alu instid0(VALU_DEP_4)
	v_dual_ashrrev_i32 v81, 31, v81 :: v_dual_ashrrev_i32 v82, 31, v82
	v_not_b32_e32 v83, v68
	v_xor_b32_e32 v80, s17, v80
	v_bitop3_b32 v67, v67, v70, exec_lo bitop3:0x80
	v_not_b32_e32 v70, v84
	v_xor_b32_e32 v71, s16, v71
	v_xor_b32_e32 v81, s18, v81
	v_cmp_gt_i32_e64 s14, 0, v84
	v_cmp_gt_i32_e64 s15, 0, v68
	v_dual_ashrrev_i32 v70, 31, v70 :: v_dual_ashrrev_i32 v68, 31, v83
	v_bitop3_b32 v67, v67, v80, v71 bitop3:0x80
	v_lshl_add_u32 v69, v69, 2, v12
	v_xor_b32_e32 v82, s19, v82
	s_delay_alu instid0(VALU_DEP_4) | instskip(SKIP_3) | instid1(VALU_DEP_1)
	v_xor_b32_e32 v70, s14, v70
	v_xor_b32_e32 v68, s15, v68
	ds_load_b32 v84, v69 offset:32
	v_bitop3_b32 v67, v67, v82, v81 bitop3:0x80
	; wave barrier
	v_bitop3_b32 v68, v67, v68, v70 bitop3:0x80
	v_add_nc_u32_e32 v67, 32, v69
	s_delay_alu instid0(VALU_DEP_2) | instskip(SKIP_1) | instid1(VALU_DEP_2)
	v_mbcnt_lo_u32_b32 v86, v68, 0
	v_cmp_ne_u32_e64 s15, 0, v68
	v_cmp_eq_u32_e64 s14, 0, v86
	s_and_b32 s15, s15, s14
	s_delay_alu instid0(SALU_CYCLE_1)
	s_and_saveexec_b32 s14, s15
	s_cbranch_execz .LBB185_194
; %bb.193:                              ;   in Loop: Header=BB185_180 Depth=1
	s_wait_dscnt 0x0
	v_bcnt_u32_b32 v68, v68, v84
	ds_store_b32 v67, v68
.LBB185_194:                            ;   in Loop: Header=BB185_180 Depth=1
	s_or_b32 exec_lo, exec_lo, s14
	v_and_b32_e32 v68, 0xff, v15
	; wave barrier
	s_delay_alu instid0(VALU_DEP_1) | instskip(NEXT) | instid1(VALU_DEP_1)
	v_lshrrev_b32_e32 v68, v10, v68
	v_and_b32_e32 v69, v68, v49
	s_delay_alu instid0(VALU_DEP_1) | instskip(SKIP_1) | instid1(VALU_DEP_2)
	v_lshlrev_b32_e32 v71, 30, v69
	v_bitop3_b32 v49, v68, 1, v49 bitop3:0x80
	v_cmp_gt_i32_e64 s15, 0, v71
	s_delay_alu instid0(VALU_DEP_2) | instskip(NEXT) | instid1(VALU_DEP_1)
	v_add_co_u32 v49, s14, v49, -1
	v_cndmask_b32_e64 v70, 0, 1, s14
	s_delay_alu instid0(VALU_DEP_1) | instskip(SKIP_1) | instid1(VALU_DEP_1)
	v_cmp_ne_u32_e64 s14, 0, v70
	v_not_b32_e32 v70, v71
	v_dual_ashrrev_i32 v70, 31, v70 :: v_dual_lshlrev_b32 v80, 29, v69
	v_dual_lshlrev_b32 v81, 28, v69 :: v_dual_lshlrev_b32 v82, 27, v69
	v_lshlrev_b32_e32 v83, 26, v69
	v_lshl_add_u32 v68, v69, 3, v150
	s_delay_alu instid0(VALU_DEP_4)
	v_cmp_gt_i32_e64 s16, 0, v80
	v_not_b32_e32 v71, v80
	v_not_b32_e32 v80, v81
	v_dual_lshlrev_b32 v85, 25, v69 :: v_dual_lshlrev_b32 v69, 24, v69
	v_cmp_gt_i32_e64 s17, 0, v81
	v_cmp_gt_i32_e64 s18, 0, v82
	v_not_b32_e32 v81, v82
	v_not_b32_e32 v82, v83
	v_dual_ashrrev_i32 v71, 31, v71 :: v_dual_bitop2_b32 v49, s14, v49 bitop3:0x14
	v_dual_ashrrev_i32 v80, 31, v80 :: v_dual_bitop2_b32 v70, s15, v70 bitop3:0x14
	v_cmp_gt_i32_e64 s19, 0, v83
	s_delay_alu instid0(VALU_DEP_4) | instskip(SKIP_1) | instid1(VALU_DEP_4)
	v_dual_ashrrev_i32 v81, 31, v81 :: v_dual_ashrrev_i32 v82, 31, v82
	v_not_b32_e32 v83, v69
	v_xor_b32_e32 v80, s17, v80
	v_bitop3_b32 v49, v49, v70, exec_lo bitop3:0x80
	v_not_b32_e32 v70, v85
	v_xor_b32_e32 v71, s16, v71
	v_xor_b32_e32 v82, s19, v82
	v_cmp_gt_i32_e64 s14, 0, v85
	v_cmp_gt_i32_e64 s15, 0, v69
	v_dual_ashrrev_i32 v70, 31, v70 :: v_dual_ashrrev_i32 v69, 31, v83
	v_bitop3_b32 v49, v49, v80, v71 bitop3:0x80
	v_lshl_add_u32 v68, v68, 2, v12
	v_xor_b32_e32 v81, s18, v81
	s_delay_alu instid0(VALU_DEP_4) | instskip(SKIP_1) | instid1(VALU_DEP_3)
	v_xor_b32_e32 v70, s14, v70
	v_xor_b32_e32 v69, s15, v69
	v_bitop3_b32 v71, v49, v82, v81 bitop3:0x80
	ds_load_b32 v49, v68 offset:32
	v_add_nc_u32_e32 v68, 32, v68
	; wave barrier
	v_bitop3_b32 v69, v71, v69, v70 bitop3:0x80
	s_delay_alu instid0(VALU_DEP_1) | instskip(SKIP_1) | instid1(VALU_DEP_2)
	v_mbcnt_lo_u32_b32 v96, v69, 0
	v_cmp_ne_u32_e64 s15, 0, v69
	v_cmp_eq_u32_e64 s14, 0, v96
	s_and_b32 s15, s15, s14
	s_delay_alu instid0(SALU_CYCLE_1)
	s_and_saveexec_b32 s14, s15
	s_cbranch_execz .LBB185_196
; %bb.195:                              ;   in Loop: Header=BB185_180 Depth=1
	s_wait_dscnt 0x0
	v_bcnt_u32_b32 v69, v69, v49
	ds_store_b32 v68, v69
.LBB185_196:                            ;   in Loop: Header=BB185_180 Depth=1
	s_or_b32 exec_lo, exec_lo, s14
	; wave barrier
	s_wait_dscnt 0x0
	s_barrier_signal -1
	s_barrier_wait -1
	ds_load_b32 v71, v134
	ds_load_b32 v80, v135
	;; [unrolled: 1-line block ×8, first 2 shown]
	s_wait_dscnt 0x6
	v_add_nc_u32_e32 v87, v80, v71
	s_wait_dscnt 0x4
	s_delay_alu instid0(VALU_DEP_1) | instskip(SKIP_1) | instid1(VALU_DEP_1)
	v_add3_u32 v87, v87, v81, v82
	s_wait_dscnt 0x2
	v_add3_u32 v87, v87, v83, v70
	s_wait_dscnt 0x0
	s_delay_alu instid0(VALU_DEP_1) | instskip(NEXT) | instid1(VALU_DEP_1)
	v_add3_u32 v85, v87, v69, v85
	v_mov_b32_dpp v87, v85 row_shr:1 row_mask:0xf bank_mask:0xf
	s_delay_alu instid0(VALU_DEP_1) | instskip(NEXT) | instid1(VALU_DEP_1)
	v_cndmask_b32_e64 v87, v87, 0, vcc_lo
	v_add_nc_u32_e32 v85, v87, v85
	s_delay_alu instid0(VALU_DEP_1) | instskip(NEXT) | instid1(VALU_DEP_1)
	v_mov_b32_dpp v87, v85 row_shr:2 row_mask:0xf bank_mask:0xf
	v_cndmask_b32_e64 v87, 0, v87, s0
	s_delay_alu instid0(VALU_DEP_1) | instskip(NEXT) | instid1(VALU_DEP_1)
	v_add_nc_u32_e32 v85, v85, v87
	v_mov_b32_dpp v87, v85 row_shr:4 row_mask:0xf bank_mask:0xf
	s_delay_alu instid0(VALU_DEP_1) | instskip(NEXT) | instid1(VALU_DEP_1)
	v_cndmask_b32_e64 v87, 0, v87, s1
	v_add_nc_u32_e32 v85, v85, v87
	s_delay_alu instid0(VALU_DEP_1) | instskip(NEXT) | instid1(VALU_DEP_1)
	v_mov_b32_dpp v87, v85 row_shr:8 row_mask:0xf bank_mask:0xf
	v_cndmask_b32_e64 v87, 0, v87, s3
	s_delay_alu instid0(VALU_DEP_1) | instskip(SKIP_3) | instid1(VALU_DEP_1)
	v_add_nc_u32_e32 v85, v85, v87
	ds_swizzle_b32 v87, v85 offset:swizzle(BROADCAST,32,15)
	s_wait_dscnt 0x0
	v_cndmask_b32_e64 v87, v87, 0, s4
	v_add_nc_u32_e32 v85, v85, v87
	s_and_saveexec_b32 s14, s5
; %bb.197:                              ;   in Loop: Header=BB185_180 Depth=1
	ds_store_b32 v160, v85
; %bb.198:                              ;   in Loop: Header=BB185_180 Depth=1
	s_or_b32 exec_lo, exec_lo, s14
	s_wait_dscnt 0x0
	s_barrier_signal -1
	s_barrier_wait -1
	s_and_saveexec_b32 s14, s6
	s_cbranch_execz .LBB185_200
; %bb.199:                              ;   in Loop: Header=BB185_180 Depth=1
	ds_load_b32 v87, v161
	s_wait_dscnt 0x0
	v_mov_b32_dpp v97, v87 row_shr:1 row_mask:0xf bank_mask:0xf
	s_delay_alu instid0(VALU_DEP_1) | instskip(NEXT) | instid1(VALU_DEP_1)
	v_cndmask_b32_e64 v97, v97, 0, s11
	v_add_nc_u32_e32 v87, v97, v87
	s_delay_alu instid0(VALU_DEP_1) | instskip(NEXT) | instid1(VALU_DEP_1)
	v_mov_b32_dpp v97, v87 row_shr:2 row_mask:0xf bank_mask:0xf
	v_cndmask_b32_e64 v97, 0, v97, s12
	s_delay_alu instid0(VALU_DEP_1) | instskip(NEXT) | instid1(VALU_DEP_1)
	v_add_nc_u32_e32 v87, v87, v97
	v_mov_b32_dpp v97, v87 row_shr:4 row_mask:0xf bank_mask:0xf
	s_delay_alu instid0(VALU_DEP_1) | instskip(NEXT) | instid1(VALU_DEP_1)
	v_cndmask_b32_e64 v97, 0, v97, s13
	v_add_nc_u32_e32 v87, v87, v97
	ds_store_b32 v161, v87
.LBB185_200:                            ;   in Loop: Header=BB185_180 Depth=1
	s_or_b32 exec_lo, exec_lo, s14
	v_mov_b32_e32 v87, 0
	s_wait_dscnt 0x0
	s_barrier_signal -1
	s_barrier_wait -1
	s_and_saveexec_b32 s14, s7
; %bb.201:                              ;   in Loop: Header=BB185_180 Depth=1
	ds_load_b32 v87, v163
; %bb.202:                              ;   in Loop: Header=BB185_180 Depth=1
	s_or_b32 exec_lo, exec_lo, s14
	s_wait_dscnt 0x0
	v_dual_add_nc_u32 v85, v87, v85 :: v_dual_add_nc_u32 v10, 8, v10
	v_dual_mov_b32 v199, v131 :: v_dual_mov_b32 v208, v132
	v_dual_mov_b32 v209, v130 :: v_dual_mov_b32 v210, v133
	ds_bpermute_b32 v85, v151, v85
	s_mov_b32 s16, -1
	s_mov_b32 s15, exec_lo
	s_wait_dscnt 0x0
	v_dual_mov_b32 v196, v27 :: v_dual_cndmask_b32 v85, v85, v87, s2
	v_mov_b32_e32 v87, v1
	s_delay_alu instid0(VALU_DEP_2) | instskip(NEXT) | instid1(VALU_DEP_1)
	v_cndmask_b32_e64 v85, v85, 0, s10
	v_add_nc_u32_e32 v71, v85, v71
	s_delay_alu instid0(VALU_DEP_1) | instskip(NEXT) | instid1(VALU_DEP_1)
	v_add_nc_u32_e32 v80, v71, v80
	v_add_nc_u32_e32 v81, v80, v81
	ds_store_b32 v134, v85
	ds_store_b32 v135, v71
	;; [unrolled: 1-line block ×3, first 2 shown]
	v_dual_mov_b32 v71, v1 :: v_dual_mov_b32 v85, v1
	v_add_nc_u32_e32 v82, v81, v82
	s_delay_alu instid0(VALU_DEP_1) | instskip(NEXT) | instid1(VALU_DEP_1)
	v_dual_add_nc_u32 v83, v82, v83 :: v_dual_mov_b32 v197, v128
	v_dual_add_nc_u32 v70, v83, v70 :: v_dual_mov_b32 v198, v129
	s_delay_alu instid0(VALU_DEP_1)
	v_add_nc_u32_e32 v69, v70, v69
	ds_store_b32 v145, v81
	ds_store_b32 v146, v82
	;; [unrolled: 1-line block ×5, first 2 shown]
	s_wait_dscnt 0x0
	s_barrier_signal -1
	s_barrier_wait -1
	ds_load_b32 v34, v34
	ds_load_b32 v37, v37
	;; [unrolled: 1-line block ×8, first 2 shown]
	v_dual_mov_b32 v67, v1 :: v_dual_mov_b32 v69, v1
	v_dual_mov_b32 v81, v1 :: v_dual_mov_b32 v83, v1
	s_wait_dscnt 0x0
	v_add_nc_u32_e32 v0, v34, v0
	v_add3_u32 v66, v36, v35, v37
	v_add3_u32 v68, v39, v38, v48
	;; [unrolled: 1-line block ×7, first 2 shown]
	v_add_nc_u64_e32 v[116:117], v[12:13], v[66:67]
	v_add_nc_u64_e32 v[114:115], v[12:13], v[68:69]
	;; [unrolled: 1-line block ×7, first 2 shown]
	v_mov_b32_e32 v67, v15
	v_add_nc_u64_e32 v[118:119], v[12:13], v[0:1]
                                        ; implicit-def: $vgpr50_vgpr51
                                        ; implicit-def: $vgpr52_vgpr53
                                        ; implicit-def: $vgpr64_vgpr65
                                        ; implicit-def: $vgpr34_vgpr35
                                        ; implicit-def: $vgpr36_vgpr37
                                        ; implicit-def: $vgpr38_vgpr39
                                        ; implicit-def: $vgpr48_vgpr49
                                        ; implicit-def: $vgpr54_vgpr55
	v_cmpx_lt_u32_e64 v10, v11
	s_cbranch_execz .LBB185_179
; %bb.203:                              ;   in Loop: Header=BB185_180 Depth=1
	s_delay_alu instid0(VALU_DEP_2)
	v_mad_nc_u64_u32 v[34:35], v0, 7, v[118:119]
	v_mad_nc_u64_u32 v[36:37], v66, 7, v[116:117]
	;; [unrolled: 1-line block ×8, first 2 shown]
	s_barrier_signal -1
	s_barrier_wait -1
	ds_store_b8 v118, v27
	ds_store_b8 v116, v128
	;; [unrolled: 1-line block ×8, first 2 shown]
	s_wait_dscnt 0x0
	s_barrier_signal -1
	s_barrier_wait -1
	ds_load_u8 v15, v179
	ds_load_u8 v133, v178
	;; [unrolled: 1-line block ×8, first 2 shown]
	s_wait_dscnt 0x0
	s_barrier_signal -1
	s_barrier_wait -1
	ds_store_b64 v34, v[16:17]
	ds_store_b64 v36, v[18:19]
	ds_store_b64 v38, v[20:21]
	ds_store_b64 v48, v[32:33]
	ds_store_b64 v50, v[22:23]
	ds_store_b64 v52, v[28:29]
	ds_store_b64 v54, v[24:25]
	ds_store_b64 v64, v[30:31]
	s_wait_dscnt 0x0
	s_barrier_signal -1
	s_barrier_wait -1
	ds_load_b64 v[50:51], v167
	ds_load_b64 v[52:53], v180
	ds_load_b64 v[64:65], v181
	ds_load_b64 v[34:35], v182
	ds_load_b64 v[36:37], v183
	ds_load_b64 v[38:39], v192
	ds_load_b64 v[48:49], v193
	ds_load_b64 v[54:55], v194
	v_add_nc_u32_e32 v195, -8, v195
	s_xor_b32 s16, exec_lo, -1
	s_wait_dscnt 0x0
	s_barrier_signal -1
	s_barrier_wait -1
	s_branch .LBB185_179
.LBB185_204:
	flat_load_b64 v[80:81], v[0:1]
	s_wait_xcnt 0x0
	s_or_b32 exec_lo, exec_lo, s18
                                        ; implicit-def: $vgpr82_vgpr83
	s_and_saveexec_b32 s18, s0
	s_cbranch_execz .LBB185_38
.LBB185_205:
	flat_load_b64 v[82:83], v[0:1] offset:256
	s_wait_xcnt 0x0
	s_or_b32 exec_lo, exec_lo, s18
                                        ; implicit-def: $vgpr84_vgpr85
	s_and_saveexec_b32 s0, s1
	s_cbranch_execz .LBB185_39
.LBB185_206:
	flat_load_b64 v[84:85], v[0:1] offset:512
	s_wait_xcnt 0x0
	s_or_b32 exec_lo, exec_lo, s0
                                        ; implicit-def: $vgpr86_vgpr87
	s_and_saveexec_b32 s0, s2
	s_cbranch_execz .LBB185_40
.LBB185_207:
	flat_load_b64 v[86:87], v[0:1] offset:768
	s_wait_xcnt 0x0
	s_or_b32 exec_lo, exec_lo, s0
                                        ; implicit-def: $vgpr96_vgpr97
	s_and_saveexec_b32 s0, s3
	s_cbranch_execz .LBB185_41
.LBB185_208:
	flat_load_b64 v[96:97], v[0:1] offset:1024
	s_wait_xcnt 0x0
	s_or_b32 exec_lo, exec_lo, s0
                                        ; implicit-def: $vgpr98_vgpr99
	s_and_saveexec_b32 s0, s4
	s_cbranch_execz .LBB185_42
.LBB185_209:
	flat_load_b64 v[98:99], v[0:1] offset:1280
	s_wait_xcnt 0x0
	s_or_b32 exec_lo, exec_lo, s0
                                        ; implicit-def: $vgpr100_vgpr101
	s_and_saveexec_b32 s0, s5
	s_cbranch_execz .LBB185_43
.LBB185_210:
	flat_load_b64 v[100:101], v[0:1] offset:1536
	s_wait_xcnt 0x0
	s_or_b32 exec_lo, exec_lo, s0
                                        ; implicit-def: $vgpr112_vgpr113
	s_and_saveexec_b32 s0, s6
	s_cbranch_execz .LBB185_44
.LBB185_211:
	flat_load_b64 v[112:113], v[0:1] offset:1792
	s_wait_xcnt 0x0
	s_or_b32 exec_lo, exec_lo, s0
                                        ; implicit-def: $vgpr116_vgpr117
	s_and_saveexec_b32 s0, s7
	s_cbranch_execz .LBB185_45
.LBB185_212:
	flat_load_b64 v[116:117], v[0:1] offset:2048
	s_wait_xcnt 0x0
	s_or_b32 exec_lo, exec_lo, s0
                                        ; implicit-def: $vgpr128_vgpr129
	s_and_saveexec_b32 s0, s10
	s_cbranch_execz .LBB185_46
.LBB185_213:
	flat_load_b64 v[128:129], v[0:1] offset:2304
	s_wait_xcnt 0x0
	s_or_b32 exec_lo, exec_lo, s0
                                        ; implicit-def: $vgpr162_vgpr163
	s_and_saveexec_b32 s0, s11
	s_cbranch_execz .LBB185_47
.LBB185_214:
	flat_load_b64 v[162:163], v[0:1] offset:2560
	s_wait_xcnt 0x0
	s_or_b32 exec_lo, exec_lo, s0
                                        ; implicit-def: $vgpr166_vgpr167
	s_and_saveexec_b32 s0, s12
	s_cbranch_execz .LBB185_48
.LBB185_215:
	flat_load_b64 v[166:167], v[0:1] offset:2816
	s_wait_xcnt 0x0
	s_or_b32 exec_lo, exec_lo, s0
                                        ; implicit-def: $vgpr102_vgpr103
	s_and_saveexec_b32 s0, s13
	s_cbranch_execz .LBB185_49
.LBB185_216:
	flat_load_b64 v[102:103], v[0:1] offset:3072
	s_wait_xcnt 0x0
	s_or_b32 exec_lo, exec_lo, s0
                                        ; implicit-def: $vgpr114_vgpr115
	s_and_saveexec_b32 s0, s14
	s_cbranch_execz .LBB185_50
.LBB185_217:
	flat_load_b64 v[114:115], v[0:1] offset:3328
	s_wait_xcnt 0x0
	s_or_b32 exec_lo, exec_lo, s0
                                        ; implicit-def: $vgpr118_vgpr119
	s_and_saveexec_b32 s0, s15
	s_cbranch_execz .LBB185_51
.LBB185_218:
	flat_load_b64 v[118:119], v[0:1] offset:3584
	s_wait_xcnt 0x0
	s_or_b32 exec_lo, exec_lo, s0
                                        ; implicit-def: $vgpr164_vgpr165
	s_and_saveexec_b32 s0, s16
	s_cbranch_execz .LBB185_52
.LBB185_219:
	flat_load_b64 v[164:165], v[0:1] offset:3840
	s_wait_xcnt 0x0
	s_or_b32 exec_lo, exec_lo, s0
                                        ; implicit-def: $vgpr176_vgpr177
	s_and_saveexec_b32 s0, s17
	s_cbranch_execnz .LBB185_53
	s_branch .LBB185_54
.LBB185_220:
	flat_store_b64 v[2:3], v[48:49]
	s_wait_xcnt 0x0
	s_or_b32 exec_lo, exec_lo, s18
	s_and_saveexec_b32 s18, s0
	s_cbranch_execz .LBB185_134
.LBB185_221:
	flat_store_b64 v[2:3], v[50:51] offset:2048
	s_wait_xcnt 0x0
	s_or_b32 exec_lo, exec_lo, s18
	s_and_saveexec_b32 s0, s1
	s_cbranch_execz .LBB185_135
.LBB185_222:
	flat_store_b64 v[2:3], v[34:35] offset:4096
	s_wait_xcnt 0x0
	s_or_b32 exec_lo, exec_lo, s0
	s_and_saveexec_b32 s0, s2
	s_cbranch_execz .LBB185_136
.LBB185_223:
	flat_store_b64 v[2:3], v[36:37] offset:6144
	s_wait_xcnt 0x0
	s_or_b32 exec_lo, exec_lo, s0
	s_and_saveexec_b32 s0, s3
	s_cbranch_execz .LBB185_137
.LBB185_224:
	flat_store_b64 v[2:3], v[30:31] offset:8192
	s_wait_xcnt 0x0
	s_or_b32 exec_lo, exec_lo, s0
	s_and_saveexec_b32 s0, s4
	s_cbranch_execz .LBB185_138
.LBB185_225:
	flat_store_b64 v[2:3], v[32:33] offset:10240
	s_wait_xcnt 0x0
	s_or_b32 exec_lo, exec_lo, s0
	s_and_saveexec_b32 s0, s5
	s_cbranch_execz .LBB185_139
.LBB185_226:
	flat_store_b64 v[2:3], v[26:27] offset:12288
	s_wait_xcnt 0x0
	s_or_b32 exec_lo, exec_lo, s0
	s_and_saveexec_b32 s0, s6
	s_cbranch_execz .LBB185_140
.LBB185_227:
	flat_store_b64 v[2:3], v[28:29] offset:14336
	s_wait_xcnt 0x0
	s_or_b32 exec_lo, exec_lo, s0
	s_and_saveexec_b32 s0, s7
	s_cbranch_execz .LBB185_141
.LBB185_228:
	flat_store_b64 v[2:3], v[22:23] offset:16384
	s_wait_xcnt 0x0
	s_or_b32 exec_lo, exec_lo, s0
	s_and_saveexec_b32 s0, s10
	s_cbranch_execz .LBB185_142
.LBB185_229:
	flat_store_b64 v[2:3], v[24:25] offset:18432
	s_wait_xcnt 0x0
	s_or_b32 exec_lo, exec_lo, s0
	s_and_saveexec_b32 s0, s11
	s_cbranch_execz .LBB185_143
.LBB185_230:
	flat_store_b64 v[2:3], v[18:19] offset:20480
	s_wait_xcnt 0x0
	s_or_b32 exec_lo, exec_lo, s0
	s_and_saveexec_b32 s0, s12
	s_cbranch_execz .LBB185_144
.LBB185_231:
	flat_store_b64 v[2:3], v[20:21] offset:22528
	s_wait_xcnt 0x0
	s_or_b32 exec_lo, exec_lo, s0
	s_and_saveexec_b32 s0, s13
	s_cbranch_execz .LBB185_145
.LBB185_232:
	flat_store_b64 v[2:3], v[14:15] offset:24576
	s_wait_xcnt 0x0
	s_or_b32 exec_lo, exec_lo, s0
	s_and_saveexec_b32 s0, s14
	s_cbranch_execz .LBB185_146
.LBB185_233:
	flat_store_b64 v[2:3], v[16:17] offset:26624
	s_wait_xcnt 0x0
	s_or_b32 exec_lo, exec_lo, s0
	s_and_saveexec_b32 s0, s15
	s_cbranch_execz .LBB185_147
.LBB185_234:
	flat_store_b64 v[2:3], v[10:11] offset:28672
	s_wait_xcnt 0x0
	s_or_b32 exec_lo, exec_lo, s0
	s_and_saveexec_b32 s0, s16
	s_cbranch_execz .LBB185_148
.LBB185_235:
	flat_store_b64 v[2:3], v[12:13] offset:30720
	s_wait_xcnt 0x0
	s_or_b32 exec_lo, exec_lo, s0
	s_and_saveexec_b32 s0, s17
	s_cbranch_execnz .LBB185_149
	s_branch .LBB185_150
.LBB185_236:
	s_or_b32 exec_lo, exec_lo, s24
	v_mad_nc_u64_u32 v[0:1], v0, 7, v[118:119]
	v_mad_nc_u64_u32 v[10:11], v66, 7, v[116:117]
	v_dual_add_nc_u32 v15, v12, v14 :: v_dual_mov_b32 v27, 0
	v_mad_nc_u64_u32 v[12:13], v68, 7, v[114:115]
	v_mad_nc_u64_u32 v[48:49], v80, 7, v[112:113]
	;; [unrolled: 1-line block ×3, first 2 shown]
	s_barrier_signal -1
	s_barrier_wait -1
	ds_store_b8 v118, v196
	ds_store_b8 v116, v197
	;; [unrolled: 1-line block ×8, first 2 shown]
	s_wait_dscnt 0x0
	s_barrier_signal -1
	s_barrier_wait -1
	ds_load_u8 v39, v15
	ds_load_u8 v38, v15 offset:256
	ds_load_u8 v37, v15 offset:512
	;; [unrolled: 1-line block ×7, first 2 shown]
	s_wait_dscnt 0x0
	s_barrier_signal -1
	v_mad_nc_u64_u32 v[52:53], v82, 7, v[100:101]
	s_barrier_wait -1
	ds_store_b64 v0, v[16:17]
	ds_store_b64 v10, v[18:19]
	;; [unrolled: 1-line block ×4, first 2 shown]
	v_mul_u32_u24_e32 v0, 7, v14
	v_mad_nc_u64_u32 v[54:55], v84, 7, v[98:99]
	v_mad_nc_u64_u32 v[64:65], v86, 7, v[96:97]
	ds_store_b64 v50, v[22:23]
	ds_store_b64 v52, v[28:29]
	;; [unrolled: 1-line block ×4, first 2 shown]
	v_add_nc_u32_e32 v0, v15, v0
	s_wait_dscnt 0x0
	s_barrier_signal -1
	s_barrier_wait -1
	ds_load_2addr_stride64_b64 v[22:25], v0 offset1:4
	ds_load_2addr_stride64_b64 v[18:21], v0 offset0:8 offset1:12
	ds_load_2addr_stride64_b64 v[14:17], v0 offset0:16 offset1:20
	;; [unrolled: 1-line block ×3, first 2 shown]
	v_add_nc_u64_e32 v[0:1], v[2:3], v[8:9]
	s_set_vgpr_msb 4                        ;  msbs: dst=0 src0=0 src1=1 src2=0
	v_cmp_lt_u32_e32 vcc_lo, v26, v12 /*v268*/
	s_wait_dscnt 0x0
	s_barrier_signal -1
	s_barrier_wait -1
	s_set_vgpr_msb 0                        ;  msbs: dst=0 src0=0 src1=0 src2=0
	v_add_nc_u64_e32 v[0:1], v[0:1], v[26:27]
	s_and_saveexec_b32 s0, vcc_lo
	s_cbranch_execz .LBB185_238
; %bb.237:
	flat_store_b8 v[0:1], v39
.LBB185_238:
	s_wait_xcnt 0x0
	s_or_b32 exec_lo, exec_lo, s0
	v_add_nc_u32_e32 v2, 0x100, v26
	s_set_vgpr_msb 4                        ;  msbs: dst=0 src0=0 src1=1 src2=0
	s_delay_alu instid0(VALU_DEP_1)
	v_cmp_lt_u32_e64 s0, v2, v12 /*v268*/
	s_and_saveexec_b32 s1, s0
	s_set_vgpr_msb 0                        ;  msbs: dst=0 src0=0 src1=0 src2=0
	s_cbranch_execz .LBB185_240
; %bb.239:
	flat_store_b8 v[0:1], v38 offset:256
.LBB185_240:
	s_wait_xcnt 0x0
	s_or_b32 exec_lo, exec_lo, s1
	v_add_nc_u32_e32 v2, 0x200, v26
	s_set_vgpr_msb 4                        ;  msbs: dst=0 src0=0 src1=1 src2=0
	s_delay_alu instid0(VALU_DEP_1)
	v_cmp_lt_u32_e64 s1, v2, v12 /*v268*/
	s_and_saveexec_b32 s2, s1
	s_set_vgpr_msb 0                        ;  msbs: dst=0 src0=0 src1=0 src2=0
	s_cbranch_execz .LBB185_242
; %bb.241:
	flat_store_b8 v[0:1], v37 offset:512
.LBB185_242:
	;; [unrolled: 12-line block ×7, first 2 shown]
	s_wait_xcnt 0x0
	s_or_b32 exec_lo, exec_lo, s7
	v_lshl_add_u64 v[0:1], v[8:9], 3, v[6:7]
	s_delay_alu instid0(VALU_DEP_1)
	v_lshl_add_u64 v[0:1], v[26:27], 3, v[0:1]
	s_and_saveexec_b32 s7, vcc_lo
	s_cbranch_execnz .LBB185_302
; %bb.253:
	s_or_b32 exec_lo, exec_lo, s7
	s_and_saveexec_b32 s7, s0
	s_cbranch_execnz .LBB185_303
.LBB185_254:
	s_or_b32 exec_lo, exec_lo, s7
	s_and_saveexec_b32 s0, s1
	s_cbranch_execnz .LBB185_304
.LBB185_255:
	s_or_b32 exec_lo, exec_lo, s0
	s_and_saveexec_b32 s0, s2
	s_cbranch_execnz .LBB185_305
.LBB185_256:
	s_or_b32 exec_lo, exec_lo, s0
	s_and_saveexec_b32 s0, s3
	s_cbranch_execnz .LBB185_306
.LBB185_257:
	s_or_b32 exec_lo, exec_lo, s0
	s_and_saveexec_b32 s0, s4
	s_cbranch_execnz .LBB185_307
.LBB185_258:
	s_or_b32 exec_lo, exec_lo, s0
	s_and_saveexec_b32 s0, s5
	s_cbranch_execnz .LBB185_308
.LBB185_259:
	s_or_b32 exec_lo, exec_lo, s0
	s_and_saveexec_b32 s0, s6
	s_cbranch_execz .LBB185_261
.LBB185_260:
	flat_store_b64 v[0:1], v[12:13] offset:14336
.LBB185_261:
	s_wait_xcnt 0x0
	s_or_b32 exec_lo, exec_lo, s0
                                        ; implicit-def: $vgpr268
                                        ; implicit-def: $vgpr8
                                        ; implicit-def: $vgpr10
                                        ; implicit-def: $vgpr11
                                        ; implicit-def: $vgpr0_vgpr1
                                        ; implicit-def: $vgpr2_vgpr3
                                        ; implicit-def: $vgpr4_vgpr5
                                        ; implicit-def: $vgpr6_vgpr7
                                        ; implicit-def: $vgpr12_vgpr13
                                        ; implicit-def: $vgpr9
                                        ; implicit-def: $vgpr15
                                        ; implicit-def: $vgpr14
                                        ; implicit-def: $vgpr16
.LBB185_262:
	s_and_not1_saveexec_b32 s0, s22
	s_cbranch_execz .LBB185_382
; %bb.263:
	s_mov_b32 s0, exec_lo
	s_set_vgpr_msb 4                        ;  msbs: dst=0 src0=0 src1=1 src2=0
	v_cmpx_lt_u32_e32 0x200, v12 /*v268*/
	s_xor_b32 s22, exec_lo, s0
	s_set_vgpr_msb 0                        ;  msbs: dst=0 src0=0 src1=0 src2=0
	s_cbranch_execz .LBB185_323
; %bb.264:
	s_load_b64 s[0:1], s[8:9], 0x0
	s_bfe_u32 s3, ttmp6, 0x4000c
	s_bfe_u32 s5, ttmp6, 0x40010
	s_and_b32 s4, ttmp7, 0xffff
	s_add_co_i32 s3, s3, 1
	s_add_co_i32 s5, s5, 1
	s_and_b32 s2, ttmp6, 15
	s_bfe_u32 s6, ttmp6, 0x40004
	s_mul_i32 s3, ttmp9, s3
	s_mul_i32 s5, s4, s5
	s_add_co_i32 s2, s2, s3
	s_add_co_i32 s6, s6, s5
	s_cmp_eq_u32 s21, 0
	s_mov_b32 s3, 0
	s_cselect_b32 s2, ttmp9, s2
	s_cselect_b32 s4, s4, s6
	v_mov_b32_e32 v19, 0xff
	v_dual_mov_b32 v65, 0xff :: v_dual_mov_b32 v64, 0xff
	s_wait_kmcnt 0x0
	s_cmp_lt_u32 s2, s0
	s_cselect_b32 s2, 12, 18
	s_cmp_lt_u32 s4, s1
	s_mov_b32 s1, s3
	s_cselect_b32 s0, 14, 20
	s_delay_alu instid0(SALU_CYCLE_1)
	s_add_nc_u64 s[0:1], s[8:9], s[0:1]
	s_load_u16 s4, s[0:1], 0x0
	s_wait_xcnt 0x0
	s_add_nc_u64 s[0:1], s[8:9], s[2:3]
	s_load_u16 s0, s[0:1], 0x0
	s_wait_kmcnt 0x0
	v_mad_u32_u24 v9, v15, s4, v9
	v_mov_b32_e32 v15, 0xff
	s_delay_alu instid0(VALU_DEP_2) | instskip(SKIP_1) | instid1(VALU_DEP_1)
	v_mad_u32 v18, v9, s0, v14
	v_mov_b32_e32 v9, 0
	v_add_nc_u64_e32 v[20:21], v[0:1], v[8:9]
	s_delay_alu instid0(VALU_DEP_3) | instskip(SKIP_1) | instid1(VALU_DEP_2)
	v_dual_mov_b32 v17, v9 :: v_dual_lshlrev_b32 v0, 2, v18
	v_mov_b32_e32 v1, v9
	v_and_b32_e32 v0, 0xffffff80, v0
	s_delay_alu instid0(VALU_DEP_3) | instskip(NEXT) | instid1(VALU_DEP_2)
	v_add_nc_u64_e32 v[20:21], v[20:21], v[16:17]
	v_or_b32_e32 v17, v0, v16
	s_delay_alu instid0(VALU_DEP_2) | instskip(SKIP_1) | instid1(VALU_DEP_2)
	v_add_nc_u64_e32 v[20:21], v[20:21], v[0:1]
	s_set_vgpr_msb 4                        ;  msbs: dst=0 src0=0 src1=1 src2=0
	v_cmp_lt_u32_e32 vcc_lo, v17, v12 /*v268*/
	s_and_saveexec_b32 s0, vcc_lo
	s_set_vgpr_msb 0                        ;  msbs: dst=0 src0=0 src1=0 src2=0
	s_cbranch_execz .LBB185_266
; %bb.265:
	flat_load_u8 v19, v[20:21]
	v_dual_mov_b32 v15, 0xff :: v_dual_mov_b32 v64, 0xff
	v_mov_b32_e32 v65, 0xff
.LBB185_266:
	s_wait_xcnt 0x0
	s_or_b32 exec_lo, exec_lo, s0
	v_or_b32_e32 v22, 32, v17
	s_set_vgpr_msb 4                        ;  msbs: dst=0 src0=0 src1=1 src2=0
	s_delay_alu instid0(VALU_DEP_1)
	v_cmp_lt_u32_e64 s0, v22, v12 /*v268*/
	s_and_saveexec_b32 s1, s0
	s_set_vgpr_msb 0                        ;  msbs: dst=0 src0=0 src1=0 src2=0
	s_cbranch_execz .LBB185_268
; %bb.267:
	flat_load_u8 v64, v[20:21] offset:32
.LBB185_268:
	s_wait_xcnt 0x0
	s_or_b32 exec_lo, exec_lo, s1
	v_or_b32_e32 v22, 64, v17
	s_set_vgpr_msb 4                        ;  msbs: dst=0 src0=0 src1=1 src2=0
	s_delay_alu instid0(VALU_DEP_1)
	v_cmp_lt_u32_e64 s1, v22, v12 /*v268*/
	s_and_saveexec_b32 s2, s1
	s_set_vgpr_msb 0                        ;  msbs: dst=0 src0=0 src1=0 src2=0
	s_cbranch_execz .LBB185_270
; %bb.269:
	flat_load_u8 v65, v[20:21] offset:64
.LBB185_270:
	;; [unrolled: 12-line block ×3, first 2 shown]
	s_wait_xcnt 0x0
	s_or_b32 exec_lo, exec_lo, s3
	v_lshl_add_u64 v[4:5], v[8:9], 3, v[4:5]
	v_dual_mov_b32 v21, 0 :: v_dual_lshlrev_b32 v20, 3, v16
                                        ; implicit-def: $vgpr26_vgpr27
	s_delay_alu instid0(VALU_DEP_1) | instskip(NEXT) | instid1(VALU_DEP_1)
	v_add_nc_u64_e32 v[4:5], v[4:5], v[20:21]
	v_lshl_add_u64 v[0:1], v[0:1], 3, v[4:5]
	s_and_saveexec_b32 s3, vcc_lo
	s_cbranch_execnz .LBB185_347
; %bb.273:
	s_or_b32 exec_lo, exec_lo, s3
                                        ; implicit-def: $vgpr28_vgpr29
	s_and_saveexec_b32 s3, s0
	s_cbranch_execnz .LBB185_348
.LBB185_274:
	s_or_b32 exec_lo, exec_lo, s3
                                        ; implicit-def: $vgpr30_vgpr31
	s_and_saveexec_b32 s0, s1
	s_cbranch_execnz .LBB185_349
.LBB185_275:
	s_or_b32 exec_lo, exec_lo, s0
                                        ; implicit-def: $vgpr32_vgpr33
	s_and_saveexec_b32 s0, s2
	s_cbranch_execz .LBB185_277
.LBB185_276:
	flat_load_b64 v[32:33], v[0:1] offset:768
.LBB185_277:
	s_wait_xcnt 0x0
	s_or_b32 exec_lo, exec_lo, s0
	v_lshl_add_u32 v0, v14, 5, v12
	v_and_b32_e32 v1, 0x3e0, v14
	v_dual_lshrrev_b32 v82, 5, v18 :: v_dual_bitop2_b32 v4, 15, v16 bitop3:0x40
	v_sub_co_u32 v5, s2, v16, 1
	s_delay_alu instid0(VALU_DEP_4)
	v_dual_add_nc_u32 v66, 32, v0 :: v_dual_add_nc_u32 v67, 36, v0
	v_dual_add_nc_u32 v68, 40, v0 :: v_dual_add_nc_u32 v69, 44, v0
	;; [unrolled: 1-line block ×4, first 2 shown]
	v_min_u32_e32 v0, 0xe0, v1
	s_get_pc_i64 s[0:1]
	s_add_nc_u64 s[0:1], s[0:1], _ZN7rocprim17ROCPRIM_400000_NS16block_radix_sortIhLj256ELj4ElLj1ELj1ELj8ELNS0_26block_radix_rank_algorithmE2ELNS0_18block_padding_hintE2ELNS0_4arch9wavefront6targetE0EE19radix_bits_per_passE@rel64+4
	v_cmp_eq_u32_e32 vcc_lo, 0, v4
	s_load_b32 s23, s[0:1], 0x0
	s_wait_xcnt 0x0
	v_cmp_lt_u32_e64 s0, 1, v4
	v_or_b32_e32 v0, 31, v0
	v_cmp_lt_u32_e64 s1, 3, v4
	v_and_b32_e32 v1, 16, v16
	v_cmp_lt_u32_e64 s3, 7, v4
	v_cmp_gt_i32_e64 s6, 0, v5
	v_lshlrev_b32_e32 v4, 2, v14
	v_cmp_eq_u32_e64 s5, v14, v0
	v_lshrrev_b32_e32 v0, 3, v14
	v_cmp_eq_u32_e64 s4, 0, v1
	v_cndmask_b32_e64 v1, v5, v16, s6
	v_and_or_b32 v5, 0xf80, v4, v16
	v_cmp_gt_u32_e64 s6, 8, v14
	v_and_b32_e32 v0, 0x7c, v0
	v_cmp_lt_u32_e64 s7, 31, v14
	v_cmp_eq_u32_e64 s10, 0, v14
	v_add_nc_u32_e32 v85, v12, v5
	v_mul_u32_u24_e32 v5, 7, v5
	v_add_nc_u32_e32 v84, v12, v0
	v_and_b32_e32 v0, 7, v16
	v_dual_add_nc_u32 v86, v12, v4 :: v_dual_lshlrev_b32 v83, 2, v1
	s_delay_alu instid0(VALU_DEP_4) | instskip(SKIP_1) | instid1(VALU_DEP_4)
	v_dual_mov_b32 v1, 0 :: v_dual_add_nc_u32 v87, v85, v5
	v_mov_b64_e32 v[4:5], 0
	v_cmp_eq_u32_e64 s11, 0, v0
	v_cmp_lt_u32_e64 s12, 1, v0
	v_cmp_lt_u32_e64 s13, 3, v0
	v_dual_add_nc_u32 v96, -4, v84 :: v_dual_add_nc_u32 v97, 32, v85
	v_dual_add_nc_u32 v98, 64, v85 :: v_dual_sub_nc_u32 v103, v11, v10
	v_add_nc_u32_e32 v99, 0x60, v85
	v_add_nc_u32_e32 v100, 0x100, v87
	;; [unrolled: 1-line block ×4, first 2 shown]
	s_mov_b32 s24, 0
	s_wait_storecnt 0x0
	s_wait_loadcnt_dscnt 0x0
	s_barrier_signal -1
	s_barrier_wait -1
	s_branch .LBB185_279
.LBB185_278:                            ;   in Loop: Header=BB185_279 Depth=1
	s_or_b32 exec_lo, exec_lo, s15
	s_delay_alu instid0(SALU_CYCLE_1) | instskip(NEXT) | instid1(SALU_CYCLE_1)
	s_and_b32 s14, exec_lo, s16
	s_or_b32 s24, s14, s24
	s_delay_alu instid0(SALU_CYCLE_1)
	s_and_not1_b32 exec_lo, exec_lo, s24
	s_cbranch_execz .LBB185_309
.LBB185_279:                            ; =>This Inner Loop Header: Depth=1
	s_wait_kmcnt 0x0
	v_min_u32_e32 v0, s23, v103
	v_and_b32_e32 v16, 0xff, v19
	ds_store_b64 v66, v[4:5]
	ds_store_b64 v68, v[4:5]
	;; [unrolled: 1-line block ×4, first 2 shown]
	s_wait_dscnt 0x0
	v_lshlrev_b32_e64 v34, v0, -1
	v_lshrrev_b32_e32 v0, v10, v16
	s_barrier_signal -1
	s_barrier_wait -1
	s_delay_alu instid0(VALU_DEP_1) | instskip(SKIP_1) | instid1(VALU_DEP_2)
	v_bitop3_b32 v16, v0, 1, v34 bitop3:0x40
	v_bitop3_b32 v0, v0, v34, v0 bitop3:0x30
	; wave barrier
	v_add_co_u32 v16, s14, v16, -1
	s_delay_alu instid0(VALU_DEP_1) | instskip(NEXT) | instid1(VALU_DEP_3)
	v_cndmask_b32_e64 v17, 0, 1, s14
	v_dual_lshlrev_b32 v20, 30, v0 :: v_dual_lshlrev_b32 v21, 29, v0
	v_dual_lshlrev_b32 v22, 28, v0 :: v_dual_lshlrev_b32 v23, 27, v0
	s_delay_alu instid0(VALU_DEP_3) | instskip(NEXT) | instid1(VALU_DEP_3)
	v_cmp_ne_u32_e64 s14, 0, v17
	v_not_b32_e32 v17, v20
	v_dual_lshlrev_b32 v24, 26, v0 :: v_dual_lshlrev_b32 v25, 25, v0
	v_cmp_gt_i32_e64 s15, 0, v20
	v_cmp_gt_i32_e64 s16, 0, v21
	v_not_b32_e32 v20, v21
	v_not_b32_e32 v21, v22
	v_dual_ashrrev_i32 v17, 31, v17 :: v_dual_lshlrev_b32 v35, 24, v0
	v_cmp_gt_i32_e64 s17, 0, v22
	v_cmp_gt_i32_e64 s18, 0, v23
	v_not_b32_e32 v22, v23
	v_xor_b32_e32 v16, s14, v16
	v_dual_ashrrev_i32 v20, 31, v20 :: v_dual_bitop2_b32 v17, s15, v17 bitop3:0x14
	v_ashrrev_i32_e32 v21, 31, v21
	v_not_b32_e32 v23, v24
	v_cmp_gt_i32_e64 s19, 0, v24
	s_delay_alu instid0(VALU_DEP_4) | instskip(SKIP_1) | instid1(VALU_DEP_4)
	v_dual_ashrrev_i32 v22, 31, v22 :: v_dual_bitop2_b32 v20, s16, v20 bitop3:0x14
	v_bitop3_b32 v16, v16, v17, exec_lo bitop3:0x80
	v_ashrrev_i32_e32 v17, 31, v23
	v_not_b32_e32 v23, v25
	v_xor_b32_e32 v21, s17, v21
	v_not_b32_e32 v24, v35
	v_xor_b32_e32 v22, s18, v22
	v_dual_lshlrev_b32 v0, 3, v0 :: v_dual_bitop2_b32 v17, s19, v17 bitop3:0x14
	s_delay_alu instid0(VALU_DEP_4)
	v_bitop3_b32 v16, v16, v21, v20 bitop3:0x80
	v_cmp_gt_i32_e64 s14, 0, v25
	v_ashrrev_i32_e32 v20, 31, v23
	v_cmp_gt_i32_e64 s15, 0, v35
	v_ashrrev_i32_e32 v21, 31, v24
	v_bitop3_b32 v24, v16, v17, v22 bitop3:0x80
	v_add_lshl_u32 v0, v0, v82, 2
	v_xor_b32_e32 v25, s14, v20
	v_mov_b64_e32 v[22:23], v[28:29]
	v_xor_b32_e32 v35, s15, v21
	v_mov_b64_e32 v[16:17], v[26:27]
	v_add_nc_u64_e32 v[26:27], v[12:13], v[0:1]
	v_mov_b64_e32 v[20:21], v[30:31]
	s_delay_alu instid0(VALU_DEP_4) | instskip(SKIP_1) | instid1(VALU_DEP_4)
	v_bitop3_b32 v28, v24, v35, v25 bitop3:0x80
	v_mov_b64_e32 v[24:25], v[32:33]
	v_add_nc_u64_e32 v[26:27], 32, v[26:27]
	s_delay_alu instid0(VALU_DEP_3) | instskip(SKIP_1) | instid1(VALU_DEP_2)
	v_mbcnt_lo_u32_b32 v0, v28, 0
	v_cmp_ne_u32_e64 s15, 0, v28
	v_cmp_eq_u32_e64 s14, 0, v0
	s_and_b32 s15, s15, s14
	s_delay_alu instid0(SALU_CYCLE_1)
	s_and_saveexec_b32 s14, s15
; %bb.280:                              ;   in Loop: Header=BB185_279 Depth=1
	v_bcnt_u32_b32 v27, v28, 0
	ds_store_b32 v26, v27
; %bb.281:                              ;   in Loop: Header=BB185_279 Depth=1
	s_or_b32 exec_lo, exec_lo, s14
	v_and_b32_e32 v27, 0xff, v64
	v_not_b32_e32 v33, v34
	; wave barrier
	s_delay_alu instid0(VALU_DEP_2) | instskip(NEXT) | instid1(VALU_DEP_1)
	v_lshrrev_b32_e32 v27, v10, v27
	v_and_b32_e32 v28, v27, v33
	s_delay_alu instid0(VALU_DEP_1) | instskip(SKIP_1) | instid1(VALU_DEP_2)
	v_lshlrev_b32_e32 v31, 30, v28
	v_bitop3_b32 v27, v27, 1, v33 bitop3:0x80
	v_cmp_gt_i32_e64 s15, 0, v31
	s_delay_alu instid0(VALU_DEP_2) | instskip(NEXT) | instid1(VALU_DEP_1)
	v_add_co_u32 v27, s14, v27, -1
	v_cndmask_b32_e64 v30, 0, 1, s14
	s_delay_alu instid0(VALU_DEP_1) | instskip(SKIP_1) | instid1(VALU_DEP_1)
	v_cmp_ne_u32_e64 s14, 0, v30
	v_not_b32_e32 v30, v31
	v_dual_ashrrev_i32 v30, 31, v30 :: v_dual_lshlrev_b32 v32, 29, v28
	v_dual_lshlrev_b32 v34, 28, v28 :: v_dual_lshlrev_b32 v35, 27, v28
	v_lshlrev_b32_e32 v36, 26, v28
	v_lshl_add_u32 v29, v28, 3, v82
	s_delay_alu instid0(VALU_DEP_4)
	v_cmp_gt_i32_e64 s16, 0, v32
	v_not_b32_e32 v31, v32
	v_not_b32_e32 v32, v34
	v_dual_lshlrev_b32 v37, 25, v28 :: v_dual_lshlrev_b32 v28, 24, v28
	v_cmp_gt_i32_e64 s17, 0, v34
	v_cmp_gt_i32_e64 s18, 0, v35
	v_not_b32_e32 v34, v35
	v_dual_ashrrev_i32 v32, 31, v32 :: v_dual_bitop2_b32 v27, s14, v27 bitop3:0x14
	v_dual_ashrrev_i32 v31, 31, v31 :: v_dual_bitop2_b32 v30, s15, v30 bitop3:0x14
	v_not_b32_e32 v35, v36
	v_cmp_gt_i32_e64 s19, 0, v36
	s_delay_alu instid0(VALU_DEP_3)
	v_dual_ashrrev_i32 v34, 31, v34 :: v_dual_bitop2_b32 v31, s16, v31 bitop3:0x14
	v_xor_b32_e32 v32, s17, v32
	v_bitop3_b32 v27, v27, v30, exec_lo bitop3:0x80
	v_ashrrev_i32_e32 v30, 31, v35
	v_not_b32_e32 v35, v37
	v_not_b32_e32 v36, v28
	v_xor_b32_e32 v34, s18, v34
	v_bitop3_b32 v27, v27, v32, v31 bitop3:0x80
	v_xor_b32_e32 v30, s19, v30
	v_cmp_gt_i32_e64 s14, 0, v37
	v_ashrrev_i32_e32 v31, 31, v35
	v_cmp_gt_i32_e64 s15, 0, v28
	v_ashrrev_i32_e32 v28, 31, v36
	v_lshl_add_u32 v29, v29, 2, v12
	v_bitop3_b32 v30, v27, v30, v34 bitop3:0x80
	v_xor_b32_e32 v31, s14, v31
	s_delay_alu instid0(VALU_DEP_4) | instskip(SKIP_3) | instid1(VALU_DEP_1)
	v_xor_b32_e32 v28, s15, v28
	ds_load_b32 v27, v29 offset:32
	v_add_nc_u32_e32 v29, 32, v29
	; wave barrier
	v_bitop3_b32 v30, v30, v28, v31 bitop3:0x80
	v_mbcnt_lo_u32_b32 v28, v30, 0
	v_cmp_ne_u32_e64 s15, 0, v30
	s_delay_alu instid0(VALU_DEP_2) | instskip(SKIP_1) | instid1(SALU_CYCLE_1)
	v_cmp_eq_u32_e64 s14, 0, v28
	s_and_b32 s15, s15, s14
	s_and_saveexec_b32 s14, s15
	s_cbranch_execz .LBB185_283
; %bb.282:                              ;   in Loop: Header=BB185_279 Depth=1
	s_wait_dscnt 0x0
	v_bcnt_u32_b32 v30, v30, v27
	ds_store_b32 v29, v30
.LBB185_283:                            ;   in Loop: Header=BB185_279 Depth=1
	s_or_b32 exec_lo, exec_lo, s14
	v_and_b32_e32 v30, 0xff, v65
	; wave barrier
	s_delay_alu instid0(VALU_DEP_1) | instskip(NEXT) | instid1(VALU_DEP_1)
	v_lshrrev_b32_e32 v30, v10, v30
	v_and_b32_e32 v31, v30, v33
	s_delay_alu instid0(VALU_DEP_1) | instskip(SKIP_1) | instid1(VALU_DEP_2)
	v_lshlrev_b32_e32 v35, 30, v31
	v_bitop3_b32 v30, v30, 1, v33 bitop3:0x80
	v_cmp_gt_i32_e64 s15, 0, v35
	s_delay_alu instid0(VALU_DEP_2) | instskip(NEXT) | instid1(VALU_DEP_1)
	v_add_co_u32 v30, s14, v30, -1
	v_cndmask_b32_e64 v34, 0, 1, s14
	s_delay_alu instid0(VALU_DEP_1) | instskip(SKIP_1) | instid1(VALU_DEP_1)
	v_cmp_ne_u32_e64 s14, 0, v34
	v_not_b32_e32 v34, v35
	v_dual_ashrrev_i32 v34, 31, v34 :: v_dual_lshlrev_b32 v36, 29, v31
	v_dual_lshlrev_b32 v37, 28, v31 :: v_dual_lshlrev_b32 v38, 27, v31
	v_lshlrev_b32_e32 v39, 26, v31
	v_lshl_add_u32 v32, v31, 3, v82
	s_delay_alu instid0(VALU_DEP_4)
	v_cmp_gt_i32_e64 s16, 0, v36
	v_not_b32_e32 v35, v36
	v_not_b32_e32 v36, v37
	v_dual_lshlrev_b32 v48, 25, v31 :: v_dual_lshlrev_b32 v31, 24, v31
	v_cmp_gt_i32_e64 s17, 0, v37
	v_cmp_gt_i32_e64 s18, 0, v38
	v_not_b32_e32 v37, v38
	v_not_b32_e32 v38, v39
	v_dual_ashrrev_i32 v35, 31, v35 :: v_dual_bitop2_b32 v30, s14, v30 bitop3:0x14
	v_dual_ashrrev_i32 v36, 31, v36 :: v_dual_bitop2_b32 v34, s15, v34 bitop3:0x14
	v_cmp_gt_i32_e64 s19, 0, v39
	s_delay_alu instid0(VALU_DEP_4) | instskip(SKIP_1) | instid1(VALU_DEP_4)
	v_dual_ashrrev_i32 v37, 31, v37 :: v_dual_ashrrev_i32 v38, 31, v38
	v_not_b32_e32 v39, v31
	v_xor_b32_e32 v36, s17, v36
	v_bitop3_b32 v30, v30, v34, exec_lo bitop3:0x80
	v_not_b32_e32 v34, v48
	v_xor_b32_e32 v35, s16, v35
	v_xor_b32_e32 v38, s19, v38
	v_cmp_gt_i32_e64 s14, 0, v48
	v_cmp_gt_i32_e64 s15, 0, v31
	v_dual_ashrrev_i32 v34, 31, v34 :: v_dual_ashrrev_i32 v31, 31, v39
	v_bitop3_b32 v30, v30, v36, v35 bitop3:0x80
	v_lshl_add_u32 v32, v32, 2, v12
	v_xor_b32_e32 v37, s18, v37
	s_delay_alu instid0(VALU_DEP_4) | instskip(SKIP_1) | instid1(VALU_DEP_3)
	v_xor_b32_e32 v34, s14, v34
	v_xor_b32_e32 v31, s15, v31
	v_bitop3_b32 v35, v30, v38, v37 bitop3:0x80
	ds_load_b32 v30, v32 offset:32
	v_add_nc_u32_e32 v32, 32, v32
	; wave barrier
	v_bitop3_b32 v34, v35, v31, v34 bitop3:0x80
	s_delay_alu instid0(VALU_DEP_1) | instskip(SKIP_1) | instid1(VALU_DEP_2)
	v_mbcnt_lo_u32_b32 v31, v34, 0
	v_cmp_ne_u32_e64 s15, 0, v34
	v_cmp_eq_u32_e64 s14, 0, v31
	s_and_b32 s15, s15, s14
	s_delay_alu instid0(SALU_CYCLE_1)
	s_and_saveexec_b32 s14, s15
	s_cbranch_execz .LBB185_285
; %bb.284:                              ;   in Loop: Header=BB185_279 Depth=1
	s_wait_dscnt 0x0
	v_bcnt_u32_b32 v34, v34, v30
	ds_store_b32 v32, v34
.LBB185_285:                            ;   in Loop: Header=BB185_279 Depth=1
	s_or_b32 exec_lo, exec_lo, s14
	v_and_b32_e32 v34, 0xff, v15
	; wave barrier
	s_delay_alu instid0(VALU_DEP_1) | instskip(NEXT) | instid1(VALU_DEP_1)
	v_lshrrev_b32_e32 v34, v10, v34
	v_and_b32_e32 v35, v34, v33
	s_delay_alu instid0(VALU_DEP_1) | instskip(SKIP_1) | instid1(VALU_DEP_2)
	v_lshlrev_b32_e32 v37, 30, v35
	v_bitop3_b32 v33, v34, 1, v33 bitop3:0x80
	v_cmp_gt_i32_e64 s15, 0, v37
	s_delay_alu instid0(VALU_DEP_2) | instskip(NEXT) | instid1(VALU_DEP_1)
	v_add_co_u32 v33, s14, v33, -1
	v_cndmask_b32_e64 v36, 0, 1, s14
	s_delay_alu instid0(VALU_DEP_1) | instskip(SKIP_1) | instid1(VALU_DEP_1)
	v_cmp_ne_u32_e64 s14, 0, v36
	v_not_b32_e32 v36, v37
	v_dual_ashrrev_i32 v36, 31, v36 :: v_dual_lshlrev_b32 v38, 29, v35
	v_dual_lshlrev_b32 v39, 28, v35 :: v_dual_lshlrev_b32 v48, 27, v35
	v_lshlrev_b32_e32 v49, 26, v35
	v_lshl_add_u32 v34, v35, 3, v82
	s_delay_alu instid0(VALU_DEP_4)
	v_cmp_gt_i32_e64 s16, 0, v38
	v_not_b32_e32 v37, v38
	v_not_b32_e32 v38, v39
	v_dual_lshlrev_b32 v50, 25, v35 :: v_dual_lshlrev_b32 v35, 24, v35
	v_cmp_gt_i32_e64 s17, 0, v39
	v_cmp_gt_i32_e64 s18, 0, v48
	v_not_b32_e32 v39, v48
	v_not_b32_e32 v48, v49
	v_dual_ashrrev_i32 v38, 31, v38 :: v_dual_bitop2_b32 v33, s14, v33 bitop3:0x14
	v_dual_ashrrev_i32 v37, 31, v37 :: v_dual_bitop2_b32 v36, s15, v36 bitop3:0x14
	v_cmp_gt_i32_e64 s19, 0, v49
	s_delay_alu instid0(VALU_DEP_4)
	v_dual_ashrrev_i32 v39, 31, v39 :: v_dual_ashrrev_i32 v48, 31, v48
	v_not_b32_e32 v49, v35
	v_xor_b32_e32 v38, s17, v38
	v_bitop3_b32 v33, v33, v36, exec_lo bitop3:0x80
	v_not_b32_e32 v36, v50
	v_xor_b32_e32 v37, s16, v37
	v_xor_b32_e32 v48, s19, v48
	v_cmp_gt_i32_e64 s14, 0, v50
	v_cmp_gt_i32_e64 s15, 0, v35
	v_dual_ashrrev_i32 v36, 31, v36 :: v_dual_ashrrev_i32 v35, 31, v49
	v_bitop3_b32 v33, v33, v38, v37 bitop3:0x80
	v_lshl_add_u32 v37, v34, 2, v12
	v_xor_b32_e32 v39, s18, v39
	s_delay_alu instid0(VALU_DEP_4) | instskip(SKIP_1) | instid1(VALU_DEP_3)
	v_xor_b32_e32 v36, s14, v36
	v_xor_b32_e32 v35, s15, v35
	v_bitop3_b32 v34, v33, v48, v39 bitop3:0x80
	ds_load_b32 v33, v37 offset:32
	; wave barrier
	v_bitop3_b32 v36, v34, v35, v36 bitop3:0x80
	v_add_nc_u32_e32 v35, 32, v37
	s_delay_alu instid0(VALU_DEP_2) | instskip(SKIP_1) | instid1(VALU_DEP_2)
	v_mbcnt_lo_u32_b32 v34, v36, 0
	v_cmp_ne_u32_e64 s15, 0, v36
	v_cmp_eq_u32_e64 s14, 0, v34
	s_and_b32 s15, s15, s14
	s_delay_alu instid0(SALU_CYCLE_1)
	s_and_saveexec_b32 s14, s15
	s_cbranch_execz .LBB185_287
; %bb.286:                              ;   in Loop: Header=BB185_279 Depth=1
	s_wait_dscnt 0x0
	v_bcnt_u32_b32 v36, v36, v33
	ds_store_b32 v35, v36
.LBB185_287:                            ;   in Loop: Header=BB185_279 Depth=1
	s_or_b32 exec_lo, exec_lo, s14
	; wave barrier
	s_wait_dscnt 0x0
	s_barrier_signal -1
	s_barrier_wait -1
	ds_load_b32 v37, v66
	ds_load_b32 v38, v67
	;; [unrolled: 1-line block ×8, first 2 shown]
	s_wait_dscnt 0x6
	v_add_nc_u32_e32 v52, v38, v37
	s_wait_dscnt 0x4
	s_delay_alu instid0(VALU_DEP_1) | instskip(SKIP_1) | instid1(VALU_DEP_1)
	v_add3_u32 v52, v52, v39, v48
	s_wait_dscnt 0x2
	v_add3_u32 v52, v52, v49, v50
	s_wait_dscnt 0x0
	s_delay_alu instid0(VALU_DEP_1) | instskip(NEXT) | instid1(VALU_DEP_1)
	v_add3_u32 v51, v52, v36, v51
	v_mov_b32_dpp v52, v51 row_shr:1 row_mask:0xf bank_mask:0xf
	s_delay_alu instid0(VALU_DEP_1) | instskip(NEXT) | instid1(VALU_DEP_1)
	v_cndmask_b32_e64 v52, v52, 0, vcc_lo
	v_add_nc_u32_e32 v51, v52, v51
	s_delay_alu instid0(VALU_DEP_1) | instskip(NEXT) | instid1(VALU_DEP_1)
	v_mov_b32_dpp v52, v51 row_shr:2 row_mask:0xf bank_mask:0xf
	v_cndmask_b32_e64 v52, 0, v52, s0
	s_delay_alu instid0(VALU_DEP_1) | instskip(NEXT) | instid1(VALU_DEP_1)
	v_add_nc_u32_e32 v51, v51, v52
	v_mov_b32_dpp v52, v51 row_shr:4 row_mask:0xf bank_mask:0xf
	s_delay_alu instid0(VALU_DEP_1) | instskip(NEXT) | instid1(VALU_DEP_1)
	v_cndmask_b32_e64 v52, 0, v52, s1
	v_add_nc_u32_e32 v51, v51, v52
	s_delay_alu instid0(VALU_DEP_1) | instskip(NEXT) | instid1(VALU_DEP_1)
	v_mov_b32_dpp v52, v51 row_shr:8 row_mask:0xf bank_mask:0xf
	v_cndmask_b32_e64 v52, 0, v52, s3
	s_delay_alu instid0(VALU_DEP_1) | instskip(SKIP_3) | instid1(VALU_DEP_1)
	v_add_nc_u32_e32 v51, v51, v52
	ds_swizzle_b32 v52, v51 offset:swizzle(BROADCAST,32,15)
	s_wait_dscnt 0x0
	v_cndmask_b32_e64 v52, v52, 0, s4
	v_add_nc_u32_e32 v51, v51, v52
	s_and_saveexec_b32 s14, s5
; %bb.288:                              ;   in Loop: Header=BB185_279 Depth=1
	ds_store_b32 v84, v51
; %bb.289:                              ;   in Loop: Header=BB185_279 Depth=1
	s_or_b32 exec_lo, exec_lo, s14
	s_wait_dscnt 0x0
	s_barrier_signal -1
	s_barrier_wait -1
	s_and_saveexec_b32 s14, s6
	s_cbranch_execz .LBB185_291
; %bb.290:                              ;   in Loop: Header=BB185_279 Depth=1
	ds_load_b32 v52, v86
	s_wait_dscnt 0x0
	v_mov_b32_dpp v53, v52 row_shr:1 row_mask:0xf bank_mask:0xf
	s_delay_alu instid0(VALU_DEP_1) | instskip(NEXT) | instid1(VALU_DEP_1)
	v_cndmask_b32_e64 v53, v53, 0, s11
	v_add_nc_u32_e32 v52, v53, v52
	s_delay_alu instid0(VALU_DEP_1) | instskip(NEXT) | instid1(VALU_DEP_1)
	v_mov_b32_dpp v53, v52 row_shr:2 row_mask:0xf bank_mask:0xf
	v_cndmask_b32_e64 v53, 0, v53, s12
	s_delay_alu instid0(VALU_DEP_1) | instskip(NEXT) | instid1(VALU_DEP_1)
	v_add_nc_u32_e32 v52, v52, v53
	v_mov_b32_dpp v53, v52 row_shr:4 row_mask:0xf bank_mask:0xf
	s_delay_alu instid0(VALU_DEP_1) | instskip(NEXT) | instid1(VALU_DEP_1)
	v_cndmask_b32_e64 v53, 0, v53, s13
	v_add_nc_u32_e32 v52, v52, v53
	ds_store_b32 v86, v52
.LBB185_291:                            ;   in Loop: Header=BB185_279 Depth=1
	s_or_b32 exec_lo, exec_lo, s14
	v_mov_b32_e32 v52, 0
	s_wait_dscnt 0x0
	s_barrier_signal -1
	s_barrier_wait -1
	s_and_saveexec_b32 s14, s7
; %bb.292:                              ;   in Loop: Header=BB185_279 Depth=1
	ds_load_b32 v52, v96
; %bb.293:                              ;   in Loop: Header=BB185_279 Depth=1
	s_or_b32 exec_lo, exec_lo, s14
	s_wait_dscnt 0x0
	v_add_nc_u32_e32 v51, v52, v51
	v_dual_mov_b32 v113, v64 :: v_dual_mov_b32 v114, v65
	v_add_nc_u32_e32 v10, 8, v10
	s_mov_b32 s16, -1
	ds_bpermute_b32 v51, v83, v51
	s_mov_b32 s15, exec_lo
	v_mov_b32_e32 v112, v19
	s_wait_dscnt 0x0
	v_cndmask_b32_e64 v51, v51, v52, s2
	s_delay_alu instid0(VALU_DEP_1) | instskip(NEXT) | instid1(VALU_DEP_1)
	v_cndmask_b32_e64 v51, v51, 0, s10
	v_add_nc_u32_e32 v37, v51, v37
	s_delay_alu instid0(VALU_DEP_1) | instskip(NEXT) | instid1(VALU_DEP_1)
	v_add_nc_u32_e32 v38, v37, v38
	v_add_nc_u32_e32 v39, v38, v39
	s_delay_alu instid0(VALU_DEP_1) | instskip(NEXT) | instid1(VALU_DEP_1)
	v_add_nc_u32_e32 v48, v39, v48
	v_add_nc_u32_e32 v49, v48, v49
	s_delay_alu instid0(VALU_DEP_1)
	v_add_nc_u32_e32 v50, v49, v50
	ds_store_b32 v66, v51
	ds_store_b32 v67, v37
	;; [unrolled: 1-line block ×3, first 2 shown]
	v_dual_mov_b32 v37, v1 :: v_dual_add_nc_u32 v36, v50, v36
	ds_store_b32 v69, v39
	ds_store_b32 v70, v48
	;; [unrolled: 1-line block ×5, first 2 shown]
	s_wait_dscnt 0x0
	s_barrier_signal -1
	s_barrier_wait -1
	ds_load_b32 v26, v26
	ds_load_b32 v29, v29
	;; [unrolled: 1-line block ×4, first 2 shown]
	v_dual_mov_b32 v49, v1 :: v_dual_mov_b32 v39, v1
	s_wait_dscnt 0x0
	v_add_nc_u32_e32 v48, v26, v0
	v_add3_u32 v0, v28, v27, v29
	v_add3_u32 v38, v31, v30, v32
	;; [unrolled: 1-line block ×3, first 2 shown]
                                        ; implicit-def: $vgpr26_vgpr27
                                        ; implicit-def: $vgpr28_vgpr29
                                        ; implicit-def: $vgpr30_vgpr31
                                        ; implicit-def: $vgpr32_vgpr33
	s_delay_alu instid0(VALU_DEP_4) | instskip(NEXT) | instid1(VALU_DEP_4)
	v_add_nc_u64_e32 v[54:55], v[12:13], v[48:49]
	v_add_nc_u64_e32 v[52:53], v[12:13], v[0:1]
	s_delay_alu instid0(VALU_DEP_4) | instskip(NEXT) | instid1(VALU_DEP_3)
	v_add_nc_u64_e32 v[50:51], v[12:13], v[38:39]
	v_mad_nc_u64_u32 v[34:35], v48, 7, v[54:55]
	v_add_nc_u64_e32 v[48:49], v[12:13], v[36:37]
	v_mov_b32_e32 v35, v15
	v_cmpx_lt_u32_e64 v10, v11
	s_cbranch_execz .LBB185_278
; %bb.294:                              ;   in Loop: Header=BB185_279 Depth=1
	v_mad_nc_u64_u32 v[26:27], v0, 7, v[52:53]
	v_mad_nc_u64_u32 v[28:29], v38, 7, v[50:51]
	;; [unrolled: 1-line block ×3, first 2 shown]
	s_barrier_signal -1
	s_barrier_wait -1
	ds_store_b8 v54, v19
	ds_store_b8 v52, v64
	ds_store_b8 v50, v65
	ds_store_b8 v48, v15
	s_wait_dscnt 0x0
	s_barrier_signal -1
	s_barrier_wait -1
	ds_load_u8 v15, v99
	ds_load_u8 v65, v98
	;; [unrolled: 1-line block ×4, first 2 shown]
	s_wait_dscnt 0x0
	s_barrier_signal -1
	s_barrier_wait -1
	ds_store_b64 v34, v[16:17]
	ds_store_b64 v26, v[22:23]
	ds_store_b64 v28, v[20:21]
	ds_store_b64 v30, v[24:25]
	s_wait_dscnt 0x0
	s_barrier_signal -1
	s_barrier_wait -1
	ds_load_b64 v[26:27], v87
	ds_load_b64 v[28:29], v100
	;; [unrolled: 1-line block ×4, first 2 shown]
	v_add_nc_u32_e32 v103, -8, v103
	s_xor_b32 s16, exec_lo, -1
	s_wait_dscnt 0x0
	s_barrier_signal -1
	s_barrier_wait -1
	s_branch .LBB185_278
.LBB185_295:
	flat_load_b64 v[50:51], v[0:1]
	s_wait_xcnt 0x0
	s_or_b32 exec_lo, exec_lo, s7
                                        ; implicit-def: $vgpr52_vgpr53
	s_and_saveexec_b32 s7, s0
	s_cbranch_execz .LBB185_171
.LBB185_296:
	flat_load_b64 v[52:53], v[0:1] offset:256
	s_wait_xcnt 0x0
	s_or_b32 exec_lo, exec_lo, s7
                                        ; implicit-def: $vgpr64_vgpr65
	s_and_saveexec_b32 s0, s1
	s_cbranch_execz .LBB185_172
.LBB185_297:
	flat_load_b64 v[64:65], v[0:1] offset:512
	s_wait_xcnt 0x0
	s_or_b32 exec_lo, exec_lo, s0
                                        ; implicit-def: $vgpr34_vgpr35
	s_and_saveexec_b32 s0, s2
	s_cbranch_execz .LBB185_173
.LBB185_298:
	flat_load_b64 v[34:35], v[0:1] offset:768
	s_wait_xcnt 0x0
	s_or_b32 exec_lo, exec_lo, s0
                                        ; implicit-def: $vgpr36_vgpr37
	s_and_saveexec_b32 s0, s3
	s_cbranch_execz .LBB185_174
.LBB185_299:
	flat_load_b64 v[36:37], v[0:1] offset:1024
	s_wait_xcnt 0x0
	s_or_b32 exec_lo, exec_lo, s0
                                        ; implicit-def: $vgpr38_vgpr39
	s_and_saveexec_b32 s0, s4
	s_cbranch_execz .LBB185_175
.LBB185_300:
	flat_load_b64 v[38:39], v[0:1] offset:1280
	s_wait_xcnt 0x0
	s_or_b32 exec_lo, exec_lo, s0
                                        ; implicit-def: $vgpr48_vgpr49
	s_and_saveexec_b32 s0, s5
	s_cbranch_execz .LBB185_176
.LBB185_301:
	flat_load_b64 v[48:49], v[0:1] offset:1536
	s_wait_xcnt 0x0
	s_or_b32 exec_lo, exec_lo, s0
                                        ; implicit-def: $vgpr54_vgpr55
	s_and_saveexec_b32 s0, s6
	s_cbranch_execnz .LBB185_177
	s_branch .LBB185_178
.LBB185_302:
	flat_store_b64 v[0:1], v[22:23]
	s_wait_xcnt 0x0
	s_or_b32 exec_lo, exec_lo, s7
	s_and_saveexec_b32 s7, s0
	s_cbranch_execz .LBB185_254
.LBB185_303:
	flat_store_b64 v[0:1], v[24:25] offset:2048
	s_wait_xcnt 0x0
	s_or_b32 exec_lo, exec_lo, s7
	s_and_saveexec_b32 s0, s1
	s_cbranch_execz .LBB185_255
.LBB185_304:
	flat_store_b64 v[0:1], v[18:19] offset:4096
	s_wait_xcnt 0x0
	s_or_b32 exec_lo, exec_lo, s0
	s_and_saveexec_b32 s0, s2
	s_cbranch_execz .LBB185_256
.LBB185_305:
	flat_store_b64 v[0:1], v[20:21] offset:6144
	s_wait_xcnt 0x0
	s_or_b32 exec_lo, exec_lo, s0
	s_and_saveexec_b32 s0, s3
	s_cbranch_execz .LBB185_257
.LBB185_306:
	flat_store_b64 v[0:1], v[14:15] offset:8192
	s_wait_xcnt 0x0
	s_or_b32 exec_lo, exec_lo, s0
	s_and_saveexec_b32 s0, s4
	s_cbranch_execz .LBB185_258
.LBB185_307:
	flat_store_b64 v[0:1], v[16:17] offset:10240
	s_wait_xcnt 0x0
	s_or_b32 exec_lo, exec_lo, s0
	s_and_saveexec_b32 s0, s5
	s_cbranch_execz .LBB185_259
.LBB185_308:
	flat_store_b64 v[0:1], v[10:11] offset:12288
	s_wait_xcnt 0x0
	s_or_b32 exec_lo, exec_lo, s0
	s_and_saveexec_b32 s0, s6
	s_cbranch_execnz .LBB185_260
	s_branch .LBB185_261
.LBB185_309:
	s_or_b32 exec_lo, exec_lo, s24
	v_mad_nc_u64_u32 v[0:1], v0, 7, v[52:53]
	v_mad_nc_u64_u32 v[10:11], v38, 7, v[50:51]
	v_dual_add_nc_u32 v15, v12, v14 :: v_dual_mov_b32 v19, 0
	v_mad_nc_u64_u32 v[12:13], v36, 7, v[48:49]
	v_mul_u32_u24_e32 v1, 7, v14
	s_barrier_signal -1
	s_barrier_wait -1
	ds_store_b8 v54, v112
	ds_store_b8 v52, v113
	;; [unrolled: 1-line block ×4, first 2 shown]
	s_wait_dscnt 0x0
	s_barrier_signal -1
	s_barrier_wait -1
	ds_load_u8 v27, v15
	ds_load_u8 v26, v15 offset:256
	ds_load_u8 v5, v15 offset:512
	;; [unrolled: 1-line block ×3, first 2 shown]
	s_wait_dscnt 0x0
	s_barrier_signal -1
	s_barrier_wait -1
	ds_store_b64 v34, v[16:17]
	ds_store_b64 v0, v[22:23]
	;; [unrolled: 1-line block ×4, first 2 shown]
	v_add_nc_u32_e32 v0, v15, v1
	s_wait_dscnt 0x0
	s_barrier_signal -1
	s_barrier_wait -1
	ds_load_2addr_stride64_b64 v[14:17], v0 offset1:4
	ds_load_2addr_stride64_b64 v[10:13], v0 offset0:8 offset1:12
	v_add_nc_u64_e32 v[0:1], v[2:3], v[8:9]
	s_set_vgpr_msb 4                        ;  msbs: dst=0 src0=0 src1=1 src2=0
	v_cmp_lt_u32_e32 vcc_lo, v18, v12 /*v268*/
	s_wait_dscnt 0x0
	s_barrier_signal -1
	s_barrier_wait -1
	s_set_vgpr_msb 0                        ;  msbs: dst=0 src0=0 src1=0 src2=0
	v_add_nc_u64_e32 v[0:1], v[0:1], v[18:19]
	s_and_saveexec_b32 s0, vcc_lo
	s_cbranch_execz .LBB185_311
; %bb.310:
	flat_store_b8 v[0:1], v27
.LBB185_311:
	s_wait_xcnt 0x0
	s_or_b32 exec_lo, exec_lo, s0
	v_add_nc_u32_e32 v2, 0x100, v18
	s_set_vgpr_msb 4                        ;  msbs: dst=0 src0=0 src1=1 src2=0
	s_delay_alu instid0(VALU_DEP_1)
	v_cmp_lt_u32_e64 s0, v2, v12 /*v268*/
	s_and_saveexec_b32 s1, s0
	s_set_vgpr_msb 0                        ;  msbs: dst=0 src0=0 src1=0 src2=0
	s_cbranch_execz .LBB185_313
; %bb.312:
	flat_store_b8 v[0:1], v26 offset:256
.LBB185_313:
	s_wait_xcnt 0x0
	s_or_b32 exec_lo, exec_lo, s1
	v_add_nc_u32_e32 v2, 0x200, v18
	s_set_vgpr_msb 4                        ;  msbs: dst=0 src0=0 src1=1 src2=0
	s_delay_alu instid0(VALU_DEP_1)
	v_cmp_lt_u32_e64 s1, v2, v12 /*v268*/
	s_and_saveexec_b32 s2, s1
	s_set_vgpr_msb 0                        ;  msbs: dst=0 src0=0 src1=0 src2=0
	s_cbranch_execz .LBB185_315
; %bb.314:
	flat_store_b8 v[0:1], v5 offset:512
.LBB185_315:
	;; [unrolled: 12-line block ×3, first 2 shown]
	s_wait_xcnt 0x0
	s_or_b32 exec_lo, exec_lo, s3
	v_lshl_add_u64 v[0:1], v[8:9], 3, v[6:7]
	s_delay_alu instid0(VALU_DEP_1)
	v_lshl_add_u64 v[0:1], v[18:19], 3, v[0:1]
	s_and_saveexec_b32 s3, vcc_lo
	s_cbranch_execnz .LBB185_350
; %bb.318:
	s_or_b32 exec_lo, exec_lo, s3
	s_and_saveexec_b32 s3, s0
	s_cbranch_execnz .LBB185_351
.LBB185_319:
	s_or_b32 exec_lo, exec_lo, s3
	s_and_saveexec_b32 s0, s1
	s_cbranch_execnz .LBB185_352
.LBB185_320:
	s_or_b32 exec_lo, exec_lo, s0
	s_and_saveexec_b32 s0, s2
	s_cbranch_execz .LBB185_322
.LBB185_321:
	flat_store_b64 v[0:1], v[12:13] offset:6144
.LBB185_322:
	s_wait_xcnt 0x0
	s_or_b32 exec_lo, exec_lo, s0
                                        ; implicit-def: $vgpr268
                                        ; implicit-def: $vgpr8
                                        ; implicit-def: $vgpr10
                                        ; implicit-def: $vgpr11
                                        ; implicit-def: $vgpr0_vgpr1
                                        ; implicit-def: $vgpr2_vgpr3
                                        ; implicit-def: $vgpr4_vgpr5
                                        ; implicit-def: $vgpr6_vgpr7
                                        ; implicit-def: $vgpr12_vgpr13
                                        ; implicit-def: $vgpr9
                                        ; implicit-def: $vgpr15
                                        ; implicit-def: $vgpr14
                                        ; implicit-def: $vgpr16
.LBB185_323:
	s_and_not1_saveexec_b32 s0, s22
	s_cbranch_execz .LBB185_382
; %bb.324:
	s_load_b64 s[0:1], s[8:9], 0x0
	s_bfe_u32 s3, ttmp6, 0x4000c
	s_bfe_u32 s5, ttmp6, 0x40010
	s_and_b32 s4, ttmp7, 0xffff
	s_add_co_i32 s3, s3, 1
	s_add_co_i32 s5, s5, 1
	s_and_b32 s2, ttmp6, 15
	s_bfe_u32 s6, ttmp6, 0x40004
	s_mul_i32 s3, ttmp9, s3
	s_mul_i32 s5, s4, s5
	s_add_co_i32 s2, s2, s3
	s_add_co_i32 s6, s6, s5
	s_cmp_eq_u32 s21, 0
	s_cselect_b32 s2, ttmp9, s2
	s_cselect_b32 s3, s4, s6
	s_wait_kmcnt 0x0
	s_cmp_lt_u32 s2, s0
	s_cselect_b32 s0, 12, 18
	s_cmp_lt_u32 s3, s1
	s_mov_b32 s1, 0
	s_cselect_b32 s2, 14, 20
	s_mov_b32 s3, s1
	s_add_nc_u64 s[0:1], s[8:9], s[0:1]
	s_add_nc_u64 s[2:3], s[8:9], s[2:3]
	s_clause 0x1
	s_load_u16 s0, s[0:1], 0x0
	s_nop 0
	s_load_u16 s2, s[2:3], 0x0
	s_wait_kmcnt 0x0
	v_mad_u32_u24 v9, v15, s2, v9
	s_delay_alu instid0(VALU_DEP_1)
	v_mad_u32 v18, v9, s0, v14
	v_mov_b32_e32 v9, 0
	s_mov_b32 s0, exec_lo
	s_set_vgpr_msb 4                        ;  msbs: dst=0 src0=0 src1=1 src2=0
	v_cmpx_lt_u32_e32 0x100, v12 /*v268*/
	s_xor_b32 s18, exec_lo, s0
	s_set_vgpr_msb 0                        ;  msbs: dst=0 src0=0 src1=0 src2=0
	s_cbranch_execz .LBB185_362
; %bb.325:
	v_add_nc_u64_e32 v[20:21], v[0:1], v[8:9]
	s_delay_alu instid0(VALU_DEP_4) | instskip(SKIP_2) | instid1(VALU_DEP_3)
	v_dual_mov_b32 v17, v9 :: v_dual_lshlrev_b32 v0, 1, v18
	v_mov_b32_e32 v15, 0xff
	v_mov_b32_e32 v19, 0xff
	v_and_b32_e32 v0, 0xffffffc0, v0
	s_delay_alu instid0(VALU_DEP_4) | instskip(NEXT) | instid1(VALU_DEP_2)
	v_add_nc_u64_e32 v[20:21], v[20:21], v[16:17]
	v_dual_mov_b32 v1, v9 :: v_dual_bitop2_b32 v17, v16, v0 bitop3:0x54
	s_delay_alu instid0(VALU_DEP_1) | instskip(SKIP_1) | instid1(VALU_DEP_2)
	v_add_nc_u64_e32 v[20:21], v[20:21], v[0:1]
	s_set_vgpr_msb 4                        ;  msbs: dst=0 src0=0 src1=1 src2=0
	v_cmp_lt_u32_e32 vcc_lo, v17, v12 /*v268*/
	s_and_saveexec_b32 s0, vcc_lo
	s_set_vgpr_msb 0                        ;  msbs: dst=0 src0=0 src1=0 src2=0
	s_cbranch_execz .LBB185_327
; %bb.326:
	flat_load_u8 v19, v[20:21]
.LBB185_327:
	s_wait_xcnt 0x0
	s_or_b32 exec_lo, exec_lo, s0
	v_or_b32_e32 v17, 32, v17
	s_set_vgpr_msb 4                        ;  msbs: dst=0 src0=0 src1=1 src2=0
	s_delay_alu instid0(VALU_DEP_1)
	v_cmp_lt_u32_e64 s0, v17, v12 /*v268*/
	s_and_saveexec_b32 s1, s0
	s_set_vgpr_msb 0                        ;  msbs: dst=0 src0=0 src1=0 src2=0
	s_cbranch_execz .LBB185_329
; %bb.328:
	flat_load_u8 v15, v[20:21] offset:32
.LBB185_329:
	s_wait_xcnt 0x0
	s_or_b32 exec_lo, exec_lo, s1
	v_lshl_add_u64 v[4:5], v[8:9], 3, v[4:5]
	v_dual_mov_b32 v21, 0 :: v_dual_lshlrev_b32 v20, 3, v16
	v_mov_b64_e32 v[24:25], 0
	v_mov_b64_e32 v[22:23], 0
	s_delay_alu instid0(VALU_DEP_3) | instskip(NEXT) | instid1(VALU_DEP_1)
	v_add_nc_u64_e32 v[4:5], v[4:5], v[20:21]
	v_lshl_add_u64 v[0:1], v[0:1], 3, v[4:5]
	s_and_saveexec_b32 s1, vcc_lo
	s_cbranch_execz .LBB185_331
; %bb.330:
	flat_load_b64 v[22:23], v[0:1]
.LBB185_331:
	s_wait_xcnt 0x0
	s_or_b32 exec_lo, exec_lo, s1
	s_and_saveexec_b32 s1, s0
	s_cbranch_execz .LBB185_333
; %bb.332:
	flat_load_b64 v[24:25], v[0:1] offset:256
.LBB185_333:
	s_wait_xcnt 0x0
	s_or_b32 exec_lo, exec_lo, s1
	v_lshl_add_u32 v0, v14, 5, v12
	v_and_b32_e32 v1, 0x3e0, v14
	v_dual_lshrrev_b32 v50, 5, v18 :: v_dual_bitop2_b32 v4, 15, v16 bitop3:0x40
	s_get_pc_i64 s[0:1]
	s_add_nc_u64 s[0:1], s[0:1], _ZN7rocprim17ROCPRIM_400000_NS16block_radix_sortIhLj256ELj2ElLj1ELj1ELj8ELNS0_26block_radix_rank_algorithmE2ELNS0_18block_padding_hintE2ELNS0_4arch9wavefront6targetE0EE19radix_bits_per_passE@rel64+4
	v_dual_add_nc_u32 v34, 32, v0 :: v_dual_add_nc_u32 v35, 36, v0
	v_dual_add_nc_u32 v36, 40, v0 :: v_dual_add_nc_u32 v37, 44, v0
	;; [unrolled: 1-line block ×4, first 2 shown]
	v_min_u32_e32 v0, 0xe0, v1
	s_load_b32 s19, s[0:1], 0x0
	v_cmp_eq_u32_e32 vcc_lo, 0, v4
	s_wait_xcnt 0x0
	v_cmp_lt_u32_e64 s0, 1, v4
	v_cmp_lt_u32_e64 s1, 3, v4
	v_and_b32_e32 v1, 16, v16
	v_or_b32_e32 v0, 31, v0
	v_cmp_lt_u32_e64 s2, 7, v4
	v_sub_co_u32 v4, s3, v16, 1
	v_cmp_lt_u32_e64 s7, 31, v14
	s_delay_alu instid0(VALU_DEP_4)
	v_cmp_eq_u32_e64 s5, v14, v0
	v_lshrrev_b32_e32 v0, 3, v14
	v_cmp_eq_u32_e64 s4, 0, v1
	v_lshlrev_b32_e32 v1, 1, v14
	v_cmp_gt_i32_e64 s6, 0, v4
	v_cmp_eq_u32_e64 s8, 0, v14
	v_and_b32_e32 v0, 0x7c, v0
	v_lshl_add_u32 v54, v14, 2, v12
	v_and_or_b32 v1, 0x7c0, v1, v16
	v_cndmask_b32_e64 v4, v4, v16, s6
	v_cmp_gt_u32_e64 s6, 8, v14
	v_add_nc_u32_e32 v52, v12, v0
	s_delay_alu instid0(VALU_DEP_4) | instskip(NEXT) | instid1(VALU_DEP_4)
	v_dual_add_nc_u32 v53, v12, v1 :: v_dual_bitop2_b32 v0, 7, v16 bitop3:0x40
	v_lshlrev_b32_e32 v51, 2, v4
	v_mul_u32_u24_e32 v4, 7, v1
	v_mov_b32_e32 v1, 0
	s_delay_alu instid0(VALU_DEP_4)
	v_cmp_eq_u32_e64 s9, 0, v0
	v_cmp_lt_u32_e64 s10, 1, v0
	v_cmp_lt_u32_e64 s11, 3, v0
	v_dual_add_nc_u32 v55, v53, v4 :: v_dual_add_nc_u32 v65, 32, v53
	v_mov_b64_e32 v[4:5], 0
	v_dual_add_nc_u32 v64, -4, v52 :: v_dual_sub_nc_u32 v67, v11, v10
	s_delay_alu instid0(VALU_DEP_3)
	v_add_nc_u32_e32 v66, 0x100, v55
	s_mov_b32 s21, 0
	s_wait_storecnt 0x0
	s_wait_loadcnt_dscnt 0x0
	s_barrier_signal -1
	s_barrier_wait -1
	s_branch .LBB185_335
.LBB185_334:                            ;   in Loop: Header=BB185_335 Depth=1
	s_or_b32 exec_lo, exec_lo, s13
	s_delay_alu instid0(SALU_CYCLE_1) | instskip(NEXT) | instid1(SALU_CYCLE_1)
	s_and_b32 s12, exec_lo, s14
	s_or_b32 s21, s12, s21
	s_delay_alu instid0(SALU_CYCLE_1)
	s_and_not1_b32 exec_lo, exec_lo, s21
	s_cbranch_execz .LBB185_353
.LBB185_335:                            ; =>This Inner Loop Header: Depth=1
	s_wait_kmcnt 0x0
	v_min_u32_e32 v0, s19, v67
	v_and_b32_e32 v16, 0xff, v19
	ds_store_b64 v34, v[4:5]
	ds_store_b64 v36, v[4:5]
	;; [unrolled: 1-line block ×4, first 2 shown]
	s_wait_dscnt 0x0
	v_lshlrev_b32_e64 v26, v0, -1
	v_lshrrev_b32_e32 v0, v10, v16
	s_barrier_signal -1
	s_barrier_wait -1
	s_delay_alu instid0(VALU_DEP_1) | instskip(SKIP_1) | instid1(VALU_DEP_2)
	v_bitop3_b32 v16, v0, 1, v26 bitop3:0x40
	v_bitop3_b32 v0, v0, v26, v0 bitop3:0x30
	; wave barrier
	v_add_co_u32 v16, s12, v16, -1
	s_delay_alu instid0(VALU_DEP_1) | instskip(NEXT) | instid1(VALU_DEP_3)
	v_cndmask_b32_e64 v17, 0, 1, s12
	v_dual_lshlrev_b32 v20, 30, v0 :: v_dual_lshlrev_b32 v21, 29, v0
	v_dual_lshlrev_b32 v27, 28, v0 :: v_dual_lshlrev_b32 v28, 27, v0
	s_delay_alu instid0(VALU_DEP_3) | instskip(NEXT) | instid1(VALU_DEP_3)
	v_cmp_ne_u32_e64 s12, 0, v17
	v_not_b32_e32 v17, v20
	v_dual_lshlrev_b32 v29, 26, v0 :: v_dual_lshlrev_b32 v30, 25, v0
	v_cmp_gt_i32_e64 s13, 0, v20
	v_cmp_gt_i32_e64 s14, 0, v21
	v_not_b32_e32 v20, v21
	v_not_b32_e32 v21, v27
	v_dual_ashrrev_i32 v17, 31, v17 :: v_dual_lshlrev_b32 v31, 24, v0
	v_cmp_gt_i32_e64 s15, 0, v27
	v_cmp_gt_i32_e64 s16, 0, v28
	v_not_b32_e32 v27, v28
	v_xor_b32_e32 v16, s12, v16
	v_dual_ashrrev_i32 v20, 31, v20 :: v_dual_bitop2_b32 v17, s13, v17 bitop3:0x14
	v_ashrrev_i32_e32 v21, 31, v21
	v_not_b32_e32 v28, v29
	v_cmp_gt_i32_e64 s17, 0, v29
	v_ashrrev_i32_e32 v27, 31, v27
	v_bitop3_b32 v16, v16, v17, exec_lo bitop3:0x80
	s_delay_alu instid0(VALU_DEP_4)
	v_dual_ashrrev_i32 v17, 31, v28 :: v_dual_bitop2_b32 v21, s15, v21 bitop3:0x14
	v_not_b32_e32 v28, v30
	v_not_b32_e32 v29, v31
	v_xor_b32_e32 v20, s14, v20
	v_xor_b32_e32 v27, s16, v27
	v_dual_lshlrev_b32 v0, 3, v0 :: v_dual_bitop2_b32 v17, s17, v17 bitop3:0x14
	v_cmp_gt_i32_e64 s12, 0, v30
	s_delay_alu instid0(VALU_DEP_4)
	v_bitop3_b32 v16, v16, v21, v20 bitop3:0x80
	v_ashrrev_i32_e32 v20, 31, v28
	v_cmp_gt_i32_e64 s13, 0, v31
	v_ashrrev_i32_e32 v21, 31, v29
	v_add_lshl_u32 v0, v0, v50, 2
	v_bitop3_b32 v27, v16, v17, v27 bitop3:0x80
	v_xor_b32_e32 v20, s12, v20
	v_mov_b64_e32 v[16:17], v[24:25]
	v_xor_b32_e32 v21, s13, v21
	s_delay_alu instid0(VALU_DEP_1) | instskip(SKIP_2) | instid1(VALU_DEP_3)
	v_bitop3_b32 v24, v27, v21, v20 bitop3:0x80
	v_mov_b64_e32 v[20:21], v[22:23]
	v_add_nc_u64_e32 v[22:23], v[12:13], v[0:1]
	v_mbcnt_lo_u32_b32 v0, v24, 0
	v_cmp_ne_u32_e64 s13, 0, v24
	s_delay_alu instid0(VALU_DEP_3) | instskip(NEXT) | instid1(VALU_DEP_3)
	v_add_nc_u64_e32 v[22:23], 32, v[22:23]
	v_cmp_eq_u32_e64 s12, 0, v0
	s_and_b32 s13, s13, s12
	s_delay_alu instid0(SALU_CYCLE_1)
	s_and_saveexec_b32 s12, s13
; %bb.336:                              ;   in Loop: Header=BB185_335 Depth=1
	v_bcnt_u32_b32 v23, v24, 0
	ds_store_b32 v22, v23
; %bb.337:                              ;   in Loop: Header=BB185_335 Depth=1
	s_or_b32 exec_lo, exec_lo, s12
	v_and_b32_e32 v23, 0xff, v15
	v_not_b32_e32 v24, v26
	; wave barrier
	s_delay_alu instid0(VALU_DEP_2) | instskip(NEXT) | instid1(VALU_DEP_1)
	v_lshrrev_b32_e32 v23, v10, v23
	v_and_b32_e32 v25, v23, v24
	s_delay_alu instid0(VALU_DEP_1) | instskip(SKIP_1) | instid1(VALU_DEP_2)
	v_lshlrev_b32_e32 v27, 30, v25
	v_bitop3_b32 v23, v23, 1, v24 bitop3:0x80
	v_cmp_gt_i32_e64 s13, 0, v27
	s_delay_alu instid0(VALU_DEP_2) | instskip(NEXT) | instid1(VALU_DEP_1)
	v_add_co_u32 v23, s12, v23, -1
	v_cndmask_b32_e64 v26, 0, 1, s12
	s_delay_alu instid0(VALU_DEP_1) | instskip(SKIP_1) | instid1(VALU_DEP_1)
	v_cmp_ne_u32_e64 s12, 0, v26
	v_not_b32_e32 v26, v27
	v_dual_ashrrev_i32 v26, 31, v26 :: v_dual_lshlrev_b32 v28, 29, v25
	v_dual_lshlrev_b32 v29, 28, v25 :: v_dual_lshlrev_b32 v30, 27, v25
	v_lshlrev_b32_e32 v31, 26, v25
	v_lshl_add_u32 v24, v25, 3, v50
	s_delay_alu instid0(VALU_DEP_4)
	v_cmp_gt_i32_e64 s14, 0, v28
	v_not_b32_e32 v27, v28
	v_not_b32_e32 v28, v29
	v_dual_lshlrev_b32 v32, 25, v25 :: v_dual_lshlrev_b32 v25, 24, v25
	v_cmp_gt_i32_e64 s15, 0, v29
	v_cmp_gt_i32_e64 s16, 0, v30
	v_not_b32_e32 v29, v30
	v_dual_ashrrev_i32 v28, 31, v28 :: v_dual_bitop2_b32 v23, s12, v23 bitop3:0x14
	v_dual_ashrrev_i32 v27, 31, v27 :: v_dual_bitop2_b32 v26, s13, v26 bitop3:0x14
	v_not_b32_e32 v30, v31
	v_cmp_gt_i32_e64 s17, 0, v31
	s_delay_alu instid0(VALU_DEP_3)
	v_dual_ashrrev_i32 v29, 31, v29 :: v_dual_bitop2_b32 v27, s14, v27 bitop3:0x14
	v_xor_b32_e32 v28, s15, v28
	v_bitop3_b32 v23, v23, v26, exec_lo bitop3:0x80
	v_ashrrev_i32_e32 v26, 31, v30
	v_not_b32_e32 v30, v32
	v_not_b32_e32 v31, v25
	v_xor_b32_e32 v29, s16, v29
	v_bitop3_b32 v23, v23, v28, v27 bitop3:0x80
	v_xor_b32_e32 v26, s17, v26
	v_cmp_gt_i32_e64 s12, 0, v32
	v_ashrrev_i32_e32 v27, 31, v30
	v_cmp_gt_i32_e64 s13, 0, v25
	v_ashrrev_i32_e32 v25, 31, v31
	v_lshl_add_u32 v28, v24, 2, v12
	v_bitop3_b32 v24, v23, v26, v29 bitop3:0x80
	v_xor_b32_e32 v26, s12, v27
	s_delay_alu instid0(VALU_DEP_4) | instskip(SKIP_3) | instid1(VALU_DEP_2)
	v_xor_b32_e32 v25, s13, v25
	ds_load_b32 v23, v28 offset:32
	; wave barrier
	v_bitop3_b32 v26, v24, v25, v26 bitop3:0x80
	v_add_nc_u32_e32 v25, 32, v28
	v_mbcnt_lo_u32_b32 v24, v26, 0
	v_cmp_ne_u32_e64 s13, 0, v26
	s_delay_alu instid0(VALU_DEP_2) | instskip(SKIP_1) | instid1(SALU_CYCLE_1)
	v_cmp_eq_u32_e64 s12, 0, v24
	s_and_b32 s13, s13, s12
	s_and_saveexec_b32 s12, s13
	s_cbranch_execz .LBB185_339
; %bb.338:                              ;   in Loop: Header=BB185_335 Depth=1
	s_wait_dscnt 0x0
	v_bcnt_u32_b32 v26, v26, v23
	ds_store_b32 v25, v26
.LBB185_339:                            ;   in Loop: Header=BB185_335 Depth=1
	s_or_b32 exec_lo, exec_lo, s12
	; wave barrier
	s_wait_dscnt 0x0
	s_barrier_signal -1
	s_barrier_wait -1
	ds_load_b32 v27, v34
	ds_load_b32 v28, v35
	;; [unrolled: 1-line block ×8, first 2 shown]
	s_wait_dscnt 0x6
	v_add_nc_u32_e32 v68, v28, v27
	s_wait_dscnt 0x4
	s_delay_alu instid0(VALU_DEP_1) | instskip(SKIP_1) | instid1(VALU_DEP_1)
	v_add3_u32 v68, v68, v29, v30
	s_wait_dscnt 0x2
	v_add3_u32 v68, v68, v31, v32
	s_wait_dscnt 0x0
	s_delay_alu instid0(VALU_DEP_1) | instskip(NEXT) | instid1(VALU_DEP_1)
	v_add3_u32 v33, v68, v26, v33
	v_mov_b32_dpp v68, v33 row_shr:1 row_mask:0xf bank_mask:0xf
	s_delay_alu instid0(VALU_DEP_1) | instskip(NEXT) | instid1(VALU_DEP_1)
	v_cndmask_b32_e64 v68, v68, 0, vcc_lo
	v_add_nc_u32_e32 v33, v68, v33
	s_delay_alu instid0(VALU_DEP_1) | instskip(NEXT) | instid1(VALU_DEP_1)
	v_mov_b32_dpp v68, v33 row_shr:2 row_mask:0xf bank_mask:0xf
	v_cndmask_b32_e64 v68, 0, v68, s0
	s_delay_alu instid0(VALU_DEP_1) | instskip(NEXT) | instid1(VALU_DEP_1)
	v_add_nc_u32_e32 v33, v33, v68
	v_mov_b32_dpp v68, v33 row_shr:4 row_mask:0xf bank_mask:0xf
	s_delay_alu instid0(VALU_DEP_1) | instskip(NEXT) | instid1(VALU_DEP_1)
	v_cndmask_b32_e64 v68, 0, v68, s1
	v_add_nc_u32_e32 v33, v33, v68
	s_delay_alu instid0(VALU_DEP_1) | instskip(NEXT) | instid1(VALU_DEP_1)
	v_mov_b32_dpp v68, v33 row_shr:8 row_mask:0xf bank_mask:0xf
	v_cndmask_b32_e64 v68, 0, v68, s2
	s_delay_alu instid0(VALU_DEP_1) | instskip(SKIP_3) | instid1(VALU_DEP_1)
	v_add_nc_u32_e32 v33, v33, v68
	ds_swizzle_b32 v68, v33 offset:swizzle(BROADCAST,32,15)
	s_wait_dscnt 0x0
	v_cndmask_b32_e64 v68, v68, 0, s4
	v_add_nc_u32_e32 v33, v33, v68
	s_and_saveexec_b32 s12, s5
; %bb.340:                              ;   in Loop: Header=BB185_335 Depth=1
	ds_store_b32 v52, v33
; %bb.341:                              ;   in Loop: Header=BB185_335 Depth=1
	s_or_b32 exec_lo, exec_lo, s12
	s_wait_dscnt 0x0
	s_barrier_signal -1
	s_barrier_wait -1
	s_and_saveexec_b32 s12, s6
	s_cbranch_execz .LBB185_343
; %bb.342:                              ;   in Loop: Header=BB185_335 Depth=1
	ds_load_b32 v68, v54
	s_wait_dscnt 0x0
	v_mov_b32_dpp v69, v68 row_shr:1 row_mask:0xf bank_mask:0xf
	s_delay_alu instid0(VALU_DEP_1) | instskip(NEXT) | instid1(VALU_DEP_1)
	v_cndmask_b32_e64 v69, v69, 0, s9
	v_add_nc_u32_e32 v68, v69, v68
	s_delay_alu instid0(VALU_DEP_1) | instskip(NEXT) | instid1(VALU_DEP_1)
	v_mov_b32_dpp v69, v68 row_shr:2 row_mask:0xf bank_mask:0xf
	v_cndmask_b32_e64 v69, 0, v69, s10
	s_delay_alu instid0(VALU_DEP_1) | instskip(NEXT) | instid1(VALU_DEP_1)
	v_add_nc_u32_e32 v68, v68, v69
	v_mov_b32_dpp v69, v68 row_shr:4 row_mask:0xf bank_mask:0xf
	s_delay_alu instid0(VALU_DEP_1) | instskip(NEXT) | instid1(VALU_DEP_1)
	v_cndmask_b32_e64 v69, 0, v69, s11
	v_add_nc_u32_e32 v68, v68, v69
	ds_store_b32 v54, v68
.LBB185_343:                            ;   in Loop: Header=BB185_335 Depth=1
	s_or_b32 exec_lo, exec_lo, s12
	v_mov_b32_e32 v68, 0
	s_wait_dscnt 0x0
	s_barrier_signal -1
	s_barrier_wait -1
	s_and_saveexec_b32 s12, s7
; %bb.344:                              ;   in Loop: Header=BB185_335 Depth=1
	ds_load_b32 v68, v64
; %bb.345:                              ;   in Loop: Header=BB185_335 Depth=1
	s_or_b32 exec_lo, exec_lo, s12
	s_wait_dscnt 0x0
	v_add_nc_u32_e32 v33, v68, v33
	s_mov_b32 s14, -1
	s_mov_b32 s13, exec_lo
	v_add_nc_u32_e32 v10, 8, v10
	ds_bpermute_b32 v33, v51, v33
	s_wait_dscnt 0x0
	v_cndmask_b32_e64 v33, v33, v68, s3
	s_delay_alu instid0(VALU_DEP_1) | instskip(NEXT) | instid1(VALU_DEP_1)
	v_cndmask_b32_e64 v33, v33, 0, s8
	v_add_nc_u32_e32 v27, v33, v27
	s_delay_alu instid0(VALU_DEP_1) | instskip(NEXT) | instid1(VALU_DEP_1)
	v_add_nc_u32_e32 v28, v27, v28
	v_add_nc_u32_e32 v29, v28, v29
	s_delay_alu instid0(VALU_DEP_1) | instskip(NEXT) | instid1(VALU_DEP_1)
	v_add_nc_u32_e32 v30, v29, v30
	v_add_nc_u32_e32 v31, v30, v31
	s_delay_alu instid0(VALU_DEP_1)
	v_add_nc_u32_e32 v32, v31, v32
	ds_store_b32 v34, v33
	ds_store_b32 v35, v27
	;; [unrolled: 1-line block ×3, first 2 shown]
	v_add_nc_u32_e32 v26, v32, v26
	ds_store_b32 v37, v29
	ds_store_b32 v38, v30
	;; [unrolled: 1-line block ×5, first 2 shown]
	s_wait_dscnt 0x0
	s_barrier_signal -1
	s_barrier_wait -1
	ds_load_b32 v22, v22
	ds_load_b32 v26, v25
	v_mov_b32_e32 v25, v1
	s_wait_dscnt 0x0
	v_add_nc_u32_e32 v0, v22, v0
	v_add3_u32 v24, v24, v23, v26
                                        ; implicit-def: $vgpr22_vgpr23
	s_delay_alu instid0(VALU_DEP_2) | instskip(NEXT) | instid1(VALU_DEP_2)
	v_add_nc_u64_e32 v[30:31], v[12:13], v[0:1]
	v_add_nc_u64_e32 v[32:33], v[12:13], v[24:25]
	s_delay_alu instid0(VALU_DEP_2) | instskip(NEXT) | instid1(VALU_DEP_2)
	v_mad_nc_u64_u32 v[26:27], v0, 7, v[30:31]
	v_mad_nc_u64_u32 v[28:29], v24, 7, v[32:33]
	v_dual_mov_b32 v0, v19 :: v_dual_mov_b32 v27, v15
                                        ; implicit-def: $vgpr24_vgpr25
	v_cmpx_lt_u32_e64 v10, v11
	s_cbranch_execz .LBB185_334
; %bb.346:                              ;   in Loop: Header=BB185_335 Depth=1
	s_barrier_signal -1
	s_barrier_wait -1
	ds_store_b8 v30, v19
	ds_store_b8 v32, v15
	s_wait_dscnt 0x0
	s_barrier_signal -1
	s_barrier_wait -1
	ds_load_u8 v15, v65
	ds_load_u8 v19, v53
	s_wait_dscnt 0x0
	s_barrier_signal -1
	s_barrier_wait -1
	ds_store_b64 v26, v[20:21]
	ds_store_b64 v28, v[16:17]
	s_wait_dscnt 0x0
	s_barrier_signal -1
	s_barrier_wait -1
	ds_load_b64 v[22:23], v55
	ds_load_b64 v[24:25], v66
	v_add_nc_u32_e32 v67, -8, v67
	s_xor_b32 s14, exec_lo, -1
	s_wait_dscnt 0x0
	s_barrier_signal -1
	s_barrier_wait -1
	s_branch .LBB185_334
.LBB185_347:
	flat_load_b64 v[26:27], v[0:1]
	s_wait_xcnt 0x0
	s_or_b32 exec_lo, exec_lo, s3
                                        ; implicit-def: $vgpr28_vgpr29
	s_and_saveexec_b32 s3, s0
	s_cbranch_execz .LBB185_274
.LBB185_348:
	flat_load_b64 v[28:29], v[0:1] offset:256
	s_wait_xcnt 0x0
	s_or_b32 exec_lo, exec_lo, s3
                                        ; implicit-def: $vgpr30_vgpr31
	s_and_saveexec_b32 s0, s1
	s_cbranch_execz .LBB185_275
.LBB185_349:
	flat_load_b64 v[30:31], v[0:1] offset:512
	s_wait_xcnt 0x0
	s_or_b32 exec_lo, exec_lo, s0
                                        ; implicit-def: $vgpr32_vgpr33
	s_and_saveexec_b32 s0, s2
	s_cbranch_execnz .LBB185_276
	s_branch .LBB185_277
.LBB185_350:
	flat_store_b64 v[0:1], v[14:15]
	s_wait_xcnt 0x0
	s_or_b32 exec_lo, exec_lo, s3
	s_and_saveexec_b32 s3, s0
	s_cbranch_execz .LBB185_319
.LBB185_351:
	flat_store_b64 v[0:1], v[16:17] offset:2048
	s_wait_xcnt 0x0
	s_or_b32 exec_lo, exec_lo, s3
	s_and_saveexec_b32 s0, s1
	s_cbranch_execz .LBB185_320
.LBB185_352:
	flat_store_b64 v[0:1], v[10:11] offset:4096
	s_wait_xcnt 0x0
	s_or_b32 exec_lo, exec_lo, s0
	s_and_saveexec_b32 s0, s2
	s_cbranch_execnz .LBB185_321
	s_branch .LBB185_322
.LBB185_353:
	s_or_b32 exec_lo, exec_lo, s21
	s_barrier_signal -1
	s_barrier_wait -1
	ds_store_b8 v30, v0
	ds_store_b8 v32, v27
	v_dual_mov_b32 v19, 0 :: v_dual_add_nc_u32 v0, v12, v14
	v_mul_u32_u24_e32 v1, 7, v14
	s_wait_dscnt 0x0
	s_barrier_signal -1
	s_barrier_wait -1
	ds_load_u8 v5, v0
	ds_load_u8 v4, v0 offset:256
	v_add_nc_u32_e32 v0, v0, v1
	s_wait_dscnt 0x0
	s_barrier_signal -1
	s_barrier_wait -1
	ds_store_b64 v26, v[20:21]
	ds_store_b64 v28, v[16:17]
	s_wait_dscnt 0x0
	s_barrier_signal -1
	s_barrier_wait -1
	ds_load_2addr_stride64_b64 v[10:13], v0 offset1:4
	v_add_nc_u64_e32 v[0:1], v[2:3], v[8:9]
	s_set_vgpr_msb 4                        ;  msbs: dst=0 src0=0 src1=1 src2=0
	v_cmp_lt_u32_e32 vcc_lo, v18, v12 /*v268*/
	s_wait_dscnt 0x0
	s_barrier_signal -1
	s_barrier_wait -1
	s_set_vgpr_msb 0                        ;  msbs: dst=0 src0=0 src1=0 src2=0
	v_add_nc_u64_e32 v[0:1], v[0:1], v[18:19]
	s_and_saveexec_b32 s0, vcc_lo
	s_cbranch_execz .LBB185_355
; %bb.354:
	flat_store_b8 v[0:1], v5
.LBB185_355:
	s_wait_xcnt 0x0
	s_or_b32 exec_lo, exec_lo, s0
	v_add_nc_u32_e32 v2, 0x100, v18
	s_set_vgpr_msb 4                        ;  msbs: dst=0 src0=0 src1=1 src2=0
	s_delay_alu instid0(VALU_DEP_1)
	v_cmp_lt_u32_e64 s0, v2, v12 /*v268*/
	s_and_saveexec_b32 s1, s0
	s_set_vgpr_msb 0                        ;  msbs: dst=0 src0=0 src1=0 src2=0
	s_cbranch_execz .LBB185_357
; %bb.356:
	flat_store_b8 v[0:1], v4 offset:256
.LBB185_357:
	s_wait_xcnt 0x0
	s_or_b32 exec_lo, exec_lo, s1
	v_lshl_add_u64 v[0:1], v[8:9], 3, v[6:7]
	s_delay_alu instid0(VALU_DEP_1)
	v_lshl_add_u64 v[0:1], v[18:19], 3, v[0:1]
	s_and_saveexec_b32 s1, vcc_lo
	s_cbranch_execz .LBB185_359
; %bb.358:
	flat_store_b64 v[0:1], v[10:11]
.LBB185_359:
	s_wait_xcnt 0x0
	s_or_b32 exec_lo, exec_lo, s1
	s_and_saveexec_b32 s1, s0
	s_cbranch_execz .LBB185_361
; %bb.360:
	flat_store_b64 v[0:1], v[12:13] offset:2048
.LBB185_361:
	s_wait_xcnt 0x0
	s_or_b32 exec_lo, exec_lo, s1
                                        ; implicit-def: $vgpr18
                                        ; implicit-def: $vgpr8_vgpr9
                                        ; implicit-def: $vgpr268
                                        ; implicit-def: $vgpr10
                                        ; implicit-def: $vgpr11
                                        ; implicit-def: $vgpr0_vgpr1
                                        ; implicit-def: $vgpr2_vgpr3
                                        ; implicit-def: $vgpr4_vgpr5
                                        ; implicit-def: $vgpr6_vgpr7
                                        ; implicit-def: $vgpr12_vgpr13
                                        ; implicit-def: $vgpr14
                                        ; implicit-def: $vgpr16
.LBB185_362:
	s_and_not1_saveexec_b32 s0, s18
	s_cbranch_execz .LBB185_382
; %bb.363:
	s_delay_alu instid0(VALU_DEP_3) | instskip(SKIP_1) | instid1(VALU_DEP_2)
	v_and_b32_e32 v22, 0xffffffe0, v18
	v_mov_b32_e32 v39, 0xff
	v_or_b32_e32 v15, v16, v22
	s_set_vgpr_msb 4                        ;  msbs: dst=0 src0=0 src1=1 src2=0
	s_delay_alu instid0(VALU_DEP_1)
	v_cmp_lt_u32_e32 vcc_lo, v15, v12 /*v268*/
	s_and_saveexec_b32 s0, vcc_lo
	s_set_vgpr_msb 0                        ;  msbs: dst=0 src0=0 src1=0 src2=0
	s_cbranch_execz .LBB185_365
; %bb.364:
	v_add_nc_u64_e32 v[0:1], v[0:1], v[8:9]
	v_mov_b32_e32 v17, 0
	s_delay_alu instid0(VALU_DEP_1) | instskip(NEXT) | instid1(VALU_DEP_3)
	v_mov_b32_e32 v23, v17
	v_add_nc_u64_e32 v[0:1], v[0:1], v[16:17]
	s_delay_alu instid0(VALU_DEP_1)
	v_add_nc_u64_e32 v[0:1], v[0:1], v[22:23]
	flat_load_u8 v39, v[0:1]
.LBB185_365:
	s_wait_xcnt 0x0
	s_or_b32 exec_lo, exec_lo, s0
                                        ; implicit-def: $vgpr20_vgpr21
	s_and_saveexec_b32 s0, vcc_lo
	s_cbranch_execz .LBB185_367
; %bb.366:
	v_lshl_add_u64 v[0:1], v[8:9], 3, v[4:5]
	v_dual_mov_b32 v5, 0 :: v_dual_lshlrev_b32 v4, 3, v16
	s_delay_alu instid0(VALU_DEP_1) | instskip(SKIP_1) | instid1(VALU_DEP_1)
	v_add_nc_u64_e32 v[0:1], v[0:1], v[4:5]
	v_mov_b32_e32 v23, v5
	v_lshl_add_u64 v[0:1], v[22:23], 3, v[0:1]
	flat_load_b64 v[20:21], v[0:1]
.LBB185_367:
	s_wait_xcnt 0x0
	s_or_b32 exec_lo, exec_lo, s0
	v_lshl_add_u32 v0, v14, 5, v12
	v_sub_co_u32 v17, s2, v16, 1
	v_dual_lshrrev_b32 v30, 5, v18 :: v_dual_bitop2_b32 v1, 15, v16 bitop3:0x40
	s_delay_alu instid0(VALU_DEP_3)
	v_dual_add_nc_u32 v15, 32, v0 :: v_dual_add_nc_u32 v19, 36, v0
	v_dual_add_nc_u32 v24, 40, v0 :: v_dual_add_nc_u32 v25, 44, v0
	;; [unrolled: 1-line block ×4, first 2 shown]
	v_and_b32_e32 v0, 0x3e0, v14
	v_and_b32_e32 v5, 16, v16
	v_cmp_gt_i32_e64 s5, 0, v17
	s_get_pc_i64 s[0:1]
	s_add_nc_u64 s[0:1], s[0:1], _ZN7rocprim17ROCPRIM_400000_NS16block_radix_sortIhLj256ELj1ElLj1ELj1ELj8ELNS0_26block_radix_rank_algorithmE2ELNS0_18block_padding_hintE2ELNS0_4arch9wavefront6targetE0EE19radix_bits_per_passE@rel64+4
	v_cmp_eq_u32_e32 vcc_lo, 0, v1
	v_min_u32_e32 v4, 0xe0, v0
	s_load_b32 s18, s[0:1], 0x0
	s_wait_xcnt 0x0
	v_cmp_lt_u32_e64 s0, 1, v1
	v_cmp_lt_u32_e64 s1, 3, v1
	;; [unrolled: 1-line block ×3, first 2 shown]
	v_dual_lshrrev_b32 v4, 3, v14 :: v_dual_bitop2_b32 v1, 31, v4 bitop3:0x54
	v_cmp_eq_u32_e64 s4, 0, v5
	v_cndmask_b32_e64 v5, v17, v16, s5
	v_or_b32_e32 v0, v16, v0
	v_cmp_gt_u32_e64 s6, 8, v14
	v_cmp_lt_u32_e64 s7, 31, v14
	v_cmp_eq_u32_e64 s8, 0, v14
	v_lshlrev_b32_e32 v31, 2, v5
	v_cmp_eq_u32_e64 s5, v14, v1
	v_and_b32_e32 v1, 0x7c, v4
	v_and_b32_e32 v4, 7, v16
	v_lshl_add_u32 v33, v14, 2, v12
	v_sub_nc_u32_e32 v37, v11, v10
	s_mov_b32 s19, 0
	v_dual_mov_b32 v1, 0 :: v_dual_add_nc_u32 v32, v12, v1
	v_add_nc_u32_e32 v34, v12, v0
	v_mul_u32_u24_e32 v0, 7, v0
	v_cmp_eq_u32_e64 s9, 0, v4
	v_cmp_lt_u32_e64 s10, 1, v4
	v_cmp_lt_u32_e64 s11, 3, v4
	v_mov_b64_e32 v[4:5], 0
	v_add_nc_u32_e32 v35, -4, v32
	v_add_nc_u32_e32 v36, v34, v0
	s_wait_storecnt 0x0
	s_wait_loadcnt_dscnt 0x0
	s_barrier_signal -1
	s_barrier_wait -1
	s_branch .LBB185_369
.LBB185_368:                            ;   in Loop: Header=BB185_369 Depth=1
	s_or_b32 exec_lo, exec_lo, s13
	s_delay_alu instid0(SALU_CYCLE_1) | instskip(NEXT) | instid1(SALU_CYCLE_1)
	s_and_b32 s12, exec_lo, s14
	s_or_b32 s19, s12, s19
	s_delay_alu instid0(SALU_CYCLE_1)
	s_and_not1_b32 exec_lo, exec_lo, s19
	s_cbranch_execz .LBB185_379
.LBB185_369:                            ; =>This Inner Loop Header: Depth=1
	v_mov_b32_e32 v38, v39
	s_wait_kmcnt 0x0
	v_min_u32_e32 v0, s18, v37
	ds_store_b64 v15, v[4:5]
	ds_store_b64 v24, v[4:5]
	;; [unrolled: 1-line block ×4, first 2 shown]
	s_wait_dscnt 0x0
	v_and_b32_e32 v16, 0xff, v38
	v_lshlrev_b32_e64 v0, v0, -1
	s_barrier_signal -1
	s_barrier_wait -1
	s_delay_alu instid0(VALU_DEP_2) | instskip(NEXT) | instid1(VALU_DEP_1)
	v_lshrrev_b32_e32 v16, v10, v16
	; wave barrier
	v_bitop3_b32 v17, v16, 1, v0 bitop3:0x40
	v_bitop3_b32 v0, v16, v0, v16 bitop3:0x30
	s_delay_alu instid0(VALU_DEP_2) | instskip(NEXT) | instid1(VALU_DEP_1)
	v_add_co_u32 v16, s12, v17, -1
	v_cndmask_b32_e64 v17, 0, 1, s12
	s_delay_alu instid0(VALU_DEP_3) | instskip(SKIP_1) | instid1(VALU_DEP_3)
	v_dual_lshlrev_b32 v22, 30, v0 :: v_dual_lshlrev_b32 v23, 29, v0
	v_dual_lshlrev_b32 v39, 28, v0 :: v_dual_lshlrev_b32 v48, 27, v0
	v_cmp_ne_u32_e64 s12, 0, v17
	s_delay_alu instid0(VALU_DEP_3)
	v_not_b32_e32 v17, v22
	v_dual_lshlrev_b32 v49, 26, v0 :: v_dual_lshlrev_b32 v50, 25, v0
	v_lshlrev_b32_e32 v51, 24, v0
	v_cmp_gt_i32_e64 s13, 0, v22
	v_cmp_gt_i32_e64 s14, 0, v23
	v_not_b32_e32 v22, v23
	v_not_b32_e32 v23, v39
	v_ashrrev_i32_e32 v17, 31, v17
	v_cmp_gt_i32_e64 s15, 0, v39
	v_cmp_gt_i32_e64 s16, 0, v48
	v_not_b32_e32 v39, v48
	v_not_b32_e32 v48, v49
	v_dual_ashrrev_i32 v22, 31, v22 :: v_dual_bitop2_b32 v16, s12, v16 bitop3:0x14
	v_dual_ashrrev_i32 v23, 31, v23 :: v_dual_bitop2_b32 v17, s13, v17 bitop3:0x14
	v_cmp_gt_i32_e64 s17, 0, v49
	v_not_b32_e32 v49, v50
	v_not_b32_e32 v52, v51
	v_dual_ashrrev_i32 v39, 31, v39 :: v_dual_ashrrev_i32 v48, 31, v48
	v_xor_b32_e32 v22, s14, v22
	v_xor_b32_e32 v23, s15, v23
	v_bitop3_b32 v16, v16, v17, exec_lo bitop3:0x80
	s_delay_alu instid0(VALU_DEP_4)
	v_dual_lshlrev_b32 v0, 3, v0 :: v_dual_bitop2_b32 v39, s16, v39 bitop3:0x14
	v_xor_b32_e32 v17, s17, v48
	v_cmp_gt_i32_e64 s12, 0, v50
	v_ashrrev_i32_e32 v48, 31, v49
	v_cmp_gt_i32_e64 s13, 0, v51
	v_ashrrev_i32_e32 v49, 31, v52
	v_bitop3_b32 v16, v16, v23, v22 bitop3:0x80
	v_add_lshl_u32 v0, v0, v30, 2
	v_xor_b32_e32 v22, s12, v48
	s_delay_alu instid0(VALU_DEP_4) | instskip(NEXT) | instid1(VALU_DEP_4)
	v_xor_b32_e32 v23, s13, v49
	v_bitop3_b32 v16, v16, v17, v39 bitop3:0x80
	s_delay_alu instid0(VALU_DEP_1) | instskip(SKIP_2) | instid1(VALU_DEP_3)
	v_bitop3_b32 v22, v16, v23, v22 bitop3:0x80
	v_mov_b64_e32 v[16:17], v[20:21]
	v_add_nc_u64_e32 v[20:21], v[12:13], v[0:1]
	v_mbcnt_lo_u32_b32 v0, v22, 0
	v_cmp_ne_u32_e64 s13, 0, v22
	s_delay_alu instid0(VALU_DEP_3) | instskip(NEXT) | instid1(VALU_DEP_3)
	v_add_nc_u64_e32 v[20:21], 32, v[20:21]
	v_cmp_eq_u32_e64 s12, 0, v0
	s_and_b32 s13, s13, s12
	s_delay_alu instid0(SALU_CYCLE_1)
	s_and_saveexec_b32 s12, s13
; %bb.370:                              ;   in Loop: Header=BB185_369 Depth=1
	v_bcnt_u32_b32 v21, v22, 0
	ds_store_b32 v20, v21
; %bb.371:                              ;   in Loop: Header=BB185_369 Depth=1
	s_or_b32 exec_lo, exec_lo, s12
	; wave barrier
	s_wait_dscnt 0x0
	s_barrier_signal -1
	s_barrier_wait -1
	ds_load_b32 v22, v15
	ds_load_b32 v23, v19
	;; [unrolled: 1-line block ×8, first 2 shown]
	s_wait_dscnt 0x6
	v_add_nc_u32_e32 v52, v23, v22
	s_wait_dscnt 0x4
	s_delay_alu instid0(VALU_DEP_1) | instskip(SKIP_1) | instid1(VALU_DEP_1)
	v_add3_u32 v52, v52, v39, v48
	s_wait_dscnt 0x2
	v_add3_u32 v52, v52, v49, v50
	s_wait_dscnt 0x0
	s_delay_alu instid0(VALU_DEP_1) | instskip(NEXT) | instid1(VALU_DEP_1)
	v_add3_u32 v51, v52, v21, v51
	v_mov_b32_dpp v52, v51 row_shr:1 row_mask:0xf bank_mask:0xf
	s_delay_alu instid0(VALU_DEP_1) | instskip(NEXT) | instid1(VALU_DEP_1)
	v_cndmask_b32_e64 v52, v52, 0, vcc_lo
	v_add_nc_u32_e32 v51, v52, v51
	s_delay_alu instid0(VALU_DEP_1) | instskip(NEXT) | instid1(VALU_DEP_1)
	v_mov_b32_dpp v52, v51 row_shr:2 row_mask:0xf bank_mask:0xf
	v_cndmask_b32_e64 v52, 0, v52, s0
	s_delay_alu instid0(VALU_DEP_1) | instskip(NEXT) | instid1(VALU_DEP_1)
	v_add_nc_u32_e32 v51, v51, v52
	v_mov_b32_dpp v52, v51 row_shr:4 row_mask:0xf bank_mask:0xf
	s_delay_alu instid0(VALU_DEP_1) | instskip(NEXT) | instid1(VALU_DEP_1)
	v_cndmask_b32_e64 v52, 0, v52, s1
	v_add_nc_u32_e32 v51, v51, v52
	s_delay_alu instid0(VALU_DEP_1) | instskip(NEXT) | instid1(VALU_DEP_1)
	v_mov_b32_dpp v52, v51 row_shr:8 row_mask:0xf bank_mask:0xf
	v_cndmask_b32_e64 v52, 0, v52, s3
	s_delay_alu instid0(VALU_DEP_1) | instskip(SKIP_3) | instid1(VALU_DEP_1)
	v_add_nc_u32_e32 v51, v51, v52
	ds_swizzle_b32 v52, v51 offset:swizzle(BROADCAST,32,15)
	s_wait_dscnt 0x0
	v_cndmask_b32_e64 v52, v52, 0, s4
	v_add_nc_u32_e32 v51, v51, v52
	s_and_saveexec_b32 s12, s5
; %bb.372:                              ;   in Loop: Header=BB185_369 Depth=1
	ds_store_b32 v32, v51
; %bb.373:                              ;   in Loop: Header=BB185_369 Depth=1
	s_or_b32 exec_lo, exec_lo, s12
	s_wait_dscnt 0x0
	s_barrier_signal -1
	s_barrier_wait -1
	s_and_saveexec_b32 s12, s6
	s_cbranch_execz .LBB185_375
; %bb.374:                              ;   in Loop: Header=BB185_369 Depth=1
	ds_load_b32 v52, v33
	s_wait_dscnt 0x0
	v_mov_b32_dpp v53, v52 row_shr:1 row_mask:0xf bank_mask:0xf
	s_delay_alu instid0(VALU_DEP_1) | instskip(NEXT) | instid1(VALU_DEP_1)
	v_cndmask_b32_e64 v53, v53, 0, s9
	v_add_nc_u32_e32 v52, v53, v52
	s_delay_alu instid0(VALU_DEP_1) | instskip(NEXT) | instid1(VALU_DEP_1)
	v_mov_b32_dpp v53, v52 row_shr:2 row_mask:0xf bank_mask:0xf
	v_cndmask_b32_e64 v53, 0, v53, s10
	s_delay_alu instid0(VALU_DEP_1) | instskip(NEXT) | instid1(VALU_DEP_1)
	v_add_nc_u32_e32 v52, v52, v53
	v_mov_b32_dpp v53, v52 row_shr:4 row_mask:0xf bank_mask:0xf
	s_delay_alu instid0(VALU_DEP_1) | instskip(NEXT) | instid1(VALU_DEP_1)
	v_cndmask_b32_e64 v53, 0, v53, s11
	v_add_nc_u32_e32 v52, v52, v53
	ds_store_b32 v33, v52
.LBB185_375:                            ;   in Loop: Header=BB185_369 Depth=1
	s_or_b32 exec_lo, exec_lo, s12
	v_mov_b32_e32 v52, 0
	s_wait_dscnt 0x0
	s_barrier_signal -1
	s_barrier_wait -1
	s_and_saveexec_b32 s12, s7
; %bb.376:                              ;   in Loop: Header=BB185_369 Depth=1
	ds_load_b32 v52, v35
; %bb.377:                              ;   in Loop: Header=BB185_369 Depth=1
	s_or_b32 exec_lo, exec_lo, s12
	s_wait_dscnt 0x0
	v_dual_add_nc_u32 v51, v52, v51 :: v_dual_add_nc_u32 v10, 8, v10
	s_mov_b32 s14, -1
	s_mov_b32 s13, exec_lo
	ds_bpermute_b32 v51, v31, v51
	s_wait_dscnt 0x0
	v_cndmask_b32_e64 v51, v51, v52, s2
	s_delay_alu instid0(VALU_DEP_1) | instskip(NEXT) | instid1(VALU_DEP_1)
	v_cndmask_b32_e64 v51, v51, 0, s8
	v_add_nc_u32_e32 v22, v51, v22
	s_delay_alu instid0(VALU_DEP_1) | instskip(NEXT) | instid1(VALU_DEP_1)
	v_add_nc_u32_e32 v23, v22, v23
	v_add_nc_u32_e32 v39, v23, v39
	s_delay_alu instid0(VALU_DEP_1) | instskip(NEXT) | instid1(VALU_DEP_1)
	v_add_nc_u32_e32 v48, v39, v48
	v_add_nc_u32_e32 v49, v48, v49
	ds_store_b32 v15, v51
	ds_store_b32 v19, v22
	;; [unrolled: 1-line block ×3, first 2 shown]
	v_add_nc_u32_e32 v50, v49, v50
	s_delay_alu instid0(VALU_DEP_1)
	v_add_nc_u32_e32 v21, v50, v21
	ds_store_b32 v25, v39
	ds_store_b32 v26, v48
	;; [unrolled: 1-line block ×5, first 2 shown]
	s_wait_dscnt 0x0
	s_barrier_signal -1
	s_barrier_wait -1
	ds_load_b32 v20, v20
	s_wait_dscnt 0x0
                                        ; implicit-def: $vgpr39
	v_add_nc_u32_e32 v0, v20, v0
                                        ; implicit-def: $vgpr20_vgpr21
	s_delay_alu instid0(VALU_DEP_1)
	v_add_nc_u64_e32 v[22:23], v[12:13], v[0:1]
	v_cmpx_lt_u32_e64 v10, v11
	s_cbranch_execz .LBB185_368
; %bb.378:                              ;   in Loop: Header=BB185_369 Depth=1
	s_delay_alu instid0(VALU_DEP_2)
	v_mad_nc_u64_u32 v[20:21], v0, 7, v[22:23]
	s_barrier_signal -1
	s_barrier_wait -1
	ds_store_b8 v22, v38
	s_wait_dscnt 0x0
	s_barrier_signal -1
	s_barrier_wait -1
	ds_load_u8 v39, v34
	s_wait_dscnt 0x0
	s_barrier_signal -1
	s_barrier_wait -1
	ds_store_b64 v20, v[16:17]
	s_wait_dscnt 0x0
	s_barrier_signal -1
	s_barrier_wait -1
	ds_load_b64 v[20:21], v36
	v_add_nc_u32_e32 v37, -8, v37
	s_xor_b32 s14, exec_lo, -1
	s_wait_dscnt 0x0
	s_barrier_signal -1
	s_barrier_wait -1
	s_branch .LBB185_368
.LBB185_379:
	s_or_b32 exec_lo, exec_lo, s19
	v_mad_nc_u64_u32 v[0:1], v0, 7, v[22:23]
	v_add_nc_u32_e32 v5, v12, v14
	v_mul_u32_u24_e32 v1, 7, v14
	s_barrier_signal -1
	s_barrier_wait -1
	ds_store_b8 v22, v38
	s_wait_dscnt 0x0
	s_barrier_signal -1
	s_barrier_wait -1
	ds_load_u8 v4, v5
	s_wait_dscnt 0x0
	s_barrier_signal -1
	s_barrier_wait -1
	ds_store_b64 v0, v[16:17]
	v_add_nc_u32_e32 v0, v5, v1
	s_wait_dscnt 0x0
	s_barrier_signal -1
	s_barrier_wait -1
	ds_load_b64 v[0:1], v0
	s_mov_b32 s0, exec_lo
	s_wait_dscnt 0x0
	s_barrier_signal -1
	s_barrier_wait -1
	s_set_vgpr_msb 4                        ;  msbs: dst=0 src0=0 src1=1 src2=0
	v_cmpx_lt_u32_e64 v18, v12 /*v268*/
	s_set_vgpr_msb 0                        ;  msbs: dst=0 src0=0 src1=0 src2=0
	s_cbranch_execz .LBB185_381
; %bb.380:
	v_add_nc_u64_e32 v[2:3], v[2:3], v[8:9]
	v_mov_b32_e32 v19, 0
	v_lshl_add_u64 v[6:7], v[8:9], 3, v[6:7]
	s_delay_alu instid0(VALU_DEP_1) | instskip(NEXT) | instid1(VALU_DEP_4)
	v_lshl_add_u64 v[6:7], v[18:19], 3, v[6:7]
	v_add_nc_u64_e32 v[2:3], v[2:3], v[18:19]
	flat_store_b8 v[2:3], v4
	flat_store_b64 v[6:7], v[0:1]
.LBB185_381:
	s_wait_xcnt 0x0
	s_or_b32 exec_lo, exec_lo, s0
.LBB185_382:
	s_delay_alu instid0(SALU_CYCLE_1)
	s_or_b32 exec_lo, exec_lo, s20
	s_wait_dscnt 0x0
	s_set_pc_i64 s[30:31]
.Lfunc_end185:
	.size	_ZN7rocprim17ROCPRIM_400000_NS6detail40segmented_radix_sort_single_block_helperIhlLj256ELj17ELb0EE4sortIPKhPhPKlPlEEbT_T0_T1_T2_jjjjRNS3_12storage_typeE, .Lfunc_end185-_ZN7rocprim17ROCPRIM_400000_NS6detail40segmented_radix_sort_single_block_helperIhlLj256ELj17ELb0EE4sortIPKhPhPKlPlEEbT_T0_T1_T2_jjjjRNS3_12storage_typeE
                                        ; -- End function
	.set .L_ZN7rocprim17ROCPRIM_400000_NS6detail40segmented_radix_sort_single_block_helperIhlLj256ELj17ELb0EE4sortIPKhPhPKlPlEEbT_T0_T1_T2_jjjjRNS3_12storage_typeE.num_vgpr, 319
	.set .L_ZN7rocprim17ROCPRIM_400000_NS6detail40segmented_radix_sort_single_block_helperIhlLj256ELj17ELb0EE4sortIPKhPhPKlPlEEbT_T0_T1_T2_jjjjRNS3_12storage_typeE.num_agpr, 0
	.set .L_ZN7rocprim17ROCPRIM_400000_NS6detail40segmented_radix_sort_single_block_helperIhlLj256ELj17ELb0EE4sortIPKhPhPKlPlEEbT_T0_T1_T2_jjjjRNS3_12storage_typeE.numbered_sgpr, 32
	.set .L_ZN7rocprim17ROCPRIM_400000_NS6detail40segmented_radix_sort_single_block_helperIhlLj256ELj17ELb0EE4sortIPKhPhPKlPlEEbT_T0_T1_T2_jjjjRNS3_12storage_typeE.num_named_barrier, 0
	.set .L_ZN7rocprim17ROCPRIM_400000_NS6detail40segmented_radix_sort_single_block_helperIhlLj256ELj17ELb0EE4sortIPKhPhPKlPlEEbT_T0_T1_T2_jjjjRNS3_12storage_typeE.private_seg_size, 0
	.set .L_ZN7rocprim17ROCPRIM_400000_NS6detail40segmented_radix_sort_single_block_helperIhlLj256ELj17ELb0EE4sortIPKhPhPKlPlEEbT_T0_T1_T2_jjjjRNS3_12storage_typeE.uses_vcc, 1
	.set .L_ZN7rocprim17ROCPRIM_400000_NS6detail40segmented_radix_sort_single_block_helperIhlLj256ELj17ELb0EE4sortIPKhPhPKlPlEEbT_T0_T1_T2_jjjjRNS3_12storage_typeE.uses_flat_scratch, 0
	.set .L_ZN7rocprim17ROCPRIM_400000_NS6detail40segmented_radix_sort_single_block_helperIhlLj256ELj17ELb0EE4sortIPKhPhPKlPlEEbT_T0_T1_T2_jjjjRNS3_12storage_typeE.has_dyn_sized_stack, 0
	.set .L_ZN7rocprim17ROCPRIM_400000_NS6detail40segmented_radix_sort_single_block_helperIhlLj256ELj17ELb0EE4sortIPKhPhPKlPlEEbT_T0_T1_T2_jjjjRNS3_12storage_typeE.has_recursion, 0
	.set .L_ZN7rocprim17ROCPRIM_400000_NS6detail40segmented_radix_sort_single_block_helperIhlLj256ELj17ELb0EE4sortIPKhPhPKlPlEEbT_T0_T1_T2_jjjjRNS3_12storage_typeE.has_indirect_call, 0
	.section	.AMDGPU.csdata,"",@progbits
; Function info:
; codeLenInByte = 30892
; TotalNumSgprs: 34
; NumVgprs: 319
; ScratchSize: 0
; MemoryBound: 1
	.section	.text._ZN7rocprim17ROCPRIM_400000_NS6detail17trampoline_kernelINS0_14default_configENS1_36segmented_radix_sort_config_selectorIhlEEZNS1_25segmented_radix_sort_implIS3_Lb0EPKhPhPKlPlN2at6native12_GLOBAL__N_18offset_tEEE10hipError_tPvRmT1_PNSt15iterator_traitsISK_E10value_typeET2_T3_PNSL_ISQ_E10value_typeET4_jRbjT5_SW_jjP12ihipStream_tbEUlT_E_NS1_11comp_targetILNS1_3genE0ELNS1_11target_archE4294967295ELNS1_3gpuE0ELNS1_3repE0EEENS1_30default_config_static_selectorELNS0_4arch9wavefront6targetE0EEEvSK_,"axG",@progbits,_ZN7rocprim17ROCPRIM_400000_NS6detail17trampoline_kernelINS0_14default_configENS1_36segmented_radix_sort_config_selectorIhlEEZNS1_25segmented_radix_sort_implIS3_Lb0EPKhPhPKlPlN2at6native12_GLOBAL__N_18offset_tEEE10hipError_tPvRmT1_PNSt15iterator_traitsISK_E10value_typeET2_T3_PNSL_ISQ_E10value_typeET4_jRbjT5_SW_jjP12ihipStream_tbEUlT_E_NS1_11comp_targetILNS1_3genE0ELNS1_11target_archE4294967295ELNS1_3gpuE0ELNS1_3repE0EEENS1_30default_config_static_selectorELNS0_4arch9wavefront6targetE0EEEvSK_,comdat
	.globl	_ZN7rocprim17ROCPRIM_400000_NS6detail17trampoline_kernelINS0_14default_configENS1_36segmented_radix_sort_config_selectorIhlEEZNS1_25segmented_radix_sort_implIS3_Lb0EPKhPhPKlPlN2at6native12_GLOBAL__N_18offset_tEEE10hipError_tPvRmT1_PNSt15iterator_traitsISK_E10value_typeET2_T3_PNSL_ISQ_E10value_typeET4_jRbjT5_SW_jjP12ihipStream_tbEUlT_E_NS1_11comp_targetILNS1_3genE0ELNS1_11target_archE4294967295ELNS1_3gpuE0ELNS1_3repE0EEENS1_30default_config_static_selectorELNS0_4arch9wavefront6targetE0EEEvSK_ ; -- Begin function _ZN7rocprim17ROCPRIM_400000_NS6detail17trampoline_kernelINS0_14default_configENS1_36segmented_radix_sort_config_selectorIhlEEZNS1_25segmented_radix_sort_implIS3_Lb0EPKhPhPKlPlN2at6native12_GLOBAL__N_18offset_tEEE10hipError_tPvRmT1_PNSt15iterator_traitsISK_E10value_typeET2_T3_PNSL_ISQ_E10value_typeET4_jRbjT5_SW_jjP12ihipStream_tbEUlT_E_NS1_11comp_targetILNS1_3genE0ELNS1_11target_archE4294967295ELNS1_3gpuE0ELNS1_3repE0EEENS1_30default_config_static_selectorELNS0_4arch9wavefront6targetE0EEEvSK_
	.p2align	8
	.type	_ZN7rocprim17ROCPRIM_400000_NS6detail17trampoline_kernelINS0_14default_configENS1_36segmented_radix_sort_config_selectorIhlEEZNS1_25segmented_radix_sort_implIS3_Lb0EPKhPhPKlPlN2at6native12_GLOBAL__N_18offset_tEEE10hipError_tPvRmT1_PNSt15iterator_traitsISK_E10value_typeET2_T3_PNSL_ISQ_E10value_typeET4_jRbjT5_SW_jjP12ihipStream_tbEUlT_E_NS1_11comp_targetILNS1_3genE0ELNS1_11target_archE4294967295ELNS1_3gpuE0ELNS1_3repE0EEENS1_30default_config_static_selectorELNS0_4arch9wavefront6targetE0EEEvSK_,@function
_ZN7rocprim17ROCPRIM_400000_NS6detail17trampoline_kernelINS0_14default_configENS1_36segmented_radix_sort_config_selectorIhlEEZNS1_25segmented_radix_sort_implIS3_Lb0EPKhPhPKlPlN2at6native12_GLOBAL__N_18offset_tEEE10hipError_tPvRmT1_PNSt15iterator_traitsISK_E10value_typeET2_T3_PNSL_ISQ_E10value_typeET4_jRbjT5_SW_jjP12ihipStream_tbEUlT_E_NS1_11comp_targetILNS1_3genE0ELNS1_11target_archE4294967295ELNS1_3gpuE0ELNS1_3repE0EEENS1_30default_config_static_selectorELNS0_4arch9wavefront6targetE0EEEvSK_: ; @_ZN7rocprim17ROCPRIM_400000_NS6detail17trampoline_kernelINS0_14default_configENS1_36segmented_radix_sort_config_selectorIhlEEZNS1_25segmented_radix_sort_implIS3_Lb0EPKhPhPKlPlN2at6native12_GLOBAL__N_18offset_tEEE10hipError_tPvRmT1_PNSt15iterator_traitsISK_E10value_typeET2_T3_PNSL_ISQ_E10value_typeET4_jRbjT5_SW_jjP12ihipStream_tbEUlT_E_NS1_11comp_targetILNS1_3genE0ELNS1_11target_archE4294967295ELNS1_3gpuE0ELNS1_3repE0EEENS1_30default_config_static_selectorELNS0_4arch9wavefront6targetE0EEEvSK_
; %bb.0:
	s_load_b64 s[8:9], s[2:3], 0x38
	s_bfe_u32 s4, ttmp6, 0x4000c
	s_and_b32 s5, ttmp6, 15
	s_add_co_i32 s4, s4, 1
	s_getreg_b32 s25, hwreg(HW_REG_IB_STS2, 6, 4)
	s_mul_i32 s4, ttmp9, s4
	s_mov_b32 s32, 0
	s_add_co_i32 s5, s5, s4
	s_cmp_eq_u32 s25, 0
	s_cselect_b32 s51, ttmp9, s5
	s_load_b128 s[4:7], s[2:3], 0x40
	s_wait_kmcnt 0x0
	s_load_b32 s10, s[8:9], s51 offset:0x0 scale_offset
	s_wait_kmcnt 0x0
	s_add_co_i32 s54, s10, s7
	s_add_co_i32 s55, s10, s5
	s_mul_i32 s54, s54, s6
	s_mul_i32 s55, s55, s4
	s_delay_alu instid0(SALU_CYCLE_1)
	s_cmp_le_u32 s54, s55
	s_cbranch_scc1 .LBB186_1254
; %bb.1:
	s_clause 0x3
	s_load_b32 s4, s[2:3], 0x30
	s_load_b128 s[44:47], s[2:3], 0x20
	s_load_b96 s[48:50], s[2:3], 0x50
	s_load_b256 s[36:43], s[2:3], 0x0
	s_wait_kmcnt 0x0
	s_bitcmp1_b32 s4, 0
	s_mov_b32 s4, -1
	s_cselect_b32 s56, -1, 0
	s_sub_co_i32 s57, s54, s55
	s_delay_alu instid0(SALU_CYCLE_1)
	s_cmp_lt_u32 s57, 0x1101
	s_cbranch_scc0 .LBB186_7
; %bb.2:
	v_cndmask_b32_e64 v1, 0, 1, s56
	s_and_b32 s4, s48, 1
	s_get_pc_i64 s[26:27]
	s_add_nc_u64 s[26:27], s[26:27], _ZN7rocprim17ROCPRIM_400000_NS6detail40segmented_radix_sort_single_block_helperIhlLj256ELj17ELb0EE4sortIPKhPhPKlPlEEbT_T0_T1_T2_jjjjRNS3_12storage_typeE@rel64+4
	s_delay_alu instid0(VALU_DEP_1)
	v_cmp_ne_u32_e32 vcc_lo, s4, v1
	s_mov_b32 s4, -1
	s_cbranch_vccnz .LBB186_4
; %bb.3:
	s_mov_b64 s[4:5], src_shared_base
	v_dual_mov_b32 v31, v0 :: v_dual_mov_b32 v40, v0
	v_dual_mov_b32 v0, s36 :: v_dual_mov_b32 v1, s37
	;; [unrolled: 1-line block ×8, first 2 shown]
	s_add_nc_u64 s[8:9], s[2:3], 0x60
	s_mov_b64 s[6:7], s[0:1]
	s_mov_b64 s[28:29], s[2:3]
	;; [unrolled: 1-line block ×3, first 2 shown]
	s_swap_pc_i64 s[30:31], s[26:27]
	v_mov_b32_e32 v0, v40
	s_mov_b64 s[0:1], s[34:35]
	s_mov_b64 s[2:3], s[28:29]
	s_mov_b32 s4, 0
.LBB186_4:
	s_delay_alu instid0(SALU_CYCLE_1)
	s_and_not1_b32 vcc_lo, exec_lo, s4
	s_cbranch_vccnz .LBB186_6
; %bb.5:
	s_mov_b64 s[4:5], src_shared_base
	v_dual_mov_b32 v31, v0 :: v_dual_mov_b32 v40, v0
	v_dual_mov_b32 v0, s36 :: v_dual_mov_b32 v1, s37
	;; [unrolled: 1-line block ×8, first 2 shown]
	s_add_nc_u64 s[8:9], s[2:3], 0x60
	s_mov_b64 s[6:7], s[0:1]
	s_mov_b64 s[28:29], s[2:3]
	s_swap_pc_i64 s[30:31], s[26:27]
	v_mov_b32_e32 v0, v40
	s_mov_b64 s[2:3], s[28:29]
.LBB186_6:
	s_mov_b32 s4, 0
.LBB186_7:
	s_delay_alu instid0(SALU_CYCLE_1)
	s_and_not1_b32 vcc_lo, exec_lo, s4
	s_cbranch_vccnz .LBB186_1254
; %bb.8:
	s_cmp_ge_u32 s49, s50
	s_cbranch_scc1 .LBB186_1254
; %bb.9:
	v_dual_mov_b32 v1, 0 :: v_dual_bitop2_b32 v6, 3, v0 bitop3:0x40
	v_and_b32_e32 v2, 0x3ff, v0
	v_and_b32_e32 v8, 0xe0, v0
	s_bfe_u32 s6, ttmp6, 0x40010
	s_delay_alu instid0(VALU_DEP_3)
	v_mov_b32_e32 v3, v1
	v_bfe_u32 v89, v0, 20, 10
	v_lshlrev_b32_e32 v66, 2, v2
	v_min_u32_e32 v7, 0x60, v8
	v_dual_lshrrev_b32 v9, 3, v0 :: v_dual_lshlrev_b32 v84, 2, v6
	v_mul_u32_u24_e32 v6, 17, v8
	s_delay_alu instid0(VALU_DEP_4) | instskip(NEXT) | instid1(VALU_DEP_4)
	v_mad_u32_u24 v85, v2, 12, v66
	v_or_b32_e32 v7, 31, v7
	s_delay_alu instid0(VALU_DEP_4) | instskip(SKIP_1) | instid1(VALU_DEP_4)
	v_and_b32_e32 v83, 28, v9
	v_dual_lshlrev_b32 v9, 4, v2 :: v_dual_bitop2_b32 v8, 31, v8 bitop3:0x54
	v_add_nc_u32_e32 v90, v85, v66
	s_delay_alu instid0(VALU_DEP_4) | instskip(NEXT) | instid1(VALU_DEP_4)
	v_cmp_eq_u32_e64 s1, v2, v7
	v_dual_mov_b32 v7, v1 :: v_dual_add_nc_u32 v88, 0x89fc, v83
	s_add_nc_u64 s[52:53], s[2:3], 0x60
	v_bfe_u32 v91, v0, 10, 10
	v_cmp_eq_u32_e64 s2, v2, v8
	v_dual_add_nc_u32 v8, 1, v2 :: v_dual_sub_nc_u32 v92, v90, v9
	v_lshlrev_b32_e32 v0, 3, v6
	s_add_co_i32 s6, s6, 1
	s_bfe_u32 s7, ttmp6, 0x40004
	s_mul_i32 s6, ttmp7, s6
	v_add_nc_u64_e32 v[4:5], s[40:41], v[2:3]
	s_add_co_i32 s8, s7, s6
	v_mul_u32_u24_e32 v93, 36, v8
	v_cmp_ne_u32_e64 s7, 0x80, v8
	v_add_nc_u64_e32 v[8:9], s[46:47], v[0:1]
	v_add_nc_u64_e32 v[10:11], s[40:41], v[6:7]
	;; [unrolled: 1-line block ×8, first 2 shown]
	v_or_b32_e32 v67, 0x100, v2
	v_or_b32_e32 v68, 0x200, v2
	;; [unrolled: 1-line block ×16, first 2 shown]
	v_cmp_gt_u32_e64 s0, 0x80, v2
	v_or_b32_e32 v86, 0x8a00, v83
	v_cmp_gt_u32_e64 s4, 4, v2
	v_add_nc_u32_e32 v87, 0x8a00, v66
	v_cmp_lt_u32_e64 s5, 31, v2
	v_cmp_gt_u32_e64 s3, 8, v2
	v_cmp_eq_u32_e64 s6, 0, v2
	v_dual_mov_b32 v7, 1 :: v_dual_lshlrev_b32 v94, 5, v2
	v_mul_u32_u24_e32 v95, 7, v2
	v_mbcnt_lo_u32_b32 v0, -1, 0
	s_cmp_eq_u32 s25, 0
	s_mov_b32 s35, 0
	s_cselect_b32 s42, ttmp7, s8
	s_mov_b32 s43, s49
	s_branch .LBB186_12
.LBB186_10:                             ;   in Loop: Header=BB186_12 Depth=1
	s_wait_dscnt 0x0
	s_barrier_signal -1
	s_barrier_wait -1
.LBB186_11:                             ;   in Loop: Header=BB186_12 Depth=1
	s_add_co_i32 s43, s43, 7
	s_delay_alu instid0(SALU_CYCLE_1)
	s_cmp_ge_u32 s43, s50
	s_cbranch_scc1 .LBB186_1254
.LBB186_12:                             ; =>This Loop Header: Depth=1
                                        ;     Child Loop BB186_16 Depth 2
                                        ;     Child Loop BB186_100 Depth 2
	;; [unrolled: 1-line block ×8, first 2 shown]
	s_sub_co_i32 s8, s50, s43
	s_xor_b32 s56, s56, -1
	s_min_u32 s8, s8, 7
	ds_store_2addr_stride64_b32 v66, v1, v1 offset1:4
	s_lshl_b32 s8, -1, s8
	s_wait_storecnt_dscnt 0x0
	s_not_b32 s48, s8
	s_cmp_lg_u32 s43, s49
	s_mov_b32 s8, -1
	s_cbranch_scc0 .LBB186_634
; %bb.13:                               ;   in Loop: Header=BB186_12 Depth=1
	s_and_b32 vcc_lo, exec_lo, s56
	s_cbranch_vccz .LBB186_323
; %bb.14:                               ;   in Loop: Header=BB186_12 Depth=1
	v_dual_mov_b32 v39, 0 :: v_dual_mov_b32 v42, 0
	v_dual_mov_b32 v41, 0 :: v_dual_mov_b32 v40, 0
	;; [unrolled: 1-line block ×8, first 2 shown]
	v_mov_b32_e32 v26, 0
	s_mov_b32 s8, s57
	s_mov_b32 s34, s55
	s_barrier_signal -1
	s_barrier_wait -1
	s_branch .LBB186_16
.LBB186_15:                             ;   in Loop: Header=BB186_16 Depth=2
	s_or_b32 exec_lo, exec_lo, s10
	s_addk_co_i32 s8, 0xef00
	s_cmp_ge_u32 s9, s54
	s_mov_b32 s34, s9
	s_cbranch_scc1 .LBB186_88
.LBB186_16:                             ;   Parent Loop BB186_12 Depth=1
                                        ; =>  This Inner Loop Header: Depth=2
	s_add_co_i32 s9, s34, 0x1100
	s_mov_b32 s10, -1
	s_cmp_gt_u32 s9, s54
                                        ; implicit-def: $vgpr24
                                        ; implicit-def: $vgpr25
                                        ; implicit-def: $vgpr43
                                        ; implicit-def: $vgpr44
                                        ; implicit-def: $vgpr45
                                        ; implicit-def: $vgpr46
                                        ; implicit-def: $vgpr47
                                        ; implicit-def: $vgpr48
                                        ; implicit-def: $vgpr49
                                        ; implicit-def: $vgpr50
                                        ; implicit-def: $vgpr51
                                        ; implicit-def: $vgpr52
                                        ; implicit-def: $vgpr53
                                        ; implicit-def: $vgpr54
                                        ; implicit-def: $vgpr55
                                        ; implicit-def: $vgpr56
                                        ; implicit-def: $vgpr57
	s_cbranch_scc1 .LBB186_18
; %bb.17:                               ;   in Loop: Header=BB186_16 Depth=2
	v_add_nc_u64_e32 v[58:59], s[34:35], v[4:5]
	s_mov_b32 s10, 0
	s_clause 0x10
	global_load_u8 v57, v[58:59], off offset:4096
	global_load_u8 v56, v[58:59], off offset:3840
	;; [unrolled: 1-line block ×16, first 2 shown]
	global_load_u8 v24, v[58:59], off
.LBB186_18:                             ;   in Loop: Header=BB186_16 Depth=2
	s_and_not1_b32 vcc_lo, exec_lo, s10
	s_movk_i32 s10, 0x1100
	s_cbranch_vccnz .LBB186_38
; %bb.19:                               ;   in Loop: Header=BB186_16 Depth=2
	s_add_nc_u64 s[10:11], s[40:41], s[34:35]
	s_wait_loadcnt 0x0
	v_add_nc_u64_e32 v[24:25], s[10:11], v[2:3]
	s_mov_b32 s10, exec_lo
	s_wait_xcnt 0x0
	v_cmpx_gt_u32_e64 s8, v2
	s_cbranch_execnz .LBB186_72
; %bb.20:                               ;   in Loop: Header=BB186_16 Depth=2
	s_or_b32 exec_lo, exec_lo, s10
	s_delay_alu instid0(SALU_CYCLE_1)
	s_mov_b32 s10, exec_lo
	v_cmpx_gt_u32_e64 s8, v67
	s_cbranch_execnz .LBB186_73
.LBB186_21:                             ;   in Loop: Header=BB186_16 Depth=2
	s_or_b32 exec_lo, exec_lo, s10
	s_delay_alu instid0(SALU_CYCLE_1)
	s_mov_b32 s10, exec_lo
	v_cmpx_gt_u32_e64 s8, v68
	s_cbranch_execnz .LBB186_74
.LBB186_22:                             ;   in Loop: Header=BB186_16 Depth=2
	s_or_b32 exec_lo, exec_lo, s10
	s_delay_alu instid0(SALU_CYCLE_1)
	s_mov_b32 s10, exec_lo
	v_cmpx_gt_u32_e64 s8, v69
	s_cbranch_execnz .LBB186_75
.LBB186_23:                             ;   in Loop: Header=BB186_16 Depth=2
	s_or_b32 exec_lo, exec_lo, s10
	s_delay_alu instid0(SALU_CYCLE_1)
	s_mov_b32 s10, exec_lo
	v_cmpx_gt_u32_e64 s8, v70
	s_cbranch_execnz .LBB186_76
.LBB186_24:                             ;   in Loop: Header=BB186_16 Depth=2
	s_or_b32 exec_lo, exec_lo, s10
	s_delay_alu instid0(SALU_CYCLE_1)
	s_mov_b32 s10, exec_lo
	v_cmpx_gt_u32_e64 s8, v71
	s_cbranch_execnz .LBB186_77
.LBB186_25:                             ;   in Loop: Header=BB186_16 Depth=2
	s_or_b32 exec_lo, exec_lo, s10
	s_delay_alu instid0(SALU_CYCLE_1)
	s_mov_b32 s10, exec_lo
	v_cmpx_gt_u32_e64 s8, v72
	s_cbranch_execnz .LBB186_78
.LBB186_26:                             ;   in Loop: Header=BB186_16 Depth=2
	s_or_b32 exec_lo, exec_lo, s10
	s_delay_alu instid0(SALU_CYCLE_1)
	s_mov_b32 s10, exec_lo
	v_cmpx_gt_u32_e64 s8, v73
	s_cbranch_execnz .LBB186_79
.LBB186_27:                             ;   in Loop: Header=BB186_16 Depth=2
	s_or_b32 exec_lo, exec_lo, s10
	s_delay_alu instid0(SALU_CYCLE_1)
	s_mov_b32 s10, exec_lo
	v_cmpx_gt_u32_e64 s8, v74
	s_cbranch_execnz .LBB186_80
.LBB186_28:                             ;   in Loop: Header=BB186_16 Depth=2
	s_or_b32 exec_lo, exec_lo, s10
	s_delay_alu instid0(SALU_CYCLE_1)
	s_mov_b32 s10, exec_lo
	v_cmpx_gt_u32_e64 s8, v75
	s_cbranch_execnz .LBB186_81
.LBB186_29:                             ;   in Loop: Header=BB186_16 Depth=2
	s_or_b32 exec_lo, exec_lo, s10
	s_delay_alu instid0(SALU_CYCLE_1)
	s_mov_b32 s10, exec_lo
	v_cmpx_gt_u32_e64 s8, v76
	s_cbranch_execnz .LBB186_82
.LBB186_30:                             ;   in Loop: Header=BB186_16 Depth=2
	s_or_b32 exec_lo, exec_lo, s10
	s_delay_alu instid0(SALU_CYCLE_1)
	s_mov_b32 s10, exec_lo
	v_cmpx_gt_u32_e64 s8, v77
	s_cbranch_execnz .LBB186_83
.LBB186_31:                             ;   in Loop: Header=BB186_16 Depth=2
	s_or_b32 exec_lo, exec_lo, s10
	s_delay_alu instid0(SALU_CYCLE_1)
	s_mov_b32 s10, exec_lo
	v_cmpx_gt_u32_e64 s8, v78
	s_cbranch_execnz .LBB186_84
.LBB186_32:                             ;   in Loop: Header=BB186_16 Depth=2
	s_or_b32 exec_lo, exec_lo, s10
	s_delay_alu instid0(SALU_CYCLE_1)
	s_mov_b32 s10, exec_lo
	v_cmpx_gt_u32_e64 s8, v79
	s_cbranch_execnz .LBB186_85
.LBB186_33:                             ;   in Loop: Header=BB186_16 Depth=2
	s_or_b32 exec_lo, exec_lo, s10
	s_delay_alu instid0(SALU_CYCLE_1)
	s_mov_b32 s10, exec_lo
	v_cmpx_gt_u32_e64 s8, v80
	s_cbranch_execnz .LBB186_86
.LBB186_34:                             ;   in Loop: Header=BB186_16 Depth=2
	s_or_b32 exec_lo, exec_lo, s10
	s_delay_alu instid0(SALU_CYCLE_1)
	s_mov_b32 s10, exec_lo
	v_cmpx_gt_u32_e64 s8, v81
	s_cbranch_execnz .LBB186_87
.LBB186_35:                             ;   in Loop: Header=BB186_16 Depth=2
	s_or_b32 exec_lo, exec_lo, s10
	s_delay_alu instid0(SALU_CYCLE_1)
	s_mov_b32 s10, exec_lo
	v_cmpx_gt_u32_e64 s8, v82
	s_cbranch_execz .LBB186_37
.LBB186_36:                             ;   in Loop: Header=BB186_16 Depth=2
	global_load_u8 v26, v[24:25], off offset:4096
.LBB186_37:                             ;   in Loop: Header=BB186_16 Depth=2
	s_wait_xcnt 0x0
	s_or_b32 exec_lo, exec_lo, s10
	s_wait_loadcnt 0x0
	v_dual_mov_b32 v24, v39 :: v_dual_mov_b32 v25, v42
	v_dual_mov_b32 v43, v41 :: v_dual_mov_b32 v44, v40
	;; [unrolled: 1-line block ×8, first 2 shown]
	v_mov_b32_e32 v57, v26
	s_mov_b32 s10, s8
.LBB186_38:                             ;   in Loop: Header=BB186_16 Depth=2
	s_wait_loadcnt 0xf
	s_delay_alu instid0(VALU_DEP_1)
	v_dual_mov_b32 v26, v57 :: v_dual_mov_b32 v27, v56
	s_wait_loadcnt 0xd
	v_dual_mov_b32 v28, v55 :: v_dual_mov_b32 v29, v54
	s_wait_loadcnt 0xb
	;; [unrolled: 2-line block ×8, first 2 shown]
	v_mov_b32_e32 v39, v24
	s_mov_b32 s11, exec_lo
	s_wait_xcnt 0x0
	v_cmpx_gt_u32_e64 s10, v2
	s_cbranch_execnz .LBB186_55
; %bb.39:                               ;   in Loop: Header=BB186_16 Depth=2
	s_or_b32 exec_lo, exec_lo, s11
	s_delay_alu instid0(SALU_CYCLE_1)
	s_mov_b32 s11, exec_lo
	v_cmpx_gt_u32_e64 s10, v67
	s_cbranch_execnz .LBB186_56
.LBB186_40:                             ;   in Loop: Header=BB186_16 Depth=2
	s_or_b32 exec_lo, exec_lo, s11
	s_delay_alu instid0(SALU_CYCLE_1)
	s_mov_b32 s11, exec_lo
	v_cmpx_gt_u32_e64 s10, v68
	s_cbranch_execnz .LBB186_57
.LBB186_41:                             ;   in Loop: Header=BB186_16 Depth=2
	s_or_b32 exec_lo, exec_lo, s11
	s_delay_alu instid0(SALU_CYCLE_1)
	s_mov_b32 s11, exec_lo
	v_cmpx_gt_u32_e64 s10, v69
	s_cbranch_execnz .LBB186_58
.LBB186_42:                             ;   in Loop: Header=BB186_16 Depth=2
	s_or_b32 exec_lo, exec_lo, s11
	s_delay_alu instid0(SALU_CYCLE_1)
	s_mov_b32 s11, exec_lo
	v_cmpx_gt_u32_e64 s10, v70
	s_cbranch_execnz .LBB186_59
.LBB186_43:                             ;   in Loop: Header=BB186_16 Depth=2
	s_or_b32 exec_lo, exec_lo, s11
	s_delay_alu instid0(SALU_CYCLE_1)
	s_mov_b32 s11, exec_lo
	v_cmpx_gt_u32_e64 s10, v71
	s_cbranch_execnz .LBB186_60
.LBB186_44:                             ;   in Loop: Header=BB186_16 Depth=2
	s_or_b32 exec_lo, exec_lo, s11
	s_delay_alu instid0(SALU_CYCLE_1)
	s_mov_b32 s11, exec_lo
	v_cmpx_gt_u32_e64 s10, v72
	s_cbranch_execnz .LBB186_61
.LBB186_45:                             ;   in Loop: Header=BB186_16 Depth=2
	s_or_b32 exec_lo, exec_lo, s11
	s_delay_alu instid0(SALU_CYCLE_1)
	s_mov_b32 s11, exec_lo
	v_cmpx_gt_u32_e64 s10, v73
	s_cbranch_execnz .LBB186_62
.LBB186_46:                             ;   in Loop: Header=BB186_16 Depth=2
	s_or_b32 exec_lo, exec_lo, s11
	s_delay_alu instid0(SALU_CYCLE_1)
	s_mov_b32 s11, exec_lo
	v_cmpx_gt_u32_e64 s10, v74
	s_cbranch_execnz .LBB186_63
.LBB186_47:                             ;   in Loop: Header=BB186_16 Depth=2
	s_or_b32 exec_lo, exec_lo, s11
	s_delay_alu instid0(SALU_CYCLE_1)
	s_mov_b32 s11, exec_lo
	v_cmpx_gt_u32_e64 s10, v75
	s_cbranch_execnz .LBB186_64
.LBB186_48:                             ;   in Loop: Header=BB186_16 Depth=2
	s_or_b32 exec_lo, exec_lo, s11
	s_delay_alu instid0(SALU_CYCLE_1)
	s_mov_b32 s11, exec_lo
	v_cmpx_gt_u32_e64 s10, v76
	s_cbranch_execnz .LBB186_65
.LBB186_49:                             ;   in Loop: Header=BB186_16 Depth=2
	s_or_b32 exec_lo, exec_lo, s11
	s_delay_alu instid0(SALU_CYCLE_1)
	s_mov_b32 s11, exec_lo
	v_cmpx_gt_u32_e64 s10, v77
	s_cbranch_execnz .LBB186_66
.LBB186_50:                             ;   in Loop: Header=BB186_16 Depth=2
	s_or_b32 exec_lo, exec_lo, s11
	s_delay_alu instid0(SALU_CYCLE_1)
	s_mov_b32 s11, exec_lo
	v_cmpx_gt_u32_e64 s10, v78
	s_cbranch_execnz .LBB186_67
.LBB186_51:                             ;   in Loop: Header=BB186_16 Depth=2
	s_or_b32 exec_lo, exec_lo, s11
	s_delay_alu instid0(SALU_CYCLE_1)
	s_mov_b32 s11, exec_lo
	v_cmpx_gt_u32_e64 s10, v79
	s_cbranch_execnz .LBB186_68
.LBB186_52:                             ;   in Loop: Header=BB186_16 Depth=2
	s_or_b32 exec_lo, exec_lo, s11
	s_delay_alu instid0(SALU_CYCLE_1)
	s_mov_b32 s11, exec_lo
	v_cmpx_gt_u32_e64 s10, v80
	s_cbranch_execnz .LBB186_69
.LBB186_53:                             ;   in Loop: Header=BB186_16 Depth=2
	s_or_b32 exec_lo, exec_lo, s11
	s_delay_alu instid0(SALU_CYCLE_1)
	s_mov_b32 s11, exec_lo
	v_cmpx_gt_u32_e64 s10, v81
	s_cbranch_execnz .LBB186_70
.LBB186_54:                             ;   in Loop: Header=BB186_16 Depth=2
	s_or_b32 exec_lo, exec_lo, s11
	v_cmp_gt_u32_e32 vcc_lo, s10, v82
	s_and_saveexec_b32 s10, vcc_lo
	s_cbranch_execz .LBB186_15
	s_branch .LBB186_71
.LBB186_55:                             ;   in Loop: Header=BB186_16 Depth=2
	v_and_b32_e32 v24, 0xff, v39
	s_delay_alu instid0(VALU_DEP_1) | instskip(NEXT) | instid1(VALU_DEP_1)
	v_lshrrev_b32_e32 v24, s43, v24
	v_and_b32_e32 v24, s48, v24
	s_delay_alu instid0(VALU_DEP_1) | instskip(SKIP_2) | instid1(SALU_CYCLE_1)
	v_lshl_or_b32 v24, v24, 4, v84
	ds_add_u32 v24, v7
	s_or_b32 exec_lo, exec_lo, s11
	s_mov_b32 s11, exec_lo
	v_cmpx_gt_u32_e64 s10, v67
	s_cbranch_execz .LBB186_40
.LBB186_56:                             ;   in Loop: Header=BB186_16 Depth=2
	v_and_b32_e32 v24, 0xff, v42
	s_delay_alu instid0(VALU_DEP_1) | instskip(NEXT) | instid1(VALU_DEP_1)
	v_lshrrev_b32_e32 v24, s43, v24
	v_and_b32_e32 v24, s48, v24
	s_delay_alu instid0(VALU_DEP_1) | instskip(SKIP_2) | instid1(SALU_CYCLE_1)
	v_lshl_or_b32 v24, v24, 4, v84
	ds_add_u32 v24, v7
	s_or_b32 exec_lo, exec_lo, s11
	s_mov_b32 s11, exec_lo
	v_cmpx_gt_u32_e64 s10, v68
	s_cbranch_execz .LBB186_41
.LBB186_57:                             ;   in Loop: Header=BB186_16 Depth=2
	v_and_b32_e32 v24, 0xff, v41
	s_delay_alu instid0(VALU_DEP_1) | instskip(NEXT) | instid1(VALU_DEP_1)
	v_lshrrev_b32_e32 v24, s43, v24
	v_and_b32_e32 v24, s48, v24
	s_delay_alu instid0(VALU_DEP_1) | instskip(SKIP_2) | instid1(SALU_CYCLE_1)
	v_lshl_or_b32 v24, v24, 4, v84
	ds_add_u32 v24, v7
	s_or_b32 exec_lo, exec_lo, s11
	s_mov_b32 s11, exec_lo
	v_cmpx_gt_u32_e64 s10, v69
	s_cbranch_execz .LBB186_42
.LBB186_58:                             ;   in Loop: Header=BB186_16 Depth=2
	v_and_b32_e32 v24, 0xff, v40
	s_delay_alu instid0(VALU_DEP_1) | instskip(NEXT) | instid1(VALU_DEP_1)
	v_lshrrev_b32_e32 v24, s43, v24
	v_and_b32_e32 v24, s48, v24
	s_delay_alu instid0(VALU_DEP_1) | instskip(SKIP_2) | instid1(SALU_CYCLE_1)
	v_lshl_or_b32 v24, v24, 4, v84
	ds_add_u32 v24, v7
	s_or_b32 exec_lo, exec_lo, s11
	s_mov_b32 s11, exec_lo
	v_cmpx_gt_u32_e64 s10, v70
	s_cbranch_execz .LBB186_43
.LBB186_59:                             ;   in Loop: Header=BB186_16 Depth=2
	v_and_b32_e32 v24, 0xff, v38
	s_delay_alu instid0(VALU_DEP_1) | instskip(NEXT) | instid1(VALU_DEP_1)
	v_lshrrev_b32_e32 v24, s43, v24
	v_and_b32_e32 v24, s48, v24
	s_delay_alu instid0(VALU_DEP_1) | instskip(SKIP_2) | instid1(SALU_CYCLE_1)
	v_lshl_or_b32 v24, v24, 4, v84
	ds_add_u32 v24, v7
	s_or_b32 exec_lo, exec_lo, s11
	s_mov_b32 s11, exec_lo
	v_cmpx_gt_u32_e64 s10, v71
	s_cbranch_execz .LBB186_44
.LBB186_60:                             ;   in Loop: Header=BB186_16 Depth=2
	v_and_b32_e32 v24, 0xff, v37
	s_delay_alu instid0(VALU_DEP_1) | instskip(NEXT) | instid1(VALU_DEP_1)
	v_lshrrev_b32_e32 v24, s43, v24
	v_and_b32_e32 v24, s48, v24
	s_delay_alu instid0(VALU_DEP_1) | instskip(SKIP_2) | instid1(SALU_CYCLE_1)
	v_lshl_or_b32 v24, v24, 4, v84
	ds_add_u32 v24, v7
	s_or_b32 exec_lo, exec_lo, s11
	s_mov_b32 s11, exec_lo
	v_cmpx_gt_u32_e64 s10, v72
	s_cbranch_execz .LBB186_45
.LBB186_61:                             ;   in Loop: Header=BB186_16 Depth=2
	v_and_b32_e32 v24, 0xff, v36
	s_delay_alu instid0(VALU_DEP_1) | instskip(NEXT) | instid1(VALU_DEP_1)
	v_lshrrev_b32_e32 v24, s43, v24
	v_and_b32_e32 v24, s48, v24
	s_delay_alu instid0(VALU_DEP_1) | instskip(SKIP_2) | instid1(SALU_CYCLE_1)
	v_lshl_or_b32 v24, v24, 4, v84
	ds_add_u32 v24, v7
	s_or_b32 exec_lo, exec_lo, s11
	s_mov_b32 s11, exec_lo
	v_cmpx_gt_u32_e64 s10, v73
	s_cbranch_execz .LBB186_46
.LBB186_62:                             ;   in Loop: Header=BB186_16 Depth=2
	v_and_b32_e32 v24, 0xff, v35
	s_delay_alu instid0(VALU_DEP_1) | instskip(NEXT) | instid1(VALU_DEP_1)
	v_lshrrev_b32_e32 v24, s43, v24
	v_and_b32_e32 v24, s48, v24
	s_delay_alu instid0(VALU_DEP_1) | instskip(SKIP_2) | instid1(SALU_CYCLE_1)
	v_lshl_or_b32 v24, v24, 4, v84
	ds_add_u32 v24, v7
	s_or_b32 exec_lo, exec_lo, s11
	s_mov_b32 s11, exec_lo
	v_cmpx_gt_u32_e64 s10, v74
	s_cbranch_execz .LBB186_47
.LBB186_63:                             ;   in Loop: Header=BB186_16 Depth=2
	v_and_b32_e32 v24, 0xff, v34
	s_delay_alu instid0(VALU_DEP_1) | instskip(NEXT) | instid1(VALU_DEP_1)
	v_lshrrev_b32_e32 v24, s43, v24
	v_and_b32_e32 v24, s48, v24
	s_delay_alu instid0(VALU_DEP_1) | instskip(SKIP_2) | instid1(SALU_CYCLE_1)
	v_lshl_or_b32 v24, v24, 4, v84
	ds_add_u32 v24, v7
	s_or_b32 exec_lo, exec_lo, s11
	s_mov_b32 s11, exec_lo
	v_cmpx_gt_u32_e64 s10, v75
	s_cbranch_execz .LBB186_48
.LBB186_64:                             ;   in Loop: Header=BB186_16 Depth=2
	v_and_b32_e32 v24, 0xff, v33
	s_delay_alu instid0(VALU_DEP_1) | instskip(NEXT) | instid1(VALU_DEP_1)
	v_lshrrev_b32_e32 v24, s43, v24
	v_and_b32_e32 v24, s48, v24
	s_delay_alu instid0(VALU_DEP_1) | instskip(SKIP_2) | instid1(SALU_CYCLE_1)
	v_lshl_or_b32 v24, v24, 4, v84
	ds_add_u32 v24, v7
	s_or_b32 exec_lo, exec_lo, s11
	s_mov_b32 s11, exec_lo
	v_cmpx_gt_u32_e64 s10, v76
	s_cbranch_execz .LBB186_49
.LBB186_65:                             ;   in Loop: Header=BB186_16 Depth=2
	v_and_b32_e32 v24, 0xff, v32
	s_delay_alu instid0(VALU_DEP_1) | instskip(NEXT) | instid1(VALU_DEP_1)
	v_lshrrev_b32_e32 v24, s43, v24
	v_and_b32_e32 v24, s48, v24
	s_delay_alu instid0(VALU_DEP_1) | instskip(SKIP_2) | instid1(SALU_CYCLE_1)
	v_lshl_or_b32 v24, v24, 4, v84
	ds_add_u32 v24, v7
	s_or_b32 exec_lo, exec_lo, s11
	s_mov_b32 s11, exec_lo
	v_cmpx_gt_u32_e64 s10, v77
	s_cbranch_execz .LBB186_50
.LBB186_66:                             ;   in Loop: Header=BB186_16 Depth=2
	v_and_b32_e32 v24, 0xff, v31
	s_delay_alu instid0(VALU_DEP_1) | instskip(NEXT) | instid1(VALU_DEP_1)
	v_lshrrev_b32_e32 v24, s43, v24
	v_and_b32_e32 v24, s48, v24
	s_delay_alu instid0(VALU_DEP_1) | instskip(SKIP_2) | instid1(SALU_CYCLE_1)
	v_lshl_or_b32 v24, v24, 4, v84
	ds_add_u32 v24, v7
	s_or_b32 exec_lo, exec_lo, s11
	s_mov_b32 s11, exec_lo
	v_cmpx_gt_u32_e64 s10, v78
	s_cbranch_execz .LBB186_51
.LBB186_67:                             ;   in Loop: Header=BB186_16 Depth=2
	v_and_b32_e32 v24, 0xff, v30
	s_delay_alu instid0(VALU_DEP_1) | instskip(NEXT) | instid1(VALU_DEP_1)
	v_lshrrev_b32_e32 v24, s43, v24
	v_and_b32_e32 v24, s48, v24
	s_delay_alu instid0(VALU_DEP_1) | instskip(SKIP_2) | instid1(SALU_CYCLE_1)
	v_lshl_or_b32 v24, v24, 4, v84
	ds_add_u32 v24, v7
	s_or_b32 exec_lo, exec_lo, s11
	s_mov_b32 s11, exec_lo
	v_cmpx_gt_u32_e64 s10, v79
	s_cbranch_execz .LBB186_52
.LBB186_68:                             ;   in Loop: Header=BB186_16 Depth=2
	v_and_b32_e32 v24, 0xff, v29
	s_delay_alu instid0(VALU_DEP_1) | instskip(NEXT) | instid1(VALU_DEP_1)
	v_lshrrev_b32_e32 v24, s43, v24
	v_and_b32_e32 v24, s48, v24
	s_delay_alu instid0(VALU_DEP_1) | instskip(SKIP_2) | instid1(SALU_CYCLE_1)
	v_lshl_or_b32 v24, v24, 4, v84
	ds_add_u32 v24, v7
	s_or_b32 exec_lo, exec_lo, s11
	s_mov_b32 s11, exec_lo
	v_cmpx_gt_u32_e64 s10, v80
	s_cbranch_execz .LBB186_53
.LBB186_69:                             ;   in Loop: Header=BB186_16 Depth=2
	v_and_b32_e32 v24, 0xff, v28
	s_delay_alu instid0(VALU_DEP_1) | instskip(NEXT) | instid1(VALU_DEP_1)
	v_lshrrev_b32_e32 v24, s43, v24
	v_and_b32_e32 v24, s48, v24
	s_delay_alu instid0(VALU_DEP_1) | instskip(SKIP_2) | instid1(SALU_CYCLE_1)
	v_lshl_or_b32 v24, v24, 4, v84
	ds_add_u32 v24, v7
	s_or_b32 exec_lo, exec_lo, s11
	s_mov_b32 s11, exec_lo
	v_cmpx_gt_u32_e64 s10, v81
	s_cbranch_execz .LBB186_54
.LBB186_70:                             ;   in Loop: Header=BB186_16 Depth=2
	v_and_b32_e32 v24, 0xff, v27
	s_delay_alu instid0(VALU_DEP_1) | instskip(NEXT) | instid1(VALU_DEP_1)
	v_lshrrev_b32_e32 v24, s43, v24
	v_and_b32_e32 v24, s48, v24
	s_delay_alu instid0(VALU_DEP_1)
	v_lshl_or_b32 v24, v24, 4, v84
	ds_add_u32 v24, v7
	s_or_b32 exec_lo, exec_lo, s11
	v_cmp_gt_u32_e32 vcc_lo, s10, v82
	s_and_saveexec_b32 s10, vcc_lo
	s_cbranch_execz .LBB186_15
.LBB186_71:                             ;   in Loop: Header=BB186_16 Depth=2
	v_and_b32_e32 v24, 0xff, v26
	s_delay_alu instid0(VALU_DEP_1) | instskip(NEXT) | instid1(VALU_DEP_1)
	v_lshrrev_b32_e32 v24, s43, v24
	v_and_b32_e32 v24, s48, v24
	s_delay_alu instid0(VALU_DEP_1)
	v_lshl_or_b32 v24, v24, 4, v84
	ds_add_u32 v24, v7
	s_branch .LBB186_15
.LBB186_72:                             ;   in Loop: Header=BB186_16 Depth=2
	global_load_u8 v39, v[24:25], off
	s_wait_xcnt 0x0
	s_or_b32 exec_lo, exec_lo, s10
	s_delay_alu instid0(SALU_CYCLE_1)
	s_mov_b32 s10, exec_lo
	v_cmpx_gt_u32_e64 s8, v67
	s_cbranch_execz .LBB186_21
.LBB186_73:                             ;   in Loop: Header=BB186_16 Depth=2
	global_load_u8 v42, v[24:25], off offset:256
	s_wait_xcnt 0x0
	s_or_b32 exec_lo, exec_lo, s10
	s_delay_alu instid0(SALU_CYCLE_1)
	s_mov_b32 s10, exec_lo
	v_cmpx_gt_u32_e64 s8, v68
	s_cbranch_execz .LBB186_22
.LBB186_74:                             ;   in Loop: Header=BB186_16 Depth=2
	global_load_u8 v41, v[24:25], off offset:512
	s_wait_xcnt 0x0
	s_or_b32 exec_lo, exec_lo, s10
	s_delay_alu instid0(SALU_CYCLE_1)
	s_mov_b32 s10, exec_lo
	v_cmpx_gt_u32_e64 s8, v69
	s_cbranch_execz .LBB186_23
.LBB186_75:                             ;   in Loop: Header=BB186_16 Depth=2
	global_load_u8 v40, v[24:25], off offset:768
	s_wait_xcnt 0x0
	s_or_b32 exec_lo, exec_lo, s10
	s_delay_alu instid0(SALU_CYCLE_1)
	s_mov_b32 s10, exec_lo
	v_cmpx_gt_u32_e64 s8, v70
	s_cbranch_execz .LBB186_24
.LBB186_76:                             ;   in Loop: Header=BB186_16 Depth=2
	global_load_u8 v38, v[24:25], off offset:1024
	s_wait_xcnt 0x0
	s_or_b32 exec_lo, exec_lo, s10
	s_delay_alu instid0(SALU_CYCLE_1)
	s_mov_b32 s10, exec_lo
	v_cmpx_gt_u32_e64 s8, v71
	s_cbranch_execz .LBB186_25
.LBB186_77:                             ;   in Loop: Header=BB186_16 Depth=2
	global_load_u8 v37, v[24:25], off offset:1280
	s_wait_xcnt 0x0
	s_or_b32 exec_lo, exec_lo, s10
	s_delay_alu instid0(SALU_CYCLE_1)
	s_mov_b32 s10, exec_lo
	v_cmpx_gt_u32_e64 s8, v72
	s_cbranch_execz .LBB186_26
.LBB186_78:                             ;   in Loop: Header=BB186_16 Depth=2
	global_load_u8 v36, v[24:25], off offset:1536
	s_wait_xcnt 0x0
	s_or_b32 exec_lo, exec_lo, s10
	s_delay_alu instid0(SALU_CYCLE_1)
	s_mov_b32 s10, exec_lo
	v_cmpx_gt_u32_e64 s8, v73
	s_cbranch_execz .LBB186_27
.LBB186_79:                             ;   in Loop: Header=BB186_16 Depth=2
	global_load_u8 v35, v[24:25], off offset:1792
	s_wait_xcnt 0x0
	s_or_b32 exec_lo, exec_lo, s10
	s_delay_alu instid0(SALU_CYCLE_1)
	s_mov_b32 s10, exec_lo
	v_cmpx_gt_u32_e64 s8, v74
	s_cbranch_execz .LBB186_28
.LBB186_80:                             ;   in Loop: Header=BB186_16 Depth=2
	global_load_u8 v34, v[24:25], off offset:2048
	s_wait_xcnt 0x0
	s_or_b32 exec_lo, exec_lo, s10
	s_delay_alu instid0(SALU_CYCLE_1)
	s_mov_b32 s10, exec_lo
	v_cmpx_gt_u32_e64 s8, v75
	s_cbranch_execz .LBB186_29
.LBB186_81:                             ;   in Loop: Header=BB186_16 Depth=2
	global_load_u8 v33, v[24:25], off offset:2304
	s_wait_xcnt 0x0
	s_or_b32 exec_lo, exec_lo, s10
	s_delay_alu instid0(SALU_CYCLE_1)
	s_mov_b32 s10, exec_lo
	v_cmpx_gt_u32_e64 s8, v76
	s_cbranch_execz .LBB186_30
.LBB186_82:                             ;   in Loop: Header=BB186_16 Depth=2
	global_load_u8 v32, v[24:25], off offset:2560
	s_wait_xcnt 0x0
	s_or_b32 exec_lo, exec_lo, s10
	s_delay_alu instid0(SALU_CYCLE_1)
	s_mov_b32 s10, exec_lo
	v_cmpx_gt_u32_e64 s8, v77
	s_cbranch_execz .LBB186_31
.LBB186_83:                             ;   in Loop: Header=BB186_16 Depth=2
	global_load_u8 v31, v[24:25], off offset:2816
	s_wait_xcnt 0x0
	s_or_b32 exec_lo, exec_lo, s10
	s_delay_alu instid0(SALU_CYCLE_1)
	s_mov_b32 s10, exec_lo
	v_cmpx_gt_u32_e64 s8, v78
	s_cbranch_execz .LBB186_32
.LBB186_84:                             ;   in Loop: Header=BB186_16 Depth=2
	global_load_u8 v30, v[24:25], off offset:3072
	s_wait_xcnt 0x0
	s_or_b32 exec_lo, exec_lo, s10
	s_delay_alu instid0(SALU_CYCLE_1)
	s_mov_b32 s10, exec_lo
	v_cmpx_gt_u32_e64 s8, v79
	s_cbranch_execz .LBB186_33
.LBB186_85:                             ;   in Loop: Header=BB186_16 Depth=2
	global_load_u8 v29, v[24:25], off offset:3328
	s_wait_xcnt 0x0
	s_or_b32 exec_lo, exec_lo, s10
	s_delay_alu instid0(SALU_CYCLE_1)
	s_mov_b32 s10, exec_lo
	v_cmpx_gt_u32_e64 s8, v80
	s_cbranch_execz .LBB186_34
.LBB186_86:                             ;   in Loop: Header=BB186_16 Depth=2
	global_load_u8 v28, v[24:25], off offset:3584
	s_wait_xcnt 0x0
	s_or_b32 exec_lo, exec_lo, s10
	s_delay_alu instid0(SALU_CYCLE_1)
	s_mov_b32 s10, exec_lo
	v_cmpx_gt_u32_e64 s8, v81
	s_cbranch_execz .LBB186_35
.LBB186_87:                             ;   in Loop: Header=BB186_16 Depth=2
	global_load_u8 v27, v[24:25], off offset:3840
	s_wait_xcnt 0x0
	s_or_b32 exec_lo, exec_lo, s10
	s_delay_alu instid0(SALU_CYCLE_1)
	s_mov_b32 s10, exec_lo
	v_cmpx_gt_u32_e64 s8, v82
	s_cbranch_execnz .LBB186_36
	s_branch .LBB186_37
.LBB186_88:                             ;   in Loop: Header=BB186_12 Depth=1
	v_mov_b32_e32 v24, 0
	s_wait_dscnt 0x0
	s_barrier_signal -1
	s_barrier_wait -1
	s_and_saveexec_b32 s8, s0
	s_cbranch_execz .LBB186_90
; %bb.89:                               ;   in Loop: Header=BB186_12 Depth=1
	ds_load_2addr_b64 v[24:27], v85 offset1:1
	s_wait_dscnt 0x0
	v_add_nc_u32_e32 v24, v25, v24
	s_delay_alu instid0(VALU_DEP_1)
	v_add3_u32 v24, v24, v26, v27
.LBB186_90:                             ;   in Loop: Header=BB186_12 Depth=1
	s_or_b32 exec_lo, exec_lo, s8
	v_and_b32_e32 v25, 15, v0
	s_delay_alu instid0(VALU_DEP_2) | instskip(SKIP_1) | instid1(VALU_DEP_3)
	v_mov_b32_dpp v26, v24 row_shr:1 row_mask:0xf bank_mask:0xf
	v_and_b32_e32 v27, 16, v0
	v_cmp_eq_u32_e64 s8, 0, v25
	v_cmp_lt_u32_e64 s9, 1, v25
	s_delay_alu instid0(VALU_DEP_3) | instskip(NEXT) | instid1(VALU_DEP_3)
	v_cmp_eq_u32_e64 s12, 0, v27
	v_cndmask_b32_e64 v26, v26, 0, s8
	s_delay_alu instid0(VALU_DEP_1) | instskip(NEXT) | instid1(VALU_DEP_1)
	v_add_nc_u32_e32 v24, v26, v24
	v_mov_b32_dpp v26, v24 row_shr:2 row_mask:0xf bank_mask:0xf
	s_delay_alu instid0(VALU_DEP_1) | instskip(SKIP_2) | instid1(VALU_DEP_3)
	v_cndmask_b32_e64 v26, 0, v26, s9
	v_cmp_lt_u32_e64 s11, 7, v25
	v_cmp_lt_u32_e64 s10, 3, v25
	v_add_nc_u32_e32 v24, v24, v26
	s_delay_alu instid0(VALU_DEP_1) | instskip(NEXT) | instid1(VALU_DEP_1)
	v_mov_b32_dpp v26, v24 row_shr:4 row_mask:0xf bank_mask:0xf
	v_cndmask_b32_e64 v26, 0, v26, s10
	s_delay_alu instid0(VALU_DEP_1) | instskip(NEXT) | instid1(VALU_DEP_1)
	v_add_nc_u32_e32 v24, v24, v26
	v_mov_b32_dpp v26, v24 row_shr:8 row_mask:0xf bank_mask:0xf
	s_delay_alu instid0(VALU_DEP_1) | instskip(SKIP_1) | instid1(VALU_DEP_2)
	v_cndmask_b32_e64 v25, 0, v26, s11
	v_bfe_i32 v26, v0, 4, 1
	v_add_nc_u32_e32 v24, v24, v25
	ds_swizzle_b32 v25, v24 offset:swizzle(BROADCAST,32,15)
	s_wait_dscnt 0x0
	v_and_b32_e32 v25, v26, v25
	s_delay_alu instid0(VALU_DEP_1)
	v_add_nc_u32_e32 v24, v24, v25
	s_and_saveexec_b32 s13, s1
; %bb.91:                               ;   in Loop: Header=BB186_12 Depth=1
	ds_store_b32 v86, v24
; %bb.92:                               ;   in Loop: Header=BB186_12 Depth=1
	s_or_b32 exec_lo, exec_lo, s13
	s_wait_dscnt 0x0
	s_barrier_signal -1
	s_barrier_wait -1
	s_and_saveexec_b32 s13, s4
	s_cbranch_execz .LBB186_94
; %bb.93:                               ;   in Loop: Header=BB186_12 Depth=1
	ds_load_b32 v25, v87
	s_wait_dscnt 0x0
	v_mov_b32_dpp v27, v25 row_shr:1 row_mask:0xf bank_mask:0xf
	v_and_b32_e32 v26, 3, v0
	s_delay_alu instid0(VALU_DEP_1) | instskip(NEXT) | instid1(VALU_DEP_3)
	v_cmp_ne_u32_e32 vcc_lo, 0, v26
	v_cndmask_b32_e32 v27, 0, v27, vcc_lo
	v_cmp_lt_u32_e32 vcc_lo, 1, v26
	s_delay_alu instid0(VALU_DEP_2) | instskip(NEXT) | instid1(VALU_DEP_1)
	v_add_nc_u32_e32 v25, v27, v25
	v_mov_b32_dpp v27, v25 row_shr:2 row_mask:0xf bank_mask:0xf
	s_delay_alu instid0(VALU_DEP_1) | instskip(NEXT) | instid1(VALU_DEP_1)
	v_cndmask_b32_e32 v26, 0, v27, vcc_lo
	v_add_nc_u32_e32 v25, v25, v26
	ds_store_b32 v87, v25
.LBB186_94:                             ;   in Loop: Header=BB186_12 Depth=1
	s_or_b32 exec_lo, exec_lo, s13
	v_mov_b32_e32 v25, 0
	s_wait_dscnt 0x0
	s_barrier_signal -1
	s_barrier_wait -1
	s_and_saveexec_b32 s13, s5
; %bb.95:                               ;   in Loop: Header=BB186_12 Depth=1
	ds_load_b32 v25, v88
; %bb.96:                               ;   in Loop: Header=BB186_12 Depth=1
	s_or_b32 exec_lo, exec_lo, s13
	v_sub_co_u32 v26, s13, v0, 1
	s_wait_dscnt 0x0
	s_barrier_signal -1
	s_barrier_wait -1
	s_delay_alu instid0(VALU_DEP_1) | instskip(SKIP_1) | instid1(VALU_DEP_1)
	v_cmp_gt_i32_e32 vcc_lo, 0, v26
	v_cndmask_b32_e32 v26, v26, v0, vcc_lo
	v_dual_add_nc_u32 v24, v25, v24 :: v_dual_lshlrev_b32 v96, 2, v26
	ds_bpermute_b32 v24, v96, v24
	s_and_saveexec_b32 s14, s0
	s_cbranch_execz .LBB186_98
; %bb.97:                               ;   in Loop: Header=BB186_12 Depth=1
	s_wait_dscnt 0x0
	v_cndmask_b32_e64 v24, v24, v25, s13
	s_delay_alu instid0(VALU_DEP_1)
	v_add_nc_u32_e32 v24, s55, v24
	ds_store_b32 v66, v24
.LBB186_98:                             ;   in Loop: Header=BB186_12 Depth=1
	s_or_b32 exec_lo, exec_lo, s14
	s_clause 0x1
	s_load_b32 s14, s[52:53], 0x4
	s_load_b32 s17, s[52:53], 0xc
	s_wait_dscnt 0x0
	v_dual_lshlrev_b32 v24, 3, v0 :: v_dual_bitop2_b32 v26, 7, v0 bitop3:0x40
	v_dual_mov_b32 v25, v1 :: v_dual_bitop2_b32 v97, v0, v6 bitop3:0x54
	s_mov_b32 s58, s57
	s_delay_alu instid0(VALU_DEP_2) | instskip(NEXT) | instid1(VALU_DEP_2)
	v_cmp_lt_u32_e64 s16, 3, v26
                                        ; implicit-def: $vgpr30_vgpr31
                                        ; implicit-def: $vgpr32_vgpr33
                                        ; implicit-def: $vgpr34_vgpr35
                                        ; implicit-def: $vgpr36_vgpr37
                                        ; implicit-def: $vgpr38_vgpr39
                                        ; implicit-def: $vgpr40_vgpr41
                                        ; implicit-def: $vgpr42_vgpr43
                                        ; implicit-def: $vgpr44_vgpr45
                                        ; implicit-def: $vgpr46_vgpr47
                                        ; implicit-def: $vgpr48_vgpr49
                                        ; implicit-def: $vgpr50_vgpr51
                                        ; implicit-def: $vgpr52_vgpr53
                                        ; implicit-def: $vgpr54_vgpr55
                                        ; implicit-def: $vgpr56_vgpr57
                                        ; implicit-def: $vgpr58_vgpr59
                                        ; implicit-def: $vgpr60_vgpr61
                                        ; implicit-def: $vgpr115
                                        ; implicit-def: $vgpr116
                                        ; implicit-def: $vgpr117
                                        ; implicit-def: $vgpr118
                                        ; implicit-def: $vgpr119
                                        ; implicit-def: $vgpr120
                                        ; implicit-def: $vgpr121
                                        ; implicit-def: $vgpr122
                                        ; implicit-def: $vgpr123
                                        ; implicit-def: $vgpr124
                                        ; implicit-def: $vgpr125
                                        ; implicit-def: $vgpr126
                                        ; implicit-def: $vgpr127
                                        ; implicit-def: $vgpr128
                                        ; implicit-def: $vgpr129
                                        ; implicit-def: $vgpr130
                                        ; implicit-def: $vgpr131
                                        ; implicit-def: $vgpr132
                                        ; implicit-def: $vgpr133
	v_add_nc_u64_e32 v[24:25], v[8:9], v[24:25]
	s_delay_alu instid0(VALU_DEP_3)
	v_dual_add_nc_u32 v98, 32, v97 :: v_dual_add_nc_u32 v99, 64, v97
	v_add_nc_u32_e32 v100, 0x60, v97
	v_add_nc_u32_e32 v101, 0x80, v97
	;; [unrolled: 1-line block ×8, first 2 shown]
	s_wait_kmcnt 0x0
	s_cmp_lt_u32 s42, s14
	v_add_nc_u32_e32 v108, 0x160, v97
	s_cselect_b32 s34, 14, 20
	s_and_b32 s17, s17, 0xffff
	s_add_nc_u64 s[14:15], s[52:53], s[34:35]
	v_add_nc_u32_e32 v109, 0x180, v97
	s_load_u16 s18, s[14:15], 0x0
	s_wait_xcnt 0x0
	v_cmp_eq_u32_e64 s14, 0, v26
	v_cmp_lt_u32_e64 s15, 1, v26
	v_add_nc_u32_e32 v110, 0x1a0, v97
	v_add_nc_u32_e32 v111, 0x1c0, v97
	;; [unrolled: 1-line block ×4, first 2 shown]
	s_mov_b32 s34, s55
	s_wait_kmcnt 0x0
	v_mad_u32_u24 v26, v89, s18, v91
	s_delay_alu instid0(VALU_DEP_1) | instskip(NEXT) | instid1(VALU_DEP_1)
	v_mad_u32 v26, v26, s17, v2
	v_lshrrev_b32_e32 v28, 3, v26
	v_add_nc_u64_e32 v[26:27], v[10:11], v[0:1]
	s_delay_alu instid0(VALU_DEP_2)
	v_and_b32_e32 v114, 0x1ffffffc, v28
                                        ; implicit-def: $vgpr28_vgpr29
	s_branch .LBB186_100
.LBB186_99:                             ;   in Loop: Header=BB186_100 Depth=2
	s_or_b32 exec_lo, exec_lo, s17
	s_addk_co_i32 s58, 0xef00
	s_cmp_lt_u32 s59, s54
	s_mov_b32 s34, s59
	s_cbranch_scc0 .LBB186_322
.LBB186_100:                            ;   Parent Loop BB186_12 Depth=1
                                        ; =>  This Inner Loop Header: Depth=2
	s_add_co_i32 s59, s34, 0x1100
	s_delay_alu instid0(SALU_CYCLE_1)
	s_cmp_gt_u32 s59, s54
	s_cbranch_scc1 .LBB186_102
; %bb.101:                              ;   in Loop: Header=BB186_100 Depth=2
	s_delay_alu instid0(VALU_DEP_2)
	v_add_nc_u64_e32 v[62:63], s[34:35], v[26:27]
	s_mov_b32 s17, -1
	s_clause 0xf
	global_load_u8 v135, v[62:63], off
	global_load_u8 v136, v[62:63], off offset:32
	global_load_u8 v137, v[62:63], off offset:64
	;; [unrolled: 1-line block ×15, first 2 shown]
	s_movk_i32 s18, 0x1100
	s_cbranch_execz .LBB186_103
	s_branch .LBB186_136
.LBB186_102:                            ;   in Loop: Header=BB186_100 Depth=2
	s_mov_b32 s17, 0
                                        ; implicit-def: $vgpr135
                                        ; implicit-def: $vgpr136
                                        ; implicit-def: $vgpr137
                                        ; implicit-def: $vgpr138
                                        ; implicit-def: $vgpr139
                                        ; implicit-def: $vgpr140
                                        ; implicit-def: $vgpr141
                                        ; implicit-def: $vgpr142
                                        ; implicit-def: $vgpr143
                                        ; implicit-def: $vgpr144
                                        ; implicit-def: $vgpr145
                                        ; implicit-def: $vgpr146
                                        ; implicit-def: $vgpr147
                                        ; implicit-def: $vgpr148
                                        ; implicit-def: $vgpr149
                                        ; implicit-def: $vgpr150
	s_movk_i32 s18, 0x1100
.LBB186_103:                            ;   in Loop: Header=BB186_100 Depth=2
	s_wait_xcnt 0x0
	v_add_nc_u64_e32 v[62:63], s[34:35], v[26:27]
	s_wait_loadcnt 0xe
	v_dual_mov_b32 v136, 0xff :: v_dual_mov_b32 v135, 0xff
	s_mov_b32 s17, exec_lo
	v_cmpx_gt_u32_e64 s58, v97
	s_cbranch_execz .LBB186_105
; %bb.104:                              ;   in Loop: Header=BB186_100 Depth=2
	global_load_u8 v135, v[62:63], off
.LBB186_105:                            ;   in Loop: Header=BB186_100 Depth=2
	s_wait_xcnt 0x0
	s_or_b32 exec_lo, exec_lo, s17
	s_delay_alu instid0(SALU_CYCLE_1)
	s_mov_b32 s17, exec_lo
	v_cmpx_gt_u32_e64 s58, v98
	s_cbranch_execz .LBB186_107
; %bb.106:                              ;   in Loop: Header=BB186_100 Depth=2
	global_load_u8 v136, v[62:63], off offset:32
.LBB186_107:                            ;   in Loop: Header=BB186_100 Depth=2
	s_wait_xcnt 0x0
	s_or_b32 exec_lo, exec_lo, s17
	s_wait_loadcnt 0xc
	v_dual_mov_b32 v138, 0xff :: v_dual_mov_b32 v137, 0xff
	s_mov_b32 s17, exec_lo
	v_cmpx_gt_u32_e64 s58, v99
	s_cbranch_execz .LBB186_109
; %bb.108:                              ;   in Loop: Header=BB186_100 Depth=2
	global_load_u8 v137, v[62:63], off offset:64
.LBB186_109:                            ;   in Loop: Header=BB186_100 Depth=2
	s_wait_xcnt 0x0
	s_or_b32 exec_lo, exec_lo, s17
	s_delay_alu instid0(SALU_CYCLE_1)
	s_mov_b32 s17, exec_lo
	v_cmpx_gt_u32_e64 s58, v100
	s_cbranch_execz .LBB186_111
; %bb.110:                              ;   in Loop: Header=BB186_100 Depth=2
	global_load_u8 v138, v[62:63], off offset:96
.LBB186_111:                            ;   in Loop: Header=BB186_100 Depth=2
	s_wait_xcnt 0x0
	s_or_b32 exec_lo, exec_lo, s17
	s_wait_loadcnt 0xa
	v_dual_mov_b32 v140, 0xff :: v_dual_mov_b32 v139, 0xff
	s_mov_b32 s17, exec_lo
	v_cmpx_gt_u32_e64 s58, v101
	s_cbranch_execz .LBB186_113
; %bb.112:                              ;   in Loop: Header=BB186_100 Depth=2
	global_load_u8 v139, v[62:63], off offset:128
.LBB186_113:                            ;   in Loop: Header=BB186_100 Depth=2
	;; [unrolled: 19-line block ×7, first 2 shown]
	s_wait_xcnt 0x0
	s_or_b32 exec_lo, exec_lo, s17
	s_delay_alu instid0(SALU_CYCLE_1)
	s_mov_b32 s17, exec_lo
	v_cmpx_gt_u32_e64 s58, v112
	s_cbranch_execz .LBB186_135
; %bb.134:                              ;   in Loop: Header=BB186_100 Depth=2
	global_load_u8 v150, v[62:63], off offset:480
.LBB186_135:                            ;   in Loop: Header=BB186_100 Depth=2
	s_wait_xcnt 0x0
	s_or_b32 exec_lo, exec_lo, s17
	v_cmp_gt_u32_e64 s17, s58, v113
	s_sub_co_i32 s18, s54, s34
.LBB186_136:                            ;   in Loop: Header=BB186_100 Depth=2
	v_dual_mov_b32 v151, 0xff :: v_dual_mov_b32 v134, s58
	s_wait_xcnt 0x0
	s_and_saveexec_b32 s19, s17
	s_cbranch_execz .LBB186_138
; %bb.137:                              ;   in Loop: Header=BB186_100 Depth=2
	v_add_nc_u64_e32 v[62:63], s[34:35], v[26:27]
	v_mov_b32_e32 v134, s18
	global_load_u8 v151, v[62:63], off offset:512
.LBB186_138:                            ;   in Loop: Header=BB186_100 Depth=2
	s_wait_xcnt 0x0
	s_or_b32 exec_lo, exec_lo, s19
	s_wait_loadcnt 0xf
	v_and_b32_e32 v62, 0xff, v135
	ds_store_2addr_b32 v90, v1, v1 offset0:136 offset1:137
	ds_store_2addr_b32 v90, v1, v1 offset0:138 offset1:139
	ds_store_b32 v90, v1 offset:560
	s_wait_loadcnt_dscnt 0x0
	s_barrier_signal -1
	s_barrier_wait -1
	v_lshrrev_b32_e32 v62, s43, v62
	; wave barrier
	s_delay_alu instid0(VALU_DEP_1) | instskip(NEXT) | instid1(VALU_DEP_1)
	v_and_b32_e32 v64, s48, v62
	v_lshlrev_b32_e32 v65, 30, v64
	v_bitop3_b32 v63, v62, 1, s48 bitop3:0x80
	s_delay_alu instid0(VALU_DEP_1) | instskip(NEXT) | instid1(VALU_DEP_1)
	v_add_co_u32 v62, s17, v63, -1
	v_cndmask_b32_e64 v63, 0, 1, s17
	s_delay_alu instid0(VALU_DEP_4) | instskip(NEXT) | instid1(VALU_DEP_2)
	v_cmp_gt_i32_e64 s17, 0, v65
	v_cmp_ne_u32_e32 vcc_lo, 0, v63
	v_not_b32_e32 v63, v65
	v_bitop3_b32 v62, vcc_lo, exec_lo, v62 bitop3:0x48
	s_delay_alu instid0(VALU_DEP_2) | instskip(SKIP_2) | instid1(VALU_DEP_3)
	v_dual_ashrrev_i32 v63, 31, v63 :: v_dual_lshlrev_b32 v152, 29, v64
	v_dual_lshlrev_b32 v153, 28, v64 :: v_dual_lshlrev_b32 v154, 27, v64
	v_lshlrev_b32_e32 v155, 26, v64
	v_not_b32_e32 v65, v152
	v_lshlrev_b32_e32 v156, 25, v64
	v_cmp_gt_i32_e64 s18, 0, v152
	v_cmp_gt_i32_e64 s19, 0, v153
	v_not_b32_e32 v152, v153
	v_not_b32_e32 v153, v154
	v_ashrrev_i32_e32 v65, 31, v65
	v_cmp_gt_i32_e64 s20, 0, v154
	v_not_b32_e32 v154, v155
	s_delay_alu instid0(VALU_DEP_4) | instskip(SKIP_3) | instid1(VALU_DEP_4)
	v_dual_ashrrev_i32 v152, 31, v152 :: v_dual_ashrrev_i32 v153, 31, v153
	v_xor_b32_e32 v63, s17, v63
	v_xor_b32_e32 v65, s18, v65
	v_not_b32_e32 v157, v156
	v_xor_b32_e32 v152, s19, v152
	v_xor_b32_e32 v153, s20, v153
	v_cmp_gt_i32_e32 vcc_lo, 0, v155
	v_ashrrev_i32_e32 v154, 31, v154
	v_cmp_gt_i32_e64 s17, 0, v156
	v_ashrrev_i32_e32 v155, 31, v157
	v_bitop3_b32 v62, v62, v65, v63 bitop3:0x80
	s_delay_alu instid0(VALU_DEP_4) | instskip(NEXT) | instid1(VALU_DEP_3)
	v_xor_b32_e32 v63, vcc_lo, v154
	v_xor_b32_e32 v65, s17, v155
	s_delay_alu instid0(VALU_DEP_3) | instskip(NEXT) | instid1(VALU_DEP_1)
	v_bitop3_b32 v62, v62, v153, v152 bitop3:0x80
	v_bitop3_b32 v62, v62, v65, v63 bitop3:0x80
	v_mul_u32_u24_e32 v63, 36, v64
	s_delay_alu instid0(VALU_DEP_2) | instskip(SKIP_1) | instid1(VALU_DEP_3)
	v_mbcnt_lo_u32_b32 v152, v62, 0
	v_cmp_ne_u32_e64 s17, 0, v62
	v_add_nc_u32_e32 v153, v114, v63
	s_delay_alu instid0(VALU_DEP_3) | instskip(SKIP_1) | instid1(SALU_CYCLE_1)
	v_cmp_eq_u32_e32 vcc_lo, 0, v152
	s_and_b32 s18, s17, vcc_lo
	s_and_saveexec_b32 s17, s18
; %bb.139:                              ;   in Loop: Header=BB186_100 Depth=2
	v_bcnt_u32_b32 v62, v62, 0
	ds_store_b32 v153, v62 offset:544
; %bb.140:                              ;   in Loop: Header=BB186_100 Depth=2
	s_or_b32 exec_lo, exec_lo, s17
	v_and_b32_e32 v62, 0xff, v136
	; wave barrier
	s_delay_alu instid0(VALU_DEP_1) | instskip(NEXT) | instid1(VALU_DEP_1)
	v_lshrrev_b32_e32 v62, s43, v62
	v_and_b32_e32 v64, s48, v62
	s_delay_alu instid0(VALU_DEP_1) | instskip(SKIP_1) | instid1(VALU_DEP_1)
	v_lshlrev_b32_e32 v65, 30, v64
	v_bitop3_b32 v63, v62, 1, s48 bitop3:0x80
	v_add_co_u32 v62, s17, v63, -1
	s_delay_alu instid0(VALU_DEP_1) | instskip(NEXT) | instid1(VALU_DEP_4)
	v_cndmask_b32_e64 v63, 0, 1, s17
	v_cmp_gt_i32_e64 s17, 0, v65
	s_delay_alu instid0(VALU_DEP_2) | instskip(SKIP_2) | instid1(VALU_DEP_2)
	v_cmp_ne_u32_e32 vcc_lo, 0, v63
	v_not_b32_e32 v63, v65
	v_bitop3_b32 v62, vcc_lo, exec_lo, v62 bitop3:0x48
	v_dual_ashrrev_i32 v63, 31, v63 :: v_dual_lshlrev_b32 v154, 29, v64
	v_dual_lshlrev_b32 v155, 28, v64 :: v_dual_lshlrev_b32 v156, 27, v64
	v_lshlrev_b32_e32 v157, 26, v64
	s_delay_alu instid0(VALU_DEP_3)
	v_not_b32_e32 v65, v154
	v_lshlrev_b32_e32 v158, 25, v64
	v_cmp_gt_i32_e64 s18, 0, v154
	v_cmp_gt_i32_e64 s19, 0, v155
	v_not_b32_e32 v154, v155
	v_not_b32_e32 v155, v156
	v_ashrrev_i32_e32 v65, 31, v65
	v_cmp_gt_i32_e64 s20, 0, v156
	v_cmp_gt_i32_e64 s21, 0, v157
	v_not_b32_e32 v156, v157
	v_dual_ashrrev_i32 v154, 31, v154 :: v_dual_ashrrev_i32 v155, 31, v155
	v_xor_b32_e32 v63, s17, v63
	v_xor_b32_e32 v65, s18, v65
	v_not_b32_e32 v157, v158
	s_delay_alu instid0(VALU_DEP_4) | instskip(SKIP_1) | instid1(VALU_DEP_4)
	v_dual_ashrrev_i32 v156, 31, v156 :: v_dual_bitop2_b32 v154, s19, v154 bitop3:0x14
	v_xor_b32_e32 v155, s20, v155
	v_bitop3_b32 v62, v62, v65, v63 bitop3:0x80
	v_cmp_gt_i32_e32 vcc_lo, 0, v158
	v_ashrrev_i32_e32 v63, 31, v157
	v_mad_u32_u24 v65, v64, 36, v114
	v_xor_b32_e32 v156, s21, v156
	v_bitop3_b32 v62, v62, v155, v154 bitop3:0x80
	s_delay_alu instid0(VALU_DEP_4) | instskip(SKIP_3) | instid1(VALU_DEP_2)
	v_xor_b32_e32 v63, vcc_lo, v63
	ds_load_b32 v154, v65 offset:544
	; wave barrier
	v_bitop3_b32 v62, v62, v63, v156 bitop3:0x80
	v_mul_u32_u24_e32 v63, 36, v64
	v_mbcnt_lo_u32_b32 v155, v62, 0
	v_cmp_ne_u32_e64 s17, 0, v62
	s_delay_alu instid0(VALU_DEP_3) | instskip(NEXT) | instid1(VALU_DEP_3)
	v_add_nc_u32_e32 v156, v114, v63
	v_cmp_eq_u32_e32 vcc_lo, 0, v155
	s_and_b32 s18, s17, vcc_lo
	s_delay_alu instid0(SALU_CYCLE_1)
	s_and_saveexec_b32 s17, s18
	s_cbranch_execz .LBB186_142
; %bb.141:                              ;   in Loop: Header=BB186_100 Depth=2
	s_wait_dscnt 0x0
	v_bcnt_u32_b32 v62, v62, v154
	ds_store_b32 v156, v62 offset:544
.LBB186_142:                            ;   in Loop: Header=BB186_100 Depth=2
	s_or_b32 exec_lo, exec_lo, s17
	v_and_b32_e32 v62, 0xff, v137
	; wave barrier
	s_delay_alu instid0(VALU_DEP_1) | instskip(NEXT) | instid1(VALU_DEP_1)
	v_lshrrev_b32_e32 v62, s43, v62
	v_and_b32_e32 v64, s48, v62
	s_delay_alu instid0(VALU_DEP_1) | instskip(SKIP_1) | instid1(VALU_DEP_1)
	v_lshlrev_b32_e32 v65, 30, v64
	v_bitop3_b32 v63, v62, 1, s48 bitop3:0x80
	v_add_co_u32 v62, s17, v63, -1
	s_delay_alu instid0(VALU_DEP_1) | instskip(NEXT) | instid1(VALU_DEP_4)
	v_cndmask_b32_e64 v63, 0, 1, s17
	v_cmp_gt_i32_e64 s17, 0, v65
	s_delay_alu instid0(VALU_DEP_2) | instskip(SKIP_2) | instid1(VALU_DEP_2)
	v_cmp_ne_u32_e32 vcc_lo, 0, v63
	v_not_b32_e32 v63, v65
	v_bitop3_b32 v62, vcc_lo, exec_lo, v62 bitop3:0x48
	v_dual_ashrrev_i32 v63, 31, v63 :: v_dual_lshlrev_b32 v157, 29, v64
	v_dual_lshlrev_b32 v158, 28, v64 :: v_dual_lshlrev_b32 v159, 27, v64
	s_delay_alu instid0(VALU_DEP_2) | instskip(NEXT) | instid1(VALU_DEP_3)
	v_dual_lshlrev_b32 v160, 26, v64 :: v_dual_bitop2_b32 v63, s17, v63 bitop3:0x14
	v_not_b32_e32 v65, v157
	v_lshlrev_b32_e32 v161, 25, v64
	v_cmp_gt_i32_e64 s18, 0, v157
	v_cmp_gt_i32_e64 s19, 0, v158
	v_not_b32_e32 v157, v158
	v_not_b32_e32 v158, v159
	v_ashrrev_i32_e32 v65, 31, v65
	v_cmp_gt_i32_e64 s20, 0, v159
	v_cmp_gt_i32_e64 s21, 0, v160
	v_not_b32_e32 v159, v160
	v_dual_ashrrev_i32 v157, 31, v157 :: v_dual_ashrrev_i32 v158, 31, v158
	v_xor_b32_e32 v65, s18, v65
	v_not_b32_e32 v160, v161
	s_delay_alu instid0(VALU_DEP_3) | instskip(NEXT) | instid1(VALU_DEP_4)
	v_dual_ashrrev_i32 v159, 31, v159 :: v_dual_bitop2_b32 v157, s19, v157 bitop3:0x14
	v_xor_b32_e32 v158, s20, v158
	s_delay_alu instid0(VALU_DEP_4)
	v_bitop3_b32 v62, v62, v65, v63 bitop3:0x80
	v_cmp_gt_i32_e32 vcc_lo, 0, v161
	v_ashrrev_i32_e32 v63, 31, v160
	v_mad_u32_u24 v65, v64, 36, v114
	v_xor_b32_e32 v159, s21, v159
	v_bitop3_b32 v62, v62, v158, v157 bitop3:0x80
	s_delay_alu instid0(VALU_DEP_4) | instskip(SKIP_3) | instid1(VALU_DEP_2)
	v_xor_b32_e32 v63, vcc_lo, v63
	ds_load_b32 v157, v65 offset:544
	; wave barrier
	v_bitop3_b32 v62, v62, v63, v159 bitop3:0x80
	v_mul_u32_u24_e32 v63, 36, v64
	v_mbcnt_lo_u32_b32 v158, v62, 0
	v_cmp_ne_u32_e64 s17, 0, v62
	s_delay_alu instid0(VALU_DEP_3) | instskip(NEXT) | instid1(VALU_DEP_3)
	v_add_nc_u32_e32 v159, v114, v63
	v_cmp_eq_u32_e32 vcc_lo, 0, v158
	s_and_b32 s18, s17, vcc_lo
	s_delay_alu instid0(SALU_CYCLE_1)
	s_and_saveexec_b32 s17, s18
	s_cbranch_execz .LBB186_144
; %bb.143:                              ;   in Loop: Header=BB186_100 Depth=2
	s_wait_dscnt 0x0
	v_bcnt_u32_b32 v62, v62, v157
	ds_store_b32 v159, v62 offset:544
.LBB186_144:                            ;   in Loop: Header=BB186_100 Depth=2
	s_or_b32 exec_lo, exec_lo, s17
	v_and_b32_e32 v62, 0xff, v138
	; wave barrier
	s_delay_alu instid0(VALU_DEP_1) | instskip(NEXT) | instid1(VALU_DEP_1)
	v_lshrrev_b32_e32 v62, s43, v62
	v_and_b32_e32 v64, s48, v62
	s_delay_alu instid0(VALU_DEP_1) | instskip(SKIP_1) | instid1(VALU_DEP_1)
	v_lshlrev_b32_e32 v65, 30, v64
	v_bitop3_b32 v63, v62, 1, s48 bitop3:0x80
	v_add_co_u32 v62, s17, v63, -1
	s_delay_alu instid0(VALU_DEP_1) | instskip(NEXT) | instid1(VALU_DEP_4)
	v_cndmask_b32_e64 v63, 0, 1, s17
	v_cmp_gt_i32_e64 s17, 0, v65
	s_delay_alu instid0(VALU_DEP_2) | instskip(SKIP_2) | instid1(VALU_DEP_2)
	v_cmp_ne_u32_e32 vcc_lo, 0, v63
	v_not_b32_e32 v63, v65
	v_bitop3_b32 v62, vcc_lo, exec_lo, v62 bitop3:0x48
	v_dual_ashrrev_i32 v63, 31, v63 :: v_dual_lshlrev_b32 v160, 29, v64
	v_dual_lshlrev_b32 v161, 28, v64 :: v_dual_lshlrev_b32 v162, 27, v64
	v_lshlrev_b32_e32 v163, 26, v64
	s_delay_alu instid0(VALU_DEP_3)
	v_not_b32_e32 v65, v160
	v_lshlrev_b32_e32 v164, 25, v64
	v_cmp_gt_i32_e64 s18, 0, v160
	v_cmp_gt_i32_e64 s19, 0, v161
	v_not_b32_e32 v160, v161
	v_not_b32_e32 v161, v162
	v_ashrrev_i32_e32 v65, 31, v65
	v_cmp_gt_i32_e64 s20, 0, v162
	v_cmp_gt_i32_e64 s21, 0, v163
	v_not_b32_e32 v162, v163
	v_dual_ashrrev_i32 v160, 31, v160 :: v_dual_ashrrev_i32 v161, 31, v161
	v_xor_b32_e32 v63, s17, v63
	v_not_b32_e32 v163, v164
	s_delay_alu instid0(VALU_DEP_4) | instskip(NEXT) | instid1(VALU_DEP_4)
	v_dual_ashrrev_i32 v162, 31, v162 :: v_dual_bitop2_b32 v65, s18, v65 bitop3:0x14
	v_xor_b32_e32 v160, s19, v160
	v_xor_b32_e32 v161, s20, v161
	v_cmp_gt_i32_e32 vcc_lo, 0, v164
	s_delay_alu instid0(VALU_DEP_4) | instskip(SKIP_3) | instid1(VALU_DEP_4)
	v_bitop3_b32 v62, v62, v65, v63 bitop3:0x80
	v_ashrrev_i32_e32 v63, 31, v163
	v_mad_u32_u24 v65, v64, 36, v114
	v_xor_b32_e32 v162, s21, v162
	v_bitop3_b32 v62, v62, v161, v160 bitop3:0x80
	s_delay_alu instid0(VALU_DEP_4) | instskip(SKIP_3) | instid1(VALU_DEP_2)
	v_xor_b32_e32 v63, vcc_lo, v63
	ds_load_b32 v160, v65 offset:544
	; wave barrier
	v_bitop3_b32 v62, v62, v63, v162 bitop3:0x80
	v_mul_u32_u24_e32 v63, 36, v64
	v_mbcnt_lo_u32_b32 v161, v62, 0
	v_cmp_ne_u32_e64 s17, 0, v62
	s_delay_alu instid0(VALU_DEP_3) | instskip(NEXT) | instid1(VALU_DEP_3)
	v_add_nc_u32_e32 v162, v114, v63
	v_cmp_eq_u32_e32 vcc_lo, 0, v161
	s_and_b32 s18, s17, vcc_lo
	s_delay_alu instid0(SALU_CYCLE_1)
	s_and_saveexec_b32 s17, s18
	s_cbranch_execz .LBB186_146
; %bb.145:                              ;   in Loop: Header=BB186_100 Depth=2
	s_wait_dscnt 0x0
	v_bcnt_u32_b32 v62, v62, v160
	ds_store_b32 v162, v62 offset:544
.LBB186_146:                            ;   in Loop: Header=BB186_100 Depth=2
	s_or_b32 exec_lo, exec_lo, s17
	v_and_b32_e32 v62, 0xff, v139
	; wave barrier
	s_delay_alu instid0(VALU_DEP_1) | instskip(NEXT) | instid1(VALU_DEP_1)
	v_lshrrev_b32_e32 v62, s43, v62
	v_and_b32_e32 v64, s48, v62
	s_delay_alu instid0(VALU_DEP_1) | instskip(SKIP_1) | instid1(VALU_DEP_1)
	v_lshlrev_b32_e32 v65, 30, v64
	v_bitop3_b32 v63, v62, 1, s48 bitop3:0x80
	v_add_co_u32 v62, s17, v63, -1
	s_delay_alu instid0(VALU_DEP_1) | instskip(NEXT) | instid1(VALU_DEP_4)
	v_cndmask_b32_e64 v63, 0, 1, s17
	v_cmp_gt_i32_e64 s17, 0, v65
	s_delay_alu instid0(VALU_DEP_2) | instskip(SKIP_2) | instid1(VALU_DEP_2)
	v_cmp_ne_u32_e32 vcc_lo, 0, v63
	v_not_b32_e32 v63, v65
	v_bitop3_b32 v62, vcc_lo, exec_lo, v62 bitop3:0x48
	v_dual_ashrrev_i32 v63, 31, v63 :: v_dual_lshlrev_b32 v163, 29, v64
	v_dual_lshlrev_b32 v164, 28, v64 :: v_dual_lshlrev_b32 v165, 27, v64
	v_lshlrev_b32_e32 v166, 26, v64
	s_delay_alu instid0(VALU_DEP_3)
	v_not_b32_e32 v65, v163
	v_lshlrev_b32_e32 v167, 25, v64
	v_cmp_gt_i32_e64 s18, 0, v163
	v_cmp_gt_i32_e64 s19, 0, v164
	v_not_b32_e32 v163, v164
	v_not_b32_e32 v164, v165
	v_ashrrev_i32_e32 v65, 31, v65
	v_cmp_gt_i32_e64 s20, 0, v165
	v_cmp_gt_i32_e64 s21, 0, v166
	v_not_b32_e32 v165, v166
	v_dual_ashrrev_i32 v163, 31, v163 :: v_dual_ashrrev_i32 v164, 31, v164
	v_xor_b32_e32 v63, s17, v63
	v_not_b32_e32 v166, v167
	v_xor_b32_e32 v65, s18, v65
	s_delay_alu instid0(VALU_DEP_4) | instskip(SKIP_2) | instid1(VALU_DEP_4)
	v_dual_ashrrev_i32 v165, 31, v165 :: v_dual_bitop2_b32 v163, s19, v163 bitop3:0x14
	v_xor_b32_e32 v164, s20, v164
	v_cmp_gt_i32_e32 vcc_lo, 0, v167
	v_bitop3_b32 v62, v62, v65, v63 bitop3:0x80
	v_ashrrev_i32_e32 v63, 31, v166
	v_mad_u32_u24 v65, v64, 36, v114
	v_xor_b32_e32 v165, s21, v165
	s_delay_alu instid0(VALU_DEP_4) | instskip(NEXT) | instid1(VALU_DEP_4)
	v_bitop3_b32 v62, v62, v164, v163 bitop3:0x80
	v_xor_b32_e32 v63, vcc_lo, v63
	ds_load_b32 v163, v65 offset:544
	; wave barrier
	v_bitop3_b32 v62, v62, v63, v165 bitop3:0x80
	v_mul_u32_u24_e32 v63, 36, v64
	s_delay_alu instid0(VALU_DEP_2) | instskip(SKIP_1) | instid1(VALU_DEP_3)
	v_mbcnt_lo_u32_b32 v164, v62, 0
	v_cmp_ne_u32_e64 s17, 0, v62
	v_add_nc_u32_e32 v165, v114, v63
	s_delay_alu instid0(VALU_DEP_3) | instskip(SKIP_1) | instid1(SALU_CYCLE_1)
	v_cmp_eq_u32_e32 vcc_lo, 0, v164
	s_and_b32 s18, s17, vcc_lo
	s_and_saveexec_b32 s17, s18
	s_cbranch_execz .LBB186_148
; %bb.147:                              ;   in Loop: Header=BB186_100 Depth=2
	s_wait_dscnt 0x0
	v_bcnt_u32_b32 v62, v62, v163
	ds_store_b32 v165, v62 offset:544
.LBB186_148:                            ;   in Loop: Header=BB186_100 Depth=2
	s_or_b32 exec_lo, exec_lo, s17
	v_and_b32_e32 v62, 0xff, v140
	; wave barrier
	s_delay_alu instid0(VALU_DEP_1) | instskip(NEXT) | instid1(VALU_DEP_1)
	v_lshrrev_b32_e32 v62, s43, v62
	v_and_b32_e32 v64, s48, v62
	s_delay_alu instid0(VALU_DEP_1) | instskip(SKIP_1) | instid1(VALU_DEP_1)
	v_lshlrev_b32_e32 v65, 30, v64
	v_bitop3_b32 v63, v62, 1, s48 bitop3:0x80
	v_add_co_u32 v62, s17, v63, -1
	s_delay_alu instid0(VALU_DEP_1) | instskip(NEXT) | instid1(VALU_DEP_4)
	v_cndmask_b32_e64 v63, 0, 1, s17
	v_cmp_gt_i32_e64 s17, 0, v65
	s_delay_alu instid0(VALU_DEP_2) | instskip(SKIP_2) | instid1(VALU_DEP_2)
	v_cmp_ne_u32_e32 vcc_lo, 0, v63
	v_not_b32_e32 v63, v65
	v_bitop3_b32 v62, vcc_lo, exec_lo, v62 bitop3:0x48
	v_dual_ashrrev_i32 v63, 31, v63 :: v_dual_lshlrev_b32 v166, 29, v64
	v_dual_lshlrev_b32 v167, 28, v64 :: v_dual_lshlrev_b32 v168, 27, v64
	v_lshlrev_b32_e32 v169, 26, v64
	s_delay_alu instid0(VALU_DEP_3)
	v_not_b32_e32 v65, v166
	v_lshlrev_b32_e32 v170, 25, v64
	v_cmp_gt_i32_e64 s18, 0, v166
	v_cmp_gt_i32_e64 s19, 0, v167
	v_not_b32_e32 v166, v167
	v_not_b32_e32 v167, v168
	v_ashrrev_i32_e32 v65, 31, v65
	v_cmp_gt_i32_e64 s20, 0, v168
	v_cmp_gt_i32_e64 s21, 0, v169
	v_not_b32_e32 v168, v169
	v_dual_ashrrev_i32 v166, 31, v166 :: v_dual_ashrrev_i32 v167, 31, v167
	v_xor_b32_e32 v63, s17, v63
	v_xor_b32_e32 v65, s18, v65
	v_not_b32_e32 v169, v170
	s_delay_alu instid0(VALU_DEP_4) | instskip(SKIP_1) | instid1(VALU_DEP_4)
	v_dual_ashrrev_i32 v168, 31, v168 :: v_dual_bitop2_b32 v166, s19, v166 bitop3:0x14
	v_xor_b32_e32 v167, s20, v167
	v_bitop3_b32 v62, v62, v65, v63 bitop3:0x80
	v_cmp_gt_i32_e32 vcc_lo, 0, v170
	v_ashrrev_i32_e32 v63, 31, v169
	v_mad_u32_u24 v65, v64, 36, v114
	v_xor_b32_e32 v168, s21, v168
	v_bitop3_b32 v62, v62, v167, v166 bitop3:0x80
	s_delay_alu instid0(VALU_DEP_4) | instskip(SKIP_3) | instid1(VALU_DEP_2)
	v_xor_b32_e32 v63, vcc_lo, v63
	ds_load_b32 v166, v65 offset:544
	; wave barrier
	v_bitop3_b32 v62, v62, v63, v168 bitop3:0x80
	v_mul_u32_u24_e32 v63, 36, v64
	v_mbcnt_lo_u32_b32 v167, v62, 0
	v_cmp_ne_u32_e64 s17, 0, v62
	s_delay_alu instid0(VALU_DEP_3) | instskip(NEXT) | instid1(VALU_DEP_3)
	v_add_nc_u32_e32 v168, v114, v63
	v_cmp_eq_u32_e32 vcc_lo, 0, v167
	s_and_b32 s18, s17, vcc_lo
	s_delay_alu instid0(SALU_CYCLE_1)
	s_and_saveexec_b32 s17, s18
	s_cbranch_execz .LBB186_150
; %bb.149:                              ;   in Loop: Header=BB186_100 Depth=2
	s_wait_dscnt 0x0
	v_bcnt_u32_b32 v62, v62, v166
	ds_store_b32 v168, v62 offset:544
.LBB186_150:                            ;   in Loop: Header=BB186_100 Depth=2
	s_or_b32 exec_lo, exec_lo, s17
	v_and_b32_e32 v62, 0xff, v141
	; wave barrier
	s_delay_alu instid0(VALU_DEP_1) | instskip(NEXT) | instid1(VALU_DEP_1)
	v_lshrrev_b32_e32 v62, s43, v62
	v_and_b32_e32 v64, s48, v62
	s_delay_alu instid0(VALU_DEP_1) | instskip(SKIP_1) | instid1(VALU_DEP_1)
	v_lshlrev_b32_e32 v65, 30, v64
	v_bitop3_b32 v63, v62, 1, s48 bitop3:0x80
	v_add_co_u32 v62, s17, v63, -1
	s_delay_alu instid0(VALU_DEP_1) | instskip(NEXT) | instid1(VALU_DEP_4)
	v_cndmask_b32_e64 v63, 0, 1, s17
	v_cmp_gt_i32_e64 s17, 0, v65
	s_delay_alu instid0(VALU_DEP_2) | instskip(SKIP_2) | instid1(VALU_DEP_2)
	v_cmp_ne_u32_e32 vcc_lo, 0, v63
	v_not_b32_e32 v63, v65
	v_bitop3_b32 v62, vcc_lo, exec_lo, v62 bitop3:0x48
	v_dual_ashrrev_i32 v63, 31, v63 :: v_dual_lshlrev_b32 v169, 29, v64
	v_dual_lshlrev_b32 v170, 28, v64 :: v_dual_lshlrev_b32 v171, 27, v64
	s_delay_alu instid0(VALU_DEP_2) | instskip(NEXT) | instid1(VALU_DEP_3)
	v_dual_lshlrev_b32 v172, 26, v64 :: v_dual_bitop2_b32 v63, s17, v63 bitop3:0x14
	v_not_b32_e32 v65, v169
	v_lshlrev_b32_e32 v173, 25, v64
	v_cmp_gt_i32_e64 s18, 0, v169
	v_cmp_gt_i32_e64 s19, 0, v170
	v_not_b32_e32 v169, v170
	v_not_b32_e32 v170, v171
	v_ashrrev_i32_e32 v65, 31, v65
	v_cmp_gt_i32_e64 s20, 0, v171
	v_cmp_gt_i32_e64 s21, 0, v172
	v_not_b32_e32 v171, v172
	v_dual_ashrrev_i32 v169, 31, v169 :: v_dual_ashrrev_i32 v170, 31, v170
	v_xor_b32_e32 v65, s18, v65
	v_not_b32_e32 v172, v173
	s_delay_alu instid0(VALU_DEP_3) | instskip(NEXT) | instid1(VALU_DEP_4)
	v_dual_ashrrev_i32 v171, 31, v171 :: v_dual_bitop2_b32 v169, s19, v169 bitop3:0x14
	v_xor_b32_e32 v170, s20, v170
	s_delay_alu instid0(VALU_DEP_4)
	v_bitop3_b32 v62, v62, v65, v63 bitop3:0x80
	v_cmp_gt_i32_e32 vcc_lo, 0, v173
	v_ashrrev_i32_e32 v63, 31, v172
	v_mad_u32_u24 v65, v64, 36, v114
	v_xor_b32_e32 v171, s21, v171
	v_bitop3_b32 v62, v62, v170, v169 bitop3:0x80
	s_delay_alu instid0(VALU_DEP_4) | instskip(SKIP_3) | instid1(VALU_DEP_2)
	v_xor_b32_e32 v63, vcc_lo, v63
	ds_load_b32 v169, v65 offset:544
	; wave barrier
	v_bitop3_b32 v62, v62, v63, v171 bitop3:0x80
	v_mul_u32_u24_e32 v63, 36, v64
	v_mbcnt_lo_u32_b32 v170, v62, 0
	v_cmp_ne_u32_e64 s17, 0, v62
	s_delay_alu instid0(VALU_DEP_3) | instskip(NEXT) | instid1(VALU_DEP_3)
	v_add_nc_u32_e32 v171, v114, v63
	v_cmp_eq_u32_e32 vcc_lo, 0, v170
	s_and_b32 s18, s17, vcc_lo
	s_delay_alu instid0(SALU_CYCLE_1)
	s_and_saveexec_b32 s17, s18
	s_cbranch_execz .LBB186_152
; %bb.151:                              ;   in Loop: Header=BB186_100 Depth=2
	s_wait_dscnt 0x0
	v_bcnt_u32_b32 v62, v62, v169
	ds_store_b32 v171, v62 offset:544
.LBB186_152:                            ;   in Loop: Header=BB186_100 Depth=2
	s_or_b32 exec_lo, exec_lo, s17
	v_and_b32_e32 v62, 0xff, v142
	; wave barrier
	s_delay_alu instid0(VALU_DEP_1) | instskip(NEXT) | instid1(VALU_DEP_1)
	v_lshrrev_b32_e32 v62, s43, v62
	v_and_b32_e32 v64, s48, v62
	s_delay_alu instid0(VALU_DEP_1) | instskip(SKIP_1) | instid1(VALU_DEP_1)
	v_lshlrev_b32_e32 v65, 30, v64
	v_bitop3_b32 v63, v62, 1, s48 bitop3:0x80
	v_add_co_u32 v62, s17, v63, -1
	s_delay_alu instid0(VALU_DEP_1) | instskip(NEXT) | instid1(VALU_DEP_4)
	v_cndmask_b32_e64 v63, 0, 1, s17
	v_cmp_gt_i32_e64 s17, 0, v65
	s_delay_alu instid0(VALU_DEP_2) | instskip(SKIP_2) | instid1(VALU_DEP_2)
	v_cmp_ne_u32_e32 vcc_lo, 0, v63
	v_not_b32_e32 v63, v65
	v_bitop3_b32 v62, vcc_lo, exec_lo, v62 bitop3:0x48
	v_dual_ashrrev_i32 v63, 31, v63 :: v_dual_lshlrev_b32 v172, 29, v64
	v_dual_lshlrev_b32 v173, 28, v64 :: v_dual_lshlrev_b32 v174, 27, v64
	v_lshlrev_b32_e32 v175, 26, v64
	s_delay_alu instid0(VALU_DEP_3)
	v_not_b32_e32 v65, v172
	v_lshlrev_b32_e32 v176, 25, v64
	v_cmp_gt_i32_e64 s18, 0, v172
	v_cmp_gt_i32_e64 s19, 0, v173
	v_not_b32_e32 v172, v173
	v_not_b32_e32 v173, v174
	v_ashrrev_i32_e32 v65, 31, v65
	v_cmp_gt_i32_e64 s20, 0, v174
	v_cmp_gt_i32_e64 s21, 0, v175
	v_not_b32_e32 v174, v175
	v_dual_ashrrev_i32 v172, 31, v172 :: v_dual_ashrrev_i32 v173, 31, v173
	v_xor_b32_e32 v63, s17, v63
	v_not_b32_e32 v175, v176
	s_delay_alu instid0(VALU_DEP_4) | instskip(NEXT) | instid1(VALU_DEP_4)
	v_dual_ashrrev_i32 v174, 31, v174 :: v_dual_bitop2_b32 v65, s18, v65 bitop3:0x14
	v_xor_b32_e32 v172, s19, v172
	v_xor_b32_e32 v173, s20, v173
	v_cmp_gt_i32_e32 vcc_lo, 0, v176
	s_delay_alu instid0(VALU_DEP_4) | instskip(SKIP_3) | instid1(VALU_DEP_4)
	v_bitop3_b32 v62, v62, v65, v63 bitop3:0x80
	v_ashrrev_i32_e32 v63, 31, v175
	v_mad_u32_u24 v65, v64, 36, v114
	v_xor_b32_e32 v174, s21, v174
	v_bitop3_b32 v62, v62, v173, v172 bitop3:0x80
	s_delay_alu instid0(VALU_DEP_4) | instskip(SKIP_3) | instid1(VALU_DEP_2)
	v_xor_b32_e32 v63, vcc_lo, v63
	ds_load_b32 v172, v65 offset:544
	; wave barrier
	v_bitop3_b32 v62, v62, v63, v174 bitop3:0x80
	v_mul_u32_u24_e32 v63, 36, v64
	v_mbcnt_lo_u32_b32 v173, v62, 0
	v_cmp_ne_u32_e64 s17, 0, v62
	s_delay_alu instid0(VALU_DEP_3) | instskip(NEXT) | instid1(VALU_DEP_3)
	v_add_nc_u32_e32 v174, v114, v63
	v_cmp_eq_u32_e32 vcc_lo, 0, v173
	s_and_b32 s18, s17, vcc_lo
	s_delay_alu instid0(SALU_CYCLE_1)
	s_and_saveexec_b32 s17, s18
	s_cbranch_execz .LBB186_154
; %bb.153:                              ;   in Loop: Header=BB186_100 Depth=2
	s_wait_dscnt 0x0
	v_bcnt_u32_b32 v62, v62, v172
	ds_store_b32 v174, v62 offset:544
.LBB186_154:                            ;   in Loop: Header=BB186_100 Depth=2
	s_or_b32 exec_lo, exec_lo, s17
	v_and_b32_e32 v62, 0xff, v143
	; wave barrier
	s_delay_alu instid0(VALU_DEP_1) | instskip(NEXT) | instid1(VALU_DEP_1)
	v_lshrrev_b32_e32 v62, s43, v62
	v_and_b32_e32 v64, s48, v62
	s_delay_alu instid0(VALU_DEP_1) | instskip(SKIP_1) | instid1(VALU_DEP_1)
	v_lshlrev_b32_e32 v65, 30, v64
	v_bitop3_b32 v63, v62, 1, s48 bitop3:0x80
	v_add_co_u32 v62, s17, v63, -1
	s_delay_alu instid0(VALU_DEP_1) | instskip(NEXT) | instid1(VALU_DEP_4)
	v_cndmask_b32_e64 v63, 0, 1, s17
	v_cmp_gt_i32_e64 s17, 0, v65
	s_delay_alu instid0(VALU_DEP_2) | instskip(SKIP_2) | instid1(VALU_DEP_2)
	v_cmp_ne_u32_e32 vcc_lo, 0, v63
	v_not_b32_e32 v63, v65
	v_bitop3_b32 v62, vcc_lo, exec_lo, v62 bitop3:0x48
	v_dual_ashrrev_i32 v63, 31, v63 :: v_dual_lshlrev_b32 v175, 29, v64
	v_dual_lshlrev_b32 v176, 28, v64 :: v_dual_lshlrev_b32 v177, 27, v64
	v_lshlrev_b32_e32 v178, 26, v64
	s_delay_alu instid0(VALU_DEP_3)
	v_not_b32_e32 v65, v175
	v_lshlrev_b32_e32 v179, 25, v64
	v_cmp_gt_i32_e64 s18, 0, v175
	v_cmp_gt_i32_e64 s19, 0, v176
	v_not_b32_e32 v175, v176
	v_not_b32_e32 v176, v177
	v_ashrrev_i32_e32 v65, 31, v65
	v_cmp_gt_i32_e64 s20, 0, v177
	v_cmp_gt_i32_e64 s21, 0, v178
	v_not_b32_e32 v177, v178
	v_dual_ashrrev_i32 v175, 31, v175 :: v_dual_ashrrev_i32 v176, 31, v176
	v_xor_b32_e32 v63, s17, v63
	v_not_b32_e32 v178, v179
	v_xor_b32_e32 v65, s18, v65
	s_delay_alu instid0(VALU_DEP_4) | instskip(SKIP_2) | instid1(VALU_DEP_4)
	v_dual_ashrrev_i32 v177, 31, v177 :: v_dual_bitop2_b32 v175, s19, v175 bitop3:0x14
	v_xor_b32_e32 v176, s20, v176
	v_cmp_gt_i32_e32 vcc_lo, 0, v179
	v_bitop3_b32 v62, v62, v65, v63 bitop3:0x80
	v_ashrrev_i32_e32 v63, 31, v178
	v_mad_u32_u24 v65, v64, 36, v114
	v_xor_b32_e32 v177, s21, v177
	s_delay_alu instid0(VALU_DEP_4) | instskip(NEXT) | instid1(VALU_DEP_4)
	v_bitop3_b32 v62, v62, v176, v175 bitop3:0x80
	v_xor_b32_e32 v63, vcc_lo, v63
	ds_load_b32 v175, v65 offset:544
	; wave barrier
	v_bitop3_b32 v62, v62, v63, v177 bitop3:0x80
	v_mul_u32_u24_e32 v63, 36, v64
	s_delay_alu instid0(VALU_DEP_2) | instskip(SKIP_1) | instid1(VALU_DEP_3)
	v_mbcnt_lo_u32_b32 v176, v62, 0
	v_cmp_ne_u32_e64 s17, 0, v62
	v_add_nc_u32_e32 v177, v114, v63
	s_delay_alu instid0(VALU_DEP_3) | instskip(SKIP_1) | instid1(SALU_CYCLE_1)
	v_cmp_eq_u32_e32 vcc_lo, 0, v176
	s_and_b32 s18, s17, vcc_lo
	s_and_saveexec_b32 s17, s18
	s_cbranch_execz .LBB186_156
; %bb.155:                              ;   in Loop: Header=BB186_100 Depth=2
	s_wait_dscnt 0x0
	v_bcnt_u32_b32 v62, v62, v175
	ds_store_b32 v177, v62 offset:544
.LBB186_156:                            ;   in Loop: Header=BB186_100 Depth=2
	s_or_b32 exec_lo, exec_lo, s17
	v_and_b32_e32 v62, 0xff, v144
	; wave barrier
	s_delay_alu instid0(VALU_DEP_1) | instskip(NEXT) | instid1(VALU_DEP_1)
	v_lshrrev_b32_e32 v62, s43, v62
	v_and_b32_e32 v64, s48, v62
	s_delay_alu instid0(VALU_DEP_1) | instskip(SKIP_1) | instid1(VALU_DEP_1)
	v_lshlrev_b32_e32 v65, 30, v64
	v_bitop3_b32 v63, v62, 1, s48 bitop3:0x80
	v_add_co_u32 v62, s17, v63, -1
	s_delay_alu instid0(VALU_DEP_1) | instskip(NEXT) | instid1(VALU_DEP_4)
	v_cndmask_b32_e64 v63, 0, 1, s17
	v_cmp_gt_i32_e64 s17, 0, v65
	s_delay_alu instid0(VALU_DEP_2) | instskip(SKIP_2) | instid1(VALU_DEP_2)
	v_cmp_ne_u32_e32 vcc_lo, 0, v63
	v_not_b32_e32 v63, v65
	v_bitop3_b32 v62, vcc_lo, exec_lo, v62 bitop3:0x48
	v_dual_ashrrev_i32 v63, 31, v63 :: v_dual_lshlrev_b32 v178, 29, v64
	v_dual_lshlrev_b32 v179, 28, v64 :: v_dual_lshlrev_b32 v180, 27, v64
	v_lshlrev_b32_e32 v181, 26, v64
	s_delay_alu instid0(VALU_DEP_3)
	v_not_b32_e32 v65, v178
	v_lshlrev_b32_e32 v182, 25, v64
	v_cmp_gt_i32_e64 s18, 0, v178
	v_cmp_gt_i32_e64 s19, 0, v179
	v_not_b32_e32 v178, v179
	v_not_b32_e32 v179, v180
	v_ashrrev_i32_e32 v65, 31, v65
	v_cmp_gt_i32_e64 s20, 0, v180
	v_cmp_gt_i32_e64 s21, 0, v181
	v_not_b32_e32 v180, v181
	v_dual_ashrrev_i32 v178, 31, v178 :: v_dual_ashrrev_i32 v179, 31, v179
	v_xor_b32_e32 v63, s17, v63
	v_xor_b32_e32 v65, s18, v65
	v_not_b32_e32 v181, v182
	s_delay_alu instid0(VALU_DEP_4) | instskip(SKIP_1) | instid1(VALU_DEP_4)
	v_dual_ashrrev_i32 v180, 31, v180 :: v_dual_bitop2_b32 v178, s19, v178 bitop3:0x14
	v_xor_b32_e32 v179, s20, v179
	v_bitop3_b32 v62, v62, v65, v63 bitop3:0x80
	v_cmp_gt_i32_e32 vcc_lo, 0, v182
	v_ashrrev_i32_e32 v63, 31, v181
	v_mad_u32_u24 v65, v64, 36, v114
	v_xor_b32_e32 v180, s21, v180
	v_bitop3_b32 v62, v62, v179, v178 bitop3:0x80
	s_delay_alu instid0(VALU_DEP_4) | instskip(SKIP_3) | instid1(VALU_DEP_2)
	v_xor_b32_e32 v63, vcc_lo, v63
	ds_load_b32 v178, v65 offset:544
	; wave barrier
	v_bitop3_b32 v62, v62, v63, v180 bitop3:0x80
	v_mul_u32_u24_e32 v63, 36, v64
	v_mbcnt_lo_u32_b32 v179, v62, 0
	v_cmp_ne_u32_e64 s17, 0, v62
	s_delay_alu instid0(VALU_DEP_3) | instskip(NEXT) | instid1(VALU_DEP_3)
	v_add_nc_u32_e32 v180, v114, v63
	v_cmp_eq_u32_e32 vcc_lo, 0, v179
	s_and_b32 s18, s17, vcc_lo
	s_delay_alu instid0(SALU_CYCLE_1)
	s_and_saveexec_b32 s17, s18
	s_cbranch_execz .LBB186_158
; %bb.157:                              ;   in Loop: Header=BB186_100 Depth=2
	s_wait_dscnt 0x0
	v_bcnt_u32_b32 v62, v62, v178
	ds_store_b32 v180, v62 offset:544
.LBB186_158:                            ;   in Loop: Header=BB186_100 Depth=2
	s_or_b32 exec_lo, exec_lo, s17
	v_and_b32_e32 v62, 0xff, v145
	; wave barrier
	s_delay_alu instid0(VALU_DEP_1) | instskip(NEXT) | instid1(VALU_DEP_1)
	v_lshrrev_b32_e32 v62, s43, v62
	v_and_b32_e32 v64, s48, v62
	s_delay_alu instid0(VALU_DEP_1) | instskip(SKIP_1) | instid1(VALU_DEP_1)
	v_lshlrev_b32_e32 v65, 30, v64
	v_bitop3_b32 v63, v62, 1, s48 bitop3:0x80
	v_add_co_u32 v62, s17, v63, -1
	s_delay_alu instid0(VALU_DEP_1) | instskip(NEXT) | instid1(VALU_DEP_4)
	v_cndmask_b32_e64 v63, 0, 1, s17
	v_cmp_gt_i32_e64 s17, 0, v65
	s_delay_alu instid0(VALU_DEP_2) | instskip(SKIP_2) | instid1(VALU_DEP_2)
	v_cmp_ne_u32_e32 vcc_lo, 0, v63
	v_not_b32_e32 v63, v65
	v_bitop3_b32 v62, vcc_lo, exec_lo, v62 bitop3:0x48
	v_dual_ashrrev_i32 v63, 31, v63 :: v_dual_lshlrev_b32 v181, 29, v64
	v_dual_lshlrev_b32 v182, 28, v64 :: v_dual_lshlrev_b32 v183, 27, v64
	s_delay_alu instid0(VALU_DEP_2) | instskip(NEXT) | instid1(VALU_DEP_3)
	v_dual_lshlrev_b32 v184, 26, v64 :: v_dual_bitop2_b32 v63, s17, v63 bitop3:0x14
	v_not_b32_e32 v65, v181
	v_lshlrev_b32_e32 v185, 25, v64
	v_cmp_gt_i32_e64 s18, 0, v181
	v_cmp_gt_i32_e64 s19, 0, v182
	v_not_b32_e32 v181, v182
	v_not_b32_e32 v182, v183
	v_ashrrev_i32_e32 v65, 31, v65
	v_cmp_gt_i32_e64 s20, 0, v183
	v_cmp_gt_i32_e64 s21, 0, v184
	v_not_b32_e32 v183, v184
	v_dual_ashrrev_i32 v181, 31, v181 :: v_dual_ashrrev_i32 v182, 31, v182
	v_xor_b32_e32 v65, s18, v65
	v_not_b32_e32 v184, v185
	s_delay_alu instid0(VALU_DEP_3) | instskip(NEXT) | instid1(VALU_DEP_4)
	v_dual_ashrrev_i32 v183, 31, v183 :: v_dual_bitop2_b32 v181, s19, v181 bitop3:0x14
	v_xor_b32_e32 v182, s20, v182
	s_delay_alu instid0(VALU_DEP_4)
	v_bitop3_b32 v62, v62, v65, v63 bitop3:0x80
	v_cmp_gt_i32_e32 vcc_lo, 0, v185
	v_ashrrev_i32_e32 v63, 31, v184
	v_mad_u32_u24 v65, v64, 36, v114
	v_xor_b32_e32 v183, s21, v183
	v_bitop3_b32 v62, v62, v182, v181 bitop3:0x80
	s_delay_alu instid0(VALU_DEP_4) | instskip(SKIP_3) | instid1(VALU_DEP_2)
	v_xor_b32_e32 v63, vcc_lo, v63
	ds_load_b32 v181, v65 offset:544
	; wave barrier
	v_bitop3_b32 v62, v62, v63, v183 bitop3:0x80
	v_mul_u32_u24_e32 v63, 36, v64
	v_mbcnt_lo_u32_b32 v182, v62, 0
	v_cmp_ne_u32_e64 s17, 0, v62
	s_delay_alu instid0(VALU_DEP_3) | instskip(NEXT) | instid1(VALU_DEP_3)
	v_add_nc_u32_e32 v183, v114, v63
	v_cmp_eq_u32_e32 vcc_lo, 0, v182
	s_and_b32 s18, s17, vcc_lo
	s_delay_alu instid0(SALU_CYCLE_1)
	s_and_saveexec_b32 s17, s18
	s_cbranch_execz .LBB186_160
; %bb.159:                              ;   in Loop: Header=BB186_100 Depth=2
	s_wait_dscnt 0x0
	v_bcnt_u32_b32 v62, v62, v181
	ds_store_b32 v183, v62 offset:544
.LBB186_160:                            ;   in Loop: Header=BB186_100 Depth=2
	s_or_b32 exec_lo, exec_lo, s17
	v_and_b32_e32 v62, 0xff, v146
	; wave barrier
	s_delay_alu instid0(VALU_DEP_1) | instskip(NEXT) | instid1(VALU_DEP_1)
	v_lshrrev_b32_e32 v62, s43, v62
	v_and_b32_e32 v64, s48, v62
	s_delay_alu instid0(VALU_DEP_1) | instskip(SKIP_1) | instid1(VALU_DEP_1)
	v_lshlrev_b32_e32 v65, 30, v64
	v_bitop3_b32 v63, v62, 1, s48 bitop3:0x80
	v_add_co_u32 v62, s17, v63, -1
	s_delay_alu instid0(VALU_DEP_1) | instskip(NEXT) | instid1(VALU_DEP_4)
	v_cndmask_b32_e64 v63, 0, 1, s17
	v_cmp_gt_i32_e64 s17, 0, v65
	s_delay_alu instid0(VALU_DEP_2) | instskip(SKIP_2) | instid1(VALU_DEP_2)
	v_cmp_ne_u32_e32 vcc_lo, 0, v63
	v_not_b32_e32 v63, v65
	v_bitop3_b32 v62, vcc_lo, exec_lo, v62 bitop3:0x48
	v_dual_ashrrev_i32 v63, 31, v63 :: v_dual_lshlrev_b32 v184, 29, v64
	v_dual_lshlrev_b32 v185, 28, v64 :: v_dual_lshlrev_b32 v186, 27, v64
	v_lshlrev_b32_e32 v187, 26, v64
	s_delay_alu instid0(VALU_DEP_3)
	v_not_b32_e32 v65, v184
	v_lshlrev_b32_e32 v188, 25, v64
	v_cmp_gt_i32_e64 s18, 0, v184
	v_cmp_gt_i32_e64 s19, 0, v185
	v_not_b32_e32 v184, v185
	v_not_b32_e32 v185, v186
	v_ashrrev_i32_e32 v65, 31, v65
	v_cmp_gt_i32_e64 s20, 0, v186
	v_cmp_gt_i32_e64 s21, 0, v187
	v_not_b32_e32 v186, v187
	v_dual_ashrrev_i32 v184, 31, v184 :: v_dual_ashrrev_i32 v185, 31, v185
	v_xor_b32_e32 v63, s17, v63
	v_not_b32_e32 v187, v188
	s_delay_alu instid0(VALU_DEP_4) | instskip(NEXT) | instid1(VALU_DEP_4)
	v_dual_ashrrev_i32 v186, 31, v186 :: v_dual_bitop2_b32 v65, s18, v65 bitop3:0x14
	v_xor_b32_e32 v184, s19, v184
	v_xor_b32_e32 v185, s20, v185
	v_cmp_gt_i32_e32 vcc_lo, 0, v188
	s_delay_alu instid0(VALU_DEP_4) | instskip(SKIP_3) | instid1(VALU_DEP_4)
	v_bitop3_b32 v62, v62, v65, v63 bitop3:0x80
	v_ashrrev_i32_e32 v63, 31, v187
	v_mad_u32_u24 v65, v64, 36, v114
	v_xor_b32_e32 v186, s21, v186
	v_bitop3_b32 v62, v62, v185, v184 bitop3:0x80
	s_delay_alu instid0(VALU_DEP_4) | instskip(SKIP_3) | instid1(VALU_DEP_2)
	v_xor_b32_e32 v63, vcc_lo, v63
	ds_load_b32 v184, v65 offset:544
	; wave barrier
	v_bitop3_b32 v62, v62, v63, v186 bitop3:0x80
	v_mul_u32_u24_e32 v63, 36, v64
	v_mbcnt_lo_u32_b32 v185, v62, 0
	v_cmp_ne_u32_e64 s17, 0, v62
	s_delay_alu instid0(VALU_DEP_3) | instskip(NEXT) | instid1(VALU_DEP_3)
	v_add_nc_u32_e32 v186, v114, v63
	v_cmp_eq_u32_e32 vcc_lo, 0, v185
	s_and_b32 s18, s17, vcc_lo
	s_delay_alu instid0(SALU_CYCLE_1)
	s_and_saveexec_b32 s17, s18
	s_cbranch_execz .LBB186_162
; %bb.161:                              ;   in Loop: Header=BB186_100 Depth=2
	s_wait_dscnt 0x0
	v_bcnt_u32_b32 v62, v62, v184
	ds_store_b32 v186, v62 offset:544
.LBB186_162:                            ;   in Loop: Header=BB186_100 Depth=2
	s_or_b32 exec_lo, exec_lo, s17
	v_and_b32_e32 v62, 0xff, v147
	; wave barrier
	s_delay_alu instid0(VALU_DEP_1) | instskip(NEXT) | instid1(VALU_DEP_1)
	v_lshrrev_b32_e32 v62, s43, v62
	v_and_b32_e32 v64, s48, v62
	s_delay_alu instid0(VALU_DEP_1) | instskip(SKIP_1) | instid1(VALU_DEP_1)
	v_lshlrev_b32_e32 v65, 30, v64
	v_bitop3_b32 v63, v62, 1, s48 bitop3:0x80
	v_add_co_u32 v62, s17, v63, -1
	s_delay_alu instid0(VALU_DEP_1) | instskip(NEXT) | instid1(VALU_DEP_4)
	v_cndmask_b32_e64 v63, 0, 1, s17
	v_cmp_gt_i32_e64 s17, 0, v65
	s_delay_alu instid0(VALU_DEP_2) | instskip(SKIP_2) | instid1(VALU_DEP_2)
	v_cmp_ne_u32_e32 vcc_lo, 0, v63
	v_not_b32_e32 v63, v65
	v_bitop3_b32 v62, vcc_lo, exec_lo, v62 bitop3:0x48
	v_dual_ashrrev_i32 v63, 31, v63 :: v_dual_lshlrev_b32 v187, 29, v64
	v_dual_lshlrev_b32 v188, 28, v64 :: v_dual_lshlrev_b32 v189, 27, v64
	v_lshlrev_b32_e32 v190, 26, v64
	s_delay_alu instid0(VALU_DEP_3)
	v_not_b32_e32 v65, v187
	v_lshlrev_b32_e32 v191, 25, v64
	v_cmp_gt_i32_e64 s18, 0, v187
	v_cmp_gt_i32_e64 s19, 0, v188
	v_not_b32_e32 v187, v188
	v_not_b32_e32 v188, v189
	v_ashrrev_i32_e32 v65, 31, v65
	v_cmp_gt_i32_e64 s20, 0, v189
	v_cmp_gt_i32_e64 s21, 0, v190
	v_not_b32_e32 v189, v190
	v_dual_ashrrev_i32 v187, 31, v187 :: v_dual_ashrrev_i32 v188, 31, v188
	v_xor_b32_e32 v63, s17, v63
	v_not_b32_e32 v190, v191
	v_xor_b32_e32 v65, s18, v65
	s_delay_alu instid0(VALU_DEP_4) | instskip(SKIP_2) | instid1(VALU_DEP_4)
	v_dual_ashrrev_i32 v189, 31, v189 :: v_dual_bitop2_b32 v187, s19, v187 bitop3:0x14
	v_xor_b32_e32 v188, s20, v188
	v_cmp_gt_i32_e32 vcc_lo, 0, v191
	v_bitop3_b32 v62, v62, v65, v63 bitop3:0x80
	v_ashrrev_i32_e32 v63, 31, v190
	v_mad_u32_u24 v65, v64, 36, v114
	v_xor_b32_e32 v189, s21, v189
	s_delay_alu instid0(VALU_DEP_4) | instskip(NEXT) | instid1(VALU_DEP_4)
	v_bitop3_b32 v62, v62, v188, v187 bitop3:0x80
	v_xor_b32_e32 v63, vcc_lo, v63
	ds_load_b32 v187, v65 offset:544
	; wave barrier
	v_bitop3_b32 v62, v62, v63, v189 bitop3:0x80
	v_mul_u32_u24_e32 v63, 36, v64
	s_delay_alu instid0(VALU_DEP_2) | instskip(SKIP_1) | instid1(VALU_DEP_3)
	v_mbcnt_lo_u32_b32 v188, v62, 0
	v_cmp_ne_u32_e64 s17, 0, v62
	v_add_nc_u32_e32 v189, v114, v63
	s_delay_alu instid0(VALU_DEP_3) | instskip(SKIP_1) | instid1(SALU_CYCLE_1)
	v_cmp_eq_u32_e32 vcc_lo, 0, v188
	s_and_b32 s18, s17, vcc_lo
	s_and_saveexec_b32 s17, s18
	s_cbranch_execz .LBB186_164
; %bb.163:                              ;   in Loop: Header=BB186_100 Depth=2
	s_wait_dscnt 0x0
	v_bcnt_u32_b32 v62, v62, v187
	ds_store_b32 v189, v62 offset:544
.LBB186_164:                            ;   in Loop: Header=BB186_100 Depth=2
	s_or_b32 exec_lo, exec_lo, s17
	v_and_b32_e32 v62, 0xff, v148
	; wave barrier
	s_delay_alu instid0(VALU_DEP_1) | instskip(NEXT) | instid1(VALU_DEP_1)
	v_lshrrev_b32_e32 v62, s43, v62
	v_and_b32_e32 v64, s48, v62
	s_delay_alu instid0(VALU_DEP_1) | instskip(SKIP_1) | instid1(VALU_DEP_1)
	v_lshlrev_b32_e32 v65, 30, v64
	v_bitop3_b32 v63, v62, 1, s48 bitop3:0x80
	v_add_co_u32 v62, s17, v63, -1
	s_delay_alu instid0(VALU_DEP_1) | instskip(NEXT) | instid1(VALU_DEP_4)
	v_cndmask_b32_e64 v63, 0, 1, s17
	v_cmp_gt_i32_e64 s17, 0, v65
	s_delay_alu instid0(VALU_DEP_2) | instskip(SKIP_2) | instid1(VALU_DEP_2)
	v_cmp_ne_u32_e32 vcc_lo, 0, v63
	v_not_b32_e32 v63, v65
	v_bitop3_b32 v62, vcc_lo, exec_lo, v62 bitop3:0x48
	v_dual_ashrrev_i32 v63, 31, v63 :: v_dual_lshlrev_b32 v190, 29, v64
	v_dual_lshlrev_b32 v191, 28, v64 :: v_dual_lshlrev_b32 v192, 27, v64
	v_lshlrev_b32_e32 v193, 26, v64
	s_delay_alu instid0(VALU_DEP_3)
	v_not_b32_e32 v65, v190
	v_lshlrev_b32_e32 v194, 25, v64
	v_cmp_gt_i32_e64 s18, 0, v190
	v_cmp_gt_i32_e64 s19, 0, v191
	v_not_b32_e32 v190, v191
	v_not_b32_e32 v191, v192
	v_ashrrev_i32_e32 v65, 31, v65
	v_cmp_gt_i32_e64 s20, 0, v192
	v_cmp_gt_i32_e64 s21, 0, v193
	v_not_b32_e32 v192, v193
	v_dual_ashrrev_i32 v190, 31, v190 :: v_dual_ashrrev_i32 v191, 31, v191
	v_xor_b32_e32 v63, s17, v63
	v_xor_b32_e32 v65, s18, v65
	v_not_b32_e32 v193, v194
	s_delay_alu instid0(VALU_DEP_4) | instskip(SKIP_1) | instid1(VALU_DEP_4)
	v_dual_ashrrev_i32 v192, 31, v192 :: v_dual_bitop2_b32 v190, s19, v190 bitop3:0x14
	v_xor_b32_e32 v191, s20, v191
	v_bitop3_b32 v62, v62, v65, v63 bitop3:0x80
	v_cmp_gt_i32_e32 vcc_lo, 0, v194
	v_ashrrev_i32_e32 v63, 31, v193
	v_mad_u32_u24 v65, v64, 36, v114
	v_xor_b32_e32 v192, s21, v192
	v_bitop3_b32 v62, v62, v191, v190 bitop3:0x80
	s_delay_alu instid0(VALU_DEP_4) | instskip(SKIP_3) | instid1(VALU_DEP_2)
	v_xor_b32_e32 v63, vcc_lo, v63
	ds_load_b32 v190, v65 offset:544
	; wave barrier
	v_bitop3_b32 v62, v62, v63, v192 bitop3:0x80
	v_mul_u32_u24_e32 v63, 36, v64
	v_mbcnt_lo_u32_b32 v191, v62, 0
	v_cmp_ne_u32_e64 s17, 0, v62
	s_delay_alu instid0(VALU_DEP_3) | instskip(NEXT) | instid1(VALU_DEP_3)
	v_add_nc_u32_e32 v192, v114, v63
	v_cmp_eq_u32_e32 vcc_lo, 0, v191
	s_and_b32 s18, s17, vcc_lo
	s_delay_alu instid0(SALU_CYCLE_1)
	s_and_saveexec_b32 s17, s18
	s_cbranch_execz .LBB186_166
; %bb.165:                              ;   in Loop: Header=BB186_100 Depth=2
	s_wait_dscnt 0x0
	v_bcnt_u32_b32 v62, v62, v190
	ds_store_b32 v192, v62 offset:544
.LBB186_166:                            ;   in Loop: Header=BB186_100 Depth=2
	s_or_b32 exec_lo, exec_lo, s17
	v_and_b32_e32 v62, 0xff, v149
	; wave barrier
	s_delay_alu instid0(VALU_DEP_1) | instskip(NEXT) | instid1(VALU_DEP_1)
	v_lshrrev_b32_e32 v62, s43, v62
	v_and_b32_e32 v64, s48, v62
	s_delay_alu instid0(VALU_DEP_1) | instskip(SKIP_1) | instid1(VALU_DEP_1)
	v_lshlrev_b32_e32 v65, 30, v64
	v_bitop3_b32 v63, v62, 1, s48 bitop3:0x80
	v_add_co_u32 v62, s17, v63, -1
	s_delay_alu instid0(VALU_DEP_1) | instskip(NEXT) | instid1(VALU_DEP_4)
	v_cndmask_b32_e64 v63, 0, 1, s17
	v_cmp_gt_i32_e64 s17, 0, v65
	s_delay_alu instid0(VALU_DEP_2) | instskip(SKIP_2) | instid1(VALU_DEP_2)
	v_cmp_ne_u32_e32 vcc_lo, 0, v63
	v_not_b32_e32 v63, v65
	v_bitop3_b32 v62, vcc_lo, exec_lo, v62 bitop3:0x48
	v_dual_ashrrev_i32 v63, 31, v63 :: v_dual_lshlrev_b32 v193, 29, v64
	v_dual_lshlrev_b32 v194, 28, v64 :: v_dual_lshlrev_b32 v195, 27, v64
	s_delay_alu instid0(VALU_DEP_2) | instskip(NEXT) | instid1(VALU_DEP_3)
	v_dual_lshlrev_b32 v196, 26, v64 :: v_dual_bitop2_b32 v63, s17, v63 bitop3:0x14
	v_not_b32_e32 v65, v193
	v_lshlrev_b32_e32 v197, 25, v64
	v_cmp_gt_i32_e64 s18, 0, v193
	v_cmp_gt_i32_e64 s19, 0, v194
	v_not_b32_e32 v193, v194
	v_not_b32_e32 v194, v195
	v_ashrrev_i32_e32 v65, 31, v65
	v_cmp_gt_i32_e64 s20, 0, v195
	v_cmp_gt_i32_e64 s21, 0, v196
	v_not_b32_e32 v195, v196
	v_dual_ashrrev_i32 v193, 31, v193 :: v_dual_ashrrev_i32 v194, 31, v194
	v_xor_b32_e32 v65, s18, v65
	v_not_b32_e32 v196, v197
	s_delay_alu instid0(VALU_DEP_3) | instskip(NEXT) | instid1(VALU_DEP_4)
	v_dual_ashrrev_i32 v195, 31, v195 :: v_dual_bitop2_b32 v193, s19, v193 bitop3:0x14
	v_xor_b32_e32 v194, s20, v194
	s_delay_alu instid0(VALU_DEP_4)
	v_bitop3_b32 v62, v62, v65, v63 bitop3:0x80
	v_cmp_gt_i32_e32 vcc_lo, 0, v197
	v_ashrrev_i32_e32 v63, 31, v196
	v_mad_u32_u24 v65, v64, 36, v114
	v_xor_b32_e32 v195, s21, v195
	v_bitop3_b32 v62, v62, v194, v193 bitop3:0x80
	s_delay_alu instid0(VALU_DEP_4) | instskip(SKIP_3) | instid1(VALU_DEP_2)
	v_xor_b32_e32 v63, vcc_lo, v63
	ds_load_b32 v193, v65 offset:544
	; wave barrier
	v_bitop3_b32 v62, v62, v63, v195 bitop3:0x80
	v_mul_u32_u24_e32 v63, 36, v64
	v_mbcnt_lo_u32_b32 v194, v62, 0
	v_cmp_ne_u32_e64 s17, 0, v62
	s_delay_alu instid0(VALU_DEP_3) | instskip(NEXT) | instid1(VALU_DEP_3)
	v_add_nc_u32_e32 v195, v114, v63
	v_cmp_eq_u32_e32 vcc_lo, 0, v194
	s_and_b32 s18, s17, vcc_lo
	s_delay_alu instid0(SALU_CYCLE_1)
	s_and_saveexec_b32 s17, s18
	s_cbranch_execz .LBB186_168
; %bb.167:                              ;   in Loop: Header=BB186_100 Depth=2
	s_wait_dscnt 0x0
	v_bcnt_u32_b32 v62, v62, v193
	ds_store_b32 v195, v62 offset:544
.LBB186_168:                            ;   in Loop: Header=BB186_100 Depth=2
	s_or_b32 exec_lo, exec_lo, s17
	v_and_b32_e32 v62, 0xff, v150
	; wave barrier
	s_delay_alu instid0(VALU_DEP_1) | instskip(NEXT) | instid1(VALU_DEP_1)
	v_lshrrev_b32_e32 v62, s43, v62
	v_and_b32_e32 v64, s48, v62
	s_delay_alu instid0(VALU_DEP_1) | instskip(SKIP_1) | instid1(VALU_DEP_1)
	v_lshlrev_b32_e32 v65, 30, v64
	v_bitop3_b32 v63, v62, 1, s48 bitop3:0x80
	v_add_co_u32 v62, s17, v63, -1
	s_delay_alu instid0(VALU_DEP_1) | instskip(NEXT) | instid1(VALU_DEP_4)
	v_cndmask_b32_e64 v63, 0, 1, s17
	v_cmp_gt_i32_e64 s17, 0, v65
	s_delay_alu instid0(VALU_DEP_2) | instskip(SKIP_2) | instid1(VALU_DEP_2)
	v_cmp_ne_u32_e32 vcc_lo, 0, v63
	v_not_b32_e32 v63, v65
	v_bitop3_b32 v62, vcc_lo, exec_lo, v62 bitop3:0x48
	v_dual_ashrrev_i32 v63, 31, v63 :: v_dual_lshlrev_b32 v196, 29, v64
	v_dual_lshlrev_b32 v197, 28, v64 :: v_dual_lshlrev_b32 v198, 27, v64
	v_lshlrev_b32_e32 v199, 26, v64
	s_delay_alu instid0(VALU_DEP_3)
	v_not_b32_e32 v65, v196
	v_lshlrev_b32_e32 v200, 25, v64
	v_cmp_gt_i32_e64 s18, 0, v196
	v_cmp_gt_i32_e64 s19, 0, v197
	v_not_b32_e32 v196, v197
	v_not_b32_e32 v197, v198
	v_ashrrev_i32_e32 v65, 31, v65
	v_cmp_gt_i32_e64 s20, 0, v198
	v_cmp_gt_i32_e64 s21, 0, v199
	v_not_b32_e32 v198, v199
	v_dual_ashrrev_i32 v196, 31, v196 :: v_dual_ashrrev_i32 v197, 31, v197
	v_xor_b32_e32 v63, s17, v63
	v_not_b32_e32 v199, v200
	s_delay_alu instid0(VALU_DEP_4) | instskip(NEXT) | instid1(VALU_DEP_4)
	v_dual_ashrrev_i32 v198, 31, v198 :: v_dual_bitop2_b32 v65, s18, v65 bitop3:0x14
	v_xor_b32_e32 v196, s19, v196
	v_xor_b32_e32 v197, s20, v197
	v_cmp_gt_i32_e32 vcc_lo, 0, v200
	s_delay_alu instid0(VALU_DEP_4) | instskip(SKIP_3) | instid1(VALU_DEP_4)
	v_bitop3_b32 v62, v62, v65, v63 bitop3:0x80
	v_ashrrev_i32_e32 v63, 31, v199
	v_mad_u32_u24 v65, v64, 36, v114
	v_xor_b32_e32 v198, s21, v198
	v_bitop3_b32 v62, v62, v197, v196 bitop3:0x80
	s_delay_alu instid0(VALU_DEP_4) | instskip(SKIP_3) | instid1(VALU_DEP_2)
	v_xor_b32_e32 v63, vcc_lo, v63
	ds_load_b32 v196, v65 offset:544
	; wave barrier
	v_bitop3_b32 v62, v62, v63, v198 bitop3:0x80
	v_mul_u32_u24_e32 v63, 36, v64
	v_mbcnt_lo_u32_b32 v197, v62, 0
	v_cmp_ne_u32_e64 s17, 0, v62
	s_delay_alu instid0(VALU_DEP_3) | instskip(NEXT) | instid1(VALU_DEP_3)
	v_add_nc_u32_e32 v198, v114, v63
	v_cmp_eq_u32_e32 vcc_lo, 0, v197
	s_and_b32 s18, s17, vcc_lo
	s_delay_alu instid0(SALU_CYCLE_1)
	s_and_saveexec_b32 s17, s18
	s_cbranch_execz .LBB186_170
; %bb.169:                              ;   in Loop: Header=BB186_100 Depth=2
	s_wait_dscnt 0x0
	v_bcnt_u32_b32 v62, v62, v196
	ds_store_b32 v198, v62 offset:544
.LBB186_170:                            ;   in Loop: Header=BB186_100 Depth=2
	s_or_b32 exec_lo, exec_lo, s17
	v_and_b32_e32 v62, 0xff, v151
	; wave barrier
	s_delay_alu instid0(VALU_DEP_1) | instskip(NEXT) | instid1(VALU_DEP_1)
	v_lshrrev_b32_e32 v62, s43, v62
	v_and_b32_e32 v64, s48, v62
	s_delay_alu instid0(VALU_DEP_1) | instskip(SKIP_1) | instid1(VALU_DEP_1)
	v_lshlrev_b32_e32 v65, 30, v64
	v_bitop3_b32 v63, v62, 1, s48 bitop3:0x80
	v_add_co_u32 v62, s17, v63, -1
	s_delay_alu instid0(VALU_DEP_1) | instskip(NEXT) | instid1(VALU_DEP_4)
	v_cndmask_b32_e64 v63, 0, 1, s17
	v_cmp_gt_i32_e64 s17, 0, v65
	s_delay_alu instid0(VALU_DEP_2) | instskip(SKIP_2) | instid1(VALU_DEP_2)
	v_cmp_ne_u32_e32 vcc_lo, 0, v63
	v_not_b32_e32 v63, v65
	v_bitop3_b32 v62, vcc_lo, exec_lo, v62 bitop3:0x48
	v_dual_ashrrev_i32 v63, 31, v63 :: v_dual_lshlrev_b32 v199, 29, v64
	v_dual_lshlrev_b32 v200, 28, v64 :: v_dual_lshlrev_b32 v201, 27, v64
	v_lshlrev_b32_e32 v202, 26, v64
	s_delay_alu instid0(VALU_DEP_3)
	v_not_b32_e32 v65, v199
	v_lshlrev_b32_e32 v203, 25, v64
	v_cmp_gt_i32_e64 s18, 0, v199
	v_cmp_gt_i32_e64 s19, 0, v200
	v_not_b32_e32 v199, v200
	v_not_b32_e32 v200, v201
	v_ashrrev_i32_e32 v65, 31, v65
	v_cmp_gt_i32_e64 s20, 0, v201
	v_cmp_gt_i32_e64 s21, 0, v202
	v_not_b32_e32 v201, v202
	v_dual_ashrrev_i32 v199, 31, v199 :: v_dual_ashrrev_i32 v200, 31, v200
	v_xor_b32_e32 v63, s17, v63
	v_not_b32_e32 v202, v203
	v_xor_b32_e32 v65, s18, v65
	s_delay_alu instid0(VALU_DEP_4) | instskip(SKIP_2) | instid1(VALU_DEP_4)
	v_dual_ashrrev_i32 v201, 31, v201 :: v_dual_bitop2_b32 v199, s19, v199 bitop3:0x14
	v_xor_b32_e32 v200, s20, v200
	v_cmp_gt_i32_e32 vcc_lo, 0, v203
	v_bitop3_b32 v62, v62, v65, v63 bitop3:0x80
	v_ashrrev_i32_e32 v63, 31, v202
	v_mad_u32_u24 v65, v64, 36, v114
	v_xor_b32_e32 v201, s21, v201
	s_delay_alu instid0(VALU_DEP_4) | instskip(NEXT) | instid1(VALU_DEP_4)
	v_bitop3_b32 v62, v62, v200, v199 bitop3:0x80
	v_xor_b32_e32 v63, vcc_lo, v63
	ds_load_b32 v199, v65 offset:544
	; wave barrier
	v_bitop3_b32 v62, v62, v63, v201 bitop3:0x80
	v_mul_u32_u24_e32 v63, 36, v64
	s_delay_alu instid0(VALU_DEP_2) | instskip(SKIP_1) | instid1(VALU_DEP_3)
	v_mbcnt_lo_u32_b32 v200, v62, 0
	v_cmp_ne_u32_e64 s17, 0, v62
	v_add_nc_u32_e32 v201, v114, v63
	s_delay_alu instid0(VALU_DEP_3) | instskip(SKIP_1) | instid1(SALU_CYCLE_1)
	v_cmp_eq_u32_e32 vcc_lo, 0, v200
	s_and_b32 s18, s17, vcc_lo
	s_and_saveexec_b32 s17, s18
	s_cbranch_execz .LBB186_172
; %bb.171:                              ;   in Loop: Header=BB186_100 Depth=2
	s_wait_dscnt 0x0
	v_bcnt_u32_b32 v62, v62, v199
	ds_store_b32 v201, v62 offset:544
.LBB186_172:                            ;   in Loop: Header=BB186_100 Depth=2
	s_or_b32 exec_lo, exec_lo, s17
	; wave barrier
	s_wait_dscnt 0x0
	s_barrier_signal -1
	s_barrier_wait -1
	ds_load_2addr_b32 v[64:65], v90 offset0:136 offset1:137
	ds_load_2addr_b32 v[62:63], v90 offset0:138 offset1:139
	ds_load_b32 v202, v90 offset:560
	s_wait_dscnt 0x1
	v_add3_u32 v203, v65, v64, v62
	s_wait_dscnt 0x0
	s_delay_alu instid0(VALU_DEP_1) | instskip(NEXT) | instid1(VALU_DEP_1)
	v_add3_u32 v202, v203, v63, v202
	v_mov_b32_dpp v203, v202 row_shr:1 row_mask:0xf bank_mask:0xf
	s_delay_alu instid0(VALU_DEP_1) | instskip(NEXT) | instid1(VALU_DEP_1)
	v_cndmask_b32_e64 v203, v203, 0, s8
	v_add_nc_u32_e32 v202, v203, v202
	s_delay_alu instid0(VALU_DEP_1) | instskip(NEXT) | instid1(VALU_DEP_1)
	v_mov_b32_dpp v203, v202 row_shr:2 row_mask:0xf bank_mask:0xf
	v_cndmask_b32_e64 v203, 0, v203, s9
	s_delay_alu instid0(VALU_DEP_1) | instskip(NEXT) | instid1(VALU_DEP_1)
	v_add_nc_u32_e32 v202, v202, v203
	v_mov_b32_dpp v203, v202 row_shr:4 row_mask:0xf bank_mask:0xf
	s_delay_alu instid0(VALU_DEP_1) | instskip(NEXT) | instid1(VALU_DEP_1)
	v_cndmask_b32_e64 v203, 0, v203, s10
	v_add_nc_u32_e32 v202, v202, v203
	s_delay_alu instid0(VALU_DEP_1) | instskip(NEXT) | instid1(VALU_DEP_1)
	v_mov_b32_dpp v203, v202 row_shr:8 row_mask:0xf bank_mask:0xf
	v_cndmask_b32_e64 v203, 0, v203, s11
	s_delay_alu instid0(VALU_DEP_1) | instskip(SKIP_3) | instid1(VALU_DEP_1)
	v_add_nc_u32_e32 v202, v202, v203
	ds_swizzle_b32 v203, v202 offset:swizzle(BROADCAST,32,15)
	s_wait_dscnt 0x0
	v_cndmask_b32_e64 v203, v203, 0, s12
	v_add_nc_u32_e32 v202, v202, v203
	s_and_saveexec_b32 s17, s2
; %bb.173:                              ;   in Loop: Header=BB186_100 Depth=2
	ds_store_b32 v83, v202 offset:512
; %bb.174:                              ;   in Loop: Header=BB186_100 Depth=2
	s_or_b32 exec_lo, exec_lo, s17
	s_wait_dscnt 0x0
	s_barrier_signal -1
	s_barrier_wait -1
	s_and_saveexec_b32 s17, s3
	s_cbranch_execz .LBB186_176
; %bb.175:                              ;   in Loop: Header=BB186_100 Depth=2
	ds_load_b32 v203, v92 offset:512
	s_wait_dscnt 0x0
	v_mov_b32_dpp v204, v203 row_shr:1 row_mask:0xf bank_mask:0xf
	s_delay_alu instid0(VALU_DEP_1) | instskip(NEXT) | instid1(VALU_DEP_1)
	v_cndmask_b32_e64 v204, v204, 0, s14
	v_add_nc_u32_e32 v203, v204, v203
	s_delay_alu instid0(VALU_DEP_1) | instskip(NEXT) | instid1(VALU_DEP_1)
	v_mov_b32_dpp v204, v203 row_shr:2 row_mask:0xf bank_mask:0xf
	v_cndmask_b32_e64 v204, 0, v204, s15
	s_delay_alu instid0(VALU_DEP_1) | instskip(NEXT) | instid1(VALU_DEP_1)
	v_add_nc_u32_e32 v203, v203, v204
	v_mov_b32_dpp v204, v203 row_shr:4 row_mask:0xf bank_mask:0xf
	s_delay_alu instid0(VALU_DEP_1) | instskip(NEXT) | instid1(VALU_DEP_1)
	v_cndmask_b32_e64 v204, 0, v204, s16
	v_add_nc_u32_e32 v203, v203, v204
	ds_store_b32 v92, v203 offset:512
.LBB186_176:                            ;   in Loop: Header=BB186_100 Depth=2
	s_or_b32 exec_lo, exec_lo, s17
	v_mov_b32_e32 v203, 0
	s_wait_dscnt 0x0
	s_barrier_signal -1
	s_barrier_wait -1
	s_and_saveexec_b32 s17, s5
; %bb.177:                              ;   in Loop: Header=BB186_100 Depth=2
	ds_load_b32 v203, v83 offset:508
; %bb.178:                              ;   in Loop: Header=BB186_100 Depth=2
	s_or_b32 exec_lo, exec_lo, s17
	s_wait_dscnt 0x0
	v_add_nc_u32_e32 v202, v203, v202
	ds_bpermute_b32 v202, v96, v202
	s_wait_dscnt 0x0
	v_cndmask_b32_e64 v202, v202, v203, s13
	s_delay_alu instid0(VALU_DEP_1) | instskip(NEXT) | instid1(VALU_DEP_1)
	v_cndmask_b32_e64 v202, v202, 0, s6
	v_add_nc_u32_e32 v64, v202, v64
	s_delay_alu instid0(VALU_DEP_1) | instskip(NEXT) | instid1(VALU_DEP_1)
	v_add_nc_u32_e32 v65, v64, v65
	v_add_nc_u32_e32 v62, v65, v62
	s_delay_alu instid0(VALU_DEP_1)
	v_add_nc_u32_e32 v63, v62, v63
	ds_store_2addr_b32 v90, v202, v64 offset0:136 offset1:137
	ds_store_2addr_b32 v90, v65, v62 offset0:138 offset1:139
	ds_store_b32 v90, v63 offset:560
	s_wait_dscnt 0x0
	s_barrier_signal -1
	s_barrier_wait -1
	ds_load_b32 v62, v153 offset:544
	ds_load_b32 v63, v156 offset:544
	;; [unrolled: 1-line block ×17, first 2 shown]
	s_and_saveexec_b32 s17, s0
	s_cbranch_execz .LBB186_182
; %bb.179:                              ;   in Loop: Header=BB186_100 Depth=2
	v_dual_mov_b32 v133, 0x1100 :: v_dual_add_nc_u32 v132, v92, v94
	ds_load_b32 v132, v132 offset:544
	s_and_saveexec_b32 s18, s7
; %bb.180:                              ;   in Loop: Header=BB186_100 Depth=2
	ds_load_b32 v133, v93 offset:544
; %bb.181:                              ;   in Loop: Header=BB186_100 Depth=2
	s_or_b32 exec_lo, exec_lo, s18
	s_wait_dscnt 0x0
	v_sub_nc_u32_e32 v133, v133, v132
.LBB186_182:                            ;   in Loop: Header=BB186_100 Depth=2
	s_or_b32 exec_lo, exec_lo, s17
	s_wait_dscnt 0x0
	s_barrier_signal -1
	s_barrier_wait -1
	s_and_saveexec_b32 s17, s0
	s_cbranch_execz .LBB186_184
; %bb.183:                              ;   in Loop: Header=BB186_100 Depth=2
	ds_load_b32 v162, v66
	s_wait_dscnt 0x0
	v_sub_nc_u32_e32 v162, v162, v132
	ds_store_b32 v66, v162
.LBB186_184:                            ;   in Loop: Header=BB186_100 Depth=2
	s_or_b32 exec_lo, exec_lo, s17
	v_add_nc_u32_e32 v174, v62, v152
	v_add3_u32 v171, v155, v154, v63
	v_add3_u32 v168, v158, v157, v64
	;; [unrolled: 1-line block ×16, first 2 shown]
	v_cmp_lt_u32_e32 vcc_lo, v2, v134
	ds_store_b8 v174, v135 offset:512
	ds_store_b8 v171, v136 offset:512
	;; [unrolled: 1-line block ×17, first 2 shown]
	s_wait_dscnt 0x0
	s_barrier_signal -1
	s_barrier_wait -1
	s_and_saveexec_b32 s17, vcc_lo
	s_cbranch_execnz .LBB186_257
; %bb.185:                              ;   in Loop: Header=BB186_100 Depth=2
	s_or_b32 exec_lo, exec_lo, s17
	v_cmp_lt_u32_e64 s17, v67, v134
	s_and_saveexec_b32 s18, s17
	s_cbranch_execnz .LBB186_258
.LBB186_186:                            ;   in Loop: Header=BB186_100 Depth=2
	s_or_b32 exec_lo, exec_lo, s18
	v_cmp_lt_u32_e64 s18, v68, v134
	s_and_saveexec_b32 s19, s18
	s_cbranch_execnz .LBB186_259
.LBB186_187:                            ;   in Loop: Header=BB186_100 Depth=2
	s_or_b32 exec_lo, exec_lo, s19
	v_cmp_lt_u32_e64 s19, v69, v134
	s_and_saveexec_b32 s20, s19
	s_cbranch_execnz .LBB186_260
.LBB186_188:                            ;   in Loop: Header=BB186_100 Depth=2
	s_or_b32 exec_lo, exec_lo, s20
	v_cmp_lt_u32_e64 s20, v70, v134
	s_and_saveexec_b32 s21, s20
	s_cbranch_execnz .LBB186_261
.LBB186_189:                            ;   in Loop: Header=BB186_100 Depth=2
	s_or_b32 exec_lo, exec_lo, s21
	v_cmp_lt_u32_e64 s21, v71, v134
	s_and_saveexec_b32 s22, s21
	s_cbranch_execnz .LBB186_262
.LBB186_190:                            ;   in Loop: Header=BB186_100 Depth=2
	s_or_b32 exec_lo, exec_lo, s22
	v_cmp_lt_u32_e64 s22, v72, v134
	s_and_saveexec_b32 s23, s22
	s_cbranch_execnz .LBB186_263
.LBB186_191:                            ;   in Loop: Header=BB186_100 Depth=2
	s_or_b32 exec_lo, exec_lo, s23
	v_cmp_lt_u32_e64 s23, v73, v134
	s_and_saveexec_b32 s24, s23
	s_cbranch_execnz .LBB186_264
.LBB186_192:                            ;   in Loop: Header=BB186_100 Depth=2
	s_or_b32 exec_lo, exec_lo, s24
	v_cmp_lt_u32_e64 s24, v74, v134
	s_and_saveexec_b32 s25, s24
	s_cbranch_execnz .LBB186_265
.LBB186_193:                            ;   in Loop: Header=BB186_100 Depth=2
	s_or_b32 exec_lo, exec_lo, s25
	v_cmp_lt_u32_e64 s25, v75, v134
	s_and_saveexec_b32 s26, s25
	s_cbranch_execnz .LBB186_266
.LBB186_194:                            ;   in Loop: Header=BB186_100 Depth=2
	s_or_b32 exec_lo, exec_lo, s26
	v_cmp_lt_u32_e64 s26, v76, v134
	s_and_saveexec_b32 s27, s26
	s_cbranch_execnz .LBB186_267
.LBB186_195:                            ;   in Loop: Header=BB186_100 Depth=2
	s_or_b32 exec_lo, exec_lo, s27
	v_cmp_lt_u32_e64 s27, v77, v134
	s_and_saveexec_b32 s28, s27
	s_cbranch_execnz .LBB186_268
.LBB186_196:                            ;   in Loop: Header=BB186_100 Depth=2
	s_or_b32 exec_lo, exec_lo, s28
	v_cmp_lt_u32_e64 s28, v78, v134
	s_and_saveexec_b32 s29, s28
	s_cbranch_execnz .LBB186_269
.LBB186_197:                            ;   in Loop: Header=BB186_100 Depth=2
	s_or_b32 exec_lo, exec_lo, s29
	v_cmp_lt_u32_e64 s29, v79, v134
	s_and_saveexec_b32 s30, s29
	s_cbranch_execnz .LBB186_270
.LBB186_198:                            ;   in Loop: Header=BB186_100 Depth=2
	s_or_b32 exec_lo, exec_lo, s30
	v_cmp_lt_u32_e64 s30, v80, v134
	s_and_saveexec_b32 s31, s30
	s_cbranch_execnz .LBB186_271
.LBB186_199:                            ;   in Loop: Header=BB186_100 Depth=2
	s_or_b32 exec_lo, exec_lo, s31
	v_cmp_lt_u32_e64 s31, v81, v134
	s_and_saveexec_b32 s33, s31
	s_cbranch_execnz .LBB186_272
.LBB186_200:                            ;   in Loop: Header=BB186_100 Depth=2
	s_or_b32 exec_lo, exec_lo, s33
	v_cmp_lt_u32_e64 s33, v82, v134
	s_and_saveexec_b32 s60, s33
	s_cbranch_execz .LBB186_202
.LBB186_201:                            ;   in Loop: Header=BB186_100 Depth=2
	ds_load_u8 v62, v2 offset:4608
	s_wait_dscnt 0x0
	v_and_b32_e32 v63, 0xff, v62
	s_delay_alu instid0(VALU_DEP_1) | instskip(NEXT) | instid1(VALU_DEP_1)
	v_lshrrev_b32_e32 v63, s43, v63
	v_and_b32_e32 v63, s48, v63
	s_delay_alu instid0(VALU_DEP_1)
	v_lshlrev_b32_e32 v63, 2, v63
	ds_load_b32 v63, v63
	s_wait_dscnt 0x0
	v_add_nc_u32_e32 v63, v63, v82
	global_store_b8 v63, v62, s[38:39]
.LBB186_202:                            ;   in Loop: Header=BB186_100 Depth=2
	s_wait_xcnt 0x0
	s_or_b32 exec_lo, exec_lo, s60
	v_lshl_add_u64 v[62:63], s[34:35], 3, v[24:25]
	v_cmp_lt_u32_e64 s34, v97, v134
	s_and_saveexec_b32 s60, s34
	s_delay_alu instid0(SALU_CYCLE_1)
	s_xor_b32 s34, exec_lo, s60
	s_cbranch_execnz .LBB186_273
; %bb.203:                              ;   in Loop: Header=BB186_100 Depth=2
	s_or_b32 exec_lo, exec_lo, s34
	s_delay_alu instid0(SALU_CYCLE_1)
	s_mov_b32 s60, exec_lo
	v_cmpx_lt_u32_e64 v98, v134
	s_cbranch_execnz .LBB186_274
.LBB186_204:                            ;   in Loop: Header=BB186_100 Depth=2
	s_or_b32 exec_lo, exec_lo, s60
	s_delay_alu instid0(SALU_CYCLE_1)
	s_mov_b32 s60, exec_lo
	v_cmpx_lt_u32_e64 v99, v134
	s_cbranch_execnz .LBB186_275
.LBB186_205:                            ;   in Loop: Header=BB186_100 Depth=2
	s_or_b32 exec_lo, exec_lo, s60
	s_delay_alu instid0(SALU_CYCLE_1)
	s_mov_b32 s60, exec_lo
	v_cmpx_lt_u32_e64 v100, v134
	s_cbranch_execnz .LBB186_276
.LBB186_206:                            ;   in Loop: Header=BB186_100 Depth=2
	s_or_b32 exec_lo, exec_lo, s60
	s_delay_alu instid0(SALU_CYCLE_1)
	s_mov_b32 s60, exec_lo
	v_cmpx_lt_u32_e64 v101, v134
	s_cbranch_execnz .LBB186_277
.LBB186_207:                            ;   in Loop: Header=BB186_100 Depth=2
	s_or_b32 exec_lo, exec_lo, s60
	s_delay_alu instid0(SALU_CYCLE_1)
	s_mov_b32 s60, exec_lo
	v_cmpx_lt_u32_e64 v102, v134
	s_cbranch_execnz .LBB186_278
.LBB186_208:                            ;   in Loop: Header=BB186_100 Depth=2
	s_or_b32 exec_lo, exec_lo, s60
	s_delay_alu instid0(SALU_CYCLE_1)
	s_mov_b32 s60, exec_lo
	v_cmpx_lt_u32_e64 v103, v134
	s_cbranch_execnz .LBB186_279
.LBB186_209:                            ;   in Loop: Header=BB186_100 Depth=2
	s_or_b32 exec_lo, exec_lo, s60
	s_delay_alu instid0(SALU_CYCLE_1)
	s_mov_b32 s60, exec_lo
	v_cmpx_lt_u32_e64 v104, v134
	s_cbranch_execnz .LBB186_280
.LBB186_210:                            ;   in Loop: Header=BB186_100 Depth=2
	s_or_b32 exec_lo, exec_lo, s60
	s_delay_alu instid0(SALU_CYCLE_1)
	s_mov_b32 s60, exec_lo
	v_cmpx_lt_u32_e64 v105, v134
	s_cbranch_execnz .LBB186_281
.LBB186_211:                            ;   in Loop: Header=BB186_100 Depth=2
	s_or_b32 exec_lo, exec_lo, s60
	s_delay_alu instid0(SALU_CYCLE_1)
	s_mov_b32 s60, exec_lo
	v_cmpx_lt_u32_e64 v106, v134
	s_cbranch_execnz .LBB186_282
.LBB186_212:                            ;   in Loop: Header=BB186_100 Depth=2
	s_or_b32 exec_lo, exec_lo, s60
	s_delay_alu instid0(SALU_CYCLE_1)
	s_mov_b32 s60, exec_lo
	v_cmpx_lt_u32_e64 v107, v134
	s_cbranch_execnz .LBB186_283
.LBB186_213:                            ;   in Loop: Header=BB186_100 Depth=2
	s_or_b32 exec_lo, exec_lo, s60
	s_delay_alu instid0(SALU_CYCLE_1)
	s_mov_b32 s60, exec_lo
	v_cmpx_lt_u32_e64 v108, v134
	s_cbranch_execnz .LBB186_284
.LBB186_214:                            ;   in Loop: Header=BB186_100 Depth=2
	s_or_b32 exec_lo, exec_lo, s60
	s_delay_alu instid0(SALU_CYCLE_1)
	s_mov_b32 s60, exec_lo
	v_cmpx_lt_u32_e64 v109, v134
	s_cbranch_execnz .LBB186_285
.LBB186_215:                            ;   in Loop: Header=BB186_100 Depth=2
	s_or_b32 exec_lo, exec_lo, s60
	s_delay_alu instid0(SALU_CYCLE_1)
	s_mov_b32 s60, exec_lo
	v_cmpx_lt_u32_e64 v110, v134
	s_cbranch_execnz .LBB186_286
.LBB186_216:                            ;   in Loop: Header=BB186_100 Depth=2
	s_or_b32 exec_lo, exec_lo, s60
	s_delay_alu instid0(SALU_CYCLE_1)
	s_mov_b32 s60, exec_lo
	v_cmpx_lt_u32_e64 v111, v134
	s_cbranch_execnz .LBB186_287
.LBB186_217:                            ;   in Loop: Header=BB186_100 Depth=2
	s_or_b32 exec_lo, exec_lo, s60
	s_delay_alu instid0(SALU_CYCLE_1)
	s_mov_b32 s60, exec_lo
	v_cmpx_lt_u32_e64 v112, v134
	s_cbranch_execnz .LBB186_288
.LBB186_218:                            ;   in Loop: Header=BB186_100 Depth=2
	s_or_b32 exec_lo, exec_lo, s60
	s_delay_alu instid0(SALU_CYCLE_1)
	s_mov_b32 s60, exec_lo
	v_cmpx_lt_u32_e64 v113, v134
	s_cbranch_execnz .LBB186_289
.LBB186_219:                            ;   in Loop: Header=BB186_100 Depth=2
	s_or_b32 exec_lo, exec_lo, s60
	s_and_saveexec_b32 s34, vcc_lo
	s_cbranch_execnz .LBB186_290
.LBB186_220:                            ;   in Loop: Header=BB186_100 Depth=2
	s_or_b32 exec_lo, exec_lo, s34
	s_and_saveexec_b32 s34, s17
	s_cbranch_execnz .LBB186_291
.LBB186_221:                            ;   in Loop: Header=BB186_100 Depth=2
	s_or_b32 exec_lo, exec_lo, s34
	s_and_saveexec_b32 s34, s18
	s_cbranch_execnz .LBB186_292
.LBB186_222:                            ;   in Loop: Header=BB186_100 Depth=2
	s_or_b32 exec_lo, exec_lo, s34
	s_and_saveexec_b32 s34, s19
	s_cbranch_execnz .LBB186_293
.LBB186_223:                            ;   in Loop: Header=BB186_100 Depth=2
	s_or_b32 exec_lo, exec_lo, s34
	s_and_saveexec_b32 s34, s20
	s_cbranch_execnz .LBB186_294
.LBB186_224:                            ;   in Loop: Header=BB186_100 Depth=2
	s_or_b32 exec_lo, exec_lo, s34
	s_and_saveexec_b32 s34, s21
	s_cbranch_execnz .LBB186_295
.LBB186_225:                            ;   in Loop: Header=BB186_100 Depth=2
	s_or_b32 exec_lo, exec_lo, s34
	s_and_saveexec_b32 s34, s22
	s_cbranch_execnz .LBB186_296
.LBB186_226:                            ;   in Loop: Header=BB186_100 Depth=2
	s_or_b32 exec_lo, exec_lo, s34
	s_and_saveexec_b32 s34, s23
	s_cbranch_execnz .LBB186_297
.LBB186_227:                            ;   in Loop: Header=BB186_100 Depth=2
	s_or_b32 exec_lo, exec_lo, s34
	s_and_saveexec_b32 s34, s24
	s_cbranch_execnz .LBB186_298
.LBB186_228:                            ;   in Loop: Header=BB186_100 Depth=2
	s_or_b32 exec_lo, exec_lo, s34
	s_and_saveexec_b32 s34, s25
	s_cbranch_execnz .LBB186_299
.LBB186_229:                            ;   in Loop: Header=BB186_100 Depth=2
	s_or_b32 exec_lo, exec_lo, s34
	s_and_saveexec_b32 s34, s26
	s_cbranch_execnz .LBB186_300
.LBB186_230:                            ;   in Loop: Header=BB186_100 Depth=2
	s_or_b32 exec_lo, exec_lo, s34
	s_and_saveexec_b32 s34, s27
	s_cbranch_execnz .LBB186_301
.LBB186_231:                            ;   in Loop: Header=BB186_100 Depth=2
	s_or_b32 exec_lo, exec_lo, s34
	s_and_saveexec_b32 s34, s28
	s_cbranch_execnz .LBB186_302
.LBB186_232:                            ;   in Loop: Header=BB186_100 Depth=2
	s_or_b32 exec_lo, exec_lo, s34
	s_and_saveexec_b32 s34, s29
	s_cbranch_execnz .LBB186_303
.LBB186_233:                            ;   in Loop: Header=BB186_100 Depth=2
	s_or_b32 exec_lo, exec_lo, s34
	s_and_saveexec_b32 s34, s30
	s_cbranch_execnz .LBB186_304
.LBB186_234:                            ;   in Loop: Header=BB186_100 Depth=2
	s_or_b32 exec_lo, exec_lo, s34
	s_and_saveexec_b32 s34, s31
	s_cbranch_execnz .LBB186_305
.LBB186_235:                            ;   in Loop: Header=BB186_100 Depth=2
	s_or_b32 exec_lo, exec_lo, s34
	s_and_saveexec_b32 s34, s33
	s_cbranch_execz .LBB186_237
.LBB186_236:                            ;   in Loop: Header=BB186_100 Depth=2
	ds_load_u8 v62, v2 offset:4608
	s_wait_dscnt 0x0
	v_lshrrev_b32_e32 v62, s43, v62
	s_delay_alu instid0(VALU_DEP_1)
	v_and_b32_e32 v115, s48, v62
.LBB186_237:                            ;   in Loop: Header=BB186_100 Depth=2
	s_or_b32 exec_lo, exec_lo, s34
	v_dual_lshlrev_b32 v62, 3, v174 :: v_dual_lshlrev_b32 v63, 3, v171
	s_wait_loadcnt 0x0
	s_wait_storecnt 0x0
	s_barrier_signal -1
	s_barrier_wait -1
	ds_store_b64 v62, v[60:61] offset:512
	ds_store_b64 v63, v[58:59] offset:512
	v_dual_lshlrev_b32 v62, 3, v168 :: v_dual_lshlrev_b32 v63, 3, v165
	v_dual_lshlrev_b32 v134, 3, v162 :: v_dual_lshlrev_b32 v135, 3, v161
	v_lshlrev_b32_e32 v136, 3, v160
	ds_store_b64 v62, v[56:57] offset:512
	ds_store_b64 v63, v[54:55] offset:512
	ds_store_b64 v134, v[52:53] offset:512
	ds_store_b64 v135, v[50:51] offset:512
	ds_store_b64 v136, v[48:49] offset:512
	v_dual_lshlrev_b32 v62, 3, v159 :: v_dual_lshlrev_b32 v63, 3, v158
	v_dual_lshlrev_b32 v134, 3, v157 :: v_dual_lshlrev_b32 v135, 3, v156
	v_lshlrev_b32_e32 v136, 3, v155
	ds_store_b64 v62, v[46:47] offset:512
	ds_store_b64 v63, v[44:45] offset:512
	ds_store_b64 v134, v[42:43] offset:512
	;; [unrolled: 8-line block ×3, first 2 shown]
	ds_store_b64 v65, v[30:31] offset:512
	ds_store_b64 v64, v[28:29] offset:512
	s_wait_dscnt 0x0
	s_barrier_signal -1
	s_barrier_wait -1
	s_and_saveexec_b32 s34, vcc_lo
	s_cbranch_execnz .LBB186_306
; %bb.238:                              ;   in Loop: Header=BB186_100 Depth=2
	s_or_b32 exec_lo, exec_lo, s34
	s_and_saveexec_b32 s34, s17
	s_cbranch_execnz .LBB186_307
.LBB186_239:                            ;   in Loop: Header=BB186_100 Depth=2
	s_or_b32 exec_lo, exec_lo, s34
	s_and_saveexec_b32 s17, s18
	s_cbranch_execnz .LBB186_308
.LBB186_240:                            ;   in Loop: Header=BB186_100 Depth=2
	s_or_b32 exec_lo, exec_lo, s17
	s_and_saveexec_b32 s17, s19
	s_cbranch_execnz .LBB186_309
.LBB186_241:                            ;   in Loop: Header=BB186_100 Depth=2
	s_or_b32 exec_lo, exec_lo, s17
	s_and_saveexec_b32 s17, s20
	s_cbranch_execnz .LBB186_310
.LBB186_242:                            ;   in Loop: Header=BB186_100 Depth=2
	s_or_b32 exec_lo, exec_lo, s17
	s_and_saveexec_b32 s17, s21
	s_cbranch_execnz .LBB186_311
.LBB186_243:                            ;   in Loop: Header=BB186_100 Depth=2
	s_or_b32 exec_lo, exec_lo, s17
	s_and_saveexec_b32 s17, s22
	s_cbranch_execnz .LBB186_312
.LBB186_244:                            ;   in Loop: Header=BB186_100 Depth=2
	s_or_b32 exec_lo, exec_lo, s17
	s_and_saveexec_b32 s17, s23
	s_cbranch_execnz .LBB186_313
.LBB186_245:                            ;   in Loop: Header=BB186_100 Depth=2
	s_or_b32 exec_lo, exec_lo, s17
	s_and_saveexec_b32 s17, s24
	s_cbranch_execnz .LBB186_314
.LBB186_246:                            ;   in Loop: Header=BB186_100 Depth=2
	s_or_b32 exec_lo, exec_lo, s17
	s_and_saveexec_b32 s17, s25
	s_cbranch_execnz .LBB186_315
.LBB186_247:                            ;   in Loop: Header=BB186_100 Depth=2
	s_or_b32 exec_lo, exec_lo, s17
	s_and_saveexec_b32 s17, s26
	s_cbranch_execnz .LBB186_316
.LBB186_248:                            ;   in Loop: Header=BB186_100 Depth=2
	s_or_b32 exec_lo, exec_lo, s17
	s_and_saveexec_b32 s17, s27
	s_cbranch_execnz .LBB186_317
.LBB186_249:                            ;   in Loop: Header=BB186_100 Depth=2
	s_or_b32 exec_lo, exec_lo, s17
	s_and_saveexec_b32 s17, s28
	s_cbranch_execnz .LBB186_318
.LBB186_250:                            ;   in Loop: Header=BB186_100 Depth=2
	s_or_b32 exec_lo, exec_lo, s17
	s_and_saveexec_b32 s17, s29
	s_cbranch_execnz .LBB186_319
.LBB186_251:                            ;   in Loop: Header=BB186_100 Depth=2
	s_or_b32 exec_lo, exec_lo, s17
	s_and_saveexec_b32 s17, s30
	s_cbranch_execnz .LBB186_320
.LBB186_252:                            ;   in Loop: Header=BB186_100 Depth=2
	s_or_b32 exec_lo, exec_lo, s17
	s_and_saveexec_b32 s17, s31
	s_cbranch_execnz .LBB186_321
.LBB186_253:                            ;   in Loop: Header=BB186_100 Depth=2
	s_or_b32 exec_lo, exec_lo, s17
	s_and_saveexec_b32 s17, s33
	s_cbranch_execz .LBB186_255
.LBB186_254:                            ;   in Loop: Header=BB186_100 Depth=2
	v_lshlrev_b32_e32 v62, 2, v115
	v_add_nc_u32_e32 v63, v2, v95
	ds_load_b32 v64, v62
	ds_load_b64 v[62:63], v63 offset:33280
	s_wait_dscnt 0x1
	v_add_nc_u32_e32 v64, v64, v82
	s_wait_dscnt 0x0
	global_store_b64 v64, v[62:63], s[44:45] scale_offset
.LBB186_255:                            ;   in Loop: Header=BB186_100 Depth=2
	s_wait_xcnt 0x0
	s_or_b32 exec_lo, exec_lo, s17
	s_wait_storecnt 0x0
	s_barrier_signal -1
	s_barrier_wait -1
	s_and_saveexec_b32 s17, s0
	s_cbranch_execz .LBB186_99
; %bb.256:                              ;   in Loop: Header=BB186_100 Depth=2
	ds_load_b32 v62, v66
	s_wait_dscnt 0x0
	v_add3_u32 v62, v132, v133, v62
	ds_store_b32 v66, v62
	s_branch .LBB186_99
.LBB186_257:                            ;   in Loop: Header=BB186_100 Depth=2
	ds_load_u8 v62, v2 offset:512
	s_wait_dscnt 0x0
	v_and_b32_e32 v63, 0xff, v62
	s_delay_alu instid0(VALU_DEP_1) | instskip(NEXT) | instid1(VALU_DEP_1)
	v_lshrrev_b32_e32 v63, s43, v63
	v_and_b32_e32 v63, s48, v63
	s_delay_alu instid0(VALU_DEP_1)
	v_lshlrev_b32_e32 v63, 2, v63
	ds_load_b32 v63, v63
	s_wait_dscnt 0x0
	v_add_nc_u32_e32 v63, v63, v2
	global_store_b8 v63, v62, s[38:39]
	s_wait_xcnt 0x0
	s_or_b32 exec_lo, exec_lo, s17
	v_cmp_lt_u32_e64 s17, v67, v134
	s_and_saveexec_b32 s18, s17
	s_cbranch_execz .LBB186_186
.LBB186_258:                            ;   in Loop: Header=BB186_100 Depth=2
	ds_load_u8 v62, v2 offset:768
	s_wait_dscnt 0x0
	v_and_b32_e32 v63, 0xff, v62
	s_delay_alu instid0(VALU_DEP_1) | instskip(NEXT) | instid1(VALU_DEP_1)
	v_lshrrev_b32_e32 v63, s43, v63
	v_and_b32_e32 v63, s48, v63
	s_delay_alu instid0(VALU_DEP_1)
	v_lshlrev_b32_e32 v63, 2, v63
	ds_load_b32 v63, v63
	s_wait_dscnt 0x0
	v_add_nc_u32_e32 v63, v63, v67
	global_store_b8 v63, v62, s[38:39]
	s_wait_xcnt 0x0
	s_or_b32 exec_lo, exec_lo, s18
	v_cmp_lt_u32_e64 s18, v68, v134
	s_and_saveexec_b32 s19, s18
	s_cbranch_execz .LBB186_187
.LBB186_259:                            ;   in Loop: Header=BB186_100 Depth=2
	ds_load_u8 v62, v2 offset:1024
	s_wait_dscnt 0x0
	v_and_b32_e32 v63, 0xff, v62
	s_delay_alu instid0(VALU_DEP_1) | instskip(NEXT) | instid1(VALU_DEP_1)
	v_lshrrev_b32_e32 v63, s43, v63
	v_and_b32_e32 v63, s48, v63
	s_delay_alu instid0(VALU_DEP_1)
	v_lshlrev_b32_e32 v63, 2, v63
	ds_load_b32 v63, v63
	s_wait_dscnt 0x0
	v_add_nc_u32_e32 v63, v63, v68
	global_store_b8 v63, v62, s[38:39]
	s_wait_xcnt 0x0
	s_or_b32 exec_lo, exec_lo, s19
	v_cmp_lt_u32_e64 s19, v69, v134
	s_and_saveexec_b32 s20, s19
	s_cbranch_execz .LBB186_188
.LBB186_260:                            ;   in Loop: Header=BB186_100 Depth=2
	ds_load_u8 v62, v2 offset:1280
	s_wait_dscnt 0x0
	v_and_b32_e32 v63, 0xff, v62
	s_delay_alu instid0(VALU_DEP_1) | instskip(NEXT) | instid1(VALU_DEP_1)
	v_lshrrev_b32_e32 v63, s43, v63
	v_and_b32_e32 v63, s48, v63
	s_delay_alu instid0(VALU_DEP_1)
	v_lshlrev_b32_e32 v63, 2, v63
	ds_load_b32 v63, v63
	s_wait_dscnt 0x0
	v_add_nc_u32_e32 v63, v63, v69
	global_store_b8 v63, v62, s[38:39]
	s_wait_xcnt 0x0
	s_or_b32 exec_lo, exec_lo, s20
	v_cmp_lt_u32_e64 s20, v70, v134
	s_and_saveexec_b32 s21, s20
	s_cbranch_execz .LBB186_189
.LBB186_261:                            ;   in Loop: Header=BB186_100 Depth=2
	ds_load_u8 v62, v2 offset:1536
	s_wait_dscnt 0x0
	v_and_b32_e32 v63, 0xff, v62
	s_delay_alu instid0(VALU_DEP_1) | instskip(NEXT) | instid1(VALU_DEP_1)
	v_lshrrev_b32_e32 v63, s43, v63
	v_and_b32_e32 v63, s48, v63
	s_delay_alu instid0(VALU_DEP_1)
	v_lshlrev_b32_e32 v63, 2, v63
	ds_load_b32 v63, v63
	s_wait_dscnt 0x0
	v_add_nc_u32_e32 v63, v63, v70
	global_store_b8 v63, v62, s[38:39]
	s_wait_xcnt 0x0
	s_or_b32 exec_lo, exec_lo, s21
	v_cmp_lt_u32_e64 s21, v71, v134
	s_and_saveexec_b32 s22, s21
	s_cbranch_execz .LBB186_190
.LBB186_262:                            ;   in Loop: Header=BB186_100 Depth=2
	ds_load_u8 v62, v2 offset:1792
	s_wait_dscnt 0x0
	v_and_b32_e32 v63, 0xff, v62
	s_delay_alu instid0(VALU_DEP_1) | instskip(NEXT) | instid1(VALU_DEP_1)
	v_lshrrev_b32_e32 v63, s43, v63
	v_and_b32_e32 v63, s48, v63
	s_delay_alu instid0(VALU_DEP_1)
	v_lshlrev_b32_e32 v63, 2, v63
	ds_load_b32 v63, v63
	s_wait_dscnt 0x0
	v_add_nc_u32_e32 v63, v63, v71
	global_store_b8 v63, v62, s[38:39]
	s_wait_xcnt 0x0
	s_or_b32 exec_lo, exec_lo, s22
	v_cmp_lt_u32_e64 s22, v72, v134
	s_and_saveexec_b32 s23, s22
	s_cbranch_execz .LBB186_191
.LBB186_263:                            ;   in Loop: Header=BB186_100 Depth=2
	ds_load_u8 v62, v2 offset:2048
	s_wait_dscnt 0x0
	v_and_b32_e32 v63, 0xff, v62
	s_delay_alu instid0(VALU_DEP_1) | instskip(NEXT) | instid1(VALU_DEP_1)
	v_lshrrev_b32_e32 v63, s43, v63
	v_and_b32_e32 v63, s48, v63
	s_delay_alu instid0(VALU_DEP_1)
	v_lshlrev_b32_e32 v63, 2, v63
	ds_load_b32 v63, v63
	s_wait_dscnt 0x0
	v_add_nc_u32_e32 v63, v63, v72
	global_store_b8 v63, v62, s[38:39]
	s_wait_xcnt 0x0
	s_or_b32 exec_lo, exec_lo, s23
	v_cmp_lt_u32_e64 s23, v73, v134
	s_and_saveexec_b32 s24, s23
	s_cbranch_execz .LBB186_192
.LBB186_264:                            ;   in Loop: Header=BB186_100 Depth=2
	ds_load_u8 v62, v2 offset:2304
	s_wait_dscnt 0x0
	v_and_b32_e32 v63, 0xff, v62
	s_delay_alu instid0(VALU_DEP_1) | instskip(NEXT) | instid1(VALU_DEP_1)
	v_lshrrev_b32_e32 v63, s43, v63
	v_and_b32_e32 v63, s48, v63
	s_delay_alu instid0(VALU_DEP_1)
	v_lshlrev_b32_e32 v63, 2, v63
	ds_load_b32 v63, v63
	s_wait_dscnt 0x0
	v_add_nc_u32_e32 v63, v63, v73
	global_store_b8 v63, v62, s[38:39]
	s_wait_xcnt 0x0
	s_or_b32 exec_lo, exec_lo, s24
	v_cmp_lt_u32_e64 s24, v74, v134
	s_and_saveexec_b32 s25, s24
	s_cbranch_execz .LBB186_193
.LBB186_265:                            ;   in Loop: Header=BB186_100 Depth=2
	ds_load_u8 v62, v2 offset:2560
	s_wait_dscnt 0x0
	v_and_b32_e32 v63, 0xff, v62
	s_delay_alu instid0(VALU_DEP_1) | instskip(NEXT) | instid1(VALU_DEP_1)
	v_lshrrev_b32_e32 v63, s43, v63
	v_and_b32_e32 v63, s48, v63
	s_delay_alu instid0(VALU_DEP_1)
	v_lshlrev_b32_e32 v63, 2, v63
	ds_load_b32 v63, v63
	s_wait_dscnt 0x0
	v_add_nc_u32_e32 v63, v63, v74
	global_store_b8 v63, v62, s[38:39]
	s_wait_xcnt 0x0
	s_or_b32 exec_lo, exec_lo, s25
	v_cmp_lt_u32_e64 s25, v75, v134
	s_and_saveexec_b32 s26, s25
	s_cbranch_execz .LBB186_194
.LBB186_266:                            ;   in Loop: Header=BB186_100 Depth=2
	ds_load_u8 v62, v2 offset:2816
	s_wait_dscnt 0x0
	v_and_b32_e32 v63, 0xff, v62
	s_delay_alu instid0(VALU_DEP_1) | instskip(NEXT) | instid1(VALU_DEP_1)
	v_lshrrev_b32_e32 v63, s43, v63
	v_and_b32_e32 v63, s48, v63
	s_delay_alu instid0(VALU_DEP_1)
	v_lshlrev_b32_e32 v63, 2, v63
	ds_load_b32 v63, v63
	s_wait_dscnt 0x0
	v_add_nc_u32_e32 v63, v63, v75
	global_store_b8 v63, v62, s[38:39]
	s_wait_xcnt 0x0
	s_or_b32 exec_lo, exec_lo, s26
	v_cmp_lt_u32_e64 s26, v76, v134
	s_and_saveexec_b32 s27, s26
	s_cbranch_execz .LBB186_195
.LBB186_267:                            ;   in Loop: Header=BB186_100 Depth=2
	ds_load_u8 v62, v2 offset:3072
	s_wait_dscnt 0x0
	v_and_b32_e32 v63, 0xff, v62
	s_delay_alu instid0(VALU_DEP_1) | instskip(NEXT) | instid1(VALU_DEP_1)
	v_lshrrev_b32_e32 v63, s43, v63
	v_and_b32_e32 v63, s48, v63
	s_delay_alu instid0(VALU_DEP_1)
	v_lshlrev_b32_e32 v63, 2, v63
	ds_load_b32 v63, v63
	s_wait_dscnt 0x0
	v_add_nc_u32_e32 v63, v63, v76
	global_store_b8 v63, v62, s[38:39]
	s_wait_xcnt 0x0
	s_or_b32 exec_lo, exec_lo, s27
	v_cmp_lt_u32_e64 s27, v77, v134
	s_and_saveexec_b32 s28, s27
	s_cbranch_execz .LBB186_196
.LBB186_268:                            ;   in Loop: Header=BB186_100 Depth=2
	ds_load_u8 v62, v2 offset:3328
	s_wait_dscnt 0x0
	v_and_b32_e32 v63, 0xff, v62
	s_delay_alu instid0(VALU_DEP_1) | instskip(NEXT) | instid1(VALU_DEP_1)
	v_lshrrev_b32_e32 v63, s43, v63
	v_and_b32_e32 v63, s48, v63
	s_delay_alu instid0(VALU_DEP_1)
	v_lshlrev_b32_e32 v63, 2, v63
	ds_load_b32 v63, v63
	s_wait_dscnt 0x0
	v_add_nc_u32_e32 v63, v63, v77
	global_store_b8 v63, v62, s[38:39]
	s_wait_xcnt 0x0
	s_or_b32 exec_lo, exec_lo, s28
	v_cmp_lt_u32_e64 s28, v78, v134
	s_and_saveexec_b32 s29, s28
	s_cbranch_execz .LBB186_197
.LBB186_269:                            ;   in Loop: Header=BB186_100 Depth=2
	ds_load_u8 v62, v2 offset:3584
	s_wait_dscnt 0x0
	v_and_b32_e32 v63, 0xff, v62
	s_delay_alu instid0(VALU_DEP_1) | instskip(NEXT) | instid1(VALU_DEP_1)
	v_lshrrev_b32_e32 v63, s43, v63
	v_and_b32_e32 v63, s48, v63
	s_delay_alu instid0(VALU_DEP_1)
	v_lshlrev_b32_e32 v63, 2, v63
	ds_load_b32 v63, v63
	s_wait_dscnt 0x0
	v_add_nc_u32_e32 v63, v63, v78
	global_store_b8 v63, v62, s[38:39]
	s_wait_xcnt 0x0
	s_or_b32 exec_lo, exec_lo, s29
	v_cmp_lt_u32_e64 s29, v79, v134
	s_and_saveexec_b32 s30, s29
	s_cbranch_execz .LBB186_198
.LBB186_270:                            ;   in Loop: Header=BB186_100 Depth=2
	ds_load_u8 v62, v2 offset:3840
	s_wait_dscnt 0x0
	v_and_b32_e32 v63, 0xff, v62
	s_delay_alu instid0(VALU_DEP_1) | instskip(NEXT) | instid1(VALU_DEP_1)
	v_lshrrev_b32_e32 v63, s43, v63
	v_and_b32_e32 v63, s48, v63
	s_delay_alu instid0(VALU_DEP_1)
	v_lshlrev_b32_e32 v63, 2, v63
	ds_load_b32 v63, v63
	s_wait_dscnt 0x0
	v_add_nc_u32_e32 v63, v63, v79
	global_store_b8 v63, v62, s[38:39]
	s_wait_xcnt 0x0
	s_or_b32 exec_lo, exec_lo, s30
	v_cmp_lt_u32_e64 s30, v80, v134
	s_and_saveexec_b32 s31, s30
	s_cbranch_execz .LBB186_199
.LBB186_271:                            ;   in Loop: Header=BB186_100 Depth=2
	ds_load_u8 v62, v2 offset:4096
	s_wait_dscnt 0x0
	v_and_b32_e32 v63, 0xff, v62
	s_delay_alu instid0(VALU_DEP_1) | instskip(NEXT) | instid1(VALU_DEP_1)
	v_lshrrev_b32_e32 v63, s43, v63
	v_and_b32_e32 v63, s48, v63
	s_delay_alu instid0(VALU_DEP_1)
	v_lshlrev_b32_e32 v63, 2, v63
	ds_load_b32 v63, v63
	s_wait_dscnt 0x0
	v_add_nc_u32_e32 v63, v63, v80
	global_store_b8 v63, v62, s[38:39]
	s_wait_xcnt 0x0
	s_or_b32 exec_lo, exec_lo, s31
	v_cmp_lt_u32_e64 s31, v81, v134
	s_and_saveexec_b32 s33, s31
	s_cbranch_execz .LBB186_200
.LBB186_272:                            ;   in Loop: Header=BB186_100 Depth=2
	ds_load_u8 v62, v2 offset:4352
	s_wait_dscnt 0x0
	v_and_b32_e32 v63, 0xff, v62
	s_delay_alu instid0(VALU_DEP_1) | instskip(NEXT) | instid1(VALU_DEP_1)
	v_lshrrev_b32_e32 v63, s43, v63
	v_and_b32_e32 v63, s48, v63
	s_delay_alu instid0(VALU_DEP_1)
	v_lshlrev_b32_e32 v63, 2, v63
	ds_load_b32 v63, v63
	s_wait_dscnt 0x0
	v_add_nc_u32_e32 v63, v63, v81
	global_store_b8 v63, v62, s[38:39]
	s_wait_xcnt 0x0
	s_or_b32 exec_lo, exec_lo, s33
	v_cmp_lt_u32_e64 s33, v82, v134
	s_and_saveexec_b32 s60, s33
	s_cbranch_execnz .LBB186_201
	s_branch .LBB186_202
.LBB186_273:                            ;   in Loop: Header=BB186_100 Depth=2
	global_load_b64 v[60:61], v[62:63], off
	s_wait_xcnt 0x0
	s_or_b32 exec_lo, exec_lo, s34
	s_delay_alu instid0(SALU_CYCLE_1)
	s_mov_b32 s60, exec_lo
	v_cmpx_lt_u32_e64 v98, v134
	s_cbranch_execz .LBB186_204
.LBB186_274:                            ;   in Loop: Header=BB186_100 Depth=2
	global_load_b64 v[58:59], v[62:63], off offset:256
	s_wait_xcnt 0x0
	s_or_b32 exec_lo, exec_lo, s60
	s_delay_alu instid0(SALU_CYCLE_1)
	s_mov_b32 s60, exec_lo
	v_cmpx_lt_u32_e64 v99, v134
	s_cbranch_execz .LBB186_205
.LBB186_275:                            ;   in Loop: Header=BB186_100 Depth=2
	global_load_b64 v[56:57], v[62:63], off offset:512
	s_wait_xcnt 0x0
	s_or_b32 exec_lo, exec_lo, s60
	s_delay_alu instid0(SALU_CYCLE_1)
	s_mov_b32 s60, exec_lo
	v_cmpx_lt_u32_e64 v100, v134
	s_cbranch_execz .LBB186_206
.LBB186_276:                            ;   in Loop: Header=BB186_100 Depth=2
	global_load_b64 v[54:55], v[62:63], off offset:768
	s_wait_xcnt 0x0
	s_or_b32 exec_lo, exec_lo, s60
	s_delay_alu instid0(SALU_CYCLE_1)
	s_mov_b32 s60, exec_lo
	v_cmpx_lt_u32_e64 v101, v134
	s_cbranch_execz .LBB186_207
.LBB186_277:                            ;   in Loop: Header=BB186_100 Depth=2
	global_load_b64 v[52:53], v[62:63], off offset:1024
	s_wait_xcnt 0x0
	s_or_b32 exec_lo, exec_lo, s60
	s_delay_alu instid0(SALU_CYCLE_1)
	s_mov_b32 s60, exec_lo
	v_cmpx_lt_u32_e64 v102, v134
	s_cbranch_execz .LBB186_208
.LBB186_278:                            ;   in Loop: Header=BB186_100 Depth=2
	global_load_b64 v[50:51], v[62:63], off offset:1280
	s_wait_xcnt 0x0
	s_or_b32 exec_lo, exec_lo, s60
	s_delay_alu instid0(SALU_CYCLE_1)
	s_mov_b32 s60, exec_lo
	v_cmpx_lt_u32_e64 v103, v134
	s_cbranch_execz .LBB186_209
.LBB186_279:                            ;   in Loop: Header=BB186_100 Depth=2
	global_load_b64 v[48:49], v[62:63], off offset:1536
	s_wait_xcnt 0x0
	s_or_b32 exec_lo, exec_lo, s60
	s_delay_alu instid0(SALU_CYCLE_1)
	s_mov_b32 s60, exec_lo
	v_cmpx_lt_u32_e64 v104, v134
	s_cbranch_execz .LBB186_210
.LBB186_280:                            ;   in Loop: Header=BB186_100 Depth=2
	global_load_b64 v[46:47], v[62:63], off offset:1792
	s_wait_xcnt 0x0
	s_or_b32 exec_lo, exec_lo, s60
	s_delay_alu instid0(SALU_CYCLE_1)
	s_mov_b32 s60, exec_lo
	v_cmpx_lt_u32_e64 v105, v134
	s_cbranch_execz .LBB186_211
.LBB186_281:                            ;   in Loop: Header=BB186_100 Depth=2
	global_load_b64 v[44:45], v[62:63], off offset:2048
	s_wait_xcnt 0x0
	s_or_b32 exec_lo, exec_lo, s60
	s_delay_alu instid0(SALU_CYCLE_1)
	s_mov_b32 s60, exec_lo
	v_cmpx_lt_u32_e64 v106, v134
	s_cbranch_execz .LBB186_212
.LBB186_282:                            ;   in Loop: Header=BB186_100 Depth=2
	global_load_b64 v[42:43], v[62:63], off offset:2304
	s_wait_xcnt 0x0
	s_or_b32 exec_lo, exec_lo, s60
	s_delay_alu instid0(SALU_CYCLE_1)
	s_mov_b32 s60, exec_lo
	v_cmpx_lt_u32_e64 v107, v134
	s_cbranch_execz .LBB186_213
.LBB186_283:                            ;   in Loop: Header=BB186_100 Depth=2
	global_load_b64 v[40:41], v[62:63], off offset:2560
	s_wait_xcnt 0x0
	s_or_b32 exec_lo, exec_lo, s60
	s_delay_alu instid0(SALU_CYCLE_1)
	s_mov_b32 s60, exec_lo
	v_cmpx_lt_u32_e64 v108, v134
	s_cbranch_execz .LBB186_214
.LBB186_284:                            ;   in Loop: Header=BB186_100 Depth=2
	global_load_b64 v[38:39], v[62:63], off offset:2816
	s_wait_xcnt 0x0
	s_or_b32 exec_lo, exec_lo, s60
	s_delay_alu instid0(SALU_CYCLE_1)
	s_mov_b32 s60, exec_lo
	v_cmpx_lt_u32_e64 v109, v134
	s_cbranch_execz .LBB186_215
.LBB186_285:                            ;   in Loop: Header=BB186_100 Depth=2
	global_load_b64 v[36:37], v[62:63], off offset:3072
	s_wait_xcnt 0x0
	s_or_b32 exec_lo, exec_lo, s60
	s_delay_alu instid0(SALU_CYCLE_1)
	s_mov_b32 s60, exec_lo
	v_cmpx_lt_u32_e64 v110, v134
	s_cbranch_execz .LBB186_216
.LBB186_286:                            ;   in Loop: Header=BB186_100 Depth=2
	global_load_b64 v[34:35], v[62:63], off offset:3328
	s_wait_xcnt 0x0
	s_or_b32 exec_lo, exec_lo, s60
	s_delay_alu instid0(SALU_CYCLE_1)
	s_mov_b32 s60, exec_lo
	v_cmpx_lt_u32_e64 v111, v134
	s_cbranch_execz .LBB186_217
.LBB186_287:                            ;   in Loop: Header=BB186_100 Depth=2
	global_load_b64 v[32:33], v[62:63], off offset:3584
	s_wait_xcnt 0x0
	s_or_b32 exec_lo, exec_lo, s60
	s_delay_alu instid0(SALU_CYCLE_1)
	s_mov_b32 s60, exec_lo
	v_cmpx_lt_u32_e64 v112, v134
	s_cbranch_execz .LBB186_218
.LBB186_288:                            ;   in Loop: Header=BB186_100 Depth=2
	global_load_b64 v[30:31], v[62:63], off offset:3840
	s_wait_xcnt 0x0
	s_or_b32 exec_lo, exec_lo, s60
	s_delay_alu instid0(SALU_CYCLE_1)
	s_mov_b32 s60, exec_lo
	v_cmpx_lt_u32_e64 v113, v134
	s_cbranch_execz .LBB186_219
.LBB186_289:                            ;   in Loop: Header=BB186_100 Depth=2
	global_load_b64 v[28:29], v[62:63], off offset:4096
	s_wait_xcnt 0x0
	s_or_b32 exec_lo, exec_lo, s60
	s_and_saveexec_b32 s34, vcc_lo
	s_cbranch_execz .LBB186_220
.LBB186_290:                            ;   in Loop: Header=BB186_100 Depth=2
	ds_load_u8 v62, v2 offset:512
	s_wait_dscnt 0x0
	v_lshrrev_b32_e32 v62, s43, v62
	s_delay_alu instid0(VALU_DEP_1)
	v_and_b32_e32 v131, s48, v62
	s_or_b32 exec_lo, exec_lo, s34
	s_and_saveexec_b32 s34, s17
	s_cbranch_execz .LBB186_221
.LBB186_291:                            ;   in Loop: Header=BB186_100 Depth=2
	ds_load_u8 v62, v2 offset:768
	s_wait_dscnt 0x0
	v_lshrrev_b32_e32 v62, s43, v62
	s_delay_alu instid0(VALU_DEP_1)
	v_and_b32_e32 v130, s48, v62
	s_or_b32 exec_lo, exec_lo, s34
	s_and_saveexec_b32 s34, s18
	s_cbranch_execz .LBB186_222
.LBB186_292:                            ;   in Loop: Header=BB186_100 Depth=2
	ds_load_u8 v62, v2 offset:1024
	s_wait_dscnt 0x0
	v_lshrrev_b32_e32 v62, s43, v62
	s_delay_alu instid0(VALU_DEP_1)
	v_and_b32_e32 v129, s48, v62
	s_or_b32 exec_lo, exec_lo, s34
	s_and_saveexec_b32 s34, s19
	s_cbranch_execz .LBB186_223
.LBB186_293:                            ;   in Loop: Header=BB186_100 Depth=2
	ds_load_u8 v62, v2 offset:1280
	s_wait_dscnt 0x0
	v_lshrrev_b32_e32 v62, s43, v62
	s_delay_alu instid0(VALU_DEP_1)
	v_and_b32_e32 v128, s48, v62
	s_or_b32 exec_lo, exec_lo, s34
	s_and_saveexec_b32 s34, s20
	s_cbranch_execz .LBB186_224
.LBB186_294:                            ;   in Loop: Header=BB186_100 Depth=2
	ds_load_u8 v62, v2 offset:1536
	s_wait_dscnt 0x0
	v_lshrrev_b32_e32 v62, s43, v62
	s_delay_alu instid0(VALU_DEP_1)
	v_and_b32_e32 v127, s48, v62
	s_or_b32 exec_lo, exec_lo, s34
	s_and_saveexec_b32 s34, s21
	s_cbranch_execz .LBB186_225
.LBB186_295:                            ;   in Loop: Header=BB186_100 Depth=2
	ds_load_u8 v62, v2 offset:1792
	s_wait_dscnt 0x0
	v_lshrrev_b32_e32 v62, s43, v62
	s_delay_alu instid0(VALU_DEP_1)
	v_and_b32_e32 v126, s48, v62
	s_or_b32 exec_lo, exec_lo, s34
	s_and_saveexec_b32 s34, s22
	s_cbranch_execz .LBB186_226
.LBB186_296:                            ;   in Loop: Header=BB186_100 Depth=2
	ds_load_u8 v62, v2 offset:2048
	s_wait_dscnt 0x0
	v_lshrrev_b32_e32 v62, s43, v62
	s_delay_alu instid0(VALU_DEP_1)
	v_and_b32_e32 v125, s48, v62
	s_or_b32 exec_lo, exec_lo, s34
	s_and_saveexec_b32 s34, s23
	s_cbranch_execz .LBB186_227
.LBB186_297:                            ;   in Loop: Header=BB186_100 Depth=2
	ds_load_u8 v62, v2 offset:2304
	s_wait_dscnt 0x0
	v_lshrrev_b32_e32 v62, s43, v62
	s_delay_alu instid0(VALU_DEP_1)
	v_and_b32_e32 v124, s48, v62
	s_or_b32 exec_lo, exec_lo, s34
	s_and_saveexec_b32 s34, s24
	s_cbranch_execz .LBB186_228
.LBB186_298:                            ;   in Loop: Header=BB186_100 Depth=2
	ds_load_u8 v62, v2 offset:2560
	s_wait_dscnt 0x0
	v_lshrrev_b32_e32 v62, s43, v62
	s_delay_alu instid0(VALU_DEP_1)
	v_and_b32_e32 v123, s48, v62
	s_or_b32 exec_lo, exec_lo, s34
	s_and_saveexec_b32 s34, s25
	s_cbranch_execz .LBB186_229
.LBB186_299:                            ;   in Loop: Header=BB186_100 Depth=2
	ds_load_u8 v62, v2 offset:2816
	s_wait_dscnt 0x0
	v_lshrrev_b32_e32 v62, s43, v62
	s_delay_alu instid0(VALU_DEP_1)
	v_and_b32_e32 v122, s48, v62
	s_or_b32 exec_lo, exec_lo, s34
	s_and_saveexec_b32 s34, s26
	s_cbranch_execz .LBB186_230
.LBB186_300:                            ;   in Loop: Header=BB186_100 Depth=2
	ds_load_u8 v62, v2 offset:3072
	s_wait_dscnt 0x0
	v_lshrrev_b32_e32 v62, s43, v62
	s_delay_alu instid0(VALU_DEP_1)
	v_and_b32_e32 v121, s48, v62
	s_or_b32 exec_lo, exec_lo, s34
	s_and_saveexec_b32 s34, s27
	s_cbranch_execz .LBB186_231
.LBB186_301:                            ;   in Loop: Header=BB186_100 Depth=2
	ds_load_u8 v62, v2 offset:3328
	s_wait_dscnt 0x0
	v_lshrrev_b32_e32 v62, s43, v62
	s_delay_alu instid0(VALU_DEP_1)
	v_and_b32_e32 v120, s48, v62
	s_or_b32 exec_lo, exec_lo, s34
	s_and_saveexec_b32 s34, s28
	s_cbranch_execz .LBB186_232
.LBB186_302:                            ;   in Loop: Header=BB186_100 Depth=2
	ds_load_u8 v62, v2 offset:3584
	s_wait_dscnt 0x0
	v_lshrrev_b32_e32 v62, s43, v62
	s_delay_alu instid0(VALU_DEP_1)
	v_and_b32_e32 v119, s48, v62
	s_or_b32 exec_lo, exec_lo, s34
	s_and_saveexec_b32 s34, s29
	s_cbranch_execz .LBB186_233
.LBB186_303:                            ;   in Loop: Header=BB186_100 Depth=2
	ds_load_u8 v62, v2 offset:3840
	s_wait_dscnt 0x0
	v_lshrrev_b32_e32 v62, s43, v62
	s_delay_alu instid0(VALU_DEP_1)
	v_and_b32_e32 v118, s48, v62
	s_or_b32 exec_lo, exec_lo, s34
	s_and_saveexec_b32 s34, s30
	s_cbranch_execz .LBB186_234
.LBB186_304:                            ;   in Loop: Header=BB186_100 Depth=2
	ds_load_u8 v62, v2 offset:4096
	s_wait_dscnt 0x0
	v_lshrrev_b32_e32 v62, s43, v62
	s_delay_alu instid0(VALU_DEP_1)
	v_and_b32_e32 v117, s48, v62
	s_or_b32 exec_lo, exec_lo, s34
	s_and_saveexec_b32 s34, s31
	s_cbranch_execz .LBB186_235
.LBB186_305:                            ;   in Loop: Header=BB186_100 Depth=2
	ds_load_u8 v62, v2 offset:4352
	s_wait_dscnt 0x0
	v_lshrrev_b32_e32 v62, s43, v62
	s_delay_alu instid0(VALU_DEP_1)
	v_and_b32_e32 v116, s48, v62
	s_or_b32 exec_lo, exec_lo, s34
	s_and_saveexec_b32 s34, s33
	s_cbranch_execnz .LBB186_236
	s_branch .LBB186_237
.LBB186_306:                            ;   in Loop: Header=BB186_100 Depth=2
	v_lshlrev_b32_e32 v62, 2, v131
	v_add_nc_u32_e32 v63, v2, v95
	ds_load_b32 v64, v62
	ds_load_b64 v[62:63], v63 offset:512
	s_wait_dscnt 0x1
	v_add_nc_u32_e32 v64, v64, v2
	s_wait_dscnt 0x0
	global_store_b64 v64, v[62:63], s[44:45] scale_offset
	s_wait_xcnt 0x0
	s_or_b32 exec_lo, exec_lo, s34
	s_and_saveexec_b32 s34, s17
	s_cbranch_execz .LBB186_239
.LBB186_307:                            ;   in Loop: Header=BB186_100 Depth=2
	v_dual_lshlrev_b32 v62, 2, v130 :: v_dual_add_nc_u32 v63, v2, v95
	ds_load_b32 v64, v62
	ds_load_b64 v[62:63], v63 offset:2560
	s_wait_dscnt 0x1
	v_add_nc_u32_e32 v64, v64, v67
	s_wait_dscnt 0x0
	global_store_b64 v64, v[62:63], s[44:45] scale_offset
	s_wait_xcnt 0x0
	s_or_b32 exec_lo, exec_lo, s34
	s_and_saveexec_b32 s17, s18
	s_cbranch_execz .LBB186_240
.LBB186_308:                            ;   in Loop: Header=BB186_100 Depth=2
	v_dual_lshlrev_b32 v62, 2, v129 :: v_dual_add_nc_u32 v63, v2, v95
	ds_load_b32 v64, v62
	ds_load_b64 v[62:63], v63 offset:4608
	s_wait_dscnt 0x1
	v_add_nc_u32_e32 v64, v64, v68
	s_wait_dscnt 0x0
	global_store_b64 v64, v[62:63], s[44:45] scale_offset
	s_wait_xcnt 0x0
	s_or_b32 exec_lo, exec_lo, s17
	s_and_saveexec_b32 s17, s19
	s_cbranch_execz .LBB186_241
.LBB186_309:                            ;   in Loop: Header=BB186_100 Depth=2
	v_dual_lshlrev_b32 v62, 2, v128 :: v_dual_add_nc_u32 v63, v2, v95
	ds_load_b32 v64, v62
	ds_load_b64 v[62:63], v63 offset:6656
	s_wait_dscnt 0x1
	v_add_nc_u32_e32 v64, v64, v69
	s_wait_dscnt 0x0
	global_store_b64 v64, v[62:63], s[44:45] scale_offset
	s_wait_xcnt 0x0
	s_or_b32 exec_lo, exec_lo, s17
	s_and_saveexec_b32 s17, s20
	s_cbranch_execz .LBB186_242
.LBB186_310:                            ;   in Loop: Header=BB186_100 Depth=2
	v_lshlrev_b32_e32 v62, 2, v127
	v_add_nc_u32_e32 v63, v2, v95
	ds_load_b32 v64, v62
	ds_load_b64 v[62:63], v63 offset:8704
	s_wait_dscnt 0x1
	v_add_nc_u32_e32 v64, v64, v70
	s_wait_dscnt 0x0
	global_store_b64 v64, v[62:63], s[44:45] scale_offset
	s_wait_xcnt 0x0
	s_or_b32 exec_lo, exec_lo, s17
	s_and_saveexec_b32 s17, s21
	s_cbranch_execz .LBB186_243
.LBB186_311:                            ;   in Loop: Header=BB186_100 Depth=2
	v_dual_lshlrev_b32 v62, 2, v126 :: v_dual_add_nc_u32 v63, v2, v95
	ds_load_b32 v64, v62
	ds_load_b64 v[62:63], v63 offset:10752
	s_wait_dscnt 0x1
	v_add_nc_u32_e32 v64, v64, v71
	s_wait_dscnt 0x0
	global_store_b64 v64, v[62:63], s[44:45] scale_offset
	s_wait_xcnt 0x0
	s_or_b32 exec_lo, exec_lo, s17
	s_and_saveexec_b32 s17, s22
	s_cbranch_execz .LBB186_244
.LBB186_312:                            ;   in Loop: Header=BB186_100 Depth=2
	v_dual_lshlrev_b32 v62, 2, v125 :: v_dual_add_nc_u32 v63, v2, v95
	ds_load_b32 v64, v62
	ds_load_b64 v[62:63], v63 offset:12800
	s_wait_dscnt 0x1
	v_add_nc_u32_e32 v64, v64, v72
	s_wait_dscnt 0x0
	global_store_b64 v64, v[62:63], s[44:45] scale_offset
	s_wait_xcnt 0x0
	s_or_b32 exec_lo, exec_lo, s17
	s_and_saveexec_b32 s17, s23
	s_cbranch_execz .LBB186_245
.LBB186_313:                            ;   in Loop: Header=BB186_100 Depth=2
	v_dual_lshlrev_b32 v62, 2, v124 :: v_dual_add_nc_u32 v63, v2, v95
	ds_load_b32 v64, v62
	ds_load_b64 v[62:63], v63 offset:14848
	s_wait_dscnt 0x1
	v_add_nc_u32_e32 v64, v64, v73
	s_wait_dscnt 0x0
	global_store_b64 v64, v[62:63], s[44:45] scale_offset
	s_wait_xcnt 0x0
	s_or_b32 exec_lo, exec_lo, s17
	s_and_saveexec_b32 s17, s24
	s_cbranch_execz .LBB186_246
.LBB186_314:                            ;   in Loop: Header=BB186_100 Depth=2
	v_lshlrev_b32_e32 v62, 2, v123
	v_add_nc_u32_e32 v63, v2, v95
	ds_load_b32 v64, v62
	ds_load_b64 v[62:63], v63 offset:16896
	s_wait_dscnt 0x1
	v_add_nc_u32_e32 v64, v64, v74
	s_wait_dscnt 0x0
	global_store_b64 v64, v[62:63], s[44:45] scale_offset
	s_wait_xcnt 0x0
	s_or_b32 exec_lo, exec_lo, s17
	s_and_saveexec_b32 s17, s25
	s_cbranch_execz .LBB186_247
.LBB186_315:                            ;   in Loop: Header=BB186_100 Depth=2
	v_dual_lshlrev_b32 v62, 2, v122 :: v_dual_add_nc_u32 v63, v2, v95
	ds_load_b32 v64, v62
	ds_load_b64 v[62:63], v63 offset:18944
	s_wait_dscnt 0x1
	v_add_nc_u32_e32 v64, v64, v75
	s_wait_dscnt 0x0
	global_store_b64 v64, v[62:63], s[44:45] scale_offset
	s_wait_xcnt 0x0
	s_or_b32 exec_lo, exec_lo, s17
	s_and_saveexec_b32 s17, s26
	s_cbranch_execz .LBB186_248
.LBB186_316:                            ;   in Loop: Header=BB186_100 Depth=2
	v_dual_lshlrev_b32 v62, 2, v121 :: v_dual_add_nc_u32 v63, v2, v95
	ds_load_b32 v64, v62
	ds_load_b64 v[62:63], v63 offset:20992
	s_wait_dscnt 0x1
	v_add_nc_u32_e32 v64, v64, v76
	s_wait_dscnt 0x0
	global_store_b64 v64, v[62:63], s[44:45] scale_offset
	s_wait_xcnt 0x0
	s_or_b32 exec_lo, exec_lo, s17
	s_and_saveexec_b32 s17, s27
	s_cbranch_execz .LBB186_249
.LBB186_317:                            ;   in Loop: Header=BB186_100 Depth=2
	v_dual_lshlrev_b32 v62, 2, v120 :: v_dual_add_nc_u32 v63, v2, v95
	ds_load_b32 v64, v62
	ds_load_b64 v[62:63], v63 offset:23040
	s_wait_dscnt 0x1
	v_add_nc_u32_e32 v64, v64, v77
	s_wait_dscnt 0x0
	global_store_b64 v64, v[62:63], s[44:45] scale_offset
	s_wait_xcnt 0x0
	s_or_b32 exec_lo, exec_lo, s17
	s_and_saveexec_b32 s17, s28
	s_cbranch_execz .LBB186_250
.LBB186_318:                            ;   in Loop: Header=BB186_100 Depth=2
	v_lshlrev_b32_e32 v62, 2, v119
	v_add_nc_u32_e32 v63, v2, v95
	ds_load_b32 v64, v62
	ds_load_b64 v[62:63], v63 offset:25088
	s_wait_dscnt 0x1
	v_add_nc_u32_e32 v64, v64, v78
	s_wait_dscnt 0x0
	global_store_b64 v64, v[62:63], s[44:45] scale_offset
	s_wait_xcnt 0x0
	s_or_b32 exec_lo, exec_lo, s17
	s_and_saveexec_b32 s17, s29
	s_cbranch_execz .LBB186_251
.LBB186_319:                            ;   in Loop: Header=BB186_100 Depth=2
	v_dual_lshlrev_b32 v62, 2, v118 :: v_dual_add_nc_u32 v63, v2, v95
	ds_load_b32 v64, v62
	ds_load_b64 v[62:63], v63 offset:27136
	s_wait_dscnt 0x1
	v_add_nc_u32_e32 v64, v64, v79
	s_wait_dscnt 0x0
	global_store_b64 v64, v[62:63], s[44:45] scale_offset
	s_wait_xcnt 0x0
	s_or_b32 exec_lo, exec_lo, s17
	s_and_saveexec_b32 s17, s30
	s_cbranch_execz .LBB186_252
.LBB186_320:                            ;   in Loop: Header=BB186_100 Depth=2
	v_dual_lshlrev_b32 v62, 2, v117 :: v_dual_add_nc_u32 v63, v2, v95
	ds_load_b32 v64, v62
	ds_load_b64 v[62:63], v63 offset:29184
	s_wait_dscnt 0x1
	v_add_nc_u32_e32 v64, v64, v80
	s_wait_dscnt 0x0
	global_store_b64 v64, v[62:63], s[44:45] scale_offset
	s_wait_xcnt 0x0
	s_or_b32 exec_lo, exec_lo, s17
	s_and_saveexec_b32 s17, s31
	s_cbranch_execz .LBB186_253
.LBB186_321:                            ;   in Loop: Header=BB186_100 Depth=2
	v_dual_lshlrev_b32 v62, 2, v116 :: v_dual_add_nc_u32 v63, v2, v95
	ds_load_b32 v64, v62
	ds_load_b64 v[62:63], v63 offset:31232
	s_wait_dscnt 0x1
	v_add_nc_u32_e32 v64, v64, v81
	s_wait_dscnt 0x0
	global_store_b64 v64, v[62:63], s[44:45] scale_offset
	s_wait_xcnt 0x0
	s_or_b32 exec_lo, exec_lo, s17
	s_and_saveexec_b32 s17, s33
	s_cbranch_execnz .LBB186_254
	s_branch .LBB186_255
.LBB186_322:                            ;   in Loop: Header=BB186_12 Depth=1
	s_wait_dscnt 0x0
	s_barrier_signal -1
	s_mov_b32 s8, 0
	s_barrier_wait -1
.LBB186_323:                            ;   in Loop: Header=BB186_12 Depth=1
	s_and_b32 vcc_lo, exec_lo, s8
	s_cbranch_vccz .LBB186_633
; %bb.324:                              ;   in Loop: Header=BB186_12 Depth=1
	v_dual_mov_b32 v39, 0 :: v_dual_mov_b32 v42, 0
	v_dual_mov_b32 v41, 0 :: v_dual_mov_b32 v40, 0
	;; [unrolled: 1-line block ×8, first 2 shown]
	v_mov_b32_e32 v26, 0
	s_mov_b32 s8, s57
	s_mov_b32 s34, s55
	s_barrier_signal -1
	s_barrier_wait -1
	s_branch .LBB186_326
.LBB186_325:                            ;   in Loop: Header=BB186_326 Depth=2
	s_or_b32 exec_lo, exec_lo, s10
	s_addk_co_i32 s8, 0xef00
	s_cmp_ge_u32 s9, s54
	s_mov_b32 s34, s9
	s_cbranch_scc1 .LBB186_398
.LBB186_326:                            ;   Parent Loop BB186_12 Depth=1
                                        ; =>  This Inner Loop Header: Depth=2
	s_add_co_i32 s9, s34, 0x1100
	s_mov_b32 s10, -1
	s_cmp_gt_u32 s9, s54
                                        ; implicit-def: $vgpr24
                                        ; implicit-def: $vgpr25
                                        ; implicit-def: $vgpr43
                                        ; implicit-def: $vgpr44
                                        ; implicit-def: $vgpr45
                                        ; implicit-def: $vgpr46
                                        ; implicit-def: $vgpr47
                                        ; implicit-def: $vgpr48
                                        ; implicit-def: $vgpr49
                                        ; implicit-def: $vgpr50
                                        ; implicit-def: $vgpr51
                                        ; implicit-def: $vgpr52
                                        ; implicit-def: $vgpr53
                                        ; implicit-def: $vgpr54
                                        ; implicit-def: $vgpr55
                                        ; implicit-def: $vgpr56
                                        ; implicit-def: $vgpr57
	s_cbranch_scc1 .LBB186_328
; %bb.327:                              ;   in Loop: Header=BB186_326 Depth=2
	v_add_nc_u64_e32 v[58:59], s[34:35], v[12:13]
	s_mov_b32 s10, 0
	s_clause 0x10
	global_load_u8 v57, v[58:59], off offset:4096
	global_load_u8 v56, v[58:59], off offset:3840
	;; [unrolled: 1-line block ×16, first 2 shown]
	global_load_u8 v24, v[58:59], off
.LBB186_328:                            ;   in Loop: Header=BB186_326 Depth=2
	s_and_not1_b32 vcc_lo, exec_lo, s10
	s_movk_i32 s10, 0x1100
	s_cbranch_vccnz .LBB186_348
; %bb.329:                              ;   in Loop: Header=BB186_326 Depth=2
	s_add_nc_u64 s[10:11], s[38:39], s[34:35]
	s_wait_loadcnt 0x0
	v_add_nc_u64_e32 v[24:25], s[10:11], v[2:3]
	s_mov_b32 s10, exec_lo
	s_wait_xcnt 0x0
	v_cmpx_gt_u32_e64 s8, v2
	s_cbranch_execnz .LBB186_382
; %bb.330:                              ;   in Loop: Header=BB186_326 Depth=2
	s_or_b32 exec_lo, exec_lo, s10
	s_delay_alu instid0(SALU_CYCLE_1)
	s_mov_b32 s10, exec_lo
	v_cmpx_gt_u32_e64 s8, v67
	s_cbranch_execnz .LBB186_383
.LBB186_331:                            ;   in Loop: Header=BB186_326 Depth=2
	s_or_b32 exec_lo, exec_lo, s10
	s_delay_alu instid0(SALU_CYCLE_1)
	s_mov_b32 s10, exec_lo
	v_cmpx_gt_u32_e64 s8, v68
	s_cbranch_execnz .LBB186_384
.LBB186_332:                            ;   in Loop: Header=BB186_326 Depth=2
	s_or_b32 exec_lo, exec_lo, s10
	s_delay_alu instid0(SALU_CYCLE_1)
	s_mov_b32 s10, exec_lo
	v_cmpx_gt_u32_e64 s8, v69
	s_cbranch_execnz .LBB186_385
.LBB186_333:                            ;   in Loop: Header=BB186_326 Depth=2
	s_or_b32 exec_lo, exec_lo, s10
	s_delay_alu instid0(SALU_CYCLE_1)
	s_mov_b32 s10, exec_lo
	v_cmpx_gt_u32_e64 s8, v70
	s_cbranch_execnz .LBB186_386
.LBB186_334:                            ;   in Loop: Header=BB186_326 Depth=2
	s_or_b32 exec_lo, exec_lo, s10
	s_delay_alu instid0(SALU_CYCLE_1)
	s_mov_b32 s10, exec_lo
	v_cmpx_gt_u32_e64 s8, v71
	s_cbranch_execnz .LBB186_387
.LBB186_335:                            ;   in Loop: Header=BB186_326 Depth=2
	s_or_b32 exec_lo, exec_lo, s10
	s_delay_alu instid0(SALU_CYCLE_1)
	s_mov_b32 s10, exec_lo
	v_cmpx_gt_u32_e64 s8, v72
	s_cbranch_execnz .LBB186_388
.LBB186_336:                            ;   in Loop: Header=BB186_326 Depth=2
	s_or_b32 exec_lo, exec_lo, s10
	s_delay_alu instid0(SALU_CYCLE_1)
	s_mov_b32 s10, exec_lo
	v_cmpx_gt_u32_e64 s8, v73
	s_cbranch_execnz .LBB186_389
.LBB186_337:                            ;   in Loop: Header=BB186_326 Depth=2
	s_or_b32 exec_lo, exec_lo, s10
	s_delay_alu instid0(SALU_CYCLE_1)
	s_mov_b32 s10, exec_lo
	v_cmpx_gt_u32_e64 s8, v74
	s_cbranch_execnz .LBB186_390
.LBB186_338:                            ;   in Loop: Header=BB186_326 Depth=2
	s_or_b32 exec_lo, exec_lo, s10
	s_delay_alu instid0(SALU_CYCLE_1)
	s_mov_b32 s10, exec_lo
	v_cmpx_gt_u32_e64 s8, v75
	s_cbranch_execnz .LBB186_391
.LBB186_339:                            ;   in Loop: Header=BB186_326 Depth=2
	s_or_b32 exec_lo, exec_lo, s10
	s_delay_alu instid0(SALU_CYCLE_1)
	s_mov_b32 s10, exec_lo
	v_cmpx_gt_u32_e64 s8, v76
	s_cbranch_execnz .LBB186_392
.LBB186_340:                            ;   in Loop: Header=BB186_326 Depth=2
	s_or_b32 exec_lo, exec_lo, s10
	s_delay_alu instid0(SALU_CYCLE_1)
	s_mov_b32 s10, exec_lo
	v_cmpx_gt_u32_e64 s8, v77
	s_cbranch_execnz .LBB186_393
.LBB186_341:                            ;   in Loop: Header=BB186_326 Depth=2
	s_or_b32 exec_lo, exec_lo, s10
	s_delay_alu instid0(SALU_CYCLE_1)
	s_mov_b32 s10, exec_lo
	v_cmpx_gt_u32_e64 s8, v78
	s_cbranch_execnz .LBB186_394
.LBB186_342:                            ;   in Loop: Header=BB186_326 Depth=2
	s_or_b32 exec_lo, exec_lo, s10
	s_delay_alu instid0(SALU_CYCLE_1)
	s_mov_b32 s10, exec_lo
	v_cmpx_gt_u32_e64 s8, v79
	s_cbranch_execnz .LBB186_395
.LBB186_343:                            ;   in Loop: Header=BB186_326 Depth=2
	s_or_b32 exec_lo, exec_lo, s10
	s_delay_alu instid0(SALU_CYCLE_1)
	s_mov_b32 s10, exec_lo
	v_cmpx_gt_u32_e64 s8, v80
	s_cbranch_execnz .LBB186_396
.LBB186_344:                            ;   in Loop: Header=BB186_326 Depth=2
	s_or_b32 exec_lo, exec_lo, s10
	s_delay_alu instid0(SALU_CYCLE_1)
	s_mov_b32 s10, exec_lo
	v_cmpx_gt_u32_e64 s8, v81
	s_cbranch_execnz .LBB186_397
.LBB186_345:                            ;   in Loop: Header=BB186_326 Depth=2
	s_or_b32 exec_lo, exec_lo, s10
	s_delay_alu instid0(SALU_CYCLE_1)
	s_mov_b32 s10, exec_lo
	v_cmpx_gt_u32_e64 s8, v82
	s_cbranch_execz .LBB186_347
.LBB186_346:                            ;   in Loop: Header=BB186_326 Depth=2
	global_load_u8 v26, v[24:25], off offset:4096
.LBB186_347:                            ;   in Loop: Header=BB186_326 Depth=2
	s_wait_xcnt 0x0
	s_or_b32 exec_lo, exec_lo, s10
	s_wait_loadcnt 0x0
	v_dual_mov_b32 v24, v39 :: v_dual_mov_b32 v25, v42
	v_dual_mov_b32 v43, v41 :: v_dual_mov_b32 v44, v40
	;; [unrolled: 1-line block ×8, first 2 shown]
	v_mov_b32_e32 v57, v26
	s_mov_b32 s10, s8
.LBB186_348:                            ;   in Loop: Header=BB186_326 Depth=2
	s_wait_loadcnt 0xf
	s_delay_alu instid0(VALU_DEP_1)
	v_dual_mov_b32 v26, v57 :: v_dual_mov_b32 v27, v56
	s_wait_loadcnt 0xd
	v_dual_mov_b32 v28, v55 :: v_dual_mov_b32 v29, v54
	s_wait_loadcnt 0xb
	;; [unrolled: 2-line block ×8, first 2 shown]
	v_mov_b32_e32 v39, v24
	s_mov_b32 s11, exec_lo
	s_wait_xcnt 0x0
	v_cmpx_gt_u32_e64 s10, v2
	s_cbranch_execnz .LBB186_365
; %bb.349:                              ;   in Loop: Header=BB186_326 Depth=2
	s_or_b32 exec_lo, exec_lo, s11
	s_delay_alu instid0(SALU_CYCLE_1)
	s_mov_b32 s11, exec_lo
	v_cmpx_gt_u32_e64 s10, v67
	s_cbranch_execnz .LBB186_366
.LBB186_350:                            ;   in Loop: Header=BB186_326 Depth=2
	s_or_b32 exec_lo, exec_lo, s11
	s_delay_alu instid0(SALU_CYCLE_1)
	s_mov_b32 s11, exec_lo
	v_cmpx_gt_u32_e64 s10, v68
	s_cbranch_execnz .LBB186_367
.LBB186_351:                            ;   in Loop: Header=BB186_326 Depth=2
	s_or_b32 exec_lo, exec_lo, s11
	s_delay_alu instid0(SALU_CYCLE_1)
	s_mov_b32 s11, exec_lo
	v_cmpx_gt_u32_e64 s10, v69
	s_cbranch_execnz .LBB186_368
.LBB186_352:                            ;   in Loop: Header=BB186_326 Depth=2
	s_or_b32 exec_lo, exec_lo, s11
	s_delay_alu instid0(SALU_CYCLE_1)
	s_mov_b32 s11, exec_lo
	v_cmpx_gt_u32_e64 s10, v70
	s_cbranch_execnz .LBB186_369
.LBB186_353:                            ;   in Loop: Header=BB186_326 Depth=2
	s_or_b32 exec_lo, exec_lo, s11
	s_delay_alu instid0(SALU_CYCLE_1)
	s_mov_b32 s11, exec_lo
	v_cmpx_gt_u32_e64 s10, v71
	s_cbranch_execnz .LBB186_370
.LBB186_354:                            ;   in Loop: Header=BB186_326 Depth=2
	s_or_b32 exec_lo, exec_lo, s11
	s_delay_alu instid0(SALU_CYCLE_1)
	s_mov_b32 s11, exec_lo
	v_cmpx_gt_u32_e64 s10, v72
	s_cbranch_execnz .LBB186_371
.LBB186_355:                            ;   in Loop: Header=BB186_326 Depth=2
	s_or_b32 exec_lo, exec_lo, s11
	s_delay_alu instid0(SALU_CYCLE_1)
	s_mov_b32 s11, exec_lo
	v_cmpx_gt_u32_e64 s10, v73
	s_cbranch_execnz .LBB186_372
.LBB186_356:                            ;   in Loop: Header=BB186_326 Depth=2
	s_or_b32 exec_lo, exec_lo, s11
	s_delay_alu instid0(SALU_CYCLE_1)
	s_mov_b32 s11, exec_lo
	v_cmpx_gt_u32_e64 s10, v74
	s_cbranch_execnz .LBB186_373
.LBB186_357:                            ;   in Loop: Header=BB186_326 Depth=2
	s_or_b32 exec_lo, exec_lo, s11
	s_delay_alu instid0(SALU_CYCLE_1)
	s_mov_b32 s11, exec_lo
	v_cmpx_gt_u32_e64 s10, v75
	s_cbranch_execnz .LBB186_374
.LBB186_358:                            ;   in Loop: Header=BB186_326 Depth=2
	s_or_b32 exec_lo, exec_lo, s11
	s_delay_alu instid0(SALU_CYCLE_1)
	s_mov_b32 s11, exec_lo
	v_cmpx_gt_u32_e64 s10, v76
	s_cbranch_execnz .LBB186_375
.LBB186_359:                            ;   in Loop: Header=BB186_326 Depth=2
	s_or_b32 exec_lo, exec_lo, s11
	s_delay_alu instid0(SALU_CYCLE_1)
	s_mov_b32 s11, exec_lo
	v_cmpx_gt_u32_e64 s10, v77
	s_cbranch_execnz .LBB186_376
.LBB186_360:                            ;   in Loop: Header=BB186_326 Depth=2
	s_or_b32 exec_lo, exec_lo, s11
	s_delay_alu instid0(SALU_CYCLE_1)
	s_mov_b32 s11, exec_lo
	v_cmpx_gt_u32_e64 s10, v78
	s_cbranch_execnz .LBB186_377
.LBB186_361:                            ;   in Loop: Header=BB186_326 Depth=2
	s_or_b32 exec_lo, exec_lo, s11
	s_delay_alu instid0(SALU_CYCLE_1)
	s_mov_b32 s11, exec_lo
	v_cmpx_gt_u32_e64 s10, v79
	s_cbranch_execnz .LBB186_378
.LBB186_362:                            ;   in Loop: Header=BB186_326 Depth=2
	s_or_b32 exec_lo, exec_lo, s11
	s_delay_alu instid0(SALU_CYCLE_1)
	s_mov_b32 s11, exec_lo
	v_cmpx_gt_u32_e64 s10, v80
	s_cbranch_execnz .LBB186_379
.LBB186_363:                            ;   in Loop: Header=BB186_326 Depth=2
	s_or_b32 exec_lo, exec_lo, s11
	s_delay_alu instid0(SALU_CYCLE_1)
	s_mov_b32 s11, exec_lo
	v_cmpx_gt_u32_e64 s10, v81
	s_cbranch_execnz .LBB186_380
.LBB186_364:                            ;   in Loop: Header=BB186_326 Depth=2
	s_or_b32 exec_lo, exec_lo, s11
	v_cmp_gt_u32_e32 vcc_lo, s10, v82
	s_and_saveexec_b32 s10, vcc_lo
	s_cbranch_execz .LBB186_325
	s_branch .LBB186_381
.LBB186_365:                            ;   in Loop: Header=BB186_326 Depth=2
	v_and_b32_e32 v24, 0xff, v39
	s_delay_alu instid0(VALU_DEP_1) | instskip(NEXT) | instid1(VALU_DEP_1)
	v_lshrrev_b32_e32 v24, s43, v24
	v_and_b32_e32 v24, s48, v24
	s_delay_alu instid0(VALU_DEP_1) | instskip(SKIP_2) | instid1(SALU_CYCLE_1)
	v_lshl_or_b32 v24, v24, 4, v84
	ds_add_u32 v24, v7
	s_or_b32 exec_lo, exec_lo, s11
	s_mov_b32 s11, exec_lo
	v_cmpx_gt_u32_e64 s10, v67
	s_cbranch_execz .LBB186_350
.LBB186_366:                            ;   in Loop: Header=BB186_326 Depth=2
	v_and_b32_e32 v24, 0xff, v42
	s_delay_alu instid0(VALU_DEP_1) | instskip(NEXT) | instid1(VALU_DEP_1)
	v_lshrrev_b32_e32 v24, s43, v24
	v_and_b32_e32 v24, s48, v24
	s_delay_alu instid0(VALU_DEP_1) | instskip(SKIP_2) | instid1(SALU_CYCLE_1)
	v_lshl_or_b32 v24, v24, 4, v84
	ds_add_u32 v24, v7
	s_or_b32 exec_lo, exec_lo, s11
	s_mov_b32 s11, exec_lo
	v_cmpx_gt_u32_e64 s10, v68
	s_cbranch_execz .LBB186_351
.LBB186_367:                            ;   in Loop: Header=BB186_326 Depth=2
	v_and_b32_e32 v24, 0xff, v41
	s_delay_alu instid0(VALU_DEP_1) | instskip(NEXT) | instid1(VALU_DEP_1)
	v_lshrrev_b32_e32 v24, s43, v24
	v_and_b32_e32 v24, s48, v24
	s_delay_alu instid0(VALU_DEP_1) | instskip(SKIP_2) | instid1(SALU_CYCLE_1)
	v_lshl_or_b32 v24, v24, 4, v84
	ds_add_u32 v24, v7
	s_or_b32 exec_lo, exec_lo, s11
	s_mov_b32 s11, exec_lo
	v_cmpx_gt_u32_e64 s10, v69
	s_cbranch_execz .LBB186_352
.LBB186_368:                            ;   in Loop: Header=BB186_326 Depth=2
	v_and_b32_e32 v24, 0xff, v40
	s_delay_alu instid0(VALU_DEP_1) | instskip(NEXT) | instid1(VALU_DEP_1)
	v_lshrrev_b32_e32 v24, s43, v24
	v_and_b32_e32 v24, s48, v24
	s_delay_alu instid0(VALU_DEP_1) | instskip(SKIP_2) | instid1(SALU_CYCLE_1)
	v_lshl_or_b32 v24, v24, 4, v84
	ds_add_u32 v24, v7
	s_or_b32 exec_lo, exec_lo, s11
	s_mov_b32 s11, exec_lo
	v_cmpx_gt_u32_e64 s10, v70
	s_cbranch_execz .LBB186_353
.LBB186_369:                            ;   in Loop: Header=BB186_326 Depth=2
	v_and_b32_e32 v24, 0xff, v38
	s_delay_alu instid0(VALU_DEP_1) | instskip(NEXT) | instid1(VALU_DEP_1)
	v_lshrrev_b32_e32 v24, s43, v24
	v_and_b32_e32 v24, s48, v24
	s_delay_alu instid0(VALU_DEP_1) | instskip(SKIP_2) | instid1(SALU_CYCLE_1)
	v_lshl_or_b32 v24, v24, 4, v84
	ds_add_u32 v24, v7
	s_or_b32 exec_lo, exec_lo, s11
	s_mov_b32 s11, exec_lo
	v_cmpx_gt_u32_e64 s10, v71
	s_cbranch_execz .LBB186_354
.LBB186_370:                            ;   in Loop: Header=BB186_326 Depth=2
	v_and_b32_e32 v24, 0xff, v37
	s_delay_alu instid0(VALU_DEP_1) | instskip(NEXT) | instid1(VALU_DEP_1)
	v_lshrrev_b32_e32 v24, s43, v24
	v_and_b32_e32 v24, s48, v24
	s_delay_alu instid0(VALU_DEP_1) | instskip(SKIP_2) | instid1(SALU_CYCLE_1)
	v_lshl_or_b32 v24, v24, 4, v84
	ds_add_u32 v24, v7
	s_or_b32 exec_lo, exec_lo, s11
	s_mov_b32 s11, exec_lo
	v_cmpx_gt_u32_e64 s10, v72
	s_cbranch_execz .LBB186_355
.LBB186_371:                            ;   in Loop: Header=BB186_326 Depth=2
	v_and_b32_e32 v24, 0xff, v36
	s_delay_alu instid0(VALU_DEP_1) | instskip(NEXT) | instid1(VALU_DEP_1)
	v_lshrrev_b32_e32 v24, s43, v24
	v_and_b32_e32 v24, s48, v24
	s_delay_alu instid0(VALU_DEP_1) | instskip(SKIP_2) | instid1(SALU_CYCLE_1)
	v_lshl_or_b32 v24, v24, 4, v84
	ds_add_u32 v24, v7
	s_or_b32 exec_lo, exec_lo, s11
	s_mov_b32 s11, exec_lo
	v_cmpx_gt_u32_e64 s10, v73
	s_cbranch_execz .LBB186_356
.LBB186_372:                            ;   in Loop: Header=BB186_326 Depth=2
	v_and_b32_e32 v24, 0xff, v35
	s_delay_alu instid0(VALU_DEP_1) | instskip(NEXT) | instid1(VALU_DEP_1)
	v_lshrrev_b32_e32 v24, s43, v24
	v_and_b32_e32 v24, s48, v24
	s_delay_alu instid0(VALU_DEP_1) | instskip(SKIP_2) | instid1(SALU_CYCLE_1)
	v_lshl_or_b32 v24, v24, 4, v84
	ds_add_u32 v24, v7
	s_or_b32 exec_lo, exec_lo, s11
	s_mov_b32 s11, exec_lo
	v_cmpx_gt_u32_e64 s10, v74
	s_cbranch_execz .LBB186_357
.LBB186_373:                            ;   in Loop: Header=BB186_326 Depth=2
	v_and_b32_e32 v24, 0xff, v34
	s_delay_alu instid0(VALU_DEP_1) | instskip(NEXT) | instid1(VALU_DEP_1)
	v_lshrrev_b32_e32 v24, s43, v24
	v_and_b32_e32 v24, s48, v24
	s_delay_alu instid0(VALU_DEP_1) | instskip(SKIP_2) | instid1(SALU_CYCLE_1)
	v_lshl_or_b32 v24, v24, 4, v84
	ds_add_u32 v24, v7
	s_or_b32 exec_lo, exec_lo, s11
	s_mov_b32 s11, exec_lo
	v_cmpx_gt_u32_e64 s10, v75
	s_cbranch_execz .LBB186_358
.LBB186_374:                            ;   in Loop: Header=BB186_326 Depth=2
	v_and_b32_e32 v24, 0xff, v33
	s_delay_alu instid0(VALU_DEP_1) | instskip(NEXT) | instid1(VALU_DEP_1)
	v_lshrrev_b32_e32 v24, s43, v24
	v_and_b32_e32 v24, s48, v24
	s_delay_alu instid0(VALU_DEP_1) | instskip(SKIP_2) | instid1(SALU_CYCLE_1)
	v_lshl_or_b32 v24, v24, 4, v84
	ds_add_u32 v24, v7
	s_or_b32 exec_lo, exec_lo, s11
	s_mov_b32 s11, exec_lo
	v_cmpx_gt_u32_e64 s10, v76
	s_cbranch_execz .LBB186_359
.LBB186_375:                            ;   in Loop: Header=BB186_326 Depth=2
	v_and_b32_e32 v24, 0xff, v32
	s_delay_alu instid0(VALU_DEP_1) | instskip(NEXT) | instid1(VALU_DEP_1)
	v_lshrrev_b32_e32 v24, s43, v24
	v_and_b32_e32 v24, s48, v24
	s_delay_alu instid0(VALU_DEP_1) | instskip(SKIP_2) | instid1(SALU_CYCLE_1)
	v_lshl_or_b32 v24, v24, 4, v84
	ds_add_u32 v24, v7
	s_or_b32 exec_lo, exec_lo, s11
	s_mov_b32 s11, exec_lo
	v_cmpx_gt_u32_e64 s10, v77
	s_cbranch_execz .LBB186_360
.LBB186_376:                            ;   in Loop: Header=BB186_326 Depth=2
	v_and_b32_e32 v24, 0xff, v31
	s_delay_alu instid0(VALU_DEP_1) | instskip(NEXT) | instid1(VALU_DEP_1)
	v_lshrrev_b32_e32 v24, s43, v24
	v_and_b32_e32 v24, s48, v24
	s_delay_alu instid0(VALU_DEP_1) | instskip(SKIP_2) | instid1(SALU_CYCLE_1)
	v_lshl_or_b32 v24, v24, 4, v84
	ds_add_u32 v24, v7
	s_or_b32 exec_lo, exec_lo, s11
	s_mov_b32 s11, exec_lo
	v_cmpx_gt_u32_e64 s10, v78
	s_cbranch_execz .LBB186_361
.LBB186_377:                            ;   in Loop: Header=BB186_326 Depth=2
	v_and_b32_e32 v24, 0xff, v30
	s_delay_alu instid0(VALU_DEP_1) | instskip(NEXT) | instid1(VALU_DEP_1)
	v_lshrrev_b32_e32 v24, s43, v24
	v_and_b32_e32 v24, s48, v24
	s_delay_alu instid0(VALU_DEP_1) | instskip(SKIP_2) | instid1(SALU_CYCLE_1)
	v_lshl_or_b32 v24, v24, 4, v84
	ds_add_u32 v24, v7
	s_or_b32 exec_lo, exec_lo, s11
	s_mov_b32 s11, exec_lo
	v_cmpx_gt_u32_e64 s10, v79
	s_cbranch_execz .LBB186_362
.LBB186_378:                            ;   in Loop: Header=BB186_326 Depth=2
	v_and_b32_e32 v24, 0xff, v29
	s_delay_alu instid0(VALU_DEP_1) | instskip(NEXT) | instid1(VALU_DEP_1)
	v_lshrrev_b32_e32 v24, s43, v24
	v_and_b32_e32 v24, s48, v24
	s_delay_alu instid0(VALU_DEP_1) | instskip(SKIP_2) | instid1(SALU_CYCLE_1)
	v_lshl_or_b32 v24, v24, 4, v84
	ds_add_u32 v24, v7
	s_or_b32 exec_lo, exec_lo, s11
	s_mov_b32 s11, exec_lo
	v_cmpx_gt_u32_e64 s10, v80
	s_cbranch_execz .LBB186_363
.LBB186_379:                            ;   in Loop: Header=BB186_326 Depth=2
	v_and_b32_e32 v24, 0xff, v28
	s_delay_alu instid0(VALU_DEP_1) | instskip(NEXT) | instid1(VALU_DEP_1)
	v_lshrrev_b32_e32 v24, s43, v24
	v_and_b32_e32 v24, s48, v24
	s_delay_alu instid0(VALU_DEP_1) | instskip(SKIP_2) | instid1(SALU_CYCLE_1)
	v_lshl_or_b32 v24, v24, 4, v84
	ds_add_u32 v24, v7
	s_or_b32 exec_lo, exec_lo, s11
	s_mov_b32 s11, exec_lo
	v_cmpx_gt_u32_e64 s10, v81
	s_cbranch_execz .LBB186_364
.LBB186_380:                            ;   in Loop: Header=BB186_326 Depth=2
	v_and_b32_e32 v24, 0xff, v27
	s_delay_alu instid0(VALU_DEP_1) | instskip(NEXT) | instid1(VALU_DEP_1)
	v_lshrrev_b32_e32 v24, s43, v24
	v_and_b32_e32 v24, s48, v24
	s_delay_alu instid0(VALU_DEP_1)
	v_lshl_or_b32 v24, v24, 4, v84
	ds_add_u32 v24, v7
	s_or_b32 exec_lo, exec_lo, s11
	v_cmp_gt_u32_e32 vcc_lo, s10, v82
	s_and_saveexec_b32 s10, vcc_lo
	s_cbranch_execz .LBB186_325
.LBB186_381:                            ;   in Loop: Header=BB186_326 Depth=2
	v_and_b32_e32 v24, 0xff, v26
	s_delay_alu instid0(VALU_DEP_1) | instskip(NEXT) | instid1(VALU_DEP_1)
	v_lshrrev_b32_e32 v24, s43, v24
	v_and_b32_e32 v24, s48, v24
	s_delay_alu instid0(VALU_DEP_1)
	v_lshl_or_b32 v24, v24, 4, v84
	ds_add_u32 v24, v7
	s_branch .LBB186_325
.LBB186_382:                            ;   in Loop: Header=BB186_326 Depth=2
	global_load_u8 v39, v[24:25], off
	s_wait_xcnt 0x0
	s_or_b32 exec_lo, exec_lo, s10
	s_delay_alu instid0(SALU_CYCLE_1)
	s_mov_b32 s10, exec_lo
	v_cmpx_gt_u32_e64 s8, v67
	s_cbranch_execz .LBB186_331
.LBB186_383:                            ;   in Loop: Header=BB186_326 Depth=2
	global_load_u8 v42, v[24:25], off offset:256
	s_wait_xcnt 0x0
	s_or_b32 exec_lo, exec_lo, s10
	s_delay_alu instid0(SALU_CYCLE_1)
	s_mov_b32 s10, exec_lo
	v_cmpx_gt_u32_e64 s8, v68
	s_cbranch_execz .LBB186_332
.LBB186_384:                            ;   in Loop: Header=BB186_326 Depth=2
	global_load_u8 v41, v[24:25], off offset:512
	s_wait_xcnt 0x0
	s_or_b32 exec_lo, exec_lo, s10
	s_delay_alu instid0(SALU_CYCLE_1)
	s_mov_b32 s10, exec_lo
	v_cmpx_gt_u32_e64 s8, v69
	s_cbranch_execz .LBB186_333
.LBB186_385:                            ;   in Loop: Header=BB186_326 Depth=2
	global_load_u8 v40, v[24:25], off offset:768
	s_wait_xcnt 0x0
	s_or_b32 exec_lo, exec_lo, s10
	s_delay_alu instid0(SALU_CYCLE_1)
	s_mov_b32 s10, exec_lo
	v_cmpx_gt_u32_e64 s8, v70
	s_cbranch_execz .LBB186_334
.LBB186_386:                            ;   in Loop: Header=BB186_326 Depth=2
	global_load_u8 v38, v[24:25], off offset:1024
	s_wait_xcnt 0x0
	s_or_b32 exec_lo, exec_lo, s10
	s_delay_alu instid0(SALU_CYCLE_1)
	s_mov_b32 s10, exec_lo
	v_cmpx_gt_u32_e64 s8, v71
	s_cbranch_execz .LBB186_335
.LBB186_387:                            ;   in Loop: Header=BB186_326 Depth=2
	global_load_u8 v37, v[24:25], off offset:1280
	s_wait_xcnt 0x0
	s_or_b32 exec_lo, exec_lo, s10
	s_delay_alu instid0(SALU_CYCLE_1)
	s_mov_b32 s10, exec_lo
	v_cmpx_gt_u32_e64 s8, v72
	s_cbranch_execz .LBB186_336
.LBB186_388:                            ;   in Loop: Header=BB186_326 Depth=2
	global_load_u8 v36, v[24:25], off offset:1536
	s_wait_xcnt 0x0
	s_or_b32 exec_lo, exec_lo, s10
	s_delay_alu instid0(SALU_CYCLE_1)
	s_mov_b32 s10, exec_lo
	v_cmpx_gt_u32_e64 s8, v73
	s_cbranch_execz .LBB186_337
.LBB186_389:                            ;   in Loop: Header=BB186_326 Depth=2
	global_load_u8 v35, v[24:25], off offset:1792
	s_wait_xcnt 0x0
	s_or_b32 exec_lo, exec_lo, s10
	s_delay_alu instid0(SALU_CYCLE_1)
	s_mov_b32 s10, exec_lo
	v_cmpx_gt_u32_e64 s8, v74
	s_cbranch_execz .LBB186_338
.LBB186_390:                            ;   in Loop: Header=BB186_326 Depth=2
	global_load_u8 v34, v[24:25], off offset:2048
	s_wait_xcnt 0x0
	s_or_b32 exec_lo, exec_lo, s10
	s_delay_alu instid0(SALU_CYCLE_1)
	s_mov_b32 s10, exec_lo
	v_cmpx_gt_u32_e64 s8, v75
	s_cbranch_execz .LBB186_339
.LBB186_391:                            ;   in Loop: Header=BB186_326 Depth=2
	global_load_u8 v33, v[24:25], off offset:2304
	s_wait_xcnt 0x0
	s_or_b32 exec_lo, exec_lo, s10
	s_delay_alu instid0(SALU_CYCLE_1)
	s_mov_b32 s10, exec_lo
	v_cmpx_gt_u32_e64 s8, v76
	s_cbranch_execz .LBB186_340
.LBB186_392:                            ;   in Loop: Header=BB186_326 Depth=2
	global_load_u8 v32, v[24:25], off offset:2560
	s_wait_xcnt 0x0
	s_or_b32 exec_lo, exec_lo, s10
	s_delay_alu instid0(SALU_CYCLE_1)
	s_mov_b32 s10, exec_lo
	v_cmpx_gt_u32_e64 s8, v77
	s_cbranch_execz .LBB186_341
.LBB186_393:                            ;   in Loop: Header=BB186_326 Depth=2
	global_load_u8 v31, v[24:25], off offset:2816
	s_wait_xcnt 0x0
	s_or_b32 exec_lo, exec_lo, s10
	s_delay_alu instid0(SALU_CYCLE_1)
	s_mov_b32 s10, exec_lo
	v_cmpx_gt_u32_e64 s8, v78
	s_cbranch_execz .LBB186_342
.LBB186_394:                            ;   in Loop: Header=BB186_326 Depth=2
	global_load_u8 v30, v[24:25], off offset:3072
	s_wait_xcnt 0x0
	s_or_b32 exec_lo, exec_lo, s10
	s_delay_alu instid0(SALU_CYCLE_1)
	s_mov_b32 s10, exec_lo
	v_cmpx_gt_u32_e64 s8, v79
	s_cbranch_execz .LBB186_343
.LBB186_395:                            ;   in Loop: Header=BB186_326 Depth=2
	global_load_u8 v29, v[24:25], off offset:3328
	s_wait_xcnt 0x0
	s_or_b32 exec_lo, exec_lo, s10
	s_delay_alu instid0(SALU_CYCLE_1)
	s_mov_b32 s10, exec_lo
	v_cmpx_gt_u32_e64 s8, v80
	s_cbranch_execz .LBB186_344
.LBB186_396:                            ;   in Loop: Header=BB186_326 Depth=2
	global_load_u8 v28, v[24:25], off offset:3584
	s_wait_xcnt 0x0
	s_or_b32 exec_lo, exec_lo, s10
	s_delay_alu instid0(SALU_CYCLE_1)
	s_mov_b32 s10, exec_lo
	v_cmpx_gt_u32_e64 s8, v81
	s_cbranch_execz .LBB186_345
.LBB186_397:                            ;   in Loop: Header=BB186_326 Depth=2
	global_load_u8 v27, v[24:25], off offset:3840
	s_wait_xcnt 0x0
	s_or_b32 exec_lo, exec_lo, s10
	s_delay_alu instid0(SALU_CYCLE_1)
	s_mov_b32 s10, exec_lo
	v_cmpx_gt_u32_e64 s8, v82
	s_cbranch_execnz .LBB186_346
	s_branch .LBB186_347
.LBB186_398:                            ;   in Loop: Header=BB186_12 Depth=1
	v_mov_b32_e32 v24, 0
	s_wait_dscnt 0x0
	s_barrier_signal -1
	s_barrier_wait -1
	s_and_saveexec_b32 s8, s0
	s_cbranch_execz .LBB186_400
; %bb.399:                              ;   in Loop: Header=BB186_12 Depth=1
	ds_load_2addr_b64 v[24:27], v85 offset1:1
	s_wait_dscnt 0x0
	v_add_nc_u32_e32 v24, v25, v24
	s_delay_alu instid0(VALU_DEP_1)
	v_add3_u32 v24, v24, v26, v27
.LBB186_400:                            ;   in Loop: Header=BB186_12 Depth=1
	s_or_b32 exec_lo, exec_lo, s8
	v_and_b32_e32 v25, 15, v0
	s_delay_alu instid0(VALU_DEP_2) | instskip(SKIP_1) | instid1(VALU_DEP_3)
	v_mov_b32_dpp v26, v24 row_shr:1 row_mask:0xf bank_mask:0xf
	v_and_b32_e32 v27, 16, v0
	v_cmp_eq_u32_e64 s8, 0, v25
	v_cmp_lt_u32_e64 s9, 1, v25
	s_delay_alu instid0(VALU_DEP_3) | instskip(NEXT) | instid1(VALU_DEP_3)
	v_cmp_eq_u32_e64 s12, 0, v27
	v_cndmask_b32_e64 v26, v26, 0, s8
	s_delay_alu instid0(VALU_DEP_1) | instskip(NEXT) | instid1(VALU_DEP_1)
	v_add_nc_u32_e32 v24, v26, v24
	v_mov_b32_dpp v26, v24 row_shr:2 row_mask:0xf bank_mask:0xf
	s_delay_alu instid0(VALU_DEP_1) | instskip(SKIP_2) | instid1(VALU_DEP_3)
	v_cndmask_b32_e64 v26, 0, v26, s9
	v_cmp_lt_u32_e64 s11, 7, v25
	v_cmp_lt_u32_e64 s10, 3, v25
	v_add_nc_u32_e32 v24, v24, v26
	s_delay_alu instid0(VALU_DEP_1) | instskip(NEXT) | instid1(VALU_DEP_1)
	v_mov_b32_dpp v26, v24 row_shr:4 row_mask:0xf bank_mask:0xf
	v_cndmask_b32_e64 v26, 0, v26, s10
	s_delay_alu instid0(VALU_DEP_1) | instskip(NEXT) | instid1(VALU_DEP_1)
	v_add_nc_u32_e32 v24, v24, v26
	v_mov_b32_dpp v26, v24 row_shr:8 row_mask:0xf bank_mask:0xf
	s_delay_alu instid0(VALU_DEP_1) | instskip(SKIP_1) | instid1(VALU_DEP_2)
	v_cndmask_b32_e64 v25, 0, v26, s11
	v_bfe_i32 v26, v0, 4, 1
	v_add_nc_u32_e32 v24, v24, v25
	ds_swizzle_b32 v25, v24 offset:swizzle(BROADCAST,32,15)
	s_wait_dscnt 0x0
	v_and_b32_e32 v25, v26, v25
	s_delay_alu instid0(VALU_DEP_1)
	v_add_nc_u32_e32 v24, v24, v25
	s_and_saveexec_b32 s13, s1
; %bb.401:                              ;   in Loop: Header=BB186_12 Depth=1
	ds_store_b32 v86, v24
; %bb.402:                              ;   in Loop: Header=BB186_12 Depth=1
	s_or_b32 exec_lo, exec_lo, s13
	s_wait_dscnt 0x0
	s_barrier_signal -1
	s_barrier_wait -1
	s_and_saveexec_b32 s13, s4
	s_cbranch_execz .LBB186_404
; %bb.403:                              ;   in Loop: Header=BB186_12 Depth=1
	ds_load_b32 v25, v87
	s_wait_dscnt 0x0
	v_mov_b32_dpp v27, v25 row_shr:1 row_mask:0xf bank_mask:0xf
	v_and_b32_e32 v26, 3, v0
	s_delay_alu instid0(VALU_DEP_1) | instskip(NEXT) | instid1(VALU_DEP_3)
	v_cmp_ne_u32_e32 vcc_lo, 0, v26
	v_cndmask_b32_e32 v27, 0, v27, vcc_lo
	v_cmp_lt_u32_e32 vcc_lo, 1, v26
	s_delay_alu instid0(VALU_DEP_2) | instskip(NEXT) | instid1(VALU_DEP_1)
	v_add_nc_u32_e32 v25, v27, v25
	v_mov_b32_dpp v27, v25 row_shr:2 row_mask:0xf bank_mask:0xf
	s_delay_alu instid0(VALU_DEP_1) | instskip(NEXT) | instid1(VALU_DEP_1)
	v_cndmask_b32_e32 v26, 0, v27, vcc_lo
	v_add_nc_u32_e32 v25, v25, v26
	ds_store_b32 v87, v25
.LBB186_404:                            ;   in Loop: Header=BB186_12 Depth=1
	s_or_b32 exec_lo, exec_lo, s13
	v_mov_b32_e32 v25, 0
	s_wait_dscnt 0x0
	s_barrier_signal -1
	s_barrier_wait -1
	s_and_saveexec_b32 s13, s5
; %bb.405:                              ;   in Loop: Header=BB186_12 Depth=1
	ds_load_b32 v25, v88
; %bb.406:                              ;   in Loop: Header=BB186_12 Depth=1
	s_or_b32 exec_lo, exec_lo, s13
	v_sub_co_u32 v26, s13, v0, 1
	s_wait_dscnt 0x0
	s_barrier_signal -1
	s_barrier_wait -1
	s_delay_alu instid0(VALU_DEP_1) | instskip(SKIP_1) | instid1(VALU_DEP_1)
	v_cmp_gt_i32_e32 vcc_lo, 0, v26
	v_cndmask_b32_e32 v26, v26, v0, vcc_lo
	v_dual_add_nc_u32 v24, v25, v24 :: v_dual_lshlrev_b32 v96, 2, v26
	ds_bpermute_b32 v24, v96, v24
	s_and_saveexec_b32 s14, s0
	s_cbranch_execz .LBB186_408
; %bb.407:                              ;   in Loop: Header=BB186_12 Depth=1
	s_wait_dscnt 0x0
	v_cndmask_b32_e64 v24, v24, v25, s13
	s_delay_alu instid0(VALU_DEP_1)
	v_add_nc_u32_e32 v24, s55, v24
	ds_store_b32 v66, v24
.LBB186_408:                            ;   in Loop: Header=BB186_12 Depth=1
	s_or_b32 exec_lo, exec_lo, s14
	s_load_b64 s[14:15], s[52:53], 0x0
	s_wait_dscnt 0x0
	v_dual_lshlrev_b32 v24, 3, v0 :: v_dual_bitop2_b32 v26, 7, v0 bitop3:0x40
	v_dual_mov_b32 v25, v1 :: v_dual_bitop2_b32 v97, v0, v6 bitop3:0x54
	s_mov_b32 s58, s57
                                        ; implicit-def: $vgpr30_vgpr31
                                        ; implicit-def: $vgpr32_vgpr33
                                        ; implicit-def: $vgpr34_vgpr35
                                        ; implicit-def: $vgpr36_vgpr37
                                        ; implicit-def: $vgpr38_vgpr39
                                        ; implicit-def: $vgpr40_vgpr41
                                        ; implicit-def: $vgpr42_vgpr43
                                        ; implicit-def: $vgpr44_vgpr45
                                        ; implicit-def: $vgpr46_vgpr47
                                        ; implicit-def: $vgpr48_vgpr49
                                        ; implicit-def: $vgpr50_vgpr51
                                        ; implicit-def: $vgpr52_vgpr53
                                        ; implicit-def: $vgpr54_vgpr55
                                        ; implicit-def: $vgpr56_vgpr57
                                        ; implicit-def: $vgpr58_vgpr59
                                        ; implicit-def: $vgpr60_vgpr61
                                        ; implicit-def: $vgpr115
                                        ; implicit-def: $vgpr116
                                        ; implicit-def: $vgpr117
                                        ; implicit-def: $vgpr118
                                        ; implicit-def: $vgpr119
                                        ; implicit-def: $vgpr120
                                        ; implicit-def: $vgpr121
                                        ; implicit-def: $vgpr122
                                        ; implicit-def: $vgpr123
                                        ; implicit-def: $vgpr124
                                        ; implicit-def: $vgpr125
                                        ; implicit-def: $vgpr126
                                        ; implicit-def: $vgpr127
                                        ; implicit-def: $vgpr128
                                        ; implicit-def: $vgpr129
                                        ; implicit-def: $vgpr130
                                        ; implicit-def: $vgpr131
                                        ; implicit-def: $vgpr132
                                        ; implicit-def: $vgpr133
	s_delay_alu instid0(VALU_DEP_1) | instskip(NEXT) | instid1(VALU_DEP_2)
	v_add_nc_u64_e32 v[24:25], v[14:15], v[24:25]
	v_dual_add_nc_u32 v98, 32, v97 :: v_dual_add_nc_u32 v99, 64, v97
	v_add_nc_u32_e32 v100, 0x60, v97
	v_add_nc_u32_e32 v101, 0x80, v97
	;; [unrolled: 1-line block ×9, first 2 shown]
	s_wait_kmcnt 0x0
	s_cmp_lt_u32 s51, s14
	v_add_nc_u32_e32 v109, 0x180, v97
	s_cselect_b32 s34, 12, 18
	s_cmp_lt_u32 s42, s15
	s_mov_b32 s15, s35
	s_cselect_b32 s14, 14, 20
	v_add_nc_u32_e32 v110, 0x1a0, v97
	s_add_nc_u64 s[14:15], s[52:53], s[14:15]
	v_add_nc_u32_e32 v111, 0x1c0, v97
	s_load_u16 s16, s[14:15], 0x0
	s_wait_xcnt 0x0
	s_add_nc_u64 s[14:15], s[52:53], s[34:35]
	v_add_nc_u32_e32 v112, 0x1e0, v97
	s_load_u16 s17, s[14:15], 0x0
	s_wait_xcnt 0x0
	v_cmp_eq_u32_e64 s14, 0, v26
	v_cmp_lt_u32_e64 s15, 1, v26
	v_add_nc_u32_e32 v113, 0x200, v97
	s_mov_b32 s34, s55
	s_wait_kmcnt 0x0
	v_mad_u32_u24 v27, v89, s16, v91
	v_cmp_lt_u32_e64 s16, 3, v26
	s_delay_alu instid0(VALU_DEP_2) | instskip(NEXT) | instid1(VALU_DEP_1)
	v_mad_u32 v26, v27, s17, v2
	v_lshrrev_b32_e32 v28, 3, v26
	v_add_nc_u64_e32 v[26:27], v[16:17], v[0:1]
	s_delay_alu instid0(VALU_DEP_2)
	v_and_b32_e32 v114, 0x1ffffffc, v28
                                        ; implicit-def: $vgpr28_vgpr29
	s_branch .LBB186_410
.LBB186_409:                            ;   in Loop: Header=BB186_410 Depth=2
	s_or_b32 exec_lo, exec_lo, s17
	s_addk_co_i32 s58, 0xef00
	s_cmp_lt_u32 s59, s54
	s_mov_b32 s34, s59
	s_cbranch_scc0 .LBB186_632
.LBB186_410:                            ;   Parent Loop BB186_12 Depth=1
                                        ; =>  This Inner Loop Header: Depth=2
	s_add_co_i32 s59, s34, 0x1100
	s_delay_alu instid0(SALU_CYCLE_1)
	s_cmp_gt_u32 s59, s54
	s_cbranch_scc1 .LBB186_412
; %bb.411:                              ;   in Loop: Header=BB186_410 Depth=2
	s_delay_alu instid0(VALU_DEP_2)
	v_add_nc_u64_e32 v[62:63], s[34:35], v[26:27]
	s_mov_b32 s17, -1
	s_clause 0xf
	global_load_u8 v135, v[62:63], off
	global_load_u8 v136, v[62:63], off offset:32
	global_load_u8 v137, v[62:63], off offset:64
	;; [unrolled: 1-line block ×15, first 2 shown]
	s_movk_i32 s18, 0x1100
	s_cbranch_execz .LBB186_413
	s_branch .LBB186_446
.LBB186_412:                            ;   in Loop: Header=BB186_410 Depth=2
	s_mov_b32 s17, 0
                                        ; implicit-def: $vgpr135
                                        ; implicit-def: $vgpr136
                                        ; implicit-def: $vgpr137
                                        ; implicit-def: $vgpr138
                                        ; implicit-def: $vgpr139
                                        ; implicit-def: $vgpr140
                                        ; implicit-def: $vgpr141
                                        ; implicit-def: $vgpr142
                                        ; implicit-def: $vgpr143
                                        ; implicit-def: $vgpr144
                                        ; implicit-def: $vgpr145
                                        ; implicit-def: $vgpr146
                                        ; implicit-def: $vgpr147
                                        ; implicit-def: $vgpr148
                                        ; implicit-def: $vgpr149
                                        ; implicit-def: $vgpr150
	s_movk_i32 s18, 0x1100
.LBB186_413:                            ;   in Loop: Header=BB186_410 Depth=2
	s_wait_xcnt 0x0
	v_add_nc_u64_e32 v[62:63], s[34:35], v[26:27]
	s_wait_loadcnt 0xe
	v_dual_mov_b32 v136, 0xff :: v_dual_mov_b32 v135, 0xff
	s_mov_b32 s17, exec_lo
	v_cmpx_gt_u32_e64 s58, v97
	s_cbranch_execz .LBB186_415
; %bb.414:                              ;   in Loop: Header=BB186_410 Depth=2
	global_load_u8 v135, v[62:63], off
.LBB186_415:                            ;   in Loop: Header=BB186_410 Depth=2
	s_wait_xcnt 0x0
	s_or_b32 exec_lo, exec_lo, s17
	s_delay_alu instid0(SALU_CYCLE_1)
	s_mov_b32 s17, exec_lo
	v_cmpx_gt_u32_e64 s58, v98
	s_cbranch_execz .LBB186_417
; %bb.416:                              ;   in Loop: Header=BB186_410 Depth=2
	global_load_u8 v136, v[62:63], off offset:32
.LBB186_417:                            ;   in Loop: Header=BB186_410 Depth=2
	s_wait_xcnt 0x0
	s_or_b32 exec_lo, exec_lo, s17
	s_wait_loadcnt 0xc
	v_dual_mov_b32 v138, 0xff :: v_dual_mov_b32 v137, 0xff
	s_mov_b32 s17, exec_lo
	v_cmpx_gt_u32_e64 s58, v99
	s_cbranch_execz .LBB186_419
; %bb.418:                              ;   in Loop: Header=BB186_410 Depth=2
	global_load_u8 v137, v[62:63], off offset:64
.LBB186_419:                            ;   in Loop: Header=BB186_410 Depth=2
	s_wait_xcnt 0x0
	s_or_b32 exec_lo, exec_lo, s17
	s_delay_alu instid0(SALU_CYCLE_1)
	s_mov_b32 s17, exec_lo
	v_cmpx_gt_u32_e64 s58, v100
	s_cbranch_execz .LBB186_421
; %bb.420:                              ;   in Loop: Header=BB186_410 Depth=2
	global_load_u8 v138, v[62:63], off offset:96
.LBB186_421:                            ;   in Loop: Header=BB186_410 Depth=2
	s_wait_xcnt 0x0
	s_or_b32 exec_lo, exec_lo, s17
	s_wait_loadcnt 0xa
	v_dual_mov_b32 v140, 0xff :: v_dual_mov_b32 v139, 0xff
	s_mov_b32 s17, exec_lo
	v_cmpx_gt_u32_e64 s58, v101
	s_cbranch_execz .LBB186_423
; %bb.422:                              ;   in Loop: Header=BB186_410 Depth=2
	global_load_u8 v139, v[62:63], off offset:128
.LBB186_423:                            ;   in Loop: Header=BB186_410 Depth=2
	s_wait_xcnt 0x0
	s_or_b32 exec_lo, exec_lo, s17
	s_delay_alu instid0(SALU_CYCLE_1)
	s_mov_b32 s17, exec_lo
	v_cmpx_gt_u32_e64 s58, v102
	s_cbranch_execz .LBB186_425
; %bb.424:                              ;   in Loop: Header=BB186_410 Depth=2
	global_load_u8 v140, v[62:63], off offset:160
.LBB186_425:                            ;   in Loop: Header=BB186_410 Depth=2
	s_wait_xcnt 0x0
	s_or_b32 exec_lo, exec_lo, s17
	s_wait_loadcnt 0x8
	v_dual_mov_b32 v142, 0xff :: v_dual_mov_b32 v141, 0xff
	s_mov_b32 s17, exec_lo
	v_cmpx_gt_u32_e64 s58, v103
	s_cbranch_execz .LBB186_427
; %bb.426:                              ;   in Loop: Header=BB186_410 Depth=2
	global_load_u8 v141, v[62:63], off offset:192
.LBB186_427:                            ;   in Loop: Header=BB186_410 Depth=2
	s_wait_xcnt 0x0
	s_or_b32 exec_lo, exec_lo, s17
	s_delay_alu instid0(SALU_CYCLE_1)
	s_mov_b32 s17, exec_lo
	v_cmpx_gt_u32_e64 s58, v104
	s_cbranch_execz .LBB186_429
; %bb.428:                              ;   in Loop: Header=BB186_410 Depth=2
	global_load_u8 v142, v[62:63], off offset:224
.LBB186_429:                            ;   in Loop: Header=BB186_410 Depth=2
	s_wait_xcnt 0x0
	s_or_b32 exec_lo, exec_lo, s17
	s_wait_loadcnt 0x6
	v_dual_mov_b32 v144, 0xff :: v_dual_mov_b32 v143, 0xff
	s_mov_b32 s17, exec_lo
	v_cmpx_gt_u32_e64 s58, v105
	s_cbranch_execz .LBB186_431
; %bb.430:                              ;   in Loop: Header=BB186_410 Depth=2
	global_load_u8 v143, v[62:63], off offset:256
.LBB186_431:                            ;   in Loop: Header=BB186_410 Depth=2
	s_wait_xcnt 0x0
	s_or_b32 exec_lo, exec_lo, s17
	s_delay_alu instid0(SALU_CYCLE_1)
	s_mov_b32 s17, exec_lo
	v_cmpx_gt_u32_e64 s58, v106
	s_cbranch_execz .LBB186_433
; %bb.432:                              ;   in Loop: Header=BB186_410 Depth=2
	global_load_u8 v144, v[62:63], off offset:288
.LBB186_433:                            ;   in Loop: Header=BB186_410 Depth=2
	s_wait_xcnt 0x0
	s_or_b32 exec_lo, exec_lo, s17
	s_wait_loadcnt 0x4
	v_dual_mov_b32 v146, 0xff :: v_dual_mov_b32 v145, 0xff
	s_mov_b32 s17, exec_lo
	v_cmpx_gt_u32_e64 s58, v107
	s_cbranch_execz .LBB186_435
; %bb.434:                              ;   in Loop: Header=BB186_410 Depth=2
	global_load_u8 v145, v[62:63], off offset:320
.LBB186_435:                            ;   in Loop: Header=BB186_410 Depth=2
	s_wait_xcnt 0x0
	s_or_b32 exec_lo, exec_lo, s17
	s_delay_alu instid0(SALU_CYCLE_1)
	s_mov_b32 s17, exec_lo
	v_cmpx_gt_u32_e64 s58, v108
	s_cbranch_execz .LBB186_437
; %bb.436:                              ;   in Loop: Header=BB186_410 Depth=2
	global_load_u8 v146, v[62:63], off offset:352
.LBB186_437:                            ;   in Loop: Header=BB186_410 Depth=2
	s_wait_xcnt 0x0
	s_or_b32 exec_lo, exec_lo, s17
	s_wait_loadcnt 0x2
	v_dual_mov_b32 v148, 0xff :: v_dual_mov_b32 v147, 0xff
	s_mov_b32 s17, exec_lo
	v_cmpx_gt_u32_e64 s58, v109
	s_cbranch_execz .LBB186_439
; %bb.438:                              ;   in Loop: Header=BB186_410 Depth=2
	global_load_u8 v147, v[62:63], off offset:384
.LBB186_439:                            ;   in Loop: Header=BB186_410 Depth=2
	s_wait_xcnt 0x0
	s_or_b32 exec_lo, exec_lo, s17
	s_delay_alu instid0(SALU_CYCLE_1)
	s_mov_b32 s17, exec_lo
	v_cmpx_gt_u32_e64 s58, v110
	s_cbranch_execz .LBB186_441
; %bb.440:                              ;   in Loop: Header=BB186_410 Depth=2
	global_load_u8 v148, v[62:63], off offset:416
.LBB186_441:                            ;   in Loop: Header=BB186_410 Depth=2
	s_wait_xcnt 0x0
	s_or_b32 exec_lo, exec_lo, s17
	s_wait_loadcnt 0x0
	v_dual_mov_b32 v150, 0xff :: v_dual_mov_b32 v149, 0xff
	s_mov_b32 s17, exec_lo
	v_cmpx_gt_u32_e64 s58, v111
	s_cbranch_execz .LBB186_443
; %bb.442:                              ;   in Loop: Header=BB186_410 Depth=2
	global_load_u8 v149, v[62:63], off offset:448
.LBB186_443:                            ;   in Loop: Header=BB186_410 Depth=2
	s_wait_xcnt 0x0
	s_or_b32 exec_lo, exec_lo, s17
	s_delay_alu instid0(SALU_CYCLE_1)
	s_mov_b32 s17, exec_lo
	v_cmpx_gt_u32_e64 s58, v112
	s_cbranch_execz .LBB186_445
; %bb.444:                              ;   in Loop: Header=BB186_410 Depth=2
	global_load_u8 v150, v[62:63], off offset:480
.LBB186_445:                            ;   in Loop: Header=BB186_410 Depth=2
	s_wait_xcnt 0x0
	s_or_b32 exec_lo, exec_lo, s17
	v_cmp_gt_u32_e64 s17, s58, v113
	s_sub_co_i32 s18, s54, s34
.LBB186_446:                            ;   in Loop: Header=BB186_410 Depth=2
	v_dual_mov_b32 v151, 0xff :: v_dual_mov_b32 v134, s58
	s_wait_xcnt 0x0
	s_and_saveexec_b32 s19, s17
	s_cbranch_execz .LBB186_448
; %bb.447:                              ;   in Loop: Header=BB186_410 Depth=2
	v_add_nc_u64_e32 v[62:63], s[34:35], v[26:27]
	v_mov_b32_e32 v134, s18
	global_load_u8 v151, v[62:63], off offset:512
.LBB186_448:                            ;   in Loop: Header=BB186_410 Depth=2
	s_wait_xcnt 0x0
	s_or_b32 exec_lo, exec_lo, s19
	s_wait_loadcnt 0xf
	v_and_b32_e32 v62, 0xff, v135
	ds_store_2addr_b32 v90, v1, v1 offset0:136 offset1:137
	ds_store_2addr_b32 v90, v1, v1 offset0:138 offset1:139
	ds_store_b32 v90, v1 offset:560
	s_wait_loadcnt_dscnt 0x0
	s_barrier_signal -1
	s_barrier_wait -1
	v_lshrrev_b32_e32 v62, s43, v62
	; wave barrier
	s_delay_alu instid0(VALU_DEP_1) | instskip(NEXT) | instid1(VALU_DEP_1)
	v_and_b32_e32 v64, s48, v62
	v_lshlrev_b32_e32 v65, 30, v64
	v_bitop3_b32 v63, v62, 1, s48 bitop3:0x80
	s_delay_alu instid0(VALU_DEP_1) | instskip(NEXT) | instid1(VALU_DEP_1)
	v_add_co_u32 v62, s17, v63, -1
	v_cndmask_b32_e64 v63, 0, 1, s17
	s_delay_alu instid0(VALU_DEP_4) | instskip(NEXT) | instid1(VALU_DEP_2)
	v_cmp_gt_i32_e64 s17, 0, v65
	v_cmp_ne_u32_e32 vcc_lo, 0, v63
	v_not_b32_e32 v63, v65
	v_bitop3_b32 v62, vcc_lo, exec_lo, v62 bitop3:0x48
	s_delay_alu instid0(VALU_DEP_2) | instskip(SKIP_2) | instid1(VALU_DEP_3)
	v_dual_ashrrev_i32 v63, 31, v63 :: v_dual_lshlrev_b32 v152, 29, v64
	v_dual_lshlrev_b32 v153, 28, v64 :: v_dual_lshlrev_b32 v154, 27, v64
	v_lshlrev_b32_e32 v155, 26, v64
	v_not_b32_e32 v65, v152
	v_lshlrev_b32_e32 v156, 25, v64
	v_cmp_gt_i32_e64 s18, 0, v152
	v_cmp_gt_i32_e64 s19, 0, v153
	v_not_b32_e32 v152, v153
	v_not_b32_e32 v153, v154
	v_ashrrev_i32_e32 v65, 31, v65
	v_cmp_gt_i32_e64 s20, 0, v154
	v_not_b32_e32 v154, v155
	s_delay_alu instid0(VALU_DEP_4) | instskip(SKIP_3) | instid1(VALU_DEP_4)
	v_dual_ashrrev_i32 v152, 31, v152 :: v_dual_ashrrev_i32 v153, 31, v153
	v_xor_b32_e32 v63, s17, v63
	v_xor_b32_e32 v65, s18, v65
	v_not_b32_e32 v157, v156
	v_xor_b32_e32 v152, s19, v152
	v_xor_b32_e32 v153, s20, v153
	v_cmp_gt_i32_e32 vcc_lo, 0, v155
	v_ashrrev_i32_e32 v154, 31, v154
	v_cmp_gt_i32_e64 s17, 0, v156
	v_ashrrev_i32_e32 v155, 31, v157
	v_bitop3_b32 v62, v62, v65, v63 bitop3:0x80
	s_delay_alu instid0(VALU_DEP_4) | instskip(NEXT) | instid1(VALU_DEP_3)
	v_xor_b32_e32 v63, vcc_lo, v154
	v_xor_b32_e32 v65, s17, v155
	s_delay_alu instid0(VALU_DEP_3) | instskip(NEXT) | instid1(VALU_DEP_1)
	v_bitop3_b32 v62, v62, v153, v152 bitop3:0x80
	v_bitop3_b32 v62, v62, v65, v63 bitop3:0x80
	v_mul_u32_u24_e32 v63, 36, v64
	s_delay_alu instid0(VALU_DEP_2) | instskip(SKIP_1) | instid1(VALU_DEP_3)
	v_mbcnt_lo_u32_b32 v152, v62, 0
	v_cmp_ne_u32_e64 s17, 0, v62
	v_add_nc_u32_e32 v153, v114, v63
	s_delay_alu instid0(VALU_DEP_3) | instskip(SKIP_1) | instid1(SALU_CYCLE_1)
	v_cmp_eq_u32_e32 vcc_lo, 0, v152
	s_and_b32 s18, s17, vcc_lo
	s_and_saveexec_b32 s17, s18
; %bb.449:                              ;   in Loop: Header=BB186_410 Depth=2
	v_bcnt_u32_b32 v62, v62, 0
	ds_store_b32 v153, v62 offset:544
; %bb.450:                              ;   in Loop: Header=BB186_410 Depth=2
	s_or_b32 exec_lo, exec_lo, s17
	v_and_b32_e32 v62, 0xff, v136
	; wave barrier
	s_delay_alu instid0(VALU_DEP_1) | instskip(NEXT) | instid1(VALU_DEP_1)
	v_lshrrev_b32_e32 v62, s43, v62
	v_and_b32_e32 v64, s48, v62
	s_delay_alu instid0(VALU_DEP_1) | instskip(SKIP_1) | instid1(VALU_DEP_1)
	v_lshlrev_b32_e32 v65, 30, v64
	v_bitop3_b32 v63, v62, 1, s48 bitop3:0x80
	v_add_co_u32 v62, s17, v63, -1
	s_delay_alu instid0(VALU_DEP_1) | instskip(NEXT) | instid1(VALU_DEP_4)
	v_cndmask_b32_e64 v63, 0, 1, s17
	v_cmp_gt_i32_e64 s17, 0, v65
	s_delay_alu instid0(VALU_DEP_2) | instskip(SKIP_2) | instid1(VALU_DEP_2)
	v_cmp_ne_u32_e32 vcc_lo, 0, v63
	v_not_b32_e32 v63, v65
	v_bitop3_b32 v62, vcc_lo, exec_lo, v62 bitop3:0x48
	v_dual_ashrrev_i32 v63, 31, v63 :: v_dual_lshlrev_b32 v154, 29, v64
	v_dual_lshlrev_b32 v155, 28, v64 :: v_dual_lshlrev_b32 v156, 27, v64
	v_lshlrev_b32_e32 v157, 26, v64
	s_delay_alu instid0(VALU_DEP_3)
	v_not_b32_e32 v65, v154
	v_lshlrev_b32_e32 v158, 25, v64
	v_cmp_gt_i32_e64 s18, 0, v154
	v_cmp_gt_i32_e64 s19, 0, v155
	v_not_b32_e32 v154, v155
	v_not_b32_e32 v155, v156
	v_ashrrev_i32_e32 v65, 31, v65
	v_cmp_gt_i32_e64 s20, 0, v156
	v_cmp_gt_i32_e64 s21, 0, v157
	v_not_b32_e32 v156, v157
	v_dual_ashrrev_i32 v154, 31, v154 :: v_dual_ashrrev_i32 v155, 31, v155
	v_xor_b32_e32 v63, s17, v63
	v_xor_b32_e32 v65, s18, v65
	v_not_b32_e32 v157, v158
	s_delay_alu instid0(VALU_DEP_4) | instskip(SKIP_1) | instid1(VALU_DEP_4)
	v_dual_ashrrev_i32 v156, 31, v156 :: v_dual_bitop2_b32 v154, s19, v154 bitop3:0x14
	v_xor_b32_e32 v155, s20, v155
	v_bitop3_b32 v62, v62, v65, v63 bitop3:0x80
	v_cmp_gt_i32_e32 vcc_lo, 0, v158
	v_ashrrev_i32_e32 v63, 31, v157
	v_mad_u32_u24 v65, v64, 36, v114
	v_xor_b32_e32 v156, s21, v156
	v_bitop3_b32 v62, v62, v155, v154 bitop3:0x80
	s_delay_alu instid0(VALU_DEP_4) | instskip(SKIP_3) | instid1(VALU_DEP_2)
	v_xor_b32_e32 v63, vcc_lo, v63
	ds_load_b32 v154, v65 offset:544
	; wave barrier
	v_bitop3_b32 v62, v62, v63, v156 bitop3:0x80
	v_mul_u32_u24_e32 v63, 36, v64
	v_mbcnt_lo_u32_b32 v155, v62, 0
	v_cmp_ne_u32_e64 s17, 0, v62
	s_delay_alu instid0(VALU_DEP_3) | instskip(NEXT) | instid1(VALU_DEP_3)
	v_add_nc_u32_e32 v156, v114, v63
	v_cmp_eq_u32_e32 vcc_lo, 0, v155
	s_and_b32 s18, s17, vcc_lo
	s_delay_alu instid0(SALU_CYCLE_1)
	s_and_saveexec_b32 s17, s18
	s_cbranch_execz .LBB186_452
; %bb.451:                              ;   in Loop: Header=BB186_410 Depth=2
	s_wait_dscnt 0x0
	v_bcnt_u32_b32 v62, v62, v154
	ds_store_b32 v156, v62 offset:544
.LBB186_452:                            ;   in Loop: Header=BB186_410 Depth=2
	s_or_b32 exec_lo, exec_lo, s17
	v_and_b32_e32 v62, 0xff, v137
	; wave barrier
	s_delay_alu instid0(VALU_DEP_1) | instskip(NEXT) | instid1(VALU_DEP_1)
	v_lshrrev_b32_e32 v62, s43, v62
	v_and_b32_e32 v64, s48, v62
	s_delay_alu instid0(VALU_DEP_1) | instskip(SKIP_1) | instid1(VALU_DEP_1)
	v_lshlrev_b32_e32 v65, 30, v64
	v_bitop3_b32 v63, v62, 1, s48 bitop3:0x80
	v_add_co_u32 v62, s17, v63, -1
	s_delay_alu instid0(VALU_DEP_1) | instskip(NEXT) | instid1(VALU_DEP_4)
	v_cndmask_b32_e64 v63, 0, 1, s17
	v_cmp_gt_i32_e64 s17, 0, v65
	s_delay_alu instid0(VALU_DEP_2) | instskip(SKIP_2) | instid1(VALU_DEP_2)
	v_cmp_ne_u32_e32 vcc_lo, 0, v63
	v_not_b32_e32 v63, v65
	v_bitop3_b32 v62, vcc_lo, exec_lo, v62 bitop3:0x48
	v_dual_ashrrev_i32 v63, 31, v63 :: v_dual_lshlrev_b32 v157, 29, v64
	v_dual_lshlrev_b32 v158, 28, v64 :: v_dual_lshlrev_b32 v159, 27, v64
	s_delay_alu instid0(VALU_DEP_2) | instskip(NEXT) | instid1(VALU_DEP_3)
	v_dual_lshlrev_b32 v160, 26, v64 :: v_dual_bitop2_b32 v63, s17, v63 bitop3:0x14
	v_not_b32_e32 v65, v157
	v_lshlrev_b32_e32 v161, 25, v64
	v_cmp_gt_i32_e64 s18, 0, v157
	v_cmp_gt_i32_e64 s19, 0, v158
	v_not_b32_e32 v157, v158
	v_not_b32_e32 v158, v159
	v_ashrrev_i32_e32 v65, 31, v65
	v_cmp_gt_i32_e64 s20, 0, v159
	v_cmp_gt_i32_e64 s21, 0, v160
	v_not_b32_e32 v159, v160
	v_dual_ashrrev_i32 v157, 31, v157 :: v_dual_ashrrev_i32 v158, 31, v158
	v_xor_b32_e32 v65, s18, v65
	v_not_b32_e32 v160, v161
	s_delay_alu instid0(VALU_DEP_3) | instskip(NEXT) | instid1(VALU_DEP_4)
	v_dual_ashrrev_i32 v159, 31, v159 :: v_dual_bitop2_b32 v157, s19, v157 bitop3:0x14
	v_xor_b32_e32 v158, s20, v158
	s_delay_alu instid0(VALU_DEP_4)
	v_bitop3_b32 v62, v62, v65, v63 bitop3:0x80
	v_cmp_gt_i32_e32 vcc_lo, 0, v161
	v_ashrrev_i32_e32 v63, 31, v160
	v_mad_u32_u24 v65, v64, 36, v114
	v_xor_b32_e32 v159, s21, v159
	v_bitop3_b32 v62, v62, v158, v157 bitop3:0x80
	s_delay_alu instid0(VALU_DEP_4) | instskip(SKIP_3) | instid1(VALU_DEP_2)
	v_xor_b32_e32 v63, vcc_lo, v63
	ds_load_b32 v157, v65 offset:544
	; wave barrier
	v_bitop3_b32 v62, v62, v63, v159 bitop3:0x80
	v_mul_u32_u24_e32 v63, 36, v64
	v_mbcnt_lo_u32_b32 v158, v62, 0
	v_cmp_ne_u32_e64 s17, 0, v62
	s_delay_alu instid0(VALU_DEP_3) | instskip(NEXT) | instid1(VALU_DEP_3)
	v_add_nc_u32_e32 v159, v114, v63
	v_cmp_eq_u32_e32 vcc_lo, 0, v158
	s_and_b32 s18, s17, vcc_lo
	s_delay_alu instid0(SALU_CYCLE_1)
	s_and_saveexec_b32 s17, s18
	s_cbranch_execz .LBB186_454
; %bb.453:                              ;   in Loop: Header=BB186_410 Depth=2
	s_wait_dscnt 0x0
	v_bcnt_u32_b32 v62, v62, v157
	ds_store_b32 v159, v62 offset:544
.LBB186_454:                            ;   in Loop: Header=BB186_410 Depth=2
	s_or_b32 exec_lo, exec_lo, s17
	v_and_b32_e32 v62, 0xff, v138
	; wave barrier
	s_delay_alu instid0(VALU_DEP_1) | instskip(NEXT) | instid1(VALU_DEP_1)
	v_lshrrev_b32_e32 v62, s43, v62
	v_and_b32_e32 v64, s48, v62
	s_delay_alu instid0(VALU_DEP_1) | instskip(SKIP_1) | instid1(VALU_DEP_1)
	v_lshlrev_b32_e32 v65, 30, v64
	v_bitop3_b32 v63, v62, 1, s48 bitop3:0x80
	v_add_co_u32 v62, s17, v63, -1
	s_delay_alu instid0(VALU_DEP_1) | instskip(NEXT) | instid1(VALU_DEP_4)
	v_cndmask_b32_e64 v63, 0, 1, s17
	v_cmp_gt_i32_e64 s17, 0, v65
	s_delay_alu instid0(VALU_DEP_2) | instskip(SKIP_2) | instid1(VALU_DEP_2)
	v_cmp_ne_u32_e32 vcc_lo, 0, v63
	v_not_b32_e32 v63, v65
	v_bitop3_b32 v62, vcc_lo, exec_lo, v62 bitop3:0x48
	v_dual_ashrrev_i32 v63, 31, v63 :: v_dual_lshlrev_b32 v160, 29, v64
	v_dual_lshlrev_b32 v161, 28, v64 :: v_dual_lshlrev_b32 v162, 27, v64
	v_lshlrev_b32_e32 v163, 26, v64
	s_delay_alu instid0(VALU_DEP_3)
	v_not_b32_e32 v65, v160
	v_lshlrev_b32_e32 v164, 25, v64
	v_cmp_gt_i32_e64 s18, 0, v160
	v_cmp_gt_i32_e64 s19, 0, v161
	v_not_b32_e32 v160, v161
	v_not_b32_e32 v161, v162
	v_ashrrev_i32_e32 v65, 31, v65
	v_cmp_gt_i32_e64 s20, 0, v162
	v_cmp_gt_i32_e64 s21, 0, v163
	v_not_b32_e32 v162, v163
	v_dual_ashrrev_i32 v160, 31, v160 :: v_dual_ashrrev_i32 v161, 31, v161
	v_xor_b32_e32 v63, s17, v63
	v_not_b32_e32 v163, v164
	s_delay_alu instid0(VALU_DEP_4) | instskip(NEXT) | instid1(VALU_DEP_4)
	v_dual_ashrrev_i32 v162, 31, v162 :: v_dual_bitop2_b32 v65, s18, v65 bitop3:0x14
	v_xor_b32_e32 v160, s19, v160
	v_xor_b32_e32 v161, s20, v161
	v_cmp_gt_i32_e32 vcc_lo, 0, v164
	s_delay_alu instid0(VALU_DEP_4) | instskip(SKIP_3) | instid1(VALU_DEP_4)
	v_bitop3_b32 v62, v62, v65, v63 bitop3:0x80
	v_ashrrev_i32_e32 v63, 31, v163
	v_mad_u32_u24 v65, v64, 36, v114
	v_xor_b32_e32 v162, s21, v162
	v_bitop3_b32 v62, v62, v161, v160 bitop3:0x80
	s_delay_alu instid0(VALU_DEP_4) | instskip(SKIP_3) | instid1(VALU_DEP_2)
	v_xor_b32_e32 v63, vcc_lo, v63
	ds_load_b32 v160, v65 offset:544
	; wave barrier
	v_bitop3_b32 v62, v62, v63, v162 bitop3:0x80
	v_mul_u32_u24_e32 v63, 36, v64
	v_mbcnt_lo_u32_b32 v161, v62, 0
	v_cmp_ne_u32_e64 s17, 0, v62
	s_delay_alu instid0(VALU_DEP_3) | instskip(NEXT) | instid1(VALU_DEP_3)
	v_add_nc_u32_e32 v162, v114, v63
	v_cmp_eq_u32_e32 vcc_lo, 0, v161
	s_and_b32 s18, s17, vcc_lo
	s_delay_alu instid0(SALU_CYCLE_1)
	s_and_saveexec_b32 s17, s18
	s_cbranch_execz .LBB186_456
; %bb.455:                              ;   in Loop: Header=BB186_410 Depth=2
	s_wait_dscnt 0x0
	v_bcnt_u32_b32 v62, v62, v160
	ds_store_b32 v162, v62 offset:544
.LBB186_456:                            ;   in Loop: Header=BB186_410 Depth=2
	s_or_b32 exec_lo, exec_lo, s17
	v_and_b32_e32 v62, 0xff, v139
	; wave barrier
	s_delay_alu instid0(VALU_DEP_1) | instskip(NEXT) | instid1(VALU_DEP_1)
	v_lshrrev_b32_e32 v62, s43, v62
	v_and_b32_e32 v64, s48, v62
	s_delay_alu instid0(VALU_DEP_1) | instskip(SKIP_1) | instid1(VALU_DEP_1)
	v_lshlrev_b32_e32 v65, 30, v64
	v_bitop3_b32 v63, v62, 1, s48 bitop3:0x80
	v_add_co_u32 v62, s17, v63, -1
	s_delay_alu instid0(VALU_DEP_1) | instskip(NEXT) | instid1(VALU_DEP_4)
	v_cndmask_b32_e64 v63, 0, 1, s17
	v_cmp_gt_i32_e64 s17, 0, v65
	s_delay_alu instid0(VALU_DEP_2) | instskip(SKIP_2) | instid1(VALU_DEP_2)
	v_cmp_ne_u32_e32 vcc_lo, 0, v63
	v_not_b32_e32 v63, v65
	v_bitop3_b32 v62, vcc_lo, exec_lo, v62 bitop3:0x48
	v_dual_ashrrev_i32 v63, 31, v63 :: v_dual_lshlrev_b32 v163, 29, v64
	v_dual_lshlrev_b32 v164, 28, v64 :: v_dual_lshlrev_b32 v165, 27, v64
	v_lshlrev_b32_e32 v166, 26, v64
	s_delay_alu instid0(VALU_DEP_3)
	v_not_b32_e32 v65, v163
	v_lshlrev_b32_e32 v167, 25, v64
	v_cmp_gt_i32_e64 s18, 0, v163
	v_cmp_gt_i32_e64 s19, 0, v164
	v_not_b32_e32 v163, v164
	v_not_b32_e32 v164, v165
	v_ashrrev_i32_e32 v65, 31, v65
	v_cmp_gt_i32_e64 s20, 0, v165
	v_cmp_gt_i32_e64 s21, 0, v166
	v_not_b32_e32 v165, v166
	v_dual_ashrrev_i32 v163, 31, v163 :: v_dual_ashrrev_i32 v164, 31, v164
	v_xor_b32_e32 v63, s17, v63
	v_not_b32_e32 v166, v167
	v_xor_b32_e32 v65, s18, v65
	s_delay_alu instid0(VALU_DEP_4) | instskip(SKIP_2) | instid1(VALU_DEP_4)
	v_dual_ashrrev_i32 v165, 31, v165 :: v_dual_bitop2_b32 v163, s19, v163 bitop3:0x14
	v_xor_b32_e32 v164, s20, v164
	v_cmp_gt_i32_e32 vcc_lo, 0, v167
	v_bitop3_b32 v62, v62, v65, v63 bitop3:0x80
	v_ashrrev_i32_e32 v63, 31, v166
	v_mad_u32_u24 v65, v64, 36, v114
	v_xor_b32_e32 v165, s21, v165
	s_delay_alu instid0(VALU_DEP_4) | instskip(NEXT) | instid1(VALU_DEP_4)
	v_bitop3_b32 v62, v62, v164, v163 bitop3:0x80
	v_xor_b32_e32 v63, vcc_lo, v63
	ds_load_b32 v163, v65 offset:544
	; wave barrier
	v_bitop3_b32 v62, v62, v63, v165 bitop3:0x80
	v_mul_u32_u24_e32 v63, 36, v64
	s_delay_alu instid0(VALU_DEP_2) | instskip(SKIP_1) | instid1(VALU_DEP_3)
	v_mbcnt_lo_u32_b32 v164, v62, 0
	v_cmp_ne_u32_e64 s17, 0, v62
	v_add_nc_u32_e32 v165, v114, v63
	s_delay_alu instid0(VALU_DEP_3) | instskip(SKIP_1) | instid1(SALU_CYCLE_1)
	v_cmp_eq_u32_e32 vcc_lo, 0, v164
	s_and_b32 s18, s17, vcc_lo
	s_and_saveexec_b32 s17, s18
	s_cbranch_execz .LBB186_458
; %bb.457:                              ;   in Loop: Header=BB186_410 Depth=2
	s_wait_dscnt 0x0
	v_bcnt_u32_b32 v62, v62, v163
	ds_store_b32 v165, v62 offset:544
.LBB186_458:                            ;   in Loop: Header=BB186_410 Depth=2
	s_or_b32 exec_lo, exec_lo, s17
	v_and_b32_e32 v62, 0xff, v140
	; wave barrier
	s_delay_alu instid0(VALU_DEP_1) | instskip(NEXT) | instid1(VALU_DEP_1)
	v_lshrrev_b32_e32 v62, s43, v62
	v_and_b32_e32 v64, s48, v62
	s_delay_alu instid0(VALU_DEP_1) | instskip(SKIP_1) | instid1(VALU_DEP_1)
	v_lshlrev_b32_e32 v65, 30, v64
	v_bitop3_b32 v63, v62, 1, s48 bitop3:0x80
	v_add_co_u32 v62, s17, v63, -1
	s_delay_alu instid0(VALU_DEP_1) | instskip(NEXT) | instid1(VALU_DEP_4)
	v_cndmask_b32_e64 v63, 0, 1, s17
	v_cmp_gt_i32_e64 s17, 0, v65
	s_delay_alu instid0(VALU_DEP_2) | instskip(SKIP_2) | instid1(VALU_DEP_2)
	v_cmp_ne_u32_e32 vcc_lo, 0, v63
	v_not_b32_e32 v63, v65
	v_bitop3_b32 v62, vcc_lo, exec_lo, v62 bitop3:0x48
	v_dual_ashrrev_i32 v63, 31, v63 :: v_dual_lshlrev_b32 v166, 29, v64
	v_dual_lshlrev_b32 v167, 28, v64 :: v_dual_lshlrev_b32 v168, 27, v64
	v_lshlrev_b32_e32 v169, 26, v64
	s_delay_alu instid0(VALU_DEP_3)
	v_not_b32_e32 v65, v166
	v_lshlrev_b32_e32 v170, 25, v64
	v_cmp_gt_i32_e64 s18, 0, v166
	v_cmp_gt_i32_e64 s19, 0, v167
	v_not_b32_e32 v166, v167
	v_not_b32_e32 v167, v168
	v_ashrrev_i32_e32 v65, 31, v65
	v_cmp_gt_i32_e64 s20, 0, v168
	v_cmp_gt_i32_e64 s21, 0, v169
	v_not_b32_e32 v168, v169
	v_dual_ashrrev_i32 v166, 31, v166 :: v_dual_ashrrev_i32 v167, 31, v167
	v_xor_b32_e32 v63, s17, v63
	v_xor_b32_e32 v65, s18, v65
	v_not_b32_e32 v169, v170
	s_delay_alu instid0(VALU_DEP_4) | instskip(SKIP_1) | instid1(VALU_DEP_4)
	v_dual_ashrrev_i32 v168, 31, v168 :: v_dual_bitop2_b32 v166, s19, v166 bitop3:0x14
	v_xor_b32_e32 v167, s20, v167
	v_bitop3_b32 v62, v62, v65, v63 bitop3:0x80
	v_cmp_gt_i32_e32 vcc_lo, 0, v170
	v_ashrrev_i32_e32 v63, 31, v169
	v_mad_u32_u24 v65, v64, 36, v114
	v_xor_b32_e32 v168, s21, v168
	v_bitop3_b32 v62, v62, v167, v166 bitop3:0x80
	s_delay_alu instid0(VALU_DEP_4) | instskip(SKIP_3) | instid1(VALU_DEP_2)
	v_xor_b32_e32 v63, vcc_lo, v63
	ds_load_b32 v166, v65 offset:544
	; wave barrier
	v_bitop3_b32 v62, v62, v63, v168 bitop3:0x80
	v_mul_u32_u24_e32 v63, 36, v64
	v_mbcnt_lo_u32_b32 v167, v62, 0
	v_cmp_ne_u32_e64 s17, 0, v62
	s_delay_alu instid0(VALU_DEP_3) | instskip(NEXT) | instid1(VALU_DEP_3)
	v_add_nc_u32_e32 v168, v114, v63
	v_cmp_eq_u32_e32 vcc_lo, 0, v167
	s_and_b32 s18, s17, vcc_lo
	s_delay_alu instid0(SALU_CYCLE_1)
	s_and_saveexec_b32 s17, s18
	s_cbranch_execz .LBB186_460
; %bb.459:                              ;   in Loop: Header=BB186_410 Depth=2
	s_wait_dscnt 0x0
	v_bcnt_u32_b32 v62, v62, v166
	ds_store_b32 v168, v62 offset:544
.LBB186_460:                            ;   in Loop: Header=BB186_410 Depth=2
	s_or_b32 exec_lo, exec_lo, s17
	v_and_b32_e32 v62, 0xff, v141
	; wave barrier
	s_delay_alu instid0(VALU_DEP_1) | instskip(NEXT) | instid1(VALU_DEP_1)
	v_lshrrev_b32_e32 v62, s43, v62
	v_and_b32_e32 v64, s48, v62
	s_delay_alu instid0(VALU_DEP_1) | instskip(SKIP_1) | instid1(VALU_DEP_1)
	v_lshlrev_b32_e32 v65, 30, v64
	v_bitop3_b32 v63, v62, 1, s48 bitop3:0x80
	v_add_co_u32 v62, s17, v63, -1
	s_delay_alu instid0(VALU_DEP_1) | instskip(NEXT) | instid1(VALU_DEP_4)
	v_cndmask_b32_e64 v63, 0, 1, s17
	v_cmp_gt_i32_e64 s17, 0, v65
	s_delay_alu instid0(VALU_DEP_2) | instskip(SKIP_2) | instid1(VALU_DEP_2)
	v_cmp_ne_u32_e32 vcc_lo, 0, v63
	v_not_b32_e32 v63, v65
	v_bitop3_b32 v62, vcc_lo, exec_lo, v62 bitop3:0x48
	v_dual_ashrrev_i32 v63, 31, v63 :: v_dual_lshlrev_b32 v169, 29, v64
	v_dual_lshlrev_b32 v170, 28, v64 :: v_dual_lshlrev_b32 v171, 27, v64
	s_delay_alu instid0(VALU_DEP_2) | instskip(NEXT) | instid1(VALU_DEP_3)
	v_dual_lshlrev_b32 v172, 26, v64 :: v_dual_bitop2_b32 v63, s17, v63 bitop3:0x14
	v_not_b32_e32 v65, v169
	v_lshlrev_b32_e32 v173, 25, v64
	v_cmp_gt_i32_e64 s18, 0, v169
	v_cmp_gt_i32_e64 s19, 0, v170
	v_not_b32_e32 v169, v170
	v_not_b32_e32 v170, v171
	v_ashrrev_i32_e32 v65, 31, v65
	v_cmp_gt_i32_e64 s20, 0, v171
	v_cmp_gt_i32_e64 s21, 0, v172
	v_not_b32_e32 v171, v172
	v_dual_ashrrev_i32 v169, 31, v169 :: v_dual_ashrrev_i32 v170, 31, v170
	v_xor_b32_e32 v65, s18, v65
	v_not_b32_e32 v172, v173
	s_delay_alu instid0(VALU_DEP_3) | instskip(NEXT) | instid1(VALU_DEP_4)
	v_dual_ashrrev_i32 v171, 31, v171 :: v_dual_bitop2_b32 v169, s19, v169 bitop3:0x14
	v_xor_b32_e32 v170, s20, v170
	s_delay_alu instid0(VALU_DEP_4)
	v_bitop3_b32 v62, v62, v65, v63 bitop3:0x80
	v_cmp_gt_i32_e32 vcc_lo, 0, v173
	v_ashrrev_i32_e32 v63, 31, v172
	v_mad_u32_u24 v65, v64, 36, v114
	v_xor_b32_e32 v171, s21, v171
	v_bitop3_b32 v62, v62, v170, v169 bitop3:0x80
	s_delay_alu instid0(VALU_DEP_4) | instskip(SKIP_3) | instid1(VALU_DEP_2)
	v_xor_b32_e32 v63, vcc_lo, v63
	ds_load_b32 v169, v65 offset:544
	; wave barrier
	v_bitop3_b32 v62, v62, v63, v171 bitop3:0x80
	v_mul_u32_u24_e32 v63, 36, v64
	v_mbcnt_lo_u32_b32 v170, v62, 0
	v_cmp_ne_u32_e64 s17, 0, v62
	s_delay_alu instid0(VALU_DEP_3) | instskip(NEXT) | instid1(VALU_DEP_3)
	v_add_nc_u32_e32 v171, v114, v63
	v_cmp_eq_u32_e32 vcc_lo, 0, v170
	s_and_b32 s18, s17, vcc_lo
	s_delay_alu instid0(SALU_CYCLE_1)
	s_and_saveexec_b32 s17, s18
	s_cbranch_execz .LBB186_462
; %bb.461:                              ;   in Loop: Header=BB186_410 Depth=2
	s_wait_dscnt 0x0
	v_bcnt_u32_b32 v62, v62, v169
	ds_store_b32 v171, v62 offset:544
.LBB186_462:                            ;   in Loop: Header=BB186_410 Depth=2
	s_or_b32 exec_lo, exec_lo, s17
	v_and_b32_e32 v62, 0xff, v142
	; wave barrier
	s_delay_alu instid0(VALU_DEP_1) | instskip(NEXT) | instid1(VALU_DEP_1)
	v_lshrrev_b32_e32 v62, s43, v62
	v_and_b32_e32 v64, s48, v62
	s_delay_alu instid0(VALU_DEP_1) | instskip(SKIP_1) | instid1(VALU_DEP_1)
	v_lshlrev_b32_e32 v65, 30, v64
	v_bitop3_b32 v63, v62, 1, s48 bitop3:0x80
	v_add_co_u32 v62, s17, v63, -1
	s_delay_alu instid0(VALU_DEP_1) | instskip(NEXT) | instid1(VALU_DEP_4)
	v_cndmask_b32_e64 v63, 0, 1, s17
	v_cmp_gt_i32_e64 s17, 0, v65
	s_delay_alu instid0(VALU_DEP_2) | instskip(SKIP_2) | instid1(VALU_DEP_2)
	v_cmp_ne_u32_e32 vcc_lo, 0, v63
	v_not_b32_e32 v63, v65
	v_bitop3_b32 v62, vcc_lo, exec_lo, v62 bitop3:0x48
	v_dual_ashrrev_i32 v63, 31, v63 :: v_dual_lshlrev_b32 v172, 29, v64
	v_dual_lshlrev_b32 v173, 28, v64 :: v_dual_lshlrev_b32 v174, 27, v64
	v_lshlrev_b32_e32 v175, 26, v64
	s_delay_alu instid0(VALU_DEP_3)
	v_not_b32_e32 v65, v172
	v_lshlrev_b32_e32 v176, 25, v64
	v_cmp_gt_i32_e64 s18, 0, v172
	v_cmp_gt_i32_e64 s19, 0, v173
	v_not_b32_e32 v172, v173
	v_not_b32_e32 v173, v174
	v_ashrrev_i32_e32 v65, 31, v65
	v_cmp_gt_i32_e64 s20, 0, v174
	v_cmp_gt_i32_e64 s21, 0, v175
	v_not_b32_e32 v174, v175
	v_dual_ashrrev_i32 v172, 31, v172 :: v_dual_ashrrev_i32 v173, 31, v173
	v_xor_b32_e32 v63, s17, v63
	v_not_b32_e32 v175, v176
	s_delay_alu instid0(VALU_DEP_4) | instskip(NEXT) | instid1(VALU_DEP_4)
	v_dual_ashrrev_i32 v174, 31, v174 :: v_dual_bitop2_b32 v65, s18, v65 bitop3:0x14
	v_xor_b32_e32 v172, s19, v172
	v_xor_b32_e32 v173, s20, v173
	v_cmp_gt_i32_e32 vcc_lo, 0, v176
	s_delay_alu instid0(VALU_DEP_4) | instskip(SKIP_3) | instid1(VALU_DEP_4)
	v_bitop3_b32 v62, v62, v65, v63 bitop3:0x80
	v_ashrrev_i32_e32 v63, 31, v175
	v_mad_u32_u24 v65, v64, 36, v114
	v_xor_b32_e32 v174, s21, v174
	v_bitop3_b32 v62, v62, v173, v172 bitop3:0x80
	s_delay_alu instid0(VALU_DEP_4) | instskip(SKIP_3) | instid1(VALU_DEP_2)
	v_xor_b32_e32 v63, vcc_lo, v63
	ds_load_b32 v172, v65 offset:544
	; wave barrier
	v_bitop3_b32 v62, v62, v63, v174 bitop3:0x80
	v_mul_u32_u24_e32 v63, 36, v64
	v_mbcnt_lo_u32_b32 v173, v62, 0
	v_cmp_ne_u32_e64 s17, 0, v62
	s_delay_alu instid0(VALU_DEP_3) | instskip(NEXT) | instid1(VALU_DEP_3)
	v_add_nc_u32_e32 v174, v114, v63
	v_cmp_eq_u32_e32 vcc_lo, 0, v173
	s_and_b32 s18, s17, vcc_lo
	s_delay_alu instid0(SALU_CYCLE_1)
	s_and_saveexec_b32 s17, s18
	s_cbranch_execz .LBB186_464
; %bb.463:                              ;   in Loop: Header=BB186_410 Depth=2
	s_wait_dscnt 0x0
	v_bcnt_u32_b32 v62, v62, v172
	ds_store_b32 v174, v62 offset:544
.LBB186_464:                            ;   in Loop: Header=BB186_410 Depth=2
	s_or_b32 exec_lo, exec_lo, s17
	v_and_b32_e32 v62, 0xff, v143
	; wave barrier
	s_delay_alu instid0(VALU_DEP_1) | instskip(NEXT) | instid1(VALU_DEP_1)
	v_lshrrev_b32_e32 v62, s43, v62
	v_and_b32_e32 v64, s48, v62
	s_delay_alu instid0(VALU_DEP_1) | instskip(SKIP_1) | instid1(VALU_DEP_1)
	v_lshlrev_b32_e32 v65, 30, v64
	v_bitop3_b32 v63, v62, 1, s48 bitop3:0x80
	v_add_co_u32 v62, s17, v63, -1
	s_delay_alu instid0(VALU_DEP_1) | instskip(NEXT) | instid1(VALU_DEP_4)
	v_cndmask_b32_e64 v63, 0, 1, s17
	v_cmp_gt_i32_e64 s17, 0, v65
	s_delay_alu instid0(VALU_DEP_2) | instskip(SKIP_2) | instid1(VALU_DEP_2)
	v_cmp_ne_u32_e32 vcc_lo, 0, v63
	v_not_b32_e32 v63, v65
	v_bitop3_b32 v62, vcc_lo, exec_lo, v62 bitop3:0x48
	v_dual_ashrrev_i32 v63, 31, v63 :: v_dual_lshlrev_b32 v175, 29, v64
	v_dual_lshlrev_b32 v176, 28, v64 :: v_dual_lshlrev_b32 v177, 27, v64
	v_lshlrev_b32_e32 v178, 26, v64
	s_delay_alu instid0(VALU_DEP_3)
	v_not_b32_e32 v65, v175
	v_lshlrev_b32_e32 v179, 25, v64
	v_cmp_gt_i32_e64 s18, 0, v175
	v_cmp_gt_i32_e64 s19, 0, v176
	v_not_b32_e32 v175, v176
	v_not_b32_e32 v176, v177
	v_ashrrev_i32_e32 v65, 31, v65
	v_cmp_gt_i32_e64 s20, 0, v177
	v_cmp_gt_i32_e64 s21, 0, v178
	v_not_b32_e32 v177, v178
	v_dual_ashrrev_i32 v175, 31, v175 :: v_dual_ashrrev_i32 v176, 31, v176
	v_xor_b32_e32 v63, s17, v63
	v_not_b32_e32 v178, v179
	v_xor_b32_e32 v65, s18, v65
	s_delay_alu instid0(VALU_DEP_4) | instskip(SKIP_2) | instid1(VALU_DEP_4)
	v_dual_ashrrev_i32 v177, 31, v177 :: v_dual_bitop2_b32 v175, s19, v175 bitop3:0x14
	v_xor_b32_e32 v176, s20, v176
	v_cmp_gt_i32_e32 vcc_lo, 0, v179
	v_bitop3_b32 v62, v62, v65, v63 bitop3:0x80
	v_ashrrev_i32_e32 v63, 31, v178
	v_mad_u32_u24 v65, v64, 36, v114
	v_xor_b32_e32 v177, s21, v177
	s_delay_alu instid0(VALU_DEP_4) | instskip(NEXT) | instid1(VALU_DEP_4)
	v_bitop3_b32 v62, v62, v176, v175 bitop3:0x80
	v_xor_b32_e32 v63, vcc_lo, v63
	ds_load_b32 v175, v65 offset:544
	; wave barrier
	v_bitop3_b32 v62, v62, v63, v177 bitop3:0x80
	v_mul_u32_u24_e32 v63, 36, v64
	s_delay_alu instid0(VALU_DEP_2) | instskip(SKIP_1) | instid1(VALU_DEP_3)
	v_mbcnt_lo_u32_b32 v176, v62, 0
	v_cmp_ne_u32_e64 s17, 0, v62
	v_add_nc_u32_e32 v177, v114, v63
	s_delay_alu instid0(VALU_DEP_3) | instskip(SKIP_1) | instid1(SALU_CYCLE_1)
	v_cmp_eq_u32_e32 vcc_lo, 0, v176
	s_and_b32 s18, s17, vcc_lo
	s_and_saveexec_b32 s17, s18
	s_cbranch_execz .LBB186_466
; %bb.465:                              ;   in Loop: Header=BB186_410 Depth=2
	s_wait_dscnt 0x0
	v_bcnt_u32_b32 v62, v62, v175
	ds_store_b32 v177, v62 offset:544
.LBB186_466:                            ;   in Loop: Header=BB186_410 Depth=2
	s_or_b32 exec_lo, exec_lo, s17
	v_and_b32_e32 v62, 0xff, v144
	; wave barrier
	s_delay_alu instid0(VALU_DEP_1) | instskip(NEXT) | instid1(VALU_DEP_1)
	v_lshrrev_b32_e32 v62, s43, v62
	v_and_b32_e32 v64, s48, v62
	s_delay_alu instid0(VALU_DEP_1) | instskip(SKIP_1) | instid1(VALU_DEP_1)
	v_lshlrev_b32_e32 v65, 30, v64
	v_bitop3_b32 v63, v62, 1, s48 bitop3:0x80
	v_add_co_u32 v62, s17, v63, -1
	s_delay_alu instid0(VALU_DEP_1) | instskip(NEXT) | instid1(VALU_DEP_4)
	v_cndmask_b32_e64 v63, 0, 1, s17
	v_cmp_gt_i32_e64 s17, 0, v65
	s_delay_alu instid0(VALU_DEP_2) | instskip(SKIP_2) | instid1(VALU_DEP_2)
	v_cmp_ne_u32_e32 vcc_lo, 0, v63
	v_not_b32_e32 v63, v65
	v_bitop3_b32 v62, vcc_lo, exec_lo, v62 bitop3:0x48
	v_dual_ashrrev_i32 v63, 31, v63 :: v_dual_lshlrev_b32 v178, 29, v64
	v_dual_lshlrev_b32 v179, 28, v64 :: v_dual_lshlrev_b32 v180, 27, v64
	v_lshlrev_b32_e32 v181, 26, v64
	s_delay_alu instid0(VALU_DEP_3)
	v_not_b32_e32 v65, v178
	v_lshlrev_b32_e32 v182, 25, v64
	v_cmp_gt_i32_e64 s18, 0, v178
	v_cmp_gt_i32_e64 s19, 0, v179
	v_not_b32_e32 v178, v179
	v_not_b32_e32 v179, v180
	v_ashrrev_i32_e32 v65, 31, v65
	v_cmp_gt_i32_e64 s20, 0, v180
	v_cmp_gt_i32_e64 s21, 0, v181
	v_not_b32_e32 v180, v181
	v_dual_ashrrev_i32 v178, 31, v178 :: v_dual_ashrrev_i32 v179, 31, v179
	v_xor_b32_e32 v63, s17, v63
	v_xor_b32_e32 v65, s18, v65
	v_not_b32_e32 v181, v182
	s_delay_alu instid0(VALU_DEP_4) | instskip(SKIP_1) | instid1(VALU_DEP_4)
	v_dual_ashrrev_i32 v180, 31, v180 :: v_dual_bitop2_b32 v178, s19, v178 bitop3:0x14
	v_xor_b32_e32 v179, s20, v179
	v_bitop3_b32 v62, v62, v65, v63 bitop3:0x80
	v_cmp_gt_i32_e32 vcc_lo, 0, v182
	v_ashrrev_i32_e32 v63, 31, v181
	v_mad_u32_u24 v65, v64, 36, v114
	v_xor_b32_e32 v180, s21, v180
	v_bitop3_b32 v62, v62, v179, v178 bitop3:0x80
	s_delay_alu instid0(VALU_DEP_4) | instskip(SKIP_3) | instid1(VALU_DEP_2)
	v_xor_b32_e32 v63, vcc_lo, v63
	ds_load_b32 v178, v65 offset:544
	; wave barrier
	v_bitop3_b32 v62, v62, v63, v180 bitop3:0x80
	v_mul_u32_u24_e32 v63, 36, v64
	v_mbcnt_lo_u32_b32 v179, v62, 0
	v_cmp_ne_u32_e64 s17, 0, v62
	s_delay_alu instid0(VALU_DEP_3) | instskip(NEXT) | instid1(VALU_DEP_3)
	v_add_nc_u32_e32 v180, v114, v63
	v_cmp_eq_u32_e32 vcc_lo, 0, v179
	s_and_b32 s18, s17, vcc_lo
	s_delay_alu instid0(SALU_CYCLE_1)
	s_and_saveexec_b32 s17, s18
	s_cbranch_execz .LBB186_468
; %bb.467:                              ;   in Loop: Header=BB186_410 Depth=2
	s_wait_dscnt 0x0
	v_bcnt_u32_b32 v62, v62, v178
	ds_store_b32 v180, v62 offset:544
.LBB186_468:                            ;   in Loop: Header=BB186_410 Depth=2
	s_or_b32 exec_lo, exec_lo, s17
	v_and_b32_e32 v62, 0xff, v145
	; wave barrier
	s_delay_alu instid0(VALU_DEP_1) | instskip(NEXT) | instid1(VALU_DEP_1)
	v_lshrrev_b32_e32 v62, s43, v62
	v_and_b32_e32 v64, s48, v62
	s_delay_alu instid0(VALU_DEP_1) | instskip(SKIP_1) | instid1(VALU_DEP_1)
	v_lshlrev_b32_e32 v65, 30, v64
	v_bitop3_b32 v63, v62, 1, s48 bitop3:0x80
	v_add_co_u32 v62, s17, v63, -1
	s_delay_alu instid0(VALU_DEP_1) | instskip(NEXT) | instid1(VALU_DEP_4)
	v_cndmask_b32_e64 v63, 0, 1, s17
	v_cmp_gt_i32_e64 s17, 0, v65
	s_delay_alu instid0(VALU_DEP_2) | instskip(SKIP_2) | instid1(VALU_DEP_2)
	v_cmp_ne_u32_e32 vcc_lo, 0, v63
	v_not_b32_e32 v63, v65
	v_bitop3_b32 v62, vcc_lo, exec_lo, v62 bitop3:0x48
	v_dual_ashrrev_i32 v63, 31, v63 :: v_dual_lshlrev_b32 v181, 29, v64
	v_dual_lshlrev_b32 v182, 28, v64 :: v_dual_lshlrev_b32 v183, 27, v64
	s_delay_alu instid0(VALU_DEP_2) | instskip(NEXT) | instid1(VALU_DEP_3)
	v_dual_lshlrev_b32 v184, 26, v64 :: v_dual_bitop2_b32 v63, s17, v63 bitop3:0x14
	v_not_b32_e32 v65, v181
	v_lshlrev_b32_e32 v185, 25, v64
	v_cmp_gt_i32_e64 s18, 0, v181
	v_cmp_gt_i32_e64 s19, 0, v182
	v_not_b32_e32 v181, v182
	v_not_b32_e32 v182, v183
	v_ashrrev_i32_e32 v65, 31, v65
	v_cmp_gt_i32_e64 s20, 0, v183
	v_cmp_gt_i32_e64 s21, 0, v184
	v_not_b32_e32 v183, v184
	v_dual_ashrrev_i32 v181, 31, v181 :: v_dual_ashrrev_i32 v182, 31, v182
	v_xor_b32_e32 v65, s18, v65
	v_not_b32_e32 v184, v185
	s_delay_alu instid0(VALU_DEP_3) | instskip(NEXT) | instid1(VALU_DEP_4)
	v_dual_ashrrev_i32 v183, 31, v183 :: v_dual_bitop2_b32 v181, s19, v181 bitop3:0x14
	v_xor_b32_e32 v182, s20, v182
	s_delay_alu instid0(VALU_DEP_4)
	v_bitop3_b32 v62, v62, v65, v63 bitop3:0x80
	v_cmp_gt_i32_e32 vcc_lo, 0, v185
	v_ashrrev_i32_e32 v63, 31, v184
	v_mad_u32_u24 v65, v64, 36, v114
	v_xor_b32_e32 v183, s21, v183
	v_bitop3_b32 v62, v62, v182, v181 bitop3:0x80
	s_delay_alu instid0(VALU_DEP_4) | instskip(SKIP_3) | instid1(VALU_DEP_2)
	v_xor_b32_e32 v63, vcc_lo, v63
	ds_load_b32 v181, v65 offset:544
	; wave barrier
	v_bitop3_b32 v62, v62, v63, v183 bitop3:0x80
	v_mul_u32_u24_e32 v63, 36, v64
	v_mbcnt_lo_u32_b32 v182, v62, 0
	v_cmp_ne_u32_e64 s17, 0, v62
	s_delay_alu instid0(VALU_DEP_3) | instskip(NEXT) | instid1(VALU_DEP_3)
	v_add_nc_u32_e32 v183, v114, v63
	v_cmp_eq_u32_e32 vcc_lo, 0, v182
	s_and_b32 s18, s17, vcc_lo
	s_delay_alu instid0(SALU_CYCLE_1)
	s_and_saveexec_b32 s17, s18
	s_cbranch_execz .LBB186_470
; %bb.469:                              ;   in Loop: Header=BB186_410 Depth=2
	s_wait_dscnt 0x0
	v_bcnt_u32_b32 v62, v62, v181
	ds_store_b32 v183, v62 offset:544
.LBB186_470:                            ;   in Loop: Header=BB186_410 Depth=2
	s_or_b32 exec_lo, exec_lo, s17
	v_and_b32_e32 v62, 0xff, v146
	; wave barrier
	s_delay_alu instid0(VALU_DEP_1) | instskip(NEXT) | instid1(VALU_DEP_1)
	v_lshrrev_b32_e32 v62, s43, v62
	v_and_b32_e32 v64, s48, v62
	s_delay_alu instid0(VALU_DEP_1) | instskip(SKIP_1) | instid1(VALU_DEP_1)
	v_lshlrev_b32_e32 v65, 30, v64
	v_bitop3_b32 v63, v62, 1, s48 bitop3:0x80
	v_add_co_u32 v62, s17, v63, -1
	s_delay_alu instid0(VALU_DEP_1) | instskip(NEXT) | instid1(VALU_DEP_4)
	v_cndmask_b32_e64 v63, 0, 1, s17
	v_cmp_gt_i32_e64 s17, 0, v65
	s_delay_alu instid0(VALU_DEP_2) | instskip(SKIP_2) | instid1(VALU_DEP_2)
	v_cmp_ne_u32_e32 vcc_lo, 0, v63
	v_not_b32_e32 v63, v65
	v_bitop3_b32 v62, vcc_lo, exec_lo, v62 bitop3:0x48
	v_dual_ashrrev_i32 v63, 31, v63 :: v_dual_lshlrev_b32 v184, 29, v64
	v_dual_lshlrev_b32 v185, 28, v64 :: v_dual_lshlrev_b32 v186, 27, v64
	v_lshlrev_b32_e32 v187, 26, v64
	s_delay_alu instid0(VALU_DEP_3)
	v_not_b32_e32 v65, v184
	v_lshlrev_b32_e32 v188, 25, v64
	v_cmp_gt_i32_e64 s18, 0, v184
	v_cmp_gt_i32_e64 s19, 0, v185
	v_not_b32_e32 v184, v185
	v_not_b32_e32 v185, v186
	v_ashrrev_i32_e32 v65, 31, v65
	v_cmp_gt_i32_e64 s20, 0, v186
	v_cmp_gt_i32_e64 s21, 0, v187
	v_not_b32_e32 v186, v187
	v_dual_ashrrev_i32 v184, 31, v184 :: v_dual_ashrrev_i32 v185, 31, v185
	v_xor_b32_e32 v63, s17, v63
	v_not_b32_e32 v187, v188
	s_delay_alu instid0(VALU_DEP_4) | instskip(NEXT) | instid1(VALU_DEP_4)
	v_dual_ashrrev_i32 v186, 31, v186 :: v_dual_bitop2_b32 v65, s18, v65 bitop3:0x14
	v_xor_b32_e32 v184, s19, v184
	v_xor_b32_e32 v185, s20, v185
	v_cmp_gt_i32_e32 vcc_lo, 0, v188
	s_delay_alu instid0(VALU_DEP_4) | instskip(SKIP_3) | instid1(VALU_DEP_4)
	v_bitop3_b32 v62, v62, v65, v63 bitop3:0x80
	v_ashrrev_i32_e32 v63, 31, v187
	v_mad_u32_u24 v65, v64, 36, v114
	v_xor_b32_e32 v186, s21, v186
	v_bitop3_b32 v62, v62, v185, v184 bitop3:0x80
	s_delay_alu instid0(VALU_DEP_4) | instskip(SKIP_3) | instid1(VALU_DEP_2)
	v_xor_b32_e32 v63, vcc_lo, v63
	ds_load_b32 v184, v65 offset:544
	; wave barrier
	v_bitop3_b32 v62, v62, v63, v186 bitop3:0x80
	v_mul_u32_u24_e32 v63, 36, v64
	v_mbcnt_lo_u32_b32 v185, v62, 0
	v_cmp_ne_u32_e64 s17, 0, v62
	s_delay_alu instid0(VALU_DEP_3) | instskip(NEXT) | instid1(VALU_DEP_3)
	v_add_nc_u32_e32 v186, v114, v63
	v_cmp_eq_u32_e32 vcc_lo, 0, v185
	s_and_b32 s18, s17, vcc_lo
	s_delay_alu instid0(SALU_CYCLE_1)
	s_and_saveexec_b32 s17, s18
	s_cbranch_execz .LBB186_472
; %bb.471:                              ;   in Loop: Header=BB186_410 Depth=2
	s_wait_dscnt 0x0
	v_bcnt_u32_b32 v62, v62, v184
	ds_store_b32 v186, v62 offset:544
.LBB186_472:                            ;   in Loop: Header=BB186_410 Depth=2
	s_or_b32 exec_lo, exec_lo, s17
	v_and_b32_e32 v62, 0xff, v147
	; wave barrier
	s_delay_alu instid0(VALU_DEP_1) | instskip(NEXT) | instid1(VALU_DEP_1)
	v_lshrrev_b32_e32 v62, s43, v62
	v_and_b32_e32 v64, s48, v62
	s_delay_alu instid0(VALU_DEP_1) | instskip(SKIP_1) | instid1(VALU_DEP_1)
	v_lshlrev_b32_e32 v65, 30, v64
	v_bitop3_b32 v63, v62, 1, s48 bitop3:0x80
	v_add_co_u32 v62, s17, v63, -1
	s_delay_alu instid0(VALU_DEP_1) | instskip(NEXT) | instid1(VALU_DEP_4)
	v_cndmask_b32_e64 v63, 0, 1, s17
	v_cmp_gt_i32_e64 s17, 0, v65
	s_delay_alu instid0(VALU_DEP_2) | instskip(SKIP_2) | instid1(VALU_DEP_2)
	v_cmp_ne_u32_e32 vcc_lo, 0, v63
	v_not_b32_e32 v63, v65
	v_bitop3_b32 v62, vcc_lo, exec_lo, v62 bitop3:0x48
	v_dual_ashrrev_i32 v63, 31, v63 :: v_dual_lshlrev_b32 v187, 29, v64
	v_dual_lshlrev_b32 v188, 28, v64 :: v_dual_lshlrev_b32 v189, 27, v64
	v_lshlrev_b32_e32 v190, 26, v64
	s_delay_alu instid0(VALU_DEP_3)
	v_not_b32_e32 v65, v187
	v_lshlrev_b32_e32 v191, 25, v64
	v_cmp_gt_i32_e64 s18, 0, v187
	v_cmp_gt_i32_e64 s19, 0, v188
	v_not_b32_e32 v187, v188
	v_not_b32_e32 v188, v189
	v_ashrrev_i32_e32 v65, 31, v65
	v_cmp_gt_i32_e64 s20, 0, v189
	v_cmp_gt_i32_e64 s21, 0, v190
	v_not_b32_e32 v189, v190
	v_dual_ashrrev_i32 v187, 31, v187 :: v_dual_ashrrev_i32 v188, 31, v188
	v_xor_b32_e32 v63, s17, v63
	v_not_b32_e32 v190, v191
	v_xor_b32_e32 v65, s18, v65
	s_delay_alu instid0(VALU_DEP_4) | instskip(SKIP_2) | instid1(VALU_DEP_4)
	v_dual_ashrrev_i32 v189, 31, v189 :: v_dual_bitop2_b32 v187, s19, v187 bitop3:0x14
	v_xor_b32_e32 v188, s20, v188
	v_cmp_gt_i32_e32 vcc_lo, 0, v191
	v_bitop3_b32 v62, v62, v65, v63 bitop3:0x80
	v_ashrrev_i32_e32 v63, 31, v190
	v_mad_u32_u24 v65, v64, 36, v114
	v_xor_b32_e32 v189, s21, v189
	s_delay_alu instid0(VALU_DEP_4) | instskip(NEXT) | instid1(VALU_DEP_4)
	v_bitop3_b32 v62, v62, v188, v187 bitop3:0x80
	v_xor_b32_e32 v63, vcc_lo, v63
	ds_load_b32 v187, v65 offset:544
	; wave barrier
	v_bitop3_b32 v62, v62, v63, v189 bitop3:0x80
	v_mul_u32_u24_e32 v63, 36, v64
	s_delay_alu instid0(VALU_DEP_2) | instskip(SKIP_1) | instid1(VALU_DEP_3)
	v_mbcnt_lo_u32_b32 v188, v62, 0
	v_cmp_ne_u32_e64 s17, 0, v62
	v_add_nc_u32_e32 v189, v114, v63
	s_delay_alu instid0(VALU_DEP_3) | instskip(SKIP_1) | instid1(SALU_CYCLE_1)
	v_cmp_eq_u32_e32 vcc_lo, 0, v188
	s_and_b32 s18, s17, vcc_lo
	s_and_saveexec_b32 s17, s18
	s_cbranch_execz .LBB186_474
; %bb.473:                              ;   in Loop: Header=BB186_410 Depth=2
	s_wait_dscnt 0x0
	v_bcnt_u32_b32 v62, v62, v187
	ds_store_b32 v189, v62 offset:544
.LBB186_474:                            ;   in Loop: Header=BB186_410 Depth=2
	s_or_b32 exec_lo, exec_lo, s17
	v_and_b32_e32 v62, 0xff, v148
	; wave barrier
	s_delay_alu instid0(VALU_DEP_1) | instskip(NEXT) | instid1(VALU_DEP_1)
	v_lshrrev_b32_e32 v62, s43, v62
	v_and_b32_e32 v64, s48, v62
	s_delay_alu instid0(VALU_DEP_1) | instskip(SKIP_1) | instid1(VALU_DEP_1)
	v_lshlrev_b32_e32 v65, 30, v64
	v_bitop3_b32 v63, v62, 1, s48 bitop3:0x80
	v_add_co_u32 v62, s17, v63, -1
	s_delay_alu instid0(VALU_DEP_1) | instskip(NEXT) | instid1(VALU_DEP_4)
	v_cndmask_b32_e64 v63, 0, 1, s17
	v_cmp_gt_i32_e64 s17, 0, v65
	s_delay_alu instid0(VALU_DEP_2) | instskip(SKIP_2) | instid1(VALU_DEP_2)
	v_cmp_ne_u32_e32 vcc_lo, 0, v63
	v_not_b32_e32 v63, v65
	v_bitop3_b32 v62, vcc_lo, exec_lo, v62 bitop3:0x48
	v_dual_ashrrev_i32 v63, 31, v63 :: v_dual_lshlrev_b32 v190, 29, v64
	v_dual_lshlrev_b32 v191, 28, v64 :: v_dual_lshlrev_b32 v192, 27, v64
	v_lshlrev_b32_e32 v193, 26, v64
	s_delay_alu instid0(VALU_DEP_3)
	v_not_b32_e32 v65, v190
	v_lshlrev_b32_e32 v194, 25, v64
	v_cmp_gt_i32_e64 s18, 0, v190
	v_cmp_gt_i32_e64 s19, 0, v191
	v_not_b32_e32 v190, v191
	v_not_b32_e32 v191, v192
	v_ashrrev_i32_e32 v65, 31, v65
	v_cmp_gt_i32_e64 s20, 0, v192
	v_cmp_gt_i32_e64 s21, 0, v193
	v_not_b32_e32 v192, v193
	v_dual_ashrrev_i32 v190, 31, v190 :: v_dual_ashrrev_i32 v191, 31, v191
	v_xor_b32_e32 v63, s17, v63
	v_xor_b32_e32 v65, s18, v65
	v_not_b32_e32 v193, v194
	s_delay_alu instid0(VALU_DEP_4) | instskip(SKIP_1) | instid1(VALU_DEP_4)
	v_dual_ashrrev_i32 v192, 31, v192 :: v_dual_bitop2_b32 v190, s19, v190 bitop3:0x14
	v_xor_b32_e32 v191, s20, v191
	v_bitop3_b32 v62, v62, v65, v63 bitop3:0x80
	v_cmp_gt_i32_e32 vcc_lo, 0, v194
	v_ashrrev_i32_e32 v63, 31, v193
	v_mad_u32_u24 v65, v64, 36, v114
	v_xor_b32_e32 v192, s21, v192
	v_bitop3_b32 v62, v62, v191, v190 bitop3:0x80
	s_delay_alu instid0(VALU_DEP_4) | instskip(SKIP_3) | instid1(VALU_DEP_2)
	v_xor_b32_e32 v63, vcc_lo, v63
	ds_load_b32 v190, v65 offset:544
	; wave barrier
	v_bitop3_b32 v62, v62, v63, v192 bitop3:0x80
	v_mul_u32_u24_e32 v63, 36, v64
	v_mbcnt_lo_u32_b32 v191, v62, 0
	v_cmp_ne_u32_e64 s17, 0, v62
	s_delay_alu instid0(VALU_DEP_3) | instskip(NEXT) | instid1(VALU_DEP_3)
	v_add_nc_u32_e32 v192, v114, v63
	v_cmp_eq_u32_e32 vcc_lo, 0, v191
	s_and_b32 s18, s17, vcc_lo
	s_delay_alu instid0(SALU_CYCLE_1)
	s_and_saveexec_b32 s17, s18
	s_cbranch_execz .LBB186_476
; %bb.475:                              ;   in Loop: Header=BB186_410 Depth=2
	s_wait_dscnt 0x0
	v_bcnt_u32_b32 v62, v62, v190
	ds_store_b32 v192, v62 offset:544
.LBB186_476:                            ;   in Loop: Header=BB186_410 Depth=2
	s_or_b32 exec_lo, exec_lo, s17
	v_and_b32_e32 v62, 0xff, v149
	; wave barrier
	s_delay_alu instid0(VALU_DEP_1) | instskip(NEXT) | instid1(VALU_DEP_1)
	v_lshrrev_b32_e32 v62, s43, v62
	v_and_b32_e32 v64, s48, v62
	s_delay_alu instid0(VALU_DEP_1) | instskip(SKIP_1) | instid1(VALU_DEP_1)
	v_lshlrev_b32_e32 v65, 30, v64
	v_bitop3_b32 v63, v62, 1, s48 bitop3:0x80
	v_add_co_u32 v62, s17, v63, -1
	s_delay_alu instid0(VALU_DEP_1) | instskip(NEXT) | instid1(VALU_DEP_4)
	v_cndmask_b32_e64 v63, 0, 1, s17
	v_cmp_gt_i32_e64 s17, 0, v65
	s_delay_alu instid0(VALU_DEP_2) | instskip(SKIP_2) | instid1(VALU_DEP_2)
	v_cmp_ne_u32_e32 vcc_lo, 0, v63
	v_not_b32_e32 v63, v65
	v_bitop3_b32 v62, vcc_lo, exec_lo, v62 bitop3:0x48
	v_dual_ashrrev_i32 v63, 31, v63 :: v_dual_lshlrev_b32 v193, 29, v64
	v_dual_lshlrev_b32 v194, 28, v64 :: v_dual_lshlrev_b32 v195, 27, v64
	s_delay_alu instid0(VALU_DEP_2) | instskip(NEXT) | instid1(VALU_DEP_3)
	v_dual_lshlrev_b32 v196, 26, v64 :: v_dual_bitop2_b32 v63, s17, v63 bitop3:0x14
	v_not_b32_e32 v65, v193
	v_lshlrev_b32_e32 v197, 25, v64
	v_cmp_gt_i32_e64 s18, 0, v193
	v_cmp_gt_i32_e64 s19, 0, v194
	v_not_b32_e32 v193, v194
	v_not_b32_e32 v194, v195
	v_ashrrev_i32_e32 v65, 31, v65
	v_cmp_gt_i32_e64 s20, 0, v195
	v_cmp_gt_i32_e64 s21, 0, v196
	v_not_b32_e32 v195, v196
	v_dual_ashrrev_i32 v193, 31, v193 :: v_dual_ashrrev_i32 v194, 31, v194
	v_xor_b32_e32 v65, s18, v65
	v_not_b32_e32 v196, v197
	s_delay_alu instid0(VALU_DEP_3) | instskip(NEXT) | instid1(VALU_DEP_4)
	v_dual_ashrrev_i32 v195, 31, v195 :: v_dual_bitop2_b32 v193, s19, v193 bitop3:0x14
	v_xor_b32_e32 v194, s20, v194
	s_delay_alu instid0(VALU_DEP_4)
	v_bitop3_b32 v62, v62, v65, v63 bitop3:0x80
	v_cmp_gt_i32_e32 vcc_lo, 0, v197
	v_ashrrev_i32_e32 v63, 31, v196
	v_mad_u32_u24 v65, v64, 36, v114
	v_xor_b32_e32 v195, s21, v195
	v_bitop3_b32 v62, v62, v194, v193 bitop3:0x80
	s_delay_alu instid0(VALU_DEP_4) | instskip(SKIP_3) | instid1(VALU_DEP_2)
	v_xor_b32_e32 v63, vcc_lo, v63
	ds_load_b32 v193, v65 offset:544
	; wave barrier
	v_bitop3_b32 v62, v62, v63, v195 bitop3:0x80
	v_mul_u32_u24_e32 v63, 36, v64
	v_mbcnt_lo_u32_b32 v194, v62, 0
	v_cmp_ne_u32_e64 s17, 0, v62
	s_delay_alu instid0(VALU_DEP_3) | instskip(NEXT) | instid1(VALU_DEP_3)
	v_add_nc_u32_e32 v195, v114, v63
	v_cmp_eq_u32_e32 vcc_lo, 0, v194
	s_and_b32 s18, s17, vcc_lo
	s_delay_alu instid0(SALU_CYCLE_1)
	s_and_saveexec_b32 s17, s18
	s_cbranch_execz .LBB186_478
; %bb.477:                              ;   in Loop: Header=BB186_410 Depth=2
	s_wait_dscnt 0x0
	v_bcnt_u32_b32 v62, v62, v193
	ds_store_b32 v195, v62 offset:544
.LBB186_478:                            ;   in Loop: Header=BB186_410 Depth=2
	s_or_b32 exec_lo, exec_lo, s17
	v_and_b32_e32 v62, 0xff, v150
	; wave barrier
	s_delay_alu instid0(VALU_DEP_1) | instskip(NEXT) | instid1(VALU_DEP_1)
	v_lshrrev_b32_e32 v62, s43, v62
	v_and_b32_e32 v64, s48, v62
	s_delay_alu instid0(VALU_DEP_1) | instskip(SKIP_1) | instid1(VALU_DEP_1)
	v_lshlrev_b32_e32 v65, 30, v64
	v_bitop3_b32 v63, v62, 1, s48 bitop3:0x80
	v_add_co_u32 v62, s17, v63, -1
	s_delay_alu instid0(VALU_DEP_1) | instskip(NEXT) | instid1(VALU_DEP_4)
	v_cndmask_b32_e64 v63, 0, 1, s17
	v_cmp_gt_i32_e64 s17, 0, v65
	s_delay_alu instid0(VALU_DEP_2) | instskip(SKIP_2) | instid1(VALU_DEP_2)
	v_cmp_ne_u32_e32 vcc_lo, 0, v63
	v_not_b32_e32 v63, v65
	v_bitop3_b32 v62, vcc_lo, exec_lo, v62 bitop3:0x48
	v_dual_ashrrev_i32 v63, 31, v63 :: v_dual_lshlrev_b32 v196, 29, v64
	v_dual_lshlrev_b32 v197, 28, v64 :: v_dual_lshlrev_b32 v198, 27, v64
	v_lshlrev_b32_e32 v199, 26, v64
	s_delay_alu instid0(VALU_DEP_3)
	v_not_b32_e32 v65, v196
	v_lshlrev_b32_e32 v200, 25, v64
	v_cmp_gt_i32_e64 s18, 0, v196
	v_cmp_gt_i32_e64 s19, 0, v197
	v_not_b32_e32 v196, v197
	v_not_b32_e32 v197, v198
	v_ashrrev_i32_e32 v65, 31, v65
	v_cmp_gt_i32_e64 s20, 0, v198
	v_cmp_gt_i32_e64 s21, 0, v199
	v_not_b32_e32 v198, v199
	v_dual_ashrrev_i32 v196, 31, v196 :: v_dual_ashrrev_i32 v197, 31, v197
	v_xor_b32_e32 v63, s17, v63
	v_not_b32_e32 v199, v200
	s_delay_alu instid0(VALU_DEP_4) | instskip(NEXT) | instid1(VALU_DEP_4)
	v_dual_ashrrev_i32 v198, 31, v198 :: v_dual_bitop2_b32 v65, s18, v65 bitop3:0x14
	v_xor_b32_e32 v196, s19, v196
	v_xor_b32_e32 v197, s20, v197
	v_cmp_gt_i32_e32 vcc_lo, 0, v200
	s_delay_alu instid0(VALU_DEP_4) | instskip(SKIP_3) | instid1(VALU_DEP_4)
	v_bitop3_b32 v62, v62, v65, v63 bitop3:0x80
	v_ashrrev_i32_e32 v63, 31, v199
	v_mad_u32_u24 v65, v64, 36, v114
	v_xor_b32_e32 v198, s21, v198
	v_bitop3_b32 v62, v62, v197, v196 bitop3:0x80
	s_delay_alu instid0(VALU_DEP_4) | instskip(SKIP_3) | instid1(VALU_DEP_2)
	v_xor_b32_e32 v63, vcc_lo, v63
	ds_load_b32 v196, v65 offset:544
	; wave barrier
	v_bitop3_b32 v62, v62, v63, v198 bitop3:0x80
	v_mul_u32_u24_e32 v63, 36, v64
	v_mbcnt_lo_u32_b32 v197, v62, 0
	v_cmp_ne_u32_e64 s17, 0, v62
	s_delay_alu instid0(VALU_DEP_3) | instskip(NEXT) | instid1(VALU_DEP_3)
	v_add_nc_u32_e32 v198, v114, v63
	v_cmp_eq_u32_e32 vcc_lo, 0, v197
	s_and_b32 s18, s17, vcc_lo
	s_delay_alu instid0(SALU_CYCLE_1)
	s_and_saveexec_b32 s17, s18
	s_cbranch_execz .LBB186_480
; %bb.479:                              ;   in Loop: Header=BB186_410 Depth=2
	s_wait_dscnt 0x0
	v_bcnt_u32_b32 v62, v62, v196
	ds_store_b32 v198, v62 offset:544
.LBB186_480:                            ;   in Loop: Header=BB186_410 Depth=2
	s_or_b32 exec_lo, exec_lo, s17
	v_and_b32_e32 v62, 0xff, v151
	; wave barrier
	s_delay_alu instid0(VALU_DEP_1) | instskip(NEXT) | instid1(VALU_DEP_1)
	v_lshrrev_b32_e32 v62, s43, v62
	v_and_b32_e32 v64, s48, v62
	s_delay_alu instid0(VALU_DEP_1) | instskip(SKIP_1) | instid1(VALU_DEP_1)
	v_lshlrev_b32_e32 v65, 30, v64
	v_bitop3_b32 v63, v62, 1, s48 bitop3:0x80
	v_add_co_u32 v62, s17, v63, -1
	s_delay_alu instid0(VALU_DEP_1) | instskip(NEXT) | instid1(VALU_DEP_4)
	v_cndmask_b32_e64 v63, 0, 1, s17
	v_cmp_gt_i32_e64 s17, 0, v65
	s_delay_alu instid0(VALU_DEP_2) | instskip(SKIP_2) | instid1(VALU_DEP_2)
	v_cmp_ne_u32_e32 vcc_lo, 0, v63
	v_not_b32_e32 v63, v65
	v_bitop3_b32 v62, vcc_lo, exec_lo, v62 bitop3:0x48
	v_dual_ashrrev_i32 v63, 31, v63 :: v_dual_lshlrev_b32 v199, 29, v64
	v_dual_lshlrev_b32 v200, 28, v64 :: v_dual_lshlrev_b32 v201, 27, v64
	v_lshlrev_b32_e32 v202, 26, v64
	s_delay_alu instid0(VALU_DEP_3)
	v_not_b32_e32 v65, v199
	v_lshlrev_b32_e32 v203, 25, v64
	v_cmp_gt_i32_e64 s18, 0, v199
	v_cmp_gt_i32_e64 s19, 0, v200
	v_not_b32_e32 v199, v200
	v_not_b32_e32 v200, v201
	v_ashrrev_i32_e32 v65, 31, v65
	v_cmp_gt_i32_e64 s20, 0, v201
	v_cmp_gt_i32_e64 s21, 0, v202
	v_not_b32_e32 v201, v202
	v_dual_ashrrev_i32 v199, 31, v199 :: v_dual_ashrrev_i32 v200, 31, v200
	v_xor_b32_e32 v63, s17, v63
	v_not_b32_e32 v202, v203
	v_xor_b32_e32 v65, s18, v65
	s_delay_alu instid0(VALU_DEP_4) | instskip(SKIP_2) | instid1(VALU_DEP_4)
	v_dual_ashrrev_i32 v201, 31, v201 :: v_dual_bitop2_b32 v199, s19, v199 bitop3:0x14
	v_xor_b32_e32 v200, s20, v200
	v_cmp_gt_i32_e32 vcc_lo, 0, v203
	v_bitop3_b32 v62, v62, v65, v63 bitop3:0x80
	v_ashrrev_i32_e32 v63, 31, v202
	v_mad_u32_u24 v65, v64, 36, v114
	v_xor_b32_e32 v201, s21, v201
	s_delay_alu instid0(VALU_DEP_4) | instskip(NEXT) | instid1(VALU_DEP_4)
	v_bitop3_b32 v62, v62, v200, v199 bitop3:0x80
	v_xor_b32_e32 v63, vcc_lo, v63
	ds_load_b32 v199, v65 offset:544
	; wave barrier
	v_bitop3_b32 v62, v62, v63, v201 bitop3:0x80
	v_mul_u32_u24_e32 v63, 36, v64
	s_delay_alu instid0(VALU_DEP_2) | instskip(SKIP_1) | instid1(VALU_DEP_3)
	v_mbcnt_lo_u32_b32 v200, v62, 0
	v_cmp_ne_u32_e64 s17, 0, v62
	v_add_nc_u32_e32 v201, v114, v63
	s_delay_alu instid0(VALU_DEP_3) | instskip(SKIP_1) | instid1(SALU_CYCLE_1)
	v_cmp_eq_u32_e32 vcc_lo, 0, v200
	s_and_b32 s18, s17, vcc_lo
	s_and_saveexec_b32 s17, s18
	s_cbranch_execz .LBB186_482
; %bb.481:                              ;   in Loop: Header=BB186_410 Depth=2
	s_wait_dscnt 0x0
	v_bcnt_u32_b32 v62, v62, v199
	ds_store_b32 v201, v62 offset:544
.LBB186_482:                            ;   in Loop: Header=BB186_410 Depth=2
	s_or_b32 exec_lo, exec_lo, s17
	; wave barrier
	s_wait_dscnt 0x0
	s_barrier_signal -1
	s_barrier_wait -1
	ds_load_2addr_b32 v[64:65], v90 offset0:136 offset1:137
	ds_load_2addr_b32 v[62:63], v90 offset0:138 offset1:139
	ds_load_b32 v202, v90 offset:560
	s_wait_dscnt 0x1
	v_add3_u32 v203, v65, v64, v62
	s_wait_dscnt 0x0
	s_delay_alu instid0(VALU_DEP_1) | instskip(NEXT) | instid1(VALU_DEP_1)
	v_add3_u32 v202, v203, v63, v202
	v_mov_b32_dpp v203, v202 row_shr:1 row_mask:0xf bank_mask:0xf
	s_delay_alu instid0(VALU_DEP_1) | instskip(NEXT) | instid1(VALU_DEP_1)
	v_cndmask_b32_e64 v203, v203, 0, s8
	v_add_nc_u32_e32 v202, v203, v202
	s_delay_alu instid0(VALU_DEP_1) | instskip(NEXT) | instid1(VALU_DEP_1)
	v_mov_b32_dpp v203, v202 row_shr:2 row_mask:0xf bank_mask:0xf
	v_cndmask_b32_e64 v203, 0, v203, s9
	s_delay_alu instid0(VALU_DEP_1) | instskip(NEXT) | instid1(VALU_DEP_1)
	v_add_nc_u32_e32 v202, v202, v203
	v_mov_b32_dpp v203, v202 row_shr:4 row_mask:0xf bank_mask:0xf
	s_delay_alu instid0(VALU_DEP_1) | instskip(NEXT) | instid1(VALU_DEP_1)
	v_cndmask_b32_e64 v203, 0, v203, s10
	v_add_nc_u32_e32 v202, v202, v203
	s_delay_alu instid0(VALU_DEP_1) | instskip(NEXT) | instid1(VALU_DEP_1)
	v_mov_b32_dpp v203, v202 row_shr:8 row_mask:0xf bank_mask:0xf
	v_cndmask_b32_e64 v203, 0, v203, s11
	s_delay_alu instid0(VALU_DEP_1) | instskip(SKIP_3) | instid1(VALU_DEP_1)
	v_add_nc_u32_e32 v202, v202, v203
	ds_swizzle_b32 v203, v202 offset:swizzle(BROADCAST,32,15)
	s_wait_dscnt 0x0
	v_cndmask_b32_e64 v203, v203, 0, s12
	v_add_nc_u32_e32 v202, v202, v203
	s_and_saveexec_b32 s17, s2
; %bb.483:                              ;   in Loop: Header=BB186_410 Depth=2
	ds_store_b32 v83, v202 offset:512
; %bb.484:                              ;   in Loop: Header=BB186_410 Depth=2
	s_or_b32 exec_lo, exec_lo, s17
	s_wait_dscnt 0x0
	s_barrier_signal -1
	s_barrier_wait -1
	s_and_saveexec_b32 s17, s3
	s_cbranch_execz .LBB186_486
; %bb.485:                              ;   in Loop: Header=BB186_410 Depth=2
	ds_load_b32 v203, v92 offset:512
	s_wait_dscnt 0x0
	v_mov_b32_dpp v204, v203 row_shr:1 row_mask:0xf bank_mask:0xf
	s_delay_alu instid0(VALU_DEP_1) | instskip(NEXT) | instid1(VALU_DEP_1)
	v_cndmask_b32_e64 v204, v204, 0, s14
	v_add_nc_u32_e32 v203, v204, v203
	s_delay_alu instid0(VALU_DEP_1) | instskip(NEXT) | instid1(VALU_DEP_1)
	v_mov_b32_dpp v204, v203 row_shr:2 row_mask:0xf bank_mask:0xf
	v_cndmask_b32_e64 v204, 0, v204, s15
	s_delay_alu instid0(VALU_DEP_1) | instskip(NEXT) | instid1(VALU_DEP_1)
	v_add_nc_u32_e32 v203, v203, v204
	v_mov_b32_dpp v204, v203 row_shr:4 row_mask:0xf bank_mask:0xf
	s_delay_alu instid0(VALU_DEP_1) | instskip(NEXT) | instid1(VALU_DEP_1)
	v_cndmask_b32_e64 v204, 0, v204, s16
	v_add_nc_u32_e32 v203, v203, v204
	ds_store_b32 v92, v203 offset:512
.LBB186_486:                            ;   in Loop: Header=BB186_410 Depth=2
	s_or_b32 exec_lo, exec_lo, s17
	v_mov_b32_e32 v203, 0
	s_wait_dscnt 0x0
	s_barrier_signal -1
	s_barrier_wait -1
	s_and_saveexec_b32 s17, s5
; %bb.487:                              ;   in Loop: Header=BB186_410 Depth=2
	ds_load_b32 v203, v83 offset:508
; %bb.488:                              ;   in Loop: Header=BB186_410 Depth=2
	s_or_b32 exec_lo, exec_lo, s17
	s_wait_dscnt 0x0
	v_add_nc_u32_e32 v202, v203, v202
	ds_bpermute_b32 v202, v96, v202
	s_wait_dscnt 0x0
	v_cndmask_b32_e64 v202, v202, v203, s13
	s_delay_alu instid0(VALU_DEP_1) | instskip(NEXT) | instid1(VALU_DEP_1)
	v_cndmask_b32_e64 v202, v202, 0, s6
	v_add_nc_u32_e32 v64, v202, v64
	s_delay_alu instid0(VALU_DEP_1) | instskip(NEXT) | instid1(VALU_DEP_1)
	v_add_nc_u32_e32 v65, v64, v65
	v_add_nc_u32_e32 v62, v65, v62
	s_delay_alu instid0(VALU_DEP_1)
	v_add_nc_u32_e32 v63, v62, v63
	ds_store_2addr_b32 v90, v202, v64 offset0:136 offset1:137
	ds_store_2addr_b32 v90, v65, v62 offset0:138 offset1:139
	ds_store_b32 v90, v63 offset:560
	s_wait_dscnt 0x0
	s_barrier_signal -1
	s_barrier_wait -1
	ds_load_b32 v62, v153 offset:544
	ds_load_b32 v63, v156 offset:544
	;; [unrolled: 1-line block ×17, first 2 shown]
	s_and_saveexec_b32 s17, s0
	s_cbranch_execz .LBB186_492
; %bb.489:                              ;   in Loop: Header=BB186_410 Depth=2
	v_dual_mov_b32 v133, 0x1100 :: v_dual_add_nc_u32 v132, v92, v94
	ds_load_b32 v132, v132 offset:544
	s_and_saveexec_b32 s18, s7
; %bb.490:                              ;   in Loop: Header=BB186_410 Depth=2
	ds_load_b32 v133, v93 offset:544
; %bb.491:                              ;   in Loop: Header=BB186_410 Depth=2
	s_or_b32 exec_lo, exec_lo, s18
	s_wait_dscnt 0x0
	v_sub_nc_u32_e32 v133, v133, v132
.LBB186_492:                            ;   in Loop: Header=BB186_410 Depth=2
	s_or_b32 exec_lo, exec_lo, s17
	s_wait_dscnt 0x0
	s_barrier_signal -1
	s_barrier_wait -1
	s_and_saveexec_b32 s17, s0
	s_cbranch_execz .LBB186_494
; %bb.493:                              ;   in Loop: Header=BB186_410 Depth=2
	ds_load_b32 v162, v66
	s_wait_dscnt 0x0
	v_sub_nc_u32_e32 v162, v162, v132
	ds_store_b32 v66, v162
.LBB186_494:                            ;   in Loop: Header=BB186_410 Depth=2
	s_or_b32 exec_lo, exec_lo, s17
	v_add_nc_u32_e32 v174, v62, v152
	v_add3_u32 v171, v155, v154, v63
	v_add3_u32 v168, v158, v157, v64
	v_add3_u32 v165, v161, v160, v65
	v_add3_u32 v162, v164, v163, v153
	v_add3_u32 v161, v167, v166, v156
	v_add3_u32 v160, v170, v169, v159
	v_add3_u32 v159, v173, v172, v202
	v_add3_u32 v158, v176, v175, v177
	v_add3_u32 v157, v179, v178, v180
	v_add3_u32 v156, v182, v181, v183
	v_add3_u32 v155, v185, v184, v186
	v_add3_u32 v154, v188, v187, v189
	v_add3_u32 v153, v191, v190, v192
	v_add3_u32 v152, v194, v193, v195
	v_add3_u32 v65, v197, v196, v198
	v_add3_u32 v64, v200, v199, v201
	v_cmp_lt_u32_e32 vcc_lo, v2, v134
	ds_store_b8 v174, v135 offset:512
	ds_store_b8 v171, v136 offset:512
	;; [unrolled: 1-line block ×17, first 2 shown]
	s_wait_dscnt 0x0
	s_barrier_signal -1
	s_barrier_wait -1
	s_and_saveexec_b32 s17, vcc_lo
	s_cbranch_execnz .LBB186_567
; %bb.495:                              ;   in Loop: Header=BB186_410 Depth=2
	s_or_b32 exec_lo, exec_lo, s17
	v_cmp_lt_u32_e64 s17, v67, v134
	s_and_saveexec_b32 s18, s17
	s_cbranch_execnz .LBB186_568
.LBB186_496:                            ;   in Loop: Header=BB186_410 Depth=2
	s_or_b32 exec_lo, exec_lo, s18
	v_cmp_lt_u32_e64 s18, v68, v134
	s_and_saveexec_b32 s19, s18
	s_cbranch_execnz .LBB186_569
.LBB186_497:                            ;   in Loop: Header=BB186_410 Depth=2
	s_or_b32 exec_lo, exec_lo, s19
	v_cmp_lt_u32_e64 s19, v69, v134
	s_and_saveexec_b32 s20, s19
	s_cbranch_execnz .LBB186_570
.LBB186_498:                            ;   in Loop: Header=BB186_410 Depth=2
	s_or_b32 exec_lo, exec_lo, s20
	v_cmp_lt_u32_e64 s20, v70, v134
	s_and_saveexec_b32 s21, s20
	s_cbranch_execnz .LBB186_571
.LBB186_499:                            ;   in Loop: Header=BB186_410 Depth=2
	s_or_b32 exec_lo, exec_lo, s21
	v_cmp_lt_u32_e64 s21, v71, v134
	s_and_saveexec_b32 s22, s21
	s_cbranch_execnz .LBB186_572
.LBB186_500:                            ;   in Loop: Header=BB186_410 Depth=2
	s_or_b32 exec_lo, exec_lo, s22
	v_cmp_lt_u32_e64 s22, v72, v134
	s_and_saveexec_b32 s23, s22
	s_cbranch_execnz .LBB186_573
.LBB186_501:                            ;   in Loop: Header=BB186_410 Depth=2
	s_or_b32 exec_lo, exec_lo, s23
	v_cmp_lt_u32_e64 s23, v73, v134
	s_and_saveexec_b32 s24, s23
	s_cbranch_execnz .LBB186_574
.LBB186_502:                            ;   in Loop: Header=BB186_410 Depth=2
	s_or_b32 exec_lo, exec_lo, s24
	v_cmp_lt_u32_e64 s24, v74, v134
	s_and_saveexec_b32 s25, s24
	s_cbranch_execnz .LBB186_575
.LBB186_503:                            ;   in Loop: Header=BB186_410 Depth=2
	s_or_b32 exec_lo, exec_lo, s25
	v_cmp_lt_u32_e64 s25, v75, v134
	s_and_saveexec_b32 s26, s25
	s_cbranch_execnz .LBB186_576
.LBB186_504:                            ;   in Loop: Header=BB186_410 Depth=2
	s_or_b32 exec_lo, exec_lo, s26
	v_cmp_lt_u32_e64 s26, v76, v134
	s_and_saveexec_b32 s27, s26
	s_cbranch_execnz .LBB186_577
.LBB186_505:                            ;   in Loop: Header=BB186_410 Depth=2
	s_or_b32 exec_lo, exec_lo, s27
	v_cmp_lt_u32_e64 s27, v77, v134
	s_and_saveexec_b32 s28, s27
	s_cbranch_execnz .LBB186_578
.LBB186_506:                            ;   in Loop: Header=BB186_410 Depth=2
	s_or_b32 exec_lo, exec_lo, s28
	v_cmp_lt_u32_e64 s28, v78, v134
	s_and_saveexec_b32 s29, s28
	s_cbranch_execnz .LBB186_579
.LBB186_507:                            ;   in Loop: Header=BB186_410 Depth=2
	s_or_b32 exec_lo, exec_lo, s29
	v_cmp_lt_u32_e64 s29, v79, v134
	s_and_saveexec_b32 s30, s29
	s_cbranch_execnz .LBB186_580
.LBB186_508:                            ;   in Loop: Header=BB186_410 Depth=2
	s_or_b32 exec_lo, exec_lo, s30
	v_cmp_lt_u32_e64 s30, v80, v134
	s_and_saveexec_b32 s31, s30
	s_cbranch_execnz .LBB186_581
.LBB186_509:                            ;   in Loop: Header=BB186_410 Depth=2
	s_or_b32 exec_lo, exec_lo, s31
	v_cmp_lt_u32_e64 s31, v81, v134
	s_and_saveexec_b32 s33, s31
	s_cbranch_execnz .LBB186_582
.LBB186_510:                            ;   in Loop: Header=BB186_410 Depth=2
	s_or_b32 exec_lo, exec_lo, s33
	v_cmp_lt_u32_e64 s33, v82, v134
	s_and_saveexec_b32 s60, s33
	s_cbranch_execz .LBB186_512
.LBB186_511:                            ;   in Loop: Header=BB186_410 Depth=2
	ds_load_u8 v62, v2 offset:4608
	s_wait_dscnt 0x0
	v_and_b32_e32 v63, 0xff, v62
	s_delay_alu instid0(VALU_DEP_1) | instskip(NEXT) | instid1(VALU_DEP_1)
	v_lshrrev_b32_e32 v63, s43, v63
	v_and_b32_e32 v63, s48, v63
	s_delay_alu instid0(VALU_DEP_1)
	v_lshlrev_b32_e32 v63, 2, v63
	ds_load_b32 v63, v63
	s_wait_dscnt 0x0
	v_add_nc_u32_e32 v63, v63, v82
	global_store_b8 v63, v62, s[40:41]
.LBB186_512:                            ;   in Loop: Header=BB186_410 Depth=2
	s_wait_xcnt 0x0
	s_or_b32 exec_lo, exec_lo, s60
	v_lshl_add_u64 v[62:63], s[34:35], 3, v[24:25]
	v_cmp_lt_u32_e64 s34, v97, v134
	s_and_saveexec_b32 s60, s34
	s_delay_alu instid0(SALU_CYCLE_1)
	s_xor_b32 s34, exec_lo, s60
	s_cbranch_execnz .LBB186_583
; %bb.513:                              ;   in Loop: Header=BB186_410 Depth=2
	s_or_b32 exec_lo, exec_lo, s34
	s_delay_alu instid0(SALU_CYCLE_1)
	s_mov_b32 s60, exec_lo
	v_cmpx_lt_u32_e64 v98, v134
	s_cbranch_execnz .LBB186_584
.LBB186_514:                            ;   in Loop: Header=BB186_410 Depth=2
	s_or_b32 exec_lo, exec_lo, s60
	s_delay_alu instid0(SALU_CYCLE_1)
	s_mov_b32 s60, exec_lo
	v_cmpx_lt_u32_e64 v99, v134
	s_cbranch_execnz .LBB186_585
.LBB186_515:                            ;   in Loop: Header=BB186_410 Depth=2
	s_or_b32 exec_lo, exec_lo, s60
	s_delay_alu instid0(SALU_CYCLE_1)
	s_mov_b32 s60, exec_lo
	v_cmpx_lt_u32_e64 v100, v134
	s_cbranch_execnz .LBB186_586
.LBB186_516:                            ;   in Loop: Header=BB186_410 Depth=2
	s_or_b32 exec_lo, exec_lo, s60
	s_delay_alu instid0(SALU_CYCLE_1)
	s_mov_b32 s60, exec_lo
	v_cmpx_lt_u32_e64 v101, v134
	s_cbranch_execnz .LBB186_587
.LBB186_517:                            ;   in Loop: Header=BB186_410 Depth=2
	s_or_b32 exec_lo, exec_lo, s60
	s_delay_alu instid0(SALU_CYCLE_1)
	s_mov_b32 s60, exec_lo
	v_cmpx_lt_u32_e64 v102, v134
	s_cbranch_execnz .LBB186_588
.LBB186_518:                            ;   in Loop: Header=BB186_410 Depth=2
	s_or_b32 exec_lo, exec_lo, s60
	s_delay_alu instid0(SALU_CYCLE_1)
	s_mov_b32 s60, exec_lo
	v_cmpx_lt_u32_e64 v103, v134
	s_cbranch_execnz .LBB186_589
.LBB186_519:                            ;   in Loop: Header=BB186_410 Depth=2
	s_or_b32 exec_lo, exec_lo, s60
	s_delay_alu instid0(SALU_CYCLE_1)
	s_mov_b32 s60, exec_lo
	v_cmpx_lt_u32_e64 v104, v134
	s_cbranch_execnz .LBB186_590
.LBB186_520:                            ;   in Loop: Header=BB186_410 Depth=2
	s_or_b32 exec_lo, exec_lo, s60
	s_delay_alu instid0(SALU_CYCLE_1)
	s_mov_b32 s60, exec_lo
	v_cmpx_lt_u32_e64 v105, v134
	s_cbranch_execnz .LBB186_591
.LBB186_521:                            ;   in Loop: Header=BB186_410 Depth=2
	s_or_b32 exec_lo, exec_lo, s60
	s_delay_alu instid0(SALU_CYCLE_1)
	s_mov_b32 s60, exec_lo
	v_cmpx_lt_u32_e64 v106, v134
	s_cbranch_execnz .LBB186_592
.LBB186_522:                            ;   in Loop: Header=BB186_410 Depth=2
	s_or_b32 exec_lo, exec_lo, s60
	s_delay_alu instid0(SALU_CYCLE_1)
	s_mov_b32 s60, exec_lo
	v_cmpx_lt_u32_e64 v107, v134
	s_cbranch_execnz .LBB186_593
.LBB186_523:                            ;   in Loop: Header=BB186_410 Depth=2
	s_or_b32 exec_lo, exec_lo, s60
	s_delay_alu instid0(SALU_CYCLE_1)
	s_mov_b32 s60, exec_lo
	v_cmpx_lt_u32_e64 v108, v134
	s_cbranch_execnz .LBB186_594
.LBB186_524:                            ;   in Loop: Header=BB186_410 Depth=2
	s_or_b32 exec_lo, exec_lo, s60
	s_delay_alu instid0(SALU_CYCLE_1)
	s_mov_b32 s60, exec_lo
	v_cmpx_lt_u32_e64 v109, v134
	s_cbranch_execnz .LBB186_595
.LBB186_525:                            ;   in Loop: Header=BB186_410 Depth=2
	s_or_b32 exec_lo, exec_lo, s60
	s_delay_alu instid0(SALU_CYCLE_1)
	s_mov_b32 s60, exec_lo
	v_cmpx_lt_u32_e64 v110, v134
	s_cbranch_execnz .LBB186_596
.LBB186_526:                            ;   in Loop: Header=BB186_410 Depth=2
	s_or_b32 exec_lo, exec_lo, s60
	s_delay_alu instid0(SALU_CYCLE_1)
	s_mov_b32 s60, exec_lo
	v_cmpx_lt_u32_e64 v111, v134
	s_cbranch_execnz .LBB186_597
.LBB186_527:                            ;   in Loop: Header=BB186_410 Depth=2
	s_or_b32 exec_lo, exec_lo, s60
	s_delay_alu instid0(SALU_CYCLE_1)
	s_mov_b32 s60, exec_lo
	v_cmpx_lt_u32_e64 v112, v134
	s_cbranch_execnz .LBB186_598
.LBB186_528:                            ;   in Loop: Header=BB186_410 Depth=2
	s_or_b32 exec_lo, exec_lo, s60
	s_delay_alu instid0(SALU_CYCLE_1)
	s_mov_b32 s60, exec_lo
	v_cmpx_lt_u32_e64 v113, v134
	s_cbranch_execnz .LBB186_599
.LBB186_529:                            ;   in Loop: Header=BB186_410 Depth=2
	s_or_b32 exec_lo, exec_lo, s60
	s_and_saveexec_b32 s34, vcc_lo
	s_cbranch_execnz .LBB186_600
.LBB186_530:                            ;   in Loop: Header=BB186_410 Depth=2
	s_or_b32 exec_lo, exec_lo, s34
	s_and_saveexec_b32 s34, s17
	s_cbranch_execnz .LBB186_601
.LBB186_531:                            ;   in Loop: Header=BB186_410 Depth=2
	s_or_b32 exec_lo, exec_lo, s34
	s_and_saveexec_b32 s34, s18
	s_cbranch_execnz .LBB186_602
.LBB186_532:                            ;   in Loop: Header=BB186_410 Depth=2
	s_or_b32 exec_lo, exec_lo, s34
	s_and_saveexec_b32 s34, s19
	s_cbranch_execnz .LBB186_603
.LBB186_533:                            ;   in Loop: Header=BB186_410 Depth=2
	s_or_b32 exec_lo, exec_lo, s34
	s_and_saveexec_b32 s34, s20
	s_cbranch_execnz .LBB186_604
.LBB186_534:                            ;   in Loop: Header=BB186_410 Depth=2
	s_or_b32 exec_lo, exec_lo, s34
	s_and_saveexec_b32 s34, s21
	s_cbranch_execnz .LBB186_605
.LBB186_535:                            ;   in Loop: Header=BB186_410 Depth=2
	s_or_b32 exec_lo, exec_lo, s34
	s_and_saveexec_b32 s34, s22
	s_cbranch_execnz .LBB186_606
.LBB186_536:                            ;   in Loop: Header=BB186_410 Depth=2
	s_or_b32 exec_lo, exec_lo, s34
	s_and_saveexec_b32 s34, s23
	s_cbranch_execnz .LBB186_607
.LBB186_537:                            ;   in Loop: Header=BB186_410 Depth=2
	s_or_b32 exec_lo, exec_lo, s34
	s_and_saveexec_b32 s34, s24
	s_cbranch_execnz .LBB186_608
.LBB186_538:                            ;   in Loop: Header=BB186_410 Depth=2
	s_or_b32 exec_lo, exec_lo, s34
	s_and_saveexec_b32 s34, s25
	s_cbranch_execnz .LBB186_609
.LBB186_539:                            ;   in Loop: Header=BB186_410 Depth=2
	s_or_b32 exec_lo, exec_lo, s34
	s_and_saveexec_b32 s34, s26
	s_cbranch_execnz .LBB186_610
.LBB186_540:                            ;   in Loop: Header=BB186_410 Depth=2
	s_or_b32 exec_lo, exec_lo, s34
	s_and_saveexec_b32 s34, s27
	s_cbranch_execnz .LBB186_611
.LBB186_541:                            ;   in Loop: Header=BB186_410 Depth=2
	s_or_b32 exec_lo, exec_lo, s34
	s_and_saveexec_b32 s34, s28
	s_cbranch_execnz .LBB186_612
.LBB186_542:                            ;   in Loop: Header=BB186_410 Depth=2
	s_or_b32 exec_lo, exec_lo, s34
	s_and_saveexec_b32 s34, s29
	s_cbranch_execnz .LBB186_613
.LBB186_543:                            ;   in Loop: Header=BB186_410 Depth=2
	s_or_b32 exec_lo, exec_lo, s34
	s_and_saveexec_b32 s34, s30
	s_cbranch_execnz .LBB186_614
.LBB186_544:                            ;   in Loop: Header=BB186_410 Depth=2
	s_or_b32 exec_lo, exec_lo, s34
	s_and_saveexec_b32 s34, s31
	s_cbranch_execnz .LBB186_615
.LBB186_545:                            ;   in Loop: Header=BB186_410 Depth=2
	s_or_b32 exec_lo, exec_lo, s34
	s_and_saveexec_b32 s34, s33
	s_cbranch_execz .LBB186_547
.LBB186_546:                            ;   in Loop: Header=BB186_410 Depth=2
	ds_load_u8 v62, v2 offset:4608
	s_wait_dscnt 0x0
	v_lshrrev_b32_e32 v62, s43, v62
	s_delay_alu instid0(VALU_DEP_1)
	v_and_b32_e32 v115, s48, v62
.LBB186_547:                            ;   in Loop: Header=BB186_410 Depth=2
	s_or_b32 exec_lo, exec_lo, s34
	v_dual_lshlrev_b32 v62, 3, v174 :: v_dual_lshlrev_b32 v63, 3, v171
	s_wait_loadcnt 0x0
	s_wait_storecnt 0x0
	s_barrier_signal -1
	s_barrier_wait -1
	ds_store_b64 v62, v[60:61] offset:512
	ds_store_b64 v63, v[58:59] offset:512
	v_dual_lshlrev_b32 v62, 3, v168 :: v_dual_lshlrev_b32 v63, 3, v165
	v_dual_lshlrev_b32 v134, 3, v162 :: v_dual_lshlrev_b32 v135, 3, v161
	v_lshlrev_b32_e32 v136, 3, v160
	ds_store_b64 v62, v[56:57] offset:512
	ds_store_b64 v63, v[54:55] offset:512
	ds_store_b64 v134, v[52:53] offset:512
	ds_store_b64 v135, v[50:51] offset:512
	ds_store_b64 v136, v[48:49] offset:512
	v_dual_lshlrev_b32 v62, 3, v159 :: v_dual_lshlrev_b32 v63, 3, v158
	v_dual_lshlrev_b32 v134, 3, v157 :: v_dual_lshlrev_b32 v135, 3, v156
	v_lshlrev_b32_e32 v136, 3, v155
	ds_store_b64 v62, v[46:47] offset:512
	ds_store_b64 v63, v[44:45] offset:512
	ds_store_b64 v134, v[42:43] offset:512
	;; [unrolled: 8-line block ×3, first 2 shown]
	ds_store_b64 v65, v[30:31] offset:512
	ds_store_b64 v64, v[28:29] offset:512
	s_wait_dscnt 0x0
	s_barrier_signal -1
	s_barrier_wait -1
	s_and_saveexec_b32 s34, vcc_lo
	s_cbranch_execnz .LBB186_616
; %bb.548:                              ;   in Loop: Header=BB186_410 Depth=2
	s_or_b32 exec_lo, exec_lo, s34
	s_and_saveexec_b32 s34, s17
	s_cbranch_execnz .LBB186_617
.LBB186_549:                            ;   in Loop: Header=BB186_410 Depth=2
	s_or_b32 exec_lo, exec_lo, s34
	s_and_saveexec_b32 s17, s18
	s_cbranch_execnz .LBB186_618
.LBB186_550:                            ;   in Loop: Header=BB186_410 Depth=2
	s_or_b32 exec_lo, exec_lo, s17
	s_and_saveexec_b32 s17, s19
	s_cbranch_execnz .LBB186_619
.LBB186_551:                            ;   in Loop: Header=BB186_410 Depth=2
	s_or_b32 exec_lo, exec_lo, s17
	s_and_saveexec_b32 s17, s20
	s_cbranch_execnz .LBB186_620
.LBB186_552:                            ;   in Loop: Header=BB186_410 Depth=2
	s_or_b32 exec_lo, exec_lo, s17
	s_and_saveexec_b32 s17, s21
	s_cbranch_execnz .LBB186_621
.LBB186_553:                            ;   in Loop: Header=BB186_410 Depth=2
	s_or_b32 exec_lo, exec_lo, s17
	s_and_saveexec_b32 s17, s22
	s_cbranch_execnz .LBB186_622
.LBB186_554:                            ;   in Loop: Header=BB186_410 Depth=2
	s_or_b32 exec_lo, exec_lo, s17
	s_and_saveexec_b32 s17, s23
	s_cbranch_execnz .LBB186_623
.LBB186_555:                            ;   in Loop: Header=BB186_410 Depth=2
	s_or_b32 exec_lo, exec_lo, s17
	s_and_saveexec_b32 s17, s24
	s_cbranch_execnz .LBB186_624
.LBB186_556:                            ;   in Loop: Header=BB186_410 Depth=2
	s_or_b32 exec_lo, exec_lo, s17
	s_and_saveexec_b32 s17, s25
	s_cbranch_execnz .LBB186_625
.LBB186_557:                            ;   in Loop: Header=BB186_410 Depth=2
	s_or_b32 exec_lo, exec_lo, s17
	s_and_saveexec_b32 s17, s26
	s_cbranch_execnz .LBB186_626
.LBB186_558:                            ;   in Loop: Header=BB186_410 Depth=2
	s_or_b32 exec_lo, exec_lo, s17
	s_and_saveexec_b32 s17, s27
	s_cbranch_execnz .LBB186_627
.LBB186_559:                            ;   in Loop: Header=BB186_410 Depth=2
	s_or_b32 exec_lo, exec_lo, s17
	s_and_saveexec_b32 s17, s28
	s_cbranch_execnz .LBB186_628
.LBB186_560:                            ;   in Loop: Header=BB186_410 Depth=2
	s_or_b32 exec_lo, exec_lo, s17
	s_and_saveexec_b32 s17, s29
	s_cbranch_execnz .LBB186_629
.LBB186_561:                            ;   in Loop: Header=BB186_410 Depth=2
	s_or_b32 exec_lo, exec_lo, s17
	s_and_saveexec_b32 s17, s30
	s_cbranch_execnz .LBB186_630
.LBB186_562:                            ;   in Loop: Header=BB186_410 Depth=2
	s_or_b32 exec_lo, exec_lo, s17
	s_and_saveexec_b32 s17, s31
	s_cbranch_execnz .LBB186_631
.LBB186_563:                            ;   in Loop: Header=BB186_410 Depth=2
	s_or_b32 exec_lo, exec_lo, s17
	s_and_saveexec_b32 s17, s33
	s_cbranch_execz .LBB186_565
.LBB186_564:                            ;   in Loop: Header=BB186_410 Depth=2
	v_lshlrev_b32_e32 v62, 2, v115
	v_add_nc_u32_e32 v63, v2, v95
	ds_load_b32 v64, v62
	ds_load_b64 v[62:63], v63 offset:33280
	s_wait_dscnt 0x1
	v_add_nc_u32_e32 v64, v64, v82
	s_wait_dscnt 0x0
	global_store_b64 v64, v[62:63], s[46:47] scale_offset
.LBB186_565:                            ;   in Loop: Header=BB186_410 Depth=2
	s_wait_xcnt 0x0
	s_or_b32 exec_lo, exec_lo, s17
	s_wait_storecnt 0x0
	s_barrier_signal -1
	s_barrier_wait -1
	s_and_saveexec_b32 s17, s0
	s_cbranch_execz .LBB186_409
; %bb.566:                              ;   in Loop: Header=BB186_410 Depth=2
	ds_load_b32 v62, v66
	s_wait_dscnt 0x0
	v_add3_u32 v62, v132, v133, v62
	ds_store_b32 v66, v62
	s_branch .LBB186_409
.LBB186_567:                            ;   in Loop: Header=BB186_410 Depth=2
	ds_load_u8 v62, v2 offset:512
	s_wait_dscnt 0x0
	v_and_b32_e32 v63, 0xff, v62
	s_delay_alu instid0(VALU_DEP_1) | instskip(NEXT) | instid1(VALU_DEP_1)
	v_lshrrev_b32_e32 v63, s43, v63
	v_and_b32_e32 v63, s48, v63
	s_delay_alu instid0(VALU_DEP_1)
	v_lshlrev_b32_e32 v63, 2, v63
	ds_load_b32 v63, v63
	s_wait_dscnt 0x0
	v_add_nc_u32_e32 v63, v63, v2
	global_store_b8 v63, v62, s[40:41]
	s_wait_xcnt 0x0
	s_or_b32 exec_lo, exec_lo, s17
	v_cmp_lt_u32_e64 s17, v67, v134
	s_and_saveexec_b32 s18, s17
	s_cbranch_execz .LBB186_496
.LBB186_568:                            ;   in Loop: Header=BB186_410 Depth=2
	ds_load_u8 v62, v2 offset:768
	s_wait_dscnt 0x0
	v_and_b32_e32 v63, 0xff, v62
	s_delay_alu instid0(VALU_DEP_1) | instskip(NEXT) | instid1(VALU_DEP_1)
	v_lshrrev_b32_e32 v63, s43, v63
	v_and_b32_e32 v63, s48, v63
	s_delay_alu instid0(VALU_DEP_1)
	v_lshlrev_b32_e32 v63, 2, v63
	ds_load_b32 v63, v63
	s_wait_dscnt 0x0
	v_add_nc_u32_e32 v63, v63, v67
	global_store_b8 v63, v62, s[40:41]
	s_wait_xcnt 0x0
	s_or_b32 exec_lo, exec_lo, s18
	v_cmp_lt_u32_e64 s18, v68, v134
	s_and_saveexec_b32 s19, s18
	s_cbranch_execz .LBB186_497
.LBB186_569:                            ;   in Loop: Header=BB186_410 Depth=2
	ds_load_u8 v62, v2 offset:1024
	s_wait_dscnt 0x0
	v_and_b32_e32 v63, 0xff, v62
	s_delay_alu instid0(VALU_DEP_1) | instskip(NEXT) | instid1(VALU_DEP_1)
	v_lshrrev_b32_e32 v63, s43, v63
	v_and_b32_e32 v63, s48, v63
	s_delay_alu instid0(VALU_DEP_1)
	v_lshlrev_b32_e32 v63, 2, v63
	ds_load_b32 v63, v63
	s_wait_dscnt 0x0
	v_add_nc_u32_e32 v63, v63, v68
	global_store_b8 v63, v62, s[40:41]
	s_wait_xcnt 0x0
	s_or_b32 exec_lo, exec_lo, s19
	v_cmp_lt_u32_e64 s19, v69, v134
	s_and_saveexec_b32 s20, s19
	s_cbranch_execz .LBB186_498
.LBB186_570:                            ;   in Loop: Header=BB186_410 Depth=2
	ds_load_u8 v62, v2 offset:1280
	s_wait_dscnt 0x0
	v_and_b32_e32 v63, 0xff, v62
	s_delay_alu instid0(VALU_DEP_1) | instskip(NEXT) | instid1(VALU_DEP_1)
	v_lshrrev_b32_e32 v63, s43, v63
	v_and_b32_e32 v63, s48, v63
	s_delay_alu instid0(VALU_DEP_1)
	v_lshlrev_b32_e32 v63, 2, v63
	ds_load_b32 v63, v63
	s_wait_dscnt 0x0
	v_add_nc_u32_e32 v63, v63, v69
	global_store_b8 v63, v62, s[40:41]
	s_wait_xcnt 0x0
	s_or_b32 exec_lo, exec_lo, s20
	v_cmp_lt_u32_e64 s20, v70, v134
	s_and_saveexec_b32 s21, s20
	s_cbranch_execz .LBB186_499
.LBB186_571:                            ;   in Loop: Header=BB186_410 Depth=2
	ds_load_u8 v62, v2 offset:1536
	s_wait_dscnt 0x0
	v_and_b32_e32 v63, 0xff, v62
	s_delay_alu instid0(VALU_DEP_1) | instskip(NEXT) | instid1(VALU_DEP_1)
	v_lshrrev_b32_e32 v63, s43, v63
	v_and_b32_e32 v63, s48, v63
	s_delay_alu instid0(VALU_DEP_1)
	v_lshlrev_b32_e32 v63, 2, v63
	ds_load_b32 v63, v63
	s_wait_dscnt 0x0
	v_add_nc_u32_e32 v63, v63, v70
	global_store_b8 v63, v62, s[40:41]
	s_wait_xcnt 0x0
	s_or_b32 exec_lo, exec_lo, s21
	v_cmp_lt_u32_e64 s21, v71, v134
	s_and_saveexec_b32 s22, s21
	s_cbranch_execz .LBB186_500
.LBB186_572:                            ;   in Loop: Header=BB186_410 Depth=2
	ds_load_u8 v62, v2 offset:1792
	s_wait_dscnt 0x0
	v_and_b32_e32 v63, 0xff, v62
	s_delay_alu instid0(VALU_DEP_1) | instskip(NEXT) | instid1(VALU_DEP_1)
	v_lshrrev_b32_e32 v63, s43, v63
	v_and_b32_e32 v63, s48, v63
	s_delay_alu instid0(VALU_DEP_1)
	v_lshlrev_b32_e32 v63, 2, v63
	ds_load_b32 v63, v63
	s_wait_dscnt 0x0
	v_add_nc_u32_e32 v63, v63, v71
	global_store_b8 v63, v62, s[40:41]
	s_wait_xcnt 0x0
	s_or_b32 exec_lo, exec_lo, s22
	v_cmp_lt_u32_e64 s22, v72, v134
	s_and_saveexec_b32 s23, s22
	s_cbranch_execz .LBB186_501
.LBB186_573:                            ;   in Loop: Header=BB186_410 Depth=2
	ds_load_u8 v62, v2 offset:2048
	s_wait_dscnt 0x0
	v_and_b32_e32 v63, 0xff, v62
	s_delay_alu instid0(VALU_DEP_1) | instskip(NEXT) | instid1(VALU_DEP_1)
	v_lshrrev_b32_e32 v63, s43, v63
	v_and_b32_e32 v63, s48, v63
	s_delay_alu instid0(VALU_DEP_1)
	v_lshlrev_b32_e32 v63, 2, v63
	ds_load_b32 v63, v63
	s_wait_dscnt 0x0
	v_add_nc_u32_e32 v63, v63, v72
	global_store_b8 v63, v62, s[40:41]
	s_wait_xcnt 0x0
	s_or_b32 exec_lo, exec_lo, s23
	v_cmp_lt_u32_e64 s23, v73, v134
	s_and_saveexec_b32 s24, s23
	s_cbranch_execz .LBB186_502
.LBB186_574:                            ;   in Loop: Header=BB186_410 Depth=2
	ds_load_u8 v62, v2 offset:2304
	s_wait_dscnt 0x0
	v_and_b32_e32 v63, 0xff, v62
	s_delay_alu instid0(VALU_DEP_1) | instskip(NEXT) | instid1(VALU_DEP_1)
	v_lshrrev_b32_e32 v63, s43, v63
	v_and_b32_e32 v63, s48, v63
	s_delay_alu instid0(VALU_DEP_1)
	v_lshlrev_b32_e32 v63, 2, v63
	ds_load_b32 v63, v63
	s_wait_dscnt 0x0
	v_add_nc_u32_e32 v63, v63, v73
	global_store_b8 v63, v62, s[40:41]
	s_wait_xcnt 0x0
	s_or_b32 exec_lo, exec_lo, s24
	v_cmp_lt_u32_e64 s24, v74, v134
	s_and_saveexec_b32 s25, s24
	s_cbranch_execz .LBB186_503
.LBB186_575:                            ;   in Loop: Header=BB186_410 Depth=2
	ds_load_u8 v62, v2 offset:2560
	s_wait_dscnt 0x0
	v_and_b32_e32 v63, 0xff, v62
	s_delay_alu instid0(VALU_DEP_1) | instskip(NEXT) | instid1(VALU_DEP_1)
	v_lshrrev_b32_e32 v63, s43, v63
	v_and_b32_e32 v63, s48, v63
	s_delay_alu instid0(VALU_DEP_1)
	v_lshlrev_b32_e32 v63, 2, v63
	ds_load_b32 v63, v63
	s_wait_dscnt 0x0
	v_add_nc_u32_e32 v63, v63, v74
	global_store_b8 v63, v62, s[40:41]
	s_wait_xcnt 0x0
	s_or_b32 exec_lo, exec_lo, s25
	v_cmp_lt_u32_e64 s25, v75, v134
	s_and_saveexec_b32 s26, s25
	s_cbranch_execz .LBB186_504
.LBB186_576:                            ;   in Loop: Header=BB186_410 Depth=2
	ds_load_u8 v62, v2 offset:2816
	s_wait_dscnt 0x0
	v_and_b32_e32 v63, 0xff, v62
	s_delay_alu instid0(VALU_DEP_1) | instskip(NEXT) | instid1(VALU_DEP_1)
	v_lshrrev_b32_e32 v63, s43, v63
	v_and_b32_e32 v63, s48, v63
	s_delay_alu instid0(VALU_DEP_1)
	v_lshlrev_b32_e32 v63, 2, v63
	ds_load_b32 v63, v63
	s_wait_dscnt 0x0
	v_add_nc_u32_e32 v63, v63, v75
	global_store_b8 v63, v62, s[40:41]
	s_wait_xcnt 0x0
	s_or_b32 exec_lo, exec_lo, s26
	v_cmp_lt_u32_e64 s26, v76, v134
	s_and_saveexec_b32 s27, s26
	s_cbranch_execz .LBB186_505
.LBB186_577:                            ;   in Loop: Header=BB186_410 Depth=2
	ds_load_u8 v62, v2 offset:3072
	s_wait_dscnt 0x0
	v_and_b32_e32 v63, 0xff, v62
	s_delay_alu instid0(VALU_DEP_1) | instskip(NEXT) | instid1(VALU_DEP_1)
	v_lshrrev_b32_e32 v63, s43, v63
	v_and_b32_e32 v63, s48, v63
	s_delay_alu instid0(VALU_DEP_1)
	v_lshlrev_b32_e32 v63, 2, v63
	ds_load_b32 v63, v63
	s_wait_dscnt 0x0
	v_add_nc_u32_e32 v63, v63, v76
	global_store_b8 v63, v62, s[40:41]
	s_wait_xcnt 0x0
	s_or_b32 exec_lo, exec_lo, s27
	v_cmp_lt_u32_e64 s27, v77, v134
	s_and_saveexec_b32 s28, s27
	s_cbranch_execz .LBB186_506
.LBB186_578:                            ;   in Loop: Header=BB186_410 Depth=2
	ds_load_u8 v62, v2 offset:3328
	s_wait_dscnt 0x0
	v_and_b32_e32 v63, 0xff, v62
	s_delay_alu instid0(VALU_DEP_1) | instskip(NEXT) | instid1(VALU_DEP_1)
	v_lshrrev_b32_e32 v63, s43, v63
	v_and_b32_e32 v63, s48, v63
	s_delay_alu instid0(VALU_DEP_1)
	v_lshlrev_b32_e32 v63, 2, v63
	ds_load_b32 v63, v63
	s_wait_dscnt 0x0
	v_add_nc_u32_e32 v63, v63, v77
	global_store_b8 v63, v62, s[40:41]
	s_wait_xcnt 0x0
	s_or_b32 exec_lo, exec_lo, s28
	v_cmp_lt_u32_e64 s28, v78, v134
	s_and_saveexec_b32 s29, s28
	s_cbranch_execz .LBB186_507
.LBB186_579:                            ;   in Loop: Header=BB186_410 Depth=2
	ds_load_u8 v62, v2 offset:3584
	s_wait_dscnt 0x0
	v_and_b32_e32 v63, 0xff, v62
	s_delay_alu instid0(VALU_DEP_1) | instskip(NEXT) | instid1(VALU_DEP_1)
	v_lshrrev_b32_e32 v63, s43, v63
	v_and_b32_e32 v63, s48, v63
	s_delay_alu instid0(VALU_DEP_1)
	v_lshlrev_b32_e32 v63, 2, v63
	ds_load_b32 v63, v63
	s_wait_dscnt 0x0
	v_add_nc_u32_e32 v63, v63, v78
	global_store_b8 v63, v62, s[40:41]
	s_wait_xcnt 0x0
	s_or_b32 exec_lo, exec_lo, s29
	v_cmp_lt_u32_e64 s29, v79, v134
	s_and_saveexec_b32 s30, s29
	s_cbranch_execz .LBB186_508
.LBB186_580:                            ;   in Loop: Header=BB186_410 Depth=2
	ds_load_u8 v62, v2 offset:3840
	s_wait_dscnt 0x0
	v_and_b32_e32 v63, 0xff, v62
	s_delay_alu instid0(VALU_DEP_1) | instskip(NEXT) | instid1(VALU_DEP_1)
	v_lshrrev_b32_e32 v63, s43, v63
	v_and_b32_e32 v63, s48, v63
	s_delay_alu instid0(VALU_DEP_1)
	v_lshlrev_b32_e32 v63, 2, v63
	ds_load_b32 v63, v63
	s_wait_dscnt 0x0
	v_add_nc_u32_e32 v63, v63, v79
	global_store_b8 v63, v62, s[40:41]
	s_wait_xcnt 0x0
	s_or_b32 exec_lo, exec_lo, s30
	v_cmp_lt_u32_e64 s30, v80, v134
	s_and_saveexec_b32 s31, s30
	s_cbranch_execz .LBB186_509
.LBB186_581:                            ;   in Loop: Header=BB186_410 Depth=2
	ds_load_u8 v62, v2 offset:4096
	s_wait_dscnt 0x0
	v_and_b32_e32 v63, 0xff, v62
	s_delay_alu instid0(VALU_DEP_1) | instskip(NEXT) | instid1(VALU_DEP_1)
	v_lshrrev_b32_e32 v63, s43, v63
	v_and_b32_e32 v63, s48, v63
	s_delay_alu instid0(VALU_DEP_1)
	v_lshlrev_b32_e32 v63, 2, v63
	ds_load_b32 v63, v63
	s_wait_dscnt 0x0
	v_add_nc_u32_e32 v63, v63, v80
	global_store_b8 v63, v62, s[40:41]
	s_wait_xcnt 0x0
	s_or_b32 exec_lo, exec_lo, s31
	v_cmp_lt_u32_e64 s31, v81, v134
	s_and_saveexec_b32 s33, s31
	s_cbranch_execz .LBB186_510
.LBB186_582:                            ;   in Loop: Header=BB186_410 Depth=2
	ds_load_u8 v62, v2 offset:4352
	s_wait_dscnt 0x0
	v_and_b32_e32 v63, 0xff, v62
	s_delay_alu instid0(VALU_DEP_1) | instskip(NEXT) | instid1(VALU_DEP_1)
	v_lshrrev_b32_e32 v63, s43, v63
	v_and_b32_e32 v63, s48, v63
	s_delay_alu instid0(VALU_DEP_1)
	v_lshlrev_b32_e32 v63, 2, v63
	ds_load_b32 v63, v63
	s_wait_dscnt 0x0
	v_add_nc_u32_e32 v63, v63, v81
	global_store_b8 v63, v62, s[40:41]
	s_wait_xcnt 0x0
	s_or_b32 exec_lo, exec_lo, s33
	v_cmp_lt_u32_e64 s33, v82, v134
	s_and_saveexec_b32 s60, s33
	s_cbranch_execnz .LBB186_511
	s_branch .LBB186_512
.LBB186_583:                            ;   in Loop: Header=BB186_410 Depth=2
	global_load_b64 v[60:61], v[62:63], off
	s_wait_xcnt 0x0
	s_or_b32 exec_lo, exec_lo, s34
	s_delay_alu instid0(SALU_CYCLE_1)
	s_mov_b32 s60, exec_lo
	v_cmpx_lt_u32_e64 v98, v134
	s_cbranch_execz .LBB186_514
.LBB186_584:                            ;   in Loop: Header=BB186_410 Depth=2
	global_load_b64 v[58:59], v[62:63], off offset:256
	s_wait_xcnt 0x0
	s_or_b32 exec_lo, exec_lo, s60
	s_delay_alu instid0(SALU_CYCLE_1)
	s_mov_b32 s60, exec_lo
	v_cmpx_lt_u32_e64 v99, v134
	s_cbranch_execz .LBB186_515
.LBB186_585:                            ;   in Loop: Header=BB186_410 Depth=2
	global_load_b64 v[56:57], v[62:63], off offset:512
	s_wait_xcnt 0x0
	s_or_b32 exec_lo, exec_lo, s60
	s_delay_alu instid0(SALU_CYCLE_1)
	s_mov_b32 s60, exec_lo
	v_cmpx_lt_u32_e64 v100, v134
	s_cbranch_execz .LBB186_516
.LBB186_586:                            ;   in Loop: Header=BB186_410 Depth=2
	global_load_b64 v[54:55], v[62:63], off offset:768
	s_wait_xcnt 0x0
	s_or_b32 exec_lo, exec_lo, s60
	s_delay_alu instid0(SALU_CYCLE_1)
	s_mov_b32 s60, exec_lo
	v_cmpx_lt_u32_e64 v101, v134
	s_cbranch_execz .LBB186_517
.LBB186_587:                            ;   in Loop: Header=BB186_410 Depth=2
	global_load_b64 v[52:53], v[62:63], off offset:1024
	s_wait_xcnt 0x0
	s_or_b32 exec_lo, exec_lo, s60
	s_delay_alu instid0(SALU_CYCLE_1)
	s_mov_b32 s60, exec_lo
	v_cmpx_lt_u32_e64 v102, v134
	s_cbranch_execz .LBB186_518
.LBB186_588:                            ;   in Loop: Header=BB186_410 Depth=2
	global_load_b64 v[50:51], v[62:63], off offset:1280
	s_wait_xcnt 0x0
	s_or_b32 exec_lo, exec_lo, s60
	s_delay_alu instid0(SALU_CYCLE_1)
	s_mov_b32 s60, exec_lo
	v_cmpx_lt_u32_e64 v103, v134
	s_cbranch_execz .LBB186_519
.LBB186_589:                            ;   in Loop: Header=BB186_410 Depth=2
	global_load_b64 v[48:49], v[62:63], off offset:1536
	s_wait_xcnt 0x0
	s_or_b32 exec_lo, exec_lo, s60
	s_delay_alu instid0(SALU_CYCLE_1)
	s_mov_b32 s60, exec_lo
	v_cmpx_lt_u32_e64 v104, v134
	s_cbranch_execz .LBB186_520
.LBB186_590:                            ;   in Loop: Header=BB186_410 Depth=2
	global_load_b64 v[46:47], v[62:63], off offset:1792
	s_wait_xcnt 0x0
	s_or_b32 exec_lo, exec_lo, s60
	s_delay_alu instid0(SALU_CYCLE_1)
	s_mov_b32 s60, exec_lo
	v_cmpx_lt_u32_e64 v105, v134
	s_cbranch_execz .LBB186_521
.LBB186_591:                            ;   in Loop: Header=BB186_410 Depth=2
	global_load_b64 v[44:45], v[62:63], off offset:2048
	s_wait_xcnt 0x0
	s_or_b32 exec_lo, exec_lo, s60
	s_delay_alu instid0(SALU_CYCLE_1)
	s_mov_b32 s60, exec_lo
	v_cmpx_lt_u32_e64 v106, v134
	s_cbranch_execz .LBB186_522
.LBB186_592:                            ;   in Loop: Header=BB186_410 Depth=2
	global_load_b64 v[42:43], v[62:63], off offset:2304
	s_wait_xcnt 0x0
	s_or_b32 exec_lo, exec_lo, s60
	s_delay_alu instid0(SALU_CYCLE_1)
	s_mov_b32 s60, exec_lo
	v_cmpx_lt_u32_e64 v107, v134
	s_cbranch_execz .LBB186_523
.LBB186_593:                            ;   in Loop: Header=BB186_410 Depth=2
	global_load_b64 v[40:41], v[62:63], off offset:2560
	s_wait_xcnt 0x0
	s_or_b32 exec_lo, exec_lo, s60
	s_delay_alu instid0(SALU_CYCLE_1)
	s_mov_b32 s60, exec_lo
	v_cmpx_lt_u32_e64 v108, v134
	s_cbranch_execz .LBB186_524
.LBB186_594:                            ;   in Loop: Header=BB186_410 Depth=2
	global_load_b64 v[38:39], v[62:63], off offset:2816
	s_wait_xcnt 0x0
	s_or_b32 exec_lo, exec_lo, s60
	s_delay_alu instid0(SALU_CYCLE_1)
	s_mov_b32 s60, exec_lo
	v_cmpx_lt_u32_e64 v109, v134
	s_cbranch_execz .LBB186_525
.LBB186_595:                            ;   in Loop: Header=BB186_410 Depth=2
	global_load_b64 v[36:37], v[62:63], off offset:3072
	s_wait_xcnt 0x0
	s_or_b32 exec_lo, exec_lo, s60
	s_delay_alu instid0(SALU_CYCLE_1)
	s_mov_b32 s60, exec_lo
	v_cmpx_lt_u32_e64 v110, v134
	s_cbranch_execz .LBB186_526
.LBB186_596:                            ;   in Loop: Header=BB186_410 Depth=2
	global_load_b64 v[34:35], v[62:63], off offset:3328
	s_wait_xcnt 0x0
	s_or_b32 exec_lo, exec_lo, s60
	s_delay_alu instid0(SALU_CYCLE_1)
	s_mov_b32 s60, exec_lo
	v_cmpx_lt_u32_e64 v111, v134
	s_cbranch_execz .LBB186_527
.LBB186_597:                            ;   in Loop: Header=BB186_410 Depth=2
	global_load_b64 v[32:33], v[62:63], off offset:3584
	s_wait_xcnt 0x0
	s_or_b32 exec_lo, exec_lo, s60
	s_delay_alu instid0(SALU_CYCLE_1)
	s_mov_b32 s60, exec_lo
	v_cmpx_lt_u32_e64 v112, v134
	s_cbranch_execz .LBB186_528
.LBB186_598:                            ;   in Loop: Header=BB186_410 Depth=2
	global_load_b64 v[30:31], v[62:63], off offset:3840
	s_wait_xcnt 0x0
	s_or_b32 exec_lo, exec_lo, s60
	s_delay_alu instid0(SALU_CYCLE_1)
	s_mov_b32 s60, exec_lo
	v_cmpx_lt_u32_e64 v113, v134
	s_cbranch_execz .LBB186_529
.LBB186_599:                            ;   in Loop: Header=BB186_410 Depth=2
	global_load_b64 v[28:29], v[62:63], off offset:4096
	s_wait_xcnt 0x0
	s_or_b32 exec_lo, exec_lo, s60
	s_and_saveexec_b32 s34, vcc_lo
	s_cbranch_execz .LBB186_530
.LBB186_600:                            ;   in Loop: Header=BB186_410 Depth=2
	ds_load_u8 v62, v2 offset:512
	s_wait_dscnt 0x0
	v_lshrrev_b32_e32 v62, s43, v62
	s_delay_alu instid0(VALU_DEP_1)
	v_and_b32_e32 v131, s48, v62
	s_or_b32 exec_lo, exec_lo, s34
	s_and_saveexec_b32 s34, s17
	s_cbranch_execz .LBB186_531
.LBB186_601:                            ;   in Loop: Header=BB186_410 Depth=2
	ds_load_u8 v62, v2 offset:768
	s_wait_dscnt 0x0
	v_lshrrev_b32_e32 v62, s43, v62
	s_delay_alu instid0(VALU_DEP_1)
	v_and_b32_e32 v130, s48, v62
	s_or_b32 exec_lo, exec_lo, s34
	s_and_saveexec_b32 s34, s18
	s_cbranch_execz .LBB186_532
.LBB186_602:                            ;   in Loop: Header=BB186_410 Depth=2
	ds_load_u8 v62, v2 offset:1024
	s_wait_dscnt 0x0
	v_lshrrev_b32_e32 v62, s43, v62
	s_delay_alu instid0(VALU_DEP_1)
	v_and_b32_e32 v129, s48, v62
	s_or_b32 exec_lo, exec_lo, s34
	s_and_saveexec_b32 s34, s19
	s_cbranch_execz .LBB186_533
.LBB186_603:                            ;   in Loop: Header=BB186_410 Depth=2
	ds_load_u8 v62, v2 offset:1280
	s_wait_dscnt 0x0
	v_lshrrev_b32_e32 v62, s43, v62
	s_delay_alu instid0(VALU_DEP_1)
	v_and_b32_e32 v128, s48, v62
	s_or_b32 exec_lo, exec_lo, s34
	s_and_saveexec_b32 s34, s20
	s_cbranch_execz .LBB186_534
.LBB186_604:                            ;   in Loop: Header=BB186_410 Depth=2
	ds_load_u8 v62, v2 offset:1536
	s_wait_dscnt 0x0
	v_lshrrev_b32_e32 v62, s43, v62
	s_delay_alu instid0(VALU_DEP_1)
	v_and_b32_e32 v127, s48, v62
	s_or_b32 exec_lo, exec_lo, s34
	s_and_saveexec_b32 s34, s21
	s_cbranch_execz .LBB186_535
.LBB186_605:                            ;   in Loop: Header=BB186_410 Depth=2
	ds_load_u8 v62, v2 offset:1792
	s_wait_dscnt 0x0
	v_lshrrev_b32_e32 v62, s43, v62
	s_delay_alu instid0(VALU_DEP_1)
	v_and_b32_e32 v126, s48, v62
	s_or_b32 exec_lo, exec_lo, s34
	s_and_saveexec_b32 s34, s22
	s_cbranch_execz .LBB186_536
.LBB186_606:                            ;   in Loop: Header=BB186_410 Depth=2
	ds_load_u8 v62, v2 offset:2048
	s_wait_dscnt 0x0
	v_lshrrev_b32_e32 v62, s43, v62
	s_delay_alu instid0(VALU_DEP_1)
	v_and_b32_e32 v125, s48, v62
	s_or_b32 exec_lo, exec_lo, s34
	s_and_saveexec_b32 s34, s23
	s_cbranch_execz .LBB186_537
.LBB186_607:                            ;   in Loop: Header=BB186_410 Depth=2
	ds_load_u8 v62, v2 offset:2304
	s_wait_dscnt 0x0
	v_lshrrev_b32_e32 v62, s43, v62
	s_delay_alu instid0(VALU_DEP_1)
	v_and_b32_e32 v124, s48, v62
	s_or_b32 exec_lo, exec_lo, s34
	s_and_saveexec_b32 s34, s24
	s_cbranch_execz .LBB186_538
.LBB186_608:                            ;   in Loop: Header=BB186_410 Depth=2
	ds_load_u8 v62, v2 offset:2560
	s_wait_dscnt 0x0
	v_lshrrev_b32_e32 v62, s43, v62
	s_delay_alu instid0(VALU_DEP_1)
	v_and_b32_e32 v123, s48, v62
	s_or_b32 exec_lo, exec_lo, s34
	s_and_saveexec_b32 s34, s25
	s_cbranch_execz .LBB186_539
.LBB186_609:                            ;   in Loop: Header=BB186_410 Depth=2
	ds_load_u8 v62, v2 offset:2816
	s_wait_dscnt 0x0
	v_lshrrev_b32_e32 v62, s43, v62
	s_delay_alu instid0(VALU_DEP_1)
	v_and_b32_e32 v122, s48, v62
	s_or_b32 exec_lo, exec_lo, s34
	s_and_saveexec_b32 s34, s26
	s_cbranch_execz .LBB186_540
.LBB186_610:                            ;   in Loop: Header=BB186_410 Depth=2
	ds_load_u8 v62, v2 offset:3072
	s_wait_dscnt 0x0
	v_lshrrev_b32_e32 v62, s43, v62
	s_delay_alu instid0(VALU_DEP_1)
	v_and_b32_e32 v121, s48, v62
	s_or_b32 exec_lo, exec_lo, s34
	s_and_saveexec_b32 s34, s27
	s_cbranch_execz .LBB186_541
.LBB186_611:                            ;   in Loop: Header=BB186_410 Depth=2
	ds_load_u8 v62, v2 offset:3328
	s_wait_dscnt 0x0
	v_lshrrev_b32_e32 v62, s43, v62
	s_delay_alu instid0(VALU_DEP_1)
	v_and_b32_e32 v120, s48, v62
	s_or_b32 exec_lo, exec_lo, s34
	s_and_saveexec_b32 s34, s28
	s_cbranch_execz .LBB186_542
.LBB186_612:                            ;   in Loop: Header=BB186_410 Depth=2
	ds_load_u8 v62, v2 offset:3584
	s_wait_dscnt 0x0
	v_lshrrev_b32_e32 v62, s43, v62
	s_delay_alu instid0(VALU_DEP_1)
	v_and_b32_e32 v119, s48, v62
	s_or_b32 exec_lo, exec_lo, s34
	s_and_saveexec_b32 s34, s29
	s_cbranch_execz .LBB186_543
.LBB186_613:                            ;   in Loop: Header=BB186_410 Depth=2
	ds_load_u8 v62, v2 offset:3840
	s_wait_dscnt 0x0
	v_lshrrev_b32_e32 v62, s43, v62
	s_delay_alu instid0(VALU_DEP_1)
	v_and_b32_e32 v118, s48, v62
	s_or_b32 exec_lo, exec_lo, s34
	s_and_saveexec_b32 s34, s30
	s_cbranch_execz .LBB186_544
.LBB186_614:                            ;   in Loop: Header=BB186_410 Depth=2
	ds_load_u8 v62, v2 offset:4096
	s_wait_dscnt 0x0
	v_lshrrev_b32_e32 v62, s43, v62
	s_delay_alu instid0(VALU_DEP_1)
	v_and_b32_e32 v117, s48, v62
	s_or_b32 exec_lo, exec_lo, s34
	s_and_saveexec_b32 s34, s31
	s_cbranch_execz .LBB186_545
.LBB186_615:                            ;   in Loop: Header=BB186_410 Depth=2
	ds_load_u8 v62, v2 offset:4352
	s_wait_dscnt 0x0
	v_lshrrev_b32_e32 v62, s43, v62
	s_delay_alu instid0(VALU_DEP_1)
	v_and_b32_e32 v116, s48, v62
	s_or_b32 exec_lo, exec_lo, s34
	s_and_saveexec_b32 s34, s33
	s_cbranch_execnz .LBB186_546
	s_branch .LBB186_547
.LBB186_616:                            ;   in Loop: Header=BB186_410 Depth=2
	v_lshlrev_b32_e32 v62, 2, v131
	v_add_nc_u32_e32 v63, v2, v95
	ds_load_b32 v64, v62
	ds_load_b64 v[62:63], v63 offset:512
	s_wait_dscnt 0x1
	v_add_nc_u32_e32 v64, v64, v2
	s_wait_dscnt 0x0
	global_store_b64 v64, v[62:63], s[46:47] scale_offset
	s_wait_xcnt 0x0
	s_or_b32 exec_lo, exec_lo, s34
	s_and_saveexec_b32 s34, s17
	s_cbranch_execz .LBB186_549
.LBB186_617:                            ;   in Loop: Header=BB186_410 Depth=2
	v_dual_lshlrev_b32 v62, 2, v130 :: v_dual_add_nc_u32 v63, v2, v95
	ds_load_b32 v64, v62
	ds_load_b64 v[62:63], v63 offset:2560
	s_wait_dscnt 0x1
	v_add_nc_u32_e32 v64, v64, v67
	s_wait_dscnt 0x0
	global_store_b64 v64, v[62:63], s[46:47] scale_offset
	s_wait_xcnt 0x0
	s_or_b32 exec_lo, exec_lo, s34
	s_and_saveexec_b32 s17, s18
	s_cbranch_execz .LBB186_550
.LBB186_618:                            ;   in Loop: Header=BB186_410 Depth=2
	v_dual_lshlrev_b32 v62, 2, v129 :: v_dual_add_nc_u32 v63, v2, v95
	ds_load_b32 v64, v62
	ds_load_b64 v[62:63], v63 offset:4608
	s_wait_dscnt 0x1
	v_add_nc_u32_e32 v64, v64, v68
	s_wait_dscnt 0x0
	global_store_b64 v64, v[62:63], s[46:47] scale_offset
	s_wait_xcnt 0x0
	s_or_b32 exec_lo, exec_lo, s17
	s_and_saveexec_b32 s17, s19
	s_cbranch_execz .LBB186_551
.LBB186_619:                            ;   in Loop: Header=BB186_410 Depth=2
	v_dual_lshlrev_b32 v62, 2, v128 :: v_dual_add_nc_u32 v63, v2, v95
	ds_load_b32 v64, v62
	ds_load_b64 v[62:63], v63 offset:6656
	s_wait_dscnt 0x1
	v_add_nc_u32_e32 v64, v64, v69
	s_wait_dscnt 0x0
	global_store_b64 v64, v[62:63], s[46:47] scale_offset
	s_wait_xcnt 0x0
	s_or_b32 exec_lo, exec_lo, s17
	s_and_saveexec_b32 s17, s20
	s_cbranch_execz .LBB186_552
.LBB186_620:                            ;   in Loop: Header=BB186_410 Depth=2
	v_lshlrev_b32_e32 v62, 2, v127
	v_add_nc_u32_e32 v63, v2, v95
	ds_load_b32 v64, v62
	ds_load_b64 v[62:63], v63 offset:8704
	s_wait_dscnt 0x1
	v_add_nc_u32_e32 v64, v64, v70
	s_wait_dscnt 0x0
	global_store_b64 v64, v[62:63], s[46:47] scale_offset
	s_wait_xcnt 0x0
	s_or_b32 exec_lo, exec_lo, s17
	s_and_saveexec_b32 s17, s21
	s_cbranch_execz .LBB186_553
.LBB186_621:                            ;   in Loop: Header=BB186_410 Depth=2
	v_dual_lshlrev_b32 v62, 2, v126 :: v_dual_add_nc_u32 v63, v2, v95
	ds_load_b32 v64, v62
	ds_load_b64 v[62:63], v63 offset:10752
	s_wait_dscnt 0x1
	v_add_nc_u32_e32 v64, v64, v71
	s_wait_dscnt 0x0
	global_store_b64 v64, v[62:63], s[46:47] scale_offset
	s_wait_xcnt 0x0
	s_or_b32 exec_lo, exec_lo, s17
	s_and_saveexec_b32 s17, s22
	s_cbranch_execz .LBB186_554
.LBB186_622:                            ;   in Loop: Header=BB186_410 Depth=2
	v_dual_lshlrev_b32 v62, 2, v125 :: v_dual_add_nc_u32 v63, v2, v95
	ds_load_b32 v64, v62
	ds_load_b64 v[62:63], v63 offset:12800
	s_wait_dscnt 0x1
	v_add_nc_u32_e32 v64, v64, v72
	s_wait_dscnt 0x0
	global_store_b64 v64, v[62:63], s[46:47] scale_offset
	s_wait_xcnt 0x0
	s_or_b32 exec_lo, exec_lo, s17
	s_and_saveexec_b32 s17, s23
	s_cbranch_execz .LBB186_555
.LBB186_623:                            ;   in Loop: Header=BB186_410 Depth=2
	v_dual_lshlrev_b32 v62, 2, v124 :: v_dual_add_nc_u32 v63, v2, v95
	ds_load_b32 v64, v62
	ds_load_b64 v[62:63], v63 offset:14848
	s_wait_dscnt 0x1
	v_add_nc_u32_e32 v64, v64, v73
	s_wait_dscnt 0x0
	global_store_b64 v64, v[62:63], s[46:47] scale_offset
	s_wait_xcnt 0x0
	s_or_b32 exec_lo, exec_lo, s17
	s_and_saveexec_b32 s17, s24
	s_cbranch_execz .LBB186_556
.LBB186_624:                            ;   in Loop: Header=BB186_410 Depth=2
	v_lshlrev_b32_e32 v62, 2, v123
	v_add_nc_u32_e32 v63, v2, v95
	ds_load_b32 v64, v62
	ds_load_b64 v[62:63], v63 offset:16896
	s_wait_dscnt 0x1
	v_add_nc_u32_e32 v64, v64, v74
	s_wait_dscnt 0x0
	global_store_b64 v64, v[62:63], s[46:47] scale_offset
	s_wait_xcnt 0x0
	s_or_b32 exec_lo, exec_lo, s17
	s_and_saveexec_b32 s17, s25
	s_cbranch_execz .LBB186_557
.LBB186_625:                            ;   in Loop: Header=BB186_410 Depth=2
	v_dual_lshlrev_b32 v62, 2, v122 :: v_dual_add_nc_u32 v63, v2, v95
	ds_load_b32 v64, v62
	ds_load_b64 v[62:63], v63 offset:18944
	s_wait_dscnt 0x1
	v_add_nc_u32_e32 v64, v64, v75
	s_wait_dscnt 0x0
	global_store_b64 v64, v[62:63], s[46:47] scale_offset
	s_wait_xcnt 0x0
	s_or_b32 exec_lo, exec_lo, s17
	s_and_saveexec_b32 s17, s26
	s_cbranch_execz .LBB186_558
.LBB186_626:                            ;   in Loop: Header=BB186_410 Depth=2
	v_dual_lshlrev_b32 v62, 2, v121 :: v_dual_add_nc_u32 v63, v2, v95
	ds_load_b32 v64, v62
	ds_load_b64 v[62:63], v63 offset:20992
	s_wait_dscnt 0x1
	v_add_nc_u32_e32 v64, v64, v76
	s_wait_dscnt 0x0
	global_store_b64 v64, v[62:63], s[46:47] scale_offset
	s_wait_xcnt 0x0
	s_or_b32 exec_lo, exec_lo, s17
	s_and_saveexec_b32 s17, s27
	s_cbranch_execz .LBB186_559
.LBB186_627:                            ;   in Loop: Header=BB186_410 Depth=2
	v_dual_lshlrev_b32 v62, 2, v120 :: v_dual_add_nc_u32 v63, v2, v95
	ds_load_b32 v64, v62
	ds_load_b64 v[62:63], v63 offset:23040
	s_wait_dscnt 0x1
	v_add_nc_u32_e32 v64, v64, v77
	s_wait_dscnt 0x0
	global_store_b64 v64, v[62:63], s[46:47] scale_offset
	s_wait_xcnt 0x0
	s_or_b32 exec_lo, exec_lo, s17
	s_and_saveexec_b32 s17, s28
	s_cbranch_execz .LBB186_560
.LBB186_628:                            ;   in Loop: Header=BB186_410 Depth=2
	v_lshlrev_b32_e32 v62, 2, v119
	v_add_nc_u32_e32 v63, v2, v95
	ds_load_b32 v64, v62
	ds_load_b64 v[62:63], v63 offset:25088
	s_wait_dscnt 0x1
	v_add_nc_u32_e32 v64, v64, v78
	s_wait_dscnt 0x0
	global_store_b64 v64, v[62:63], s[46:47] scale_offset
	s_wait_xcnt 0x0
	s_or_b32 exec_lo, exec_lo, s17
	s_and_saveexec_b32 s17, s29
	s_cbranch_execz .LBB186_561
.LBB186_629:                            ;   in Loop: Header=BB186_410 Depth=2
	v_dual_lshlrev_b32 v62, 2, v118 :: v_dual_add_nc_u32 v63, v2, v95
	ds_load_b32 v64, v62
	ds_load_b64 v[62:63], v63 offset:27136
	s_wait_dscnt 0x1
	v_add_nc_u32_e32 v64, v64, v79
	s_wait_dscnt 0x0
	global_store_b64 v64, v[62:63], s[46:47] scale_offset
	s_wait_xcnt 0x0
	s_or_b32 exec_lo, exec_lo, s17
	s_and_saveexec_b32 s17, s30
	s_cbranch_execz .LBB186_562
.LBB186_630:                            ;   in Loop: Header=BB186_410 Depth=2
	v_dual_lshlrev_b32 v62, 2, v117 :: v_dual_add_nc_u32 v63, v2, v95
	ds_load_b32 v64, v62
	ds_load_b64 v[62:63], v63 offset:29184
	s_wait_dscnt 0x1
	v_add_nc_u32_e32 v64, v64, v80
	s_wait_dscnt 0x0
	global_store_b64 v64, v[62:63], s[46:47] scale_offset
	s_wait_xcnt 0x0
	s_or_b32 exec_lo, exec_lo, s17
	s_and_saveexec_b32 s17, s31
	s_cbranch_execz .LBB186_563
.LBB186_631:                            ;   in Loop: Header=BB186_410 Depth=2
	v_dual_lshlrev_b32 v62, 2, v116 :: v_dual_add_nc_u32 v63, v2, v95
	ds_load_b32 v64, v62
	ds_load_b64 v[62:63], v63 offset:31232
	s_wait_dscnt 0x1
	v_add_nc_u32_e32 v64, v64, v81
	s_wait_dscnt 0x0
	global_store_b64 v64, v[62:63], s[46:47] scale_offset
	s_wait_xcnt 0x0
	s_or_b32 exec_lo, exec_lo, s17
	s_and_saveexec_b32 s17, s33
	s_cbranch_execnz .LBB186_564
	s_branch .LBB186_565
.LBB186_632:                            ;   in Loop: Header=BB186_12 Depth=1
	s_wait_dscnt 0x0
	s_barrier_signal -1
	s_barrier_wait -1
.LBB186_633:                            ;   in Loop: Header=BB186_12 Depth=1
	s_mov_b32 s8, 0
.LBB186_634:                            ;   in Loop: Header=BB186_12 Depth=1
	s_delay_alu instid0(SALU_CYCLE_1)
	s_and_not1_b32 vcc_lo, exec_lo, s8
	s_cbranch_vccnz .LBB186_11
; %bb.635:                              ;   in Loop: Header=BB186_12 Depth=1
	s_and_b32 vcc_lo, exec_lo, s56
	s_mov_b32 s8, -1
	s_cbranch_vccz .LBB186_945
; %bb.636:                              ;   in Loop: Header=BB186_12 Depth=1
	v_dual_mov_b32 v39, 0 :: v_dual_mov_b32 v42, 0
	v_dual_mov_b32 v41, 0 :: v_dual_mov_b32 v40, 0
	;; [unrolled: 1-line block ×8, first 2 shown]
	v_mov_b32_e32 v26, 0
	s_mov_b32 s8, s57
	s_mov_b32 s34, s55
	s_barrier_signal -1
	s_barrier_wait -1
	s_branch .LBB186_638
.LBB186_637:                            ;   in Loop: Header=BB186_638 Depth=2
	s_or_b32 exec_lo, exec_lo, s10
	s_addk_co_i32 s8, 0xef00
	s_cmp_ge_u32 s9, s54
	s_mov_b32 s34, s9
	s_cbranch_scc1 .LBB186_710
.LBB186_638:                            ;   Parent Loop BB186_12 Depth=1
                                        ; =>  This Inner Loop Header: Depth=2
	s_add_co_i32 s9, s34, 0x1100
	s_mov_b32 s10, -1
	s_cmp_gt_u32 s9, s54
                                        ; implicit-def: $vgpr24
                                        ; implicit-def: $vgpr25
                                        ; implicit-def: $vgpr43
                                        ; implicit-def: $vgpr44
                                        ; implicit-def: $vgpr45
                                        ; implicit-def: $vgpr46
                                        ; implicit-def: $vgpr47
                                        ; implicit-def: $vgpr48
                                        ; implicit-def: $vgpr49
                                        ; implicit-def: $vgpr50
                                        ; implicit-def: $vgpr51
                                        ; implicit-def: $vgpr52
                                        ; implicit-def: $vgpr53
                                        ; implicit-def: $vgpr54
                                        ; implicit-def: $vgpr55
                                        ; implicit-def: $vgpr56
                                        ; implicit-def: $vgpr57
	s_cbranch_scc1 .LBB186_640
; %bb.639:                              ;   in Loop: Header=BB186_638 Depth=2
	v_add_nc_u64_e32 v[58:59], s[34:35], v[18:19]
	s_mov_b32 s10, 0
	s_clause 0x10
	global_load_u8 v57, v[58:59], off offset:4096
	global_load_u8 v56, v[58:59], off offset:3840
	;; [unrolled: 1-line block ×16, first 2 shown]
	global_load_u8 v24, v[58:59], off
.LBB186_640:                            ;   in Loop: Header=BB186_638 Depth=2
	s_and_not1_b32 vcc_lo, exec_lo, s10
	s_movk_i32 s10, 0x1100
	s_cbranch_vccnz .LBB186_660
; %bb.641:                              ;   in Loop: Header=BB186_638 Depth=2
	s_add_nc_u64 s[10:11], s[36:37], s[34:35]
	s_wait_loadcnt 0x0
	v_add_nc_u64_e32 v[24:25], s[10:11], v[2:3]
	s_mov_b32 s10, exec_lo
	s_wait_xcnt 0x0
	v_cmpx_gt_u32_e64 s8, v2
	s_cbranch_execnz .LBB186_694
; %bb.642:                              ;   in Loop: Header=BB186_638 Depth=2
	s_or_b32 exec_lo, exec_lo, s10
	s_delay_alu instid0(SALU_CYCLE_1)
	s_mov_b32 s10, exec_lo
	v_cmpx_gt_u32_e64 s8, v67
	s_cbranch_execnz .LBB186_695
.LBB186_643:                            ;   in Loop: Header=BB186_638 Depth=2
	s_or_b32 exec_lo, exec_lo, s10
	s_delay_alu instid0(SALU_CYCLE_1)
	s_mov_b32 s10, exec_lo
	v_cmpx_gt_u32_e64 s8, v68
	s_cbranch_execnz .LBB186_696
.LBB186_644:                            ;   in Loop: Header=BB186_638 Depth=2
	s_or_b32 exec_lo, exec_lo, s10
	s_delay_alu instid0(SALU_CYCLE_1)
	s_mov_b32 s10, exec_lo
	v_cmpx_gt_u32_e64 s8, v69
	s_cbranch_execnz .LBB186_697
.LBB186_645:                            ;   in Loop: Header=BB186_638 Depth=2
	s_or_b32 exec_lo, exec_lo, s10
	s_delay_alu instid0(SALU_CYCLE_1)
	s_mov_b32 s10, exec_lo
	v_cmpx_gt_u32_e64 s8, v70
	s_cbranch_execnz .LBB186_698
.LBB186_646:                            ;   in Loop: Header=BB186_638 Depth=2
	s_or_b32 exec_lo, exec_lo, s10
	s_delay_alu instid0(SALU_CYCLE_1)
	s_mov_b32 s10, exec_lo
	v_cmpx_gt_u32_e64 s8, v71
	s_cbranch_execnz .LBB186_699
.LBB186_647:                            ;   in Loop: Header=BB186_638 Depth=2
	s_or_b32 exec_lo, exec_lo, s10
	s_delay_alu instid0(SALU_CYCLE_1)
	s_mov_b32 s10, exec_lo
	v_cmpx_gt_u32_e64 s8, v72
	s_cbranch_execnz .LBB186_700
.LBB186_648:                            ;   in Loop: Header=BB186_638 Depth=2
	s_or_b32 exec_lo, exec_lo, s10
	s_delay_alu instid0(SALU_CYCLE_1)
	s_mov_b32 s10, exec_lo
	v_cmpx_gt_u32_e64 s8, v73
	s_cbranch_execnz .LBB186_701
.LBB186_649:                            ;   in Loop: Header=BB186_638 Depth=2
	s_or_b32 exec_lo, exec_lo, s10
	s_delay_alu instid0(SALU_CYCLE_1)
	s_mov_b32 s10, exec_lo
	v_cmpx_gt_u32_e64 s8, v74
	s_cbranch_execnz .LBB186_702
.LBB186_650:                            ;   in Loop: Header=BB186_638 Depth=2
	s_or_b32 exec_lo, exec_lo, s10
	s_delay_alu instid0(SALU_CYCLE_1)
	s_mov_b32 s10, exec_lo
	v_cmpx_gt_u32_e64 s8, v75
	s_cbranch_execnz .LBB186_703
.LBB186_651:                            ;   in Loop: Header=BB186_638 Depth=2
	s_or_b32 exec_lo, exec_lo, s10
	s_delay_alu instid0(SALU_CYCLE_1)
	s_mov_b32 s10, exec_lo
	v_cmpx_gt_u32_e64 s8, v76
	s_cbranch_execnz .LBB186_704
.LBB186_652:                            ;   in Loop: Header=BB186_638 Depth=2
	s_or_b32 exec_lo, exec_lo, s10
	s_delay_alu instid0(SALU_CYCLE_1)
	s_mov_b32 s10, exec_lo
	v_cmpx_gt_u32_e64 s8, v77
	s_cbranch_execnz .LBB186_705
.LBB186_653:                            ;   in Loop: Header=BB186_638 Depth=2
	s_or_b32 exec_lo, exec_lo, s10
	s_delay_alu instid0(SALU_CYCLE_1)
	s_mov_b32 s10, exec_lo
	v_cmpx_gt_u32_e64 s8, v78
	s_cbranch_execnz .LBB186_706
.LBB186_654:                            ;   in Loop: Header=BB186_638 Depth=2
	s_or_b32 exec_lo, exec_lo, s10
	s_delay_alu instid0(SALU_CYCLE_1)
	s_mov_b32 s10, exec_lo
	v_cmpx_gt_u32_e64 s8, v79
	s_cbranch_execnz .LBB186_707
.LBB186_655:                            ;   in Loop: Header=BB186_638 Depth=2
	s_or_b32 exec_lo, exec_lo, s10
	s_delay_alu instid0(SALU_CYCLE_1)
	s_mov_b32 s10, exec_lo
	v_cmpx_gt_u32_e64 s8, v80
	s_cbranch_execnz .LBB186_708
.LBB186_656:                            ;   in Loop: Header=BB186_638 Depth=2
	s_or_b32 exec_lo, exec_lo, s10
	s_delay_alu instid0(SALU_CYCLE_1)
	s_mov_b32 s10, exec_lo
	v_cmpx_gt_u32_e64 s8, v81
	s_cbranch_execnz .LBB186_709
.LBB186_657:                            ;   in Loop: Header=BB186_638 Depth=2
	s_or_b32 exec_lo, exec_lo, s10
	s_delay_alu instid0(SALU_CYCLE_1)
	s_mov_b32 s10, exec_lo
	v_cmpx_gt_u32_e64 s8, v82
	s_cbranch_execz .LBB186_659
.LBB186_658:                            ;   in Loop: Header=BB186_638 Depth=2
	global_load_u8 v26, v[24:25], off offset:4096
.LBB186_659:                            ;   in Loop: Header=BB186_638 Depth=2
	s_wait_xcnt 0x0
	s_or_b32 exec_lo, exec_lo, s10
	s_wait_loadcnt 0x0
	v_dual_mov_b32 v24, v39 :: v_dual_mov_b32 v25, v42
	v_dual_mov_b32 v43, v41 :: v_dual_mov_b32 v44, v40
	;; [unrolled: 1-line block ×8, first 2 shown]
	v_mov_b32_e32 v57, v26
	s_mov_b32 s10, s8
.LBB186_660:                            ;   in Loop: Header=BB186_638 Depth=2
	s_wait_loadcnt 0xf
	s_delay_alu instid0(VALU_DEP_1)
	v_dual_mov_b32 v26, v57 :: v_dual_mov_b32 v27, v56
	s_wait_loadcnt 0xd
	v_dual_mov_b32 v28, v55 :: v_dual_mov_b32 v29, v54
	s_wait_loadcnt 0xb
	;; [unrolled: 2-line block ×8, first 2 shown]
	v_mov_b32_e32 v39, v24
	s_mov_b32 s11, exec_lo
	s_wait_xcnt 0x0
	v_cmpx_gt_u32_e64 s10, v2
	s_cbranch_execnz .LBB186_677
; %bb.661:                              ;   in Loop: Header=BB186_638 Depth=2
	s_or_b32 exec_lo, exec_lo, s11
	s_delay_alu instid0(SALU_CYCLE_1)
	s_mov_b32 s11, exec_lo
	v_cmpx_gt_u32_e64 s10, v67
	s_cbranch_execnz .LBB186_678
.LBB186_662:                            ;   in Loop: Header=BB186_638 Depth=2
	s_or_b32 exec_lo, exec_lo, s11
	s_delay_alu instid0(SALU_CYCLE_1)
	s_mov_b32 s11, exec_lo
	v_cmpx_gt_u32_e64 s10, v68
	s_cbranch_execnz .LBB186_679
.LBB186_663:                            ;   in Loop: Header=BB186_638 Depth=2
	s_or_b32 exec_lo, exec_lo, s11
	s_delay_alu instid0(SALU_CYCLE_1)
	s_mov_b32 s11, exec_lo
	v_cmpx_gt_u32_e64 s10, v69
	s_cbranch_execnz .LBB186_680
.LBB186_664:                            ;   in Loop: Header=BB186_638 Depth=2
	s_or_b32 exec_lo, exec_lo, s11
	s_delay_alu instid0(SALU_CYCLE_1)
	s_mov_b32 s11, exec_lo
	v_cmpx_gt_u32_e64 s10, v70
	s_cbranch_execnz .LBB186_681
.LBB186_665:                            ;   in Loop: Header=BB186_638 Depth=2
	s_or_b32 exec_lo, exec_lo, s11
	s_delay_alu instid0(SALU_CYCLE_1)
	s_mov_b32 s11, exec_lo
	v_cmpx_gt_u32_e64 s10, v71
	s_cbranch_execnz .LBB186_682
.LBB186_666:                            ;   in Loop: Header=BB186_638 Depth=2
	s_or_b32 exec_lo, exec_lo, s11
	s_delay_alu instid0(SALU_CYCLE_1)
	s_mov_b32 s11, exec_lo
	v_cmpx_gt_u32_e64 s10, v72
	s_cbranch_execnz .LBB186_683
.LBB186_667:                            ;   in Loop: Header=BB186_638 Depth=2
	s_or_b32 exec_lo, exec_lo, s11
	s_delay_alu instid0(SALU_CYCLE_1)
	s_mov_b32 s11, exec_lo
	v_cmpx_gt_u32_e64 s10, v73
	s_cbranch_execnz .LBB186_684
.LBB186_668:                            ;   in Loop: Header=BB186_638 Depth=2
	s_or_b32 exec_lo, exec_lo, s11
	s_delay_alu instid0(SALU_CYCLE_1)
	s_mov_b32 s11, exec_lo
	v_cmpx_gt_u32_e64 s10, v74
	s_cbranch_execnz .LBB186_685
.LBB186_669:                            ;   in Loop: Header=BB186_638 Depth=2
	s_or_b32 exec_lo, exec_lo, s11
	s_delay_alu instid0(SALU_CYCLE_1)
	s_mov_b32 s11, exec_lo
	v_cmpx_gt_u32_e64 s10, v75
	s_cbranch_execnz .LBB186_686
.LBB186_670:                            ;   in Loop: Header=BB186_638 Depth=2
	s_or_b32 exec_lo, exec_lo, s11
	s_delay_alu instid0(SALU_CYCLE_1)
	s_mov_b32 s11, exec_lo
	v_cmpx_gt_u32_e64 s10, v76
	s_cbranch_execnz .LBB186_687
.LBB186_671:                            ;   in Loop: Header=BB186_638 Depth=2
	s_or_b32 exec_lo, exec_lo, s11
	s_delay_alu instid0(SALU_CYCLE_1)
	s_mov_b32 s11, exec_lo
	v_cmpx_gt_u32_e64 s10, v77
	s_cbranch_execnz .LBB186_688
.LBB186_672:                            ;   in Loop: Header=BB186_638 Depth=2
	s_or_b32 exec_lo, exec_lo, s11
	s_delay_alu instid0(SALU_CYCLE_1)
	s_mov_b32 s11, exec_lo
	v_cmpx_gt_u32_e64 s10, v78
	s_cbranch_execnz .LBB186_689
.LBB186_673:                            ;   in Loop: Header=BB186_638 Depth=2
	s_or_b32 exec_lo, exec_lo, s11
	s_delay_alu instid0(SALU_CYCLE_1)
	s_mov_b32 s11, exec_lo
	v_cmpx_gt_u32_e64 s10, v79
	s_cbranch_execnz .LBB186_690
.LBB186_674:                            ;   in Loop: Header=BB186_638 Depth=2
	s_or_b32 exec_lo, exec_lo, s11
	s_delay_alu instid0(SALU_CYCLE_1)
	s_mov_b32 s11, exec_lo
	v_cmpx_gt_u32_e64 s10, v80
	s_cbranch_execnz .LBB186_691
.LBB186_675:                            ;   in Loop: Header=BB186_638 Depth=2
	s_or_b32 exec_lo, exec_lo, s11
	s_delay_alu instid0(SALU_CYCLE_1)
	s_mov_b32 s11, exec_lo
	v_cmpx_gt_u32_e64 s10, v81
	s_cbranch_execnz .LBB186_692
.LBB186_676:                            ;   in Loop: Header=BB186_638 Depth=2
	s_or_b32 exec_lo, exec_lo, s11
	v_cmp_gt_u32_e32 vcc_lo, s10, v82
	s_and_saveexec_b32 s10, vcc_lo
	s_cbranch_execz .LBB186_637
	s_branch .LBB186_693
.LBB186_677:                            ;   in Loop: Header=BB186_638 Depth=2
	v_and_b32_e32 v24, 0xff, v39
	s_delay_alu instid0(VALU_DEP_1) | instskip(NEXT) | instid1(VALU_DEP_1)
	v_lshrrev_b32_e32 v24, s49, v24
	v_and_b32_e32 v24, s48, v24
	s_delay_alu instid0(VALU_DEP_1) | instskip(SKIP_2) | instid1(SALU_CYCLE_1)
	v_lshl_or_b32 v24, v24, 4, v84
	ds_add_u32 v24, v7
	s_or_b32 exec_lo, exec_lo, s11
	s_mov_b32 s11, exec_lo
	v_cmpx_gt_u32_e64 s10, v67
	s_cbranch_execz .LBB186_662
.LBB186_678:                            ;   in Loop: Header=BB186_638 Depth=2
	v_and_b32_e32 v24, 0xff, v42
	s_delay_alu instid0(VALU_DEP_1) | instskip(NEXT) | instid1(VALU_DEP_1)
	v_lshrrev_b32_e32 v24, s49, v24
	v_and_b32_e32 v24, s48, v24
	s_delay_alu instid0(VALU_DEP_1) | instskip(SKIP_2) | instid1(SALU_CYCLE_1)
	v_lshl_or_b32 v24, v24, 4, v84
	ds_add_u32 v24, v7
	s_or_b32 exec_lo, exec_lo, s11
	s_mov_b32 s11, exec_lo
	v_cmpx_gt_u32_e64 s10, v68
	s_cbranch_execz .LBB186_663
.LBB186_679:                            ;   in Loop: Header=BB186_638 Depth=2
	v_and_b32_e32 v24, 0xff, v41
	s_delay_alu instid0(VALU_DEP_1) | instskip(NEXT) | instid1(VALU_DEP_1)
	v_lshrrev_b32_e32 v24, s49, v24
	v_and_b32_e32 v24, s48, v24
	s_delay_alu instid0(VALU_DEP_1) | instskip(SKIP_2) | instid1(SALU_CYCLE_1)
	v_lshl_or_b32 v24, v24, 4, v84
	ds_add_u32 v24, v7
	s_or_b32 exec_lo, exec_lo, s11
	s_mov_b32 s11, exec_lo
	v_cmpx_gt_u32_e64 s10, v69
	s_cbranch_execz .LBB186_664
.LBB186_680:                            ;   in Loop: Header=BB186_638 Depth=2
	v_and_b32_e32 v24, 0xff, v40
	s_delay_alu instid0(VALU_DEP_1) | instskip(NEXT) | instid1(VALU_DEP_1)
	v_lshrrev_b32_e32 v24, s49, v24
	v_and_b32_e32 v24, s48, v24
	s_delay_alu instid0(VALU_DEP_1) | instskip(SKIP_2) | instid1(SALU_CYCLE_1)
	v_lshl_or_b32 v24, v24, 4, v84
	ds_add_u32 v24, v7
	s_or_b32 exec_lo, exec_lo, s11
	s_mov_b32 s11, exec_lo
	v_cmpx_gt_u32_e64 s10, v70
	s_cbranch_execz .LBB186_665
.LBB186_681:                            ;   in Loop: Header=BB186_638 Depth=2
	v_and_b32_e32 v24, 0xff, v38
	s_delay_alu instid0(VALU_DEP_1) | instskip(NEXT) | instid1(VALU_DEP_1)
	v_lshrrev_b32_e32 v24, s49, v24
	v_and_b32_e32 v24, s48, v24
	s_delay_alu instid0(VALU_DEP_1) | instskip(SKIP_2) | instid1(SALU_CYCLE_1)
	v_lshl_or_b32 v24, v24, 4, v84
	ds_add_u32 v24, v7
	s_or_b32 exec_lo, exec_lo, s11
	s_mov_b32 s11, exec_lo
	v_cmpx_gt_u32_e64 s10, v71
	s_cbranch_execz .LBB186_666
.LBB186_682:                            ;   in Loop: Header=BB186_638 Depth=2
	v_and_b32_e32 v24, 0xff, v37
	s_delay_alu instid0(VALU_DEP_1) | instskip(NEXT) | instid1(VALU_DEP_1)
	v_lshrrev_b32_e32 v24, s49, v24
	v_and_b32_e32 v24, s48, v24
	s_delay_alu instid0(VALU_DEP_1) | instskip(SKIP_2) | instid1(SALU_CYCLE_1)
	v_lshl_or_b32 v24, v24, 4, v84
	ds_add_u32 v24, v7
	s_or_b32 exec_lo, exec_lo, s11
	s_mov_b32 s11, exec_lo
	v_cmpx_gt_u32_e64 s10, v72
	s_cbranch_execz .LBB186_667
.LBB186_683:                            ;   in Loop: Header=BB186_638 Depth=2
	v_and_b32_e32 v24, 0xff, v36
	s_delay_alu instid0(VALU_DEP_1) | instskip(NEXT) | instid1(VALU_DEP_1)
	v_lshrrev_b32_e32 v24, s49, v24
	v_and_b32_e32 v24, s48, v24
	s_delay_alu instid0(VALU_DEP_1) | instskip(SKIP_2) | instid1(SALU_CYCLE_1)
	v_lshl_or_b32 v24, v24, 4, v84
	ds_add_u32 v24, v7
	s_or_b32 exec_lo, exec_lo, s11
	s_mov_b32 s11, exec_lo
	v_cmpx_gt_u32_e64 s10, v73
	s_cbranch_execz .LBB186_668
.LBB186_684:                            ;   in Loop: Header=BB186_638 Depth=2
	v_and_b32_e32 v24, 0xff, v35
	s_delay_alu instid0(VALU_DEP_1) | instskip(NEXT) | instid1(VALU_DEP_1)
	v_lshrrev_b32_e32 v24, s49, v24
	v_and_b32_e32 v24, s48, v24
	s_delay_alu instid0(VALU_DEP_1) | instskip(SKIP_2) | instid1(SALU_CYCLE_1)
	v_lshl_or_b32 v24, v24, 4, v84
	ds_add_u32 v24, v7
	s_or_b32 exec_lo, exec_lo, s11
	s_mov_b32 s11, exec_lo
	v_cmpx_gt_u32_e64 s10, v74
	s_cbranch_execz .LBB186_669
.LBB186_685:                            ;   in Loop: Header=BB186_638 Depth=2
	v_and_b32_e32 v24, 0xff, v34
	s_delay_alu instid0(VALU_DEP_1) | instskip(NEXT) | instid1(VALU_DEP_1)
	v_lshrrev_b32_e32 v24, s49, v24
	v_and_b32_e32 v24, s48, v24
	s_delay_alu instid0(VALU_DEP_1) | instskip(SKIP_2) | instid1(SALU_CYCLE_1)
	v_lshl_or_b32 v24, v24, 4, v84
	ds_add_u32 v24, v7
	s_or_b32 exec_lo, exec_lo, s11
	s_mov_b32 s11, exec_lo
	v_cmpx_gt_u32_e64 s10, v75
	s_cbranch_execz .LBB186_670
.LBB186_686:                            ;   in Loop: Header=BB186_638 Depth=2
	v_and_b32_e32 v24, 0xff, v33
	s_delay_alu instid0(VALU_DEP_1) | instskip(NEXT) | instid1(VALU_DEP_1)
	v_lshrrev_b32_e32 v24, s49, v24
	v_and_b32_e32 v24, s48, v24
	s_delay_alu instid0(VALU_DEP_1) | instskip(SKIP_2) | instid1(SALU_CYCLE_1)
	v_lshl_or_b32 v24, v24, 4, v84
	ds_add_u32 v24, v7
	s_or_b32 exec_lo, exec_lo, s11
	s_mov_b32 s11, exec_lo
	v_cmpx_gt_u32_e64 s10, v76
	s_cbranch_execz .LBB186_671
.LBB186_687:                            ;   in Loop: Header=BB186_638 Depth=2
	v_and_b32_e32 v24, 0xff, v32
	s_delay_alu instid0(VALU_DEP_1) | instskip(NEXT) | instid1(VALU_DEP_1)
	v_lshrrev_b32_e32 v24, s49, v24
	v_and_b32_e32 v24, s48, v24
	s_delay_alu instid0(VALU_DEP_1) | instskip(SKIP_2) | instid1(SALU_CYCLE_1)
	v_lshl_or_b32 v24, v24, 4, v84
	ds_add_u32 v24, v7
	s_or_b32 exec_lo, exec_lo, s11
	s_mov_b32 s11, exec_lo
	v_cmpx_gt_u32_e64 s10, v77
	s_cbranch_execz .LBB186_672
.LBB186_688:                            ;   in Loop: Header=BB186_638 Depth=2
	v_and_b32_e32 v24, 0xff, v31
	s_delay_alu instid0(VALU_DEP_1) | instskip(NEXT) | instid1(VALU_DEP_1)
	v_lshrrev_b32_e32 v24, s49, v24
	v_and_b32_e32 v24, s48, v24
	s_delay_alu instid0(VALU_DEP_1) | instskip(SKIP_2) | instid1(SALU_CYCLE_1)
	v_lshl_or_b32 v24, v24, 4, v84
	ds_add_u32 v24, v7
	s_or_b32 exec_lo, exec_lo, s11
	s_mov_b32 s11, exec_lo
	v_cmpx_gt_u32_e64 s10, v78
	s_cbranch_execz .LBB186_673
.LBB186_689:                            ;   in Loop: Header=BB186_638 Depth=2
	v_and_b32_e32 v24, 0xff, v30
	s_delay_alu instid0(VALU_DEP_1) | instskip(NEXT) | instid1(VALU_DEP_1)
	v_lshrrev_b32_e32 v24, s49, v24
	v_and_b32_e32 v24, s48, v24
	s_delay_alu instid0(VALU_DEP_1) | instskip(SKIP_2) | instid1(SALU_CYCLE_1)
	v_lshl_or_b32 v24, v24, 4, v84
	ds_add_u32 v24, v7
	s_or_b32 exec_lo, exec_lo, s11
	s_mov_b32 s11, exec_lo
	v_cmpx_gt_u32_e64 s10, v79
	s_cbranch_execz .LBB186_674
.LBB186_690:                            ;   in Loop: Header=BB186_638 Depth=2
	v_and_b32_e32 v24, 0xff, v29
	s_delay_alu instid0(VALU_DEP_1) | instskip(NEXT) | instid1(VALU_DEP_1)
	v_lshrrev_b32_e32 v24, s49, v24
	v_and_b32_e32 v24, s48, v24
	s_delay_alu instid0(VALU_DEP_1) | instskip(SKIP_2) | instid1(SALU_CYCLE_1)
	v_lshl_or_b32 v24, v24, 4, v84
	ds_add_u32 v24, v7
	s_or_b32 exec_lo, exec_lo, s11
	s_mov_b32 s11, exec_lo
	v_cmpx_gt_u32_e64 s10, v80
	s_cbranch_execz .LBB186_675
.LBB186_691:                            ;   in Loop: Header=BB186_638 Depth=2
	v_and_b32_e32 v24, 0xff, v28
	s_delay_alu instid0(VALU_DEP_1) | instskip(NEXT) | instid1(VALU_DEP_1)
	v_lshrrev_b32_e32 v24, s49, v24
	v_and_b32_e32 v24, s48, v24
	s_delay_alu instid0(VALU_DEP_1) | instskip(SKIP_2) | instid1(SALU_CYCLE_1)
	v_lshl_or_b32 v24, v24, 4, v84
	ds_add_u32 v24, v7
	s_or_b32 exec_lo, exec_lo, s11
	s_mov_b32 s11, exec_lo
	v_cmpx_gt_u32_e64 s10, v81
	s_cbranch_execz .LBB186_676
.LBB186_692:                            ;   in Loop: Header=BB186_638 Depth=2
	v_and_b32_e32 v24, 0xff, v27
	s_delay_alu instid0(VALU_DEP_1) | instskip(NEXT) | instid1(VALU_DEP_1)
	v_lshrrev_b32_e32 v24, s49, v24
	v_and_b32_e32 v24, s48, v24
	s_delay_alu instid0(VALU_DEP_1)
	v_lshl_or_b32 v24, v24, 4, v84
	ds_add_u32 v24, v7
	s_or_b32 exec_lo, exec_lo, s11
	v_cmp_gt_u32_e32 vcc_lo, s10, v82
	s_and_saveexec_b32 s10, vcc_lo
	s_cbranch_execz .LBB186_637
.LBB186_693:                            ;   in Loop: Header=BB186_638 Depth=2
	v_and_b32_e32 v24, 0xff, v26
	s_delay_alu instid0(VALU_DEP_1) | instskip(NEXT) | instid1(VALU_DEP_1)
	v_lshrrev_b32_e32 v24, s49, v24
	v_and_b32_e32 v24, s48, v24
	s_delay_alu instid0(VALU_DEP_1)
	v_lshl_or_b32 v24, v24, 4, v84
	ds_add_u32 v24, v7
	s_branch .LBB186_637
.LBB186_694:                            ;   in Loop: Header=BB186_638 Depth=2
	global_load_u8 v39, v[24:25], off
	s_wait_xcnt 0x0
	s_or_b32 exec_lo, exec_lo, s10
	s_delay_alu instid0(SALU_CYCLE_1)
	s_mov_b32 s10, exec_lo
	v_cmpx_gt_u32_e64 s8, v67
	s_cbranch_execz .LBB186_643
.LBB186_695:                            ;   in Loop: Header=BB186_638 Depth=2
	global_load_u8 v42, v[24:25], off offset:256
	s_wait_xcnt 0x0
	s_or_b32 exec_lo, exec_lo, s10
	s_delay_alu instid0(SALU_CYCLE_1)
	s_mov_b32 s10, exec_lo
	v_cmpx_gt_u32_e64 s8, v68
	s_cbranch_execz .LBB186_644
.LBB186_696:                            ;   in Loop: Header=BB186_638 Depth=2
	global_load_u8 v41, v[24:25], off offset:512
	s_wait_xcnt 0x0
	s_or_b32 exec_lo, exec_lo, s10
	s_delay_alu instid0(SALU_CYCLE_1)
	s_mov_b32 s10, exec_lo
	v_cmpx_gt_u32_e64 s8, v69
	s_cbranch_execz .LBB186_645
.LBB186_697:                            ;   in Loop: Header=BB186_638 Depth=2
	global_load_u8 v40, v[24:25], off offset:768
	s_wait_xcnt 0x0
	s_or_b32 exec_lo, exec_lo, s10
	s_delay_alu instid0(SALU_CYCLE_1)
	s_mov_b32 s10, exec_lo
	v_cmpx_gt_u32_e64 s8, v70
	s_cbranch_execz .LBB186_646
.LBB186_698:                            ;   in Loop: Header=BB186_638 Depth=2
	global_load_u8 v38, v[24:25], off offset:1024
	s_wait_xcnt 0x0
	s_or_b32 exec_lo, exec_lo, s10
	s_delay_alu instid0(SALU_CYCLE_1)
	s_mov_b32 s10, exec_lo
	v_cmpx_gt_u32_e64 s8, v71
	s_cbranch_execz .LBB186_647
.LBB186_699:                            ;   in Loop: Header=BB186_638 Depth=2
	global_load_u8 v37, v[24:25], off offset:1280
	s_wait_xcnt 0x0
	s_or_b32 exec_lo, exec_lo, s10
	s_delay_alu instid0(SALU_CYCLE_1)
	s_mov_b32 s10, exec_lo
	v_cmpx_gt_u32_e64 s8, v72
	s_cbranch_execz .LBB186_648
.LBB186_700:                            ;   in Loop: Header=BB186_638 Depth=2
	global_load_u8 v36, v[24:25], off offset:1536
	s_wait_xcnt 0x0
	s_or_b32 exec_lo, exec_lo, s10
	s_delay_alu instid0(SALU_CYCLE_1)
	s_mov_b32 s10, exec_lo
	v_cmpx_gt_u32_e64 s8, v73
	s_cbranch_execz .LBB186_649
.LBB186_701:                            ;   in Loop: Header=BB186_638 Depth=2
	global_load_u8 v35, v[24:25], off offset:1792
	s_wait_xcnt 0x0
	s_or_b32 exec_lo, exec_lo, s10
	s_delay_alu instid0(SALU_CYCLE_1)
	s_mov_b32 s10, exec_lo
	v_cmpx_gt_u32_e64 s8, v74
	s_cbranch_execz .LBB186_650
.LBB186_702:                            ;   in Loop: Header=BB186_638 Depth=2
	global_load_u8 v34, v[24:25], off offset:2048
	s_wait_xcnt 0x0
	s_or_b32 exec_lo, exec_lo, s10
	s_delay_alu instid0(SALU_CYCLE_1)
	s_mov_b32 s10, exec_lo
	v_cmpx_gt_u32_e64 s8, v75
	s_cbranch_execz .LBB186_651
.LBB186_703:                            ;   in Loop: Header=BB186_638 Depth=2
	global_load_u8 v33, v[24:25], off offset:2304
	s_wait_xcnt 0x0
	s_or_b32 exec_lo, exec_lo, s10
	s_delay_alu instid0(SALU_CYCLE_1)
	s_mov_b32 s10, exec_lo
	v_cmpx_gt_u32_e64 s8, v76
	s_cbranch_execz .LBB186_652
.LBB186_704:                            ;   in Loop: Header=BB186_638 Depth=2
	global_load_u8 v32, v[24:25], off offset:2560
	s_wait_xcnt 0x0
	s_or_b32 exec_lo, exec_lo, s10
	s_delay_alu instid0(SALU_CYCLE_1)
	s_mov_b32 s10, exec_lo
	v_cmpx_gt_u32_e64 s8, v77
	s_cbranch_execz .LBB186_653
.LBB186_705:                            ;   in Loop: Header=BB186_638 Depth=2
	global_load_u8 v31, v[24:25], off offset:2816
	s_wait_xcnt 0x0
	s_or_b32 exec_lo, exec_lo, s10
	s_delay_alu instid0(SALU_CYCLE_1)
	s_mov_b32 s10, exec_lo
	v_cmpx_gt_u32_e64 s8, v78
	s_cbranch_execz .LBB186_654
.LBB186_706:                            ;   in Loop: Header=BB186_638 Depth=2
	global_load_u8 v30, v[24:25], off offset:3072
	s_wait_xcnt 0x0
	s_or_b32 exec_lo, exec_lo, s10
	s_delay_alu instid0(SALU_CYCLE_1)
	s_mov_b32 s10, exec_lo
	v_cmpx_gt_u32_e64 s8, v79
	s_cbranch_execz .LBB186_655
.LBB186_707:                            ;   in Loop: Header=BB186_638 Depth=2
	global_load_u8 v29, v[24:25], off offset:3328
	s_wait_xcnt 0x0
	s_or_b32 exec_lo, exec_lo, s10
	s_delay_alu instid0(SALU_CYCLE_1)
	s_mov_b32 s10, exec_lo
	v_cmpx_gt_u32_e64 s8, v80
	s_cbranch_execz .LBB186_656
.LBB186_708:                            ;   in Loop: Header=BB186_638 Depth=2
	global_load_u8 v28, v[24:25], off offset:3584
	s_wait_xcnt 0x0
	s_or_b32 exec_lo, exec_lo, s10
	s_delay_alu instid0(SALU_CYCLE_1)
	s_mov_b32 s10, exec_lo
	v_cmpx_gt_u32_e64 s8, v81
	s_cbranch_execz .LBB186_657
.LBB186_709:                            ;   in Loop: Header=BB186_638 Depth=2
	global_load_u8 v27, v[24:25], off offset:3840
	s_wait_xcnt 0x0
	s_or_b32 exec_lo, exec_lo, s10
	s_delay_alu instid0(SALU_CYCLE_1)
	s_mov_b32 s10, exec_lo
	v_cmpx_gt_u32_e64 s8, v82
	s_cbranch_execnz .LBB186_658
	s_branch .LBB186_659
.LBB186_710:                            ;   in Loop: Header=BB186_12 Depth=1
	v_mov_b32_e32 v24, 0
	s_wait_dscnt 0x0
	s_barrier_signal -1
	s_barrier_wait -1
	s_and_saveexec_b32 s8, s0
	s_cbranch_execz .LBB186_712
; %bb.711:                              ;   in Loop: Header=BB186_12 Depth=1
	ds_load_2addr_b64 v[24:27], v85 offset1:1
	s_wait_dscnt 0x0
	v_add_nc_u32_e32 v24, v25, v24
	s_delay_alu instid0(VALU_DEP_1)
	v_add3_u32 v24, v24, v26, v27
.LBB186_712:                            ;   in Loop: Header=BB186_12 Depth=1
	s_or_b32 exec_lo, exec_lo, s8
	v_and_b32_e32 v25, 15, v0
	s_delay_alu instid0(VALU_DEP_2) | instskip(SKIP_1) | instid1(VALU_DEP_3)
	v_mov_b32_dpp v26, v24 row_shr:1 row_mask:0xf bank_mask:0xf
	v_and_b32_e32 v27, 16, v0
	v_cmp_eq_u32_e64 s8, 0, v25
	v_cmp_lt_u32_e64 s9, 1, v25
	s_delay_alu instid0(VALU_DEP_3) | instskip(NEXT) | instid1(VALU_DEP_3)
	v_cmp_eq_u32_e64 s12, 0, v27
	v_cndmask_b32_e64 v26, v26, 0, s8
	s_delay_alu instid0(VALU_DEP_1) | instskip(NEXT) | instid1(VALU_DEP_1)
	v_add_nc_u32_e32 v24, v26, v24
	v_mov_b32_dpp v26, v24 row_shr:2 row_mask:0xf bank_mask:0xf
	s_delay_alu instid0(VALU_DEP_1) | instskip(SKIP_2) | instid1(VALU_DEP_3)
	v_cndmask_b32_e64 v26, 0, v26, s9
	v_cmp_lt_u32_e64 s11, 7, v25
	v_cmp_lt_u32_e64 s10, 3, v25
	v_add_nc_u32_e32 v24, v24, v26
	s_delay_alu instid0(VALU_DEP_1) | instskip(NEXT) | instid1(VALU_DEP_1)
	v_mov_b32_dpp v26, v24 row_shr:4 row_mask:0xf bank_mask:0xf
	v_cndmask_b32_e64 v26, 0, v26, s10
	s_delay_alu instid0(VALU_DEP_1) | instskip(NEXT) | instid1(VALU_DEP_1)
	v_add_nc_u32_e32 v24, v24, v26
	v_mov_b32_dpp v26, v24 row_shr:8 row_mask:0xf bank_mask:0xf
	s_delay_alu instid0(VALU_DEP_1) | instskip(SKIP_1) | instid1(VALU_DEP_2)
	v_cndmask_b32_e64 v25, 0, v26, s11
	v_bfe_i32 v26, v0, 4, 1
	v_add_nc_u32_e32 v24, v24, v25
	ds_swizzle_b32 v25, v24 offset:swizzle(BROADCAST,32,15)
	s_wait_dscnt 0x0
	v_and_b32_e32 v25, v26, v25
	s_delay_alu instid0(VALU_DEP_1)
	v_add_nc_u32_e32 v24, v24, v25
	s_and_saveexec_b32 s13, s1
; %bb.713:                              ;   in Loop: Header=BB186_12 Depth=1
	ds_store_b32 v86, v24
; %bb.714:                              ;   in Loop: Header=BB186_12 Depth=1
	s_or_b32 exec_lo, exec_lo, s13
	s_wait_dscnt 0x0
	s_barrier_signal -1
	s_barrier_wait -1
	s_and_saveexec_b32 s13, s4
	s_cbranch_execz .LBB186_716
; %bb.715:                              ;   in Loop: Header=BB186_12 Depth=1
	ds_load_b32 v25, v87
	s_wait_dscnt 0x0
	v_mov_b32_dpp v27, v25 row_shr:1 row_mask:0xf bank_mask:0xf
	v_and_b32_e32 v26, 3, v0
	s_delay_alu instid0(VALU_DEP_1) | instskip(NEXT) | instid1(VALU_DEP_3)
	v_cmp_ne_u32_e32 vcc_lo, 0, v26
	v_cndmask_b32_e32 v27, 0, v27, vcc_lo
	v_cmp_lt_u32_e32 vcc_lo, 1, v26
	s_delay_alu instid0(VALU_DEP_2) | instskip(NEXT) | instid1(VALU_DEP_1)
	v_add_nc_u32_e32 v25, v27, v25
	v_mov_b32_dpp v27, v25 row_shr:2 row_mask:0xf bank_mask:0xf
	s_delay_alu instid0(VALU_DEP_1) | instskip(NEXT) | instid1(VALU_DEP_1)
	v_cndmask_b32_e32 v26, 0, v27, vcc_lo
	v_add_nc_u32_e32 v25, v25, v26
	ds_store_b32 v87, v25
.LBB186_716:                            ;   in Loop: Header=BB186_12 Depth=1
	s_or_b32 exec_lo, exec_lo, s13
	v_mov_b32_e32 v25, 0
	s_wait_dscnt 0x0
	s_barrier_signal -1
	s_barrier_wait -1
	s_and_saveexec_b32 s13, s5
; %bb.717:                              ;   in Loop: Header=BB186_12 Depth=1
	ds_load_b32 v25, v88
; %bb.718:                              ;   in Loop: Header=BB186_12 Depth=1
	s_or_b32 exec_lo, exec_lo, s13
	v_sub_co_u32 v26, s13, v0, 1
	s_wait_dscnt 0x0
	s_barrier_signal -1
	s_barrier_wait -1
	s_delay_alu instid0(VALU_DEP_1) | instskip(SKIP_1) | instid1(VALU_DEP_1)
	v_cmp_gt_i32_e32 vcc_lo, 0, v26
	v_cndmask_b32_e32 v26, v26, v0, vcc_lo
	v_dual_add_nc_u32 v24, v25, v24 :: v_dual_lshlrev_b32 v96, 2, v26
	ds_bpermute_b32 v24, v96, v24
	s_and_saveexec_b32 s14, s0
	s_cbranch_execz .LBB186_720
; %bb.719:                              ;   in Loop: Header=BB186_12 Depth=1
	s_wait_dscnt 0x0
	v_cndmask_b32_e64 v24, v24, v25, s13
	s_delay_alu instid0(VALU_DEP_1)
	v_add_nc_u32_e32 v24, s55, v24
	ds_store_b32 v66, v24
.LBB186_720:                            ;   in Loop: Header=BB186_12 Depth=1
	s_or_b32 exec_lo, exec_lo, s14
	s_load_b64 s[14:15], s[52:53], 0x0
	s_wait_dscnt 0x0
	v_dual_lshlrev_b32 v24, 3, v0 :: v_dual_bitop2_b32 v26, 7, v0 bitop3:0x40
	v_dual_mov_b32 v25, v1 :: v_dual_bitop2_b32 v97, v0, v6 bitop3:0x54
	s_mov_b32 s58, s57
                                        ; implicit-def: $vgpr30_vgpr31
                                        ; implicit-def: $vgpr32_vgpr33
                                        ; implicit-def: $vgpr34_vgpr35
                                        ; implicit-def: $vgpr36_vgpr37
                                        ; implicit-def: $vgpr38_vgpr39
                                        ; implicit-def: $vgpr40_vgpr41
                                        ; implicit-def: $vgpr42_vgpr43
                                        ; implicit-def: $vgpr44_vgpr45
                                        ; implicit-def: $vgpr46_vgpr47
                                        ; implicit-def: $vgpr48_vgpr49
                                        ; implicit-def: $vgpr50_vgpr51
                                        ; implicit-def: $vgpr52_vgpr53
                                        ; implicit-def: $vgpr54_vgpr55
                                        ; implicit-def: $vgpr56_vgpr57
                                        ; implicit-def: $vgpr58_vgpr59
                                        ; implicit-def: $vgpr60_vgpr61
                                        ; implicit-def: $vgpr115
                                        ; implicit-def: $vgpr116
                                        ; implicit-def: $vgpr117
                                        ; implicit-def: $vgpr118
                                        ; implicit-def: $vgpr119
                                        ; implicit-def: $vgpr120
                                        ; implicit-def: $vgpr121
                                        ; implicit-def: $vgpr122
                                        ; implicit-def: $vgpr123
                                        ; implicit-def: $vgpr124
                                        ; implicit-def: $vgpr125
                                        ; implicit-def: $vgpr126
                                        ; implicit-def: $vgpr127
                                        ; implicit-def: $vgpr128
                                        ; implicit-def: $vgpr129
                                        ; implicit-def: $vgpr130
                                        ; implicit-def: $vgpr131
                                        ; implicit-def: $vgpr132
                                        ; implicit-def: $vgpr133
	s_delay_alu instid0(VALU_DEP_1) | instskip(NEXT) | instid1(VALU_DEP_2)
	v_add_nc_u64_e32 v[24:25], v[20:21], v[24:25]
	v_dual_add_nc_u32 v98, 32, v97 :: v_dual_add_nc_u32 v99, 64, v97
	v_add_nc_u32_e32 v100, 0x60, v97
	v_add_nc_u32_e32 v101, 0x80, v97
	;; [unrolled: 1-line block ×9, first 2 shown]
	s_wait_kmcnt 0x0
	s_cmp_lt_u32 s51, s14
	v_add_nc_u32_e32 v109, 0x180, v97
	s_cselect_b32 s34, 12, 18
	s_cmp_lt_u32 s42, s15
	s_mov_b32 s15, s35
	s_cselect_b32 s14, 14, 20
	v_add_nc_u32_e32 v110, 0x1a0, v97
	s_add_nc_u64 s[14:15], s[52:53], s[14:15]
	v_add_nc_u32_e32 v111, 0x1c0, v97
	s_load_u16 s16, s[14:15], 0x0
	s_wait_xcnt 0x0
	s_add_nc_u64 s[14:15], s[52:53], s[34:35]
	v_add_nc_u32_e32 v112, 0x1e0, v97
	s_load_u16 s17, s[14:15], 0x0
	s_wait_xcnt 0x0
	v_cmp_eq_u32_e64 s14, 0, v26
	v_cmp_lt_u32_e64 s15, 1, v26
	v_add_nc_u32_e32 v113, 0x200, v97
	s_mov_b32 s34, s55
	s_wait_kmcnt 0x0
	v_mad_u32_u24 v27, v89, s16, v91
	v_cmp_lt_u32_e64 s16, 3, v26
	s_delay_alu instid0(VALU_DEP_2) | instskip(NEXT) | instid1(VALU_DEP_1)
	v_mad_u32 v26, v27, s17, v2
	v_lshrrev_b32_e32 v28, 3, v26
	v_add_nc_u64_e32 v[26:27], v[22:23], v[0:1]
	s_delay_alu instid0(VALU_DEP_2)
	v_and_b32_e32 v114, 0x1ffffffc, v28
                                        ; implicit-def: $vgpr28_vgpr29
	s_branch .LBB186_722
.LBB186_721:                            ;   in Loop: Header=BB186_722 Depth=2
	s_or_b32 exec_lo, exec_lo, s17
	s_addk_co_i32 s58, 0xef00
	s_cmp_lt_u32 s59, s54
	s_mov_b32 s34, s59
	s_cbranch_scc0 .LBB186_944
.LBB186_722:                            ;   Parent Loop BB186_12 Depth=1
                                        ; =>  This Inner Loop Header: Depth=2
	s_add_co_i32 s59, s34, 0x1100
	s_delay_alu instid0(SALU_CYCLE_1)
	s_cmp_gt_u32 s59, s54
	s_cbranch_scc1 .LBB186_724
; %bb.723:                              ;   in Loop: Header=BB186_722 Depth=2
	s_delay_alu instid0(VALU_DEP_2)
	v_add_nc_u64_e32 v[62:63], s[34:35], v[26:27]
	s_mov_b32 s17, -1
	s_clause 0xf
	global_load_u8 v135, v[62:63], off
	global_load_u8 v136, v[62:63], off offset:32
	global_load_u8 v137, v[62:63], off offset:64
	;; [unrolled: 1-line block ×15, first 2 shown]
	s_movk_i32 s18, 0x1100
	s_cbranch_execz .LBB186_725
	s_branch .LBB186_758
.LBB186_724:                            ;   in Loop: Header=BB186_722 Depth=2
	s_mov_b32 s17, 0
                                        ; implicit-def: $vgpr135
                                        ; implicit-def: $vgpr136
                                        ; implicit-def: $vgpr137
                                        ; implicit-def: $vgpr138
                                        ; implicit-def: $vgpr139
                                        ; implicit-def: $vgpr140
                                        ; implicit-def: $vgpr141
                                        ; implicit-def: $vgpr142
                                        ; implicit-def: $vgpr143
                                        ; implicit-def: $vgpr144
                                        ; implicit-def: $vgpr145
                                        ; implicit-def: $vgpr146
                                        ; implicit-def: $vgpr147
                                        ; implicit-def: $vgpr148
                                        ; implicit-def: $vgpr149
                                        ; implicit-def: $vgpr150
	s_movk_i32 s18, 0x1100
.LBB186_725:                            ;   in Loop: Header=BB186_722 Depth=2
	s_wait_xcnt 0x0
	v_add_nc_u64_e32 v[62:63], s[34:35], v[26:27]
	s_wait_loadcnt 0xe
	v_dual_mov_b32 v136, 0xff :: v_dual_mov_b32 v135, 0xff
	s_mov_b32 s17, exec_lo
	v_cmpx_gt_u32_e64 s58, v97
	s_cbranch_execz .LBB186_727
; %bb.726:                              ;   in Loop: Header=BB186_722 Depth=2
	global_load_u8 v135, v[62:63], off
.LBB186_727:                            ;   in Loop: Header=BB186_722 Depth=2
	s_wait_xcnt 0x0
	s_or_b32 exec_lo, exec_lo, s17
	s_delay_alu instid0(SALU_CYCLE_1)
	s_mov_b32 s17, exec_lo
	v_cmpx_gt_u32_e64 s58, v98
	s_cbranch_execz .LBB186_729
; %bb.728:                              ;   in Loop: Header=BB186_722 Depth=2
	global_load_u8 v136, v[62:63], off offset:32
.LBB186_729:                            ;   in Loop: Header=BB186_722 Depth=2
	s_wait_xcnt 0x0
	s_or_b32 exec_lo, exec_lo, s17
	s_wait_loadcnt 0xc
	v_dual_mov_b32 v138, 0xff :: v_dual_mov_b32 v137, 0xff
	s_mov_b32 s17, exec_lo
	v_cmpx_gt_u32_e64 s58, v99
	s_cbranch_execz .LBB186_731
; %bb.730:                              ;   in Loop: Header=BB186_722 Depth=2
	global_load_u8 v137, v[62:63], off offset:64
.LBB186_731:                            ;   in Loop: Header=BB186_722 Depth=2
	s_wait_xcnt 0x0
	s_or_b32 exec_lo, exec_lo, s17
	s_delay_alu instid0(SALU_CYCLE_1)
	s_mov_b32 s17, exec_lo
	v_cmpx_gt_u32_e64 s58, v100
	s_cbranch_execz .LBB186_733
; %bb.732:                              ;   in Loop: Header=BB186_722 Depth=2
	global_load_u8 v138, v[62:63], off offset:96
.LBB186_733:                            ;   in Loop: Header=BB186_722 Depth=2
	s_wait_xcnt 0x0
	s_or_b32 exec_lo, exec_lo, s17
	s_wait_loadcnt 0xa
	v_dual_mov_b32 v140, 0xff :: v_dual_mov_b32 v139, 0xff
	s_mov_b32 s17, exec_lo
	v_cmpx_gt_u32_e64 s58, v101
	s_cbranch_execz .LBB186_735
; %bb.734:                              ;   in Loop: Header=BB186_722 Depth=2
	global_load_u8 v139, v[62:63], off offset:128
.LBB186_735:                            ;   in Loop: Header=BB186_722 Depth=2
	;; [unrolled: 19-line block ×7, first 2 shown]
	s_wait_xcnt 0x0
	s_or_b32 exec_lo, exec_lo, s17
	s_delay_alu instid0(SALU_CYCLE_1)
	s_mov_b32 s17, exec_lo
	v_cmpx_gt_u32_e64 s58, v112
	s_cbranch_execz .LBB186_757
; %bb.756:                              ;   in Loop: Header=BB186_722 Depth=2
	global_load_u8 v150, v[62:63], off offset:480
.LBB186_757:                            ;   in Loop: Header=BB186_722 Depth=2
	s_wait_xcnt 0x0
	s_or_b32 exec_lo, exec_lo, s17
	v_cmp_gt_u32_e64 s17, s58, v113
	s_sub_co_i32 s18, s54, s34
.LBB186_758:                            ;   in Loop: Header=BB186_722 Depth=2
	v_dual_mov_b32 v151, 0xff :: v_dual_mov_b32 v134, s58
	s_wait_xcnt 0x0
	s_and_saveexec_b32 s19, s17
	s_cbranch_execz .LBB186_760
; %bb.759:                              ;   in Loop: Header=BB186_722 Depth=2
	v_add_nc_u64_e32 v[62:63], s[34:35], v[26:27]
	v_mov_b32_e32 v134, s18
	global_load_u8 v151, v[62:63], off offset:512
.LBB186_760:                            ;   in Loop: Header=BB186_722 Depth=2
	s_wait_xcnt 0x0
	s_or_b32 exec_lo, exec_lo, s19
	s_wait_loadcnt 0xf
	v_and_b32_e32 v62, 0xff, v135
	ds_store_2addr_b32 v90, v1, v1 offset0:136 offset1:137
	ds_store_2addr_b32 v90, v1, v1 offset0:138 offset1:139
	ds_store_b32 v90, v1 offset:560
	s_wait_loadcnt_dscnt 0x0
	s_barrier_signal -1
	s_barrier_wait -1
	v_lshrrev_b32_e32 v62, s49, v62
	; wave barrier
	s_delay_alu instid0(VALU_DEP_1) | instskip(NEXT) | instid1(VALU_DEP_1)
	v_and_b32_e32 v64, s48, v62
	v_lshlrev_b32_e32 v65, 30, v64
	v_bitop3_b32 v63, v62, 1, s48 bitop3:0x80
	s_delay_alu instid0(VALU_DEP_1) | instskip(NEXT) | instid1(VALU_DEP_1)
	v_add_co_u32 v62, s17, v63, -1
	v_cndmask_b32_e64 v63, 0, 1, s17
	s_delay_alu instid0(VALU_DEP_4) | instskip(NEXT) | instid1(VALU_DEP_2)
	v_cmp_gt_i32_e64 s17, 0, v65
	v_cmp_ne_u32_e32 vcc_lo, 0, v63
	v_not_b32_e32 v63, v65
	v_bitop3_b32 v62, vcc_lo, exec_lo, v62 bitop3:0x48
	s_delay_alu instid0(VALU_DEP_2) | instskip(SKIP_2) | instid1(VALU_DEP_3)
	v_dual_ashrrev_i32 v63, 31, v63 :: v_dual_lshlrev_b32 v152, 29, v64
	v_dual_lshlrev_b32 v153, 28, v64 :: v_dual_lshlrev_b32 v154, 27, v64
	v_lshlrev_b32_e32 v155, 26, v64
	v_not_b32_e32 v65, v152
	v_lshlrev_b32_e32 v156, 25, v64
	v_cmp_gt_i32_e64 s18, 0, v152
	v_cmp_gt_i32_e64 s19, 0, v153
	v_not_b32_e32 v152, v153
	v_not_b32_e32 v153, v154
	v_ashrrev_i32_e32 v65, 31, v65
	v_cmp_gt_i32_e64 s20, 0, v154
	v_not_b32_e32 v154, v155
	s_delay_alu instid0(VALU_DEP_4) | instskip(SKIP_3) | instid1(VALU_DEP_4)
	v_dual_ashrrev_i32 v152, 31, v152 :: v_dual_ashrrev_i32 v153, 31, v153
	v_xor_b32_e32 v63, s17, v63
	v_xor_b32_e32 v65, s18, v65
	v_not_b32_e32 v157, v156
	v_xor_b32_e32 v152, s19, v152
	v_xor_b32_e32 v153, s20, v153
	v_cmp_gt_i32_e32 vcc_lo, 0, v155
	v_ashrrev_i32_e32 v154, 31, v154
	v_cmp_gt_i32_e64 s17, 0, v156
	v_ashrrev_i32_e32 v155, 31, v157
	v_bitop3_b32 v62, v62, v65, v63 bitop3:0x80
	s_delay_alu instid0(VALU_DEP_4) | instskip(NEXT) | instid1(VALU_DEP_3)
	v_xor_b32_e32 v63, vcc_lo, v154
	v_xor_b32_e32 v65, s17, v155
	s_delay_alu instid0(VALU_DEP_3) | instskip(NEXT) | instid1(VALU_DEP_1)
	v_bitop3_b32 v62, v62, v153, v152 bitop3:0x80
	v_bitop3_b32 v62, v62, v65, v63 bitop3:0x80
	v_mul_u32_u24_e32 v63, 36, v64
	s_delay_alu instid0(VALU_DEP_2) | instskip(SKIP_1) | instid1(VALU_DEP_3)
	v_mbcnt_lo_u32_b32 v152, v62, 0
	v_cmp_ne_u32_e64 s17, 0, v62
	v_add_nc_u32_e32 v153, v114, v63
	s_delay_alu instid0(VALU_DEP_3) | instskip(SKIP_1) | instid1(SALU_CYCLE_1)
	v_cmp_eq_u32_e32 vcc_lo, 0, v152
	s_and_b32 s18, s17, vcc_lo
	s_and_saveexec_b32 s17, s18
; %bb.761:                              ;   in Loop: Header=BB186_722 Depth=2
	v_bcnt_u32_b32 v62, v62, 0
	ds_store_b32 v153, v62 offset:544
; %bb.762:                              ;   in Loop: Header=BB186_722 Depth=2
	s_or_b32 exec_lo, exec_lo, s17
	v_and_b32_e32 v62, 0xff, v136
	; wave barrier
	s_delay_alu instid0(VALU_DEP_1) | instskip(NEXT) | instid1(VALU_DEP_1)
	v_lshrrev_b32_e32 v62, s49, v62
	v_and_b32_e32 v64, s48, v62
	s_delay_alu instid0(VALU_DEP_1) | instskip(SKIP_1) | instid1(VALU_DEP_1)
	v_lshlrev_b32_e32 v65, 30, v64
	v_bitop3_b32 v63, v62, 1, s48 bitop3:0x80
	v_add_co_u32 v62, s17, v63, -1
	s_delay_alu instid0(VALU_DEP_1) | instskip(NEXT) | instid1(VALU_DEP_4)
	v_cndmask_b32_e64 v63, 0, 1, s17
	v_cmp_gt_i32_e64 s17, 0, v65
	s_delay_alu instid0(VALU_DEP_2) | instskip(SKIP_2) | instid1(VALU_DEP_2)
	v_cmp_ne_u32_e32 vcc_lo, 0, v63
	v_not_b32_e32 v63, v65
	v_bitop3_b32 v62, vcc_lo, exec_lo, v62 bitop3:0x48
	v_dual_ashrrev_i32 v63, 31, v63 :: v_dual_lshlrev_b32 v154, 29, v64
	v_dual_lshlrev_b32 v155, 28, v64 :: v_dual_lshlrev_b32 v156, 27, v64
	v_lshlrev_b32_e32 v157, 26, v64
	s_delay_alu instid0(VALU_DEP_3)
	v_not_b32_e32 v65, v154
	v_lshlrev_b32_e32 v158, 25, v64
	v_cmp_gt_i32_e64 s18, 0, v154
	v_cmp_gt_i32_e64 s19, 0, v155
	v_not_b32_e32 v154, v155
	v_not_b32_e32 v155, v156
	v_ashrrev_i32_e32 v65, 31, v65
	v_cmp_gt_i32_e64 s20, 0, v156
	v_cmp_gt_i32_e64 s21, 0, v157
	v_not_b32_e32 v156, v157
	v_dual_ashrrev_i32 v154, 31, v154 :: v_dual_ashrrev_i32 v155, 31, v155
	v_xor_b32_e32 v63, s17, v63
	v_xor_b32_e32 v65, s18, v65
	v_not_b32_e32 v157, v158
	s_delay_alu instid0(VALU_DEP_4) | instskip(SKIP_1) | instid1(VALU_DEP_4)
	v_dual_ashrrev_i32 v156, 31, v156 :: v_dual_bitop2_b32 v154, s19, v154 bitop3:0x14
	v_xor_b32_e32 v155, s20, v155
	v_bitop3_b32 v62, v62, v65, v63 bitop3:0x80
	v_cmp_gt_i32_e32 vcc_lo, 0, v158
	v_ashrrev_i32_e32 v63, 31, v157
	v_mad_u32_u24 v65, v64, 36, v114
	v_xor_b32_e32 v156, s21, v156
	v_bitop3_b32 v62, v62, v155, v154 bitop3:0x80
	s_delay_alu instid0(VALU_DEP_4) | instskip(SKIP_3) | instid1(VALU_DEP_2)
	v_xor_b32_e32 v63, vcc_lo, v63
	ds_load_b32 v154, v65 offset:544
	; wave barrier
	v_bitop3_b32 v62, v62, v63, v156 bitop3:0x80
	v_mul_u32_u24_e32 v63, 36, v64
	v_mbcnt_lo_u32_b32 v155, v62, 0
	v_cmp_ne_u32_e64 s17, 0, v62
	s_delay_alu instid0(VALU_DEP_3) | instskip(NEXT) | instid1(VALU_DEP_3)
	v_add_nc_u32_e32 v156, v114, v63
	v_cmp_eq_u32_e32 vcc_lo, 0, v155
	s_and_b32 s18, s17, vcc_lo
	s_delay_alu instid0(SALU_CYCLE_1)
	s_and_saveexec_b32 s17, s18
	s_cbranch_execz .LBB186_764
; %bb.763:                              ;   in Loop: Header=BB186_722 Depth=2
	s_wait_dscnt 0x0
	v_bcnt_u32_b32 v62, v62, v154
	ds_store_b32 v156, v62 offset:544
.LBB186_764:                            ;   in Loop: Header=BB186_722 Depth=2
	s_or_b32 exec_lo, exec_lo, s17
	v_and_b32_e32 v62, 0xff, v137
	; wave barrier
	s_delay_alu instid0(VALU_DEP_1) | instskip(NEXT) | instid1(VALU_DEP_1)
	v_lshrrev_b32_e32 v62, s49, v62
	v_and_b32_e32 v64, s48, v62
	s_delay_alu instid0(VALU_DEP_1) | instskip(SKIP_1) | instid1(VALU_DEP_1)
	v_lshlrev_b32_e32 v65, 30, v64
	v_bitop3_b32 v63, v62, 1, s48 bitop3:0x80
	v_add_co_u32 v62, s17, v63, -1
	s_delay_alu instid0(VALU_DEP_1) | instskip(NEXT) | instid1(VALU_DEP_4)
	v_cndmask_b32_e64 v63, 0, 1, s17
	v_cmp_gt_i32_e64 s17, 0, v65
	s_delay_alu instid0(VALU_DEP_2) | instskip(SKIP_2) | instid1(VALU_DEP_2)
	v_cmp_ne_u32_e32 vcc_lo, 0, v63
	v_not_b32_e32 v63, v65
	v_bitop3_b32 v62, vcc_lo, exec_lo, v62 bitop3:0x48
	v_dual_ashrrev_i32 v63, 31, v63 :: v_dual_lshlrev_b32 v157, 29, v64
	v_dual_lshlrev_b32 v158, 28, v64 :: v_dual_lshlrev_b32 v159, 27, v64
	s_delay_alu instid0(VALU_DEP_2) | instskip(NEXT) | instid1(VALU_DEP_3)
	v_dual_lshlrev_b32 v160, 26, v64 :: v_dual_bitop2_b32 v63, s17, v63 bitop3:0x14
	v_not_b32_e32 v65, v157
	v_lshlrev_b32_e32 v161, 25, v64
	v_cmp_gt_i32_e64 s18, 0, v157
	v_cmp_gt_i32_e64 s19, 0, v158
	v_not_b32_e32 v157, v158
	v_not_b32_e32 v158, v159
	v_ashrrev_i32_e32 v65, 31, v65
	v_cmp_gt_i32_e64 s20, 0, v159
	v_cmp_gt_i32_e64 s21, 0, v160
	v_not_b32_e32 v159, v160
	v_dual_ashrrev_i32 v157, 31, v157 :: v_dual_ashrrev_i32 v158, 31, v158
	v_xor_b32_e32 v65, s18, v65
	v_not_b32_e32 v160, v161
	s_delay_alu instid0(VALU_DEP_3) | instskip(NEXT) | instid1(VALU_DEP_4)
	v_dual_ashrrev_i32 v159, 31, v159 :: v_dual_bitop2_b32 v157, s19, v157 bitop3:0x14
	v_xor_b32_e32 v158, s20, v158
	s_delay_alu instid0(VALU_DEP_4)
	v_bitop3_b32 v62, v62, v65, v63 bitop3:0x80
	v_cmp_gt_i32_e32 vcc_lo, 0, v161
	v_ashrrev_i32_e32 v63, 31, v160
	v_mad_u32_u24 v65, v64, 36, v114
	v_xor_b32_e32 v159, s21, v159
	v_bitop3_b32 v62, v62, v158, v157 bitop3:0x80
	s_delay_alu instid0(VALU_DEP_4) | instskip(SKIP_3) | instid1(VALU_DEP_2)
	v_xor_b32_e32 v63, vcc_lo, v63
	ds_load_b32 v157, v65 offset:544
	; wave barrier
	v_bitop3_b32 v62, v62, v63, v159 bitop3:0x80
	v_mul_u32_u24_e32 v63, 36, v64
	v_mbcnt_lo_u32_b32 v158, v62, 0
	v_cmp_ne_u32_e64 s17, 0, v62
	s_delay_alu instid0(VALU_DEP_3) | instskip(NEXT) | instid1(VALU_DEP_3)
	v_add_nc_u32_e32 v159, v114, v63
	v_cmp_eq_u32_e32 vcc_lo, 0, v158
	s_and_b32 s18, s17, vcc_lo
	s_delay_alu instid0(SALU_CYCLE_1)
	s_and_saveexec_b32 s17, s18
	s_cbranch_execz .LBB186_766
; %bb.765:                              ;   in Loop: Header=BB186_722 Depth=2
	s_wait_dscnt 0x0
	v_bcnt_u32_b32 v62, v62, v157
	ds_store_b32 v159, v62 offset:544
.LBB186_766:                            ;   in Loop: Header=BB186_722 Depth=2
	s_or_b32 exec_lo, exec_lo, s17
	v_and_b32_e32 v62, 0xff, v138
	; wave barrier
	s_delay_alu instid0(VALU_DEP_1) | instskip(NEXT) | instid1(VALU_DEP_1)
	v_lshrrev_b32_e32 v62, s49, v62
	v_and_b32_e32 v64, s48, v62
	s_delay_alu instid0(VALU_DEP_1) | instskip(SKIP_1) | instid1(VALU_DEP_1)
	v_lshlrev_b32_e32 v65, 30, v64
	v_bitop3_b32 v63, v62, 1, s48 bitop3:0x80
	v_add_co_u32 v62, s17, v63, -1
	s_delay_alu instid0(VALU_DEP_1) | instskip(NEXT) | instid1(VALU_DEP_4)
	v_cndmask_b32_e64 v63, 0, 1, s17
	v_cmp_gt_i32_e64 s17, 0, v65
	s_delay_alu instid0(VALU_DEP_2) | instskip(SKIP_2) | instid1(VALU_DEP_2)
	v_cmp_ne_u32_e32 vcc_lo, 0, v63
	v_not_b32_e32 v63, v65
	v_bitop3_b32 v62, vcc_lo, exec_lo, v62 bitop3:0x48
	v_dual_ashrrev_i32 v63, 31, v63 :: v_dual_lshlrev_b32 v160, 29, v64
	v_dual_lshlrev_b32 v161, 28, v64 :: v_dual_lshlrev_b32 v162, 27, v64
	v_lshlrev_b32_e32 v163, 26, v64
	s_delay_alu instid0(VALU_DEP_3)
	v_not_b32_e32 v65, v160
	v_lshlrev_b32_e32 v164, 25, v64
	v_cmp_gt_i32_e64 s18, 0, v160
	v_cmp_gt_i32_e64 s19, 0, v161
	v_not_b32_e32 v160, v161
	v_not_b32_e32 v161, v162
	v_ashrrev_i32_e32 v65, 31, v65
	v_cmp_gt_i32_e64 s20, 0, v162
	v_cmp_gt_i32_e64 s21, 0, v163
	v_not_b32_e32 v162, v163
	v_dual_ashrrev_i32 v160, 31, v160 :: v_dual_ashrrev_i32 v161, 31, v161
	v_xor_b32_e32 v63, s17, v63
	v_not_b32_e32 v163, v164
	s_delay_alu instid0(VALU_DEP_4) | instskip(NEXT) | instid1(VALU_DEP_4)
	v_dual_ashrrev_i32 v162, 31, v162 :: v_dual_bitop2_b32 v65, s18, v65 bitop3:0x14
	v_xor_b32_e32 v160, s19, v160
	v_xor_b32_e32 v161, s20, v161
	v_cmp_gt_i32_e32 vcc_lo, 0, v164
	s_delay_alu instid0(VALU_DEP_4) | instskip(SKIP_3) | instid1(VALU_DEP_4)
	v_bitop3_b32 v62, v62, v65, v63 bitop3:0x80
	v_ashrrev_i32_e32 v63, 31, v163
	v_mad_u32_u24 v65, v64, 36, v114
	v_xor_b32_e32 v162, s21, v162
	v_bitop3_b32 v62, v62, v161, v160 bitop3:0x80
	s_delay_alu instid0(VALU_DEP_4) | instskip(SKIP_3) | instid1(VALU_DEP_2)
	v_xor_b32_e32 v63, vcc_lo, v63
	ds_load_b32 v160, v65 offset:544
	; wave barrier
	v_bitop3_b32 v62, v62, v63, v162 bitop3:0x80
	v_mul_u32_u24_e32 v63, 36, v64
	v_mbcnt_lo_u32_b32 v161, v62, 0
	v_cmp_ne_u32_e64 s17, 0, v62
	s_delay_alu instid0(VALU_DEP_3) | instskip(NEXT) | instid1(VALU_DEP_3)
	v_add_nc_u32_e32 v162, v114, v63
	v_cmp_eq_u32_e32 vcc_lo, 0, v161
	s_and_b32 s18, s17, vcc_lo
	s_delay_alu instid0(SALU_CYCLE_1)
	s_and_saveexec_b32 s17, s18
	s_cbranch_execz .LBB186_768
; %bb.767:                              ;   in Loop: Header=BB186_722 Depth=2
	s_wait_dscnt 0x0
	v_bcnt_u32_b32 v62, v62, v160
	ds_store_b32 v162, v62 offset:544
.LBB186_768:                            ;   in Loop: Header=BB186_722 Depth=2
	s_or_b32 exec_lo, exec_lo, s17
	v_and_b32_e32 v62, 0xff, v139
	; wave barrier
	s_delay_alu instid0(VALU_DEP_1) | instskip(NEXT) | instid1(VALU_DEP_1)
	v_lshrrev_b32_e32 v62, s49, v62
	v_and_b32_e32 v64, s48, v62
	s_delay_alu instid0(VALU_DEP_1) | instskip(SKIP_1) | instid1(VALU_DEP_1)
	v_lshlrev_b32_e32 v65, 30, v64
	v_bitop3_b32 v63, v62, 1, s48 bitop3:0x80
	v_add_co_u32 v62, s17, v63, -1
	s_delay_alu instid0(VALU_DEP_1) | instskip(NEXT) | instid1(VALU_DEP_4)
	v_cndmask_b32_e64 v63, 0, 1, s17
	v_cmp_gt_i32_e64 s17, 0, v65
	s_delay_alu instid0(VALU_DEP_2) | instskip(SKIP_2) | instid1(VALU_DEP_2)
	v_cmp_ne_u32_e32 vcc_lo, 0, v63
	v_not_b32_e32 v63, v65
	v_bitop3_b32 v62, vcc_lo, exec_lo, v62 bitop3:0x48
	v_dual_ashrrev_i32 v63, 31, v63 :: v_dual_lshlrev_b32 v163, 29, v64
	v_dual_lshlrev_b32 v164, 28, v64 :: v_dual_lshlrev_b32 v165, 27, v64
	v_lshlrev_b32_e32 v166, 26, v64
	s_delay_alu instid0(VALU_DEP_3)
	v_not_b32_e32 v65, v163
	v_lshlrev_b32_e32 v167, 25, v64
	v_cmp_gt_i32_e64 s18, 0, v163
	v_cmp_gt_i32_e64 s19, 0, v164
	v_not_b32_e32 v163, v164
	v_not_b32_e32 v164, v165
	v_ashrrev_i32_e32 v65, 31, v65
	v_cmp_gt_i32_e64 s20, 0, v165
	v_cmp_gt_i32_e64 s21, 0, v166
	v_not_b32_e32 v165, v166
	v_dual_ashrrev_i32 v163, 31, v163 :: v_dual_ashrrev_i32 v164, 31, v164
	v_xor_b32_e32 v63, s17, v63
	v_not_b32_e32 v166, v167
	v_xor_b32_e32 v65, s18, v65
	s_delay_alu instid0(VALU_DEP_4) | instskip(SKIP_2) | instid1(VALU_DEP_4)
	v_dual_ashrrev_i32 v165, 31, v165 :: v_dual_bitop2_b32 v163, s19, v163 bitop3:0x14
	v_xor_b32_e32 v164, s20, v164
	v_cmp_gt_i32_e32 vcc_lo, 0, v167
	v_bitop3_b32 v62, v62, v65, v63 bitop3:0x80
	v_ashrrev_i32_e32 v63, 31, v166
	v_mad_u32_u24 v65, v64, 36, v114
	v_xor_b32_e32 v165, s21, v165
	s_delay_alu instid0(VALU_DEP_4) | instskip(NEXT) | instid1(VALU_DEP_4)
	v_bitop3_b32 v62, v62, v164, v163 bitop3:0x80
	v_xor_b32_e32 v63, vcc_lo, v63
	ds_load_b32 v163, v65 offset:544
	; wave barrier
	v_bitop3_b32 v62, v62, v63, v165 bitop3:0x80
	v_mul_u32_u24_e32 v63, 36, v64
	s_delay_alu instid0(VALU_DEP_2) | instskip(SKIP_1) | instid1(VALU_DEP_3)
	v_mbcnt_lo_u32_b32 v164, v62, 0
	v_cmp_ne_u32_e64 s17, 0, v62
	v_add_nc_u32_e32 v165, v114, v63
	s_delay_alu instid0(VALU_DEP_3) | instskip(SKIP_1) | instid1(SALU_CYCLE_1)
	v_cmp_eq_u32_e32 vcc_lo, 0, v164
	s_and_b32 s18, s17, vcc_lo
	s_and_saveexec_b32 s17, s18
	s_cbranch_execz .LBB186_770
; %bb.769:                              ;   in Loop: Header=BB186_722 Depth=2
	s_wait_dscnt 0x0
	v_bcnt_u32_b32 v62, v62, v163
	ds_store_b32 v165, v62 offset:544
.LBB186_770:                            ;   in Loop: Header=BB186_722 Depth=2
	s_or_b32 exec_lo, exec_lo, s17
	v_and_b32_e32 v62, 0xff, v140
	; wave barrier
	s_delay_alu instid0(VALU_DEP_1) | instskip(NEXT) | instid1(VALU_DEP_1)
	v_lshrrev_b32_e32 v62, s49, v62
	v_and_b32_e32 v64, s48, v62
	s_delay_alu instid0(VALU_DEP_1) | instskip(SKIP_1) | instid1(VALU_DEP_1)
	v_lshlrev_b32_e32 v65, 30, v64
	v_bitop3_b32 v63, v62, 1, s48 bitop3:0x80
	v_add_co_u32 v62, s17, v63, -1
	s_delay_alu instid0(VALU_DEP_1) | instskip(NEXT) | instid1(VALU_DEP_4)
	v_cndmask_b32_e64 v63, 0, 1, s17
	v_cmp_gt_i32_e64 s17, 0, v65
	s_delay_alu instid0(VALU_DEP_2) | instskip(SKIP_2) | instid1(VALU_DEP_2)
	v_cmp_ne_u32_e32 vcc_lo, 0, v63
	v_not_b32_e32 v63, v65
	v_bitop3_b32 v62, vcc_lo, exec_lo, v62 bitop3:0x48
	v_dual_ashrrev_i32 v63, 31, v63 :: v_dual_lshlrev_b32 v166, 29, v64
	v_dual_lshlrev_b32 v167, 28, v64 :: v_dual_lshlrev_b32 v168, 27, v64
	v_lshlrev_b32_e32 v169, 26, v64
	s_delay_alu instid0(VALU_DEP_3)
	v_not_b32_e32 v65, v166
	v_lshlrev_b32_e32 v170, 25, v64
	v_cmp_gt_i32_e64 s18, 0, v166
	v_cmp_gt_i32_e64 s19, 0, v167
	v_not_b32_e32 v166, v167
	v_not_b32_e32 v167, v168
	v_ashrrev_i32_e32 v65, 31, v65
	v_cmp_gt_i32_e64 s20, 0, v168
	v_cmp_gt_i32_e64 s21, 0, v169
	v_not_b32_e32 v168, v169
	v_dual_ashrrev_i32 v166, 31, v166 :: v_dual_ashrrev_i32 v167, 31, v167
	v_xor_b32_e32 v63, s17, v63
	v_xor_b32_e32 v65, s18, v65
	v_not_b32_e32 v169, v170
	s_delay_alu instid0(VALU_DEP_4) | instskip(SKIP_1) | instid1(VALU_DEP_4)
	v_dual_ashrrev_i32 v168, 31, v168 :: v_dual_bitop2_b32 v166, s19, v166 bitop3:0x14
	v_xor_b32_e32 v167, s20, v167
	v_bitop3_b32 v62, v62, v65, v63 bitop3:0x80
	v_cmp_gt_i32_e32 vcc_lo, 0, v170
	v_ashrrev_i32_e32 v63, 31, v169
	v_mad_u32_u24 v65, v64, 36, v114
	v_xor_b32_e32 v168, s21, v168
	v_bitop3_b32 v62, v62, v167, v166 bitop3:0x80
	s_delay_alu instid0(VALU_DEP_4) | instskip(SKIP_3) | instid1(VALU_DEP_2)
	v_xor_b32_e32 v63, vcc_lo, v63
	ds_load_b32 v166, v65 offset:544
	; wave barrier
	v_bitop3_b32 v62, v62, v63, v168 bitop3:0x80
	v_mul_u32_u24_e32 v63, 36, v64
	v_mbcnt_lo_u32_b32 v167, v62, 0
	v_cmp_ne_u32_e64 s17, 0, v62
	s_delay_alu instid0(VALU_DEP_3) | instskip(NEXT) | instid1(VALU_DEP_3)
	v_add_nc_u32_e32 v168, v114, v63
	v_cmp_eq_u32_e32 vcc_lo, 0, v167
	s_and_b32 s18, s17, vcc_lo
	s_delay_alu instid0(SALU_CYCLE_1)
	s_and_saveexec_b32 s17, s18
	s_cbranch_execz .LBB186_772
; %bb.771:                              ;   in Loop: Header=BB186_722 Depth=2
	s_wait_dscnt 0x0
	v_bcnt_u32_b32 v62, v62, v166
	ds_store_b32 v168, v62 offset:544
.LBB186_772:                            ;   in Loop: Header=BB186_722 Depth=2
	s_or_b32 exec_lo, exec_lo, s17
	v_and_b32_e32 v62, 0xff, v141
	; wave barrier
	s_delay_alu instid0(VALU_DEP_1) | instskip(NEXT) | instid1(VALU_DEP_1)
	v_lshrrev_b32_e32 v62, s49, v62
	v_and_b32_e32 v64, s48, v62
	s_delay_alu instid0(VALU_DEP_1) | instskip(SKIP_1) | instid1(VALU_DEP_1)
	v_lshlrev_b32_e32 v65, 30, v64
	v_bitop3_b32 v63, v62, 1, s48 bitop3:0x80
	v_add_co_u32 v62, s17, v63, -1
	s_delay_alu instid0(VALU_DEP_1) | instskip(NEXT) | instid1(VALU_DEP_4)
	v_cndmask_b32_e64 v63, 0, 1, s17
	v_cmp_gt_i32_e64 s17, 0, v65
	s_delay_alu instid0(VALU_DEP_2) | instskip(SKIP_2) | instid1(VALU_DEP_2)
	v_cmp_ne_u32_e32 vcc_lo, 0, v63
	v_not_b32_e32 v63, v65
	v_bitop3_b32 v62, vcc_lo, exec_lo, v62 bitop3:0x48
	v_dual_ashrrev_i32 v63, 31, v63 :: v_dual_lshlrev_b32 v169, 29, v64
	v_dual_lshlrev_b32 v170, 28, v64 :: v_dual_lshlrev_b32 v171, 27, v64
	s_delay_alu instid0(VALU_DEP_2) | instskip(NEXT) | instid1(VALU_DEP_3)
	v_dual_lshlrev_b32 v172, 26, v64 :: v_dual_bitop2_b32 v63, s17, v63 bitop3:0x14
	v_not_b32_e32 v65, v169
	v_lshlrev_b32_e32 v173, 25, v64
	v_cmp_gt_i32_e64 s18, 0, v169
	v_cmp_gt_i32_e64 s19, 0, v170
	v_not_b32_e32 v169, v170
	v_not_b32_e32 v170, v171
	v_ashrrev_i32_e32 v65, 31, v65
	v_cmp_gt_i32_e64 s20, 0, v171
	v_cmp_gt_i32_e64 s21, 0, v172
	v_not_b32_e32 v171, v172
	v_dual_ashrrev_i32 v169, 31, v169 :: v_dual_ashrrev_i32 v170, 31, v170
	v_xor_b32_e32 v65, s18, v65
	v_not_b32_e32 v172, v173
	s_delay_alu instid0(VALU_DEP_3) | instskip(NEXT) | instid1(VALU_DEP_4)
	v_dual_ashrrev_i32 v171, 31, v171 :: v_dual_bitop2_b32 v169, s19, v169 bitop3:0x14
	v_xor_b32_e32 v170, s20, v170
	s_delay_alu instid0(VALU_DEP_4)
	v_bitop3_b32 v62, v62, v65, v63 bitop3:0x80
	v_cmp_gt_i32_e32 vcc_lo, 0, v173
	v_ashrrev_i32_e32 v63, 31, v172
	v_mad_u32_u24 v65, v64, 36, v114
	v_xor_b32_e32 v171, s21, v171
	v_bitop3_b32 v62, v62, v170, v169 bitop3:0x80
	s_delay_alu instid0(VALU_DEP_4) | instskip(SKIP_3) | instid1(VALU_DEP_2)
	v_xor_b32_e32 v63, vcc_lo, v63
	ds_load_b32 v169, v65 offset:544
	; wave barrier
	v_bitop3_b32 v62, v62, v63, v171 bitop3:0x80
	v_mul_u32_u24_e32 v63, 36, v64
	v_mbcnt_lo_u32_b32 v170, v62, 0
	v_cmp_ne_u32_e64 s17, 0, v62
	s_delay_alu instid0(VALU_DEP_3) | instskip(NEXT) | instid1(VALU_DEP_3)
	v_add_nc_u32_e32 v171, v114, v63
	v_cmp_eq_u32_e32 vcc_lo, 0, v170
	s_and_b32 s18, s17, vcc_lo
	s_delay_alu instid0(SALU_CYCLE_1)
	s_and_saveexec_b32 s17, s18
	s_cbranch_execz .LBB186_774
; %bb.773:                              ;   in Loop: Header=BB186_722 Depth=2
	s_wait_dscnt 0x0
	v_bcnt_u32_b32 v62, v62, v169
	ds_store_b32 v171, v62 offset:544
.LBB186_774:                            ;   in Loop: Header=BB186_722 Depth=2
	s_or_b32 exec_lo, exec_lo, s17
	v_and_b32_e32 v62, 0xff, v142
	; wave barrier
	s_delay_alu instid0(VALU_DEP_1) | instskip(NEXT) | instid1(VALU_DEP_1)
	v_lshrrev_b32_e32 v62, s49, v62
	v_and_b32_e32 v64, s48, v62
	s_delay_alu instid0(VALU_DEP_1) | instskip(SKIP_1) | instid1(VALU_DEP_1)
	v_lshlrev_b32_e32 v65, 30, v64
	v_bitop3_b32 v63, v62, 1, s48 bitop3:0x80
	v_add_co_u32 v62, s17, v63, -1
	s_delay_alu instid0(VALU_DEP_1) | instskip(NEXT) | instid1(VALU_DEP_4)
	v_cndmask_b32_e64 v63, 0, 1, s17
	v_cmp_gt_i32_e64 s17, 0, v65
	s_delay_alu instid0(VALU_DEP_2) | instskip(SKIP_2) | instid1(VALU_DEP_2)
	v_cmp_ne_u32_e32 vcc_lo, 0, v63
	v_not_b32_e32 v63, v65
	v_bitop3_b32 v62, vcc_lo, exec_lo, v62 bitop3:0x48
	v_dual_ashrrev_i32 v63, 31, v63 :: v_dual_lshlrev_b32 v172, 29, v64
	v_dual_lshlrev_b32 v173, 28, v64 :: v_dual_lshlrev_b32 v174, 27, v64
	v_lshlrev_b32_e32 v175, 26, v64
	s_delay_alu instid0(VALU_DEP_3)
	v_not_b32_e32 v65, v172
	v_lshlrev_b32_e32 v176, 25, v64
	v_cmp_gt_i32_e64 s18, 0, v172
	v_cmp_gt_i32_e64 s19, 0, v173
	v_not_b32_e32 v172, v173
	v_not_b32_e32 v173, v174
	v_ashrrev_i32_e32 v65, 31, v65
	v_cmp_gt_i32_e64 s20, 0, v174
	v_cmp_gt_i32_e64 s21, 0, v175
	v_not_b32_e32 v174, v175
	v_dual_ashrrev_i32 v172, 31, v172 :: v_dual_ashrrev_i32 v173, 31, v173
	v_xor_b32_e32 v63, s17, v63
	v_not_b32_e32 v175, v176
	s_delay_alu instid0(VALU_DEP_4) | instskip(NEXT) | instid1(VALU_DEP_4)
	v_dual_ashrrev_i32 v174, 31, v174 :: v_dual_bitop2_b32 v65, s18, v65 bitop3:0x14
	v_xor_b32_e32 v172, s19, v172
	v_xor_b32_e32 v173, s20, v173
	v_cmp_gt_i32_e32 vcc_lo, 0, v176
	s_delay_alu instid0(VALU_DEP_4) | instskip(SKIP_3) | instid1(VALU_DEP_4)
	v_bitop3_b32 v62, v62, v65, v63 bitop3:0x80
	v_ashrrev_i32_e32 v63, 31, v175
	v_mad_u32_u24 v65, v64, 36, v114
	v_xor_b32_e32 v174, s21, v174
	v_bitop3_b32 v62, v62, v173, v172 bitop3:0x80
	s_delay_alu instid0(VALU_DEP_4) | instskip(SKIP_3) | instid1(VALU_DEP_2)
	v_xor_b32_e32 v63, vcc_lo, v63
	ds_load_b32 v172, v65 offset:544
	; wave barrier
	v_bitop3_b32 v62, v62, v63, v174 bitop3:0x80
	v_mul_u32_u24_e32 v63, 36, v64
	v_mbcnt_lo_u32_b32 v173, v62, 0
	v_cmp_ne_u32_e64 s17, 0, v62
	s_delay_alu instid0(VALU_DEP_3) | instskip(NEXT) | instid1(VALU_DEP_3)
	v_add_nc_u32_e32 v174, v114, v63
	v_cmp_eq_u32_e32 vcc_lo, 0, v173
	s_and_b32 s18, s17, vcc_lo
	s_delay_alu instid0(SALU_CYCLE_1)
	s_and_saveexec_b32 s17, s18
	s_cbranch_execz .LBB186_776
; %bb.775:                              ;   in Loop: Header=BB186_722 Depth=2
	s_wait_dscnt 0x0
	v_bcnt_u32_b32 v62, v62, v172
	ds_store_b32 v174, v62 offset:544
.LBB186_776:                            ;   in Loop: Header=BB186_722 Depth=2
	s_or_b32 exec_lo, exec_lo, s17
	v_and_b32_e32 v62, 0xff, v143
	; wave barrier
	s_delay_alu instid0(VALU_DEP_1) | instskip(NEXT) | instid1(VALU_DEP_1)
	v_lshrrev_b32_e32 v62, s49, v62
	v_and_b32_e32 v64, s48, v62
	s_delay_alu instid0(VALU_DEP_1) | instskip(SKIP_1) | instid1(VALU_DEP_1)
	v_lshlrev_b32_e32 v65, 30, v64
	v_bitop3_b32 v63, v62, 1, s48 bitop3:0x80
	v_add_co_u32 v62, s17, v63, -1
	s_delay_alu instid0(VALU_DEP_1) | instskip(NEXT) | instid1(VALU_DEP_4)
	v_cndmask_b32_e64 v63, 0, 1, s17
	v_cmp_gt_i32_e64 s17, 0, v65
	s_delay_alu instid0(VALU_DEP_2) | instskip(SKIP_2) | instid1(VALU_DEP_2)
	v_cmp_ne_u32_e32 vcc_lo, 0, v63
	v_not_b32_e32 v63, v65
	v_bitop3_b32 v62, vcc_lo, exec_lo, v62 bitop3:0x48
	v_dual_ashrrev_i32 v63, 31, v63 :: v_dual_lshlrev_b32 v175, 29, v64
	v_dual_lshlrev_b32 v176, 28, v64 :: v_dual_lshlrev_b32 v177, 27, v64
	v_lshlrev_b32_e32 v178, 26, v64
	s_delay_alu instid0(VALU_DEP_3)
	v_not_b32_e32 v65, v175
	v_lshlrev_b32_e32 v179, 25, v64
	v_cmp_gt_i32_e64 s18, 0, v175
	v_cmp_gt_i32_e64 s19, 0, v176
	v_not_b32_e32 v175, v176
	v_not_b32_e32 v176, v177
	v_ashrrev_i32_e32 v65, 31, v65
	v_cmp_gt_i32_e64 s20, 0, v177
	v_cmp_gt_i32_e64 s21, 0, v178
	v_not_b32_e32 v177, v178
	v_dual_ashrrev_i32 v175, 31, v175 :: v_dual_ashrrev_i32 v176, 31, v176
	v_xor_b32_e32 v63, s17, v63
	v_not_b32_e32 v178, v179
	v_xor_b32_e32 v65, s18, v65
	s_delay_alu instid0(VALU_DEP_4) | instskip(SKIP_2) | instid1(VALU_DEP_4)
	v_dual_ashrrev_i32 v177, 31, v177 :: v_dual_bitop2_b32 v175, s19, v175 bitop3:0x14
	v_xor_b32_e32 v176, s20, v176
	v_cmp_gt_i32_e32 vcc_lo, 0, v179
	v_bitop3_b32 v62, v62, v65, v63 bitop3:0x80
	v_ashrrev_i32_e32 v63, 31, v178
	v_mad_u32_u24 v65, v64, 36, v114
	v_xor_b32_e32 v177, s21, v177
	s_delay_alu instid0(VALU_DEP_4) | instskip(NEXT) | instid1(VALU_DEP_4)
	v_bitop3_b32 v62, v62, v176, v175 bitop3:0x80
	v_xor_b32_e32 v63, vcc_lo, v63
	ds_load_b32 v175, v65 offset:544
	; wave barrier
	v_bitop3_b32 v62, v62, v63, v177 bitop3:0x80
	v_mul_u32_u24_e32 v63, 36, v64
	s_delay_alu instid0(VALU_DEP_2) | instskip(SKIP_1) | instid1(VALU_DEP_3)
	v_mbcnt_lo_u32_b32 v176, v62, 0
	v_cmp_ne_u32_e64 s17, 0, v62
	v_add_nc_u32_e32 v177, v114, v63
	s_delay_alu instid0(VALU_DEP_3) | instskip(SKIP_1) | instid1(SALU_CYCLE_1)
	v_cmp_eq_u32_e32 vcc_lo, 0, v176
	s_and_b32 s18, s17, vcc_lo
	s_and_saveexec_b32 s17, s18
	s_cbranch_execz .LBB186_778
; %bb.777:                              ;   in Loop: Header=BB186_722 Depth=2
	s_wait_dscnt 0x0
	v_bcnt_u32_b32 v62, v62, v175
	ds_store_b32 v177, v62 offset:544
.LBB186_778:                            ;   in Loop: Header=BB186_722 Depth=2
	s_or_b32 exec_lo, exec_lo, s17
	v_and_b32_e32 v62, 0xff, v144
	; wave barrier
	s_delay_alu instid0(VALU_DEP_1) | instskip(NEXT) | instid1(VALU_DEP_1)
	v_lshrrev_b32_e32 v62, s49, v62
	v_and_b32_e32 v64, s48, v62
	s_delay_alu instid0(VALU_DEP_1) | instskip(SKIP_1) | instid1(VALU_DEP_1)
	v_lshlrev_b32_e32 v65, 30, v64
	v_bitop3_b32 v63, v62, 1, s48 bitop3:0x80
	v_add_co_u32 v62, s17, v63, -1
	s_delay_alu instid0(VALU_DEP_1) | instskip(NEXT) | instid1(VALU_DEP_4)
	v_cndmask_b32_e64 v63, 0, 1, s17
	v_cmp_gt_i32_e64 s17, 0, v65
	s_delay_alu instid0(VALU_DEP_2) | instskip(SKIP_2) | instid1(VALU_DEP_2)
	v_cmp_ne_u32_e32 vcc_lo, 0, v63
	v_not_b32_e32 v63, v65
	v_bitop3_b32 v62, vcc_lo, exec_lo, v62 bitop3:0x48
	v_dual_ashrrev_i32 v63, 31, v63 :: v_dual_lshlrev_b32 v178, 29, v64
	v_dual_lshlrev_b32 v179, 28, v64 :: v_dual_lshlrev_b32 v180, 27, v64
	v_lshlrev_b32_e32 v181, 26, v64
	s_delay_alu instid0(VALU_DEP_3)
	v_not_b32_e32 v65, v178
	v_lshlrev_b32_e32 v182, 25, v64
	v_cmp_gt_i32_e64 s18, 0, v178
	v_cmp_gt_i32_e64 s19, 0, v179
	v_not_b32_e32 v178, v179
	v_not_b32_e32 v179, v180
	v_ashrrev_i32_e32 v65, 31, v65
	v_cmp_gt_i32_e64 s20, 0, v180
	v_cmp_gt_i32_e64 s21, 0, v181
	v_not_b32_e32 v180, v181
	v_dual_ashrrev_i32 v178, 31, v178 :: v_dual_ashrrev_i32 v179, 31, v179
	v_xor_b32_e32 v63, s17, v63
	v_xor_b32_e32 v65, s18, v65
	v_not_b32_e32 v181, v182
	s_delay_alu instid0(VALU_DEP_4) | instskip(SKIP_1) | instid1(VALU_DEP_4)
	v_dual_ashrrev_i32 v180, 31, v180 :: v_dual_bitop2_b32 v178, s19, v178 bitop3:0x14
	v_xor_b32_e32 v179, s20, v179
	v_bitop3_b32 v62, v62, v65, v63 bitop3:0x80
	v_cmp_gt_i32_e32 vcc_lo, 0, v182
	v_ashrrev_i32_e32 v63, 31, v181
	v_mad_u32_u24 v65, v64, 36, v114
	v_xor_b32_e32 v180, s21, v180
	v_bitop3_b32 v62, v62, v179, v178 bitop3:0x80
	s_delay_alu instid0(VALU_DEP_4) | instskip(SKIP_3) | instid1(VALU_DEP_2)
	v_xor_b32_e32 v63, vcc_lo, v63
	ds_load_b32 v178, v65 offset:544
	; wave barrier
	v_bitop3_b32 v62, v62, v63, v180 bitop3:0x80
	v_mul_u32_u24_e32 v63, 36, v64
	v_mbcnt_lo_u32_b32 v179, v62, 0
	v_cmp_ne_u32_e64 s17, 0, v62
	s_delay_alu instid0(VALU_DEP_3) | instskip(NEXT) | instid1(VALU_DEP_3)
	v_add_nc_u32_e32 v180, v114, v63
	v_cmp_eq_u32_e32 vcc_lo, 0, v179
	s_and_b32 s18, s17, vcc_lo
	s_delay_alu instid0(SALU_CYCLE_1)
	s_and_saveexec_b32 s17, s18
	s_cbranch_execz .LBB186_780
; %bb.779:                              ;   in Loop: Header=BB186_722 Depth=2
	s_wait_dscnt 0x0
	v_bcnt_u32_b32 v62, v62, v178
	ds_store_b32 v180, v62 offset:544
.LBB186_780:                            ;   in Loop: Header=BB186_722 Depth=2
	s_or_b32 exec_lo, exec_lo, s17
	v_and_b32_e32 v62, 0xff, v145
	; wave barrier
	s_delay_alu instid0(VALU_DEP_1) | instskip(NEXT) | instid1(VALU_DEP_1)
	v_lshrrev_b32_e32 v62, s49, v62
	v_and_b32_e32 v64, s48, v62
	s_delay_alu instid0(VALU_DEP_1) | instskip(SKIP_1) | instid1(VALU_DEP_1)
	v_lshlrev_b32_e32 v65, 30, v64
	v_bitop3_b32 v63, v62, 1, s48 bitop3:0x80
	v_add_co_u32 v62, s17, v63, -1
	s_delay_alu instid0(VALU_DEP_1) | instskip(NEXT) | instid1(VALU_DEP_4)
	v_cndmask_b32_e64 v63, 0, 1, s17
	v_cmp_gt_i32_e64 s17, 0, v65
	s_delay_alu instid0(VALU_DEP_2) | instskip(SKIP_2) | instid1(VALU_DEP_2)
	v_cmp_ne_u32_e32 vcc_lo, 0, v63
	v_not_b32_e32 v63, v65
	v_bitop3_b32 v62, vcc_lo, exec_lo, v62 bitop3:0x48
	v_dual_ashrrev_i32 v63, 31, v63 :: v_dual_lshlrev_b32 v181, 29, v64
	v_dual_lshlrev_b32 v182, 28, v64 :: v_dual_lshlrev_b32 v183, 27, v64
	s_delay_alu instid0(VALU_DEP_2) | instskip(NEXT) | instid1(VALU_DEP_3)
	v_dual_lshlrev_b32 v184, 26, v64 :: v_dual_bitop2_b32 v63, s17, v63 bitop3:0x14
	v_not_b32_e32 v65, v181
	v_lshlrev_b32_e32 v185, 25, v64
	v_cmp_gt_i32_e64 s18, 0, v181
	v_cmp_gt_i32_e64 s19, 0, v182
	v_not_b32_e32 v181, v182
	v_not_b32_e32 v182, v183
	v_ashrrev_i32_e32 v65, 31, v65
	v_cmp_gt_i32_e64 s20, 0, v183
	v_cmp_gt_i32_e64 s21, 0, v184
	v_not_b32_e32 v183, v184
	v_dual_ashrrev_i32 v181, 31, v181 :: v_dual_ashrrev_i32 v182, 31, v182
	v_xor_b32_e32 v65, s18, v65
	v_not_b32_e32 v184, v185
	s_delay_alu instid0(VALU_DEP_3) | instskip(NEXT) | instid1(VALU_DEP_4)
	v_dual_ashrrev_i32 v183, 31, v183 :: v_dual_bitop2_b32 v181, s19, v181 bitop3:0x14
	v_xor_b32_e32 v182, s20, v182
	s_delay_alu instid0(VALU_DEP_4)
	v_bitop3_b32 v62, v62, v65, v63 bitop3:0x80
	v_cmp_gt_i32_e32 vcc_lo, 0, v185
	v_ashrrev_i32_e32 v63, 31, v184
	v_mad_u32_u24 v65, v64, 36, v114
	v_xor_b32_e32 v183, s21, v183
	v_bitop3_b32 v62, v62, v182, v181 bitop3:0x80
	s_delay_alu instid0(VALU_DEP_4) | instskip(SKIP_3) | instid1(VALU_DEP_2)
	v_xor_b32_e32 v63, vcc_lo, v63
	ds_load_b32 v181, v65 offset:544
	; wave barrier
	v_bitop3_b32 v62, v62, v63, v183 bitop3:0x80
	v_mul_u32_u24_e32 v63, 36, v64
	v_mbcnt_lo_u32_b32 v182, v62, 0
	v_cmp_ne_u32_e64 s17, 0, v62
	s_delay_alu instid0(VALU_DEP_3) | instskip(NEXT) | instid1(VALU_DEP_3)
	v_add_nc_u32_e32 v183, v114, v63
	v_cmp_eq_u32_e32 vcc_lo, 0, v182
	s_and_b32 s18, s17, vcc_lo
	s_delay_alu instid0(SALU_CYCLE_1)
	s_and_saveexec_b32 s17, s18
	s_cbranch_execz .LBB186_782
; %bb.781:                              ;   in Loop: Header=BB186_722 Depth=2
	s_wait_dscnt 0x0
	v_bcnt_u32_b32 v62, v62, v181
	ds_store_b32 v183, v62 offset:544
.LBB186_782:                            ;   in Loop: Header=BB186_722 Depth=2
	s_or_b32 exec_lo, exec_lo, s17
	v_and_b32_e32 v62, 0xff, v146
	; wave barrier
	s_delay_alu instid0(VALU_DEP_1) | instskip(NEXT) | instid1(VALU_DEP_1)
	v_lshrrev_b32_e32 v62, s49, v62
	v_and_b32_e32 v64, s48, v62
	s_delay_alu instid0(VALU_DEP_1) | instskip(SKIP_1) | instid1(VALU_DEP_1)
	v_lshlrev_b32_e32 v65, 30, v64
	v_bitop3_b32 v63, v62, 1, s48 bitop3:0x80
	v_add_co_u32 v62, s17, v63, -1
	s_delay_alu instid0(VALU_DEP_1) | instskip(NEXT) | instid1(VALU_DEP_4)
	v_cndmask_b32_e64 v63, 0, 1, s17
	v_cmp_gt_i32_e64 s17, 0, v65
	s_delay_alu instid0(VALU_DEP_2) | instskip(SKIP_2) | instid1(VALU_DEP_2)
	v_cmp_ne_u32_e32 vcc_lo, 0, v63
	v_not_b32_e32 v63, v65
	v_bitop3_b32 v62, vcc_lo, exec_lo, v62 bitop3:0x48
	v_dual_ashrrev_i32 v63, 31, v63 :: v_dual_lshlrev_b32 v184, 29, v64
	v_dual_lshlrev_b32 v185, 28, v64 :: v_dual_lshlrev_b32 v186, 27, v64
	v_lshlrev_b32_e32 v187, 26, v64
	s_delay_alu instid0(VALU_DEP_3)
	v_not_b32_e32 v65, v184
	v_lshlrev_b32_e32 v188, 25, v64
	v_cmp_gt_i32_e64 s18, 0, v184
	v_cmp_gt_i32_e64 s19, 0, v185
	v_not_b32_e32 v184, v185
	v_not_b32_e32 v185, v186
	v_ashrrev_i32_e32 v65, 31, v65
	v_cmp_gt_i32_e64 s20, 0, v186
	v_cmp_gt_i32_e64 s21, 0, v187
	v_not_b32_e32 v186, v187
	v_dual_ashrrev_i32 v184, 31, v184 :: v_dual_ashrrev_i32 v185, 31, v185
	v_xor_b32_e32 v63, s17, v63
	v_not_b32_e32 v187, v188
	s_delay_alu instid0(VALU_DEP_4) | instskip(NEXT) | instid1(VALU_DEP_4)
	v_dual_ashrrev_i32 v186, 31, v186 :: v_dual_bitop2_b32 v65, s18, v65 bitop3:0x14
	v_xor_b32_e32 v184, s19, v184
	v_xor_b32_e32 v185, s20, v185
	v_cmp_gt_i32_e32 vcc_lo, 0, v188
	s_delay_alu instid0(VALU_DEP_4) | instskip(SKIP_3) | instid1(VALU_DEP_4)
	v_bitop3_b32 v62, v62, v65, v63 bitop3:0x80
	v_ashrrev_i32_e32 v63, 31, v187
	v_mad_u32_u24 v65, v64, 36, v114
	v_xor_b32_e32 v186, s21, v186
	v_bitop3_b32 v62, v62, v185, v184 bitop3:0x80
	s_delay_alu instid0(VALU_DEP_4) | instskip(SKIP_3) | instid1(VALU_DEP_2)
	v_xor_b32_e32 v63, vcc_lo, v63
	ds_load_b32 v184, v65 offset:544
	; wave barrier
	v_bitop3_b32 v62, v62, v63, v186 bitop3:0x80
	v_mul_u32_u24_e32 v63, 36, v64
	v_mbcnt_lo_u32_b32 v185, v62, 0
	v_cmp_ne_u32_e64 s17, 0, v62
	s_delay_alu instid0(VALU_DEP_3) | instskip(NEXT) | instid1(VALU_DEP_3)
	v_add_nc_u32_e32 v186, v114, v63
	v_cmp_eq_u32_e32 vcc_lo, 0, v185
	s_and_b32 s18, s17, vcc_lo
	s_delay_alu instid0(SALU_CYCLE_1)
	s_and_saveexec_b32 s17, s18
	s_cbranch_execz .LBB186_784
; %bb.783:                              ;   in Loop: Header=BB186_722 Depth=2
	s_wait_dscnt 0x0
	v_bcnt_u32_b32 v62, v62, v184
	ds_store_b32 v186, v62 offset:544
.LBB186_784:                            ;   in Loop: Header=BB186_722 Depth=2
	s_or_b32 exec_lo, exec_lo, s17
	v_and_b32_e32 v62, 0xff, v147
	; wave barrier
	s_delay_alu instid0(VALU_DEP_1) | instskip(NEXT) | instid1(VALU_DEP_1)
	v_lshrrev_b32_e32 v62, s49, v62
	v_and_b32_e32 v64, s48, v62
	s_delay_alu instid0(VALU_DEP_1) | instskip(SKIP_1) | instid1(VALU_DEP_1)
	v_lshlrev_b32_e32 v65, 30, v64
	v_bitop3_b32 v63, v62, 1, s48 bitop3:0x80
	v_add_co_u32 v62, s17, v63, -1
	s_delay_alu instid0(VALU_DEP_1) | instskip(NEXT) | instid1(VALU_DEP_4)
	v_cndmask_b32_e64 v63, 0, 1, s17
	v_cmp_gt_i32_e64 s17, 0, v65
	s_delay_alu instid0(VALU_DEP_2) | instskip(SKIP_2) | instid1(VALU_DEP_2)
	v_cmp_ne_u32_e32 vcc_lo, 0, v63
	v_not_b32_e32 v63, v65
	v_bitop3_b32 v62, vcc_lo, exec_lo, v62 bitop3:0x48
	v_dual_ashrrev_i32 v63, 31, v63 :: v_dual_lshlrev_b32 v187, 29, v64
	v_dual_lshlrev_b32 v188, 28, v64 :: v_dual_lshlrev_b32 v189, 27, v64
	v_lshlrev_b32_e32 v190, 26, v64
	s_delay_alu instid0(VALU_DEP_3)
	v_not_b32_e32 v65, v187
	v_lshlrev_b32_e32 v191, 25, v64
	v_cmp_gt_i32_e64 s18, 0, v187
	v_cmp_gt_i32_e64 s19, 0, v188
	v_not_b32_e32 v187, v188
	v_not_b32_e32 v188, v189
	v_ashrrev_i32_e32 v65, 31, v65
	v_cmp_gt_i32_e64 s20, 0, v189
	v_cmp_gt_i32_e64 s21, 0, v190
	v_not_b32_e32 v189, v190
	v_dual_ashrrev_i32 v187, 31, v187 :: v_dual_ashrrev_i32 v188, 31, v188
	v_xor_b32_e32 v63, s17, v63
	v_not_b32_e32 v190, v191
	v_xor_b32_e32 v65, s18, v65
	s_delay_alu instid0(VALU_DEP_4) | instskip(SKIP_2) | instid1(VALU_DEP_4)
	v_dual_ashrrev_i32 v189, 31, v189 :: v_dual_bitop2_b32 v187, s19, v187 bitop3:0x14
	v_xor_b32_e32 v188, s20, v188
	v_cmp_gt_i32_e32 vcc_lo, 0, v191
	v_bitop3_b32 v62, v62, v65, v63 bitop3:0x80
	v_ashrrev_i32_e32 v63, 31, v190
	v_mad_u32_u24 v65, v64, 36, v114
	v_xor_b32_e32 v189, s21, v189
	s_delay_alu instid0(VALU_DEP_4) | instskip(NEXT) | instid1(VALU_DEP_4)
	v_bitop3_b32 v62, v62, v188, v187 bitop3:0x80
	v_xor_b32_e32 v63, vcc_lo, v63
	ds_load_b32 v187, v65 offset:544
	; wave barrier
	v_bitop3_b32 v62, v62, v63, v189 bitop3:0x80
	v_mul_u32_u24_e32 v63, 36, v64
	s_delay_alu instid0(VALU_DEP_2) | instskip(SKIP_1) | instid1(VALU_DEP_3)
	v_mbcnt_lo_u32_b32 v188, v62, 0
	v_cmp_ne_u32_e64 s17, 0, v62
	v_add_nc_u32_e32 v189, v114, v63
	s_delay_alu instid0(VALU_DEP_3) | instskip(SKIP_1) | instid1(SALU_CYCLE_1)
	v_cmp_eq_u32_e32 vcc_lo, 0, v188
	s_and_b32 s18, s17, vcc_lo
	s_and_saveexec_b32 s17, s18
	s_cbranch_execz .LBB186_786
; %bb.785:                              ;   in Loop: Header=BB186_722 Depth=2
	s_wait_dscnt 0x0
	v_bcnt_u32_b32 v62, v62, v187
	ds_store_b32 v189, v62 offset:544
.LBB186_786:                            ;   in Loop: Header=BB186_722 Depth=2
	s_or_b32 exec_lo, exec_lo, s17
	v_and_b32_e32 v62, 0xff, v148
	; wave barrier
	s_delay_alu instid0(VALU_DEP_1) | instskip(NEXT) | instid1(VALU_DEP_1)
	v_lshrrev_b32_e32 v62, s49, v62
	v_and_b32_e32 v64, s48, v62
	s_delay_alu instid0(VALU_DEP_1) | instskip(SKIP_1) | instid1(VALU_DEP_1)
	v_lshlrev_b32_e32 v65, 30, v64
	v_bitop3_b32 v63, v62, 1, s48 bitop3:0x80
	v_add_co_u32 v62, s17, v63, -1
	s_delay_alu instid0(VALU_DEP_1) | instskip(NEXT) | instid1(VALU_DEP_4)
	v_cndmask_b32_e64 v63, 0, 1, s17
	v_cmp_gt_i32_e64 s17, 0, v65
	s_delay_alu instid0(VALU_DEP_2) | instskip(SKIP_2) | instid1(VALU_DEP_2)
	v_cmp_ne_u32_e32 vcc_lo, 0, v63
	v_not_b32_e32 v63, v65
	v_bitop3_b32 v62, vcc_lo, exec_lo, v62 bitop3:0x48
	v_dual_ashrrev_i32 v63, 31, v63 :: v_dual_lshlrev_b32 v190, 29, v64
	v_dual_lshlrev_b32 v191, 28, v64 :: v_dual_lshlrev_b32 v192, 27, v64
	v_lshlrev_b32_e32 v193, 26, v64
	s_delay_alu instid0(VALU_DEP_3)
	v_not_b32_e32 v65, v190
	v_lshlrev_b32_e32 v194, 25, v64
	v_cmp_gt_i32_e64 s18, 0, v190
	v_cmp_gt_i32_e64 s19, 0, v191
	v_not_b32_e32 v190, v191
	v_not_b32_e32 v191, v192
	v_ashrrev_i32_e32 v65, 31, v65
	v_cmp_gt_i32_e64 s20, 0, v192
	v_cmp_gt_i32_e64 s21, 0, v193
	v_not_b32_e32 v192, v193
	v_dual_ashrrev_i32 v190, 31, v190 :: v_dual_ashrrev_i32 v191, 31, v191
	v_xor_b32_e32 v63, s17, v63
	v_xor_b32_e32 v65, s18, v65
	v_not_b32_e32 v193, v194
	s_delay_alu instid0(VALU_DEP_4) | instskip(SKIP_1) | instid1(VALU_DEP_4)
	v_dual_ashrrev_i32 v192, 31, v192 :: v_dual_bitop2_b32 v190, s19, v190 bitop3:0x14
	v_xor_b32_e32 v191, s20, v191
	v_bitop3_b32 v62, v62, v65, v63 bitop3:0x80
	v_cmp_gt_i32_e32 vcc_lo, 0, v194
	v_ashrrev_i32_e32 v63, 31, v193
	v_mad_u32_u24 v65, v64, 36, v114
	v_xor_b32_e32 v192, s21, v192
	v_bitop3_b32 v62, v62, v191, v190 bitop3:0x80
	s_delay_alu instid0(VALU_DEP_4) | instskip(SKIP_3) | instid1(VALU_DEP_2)
	v_xor_b32_e32 v63, vcc_lo, v63
	ds_load_b32 v190, v65 offset:544
	; wave barrier
	v_bitop3_b32 v62, v62, v63, v192 bitop3:0x80
	v_mul_u32_u24_e32 v63, 36, v64
	v_mbcnt_lo_u32_b32 v191, v62, 0
	v_cmp_ne_u32_e64 s17, 0, v62
	s_delay_alu instid0(VALU_DEP_3) | instskip(NEXT) | instid1(VALU_DEP_3)
	v_add_nc_u32_e32 v192, v114, v63
	v_cmp_eq_u32_e32 vcc_lo, 0, v191
	s_and_b32 s18, s17, vcc_lo
	s_delay_alu instid0(SALU_CYCLE_1)
	s_and_saveexec_b32 s17, s18
	s_cbranch_execz .LBB186_788
; %bb.787:                              ;   in Loop: Header=BB186_722 Depth=2
	s_wait_dscnt 0x0
	v_bcnt_u32_b32 v62, v62, v190
	ds_store_b32 v192, v62 offset:544
.LBB186_788:                            ;   in Loop: Header=BB186_722 Depth=2
	s_or_b32 exec_lo, exec_lo, s17
	v_and_b32_e32 v62, 0xff, v149
	; wave barrier
	s_delay_alu instid0(VALU_DEP_1) | instskip(NEXT) | instid1(VALU_DEP_1)
	v_lshrrev_b32_e32 v62, s49, v62
	v_and_b32_e32 v64, s48, v62
	s_delay_alu instid0(VALU_DEP_1) | instskip(SKIP_1) | instid1(VALU_DEP_1)
	v_lshlrev_b32_e32 v65, 30, v64
	v_bitop3_b32 v63, v62, 1, s48 bitop3:0x80
	v_add_co_u32 v62, s17, v63, -1
	s_delay_alu instid0(VALU_DEP_1) | instskip(NEXT) | instid1(VALU_DEP_4)
	v_cndmask_b32_e64 v63, 0, 1, s17
	v_cmp_gt_i32_e64 s17, 0, v65
	s_delay_alu instid0(VALU_DEP_2) | instskip(SKIP_2) | instid1(VALU_DEP_2)
	v_cmp_ne_u32_e32 vcc_lo, 0, v63
	v_not_b32_e32 v63, v65
	v_bitop3_b32 v62, vcc_lo, exec_lo, v62 bitop3:0x48
	v_dual_ashrrev_i32 v63, 31, v63 :: v_dual_lshlrev_b32 v193, 29, v64
	v_dual_lshlrev_b32 v194, 28, v64 :: v_dual_lshlrev_b32 v195, 27, v64
	s_delay_alu instid0(VALU_DEP_2) | instskip(NEXT) | instid1(VALU_DEP_3)
	v_dual_lshlrev_b32 v196, 26, v64 :: v_dual_bitop2_b32 v63, s17, v63 bitop3:0x14
	v_not_b32_e32 v65, v193
	v_lshlrev_b32_e32 v197, 25, v64
	v_cmp_gt_i32_e64 s18, 0, v193
	v_cmp_gt_i32_e64 s19, 0, v194
	v_not_b32_e32 v193, v194
	v_not_b32_e32 v194, v195
	v_ashrrev_i32_e32 v65, 31, v65
	v_cmp_gt_i32_e64 s20, 0, v195
	v_cmp_gt_i32_e64 s21, 0, v196
	v_not_b32_e32 v195, v196
	v_dual_ashrrev_i32 v193, 31, v193 :: v_dual_ashrrev_i32 v194, 31, v194
	v_xor_b32_e32 v65, s18, v65
	v_not_b32_e32 v196, v197
	s_delay_alu instid0(VALU_DEP_3) | instskip(NEXT) | instid1(VALU_DEP_4)
	v_dual_ashrrev_i32 v195, 31, v195 :: v_dual_bitop2_b32 v193, s19, v193 bitop3:0x14
	v_xor_b32_e32 v194, s20, v194
	s_delay_alu instid0(VALU_DEP_4)
	v_bitop3_b32 v62, v62, v65, v63 bitop3:0x80
	v_cmp_gt_i32_e32 vcc_lo, 0, v197
	v_ashrrev_i32_e32 v63, 31, v196
	v_mad_u32_u24 v65, v64, 36, v114
	v_xor_b32_e32 v195, s21, v195
	v_bitop3_b32 v62, v62, v194, v193 bitop3:0x80
	s_delay_alu instid0(VALU_DEP_4) | instskip(SKIP_3) | instid1(VALU_DEP_2)
	v_xor_b32_e32 v63, vcc_lo, v63
	ds_load_b32 v193, v65 offset:544
	; wave barrier
	v_bitop3_b32 v62, v62, v63, v195 bitop3:0x80
	v_mul_u32_u24_e32 v63, 36, v64
	v_mbcnt_lo_u32_b32 v194, v62, 0
	v_cmp_ne_u32_e64 s17, 0, v62
	s_delay_alu instid0(VALU_DEP_3) | instskip(NEXT) | instid1(VALU_DEP_3)
	v_add_nc_u32_e32 v195, v114, v63
	v_cmp_eq_u32_e32 vcc_lo, 0, v194
	s_and_b32 s18, s17, vcc_lo
	s_delay_alu instid0(SALU_CYCLE_1)
	s_and_saveexec_b32 s17, s18
	s_cbranch_execz .LBB186_790
; %bb.789:                              ;   in Loop: Header=BB186_722 Depth=2
	s_wait_dscnt 0x0
	v_bcnt_u32_b32 v62, v62, v193
	ds_store_b32 v195, v62 offset:544
.LBB186_790:                            ;   in Loop: Header=BB186_722 Depth=2
	s_or_b32 exec_lo, exec_lo, s17
	v_and_b32_e32 v62, 0xff, v150
	; wave barrier
	s_delay_alu instid0(VALU_DEP_1) | instskip(NEXT) | instid1(VALU_DEP_1)
	v_lshrrev_b32_e32 v62, s49, v62
	v_and_b32_e32 v64, s48, v62
	s_delay_alu instid0(VALU_DEP_1) | instskip(SKIP_1) | instid1(VALU_DEP_1)
	v_lshlrev_b32_e32 v65, 30, v64
	v_bitop3_b32 v63, v62, 1, s48 bitop3:0x80
	v_add_co_u32 v62, s17, v63, -1
	s_delay_alu instid0(VALU_DEP_1) | instskip(NEXT) | instid1(VALU_DEP_4)
	v_cndmask_b32_e64 v63, 0, 1, s17
	v_cmp_gt_i32_e64 s17, 0, v65
	s_delay_alu instid0(VALU_DEP_2) | instskip(SKIP_2) | instid1(VALU_DEP_2)
	v_cmp_ne_u32_e32 vcc_lo, 0, v63
	v_not_b32_e32 v63, v65
	v_bitop3_b32 v62, vcc_lo, exec_lo, v62 bitop3:0x48
	v_dual_ashrrev_i32 v63, 31, v63 :: v_dual_lshlrev_b32 v196, 29, v64
	v_dual_lshlrev_b32 v197, 28, v64 :: v_dual_lshlrev_b32 v198, 27, v64
	v_lshlrev_b32_e32 v199, 26, v64
	s_delay_alu instid0(VALU_DEP_3)
	v_not_b32_e32 v65, v196
	v_lshlrev_b32_e32 v200, 25, v64
	v_cmp_gt_i32_e64 s18, 0, v196
	v_cmp_gt_i32_e64 s19, 0, v197
	v_not_b32_e32 v196, v197
	v_not_b32_e32 v197, v198
	v_ashrrev_i32_e32 v65, 31, v65
	v_cmp_gt_i32_e64 s20, 0, v198
	v_cmp_gt_i32_e64 s21, 0, v199
	v_not_b32_e32 v198, v199
	v_dual_ashrrev_i32 v196, 31, v196 :: v_dual_ashrrev_i32 v197, 31, v197
	v_xor_b32_e32 v63, s17, v63
	v_not_b32_e32 v199, v200
	s_delay_alu instid0(VALU_DEP_4) | instskip(NEXT) | instid1(VALU_DEP_4)
	v_dual_ashrrev_i32 v198, 31, v198 :: v_dual_bitop2_b32 v65, s18, v65 bitop3:0x14
	v_xor_b32_e32 v196, s19, v196
	v_xor_b32_e32 v197, s20, v197
	v_cmp_gt_i32_e32 vcc_lo, 0, v200
	s_delay_alu instid0(VALU_DEP_4) | instskip(SKIP_3) | instid1(VALU_DEP_4)
	v_bitop3_b32 v62, v62, v65, v63 bitop3:0x80
	v_ashrrev_i32_e32 v63, 31, v199
	v_mad_u32_u24 v65, v64, 36, v114
	v_xor_b32_e32 v198, s21, v198
	v_bitop3_b32 v62, v62, v197, v196 bitop3:0x80
	s_delay_alu instid0(VALU_DEP_4) | instskip(SKIP_3) | instid1(VALU_DEP_2)
	v_xor_b32_e32 v63, vcc_lo, v63
	ds_load_b32 v196, v65 offset:544
	; wave barrier
	v_bitop3_b32 v62, v62, v63, v198 bitop3:0x80
	v_mul_u32_u24_e32 v63, 36, v64
	v_mbcnt_lo_u32_b32 v197, v62, 0
	v_cmp_ne_u32_e64 s17, 0, v62
	s_delay_alu instid0(VALU_DEP_3) | instskip(NEXT) | instid1(VALU_DEP_3)
	v_add_nc_u32_e32 v198, v114, v63
	v_cmp_eq_u32_e32 vcc_lo, 0, v197
	s_and_b32 s18, s17, vcc_lo
	s_delay_alu instid0(SALU_CYCLE_1)
	s_and_saveexec_b32 s17, s18
	s_cbranch_execz .LBB186_792
; %bb.791:                              ;   in Loop: Header=BB186_722 Depth=2
	s_wait_dscnt 0x0
	v_bcnt_u32_b32 v62, v62, v196
	ds_store_b32 v198, v62 offset:544
.LBB186_792:                            ;   in Loop: Header=BB186_722 Depth=2
	s_or_b32 exec_lo, exec_lo, s17
	v_and_b32_e32 v62, 0xff, v151
	; wave barrier
	s_delay_alu instid0(VALU_DEP_1) | instskip(NEXT) | instid1(VALU_DEP_1)
	v_lshrrev_b32_e32 v62, s49, v62
	v_and_b32_e32 v64, s48, v62
	s_delay_alu instid0(VALU_DEP_1) | instskip(SKIP_1) | instid1(VALU_DEP_1)
	v_lshlrev_b32_e32 v65, 30, v64
	v_bitop3_b32 v63, v62, 1, s48 bitop3:0x80
	v_add_co_u32 v62, s17, v63, -1
	s_delay_alu instid0(VALU_DEP_1) | instskip(NEXT) | instid1(VALU_DEP_4)
	v_cndmask_b32_e64 v63, 0, 1, s17
	v_cmp_gt_i32_e64 s17, 0, v65
	s_delay_alu instid0(VALU_DEP_2) | instskip(SKIP_2) | instid1(VALU_DEP_2)
	v_cmp_ne_u32_e32 vcc_lo, 0, v63
	v_not_b32_e32 v63, v65
	v_bitop3_b32 v62, vcc_lo, exec_lo, v62 bitop3:0x48
	v_dual_ashrrev_i32 v63, 31, v63 :: v_dual_lshlrev_b32 v199, 29, v64
	v_dual_lshlrev_b32 v200, 28, v64 :: v_dual_lshlrev_b32 v201, 27, v64
	v_lshlrev_b32_e32 v202, 26, v64
	s_delay_alu instid0(VALU_DEP_3)
	v_not_b32_e32 v65, v199
	v_lshlrev_b32_e32 v203, 25, v64
	v_cmp_gt_i32_e64 s18, 0, v199
	v_cmp_gt_i32_e64 s19, 0, v200
	v_not_b32_e32 v199, v200
	v_not_b32_e32 v200, v201
	v_ashrrev_i32_e32 v65, 31, v65
	v_cmp_gt_i32_e64 s20, 0, v201
	v_cmp_gt_i32_e64 s21, 0, v202
	v_not_b32_e32 v201, v202
	v_dual_ashrrev_i32 v199, 31, v199 :: v_dual_ashrrev_i32 v200, 31, v200
	v_xor_b32_e32 v63, s17, v63
	v_not_b32_e32 v202, v203
	v_xor_b32_e32 v65, s18, v65
	s_delay_alu instid0(VALU_DEP_4) | instskip(SKIP_2) | instid1(VALU_DEP_4)
	v_dual_ashrrev_i32 v201, 31, v201 :: v_dual_bitop2_b32 v199, s19, v199 bitop3:0x14
	v_xor_b32_e32 v200, s20, v200
	v_cmp_gt_i32_e32 vcc_lo, 0, v203
	v_bitop3_b32 v62, v62, v65, v63 bitop3:0x80
	v_ashrrev_i32_e32 v63, 31, v202
	v_mad_u32_u24 v65, v64, 36, v114
	v_xor_b32_e32 v201, s21, v201
	s_delay_alu instid0(VALU_DEP_4) | instskip(NEXT) | instid1(VALU_DEP_4)
	v_bitop3_b32 v62, v62, v200, v199 bitop3:0x80
	v_xor_b32_e32 v63, vcc_lo, v63
	ds_load_b32 v199, v65 offset:544
	; wave barrier
	v_bitop3_b32 v62, v62, v63, v201 bitop3:0x80
	v_mul_u32_u24_e32 v63, 36, v64
	s_delay_alu instid0(VALU_DEP_2) | instskip(SKIP_1) | instid1(VALU_DEP_3)
	v_mbcnt_lo_u32_b32 v200, v62, 0
	v_cmp_ne_u32_e64 s17, 0, v62
	v_add_nc_u32_e32 v201, v114, v63
	s_delay_alu instid0(VALU_DEP_3) | instskip(SKIP_1) | instid1(SALU_CYCLE_1)
	v_cmp_eq_u32_e32 vcc_lo, 0, v200
	s_and_b32 s18, s17, vcc_lo
	s_and_saveexec_b32 s17, s18
	s_cbranch_execz .LBB186_794
; %bb.793:                              ;   in Loop: Header=BB186_722 Depth=2
	s_wait_dscnt 0x0
	v_bcnt_u32_b32 v62, v62, v199
	ds_store_b32 v201, v62 offset:544
.LBB186_794:                            ;   in Loop: Header=BB186_722 Depth=2
	s_or_b32 exec_lo, exec_lo, s17
	; wave barrier
	s_wait_dscnt 0x0
	s_barrier_signal -1
	s_barrier_wait -1
	ds_load_2addr_b32 v[64:65], v90 offset0:136 offset1:137
	ds_load_2addr_b32 v[62:63], v90 offset0:138 offset1:139
	ds_load_b32 v202, v90 offset:560
	s_wait_dscnt 0x1
	v_add3_u32 v203, v65, v64, v62
	s_wait_dscnt 0x0
	s_delay_alu instid0(VALU_DEP_1) | instskip(NEXT) | instid1(VALU_DEP_1)
	v_add3_u32 v202, v203, v63, v202
	v_mov_b32_dpp v203, v202 row_shr:1 row_mask:0xf bank_mask:0xf
	s_delay_alu instid0(VALU_DEP_1) | instskip(NEXT) | instid1(VALU_DEP_1)
	v_cndmask_b32_e64 v203, v203, 0, s8
	v_add_nc_u32_e32 v202, v203, v202
	s_delay_alu instid0(VALU_DEP_1) | instskip(NEXT) | instid1(VALU_DEP_1)
	v_mov_b32_dpp v203, v202 row_shr:2 row_mask:0xf bank_mask:0xf
	v_cndmask_b32_e64 v203, 0, v203, s9
	s_delay_alu instid0(VALU_DEP_1) | instskip(NEXT) | instid1(VALU_DEP_1)
	v_add_nc_u32_e32 v202, v202, v203
	v_mov_b32_dpp v203, v202 row_shr:4 row_mask:0xf bank_mask:0xf
	s_delay_alu instid0(VALU_DEP_1) | instskip(NEXT) | instid1(VALU_DEP_1)
	v_cndmask_b32_e64 v203, 0, v203, s10
	v_add_nc_u32_e32 v202, v202, v203
	s_delay_alu instid0(VALU_DEP_1) | instskip(NEXT) | instid1(VALU_DEP_1)
	v_mov_b32_dpp v203, v202 row_shr:8 row_mask:0xf bank_mask:0xf
	v_cndmask_b32_e64 v203, 0, v203, s11
	s_delay_alu instid0(VALU_DEP_1) | instskip(SKIP_3) | instid1(VALU_DEP_1)
	v_add_nc_u32_e32 v202, v202, v203
	ds_swizzle_b32 v203, v202 offset:swizzle(BROADCAST,32,15)
	s_wait_dscnt 0x0
	v_cndmask_b32_e64 v203, v203, 0, s12
	v_add_nc_u32_e32 v202, v202, v203
	s_and_saveexec_b32 s17, s2
; %bb.795:                              ;   in Loop: Header=BB186_722 Depth=2
	ds_store_b32 v83, v202 offset:512
; %bb.796:                              ;   in Loop: Header=BB186_722 Depth=2
	s_or_b32 exec_lo, exec_lo, s17
	s_wait_dscnt 0x0
	s_barrier_signal -1
	s_barrier_wait -1
	s_and_saveexec_b32 s17, s3
	s_cbranch_execz .LBB186_798
; %bb.797:                              ;   in Loop: Header=BB186_722 Depth=2
	ds_load_b32 v203, v92 offset:512
	s_wait_dscnt 0x0
	v_mov_b32_dpp v204, v203 row_shr:1 row_mask:0xf bank_mask:0xf
	s_delay_alu instid0(VALU_DEP_1) | instskip(NEXT) | instid1(VALU_DEP_1)
	v_cndmask_b32_e64 v204, v204, 0, s14
	v_add_nc_u32_e32 v203, v204, v203
	s_delay_alu instid0(VALU_DEP_1) | instskip(NEXT) | instid1(VALU_DEP_1)
	v_mov_b32_dpp v204, v203 row_shr:2 row_mask:0xf bank_mask:0xf
	v_cndmask_b32_e64 v204, 0, v204, s15
	s_delay_alu instid0(VALU_DEP_1) | instskip(NEXT) | instid1(VALU_DEP_1)
	v_add_nc_u32_e32 v203, v203, v204
	v_mov_b32_dpp v204, v203 row_shr:4 row_mask:0xf bank_mask:0xf
	s_delay_alu instid0(VALU_DEP_1) | instskip(NEXT) | instid1(VALU_DEP_1)
	v_cndmask_b32_e64 v204, 0, v204, s16
	v_add_nc_u32_e32 v203, v203, v204
	ds_store_b32 v92, v203 offset:512
.LBB186_798:                            ;   in Loop: Header=BB186_722 Depth=2
	s_or_b32 exec_lo, exec_lo, s17
	v_mov_b32_e32 v203, 0
	s_wait_dscnt 0x0
	s_barrier_signal -1
	s_barrier_wait -1
	s_and_saveexec_b32 s17, s5
; %bb.799:                              ;   in Loop: Header=BB186_722 Depth=2
	ds_load_b32 v203, v83 offset:508
; %bb.800:                              ;   in Loop: Header=BB186_722 Depth=2
	s_or_b32 exec_lo, exec_lo, s17
	s_wait_dscnt 0x0
	v_add_nc_u32_e32 v202, v203, v202
	ds_bpermute_b32 v202, v96, v202
	s_wait_dscnt 0x0
	v_cndmask_b32_e64 v202, v202, v203, s13
	s_delay_alu instid0(VALU_DEP_1) | instskip(NEXT) | instid1(VALU_DEP_1)
	v_cndmask_b32_e64 v202, v202, 0, s6
	v_add_nc_u32_e32 v64, v202, v64
	s_delay_alu instid0(VALU_DEP_1) | instskip(NEXT) | instid1(VALU_DEP_1)
	v_add_nc_u32_e32 v65, v64, v65
	v_add_nc_u32_e32 v62, v65, v62
	s_delay_alu instid0(VALU_DEP_1)
	v_add_nc_u32_e32 v63, v62, v63
	ds_store_2addr_b32 v90, v202, v64 offset0:136 offset1:137
	ds_store_2addr_b32 v90, v65, v62 offset0:138 offset1:139
	ds_store_b32 v90, v63 offset:560
	s_wait_dscnt 0x0
	s_barrier_signal -1
	s_barrier_wait -1
	ds_load_b32 v62, v153 offset:544
	ds_load_b32 v63, v156 offset:544
	;; [unrolled: 1-line block ×17, first 2 shown]
	s_and_saveexec_b32 s17, s0
	s_cbranch_execz .LBB186_804
; %bb.801:                              ;   in Loop: Header=BB186_722 Depth=2
	v_dual_mov_b32 v133, 0x1100 :: v_dual_add_nc_u32 v132, v92, v94
	ds_load_b32 v132, v132 offset:544
	s_and_saveexec_b32 s18, s7
; %bb.802:                              ;   in Loop: Header=BB186_722 Depth=2
	ds_load_b32 v133, v93 offset:544
; %bb.803:                              ;   in Loop: Header=BB186_722 Depth=2
	s_or_b32 exec_lo, exec_lo, s18
	s_wait_dscnt 0x0
	v_sub_nc_u32_e32 v133, v133, v132
.LBB186_804:                            ;   in Loop: Header=BB186_722 Depth=2
	s_or_b32 exec_lo, exec_lo, s17
	s_wait_dscnt 0x0
	s_barrier_signal -1
	s_barrier_wait -1
	s_and_saveexec_b32 s17, s0
	s_cbranch_execz .LBB186_806
; %bb.805:                              ;   in Loop: Header=BB186_722 Depth=2
	ds_load_b32 v162, v66
	s_wait_dscnt 0x0
	v_sub_nc_u32_e32 v162, v162, v132
	ds_store_b32 v66, v162
.LBB186_806:                            ;   in Loop: Header=BB186_722 Depth=2
	s_or_b32 exec_lo, exec_lo, s17
	v_add_nc_u32_e32 v174, v62, v152
	v_add3_u32 v171, v155, v154, v63
	v_add3_u32 v168, v158, v157, v64
	;; [unrolled: 1-line block ×16, first 2 shown]
	v_cmp_lt_u32_e32 vcc_lo, v2, v134
	ds_store_b8 v174, v135 offset:512
	ds_store_b8 v171, v136 offset:512
	ds_store_b8 v168, v137 offset:512
	ds_store_b8 v165, v138 offset:512
	ds_store_b8 v162, v139 offset:512
	ds_store_b8 v161, v140 offset:512
	ds_store_b8 v160, v141 offset:512
	ds_store_b8 v159, v142 offset:512
	ds_store_b8 v158, v143 offset:512
	ds_store_b8 v157, v144 offset:512
	ds_store_b8 v156, v145 offset:512
	ds_store_b8 v155, v146 offset:512
	ds_store_b8 v154, v147 offset:512
	ds_store_b8 v153, v148 offset:512
	ds_store_b8 v152, v149 offset:512
	ds_store_b8 v65, v150 offset:512
	ds_store_b8 v64, v151 offset:512
	s_wait_dscnt 0x0
	s_barrier_signal -1
	s_barrier_wait -1
	s_and_saveexec_b32 s17, vcc_lo
	s_cbranch_execnz .LBB186_879
; %bb.807:                              ;   in Loop: Header=BB186_722 Depth=2
	s_or_b32 exec_lo, exec_lo, s17
	v_cmp_lt_u32_e64 s17, v67, v134
	s_and_saveexec_b32 s18, s17
	s_cbranch_execnz .LBB186_880
.LBB186_808:                            ;   in Loop: Header=BB186_722 Depth=2
	s_or_b32 exec_lo, exec_lo, s18
	v_cmp_lt_u32_e64 s18, v68, v134
	s_and_saveexec_b32 s19, s18
	s_cbranch_execnz .LBB186_881
.LBB186_809:                            ;   in Loop: Header=BB186_722 Depth=2
	s_or_b32 exec_lo, exec_lo, s19
	v_cmp_lt_u32_e64 s19, v69, v134
	s_and_saveexec_b32 s20, s19
	s_cbranch_execnz .LBB186_882
.LBB186_810:                            ;   in Loop: Header=BB186_722 Depth=2
	s_or_b32 exec_lo, exec_lo, s20
	v_cmp_lt_u32_e64 s20, v70, v134
	s_and_saveexec_b32 s21, s20
	s_cbranch_execnz .LBB186_883
.LBB186_811:                            ;   in Loop: Header=BB186_722 Depth=2
	s_or_b32 exec_lo, exec_lo, s21
	v_cmp_lt_u32_e64 s21, v71, v134
	s_and_saveexec_b32 s22, s21
	s_cbranch_execnz .LBB186_884
.LBB186_812:                            ;   in Loop: Header=BB186_722 Depth=2
	s_or_b32 exec_lo, exec_lo, s22
	v_cmp_lt_u32_e64 s22, v72, v134
	s_and_saveexec_b32 s23, s22
	s_cbranch_execnz .LBB186_885
.LBB186_813:                            ;   in Loop: Header=BB186_722 Depth=2
	s_or_b32 exec_lo, exec_lo, s23
	v_cmp_lt_u32_e64 s23, v73, v134
	s_and_saveexec_b32 s24, s23
	s_cbranch_execnz .LBB186_886
.LBB186_814:                            ;   in Loop: Header=BB186_722 Depth=2
	s_or_b32 exec_lo, exec_lo, s24
	v_cmp_lt_u32_e64 s24, v74, v134
	s_and_saveexec_b32 s25, s24
	s_cbranch_execnz .LBB186_887
.LBB186_815:                            ;   in Loop: Header=BB186_722 Depth=2
	s_or_b32 exec_lo, exec_lo, s25
	v_cmp_lt_u32_e64 s25, v75, v134
	s_and_saveexec_b32 s26, s25
	s_cbranch_execnz .LBB186_888
.LBB186_816:                            ;   in Loop: Header=BB186_722 Depth=2
	s_or_b32 exec_lo, exec_lo, s26
	v_cmp_lt_u32_e64 s26, v76, v134
	s_and_saveexec_b32 s27, s26
	s_cbranch_execnz .LBB186_889
.LBB186_817:                            ;   in Loop: Header=BB186_722 Depth=2
	s_or_b32 exec_lo, exec_lo, s27
	v_cmp_lt_u32_e64 s27, v77, v134
	s_and_saveexec_b32 s28, s27
	s_cbranch_execnz .LBB186_890
.LBB186_818:                            ;   in Loop: Header=BB186_722 Depth=2
	s_or_b32 exec_lo, exec_lo, s28
	v_cmp_lt_u32_e64 s28, v78, v134
	s_and_saveexec_b32 s29, s28
	s_cbranch_execnz .LBB186_891
.LBB186_819:                            ;   in Loop: Header=BB186_722 Depth=2
	s_or_b32 exec_lo, exec_lo, s29
	v_cmp_lt_u32_e64 s29, v79, v134
	s_and_saveexec_b32 s30, s29
	s_cbranch_execnz .LBB186_892
.LBB186_820:                            ;   in Loop: Header=BB186_722 Depth=2
	s_or_b32 exec_lo, exec_lo, s30
	v_cmp_lt_u32_e64 s30, v80, v134
	s_and_saveexec_b32 s31, s30
	s_cbranch_execnz .LBB186_893
.LBB186_821:                            ;   in Loop: Header=BB186_722 Depth=2
	s_or_b32 exec_lo, exec_lo, s31
	v_cmp_lt_u32_e64 s31, v81, v134
	s_and_saveexec_b32 s33, s31
	s_cbranch_execnz .LBB186_894
.LBB186_822:                            ;   in Loop: Header=BB186_722 Depth=2
	s_or_b32 exec_lo, exec_lo, s33
	v_cmp_lt_u32_e64 s33, v82, v134
	s_and_saveexec_b32 s60, s33
	s_cbranch_execz .LBB186_824
.LBB186_823:                            ;   in Loop: Header=BB186_722 Depth=2
	ds_load_u8 v62, v2 offset:4608
	s_wait_dscnt 0x0
	v_and_b32_e32 v63, 0xff, v62
	s_delay_alu instid0(VALU_DEP_1) | instskip(NEXT) | instid1(VALU_DEP_1)
	v_lshrrev_b32_e32 v63, s49, v63
	v_and_b32_e32 v63, s48, v63
	s_delay_alu instid0(VALU_DEP_1)
	v_lshlrev_b32_e32 v63, 2, v63
	ds_load_b32 v63, v63
	s_wait_dscnt 0x0
	v_add_nc_u32_e32 v63, v63, v82
	global_store_b8 v63, v62, s[38:39]
.LBB186_824:                            ;   in Loop: Header=BB186_722 Depth=2
	s_wait_xcnt 0x0
	s_or_b32 exec_lo, exec_lo, s60
	v_lshl_add_u64 v[62:63], s[34:35], 3, v[24:25]
	v_cmp_lt_u32_e64 s34, v97, v134
	s_and_saveexec_b32 s60, s34
	s_delay_alu instid0(SALU_CYCLE_1)
	s_xor_b32 s34, exec_lo, s60
	s_cbranch_execnz .LBB186_895
; %bb.825:                              ;   in Loop: Header=BB186_722 Depth=2
	s_or_b32 exec_lo, exec_lo, s34
	s_delay_alu instid0(SALU_CYCLE_1)
	s_mov_b32 s60, exec_lo
	v_cmpx_lt_u32_e64 v98, v134
	s_cbranch_execnz .LBB186_896
.LBB186_826:                            ;   in Loop: Header=BB186_722 Depth=2
	s_or_b32 exec_lo, exec_lo, s60
	s_delay_alu instid0(SALU_CYCLE_1)
	s_mov_b32 s60, exec_lo
	v_cmpx_lt_u32_e64 v99, v134
	s_cbranch_execnz .LBB186_897
.LBB186_827:                            ;   in Loop: Header=BB186_722 Depth=2
	s_or_b32 exec_lo, exec_lo, s60
	s_delay_alu instid0(SALU_CYCLE_1)
	s_mov_b32 s60, exec_lo
	v_cmpx_lt_u32_e64 v100, v134
	s_cbranch_execnz .LBB186_898
.LBB186_828:                            ;   in Loop: Header=BB186_722 Depth=2
	s_or_b32 exec_lo, exec_lo, s60
	s_delay_alu instid0(SALU_CYCLE_1)
	s_mov_b32 s60, exec_lo
	v_cmpx_lt_u32_e64 v101, v134
	s_cbranch_execnz .LBB186_899
.LBB186_829:                            ;   in Loop: Header=BB186_722 Depth=2
	s_or_b32 exec_lo, exec_lo, s60
	s_delay_alu instid0(SALU_CYCLE_1)
	s_mov_b32 s60, exec_lo
	v_cmpx_lt_u32_e64 v102, v134
	s_cbranch_execnz .LBB186_900
.LBB186_830:                            ;   in Loop: Header=BB186_722 Depth=2
	s_or_b32 exec_lo, exec_lo, s60
	s_delay_alu instid0(SALU_CYCLE_1)
	s_mov_b32 s60, exec_lo
	v_cmpx_lt_u32_e64 v103, v134
	s_cbranch_execnz .LBB186_901
.LBB186_831:                            ;   in Loop: Header=BB186_722 Depth=2
	s_or_b32 exec_lo, exec_lo, s60
	s_delay_alu instid0(SALU_CYCLE_1)
	s_mov_b32 s60, exec_lo
	v_cmpx_lt_u32_e64 v104, v134
	s_cbranch_execnz .LBB186_902
.LBB186_832:                            ;   in Loop: Header=BB186_722 Depth=2
	s_or_b32 exec_lo, exec_lo, s60
	s_delay_alu instid0(SALU_CYCLE_1)
	s_mov_b32 s60, exec_lo
	v_cmpx_lt_u32_e64 v105, v134
	s_cbranch_execnz .LBB186_903
.LBB186_833:                            ;   in Loop: Header=BB186_722 Depth=2
	s_or_b32 exec_lo, exec_lo, s60
	s_delay_alu instid0(SALU_CYCLE_1)
	s_mov_b32 s60, exec_lo
	v_cmpx_lt_u32_e64 v106, v134
	s_cbranch_execnz .LBB186_904
.LBB186_834:                            ;   in Loop: Header=BB186_722 Depth=2
	s_or_b32 exec_lo, exec_lo, s60
	s_delay_alu instid0(SALU_CYCLE_1)
	s_mov_b32 s60, exec_lo
	v_cmpx_lt_u32_e64 v107, v134
	s_cbranch_execnz .LBB186_905
.LBB186_835:                            ;   in Loop: Header=BB186_722 Depth=2
	s_or_b32 exec_lo, exec_lo, s60
	s_delay_alu instid0(SALU_CYCLE_1)
	s_mov_b32 s60, exec_lo
	v_cmpx_lt_u32_e64 v108, v134
	s_cbranch_execnz .LBB186_906
.LBB186_836:                            ;   in Loop: Header=BB186_722 Depth=2
	s_or_b32 exec_lo, exec_lo, s60
	s_delay_alu instid0(SALU_CYCLE_1)
	s_mov_b32 s60, exec_lo
	v_cmpx_lt_u32_e64 v109, v134
	s_cbranch_execnz .LBB186_907
.LBB186_837:                            ;   in Loop: Header=BB186_722 Depth=2
	s_or_b32 exec_lo, exec_lo, s60
	s_delay_alu instid0(SALU_CYCLE_1)
	s_mov_b32 s60, exec_lo
	v_cmpx_lt_u32_e64 v110, v134
	s_cbranch_execnz .LBB186_908
.LBB186_838:                            ;   in Loop: Header=BB186_722 Depth=2
	s_or_b32 exec_lo, exec_lo, s60
	s_delay_alu instid0(SALU_CYCLE_1)
	s_mov_b32 s60, exec_lo
	v_cmpx_lt_u32_e64 v111, v134
	s_cbranch_execnz .LBB186_909
.LBB186_839:                            ;   in Loop: Header=BB186_722 Depth=2
	s_or_b32 exec_lo, exec_lo, s60
	s_delay_alu instid0(SALU_CYCLE_1)
	s_mov_b32 s60, exec_lo
	v_cmpx_lt_u32_e64 v112, v134
	s_cbranch_execnz .LBB186_910
.LBB186_840:                            ;   in Loop: Header=BB186_722 Depth=2
	s_or_b32 exec_lo, exec_lo, s60
	s_delay_alu instid0(SALU_CYCLE_1)
	s_mov_b32 s60, exec_lo
	v_cmpx_lt_u32_e64 v113, v134
	s_cbranch_execnz .LBB186_911
.LBB186_841:                            ;   in Loop: Header=BB186_722 Depth=2
	s_or_b32 exec_lo, exec_lo, s60
	s_and_saveexec_b32 s34, vcc_lo
	s_cbranch_execnz .LBB186_912
.LBB186_842:                            ;   in Loop: Header=BB186_722 Depth=2
	s_or_b32 exec_lo, exec_lo, s34
	s_and_saveexec_b32 s34, s17
	s_cbranch_execnz .LBB186_913
.LBB186_843:                            ;   in Loop: Header=BB186_722 Depth=2
	s_or_b32 exec_lo, exec_lo, s34
	s_and_saveexec_b32 s34, s18
	s_cbranch_execnz .LBB186_914
.LBB186_844:                            ;   in Loop: Header=BB186_722 Depth=2
	s_or_b32 exec_lo, exec_lo, s34
	s_and_saveexec_b32 s34, s19
	s_cbranch_execnz .LBB186_915
.LBB186_845:                            ;   in Loop: Header=BB186_722 Depth=2
	s_or_b32 exec_lo, exec_lo, s34
	s_and_saveexec_b32 s34, s20
	s_cbranch_execnz .LBB186_916
.LBB186_846:                            ;   in Loop: Header=BB186_722 Depth=2
	s_or_b32 exec_lo, exec_lo, s34
	s_and_saveexec_b32 s34, s21
	s_cbranch_execnz .LBB186_917
.LBB186_847:                            ;   in Loop: Header=BB186_722 Depth=2
	s_or_b32 exec_lo, exec_lo, s34
	s_and_saveexec_b32 s34, s22
	s_cbranch_execnz .LBB186_918
.LBB186_848:                            ;   in Loop: Header=BB186_722 Depth=2
	s_or_b32 exec_lo, exec_lo, s34
	s_and_saveexec_b32 s34, s23
	s_cbranch_execnz .LBB186_919
.LBB186_849:                            ;   in Loop: Header=BB186_722 Depth=2
	s_or_b32 exec_lo, exec_lo, s34
	s_and_saveexec_b32 s34, s24
	s_cbranch_execnz .LBB186_920
.LBB186_850:                            ;   in Loop: Header=BB186_722 Depth=2
	s_or_b32 exec_lo, exec_lo, s34
	s_and_saveexec_b32 s34, s25
	s_cbranch_execnz .LBB186_921
.LBB186_851:                            ;   in Loop: Header=BB186_722 Depth=2
	s_or_b32 exec_lo, exec_lo, s34
	s_and_saveexec_b32 s34, s26
	s_cbranch_execnz .LBB186_922
.LBB186_852:                            ;   in Loop: Header=BB186_722 Depth=2
	s_or_b32 exec_lo, exec_lo, s34
	s_and_saveexec_b32 s34, s27
	s_cbranch_execnz .LBB186_923
.LBB186_853:                            ;   in Loop: Header=BB186_722 Depth=2
	s_or_b32 exec_lo, exec_lo, s34
	s_and_saveexec_b32 s34, s28
	s_cbranch_execnz .LBB186_924
.LBB186_854:                            ;   in Loop: Header=BB186_722 Depth=2
	s_or_b32 exec_lo, exec_lo, s34
	s_and_saveexec_b32 s34, s29
	s_cbranch_execnz .LBB186_925
.LBB186_855:                            ;   in Loop: Header=BB186_722 Depth=2
	s_or_b32 exec_lo, exec_lo, s34
	s_and_saveexec_b32 s34, s30
	s_cbranch_execnz .LBB186_926
.LBB186_856:                            ;   in Loop: Header=BB186_722 Depth=2
	s_or_b32 exec_lo, exec_lo, s34
	s_and_saveexec_b32 s34, s31
	s_cbranch_execnz .LBB186_927
.LBB186_857:                            ;   in Loop: Header=BB186_722 Depth=2
	s_or_b32 exec_lo, exec_lo, s34
	s_and_saveexec_b32 s34, s33
	s_cbranch_execz .LBB186_859
.LBB186_858:                            ;   in Loop: Header=BB186_722 Depth=2
	ds_load_u8 v62, v2 offset:4608
	s_wait_dscnt 0x0
	v_lshrrev_b32_e32 v62, s49, v62
	s_delay_alu instid0(VALU_DEP_1)
	v_and_b32_e32 v115, s48, v62
.LBB186_859:                            ;   in Loop: Header=BB186_722 Depth=2
	s_or_b32 exec_lo, exec_lo, s34
	v_dual_lshlrev_b32 v62, 3, v174 :: v_dual_lshlrev_b32 v63, 3, v171
	s_wait_loadcnt 0x0
	s_wait_storecnt 0x0
	s_barrier_signal -1
	s_barrier_wait -1
	ds_store_b64 v62, v[60:61] offset:512
	ds_store_b64 v63, v[58:59] offset:512
	v_dual_lshlrev_b32 v62, 3, v168 :: v_dual_lshlrev_b32 v63, 3, v165
	v_dual_lshlrev_b32 v134, 3, v162 :: v_dual_lshlrev_b32 v135, 3, v161
	v_lshlrev_b32_e32 v136, 3, v160
	ds_store_b64 v62, v[56:57] offset:512
	ds_store_b64 v63, v[54:55] offset:512
	ds_store_b64 v134, v[52:53] offset:512
	ds_store_b64 v135, v[50:51] offset:512
	ds_store_b64 v136, v[48:49] offset:512
	v_dual_lshlrev_b32 v62, 3, v159 :: v_dual_lshlrev_b32 v63, 3, v158
	v_dual_lshlrev_b32 v134, 3, v157 :: v_dual_lshlrev_b32 v135, 3, v156
	v_lshlrev_b32_e32 v136, 3, v155
	ds_store_b64 v62, v[46:47] offset:512
	ds_store_b64 v63, v[44:45] offset:512
	ds_store_b64 v134, v[42:43] offset:512
	;; [unrolled: 8-line block ×3, first 2 shown]
	ds_store_b64 v65, v[30:31] offset:512
	ds_store_b64 v64, v[28:29] offset:512
	s_wait_dscnt 0x0
	s_barrier_signal -1
	s_barrier_wait -1
	s_and_saveexec_b32 s34, vcc_lo
	s_cbranch_execnz .LBB186_928
; %bb.860:                              ;   in Loop: Header=BB186_722 Depth=2
	s_or_b32 exec_lo, exec_lo, s34
	s_and_saveexec_b32 s34, s17
	s_cbranch_execnz .LBB186_929
.LBB186_861:                            ;   in Loop: Header=BB186_722 Depth=2
	s_or_b32 exec_lo, exec_lo, s34
	s_and_saveexec_b32 s17, s18
	s_cbranch_execnz .LBB186_930
.LBB186_862:                            ;   in Loop: Header=BB186_722 Depth=2
	s_or_b32 exec_lo, exec_lo, s17
	s_and_saveexec_b32 s17, s19
	s_cbranch_execnz .LBB186_931
.LBB186_863:                            ;   in Loop: Header=BB186_722 Depth=2
	s_or_b32 exec_lo, exec_lo, s17
	s_and_saveexec_b32 s17, s20
	s_cbranch_execnz .LBB186_932
.LBB186_864:                            ;   in Loop: Header=BB186_722 Depth=2
	s_or_b32 exec_lo, exec_lo, s17
	s_and_saveexec_b32 s17, s21
	s_cbranch_execnz .LBB186_933
.LBB186_865:                            ;   in Loop: Header=BB186_722 Depth=2
	s_or_b32 exec_lo, exec_lo, s17
	s_and_saveexec_b32 s17, s22
	s_cbranch_execnz .LBB186_934
.LBB186_866:                            ;   in Loop: Header=BB186_722 Depth=2
	s_or_b32 exec_lo, exec_lo, s17
	s_and_saveexec_b32 s17, s23
	s_cbranch_execnz .LBB186_935
.LBB186_867:                            ;   in Loop: Header=BB186_722 Depth=2
	s_or_b32 exec_lo, exec_lo, s17
	s_and_saveexec_b32 s17, s24
	s_cbranch_execnz .LBB186_936
.LBB186_868:                            ;   in Loop: Header=BB186_722 Depth=2
	s_or_b32 exec_lo, exec_lo, s17
	s_and_saveexec_b32 s17, s25
	s_cbranch_execnz .LBB186_937
.LBB186_869:                            ;   in Loop: Header=BB186_722 Depth=2
	s_or_b32 exec_lo, exec_lo, s17
	s_and_saveexec_b32 s17, s26
	s_cbranch_execnz .LBB186_938
.LBB186_870:                            ;   in Loop: Header=BB186_722 Depth=2
	s_or_b32 exec_lo, exec_lo, s17
	s_and_saveexec_b32 s17, s27
	s_cbranch_execnz .LBB186_939
.LBB186_871:                            ;   in Loop: Header=BB186_722 Depth=2
	s_or_b32 exec_lo, exec_lo, s17
	s_and_saveexec_b32 s17, s28
	s_cbranch_execnz .LBB186_940
.LBB186_872:                            ;   in Loop: Header=BB186_722 Depth=2
	s_or_b32 exec_lo, exec_lo, s17
	s_and_saveexec_b32 s17, s29
	s_cbranch_execnz .LBB186_941
.LBB186_873:                            ;   in Loop: Header=BB186_722 Depth=2
	s_or_b32 exec_lo, exec_lo, s17
	s_and_saveexec_b32 s17, s30
	s_cbranch_execnz .LBB186_942
.LBB186_874:                            ;   in Loop: Header=BB186_722 Depth=2
	s_or_b32 exec_lo, exec_lo, s17
	s_and_saveexec_b32 s17, s31
	s_cbranch_execnz .LBB186_943
.LBB186_875:                            ;   in Loop: Header=BB186_722 Depth=2
	s_or_b32 exec_lo, exec_lo, s17
	s_and_saveexec_b32 s17, s33
	s_cbranch_execz .LBB186_877
.LBB186_876:                            ;   in Loop: Header=BB186_722 Depth=2
	v_lshlrev_b32_e32 v62, 2, v115
	v_add_nc_u32_e32 v63, v2, v95
	ds_load_b32 v64, v62
	ds_load_b64 v[62:63], v63 offset:33280
	s_wait_dscnt 0x1
	v_add_nc_u32_e32 v64, v64, v82
	s_wait_dscnt 0x0
	global_store_b64 v64, v[62:63], s[44:45] scale_offset
.LBB186_877:                            ;   in Loop: Header=BB186_722 Depth=2
	s_wait_xcnt 0x0
	s_or_b32 exec_lo, exec_lo, s17
	s_wait_storecnt 0x0
	s_barrier_signal -1
	s_barrier_wait -1
	s_and_saveexec_b32 s17, s0
	s_cbranch_execz .LBB186_721
; %bb.878:                              ;   in Loop: Header=BB186_722 Depth=2
	ds_load_b32 v62, v66
	s_wait_dscnt 0x0
	v_add3_u32 v62, v132, v133, v62
	ds_store_b32 v66, v62
	s_branch .LBB186_721
.LBB186_879:                            ;   in Loop: Header=BB186_722 Depth=2
	ds_load_u8 v62, v2 offset:512
	s_wait_dscnt 0x0
	v_and_b32_e32 v63, 0xff, v62
	s_delay_alu instid0(VALU_DEP_1) | instskip(NEXT) | instid1(VALU_DEP_1)
	v_lshrrev_b32_e32 v63, s49, v63
	v_and_b32_e32 v63, s48, v63
	s_delay_alu instid0(VALU_DEP_1)
	v_lshlrev_b32_e32 v63, 2, v63
	ds_load_b32 v63, v63
	s_wait_dscnt 0x0
	v_add_nc_u32_e32 v63, v63, v2
	global_store_b8 v63, v62, s[38:39]
	s_wait_xcnt 0x0
	s_or_b32 exec_lo, exec_lo, s17
	v_cmp_lt_u32_e64 s17, v67, v134
	s_and_saveexec_b32 s18, s17
	s_cbranch_execz .LBB186_808
.LBB186_880:                            ;   in Loop: Header=BB186_722 Depth=2
	ds_load_u8 v62, v2 offset:768
	s_wait_dscnt 0x0
	v_and_b32_e32 v63, 0xff, v62
	s_delay_alu instid0(VALU_DEP_1) | instskip(NEXT) | instid1(VALU_DEP_1)
	v_lshrrev_b32_e32 v63, s49, v63
	v_and_b32_e32 v63, s48, v63
	s_delay_alu instid0(VALU_DEP_1)
	v_lshlrev_b32_e32 v63, 2, v63
	ds_load_b32 v63, v63
	s_wait_dscnt 0x0
	v_add_nc_u32_e32 v63, v63, v67
	global_store_b8 v63, v62, s[38:39]
	s_wait_xcnt 0x0
	s_or_b32 exec_lo, exec_lo, s18
	v_cmp_lt_u32_e64 s18, v68, v134
	s_and_saveexec_b32 s19, s18
	s_cbranch_execz .LBB186_809
.LBB186_881:                            ;   in Loop: Header=BB186_722 Depth=2
	ds_load_u8 v62, v2 offset:1024
	s_wait_dscnt 0x0
	v_and_b32_e32 v63, 0xff, v62
	s_delay_alu instid0(VALU_DEP_1) | instskip(NEXT) | instid1(VALU_DEP_1)
	v_lshrrev_b32_e32 v63, s49, v63
	v_and_b32_e32 v63, s48, v63
	s_delay_alu instid0(VALU_DEP_1)
	v_lshlrev_b32_e32 v63, 2, v63
	ds_load_b32 v63, v63
	s_wait_dscnt 0x0
	v_add_nc_u32_e32 v63, v63, v68
	global_store_b8 v63, v62, s[38:39]
	s_wait_xcnt 0x0
	s_or_b32 exec_lo, exec_lo, s19
	v_cmp_lt_u32_e64 s19, v69, v134
	s_and_saveexec_b32 s20, s19
	s_cbranch_execz .LBB186_810
.LBB186_882:                            ;   in Loop: Header=BB186_722 Depth=2
	ds_load_u8 v62, v2 offset:1280
	s_wait_dscnt 0x0
	v_and_b32_e32 v63, 0xff, v62
	s_delay_alu instid0(VALU_DEP_1) | instskip(NEXT) | instid1(VALU_DEP_1)
	v_lshrrev_b32_e32 v63, s49, v63
	v_and_b32_e32 v63, s48, v63
	s_delay_alu instid0(VALU_DEP_1)
	v_lshlrev_b32_e32 v63, 2, v63
	ds_load_b32 v63, v63
	s_wait_dscnt 0x0
	v_add_nc_u32_e32 v63, v63, v69
	global_store_b8 v63, v62, s[38:39]
	s_wait_xcnt 0x0
	s_or_b32 exec_lo, exec_lo, s20
	v_cmp_lt_u32_e64 s20, v70, v134
	s_and_saveexec_b32 s21, s20
	s_cbranch_execz .LBB186_811
.LBB186_883:                            ;   in Loop: Header=BB186_722 Depth=2
	ds_load_u8 v62, v2 offset:1536
	s_wait_dscnt 0x0
	v_and_b32_e32 v63, 0xff, v62
	s_delay_alu instid0(VALU_DEP_1) | instskip(NEXT) | instid1(VALU_DEP_1)
	v_lshrrev_b32_e32 v63, s49, v63
	v_and_b32_e32 v63, s48, v63
	s_delay_alu instid0(VALU_DEP_1)
	v_lshlrev_b32_e32 v63, 2, v63
	ds_load_b32 v63, v63
	s_wait_dscnt 0x0
	v_add_nc_u32_e32 v63, v63, v70
	global_store_b8 v63, v62, s[38:39]
	s_wait_xcnt 0x0
	s_or_b32 exec_lo, exec_lo, s21
	v_cmp_lt_u32_e64 s21, v71, v134
	s_and_saveexec_b32 s22, s21
	s_cbranch_execz .LBB186_812
.LBB186_884:                            ;   in Loop: Header=BB186_722 Depth=2
	ds_load_u8 v62, v2 offset:1792
	s_wait_dscnt 0x0
	v_and_b32_e32 v63, 0xff, v62
	s_delay_alu instid0(VALU_DEP_1) | instskip(NEXT) | instid1(VALU_DEP_1)
	v_lshrrev_b32_e32 v63, s49, v63
	v_and_b32_e32 v63, s48, v63
	s_delay_alu instid0(VALU_DEP_1)
	v_lshlrev_b32_e32 v63, 2, v63
	ds_load_b32 v63, v63
	s_wait_dscnt 0x0
	v_add_nc_u32_e32 v63, v63, v71
	global_store_b8 v63, v62, s[38:39]
	s_wait_xcnt 0x0
	s_or_b32 exec_lo, exec_lo, s22
	v_cmp_lt_u32_e64 s22, v72, v134
	s_and_saveexec_b32 s23, s22
	s_cbranch_execz .LBB186_813
.LBB186_885:                            ;   in Loop: Header=BB186_722 Depth=2
	ds_load_u8 v62, v2 offset:2048
	s_wait_dscnt 0x0
	v_and_b32_e32 v63, 0xff, v62
	s_delay_alu instid0(VALU_DEP_1) | instskip(NEXT) | instid1(VALU_DEP_1)
	v_lshrrev_b32_e32 v63, s49, v63
	v_and_b32_e32 v63, s48, v63
	s_delay_alu instid0(VALU_DEP_1)
	v_lshlrev_b32_e32 v63, 2, v63
	ds_load_b32 v63, v63
	s_wait_dscnt 0x0
	v_add_nc_u32_e32 v63, v63, v72
	global_store_b8 v63, v62, s[38:39]
	s_wait_xcnt 0x0
	s_or_b32 exec_lo, exec_lo, s23
	v_cmp_lt_u32_e64 s23, v73, v134
	s_and_saveexec_b32 s24, s23
	s_cbranch_execz .LBB186_814
.LBB186_886:                            ;   in Loop: Header=BB186_722 Depth=2
	ds_load_u8 v62, v2 offset:2304
	s_wait_dscnt 0x0
	v_and_b32_e32 v63, 0xff, v62
	s_delay_alu instid0(VALU_DEP_1) | instskip(NEXT) | instid1(VALU_DEP_1)
	v_lshrrev_b32_e32 v63, s49, v63
	v_and_b32_e32 v63, s48, v63
	s_delay_alu instid0(VALU_DEP_1)
	v_lshlrev_b32_e32 v63, 2, v63
	ds_load_b32 v63, v63
	s_wait_dscnt 0x0
	v_add_nc_u32_e32 v63, v63, v73
	global_store_b8 v63, v62, s[38:39]
	s_wait_xcnt 0x0
	s_or_b32 exec_lo, exec_lo, s24
	v_cmp_lt_u32_e64 s24, v74, v134
	s_and_saveexec_b32 s25, s24
	s_cbranch_execz .LBB186_815
.LBB186_887:                            ;   in Loop: Header=BB186_722 Depth=2
	ds_load_u8 v62, v2 offset:2560
	s_wait_dscnt 0x0
	v_and_b32_e32 v63, 0xff, v62
	s_delay_alu instid0(VALU_DEP_1) | instskip(NEXT) | instid1(VALU_DEP_1)
	v_lshrrev_b32_e32 v63, s49, v63
	v_and_b32_e32 v63, s48, v63
	s_delay_alu instid0(VALU_DEP_1)
	v_lshlrev_b32_e32 v63, 2, v63
	ds_load_b32 v63, v63
	s_wait_dscnt 0x0
	v_add_nc_u32_e32 v63, v63, v74
	global_store_b8 v63, v62, s[38:39]
	s_wait_xcnt 0x0
	s_or_b32 exec_lo, exec_lo, s25
	v_cmp_lt_u32_e64 s25, v75, v134
	s_and_saveexec_b32 s26, s25
	s_cbranch_execz .LBB186_816
.LBB186_888:                            ;   in Loop: Header=BB186_722 Depth=2
	ds_load_u8 v62, v2 offset:2816
	s_wait_dscnt 0x0
	v_and_b32_e32 v63, 0xff, v62
	s_delay_alu instid0(VALU_DEP_1) | instskip(NEXT) | instid1(VALU_DEP_1)
	v_lshrrev_b32_e32 v63, s49, v63
	v_and_b32_e32 v63, s48, v63
	s_delay_alu instid0(VALU_DEP_1)
	v_lshlrev_b32_e32 v63, 2, v63
	ds_load_b32 v63, v63
	s_wait_dscnt 0x0
	v_add_nc_u32_e32 v63, v63, v75
	global_store_b8 v63, v62, s[38:39]
	s_wait_xcnt 0x0
	s_or_b32 exec_lo, exec_lo, s26
	v_cmp_lt_u32_e64 s26, v76, v134
	s_and_saveexec_b32 s27, s26
	s_cbranch_execz .LBB186_817
.LBB186_889:                            ;   in Loop: Header=BB186_722 Depth=2
	ds_load_u8 v62, v2 offset:3072
	s_wait_dscnt 0x0
	v_and_b32_e32 v63, 0xff, v62
	s_delay_alu instid0(VALU_DEP_1) | instskip(NEXT) | instid1(VALU_DEP_1)
	v_lshrrev_b32_e32 v63, s49, v63
	v_and_b32_e32 v63, s48, v63
	s_delay_alu instid0(VALU_DEP_1)
	v_lshlrev_b32_e32 v63, 2, v63
	ds_load_b32 v63, v63
	s_wait_dscnt 0x0
	v_add_nc_u32_e32 v63, v63, v76
	global_store_b8 v63, v62, s[38:39]
	s_wait_xcnt 0x0
	s_or_b32 exec_lo, exec_lo, s27
	v_cmp_lt_u32_e64 s27, v77, v134
	s_and_saveexec_b32 s28, s27
	s_cbranch_execz .LBB186_818
.LBB186_890:                            ;   in Loop: Header=BB186_722 Depth=2
	ds_load_u8 v62, v2 offset:3328
	s_wait_dscnt 0x0
	v_and_b32_e32 v63, 0xff, v62
	s_delay_alu instid0(VALU_DEP_1) | instskip(NEXT) | instid1(VALU_DEP_1)
	v_lshrrev_b32_e32 v63, s49, v63
	v_and_b32_e32 v63, s48, v63
	s_delay_alu instid0(VALU_DEP_1)
	v_lshlrev_b32_e32 v63, 2, v63
	ds_load_b32 v63, v63
	s_wait_dscnt 0x0
	v_add_nc_u32_e32 v63, v63, v77
	global_store_b8 v63, v62, s[38:39]
	s_wait_xcnt 0x0
	s_or_b32 exec_lo, exec_lo, s28
	v_cmp_lt_u32_e64 s28, v78, v134
	s_and_saveexec_b32 s29, s28
	s_cbranch_execz .LBB186_819
.LBB186_891:                            ;   in Loop: Header=BB186_722 Depth=2
	ds_load_u8 v62, v2 offset:3584
	s_wait_dscnt 0x0
	v_and_b32_e32 v63, 0xff, v62
	s_delay_alu instid0(VALU_DEP_1) | instskip(NEXT) | instid1(VALU_DEP_1)
	v_lshrrev_b32_e32 v63, s49, v63
	v_and_b32_e32 v63, s48, v63
	s_delay_alu instid0(VALU_DEP_1)
	v_lshlrev_b32_e32 v63, 2, v63
	ds_load_b32 v63, v63
	s_wait_dscnt 0x0
	v_add_nc_u32_e32 v63, v63, v78
	global_store_b8 v63, v62, s[38:39]
	s_wait_xcnt 0x0
	s_or_b32 exec_lo, exec_lo, s29
	v_cmp_lt_u32_e64 s29, v79, v134
	s_and_saveexec_b32 s30, s29
	s_cbranch_execz .LBB186_820
.LBB186_892:                            ;   in Loop: Header=BB186_722 Depth=2
	ds_load_u8 v62, v2 offset:3840
	s_wait_dscnt 0x0
	v_and_b32_e32 v63, 0xff, v62
	s_delay_alu instid0(VALU_DEP_1) | instskip(NEXT) | instid1(VALU_DEP_1)
	v_lshrrev_b32_e32 v63, s49, v63
	v_and_b32_e32 v63, s48, v63
	s_delay_alu instid0(VALU_DEP_1)
	v_lshlrev_b32_e32 v63, 2, v63
	ds_load_b32 v63, v63
	s_wait_dscnt 0x0
	v_add_nc_u32_e32 v63, v63, v79
	global_store_b8 v63, v62, s[38:39]
	s_wait_xcnt 0x0
	s_or_b32 exec_lo, exec_lo, s30
	v_cmp_lt_u32_e64 s30, v80, v134
	s_and_saveexec_b32 s31, s30
	s_cbranch_execz .LBB186_821
.LBB186_893:                            ;   in Loop: Header=BB186_722 Depth=2
	ds_load_u8 v62, v2 offset:4096
	s_wait_dscnt 0x0
	v_and_b32_e32 v63, 0xff, v62
	s_delay_alu instid0(VALU_DEP_1) | instskip(NEXT) | instid1(VALU_DEP_1)
	v_lshrrev_b32_e32 v63, s49, v63
	v_and_b32_e32 v63, s48, v63
	s_delay_alu instid0(VALU_DEP_1)
	v_lshlrev_b32_e32 v63, 2, v63
	ds_load_b32 v63, v63
	s_wait_dscnt 0x0
	v_add_nc_u32_e32 v63, v63, v80
	global_store_b8 v63, v62, s[38:39]
	s_wait_xcnt 0x0
	s_or_b32 exec_lo, exec_lo, s31
	v_cmp_lt_u32_e64 s31, v81, v134
	s_and_saveexec_b32 s33, s31
	s_cbranch_execz .LBB186_822
.LBB186_894:                            ;   in Loop: Header=BB186_722 Depth=2
	ds_load_u8 v62, v2 offset:4352
	s_wait_dscnt 0x0
	v_and_b32_e32 v63, 0xff, v62
	s_delay_alu instid0(VALU_DEP_1) | instskip(NEXT) | instid1(VALU_DEP_1)
	v_lshrrev_b32_e32 v63, s49, v63
	v_and_b32_e32 v63, s48, v63
	s_delay_alu instid0(VALU_DEP_1)
	v_lshlrev_b32_e32 v63, 2, v63
	ds_load_b32 v63, v63
	s_wait_dscnt 0x0
	v_add_nc_u32_e32 v63, v63, v81
	global_store_b8 v63, v62, s[38:39]
	s_wait_xcnt 0x0
	s_or_b32 exec_lo, exec_lo, s33
	v_cmp_lt_u32_e64 s33, v82, v134
	s_and_saveexec_b32 s60, s33
	s_cbranch_execnz .LBB186_823
	s_branch .LBB186_824
.LBB186_895:                            ;   in Loop: Header=BB186_722 Depth=2
	global_load_b64 v[60:61], v[62:63], off
	s_wait_xcnt 0x0
	s_or_b32 exec_lo, exec_lo, s34
	s_delay_alu instid0(SALU_CYCLE_1)
	s_mov_b32 s60, exec_lo
	v_cmpx_lt_u32_e64 v98, v134
	s_cbranch_execz .LBB186_826
.LBB186_896:                            ;   in Loop: Header=BB186_722 Depth=2
	global_load_b64 v[58:59], v[62:63], off offset:256
	s_wait_xcnt 0x0
	s_or_b32 exec_lo, exec_lo, s60
	s_delay_alu instid0(SALU_CYCLE_1)
	s_mov_b32 s60, exec_lo
	v_cmpx_lt_u32_e64 v99, v134
	s_cbranch_execz .LBB186_827
.LBB186_897:                            ;   in Loop: Header=BB186_722 Depth=2
	global_load_b64 v[56:57], v[62:63], off offset:512
	s_wait_xcnt 0x0
	s_or_b32 exec_lo, exec_lo, s60
	s_delay_alu instid0(SALU_CYCLE_1)
	s_mov_b32 s60, exec_lo
	v_cmpx_lt_u32_e64 v100, v134
	s_cbranch_execz .LBB186_828
.LBB186_898:                            ;   in Loop: Header=BB186_722 Depth=2
	global_load_b64 v[54:55], v[62:63], off offset:768
	s_wait_xcnt 0x0
	s_or_b32 exec_lo, exec_lo, s60
	s_delay_alu instid0(SALU_CYCLE_1)
	s_mov_b32 s60, exec_lo
	v_cmpx_lt_u32_e64 v101, v134
	s_cbranch_execz .LBB186_829
.LBB186_899:                            ;   in Loop: Header=BB186_722 Depth=2
	global_load_b64 v[52:53], v[62:63], off offset:1024
	s_wait_xcnt 0x0
	s_or_b32 exec_lo, exec_lo, s60
	s_delay_alu instid0(SALU_CYCLE_1)
	s_mov_b32 s60, exec_lo
	v_cmpx_lt_u32_e64 v102, v134
	s_cbranch_execz .LBB186_830
.LBB186_900:                            ;   in Loop: Header=BB186_722 Depth=2
	global_load_b64 v[50:51], v[62:63], off offset:1280
	s_wait_xcnt 0x0
	s_or_b32 exec_lo, exec_lo, s60
	s_delay_alu instid0(SALU_CYCLE_1)
	s_mov_b32 s60, exec_lo
	v_cmpx_lt_u32_e64 v103, v134
	s_cbranch_execz .LBB186_831
.LBB186_901:                            ;   in Loop: Header=BB186_722 Depth=2
	global_load_b64 v[48:49], v[62:63], off offset:1536
	s_wait_xcnt 0x0
	s_or_b32 exec_lo, exec_lo, s60
	s_delay_alu instid0(SALU_CYCLE_1)
	s_mov_b32 s60, exec_lo
	v_cmpx_lt_u32_e64 v104, v134
	s_cbranch_execz .LBB186_832
.LBB186_902:                            ;   in Loop: Header=BB186_722 Depth=2
	global_load_b64 v[46:47], v[62:63], off offset:1792
	s_wait_xcnt 0x0
	s_or_b32 exec_lo, exec_lo, s60
	s_delay_alu instid0(SALU_CYCLE_1)
	s_mov_b32 s60, exec_lo
	v_cmpx_lt_u32_e64 v105, v134
	s_cbranch_execz .LBB186_833
.LBB186_903:                            ;   in Loop: Header=BB186_722 Depth=2
	global_load_b64 v[44:45], v[62:63], off offset:2048
	s_wait_xcnt 0x0
	s_or_b32 exec_lo, exec_lo, s60
	s_delay_alu instid0(SALU_CYCLE_1)
	s_mov_b32 s60, exec_lo
	v_cmpx_lt_u32_e64 v106, v134
	s_cbranch_execz .LBB186_834
.LBB186_904:                            ;   in Loop: Header=BB186_722 Depth=2
	global_load_b64 v[42:43], v[62:63], off offset:2304
	s_wait_xcnt 0x0
	s_or_b32 exec_lo, exec_lo, s60
	s_delay_alu instid0(SALU_CYCLE_1)
	s_mov_b32 s60, exec_lo
	v_cmpx_lt_u32_e64 v107, v134
	s_cbranch_execz .LBB186_835
.LBB186_905:                            ;   in Loop: Header=BB186_722 Depth=2
	global_load_b64 v[40:41], v[62:63], off offset:2560
	s_wait_xcnt 0x0
	s_or_b32 exec_lo, exec_lo, s60
	s_delay_alu instid0(SALU_CYCLE_1)
	s_mov_b32 s60, exec_lo
	v_cmpx_lt_u32_e64 v108, v134
	s_cbranch_execz .LBB186_836
.LBB186_906:                            ;   in Loop: Header=BB186_722 Depth=2
	global_load_b64 v[38:39], v[62:63], off offset:2816
	s_wait_xcnt 0x0
	s_or_b32 exec_lo, exec_lo, s60
	s_delay_alu instid0(SALU_CYCLE_1)
	s_mov_b32 s60, exec_lo
	v_cmpx_lt_u32_e64 v109, v134
	s_cbranch_execz .LBB186_837
.LBB186_907:                            ;   in Loop: Header=BB186_722 Depth=2
	global_load_b64 v[36:37], v[62:63], off offset:3072
	s_wait_xcnt 0x0
	s_or_b32 exec_lo, exec_lo, s60
	s_delay_alu instid0(SALU_CYCLE_1)
	s_mov_b32 s60, exec_lo
	v_cmpx_lt_u32_e64 v110, v134
	s_cbranch_execz .LBB186_838
.LBB186_908:                            ;   in Loop: Header=BB186_722 Depth=2
	global_load_b64 v[34:35], v[62:63], off offset:3328
	s_wait_xcnt 0x0
	s_or_b32 exec_lo, exec_lo, s60
	s_delay_alu instid0(SALU_CYCLE_1)
	s_mov_b32 s60, exec_lo
	v_cmpx_lt_u32_e64 v111, v134
	s_cbranch_execz .LBB186_839
.LBB186_909:                            ;   in Loop: Header=BB186_722 Depth=2
	global_load_b64 v[32:33], v[62:63], off offset:3584
	s_wait_xcnt 0x0
	s_or_b32 exec_lo, exec_lo, s60
	s_delay_alu instid0(SALU_CYCLE_1)
	s_mov_b32 s60, exec_lo
	v_cmpx_lt_u32_e64 v112, v134
	s_cbranch_execz .LBB186_840
.LBB186_910:                            ;   in Loop: Header=BB186_722 Depth=2
	global_load_b64 v[30:31], v[62:63], off offset:3840
	s_wait_xcnt 0x0
	s_or_b32 exec_lo, exec_lo, s60
	s_delay_alu instid0(SALU_CYCLE_1)
	s_mov_b32 s60, exec_lo
	v_cmpx_lt_u32_e64 v113, v134
	s_cbranch_execz .LBB186_841
.LBB186_911:                            ;   in Loop: Header=BB186_722 Depth=2
	global_load_b64 v[28:29], v[62:63], off offset:4096
	s_wait_xcnt 0x0
	s_or_b32 exec_lo, exec_lo, s60
	s_and_saveexec_b32 s34, vcc_lo
	s_cbranch_execz .LBB186_842
.LBB186_912:                            ;   in Loop: Header=BB186_722 Depth=2
	ds_load_u8 v62, v2 offset:512
	s_wait_dscnt 0x0
	v_lshrrev_b32_e32 v62, s49, v62
	s_delay_alu instid0(VALU_DEP_1)
	v_and_b32_e32 v131, s48, v62
	s_or_b32 exec_lo, exec_lo, s34
	s_and_saveexec_b32 s34, s17
	s_cbranch_execz .LBB186_843
.LBB186_913:                            ;   in Loop: Header=BB186_722 Depth=2
	ds_load_u8 v62, v2 offset:768
	s_wait_dscnt 0x0
	v_lshrrev_b32_e32 v62, s49, v62
	s_delay_alu instid0(VALU_DEP_1)
	v_and_b32_e32 v130, s48, v62
	s_or_b32 exec_lo, exec_lo, s34
	s_and_saveexec_b32 s34, s18
	s_cbranch_execz .LBB186_844
.LBB186_914:                            ;   in Loop: Header=BB186_722 Depth=2
	ds_load_u8 v62, v2 offset:1024
	s_wait_dscnt 0x0
	v_lshrrev_b32_e32 v62, s49, v62
	s_delay_alu instid0(VALU_DEP_1)
	v_and_b32_e32 v129, s48, v62
	s_or_b32 exec_lo, exec_lo, s34
	s_and_saveexec_b32 s34, s19
	s_cbranch_execz .LBB186_845
.LBB186_915:                            ;   in Loop: Header=BB186_722 Depth=2
	ds_load_u8 v62, v2 offset:1280
	s_wait_dscnt 0x0
	v_lshrrev_b32_e32 v62, s49, v62
	s_delay_alu instid0(VALU_DEP_1)
	v_and_b32_e32 v128, s48, v62
	s_or_b32 exec_lo, exec_lo, s34
	s_and_saveexec_b32 s34, s20
	s_cbranch_execz .LBB186_846
.LBB186_916:                            ;   in Loop: Header=BB186_722 Depth=2
	ds_load_u8 v62, v2 offset:1536
	s_wait_dscnt 0x0
	v_lshrrev_b32_e32 v62, s49, v62
	s_delay_alu instid0(VALU_DEP_1)
	v_and_b32_e32 v127, s48, v62
	s_or_b32 exec_lo, exec_lo, s34
	s_and_saveexec_b32 s34, s21
	s_cbranch_execz .LBB186_847
.LBB186_917:                            ;   in Loop: Header=BB186_722 Depth=2
	ds_load_u8 v62, v2 offset:1792
	s_wait_dscnt 0x0
	v_lshrrev_b32_e32 v62, s49, v62
	s_delay_alu instid0(VALU_DEP_1)
	v_and_b32_e32 v126, s48, v62
	s_or_b32 exec_lo, exec_lo, s34
	s_and_saveexec_b32 s34, s22
	s_cbranch_execz .LBB186_848
.LBB186_918:                            ;   in Loop: Header=BB186_722 Depth=2
	ds_load_u8 v62, v2 offset:2048
	s_wait_dscnt 0x0
	v_lshrrev_b32_e32 v62, s49, v62
	s_delay_alu instid0(VALU_DEP_1)
	v_and_b32_e32 v125, s48, v62
	s_or_b32 exec_lo, exec_lo, s34
	s_and_saveexec_b32 s34, s23
	s_cbranch_execz .LBB186_849
.LBB186_919:                            ;   in Loop: Header=BB186_722 Depth=2
	ds_load_u8 v62, v2 offset:2304
	s_wait_dscnt 0x0
	v_lshrrev_b32_e32 v62, s49, v62
	s_delay_alu instid0(VALU_DEP_1)
	v_and_b32_e32 v124, s48, v62
	s_or_b32 exec_lo, exec_lo, s34
	s_and_saveexec_b32 s34, s24
	s_cbranch_execz .LBB186_850
.LBB186_920:                            ;   in Loop: Header=BB186_722 Depth=2
	ds_load_u8 v62, v2 offset:2560
	s_wait_dscnt 0x0
	v_lshrrev_b32_e32 v62, s49, v62
	s_delay_alu instid0(VALU_DEP_1)
	v_and_b32_e32 v123, s48, v62
	s_or_b32 exec_lo, exec_lo, s34
	s_and_saveexec_b32 s34, s25
	s_cbranch_execz .LBB186_851
.LBB186_921:                            ;   in Loop: Header=BB186_722 Depth=2
	ds_load_u8 v62, v2 offset:2816
	s_wait_dscnt 0x0
	v_lshrrev_b32_e32 v62, s49, v62
	s_delay_alu instid0(VALU_DEP_1)
	v_and_b32_e32 v122, s48, v62
	s_or_b32 exec_lo, exec_lo, s34
	s_and_saveexec_b32 s34, s26
	s_cbranch_execz .LBB186_852
.LBB186_922:                            ;   in Loop: Header=BB186_722 Depth=2
	ds_load_u8 v62, v2 offset:3072
	s_wait_dscnt 0x0
	v_lshrrev_b32_e32 v62, s49, v62
	s_delay_alu instid0(VALU_DEP_1)
	v_and_b32_e32 v121, s48, v62
	s_or_b32 exec_lo, exec_lo, s34
	s_and_saveexec_b32 s34, s27
	s_cbranch_execz .LBB186_853
.LBB186_923:                            ;   in Loop: Header=BB186_722 Depth=2
	ds_load_u8 v62, v2 offset:3328
	s_wait_dscnt 0x0
	v_lshrrev_b32_e32 v62, s49, v62
	s_delay_alu instid0(VALU_DEP_1)
	v_and_b32_e32 v120, s48, v62
	s_or_b32 exec_lo, exec_lo, s34
	s_and_saveexec_b32 s34, s28
	s_cbranch_execz .LBB186_854
.LBB186_924:                            ;   in Loop: Header=BB186_722 Depth=2
	ds_load_u8 v62, v2 offset:3584
	s_wait_dscnt 0x0
	v_lshrrev_b32_e32 v62, s49, v62
	s_delay_alu instid0(VALU_DEP_1)
	v_and_b32_e32 v119, s48, v62
	s_or_b32 exec_lo, exec_lo, s34
	s_and_saveexec_b32 s34, s29
	s_cbranch_execz .LBB186_855
.LBB186_925:                            ;   in Loop: Header=BB186_722 Depth=2
	ds_load_u8 v62, v2 offset:3840
	s_wait_dscnt 0x0
	v_lshrrev_b32_e32 v62, s49, v62
	s_delay_alu instid0(VALU_DEP_1)
	v_and_b32_e32 v118, s48, v62
	s_or_b32 exec_lo, exec_lo, s34
	s_and_saveexec_b32 s34, s30
	s_cbranch_execz .LBB186_856
.LBB186_926:                            ;   in Loop: Header=BB186_722 Depth=2
	ds_load_u8 v62, v2 offset:4096
	s_wait_dscnt 0x0
	v_lshrrev_b32_e32 v62, s49, v62
	s_delay_alu instid0(VALU_DEP_1)
	v_and_b32_e32 v117, s48, v62
	s_or_b32 exec_lo, exec_lo, s34
	s_and_saveexec_b32 s34, s31
	s_cbranch_execz .LBB186_857
.LBB186_927:                            ;   in Loop: Header=BB186_722 Depth=2
	ds_load_u8 v62, v2 offset:4352
	s_wait_dscnt 0x0
	v_lshrrev_b32_e32 v62, s49, v62
	s_delay_alu instid0(VALU_DEP_1)
	v_and_b32_e32 v116, s48, v62
	s_or_b32 exec_lo, exec_lo, s34
	s_and_saveexec_b32 s34, s33
	s_cbranch_execnz .LBB186_858
	s_branch .LBB186_859
.LBB186_928:                            ;   in Loop: Header=BB186_722 Depth=2
	v_lshlrev_b32_e32 v62, 2, v131
	v_add_nc_u32_e32 v63, v2, v95
	ds_load_b32 v64, v62
	ds_load_b64 v[62:63], v63 offset:512
	s_wait_dscnt 0x1
	v_add_nc_u32_e32 v64, v64, v2
	s_wait_dscnt 0x0
	global_store_b64 v64, v[62:63], s[44:45] scale_offset
	s_wait_xcnt 0x0
	s_or_b32 exec_lo, exec_lo, s34
	s_and_saveexec_b32 s34, s17
	s_cbranch_execz .LBB186_861
.LBB186_929:                            ;   in Loop: Header=BB186_722 Depth=2
	v_dual_lshlrev_b32 v62, 2, v130 :: v_dual_add_nc_u32 v63, v2, v95
	ds_load_b32 v64, v62
	ds_load_b64 v[62:63], v63 offset:2560
	s_wait_dscnt 0x1
	v_add_nc_u32_e32 v64, v64, v67
	s_wait_dscnt 0x0
	global_store_b64 v64, v[62:63], s[44:45] scale_offset
	s_wait_xcnt 0x0
	s_or_b32 exec_lo, exec_lo, s34
	s_and_saveexec_b32 s17, s18
	s_cbranch_execz .LBB186_862
.LBB186_930:                            ;   in Loop: Header=BB186_722 Depth=2
	v_dual_lshlrev_b32 v62, 2, v129 :: v_dual_add_nc_u32 v63, v2, v95
	ds_load_b32 v64, v62
	ds_load_b64 v[62:63], v63 offset:4608
	s_wait_dscnt 0x1
	v_add_nc_u32_e32 v64, v64, v68
	s_wait_dscnt 0x0
	global_store_b64 v64, v[62:63], s[44:45] scale_offset
	s_wait_xcnt 0x0
	s_or_b32 exec_lo, exec_lo, s17
	s_and_saveexec_b32 s17, s19
	s_cbranch_execz .LBB186_863
.LBB186_931:                            ;   in Loop: Header=BB186_722 Depth=2
	v_dual_lshlrev_b32 v62, 2, v128 :: v_dual_add_nc_u32 v63, v2, v95
	ds_load_b32 v64, v62
	ds_load_b64 v[62:63], v63 offset:6656
	s_wait_dscnt 0x1
	v_add_nc_u32_e32 v64, v64, v69
	s_wait_dscnt 0x0
	global_store_b64 v64, v[62:63], s[44:45] scale_offset
	s_wait_xcnt 0x0
	s_or_b32 exec_lo, exec_lo, s17
	s_and_saveexec_b32 s17, s20
	s_cbranch_execz .LBB186_864
.LBB186_932:                            ;   in Loop: Header=BB186_722 Depth=2
	v_lshlrev_b32_e32 v62, 2, v127
	v_add_nc_u32_e32 v63, v2, v95
	ds_load_b32 v64, v62
	ds_load_b64 v[62:63], v63 offset:8704
	s_wait_dscnt 0x1
	v_add_nc_u32_e32 v64, v64, v70
	s_wait_dscnt 0x0
	global_store_b64 v64, v[62:63], s[44:45] scale_offset
	s_wait_xcnt 0x0
	s_or_b32 exec_lo, exec_lo, s17
	s_and_saveexec_b32 s17, s21
	s_cbranch_execz .LBB186_865
.LBB186_933:                            ;   in Loop: Header=BB186_722 Depth=2
	v_dual_lshlrev_b32 v62, 2, v126 :: v_dual_add_nc_u32 v63, v2, v95
	ds_load_b32 v64, v62
	ds_load_b64 v[62:63], v63 offset:10752
	s_wait_dscnt 0x1
	v_add_nc_u32_e32 v64, v64, v71
	s_wait_dscnt 0x0
	global_store_b64 v64, v[62:63], s[44:45] scale_offset
	s_wait_xcnt 0x0
	s_or_b32 exec_lo, exec_lo, s17
	s_and_saveexec_b32 s17, s22
	s_cbranch_execz .LBB186_866
.LBB186_934:                            ;   in Loop: Header=BB186_722 Depth=2
	v_dual_lshlrev_b32 v62, 2, v125 :: v_dual_add_nc_u32 v63, v2, v95
	ds_load_b32 v64, v62
	ds_load_b64 v[62:63], v63 offset:12800
	s_wait_dscnt 0x1
	v_add_nc_u32_e32 v64, v64, v72
	s_wait_dscnt 0x0
	global_store_b64 v64, v[62:63], s[44:45] scale_offset
	s_wait_xcnt 0x0
	s_or_b32 exec_lo, exec_lo, s17
	s_and_saveexec_b32 s17, s23
	s_cbranch_execz .LBB186_867
.LBB186_935:                            ;   in Loop: Header=BB186_722 Depth=2
	v_dual_lshlrev_b32 v62, 2, v124 :: v_dual_add_nc_u32 v63, v2, v95
	ds_load_b32 v64, v62
	ds_load_b64 v[62:63], v63 offset:14848
	s_wait_dscnt 0x1
	v_add_nc_u32_e32 v64, v64, v73
	s_wait_dscnt 0x0
	global_store_b64 v64, v[62:63], s[44:45] scale_offset
	s_wait_xcnt 0x0
	s_or_b32 exec_lo, exec_lo, s17
	s_and_saveexec_b32 s17, s24
	s_cbranch_execz .LBB186_868
.LBB186_936:                            ;   in Loop: Header=BB186_722 Depth=2
	v_lshlrev_b32_e32 v62, 2, v123
	v_add_nc_u32_e32 v63, v2, v95
	ds_load_b32 v64, v62
	ds_load_b64 v[62:63], v63 offset:16896
	s_wait_dscnt 0x1
	v_add_nc_u32_e32 v64, v64, v74
	s_wait_dscnt 0x0
	global_store_b64 v64, v[62:63], s[44:45] scale_offset
	s_wait_xcnt 0x0
	s_or_b32 exec_lo, exec_lo, s17
	s_and_saveexec_b32 s17, s25
	s_cbranch_execz .LBB186_869
.LBB186_937:                            ;   in Loop: Header=BB186_722 Depth=2
	v_dual_lshlrev_b32 v62, 2, v122 :: v_dual_add_nc_u32 v63, v2, v95
	ds_load_b32 v64, v62
	ds_load_b64 v[62:63], v63 offset:18944
	s_wait_dscnt 0x1
	v_add_nc_u32_e32 v64, v64, v75
	s_wait_dscnt 0x0
	global_store_b64 v64, v[62:63], s[44:45] scale_offset
	s_wait_xcnt 0x0
	s_or_b32 exec_lo, exec_lo, s17
	s_and_saveexec_b32 s17, s26
	s_cbranch_execz .LBB186_870
.LBB186_938:                            ;   in Loop: Header=BB186_722 Depth=2
	v_dual_lshlrev_b32 v62, 2, v121 :: v_dual_add_nc_u32 v63, v2, v95
	ds_load_b32 v64, v62
	ds_load_b64 v[62:63], v63 offset:20992
	s_wait_dscnt 0x1
	v_add_nc_u32_e32 v64, v64, v76
	s_wait_dscnt 0x0
	global_store_b64 v64, v[62:63], s[44:45] scale_offset
	s_wait_xcnt 0x0
	s_or_b32 exec_lo, exec_lo, s17
	s_and_saveexec_b32 s17, s27
	s_cbranch_execz .LBB186_871
.LBB186_939:                            ;   in Loop: Header=BB186_722 Depth=2
	v_dual_lshlrev_b32 v62, 2, v120 :: v_dual_add_nc_u32 v63, v2, v95
	ds_load_b32 v64, v62
	ds_load_b64 v[62:63], v63 offset:23040
	s_wait_dscnt 0x1
	v_add_nc_u32_e32 v64, v64, v77
	s_wait_dscnt 0x0
	global_store_b64 v64, v[62:63], s[44:45] scale_offset
	s_wait_xcnt 0x0
	s_or_b32 exec_lo, exec_lo, s17
	s_and_saveexec_b32 s17, s28
	s_cbranch_execz .LBB186_872
.LBB186_940:                            ;   in Loop: Header=BB186_722 Depth=2
	v_lshlrev_b32_e32 v62, 2, v119
	v_add_nc_u32_e32 v63, v2, v95
	ds_load_b32 v64, v62
	ds_load_b64 v[62:63], v63 offset:25088
	s_wait_dscnt 0x1
	v_add_nc_u32_e32 v64, v64, v78
	s_wait_dscnt 0x0
	global_store_b64 v64, v[62:63], s[44:45] scale_offset
	s_wait_xcnt 0x0
	s_or_b32 exec_lo, exec_lo, s17
	s_and_saveexec_b32 s17, s29
	s_cbranch_execz .LBB186_873
.LBB186_941:                            ;   in Loop: Header=BB186_722 Depth=2
	v_dual_lshlrev_b32 v62, 2, v118 :: v_dual_add_nc_u32 v63, v2, v95
	ds_load_b32 v64, v62
	ds_load_b64 v[62:63], v63 offset:27136
	s_wait_dscnt 0x1
	v_add_nc_u32_e32 v64, v64, v79
	s_wait_dscnt 0x0
	global_store_b64 v64, v[62:63], s[44:45] scale_offset
	s_wait_xcnt 0x0
	s_or_b32 exec_lo, exec_lo, s17
	s_and_saveexec_b32 s17, s30
	s_cbranch_execz .LBB186_874
.LBB186_942:                            ;   in Loop: Header=BB186_722 Depth=2
	v_dual_lshlrev_b32 v62, 2, v117 :: v_dual_add_nc_u32 v63, v2, v95
	ds_load_b32 v64, v62
	ds_load_b64 v[62:63], v63 offset:29184
	s_wait_dscnt 0x1
	v_add_nc_u32_e32 v64, v64, v80
	s_wait_dscnt 0x0
	global_store_b64 v64, v[62:63], s[44:45] scale_offset
	s_wait_xcnt 0x0
	s_or_b32 exec_lo, exec_lo, s17
	s_and_saveexec_b32 s17, s31
	s_cbranch_execz .LBB186_875
.LBB186_943:                            ;   in Loop: Header=BB186_722 Depth=2
	v_dual_lshlrev_b32 v62, 2, v116 :: v_dual_add_nc_u32 v63, v2, v95
	ds_load_b32 v64, v62
	ds_load_b64 v[62:63], v63 offset:31232
	s_wait_dscnt 0x1
	v_add_nc_u32_e32 v64, v64, v81
	s_wait_dscnt 0x0
	global_store_b64 v64, v[62:63], s[44:45] scale_offset
	s_wait_xcnt 0x0
	s_or_b32 exec_lo, exec_lo, s17
	s_and_saveexec_b32 s17, s33
	s_cbranch_execnz .LBB186_876
	s_branch .LBB186_877
.LBB186_944:                            ;   in Loop: Header=BB186_12 Depth=1
	s_wait_dscnt 0x0
	s_barrier_signal -1
	s_mov_b32 s8, 0
	s_barrier_wait -1
.LBB186_945:                            ;   in Loop: Header=BB186_12 Depth=1
	s_and_b32 vcc_lo, exec_lo, s8
	s_cbranch_vccz .LBB186_11
; %bb.946:                              ;   in Loop: Header=BB186_12 Depth=1
	v_dual_mov_b32 v39, 0 :: v_dual_mov_b32 v42, 0
	v_dual_mov_b32 v41, 0 :: v_dual_mov_b32 v40, 0
	;; [unrolled: 1-line block ×8, first 2 shown]
	v_mov_b32_e32 v26, 0
	s_mov_b32 s8, s57
	s_mov_b32 s34, s55
	s_barrier_signal -1
	s_barrier_wait -1
	s_branch .LBB186_948
.LBB186_947:                            ;   in Loop: Header=BB186_948 Depth=2
	s_or_b32 exec_lo, exec_lo, s10
	s_addk_co_i32 s8, 0xef00
	s_cmp_ge_u32 s9, s54
	s_mov_b32 s34, s9
	s_cbranch_scc1 .LBB186_1020
.LBB186_948:                            ;   Parent Loop BB186_12 Depth=1
                                        ; =>  This Inner Loop Header: Depth=2
	s_add_co_i32 s9, s34, 0x1100
	s_mov_b32 s10, -1
	s_cmp_gt_u32 s9, s54
                                        ; implicit-def: $vgpr24
                                        ; implicit-def: $vgpr25
                                        ; implicit-def: $vgpr43
                                        ; implicit-def: $vgpr44
                                        ; implicit-def: $vgpr45
                                        ; implicit-def: $vgpr46
                                        ; implicit-def: $vgpr47
                                        ; implicit-def: $vgpr48
                                        ; implicit-def: $vgpr49
                                        ; implicit-def: $vgpr50
                                        ; implicit-def: $vgpr51
                                        ; implicit-def: $vgpr52
                                        ; implicit-def: $vgpr53
                                        ; implicit-def: $vgpr54
                                        ; implicit-def: $vgpr55
                                        ; implicit-def: $vgpr56
                                        ; implicit-def: $vgpr57
	s_cbranch_scc1 .LBB186_950
; %bb.949:                              ;   in Loop: Header=BB186_948 Depth=2
	v_add_nc_u64_e32 v[58:59], s[34:35], v[18:19]
	s_mov_b32 s10, 0
	s_clause 0x10
	global_load_u8 v57, v[58:59], off offset:4096
	global_load_u8 v56, v[58:59], off offset:3840
	;; [unrolled: 1-line block ×16, first 2 shown]
	global_load_u8 v24, v[58:59], off
.LBB186_950:                            ;   in Loop: Header=BB186_948 Depth=2
	s_and_not1_b32 vcc_lo, exec_lo, s10
	s_movk_i32 s10, 0x1100
	s_cbranch_vccnz .LBB186_970
; %bb.951:                              ;   in Loop: Header=BB186_948 Depth=2
	s_add_nc_u64 s[10:11], s[36:37], s[34:35]
	s_wait_loadcnt 0x0
	v_add_nc_u64_e32 v[24:25], s[10:11], v[2:3]
	s_mov_b32 s10, exec_lo
	s_wait_xcnt 0x0
	v_cmpx_gt_u32_e64 s8, v2
	s_cbranch_execnz .LBB186_1004
; %bb.952:                              ;   in Loop: Header=BB186_948 Depth=2
	s_or_b32 exec_lo, exec_lo, s10
	s_delay_alu instid0(SALU_CYCLE_1)
	s_mov_b32 s10, exec_lo
	v_cmpx_gt_u32_e64 s8, v67
	s_cbranch_execnz .LBB186_1005
.LBB186_953:                            ;   in Loop: Header=BB186_948 Depth=2
	s_or_b32 exec_lo, exec_lo, s10
	s_delay_alu instid0(SALU_CYCLE_1)
	s_mov_b32 s10, exec_lo
	v_cmpx_gt_u32_e64 s8, v68
	s_cbranch_execnz .LBB186_1006
.LBB186_954:                            ;   in Loop: Header=BB186_948 Depth=2
	s_or_b32 exec_lo, exec_lo, s10
	s_delay_alu instid0(SALU_CYCLE_1)
	s_mov_b32 s10, exec_lo
	v_cmpx_gt_u32_e64 s8, v69
	s_cbranch_execnz .LBB186_1007
.LBB186_955:                            ;   in Loop: Header=BB186_948 Depth=2
	s_or_b32 exec_lo, exec_lo, s10
	s_delay_alu instid0(SALU_CYCLE_1)
	s_mov_b32 s10, exec_lo
	v_cmpx_gt_u32_e64 s8, v70
	s_cbranch_execnz .LBB186_1008
.LBB186_956:                            ;   in Loop: Header=BB186_948 Depth=2
	s_or_b32 exec_lo, exec_lo, s10
	s_delay_alu instid0(SALU_CYCLE_1)
	s_mov_b32 s10, exec_lo
	v_cmpx_gt_u32_e64 s8, v71
	s_cbranch_execnz .LBB186_1009
.LBB186_957:                            ;   in Loop: Header=BB186_948 Depth=2
	s_or_b32 exec_lo, exec_lo, s10
	s_delay_alu instid0(SALU_CYCLE_1)
	s_mov_b32 s10, exec_lo
	v_cmpx_gt_u32_e64 s8, v72
	s_cbranch_execnz .LBB186_1010
.LBB186_958:                            ;   in Loop: Header=BB186_948 Depth=2
	s_or_b32 exec_lo, exec_lo, s10
	s_delay_alu instid0(SALU_CYCLE_1)
	s_mov_b32 s10, exec_lo
	v_cmpx_gt_u32_e64 s8, v73
	s_cbranch_execnz .LBB186_1011
.LBB186_959:                            ;   in Loop: Header=BB186_948 Depth=2
	s_or_b32 exec_lo, exec_lo, s10
	s_delay_alu instid0(SALU_CYCLE_1)
	s_mov_b32 s10, exec_lo
	v_cmpx_gt_u32_e64 s8, v74
	s_cbranch_execnz .LBB186_1012
.LBB186_960:                            ;   in Loop: Header=BB186_948 Depth=2
	s_or_b32 exec_lo, exec_lo, s10
	s_delay_alu instid0(SALU_CYCLE_1)
	s_mov_b32 s10, exec_lo
	v_cmpx_gt_u32_e64 s8, v75
	s_cbranch_execnz .LBB186_1013
.LBB186_961:                            ;   in Loop: Header=BB186_948 Depth=2
	s_or_b32 exec_lo, exec_lo, s10
	s_delay_alu instid0(SALU_CYCLE_1)
	s_mov_b32 s10, exec_lo
	v_cmpx_gt_u32_e64 s8, v76
	s_cbranch_execnz .LBB186_1014
.LBB186_962:                            ;   in Loop: Header=BB186_948 Depth=2
	s_or_b32 exec_lo, exec_lo, s10
	s_delay_alu instid0(SALU_CYCLE_1)
	s_mov_b32 s10, exec_lo
	v_cmpx_gt_u32_e64 s8, v77
	s_cbranch_execnz .LBB186_1015
.LBB186_963:                            ;   in Loop: Header=BB186_948 Depth=2
	s_or_b32 exec_lo, exec_lo, s10
	s_delay_alu instid0(SALU_CYCLE_1)
	s_mov_b32 s10, exec_lo
	v_cmpx_gt_u32_e64 s8, v78
	s_cbranch_execnz .LBB186_1016
.LBB186_964:                            ;   in Loop: Header=BB186_948 Depth=2
	s_or_b32 exec_lo, exec_lo, s10
	s_delay_alu instid0(SALU_CYCLE_1)
	s_mov_b32 s10, exec_lo
	v_cmpx_gt_u32_e64 s8, v79
	s_cbranch_execnz .LBB186_1017
.LBB186_965:                            ;   in Loop: Header=BB186_948 Depth=2
	s_or_b32 exec_lo, exec_lo, s10
	s_delay_alu instid0(SALU_CYCLE_1)
	s_mov_b32 s10, exec_lo
	v_cmpx_gt_u32_e64 s8, v80
	s_cbranch_execnz .LBB186_1018
.LBB186_966:                            ;   in Loop: Header=BB186_948 Depth=2
	s_or_b32 exec_lo, exec_lo, s10
	s_delay_alu instid0(SALU_CYCLE_1)
	s_mov_b32 s10, exec_lo
	v_cmpx_gt_u32_e64 s8, v81
	s_cbranch_execnz .LBB186_1019
.LBB186_967:                            ;   in Loop: Header=BB186_948 Depth=2
	s_or_b32 exec_lo, exec_lo, s10
	s_delay_alu instid0(SALU_CYCLE_1)
	s_mov_b32 s10, exec_lo
	v_cmpx_gt_u32_e64 s8, v82
	s_cbranch_execz .LBB186_969
.LBB186_968:                            ;   in Loop: Header=BB186_948 Depth=2
	global_load_u8 v26, v[24:25], off offset:4096
.LBB186_969:                            ;   in Loop: Header=BB186_948 Depth=2
	s_wait_xcnt 0x0
	s_or_b32 exec_lo, exec_lo, s10
	s_wait_loadcnt 0x0
	v_dual_mov_b32 v24, v39 :: v_dual_mov_b32 v25, v42
	v_dual_mov_b32 v43, v41 :: v_dual_mov_b32 v44, v40
	;; [unrolled: 1-line block ×8, first 2 shown]
	v_mov_b32_e32 v57, v26
	s_mov_b32 s10, s8
.LBB186_970:                            ;   in Loop: Header=BB186_948 Depth=2
	s_wait_loadcnt 0xf
	s_delay_alu instid0(VALU_DEP_1)
	v_dual_mov_b32 v26, v57 :: v_dual_mov_b32 v27, v56
	s_wait_loadcnt 0xd
	v_dual_mov_b32 v28, v55 :: v_dual_mov_b32 v29, v54
	s_wait_loadcnt 0xb
	;; [unrolled: 2-line block ×8, first 2 shown]
	v_mov_b32_e32 v39, v24
	s_mov_b32 s11, exec_lo
	s_wait_xcnt 0x0
	v_cmpx_gt_u32_e64 s10, v2
	s_cbranch_execnz .LBB186_987
; %bb.971:                              ;   in Loop: Header=BB186_948 Depth=2
	s_or_b32 exec_lo, exec_lo, s11
	s_delay_alu instid0(SALU_CYCLE_1)
	s_mov_b32 s11, exec_lo
	v_cmpx_gt_u32_e64 s10, v67
	s_cbranch_execnz .LBB186_988
.LBB186_972:                            ;   in Loop: Header=BB186_948 Depth=2
	s_or_b32 exec_lo, exec_lo, s11
	s_delay_alu instid0(SALU_CYCLE_1)
	s_mov_b32 s11, exec_lo
	v_cmpx_gt_u32_e64 s10, v68
	s_cbranch_execnz .LBB186_989
.LBB186_973:                            ;   in Loop: Header=BB186_948 Depth=2
	s_or_b32 exec_lo, exec_lo, s11
	s_delay_alu instid0(SALU_CYCLE_1)
	s_mov_b32 s11, exec_lo
	v_cmpx_gt_u32_e64 s10, v69
	s_cbranch_execnz .LBB186_990
.LBB186_974:                            ;   in Loop: Header=BB186_948 Depth=2
	s_or_b32 exec_lo, exec_lo, s11
	s_delay_alu instid0(SALU_CYCLE_1)
	s_mov_b32 s11, exec_lo
	v_cmpx_gt_u32_e64 s10, v70
	s_cbranch_execnz .LBB186_991
.LBB186_975:                            ;   in Loop: Header=BB186_948 Depth=2
	s_or_b32 exec_lo, exec_lo, s11
	s_delay_alu instid0(SALU_CYCLE_1)
	s_mov_b32 s11, exec_lo
	v_cmpx_gt_u32_e64 s10, v71
	s_cbranch_execnz .LBB186_992
.LBB186_976:                            ;   in Loop: Header=BB186_948 Depth=2
	s_or_b32 exec_lo, exec_lo, s11
	s_delay_alu instid0(SALU_CYCLE_1)
	s_mov_b32 s11, exec_lo
	v_cmpx_gt_u32_e64 s10, v72
	s_cbranch_execnz .LBB186_993
.LBB186_977:                            ;   in Loop: Header=BB186_948 Depth=2
	s_or_b32 exec_lo, exec_lo, s11
	s_delay_alu instid0(SALU_CYCLE_1)
	s_mov_b32 s11, exec_lo
	v_cmpx_gt_u32_e64 s10, v73
	s_cbranch_execnz .LBB186_994
.LBB186_978:                            ;   in Loop: Header=BB186_948 Depth=2
	s_or_b32 exec_lo, exec_lo, s11
	s_delay_alu instid0(SALU_CYCLE_1)
	s_mov_b32 s11, exec_lo
	v_cmpx_gt_u32_e64 s10, v74
	s_cbranch_execnz .LBB186_995
.LBB186_979:                            ;   in Loop: Header=BB186_948 Depth=2
	s_or_b32 exec_lo, exec_lo, s11
	s_delay_alu instid0(SALU_CYCLE_1)
	s_mov_b32 s11, exec_lo
	v_cmpx_gt_u32_e64 s10, v75
	s_cbranch_execnz .LBB186_996
.LBB186_980:                            ;   in Loop: Header=BB186_948 Depth=2
	s_or_b32 exec_lo, exec_lo, s11
	s_delay_alu instid0(SALU_CYCLE_1)
	s_mov_b32 s11, exec_lo
	v_cmpx_gt_u32_e64 s10, v76
	s_cbranch_execnz .LBB186_997
.LBB186_981:                            ;   in Loop: Header=BB186_948 Depth=2
	s_or_b32 exec_lo, exec_lo, s11
	s_delay_alu instid0(SALU_CYCLE_1)
	s_mov_b32 s11, exec_lo
	v_cmpx_gt_u32_e64 s10, v77
	s_cbranch_execnz .LBB186_998
.LBB186_982:                            ;   in Loop: Header=BB186_948 Depth=2
	s_or_b32 exec_lo, exec_lo, s11
	s_delay_alu instid0(SALU_CYCLE_1)
	s_mov_b32 s11, exec_lo
	v_cmpx_gt_u32_e64 s10, v78
	s_cbranch_execnz .LBB186_999
.LBB186_983:                            ;   in Loop: Header=BB186_948 Depth=2
	s_or_b32 exec_lo, exec_lo, s11
	s_delay_alu instid0(SALU_CYCLE_1)
	s_mov_b32 s11, exec_lo
	v_cmpx_gt_u32_e64 s10, v79
	s_cbranch_execnz .LBB186_1000
.LBB186_984:                            ;   in Loop: Header=BB186_948 Depth=2
	s_or_b32 exec_lo, exec_lo, s11
	s_delay_alu instid0(SALU_CYCLE_1)
	s_mov_b32 s11, exec_lo
	v_cmpx_gt_u32_e64 s10, v80
	s_cbranch_execnz .LBB186_1001
.LBB186_985:                            ;   in Loop: Header=BB186_948 Depth=2
	s_or_b32 exec_lo, exec_lo, s11
	s_delay_alu instid0(SALU_CYCLE_1)
	s_mov_b32 s11, exec_lo
	v_cmpx_gt_u32_e64 s10, v81
	s_cbranch_execnz .LBB186_1002
.LBB186_986:                            ;   in Loop: Header=BB186_948 Depth=2
	s_or_b32 exec_lo, exec_lo, s11
	v_cmp_gt_u32_e32 vcc_lo, s10, v82
	s_and_saveexec_b32 s10, vcc_lo
	s_cbranch_execz .LBB186_947
	s_branch .LBB186_1003
.LBB186_987:                            ;   in Loop: Header=BB186_948 Depth=2
	v_and_b32_e32 v24, 0xff, v39
	s_delay_alu instid0(VALU_DEP_1) | instskip(NEXT) | instid1(VALU_DEP_1)
	v_lshrrev_b32_e32 v24, s49, v24
	v_and_b32_e32 v24, s48, v24
	s_delay_alu instid0(VALU_DEP_1) | instskip(SKIP_2) | instid1(SALU_CYCLE_1)
	v_lshl_or_b32 v24, v24, 4, v84
	ds_add_u32 v24, v7
	s_or_b32 exec_lo, exec_lo, s11
	s_mov_b32 s11, exec_lo
	v_cmpx_gt_u32_e64 s10, v67
	s_cbranch_execz .LBB186_972
.LBB186_988:                            ;   in Loop: Header=BB186_948 Depth=2
	v_and_b32_e32 v24, 0xff, v42
	s_delay_alu instid0(VALU_DEP_1) | instskip(NEXT) | instid1(VALU_DEP_1)
	v_lshrrev_b32_e32 v24, s49, v24
	v_and_b32_e32 v24, s48, v24
	s_delay_alu instid0(VALU_DEP_1) | instskip(SKIP_2) | instid1(SALU_CYCLE_1)
	v_lshl_or_b32 v24, v24, 4, v84
	ds_add_u32 v24, v7
	s_or_b32 exec_lo, exec_lo, s11
	s_mov_b32 s11, exec_lo
	v_cmpx_gt_u32_e64 s10, v68
	s_cbranch_execz .LBB186_973
.LBB186_989:                            ;   in Loop: Header=BB186_948 Depth=2
	v_and_b32_e32 v24, 0xff, v41
	s_delay_alu instid0(VALU_DEP_1) | instskip(NEXT) | instid1(VALU_DEP_1)
	v_lshrrev_b32_e32 v24, s49, v24
	v_and_b32_e32 v24, s48, v24
	s_delay_alu instid0(VALU_DEP_1) | instskip(SKIP_2) | instid1(SALU_CYCLE_1)
	v_lshl_or_b32 v24, v24, 4, v84
	ds_add_u32 v24, v7
	s_or_b32 exec_lo, exec_lo, s11
	s_mov_b32 s11, exec_lo
	v_cmpx_gt_u32_e64 s10, v69
	s_cbranch_execz .LBB186_974
.LBB186_990:                            ;   in Loop: Header=BB186_948 Depth=2
	v_and_b32_e32 v24, 0xff, v40
	s_delay_alu instid0(VALU_DEP_1) | instskip(NEXT) | instid1(VALU_DEP_1)
	v_lshrrev_b32_e32 v24, s49, v24
	v_and_b32_e32 v24, s48, v24
	s_delay_alu instid0(VALU_DEP_1) | instskip(SKIP_2) | instid1(SALU_CYCLE_1)
	v_lshl_or_b32 v24, v24, 4, v84
	ds_add_u32 v24, v7
	s_or_b32 exec_lo, exec_lo, s11
	s_mov_b32 s11, exec_lo
	v_cmpx_gt_u32_e64 s10, v70
	s_cbranch_execz .LBB186_975
.LBB186_991:                            ;   in Loop: Header=BB186_948 Depth=2
	v_and_b32_e32 v24, 0xff, v38
	s_delay_alu instid0(VALU_DEP_1) | instskip(NEXT) | instid1(VALU_DEP_1)
	v_lshrrev_b32_e32 v24, s49, v24
	v_and_b32_e32 v24, s48, v24
	s_delay_alu instid0(VALU_DEP_1) | instskip(SKIP_2) | instid1(SALU_CYCLE_1)
	v_lshl_or_b32 v24, v24, 4, v84
	ds_add_u32 v24, v7
	s_or_b32 exec_lo, exec_lo, s11
	s_mov_b32 s11, exec_lo
	v_cmpx_gt_u32_e64 s10, v71
	s_cbranch_execz .LBB186_976
.LBB186_992:                            ;   in Loop: Header=BB186_948 Depth=2
	v_and_b32_e32 v24, 0xff, v37
	s_delay_alu instid0(VALU_DEP_1) | instskip(NEXT) | instid1(VALU_DEP_1)
	v_lshrrev_b32_e32 v24, s49, v24
	v_and_b32_e32 v24, s48, v24
	s_delay_alu instid0(VALU_DEP_1) | instskip(SKIP_2) | instid1(SALU_CYCLE_1)
	v_lshl_or_b32 v24, v24, 4, v84
	ds_add_u32 v24, v7
	s_or_b32 exec_lo, exec_lo, s11
	s_mov_b32 s11, exec_lo
	v_cmpx_gt_u32_e64 s10, v72
	s_cbranch_execz .LBB186_977
.LBB186_993:                            ;   in Loop: Header=BB186_948 Depth=2
	v_and_b32_e32 v24, 0xff, v36
	s_delay_alu instid0(VALU_DEP_1) | instskip(NEXT) | instid1(VALU_DEP_1)
	v_lshrrev_b32_e32 v24, s49, v24
	v_and_b32_e32 v24, s48, v24
	s_delay_alu instid0(VALU_DEP_1) | instskip(SKIP_2) | instid1(SALU_CYCLE_1)
	v_lshl_or_b32 v24, v24, 4, v84
	ds_add_u32 v24, v7
	s_or_b32 exec_lo, exec_lo, s11
	s_mov_b32 s11, exec_lo
	v_cmpx_gt_u32_e64 s10, v73
	s_cbranch_execz .LBB186_978
.LBB186_994:                            ;   in Loop: Header=BB186_948 Depth=2
	v_and_b32_e32 v24, 0xff, v35
	s_delay_alu instid0(VALU_DEP_1) | instskip(NEXT) | instid1(VALU_DEP_1)
	v_lshrrev_b32_e32 v24, s49, v24
	v_and_b32_e32 v24, s48, v24
	s_delay_alu instid0(VALU_DEP_1) | instskip(SKIP_2) | instid1(SALU_CYCLE_1)
	v_lshl_or_b32 v24, v24, 4, v84
	ds_add_u32 v24, v7
	s_or_b32 exec_lo, exec_lo, s11
	s_mov_b32 s11, exec_lo
	v_cmpx_gt_u32_e64 s10, v74
	s_cbranch_execz .LBB186_979
.LBB186_995:                            ;   in Loop: Header=BB186_948 Depth=2
	v_and_b32_e32 v24, 0xff, v34
	s_delay_alu instid0(VALU_DEP_1) | instskip(NEXT) | instid1(VALU_DEP_1)
	v_lshrrev_b32_e32 v24, s49, v24
	v_and_b32_e32 v24, s48, v24
	s_delay_alu instid0(VALU_DEP_1) | instskip(SKIP_2) | instid1(SALU_CYCLE_1)
	v_lshl_or_b32 v24, v24, 4, v84
	ds_add_u32 v24, v7
	s_or_b32 exec_lo, exec_lo, s11
	s_mov_b32 s11, exec_lo
	v_cmpx_gt_u32_e64 s10, v75
	s_cbranch_execz .LBB186_980
.LBB186_996:                            ;   in Loop: Header=BB186_948 Depth=2
	v_and_b32_e32 v24, 0xff, v33
	s_delay_alu instid0(VALU_DEP_1) | instskip(NEXT) | instid1(VALU_DEP_1)
	v_lshrrev_b32_e32 v24, s49, v24
	v_and_b32_e32 v24, s48, v24
	s_delay_alu instid0(VALU_DEP_1) | instskip(SKIP_2) | instid1(SALU_CYCLE_1)
	v_lshl_or_b32 v24, v24, 4, v84
	ds_add_u32 v24, v7
	s_or_b32 exec_lo, exec_lo, s11
	s_mov_b32 s11, exec_lo
	v_cmpx_gt_u32_e64 s10, v76
	s_cbranch_execz .LBB186_981
.LBB186_997:                            ;   in Loop: Header=BB186_948 Depth=2
	v_and_b32_e32 v24, 0xff, v32
	s_delay_alu instid0(VALU_DEP_1) | instskip(NEXT) | instid1(VALU_DEP_1)
	v_lshrrev_b32_e32 v24, s49, v24
	v_and_b32_e32 v24, s48, v24
	s_delay_alu instid0(VALU_DEP_1) | instskip(SKIP_2) | instid1(SALU_CYCLE_1)
	v_lshl_or_b32 v24, v24, 4, v84
	ds_add_u32 v24, v7
	s_or_b32 exec_lo, exec_lo, s11
	s_mov_b32 s11, exec_lo
	v_cmpx_gt_u32_e64 s10, v77
	s_cbranch_execz .LBB186_982
.LBB186_998:                            ;   in Loop: Header=BB186_948 Depth=2
	v_and_b32_e32 v24, 0xff, v31
	s_delay_alu instid0(VALU_DEP_1) | instskip(NEXT) | instid1(VALU_DEP_1)
	v_lshrrev_b32_e32 v24, s49, v24
	v_and_b32_e32 v24, s48, v24
	s_delay_alu instid0(VALU_DEP_1) | instskip(SKIP_2) | instid1(SALU_CYCLE_1)
	v_lshl_or_b32 v24, v24, 4, v84
	ds_add_u32 v24, v7
	s_or_b32 exec_lo, exec_lo, s11
	s_mov_b32 s11, exec_lo
	v_cmpx_gt_u32_e64 s10, v78
	s_cbranch_execz .LBB186_983
.LBB186_999:                            ;   in Loop: Header=BB186_948 Depth=2
	v_and_b32_e32 v24, 0xff, v30
	s_delay_alu instid0(VALU_DEP_1) | instskip(NEXT) | instid1(VALU_DEP_1)
	v_lshrrev_b32_e32 v24, s49, v24
	v_and_b32_e32 v24, s48, v24
	s_delay_alu instid0(VALU_DEP_1) | instskip(SKIP_2) | instid1(SALU_CYCLE_1)
	v_lshl_or_b32 v24, v24, 4, v84
	ds_add_u32 v24, v7
	s_or_b32 exec_lo, exec_lo, s11
	s_mov_b32 s11, exec_lo
	v_cmpx_gt_u32_e64 s10, v79
	s_cbranch_execz .LBB186_984
.LBB186_1000:                           ;   in Loop: Header=BB186_948 Depth=2
	v_and_b32_e32 v24, 0xff, v29
	s_delay_alu instid0(VALU_DEP_1) | instskip(NEXT) | instid1(VALU_DEP_1)
	v_lshrrev_b32_e32 v24, s49, v24
	v_and_b32_e32 v24, s48, v24
	s_delay_alu instid0(VALU_DEP_1) | instskip(SKIP_2) | instid1(SALU_CYCLE_1)
	v_lshl_or_b32 v24, v24, 4, v84
	ds_add_u32 v24, v7
	s_or_b32 exec_lo, exec_lo, s11
	s_mov_b32 s11, exec_lo
	v_cmpx_gt_u32_e64 s10, v80
	s_cbranch_execz .LBB186_985
.LBB186_1001:                           ;   in Loop: Header=BB186_948 Depth=2
	v_and_b32_e32 v24, 0xff, v28
	s_delay_alu instid0(VALU_DEP_1) | instskip(NEXT) | instid1(VALU_DEP_1)
	v_lshrrev_b32_e32 v24, s49, v24
	v_and_b32_e32 v24, s48, v24
	s_delay_alu instid0(VALU_DEP_1) | instskip(SKIP_2) | instid1(SALU_CYCLE_1)
	v_lshl_or_b32 v24, v24, 4, v84
	ds_add_u32 v24, v7
	s_or_b32 exec_lo, exec_lo, s11
	s_mov_b32 s11, exec_lo
	v_cmpx_gt_u32_e64 s10, v81
	s_cbranch_execz .LBB186_986
.LBB186_1002:                           ;   in Loop: Header=BB186_948 Depth=2
	v_and_b32_e32 v24, 0xff, v27
	s_delay_alu instid0(VALU_DEP_1) | instskip(NEXT) | instid1(VALU_DEP_1)
	v_lshrrev_b32_e32 v24, s49, v24
	v_and_b32_e32 v24, s48, v24
	s_delay_alu instid0(VALU_DEP_1)
	v_lshl_or_b32 v24, v24, 4, v84
	ds_add_u32 v24, v7
	s_or_b32 exec_lo, exec_lo, s11
	v_cmp_gt_u32_e32 vcc_lo, s10, v82
	s_and_saveexec_b32 s10, vcc_lo
	s_cbranch_execz .LBB186_947
.LBB186_1003:                           ;   in Loop: Header=BB186_948 Depth=2
	v_and_b32_e32 v24, 0xff, v26
	s_delay_alu instid0(VALU_DEP_1) | instskip(NEXT) | instid1(VALU_DEP_1)
	v_lshrrev_b32_e32 v24, s49, v24
	v_and_b32_e32 v24, s48, v24
	s_delay_alu instid0(VALU_DEP_1)
	v_lshl_or_b32 v24, v24, 4, v84
	ds_add_u32 v24, v7
	s_branch .LBB186_947
.LBB186_1004:                           ;   in Loop: Header=BB186_948 Depth=2
	global_load_u8 v39, v[24:25], off
	s_wait_xcnt 0x0
	s_or_b32 exec_lo, exec_lo, s10
	s_delay_alu instid0(SALU_CYCLE_1)
	s_mov_b32 s10, exec_lo
	v_cmpx_gt_u32_e64 s8, v67
	s_cbranch_execz .LBB186_953
.LBB186_1005:                           ;   in Loop: Header=BB186_948 Depth=2
	global_load_u8 v42, v[24:25], off offset:256
	s_wait_xcnt 0x0
	s_or_b32 exec_lo, exec_lo, s10
	s_delay_alu instid0(SALU_CYCLE_1)
	s_mov_b32 s10, exec_lo
	v_cmpx_gt_u32_e64 s8, v68
	s_cbranch_execz .LBB186_954
.LBB186_1006:                           ;   in Loop: Header=BB186_948 Depth=2
	global_load_u8 v41, v[24:25], off offset:512
	s_wait_xcnt 0x0
	s_or_b32 exec_lo, exec_lo, s10
	s_delay_alu instid0(SALU_CYCLE_1)
	s_mov_b32 s10, exec_lo
	v_cmpx_gt_u32_e64 s8, v69
	s_cbranch_execz .LBB186_955
.LBB186_1007:                           ;   in Loop: Header=BB186_948 Depth=2
	global_load_u8 v40, v[24:25], off offset:768
	s_wait_xcnt 0x0
	s_or_b32 exec_lo, exec_lo, s10
	s_delay_alu instid0(SALU_CYCLE_1)
	s_mov_b32 s10, exec_lo
	v_cmpx_gt_u32_e64 s8, v70
	s_cbranch_execz .LBB186_956
.LBB186_1008:                           ;   in Loop: Header=BB186_948 Depth=2
	global_load_u8 v38, v[24:25], off offset:1024
	s_wait_xcnt 0x0
	s_or_b32 exec_lo, exec_lo, s10
	s_delay_alu instid0(SALU_CYCLE_1)
	s_mov_b32 s10, exec_lo
	v_cmpx_gt_u32_e64 s8, v71
	s_cbranch_execz .LBB186_957
.LBB186_1009:                           ;   in Loop: Header=BB186_948 Depth=2
	global_load_u8 v37, v[24:25], off offset:1280
	s_wait_xcnt 0x0
	s_or_b32 exec_lo, exec_lo, s10
	s_delay_alu instid0(SALU_CYCLE_1)
	s_mov_b32 s10, exec_lo
	v_cmpx_gt_u32_e64 s8, v72
	s_cbranch_execz .LBB186_958
.LBB186_1010:                           ;   in Loop: Header=BB186_948 Depth=2
	global_load_u8 v36, v[24:25], off offset:1536
	s_wait_xcnt 0x0
	s_or_b32 exec_lo, exec_lo, s10
	s_delay_alu instid0(SALU_CYCLE_1)
	s_mov_b32 s10, exec_lo
	v_cmpx_gt_u32_e64 s8, v73
	s_cbranch_execz .LBB186_959
.LBB186_1011:                           ;   in Loop: Header=BB186_948 Depth=2
	global_load_u8 v35, v[24:25], off offset:1792
	s_wait_xcnt 0x0
	s_or_b32 exec_lo, exec_lo, s10
	s_delay_alu instid0(SALU_CYCLE_1)
	s_mov_b32 s10, exec_lo
	v_cmpx_gt_u32_e64 s8, v74
	s_cbranch_execz .LBB186_960
.LBB186_1012:                           ;   in Loop: Header=BB186_948 Depth=2
	global_load_u8 v34, v[24:25], off offset:2048
	s_wait_xcnt 0x0
	s_or_b32 exec_lo, exec_lo, s10
	s_delay_alu instid0(SALU_CYCLE_1)
	s_mov_b32 s10, exec_lo
	v_cmpx_gt_u32_e64 s8, v75
	s_cbranch_execz .LBB186_961
.LBB186_1013:                           ;   in Loop: Header=BB186_948 Depth=2
	global_load_u8 v33, v[24:25], off offset:2304
	s_wait_xcnt 0x0
	s_or_b32 exec_lo, exec_lo, s10
	s_delay_alu instid0(SALU_CYCLE_1)
	s_mov_b32 s10, exec_lo
	v_cmpx_gt_u32_e64 s8, v76
	s_cbranch_execz .LBB186_962
.LBB186_1014:                           ;   in Loop: Header=BB186_948 Depth=2
	global_load_u8 v32, v[24:25], off offset:2560
	s_wait_xcnt 0x0
	s_or_b32 exec_lo, exec_lo, s10
	s_delay_alu instid0(SALU_CYCLE_1)
	s_mov_b32 s10, exec_lo
	v_cmpx_gt_u32_e64 s8, v77
	s_cbranch_execz .LBB186_963
.LBB186_1015:                           ;   in Loop: Header=BB186_948 Depth=2
	global_load_u8 v31, v[24:25], off offset:2816
	s_wait_xcnt 0x0
	s_or_b32 exec_lo, exec_lo, s10
	s_delay_alu instid0(SALU_CYCLE_1)
	s_mov_b32 s10, exec_lo
	v_cmpx_gt_u32_e64 s8, v78
	s_cbranch_execz .LBB186_964
.LBB186_1016:                           ;   in Loop: Header=BB186_948 Depth=2
	global_load_u8 v30, v[24:25], off offset:3072
	s_wait_xcnt 0x0
	s_or_b32 exec_lo, exec_lo, s10
	s_delay_alu instid0(SALU_CYCLE_1)
	s_mov_b32 s10, exec_lo
	v_cmpx_gt_u32_e64 s8, v79
	s_cbranch_execz .LBB186_965
.LBB186_1017:                           ;   in Loop: Header=BB186_948 Depth=2
	global_load_u8 v29, v[24:25], off offset:3328
	s_wait_xcnt 0x0
	s_or_b32 exec_lo, exec_lo, s10
	s_delay_alu instid0(SALU_CYCLE_1)
	s_mov_b32 s10, exec_lo
	v_cmpx_gt_u32_e64 s8, v80
	s_cbranch_execz .LBB186_966
.LBB186_1018:                           ;   in Loop: Header=BB186_948 Depth=2
	global_load_u8 v28, v[24:25], off offset:3584
	s_wait_xcnt 0x0
	s_or_b32 exec_lo, exec_lo, s10
	s_delay_alu instid0(SALU_CYCLE_1)
	s_mov_b32 s10, exec_lo
	v_cmpx_gt_u32_e64 s8, v81
	s_cbranch_execz .LBB186_967
.LBB186_1019:                           ;   in Loop: Header=BB186_948 Depth=2
	global_load_u8 v27, v[24:25], off offset:3840
	s_wait_xcnt 0x0
	s_or_b32 exec_lo, exec_lo, s10
	s_delay_alu instid0(SALU_CYCLE_1)
	s_mov_b32 s10, exec_lo
	v_cmpx_gt_u32_e64 s8, v82
	s_cbranch_execnz .LBB186_968
	s_branch .LBB186_969
.LBB186_1020:                           ;   in Loop: Header=BB186_12 Depth=1
	v_mov_b32_e32 v24, 0
	s_wait_dscnt 0x0
	s_barrier_signal -1
	s_barrier_wait -1
	s_and_saveexec_b32 s8, s0
	s_cbranch_execz .LBB186_1022
; %bb.1021:                             ;   in Loop: Header=BB186_12 Depth=1
	ds_load_2addr_b64 v[24:27], v85 offset1:1
	s_wait_dscnt 0x0
	v_add_nc_u32_e32 v24, v25, v24
	s_delay_alu instid0(VALU_DEP_1)
	v_add3_u32 v24, v24, v26, v27
.LBB186_1022:                           ;   in Loop: Header=BB186_12 Depth=1
	s_or_b32 exec_lo, exec_lo, s8
	v_and_b32_e32 v25, 15, v0
	s_delay_alu instid0(VALU_DEP_2) | instskip(SKIP_1) | instid1(VALU_DEP_3)
	v_mov_b32_dpp v26, v24 row_shr:1 row_mask:0xf bank_mask:0xf
	v_and_b32_e32 v27, 16, v0
	v_cmp_eq_u32_e64 s8, 0, v25
	v_cmp_lt_u32_e64 s9, 1, v25
	s_delay_alu instid0(VALU_DEP_3) | instskip(NEXT) | instid1(VALU_DEP_3)
	v_cmp_eq_u32_e64 s12, 0, v27
	v_cndmask_b32_e64 v26, v26, 0, s8
	s_delay_alu instid0(VALU_DEP_1) | instskip(NEXT) | instid1(VALU_DEP_1)
	v_add_nc_u32_e32 v24, v26, v24
	v_mov_b32_dpp v26, v24 row_shr:2 row_mask:0xf bank_mask:0xf
	s_delay_alu instid0(VALU_DEP_1) | instskip(SKIP_2) | instid1(VALU_DEP_3)
	v_cndmask_b32_e64 v26, 0, v26, s9
	v_cmp_lt_u32_e64 s11, 7, v25
	v_cmp_lt_u32_e64 s10, 3, v25
	v_add_nc_u32_e32 v24, v24, v26
	s_delay_alu instid0(VALU_DEP_1) | instskip(NEXT) | instid1(VALU_DEP_1)
	v_mov_b32_dpp v26, v24 row_shr:4 row_mask:0xf bank_mask:0xf
	v_cndmask_b32_e64 v26, 0, v26, s10
	s_delay_alu instid0(VALU_DEP_1) | instskip(NEXT) | instid1(VALU_DEP_1)
	v_add_nc_u32_e32 v24, v24, v26
	v_mov_b32_dpp v26, v24 row_shr:8 row_mask:0xf bank_mask:0xf
	s_delay_alu instid0(VALU_DEP_1) | instskip(SKIP_1) | instid1(VALU_DEP_2)
	v_cndmask_b32_e64 v25, 0, v26, s11
	v_bfe_i32 v26, v0, 4, 1
	v_add_nc_u32_e32 v24, v24, v25
	ds_swizzle_b32 v25, v24 offset:swizzle(BROADCAST,32,15)
	s_wait_dscnt 0x0
	v_and_b32_e32 v25, v26, v25
	s_delay_alu instid0(VALU_DEP_1)
	v_add_nc_u32_e32 v24, v24, v25
	s_and_saveexec_b32 s13, s1
; %bb.1023:                             ;   in Loop: Header=BB186_12 Depth=1
	ds_store_b32 v86, v24
; %bb.1024:                             ;   in Loop: Header=BB186_12 Depth=1
	s_or_b32 exec_lo, exec_lo, s13
	s_wait_dscnt 0x0
	s_barrier_signal -1
	s_barrier_wait -1
	s_and_saveexec_b32 s13, s4
	s_cbranch_execz .LBB186_1026
; %bb.1025:                             ;   in Loop: Header=BB186_12 Depth=1
	ds_load_b32 v25, v87
	s_wait_dscnt 0x0
	v_mov_b32_dpp v27, v25 row_shr:1 row_mask:0xf bank_mask:0xf
	v_and_b32_e32 v26, 3, v0
	s_delay_alu instid0(VALU_DEP_1) | instskip(NEXT) | instid1(VALU_DEP_3)
	v_cmp_ne_u32_e32 vcc_lo, 0, v26
	v_cndmask_b32_e32 v27, 0, v27, vcc_lo
	v_cmp_lt_u32_e32 vcc_lo, 1, v26
	s_delay_alu instid0(VALU_DEP_2) | instskip(NEXT) | instid1(VALU_DEP_1)
	v_add_nc_u32_e32 v25, v27, v25
	v_mov_b32_dpp v27, v25 row_shr:2 row_mask:0xf bank_mask:0xf
	s_delay_alu instid0(VALU_DEP_1) | instskip(NEXT) | instid1(VALU_DEP_1)
	v_cndmask_b32_e32 v26, 0, v27, vcc_lo
	v_add_nc_u32_e32 v25, v25, v26
	ds_store_b32 v87, v25
.LBB186_1026:                           ;   in Loop: Header=BB186_12 Depth=1
	s_or_b32 exec_lo, exec_lo, s13
	v_mov_b32_e32 v25, 0
	s_wait_dscnt 0x0
	s_barrier_signal -1
	s_barrier_wait -1
	s_and_saveexec_b32 s13, s5
; %bb.1027:                             ;   in Loop: Header=BB186_12 Depth=1
	ds_load_b32 v25, v88
; %bb.1028:                             ;   in Loop: Header=BB186_12 Depth=1
	s_or_b32 exec_lo, exec_lo, s13
	v_sub_co_u32 v26, s13, v0, 1
	s_wait_dscnt 0x0
	s_barrier_signal -1
	s_barrier_wait -1
	s_delay_alu instid0(VALU_DEP_1) | instskip(SKIP_1) | instid1(VALU_DEP_1)
	v_cmp_gt_i32_e32 vcc_lo, 0, v26
	v_cndmask_b32_e32 v26, v26, v0, vcc_lo
	v_dual_add_nc_u32 v24, v25, v24 :: v_dual_lshlrev_b32 v96, 2, v26
	ds_bpermute_b32 v24, v96, v24
	s_and_saveexec_b32 s14, s0
	s_cbranch_execz .LBB186_1030
; %bb.1029:                             ;   in Loop: Header=BB186_12 Depth=1
	s_wait_dscnt 0x0
	v_cndmask_b32_e64 v24, v24, v25, s13
	s_delay_alu instid0(VALU_DEP_1)
	v_add_nc_u32_e32 v24, s55, v24
	ds_store_b32 v66, v24
.LBB186_1030:                           ;   in Loop: Header=BB186_12 Depth=1
	s_or_b32 exec_lo, exec_lo, s14
	s_load_b64 s[14:15], s[52:53], 0x0
	s_wait_dscnt 0x0
	v_dual_lshlrev_b32 v24, 3, v0 :: v_dual_bitop2_b32 v26, 7, v0 bitop3:0x40
	v_dual_mov_b32 v25, v1 :: v_dual_bitop2_b32 v97, v0, v6 bitop3:0x54
	s_mov_b32 s58, s57
                                        ; implicit-def: $vgpr30_vgpr31
                                        ; implicit-def: $vgpr32_vgpr33
                                        ; implicit-def: $vgpr34_vgpr35
                                        ; implicit-def: $vgpr36_vgpr37
                                        ; implicit-def: $vgpr38_vgpr39
                                        ; implicit-def: $vgpr40_vgpr41
                                        ; implicit-def: $vgpr42_vgpr43
                                        ; implicit-def: $vgpr44_vgpr45
                                        ; implicit-def: $vgpr46_vgpr47
                                        ; implicit-def: $vgpr48_vgpr49
                                        ; implicit-def: $vgpr50_vgpr51
                                        ; implicit-def: $vgpr52_vgpr53
                                        ; implicit-def: $vgpr54_vgpr55
                                        ; implicit-def: $vgpr56_vgpr57
                                        ; implicit-def: $vgpr58_vgpr59
                                        ; implicit-def: $vgpr60_vgpr61
                                        ; implicit-def: $vgpr115
                                        ; implicit-def: $vgpr116
                                        ; implicit-def: $vgpr117
                                        ; implicit-def: $vgpr118
                                        ; implicit-def: $vgpr119
                                        ; implicit-def: $vgpr120
                                        ; implicit-def: $vgpr121
                                        ; implicit-def: $vgpr122
                                        ; implicit-def: $vgpr123
                                        ; implicit-def: $vgpr124
                                        ; implicit-def: $vgpr125
                                        ; implicit-def: $vgpr126
                                        ; implicit-def: $vgpr127
                                        ; implicit-def: $vgpr128
                                        ; implicit-def: $vgpr129
                                        ; implicit-def: $vgpr130
                                        ; implicit-def: $vgpr131
                                        ; implicit-def: $vgpr132
                                        ; implicit-def: $vgpr133
	s_delay_alu instid0(VALU_DEP_1) | instskip(NEXT) | instid1(VALU_DEP_2)
	v_add_nc_u64_e32 v[24:25], v[20:21], v[24:25]
	v_dual_add_nc_u32 v98, 32, v97 :: v_dual_add_nc_u32 v99, 64, v97
	v_add_nc_u32_e32 v100, 0x60, v97
	v_add_nc_u32_e32 v101, 0x80, v97
	;; [unrolled: 1-line block ×9, first 2 shown]
	s_wait_kmcnt 0x0
	s_cmp_lt_u32 s51, s14
	v_add_nc_u32_e32 v109, 0x180, v97
	s_cselect_b32 s34, 12, 18
	s_cmp_lt_u32 s42, s15
	s_mov_b32 s15, s35
	s_cselect_b32 s14, 14, 20
	v_add_nc_u32_e32 v110, 0x1a0, v97
	s_add_nc_u64 s[14:15], s[52:53], s[14:15]
	v_add_nc_u32_e32 v111, 0x1c0, v97
	s_load_u16 s16, s[14:15], 0x0
	s_wait_xcnt 0x0
	s_add_nc_u64 s[14:15], s[52:53], s[34:35]
	v_add_nc_u32_e32 v112, 0x1e0, v97
	s_load_u16 s17, s[14:15], 0x0
	s_wait_xcnt 0x0
	v_cmp_eq_u32_e64 s14, 0, v26
	v_cmp_lt_u32_e64 s15, 1, v26
	v_add_nc_u32_e32 v113, 0x200, v97
	s_mov_b32 s34, s55
	s_wait_kmcnt 0x0
	v_mad_u32_u24 v27, v89, s16, v91
	v_cmp_lt_u32_e64 s16, 3, v26
	s_delay_alu instid0(VALU_DEP_2) | instskip(NEXT) | instid1(VALU_DEP_1)
	v_mad_u32 v26, v27, s17, v2
	v_lshrrev_b32_e32 v28, 3, v26
	v_add_nc_u64_e32 v[26:27], v[22:23], v[0:1]
	s_delay_alu instid0(VALU_DEP_2)
	v_and_b32_e32 v114, 0x1ffffffc, v28
                                        ; implicit-def: $vgpr28_vgpr29
	s_branch .LBB186_1032
.LBB186_1031:                           ;   in Loop: Header=BB186_1032 Depth=2
	s_or_b32 exec_lo, exec_lo, s17
	s_addk_co_i32 s58, 0xef00
	s_cmp_lt_u32 s59, s54
	s_mov_b32 s34, s59
	s_cbranch_scc0 .LBB186_10
.LBB186_1032:                           ;   Parent Loop BB186_12 Depth=1
                                        ; =>  This Inner Loop Header: Depth=2
	s_add_co_i32 s59, s34, 0x1100
	s_delay_alu instid0(SALU_CYCLE_1)
	s_cmp_gt_u32 s59, s54
	s_cbranch_scc1 .LBB186_1034
; %bb.1033:                             ;   in Loop: Header=BB186_1032 Depth=2
	s_delay_alu instid0(VALU_DEP_2)
	v_add_nc_u64_e32 v[62:63], s[34:35], v[26:27]
	s_mov_b32 s17, -1
	s_clause 0xf
	global_load_u8 v135, v[62:63], off
	global_load_u8 v136, v[62:63], off offset:32
	global_load_u8 v137, v[62:63], off offset:64
	;; [unrolled: 1-line block ×15, first 2 shown]
	s_movk_i32 s18, 0x1100
	s_cbranch_execz .LBB186_1035
	s_branch .LBB186_1068
.LBB186_1034:                           ;   in Loop: Header=BB186_1032 Depth=2
	s_mov_b32 s17, 0
                                        ; implicit-def: $vgpr135
                                        ; implicit-def: $vgpr136
                                        ; implicit-def: $vgpr137
                                        ; implicit-def: $vgpr138
                                        ; implicit-def: $vgpr139
                                        ; implicit-def: $vgpr140
                                        ; implicit-def: $vgpr141
                                        ; implicit-def: $vgpr142
                                        ; implicit-def: $vgpr143
                                        ; implicit-def: $vgpr144
                                        ; implicit-def: $vgpr145
                                        ; implicit-def: $vgpr146
                                        ; implicit-def: $vgpr147
                                        ; implicit-def: $vgpr148
                                        ; implicit-def: $vgpr149
                                        ; implicit-def: $vgpr150
	s_movk_i32 s18, 0x1100
.LBB186_1035:                           ;   in Loop: Header=BB186_1032 Depth=2
	s_wait_xcnt 0x0
	v_add_nc_u64_e32 v[62:63], s[34:35], v[26:27]
	s_wait_loadcnt 0xe
	v_dual_mov_b32 v136, 0xff :: v_dual_mov_b32 v135, 0xff
	s_mov_b32 s17, exec_lo
	v_cmpx_gt_u32_e64 s58, v97
	s_cbranch_execz .LBB186_1037
; %bb.1036:                             ;   in Loop: Header=BB186_1032 Depth=2
	global_load_u8 v135, v[62:63], off
.LBB186_1037:                           ;   in Loop: Header=BB186_1032 Depth=2
	s_wait_xcnt 0x0
	s_or_b32 exec_lo, exec_lo, s17
	s_delay_alu instid0(SALU_CYCLE_1)
	s_mov_b32 s17, exec_lo
	v_cmpx_gt_u32_e64 s58, v98
	s_cbranch_execz .LBB186_1039
; %bb.1038:                             ;   in Loop: Header=BB186_1032 Depth=2
	global_load_u8 v136, v[62:63], off offset:32
.LBB186_1039:                           ;   in Loop: Header=BB186_1032 Depth=2
	s_wait_xcnt 0x0
	s_or_b32 exec_lo, exec_lo, s17
	s_wait_loadcnt 0xc
	v_dual_mov_b32 v138, 0xff :: v_dual_mov_b32 v137, 0xff
	s_mov_b32 s17, exec_lo
	v_cmpx_gt_u32_e64 s58, v99
	s_cbranch_execz .LBB186_1041
; %bb.1040:                             ;   in Loop: Header=BB186_1032 Depth=2
	global_load_u8 v137, v[62:63], off offset:64
.LBB186_1041:                           ;   in Loop: Header=BB186_1032 Depth=2
	s_wait_xcnt 0x0
	s_or_b32 exec_lo, exec_lo, s17
	s_delay_alu instid0(SALU_CYCLE_1)
	s_mov_b32 s17, exec_lo
	v_cmpx_gt_u32_e64 s58, v100
	s_cbranch_execz .LBB186_1043
; %bb.1042:                             ;   in Loop: Header=BB186_1032 Depth=2
	global_load_u8 v138, v[62:63], off offset:96
.LBB186_1043:                           ;   in Loop: Header=BB186_1032 Depth=2
	s_wait_xcnt 0x0
	s_or_b32 exec_lo, exec_lo, s17
	s_wait_loadcnt 0xa
	v_dual_mov_b32 v140, 0xff :: v_dual_mov_b32 v139, 0xff
	s_mov_b32 s17, exec_lo
	v_cmpx_gt_u32_e64 s58, v101
	s_cbranch_execz .LBB186_1045
; %bb.1044:                             ;   in Loop: Header=BB186_1032 Depth=2
	global_load_u8 v139, v[62:63], off offset:128
.LBB186_1045:                           ;   in Loop: Header=BB186_1032 Depth=2
	;; [unrolled: 19-line block ×7, first 2 shown]
	s_wait_xcnt 0x0
	s_or_b32 exec_lo, exec_lo, s17
	s_delay_alu instid0(SALU_CYCLE_1)
	s_mov_b32 s17, exec_lo
	v_cmpx_gt_u32_e64 s58, v112
	s_cbranch_execz .LBB186_1067
; %bb.1066:                             ;   in Loop: Header=BB186_1032 Depth=2
	global_load_u8 v150, v[62:63], off offset:480
.LBB186_1067:                           ;   in Loop: Header=BB186_1032 Depth=2
	s_wait_xcnt 0x0
	s_or_b32 exec_lo, exec_lo, s17
	v_cmp_gt_u32_e64 s17, s58, v113
	s_sub_co_i32 s18, s54, s34
.LBB186_1068:                           ;   in Loop: Header=BB186_1032 Depth=2
	v_dual_mov_b32 v151, 0xff :: v_dual_mov_b32 v134, s58
	s_wait_xcnt 0x0
	s_and_saveexec_b32 s19, s17
	s_cbranch_execz .LBB186_1070
; %bb.1069:                             ;   in Loop: Header=BB186_1032 Depth=2
	v_add_nc_u64_e32 v[62:63], s[34:35], v[26:27]
	v_mov_b32_e32 v134, s18
	global_load_u8 v151, v[62:63], off offset:512
.LBB186_1070:                           ;   in Loop: Header=BB186_1032 Depth=2
	s_wait_xcnt 0x0
	s_or_b32 exec_lo, exec_lo, s19
	s_wait_loadcnt 0xf
	v_and_b32_e32 v62, 0xff, v135
	ds_store_2addr_b32 v90, v1, v1 offset0:136 offset1:137
	ds_store_2addr_b32 v90, v1, v1 offset0:138 offset1:139
	ds_store_b32 v90, v1 offset:560
	s_wait_loadcnt_dscnt 0x0
	s_barrier_signal -1
	s_barrier_wait -1
	v_lshrrev_b32_e32 v62, s49, v62
	; wave barrier
	s_delay_alu instid0(VALU_DEP_1) | instskip(NEXT) | instid1(VALU_DEP_1)
	v_and_b32_e32 v64, s48, v62
	v_lshlrev_b32_e32 v65, 30, v64
	v_bitop3_b32 v63, v62, 1, s48 bitop3:0x80
	s_delay_alu instid0(VALU_DEP_1) | instskip(NEXT) | instid1(VALU_DEP_1)
	v_add_co_u32 v62, s17, v63, -1
	v_cndmask_b32_e64 v63, 0, 1, s17
	s_delay_alu instid0(VALU_DEP_4) | instskip(NEXT) | instid1(VALU_DEP_2)
	v_cmp_gt_i32_e64 s17, 0, v65
	v_cmp_ne_u32_e32 vcc_lo, 0, v63
	v_not_b32_e32 v63, v65
	v_bitop3_b32 v62, vcc_lo, exec_lo, v62 bitop3:0x48
	s_delay_alu instid0(VALU_DEP_2) | instskip(SKIP_2) | instid1(VALU_DEP_3)
	v_dual_ashrrev_i32 v63, 31, v63 :: v_dual_lshlrev_b32 v152, 29, v64
	v_dual_lshlrev_b32 v153, 28, v64 :: v_dual_lshlrev_b32 v154, 27, v64
	v_lshlrev_b32_e32 v155, 26, v64
	v_not_b32_e32 v65, v152
	v_lshlrev_b32_e32 v156, 25, v64
	v_cmp_gt_i32_e64 s18, 0, v152
	v_cmp_gt_i32_e64 s19, 0, v153
	v_not_b32_e32 v152, v153
	v_not_b32_e32 v153, v154
	v_ashrrev_i32_e32 v65, 31, v65
	v_cmp_gt_i32_e64 s20, 0, v154
	v_not_b32_e32 v154, v155
	s_delay_alu instid0(VALU_DEP_4) | instskip(SKIP_3) | instid1(VALU_DEP_4)
	v_dual_ashrrev_i32 v152, 31, v152 :: v_dual_ashrrev_i32 v153, 31, v153
	v_xor_b32_e32 v63, s17, v63
	v_xor_b32_e32 v65, s18, v65
	v_not_b32_e32 v157, v156
	v_xor_b32_e32 v152, s19, v152
	v_xor_b32_e32 v153, s20, v153
	v_cmp_gt_i32_e32 vcc_lo, 0, v155
	v_ashrrev_i32_e32 v154, 31, v154
	v_cmp_gt_i32_e64 s17, 0, v156
	v_ashrrev_i32_e32 v155, 31, v157
	v_bitop3_b32 v62, v62, v65, v63 bitop3:0x80
	s_delay_alu instid0(VALU_DEP_4) | instskip(NEXT) | instid1(VALU_DEP_3)
	v_xor_b32_e32 v63, vcc_lo, v154
	v_xor_b32_e32 v65, s17, v155
	s_delay_alu instid0(VALU_DEP_3) | instskip(NEXT) | instid1(VALU_DEP_1)
	v_bitop3_b32 v62, v62, v153, v152 bitop3:0x80
	v_bitop3_b32 v62, v62, v65, v63 bitop3:0x80
	v_mul_u32_u24_e32 v63, 36, v64
	s_delay_alu instid0(VALU_DEP_2) | instskip(SKIP_1) | instid1(VALU_DEP_3)
	v_mbcnt_lo_u32_b32 v152, v62, 0
	v_cmp_ne_u32_e64 s17, 0, v62
	v_add_nc_u32_e32 v153, v114, v63
	s_delay_alu instid0(VALU_DEP_3) | instskip(SKIP_1) | instid1(SALU_CYCLE_1)
	v_cmp_eq_u32_e32 vcc_lo, 0, v152
	s_and_b32 s18, s17, vcc_lo
	s_and_saveexec_b32 s17, s18
; %bb.1071:                             ;   in Loop: Header=BB186_1032 Depth=2
	v_bcnt_u32_b32 v62, v62, 0
	ds_store_b32 v153, v62 offset:544
; %bb.1072:                             ;   in Loop: Header=BB186_1032 Depth=2
	s_or_b32 exec_lo, exec_lo, s17
	v_and_b32_e32 v62, 0xff, v136
	; wave barrier
	s_delay_alu instid0(VALU_DEP_1) | instskip(NEXT) | instid1(VALU_DEP_1)
	v_lshrrev_b32_e32 v62, s49, v62
	v_and_b32_e32 v64, s48, v62
	s_delay_alu instid0(VALU_DEP_1) | instskip(SKIP_1) | instid1(VALU_DEP_1)
	v_lshlrev_b32_e32 v65, 30, v64
	v_bitop3_b32 v63, v62, 1, s48 bitop3:0x80
	v_add_co_u32 v62, s17, v63, -1
	s_delay_alu instid0(VALU_DEP_1) | instskip(NEXT) | instid1(VALU_DEP_4)
	v_cndmask_b32_e64 v63, 0, 1, s17
	v_cmp_gt_i32_e64 s17, 0, v65
	s_delay_alu instid0(VALU_DEP_2) | instskip(SKIP_2) | instid1(VALU_DEP_2)
	v_cmp_ne_u32_e32 vcc_lo, 0, v63
	v_not_b32_e32 v63, v65
	v_bitop3_b32 v62, vcc_lo, exec_lo, v62 bitop3:0x48
	v_dual_ashrrev_i32 v63, 31, v63 :: v_dual_lshlrev_b32 v154, 29, v64
	v_dual_lshlrev_b32 v155, 28, v64 :: v_dual_lshlrev_b32 v156, 27, v64
	v_lshlrev_b32_e32 v157, 26, v64
	s_delay_alu instid0(VALU_DEP_3)
	v_not_b32_e32 v65, v154
	v_lshlrev_b32_e32 v158, 25, v64
	v_cmp_gt_i32_e64 s18, 0, v154
	v_cmp_gt_i32_e64 s19, 0, v155
	v_not_b32_e32 v154, v155
	v_not_b32_e32 v155, v156
	v_ashrrev_i32_e32 v65, 31, v65
	v_cmp_gt_i32_e64 s20, 0, v156
	v_cmp_gt_i32_e64 s21, 0, v157
	v_not_b32_e32 v156, v157
	v_dual_ashrrev_i32 v154, 31, v154 :: v_dual_ashrrev_i32 v155, 31, v155
	v_xor_b32_e32 v63, s17, v63
	v_xor_b32_e32 v65, s18, v65
	v_not_b32_e32 v157, v158
	s_delay_alu instid0(VALU_DEP_4) | instskip(SKIP_1) | instid1(VALU_DEP_4)
	v_dual_ashrrev_i32 v156, 31, v156 :: v_dual_bitop2_b32 v154, s19, v154 bitop3:0x14
	v_xor_b32_e32 v155, s20, v155
	v_bitop3_b32 v62, v62, v65, v63 bitop3:0x80
	v_cmp_gt_i32_e32 vcc_lo, 0, v158
	v_ashrrev_i32_e32 v63, 31, v157
	v_mad_u32_u24 v65, v64, 36, v114
	v_xor_b32_e32 v156, s21, v156
	v_bitop3_b32 v62, v62, v155, v154 bitop3:0x80
	s_delay_alu instid0(VALU_DEP_4) | instskip(SKIP_3) | instid1(VALU_DEP_2)
	v_xor_b32_e32 v63, vcc_lo, v63
	ds_load_b32 v154, v65 offset:544
	; wave barrier
	v_bitop3_b32 v62, v62, v63, v156 bitop3:0x80
	v_mul_u32_u24_e32 v63, 36, v64
	v_mbcnt_lo_u32_b32 v155, v62, 0
	v_cmp_ne_u32_e64 s17, 0, v62
	s_delay_alu instid0(VALU_DEP_3) | instskip(NEXT) | instid1(VALU_DEP_3)
	v_add_nc_u32_e32 v156, v114, v63
	v_cmp_eq_u32_e32 vcc_lo, 0, v155
	s_and_b32 s18, s17, vcc_lo
	s_delay_alu instid0(SALU_CYCLE_1)
	s_and_saveexec_b32 s17, s18
	s_cbranch_execz .LBB186_1074
; %bb.1073:                             ;   in Loop: Header=BB186_1032 Depth=2
	s_wait_dscnt 0x0
	v_bcnt_u32_b32 v62, v62, v154
	ds_store_b32 v156, v62 offset:544
.LBB186_1074:                           ;   in Loop: Header=BB186_1032 Depth=2
	s_or_b32 exec_lo, exec_lo, s17
	v_and_b32_e32 v62, 0xff, v137
	; wave barrier
	s_delay_alu instid0(VALU_DEP_1) | instskip(NEXT) | instid1(VALU_DEP_1)
	v_lshrrev_b32_e32 v62, s49, v62
	v_and_b32_e32 v64, s48, v62
	s_delay_alu instid0(VALU_DEP_1) | instskip(SKIP_1) | instid1(VALU_DEP_1)
	v_lshlrev_b32_e32 v65, 30, v64
	v_bitop3_b32 v63, v62, 1, s48 bitop3:0x80
	v_add_co_u32 v62, s17, v63, -1
	s_delay_alu instid0(VALU_DEP_1) | instskip(NEXT) | instid1(VALU_DEP_4)
	v_cndmask_b32_e64 v63, 0, 1, s17
	v_cmp_gt_i32_e64 s17, 0, v65
	s_delay_alu instid0(VALU_DEP_2) | instskip(SKIP_2) | instid1(VALU_DEP_2)
	v_cmp_ne_u32_e32 vcc_lo, 0, v63
	v_not_b32_e32 v63, v65
	v_bitop3_b32 v62, vcc_lo, exec_lo, v62 bitop3:0x48
	v_dual_ashrrev_i32 v63, 31, v63 :: v_dual_lshlrev_b32 v157, 29, v64
	v_dual_lshlrev_b32 v158, 28, v64 :: v_dual_lshlrev_b32 v159, 27, v64
	s_delay_alu instid0(VALU_DEP_2) | instskip(NEXT) | instid1(VALU_DEP_3)
	v_dual_lshlrev_b32 v160, 26, v64 :: v_dual_bitop2_b32 v63, s17, v63 bitop3:0x14
	v_not_b32_e32 v65, v157
	v_lshlrev_b32_e32 v161, 25, v64
	v_cmp_gt_i32_e64 s18, 0, v157
	v_cmp_gt_i32_e64 s19, 0, v158
	v_not_b32_e32 v157, v158
	v_not_b32_e32 v158, v159
	v_ashrrev_i32_e32 v65, 31, v65
	v_cmp_gt_i32_e64 s20, 0, v159
	v_cmp_gt_i32_e64 s21, 0, v160
	v_not_b32_e32 v159, v160
	v_dual_ashrrev_i32 v157, 31, v157 :: v_dual_ashrrev_i32 v158, 31, v158
	v_xor_b32_e32 v65, s18, v65
	v_not_b32_e32 v160, v161
	s_delay_alu instid0(VALU_DEP_3) | instskip(NEXT) | instid1(VALU_DEP_4)
	v_dual_ashrrev_i32 v159, 31, v159 :: v_dual_bitop2_b32 v157, s19, v157 bitop3:0x14
	v_xor_b32_e32 v158, s20, v158
	s_delay_alu instid0(VALU_DEP_4)
	v_bitop3_b32 v62, v62, v65, v63 bitop3:0x80
	v_cmp_gt_i32_e32 vcc_lo, 0, v161
	v_ashrrev_i32_e32 v63, 31, v160
	v_mad_u32_u24 v65, v64, 36, v114
	v_xor_b32_e32 v159, s21, v159
	v_bitop3_b32 v62, v62, v158, v157 bitop3:0x80
	s_delay_alu instid0(VALU_DEP_4) | instskip(SKIP_3) | instid1(VALU_DEP_2)
	v_xor_b32_e32 v63, vcc_lo, v63
	ds_load_b32 v157, v65 offset:544
	; wave barrier
	v_bitop3_b32 v62, v62, v63, v159 bitop3:0x80
	v_mul_u32_u24_e32 v63, 36, v64
	v_mbcnt_lo_u32_b32 v158, v62, 0
	v_cmp_ne_u32_e64 s17, 0, v62
	s_delay_alu instid0(VALU_DEP_3) | instskip(NEXT) | instid1(VALU_DEP_3)
	v_add_nc_u32_e32 v159, v114, v63
	v_cmp_eq_u32_e32 vcc_lo, 0, v158
	s_and_b32 s18, s17, vcc_lo
	s_delay_alu instid0(SALU_CYCLE_1)
	s_and_saveexec_b32 s17, s18
	s_cbranch_execz .LBB186_1076
; %bb.1075:                             ;   in Loop: Header=BB186_1032 Depth=2
	s_wait_dscnt 0x0
	v_bcnt_u32_b32 v62, v62, v157
	ds_store_b32 v159, v62 offset:544
.LBB186_1076:                           ;   in Loop: Header=BB186_1032 Depth=2
	s_or_b32 exec_lo, exec_lo, s17
	v_and_b32_e32 v62, 0xff, v138
	; wave barrier
	s_delay_alu instid0(VALU_DEP_1) | instskip(NEXT) | instid1(VALU_DEP_1)
	v_lshrrev_b32_e32 v62, s49, v62
	v_and_b32_e32 v64, s48, v62
	s_delay_alu instid0(VALU_DEP_1) | instskip(SKIP_1) | instid1(VALU_DEP_1)
	v_lshlrev_b32_e32 v65, 30, v64
	v_bitop3_b32 v63, v62, 1, s48 bitop3:0x80
	v_add_co_u32 v62, s17, v63, -1
	s_delay_alu instid0(VALU_DEP_1) | instskip(NEXT) | instid1(VALU_DEP_4)
	v_cndmask_b32_e64 v63, 0, 1, s17
	v_cmp_gt_i32_e64 s17, 0, v65
	s_delay_alu instid0(VALU_DEP_2) | instskip(SKIP_2) | instid1(VALU_DEP_2)
	v_cmp_ne_u32_e32 vcc_lo, 0, v63
	v_not_b32_e32 v63, v65
	v_bitop3_b32 v62, vcc_lo, exec_lo, v62 bitop3:0x48
	v_dual_ashrrev_i32 v63, 31, v63 :: v_dual_lshlrev_b32 v160, 29, v64
	v_dual_lshlrev_b32 v161, 28, v64 :: v_dual_lshlrev_b32 v162, 27, v64
	v_lshlrev_b32_e32 v163, 26, v64
	s_delay_alu instid0(VALU_DEP_3)
	v_not_b32_e32 v65, v160
	v_lshlrev_b32_e32 v164, 25, v64
	v_cmp_gt_i32_e64 s18, 0, v160
	v_cmp_gt_i32_e64 s19, 0, v161
	v_not_b32_e32 v160, v161
	v_not_b32_e32 v161, v162
	v_ashrrev_i32_e32 v65, 31, v65
	v_cmp_gt_i32_e64 s20, 0, v162
	v_cmp_gt_i32_e64 s21, 0, v163
	v_not_b32_e32 v162, v163
	v_dual_ashrrev_i32 v160, 31, v160 :: v_dual_ashrrev_i32 v161, 31, v161
	v_xor_b32_e32 v63, s17, v63
	v_not_b32_e32 v163, v164
	s_delay_alu instid0(VALU_DEP_4) | instskip(NEXT) | instid1(VALU_DEP_4)
	v_dual_ashrrev_i32 v162, 31, v162 :: v_dual_bitop2_b32 v65, s18, v65 bitop3:0x14
	v_xor_b32_e32 v160, s19, v160
	v_xor_b32_e32 v161, s20, v161
	v_cmp_gt_i32_e32 vcc_lo, 0, v164
	s_delay_alu instid0(VALU_DEP_4) | instskip(SKIP_3) | instid1(VALU_DEP_4)
	v_bitop3_b32 v62, v62, v65, v63 bitop3:0x80
	v_ashrrev_i32_e32 v63, 31, v163
	v_mad_u32_u24 v65, v64, 36, v114
	v_xor_b32_e32 v162, s21, v162
	v_bitop3_b32 v62, v62, v161, v160 bitop3:0x80
	s_delay_alu instid0(VALU_DEP_4) | instskip(SKIP_3) | instid1(VALU_DEP_2)
	v_xor_b32_e32 v63, vcc_lo, v63
	ds_load_b32 v160, v65 offset:544
	; wave barrier
	v_bitop3_b32 v62, v62, v63, v162 bitop3:0x80
	v_mul_u32_u24_e32 v63, 36, v64
	v_mbcnt_lo_u32_b32 v161, v62, 0
	v_cmp_ne_u32_e64 s17, 0, v62
	s_delay_alu instid0(VALU_DEP_3) | instskip(NEXT) | instid1(VALU_DEP_3)
	v_add_nc_u32_e32 v162, v114, v63
	v_cmp_eq_u32_e32 vcc_lo, 0, v161
	s_and_b32 s18, s17, vcc_lo
	s_delay_alu instid0(SALU_CYCLE_1)
	s_and_saveexec_b32 s17, s18
	s_cbranch_execz .LBB186_1078
; %bb.1077:                             ;   in Loop: Header=BB186_1032 Depth=2
	s_wait_dscnt 0x0
	v_bcnt_u32_b32 v62, v62, v160
	ds_store_b32 v162, v62 offset:544
.LBB186_1078:                           ;   in Loop: Header=BB186_1032 Depth=2
	s_or_b32 exec_lo, exec_lo, s17
	v_and_b32_e32 v62, 0xff, v139
	; wave barrier
	s_delay_alu instid0(VALU_DEP_1) | instskip(NEXT) | instid1(VALU_DEP_1)
	v_lshrrev_b32_e32 v62, s49, v62
	v_and_b32_e32 v64, s48, v62
	s_delay_alu instid0(VALU_DEP_1) | instskip(SKIP_1) | instid1(VALU_DEP_1)
	v_lshlrev_b32_e32 v65, 30, v64
	v_bitop3_b32 v63, v62, 1, s48 bitop3:0x80
	v_add_co_u32 v62, s17, v63, -1
	s_delay_alu instid0(VALU_DEP_1) | instskip(NEXT) | instid1(VALU_DEP_4)
	v_cndmask_b32_e64 v63, 0, 1, s17
	v_cmp_gt_i32_e64 s17, 0, v65
	s_delay_alu instid0(VALU_DEP_2) | instskip(SKIP_2) | instid1(VALU_DEP_2)
	v_cmp_ne_u32_e32 vcc_lo, 0, v63
	v_not_b32_e32 v63, v65
	v_bitop3_b32 v62, vcc_lo, exec_lo, v62 bitop3:0x48
	v_dual_ashrrev_i32 v63, 31, v63 :: v_dual_lshlrev_b32 v163, 29, v64
	v_dual_lshlrev_b32 v164, 28, v64 :: v_dual_lshlrev_b32 v165, 27, v64
	v_lshlrev_b32_e32 v166, 26, v64
	s_delay_alu instid0(VALU_DEP_3)
	v_not_b32_e32 v65, v163
	v_lshlrev_b32_e32 v167, 25, v64
	v_cmp_gt_i32_e64 s18, 0, v163
	v_cmp_gt_i32_e64 s19, 0, v164
	v_not_b32_e32 v163, v164
	v_not_b32_e32 v164, v165
	v_ashrrev_i32_e32 v65, 31, v65
	v_cmp_gt_i32_e64 s20, 0, v165
	v_cmp_gt_i32_e64 s21, 0, v166
	v_not_b32_e32 v165, v166
	v_dual_ashrrev_i32 v163, 31, v163 :: v_dual_ashrrev_i32 v164, 31, v164
	v_xor_b32_e32 v63, s17, v63
	v_not_b32_e32 v166, v167
	v_xor_b32_e32 v65, s18, v65
	s_delay_alu instid0(VALU_DEP_4) | instskip(SKIP_2) | instid1(VALU_DEP_4)
	v_dual_ashrrev_i32 v165, 31, v165 :: v_dual_bitop2_b32 v163, s19, v163 bitop3:0x14
	v_xor_b32_e32 v164, s20, v164
	v_cmp_gt_i32_e32 vcc_lo, 0, v167
	v_bitop3_b32 v62, v62, v65, v63 bitop3:0x80
	v_ashrrev_i32_e32 v63, 31, v166
	v_mad_u32_u24 v65, v64, 36, v114
	v_xor_b32_e32 v165, s21, v165
	s_delay_alu instid0(VALU_DEP_4) | instskip(NEXT) | instid1(VALU_DEP_4)
	v_bitop3_b32 v62, v62, v164, v163 bitop3:0x80
	v_xor_b32_e32 v63, vcc_lo, v63
	ds_load_b32 v163, v65 offset:544
	; wave barrier
	v_bitop3_b32 v62, v62, v63, v165 bitop3:0x80
	v_mul_u32_u24_e32 v63, 36, v64
	s_delay_alu instid0(VALU_DEP_2) | instskip(SKIP_1) | instid1(VALU_DEP_3)
	v_mbcnt_lo_u32_b32 v164, v62, 0
	v_cmp_ne_u32_e64 s17, 0, v62
	v_add_nc_u32_e32 v165, v114, v63
	s_delay_alu instid0(VALU_DEP_3) | instskip(SKIP_1) | instid1(SALU_CYCLE_1)
	v_cmp_eq_u32_e32 vcc_lo, 0, v164
	s_and_b32 s18, s17, vcc_lo
	s_and_saveexec_b32 s17, s18
	s_cbranch_execz .LBB186_1080
; %bb.1079:                             ;   in Loop: Header=BB186_1032 Depth=2
	s_wait_dscnt 0x0
	v_bcnt_u32_b32 v62, v62, v163
	ds_store_b32 v165, v62 offset:544
.LBB186_1080:                           ;   in Loop: Header=BB186_1032 Depth=2
	s_or_b32 exec_lo, exec_lo, s17
	v_and_b32_e32 v62, 0xff, v140
	; wave barrier
	s_delay_alu instid0(VALU_DEP_1) | instskip(NEXT) | instid1(VALU_DEP_1)
	v_lshrrev_b32_e32 v62, s49, v62
	v_and_b32_e32 v64, s48, v62
	s_delay_alu instid0(VALU_DEP_1) | instskip(SKIP_1) | instid1(VALU_DEP_1)
	v_lshlrev_b32_e32 v65, 30, v64
	v_bitop3_b32 v63, v62, 1, s48 bitop3:0x80
	v_add_co_u32 v62, s17, v63, -1
	s_delay_alu instid0(VALU_DEP_1) | instskip(NEXT) | instid1(VALU_DEP_4)
	v_cndmask_b32_e64 v63, 0, 1, s17
	v_cmp_gt_i32_e64 s17, 0, v65
	s_delay_alu instid0(VALU_DEP_2) | instskip(SKIP_2) | instid1(VALU_DEP_2)
	v_cmp_ne_u32_e32 vcc_lo, 0, v63
	v_not_b32_e32 v63, v65
	v_bitop3_b32 v62, vcc_lo, exec_lo, v62 bitop3:0x48
	v_dual_ashrrev_i32 v63, 31, v63 :: v_dual_lshlrev_b32 v166, 29, v64
	v_dual_lshlrev_b32 v167, 28, v64 :: v_dual_lshlrev_b32 v168, 27, v64
	v_lshlrev_b32_e32 v169, 26, v64
	s_delay_alu instid0(VALU_DEP_3)
	v_not_b32_e32 v65, v166
	v_lshlrev_b32_e32 v170, 25, v64
	v_cmp_gt_i32_e64 s18, 0, v166
	v_cmp_gt_i32_e64 s19, 0, v167
	v_not_b32_e32 v166, v167
	v_not_b32_e32 v167, v168
	v_ashrrev_i32_e32 v65, 31, v65
	v_cmp_gt_i32_e64 s20, 0, v168
	v_cmp_gt_i32_e64 s21, 0, v169
	v_not_b32_e32 v168, v169
	v_dual_ashrrev_i32 v166, 31, v166 :: v_dual_ashrrev_i32 v167, 31, v167
	v_xor_b32_e32 v63, s17, v63
	v_xor_b32_e32 v65, s18, v65
	v_not_b32_e32 v169, v170
	s_delay_alu instid0(VALU_DEP_4) | instskip(SKIP_1) | instid1(VALU_DEP_4)
	v_dual_ashrrev_i32 v168, 31, v168 :: v_dual_bitop2_b32 v166, s19, v166 bitop3:0x14
	v_xor_b32_e32 v167, s20, v167
	v_bitop3_b32 v62, v62, v65, v63 bitop3:0x80
	v_cmp_gt_i32_e32 vcc_lo, 0, v170
	v_ashrrev_i32_e32 v63, 31, v169
	v_mad_u32_u24 v65, v64, 36, v114
	v_xor_b32_e32 v168, s21, v168
	v_bitop3_b32 v62, v62, v167, v166 bitop3:0x80
	s_delay_alu instid0(VALU_DEP_4) | instskip(SKIP_3) | instid1(VALU_DEP_2)
	v_xor_b32_e32 v63, vcc_lo, v63
	ds_load_b32 v166, v65 offset:544
	; wave barrier
	v_bitop3_b32 v62, v62, v63, v168 bitop3:0x80
	v_mul_u32_u24_e32 v63, 36, v64
	v_mbcnt_lo_u32_b32 v167, v62, 0
	v_cmp_ne_u32_e64 s17, 0, v62
	s_delay_alu instid0(VALU_DEP_3) | instskip(NEXT) | instid1(VALU_DEP_3)
	v_add_nc_u32_e32 v168, v114, v63
	v_cmp_eq_u32_e32 vcc_lo, 0, v167
	s_and_b32 s18, s17, vcc_lo
	s_delay_alu instid0(SALU_CYCLE_1)
	s_and_saveexec_b32 s17, s18
	s_cbranch_execz .LBB186_1082
; %bb.1081:                             ;   in Loop: Header=BB186_1032 Depth=2
	s_wait_dscnt 0x0
	v_bcnt_u32_b32 v62, v62, v166
	ds_store_b32 v168, v62 offset:544
.LBB186_1082:                           ;   in Loop: Header=BB186_1032 Depth=2
	s_or_b32 exec_lo, exec_lo, s17
	v_and_b32_e32 v62, 0xff, v141
	; wave barrier
	s_delay_alu instid0(VALU_DEP_1) | instskip(NEXT) | instid1(VALU_DEP_1)
	v_lshrrev_b32_e32 v62, s49, v62
	v_and_b32_e32 v64, s48, v62
	s_delay_alu instid0(VALU_DEP_1) | instskip(SKIP_1) | instid1(VALU_DEP_1)
	v_lshlrev_b32_e32 v65, 30, v64
	v_bitop3_b32 v63, v62, 1, s48 bitop3:0x80
	v_add_co_u32 v62, s17, v63, -1
	s_delay_alu instid0(VALU_DEP_1) | instskip(NEXT) | instid1(VALU_DEP_4)
	v_cndmask_b32_e64 v63, 0, 1, s17
	v_cmp_gt_i32_e64 s17, 0, v65
	s_delay_alu instid0(VALU_DEP_2) | instskip(SKIP_2) | instid1(VALU_DEP_2)
	v_cmp_ne_u32_e32 vcc_lo, 0, v63
	v_not_b32_e32 v63, v65
	v_bitop3_b32 v62, vcc_lo, exec_lo, v62 bitop3:0x48
	v_dual_ashrrev_i32 v63, 31, v63 :: v_dual_lshlrev_b32 v169, 29, v64
	v_dual_lshlrev_b32 v170, 28, v64 :: v_dual_lshlrev_b32 v171, 27, v64
	s_delay_alu instid0(VALU_DEP_2) | instskip(NEXT) | instid1(VALU_DEP_3)
	v_dual_lshlrev_b32 v172, 26, v64 :: v_dual_bitop2_b32 v63, s17, v63 bitop3:0x14
	v_not_b32_e32 v65, v169
	v_lshlrev_b32_e32 v173, 25, v64
	v_cmp_gt_i32_e64 s18, 0, v169
	v_cmp_gt_i32_e64 s19, 0, v170
	v_not_b32_e32 v169, v170
	v_not_b32_e32 v170, v171
	v_ashrrev_i32_e32 v65, 31, v65
	v_cmp_gt_i32_e64 s20, 0, v171
	v_cmp_gt_i32_e64 s21, 0, v172
	v_not_b32_e32 v171, v172
	v_dual_ashrrev_i32 v169, 31, v169 :: v_dual_ashrrev_i32 v170, 31, v170
	v_xor_b32_e32 v65, s18, v65
	v_not_b32_e32 v172, v173
	s_delay_alu instid0(VALU_DEP_3) | instskip(NEXT) | instid1(VALU_DEP_4)
	v_dual_ashrrev_i32 v171, 31, v171 :: v_dual_bitop2_b32 v169, s19, v169 bitop3:0x14
	v_xor_b32_e32 v170, s20, v170
	s_delay_alu instid0(VALU_DEP_4)
	v_bitop3_b32 v62, v62, v65, v63 bitop3:0x80
	v_cmp_gt_i32_e32 vcc_lo, 0, v173
	v_ashrrev_i32_e32 v63, 31, v172
	v_mad_u32_u24 v65, v64, 36, v114
	v_xor_b32_e32 v171, s21, v171
	v_bitop3_b32 v62, v62, v170, v169 bitop3:0x80
	s_delay_alu instid0(VALU_DEP_4) | instskip(SKIP_3) | instid1(VALU_DEP_2)
	v_xor_b32_e32 v63, vcc_lo, v63
	ds_load_b32 v169, v65 offset:544
	; wave barrier
	v_bitop3_b32 v62, v62, v63, v171 bitop3:0x80
	v_mul_u32_u24_e32 v63, 36, v64
	v_mbcnt_lo_u32_b32 v170, v62, 0
	v_cmp_ne_u32_e64 s17, 0, v62
	s_delay_alu instid0(VALU_DEP_3) | instskip(NEXT) | instid1(VALU_DEP_3)
	v_add_nc_u32_e32 v171, v114, v63
	v_cmp_eq_u32_e32 vcc_lo, 0, v170
	s_and_b32 s18, s17, vcc_lo
	s_delay_alu instid0(SALU_CYCLE_1)
	s_and_saveexec_b32 s17, s18
	s_cbranch_execz .LBB186_1084
; %bb.1083:                             ;   in Loop: Header=BB186_1032 Depth=2
	s_wait_dscnt 0x0
	v_bcnt_u32_b32 v62, v62, v169
	ds_store_b32 v171, v62 offset:544
.LBB186_1084:                           ;   in Loop: Header=BB186_1032 Depth=2
	s_or_b32 exec_lo, exec_lo, s17
	v_and_b32_e32 v62, 0xff, v142
	; wave barrier
	s_delay_alu instid0(VALU_DEP_1) | instskip(NEXT) | instid1(VALU_DEP_1)
	v_lshrrev_b32_e32 v62, s49, v62
	v_and_b32_e32 v64, s48, v62
	s_delay_alu instid0(VALU_DEP_1) | instskip(SKIP_1) | instid1(VALU_DEP_1)
	v_lshlrev_b32_e32 v65, 30, v64
	v_bitop3_b32 v63, v62, 1, s48 bitop3:0x80
	v_add_co_u32 v62, s17, v63, -1
	s_delay_alu instid0(VALU_DEP_1) | instskip(NEXT) | instid1(VALU_DEP_4)
	v_cndmask_b32_e64 v63, 0, 1, s17
	v_cmp_gt_i32_e64 s17, 0, v65
	s_delay_alu instid0(VALU_DEP_2) | instskip(SKIP_2) | instid1(VALU_DEP_2)
	v_cmp_ne_u32_e32 vcc_lo, 0, v63
	v_not_b32_e32 v63, v65
	v_bitop3_b32 v62, vcc_lo, exec_lo, v62 bitop3:0x48
	v_dual_ashrrev_i32 v63, 31, v63 :: v_dual_lshlrev_b32 v172, 29, v64
	v_dual_lshlrev_b32 v173, 28, v64 :: v_dual_lshlrev_b32 v174, 27, v64
	v_lshlrev_b32_e32 v175, 26, v64
	s_delay_alu instid0(VALU_DEP_3)
	v_not_b32_e32 v65, v172
	v_lshlrev_b32_e32 v176, 25, v64
	v_cmp_gt_i32_e64 s18, 0, v172
	v_cmp_gt_i32_e64 s19, 0, v173
	v_not_b32_e32 v172, v173
	v_not_b32_e32 v173, v174
	v_ashrrev_i32_e32 v65, 31, v65
	v_cmp_gt_i32_e64 s20, 0, v174
	v_cmp_gt_i32_e64 s21, 0, v175
	v_not_b32_e32 v174, v175
	v_dual_ashrrev_i32 v172, 31, v172 :: v_dual_ashrrev_i32 v173, 31, v173
	v_xor_b32_e32 v63, s17, v63
	v_not_b32_e32 v175, v176
	s_delay_alu instid0(VALU_DEP_4) | instskip(NEXT) | instid1(VALU_DEP_4)
	v_dual_ashrrev_i32 v174, 31, v174 :: v_dual_bitop2_b32 v65, s18, v65 bitop3:0x14
	v_xor_b32_e32 v172, s19, v172
	v_xor_b32_e32 v173, s20, v173
	v_cmp_gt_i32_e32 vcc_lo, 0, v176
	s_delay_alu instid0(VALU_DEP_4) | instskip(SKIP_3) | instid1(VALU_DEP_4)
	v_bitop3_b32 v62, v62, v65, v63 bitop3:0x80
	v_ashrrev_i32_e32 v63, 31, v175
	v_mad_u32_u24 v65, v64, 36, v114
	v_xor_b32_e32 v174, s21, v174
	v_bitop3_b32 v62, v62, v173, v172 bitop3:0x80
	s_delay_alu instid0(VALU_DEP_4) | instskip(SKIP_3) | instid1(VALU_DEP_2)
	v_xor_b32_e32 v63, vcc_lo, v63
	ds_load_b32 v172, v65 offset:544
	; wave barrier
	v_bitop3_b32 v62, v62, v63, v174 bitop3:0x80
	v_mul_u32_u24_e32 v63, 36, v64
	v_mbcnt_lo_u32_b32 v173, v62, 0
	v_cmp_ne_u32_e64 s17, 0, v62
	s_delay_alu instid0(VALU_DEP_3) | instskip(NEXT) | instid1(VALU_DEP_3)
	v_add_nc_u32_e32 v174, v114, v63
	v_cmp_eq_u32_e32 vcc_lo, 0, v173
	s_and_b32 s18, s17, vcc_lo
	s_delay_alu instid0(SALU_CYCLE_1)
	s_and_saveexec_b32 s17, s18
	s_cbranch_execz .LBB186_1086
; %bb.1085:                             ;   in Loop: Header=BB186_1032 Depth=2
	s_wait_dscnt 0x0
	v_bcnt_u32_b32 v62, v62, v172
	ds_store_b32 v174, v62 offset:544
.LBB186_1086:                           ;   in Loop: Header=BB186_1032 Depth=2
	s_or_b32 exec_lo, exec_lo, s17
	v_and_b32_e32 v62, 0xff, v143
	; wave barrier
	s_delay_alu instid0(VALU_DEP_1) | instskip(NEXT) | instid1(VALU_DEP_1)
	v_lshrrev_b32_e32 v62, s49, v62
	v_and_b32_e32 v64, s48, v62
	s_delay_alu instid0(VALU_DEP_1) | instskip(SKIP_1) | instid1(VALU_DEP_1)
	v_lshlrev_b32_e32 v65, 30, v64
	v_bitop3_b32 v63, v62, 1, s48 bitop3:0x80
	v_add_co_u32 v62, s17, v63, -1
	s_delay_alu instid0(VALU_DEP_1) | instskip(NEXT) | instid1(VALU_DEP_4)
	v_cndmask_b32_e64 v63, 0, 1, s17
	v_cmp_gt_i32_e64 s17, 0, v65
	s_delay_alu instid0(VALU_DEP_2) | instskip(SKIP_2) | instid1(VALU_DEP_2)
	v_cmp_ne_u32_e32 vcc_lo, 0, v63
	v_not_b32_e32 v63, v65
	v_bitop3_b32 v62, vcc_lo, exec_lo, v62 bitop3:0x48
	v_dual_ashrrev_i32 v63, 31, v63 :: v_dual_lshlrev_b32 v175, 29, v64
	v_dual_lshlrev_b32 v176, 28, v64 :: v_dual_lshlrev_b32 v177, 27, v64
	v_lshlrev_b32_e32 v178, 26, v64
	s_delay_alu instid0(VALU_DEP_3)
	v_not_b32_e32 v65, v175
	v_lshlrev_b32_e32 v179, 25, v64
	v_cmp_gt_i32_e64 s18, 0, v175
	v_cmp_gt_i32_e64 s19, 0, v176
	v_not_b32_e32 v175, v176
	v_not_b32_e32 v176, v177
	v_ashrrev_i32_e32 v65, 31, v65
	v_cmp_gt_i32_e64 s20, 0, v177
	v_cmp_gt_i32_e64 s21, 0, v178
	v_not_b32_e32 v177, v178
	v_dual_ashrrev_i32 v175, 31, v175 :: v_dual_ashrrev_i32 v176, 31, v176
	v_xor_b32_e32 v63, s17, v63
	v_not_b32_e32 v178, v179
	v_xor_b32_e32 v65, s18, v65
	s_delay_alu instid0(VALU_DEP_4) | instskip(SKIP_2) | instid1(VALU_DEP_4)
	v_dual_ashrrev_i32 v177, 31, v177 :: v_dual_bitop2_b32 v175, s19, v175 bitop3:0x14
	v_xor_b32_e32 v176, s20, v176
	v_cmp_gt_i32_e32 vcc_lo, 0, v179
	v_bitop3_b32 v62, v62, v65, v63 bitop3:0x80
	v_ashrrev_i32_e32 v63, 31, v178
	v_mad_u32_u24 v65, v64, 36, v114
	v_xor_b32_e32 v177, s21, v177
	s_delay_alu instid0(VALU_DEP_4) | instskip(NEXT) | instid1(VALU_DEP_4)
	v_bitop3_b32 v62, v62, v176, v175 bitop3:0x80
	v_xor_b32_e32 v63, vcc_lo, v63
	ds_load_b32 v175, v65 offset:544
	; wave barrier
	v_bitop3_b32 v62, v62, v63, v177 bitop3:0x80
	v_mul_u32_u24_e32 v63, 36, v64
	s_delay_alu instid0(VALU_DEP_2) | instskip(SKIP_1) | instid1(VALU_DEP_3)
	v_mbcnt_lo_u32_b32 v176, v62, 0
	v_cmp_ne_u32_e64 s17, 0, v62
	v_add_nc_u32_e32 v177, v114, v63
	s_delay_alu instid0(VALU_DEP_3) | instskip(SKIP_1) | instid1(SALU_CYCLE_1)
	v_cmp_eq_u32_e32 vcc_lo, 0, v176
	s_and_b32 s18, s17, vcc_lo
	s_and_saveexec_b32 s17, s18
	s_cbranch_execz .LBB186_1088
; %bb.1087:                             ;   in Loop: Header=BB186_1032 Depth=2
	s_wait_dscnt 0x0
	v_bcnt_u32_b32 v62, v62, v175
	ds_store_b32 v177, v62 offset:544
.LBB186_1088:                           ;   in Loop: Header=BB186_1032 Depth=2
	s_or_b32 exec_lo, exec_lo, s17
	v_and_b32_e32 v62, 0xff, v144
	; wave barrier
	s_delay_alu instid0(VALU_DEP_1) | instskip(NEXT) | instid1(VALU_DEP_1)
	v_lshrrev_b32_e32 v62, s49, v62
	v_and_b32_e32 v64, s48, v62
	s_delay_alu instid0(VALU_DEP_1) | instskip(SKIP_1) | instid1(VALU_DEP_1)
	v_lshlrev_b32_e32 v65, 30, v64
	v_bitop3_b32 v63, v62, 1, s48 bitop3:0x80
	v_add_co_u32 v62, s17, v63, -1
	s_delay_alu instid0(VALU_DEP_1) | instskip(NEXT) | instid1(VALU_DEP_4)
	v_cndmask_b32_e64 v63, 0, 1, s17
	v_cmp_gt_i32_e64 s17, 0, v65
	s_delay_alu instid0(VALU_DEP_2) | instskip(SKIP_2) | instid1(VALU_DEP_2)
	v_cmp_ne_u32_e32 vcc_lo, 0, v63
	v_not_b32_e32 v63, v65
	v_bitop3_b32 v62, vcc_lo, exec_lo, v62 bitop3:0x48
	v_dual_ashrrev_i32 v63, 31, v63 :: v_dual_lshlrev_b32 v178, 29, v64
	v_dual_lshlrev_b32 v179, 28, v64 :: v_dual_lshlrev_b32 v180, 27, v64
	v_lshlrev_b32_e32 v181, 26, v64
	s_delay_alu instid0(VALU_DEP_3)
	v_not_b32_e32 v65, v178
	v_lshlrev_b32_e32 v182, 25, v64
	v_cmp_gt_i32_e64 s18, 0, v178
	v_cmp_gt_i32_e64 s19, 0, v179
	v_not_b32_e32 v178, v179
	v_not_b32_e32 v179, v180
	v_ashrrev_i32_e32 v65, 31, v65
	v_cmp_gt_i32_e64 s20, 0, v180
	v_cmp_gt_i32_e64 s21, 0, v181
	v_not_b32_e32 v180, v181
	v_dual_ashrrev_i32 v178, 31, v178 :: v_dual_ashrrev_i32 v179, 31, v179
	v_xor_b32_e32 v63, s17, v63
	v_xor_b32_e32 v65, s18, v65
	v_not_b32_e32 v181, v182
	s_delay_alu instid0(VALU_DEP_4) | instskip(SKIP_1) | instid1(VALU_DEP_4)
	v_dual_ashrrev_i32 v180, 31, v180 :: v_dual_bitop2_b32 v178, s19, v178 bitop3:0x14
	v_xor_b32_e32 v179, s20, v179
	v_bitop3_b32 v62, v62, v65, v63 bitop3:0x80
	v_cmp_gt_i32_e32 vcc_lo, 0, v182
	v_ashrrev_i32_e32 v63, 31, v181
	v_mad_u32_u24 v65, v64, 36, v114
	v_xor_b32_e32 v180, s21, v180
	v_bitop3_b32 v62, v62, v179, v178 bitop3:0x80
	s_delay_alu instid0(VALU_DEP_4) | instskip(SKIP_3) | instid1(VALU_DEP_2)
	v_xor_b32_e32 v63, vcc_lo, v63
	ds_load_b32 v178, v65 offset:544
	; wave barrier
	v_bitop3_b32 v62, v62, v63, v180 bitop3:0x80
	v_mul_u32_u24_e32 v63, 36, v64
	v_mbcnt_lo_u32_b32 v179, v62, 0
	v_cmp_ne_u32_e64 s17, 0, v62
	s_delay_alu instid0(VALU_DEP_3) | instskip(NEXT) | instid1(VALU_DEP_3)
	v_add_nc_u32_e32 v180, v114, v63
	v_cmp_eq_u32_e32 vcc_lo, 0, v179
	s_and_b32 s18, s17, vcc_lo
	s_delay_alu instid0(SALU_CYCLE_1)
	s_and_saveexec_b32 s17, s18
	s_cbranch_execz .LBB186_1090
; %bb.1089:                             ;   in Loop: Header=BB186_1032 Depth=2
	s_wait_dscnt 0x0
	v_bcnt_u32_b32 v62, v62, v178
	ds_store_b32 v180, v62 offset:544
.LBB186_1090:                           ;   in Loop: Header=BB186_1032 Depth=2
	s_or_b32 exec_lo, exec_lo, s17
	v_and_b32_e32 v62, 0xff, v145
	; wave barrier
	s_delay_alu instid0(VALU_DEP_1) | instskip(NEXT) | instid1(VALU_DEP_1)
	v_lshrrev_b32_e32 v62, s49, v62
	v_and_b32_e32 v64, s48, v62
	s_delay_alu instid0(VALU_DEP_1) | instskip(SKIP_1) | instid1(VALU_DEP_1)
	v_lshlrev_b32_e32 v65, 30, v64
	v_bitop3_b32 v63, v62, 1, s48 bitop3:0x80
	v_add_co_u32 v62, s17, v63, -1
	s_delay_alu instid0(VALU_DEP_1) | instskip(NEXT) | instid1(VALU_DEP_4)
	v_cndmask_b32_e64 v63, 0, 1, s17
	v_cmp_gt_i32_e64 s17, 0, v65
	s_delay_alu instid0(VALU_DEP_2) | instskip(SKIP_2) | instid1(VALU_DEP_2)
	v_cmp_ne_u32_e32 vcc_lo, 0, v63
	v_not_b32_e32 v63, v65
	v_bitop3_b32 v62, vcc_lo, exec_lo, v62 bitop3:0x48
	v_dual_ashrrev_i32 v63, 31, v63 :: v_dual_lshlrev_b32 v181, 29, v64
	v_dual_lshlrev_b32 v182, 28, v64 :: v_dual_lshlrev_b32 v183, 27, v64
	s_delay_alu instid0(VALU_DEP_2) | instskip(NEXT) | instid1(VALU_DEP_3)
	v_dual_lshlrev_b32 v184, 26, v64 :: v_dual_bitop2_b32 v63, s17, v63 bitop3:0x14
	v_not_b32_e32 v65, v181
	v_lshlrev_b32_e32 v185, 25, v64
	v_cmp_gt_i32_e64 s18, 0, v181
	v_cmp_gt_i32_e64 s19, 0, v182
	v_not_b32_e32 v181, v182
	v_not_b32_e32 v182, v183
	v_ashrrev_i32_e32 v65, 31, v65
	v_cmp_gt_i32_e64 s20, 0, v183
	v_cmp_gt_i32_e64 s21, 0, v184
	v_not_b32_e32 v183, v184
	v_dual_ashrrev_i32 v181, 31, v181 :: v_dual_ashrrev_i32 v182, 31, v182
	v_xor_b32_e32 v65, s18, v65
	v_not_b32_e32 v184, v185
	s_delay_alu instid0(VALU_DEP_3) | instskip(NEXT) | instid1(VALU_DEP_4)
	v_dual_ashrrev_i32 v183, 31, v183 :: v_dual_bitop2_b32 v181, s19, v181 bitop3:0x14
	v_xor_b32_e32 v182, s20, v182
	s_delay_alu instid0(VALU_DEP_4)
	v_bitop3_b32 v62, v62, v65, v63 bitop3:0x80
	v_cmp_gt_i32_e32 vcc_lo, 0, v185
	v_ashrrev_i32_e32 v63, 31, v184
	v_mad_u32_u24 v65, v64, 36, v114
	v_xor_b32_e32 v183, s21, v183
	v_bitop3_b32 v62, v62, v182, v181 bitop3:0x80
	s_delay_alu instid0(VALU_DEP_4) | instskip(SKIP_3) | instid1(VALU_DEP_2)
	v_xor_b32_e32 v63, vcc_lo, v63
	ds_load_b32 v181, v65 offset:544
	; wave barrier
	v_bitop3_b32 v62, v62, v63, v183 bitop3:0x80
	v_mul_u32_u24_e32 v63, 36, v64
	v_mbcnt_lo_u32_b32 v182, v62, 0
	v_cmp_ne_u32_e64 s17, 0, v62
	s_delay_alu instid0(VALU_DEP_3) | instskip(NEXT) | instid1(VALU_DEP_3)
	v_add_nc_u32_e32 v183, v114, v63
	v_cmp_eq_u32_e32 vcc_lo, 0, v182
	s_and_b32 s18, s17, vcc_lo
	s_delay_alu instid0(SALU_CYCLE_1)
	s_and_saveexec_b32 s17, s18
	s_cbranch_execz .LBB186_1092
; %bb.1091:                             ;   in Loop: Header=BB186_1032 Depth=2
	s_wait_dscnt 0x0
	v_bcnt_u32_b32 v62, v62, v181
	ds_store_b32 v183, v62 offset:544
.LBB186_1092:                           ;   in Loop: Header=BB186_1032 Depth=2
	s_or_b32 exec_lo, exec_lo, s17
	v_and_b32_e32 v62, 0xff, v146
	; wave barrier
	s_delay_alu instid0(VALU_DEP_1) | instskip(NEXT) | instid1(VALU_DEP_1)
	v_lshrrev_b32_e32 v62, s49, v62
	v_and_b32_e32 v64, s48, v62
	s_delay_alu instid0(VALU_DEP_1) | instskip(SKIP_1) | instid1(VALU_DEP_1)
	v_lshlrev_b32_e32 v65, 30, v64
	v_bitop3_b32 v63, v62, 1, s48 bitop3:0x80
	v_add_co_u32 v62, s17, v63, -1
	s_delay_alu instid0(VALU_DEP_1) | instskip(NEXT) | instid1(VALU_DEP_4)
	v_cndmask_b32_e64 v63, 0, 1, s17
	v_cmp_gt_i32_e64 s17, 0, v65
	s_delay_alu instid0(VALU_DEP_2) | instskip(SKIP_2) | instid1(VALU_DEP_2)
	v_cmp_ne_u32_e32 vcc_lo, 0, v63
	v_not_b32_e32 v63, v65
	v_bitop3_b32 v62, vcc_lo, exec_lo, v62 bitop3:0x48
	v_dual_ashrrev_i32 v63, 31, v63 :: v_dual_lshlrev_b32 v184, 29, v64
	v_dual_lshlrev_b32 v185, 28, v64 :: v_dual_lshlrev_b32 v186, 27, v64
	v_lshlrev_b32_e32 v187, 26, v64
	s_delay_alu instid0(VALU_DEP_3)
	v_not_b32_e32 v65, v184
	v_lshlrev_b32_e32 v188, 25, v64
	v_cmp_gt_i32_e64 s18, 0, v184
	v_cmp_gt_i32_e64 s19, 0, v185
	v_not_b32_e32 v184, v185
	v_not_b32_e32 v185, v186
	v_ashrrev_i32_e32 v65, 31, v65
	v_cmp_gt_i32_e64 s20, 0, v186
	v_cmp_gt_i32_e64 s21, 0, v187
	v_not_b32_e32 v186, v187
	v_dual_ashrrev_i32 v184, 31, v184 :: v_dual_ashrrev_i32 v185, 31, v185
	v_xor_b32_e32 v63, s17, v63
	v_not_b32_e32 v187, v188
	s_delay_alu instid0(VALU_DEP_4) | instskip(NEXT) | instid1(VALU_DEP_4)
	v_dual_ashrrev_i32 v186, 31, v186 :: v_dual_bitop2_b32 v65, s18, v65 bitop3:0x14
	v_xor_b32_e32 v184, s19, v184
	v_xor_b32_e32 v185, s20, v185
	v_cmp_gt_i32_e32 vcc_lo, 0, v188
	s_delay_alu instid0(VALU_DEP_4) | instskip(SKIP_3) | instid1(VALU_DEP_4)
	v_bitop3_b32 v62, v62, v65, v63 bitop3:0x80
	v_ashrrev_i32_e32 v63, 31, v187
	v_mad_u32_u24 v65, v64, 36, v114
	v_xor_b32_e32 v186, s21, v186
	v_bitop3_b32 v62, v62, v185, v184 bitop3:0x80
	s_delay_alu instid0(VALU_DEP_4) | instskip(SKIP_3) | instid1(VALU_DEP_2)
	v_xor_b32_e32 v63, vcc_lo, v63
	ds_load_b32 v184, v65 offset:544
	; wave barrier
	v_bitop3_b32 v62, v62, v63, v186 bitop3:0x80
	v_mul_u32_u24_e32 v63, 36, v64
	v_mbcnt_lo_u32_b32 v185, v62, 0
	v_cmp_ne_u32_e64 s17, 0, v62
	s_delay_alu instid0(VALU_DEP_3) | instskip(NEXT) | instid1(VALU_DEP_3)
	v_add_nc_u32_e32 v186, v114, v63
	v_cmp_eq_u32_e32 vcc_lo, 0, v185
	s_and_b32 s18, s17, vcc_lo
	s_delay_alu instid0(SALU_CYCLE_1)
	s_and_saveexec_b32 s17, s18
	s_cbranch_execz .LBB186_1094
; %bb.1093:                             ;   in Loop: Header=BB186_1032 Depth=2
	s_wait_dscnt 0x0
	v_bcnt_u32_b32 v62, v62, v184
	ds_store_b32 v186, v62 offset:544
.LBB186_1094:                           ;   in Loop: Header=BB186_1032 Depth=2
	s_or_b32 exec_lo, exec_lo, s17
	v_and_b32_e32 v62, 0xff, v147
	; wave barrier
	s_delay_alu instid0(VALU_DEP_1) | instskip(NEXT) | instid1(VALU_DEP_1)
	v_lshrrev_b32_e32 v62, s49, v62
	v_and_b32_e32 v64, s48, v62
	s_delay_alu instid0(VALU_DEP_1) | instskip(SKIP_1) | instid1(VALU_DEP_1)
	v_lshlrev_b32_e32 v65, 30, v64
	v_bitop3_b32 v63, v62, 1, s48 bitop3:0x80
	v_add_co_u32 v62, s17, v63, -1
	s_delay_alu instid0(VALU_DEP_1) | instskip(NEXT) | instid1(VALU_DEP_4)
	v_cndmask_b32_e64 v63, 0, 1, s17
	v_cmp_gt_i32_e64 s17, 0, v65
	s_delay_alu instid0(VALU_DEP_2) | instskip(SKIP_2) | instid1(VALU_DEP_2)
	v_cmp_ne_u32_e32 vcc_lo, 0, v63
	v_not_b32_e32 v63, v65
	v_bitop3_b32 v62, vcc_lo, exec_lo, v62 bitop3:0x48
	v_dual_ashrrev_i32 v63, 31, v63 :: v_dual_lshlrev_b32 v187, 29, v64
	v_dual_lshlrev_b32 v188, 28, v64 :: v_dual_lshlrev_b32 v189, 27, v64
	v_lshlrev_b32_e32 v190, 26, v64
	s_delay_alu instid0(VALU_DEP_3)
	v_not_b32_e32 v65, v187
	v_lshlrev_b32_e32 v191, 25, v64
	v_cmp_gt_i32_e64 s18, 0, v187
	v_cmp_gt_i32_e64 s19, 0, v188
	v_not_b32_e32 v187, v188
	v_not_b32_e32 v188, v189
	v_ashrrev_i32_e32 v65, 31, v65
	v_cmp_gt_i32_e64 s20, 0, v189
	v_cmp_gt_i32_e64 s21, 0, v190
	v_not_b32_e32 v189, v190
	v_dual_ashrrev_i32 v187, 31, v187 :: v_dual_ashrrev_i32 v188, 31, v188
	v_xor_b32_e32 v63, s17, v63
	v_not_b32_e32 v190, v191
	v_xor_b32_e32 v65, s18, v65
	s_delay_alu instid0(VALU_DEP_4) | instskip(SKIP_2) | instid1(VALU_DEP_4)
	v_dual_ashrrev_i32 v189, 31, v189 :: v_dual_bitop2_b32 v187, s19, v187 bitop3:0x14
	v_xor_b32_e32 v188, s20, v188
	v_cmp_gt_i32_e32 vcc_lo, 0, v191
	v_bitop3_b32 v62, v62, v65, v63 bitop3:0x80
	v_ashrrev_i32_e32 v63, 31, v190
	v_mad_u32_u24 v65, v64, 36, v114
	v_xor_b32_e32 v189, s21, v189
	s_delay_alu instid0(VALU_DEP_4) | instskip(NEXT) | instid1(VALU_DEP_4)
	v_bitop3_b32 v62, v62, v188, v187 bitop3:0x80
	v_xor_b32_e32 v63, vcc_lo, v63
	ds_load_b32 v187, v65 offset:544
	; wave barrier
	v_bitop3_b32 v62, v62, v63, v189 bitop3:0x80
	v_mul_u32_u24_e32 v63, 36, v64
	s_delay_alu instid0(VALU_DEP_2) | instskip(SKIP_1) | instid1(VALU_DEP_3)
	v_mbcnt_lo_u32_b32 v188, v62, 0
	v_cmp_ne_u32_e64 s17, 0, v62
	v_add_nc_u32_e32 v189, v114, v63
	s_delay_alu instid0(VALU_DEP_3) | instskip(SKIP_1) | instid1(SALU_CYCLE_1)
	v_cmp_eq_u32_e32 vcc_lo, 0, v188
	s_and_b32 s18, s17, vcc_lo
	s_and_saveexec_b32 s17, s18
	s_cbranch_execz .LBB186_1096
; %bb.1095:                             ;   in Loop: Header=BB186_1032 Depth=2
	s_wait_dscnt 0x0
	v_bcnt_u32_b32 v62, v62, v187
	ds_store_b32 v189, v62 offset:544
.LBB186_1096:                           ;   in Loop: Header=BB186_1032 Depth=2
	s_or_b32 exec_lo, exec_lo, s17
	v_and_b32_e32 v62, 0xff, v148
	; wave barrier
	s_delay_alu instid0(VALU_DEP_1) | instskip(NEXT) | instid1(VALU_DEP_1)
	v_lshrrev_b32_e32 v62, s49, v62
	v_and_b32_e32 v64, s48, v62
	s_delay_alu instid0(VALU_DEP_1) | instskip(SKIP_1) | instid1(VALU_DEP_1)
	v_lshlrev_b32_e32 v65, 30, v64
	v_bitop3_b32 v63, v62, 1, s48 bitop3:0x80
	v_add_co_u32 v62, s17, v63, -1
	s_delay_alu instid0(VALU_DEP_1) | instskip(NEXT) | instid1(VALU_DEP_4)
	v_cndmask_b32_e64 v63, 0, 1, s17
	v_cmp_gt_i32_e64 s17, 0, v65
	s_delay_alu instid0(VALU_DEP_2) | instskip(SKIP_2) | instid1(VALU_DEP_2)
	v_cmp_ne_u32_e32 vcc_lo, 0, v63
	v_not_b32_e32 v63, v65
	v_bitop3_b32 v62, vcc_lo, exec_lo, v62 bitop3:0x48
	v_dual_ashrrev_i32 v63, 31, v63 :: v_dual_lshlrev_b32 v190, 29, v64
	v_dual_lshlrev_b32 v191, 28, v64 :: v_dual_lshlrev_b32 v192, 27, v64
	v_lshlrev_b32_e32 v193, 26, v64
	s_delay_alu instid0(VALU_DEP_3)
	v_not_b32_e32 v65, v190
	v_lshlrev_b32_e32 v194, 25, v64
	v_cmp_gt_i32_e64 s18, 0, v190
	v_cmp_gt_i32_e64 s19, 0, v191
	v_not_b32_e32 v190, v191
	v_not_b32_e32 v191, v192
	v_ashrrev_i32_e32 v65, 31, v65
	v_cmp_gt_i32_e64 s20, 0, v192
	v_cmp_gt_i32_e64 s21, 0, v193
	v_not_b32_e32 v192, v193
	v_dual_ashrrev_i32 v190, 31, v190 :: v_dual_ashrrev_i32 v191, 31, v191
	v_xor_b32_e32 v63, s17, v63
	v_xor_b32_e32 v65, s18, v65
	v_not_b32_e32 v193, v194
	s_delay_alu instid0(VALU_DEP_4) | instskip(SKIP_1) | instid1(VALU_DEP_4)
	v_dual_ashrrev_i32 v192, 31, v192 :: v_dual_bitop2_b32 v190, s19, v190 bitop3:0x14
	v_xor_b32_e32 v191, s20, v191
	v_bitop3_b32 v62, v62, v65, v63 bitop3:0x80
	v_cmp_gt_i32_e32 vcc_lo, 0, v194
	v_ashrrev_i32_e32 v63, 31, v193
	v_mad_u32_u24 v65, v64, 36, v114
	v_xor_b32_e32 v192, s21, v192
	v_bitop3_b32 v62, v62, v191, v190 bitop3:0x80
	s_delay_alu instid0(VALU_DEP_4) | instskip(SKIP_3) | instid1(VALU_DEP_2)
	v_xor_b32_e32 v63, vcc_lo, v63
	ds_load_b32 v190, v65 offset:544
	; wave barrier
	v_bitop3_b32 v62, v62, v63, v192 bitop3:0x80
	v_mul_u32_u24_e32 v63, 36, v64
	v_mbcnt_lo_u32_b32 v191, v62, 0
	v_cmp_ne_u32_e64 s17, 0, v62
	s_delay_alu instid0(VALU_DEP_3) | instskip(NEXT) | instid1(VALU_DEP_3)
	v_add_nc_u32_e32 v192, v114, v63
	v_cmp_eq_u32_e32 vcc_lo, 0, v191
	s_and_b32 s18, s17, vcc_lo
	s_delay_alu instid0(SALU_CYCLE_1)
	s_and_saveexec_b32 s17, s18
	s_cbranch_execz .LBB186_1098
; %bb.1097:                             ;   in Loop: Header=BB186_1032 Depth=2
	s_wait_dscnt 0x0
	v_bcnt_u32_b32 v62, v62, v190
	ds_store_b32 v192, v62 offset:544
.LBB186_1098:                           ;   in Loop: Header=BB186_1032 Depth=2
	s_or_b32 exec_lo, exec_lo, s17
	v_and_b32_e32 v62, 0xff, v149
	; wave barrier
	s_delay_alu instid0(VALU_DEP_1) | instskip(NEXT) | instid1(VALU_DEP_1)
	v_lshrrev_b32_e32 v62, s49, v62
	v_and_b32_e32 v64, s48, v62
	s_delay_alu instid0(VALU_DEP_1) | instskip(SKIP_1) | instid1(VALU_DEP_1)
	v_lshlrev_b32_e32 v65, 30, v64
	v_bitop3_b32 v63, v62, 1, s48 bitop3:0x80
	v_add_co_u32 v62, s17, v63, -1
	s_delay_alu instid0(VALU_DEP_1) | instskip(NEXT) | instid1(VALU_DEP_4)
	v_cndmask_b32_e64 v63, 0, 1, s17
	v_cmp_gt_i32_e64 s17, 0, v65
	s_delay_alu instid0(VALU_DEP_2) | instskip(SKIP_2) | instid1(VALU_DEP_2)
	v_cmp_ne_u32_e32 vcc_lo, 0, v63
	v_not_b32_e32 v63, v65
	v_bitop3_b32 v62, vcc_lo, exec_lo, v62 bitop3:0x48
	v_dual_ashrrev_i32 v63, 31, v63 :: v_dual_lshlrev_b32 v193, 29, v64
	v_dual_lshlrev_b32 v194, 28, v64 :: v_dual_lshlrev_b32 v195, 27, v64
	s_delay_alu instid0(VALU_DEP_2) | instskip(NEXT) | instid1(VALU_DEP_3)
	v_dual_lshlrev_b32 v196, 26, v64 :: v_dual_bitop2_b32 v63, s17, v63 bitop3:0x14
	v_not_b32_e32 v65, v193
	v_lshlrev_b32_e32 v197, 25, v64
	v_cmp_gt_i32_e64 s18, 0, v193
	v_cmp_gt_i32_e64 s19, 0, v194
	v_not_b32_e32 v193, v194
	v_not_b32_e32 v194, v195
	v_ashrrev_i32_e32 v65, 31, v65
	v_cmp_gt_i32_e64 s20, 0, v195
	v_cmp_gt_i32_e64 s21, 0, v196
	v_not_b32_e32 v195, v196
	v_dual_ashrrev_i32 v193, 31, v193 :: v_dual_ashrrev_i32 v194, 31, v194
	v_xor_b32_e32 v65, s18, v65
	v_not_b32_e32 v196, v197
	s_delay_alu instid0(VALU_DEP_3) | instskip(NEXT) | instid1(VALU_DEP_4)
	v_dual_ashrrev_i32 v195, 31, v195 :: v_dual_bitop2_b32 v193, s19, v193 bitop3:0x14
	v_xor_b32_e32 v194, s20, v194
	s_delay_alu instid0(VALU_DEP_4)
	v_bitop3_b32 v62, v62, v65, v63 bitop3:0x80
	v_cmp_gt_i32_e32 vcc_lo, 0, v197
	v_ashrrev_i32_e32 v63, 31, v196
	v_mad_u32_u24 v65, v64, 36, v114
	v_xor_b32_e32 v195, s21, v195
	v_bitop3_b32 v62, v62, v194, v193 bitop3:0x80
	s_delay_alu instid0(VALU_DEP_4) | instskip(SKIP_3) | instid1(VALU_DEP_2)
	v_xor_b32_e32 v63, vcc_lo, v63
	ds_load_b32 v193, v65 offset:544
	; wave barrier
	v_bitop3_b32 v62, v62, v63, v195 bitop3:0x80
	v_mul_u32_u24_e32 v63, 36, v64
	v_mbcnt_lo_u32_b32 v194, v62, 0
	v_cmp_ne_u32_e64 s17, 0, v62
	s_delay_alu instid0(VALU_DEP_3) | instskip(NEXT) | instid1(VALU_DEP_3)
	v_add_nc_u32_e32 v195, v114, v63
	v_cmp_eq_u32_e32 vcc_lo, 0, v194
	s_and_b32 s18, s17, vcc_lo
	s_delay_alu instid0(SALU_CYCLE_1)
	s_and_saveexec_b32 s17, s18
	s_cbranch_execz .LBB186_1100
; %bb.1099:                             ;   in Loop: Header=BB186_1032 Depth=2
	s_wait_dscnt 0x0
	v_bcnt_u32_b32 v62, v62, v193
	ds_store_b32 v195, v62 offset:544
.LBB186_1100:                           ;   in Loop: Header=BB186_1032 Depth=2
	s_or_b32 exec_lo, exec_lo, s17
	v_and_b32_e32 v62, 0xff, v150
	; wave barrier
	s_delay_alu instid0(VALU_DEP_1) | instskip(NEXT) | instid1(VALU_DEP_1)
	v_lshrrev_b32_e32 v62, s49, v62
	v_and_b32_e32 v64, s48, v62
	s_delay_alu instid0(VALU_DEP_1) | instskip(SKIP_1) | instid1(VALU_DEP_1)
	v_lshlrev_b32_e32 v65, 30, v64
	v_bitop3_b32 v63, v62, 1, s48 bitop3:0x80
	v_add_co_u32 v62, s17, v63, -1
	s_delay_alu instid0(VALU_DEP_1) | instskip(NEXT) | instid1(VALU_DEP_4)
	v_cndmask_b32_e64 v63, 0, 1, s17
	v_cmp_gt_i32_e64 s17, 0, v65
	s_delay_alu instid0(VALU_DEP_2) | instskip(SKIP_2) | instid1(VALU_DEP_2)
	v_cmp_ne_u32_e32 vcc_lo, 0, v63
	v_not_b32_e32 v63, v65
	v_bitop3_b32 v62, vcc_lo, exec_lo, v62 bitop3:0x48
	v_dual_ashrrev_i32 v63, 31, v63 :: v_dual_lshlrev_b32 v196, 29, v64
	v_dual_lshlrev_b32 v197, 28, v64 :: v_dual_lshlrev_b32 v198, 27, v64
	v_lshlrev_b32_e32 v199, 26, v64
	s_delay_alu instid0(VALU_DEP_3)
	v_not_b32_e32 v65, v196
	v_lshlrev_b32_e32 v200, 25, v64
	v_cmp_gt_i32_e64 s18, 0, v196
	v_cmp_gt_i32_e64 s19, 0, v197
	v_not_b32_e32 v196, v197
	v_not_b32_e32 v197, v198
	v_ashrrev_i32_e32 v65, 31, v65
	v_cmp_gt_i32_e64 s20, 0, v198
	v_cmp_gt_i32_e64 s21, 0, v199
	v_not_b32_e32 v198, v199
	v_dual_ashrrev_i32 v196, 31, v196 :: v_dual_ashrrev_i32 v197, 31, v197
	v_xor_b32_e32 v63, s17, v63
	v_not_b32_e32 v199, v200
	s_delay_alu instid0(VALU_DEP_4) | instskip(NEXT) | instid1(VALU_DEP_4)
	v_dual_ashrrev_i32 v198, 31, v198 :: v_dual_bitop2_b32 v65, s18, v65 bitop3:0x14
	v_xor_b32_e32 v196, s19, v196
	v_xor_b32_e32 v197, s20, v197
	v_cmp_gt_i32_e32 vcc_lo, 0, v200
	s_delay_alu instid0(VALU_DEP_4) | instskip(SKIP_3) | instid1(VALU_DEP_4)
	v_bitop3_b32 v62, v62, v65, v63 bitop3:0x80
	v_ashrrev_i32_e32 v63, 31, v199
	v_mad_u32_u24 v65, v64, 36, v114
	v_xor_b32_e32 v198, s21, v198
	v_bitop3_b32 v62, v62, v197, v196 bitop3:0x80
	s_delay_alu instid0(VALU_DEP_4) | instskip(SKIP_3) | instid1(VALU_DEP_2)
	v_xor_b32_e32 v63, vcc_lo, v63
	ds_load_b32 v196, v65 offset:544
	; wave barrier
	v_bitop3_b32 v62, v62, v63, v198 bitop3:0x80
	v_mul_u32_u24_e32 v63, 36, v64
	v_mbcnt_lo_u32_b32 v197, v62, 0
	v_cmp_ne_u32_e64 s17, 0, v62
	s_delay_alu instid0(VALU_DEP_3) | instskip(NEXT) | instid1(VALU_DEP_3)
	v_add_nc_u32_e32 v198, v114, v63
	v_cmp_eq_u32_e32 vcc_lo, 0, v197
	s_and_b32 s18, s17, vcc_lo
	s_delay_alu instid0(SALU_CYCLE_1)
	s_and_saveexec_b32 s17, s18
	s_cbranch_execz .LBB186_1102
; %bb.1101:                             ;   in Loop: Header=BB186_1032 Depth=2
	s_wait_dscnt 0x0
	v_bcnt_u32_b32 v62, v62, v196
	ds_store_b32 v198, v62 offset:544
.LBB186_1102:                           ;   in Loop: Header=BB186_1032 Depth=2
	s_or_b32 exec_lo, exec_lo, s17
	v_and_b32_e32 v62, 0xff, v151
	; wave barrier
	s_delay_alu instid0(VALU_DEP_1) | instskip(NEXT) | instid1(VALU_DEP_1)
	v_lshrrev_b32_e32 v62, s49, v62
	v_and_b32_e32 v64, s48, v62
	s_delay_alu instid0(VALU_DEP_1) | instskip(SKIP_1) | instid1(VALU_DEP_1)
	v_lshlrev_b32_e32 v65, 30, v64
	v_bitop3_b32 v63, v62, 1, s48 bitop3:0x80
	v_add_co_u32 v62, s17, v63, -1
	s_delay_alu instid0(VALU_DEP_1) | instskip(NEXT) | instid1(VALU_DEP_4)
	v_cndmask_b32_e64 v63, 0, 1, s17
	v_cmp_gt_i32_e64 s17, 0, v65
	s_delay_alu instid0(VALU_DEP_2) | instskip(SKIP_2) | instid1(VALU_DEP_2)
	v_cmp_ne_u32_e32 vcc_lo, 0, v63
	v_not_b32_e32 v63, v65
	v_bitop3_b32 v62, vcc_lo, exec_lo, v62 bitop3:0x48
	v_dual_ashrrev_i32 v63, 31, v63 :: v_dual_lshlrev_b32 v199, 29, v64
	v_dual_lshlrev_b32 v200, 28, v64 :: v_dual_lshlrev_b32 v201, 27, v64
	v_lshlrev_b32_e32 v202, 26, v64
	s_delay_alu instid0(VALU_DEP_3)
	v_not_b32_e32 v65, v199
	v_lshlrev_b32_e32 v203, 25, v64
	v_cmp_gt_i32_e64 s18, 0, v199
	v_cmp_gt_i32_e64 s19, 0, v200
	v_not_b32_e32 v199, v200
	v_not_b32_e32 v200, v201
	v_ashrrev_i32_e32 v65, 31, v65
	v_cmp_gt_i32_e64 s20, 0, v201
	v_cmp_gt_i32_e64 s21, 0, v202
	v_not_b32_e32 v201, v202
	v_dual_ashrrev_i32 v199, 31, v199 :: v_dual_ashrrev_i32 v200, 31, v200
	v_xor_b32_e32 v63, s17, v63
	v_not_b32_e32 v202, v203
	v_xor_b32_e32 v65, s18, v65
	s_delay_alu instid0(VALU_DEP_4) | instskip(SKIP_2) | instid1(VALU_DEP_4)
	v_dual_ashrrev_i32 v201, 31, v201 :: v_dual_bitop2_b32 v199, s19, v199 bitop3:0x14
	v_xor_b32_e32 v200, s20, v200
	v_cmp_gt_i32_e32 vcc_lo, 0, v203
	v_bitop3_b32 v62, v62, v65, v63 bitop3:0x80
	v_ashrrev_i32_e32 v63, 31, v202
	v_mad_u32_u24 v65, v64, 36, v114
	v_xor_b32_e32 v201, s21, v201
	s_delay_alu instid0(VALU_DEP_4) | instskip(NEXT) | instid1(VALU_DEP_4)
	v_bitop3_b32 v62, v62, v200, v199 bitop3:0x80
	v_xor_b32_e32 v63, vcc_lo, v63
	ds_load_b32 v199, v65 offset:544
	; wave barrier
	v_bitop3_b32 v62, v62, v63, v201 bitop3:0x80
	v_mul_u32_u24_e32 v63, 36, v64
	s_delay_alu instid0(VALU_DEP_2) | instskip(SKIP_1) | instid1(VALU_DEP_3)
	v_mbcnt_lo_u32_b32 v200, v62, 0
	v_cmp_ne_u32_e64 s17, 0, v62
	v_add_nc_u32_e32 v201, v114, v63
	s_delay_alu instid0(VALU_DEP_3) | instskip(SKIP_1) | instid1(SALU_CYCLE_1)
	v_cmp_eq_u32_e32 vcc_lo, 0, v200
	s_and_b32 s18, s17, vcc_lo
	s_and_saveexec_b32 s17, s18
	s_cbranch_execz .LBB186_1104
; %bb.1103:                             ;   in Loop: Header=BB186_1032 Depth=2
	s_wait_dscnt 0x0
	v_bcnt_u32_b32 v62, v62, v199
	ds_store_b32 v201, v62 offset:544
.LBB186_1104:                           ;   in Loop: Header=BB186_1032 Depth=2
	s_or_b32 exec_lo, exec_lo, s17
	; wave barrier
	s_wait_dscnt 0x0
	s_barrier_signal -1
	s_barrier_wait -1
	ds_load_2addr_b32 v[64:65], v90 offset0:136 offset1:137
	ds_load_2addr_b32 v[62:63], v90 offset0:138 offset1:139
	ds_load_b32 v202, v90 offset:560
	s_wait_dscnt 0x1
	v_add3_u32 v203, v65, v64, v62
	s_wait_dscnt 0x0
	s_delay_alu instid0(VALU_DEP_1) | instskip(NEXT) | instid1(VALU_DEP_1)
	v_add3_u32 v202, v203, v63, v202
	v_mov_b32_dpp v203, v202 row_shr:1 row_mask:0xf bank_mask:0xf
	s_delay_alu instid0(VALU_DEP_1) | instskip(NEXT) | instid1(VALU_DEP_1)
	v_cndmask_b32_e64 v203, v203, 0, s8
	v_add_nc_u32_e32 v202, v203, v202
	s_delay_alu instid0(VALU_DEP_1) | instskip(NEXT) | instid1(VALU_DEP_1)
	v_mov_b32_dpp v203, v202 row_shr:2 row_mask:0xf bank_mask:0xf
	v_cndmask_b32_e64 v203, 0, v203, s9
	s_delay_alu instid0(VALU_DEP_1) | instskip(NEXT) | instid1(VALU_DEP_1)
	v_add_nc_u32_e32 v202, v202, v203
	v_mov_b32_dpp v203, v202 row_shr:4 row_mask:0xf bank_mask:0xf
	s_delay_alu instid0(VALU_DEP_1) | instskip(NEXT) | instid1(VALU_DEP_1)
	v_cndmask_b32_e64 v203, 0, v203, s10
	v_add_nc_u32_e32 v202, v202, v203
	s_delay_alu instid0(VALU_DEP_1) | instskip(NEXT) | instid1(VALU_DEP_1)
	v_mov_b32_dpp v203, v202 row_shr:8 row_mask:0xf bank_mask:0xf
	v_cndmask_b32_e64 v203, 0, v203, s11
	s_delay_alu instid0(VALU_DEP_1) | instskip(SKIP_3) | instid1(VALU_DEP_1)
	v_add_nc_u32_e32 v202, v202, v203
	ds_swizzle_b32 v203, v202 offset:swizzle(BROADCAST,32,15)
	s_wait_dscnt 0x0
	v_cndmask_b32_e64 v203, v203, 0, s12
	v_add_nc_u32_e32 v202, v202, v203
	s_and_saveexec_b32 s17, s2
; %bb.1105:                             ;   in Loop: Header=BB186_1032 Depth=2
	ds_store_b32 v83, v202 offset:512
; %bb.1106:                             ;   in Loop: Header=BB186_1032 Depth=2
	s_or_b32 exec_lo, exec_lo, s17
	s_wait_dscnt 0x0
	s_barrier_signal -1
	s_barrier_wait -1
	s_and_saveexec_b32 s17, s3
	s_cbranch_execz .LBB186_1108
; %bb.1107:                             ;   in Loop: Header=BB186_1032 Depth=2
	ds_load_b32 v203, v92 offset:512
	s_wait_dscnt 0x0
	v_mov_b32_dpp v204, v203 row_shr:1 row_mask:0xf bank_mask:0xf
	s_delay_alu instid0(VALU_DEP_1) | instskip(NEXT) | instid1(VALU_DEP_1)
	v_cndmask_b32_e64 v204, v204, 0, s14
	v_add_nc_u32_e32 v203, v204, v203
	s_delay_alu instid0(VALU_DEP_1) | instskip(NEXT) | instid1(VALU_DEP_1)
	v_mov_b32_dpp v204, v203 row_shr:2 row_mask:0xf bank_mask:0xf
	v_cndmask_b32_e64 v204, 0, v204, s15
	s_delay_alu instid0(VALU_DEP_1) | instskip(NEXT) | instid1(VALU_DEP_1)
	v_add_nc_u32_e32 v203, v203, v204
	v_mov_b32_dpp v204, v203 row_shr:4 row_mask:0xf bank_mask:0xf
	s_delay_alu instid0(VALU_DEP_1) | instskip(NEXT) | instid1(VALU_DEP_1)
	v_cndmask_b32_e64 v204, 0, v204, s16
	v_add_nc_u32_e32 v203, v203, v204
	ds_store_b32 v92, v203 offset:512
.LBB186_1108:                           ;   in Loop: Header=BB186_1032 Depth=2
	s_or_b32 exec_lo, exec_lo, s17
	v_mov_b32_e32 v203, 0
	s_wait_dscnt 0x0
	s_barrier_signal -1
	s_barrier_wait -1
	s_and_saveexec_b32 s17, s5
; %bb.1109:                             ;   in Loop: Header=BB186_1032 Depth=2
	ds_load_b32 v203, v83 offset:508
; %bb.1110:                             ;   in Loop: Header=BB186_1032 Depth=2
	s_or_b32 exec_lo, exec_lo, s17
	s_wait_dscnt 0x0
	v_add_nc_u32_e32 v202, v203, v202
	ds_bpermute_b32 v202, v96, v202
	s_wait_dscnt 0x0
	v_cndmask_b32_e64 v202, v202, v203, s13
	s_delay_alu instid0(VALU_DEP_1) | instskip(NEXT) | instid1(VALU_DEP_1)
	v_cndmask_b32_e64 v202, v202, 0, s6
	v_add_nc_u32_e32 v64, v202, v64
	s_delay_alu instid0(VALU_DEP_1) | instskip(NEXT) | instid1(VALU_DEP_1)
	v_add_nc_u32_e32 v65, v64, v65
	v_add_nc_u32_e32 v62, v65, v62
	s_delay_alu instid0(VALU_DEP_1)
	v_add_nc_u32_e32 v63, v62, v63
	ds_store_2addr_b32 v90, v202, v64 offset0:136 offset1:137
	ds_store_2addr_b32 v90, v65, v62 offset0:138 offset1:139
	ds_store_b32 v90, v63 offset:560
	s_wait_dscnt 0x0
	s_barrier_signal -1
	s_barrier_wait -1
	ds_load_b32 v62, v153 offset:544
	ds_load_b32 v63, v156 offset:544
	;; [unrolled: 1-line block ×17, first 2 shown]
	s_and_saveexec_b32 s17, s0
	s_cbranch_execz .LBB186_1114
; %bb.1111:                             ;   in Loop: Header=BB186_1032 Depth=2
	v_dual_mov_b32 v133, 0x1100 :: v_dual_add_nc_u32 v132, v92, v94
	ds_load_b32 v132, v132 offset:544
	s_and_saveexec_b32 s18, s7
; %bb.1112:                             ;   in Loop: Header=BB186_1032 Depth=2
	ds_load_b32 v133, v93 offset:544
; %bb.1113:                             ;   in Loop: Header=BB186_1032 Depth=2
	s_or_b32 exec_lo, exec_lo, s18
	s_wait_dscnt 0x0
	v_sub_nc_u32_e32 v133, v133, v132
.LBB186_1114:                           ;   in Loop: Header=BB186_1032 Depth=2
	s_or_b32 exec_lo, exec_lo, s17
	s_wait_dscnt 0x0
	s_barrier_signal -1
	s_barrier_wait -1
	s_and_saveexec_b32 s17, s0
	s_cbranch_execz .LBB186_1116
; %bb.1115:                             ;   in Loop: Header=BB186_1032 Depth=2
	ds_load_b32 v162, v66
	s_wait_dscnt 0x0
	v_sub_nc_u32_e32 v162, v162, v132
	ds_store_b32 v66, v162
.LBB186_1116:                           ;   in Loop: Header=BB186_1032 Depth=2
	s_or_b32 exec_lo, exec_lo, s17
	v_add_nc_u32_e32 v174, v62, v152
	v_add3_u32 v171, v155, v154, v63
	v_add3_u32 v168, v158, v157, v64
	;; [unrolled: 1-line block ×16, first 2 shown]
	v_cmp_lt_u32_e32 vcc_lo, v2, v134
	ds_store_b8 v174, v135 offset:512
	ds_store_b8 v171, v136 offset:512
	ds_store_b8 v168, v137 offset:512
	ds_store_b8 v165, v138 offset:512
	ds_store_b8 v162, v139 offset:512
	ds_store_b8 v161, v140 offset:512
	ds_store_b8 v160, v141 offset:512
	ds_store_b8 v159, v142 offset:512
	ds_store_b8 v158, v143 offset:512
	ds_store_b8 v157, v144 offset:512
	ds_store_b8 v156, v145 offset:512
	ds_store_b8 v155, v146 offset:512
	ds_store_b8 v154, v147 offset:512
	ds_store_b8 v153, v148 offset:512
	ds_store_b8 v152, v149 offset:512
	ds_store_b8 v65, v150 offset:512
	ds_store_b8 v64, v151 offset:512
	s_wait_dscnt 0x0
	s_barrier_signal -1
	s_barrier_wait -1
	s_and_saveexec_b32 s17, vcc_lo
	s_cbranch_execnz .LBB186_1189
; %bb.1117:                             ;   in Loop: Header=BB186_1032 Depth=2
	s_or_b32 exec_lo, exec_lo, s17
	v_cmp_lt_u32_e64 s17, v67, v134
	s_and_saveexec_b32 s18, s17
	s_cbranch_execnz .LBB186_1190
.LBB186_1118:                           ;   in Loop: Header=BB186_1032 Depth=2
	s_or_b32 exec_lo, exec_lo, s18
	v_cmp_lt_u32_e64 s18, v68, v134
	s_and_saveexec_b32 s19, s18
	s_cbranch_execnz .LBB186_1191
.LBB186_1119:                           ;   in Loop: Header=BB186_1032 Depth=2
	s_or_b32 exec_lo, exec_lo, s19
	v_cmp_lt_u32_e64 s19, v69, v134
	s_and_saveexec_b32 s20, s19
	s_cbranch_execnz .LBB186_1192
.LBB186_1120:                           ;   in Loop: Header=BB186_1032 Depth=2
	s_or_b32 exec_lo, exec_lo, s20
	v_cmp_lt_u32_e64 s20, v70, v134
	s_and_saveexec_b32 s21, s20
	s_cbranch_execnz .LBB186_1193
.LBB186_1121:                           ;   in Loop: Header=BB186_1032 Depth=2
	s_or_b32 exec_lo, exec_lo, s21
	v_cmp_lt_u32_e64 s21, v71, v134
	s_and_saveexec_b32 s22, s21
	s_cbranch_execnz .LBB186_1194
.LBB186_1122:                           ;   in Loop: Header=BB186_1032 Depth=2
	s_or_b32 exec_lo, exec_lo, s22
	v_cmp_lt_u32_e64 s22, v72, v134
	s_and_saveexec_b32 s23, s22
	s_cbranch_execnz .LBB186_1195
.LBB186_1123:                           ;   in Loop: Header=BB186_1032 Depth=2
	s_or_b32 exec_lo, exec_lo, s23
	v_cmp_lt_u32_e64 s23, v73, v134
	s_and_saveexec_b32 s24, s23
	s_cbranch_execnz .LBB186_1196
.LBB186_1124:                           ;   in Loop: Header=BB186_1032 Depth=2
	s_or_b32 exec_lo, exec_lo, s24
	v_cmp_lt_u32_e64 s24, v74, v134
	s_and_saveexec_b32 s25, s24
	s_cbranch_execnz .LBB186_1197
.LBB186_1125:                           ;   in Loop: Header=BB186_1032 Depth=2
	s_or_b32 exec_lo, exec_lo, s25
	v_cmp_lt_u32_e64 s25, v75, v134
	s_and_saveexec_b32 s26, s25
	s_cbranch_execnz .LBB186_1198
.LBB186_1126:                           ;   in Loop: Header=BB186_1032 Depth=2
	s_or_b32 exec_lo, exec_lo, s26
	v_cmp_lt_u32_e64 s26, v76, v134
	s_and_saveexec_b32 s27, s26
	s_cbranch_execnz .LBB186_1199
.LBB186_1127:                           ;   in Loop: Header=BB186_1032 Depth=2
	s_or_b32 exec_lo, exec_lo, s27
	v_cmp_lt_u32_e64 s27, v77, v134
	s_and_saveexec_b32 s28, s27
	s_cbranch_execnz .LBB186_1200
.LBB186_1128:                           ;   in Loop: Header=BB186_1032 Depth=2
	s_or_b32 exec_lo, exec_lo, s28
	v_cmp_lt_u32_e64 s28, v78, v134
	s_and_saveexec_b32 s29, s28
	s_cbranch_execnz .LBB186_1201
.LBB186_1129:                           ;   in Loop: Header=BB186_1032 Depth=2
	s_or_b32 exec_lo, exec_lo, s29
	v_cmp_lt_u32_e64 s29, v79, v134
	s_and_saveexec_b32 s30, s29
	s_cbranch_execnz .LBB186_1202
.LBB186_1130:                           ;   in Loop: Header=BB186_1032 Depth=2
	s_or_b32 exec_lo, exec_lo, s30
	v_cmp_lt_u32_e64 s30, v80, v134
	s_and_saveexec_b32 s31, s30
	s_cbranch_execnz .LBB186_1203
.LBB186_1131:                           ;   in Loop: Header=BB186_1032 Depth=2
	s_or_b32 exec_lo, exec_lo, s31
	v_cmp_lt_u32_e64 s31, v81, v134
	s_and_saveexec_b32 s33, s31
	s_cbranch_execnz .LBB186_1204
.LBB186_1132:                           ;   in Loop: Header=BB186_1032 Depth=2
	s_or_b32 exec_lo, exec_lo, s33
	v_cmp_lt_u32_e64 s33, v82, v134
	s_and_saveexec_b32 s60, s33
	s_cbranch_execz .LBB186_1134
.LBB186_1133:                           ;   in Loop: Header=BB186_1032 Depth=2
	ds_load_u8 v62, v2 offset:4608
	s_wait_dscnt 0x0
	v_and_b32_e32 v63, 0xff, v62
	s_delay_alu instid0(VALU_DEP_1) | instskip(NEXT) | instid1(VALU_DEP_1)
	v_lshrrev_b32_e32 v63, s49, v63
	v_and_b32_e32 v63, s48, v63
	s_delay_alu instid0(VALU_DEP_1)
	v_lshlrev_b32_e32 v63, 2, v63
	ds_load_b32 v63, v63
	s_wait_dscnt 0x0
	v_add_nc_u32_e32 v63, v63, v82
	global_store_b8 v63, v62, s[40:41]
.LBB186_1134:                           ;   in Loop: Header=BB186_1032 Depth=2
	s_wait_xcnt 0x0
	s_or_b32 exec_lo, exec_lo, s60
	v_lshl_add_u64 v[62:63], s[34:35], 3, v[24:25]
	v_cmp_lt_u32_e64 s34, v97, v134
	s_and_saveexec_b32 s60, s34
	s_delay_alu instid0(SALU_CYCLE_1)
	s_xor_b32 s34, exec_lo, s60
	s_cbranch_execnz .LBB186_1205
; %bb.1135:                             ;   in Loop: Header=BB186_1032 Depth=2
	s_or_b32 exec_lo, exec_lo, s34
	s_delay_alu instid0(SALU_CYCLE_1)
	s_mov_b32 s60, exec_lo
	v_cmpx_lt_u32_e64 v98, v134
	s_cbranch_execnz .LBB186_1206
.LBB186_1136:                           ;   in Loop: Header=BB186_1032 Depth=2
	s_or_b32 exec_lo, exec_lo, s60
	s_delay_alu instid0(SALU_CYCLE_1)
	s_mov_b32 s60, exec_lo
	v_cmpx_lt_u32_e64 v99, v134
	s_cbranch_execnz .LBB186_1207
.LBB186_1137:                           ;   in Loop: Header=BB186_1032 Depth=2
	s_or_b32 exec_lo, exec_lo, s60
	s_delay_alu instid0(SALU_CYCLE_1)
	s_mov_b32 s60, exec_lo
	v_cmpx_lt_u32_e64 v100, v134
	s_cbranch_execnz .LBB186_1208
.LBB186_1138:                           ;   in Loop: Header=BB186_1032 Depth=2
	s_or_b32 exec_lo, exec_lo, s60
	s_delay_alu instid0(SALU_CYCLE_1)
	s_mov_b32 s60, exec_lo
	v_cmpx_lt_u32_e64 v101, v134
	s_cbranch_execnz .LBB186_1209
.LBB186_1139:                           ;   in Loop: Header=BB186_1032 Depth=2
	s_or_b32 exec_lo, exec_lo, s60
	s_delay_alu instid0(SALU_CYCLE_1)
	s_mov_b32 s60, exec_lo
	v_cmpx_lt_u32_e64 v102, v134
	s_cbranch_execnz .LBB186_1210
.LBB186_1140:                           ;   in Loop: Header=BB186_1032 Depth=2
	s_or_b32 exec_lo, exec_lo, s60
	s_delay_alu instid0(SALU_CYCLE_1)
	s_mov_b32 s60, exec_lo
	v_cmpx_lt_u32_e64 v103, v134
	s_cbranch_execnz .LBB186_1211
.LBB186_1141:                           ;   in Loop: Header=BB186_1032 Depth=2
	s_or_b32 exec_lo, exec_lo, s60
	s_delay_alu instid0(SALU_CYCLE_1)
	s_mov_b32 s60, exec_lo
	v_cmpx_lt_u32_e64 v104, v134
	s_cbranch_execnz .LBB186_1212
.LBB186_1142:                           ;   in Loop: Header=BB186_1032 Depth=2
	s_or_b32 exec_lo, exec_lo, s60
	s_delay_alu instid0(SALU_CYCLE_1)
	s_mov_b32 s60, exec_lo
	v_cmpx_lt_u32_e64 v105, v134
	s_cbranch_execnz .LBB186_1213
.LBB186_1143:                           ;   in Loop: Header=BB186_1032 Depth=2
	s_or_b32 exec_lo, exec_lo, s60
	s_delay_alu instid0(SALU_CYCLE_1)
	s_mov_b32 s60, exec_lo
	v_cmpx_lt_u32_e64 v106, v134
	s_cbranch_execnz .LBB186_1214
.LBB186_1144:                           ;   in Loop: Header=BB186_1032 Depth=2
	s_or_b32 exec_lo, exec_lo, s60
	s_delay_alu instid0(SALU_CYCLE_1)
	s_mov_b32 s60, exec_lo
	v_cmpx_lt_u32_e64 v107, v134
	s_cbranch_execnz .LBB186_1215
.LBB186_1145:                           ;   in Loop: Header=BB186_1032 Depth=2
	s_or_b32 exec_lo, exec_lo, s60
	s_delay_alu instid0(SALU_CYCLE_1)
	s_mov_b32 s60, exec_lo
	v_cmpx_lt_u32_e64 v108, v134
	s_cbranch_execnz .LBB186_1216
.LBB186_1146:                           ;   in Loop: Header=BB186_1032 Depth=2
	s_or_b32 exec_lo, exec_lo, s60
	s_delay_alu instid0(SALU_CYCLE_1)
	s_mov_b32 s60, exec_lo
	v_cmpx_lt_u32_e64 v109, v134
	s_cbranch_execnz .LBB186_1217
.LBB186_1147:                           ;   in Loop: Header=BB186_1032 Depth=2
	s_or_b32 exec_lo, exec_lo, s60
	s_delay_alu instid0(SALU_CYCLE_1)
	s_mov_b32 s60, exec_lo
	v_cmpx_lt_u32_e64 v110, v134
	s_cbranch_execnz .LBB186_1218
.LBB186_1148:                           ;   in Loop: Header=BB186_1032 Depth=2
	s_or_b32 exec_lo, exec_lo, s60
	s_delay_alu instid0(SALU_CYCLE_1)
	s_mov_b32 s60, exec_lo
	v_cmpx_lt_u32_e64 v111, v134
	s_cbranch_execnz .LBB186_1219
.LBB186_1149:                           ;   in Loop: Header=BB186_1032 Depth=2
	s_or_b32 exec_lo, exec_lo, s60
	s_delay_alu instid0(SALU_CYCLE_1)
	s_mov_b32 s60, exec_lo
	v_cmpx_lt_u32_e64 v112, v134
	s_cbranch_execnz .LBB186_1220
.LBB186_1150:                           ;   in Loop: Header=BB186_1032 Depth=2
	s_or_b32 exec_lo, exec_lo, s60
	s_delay_alu instid0(SALU_CYCLE_1)
	s_mov_b32 s60, exec_lo
	v_cmpx_lt_u32_e64 v113, v134
	s_cbranch_execnz .LBB186_1221
.LBB186_1151:                           ;   in Loop: Header=BB186_1032 Depth=2
	s_or_b32 exec_lo, exec_lo, s60
	s_and_saveexec_b32 s34, vcc_lo
	s_cbranch_execnz .LBB186_1222
.LBB186_1152:                           ;   in Loop: Header=BB186_1032 Depth=2
	s_or_b32 exec_lo, exec_lo, s34
	s_and_saveexec_b32 s34, s17
	s_cbranch_execnz .LBB186_1223
.LBB186_1153:                           ;   in Loop: Header=BB186_1032 Depth=2
	s_or_b32 exec_lo, exec_lo, s34
	s_and_saveexec_b32 s34, s18
	s_cbranch_execnz .LBB186_1224
.LBB186_1154:                           ;   in Loop: Header=BB186_1032 Depth=2
	s_or_b32 exec_lo, exec_lo, s34
	s_and_saveexec_b32 s34, s19
	s_cbranch_execnz .LBB186_1225
.LBB186_1155:                           ;   in Loop: Header=BB186_1032 Depth=2
	s_or_b32 exec_lo, exec_lo, s34
	s_and_saveexec_b32 s34, s20
	s_cbranch_execnz .LBB186_1226
.LBB186_1156:                           ;   in Loop: Header=BB186_1032 Depth=2
	s_or_b32 exec_lo, exec_lo, s34
	s_and_saveexec_b32 s34, s21
	s_cbranch_execnz .LBB186_1227
.LBB186_1157:                           ;   in Loop: Header=BB186_1032 Depth=2
	s_or_b32 exec_lo, exec_lo, s34
	s_and_saveexec_b32 s34, s22
	s_cbranch_execnz .LBB186_1228
.LBB186_1158:                           ;   in Loop: Header=BB186_1032 Depth=2
	s_or_b32 exec_lo, exec_lo, s34
	s_and_saveexec_b32 s34, s23
	s_cbranch_execnz .LBB186_1229
.LBB186_1159:                           ;   in Loop: Header=BB186_1032 Depth=2
	s_or_b32 exec_lo, exec_lo, s34
	s_and_saveexec_b32 s34, s24
	s_cbranch_execnz .LBB186_1230
.LBB186_1160:                           ;   in Loop: Header=BB186_1032 Depth=2
	s_or_b32 exec_lo, exec_lo, s34
	s_and_saveexec_b32 s34, s25
	s_cbranch_execnz .LBB186_1231
.LBB186_1161:                           ;   in Loop: Header=BB186_1032 Depth=2
	s_or_b32 exec_lo, exec_lo, s34
	s_and_saveexec_b32 s34, s26
	s_cbranch_execnz .LBB186_1232
.LBB186_1162:                           ;   in Loop: Header=BB186_1032 Depth=2
	s_or_b32 exec_lo, exec_lo, s34
	s_and_saveexec_b32 s34, s27
	s_cbranch_execnz .LBB186_1233
.LBB186_1163:                           ;   in Loop: Header=BB186_1032 Depth=2
	s_or_b32 exec_lo, exec_lo, s34
	s_and_saveexec_b32 s34, s28
	s_cbranch_execnz .LBB186_1234
.LBB186_1164:                           ;   in Loop: Header=BB186_1032 Depth=2
	s_or_b32 exec_lo, exec_lo, s34
	s_and_saveexec_b32 s34, s29
	s_cbranch_execnz .LBB186_1235
.LBB186_1165:                           ;   in Loop: Header=BB186_1032 Depth=2
	s_or_b32 exec_lo, exec_lo, s34
	s_and_saveexec_b32 s34, s30
	s_cbranch_execnz .LBB186_1236
.LBB186_1166:                           ;   in Loop: Header=BB186_1032 Depth=2
	s_or_b32 exec_lo, exec_lo, s34
	s_and_saveexec_b32 s34, s31
	s_cbranch_execnz .LBB186_1237
.LBB186_1167:                           ;   in Loop: Header=BB186_1032 Depth=2
	s_or_b32 exec_lo, exec_lo, s34
	s_and_saveexec_b32 s34, s33
	s_cbranch_execz .LBB186_1169
.LBB186_1168:                           ;   in Loop: Header=BB186_1032 Depth=2
	ds_load_u8 v62, v2 offset:4608
	s_wait_dscnt 0x0
	v_lshrrev_b32_e32 v62, s49, v62
	s_delay_alu instid0(VALU_DEP_1)
	v_and_b32_e32 v115, s48, v62
.LBB186_1169:                           ;   in Loop: Header=BB186_1032 Depth=2
	s_or_b32 exec_lo, exec_lo, s34
	v_dual_lshlrev_b32 v62, 3, v174 :: v_dual_lshlrev_b32 v63, 3, v171
	s_wait_loadcnt 0x0
	s_wait_storecnt 0x0
	s_barrier_signal -1
	s_barrier_wait -1
	ds_store_b64 v62, v[60:61] offset:512
	ds_store_b64 v63, v[58:59] offset:512
	v_dual_lshlrev_b32 v62, 3, v168 :: v_dual_lshlrev_b32 v63, 3, v165
	v_dual_lshlrev_b32 v134, 3, v162 :: v_dual_lshlrev_b32 v135, 3, v161
	v_lshlrev_b32_e32 v136, 3, v160
	ds_store_b64 v62, v[56:57] offset:512
	ds_store_b64 v63, v[54:55] offset:512
	ds_store_b64 v134, v[52:53] offset:512
	ds_store_b64 v135, v[50:51] offset:512
	ds_store_b64 v136, v[48:49] offset:512
	v_dual_lshlrev_b32 v62, 3, v159 :: v_dual_lshlrev_b32 v63, 3, v158
	v_dual_lshlrev_b32 v134, 3, v157 :: v_dual_lshlrev_b32 v135, 3, v156
	v_lshlrev_b32_e32 v136, 3, v155
	ds_store_b64 v62, v[46:47] offset:512
	ds_store_b64 v63, v[44:45] offset:512
	ds_store_b64 v134, v[42:43] offset:512
	;; [unrolled: 8-line block ×3, first 2 shown]
	ds_store_b64 v65, v[30:31] offset:512
	ds_store_b64 v64, v[28:29] offset:512
	v_add_nc_u32_e32 v62, v2, v95
	s_wait_dscnt 0x0
	s_barrier_signal -1
	s_barrier_wait -1
	s_and_saveexec_b32 s34, vcc_lo
	s_cbranch_execnz .LBB186_1238
; %bb.1170:                             ;   in Loop: Header=BB186_1032 Depth=2
	s_or_b32 exec_lo, exec_lo, s34
	s_and_saveexec_b32 s34, s17
	s_cbranch_execnz .LBB186_1239
.LBB186_1171:                           ;   in Loop: Header=BB186_1032 Depth=2
	s_or_b32 exec_lo, exec_lo, s34
	s_and_saveexec_b32 s17, s18
	s_cbranch_execnz .LBB186_1240
.LBB186_1172:                           ;   in Loop: Header=BB186_1032 Depth=2
	s_or_b32 exec_lo, exec_lo, s17
	s_and_saveexec_b32 s17, s19
	s_cbranch_execnz .LBB186_1241
.LBB186_1173:                           ;   in Loop: Header=BB186_1032 Depth=2
	s_or_b32 exec_lo, exec_lo, s17
	s_and_saveexec_b32 s17, s20
	s_cbranch_execnz .LBB186_1242
.LBB186_1174:                           ;   in Loop: Header=BB186_1032 Depth=2
	s_or_b32 exec_lo, exec_lo, s17
	s_and_saveexec_b32 s17, s21
	s_cbranch_execnz .LBB186_1243
.LBB186_1175:                           ;   in Loop: Header=BB186_1032 Depth=2
	s_or_b32 exec_lo, exec_lo, s17
	s_and_saveexec_b32 s17, s22
	s_cbranch_execnz .LBB186_1244
.LBB186_1176:                           ;   in Loop: Header=BB186_1032 Depth=2
	s_or_b32 exec_lo, exec_lo, s17
	s_and_saveexec_b32 s17, s23
	s_cbranch_execnz .LBB186_1245
.LBB186_1177:                           ;   in Loop: Header=BB186_1032 Depth=2
	s_or_b32 exec_lo, exec_lo, s17
	s_and_saveexec_b32 s17, s24
	s_cbranch_execnz .LBB186_1246
.LBB186_1178:                           ;   in Loop: Header=BB186_1032 Depth=2
	s_or_b32 exec_lo, exec_lo, s17
	s_and_saveexec_b32 s17, s25
	s_cbranch_execnz .LBB186_1247
.LBB186_1179:                           ;   in Loop: Header=BB186_1032 Depth=2
	s_or_b32 exec_lo, exec_lo, s17
	s_and_saveexec_b32 s17, s26
	s_cbranch_execnz .LBB186_1248
.LBB186_1180:                           ;   in Loop: Header=BB186_1032 Depth=2
	s_or_b32 exec_lo, exec_lo, s17
	s_and_saveexec_b32 s17, s27
	s_cbranch_execnz .LBB186_1249
.LBB186_1181:                           ;   in Loop: Header=BB186_1032 Depth=2
	s_or_b32 exec_lo, exec_lo, s17
	s_and_saveexec_b32 s17, s28
	s_cbranch_execnz .LBB186_1250
.LBB186_1182:                           ;   in Loop: Header=BB186_1032 Depth=2
	s_or_b32 exec_lo, exec_lo, s17
	s_and_saveexec_b32 s17, s29
	s_cbranch_execnz .LBB186_1251
.LBB186_1183:                           ;   in Loop: Header=BB186_1032 Depth=2
	s_or_b32 exec_lo, exec_lo, s17
	s_and_saveexec_b32 s17, s30
	s_cbranch_execnz .LBB186_1252
.LBB186_1184:                           ;   in Loop: Header=BB186_1032 Depth=2
	s_or_b32 exec_lo, exec_lo, s17
	s_and_saveexec_b32 s17, s31
	s_cbranch_execnz .LBB186_1253
.LBB186_1185:                           ;   in Loop: Header=BB186_1032 Depth=2
	s_or_b32 exec_lo, exec_lo, s17
	s_and_saveexec_b32 s17, s33
	s_cbranch_execz .LBB186_1187
.LBB186_1186:                           ;   in Loop: Header=BB186_1032 Depth=2
	v_lshlrev_b32_e32 v63, 2, v115
	ds_load_b32 v64, v63
	ds_load_b64 v[62:63], v62 offset:33280
	s_wait_dscnt 0x1
	v_add_nc_u32_e32 v64, v64, v82
	s_wait_dscnt 0x0
	global_store_b64 v64, v[62:63], s[46:47] scale_offset
.LBB186_1187:                           ;   in Loop: Header=BB186_1032 Depth=2
	s_wait_xcnt 0x0
	s_or_b32 exec_lo, exec_lo, s17
	s_wait_storecnt 0x0
	s_barrier_signal -1
	s_barrier_wait -1
	s_and_saveexec_b32 s17, s0
	s_cbranch_execz .LBB186_1031
; %bb.1188:                             ;   in Loop: Header=BB186_1032 Depth=2
	ds_load_b32 v62, v66
	s_wait_dscnt 0x0
	v_add3_u32 v62, v132, v133, v62
	ds_store_b32 v66, v62
	s_branch .LBB186_1031
.LBB186_1189:                           ;   in Loop: Header=BB186_1032 Depth=2
	ds_load_u8 v62, v2 offset:512
	s_wait_dscnt 0x0
	v_and_b32_e32 v63, 0xff, v62
	s_delay_alu instid0(VALU_DEP_1) | instskip(NEXT) | instid1(VALU_DEP_1)
	v_lshrrev_b32_e32 v63, s49, v63
	v_and_b32_e32 v63, s48, v63
	s_delay_alu instid0(VALU_DEP_1)
	v_lshlrev_b32_e32 v63, 2, v63
	ds_load_b32 v63, v63
	s_wait_dscnt 0x0
	v_add_nc_u32_e32 v63, v63, v2
	global_store_b8 v63, v62, s[40:41]
	s_wait_xcnt 0x0
	s_or_b32 exec_lo, exec_lo, s17
	v_cmp_lt_u32_e64 s17, v67, v134
	s_and_saveexec_b32 s18, s17
	s_cbranch_execz .LBB186_1118
.LBB186_1190:                           ;   in Loop: Header=BB186_1032 Depth=2
	ds_load_u8 v62, v2 offset:768
	s_wait_dscnt 0x0
	v_and_b32_e32 v63, 0xff, v62
	s_delay_alu instid0(VALU_DEP_1) | instskip(NEXT) | instid1(VALU_DEP_1)
	v_lshrrev_b32_e32 v63, s49, v63
	v_and_b32_e32 v63, s48, v63
	s_delay_alu instid0(VALU_DEP_1)
	v_lshlrev_b32_e32 v63, 2, v63
	ds_load_b32 v63, v63
	s_wait_dscnt 0x0
	v_add_nc_u32_e32 v63, v63, v67
	global_store_b8 v63, v62, s[40:41]
	s_wait_xcnt 0x0
	s_or_b32 exec_lo, exec_lo, s18
	v_cmp_lt_u32_e64 s18, v68, v134
	s_and_saveexec_b32 s19, s18
	s_cbranch_execz .LBB186_1119
.LBB186_1191:                           ;   in Loop: Header=BB186_1032 Depth=2
	ds_load_u8 v62, v2 offset:1024
	s_wait_dscnt 0x0
	v_and_b32_e32 v63, 0xff, v62
	s_delay_alu instid0(VALU_DEP_1) | instskip(NEXT) | instid1(VALU_DEP_1)
	v_lshrrev_b32_e32 v63, s49, v63
	v_and_b32_e32 v63, s48, v63
	s_delay_alu instid0(VALU_DEP_1)
	v_lshlrev_b32_e32 v63, 2, v63
	ds_load_b32 v63, v63
	s_wait_dscnt 0x0
	v_add_nc_u32_e32 v63, v63, v68
	global_store_b8 v63, v62, s[40:41]
	s_wait_xcnt 0x0
	s_or_b32 exec_lo, exec_lo, s19
	v_cmp_lt_u32_e64 s19, v69, v134
	s_and_saveexec_b32 s20, s19
	s_cbranch_execz .LBB186_1120
.LBB186_1192:                           ;   in Loop: Header=BB186_1032 Depth=2
	ds_load_u8 v62, v2 offset:1280
	s_wait_dscnt 0x0
	v_and_b32_e32 v63, 0xff, v62
	s_delay_alu instid0(VALU_DEP_1) | instskip(NEXT) | instid1(VALU_DEP_1)
	v_lshrrev_b32_e32 v63, s49, v63
	v_and_b32_e32 v63, s48, v63
	s_delay_alu instid0(VALU_DEP_1)
	v_lshlrev_b32_e32 v63, 2, v63
	ds_load_b32 v63, v63
	s_wait_dscnt 0x0
	v_add_nc_u32_e32 v63, v63, v69
	global_store_b8 v63, v62, s[40:41]
	s_wait_xcnt 0x0
	s_or_b32 exec_lo, exec_lo, s20
	v_cmp_lt_u32_e64 s20, v70, v134
	s_and_saveexec_b32 s21, s20
	s_cbranch_execz .LBB186_1121
.LBB186_1193:                           ;   in Loop: Header=BB186_1032 Depth=2
	ds_load_u8 v62, v2 offset:1536
	s_wait_dscnt 0x0
	v_and_b32_e32 v63, 0xff, v62
	s_delay_alu instid0(VALU_DEP_1) | instskip(NEXT) | instid1(VALU_DEP_1)
	v_lshrrev_b32_e32 v63, s49, v63
	v_and_b32_e32 v63, s48, v63
	s_delay_alu instid0(VALU_DEP_1)
	v_lshlrev_b32_e32 v63, 2, v63
	ds_load_b32 v63, v63
	s_wait_dscnt 0x0
	v_add_nc_u32_e32 v63, v63, v70
	global_store_b8 v63, v62, s[40:41]
	s_wait_xcnt 0x0
	s_or_b32 exec_lo, exec_lo, s21
	v_cmp_lt_u32_e64 s21, v71, v134
	s_and_saveexec_b32 s22, s21
	s_cbranch_execz .LBB186_1122
.LBB186_1194:                           ;   in Loop: Header=BB186_1032 Depth=2
	ds_load_u8 v62, v2 offset:1792
	s_wait_dscnt 0x0
	v_and_b32_e32 v63, 0xff, v62
	s_delay_alu instid0(VALU_DEP_1) | instskip(NEXT) | instid1(VALU_DEP_1)
	v_lshrrev_b32_e32 v63, s49, v63
	v_and_b32_e32 v63, s48, v63
	s_delay_alu instid0(VALU_DEP_1)
	v_lshlrev_b32_e32 v63, 2, v63
	ds_load_b32 v63, v63
	s_wait_dscnt 0x0
	v_add_nc_u32_e32 v63, v63, v71
	global_store_b8 v63, v62, s[40:41]
	s_wait_xcnt 0x0
	s_or_b32 exec_lo, exec_lo, s22
	v_cmp_lt_u32_e64 s22, v72, v134
	s_and_saveexec_b32 s23, s22
	s_cbranch_execz .LBB186_1123
.LBB186_1195:                           ;   in Loop: Header=BB186_1032 Depth=2
	ds_load_u8 v62, v2 offset:2048
	s_wait_dscnt 0x0
	v_and_b32_e32 v63, 0xff, v62
	s_delay_alu instid0(VALU_DEP_1) | instskip(NEXT) | instid1(VALU_DEP_1)
	v_lshrrev_b32_e32 v63, s49, v63
	v_and_b32_e32 v63, s48, v63
	s_delay_alu instid0(VALU_DEP_1)
	v_lshlrev_b32_e32 v63, 2, v63
	ds_load_b32 v63, v63
	s_wait_dscnt 0x0
	v_add_nc_u32_e32 v63, v63, v72
	global_store_b8 v63, v62, s[40:41]
	s_wait_xcnt 0x0
	s_or_b32 exec_lo, exec_lo, s23
	v_cmp_lt_u32_e64 s23, v73, v134
	s_and_saveexec_b32 s24, s23
	s_cbranch_execz .LBB186_1124
.LBB186_1196:                           ;   in Loop: Header=BB186_1032 Depth=2
	ds_load_u8 v62, v2 offset:2304
	s_wait_dscnt 0x0
	v_and_b32_e32 v63, 0xff, v62
	s_delay_alu instid0(VALU_DEP_1) | instskip(NEXT) | instid1(VALU_DEP_1)
	v_lshrrev_b32_e32 v63, s49, v63
	v_and_b32_e32 v63, s48, v63
	s_delay_alu instid0(VALU_DEP_1)
	v_lshlrev_b32_e32 v63, 2, v63
	ds_load_b32 v63, v63
	s_wait_dscnt 0x0
	v_add_nc_u32_e32 v63, v63, v73
	global_store_b8 v63, v62, s[40:41]
	s_wait_xcnt 0x0
	s_or_b32 exec_lo, exec_lo, s24
	v_cmp_lt_u32_e64 s24, v74, v134
	s_and_saveexec_b32 s25, s24
	s_cbranch_execz .LBB186_1125
.LBB186_1197:                           ;   in Loop: Header=BB186_1032 Depth=2
	ds_load_u8 v62, v2 offset:2560
	s_wait_dscnt 0x0
	v_and_b32_e32 v63, 0xff, v62
	s_delay_alu instid0(VALU_DEP_1) | instskip(NEXT) | instid1(VALU_DEP_1)
	v_lshrrev_b32_e32 v63, s49, v63
	v_and_b32_e32 v63, s48, v63
	s_delay_alu instid0(VALU_DEP_1)
	v_lshlrev_b32_e32 v63, 2, v63
	ds_load_b32 v63, v63
	s_wait_dscnt 0x0
	v_add_nc_u32_e32 v63, v63, v74
	global_store_b8 v63, v62, s[40:41]
	s_wait_xcnt 0x0
	s_or_b32 exec_lo, exec_lo, s25
	v_cmp_lt_u32_e64 s25, v75, v134
	s_and_saveexec_b32 s26, s25
	s_cbranch_execz .LBB186_1126
.LBB186_1198:                           ;   in Loop: Header=BB186_1032 Depth=2
	ds_load_u8 v62, v2 offset:2816
	s_wait_dscnt 0x0
	v_and_b32_e32 v63, 0xff, v62
	s_delay_alu instid0(VALU_DEP_1) | instskip(NEXT) | instid1(VALU_DEP_1)
	v_lshrrev_b32_e32 v63, s49, v63
	v_and_b32_e32 v63, s48, v63
	s_delay_alu instid0(VALU_DEP_1)
	v_lshlrev_b32_e32 v63, 2, v63
	ds_load_b32 v63, v63
	s_wait_dscnt 0x0
	v_add_nc_u32_e32 v63, v63, v75
	global_store_b8 v63, v62, s[40:41]
	s_wait_xcnt 0x0
	s_or_b32 exec_lo, exec_lo, s26
	v_cmp_lt_u32_e64 s26, v76, v134
	s_and_saveexec_b32 s27, s26
	s_cbranch_execz .LBB186_1127
.LBB186_1199:                           ;   in Loop: Header=BB186_1032 Depth=2
	ds_load_u8 v62, v2 offset:3072
	s_wait_dscnt 0x0
	v_and_b32_e32 v63, 0xff, v62
	s_delay_alu instid0(VALU_DEP_1) | instskip(NEXT) | instid1(VALU_DEP_1)
	v_lshrrev_b32_e32 v63, s49, v63
	v_and_b32_e32 v63, s48, v63
	s_delay_alu instid0(VALU_DEP_1)
	v_lshlrev_b32_e32 v63, 2, v63
	ds_load_b32 v63, v63
	s_wait_dscnt 0x0
	v_add_nc_u32_e32 v63, v63, v76
	global_store_b8 v63, v62, s[40:41]
	s_wait_xcnt 0x0
	s_or_b32 exec_lo, exec_lo, s27
	v_cmp_lt_u32_e64 s27, v77, v134
	s_and_saveexec_b32 s28, s27
	s_cbranch_execz .LBB186_1128
.LBB186_1200:                           ;   in Loop: Header=BB186_1032 Depth=2
	ds_load_u8 v62, v2 offset:3328
	s_wait_dscnt 0x0
	v_and_b32_e32 v63, 0xff, v62
	s_delay_alu instid0(VALU_DEP_1) | instskip(NEXT) | instid1(VALU_DEP_1)
	v_lshrrev_b32_e32 v63, s49, v63
	v_and_b32_e32 v63, s48, v63
	s_delay_alu instid0(VALU_DEP_1)
	v_lshlrev_b32_e32 v63, 2, v63
	ds_load_b32 v63, v63
	s_wait_dscnt 0x0
	v_add_nc_u32_e32 v63, v63, v77
	global_store_b8 v63, v62, s[40:41]
	s_wait_xcnt 0x0
	s_or_b32 exec_lo, exec_lo, s28
	v_cmp_lt_u32_e64 s28, v78, v134
	s_and_saveexec_b32 s29, s28
	s_cbranch_execz .LBB186_1129
.LBB186_1201:                           ;   in Loop: Header=BB186_1032 Depth=2
	ds_load_u8 v62, v2 offset:3584
	s_wait_dscnt 0x0
	v_and_b32_e32 v63, 0xff, v62
	s_delay_alu instid0(VALU_DEP_1) | instskip(NEXT) | instid1(VALU_DEP_1)
	v_lshrrev_b32_e32 v63, s49, v63
	v_and_b32_e32 v63, s48, v63
	s_delay_alu instid0(VALU_DEP_1)
	v_lshlrev_b32_e32 v63, 2, v63
	ds_load_b32 v63, v63
	s_wait_dscnt 0x0
	v_add_nc_u32_e32 v63, v63, v78
	global_store_b8 v63, v62, s[40:41]
	s_wait_xcnt 0x0
	s_or_b32 exec_lo, exec_lo, s29
	v_cmp_lt_u32_e64 s29, v79, v134
	s_and_saveexec_b32 s30, s29
	s_cbranch_execz .LBB186_1130
.LBB186_1202:                           ;   in Loop: Header=BB186_1032 Depth=2
	ds_load_u8 v62, v2 offset:3840
	s_wait_dscnt 0x0
	v_and_b32_e32 v63, 0xff, v62
	s_delay_alu instid0(VALU_DEP_1) | instskip(NEXT) | instid1(VALU_DEP_1)
	v_lshrrev_b32_e32 v63, s49, v63
	v_and_b32_e32 v63, s48, v63
	s_delay_alu instid0(VALU_DEP_1)
	v_lshlrev_b32_e32 v63, 2, v63
	ds_load_b32 v63, v63
	s_wait_dscnt 0x0
	v_add_nc_u32_e32 v63, v63, v79
	global_store_b8 v63, v62, s[40:41]
	s_wait_xcnt 0x0
	s_or_b32 exec_lo, exec_lo, s30
	v_cmp_lt_u32_e64 s30, v80, v134
	s_and_saveexec_b32 s31, s30
	s_cbranch_execz .LBB186_1131
.LBB186_1203:                           ;   in Loop: Header=BB186_1032 Depth=2
	ds_load_u8 v62, v2 offset:4096
	s_wait_dscnt 0x0
	v_and_b32_e32 v63, 0xff, v62
	s_delay_alu instid0(VALU_DEP_1) | instskip(NEXT) | instid1(VALU_DEP_1)
	v_lshrrev_b32_e32 v63, s49, v63
	v_and_b32_e32 v63, s48, v63
	s_delay_alu instid0(VALU_DEP_1)
	v_lshlrev_b32_e32 v63, 2, v63
	ds_load_b32 v63, v63
	s_wait_dscnt 0x0
	v_add_nc_u32_e32 v63, v63, v80
	global_store_b8 v63, v62, s[40:41]
	s_wait_xcnt 0x0
	s_or_b32 exec_lo, exec_lo, s31
	v_cmp_lt_u32_e64 s31, v81, v134
	s_and_saveexec_b32 s33, s31
	s_cbranch_execz .LBB186_1132
.LBB186_1204:                           ;   in Loop: Header=BB186_1032 Depth=2
	ds_load_u8 v62, v2 offset:4352
	s_wait_dscnt 0x0
	v_and_b32_e32 v63, 0xff, v62
	s_delay_alu instid0(VALU_DEP_1) | instskip(NEXT) | instid1(VALU_DEP_1)
	v_lshrrev_b32_e32 v63, s49, v63
	v_and_b32_e32 v63, s48, v63
	s_delay_alu instid0(VALU_DEP_1)
	v_lshlrev_b32_e32 v63, 2, v63
	ds_load_b32 v63, v63
	s_wait_dscnt 0x0
	v_add_nc_u32_e32 v63, v63, v81
	global_store_b8 v63, v62, s[40:41]
	s_wait_xcnt 0x0
	s_or_b32 exec_lo, exec_lo, s33
	v_cmp_lt_u32_e64 s33, v82, v134
	s_and_saveexec_b32 s60, s33
	s_cbranch_execnz .LBB186_1133
	s_branch .LBB186_1134
.LBB186_1205:                           ;   in Loop: Header=BB186_1032 Depth=2
	global_load_b64 v[60:61], v[62:63], off
	s_wait_xcnt 0x0
	s_or_b32 exec_lo, exec_lo, s34
	s_delay_alu instid0(SALU_CYCLE_1)
	s_mov_b32 s60, exec_lo
	v_cmpx_lt_u32_e64 v98, v134
	s_cbranch_execz .LBB186_1136
.LBB186_1206:                           ;   in Loop: Header=BB186_1032 Depth=2
	global_load_b64 v[58:59], v[62:63], off offset:256
	s_wait_xcnt 0x0
	s_or_b32 exec_lo, exec_lo, s60
	s_delay_alu instid0(SALU_CYCLE_1)
	s_mov_b32 s60, exec_lo
	v_cmpx_lt_u32_e64 v99, v134
	s_cbranch_execz .LBB186_1137
.LBB186_1207:                           ;   in Loop: Header=BB186_1032 Depth=2
	global_load_b64 v[56:57], v[62:63], off offset:512
	s_wait_xcnt 0x0
	s_or_b32 exec_lo, exec_lo, s60
	s_delay_alu instid0(SALU_CYCLE_1)
	s_mov_b32 s60, exec_lo
	v_cmpx_lt_u32_e64 v100, v134
	s_cbranch_execz .LBB186_1138
.LBB186_1208:                           ;   in Loop: Header=BB186_1032 Depth=2
	global_load_b64 v[54:55], v[62:63], off offset:768
	s_wait_xcnt 0x0
	s_or_b32 exec_lo, exec_lo, s60
	s_delay_alu instid0(SALU_CYCLE_1)
	s_mov_b32 s60, exec_lo
	v_cmpx_lt_u32_e64 v101, v134
	s_cbranch_execz .LBB186_1139
.LBB186_1209:                           ;   in Loop: Header=BB186_1032 Depth=2
	global_load_b64 v[52:53], v[62:63], off offset:1024
	s_wait_xcnt 0x0
	s_or_b32 exec_lo, exec_lo, s60
	s_delay_alu instid0(SALU_CYCLE_1)
	s_mov_b32 s60, exec_lo
	v_cmpx_lt_u32_e64 v102, v134
	s_cbranch_execz .LBB186_1140
.LBB186_1210:                           ;   in Loop: Header=BB186_1032 Depth=2
	global_load_b64 v[50:51], v[62:63], off offset:1280
	s_wait_xcnt 0x0
	s_or_b32 exec_lo, exec_lo, s60
	s_delay_alu instid0(SALU_CYCLE_1)
	s_mov_b32 s60, exec_lo
	v_cmpx_lt_u32_e64 v103, v134
	s_cbranch_execz .LBB186_1141
.LBB186_1211:                           ;   in Loop: Header=BB186_1032 Depth=2
	global_load_b64 v[48:49], v[62:63], off offset:1536
	s_wait_xcnt 0x0
	s_or_b32 exec_lo, exec_lo, s60
	s_delay_alu instid0(SALU_CYCLE_1)
	s_mov_b32 s60, exec_lo
	v_cmpx_lt_u32_e64 v104, v134
	s_cbranch_execz .LBB186_1142
.LBB186_1212:                           ;   in Loop: Header=BB186_1032 Depth=2
	global_load_b64 v[46:47], v[62:63], off offset:1792
	s_wait_xcnt 0x0
	s_or_b32 exec_lo, exec_lo, s60
	s_delay_alu instid0(SALU_CYCLE_1)
	s_mov_b32 s60, exec_lo
	v_cmpx_lt_u32_e64 v105, v134
	s_cbranch_execz .LBB186_1143
.LBB186_1213:                           ;   in Loop: Header=BB186_1032 Depth=2
	global_load_b64 v[44:45], v[62:63], off offset:2048
	s_wait_xcnt 0x0
	s_or_b32 exec_lo, exec_lo, s60
	s_delay_alu instid0(SALU_CYCLE_1)
	s_mov_b32 s60, exec_lo
	v_cmpx_lt_u32_e64 v106, v134
	s_cbranch_execz .LBB186_1144
.LBB186_1214:                           ;   in Loop: Header=BB186_1032 Depth=2
	global_load_b64 v[42:43], v[62:63], off offset:2304
	s_wait_xcnt 0x0
	s_or_b32 exec_lo, exec_lo, s60
	s_delay_alu instid0(SALU_CYCLE_1)
	s_mov_b32 s60, exec_lo
	v_cmpx_lt_u32_e64 v107, v134
	s_cbranch_execz .LBB186_1145
.LBB186_1215:                           ;   in Loop: Header=BB186_1032 Depth=2
	global_load_b64 v[40:41], v[62:63], off offset:2560
	s_wait_xcnt 0x0
	s_or_b32 exec_lo, exec_lo, s60
	s_delay_alu instid0(SALU_CYCLE_1)
	s_mov_b32 s60, exec_lo
	v_cmpx_lt_u32_e64 v108, v134
	s_cbranch_execz .LBB186_1146
.LBB186_1216:                           ;   in Loop: Header=BB186_1032 Depth=2
	global_load_b64 v[38:39], v[62:63], off offset:2816
	s_wait_xcnt 0x0
	s_or_b32 exec_lo, exec_lo, s60
	s_delay_alu instid0(SALU_CYCLE_1)
	s_mov_b32 s60, exec_lo
	v_cmpx_lt_u32_e64 v109, v134
	s_cbranch_execz .LBB186_1147
.LBB186_1217:                           ;   in Loop: Header=BB186_1032 Depth=2
	global_load_b64 v[36:37], v[62:63], off offset:3072
	s_wait_xcnt 0x0
	s_or_b32 exec_lo, exec_lo, s60
	s_delay_alu instid0(SALU_CYCLE_1)
	s_mov_b32 s60, exec_lo
	v_cmpx_lt_u32_e64 v110, v134
	s_cbranch_execz .LBB186_1148
.LBB186_1218:                           ;   in Loop: Header=BB186_1032 Depth=2
	global_load_b64 v[34:35], v[62:63], off offset:3328
	s_wait_xcnt 0x0
	s_or_b32 exec_lo, exec_lo, s60
	s_delay_alu instid0(SALU_CYCLE_1)
	s_mov_b32 s60, exec_lo
	v_cmpx_lt_u32_e64 v111, v134
	s_cbranch_execz .LBB186_1149
.LBB186_1219:                           ;   in Loop: Header=BB186_1032 Depth=2
	global_load_b64 v[32:33], v[62:63], off offset:3584
	s_wait_xcnt 0x0
	s_or_b32 exec_lo, exec_lo, s60
	s_delay_alu instid0(SALU_CYCLE_1)
	s_mov_b32 s60, exec_lo
	v_cmpx_lt_u32_e64 v112, v134
	s_cbranch_execz .LBB186_1150
.LBB186_1220:                           ;   in Loop: Header=BB186_1032 Depth=2
	global_load_b64 v[30:31], v[62:63], off offset:3840
	s_wait_xcnt 0x0
	s_or_b32 exec_lo, exec_lo, s60
	s_delay_alu instid0(SALU_CYCLE_1)
	s_mov_b32 s60, exec_lo
	v_cmpx_lt_u32_e64 v113, v134
	s_cbranch_execz .LBB186_1151
.LBB186_1221:                           ;   in Loop: Header=BB186_1032 Depth=2
	global_load_b64 v[28:29], v[62:63], off offset:4096
	s_wait_xcnt 0x0
	s_or_b32 exec_lo, exec_lo, s60
	s_and_saveexec_b32 s34, vcc_lo
	s_cbranch_execz .LBB186_1152
.LBB186_1222:                           ;   in Loop: Header=BB186_1032 Depth=2
	ds_load_u8 v62, v2 offset:512
	s_wait_dscnt 0x0
	v_lshrrev_b32_e32 v62, s49, v62
	s_delay_alu instid0(VALU_DEP_1)
	v_and_b32_e32 v131, s48, v62
	s_or_b32 exec_lo, exec_lo, s34
	s_and_saveexec_b32 s34, s17
	s_cbranch_execz .LBB186_1153
.LBB186_1223:                           ;   in Loop: Header=BB186_1032 Depth=2
	ds_load_u8 v62, v2 offset:768
	s_wait_dscnt 0x0
	v_lshrrev_b32_e32 v62, s49, v62
	s_delay_alu instid0(VALU_DEP_1)
	v_and_b32_e32 v130, s48, v62
	s_or_b32 exec_lo, exec_lo, s34
	s_and_saveexec_b32 s34, s18
	s_cbranch_execz .LBB186_1154
.LBB186_1224:                           ;   in Loop: Header=BB186_1032 Depth=2
	ds_load_u8 v62, v2 offset:1024
	s_wait_dscnt 0x0
	v_lshrrev_b32_e32 v62, s49, v62
	s_delay_alu instid0(VALU_DEP_1)
	v_and_b32_e32 v129, s48, v62
	s_or_b32 exec_lo, exec_lo, s34
	s_and_saveexec_b32 s34, s19
	s_cbranch_execz .LBB186_1155
.LBB186_1225:                           ;   in Loop: Header=BB186_1032 Depth=2
	ds_load_u8 v62, v2 offset:1280
	s_wait_dscnt 0x0
	v_lshrrev_b32_e32 v62, s49, v62
	s_delay_alu instid0(VALU_DEP_1)
	v_and_b32_e32 v128, s48, v62
	s_or_b32 exec_lo, exec_lo, s34
	s_and_saveexec_b32 s34, s20
	s_cbranch_execz .LBB186_1156
.LBB186_1226:                           ;   in Loop: Header=BB186_1032 Depth=2
	ds_load_u8 v62, v2 offset:1536
	s_wait_dscnt 0x0
	v_lshrrev_b32_e32 v62, s49, v62
	s_delay_alu instid0(VALU_DEP_1)
	v_and_b32_e32 v127, s48, v62
	s_or_b32 exec_lo, exec_lo, s34
	s_and_saveexec_b32 s34, s21
	s_cbranch_execz .LBB186_1157
.LBB186_1227:                           ;   in Loop: Header=BB186_1032 Depth=2
	ds_load_u8 v62, v2 offset:1792
	s_wait_dscnt 0x0
	v_lshrrev_b32_e32 v62, s49, v62
	s_delay_alu instid0(VALU_DEP_1)
	v_and_b32_e32 v126, s48, v62
	s_or_b32 exec_lo, exec_lo, s34
	s_and_saveexec_b32 s34, s22
	s_cbranch_execz .LBB186_1158
.LBB186_1228:                           ;   in Loop: Header=BB186_1032 Depth=2
	ds_load_u8 v62, v2 offset:2048
	s_wait_dscnt 0x0
	v_lshrrev_b32_e32 v62, s49, v62
	s_delay_alu instid0(VALU_DEP_1)
	v_and_b32_e32 v125, s48, v62
	s_or_b32 exec_lo, exec_lo, s34
	s_and_saveexec_b32 s34, s23
	s_cbranch_execz .LBB186_1159
.LBB186_1229:                           ;   in Loop: Header=BB186_1032 Depth=2
	ds_load_u8 v62, v2 offset:2304
	s_wait_dscnt 0x0
	v_lshrrev_b32_e32 v62, s49, v62
	s_delay_alu instid0(VALU_DEP_1)
	v_and_b32_e32 v124, s48, v62
	s_or_b32 exec_lo, exec_lo, s34
	s_and_saveexec_b32 s34, s24
	s_cbranch_execz .LBB186_1160
.LBB186_1230:                           ;   in Loop: Header=BB186_1032 Depth=2
	ds_load_u8 v62, v2 offset:2560
	s_wait_dscnt 0x0
	v_lshrrev_b32_e32 v62, s49, v62
	s_delay_alu instid0(VALU_DEP_1)
	v_and_b32_e32 v123, s48, v62
	s_or_b32 exec_lo, exec_lo, s34
	s_and_saveexec_b32 s34, s25
	s_cbranch_execz .LBB186_1161
.LBB186_1231:                           ;   in Loop: Header=BB186_1032 Depth=2
	ds_load_u8 v62, v2 offset:2816
	s_wait_dscnt 0x0
	v_lshrrev_b32_e32 v62, s49, v62
	s_delay_alu instid0(VALU_DEP_1)
	v_and_b32_e32 v122, s48, v62
	s_or_b32 exec_lo, exec_lo, s34
	s_and_saveexec_b32 s34, s26
	s_cbranch_execz .LBB186_1162
.LBB186_1232:                           ;   in Loop: Header=BB186_1032 Depth=2
	ds_load_u8 v62, v2 offset:3072
	s_wait_dscnt 0x0
	v_lshrrev_b32_e32 v62, s49, v62
	s_delay_alu instid0(VALU_DEP_1)
	v_and_b32_e32 v121, s48, v62
	s_or_b32 exec_lo, exec_lo, s34
	s_and_saveexec_b32 s34, s27
	s_cbranch_execz .LBB186_1163
.LBB186_1233:                           ;   in Loop: Header=BB186_1032 Depth=2
	ds_load_u8 v62, v2 offset:3328
	s_wait_dscnt 0x0
	v_lshrrev_b32_e32 v62, s49, v62
	s_delay_alu instid0(VALU_DEP_1)
	v_and_b32_e32 v120, s48, v62
	s_or_b32 exec_lo, exec_lo, s34
	s_and_saveexec_b32 s34, s28
	s_cbranch_execz .LBB186_1164
.LBB186_1234:                           ;   in Loop: Header=BB186_1032 Depth=2
	ds_load_u8 v62, v2 offset:3584
	s_wait_dscnt 0x0
	v_lshrrev_b32_e32 v62, s49, v62
	s_delay_alu instid0(VALU_DEP_1)
	v_and_b32_e32 v119, s48, v62
	s_or_b32 exec_lo, exec_lo, s34
	s_and_saveexec_b32 s34, s29
	s_cbranch_execz .LBB186_1165
.LBB186_1235:                           ;   in Loop: Header=BB186_1032 Depth=2
	ds_load_u8 v62, v2 offset:3840
	s_wait_dscnt 0x0
	v_lshrrev_b32_e32 v62, s49, v62
	s_delay_alu instid0(VALU_DEP_1)
	v_and_b32_e32 v118, s48, v62
	s_or_b32 exec_lo, exec_lo, s34
	s_and_saveexec_b32 s34, s30
	s_cbranch_execz .LBB186_1166
.LBB186_1236:                           ;   in Loop: Header=BB186_1032 Depth=2
	ds_load_u8 v62, v2 offset:4096
	s_wait_dscnt 0x0
	v_lshrrev_b32_e32 v62, s49, v62
	s_delay_alu instid0(VALU_DEP_1)
	v_and_b32_e32 v117, s48, v62
	s_or_b32 exec_lo, exec_lo, s34
	s_and_saveexec_b32 s34, s31
	s_cbranch_execz .LBB186_1167
.LBB186_1237:                           ;   in Loop: Header=BB186_1032 Depth=2
	ds_load_u8 v62, v2 offset:4352
	s_wait_dscnt 0x0
	v_lshrrev_b32_e32 v62, s49, v62
	s_delay_alu instid0(VALU_DEP_1)
	v_and_b32_e32 v116, s48, v62
	s_or_b32 exec_lo, exec_lo, s34
	s_and_saveexec_b32 s34, s33
	s_cbranch_execnz .LBB186_1168
	s_branch .LBB186_1169
.LBB186_1238:                           ;   in Loop: Header=BB186_1032 Depth=2
	v_lshlrev_b32_e32 v63, 2, v131
	ds_load_b32 v63, v63
	ds_load_b64 v[64:65], v62 offset:512
	s_wait_dscnt 0x1
	v_add_nc_u32_e32 v63, v63, v2
	s_wait_dscnt 0x0
	global_store_b64 v63, v[64:65], s[46:47] scale_offset
	s_wait_xcnt 0x0
	s_or_b32 exec_lo, exec_lo, s34
	s_and_saveexec_b32 s34, s17
	s_cbranch_execz .LBB186_1171
.LBB186_1239:                           ;   in Loop: Header=BB186_1032 Depth=2
	v_lshlrev_b32_e32 v63, 2, v130
	ds_load_b32 v63, v63
	ds_load_b64 v[64:65], v62 offset:2560
	s_wait_dscnt 0x1
	v_add_nc_u32_e32 v63, v63, v67
	s_wait_dscnt 0x0
	global_store_b64 v63, v[64:65], s[46:47] scale_offset
	s_wait_xcnt 0x0
	s_or_b32 exec_lo, exec_lo, s34
	s_and_saveexec_b32 s17, s18
	s_cbranch_execz .LBB186_1172
.LBB186_1240:                           ;   in Loop: Header=BB186_1032 Depth=2
	v_lshlrev_b32_e32 v63, 2, v129
	ds_load_b32 v63, v63
	ds_load_b64 v[64:65], v62 offset:4608
	s_wait_dscnt 0x1
	v_add_nc_u32_e32 v63, v63, v68
	s_wait_dscnt 0x0
	global_store_b64 v63, v[64:65], s[46:47] scale_offset
	s_wait_xcnt 0x0
	s_or_b32 exec_lo, exec_lo, s17
	s_and_saveexec_b32 s17, s19
	s_cbranch_execz .LBB186_1173
.LBB186_1241:                           ;   in Loop: Header=BB186_1032 Depth=2
	v_lshlrev_b32_e32 v63, 2, v128
	ds_load_b32 v63, v63
	ds_load_b64 v[64:65], v62 offset:6656
	s_wait_dscnt 0x1
	v_add_nc_u32_e32 v63, v63, v69
	s_wait_dscnt 0x0
	global_store_b64 v63, v[64:65], s[46:47] scale_offset
	s_wait_xcnt 0x0
	s_or_b32 exec_lo, exec_lo, s17
	s_and_saveexec_b32 s17, s20
	s_cbranch_execz .LBB186_1174
.LBB186_1242:                           ;   in Loop: Header=BB186_1032 Depth=2
	v_lshlrev_b32_e32 v63, 2, v127
	ds_load_b32 v63, v63
	ds_load_b64 v[64:65], v62 offset:8704
	s_wait_dscnt 0x1
	v_add_nc_u32_e32 v63, v63, v70
	s_wait_dscnt 0x0
	global_store_b64 v63, v[64:65], s[46:47] scale_offset
	s_wait_xcnt 0x0
	s_or_b32 exec_lo, exec_lo, s17
	s_and_saveexec_b32 s17, s21
	s_cbranch_execz .LBB186_1175
.LBB186_1243:                           ;   in Loop: Header=BB186_1032 Depth=2
	v_lshlrev_b32_e32 v63, 2, v126
	ds_load_b32 v63, v63
	ds_load_b64 v[64:65], v62 offset:10752
	s_wait_dscnt 0x1
	v_add_nc_u32_e32 v63, v63, v71
	s_wait_dscnt 0x0
	global_store_b64 v63, v[64:65], s[46:47] scale_offset
	s_wait_xcnt 0x0
	s_or_b32 exec_lo, exec_lo, s17
	s_and_saveexec_b32 s17, s22
	s_cbranch_execz .LBB186_1176
.LBB186_1244:                           ;   in Loop: Header=BB186_1032 Depth=2
	v_lshlrev_b32_e32 v63, 2, v125
	ds_load_b32 v63, v63
	ds_load_b64 v[64:65], v62 offset:12800
	s_wait_dscnt 0x1
	v_add_nc_u32_e32 v63, v63, v72
	s_wait_dscnt 0x0
	global_store_b64 v63, v[64:65], s[46:47] scale_offset
	s_wait_xcnt 0x0
	s_or_b32 exec_lo, exec_lo, s17
	s_and_saveexec_b32 s17, s23
	s_cbranch_execz .LBB186_1177
.LBB186_1245:                           ;   in Loop: Header=BB186_1032 Depth=2
	v_lshlrev_b32_e32 v63, 2, v124
	ds_load_b32 v63, v63
	ds_load_b64 v[64:65], v62 offset:14848
	s_wait_dscnt 0x1
	v_add_nc_u32_e32 v63, v63, v73
	s_wait_dscnt 0x0
	global_store_b64 v63, v[64:65], s[46:47] scale_offset
	s_wait_xcnt 0x0
	s_or_b32 exec_lo, exec_lo, s17
	s_and_saveexec_b32 s17, s24
	s_cbranch_execz .LBB186_1178
.LBB186_1246:                           ;   in Loop: Header=BB186_1032 Depth=2
	v_lshlrev_b32_e32 v63, 2, v123
	ds_load_b32 v63, v63
	ds_load_b64 v[64:65], v62 offset:16896
	s_wait_dscnt 0x1
	v_add_nc_u32_e32 v63, v63, v74
	s_wait_dscnt 0x0
	global_store_b64 v63, v[64:65], s[46:47] scale_offset
	s_wait_xcnt 0x0
	s_or_b32 exec_lo, exec_lo, s17
	s_and_saveexec_b32 s17, s25
	s_cbranch_execz .LBB186_1179
.LBB186_1247:                           ;   in Loop: Header=BB186_1032 Depth=2
	v_lshlrev_b32_e32 v63, 2, v122
	ds_load_b32 v63, v63
	ds_load_b64 v[64:65], v62 offset:18944
	s_wait_dscnt 0x1
	v_add_nc_u32_e32 v63, v63, v75
	s_wait_dscnt 0x0
	global_store_b64 v63, v[64:65], s[46:47] scale_offset
	s_wait_xcnt 0x0
	s_or_b32 exec_lo, exec_lo, s17
	s_and_saveexec_b32 s17, s26
	s_cbranch_execz .LBB186_1180
.LBB186_1248:                           ;   in Loop: Header=BB186_1032 Depth=2
	v_lshlrev_b32_e32 v63, 2, v121
	ds_load_b32 v63, v63
	ds_load_b64 v[64:65], v62 offset:20992
	s_wait_dscnt 0x1
	v_add_nc_u32_e32 v63, v63, v76
	s_wait_dscnt 0x0
	global_store_b64 v63, v[64:65], s[46:47] scale_offset
	s_wait_xcnt 0x0
	s_or_b32 exec_lo, exec_lo, s17
	s_and_saveexec_b32 s17, s27
	s_cbranch_execz .LBB186_1181
.LBB186_1249:                           ;   in Loop: Header=BB186_1032 Depth=2
	v_lshlrev_b32_e32 v63, 2, v120
	ds_load_b32 v63, v63
	ds_load_b64 v[64:65], v62 offset:23040
	s_wait_dscnt 0x1
	v_add_nc_u32_e32 v63, v63, v77
	s_wait_dscnt 0x0
	global_store_b64 v63, v[64:65], s[46:47] scale_offset
	s_wait_xcnt 0x0
	s_or_b32 exec_lo, exec_lo, s17
	s_and_saveexec_b32 s17, s28
	s_cbranch_execz .LBB186_1182
.LBB186_1250:                           ;   in Loop: Header=BB186_1032 Depth=2
	v_lshlrev_b32_e32 v63, 2, v119
	ds_load_b32 v63, v63
	ds_load_b64 v[64:65], v62 offset:25088
	s_wait_dscnt 0x1
	v_add_nc_u32_e32 v63, v63, v78
	s_wait_dscnt 0x0
	global_store_b64 v63, v[64:65], s[46:47] scale_offset
	s_wait_xcnt 0x0
	s_or_b32 exec_lo, exec_lo, s17
	s_and_saveexec_b32 s17, s29
	s_cbranch_execz .LBB186_1183
.LBB186_1251:                           ;   in Loop: Header=BB186_1032 Depth=2
	v_lshlrev_b32_e32 v63, 2, v118
	ds_load_b32 v63, v63
	ds_load_b64 v[64:65], v62 offset:27136
	s_wait_dscnt 0x1
	v_add_nc_u32_e32 v63, v63, v79
	s_wait_dscnt 0x0
	global_store_b64 v63, v[64:65], s[46:47] scale_offset
	s_wait_xcnt 0x0
	s_or_b32 exec_lo, exec_lo, s17
	s_and_saveexec_b32 s17, s30
	s_cbranch_execz .LBB186_1184
.LBB186_1252:                           ;   in Loop: Header=BB186_1032 Depth=2
	v_lshlrev_b32_e32 v63, 2, v117
	ds_load_b32 v63, v63
	ds_load_b64 v[64:65], v62 offset:29184
	s_wait_dscnt 0x1
	v_add_nc_u32_e32 v63, v63, v80
	s_wait_dscnt 0x0
	global_store_b64 v63, v[64:65], s[46:47] scale_offset
	s_wait_xcnt 0x0
	s_or_b32 exec_lo, exec_lo, s17
	s_and_saveexec_b32 s17, s31
	s_cbranch_execz .LBB186_1185
.LBB186_1253:                           ;   in Loop: Header=BB186_1032 Depth=2
	v_lshlrev_b32_e32 v63, 2, v116
	ds_load_b32 v63, v63
	ds_load_b64 v[64:65], v62 offset:31232
	s_wait_dscnt 0x1
	v_add_nc_u32_e32 v63, v63, v81
	s_wait_dscnt 0x0
	global_store_b64 v63, v[64:65], s[46:47] scale_offset
	s_wait_xcnt 0x0
	s_or_b32 exec_lo, exec_lo, s17
	s_and_saveexec_b32 s17, s33
	s_cbranch_execnz .LBB186_1186
	s_branch .LBB186_1187
.LBB186_1254:
	s_endpgm
	.section	.rodata,"a",@progbits
	.p2align	6, 0x0
	.amdhsa_kernel _ZN7rocprim17ROCPRIM_400000_NS6detail17trampoline_kernelINS0_14default_configENS1_36segmented_radix_sort_config_selectorIhlEEZNS1_25segmented_radix_sort_implIS3_Lb0EPKhPhPKlPlN2at6native12_GLOBAL__N_18offset_tEEE10hipError_tPvRmT1_PNSt15iterator_traitsISK_E10value_typeET2_T3_PNSL_ISQ_E10value_typeET4_jRbjT5_SW_jjP12ihipStream_tbEUlT_E_NS1_11comp_targetILNS1_3genE0ELNS1_11target_archE4294967295ELNS1_3gpuE0ELNS1_3repE0EEENS1_30default_config_static_selectorELNS0_4arch9wavefront6targetE0EEEvSK_
		.amdhsa_group_segment_fixed_size 35344
		.amdhsa_private_segment_fixed_size 0
		.amdhsa_kernarg_size 352
		.amdhsa_user_sgpr_count 4
		.amdhsa_user_sgpr_dispatch_ptr 0
		.amdhsa_user_sgpr_queue_ptr 1
		.amdhsa_user_sgpr_kernarg_segment_ptr 1
		.amdhsa_user_sgpr_dispatch_id 0
		.amdhsa_user_sgpr_kernarg_preload_length 0
		.amdhsa_user_sgpr_kernarg_preload_offset 0
		.amdhsa_user_sgpr_private_segment_size 0
		.amdhsa_wavefront_size32 1
		.amdhsa_uses_dynamic_stack 0
		.amdhsa_enable_private_segment 0
		.amdhsa_system_sgpr_workgroup_id_x 1
		.amdhsa_system_sgpr_workgroup_id_y 1
		.amdhsa_system_sgpr_workgroup_id_z 0
		.amdhsa_system_sgpr_workgroup_info 0
		.amdhsa_system_vgpr_workitem_id 2
		.amdhsa_next_free_vgpr 319
		.amdhsa_next_free_sgpr 61
		.amdhsa_named_barrier_count 0
		.amdhsa_reserve_vcc 1
		.amdhsa_float_round_mode_32 0
		.amdhsa_float_round_mode_16_64 0
		.amdhsa_float_denorm_mode_32 3
		.amdhsa_float_denorm_mode_16_64 3
		.amdhsa_fp16_overflow 0
		.amdhsa_memory_ordered 1
		.amdhsa_forward_progress 1
		.amdhsa_inst_pref_size 255
		.amdhsa_round_robin_scheduling 0
		.amdhsa_exception_fp_ieee_invalid_op 0
		.amdhsa_exception_fp_denorm_src 0
		.amdhsa_exception_fp_ieee_div_zero 0
		.amdhsa_exception_fp_ieee_overflow 0
		.amdhsa_exception_fp_ieee_underflow 0
		.amdhsa_exception_fp_ieee_inexact 0
		.amdhsa_exception_int_div_zero 0
	.end_amdhsa_kernel
	.section	.text._ZN7rocprim17ROCPRIM_400000_NS6detail17trampoline_kernelINS0_14default_configENS1_36segmented_radix_sort_config_selectorIhlEEZNS1_25segmented_radix_sort_implIS3_Lb0EPKhPhPKlPlN2at6native12_GLOBAL__N_18offset_tEEE10hipError_tPvRmT1_PNSt15iterator_traitsISK_E10value_typeET2_T3_PNSL_ISQ_E10value_typeET4_jRbjT5_SW_jjP12ihipStream_tbEUlT_E_NS1_11comp_targetILNS1_3genE0ELNS1_11target_archE4294967295ELNS1_3gpuE0ELNS1_3repE0EEENS1_30default_config_static_selectorELNS0_4arch9wavefront6targetE0EEEvSK_,"axG",@progbits,_ZN7rocprim17ROCPRIM_400000_NS6detail17trampoline_kernelINS0_14default_configENS1_36segmented_radix_sort_config_selectorIhlEEZNS1_25segmented_radix_sort_implIS3_Lb0EPKhPhPKlPlN2at6native12_GLOBAL__N_18offset_tEEE10hipError_tPvRmT1_PNSt15iterator_traitsISK_E10value_typeET2_T3_PNSL_ISQ_E10value_typeET4_jRbjT5_SW_jjP12ihipStream_tbEUlT_E_NS1_11comp_targetILNS1_3genE0ELNS1_11target_archE4294967295ELNS1_3gpuE0ELNS1_3repE0EEENS1_30default_config_static_selectorELNS0_4arch9wavefront6targetE0EEEvSK_,comdat
.Lfunc_end186:
	.size	_ZN7rocprim17ROCPRIM_400000_NS6detail17trampoline_kernelINS0_14default_configENS1_36segmented_radix_sort_config_selectorIhlEEZNS1_25segmented_radix_sort_implIS3_Lb0EPKhPhPKlPlN2at6native12_GLOBAL__N_18offset_tEEE10hipError_tPvRmT1_PNSt15iterator_traitsISK_E10value_typeET2_T3_PNSL_ISQ_E10value_typeET4_jRbjT5_SW_jjP12ihipStream_tbEUlT_E_NS1_11comp_targetILNS1_3genE0ELNS1_11target_archE4294967295ELNS1_3gpuE0ELNS1_3repE0EEENS1_30default_config_static_selectorELNS0_4arch9wavefront6targetE0EEEvSK_, .Lfunc_end186-_ZN7rocprim17ROCPRIM_400000_NS6detail17trampoline_kernelINS0_14default_configENS1_36segmented_radix_sort_config_selectorIhlEEZNS1_25segmented_radix_sort_implIS3_Lb0EPKhPhPKlPlN2at6native12_GLOBAL__N_18offset_tEEE10hipError_tPvRmT1_PNSt15iterator_traitsISK_E10value_typeET2_T3_PNSL_ISQ_E10value_typeET4_jRbjT5_SW_jjP12ihipStream_tbEUlT_E_NS1_11comp_targetILNS1_3genE0ELNS1_11target_archE4294967295ELNS1_3gpuE0ELNS1_3repE0EEENS1_30default_config_static_selectorELNS0_4arch9wavefront6targetE0EEEvSK_
                                        ; -- End function
	.set _ZN7rocprim17ROCPRIM_400000_NS6detail17trampoline_kernelINS0_14default_configENS1_36segmented_radix_sort_config_selectorIhlEEZNS1_25segmented_radix_sort_implIS3_Lb0EPKhPhPKlPlN2at6native12_GLOBAL__N_18offset_tEEE10hipError_tPvRmT1_PNSt15iterator_traitsISK_E10value_typeET2_T3_PNSL_ISQ_E10value_typeET4_jRbjT5_SW_jjP12ihipStream_tbEUlT_E_NS1_11comp_targetILNS1_3genE0ELNS1_11target_archE4294967295ELNS1_3gpuE0ELNS1_3repE0EEENS1_30default_config_static_selectorELNS0_4arch9wavefront6targetE0EEEvSK_.num_vgpr, max(205, .L_ZN7rocprim17ROCPRIM_400000_NS6detail40segmented_radix_sort_single_block_helperIhlLj256ELj17ELb0EE4sortIPKhPhPKlPlEEbT_T0_T1_T2_jjjjRNS3_12storage_typeE.num_vgpr)
	.set _ZN7rocprim17ROCPRIM_400000_NS6detail17trampoline_kernelINS0_14default_configENS1_36segmented_radix_sort_config_selectorIhlEEZNS1_25segmented_radix_sort_implIS3_Lb0EPKhPhPKlPlN2at6native12_GLOBAL__N_18offset_tEEE10hipError_tPvRmT1_PNSt15iterator_traitsISK_E10value_typeET2_T3_PNSL_ISQ_E10value_typeET4_jRbjT5_SW_jjP12ihipStream_tbEUlT_E_NS1_11comp_targetILNS1_3genE0ELNS1_11target_archE4294967295ELNS1_3gpuE0ELNS1_3repE0EEENS1_30default_config_static_selectorELNS0_4arch9wavefront6targetE0EEEvSK_.num_agpr, max(0, .L_ZN7rocprim17ROCPRIM_400000_NS6detail40segmented_radix_sort_single_block_helperIhlLj256ELj17ELb0EE4sortIPKhPhPKlPlEEbT_T0_T1_T2_jjjjRNS3_12storage_typeE.num_agpr)
	.set _ZN7rocprim17ROCPRIM_400000_NS6detail17trampoline_kernelINS0_14default_configENS1_36segmented_radix_sort_config_selectorIhlEEZNS1_25segmented_radix_sort_implIS3_Lb0EPKhPhPKlPlN2at6native12_GLOBAL__N_18offset_tEEE10hipError_tPvRmT1_PNSt15iterator_traitsISK_E10value_typeET2_T3_PNSL_ISQ_E10value_typeET4_jRbjT5_SW_jjP12ihipStream_tbEUlT_E_NS1_11comp_targetILNS1_3genE0ELNS1_11target_archE4294967295ELNS1_3gpuE0ELNS1_3repE0EEENS1_30default_config_static_selectorELNS0_4arch9wavefront6targetE0EEEvSK_.numbered_sgpr, max(61, .L_ZN7rocprim17ROCPRIM_400000_NS6detail40segmented_radix_sort_single_block_helperIhlLj256ELj17ELb0EE4sortIPKhPhPKlPlEEbT_T0_T1_T2_jjjjRNS3_12storage_typeE.numbered_sgpr)
	.set _ZN7rocprim17ROCPRIM_400000_NS6detail17trampoline_kernelINS0_14default_configENS1_36segmented_radix_sort_config_selectorIhlEEZNS1_25segmented_radix_sort_implIS3_Lb0EPKhPhPKlPlN2at6native12_GLOBAL__N_18offset_tEEE10hipError_tPvRmT1_PNSt15iterator_traitsISK_E10value_typeET2_T3_PNSL_ISQ_E10value_typeET4_jRbjT5_SW_jjP12ihipStream_tbEUlT_E_NS1_11comp_targetILNS1_3genE0ELNS1_11target_archE4294967295ELNS1_3gpuE0ELNS1_3repE0EEENS1_30default_config_static_selectorELNS0_4arch9wavefront6targetE0EEEvSK_.num_named_barrier, max(0, .L_ZN7rocprim17ROCPRIM_400000_NS6detail40segmented_radix_sort_single_block_helperIhlLj256ELj17ELb0EE4sortIPKhPhPKlPlEEbT_T0_T1_T2_jjjjRNS3_12storage_typeE.num_named_barrier)
	.set _ZN7rocprim17ROCPRIM_400000_NS6detail17trampoline_kernelINS0_14default_configENS1_36segmented_radix_sort_config_selectorIhlEEZNS1_25segmented_radix_sort_implIS3_Lb0EPKhPhPKlPlN2at6native12_GLOBAL__N_18offset_tEEE10hipError_tPvRmT1_PNSt15iterator_traitsISK_E10value_typeET2_T3_PNSL_ISQ_E10value_typeET4_jRbjT5_SW_jjP12ihipStream_tbEUlT_E_NS1_11comp_targetILNS1_3genE0ELNS1_11target_archE4294967295ELNS1_3gpuE0ELNS1_3repE0EEENS1_30default_config_static_selectorELNS0_4arch9wavefront6targetE0EEEvSK_.private_seg_size, 0+max(.L_ZN7rocprim17ROCPRIM_400000_NS6detail40segmented_radix_sort_single_block_helperIhlLj256ELj17ELb0EE4sortIPKhPhPKlPlEEbT_T0_T1_T2_jjjjRNS3_12storage_typeE.private_seg_size)
	.set _ZN7rocprim17ROCPRIM_400000_NS6detail17trampoline_kernelINS0_14default_configENS1_36segmented_radix_sort_config_selectorIhlEEZNS1_25segmented_radix_sort_implIS3_Lb0EPKhPhPKlPlN2at6native12_GLOBAL__N_18offset_tEEE10hipError_tPvRmT1_PNSt15iterator_traitsISK_E10value_typeET2_T3_PNSL_ISQ_E10value_typeET4_jRbjT5_SW_jjP12ihipStream_tbEUlT_E_NS1_11comp_targetILNS1_3genE0ELNS1_11target_archE4294967295ELNS1_3gpuE0ELNS1_3repE0EEENS1_30default_config_static_selectorELNS0_4arch9wavefront6targetE0EEEvSK_.uses_vcc, or(1, .L_ZN7rocprim17ROCPRIM_400000_NS6detail40segmented_radix_sort_single_block_helperIhlLj256ELj17ELb0EE4sortIPKhPhPKlPlEEbT_T0_T1_T2_jjjjRNS3_12storage_typeE.uses_vcc)
	.set _ZN7rocprim17ROCPRIM_400000_NS6detail17trampoline_kernelINS0_14default_configENS1_36segmented_radix_sort_config_selectorIhlEEZNS1_25segmented_radix_sort_implIS3_Lb0EPKhPhPKlPlN2at6native12_GLOBAL__N_18offset_tEEE10hipError_tPvRmT1_PNSt15iterator_traitsISK_E10value_typeET2_T3_PNSL_ISQ_E10value_typeET4_jRbjT5_SW_jjP12ihipStream_tbEUlT_E_NS1_11comp_targetILNS1_3genE0ELNS1_11target_archE4294967295ELNS1_3gpuE0ELNS1_3repE0EEENS1_30default_config_static_selectorELNS0_4arch9wavefront6targetE0EEEvSK_.uses_flat_scratch, or(0, .L_ZN7rocprim17ROCPRIM_400000_NS6detail40segmented_radix_sort_single_block_helperIhlLj256ELj17ELb0EE4sortIPKhPhPKlPlEEbT_T0_T1_T2_jjjjRNS3_12storage_typeE.uses_flat_scratch)
	.set _ZN7rocprim17ROCPRIM_400000_NS6detail17trampoline_kernelINS0_14default_configENS1_36segmented_radix_sort_config_selectorIhlEEZNS1_25segmented_radix_sort_implIS3_Lb0EPKhPhPKlPlN2at6native12_GLOBAL__N_18offset_tEEE10hipError_tPvRmT1_PNSt15iterator_traitsISK_E10value_typeET2_T3_PNSL_ISQ_E10value_typeET4_jRbjT5_SW_jjP12ihipStream_tbEUlT_E_NS1_11comp_targetILNS1_3genE0ELNS1_11target_archE4294967295ELNS1_3gpuE0ELNS1_3repE0EEENS1_30default_config_static_selectorELNS0_4arch9wavefront6targetE0EEEvSK_.has_dyn_sized_stack, or(0, .L_ZN7rocprim17ROCPRIM_400000_NS6detail40segmented_radix_sort_single_block_helperIhlLj256ELj17ELb0EE4sortIPKhPhPKlPlEEbT_T0_T1_T2_jjjjRNS3_12storage_typeE.has_dyn_sized_stack)
	.set _ZN7rocprim17ROCPRIM_400000_NS6detail17trampoline_kernelINS0_14default_configENS1_36segmented_radix_sort_config_selectorIhlEEZNS1_25segmented_radix_sort_implIS3_Lb0EPKhPhPKlPlN2at6native12_GLOBAL__N_18offset_tEEE10hipError_tPvRmT1_PNSt15iterator_traitsISK_E10value_typeET2_T3_PNSL_ISQ_E10value_typeET4_jRbjT5_SW_jjP12ihipStream_tbEUlT_E_NS1_11comp_targetILNS1_3genE0ELNS1_11target_archE4294967295ELNS1_3gpuE0ELNS1_3repE0EEENS1_30default_config_static_selectorELNS0_4arch9wavefront6targetE0EEEvSK_.has_recursion, or(0, .L_ZN7rocprim17ROCPRIM_400000_NS6detail40segmented_radix_sort_single_block_helperIhlLj256ELj17ELb0EE4sortIPKhPhPKlPlEEbT_T0_T1_T2_jjjjRNS3_12storage_typeE.has_recursion)
	.set _ZN7rocprim17ROCPRIM_400000_NS6detail17trampoline_kernelINS0_14default_configENS1_36segmented_radix_sort_config_selectorIhlEEZNS1_25segmented_radix_sort_implIS3_Lb0EPKhPhPKlPlN2at6native12_GLOBAL__N_18offset_tEEE10hipError_tPvRmT1_PNSt15iterator_traitsISK_E10value_typeET2_T3_PNSL_ISQ_E10value_typeET4_jRbjT5_SW_jjP12ihipStream_tbEUlT_E_NS1_11comp_targetILNS1_3genE0ELNS1_11target_archE4294967295ELNS1_3gpuE0ELNS1_3repE0EEENS1_30default_config_static_selectorELNS0_4arch9wavefront6targetE0EEEvSK_.has_indirect_call, or(0, .L_ZN7rocprim17ROCPRIM_400000_NS6detail40segmented_radix_sort_single_block_helperIhlLj256ELj17ELb0EE4sortIPKhPhPKlPlEEbT_T0_T1_T2_jjjjRNS3_12storage_typeE.has_indirect_call)
	.section	.AMDGPU.csdata,"",@progbits
; Kernel info:
; codeLenInByte = 70068
; TotalNumSgprs: 63
; NumVgprs: 319
; ScratchSize: 0
; MemoryBound: 0
; FloatMode: 240
; IeeeMode: 1
; LDSByteSize: 35344 bytes/workgroup (compile time only)
; SGPRBlocks: 0
; VGPRBlocks: 19
; NumSGPRsForWavesPerEU: 63
; NumVGPRsForWavesPerEU: 319
; NamedBarCnt: 0
; Occupancy: 3
; WaveLimiterHint : 1
; COMPUTE_PGM_RSRC2:SCRATCH_EN: 0
; COMPUTE_PGM_RSRC2:USER_SGPR: 4
; COMPUTE_PGM_RSRC2:TRAP_HANDLER: 0
; COMPUTE_PGM_RSRC2:TGID_X_EN: 1
; COMPUTE_PGM_RSRC2:TGID_Y_EN: 1
; COMPUTE_PGM_RSRC2:TGID_Z_EN: 0
; COMPUTE_PGM_RSRC2:TIDIG_COMP_CNT: 2
	.section	.text._ZN7rocprim17ROCPRIM_400000_NS6detail17trampoline_kernelINS0_14default_configENS1_36segmented_radix_sort_config_selectorIhlEEZNS1_25segmented_radix_sort_implIS3_Lb0EPKhPhPKlPlN2at6native12_GLOBAL__N_18offset_tEEE10hipError_tPvRmT1_PNSt15iterator_traitsISK_E10value_typeET2_T3_PNSL_ISQ_E10value_typeET4_jRbjT5_SW_jjP12ihipStream_tbEUlT_E_NS1_11comp_targetILNS1_3genE5ELNS1_11target_archE942ELNS1_3gpuE9ELNS1_3repE0EEENS1_30default_config_static_selectorELNS0_4arch9wavefront6targetE0EEEvSK_,"axG",@progbits,_ZN7rocprim17ROCPRIM_400000_NS6detail17trampoline_kernelINS0_14default_configENS1_36segmented_radix_sort_config_selectorIhlEEZNS1_25segmented_radix_sort_implIS3_Lb0EPKhPhPKlPlN2at6native12_GLOBAL__N_18offset_tEEE10hipError_tPvRmT1_PNSt15iterator_traitsISK_E10value_typeET2_T3_PNSL_ISQ_E10value_typeET4_jRbjT5_SW_jjP12ihipStream_tbEUlT_E_NS1_11comp_targetILNS1_3genE5ELNS1_11target_archE942ELNS1_3gpuE9ELNS1_3repE0EEENS1_30default_config_static_selectorELNS0_4arch9wavefront6targetE0EEEvSK_,comdat
	.globl	_ZN7rocprim17ROCPRIM_400000_NS6detail17trampoline_kernelINS0_14default_configENS1_36segmented_radix_sort_config_selectorIhlEEZNS1_25segmented_radix_sort_implIS3_Lb0EPKhPhPKlPlN2at6native12_GLOBAL__N_18offset_tEEE10hipError_tPvRmT1_PNSt15iterator_traitsISK_E10value_typeET2_T3_PNSL_ISQ_E10value_typeET4_jRbjT5_SW_jjP12ihipStream_tbEUlT_E_NS1_11comp_targetILNS1_3genE5ELNS1_11target_archE942ELNS1_3gpuE9ELNS1_3repE0EEENS1_30default_config_static_selectorELNS0_4arch9wavefront6targetE0EEEvSK_ ; -- Begin function _ZN7rocprim17ROCPRIM_400000_NS6detail17trampoline_kernelINS0_14default_configENS1_36segmented_radix_sort_config_selectorIhlEEZNS1_25segmented_radix_sort_implIS3_Lb0EPKhPhPKlPlN2at6native12_GLOBAL__N_18offset_tEEE10hipError_tPvRmT1_PNSt15iterator_traitsISK_E10value_typeET2_T3_PNSL_ISQ_E10value_typeET4_jRbjT5_SW_jjP12ihipStream_tbEUlT_E_NS1_11comp_targetILNS1_3genE5ELNS1_11target_archE942ELNS1_3gpuE9ELNS1_3repE0EEENS1_30default_config_static_selectorELNS0_4arch9wavefront6targetE0EEEvSK_
	.p2align	8
	.type	_ZN7rocprim17ROCPRIM_400000_NS6detail17trampoline_kernelINS0_14default_configENS1_36segmented_radix_sort_config_selectorIhlEEZNS1_25segmented_radix_sort_implIS3_Lb0EPKhPhPKlPlN2at6native12_GLOBAL__N_18offset_tEEE10hipError_tPvRmT1_PNSt15iterator_traitsISK_E10value_typeET2_T3_PNSL_ISQ_E10value_typeET4_jRbjT5_SW_jjP12ihipStream_tbEUlT_E_NS1_11comp_targetILNS1_3genE5ELNS1_11target_archE942ELNS1_3gpuE9ELNS1_3repE0EEENS1_30default_config_static_selectorELNS0_4arch9wavefront6targetE0EEEvSK_,@function
_ZN7rocprim17ROCPRIM_400000_NS6detail17trampoline_kernelINS0_14default_configENS1_36segmented_radix_sort_config_selectorIhlEEZNS1_25segmented_radix_sort_implIS3_Lb0EPKhPhPKlPlN2at6native12_GLOBAL__N_18offset_tEEE10hipError_tPvRmT1_PNSt15iterator_traitsISK_E10value_typeET2_T3_PNSL_ISQ_E10value_typeET4_jRbjT5_SW_jjP12ihipStream_tbEUlT_E_NS1_11comp_targetILNS1_3genE5ELNS1_11target_archE942ELNS1_3gpuE9ELNS1_3repE0EEENS1_30default_config_static_selectorELNS0_4arch9wavefront6targetE0EEEvSK_: ; @_ZN7rocprim17ROCPRIM_400000_NS6detail17trampoline_kernelINS0_14default_configENS1_36segmented_radix_sort_config_selectorIhlEEZNS1_25segmented_radix_sort_implIS3_Lb0EPKhPhPKlPlN2at6native12_GLOBAL__N_18offset_tEEE10hipError_tPvRmT1_PNSt15iterator_traitsISK_E10value_typeET2_T3_PNSL_ISQ_E10value_typeET4_jRbjT5_SW_jjP12ihipStream_tbEUlT_E_NS1_11comp_targetILNS1_3genE5ELNS1_11target_archE942ELNS1_3gpuE9ELNS1_3repE0EEENS1_30default_config_static_selectorELNS0_4arch9wavefront6targetE0EEEvSK_
; %bb.0:
	.section	.rodata,"a",@progbits
	.p2align	6, 0x0
	.amdhsa_kernel _ZN7rocprim17ROCPRIM_400000_NS6detail17trampoline_kernelINS0_14default_configENS1_36segmented_radix_sort_config_selectorIhlEEZNS1_25segmented_radix_sort_implIS3_Lb0EPKhPhPKlPlN2at6native12_GLOBAL__N_18offset_tEEE10hipError_tPvRmT1_PNSt15iterator_traitsISK_E10value_typeET2_T3_PNSL_ISQ_E10value_typeET4_jRbjT5_SW_jjP12ihipStream_tbEUlT_E_NS1_11comp_targetILNS1_3genE5ELNS1_11target_archE942ELNS1_3gpuE9ELNS1_3repE0EEENS1_30default_config_static_selectorELNS0_4arch9wavefront6targetE0EEEvSK_
		.amdhsa_group_segment_fixed_size 0
		.amdhsa_private_segment_fixed_size 0
		.amdhsa_kernarg_size 96
		.amdhsa_user_sgpr_count 2
		.amdhsa_user_sgpr_dispatch_ptr 0
		.amdhsa_user_sgpr_queue_ptr 0
		.amdhsa_user_sgpr_kernarg_segment_ptr 1
		.amdhsa_user_sgpr_dispatch_id 0
		.amdhsa_user_sgpr_kernarg_preload_length 0
		.amdhsa_user_sgpr_kernarg_preload_offset 0
		.amdhsa_user_sgpr_private_segment_size 0
		.amdhsa_wavefront_size32 1
		.amdhsa_uses_dynamic_stack 0
		.amdhsa_enable_private_segment 0
		.amdhsa_system_sgpr_workgroup_id_x 1
		.amdhsa_system_sgpr_workgroup_id_y 0
		.amdhsa_system_sgpr_workgroup_id_z 0
		.amdhsa_system_sgpr_workgroup_info 0
		.amdhsa_system_vgpr_workitem_id 0
		.amdhsa_next_free_vgpr 1
		.amdhsa_next_free_sgpr 1
		.amdhsa_named_barrier_count 0
		.amdhsa_reserve_vcc 0
		.amdhsa_float_round_mode_32 0
		.amdhsa_float_round_mode_16_64 0
		.amdhsa_float_denorm_mode_32 3
		.amdhsa_float_denorm_mode_16_64 3
		.amdhsa_fp16_overflow 0
		.amdhsa_memory_ordered 1
		.amdhsa_forward_progress 1
		.amdhsa_inst_pref_size 0
		.amdhsa_round_robin_scheduling 0
		.amdhsa_exception_fp_ieee_invalid_op 0
		.amdhsa_exception_fp_denorm_src 0
		.amdhsa_exception_fp_ieee_div_zero 0
		.amdhsa_exception_fp_ieee_overflow 0
		.amdhsa_exception_fp_ieee_underflow 0
		.amdhsa_exception_fp_ieee_inexact 0
		.amdhsa_exception_int_div_zero 0
	.end_amdhsa_kernel
	.section	.text._ZN7rocprim17ROCPRIM_400000_NS6detail17trampoline_kernelINS0_14default_configENS1_36segmented_radix_sort_config_selectorIhlEEZNS1_25segmented_radix_sort_implIS3_Lb0EPKhPhPKlPlN2at6native12_GLOBAL__N_18offset_tEEE10hipError_tPvRmT1_PNSt15iterator_traitsISK_E10value_typeET2_T3_PNSL_ISQ_E10value_typeET4_jRbjT5_SW_jjP12ihipStream_tbEUlT_E_NS1_11comp_targetILNS1_3genE5ELNS1_11target_archE942ELNS1_3gpuE9ELNS1_3repE0EEENS1_30default_config_static_selectorELNS0_4arch9wavefront6targetE0EEEvSK_,"axG",@progbits,_ZN7rocprim17ROCPRIM_400000_NS6detail17trampoline_kernelINS0_14default_configENS1_36segmented_radix_sort_config_selectorIhlEEZNS1_25segmented_radix_sort_implIS3_Lb0EPKhPhPKlPlN2at6native12_GLOBAL__N_18offset_tEEE10hipError_tPvRmT1_PNSt15iterator_traitsISK_E10value_typeET2_T3_PNSL_ISQ_E10value_typeET4_jRbjT5_SW_jjP12ihipStream_tbEUlT_E_NS1_11comp_targetILNS1_3genE5ELNS1_11target_archE942ELNS1_3gpuE9ELNS1_3repE0EEENS1_30default_config_static_selectorELNS0_4arch9wavefront6targetE0EEEvSK_,comdat
.Lfunc_end187:
	.size	_ZN7rocprim17ROCPRIM_400000_NS6detail17trampoline_kernelINS0_14default_configENS1_36segmented_radix_sort_config_selectorIhlEEZNS1_25segmented_radix_sort_implIS3_Lb0EPKhPhPKlPlN2at6native12_GLOBAL__N_18offset_tEEE10hipError_tPvRmT1_PNSt15iterator_traitsISK_E10value_typeET2_T3_PNSL_ISQ_E10value_typeET4_jRbjT5_SW_jjP12ihipStream_tbEUlT_E_NS1_11comp_targetILNS1_3genE5ELNS1_11target_archE942ELNS1_3gpuE9ELNS1_3repE0EEENS1_30default_config_static_selectorELNS0_4arch9wavefront6targetE0EEEvSK_, .Lfunc_end187-_ZN7rocprim17ROCPRIM_400000_NS6detail17trampoline_kernelINS0_14default_configENS1_36segmented_radix_sort_config_selectorIhlEEZNS1_25segmented_radix_sort_implIS3_Lb0EPKhPhPKlPlN2at6native12_GLOBAL__N_18offset_tEEE10hipError_tPvRmT1_PNSt15iterator_traitsISK_E10value_typeET2_T3_PNSL_ISQ_E10value_typeET4_jRbjT5_SW_jjP12ihipStream_tbEUlT_E_NS1_11comp_targetILNS1_3genE5ELNS1_11target_archE942ELNS1_3gpuE9ELNS1_3repE0EEENS1_30default_config_static_selectorELNS0_4arch9wavefront6targetE0EEEvSK_
                                        ; -- End function
	.set _ZN7rocprim17ROCPRIM_400000_NS6detail17trampoline_kernelINS0_14default_configENS1_36segmented_radix_sort_config_selectorIhlEEZNS1_25segmented_radix_sort_implIS3_Lb0EPKhPhPKlPlN2at6native12_GLOBAL__N_18offset_tEEE10hipError_tPvRmT1_PNSt15iterator_traitsISK_E10value_typeET2_T3_PNSL_ISQ_E10value_typeET4_jRbjT5_SW_jjP12ihipStream_tbEUlT_E_NS1_11comp_targetILNS1_3genE5ELNS1_11target_archE942ELNS1_3gpuE9ELNS1_3repE0EEENS1_30default_config_static_selectorELNS0_4arch9wavefront6targetE0EEEvSK_.num_vgpr, 0
	.set _ZN7rocprim17ROCPRIM_400000_NS6detail17trampoline_kernelINS0_14default_configENS1_36segmented_radix_sort_config_selectorIhlEEZNS1_25segmented_radix_sort_implIS3_Lb0EPKhPhPKlPlN2at6native12_GLOBAL__N_18offset_tEEE10hipError_tPvRmT1_PNSt15iterator_traitsISK_E10value_typeET2_T3_PNSL_ISQ_E10value_typeET4_jRbjT5_SW_jjP12ihipStream_tbEUlT_E_NS1_11comp_targetILNS1_3genE5ELNS1_11target_archE942ELNS1_3gpuE9ELNS1_3repE0EEENS1_30default_config_static_selectorELNS0_4arch9wavefront6targetE0EEEvSK_.num_agpr, 0
	.set _ZN7rocprim17ROCPRIM_400000_NS6detail17trampoline_kernelINS0_14default_configENS1_36segmented_radix_sort_config_selectorIhlEEZNS1_25segmented_radix_sort_implIS3_Lb0EPKhPhPKlPlN2at6native12_GLOBAL__N_18offset_tEEE10hipError_tPvRmT1_PNSt15iterator_traitsISK_E10value_typeET2_T3_PNSL_ISQ_E10value_typeET4_jRbjT5_SW_jjP12ihipStream_tbEUlT_E_NS1_11comp_targetILNS1_3genE5ELNS1_11target_archE942ELNS1_3gpuE9ELNS1_3repE0EEENS1_30default_config_static_selectorELNS0_4arch9wavefront6targetE0EEEvSK_.numbered_sgpr, 0
	.set _ZN7rocprim17ROCPRIM_400000_NS6detail17trampoline_kernelINS0_14default_configENS1_36segmented_radix_sort_config_selectorIhlEEZNS1_25segmented_radix_sort_implIS3_Lb0EPKhPhPKlPlN2at6native12_GLOBAL__N_18offset_tEEE10hipError_tPvRmT1_PNSt15iterator_traitsISK_E10value_typeET2_T3_PNSL_ISQ_E10value_typeET4_jRbjT5_SW_jjP12ihipStream_tbEUlT_E_NS1_11comp_targetILNS1_3genE5ELNS1_11target_archE942ELNS1_3gpuE9ELNS1_3repE0EEENS1_30default_config_static_selectorELNS0_4arch9wavefront6targetE0EEEvSK_.num_named_barrier, 0
	.set _ZN7rocprim17ROCPRIM_400000_NS6detail17trampoline_kernelINS0_14default_configENS1_36segmented_radix_sort_config_selectorIhlEEZNS1_25segmented_radix_sort_implIS3_Lb0EPKhPhPKlPlN2at6native12_GLOBAL__N_18offset_tEEE10hipError_tPvRmT1_PNSt15iterator_traitsISK_E10value_typeET2_T3_PNSL_ISQ_E10value_typeET4_jRbjT5_SW_jjP12ihipStream_tbEUlT_E_NS1_11comp_targetILNS1_3genE5ELNS1_11target_archE942ELNS1_3gpuE9ELNS1_3repE0EEENS1_30default_config_static_selectorELNS0_4arch9wavefront6targetE0EEEvSK_.private_seg_size, 0
	.set _ZN7rocprim17ROCPRIM_400000_NS6detail17trampoline_kernelINS0_14default_configENS1_36segmented_radix_sort_config_selectorIhlEEZNS1_25segmented_radix_sort_implIS3_Lb0EPKhPhPKlPlN2at6native12_GLOBAL__N_18offset_tEEE10hipError_tPvRmT1_PNSt15iterator_traitsISK_E10value_typeET2_T3_PNSL_ISQ_E10value_typeET4_jRbjT5_SW_jjP12ihipStream_tbEUlT_E_NS1_11comp_targetILNS1_3genE5ELNS1_11target_archE942ELNS1_3gpuE9ELNS1_3repE0EEENS1_30default_config_static_selectorELNS0_4arch9wavefront6targetE0EEEvSK_.uses_vcc, 0
	.set _ZN7rocprim17ROCPRIM_400000_NS6detail17trampoline_kernelINS0_14default_configENS1_36segmented_radix_sort_config_selectorIhlEEZNS1_25segmented_radix_sort_implIS3_Lb0EPKhPhPKlPlN2at6native12_GLOBAL__N_18offset_tEEE10hipError_tPvRmT1_PNSt15iterator_traitsISK_E10value_typeET2_T3_PNSL_ISQ_E10value_typeET4_jRbjT5_SW_jjP12ihipStream_tbEUlT_E_NS1_11comp_targetILNS1_3genE5ELNS1_11target_archE942ELNS1_3gpuE9ELNS1_3repE0EEENS1_30default_config_static_selectorELNS0_4arch9wavefront6targetE0EEEvSK_.uses_flat_scratch, 0
	.set _ZN7rocprim17ROCPRIM_400000_NS6detail17trampoline_kernelINS0_14default_configENS1_36segmented_radix_sort_config_selectorIhlEEZNS1_25segmented_radix_sort_implIS3_Lb0EPKhPhPKlPlN2at6native12_GLOBAL__N_18offset_tEEE10hipError_tPvRmT1_PNSt15iterator_traitsISK_E10value_typeET2_T3_PNSL_ISQ_E10value_typeET4_jRbjT5_SW_jjP12ihipStream_tbEUlT_E_NS1_11comp_targetILNS1_3genE5ELNS1_11target_archE942ELNS1_3gpuE9ELNS1_3repE0EEENS1_30default_config_static_selectorELNS0_4arch9wavefront6targetE0EEEvSK_.has_dyn_sized_stack, 0
	.set _ZN7rocprim17ROCPRIM_400000_NS6detail17trampoline_kernelINS0_14default_configENS1_36segmented_radix_sort_config_selectorIhlEEZNS1_25segmented_radix_sort_implIS3_Lb0EPKhPhPKlPlN2at6native12_GLOBAL__N_18offset_tEEE10hipError_tPvRmT1_PNSt15iterator_traitsISK_E10value_typeET2_T3_PNSL_ISQ_E10value_typeET4_jRbjT5_SW_jjP12ihipStream_tbEUlT_E_NS1_11comp_targetILNS1_3genE5ELNS1_11target_archE942ELNS1_3gpuE9ELNS1_3repE0EEENS1_30default_config_static_selectorELNS0_4arch9wavefront6targetE0EEEvSK_.has_recursion, 0
	.set _ZN7rocprim17ROCPRIM_400000_NS6detail17trampoline_kernelINS0_14default_configENS1_36segmented_radix_sort_config_selectorIhlEEZNS1_25segmented_radix_sort_implIS3_Lb0EPKhPhPKlPlN2at6native12_GLOBAL__N_18offset_tEEE10hipError_tPvRmT1_PNSt15iterator_traitsISK_E10value_typeET2_T3_PNSL_ISQ_E10value_typeET4_jRbjT5_SW_jjP12ihipStream_tbEUlT_E_NS1_11comp_targetILNS1_3genE5ELNS1_11target_archE942ELNS1_3gpuE9ELNS1_3repE0EEENS1_30default_config_static_selectorELNS0_4arch9wavefront6targetE0EEEvSK_.has_indirect_call, 0
	.section	.AMDGPU.csdata,"",@progbits
; Kernel info:
; codeLenInByte = 0
; TotalNumSgprs: 0
; NumVgprs: 0
; ScratchSize: 0
; MemoryBound: 0
; FloatMode: 240
; IeeeMode: 1
; LDSByteSize: 0 bytes/workgroup (compile time only)
; SGPRBlocks: 0
; VGPRBlocks: 0
; NumSGPRsForWavesPerEU: 1
; NumVGPRsForWavesPerEU: 1
; NamedBarCnt: 0
; Occupancy: 16
; WaveLimiterHint : 0
; COMPUTE_PGM_RSRC2:SCRATCH_EN: 0
; COMPUTE_PGM_RSRC2:USER_SGPR: 2
; COMPUTE_PGM_RSRC2:TRAP_HANDLER: 0
; COMPUTE_PGM_RSRC2:TGID_X_EN: 1
; COMPUTE_PGM_RSRC2:TGID_Y_EN: 0
; COMPUTE_PGM_RSRC2:TGID_Z_EN: 0
; COMPUTE_PGM_RSRC2:TIDIG_COMP_CNT: 0
	.section	.text._ZN7rocprim17ROCPRIM_400000_NS6detail17trampoline_kernelINS0_14default_configENS1_36segmented_radix_sort_config_selectorIhlEEZNS1_25segmented_radix_sort_implIS3_Lb0EPKhPhPKlPlN2at6native12_GLOBAL__N_18offset_tEEE10hipError_tPvRmT1_PNSt15iterator_traitsISK_E10value_typeET2_T3_PNSL_ISQ_E10value_typeET4_jRbjT5_SW_jjP12ihipStream_tbEUlT_E_NS1_11comp_targetILNS1_3genE4ELNS1_11target_archE910ELNS1_3gpuE8ELNS1_3repE0EEENS1_30default_config_static_selectorELNS0_4arch9wavefront6targetE0EEEvSK_,"axG",@progbits,_ZN7rocprim17ROCPRIM_400000_NS6detail17trampoline_kernelINS0_14default_configENS1_36segmented_radix_sort_config_selectorIhlEEZNS1_25segmented_radix_sort_implIS3_Lb0EPKhPhPKlPlN2at6native12_GLOBAL__N_18offset_tEEE10hipError_tPvRmT1_PNSt15iterator_traitsISK_E10value_typeET2_T3_PNSL_ISQ_E10value_typeET4_jRbjT5_SW_jjP12ihipStream_tbEUlT_E_NS1_11comp_targetILNS1_3genE4ELNS1_11target_archE910ELNS1_3gpuE8ELNS1_3repE0EEENS1_30default_config_static_selectorELNS0_4arch9wavefront6targetE0EEEvSK_,comdat
	.globl	_ZN7rocprim17ROCPRIM_400000_NS6detail17trampoline_kernelINS0_14default_configENS1_36segmented_radix_sort_config_selectorIhlEEZNS1_25segmented_radix_sort_implIS3_Lb0EPKhPhPKlPlN2at6native12_GLOBAL__N_18offset_tEEE10hipError_tPvRmT1_PNSt15iterator_traitsISK_E10value_typeET2_T3_PNSL_ISQ_E10value_typeET4_jRbjT5_SW_jjP12ihipStream_tbEUlT_E_NS1_11comp_targetILNS1_3genE4ELNS1_11target_archE910ELNS1_3gpuE8ELNS1_3repE0EEENS1_30default_config_static_selectorELNS0_4arch9wavefront6targetE0EEEvSK_ ; -- Begin function _ZN7rocprim17ROCPRIM_400000_NS6detail17trampoline_kernelINS0_14default_configENS1_36segmented_radix_sort_config_selectorIhlEEZNS1_25segmented_radix_sort_implIS3_Lb0EPKhPhPKlPlN2at6native12_GLOBAL__N_18offset_tEEE10hipError_tPvRmT1_PNSt15iterator_traitsISK_E10value_typeET2_T3_PNSL_ISQ_E10value_typeET4_jRbjT5_SW_jjP12ihipStream_tbEUlT_E_NS1_11comp_targetILNS1_3genE4ELNS1_11target_archE910ELNS1_3gpuE8ELNS1_3repE0EEENS1_30default_config_static_selectorELNS0_4arch9wavefront6targetE0EEEvSK_
	.p2align	8
	.type	_ZN7rocprim17ROCPRIM_400000_NS6detail17trampoline_kernelINS0_14default_configENS1_36segmented_radix_sort_config_selectorIhlEEZNS1_25segmented_radix_sort_implIS3_Lb0EPKhPhPKlPlN2at6native12_GLOBAL__N_18offset_tEEE10hipError_tPvRmT1_PNSt15iterator_traitsISK_E10value_typeET2_T3_PNSL_ISQ_E10value_typeET4_jRbjT5_SW_jjP12ihipStream_tbEUlT_E_NS1_11comp_targetILNS1_3genE4ELNS1_11target_archE910ELNS1_3gpuE8ELNS1_3repE0EEENS1_30default_config_static_selectorELNS0_4arch9wavefront6targetE0EEEvSK_,@function
_ZN7rocprim17ROCPRIM_400000_NS6detail17trampoline_kernelINS0_14default_configENS1_36segmented_radix_sort_config_selectorIhlEEZNS1_25segmented_radix_sort_implIS3_Lb0EPKhPhPKlPlN2at6native12_GLOBAL__N_18offset_tEEE10hipError_tPvRmT1_PNSt15iterator_traitsISK_E10value_typeET2_T3_PNSL_ISQ_E10value_typeET4_jRbjT5_SW_jjP12ihipStream_tbEUlT_E_NS1_11comp_targetILNS1_3genE4ELNS1_11target_archE910ELNS1_3gpuE8ELNS1_3repE0EEENS1_30default_config_static_selectorELNS0_4arch9wavefront6targetE0EEEvSK_: ; @_ZN7rocprim17ROCPRIM_400000_NS6detail17trampoline_kernelINS0_14default_configENS1_36segmented_radix_sort_config_selectorIhlEEZNS1_25segmented_radix_sort_implIS3_Lb0EPKhPhPKlPlN2at6native12_GLOBAL__N_18offset_tEEE10hipError_tPvRmT1_PNSt15iterator_traitsISK_E10value_typeET2_T3_PNSL_ISQ_E10value_typeET4_jRbjT5_SW_jjP12ihipStream_tbEUlT_E_NS1_11comp_targetILNS1_3genE4ELNS1_11target_archE910ELNS1_3gpuE8ELNS1_3repE0EEENS1_30default_config_static_selectorELNS0_4arch9wavefront6targetE0EEEvSK_
; %bb.0:
	.section	.rodata,"a",@progbits
	.p2align	6, 0x0
	.amdhsa_kernel _ZN7rocprim17ROCPRIM_400000_NS6detail17trampoline_kernelINS0_14default_configENS1_36segmented_radix_sort_config_selectorIhlEEZNS1_25segmented_radix_sort_implIS3_Lb0EPKhPhPKlPlN2at6native12_GLOBAL__N_18offset_tEEE10hipError_tPvRmT1_PNSt15iterator_traitsISK_E10value_typeET2_T3_PNSL_ISQ_E10value_typeET4_jRbjT5_SW_jjP12ihipStream_tbEUlT_E_NS1_11comp_targetILNS1_3genE4ELNS1_11target_archE910ELNS1_3gpuE8ELNS1_3repE0EEENS1_30default_config_static_selectorELNS0_4arch9wavefront6targetE0EEEvSK_
		.amdhsa_group_segment_fixed_size 0
		.amdhsa_private_segment_fixed_size 0
		.amdhsa_kernarg_size 96
		.amdhsa_user_sgpr_count 2
		.amdhsa_user_sgpr_dispatch_ptr 0
		.amdhsa_user_sgpr_queue_ptr 0
		.amdhsa_user_sgpr_kernarg_segment_ptr 1
		.amdhsa_user_sgpr_dispatch_id 0
		.amdhsa_user_sgpr_kernarg_preload_length 0
		.amdhsa_user_sgpr_kernarg_preload_offset 0
		.amdhsa_user_sgpr_private_segment_size 0
		.amdhsa_wavefront_size32 1
		.amdhsa_uses_dynamic_stack 0
		.amdhsa_enable_private_segment 0
		.amdhsa_system_sgpr_workgroup_id_x 1
		.amdhsa_system_sgpr_workgroup_id_y 0
		.amdhsa_system_sgpr_workgroup_id_z 0
		.amdhsa_system_sgpr_workgroup_info 0
		.amdhsa_system_vgpr_workitem_id 0
		.amdhsa_next_free_vgpr 1
		.amdhsa_next_free_sgpr 1
		.amdhsa_named_barrier_count 0
		.amdhsa_reserve_vcc 0
		.amdhsa_float_round_mode_32 0
		.amdhsa_float_round_mode_16_64 0
		.amdhsa_float_denorm_mode_32 3
		.amdhsa_float_denorm_mode_16_64 3
		.amdhsa_fp16_overflow 0
		.amdhsa_memory_ordered 1
		.amdhsa_forward_progress 1
		.amdhsa_inst_pref_size 0
		.amdhsa_round_robin_scheduling 0
		.amdhsa_exception_fp_ieee_invalid_op 0
		.amdhsa_exception_fp_denorm_src 0
		.amdhsa_exception_fp_ieee_div_zero 0
		.amdhsa_exception_fp_ieee_overflow 0
		.amdhsa_exception_fp_ieee_underflow 0
		.amdhsa_exception_fp_ieee_inexact 0
		.amdhsa_exception_int_div_zero 0
	.end_amdhsa_kernel
	.section	.text._ZN7rocprim17ROCPRIM_400000_NS6detail17trampoline_kernelINS0_14default_configENS1_36segmented_radix_sort_config_selectorIhlEEZNS1_25segmented_radix_sort_implIS3_Lb0EPKhPhPKlPlN2at6native12_GLOBAL__N_18offset_tEEE10hipError_tPvRmT1_PNSt15iterator_traitsISK_E10value_typeET2_T3_PNSL_ISQ_E10value_typeET4_jRbjT5_SW_jjP12ihipStream_tbEUlT_E_NS1_11comp_targetILNS1_3genE4ELNS1_11target_archE910ELNS1_3gpuE8ELNS1_3repE0EEENS1_30default_config_static_selectorELNS0_4arch9wavefront6targetE0EEEvSK_,"axG",@progbits,_ZN7rocprim17ROCPRIM_400000_NS6detail17trampoline_kernelINS0_14default_configENS1_36segmented_radix_sort_config_selectorIhlEEZNS1_25segmented_radix_sort_implIS3_Lb0EPKhPhPKlPlN2at6native12_GLOBAL__N_18offset_tEEE10hipError_tPvRmT1_PNSt15iterator_traitsISK_E10value_typeET2_T3_PNSL_ISQ_E10value_typeET4_jRbjT5_SW_jjP12ihipStream_tbEUlT_E_NS1_11comp_targetILNS1_3genE4ELNS1_11target_archE910ELNS1_3gpuE8ELNS1_3repE0EEENS1_30default_config_static_selectorELNS0_4arch9wavefront6targetE0EEEvSK_,comdat
.Lfunc_end188:
	.size	_ZN7rocprim17ROCPRIM_400000_NS6detail17trampoline_kernelINS0_14default_configENS1_36segmented_radix_sort_config_selectorIhlEEZNS1_25segmented_radix_sort_implIS3_Lb0EPKhPhPKlPlN2at6native12_GLOBAL__N_18offset_tEEE10hipError_tPvRmT1_PNSt15iterator_traitsISK_E10value_typeET2_T3_PNSL_ISQ_E10value_typeET4_jRbjT5_SW_jjP12ihipStream_tbEUlT_E_NS1_11comp_targetILNS1_3genE4ELNS1_11target_archE910ELNS1_3gpuE8ELNS1_3repE0EEENS1_30default_config_static_selectorELNS0_4arch9wavefront6targetE0EEEvSK_, .Lfunc_end188-_ZN7rocprim17ROCPRIM_400000_NS6detail17trampoline_kernelINS0_14default_configENS1_36segmented_radix_sort_config_selectorIhlEEZNS1_25segmented_radix_sort_implIS3_Lb0EPKhPhPKlPlN2at6native12_GLOBAL__N_18offset_tEEE10hipError_tPvRmT1_PNSt15iterator_traitsISK_E10value_typeET2_T3_PNSL_ISQ_E10value_typeET4_jRbjT5_SW_jjP12ihipStream_tbEUlT_E_NS1_11comp_targetILNS1_3genE4ELNS1_11target_archE910ELNS1_3gpuE8ELNS1_3repE0EEENS1_30default_config_static_selectorELNS0_4arch9wavefront6targetE0EEEvSK_
                                        ; -- End function
	.set _ZN7rocprim17ROCPRIM_400000_NS6detail17trampoline_kernelINS0_14default_configENS1_36segmented_radix_sort_config_selectorIhlEEZNS1_25segmented_radix_sort_implIS3_Lb0EPKhPhPKlPlN2at6native12_GLOBAL__N_18offset_tEEE10hipError_tPvRmT1_PNSt15iterator_traitsISK_E10value_typeET2_T3_PNSL_ISQ_E10value_typeET4_jRbjT5_SW_jjP12ihipStream_tbEUlT_E_NS1_11comp_targetILNS1_3genE4ELNS1_11target_archE910ELNS1_3gpuE8ELNS1_3repE0EEENS1_30default_config_static_selectorELNS0_4arch9wavefront6targetE0EEEvSK_.num_vgpr, 0
	.set _ZN7rocprim17ROCPRIM_400000_NS6detail17trampoline_kernelINS0_14default_configENS1_36segmented_radix_sort_config_selectorIhlEEZNS1_25segmented_radix_sort_implIS3_Lb0EPKhPhPKlPlN2at6native12_GLOBAL__N_18offset_tEEE10hipError_tPvRmT1_PNSt15iterator_traitsISK_E10value_typeET2_T3_PNSL_ISQ_E10value_typeET4_jRbjT5_SW_jjP12ihipStream_tbEUlT_E_NS1_11comp_targetILNS1_3genE4ELNS1_11target_archE910ELNS1_3gpuE8ELNS1_3repE0EEENS1_30default_config_static_selectorELNS0_4arch9wavefront6targetE0EEEvSK_.num_agpr, 0
	.set _ZN7rocprim17ROCPRIM_400000_NS6detail17trampoline_kernelINS0_14default_configENS1_36segmented_radix_sort_config_selectorIhlEEZNS1_25segmented_radix_sort_implIS3_Lb0EPKhPhPKlPlN2at6native12_GLOBAL__N_18offset_tEEE10hipError_tPvRmT1_PNSt15iterator_traitsISK_E10value_typeET2_T3_PNSL_ISQ_E10value_typeET4_jRbjT5_SW_jjP12ihipStream_tbEUlT_E_NS1_11comp_targetILNS1_3genE4ELNS1_11target_archE910ELNS1_3gpuE8ELNS1_3repE0EEENS1_30default_config_static_selectorELNS0_4arch9wavefront6targetE0EEEvSK_.numbered_sgpr, 0
	.set _ZN7rocprim17ROCPRIM_400000_NS6detail17trampoline_kernelINS0_14default_configENS1_36segmented_radix_sort_config_selectorIhlEEZNS1_25segmented_radix_sort_implIS3_Lb0EPKhPhPKlPlN2at6native12_GLOBAL__N_18offset_tEEE10hipError_tPvRmT1_PNSt15iterator_traitsISK_E10value_typeET2_T3_PNSL_ISQ_E10value_typeET4_jRbjT5_SW_jjP12ihipStream_tbEUlT_E_NS1_11comp_targetILNS1_3genE4ELNS1_11target_archE910ELNS1_3gpuE8ELNS1_3repE0EEENS1_30default_config_static_selectorELNS0_4arch9wavefront6targetE0EEEvSK_.num_named_barrier, 0
	.set _ZN7rocprim17ROCPRIM_400000_NS6detail17trampoline_kernelINS0_14default_configENS1_36segmented_radix_sort_config_selectorIhlEEZNS1_25segmented_radix_sort_implIS3_Lb0EPKhPhPKlPlN2at6native12_GLOBAL__N_18offset_tEEE10hipError_tPvRmT1_PNSt15iterator_traitsISK_E10value_typeET2_T3_PNSL_ISQ_E10value_typeET4_jRbjT5_SW_jjP12ihipStream_tbEUlT_E_NS1_11comp_targetILNS1_3genE4ELNS1_11target_archE910ELNS1_3gpuE8ELNS1_3repE0EEENS1_30default_config_static_selectorELNS0_4arch9wavefront6targetE0EEEvSK_.private_seg_size, 0
	.set _ZN7rocprim17ROCPRIM_400000_NS6detail17trampoline_kernelINS0_14default_configENS1_36segmented_radix_sort_config_selectorIhlEEZNS1_25segmented_radix_sort_implIS3_Lb0EPKhPhPKlPlN2at6native12_GLOBAL__N_18offset_tEEE10hipError_tPvRmT1_PNSt15iterator_traitsISK_E10value_typeET2_T3_PNSL_ISQ_E10value_typeET4_jRbjT5_SW_jjP12ihipStream_tbEUlT_E_NS1_11comp_targetILNS1_3genE4ELNS1_11target_archE910ELNS1_3gpuE8ELNS1_3repE0EEENS1_30default_config_static_selectorELNS0_4arch9wavefront6targetE0EEEvSK_.uses_vcc, 0
	.set _ZN7rocprim17ROCPRIM_400000_NS6detail17trampoline_kernelINS0_14default_configENS1_36segmented_radix_sort_config_selectorIhlEEZNS1_25segmented_radix_sort_implIS3_Lb0EPKhPhPKlPlN2at6native12_GLOBAL__N_18offset_tEEE10hipError_tPvRmT1_PNSt15iterator_traitsISK_E10value_typeET2_T3_PNSL_ISQ_E10value_typeET4_jRbjT5_SW_jjP12ihipStream_tbEUlT_E_NS1_11comp_targetILNS1_3genE4ELNS1_11target_archE910ELNS1_3gpuE8ELNS1_3repE0EEENS1_30default_config_static_selectorELNS0_4arch9wavefront6targetE0EEEvSK_.uses_flat_scratch, 0
	.set _ZN7rocprim17ROCPRIM_400000_NS6detail17trampoline_kernelINS0_14default_configENS1_36segmented_radix_sort_config_selectorIhlEEZNS1_25segmented_radix_sort_implIS3_Lb0EPKhPhPKlPlN2at6native12_GLOBAL__N_18offset_tEEE10hipError_tPvRmT1_PNSt15iterator_traitsISK_E10value_typeET2_T3_PNSL_ISQ_E10value_typeET4_jRbjT5_SW_jjP12ihipStream_tbEUlT_E_NS1_11comp_targetILNS1_3genE4ELNS1_11target_archE910ELNS1_3gpuE8ELNS1_3repE0EEENS1_30default_config_static_selectorELNS0_4arch9wavefront6targetE0EEEvSK_.has_dyn_sized_stack, 0
	.set _ZN7rocprim17ROCPRIM_400000_NS6detail17trampoline_kernelINS0_14default_configENS1_36segmented_radix_sort_config_selectorIhlEEZNS1_25segmented_radix_sort_implIS3_Lb0EPKhPhPKlPlN2at6native12_GLOBAL__N_18offset_tEEE10hipError_tPvRmT1_PNSt15iterator_traitsISK_E10value_typeET2_T3_PNSL_ISQ_E10value_typeET4_jRbjT5_SW_jjP12ihipStream_tbEUlT_E_NS1_11comp_targetILNS1_3genE4ELNS1_11target_archE910ELNS1_3gpuE8ELNS1_3repE0EEENS1_30default_config_static_selectorELNS0_4arch9wavefront6targetE0EEEvSK_.has_recursion, 0
	.set _ZN7rocprim17ROCPRIM_400000_NS6detail17trampoline_kernelINS0_14default_configENS1_36segmented_radix_sort_config_selectorIhlEEZNS1_25segmented_radix_sort_implIS3_Lb0EPKhPhPKlPlN2at6native12_GLOBAL__N_18offset_tEEE10hipError_tPvRmT1_PNSt15iterator_traitsISK_E10value_typeET2_T3_PNSL_ISQ_E10value_typeET4_jRbjT5_SW_jjP12ihipStream_tbEUlT_E_NS1_11comp_targetILNS1_3genE4ELNS1_11target_archE910ELNS1_3gpuE8ELNS1_3repE0EEENS1_30default_config_static_selectorELNS0_4arch9wavefront6targetE0EEEvSK_.has_indirect_call, 0
	.section	.AMDGPU.csdata,"",@progbits
; Kernel info:
; codeLenInByte = 0
; TotalNumSgprs: 0
; NumVgprs: 0
; ScratchSize: 0
; MemoryBound: 0
; FloatMode: 240
; IeeeMode: 1
; LDSByteSize: 0 bytes/workgroup (compile time only)
; SGPRBlocks: 0
; VGPRBlocks: 0
; NumSGPRsForWavesPerEU: 1
; NumVGPRsForWavesPerEU: 1
; NamedBarCnt: 0
; Occupancy: 16
; WaveLimiterHint : 0
; COMPUTE_PGM_RSRC2:SCRATCH_EN: 0
; COMPUTE_PGM_RSRC2:USER_SGPR: 2
; COMPUTE_PGM_RSRC2:TRAP_HANDLER: 0
; COMPUTE_PGM_RSRC2:TGID_X_EN: 1
; COMPUTE_PGM_RSRC2:TGID_Y_EN: 0
; COMPUTE_PGM_RSRC2:TGID_Z_EN: 0
; COMPUTE_PGM_RSRC2:TIDIG_COMP_CNT: 0
	.section	.text._ZN7rocprim17ROCPRIM_400000_NS6detail17trampoline_kernelINS0_14default_configENS1_36segmented_radix_sort_config_selectorIhlEEZNS1_25segmented_radix_sort_implIS3_Lb0EPKhPhPKlPlN2at6native12_GLOBAL__N_18offset_tEEE10hipError_tPvRmT1_PNSt15iterator_traitsISK_E10value_typeET2_T3_PNSL_ISQ_E10value_typeET4_jRbjT5_SW_jjP12ihipStream_tbEUlT_E_NS1_11comp_targetILNS1_3genE3ELNS1_11target_archE908ELNS1_3gpuE7ELNS1_3repE0EEENS1_30default_config_static_selectorELNS0_4arch9wavefront6targetE0EEEvSK_,"axG",@progbits,_ZN7rocprim17ROCPRIM_400000_NS6detail17trampoline_kernelINS0_14default_configENS1_36segmented_radix_sort_config_selectorIhlEEZNS1_25segmented_radix_sort_implIS3_Lb0EPKhPhPKlPlN2at6native12_GLOBAL__N_18offset_tEEE10hipError_tPvRmT1_PNSt15iterator_traitsISK_E10value_typeET2_T3_PNSL_ISQ_E10value_typeET4_jRbjT5_SW_jjP12ihipStream_tbEUlT_E_NS1_11comp_targetILNS1_3genE3ELNS1_11target_archE908ELNS1_3gpuE7ELNS1_3repE0EEENS1_30default_config_static_selectorELNS0_4arch9wavefront6targetE0EEEvSK_,comdat
	.globl	_ZN7rocprim17ROCPRIM_400000_NS6detail17trampoline_kernelINS0_14default_configENS1_36segmented_radix_sort_config_selectorIhlEEZNS1_25segmented_radix_sort_implIS3_Lb0EPKhPhPKlPlN2at6native12_GLOBAL__N_18offset_tEEE10hipError_tPvRmT1_PNSt15iterator_traitsISK_E10value_typeET2_T3_PNSL_ISQ_E10value_typeET4_jRbjT5_SW_jjP12ihipStream_tbEUlT_E_NS1_11comp_targetILNS1_3genE3ELNS1_11target_archE908ELNS1_3gpuE7ELNS1_3repE0EEENS1_30default_config_static_selectorELNS0_4arch9wavefront6targetE0EEEvSK_ ; -- Begin function _ZN7rocprim17ROCPRIM_400000_NS6detail17trampoline_kernelINS0_14default_configENS1_36segmented_radix_sort_config_selectorIhlEEZNS1_25segmented_radix_sort_implIS3_Lb0EPKhPhPKlPlN2at6native12_GLOBAL__N_18offset_tEEE10hipError_tPvRmT1_PNSt15iterator_traitsISK_E10value_typeET2_T3_PNSL_ISQ_E10value_typeET4_jRbjT5_SW_jjP12ihipStream_tbEUlT_E_NS1_11comp_targetILNS1_3genE3ELNS1_11target_archE908ELNS1_3gpuE7ELNS1_3repE0EEENS1_30default_config_static_selectorELNS0_4arch9wavefront6targetE0EEEvSK_
	.p2align	8
	.type	_ZN7rocprim17ROCPRIM_400000_NS6detail17trampoline_kernelINS0_14default_configENS1_36segmented_radix_sort_config_selectorIhlEEZNS1_25segmented_radix_sort_implIS3_Lb0EPKhPhPKlPlN2at6native12_GLOBAL__N_18offset_tEEE10hipError_tPvRmT1_PNSt15iterator_traitsISK_E10value_typeET2_T3_PNSL_ISQ_E10value_typeET4_jRbjT5_SW_jjP12ihipStream_tbEUlT_E_NS1_11comp_targetILNS1_3genE3ELNS1_11target_archE908ELNS1_3gpuE7ELNS1_3repE0EEENS1_30default_config_static_selectorELNS0_4arch9wavefront6targetE0EEEvSK_,@function
_ZN7rocprim17ROCPRIM_400000_NS6detail17trampoline_kernelINS0_14default_configENS1_36segmented_radix_sort_config_selectorIhlEEZNS1_25segmented_radix_sort_implIS3_Lb0EPKhPhPKlPlN2at6native12_GLOBAL__N_18offset_tEEE10hipError_tPvRmT1_PNSt15iterator_traitsISK_E10value_typeET2_T3_PNSL_ISQ_E10value_typeET4_jRbjT5_SW_jjP12ihipStream_tbEUlT_E_NS1_11comp_targetILNS1_3genE3ELNS1_11target_archE908ELNS1_3gpuE7ELNS1_3repE0EEENS1_30default_config_static_selectorELNS0_4arch9wavefront6targetE0EEEvSK_: ; @_ZN7rocprim17ROCPRIM_400000_NS6detail17trampoline_kernelINS0_14default_configENS1_36segmented_radix_sort_config_selectorIhlEEZNS1_25segmented_radix_sort_implIS3_Lb0EPKhPhPKlPlN2at6native12_GLOBAL__N_18offset_tEEE10hipError_tPvRmT1_PNSt15iterator_traitsISK_E10value_typeET2_T3_PNSL_ISQ_E10value_typeET4_jRbjT5_SW_jjP12ihipStream_tbEUlT_E_NS1_11comp_targetILNS1_3genE3ELNS1_11target_archE908ELNS1_3gpuE7ELNS1_3repE0EEENS1_30default_config_static_selectorELNS0_4arch9wavefront6targetE0EEEvSK_
; %bb.0:
	.section	.rodata,"a",@progbits
	.p2align	6, 0x0
	.amdhsa_kernel _ZN7rocprim17ROCPRIM_400000_NS6detail17trampoline_kernelINS0_14default_configENS1_36segmented_radix_sort_config_selectorIhlEEZNS1_25segmented_radix_sort_implIS3_Lb0EPKhPhPKlPlN2at6native12_GLOBAL__N_18offset_tEEE10hipError_tPvRmT1_PNSt15iterator_traitsISK_E10value_typeET2_T3_PNSL_ISQ_E10value_typeET4_jRbjT5_SW_jjP12ihipStream_tbEUlT_E_NS1_11comp_targetILNS1_3genE3ELNS1_11target_archE908ELNS1_3gpuE7ELNS1_3repE0EEENS1_30default_config_static_selectorELNS0_4arch9wavefront6targetE0EEEvSK_
		.amdhsa_group_segment_fixed_size 0
		.amdhsa_private_segment_fixed_size 0
		.amdhsa_kernarg_size 96
		.amdhsa_user_sgpr_count 2
		.amdhsa_user_sgpr_dispatch_ptr 0
		.amdhsa_user_sgpr_queue_ptr 0
		.amdhsa_user_sgpr_kernarg_segment_ptr 1
		.amdhsa_user_sgpr_dispatch_id 0
		.amdhsa_user_sgpr_kernarg_preload_length 0
		.amdhsa_user_sgpr_kernarg_preload_offset 0
		.amdhsa_user_sgpr_private_segment_size 0
		.amdhsa_wavefront_size32 1
		.amdhsa_uses_dynamic_stack 0
		.amdhsa_enable_private_segment 0
		.amdhsa_system_sgpr_workgroup_id_x 1
		.amdhsa_system_sgpr_workgroup_id_y 0
		.amdhsa_system_sgpr_workgroup_id_z 0
		.amdhsa_system_sgpr_workgroup_info 0
		.amdhsa_system_vgpr_workitem_id 0
		.amdhsa_next_free_vgpr 1
		.amdhsa_next_free_sgpr 1
		.amdhsa_named_barrier_count 0
		.amdhsa_reserve_vcc 0
		.amdhsa_float_round_mode_32 0
		.amdhsa_float_round_mode_16_64 0
		.amdhsa_float_denorm_mode_32 3
		.amdhsa_float_denorm_mode_16_64 3
		.amdhsa_fp16_overflow 0
		.amdhsa_memory_ordered 1
		.amdhsa_forward_progress 1
		.amdhsa_inst_pref_size 0
		.amdhsa_round_robin_scheduling 0
		.amdhsa_exception_fp_ieee_invalid_op 0
		.amdhsa_exception_fp_denorm_src 0
		.amdhsa_exception_fp_ieee_div_zero 0
		.amdhsa_exception_fp_ieee_overflow 0
		.amdhsa_exception_fp_ieee_underflow 0
		.amdhsa_exception_fp_ieee_inexact 0
		.amdhsa_exception_int_div_zero 0
	.end_amdhsa_kernel
	.section	.text._ZN7rocprim17ROCPRIM_400000_NS6detail17trampoline_kernelINS0_14default_configENS1_36segmented_radix_sort_config_selectorIhlEEZNS1_25segmented_radix_sort_implIS3_Lb0EPKhPhPKlPlN2at6native12_GLOBAL__N_18offset_tEEE10hipError_tPvRmT1_PNSt15iterator_traitsISK_E10value_typeET2_T3_PNSL_ISQ_E10value_typeET4_jRbjT5_SW_jjP12ihipStream_tbEUlT_E_NS1_11comp_targetILNS1_3genE3ELNS1_11target_archE908ELNS1_3gpuE7ELNS1_3repE0EEENS1_30default_config_static_selectorELNS0_4arch9wavefront6targetE0EEEvSK_,"axG",@progbits,_ZN7rocprim17ROCPRIM_400000_NS6detail17trampoline_kernelINS0_14default_configENS1_36segmented_radix_sort_config_selectorIhlEEZNS1_25segmented_radix_sort_implIS3_Lb0EPKhPhPKlPlN2at6native12_GLOBAL__N_18offset_tEEE10hipError_tPvRmT1_PNSt15iterator_traitsISK_E10value_typeET2_T3_PNSL_ISQ_E10value_typeET4_jRbjT5_SW_jjP12ihipStream_tbEUlT_E_NS1_11comp_targetILNS1_3genE3ELNS1_11target_archE908ELNS1_3gpuE7ELNS1_3repE0EEENS1_30default_config_static_selectorELNS0_4arch9wavefront6targetE0EEEvSK_,comdat
.Lfunc_end189:
	.size	_ZN7rocprim17ROCPRIM_400000_NS6detail17trampoline_kernelINS0_14default_configENS1_36segmented_radix_sort_config_selectorIhlEEZNS1_25segmented_radix_sort_implIS3_Lb0EPKhPhPKlPlN2at6native12_GLOBAL__N_18offset_tEEE10hipError_tPvRmT1_PNSt15iterator_traitsISK_E10value_typeET2_T3_PNSL_ISQ_E10value_typeET4_jRbjT5_SW_jjP12ihipStream_tbEUlT_E_NS1_11comp_targetILNS1_3genE3ELNS1_11target_archE908ELNS1_3gpuE7ELNS1_3repE0EEENS1_30default_config_static_selectorELNS0_4arch9wavefront6targetE0EEEvSK_, .Lfunc_end189-_ZN7rocprim17ROCPRIM_400000_NS6detail17trampoline_kernelINS0_14default_configENS1_36segmented_radix_sort_config_selectorIhlEEZNS1_25segmented_radix_sort_implIS3_Lb0EPKhPhPKlPlN2at6native12_GLOBAL__N_18offset_tEEE10hipError_tPvRmT1_PNSt15iterator_traitsISK_E10value_typeET2_T3_PNSL_ISQ_E10value_typeET4_jRbjT5_SW_jjP12ihipStream_tbEUlT_E_NS1_11comp_targetILNS1_3genE3ELNS1_11target_archE908ELNS1_3gpuE7ELNS1_3repE0EEENS1_30default_config_static_selectorELNS0_4arch9wavefront6targetE0EEEvSK_
                                        ; -- End function
	.set _ZN7rocprim17ROCPRIM_400000_NS6detail17trampoline_kernelINS0_14default_configENS1_36segmented_radix_sort_config_selectorIhlEEZNS1_25segmented_radix_sort_implIS3_Lb0EPKhPhPKlPlN2at6native12_GLOBAL__N_18offset_tEEE10hipError_tPvRmT1_PNSt15iterator_traitsISK_E10value_typeET2_T3_PNSL_ISQ_E10value_typeET4_jRbjT5_SW_jjP12ihipStream_tbEUlT_E_NS1_11comp_targetILNS1_3genE3ELNS1_11target_archE908ELNS1_3gpuE7ELNS1_3repE0EEENS1_30default_config_static_selectorELNS0_4arch9wavefront6targetE0EEEvSK_.num_vgpr, 0
	.set _ZN7rocprim17ROCPRIM_400000_NS6detail17trampoline_kernelINS0_14default_configENS1_36segmented_radix_sort_config_selectorIhlEEZNS1_25segmented_radix_sort_implIS3_Lb0EPKhPhPKlPlN2at6native12_GLOBAL__N_18offset_tEEE10hipError_tPvRmT1_PNSt15iterator_traitsISK_E10value_typeET2_T3_PNSL_ISQ_E10value_typeET4_jRbjT5_SW_jjP12ihipStream_tbEUlT_E_NS1_11comp_targetILNS1_3genE3ELNS1_11target_archE908ELNS1_3gpuE7ELNS1_3repE0EEENS1_30default_config_static_selectorELNS0_4arch9wavefront6targetE0EEEvSK_.num_agpr, 0
	.set _ZN7rocprim17ROCPRIM_400000_NS6detail17trampoline_kernelINS0_14default_configENS1_36segmented_radix_sort_config_selectorIhlEEZNS1_25segmented_radix_sort_implIS3_Lb0EPKhPhPKlPlN2at6native12_GLOBAL__N_18offset_tEEE10hipError_tPvRmT1_PNSt15iterator_traitsISK_E10value_typeET2_T3_PNSL_ISQ_E10value_typeET4_jRbjT5_SW_jjP12ihipStream_tbEUlT_E_NS1_11comp_targetILNS1_3genE3ELNS1_11target_archE908ELNS1_3gpuE7ELNS1_3repE0EEENS1_30default_config_static_selectorELNS0_4arch9wavefront6targetE0EEEvSK_.numbered_sgpr, 0
	.set _ZN7rocprim17ROCPRIM_400000_NS6detail17trampoline_kernelINS0_14default_configENS1_36segmented_radix_sort_config_selectorIhlEEZNS1_25segmented_radix_sort_implIS3_Lb0EPKhPhPKlPlN2at6native12_GLOBAL__N_18offset_tEEE10hipError_tPvRmT1_PNSt15iterator_traitsISK_E10value_typeET2_T3_PNSL_ISQ_E10value_typeET4_jRbjT5_SW_jjP12ihipStream_tbEUlT_E_NS1_11comp_targetILNS1_3genE3ELNS1_11target_archE908ELNS1_3gpuE7ELNS1_3repE0EEENS1_30default_config_static_selectorELNS0_4arch9wavefront6targetE0EEEvSK_.num_named_barrier, 0
	.set _ZN7rocprim17ROCPRIM_400000_NS6detail17trampoline_kernelINS0_14default_configENS1_36segmented_radix_sort_config_selectorIhlEEZNS1_25segmented_radix_sort_implIS3_Lb0EPKhPhPKlPlN2at6native12_GLOBAL__N_18offset_tEEE10hipError_tPvRmT1_PNSt15iterator_traitsISK_E10value_typeET2_T3_PNSL_ISQ_E10value_typeET4_jRbjT5_SW_jjP12ihipStream_tbEUlT_E_NS1_11comp_targetILNS1_3genE3ELNS1_11target_archE908ELNS1_3gpuE7ELNS1_3repE0EEENS1_30default_config_static_selectorELNS0_4arch9wavefront6targetE0EEEvSK_.private_seg_size, 0
	.set _ZN7rocprim17ROCPRIM_400000_NS6detail17trampoline_kernelINS0_14default_configENS1_36segmented_radix_sort_config_selectorIhlEEZNS1_25segmented_radix_sort_implIS3_Lb0EPKhPhPKlPlN2at6native12_GLOBAL__N_18offset_tEEE10hipError_tPvRmT1_PNSt15iterator_traitsISK_E10value_typeET2_T3_PNSL_ISQ_E10value_typeET4_jRbjT5_SW_jjP12ihipStream_tbEUlT_E_NS1_11comp_targetILNS1_3genE3ELNS1_11target_archE908ELNS1_3gpuE7ELNS1_3repE0EEENS1_30default_config_static_selectorELNS0_4arch9wavefront6targetE0EEEvSK_.uses_vcc, 0
	.set _ZN7rocprim17ROCPRIM_400000_NS6detail17trampoline_kernelINS0_14default_configENS1_36segmented_radix_sort_config_selectorIhlEEZNS1_25segmented_radix_sort_implIS3_Lb0EPKhPhPKlPlN2at6native12_GLOBAL__N_18offset_tEEE10hipError_tPvRmT1_PNSt15iterator_traitsISK_E10value_typeET2_T3_PNSL_ISQ_E10value_typeET4_jRbjT5_SW_jjP12ihipStream_tbEUlT_E_NS1_11comp_targetILNS1_3genE3ELNS1_11target_archE908ELNS1_3gpuE7ELNS1_3repE0EEENS1_30default_config_static_selectorELNS0_4arch9wavefront6targetE0EEEvSK_.uses_flat_scratch, 0
	.set _ZN7rocprim17ROCPRIM_400000_NS6detail17trampoline_kernelINS0_14default_configENS1_36segmented_radix_sort_config_selectorIhlEEZNS1_25segmented_radix_sort_implIS3_Lb0EPKhPhPKlPlN2at6native12_GLOBAL__N_18offset_tEEE10hipError_tPvRmT1_PNSt15iterator_traitsISK_E10value_typeET2_T3_PNSL_ISQ_E10value_typeET4_jRbjT5_SW_jjP12ihipStream_tbEUlT_E_NS1_11comp_targetILNS1_3genE3ELNS1_11target_archE908ELNS1_3gpuE7ELNS1_3repE0EEENS1_30default_config_static_selectorELNS0_4arch9wavefront6targetE0EEEvSK_.has_dyn_sized_stack, 0
	.set _ZN7rocprim17ROCPRIM_400000_NS6detail17trampoline_kernelINS0_14default_configENS1_36segmented_radix_sort_config_selectorIhlEEZNS1_25segmented_radix_sort_implIS3_Lb0EPKhPhPKlPlN2at6native12_GLOBAL__N_18offset_tEEE10hipError_tPvRmT1_PNSt15iterator_traitsISK_E10value_typeET2_T3_PNSL_ISQ_E10value_typeET4_jRbjT5_SW_jjP12ihipStream_tbEUlT_E_NS1_11comp_targetILNS1_3genE3ELNS1_11target_archE908ELNS1_3gpuE7ELNS1_3repE0EEENS1_30default_config_static_selectorELNS0_4arch9wavefront6targetE0EEEvSK_.has_recursion, 0
	.set _ZN7rocprim17ROCPRIM_400000_NS6detail17trampoline_kernelINS0_14default_configENS1_36segmented_radix_sort_config_selectorIhlEEZNS1_25segmented_radix_sort_implIS3_Lb0EPKhPhPKlPlN2at6native12_GLOBAL__N_18offset_tEEE10hipError_tPvRmT1_PNSt15iterator_traitsISK_E10value_typeET2_T3_PNSL_ISQ_E10value_typeET4_jRbjT5_SW_jjP12ihipStream_tbEUlT_E_NS1_11comp_targetILNS1_3genE3ELNS1_11target_archE908ELNS1_3gpuE7ELNS1_3repE0EEENS1_30default_config_static_selectorELNS0_4arch9wavefront6targetE0EEEvSK_.has_indirect_call, 0
	.section	.AMDGPU.csdata,"",@progbits
; Kernel info:
; codeLenInByte = 0
; TotalNumSgprs: 0
; NumVgprs: 0
; ScratchSize: 0
; MemoryBound: 0
; FloatMode: 240
; IeeeMode: 1
; LDSByteSize: 0 bytes/workgroup (compile time only)
; SGPRBlocks: 0
; VGPRBlocks: 0
; NumSGPRsForWavesPerEU: 1
; NumVGPRsForWavesPerEU: 1
; NamedBarCnt: 0
; Occupancy: 16
; WaveLimiterHint : 0
; COMPUTE_PGM_RSRC2:SCRATCH_EN: 0
; COMPUTE_PGM_RSRC2:USER_SGPR: 2
; COMPUTE_PGM_RSRC2:TRAP_HANDLER: 0
; COMPUTE_PGM_RSRC2:TGID_X_EN: 1
; COMPUTE_PGM_RSRC2:TGID_Y_EN: 0
; COMPUTE_PGM_RSRC2:TGID_Z_EN: 0
; COMPUTE_PGM_RSRC2:TIDIG_COMP_CNT: 0
	.section	.text._ZN7rocprim17ROCPRIM_400000_NS6detail17trampoline_kernelINS0_14default_configENS1_36segmented_radix_sort_config_selectorIhlEEZNS1_25segmented_radix_sort_implIS3_Lb0EPKhPhPKlPlN2at6native12_GLOBAL__N_18offset_tEEE10hipError_tPvRmT1_PNSt15iterator_traitsISK_E10value_typeET2_T3_PNSL_ISQ_E10value_typeET4_jRbjT5_SW_jjP12ihipStream_tbEUlT_E_NS1_11comp_targetILNS1_3genE2ELNS1_11target_archE906ELNS1_3gpuE6ELNS1_3repE0EEENS1_30default_config_static_selectorELNS0_4arch9wavefront6targetE0EEEvSK_,"axG",@progbits,_ZN7rocprim17ROCPRIM_400000_NS6detail17trampoline_kernelINS0_14default_configENS1_36segmented_radix_sort_config_selectorIhlEEZNS1_25segmented_radix_sort_implIS3_Lb0EPKhPhPKlPlN2at6native12_GLOBAL__N_18offset_tEEE10hipError_tPvRmT1_PNSt15iterator_traitsISK_E10value_typeET2_T3_PNSL_ISQ_E10value_typeET4_jRbjT5_SW_jjP12ihipStream_tbEUlT_E_NS1_11comp_targetILNS1_3genE2ELNS1_11target_archE906ELNS1_3gpuE6ELNS1_3repE0EEENS1_30default_config_static_selectorELNS0_4arch9wavefront6targetE0EEEvSK_,comdat
	.globl	_ZN7rocprim17ROCPRIM_400000_NS6detail17trampoline_kernelINS0_14default_configENS1_36segmented_radix_sort_config_selectorIhlEEZNS1_25segmented_radix_sort_implIS3_Lb0EPKhPhPKlPlN2at6native12_GLOBAL__N_18offset_tEEE10hipError_tPvRmT1_PNSt15iterator_traitsISK_E10value_typeET2_T3_PNSL_ISQ_E10value_typeET4_jRbjT5_SW_jjP12ihipStream_tbEUlT_E_NS1_11comp_targetILNS1_3genE2ELNS1_11target_archE906ELNS1_3gpuE6ELNS1_3repE0EEENS1_30default_config_static_selectorELNS0_4arch9wavefront6targetE0EEEvSK_ ; -- Begin function _ZN7rocprim17ROCPRIM_400000_NS6detail17trampoline_kernelINS0_14default_configENS1_36segmented_radix_sort_config_selectorIhlEEZNS1_25segmented_radix_sort_implIS3_Lb0EPKhPhPKlPlN2at6native12_GLOBAL__N_18offset_tEEE10hipError_tPvRmT1_PNSt15iterator_traitsISK_E10value_typeET2_T3_PNSL_ISQ_E10value_typeET4_jRbjT5_SW_jjP12ihipStream_tbEUlT_E_NS1_11comp_targetILNS1_3genE2ELNS1_11target_archE906ELNS1_3gpuE6ELNS1_3repE0EEENS1_30default_config_static_selectorELNS0_4arch9wavefront6targetE0EEEvSK_
	.p2align	8
	.type	_ZN7rocprim17ROCPRIM_400000_NS6detail17trampoline_kernelINS0_14default_configENS1_36segmented_radix_sort_config_selectorIhlEEZNS1_25segmented_radix_sort_implIS3_Lb0EPKhPhPKlPlN2at6native12_GLOBAL__N_18offset_tEEE10hipError_tPvRmT1_PNSt15iterator_traitsISK_E10value_typeET2_T3_PNSL_ISQ_E10value_typeET4_jRbjT5_SW_jjP12ihipStream_tbEUlT_E_NS1_11comp_targetILNS1_3genE2ELNS1_11target_archE906ELNS1_3gpuE6ELNS1_3repE0EEENS1_30default_config_static_selectorELNS0_4arch9wavefront6targetE0EEEvSK_,@function
_ZN7rocprim17ROCPRIM_400000_NS6detail17trampoline_kernelINS0_14default_configENS1_36segmented_radix_sort_config_selectorIhlEEZNS1_25segmented_radix_sort_implIS3_Lb0EPKhPhPKlPlN2at6native12_GLOBAL__N_18offset_tEEE10hipError_tPvRmT1_PNSt15iterator_traitsISK_E10value_typeET2_T3_PNSL_ISQ_E10value_typeET4_jRbjT5_SW_jjP12ihipStream_tbEUlT_E_NS1_11comp_targetILNS1_3genE2ELNS1_11target_archE906ELNS1_3gpuE6ELNS1_3repE0EEENS1_30default_config_static_selectorELNS0_4arch9wavefront6targetE0EEEvSK_: ; @_ZN7rocprim17ROCPRIM_400000_NS6detail17trampoline_kernelINS0_14default_configENS1_36segmented_radix_sort_config_selectorIhlEEZNS1_25segmented_radix_sort_implIS3_Lb0EPKhPhPKlPlN2at6native12_GLOBAL__N_18offset_tEEE10hipError_tPvRmT1_PNSt15iterator_traitsISK_E10value_typeET2_T3_PNSL_ISQ_E10value_typeET4_jRbjT5_SW_jjP12ihipStream_tbEUlT_E_NS1_11comp_targetILNS1_3genE2ELNS1_11target_archE906ELNS1_3gpuE6ELNS1_3repE0EEENS1_30default_config_static_selectorELNS0_4arch9wavefront6targetE0EEEvSK_
; %bb.0:
	.section	.rodata,"a",@progbits
	.p2align	6, 0x0
	.amdhsa_kernel _ZN7rocprim17ROCPRIM_400000_NS6detail17trampoline_kernelINS0_14default_configENS1_36segmented_radix_sort_config_selectorIhlEEZNS1_25segmented_radix_sort_implIS3_Lb0EPKhPhPKlPlN2at6native12_GLOBAL__N_18offset_tEEE10hipError_tPvRmT1_PNSt15iterator_traitsISK_E10value_typeET2_T3_PNSL_ISQ_E10value_typeET4_jRbjT5_SW_jjP12ihipStream_tbEUlT_E_NS1_11comp_targetILNS1_3genE2ELNS1_11target_archE906ELNS1_3gpuE6ELNS1_3repE0EEENS1_30default_config_static_selectorELNS0_4arch9wavefront6targetE0EEEvSK_
		.amdhsa_group_segment_fixed_size 0
		.amdhsa_private_segment_fixed_size 0
		.amdhsa_kernarg_size 96
		.amdhsa_user_sgpr_count 2
		.amdhsa_user_sgpr_dispatch_ptr 0
		.amdhsa_user_sgpr_queue_ptr 0
		.amdhsa_user_sgpr_kernarg_segment_ptr 1
		.amdhsa_user_sgpr_dispatch_id 0
		.amdhsa_user_sgpr_kernarg_preload_length 0
		.amdhsa_user_sgpr_kernarg_preload_offset 0
		.amdhsa_user_sgpr_private_segment_size 0
		.amdhsa_wavefront_size32 1
		.amdhsa_uses_dynamic_stack 0
		.amdhsa_enable_private_segment 0
		.amdhsa_system_sgpr_workgroup_id_x 1
		.amdhsa_system_sgpr_workgroup_id_y 0
		.amdhsa_system_sgpr_workgroup_id_z 0
		.amdhsa_system_sgpr_workgroup_info 0
		.amdhsa_system_vgpr_workitem_id 0
		.amdhsa_next_free_vgpr 1
		.amdhsa_next_free_sgpr 1
		.amdhsa_named_barrier_count 0
		.amdhsa_reserve_vcc 0
		.amdhsa_float_round_mode_32 0
		.amdhsa_float_round_mode_16_64 0
		.amdhsa_float_denorm_mode_32 3
		.amdhsa_float_denorm_mode_16_64 3
		.amdhsa_fp16_overflow 0
		.amdhsa_memory_ordered 1
		.amdhsa_forward_progress 1
		.amdhsa_inst_pref_size 0
		.amdhsa_round_robin_scheduling 0
		.amdhsa_exception_fp_ieee_invalid_op 0
		.amdhsa_exception_fp_denorm_src 0
		.amdhsa_exception_fp_ieee_div_zero 0
		.amdhsa_exception_fp_ieee_overflow 0
		.amdhsa_exception_fp_ieee_underflow 0
		.amdhsa_exception_fp_ieee_inexact 0
		.amdhsa_exception_int_div_zero 0
	.end_amdhsa_kernel
	.section	.text._ZN7rocprim17ROCPRIM_400000_NS6detail17trampoline_kernelINS0_14default_configENS1_36segmented_radix_sort_config_selectorIhlEEZNS1_25segmented_radix_sort_implIS3_Lb0EPKhPhPKlPlN2at6native12_GLOBAL__N_18offset_tEEE10hipError_tPvRmT1_PNSt15iterator_traitsISK_E10value_typeET2_T3_PNSL_ISQ_E10value_typeET4_jRbjT5_SW_jjP12ihipStream_tbEUlT_E_NS1_11comp_targetILNS1_3genE2ELNS1_11target_archE906ELNS1_3gpuE6ELNS1_3repE0EEENS1_30default_config_static_selectorELNS0_4arch9wavefront6targetE0EEEvSK_,"axG",@progbits,_ZN7rocprim17ROCPRIM_400000_NS6detail17trampoline_kernelINS0_14default_configENS1_36segmented_radix_sort_config_selectorIhlEEZNS1_25segmented_radix_sort_implIS3_Lb0EPKhPhPKlPlN2at6native12_GLOBAL__N_18offset_tEEE10hipError_tPvRmT1_PNSt15iterator_traitsISK_E10value_typeET2_T3_PNSL_ISQ_E10value_typeET4_jRbjT5_SW_jjP12ihipStream_tbEUlT_E_NS1_11comp_targetILNS1_3genE2ELNS1_11target_archE906ELNS1_3gpuE6ELNS1_3repE0EEENS1_30default_config_static_selectorELNS0_4arch9wavefront6targetE0EEEvSK_,comdat
.Lfunc_end190:
	.size	_ZN7rocprim17ROCPRIM_400000_NS6detail17trampoline_kernelINS0_14default_configENS1_36segmented_radix_sort_config_selectorIhlEEZNS1_25segmented_radix_sort_implIS3_Lb0EPKhPhPKlPlN2at6native12_GLOBAL__N_18offset_tEEE10hipError_tPvRmT1_PNSt15iterator_traitsISK_E10value_typeET2_T3_PNSL_ISQ_E10value_typeET4_jRbjT5_SW_jjP12ihipStream_tbEUlT_E_NS1_11comp_targetILNS1_3genE2ELNS1_11target_archE906ELNS1_3gpuE6ELNS1_3repE0EEENS1_30default_config_static_selectorELNS0_4arch9wavefront6targetE0EEEvSK_, .Lfunc_end190-_ZN7rocprim17ROCPRIM_400000_NS6detail17trampoline_kernelINS0_14default_configENS1_36segmented_radix_sort_config_selectorIhlEEZNS1_25segmented_radix_sort_implIS3_Lb0EPKhPhPKlPlN2at6native12_GLOBAL__N_18offset_tEEE10hipError_tPvRmT1_PNSt15iterator_traitsISK_E10value_typeET2_T3_PNSL_ISQ_E10value_typeET4_jRbjT5_SW_jjP12ihipStream_tbEUlT_E_NS1_11comp_targetILNS1_3genE2ELNS1_11target_archE906ELNS1_3gpuE6ELNS1_3repE0EEENS1_30default_config_static_selectorELNS0_4arch9wavefront6targetE0EEEvSK_
                                        ; -- End function
	.set _ZN7rocprim17ROCPRIM_400000_NS6detail17trampoline_kernelINS0_14default_configENS1_36segmented_radix_sort_config_selectorIhlEEZNS1_25segmented_radix_sort_implIS3_Lb0EPKhPhPKlPlN2at6native12_GLOBAL__N_18offset_tEEE10hipError_tPvRmT1_PNSt15iterator_traitsISK_E10value_typeET2_T3_PNSL_ISQ_E10value_typeET4_jRbjT5_SW_jjP12ihipStream_tbEUlT_E_NS1_11comp_targetILNS1_3genE2ELNS1_11target_archE906ELNS1_3gpuE6ELNS1_3repE0EEENS1_30default_config_static_selectorELNS0_4arch9wavefront6targetE0EEEvSK_.num_vgpr, 0
	.set _ZN7rocprim17ROCPRIM_400000_NS6detail17trampoline_kernelINS0_14default_configENS1_36segmented_radix_sort_config_selectorIhlEEZNS1_25segmented_radix_sort_implIS3_Lb0EPKhPhPKlPlN2at6native12_GLOBAL__N_18offset_tEEE10hipError_tPvRmT1_PNSt15iterator_traitsISK_E10value_typeET2_T3_PNSL_ISQ_E10value_typeET4_jRbjT5_SW_jjP12ihipStream_tbEUlT_E_NS1_11comp_targetILNS1_3genE2ELNS1_11target_archE906ELNS1_3gpuE6ELNS1_3repE0EEENS1_30default_config_static_selectorELNS0_4arch9wavefront6targetE0EEEvSK_.num_agpr, 0
	.set _ZN7rocprim17ROCPRIM_400000_NS6detail17trampoline_kernelINS0_14default_configENS1_36segmented_radix_sort_config_selectorIhlEEZNS1_25segmented_radix_sort_implIS3_Lb0EPKhPhPKlPlN2at6native12_GLOBAL__N_18offset_tEEE10hipError_tPvRmT1_PNSt15iterator_traitsISK_E10value_typeET2_T3_PNSL_ISQ_E10value_typeET4_jRbjT5_SW_jjP12ihipStream_tbEUlT_E_NS1_11comp_targetILNS1_3genE2ELNS1_11target_archE906ELNS1_3gpuE6ELNS1_3repE0EEENS1_30default_config_static_selectorELNS0_4arch9wavefront6targetE0EEEvSK_.numbered_sgpr, 0
	.set _ZN7rocprim17ROCPRIM_400000_NS6detail17trampoline_kernelINS0_14default_configENS1_36segmented_radix_sort_config_selectorIhlEEZNS1_25segmented_radix_sort_implIS3_Lb0EPKhPhPKlPlN2at6native12_GLOBAL__N_18offset_tEEE10hipError_tPvRmT1_PNSt15iterator_traitsISK_E10value_typeET2_T3_PNSL_ISQ_E10value_typeET4_jRbjT5_SW_jjP12ihipStream_tbEUlT_E_NS1_11comp_targetILNS1_3genE2ELNS1_11target_archE906ELNS1_3gpuE6ELNS1_3repE0EEENS1_30default_config_static_selectorELNS0_4arch9wavefront6targetE0EEEvSK_.num_named_barrier, 0
	.set _ZN7rocprim17ROCPRIM_400000_NS6detail17trampoline_kernelINS0_14default_configENS1_36segmented_radix_sort_config_selectorIhlEEZNS1_25segmented_radix_sort_implIS3_Lb0EPKhPhPKlPlN2at6native12_GLOBAL__N_18offset_tEEE10hipError_tPvRmT1_PNSt15iterator_traitsISK_E10value_typeET2_T3_PNSL_ISQ_E10value_typeET4_jRbjT5_SW_jjP12ihipStream_tbEUlT_E_NS1_11comp_targetILNS1_3genE2ELNS1_11target_archE906ELNS1_3gpuE6ELNS1_3repE0EEENS1_30default_config_static_selectorELNS0_4arch9wavefront6targetE0EEEvSK_.private_seg_size, 0
	.set _ZN7rocprim17ROCPRIM_400000_NS6detail17trampoline_kernelINS0_14default_configENS1_36segmented_radix_sort_config_selectorIhlEEZNS1_25segmented_radix_sort_implIS3_Lb0EPKhPhPKlPlN2at6native12_GLOBAL__N_18offset_tEEE10hipError_tPvRmT1_PNSt15iterator_traitsISK_E10value_typeET2_T3_PNSL_ISQ_E10value_typeET4_jRbjT5_SW_jjP12ihipStream_tbEUlT_E_NS1_11comp_targetILNS1_3genE2ELNS1_11target_archE906ELNS1_3gpuE6ELNS1_3repE0EEENS1_30default_config_static_selectorELNS0_4arch9wavefront6targetE0EEEvSK_.uses_vcc, 0
	.set _ZN7rocprim17ROCPRIM_400000_NS6detail17trampoline_kernelINS0_14default_configENS1_36segmented_radix_sort_config_selectorIhlEEZNS1_25segmented_radix_sort_implIS3_Lb0EPKhPhPKlPlN2at6native12_GLOBAL__N_18offset_tEEE10hipError_tPvRmT1_PNSt15iterator_traitsISK_E10value_typeET2_T3_PNSL_ISQ_E10value_typeET4_jRbjT5_SW_jjP12ihipStream_tbEUlT_E_NS1_11comp_targetILNS1_3genE2ELNS1_11target_archE906ELNS1_3gpuE6ELNS1_3repE0EEENS1_30default_config_static_selectorELNS0_4arch9wavefront6targetE0EEEvSK_.uses_flat_scratch, 0
	.set _ZN7rocprim17ROCPRIM_400000_NS6detail17trampoline_kernelINS0_14default_configENS1_36segmented_radix_sort_config_selectorIhlEEZNS1_25segmented_radix_sort_implIS3_Lb0EPKhPhPKlPlN2at6native12_GLOBAL__N_18offset_tEEE10hipError_tPvRmT1_PNSt15iterator_traitsISK_E10value_typeET2_T3_PNSL_ISQ_E10value_typeET4_jRbjT5_SW_jjP12ihipStream_tbEUlT_E_NS1_11comp_targetILNS1_3genE2ELNS1_11target_archE906ELNS1_3gpuE6ELNS1_3repE0EEENS1_30default_config_static_selectorELNS0_4arch9wavefront6targetE0EEEvSK_.has_dyn_sized_stack, 0
	.set _ZN7rocprim17ROCPRIM_400000_NS6detail17trampoline_kernelINS0_14default_configENS1_36segmented_radix_sort_config_selectorIhlEEZNS1_25segmented_radix_sort_implIS3_Lb0EPKhPhPKlPlN2at6native12_GLOBAL__N_18offset_tEEE10hipError_tPvRmT1_PNSt15iterator_traitsISK_E10value_typeET2_T3_PNSL_ISQ_E10value_typeET4_jRbjT5_SW_jjP12ihipStream_tbEUlT_E_NS1_11comp_targetILNS1_3genE2ELNS1_11target_archE906ELNS1_3gpuE6ELNS1_3repE0EEENS1_30default_config_static_selectorELNS0_4arch9wavefront6targetE0EEEvSK_.has_recursion, 0
	.set _ZN7rocprim17ROCPRIM_400000_NS6detail17trampoline_kernelINS0_14default_configENS1_36segmented_radix_sort_config_selectorIhlEEZNS1_25segmented_radix_sort_implIS3_Lb0EPKhPhPKlPlN2at6native12_GLOBAL__N_18offset_tEEE10hipError_tPvRmT1_PNSt15iterator_traitsISK_E10value_typeET2_T3_PNSL_ISQ_E10value_typeET4_jRbjT5_SW_jjP12ihipStream_tbEUlT_E_NS1_11comp_targetILNS1_3genE2ELNS1_11target_archE906ELNS1_3gpuE6ELNS1_3repE0EEENS1_30default_config_static_selectorELNS0_4arch9wavefront6targetE0EEEvSK_.has_indirect_call, 0
	.section	.AMDGPU.csdata,"",@progbits
; Kernel info:
; codeLenInByte = 0
; TotalNumSgprs: 0
; NumVgprs: 0
; ScratchSize: 0
; MemoryBound: 0
; FloatMode: 240
; IeeeMode: 1
; LDSByteSize: 0 bytes/workgroup (compile time only)
; SGPRBlocks: 0
; VGPRBlocks: 0
; NumSGPRsForWavesPerEU: 1
; NumVGPRsForWavesPerEU: 1
; NamedBarCnt: 0
; Occupancy: 16
; WaveLimiterHint : 0
; COMPUTE_PGM_RSRC2:SCRATCH_EN: 0
; COMPUTE_PGM_RSRC2:USER_SGPR: 2
; COMPUTE_PGM_RSRC2:TRAP_HANDLER: 0
; COMPUTE_PGM_RSRC2:TGID_X_EN: 1
; COMPUTE_PGM_RSRC2:TGID_Y_EN: 0
; COMPUTE_PGM_RSRC2:TGID_Z_EN: 0
; COMPUTE_PGM_RSRC2:TIDIG_COMP_CNT: 0
	.section	.text._ZN7rocprim17ROCPRIM_400000_NS6detail17trampoline_kernelINS0_14default_configENS1_36segmented_radix_sort_config_selectorIhlEEZNS1_25segmented_radix_sort_implIS3_Lb0EPKhPhPKlPlN2at6native12_GLOBAL__N_18offset_tEEE10hipError_tPvRmT1_PNSt15iterator_traitsISK_E10value_typeET2_T3_PNSL_ISQ_E10value_typeET4_jRbjT5_SW_jjP12ihipStream_tbEUlT_E_NS1_11comp_targetILNS1_3genE10ELNS1_11target_archE1201ELNS1_3gpuE5ELNS1_3repE0EEENS1_30default_config_static_selectorELNS0_4arch9wavefront6targetE0EEEvSK_,"axG",@progbits,_ZN7rocprim17ROCPRIM_400000_NS6detail17trampoline_kernelINS0_14default_configENS1_36segmented_radix_sort_config_selectorIhlEEZNS1_25segmented_radix_sort_implIS3_Lb0EPKhPhPKlPlN2at6native12_GLOBAL__N_18offset_tEEE10hipError_tPvRmT1_PNSt15iterator_traitsISK_E10value_typeET2_T3_PNSL_ISQ_E10value_typeET4_jRbjT5_SW_jjP12ihipStream_tbEUlT_E_NS1_11comp_targetILNS1_3genE10ELNS1_11target_archE1201ELNS1_3gpuE5ELNS1_3repE0EEENS1_30default_config_static_selectorELNS0_4arch9wavefront6targetE0EEEvSK_,comdat
	.globl	_ZN7rocprim17ROCPRIM_400000_NS6detail17trampoline_kernelINS0_14default_configENS1_36segmented_radix_sort_config_selectorIhlEEZNS1_25segmented_radix_sort_implIS3_Lb0EPKhPhPKlPlN2at6native12_GLOBAL__N_18offset_tEEE10hipError_tPvRmT1_PNSt15iterator_traitsISK_E10value_typeET2_T3_PNSL_ISQ_E10value_typeET4_jRbjT5_SW_jjP12ihipStream_tbEUlT_E_NS1_11comp_targetILNS1_3genE10ELNS1_11target_archE1201ELNS1_3gpuE5ELNS1_3repE0EEENS1_30default_config_static_selectorELNS0_4arch9wavefront6targetE0EEEvSK_ ; -- Begin function _ZN7rocprim17ROCPRIM_400000_NS6detail17trampoline_kernelINS0_14default_configENS1_36segmented_radix_sort_config_selectorIhlEEZNS1_25segmented_radix_sort_implIS3_Lb0EPKhPhPKlPlN2at6native12_GLOBAL__N_18offset_tEEE10hipError_tPvRmT1_PNSt15iterator_traitsISK_E10value_typeET2_T3_PNSL_ISQ_E10value_typeET4_jRbjT5_SW_jjP12ihipStream_tbEUlT_E_NS1_11comp_targetILNS1_3genE10ELNS1_11target_archE1201ELNS1_3gpuE5ELNS1_3repE0EEENS1_30default_config_static_selectorELNS0_4arch9wavefront6targetE0EEEvSK_
	.p2align	8
	.type	_ZN7rocprim17ROCPRIM_400000_NS6detail17trampoline_kernelINS0_14default_configENS1_36segmented_radix_sort_config_selectorIhlEEZNS1_25segmented_radix_sort_implIS3_Lb0EPKhPhPKlPlN2at6native12_GLOBAL__N_18offset_tEEE10hipError_tPvRmT1_PNSt15iterator_traitsISK_E10value_typeET2_T3_PNSL_ISQ_E10value_typeET4_jRbjT5_SW_jjP12ihipStream_tbEUlT_E_NS1_11comp_targetILNS1_3genE10ELNS1_11target_archE1201ELNS1_3gpuE5ELNS1_3repE0EEENS1_30default_config_static_selectorELNS0_4arch9wavefront6targetE0EEEvSK_,@function
_ZN7rocprim17ROCPRIM_400000_NS6detail17trampoline_kernelINS0_14default_configENS1_36segmented_radix_sort_config_selectorIhlEEZNS1_25segmented_radix_sort_implIS3_Lb0EPKhPhPKlPlN2at6native12_GLOBAL__N_18offset_tEEE10hipError_tPvRmT1_PNSt15iterator_traitsISK_E10value_typeET2_T3_PNSL_ISQ_E10value_typeET4_jRbjT5_SW_jjP12ihipStream_tbEUlT_E_NS1_11comp_targetILNS1_3genE10ELNS1_11target_archE1201ELNS1_3gpuE5ELNS1_3repE0EEENS1_30default_config_static_selectorELNS0_4arch9wavefront6targetE0EEEvSK_: ; @_ZN7rocprim17ROCPRIM_400000_NS6detail17trampoline_kernelINS0_14default_configENS1_36segmented_radix_sort_config_selectorIhlEEZNS1_25segmented_radix_sort_implIS3_Lb0EPKhPhPKlPlN2at6native12_GLOBAL__N_18offset_tEEE10hipError_tPvRmT1_PNSt15iterator_traitsISK_E10value_typeET2_T3_PNSL_ISQ_E10value_typeET4_jRbjT5_SW_jjP12ihipStream_tbEUlT_E_NS1_11comp_targetILNS1_3genE10ELNS1_11target_archE1201ELNS1_3gpuE5ELNS1_3repE0EEENS1_30default_config_static_selectorELNS0_4arch9wavefront6targetE0EEEvSK_
; %bb.0:
	.section	.rodata,"a",@progbits
	.p2align	6, 0x0
	.amdhsa_kernel _ZN7rocprim17ROCPRIM_400000_NS6detail17trampoline_kernelINS0_14default_configENS1_36segmented_radix_sort_config_selectorIhlEEZNS1_25segmented_radix_sort_implIS3_Lb0EPKhPhPKlPlN2at6native12_GLOBAL__N_18offset_tEEE10hipError_tPvRmT1_PNSt15iterator_traitsISK_E10value_typeET2_T3_PNSL_ISQ_E10value_typeET4_jRbjT5_SW_jjP12ihipStream_tbEUlT_E_NS1_11comp_targetILNS1_3genE10ELNS1_11target_archE1201ELNS1_3gpuE5ELNS1_3repE0EEENS1_30default_config_static_selectorELNS0_4arch9wavefront6targetE0EEEvSK_
		.amdhsa_group_segment_fixed_size 0
		.amdhsa_private_segment_fixed_size 0
		.amdhsa_kernarg_size 96
		.amdhsa_user_sgpr_count 2
		.amdhsa_user_sgpr_dispatch_ptr 0
		.amdhsa_user_sgpr_queue_ptr 0
		.amdhsa_user_sgpr_kernarg_segment_ptr 1
		.amdhsa_user_sgpr_dispatch_id 0
		.amdhsa_user_sgpr_kernarg_preload_length 0
		.amdhsa_user_sgpr_kernarg_preload_offset 0
		.amdhsa_user_sgpr_private_segment_size 0
		.amdhsa_wavefront_size32 1
		.amdhsa_uses_dynamic_stack 0
		.amdhsa_enable_private_segment 0
		.amdhsa_system_sgpr_workgroup_id_x 1
		.amdhsa_system_sgpr_workgroup_id_y 0
		.amdhsa_system_sgpr_workgroup_id_z 0
		.amdhsa_system_sgpr_workgroup_info 0
		.amdhsa_system_vgpr_workitem_id 0
		.amdhsa_next_free_vgpr 1
		.amdhsa_next_free_sgpr 1
		.amdhsa_named_barrier_count 0
		.amdhsa_reserve_vcc 0
		.amdhsa_float_round_mode_32 0
		.amdhsa_float_round_mode_16_64 0
		.amdhsa_float_denorm_mode_32 3
		.amdhsa_float_denorm_mode_16_64 3
		.amdhsa_fp16_overflow 0
		.amdhsa_memory_ordered 1
		.amdhsa_forward_progress 1
		.amdhsa_inst_pref_size 0
		.amdhsa_round_robin_scheduling 0
		.amdhsa_exception_fp_ieee_invalid_op 0
		.amdhsa_exception_fp_denorm_src 0
		.amdhsa_exception_fp_ieee_div_zero 0
		.amdhsa_exception_fp_ieee_overflow 0
		.amdhsa_exception_fp_ieee_underflow 0
		.amdhsa_exception_fp_ieee_inexact 0
		.amdhsa_exception_int_div_zero 0
	.end_amdhsa_kernel
	.section	.text._ZN7rocprim17ROCPRIM_400000_NS6detail17trampoline_kernelINS0_14default_configENS1_36segmented_radix_sort_config_selectorIhlEEZNS1_25segmented_radix_sort_implIS3_Lb0EPKhPhPKlPlN2at6native12_GLOBAL__N_18offset_tEEE10hipError_tPvRmT1_PNSt15iterator_traitsISK_E10value_typeET2_T3_PNSL_ISQ_E10value_typeET4_jRbjT5_SW_jjP12ihipStream_tbEUlT_E_NS1_11comp_targetILNS1_3genE10ELNS1_11target_archE1201ELNS1_3gpuE5ELNS1_3repE0EEENS1_30default_config_static_selectorELNS0_4arch9wavefront6targetE0EEEvSK_,"axG",@progbits,_ZN7rocprim17ROCPRIM_400000_NS6detail17trampoline_kernelINS0_14default_configENS1_36segmented_radix_sort_config_selectorIhlEEZNS1_25segmented_radix_sort_implIS3_Lb0EPKhPhPKlPlN2at6native12_GLOBAL__N_18offset_tEEE10hipError_tPvRmT1_PNSt15iterator_traitsISK_E10value_typeET2_T3_PNSL_ISQ_E10value_typeET4_jRbjT5_SW_jjP12ihipStream_tbEUlT_E_NS1_11comp_targetILNS1_3genE10ELNS1_11target_archE1201ELNS1_3gpuE5ELNS1_3repE0EEENS1_30default_config_static_selectorELNS0_4arch9wavefront6targetE0EEEvSK_,comdat
.Lfunc_end191:
	.size	_ZN7rocprim17ROCPRIM_400000_NS6detail17trampoline_kernelINS0_14default_configENS1_36segmented_radix_sort_config_selectorIhlEEZNS1_25segmented_radix_sort_implIS3_Lb0EPKhPhPKlPlN2at6native12_GLOBAL__N_18offset_tEEE10hipError_tPvRmT1_PNSt15iterator_traitsISK_E10value_typeET2_T3_PNSL_ISQ_E10value_typeET4_jRbjT5_SW_jjP12ihipStream_tbEUlT_E_NS1_11comp_targetILNS1_3genE10ELNS1_11target_archE1201ELNS1_3gpuE5ELNS1_3repE0EEENS1_30default_config_static_selectorELNS0_4arch9wavefront6targetE0EEEvSK_, .Lfunc_end191-_ZN7rocprim17ROCPRIM_400000_NS6detail17trampoline_kernelINS0_14default_configENS1_36segmented_radix_sort_config_selectorIhlEEZNS1_25segmented_radix_sort_implIS3_Lb0EPKhPhPKlPlN2at6native12_GLOBAL__N_18offset_tEEE10hipError_tPvRmT1_PNSt15iterator_traitsISK_E10value_typeET2_T3_PNSL_ISQ_E10value_typeET4_jRbjT5_SW_jjP12ihipStream_tbEUlT_E_NS1_11comp_targetILNS1_3genE10ELNS1_11target_archE1201ELNS1_3gpuE5ELNS1_3repE0EEENS1_30default_config_static_selectorELNS0_4arch9wavefront6targetE0EEEvSK_
                                        ; -- End function
	.set _ZN7rocprim17ROCPRIM_400000_NS6detail17trampoline_kernelINS0_14default_configENS1_36segmented_radix_sort_config_selectorIhlEEZNS1_25segmented_radix_sort_implIS3_Lb0EPKhPhPKlPlN2at6native12_GLOBAL__N_18offset_tEEE10hipError_tPvRmT1_PNSt15iterator_traitsISK_E10value_typeET2_T3_PNSL_ISQ_E10value_typeET4_jRbjT5_SW_jjP12ihipStream_tbEUlT_E_NS1_11comp_targetILNS1_3genE10ELNS1_11target_archE1201ELNS1_3gpuE5ELNS1_3repE0EEENS1_30default_config_static_selectorELNS0_4arch9wavefront6targetE0EEEvSK_.num_vgpr, 0
	.set _ZN7rocprim17ROCPRIM_400000_NS6detail17trampoline_kernelINS0_14default_configENS1_36segmented_radix_sort_config_selectorIhlEEZNS1_25segmented_radix_sort_implIS3_Lb0EPKhPhPKlPlN2at6native12_GLOBAL__N_18offset_tEEE10hipError_tPvRmT1_PNSt15iterator_traitsISK_E10value_typeET2_T3_PNSL_ISQ_E10value_typeET4_jRbjT5_SW_jjP12ihipStream_tbEUlT_E_NS1_11comp_targetILNS1_3genE10ELNS1_11target_archE1201ELNS1_3gpuE5ELNS1_3repE0EEENS1_30default_config_static_selectorELNS0_4arch9wavefront6targetE0EEEvSK_.num_agpr, 0
	.set _ZN7rocprim17ROCPRIM_400000_NS6detail17trampoline_kernelINS0_14default_configENS1_36segmented_radix_sort_config_selectorIhlEEZNS1_25segmented_radix_sort_implIS3_Lb0EPKhPhPKlPlN2at6native12_GLOBAL__N_18offset_tEEE10hipError_tPvRmT1_PNSt15iterator_traitsISK_E10value_typeET2_T3_PNSL_ISQ_E10value_typeET4_jRbjT5_SW_jjP12ihipStream_tbEUlT_E_NS1_11comp_targetILNS1_3genE10ELNS1_11target_archE1201ELNS1_3gpuE5ELNS1_3repE0EEENS1_30default_config_static_selectorELNS0_4arch9wavefront6targetE0EEEvSK_.numbered_sgpr, 0
	.set _ZN7rocprim17ROCPRIM_400000_NS6detail17trampoline_kernelINS0_14default_configENS1_36segmented_radix_sort_config_selectorIhlEEZNS1_25segmented_radix_sort_implIS3_Lb0EPKhPhPKlPlN2at6native12_GLOBAL__N_18offset_tEEE10hipError_tPvRmT1_PNSt15iterator_traitsISK_E10value_typeET2_T3_PNSL_ISQ_E10value_typeET4_jRbjT5_SW_jjP12ihipStream_tbEUlT_E_NS1_11comp_targetILNS1_3genE10ELNS1_11target_archE1201ELNS1_3gpuE5ELNS1_3repE0EEENS1_30default_config_static_selectorELNS0_4arch9wavefront6targetE0EEEvSK_.num_named_barrier, 0
	.set _ZN7rocprim17ROCPRIM_400000_NS6detail17trampoline_kernelINS0_14default_configENS1_36segmented_radix_sort_config_selectorIhlEEZNS1_25segmented_radix_sort_implIS3_Lb0EPKhPhPKlPlN2at6native12_GLOBAL__N_18offset_tEEE10hipError_tPvRmT1_PNSt15iterator_traitsISK_E10value_typeET2_T3_PNSL_ISQ_E10value_typeET4_jRbjT5_SW_jjP12ihipStream_tbEUlT_E_NS1_11comp_targetILNS1_3genE10ELNS1_11target_archE1201ELNS1_3gpuE5ELNS1_3repE0EEENS1_30default_config_static_selectorELNS0_4arch9wavefront6targetE0EEEvSK_.private_seg_size, 0
	.set _ZN7rocprim17ROCPRIM_400000_NS6detail17trampoline_kernelINS0_14default_configENS1_36segmented_radix_sort_config_selectorIhlEEZNS1_25segmented_radix_sort_implIS3_Lb0EPKhPhPKlPlN2at6native12_GLOBAL__N_18offset_tEEE10hipError_tPvRmT1_PNSt15iterator_traitsISK_E10value_typeET2_T3_PNSL_ISQ_E10value_typeET4_jRbjT5_SW_jjP12ihipStream_tbEUlT_E_NS1_11comp_targetILNS1_3genE10ELNS1_11target_archE1201ELNS1_3gpuE5ELNS1_3repE0EEENS1_30default_config_static_selectorELNS0_4arch9wavefront6targetE0EEEvSK_.uses_vcc, 0
	.set _ZN7rocprim17ROCPRIM_400000_NS6detail17trampoline_kernelINS0_14default_configENS1_36segmented_radix_sort_config_selectorIhlEEZNS1_25segmented_radix_sort_implIS3_Lb0EPKhPhPKlPlN2at6native12_GLOBAL__N_18offset_tEEE10hipError_tPvRmT1_PNSt15iterator_traitsISK_E10value_typeET2_T3_PNSL_ISQ_E10value_typeET4_jRbjT5_SW_jjP12ihipStream_tbEUlT_E_NS1_11comp_targetILNS1_3genE10ELNS1_11target_archE1201ELNS1_3gpuE5ELNS1_3repE0EEENS1_30default_config_static_selectorELNS0_4arch9wavefront6targetE0EEEvSK_.uses_flat_scratch, 0
	.set _ZN7rocprim17ROCPRIM_400000_NS6detail17trampoline_kernelINS0_14default_configENS1_36segmented_radix_sort_config_selectorIhlEEZNS1_25segmented_radix_sort_implIS3_Lb0EPKhPhPKlPlN2at6native12_GLOBAL__N_18offset_tEEE10hipError_tPvRmT1_PNSt15iterator_traitsISK_E10value_typeET2_T3_PNSL_ISQ_E10value_typeET4_jRbjT5_SW_jjP12ihipStream_tbEUlT_E_NS1_11comp_targetILNS1_3genE10ELNS1_11target_archE1201ELNS1_3gpuE5ELNS1_3repE0EEENS1_30default_config_static_selectorELNS0_4arch9wavefront6targetE0EEEvSK_.has_dyn_sized_stack, 0
	.set _ZN7rocprim17ROCPRIM_400000_NS6detail17trampoline_kernelINS0_14default_configENS1_36segmented_radix_sort_config_selectorIhlEEZNS1_25segmented_radix_sort_implIS3_Lb0EPKhPhPKlPlN2at6native12_GLOBAL__N_18offset_tEEE10hipError_tPvRmT1_PNSt15iterator_traitsISK_E10value_typeET2_T3_PNSL_ISQ_E10value_typeET4_jRbjT5_SW_jjP12ihipStream_tbEUlT_E_NS1_11comp_targetILNS1_3genE10ELNS1_11target_archE1201ELNS1_3gpuE5ELNS1_3repE0EEENS1_30default_config_static_selectorELNS0_4arch9wavefront6targetE0EEEvSK_.has_recursion, 0
	.set _ZN7rocprim17ROCPRIM_400000_NS6detail17trampoline_kernelINS0_14default_configENS1_36segmented_radix_sort_config_selectorIhlEEZNS1_25segmented_radix_sort_implIS3_Lb0EPKhPhPKlPlN2at6native12_GLOBAL__N_18offset_tEEE10hipError_tPvRmT1_PNSt15iterator_traitsISK_E10value_typeET2_T3_PNSL_ISQ_E10value_typeET4_jRbjT5_SW_jjP12ihipStream_tbEUlT_E_NS1_11comp_targetILNS1_3genE10ELNS1_11target_archE1201ELNS1_3gpuE5ELNS1_3repE0EEENS1_30default_config_static_selectorELNS0_4arch9wavefront6targetE0EEEvSK_.has_indirect_call, 0
	.section	.AMDGPU.csdata,"",@progbits
; Kernel info:
; codeLenInByte = 0
; TotalNumSgprs: 0
; NumVgprs: 0
; ScratchSize: 0
; MemoryBound: 0
; FloatMode: 240
; IeeeMode: 1
; LDSByteSize: 0 bytes/workgroup (compile time only)
; SGPRBlocks: 0
; VGPRBlocks: 0
; NumSGPRsForWavesPerEU: 1
; NumVGPRsForWavesPerEU: 1
; NamedBarCnt: 0
; Occupancy: 16
; WaveLimiterHint : 0
; COMPUTE_PGM_RSRC2:SCRATCH_EN: 0
; COMPUTE_PGM_RSRC2:USER_SGPR: 2
; COMPUTE_PGM_RSRC2:TRAP_HANDLER: 0
; COMPUTE_PGM_RSRC2:TGID_X_EN: 1
; COMPUTE_PGM_RSRC2:TGID_Y_EN: 0
; COMPUTE_PGM_RSRC2:TGID_Z_EN: 0
; COMPUTE_PGM_RSRC2:TIDIG_COMP_CNT: 0
	.section	.text._ZN7rocprim17ROCPRIM_400000_NS6detail17trampoline_kernelINS0_14default_configENS1_36segmented_radix_sort_config_selectorIhlEEZNS1_25segmented_radix_sort_implIS3_Lb0EPKhPhPKlPlN2at6native12_GLOBAL__N_18offset_tEEE10hipError_tPvRmT1_PNSt15iterator_traitsISK_E10value_typeET2_T3_PNSL_ISQ_E10value_typeET4_jRbjT5_SW_jjP12ihipStream_tbEUlT_E_NS1_11comp_targetILNS1_3genE10ELNS1_11target_archE1200ELNS1_3gpuE4ELNS1_3repE0EEENS1_30default_config_static_selectorELNS0_4arch9wavefront6targetE0EEEvSK_,"axG",@progbits,_ZN7rocprim17ROCPRIM_400000_NS6detail17trampoline_kernelINS0_14default_configENS1_36segmented_radix_sort_config_selectorIhlEEZNS1_25segmented_radix_sort_implIS3_Lb0EPKhPhPKlPlN2at6native12_GLOBAL__N_18offset_tEEE10hipError_tPvRmT1_PNSt15iterator_traitsISK_E10value_typeET2_T3_PNSL_ISQ_E10value_typeET4_jRbjT5_SW_jjP12ihipStream_tbEUlT_E_NS1_11comp_targetILNS1_3genE10ELNS1_11target_archE1200ELNS1_3gpuE4ELNS1_3repE0EEENS1_30default_config_static_selectorELNS0_4arch9wavefront6targetE0EEEvSK_,comdat
	.globl	_ZN7rocprim17ROCPRIM_400000_NS6detail17trampoline_kernelINS0_14default_configENS1_36segmented_radix_sort_config_selectorIhlEEZNS1_25segmented_radix_sort_implIS3_Lb0EPKhPhPKlPlN2at6native12_GLOBAL__N_18offset_tEEE10hipError_tPvRmT1_PNSt15iterator_traitsISK_E10value_typeET2_T3_PNSL_ISQ_E10value_typeET4_jRbjT5_SW_jjP12ihipStream_tbEUlT_E_NS1_11comp_targetILNS1_3genE10ELNS1_11target_archE1200ELNS1_3gpuE4ELNS1_3repE0EEENS1_30default_config_static_selectorELNS0_4arch9wavefront6targetE0EEEvSK_ ; -- Begin function _ZN7rocprim17ROCPRIM_400000_NS6detail17trampoline_kernelINS0_14default_configENS1_36segmented_radix_sort_config_selectorIhlEEZNS1_25segmented_radix_sort_implIS3_Lb0EPKhPhPKlPlN2at6native12_GLOBAL__N_18offset_tEEE10hipError_tPvRmT1_PNSt15iterator_traitsISK_E10value_typeET2_T3_PNSL_ISQ_E10value_typeET4_jRbjT5_SW_jjP12ihipStream_tbEUlT_E_NS1_11comp_targetILNS1_3genE10ELNS1_11target_archE1200ELNS1_3gpuE4ELNS1_3repE0EEENS1_30default_config_static_selectorELNS0_4arch9wavefront6targetE0EEEvSK_
	.p2align	8
	.type	_ZN7rocprim17ROCPRIM_400000_NS6detail17trampoline_kernelINS0_14default_configENS1_36segmented_radix_sort_config_selectorIhlEEZNS1_25segmented_radix_sort_implIS3_Lb0EPKhPhPKlPlN2at6native12_GLOBAL__N_18offset_tEEE10hipError_tPvRmT1_PNSt15iterator_traitsISK_E10value_typeET2_T3_PNSL_ISQ_E10value_typeET4_jRbjT5_SW_jjP12ihipStream_tbEUlT_E_NS1_11comp_targetILNS1_3genE10ELNS1_11target_archE1200ELNS1_3gpuE4ELNS1_3repE0EEENS1_30default_config_static_selectorELNS0_4arch9wavefront6targetE0EEEvSK_,@function
_ZN7rocprim17ROCPRIM_400000_NS6detail17trampoline_kernelINS0_14default_configENS1_36segmented_radix_sort_config_selectorIhlEEZNS1_25segmented_radix_sort_implIS3_Lb0EPKhPhPKlPlN2at6native12_GLOBAL__N_18offset_tEEE10hipError_tPvRmT1_PNSt15iterator_traitsISK_E10value_typeET2_T3_PNSL_ISQ_E10value_typeET4_jRbjT5_SW_jjP12ihipStream_tbEUlT_E_NS1_11comp_targetILNS1_3genE10ELNS1_11target_archE1200ELNS1_3gpuE4ELNS1_3repE0EEENS1_30default_config_static_selectorELNS0_4arch9wavefront6targetE0EEEvSK_: ; @_ZN7rocprim17ROCPRIM_400000_NS6detail17trampoline_kernelINS0_14default_configENS1_36segmented_radix_sort_config_selectorIhlEEZNS1_25segmented_radix_sort_implIS3_Lb0EPKhPhPKlPlN2at6native12_GLOBAL__N_18offset_tEEE10hipError_tPvRmT1_PNSt15iterator_traitsISK_E10value_typeET2_T3_PNSL_ISQ_E10value_typeET4_jRbjT5_SW_jjP12ihipStream_tbEUlT_E_NS1_11comp_targetILNS1_3genE10ELNS1_11target_archE1200ELNS1_3gpuE4ELNS1_3repE0EEENS1_30default_config_static_selectorELNS0_4arch9wavefront6targetE0EEEvSK_
; %bb.0:
	.section	.rodata,"a",@progbits
	.p2align	6, 0x0
	.amdhsa_kernel _ZN7rocprim17ROCPRIM_400000_NS6detail17trampoline_kernelINS0_14default_configENS1_36segmented_radix_sort_config_selectorIhlEEZNS1_25segmented_radix_sort_implIS3_Lb0EPKhPhPKlPlN2at6native12_GLOBAL__N_18offset_tEEE10hipError_tPvRmT1_PNSt15iterator_traitsISK_E10value_typeET2_T3_PNSL_ISQ_E10value_typeET4_jRbjT5_SW_jjP12ihipStream_tbEUlT_E_NS1_11comp_targetILNS1_3genE10ELNS1_11target_archE1200ELNS1_3gpuE4ELNS1_3repE0EEENS1_30default_config_static_selectorELNS0_4arch9wavefront6targetE0EEEvSK_
		.amdhsa_group_segment_fixed_size 0
		.amdhsa_private_segment_fixed_size 0
		.amdhsa_kernarg_size 96
		.amdhsa_user_sgpr_count 2
		.amdhsa_user_sgpr_dispatch_ptr 0
		.amdhsa_user_sgpr_queue_ptr 0
		.amdhsa_user_sgpr_kernarg_segment_ptr 1
		.amdhsa_user_sgpr_dispatch_id 0
		.amdhsa_user_sgpr_kernarg_preload_length 0
		.amdhsa_user_sgpr_kernarg_preload_offset 0
		.amdhsa_user_sgpr_private_segment_size 0
		.amdhsa_wavefront_size32 1
		.amdhsa_uses_dynamic_stack 0
		.amdhsa_enable_private_segment 0
		.amdhsa_system_sgpr_workgroup_id_x 1
		.amdhsa_system_sgpr_workgroup_id_y 0
		.amdhsa_system_sgpr_workgroup_id_z 0
		.amdhsa_system_sgpr_workgroup_info 0
		.amdhsa_system_vgpr_workitem_id 0
		.amdhsa_next_free_vgpr 1
		.amdhsa_next_free_sgpr 1
		.amdhsa_named_barrier_count 0
		.amdhsa_reserve_vcc 0
		.amdhsa_float_round_mode_32 0
		.amdhsa_float_round_mode_16_64 0
		.amdhsa_float_denorm_mode_32 3
		.amdhsa_float_denorm_mode_16_64 3
		.amdhsa_fp16_overflow 0
		.amdhsa_memory_ordered 1
		.amdhsa_forward_progress 1
		.amdhsa_inst_pref_size 0
		.amdhsa_round_robin_scheduling 0
		.amdhsa_exception_fp_ieee_invalid_op 0
		.amdhsa_exception_fp_denorm_src 0
		.amdhsa_exception_fp_ieee_div_zero 0
		.amdhsa_exception_fp_ieee_overflow 0
		.amdhsa_exception_fp_ieee_underflow 0
		.amdhsa_exception_fp_ieee_inexact 0
		.amdhsa_exception_int_div_zero 0
	.end_amdhsa_kernel
	.section	.text._ZN7rocprim17ROCPRIM_400000_NS6detail17trampoline_kernelINS0_14default_configENS1_36segmented_radix_sort_config_selectorIhlEEZNS1_25segmented_radix_sort_implIS3_Lb0EPKhPhPKlPlN2at6native12_GLOBAL__N_18offset_tEEE10hipError_tPvRmT1_PNSt15iterator_traitsISK_E10value_typeET2_T3_PNSL_ISQ_E10value_typeET4_jRbjT5_SW_jjP12ihipStream_tbEUlT_E_NS1_11comp_targetILNS1_3genE10ELNS1_11target_archE1200ELNS1_3gpuE4ELNS1_3repE0EEENS1_30default_config_static_selectorELNS0_4arch9wavefront6targetE0EEEvSK_,"axG",@progbits,_ZN7rocprim17ROCPRIM_400000_NS6detail17trampoline_kernelINS0_14default_configENS1_36segmented_radix_sort_config_selectorIhlEEZNS1_25segmented_radix_sort_implIS3_Lb0EPKhPhPKlPlN2at6native12_GLOBAL__N_18offset_tEEE10hipError_tPvRmT1_PNSt15iterator_traitsISK_E10value_typeET2_T3_PNSL_ISQ_E10value_typeET4_jRbjT5_SW_jjP12ihipStream_tbEUlT_E_NS1_11comp_targetILNS1_3genE10ELNS1_11target_archE1200ELNS1_3gpuE4ELNS1_3repE0EEENS1_30default_config_static_selectorELNS0_4arch9wavefront6targetE0EEEvSK_,comdat
.Lfunc_end192:
	.size	_ZN7rocprim17ROCPRIM_400000_NS6detail17trampoline_kernelINS0_14default_configENS1_36segmented_radix_sort_config_selectorIhlEEZNS1_25segmented_radix_sort_implIS3_Lb0EPKhPhPKlPlN2at6native12_GLOBAL__N_18offset_tEEE10hipError_tPvRmT1_PNSt15iterator_traitsISK_E10value_typeET2_T3_PNSL_ISQ_E10value_typeET4_jRbjT5_SW_jjP12ihipStream_tbEUlT_E_NS1_11comp_targetILNS1_3genE10ELNS1_11target_archE1200ELNS1_3gpuE4ELNS1_3repE0EEENS1_30default_config_static_selectorELNS0_4arch9wavefront6targetE0EEEvSK_, .Lfunc_end192-_ZN7rocprim17ROCPRIM_400000_NS6detail17trampoline_kernelINS0_14default_configENS1_36segmented_radix_sort_config_selectorIhlEEZNS1_25segmented_radix_sort_implIS3_Lb0EPKhPhPKlPlN2at6native12_GLOBAL__N_18offset_tEEE10hipError_tPvRmT1_PNSt15iterator_traitsISK_E10value_typeET2_T3_PNSL_ISQ_E10value_typeET4_jRbjT5_SW_jjP12ihipStream_tbEUlT_E_NS1_11comp_targetILNS1_3genE10ELNS1_11target_archE1200ELNS1_3gpuE4ELNS1_3repE0EEENS1_30default_config_static_selectorELNS0_4arch9wavefront6targetE0EEEvSK_
                                        ; -- End function
	.set _ZN7rocprim17ROCPRIM_400000_NS6detail17trampoline_kernelINS0_14default_configENS1_36segmented_radix_sort_config_selectorIhlEEZNS1_25segmented_radix_sort_implIS3_Lb0EPKhPhPKlPlN2at6native12_GLOBAL__N_18offset_tEEE10hipError_tPvRmT1_PNSt15iterator_traitsISK_E10value_typeET2_T3_PNSL_ISQ_E10value_typeET4_jRbjT5_SW_jjP12ihipStream_tbEUlT_E_NS1_11comp_targetILNS1_3genE10ELNS1_11target_archE1200ELNS1_3gpuE4ELNS1_3repE0EEENS1_30default_config_static_selectorELNS0_4arch9wavefront6targetE0EEEvSK_.num_vgpr, 0
	.set _ZN7rocprim17ROCPRIM_400000_NS6detail17trampoline_kernelINS0_14default_configENS1_36segmented_radix_sort_config_selectorIhlEEZNS1_25segmented_radix_sort_implIS3_Lb0EPKhPhPKlPlN2at6native12_GLOBAL__N_18offset_tEEE10hipError_tPvRmT1_PNSt15iterator_traitsISK_E10value_typeET2_T3_PNSL_ISQ_E10value_typeET4_jRbjT5_SW_jjP12ihipStream_tbEUlT_E_NS1_11comp_targetILNS1_3genE10ELNS1_11target_archE1200ELNS1_3gpuE4ELNS1_3repE0EEENS1_30default_config_static_selectorELNS0_4arch9wavefront6targetE0EEEvSK_.num_agpr, 0
	.set _ZN7rocprim17ROCPRIM_400000_NS6detail17trampoline_kernelINS0_14default_configENS1_36segmented_radix_sort_config_selectorIhlEEZNS1_25segmented_radix_sort_implIS3_Lb0EPKhPhPKlPlN2at6native12_GLOBAL__N_18offset_tEEE10hipError_tPvRmT1_PNSt15iterator_traitsISK_E10value_typeET2_T3_PNSL_ISQ_E10value_typeET4_jRbjT5_SW_jjP12ihipStream_tbEUlT_E_NS1_11comp_targetILNS1_3genE10ELNS1_11target_archE1200ELNS1_3gpuE4ELNS1_3repE0EEENS1_30default_config_static_selectorELNS0_4arch9wavefront6targetE0EEEvSK_.numbered_sgpr, 0
	.set _ZN7rocprim17ROCPRIM_400000_NS6detail17trampoline_kernelINS0_14default_configENS1_36segmented_radix_sort_config_selectorIhlEEZNS1_25segmented_radix_sort_implIS3_Lb0EPKhPhPKlPlN2at6native12_GLOBAL__N_18offset_tEEE10hipError_tPvRmT1_PNSt15iterator_traitsISK_E10value_typeET2_T3_PNSL_ISQ_E10value_typeET4_jRbjT5_SW_jjP12ihipStream_tbEUlT_E_NS1_11comp_targetILNS1_3genE10ELNS1_11target_archE1200ELNS1_3gpuE4ELNS1_3repE0EEENS1_30default_config_static_selectorELNS0_4arch9wavefront6targetE0EEEvSK_.num_named_barrier, 0
	.set _ZN7rocprim17ROCPRIM_400000_NS6detail17trampoline_kernelINS0_14default_configENS1_36segmented_radix_sort_config_selectorIhlEEZNS1_25segmented_radix_sort_implIS3_Lb0EPKhPhPKlPlN2at6native12_GLOBAL__N_18offset_tEEE10hipError_tPvRmT1_PNSt15iterator_traitsISK_E10value_typeET2_T3_PNSL_ISQ_E10value_typeET4_jRbjT5_SW_jjP12ihipStream_tbEUlT_E_NS1_11comp_targetILNS1_3genE10ELNS1_11target_archE1200ELNS1_3gpuE4ELNS1_3repE0EEENS1_30default_config_static_selectorELNS0_4arch9wavefront6targetE0EEEvSK_.private_seg_size, 0
	.set _ZN7rocprim17ROCPRIM_400000_NS6detail17trampoline_kernelINS0_14default_configENS1_36segmented_radix_sort_config_selectorIhlEEZNS1_25segmented_radix_sort_implIS3_Lb0EPKhPhPKlPlN2at6native12_GLOBAL__N_18offset_tEEE10hipError_tPvRmT1_PNSt15iterator_traitsISK_E10value_typeET2_T3_PNSL_ISQ_E10value_typeET4_jRbjT5_SW_jjP12ihipStream_tbEUlT_E_NS1_11comp_targetILNS1_3genE10ELNS1_11target_archE1200ELNS1_3gpuE4ELNS1_3repE0EEENS1_30default_config_static_selectorELNS0_4arch9wavefront6targetE0EEEvSK_.uses_vcc, 0
	.set _ZN7rocprim17ROCPRIM_400000_NS6detail17trampoline_kernelINS0_14default_configENS1_36segmented_radix_sort_config_selectorIhlEEZNS1_25segmented_radix_sort_implIS3_Lb0EPKhPhPKlPlN2at6native12_GLOBAL__N_18offset_tEEE10hipError_tPvRmT1_PNSt15iterator_traitsISK_E10value_typeET2_T3_PNSL_ISQ_E10value_typeET4_jRbjT5_SW_jjP12ihipStream_tbEUlT_E_NS1_11comp_targetILNS1_3genE10ELNS1_11target_archE1200ELNS1_3gpuE4ELNS1_3repE0EEENS1_30default_config_static_selectorELNS0_4arch9wavefront6targetE0EEEvSK_.uses_flat_scratch, 0
	.set _ZN7rocprim17ROCPRIM_400000_NS6detail17trampoline_kernelINS0_14default_configENS1_36segmented_radix_sort_config_selectorIhlEEZNS1_25segmented_radix_sort_implIS3_Lb0EPKhPhPKlPlN2at6native12_GLOBAL__N_18offset_tEEE10hipError_tPvRmT1_PNSt15iterator_traitsISK_E10value_typeET2_T3_PNSL_ISQ_E10value_typeET4_jRbjT5_SW_jjP12ihipStream_tbEUlT_E_NS1_11comp_targetILNS1_3genE10ELNS1_11target_archE1200ELNS1_3gpuE4ELNS1_3repE0EEENS1_30default_config_static_selectorELNS0_4arch9wavefront6targetE0EEEvSK_.has_dyn_sized_stack, 0
	.set _ZN7rocprim17ROCPRIM_400000_NS6detail17trampoline_kernelINS0_14default_configENS1_36segmented_radix_sort_config_selectorIhlEEZNS1_25segmented_radix_sort_implIS3_Lb0EPKhPhPKlPlN2at6native12_GLOBAL__N_18offset_tEEE10hipError_tPvRmT1_PNSt15iterator_traitsISK_E10value_typeET2_T3_PNSL_ISQ_E10value_typeET4_jRbjT5_SW_jjP12ihipStream_tbEUlT_E_NS1_11comp_targetILNS1_3genE10ELNS1_11target_archE1200ELNS1_3gpuE4ELNS1_3repE0EEENS1_30default_config_static_selectorELNS0_4arch9wavefront6targetE0EEEvSK_.has_recursion, 0
	.set _ZN7rocprim17ROCPRIM_400000_NS6detail17trampoline_kernelINS0_14default_configENS1_36segmented_radix_sort_config_selectorIhlEEZNS1_25segmented_radix_sort_implIS3_Lb0EPKhPhPKlPlN2at6native12_GLOBAL__N_18offset_tEEE10hipError_tPvRmT1_PNSt15iterator_traitsISK_E10value_typeET2_T3_PNSL_ISQ_E10value_typeET4_jRbjT5_SW_jjP12ihipStream_tbEUlT_E_NS1_11comp_targetILNS1_3genE10ELNS1_11target_archE1200ELNS1_3gpuE4ELNS1_3repE0EEENS1_30default_config_static_selectorELNS0_4arch9wavefront6targetE0EEEvSK_.has_indirect_call, 0
	.section	.AMDGPU.csdata,"",@progbits
; Kernel info:
; codeLenInByte = 0
; TotalNumSgprs: 0
; NumVgprs: 0
; ScratchSize: 0
; MemoryBound: 0
; FloatMode: 240
; IeeeMode: 1
; LDSByteSize: 0 bytes/workgroup (compile time only)
; SGPRBlocks: 0
; VGPRBlocks: 0
; NumSGPRsForWavesPerEU: 1
; NumVGPRsForWavesPerEU: 1
; NamedBarCnt: 0
; Occupancy: 16
; WaveLimiterHint : 0
; COMPUTE_PGM_RSRC2:SCRATCH_EN: 0
; COMPUTE_PGM_RSRC2:USER_SGPR: 2
; COMPUTE_PGM_RSRC2:TRAP_HANDLER: 0
; COMPUTE_PGM_RSRC2:TGID_X_EN: 1
; COMPUTE_PGM_RSRC2:TGID_Y_EN: 0
; COMPUTE_PGM_RSRC2:TGID_Z_EN: 0
; COMPUTE_PGM_RSRC2:TIDIG_COMP_CNT: 0
	.section	.text._ZN7rocprim17ROCPRIM_400000_NS6detail17trampoline_kernelINS0_14default_configENS1_36segmented_radix_sort_config_selectorIhlEEZNS1_25segmented_radix_sort_implIS3_Lb0EPKhPhPKlPlN2at6native12_GLOBAL__N_18offset_tEEE10hipError_tPvRmT1_PNSt15iterator_traitsISK_E10value_typeET2_T3_PNSL_ISQ_E10value_typeET4_jRbjT5_SW_jjP12ihipStream_tbEUlT_E_NS1_11comp_targetILNS1_3genE9ELNS1_11target_archE1100ELNS1_3gpuE3ELNS1_3repE0EEENS1_30default_config_static_selectorELNS0_4arch9wavefront6targetE0EEEvSK_,"axG",@progbits,_ZN7rocprim17ROCPRIM_400000_NS6detail17trampoline_kernelINS0_14default_configENS1_36segmented_radix_sort_config_selectorIhlEEZNS1_25segmented_radix_sort_implIS3_Lb0EPKhPhPKlPlN2at6native12_GLOBAL__N_18offset_tEEE10hipError_tPvRmT1_PNSt15iterator_traitsISK_E10value_typeET2_T3_PNSL_ISQ_E10value_typeET4_jRbjT5_SW_jjP12ihipStream_tbEUlT_E_NS1_11comp_targetILNS1_3genE9ELNS1_11target_archE1100ELNS1_3gpuE3ELNS1_3repE0EEENS1_30default_config_static_selectorELNS0_4arch9wavefront6targetE0EEEvSK_,comdat
	.globl	_ZN7rocprim17ROCPRIM_400000_NS6detail17trampoline_kernelINS0_14default_configENS1_36segmented_radix_sort_config_selectorIhlEEZNS1_25segmented_radix_sort_implIS3_Lb0EPKhPhPKlPlN2at6native12_GLOBAL__N_18offset_tEEE10hipError_tPvRmT1_PNSt15iterator_traitsISK_E10value_typeET2_T3_PNSL_ISQ_E10value_typeET4_jRbjT5_SW_jjP12ihipStream_tbEUlT_E_NS1_11comp_targetILNS1_3genE9ELNS1_11target_archE1100ELNS1_3gpuE3ELNS1_3repE0EEENS1_30default_config_static_selectorELNS0_4arch9wavefront6targetE0EEEvSK_ ; -- Begin function _ZN7rocprim17ROCPRIM_400000_NS6detail17trampoline_kernelINS0_14default_configENS1_36segmented_radix_sort_config_selectorIhlEEZNS1_25segmented_radix_sort_implIS3_Lb0EPKhPhPKlPlN2at6native12_GLOBAL__N_18offset_tEEE10hipError_tPvRmT1_PNSt15iterator_traitsISK_E10value_typeET2_T3_PNSL_ISQ_E10value_typeET4_jRbjT5_SW_jjP12ihipStream_tbEUlT_E_NS1_11comp_targetILNS1_3genE9ELNS1_11target_archE1100ELNS1_3gpuE3ELNS1_3repE0EEENS1_30default_config_static_selectorELNS0_4arch9wavefront6targetE0EEEvSK_
	.p2align	8
	.type	_ZN7rocprim17ROCPRIM_400000_NS6detail17trampoline_kernelINS0_14default_configENS1_36segmented_radix_sort_config_selectorIhlEEZNS1_25segmented_radix_sort_implIS3_Lb0EPKhPhPKlPlN2at6native12_GLOBAL__N_18offset_tEEE10hipError_tPvRmT1_PNSt15iterator_traitsISK_E10value_typeET2_T3_PNSL_ISQ_E10value_typeET4_jRbjT5_SW_jjP12ihipStream_tbEUlT_E_NS1_11comp_targetILNS1_3genE9ELNS1_11target_archE1100ELNS1_3gpuE3ELNS1_3repE0EEENS1_30default_config_static_selectorELNS0_4arch9wavefront6targetE0EEEvSK_,@function
_ZN7rocprim17ROCPRIM_400000_NS6detail17trampoline_kernelINS0_14default_configENS1_36segmented_radix_sort_config_selectorIhlEEZNS1_25segmented_radix_sort_implIS3_Lb0EPKhPhPKlPlN2at6native12_GLOBAL__N_18offset_tEEE10hipError_tPvRmT1_PNSt15iterator_traitsISK_E10value_typeET2_T3_PNSL_ISQ_E10value_typeET4_jRbjT5_SW_jjP12ihipStream_tbEUlT_E_NS1_11comp_targetILNS1_3genE9ELNS1_11target_archE1100ELNS1_3gpuE3ELNS1_3repE0EEENS1_30default_config_static_selectorELNS0_4arch9wavefront6targetE0EEEvSK_: ; @_ZN7rocprim17ROCPRIM_400000_NS6detail17trampoline_kernelINS0_14default_configENS1_36segmented_radix_sort_config_selectorIhlEEZNS1_25segmented_radix_sort_implIS3_Lb0EPKhPhPKlPlN2at6native12_GLOBAL__N_18offset_tEEE10hipError_tPvRmT1_PNSt15iterator_traitsISK_E10value_typeET2_T3_PNSL_ISQ_E10value_typeET4_jRbjT5_SW_jjP12ihipStream_tbEUlT_E_NS1_11comp_targetILNS1_3genE9ELNS1_11target_archE1100ELNS1_3gpuE3ELNS1_3repE0EEENS1_30default_config_static_selectorELNS0_4arch9wavefront6targetE0EEEvSK_
; %bb.0:
	.section	.rodata,"a",@progbits
	.p2align	6, 0x0
	.amdhsa_kernel _ZN7rocprim17ROCPRIM_400000_NS6detail17trampoline_kernelINS0_14default_configENS1_36segmented_radix_sort_config_selectorIhlEEZNS1_25segmented_radix_sort_implIS3_Lb0EPKhPhPKlPlN2at6native12_GLOBAL__N_18offset_tEEE10hipError_tPvRmT1_PNSt15iterator_traitsISK_E10value_typeET2_T3_PNSL_ISQ_E10value_typeET4_jRbjT5_SW_jjP12ihipStream_tbEUlT_E_NS1_11comp_targetILNS1_3genE9ELNS1_11target_archE1100ELNS1_3gpuE3ELNS1_3repE0EEENS1_30default_config_static_selectorELNS0_4arch9wavefront6targetE0EEEvSK_
		.amdhsa_group_segment_fixed_size 0
		.amdhsa_private_segment_fixed_size 0
		.amdhsa_kernarg_size 96
		.amdhsa_user_sgpr_count 2
		.amdhsa_user_sgpr_dispatch_ptr 0
		.amdhsa_user_sgpr_queue_ptr 0
		.amdhsa_user_sgpr_kernarg_segment_ptr 1
		.amdhsa_user_sgpr_dispatch_id 0
		.amdhsa_user_sgpr_kernarg_preload_length 0
		.amdhsa_user_sgpr_kernarg_preload_offset 0
		.amdhsa_user_sgpr_private_segment_size 0
		.amdhsa_wavefront_size32 1
		.amdhsa_uses_dynamic_stack 0
		.amdhsa_enable_private_segment 0
		.amdhsa_system_sgpr_workgroup_id_x 1
		.amdhsa_system_sgpr_workgroup_id_y 0
		.amdhsa_system_sgpr_workgroup_id_z 0
		.amdhsa_system_sgpr_workgroup_info 0
		.amdhsa_system_vgpr_workitem_id 0
		.amdhsa_next_free_vgpr 1
		.amdhsa_next_free_sgpr 1
		.amdhsa_named_barrier_count 0
		.amdhsa_reserve_vcc 0
		.amdhsa_float_round_mode_32 0
		.amdhsa_float_round_mode_16_64 0
		.amdhsa_float_denorm_mode_32 3
		.amdhsa_float_denorm_mode_16_64 3
		.amdhsa_fp16_overflow 0
		.amdhsa_memory_ordered 1
		.amdhsa_forward_progress 1
		.amdhsa_inst_pref_size 0
		.amdhsa_round_robin_scheduling 0
		.amdhsa_exception_fp_ieee_invalid_op 0
		.amdhsa_exception_fp_denorm_src 0
		.amdhsa_exception_fp_ieee_div_zero 0
		.amdhsa_exception_fp_ieee_overflow 0
		.amdhsa_exception_fp_ieee_underflow 0
		.amdhsa_exception_fp_ieee_inexact 0
		.amdhsa_exception_int_div_zero 0
	.end_amdhsa_kernel
	.section	.text._ZN7rocprim17ROCPRIM_400000_NS6detail17trampoline_kernelINS0_14default_configENS1_36segmented_radix_sort_config_selectorIhlEEZNS1_25segmented_radix_sort_implIS3_Lb0EPKhPhPKlPlN2at6native12_GLOBAL__N_18offset_tEEE10hipError_tPvRmT1_PNSt15iterator_traitsISK_E10value_typeET2_T3_PNSL_ISQ_E10value_typeET4_jRbjT5_SW_jjP12ihipStream_tbEUlT_E_NS1_11comp_targetILNS1_3genE9ELNS1_11target_archE1100ELNS1_3gpuE3ELNS1_3repE0EEENS1_30default_config_static_selectorELNS0_4arch9wavefront6targetE0EEEvSK_,"axG",@progbits,_ZN7rocprim17ROCPRIM_400000_NS6detail17trampoline_kernelINS0_14default_configENS1_36segmented_radix_sort_config_selectorIhlEEZNS1_25segmented_radix_sort_implIS3_Lb0EPKhPhPKlPlN2at6native12_GLOBAL__N_18offset_tEEE10hipError_tPvRmT1_PNSt15iterator_traitsISK_E10value_typeET2_T3_PNSL_ISQ_E10value_typeET4_jRbjT5_SW_jjP12ihipStream_tbEUlT_E_NS1_11comp_targetILNS1_3genE9ELNS1_11target_archE1100ELNS1_3gpuE3ELNS1_3repE0EEENS1_30default_config_static_selectorELNS0_4arch9wavefront6targetE0EEEvSK_,comdat
.Lfunc_end193:
	.size	_ZN7rocprim17ROCPRIM_400000_NS6detail17trampoline_kernelINS0_14default_configENS1_36segmented_radix_sort_config_selectorIhlEEZNS1_25segmented_radix_sort_implIS3_Lb0EPKhPhPKlPlN2at6native12_GLOBAL__N_18offset_tEEE10hipError_tPvRmT1_PNSt15iterator_traitsISK_E10value_typeET2_T3_PNSL_ISQ_E10value_typeET4_jRbjT5_SW_jjP12ihipStream_tbEUlT_E_NS1_11comp_targetILNS1_3genE9ELNS1_11target_archE1100ELNS1_3gpuE3ELNS1_3repE0EEENS1_30default_config_static_selectorELNS0_4arch9wavefront6targetE0EEEvSK_, .Lfunc_end193-_ZN7rocprim17ROCPRIM_400000_NS6detail17trampoline_kernelINS0_14default_configENS1_36segmented_radix_sort_config_selectorIhlEEZNS1_25segmented_radix_sort_implIS3_Lb0EPKhPhPKlPlN2at6native12_GLOBAL__N_18offset_tEEE10hipError_tPvRmT1_PNSt15iterator_traitsISK_E10value_typeET2_T3_PNSL_ISQ_E10value_typeET4_jRbjT5_SW_jjP12ihipStream_tbEUlT_E_NS1_11comp_targetILNS1_3genE9ELNS1_11target_archE1100ELNS1_3gpuE3ELNS1_3repE0EEENS1_30default_config_static_selectorELNS0_4arch9wavefront6targetE0EEEvSK_
                                        ; -- End function
	.set _ZN7rocprim17ROCPRIM_400000_NS6detail17trampoline_kernelINS0_14default_configENS1_36segmented_radix_sort_config_selectorIhlEEZNS1_25segmented_radix_sort_implIS3_Lb0EPKhPhPKlPlN2at6native12_GLOBAL__N_18offset_tEEE10hipError_tPvRmT1_PNSt15iterator_traitsISK_E10value_typeET2_T3_PNSL_ISQ_E10value_typeET4_jRbjT5_SW_jjP12ihipStream_tbEUlT_E_NS1_11comp_targetILNS1_3genE9ELNS1_11target_archE1100ELNS1_3gpuE3ELNS1_3repE0EEENS1_30default_config_static_selectorELNS0_4arch9wavefront6targetE0EEEvSK_.num_vgpr, 0
	.set _ZN7rocprim17ROCPRIM_400000_NS6detail17trampoline_kernelINS0_14default_configENS1_36segmented_radix_sort_config_selectorIhlEEZNS1_25segmented_radix_sort_implIS3_Lb0EPKhPhPKlPlN2at6native12_GLOBAL__N_18offset_tEEE10hipError_tPvRmT1_PNSt15iterator_traitsISK_E10value_typeET2_T3_PNSL_ISQ_E10value_typeET4_jRbjT5_SW_jjP12ihipStream_tbEUlT_E_NS1_11comp_targetILNS1_3genE9ELNS1_11target_archE1100ELNS1_3gpuE3ELNS1_3repE0EEENS1_30default_config_static_selectorELNS0_4arch9wavefront6targetE0EEEvSK_.num_agpr, 0
	.set _ZN7rocprim17ROCPRIM_400000_NS6detail17trampoline_kernelINS0_14default_configENS1_36segmented_radix_sort_config_selectorIhlEEZNS1_25segmented_radix_sort_implIS3_Lb0EPKhPhPKlPlN2at6native12_GLOBAL__N_18offset_tEEE10hipError_tPvRmT1_PNSt15iterator_traitsISK_E10value_typeET2_T3_PNSL_ISQ_E10value_typeET4_jRbjT5_SW_jjP12ihipStream_tbEUlT_E_NS1_11comp_targetILNS1_3genE9ELNS1_11target_archE1100ELNS1_3gpuE3ELNS1_3repE0EEENS1_30default_config_static_selectorELNS0_4arch9wavefront6targetE0EEEvSK_.numbered_sgpr, 0
	.set _ZN7rocprim17ROCPRIM_400000_NS6detail17trampoline_kernelINS0_14default_configENS1_36segmented_radix_sort_config_selectorIhlEEZNS1_25segmented_radix_sort_implIS3_Lb0EPKhPhPKlPlN2at6native12_GLOBAL__N_18offset_tEEE10hipError_tPvRmT1_PNSt15iterator_traitsISK_E10value_typeET2_T3_PNSL_ISQ_E10value_typeET4_jRbjT5_SW_jjP12ihipStream_tbEUlT_E_NS1_11comp_targetILNS1_3genE9ELNS1_11target_archE1100ELNS1_3gpuE3ELNS1_3repE0EEENS1_30default_config_static_selectorELNS0_4arch9wavefront6targetE0EEEvSK_.num_named_barrier, 0
	.set _ZN7rocprim17ROCPRIM_400000_NS6detail17trampoline_kernelINS0_14default_configENS1_36segmented_radix_sort_config_selectorIhlEEZNS1_25segmented_radix_sort_implIS3_Lb0EPKhPhPKlPlN2at6native12_GLOBAL__N_18offset_tEEE10hipError_tPvRmT1_PNSt15iterator_traitsISK_E10value_typeET2_T3_PNSL_ISQ_E10value_typeET4_jRbjT5_SW_jjP12ihipStream_tbEUlT_E_NS1_11comp_targetILNS1_3genE9ELNS1_11target_archE1100ELNS1_3gpuE3ELNS1_3repE0EEENS1_30default_config_static_selectorELNS0_4arch9wavefront6targetE0EEEvSK_.private_seg_size, 0
	.set _ZN7rocprim17ROCPRIM_400000_NS6detail17trampoline_kernelINS0_14default_configENS1_36segmented_radix_sort_config_selectorIhlEEZNS1_25segmented_radix_sort_implIS3_Lb0EPKhPhPKlPlN2at6native12_GLOBAL__N_18offset_tEEE10hipError_tPvRmT1_PNSt15iterator_traitsISK_E10value_typeET2_T3_PNSL_ISQ_E10value_typeET4_jRbjT5_SW_jjP12ihipStream_tbEUlT_E_NS1_11comp_targetILNS1_3genE9ELNS1_11target_archE1100ELNS1_3gpuE3ELNS1_3repE0EEENS1_30default_config_static_selectorELNS0_4arch9wavefront6targetE0EEEvSK_.uses_vcc, 0
	.set _ZN7rocprim17ROCPRIM_400000_NS6detail17trampoline_kernelINS0_14default_configENS1_36segmented_radix_sort_config_selectorIhlEEZNS1_25segmented_radix_sort_implIS3_Lb0EPKhPhPKlPlN2at6native12_GLOBAL__N_18offset_tEEE10hipError_tPvRmT1_PNSt15iterator_traitsISK_E10value_typeET2_T3_PNSL_ISQ_E10value_typeET4_jRbjT5_SW_jjP12ihipStream_tbEUlT_E_NS1_11comp_targetILNS1_3genE9ELNS1_11target_archE1100ELNS1_3gpuE3ELNS1_3repE0EEENS1_30default_config_static_selectorELNS0_4arch9wavefront6targetE0EEEvSK_.uses_flat_scratch, 0
	.set _ZN7rocprim17ROCPRIM_400000_NS6detail17trampoline_kernelINS0_14default_configENS1_36segmented_radix_sort_config_selectorIhlEEZNS1_25segmented_radix_sort_implIS3_Lb0EPKhPhPKlPlN2at6native12_GLOBAL__N_18offset_tEEE10hipError_tPvRmT1_PNSt15iterator_traitsISK_E10value_typeET2_T3_PNSL_ISQ_E10value_typeET4_jRbjT5_SW_jjP12ihipStream_tbEUlT_E_NS1_11comp_targetILNS1_3genE9ELNS1_11target_archE1100ELNS1_3gpuE3ELNS1_3repE0EEENS1_30default_config_static_selectorELNS0_4arch9wavefront6targetE0EEEvSK_.has_dyn_sized_stack, 0
	.set _ZN7rocprim17ROCPRIM_400000_NS6detail17trampoline_kernelINS0_14default_configENS1_36segmented_radix_sort_config_selectorIhlEEZNS1_25segmented_radix_sort_implIS3_Lb0EPKhPhPKlPlN2at6native12_GLOBAL__N_18offset_tEEE10hipError_tPvRmT1_PNSt15iterator_traitsISK_E10value_typeET2_T3_PNSL_ISQ_E10value_typeET4_jRbjT5_SW_jjP12ihipStream_tbEUlT_E_NS1_11comp_targetILNS1_3genE9ELNS1_11target_archE1100ELNS1_3gpuE3ELNS1_3repE0EEENS1_30default_config_static_selectorELNS0_4arch9wavefront6targetE0EEEvSK_.has_recursion, 0
	.set _ZN7rocprim17ROCPRIM_400000_NS6detail17trampoline_kernelINS0_14default_configENS1_36segmented_radix_sort_config_selectorIhlEEZNS1_25segmented_radix_sort_implIS3_Lb0EPKhPhPKlPlN2at6native12_GLOBAL__N_18offset_tEEE10hipError_tPvRmT1_PNSt15iterator_traitsISK_E10value_typeET2_T3_PNSL_ISQ_E10value_typeET4_jRbjT5_SW_jjP12ihipStream_tbEUlT_E_NS1_11comp_targetILNS1_3genE9ELNS1_11target_archE1100ELNS1_3gpuE3ELNS1_3repE0EEENS1_30default_config_static_selectorELNS0_4arch9wavefront6targetE0EEEvSK_.has_indirect_call, 0
	.section	.AMDGPU.csdata,"",@progbits
; Kernel info:
; codeLenInByte = 0
; TotalNumSgprs: 0
; NumVgprs: 0
; ScratchSize: 0
; MemoryBound: 0
; FloatMode: 240
; IeeeMode: 1
; LDSByteSize: 0 bytes/workgroup (compile time only)
; SGPRBlocks: 0
; VGPRBlocks: 0
; NumSGPRsForWavesPerEU: 1
; NumVGPRsForWavesPerEU: 1
; NamedBarCnt: 0
; Occupancy: 16
; WaveLimiterHint : 0
; COMPUTE_PGM_RSRC2:SCRATCH_EN: 0
; COMPUTE_PGM_RSRC2:USER_SGPR: 2
; COMPUTE_PGM_RSRC2:TRAP_HANDLER: 0
; COMPUTE_PGM_RSRC2:TGID_X_EN: 1
; COMPUTE_PGM_RSRC2:TGID_Y_EN: 0
; COMPUTE_PGM_RSRC2:TGID_Z_EN: 0
; COMPUTE_PGM_RSRC2:TIDIG_COMP_CNT: 0
	.section	.text._ZN7rocprim17ROCPRIM_400000_NS6detail17trampoline_kernelINS0_14default_configENS1_36segmented_radix_sort_config_selectorIhlEEZNS1_25segmented_radix_sort_implIS3_Lb0EPKhPhPKlPlN2at6native12_GLOBAL__N_18offset_tEEE10hipError_tPvRmT1_PNSt15iterator_traitsISK_E10value_typeET2_T3_PNSL_ISQ_E10value_typeET4_jRbjT5_SW_jjP12ihipStream_tbEUlT_E_NS1_11comp_targetILNS1_3genE8ELNS1_11target_archE1030ELNS1_3gpuE2ELNS1_3repE0EEENS1_30default_config_static_selectorELNS0_4arch9wavefront6targetE0EEEvSK_,"axG",@progbits,_ZN7rocprim17ROCPRIM_400000_NS6detail17trampoline_kernelINS0_14default_configENS1_36segmented_radix_sort_config_selectorIhlEEZNS1_25segmented_radix_sort_implIS3_Lb0EPKhPhPKlPlN2at6native12_GLOBAL__N_18offset_tEEE10hipError_tPvRmT1_PNSt15iterator_traitsISK_E10value_typeET2_T3_PNSL_ISQ_E10value_typeET4_jRbjT5_SW_jjP12ihipStream_tbEUlT_E_NS1_11comp_targetILNS1_3genE8ELNS1_11target_archE1030ELNS1_3gpuE2ELNS1_3repE0EEENS1_30default_config_static_selectorELNS0_4arch9wavefront6targetE0EEEvSK_,comdat
	.globl	_ZN7rocprim17ROCPRIM_400000_NS6detail17trampoline_kernelINS0_14default_configENS1_36segmented_radix_sort_config_selectorIhlEEZNS1_25segmented_radix_sort_implIS3_Lb0EPKhPhPKlPlN2at6native12_GLOBAL__N_18offset_tEEE10hipError_tPvRmT1_PNSt15iterator_traitsISK_E10value_typeET2_T3_PNSL_ISQ_E10value_typeET4_jRbjT5_SW_jjP12ihipStream_tbEUlT_E_NS1_11comp_targetILNS1_3genE8ELNS1_11target_archE1030ELNS1_3gpuE2ELNS1_3repE0EEENS1_30default_config_static_selectorELNS0_4arch9wavefront6targetE0EEEvSK_ ; -- Begin function _ZN7rocprim17ROCPRIM_400000_NS6detail17trampoline_kernelINS0_14default_configENS1_36segmented_radix_sort_config_selectorIhlEEZNS1_25segmented_radix_sort_implIS3_Lb0EPKhPhPKlPlN2at6native12_GLOBAL__N_18offset_tEEE10hipError_tPvRmT1_PNSt15iterator_traitsISK_E10value_typeET2_T3_PNSL_ISQ_E10value_typeET4_jRbjT5_SW_jjP12ihipStream_tbEUlT_E_NS1_11comp_targetILNS1_3genE8ELNS1_11target_archE1030ELNS1_3gpuE2ELNS1_3repE0EEENS1_30default_config_static_selectorELNS0_4arch9wavefront6targetE0EEEvSK_
	.p2align	8
	.type	_ZN7rocprim17ROCPRIM_400000_NS6detail17trampoline_kernelINS0_14default_configENS1_36segmented_radix_sort_config_selectorIhlEEZNS1_25segmented_radix_sort_implIS3_Lb0EPKhPhPKlPlN2at6native12_GLOBAL__N_18offset_tEEE10hipError_tPvRmT1_PNSt15iterator_traitsISK_E10value_typeET2_T3_PNSL_ISQ_E10value_typeET4_jRbjT5_SW_jjP12ihipStream_tbEUlT_E_NS1_11comp_targetILNS1_3genE8ELNS1_11target_archE1030ELNS1_3gpuE2ELNS1_3repE0EEENS1_30default_config_static_selectorELNS0_4arch9wavefront6targetE0EEEvSK_,@function
_ZN7rocprim17ROCPRIM_400000_NS6detail17trampoline_kernelINS0_14default_configENS1_36segmented_radix_sort_config_selectorIhlEEZNS1_25segmented_radix_sort_implIS3_Lb0EPKhPhPKlPlN2at6native12_GLOBAL__N_18offset_tEEE10hipError_tPvRmT1_PNSt15iterator_traitsISK_E10value_typeET2_T3_PNSL_ISQ_E10value_typeET4_jRbjT5_SW_jjP12ihipStream_tbEUlT_E_NS1_11comp_targetILNS1_3genE8ELNS1_11target_archE1030ELNS1_3gpuE2ELNS1_3repE0EEENS1_30default_config_static_selectorELNS0_4arch9wavefront6targetE0EEEvSK_: ; @_ZN7rocprim17ROCPRIM_400000_NS6detail17trampoline_kernelINS0_14default_configENS1_36segmented_radix_sort_config_selectorIhlEEZNS1_25segmented_radix_sort_implIS3_Lb0EPKhPhPKlPlN2at6native12_GLOBAL__N_18offset_tEEE10hipError_tPvRmT1_PNSt15iterator_traitsISK_E10value_typeET2_T3_PNSL_ISQ_E10value_typeET4_jRbjT5_SW_jjP12ihipStream_tbEUlT_E_NS1_11comp_targetILNS1_3genE8ELNS1_11target_archE1030ELNS1_3gpuE2ELNS1_3repE0EEENS1_30default_config_static_selectorELNS0_4arch9wavefront6targetE0EEEvSK_
; %bb.0:
	.section	.rodata,"a",@progbits
	.p2align	6, 0x0
	.amdhsa_kernel _ZN7rocprim17ROCPRIM_400000_NS6detail17trampoline_kernelINS0_14default_configENS1_36segmented_radix_sort_config_selectorIhlEEZNS1_25segmented_radix_sort_implIS3_Lb0EPKhPhPKlPlN2at6native12_GLOBAL__N_18offset_tEEE10hipError_tPvRmT1_PNSt15iterator_traitsISK_E10value_typeET2_T3_PNSL_ISQ_E10value_typeET4_jRbjT5_SW_jjP12ihipStream_tbEUlT_E_NS1_11comp_targetILNS1_3genE8ELNS1_11target_archE1030ELNS1_3gpuE2ELNS1_3repE0EEENS1_30default_config_static_selectorELNS0_4arch9wavefront6targetE0EEEvSK_
		.amdhsa_group_segment_fixed_size 0
		.amdhsa_private_segment_fixed_size 0
		.amdhsa_kernarg_size 96
		.amdhsa_user_sgpr_count 2
		.amdhsa_user_sgpr_dispatch_ptr 0
		.amdhsa_user_sgpr_queue_ptr 0
		.amdhsa_user_sgpr_kernarg_segment_ptr 1
		.amdhsa_user_sgpr_dispatch_id 0
		.amdhsa_user_sgpr_kernarg_preload_length 0
		.amdhsa_user_sgpr_kernarg_preload_offset 0
		.amdhsa_user_sgpr_private_segment_size 0
		.amdhsa_wavefront_size32 1
		.amdhsa_uses_dynamic_stack 0
		.amdhsa_enable_private_segment 0
		.amdhsa_system_sgpr_workgroup_id_x 1
		.amdhsa_system_sgpr_workgroup_id_y 0
		.amdhsa_system_sgpr_workgroup_id_z 0
		.amdhsa_system_sgpr_workgroup_info 0
		.amdhsa_system_vgpr_workitem_id 0
		.amdhsa_next_free_vgpr 1
		.amdhsa_next_free_sgpr 1
		.amdhsa_named_barrier_count 0
		.amdhsa_reserve_vcc 0
		.amdhsa_float_round_mode_32 0
		.amdhsa_float_round_mode_16_64 0
		.amdhsa_float_denorm_mode_32 3
		.amdhsa_float_denorm_mode_16_64 3
		.amdhsa_fp16_overflow 0
		.amdhsa_memory_ordered 1
		.amdhsa_forward_progress 1
		.amdhsa_inst_pref_size 0
		.amdhsa_round_robin_scheduling 0
		.amdhsa_exception_fp_ieee_invalid_op 0
		.amdhsa_exception_fp_denorm_src 0
		.amdhsa_exception_fp_ieee_div_zero 0
		.amdhsa_exception_fp_ieee_overflow 0
		.amdhsa_exception_fp_ieee_underflow 0
		.amdhsa_exception_fp_ieee_inexact 0
		.amdhsa_exception_int_div_zero 0
	.end_amdhsa_kernel
	.section	.text._ZN7rocprim17ROCPRIM_400000_NS6detail17trampoline_kernelINS0_14default_configENS1_36segmented_radix_sort_config_selectorIhlEEZNS1_25segmented_radix_sort_implIS3_Lb0EPKhPhPKlPlN2at6native12_GLOBAL__N_18offset_tEEE10hipError_tPvRmT1_PNSt15iterator_traitsISK_E10value_typeET2_T3_PNSL_ISQ_E10value_typeET4_jRbjT5_SW_jjP12ihipStream_tbEUlT_E_NS1_11comp_targetILNS1_3genE8ELNS1_11target_archE1030ELNS1_3gpuE2ELNS1_3repE0EEENS1_30default_config_static_selectorELNS0_4arch9wavefront6targetE0EEEvSK_,"axG",@progbits,_ZN7rocprim17ROCPRIM_400000_NS6detail17trampoline_kernelINS0_14default_configENS1_36segmented_radix_sort_config_selectorIhlEEZNS1_25segmented_radix_sort_implIS3_Lb0EPKhPhPKlPlN2at6native12_GLOBAL__N_18offset_tEEE10hipError_tPvRmT1_PNSt15iterator_traitsISK_E10value_typeET2_T3_PNSL_ISQ_E10value_typeET4_jRbjT5_SW_jjP12ihipStream_tbEUlT_E_NS1_11comp_targetILNS1_3genE8ELNS1_11target_archE1030ELNS1_3gpuE2ELNS1_3repE0EEENS1_30default_config_static_selectorELNS0_4arch9wavefront6targetE0EEEvSK_,comdat
.Lfunc_end194:
	.size	_ZN7rocprim17ROCPRIM_400000_NS6detail17trampoline_kernelINS0_14default_configENS1_36segmented_radix_sort_config_selectorIhlEEZNS1_25segmented_radix_sort_implIS3_Lb0EPKhPhPKlPlN2at6native12_GLOBAL__N_18offset_tEEE10hipError_tPvRmT1_PNSt15iterator_traitsISK_E10value_typeET2_T3_PNSL_ISQ_E10value_typeET4_jRbjT5_SW_jjP12ihipStream_tbEUlT_E_NS1_11comp_targetILNS1_3genE8ELNS1_11target_archE1030ELNS1_3gpuE2ELNS1_3repE0EEENS1_30default_config_static_selectorELNS0_4arch9wavefront6targetE0EEEvSK_, .Lfunc_end194-_ZN7rocprim17ROCPRIM_400000_NS6detail17trampoline_kernelINS0_14default_configENS1_36segmented_radix_sort_config_selectorIhlEEZNS1_25segmented_radix_sort_implIS3_Lb0EPKhPhPKlPlN2at6native12_GLOBAL__N_18offset_tEEE10hipError_tPvRmT1_PNSt15iterator_traitsISK_E10value_typeET2_T3_PNSL_ISQ_E10value_typeET4_jRbjT5_SW_jjP12ihipStream_tbEUlT_E_NS1_11comp_targetILNS1_3genE8ELNS1_11target_archE1030ELNS1_3gpuE2ELNS1_3repE0EEENS1_30default_config_static_selectorELNS0_4arch9wavefront6targetE0EEEvSK_
                                        ; -- End function
	.set _ZN7rocprim17ROCPRIM_400000_NS6detail17trampoline_kernelINS0_14default_configENS1_36segmented_radix_sort_config_selectorIhlEEZNS1_25segmented_radix_sort_implIS3_Lb0EPKhPhPKlPlN2at6native12_GLOBAL__N_18offset_tEEE10hipError_tPvRmT1_PNSt15iterator_traitsISK_E10value_typeET2_T3_PNSL_ISQ_E10value_typeET4_jRbjT5_SW_jjP12ihipStream_tbEUlT_E_NS1_11comp_targetILNS1_3genE8ELNS1_11target_archE1030ELNS1_3gpuE2ELNS1_3repE0EEENS1_30default_config_static_selectorELNS0_4arch9wavefront6targetE0EEEvSK_.num_vgpr, 0
	.set _ZN7rocprim17ROCPRIM_400000_NS6detail17trampoline_kernelINS0_14default_configENS1_36segmented_radix_sort_config_selectorIhlEEZNS1_25segmented_radix_sort_implIS3_Lb0EPKhPhPKlPlN2at6native12_GLOBAL__N_18offset_tEEE10hipError_tPvRmT1_PNSt15iterator_traitsISK_E10value_typeET2_T3_PNSL_ISQ_E10value_typeET4_jRbjT5_SW_jjP12ihipStream_tbEUlT_E_NS1_11comp_targetILNS1_3genE8ELNS1_11target_archE1030ELNS1_3gpuE2ELNS1_3repE0EEENS1_30default_config_static_selectorELNS0_4arch9wavefront6targetE0EEEvSK_.num_agpr, 0
	.set _ZN7rocprim17ROCPRIM_400000_NS6detail17trampoline_kernelINS0_14default_configENS1_36segmented_radix_sort_config_selectorIhlEEZNS1_25segmented_radix_sort_implIS3_Lb0EPKhPhPKlPlN2at6native12_GLOBAL__N_18offset_tEEE10hipError_tPvRmT1_PNSt15iterator_traitsISK_E10value_typeET2_T3_PNSL_ISQ_E10value_typeET4_jRbjT5_SW_jjP12ihipStream_tbEUlT_E_NS1_11comp_targetILNS1_3genE8ELNS1_11target_archE1030ELNS1_3gpuE2ELNS1_3repE0EEENS1_30default_config_static_selectorELNS0_4arch9wavefront6targetE0EEEvSK_.numbered_sgpr, 0
	.set _ZN7rocprim17ROCPRIM_400000_NS6detail17trampoline_kernelINS0_14default_configENS1_36segmented_radix_sort_config_selectorIhlEEZNS1_25segmented_radix_sort_implIS3_Lb0EPKhPhPKlPlN2at6native12_GLOBAL__N_18offset_tEEE10hipError_tPvRmT1_PNSt15iterator_traitsISK_E10value_typeET2_T3_PNSL_ISQ_E10value_typeET4_jRbjT5_SW_jjP12ihipStream_tbEUlT_E_NS1_11comp_targetILNS1_3genE8ELNS1_11target_archE1030ELNS1_3gpuE2ELNS1_3repE0EEENS1_30default_config_static_selectorELNS0_4arch9wavefront6targetE0EEEvSK_.num_named_barrier, 0
	.set _ZN7rocprim17ROCPRIM_400000_NS6detail17trampoline_kernelINS0_14default_configENS1_36segmented_radix_sort_config_selectorIhlEEZNS1_25segmented_radix_sort_implIS3_Lb0EPKhPhPKlPlN2at6native12_GLOBAL__N_18offset_tEEE10hipError_tPvRmT1_PNSt15iterator_traitsISK_E10value_typeET2_T3_PNSL_ISQ_E10value_typeET4_jRbjT5_SW_jjP12ihipStream_tbEUlT_E_NS1_11comp_targetILNS1_3genE8ELNS1_11target_archE1030ELNS1_3gpuE2ELNS1_3repE0EEENS1_30default_config_static_selectorELNS0_4arch9wavefront6targetE0EEEvSK_.private_seg_size, 0
	.set _ZN7rocprim17ROCPRIM_400000_NS6detail17trampoline_kernelINS0_14default_configENS1_36segmented_radix_sort_config_selectorIhlEEZNS1_25segmented_radix_sort_implIS3_Lb0EPKhPhPKlPlN2at6native12_GLOBAL__N_18offset_tEEE10hipError_tPvRmT1_PNSt15iterator_traitsISK_E10value_typeET2_T3_PNSL_ISQ_E10value_typeET4_jRbjT5_SW_jjP12ihipStream_tbEUlT_E_NS1_11comp_targetILNS1_3genE8ELNS1_11target_archE1030ELNS1_3gpuE2ELNS1_3repE0EEENS1_30default_config_static_selectorELNS0_4arch9wavefront6targetE0EEEvSK_.uses_vcc, 0
	.set _ZN7rocprim17ROCPRIM_400000_NS6detail17trampoline_kernelINS0_14default_configENS1_36segmented_radix_sort_config_selectorIhlEEZNS1_25segmented_radix_sort_implIS3_Lb0EPKhPhPKlPlN2at6native12_GLOBAL__N_18offset_tEEE10hipError_tPvRmT1_PNSt15iterator_traitsISK_E10value_typeET2_T3_PNSL_ISQ_E10value_typeET4_jRbjT5_SW_jjP12ihipStream_tbEUlT_E_NS1_11comp_targetILNS1_3genE8ELNS1_11target_archE1030ELNS1_3gpuE2ELNS1_3repE0EEENS1_30default_config_static_selectorELNS0_4arch9wavefront6targetE0EEEvSK_.uses_flat_scratch, 0
	.set _ZN7rocprim17ROCPRIM_400000_NS6detail17trampoline_kernelINS0_14default_configENS1_36segmented_radix_sort_config_selectorIhlEEZNS1_25segmented_radix_sort_implIS3_Lb0EPKhPhPKlPlN2at6native12_GLOBAL__N_18offset_tEEE10hipError_tPvRmT1_PNSt15iterator_traitsISK_E10value_typeET2_T3_PNSL_ISQ_E10value_typeET4_jRbjT5_SW_jjP12ihipStream_tbEUlT_E_NS1_11comp_targetILNS1_3genE8ELNS1_11target_archE1030ELNS1_3gpuE2ELNS1_3repE0EEENS1_30default_config_static_selectorELNS0_4arch9wavefront6targetE0EEEvSK_.has_dyn_sized_stack, 0
	.set _ZN7rocprim17ROCPRIM_400000_NS6detail17trampoline_kernelINS0_14default_configENS1_36segmented_radix_sort_config_selectorIhlEEZNS1_25segmented_radix_sort_implIS3_Lb0EPKhPhPKlPlN2at6native12_GLOBAL__N_18offset_tEEE10hipError_tPvRmT1_PNSt15iterator_traitsISK_E10value_typeET2_T3_PNSL_ISQ_E10value_typeET4_jRbjT5_SW_jjP12ihipStream_tbEUlT_E_NS1_11comp_targetILNS1_3genE8ELNS1_11target_archE1030ELNS1_3gpuE2ELNS1_3repE0EEENS1_30default_config_static_selectorELNS0_4arch9wavefront6targetE0EEEvSK_.has_recursion, 0
	.set _ZN7rocprim17ROCPRIM_400000_NS6detail17trampoline_kernelINS0_14default_configENS1_36segmented_radix_sort_config_selectorIhlEEZNS1_25segmented_radix_sort_implIS3_Lb0EPKhPhPKlPlN2at6native12_GLOBAL__N_18offset_tEEE10hipError_tPvRmT1_PNSt15iterator_traitsISK_E10value_typeET2_T3_PNSL_ISQ_E10value_typeET4_jRbjT5_SW_jjP12ihipStream_tbEUlT_E_NS1_11comp_targetILNS1_3genE8ELNS1_11target_archE1030ELNS1_3gpuE2ELNS1_3repE0EEENS1_30default_config_static_selectorELNS0_4arch9wavefront6targetE0EEEvSK_.has_indirect_call, 0
	.section	.AMDGPU.csdata,"",@progbits
; Kernel info:
; codeLenInByte = 0
; TotalNumSgprs: 0
; NumVgprs: 0
; ScratchSize: 0
; MemoryBound: 0
; FloatMode: 240
; IeeeMode: 1
; LDSByteSize: 0 bytes/workgroup (compile time only)
; SGPRBlocks: 0
; VGPRBlocks: 0
; NumSGPRsForWavesPerEU: 1
; NumVGPRsForWavesPerEU: 1
; NamedBarCnt: 0
; Occupancy: 16
; WaveLimiterHint : 0
; COMPUTE_PGM_RSRC2:SCRATCH_EN: 0
; COMPUTE_PGM_RSRC2:USER_SGPR: 2
; COMPUTE_PGM_RSRC2:TRAP_HANDLER: 0
; COMPUTE_PGM_RSRC2:TGID_X_EN: 1
; COMPUTE_PGM_RSRC2:TGID_Y_EN: 0
; COMPUTE_PGM_RSRC2:TGID_Z_EN: 0
; COMPUTE_PGM_RSRC2:TIDIG_COMP_CNT: 0
	.text
	.p2align	2                               ; -- Begin function _ZN7rocprim17ROCPRIM_400000_NS6detail26segmented_warp_sort_helperINS1_20WarpSortHelperConfigILj32ELj4ELj256EEEhlLi256ELb0EvE4sortIPKhPhPKlPlEEvT_T0_T1_T2_jjjjRNS5_12storage_typeE
	.type	_ZN7rocprim17ROCPRIM_400000_NS6detail26segmented_warp_sort_helperINS1_20WarpSortHelperConfigILj32ELj4ELj256EEEhlLi256ELb0EvE4sortIPKhPhPKlPlEEvT_T0_T1_T2_jjjjRNS5_12storage_typeE,@function
_ZN7rocprim17ROCPRIM_400000_NS6detail26segmented_warp_sort_helperINS1_20WarpSortHelperConfigILj32ELj4ELj256EEEhlLi256ELb0EvE4sortIPKhPhPKlPlEEvT_T0_T1_T2_jjjjRNS5_12storage_typeE: ; @_ZN7rocprim17ROCPRIM_400000_NS6detail26segmented_warp_sort_helperINS1_20WarpSortHelperConfigILj32ELj4ELj256EEEhlLi256ELb0EvE4sortIPKhPhPKlPlEEvT_T0_T1_T2_jjjjRNS5_12storage_typeE
; %bb.0:
	s_wait_loadcnt_dscnt 0x0
	s_wait_kmcnt 0x0
	v_dual_mov_b32 v14, v9 :: v_dual_mov_b32 v9, 0
	v_mbcnt_lo_u32_b32 v15, -1, 0
	v_dual_mov_b32 v32, 0xff :: v_dual_mov_b32 v33, 0xff
	s_delay_alu instid0(VALU_DEP_3) | instskip(NEXT) | instid1(VALU_DEP_4)
	v_dual_mov_b32 v35, 0xff :: v_dual_sub_nc_u32 v16, v14, v8
	v_add_nc_u64_e32 v[18:19], v[0:1], v[8:9]
	s_delay_alu instid0(VALU_DEP_4) | instskip(SKIP_1) | instid1(VALU_DEP_2)
	v_dual_mov_b32 v1, v9 :: v_dual_lshlrev_b32 v0, 2, v15
	v_mov_b32_e32 v34, 0xff
	v_cmp_lt_u32_e32 vcc_lo, v0, v16
	s_delay_alu instid0(VALU_DEP_3)
	v_add_nc_u64_e32 v[14:15], v[18:19], v[0:1]
	s_and_saveexec_b32 s0, vcc_lo
	s_cbranch_execz .LBB195_2
; %bb.1:
	flat_load_u8 v32, v[14:15]
	v_dual_mov_b32 v35, 0xff :: v_dual_mov_b32 v34, 0xff
	v_mov_b32_e32 v33, 0xff
.LBB195_2:
	s_wait_xcnt 0x0
	s_or_b32 exec_lo, exec_lo, s0
	v_or_b32_e32 v17, 1, v0
	s_delay_alu instid0(VALU_DEP_1)
	v_cmp_lt_u32_e64 s0, v17, v16
	s_and_saveexec_b32 s1, s0
	s_cbranch_execz .LBB195_4
; %bb.3:
	flat_load_u8 v33, v[14:15] offset:1
.LBB195_4:
	s_wait_xcnt 0x0
	s_or_b32 exec_lo, exec_lo, s1
	v_or_b32_e32 v17, 2, v0
	s_delay_alu instid0(VALU_DEP_1)
	v_cmp_lt_u32_e64 s1, v17, v16
	s_and_saveexec_b32 s2, s1
	s_cbranch_execz .LBB195_6
; %bb.5:
	flat_load_u8 v34, v[14:15] offset:2
.LBB195_6:
	;; [unrolled: 10-line block ×3, first 2 shown]
	s_wait_xcnt 0x0
	s_or_b32 exec_lo, exec_lo, s3
	v_lshl_add_u64 v[14:15], v[8:9], 3, v[4:5]
	v_dual_mov_b32 v5, 0 :: v_dual_lshlrev_b32 v4, 3, v0
	; wave barrier
	s_delay_alu instid0(VALU_DEP_1)
	v_add_nc_u64_e32 v[22:23], v[14:15], v[4:5]
                                        ; implicit-def: $vgpr14_vgpr15
	s_and_saveexec_b32 s3, vcc_lo
	s_cbranch_execnz .LBB195_147
; %bb.9:
	s_or_b32 exec_lo, exec_lo, s3
                                        ; implicit-def: $vgpr16_vgpr17
	s_and_saveexec_b32 s3, s0
	s_cbranch_execnz .LBB195_148
.LBB195_10:
	s_or_b32 exec_lo, exec_lo, s3
                                        ; implicit-def: $vgpr20_vgpr21
	s_and_saveexec_b32 s3, s1
	s_cbranch_execnz .LBB195_149
.LBB195_11:
	s_or_b32 exec_lo, exec_lo, s3
                                        ; implicit-def: $vgpr18_vgpr19
	s_and_saveexec_b32 s3, s2
	s_cbranch_execz .LBB195_13
.LBB195_12:
	flat_load_b64 v[18:19], v[22:23] offset:24
.LBB195_13:
	s_wait_xcnt 0x0
	s_or_b32 exec_lo, exec_lo, s3
	v_cmp_ne_u32_e64 s3, 0, v10
	v_cmp_ne_u32_e64 s4, 8, v11
	v_bfe_u32 v22, v31, 10, 10
	v_bfe_u32 v23, v31, 20, 10
	v_and_b32_e32 v5, 0x3ff, v31
	s_mov_b32 s5, 0
	s_or_b32 s3, s3, s4
	s_getreg_b32 s11, hwreg(HW_REG_IB_STS2, 6, 4)
	; wave barrier
	s_and_saveexec_b32 s4, s3
	s_delay_alu instid0(SALU_CYCLE_1)
	s_xor_b32 s12, exec_lo, s4
	s_cbranch_execz .LBB195_75
; %bb.14:
	s_load_b64 s[6:7], s[8:9], 0x0
	s_bfe_u32 s4, ttmp6, 0x4000c
	s_bfe_u32 s13, ttmp6, 0x40010
	s_and_b32 s10, ttmp7, 0xffff
	s_add_co_i32 s4, s4, 1
	s_add_co_i32 s13, s13, 1
	s_and_b32 s3, ttmp6, 15
	s_bfe_u32 s14, ttmp6, 0x40004
	s_mul_i32 s4, ttmp9, s4
	s_mul_i32 s13, s10, s13
	s_add_co_i32 s3, s3, s4
	s_add_co_i32 s14, s14, s13
	s_cmp_eq_u32 s11, 0
	v_lshlrev_b32_e64 v11, v11, -1
	s_cselect_b32 s3, ttmp9, s3
	s_cselect_b32 s10, s10, s14
	v_lshlrev_b32_e64 v10, v10, -1
	s_wait_kmcnt 0x0
	s_cmp_lt_u32 s3, s6
	s_cselect_b32 s4, 12, 18
	s_cmp_lt_u32 s10, s7
	s_mov_b32 s7, s5
	s_cselect_b32 s6, 14, 20
	s_add_nc_u64 s[4:5], s[8:9], s[4:5]
	s_add_nc_u64 s[6:7], s[8:9], s[6:7]
	s_clause 0x1
	s_load_u16 s4, s[4:5], 0x0
	s_nop 0
	s_load_u16 s3, s[6:7], 0x0
	s_wait_xcnt 0x0
	s_mov_b32 s6, exec_lo
	s_wait_kmcnt 0x0
	v_mad_u32_u24 v22, v23, s3, v22
	s_delay_alu instid0(VALU_DEP_1) | instskip(NEXT) | instid1(VALU_DEP_1)
	v_mul_lo_u32 v22, v22, s4
	v_add_lshl_u32 v24, v22, v5, 2
	v_xor_b32_e32 v5, v11, v10
	s_delay_alu instid0(VALU_DEP_2)
	v_cmpx_gt_u32_e32 0x400, v24
	s_cbranch_execz .LBB195_24
; %bb.15:
	s_wait_loadcnt_dscnt 0x0
	v_perm_b32 v10, v34, v35, 0xc0c0004
	v_perm_b32 v11, v33, v32, 0xc0c0004
	;; [unrolled: 1-line block ×3, first 2 shown]
	v_bitop3_b16 v23, v33, 0xff, v5 bitop3:0x80
	v_bitop3_b16 v25, v32, 0xff, v5 bitop3:0x80
	v_lshlrev_b32_e32 v10, 16, v10
	s_delay_alu instid0(VALU_DEP_2) | instskip(NEXT) | instid1(VALU_DEP_2)
	v_cmp_gt_u16_e64 s3, v25, v23
	v_or_b32_e32 v11, v11, v10
	v_or_b32_e32 v10, v22, v10
	s_delay_alu instid0(VALU_DEP_1) | instskip(SKIP_1) | instid1(VALU_DEP_2)
	v_cndmask_b32_e64 v25, v10, v11, s3
	v_mov_b64_e32 v[10:11], v[20:21]
	v_dual_lshrrev_b32 v22, 24, v25 :: v_dual_lshrrev_b32 v26, 16, v25
	v_lshrrev_b32_e32 v27, 8, v25
	s_delay_alu instid0(VALU_DEP_2) | instskip(NEXT) | instid1(VALU_DEP_3)
	v_and_b32_e32 v23, v22, v5
	v_bitop3_b16 v28, v26, 0xff, v5 bitop3:0x80
	v_and_b32_e32 v29, v26, v5
	s_delay_alu instid0(VALU_DEP_2)
	v_cmp_gt_u16_e64 s4, v28, v23
	v_mov_b32_e32 v28, v22
	s_and_saveexec_b32 s5, s4
; %bb.16:
	v_mov_b64_e32 v[10:11], v[18:19]
	v_mov_b64_e32 v[18:19], v[20:21]
	v_dual_mov_b32 v28, v26 :: v_dual_mov_b32 v26, v22
	v_mov_b32_e32 v29, v23
; %bb.17:
	s_or_b32 exec_lo, exec_lo, s5
	v_dual_cndmask_b32 v23, v17, v15, s3 :: v_dual_cndmask_b32 v22, v16, v14, s3
	v_bitop3_b16 v20, v27, 0xff, v5 bitop3:0x80
	s_delay_alu instid0(VALU_DEP_3) | instskip(SKIP_1) | instid1(VALU_DEP_2)
	v_and_b32_e32 v21, 0xff, v29
	v_and_b32_e32 v29, v27, v5
	v_cmp_gt_u16_e64 s4, v20, v21
	v_mov_b64_e32 v[20:21], v[22:23]
	s_and_saveexec_b32 s5, s4
	s_delay_alu instid0(SALU_CYCLE_1)
	s_xor_b32 s4, exec_lo, s5
; %bb.18:
	v_dual_mov_b32 v30, v27 :: v_dual_bitop2_b32 v29, v26, v5 bitop3:0x40
	v_mov_b64_e32 v[20:21], v[10:11]
	v_mov_b64_e32 v[10:11], v[22:23]
	s_delay_alu instid0(VALU_DEP_3)
	v_dual_mov_b32 v27, v26 :: v_dual_mov_b32 v26, v30
; %bb.19:
	s_or_b32 exec_lo, exec_lo, s4
	s_delay_alu instid0(VALU_DEP_1) | instskip(NEXT) | instid1(VALU_DEP_2)
	v_perm_b32 v22, v26, v28, 0xc0c0004
	v_perm_b32 v23, v27, v25, 0xc0c0004
	;; [unrolled: 1-line block ×3, first 2 shown]
	v_bitop3_b16 v25, v25, 0xff, v5 bitop3:0x80
	v_and_b32_e32 v27, 0xff, v29
	v_lshlrev_b32_e32 v22, 16, v22
	s_mov_b32 s7, exec_lo
	s_delay_alu instid0(VALU_DEP_2) | instskip(NEXT) | instid1(VALU_DEP_2)
	v_cmp_gt_u16_e64 s4, v25, v27
	v_or_b32_e32 v23, v23, v22
	v_or_b32_e32 v22, v26, v22
	s_delay_alu instid0(VALU_DEP_1) | instskip(SKIP_1) | instid1(VALU_DEP_2)
	v_cndmask_b32_e64 v32, v22, v23, s4
	v_mov_b64_e32 v[22:23], v[10:11]
	v_dual_lshrrev_b32 v26, 24, v32 :: v_dual_lshrrev_b32 v34, 16, v32
	s_delay_alu instid0(VALU_DEP_1) | instskip(SKIP_1) | instid1(VALU_DEP_3)
	v_dual_lshrrev_b32 v33, 8, v32 :: v_dual_bitop2_b32 v27, v26, v5 bitop3:0x40
	v_mov_b32_e32 v35, v26
	v_bitop3_b16 v28, v34, 0xff, v5 bitop3:0x80
	v_and_b32_e32 v25, v34, v5
	s_delay_alu instid0(VALU_DEP_2)
	v_cmpx_gt_u16_e64 v28, v27
; %bb.20:
	v_mov_b64_e32 v[22:23], v[18:19]
	v_mov_b64_e32 v[18:19], v[10:11]
	v_dual_mov_b32 v35, v34 :: v_dual_mov_b32 v34, v26
	v_mov_b32_e32 v25, v27
; %bb.21:
	s_or_b32 exec_lo, exec_lo, s7
	v_dual_cndmask_b32 v10, v15, v17, s3 :: v_dual_cndmask_b32 v11, v14, v16, s3
	v_bitop3_b16 v26, v33, 0xff, v5 bitop3:0x80
	s_delay_alu instid0(VALU_DEP_3) | instskip(NEXT) | instid1(VALU_DEP_3)
	v_and_b32_e32 v25, 0xff, v25
	v_dual_cndmask_b32 v15, v10, v21, s4 :: v_dual_cndmask_b32 v14, v11, v20, s4
	v_dual_cndmask_b32 v17, v21, v10, s4 :: v_dual_cndmask_b32 v16, v20, v11, s4
	v_mov_b64_e32 v[20:21], v[22:23]
	s_mov_b32 s4, exec_lo
	v_cmpx_gt_u16_e64 v26, v25
; %bb.22:
	v_mov_b32_e32 v10, v33
	v_swap_b32 v33, v34
	v_mov_b64_e32 v[20:21], v[16:17]
	v_mov_b64_e32 v[16:17], v[22:23]
; %bb.23:
	s_or_b32 exec_lo, exec_lo, s4
.LBB195_24:
	s_delay_alu instid0(SALU_CYCLE_1)
	s_or_b32 exec_lo, exec_lo, s6
	v_and_b32_e32 v26, 0xffffff80, v24
	v_dual_mov_b32 v27, 0 :: v_dual_bitop2_b32 v10, 4, v0 bitop3:0x54
	s_wait_loadcnt_dscnt 0x0
	v_perm_b32 v25, v32, v33, 0xc0c0004
	v_perm_b32 v29, v34, v35, 0xc0c0004
	v_sub_nc_u32_e64 v36, 0x400, v26 clamp
	v_add_nc_u64_e32 v[12:13], v[12:13], v[26:27]
	s_mov_b32 s4, exec_lo
	s_delay_alu instid0(VALU_DEP_3) | instskip(NEXT) | instid1(VALU_DEP_3)
	v_lshl_or_b32 v25, v29, 16, v25
	v_min_u32_e32 v24, v36, v10
	s_delay_alu instid0(VALU_DEP_3) | instskip(SKIP_1) | instid1(VALU_DEP_3)
	v_mad_nc_u64_u32 v[10:11], v26, 7, v[12:13]
	v_dual_mov_b32 v26, v0 :: v_dual_bitop2_b32 v11, 4, v0 bitop3:0x40
	v_add_min_u32_e64 v39, v24, 4, v36
	s_delay_alu instid0(VALU_DEP_2) | instskip(SKIP_1) | instid1(VALU_DEP_4)
	v_add_nc_u64_e32 v[22:23], v[12:13], v[26:27]
	v_and_b32_e32 v26, 0x78, v0
	v_min_u32_e32 v48, v36, v11
	s_delay_alu instid0(VALU_DEP_4) | instskip(SKIP_1) | instid1(VALU_DEP_4)
	v_sub_nc_u32_e32 v23, v39, v24
	v_lshl_add_u32 v11, v0, 3, v10
	v_sub_nc_u32_e32 v28, v24, v26
	ds_store_2addr_b64 v11, v[14:15], v[16:17] offset0:128 offset1:129
	ds_store_b64 v11, v[20:21] offset:1040
	ds_store_b32 v22, v25
	ds_store_b64 v11, v[18:19] offset:1048
	v_sub_nc_u32_e64 v49, v48, v23 clamp
	v_min_u32_e32 v23, v48, v28
	; wave barrier
	s_delay_alu instid0(VALU_DEP_1)
	v_cmpx_lt_u32_e64 v49, v23
	s_cbranch_execz .LBB195_28
; %bb.25:
	v_mov_b32_e32 v25, v27
	v_add_nc_u64_e32 v[28:29], v[12:13], v[26:27]
	s_mov_b32 s5, 0
	s_delay_alu instid0(VALU_DEP_2)
	v_add_nc_u64_e32 v[30:31], v[12:13], v[24:25]
.LBB195_26:                             ; =>This Inner Loop Header: Depth=1
	v_add_nc_u32_e32 v25, v23, v49
	s_delay_alu instid0(VALU_DEP_1) | instskip(NEXT) | instid1(VALU_DEP_1)
	v_lshrrev_b32_e32 v25, 1, v25
	v_not_b32_e32 v27, v25
	v_dual_add_nc_u32 v29, v28, v25 :: v_dual_add_nc_u32 v31, 1, v25
	s_delay_alu instid0(VALU_DEP_2)
	v_add3_u32 v27, v48, v27, v30
	ds_load_u8 v29, v29
	ds_load_u8 v27, v27
	s_wait_dscnt 0x1
	v_bitop3_b16 v29, v29, 0xff, v5 bitop3:0x80
	s_wait_dscnt 0x0
	v_bitop3_b16 v27, v27, 0xff, v5 bitop3:0x80
	s_delay_alu instid0(VALU_DEP_1) | instskip(NEXT) | instid1(VALU_DEP_1)
	v_cmp_gt_u16_e64 s3, v29, v27
	v_cndmask_b32_e64 v23, v23, v25, s3
	v_cndmask_b32_e64 v49, v31, v49, s3
	s_delay_alu instid0(VALU_DEP_1) | instskip(SKIP_1) | instid1(SALU_CYCLE_1)
	v_cmp_ge_u32_e64 s3, v49, v23
	s_or_b32 s5, s3, s5
	s_and_not1_b32 exec_lo, exec_lo, s5
	s_cbranch_execnz .LBB195_26
; %bb.27:
	s_or_b32 exec_lo, exec_lo, s5
.LBB195_28:
	s_delay_alu instid0(SALU_CYCLE_1) | instskip(SKIP_4) | instid1(VALU_DEP_4)
	s_or_b32 exec_lo, exec_lo, s4
	v_dual_add_nc_u32 v25, v24, v48 :: v_dual_add_nc_u32 v28, v49, v26
	v_add_nc_u32_e32 v38, 0x400, v11
	v_add_nc_u32_e32 v37, 0x408, v11
	;; [unrolled: 1-line block ×3, first 2 shown]
	v_sub_nc_u32_e32 v27, v25, v49
	v_cmp_le_u32_e64 s3, v28, v24
	v_add_nc_u32_e32 v11, 0x418, v11
	s_delay_alu instid0(VALU_DEP_3) | instskip(SKIP_1) | instid1(SALU_CYCLE_1)
	v_cmp_le_u32_e64 s4, v27, v39
	s_or_b32 s3, s3, s4
	s_and_saveexec_b32 s13, s3
	s_cbranch_execz .LBB195_34
; %bb.29:
	v_cmp_lt_u32_e64 s3, v28, v24
                                        ; implicit-def: $vgpr25
	s_and_saveexec_b32 s4, s3
; %bb.30:
	v_add_nc_u32_e32 v14, v12, v28
	ds_load_u8 v25, v14
; %bb.31:
	s_or_b32 exec_lo, exec_lo, s4
	v_cmp_ge_u32_e64 s4, v27, v39
	s_mov_b32 s6, exec_lo
                                        ; implicit-def: $vgpr26
	v_cmpx_lt_u32_e64 v27, v39
; %bb.32:
	v_add_nc_u32_e32 v14, v12, v27
	ds_load_u8 v26, v14
; %bb.33:
	s_or_b32 exec_lo, exec_lo, s6
	s_wait_dscnt 0x0
	v_bitop3_b16 v14, v26, 0xff, v5 bitop3:0x80
	v_bitop3_b16 v15, v25, 0xff, v5 bitop3:0x80
	s_delay_alu instid0(VALU_DEP_1) | instskip(SKIP_1) | instid1(SALU_CYCLE_1)
	v_cmp_le_u16_e64 s5, v15, v14
	s_and_b32 s3, s3, s5
	s_or_b32 s3, s4, s3
	s_delay_alu instid0(SALU_CYCLE_1) | instskip(SKIP_1) | instid1(VALU_DEP_2)
	v_cndmask_b32_e64 v14, v27, v28, s3
	v_dual_cndmask_b32 v15, v39, v24, s3 :: v_dual_cndmask_b32 v32, v26, v25, s3
	v_add_nc_u32_e32 v16, 1, v14
	s_delay_alu instid0(VALU_DEP_1) | instskip(NEXT) | instid1(VALU_DEP_1)
	v_add_min_u32_e64 v15, v15, -1, v16
	v_add_nc_u32_e32 v15, v12, v15
	v_lshl_add_u32 v14, v14, 3, v10
	ds_load_u8 v15, v15
	s_wait_dscnt 0x0
	v_dual_cndmask_b32 v29, v15, v26, s3 :: v_dual_cndmask_b32 v30, v25, v15, s3
	v_cndmask_b32_e64 v15, v28, v16, s3
	v_cndmask_b32_e64 v16, v16, v27, s3
	s_delay_alu instid0(VALU_DEP_3) | instskip(NEXT) | instid1(VALU_DEP_4)
	v_bitop3_b16 v17, v29, 0xff, v5 bitop3:0x80
	v_bitop3_b16 v18, v30, 0xff, v5 bitop3:0x80
	s_delay_alu instid0(VALU_DEP_4) | instskip(NEXT) | instid1(VALU_DEP_4)
	v_cmp_lt_u32_e64 s4, v15, v24
	v_cmp_ge_u32_e64 s6, v16, v39
	s_delay_alu instid0(VALU_DEP_3) | instskip(SKIP_1) | instid1(SALU_CYCLE_1)
	v_cmp_le_u16_e64 s5, v18, v17
	s_and_b32 s4, s4, s5
	s_or_b32 s4, s6, s4
	s_delay_alu instid0(SALU_CYCLE_1) | instskip(NEXT) | instid1(VALU_DEP_1)
	v_dual_cndmask_b32 v18, v39, v24, s4 :: v_dual_cndmask_b32 v17, v16, v15, s4
	v_add_nc_u32_e32 v19, 1, v17
	s_delay_alu instid0(VALU_DEP_1) | instskip(SKIP_1) | instid1(VALU_DEP_2)
	v_add_min_u32_e64 v18, v18, -1, v19
	v_cndmask_b32_e64 v15, v15, v19, s4
	v_dual_cndmask_b32 v16, v19, v16, s4 :: v_dual_add_nc_u32 v18, v12, v18
	s_delay_alu instid0(VALU_DEP_2) | instskip(NEXT) | instid1(VALU_DEP_2)
	v_cmp_lt_u32_e64 s5, v15, v24
	v_cmp_ge_u32_e64 s7, v16, v39
	ds_load_u8 v18, v18
	s_wait_dscnt 0x0
	v_cndmask_b32_e64 v27, v18, v29, s4
	v_cndmask_b32_e64 v28, v30, v18, s4
	s_delay_alu instid0(VALU_DEP_2) | instskip(NEXT) | instid1(VALU_DEP_2)
	v_bitop3_b16 v18, v27, 0xff, v5 bitop3:0x80
	v_bitop3_b16 v20, v28, 0xff, v5 bitop3:0x80
	s_delay_alu instid0(VALU_DEP_1) | instskip(SKIP_1) | instid1(SALU_CYCLE_1)
	v_cmp_le_u16_e64 s6, v20, v18
	s_and_b32 s5, s5, s6
	s_or_b32 s5, s7, s5
	s_delay_alu instid0(SALU_CYCLE_1) | instskip(SKIP_1) | instid1(VALU_DEP_1)
	v_dual_cndmask_b32 v33, v29, v30, s4 :: v_dual_cndmask_b32 v34, v27, v28, s5
	v_dual_cndmask_b32 v18, v16, v15, s5 :: v_dual_cndmask_b32 v19, v39, v24, s5
	v_add_nc_u32_e32 v20, 1, v18
	v_lshl_add_u32 v18, v18, 3, v10
	s_delay_alu instid0(VALU_DEP_2) | instskip(NEXT) | instid1(VALU_DEP_1)
	v_add_min_u32_e64 v19, v19, -1, v20
	v_dual_add_nc_u32 v19, v12, v19 :: v_dual_cndmask_b32 v15, v15, v20, s5
	v_cndmask_b32_e64 v16, v20, v16, s5
	ds_load_u8 v19, v19
	v_cmp_lt_u32_e64 s6, v15, v24
	v_cmp_ge_u32_e64 s10, v16, v39
	s_wait_dscnt 0x0
	v_cndmask_b32_e64 v31, v19, v27, s5
	v_cndmask_b32_e64 v35, v28, v19, s5
	s_delay_alu instid0(VALU_DEP_2) | instskip(NEXT) | instid1(VALU_DEP_2)
	v_bitop3_b16 v19, v31, 0xff, v5 bitop3:0x80
	v_bitop3_b16 v21, v35, 0xff, v5 bitop3:0x80
	s_delay_alu instid0(VALU_DEP_1) | instskip(SKIP_1) | instid1(SALU_CYCLE_1)
	v_cmp_le_u16_e64 s7, v21, v19
	s_and_b32 s6, s6, s7
	s_or_b32 s6, s10, s6
	s_delay_alu instid0(SALU_CYCLE_1) | instskip(SKIP_2) | instid1(VALU_DEP_3)
	v_cndmask_b32_e64 v15, v16, v15, s6
	v_lshl_add_u32 v16, v17, 3, v10
	v_cndmask_b32_e64 v35, v31, v35, s6
	v_lshl_add_u32 v19, v15, 3, v10
	ds_load_b64 v[14:15], v14 offset:1024
	ds_load_b64 v[16:17], v16 offset:1024
	;; [unrolled: 1-line block ×4, first 2 shown]
.LBB195_34:
	s_or_b32 exec_lo, exec_lo, s13
	v_and_b32_e32 v26, 0x70, v0
	s_mov_b32 s4, exec_lo
	; wave barrier
	ds_store_b8 v22, v32
	s_wait_dscnt 0x4
	ds_store_b64 v38, v[14:15]
	v_or_b32_e32 v24, 8, v26
	ds_store_b8 v22, v33 offset:1
	s_wait_dscnt 0x5
	ds_store_b64 v37, v[16:17]
	ds_store_b8 v22, v34 offset:2
	s_wait_dscnt 0x6
	ds_store_b64 v23, v[20:21]
	;; [unrolled: 3-line block ×3, first 2 shown]
	; wave barrier
	v_min_u32_e32 v24, v36, v24
	s_delay_alu instid0(VALU_DEP_1) | instskip(SKIP_1) | instid1(VALU_DEP_2)
	v_dual_sub_nc_u32 v27, v24, v26 :: v_dual_bitop2_b32 v25, 12, v0 bitop3:0x40
	v_add_min_u32_e64 v50, v24, 8, v36
	v_min_u32_e32 v51, v36, v25
	s_delay_alu instid0(VALU_DEP_2) | instskip(NEXT) | instid1(VALU_DEP_2)
	v_sub_nc_u32_e32 v25, v50, v24
	v_min_u32_e32 v39, v51, v27
	s_delay_alu instid0(VALU_DEP_2) | instskip(NEXT) | instid1(VALU_DEP_1)
	v_sub_nc_u32_e64 v52, v51, v25 clamp
	v_cmpx_lt_u32_e64 v52, v39
	s_cbranch_execz .LBB195_38
; %bb.35:
	v_mov_b32_e32 v27, 0
	s_mov_b32 s5, 0
	s_delay_alu instid0(VALU_DEP_1) | instskip(SKIP_1) | instid1(VALU_DEP_2)
	v_mov_b32_e32 v25, v27
	v_add_nc_u64_e32 v[28:29], v[12:13], v[26:27]
	v_add_nc_u64_e32 v[30:31], v[12:13], v[24:25]
.LBB195_36:                             ; =>This Inner Loop Header: Depth=1
	v_add_nc_u32_e32 v25, v39, v52
	s_delay_alu instid0(VALU_DEP_1) | instskip(NEXT) | instid1(VALU_DEP_1)
	v_lshrrev_b32_e32 v25, 1, v25
	v_not_b32_e32 v27, v25
	v_dual_add_nc_u32 v29, v28, v25 :: v_dual_add_nc_u32 v31, 1, v25
	s_delay_alu instid0(VALU_DEP_2)
	v_add3_u32 v27, v51, v27, v30
	ds_load_u8 v29, v29
	ds_load_u8 v27, v27
	s_wait_dscnt 0x1
	v_bitop3_b16 v29, v29, 0xff, v5 bitop3:0x80
	s_wait_dscnt 0x0
	v_bitop3_b16 v27, v27, 0xff, v5 bitop3:0x80
	s_delay_alu instid0(VALU_DEP_1) | instskip(NEXT) | instid1(VALU_DEP_1)
	v_cmp_gt_u16_e64 s3, v29, v27
	v_cndmask_b32_e64 v52, v31, v52, s3
	v_cndmask_b32_e64 v39, v39, v25, s3
	s_delay_alu instid0(VALU_DEP_1) | instskip(SKIP_1) | instid1(SALU_CYCLE_1)
	v_cmp_ge_u32_e64 s3, v52, v39
	s_or_b32 s5, s3, s5
	s_and_not1_b32 exec_lo, exec_lo, s5
	s_cbranch_execnz .LBB195_36
; %bb.37:
	s_or_b32 exec_lo, exec_lo, s5
.LBB195_38:
	s_delay_alu instid0(SALU_CYCLE_1) | instskip(SKIP_3) | instid1(VALU_DEP_3)
	s_or_b32 exec_lo, exec_lo, s4
	v_dual_add_nc_u32 v39, 3, v22 :: v_dual_add_nc_u32 v25, v24, v51
	v_add_nc_u32_e32 v28, v52, v26
	v_dual_add_nc_u32 v49, 1, v22 :: v_dual_add_nc_u32 v48, 2, v22
	v_sub_nc_u32_e32 v27, v25, v52
	s_delay_alu instid0(VALU_DEP_3) | instskip(NEXT) | instid1(VALU_DEP_2)
	v_cmp_le_u32_e64 s3, v28, v24
	v_cmp_le_u32_e64 s4, v27, v50
	s_or_b32 s3, s3, s4
	s_delay_alu instid0(SALU_CYCLE_1)
	s_and_saveexec_b32 s13, s3
	s_cbranch_execz .LBB195_44
; %bb.39:
	v_cmp_lt_u32_e64 s3, v28, v24
                                        ; implicit-def: $vgpr25
	s_and_saveexec_b32 s4, s3
; %bb.40:
	v_add_nc_u32_e32 v14, v12, v28
	ds_load_u8 v25, v14
; %bb.41:
	s_or_b32 exec_lo, exec_lo, s4
	v_cmp_ge_u32_e64 s4, v27, v50
	s_mov_b32 s6, exec_lo
                                        ; implicit-def: $vgpr26
	v_cmpx_lt_u32_e64 v27, v50
; %bb.42:
	v_add_nc_u32_e32 v14, v12, v27
	ds_load_u8 v26, v14
; %bb.43:
	s_or_b32 exec_lo, exec_lo, s6
	s_wait_dscnt 0x0
	v_bitop3_b16 v14, v26, 0xff, v5 bitop3:0x80
	v_bitop3_b16 v15, v25, 0xff, v5 bitop3:0x80
	s_delay_alu instid0(VALU_DEP_1) | instskip(SKIP_1) | instid1(SALU_CYCLE_1)
	v_cmp_le_u16_e64 s5, v15, v14
	s_and_b32 s3, s3, s5
	s_or_b32 s3, s4, s3
	s_delay_alu instid0(SALU_CYCLE_1) | instskip(SKIP_1) | instid1(VALU_DEP_2)
	v_cndmask_b32_e64 v14, v27, v28, s3
	v_cndmask_b32_e64 v15, v50, v24, s3
	v_dual_cndmask_b32 v32, v26, v25, s3 :: v_dual_add_nc_u32 v16, 1, v14
	s_delay_alu instid0(VALU_DEP_1) | instskip(NEXT) | instid1(VALU_DEP_1)
	v_add_min_u32_e64 v15, v15, -1, v16
	v_add_nc_u32_e32 v15, v12, v15
	v_lshl_add_u32 v14, v14, 3, v10
	ds_load_u8 v15, v15
	s_wait_dscnt 0x0
	v_dual_cndmask_b32 v29, v15, v26, s3 :: v_dual_cndmask_b32 v30, v25, v15, s3
	v_cndmask_b32_e64 v15, v28, v16, s3
	v_cndmask_b32_e64 v16, v16, v27, s3
	s_delay_alu instid0(VALU_DEP_3) | instskip(NEXT) | instid1(VALU_DEP_4)
	v_bitop3_b16 v17, v29, 0xff, v5 bitop3:0x80
	v_bitop3_b16 v18, v30, 0xff, v5 bitop3:0x80
	s_delay_alu instid0(VALU_DEP_4) | instskip(NEXT) | instid1(VALU_DEP_4)
	v_cmp_lt_u32_e64 s4, v15, v24
	v_cmp_ge_u32_e64 s6, v16, v50
	s_delay_alu instid0(VALU_DEP_3) | instskip(SKIP_1) | instid1(SALU_CYCLE_1)
	v_cmp_le_u16_e64 s5, v18, v17
	s_and_b32 s4, s4, s5
	s_or_b32 s4, s6, s4
	s_delay_alu instid0(SALU_CYCLE_1) | instskip(NEXT) | instid1(VALU_DEP_1)
	v_dual_cndmask_b32 v18, v50, v24, s4 :: v_dual_cndmask_b32 v17, v16, v15, s4
	v_add_nc_u32_e32 v19, 1, v17
	s_delay_alu instid0(VALU_DEP_1) | instskip(SKIP_1) | instid1(VALU_DEP_2)
	v_add_min_u32_e64 v18, v18, -1, v19
	v_cndmask_b32_e64 v15, v15, v19, s4
	v_dual_cndmask_b32 v16, v19, v16, s4 :: v_dual_add_nc_u32 v18, v12, v18
	s_delay_alu instid0(VALU_DEP_2) | instskip(NEXT) | instid1(VALU_DEP_2)
	v_cmp_lt_u32_e64 s5, v15, v24
	v_cmp_ge_u32_e64 s7, v16, v50
	ds_load_u8 v18, v18
	s_wait_dscnt 0x0
	v_cndmask_b32_e64 v27, v18, v29, s4
	v_cndmask_b32_e64 v28, v30, v18, s4
	s_delay_alu instid0(VALU_DEP_2) | instskip(NEXT) | instid1(VALU_DEP_2)
	v_bitop3_b16 v18, v27, 0xff, v5 bitop3:0x80
	v_bitop3_b16 v20, v28, 0xff, v5 bitop3:0x80
	s_delay_alu instid0(VALU_DEP_1) | instskip(SKIP_1) | instid1(SALU_CYCLE_1)
	v_cmp_le_u16_e64 s6, v20, v18
	s_and_b32 s5, s5, s6
	s_or_b32 s5, s7, s5
	s_delay_alu instid0(SALU_CYCLE_1) | instskip(SKIP_1) | instid1(VALU_DEP_1)
	v_dual_cndmask_b32 v33, v29, v30, s4 :: v_dual_cndmask_b32 v34, v27, v28, s5
	v_dual_cndmask_b32 v18, v16, v15, s5 :: v_dual_cndmask_b32 v19, v50, v24, s5
	v_add_nc_u32_e32 v20, 1, v18
	v_lshl_add_u32 v18, v18, 3, v10
	s_delay_alu instid0(VALU_DEP_2) | instskip(NEXT) | instid1(VALU_DEP_1)
	v_add_min_u32_e64 v19, v19, -1, v20
	v_dual_add_nc_u32 v19, v12, v19 :: v_dual_cndmask_b32 v15, v15, v20, s5
	v_cndmask_b32_e64 v16, v20, v16, s5
	ds_load_u8 v19, v19
	v_cmp_lt_u32_e64 s6, v15, v24
	v_cmp_ge_u32_e64 s10, v16, v50
	s_wait_dscnt 0x0
	v_cndmask_b32_e64 v31, v19, v27, s5
	v_cndmask_b32_e64 v35, v28, v19, s5
	s_delay_alu instid0(VALU_DEP_2) | instskip(NEXT) | instid1(VALU_DEP_2)
	v_bitop3_b16 v19, v31, 0xff, v5 bitop3:0x80
	v_bitop3_b16 v21, v35, 0xff, v5 bitop3:0x80
	s_delay_alu instid0(VALU_DEP_1) | instskip(SKIP_1) | instid1(SALU_CYCLE_1)
	v_cmp_le_u16_e64 s7, v21, v19
	s_and_b32 s6, s6, s7
	s_or_b32 s6, s10, s6
	s_delay_alu instid0(SALU_CYCLE_1) | instskip(SKIP_2) | instid1(VALU_DEP_3)
	v_cndmask_b32_e64 v15, v16, v15, s6
	v_lshl_add_u32 v16, v17, 3, v10
	v_cndmask_b32_e64 v35, v31, v35, s6
	v_lshl_add_u32 v19, v15, 3, v10
	ds_load_b64 v[14:15], v14 offset:1024
	ds_load_b64 v[16:17], v16 offset:1024
	;; [unrolled: 1-line block ×4, first 2 shown]
.LBB195_44:
	s_or_b32 exec_lo, exec_lo, s13
	v_and_b32_e32 v26, 0x60, v0
	s_mov_b32 s4, exec_lo
	; wave barrier
	ds_store_b8 v22, v32
	s_wait_dscnt 0x4
	ds_store_b64 v38, v[14:15]
	v_or_b32_e32 v24, 16, v26
	ds_store_b8 v49, v33
	s_wait_dscnt 0x5
	ds_store_b64 v37, v[16:17]
	ds_store_b8 v48, v34
	s_wait_dscnt 0x6
	ds_store_b64 v23, v[20:21]
	;; [unrolled: 3-line block ×3, first 2 shown]
	; wave barrier
	v_min_u32_e32 v24, v36, v24
	s_delay_alu instid0(VALU_DEP_1) | instskip(SKIP_1) | instid1(VALU_DEP_2)
	v_dual_sub_nc_u32 v27, v24, v26 :: v_dual_bitop2_b32 v25, 28, v0 bitop3:0x40
	v_add_min_u32_e64 v50, v24, 16, v36
	v_min_u32_e32 v51, v36, v25
	s_delay_alu instid0(VALU_DEP_2) | instskip(NEXT) | instid1(VALU_DEP_2)
	v_sub_nc_u32_e32 v25, v50, v24
	v_min_u32_e32 v53, v51, v27
	s_delay_alu instid0(VALU_DEP_2) | instskip(NEXT) | instid1(VALU_DEP_1)
	v_sub_nc_u32_e64 v52, v51, v25 clamp
	v_cmpx_lt_u32_e64 v52, v53
	s_cbranch_execz .LBB195_48
; %bb.45:
	v_mov_b32_e32 v27, 0
	s_mov_b32 s5, 0
	s_delay_alu instid0(VALU_DEP_1) | instskip(SKIP_1) | instid1(VALU_DEP_2)
	v_mov_b32_e32 v25, v27
	v_add_nc_u64_e32 v[28:29], v[12:13], v[26:27]
	v_add_nc_u64_e32 v[30:31], v[12:13], v[24:25]
.LBB195_46:                             ; =>This Inner Loop Header: Depth=1
	v_add_nc_u32_e32 v25, v53, v52
	s_delay_alu instid0(VALU_DEP_1) | instskip(NEXT) | instid1(VALU_DEP_1)
	v_lshrrev_b32_e32 v25, 1, v25
	v_not_b32_e32 v27, v25
	v_dual_add_nc_u32 v29, v28, v25 :: v_dual_add_nc_u32 v31, 1, v25
	s_delay_alu instid0(VALU_DEP_2)
	v_add3_u32 v27, v51, v27, v30
	ds_load_u8 v29, v29
	ds_load_u8 v27, v27
	s_wait_dscnt 0x1
	v_bitop3_b16 v29, v29, 0xff, v5 bitop3:0x80
	s_wait_dscnt 0x0
	v_bitop3_b16 v27, v27, 0xff, v5 bitop3:0x80
	s_delay_alu instid0(VALU_DEP_1) | instskip(NEXT) | instid1(VALU_DEP_1)
	v_cmp_gt_u16_e64 s3, v29, v27
	v_dual_cndmask_b32 v53, v53, v25, s3 :: v_dual_cndmask_b32 v52, v31, v52, s3
	s_delay_alu instid0(VALU_DEP_1) | instskip(SKIP_1) | instid1(SALU_CYCLE_1)
	v_cmp_ge_u32_e64 s3, v52, v53
	s_or_b32 s5, s3, s5
	s_and_not1_b32 exec_lo, exec_lo, s5
	s_cbranch_execnz .LBB195_46
; %bb.47:
	s_or_b32 exec_lo, exec_lo, s5
.LBB195_48:
	s_delay_alu instid0(SALU_CYCLE_1) | instskip(SKIP_1) | instid1(VALU_DEP_1)
	s_or_b32 exec_lo, exec_lo, s4
	v_add_nc_u32_e32 v25, v24, v51
	v_dual_add_nc_u32 v28, v52, v26 :: v_dual_sub_nc_u32 v27, v25, v52
	s_delay_alu instid0(VALU_DEP_1) | instskip(NEXT) | instid1(VALU_DEP_2)
	v_cmp_le_u32_e64 s3, v28, v24
	v_cmp_le_u32_e64 s4, v27, v50
	s_or_b32 s3, s3, s4
	s_delay_alu instid0(SALU_CYCLE_1)
	s_and_saveexec_b32 s13, s3
	s_cbranch_execz .LBB195_54
; %bb.49:
	v_cmp_lt_u32_e64 s3, v28, v24
                                        ; implicit-def: $vgpr25
	s_and_saveexec_b32 s4, s3
; %bb.50:
	v_add_nc_u32_e32 v14, v12, v28
	ds_load_u8 v25, v14
; %bb.51:
	s_or_b32 exec_lo, exec_lo, s4
	v_cmp_ge_u32_e64 s4, v27, v50
	s_mov_b32 s6, exec_lo
                                        ; implicit-def: $vgpr26
	v_cmpx_lt_u32_e64 v27, v50
; %bb.52:
	v_add_nc_u32_e32 v14, v12, v27
	ds_load_u8 v26, v14
; %bb.53:
	s_or_b32 exec_lo, exec_lo, s6
	s_wait_dscnt 0x0
	v_bitop3_b16 v14, v26, 0xff, v5 bitop3:0x80
	v_bitop3_b16 v15, v25, 0xff, v5 bitop3:0x80
	s_delay_alu instid0(VALU_DEP_1) | instskip(SKIP_1) | instid1(SALU_CYCLE_1)
	v_cmp_le_u16_e64 s5, v15, v14
	s_and_b32 s3, s3, s5
	s_or_b32 s3, s4, s3
	s_delay_alu instid0(SALU_CYCLE_1) | instskip(SKIP_1) | instid1(VALU_DEP_2)
	v_cndmask_b32_e64 v14, v27, v28, s3
	v_cndmask_b32_e64 v15, v50, v24, s3
	v_dual_cndmask_b32 v32, v26, v25, s3 :: v_dual_add_nc_u32 v16, 1, v14
	s_delay_alu instid0(VALU_DEP_1) | instskip(NEXT) | instid1(VALU_DEP_1)
	v_add_min_u32_e64 v15, v15, -1, v16
	v_add_nc_u32_e32 v15, v12, v15
	v_lshl_add_u32 v14, v14, 3, v10
	ds_load_u8 v15, v15
	s_wait_dscnt 0x0
	v_dual_cndmask_b32 v29, v15, v26, s3 :: v_dual_cndmask_b32 v30, v25, v15, s3
	v_cndmask_b32_e64 v15, v28, v16, s3
	v_cndmask_b32_e64 v16, v16, v27, s3
	s_delay_alu instid0(VALU_DEP_3) | instskip(NEXT) | instid1(VALU_DEP_4)
	v_bitop3_b16 v17, v29, 0xff, v5 bitop3:0x80
	v_bitop3_b16 v18, v30, 0xff, v5 bitop3:0x80
	s_delay_alu instid0(VALU_DEP_4) | instskip(NEXT) | instid1(VALU_DEP_4)
	v_cmp_lt_u32_e64 s4, v15, v24
	v_cmp_ge_u32_e64 s6, v16, v50
	s_delay_alu instid0(VALU_DEP_3) | instskip(SKIP_1) | instid1(SALU_CYCLE_1)
	v_cmp_le_u16_e64 s5, v18, v17
	s_and_b32 s4, s4, s5
	s_or_b32 s4, s6, s4
	s_delay_alu instid0(SALU_CYCLE_1) | instskip(NEXT) | instid1(VALU_DEP_1)
	v_dual_cndmask_b32 v18, v50, v24, s4 :: v_dual_cndmask_b32 v17, v16, v15, s4
	v_add_nc_u32_e32 v19, 1, v17
	s_delay_alu instid0(VALU_DEP_1) | instskip(SKIP_1) | instid1(VALU_DEP_2)
	v_add_min_u32_e64 v18, v18, -1, v19
	v_cndmask_b32_e64 v15, v15, v19, s4
	v_dual_cndmask_b32 v16, v19, v16, s4 :: v_dual_add_nc_u32 v18, v12, v18
	s_delay_alu instid0(VALU_DEP_2) | instskip(NEXT) | instid1(VALU_DEP_2)
	v_cmp_lt_u32_e64 s5, v15, v24
	v_cmp_ge_u32_e64 s7, v16, v50
	ds_load_u8 v18, v18
	s_wait_dscnt 0x0
	v_cndmask_b32_e64 v27, v18, v29, s4
	v_cndmask_b32_e64 v28, v30, v18, s4
	s_delay_alu instid0(VALU_DEP_2) | instskip(NEXT) | instid1(VALU_DEP_2)
	v_bitop3_b16 v18, v27, 0xff, v5 bitop3:0x80
	v_bitop3_b16 v20, v28, 0xff, v5 bitop3:0x80
	s_delay_alu instid0(VALU_DEP_1) | instskip(SKIP_1) | instid1(SALU_CYCLE_1)
	v_cmp_le_u16_e64 s6, v20, v18
	s_and_b32 s5, s5, s6
	s_or_b32 s5, s7, s5
	s_delay_alu instid0(SALU_CYCLE_1) | instskip(SKIP_1) | instid1(VALU_DEP_1)
	v_dual_cndmask_b32 v33, v29, v30, s4 :: v_dual_cndmask_b32 v34, v27, v28, s5
	v_dual_cndmask_b32 v18, v16, v15, s5 :: v_dual_cndmask_b32 v19, v50, v24, s5
	v_add_nc_u32_e32 v20, 1, v18
	v_lshl_add_u32 v18, v18, 3, v10
	s_delay_alu instid0(VALU_DEP_2) | instskip(NEXT) | instid1(VALU_DEP_1)
	v_add_min_u32_e64 v19, v19, -1, v20
	v_dual_add_nc_u32 v19, v12, v19 :: v_dual_cndmask_b32 v15, v15, v20, s5
	v_cndmask_b32_e64 v16, v20, v16, s5
	ds_load_u8 v19, v19
	v_cmp_lt_u32_e64 s6, v15, v24
	v_cmp_ge_u32_e64 s10, v16, v50
	s_wait_dscnt 0x0
	v_cndmask_b32_e64 v31, v19, v27, s5
	v_cndmask_b32_e64 v35, v28, v19, s5
	s_delay_alu instid0(VALU_DEP_2) | instskip(NEXT) | instid1(VALU_DEP_2)
	v_bitop3_b16 v19, v31, 0xff, v5 bitop3:0x80
	v_bitop3_b16 v21, v35, 0xff, v5 bitop3:0x80
	s_delay_alu instid0(VALU_DEP_1) | instskip(SKIP_1) | instid1(SALU_CYCLE_1)
	v_cmp_le_u16_e64 s7, v21, v19
	s_and_b32 s6, s6, s7
	s_or_b32 s6, s10, s6
	s_delay_alu instid0(SALU_CYCLE_1) | instskip(SKIP_2) | instid1(VALU_DEP_3)
	v_cndmask_b32_e64 v15, v16, v15, s6
	v_lshl_add_u32 v16, v17, 3, v10
	v_cndmask_b32_e64 v35, v31, v35, s6
	v_lshl_add_u32 v19, v15, 3, v10
	ds_load_b64 v[14:15], v14 offset:1024
	ds_load_b64 v[16:17], v16 offset:1024
	;; [unrolled: 1-line block ×4, first 2 shown]
.LBB195_54:
	s_or_b32 exec_lo, exec_lo, s13
	v_and_b32_e32 v26, 64, v0
	s_mov_b32 s4, exec_lo
	; wave barrier
	ds_store_b8 v22, v32
	s_wait_dscnt 0x4
	ds_store_b64 v38, v[14:15]
	v_or_b32_e32 v24, 32, v26
	ds_store_b8 v49, v33
	s_wait_dscnt 0x5
	ds_store_b64 v37, v[16:17]
	ds_store_b8 v48, v34
	s_wait_dscnt 0x6
	ds_store_b64 v23, v[20:21]
	;; [unrolled: 3-line block ×3, first 2 shown]
	; wave barrier
	v_min_u32_e32 v24, v36, v24
	s_delay_alu instid0(VALU_DEP_1) | instskip(SKIP_1) | instid1(VALU_DEP_2)
	v_dual_sub_nc_u32 v27, v24, v26 :: v_dual_bitop2_b32 v25, 60, v0 bitop3:0x40
	v_add_min_u32_e64 v50, v24, 32, v36
	v_min_u32_e32 v51, v36, v25
	s_delay_alu instid0(VALU_DEP_2) | instskip(NEXT) | instid1(VALU_DEP_2)
	v_sub_nc_u32_e32 v25, v50, v24
	v_min_u32_e32 v53, v51, v27
	s_delay_alu instid0(VALU_DEP_2) | instskip(NEXT) | instid1(VALU_DEP_1)
	v_sub_nc_u32_e64 v52, v51, v25 clamp
	v_cmpx_lt_u32_e64 v52, v53
	s_cbranch_execz .LBB195_58
; %bb.55:
	v_mov_b32_e32 v27, 0
	s_mov_b32 s5, 0
	s_delay_alu instid0(VALU_DEP_1) | instskip(SKIP_1) | instid1(VALU_DEP_2)
	v_mov_b32_e32 v25, v27
	v_add_nc_u64_e32 v[28:29], v[12:13], v[26:27]
	v_add_nc_u64_e32 v[30:31], v[12:13], v[24:25]
.LBB195_56:                             ; =>This Inner Loop Header: Depth=1
	v_add_nc_u32_e32 v25, v53, v52
	s_delay_alu instid0(VALU_DEP_1) | instskip(NEXT) | instid1(VALU_DEP_1)
	v_lshrrev_b32_e32 v25, 1, v25
	v_not_b32_e32 v27, v25
	v_dual_add_nc_u32 v29, v28, v25 :: v_dual_add_nc_u32 v31, 1, v25
	s_delay_alu instid0(VALU_DEP_2)
	v_add3_u32 v27, v51, v27, v30
	ds_load_u8 v29, v29
	ds_load_u8 v27, v27
	s_wait_dscnt 0x1
	v_bitop3_b16 v29, v29, 0xff, v5 bitop3:0x80
	s_wait_dscnt 0x0
	v_bitop3_b16 v27, v27, 0xff, v5 bitop3:0x80
	s_delay_alu instid0(VALU_DEP_1) | instskip(NEXT) | instid1(VALU_DEP_1)
	v_cmp_gt_u16_e64 s3, v29, v27
	v_dual_cndmask_b32 v53, v53, v25, s3 :: v_dual_cndmask_b32 v52, v31, v52, s3
	s_delay_alu instid0(VALU_DEP_1) | instskip(SKIP_1) | instid1(SALU_CYCLE_1)
	v_cmp_ge_u32_e64 s3, v52, v53
	s_or_b32 s5, s3, s5
	s_and_not1_b32 exec_lo, exec_lo, s5
	s_cbranch_execnz .LBB195_56
; %bb.57:
	s_or_b32 exec_lo, exec_lo, s5
.LBB195_58:
	s_delay_alu instid0(SALU_CYCLE_1) | instskip(SKIP_1) | instid1(VALU_DEP_1)
	s_or_b32 exec_lo, exec_lo, s4
	v_add_nc_u32_e32 v25, v24, v51
	v_dual_add_nc_u32 v28, v52, v26 :: v_dual_sub_nc_u32 v27, v25, v52
	s_delay_alu instid0(VALU_DEP_1) | instskip(NEXT) | instid1(VALU_DEP_2)
	v_cmp_le_u32_e64 s3, v28, v24
	v_cmp_le_u32_e64 s4, v27, v50
	s_or_b32 s3, s3, s4
	s_delay_alu instid0(SALU_CYCLE_1)
	s_and_saveexec_b32 s13, s3
	s_cbranch_execz .LBB195_64
; %bb.59:
	v_cmp_lt_u32_e64 s3, v28, v24
                                        ; implicit-def: $vgpr25
	s_and_saveexec_b32 s4, s3
; %bb.60:
	v_add_nc_u32_e32 v14, v12, v28
	ds_load_u8 v25, v14
; %bb.61:
	s_or_b32 exec_lo, exec_lo, s4
	v_cmp_ge_u32_e64 s4, v27, v50
	s_mov_b32 s6, exec_lo
                                        ; implicit-def: $vgpr26
	v_cmpx_lt_u32_e64 v27, v50
; %bb.62:
	v_add_nc_u32_e32 v14, v12, v27
	ds_load_u8 v26, v14
; %bb.63:
	s_or_b32 exec_lo, exec_lo, s6
	s_wait_dscnt 0x0
	v_bitop3_b16 v14, v26, 0xff, v5 bitop3:0x80
	v_bitop3_b16 v15, v25, 0xff, v5 bitop3:0x80
	s_delay_alu instid0(VALU_DEP_1) | instskip(SKIP_1) | instid1(SALU_CYCLE_1)
	v_cmp_le_u16_e64 s5, v15, v14
	s_and_b32 s3, s3, s5
	s_or_b32 s3, s4, s3
	s_delay_alu instid0(SALU_CYCLE_1) | instskip(SKIP_1) | instid1(VALU_DEP_2)
	v_cndmask_b32_e64 v14, v27, v28, s3
	v_cndmask_b32_e64 v15, v50, v24, s3
	v_dual_cndmask_b32 v32, v26, v25, s3 :: v_dual_add_nc_u32 v16, 1, v14
	s_delay_alu instid0(VALU_DEP_1) | instskip(NEXT) | instid1(VALU_DEP_1)
	v_add_min_u32_e64 v15, v15, -1, v16
	v_add_nc_u32_e32 v15, v12, v15
	v_lshl_add_u32 v14, v14, 3, v10
	ds_load_u8 v15, v15
	s_wait_dscnt 0x0
	v_dual_cndmask_b32 v29, v15, v26, s3 :: v_dual_cndmask_b32 v30, v25, v15, s3
	v_cndmask_b32_e64 v15, v28, v16, s3
	v_cndmask_b32_e64 v16, v16, v27, s3
	s_delay_alu instid0(VALU_DEP_3) | instskip(NEXT) | instid1(VALU_DEP_4)
	v_bitop3_b16 v17, v29, 0xff, v5 bitop3:0x80
	v_bitop3_b16 v18, v30, 0xff, v5 bitop3:0x80
	s_delay_alu instid0(VALU_DEP_4) | instskip(NEXT) | instid1(VALU_DEP_4)
	v_cmp_lt_u32_e64 s4, v15, v24
	v_cmp_ge_u32_e64 s6, v16, v50
	s_delay_alu instid0(VALU_DEP_3) | instskip(SKIP_1) | instid1(SALU_CYCLE_1)
	v_cmp_le_u16_e64 s5, v18, v17
	s_and_b32 s4, s4, s5
	s_or_b32 s4, s6, s4
	s_delay_alu instid0(SALU_CYCLE_1) | instskip(NEXT) | instid1(VALU_DEP_1)
	v_dual_cndmask_b32 v18, v50, v24, s4 :: v_dual_cndmask_b32 v17, v16, v15, s4
	v_add_nc_u32_e32 v19, 1, v17
	s_delay_alu instid0(VALU_DEP_1) | instskip(SKIP_1) | instid1(VALU_DEP_2)
	v_add_min_u32_e64 v18, v18, -1, v19
	v_cndmask_b32_e64 v15, v15, v19, s4
	v_dual_cndmask_b32 v16, v19, v16, s4 :: v_dual_add_nc_u32 v18, v12, v18
	s_delay_alu instid0(VALU_DEP_2) | instskip(NEXT) | instid1(VALU_DEP_2)
	v_cmp_lt_u32_e64 s5, v15, v24
	v_cmp_ge_u32_e64 s7, v16, v50
	ds_load_u8 v18, v18
	s_wait_dscnt 0x0
	v_cndmask_b32_e64 v27, v18, v29, s4
	v_cndmask_b32_e64 v28, v30, v18, s4
	s_delay_alu instid0(VALU_DEP_2) | instskip(NEXT) | instid1(VALU_DEP_2)
	v_bitop3_b16 v18, v27, 0xff, v5 bitop3:0x80
	v_bitop3_b16 v20, v28, 0xff, v5 bitop3:0x80
	s_delay_alu instid0(VALU_DEP_1) | instskip(SKIP_1) | instid1(SALU_CYCLE_1)
	v_cmp_le_u16_e64 s6, v20, v18
	s_and_b32 s5, s5, s6
	s_or_b32 s5, s7, s5
	s_delay_alu instid0(SALU_CYCLE_1) | instskip(SKIP_1) | instid1(VALU_DEP_1)
	v_dual_cndmask_b32 v33, v29, v30, s4 :: v_dual_cndmask_b32 v34, v27, v28, s5
	v_dual_cndmask_b32 v18, v16, v15, s5 :: v_dual_cndmask_b32 v19, v50, v24, s5
	v_add_nc_u32_e32 v20, 1, v18
	v_lshl_add_u32 v18, v18, 3, v10
	s_delay_alu instid0(VALU_DEP_2) | instskip(NEXT) | instid1(VALU_DEP_1)
	v_add_min_u32_e64 v19, v19, -1, v20
	v_dual_add_nc_u32 v19, v12, v19 :: v_dual_cndmask_b32 v15, v15, v20, s5
	v_cndmask_b32_e64 v16, v20, v16, s5
	ds_load_u8 v19, v19
	v_cmp_lt_u32_e64 s6, v15, v24
	v_cmp_ge_u32_e64 s10, v16, v50
	s_wait_dscnt 0x0
	v_cndmask_b32_e64 v31, v19, v27, s5
	v_cndmask_b32_e64 v35, v28, v19, s5
	s_delay_alu instid0(VALU_DEP_2) | instskip(NEXT) | instid1(VALU_DEP_2)
	v_bitop3_b16 v19, v31, 0xff, v5 bitop3:0x80
	v_bitop3_b16 v21, v35, 0xff, v5 bitop3:0x80
	s_delay_alu instid0(VALU_DEP_1) | instskip(SKIP_1) | instid1(SALU_CYCLE_1)
	v_cmp_le_u16_e64 s7, v21, v19
	s_and_b32 s6, s6, s7
	s_or_b32 s6, s10, s6
	s_delay_alu instid0(SALU_CYCLE_1) | instskip(SKIP_2) | instid1(VALU_DEP_3)
	v_cndmask_b32_e64 v15, v16, v15, s6
	v_lshl_add_u32 v16, v17, 3, v10
	v_cndmask_b32_e64 v35, v31, v35, s6
	v_lshl_add_u32 v19, v15, 3, v10
	ds_load_b64 v[14:15], v14 offset:1024
	ds_load_b64 v[16:17], v16 offset:1024
	;; [unrolled: 1-line block ×4, first 2 shown]
.LBB195_64:
	s_or_b32 exec_lo, exec_lo, s13
	v_min_u32_e32 v24, 64, v36
	v_min_u32_e32 v28, v36, v0
	s_mov_b32 s4, exec_lo
	; wave barrier
	s_delay_alu instid0(VALU_DEP_2) | instskip(NEXT) | instid1(VALU_DEP_2)
	v_add_min_u32_e64 v26, v24, 64, v36
	v_min_u32_e32 v29, v28, v24
	ds_store_b8 v22, v32
	s_wait_dscnt 0x4
	ds_store_b64 v38, v[14:15]
	ds_store_b8 v49, v33
	s_wait_dscnt 0x5
	ds_store_b64 v37, v[16:17]
	;; [unrolled: 3-line block ×4, first 2 shown]
	v_sub_nc_u32_e32 v25, v26, v24
	; wave barrier
	s_delay_alu instid0(VALU_DEP_1) | instskip(NEXT) | instid1(VALU_DEP_1)
	v_sub_nc_u32_e64 v27, v28, v25 clamp
	v_cmpx_lt_u32_e64 v27, v29
	s_cbranch_execz .LBB195_68
; %bb.65:
	v_mov_b32_e32 v25, 0
	s_mov_b32 s5, 0
	s_delay_alu instid0(VALU_DEP_1)
	v_add_nc_u64_e32 v[22:23], v[12:13], v[24:25]
.LBB195_66:                             ; =>This Inner Loop Header: Depth=1
	v_add_nc_u32_e32 v11, v29, v27
	s_delay_alu instid0(VALU_DEP_1) | instskip(NEXT) | instid1(VALU_DEP_1)
	v_lshrrev_b32_e32 v11, 1, v11
	v_not_b32_e32 v13, v11
	v_dual_add_nc_u32 v23, v12, v11 :: v_dual_add_nc_u32 v25, 1, v11
	s_delay_alu instid0(VALU_DEP_2)
	v_add3_u32 v13, v28, v13, v22
	ds_load_u8 v23, v23
	ds_load_u8 v13, v13
	s_wait_dscnt 0x1
	v_bitop3_b16 v23, v23, 0xff, v5 bitop3:0x80
	s_wait_dscnt 0x0
	v_bitop3_b16 v13, v13, 0xff, v5 bitop3:0x80
	s_delay_alu instid0(VALU_DEP_1) | instskip(NEXT) | instid1(VALU_DEP_1)
	v_cmp_gt_u16_e64 s3, v23, v13
	v_cndmask_b32_e64 v29, v29, v11, s3
	v_cndmask_b32_e64 v27, v25, v27, s3
	s_delay_alu instid0(VALU_DEP_1) | instskip(SKIP_1) | instid1(SALU_CYCLE_1)
	v_cmp_ge_u32_e64 s3, v27, v29
	s_or_b32 s5, s3, s5
	s_and_not1_b32 exec_lo, exec_lo, s5
	s_cbranch_execnz .LBB195_66
; %bb.67:
	s_or_b32 exec_lo, exec_lo, s5
.LBB195_68:
	s_delay_alu instid0(SALU_CYCLE_1) | instskip(SKIP_2) | instid1(VALU_DEP_2)
	s_or_b32 exec_lo, exec_lo, s4
	v_add_nc_u32_e32 v11, v24, v28
	v_cmp_le_u32_e64 s3, v27, v24
	v_sub_nc_u32_e32 v22, v11, v27
	s_delay_alu instid0(VALU_DEP_1) | instskip(SKIP_1) | instid1(SALU_CYCLE_1)
	v_cmp_le_u32_e64 s4, v22, v26
	s_or_b32 s3, s3, s4
	s_and_saveexec_b32 s13, s3
	s_cbranch_execz .LBB195_74
; %bb.69:
	v_cmp_lt_u32_e64 s3, v27, v24
                                        ; implicit-def: $vgpr11
	s_and_saveexec_b32 s4, s3
; %bb.70:
	v_add_nc_u32_e32 v11, v12, v27
	ds_load_u8 v11, v11
; %bb.71:
	s_or_b32 exec_lo, exec_lo, s4
	v_cmp_ge_u32_e64 s4, v22, v26
	s_mov_b32 s6, exec_lo
                                        ; implicit-def: $vgpr13
	v_cmpx_lt_u32_e64 v22, v26
; %bb.72:
	v_add_nc_u32_e32 v13, v12, v22
	ds_load_u8 v13, v13
; %bb.73:
	s_or_b32 exec_lo, exec_lo, s6
	s_wait_dscnt 0x0
	v_bitop3_b16 v14, v13, 0xff, v5 bitop3:0x80
	v_bitop3_b16 v15, v11, 0xff, v5 bitop3:0x80
	s_delay_alu instid0(VALU_DEP_1) | instskip(SKIP_1) | instid1(SALU_CYCLE_1)
	v_cmp_le_u16_e64 s5, v15, v14
	s_and_b32 s3, s3, s5
	s_or_b32 s3, s4, s3
	s_delay_alu instid0(SALU_CYCLE_1) | instskip(SKIP_1) | instid1(VALU_DEP_2)
	v_cndmask_b32_e64 v14, v22, v27, s3
	v_dual_cndmask_b32 v15, v26, v24, s3 :: v_dual_cndmask_b32 v32, v13, v11, s3
	v_add_nc_u32_e32 v16, 1, v14
	s_delay_alu instid0(VALU_DEP_1) | instskip(NEXT) | instid1(VALU_DEP_1)
	v_add_min_u32_e64 v15, v15, -1, v16
	v_add_nc_u32_e32 v15, v12, v15
	ds_load_u8 v15, v15
	s_wait_dscnt 0x0
	v_cndmask_b32_e64 v23, v15, v13, s3
	v_cndmask_b32_e64 v25, v11, v15, s3
	v_dual_cndmask_b32 v15, v27, v16, s3 :: v_dual_cndmask_b32 v16, v16, v22, s3
	v_lshl_add_u32 v14, v14, 3, v10
	s_delay_alu instid0(VALU_DEP_4) | instskip(NEXT) | instid1(VALU_DEP_4)
	v_bitop3_b16 v17, v23, 0xff, v5 bitop3:0x80
	v_bitop3_b16 v18, v25, 0xff, v5 bitop3:0x80
	s_delay_alu instid0(VALU_DEP_4) | instskip(SKIP_1) | instid1(VALU_DEP_3)
	v_cmp_lt_u32_e64 s4, v15, v24
	v_cmp_ge_u32_e64 s6, v16, v26
	v_cmp_le_u16_e64 s5, v18, v17
	s_and_b32 s4, s4, s5
	s_delay_alu instid0(SALU_CYCLE_1) | instskip(NEXT) | instid1(SALU_CYCLE_1)
	s_or_b32 s4, s6, s4
	v_dual_cndmask_b32 v17, v16, v15, s4 :: v_dual_cndmask_b32 v18, v26, v24, s4
	v_cndmask_b32_e64 v33, v23, v25, s4
	s_delay_alu instid0(VALU_DEP_2) | instskip(NEXT) | instid1(VALU_DEP_1)
	v_add_nc_u32_e32 v19, 1, v17
	v_add_min_u32_e64 v18, v18, -1, v19
	v_cndmask_b32_e64 v15, v15, v19, s4
	s_delay_alu instid0(VALU_DEP_2) | instskip(NEXT) | instid1(VALU_DEP_2)
	v_dual_cndmask_b32 v16, v19, v16, s4 :: v_dual_add_nc_u32 v18, v12, v18
	v_cmp_lt_u32_e64 s5, v15, v24
	s_delay_alu instid0(VALU_DEP_2) | instskip(SKIP_3) | instid1(VALU_DEP_1)
	v_cmp_ge_u32_e64 s7, v16, v26
	ds_load_u8 v18, v18
	s_wait_dscnt 0x0
	v_dual_cndmask_b32 v22, v18, v23, s4 :: v_dual_cndmask_b32 v27, v25, v18, s4
	v_bitop3_b16 v18, v22, 0xff, v5 bitop3:0x80
	s_delay_alu instid0(VALU_DEP_2) | instskip(NEXT) | instid1(VALU_DEP_1)
	v_bitop3_b16 v20, v27, 0xff, v5 bitop3:0x80
	v_cmp_le_u16_e64 s6, v20, v18
	s_and_b32 s5, s5, s6
	s_delay_alu instid0(SALU_CYCLE_1) | instskip(NEXT) | instid1(SALU_CYCLE_1)
	s_or_b32 s5, s7, s5
	v_dual_cndmask_b32 v18, v16, v15, s5 :: v_dual_cndmask_b32 v19, v26, v24, s5
	s_delay_alu instid0(VALU_DEP_1) | instskip(SKIP_1) | instid1(VALU_DEP_2)
	v_add_nc_u32_e32 v20, 1, v18
	v_lshl_add_u32 v18, v18, 3, v10
	v_add_min_u32_e64 v19, v19, -1, v20
	s_delay_alu instid0(VALU_DEP_1)
	v_dual_add_nc_u32 v12, v12, v19 :: v_dual_cndmask_b32 v15, v15, v20, s5
	v_cndmask_b32_e64 v16, v20, v16, s5
	ds_load_u8 v12, v12
	v_cmp_lt_u32_e64 s6, v15, v24
	v_cmp_ge_u32_e64 s10, v16, v26
	s_wait_dscnt 0x0
	v_dual_cndmask_b32 v28, v12, v22, s5 :: v_dual_cndmask_b32 v12, v27, v12, s5
	s_delay_alu instid0(VALU_DEP_1) | instskip(NEXT) | instid1(VALU_DEP_2)
	v_bitop3_b16 v19, v28, 0xff, v5 bitop3:0x80
	v_bitop3_b16 v5, v12, 0xff, v5 bitop3:0x80
	s_delay_alu instid0(VALU_DEP_1) | instskip(SKIP_1) | instid1(SALU_CYCLE_1)
	v_cmp_le_u16_e64 s7, v5, v19
	s_and_b32 s6, s6, s7
	s_or_b32 s6, s10, s6
	s_delay_alu instid0(SALU_CYCLE_1) | instskip(SKIP_2) | instid1(VALU_DEP_2)
	v_dual_cndmask_b32 v34, v22, v27, s5 :: v_dual_cndmask_b32 v35, v28, v12, s6
	v_cndmask_b32_e64 v5, v16, v15, s6
	v_lshl_add_u32 v16, v17, 3, v10
	v_lshl_add_u32 v5, v5, 3, v10
	ds_load_b64 v[14:15], v14 offset:1024
	ds_load_b64 v[16:17], v16 offset:1024
	;; [unrolled: 1-line block ×4, first 2 shown]
.LBB195_74:
	s_or_b32 exec_lo, exec_lo, s13
	; wave barrier
	s_wait_storecnt_dscnt 0x0
	s_barrier_signal -1
	s_barrier_wait -1
                                        ; implicit-def: $vgpr12_vgpr13
                                        ; implicit-def: $vgpr22
                                        ; implicit-def: $vgpr23
                                        ; implicit-def: $vgpr5
.LBB195_75:
	s_and_not1_saveexec_b32 s10, s12
	s_cbranch_execz .LBB195_137
; %bb.76:
	s_load_b64 s[4:5], s[8:9], 0x0
	s_bfe_u32 s6, ttmp6, 0x4000c
	s_bfe_u32 s12, ttmp6, 0x40010
	s_and_b32 s7, ttmp7, 0xffff
	s_add_co_i32 s6, s6, 1
	s_add_co_i32 s12, s12, 1
	s_and_b32 s3, ttmp6, 15
	s_bfe_u32 s13, ttmp6, 0x40004
	s_mul_i32 s6, ttmp9, s6
	s_mul_i32 s12, s7, s12
	s_add_co_i32 s3, s3, s6
	s_add_co_i32 s13, s13, s12
	s_cmp_eq_u32 s11, 0
	s_cselect_b32 s3, ttmp9, s3
	s_cselect_b32 s6, s7, s13
	s_wait_kmcnt 0x0
	s_cmp_lt_u32 s3, s4
	s_cselect_b32 s4, 12, 18
	s_cmp_lt_u32 s6, s5
	s_mov_b32 s5, 0
	s_cselect_b32 s6, 14, 20
	s_mov_b32 s7, s5
	s_add_nc_u64 s[4:5], s[8:9], s[4:5]
	s_add_nc_u64 s[6:7], s[8:9], s[6:7]
	s_clause 0x1
	s_load_u16 s4, s[4:5], 0x0
	s_nop 0
	s_load_u16 s3, s[6:7], 0x0
	s_wait_xcnt 0x0
	s_mov_b32 s6, exec_lo
	s_wait_kmcnt 0x0
	v_mad_u32_u24 v10, v23, s3, v22
	s_delay_alu instid0(VALU_DEP_1) | instskip(NEXT) | instid1(VALU_DEP_1)
	v_mul_lo_u32 v10, v10, s4
	v_add_lshl_u32 v5, v10, v5, 2
	s_delay_alu instid0(VALU_DEP_1)
	v_cmpx_gt_u32_e32 0x400, v5
	s_cbranch_execz .LBB195_86
; %bb.77:
	s_wait_loadcnt_dscnt 0x0
	v_perm_b32 v10, v34, v35, 0xc0c0004
	v_perm_b32 v11, v33, v32, 0xc0c0004
	;; [unrolled: 1-line block ×3, first 2 shown]
	v_and_b32_e32 v23, 0xff, v32
	v_and_b32_e32 v24, 0xff, v33
	v_lshlrev_b32_e32 v10, 16, v10
	s_mov_b32 s5, exec_lo
	s_delay_alu instid0(VALU_DEP_2) | instskip(NEXT) | instid1(VALU_DEP_2)
	v_cmp_gt_u16_e64 s3, v23, v24
	v_or_b32_e32 v11, v11, v10
	v_or_b32_e32 v10, v22, v10
	s_delay_alu instid0(VALU_DEP_1) | instskip(SKIP_1) | instid1(VALU_DEP_2)
	v_cndmask_b32_e64 v24, v10, v11, s3
	v_mov_b64_e32 v[10:11], v[20:21]
	v_dual_lshrrev_b32 v25, 16, v24 :: v_dual_lshrrev_b32 v22, 24, v24
	v_lshrrev_b32_e32 v26, 8, v24
	s_delay_alu instid0(VALU_DEP_2) | instskip(NEXT) | instid1(VALU_DEP_3)
	v_and_b32_e32 v23, 0xff, v25
	v_mov_b32_e32 v27, v22
	s_delay_alu instid0(VALU_DEP_2)
	v_cmpx_gt_u16_e64 v23, v22
; %bb.78:
	v_mov_b64_e32 v[10:11], v[18:19]
	v_mov_b64_e32 v[18:19], v[20:21]
	v_dual_mov_b32 v27, v25 :: v_dual_mov_b32 v25, v22
; %bb.79:
	s_or_b32 exec_lo, exec_lo, s5
	v_dual_cndmask_b32 v23, v17, v15, s3 :: v_dual_cndmask_b32 v22, v16, v14, s3
	v_and_b32_e32 v20, 0xff, v26
	s_delay_alu instid0(VALU_DEP_3) | instskip(NEXT) | instid1(VALU_DEP_1)
	v_and_b32_e32 v21, 0xff, v25
	v_cmp_gt_u16_e64 s4, v20, v21
	s_delay_alu instid0(VALU_DEP_4) | instskip(SKIP_1) | instid1(SALU_CYCLE_1)
	v_mov_b64_e32 v[20:21], v[22:23]
	s_and_saveexec_b32 s5, s4
	s_xor_b32 s4, exec_lo, s5
; %bb.80:
	v_mov_b32_e32 v28, v26
	v_mov_b64_e32 v[20:21], v[10:11]
	v_mov_b64_e32 v[10:11], v[22:23]
	v_swap_b32 v26, v25
; %bb.81:
	s_or_b32 exec_lo, exec_lo, s4
	s_delay_alu instid0(VALU_DEP_1) | instskip(NEXT) | instid1(VALU_DEP_2)
	v_perm_b32 v22, v25, v27, 0xc0c0004
	v_perm_b32 v23, v26, v24, 0xc0c0004
	;; [unrolled: 1-line block ×3, first 2 shown]
	v_and_b32_e32 v24, 0xff, v24
	v_and_b32_e32 v26, 0xff, v26
	v_lshlrev_b32_e32 v22, 16, v22
	s_mov_b32 s7, exec_lo
	s_delay_alu instid0(VALU_DEP_2) | instskip(NEXT) | instid1(VALU_DEP_2)
	v_cmp_gt_u16_e64 s4, v24, v26
	v_or_b32_e32 v23, v23, v22
	v_or_b32_e32 v22, v25, v22
	s_delay_alu instid0(VALU_DEP_1) | instskip(SKIP_1) | instid1(VALU_DEP_2)
	v_cndmask_b32_e64 v32, v22, v23, s4
	v_mov_b64_e32 v[22:23], v[10:11]
	v_lshrrev_b32_e32 v24, 24, v32
	s_delay_alu instid0(VALU_DEP_1) | instskip(SKIP_1) | instid1(VALU_DEP_2)
	v_dual_mov_b32 v35, v24 :: v_dual_lshrrev_b32 v34, 16, v32
	v_lshrrev_b32_e32 v33, 8, v32
	v_and_b32_e32 v25, 0xff, v34
	s_delay_alu instid0(VALU_DEP_1)
	v_cmpx_gt_u16_e64 v25, v24
; %bb.82:
	v_mov_b64_e32 v[22:23], v[18:19]
	v_mov_b64_e32 v[18:19], v[10:11]
	v_dual_mov_b32 v35, v34 :: v_dual_mov_b32 v34, v24
; %bb.83:
	s_or_b32 exec_lo, exec_lo, s7
	v_dual_cndmask_b32 v10, v15, v17, s3 :: v_dual_cndmask_b32 v11, v14, v16, s3
	v_and_b32_e32 v24, 0xff, v33
	s_delay_alu instid0(VALU_DEP_3) | instskip(NEXT) | instid1(VALU_DEP_3)
	v_and_b32_e32 v25, 0xff, v34
	v_dual_cndmask_b32 v15, v10, v21, s4 :: v_dual_cndmask_b32 v14, v11, v20, s4
	v_dual_cndmask_b32 v17, v21, v10, s4 :: v_dual_cndmask_b32 v16, v20, v11, s4
	v_mov_b64_e32 v[20:21], v[22:23]
	s_mov_b32 s4, exec_lo
	v_cmpx_gt_u16_e64 v24, v25
; %bb.84:
	v_mov_b32_e32 v10, v33
	v_swap_b32 v33, v34
	v_mov_b64_e32 v[20:21], v[16:17]
	v_mov_b64_e32 v[16:17], v[22:23]
; %bb.85:
	s_or_b32 exec_lo, exec_lo, s4
.LBB195_86:
	s_delay_alu instid0(SALU_CYCLE_1)
	s_or_b32 exec_lo, exec_lo, s6
	v_and_b32_e32 v26, 0xffffff80, v5
	v_dual_mov_b32 v27, 0 :: v_dual_bitop2_b32 v10, 4, v0 bitop3:0x54
	s_wait_loadcnt_dscnt 0x0
	v_perm_b32 v25, v32, v33, 0xc0c0004
	v_perm_b32 v29, v34, v35, 0xc0c0004
	v_sub_nc_u32_e64 v5, 0x400, v26 clamp
	v_add_nc_u64_e32 v[12:13], v[12:13], v[26:27]
	s_mov_b32 s4, exec_lo
	s_delay_alu instid0(VALU_DEP_3) | instskip(NEXT) | instid1(VALU_DEP_3)
	v_lshl_or_b32 v25, v29, 16, v25
	v_min_u32_e32 v24, v5, v10
	s_delay_alu instid0(VALU_DEP_3) | instskip(SKIP_1) | instid1(VALU_DEP_3)
	v_mad_nc_u64_u32 v[10:11], v26, 7, v[12:13]
	v_dual_mov_b32 v26, v0 :: v_dual_bitop2_b32 v11, 4, v0 bitop3:0x40
	v_add_min_u32_e64 v38, v24, 4, v5
	s_delay_alu instid0(VALU_DEP_2) | instskip(SKIP_1) | instid1(VALU_DEP_4)
	v_add_nc_u64_e32 v[22:23], v[12:13], v[26:27]
	v_and_b32_e32 v26, 0x78, v0
	v_min_u32_e32 v39, v5, v11
	s_delay_alu instid0(VALU_DEP_4) | instskip(SKIP_1) | instid1(VALU_DEP_4)
	v_sub_nc_u32_e32 v23, v38, v24
	v_lshl_add_u32 v11, v0, 3, v10
	v_sub_nc_u32_e32 v28, v24, v26
	ds_store_2addr_b64 v11, v[14:15], v[16:17] offset0:128 offset1:129
	ds_store_b64 v11, v[20:21] offset:1040
	ds_store_b32 v22, v25
	ds_store_b64 v11, v[18:19] offset:1048
	v_sub_nc_u32_e64 v48, v39, v23 clamp
	v_min_u32_e32 v23, v39, v28
	; wave barrier
	s_delay_alu instid0(VALU_DEP_1)
	v_cmpx_lt_u32_e64 v48, v23
	s_cbranch_execz .LBB195_90
; %bb.87:
	v_mov_b32_e32 v25, v27
	v_add_nc_u64_e32 v[28:29], v[12:13], v[26:27]
	s_mov_b32 s5, 0
	s_delay_alu instid0(VALU_DEP_2)
	v_add_nc_u64_e32 v[30:31], v[12:13], v[24:25]
.LBB195_88:                             ; =>This Inner Loop Header: Depth=1
	v_add_nc_u32_e32 v25, v23, v48
	s_delay_alu instid0(VALU_DEP_1) | instskip(NEXT) | instid1(VALU_DEP_1)
	v_lshrrev_b32_e32 v25, 1, v25
	v_not_b32_e32 v27, v25
	v_dual_add_nc_u32 v29, v28, v25 :: v_dual_add_nc_u32 v31, 1, v25
	s_delay_alu instid0(VALU_DEP_2) | instskip(SKIP_4) | instid1(VALU_DEP_1)
	v_add3_u32 v27, v39, v27, v30
	ds_load_u8 v29, v29
	ds_load_u8 v27, v27
	s_wait_dscnt 0x0
	v_cmp_gt_u16_e64 s3, v29, v27
	v_cndmask_b32_e64 v48, v31, v48, s3
	v_cndmask_b32_e64 v23, v23, v25, s3
	s_delay_alu instid0(VALU_DEP_1) | instskip(SKIP_1) | instid1(SALU_CYCLE_1)
	v_cmp_ge_u32_e64 s3, v48, v23
	s_or_b32 s5, s3, s5
	s_and_not1_b32 exec_lo, exec_lo, s5
	s_cbranch_execnz .LBB195_88
; %bb.89:
	s_or_b32 exec_lo, exec_lo, s5
.LBB195_90:
	s_delay_alu instid0(SALU_CYCLE_1)
	s_or_b32 exec_lo, exec_lo, s4
	v_add_nc_u32_e32 v25, v24, v39
	v_add_nc_u32_e32 v28, v48, v26
	;; [unrolled: 1-line block ×5, first 2 shown]
	v_sub_nc_u32_e32 v27, v25, v48
	v_cmp_le_u32_e64 s3, v28, v24
	v_add_nc_u32_e32 v11, 0x418, v11
	s_delay_alu instid0(VALU_DEP_3) | instskip(SKIP_1) | instid1(SALU_CYCLE_1)
	v_cmp_le_u32_e64 s4, v27, v38
	s_or_b32 s3, s3, s4
	s_and_saveexec_b32 s9, s3
	s_cbranch_execz .LBB195_96
; %bb.91:
	v_cmp_lt_u32_e64 s3, v28, v24
                                        ; implicit-def: $vgpr25
	s_and_saveexec_b32 s4, s3
; %bb.92:
	v_add_nc_u32_e32 v14, v12, v28
	ds_load_u8 v25, v14
; %bb.93:
	s_or_b32 exec_lo, exec_lo, s4
	v_cmp_ge_u32_e64 s4, v27, v38
	s_mov_b32 s6, exec_lo
                                        ; implicit-def: $vgpr26
	v_cmpx_lt_u32_e64 v27, v38
; %bb.94:
	v_add_nc_u32_e32 v14, v12, v27
	ds_load_u8 v26, v14
; %bb.95:
	s_or_b32 exec_lo, exec_lo, s6
	s_wait_dscnt 0x0
	v_and_b32_e32 v14, 0xff, v26
	v_and_b32_e32 v15, 0xff, v25
	s_delay_alu instid0(VALU_DEP_1) | instskip(SKIP_1) | instid1(SALU_CYCLE_1)
	v_cmp_le_u16_e64 s5, v15, v14
	s_and_b32 s3, s3, s5
	s_or_b32 s3, s4, s3
	s_delay_alu instid0(SALU_CYCLE_1) | instskip(SKIP_1) | instid1(VALU_DEP_2)
	v_cndmask_b32_e64 v14, v27, v28, s3
	v_cndmask_b32_e64 v15, v38, v24, s3
	v_dual_cndmask_b32 v32, v26, v25, s3 :: v_dual_add_nc_u32 v16, 1, v14
	s_delay_alu instid0(VALU_DEP_1) | instskip(NEXT) | instid1(VALU_DEP_1)
	v_add_min_u32_e64 v15, v15, -1, v16
	v_add_nc_u32_e32 v15, v12, v15
	v_lshl_add_u32 v14, v14, 3, v10
	ds_load_u8 v15, v15
	s_wait_dscnt 0x0
	v_dual_cndmask_b32 v29, v15, v26, s3 :: v_dual_cndmask_b32 v30, v25, v15, s3
	v_cndmask_b32_e64 v15, v28, v16, s3
	v_cndmask_b32_e64 v16, v16, v27, s3
	s_delay_alu instid0(VALU_DEP_3) | instskip(NEXT) | instid1(VALU_DEP_4)
	v_and_b32_e32 v17, 0xff, v29
	v_and_b32_e32 v18, 0xff, v30
	s_delay_alu instid0(VALU_DEP_4) | instskip(NEXT) | instid1(VALU_DEP_4)
	v_cmp_lt_u32_e64 s4, v15, v24
	v_cmp_ge_u32_e64 s6, v16, v38
	s_delay_alu instid0(VALU_DEP_3) | instskip(SKIP_1) | instid1(SALU_CYCLE_1)
	v_cmp_le_u16_e64 s5, v18, v17
	s_and_b32 s4, s4, s5
	s_or_b32 s4, s6, s4
	s_delay_alu instid0(SALU_CYCLE_1) | instskip(NEXT) | instid1(VALU_DEP_1)
	v_dual_cndmask_b32 v18, v38, v24, s4 :: v_dual_cndmask_b32 v17, v16, v15, s4
	v_add_nc_u32_e32 v19, 1, v17
	s_delay_alu instid0(VALU_DEP_1) | instskip(SKIP_1) | instid1(VALU_DEP_2)
	v_add_min_u32_e64 v18, v18, -1, v19
	v_cndmask_b32_e64 v15, v15, v19, s4
	v_dual_cndmask_b32 v16, v19, v16, s4 :: v_dual_add_nc_u32 v18, v12, v18
	s_delay_alu instid0(VALU_DEP_2) | instskip(NEXT) | instid1(VALU_DEP_2)
	v_cmp_lt_u32_e64 s5, v15, v24
	v_cmp_ge_u32_e64 s7, v16, v38
	ds_load_u8 v18, v18
	s_wait_dscnt 0x0
	v_cndmask_b32_e64 v27, v18, v29, s4
	v_cndmask_b32_e64 v28, v30, v18, s4
	s_delay_alu instid0(VALU_DEP_2) | instskip(NEXT) | instid1(VALU_DEP_2)
	v_and_b32_e32 v18, 0xff, v27
	v_and_b32_e32 v20, 0xff, v28
	s_delay_alu instid0(VALU_DEP_1) | instskip(SKIP_1) | instid1(SALU_CYCLE_1)
	v_cmp_le_u16_e64 s6, v20, v18
	s_and_b32 s5, s5, s6
	s_or_b32 s5, s7, s5
	s_delay_alu instid0(SALU_CYCLE_1) | instskip(SKIP_1) | instid1(VALU_DEP_1)
	v_dual_cndmask_b32 v33, v29, v30, s4 :: v_dual_cndmask_b32 v34, v27, v28, s5
	v_dual_cndmask_b32 v18, v16, v15, s5 :: v_dual_cndmask_b32 v19, v38, v24, s5
	v_add_nc_u32_e32 v20, 1, v18
	v_lshl_add_u32 v18, v18, 3, v10
	s_delay_alu instid0(VALU_DEP_2) | instskip(NEXT) | instid1(VALU_DEP_1)
	v_add_min_u32_e64 v19, v19, -1, v20
	v_dual_add_nc_u32 v19, v12, v19 :: v_dual_cndmask_b32 v15, v15, v20, s5
	v_cndmask_b32_e64 v16, v20, v16, s5
	ds_load_u8 v19, v19
	v_cmp_lt_u32_e64 s6, v15, v24
	v_cmp_ge_u32_e64 s8, v16, v38
	s_wait_dscnt 0x0
	v_cndmask_b32_e64 v31, v19, v27, s5
	v_cndmask_b32_e64 v35, v28, v19, s5
	s_delay_alu instid0(VALU_DEP_2) | instskip(NEXT) | instid1(VALU_DEP_2)
	v_and_b32_e32 v19, 0xff, v31
	v_and_b32_e32 v21, 0xff, v35
	s_delay_alu instid0(VALU_DEP_1) | instskip(SKIP_1) | instid1(SALU_CYCLE_1)
	v_cmp_le_u16_e64 s7, v21, v19
	s_and_b32 s6, s6, s7
	s_or_b32 s6, s8, s6
	s_delay_alu instid0(SALU_CYCLE_1) | instskip(SKIP_2) | instid1(VALU_DEP_3)
	v_cndmask_b32_e64 v15, v16, v15, s6
	v_lshl_add_u32 v16, v17, 3, v10
	v_cndmask_b32_e64 v35, v31, v35, s6
	v_lshl_add_u32 v19, v15, 3, v10
	ds_load_b64 v[14:15], v14 offset:1024
	ds_load_b64 v[16:17], v16 offset:1024
	ds_load_b64 v[20:21], v18 offset:1024
	ds_load_b64 v[18:19], v19 offset:1024
.LBB195_96:
	s_or_b32 exec_lo, exec_lo, s9
	v_and_b32_e32 v26, 0x70, v0
	s_mov_b32 s4, exec_lo
	; wave barrier
	ds_store_b8 v22, v32
	s_wait_dscnt 0x4
	ds_store_b64 v37, v[14:15]
	v_or_b32_e32 v24, 8, v26
	ds_store_b8 v22, v33 offset:1
	s_wait_dscnt 0x5
	ds_store_b64 v36, v[16:17]
	ds_store_b8 v22, v34 offset:2
	s_wait_dscnt 0x6
	ds_store_b64 v23, v[20:21]
	;; [unrolled: 3-line block ×3, first 2 shown]
	; wave barrier
	v_min_u32_e32 v24, v5, v24
	s_delay_alu instid0(VALU_DEP_1) | instskip(SKIP_1) | instid1(VALU_DEP_2)
	v_dual_sub_nc_u32 v27, v24, v26 :: v_dual_bitop2_b32 v25, 12, v0 bitop3:0x40
	v_add_min_u32_e64 v49, v24, 8, v5
	v_min_u32_e32 v50, v5, v25
	s_delay_alu instid0(VALU_DEP_2) | instskip(NEXT) | instid1(VALU_DEP_2)
	v_sub_nc_u32_e32 v25, v49, v24
	v_min_u32_e32 v38, v50, v27
	s_delay_alu instid0(VALU_DEP_2) | instskip(NEXT) | instid1(VALU_DEP_1)
	v_sub_nc_u32_e64 v51, v50, v25 clamp
	v_cmpx_lt_u32_e64 v51, v38
	s_cbranch_execz .LBB195_100
; %bb.97:
	v_mov_b32_e32 v27, 0
	s_mov_b32 s5, 0
	s_delay_alu instid0(VALU_DEP_1) | instskip(SKIP_1) | instid1(VALU_DEP_2)
	v_mov_b32_e32 v25, v27
	v_add_nc_u64_e32 v[28:29], v[12:13], v[26:27]
	v_add_nc_u64_e32 v[30:31], v[12:13], v[24:25]
.LBB195_98:                             ; =>This Inner Loop Header: Depth=1
	v_add_nc_u32_e32 v25, v38, v51
	s_delay_alu instid0(VALU_DEP_1) | instskip(NEXT) | instid1(VALU_DEP_1)
	v_lshrrev_b32_e32 v25, 1, v25
	v_not_b32_e32 v27, v25
	v_dual_add_nc_u32 v29, v28, v25 :: v_dual_add_nc_u32 v31, 1, v25
	s_delay_alu instid0(VALU_DEP_2) | instskip(SKIP_4) | instid1(VALU_DEP_1)
	v_add3_u32 v27, v50, v27, v30
	ds_load_u8 v29, v29
	ds_load_u8 v27, v27
	s_wait_dscnt 0x0
	v_cmp_gt_u16_e64 s3, v29, v27
	v_dual_cndmask_b32 v38, v38, v25, s3 :: v_dual_cndmask_b32 v51, v31, v51, s3
	s_delay_alu instid0(VALU_DEP_1) | instskip(SKIP_1) | instid1(SALU_CYCLE_1)
	v_cmp_ge_u32_e64 s3, v51, v38
	s_or_b32 s5, s3, s5
	s_and_not1_b32 exec_lo, exec_lo, s5
	s_cbranch_execnz .LBB195_98
; %bb.99:
	s_or_b32 exec_lo, exec_lo, s5
.LBB195_100:
	s_delay_alu instid0(SALU_CYCLE_1) | instskip(SKIP_4) | instid1(VALU_DEP_4)
	s_or_b32 exec_lo, exec_lo, s4
	v_add_nc_u32_e32 v25, v24, v50
	v_add_nc_u32_e32 v38, 3, v22
	;; [unrolled: 1-line block ×3, first 2 shown]
	v_dual_add_nc_u32 v48, 1, v22 :: v_dual_add_nc_u32 v39, 2, v22
	v_sub_nc_u32_e32 v27, v25, v51
	s_delay_alu instid0(VALU_DEP_3) | instskip(NEXT) | instid1(VALU_DEP_2)
	v_cmp_le_u32_e64 s3, v28, v24
	v_cmp_le_u32_e64 s4, v27, v49
	s_or_b32 s3, s3, s4
	s_delay_alu instid0(SALU_CYCLE_1)
	s_and_saveexec_b32 s9, s3
	s_cbranch_execz .LBB195_106
; %bb.101:
	v_cmp_lt_u32_e64 s3, v28, v24
                                        ; implicit-def: $vgpr25
	s_and_saveexec_b32 s4, s3
; %bb.102:
	v_add_nc_u32_e32 v14, v12, v28
	ds_load_u8 v25, v14
; %bb.103:
	s_or_b32 exec_lo, exec_lo, s4
	v_cmp_ge_u32_e64 s4, v27, v49
	s_mov_b32 s6, exec_lo
                                        ; implicit-def: $vgpr26
	v_cmpx_lt_u32_e64 v27, v49
; %bb.104:
	v_add_nc_u32_e32 v14, v12, v27
	ds_load_u8 v26, v14
; %bb.105:
	s_or_b32 exec_lo, exec_lo, s6
	s_wait_dscnt 0x0
	v_and_b32_e32 v14, 0xff, v26
	v_and_b32_e32 v15, 0xff, v25
	s_delay_alu instid0(VALU_DEP_1) | instskip(SKIP_1) | instid1(SALU_CYCLE_1)
	v_cmp_le_u16_e64 s5, v15, v14
	s_and_b32 s3, s3, s5
	s_or_b32 s3, s4, s3
	s_delay_alu instid0(SALU_CYCLE_1) | instskip(SKIP_1) | instid1(VALU_DEP_2)
	v_cndmask_b32_e64 v14, v27, v28, s3
	v_dual_cndmask_b32 v15, v49, v24, s3 :: v_dual_cndmask_b32 v32, v26, v25, s3
	v_add_nc_u32_e32 v16, 1, v14
	s_delay_alu instid0(VALU_DEP_1) | instskip(NEXT) | instid1(VALU_DEP_1)
	v_add_min_u32_e64 v15, v15, -1, v16
	v_add_nc_u32_e32 v15, v12, v15
	v_lshl_add_u32 v14, v14, 3, v10
	ds_load_u8 v15, v15
	s_wait_dscnt 0x0
	v_dual_cndmask_b32 v29, v15, v26, s3 :: v_dual_cndmask_b32 v30, v25, v15, s3
	v_cndmask_b32_e64 v15, v28, v16, s3
	v_cndmask_b32_e64 v16, v16, v27, s3
	s_delay_alu instid0(VALU_DEP_3) | instskip(NEXT) | instid1(VALU_DEP_4)
	v_and_b32_e32 v17, 0xff, v29
	v_and_b32_e32 v18, 0xff, v30
	s_delay_alu instid0(VALU_DEP_4) | instskip(NEXT) | instid1(VALU_DEP_4)
	v_cmp_lt_u32_e64 s4, v15, v24
	v_cmp_ge_u32_e64 s6, v16, v49
	s_delay_alu instid0(VALU_DEP_3) | instskip(SKIP_1) | instid1(SALU_CYCLE_1)
	v_cmp_le_u16_e64 s5, v18, v17
	s_and_b32 s4, s4, s5
	s_or_b32 s4, s6, s4
	s_delay_alu instid0(SALU_CYCLE_1) | instskip(NEXT) | instid1(VALU_DEP_1)
	v_dual_cndmask_b32 v18, v49, v24, s4 :: v_dual_cndmask_b32 v17, v16, v15, s4
	v_add_nc_u32_e32 v19, 1, v17
	s_delay_alu instid0(VALU_DEP_1) | instskip(SKIP_1) | instid1(VALU_DEP_2)
	v_add_min_u32_e64 v18, v18, -1, v19
	v_cndmask_b32_e64 v15, v15, v19, s4
	v_dual_cndmask_b32 v16, v19, v16, s4 :: v_dual_add_nc_u32 v18, v12, v18
	s_delay_alu instid0(VALU_DEP_2) | instskip(NEXT) | instid1(VALU_DEP_2)
	v_cmp_lt_u32_e64 s5, v15, v24
	v_cmp_ge_u32_e64 s7, v16, v49
	ds_load_u8 v18, v18
	s_wait_dscnt 0x0
	v_cndmask_b32_e64 v27, v18, v29, s4
	v_cndmask_b32_e64 v28, v30, v18, s4
	s_delay_alu instid0(VALU_DEP_2) | instskip(NEXT) | instid1(VALU_DEP_2)
	v_and_b32_e32 v18, 0xff, v27
	v_and_b32_e32 v20, 0xff, v28
	s_delay_alu instid0(VALU_DEP_1) | instskip(SKIP_1) | instid1(SALU_CYCLE_1)
	v_cmp_le_u16_e64 s6, v20, v18
	s_and_b32 s5, s5, s6
	s_or_b32 s5, s7, s5
	s_delay_alu instid0(SALU_CYCLE_1) | instskip(SKIP_1) | instid1(VALU_DEP_1)
	v_dual_cndmask_b32 v33, v29, v30, s4 :: v_dual_cndmask_b32 v34, v27, v28, s5
	v_dual_cndmask_b32 v18, v16, v15, s5 :: v_dual_cndmask_b32 v19, v49, v24, s5
	v_add_nc_u32_e32 v20, 1, v18
	v_lshl_add_u32 v18, v18, 3, v10
	s_delay_alu instid0(VALU_DEP_2) | instskip(NEXT) | instid1(VALU_DEP_1)
	v_add_min_u32_e64 v19, v19, -1, v20
	v_dual_add_nc_u32 v19, v12, v19 :: v_dual_cndmask_b32 v15, v15, v20, s5
	v_cndmask_b32_e64 v16, v20, v16, s5
	ds_load_u8 v19, v19
	v_cmp_lt_u32_e64 s6, v15, v24
	v_cmp_ge_u32_e64 s8, v16, v49
	s_wait_dscnt 0x0
	v_cndmask_b32_e64 v31, v19, v27, s5
	v_cndmask_b32_e64 v35, v28, v19, s5
	s_delay_alu instid0(VALU_DEP_2) | instskip(NEXT) | instid1(VALU_DEP_2)
	v_and_b32_e32 v19, 0xff, v31
	v_and_b32_e32 v21, 0xff, v35
	s_delay_alu instid0(VALU_DEP_1) | instskip(SKIP_1) | instid1(SALU_CYCLE_1)
	v_cmp_le_u16_e64 s7, v21, v19
	s_and_b32 s6, s6, s7
	s_or_b32 s6, s8, s6
	s_delay_alu instid0(SALU_CYCLE_1) | instskip(SKIP_2) | instid1(VALU_DEP_3)
	v_cndmask_b32_e64 v15, v16, v15, s6
	v_lshl_add_u32 v16, v17, 3, v10
	v_cndmask_b32_e64 v35, v31, v35, s6
	v_lshl_add_u32 v19, v15, 3, v10
	ds_load_b64 v[14:15], v14 offset:1024
	ds_load_b64 v[16:17], v16 offset:1024
	;; [unrolled: 1-line block ×4, first 2 shown]
.LBB195_106:
	s_or_b32 exec_lo, exec_lo, s9
	v_and_b32_e32 v26, 0x60, v0
	s_mov_b32 s4, exec_lo
	; wave barrier
	ds_store_b8 v22, v32
	s_wait_dscnt 0x4
	ds_store_b64 v37, v[14:15]
	v_or_b32_e32 v24, 16, v26
	ds_store_b8 v48, v33
	s_wait_dscnt 0x5
	ds_store_b64 v36, v[16:17]
	ds_store_b8 v39, v34
	s_wait_dscnt 0x6
	ds_store_b64 v23, v[20:21]
	;; [unrolled: 3-line block ×3, first 2 shown]
	; wave barrier
	v_min_u32_e32 v24, v5, v24
	s_delay_alu instid0(VALU_DEP_1) | instskip(SKIP_1) | instid1(VALU_DEP_2)
	v_dual_sub_nc_u32 v27, v24, v26 :: v_dual_bitop2_b32 v25, 28, v0 bitop3:0x40
	v_add_min_u32_e64 v49, v24, 16, v5
	v_min_u32_e32 v50, v5, v25
	s_delay_alu instid0(VALU_DEP_2) | instskip(NEXT) | instid1(VALU_DEP_2)
	v_sub_nc_u32_e32 v25, v49, v24
	v_min_u32_e32 v52, v50, v27
	s_delay_alu instid0(VALU_DEP_2) | instskip(NEXT) | instid1(VALU_DEP_1)
	v_sub_nc_u32_e64 v51, v50, v25 clamp
	v_cmpx_lt_u32_e64 v51, v52
	s_cbranch_execz .LBB195_110
; %bb.107:
	v_mov_b32_e32 v27, 0
	s_mov_b32 s5, 0
	s_delay_alu instid0(VALU_DEP_1) | instskip(SKIP_1) | instid1(VALU_DEP_2)
	v_mov_b32_e32 v25, v27
	v_add_nc_u64_e32 v[28:29], v[12:13], v[26:27]
	v_add_nc_u64_e32 v[30:31], v[12:13], v[24:25]
.LBB195_108:                            ; =>This Inner Loop Header: Depth=1
	v_add_nc_u32_e32 v25, v52, v51
	s_delay_alu instid0(VALU_DEP_1) | instskip(NEXT) | instid1(VALU_DEP_1)
	v_lshrrev_b32_e32 v25, 1, v25
	v_not_b32_e32 v27, v25
	v_dual_add_nc_u32 v29, v28, v25 :: v_dual_add_nc_u32 v31, 1, v25
	s_delay_alu instid0(VALU_DEP_2) | instskip(SKIP_4) | instid1(VALU_DEP_1)
	v_add3_u32 v27, v50, v27, v30
	ds_load_u8 v29, v29
	ds_load_u8 v27, v27
	s_wait_dscnt 0x0
	v_cmp_gt_u16_e64 s3, v29, v27
	v_dual_cndmask_b32 v52, v52, v25, s3 :: v_dual_cndmask_b32 v51, v31, v51, s3
	s_delay_alu instid0(VALU_DEP_1) | instskip(SKIP_1) | instid1(SALU_CYCLE_1)
	v_cmp_ge_u32_e64 s3, v51, v52
	s_or_b32 s5, s3, s5
	s_and_not1_b32 exec_lo, exec_lo, s5
	s_cbranch_execnz .LBB195_108
; %bb.109:
	s_or_b32 exec_lo, exec_lo, s5
.LBB195_110:
	s_delay_alu instid0(SALU_CYCLE_1) | instskip(SKIP_1) | instid1(VALU_DEP_1)
	s_or_b32 exec_lo, exec_lo, s4
	v_add_nc_u32_e32 v25, v24, v50
	v_dual_add_nc_u32 v28, v51, v26 :: v_dual_sub_nc_u32 v27, v25, v51
	s_delay_alu instid0(VALU_DEP_1) | instskip(NEXT) | instid1(VALU_DEP_2)
	v_cmp_le_u32_e64 s3, v28, v24
	v_cmp_le_u32_e64 s4, v27, v49
	s_or_b32 s3, s3, s4
	s_delay_alu instid0(SALU_CYCLE_1)
	s_and_saveexec_b32 s9, s3
	s_cbranch_execz .LBB195_116
; %bb.111:
	v_cmp_lt_u32_e64 s3, v28, v24
                                        ; implicit-def: $vgpr25
	s_and_saveexec_b32 s4, s3
; %bb.112:
	v_add_nc_u32_e32 v14, v12, v28
	ds_load_u8 v25, v14
; %bb.113:
	s_or_b32 exec_lo, exec_lo, s4
	v_cmp_ge_u32_e64 s4, v27, v49
	s_mov_b32 s6, exec_lo
                                        ; implicit-def: $vgpr26
	v_cmpx_lt_u32_e64 v27, v49
; %bb.114:
	v_add_nc_u32_e32 v14, v12, v27
	ds_load_u8 v26, v14
; %bb.115:
	s_or_b32 exec_lo, exec_lo, s6
	s_wait_dscnt 0x0
	v_and_b32_e32 v14, 0xff, v26
	v_and_b32_e32 v15, 0xff, v25
	s_delay_alu instid0(VALU_DEP_1) | instskip(SKIP_1) | instid1(SALU_CYCLE_1)
	v_cmp_le_u16_e64 s5, v15, v14
	s_and_b32 s3, s3, s5
	s_or_b32 s3, s4, s3
	s_delay_alu instid0(SALU_CYCLE_1) | instskip(SKIP_1) | instid1(VALU_DEP_2)
	v_cndmask_b32_e64 v14, v27, v28, s3
	v_dual_cndmask_b32 v15, v49, v24, s3 :: v_dual_cndmask_b32 v32, v26, v25, s3
	v_add_nc_u32_e32 v16, 1, v14
	s_delay_alu instid0(VALU_DEP_1) | instskip(NEXT) | instid1(VALU_DEP_1)
	v_add_min_u32_e64 v15, v15, -1, v16
	v_add_nc_u32_e32 v15, v12, v15
	v_lshl_add_u32 v14, v14, 3, v10
	ds_load_u8 v15, v15
	s_wait_dscnt 0x0
	v_dual_cndmask_b32 v29, v15, v26, s3 :: v_dual_cndmask_b32 v30, v25, v15, s3
	v_cndmask_b32_e64 v15, v28, v16, s3
	v_cndmask_b32_e64 v16, v16, v27, s3
	s_delay_alu instid0(VALU_DEP_3) | instskip(NEXT) | instid1(VALU_DEP_4)
	v_and_b32_e32 v17, 0xff, v29
	v_and_b32_e32 v18, 0xff, v30
	s_delay_alu instid0(VALU_DEP_4) | instskip(NEXT) | instid1(VALU_DEP_4)
	v_cmp_lt_u32_e64 s4, v15, v24
	v_cmp_ge_u32_e64 s6, v16, v49
	s_delay_alu instid0(VALU_DEP_3) | instskip(SKIP_1) | instid1(SALU_CYCLE_1)
	v_cmp_le_u16_e64 s5, v18, v17
	s_and_b32 s4, s4, s5
	s_or_b32 s4, s6, s4
	s_delay_alu instid0(SALU_CYCLE_1) | instskip(NEXT) | instid1(VALU_DEP_1)
	v_dual_cndmask_b32 v18, v49, v24, s4 :: v_dual_cndmask_b32 v17, v16, v15, s4
	v_add_nc_u32_e32 v19, 1, v17
	s_delay_alu instid0(VALU_DEP_1) | instskip(SKIP_1) | instid1(VALU_DEP_2)
	v_add_min_u32_e64 v18, v18, -1, v19
	v_cndmask_b32_e64 v15, v15, v19, s4
	v_dual_cndmask_b32 v16, v19, v16, s4 :: v_dual_add_nc_u32 v18, v12, v18
	s_delay_alu instid0(VALU_DEP_2) | instskip(NEXT) | instid1(VALU_DEP_2)
	v_cmp_lt_u32_e64 s5, v15, v24
	v_cmp_ge_u32_e64 s7, v16, v49
	ds_load_u8 v18, v18
	s_wait_dscnt 0x0
	v_cndmask_b32_e64 v27, v18, v29, s4
	v_cndmask_b32_e64 v28, v30, v18, s4
	s_delay_alu instid0(VALU_DEP_2) | instskip(NEXT) | instid1(VALU_DEP_2)
	v_and_b32_e32 v18, 0xff, v27
	v_and_b32_e32 v20, 0xff, v28
	s_delay_alu instid0(VALU_DEP_1) | instskip(SKIP_1) | instid1(SALU_CYCLE_1)
	v_cmp_le_u16_e64 s6, v20, v18
	s_and_b32 s5, s5, s6
	s_or_b32 s5, s7, s5
	s_delay_alu instid0(SALU_CYCLE_1) | instskip(SKIP_1) | instid1(VALU_DEP_1)
	v_dual_cndmask_b32 v33, v29, v30, s4 :: v_dual_cndmask_b32 v34, v27, v28, s5
	v_dual_cndmask_b32 v18, v16, v15, s5 :: v_dual_cndmask_b32 v19, v49, v24, s5
	v_add_nc_u32_e32 v20, 1, v18
	v_lshl_add_u32 v18, v18, 3, v10
	s_delay_alu instid0(VALU_DEP_2) | instskip(NEXT) | instid1(VALU_DEP_1)
	v_add_min_u32_e64 v19, v19, -1, v20
	v_dual_add_nc_u32 v19, v12, v19 :: v_dual_cndmask_b32 v15, v15, v20, s5
	v_cndmask_b32_e64 v16, v20, v16, s5
	ds_load_u8 v19, v19
	v_cmp_lt_u32_e64 s6, v15, v24
	v_cmp_ge_u32_e64 s8, v16, v49
	s_wait_dscnt 0x0
	v_cndmask_b32_e64 v31, v19, v27, s5
	v_cndmask_b32_e64 v35, v28, v19, s5
	s_delay_alu instid0(VALU_DEP_2) | instskip(NEXT) | instid1(VALU_DEP_2)
	v_and_b32_e32 v19, 0xff, v31
	v_and_b32_e32 v21, 0xff, v35
	s_delay_alu instid0(VALU_DEP_1) | instskip(SKIP_1) | instid1(SALU_CYCLE_1)
	v_cmp_le_u16_e64 s7, v21, v19
	s_and_b32 s6, s6, s7
	s_or_b32 s6, s8, s6
	s_delay_alu instid0(SALU_CYCLE_1) | instskip(SKIP_2) | instid1(VALU_DEP_3)
	v_cndmask_b32_e64 v15, v16, v15, s6
	v_lshl_add_u32 v16, v17, 3, v10
	v_cndmask_b32_e64 v35, v31, v35, s6
	v_lshl_add_u32 v19, v15, 3, v10
	ds_load_b64 v[14:15], v14 offset:1024
	ds_load_b64 v[16:17], v16 offset:1024
	ds_load_b64 v[20:21], v18 offset:1024
	ds_load_b64 v[18:19], v19 offset:1024
.LBB195_116:
	s_or_b32 exec_lo, exec_lo, s9
	v_and_b32_e32 v26, 64, v0
	s_mov_b32 s4, exec_lo
	; wave barrier
	ds_store_b8 v22, v32
	s_wait_dscnt 0x4
	ds_store_b64 v37, v[14:15]
	v_or_b32_e32 v24, 32, v26
	ds_store_b8 v48, v33
	s_wait_dscnt 0x5
	ds_store_b64 v36, v[16:17]
	ds_store_b8 v39, v34
	s_wait_dscnt 0x6
	ds_store_b64 v23, v[20:21]
	;; [unrolled: 3-line block ×3, first 2 shown]
	; wave barrier
	v_min_u32_e32 v24, v5, v24
	s_delay_alu instid0(VALU_DEP_1) | instskip(SKIP_1) | instid1(VALU_DEP_2)
	v_dual_sub_nc_u32 v27, v24, v26 :: v_dual_bitop2_b32 v25, 60, v0 bitop3:0x40
	v_add_min_u32_e64 v49, v24, 32, v5
	v_min_u32_e32 v50, v5, v25
	s_delay_alu instid0(VALU_DEP_2) | instskip(NEXT) | instid1(VALU_DEP_2)
	v_sub_nc_u32_e32 v25, v49, v24
	v_min_u32_e32 v52, v50, v27
	s_delay_alu instid0(VALU_DEP_2) | instskip(NEXT) | instid1(VALU_DEP_1)
	v_sub_nc_u32_e64 v51, v50, v25 clamp
	v_cmpx_lt_u32_e64 v51, v52
	s_cbranch_execz .LBB195_120
; %bb.117:
	v_mov_b32_e32 v27, 0
	s_mov_b32 s5, 0
	s_delay_alu instid0(VALU_DEP_1) | instskip(SKIP_1) | instid1(VALU_DEP_2)
	v_mov_b32_e32 v25, v27
	v_add_nc_u64_e32 v[28:29], v[12:13], v[26:27]
	v_add_nc_u64_e32 v[30:31], v[12:13], v[24:25]
.LBB195_118:                            ; =>This Inner Loop Header: Depth=1
	v_add_nc_u32_e32 v25, v52, v51
	s_delay_alu instid0(VALU_DEP_1) | instskip(NEXT) | instid1(VALU_DEP_1)
	v_lshrrev_b32_e32 v25, 1, v25
	v_not_b32_e32 v27, v25
	v_dual_add_nc_u32 v29, v28, v25 :: v_dual_add_nc_u32 v31, 1, v25
	s_delay_alu instid0(VALU_DEP_2) | instskip(SKIP_4) | instid1(VALU_DEP_1)
	v_add3_u32 v27, v50, v27, v30
	ds_load_u8 v29, v29
	ds_load_u8 v27, v27
	s_wait_dscnt 0x0
	v_cmp_gt_u16_e64 s3, v29, v27
	v_dual_cndmask_b32 v52, v52, v25, s3 :: v_dual_cndmask_b32 v51, v31, v51, s3
	s_delay_alu instid0(VALU_DEP_1) | instskip(SKIP_1) | instid1(SALU_CYCLE_1)
	v_cmp_ge_u32_e64 s3, v51, v52
	s_or_b32 s5, s3, s5
	s_and_not1_b32 exec_lo, exec_lo, s5
	s_cbranch_execnz .LBB195_118
; %bb.119:
	s_or_b32 exec_lo, exec_lo, s5
.LBB195_120:
	s_delay_alu instid0(SALU_CYCLE_1) | instskip(SKIP_1) | instid1(VALU_DEP_1)
	s_or_b32 exec_lo, exec_lo, s4
	v_add_nc_u32_e32 v25, v24, v50
	v_dual_add_nc_u32 v28, v51, v26 :: v_dual_sub_nc_u32 v27, v25, v51
	s_delay_alu instid0(VALU_DEP_1) | instskip(NEXT) | instid1(VALU_DEP_2)
	v_cmp_le_u32_e64 s3, v28, v24
	v_cmp_le_u32_e64 s4, v27, v49
	s_or_b32 s3, s3, s4
	s_delay_alu instid0(SALU_CYCLE_1)
	s_and_saveexec_b32 s9, s3
	s_cbranch_execz .LBB195_126
; %bb.121:
	v_cmp_lt_u32_e64 s3, v28, v24
                                        ; implicit-def: $vgpr25
	s_and_saveexec_b32 s4, s3
; %bb.122:
	v_add_nc_u32_e32 v14, v12, v28
	ds_load_u8 v25, v14
; %bb.123:
	s_or_b32 exec_lo, exec_lo, s4
	v_cmp_ge_u32_e64 s4, v27, v49
	s_mov_b32 s6, exec_lo
                                        ; implicit-def: $vgpr26
	v_cmpx_lt_u32_e64 v27, v49
; %bb.124:
	v_add_nc_u32_e32 v14, v12, v27
	ds_load_u8 v26, v14
; %bb.125:
	s_or_b32 exec_lo, exec_lo, s6
	s_wait_dscnt 0x0
	v_and_b32_e32 v14, 0xff, v26
	v_and_b32_e32 v15, 0xff, v25
	s_delay_alu instid0(VALU_DEP_1) | instskip(SKIP_1) | instid1(SALU_CYCLE_1)
	v_cmp_le_u16_e64 s5, v15, v14
	s_and_b32 s3, s3, s5
	s_or_b32 s3, s4, s3
	s_delay_alu instid0(SALU_CYCLE_1) | instskip(SKIP_1) | instid1(VALU_DEP_2)
	v_cndmask_b32_e64 v14, v27, v28, s3
	v_dual_cndmask_b32 v15, v49, v24, s3 :: v_dual_cndmask_b32 v32, v26, v25, s3
	v_add_nc_u32_e32 v16, 1, v14
	s_delay_alu instid0(VALU_DEP_1) | instskip(NEXT) | instid1(VALU_DEP_1)
	v_add_min_u32_e64 v15, v15, -1, v16
	v_add_nc_u32_e32 v15, v12, v15
	v_lshl_add_u32 v14, v14, 3, v10
	ds_load_u8 v15, v15
	s_wait_dscnt 0x0
	v_dual_cndmask_b32 v29, v15, v26, s3 :: v_dual_cndmask_b32 v30, v25, v15, s3
	v_cndmask_b32_e64 v15, v28, v16, s3
	v_cndmask_b32_e64 v16, v16, v27, s3
	s_delay_alu instid0(VALU_DEP_3) | instskip(NEXT) | instid1(VALU_DEP_4)
	v_and_b32_e32 v17, 0xff, v29
	v_and_b32_e32 v18, 0xff, v30
	s_delay_alu instid0(VALU_DEP_4) | instskip(NEXT) | instid1(VALU_DEP_4)
	v_cmp_lt_u32_e64 s4, v15, v24
	v_cmp_ge_u32_e64 s6, v16, v49
	s_delay_alu instid0(VALU_DEP_3) | instskip(SKIP_1) | instid1(SALU_CYCLE_1)
	v_cmp_le_u16_e64 s5, v18, v17
	s_and_b32 s4, s4, s5
	s_or_b32 s4, s6, s4
	s_delay_alu instid0(SALU_CYCLE_1) | instskip(NEXT) | instid1(VALU_DEP_1)
	v_dual_cndmask_b32 v18, v49, v24, s4 :: v_dual_cndmask_b32 v17, v16, v15, s4
	v_add_nc_u32_e32 v19, 1, v17
	s_delay_alu instid0(VALU_DEP_1) | instskip(SKIP_1) | instid1(VALU_DEP_2)
	v_add_min_u32_e64 v18, v18, -1, v19
	v_cndmask_b32_e64 v15, v15, v19, s4
	v_dual_cndmask_b32 v16, v19, v16, s4 :: v_dual_add_nc_u32 v18, v12, v18
	s_delay_alu instid0(VALU_DEP_2) | instskip(NEXT) | instid1(VALU_DEP_2)
	v_cmp_lt_u32_e64 s5, v15, v24
	v_cmp_ge_u32_e64 s7, v16, v49
	ds_load_u8 v18, v18
	s_wait_dscnt 0x0
	v_cndmask_b32_e64 v27, v18, v29, s4
	v_cndmask_b32_e64 v28, v30, v18, s4
	s_delay_alu instid0(VALU_DEP_2) | instskip(NEXT) | instid1(VALU_DEP_2)
	v_and_b32_e32 v18, 0xff, v27
	v_and_b32_e32 v20, 0xff, v28
	s_delay_alu instid0(VALU_DEP_1) | instskip(SKIP_1) | instid1(SALU_CYCLE_1)
	v_cmp_le_u16_e64 s6, v20, v18
	s_and_b32 s5, s5, s6
	s_or_b32 s5, s7, s5
	s_delay_alu instid0(SALU_CYCLE_1) | instskip(SKIP_1) | instid1(VALU_DEP_1)
	v_dual_cndmask_b32 v33, v29, v30, s4 :: v_dual_cndmask_b32 v34, v27, v28, s5
	v_dual_cndmask_b32 v18, v16, v15, s5 :: v_dual_cndmask_b32 v19, v49, v24, s5
	v_add_nc_u32_e32 v20, 1, v18
	v_lshl_add_u32 v18, v18, 3, v10
	s_delay_alu instid0(VALU_DEP_2) | instskip(NEXT) | instid1(VALU_DEP_1)
	v_add_min_u32_e64 v19, v19, -1, v20
	v_dual_add_nc_u32 v19, v12, v19 :: v_dual_cndmask_b32 v15, v15, v20, s5
	v_cndmask_b32_e64 v16, v20, v16, s5
	ds_load_u8 v19, v19
	v_cmp_lt_u32_e64 s6, v15, v24
	v_cmp_ge_u32_e64 s8, v16, v49
	s_wait_dscnt 0x0
	v_cndmask_b32_e64 v31, v19, v27, s5
	v_cndmask_b32_e64 v35, v28, v19, s5
	s_delay_alu instid0(VALU_DEP_2) | instskip(NEXT) | instid1(VALU_DEP_2)
	v_and_b32_e32 v19, 0xff, v31
	v_and_b32_e32 v21, 0xff, v35
	s_delay_alu instid0(VALU_DEP_1) | instskip(SKIP_1) | instid1(SALU_CYCLE_1)
	v_cmp_le_u16_e64 s7, v21, v19
	s_and_b32 s6, s6, s7
	s_or_b32 s6, s8, s6
	s_delay_alu instid0(SALU_CYCLE_1) | instskip(SKIP_2) | instid1(VALU_DEP_3)
	v_cndmask_b32_e64 v15, v16, v15, s6
	v_lshl_add_u32 v16, v17, 3, v10
	v_cndmask_b32_e64 v35, v31, v35, s6
	v_lshl_add_u32 v19, v15, 3, v10
	ds_load_b64 v[14:15], v14 offset:1024
	ds_load_b64 v[16:17], v16 offset:1024
	;; [unrolled: 1-line block ×4, first 2 shown]
.LBB195_126:
	s_or_b32 exec_lo, exec_lo, s9
	v_min_u32_e32 v24, 64, v5
	v_min_u32_e32 v27, v5, v0
	s_mov_b32 s4, exec_lo
	; wave barrier
	s_delay_alu instid0(VALU_DEP_2) | instskip(NEXT) | instid1(VALU_DEP_2)
	v_add_min_u32_e64 v26, v24, 64, v5
	v_min_u32_e32 v28, v27, v24
	ds_store_b8 v22, v32
	s_wait_dscnt 0x4
	ds_store_b64 v37, v[14:15]
	ds_store_b8 v48, v33
	s_wait_dscnt 0x5
	ds_store_b64 v36, v[16:17]
	;; [unrolled: 3-line block ×4, first 2 shown]
	v_sub_nc_u32_e32 v5, v26, v24
	; wave barrier
	s_delay_alu instid0(VALU_DEP_1) | instskip(NEXT) | instid1(VALU_DEP_1)
	v_sub_nc_u32_e64 v5, v27, v5 clamp
	v_cmpx_lt_u32_e64 v5, v28
	s_cbranch_execz .LBB195_130
; %bb.127:
	v_mov_b32_e32 v25, 0
	s_mov_b32 s5, 0
	s_delay_alu instid0(VALU_DEP_1)
	v_add_nc_u64_e32 v[22:23], v[12:13], v[24:25]
.LBB195_128:                            ; =>This Inner Loop Header: Depth=1
	v_add_nc_u32_e32 v11, v28, v5
	s_delay_alu instid0(VALU_DEP_1) | instskip(NEXT) | instid1(VALU_DEP_1)
	v_lshrrev_b32_e32 v11, 1, v11
	v_not_b32_e32 v13, v11
	v_dual_add_nc_u32 v23, v12, v11 :: v_dual_add_nc_u32 v25, 1, v11
	s_delay_alu instid0(VALU_DEP_2) | instskip(SKIP_4) | instid1(VALU_DEP_1)
	v_add3_u32 v13, v27, v13, v22
	ds_load_u8 v23, v23
	ds_load_u8 v13, v13
	s_wait_dscnt 0x0
	v_cmp_gt_u16_e64 s3, v23, v13
	v_dual_cndmask_b32 v28, v28, v11, s3 :: v_dual_cndmask_b32 v5, v25, v5, s3
	s_delay_alu instid0(VALU_DEP_1) | instskip(SKIP_1) | instid1(SALU_CYCLE_1)
	v_cmp_ge_u32_e64 s3, v5, v28
	s_or_b32 s5, s3, s5
	s_and_not1_b32 exec_lo, exec_lo, s5
	s_cbranch_execnz .LBB195_128
; %bb.129:
	s_or_b32 exec_lo, exec_lo, s5
.LBB195_130:
	s_delay_alu instid0(SALU_CYCLE_1) | instskip(SKIP_2) | instid1(VALU_DEP_2)
	s_or_b32 exec_lo, exec_lo, s4
	v_add_nc_u32_e32 v11, v24, v27
	v_cmp_le_u32_e64 s3, v5, v24
	v_sub_nc_u32_e32 v22, v11, v5
	s_delay_alu instid0(VALU_DEP_1) | instskip(SKIP_1) | instid1(SALU_CYCLE_1)
	v_cmp_le_u32_e64 s4, v22, v26
	s_or_b32 s3, s3, s4
	s_and_saveexec_b32 s9, s3
	s_cbranch_execz .LBB195_136
; %bb.131:
	v_cmp_lt_u32_e64 s3, v5, v24
                                        ; implicit-def: $vgpr11
	s_and_saveexec_b32 s4, s3
; %bb.132:
	v_add_nc_u32_e32 v11, v12, v5
	ds_load_u8 v11, v11
; %bb.133:
	s_or_b32 exec_lo, exec_lo, s4
	v_cmp_ge_u32_e64 s4, v22, v26
	s_mov_b32 s6, exec_lo
                                        ; implicit-def: $vgpr13
	v_cmpx_lt_u32_e64 v22, v26
; %bb.134:
	v_add_nc_u32_e32 v13, v12, v22
	ds_load_u8 v13, v13
; %bb.135:
	s_or_b32 exec_lo, exec_lo, s6
	s_wait_dscnt 0x0
	v_and_b32_e32 v14, 0xff, v13
	v_and_b32_e32 v15, 0xff, v11
	s_delay_alu instid0(VALU_DEP_1) | instskip(SKIP_1) | instid1(SALU_CYCLE_1)
	v_cmp_le_u16_e64 s5, v15, v14
	s_and_b32 s3, s3, s5
	s_or_b32 s3, s4, s3
	s_delay_alu instid0(SALU_CYCLE_1) | instskip(SKIP_1) | instid1(VALU_DEP_2)
	v_cndmask_b32_e64 v14, v22, v5, s3
	v_dual_cndmask_b32 v15, v26, v24, s3 :: v_dual_cndmask_b32 v32, v13, v11, s3
	v_add_nc_u32_e32 v16, 1, v14
	s_delay_alu instid0(VALU_DEP_1) | instskip(SKIP_1) | instid1(VALU_DEP_2)
	v_add_min_u32_e64 v15, v15, -1, v16
	v_dual_cndmask_b32 v5, v5, v16, s3 :: v_dual_cndmask_b32 v16, v16, v22, s3
	v_add_nc_u32_e32 v15, v12, v15
	s_delay_alu instid0(VALU_DEP_2) | instskip(NEXT) | instid1(VALU_DEP_3)
	v_cmp_lt_u32_e64 s4, v5, v24
	v_cmp_ge_u32_e64 s6, v16, v26
	v_lshl_add_u32 v14, v14, 3, v10
	ds_load_u8 v15, v15
	s_wait_dscnt 0x0
	v_cndmask_b32_e64 v23, v15, v13, s3
	v_cndmask_b32_e64 v25, v11, v15, s3
	s_delay_alu instid0(VALU_DEP_2) | instskip(NEXT) | instid1(VALU_DEP_2)
	v_and_b32_e32 v15, 0xff, v23
	v_and_b32_e32 v17, 0xff, v25
	s_delay_alu instid0(VALU_DEP_1) | instskip(SKIP_1) | instid1(SALU_CYCLE_1)
	v_cmp_le_u16_e64 s5, v17, v15
	s_and_b32 s4, s4, s5
	s_or_b32 s4, s6, s4
	s_delay_alu instid0(SALU_CYCLE_1) | instskip(NEXT) | instid1(VALU_DEP_1)
	v_dual_cndmask_b32 v15, v16, v5, s4 :: v_dual_cndmask_b32 v17, v26, v24, s4
	v_add_nc_u32_e32 v18, 1, v15
	s_delay_alu instid0(VALU_DEP_1) | instskip(NEXT) | instid1(VALU_DEP_1)
	v_add_min_u32_e64 v17, v17, -1, v18
	v_dual_add_nc_u32 v17, v12, v17 :: v_dual_cndmask_b32 v5, v5, v18, s4
	v_cndmask_b32_e64 v16, v18, v16, s4
	ds_load_u8 v17, v17
	v_cmp_lt_u32_e64 s5, v5, v24
	v_cmp_ge_u32_e64 s7, v16, v26
	s_wait_dscnt 0x0
	v_cndmask_b32_e64 v22, v17, v23, s4
	v_cndmask_b32_e64 v27, v25, v17, s4
	s_delay_alu instid0(VALU_DEP_2) | instskip(NEXT) | instid1(VALU_DEP_2)
	v_and_b32_e32 v17, 0xff, v22
	v_and_b32_e32 v19, 0xff, v27
	s_delay_alu instid0(VALU_DEP_1) | instskip(SKIP_1) | instid1(SALU_CYCLE_1)
	v_cmp_le_u16_e64 s6, v19, v17
	s_and_b32 s5, s5, s6
	s_or_b32 s5, s7, s5
	s_delay_alu instid0(SALU_CYCLE_1) | instskip(SKIP_1) | instid1(VALU_DEP_2)
	v_dual_cndmask_b32 v18, v26, v24, s5 :: v_dual_cndmask_b32 v17, v16, v5, s5
	v_dual_cndmask_b32 v33, v23, v25, s4 :: v_dual_cndmask_b32 v34, v22, v27, s5
	v_add_nc_u32_e32 v19, 1, v17
	s_delay_alu instid0(VALU_DEP_1) | instskip(SKIP_1) | instid1(VALU_DEP_2)
	v_add_min_u32_e64 v18, v18, -1, v19
	v_dual_cndmask_b32 v5, v5, v19, s5 :: v_dual_cndmask_b32 v16, v19, v16, s5
	v_add_nc_u32_e32 v12, v12, v18
	s_delay_alu instid0(VALU_DEP_2) | instskip(NEXT) | instid1(VALU_DEP_3)
	v_cmp_lt_u32_e64 s6, v5, v24
	v_cmp_ge_u32_e64 s8, v16, v26
	ds_load_u8 v12, v12
	s_wait_dscnt 0x0
	v_dual_cndmask_b32 v28, v12, v22, s5 :: v_dual_cndmask_b32 v12, v27, v12, s5
	s_delay_alu instid0(VALU_DEP_1) | instskip(NEXT) | instid1(VALU_DEP_2)
	v_and_b32_e32 v18, 0xff, v28
	v_and_b32_e32 v20, 0xff, v12
	s_delay_alu instid0(VALU_DEP_1) | instskip(SKIP_2) | instid1(SALU_CYCLE_1)
	v_cmp_le_u16_e64 s7, v20, v18
	v_lshl_add_u32 v18, v17, 3, v10
	s_and_b32 s6, s6, s7
	s_or_b32 s6, s8, s6
	s_delay_alu instid0(SALU_CYCLE_1) | instskip(SKIP_2) | instid1(VALU_DEP_3)
	v_cndmask_b32_e64 v5, v16, v5, s6
	v_lshl_add_u32 v16, v15, 3, v10
	v_cndmask_b32_e64 v35, v28, v12, s6
	v_lshl_add_u32 v5, v5, 3, v10
	ds_load_b64 v[14:15], v14 offset:1024
	ds_load_b64 v[16:17], v16 offset:1024
	;; [unrolled: 1-line block ×4, first 2 shown]
.LBB195_136:
	s_or_b32 exec_lo, exec_lo, s9
	; wave barrier
	s_wait_storecnt_dscnt 0x0
	s_barrier_signal -1
	s_barrier_wait -1
.LBB195_137:
	s_or_b32 exec_lo, exec_lo, s10
	v_add_nc_u64_e32 v[2:3], v[2:3], v[8:9]
	s_wait_storecnt 0x0
	; wave barrier
	s_wait_loadcnt_dscnt 0x0
	s_delay_alu instid0(VALU_DEP_1)
	v_add_nc_u64_e32 v[0:1], v[2:3], v[0:1]
	s_and_saveexec_b32 s3, vcc_lo
	s_cbranch_execnz .LBB195_150
; %bb.138:
	s_or_b32 exec_lo, exec_lo, s3
	s_and_saveexec_b32 s3, s0
	s_cbranch_execnz .LBB195_151
.LBB195_139:
	s_or_b32 exec_lo, exec_lo, s3
	s_and_saveexec_b32 s3, s1
	s_cbranch_execnz .LBB195_152
.LBB195_140:
	s_or_b32 exec_lo, exec_lo, s3
	s_and_saveexec_b32 s3, s2
	s_cbranch_execz .LBB195_142
.LBB195_141:
	flat_store_b8 v[0:1], v35 offset:3
.LBB195_142:
	s_wait_xcnt 0x0
	s_or_b32 exec_lo, exec_lo, s3
	v_lshl_add_u64 v[0:1], v[8:9], 3, v[6:7]
	v_mov_b32_e32 v5, 0
	; wave barrier
	s_delay_alu instid0(VALU_DEP_1)
	v_add_nc_u64_e32 v[0:1], v[0:1], v[4:5]
	s_and_saveexec_b32 s3, vcc_lo
	s_cbranch_execnz .LBB195_153
; %bb.143:
	s_or_b32 exec_lo, exec_lo, s3
	s_and_saveexec_b32 s3, s0
	s_cbranch_execnz .LBB195_154
.LBB195_144:
	s_or_b32 exec_lo, exec_lo, s3
	s_and_saveexec_b32 s0, s1
	s_cbranch_execnz .LBB195_155
.LBB195_145:
	s_or_b32 exec_lo, exec_lo, s0
	s_and_saveexec_b32 s0, s2
	s_cbranch_execnz .LBB195_156
.LBB195_146:
	s_or_b32 exec_lo, exec_lo, s0
	s_wait_dscnt 0x0
	s_set_pc_i64 s[30:31]
.LBB195_147:
	flat_load_b64 v[14:15], v[22:23]
	s_wait_xcnt 0x0
	s_or_b32 exec_lo, exec_lo, s3
                                        ; implicit-def: $vgpr16_vgpr17
	s_and_saveexec_b32 s3, s0
	s_cbranch_execz .LBB195_10
.LBB195_148:
	flat_load_b64 v[16:17], v[22:23] offset:8
	s_wait_xcnt 0x0
	s_or_b32 exec_lo, exec_lo, s3
                                        ; implicit-def: $vgpr20_vgpr21
	s_and_saveexec_b32 s3, s1
	s_cbranch_execz .LBB195_11
.LBB195_149:
	flat_load_b64 v[20:21], v[22:23] offset:16
	s_wait_xcnt 0x0
	s_or_b32 exec_lo, exec_lo, s3
                                        ; implicit-def: $vgpr18_vgpr19
	s_and_saveexec_b32 s3, s2
	s_cbranch_execnz .LBB195_12
	s_branch .LBB195_13
.LBB195_150:
	flat_store_b8 v[0:1], v32
	s_wait_xcnt 0x0
	s_or_b32 exec_lo, exec_lo, s3
	s_and_saveexec_b32 s3, s0
	s_cbranch_execz .LBB195_139
.LBB195_151:
	flat_store_b8 v[0:1], v33 offset:1
	s_wait_xcnt 0x0
	s_or_b32 exec_lo, exec_lo, s3
	s_and_saveexec_b32 s3, s1
	s_cbranch_execz .LBB195_140
.LBB195_152:
	flat_store_b8 v[0:1], v34 offset:2
	s_wait_xcnt 0x0
	s_or_b32 exec_lo, exec_lo, s3
	s_and_saveexec_b32 s3, s2
	s_cbranch_execnz .LBB195_141
	s_branch .LBB195_142
.LBB195_153:
	flat_store_b64 v[0:1], v[14:15]
	s_wait_xcnt 0x0
	s_or_b32 exec_lo, exec_lo, s3
	s_and_saveexec_b32 s3, s0
	s_cbranch_execz .LBB195_144
.LBB195_154:
	flat_store_b64 v[0:1], v[16:17] offset:8
	s_wait_xcnt 0x0
	s_or_b32 exec_lo, exec_lo, s3
	s_and_saveexec_b32 s0, s1
	s_cbranch_execz .LBB195_145
.LBB195_155:
	flat_store_b64 v[0:1], v[20:21] offset:16
	s_wait_xcnt 0x0
	s_or_b32 exec_lo, exec_lo, s0
	s_and_saveexec_b32 s0, s2
	s_cbranch_execz .LBB195_146
.LBB195_156:
	flat_store_b64 v[0:1], v[18:19] offset:24
	s_wait_xcnt 0x0
	s_or_b32 exec_lo, exec_lo, s0
	s_wait_dscnt 0x0
	s_set_pc_i64 s[30:31]
.Lfunc_end195:
	.size	_ZN7rocprim17ROCPRIM_400000_NS6detail26segmented_warp_sort_helperINS1_20WarpSortHelperConfigILj32ELj4ELj256EEEhlLi256ELb0EvE4sortIPKhPhPKlPlEEvT_T0_T1_T2_jjjjRNS5_12storage_typeE, .Lfunc_end195-_ZN7rocprim17ROCPRIM_400000_NS6detail26segmented_warp_sort_helperINS1_20WarpSortHelperConfigILj32ELj4ELj256EEEhlLi256ELb0EvE4sortIPKhPhPKlPlEEvT_T0_T1_T2_jjjjRNS5_12storage_typeE
                                        ; -- End function
	.set .L_ZN7rocprim17ROCPRIM_400000_NS6detail26segmented_warp_sort_helperINS1_20WarpSortHelperConfigILj32ELj4ELj256EEEhlLi256ELb0EvE4sortIPKhPhPKlPlEEvT_T0_T1_T2_jjjjRNS5_12storage_typeE.num_vgpr, 54
	.set .L_ZN7rocprim17ROCPRIM_400000_NS6detail26segmented_warp_sort_helperINS1_20WarpSortHelperConfigILj32ELj4ELj256EEEhlLi256ELb0EvE4sortIPKhPhPKlPlEEvT_T0_T1_T2_jjjjRNS5_12storage_typeE.num_agpr, 0
	.set .L_ZN7rocprim17ROCPRIM_400000_NS6detail26segmented_warp_sort_helperINS1_20WarpSortHelperConfigILj32ELj4ELj256EEEhlLi256ELb0EvE4sortIPKhPhPKlPlEEvT_T0_T1_T2_jjjjRNS5_12storage_typeE.numbered_sgpr, 32
	.set .L_ZN7rocprim17ROCPRIM_400000_NS6detail26segmented_warp_sort_helperINS1_20WarpSortHelperConfigILj32ELj4ELj256EEEhlLi256ELb0EvE4sortIPKhPhPKlPlEEvT_T0_T1_T2_jjjjRNS5_12storage_typeE.num_named_barrier, 0
	.set .L_ZN7rocprim17ROCPRIM_400000_NS6detail26segmented_warp_sort_helperINS1_20WarpSortHelperConfigILj32ELj4ELj256EEEhlLi256ELb0EvE4sortIPKhPhPKlPlEEvT_T0_T1_T2_jjjjRNS5_12storage_typeE.private_seg_size, 0
	.set .L_ZN7rocprim17ROCPRIM_400000_NS6detail26segmented_warp_sort_helperINS1_20WarpSortHelperConfigILj32ELj4ELj256EEEhlLi256ELb0EvE4sortIPKhPhPKlPlEEvT_T0_T1_T2_jjjjRNS5_12storage_typeE.uses_vcc, 1
	.set .L_ZN7rocprim17ROCPRIM_400000_NS6detail26segmented_warp_sort_helperINS1_20WarpSortHelperConfigILj32ELj4ELj256EEEhlLi256ELb0EvE4sortIPKhPhPKlPlEEvT_T0_T1_T2_jjjjRNS5_12storage_typeE.uses_flat_scratch, 0
	.set .L_ZN7rocprim17ROCPRIM_400000_NS6detail26segmented_warp_sort_helperINS1_20WarpSortHelperConfigILj32ELj4ELj256EEEhlLi256ELb0EvE4sortIPKhPhPKlPlEEvT_T0_T1_T2_jjjjRNS5_12storage_typeE.has_dyn_sized_stack, 0
	.set .L_ZN7rocprim17ROCPRIM_400000_NS6detail26segmented_warp_sort_helperINS1_20WarpSortHelperConfigILj32ELj4ELj256EEEhlLi256ELb0EvE4sortIPKhPhPKlPlEEvT_T0_T1_T2_jjjjRNS5_12storage_typeE.has_recursion, 0
	.set .L_ZN7rocprim17ROCPRIM_400000_NS6detail26segmented_warp_sort_helperINS1_20WarpSortHelperConfigILj32ELj4ELj256EEEhlLi256ELb0EvE4sortIPKhPhPKlPlEEvT_T0_T1_T2_jjjjRNS5_12storage_typeE.has_indirect_call, 0
	.section	.AMDGPU.csdata,"",@progbits
; Function info:
; codeLenInByte = 12612
; TotalNumSgprs: 34
; NumVgprs: 54
; ScratchSize: 0
; MemoryBound: 0
	.section	.text._ZN7rocprim17ROCPRIM_400000_NS6detail17trampoline_kernelINS0_14default_configENS1_36segmented_radix_sort_config_selectorIhlEEZNS1_25segmented_radix_sort_implIS3_Lb0EPKhPhPKlPlN2at6native12_GLOBAL__N_18offset_tEEE10hipError_tPvRmT1_PNSt15iterator_traitsISK_E10value_typeET2_T3_PNSL_ISQ_E10value_typeET4_jRbjT5_SW_jjP12ihipStream_tbEUlT_E0_NS1_11comp_targetILNS1_3genE0ELNS1_11target_archE4294967295ELNS1_3gpuE0ELNS1_3repE0EEENS1_60segmented_radix_sort_warp_sort_medium_config_static_selectorELNS0_4arch9wavefront6targetE0EEEvSK_,"axG",@progbits,_ZN7rocprim17ROCPRIM_400000_NS6detail17trampoline_kernelINS0_14default_configENS1_36segmented_radix_sort_config_selectorIhlEEZNS1_25segmented_radix_sort_implIS3_Lb0EPKhPhPKlPlN2at6native12_GLOBAL__N_18offset_tEEE10hipError_tPvRmT1_PNSt15iterator_traitsISK_E10value_typeET2_T3_PNSL_ISQ_E10value_typeET4_jRbjT5_SW_jjP12ihipStream_tbEUlT_E0_NS1_11comp_targetILNS1_3genE0ELNS1_11target_archE4294967295ELNS1_3gpuE0ELNS1_3repE0EEENS1_60segmented_radix_sort_warp_sort_medium_config_static_selectorELNS0_4arch9wavefront6targetE0EEEvSK_,comdat
	.globl	_ZN7rocprim17ROCPRIM_400000_NS6detail17trampoline_kernelINS0_14default_configENS1_36segmented_radix_sort_config_selectorIhlEEZNS1_25segmented_radix_sort_implIS3_Lb0EPKhPhPKlPlN2at6native12_GLOBAL__N_18offset_tEEE10hipError_tPvRmT1_PNSt15iterator_traitsISK_E10value_typeET2_T3_PNSL_ISQ_E10value_typeET4_jRbjT5_SW_jjP12ihipStream_tbEUlT_E0_NS1_11comp_targetILNS1_3genE0ELNS1_11target_archE4294967295ELNS1_3gpuE0ELNS1_3repE0EEENS1_60segmented_radix_sort_warp_sort_medium_config_static_selectorELNS0_4arch9wavefront6targetE0EEEvSK_ ; -- Begin function _ZN7rocprim17ROCPRIM_400000_NS6detail17trampoline_kernelINS0_14default_configENS1_36segmented_radix_sort_config_selectorIhlEEZNS1_25segmented_radix_sort_implIS3_Lb0EPKhPhPKlPlN2at6native12_GLOBAL__N_18offset_tEEE10hipError_tPvRmT1_PNSt15iterator_traitsISK_E10value_typeET2_T3_PNSL_ISQ_E10value_typeET4_jRbjT5_SW_jjP12ihipStream_tbEUlT_E0_NS1_11comp_targetILNS1_3genE0ELNS1_11target_archE4294967295ELNS1_3gpuE0ELNS1_3repE0EEENS1_60segmented_radix_sort_warp_sort_medium_config_static_selectorELNS0_4arch9wavefront6targetE0EEEvSK_
	.p2align	8
	.type	_ZN7rocprim17ROCPRIM_400000_NS6detail17trampoline_kernelINS0_14default_configENS1_36segmented_radix_sort_config_selectorIhlEEZNS1_25segmented_radix_sort_implIS3_Lb0EPKhPhPKlPlN2at6native12_GLOBAL__N_18offset_tEEE10hipError_tPvRmT1_PNSt15iterator_traitsISK_E10value_typeET2_T3_PNSL_ISQ_E10value_typeET4_jRbjT5_SW_jjP12ihipStream_tbEUlT_E0_NS1_11comp_targetILNS1_3genE0ELNS1_11target_archE4294967295ELNS1_3gpuE0ELNS1_3repE0EEENS1_60segmented_radix_sort_warp_sort_medium_config_static_selectorELNS0_4arch9wavefront6targetE0EEEvSK_,@function
_ZN7rocprim17ROCPRIM_400000_NS6detail17trampoline_kernelINS0_14default_configENS1_36segmented_radix_sort_config_selectorIhlEEZNS1_25segmented_radix_sort_implIS3_Lb0EPKhPhPKlPlN2at6native12_GLOBAL__N_18offset_tEEE10hipError_tPvRmT1_PNSt15iterator_traitsISK_E10value_typeET2_T3_PNSL_ISQ_E10value_typeET4_jRbjT5_SW_jjP12ihipStream_tbEUlT_E0_NS1_11comp_targetILNS1_3genE0ELNS1_11target_archE4294967295ELNS1_3gpuE0ELNS1_3repE0EEENS1_60segmented_radix_sort_warp_sort_medium_config_static_selectorELNS0_4arch9wavefront6targetE0EEEvSK_: ; @_ZN7rocprim17ROCPRIM_400000_NS6detail17trampoline_kernelINS0_14default_configENS1_36segmented_radix_sort_config_selectorIhlEEZNS1_25segmented_radix_sort_implIS3_Lb0EPKhPhPKlPlN2at6native12_GLOBAL__N_18offset_tEEE10hipError_tPvRmT1_PNSt15iterator_traitsISK_E10value_typeET2_T3_PNSL_ISQ_E10value_typeET4_jRbjT5_SW_jjP12ihipStream_tbEUlT_E0_NS1_11comp_targetILNS1_3genE0ELNS1_11target_archE4294967295ELNS1_3gpuE0ELNS1_3repE0EEENS1_60segmented_radix_sort_warp_sort_medium_config_static_selectorELNS0_4arch9wavefront6targetE0EEEvSK_
; %bb.0:
	s_load_b32 s4, s[2:3], 0x64
	v_bfe_u32 v1, v0, 10, 10
	v_bfe_u32 v2, v0, 20, 10
	v_and_b32_e32 v3, 0x3ff, v0
	s_and_b32 s6, ttmp6, 15
	s_getreg_b32 s7, hwreg(HW_REG_IB_STS2, 6, 4)
	s_mov_b32 s32, 0
	s_wait_kmcnt 0x0
	s_lshr_b32 s5, s4, 16
	s_and_b32 s4, s4, 0xffff
	v_mad_u32_u24 v1, v2, s5, v1
	s_bfe_u32 s5, ttmp6, 0x4000c
	s_delay_alu instid0(SALU_CYCLE_1) | instskip(NEXT) | instid1(SALU_CYCLE_1)
	s_add_co_i32 s5, s5, 1
	s_mul_i32 s5, ttmp9, s5
	s_delay_alu instid0(VALU_DEP_1) | instskip(SKIP_4) | instid1(VALU_DEP_1)
	v_mad_u32 v1, v1, s4, v3
	s_load_b32 s4, s[2:3], 0x34
	s_add_co_i32 s6, s6, s5
	s_cmp_eq_u32 s7, 0
	s_cselect_b32 s5, ttmp9, s6
	v_lshrrev_b32_e32 v1, 5, v1
	s_delay_alu instid0(VALU_DEP_1) | instskip(SKIP_1) | instid1(VALU_DEP_1)
	v_lshl_add_u32 v1, s5, 3, v1
	s_wait_kmcnt 0x0
	v_cmp_gt_u32_e32 vcc_lo, s4, v1
	s_and_saveexec_b32 s4, vcc_lo
	s_cbranch_execz .LBB196_6
; %bb.1:
	s_clause 0x1
	s_load_b64 s[8:9], s[2:3], 0x38
	s_load_b128 s[4:7], s[2:3], 0x40
	s_wait_kmcnt 0x0
	global_load_b32 v1, v1, s[8:9] scale_offset
	s_wait_loadcnt 0x0
	v_dual_add_nc_u32 v2, s5, v1 :: v_dual_add_nc_u32 v1, s7, v1
	s_delay_alu instid0(VALU_DEP_1) | instskip(NEXT) | instid1(VALU_DEP_2)
	v_mul_lo_u32 v8, v2, s4
	v_mul_lo_u32 v40, v1, s6
	s_delay_alu instid0(VALU_DEP_1)
	v_cmp_gt_u32_e32 vcc_lo, v40, v8
	s_and_b32 exec_lo, exec_lo, vcc_lo
	s_cbranch_execz .LBB196_6
; %bb.2:
	s_clause 0x3
	s_load_b32 s4, s[2:3], 0x30
	s_load_b128 s[36:39], s[2:3], 0x20
	s_load_b256 s[20:27], s[2:3], 0x0
	s_load_b64 s[18:19], s[2:3], 0x50
	s_add_nc_u64 s[16:17], s[2:3], 0x58
	s_get_pc_i64 s[28:29]
	s_add_nc_u64 s[28:29], s[28:29], _ZN7rocprim17ROCPRIM_400000_NS6detail26segmented_warp_sort_helperINS1_20WarpSortHelperConfigILj32ELj4ELj256EEEhlLi256ELb0EvE4sortIPKhPhPKlPlEEvT_T0_T1_T2_jjjjRNS5_12storage_typeE@rel64+4
	s_wait_kmcnt 0x0
	s_bitcmp0_b32 s4, 0
	s_mov_b32 s4, -1
	s_cbranch_scc0 .LBB196_4
; %bb.3:
	s_mov_b64 s[2:3], src_shared_base
	v_dual_mov_b32 v31, v0 :: v_dual_mov_b32 v41, v0
	v_dual_mov_b32 v0, s20 :: v_dual_mov_b32 v1, s21
	;; [unrolled: 1-line block ×7, first 2 shown]
	v_mov_b32_e32 v13, s3
	s_mov_b64 s[6:7], s[0:1]
	s_mov_b64 s[8:9], s[16:17]
	;; [unrolled: 1-line block ×3, first 2 shown]
	s_swap_pc_i64 s[30:31], s[28:29]
	v_mov_b32_e32 v0, v41
	s_mov_b64 s[0:1], s[22:23]
	s_mov_b32 s4, 0
.LBB196_4:
	s_delay_alu instid0(SALU_CYCLE_1)
	s_and_not1_b32 vcc_lo, exec_lo, s4
	s_cbranch_vccnz .LBB196_6
; %bb.5:
	s_mov_b64 s[2:3], src_shared_base
	v_dual_mov_b32 v31, v0 :: v_dual_mov_b32 v0, s20
	v_dual_mov_b32 v1, s21 :: v_dual_mov_b32 v2, s24
	;; [unrolled: 1-line block ×7, first 2 shown]
	s_mov_b64 s[6:7], s[0:1]
	s_mov_b64 s[8:9], s[16:17]
	s_swap_pc_i64 s[30:31], s[28:29]
.LBB196_6:
	s_endpgm
	.section	.rodata,"a",@progbits
	.p2align	6, 0x0
	.amdhsa_kernel _ZN7rocprim17ROCPRIM_400000_NS6detail17trampoline_kernelINS0_14default_configENS1_36segmented_radix_sort_config_selectorIhlEEZNS1_25segmented_radix_sort_implIS3_Lb0EPKhPhPKlPlN2at6native12_GLOBAL__N_18offset_tEEE10hipError_tPvRmT1_PNSt15iterator_traitsISK_E10value_typeET2_T3_PNSL_ISQ_E10value_typeET4_jRbjT5_SW_jjP12ihipStream_tbEUlT_E0_NS1_11comp_targetILNS1_3genE0ELNS1_11target_archE4294967295ELNS1_3gpuE0ELNS1_3repE0EEENS1_60segmented_radix_sort_warp_sort_medium_config_static_selectorELNS0_4arch9wavefront6targetE0EEEvSK_
		.amdhsa_group_segment_fixed_size 9216
		.amdhsa_private_segment_fixed_size 0
		.amdhsa_kernarg_size 344
		.amdhsa_user_sgpr_count 4
		.amdhsa_user_sgpr_dispatch_ptr 0
		.amdhsa_user_sgpr_queue_ptr 1
		.amdhsa_user_sgpr_kernarg_segment_ptr 1
		.amdhsa_user_sgpr_dispatch_id 0
		.amdhsa_user_sgpr_kernarg_preload_length 0
		.amdhsa_user_sgpr_kernarg_preload_offset 0
		.amdhsa_user_sgpr_private_segment_size 0
		.amdhsa_wavefront_size32 1
		.amdhsa_uses_dynamic_stack 0
		.amdhsa_enable_private_segment 0
		.amdhsa_system_sgpr_workgroup_id_x 1
		.amdhsa_system_sgpr_workgroup_id_y 1
		.amdhsa_system_sgpr_workgroup_id_z 0
		.amdhsa_system_sgpr_workgroup_info 0
		.amdhsa_system_vgpr_workitem_id 2
		.amdhsa_next_free_vgpr 54
		.amdhsa_next_free_sgpr 40
		.amdhsa_named_barrier_count 0
		.amdhsa_reserve_vcc 1
		.amdhsa_float_round_mode_32 0
		.amdhsa_float_round_mode_16_64 0
		.amdhsa_float_denorm_mode_32 3
		.amdhsa_float_denorm_mode_16_64 3
		.amdhsa_fp16_overflow 0
		.amdhsa_memory_ordered 1
		.amdhsa_forward_progress 1
		.amdhsa_inst_pref_size 4
		.amdhsa_round_robin_scheduling 0
		.amdhsa_exception_fp_ieee_invalid_op 0
		.amdhsa_exception_fp_denorm_src 0
		.amdhsa_exception_fp_ieee_div_zero 0
		.amdhsa_exception_fp_ieee_overflow 0
		.amdhsa_exception_fp_ieee_underflow 0
		.amdhsa_exception_fp_ieee_inexact 0
		.amdhsa_exception_int_div_zero 0
	.end_amdhsa_kernel
	.section	.text._ZN7rocprim17ROCPRIM_400000_NS6detail17trampoline_kernelINS0_14default_configENS1_36segmented_radix_sort_config_selectorIhlEEZNS1_25segmented_radix_sort_implIS3_Lb0EPKhPhPKlPlN2at6native12_GLOBAL__N_18offset_tEEE10hipError_tPvRmT1_PNSt15iterator_traitsISK_E10value_typeET2_T3_PNSL_ISQ_E10value_typeET4_jRbjT5_SW_jjP12ihipStream_tbEUlT_E0_NS1_11comp_targetILNS1_3genE0ELNS1_11target_archE4294967295ELNS1_3gpuE0ELNS1_3repE0EEENS1_60segmented_radix_sort_warp_sort_medium_config_static_selectorELNS0_4arch9wavefront6targetE0EEEvSK_,"axG",@progbits,_ZN7rocprim17ROCPRIM_400000_NS6detail17trampoline_kernelINS0_14default_configENS1_36segmented_radix_sort_config_selectorIhlEEZNS1_25segmented_radix_sort_implIS3_Lb0EPKhPhPKlPlN2at6native12_GLOBAL__N_18offset_tEEE10hipError_tPvRmT1_PNSt15iterator_traitsISK_E10value_typeET2_T3_PNSL_ISQ_E10value_typeET4_jRbjT5_SW_jjP12ihipStream_tbEUlT_E0_NS1_11comp_targetILNS1_3genE0ELNS1_11target_archE4294967295ELNS1_3gpuE0ELNS1_3repE0EEENS1_60segmented_radix_sort_warp_sort_medium_config_static_selectorELNS0_4arch9wavefront6targetE0EEEvSK_,comdat
.Lfunc_end196:
	.size	_ZN7rocprim17ROCPRIM_400000_NS6detail17trampoline_kernelINS0_14default_configENS1_36segmented_radix_sort_config_selectorIhlEEZNS1_25segmented_radix_sort_implIS3_Lb0EPKhPhPKlPlN2at6native12_GLOBAL__N_18offset_tEEE10hipError_tPvRmT1_PNSt15iterator_traitsISK_E10value_typeET2_T3_PNSL_ISQ_E10value_typeET4_jRbjT5_SW_jjP12ihipStream_tbEUlT_E0_NS1_11comp_targetILNS1_3genE0ELNS1_11target_archE4294967295ELNS1_3gpuE0ELNS1_3repE0EEENS1_60segmented_radix_sort_warp_sort_medium_config_static_selectorELNS0_4arch9wavefront6targetE0EEEvSK_, .Lfunc_end196-_ZN7rocprim17ROCPRIM_400000_NS6detail17trampoline_kernelINS0_14default_configENS1_36segmented_radix_sort_config_selectorIhlEEZNS1_25segmented_radix_sort_implIS3_Lb0EPKhPhPKlPlN2at6native12_GLOBAL__N_18offset_tEEE10hipError_tPvRmT1_PNSt15iterator_traitsISK_E10value_typeET2_T3_PNSL_ISQ_E10value_typeET4_jRbjT5_SW_jjP12ihipStream_tbEUlT_E0_NS1_11comp_targetILNS1_3genE0ELNS1_11target_archE4294967295ELNS1_3gpuE0ELNS1_3repE0EEENS1_60segmented_radix_sort_warp_sort_medium_config_static_selectorELNS0_4arch9wavefront6targetE0EEEvSK_
                                        ; -- End function
	.set _ZN7rocprim17ROCPRIM_400000_NS6detail17trampoline_kernelINS0_14default_configENS1_36segmented_radix_sort_config_selectorIhlEEZNS1_25segmented_radix_sort_implIS3_Lb0EPKhPhPKlPlN2at6native12_GLOBAL__N_18offset_tEEE10hipError_tPvRmT1_PNSt15iterator_traitsISK_E10value_typeET2_T3_PNSL_ISQ_E10value_typeET4_jRbjT5_SW_jjP12ihipStream_tbEUlT_E0_NS1_11comp_targetILNS1_3genE0ELNS1_11target_archE4294967295ELNS1_3gpuE0ELNS1_3repE0EEENS1_60segmented_radix_sort_warp_sort_medium_config_static_selectorELNS0_4arch9wavefront6targetE0EEEvSK_.num_vgpr, max(42, .L_ZN7rocprim17ROCPRIM_400000_NS6detail26segmented_warp_sort_helperINS1_20WarpSortHelperConfigILj32ELj4ELj256EEEhlLi256ELb0EvE4sortIPKhPhPKlPlEEvT_T0_T1_T2_jjjjRNS5_12storage_typeE.num_vgpr)
	.set _ZN7rocprim17ROCPRIM_400000_NS6detail17trampoline_kernelINS0_14default_configENS1_36segmented_radix_sort_config_selectorIhlEEZNS1_25segmented_radix_sort_implIS3_Lb0EPKhPhPKlPlN2at6native12_GLOBAL__N_18offset_tEEE10hipError_tPvRmT1_PNSt15iterator_traitsISK_E10value_typeET2_T3_PNSL_ISQ_E10value_typeET4_jRbjT5_SW_jjP12ihipStream_tbEUlT_E0_NS1_11comp_targetILNS1_3genE0ELNS1_11target_archE4294967295ELNS1_3gpuE0ELNS1_3repE0EEENS1_60segmented_radix_sort_warp_sort_medium_config_static_selectorELNS0_4arch9wavefront6targetE0EEEvSK_.num_agpr, max(0, .L_ZN7rocprim17ROCPRIM_400000_NS6detail26segmented_warp_sort_helperINS1_20WarpSortHelperConfigILj32ELj4ELj256EEEhlLi256ELb0EvE4sortIPKhPhPKlPlEEvT_T0_T1_T2_jjjjRNS5_12storage_typeE.num_agpr)
	.set _ZN7rocprim17ROCPRIM_400000_NS6detail17trampoline_kernelINS0_14default_configENS1_36segmented_radix_sort_config_selectorIhlEEZNS1_25segmented_radix_sort_implIS3_Lb0EPKhPhPKlPlN2at6native12_GLOBAL__N_18offset_tEEE10hipError_tPvRmT1_PNSt15iterator_traitsISK_E10value_typeET2_T3_PNSL_ISQ_E10value_typeET4_jRbjT5_SW_jjP12ihipStream_tbEUlT_E0_NS1_11comp_targetILNS1_3genE0ELNS1_11target_archE4294967295ELNS1_3gpuE0ELNS1_3repE0EEENS1_60segmented_radix_sort_warp_sort_medium_config_static_selectorELNS0_4arch9wavefront6targetE0EEEvSK_.numbered_sgpr, max(40, .L_ZN7rocprim17ROCPRIM_400000_NS6detail26segmented_warp_sort_helperINS1_20WarpSortHelperConfigILj32ELj4ELj256EEEhlLi256ELb0EvE4sortIPKhPhPKlPlEEvT_T0_T1_T2_jjjjRNS5_12storage_typeE.numbered_sgpr)
	.set _ZN7rocprim17ROCPRIM_400000_NS6detail17trampoline_kernelINS0_14default_configENS1_36segmented_radix_sort_config_selectorIhlEEZNS1_25segmented_radix_sort_implIS3_Lb0EPKhPhPKlPlN2at6native12_GLOBAL__N_18offset_tEEE10hipError_tPvRmT1_PNSt15iterator_traitsISK_E10value_typeET2_T3_PNSL_ISQ_E10value_typeET4_jRbjT5_SW_jjP12ihipStream_tbEUlT_E0_NS1_11comp_targetILNS1_3genE0ELNS1_11target_archE4294967295ELNS1_3gpuE0ELNS1_3repE0EEENS1_60segmented_radix_sort_warp_sort_medium_config_static_selectorELNS0_4arch9wavefront6targetE0EEEvSK_.num_named_barrier, max(0, .L_ZN7rocprim17ROCPRIM_400000_NS6detail26segmented_warp_sort_helperINS1_20WarpSortHelperConfigILj32ELj4ELj256EEEhlLi256ELb0EvE4sortIPKhPhPKlPlEEvT_T0_T1_T2_jjjjRNS5_12storage_typeE.num_named_barrier)
	.set _ZN7rocprim17ROCPRIM_400000_NS6detail17trampoline_kernelINS0_14default_configENS1_36segmented_radix_sort_config_selectorIhlEEZNS1_25segmented_radix_sort_implIS3_Lb0EPKhPhPKlPlN2at6native12_GLOBAL__N_18offset_tEEE10hipError_tPvRmT1_PNSt15iterator_traitsISK_E10value_typeET2_T3_PNSL_ISQ_E10value_typeET4_jRbjT5_SW_jjP12ihipStream_tbEUlT_E0_NS1_11comp_targetILNS1_3genE0ELNS1_11target_archE4294967295ELNS1_3gpuE0ELNS1_3repE0EEENS1_60segmented_radix_sort_warp_sort_medium_config_static_selectorELNS0_4arch9wavefront6targetE0EEEvSK_.private_seg_size, 0+max(.L_ZN7rocprim17ROCPRIM_400000_NS6detail26segmented_warp_sort_helperINS1_20WarpSortHelperConfigILj32ELj4ELj256EEEhlLi256ELb0EvE4sortIPKhPhPKlPlEEvT_T0_T1_T2_jjjjRNS5_12storage_typeE.private_seg_size)
	.set _ZN7rocprim17ROCPRIM_400000_NS6detail17trampoline_kernelINS0_14default_configENS1_36segmented_radix_sort_config_selectorIhlEEZNS1_25segmented_radix_sort_implIS3_Lb0EPKhPhPKlPlN2at6native12_GLOBAL__N_18offset_tEEE10hipError_tPvRmT1_PNSt15iterator_traitsISK_E10value_typeET2_T3_PNSL_ISQ_E10value_typeET4_jRbjT5_SW_jjP12ihipStream_tbEUlT_E0_NS1_11comp_targetILNS1_3genE0ELNS1_11target_archE4294967295ELNS1_3gpuE0ELNS1_3repE0EEENS1_60segmented_radix_sort_warp_sort_medium_config_static_selectorELNS0_4arch9wavefront6targetE0EEEvSK_.uses_vcc, or(1, .L_ZN7rocprim17ROCPRIM_400000_NS6detail26segmented_warp_sort_helperINS1_20WarpSortHelperConfigILj32ELj4ELj256EEEhlLi256ELb0EvE4sortIPKhPhPKlPlEEvT_T0_T1_T2_jjjjRNS5_12storage_typeE.uses_vcc)
	.set _ZN7rocprim17ROCPRIM_400000_NS6detail17trampoline_kernelINS0_14default_configENS1_36segmented_radix_sort_config_selectorIhlEEZNS1_25segmented_radix_sort_implIS3_Lb0EPKhPhPKlPlN2at6native12_GLOBAL__N_18offset_tEEE10hipError_tPvRmT1_PNSt15iterator_traitsISK_E10value_typeET2_T3_PNSL_ISQ_E10value_typeET4_jRbjT5_SW_jjP12ihipStream_tbEUlT_E0_NS1_11comp_targetILNS1_3genE0ELNS1_11target_archE4294967295ELNS1_3gpuE0ELNS1_3repE0EEENS1_60segmented_radix_sort_warp_sort_medium_config_static_selectorELNS0_4arch9wavefront6targetE0EEEvSK_.uses_flat_scratch, or(0, .L_ZN7rocprim17ROCPRIM_400000_NS6detail26segmented_warp_sort_helperINS1_20WarpSortHelperConfigILj32ELj4ELj256EEEhlLi256ELb0EvE4sortIPKhPhPKlPlEEvT_T0_T1_T2_jjjjRNS5_12storage_typeE.uses_flat_scratch)
	.set _ZN7rocprim17ROCPRIM_400000_NS6detail17trampoline_kernelINS0_14default_configENS1_36segmented_radix_sort_config_selectorIhlEEZNS1_25segmented_radix_sort_implIS3_Lb0EPKhPhPKlPlN2at6native12_GLOBAL__N_18offset_tEEE10hipError_tPvRmT1_PNSt15iterator_traitsISK_E10value_typeET2_T3_PNSL_ISQ_E10value_typeET4_jRbjT5_SW_jjP12ihipStream_tbEUlT_E0_NS1_11comp_targetILNS1_3genE0ELNS1_11target_archE4294967295ELNS1_3gpuE0ELNS1_3repE0EEENS1_60segmented_radix_sort_warp_sort_medium_config_static_selectorELNS0_4arch9wavefront6targetE0EEEvSK_.has_dyn_sized_stack, or(0, .L_ZN7rocprim17ROCPRIM_400000_NS6detail26segmented_warp_sort_helperINS1_20WarpSortHelperConfigILj32ELj4ELj256EEEhlLi256ELb0EvE4sortIPKhPhPKlPlEEvT_T0_T1_T2_jjjjRNS5_12storage_typeE.has_dyn_sized_stack)
	.set _ZN7rocprim17ROCPRIM_400000_NS6detail17trampoline_kernelINS0_14default_configENS1_36segmented_radix_sort_config_selectorIhlEEZNS1_25segmented_radix_sort_implIS3_Lb0EPKhPhPKlPlN2at6native12_GLOBAL__N_18offset_tEEE10hipError_tPvRmT1_PNSt15iterator_traitsISK_E10value_typeET2_T3_PNSL_ISQ_E10value_typeET4_jRbjT5_SW_jjP12ihipStream_tbEUlT_E0_NS1_11comp_targetILNS1_3genE0ELNS1_11target_archE4294967295ELNS1_3gpuE0ELNS1_3repE0EEENS1_60segmented_radix_sort_warp_sort_medium_config_static_selectorELNS0_4arch9wavefront6targetE0EEEvSK_.has_recursion, or(0, .L_ZN7rocprim17ROCPRIM_400000_NS6detail26segmented_warp_sort_helperINS1_20WarpSortHelperConfigILj32ELj4ELj256EEEhlLi256ELb0EvE4sortIPKhPhPKlPlEEvT_T0_T1_T2_jjjjRNS5_12storage_typeE.has_recursion)
	.set _ZN7rocprim17ROCPRIM_400000_NS6detail17trampoline_kernelINS0_14default_configENS1_36segmented_radix_sort_config_selectorIhlEEZNS1_25segmented_radix_sort_implIS3_Lb0EPKhPhPKlPlN2at6native12_GLOBAL__N_18offset_tEEE10hipError_tPvRmT1_PNSt15iterator_traitsISK_E10value_typeET2_T3_PNSL_ISQ_E10value_typeET4_jRbjT5_SW_jjP12ihipStream_tbEUlT_E0_NS1_11comp_targetILNS1_3genE0ELNS1_11target_archE4294967295ELNS1_3gpuE0ELNS1_3repE0EEENS1_60segmented_radix_sort_warp_sort_medium_config_static_selectorELNS0_4arch9wavefront6targetE0EEEvSK_.has_indirect_call, or(0, .L_ZN7rocprim17ROCPRIM_400000_NS6detail26segmented_warp_sort_helperINS1_20WarpSortHelperConfigILj32ELj4ELj256EEEhlLi256ELb0EvE4sortIPKhPhPKlPlEEvT_T0_T1_T2_jjjjRNS5_12storage_typeE.has_indirect_call)
	.section	.AMDGPU.csdata,"",@progbits
; Kernel info:
; codeLenInByte = 504
; TotalNumSgprs: 42
; NumVgprs: 54
; ScratchSize: 0
; MemoryBound: 0
; FloatMode: 240
; IeeeMode: 1
; LDSByteSize: 9216 bytes/workgroup (compile time only)
; SGPRBlocks: 0
; VGPRBlocks: 3
; NumSGPRsForWavesPerEU: 42
; NumVGPRsForWavesPerEU: 54
; NamedBarCnt: 0
; Occupancy: 16
; WaveLimiterHint : 0
; COMPUTE_PGM_RSRC2:SCRATCH_EN: 0
; COMPUTE_PGM_RSRC2:USER_SGPR: 4
; COMPUTE_PGM_RSRC2:TRAP_HANDLER: 0
; COMPUTE_PGM_RSRC2:TGID_X_EN: 1
; COMPUTE_PGM_RSRC2:TGID_Y_EN: 1
; COMPUTE_PGM_RSRC2:TGID_Z_EN: 0
; COMPUTE_PGM_RSRC2:TIDIG_COMP_CNT: 2
	.section	.text._ZN7rocprim17ROCPRIM_400000_NS6detail17trampoline_kernelINS0_14default_configENS1_36segmented_radix_sort_config_selectorIhlEEZNS1_25segmented_radix_sort_implIS3_Lb0EPKhPhPKlPlN2at6native12_GLOBAL__N_18offset_tEEE10hipError_tPvRmT1_PNSt15iterator_traitsISK_E10value_typeET2_T3_PNSL_ISQ_E10value_typeET4_jRbjT5_SW_jjP12ihipStream_tbEUlT_E0_NS1_11comp_targetILNS1_3genE5ELNS1_11target_archE942ELNS1_3gpuE9ELNS1_3repE0EEENS1_60segmented_radix_sort_warp_sort_medium_config_static_selectorELNS0_4arch9wavefront6targetE0EEEvSK_,"axG",@progbits,_ZN7rocprim17ROCPRIM_400000_NS6detail17trampoline_kernelINS0_14default_configENS1_36segmented_radix_sort_config_selectorIhlEEZNS1_25segmented_radix_sort_implIS3_Lb0EPKhPhPKlPlN2at6native12_GLOBAL__N_18offset_tEEE10hipError_tPvRmT1_PNSt15iterator_traitsISK_E10value_typeET2_T3_PNSL_ISQ_E10value_typeET4_jRbjT5_SW_jjP12ihipStream_tbEUlT_E0_NS1_11comp_targetILNS1_3genE5ELNS1_11target_archE942ELNS1_3gpuE9ELNS1_3repE0EEENS1_60segmented_radix_sort_warp_sort_medium_config_static_selectorELNS0_4arch9wavefront6targetE0EEEvSK_,comdat
	.globl	_ZN7rocprim17ROCPRIM_400000_NS6detail17trampoline_kernelINS0_14default_configENS1_36segmented_radix_sort_config_selectorIhlEEZNS1_25segmented_radix_sort_implIS3_Lb0EPKhPhPKlPlN2at6native12_GLOBAL__N_18offset_tEEE10hipError_tPvRmT1_PNSt15iterator_traitsISK_E10value_typeET2_T3_PNSL_ISQ_E10value_typeET4_jRbjT5_SW_jjP12ihipStream_tbEUlT_E0_NS1_11comp_targetILNS1_3genE5ELNS1_11target_archE942ELNS1_3gpuE9ELNS1_3repE0EEENS1_60segmented_radix_sort_warp_sort_medium_config_static_selectorELNS0_4arch9wavefront6targetE0EEEvSK_ ; -- Begin function _ZN7rocprim17ROCPRIM_400000_NS6detail17trampoline_kernelINS0_14default_configENS1_36segmented_radix_sort_config_selectorIhlEEZNS1_25segmented_radix_sort_implIS3_Lb0EPKhPhPKlPlN2at6native12_GLOBAL__N_18offset_tEEE10hipError_tPvRmT1_PNSt15iterator_traitsISK_E10value_typeET2_T3_PNSL_ISQ_E10value_typeET4_jRbjT5_SW_jjP12ihipStream_tbEUlT_E0_NS1_11comp_targetILNS1_3genE5ELNS1_11target_archE942ELNS1_3gpuE9ELNS1_3repE0EEENS1_60segmented_radix_sort_warp_sort_medium_config_static_selectorELNS0_4arch9wavefront6targetE0EEEvSK_
	.p2align	8
	.type	_ZN7rocprim17ROCPRIM_400000_NS6detail17trampoline_kernelINS0_14default_configENS1_36segmented_radix_sort_config_selectorIhlEEZNS1_25segmented_radix_sort_implIS3_Lb0EPKhPhPKlPlN2at6native12_GLOBAL__N_18offset_tEEE10hipError_tPvRmT1_PNSt15iterator_traitsISK_E10value_typeET2_T3_PNSL_ISQ_E10value_typeET4_jRbjT5_SW_jjP12ihipStream_tbEUlT_E0_NS1_11comp_targetILNS1_3genE5ELNS1_11target_archE942ELNS1_3gpuE9ELNS1_3repE0EEENS1_60segmented_radix_sort_warp_sort_medium_config_static_selectorELNS0_4arch9wavefront6targetE0EEEvSK_,@function
_ZN7rocprim17ROCPRIM_400000_NS6detail17trampoline_kernelINS0_14default_configENS1_36segmented_radix_sort_config_selectorIhlEEZNS1_25segmented_radix_sort_implIS3_Lb0EPKhPhPKlPlN2at6native12_GLOBAL__N_18offset_tEEE10hipError_tPvRmT1_PNSt15iterator_traitsISK_E10value_typeET2_T3_PNSL_ISQ_E10value_typeET4_jRbjT5_SW_jjP12ihipStream_tbEUlT_E0_NS1_11comp_targetILNS1_3genE5ELNS1_11target_archE942ELNS1_3gpuE9ELNS1_3repE0EEENS1_60segmented_radix_sort_warp_sort_medium_config_static_selectorELNS0_4arch9wavefront6targetE0EEEvSK_: ; @_ZN7rocprim17ROCPRIM_400000_NS6detail17trampoline_kernelINS0_14default_configENS1_36segmented_radix_sort_config_selectorIhlEEZNS1_25segmented_radix_sort_implIS3_Lb0EPKhPhPKlPlN2at6native12_GLOBAL__N_18offset_tEEE10hipError_tPvRmT1_PNSt15iterator_traitsISK_E10value_typeET2_T3_PNSL_ISQ_E10value_typeET4_jRbjT5_SW_jjP12ihipStream_tbEUlT_E0_NS1_11comp_targetILNS1_3genE5ELNS1_11target_archE942ELNS1_3gpuE9ELNS1_3repE0EEENS1_60segmented_radix_sort_warp_sort_medium_config_static_selectorELNS0_4arch9wavefront6targetE0EEEvSK_
; %bb.0:
	.section	.rodata,"a",@progbits
	.p2align	6, 0x0
	.amdhsa_kernel _ZN7rocprim17ROCPRIM_400000_NS6detail17trampoline_kernelINS0_14default_configENS1_36segmented_radix_sort_config_selectorIhlEEZNS1_25segmented_radix_sort_implIS3_Lb0EPKhPhPKlPlN2at6native12_GLOBAL__N_18offset_tEEE10hipError_tPvRmT1_PNSt15iterator_traitsISK_E10value_typeET2_T3_PNSL_ISQ_E10value_typeET4_jRbjT5_SW_jjP12ihipStream_tbEUlT_E0_NS1_11comp_targetILNS1_3genE5ELNS1_11target_archE942ELNS1_3gpuE9ELNS1_3repE0EEENS1_60segmented_radix_sort_warp_sort_medium_config_static_selectorELNS0_4arch9wavefront6targetE0EEEvSK_
		.amdhsa_group_segment_fixed_size 0
		.amdhsa_private_segment_fixed_size 0
		.amdhsa_kernarg_size 88
		.amdhsa_user_sgpr_count 2
		.amdhsa_user_sgpr_dispatch_ptr 0
		.amdhsa_user_sgpr_queue_ptr 0
		.amdhsa_user_sgpr_kernarg_segment_ptr 1
		.amdhsa_user_sgpr_dispatch_id 0
		.amdhsa_user_sgpr_kernarg_preload_length 0
		.amdhsa_user_sgpr_kernarg_preload_offset 0
		.amdhsa_user_sgpr_private_segment_size 0
		.amdhsa_wavefront_size32 1
		.amdhsa_uses_dynamic_stack 0
		.amdhsa_enable_private_segment 0
		.amdhsa_system_sgpr_workgroup_id_x 1
		.amdhsa_system_sgpr_workgroup_id_y 0
		.amdhsa_system_sgpr_workgroup_id_z 0
		.amdhsa_system_sgpr_workgroup_info 0
		.amdhsa_system_vgpr_workitem_id 0
		.amdhsa_next_free_vgpr 1
		.amdhsa_next_free_sgpr 1
		.amdhsa_named_barrier_count 0
		.amdhsa_reserve_vcc 0
		.amdhsa_float_round_mode_32 0
		.amdhsa_float_round_mode_16_64 0
		.amdhsa_float_denorm_mode_32 3
		.amdhsa_float_denorm_mode_16_64 3
		.amdhsa_fp16_overflow 0
		.amdhsa_memory_ordered 1
		.amdhsa_forward_progress 1
		.amdhsa_inst_pref_size 0
		.amdhsa_round_robin_scheduling 0
		.amdhsa_exception_fp_ieee_invalid_op 0
		.amdhsa_exception_fp_denorm_src 0
		.amdhsa_exception_fp_ieee_div_zero 0
		.amdhsa_exception_fp_ieee_overflow 0
		.amdhsa_exception_fp_ieee_underflow 0
		.amdhsa_exception_fp_ieee_inexact 0
		.amdhsa_exception_int_div_zero 0
	.end_amdhsa_kernel
	.section	.text._ZN7rocprim17ROCPRIM_400000_NS6detail17trampoline_kernelINS0_14default_configENS1_36segmented_radix_sort_config_selectorIhlEEZNS1_25segmented_radix_sort_implIS3_Lb0EPKhPhPKlPlN2at6native12_GLOBAL__N_18offset_tEEE10hipError_tPvRmT1_PNSt15iterator_traitsISK_E10value_typeET2_T3_PNSL_ISQ_E10value_typeET4_jRbjT5_SW_jjP12ihipStream_tbEUlT_E0_NS1_11comp_targetILNS1_3genE5ELNS1_11target_archE942ELNS1_3gpuE9ELNS1_3repE0EEENS1_60segmented_radix_sort_warp_sort_medium_config_static_selectorELNS0_4arch9wavefront6targetE0EEEvSK_,"axG",@progbits,_ZN7rocprim17ROCPRIM_400000_NS6detail17trampoline_kernelINS0_14default_configENS1_36segmented_radix_sort_config_selectorIhlEEZNS1_25segmented_radix_sort_implIS3_Lb0EPKhPhPKlPlN2at6native12_GLOBAL__N_18offset_tEEE10hipError_tPvRmT1_PNSt15iterator_traitsISK_E10value_typeET2_T3_PNSL_ISQ_E10value_typeET4_jRbjT5_SW_jjP12ihipStream_tbEUlT_E0_NS1_11comp_targetILNS1_3genE5ELNS1_11target_archE942ELNS1_3gpuE9ELNS1_3repE0EEENS1_60segmented_radix_sort_warp_sort_medium_config_static_selectorELNS0_4arch9wavefront6targetE0EEEvSK_,comdat
.Lfunc_end197:
	.size	_ZN7rocprim17ROCPRIM_400000_NS6detail17trampoline_kernelINS0_14default_configENS1_36segmented_radix_sort_config_selectorIhlEEZNS1_25segmented_radix_sort_implIS3_Lb0EPKhPhPKlPlN2at6native12_GLOBAL__N_18offset_tEEE10hipError_tPvRmT1_PNSt15iterator_traitsISK_E10value_typeET2_T3_PNSL_ISQ_E10value_typeET4_jRbjT5_SW_jjP12ihipStream_tbEUlT_E0_NS1_11comp_targetILNS1_3genE5ELNS1_11target_archE942ELNS1_3gpuE9ELNS1_3repE0EEENS1_60segmented_radix_sort_warp_sort_medium_config_static_selectorELNS0_4arch9wavefront6targetE0EEEvSK_, .Lfunc_end197-_ZN7rocprim17ROCPRIM_400000_NS6detail17trampoline_kernelINS0_14default_configENS1_36segmented_radix_sort_config_selectorIhlEEZNS1_25segmented_radix_sort_implIS3_Lb0EPKhPhPKlPlN2at6native12_GLOBAL__N_18offset_tEEE10hipError_tPvRmT1_PNSt15iterator_traitsISK_E10value_typeET2_T3_PNSL_ISQ_E10value_typeET4_jRbjT5_SW_jjP12ihipStream_tbEUlT_E0_NS1_11comp_targetILNS1_3genE5ELNS1_11target_archE942ELNS1_3gpuE9ELNS1_3repE0EEENS1_60segmented_radix_sort_warp_sort_medium_config_static_selectorELNS0_4arch9wavefront6targetE0EEEvSK_
                                        ; -- End function
	.set _ZN7rocprim17ROCPRIM_400000_NS6detail17trampoline_kernelINS0_14default_configENS1_36segmented_radix_sort_config_selectorIhlEEZNS1_25segmented_radix_sort_implIS3_Lb0EPKhPhPKlPlN2at6native12_GLOBAL__N_18offset_tEEE10hipError_tPvRmT1_PNSt15iterator_traitsISK_E10value_typeET2_T3_PNSL_ISQ_E10value_typeET4_jRbjT5_SW_jjP12ihipStream_tbEUlT_E0_NS1_11comp_targetILNS1_3genE5ELNS1_11target_archE942ELNS1_3gpuE9ELNS1_3repE0EEENS1_60segmented_radix_sort_warp_sort_medium_config_static_selectorELNS0_4arch9wavefront6targetE0EEEvSK_.num_vgpr, 0
	.set _ZN7rocprim17ROCPRIM_400000_NS6detail17trampoline_kernelINS0_14default_configENS1_36segmented_radix_sort_config_selectorIhlEEZNS1_25segmented_radix_sort_implIS3_Lb0EPKhPhPKlPlN2at6native12_GLOBAL__N_18offset_tEEE10hipError_tPvRmT1_PNSt15iterator_traitsISK_E10value_typeET2_T3_PNSL_ISQ_E10value_typeET4_jRbjT5_SW_jjP12ihipStream_tbEUlT_E0_NS1_11comp_targetILNS1_3genE5ELNS1_11target_archE942ELNS1_3gpuE9ELNS1_3repE0EEENS1_60segmented_radix_sort_warp_sort_medium_config_static_selectorELNS0_4arch9wavefront6targetE0EEEvSK_.num_agpr, 0
	.set _ZN7rocprim17ROCPRIM_400000_NS6detail17trampoline_kernelINS0_14default_configENS1_36segmented_radix_sort_config_selectorIhlEEZNS1_25segmented_radix_sort_implIS3_Lb0EPKhPhPKlPlN2at6native12_GLOBAL__N_18offset_tEEE10hipError_tPvRmT1_PNSt15iterator_traitsISK_E10value_typeET2_T3_PNSL_ISQ_E10value_typeET4_jRbjT5_SW_jjP12ihipStream_tbEUlT_E0_NS1_11comp_targetILNS1_3genE5ELNS1_11target_archE942ELNS1_3gpuE9ELNS1_3repE0EEENS1_60segmented_radix_sort_warp_sort_medium_config_static_selectorELNS0_4arch9wavefront6targetE0EEEvSK_.numbered_sgpr, 0
	.set _ZN7rocprim17ROCPRIM_400000_NS6detail17trampoline_kernelINS0_14default_configENS1_36segmented_radix_sort_config_selectorIhlEEZNS1_25segmented_radix_sort_implIS3_Lb0EPKhPhPKlPlN2at6native12_GLOBAL__N_18offset_tEEE10hipError_tPvRmT1_PNSt15iterator_traitsISK_E10value_typeET2_T3_PNSL_ISQ_E10value_typeET4_jRbjT5_SW_jjP12ihipStream_tbEUlT_E0_NS1_11comp_targetILNS1_3genE5ELNS1_11target_archE942ELNS1_3gpuE9ELNS1_3repE0EEENS1_60segmented_radix_sort_warp_sort_medium_config_static_selectorELNS0_4arch9wavefront6targetE0EEEvSK_.num_named_barrier, 0
	.set _ZN7rocprim17ROCPRIM_400000_NS6detail17trampoline_kernelINS0_14default_configENS1_36segmented_radix_sort_config_selectorIhlEEZNS1_25segmented_radix_sort_implIS3_Lb0EPKhPhPKlPlN2at6native12_GLOBAL__N_18offset_tEEE10hipError_tPvRmT1_PNSt15iterator_traitsISK_E10value_typeET2_T3_PNSL_ISQ_E10value_typeET4_jRbjT5_SW_jjP12ihipStream_tbEUlT_E0_NS1_11comp_targetILNS1_3genE5ELNS1_11target_archE942ELNS1_3gpuE9ELNS1_3repE0EEENS1_60segmented_radix_sort_warp_sort_medium_config_static_selectorELNS0_4arch9wavefront6targetE0EEEvSK_.private_seg_size, 0
	.set _ZN7rocprim17ROCPRIM_400000_NS6detail17trampoline_kernelINS0_14default_configENS1_36segmented_radix_sort_config_selectorIhlEEZNS1_25segmented_radix_sort_implIS3_Lb0EPKhPhPKlPlN2at6native12_GLOBAL__N_18offset_tEEE10hipError_tPvRmT1_PNSt15iterator_traitsISK_E10value_typeET2_T3_PNSL_ISQ_E10value_typeET4_jRbjT5_SW_jjP12ihipStream_tbEUlT_E0_NS1_11comp_targetILNS1_3genE5ELNS1_11target_archE942ELNS1_3gpuE9ELNS1_3repE0EEENS1_60segmented_radix_sort_warp_sort_medium_config_static_selectorELNS0_4arch9wavefront6targetE0EEEvSK_.uses_vcc, 0
	.set _ZN7rocprim17ROCPRIM_400000_NS6detail17trampoline_kernelINS0_14default_configENS1_36segmented_radix_sort_config_selectorIhlEEZNS1_25segmented_radix_sort_implIS3_Lb0EPKhPhPKlPlN2at6native12_GLOBAL__N_18offset_tEEE10hipError_tPvRmT1_PNSt15iterator_traitsISK_E10value_typeET2_T3_PNSL_ISQ_E10value_typeET4_jRbjT5_SW_jjP12ihipStream_tbEUlT_E0_NS1_11comp_targetILNS1_3genE5ELNS1_11target_archE942ELNS1_3gpuE9ELNS1_3repE0EEENS1_60segmented_radix_sort_warp_sort_medium_config_static_selectorELNS0_4arch9wavefront6targetE0EEEvSK_.uses_flat_scratch, 0
	.set _ZN7rocprim17ROCPRIM_400000_NS6detail17trampoline_kernelINS0_14default_configENS1_36segmented_radix_sort_config_selectorIhlEEZNS1_25segmented_radix_sort_implIS3_Lb0EPKhPhPKlPlN2at6native12_GLOBAL__N_18offset_tEEE10hipError_tPvRmT1_PNSt15iterator_traitsISK_E10value_typeET2_T3_PNSL_ISQ_E10value_typeET4_jRbjT5_SW_jjP12ihipStream_tbEUlT_E0_NS1_11comp_targetILNS1_3genE5ELNS1_11target_archE942ELNS1_3gpuE9ELNS1_3repE0EEENS1_60segmented_radix_sort_warp_sort_medium_config_static_selectorELNS0_4arch9wavefront6targetE0EEEvSK_.has_dyn_sized_stack, 0
	.set _ZN7rocprim17ROCPRIM_400000_NS6detail17trampoline_kernelINS0_14default_configENS1_36segmented_radix_sort_config_selectorIhlEEZNS1_25segmented_radix_sort_implIS3_Lb0EPKhPhPKlPlN2at6native12_GLOBAL__N_18offset_tEEE10hipError_tPvRmT1_PNSt15iterator_traitsISK_E10value_typeET2_T3_PNSL_ISQ_E10value_typeET4_jRbjT5_SW_jjP12ihipStream_tbEUlT_E0_NS1_11comp_targetILNS1_3genE5ELNS1_11target_archE942ELNS1_3gpuE9ELNS1_3repE0EEENS1_60segmented_radix_sort_warp_sort_medium_config_static_selectorELNS0_4arch9wavefront6targetE0EEEvSK_.has_recursion, 0
	.set _ZN7rocprim17ROCPRIM_400000_NS6detail17trampoline_kernelINS0_14default_configENS1_36segmented_radix_sort_config_selectorIhlEEZNS1_25segmented_radix_sort_implIS3_Lb0EPKhPhPKlPlN2at6native12_GLOBAL__N_18offset_tEEE10hipError_tPvRmT1_PNSt15iterator_traitsISK_E10value_typeET2_T3_PNSL_ISQ_E10value_typeET4_jRbjT5_SW_jjP12ihipStream_tbEUlT_E0_NS1_11comp_targetILNS1_3genE5ELNS1_11target_archE942ELNS1_3gpuE9ELNS1_3repE0EEENS1_60segmented_radix_sort_warp_sort_medium_config_static_selectorELNS0_4arch9wavefront6targetE0EEEvSK_.has_indirect_call, 0
	.section	.AMDGPU.csdata,"",@progbits
; Kernel info:
; codeLenInByte = 0
; TotalNumSgprs: 0
; NumVgprs: 0
; ScratchSize: 0
; MemoryBound: 0
; FloatMode: 240
; IeeeMode: 1
; LDSByteSize: 0 bytes/workgroup (compile time only)
; SGPRBlocks: 0
; VGPRBlocks: 0
; NumSGPRsForWavesPerEU: 1
; NumVGPRsForWavesPerEU: 1
; NamedBarCnt: 0
; Occupancy: 16
; WaveLimiterHint : 0
; COMPUTE_PGM_RSRC2:SCRATCH_EN: 0
; COMPUTE_PGM_RSRC2:USER_SGPR: 2
; COMPUTE_PGM_RSRC2:TRAP_HANDLER: 0
; COMPUTE_PGM_RSRC2:TGID_X_EN: 1
; COMPUTE_PGM_RSRC2:TGID_Y_EN: 0
; COMPUTE_PGM_RSRC2:TGID_Z_EN: 0
; COMPUTE_PGM_RSRC2:TIDIG_COMP_CNT: 0
	.section	.text._ZN7rocprim17ROCPRIM_400000_NS6detail17trampoline_kernelINS0_14default_configENS1_36segmented_radix_sort_config_selectorIhlEEZNS1_25segmented_radix_sort_implIS3_Lb0EPKhPhPKlPlN2at6native12_GLOBAL__N_18offset_tEEE10hipError_tPvRmT1_PNSt15iterator_traitsISK_E10value_typeET2_T3_PNSL_ISQ_E10value_typeET4_jRbjT5_SW_jjP12ihipStream_tbEUlT_E0_NS1_11comp_targetILNS1_3genE4ELNS1_11target_archE910ELNS1_3gpuE8ELNS1_3repE0EEENS1_60segmented_radix_sort_warp_sort_medium_config_static_selectorELNS0_4arch9wavefront6targetE0EEEvSK_,"axG",@progbits,_ZN7rocprim17ROCPRIM_400000_NS6detail17trampoline_kernelINS0_14default_configENS1_36segmented_radix_sort_config_selectorIhlEEZNS1_25segmented_radix_sort_implIS3_Lb0EPKhPhPKlPlN2at6native12_GLOBAL__N_18offset_tEEE10hipError_tPvRmT1_PNSt15iterator_traitsISK_E10value_typeET2_T3_PNSL_ISQ_E10value_typeET4_jRbjT5_SW_jjP12ihipStream_tbEUlT_E0_NS1_11comp_targetILNS1_3genE4ELNS1_11target_archE910ELNS1_3gpuE8ELNS1_3repE0EEENS1_60segmented_radix_sort_warp_sort_medium_config_static_selectorELNS0_4arch9wavefront6targetE0EEEvSK_,comdat
	.globl	_ZN7rocprim17ROCPRIM_400000_NS6detail17trampoline_kernelINS0_14default_configENS1_36segmented_radix_sort_config_selectorIhlEEZNS1_25segmented_radix_sort_implIS3_Lb0EPKhPhPKlPlN2at6native12_GLOBAL__N_18offset_tEEE10hipError_tPvRmT1_PNSt15iterator_traitsISK_E10value_typeET2_T3_PNSL_ISQ_E10value_typeET4_jRbjT5_SW_jjP12ihipStream_tbEUlT_E0_NS1_11comp_targetILNS1_3genE4ELNS1_11target_archE910ELNS1_3gpuE8ELNS1_3repE0EEENS1_60segmented_radix_sort_warp_sort_medium_config_static_selectorELNS0_4arch9wavefront6targetE0EEEvSK_ ; -- Begin function _ZN7rocprim17ROCPRIM_400000_NS6detail17trampoline_kernelINS0_14default_configENS1_36segmented_radix_sort_config_selectorIhlEEZNS1_25segmented_radix_sort_implIS3_Lb0EPKhPhPKlPlN2at6native12_GLOBAL__N_18offset_tEEE10hipError_tPvRmT1_PNSt15iterator_traitsISK_E10value_typeET2_T3_PNSL_ISQ_E10value_typeET4_jRbjT5_SW_jjP12ihipStream_tbEUlT_E0_NS1_11comp_targetILNS1_3genE4ELNS1_11target_archE910ELNS1_3gpuE8ELNS1_3repE0EEENS1_60segmented_radix_sort_warp_sort_medium_config_static_selectorELNS0_4arch9wavefront6targetE0EEEvSK_
	.p2align	8
	.type	_ZN7rocprim17ROCPRIM_400000_NS6detail17trampoline_kernelINS0_14default_configENS1_36segmented_radix_sort_config_selectorIhlEEZNS1_25segmented_radix_sort_implIS3_Lb0EPKhPhPKlPlN2at6native12_GLOBAL__N_18offset_tEEE10hipError_tPvRmT1_PNSt15iterator_traitsISK_E10value_typeET2_T3_PNSL_ISQ_E10value_typeET4_jRbjT5_SW_jjP12ihipStream_tbEUlT_E0_NS1_11comp_targetILNS1_3genE4ELNS1_11target_archE910ELNS1_3gpuE8ELNS1_3repE0EEENS1_60segmented_radix_sort_warp_sort_medium_config_static_selectorELNS0_4arch9wavefront6targetE0EEEvSK_,@function
_ZN7rocprim17ROCPRIM_400000_NS6detail17trampoline_kernelINS0_14default_configENS1_36segmented_radix_sort_config_selectorIhlEEZNS1_25segmented_radix_sort_implIS3_Lb0EPKhPhPKlPlN2at6native12_GLOBAL__N_18offset_tEEE10hipError_tPvRmT1_PNSt15iterator_traitsISK_E10value_typeET2_T3_PNSL_ISQ_E10value_typeET4_jRbjT5_SW_jjP12ihipStream_tbEUlT_E0_NS1_11comp_targetILNS1_3genE4ELNS1_11target_archE910ELNS1_3gpuE8ELNS1_3repE0EEENS1_60segmented_radix_sort_warp_sort_medium_config_static_selectorELNS0_4arch9wavefront6targetE0EEEvSK_: ; @_ZN7rocprim17ROCPRIM_400000_NS6detail17trampoline_kernelINS0_14default_configENS1_36segmented_radix_sort_config_selectorIhlEEZNS1_25segmented_radix_sort_implIS3_Lb0EPKhPhPKlPlN2at6native12_GLOBAL__N_18offset_tEEE10hipError_tPvRmT1_PNSt15iterator_traitsISK_E10value_typeET2_T3_PNSL_ISQ_E10value_typeET4_jRbjT5_SW_jjP12ihipStream_tbEUlT_E0_NS1_11comp_targetILNS1_3genE4ELNS1_11target_archE910ELNS1_3gpuE8ELNS1_3repE0EEENS1_60segmented_radix_sort_warp_sort_medium_config_static_selectorELNS0_4arch9wavefront6targetE0EEEvSK_
; %bb.0:
	.section	.rodata,"a",@progbits
	.p2align	6, 0x0
	.amdhsa_kernel _ZN7rocprim17ROCPRIM_400000_NS6detail17trampoline_kernelINS0_14default_configENS1_36segmented_radix_sort_config_selectorIhlEEZNS1_25segmented_radix_sort_implIS3_Lb0EPKhPhPKlPlN2at6native12_GLOBAL__N_18offset_tEEE10hipError_tPvRmT1_PNSt15iterator_traitsISK_E10value_typeET2_T3_PNSL_ISQ_E10value_typeET4_jRbjT5_SW_jjP12ihipStream_tbEUlT_E0_NS1_11comp_targetILNS1_3genE4ELNS1_11target_archE910ELNS1_3gpuE8ELNS1_3repE0EEENS1_60segmented_radix_sort_warp_sort_medium_config_static_selectorELNS0_4arch9wavefront6targetE0EEEvSK_
		.amdhsa_group_segment_fixed_size 0
		.amdhsa_private_segment_fixed_size 0
		.amdhsa_kernarg_size 88
		.amdhsa_user_sgpr_count 2
		.amdhsa_user_sgpr_dispatch_ptr 0
		.amdhsa_user_sgpr_queue_ptr 0
		.amdhsa_user_sgpr_kernarg_segment_ptr 1
		.amdhsa_user_sgpr_dispatch_id 0
		.amdhsa_user_sgpr_kernarg_preload_length 0
		.amdhsa_user_sgpr_kernarg_preload_offset 0
		.amdhsa_user_sgpr_private_segment_size 0
		.amdhsa_wavefront_size32 1
		.amdhsa_uses_dynamic_stack 0
		.amdhsa_enable_private_segment 0
		.amdhsa_system_sgpr_workgroup_id_x 1
		.amdhsa_system_sgpr_workgroup_id_y 0
		.amdhsa_system_sgpr_workgroup_id_z 0
		.amdhsa_system_sgpr_workgroup_info 0
		.amdhsa_system_vgpr_workitem_id 0
		.amdhsa_next_free_vgpr 1
		.amdhsa_next_free_sgpr 1
		.amdhsa_named_barrier_count 0
		.amdhsa_reserve_vcc 0
		.amdhsa_float_round_mode_32 0
		.amdhsa_float_round_mode_16_64 0
		.amdhsa_float_denorm_mode_32 3
		.amdhsa_float_denorm_mode_16_64 3
		.amdhsa_fp16_overflow 0
		.amdhsa_memory_ordered 1
		.amdhsa_forward_progress 1
		.amdhsa_inst_pref_size 0
		.amdhsa_round_robin_scheduling 0
		.amdhsa_exception_fp_ieee_invalid_op 0
		.amdhsa_exception_fp_denorm_src 0
		.amdhsa_exception_fp_ieee_div_zero 0
		.amdhsa_exception_fp_ieee_overflow 0
		.amdhsa_exception_fp_ieee_underflow 0
		.amdhsa_exception_fp_ieee_inexact 0
		.amdhsa_exception_int_div_zero 0
	.end_amdhsa_kernel
	.section	.text._ZN7rocprim17ROCPRIM_400000_NS6detail17trampoline_kernelINS0_14default_configENS1_36segmented_radix_sort_config_selectorIhlEEZNS1_25segmented_radix_sort_implIS3_Lb0EPKhPhPKlPlN2at6native12_GLOBAL__N_18offset_tEEE10hipError_tPvRmT1_PNSt15iterator_traitsISK_E10value_typeET2_T3_PNSL_ISQ_E10value_typeET4_jRbjT5_SW_jjP12ihipStream_tbEUlT_E0_NS1_11comp_targetILNS1_3genE4ELNS1_11target_archE910ELNS1_3gpuE8ELNS1_3repE0EEENS1_60segmented_radix_sort_warp_sort_medium_config_static_selectorELNS0_4arch9wavefront6targetE0EEEvSK_,"axG",@progbits,_ZN7rocprim17ROCPRIM_400000_NS6detail17trampoline_kernelINS0_14default_configENS1_36segmented_radix_sort_config_selectorIhlEEZNS1_25segmented_radix_sort_implIS3_Lb0EPKhPhPKlPlN2at6native12_GLOBAL__N_18offset_tEEE10hipError_tPvRmT1_PNSt15iterator_traitsISK_E10value_typeET2_T3_PNSL_ISQ_E10value_typeET4_jRbjT5_SW_jjP12ihipStream_tbEUlT_E0_NS1_11comp_targetILNS1_3genE4ELNS1_11target_archE910ELNS1_3gpuE8ELNS1_3repE0EEENS1_60segmented_radix_sort_warp_sort_medium_config_static_selectorELNS0_4arch9wavefront6targetE0EEEvSK_,comdat
.Lfunc_end198:
	.size	_ZN7rocprim17ROCPRIM_400000_NS6detail17trampoline_kernelINS0_14default_configENS1_36segmented_radix_sort_config_selectorIhlEEZNS1_25segmented_radix_sort_implIS3_Lb0EPKhPhPKlPlN2at6native12_GLOBAL__N_18offset_tEEE10hipError_tPvRmT1_PNSt15iterator_traitsISK_E10value_typeET2_T3_PNSL_ISQ_E10value_typeET4_jRbjT5_SW_jjP12ihipStream_tbEUlT_E0_NS1_11comp_targetILNS1_3genE4ELNS1_11target_archE910ELNS1_3gpuE8ELNS1_3repE0EEENS1_60segmented_radix_sort_warp_sort_medium_config_static_selectorELNS0_4arch9wavefront6targetE0EEEvSK_, .Lfunc_end198-_ZN7rocprim17ROCPRIM_400000_NS6detail17trampoline_kernelINS0_14default_configENS1_36segmented_radix_sort_config_selectorIhlEEZNS1_25segmented_radix_sort_implIS3_Lb0EPKhPhPKlPlN2at6native12_GLOBAL__N_18offset_tEEE10hipError_tPvRmT1_PNSt15iterator_traitsISK_E10value_typeET2_T3_PNSL_ISQ_E10value_typeET4_jRbjT5_SW_jjP12ihipStream_tbEUlT_E0_NS1_11comp_targetILNS1_3genE4ELNS1_11target_archE910ELNS1_3gpuE8ELNS1_3repE0EEENS1_60segmented_radix_sort_warp_sort_medium_config_static_selectorELNS0_4arch9wavefront6targetE0EEEvSK_
                                        ; -- End function
	.set _ZN7rocprim17ROCPRIM_400000_NS6detail17trampoline_kernelINS0_14default_configENS1_36segmented_radix_sort_config_selectorIhlEEZNS1_25segmented_radix_sort_implIS3_Lb0EPKhPhPKlPlN2at6native12_GLOBAL__N_18offset_tEEE10hipError_tPvRmT1_PNSt15iterator_traitsISK_E10value_typeET2_T3_PNSL_ISQ_E10value_typeET4_jRbjT5_SW_jjP12ihipStream_tbEUlT_E0_NS1_11comp_targetILNS1_3genE4ELNS1_11target_archE910ELNS1_3gpuE8ELNS1_3repE0EEENS1_60segmented_radix_sort_warp_sort_medium_config_static_selectorELNS0_4arch9wavefront6targetE0EEEvSK_.num_vgpr, 0
	.set _ZN7rocprim17ROCPRIM_400000_NS6detail17trampoline_kernelINS0_14default_configENS1_36segmented_radix_sort_config_selectorIhlEEZNS1_25segmented_radix_sort_implIS3_Lb0EPKhPhPKlPlN2at6native12_GLOBAL__N_18offset_tEEE10hipError_tPvRmT1_PNSt15iterator_traitsISK_E10value_typeET2_T3_PNSL_ISQ_E10value_typeET4_jRbjT5_SW_jjP12ihipStream_tbEUlT_E0_NS1_11comp_targetILNS1_3genE4ELNS1_11target_archE910ELNS1_3gpuE8ELNS1_3repE0EEENS1_60segmented_radix_sort_warp_sort_medium_config_static_selectorELNS0_4arch9wavefront6targetE0EEEvSK_.num_agpr, 0
	.set _ZN7rocprim17ROCPRIM_400000_NS6detail17trampoline_kernelINS0_14default_configENS1_36segmented_radix_sort_config_selectorIhlEEZNS1_25segmented_radix_sort_implIS3_Lb0EPKhPhPKlPlN2at6native12_GLOBAL__N_18offset_tEEE10hipError_tPvRmT1_PNSt15iterator_traitsISK_E10value_typeET2_T3_PNSL_ISQ_E10value_typeET4_jRbjT5_SW_jjP12ihipStream_tbEUlT_E0_NS1_11comp_targetILNS1_3genE4ELNS1_11target_archE910ELNS1_3gpuE8ELNS1_3repE0EEENS1_60segmented_radix_sort_warp_sort_medium_config_static_selectorELNS0_4arch9wavefront6targetE0EEEvSK_.numbered_sgpr, 0
	.set _ZN7rocprim17ROCPRIM_400000_NS6detail17trampoline_kernelINS0_14default_configENS1_36segmented_radix_sort_config_selectorIhlEEZNS1_25segmented_radix_sort_implIS3_Lb0EPKhPhPKlPlN2at6native12_GLOBAL__N_18offset_tEEE10hipError_tPvRmT1_PNSt15iterator_traitsISK_E10value_typeET2_T3_PNSL_ISQ_E10value_typeET4_jRbjT5_SW_jjP12ihipStream_tbEUlT_E0_NS1_11comp_targetILNS1_3genE4ELNS1_11target_archE910ELNS1_3gpuE8ELNS1_3repE0EEENS1_60segmented_radix_sort_warp_sort_medium_config_static_selectorELNS0_4arch9wavefront6targetE0EEEvSK_.num_named_barrier, 0
	.set _ZN7rocprim17ROCPRIM_400000_NS6detail17trampoline_kernelINS0_14default_configENS1_36segmented_radix_sort_config_selectorIhlEEZNS1_25segmented_radix_sort_implIS3_Lb0EPKhPhPKlPlN2at6native12_GLOBAL__N_18offset_tEEE10hipError_tPvRmT1_PNSt15iterator_traitsISK_E10value_typeET2_T3_PNSL_ISQ_E10value_typeET4_jRbjT5_SW_jjP12ihipStream_tbEUlT_E0_NS1_11comp_targetILNS1_3genE4ELNS1_11target_archE910ELNS1_3gpuE8ELNS1_3repE0EEENS1_60segmented_radix_sort_warp_sort_medium_config_static_selectorELNS0_4arch9wavefront6targetE0EEEvSK_.private_seg_size, 0
	.set _ZN7rocprim17ROCPRIM_400000_NS6detail17trampoline_kernelINS0_14default_configENS1_36segmented_radix_sort_config_selectorIhlEEZNS1_25segmented_radix_sort_implIS3_Lb0EPKhPhPKlPlN2at6native12_GLOBAL__N_18offset_tEEE10hipError_tPvRmT1_PNSt15iterator_traitsISK_E10value_typeET2_T3_PNSL_ISQ_E10value_typeET4_jRbjT5_SW_jjP12ihipStream_tbEUlT_E0_NS1_11comp_targetILNS1_3genE4ELNS1_11target_archE910ELNS1_3gpuE8ELNS1_3repE0EEENS1_60segmented_radix_sort_warp_sort_medium_config_static_selectorELNS0_4arch9wavefront6targetE0EEEvSK_.uses_vcc, 0
	.set _ZN7rocprim17ROCPRIM_400000_NS6detail17trampoline_kernelINS0_14default_configENS1_36segmented_radix_sort_config_selectorIhlEEZNS1_25segmented_radix_sort_implIS3_Lb0EPKhPhPKlPlN2at6native12_GLOBAL__N_18offset_tEEE10hipError_tPvRmT1_PNSt15iterator_traitsISK_E10value_typeET2_T3_PNSL_ISQ_E10value_typeET4_jRbjT5_SW_jjP12ihipStream_tbEUlT_E0_NS1_11comp_targetILNS1_3genE4ELNS1_11target_archE910ELNS1_3gpuE8ELNS1_3repE0EEENS1_60segmented_radix_sort_warp_sort_medium_config_static_selectorELNS0_4arch9wavefront6targetE0EEEvSK_.uses_flat_scratch, 0
	.set _ZN7rocprim17ROCPRIM_400000_NS6detail17trampoline_kernelINS0_14default_configENS1_36segmented_radix_sort_config_selectorIhlEEZNS1_25segmented_radix_sort_implIS3_Lb0EPKhPhPKlPlN2at6native12_GLOBAL__N_18offset_tEEE10hipError_tPvRmT1_PNSt15iterator_traitsISK_E10value_typeET2_T3_PNSL_ISQ_E10value_typeET4_jRbjT5_SW_jjP12ihipStream_tbEUlT_E0_NS1_11comp_targetILNS1_3genE4ELNS1_11target_archE910ELNS1_3gpuE8ELNS1_3repE0EEENS1_60segmented_radix_sort_warp_sort_medium_config_static_selectorELNS0_4arch9wavefront6targetE0EEEvSK_.has_dyn_sized_stack, 0
	.set _ZN7rocprim17ROCPRIM_400000_NS6detail17trampoline_kernelINS0_14default_configENS1_36segmented_radix_sort_config_selectorIhlEEZNS1_25segmented_radix_sort_implIS3_Lb0EPKhPhPKlPlN2at6native12_GLOBAL__N_18offset_tEEE10hipError_tPvRmT1_PNSt15iterator_traitsISK_E10value_typeET2_T3_PNSL_ISQ_E10value_typeET4_jRbjT5_SW_jjP12ihipStream_tbEUlT_E0_NS1_11comp_targetILNS1_3genE4ELNS1_11target_archE910ELNS1_3gpuE8ELNS1_3repE0EEENS1_60segmented_radix_sort_warp_sort_medium_config_static_selectorELNS0_4arch9wavefront6targetE0EEEvSK_.has_recursion, 0
	.set _ZN7rocprim17ROCPRIM_400000_NS6detail17trampoline_kernelINS0_14default_configENS1_36segmented_radix_sort_config_selectorIhlEEZNS1_25segmented_radix_sort_implIS3_Lb0EPKhPhPKlPlN2at6native12_GLOBAL__N_18offset_tEEE10hipError_tPvRmT1_PNSt15iterator_traitsISK_E10value_typeET2_T3_PNSL_ISQ_E10value_typeET4_jRbjT5_SW_jjP12ihipStream_tbEUlT_E0_NS1_11comp_targetILNS1_3genE4ELNS1_11target_archE910ELNS1_3gpuE8ELNS1_3repE0EEENS1_60segmented_radix_sort_warp_sort_medium_config_static_selectorELNS0_4arch9wavefront6targetE0EEEvSK_.has_indirect_call, 0
	.section	.AMDGPU.csdata,"",@progbits
; Kernel info:
; codeLenInByte = 0
; TotalNumSgprs: 0
; NumVgprs: 0
; ScratchSize: 0
; MemoryBound: 0
; FloatMode: 240
; IeeeMode: 1
; LDSByteSize: 0 bytes/workgroup (compile time only)
; SGPRBlocks: 0
; VGPRBlocks: 0
; NumSGPRsForWavesPerEU: 1
; NumVGPRsForWavesPerEU: 1
; NamedBarCnt: 0
; Occupancy: 16
; WaveLimiterHint : 0
; COMPUTE_PGM_RSRC2:SCRATCH_EN: 0
; COMPUTE_PGM_RSRC2:USER_SGPR: 2
; COMPUTE_PGM_RSRC2:TRAP_HANDLER: 0
; COMPUTE_PGM_RSRC2:TGID_X_EN: 1
; COMPUTE_PGM_RSRC2:TGID_Y_EN: 0
; COMPUTE_PGM_RSRC2:TGID_Z_EN: 0
; COMPUTE_PGM_RSRC2:TIDIG_COMP_CNT: 0
	.section	.text._ZN7rocprim17ROCPRIM_400000_NS6detail17trampoline_kernelINS0_14default_configENS1_36segmented_radix_sort_config_selectorIhlEEZNS1_25segmented_radix_sort_implIS3_Lb0EPKhPhPKlPlN2at6native12_GLOBAL__N_18offset_tEEE10hipError_tPvRmT1_PNSt15iterator_traitsISK_E10value_typeET2_T3_PNSL_ISQ_E10value_typeET4_jRbjT5_SW_jjP12ihipStream_tbEUlT_E0_NS1_11comp_targetILNS1_3genE3ELNS1_11target_archE908ELNS1_3gpuE7ELNS1_3repE0EEENS1_60segmented_radix_sort_warp_sort_medium_config_static_selectorELNS0_4arch9wavefront6targetE0EEEvSK_,"axG",@progbits,_ZN7rocprim17ROCPRIM_400000_NS6detail17trampoline_kernelINS0_14default_configENS1_36segmented_radix_sort_config_selectorIhlEEZNS1_25segmented_radix_sort_implIS3_Lb0EPKhPhPKlPlN2at6native12_GLOBAL__N_18offset_tEEE10hipError_tPvRmT1_PNSt15iterator_traitsISK_E10value_typeET2_T3_PNSL_ISQ_E10value_typeET4_jRbjT5_SW_jjP12ihipStream_tbEUlT_E0_NS1_11comp_targetILNS1_3genE3ELNS1_11target_archE908ELNS1_3gpuE7ELNS1_3repE0EEENS1_60segmented_radix_sort_warp_sort_medium_config_static_selectorELNS0_4arch9wavefront6targetE0EEEvSK_,comdat
	.globl	_ZN7rocprim17ROCPRIM_400000_NS6detail17trampoline_kernelINS0_14default_configENS1_36segmented_radix_sort_config_selectorIhlEEZNS1_25segmented_radix_sort_implIS3_Lb0EPKhPhPKlPlN2at6native12_GLOBAL__N_18offset_tEEE10hipError_tPvRmT1_PNSt15iterator_traitsISK_E10value_typeET2_T3_PNSL_ISQ_E10value_typeET4_jRbjT5_SW_jjP12ihipStream_tbEUlT_E0_NS1_11comp_targetILNS1_3genE3ELNS1_11target_archE908ELNS1_3gpuE7ELNS1_3repE0EEENS1_60segmented_radix_sort_warp_sort_medium_config_static_selectorELNS0_4arch9wavefront6targetE0EEEvSK_ ; -- Begin function _ZN7rocprim17ROCPRIM_400000_NS6detail17trampoline_kernelINS0_14default_configENS1_36segmented_radix_sort_config_selectorIhlEEZNS1_25segmented_radix_sort_implIS3_Lb0EPKhPhPKlPlN2at6native12_GLOBAL__N_18offset_tEEE10hipError_tPvRmT1_PNSt15iterator_traitsISK_E10value_typeET2_T3_PNSL_ISQ_E10value_typeET4_jRbjT5_SW_jjP12ihipStream_tbEUlT_E0_NS1_11comp_targetILNS1_3genE3ELNS1_11target_archE908ELNS1_3gpuE7ELNS1_3repE0EEENS1_60segmented_radix_sort_warp_sort_medium_config_static_selectorELNS0_4arch9wavefront6targetE0EEEvSK_
	.p2align	8
	.type	_ZN7rocprim17ROCPRIM_400000_NS6detail17trampoline_kernelINS0_14default_configENS1_36segmented_radix_sort_config_selectorIhlEEZNS1_25segmented_radix_sort_implIS3_Lb0EPKhPhPKlPlN2at6native12_GLOBAL__N_18offset_tEEE10hipError_tPvRmT1_PNSt15iterator_traitsISK_E10value_typeET2_T3_PNSL_ISQ_E10value_typeET4_jRbjT5_SW_jjP12ihipStream_tbEUlT_E0_NS1_11comp_targetILNS1_3genE3ELNS1_11target_archE908ELNS1_3gpuE7ELNS1_3repE0EEENS1_60segmented_radix_sort_warp_sort_medium_config_static_selectorELNS0_4arch9wavefront6targetE0EEEvSK_,@function
_ZN7rocprim17ROCPRIM_400000_NS6detail17trampoline_kernelINS0_14default_configENS1_36segmented_radix_sort_config_selectorIhlEEZNS1_25segmented_radix_sort_implIS3_Lb0EPKhPhPKlPlN2at6native12_GLOBAL__N_18offset_tEEE10hipError_tPvRmT1_PNSt15iterator_traitsISK_E10value_typeET2_T3_PNSL_ISQ_E10value_typeET4_jRbjT5_SW_jjP12ihipStream_tbEUlT_E0_NS1_11comp_targetILNS1_3genE3ELNS1_11target_archE908ELNS1_3gpuE7ELNS1_3repE0EEENS1_60segmented_radix_sort_warp_sort_medium_config_static_selectorELNS0_4arch9wavefront6targetE0EEEvSK_: ; @_ZN7rocprim17ROCPRIM_400000_NS6detail17trampoline_kernelINS0_14default_configENS1_36segmented_radix_sort_config_selectorIhlEEZNS1_25segmented_radix_sort_implIS3_Lb0EPKhPhPKlPlN2at6native12_GLOBAL__N_18offset_tEEE10hipError_tPvRmT1_PNSt15iterator_traitsISK_E10value_typeET2_T3_PNSL_ISQ_E10value_typeET4_jRbjT5_SW_jjP12ihipStream_tbEUlT_E0_NS1_11comp_targetILNS1_3genE3ELNS1_11target_archE908ELNS1_3gpuE7ELNS1_3repE0EEENS1_60segmented_radix_sort_warp_sort_medium_config_static_selectorELNS0_4arch9wavefront6targetE0EEEvSK_
; %bb.0:
	.section	.rodata,"a",@progbits
	.p2align	6, 0x0
	.amdhsa_kernel _ZN7rocprim17ROCPRIM_400000_NS6detail17trampoline_kernelINS0_14default_configENS1_36segmented_radix_sort_config_selectorIhlEEZNS1_25segmented_radix_sort_implIS3_Lb0EPKhPhPKlPlN2at6native12_GLOBAL__N_18offset_tEEE10hipError_tPvRmT1_PNSt15iterator_traitsISK_E10value_typeET2_T3_PNSL_ISQ_E10value_typeET4_jRbjT5_SW_jjP12ihipStream_tbEUlT_E0_NS1_11comp_targetILNS1_3genE3ELNS1_11target_archE908ELNS1_3gpuE7ELNS1_3repE0EEENS1_60segmented_radix_sort_warp_sort_medium_config_static_selectorELNS0_4arch9wavefront6targetE0EEEvSK_
		.amdhsa_group_segment_fixed_size 0
		.amdhsa_private_segment_fixed_size 0
		.amdhsa_kernarg_size 88
		.amdhsa_user_sgpr_count 2
		.amdhsa_user_sgpr_dispatch_ptr 0
		.amdhsa_user_sgpr_queue_ptr 0
		.amdhsa_user_sgpr_kernarg_segment_ptr 1
		.amdhsa_user_sgpr_dispatch_id 0
		.amdhsa_user_sgpr_kernarg_preload_length 0
		.amdhsa_user_sgpr_kernarg_preload_offset 0
		.amdhsa_user_sgpr_private_segment_size 0
		.amdhsa_wavefront_size32 1
		.amdhsa_uses_dynamic_stack 0
		.amdhsa_enable_private_segment 0
		.amdhsa_system_sgpr_workgroup_id_x 1
		.amdhsa_system_sgpr_workgroup_id_y 0
		.amdhsa_system_sgpr_workgroup_id_z 0
		.amdhsa_system_sgpr_workgroup_info 0
		.amdhsa_system_vgpr_workitem_id 0
		.amdhsa_next_free_vgpr 1
		.amdhsa_next_free_sgpr 1
		.amdhsa_named_barrier_count 0
		.amdhsa_reserve_vcc 0
		.amdhsa_float_round_mode_32 0
		.amdhsa_float_round_mode_16_64 0
		.amdhsa_float_denorm_mode_32 3
		.amdhsa_float_denorm_mode_16_64 3
		.amdhsa_fp16_overflow 0
		.amdhsa_memory_ordered 1
		.amdhsa_forward_progress 1
		.amdhsa_inst_pref_size 0
		.amdhsa_round_robin_scheduling 0
		.amdhsa_exception_fp_ieee_invalid_op 0
		.amdhsa_exception_fp_denorm_src 0
		.amdhsa_exception_fp_ieee_div_zero 0
		.amdhsa_exception_fp_ieee_overflow 0
		.amdhsa_exception_fp_ieee_underflow 0
		.amdhsa_exception_fp_ieee_inexact 0
		.amdhsa_exception_int_div_zero 0
	.end_amdhsa_kernel
	.section	.text._ZN7rocprim17ROCPRIM_400000_NS6detail17trampoline_kernelINS0_14default_configENS1_36segmented_radix_sort_config_selectorIhlEEZNS1_25segmented_radix_sort_implIS3_Lb0EPKhPhPKlPlN2at6native12_GLOBAL__N_18offset_tEEE10hipError_tPvRmT1_PNSt15iterator_traitsISK_E10value_typeET2_T3_PNSL_ISQ_E10value_typeET4_jRbjT5_SW_jjP12ihipStream_tbEUlT_E0_NS1_11comp_targetILNS1_3genE3ELNS1_11target_archE908ELNS1_3gpuE7ELNS1_3repE0EEENS1_60segmented_radix_sort_warp_sort_medium_config_static_selectorELNS0_4arch9wavefront6targetE0EEEvSK_,"axG",@progbits,_ZN7rocprim17ROCPRIM_400000_NS6detail17trampoline_kernelINS0_14default_configENS1_36segmented_radix_sort_config_selectorIhlEEZNS1_25segmented_radix_sort_implIS3_Lb0EPKhPhPKlPlN2at6native12_GLOBAL__N_18offset_tEEE10hipError_tPvRmT1_PNSt15iterator_traitsISK_E10value_typeET2_T3_PNSL_ISQ_E10value_typeET4_jRbjT5_SW_jjP12ihipStream_tbEUlT_E0_NS1_11comp_targetILNS1_3genE3ELNS1_11target_archE908ELNS1_3gpuE7ELNS1_3repE0EEENS1_60segmented_radix_sort_warp_sort_medium_config_static_selectorELNS0_4arch9wavefront6targetE0EEEvSK_,comdat
.Lfunc_end199:
	.size	_ZN7rocprim17ROCPRIM_400000_NS6detail17trampoline_kernelINS0_14default_configENS1_36segmented_radix_sort_config_selectorIhlEEZNS1_25segmented_radix_sort_implIS3_Lb0EPKhPhPKlPlN2at6native12_GLOBAL__N_18offset_tEEE10hipError_tPvRmT1_PNSt15iterator_traitsISK_E10value_typeET2_T3_PNSL_ISQ_E10value_typeET4_jRbjT5_SW_jjP12ihipStream_tbEUlT_E0_NS1_11comp_targetILNS1_3genE3ELNS1_11target_archE908ELNS1_3gpuE7ELNS1_3repE0EEENS1_60segmented_radix_sort_warp_sort_medium_config_static_selectorELNS0_4arch9wavefront6targetE0EEEvSK_, .Lfunc_end199-_ZN7rocprim17ROCPRIM_400000_NS6detail17trampoline_kernelINS0_14default_configENS1_36segmented_radix_sort_config_selectorIhlEEZNS1_25segmented_radix_sort_implIS3_Lb0EPKhPhPKlPlN2at6native12_GLOBAL__N_18offset_tEEE10hipError_tPvRmT1_PNSt15iterator_traitsISK_E10value_typeET2_T3_PNSL_ISQ_E10value_typeET4_jRbjT5_SW_jjP12ihipStream_tbEUlT_E0_NS1_11comp_targetILNS1_3genE3ELNS1_11target_archE908ELNS1_3gpuE7ELNS1_3repE0EEENS1_60segmented_radix_sort_warp_sort_medium_config_static_selectorELNS0_4arch9wavefront6targetE0EEEvSK_
                                        ; -- End function
	.set _ZN7rocprim17ROCPRIM_400000_NS6detail17trampoline_kernelINS0_14default_configENS1_36segmented_radix_sort_config_selectorIhlEEZNS1_25segmented_radix_sort_implIS3_Lb0EPKhPhPKlPlN2at6native12_GLOBAL__N_18offset_tEEE10hipError_tPvRmT1_PNSt15iterator_traitsISK_E10value_typeET2_T3_PNSL_ISQ_E10value_typeET4_jRbjT5_SW_jjP12ihipStream_tbEUlT_E0_NS1_11comp_targetILNS1_3genE3ELNS1_11target_archE908ELNS1_3gpuE7ELNS1_3repE0EEENS1_60segmented_radix_sort_warp_sort_medium_config_static_selectorELNS0_4arch9wavefront6targetE0EEEvSK_.num_vgpr, 0
	.set _ZN7rocprim17ROCPRIM_400000_NS6detail17trampoline_kernelINS0_14default_configENS1_36segmented_radix_sort_config_selectorIhlEEZNS1_25segmented_radix_sort_implIS3_Lb0EPKhPhPKlPlN2at6native12_GLOBAL__N_18offset_tEEE10hipError_tPvRmT1_PNSt15iterator_traitsISK_E10value_typeET2_T3_PNSL_ISQ_E10value_typeET4_jRbjT5_SW_jjP12ihipStream_tbEUlT_E0_NS1_11comp_targetILNS1_3genE3ELNS1_11target_archE908ELNS1_3gpuE7ELNS1_3repE0EEENS1_60segmented_radix_sort_warp_sort_medium_config_static_selectorELNS0_4arch9wavefront6targetE0EEEvSK_.num_agpr, 0
	.set _ZN7rocprim17ROCPRIM_400000_NS6detail17trampoline_kernelINS0_14default_configENS1_36segmented_radix_sort_config_selectorIhlEEZNS1_25segmented_radix_sort_implIS3_Lb0EPKhPhPKlPlN2at6native12_GLOBAL__N_18offset_tEEE10hipError_tPvRmT1_PNSt15iterator_traitsISK_E10value_typeET2_T3_PNSL_ISQ_E10value_typeET4_jRbjT5_SW_jjP12ihipStream_tbEUlT_E0_NS1_11comp_targetILNS1_3genE3ELNS1_11target_archE908ELNS1_3gpuE7ELNS1_3repE0EEENS1_60segmented_radix_sort_warp_sort_medium_config_static_selectorELNS0_4arch9wavefront6targetE0EEEvSK_.numbered_sgpr, 0
	.set _ZN7rocprim17ROCPRIM_400000_NS6detail17trampoline_kernelINS0_14default_configENS1_36segmented_radix_sort_config_selectorIhlEEZNS1_25segmented_radix_sort_implIS3_Lb0EPKhPhPKlPlN2at6native12_GLOBAL__N_18offset_tEEE10hipError_tPvRmT1_PNSt15iterator_traitsISK_E10value_typeET2_T3_PNSL_ISQ_E10value_typeET4_jRbjT5_SW_jjP12ihipStream_tbEUlT_E0_NS1_11comp_targetILNS1_3genE3ELNS1_11target_archE908ELNS1_3gpuE7ELNS1_3repE0EEENS1_60segmented_radix_sort_warp_sort_medium_config_static_selectorELNS0_4arch9wavefront6targetE0EEEvSK_.num_named_barrier, 0
	.set _ZN7rocprim17ROCPRIM_400000_NS6detail17trampoline_kernelINS0_14default_configENS1_36segmented_radix_sort_config_selectorIhlEEZNS1_25segmented_radix_sort_implIS3_Lb0EPKhPhPKlPlN2at6native12_GLOBAL__N_18offset_tEEE10hipError_tPvRmT1_PNSt15iterator_traitsISK_E10value_typeET2_T3_PNSL_ISQ_E10value_typeET4_jRbjT5_SW_jjP12ihipStream_tbEUlT_E0_NS1_11comp_targetILNS1_3genE3ELNS1_11target_archE908ELNS1_3gpuE7ELNS1_3repE0EEENS1_60segmented_radix_sort_warp_sort_medium_config_static_selectorELNS0_4arch9wavefront6targetE0EEEvSK_.private_seg_size, 0
	.set _ZN7rocprim17ROCPRIM_400000_NS6detail17trampoline_kernelINS0_14default_configENS1_36segmented_radix_sort_config_selectorIhlEEZNS1_25segmented_radix_sort_implIS3_Lb0EPKhPhPKlPlN2at6native12_GLOBAL__N_18offset_tEEE10hipError_tPvRmT1_PNSt15iterator_traitsISK_E10value_typeET2_T3_PNSL_ISQ_E10value_typeET4_jRbjT5_SW_jjP12ihipStream_tbEUlT_E0_NS1_11comp_targetILNS1_3genE3ELNS1_11target_archE908ELNS1_3gpuE7ELNS1_3repE0EEENS1_60segmented_radix_sort_warp_sort_medium_config_static_selectorELNS0_4arch9wavefront6targetE0EEEvSK_.uses_vcc, 0
	.set _ZN7rocprim17ROCPRIM_400000_NS6detail17trampoline_kernelINS0_14default_configENS1_36segmented_radix_sort_config_selectorIhlEEZNS1_25segmented_radix_sort_implIS3_Lb0EPKhPhPKlPlN2at6native12_GLOBAL__N_18offset_tEEE10hipError_tPvRmT1_PNSt15iterator_traitsISK_E10value_typeET2_T3_PNSL_ISQ_E10value_typeET4_jRbjT5_SW_jjP12ihipStream_tbEUlT_E0_NS1_11comp_targetILNS1_3genE3ELNS1_11target_archE908ELNS1_3gpuE7ELNS1_3repE0EEENS1_60segmented_radix_sort_warp_sort_medium_config_static_selectorELNS0_4arch9wavefront6targetE0EEEvSK_.uses_flat_scratch, 0
	.set _ZN7rocprim17ROCPRIM_400000_NS6detail17trampoline_kernelINS0_14default_configENS1_36segmented_radix_sort_config_selectorIhlEEZNS1_25segmented_radix_sort_implIS3_Lb0EPKhPhPKlPlN2at6native12_GLOBAL__N_18offset_tEEE10hipError_tPvRmT1_PNSt15iterator_traitsISK_E10value_typeET2_T3_PNSL_ISQ_E10value_typeET4_jRbjT5_SW_jjP12ihipStream_tbEUlT_E0_NS1_11comp_targetILNS1_3genE3ELNS1_11target_archE908ELNS1_3gpuE7ELNS1_3repE0EEENS1_60segmented_radix_sort_warp_sort_medium_config_static_selectorELNS0_4arch9wavefront6targetE0EEEvSK_.has_dyn_sized_stack, 0
	.set _ZN7rocprim17ROCPRIM_400000_NS6detail17trampoline_kernelINS0_14default_configENS1_36segmented_radix_sort_config_selectorIhlEEZNS1_25segmented_radix_sort_implIS3_Lb0EPKhPhPKlPlN2at6native12_GLOBAL__N_18offset_tEEE10hipError_tPvRmT1_PNSt15iterator_traitsISK_E10value_typeET2_T3_PNSL_ISQ_E10value_typeET4_jRbjT5_SW_jjP12ihipStream_tbEUlT_E0_NS1_11comp_targetILNS1_3genE3ELNS1_11target_archE908ELNS1_3gpuE7ELNS1_3repE0EEENS1_60segmented_radix_sort_warp_sort_medium_config_static_selectorELNS0_4arch9wavefront6targetE0EEEvSK_.has_recursion, 0
	.set _ZN7rocprim17ROCPRIM_400000_NS6detail17trampoline_kernelINS0_14default_configENS1_36segmented_radix_sort_config_selectorIhlEEZNS1_25segmented_radix_sort_implIS3_Lb0EPKhPhPKlPlN2at6native12_GLOBAL__N_18offset_tEEE10hipError_tPvRmT1_PNSt15iterator_traitsISK_E10value_typeET2_T3_PNSL_ISQ_E10value_typeET4_jRbjT5_SW_jjP12ihipStream_tbEUlT_E0_NS1_11comp_targetILNS1_3genE3ELNS1_11target_archE908ELNS1_3gpuE7ELNS1_3repE0EEENS1_60segmented_radix_sort_warp_sort_medium_config_static_selectorELNS0_4arch9wavefront6targetE0EEEvSK_.has_indirect_call, 0
	.section	.AMDGPU.csdata,"",@progbits
; Kernel info:
; codeLenInByte = 0
; TotalNumSgprs: 0
; NumVgprs: 0
; ScratchSize: 0
; MemoryBound: 0
; FloatMode: 240
; IeeeMode: 1
; LDSByteSize: 0 bytes/workgroup (compile time only)
; SGPRBlocks: 0
; VGPRBlocks: 0
; NumSGPRsForWavesPerEU: 1
; NumVGPRsForWavesPerEU: 1
; NamedBarCnt: 0
; Occupancy: 16
; WaveLimiterHint : 0
; COMPUTE_PGM_RSRC2:SCRATCH_EN: 0
; COMPUTE_PGM_RSRC2:USER_SGPR: 2
; COMPUTE_PGM_RSRC2:TRAP_HANDLER: 0
; COMPUTE_PGM_RSRC2:TGID_X_EN: 1
; COMPUTE_PGM_RSRC2:TGID_Y_EN: 0
; COMPUTE_PGM_RSRC2:TGID_Z_EN: 0
; COMPUTE_PGM_RSRC2:TIDIG_COMP_CNT: 0
	.section	.text._ZN7rocprim17ROCPRIM_400000_NS6detail17trampoline_kernelINS0_14default_configENS1_36segmented_radix_sort_config_selectorIhlEEZNS1_25segmented_radix_sort_implIS3_Lb0EPKhPhPKlPlN2at6native12_GLOBAL__N_18offset_tEEE10hipError_tPvRmT1_PNSt15iterator_traitsISK_E10value_typeET2_T3_PNSL_ISQ_E10value_typeET4_jRbjT5_SW_jjP12ihipStream_tbEUlT_E0_NS1_11comp_targetILNS1_3genE2ELNS1_11target_archE906ELNS1_3gpuE6ELNS1_3repE0EEENS1_60segmented_radix_sort_warp_sort_medium_config_static_selectorELNS0_4arch9wavefront6targetE0EEEvSK_,"axG",@progbits,_ZN7rocprim17ROCPRIM_400000_NS6detail17trampoline_kernelINS0_14default_configENS1_36segmented_radix_sort_config_selectorIhlEEZNS1_25segmented_radix_sort_implIS3_Lb0EPKhPhPKlPlN2at6native12_GLOBAL__N_18offset_tEEE10hipError_tPvRmT1_PNSt15iterator_traitsISK_E10value_typeET2_T3_PNSL_ISQ_E10value_typeET4_jRbjT5_SW_jjP12ihipStream_tbEUlT_E0_NS1_11comp_targetILNS1_3genE2ELNS1_11target_archE906ELNS1_3gpuE6ELNS1_3repE0EEENS1_60segmented_radix_sort_warp_sort_medium_config_static_selectorELNS0_4arch9wavefront6targetE0EEEvSK_,comdat
	.globl	_ZN7rocprim17ROCPRIM_400000_NS6detail17trampoline_kernelINS0_14default_configENS1_36segmented_radix_sort_config_selectorIhlEEZNS1_25segmented_radix_sort_implIS3_Lb0EPKhPhPKlPlN2at6native12_GLOBAL__N_18offset_tEEE10hipError_tPvRmT1_PNSt15iterator_traitsISK_E10value_typeET2_T3_PNSL_ISQ_E10value_typeET4_jRbjT5_SW_jjP12ihipStream_tbEUlT_E0_NS1_11comp_targetILNS1_3genE2ELNS1_11target_archE906ELNS1_3gpuE6ELNS1_3repE0EEENS1_60segmented_radix_sort_warp_sort_medium_config_static_selectorELNS0_4arch9wavefront6targetE0EEEvSK_ ; -- Begin function _ZN7rocprim17ROCPRIM_400000_NS6detail17trampoline_kernelINS0_14default_configENS1_36segmented_radix_sort_config_selectorIhlEEZNS1_25segmented_radix_sort_implIS3_Lb0EPKhPhPKlPlN2at6native12_GLOBAL__N_18offset_tEEE10hipError_tPvRmT1_PNSt15iterator_traitsISK_E10value_typeET2_T3_PNSL_ISQ_E10value_typeET4_jRbjT5_SW_jjP12ihipStream_tbEUlT_E0_NS1_11comp_targetILNS1_3genE2ELNS1_11target_archE906ELNS1_3gpuE6ELNS1_3repE0EEENS1_60segmented_radix_sort_warp_sort_medium_config_static_selectorELNS0_4arch9wavefront6targetE0EEEvSK_
	.p2align	8
	.type	_ZN7rocprim17ROCPRIM_400000_NS6detail17trampoline_kernelINS0_14default_configENS1_36segmented_radix_sort_config_selectorIhlEEZNS1_25segmented_radix_sort_implIS3_Lb0EPKhPhPKlPlN2at6native12_GLOBAL__N_18offset_tEEE10hipError_tPvRmT1_PNSt15iterator_traitsISK_E10value_typeET2_T3_PNSL_ISQ_E10value_typeET4_jRbjT5_SW_jjP12ihipStream_tbEUlT_E0_NS1_11comp_targetILNS1_3genE2ELNS1_11target_archE906ELNS1_3gpuE6ELNS1_3repE0EEENS1_60segmented_radix_sort_warp_sort_medium_config_static_selectorELNS0_4arch9wavefront6targetE0EEEvSK_,@function
_ZN7rocprim17ROCPRIM_400000_NS6detail17trampoline_kernelINS0_14default_configENS1_36segmented_radix_sort_config_selectorIhlEEZNS1_25segmented_radix_sort_implIS3_Lb0EPKhPhPKlPlN2at6native12_GLOBAL__N_18offset_tEEE10hipError_tPvRmT1_PNSt15iterator_traitsISK_E10value_typeET2_T3_PNSL_ISQ_E10value_typeET4_jRbjT5_SW_jjP12ihipStream_tbEUlT_E0_NS1_11comp_targetILNS1_3genE2ELNS1_11target_archE906ELNS1_3gpuE6ELNS1_3repE0EEENS1_60segmented_radix_sort_warp_sort_medium_config_static_selectorELNS0_4arch9wavefront6targetE0EEEvSK_: ; @_ZN7rocprim17ROCPRIM_400000_NS6detail17trampoline_kernelINS0_14default_configENS1_36segmented_radix_sort_config_selectorIhlEEZNS1_25segmented_radix_sort_implIS3_Lb0EPKhPhPKlPlN2at6native12_GLOBAL__N_18offset_tEEE10hipError_tPvRmT1_PNSt15iterator_traitsISK_E10value_typeET2_T3_PNSL_ISQ_E10value_typeET4_jRbjT5_SW_jjP12ihipStream_tbEUlT_E0_NS1_11comp_targetILNS1_3genE2ELNS1_11target_archE906ELNS1_3gpuE6ELNS1_3repE0EEENS1_60segmented_radix_sort_warp_sort_medium_config_static_selectorELNS0_4arch9wavefront6targetE0EEEvSK_
; %bb.0:
	.section	.rodata,"a",@progbits
	.p2align	6, 0x0
	.amdhsa_kernel _ZN7rocprim17ROCPRIM_400000_NS6detail17trampoline_kernelINS0_14default_configENS1_36segmented_radix_sort_config_selectorIhlEEZNS1_25segmented_radix_sort_implIS3_Lb0EPKhPhPKlPlN2at6native12_GLOBAL__N_18offset_tEEE10hipError_tPvRmT1_PNSt15iterator_traitsISK_E10value_typeET2_T3_PNSL_ISQ_E10value_typeET4_jRbjT5_SW_jjP12ihipStream_tbEUlT_E0_NS1_11comp_targetILNS1_3genE2ELNS1_11target_archE906ELNS1_3gpuE6ELNS1_3repE0EEENS1_60segmented_radix_sort_warp_sort_medium_config_static_selectorELNS0_4arch9wavefront6targetE0EEEvSK_
		.amdhsa_group_segment_fixed_size 0
		.amdhsa_private_segment_fixed_size 0
		.amdhsa_kernarg_size 88
		.amdhsa_user_sgpr_count 2
		.amdhsa_user_sgpr_dispatch_ptr 0
		.amdhsa_user_sgpr_queue_ptr 0
		.amdhsa_user_sgpr_kernarg_segment_ptr 1
		.amdhsa_user_sgpr_dispatch_id 0
		.amdhsa_user_sgpr_kernarg_preload_length 0
		.amdhsa_user_sgpr_kernarg_preload_offset 0
		.amdhsa_user_sgpr_private_segment_size 0
		.amdhsa_wavefront_size32 1
		.amdhsa_uses_dynamic_stack 0
		.amdhsa_enable_private_segment 0
		.amdhsa_system_sgpr_workgroup_id_x 1
		.amdhsa_system_sgpr_workgroup_id_y 0
		.amdhsa_system_sgpr_workgroup_id_z 0
		.amdhsa_system_sgpr_workgroup_info 0
		.amdhsa_system_vgpr_workitem_id 0
		.amdhsa_next_free_vgpr 1
		.amdhsa_next_free_sgpr 1
		.amdhsa_named_barrier_count 0
		.amdhsa_reserve_vcc 0
		.amdhsa_float_round_mode_32 0
		.amdhsa_float_round_mode_16_64 0
		.amdhsa_float_denorm_mode_32 3
		.amdhsa_float_denorm_mode_16_64 3
		.amdhsa_fp16_overflow 0
		.amdhsa_memory_ordered 1
		.amdhsa_forward_progress 1
		.amdhsa_inst_pref_size 0
		.amdhsa_round_robin_scheduling 0
		.amdhsa_exception_fp_ieee_invalid_op 0
		.amdhsa_exception_fp_denorm_src 0
		.amdhsa_exception_fp_ieee_div_zero 0
		.amdhsa_exception_fp_ieee_overflow 0
		.amdhsa_exception_fp_ieee_underflow 0
		.amdhsa_exception_fp_ieee_inexact 0
		.amdhsa_exception_int_div_zero 0
	.end_amdhsa_kernel
	.section	.text._ZN7rocprim17ROCPRIM_400000_NS6detail17trampoline_kernelINS0_14default_configENS1_36segmented_radix_sort_config_selectorIhlEEZNS1_25segmented_radix_sort_implIS3_Lb0EPKhPhPKlPlN2at6native12_GLOBAL__N_18offset_tEEE10hipError_tPvRmT1_PNSt15iterator_traitsISK_E10value_typeET2_T3_PNSL_ISQ_E10value_typeET4_jRbjT5_SW_jjP12ihipStream_tbEUlT_E0_NS1_11comp_targetILNS1_3genE2ELNS1_11target_archE906ELNS1_3gpuE6ELNS1_3repE0EEENS1_60segmented_radix_sort_warp_sort_medium_config_static_selectorELNS0_4arch9wavefront6targetE0EEEvSK_,"axG",@progbits,_ZN7rocprim17ROCPRIM_400000_NS6detail17trampoline_kernelINS0_14default_configENS1_36segmented_radix_sort_config_selectorIhlEEZNS1_25segmented_radix_sort_implIS3_Lb0EPKhPhPKlPlN2at6native12_GLOBAL__N_18offset_tEEE10hipError_tPvRmT1_PNSt15iterator_traitsISK_E10value_typeET2_T3_PNSL_ISQ_E10value_typeET4_jRbjT5_SW_jjP12ihipStream_tbEUlT_E0_NS1_11comp_targetILNS1_3genE2ELNS1_11target_archE906ELNS1_3gpuE6ELNS1_3repE0EEENS1_60segmented_radix_sort_warp_sort_medium_config_static_selectorELNS0_4arch9wavefront6targetE0EEEvSK_,comdat
.Lfunc_end200:
	.size	_ZN7rocprim17ROCPRIM_400000_NS6detail17trampoline_kernelINS0_14default_configENS1_36segmented_radix_sort_config_selectorIhlEEZNS1_25segmented_radix_sort_implIS3_Lb0EPKhPhPKlPlN2at6native12_GLOBAL__N_18offset_tEEE10hipError_tPvRmT1_PNSt15iterator_traitsISK_E10value_typeET2_T3_PNSL_ISQ_E10value_typeET4_jRbjT5_SW_jjP12ihipStream_tbEUlT_E0_NS1_11comp_targetILNS1_3genE2ELNS1_11target_archE906ELNS1_3gpuE6ELNS1_3repE0EEENS1_60segmented_radix_sort_warp_sort_medium_config_static_selectorELNS0_4arch9wavefront6targetE0EEEvSK_, .Lfunc_end200-_ZN7rocprim17ROCPRIM_400000_NS6detail17trampoline_kernelINS0_14default_configENS1_36segmented_radix_sort_config_selectorIhlEEZNS1_25segmented_radix_sort_implIS3_Lb0EPKhPhPKlPlN2at6native12_GLOBAL__N_18offset_tEEE10hipError_tPvRmT1_PNSt15iterator_traitsISK_E10value_typeET2_T3_PNSL_ISQ_E10value_typeET4_jRbjT5_SW_jjP12ihipStream_tbEUlT_E0_NS1_11comp_targetILNS1_3genE2ELNS1_11target_archE906ELNS1_3gpuE6ELNS1_3repE0EEENS1_60segmented_radix_sort_warp_sort_medium_config_static_selectorELNS0_4arch9wavefront6targetE0EEEvSK_
                                        ; -- End function
	.set _ZN7rocprim17ROCPRIM_400000_NS6detail17trampoline_kernelINS0_14default_configENS1_36segmented_radix_sort_config_selectorIhlEEZNS1_25segmented_radix_sort_implIS3_Lb0EPKhPhPKlPlN2at6native12_GLOBAL__N_18offset_tEEE10hipError_tPvRmT1_PNSt15iterator_traitsISK_E10value_typeET2_T3_PNSL_ISQ_E10value_typeET4_jRbjT5_SW_jjP12ihipStream_tbEUlT_E0_NS1_11comp_targetILNS1_3genE2ELNS1_11target_archE906ELNS1_3gpuE6ELNS1_3repE0EEENS1_60segmented_radix_sort_warp_sort_medium_config_static_selectorELNS0_4arch9wavefront6targetE0EEEvSK_.num_vgpr, 0
	.set _ZN7rocprim17ROCPRIM_400000_NS6detail17trampoline_kernelINS0_14default_configENS1_36segmented_radix_sort_config_selectorIhlEEZNS1_25segmented_radix_sort_implIS3_Lb0EPKhPhPKlPlN2at6native12_GLOBAL__N_18offset_tEEE10hipError_tPvRmT1_PNSt15iterator_traitsISK_E10value_typeET2_T3_PNSL_ISQ_E10value_typeET4_jRbjT5_SW_jjP12ihipStream_tbEUlT_E0_NS1_11comp_targetILNS1_3genE2ELNS1_11target_archE906ELNS1_3gpuE6ELNS1_3repE0EEENS1_60segmented_radix_sort_warp_sort_medium_config_static_selectorELNS0_4arch9wavefront6targetE0EEEvSK_.num_agpr, 0
	.set _ZN7rocprim17ROCPRIM_400000_NS6detail17trampoline_kernelINS0_14default_configENS1_36segmented_radix_sort_config_selectorIhlEEZNS1_25segmented_radix_sort_implIS3_Lb0EPKhPhPKlPlN2at6native12_GLOBAL__N_18offset_tEEE10hipError_tPvRmT1_PNSt15iterator_traitsISK_E10value_typeET2_T3_PNSL_ISQ_E10value_typeET4_jRbjT5_SW_jjP12ihipStream_tbEUlT_E0_NS1_11comp_targetILNS1_3genE2ELNS1_11target_archE906ELNS1_3gpuE6ELNS1_3repE0EEENS1_60segmented_radix_sort_warp_sort_medium_config_static_selectorELNS0_4arch9wavefront6targetE0EEEvSK_.numbered_sgpr, 0
	.set _ZN7rocprim17ROCPRIM_400000_NS6detail17trampoline_kernelINS0_14default_configENS1_36segmented_radix_sort_config_selectorIhlEEZNS1_25segmented_radix_sort_implIS3_Lb0EPKhPhPKlPlN2at6native12_GLOBAL__N_18offset_tEEE10hipError_tPvRmT1_PNSt15iterator_traitsISK_E10value_typeET2_T3_PNSL_ISQ_E10value_typeET4_jRbjT5_SW_jjP12ihipStream_tbEUlT_E0_NS1_11comp_targetILNS1_3genE2ELNS1_11target_archE906ELNS1_3gpuE6ELNS1_3repE0EEENS1_60segmented_radix_sort_warp_sort_medium_config_static_selectorELNS0_4arch9wavefront6targetE0EEEvSK_.num_named_barrier, 0
	.set _ZN7rocprim17ROCPRIM_400000_NS6detail17trampoline_kernelINS0_14default_configENS1_36segmented_radix_sort_config_selectorIhlEEZNS1_25segmented_radix_sort_implIS3_Lb0EPKhPhPKlPlN2at6native12_GLOBAL__N_18offset_tEEE10hipError_tPvRmT1_PNSt15iterator_traitsISK_E10value_typeET2_T3_PNSL_ISQ_E10value_typeET4_jRbjT5_SW_jjP12ihipStream_tbEUlT_E0_NS1_11comp_targetILNS1_3genE2ELNS1_11target_archE906ELNS1_3gpuE6ELNS1_3repE0EEENS1_60segmented_radix_sort_warp_sort_medium_config_static_selectorELNS0_4arch9wavefront6targetE0EEEvSK_.private_seg_size, 0
	.set _ZN7rocprim17ROCPRIM_400000_NS6detail17trampoline_kernelINS0_14default_configENS1_36segmented_radix_sort_config_selectorIhlEEZNS1_25segmented_radix_sort_implIS3_Lb0EPKhPhPKlPlN2at6native12_GLOBAL__N_18offset_tEEE10hipError_tPvRmT1_PNSt15iterator_traitsISK_E10value_typeET2_T3_PNSL_ISQ_E10value_typeET4_jRbjT5_SW_jjP12ihipStream_tbEUlT_E0_NS1_11comp_targetILNS1_3genE2ELNS1_11target_archE906ELNS1_3gpuE6ELNS1_3repE0EEENS1_60segmented_radix_sort_warp_sort_medium_config_static_selectorELNS0_4arch9wavefront6targetE0EEEvSK_.uses_vcc, 0
	.set _ZN7rocprim17ROCPRIM_400000_NS6detail17trampoline_kernelINS0_14default_configENS1_36segmented_radix_sort_config_selectorIhlEEZNS1_25segmented_radix_sort_implIS3_Lb0EPKhPhPKlPlN2at6native12_GLOBAL__N_18offset_tEEE10hipError_tPvRmT1_PNSt15iterator_traitsISK_E10value_typeET2_T3_PNSL_ISQ_E10value_typeET4_jRbjT5_SW_jjP12ihipStream_tbEUlT_E0_NS1_11comp_targetILNS1_3genE2ELNS1_11target_archE906ELNS1_3gpuE6ELNS1_3repE0EEENS1_60segmented_radix_sort_warp_sort_medium_config_static_selectorELNS0_4arch9wavefront6targetE0EEEvSK_.uses_flat_scratch, 0
	.set _ZN7rocprim17ROCPRIM_400000_NS6detail17trampoline_kernelINS0_14default_configENS1_36segmented_radix_sort_config_selectorIhlEEZNS1_25segmented_radix_sort_implIS3_Lb0EPKhPhPKlPlN2at6native12_GLOBAL__N_18offset_tEEE10hipError_tPvRmT1_PNSt15iterator_traitsISK_E10value_typeET2_T3_PNSL_ISQ_E10value_typeET4_jRbjT5_SW_jjP12ihipStream_tbEUlT_E0_NS1_11comp_targetILNS1_3genE2ELNS1_11target_archE906ELNS1_3gpuE6ELNS1_3repE0EEENS1_60segmented_radix_sort_warp_sort_medium_config_static_selectorELNS0_4arch9wavefront6targetE0EEEvSK_.has_dyn_sized_stack, 0
	.set _ZN7rocprim17ROCPRIM_400000_NS6detail17trampoline_kernelINS0_14default_configENS1_36segmented_radix_sort_config_selectorIhlEEZNS1_25segmented_radix_sort_implIS3_Lb0EPKhPhPKlPlN2at6native12_GLOBAL__N_18offset_tEEE10hipError_tPvRmT1_PNSt15iterator_traitsISK_E10value_typeET2_T3_PNSL_ISQ_E10value_typeET4_jRbjT5_SW_jjP12ihipStream_tbEUlT_E0_NS1_11comp_targetILNS1_3genE2ELNS1_11target_archE906ELNS1_3gpuE6ELNS1_3repE0EEENS1_60segmented_radix_sort_warp_sort_medium_config_static_selectorELNS0_4arch9wavefront6targetE0EEEvSK_.has_recursion, 0
	.set _ZN7rocprim17ROCPRIM_400000_NS6detail17trampoline_kernelINS0_14default_configENS1_36segmented_radix_sort_config_selectorIhlEEZNS1_25segmented_radix_sort_implIS3_Lb0EPKhPhPKlPlN2at6native12_GLOBAL__N_18offset_tEEE10hipError_tPvRmT1_PNSt15iterator_traitsISK_E10value_typeET2_T3_PNSL_ISQ_E10value_typeET4_jRbjT5_SW_jjP12ihipStream_tbEUlT_E0_NS1_11comp_targetILNS1_3genE2ELNS1_11target_archE906ELNS1_3gpuE6ELNS1_3repE0EEENS1_60segmented_radix_sort_warp_sort_medium_config_static_selectorELNS0_4arch9wavefront6targetE0EEEvSK_.has_indirect_call, 0
	.section	.AMDGPU.csdata,"",@progbits
; Kernel info:
; codeLenInByte = 0
; TotalNumSgprs: 0
; NumVgprs: 0
; ScratchSize: 0
; MemoryBound: 0
; FloatMode: 240
; IeeeMode: 1
; LDSByteSize: 0 bytes/workgroup (compile time only)
; SGPRBlocks: 0
; VGPRBlocks: 0
; NumSGPRsForWavesPerEU: 1
; NumVGPRsForWavesPerEU: 1
; NamedBarCnt: 0
; Occupancy: 16
; WaveLimiterHint : 0
; COMPUTE_PGM_RSRC2:SCRATCH_EN: 0
; COMPUTE_PGM_RSRC2:USER_SGPR: 2
; COMPUTE_PGM_RSRC2:TRAP_HANDLER: 0
; COMPUTE_PGM_RSRC2:TGID_X_EN: 1
; COMPUTE_PGM_RSRC2:TGID_Y_EN: 0
; COMPUTE_PGM_RSRC2:TGID_Z_EN: 0
; COMPUTE_PGM_RSRC2:TIDIG_COMP_CNT: 0
	.section	.text._ZN7rocprim17ROCPRIM_400000_NS6detail17trampoline_kernelINS0_14default_configENS1_36segmented_radix_sort_config_selectorIhlEEZNS1_25segmented_radix_sort_implIS3_Lb0EPKhPhPKlPlN2at6native12_GLOBAL__N_18offset_tEEE10hipError_tPvRmT1_PNSt15iterator_traitsISK_E10value_typeET2_T3_PNSL_ISQ_E10value_typeET4_jRbjT5_SW_jjP12ihipStream_tbEUlT_E0_NS1_11comp_targetILNS1_3genE10ELNS1_11target_archE1201ELNS1_3gpuE5ELNS1_3repE0EEENS1_60segmented_radix_sort_warp_sort_medium_config_static_selectorELNS0_4arch9wavefront6targetE0EEEvSK_,"axG",@progbits,_ZN7rocprim17ROCPRIM_400000_NS6detail17trampoline_kernelINS0_14default_configENS1_36segmented_radix_sort_config_selectorIhlEEZNS1_25segmented_radix_sort_implIS3_Lb0EPKhPhPKlPlN2at6native12_GLOBAL__N_18offset_tEEE10hipError_tPvRmT1_PNSt15iterator_traitsISK_E10value_typeET2_T3_PNSL_ISQ_E10value_typeET4_jRbjT5_SW_jjP12ihipStream_tbEUlT_E0_NS1_11comp_targetILNS1_3genE10ELNS1_11target_archE1201ELNS1_3gpuE5ELNS1_3repE0EEENS1_60segmented_radix_sort_warp_sort_medium_config_static_selectorELNS0_4arch9wavefront6targetE0EEEvSK_,comdat
	.globl	_ZN7rocprim17ROCPRIM_400000_NS6detail17trampoline_kernelINS0_14default_configENS1_36segmented_radix_sort_config_selectorIhlEEZNS1_25segmented_radix_sort_implIS3_Lb0EPKhPhPKlPlN2at6native12_GLOBAL__N_18offset_tEEE10hipError_tPvRmT1_PNSt15iterator_traitsISK_E10value_typeET2_T3_PNSL_ISQ_E10value_typeET4_jRbjT5_SW_jjP12ihipStream_tbEUlT_E0_NS1_11comp_targetILNS1_3genE10ELNS1_11target_archE1201ELNS1_3gpuE5ELNS1_3repE0EEENS1_60segmented_radix_sort_warp_sort_medium_config_static_selectorELNS0_4arch9wavefront6targetE0EEEvSK_ ; -- Begin function _ZN7rocprim17ROCPRIM_400000_NS6detail17trampoline_kernelINS0_14default_configENS1_36segmented_radix_sort_config_selectorIhlEEZNS1_25segmented_radix_sort_implIS3_Lb0EPKhPhPKlPlN2at6native12_GLOBAL__N_18offset_tEEE10hipError_tPvRmT1_PNSt15iterator_traitsISK_E10value_typeET2_T3_PNSL_ISQ_E10value_typeET4_jRbjT5_SW_jjP12ihipStream_tbEUlT_E0_NS1_11comp_targetILNS1_3genE10ELNS1_11target_archE1201ELNS1_3gpuE5ELNS1_3repE0EEENS1_60segmented_radix_sort_warp_sort_medium_config_static_selectorELNS0_4arch9wavefront6targetE0EEEvSK_
	.p2align	8
	.type	_ZN7rocprim17ROCPRIM_400000_NS6detail17trampoline_kernelINS0_14default_configENS1_36segmented_radix_sort_config_selectorIhlEEZNS1_25segmented_radix_sort_implIS3_Lb0EPKhPhPKlPlN2at6native12_GLOBAL__N_18offset_tEEE10hipError_tPvRmT1_PNSt15iterator_traitsISK_E10value_typeET2_T3_PNSL_ISQ_E10value_typeET4_jRbjT5_SW_jjP12ihipStream_tbEUlT_E0_NS1_11comp_targetILNS1_3genE10ELNS1_11target_archE1201ELNS1_3gpuE5ELNS1_3repE0EEENS1_60segmented_radix_sort_warp_sort_medium_config_static_selectorELNS0_4arch9wavefront6targetE0EEEvSK_,@function
_ZN7rocprim17ROCPRIM_400000_NS6detail17trampoline_kernelINS0_14default_configENS1_36segmented_radix_sort_config_selectorIhlEEZNS1_25segmented_radix_sort_implIS3_Lb0EPKhPhPKlPlN2at6native12_GLOBAL__N_18offset_tEEE10hipError_tPvRmT1_PNSt15iterator_traitsISK_E10value_typeET2_T3_PNSL_ISQ_E10value_typeET4_jRbjT5_SW_jjP12ihipStream_tbEUlT_E0_NS1_11comp_targetILNS1_3genE10ELNS1_11target_archE1201ELNS1_3gpuE5ELNS1_3repE0EEENS1_60segmented_radix_sort_warp_sort_medium_config_static_selectorELNS0_4arch9wavefront6targetE0EEEvSK_: ; @_ZN7rocprim17ROCPRIM_400000_NS6detail17trampoline_kernelINS0_14default_configENS1_36segmented_radix_sort_config_selectorIhlEEZNS1_25segmented_radix_sort_implIS3_Lb0EPKhPhPKlPlN2at6native12_GLOBAL__N_18offset_tEEE10hipError_tPvRmT1_PNSt15iterator_traitsISK_E10value_typeET2_T3_PNSL_ISQ_E10value_typeET4_jRbjT5_SW_jjP12ihipStream_tbEUlT_E0_NS1_11comp_targetILNS1_3genE10ELNS1_11target_archE1201ELNS1_3gpuE5ELNS1_3repE0EEENS1_60segmented_radix_sort_warp_sort_medium_config_static_selectorELNS0_4arch9wavefront6targetE0EEEvSK_
; %bb.0:
	.section	.rodata,"a",@progbits
	.p2align	6, 0x0
	.amdhsa_kernel _ZN7rocprim17ROCPRIM_400000_NS6detail17trampoline_kernelINS0_14default_configENS1_36segmented_radix_sort_config_selectorIhlEEZNS1_25segmented_radix_sort_implIS3_Lb0EPKhPhPKlPlN2at6native12_GLOBAL__N_18offset_tEEE10hipError_tPvRmT1_PNSt15iterator_traitsISK_E10value_typeET2_T3_PNSL_ISQ_E10value_typeET4_jRbjT5_SW_jjP12ihipStream_tbEUlT_E0_NS1_11comp_targetILNS1_3genE10ELNS1_11target_archE1201ELNS1_3gpuE5ELNS1_3repE0EEENS1_60segmented_radix_sort_warp_sort_medium_config_static_selectorELNS0_4arch9wavefront6targetE0EEEvSK_
		.amdhsa_group_segment_fixed_size 0
		.amdhsa_private_segment_fixed_size 0
		.amdhsa_kernarg_size 88
		.amdhsa_user_sgpr_count 2
		.amdhsa_user_sgpr_dispatch_ptr 0
		.amdhsa_user_sgpr_queue_ptr 0
		.amdhsa_user_sgpr_kernarg_segment_ptr 1
		.amdhsa_user_sgpr_dispatch_id 0
		.amdhsa_user_sgpr_kernarg_preload_length 0
		.amdhsa_user_sgpr_kernarg_preload_offset 0
		.amdhsa_user_sgpr_private_segment_size 0
		.amdhsa_wavefront_size32 1
		.amdhsa_uses_dynamic_stack 0
		.amdhsa_enable_private_segment 0
		.amdhsa_system_sgpr_workgroup_id_x 1
		.amdhsa_system_sgpr_workgroup_id_y 0
		.amdhsa_system_sgpr_workgroup_id_z 0
		.amdhsa_system_sgpr_workgroup_info 0
		.amdhsa_system_vgpr_workitem_id 0
		.amdhsa_next_free_vgpr 1
		.amdhsa_next_free_sgpr 1
		.amdhsa_named_barrier_count 0
		.amdhsa_reserve_vcc 0
		.amdhsa_float_round_mode_32 0
		.amdhsa_float_round_mode_16_64 0
		.amdhsa_float_denorm_mode_32 3
		.amdhsa_float_denorm_mode_16_64 3
		.amdhsa_fp16_overflow 0
		.amdhsa_memory_ordered 1
		.amdhsa_forward_progress 1
		.amdhsa_inst_pref_size 0
		.amdhsa_round_robin_scheduling 0
		.amdhsa_exception_fp_ieee_invalid_op 0
		.amdhsa_exception_fp_denorm_src 0
		.amdhsa_exception_fp_ieee_div_zero 0
		.amdhsa_exception_fp_ieee_overflow 0
		.amdhsa_exception_fp_ieee_underflow 0
		.amdhsa_exception_fp_ieee_inexact 0
		.amdhsa_exception_int_div_zero 0
	.end_amdhsa_kernel
	.section	.text._ZN7rocprim17ROCPRIM_400000_NS6detail17trampoline_kernelINS0_14default_configENS1_36segmented_radix_sort_config_selectorIhlEEZNS1_25segmented_radix_sort_implIS3_Lb0EPKhPhPKlPlN2at6native12_GLOBAL__N_18offset_tEEE10hipError_tPvRmT1_PNSt15iterator_traitsISK_E10value_typeET2_T3_PNSL_ISQ_E10value_typeET4_jRbjT5_SW_jjP12ihipStream_tbEUlT_E0_NS1_11comp_targetILNS1_3genE10ELNS1_11target_archE1201ELNS1_3gpuE5ELNS1_3repE0EEENS1_60segmented_radix_sort_warp_sort_medium_config_static_selectorELNS0_4arch9wavefront6targetE0EEEvSK_,"axG",@progbits,_ZN7rocprim17ROCPRIM_400000_NS6detail17trampoline_kernelINS0_14default_configENS1_36segmented_radix_sort_config_selectorIhlEEZNS1_25segmented_radix_sort_implIS3_Lb0EPKhPhPKlPlN2at6native12_GLOBAL__N_18offset_tEEE10hipError_tPvRmT1_PNSt15iterator_traitsISK_E10value_typeET2_T3_PNSL_ISQ_E10value_typeET4_jRbjT5_SW_jjP12ihipStream_tbEUlT_E0_NS1_11comp_targetILNS1_3genE10ELNS1_11target_archE1201ELNS1_3gpuE5ELNS1_3repE0EEENS1_60segmented_radix_sort_warp_sort_medium_config_static_selectorELNS0_4arch9wavefront6targetE0EEEvSK_,comdat
.Lfunc_end201:
	.size	_ZN7rocprim17ROCPRIM_400000_NS6detail17trampoline_kernelINS0_14default_configENS1_36segmented_radix_sort_config_selectorIhlEEZNS1_25segmented_radix_sort_implIS3_Lb0EPKhPhPKlPlN2at6native12_GLOBAL__N_18offset_tEEE10hipError_tPvRmT1_PNSt15iterator_traitsISK_E10value_typeET2_T3_PNSL_ISQ_E10value_typeET4_jRbjT5_SW_jjP12ihipStream_tbEUlT_E0_NS1_11comp_targetILNS1_3genE10ELNS1_11target_archE1201ELNS1_3gpuE5ELNS1_3repE0EEENS1_60segmented_radix_sort_warp_sort_medium_config_static_selectorELNS0_4arch9wavefront6targetE0EEEvSK_, .Lfunc_end201-_ZN7rocprim17ROCPRIM_400000_NS6detail17trampoline_kernelINS0_14default_configENS1_36segmented_radix_sort_config_selectorIhlEEZNS1_25segmented_radix_sort_implIS3_Lb0EPKhPhPKlPlN2at6native12_GLOBAL__N_18offset_tEEE10hipError_tPvRmT1_PNSt15iterator_traitsISK_E10value_typeET2_T3_PNSL_ISQ_E10value_typeET4_jRbjT5_SW_jjP12ihipStream_tbEUlT_E0_NS1_11comp_targetILNS1_3genE10ELNS1_11target_archE1201ELNS1_3gpuE5ELNS1_3repE0EEENS1_60segmented_radix_sort_warp_sort_medium_config_static_selectorELNS0_4arch9wavefront6targetE0EEEvSK_
                                        ; -- End function
	.set _ZN7rocprim17ROCPRIM_400000_NS6detail17trampoline_kernelINS0_14default_configENS1_36segmented_radix_sort_config_selectorIhlEEZNS1_25segmented_radix_sort_implIS3_Lb0EPKhPhPKlPlN2at6native12_GLOBAL__N_18offset_tEEE10hipError_tPvRmT1_PNSt15iterator_traitsISK_E10value_typeET2_T3_PNSL_ISQ_E10value_typeET4_jRbjT5_SW_jjP12ihipStream_tbEUlT_E0_NS1_11comp_targetILNS1_3genE10ELNS1_11target_archE1201ELNS1_3gpuE5ELNS1_3repE0EEENS1_60segmented_radix_sort_warp_sort_medium_config_static_selectorELNS0_4arch9wavefront6targetE0EEEvSK_.num_vgpr, 0
	.set _ZN7rocprim17ROCPRIM_400000_NS6detail17trampoline_kernelINS0_14default_configENS1_36segmented_radix_sort_config_selectorIhlEEZNS1_25segmented_radix_sort_implIS3_Lb0EPKhPhPKlPlN2at6native12_GLOBAL__N_18offset_tEEE10hipError_tPvRmT1_PNSt15iterator_traitsISK_E10value_typeET2_T3_PNSL_ISQ_E10value_typeET4_jRbjT5_SW_jjP12ihipStream_tbEUlT_E0_NS1_11comp_targetILNS1_3genE10ELNS1_11target_archE1201ELNS1_3gpuE5ELNS1_3repE0EEENS1_60segmented_radix_sort_warp_sort_medium_config_static_selectorELNS0_4arch9wavefront6targetE0EEEvSK_.num_agpr, 0
	.set _ZN7rocprim17ROCPRIM_400000_NS6detail17trampoline_kernelINS0_14default_configENS1_36segmented_radix_sort_config_selectorIhlEEZNS1_25segmented_radix_sort_implIS3_Lb0EPKhPhPKlPlN2at6native12_GLOBAL__N_18offset_tEEE10hipError_tPvRmT1_PNSt15iterator_traitsISK_E10value_typeET2_T3_PNSL_ISQ_E10value_typeET4_jRbjT5_SW_jjP12ihipStream_tbEUlT_E0_NS1_11comp_targetILNS1_3genE10ELNS1_11target_archE1201ELNS1_3gpuE5ELNS1_3repE0EEENS1_60segmented_radix_sort_warp_sort_medium_config_static_selectorELNS0_4arch9wavefront6targetE0EEEvSK_.numbered_sgpr, 0
	.set _ZN7rocprim17ROCPRIM_400000_NS6detail17trampoline_kernelINS0_14default_configENS1_36segmented_radix_sort_config_selectorIhlEEZNS1_25segmented_radix_sort_implIS3_Lb0EPKhPhPKlPlN2at6native12_GLOBAL__N_18offset_tEEE10hipError_tPvRmT1_PNSt15iterator_traitsISK_E10value_typeET2_T3_PNSL_ISQ_E10value_typeET4_jRbjT5_SW_jjP12ihipStream_tbEUlT_E0_NS1_11comp_targetILNS1_3genE10ELNS1_11target_archE1201ELNS1_3gpuE5ELNS1_3repE0EEENS1_60segmented_radix_sort_warp_sort_medium_config_static_selectorELNS0_4arch9wavefront6targetE0EEEvSK_.num_named_barrier, 0
	.set _ZN7rocprim17ROCPRIM_400000_NS6detail17trampoline_kernelINS0_14default_configENS1_36segmented_radix_sort_config_selectorIhlEEZNS1_25segmented_radix_sort_implIS3_Lb0EPKhPhPKlPlN2at6native12_GLOBAL__N_18offset_tEEE10hipError_tPvRmT1_PNSt15iterator_traitsISK_E10value_typeET2_T3_PNSL_ISQ_E10value_typeET4_jRbjT5_SW_jjP12ihipStream_tbEUlT_E0_NS1_11comp_targetILNS1_3genE10ELNS1_11target_archE1201ELNS1_3gpuE5ELNS1_3repE0EEENS1_60segmented_radix_sort_warp_sort_medium_config_static_selectorELNS0_4arch9wavefront6targetE0EEEvSK_.private_seg_size, 0
	.set _ZN7rocprim17ROCPRIM_400000_NS6detail17trampoline_kernelINS0_14default_configENS1_36segmented_radix_sort_config_selectorIhlEEZNS1_25segmented_radix_sort_implIS3_Lb0EPKhPhPKlPlN2at6native12_GLOBAL__N_18offset_tEEE10hipError_tPvRmT1_PNSt15iterator_traitsISK_E10value_typeET2_T3_PNSL_ISQ_E10value_typeET4_jRbjT5_SW_jjP12ihipStream_tbEUlT_E0_NS1_11comp_targetILNS1_3genE10ELNS1_11target_archE1201ELNS1_3gpuE5ELNS1_3repE0EEENS1_60segmented_radix_sort_warp_sort_medium_config_static_selectorELNS0_4arch9wavefront6targetE0EEEvSK_.uses_vcc, 0
	.set _ZN7rocprim17ROCPRIM_400000_NS6detail17trampoline_kernelINS0_14default_configENS1_36segmented_radix_sort_config_selectorIhlEEZNS1_25segmented_radix_sort_implIS3_Lb0EPKhPhPKlPlN2at6native12_GLOBAL__N_18offset_tEEE10hipError_tPvRmT1_PNSt15iterator_traitsISK_E10value_typeET2_T3_PNSL_ISQ_E10value_typeET4_jRbjT5_SW_jjP12ihipStream_tbEUlT_E0_NS1_11comp_targetILNS1_3genE10ELNS1_11target_archE1201ELNS1_3gpuE5ELNS1_3repE0EEENS1_60segmented_radix_sort_warp_sort_medium_config_static_selectorELNS0_4arch9wavefront6targetE0EEEvSK_.uses_flat_scratch, 0
	.set _ZN7rocprim17ROCPRIM_400000_NS6detail17trampoline_kernelINS0_14default_configENS1_36segmented_radix_sort_config_selectorIhlEEZNS1_25segmented_radix_sort_implIS3_Lb0EPKhPhPKlPlN2at6native12_GLOBAL__N_18offset_tEEE10hipError_tPvRmT1_PNSt15iterator_traitsISK_E10value_typeET2_T3_PNSL_ISQ_E10value_typeET4_jRbjT5_SW_jjP12ihipStream_tbEUlT_E0_NS1_11comp_targetILNS1_3genE10ELNS1_11target_archE1201ELNS1_3gpuE5ELNS1_3repE0EEENS1_60segmented_radix_sort_warp_sort_medium_config_static_selectorELNS0_4arch9wavefront6targetE0EEEvSK_.has_dyn_sized_stack, 0
	.set _ZN7rocprim17ROCPRIM_400000_NS6detail17trampoline_kernelINS0_14default_configENS1_36segmented_radix_sort_config_selectorIhlEEZNS1_25segmented_radix_sort_implIS3_Lb0EPKhPhPKlPlN2at6native12_GLOBAL__N_18offset_tEEE10hipError_tPvRmT1_PNSt15iterator_traitsISK_E10value_typeET2_T3_PNSL_ISQ_E10value_typeET4_jRbjT5_SW_jjP12ihipStream_tbEUlT_E0_NS1_11comp_targetILNS1_3genE10ELNS1_11target_archE1201ELNS1_3gpuE5ELNS1_3repE0EEENS1_60segmented_radix_sort_warp_sort_medium_config_static_selectorELNS0_4arch9wavefront6targetE0EEEvSK_.has_recursion, 0
	.set _ZN7rocprim17ROCPRIM_400000_NS6detail17trampoline_kernelINS0_14default_configENS1_36segmented_radix_sort_config_selectorIhlEEZNS1_25segmented_radix_sort_implIS3_Lb0EPKhPhPKlPlN2at6native12_GLOBAL__N_18offset_tEEE10hipError_tPvRmT1_PNSt15iterator_traitsISK_E10value_typeET2_T3_PNSL_ISQ_E10value_typeET4_jRbjT5_SW_jjP12ihipStream_tbEUlT_E0_NS1_11comp_targetILNS1_3genE10ELNS1_11target_archE1201ELNS1_3gpuE5ELNS1_3repE0EEENS1_60segmented_radix_sort_warp_sort_medium_config_static_selectorELNS0_4arch9wavefront6targetE0EEEvSK_.has_indirect_call, 0
	.section	.AMDGPU.csdata,"",@progbits
; Kernel info:
; codeLenInByte = 0
; TotalNumSgprs: 0
; NumVgprs: 0
; ScratchSize: 0
; MemoryBound: 0
; FloatMode: 240
; IeeeMode: 1
; LDSByteSize: 0 bytes/workgroup (compile time only)
; SGPRBlocks: 0
; VGPRBlocks: 0
; NumSGPRsForWavesPerEU: 1
; NumVGPRsForWavesPerEU: 1
; NamedBarCnt: 0
; Occupancy: 16
; WaveLimiterHint : 0
; COMPUTE_PGM_RSRC2:SCRATCH_EN: 0
; COMPUTE_PGM_RSRC2:USER_SGPR: 2
; COMPUTE_PGM_RSRC2:TRAP_HANDLER: 0
; COMPUTE_PGM_RSRC2:TGID_X_EN: 1
; COMPUTE_PGM_RSRC2:TGID_Y_EN: 0
; COMPUTE_PGM_RSRC2:TGID_Z_EN: 0
; COMPUTE_PGM_RSRC2:TIDIG_COMP_CNT: 0
	.section	.text._ZN7rocprim17ROCPRIM_400000_NS6detail17trampoline_kernelINS0_14default_configENS1_36segmented_radix_sort_config_selectorIhlEEZNS1_25segmented_radix_sort_implIS3_Lb0EPKhPhPKlPlN2at6native12_GLOBAL__N_18offset_tEEE10hipError_tPvRmT1_PNSt15iterator_traitsISK_E10value_typeET2_T3_PNSL_ISQ_E10value_typeET4_jRbjT5_SW_jjP12ihipStream_tbEUlT_E0_NS1_11comp_targetILNS1_3genE10ELNS1_11target_archE1200ELNS1_3gpuE4ELNS1_3repE0EEENS1_60segmented_radix_sort_warp_sort_medium_config_static_selectorELNS0_4arch9wavefront6targetE0EEEvSK_,"axG",@progbits,_ZN7rocprim17ROCPRIM_400000_NS6detail17trampoline_kernelINS0_14default_configENS1_36segmented_radix_sort_config_selectorIhlEEZNS1_25segmented_radix_sort_implIS3_Lb0EPKhPhPKlPlN2at6native12_GLOBAL__N_18offset_tEEE10hipError_tPvRmT1_PNSt15iterator_traitsISK_E10value_typeET2_T3_PNSL_ISQ_E10value_typeET4_jRbjT5_SW_jjP12ihipStream_tbEUlT_E0_NS1_11comp_targetILNS1_3genE10ELNS1_11target_archE1200ELNS1_3gpuE4ELNS1_3repE0EEENS1_60segmented_radix_sort_warp_sort_medium_config_static_selectorELNS0_4arch9wavefront6targetE0EEEvSK_,comdat
	.globl	_ZN7rocprim17ROCPRIM_400000_NS6detail17trampoline_kernelINS0_14default_configENS1_36segmented_radix_sort_config_selectorIhlEEZNS1_25segmented_radix_sort_implIS3_Lb0EPKhPhPKlPlN2at6native12_GLOBAL__N_18offset_tEEE10hipError_tPvRmT1_PNSt15iterator_traitsISK_E10value_typeET2_T3_PNSL_ISQ_E10value_typeET4_jRbjT5_SW_jjP12ihipStream_tbEUlT_E0_NS1_11comp_targetILNS1_3genE10ELNS1_11target_archE1200ELNS1_3gpuE4ELNS1_3repE0EEENS1_60segmented_radix_sort_warp_sort_medium_config_static_selectorELNS0_4arch9wavefront6targetE0EEEvSK_ ; -- Begin function _ZN7rocprim17ROCPRIM_400000_NS6detail17trampoline_kernelINS0_14default_configENS1_36segmented_radix_sort_config_selectorIhlEEZNS1_25segmented_radix_sort_implIS3_Lb0EPKhPhPKlPlN2at6native12_GLOBAL__N_18offset_tEEE10hipError_tPvRmT1_PNSt15iterator_traitsISK_E10value_typeET2_T3_PNSL_ISQ_E10value_typeET4_jRbjT5_SW_jjP12ihipStream_tbEUlT_E0_NS1_11comp_targetILNS1_3genE10ELNS1_11target_archE1200ELNS1_3gpuE4ELNS1_3repE0EEENS1_60segmented_radix_sort_warp_sort_medium_config_static_selectorELNS0_4arch9wavefront6targetE0EEEvSK_
	.p2align	8
	.type	_ZN7rocprim17ROCPRIM_400000_NS6detail17trampoline_kernelINS0_14default_configENS1_36segmented_radix_sort_config_selectorIhlEEZNS1_25segmented_radix_sort_implIS3_Lb0EPKhPhPKlPlN2at6native12_GLOBAL__N_18offset_tEEE10hipError_tPvRmT1_PNSt15iterator_traitsISK_E10value_typeET2_T3_PNSL_ISQ_E10value_typeET4_jRbjT5_SW_jjP12ihipStream_tbEUlT_E0_NS1_11comp_targetILNS1_3genE10ELNS1_11target_archE1200ELNS1_3gpuE4ELNS1_3repE0EEENS1_60segmented_radix_sort_warp_sort_medium_config_static_selectorELNS0_4arch9wavefront6targetE0EEEvSK_,@function
_ZN7rocprim17ROCPRIM_400000_NS6detail17trampoline_kernelINS0_14default_configENS1_36segmented_radix_sort_config_selectorIhlEEZNS1_25segmented_radix_sort_implIS3_Lb0EPKhPhPKlPlN2at6native12_GLOBAL__N_18offset_tEEE10hipError_tPvRmT1_PNSt15iterator_traitsISK_E10value_typeET2_T3_PNSL_ISQ_E10value_typeET4_jRbjT5_SW_jjP12ihipStream_tbEUlT_E0_NS1_11comp_targetILNS1_3genE10ELNS1_11target_archE1200ELNS1_3gpuE4ELNS1_3repE0EEENS1_60segmented_radix_sort_warp_sort_medium_config_static_selectorELNS0_4arch9wavefront6targetE0EEEvSK_: ; @_ZN7rocprim17ROCPRIM_400000_NS6detail17trampoline_kernelINS0_14default_configENS1_36segmented_radix_sort_config_selectorIhlEEZNS1_25segmented_radix_sort_implIS3_Lb0EPKhPhPKlPlN2at6native12_GLOBAL__N_18offset_tEEE10hipError_tPvRmT1_PNSt15iterator_traitsISK_E10value_typeET2_T3_PNSL_ISQ_E10value_typeET4_jRbjT5_SW_jjP12ihipStream_tbEUlT_E0_NS1_11comp_targetILNS1_3genE10ELNS1_11target_archE1200ELNS1_3gpuE4ELNS1_3repE0EEENS1_60segmented_radix_sort_warp_sort_medium_config_static_selectorELNS0_4arch9wavefront6targetE0EEEvSK_
; %bb.0:
	.section	.rodata,"a",@progbits
	.p2align	6, 0x0
	.amdhsa_kernel _ZN7rocprim17ROCPRIM_400000_NS6detail17trampoline_kernelINS0_14default_configENS1_36segmented_radix_sort_config_selectorIhlEEZNS1_25segmented_radix_sort_implIS3_Lb0EPKhPhPKlPlN2at6native12_GLOBAL__N_18offset_tEEE10hipError_tPvRmT1_PNSt15iterator_traitsISK_E10value_typeET2_T3_PNSL_ISQ_E10value_typeET4_jRbjT5_SW_jjP12ihipStream_tbEUlT_E0_NS1_11comp_targetILNS1_3genE10ELNS1_11target_archE1200ELNS1_3gpuE4ELNS1_3repE0EEENS1_60segmented_radix_sort_warp_sort_medium_config_static_selectorELNS0_4arch9wavefront6targetE0EEEvSK_
		.amdhsa_group_segment_fixed_size 0
		.amdhsa_private_segment_fixed_size 0
		.amdhsa_kernarg_size 88
		.amdhsa_user_sgpr_count 2
		.amdhsa_user_sgpr_dispatch_ptr 0
		.amdhsa_user_sgpr_queue_ptr 0
		.amdhsa_user_sgpr_kernarg_segment_ptr 1
		.amdhsa_user_sgpr_dispatch_id 0
		.amdhsa_user_sgpr_kernarg_preload_length 0
		.amdhsa_user_sgpr_kernarg_preload_offset 0
		.amdhsa_user_sgpr_private_segment_size 0
		.amdhsa_wavefront_size32 1
		.amdhsa_uses_dynamic_stack 0
		.amdhsa_enable_private_segment 0
		.amdhsa_system_sgpr_workgroup_id_x 1
		.amdhsa_system_sgpr_workgroup_id_y 0
		.amdhsa_system_sgpr_workgroup_id_z 0
		.amdhsa_system_sgpr_workgroup_info 0
		.amdhsa_system_vgpr_workitem_id 0
		.amdhsa_next_free_vgpr 1
		.amdhsa_next_free_sgpr 1
		.amdhsa_named_barrier_count 0
		.amdhsa_reserve_vcc 0
		.amdhsa_float_round_mode_32 0
		.amdhsa_float_round_mode_16_64 0
		.amdhsa_float_denorm_mode_32 3
		.amdhsa_float_denorm_mode_16_64 3
		.amdhsa_fp16_overflow 0
		.amdhsa_memory_ordered 1
		.amdhsa_forward_progress 1
		.amdhsa_inst_pref_size 0
		.amdhsa_round_robin_scheduling 0
		.amdhsa_exception_fp_ieee_invalid_op 0
		.amdhsa_exception_fp_denorm_src 0
		.amdhsa_exception_fp_ieee_div_zero 0
		.amdhsa_exception_fp_ieee_overflow 0
		.amdhsa_exception_fp_ieee_underflow 0
		.amdhsa_exception_fp_ieee_inexact 0
		.amdhsa_exception_int_div_zero 0
	.end_amdhsa_kernel
	.section	.text._ZN7rocprim17ROCPRIM_400000_NS6detail17trampoline_kernelINS0_14default_configENS1_36segmented_radix_sort_config_selectorIhlEEZNS1_25segmented_radix_sort_implIS3_Lb0EPKhPhPKlPlN2at6native12_GLOBAL__N_18offset_tEEE10hipError_tPvRmT1_PNSt15iterator_traitsISK_E10value_typeET2_T3_PNSL_ISQ_E10value_typeET4_jRbjT5_SW_jjP12ihipStream_tbEUlT_E0_NS1_11comp_targetILNS1_3genE10ELNS1_11target_archE1200ELNS1_3gpuE4ELNS1_3repE0EEENS1_60segmented_radix_sort_warp_sort_medium_config_static_selectorELNS0_4arch9wavefront6targetE0EEEvSK_,"axG",@progbits,_ZN7rocprim17ROCPRIM_400000_NS6detail17trampoline_kernelINS0_14default_configENS1_36segmented_radix_sort_config_selectorIhlEEZNS1_25segmented_radix_sort_implIS3_Lb0EPKhPhPKlPlN2at6native12_GLOBAL__N_18offset_tEEE10hipError_tPvRmT1_PNSt15iterator_traitsISK_E10value_typeET2_T3_PNSL_ISQ_E10value_typeET4_jRbjT5_SW_jjP12ihipStream_tbEUlT_E0_NS1_11comp_targetILNS1_3genE10ELNS1_11target_archE1200ELNS1_3gpuE4ELNS1_3repE0EEENS1_60segmented_radix_sort_warp_sort_medium_config_static_selectorELNS0_4arch9wavefront6targetE0EEEvSK_,comdat
.Lfunc_end202:
	.size	_ZN7rocprim17ROCPRIM_400000_NS6detail17trampoline_kernelINS0_14default_configENS1_36segmented_radix_sort_config_selectorIhlEEZNS1_25segmented_radix_sort_implIS3_Lb0EPKhPhPKlPlN2at6native12_GLOBAL__N_18offset_tEEE10hipError_tPvRmT1_PNSt15iterator_traitsISK_E10value_typeET2_T3_PNSL_ISQ_E10value_typeET4_jRbjT5_SW_jjP12ihipStream_tbEUlT_E0_NS1_11comp_targetILNS1_3genE10ELNS1_11target_archE1200ELNS1_3gpuE4ELNS1_3repE0EEENS1_60segmented_radix_sort_warp_sort_medium_config_static_selectorELNS0_4arch9wavefront6targetE0EEEvSK_, .Lfunc_end202-_ZN7rocprim17ROCPRIM_400000_NS6detail17trampoline_kernelINS0_14default_configENS1_36segmented_radix_sort_config_selectorIhlEEZNS1_25segmented_radix_sort_implIS3_Lb0EPKhPhPKlPlN2at6native12_GLOBAL__N_18offset_tEEE10hipError_tPvRmT1_PNSt15iterator_traitsISK_E10value_typeET2_T3_PNSL_ISQ_E10value_typeET4_jRbjT5_SW_jjP12ihipStream_tbEUlT_E0_NS1_11comp_targetILNS1_3genE10ELNS1_11target_archE1200ELNS1_3gpuE4ELNS1_3repE0EEENS1_60segmented_radix_sort_warp_sort_medium_config_static_selectorELNS0_4arch9wavefront6targetE0EEEvSK_
                                        ; -- End function
	.set _ZN7rocprim17ROCPRIM_400000_NS6detail17trampoline_kernelINS0_14default_configENS1_36segmented_radix_sort_config_selectorIhlEEZNS1_25segmented_radix_sort_implIS3_Lb0EPKhPhPKlPlN2at6native12_GLOBAL__N_18offset_tEEE10hipError_tPvRmT1_PNSt15iterator_traitsISK_E10value_typeET2_T3_PNSL_ISQ_E10value_typeET4_jRbjT5_SW_jjP12ihipStream_tbEUlT_E0_NS1_11comp_targetILNS1_3genE10ELNS1_11target_archE1200ELNS1_3gpuE4ELNS1_3repE0EEENS1_60segmented_radix_sort_warp_sort_medium_config_static_selectorELNS0_4arch9wavefront6targetE0EEEvSK_.num_vgpr, 0
	.set _ZN7rocprim17ROCPRIM_400000_NS6detail17trampoline_kernelINS0_14default_configENS1_36segmented_radix_sort_config_selectorIhlEEZNS1_25segmented_radix_sort_implIS3_Lb0EPKhPhPKlPlN2at6native12_GLOBAL__N_18offset_tEEE10hipError_tPvRmT1_PNSt15iterator_traitsISK_E10value_typeET2_T3_PNSL_ISQ_E10value_typeET4_jRbjT5_SW_jjP12ihipStream_tbEUlT_E0_NS1_11comp_targetILNS1_3genE10ELNS1_11target_archE1200ELNS1_3gpuE4ELNS1_3repE0EEENS1_60segmented_radix_sort_warp_sort_medium_config_static_selectorELNS0_4arch9wavefront6targetE0EEEvSK_.num_agpr, 0
	.set _ZN7rocprim17ROCPRIM_400000_NS6detail17trampoline_kernelINS0_14default_configENS1_36segmented_radix_sort_config_selectorIhlEEZNS1_25segmented_radix_sort_implIS3_Lb0EPKhPhPKlPlN2at6native12_GLOBAL__N_18offset_tEEE10hipError_tPvRmT1_PNSt15iterator_traitsISK_E10value_typeET2_T3_PNSL_ISQ_E10value_typeET4_jRbjT5_SW_jjP12ihipStream_tbEUlT_E0_NS1_11comp_targetILNS1_3genE10ELNS1_11target_archE1200ELNS1_3gpuE4ELNS1_3repE0EEENS1_60segmented_radix_sort_warp_sort_medium_config_static_selectorELNS0_4arch9wavefront6targetE0EEEvSK_.numbered_sgpr, 0
	.set _ZN7rocprim17ROCPRIM_400000_NS6detail17trampoline_kernelINS0_14default_configENS1_36segmented_radix_sort_config_selectorIhlEEZNS1_25segmented_radix_sort_implIS3_Lb0EPKhPhPKlPlN2at6native12_GLOBAL__N_18offset_tEEE10hipError_tPvRmT1_PNSt15iterator_traitsISK_E10value_typeET2_T3_PNSL_ISQ_E10value_typeET4_jRbjT5_SW_jjP12ihipStream_tbEUlT_E0_NS1_11comp_targetILNS1_3genE10ELNS1_11target_archE1200ELNS1_3gpuE4ELNS1_3repE0EEENS1_60segmented_radix_sort_warp_sort_medium_config_static_selectorELNS0_4arch9wavefront6targetE0EEEvSK_.num_named_barrier, 0
	.set _ZN7rocprim17ROCPRIM_400000_NS6detail17trampoline_kernelINS0_14default_configENS1_36segmented_radix_sort_config_selectorIhlEEZNS1_25segmented_radix_sort_implIS3_Lb0EPKhPhPKlPlN2at6native12_GLOBAL__N_18offset_tEEE10hipError_tPvRmT1_PNSt15iterator_traitsISK_E10value_typeET2_T3_PNSL_ISQ_E10value_typeET4_jRbjT5_SW_jjP12ihipStream_tbEUlT_E0_NS1_11comp_targetILNS1_3genE10ELNS1_11target_archE1200ELNS1_3gpuE4ELNS1_3repE0EEENS1_60segmented_radix_sort_warp_sort_medium_config_static_selectorELNS0_4arch9wavefront6targetE0EEEvSK_.private_seg_size, 0
	.set _ZN7rocprim17ROCPRIM_400000_NS6detail17trampoline_kernelINS0_14default_configENS1_36segmented_radix_sort_config_selectorIhlEEZNS1_25segmented_radix_sort_implIS3_Lb0EPKhPhPKlPlN2at6native12_GLOBAL__N_18offset_tEEE10hipError_tPvRmT1_PNSt15iterator_traitsISK_E10value_typeET2_T3_PNSL_ISQ_E10value_typeET4_jRbjT5_SW_jjP12ihipStream_tbEUlT_E0_NS1_11comp_targetILNS1_3genE10ELNS1_11target_archE1200ELNS1_3gpuE4ELNS1_3repE0EEENS1_60segmented_radix_sort_warp_sort_medium_config_static_selectorELNS0_4arch9wavefront6targetE0EEEvSK_.uses_vcc, 0
	.set _ZN7rocprim17ROCPRIM_400000_NS6detail17trampoline_kernelINS0_14default_configENS1_36segmented_radix_sort_config_selectorIhlEEZNS1_25segmented_radix_sort_implIS3_Lb0EPKhPhPKlPlN2at6native12_GLOBAL__N_18offset_tEEE10hipError_tPvRmT1_PNSt15iterator_traitsISK_E10value_typeET2_T3_PNSL_ISQ_E10value_typeET4_jRbjT5_SW_jjP12ihipStream_tbEUlT_E0_NS1_11comp_targetILNS1_3genE10ELNS1_11target_archE1200ELNS1_3gpuE4ELNS1_3repE0EEENS1_60segmented_radix_sort_warp_sort_medium_config_static_selectorELNS0_4arch9wavefront6targetE0EEEvSK_.uses_flat_scratch, 0
	.set _ZN7rocprim17ROCPRIM_400000_NS6detail17trampoline_kernelINS0_14default_configENS1_36segmented_radix_sort_config_selectorIhlEEZNS1_25segmented_radix_sort_implIS3_Lb0EPKhPhPKlPlN2at6native12_GLOBAL__N_18offset_tEEE10hipError_tPvRmT1_PNSt15iterator_traitsISK_E10value_typeET2_T3_PNSL_ISQ_E10value_typeET4_jRbjT5_SW_jjP12ihipStream_tbEUlT_E0_NS1_11comp_targetILNS1_3genE10ELNS1_11target_archE1200ELNS1_3gpuE4ELNS1_3repE0EEENS1_60segmented_radix_sort_warp_sort_medium_config_static_selectorELNS0_4arch9wavefront6targetE0EEEvSK_.has_dyn_sized_stack, 0
	.set _ZN7rocprim17ROCPRIM_400000_NS6detail17trampoline_kernelINS0_14default_configENS1_36segmented_radix_sort_config_selectorIhlEEZNS1_25segmented_radix_sort_implIS3_Lb0EPKhPhPKlPlN2at6native12_GLOBAL__N_18offset_tEEE10hipError_tPvRmT1_PNSt15iterator_traitsISK_E10value_typeET2_T3_PNSL_ISQ_E10value_typeET4_jRbjT5_SW_jjP12ihipStream_tbEUlT_E0_NS1_11comp_targetILNS1_3genE10ELNS1_11target_archE1200ELNS1_3gpuE4ELNS1_3repE0EEENS1_60segmented_radix_sort_warp_sort_medium_config_static_selectorELNS0_4arch9wavefront6targetE0EEEvSK_.has_recursion, 0
	.set _ZN7rocprim17ROCPRIM_400000_NS6detail17trampoline_kernelINS0_14default_configENS1_36segmented_radix_sort_config_selectorIhlEEZNS1_25segmented_radix_sort_implIS3_Lb0EPKhPhPKlPlN2at6native12_GLOBAL__N_18offset_tEEE10hipError_tPvRmT1_PNSt15iterator_traitsISK_E10value_typeET2_T3_PNSL_ISQ_E10value_typeET4_jRbjT5_SW_jjP12ihipStream_tbEUlT_E0_NS1_11comp_targetILNS1_3genE10ELNS1_11target_archE1200ELNS1_3gpuE4ELNS1_3repE0EEENS1_60segmented_radix_sort_warp_sort_medium_config_static_selectorELNS0_4arch9wavefront6targetE0EEEvSK_.has_indirect_call, 0
	.section	.AMDGPU.csdata,"",@progbits
; Kernel info:
; codeLenInByte = 0
; TotalNumSgprs: 0
; NumVgprs: 0
; ScratchSize: 0
; MemoryBound: 0
; FloatMode: 240
; IeeeMode: 1
; LDSByteSize: 0 bytes/workgroup (compile time only)
; SGPRBlocks: 0
; VGPRBlocks: 0
; NumSGPRsForWavesPerEU: 1
; NumVGPRsForWavesPerEU: 1
; NamedBarCnt: 0
; Occupancy: 16
; WaveLimiterHint : 0
; COMPUTE_PGM_RSRC2:SCRATCH_EN: 0
; COMPUTE_PGM_RSRC2:USER_SGPR: 2
; COMPUTE_PGM_RSRC2:TRAP_HANDLER: 0
; COMPUTE_PGM_RSRC2:TGID_X_EN: 1
; COMPUTE_PGM_RSRC2:TGID_Y_EN: 0
; COMPUTE_PGM_RSRC2:TGID_Z_EN: 0
; COMPUTE_PGM_RSRC2:TIDIG_COMP_CNT: 0
	.section	.text._ZN7rocprim17ROCPRIM_400000_NS6detail17trampoline_kernelINS0_14default_configENS1_36segmented_radix_sort_config_selectorIhlEEZNS1_25segmented_radix_sort_implIS3_Lb0EPKhPhPKlPlN2at6native12_GLOBAL__N_18offset_tEEE10hipError_tPvRmT1_PNSt15iterator_traitsISK_E10value_typeET2_T3_PNSL_ISQ_E10value_typeET4_jRbjT5_SW_jjP12ihipStream_tbEUlT_E0_NS1_11comp_targetILNS1_3genE9ELNS1_11target_archE1100ELNS1_3gpuE3ELNS1_3repE0EEENS1_60segmented_radix_sort_warp_sort_medium_config_static_selectorELNS0_4arch9wavefront6targetE0EEEvSK_,"axG",@progbits,_ZN7rocprim17ROCPRIM_400000_NS6detail17trampoline_kernelINS0_14default_configENS1_36segmented_radix_sort_config_selectorIhlEEZNS1_25segmented_radix_sort_implIS3_Lb0EPKhPhPKlPlN2at6native12_GLOBAL__N_18offset_tEEE10hipError_tPvRmT1_PNSt15iterator_traitsISK_E10value_typeET2_T3_PNSL_ISQ_E10value_typeET4_jRbjT5_SW_jjP12ihipStream_tbEUlT_E0_NS1_11comp_targetILNS1_3genE9ELNS1_11target_archE1100ELNS1_3gpuE3ELNS1_3repE0EEENS1_60segmented_radix_sort_warp_sort_medium_config_static_selectorELNS0_4arch9wavefront6targetE0EEEvSK_,comdat
	.globl	_ZN7rocprim17ROCPRIM_400000_NS6detail17trampoline_kernelINS0_14default_configENS1_36segmented_radix_sort_config_selectorIhlEEZNS1_25segmented_radix_sort_implIS3_Lb0EPKhPhPKlPlN2at6native12_GLOBAL__N_18offset_tEEE10hipError_tPvRmT1_PNSt15iterator_traitsISK_E10value_typeET2_T3_PNSL_ISQ_E10value_typeET4_jRbjT5_SW_jjP12ihipStream_tbEUlT_E0_NS1_11comp_targetILNS1_3genE9ELNS1_11target_archE1100ELNS1_3gpuE3ELNS1_3repE0EEENS1_60segmented_radix_sort_warp_sort_medium_config_static_selectorELNS0_4arch9wavefront6targetE0EEEvSK_ ; -- Begin function _ZN7rocprim17ROCPRIM_400000_NS6detail17trampoline_kernelINS0_14default_configENS1_36segmented_radix_sort_config_selectorIhlEEZNS1_25segmented_radix_sort_implIS3_Lb0EPKhPhPKlPlN2at6native12_GLOBAL__N_18offset_tEEE10hipError_tPvRmT1_PNSt15iterator_traitsISK_E10value_typeET2_T3_PNSL_ISQ_E10value_typeET4_jRbjT5_SW_jjP12ihipStream_tbEUlT_E0_NS1_11comp_targetILNS1_3genE9ELNS1_11target_archE1100ELNS1_3gpuE3ELNS1_3repE0EEENS1_60segmented_radix_sort_warp_sort_medium_config_static_selectorELNS0_4arch9wavefront6targetE0EEEvSK_
	.p2align	8
	.type	_ZN7rocprim17ROCPRIM_400000_NS6detail17trampoline_kernelINS0_14default_configENS1_36segmented_radix_sort_config_selectorIhlEEZNS1_25segmented_radix_sort_implIS3_Lb0EPKhPhPKlPlN2at6native12_GLOBAL__N_18offset_tEEE10hipError_tPvRmT1_PNSt15iterator_traitsISK_E10value_typeET2_T3_PNSL_ISQ_E10value_typeET4_jRbjT5_SW_jjP12ihipStream_tbEUlT_E0_NS1_11comp_targetILNS1_3genE9ELNS1_11target_archE1100ELNS1_3gpuE3ELNS1_3repE0EEENS1_60segmented_radix_sort_warp_sort_medium_config_static_selectorELNS0_4arch9wavefront6targetE0EEEvSK_,@function
_ZN7rocprim17ROCPRIM_400000_NS6detail17trampoline_kernelINS0_14default_configENS1_36segmented_radix_sort_config_selectorIhlEEZNS1_25segmented_radix_sort_implIS3_Lb0EPKhPhPKlPlN2at6native12_GLOBAL__N_18offset_tEEE10hipError_tPvRmT1_PNSt15iterator_traitsISK_E10value_typeET2_T3_PNSL_ISQ_E10value_typeET4_jRbjT5_SW_jjP12ihipStream_tbEUlT_E0_NS1_11comp_targetILNS1_3genE9ELNS1_11target_archE1100ELNS1_3gpuE3ELNS1_3repE0EEENS1_60segmented_radix_sort_warp_sort_medium_config_static_selectorELNS0_4arch9wavefront6targetE0EEEvSK_: ; @_ZN7rocprim17ROCPRIM_400000_NS6detail17trampoline_kernelINS0_14default_configENS1_36segmented_radix_sort_config_selectorIhlEEZNS1_25segmented_radix_sort_implIS3_Lb0EPKhPhPKlPlN2at6native12_GLOBAL__N_18offset_tEEE10hipError_tPvRmT1_PNSt15iterator_traitsISK_E10value_typeET2_T3_PNSL_ISQ_E10value_typeET4_jRbjT5_SW_jjP12ihipStream_tbEUlT_E0_NS1_11comp_targetILNS1_3genE9ELNS1_11target_archE1100ELNS1_3gpuE3ELNS1_3repE0EEENS1_60segmented_radix_sort_warp_sort_medium_config_static_selectorELNS0_4arch9wavefront6targetE0EEEvSK_
; %bb.0:
	.section	.rodata,"a",@progbits
	.p2align	6, 0x0
	.amdhsa_kernel _ZN7rocprim17ROCPRIM_400000_NS6detail17trampoline_kernelINS0_14default_configENS1_36segmented_radix_sort_config_selectorIhlEEZNS1_25segmented_radix_sort_implIS3_Lb0EPKhPhPKlPlN2at6native12_GLOBAL__N_18offset_tEEE10hipError_tPvRmT1_PNSt15iterator_traitsISK_E10value_typeET2_T3_PNSL_ISQ_E10value_typeET4_jRbjT5_SW_jjP12ihipStream_tbEUlT_E0_NS1_11comp_targetILNS1_3genE9ELNS1_11target_archE1100ELNS1_3gpuE3ELNS1_3repE0EEENS1_60segmented_radix_sort_warp_sort_medium_config_static_selectorELNS0_4arch9wavefront6targetE0EEEvSK_
		.amdhsa_group_segment_fixed_size 0
		.amdhsa_private_segment_fixed_size 0
		.amdhsa_kernarg_size 88
		.amdhsa_user_sgpr_count 2
		.amdhsa_user_sgpr_dispatch_ptr 0
		.amdhsa_user_sgpr_queue_ptr 0
		.amdhsa_user_sgpr_kernarg_segment_ptr 1
		.amdhsa_user_sgpr_dispatch_id 0
		.amdhsa_user_sgpr_kernarg_preload_length 0
		.amdhsa_user_sgpr_kernarg_preload_offset 0
		.amdhsa_user_sgpr_private_segment_size 0
		.amdhsa_wavefront_size32 1
		.amdhsa_uses_dynamic_stack 0
		.amdhsa_enable_private_segment 0
		.amdhsa_system_sgpr_workgroup_id_x 1
		.amdhsa_system_sgpr_workgroup_id_y 0
		.amdhsa_system_sgpr_workgroup_id_z 0
		.amdhsa_system_sgpr_workgroup_info 0
		.amdhsa_system_vgpr_workitem_id 0
		.amdhsa_next_free_vgpr 1
		.amdhsa_next_free_sgpr 1
		.amdhsa_named_barrier_count 0
		.amdhsa_reserve_vcc 0
		.amdhsa_float_round_mode_32 0
		.amdhsa_float_round_mode_16_64 0
		.amdhsa_float_denorm_mode_32 3
		.amdhsa_float_denorm_mode_16_64 3
		.amdhsa_fp16_overflow 0
		.amdhsa_memory_ordered 1
		.amdhsa_forward_progress 1
		.amdhsa_inst_pref_size 0
		.amdhsa_round_robin_scheduling 0
		.amdhsa_exception_fp_ieee_invalid_op 0
		.amdhsa_exception_fp_denorm_src 0
		.amdhsa_exception_fp_ieee_div_zero 0
		.amdhsa_exception_fp_ieee_overflow 0
		.amdhsa_exception_fp_ieee_underflow 0
		.amdhsa_exception_fp_ieee_inexact 0
		.amdhsa_exception_int_div_zero 0
	.end_amdhsa_kernel
	.section	.text._ZN7rocprim17ROCPRIM_400000_NS6detail17trampoline_kernelINS0_14default_configENS1_36segmented_radix_sort_config_selectorIhlEEZNS1_25segmented_radix_sort_implIS3_Lb0EPKhPhPKlPlN2at6native12_GLOBAL__N_18offset_tEEE10hipError_tPvRmT1_PNSt15iterator_traitsISK_E10value_typeET2_T3_PNSL_ISQ_E10value_typeET4_jRbjT5_SW_jjP12ihipStream_tbEUlT_E0_NS1_11comp_targetILNS1_3genE9ELNS1_11target_archE1100ELNS1_3gpuE3ELNS1_3repE0EEENS1_60segmented_radix_sort_warp_sort_medium_config_static_selectorELNS0_4arch9wavefront6targetE0EEEvSK_,"axG",@progbits,_ZN7rocprim17ROCPRIM_400000_NS6detail17trampoline_kernelINS0_14default_configENS1_36segmented_radix_sort_config_selectorIhlEEZNS1_25segmented_radix_sort_implIS3_Lb0EPKhPhPKlPlN2at6native12_GLOBAL__N_18offset_tEEE10hipError_tPvRmT1_PNSt15iterator_traitsISK_E10value_typeET2_T3_PNSL_ISQ_E10value_typeET4_jRbjT5_SW_jjP12ihipStream_tbEUlT_E0_NS1_11comp_targetILNS1_3genE9ELNS1_11target_archE1100ELNS1_3gpuE3ELNS1_3repE0EEENS1_60segmented_radix_sort_warp_sort_medium_config_static_selectorELNS0_4arch9wavefront6targetE0EEEvSK_,comdat
.Lfunc_end203:
	.size	_ZN7rocprim17ROCPRIM_400000_NS6detail17trampoline_kernelINS0_14default_configENS1_36segmented_radix_sort_config_selectorIhlEEZNS1_25segmented_radix_sort_implIS3_Lb0EPKhPhPKlPlN2at6native12_GLOBAL__N_18offset_tEEE10hipError_tPvRmT1_PNSt15iterator_traitsISK_E10value_typeET2_T3_PNSL_ISQ_E10value_typeET4_jRbjT5_SW_jjP12ihipStream_tbEUlT_E0_NS1_11comp_targetILNS1_3genE9ELNS1_11target_archE1100ELNS1_3gpuE3ELNS1_3repE0EEENS1_60segmented_radix_sort_warp_sort_medium_config_static_selectorELNS0_4arch9wavefront6targetE0EEEvSK_, .Lfunc_end203-_ZN7rocprim17ROCPRIM_400000_NS6detail17trampoline_kernelINS0_14default_configENS1_36segmented_radix_sort_config_selectorIhlEEZNS1_25segmented_radix_sort_implIS3_Lb0EPKhPhPKlPlN2at6native12_GLOBAL__N_18offset_tEEE10hipError_tPvRmT1_PNSt15iterator_traitsISK_E10value_typeET2_T3_PNSL_ISQ_E10value_typeET4_jRbjT5_SW_jjP12ihipStream_tbEUlT_E0_NS1_11comp_targetILNS1_3genE9ELNS1_11target_archE1100ELNS1_3gpuE3ELNS1_3repE0EEENS1_60segmented_radix_sort_warp_sort_medium_config_static_selectorELNS0_4arch9wavefront6targetE0EEEvSK_
                                        ; -- End function
	.set _ZN7rocprim17ROCPRIM_400000_NS6detail17trampoline_kernelINS0_14default_configENS1_36segmented_radix_sort_config_selectorIhlEEZNS1_25segmented_radix_sort_implIS3_Lb0EPKhPhPKlPlN2at6native12_GLOBAL__N_18offset_tEEE10hipError_tPvRmT1_PNSt15iterator_traitsISK_E10value_typeET2_T3_PNSL_ISQ_E10value_typeET4_jRbjT5_SW_jjP12ihipStream_tbEUlT_E0_NS1_11comp_targetILNS1_3genE9ELNS1_11target_archE1100ELNS1_3gpuE3ELNS1_3repE0EEENS1_60segmented_radix_sort_warp_sort_medium_config_static_selectorELNS0_4arch9wavefront6targetE0EEEvSK_.num_vgpr, 0
	.set _ZN7rocprim17ROCPRIM_400000_NS6detail17trampoline_kernelINS0_14default_configENS1_36segmented_radix_sort_config_selectorIhlEEZNS1_25segmented_radix_sort_implIS3_Lb0EPKhPhPKlPlN2at6native12_GLOBAL__N_18offset_tEEE10hipError_tPvRmT1_PNSt15iterator_traitsISK_E10value_typeET2_T3_PNSL_ISQ_E10value_typeET4_jRbjT5_SW_jjP12ihipStream_tbEUlT_E0_NS1_11comp_targetILNS1_3genE9ELNS1_11target_archE1100ELNS1_3gpuE3ELNS1_3repE0EEENS1_60segmented_radix_sort_warp_sort_medium_config_static_selectorELNS0_4arch9wavefront6targetE0EEEvSK_.num_agpr, 0
	.set _ZN7rocprim17ROCPRIM_400000_NS6detail17trampoline_kernelINS0_14default_configENS1_36segmented_radix_sort_config_selectorIhlEEZNS1_25segmented_radix_sort_implIS3_Lb0EPKhPhPKlPlN2at6native12_GLOBAL__N_18offset_tEEE10hipError_tPvRmT1_PNSt15iterator_traitsISK_E10value_typeET2_T3_PNSL_ISQ_E10value_typeET4_jRbjT5_SW_jjP12ihipStream_tbEUlT_E0_NS1_11comp_targetILNS1_3genE9ELNS1_11target_archE1100ELNS1_3gpuE3ELNS1_3repE0EEENS1_60segmented_radix_sort_warp_sort_medium_config_static_selectorELNS0_4arch9wavefront6targetE0EEEvSK_.numbered_sgpr, 0
	.set _ZN7rocprim17ROCPRIM_400000_NS6detail17trampoline_kernelINS0_14default_configENS1_36segmented_radix_sort_config_selectorIhlEEZNS1_25segmented_radix_sort_implIS3_Lb0EPKhPhPKlPlN2at6native12_GLOBAL__N_18offset_tEEE10hipError_tPvRmT1_PNSt15iterator_traitsISK_E10value_typeET2_T3_PNSL_ISQ_E10value_typeET4_jRbjT5_SW_jjP12ihipStream_tbEUlT_E0_NS1_11comp_targetILNS1_3genE9ELNS1_11target_archE1100ELNS1_3gpuE3ELNS1_3repE0EEENS1_60segmented_radix_sort_warp_sort_medium_config_static_selectorELNS0_4arch9wavefront6targetE0EEEvSK_.num_named_barrier, 0
	.set _ZN7rocprim17ROCPRIM_400000_NS6detail17trampoline_kernelINS0_14default_configENS1_36segmented_radix_sort_config_selectorIhlEEZNS1_25segmented_radix_sort_implIS3_Lb0EPKhPhPKlPlN2at6native12_GLOBAL__N_18offset_tEEE10hipError_tPvRmT1_PNSt15iterator_traitsISK_E10value_typeET2_T3_PNSL_ISQ_E10value_typeET4_jRbjT5_SW_jjP12ihipStream_tbEUlT_E0_NS1_11comp_targetILNS1_3genE9ELNS1_11target_archE1100ELNS1_3gpuE3ELNS1_3repE0EEENS1_60segmented_radix_sort_warp_sort_medium_config_static_selectorELNS0_4arch9wavefront6targetE0EEEvSK_.private_seg_size, 0
	.set _ZN7rocprim17ROCPRIM_400000_NS6detail17trampoline_kernelINS0_14default_configENS1_36segmented_radix_sort_config_selectorIhlEEZNS1_25segmented_radix_sort_implIS3_Lb0EPKhPhPKlPlN2at6native12_GLOBAL__N_18offset_tEEE10hipError_tPvRmT1_PNSt15iterator_traitsISK_E10value_typeET2_T3_PNSL_ISQ_E10value_typeET4_jRbjT5_SW_jjP12ihipStream_tbEUlT_E0_NS1_11comp_targetILNS1_3genE9ELNS1_11target_archE1100ELNS1_3gpuE3ELNS1_3repE0EEENS1_60segmented_radix_sort_warp_sort_medium_config_static_selectorELNS0_4arch9wavefront6targetE0EEEvSK_.uses_vcc, 0
	.set _ZN7rocprim17ROCPRIM_400000_NS6detail17trampoline_kernelINS0_14default_configENS1_36segmented_radix_sort_config_selectorIhlEEZNS1_25segmented_radix_sort_implIS3_Lb0EPKhPhPKlPlN2at6native12_GLOBAL__N_18offset_tEEE10hipError_tPvRmT1_PNSt15iterator_traitsISK_E10value_typeET2_T3_PNSL_ISQ_E10value_typeET4_jRbjT5_SW_jjP12ihipStream_tbEUlT_E0_NS1_11comp_targetILNS1_3genE9ELNS1_11target_archE1100ELNS1_3gpuE3ELNS1_3repE0EEENS1_60segmented_radix_sort_warp_sort_medium_config_static_selectorELNS0_4arch9wavefront6targetE0EEEvSK_.uses_flat_scratch, 0
	.set _ZN7rocprim17ROCPRIM_400000_NS6detail17trampoline_kernelINS0_14default_configENS1_36segmented_radix_sort_config_selectorIhlEEZNS1_25segmented_radix_sort_implIS3_Lb0EPKhPhPKlPlN2at6native12_GLOBAL__N_18offset_tEEE10hipError_tPvRmT1_PNSt15iterator_traitsISK_E10value_typeET2_T3_PNSL_ISQ_E10value_typeET4_jRbjT5_SW_jjP12ihipStream_tbEUlT_E0_NS1_11comp_targetILNS1_3genE9ELNS1_11target_archE1100ELNS1_3gpuE3ELNS1_3repE0EEENS1_60segmented_radix_sort_warp_sort_medium_config_static_selectorELNS0_4arch9wavefront6targetE0EEEvSK_.has_dyn_sized_stack, 0
	.set _ZN7rocprim17ROCPRIM_400000_NS6detail17trampoline_kernelINS0_14default_configENS1_36segmented_radix_sort_config_selectorIhlEEZNS1_25segmented_radix_sort_implIS3_Lb0EPKhPhPKlPlN2at6native12_GLOBAL__N_18offset_tEEE10hipError_tPvRmT1_PNSt15iterator_traitsISK_E10value_typeET2_T3_PNSL_ISQ_E10value_typeET4_jRbjT5_SW_jjP12ihipStream_tbEUlT_E0_NS1_11comp_targetILNS1_3genE9ELNS1_11target_archE1100ELNS1_3gpuE3ELNS1_3repE0EEENS1_60segmented_radix_sort_warp_sort_medium_config_static_selectorELNS0_4arch9wavefront6targetE0EEEvSK_.has_recursion, 0
	.set _ZN7rocprim17ROCPRIM_400000_NS6detail17trampoline_kernelINS0_14default_configENS1_36segmented_radix_sort_config_selectorIhlEEZNS1_25segmented_radix_sort_implIS3_Lb0EPKhPhPKlPlN2at6native12_GLOBAL__N_18offset_tEEE10hipError_tPvRmT1_PNSt15iterator_traitsISK_E10value_typeET2_T3_PNSL_ISQ_E10value_typeET4_jRbjT5_SW_jjP12ihipStream_tbEUlT_E0_NS1_11comp_targetILNS1_3genE9ELNS1_11target_archE1100ELNS1_3gpuE3ELNS1_3repE0EEENS1_60segmented_radix_sort_warp_sort_medium_config_static_selectorELNS0_4arch9wavefront6targetE0EEEvSK_.has_indirect_call, 0
	.section	.AMDGPU.csdata,"",@progbits
; Kernel info:
; codeLenInByte = 0
; TotalNumSgprs: 0
; NumVgprs: 0
; ScratchSize: 0
; MemoryBound: 0
; FloatMode: 240
; IeeeMode: 1
; LDSByteSize: 0 bytes/workgroup (compile time only)
; SGPRBlocks: 0
; VGPRBlocks: 0
; NumSGPRsForWavesPerEU: 1
; NumVGPRsForWavesPerEU: 1
; NamedBarCnt: 0
; Occupancy: 16
; WaveLimiterHint : 0
; COMPUTE_PGM_RSRC2:SCRATCH_EN: 0
; COMPUTE_PGM_RSRC2:USER_SGPR: 2
; COMPUTE_PGM_RSRC2:TRAP_HANDLER: 0
; COMPUTE_PGM_RSRC2:TGID_X_EN: 1
; COMPUTE_PGM_RSRC2:TGID_Y_EN: 0
; COMPUTE_PGM_RSRC2:TGID_Z_EN: 0
; COMPUTE_PGM_RSRC2:TIDIG_COMP_CNT: 0
	.section	.text._ZN7rocprim17ROCPRIM_400000_NS6detail17trampoline_kernelINS0_14default_configENS1_36segmented_radix_sort_config_selectorIhlEEZNS1_25segmented_radix_sort_implIS3_Lb0EPKhPhPKlPlN2at6native12_GLOBAL__N_18offset_tEEE10hipError_tPvRmT1_PNSt15iterator_traitsISK_E10value_typeET2_T3_PNSL_ISQ_E10value_typeET4_jRbjT5_SW_jjP12ihipStream_tbEUlT_E0_NS1_11comp_targetILNS1_3genE8ELNS1_11target_archE1030ELNS1_3gpuE2ELNS1_3repE0EEENS1_60segmented_radix_sort_warp_sort_medium_config_static_selectorELNS0_4arch9wavefront6targetE0EEEvSK_,"axG",@progbits,_ZN7rocprim17ROCPRIM_400000_NS6detail17trampoline_kernelINS0_14default_configENS1_36segmented_radix_sort_config_selectorIhlEEZNS1_25segmented_radix_sort_implIS3_Lb0EPKhPhPKlPlN2at6native12_GLOBAL__N_18offset_tEEE10hipError_tPvRmT1_PNSt15iterator_traitsISK_E10value_typeET2_T3_PNSL_ISQ_E10value_typeET4_jRbjT5_SW_jjP12ihipStream_tbEUlT_E0_NS1_11comp_targetILNS1_3genE8ELNS1_11target_archE1030ELNS1_3gpuE2ELNS1_3repE0EEENS1_60segmented_radix_sort_warp_sort_medium_config_static_selectorELNS0_4arch9wavefront6targetE0EEEvSK_,comdat
	.globl	_ZN7rocprim17ROCPRIM_400000_NS6detail17trampoline_kernelINS0_14default_configENS1_36segmented_radix_sort_config_selectorIhlEEZNS1_25segmented_radix_sort_implIS3_Lb0EPKhPhPKlPlN2at6native12_GLOBAL__N_18offset_tEEE10hipError_tPvRmT1_PNSt15iterator_traitsISK_E10value_typeET2_T3_PNSL_ISQ_E10value_typeET4_jRbjT5_SW_jjP12ihipStream_tbEUlT_E0_NS1_11comp_targetILNS1_3genE8ELNS1_11target_archE1030ELNS1_3gpuE2ELNS1_3repE0EEENS1_60segmented_radix_sort_warp_sort_medium_config_static_selectorELNS0_4arch9wavefront6targetE0EEEvSK_ ; -- Begin function _ZN7rocprim17ROCPRIM_400000_NS6detail17trampoline_kernelINS0_14default_configENS1_36segmented_radix_sort_config_selectorIhlEEZNS1_25segmented_radix_sort_implIS3_Lb0EPKhPhPKlPlN2at6native12_GLOBAL__N_18offset_tEEE10hipError_tPvRmT1_PNSt15iterator_traitsISK_E10value_typeET2_T3_PNSL_ISQ_E10value_typeET4_jRbjT5_SW_jjP12ihipStream_tbEUlT_E0_NS1_11comp_targetILNS1_3genE8ELNS1_11target_archE1030ELNS1_3gpuE2ELNS1_3repE0EEENS1_60segmented_radix_sort_warp_sort_medium_config_static_selectorELNS0_4arch9wavefront6targetE0EEEvSK_
	.p2align	8
	.type	_ZN7rocprim17ROCPRIM_400000_NS6detail17trampoline_kernelINS0_14default_configENS1_36segmented_radix_sort_config_selectorIhlEEZNS1_25segmented_radix_sort_implIS3_Lb0EPKhPhPKlPlN2at6native12_GLOBAL__N_18offset_tEEE10hipError_tPvRmT1_PNSt15iterator_traitsISK_E10value_typeET2_T3_PNSL_ISQ_E10value_typeET4_jRbjT5_SW_jjP12ihipStream_tbEUlT_E0_NS1_11comp_targetILNS1_3genE8ELNS1_11target_archE1030ELNS1_3gpuE2ELNS1_3repE0EEENS1_60segmented_radix_sort_warp_sort_medium_config_static_selectorELNS0_4arch9wavefront6targetE0EEEvSK_,@function
_ZN7rocprim17ROCPRIM_400000_NS6detail17trampoline_kernelINS0_14default_configENS1_36segmented_radix_sort_config_selectorIhlEEZNS1_25segmented_radix_sort_implIS3_Lb0EPKhPhPKlPlN2at6native12_GLOBAL__N_18offset_tEEE10hipError_tPvRmT1_PNSt15iterator_traitsISK_E10value_typeET2_T3_PNSL_ISQ_E10value_typeET4_jRbjT5_SW_jjP12ihipStream_tbEUlT_E0_NS1_11comp_targetILNS1_3genE8ELNS1_11target_archE1030ELNS1_3gpuE2ELNS1_3repE0EEENS1_60segmented_radix_sort_warp_sort_medium_config_static_selectorELNS0_4arch9wavefront6targetE0EEEvSK_: ; @_ZN7rocprim17ROCPRIM_400000_NS6detail17trampoline_kernelINS0_14default_configENS1_36segmented_radix_sort_config_selectorIhlEEZNS1_25segmented_radix_sort_implIS3_Lb0EPKhPhPKlPlN2at6native12_GLOBAL__N_18offset_tEEE10hipError_tPvRmT1_PNSt15iterator_traitsISK_E10value_typeET2_T3_PNSL_ISQ_E10value_typeET4_jRbjT5_SW_jjP12ihipStream_tbEUlT_E0_NS1_11comp_targetILNS1_3genE8ELNS1_11target_archE1030ELNS1_3gpuE2ELNS1_3repE0EEENS1_60segmented_radix_sort_warp_sort_medium_config_static_selectorELNS0_4arch9wavefront6targetE0EEEvSK_
; %bb.0:
	.section	.rodata,"a",@progbits
	.p2align	6, 0x0
	.amdhsa_kernel _ZN7rocprim17ROCPRIM_400000_NS6detail17trampoline_kernelINS0_14default_configENS1_36segmented_radix_sort_config_selectorIhlEEZNS1_25segmented_radix_sort_implIS3_Lb0EPKhPhPKlPlN2at6native12_GLOBAL__N_18offset_tEEE10hipError_tPvRmT1_PNSt15iterator_traitsISK_E10value_typeET2_T3_PNSL_ISQ_E10value_typeET4_jRbjT5_SW_jjP12ihipStream_tbEUlT_E0_NS1_11comp_targetILNS1_3genE8ELNS1_11target_archE1030ELNS1_3gpuE2ELNS1_3repE0EEENS1_60segmented_radix_sort_warp_sort_medium_config_static_selectorELNS0_4arch9wavefront6targetE0EEEvSK_
		.amdhsa_group_segment_fixed_size 0
		.amdhsa_private_segment_fixed_size 0
		.amdhsa_kernarg_size 88
		.amdhsa_user_sgpr_count 2
		.amdhsa_user_sgpr_dispatch_ptr 0
		.amdhsa_user_sgpr_queue_ptr 0
		.amdhsa_user_sgpr_kernarg_segment_ptr 1
		.amdhsa_user_sgpr_dispatch_id 0
		.amdhsa_user_sgpr_kernarg_preload_length 0
		.amdhsa_user_sgpr_kernarg_preload_offset 0
		.amdhsa_user_sgpr_private_segment_size 0
		.amdhsa_wavefront_size32 1
		.amdhsa_uses_dynamic_stack 0
		.amdhsa_enable_private_segment 0
		.amdhsa_system_sgpr_workgroup_id_x 1
		.amdhsa_system_sgpr_workgroup_id_y 0
		.amdhsa_system_sgpr_workgroup_id_z 0
		.amdhsa_system_sgpr_workgroup_info 0
		.amdhsa_system_vgpr_workitem_id 0
		.amdhsa_next_free_vgpr 1
		.amdhsa_next_free_sgpr 1
		.amdhsa_named_barrier_count 0
		.amdhsa_reserve_vcc 0
		.amdhsa_float_round_mode_32 0
		.amdhsa_float_round_mode_16_64 0
		.amdhsa_float_denorm_mode_32 3
		.amdhsa_float_denorm_mode_16_64 3
		.amdhsa_fp16_overflow 0
		.amdhsa_memory_ordered 1
		.amdhsa_forward_progress 1
		.amdhsa_inst_pref_size 0
		.amdhsa_round_robin_scheduling 0
		.amdhsa_exception_fp_ieee_invalid_op 0
		.amdhsa_exception_fp_denorm_src 0
		.amdhsa_exception_fp_ieee_div_zero 0
		.amdhsa_exception_fp_ieee_overflow 0
		.amdhsa_exception_fp_ieee_underflow 0
		.amdhsa_exception_fp_ieee_inexact 0
		.amdhsa_exception_int_div_zero 0
	.end_amdhsa_kernel
	.section	.text._ZN7rocprim17ROCPRIM_400000_NS6detail17trampoline_kernelINS0_14default_configENS1_36segmented_radix_sort_config_selectorIhlEEZNS1_25segmented_radix_sort_implIS3_Lb0EPKhPhPKlPlN2at6native12_GLOBAL__N_18offset_tEEE10hipError_tPvRmT1_PNSt15iterator_traitsISK_E10value_typeET2_T3_PNSL_ISQ_E10value_typeET4_jRbjT5_SW_jjP12ihipStream_tbEUlT_E0_NS1_11comp_targetILNS1_3genE8ELNS1_11target_archE1030ELNS1_3gpuE2ELNS1_3repE0EEENS1_60segmented_radix_sort_warp_sort_medium_config_static_selectorELNS0_4arch9wavefront6targetE0EEEvSK_,"axG",@progbits,_ZN7rocprim17ROCPRIM_400000_NS6detail17trampoline_kernelINS0_14default_configENS1_36segmented_radix_sort_config_selectorIhlEEZNS1_25segmented_radix_sort_implIS3_Lb0EPKhPhPKlPlN2at6native12_GLOBAL__N_18offset_tEEE10hipError_tPvRmT1_PNSt15iterator_traitsISK_E10value_typeET2_T3_PNSL_ISQ_E10value_typeET4_jRbjT5_SW_jjP12ihipStream_tbEUlT_E0_NS1_11comp_targetILNS1_3genE8ELNS1_11target_archE1030ELNS1_3gpuE2ELNS1_3repE0EEENS1_60segmented_radix_sort_warp_sort_medium_config_static_selectorELNS0_4arch9wavefront6targetE0EEEvSK_,comdat
.Lfunc_end204:
	.size	_ZN7rocprim17ROCPRIM_400000_NS6detail17trampoline_kernelINS0_14default_configENS1_36segmented_radix_sort_config_selectorIhlEEZNS1_25segmented_radix_sort_implIS3_Lb0EPKhPhPKlPlN2at6native12_GLOBAL__N_18offset_tEEE10hipError_tPvRmT1_PNSt15iterator_traitsISK_E10value_typeET2_T3_PNSL_ISQ_E10value_typeET4_jRbjT5_SW_jjP12ihipStream_tbEUlT_E0_NS1_11comp_targetILNS1_3genE8ELNS1_11target_archE1030ELNS1_3gpuE2ELNS1_3repE0EEENS1_60segmented_radix_sort_warp_sort_medium_config_static_selectorELNS0_4arch9wavefront6targetE0EEEvSK_, .Lfunc_end204-_ZN7rocprim17ROCPRIM_400000_NS6detail17trampoline_kernelINS0_14default_configENS1_36segmented_radix_sort_config_selectorIhlEEZNS1_25segmented_radix_sort_implIS3_Lb0EPKhPhPKlPlN2at6native12_GLOBAL__N_18offset_tEEE10hipError_tPvRmT1_PNSt15iterator_traitsISK_E10value_typeET2_T3_PNSL_ISQ_E10value_typeET4_jRbjT5_SW_jjP12ihipStream_tbEUlT_E0_NS1_11comp_targetILNS1_3genE8ELNS1_11target_archE1030ELNS1_3gpuE2ELNS1_3repE0EEENS1_60segmented_radix_sort_warp_sort_medium_config_static_selectorELNS0_4arch9wavefront6targetE0EEEvSK_
                                        ; -- End function
	.set _ZN7rocprim17ROCPRIM_400000_NS6detail17trampoline_kernelINS0_14default_configENS1_36segmented_radix_sort_config_selectorIhlEEZNS1_25segmented_radix_sort_implIS3_Lb0EPKhPhPKlPlN2at6native12_GLOBAL__N_18offset_tEEE10hipError_tPvRmT1_PNSt15iterator_traitsISK_E10value_typeET2_T3_PNSL_ISQ_E10value_typeET4_jRbjT5_SW_jjP12ihipStream_tbEUlT_E0_NS1_11comp_targetILNS1_3genE8ELNS1_11target_archE1030ELNS1_3gpuE2ELNS1_3repE0EEENS1_60segmented_radix_sort_warp_sort_medium_config_static_selectorELNS0_4arch9wavefront6targetE0EEEvSK_.num_vgpr, 0
	.set _ZN7rocprim17ROCPRIM_400000_NS6detail17trampoline_kernelINS0_14default_configENS1_36segmented_radix_sort_config_selectorIhlEEZNS1_25segmented_radix_sort_implIS3_Lb0EPKhPhPKlPlN2at6native12_GLOBAL__N_18offset_tEEE10hipError_tPvRmT1_PNSt15iterator_traitsISK_E10value_typeET2_T3_PNSL_ISQ_E10value_typeET4_jRbjT5_SW_jjP12ihipStream_tbEUlT_E0_NS1_11comp_targetILNS1_3genE8ELNS1_11target_archE1030ELNS1_3gpuE2ELNS1_3repE0EEENS1_60segmented_radix_sort_warp_sort_medium_config_static_selectorELNS0_4arch9wavefront6targetE0EEEvSK_.num_agpr, 0
	.set _ZN7rocprim17ROCPRIM_400000_NS6detail17trampoline_kernelINS0_14default_configENS1_36segmented_radix_sort_config_selectorIhlEEZNS1_25segmented_radix_sort_implIS3_Lb0EPKhPhPKlPlN2at6native12_GLOBAL__N_18offset_tEEE10hipError_tPvRmT1_PNSt15iterator_traitsISK_E10value_typeET2_T3_PNSL_ISQ_E10value_typeET4_jRbjT5_SW_jjP12ihipStream_tbEUlT_E0_NS1_11comp_targetILNS1_3genE8ELNS1_11target_archE1030ELNS1_3gpuE2ELNS1_3repE0EEENS1_60segmented_radix_sort_warp_sort_medium_config_static_selectorELNS0_4arch9wavefront6targetE0EEEvSK_.numbered_sgpr, 0
	.set _ZN7rocprim17ROCPRIM_400000_NS6detail17trampoline_kernelINS0_14default_configENS1_36segmented_radix_sort_config_selectorIhlEEZNS1_25segmented_radix_sort_implIS3_Lb0EPKhPhPKlPlN2at6native12_GLOBAL__N_18offset_tEEE10hipError_tPvRmT1_PNSt15iterator_traitsISK_E10value_typeET2_T3_PNSL_ISQ_E10value_typeET4_jRbjT5_SW_jjP12ihipStream_tbEUlT_E0_NS1_11comp_targetILNS1_3genE8ELNS1_11target_archE1030ELNS1_3gpuE2ELNS1_3repE0EEENS1_60segmented_radix_sort_warp_sort_medium_config_static_selectorELNS0_4arch9wavefront6targetE0EEEvSK_.num_named_barrier, 0
	.set _ZN7rocprim17ROCPRIM_400000_NS6detail17trampoline_kernelINS0_14default_configENS1_36segmented_radix_sort_config_selectorIhlEEZNS1_25segmented_radix_sort_implIS3_Lb0EPKhPhPKlPlN2at6native12_GLOBAL__N_18offset_tEEE10hipError_tPvRmT1_PNSt15iterator_traitsISK_E10value_typeET2_T3_PNSL_ISQ_E10value_typeET4_jRbjT5_SW_jjP12ihipStream_tbEUlT_E0_NS1_11comp_targetILNS1_3genE8ELNS1_11target_archE1030ELNS1_3gpuE2ELNS1_3repE0EEENS1_60segmented_radix_sort_warp_sort_medium_config_static_selectorELNS0_4arch9wavefront6targetE0EEEvSK_.private_seg_size, 0
	.set _ZN7rocprim17ROCPRIM_400000_NS6detail17trampoline_kernelINS0_14default_configENS1_36segmented_radix_sort_config_selectorIhlEEZNS1_25segmented_radix_sort_implIS3_Lb0EPKhPhPKlPlN2at6native12_GLOBAL__N_18offset_tEEE10hipError_tPvRmT1_PNSt15iterator_traitsISK_E10value_typeET2_T3_PNSL_ISQ_E10value_typeET4_jRbjT5_SW_jjP12ihipStream_tbEUlT_E0_NS1_11comp_targetILNS1_3genE8ELNS1_11target_archE1030ELNS1_3gpuE2ELNS1_3repE0EEENS1_60segmented_radix_sort_warp_sort_medium_config_static_selectorELNS0_4arch9wavefront6targetE0EEEvSK_.uses_vcc, 0
	.set _ZN7rocprim17ROCPRIM_400000_NS6detail17trampoline_kernelINS0_14default_configENS1_36segmented_radix_sort_config_selectorIhlEEZNS1_25segmented_radix_sort_implIS3_Lb0EPKhPhPKlPlN2at6native12_GLOBAL__N_18offset_tEEE10hipError_tPvRmT1_PNSt15iterator_traitsISK_E10value_typeET2_T3_PNSL_ISQ_E10value_typeET4_jRbjT5_SW_jjP12ihipStream_tbEUlT_E0_NS1_11comp_targetILNS1_3genE8ELNS1_11target_archE1030ELNS1_3gpuE2ELNS1_3repE0EEENS1_60segmented_radix_sort_warp_sort_medium_config_static_selectorELNS0_4arch9wavefront6targetE0EEEvSK_.uses_flat_scratch, 0
	.set _ZN7rocprim17ROCPRIM_400000_NS6detail17trampoline_kernelINS0_14default_configENS1_36segmented_radix_sort_config_selectorIhlEEZNS1_25segmented_radix_sort_implIS3_Lb0EPKhPhPKlPlN2at6native12_GLOBAL__N_18offset_tEEE10hipError_tPvRmT1_PNSt15iterator_traitsISK_E10value_typeET2_T3_PNSL_ISQ_E10value_typeET4_jRbjT5_SW_jjP12ihipStream_tbEUlT_E0_NS1_11comp_targetILNS1_3genE8ELNS1_11target_archE1030ELNS1_3gpuE2ELNS1_3repE0EEENS1_60segmented_radix_sort_warp_sort_medium_config_static_selectorELNS0_4arch9wavefront6targetE0EEEvSK_.has_dyn_sized_stack, 0
	.set _ZN7rocprim17ROCPRIM_400000_NS6detail17trampoline_kernelINS0_14default_configENS1_36segmented_radix_sort_config_selectorIhlEEZNS1_25segmented_radix_sort_implIS3_Lb0EPKhPhPKlPlN2at6native12_GLOBAL__N_18offset_tEEE10hipError_tPvRmT1_PNSt15iterator_traitsISK_E10value_typeET2_T3_PNSL_ISQ_E10value_typeET4_jRbjT5_SW_jjP12ihipStream_tbEUlT_E0_NS1_11comp_targetILNS1_3genE8ELNS1_11target_archE1030ELNS1_3gpuE2ELNS1_3repE0EEENS1_60segmented_radix_sort_warp_sort_medium_config_static_selectorELNS0_4arch9wavefront6targetE0EEEvSK_.has_recursion, 0
	.set _ZN7rocprim17ROCPRIM_400000_NS6detail17trampoline_kernelINS0_14default_configENS1_36segmented_radix_sort_config_selectorIhlEEZNS1_25segmented_radix_sort_implIS3_Lb0EPKhPhPKlPlN2at6native12_GLOBAL__N_18offset_tEEE10hipError_tPvRmT1_PNSt15iterator_traitsISK_E10value_typeET2_T3_PNSL_ISQ_E10value_typeET4_jRbjT5_SW_jjP12ihipStream_tbEUlT_E0_NS1_11comp_targetILNS1_3genE8ELNS1_11target_archE1030ELNS1_3gpuE2ELNS1_3repE0EEENS1_60segmented_radix_sort_warp_sort_medium_config_static_selectorELNS0_4arch9wavefront6targetE0EEEvSK_.has_indirect_call, 0
	.section	.AMDGPU.csdata,"",@progbits
; Kernel info:
; codeLenInByte = 0
; TotalNumSgprs: 0
; NumVgprs: 0
; ScratchSize: 0
; MemoryBound: 0
; FloatMode: 240
; IeeeMode: 1
; LDSByteSize: 0 bytes/workgroup (compile time only)
; SGPRBlocks: 0
; VGPRBlocks: 0
; NumSGPRsForWavesPerEU: 1
; NumVGPRsForWavesPerEU: 1
; NamedBarCnt: 0
; Occupancy: 16
; WaveLimiterHint : 0
; COMPUTE_PGM_RSRC2:SCRATCH_EN: 0
; COMPUTE_PGM_RSRC2:USER_SGPR: 2
; COMPUTE_PGM_RSRC2:TRAP_HANDLER: 0
; COMPUTE_PGM_RSRC2:TGID_X_EN: 1
; COMPUTE_PGM_RSRC2:TGID_Y_EN: 0
; COMPUTE_PGM_RSRC2:TGID_Z_EN: 0
; COMPUTE_PGM_RSRC2:TIDIG_COMP_CNT: 0
	.section	.text._ZN7rocprim17ROCPRIM_400000_NS6detail17trampoline_kernelINS0_14default_configENS1_36segmented_radix_sort_config_selectorIhlEEZNS1_25segmented_radix_sort_implIS3_Lb0EPKhPhPKlPlN2at6native12_GLOBAL__N_18offset_tEEE10hipError_tPvRmT1_PNSt15iterator_traitsISK_E10value_typeET2_T3_PNSL_ISQ_E10value_typeET4_jRbjT5_SW_jjP12ihipStream_tbEUlT_E1_NS1_11comp_targetILNS1_3genE0ELNS1_11target_archE4294967295ELNS1_3gpuE0ELNS1_3repE0EEENS1_59segmented_radix_sort_warp_sort_small_config_static_selectorELNS0_4arch9wavefront6targetE0EEEvSK_,"axG",@progbits,_ZN7rocprim17ROCPRIM_400000_NS6detail17trampoline_kernelINS0_14default_configENS1_36segmented_radix_sort_config_selectorIhlEEZNS1_25segmented_radix_sort_implIS3_Lb0EPKhPhPKlPlN2at6native12_GLOBAL__N_18offset_tEEE10hipError_tPvRmT1_PNSt15iterator_traitsISK_E10value_typeET2_T3_PNSL_ISQ_E10value_typeET4_jRbjT5_SW_jjP12ihipStream_tbEUlT_E1_NS1_11comp_targetILNS1_3genE0ELNS1_11target_archE4294967295ELNS1_3gpuE0ELNS1_3repE0EEENS1_59segmented_radix_sort_warp_sort_small_config_static_selectorELNS0_4arch9wavefront6targetE0EEEvSK_,comdat
	.globl	_ZN7rocprim17ROCPRIM_400000_NS6detail17trampoline_kernelINS0_14default_configENS1_36segmented_radix_sort_config_selectorIhlEEZNS1_25segmented_radix_sort_implIS3_Lb0EPKhPhPKlPlN2at6native12_GLOBAL__N_18offset_tEEE10hipError_tPvRmT1_PNSt15iterator_traitsISK_E10value_typeET2_T3_PNSL_ISQ_E10value_typeET4_jRbjT5_SW_jjP12ihipStream_tbEUlT_E1_NS1_11comp_targetILNS1_3genE0ELNS1_11target_archE4294967295ELNS1_3gpuE0ELNS1_3repE0EEENS1_59segmented_radix_sort_warp_sort_small_config_static_selectorELNS0_4arch9wavefront6targetE0EEEvSK_ ; -- Begin function _ZN7rocprim17ROCPRIM_400000_NS6detail17trampoline_kernelINS0_14default_configENS1_36segmented_radix_sort_config_selectorIhlEEZNS1_25segmented_radix_sort_implIS3_Lb0EPKhPhPKlPlN2at6native12_GLOBAL__N_18offset_tEEE10hipError_tPvRmT1_PNSt15iterator_traitsISK_E10value_typeET2_T3_PNSL_ISQ_E10value_typeET4_jRbjT5_SW_jjP12ihipStream_tbEUlT_E1_NS1_11comp_targetILNS1_3genE0ELNS1_11target_archE4294967295ELNS1_3gpuE0ELNS1_3repE0EEENS1_59segmented_radix_sort_warp_sort_small_config_static_selectorELNS0_4arch9wavefront6targetE0EEEvSK_
	.p2align	8
	.type	_ZN7rocprim17ROCPRIM_400000_NS6detail17trampoline_kernelINS0_14default_configENS1_36segmented_radix_sort_config_selectorIhlEEZNS1_25segmented_radix_sort_implIS3_Lb0EPKhPhPKlPlN2at6native12_GLOBAL__N_18offset_tEEE10hipError_tPvRmT1_PNSt15iterator_traitsISK_E10value_typeET2_T3_PNSL_ISQ_E10value_typeET4_jRbjT5_SW_jjP12ihipStream_tbEUlT_E1_NS1_11comp_targetILNS1_3genE0ELNS1_11target_archE4294967295ELNS1_3gpuE0ELNS1_3repE0EEENS1_59segmented_radix_sort_warp_sort_small_config_static_selectorELNS0_4arch9wavefront6targetE0EEEvSK_,@function
_ZN7rocprim17ROCPRIM_400000_NS6detail17trampoline_kernelINS0_14default_configENS1_36segmented_radix_sort_config_selectorIhlEEZNS1_25segmented_radix_sort_implIS3_Lb0EPKhPhPKlPlN2at6native12_GLOBAL__N_18offset_tEEE10hipError_tPvRmT1_PNSt15iterator_traitsISK_E10value_typeET2_T3_PNSL_ISQ_E10value_typeET4_jRbjT5_SW_jjP12ihipStream_tbEUlT_E1_NS1_11comp_targetILNS1_3genE0ELNS1_11target_archE4294967295ELNS1_3gpuE0ELNS1_3repE0EEENS1_59segmented_radix_sort_warp_sort_small_config_static_selectorELNS0_4arch9wavefront6targetE0EEEvSK_: ; @_ZN7rocprim17ROCPRIM_400000_NS6detail17trampoline_kernelINS0_14default_configENS1_36segmented_radix_sort_config_selectorIhlEEZNS1_25segmented_radix_sort_implIS3_Lb0EPKhPhPKlPlN2at6native12_GLOBAL__N_18offset_tEEE10hipError_tPvRmT1_PNSt15iterator_traitsISK_E10value_typeET2_T3_PNSL_ISQ_E10value_typeET4_jRbjT5_SW_jjP12ihipStream_tbEUlT_E1_NS1_11comp_targetILNS1_3genE0ELNS1_11target_archE4294967295ELNS1_3gpuE0ELNS1_3repE0EEENS1_59segmented_radix_sort_warp_sort_small_config_static_selectorELNS0_4arch9wavefront6targetE0EEEvSK_
; %bb.0:
	s_load_b32 s4, s[2:3], 0x64
	v_bfe_u32 v1, v0, 10, 10
	v_bfe_u32 v2, v0, 20, 10
	v_and_b32_e32 v3, 0x3ff, v0
	s_and_b32 s6, ttmp6, 15
	s_getreg_b32 s7, hwreg(HW_REG_IB_STS2, 6, 4)
	s_mov_b32 s32, 0
	s_wait_kmcnt 0x0
	s_lshr_b32 s5, s4, 16
	s_and_b32 s4, s4, 0xffff
	v_mad_u32_u24 v1, v2, s5, v1
	s_bfe_u32 s5, ttmp6, 0x4000c
	s_delay_alu instid0(SALU_CYCLE_1) | instskip(NEXT) | instid1(SALU_CYCLE_1)
	s_add_co_i32 s5, s5, 1
	s_mul_i32 s5, ttmp9, s5
	s_delay_alu instid0(VALU_DEP_1) | instskip(SKIP_4) | instid1(VALU_DEP_1)
	v_mad_u32 v1, v1, s4, v3
	s_load_b32 s4, s[2:3], 0x34
	s_add_co_i32 s6, s6, s5
	s_cmp_eq_u32 s7, 0
	s_cselect_b32 s5, ttmp9, s6
	v_lshrrev_b32_e32 v1, 5, v1
	s_delay_alu instid0(VALU_DEP_1) | instskip(SKIP_1) | instid1(VALU_DEP_1)
	v_lshl_add_u32 v2, s5, 3, v1
	s_wait_kmcnt 0x0
	v_cmp_gt_u32_e32 vcc_lo, s4, v2
	s_and_saveexec_b32 s4, vcc_lo
	s_cbranch_execz .LBB205_6
; %bb.1:
	s_clause 0x1
	s_load_b64 s[8:9], s[2:3], 0x38
	s_load_b128 s[4:7], s[2:3], 0x40
	v_mov_b32_e32 v3, 0
	s_delay_alu instid0(VALU_DEP_1) | instskip(SKIP_1) | instid1(VALU_DEP_1)
	v_lshlrev_b64_e32 v[2:3], 2, v[2:3]
	s_wait_kmcnt 0x0
	v_sub_nc_u64_e32 v[2:3], s[8:9], v[2:3]
	global_load_b32 v1, v[2:3], off offset:-4
	s_wait_loadcnt 0x0
	v_dual_add_nc_u32 v2, s5, v1 :: v_dual_add_nc_u32 v1, s7, v1
	s_delay_alu instid0(VALU_DEP_1) | instskip(NEXT) | instid1(VALU_DEP_2)
	v_mul_lo_u32 v8, v2, s4
	v_mul_lo_u32 v40, v1, s6
	s_delay_alu instid0(VALU_DEP_1)
	v_cmp_gt_u32_e32 vcc_lo, v40, v8
	s_and_b32 exec_lo, exec_lo, vcc_lo
	s_cbranch_execz .LBB205_6
; %bb.2:
	s_clause 0x3
	s_load_b32 s4, s[2:3], 0x30
	s_load_b128 s[36:39], s[2:3], 0x20
	s_load_b256 s[20:27], s[2:3], 0x0
	s_load_b64 s[18:19], s[2:3], 0x50
	s_add_nc_u64 s[16:17], s[2:3], 0x58
	s_get_pc_i64 s[28:29]
	s_add_nc_u64 s[28:29], s[28:29], _ZN7rocprim17ROCPRIM_400000_NS6detail26segmented_warp_sort_helperINS1_20WarpSortHelperConfigILj32ELj4ELj256EEEhlLi256ELb0EvE4sortIPKhPhPKlPlEEvT_T0_T1_T2_jjjjRNS5_12storage_typeE@rel64+4
	s_wait_kmcnt 0x0
	s_bitcmp0_b32 s4, 0
	s_mov_b32 s4, -1
	s_cbranch_scc0 .LBB205_4
; %bb.3:
	s_mov_b64 s[2:3], src_shared_base
	v_dual_mov_b32 v31, v0 :: v_dual_mov_b32 v41, v0
	v_dual_mov_b32 v0, s20 :: v_dual_mov_b32 v1, s21
	;; [unrolled: 1-line block ×7, first 2 shown]
	v_mov_b32_e32 v13, s3
	s_mov_b64 s[6:7], s[0:1]
	s_mov_b64 s[8:9], s[16:17]
	;; [unrolled: 1-line block ×3, first 2 shown]
	s_swap_pc_i64 s[30:31], s[28:29]
	v_mov_b32_e32 v0, v41
	s_mov_b64 s[0:1], s[22:23]
	s_mov_b32 s4, 0
.LBB205_4:
	s_delay_alu instid0(SALU_CYCLE_1)
	s_and_not1_b32 vcc_lo, exec_lo, s4
	s_cbranch_vccnz .LBB205_6
; %bb.5:
	s_mov_b64 s[2:3], src_shared_base
	v_dual_mov_b32 v31, v0 :: v_dual_mov_b32 v0, s20
	v_dual_mov_b32 v1, s21 :: v_dual_mov_b32 v2, s24
	;; [unrolled: 1-line block ×7, first 2 shown]
	s_mov_b64 s[6:7], s[0:1]
	s_mov_b64 s[8:9], s[16:17]
	s_swap_pc_i64 s[30:31], s[28:29]
.LBB205_6:
	s_endpgm
	.section	.rodata,"a",@progbits
	.p2align	6, 0x0
	.amdhsa_kernel _ZN7rocprim17ROCPRIM_400000_NS6detail17trampoline_kernelINS0_14default_configENS1_36segmented_radix_sort_config_selectorIhlEEZNS1_25segmented_radix_sort_implIS3_Lb0EPKhPhPKlPlN2at6native12_GLOBAL__N_18offset_tEEE10hipError_tPvRmT1_PNSt15iterator_traitsISK_E10value_typeET2_T3_PNSL_ISQ_E10value_typeET4_jRbjT5_SW_jjP12ihipStream_tbEUlT_E1_NS1_11comp_targetILNS1_3genE0ELNS1_11target_archE4294967295ELNS1_3gpuE0ELNS1_3repE0EEENS1_59segmented_radix_sort_warp_sort_small_config_static_selectorELNS0_4arch9wavefront6targetE0EEEvSK_
		.amdhsa_group_segment_fixed_size 9216
		.amdhsa_private_segment_fixed_size 0
		.amdhsa_kernarg_size 344
		.amdhsa_user_sgpr_count 4
		.amdhsa_user_sgpr_dispatch_ptr 0
		.amdhsa_user_sgpr_queue_ptr 1
		.amdhsa_user_sgpr_kernarg_segment_ptr 1
		.amdhsa_user_sgpr_dispatch_id 0
		.amdhsa_user_sgpr_kernarg_preload_length 0
		.amdhsa_user_sgpr_kernarg_preload_offset 0
		.amdhsa_user_sgpr_private_segment_size 0
		.amdhsa_wavefront_size32 1
		.amdhsa_uses_dynamic_stack 0
		.amdhsa_enable_private_segment 0
		.amdhsa_system_sgpr_workgroup_id_x 1
		.amdhsa_system_sgpr_workgroup_id_y 1
		.amdhsa_system_sgpr_workgroup_id_z 0
		.amdhsa_system_sgpr_workgroup_info 0
		.amdhsa_system_vgpr_workitem_id 2
		.amdhsa_next_free_vgpr 54
		.amdhsa_next_free_sgpr 40
		.amdhsa_named_barrier_count 0
		.amdhsa_reserve_vcc 1
		.amdhsa_float_round_mode_32 0
		.amdhsa_float_round_mode_16_64 0
		.amdhsa_float_denorm_mode_32 3
		.amdhsa_float_denorm_mode_16_64 3
		.amdhsa_fp16_overflow 0
		.amdhsa_memory_ordered 1
		.amdhsa_forward_progress 1
		.amdhsa_inst_pref_size 5
		.amdhsa_round_robin_scheduling 0
		.amdhsa_exception_fp_ieee_invalid_op 0
		.amdhsa_exception_fp_denorm_src 0
		.amdhsa_exception_fp_ieee_div_zero 0
		.amdhsa_exception_fp_ieee_overflow 0
		.amdhsa_exception_fp_ieee_underflow 0
		.amdhsa_exception_fp_ieee_inexact 0
		.amdhsa_exception_int_div_zero 0
	.end_amdhsa_kernel
	.section	.text._ZN7rocprim17ROCPRIM_400000_NS6detail17trampoline_kernelINS0_14default_configENS1_36segmented_radix_sort_config_selectorIhlEEZNS1_25segmented_radix_sort_implIS3_Lb0EPKhPhPKlPlN2at6native12_GLOBAL__N_18offset_tEEE10hipError_tPvRmT1_PNSt15iterator_traitsISK_E10value_typeET2_T3_PNSL_ISQ_E10value_typeET4_jRbjT5_SW_jjP12ihipStream_tbEUlT_E1_NS1_11comp_targetILNS1_3genE0ELNS1_11target_archE4294967295ELNS1_3gpuE0ELNS1_3repE0EEENS1_59segmented_radix_sort_warp_sort_small_config_static_selectorELNS0_4arch9wavefront6targetE0EEEvSK_,"axG",@progbits,_ZN7rocprim17ROCPRIM_400000_NS6detail17trampoline_kernelINS0_14default_configENS1_36segmented_radix_sort_config_selectorIhlEEZNS1_25segmented_radix_sort_implIS3_Lb0EPKhPhPKlPlN2at6native12_GLOBAL__N_18offset_tEEE10hipError_tPvRmT1_PNSt15iterator_traitsISK_E10value_typeET2_T3_PNSL_ISQ_E10value_typeET4_jRbjT5_SW_jjP12ihipStream_tbEUlT_E1_NS1_11comp_targetILNS1_3genE0ELNS1_11target_archE4294967295ELNS1_3gpuE0ELNS1_3repE0EEENS1_59segmented_radix_sort_warp_sort_small_config_static_selectorELNS0_4arch9wavefront6targetE0EEEvSK_,comdat
.Lfunc_end205:
	.size	_ZN7rocprim17ROCPRIM_400000_NS6detail17trampoline_kernelINS0_14default_configENS1_36segmented_radix_sort_config_selectorIhlEEZNS1_25segmented_radix_sort_implIS3_Lb0EPKhPhPKlPlN2at6native12_GLOBAL__N_18offset_tEEE10hipError_tPvRmT1_PNSt15iterator_traitsISK_E10value_typeET2_T3_PNSL_ISQ_E10value_typeET4_jRbjT5_SW_jjP12ihipStream_tbEUlT_E1_NS1_11comp_targetILNS1_3genE0ELNS1_11target_archE4294967295ELNS1_3gpuE0ELNS1_3repE0EEENS1_59segmented_radix_sort_warp_sort_small_config_static_selectorELNS0_4arch9wavefront6targetE0EEEvSK_, .Lfunc_end205-_ZN7rocprim17ROCPRIM_400000_NS6detail17trampoline_kernelINS0_14default_configENS1_36segmented_radix_sort_config_selectorIhlEEZNS1_25segmented_radix_sort_implIS3_Lb0EPKhPhPKlPlN2at6native12_GLOBAL__N_18offset_tEEE10hipError_tPvRmT1_PNSt15iterator_traitsISK_E10value_typeET2_T3_PNSL_ISQ_E10value_typeET4_jRbjT5_SW_jjP12ihipStream_tbEUlT_E1_NS1_11comp_targetILNS1_3genE0ELNS1_11target_archE4294967295ELNS1_3gpuE0ELNS1_3repE0EEENS1_59segmented_radix_sort_warp_sort_small_config_static_selectorELNS0_4arch9wavefront6targetE0EEEvSK_
                                        ; -- End function
	.set _ZN7rocprim17ROCPRIM_400000_NS6detail17trampoline_kernelINS0_14default_configENS1_36segmented_radix_sort_config_selectorIhlEEZNS1_25segmented_radix_sort_implIS3_Lb0EPKhPhPKlPlN2at6native12_GLOBAL__N_18offset_tEEE10hipError_tPvRmT1_PNSt15iterator_traitsISK_E10value_typeET2_T3_PNSL_ISQ_E10value_typeET4_jRbjT5_SW_jjP12ihipStream_tbEUlT_E1_NS1_11comp_targetILNS1_3genE0ELNS1_11target_archE4294967295ELNS1_3gpuE0ELNS1_3repE0EEENS1_59segmented_radix_sort_warp_sort_small_config_static_selectorELNS0_4arch9wavefront6targetE0EEEvSK_.num_vgpr, max(42, .L_ZN7rocprim17ROCPRIM_400000_NS6detail26segmented_warp_sort_helperINS1_20WarpSortHelperConfigILj32ELj4ELj256EEEhlLi256ELb0EvE4sortIPKhPhPKlPlEEvT_T0_T1_T2_jjjjRNS5_12storage_typeE.num_vgpr)
	.set _ZN7rocprim17ROCPRIM_400000_NS6detail17trampoline_kernelINS0_14default_configENS1_36segmented_radix_sort_config_selectorIhlEEZNS1_25segmented_radix_sort_implIS3_Lb0EPKhPhPKlPlN2at6native12_GLOBAL__N_18offset_tEEE10hipError_tPvRmT1_PNSt15iterator_traitsISK_E10value_typeET2_T3_PNSL_ISQ_E10value_typeET4_jRbjT5_SW_jjP12ihipStream_tbEUlT_E1_NS1_11comp_targetILNS1_3genE0ELNS1_11target_archE4294967295ELNS1_3gpuE0ELNS1_3repE0EEENS1_59segmented_radix_sort_warp_sort_small_config_static_selectorELNS0_4arch9wavefront6targetE0EEEvSK_.num_agpr, max(0, .L_ZN7rocprim17ROCPRIM_400000_NS6detail26segmented_warp_sort_helperINS1_20WarpSortHelperConfigILj32ELj4ELj256EEEhlLi256ELb0EvE4sortIPKhPhPKlPlEEvT_T0_T1_T2_jjjjRNS5_12storage_typeE.num_agpr)
	.set _ZN7rocprim17ROCPRIM_400000_NS6detail17trampoline_kernelINS0_14default_configENS1_36segmented_radix_sort_config_selectorIhlEEZNS1_25segmented_radix_sort_implIS3_Lb0EPKhPhPKlPlN2at6native12_GLOBAL__N_18offset_tEEE10hipError_tPvRmT1_PNSt15iterator_traitsISK_E10value_typeET2_T3_PNSL_ISQ_E10value_typeET4_jRbjT5_SW_jjP12ihipStream_tbEUlT_E1_NS1_11comp_targetILNS1_3genE0ELNS1_11target_archE4294967295ELNS1_3gpuE0ELNS1_3repE0EEENS1_59segmented_radix_sort_warp_sort_small_config_static_selectorELNS0_4arch9wavefront6targetE0EEEvSK_.numbered_sgpr, max(40, .L_ZN7rocprim17ROCPRIM_400000_NS6detail26segmented_warp_sort_helperINS1_20WarpSortHelperConfigILj32ELj4ELj256EEEhlLi256ELb0EvE4sortIPKhPhPKlPlEEvT_T0_T1_T2_jjjjRNS5_12storage_typeE.numbered_sgpr)
	.set _ZN7rocprim17ROCPRIM_400000_NS6detail17trampoline_kernelINS0_14default_configENS1_36segmented_radix_sort_config_selectorIhlEEZNS1_25segmented_radix_sort_implIS3_Lb0EPKhPhPKlPlN2at6native12_GLOBAL__N_18offset_tEEE10hipError_tPvRmT1_PNSt15iterator_traitsISK_E10value_typeET2_T3_PNSL_ISQ_E10value_typeET4_jRbjT5_SW_jjP12ihipStream_tbEUlT_E1_NS1_11comp_targetILNS1_3genE0ELNS1_11target_archE4294967295ELNS1_3gpuE0ELNS1_3repE0EEENS1_59segmented_radix_sort_warp_sort_small_config_static_selectorELNS0_4arch9wavefront6targetE0EEEvSK_.num_named_barrier, max(0, .L_ZN7rocprim17ROCPRIM_400000_NS6detail26segmented_warp_sort_helperINS1_20WarpSortHelperConfigILj32ELj4ELj256EEEhlLi256ELb0EvE4sortIPKhPhPKlPlEEvT_T0_T1_T2_jjjjRNS5_12storage_typeE.num_named_barrier)
	.set _ZN7rocprim17ROCPRIM_400000_NS6detail17trampoline_kernelINS0_14default_configENS1_36segmented_radix_sort_config_selectorIhlEEZNS1_25segmented_radix_sort_implIS3_Lb0EPKhPhPKlPlN2at6native12_GLOBAL__N_18offset_tEEE10hipError_tPvRmT1_PNSt15iterator_traitsISK_E10value_typeET2_T3_PNSL_ISQ_E10value_typeET4_jRbjT5_SW_jjP12ihipStream_tbEUlT_E1_NS1_11comp_targetILNS1_3genE0ELNS1_11target_archE4294967295ELNS1_3gpuE0ELNS1_3repE0EEENS1_59segmented_radix_sort_warp_sort_small_config_static_selectorELNS0_4arch9wavefront6targetE0EEEvSK_.private_seg_size, 0+max(.L_ZN7rocprim17ROCPRIM_400000_NS6detail26segmented_warp_sort_helperINS1_20WarpSortHelperConfigILj32ELj4ELj256EEEhlLi256ELb0EvE4sortIPKhPhPKlPlEEvT_T0_T1_T2_jjjjRNS5_12storage_typeE.private_seg_size)
	.set _ZN7rocprim17ROCPRIM_400000_NS6detail17trampoline_kernelINS0_14default_configENS1_36segmented_radix_sort_config_selectorIhlEEZNS1_25segmented_radix_sort_implIS3_Lb0EPKhPhPKlPlN2at6native12_GLOBAL__N_18offset_tEEE10hipError_tPvRmT1_PNSt15iterator_traitsISK_E10value_typeET2_T3_PNSL_ISQ_E10value_typeET4_jRbjT5_SW_jjP12ihipStream_tbEUlT_E1_NS1_11comp_targetILNS1_3genE0ELNS1_11target_archE4294967295ELNS1_3gpuE0ELNS1_3repE0EEENS1_59segmented_radix_sort_warp_sort_small_config_static_selectorELNS0_4arch9wavefront6targetE0EEEvSK_.uses_vcc, or(1, .L_ZN7rocprim17ROCPRIM_400000_NS6detail26segmented_warp_sort_helperINS1_20WarpSortHelperConfigILj32ELj4ELj256EEEhlLi256ELb0EvE4sortIPKhPhPKlPlEEvT_T0_T1_T2_jjjjRNS5_12storage_typeE.uses_vcc)
	.set _ZN7rocprim17ROCPRIM_400000_NS6detail17trampoline_kernelINS0_14default_configENS1_36segmented_radix_sort_config_selectorIhlEEZNS1_25segmented_radix_sort_implIS3_Lb0EPKhPhPKlPlN2at6native12_GLOBAL__N_18offset_tEEE10hipError_tPvRmT1_PNSt15iterator_traitsISK_E10value_typeET2_T3_PNSL_ISQ_E10value_typeET4_jRbjT5_SW_jjP12ihipStream_tbEUlT_E1_NS1_11comp_targetILNS1_3genE0ELNS1_11target_archE4294967295ELNS1_3gpuE0ELNS1_3repE0EEENS1_59segmented_radix_sort_warp_sort_small_config_static_selectorELNS0_4arch9wavefront6targetE0EEEvSK_.uses_flat_scratch, or(0, .L_ZN7rocprim17ROCPRIM_400000_NS6detail26segmented_warp_sort_helperINS1_20WarpSortHelperConfigILj32ELj4ELj256EEEhlLi256ELb0EvE4sortIPKhPhPKlPlEEvT_T0_T1_T2_jjjjRNS5_12storage_typeE.uses_flat_scratch)
	.set _ZN7rocprim17ROCPRIM_400000_NS6detail17trampoline_kernelINS0_14default_configENS1_36segmented_radix_sort_config_selectorIhlEEZNS1_25segmented_radix_sort_implIS3_Lb0EPKhPhPKlPlN2at6native12_GLOBAL__N_18offset_tEEE10hipError_tPvRmT1_PNSt15iterator_traitsISK_E10value_typeET2_T3_PNSL_ISQ_E10value_typeET4_jRbjT5_SW_jjP12ihipStream_tbEUlT_E1_NS1_11comp_targetILNS1_3genE0ELNS1_11target_archE4294967295ELNS1_3gpuE0ELNS1_3repE0EEENS1_59segmented_radix_sort_warp_sort_small_config_static_selectorELNS0_4arch9wavefront6targetE0EEEvSK_.has_dyn_sized_stack, or(0, .L_ZN7rocprim17ROCPRIM_400000_NS6detail26segmented_warp_sort_helperINS1_20WarpSortHelperConfigILj32ELj4ELj256EEEhlLi256ELb0EvE4sortIPKhPhPKlPlEEvT_T0_T1_T2_jjjjRNS5_12storage_typeE.has_dyn_sized_stack)
	.set _ZN7rocprim17ROCPRIM_400000_NS6detail17trampoline_kernelINS0_14default_configENS1_36segmented_radix_sort_config_selectorIhlEEZNS1_25segmented_radix_sort_implIS3_Lb0EPKhPhPKlPlN2at6native12_GLOBAL__N_18offset_tEEE10hipError_tPvRmT1_PNSt15iterator_traitsISK_E10value_typeET2_T3_PNSL_ISQ_E10value_typeET4_jRbjT5_SW_jjP12ihipStream_tbEUlT_E1_NS1_11comp_targetILNS1_3genE0ELNS1_11target_archE4294967295ELNS1_3gpuE0ELNS1_3repE0EEENS1_59segmented_radix_sort_warp_sort_small_config_static_selectorELNS0_4arch9wavefront6targetE0EEEvSK_.has_recursion, or(0, .L_ZN7rocprim17ROCPRIM_400000_NS6detail26segmented_warp_sort_helperINS1_20WarpSortHelperConfigILj32ELj4ELj256EEEhlLi256ELb0EvE4sortIPKhPhPKlPlEEvT_T0_T1_T2_jjjjRNS5_12storage_typeE.has_recursion)
	.set _ZN7rocprim17ROCPRIM_400000_NS6detail17trampoline_kernelINS0_14default_configENS1_36segmented_radix_sort_config_selectorIhlEEZNS1_25segmented_radix_sort_implIS3_Lb0EPKhPhPKlPlN2at6native12_GLOBAL__N_18offset_tEEE10hipError_tPvRmT1_PNSt15iterator_traitsISK_E10value_typeET2_T3_PNSL_ISQ_E10value_typeET4_jRbjT5_SW_jjP12ihipStream_tbEUlT_E1_NS1_11comp_targetILNS1_3genE0ELNS1_11target_archE4294967295ELNS1_3gpuE0ELNS1_3repE0EEENS1_59segmented_radix_sort_warp_sort_small_config_static_selectorELNS0_4arch9wavefront6targetE0EEEvSK_.has_indirect_call, or(0, .L_ZN7rocprim17ROCPRIM_400000_NS6detail26segmented_warp_sort_helperINS1_20WarpSortHelperConfigILj32ELj4ELj256EEEhlLi256ELb0EvE4sortIPKhPhPKlPlEEvT_T0_T1_T2_jjjjRNS5_12storage_typeE.has_indirect_call)
	.section	.AMDGPU.csdata,"",@progbits
; Kernel info:
; codeLenInByte = 520
; TotalNumSgprs: 42
; NumVgprs: 54
; ScratchSize: 0
; MemoryBound: 0
; FloatMode: 240
; IeeeMode: 1
; LDSByteSize: 9216 bytes/workgroup (compile time only)
; SGPRBlocks: 0
; VGPRBlocks: 3
; NumSGPRsForWavesPerEU: 42
; NumVGPRsForWavesPerEU: 54
; NamedBarCnt: 0
; Occupancy: 16
; WaveLimiterHint : 0
; COMPUTE_PGM_RSRC2:SCRATCH_EN: 0
; COMPUTE_PGM_RSRC2:USER_SGPR: 4
; COMPUTE_PGM_RSRC2:TRAP_HANDLER: 0
; COMPUTE_PGM_RSRC2:TGID_X_EN: 1
; COMPUTE_PGM_RSRC2:TGID_Y_EN: 1
; COMPUTE_PGM_RSRC2:TGID_Z_EN: 0
; COMPUTE_PGM_RSRC2:TIDIG_COMP_CNT: 2
	.section	.text._ZN7rocprim17ROCPRIM_400000_NS6detail17trampoline_kernelINS0_14default_configENS1_36segmented_radix_sort_config_selectorIhlEEZNS1_25segmented_radix_sort_implIS3_Lb0EPKhPhPKlPlN2at6native12_GLOBAL__N_18offset_tEEE10hipError_tPvRmT1_PNSt15iterator_traitsISK_E10value_typeET2_T3_PNSL_ISQ_E10value_typeET4_jRbjT5_SW_jjP12ihipStream_tbEUlT_E1_NS1_11comp_targetILNS1_3genE5ELNS1_11target_archE942ELNS1_3gpuE9ELNS1_3repE0EEENS1_59segmented_radix_sort_warp_sort_small_config_static_selectorELNS0_4arch9wavefront6targetE0EEEvSK_,"axG",@progbits,_ZN7rocprim17ROCPRIM_400000_NS6detail17trampoline_kernelINS0_14default_configENS1_36segmented_radix_sort_config_selectorIhlEEZNS1_25segmented_radix_sort_implIS3_Lb0EPKhPhPKlPlN2at6native12_GLOBAL__N_18offset_tEEE10hipError_tPvRmT1_PNSt15iterator_traitsISK_E10value_typeET2_T3_PNSL_ISQ_E10value_typeET4_jRbjT5_SW_jjP12ihipStream_tbEUlT_E1_NS1_11comp_targetILNS1_3genE5ELNS1_11target_archE942ELNS1_3gpuE9ELNS1_3repE0EEENS1_59segmented_radix_sort_warp_sort_small_config_static_selectorELNS0_4arch9wavefront6targetE0EEEvSK_,comdat
	.globl	_ZN7rocprim17ROCPRIM_400000_NS6detail17trampoline_kernelINS0_14default_configENS1_36segmented_radix_sort_config_selectorIhlEEZNS1_25segmented_radix_sort_implIS3_Lb0EPKhPhPKlPlN2at6native12_GLOBAL__N_18offset_tEEE10hipError_tPvRmT1_PNSt15iterator_traitsISK_E10value_typeET2_T3_PNSL_ISQ_E10value_typeET4_jRbjT5_SW_jjP12ihipStream_tbEUlT_E1_NS1_11comp_targetILNS1_3genE5ELNS1_11target_archE942ELNS1_3gpuE9ELNS1_3repE0EEENS1_59segmented_radix_sort_warp_sort_small_config_static_selectorELNS0_4arch9wavefront6targetE0EEEvSK_ ; -- Begin function _ZN7rocprim17ROCPRIM_400000_NS6detail17trampoline_kernelINS0_14default_configENS1_36segmented_radix_sort_config_selectorIhlEEZNS1_25segmented_radix_sort_implIS3_Lb0EPKhPhPKlPlN2at6native12_GLOBAL__N_18offset_tEEE10hipError_tPvRmT1_PNSt15iterator_traitsISK_E10value_typeET2_T3_PNSL_ISQ_E10value_typeET4_jRbjT5_SW_jjP12ihipStream_tbEUlT_E1_NS1_11comp_targetILNS1_3genE5ELNS1_11target_archE942ELNS1_3gpuE9ELNS1_3repE0EEENS1_59segmented_radix_sort_warp_sort_small_config_static_selectorELNS0_4arch9wavefront6targetE0EEEvSK_
	.p2align	8
	.type	_ZN7rocprim17ROCPRIM_400000_NS6detail17trampoline_kernelINS0_14default_configENS1_36segmented_radix_sort_config_selectorIhlEEZNS1_25segmented_radix_sort_implIS3_Lb0EPKhPhPKlPlN2at6native12_GLOBAL__N_18offset_tEEE10hipError_tPvRmT1_PNSt15iterator_traitsISK_E10value_typeET2_T3_PNSL_ISQ_E10value_typeET4_jRbjT5_SW_jjP12ihipStream_tbEUlT_E1_NS1_11comp_targetILNS1_3genE5ELNS1_11target_archE942ELNS1_3gpuE9ELNS1_3repE0EEENS1_59segmented_radix_sort_warp_sort_small_config_static_selectorELNS0_4arch9wavefront6targetE0EEEvSK_,@function
_ZN7rocprim17ROCPRIM_400000_NS6detail17trampoline_kernelINS0_14default_configENS1_36segmented_radix_sort_config_selectorIhlEEZNS1_25segmented_radix_sort_implIS3_Lb0EPKhPhPKlPlN2at6native12_GLOBAL__N_18offset_tEEE10hipError_tPvRmT1_PNSt15iterator_traitsISK_E10value_typeET2_T3_PNSL_ISQ_E10value_typeET4_jRbjT5_SW_jjP12ihipStream_tbEUlT_E1_NS1_11comp_targetILNS1_3genE5ELNS1_11target_archE942ELNS1_3gpuE9ELNS1_3repE0EEENS1_59segmented_radix_sort_warp_sort_small_config_static_selectorELNS0_4arch9wavefront6targetE0EEEvSK_: ; @_ZN7rocprim17ROCPRIM_400000_NS6detail17trampoline_kernelINS0_14default_configENS1_36segmented_radix_sort_config_selectorIhlEEZNS1_25segmented_radix_sort_implIS3_Lb0EPKhPhPKlPlN2at6native12_GLOBAL__N_18offset_tEEE10hipError_tPvRmT1_PNSt15iterator_traitsISK_E10value_typeET2_T3_PNSL_ISQ_E10value_typeET4_jRbjT5_SW_jjP12ihipStream_tbEUlT_E1_NS1_11comp_targetILNS1_3genE5ELNS1_11target_archE942ELNS1_3gpuE9ELNS1_3repE0EEENS1_59segmented_radix_sort_warp_sort_small_config_static_selectorELNS0_4arch9wavefront6targetE0EEEvSK_
; %bb.0:
	.section	.rodata,"a",@progbits
	.p2align	6, 0x0
	.amdhsa_kernel _ZN7rocprim17ROCPRIM_400000_NS6detail17trampoline_kernelINS0_14default_configENS1_36segmented_radix_sort_config_selectorIhlEEZNS1_25segmented_radix_sort_implIS3_Lb0EPKhPhPKlPlN2at6native12_GLOBAL__N_18offset_tEEE10hipError_tPvRmT1_PNSt15iterator_traitsISK_E10value_typeET2_T3_PNSL_ISQ_E10value_typeET4_jRbjT5_SW_jjP12ihipStream_tbEUlT_E1_NS1_11comp_targetILNS1_3genE5ELNS1_11target_archE942ELNS1_3gpuE9ELNS1_3repE0EEENS1_59segmented_radix_sort_warp_sort_small_config_static_selectorELNS0_4arch9wavefront6targetE0EEEvSK_
		.amdhsa_group_segment_fixed_size 0
		.amdhsa_private_segment_fixed_size 0
		.amdhsa_kernarg_size 88
		.amdhsa_user_sgpr_count 2
		.amdhsa_user_sgpr_dispatch_ptr 0
		.amdhsa_user_sgpr_queue_ptr 0
		.amdhsa_user_sgpr_kernarg_segment_ptr 1
		.amdhsa_user_sgpr_dispatch_id 0
		.amdhsa_user_sgpr_kernarg_preload_length 0
		.amdhsa_user_sgpr_kernarg_preload_offset 0
		.amdhsa_user_sgpr_private_segment_size 0
		.amdhsa_wavefront_size32 1
		.amdhsa_uses_dynamic_stack 0
		.amdhsa_enable_private_segment 0
		.amdhsa_system_sgpr_workgroup_id_x 1
		.amdhsa_system_sgpr_workgroup_id_y 0
		.amdhsa_system_sgpr_workgroup_id_z 0
		.amdhsa_system_sgpr_workgroup_info 0
		.amdhsa_system_vgpr_workitem_id 0
		.amdhsa_next_free_vgpr 1
		.amdhsa_next_free_sgpr 1
		.amdhsa_named_barrier_count 0
		.amdhsa_reserve_vcc 0
		.amdhsa_float_round_mode_32 0
		.amdhsa_float_round_mode_16_64 0
		.amdhsa_float_denorm_mode_32 3
		.amdhsa_float_denorm_mode_16_64 3
		.amdhsa_fp16_overflow 0
		.amdhsa_memory_ordered 1
		.amdhsa_forward_progress 1
		.amdhsa_inst_pref_size 0
		.amdhsa_round_robin_scheduling 0
		.amdhsa_exception_fp_ieee_invalid_op 0
		.amdhsa_exception_fp_denorm_src 0
		.amdhsa_exception_fp_ieee_div_zero 0
		.amdhsa_exception_fp_ieee_overflow 0
		.amdhsa_exception_fp_ieee_underflow 0
		.amdhsa_exception_fp_ieee_inexact 0
		.amdhsa_exception_int_div_zero 0
	.end_amdhsa_kernel
	.section	.text._ZN7rocprim17ROCPRIM_400000_NS6detail17trampoline_kernelINS0_14default_configENS1_36segmented_radix_sort_config_selectorIhlEEZNS1_25segmented_radix_sort_implIS3_Lb0EPKhPhPKlPlN2at6native12_GLOBAL__N_18offset_tEEE10hipError_tPvRmT1_PNSt15iterator_traitsISK_E10value_typeET2_T3_PNSL_ISQ_E10value_typeET4_jRbjT5_SW_jjP12ihipStream_tbEUlT_E1_NS1_11comp_targetILNS1_3genE5ELNS1_11target_archE942ELNS1_3gpuE9ELNS1_3repE0EEENS1_59segmented_radix_sort_warp_sort_small_config_static_selectorELNS0_4arch9wavefront6targetE0EEEvSK_,"axG",@progbits,_ZN7rocprim17ROCPRIM_400000_NS6detail17trampoline_kernelINS0_14default_configENS1_36segmented_radix_sort_config_selectorIhlEEZNS1_25segmented_radix_sort_implIS3_Lb0EPKhPhPKlPlN2at6native12_GLOBAL__N_18offset_tEEE10hipError_tPvRmT1_PNSt15iterator_traitsISK_E10value_typeET2_T3_PNSL_ISQ_E10value_typeET4_jRbjT5_SW_jjP12ihipStream_tbEUlT_E1_NS1_11comp_targetILNS1_3genE5ELNS1_11target_archE942ELNS1_3gpuE9ELNS1_3repE0EEENS1_59segmented_radix_sort_warp_sort_small_config_static_selectorELNS0_4arch9wavefront6targetE0EEEvSK_,comdat
.Lfunc_end206:
	.size	_ZN7rocprim17ROCPRIM_400000_NS6detail17trampoline_kernelINS0_14default_configENS1_36segmented_radix_sort_config_selectorIhlEEZNS1_25segmented_radix_sort_implIS3_Lb0EPKhPhPKlPlN2at6native12_GLOBAL__N_18offset_tEEE10hipError_tPvRmT1_PNSt15iterator_traitsISK_E10value_typeET2_T3_PNSL_ISQ_E10value_typeET4_jRbjT5_SW_jjP12ihipStream_tbEUlT_E1_NS1_11comp_targetILNS1_3genE5ELNS1_11target_archE942ELNS1_3gpuE9ELNS1_3repE0EEENS1_59segmented_radix_sort_warp_sort_small_config_static_selectorELNS0_4arch9wavefront6targetE0EEEvSK_, .Lfunc_end206-_ZN7rocprim17ROCPRIM_400000_NS6detail17trampoline_kernelINS0_14default_configENS1_36segmented_radix_sort_config_selectorIhlEEZNS1_25segmented_radix_sort_implIS3_Lb0EPKhPhPKlPlN2at6native12_GLOBAL__N_18offset_tEEE10hipError_tPvRmT1_PNSt15iterator_traitsISK_E10value_typeET2_T3_PNSL_ISQ_E10value_typeET4_jRbjT5_SW_jjP12ihipStream_tbEUlT_E1_NS1_11comp_targetILNS1_3genE5ELNS1_11target_archE942ELNS1_3gpuE9ELNS1_3repE0EEENS1_59segmented_radix_sort_warp_sort_small_config_static_selectorELNS0_4arch9wavefront6targetE0EEEvSK_
                                        ; -- End function
	.set _ZN7rocprim17ROCPRIM_400000_NS6detail17trampoline_kernelINS0_14default_configENS1_36segmented_radix_sort_config_selectorIhlEEZNS1_25segmented_radix_sort_implIS3_Lb0EPKhPhPKlPlN2at6native12_GLOBAL__N_18offset_tEEE10hipError_tPvRmT1_PNSt15iterator_traitsISK_E10value_typeET2_T3_PNSL_ISQ_E10value_typeET4_jRbjT5_SW_jjP12ihipStream_tbEUlT_E1_NS1_11comp_targetILNS1_3genE5ELNS1_11target_archE942ELNS1_3gpuE9ELNS1_3repE0EEENS1_59segmented_radix_sort_warp_sort_small_config_static_selectorELNS0_4arch9wavefront6targetE0EEEvSK_.num_vgpr, 0
	.set _ZN7rocprim17ROCPRIM_400000_NS6detail17trampoline_kernelINS0_14default_configENS1_36segmented_radix_sort_config_selectorIhlEEZNS1_25segmented_radix_sort_implIS3_Lb0EPKhPhPKlPlN2at6native12_GLOBAL__N_18offset_tEEE10hipError_tPvRmT1_PNSt15iterator_traitsISK_E10value_typeET2_T3_PNSL_ISQ_E10value_typeET4_jRbjT5_SW_jjP12ihipStream_tbEUlT_E1_NS1_11comp_targetILNS1_3genE5ELNS1_11target_archE942ELNS1_3gpuE9ELNS1_3repE0EEENS1_59segmented_radix_sort_warp_sort_small_config_static_selectorELNS0_4arch9wavefront6targetE0EEEvSK_.num_agpr, 0
	.set _ZN7rocprim17ROCPRIM_400000_NS6detail17trampoline_kernelINS0_14default_configENS1_36segmented_radix_sort_config_selectorIhlEEZNS1_25segmented_radix_sort_implIS3_Lb0EPKhPhPKlPlN2at6native12_GLOBAL__N_18offset_tEEE10hipError_tPvRmT1_PNSt15iterator_traitsISK_E10value_typeET2_T3_PNSL_ISQ_E10value_typeET4_jRbjT5_SW_jjP12ihipStream_tbEUlT_E1_NS1_11comp_targetILNS1_3genE5ELNS1_11target_archE942ELNS1_3gpuE9ELNS1_3repE0EEENS1_59segmented_radix_sort_warp_sort_small_config_static_selectorELNS0_4arch9wavefront6targetE0EEEvSK_.numbered_sgpr, 0
	.set _ZN7rocprim17ROCPRIM_400000_NS6detail17trampoline_kernelINS0_14default_configENS1_36segmented_radix_sort_config_selectorIhlEEZNS1_25segmented_radix_sort_implIS3_Lb0EPKhPhPKlPlN2at6native12_GLOBAL__N_18offset_tEEE10hipError_tPvRmT1_PNSt15iterator_traitsISK_E10value_typeET2_T3_PNSL_ISQ_E10value_typeET4_jRbjT5_SW_jjP12ihipStream_tbEUlT_E1_NS1_11comp_targetILNS1_3genE5ELNS1_11target_archE942ELNS1_3gpuE9ELNS1_3repE0EEENS1_59segmented_radix_sort_warp_sort_small_config_static_selectorELNS0_4arch9wavefront6targetE0EEEvSK_.num_named_barrier, 0
	.set _ZN7rocprim17ROCPRIM_400000_NS6detail17trampoline_kernelINS0_14default_configENS1_36segmented_radix_sort_config_selectorIhlEEZNS1_25segmented_radix_sort_implIS3_Lb0EPKhPhPKlPlN2at6native12_GLOBAL__N_18offset_tEEE10hipError_tPvRmT1_PNSt15iterator_traitsISK_E10value_typeET2_T3_PNSL_ISQ_E10value_typeET4_jRbjT5_SW_jjP12ihipStream_tbEUlT_E1_NS1_11comp_targetILNS1_3genE5ELNS1_11target_archE942ELNS1_3gpuE9ELNS1_3repE0EEENS1_59segmented_radix_sort_warp_sort_small_config_static_selectorELNS0_4arch9wavefront6targetE0EEEvSK_.private_seg_size, 0
	.set _ZN7rocprim17ROCPRIM_400000_NS6detail17trampoline_kernelINS0_14default_configENS1_36segmented_radix_sort_config_selectorIhlEEZNS1_25segmented_radix_sort_implIS3_Lb0EPKhPhPKlPlN2at6native12_GLOBAL__N_18offset_tEEE10hipError_tPvRmT1_PNSt15iterator_traitsISK_E10value_typeET2_T3_PNSL_ISQ_E10value_typeET4_jRbjT5_SW_jjP12ihipStream_tbEUlT_E1_NS1_11comp_targetILNS1_3genE5ELNS1_11target_archE942ELNS1_3gpuE9ELNS1_3repE0EEENS1_59segmented_radix_sort_warp_sort_small_config_static_selectorELNS0_4arch9wavefront6targetE0EEEvSK_.uses_vcc, 0
	.set _ZN7rocprim17ROCPRIM_400000_NS6detail17trampoline_kernelINS0_14default_configENS1_36segmented_radix_sort_config_selectorIhlEEZNS1_25segmented_radix_sort_implIS3_Lb0EPKhPhPKlPlN2at6native12_GLOBAL__N_18offset_tEEE10hipError_tPvRmT1_PNSt15iterator_traitsISK_E10value_typeET2_T3_PNSL_ISQ_E10value_typeET4_jRbjT5_SW_jjP12ihipStream_tbEUlT_E1_NS1_11comp_targetILNS1_3genE5ELNS1_11target_archE942ELNS1_3gpuE9ELNS1_3repE0EEENS1_59segmented_radix_sort_warp_sort_small_config_static_selectorELNS0_4arch9wavefront6targetE0EEEvSK_.uses_flat_scratch, 0
	.set _ZN7rocprim17ROCPRIM_400000_NS6detail17trampoline_kernelINS0_14default_configENS1_36segmented_radix_sort_config_selectorIhlEEZNS1_25segmented_radix_sort_implIS3_Lb0EPKhPhPKlPlN2at6native12_GLOBAL__N_18offset_tEEE10hipError_tPvRmT1_PNSt15iterator_traitsISK_E10value_typeET2_T3_PNSL_ISQ_E10value_typeET4_jRbjT5_SW_jjP12ihipStream_tbEUlT_E1_NS1_11comp_targetILNS1_3genE5ELNS1_11target_archE942ELNS1_3gpuE9ELNS1_3repE0EEENS1_59segmented_radix_sort_warp_sort_small_config_static_selectorELNS0_4arch9wavefront6targetE0EEEvSK_.has_dyn_sized_stack, 0
	.set _ZN7rocprim17ROCPRIM_400000_NS6detail17trampoline_kernelINS0_14default_configENS1_36segmented_radix_sort_config_selectorIhlEEZNS1_25segmented_radix_sort_implIS3_Lb0EPKhPhPKlPlN2at6native12_GLOBAL__N_18offset_tEEE10hipError_tPvRmT1_PNSt15iterator_traitsISK_E10value_typeET2_T3_PNSL_ISQ_E10value_typeET4_jRbjT5_SW_jjP12ihipStream_tbEUlT_E1_NS1_11comp_targetILNS1_3genE5ELNS1_11target_archE942ELNS1_3gpuE9ELNS1_3repE0EEENS1_59segmented_radix_sort_warp_sort_small_config_static_selectorELNS0_4arch9wavefront6targetE0EEEvSK_.has_recursion, 0
	.set _ZN7rocprim17ROCPRIM_400000_NS6detail17trampoline_kernelINS0_14default_configENS1_36segmented_radix_sort_config_selectorIhlEEZNS1_25segmented_radix_sort_implIS3_Lb0EPKhPhPKlPlN2at6native12_GLOBAL__N_18offset_tEEE10hipError_tPvRmT1_PNSt15iterator_traitsISK_E10value_typeET2_T3_PNSL_ISQ_E10value_typeET4_jRbjT5_SW_jjP12ihipStream_tbEUlT_E1_NS1_11comp_targetILNS1_3genE5ELNS1_11target_archE942ELNS1_3gpuE9ELNS1_3repE0EEENS1_59segmented_radix_sort_warp_sort_small_config_static_selectorELNS0_4arch9wavefront6targetE0EEEvSK_.has_indirect_call, 0
	.section	.AMDGPU.csdata,"",@progbits
; Kernel info:
; codeLenInByte = 0
; TotalNumSgprs: 0
; NumVgprs: 0
; ScratchSize: 0
; MemoryBound: 0
; FloatMode: 240
; IeeeMode: 1
; LDSByteSize: 0 bytes/workgroup (compile time only)
; SGPRBlocks: 0
; VGPRBlocks: 0
; NumSGPRsForWavesPerEU: 1
; NumVGPRsForWavesPerEU: 1
; NamedBarCnt: 0
; Occupancy: 16
; WaveLimiterHint : 0
; COMPUTE_PGM_RSRC2:SCRATCH_EN: 0
; COMPUTE_PGM_RSRC2:USER_SGPR: 2
; COMPUTE_PGM_RSRC2:TRAP_HANDLER: 0
; COMPUTE_PGM_RSRC2:TGID_X_EN: 1
; COMPUTE_PGM_RSRC2:TGID_Y_EN: 0
; COMPUTE_PGM_RSRC2:TGID_Z_EN: 0
; COMPUTE_PGM_RSRC2:TIDIG_COMP_CNT: 0
	.section	.text._ZN7rocprim17ROCPRIM_400000_NS6detail17trampoline_kernelINS0_14default_configENS1_36segmented_radix_sort_config_selectorIhlEEZNS1_25segmented_radix_sort_implIS3_Lb0EPKhPhPKlPlN2at6native12_GLOBAL__N_18offset_tEEE10hipError_tPvRmT1_PNSt15iterator_traitsISK_E10value_typeET2_T3_PNSL_ISQ_E10value_typeET4_jRbjT5_SW_jjP12ihipStream_tbEUlT_E1_NS1_11comp_targetILNS1_3genE4ELNS1_11target_archE910ELNS1_3gpuE8ELNS1_3repE0EEENS1_59segmented_radix_sort_warp_sort_small_config_static_selectorELNS0_4arch9wavefront6targetE0EEEvSK_,"axG",@progbits,_ZN7rocprim17ROCPRIM_400000_NS6detail17trampoline_kernelINS0_14default_configENS1_36segmented_radix_sort_config_selectorIhlEEZNS1_25segmented_radix_sort_implIS3_Lb0EPKhPhPKlPlN2at6native12_GLOBAL__N_18offset_tEEE10hipError_tPvRmT1_PNSt15iterator_traitsISK_E10value_typeET2_T3_PNSL_ISQ_E10value_typeET4_jRbjT5_SW_jjP12ihipStream_tbEUlT_E1_NS1_11comp_targetILNS1_3genE4ELNS1_11target_archE910ELNS1_3gpuE8ELNS1_3repE0EEENS1_59segmented_radix_sort_warp_sort_small_config_static_selectorELNS0_4arch9wavefront6targetE0EEEvSK_,comdat
	.globl	_ZN7rocprim17ROCPRIM_400000_NS6detail17trampoline_kernelINS0_14default_configENS1_36segmented_radix_sort_config_selectorIhlEEZNS1_25segmented_radix_sort_implIS3_Lb0EPKhPhPKlPlN2at6native12_GLOBAL__N_18offset_tEEE10hipError_tPvRmT1_PNSt15iterator_traitsISK_E10value_typeET2_T3_PNSL_ISQ_E10value_typeET4_jRbjT5_SW_jjP12ihipStream_tbEUlT_E1_NS1_11comp_targetILNS1_3genE4ELNS1_11target_archE910ELNS1_3gpuE8ELNS1_3repE0EEENS1_59segmented_radix_sort_warp_sort_small_config_static_selectorELNS0_4arch9wavefront6targetE0EEEvSK_ ; -- Begin function _ZN7rocprim17ROCPRIM_400000_NS6detail17trampoline_kernelINS0_14default_configENS1_36segmented_radix_sort_config_selectorIhlEEZNS1_25segmented_radix_sort_implIS3_Lb0EPKhPhPKlPlN2at6native12_GLOBAL__N_18offset_tEEE10hipError_tPvRmT1_PNSt15iterator_traitsISK_E10value_typeET2_T3_PNSL_ISQ_E10value_typeET4_jRbjT5_SW_jjP12ihipStream_tbEUlT_E1_NS1_11comp_targetILNS1_3genE4ELNS1_11target_archE910ELNS1_3gpuE8ELNS1_3repE0EEENS1_59segmented_radix_sort_warp_sort_small_config_static_selectorELNS0_4arch9wavefront6targetE0EEEvSK_
	.p2align	8
	.type	_ZN7rocprim17ROCPRIM_400000_NS6detail17trampoline_kernelINS0_14default_configENS1_36segmented_radix_sort_config_selectorIhlEEZNS1_25segmented_radix_sort_implIS3_Lb0EPKhPhPKlPlN2at6native12_GLOBAL__N_18offset_tEEE10hipError_tPvRmT1_PNSt15iterator_traitsISK_E10value_typeET2_T3_PNSL_ISQ_E10value_typeET4_jRbjT5_SW_jjP12ihipStream_tbEUlT_E1_NS1_11comp_targetILNS1_3genE4ELNS1_11target_archE910ELNS1_3gpuE8ELNS1_3repE0EEENS1_59segmented_radix_sort_warp_sort_small_config_static_selectorELNS0_4arch9wavefront6targetE0EEEvSK_,@function
_ZN7rocprim17ROCPRIM_400000_NS6detail17trampoline_kernelINS0_14default_configENS1_36segmented_radix_sort_config_selectorIhlEEZNS1_25segmented_radix_sort_implIS3_Lb0EPKhPhPKlPlN2at6native12_GLOBAL__N_18offset_tEEE10hipError_tPvRmT1_PNSt15iterator_traitsISK_E10value_typeET2_T3_PNSL_ISQ_E10value_typeET4_jRbjT5_SW_jjP12ihipStream_tbEUlT_E1_NS1_11comp_targetILNS1_3genE4ELNS1_11target_archE910ELNS1_3gpuE8ELNS1_3repE0EEENS1_59segmented_radix_sort_warp_sort_small_config_static_selectorELNS0_4arch9wavefront6targetE0EEEvSK_: ; @_ZN7rocprim17ROCPRIM_400000_NS6detail17trampoline_kernelINS0_14default_configENS1_36segmented_radix_sort_config_selectorIhlEEZNS1_25segmented_radix_sort_implIS3_Lb0EPKhPhPKlPlN2at6native12_GLOBAL__N_18offset_tEEE10hipError_tPvRmT1_PNSt15iterator_traitsISK_E10value_typeET2_T3_PNSL_ISQ_E10value_typeET4_jRbjT5_SW_jjP12ihipStream_tbEUlT_E1_NS1_11comp_targetILNS1_3genE4ELNS1_11target_archE910ELNS1_3gpuE8ELNS1_3repE0EEENS1_59segmented_radix_sort_warp_sort_small_config_static_selectorELNS0_4arch9wavefront6targetE0EEEvSK_
; %bb.0:
	.section	.rodata,"a",@progbits
	.p2align	6, 0x0
	.amdhsa_kernel _ZN7rocprim17ROCPRIM_400000_NS6detail17trampoline_kernelINS0_14default_configENS1_36segmented_radix_sort_config_selectorIhlEEZNS1_25segmented_radix_sort_implIS3_Lb0EPKhPhPKlPlN2at6native12_GLOBAL__N_18offset_tEEE10hipError_tPvRmT1_PNSt15iterator_traitsISK_E10value_typeET2_T3_PNSL_ISQ_E10value_typeET4_jRbjT5_SW_jjP12ihipStream_tbEUlT_E1_NS1_11comp_targetILNS1_3genE4ELNS1_11target_archE910ELNS1_3gpuE8ELNS1_3repE0EEENS1_59segmented_radix_sort_warp_sort_small_config_static_selectorELNS0_4arch9wavefront6targetE0EEEvSK_
		.amdhsa_group_segment_fixed_size 0
		.amdhsa_private_segment_fixed_size 0
		.amdhsa_kernarg_size 88
		.amdhsa_user_sgpr_count 2
		.amdhsa_user_sgpr_dispatch_ptr 0
		.amdhsa_user_sgpr_queue_ptr 0
		.amdhsa_user_sgpr_kernarg_segment_ptr 1
		.amdhsa_user_sgpr_dispatch_id 0
		.amdhsa_user_sgpr_kernarg_preload_length 0
		.amdhsa_user_sgpr_kernarg_preload_offset 0
		.amdhsa_user_sgpr_private_segment_size 0
		.amdhsa_wavefront_size32 1
		.amdhsa_uses_dynamic_stack 0
		.amdhsa_enable_private_segment 0
		.amdhsa_system_sgpr_workgroup_id_x 1
		.amdhsa_system_sgpr_workgroup_id_y 0
		.amdhsa_system_sgpr_workgroup_id_z 0
		.amdhsa_system_sgpr_workgroup_info 0
		.amdhsa_system_vgpr_workitem_id 0
		.amdhsa_next_free_vgpr 1
		.amdhsa_next_free_sgpr 1
		.amdhsa_named_barrier_count 0
		.amdhsa_reserve_vcc 0
		.amdhsa_float_round_mode_32 0
		.amdhsa_float_round_mode_16_64 0
		.amdhsa_float_denorm_mode_32 3
		.amdhsa_float_denorm_mode_16_64 3
		.amdhsa_fp16_overflow 0
		.amdhsa_memory_ordered 1
		.amdhsa_forward_progress 1
		.amdhsa_inst_pref_size 0
		.amdhsa_round_robin_scheduling 0
		.amdhsa_exception_fp_ieee_invalid_op 0
		.amdhsa_exception_fp_denorm_src 0
		.amdhsa_exception_fp_ieee_div_zero 0
		.amdhsa_exception_fp_ieee_overflow 0
		.amdhsa_exception_fp_ieee_underflow 0
		.amdhsa_exception_fp_ieee_inexact 0
		.amdhsa_exception_int_div_zero 0
	.end_amdhsa_kernel
	.section	.text._ZN7rocprim17ROCPRIM_400000_NS6detail17trampoline_kernelINS0_14default_configENS1_36segmented_radix_sort_config_selectorIhlEEZNS1_25segmented_radix_sort_implIS3_Lb0EPKhPhPKlPlN2at6native12_GLOBAL__N_18offset_tEEE10hipError_tPvRmT1_PNSt15iterator_traitsISK_E10value_typeET2_T3_PNSL_ISQ_E10value_typeET4_jRbjT5_SW_jjP12ihipStream_tbEUlT_E1_NS1_11comp_targetILNS1_3genE4ELNS1_11target_archE910ELNS1_3gpuE8ELNS1_3repE0EEENS1_59segmented_radix_sort_warp_sort_small_config_static_selectorELNS0_4arch9wavefront6targetE0EEEvSK_,"axG",@progbits,_ZN7rocprim17ROCPRIM_400000_NS6detail17trampoline_kernelINS0_14default_configENS1_36segmented_radix_sort_config_selectorIhlEEZNS1_25segmented_radix_sort_implIS3_Lb0EPKhPhPKlPlN2at6native12_GLOBAL__N_18offset_tEEE10hipError_tPvRmT1_PNSt15iterator_traitsISK_E10value_typeET2_T3_PNSL_ISQ_E10value_typeET4_jRbjT5_SW_jjP12ihipStream_tbEUlT_E1_NS1_11comp_targetILNS1_3genE4ELNS1_11target_archE910ELNS1_3gpuE8ELNS1_3repE0EEENS1_59segmented_radix_sort_warp_sort_small_config_static_selectorELNS0_4arch9wavefront6targetE0EEEvSK_,comdat
.Lfunc_end207:
	.size	_ZN7rocprim17ROCPRIM_400000_NS6detail17trampoline_kernelINS0_14default_configENS1_36segmented_radix_sort_config_selectorIhlEEZNS1_25segmented_radix_sort_implIS3_Lb0EPKhPhPKlPlN2at6native12_GLOBAL__N_18offset_tEEE10hipError_tPvRmT1_PNSt15iterator_traitsISK_E10value_typeET2_T3_PNSL_ISQ_E10value_typeET4_jRbjT5_SW_jjP12ihipStream_tbEUlT_E1_NS1_11comp_targetILNS1_3genE4ELNS1_11target_archE910ELNS1_3gpuE8ELNS1_3repE0EEENS1_59segmented_radix_sort_warp_sort_small_config_static_selectorELNS0_4arch9wavefront6targetE0EEEvSK_, .Lfunc_end207-_ZN7rocprim17ROCPRIM_400000_NS6detail17trampoline_kernelINS0_14default_configENS1_36segmented_radix_sort_config_selectorIhlEEZNS1_25segmented_radix_sort_implIS3_Lb0EPKhPhPKlPlN2at6native12_GLOBAL__N_18offset_tEEE10hipError_tPvRmT1_PNSt15iterator_traitsISK_E10value_typeET2_T3_PNSL_ISQ_E10value_typeET4_jRbjT5_SW_jjP12ihipStream_tbEUlT_E1_NS1_11comp_targetILNS1_3genE4ELNS1_11target_archE910ELNS1_3gpuE8ELNS1_3repE0EEENS1_59segmented_radix_sort_warp_sort_small_config_static_selectorELNS0_4arch9wavefront6targetE0EEEvSK_
                                        ; -- End function
	.set _ZN7rocprim17ROCPRIM_400000_NS6detail17trampoline_kernelINS0_14default_configENS1_36segmented_radix_sort_config_selectorIhlEEZNS1_25segmented_radix_sort_implIS3_Lb0EPKhPhPKlPlN2at6native12_GLOBAL__N_18offset_tEEE10hipError_tPvRmT1_PNSt15iterator_traitsISK_E10value_typeET2_T3_PNSL_ISQ_E10value_typeET4_jRbjT5_SW_jjP12ihipStream_tbEUlT_E1_NS1_11comp_targetILNS1_3genE4ELNS1_11target_archE910ELNS1_3gpuE8ELNS1_3repE0EEENS1_59segmented_radix_sort_warp_sort_small_config_static_selectorELNS0_4arch9wavefront6targetE0EEEvSK_.num_vgpr, 0
	.set _ZN7rocprim17ROCPRIM_400000_NS6detail17trampoline_kernelINS0_14default_configENS1_36segmented_radix_sort_config_selectorIhlEEZNS1_25segmented_radix_sort_implIS3_Lb0EPKhPhPKlPlN2at6native12_GLOBAL__N_18offset_tEEE10hipError_tPvRmT1_PNSt15iterator_traitsISK_E10value_typeET2_T3_PNSL_ISQ_E10value_typeET4_jRbjT5_SW_jjP12ihipStream_tbEUlT_E1_NS1_11comp_targetILNS1_3genE4ELNS1_11target_archE910ELNS1_3gpuE8ELNS1_3repE0EEENS1_59segmented_radix_sort_warp_sort_small_config_static_selectorELNS0_4arch9wavefront6targetE0EEEvSK_.num_agpr, 0
	.set _ZN7rocprim17ROCPRIM_400000_NS6detail17trampoline_kernelINS0_14default_configENS1_36segmented_radix_sort_config_selectorIhlEEZNS1_25segmented_radix_sort_implIS3_Lb0EPKhPhPKlPlN2at6native12_GLOBAL__N_18offset_tEEE10hipError_tPvRmT1_PNSt15iterator_traitsISK_E10value_typeET2_T3_PNSL_ISQ_E10value_typeET4_jRbjT5_SW_jjP12ihipStream_tbEUlT_E1_NS1_11comp_targetILNS1_3genE4ELNS1_11target_archE910ELNS1_3gpuE8ELNS1_3repE0EEENS1_59segmented_radix_sort_warp_sort_small_config_static_selectorELNS0_4arch9wavefront6targetE0EEEvSK_.numbered_sgpr, 0
	.set _ZN7rocprim17ROCPRIM_400000_NS6detail17trampoline_kernelINS0_14default_configENS1_36segmented_radix_sort_config_selectorIhlEEZNS1_25segmented_radix_sort_implIS3_Lb0EPKhPhPKlPlN2at6native12_GLOBAL__N_18offset_tEEE10hipError_tPvRmT1_PNSt15iterator_traitsISK_E10value_typeET2_T3_PNSL_ISQ_E10value_typeET4_jRbjT5_SW_jjP12ihipStream_tbEUlT_E1_NS1_11comp_targetILNS1_3genE4ELNS1_11target_archE910ELNS1_3gpuE8ELNS1_3repE0EEENS1_59segmented_radix_sort_warp_sort_small_config_static_selectorELNS0_4arch9wavefront6targetE0EEEvSK_.num_named_barrier, 0
	.set _ZN7rocprim17ROCPRIM_400000_NS6detail17trampoline_kernelINS0_14default_configENS1_36segmented_radix_sort_config_selectorIhlEEZNS1_25segmented_radix_sort_implIS3_Lb0EPKhPhPKlPlN2at6native12_GLOBAL__N_18offset_tEEE10hipError_tPvRmT1_PNSt15iterator_traitsISK_E10value_typeET2_T3_PNSL_ISQ_E10value_typeET4_jRbjT5_SW_jjP12ihipStream_tbEUlT_E1_NS1_11comp_targetILNS1_3genE4ELNS1_11target_archE910ELNS1_3gpuE8ELNS1_3repE0EEENS1_59segmented_radix_sort_warp_sort_small_config_static_selectorELNS0_4arch9wavefront6targetE0EEEvSK_.private_seg_size, 0
	.set _ZN7rocprim17ROCPRIM_400000_NS6detail17trampoline_kernelINS0_14default_configENS1_36segmented_radix_sort_config_selectorIhlEEZNS1_25segmented_radix_sort_implIS3_Lb0EPKhPhPKlPlN2at6native12_GLOBAL__N_18offset_tEEE10hipError_tPvRmT1_PNSt15iterator_traitsISK_E10value_typeET2_T3_PNSL_ISQ_E10value_typeET4_jRbjT5_SW_jjP12ihipStream_tbEUlT_E1_NS1_11comp_targetILNS1_3genE4ELNS1_11target_archE910ELNS1_3gpuE8ELNS1_3repE0EEENS1_59segmented_radix_sort_warp_sort_small_config_static_selectorELNS0_4arch9wavefront6targetE0EEEvSK_.uses_vcc, 0
	.set _ZN7rocprim17ROCPRIM_400000_NS6detail17trampoline_kernelINS0_14default_configENS1_36segmented_radix_sort_config_selectorIhlEEZNS1_25segmented_radix_sort_implIS3_Lb0EPKhPhPKlPlN2at6native12_GLOBAL__N_18offset_tEEE10hipError_tPvRmT1_PNSt15iterator_traitsISK_E10value_typeET2_T3_PNSL_ISQ_E10value_typeET4_jRbjT5_SW_jjP12ihipStream_tbEUlT_E1_NS1_11comp_targetILNS1_3genE4ELNS1_11target_archE910ELNS1_3gpuE8ELNS1_3repE0EEENS1_59segmented_radix_sort_warp_sort_small_config_static_selectorELNS0_4arch9wavefront6targetE0EEEvSK_.uses_flat_scratch, 0
	.set _ZN7rocprim17ROCPRIM_400000_NS6detail17trampoline_kernelINS0_14default_configENS1_36segmented_radix_sort_config_selectorIhlEEZNS1_25segmented_radix_sort_implIS3_Lb0EPKhPhPKlPlN2at6native12_GLOBAL__N_18offset_tEEE10hipError_tPvRmT1_PNSt15iterator_traitsISK_E10value_typeET2_T3_PNSL_ISQ_E10value_typeET4_jRbjT5_SW_jjP12ihipStream_tbEUlT_E1_NS1_11comp_targetILNS1_3genE4ELNS1_11target_archE910ELNS1_3gpuE8ELNS1_3repE0EEENS1_59segmented_radix_sort_warp_sort_small_config_static_selectorELNS0_4arch9wavefront6targetE0EEEvSK_.has_dyn_sized_stack, 0
	.set _ZN7rocprim17ROCPRIM_400000_NS6detail17trampoline_kernelINS0_14default_configENS1_36segmented_radix_sort_config_selectorIhlEEZNS1_25segmented_radix_sort_implIS3_Lb0EPKhPhPKlPlN2at6native12_GLOBAL__N_18offset_tEEE10hipError_tPvRmT1_PNSt15iterator_traitsISK_E10value_typeET2_T3_PNSL_ISQ_E10value_typeET4_jRbjT5_SW_jjP12ihipStream_tbEUlT_E1_NS1_11comp_targetILNS1_3genE4ELNS1_11target_archE910ELNS1_3gpuE8ELNS1_3repE0EEENS1_59segmented_radix_sort_warp_sort_small_config_static_selectorELNS0_4arch9wavefront6targetE0EEEvSK_.has_recursion, 0
	.set _ZN7rocprim17ROCPRIM_400000_NS6detail17trampoline_kernelINS0_14default_configENS1_36segmented_radix_sort_config_selectorIhlEEZNS1_25segmented_radix_sort_implIS3_Lb0EPKhPhPKlPlN2at6native12_GLOBAL__N_18offset_tEEE10hipError_tPvRmT1_PNSt15iterator_traitsISK_E10value_typeET2_T3_PNSL_ISQ_E10value_typeET4_jRbjT5_SW_jjP12ihipStream_tbEUlT_E1_NS1_11comp_targetILNS1_3genE4ELNS1_11target_archE910ELNS1_3gpuE8ELNS1_3repE0EEENS1_59segmented_radix_sort_warp_sort_small_config_static_selectorELNS0_4arch9wavefront6targetE0EEEvSK_.has_indirect_call, 0
	.section	.AMDGPU.csdata,"",@progbits
; Kernel info:
; codeLenInByte = 0
; TotalNumSgprs: 0
; NumVgprs: 0
; ScratchSize: 0
; MemoryBound: 0
; FloatMode: 240
; IeeeMode: 1
; LDSByteSize: 0 bytes/workgroup (compile time only)
; SGPRBlocks: 0
; VGPRBlocks: 0
; NumSGPRsForWavesPerEU: 1
; NumVGPRsForWavesPerEU: 1
; NamedBarCnt: 0
; Occupancy: 16
; WaveLimiterHint : 0
; COMPUTE_PGM_RSRC2:SCRATCH_EN: 0
; COMPUTE_PGM_RSRC2:USER_SGPR: 2
; COMPUTE_PGM_RSRC2:TRAP_HANDLER: 0
; COMPUTE_PGM_RSRC2:TGID_X_EN: 1
; COMPUTE_PGM_RSRC2:TGID_Y_EN: 0
; COMPUTE_PGM_RSRC2:TGID_Z_EN: 0
; COMPUTE_PGM_RSRC2:TIDIG_COMP_CNT: 0
	.section	.text._ZN7rocprim17ROCPRIM_400000_NS6detail17trampoline_kernelINS0_14default_configENS1_36segmented_radix_sort_config_selectorIhlEEZNS1_25segmented_radix_sort_implIS3_Lb0EPKhPhPKlPlN2at6native12_GLOBAL__N_18offset_tEEE10hipError_tPvRmT1_PNSt15iterator_traitsISK_E10value_typeET2_T3_PNSL_ISQ_E10value_typeET4_jRbjT5_SW_jjP12ihipStream_tbEUlT_E1_NS1_11comp_targetILNS1_3genE3ELNS1_11target_archE908ELNS1_3gpuE7ELNS1_3repE0EEENS1_59segmented_radix_sort_warp_sort_small_config_static_selectorELNS0_4arch9wavefront6targetE0EEEvSK_,"axG",@progbits,_ZN7rocprim17ROCPRIM_400000_NS6detail17trampoline_kernelINS0_14default_configENS1_36segmented_radix_sort_config_selectorIhlEEZNS1_25segmented_radix_sort_implIS3_Lb0EPKhPhPKlPlN2at6native12_GLOBAL__N_18offset_tEEE10hipError_tPvRmT1_PNSt15iterator_traitsISK_E10value_typeET2_T3_PNSL_ISQ_E10value_typeET4_jRbjT5_SW_jjP12ihipStream_tbEUlT_E1_NS1_11comp_targetILNS1_3genE3ELNS1_11target_archE908ELNS1_3gpuE7ELNS1_3repE0EEENS1_59segmented_radix_sort_warp_sort_small_config_static_selectorELNS0_4arch9wavefront6targetE0EEEvSK_,comdat
	.globl	_ZN7rocprim17ROCPRIM_400000_NS6detail17trampoline_kernelINS0_14default_configENS1_36segmented_radix_sort_config_selectorIhlEEZNS1_25segmented_radix_sort_implIS3_Lb0EPKhPhPKlPlN2at6native12_GLOBAL__N_18offset_tEEE10hipError_tPvRmT1_PNSt15iterator_traitsISK_E10value_typeET2_T3_PNSL_ISQ_E10value_typeET4_jRbjT5_SW_jjP12ihipStream_tbEUlT_E1_NS1_11comp_targetILNS1_3genE3ELNS1_11target_archE908ELNS1_3gpuE7ELNS1_3repE0EEENS1_59segmented_radix_sort_warp_sort_small_config_static_selectorELNS0_4arch9wavefront6targetE0EEEvSK_ ; -- Begin function _ZN7rocprim17ROCPRIM_400000_NS6detail17trampoline_kernelINS0_14default_configENS1_36segmented_radix_sort_config_selectorIhlEEZNS1_25segmented_radix_sort_implIS3_Lb0EPKhPhPKlPlN2at6native12_GLOBAL__N_18offset_tEEE10hipError_tPvRmT1_PNSt15iterator_traitsISK_E10value_typeET2_T3_PNSL_ISQ_E10value_typeET4_jRbjT5_SW_jjP12ihipStream_tbEUlT_E1_NS1_11comp_targetILNS1_3genE3ELNS1_11target_archE908ELNS1_3gpuE7ELNS1_3repE0EEENS1_59segmented_radix_sort_warp_sort_small_config_static_selectorELNS0_4arch9wavefront6targetE0EEEvSK_
	.p2align	8
	.type	_ZN7rocprim17ROCPRIM_400000_NS6detail17trampoline_kernelINS0_14default_configENS1_36segmented_radix_sort_config_selectorIhlEEZNS1_25segmented_radix_sort_implIS3_Lb0EPKhPhPKlPlN2at6native12_GLOBAL__N_18offset_tEEE10hipError_tPvRmT1_PNSt15iterator_traitsISK_E10value_typeET2_T3_PNSL_ISQ_E10value_typeET4_jRbjT5_SW_jjP12ihipStream_tbEUlT_E1_NS1_11comp_targetILNS1_3genE3ELNS1_11target_archE908ELNS1_3gpuE7ELNS1_3repE0EEENS1_59segmented_radix_sort_warp_sort_small_config_static_selectorELNS0_4arch9wavefront6targetE0EEEvSK_,@function
_ZN7rocprim17ROCPRIM_400000_NS6detail17trampoline_kernelINS0_14default_configENS1_36segmented_radix_sort_config_selectorIhlEEZNS1_25segmented_radix_sort_implIS3_Lb0EPKhPhPKlPlN2at6native12_GLOBAL__N_18offset_tEEE10hipError_tPvRmT1_PNSt15iterator_traitsISK_E10value_typeET2_T3_PNSL_ISQ_E10value_typeET4_jRbjT5_SW_jjP12ihipStream_tbEUlT_E1_NS1_11comp_targetILNS1_3genE3ELNS1_11target_archE908ELNS1_3gpuE7ELNS1_3repE0EEENS1_59segmented_radix_sort_warp_sort_small_config_static_selectorELNS0_4arch9wavefront6targetE0EEEvSK_: ; @_ZN7rocprim17ROCPRIM_400000_NS6detail17trampoline_kernelINS0_14default_configENS1_36segmented_radix_sort_config_selectorIhlEEZNS1_25segmented_radix_sort_implIS3_Lb0EPKhPhPKlPlN2at6native12_GLOBAL__N_18offset_tEEE10hipError_tPvRmT1_PNSt15iterator_traitsISK_E10value_typeET2_T3_PNSL_ISQ_E10value_typeET4_jRbjT5_SW_jjP12ihipStream_tbEUlT_E1_NS1_11comp_targetILNS1_3genE3ELNS1_11target_archE908ELNS1_3gpuE7ELNS1_3repE0EEENS1_59segmented_radix_sort_warp_sort_small_config_static_selectorELNS0_4arch9wavefront6targetE0EEEvSK_
; %bb.0:
	.section	.rodata,"a",@progbits
	.p2align	6, 0x0
	.amdhsa_kernel _ZN7rocprim17ROCPRIM_400000_NS6detail17trampoline_kernelINS0_14default_configENS1_36segmented_radix_sort_config_selectorIhlEEZNS1_25segmented_radix_sort_implIS3_Lb0EPKhPhPKlPlN2at6native12_GLOBAL__N_18offset_tEEE10hipError_tPvRmT1_PNSt15iterator_traitsISK_E10value_typeET2_T3_PNSL_ISQ_E10value_typeET4_jRbjT5_SW_jjP12ihipStream_tbEUlT_E1_NS1_11comp_targetILNS1_3genE3ELNS1_11target_archE908ELNS1_3gpuE7ELNS1_3repE0EEENS1_59segmented_radix_sort_warp_sort_small_config_static_selectorELNS0_4arch9wavefront6targetE0EEEvSK_
		.amdhsa_group_segment_fixed_size 0
		.amdhsa_private_segment_fixed_size 0
		.amdhsa_kernarg_size 88
		.amdhsa_user_sgpr_count 2
		.amdhsa_user_sgpr_dispatch_ptr 0
		.amdhsa_user_sgpr_queue_ptr 0
		.amdhsa_user_sgpr_kernarg_segment_ptr 1
		.amdhsa_user_sgpr_dispatch_id 0
		.amdhsa_user_sgpr_kernarg_preload_length 0
		.amdhsa_user_sgpr_kernarg_preload_offset 0
		.amdhsa_user_sgpr_private_segment_size 0
		.amdhsa_wavefront_size32 1
		.amdhsa_uses_dynamic_stack 0
		.amdhsa_enable_private_segment 0
		.amdhsa_system_sgpr_workgroup_id_x 1
		.amdhsa_system_sgpr_workgroup_id_y 0
		.amdhsa_system_sgpr_workgroup_id_z 0
		.amdhsa_system_sgpr_workgroup_info 0
		.amdhsa_system_vgpr_workitem_id 0
		.amdhsa_next_free_vgpr 1
		.amdhsa_next_free_sgpr 1
		.amdhsa_named_barrier_count 0
		.amdhsa_reserve_vcc 0
		.amdhsa_float_round_mode_32 0
		.amdhsa_float_round_mode_16_64 0
		.amdhsa_float_denorm_mode_32 3
		.amdhsa_float_denorm_mode_16_64 3
		.amdhsa_fp16_overflow 0
		.amdhsa_memory_ordered 1
		.amdhsa_forward_progress 1
		.amdhsa_inst_pref_size 0
		.amdhsa_round_robin_scheduling 0
		.amdhsa_exception_fp_ieee_invalid_op 0
		.amdhsa_exception_fp_denorm_src 0
		.amdhsa_exception_fp_ieee_div_zero 0
		.amdhsa_exception_fp_ieee_overflow 0
		.amdhsa_exception_fp_ieee_underflow 0
		.amdhsa_exception_fp_ieee_inexact 0
		.amdhsa_exception_int_div_zero 0
	.end_amdhsa_kernel
	.section	.text._ZN7rocprim17ROCPRIM_400000_NS6detail17trampoline_kernelINS0_14default_configENS1_36segmented_radix_sort_config_selectorIhlEEZNS1_25segmented_radix_sort_implIS3_Lb0EPKhPhPKlPlN2at6native12_GLOBAL__N_18offset_tEEE10hipError_tPvRmT1_PNSt15iterator_traitsISK_E10value_typeET2_T3_PNSL_ISQ_E10value_typeET4_jRbjT5_SW_jjP12ihipStream_tbEUlT_E1_NS1_11comp_targetILNS1_3genE3ELNS1_11target_archE908ELNS1_3gpuE7ELNS1_3repE0EEENS1_59segmented_radix_sort_warp_sort_small_config_static_selectorELNS0_4arch9wavefront6targetE0EEEvSK_,"axG",@progbits,_ZN7rocprim17ROCPRIM_400000_NS6detail17trampoline_kernelINS0_14default_configENS1_36segmented_radix_sort_config_selectorIhlEEZNS1_25segmented_radix_sort_implIS3_Lb0EPKhPhPKlPlN2at6native12_GLOBAL__N_18offset_tEEE10hipError_tPvRmT1_PNSt15iterator_traitsISK_E10value_typeET2_T3_PNSL_ISQ_E10value_typeET4_jRbjT5_SW_jjP12ihipStream_tbEUlT_E1_NS1_11comp_targetILNS1_3genE3ELNS1_11target_archE908ELNS1_3gpuE7ELNS1_3repE0EEENS1_59segmented_radix_sort_warp_sort_small_config_static_selectorELNS0_4arch9wavefront6targetE0EEEvSK_,comdat
.Lfunc_end208:
	.size	_ZN7rocprim17ROCPRIM_400000_NS6detail17trampoline_kernelINS0_14default_configENS1_36segmented_radix_sort_config_selectorIhlEEZNS1_25segmented_radix_sort_implIS3_Lb0EPKhPhPKlPlN2at6native12_GLOBAL__N_18offset_tEEE10hipError_tPvRmT1_PNSt15iterator_traitsISK_E10value_typeET2_T3_PNSL_ISQ_E10value_typeET4_jRbjT5_SW_jjP12ihipStream_tbEUlT_E1_NS1_11comp_targetILNS1_3genE3ELNS1_11target_archE908ELNS1_3gpuE7ELNS1_3repE0EEENS1_59segmented_radix_sort_warp_sort_small_config_static_selectorELNS0_4arch9wavefront6targetE0EEEvSK_, .Lfunc_end208-_ZN7rocprim17ROCPRIM_400000_NS6detail17trampoline_kernelINS0_14default_configENS1_36segmented_radix_sort_config_selectorIhlEEZNS1_25segmented_radix_sort_implIS3_Lb0EPKhPhPKlPlN2at6native12_GLOBAL__N_18offset_tEEE10hipError_tPvRmT1_PNSt15iterator_traitsISK_E10value_typeET2_T3_PNSL_ISQ_E10value_typeET4_jRbjT5_SW_jjP12ihipStream_tbEUlT_E1_NS1_11comp_targetILNS1_3genE3ELNS1_11target_archE908ELNS1_3gpuE7ELNS1_3repE0EEENS1_59segmented_radix_sort_warp_sort_small_config_static_selectorELNS0_4arch9wavefront6targetE0EEEvSK_
                                        ; -- End function
	.set _ZN7rocprim17ROCPRIM_400000_NS6detail17trampoline_kernelINS0_14default_configENS1_36segmented_radix_sort_config_selectorIhlEEZNS1_25segmented_radix_sort_implIS3_Lb0EPKhPhPKlPlN2at6native12_GLOBAL__N_18offset_tEEE10hipError_tPvRmT1_PNSt15iterator_traitsISK_E10value_typeET2_T3_PNSL_ISQ_E10value_typeET4_jRbjT5_SW_jjP12ihipStream_tbEUlT_E1_NS1_11comp_targetILNS1_3genE3ELNS1_11target_archE908ELNS1_3gpuE7ELNS1_3repE0EEENS1_59segmented_radix_sort_warp_sort_small_config_static_selectorELNS0_4arch9wavefront6targetE0EEEvSK_.num_vgpr, 0
	.set _ZN7rocprim17ROCPRIM_400000_NS6detail17trampoline_kernelINS0_14default_configENS1_36segmented_radix_sort_config_selectorIhlEEZNS1_25segmented_radix_sort_implIS3_Lb0EPKhPhPKlPlN2at6native12_GLOBAL__N_18offset_tEEE10hipError_tPvRmT1_PNSt15iterator_traitsISK_E10value_typeET2_T3_PNSL_ISQ_E10value_typeET4_jRbjT5_SW_jjP12ihipStream_tbEUlT_E1_NS1_11comp_targetILNS1_3genE3ELNS1_11target_archE908ELNS1_3gpuE7ELNS1_3repE0EEENS1_59segmented_radix_sort_warp_sort_small_config_static_selectorELNS0_4arch9wavefront6targetE0EEEvSK_.num_agpr, 0
	.set _ZN7rocprim17ROCPRIM_400000_NS6detail17trampoline_kernelINS0_14default_configENS1_36segmented_radix_sort_config_selectorIhlEEZNS1_25segmented_radix_sort_implIS3_Lb0EPKhPhPKlPlN2at6native12_GLOBAL__N_18offset_tEEE10hipError_tPvRmT1_PNSt15iterator_traitsISK_E10value_typeET2_T3_PNSL_ISQ_E10value_typeET4_jRbjT5_SW_jjP12ihipStream_tbEUlT_E1_NS1_11comp_targetILNS1_3genE3ELNS1_11target_archE908ELNS1_3gpuE7ELNS1_3repE0EEENS1_59segmented_radix_sort_warp_sort_small_config_static_selectorELNS0_4arch9wavefront6targetE0EEEvSK_.numbered_sgpr, 0
	.set _ZN7rocprim17ROCPRIM_400000_NS6detail17trampoline_kernelINS0_14default_configENS1_36segmented_radix_sort_config_selectorIhlEEZNS1_25segmented_radix_sort_implIS3_Lb0EPKhPhPKlPlN2at6native12_GLOBAL__N_18offset_tEEE10hipError_tPvRmT1_PNSt15iterator_traitsISK_E10value_typeET2_T3_PNSL_ISQ_E10value_typeET4_jRbjT5_SW_jjP12ihipStream_tbEUlT_E1_NS1_11comp_targetILNS1_3genE3ELNS1_11target_archE908ELNS1_3gpuE7ELNS1_3repE0EEENS1_59segmented_radix_sort_warp_sort_small_config_static_selectorELNS0_4arch9wavefront6targetE0EEEvSK_.num_named_barrier, 0
	.set _ZN7rocprim17ROCPRIM_400000_NS6detail17trampoline_kernelINS0_14default_configENS1_36segmented_radix_sort_config_selectorIhlEEZNS1_25segmented_radix_sort_implIS3_Lb0EPKhPhPKlPlN2at6native12_GLOBAL__N_18offset_tEEE10hipError_tPvRmT1_PNSt15iterator_traitsISK_E10value_typeET2_T3_PNSL_ISQ_E10value_typeET4_jRbjT5_SW_jjP12ihipStream_tbEUlT_E1_NS1_11comp_targetILNS1_3genE3ELNS1_11target_archE908ELNS1_3gpuE7ELNS1_3repE0EEENS1_59segmented_radix_sort_warp_sort_small_config_static_selectorELNS0_4arch9wavefront6targetE0EEEvSK_.private_seg_size, 0
	.set _ZN7rocprim17ROCPRIM_400000_NS6detail17trampoline_kernelINS0_14default_configENS1_36segmented_radix_sort_config_selectorIhlEEZNS1_25segmented_radix_sort_implIS3_Lb0EPKhPhPKlPlN2at6native12_GLOBAL__N_18offset_tEEE10hipError_tPvRmT1_PNSt15iterator_traitsISK_E10value_typeET2_T3_PNSL_ISQ_E10value_typeET4_jRbjT5_SW_jjP12ihipStream_tbEUlT_E1_NS1_11comp_targetILNS1_3genE3ELNS1_11target_archE908ELNS1_3gpuE7ELNS1_3repE0EEENS1_59segmented_radix_sort_warp_sort_small_config_static_selectorELNS0_4arch9wavefront6targetE0EEEvSK_.uses_vcc, 0
	.set _ZN7rocprim17ROCPRIM_400000_NS6detail17trampoline_kernelINS0_14default_configENS1_36segmented_radix_sort_config_selectorIhlEEZNS1_25segmented_radix_sort_implIS3_Lb0EPKhPhPKlPlN2at6native12_GLOBAL__N_18offset_tEEE10hipError_tPvRmT1_PNSt15iterator_traitsISK_E10value_typeET2_T3_PNSL_ISQ_E10value_typeET4_jRbjT5_SW_jjP12ihipStream_tbEUlT_E1_NS1_11comp_targetILNS1_3genE3ELNS1_11target_archE908ELNS1_3gpuE7ELNS1_3repE0EEENS1_59segmented_radix_sort_warp_sort_small_config_static_selectorELNS0_4arch9wavefront6targetE0EEEvSK_.uses_flat_scratch, 0
	.set _ZN7rocprim17ROCPRIM_400000_NS6detail17trampoline_kernelINS0_14default_configENS1_36segmented_radix_sort_config_selectorIhlEEZNS1_25segmented_radix_sort_implIS3_Lb0EPKhPhPKlPlN2at6native12_GLOBAL__N_18offset_tEEE10hipError_tPvRmT1_PNSt15iterator_traitsISK_E10value_typeET2_T3_PNSL_ISQ_E10value_typeET4_jRbjT5_SW_jjP12ihipStream_tbEUlT_E1_NS1_11comp_targetILNS1_3genE3ELNS1_11target_archE908ELNS1_3gpuE7ELNS1_3repE0EEENS1_59segmented_radix_sort_warp_sort_small_config_static_selectorELNS0_4arch9wavefront6targetE0EEEvSK_.has_dyn_sized_stack, 0
	.set _ZN7rocprim17ROCPRIM_400000_NS6detail17trampoline_kernelINS0_14default_configENS1_36segmented_radix_sort_config_selectorIhlEEZNS1_25segmented_radix_sort_implIS3_Lb0EPKhPhPKlPlN2at6native12_GLOBAL__N_18offset_tEEE10hipError_tPvRmT1_PNSt15iterator_traitsISK_E10value_typeET2_T3_PNSL_ISQ_E10value_typeET4_jRbjT5_SW_jjP12ihipStream_tbEUlT_E1_NS1_11comp_targetILNS1_3genE3ELNS1_11target_archE908ELNS1_3gpuE7ELNS1_3repE0EEENS1_59segmented_radix_sort_warp_sort_small_config_static_selectorELNS0_4arch9wavefront6targetE0EEEvSK_.has_recursion, 0
	.set _ZN7rocprim17ROCPRIM_400000_NS6detail17trampoline_kernelINS0_14default_configENS1_36segmented_radix_sort_config_selectorIhlEEZNS1_25segmented_radix_sort_implIS3_Lb0EPKhPhPKlPlN2at6native12_GLOBAL__N_18offset_tEEE10hipError_tPvRmT1_PNSt15iterator_traitsISK_E10value_typeET2_T3_PNSL_ISQ_E10value_typeET4_jRbjT5_SW_jjP12ihipStream_tbEUlT_E1_NS1_11comp_targetILNS1_3genE3ELNS1_11target_archE908ELNS1_3gpuE7ELNS1_3repE0EEENS1_59segmented_radix_sort_warp_sort_small_config_static_selectorELNS0_4arch9wavefront6targetE0EEEvSK_.has_indirect_call, 0
	.section	.AMDGPU.csdata,"",@progbits
; Kernel info:
; codeLenInByte = 0
; TotalNumSgprs: 0
; NumVgprs: 0
; ScratchSize: 0
; MemoryBound: 0
; FloatMode: 240
; IeeeMode: 1
; LDSByteSize: 0 bytes/workgroup (compile time only)
; SGPRBlocks: 0
; VGPRBlocks: 0
; NumSGPRsForWavesPerEU: 1
; NumVGPRsForWavesPerEU: 1
; NamedBarCnt: 0
; Occupancy: 16
; WaveLimiterHint : 0
; COMPUTE_PGM_RSRC2:SCRATCH_EN: 0
; COMPUTE_PGM_RSRC2:USER_SGPR: 2
; COMPUTE_PGM_RSRC2:TRAP_HANDLER: 0
; COMPUTE_PGM_RSRC2:TGID_X_EN: 1
; COMPUTE_PGM_RSRC2:TGID_Y_EN: 0
; COMPUTE_PGM_RSRC2:TGID_Z_EN: 0
; COMPUTE_PGM_RSRC2:TIDIG_COMP_CNT: 0
	.section	.text._ZN7rocprim17ROCPRIM_400000_NS6detail17trampoline_kernelINS0_14default_configENS1_36segmented_radix_sort_config_selectorIhlEEZNS1_25segmented_radix_sort_implIS3_Lb0EPKhPhPKlPlN2at6native12_GLOBAL__N_18offset_tEEE10hipError_tPvRmT1_PNSt15iterator_traitsISK_E10value_typeET2_T3_PNSL_ISQ_E10value_typeET4_jRbjT5_SW_jjP12ihipStream_tbEUlT_E1_NS1_11comp_targetILNS1_3genE2ELNS1_11target_archE906ELNS1_3gpuE6ELNS1_3repE0EEENS1_59segmented_radix_sort_warp_sort_small_config_static_selectorELNS0_4arch9wavefront6targetE0EEEvSK_,"axG",@progbits,_ZN7rocprim17ROCPRIM_400000_NS6detail17trampoline_kernelINS0_14default_configENS1_36segmented_radix_sort_config_selectorIhlEEZNS1_25segmented_radix_sort_implIS3_Lb0EPKhPhPKlPlN2at6native12_GLOBAL__N_18offset_tEEE10hipError_tPvRmT1_PNSt15iterator_traitsISK_E10value_typeET2_T3_PNSL_ISQ_E10value_typeET4_jRbjT5_SW_jjP12ihipStream_tbEUlT_E1_NS1_11comp_targetILNS1_3genE2ELNS1_11target_archE906ELNS1_3gpuE6ELNS1_3repE0EEENS1_59segmented_radix_sort_warp_sort_small_config_static_selectorELNS0_4arch9wavefront6targetE0EEEvSK_,comdat
	.globl	_ZN7rocprim17ROCPRIM_400000_NS6detail17trampoline_kernelINS0_14default_configENS1_36segmented_radix_sort_config_selectorIhlEEZNS1_25segmented_radix_sort_implIS3_Lb0EPKhPhPKlPlN2at6native12_GLOBAL__N_18offset_tEEE10hipError_tPvRmT1_PNSt15iterator_traitsISK_E10value_typeET2_T3_PNSL_ISQ_E10value_typeET4_jRbjT5_SW_jjP12ihipStream_tbEUlT_E1_NS1_11comp_targetILNS1_3genE2ELNS1_11target_archE906ELNS1_3gpuE6ELNS1_3repE0EEENS1_59segmented_radix_sort_warp_sort_small_config_static_selectorELNS0_4arch9wavefront6targetE0EEEvSK_ ; -- Begin function _ZN7rocprim17ROCPRIM_400000_NS6detail17trampoline_kernelINS0_14default_configENS1_36segmented_radix_sort_config_selectorIhlEEZNS1_25segmented_radix_sort_implIS3_Lb0EPKhPhPKlPlN2at6native12_GLOBAL__N_18offset_tEEE10hipError_tPvRmT1_PNSt15iterator_traitsISK_E10value_typeET2_T3_PNSL_ISQ_E10value_typeET4_jRbjT5_SW_jjP12ihipStream_tbEUlT_E1_NS1_11comp_targetILNS1_3genE2ELNS1_11target_archE906ELNS1_3gpuE6ELNS1_3repE0EEENS1_59segmented_radix_sort_warp_sort_small_config_static_selectorELNS0_4arch9wavefront6targetE0EEEvSK_
	.p2align	8
	.type	_ZN7rocprim17ROCPRIM_400000_NS6detail17trampoline_kernelINS0_14default_configENS1_36segmented_radix_sort_config_selectorIhlEEZNS1_25segmented_radix_sort_implIS3_Lb0EPKhPhPKlPlN2at6native12_GLOBAL__N_18offset_tEEE10hipError_tPvRmT1_PNSt15iterator_traitsISK_E10value_typeET2_T3_PNSL_ISQ_E10value_typeET4_jRbjT5_SW_jjP12ihipStream_tbEUlT_E1_NS1_11comp_targetILNS1_3genE2ELNS1_11target_archE906ELNS1_3gpuE6ELNS1_3repE0EEENS1_59segmented_radix_sort_warp_sort_small_config_static_selectorELNS0_4arch9wavefront6targetE0EEEvSK_,@function
_ZN7rocprim17ROCPRIM_400000_NS6detail17trampoline_kernelINS0_14default_configENS1_36segmented_radix_sort_config_selectorIhlEEZNS1_25segmented_radix_sort_implIS3_Lb0EPKhPhPKlPlN2at6native12_GLOBAL__N_18offset_tEEE10hipError_tPvRmT1_PNSt15iterator_traitsISK_E10value_typeET2_T3_PNSL_ISQ_E10value_typeET4_jRbjT5_SW_jjP12ihipStream_tbEUlT_E1_NS1_11comp_targetILNS1_3genE2ELNS1_11target_archE906ELNS1_3gpuE6ELNS1_3repE0EEENS1_59segmented_radix_sort_warp_sort_small_config_static_selectorELNS0_4arch9wavefront6targetE0EEEvSK_: ; @_ZN7rocprim17ROCPRIM_400000_NS6detail17trampoline_kernelINS0_14default_configENS1_36segmented_radix_sort_config_selectorIhlEEZNS1_25segmented_radix_sort_implIS3_Lb0EPKhPhPKlPlN2at6native12_GLOBAL__N_18offset_tEEE10hipError_tPvRmT1_PNSt15iterator_traitsISK_E10value_typeET2_T3_PNSL_ISQ_E10value_typeET4_jRbjT5_SW_jjP12ihipStream_tbEUlT_E1_NS1_11comp_targetILNS1_3genE2ELNS1_11target_archE906ELNS1_3gpuE6ELNS1_3repE0EEENS1_59segmented_radix_sort_warp_sort_small_config_static_selectorELNS0_4arch9wavefront6targetE0EEEvSK_
; %bb.0:
	.section	.rodata,"a",@progbits
	.p2align	6, 0x0
	.amdhsa_kernel _ZN7rocprim17ROCPRIM_400000_NS6detail17trampoline_kernelINS0_14default_configENS1_36segmented_radix_sort_config_selectorIhlEEZNS1_25segmented_radix_sort_implIS3_Lb0EPKhPhPKlPlN2at6native12_GLOBAL__N_18offset_tEEE10hipError_tPvRmT1_PNSt15iterator_traitsISK_E10value_typeET2_T3_PNSL_ISQ_E10value_typeET4_jRbjT5_SW_jjP12ihipStream_tbEUlT_E1_NS1_11comp_targetILNS1_3genE2ELNS1_11target_archE906ELNS1_3gpuE6ELNS1_3repE0EEENS1_59segmented_radix_sort_warp_sort_small_config_static_selectorELNS0_4arch9wavefront6targetE0EEEvSK_
		.amdhsa_group_segment_fixed_size 0
		.amdhsa_private_segment_fixed_size 0
		.amdhsa_kernarg_size 88
		.amdhsa_user_sgpr_count 2
		.amdhsa_user_sgpr_dispatch_ptr 0
		.amdhsa_user_sgpr_queue_ptr 0
		.amdhsa_user_sgpr_kernarg_segment_ptr 1
		.amdhsa_user_sgpr_dispatch_id 0
		.amdhsa_user_sgpr_kernarg_preload_length 0
		.amdhsa_user_sgpr_kernarg_preload_offset 0
		.amdhsa_user_sgpr_private_segment_size 0
		.amdhsa_wavefront_size32 1
		.amdhsa_uses_dynamic_stack 0
		.amdhsa_enable_private_segment 0
		.amdhsa_system_sgpr_workgroup_id_x 1
		.amdhsa_system_sgpr_workgroup_id_y 0
		.amdhsa_system_sgpr_workgroup_id_z 0
		.amdhsa_system_sgpr_workgroup_info 0
		.amdhsa_system_vgpr_workitem_id 0
		.amdhsa_next_free_vgpr 1
		.amdhsa_next_free_sgpr 1
		.amdhsa_named_barrier_count 0
		.amdhsa_reserve_vcc 0
		.amdhsa_float_round_mode_32 0
		.amdhsa_float_round_mode_16_64 0
		.amdhsa_float_denorm_mode_32 3
		.amdhsa_float_denorm_mode_16_64 3
		.amdhsa_fp16_overflow 0
		.amdhsa_memory_ordered 1
		.amdhsa_forward_progress 1
		.amdhsa_inst_pref_size 0
		.amdhsa_round_robin_scheduling 0
		.amdhsa_exception_fp_ieee_invalid_op 0
		.amdhsa_exception_fp_denorm_src 0
		.amdhsa_exception_fp_ieee_div_zero 0
		.amdhsa_exception_fp_ieee_overflow 0
		.amdhsa_exception_fp_ieee_underflow 0
		.amdhsa_exception_fp_ieee_inexact 0
		.amdhsa_exception_int_div_zero 0
	.end_amdhsa_kernel
	.section	.text._ZN7rocprim17ROCPRIM_400000_NS6detail17trampoline_kernelINS0_14default_configENS1_36segmented_radix_sort_config_selectorIhlEEZNS1_25segmented_radix_sort_implIS3_Lb0EPKhPhPKlPlN2at6native12_GLOBAL__N_18offset_tEEE10hipError_tPvRmT1_PNSt15iterator_traitsISK_E10value_typeET2_T3_PNSL_ISQ_E10value_typeET4_jRbjT5_SW_jjP12ihipStream_tbEUlT_E1_NS1_11comp_targetILNS1_3genE2ELNS1_11target_archE906ELNS1_3gpuE6ELNS1_3repE0EEENS1_59segmented_radix_sort_warp_sort_small_config_static_selectorELNS0_4arch9wavefront6targetE0EEEvSK_,"axG",@progbits,_ZN7rocprim17ROCPRIM_400000_NS6detail17trampoline_kernelINS0_14default_configENS1_36segmented_radix_sort_config_selectorIhlEEZNS1_25segmented_radix_sort_implIS3_Lb0EPKhPhPKlPlN2at6native12_GLOBAL__N_18offset_tEEE10hipError_tPvRmT1_PNSt15iterator_traitsISK_E10value_typeET2_T3_PNSL_ISQ_E10value_typeET4_jRbjT5_SW_jjP12ihipStream_tbEUlT_E1_NS1_11comp_targetILNS1_3genE2ELNS1_11target_archE906ELNS1_3gpuE6ELNS1_3repE0EEENS1_59segmented_radix_sort_warp_sort_small_config_static_selectorELNS0_4arch9wavefront6targetE0EEEvSK_,comdat
.Lfunc_end209:
	.size	_ZN7rocprim17ROCPRIM_400000_NS6detail17trampoline_kernelINS0_14default_configENS1_36segmented_radix_sort_config_selectorIhlEEZNS1_25segmented_radix_sort_implIS3_Lb0EPKhPhPKlPlN2at6native12_GLOBAL__N_18offset_tEEE10hipError_tPvRmT1_PNSt15iterator_traitsISK_E10value_typeET2_T3_PNSL_ISQ_E10value_typeET4_jRbjT5_SW_jjP12ihipStream_tbEUlT_E1_NS1_11comp_targetILNS1_3genE2ELNS1_11target_archE906ELNS1_3gpuE6ELNS1_3repE0EEENS1_59segmented_radix_sort_warp_sort_small_config_static_selectorELNS0_4arch9wavefront6targetE0EEEvSK_, .Lfunc_end209-_ZN7rocprim17ROCPRIM_400000_NS6detail17trampoline_kernelINS0_14default_configENS1_36segmented_radix_sort_config_selectorIhlEEZNS1_25segmented_radix_sort_implIS3_Lb0EPKhPhPKlPlN2at6native12_GLOBAL__N_18offset_tEEE10hipError_tPvRmT1_PNSt15iterator_traitsISK_E10value_typeET2_T3_PNSL_ISQ_E10value_typeET4_jRbjT5_SW_jjP12ihipStream_tbEUlT_E1_NS1_11comp_targetILNS1_3genE2ELNS1_11target_archE906ELNS1_3gpuE6ELNS1_3repE0EEENS1_59segmented_radix_sort_warp_sort_small_config_static_selectorELNS0_4arch9wavefront6targetE0EEEvSK_
                                        ; -- End function
	.set _ZN7rocprim17ROCPRIM_400000_NS6detail17trampoline_kernelINS0_14default_configENS1_36segmented_radix_sort_config_selectorIhlEEZNS1_25segmented_radix_sort_implIS3_Lb0EPKhPhPKlPlN2at6native12_GLOBAL__N_18offset_tEEE10hipError_tPvRmT1_PNSt15iterator_traitsISK_E10value_typeET2_T3_PNSL_ISQ_E10value_typeET4_jRbjT5_SW_jjP12ihipStream_tbEUlT_E1_NS1_11comp_targetILNS1_3genE2ELNS1_11target_archE906ELNS1_3gpuE6ELNS1_3repE0EEENS1_59segmented_radix_sort_warp_sort_small_config_static_selectorELNS0_4arch9wavefront6targetE0EEEvSK_.num_vgpr, 0
	.set _ZN7rocprim17ROCPRIM_400000_NS6detail17trampoline_kernelINS0_14default_configENS1_36segmented_radix_sort_config_selectorIhlEEZNS1_25segmented_radix_sort_implIS3_Lb0EPKhPhPKlPlN2at6native12_GLOBAL__N_18offset_tEEE10hipError_tPvRmT1_PNSt15iterator_traitsISK_E10value_typeET2_T3_PNSL_ISQ_E10value_typeET4_jRbjT5_SW_jjP12ihipStream_tbEUlT_E1_NS1_11comp_targetILNS1_3genE2ELNS1_11target_archE906ELNS1_3gpuE6ELNS1_3repE0EEENS1_59segmented_radix_sort_warp_sort_small_config_static_selectorELNS0_4arch9wavefront6targetE0EEEvSK_.num_agpr, 0
	.set _ZN7rocprim17ROCPRIM_400000_NS6detail17trampoline_kernelINS0_14default_configENS1_36segmented_radix_sort_config_selectorIhlEEZNS1_25segmented_radix_sort_implIS3_Lb0EPKhPhPKlPlN2at6native12_GLOBAL__N_18offset_tEEE10hipError_tPvRmT1_PNSt15iterator_traitsISK_E10value_typeET2_T3_PNSL_ISQ_E10value_typeET4_jRbjT5_SW_jjP12ihipStream_tbEUlT_E1_NS1_11comp_targetILNS1_3genE2ELNS1_11target_archE906ELNS1_3gpuE6ELNS1_3repE0EEENS1_59segmented_radix_sort_warp_sort_small_config_static_selectorELNS0_4arch9wavefront6targetE0EEEvSK_.numbered_sgpr, 0
	.set _ZN7rocprim17ROCPRIM_400000_NS6detail17trampoline_kernelINS0_14default_configENS1_36segmented_radix_sort_config_selectorIhlEEZNS1_25segmented_radix_sort_implIS3_Lb0EPKhPhPKlPlN2at6native12_GLOBAL__N_18offset_tEEE10hipError_tPvRmT1_PNSt15iterator_traitsISK_E10value_typeET2_T3_PNSL_ISQ_E10value_typeET4_jRbjT5_SW_jjP12ihipStream_tbEUlT_E1_NS1_11comp_targetILNS1_3genE2ELNS1_11target_archE906ELNS1_3gpuE6ELNS1_3repE0EEENS1_59segmented_radix_sort_warp_sort_small_config_static_selectorELNS0_4arch9wavefront6targetE0EEEvSK_.num_named_barrier, 0
	.set _ZN7rocprim17ROCPRIM_400000_NS6detail17trampoline_kernelINS0_14default_configENS1_36segmented_radix_sort_config_selectorIhlEEZNS1_25segmented_radix_sort_implIS3_Lb0EPKhPhPKlPlN2at6native12_GLOBAL__N_18offset_tEEE10hipError_tPvRmT1_PNSt15iterator_traitsISK_E10value_typeET2_T3_PNSL_ISQ_E10value_typeET4_jRbjT5_SW_jjP12ihipStream_tbEUlT_E1_NS1_11comp_targetILNS1_3genE2ELNS1_11target_archE906ELNS1_3gpuE6ELNS1_3repE0EEENS1_59segmented_radix_sort_warp_sort_small_config_static_selectorELNS0_4arch9wavefront6targetE0EEEvSK_.private_seg_size, 0
	.set _ZN7rocprim17ROCPRIM_400000_NS6detail17trampoline_kernelINS0_14default_configENS1_36segmented_radix_sort_config_selectorIhlEEZNS1_25segmented_radix_sort_implIS3_Lb0EPKhPhPKlPlN2at6native12_GLOBAL__N_18offset_tEEE10hipError_tPvRmT1_PNSt15iterator_traitsISK_E10value_typeET2_T3_PNSL_ISQ_E10value_typeET4_jRbjT5_SW_jjP12ihipStream_tbEUlT_E1_NS1_11comp_targetILNS1_3genE2ELNS1_11target_archE906ELNS1_3gpuE6ELNS1_3repE0EEENS1_59segmented_radix_sort_warp_sort_small_config_static_selectorELNS0_4arch9wavefront6targetE0EEEvSK_.uses_vcc, 0
	.set _ZN7rocprim17ROCPRIM_400000_NS6detail17trampoline_kernelINS0_14default_configENS1_36segmented_radix_sort_config_selectorIhlEEZNS1_25segmented_radix_sort_implIS3_Lb0EPKhPhPKlPlN2at6native12_GLOBAL__N_18offset_tEEE10hipError_tPvRmT1_PNSt15iterator_traitsISK_E10value_typeET2_T3_PNSL_ISQ_E10value_typeET4_jRbjT5_SW_jjP12ihipStream_tbEUlT_E1_NS1_11comp_targetILNS1_3genE2ELNS1_11target_archE906ELNS1_3gpuE6ELNS1_3repE0EEENS1_59segmented_radix_sort_warp_sort_small_config_static_selectorELNS0_4arch9wavefront6targetE0EEEvSK_.uses_flat_scratch, 0
	.set _ZN7rocprim17ROCPRIM_400000_NS6detail17trampoline_kernelINS0_14default_configENS1_36segmented_radix_sort_config_selectorIhlEEZNS1_25segmented_radix_sort_implIS3_Lb0EPKhPhPKlPlN2at6native12_GLOBAL__N_18offset_tEEE10hipError_tPvRmT1_PNSt15iterator_traitsISK_E10value_typeET2_T3_PNSL_ISQ_E10value_typeET4_jRbjT5_SW_jjP12ihipStream_tbEUlT_E1_NS1_11comp_targetILNS1_3genE2ELNS1_11target_archE906ELNS1_3gpuE6ELNS1_3repE0EEENS1_59segmented_radix_sort_warp_sort_small_config_static_selectorELNS0_4arch9wavefront6targetE0EEEvSK_.has_dyn_sized_stack, 0
	.set _ZN7rocprim17ROCPRIM_400000_NS6detail17trampoline_kernelINS0_14default_configENS1_36segmented_radix_sort_config_selectorIhlEEZNS1_25segmented_radix_sort_implIS3_Lb0EPKhPhPKlPlN2at6native12_GLOBAL__N_18offset_tEEE10hipError_tPvRmT1_PNSt15iterator_traitsISK_E10value_typeET2_T3_PNSL_ISQ_E10value_typeET4_jRbjT5_SW_jjP12ihipStream_tbEUlT_E1_NS1_11comp_targetILNS1_3genE2ELNS1_11target_archE906ELNS1_3gpuE6ELNS1_3repE0EEENS1_59segmented_radix_sort_warp_sort_small_config_static_selectorELNS0_4arch9wavefront6targetE0EEEvSK_.has_recursion, 0
	.set _ZN7rocprim17ROCPRIM_400000_NS6detail17trampoline_kernelINS0_14default_configENS1_36segmented_radix_sort_config_selectorIhlEEZNS1_25segmented_radix_sort_implIS3_Lb0EPKhPhPKlPlN2at6native12_GLOBAL__N_18offset_tEEE10hipError_tPvRmT1_PNSt15iterator_traitsISK_E10value_typeET2_T3_PNSL_ISQ_E10value_typeET4_jRbjT5_SW_jjP12ihipStream_tbEUlT_E1_NS1_11comp_targetILNS1_3genE2ELNS1_11target_archE906ELNS1_3gpuE6ELNS1_3repE0EEENS1_59segmented_radix_sort_warp_sort_small_config_static_selectorELNS0_4arch9wavefront6targetE0EEEvSK_.has_indirect_call, 0
	.section	.AMDGPU.csdata,"",@progbits
; Kernel info:
; codeLenInByte = 0
; TotalNumSgprs: 0
; NumVgprs: 0
; ScratchSize: 0
; MemoryBound: 0
; FloatMode: 240
; IeeeMode: 1
; LDSByteSize: 0 bytes/workgroup (compile time only)
; SGPRBlocks: 0
; VGPRBlocks: 0
; NumSGPRsForWavesPerEU: 1
; NumVGPRsForWavesPerEU: 1
; NamedBarCnt: 0
; Occupancy: 16
; WaveLimiterHint : 0
; COMPUTE_PGM_RSRC2:SCRATCH_EN: 0
; COMPUTE_PGM_RSRC2:USER_SGPR: 2
; COMPUTE_PGM_RSRC2:TRAP_HANDLER: 0
; COMPUTE_PGM_RSRC2:TGID_X_EN: 1
; COMPUTE_PGM_RSRC2:TGID_Y_EN: 0
; COMPUTE_PGM_RSRC2:TGID_Z_EN: 0
; COMPUTE_PGM_RSRC2:TIDIG_COMP_CNT: 0
	.section	.text._ZN7rocprim17ROCPRIM_400000_NS6detail17trampoline_kernelINS0_14default_configENS1_36segmented_radix_sort_config_selectorIhlEEZNS1_25segmented_radix_sort_implIS3_Lb0EPKhPhPKlPlN2at6native12_GLOBAL__N_18offset_tEEE10hipError_tPvRmT1_PNSt15iterator_traitsISK_E10value_typeET2_T3_PNSL_ISQ_E10value_typeET4_jRbjT5_SW_jjP12ihipStream_tbEUlT_E1_NS1_11comp_targetILNS1_3genE10ELNS1_11target_archE1201ELNS1_3gpuE5ELNS1_3repE0EEENS1_59segmented_radix_sort_warp_sort_small_config_static_selectorELNS0_4arch9wavefront6targetE0EEEvSK_,"axG",@progbits,_ZN7rocprim17ROCPRIM_400000_NS6detail17trampoline_kernelINS0_14default_configENS1_36segmented_radix_sort_config_selectorIhlEEZNS1_25segmented_radix_sort_implIS3_Lb0EPKhPhPKlPlN2at6native12_GLOBAL__N_18offset_tEEE10hipError_tPvRmT1_PNSt15iterator_traitsISK_E10value_typeET2_T3_PNSL_ISQ_E10value_typeET4_jRbjT5_SW_jjP12ihipStream_tbEUlT_E1_NS1_11comp_targetILNS1_3genE10ELNS1_11target_archE1201ELNS1_3gpuE5ELNS1_3repE0EEENS1_59segmented_radix_sort_warp_sort_small_config_static_selectorELNS0_4arch9wavefront6targetE0EEEvSK_,comdat
	.globl	_ZN7rocprim17ROCPRIM_400000_NS6detail17trampoline_kernelINS0_14default_configENS1_36segmented_radix_sort_config_selectorIhlEEZNS1_25segmented_radix_sort_implIS3_Lb0EPKhPhPKlPlN2at6native12_GLOBAL__N_18offset_tEEE10hipError_tPvRmT1_PNSt15iterator_traitsISK_E10value_typeET2_T3_PNSL_ISQ_E10value_typeET4_jRbjT5_SW_jjP12ihipStream_tbEUlT_E1_NS1_11comp_targetILNS1_3genE10ELNS1_11target_archE1201ELNS1_3gpuE5ELNS1_3repE0EEENS1_59segmented_radix_sort_warp_sort_small_config_static_selectorELNS0_4arch9wavefront6targetE0EEEvSK_ ; -- Begin function _ZN7rocprim17ROCPRIM_400000_NS6detail17trampoline_kernelINS0_14default_configENS1_36segmented_radix_sort_config_selectorIhlEEZNS1_25segmented_radix_sort_implIS3_Lb0EPKhPhPKlPlN2at6native12_GLOBAL__N_18offset_tEEE10hipError_tPvRmT1_PNSt15iterator_traitsISK_E10value_typeET2_T3_PNSL_ISQ_E10value_typeET4_jRbjT5_SW_jjP12ihipStream_tbEUlT_E1_NS1_11comp_targetILNS1_3genE10ELNS1_11target_archE1201ELNS1_3gpuE5ELNS1_3repE0EEENS1_59segmented_radix_sort_warp_sort_small_config_static_selectorELNS0_4arch9wavefront6targetE0EEEvSK_
	.p2align	8
	.type	_ZN7rocprim17ROCPRIM_400000_NS6detail17trampoline_kernelINS0_14default_configENS1_36segmented_radix_sort_config_selectorIhlEEZNS1_25segmented_radix_sort_implIS3_Lb0EPKhPhPKlPlN2at6native12_GLOBAL__N_18offset_tEEE10hipError_tPvRmT1_PNSt15iterator_traitsISK_E10value_typeET2_T3_PNSL_ISQ_E10value_typeET4_jRbjT5_SW_jjP12ihipStream_tbEUlT_E1_NS1_11comp_targetILNS1_3genE10ELNS1_11target_archE1201ELNS1_3gpuE5ELNS1_3repE0EEENS1_59segmented_radix_sort_warp_sort_small_config_static_selectorELNS0_4arch9wavefront6targetE0EEEvSK_,@function
_ZN7rocprim17ROCPRIM_400000_NS6detail17trampoline_kernelINS0_14default_configENS1_36segmented_radix_sort_config_selectorIhlEEZNS1_25segmented_radix_sort_implIS3_Lb0EPKhPhPKlPlN2at6native12_GLOBAL__N_18offset_tEEE10hipError_tPvRmT1_PNSt15iterator_traitsISK_E10value_typeET2_T3_PNSL_ISQ_E10value_typeET4_jRbjT5_SW_jjP12ihipStream_tbEUlT_E1_NS1_11comp_targetILNS1_3genE10ELNS1_11target_archE1201ELNS1_3gpuE5ELNS1_3repE0EEENS1_59segmented_radix_sort_warp_sort_small_config_static_selectorELNS0_4arch9wavefront6targetE0EEEvSK_: ; @_ZN7rocprim17ROCPRIM_400000_NS6detail17trampoline_kernelINS0_14default_configENS1_36segmented_radix_sort_config_selectorIhlEEZNS1_25segmented_radix_sort_implIS3_Lb0EPKhPhPKlPlN2at6native12_GLOBAL__N_18offset_tEEE10hipError_tPvRmT1_PNSt15iterator_traitsISK_E10value_typeET2_T3_PNSL_ISQ_E10value_typeET4_jRbjT5_SW_jjP12ihipStream_tbEUlT_E1_NS1_11comp_targetILNS1_3genE10ELNS1_11target_archE1201ELNS1_3gpuE5ELNS1_3repE0EEENS1_59segmented_radix_sort_warp_sort_small_config_static_selectorELNS0_4arch9wavefront6targetE0EEEvSK_
; %bb.0:
	.section	.rodata,"a",@progbits
	.p2align	6, 0x0
	.amdhsa_kernel _ZN7rocprim17ROCPRIM_400000_NS6detail17trampoline_kernelINS0_14default_configENS1_36segmented_radix_sort_config_selectorIhlEEZNS1_25segmented_radix_sort_implIS3_Lb0EPKhPhPKlPlN2at6native12_GLOBAL__N_18offset_tEEE10hipError_tPvRmT1_PNSt15iterator_traitsISK_E10value_typeET2_T3_PNSL_ISQ_E10value_typeET4_jRbjT5_SW_jjP12ihipStream_tbEUlT_E1_NS1_11comp_targetILNS1_3genE10ELNS1_11target_archE1201ELNS1_3gpuE5ELNS1_3repE0EEENS1_59segmented_radix_sort_warp_sort_small_config_static_selectorELNS0_4arch9wavefront6targetE0EEEvSK_
		.amdhsa_group_segment_fixed_size 0
		.amdhsa_private_segment_fixed_size 0
		.amdhsa_kernarg_size 88
		.amdhsa_user_sgpr_count 2
		.amdhsa_user_sgpr_dispatch_ptr 0
		.amdhsa_user_sgpr_queue_ptr 0
		.amdhsa_user_sgpr_kernarg_segment_ptr 1
		.amdhsa_user_sgpr_dispatch_id 0
		.amdhsa_user_sgpr_kernarg_preload_length 0
		.amdhsa_user_sgpr_kernarg_preload_offset 0
		.amdhsa_user_sgpr_private_segment_size 0
		.amdhsa_wavefront_size32 1
		.amdhsa_uses_dynamic_stack 0
		.amdhsa_enable_private_segment 0
		.amdhsa_system_sgpr_workgroup_id_x 1
		.amdhsa_system_sgpr_workgroup_id_y 0
		.amdhsa_system_sgpr_workgroup_id_z 0
		.amdhsa_system_sgpr_workgroup_info 0
		.amdhsa_system_vgpr_workitem_id 0
		.amdhsa_next_free_vgpr 1
		.amdhsa_next_free_sgpr 1
		.amdhsa_named_barrier_count 0
		.amdhsa_reserve_vcc 0
		.amdhsa_float_round_mode_32 0
		.amdhsa_float_round_mode_16_64 0
		.amdhsa_float_denorm_mode_32 3
		.amdhsa_float_denorm_mode_16_64 3
		.amdhsa_fp16_overflow 0
		.amdhsa_memory_ordered 1
		.amdhsa_forward_progress 1
		.amdhsa_inst_pref_size 0
		.amdhsa_round_robin_scheduling 0
		.amdhsa_exception_fp_ieee_invalid_op 0
		.amdhsa_exception_fp_denorm_src 0
		.amdhsa_exception_fp_ieee_div_zero 0
		.amdhsa_exception_fp_ieee_overflow 0
		.amdhsa_exception_fp_ieee_underflow 0
		.amdhsa_exception_fp_ieee_inexact 0
		.amdhsa_exception_int_div_zero 0
	.end_amdhsa_kernel
	.section	.text._ZN7rocprim17ROCPRIM_400000_NS6detail17trampoline_kernelINS0_14default_configENS1_36segmented_radix_sort_config_selectorIhlEEZNS1_25segmented_radix_sort_implIS3_Lb0EPKhPhPKlPlN2at6native12_GLOBAL__N_18offset_tEEE10hipError_tPvRmT1_PNSt15iterator_traitsISK_E10value_typeET2_T3_PNSL_ISQ_E10value_typeET4_jRbjT5_SW_jjP12ihipStream_tbEUlT_E1_NS1_11comp_targetILNS1_3genE10ELNS1_11target_archE1201ELNS1_3gpuE5ELNS1_3repE0EEENS1_59segmented_radix_sort_warp_sort_small_config_static_selectorELNS0_4arch9wavefront6targetE0EEEvSK_,"axG",@progbits,_ZN7rocprim17ROCPRIM_400000_NS6detail17trampoline_kernelINS0_14default_configENS1_36segmented_radix_sort_config_selectorIhlEEZNS1_25segmented_radix_sort_implIS3_Lb0EPKhPhPKlPlN2at6native12_GLOBAL__N_18offset_tEEE10hipError_tPvRmT1_PNSt15iterator_traitsISK_E10value_typeET2_T3_PNSL_ISQ_E10value_typeET4_jRbjT5_SW_jjP12ihipStream_tbEUlT_E1_NS1_11comp_targetILNS1_3genE10ELNS1_11target_archE1201ELNS1_3gpuE5ELNS1_3repE0EEENS1_59segmented_radix_sort_warp_sort_small_config_static_selectorELNS0_4arch9wavefront6targetE0EEEvSK_,comdat
.Lfunc_end210:
	.size	_ZN7rocprim17ROCPRIM_400000_NS6detail17trampoline_kernelINS0_14default_configENS1_36segmented_radix_sort_config_selectorIhlEEZNS1_25segmented_radix_sort_implIS3_Lb0EPKhPhPKlPlN2at6native12_GLOBAL__N_18offset_tEEE10hipError_tPvRmT1_PNSt15iterator_traitsISK_E10value_typeET2_T3_PNSL_ISQ_E10value_typeET4_jRbjT5_SW_jjP12ihipStream_tbEUlT_E1_NS1_11comp_targetILNS1_3genE10ELNS1_11target_archE1201ELNS1_3gpuE5ELNS1_3repE0EEENS1_59segmented_radix_sort_warp_sort_small_config_static_selectorELNS0_4arch9wavefront6targetE0EEEvSK_, .Lfunc_end210-_ZN7rocprim17ROCPRIM_400000_NS6detail17trampoline_kernelINS0_14default_configENS1_36segmented_radix_sort_config_selectorIhlEEZNS1_25segmented_radix_sort_implIS3_Lb0EPKhPhPKlPlN2at6native12_GLOBAL__N_18offset_tEEE10hipError_tPvRmT1_PNSt15iterator_traitsISK_E10value_typeET2_T3_PNSL_ISQ_E10value_typeET4_jRbjT5_SW_jjP12ihipStream_tbEUlT_E1_NS1_11comp_targetILNS1_3genE10ELNS1_11target_archE1201ELNS1_3gpuE5ELNS1_3repE0EEENS1_59segmented_radix_sort_warp_sort_small_config_static_selectorELNS0_4arch9wavefront6targetE0EEEvSK_
                                        ; -- End function
	.set _ZN7rocprim17ROCPRIM_400000_NS6detail17trampoline_kernelINS0_14default_configENS1_36segmented_radix_sort_config_selectorIhlEEZNS1_25segmented_radix_sort_implIS3_Lb0EPKhPhPKlPlN2at6native12_GLOBAL__N_18offset_tEEE10hipError_tPvRmT1_PNSt15iterator_traitsISK_E10value_typeET2_T3_PNSL_ISQ_E10value_typeET4_jRbjT5_SW_jjP12ihipStream_tbEUlT_E1_NS1_11comp_targetILNS1_3genE10ELNS1_11target_archE1201ELNS1_3gpuE5ELNS1_3repE0EEENS1_59segmented_radix_sort_warp_sort_small_config_static_selectorELNS0_4arch9wavefront6targetE0EEEvSK_.num_vgpr, 0
	.set _ZN7rocprim17ROCPRIM_400000_NS6detail17trampoline_kernelINS0_14default_configENS1_36segmented_radix_sort_config_selectorIhlEEZNS1_25segmented_radix_sort_implIS3_Lb0EPKhPhPKlPlN2at6native12_GLOBAL__N_18offset_tEEE10hipError_tPvRmT1_PNSt15iterator_traitsISK_E10value_typeET2_T3_PNSL_ISQ_E10value_typeET4_jRbjT5_SW_jjP12ihipStream_tbEUlT_E1_NS1_11comp_targetILNS1_3genE10ELNS1_11target_archE1201ELNS1_3gpuE5ELNS1_3repE0EEENS1_59segmented_radix_sort_warp_sort_small_config_static_selectorELNS0_4arch9wavefront6targetE0EEEvSK_.num_agpr, 0
	.set _ZN7rocprim17ROCPRIM_400000_NS6detail17trampoline_kernelINS0_14default_configENS1_36segmented_radix_sort_config_selectorIhlEEZNS1_25segmented_radix_sort_implIS3_Lb0EPKhPhPKlPlN2at6native12_GLOBAL__N_18offset_tEEE10hipError_tPvRmT1_PNSt15iterator_traitsISK_E10value_typeET2_T3_PNSL_ISQ_E10value_typeET4_jRbjT5_SW_jjP12ihipStream_tbEUlT_E1_NS1_11comp_targetILNS1_3genE10ELNS1_11target_archE1201ELNS1_3gpuE5ELNS1_3repE0EEENS1_59segmented_radix_sort_warp_sort_small_config_static_selectorELNS0_4arch9wavefront6targetE0EEEvSK_.numbered_sgpr, 0
	.set _ZN7rocprim17ROCPRIM_400000_NS6detail17trampoline_kernelINS0_14default_configENS1_36segmented_radix_sort_config_selectorIhlEEZNS1_25segmented_radix_sort_implIS3_Lb0EPKhPhPKlPlN2at6native12_GLOBAL__N_18offset_tEEE10hipError_tPvRmT1_PNSt15iterator_traitsISK_E10value_typeET2_T3_PNSL_ISQ_E10value_typeET4_jRbjT5_SW_jjP12ihipStream_tbEUlT_E1_NS1_11comp_targetILNS1_3genE10ELNS1_11target_archE1201ELNS1_3gpuE5ELNS1_3repE0EEENS1_59segmented_radix_sort_warp_sort_small_config_static_selectorELNS0_4arch9wavefront6targetE0EEEvSK_.num_named_barrier, 0
	.set _ZN7rocprim17ROCPRIM_400000_NS6detail17trampoline_kernelINS0_14default_configENS1_36segmented_radix_sort_config_selectorIhlEEZNS1_25segmented_radix_sort_implIS3_Lb0EPKhPhPKlPlN2at6native12_GLOBAL__N_18offset_tEEE10hipError_tPvRmT1_PNSt15iterator_traitsISK_E10value_typeET2_T3_PNSL_ISQ_E10value_typeET4_jRbjT5_SW_jjP12ihipStream_tbEUlT_E1_NS1_11comp_targetILNS1_3genE10ELNS1_11target_archE1201ELNS1_3gpuE5ELNS1_3repE0EEENS1_59segmented_radix_sort_warp_sort_small_config_static_selectorELNS0_4arch9wavefront6targetE0EEEvSK_.private_seg_size, 0
	.set _ZN7rocprim17ROCPRIM_400000_NS6detail17trampoline_kernelINS0_14default_configENS1_36segmented_radix_sort_config_selectorIhlEEZNS1_25segmented_radix_sort_implIS3_Lb0EPKhPhPKlPlN2at6native12_GLOBAL__N_18offset_tEEE10hipError_tPvRmT1_PNSt15iterator_traitsISK_E10value_typeET2_T3_PNSL_ISQ_E10value_typeET4_jRbjT5_SW_jjP12ihipStream_tbEUlT_E1_NS1_11comp_targetILNS1_3genE10ELNS1_11target_archE1201ELNS1_3gpuE5ELNS1_3repE0EEENS1_59segmented_radix_sort_warp_sort_small_config_static_selectorELNS0_4arch9wavefront6targetE0EEEvSK_.uses_vcc, 0
	.set _ZN7rocprim17ROCPRIM_400000_NS6detail17trampoline_kernelINS0_14default_configENS1_36segmented_radix_sort_config_selectorIhlEEZNS1_25segmented_radix_sort_implIS3_Lb0EPKhPhPKlPlN2at6native12_GLOBAL__N_18offset_tEEE10hipError_tPvRmT1_PNSt15iterator_traitsISK_E10value_typeET2_T3_PNSL_ISQ_E10value_typeET4_jRbjT5_SW_jjP12ihipStream_tbEUlT_E1_NS1_11comp_targetILNS1_3genE10ELNS1_11target_archE1201ELNS1_3gpuE5ELNS1_3repE0EEENS1_59segmented_radix_sort_warp_sort_small_config_static_selectorELNS0_4arch9wavefront6targetE0EEEvSK_.uses_flat_scratch, 0
	.set _ZN7rocprim17ROCPRIM_400000_NS6detail17trampoline_kernelINS0_14default_configENS1_36segmented_radix_sort_config_selectorIhlEEZNS1_25segmented_radix_sort_implIS3_Lb0EPKhPhPKlPlN2at6native12_GLOBAL__N_18offset_tEEE10hipError_tPvRmT1_PNSt15iterator_traitsISK_E10value_typeET2_T3_PNSL_ISQ_E10value_typeET4_jRbjT5_SW_jjP12ihipStream_tbEUlT_E1_NS1_11comp_targetILNS1_3genE10ELNS1_11target_archE1201ELNS1_3gpuE5ELNS1_3repE0EEENS1_59segmented_radix_sort_warp_sort_small_config_static_selectorELNS0_4arch9wavefront6targetE0EEEvSK_.has_dyn_sized_stack, 0
	.set _ZN7rocprim17ROCPRIM_400000_NS6detail17trampoline_kernelINS0_14default_configENS1_36segmented_radix_sort_config_selectorIhlEEZNS1_25segmented_radix_sort_implIS3_Lb0EPKhPhPKlPlN2at6native12_GLOBAL__N_18offset_tEEE10hipError_tPvRmT1_PNSt15iterator_traitsISK_E10value_typeET2_T3_PNSL_ISQ_E10value_typeET4_jRbjT5_SW_jjP12ihipStream_tbEUlT_E1_NS1_11comp_targetILNS1_3genE10ELNS1_11target_archE1201ELNS1_3gpuE5ELNS1_3repE0EEENS1_59segmented_radix_sort_warp_sort_small_config_static_selectorELNS0_4arch9wavefront6targetE0EEEvSK_.has_recursion, 0
	.set _ZN7rocprim17ROCPRIM_400000_NS6detail17trampoline_kernelINS0_14default_configENS1_36segmented_radix_sort_config_selectorIhlEEZNS1_25segmented_radix_sort_implIS3_Lb0EPKhPhPKlPlN2at6native12_GLOBAL__N_18offset_tEEE10hipError_tPvRmT1_PNSt15iterator_traitsISK_E10value_typeET2_T3_PNSL_ISQ_E10value_typeET4_jRbjT5_SW_jjP12ihipStream_tbEUlT_E1_NS1_11comp_targetILNS1_3genE10ELNS1_11target_archE1201ELNS1_3gpuE5ELNS1_3repE0EEENS1_59segmented_radix_sort_warp_sort_small_config_static_selectorELNS0_4arch9wavefront6targetE0EEEvSK_.has_indirect_call, 0
	.section	.AMDGPU.csdata,"",@progbits
; Kernel info:
; codeLenInByte = 0
; TotalNumSgprs: 0
; NumVgprs: 0
; ScratchSize: 0
; MemoryBound: 0
; FloatMode: 240
; IeeeMode: 1
; LDSByteSize: 0 bytes/workgroup (compile time only)
; SGPRBlocks: 0
; VGPRBlocks: 0
; NumSGPRsForWavesPerEU: 1
; NumVGPRsForWavesPerEU: 1
; NamedBarCnt: 0
; Occupancy: 16
; WaveLimiterHint : 0
; COMPUTE_PGM_RSRC2:SCRATCH_EN: 0
; COMPUTE_PGM_RSRC2:USER_SGPR: 2
; COMPUTE_PGM_RSRC2:TRAP_HANDLER: 0
; COMPUTE_PGM_RSRC2:TGID_X_EN: 1
; COMPUTE_PGM_RSRC2:TGID_Y_EN: 0
; COMPUTE_PGM_RSRC2:TGID_Z_EN: 0
; COMPUTE_PGM_RSRC2:TIDIG_COMP_CNT: 0
	.section	.text._ZN7rocprim17ROCPRIM_400000_NS6detail17trampoline_kernelINS0_14default_configENS1_36segmented_radix_sort_config_selectorIhlEEZNS1_25segmented_radix_sort_implIS3_Lb0EPKhPhPKlPlN2at6native12_GLOBAL__N_18offset_tEEE10hipError_tPvRmT1_PNSt15iterator_traitsISK_E10value_typeET2_T3_PNSL_ISQ_E10value_typeET4_jRbjT5_SW_jjP12ihipStream_tbEUlT_E1_NS1_11comp_targetILNS1_3genE10ELNS1_11target_archE1200ELNS1_3gpuE4ELNS1_3repE0EEENS1_59segmented_radix_sort_warp_sort_small_config_static_selectorELNS0_4arch9wavefront6targetE0EEEvSK_,"axG",@progbits,_ZN7rocprim17ROCPRIM_400000_NS6detail17trampoline_kernelINS0_14default_configENS1_36segmented_radix_sort_config_selectorIhlEEZNS1_25segmented_radix_sort_implIS3_Lb0EPKhPhPKlPlN2at6native12_GLOBAL__N_18offset_tEEE10hipError_tPvRmT1_PNSt15iterator_traitsISK_E10value_typeET2_T3_PNSL_ISQ_E10value_typeET4_jRbjT5_SW_jjP12ihipStream_tbEUlT_E1_NS1_11comp_targetILNS1_3genE10ELNS1_11target_archE1200ELNS1_3gpuE4ELNS1_3repE0EEENS1_59segmented_radix_sort_warp_sort_small_config_static_selectorELNS0_4arch9wavefront6targetE0EEEvSK_,comdat
	.globl	_ZN7rocprim17ROCPRIM_400000_NS6detail17trampoline_kernelINS0_14default_configENS1_36segmented_radix_sort_config_selectorIhlEEZNS1_25segmented_radix_sort_implIS3_Lb0EPKhPhPKlPlN2at6native12_GLOBAL__N_18offset_tEEE10hipError_tPvRmT1_PNSt15iterator_traitsISK_E10value_typeET2_T3_PNSL_ISQ_E10value_typeET4_jRbjT5_SW_jjP12ihipStream_tbEUlT_E1_NS1_11comp_targetILNS1_3genE10ELNS1_11target_archE1200ELNS1_3gpuE4ELNS1_3repE0EEENS1_59segmented_radix_sort_warp_sort_small_config_static_selectorELNS0_4arch9wavefront6targetE0EEEvSK_ ; -- Begin function _ZN7rocprim17ROCPRIM_400000_NS6detail17trampoline_kernelINS0_14default_configENS1_36segmented_radix_sort_config_selectorIhlEEZNS1_25segmented_radix_sort_implIS3_Lb0EPKhPhPKlPlN2at6native12_GLOBAL__N_18offset_tEEE10hipError_tPvRmT1_PNSt15iterator_traitsISK_E10value_typeET2_T3_PNSL_ISQ_E10value_typeET4_jRbjT5_SW_jjP12ihipStream_tbEUlT_E1_NS1_11comp_targetILNS1_3genE10ELNS1_11target_archE1200ELNS1_3gpuE4ELNS1_3repE0EEENS1_59segmented_radix_sort_warp_sort_small_config_static_selectorELNS0_4arch9wavefront6targetE0EEEvSK_
	.p2align	8
	.type	_ZN7rocprim17ROCPRIM_400000_NS6detail17trampoline_kernelINS0_14default_configENS1_36segmented_radix_sort_config_selectorIhlEEZNS1_25segmented_radix_sort_implIS3_Lb0EPKhPhPKlPlN2at6native12_GLOBAL__N_18offset_tEEE10hipError_tPvRmT1_PNSt15iterator_traitsISK_E10value_typeET2_T3_PNSL_ISQ_E10value_typeET4_jRbjT5_SW_jjP12ihipStream_tbEUlT_E1_NS1_11comp_targetILNS1_3genE10ELNS1_11target_archE1200ELNS1_3gpuE4ELNS1_3repE0EEENS1_59segmented_radix_sort_warp_sort_small_config_static_selectorELNS0_4arch9wavefront6targetE0EEEvSK_,@function
_ZN7rocprim17ROCPRIM_400000_NS6detail17trampoline_kernelINS0_14default_configENS1_36segmented_radix_sort_config_selectorIhlEEZNS1_25segmented_radix_sort_implIS3_Lb0EPKhPhPKlPlN2at6native12_GLOBAL__N_18offset_tEEE10hipError_tPvRmT1_PNSt15iterator_traitsISK_E10value_typeET2_T3_PNSL_ISQ_E10value_typeET4_jRbjT5_SW_jjP12ihipStream_tbEUlT_E1_NS1_11comp_targetILNS1_3genE10ELNS1_11target_archE1200ELNS1_3gpuE4ELNS1_3repE0EEENS1_59segmented_radix_sort_warp_sort_small_config_static_selectorELNS0_4arch9wavefront6targetE0EEEvSK_: ; @_ZN7rocprim17ROCPRIM_400000_NS6detail17trampoline_kernelINS0_14default_configENS1_36segmented_radix_sort_config_selectorIhlEEZNS1_25segmented_radix_sort_implIS3_Lb0EPKhPhPKlPlN2at6native12_GLOBAL__N_18offset_tEEE10hipError_tPvRmT1_PNSt15iterator_traitsISK_E10value_typeET2_T3_PNSL_ISQ_E10value_typeET4_jRbjT5_SW_jjP12ihipStream_tbEUlT_E1_NS1_11comp_targetILNS1_3genE10ELNS1_11target_archE1200ELNS1_3gpuE4ELNS1_3repE0EEENS1_59segmented_radix_sort_warp_sort_small_config_static_selectorELNS0_4arch9wavefront6targetE0EEEvSK_
; %bb.0:
	.section	.rodata,"a",@progbits
	.p2align	6, 0x0
	.amdhsa_kernel _ZN7rocprim17ROCPRIM_400000_NS6detail17trampoline_kernelINS0_14default_configENS1_36segmented_radix_sort_config_selectorIhlEEZNS1_25segmented_radix_sort_implIS3_Lb0EPKhPhPKlPlN2at6native12_GLOBAL__N_18offset_tEEE10hipError_tPvRmT1_PNSt15iterator_traitsISK_E10value_typeET2_T3_PNSL_ISQ_E10value_typeET4_jRbjT5_SW_jjP12ihipStream_tbEUlT_E1_NS1_11comp_targetILNS1_3genE10ELNS1_11target_archE1200ELNS1_3gpuE4ELNS1_3repE0EEENS1_59segmented_radix_sort_warp_sort_small_config_static_selectorELNS0_4arch9wavefront6targetE0EEEvSK_
		.amdhsa_group_segment_fixed_size 0
		.amdhsa_private_segment_fixed_size 0
		.amdhsa_kernarg_size 88
		.amdhsa_user_sgpr_count 2
		.amdhsa_user_sgpr_dispatch_ptr 0
		.amdhsa_user_sgpr_queue_ptr 0
		.amdhsa_user_sgpr_kernarg_segment_ptr 1
		.amdhsa_user_sgpr_dispatch_id 0
		.amdhsa_user_sgpr_kernarg_preload_length 0
		.amdhsa_user_sgpr_kernarg_preload_offset 0
		.amdhsa_user_sgpr_private_segment_size 0
		.amdhsa_wavefront_size32 1
		.amdhsa_uses_dynamic_stack 0
		.amdhsa_enable_private_segment 0
		.amdhsa_system_sgpr_workgroup_id_x 1
		.amdhsa_system_sgpr_workgroup_id_y 0
		.amdhsa_system_sgpr_workgroup_id_z 0
		.amdhsa_system_sgpr_workgroup_info 0
		.amdhsa_system_vgpr_workitem_id 0
		.amdhsa_next_free_vgpr 1
		.amdhsa_next_free_sgpr 1
		.amdhsa_named_barrier_count 0
		.amdhsa_reserve_vcc 0
		.amdhsa_float_round_mode_32 0
		.amdhsa_float_round_mode_16_64 0
		.amdhsa_float_denorm_mode_32 3
		.amdhsa_float_denorm_mode_16_64 3
		.amdhsa_fp16_overflow 0
		.amdhsa_memory_ordered 1
		.amdhsa_forward_progress 1
		.amdhsa_inst_pref_size 0
		.amdhsa_round_robin_scheduling 0
		.amdhsa_exception_fp_ieee_invalid_op 0
		.amdhsa_exception_fp_denorm_src 0
		.amdhsa_exception_fp_ieee_div_zero 0
		.amdhsa_exception_fp_ieee_overflow 0
		.amdhsa_exception_fp_ieee_underflow 0
		.amdhsa_exception_fp_ieee_inexact 0
		.amdhsa_exception_int_div_zero 0
	.end_amdhsa_kernel
	.section	.text._ZN7rocprim17ROCPRIM_400000_NS6detail17trampoline_kernelINS0_14default_configENS1_36segmented_radix_sort_config_selectorIhlEEZNS1_25segmented_radix_sort_implIS3_Lb0EPKhPhPKlPlN2at6native12_GLOBAL__N_18offset_tEEE10hipError_tPvRmT1_PNSt15iterator_traitsISK_E10value_typeET2_T3_PNSL_ISQ_E10value_typeET4_jRbjT5_SW_jjP12ihipStream_tbEUlT_E1_NS1_11comp_targetILNS1_3genE10ELNS1_11target_archE1200ELNS1_3gpuE4ELNS1_3repE0EEENS1_59segmented_radix_sort_warp_sort_small_config_static_selectorELNS0_4arch9wavefront6targetE0EEEvSK_,"axG",@progbits,_ZN7rocprim17ROCPRIM_400000_NS6detail17trampoline_kernelINS0_14default_configENS1_36segmented_radix_sort_config_selectorIhlEEZNS1_25segmented_radix_sort_implIS3_Lb0EPKhPhPKlPlN2at6native12_GLOBAL__N_18offset_tEEE10hipError_tPvRmT1_PNSt15iterator_traitsISK_E10value_typeET2_T3_PNSL_ISQ_E10value_typeET4_jRbjT5_SW_jjP12ihipStream_tbEUlT_E1_NS1_11comp_targetILNS1_3genE10ELNS1_11target_archE1200ELNS1_3gpuE4ELNS1_3repE0EEENS1_59segmented_radix_sort_warp_sort_small_config_static_selectorELNS0_4arch9wavefront6targetE0EEEvSK_,comdat
.Lfunc_end211:
	.size	_ZN7rocprim17ROCPRIM_400000_NS6detail17trampoline_kernelINS0_14default_configENS1_36segmented_radix_sort_config_selectorIhlEEZNS1_25segmented_radix_sort_implIS3_Lb0EPKhPhPKlPlN2at6native12_GLOBAL__N_18offset_tEEE10hipError_tPvRmT1_PNSt15iterator_traitsISK_E10value_typeET2_T3_PNSL_ISQ_E10value_typeET4_jRbjT5_SW_jjP12ihipStream_tbEUlT_E1_NS1_11comp_targetILNS1_3genE10ELNS1_11target_archE1200ELNS1_3gpuE4ELNS1_3repE0EEENS1_59segmented_radix_sort_warp_sort_small_config_static_selectorELNS0_4arch9wavefront6targetE0EEEvSK_, .Lfunc_end211-_ZN7rocprim17ROCPRIM_400000_NS6detail17trampoline_kernelINS0_14default_configENS1_36segmented_radix_sort_config_selectorIhlEEZNS1_25segmented_radix_sort_implIS3_Lb0EPKhPhPKlPlN2at6native12_GLOBAL__N_18offset_tEEE10hipError_tPvRmT1_PNSt15iterator_traitsISK_E10value_typeET2_T3_PNSL_ISQ_E10value_typeET4_jRbjT5_SW_jjP12ihipStream_tbEUlT_E1_NS1_11comp_targetILNS1_3genE10ELNS1_11target_archE1200ELNS1_3gpuE4ELNS1_3repE0EEENS1_59segmented_radix_sort_warp_sort_small_config_static_selectorELNS0_4arch9wavefront6targetE0EEEvSK_
                                        ; -- End function
	.set _ZN7rocprim17ROCPRIM_400000_NS6detail17trampoline_kernelINS0_14default_configENS1_36segmented_radix_sort_config_selectorIhlEEZNS1_25segmented_radix_sort_implIS3_Lb0EPKhPhPKlPlN2at6native12_GLOBAL__N_18offset_tEEE10hipError_tPvRmT1_PNSt15iterator_traitsISK_E10value_typeET2_T3_PNSL_ISQ_E10value_typeET4_jRbjT5_SW_jjP12ihipStream_tbEUlT_E1_NS1_11comp_targetILNS1_3genE10ELNS1_11target_archE1200ELNS1_3gpuE4ELNS1_3repE0EEENS1_59segmented_radix_sort_warp_sort_small_config_static_selectorELNS0_4arch9wavefront6targetE0EEEvSK_.num_vgpr, 0
	.set _ZN7rocprim17ROCPRIM_400000_NS6detail17trampoline_kernelINS0_14default_configENS1_36segmented_radix_sort_config_selectorIhlEEZNS1_25segmented_radix_sort_implIS3_Lb0EPKhPhPKlPlN2at6native12_GLOBAL__N_18offset_tEEE10hipError_tPvRmT1_PNSt15iterator_traitsISK_E10value_typeET2_T3_PNSL_ISQ_E10value_typeET4_jRbjT5_SW_jjP12ihipStream_tbEUlT_E1_NS1_11comp_targetILNS1_3genE10ELNS1_11target_archE1200ELNS1_3gpuE4ELNS1_3repE0EEENS1_59segmented_radix_sort_warp_sort_small_config_static_selectorELNS0_4arch9wavefront6targetE0EEEvSK_.num_agpr, 0
	.set _ZN7rocprim17ROCPRIM_400000_NS6detail17trampoline_kernelINS0_14default_configENS1_36segmented_radix_sort_config_selectorIhlEEZNS1_25segmented_radix_sort_implIS3_Lb0EPKhPhPKlPlN2at6native12_GLOBAL__N_18offset_tEEE10hipError_tPvRmT1_PNSt15iterator_traitsISK_E10value_typeET2_T3_PNSL_ISQ_E10value_typeET4_jRbjT5_SW_jjP12ihipStream_tbEUlT_E1_NS1_11comp_targetILNS1_3genE10ELNS1_11target_archE1200ELNS1_3gpuE4ELNS1_3repE0EEENS1_59segmented_radix_sort_warp_sort_small_config_static_selectorELNS0_4arch9wavefront6targetE0EEEvSK_.numbered_sgpr, 0
	.set _ZN7rocprim17ROCPRIM_400000_NS6detail17trampoline_kernelINS0_14default_configENS1_36segmented_radix_sort_config_selectorIhlEEZNS1_25segmented_radix_sort_implIS3_Lb0EPKhPhPKlPlN2at6native12_GLOBAL__N_18offset_tEEE10hipError_tPvRmT1_PNSt15iterator_traitsISK_E10value_typeET2_T3_PNSL_ISQ_E10value_typeET4_jRbjT5_SW_jjP12ihipStream_tbEUlT_E1_NS1_11comp_targetILNS1_3genE10ELNS1_11target_archE1200ELNS1_3gpuE4ELNS1_3repE0EEENS1_59segmented_radix_sort_warp_sort_small_config_static_selectorELNS0_4arch9wavefront6targetE0EEEvSK_.num_named_barrier, 0
	.set _ZN7rocprim17ROCPRIM_400000_NS6detail17trampoline_kernelINS0_14default_configENS1_36segmented_radix_sort_config_selectorIhlEEZNS1_25segmented_radix_sort_implIS3_Lb0EPKhPhPKlPlN2at6native12_GLOBAL__N_18offset_tEEE10hipError_tPvRmT1_PNSt15iterator_traitsISK_E10value_typeET2_T3_PNSL_ISQ_E10value_typeET4_jRbjT5_SW_jjP12ihipStream_tbEUlT_E1_NS1_11comp_targetILNS1_3genE10ELNS1_11target_archE1200ELNS1_3gpuE4ELNS1_3repE0EEENS1_59segmented_radix_sort_warp_sort_small_config_static_selectorELNS0_4arch9wavefront6targetE0EEEvSK_.private_seg_size, 0
	.set _ZN7rocprim17ROCPRIM_400000_NS6detail17trampoline_kernelINS0_14default_configENS1_36segmented_radix_sort_config_selectorIhlEEZNS1_25segmented_radix_sort_implIS3_Lb0EPKhPhPKlPlN2at6native12_GLOBAL__N_18offset_tEEE10hipError_tPvRmT1_PNSt15iterator_traitsISK_E10value_typeET2_T3_PNSL_ISQ_E10value_typeET4_jRbjT5_SW_jjP12ihipStream_tbEUlT_E1_NS1_11comp_targetILNS1_3genE10ELNS1_11target_archE1200ELNS1_3gpuE4ELNS1_3repE0EEENS1_59segmented_radix_sort_warp_sort_small_config_static_selectorELNS0_4arch9wavefront6targetE0EEEvSK_.uses_vcc, 0
	.set _ZN7rocprim17ROCPRIM_400000_NS6detail17trampoline_kernelINS0_14default_configENS1_36segmented_radix_sort_config_selectorIhlEEZNS1_25segmented_radix_sort_implIS3_Lb0EPKhPhPKlPlN2at6native12_GLOBAL__N_18offset_tEEE10hipError_tPvRmT1_PNSt15iterator_traitsISK_E10value_typeET2_T3_PNSL_ISQ_E10value_typeET4_jRbjT5_SW_jjP12ihipStream_tbEUlT_E1_NS1_11comp_targetILNS1_3genE10ELNS1_11target_archE1200ELNS1_3gpuE4ELNS1_3repE0EEENS1_59segmented_radix_sort_warp_sort_small_config_static_selectorELNS0_4arch9wavefront6targetE0EEEvSK_.uses_flat_scratch, 0
	.set _ZN7rocprim17ROCPRIM_400000_NS6detail17trampoline_kernelINS0_14default_configENS1_36segmented_radix_sort_config_selectorIhlEEZNS1_25segmented_radix_sort_implIS3_Lb0EPKhPhPKlPlN2at6native12_GLOBAL__N_18offset_tEEE10hipError_tPvRmT1_PNSt15iterator_traitsISK_E10value_typeET2_T3_PNSL_ISQ_E10value_typeET4_jRbjT5_SW_jjP12ihipStream_tbEUlT_E1_NS1_11comp_targetILNS1_3genE10ELNS1_11target_archE1200ELNS1_3gpuE4ELNS1_3repE0EEENS1_59segmented_radix_sort_warp_sort_small_config_static_selectorELNS0_4arch9wavefront6targetE0EEEvSK_.has_dyn_sized_stack, 0
	.set _ZN7rocprim17ROCPRIM_400000_NS6detail17trampoline_kernelINS0_14default_configENS1_36segmented_radix_sort_config_selectorIhlEEZNS1_25segmented_radix_sort_implIS3_Lb0EPKhPhPKlPlN2at6native12_GLOBAL__N_18offset_tEEE10hipError_tPvRmT1_PNSt15iterator_traitsISK_E10value_typeET2_T3_PNSL_ISQ_E10value_typeET4_jRbjT5_SW_jjP12ihipStream_tbEUlT_E1_NS1_11comp_targetILNS1_3genE10ELNS1_11target_archE1200ELNS1_3gpuE4ELNS1_3repE0EEENS1_59segmented_radix_sort_warp_sort_small_config_static_selectorELNS0_4arch9wavefront6targetE0EEEvSK_.has_recursion, 0
	.set _ZN7rocprim17ROCPRIM_400000_NS6detail17trampoline_kernelINS0_14default_configENS1_36segmented_radix_sort_config_selectorIhlEEZNS1_25segmented_radix_sort_implIS3_Lb0EPKhPhPKlPlN2at6native12_GLOBAL__N_18offset_tEEE10hipError_tPvRmT1_PNSt15iterator_traitsISK_E10value_typeET2_T3_PNSL_ISQ_E10value_typeET4_jRbjT5_SW_jjP12ihipStream_tbEUlT_E1_NS1_11comp_targetILNS1_3genE10ELNS1_11target_archE1200ELNS1_3gpuE4ELNS1_3repE0EEENS1_59segmented_radix_sort_warp_sort_small_config_static_selectorELNS0_4arch9wavefront6targetE0EEEvSK_.has_indirect_call, 0
	.section	.AMDGPU.csdata,"",@progbits
; Kernel info:
; codeLenInByte = 0
; TotalNumSgprs: 0
; NumVgprs: 0
; ScratchSize: 0
; MemoryBound: 0
; FloatMode: 240
; IeeeMode: 1
; LDSByteSize: 0 bytes/workgroup (compile time only)
; SGPRBlocks: 0
; VGPRBlocks: 0
; NumSGPRsForWavesPerEU: 1
; NumVGPRsForWavesPerEU: 1
; NamedBarCnt: 0
; Occupancy: 16
; WaveLimiterHint : 0
; COMPUTE_PGM_RSRC2:SCRATCH_EN: 0
; COMPUTE_PGM_RSRC2:USER_SGPR: 2
; COMPUTE_PGM_RSRC2:TRAP_HANDLER: 0
; COMPUTE_PGM_RSRC2:TGID_X_EN: 1
; COMPUTE_PGM_RSRC2:TGID_Y_EN: 0
; COMPUTE_PGM_RSRC2:TGID_Z_EN: 0
; COMPUTE_PGM_RSRC2:TIDIG_COMP_CNT: 0
	.section	.text._ZN7rocprim17ROCPRIM_400000_NS6detail17trampoline_kernelINS0_14default_configENS1_36segmented_radix_sort_config_selectorIhlEEZNS1_25segmented_radix_sort_implIS3_Lb0EPKhPhPKlPlN2at6native12_GLOBAL__N_18offset_tEEE10hipError_tPvRmT1_PNSt15iterator_traitsISK_E10value_typeET2_T3_PNSL_ISQ_E10value_typeET4_jRbjT5_SW_jjP12ihipStream_tbEUlT_E1_NS1_11comp_targetILNS1_3genE9ELNS1_11target_archE1100ELNS1_3gpuE3ELNS1_3repE0EEENS1_59segmented_radix_sort_warp_sort_small_config_static_selectorELNS0_4arch9wavefront6targetE0EEEvSK_,"axG",@progbits,_ZN7rocprim17ROCPRIM_400000_NS6detail17trampoline_kernelINS0_14default_configENS1_36segmented_radix_sort_config_selectorIhlEEZNS1_25segmented_radix_sort_implIS3_Lb0EPKhPhPKlPlN2at6native12_GLOBAL__N_18offset_tEEE10hipError_tPvRmT1_PNSt15iterator_traitsISK_E10value_typeET2_T3_PNSL_ISQ_E10value_typeET4_jRbjT5_SW_jjP12ihipStream_tbEUlT_E1_NS1_11comp_targetILNS1_3genE9ELNS1_11target_archE1100ELNS1_3gpuE3ELNS1_3repE0EEENS1_59segmented_radix_sort_warp_sort_small_config_static_selectorELNS0_4arch9wavefront6targetE0EEEvSK_,comdat
	.globl	_ZN7rocprim17ROCPRIM_400000_NS6detail17trampoline_kernelINS0_14default_configENS1_36segmented_radix_sort_config_selectorIhlEEZNS1_25segmented_radix_sort_implIS3_Lb0EPKhPhPKlPlN2at6native12_GLOBAL__N_18offset_tEEE10hipError_tPvRmT1_PNSt15iterator_traitsISK_E10value_typeET2_T3_PNSL_ISQ_E10value_typeET4_jRbjT5_SW_jjP12ihipStream_tbEUlT_E1_NS1_11comp_targetILNS1_3genE9ELNS1_11target_archE1100ELNS1_3gpuE3ELNS1_3repE0EEENS1_59segmented_radix_sort_warp_sort_small_config_static_selectorELNS0_4arch9wavefront6targetE0EEEvSK_ ; -- Begin function _ZN7rocprim17ROCPRIM_400000_NS6detail17trampoline_kernelINS0_14default_configENS1_36segmented_radix_sort_config_selectorIhlEEZNS1_25segmented_radix_sort_implIS3_Lb0EPKhPhPKlPlN2at6native12_GLOBAL__N_18offset_tEEE10hipError_tPvRmT1_PNSt15iterator_traitsISK_E10value_typeET2_T3_PNSL_ISQ_E10value_typeET4_jRbjT5_SW_jjP12ihipStream_tbEUlT_E1_NS1_11comp_targetILNS1_3genE9ELNS1_11target_archE1100ELNS1_3gpuE3ELNS1_3repE0EEENS1_59segmented_radix_sort_warp_sort_small_config_static_selectorELNS0_4arch9wavefront6targetE0EEEvSK_
	.p2align	8
	.type	_ZN7rocprim17ROCPRIM_400000_NS6detail17trampoline_kernelINS0_14default_configENS1_36segmented_radix_sort_config_selectorIhlEEZNS1_25segmented_radix_sort_implIS3_Lb0EPKhPhPKlPlN2at6native12_GLOBAL__N_18offset_tEEE10hipError_tPvRmT1_PNSt15iterator_traitsISK_E10value_typeET2_T3_PNSL_ISQ_E10value_typeET4_jRbjT5_SW_jjP12ihipStream_tbEUlT_E1_NS1_11comp_targetILNS1_3genE9ELNS1_11target_archE1100ELNS1_3gpuE3ELNS1_3repE0EEENS1_59segmented_radix_sort_warp_sort_small_config_static_selectorELNS0_4arch9wavefront6targetE0EEEvSK_,@function
_ZN7rocprim17ROCPRIM_400000_NS6detail17trampoline_kernelINS0_14default_configENS1_36segmented_radix_sort_config_selectorIhlEEZNS1_25segmented_radix_sort_implIS3_Lb0EPKhPhPKlPlN2at6native12_GLOBAL__N_18offset_tEEE10hipError_tPvRmT1_PNSt15iterator_traitsISK_E10value_typeET2_T3_PNSL_ISQ_E10value_typeET4_jRbjT5_SW_jjP12ihipStream_tbEUlT_E1_NS1_11comp_targetILNS1_3genE9ELNS1_11target_archE1100ELNS1_3gpuE3ELNS1_3repE0EEENS1_59segmented_radix_sort_warp_sort_small_config_static_selectorELNS0_4arch9wavefront6targetE0EEEvSK_: ; @_ZN7rocprim17ROCPRIM_400000_NS6detail17trampoline_kernelINS0_14default_configENS1_36segmented_radix_sort_config_selectorIhlEEZNS1_25segmented_radix_sort_implIS3_Lb0EPKhPhPKlPlN2at6native12_GLOBAL__N_18offset_tEEE10hipError_tPvRmT1_PNSt15iterator_traitsISK_E10value_typeET2_T3_PNSL_ISQ_E10value_typeET4_jRbjT5_SW_jjP12ihipStream_tbEUlT_E1_NS1_11comp_targetILNS1_3genE9ELNS1_11target_archE1100ELNS1_3gpuE3ELNS1_3repE0EEENS1_59segmented_radix_sort_warp_sort_small_config_static_selectorELNS0_4arch9wavefront6targetE0EEEvSK_
; %bb.0:
	.section	.rodata,"a",@progbits
	.p2align	6, 0x0
	.amdhsa_kernel _ZN7rocprim17ROCPRIM_400000_NS6detail17trampoline_kernelINS0_14default_configENS1_36segmented_radix_sort_config_selectorIhlEEZNS1_25segmented_radix_sort_implIS3_Lb0EPKhPhPKlPlN2at6native12_GLOBAL__N_18offset_tEEE10hipError_tPvRmT1_PNSt15iterator_traitsISK_E10value_typeET2_T3_PNSL_ISQ_E10value_typeET4_jRbjT5_SW_jjP12ihipStream_tbEUlT_E1_NS1_11comp_targetILNS1_3genE9ELNS1_11target_archE1100ELNS1_3gpuE3ELNS1_3repE0EEENS1_59segmented_radix_sort_warp_sort_small_config_static_selectorELNS0_4arch9wavefront6targetE0EEEvSK_
		.amdhsa_group_segment_fixed_size 0
		.amdhsa_private_segment_fixed_size 0
		.amdhsa_kernarg_size 88
		.amdhsa_user_sgpr_count 2
		.amdhsa_user_sgpr_dispatch_ptr 0
		.amdhsa_user_sgpr_queue_ptr 0
		.amdhsa_user_sgpr_kernarg_segment_ptr 1
		.amdhsa_user_sgpr_dispatch_id 0
		.amdhsa_user_sgpr_kernarg_preload_length 0
		.amdhsa_user_sgpr_kernarg_preload_offset 0
		.amdhsa_user_sgpr_private_segment_size 0
		.amdhsa_wavefront_size32 1
		.amdhsa_uses_dynamic_stack 0
		.amdhsa_enable_private_segment 0
		.amdhsa_system_sgpr_workgroup_id_x 1
		.amdhsa_system_sgpr_workgroup_id_y 0
		.amdhsa_system_sgpr_workgroup_id_z 0
		.amdhsa_system_sgpr_workgroup_info 0
		.amdhsa_system_vgpr_workitem_id 0
		.amdhsa_next_free_vgpr 1
		.amdhsa_next_free_sgpr 1
		.amdhsa_named_barrier_count 0
		.amdhsa_reserve_vcc 0
		.amdhsa_float_round_mode_32 0
		.amdhsa_float_round_mode_16_64 0
		.amdhsa_float_denorm_mode_32 3
		.amdhsa_float_denorm_mode_16_64 3
		.amdhsa_fp16_overflow 0
		.amdhsa_memory_ordered 1
		.amdhsa_forward_progress 1
		.amdhsa_inst_pref_size 0
		.amdhsa_round_robin_scheduling 0
		.amdhsa_exception_fp_ieee_invalid_op 0
		.amdhsa_exception_fp_denorm_src 0
		.amdhsa_exception_fp_ieee_div_zero 0
		.amdhsa_exception_fp_ieee_overflow 0
		.amdhsa_exception_fp_ieee_underflow 0
		.amdhsa_exception_fp_ieee_inexact 0
		.amdhsa_exception_int_div_zero 0
	.end_amdhsa_kernel
	.section	.text._ZN7rocprim17ROCPRIM_400000_NS6detail17trampoline_kernelINS0_14default_configENS1_36segmented_radix_sort_config_selectorIhlEEZNS1_25segmented_radix_sort_implIS3_Lb0EPKhPhPKlPlN2at6native12_GLOBAL__N_18offset_tEEE10hipError_tPvRmT1_PNSt15iterator_traitsISK_E10value_typeET2_T3_PNSL_ISQ_E10value_typeET4_jRbjT5_SW_jjP12ihipStream_tbEUlT_E1_NS1_11comp_targetILNS1_3genE9ELNS1_11target_archE1100ELNS1_3gpuE3ELNS1_3repE0EEENS1_59segmented_radix_sort_warp_sort_small_config_static_selectorELNS0_4arch9wavefront6targetE0EEEvSK_,"axG",@progbits,_ZN7rocprim17ROCPRIM_400000_NS6detail17trampoline_kernelINS0_14default_configENS1_36segmented_radix_sort_config_selectorIhlEEZNS1_25segmented_radix_sort_implIS3_Lb0EPKhPhPKlPlN2at6native12_GLOBAL__N_18offset_tEEE10hipError_tPvRmT1_PNSt15iterator_traitsISK_E10value_typeET2_T3_PNSL_ISQ_E10value_typeET4_jRbjT5_SW_jjP12ihipStream_tbEUlT_E1_NS1_11comp_targetILNS1_3genE9ELNS1_11target_archE1100ELNS1_3gpuE3ELNS1_3repE0EEENS1_59segmented_radix_sort_warp_sort_small_config_static_selectorELNS0_4arch9wavefront6targetE0EEEvSK_,comdat
.Lfunc_end212:
	.size	_ZN7rocprim17ROCPRIM_400000_NS6detail17trampoline_kernelINS0_14default_configENS1_36segmented_radix_sort_config_selectorIhlEEZNS1_25segmented_radix_sort_implIS3_Lb0EPKhPhPKlPlN2at6native12_GLOBAL__N_18offset_tEEE10hipError_tPvRmT1_PNSt15iterator_traitsISK_E10value_typeET2_T3_PNSL_ISQ_E10value_typeET4_jRbjT5_SW_jjP12ihipStream_tbEUlT_E1_NS1_11comp_targetILNS1_3genE9ELNS1_11target_archE1100ELNS1_3gpuE3ELNS1_3repE0EEENS1_59segmented_radix_sort_warp_sort_small_config_static_selectorELNS0_4arch9wavefront6targetE0EEEvSK_, .Lfunc_end212-_ZN7rocprim17ROCPRIM_400000_NS6detail17trampoline_kernelINS0_14default_configENS1_36segmented_radix_sort_config_selectorIhlEEZNS1_25segmented_radix_sort_implIS3_Lb0EPKhPhPKlPlN2at6native12_GLOBAL__N_18offset_tEEE10hipError_tPvRmT1_PNSt15iterator_traitsISK_E10value_typeET2_T3_PNSL_ISQ_E10value_typeET4_jRbjT5_SW_jjP12ihipStream_tbEUlT_E1_NS1_11comp_targetILNS1_3genE9ELNS1_11target_archE1100ELNS1_3gpuE3ELNS1_3repE0EEENS1_59segmented_radix_sort_warp_sort_small_config_static_selectorELNS0_4arch9wavefront6targetE0EEEvSK_
                                        ; -- End function
	.set _ZN7rocprim17ROCPRIM_400000_NS6detail17trampoline_kernelINS0_14default_configENS1_36segmented_radix_sort_config_selectorIhlEEZNS1_25segmented_radix_sort_implIS3_Lb0EPKhPhPKlPlN2at6native12_GLOBAL__N_18offset_tEEE10hipError_tPvRmT1_PNSt15iterator_traitsISK_E10value_typeET2_T3_PNSL_ISQ_E10value_typeET4_jRbjT5_SW_jjP12ihipStream_tbEUlT_E1_NS1_11comp_targetILNS1_3genE9ELNS1_11target_archE1100ELNS1_3gpuE3ELNS1_3repE0EEENS1_59segmented_radix_sort_warp_sort_small_config_static_selectorELNS0_4arch9wavefront6targetE0EEEvSK_.num_vgpr, 0
	.set _ZN7rocprim17ROCPRIM_400000_NS6detail17trampoline_kernelINS0_14default_configENS1_36segmented_radix_sort_config_selectorIhlEEZNS1_25segmented_radix_sort_implIS3_Lb0EPKhPhPKlPlN2at6native12_GLOBAL__N_18offset_tEEE10hipError_tPvRmT1_PNSt15iterator_traitsISK_E10value_typeET2_T3_PNSL_ISQ_E10value_typeET4_jRbjT5_SW_jjP12ihipStream_tbEUlT_E1_NS1_11comp_targetILNS1_3genE9ELNS1_11target_archE1100ELNS1_3gpuE3ELNS1_3repE0EEENS1_59segmented_radix_sort_warp_sort_small_config_static_selectorELNS0_4arch9wavefront6targetE0EEEvSK_.num_agpr, 0
	.set _ZN7rocprim17ROCPRIM_400000_NS6detail17trampoline_kernelINS0_14default_configENS1_36segmented_radix_sort_config_selectorIhlEEZNS1_25segmented_radix_sort_implIS3_Lb0EPKhPhPKlPlN2at6native12_GLOBAL__N_18offset_tEEE10hipError_tPvRmT1_PNSt15iterator_traitsISK_E10value_typeET2_T3_PNSL_ISQ_E10value_typeET4_jRbjT5_SW_jjP12ihipStream_tbEUlT_E1_NS1_11comp_targetILNS1_3genE9ELNS1_11target_archE1100ELNS1_3gpuE3ELNS1_3repE0EEENS1_59segmented_radix_sort_warp_sort_small_config_static_selectorELNS0_4arch9wavefront6targetE0EEEvSK_.numbered_sgpr, 0
	.set _ZN7rocprim17ROCPRIM_400000_NS6detail17trampoline_kernelINS0_14default_configENS1_36segmented_radix_sort_config_selectorIhlEEZNS1_25segmented_radix_sort_implIS3_Lb0EPKhPhPKlPlN2at6native12_GLOBAL__N_18offset_tEEE10hipError_tPvRmT1_PNSt15iterator_traitsISK_E10value_typeET2_T3_PNSL_ISQ_E10value_typeET4_jRbjT5_SW_jjP12ihipStream_tbEUlT_E1_NS1_11comp_targetILNS1_3genE9ELNS1_11target_archE1100ELNS1_3gpuE3ELNS1_3repE0EEENS1_59segmented_radix_sort_warp_sort_small_config_static_selectorELNS0_4arch9wavefront6targetE0EEEvSK_.num_named_barrier, 0
	.set _ZN7rocprim17ROCPRIM_400000_NS6detail17trampoline_kernelINS0_14default_configENS1_36segmented_radix_sort_config_selectorIhlEEZNS1_25segmented_radix_sort_implIS3_Lb0EPKhPhPKlPlN2at6native12_GLOBAL__N_18offset_tEEE10hipError_tPvRmT1_PNSt15iterator_traitsISK_E10value_typeET2_T3_PNSL_ISQ_E10value_typeET4_jRbjT5_SW_jjP12ihipStream_tbEUlT_E1_NS1_11comp_targetILNS1_3genE9ELNS1_11target_archE1100ELNS1_3gpuE3ELNS1_3repE0EEENS1_59segmented_radix_sort_warp_sort_small_config_static_selectorELNS0_4arch9wavefront6targetE0EEEvSK_.private_seg_size, 0
	.set _ZN7rocprim17ROCPRIM_400000_NS6detail17trampoline_kernelINS0_14default_configENS1_36segmented_radix_sort_config_selectorIhlEEZNS1_25segmented_radix_sort_implIS3_Lb0EPKhPhPKlPlN2at6native12_GLOBAL__N_18offset_tEEE10hipError_tPvRmT1_PNSt15iterator_traitsISK_E10value_typeET2_T3_PNSL_ISQ_E10value_typeET4_jRbjT5_SW_jjP12ihipStream_tbEUlT_E1_NS1_11comp_targetILNS1_3genE9ELNS1_11target_archE1100ELNS1_3gpuE3ELNS1_3repE0EEENS1_59segmented_radix_sort_warp_sort_small_config_static_selectorELNS0_4arch9wavefront6targetE0EEEvSK_.uses_vcc, 0
	.set _ZN7rocprim17ROCPRIM_400000_NS6detail17trampoline_kernelINS0_14default_configENS1_36segmented_radix_sort_config_selectorIhlEEZNS1_25segmented_radix_sort_implIS3_Lb0EPKhPhPKlPlN2at6native12_GLOBAL__N_18offset_tEEE10hipError_tPvRmT1_PNSt15iterator_traitsISK_E10value_typeET2_T3_PNSL_ISQ_E10value_typeET4_jRbjT5_SW_jjP12ihipStream_tbEUlT_E1_NS1_11comp_targetILNS1_3genE9ELNS1_11target_archE1100ELNS1_3gpuE3ELNS1_3repE0EEENS1_59segmented_radix_sort_warp_sort_small_config_static_selectorELNS0_4arch9wavefront6targetE0EEEvSK_.uses_flat_scratch, 0
	.set _ZN7rocprim17ROCPRIM_400000_NS6detail17trampoline_kernelINS0_14default_configENS1_36segmented_radix_sort_config_selectorIhlEEZNS1_25segmented_radix_sort_implIS3_Lb0EPKhPhPKlPlN2at6native12_GLOBAL__N_18offset_tEEE10hipError_tPvRmT1_PNSt15iterator_traitsISK_E10value_typeET2_T3_PNSL_ISQ_E10value_typeET4_jRbjT5_SW_jjP12ihipStream_tbEUlT_E1_NS1_11comp_targetILNS1_3genE9ELNS1_11target_archE1100ELNS1_3gpuE3ELNS1_3repE0EEENS1_59segmented_radix_sort_warp_sort_small_config_static_selectorELNS0_4arch9wavefront6targetE0EEEvSK_.has_dyn_sized_stack, 0
	.set _ZN7rocprim17ROCPRIM_400000_NS6detail17trampoline_kernelINS0_14default_configENS1_36segmented_radix_sort_config_selectorIhlEEZNS1_25segmented_radix_sort_implIS3_Lb0EPKhPhPKlPlN2at6native12_GLOBAL__N_18offset_tEEE10hipError_tPvRmT1_PNSt15iterator_traitsISK_E10value_typeET2_T3_PNSL_ISQ_E10value_typeET4_jRbjT5_SW_jjP12ihipStream_tbEUlT_E1_NS1_11comp_targetILNS1_3genE9ELNS1_11target_archE1100ELNS1_3gpuE3ELNS1_3repE0EEENS1_59segmented_radix_sort_warp_sort_small_config_static_selectorELNS0_4arch9wavefront6targetE0EEEvSK_.has_recursion, 0
	.set _ZN7rocprim17ROCPRIM_400000_NS6detail17trampoline_kernelINS0_14default_configENS1_36segmented_radix_sort_config_selectorIhlEEZNS1_25segmented_radix_sort_implIS3_Lb0EPKhPhPKlPlN2at6native12_GLOBAL__N_18offset_tEEE10hipError_tPvRmT1_PNSt15iterator_traitsISK_E10value_typeET2_T3_PNSL_ISQ_E10value_typeET4_jRbjT5_SW_jjP12ihipStream_tbEUlT_E1_NS1_11comp_targetILNS1_3genE9ELNS1_11target_archE1100ELNS1_3gpuE3ELNS1_3repE0EEENS1_59segmented_radix_sort_warp_sort_small_config_static_selectorELNS0_4arch9wavefront6targetE0EEEvSK_.has_indirect_call, 0
	.section	.AMDGPU.csdata,"",@progbits
; Kernel info:
; codeLenInByte = 0
; TotalNumSgprs: 0
; NumVgprs: 0
; ScratchSize: 0
; MemoryBound: 0
; FloatMode: 240
; IeeeMode: 1
; LDSByteSize: 0 bytes/workgroup (compile time only)
; SGPRBlocks: 0
; VGPRBlocks: 0
; NumSGPRsForWavesPerEU: 1
; NumVGPRsForWavesPerEU: 1
; NamedBarCnt: 0
; Occupancy: 16
; WaveLimiterHint : 0
; COMPUTE_PGM_RSRC2:SCRATCH_EN: 0
; COMPUTE_PGM_RSRC2:USER_SGPR: 2
; COMPUTE_PGM_RSRC2:TRAP_HANDLER: 0
; COMPUTE_PGM_RSRC2:TGID_X_EN: 1
; COMPUTE_PGM_RSRC2:TGID_Y_EN: 0
; COMPUTE_PGM_RSRC2:TGID_Z_EN: 0
; COMPUTE_PGM_RSRC2:TIDIG_COMP_CNT: 0
	.section	.text._ZN7rocprim17ROCPRIM_400000_NS6detail17trampoline_kernelINS0_14default_configENS1_36segmented_radix_sort_config_selectorIhlEEZNS1_25segmented_radix_sort_implIS3_Lb0EPKhPhPKlPlN2at6native12_GLOBAL__N_18offset_tEEE10hipError_tPvRmT1_PNSt15iterator_traitsISK_E10value_typeET2_T3_PNSL_ISQ_E10value_typeET4_jRbjT5_SW_jjP12ihipStream_tbEUlT_E1_NS1_11comp_targetILNS1_3genE8ELNS1_11target_archE1030ELNS1_3gpuE2ELNS1_3repE0EEENS1_59segmented_radix_sort_warp_sort_small_config_static_selectorELNS0_4arch9wavefront6targetE0EEEvSK_,"axG",@progbits,_ZN7rocprim17ROCPRIM_400000_NS6detail17trampoline_kernelINS0_14default_configENS1_36segmented_radix_sort_config_selectorIhlEEZNS1_25segmented_radix_sort_implIS3_Lb0EPKhPhPKlPlN2at6native12_GLOBAL__N_18offset_tEEE10hipError_tPvRmT1_PNSt15iterator_traitsISK_E10value_typeET2_T3_PNSL_ISQ_E10value_typeET4_jRbjT5_SW_jjP12ihipStream_tbEUlT_E1_NS1_11comp_targetILNS1_3genE8ELNS1_11target_archE1030ELNS1_3gpuE2ELNS1_3repE0EEENS1_59segmented_radix_sort_warp_sort_small_config_static_selectorELNS0_4arch9wavefront6targetE0EEEvSK_,comdat
	.globl	_ZN7rocprim17ROCPRIM_400000_NS6detail17trampoline_kernelINS0_14default_configENS1_36segmented_radix_sort_config_selectorIhlEEZNS1_25segmented_radix_sort_implIS3_Lb0EPKhPhPKlPlN2at6native12_GLOBAL__N_18offset_tEEE10hipError_tPvRmT1_PNSt15iterator_traitsISK_E10value_typeET2_T3_PNSL_ISQ_E10value_typeET4_jRbjT5_SW_jjP12ihipStream_tbEUlT_E1_NS1_11comp_targetILNS1_3genE8ELNS1_11target_archE1030ELNS1_3gpuE2ELNS1_3repE0EEENS1_59segmented_radix_sort_warp_sort_small_config_static_selectorELNS0_4arch9wavefront6targetE0EEEvSK_ ; -- Begin function _ZN7rocprim17ROCPRIM_400000_NS6detail17trampoline_kernelINS0_14default_configENS1_36segmented_radix_sort_config_selectorIhlEEZNS1_25segmented_radix_sort_implIS3_Lb0EPKhPhPKlPlN2at6native12_GLOBAL__N_18offset_tEEE10hipError_tPvRmT1_PNSt15iterator_traitsISK_E10value_typeET2_T3_PNSL_ISQ_E10value_typeET4_jRbjT5_SW_jjP12ihipStream_tbEUlT_E1_NS1_11comp_targetILNS1_3genE8ELNS1_11target_archE1030ELNS1_3gpuE2ELNS1_3repE0EEENS1_59segmented_radix_sort_warp_sort_small_config_static_selectorELNS0_4arch9wavefront6targetE0EEEvSK_
	.p2align	8
	.type	_ZN7rocprim17ROCPRIM_400000_NS6detail17trampoline_kernelINS0_14default_configENS1_36segmented_radix_sort_config_selectorIhlEEZNS1_25segmented_radix_sort_implIS3_Lb0EPKhPhPKlPlN2at6native12_GLOBAL__N_18offset_tEEE10hipError_tPvRmT1_PNSt15iterator_traitsISK_E10value_typeET2_T3_PNSL_ISQ_E10value_typeET4_jRbjT5_SW_jjP12ihipStream_tbEUlT_E1_NS1_11comp_targetILNS1_3genE8ELNS1_11target_archE1030ELNS1_3gpuE2ELNS1_3repE0EEENS1_59segmented_radix_sort_warp_sort_small_config_static_selectorELNS0_4arch9wavefront6targetE0EEEvSK_,@function
_ZN7rocprim17ROCPRIM_400000_NS6detail17trampoline_kernelINS0_14default_configENS1_36segmented_radix_sort_config_selectorIhlEEZNS1_25segmented_radix_sort_implIS3_Lb0EPKhPhPKlPlN2at6native12_GLOBAL__N_18offset_tEEE10hipError_tPvRmT1_PNSt15iterator_traitsISK_E10value_typeET2_T3_PNSL_ISQ_E10value_typeET4_jRbjT5_SW_jjP12ihipStream_tbEUlT_E1_NS1_11comp_targetILNS1_3genE8ELNS1_11target_archE1030ELNS1_3gpuE2ELNS1_3repE0EEENS1_59segmented_radix_sort_warp_sort_small_config_static_selectorELNS0_4arch9wavefront6targetE0EEEvSK_: ; @_ZN7rocprim17ROCPRIM_400000_NS6detail17trampoline_kernelINS0_14default_configENS1_36segmented_radix_sort_config_selectorIhlEEZNS1_25segmented_radix_sort_implIS3_Lb0EPKhPhPKlPlN2at6native12_GLOBAL__N_18offset_tEEE10hipError_tPvRmT1_PNSt15iterator_traitsISK_E10value_typeET2_T3_PNSL_ISQ_E10value_typeET4_jRbjT5_SW_jjP12ihipStream_tbEUlT_E1_NS1_11comp_targetILNS1_3genE8ELNS1_11target_archE1030ELNS1_3gpuE2ELNS1_3repE0EEENS1_59segmented_radix_sort_warp_sort_small_config_static_selectorELNS0_4arch9wavefront6targetE0EEEvSK_
; %bb.0:
	.section	.rodata,"a",@progbits
	.p2align	6, 0x0
	.amdhsa_kernel _ZN7rocprim17ROCPRIM_400000_NS6detail17trampoline_kernelINS0_14default_configENS1_36segmented_radix_sort_config_selectorIhlEEZNS1_25segmented_radix_sort_implIS3_Lb0EPKhPhPKlPlN2at6native12_GLOBAL__N_18offset_tEEE10hipError_tPvRmT1_PNSt15iterator_traitsISK_E10value_typeET2_T3_PNSL_ISQ_E10value_typeET4_jRbjT5_SW_jjP12ihipStream_tbEUlT_E1_NS1_11comp_targetILNS1_3genE8ELNS1_11target_archE1030ELNS1_3gpuE2ELNS1_3repE0EEENS1_59segmented_radix_sort_warp_sort_small_config_static_selectorELNS0_4arch9wavefront6targetE0EEEvSK_
		.amdhsa_group_segment_fixed_size 0
		.amdhsa_private_segment_fixed_size 0
		.amdhsa_kernarg_size 88
		.amdhsa_user_sgpr_count 2
		.amdhsa_user_sgpr_dispatch_ptr 0
		.amdhsa_user_sgpr_queue_ptr 0
		.amdhsa_user_sgpr_kernarg_segment_ptr 1
		.amdhsa_user_sgpr_dispatch_id 0
		.amdhsa_user_sgpr_kernarg_preload_length 0
		.amdhsa_user_sgpr_kernarg_preload_offset 0
		.amdhsa_user_sgpr_private_segment_size 0
		.amdhsa_wavefront_size32 1
		.amdhsa_uses_dynamic_stack 0
		.amdhsa_enable_private_segment 0
		.amdhsa_system_sgpr_workgroup_id_x 1
		.amdhsa_system_sgpr_workgroup_id_y 0
		.amdhsa_system_sgpr_workgroup_id_z 0
		.amdhsa_system_sgpr_workgroup_info 0
		.amdhsa_system_vgpr_workitem_id 0
		.amdhsa_next_free_vgpr 1
		.amdhsa_next_free_sgpr 1
		.amdhsa_named_barrier_count 0
		.amdhsa_reserve_vcc 0
		.amdhsa_float_round_mode_32 0
		.amdhsa_float_round_mode_16_64 0
		.amdhsa_float_denorm_mode_32 3
		.amdhsa_float_denorm_mode_16_64 3
		.amdhsa_fp16_overflow 0
		.amdhsa_memory_ordered 1
		.amdhsa_forward_progress 1
		.amdhsa_inst_pref_size 0
		.amdhsa_round_robin_scheduling 0
		.amdhsa_exception_fp_ieee_invalid_op 0
		.amdhsa_exception_fp_denorm_src 0
		.amdhsa_exception_fp_ieee_div_zero 0
		.amdhsa_exception_fp_ieee_overflow 0
		.amdhsa_exception_fp_ieee_underflow 0
		.amdhsa_exception_fp_ieee_inexact 0
		.amdhsa_exception_int_div_zero 0
	.end_amdhsa_kernel
	.section	.text._ZN7rocprim17ROCPRIM_400000_NS6detail17trampoline_kernelINS0_14default_configENS1_36segmented_radix_sort_config_selectorIhlEEZNS1_25segmented_radix_sort_implIS3_Lb0EPKhPhPKlPlN2at6native12_GLOBAL__N_18offset_tEEE10hipError_tPvRmT1_PNSt15iterator_traitsISK_E10value_typeET2_T3_PNSL_ISQ_E10value_typeET4_jRbjT5_SW_jjP12ihipStream_tbEUlT_E1_NS1_11comp_targetILNS1_3genE8ELNS1_11target_archE1030ELNS1_3gpuE2ELNS1_3repE0EEENS1_59segmented_radix_sort_warp_sort_small_config_static_selectorELNS0_4arch9wavefront6targetE0EEEvSK_,"axG",@progbits,_ZN7rocprim17ROCPRIM_400000_NS6detail17trampoline_kernelINS0_14default_configENS1_36segmented_radix_sort_config_selectorIhlEEZNS1_25segmented_radix_sort_implIS3_Lb0EPKhPhPKlPlN2at6native12_GLOBAL__N_18offset_tEEE10hipError_tPvRmT1_PNSt15iterator_traitsISK_E10value_typeET2_T3_PNSL_ISQ_E10value_typeET4_jRbjT5_SW_jjP12ihipStream_tbEUlT_E1_NS1_11comp_targetILNS1_3genE8ELNS1_11target_archE1030ELNS1_3gpuE2ELNS1_3repE0EEENS1_59segmented_radix_sort_warp_sort_small_config_static_selectorELNS0_4arch9wavefront6targetE0EEEvSK_,comdat
.Lfunc_end213:
	.size	_ZN7rocprim17ROCPRIM_400000_NS6detail17trampoline_kernelINS0_14default_configENS1_36segmented_radix_sort_config_selectorIhlEEZNS1_25segmented_radix_sort_implIS3_Lb0EPKhPhPKlPlN2at6native12_GLOBAL__N_18offset_tEEE10hipError_tPvRmT1_PNSt15iterator_traitsISK_E10value_typeET2_T3_PNSL_ISQ_E10value_typeET4_jRbjT5_SW_jjP12ihipStream_tbEUlT_E1_NS1_11comp_targetILNS1_3genE8ELNS1_11target_archE1030ELNS1_3gpuE2ELNS1_3repE0EEENS1_59segmented_radix_sort_warp_sort_small_config_static_selectorELNS0_4arch9wavefront6targetE0EEEvSK_, .Lfunc_end213-_ZN7rocprim17ROCPRIM_400000_NS6detail17trampoline_kernelINS0_14default_configENS1_36segmented_radix_sort_config_selectorIhlEEZNS1_25segmented_radix_sort_implIS3_Lb0EPKhPhPKlPlN2at6native12_GLOBAL__N_18offset_tEEE10hipError_tPvRmT1_PNSt15iterator_traitsISK_E10value_typeET2_T3_PNSL_ISQ_E10value_typeET4_jRbjT5_SW_jjP12ihipStream_tbEUlT_E1_NS1_11comp_targetILNS1_3genE8ELNS1_11target_archE1030ELNS1_3gpuE2ELNS1_3repE0EEENS1_59segmented_radix_sort_warp_sort_small_config_static_selectorELNS0_4arch9wavefront6targetE0EEEvSK_
                                        ; -- End function
	.set _ZN7rocprim17ROCPRIM_400000_NS6detail17trampoline_kernelINS0_14default_configENS1_36segmented_radix_sort_config_selectorIhlEEZNS1_25segmented_radix_sort_implIS3_Lb0EPKhPhPKlPlN2at6native12_GLOBAL__N_18offset_tEEE10hipError_tPvRmT1_PNSt15iterator_traitsISK_E10value_typeET2_T3_PNSL_ISQ_E10value_typeET4_jRbjT5_SW_jjP12ihipStream_tbEUlT_E1_NS1_11comp_targetILNS1_3genE8ELNS1_11target_archE1030ELNS1_3gpuE2ELNS1_3repE0EEENS1_59segmented_radix_sort_warp_sort_small_config_static_selectorELNS0_4arch9wavefront6targetE0EEEvSK_.num_vgpr, 0
	.set _ZN7rocprim17ROCPRIM_400000_NS6detail17trampoline_kernelINS0_14default_configENS1_36segmented_radix_sort_config_selectorIhlEEZNS1_25segmented_radix_sort_implIS3_Lb0EPKhPhPKlPlN2at6native12_GLOBAL__N_18offset_tEEE10hipError_tPvRmT1_PNSt15iterator_traitsISK_E10value_typeET2_T3_PNSL_ISQ_E10value_typeET4_jRbjT5_SW_jjP12ihipStream_tbEUlT_E1_NS1_11comp_targetILNS1_3genE8ELNS1_11target_archE1030ELNS1_3gpuE2ELNS1_3repE0EEENS1_59segmented_radix_sort_warp_sort_small_config_static_selectorELNS0_4arch9wavefront6targetE0EEEvSK_.num_agpr, 0
	.set _ZN7rocprim17ROCPRIM_400000_NS6detail17trampoline_kernelINS0_14default_configENS1_36segmented_radix_sort_config_selectorIhlEEZNS1_25segmented_radix_sort_implIS3_Lb0EPKhPhPKlPlN2at6native12_GLOBAL__N_18offset_tEEE10hipError_tPvRmT1_PNSt15iterator_traitsISK_E10value_typeET2_T3_PNSL_ISQ_E10value_typeET4_jRbjT5_SW_jjP12ihipStream_tbEUlT_E1_NS1_11comp_targetILNS1_3genE8ELNS1_11target_archE1030ELNS1_3gpuE2ELNS1_3repE0EEENS1_59segmented_radix_sort_warp_sort_small_config_static_selectorELNS0_4arch9wavefront6targetE0EEEvSK_.numbered_sgpr, 0
	.set _ZN7rocprim17ROCPRIM_400000_NS6detail17trampoline_kernelINS0_14default_configENS1_36segmented_radix_sort_config_selectorIhlEEZNS1_25segmented_radix_sort_implIS3_Lb0EPKhPhPKlPlN2at6native12_GLOBAL__N_18offset_tEEE10hipError_tPvRmT1_PNSt15iterator_traitsISK_E10value_typeET2_T3_PNSL_ISQ_E10value_typeET4_jRbjT5_SW_jjP12ihipStream_tbEUlT_E1_NS1_11comp_targetILNS1_3genE8ELNS1_11target_archE1030ELNS1_3gpuE2ELNS1_3repE0EEENS1_59segmented_radix_sort_warp_sort_small_config_static_selectorELNS0_4arch9wavefront6targetE0EEEvSK_.num_named_barrier, 0
	.set _ZN7rocprim17ROCPRIM_400000_NS6detail17trampoline_kernelINS0_14default_configENS1_36segmented_radix_sort_config_selectorIhlEEZNS1_25segmented_radix_sort_implIS3_Lb0EPKhPhPKlPlN2at6native12_GLOBAL__N_18offset_tEEE10hipError_tPvRmT1_PNSt15iterator_traitsISK_E10value_typeET2_T3_PNSL_ISQ_E10value_typeET4_jRbjT5_SW_jjP12ihipStream_tbEUlT_E1_NS1_11comp_targetILNS1_3genE8ELNS1_11target_archE1030ELNS1_3gpuE2ELNS1_3repE0EEENS1_59segmented_radix_sort_warp_sort_small_config_static_selectorELNS0_4arch9wavefront6targetE0EEEvSK_.private_seg_size, 0
	.set _ZN7rocprim17ROCPRIM_400000_NS6detail17trampoline_kernelINS0_14default_configENS1_36segmented_radix_sort_config_selectorIhlEEZNS1_25segmented_radix_sort_implIS3_Lb0EPKhPhPKlPlN2at6native12_GLOBAL__N_18offset_tEEE10hipError_tPvRmT1_PNSt15iterator_traitsISK_E10value_typeET2_T3_PNSL_ISQ_E10value_typeET4_jRbjT5_SW_jjP12ihipStream_tbEUlT_E1_NS1_11comp_targetILNS1_3genE8ELNS1_11target_archE1030ELNS1_3gpuE2ELNS1_3repE0EEENS1_59segmented_radix_sort_warp_sort_small_config_static_selectorELNS0_4arch9wavefront6targetE0EEEvSK_.uses_vcc, 0
	.set _ZN7rocprim17ROCPRIM_400000_NS6detail17trampoline_kernelINS0_14default_configENS1_36segmented_radix_sort_config_selectorIhlEEZNS1_25segmented_radix_sort_implIS3_Lb0EPKhPhPKlPlN2at6native12_GLOBAL__N_18offset_tEEE10hipError_tPvRmT1_PNSt15iterator_traitsISK_E10value_typeET2_T3_PNSL_ISQ_E10value_typeET4_jRbjT5_SW_jjP12ihipStream_tbEUlT_E1_NS1_11comp_targetILNS1_3genE8ELNS1_11target_archE1030ELNS1_3gpuE2ELNS1_3repE0EEENS1_59segmented_radix_sort_warp_sort_small_config_static_selectorELNS0_4arch9wavefront6targetE0EEEvSK_.uses_flat_scratch, 0
	.set _ZN7rocprim17ROCPRIM_400000_NS6detail17trampoline_kernelINS0_14default_configENS1_36segmented_radix_sort_config_selectorIhlEEZNS1_25segmented_radix_sort_implIS3_Lb0EPKhPhPKlPlN2at6native12_GLOBAL__N_18offset_tEEE10hipError_tPvRmT1_PNSt15iterator_traitsISK_E10value_typeET2_T3_PNSL_ISQ_E10value_typeET4_jRbjT5_SW_jjP12ihipStream_tbEUlT_E1_NS1_11comp_targetILNS1_3genE8ELNS1_11target_archE1030ELNS1_3gpuE2ELNS1_3repE0EEENS1_59segmented_radix_sort_warp_sort_small_config_static_selectorELNS0_4arch9wavefront6targetE0EEEvSK_.has_dyn_sized_stack, 0
	.set _ZN7rocprim17ROCPRIM_400000_NS6detail17trampoline_kernelINS0_14default_configENS1_36segmented_radix_sort_config_selectorIhlEEZNS1_25segmented_radix_sort_implIS3_Lb0EPKhPhPKlPlN2at6native12_GLOBAL__N_18offset_tEEE10hipError_tPvRmT1_PNSt15iterator_traitsISK_E10value_typeET2_T3_PNSL_ISQ_E10value_typeET4_jRbjT5_SW_jjP12ihipStream_tbEUlT_E1_NS1_11comp_targetILNS1_3genE8ELNS1_11target_archE1030ELNS1_3gpuE2ELNS1_3repE0EEENS1_59segmented_radix_sort_warp_sort_small_config_static_selectorELNS0_4arch9wavefront6targetE0EEEvSK_.has_recursion, 0
	.set _ZN7rocprim17ROCPRIM_400000_NS6detail17trampoline_kernelINS0_14default_configENS1_36segmented_radix_sort_config_selectorIhlEEZNS1_25segmented_radix_sort_implIS3_Lb0EPKhPhPKlPlN2at6native12_GLOBAL__N_18offset_tEEE10hipError_tPvRmT1_PNSt15iterator_traitsISK_E10value_typeET2_T3_PNSL_ISQ_E10value_typeET4_jRbjT5_SW_jjP12ihipStream_tbEUlT_E1_NS1_11comp_targetILNS1_3genE8ELNS1_11target_archE1030ELNS1_3gpuE2ELNS1_3repE0EEENS1_59segmented_radix_sort_warp_sort_small_config_static_selectorELNS0_4arch9wavefront6targetE0EEEvSK_.has_indirect_call, 0
	.section	.AMDGPU.csdata,"",@progbits
; Kernel info:
; codeLenInByte = 0
; TotalNumSgprs: 0
; NumVgprs: 0
; ScratchSize: 0
; MemoryBound: 0
; FloatMode: 240
; IeeeMode: 1
; LDSByteSize: 0 bytes/workgroup (compile time only)
; SGPRBlocks: 0
; VGPRBlocks: 0
; NumSGPRsForWavesPerEU: 1
; NumVGPRsForWavesPerEU: 1
; NamedBarCnt: 0
; Occupancy: 16
; WaveLimiterHint : 0
; COMPUTE_PGM_RSRC2:SCRATCH_EN: 0
; COMPUTE_PGM_RSRC2:USER_SGPR: 2
; COMPUTE_PGM_RSRC2:TRAP_HANDLER: 0
; COMPUTE_PGM_RSRC2:TGID_X_EN: 1
; COMPUTE_PGM_RSRC2:TGID_Y_EN: 0
; COMPUTE_PGM_RSRC2:TGID_Z_EN: 0
; COMPUTE_PGM_RSRC2:TIDIG_COMP_CNT: 0
	.section	.text._ZN7rocprim17ROCPRIM_400000_NS6detail17trampoline_kernelINS0_14default_configENS1_36segmented_radix_sort_config_selectorIhlEEZNS1_25segmented_radix_sort_implIS3_Lb0EPKhPhPKlPlN2at6native12_GLOBAL__N_18offset_tEEE10hipError_tPvRmT1_PNSt15iterator_traitsISK_E10value_typeET2_T3_PNSL_ISQ_E10value_typeET4_jRbjT5_SW_jjP12ihipStream_tbEUlT_E2_NS1_11comp_targetILNS1_3genE0ELNS1_11target_archE4294967295ELNS1_3gpuE0ELNS1_3repE0EEENS1_30default_config_static_selectorELNS0_4arch9wavefront6targetE0EEEvSK_,"axG",@progbits,_ZN7rocprim17ROCPRIM_400000_NS6detail17trampoline_kernelINS0_14default_configENS1_36segmented_radix_sort_config_selectorIhlEEZNS1_25segmented_radix_sort_implIS3_Lb0EPKhPhPKlPlN2at6native12_GLOBAL__N_18offset_tEEE10hipError_tPvRmT1_PNSt15iterator_traitsISK_E10value_typeET2_T3_PNSL_ISQ_E10value_typeET4_jRbjT5_SW_jjP12ihipStream_tbEUlT_E2_NS1_11comp_targetILNS1_3genE0ELNS1_11target_archE4294967295ELNS1_3gpuE0ELNS1_3repE0EEENS1_30default_config_static_selectorELNS0_4arch9wavefront6targetE0EEEvSK_,comdat
	.globl	_ZN7rocprim17ROCPRIM_400000_NS6detail17trampoline_kernelINS0_14default_configENS1_36segmented_radix_sort_config_selectorIhlEEZNS1_25segmented_radix_sort_implIS3_Lb0EPKhPhPKlPlN2at6native12_GLOBAL__N_18offset_tEEE10hipError_tPvRmT1_PNSt15iterator_traitsISK_E10value_typeET2_T3_PNSL_ISQ_E10value_typeET4_jRbjT5_SW_jjP12ihipStream_tbEUlT_E2_NS1_11comp_targetILNS1_3genE0ELNS1_11target_archE4294967295ELNS1_3gpuE0ELNS1_3repE0EEENS1_30default_config_static_selectorELNS0_4arch9wavefront6targetE0EEEvSK_ ; -- Begin function _ZN7rocprim17ROCPRIM_400000_NS6detail17trampoline_kernelINS0_14default_configENS1_36segmented_radix_sort_config_selectorIhlEEZNS1_25segmented_radix_sort_implIS3_Lb0EPKhPhPKlPlN2at6native12_GLOBAL__N_18offset_tEEE10hipError_tPvRmT1_PNSt15iterator_traitsISK_E10value_typeET2_T3_PNSL_ISQ_E10value_typeET4_jRbjT5_SW_jjP12ihipStream_tbEUlT_E2_NS1_11comp_targetILNS1_3genE0ELNS1_11target_archE4294967295ELNS1_3gpuE0ELNS1_3repE0EEENS1_30default_config_static_selectorELNS0_4arch9wavefront6targetE0EEEvSK_
	.p2align	8
	.type	_ZN7rocprim17ROCPRIM_400000_NS6detail17trampoline_kernelINS0_14default_configENS1_36segmented_radix_sort_config_selectorIhlEEZNS1_25segmented_radix_sort_implIS3_Lb0EPKhPhPKlPlN2at6native12_GLOBAL__N_18offset_tEEE10hipError_tPvRmT1_PNSt15iterator_traitsISK_E10value_typeET2_T3_PNSL_ISQ_E10value_typeET4_jRbjT5_SW_jjP12ihipStream_tbEUlT_E2_NS1_11comp_targetILNS1_3genE0ELNS1_11target_archE4294967295ELNS1_3gpuE0ELNS1_3repE0EEENS1_30default_config_static_selectorELNS0_4arch9wavefront6targetE0EEEvSK_,@function
_ZN7rocprim17ROCPRIM_400000_NS6detail17trampoline_kernelINS0_14default_configENS1_36segmented_radix_sort_config_selectorIhlEEZNS1_25segmented_radix_sort_implIS3_Lb0EPKhPhPKlPlN2at6native12_GLOBAL__N_18offset_tEEE10hipError_tPvRmT1_PNSt15iterator_traitsISK_E10value_typeET2_T3_PNSL_ISQ_E10value_typeET4_jRbjT5_SW_jjP12ihipStream_tbEUlT_E2_NS1_11comp_targetILNS1_3genE0ELNS1_11target_archE4294967295ELNS1_3gpuE0ELNS1_3repE0EEENS1_30default_config_static_selectorELNS0_4arch9wavefront6targetE0EEEvSK_: ; @_ZN7rocprim17ROCPRIM_400000_NS6detail17trampoline_kernelINS0_14default_configENS1_36segmented_radix_sort_config_selectorIhlEEZNS1_25segmented_radix_sort_implIS3_Lb0EPKhPhPKlPlN2at6native12_GLOBAL__N_18offset_tEEE10hipError_tPvRmT1_PNSt15iterator_traitsISK_E10value_typeET2_T3_PNSL_ISQ_E10value_typeET4_jRbjT5_SW_jjP12ihipStream_tbEUlT_E2_NS1_11comp_targetILNS1_3genE0ELNS1_11target_archE4294967295ELNS1_3gpuE0ELNS1_3repE0EEENS1_30default_config_static_selectorELNS0_4arch9wavefront6targetE0EEEvSK_
; %bb.0:
	s_load_b128 s[4:7], s[2:3], 0x34
	s_bfe_u32 s8, ttmp6, 0x4000c
	s_and_b32 s9, ttmp6, 15
	s_add_co_i32 s8, s8, 1
	s_getreg_b32 s25, hwreg(HW_REG_IB_STS2, 6, 4)
	s_mul_i32 s8, ttmp9, s8
	s_mov_b32 s32, 0
	s_add_co_i32 s9, s9, s8
	s_cmp_eq_u32 s25, 0
	s_cselect_b32 s51, ttmp9, s9
	s_wait_kmcnt 0x0
	s_add_co_i32 s54, s7, s51
	s_add_co_i32 s55, s5, s51
	s_mul_i32 s54, s54, s6
	s_mul_i32 s55, s55, s4
	s_delay_alu instid0(SALU_CYCLE_1)
	s_cmp_le_u32 s54, s55
	s_cbranch_scc1 .LBB214_1262
; %bb.1:
	s_clause 0x3
	s_load_b32 s4, s[2:3], 0x30
	s_load_b128 s[44:47], s[2:3], 0x20
	s_load_b96 s[48:50], s[2:3], 0x44
	s_load_b256 s[36:43], s[2:3], 0x0
	s_wait_kmcnt 0x0
	s_bitcmp1_b32 s4, 0
	s_mov_b32 s4, -1
	s_cselect_b32 s56, -1, 0
	s_sub_co_i32 s57, s54, s55
	s_delay_alu instid0(SALU_CYCLE_1)
	s_cmp_lt_u32 s57, 0x1101
	s_cbranch_scc0 .LBB214_15
; %bb.2:
	s_cmp_lt_u32 s57, 0x81
	s_cbranch_scc0 .LBB214_9
; %bb.3:
	s_load_b32 s4, s[2:3], 0x5c
	v_bfe_u32 v1, v0, 10, 10
	v_bfe_u32 v2, v0, 20, 10
	s_mov_b32 s15, exec_lo
	s_wait_kmcnt 0x0
	s_lshr_b32 s5, s4, 16
	s_and_b32 s4, s4, 0xffff
	v_mad_u32_u24 v1, v2, s5, v1
	v_and_b32_e32 v2, 0x3ff, v0
	s_delay_alu instid0(VALU_DEP_1) | instskip(NEXT) | instid1(VALU_DEP_1)
	v_mad_u32 v1, v1, s4, v2
	v_cmpx_gt_u32_e32 32, v1
	s_cbranch_execz .LBB214_8
; %bb.4:
	v_cndmask_b32_e64 v1, 0, 1, s56
	s_and_b32 s4, s48, 1
	s_get_pc_i64 s[16:17]
	s_add_nc_u64 s[16:17], s[16:17], _ZN7rocprim17ROCPRIM_400000_NS6detail26segmented_warp_sort_helperINS1_20WarpSortHelperConfigILj32ELj4ELj256EEEhlLi256ELb0EvE4sortIPKhPhPKlPlEEvT_T0_T1_T2_jjjjRNS5_12storage_typeE@rel64+4
	s_delay_alu instid0(VALU_DEP_1)
	v_cmp_ne_u32_e32 vcc_lo, s4, v1
	s_mov_b32 s4, -1
	s_cbranch_vccnz .LBB214_6
; %bb.5:
	s_mov_b64 s[4:5], src_shared_base
	v_dual_mov_b32 v31, v0 :: v_dual_mov_b32 v40, v0
	v_dual_mov_b32 v0, s36 :: v_dual_mov_b32 v1, s37
	;; [unrolled: 1-line block ×8, first 2 shown]
	s_add_nc_u64 s[8:9], s[2:3], 0x50
	s_mov_b64 s[6:7], s[0:1]
	s_mov_b64 s[18:19], s[2:3]
	s_mov_b64 s[20:21], s[0:1]
	s_swap_pc_i64 s[30:31], s[16:17]
	v_mov_b32_e32 v0, v40
	s_mov_b64 s[0:1], s[20:21]
	s_mov_b64 s[2:3], s[18:19]
	s_mov_b32 s4, 0
.LBB214_6:
	s_delay_alu instid0(SALU_CYCLE_1)
	s_and_not1_b32 vcc_lo, exec_lo, s4
	s_cbranch_vccnz .LBB214_8
; %bb.7:
	s_mov_b64 s[4:5], src_shared_base
	v_dual_mov_b32 v31, v0 :: v_dual_mov_b32 v40, v0
	v_dual_mov_b32 v0, s36 :: v_dual_mov_b32 v1, s37
	;; [unrolled: 1-line block ×8, first 2 shown]
	s_add_nc_u64 s[8:9], s[2:3], 0x50
	s_mov_b64 s[6:7], s[0:1]
	s_mov_b64 s[18:19], s[2:3]
	;; [unrolled: 1-line block ×3, first 2 shown]
	s_swap_pc_i64 s[30:31], s[16:17]
	v_mov_b32_e32 v0, v40
	s_mov_b64 s[0:1], s[20:21]
	s_mov_b64 s[2:3], s[18:19]
.LBB214_8:
	s_or_b32 exec_lo, exec_lo, s15
	s_mov_b32 s4, 0
.LBB214_9:
	s_delay_alu instid0(SALU_CYCLE_1)
	s_and_not1_b32 vcc_lo, exec_lo, s4
	s_cbranch_vccnz .LBB214_14
; %bb.10:
	v_cndmask_b32_e64 v1, 0, 1, s56
	s_and_b32 s4, s48, 1
	s_get_pc_i64 s[26:27]
	s_add_nc_u64 s[26:27], s[26:27], _ZN7rocprim17ROCPRIM_400000_NS6detail40segmented_radix_sort_single_block_helperIhlLj256ELj17ELb0EE4sortIPKhPhPKlPlEEbT_T0_T1_T2_jjjjRNS3_12storage_typeE@rel64+4
	s_delay_alu instid0(VALU_DEP_1)
	v_cmp_ne_u32_e32 vcc_lo, s4, v1
	s_mov_b32 s4, -1
	s_cbranch_vccnz .LBB214_12
; %bb.11:
	s_mov_b64 s[4:5], src_shared_base
	v_dual_mov_b32 v31, v0 :: v_dual_mov_b32 v40, v0
	v_dual_mov_b32 v0, s36 :: v_dual_mov_b32 v1, s37
	;; [unrolled: 1-line block ×8, first 2 shown]
	s_add_nc_u64 s[8:9], s[2:3], 0x50
	s_mov_b64 s[6:7], s[0:1]
	s_mov_b64 s[28:29], s[2:3]
	;; [unrolled: 1-line block ×3, first 2 shown]
	s_swap_pc_i64 s[30:31], s[26:27]
	v_mov_b32_e32 v0, v40
	s_mov_b64 s[0:1], s[34:35]
	s_mov_b64 s[2:3], s[28:29]
	s_mov_b32 s4, 0
.LBB214_12:
	s_delay_alu instid0(SALU_CYCLE_1)
	s_and_not1_b32 vcc_lo, exec_lo, s4
	s_cbranch_vccnz .LBB214_14
; %bb.13:
	s_mov_b64 s[4:5], src_shared_base
	v_dual_mov_b32 v31, v0 :: v_dual_mov_b32 v40, v0
	v_dual_mov_b32 v0, s36 :: v_dual_mov_b32 v1, s37
	;; [unrolled: 1-line block ×8, first 2 shown]
	s_add_nc_u64 s[8:9], s[2:3], 0x50
	s_mov_b64 s[6:7], s[0:1]
	s_mov_b64 s[28:29], s[2:3]
	s_swap_pc_i64 s[30:31], s[26:27]
	v_mov_b32_e32 v0, v40
	s_mov_b64 s[2:3], s[28:29]
.LBB214_14:
	s_mov_b32 s4, 0
.LBB214_15:
	s_delay_alu instid0(SALU_CYCLE_1)
	s_and_not1_b32 vcc_lo, exec_lo, s4
	s_cbranch_vccnz .LBB214_1262
; %bb.16:
	s_cmp_ge_u32 s49, s50
	s_cbranch_scc1 .LBB214_1262
; %bb.17:
	v_dual_mov_b32 v1, 0 :: v_dual_bitop2_b32 v6, 3, v0 bitop3:0x40
	v_and_b32_e32 v2, 0x3ff, v0
	v_and_b32_e32 v8, 0xe0, v0
	s_bfe_u32 s6, ttmp6, 0x40010
	s_delay_alu instid0(VALU_DEP_3)
	v_mov_b32_e32 v3, v1
	v_bfe_u32 v89, v0, 20, 10
	v_lshlrev_b32_e32 v66, 2, v2
	v_min_u32_e32 v7, 0x60, v8
	v_dual_lshrrev_b32 v9, 3, v0 :: v_dual_lshlrev_b32 v84, 2, v6
	v_mul_u32_u24_e32 v6, 17, v8
	s_delay_alu instid0(VALU_DEP_4) | instskip(NEXT) | instid1(VALU_DEP_4)
	v_mad_u32_u24 v85, v2, 12, v66
	v_or_b32_e32 v7, 31, v7
	s_delay_alu instid0(VALU_DEP_4) | instskip(SKIP_1) | instid1(VALU_DEP_4)
	v_and_b32_e32 v83, 28, v9
	v_dual_lshlrev_b32 v9, 4, v2 :: v_dual_bitop2_b32 v8, 31, v8 bitop3:0x54
	v_add_nc_u32_e32 v90, v85, v66
	s_delay_alu instid0(VALU_DEP_4) | instskip(NEXT) | instid1(VALU_DEP_4)
	v_cmp_eq_u32_e64 s1, v2, v7
	v_dual_mov_b32 v7, v1 :: v_dual_add_nc_u32 v88, 0x89fc, v83
	s_add_nc_u64 s[52:53], s[2:3], 0x50
	v_bfe_u32 v91, v0, 10, 10
	v_cmp_eq_u32_e64 s2, v2, v8
	v_dual_add_nc_u32 v8, 1, v2 :: v_dual_sub_nc_u32 v92, v90, v9
	v_lshlrev_b32_e32 v0, 3, v6
	s_add_co_i32 s6, s6, 1
	s_bfe_u32 s7, ttmp6, 0x40004
	s_mul_i32 s6, ttmp7, s6
	v_add_nc_u64_e32 v[4:5], s[40:41], v[2:3]
	s_add_co_i32 s8, s7, s6
	v_mul_u32_u24_e32 v93, 36, v8
	v_cmp_ne_u32_e64 s7, 0x80, v8
	v_add_nc_u64_e32 v[8:9], s[46:47], v[0:1]
	v_add_nc_u64_e32 v[10:11], s[40:41], v[6:7]
	;; [unrolled: 1-line block ×8, first 2 shown]
	v_or_b32_e32 v67, 0x100, v2
	v_or_b32_e32 v68, 0x200, v2
	;; [unrolled: 1-line block ×16, first 2 shown]
	v_cmp_gt_u32_e64 s0, 0x80, v2
	v_or_b32_e32 v86, 0x8a00, v83
	v_cmp_gt_u32_e64 s4, 4, v2
	v_add_nc_u32_e32 v87, 0x8a00, v66
	v_cmp_lt_u32_e64 s5, 31, v2
	v_cmp_gt_u32_e64 s3, 8, v2
	v_cmp_eq_u32_e64 s6, 0, v2
	v_dual_mov_b32 v7, 1 :: v_dual_lshlrev_b32 v94, 5, v2
	v_mul_u32_u24_e32 v95, 7, v2
	v_mbcnt_lo_u32_b32 v0, -1, 0
	s_cmp_eq_u32 s25, 0
	s_mov_b32 s35, 0
	s_cselect_b32 s42, ttmp7, s8
	s_mov_b32 s43, s49
	s_branch .LBB214_20
.LBB214_18:                             ;   in Loop: Header=BB214_20 Depth=1
	s_wait_dscnt 0x0
	s_barrier_signal -1
	s_barrier_wait -1
.LBB214_19:                             ;   in Loop: Header=BB214_20 Depth=1
	s_add_co_i32 s43, s43, 7
	s_delay_alu instid0(SALU_CYCLE_1)
	s_cmp_ge_u32 s43, s50
	s_cbranch_scc1 .LBB214_1262
.LBB214_20:                             ; =>This Loop Header: Depth=1
                                        ;     Child Loop BB214_24 Depth 2
                                        ;     Child Loop BB214_108 Depth 2
	;; [unrolled: 1-line block ×8, first 2 shown]
	s_sub_co_i32 s8, s50, s43
	s_xor_b32 s56, s56, -1
	s_min_u32 s8, s8, 7
	ds_store_2addr_stride64_b32 v66, v1, v1 offset1:4
	s_lshl_b32 s8, -1, s8
	s_wait_storecnt_dscnt 0x0
	s_not_b32 s48, s8
	s_cmp_lg_u32 s43, s49
	s_mov_b32 s8, -1
	s_cbranch_scc0 .LBB214_642
; %bb.21:                               ;   in Loop: Header=BB214_20 Depth=1
	s_and_b32 vcc_lo, exec_lo, s56
	s_cbranch_vccz .LBB214_331
; %bb.22:                               ;   in Loop: Header=BB214_20 Depth=1
	v_dual_mov_b32 v39, 0 :: v_dual_mov_b32 v42, 0
	v_dual_mov_b32 v41, 0 :: v_dual_mov_b32 v40, 0
	;; [unrolled: 1-line block ×8, first 2 shown]
	v_mov_b32_e32 v26, 0
	s_mov_b32 s8, s57
	s_mov_b32 s34, s55
	s_barrier_signal -1
	s_barrier_wait -1
	s_branch .LBB214_24
.LBB214_23:                             ;   in Loop: Header=BB214_24 Depth=2
	s_or_b32 exec_lo, exec_lo, s10
	s_addk_co_i32 s8, 0xef00
	s_cmp_ge_u32 s9, s54
	s_mov_b32 s34, s9
	s_cbranch_scc1 .LBB214_96
.LBB214_24:                             ;   Parent Loop BB214_20 Depth=1
                                        ; =>  This Inner Loop Header: Depth=2
	s_add_co_i32 s9, s34, 0x1100
	s_mov_b32 s10, -1
	s_cmp_gt_u32 s9, s54
                                        ; implicit-def: $vgpr24
                                        ; implicit-def: $vgpr25
                                        ; implicit-def: $vgpr43
                                        ; implicit-def: $vgpr44
                                        ; implicit-def: $vgpr45
                                        ; implicit-def: $vgpr46
                                        ; implicit-def: $vgpr47
                                        ; implicit-def: $vgpr48
                                        ; implicit-def: $vgpr49
                                        ; implicit-def: $vgpr50
                                        ; implicit-def: $vgpr51
                                        ; implicit-def: $vgpr52
                                        ; implicit-def: $vgpr53
                                        ; implicit-def: $vgpr54
                                        ; implicit-def: $vgpr55
                                        ; implicit-def: $vgpr56
                                        ; implicit-def: $vgpr57
	s_cbranch_scc1 .LBB214_26
; %bb.25:                               ;   in Loop: Header=BB214_24 Depth=2
	v_add_nc_u64_e32 v[58:59], s[34:35], v[4:5]
	s_mov_b32 s10, 0
	s_clause 0x10
	global_load_u8 v57, v[58:59], off offset:4096
	global_load_u8 v56, v[58:59], off offset:3840
	;; [unrolled: 1-line block ×16, first 2 shown]
	global_load_u8 v24, v[58:59], off
.LBB214_26:                             ;   in Loop: Header=BB214_24 Depth=2
	s_and_not1_b32 vcc_lo, exec_lo, s10
	s_movk_i32 s10, 0x1100
	s_cbranch_vccnz .LBB214_46
; %bb.27:                               ;   in Loop: Header=BB214_24 Depth=2
	s_add_nc_u64 s[10:11], s[40:41], s[34:35]
	s_wait_loadcnt 0x0
	v_add_nc_u64_e32 v[24:25], s[10:11], v[2:3]
	s_mov_b32 s10, exec_lo
	s_wait_xcnt 0x0
	v_cmpx_gt_u32_e64 s8, v2
	s_cbranch_execnz .LBB214_80
; %bb.28:                               ;   in Loop: Header=BB214_24 Depth=2
	s_or_b32 exec_lo, exec_lo, s10
	s_delay_alu instid0(SALU_CYCLE_1)
	s_mov_b32 s10, exec_lo
	v_cmpx_gt_u32_e64 s8, v67
	s_cbranch_execnz .LBB214_81
.LBB214_29:                             ;   in Loop: Header=BB214_24 Depth=2
	s_or_b32 exec_lo, exec_lo, s10
	s_delay_alu instid0(SALU_CYCLE_1)
	s_mov_b32 s10, exec_lo
	v_cmpx_gt_u32_e64 s8, v68
	s_cbranch_execnz .LBB214_82
.LBB214_30:                             ;   in Loop: Header=BB214_24 Depth=2
	s_or_b32 exec_lo, exec_lo, s10
	s_delay_alu instid0(SALU_CYCLE_1)
	s_mov_b32 s10, exec_lo
	v_cmpx_gt_u32_e64 s8, v69
	s_cbranch_execnz .LBB214_83
.LBB214_31:                             ;   in Loop: Header=BB214_24 Depth=2
	s_or_b32 exec_lo, exec_lo, s10
	s_delay_alu instid0(SALU_CYCLE_1)
	s_mov_b32 s10, exec_lo
	v_cmpx_gt_u32_e64 s8, v70
	s_cbranch_execnz .LBB214_84
.LBB214_32:                             ;   in Loop: Header=BB214_24 Depth=2
	s_or_b32 exec_lo, exec_lo, s10
	s_delay_alu instid0(SALU_CYCLE_1)
	s_mov_b32 s10, exec_lo
	v_cmpx_gt_u32_e64 s8, v71
	s_cbranch_execnz .LBB214_85
.LBB214_33:                             ;   in Loop: Header=BB214_24 Depth=2
	s_or_b32 exec_lo, exec_lo, s10
	s_delay_alu instid0(SALU_CYCLE_1)
	s_mov_b32 s10, exec_lo
	v_cmpx_gt_u32_e64 s8, v72
	s_cbranch_execnz .LBB214_86
.LBB214_34:                             ;   in Loop: Header=BB214_24 Depth=2
	s_or_b32 exec_lo, exec_lo, s10
	s_delay_alu instid0(SALU_CYCLE_1)
	s_mov_b32 s10, exec_lo
	v_cmpx_gt_u32_e64 s8, v73
	s_cbranch_execnz .LBB214_87
.LBB214_35:                             ;   in Loop: Header=BB214_24 Depth=2
	s_or_b32 exec_lo, exec_lo, s10
	s_delay_alu instid0(SALU_CYCLE_1)
	s_mov_b32 s10, exec_lo
	v_cmpx_gt_u32_e64 s8, v74
	s_cbranch_execnz .LBB214_88
.LBB214_36:                             ;   in Loop: Header=BB214_24 Depth=2
	s_or_b32 exec_lo, exec_lo, s10
	s_delay_alu instid0(SALU_CYCLE_1)
	s_mov_b32 s10, exec_lo
	v_cmpx_gt_u32_e64 s8, v75
	s_cbranch_execnz .LBB214_89
.LBB214_37:                             ;   in Loop: Header=BB214_24 Depth=2
	s_or_b32 exec_lo, exec_lo, s10
	s_delay_alu instid0(SALU_CYCLE_1)
	s_mov_b32 s10, exec_lo
	v_cmpx_gt_u32_e64 s8, v76
	s_cbranch_execnz .LBB214_90
.LBB214_38:                             ;   in Loop: Header=BB214_24 Depth=2
	s_or_b32 exec_lo, exec_lo, s10
	s_delay_alu instid0(SALU_CYCLE_1)
	s_mov_b32 s10, exec_lo
	v_cmpx_gt_u32_e64 s8, v77
	s_cbranch_execnz .LBB214_91
.LBB214_39:                             ;   in Loop: Header=BB214_24 Depth=2
	s_or_b32 exec_lo, exec_lo, s10
	s_delay_alu instid0(SALU_CYCLE_1)
	s_mov_b32 s10, exec_lo
	v_cmpx_gt_u32_e64 s8, v78
	s_cbranch_execnz .LBB214_92
.LBB214_40:                             ;   in Loop: Header=BB214_24 Depth=2
	s_or_b32 exec_lo, exec_lo, s10
	s_delay_alu instid0(SALU_CYCLE_1)
	s_mov_b32 s10, exec_lo
	v_cmpx_gt_u32_e64 s8, v79
	s_cbranch_execnz .LBB214_93
.LBB214_41:                             ;   in Loop: Header=BB214_24 Depth=2
	s_or_b32 exec_lo, exec_lo, s10
	s_delay_alu instid0(SALU_CYCLE_1)
	s_mov_b32 s10, exec_lo
	v_cmpx_gt_u32_e64 s8, v80
	s_cbranch_execnz .LBB214_94
.LBB214_42:                             ;   in Loop: Header=BB214_24 Depth=2
	s_or_b32 exec_lo, exec_lo, s10
	s_delay_alu instid0(SALU_CYCLE_1)
	s_mov_b32 s10, exec_lo
	v_cmpx_gt_u32_e64 s8, v81
	s_cbranch_execnz .LBB214_95
.LBB214_43:                             ;   in Loop: Header=BB214_24 Depth=2
	s_or_b32 exec_lo, exec_lo, s10
	s_delay_alu instid0(SALU_CYCLE_1)
	s_mov_b32 s10, exec_lo
	v_cmpx_gt_u32_e64 s8, v82
	s_cbranch_execz .LBB214_45
.LBB214_44:                             ;   in Loop: Header=BB214_24 Depth=2
	global_load_u8 v26, v[24:25], off offset:4096
.LBB214_45:                             ;   in Loop: Header=BB214_24 Depth=2
	s_wait_xcnt 0x0
	s_or_b32 exec_lo, exec_lo, s10
	s_wait_loadcnt 0x0
	v_dual_mov_b32 v24, v39 :: v_dual_mov_b32 v25, v42
	v_dual_mov_b32 v43, v41 :: v_dual_mov_b32 v44, v40
	;; [unrolled: 1-line block ×8, first 2 shown]
	v_mov_b32_e32 v57, v26
	s_mov_b32 s10, s8
.LBB214_46:                             ;   in Loop: Header=BB214_24 Depth=2
	s_wait_loadcnt 0xf
	s_delay_alu instid0(VALU_DEP_1)
	v_dual_mov_b32 v26, v57 :: v_dual_mov_b32 v27, v56
	s_wait_loadcnt 0xd
	v_dual_mov_b32 v28, v55 :: v_dual_mov_b32 v29, v54
	s_wait_loadcnt 0xb
	;; [unrolled: 2-line block ×8, first 2 shown]
	v_mov_b32_e32 v39, v24
	s_mov_b32 s11, exec_lo
	s_wait_xcnt 0x0
	v_cmpx_gt_u32_e64 s10, v2
	s_cbranch_execnz .LBB214_63
; %bb.47:                               ;   in Loop: Header=BB214_24 Depth=2
	s_or_b32 exec_lo, exec_lo, s11
	s_delay_alu instid0(SALU_CYCLE_1)
	s_mov_b32 s11, exec_lo
	v_cmpx_gt_u32_e64 s10, v67
	s_cbranch_execnz .LBB214_64
.LBB214_48:                             ;   in Loop: Header=BB214_24 Depth=2
	s_or_b32 exec_lo, exec_lo, s11
	s_delay_alu instid0(SALU_CYCLE_1)
	s_mov_b32 s11, exec_lo
	v_cmpx_gt_u32_e64 s10, v68
	s_cbranch_execnz .LBB214_65
.LBB214_49:                             ;   in Loop: Header=BB214_24 Depth=2
	s_or_b32 exec_lo, exec_lo, s11
	s_delay_alu instid0(SALU_CYCLE_1)
	s_mov_b32 s11, exec_lo
	v_cmpx_gt_u32_e64 s10, v69
	s_cbranch_execnz .LBB214_66
.LBB214_50:                             ;   in Loop: Header=BB214_24 Depth=2
	s_or_b32 exec_lo, exec_lo, s11
	s_delay_alu instid0(SALU_CYCLE_1)
	s_mov_b32 s11, exec_lo
	v_cmpx_gt_u32_e64 s10, v70
	s_cbranch_execnz .LBB214_67
.LBB214_51:                             ;   in Loop: Header=BB214_24 Depth=2
	s_or_b32 exec_lo, exec_lo, s11
	s_delay_alu instid0(SALU_CYCLE_1)
	s_mov_b32 s11, exec_lo
	v_cmpx_gt_u32_e64 s10, v71
	s_cbranch_execnz .LBB214_68
.LBB214_52:                             ;   in Loop: Header=BB214_24 Depth=2
	s_or_b32 exec_lo, exec_lo, s11
	s_delay_alu instid0(SALU_CYCLE_1)
	s_mov_b32 s11, exec_lo
	v_cmpx_gt_u32_e64 s10, v72
	s_cbranch_execnz .LBB214_69
.LBB214_53:                             ;   in Loop: Header=BB214_24 Depth=2
	s_or_b32 exec_lo, exec_lo, s11
	s_delay_alu instid0(SALU_CYCLE_1)
	s_mov_b32 s11, exec_lo
	v_cmpx_gt_u32_e64 s10, v73
	s_cbranch_execnz .LBB214_70
.LBB214_54:                             ;   in Loop: Header=BB214_24 Depth=2
	s_or_b32 exec_lo, exec_lo, s11
	s_delay_alu instid0(SALU_CYCLE_1)
	s_mov_b32 s11, exec_lo
	v_cmpx_gt_u32_e64 s10, v74
	s_cbranch_execnz .LBB214_71
.LBB214_55:                             ;   in Loop: Header=BB214_24 Depth=2
	s_or_b32 exec_lo, exec_lo, s11
	s_delay_alu instid0(SALU_CYCLE_1)
	s_mov_b32 s11, exec_lo
	v_cmpx_gt_u32_e64 s10, v75
	s_cbranch_execnz .LBB214_72
.LBB214_56:                             ;   in Loop: Header=BB214_24 Depth=2
	s_or_b32 exec_lo, exec_lo, s11
	s_delay_alu instid0(SALU_CYCLE_1)
	s_mov_b32 s11, exec_lo
	v_cmpx_gt_u32_e64 s10, v76
	s_cbranch_execnz .LBB214_73
.LBB214_57:                             ;   in Loop: Header=BB214_24 Depth=2
	s_or_b32 exec_lo, exec_lo, s11
	s_delay_alu instid0(SALU_CYCLE_1)
	s_mov_b32 s11, exec_lo
	v_cmpx_gt_u32_e64 s10, v77
	s_cbranch_execnz .LBB214_74
.LBB214_58:                             ;   in Loop: Header=BB214_24 Depth=2
	s_or_b32 exec_lo, exec_lo, s11
	s_delay_alu instid0(SALU_CYCLE_1)
	s_mov_b32 s11, exec_lo
	v_cmpx_gt_u32_e64 s10, v78
	s_cbranch_execnz .LBB214_75
.LBB214_59:                             ;   in Loop: Header=BB214_24 Depth=2
	s_or_b32 exec_lo, exec_lo, s11
	s_delay_alu instid0(SALU_CYCLE_1)
	s_mov_b32 s11, exec_lo
	v_cmpx_gt_u32_e64 s10, v79
	s_cbranch_execnz .LBB214_76
.LBB214_60:                             ;   in Loop: Header=BB214_24 Depth=2
	s_or_b32 exec_lo, exec_lo, s11
	s_delay_alu instid0(SALU_CYCLE_1)
	s_mov_b32 s11, exec_lo
	v_cmpx_gt_u32_e64 s10, v80
	s_cbranch_execnz .LBB214_77
.LBB214_61:                             ;   in Loop: Header=BB214_24 Depth=2
	s_or_b32 exec_lo, exec_lo, s11
	s_delay_alu instid0(SALU_CYCLE_1)
	s_mov_b32 s11, exec_lo
	v_cmpx_gt_u32_e64 s10, v81
	s_cbranch_execnz .LBB214_78
.LBB214_62:                             ;   in Loop: Header=BB214_24 Depth=2
	s_or_b32 exec_lo, exec_lo, s11
	v_cmp_gt_u32_e32 vcc_lo, s10, v82
	s_and_saveexec_b32 s10, vcc_lo
	s_cbranch_execz .LBB214_23
	s_branch .LBB214_79
.LBB214_63:                             ;   in Loop: Header=BB214_24 Depth=2
	v_and_b32_e32 v24, 0xff, v39
	s_delay_alu instid0(VALU_DEP_1) | instskip(NEXT) | instid1(VALU_DEP_1)
	v_lshrrev_b32_e32 v24, s43, v24
	v_and_b32_e32 v24, s48, v24
	s_delay_alu instid0(VALU_DEP_1) | instskip(SKIP_2) | instid1(SALU_CYCLE_1)
	v_lshl_or_b32 v24, v24, 4, v84
	ds_add_u32 v24, v7
	s_or_b32 exec_lo, exec_lo, s11
	s_mov_b32 s11, exec_lo
	v_cmpx_gt_u32_e64 s10, v67
	s_cbranch_execz .LBB214_48
.LBB214_64:                             ;   in Loop: Header=BB214_24 Depth=2
	v_and_b32_e32 v24, 0xff, v42
	s_delay_alu instid0(VALU_DEP_1) | instskip(NEXT) | instid1(VALU_DEP_1)
	v_lshrrev_b32_e32 v24, s43, v24
	v_and_b32_e32 v24, s48, v24
	s_delay_alu instid0(VALU_DEP_1) | instskip(SKIP_2) | instid1(SALU_CYCLE_1)
	v_lshl_or_b32 v24, v24, 4, v84
	ds_add_u32 v24, v7
	s_or_b32 exec_lo, exec_lo, s11
	s_mov_b32 s11, exec_lo
	v_cmpx_gt_u32_e64 s10, v68
	s_cbranch_execz .LBB214_49
.LBB214_65:                             ;   in Loop: Header=BB214_24 Depth=2
	v_and_b32_e32 v24, 0xff, v41
	s_delay_alu instid0(VALU_DEP_1) | instskip(NEXT) | instid1(VALU_DEP_1)
	v_lshrrev_b32_e32 v24, s43, v24
	v_and_b32_e32 v24, s48, v24
	s_delay_alu instid0(VALU_DEP_1) | instskip(SKIP_2) | instid1(SALU_CYCLE_1)
	v_lshl_or_b32 v24, v24, 4, v84
	ds_add_u32 v24, v7
	s_or_b32 exec_lo, exec_lo, s11
	s_mov_b32 s11, exec_lo
	v_cmpx_gt_u32_e64 s10, v69
	s_cbranch_execz .LBB214_50
.LBB214_66:                             ;   in Loop: Header=BB214_24 Depth=2
	v_and_b32_e32 v24, 0xff, v40
	s_delay_alu instid0(VALU_DEP_1) | instskip(NEXT) | instid1(VALU_DEP_1)
	v_lshrrev_b32_e32 v24, s43, v24
	v_and_b32_e32 v24, s48, v24
	s_delay_alu instid0(VALU_DEP_1) | instskip(SKIP_2) | instid1(SALU_CYCLE_1)
	v_lshl_or_b32 v24, v24, 4, v84
	ds_add_u32 v24, v7
	s_or_b32 exec_lo, exec_lo, s11
	s_mov_b32 s11, exec_lo
	v_cmpx_gt_u32_e64 s10, v70
	s_cbranch_execz .LBB214_51
.LBB214_67:                             ;   in Loop: Header=BB214_24 Depth=2
	v_and_b32_e32 v24, 0xff, v38
	s_delay_alu instid0(VALU_DEP_1) | instskip(NEXT) | instid1(VALU_DEP_1)
	v_lshrrev_b32_e32 v24, s43, v24
	v_and_b32_e32 v24, s48, v24
	s_delay_alu instid0(VALU_DEP_1) | instskip(SKIP_2) | instid1(SALU_CYCLE_1)
	v_lshl_or_b32 v24, v24, 4, v84
	ds_add_u32 v24, v7
	s_or_b32 exec_lo, exec_lo, s11
	s_mov_b32 s11, exec_lo
	v_cmpx_gt_u32_e64 s10, v71
	s_cbranch_execz .LBB214_52
.LBB214_68:                             ;   in Loop: Header=BB214_24 Depth=2
	v_and_b32_e32 v24, 0xff, v37
	s_delay_alu instid0(VALU_DEP_1) | instskip(NEXT) | instid1(VALU_DEP_1)
	v_lshrrev_b32_e32 v24, s43, v24
	v_and_b32_e32 v24, s48, v24
	s_delay_alu instid0(VALU_DEP_1) | instskip(SKIP_2) | instid1(SALU_CYCLE_1)
	v_lshl_or_b32 v24, v24, 4, v84
	ds_add_u32 v24, v7
	s_or_b32 exec_lo, exec_lo, s11
	s_mov_b32 s11, exec_lo
	v_cmpx_gt_u32_e64 s10, v72
	s_cbranch_execz .LBB214_53
.LBB214_69:                             ;   in Loop: Header=BB214_24 Depth=2
	v_and_b32_e32 v24, 0xff, v36
	s_delay_alu instid0(VALU_DEP_1) | instskip(NEXT) | instid1(VALU_DEP_1)
	v_lshrrev_b32_e32 v24, s43, v24
	v_and_b32_e32 v24, s48, v24
	s_delay_alu instid0(VALU_DEP_1) | instskip(SKIP_2) | instid1(SALU_CYCLE_1)
	v_lshl_or_b32 v24, v24, 4, v84
	ds_add_u32 v24, v7
	s_or_b32 exec_lo, exec_lo, s11
	s_mov_b32 s11, exec_lo
	v_cmpx_gt_u32_e64 s10, v73
	s_cbranch_execz .LBB214_54
.LBB214_70:                             ;   in Loop: Header=BB214_24 Depth=2
	v_and_b32_e32 v24, 0xff, v35
	s_delay_alu instid0(VALU_DEP_1) | instskip(NEXT) | instid1(VALU_DEP_1)
	v_lshrrev_b32_e32 v24, s43, v24
	v_and_b32_e32 v24, s48, v24
	s_delay_alu instid0(VALU_DEP_1) | instskip(SKIP_2) | instid1(SALU_CYCLE_1)
	v_lshl_or_b32 v24, v24, 4, v84
	ds_add_u32 v24, v7
	s_or_b32 exec_lo, exec_lo, s11
	s_mov_b32 s11, exec_lo
	v_cmpx_gt_u32_e64 s10, v74
	s_cbranch_execz .LBB214_55
.LBB214_71:                             ;   in Loop: Header=BB214_24 Depth=2
	v_and_b32_e32 v24, 0xff, v34
	s_delay_alu instid0(VALU_DEP_1) | instskip(NEXT) | instid1(VALU_DEP_1)
	v_lshrrev_b32_e32 v24, s43, v24
	v_and_b32_e32 v24, s48, v24
	s_delay_alu instid0(VALU_DEP_1) | instskip(SKIP_2) | instid1(SALU_CYCLE_1)
	v_lshl_or_b32 v24, v24, 4, v84
	ds_add_u32 v24, v7
	s_or_b32 exec_lo, exec_lo, s11
	s_mov_b32 s11, exec_lo
	v_cmpx_gt_u32_e64 s10, v75
	s_cbranch_execz .LBB214_56
.LBB214_72:                             ;   in Loop: Header=BB214_24 Depth=2
	v_and_b32_e32 v24, 0xff, v33
	s_delay_alu instid0(VALU_DEP_1) | instskip(NEXT) | instid1(VALU_DEP_1)
	v_lshrrev_b32_e32 v24, s43, v24
	v_and_b32_e32 v24, s48, v24
	s_delay_alu instid0(VALU_DEP_1) | instskip(SKIP_2) | instid1(SALU_CYCLE_1)
	v_lshl_or_b32 v24, v24, 4, v84
	ds_add_u32 v24, v7
	s_or_b32 exec_lo, exec_lo, s11
	s_mov_b32 s11, exec_lo
	v_cmpx_gt_u32_e64 s10, v76
	s_cbranch_execz .LBB214_57
.LBB214_73:                             ;   in Loop: Header=BB214_24 Depth=2
	v_and_b32_e32 v24, 0xff, v32
	s_delay_alu instid0(VALU_DEP_1) | instskip(NEXT) | instid1(VALU_DEP_1)
	v_lshrrev_b32_e32 v24, s43, v24
	v_and_b32_e32 v24, s48, v24
	s_delay_alu instid0(VALU_DEP_1) | instskip(SKIP_2) | instid1(SALU_CYCLE_1)
	v_lshl_or_b32 v24, v24, 4, v84
	ds_add_u32 v24, v7
	s_or_b32 exec_lo, exec_lo, s11
	s_mov_b32 s11, exec_lo
	v_cmpx_gt_u32_e64 s10, v77
	s_cbranch_execz .LBB214_58
.LBB214_74:                             ;   in Loop: Header=BB214_24 Depth=2
	v_and_b32_e32 v24, 0xff, v31
	s_delay_alu instid0(VALU_DEP_1) | instskip(NEXT) | instid1(VALU_DEP_1)
	v_lshrrev_b32_e32 v24, s43, v24
	v_and_b32_e32 v24, s48, v24
	s_delay_alu instid0(VALU_DEP_1) | instskip(SKIP_2) | instid1(SALU_CYCLE_1)
	v_lshl_or_b32 v24, v24, 4, v84
	ds_add_u32 v24, v7
	s_or_b32 exec_lo, exec_lo, s11
	s_mov_b32 s11, exec_lo
	v_cmpx_gt_u32_e64 s10, v78
	s_cbranch_execz .LBB214_59
.LBB214_75:                             ;   in Loop: Header=BB214_24 Depth=2
	v_and_b32_e32 v24, 0xff, v30
	s_delay_alu instid0(VALU_DEP_1) | instskip(NEXT) | instid1(VALU_DEP_1)
	v_lshrrev_b32_e32 v24, s43, v24
	v_and_b32_e32 v24, s48, v24
	s_delay_alu instid0(VALU_DEP_1) | instskip(SKIP_2) | instid1(SALU_CYCLE_1)
	v_lshl_or_b32 v24, v24, 4, v84
	ds_add_u32 v24, v7
	s_or_b32 exec_lo, exec_lo, s11
	s_mov_b32 s11, exec_lo
	v_cmpx_gt_u32_e64 s10, v79
	s_cbranch_execz .LBB214_60
.LBB214_76:                             ;   in Loop: Header=BB214_24 Depth=2
	v_and_b32_e32 v24, 0xff, v29
	s_delay_alu instid0(VALU_DEP_1) | instskip(NEXT) | instid1(VALU_DEP_1)
	v_lshrrev_b32_e32 v24, s43, v24
	v_and_b32_e32 v24, s48, v24
	s_delay_alu instid0(VALU_DEP_1) | instskip(SKIP_2) | instid1(SALU_CYCLE_1)
	v_lshl_or_b32 v24, v24, 4, v84
	ds_add_u32 v24, v7
	s_or_b32 exec_lo, exec_lo, s11
	s_mov_b32 s11, exec_lo
	v_cmpx_gt_u32_e64 s10, v80
	s_cbranch_execz .LBB214_61
.LBB214_77:                             ;   in Loop: Header=BB214_24 Depth=2
	v_and_b32_e32 v24, 0xff, v28
	s_delay_alu instid0(VALU_DEP_1) | instskip(NEXT) | instid1(VALU_DEP_1)
	v_lshrrev_b32_e32 v24, s43, v24
	v_and_b32_e32 v24, s48, v24
	s_delay_alu instid0(VALU_DEP_1) | instskip(SKIP_2) | instid1(SALU_CYCLE_1)
	v_lshl_or_b32 v24, v24, 4, v84
	ds_add_u32 v24, v7
	s_or_b32 exec_lo, exec_lo, s11
	s_mov_b32 s11, exec_lo
	v_cmpx_gt_u32_e64 s10, v81
	s_cbranch_execz .LBB214_62
.LBB214_78:                             ;   in Loop: Header=BB214_24 Depth=2
	v_and_b32_e32 v24, 0xff, v27
	s_delay_alu instid0(VALU_DEP_1) | instskip(NEXT) | instid1(VALU_DEP_1)
	v_lshrrev_b32_e32 v24, s43, v24
	v_and_b32_e32 v24, s48, v24
	s_delay_alu instid0(VALU_DEP_1)
	v_lshl_or_b32 v24, v24, 4, v84
	ds_add_u32 v24, v7
	s_or_b32 exec_lo, exec_lo, s11
	v_cmp_gt_u32_e32 vcc_lo, s10, v82
	s_and_saveexec_b32 s10, vcc_lo
	s_cbranch_execz .LBB214_23
.LBB214_79:                             ;   in Loop: Header=BB214_24 Depth=2
	v_and_b32_e32 v24, 0xff, v26
	s_delay_alu instid0(VALU_DEP_1) | instskip(NEXT) | instid1(VALU_DEP_1)
	v_lshrrev_b32_e32 v24, s43, v24
	v_and_b32_e32 v24, s48, v24
	s_delay_alu instid0(VALU_DEP_1)
	v_lshl_or_b32 v24, v24, 4, v84
	ds_add_u32 v24, v7
	s_branch .LBB214_23
.LBB214_80:                             ;   in Loop: Header=BB214_24 Depth=2
	global_load_u8 v39, v[24:25], off
	s_wait_xcnt 0x0
	s_or_b32 exec_lo, exec_lo, s10
	s_delay_alu instid0(SALU_CYCLE_1)
	s_mov_b32 s10, exec_lo
	v_cmpx_gt_u32_e64 s8, v67
	s_cbranch_execz .LBB214_29
.LBB214_81:                             ;   in Loop: Header=BB214_24 Depth=2
	global_load_u8 v42, v[24:25], off offset:256
	s_wait_xcnt 0x0
	s_or_b32 exec_lo, exec_lo, s10
	s_delay_alu instid0(SALU_CYCLE_1)
	s_mov_b32 s10, exec_lo
	v_cmpx_gt_u32_e64 s8, v68
	s_cbranch_execz .LBB214_30
.LBB214_82:                             ;   in Loop: Header=BB214_24 Depth=2
	global_load_u8 v41, v[24:25], off offset:512
	s_wait_xcnt 0x0
	s_or_b32 exec_lo, exec_lo, s10
	s_delay_alu instid0(SALU_CYCLE_1)
	s_mov_b32 s10, exec_lo
	v_cmpx_gt_u32_e64 s8, v69
	s_cbranch_execz .LBB214_31
.LBB214_83:                             ;   in Loop: Header=BB214_24 Depth=2
	global_load_u8 v40, v[24:25], off offset:768
	s_wait_xcnt 0x0
	s_or_b32 exec_lo, exec_lo, s10
	s_delay_alu instid0(SALU_CYCLE_1)
	s_mov_b32 s10, exec_lo
	v_cmpx_gt_u32_e64 s8, v70
	s_cbranch_execz .LBB214_32
.LBB214_84:                             ;   in Loop: Header=BB214_24 Depth=2
	global_load_u8 v38, v[24:25], off offset:1024
	s_wait_xcnt 0x0
	s_or_b32 exec_lo, exec_lo, s10
	s_delay_alu instid0(SALU_CYCLE_1)
	s_mov_b32 s10, exec_lo
	v_cmpx_gt_u32_e64 s8, v71
	s_cbranch_execz .LBB214_33
.LBB214_85:                             ;   in Loop: Header=BB214_24 Depth=2
	global_load_u8 v37, v[24:25], off offset:1280
	s_wait_xcnt 0x0
	s_or_b32 exec_lo, exec_lo, s10
	s_delay_alu instid0(SALU_CYCLE_1)
	s_mov_b32 s10, exec_lo
	v_cmpx_gt_u32_e64 s8, v72
	s_cbranch_execz .LBB214_34
.LBB214_86:                             ;   in Loop: Header=BB214_24 Depth=2
	global_load_u8 v36, v[24:25], off offset:1536
	s_wait_xcnt 0x0
	s_or_b32 exec_lo, exec_lo, s10
	s_delay_alu instid0(SALU_CYCLE_1)
	s_mov_b32 s10, exec_lo
	v_cmpx_gt_u32_e64 s8, v73
	s_cbranch_execz .LBB214_35
.LBB214_87:                             ;   in Loop: Header=BB214_24 Depth=2
	global_load_u8 v35, v[24:25], off offset:1792
	s_wait_xcnt 0x0
	s_or_b32 exec_lo, exec_lo, s10
	s_delay_alu instid0(SALU_CYCLE_1)
	s_mov_b32 s10, exec_lo
	v_cmpx_gt_u32_e64 s8, v74
	s_cbranch_execz .LBB214_36
.LBB214_88:                             ;   in Loop: Header=BB214_24 Depth=2
	global_load_u8 v34, v[24:25], off offset:2048
	s_wait_xcnt 0x0
	s_or_b32 exec_lo, exec_lo, s10
	s_delay_alu instid0(SALU_CYCLE_1)
	s_mov_b32 s10, exec_lo
	v_cmpx_gt_u32_e64 s8, v75
	s_cbranch_execz .LBB214_37
.LBB214_89:                             ;   in Loop: Header=BB214_24 Depth=2
	global_load_u8 v33, v[24:25], off offset:2304
	s_wait_xcnt 0x0
	s_or_b32 exec_lo, exec_lo, s10
	s_delay_alu instid0(SALU_CYCLE_1)
	s_mov_b32 s10, exec_lo
	v_cmpx_gt_u32_e64 s8, v76
	s_cbranch_execz .LBB214_38
.LBB214_90:                             ;   in Loop: Header=BB214_24 Depth=2
	global_load_u8 v32, v[24:25], off offset:2560
	s_wait_xcnt 0x0
	s_or_b32 exec_lo, exec_lo, s10
	s_delay_alu instid0(SALU_CYCLE_1)
	s_mov_b32 s10, exec_lo
	v_cmpx_gt_u32_e64 s8, v77
	s_cbranch_execz .LBB214_39
.LBB214_91:                             ;   in Loop: Header=BB214_24 Depth=2
	global_load_u8 v31, v[24:25], off offset:2816
	s_wait_xcnt 0x0
	s_or_b32 exec_lo, exec_lo, s10
	s_delay_alu instid0(SALU_CYCLE_1)
	s_mov_b32 s10, exec_lo
	v_cmpx_gt_u32_e64 s8, v78
	s_cbranch_execz .LBB214_40
.LBB214_92:                             ;   in Loop: Header=BB214_24 Depth=2
	global_load_u8 v30, v[24:25], off offset:3072
	s_wait_xcnt 0x0
	s_or_b32 exec_lo, exec_lo, s10
	s_delay_alu instid0(SALU_CYCLE_1)
	s_mov_b32 s10, exec_lo
	v_cmpx_gt_u32_e64 s8, v79
	s_cbranch_execz .LBB214_41
.LBB214_93:                             ;   in Loop: Header=BB214_24 Depth=2
	global_load_u8 v29, v[24:25], off offset:3328
	s_wait_xcnt 0x0
	s_or_b32 exec_lo, exec_lo, s10
	s_delay_alu instid0(SALU_CYCLE_1)
	s_mov_b32 s10, exec_lo
	v_cmpx_gt_u32_e64 s8, v80
	s_cbranch_execz .LBB214_42
.LBB214_94:                             ;   in Loop: Header=BB214_24 Depth=2
	global_load_u8 v28, v[24:25], off offset:3584
	s_wait_xcnt 0x0
	s_or_b32 exec_lo, exec_lo, s10
	s_delay_alu instid0(SALU_CYCLE_1)
	s_mov_b32 s10, exec_lo
	v_cmpx_gt_u32_e64 s8, v81
	s_cbranch_execz .LBB214_43
.LBB214_95:                             ;   in Loop: Header=BB214_24 Depth=2
	global_load_u8 v27, v[24:25], off offset:3840
	s_wait_xcnt 0x0
	s_or_b32 exec_lo, exec_lo, s10
	s_delay_alu instid0(SALU_CYCLE_1)
	s_mov_b32 s10, exec_lo
	v_cmpx_gt_u32_e64 s8, v82
	s_cbranch_execnz .LBB214_44
	s_branch .LBB214_45
.LBB214_96:                             ;   in Loop: Header=BB214_20 Depth=1
	v_mov_b32_e32 v24, 0
	s_wait_dscnt 0x0
	s_barrier_signal -1
	s_barrier_wait -1
	s_and_saveexec_b32 s8, s0
	s_cbranch_execz .LBB214_98
; %bb.97:                               ;   in Loop: Header=BB214_20 Depth=1
	ds_load_2addr_b64 v[24:27], v85 offset1:1
	s_wait_dscnt 0x0
	v_add_nc_u32_e32 v24, v25, v24
	s_delay_alu instid0(VALU_DEP_1)
	v_add3_u32 v24, v24, v26, v27
.LBB214_98:                             ;   in Loop: Header=BB214_20 Depth=1
	s_or_b32 exec_lo, exec_lo, s8
	v_and_b32_e32 v25, 15, v0
	s_delay_alu instid0(VALU_DEP_2) | instskip(SKIP_1) | instid1(VALU_DEP_3)
	v_mov_b32_dpp v26, v24 row_shr:1 row_mask:0xf bank_mask:0xf
	v_and_b32_e32 v27, 16, v0
	v_cmp_eq_u32_e64 s8, 0, v25
	v_cmp_lt_u32_e64 s9, 1, v25
	s_delay_alu instid0(VALU_DEP_3) | instskip(NEXT) | instid1(VALU_DEP_3)
	v_cmp_eq_u32_e64 s12, 0, v27
	v_cndmask_b32_e64 v26, v26, 0, s8
	s_delay_alu instid0(VALU_DEP_1) | instskip(NEXT) | instid1(VALU_DEP_1)
	v_add_nc_u32_e32 v24, v26, v24
	v_mov_b32_dpp v26, v24 row_shr:2 row_mask:0xf bank_mask:0xf
	s_delay_alu instid0(VALU_DEP_1) | instskip(SKIP_2) | instid1(VALU_DEP_3)
	v_cndmask_b32_e64 v26, 0, v26, s9
	v_cmp_lt_u32_e64 s11, 7, v25
	v_cmp_lt_u32_e64 s10, 3, v25
	v_add_nc_u32_e32 v24, v24, v26
	s_delay_alu instid0(VALU_DEP_1) | instskip(NEXT) | instid1(VALU_DEP_1)
	v_mov_b32_dpp v26, v24 row_shr:4 row_mask:0xf bank_mask:0xf
	v_cndmask_b32_e64 v26, 0, v26, s10
	s_delay_alu instid0(VALU_DEP_1) | instskip(NEXT) | instid1(VALU_DEP_1)
	v_add_nc_u32_e32 v24, v24, v26
	v_mov_b32_dpp v26, v24 row_shr:8 row_mask:0xf bank_mask:0xf
	s_delay_alu instid0(VALU_DEP_1) | instskip(SKIP_1) | instid1(VALU_DEP_2)
	v_cndmask_b32_e64 v25, 0, v26, s11
	v_bfe_i32 v26, v0, 4, 1
	v_add_nc_u32_e32 v24, v24, v25
	ds_swizzle_b32 v25, v24 offset:swizzle(BROADCAST,32,15)
	s_wait_dscnt 0x0
	v_and_b32_e32 v25, v26, v25
	s_delay_alu instid0(VALU_DEP_1)
	v_add_nc_u32_e32 v24, v24, v25
	s_and_saveexec_b32 s13, s1
; %bb.99:                               ;   in Loop: Header=BB214_20 Depth=1
	ds_store_b32 v86, v24
; %bb.100:                              ;   in Loop: Header=BB214_20 Depth=1
	s_or_b32 exec_lo, exec_lo, s13
	s_wait_dscnt 0x0
	s_barrier_signal -1
	s_barrier_wait -1
	s_and_saveexec_b32 s13, s4
	s_cbranch_execz .LBB214_102
; %bb.101:                              ;   in Loop: Header=BB214_20 Depth=1
	ds_load_b32 v25, v87
	s_wait_dscnt 0x0
	v_mov_b32_dpp v27, v25 row_shr:1 row_mask:0xf bank_mask:0xf
	v_and_b32_e32 v26, 3, v0
	s_delay_alu instid0(VALU_DEP_1) | instskip(NEXT) | instid1(VALU_DEP_3)
	v_cmp_ne_u32_e32 vcc_lo, 0, v26
	v_cndmask_b32_e32 v27, 0, v27, vcc_lo
	v_cmp_lt_u32_e32 vcc_lo, 1, v26
	s_delay_alu instid0(VALU_DEP_2) | instskip(NEXT) | instid1(VALU_DEP_1)
	v_add_nc_u32_e32 v25, v27, v25
	v_mov_b32_dpp v27, v25 row_shr:2 row_mask:0xf bank_mask:0xf
	s_delay_alu instid0(VALU_DEP_1) | instskip(NEXT) | instid1(VALU_DEP_1)
	v_cndmask_b32_e32 v26, 0, v27, vcc_lo
	v_add_nc_u32_e32 v25, v25, v26
	ds_store_b32 v87, v25
.LBB214_102:                            ;   in Loop: Header=BB214_20 Depth=1
	s_or_b32 exec_lo, exec_lo, s13
	v_mov_b32_e32 v25, 0
	s_wait_dscnt 0x0
	s_barrier_signal -1
	s_barrier_wait -1
	s_and_saveexec_b32 s13, s5
; %bb.103:                              ;   in Loop: Header=BB214_20 Depth=1
	ds_load_b32 v25, v88
; %bb.104:                              ;   in Loop: Header=BB214_20 Depth=1
	s_or_b32 exec_lo, exec_lo, s13
	v_sub_co_u32 v26, s13, v0, 1
	s_wait_dscnt 0x0
	s_barrier_signal -1
	s_barrier_wait -1
	s_delay_alu instid0(VALU_DEP_1) | instskip(SKIP_1) | instid1(VALU_DEP_1)
	v_cmp_gt_i32_e32 vcc_lo, 0, v26
	v_cndmask_b32_e32 v26, v26, v0, vcc_lo
	v_dual_add_nc_u32 v24, v25, v24 :: v_dual_lshlrev_b32 v96, 2, v26
	ds_bpermute_b32 v24, v96, v24
	s_and_saveexec_b32 s14, s0
	s_cbranch_execz .LBB214_106
; %bb.105:                              ;   in Loop: Header=BB214_20 Depth=1
	s_wait_dscnt 0x0
	v_cndmask_b32_e64 v24, v24, v25, s13
	s_delay_alu instid0(VALU_DEP_1)
	v_add_nc_u32_e32 v24, s55, v24
	ds_store_b32 v66, v24
.LBB214_106:                            ;   in Loop: Header=BB214_20 Depth=1
	s_or_b32 exec_lo, exec_lo, s14
	s_clause 0x1
	s_load_b32 s14, s[52:53], 0x4
	s_load_b32 s17, s[52:53], 0xc
	s_wait_dscnt 0x0
	v_dual_lshlrev_b32 v24, 3, v0 :: v_dual_bitop2_b32 v26, 7, v0 bitop3:0x40
	v_dual_mov_b32 v25, v1 :: v_dual_bitop2_b32 v97, v0, v6 bitop3:0x54
	s_mov_b32 s58, s57
	s_delay_alu instid0(VALU_DEP_2) | instskip(NEXT) | instid1(VALU_DEP_2)
	v_cmp_lt_u32_e64 s16, 3, v26
                                        ; implicit-def: $vgpr30_vgpr31
                                        ; implicit-def: $vgpr32_vgpr33
                                        ; implicit-def: $vgpr34_vgpr35
                                        ; implicit-def: $vgpr36_vgpr37
                                        ; implicit-def: $vgpr38_vgpr39
                                        ; implicit-def: $vgpr40_vgpr41
                                        ; implicit-def: $vgpr42_vgpr43
                                        ; implicit-def: $vgpr44_vgpr45
                                        ; implicit-def: $vgpr46_vgpr47
                                        ; implicit-def: $vgpr48_vgpr49
                                        ; implicit-def: $vgpr50_vgpr51
                                        ; implicit-def: $vgpr52_vgpr53
                                        ; implicit-def: $vgpr54_vgpr55
                                        ; implicit-def: $vgpr56_vgpr57
                                        ; implicit-def: $vgpr58_vgpr59
                                        ; implicit-def: $vgpr60_vgpr61
                                        ; implicit-def: $vgpr115
                                        ; implicit-def: $vgpr116
                                        ; implicit-def: $vgpr117
                                        ; implicit-def: $vgpr118
                                        ; implicit-def: $vgpr119
                                        ; implicit-def: $vgpr120
                                        ; implicit-def: $vgpr121
                                        ; implicit-def: $vgpr122
                                        ; implicit-def: $vgpr123
                                        ; implicit-def: $vgpr124
                                        ; implicit-def: $vgpr125
                                        ; implicit-def: $vgpr126
                                        ; implicit-def: $vgpr127
                                        ; implicit-def: $vgpr128
                                        ; implicit-def: $vgpr129
                                        ; implicit-def: $vgpr130
                                        ; implicit-def: $vgpr131
                                        ; implicit-def: $vgpr132
                                        ; implicit-def: $vgpr133
	v_add_nc_u64_e32 v[24:25], v[8:9], v[24:25]
	s_delay_alu instid0(VALU_DEP_3)
	v_dual_add_nc_u32 v98, 32, v97 :: v_dual_add_nc_u32 v99, 64, v97
	v_add_nc_u32_e32 v100, 0x60, v97
	v_add_nc_u32_e32 v101, 0x80, v97
	;; [unrolled: 1-line block ×8, first 2 shown]
	s_wait_kmcnt 0x0
	s_cmp_lt_u32 s42, s14
	v_add_nc_u32_e32 v108, 0x160, v97
	s_cselect_b32 s34, 14, 20
	s_and_b32 s17, s17, 0xffff
	s_add_nc_u64 s[14:15], s[52:53], s[34:35]
	v_add_nc_u32_e32 v109, 0x180, v97
	s_load_u16 s18, s[14:15], 0x0
	s_wait_xcnt 0x0
	v_cmp_eq_u32_e64 s14, 0, v26
	v_cmp_lt_u32_e64 s15, 1, v26
	v_add_nc_u32_e32 v110, 0x1a0, v97
	v_add_nc_u32_e32 v111, 0x1c0, v97
	;; [unrolled: 1-line block ×4, first 2 shown]
	s_mov_b32 s34, s55
	s_wait_kmcnt 0x0
	v_mad_u32_u24 v26, v89, s18, v91
	s_delay_alu instid0(VALU_DEP_1) | instskip(NEXT) | instid1(VALU_DEP_1)
	v_mad_u32 v26, v26, s17, v2
	v_lshrrev_b32_e32 v28, 3, v26
	v_add_nc_u64_e32 v[26:27], v[10:11], v[0:1]
	s_delay_alu instid0(VALU_DEP_2)
	v_and_b32_e32 v114, 0x1ffffffc, v28
                                        ; implicit-def: $vgpr28_vgpr29
	s_branch .LBB214_108
.LBB214_107:                            ;   in Loop: Header=BB214_108 Depth=2
	s_or_b32 exec_lo, exec_lo, s17
	s_addk_co_i32 s58, 0xef00
	s_cmp_lt_u32 s59, s54
	s_mov_b32 s34, s59
	s_cbranch_scc0 .LBB214_330
.LBB214_108:                            ;   Parent Loop BB214_20 Depth=1
                                        ; =>  This Inner Loop Header: Depth=2
	s_add_co_i32 s59, s34, 0x1100
	s_delay_alu instid0(SALU_CYCLE_1)
	s_cmp_gt_u32 s59, s54
	s_cbranch_scc1 .LBB214_110
; %bb.109:                              ;   in Loop: Header=BB214_108 Depth=2
	s_delay_alu instid0(VALU_DEP_2)
	v_add_nc_u64_e32 v[62:63], s[34:35], v[26:27]
	s_mov_b32 s17, -1
	s_clause 0xf
	global_load_u8 v135, v[62:63], off
	global_load_u8 v136, v[62:63], off offset:32
	global_load_u8 v137, v[62:63], off offset:64
	;; [unrolled: 1-line block ×15, first 2 shown]
	s_movk_i32 s18, 0x1100
	s_cbranch_execz .LBB214_111
	s_branch .LBB214_144
.LBB214_110:                            ;   in Loop: Header=BB214_108 Depth=2
	s_mov_b32 s17, 0
                                        ; implicit-def: $vgpr135
                                        ; implicit-def: $vgpr136
                                        ; implicit-def: $vgpr137
                                        ; implicit-def: $vgpr138
                                        ; implicit-def: $vgpr139
                                        ; implicit-def: $vgpr140
                                        ; implicit-def: $vgpr141
                                        ; implicit-def: $vgpr142
                                        ; implicit-def: $vgpr143
                                        ; implicit-def: $vgpr144
                                        ; implicit-def: $vgpr145
                                        ; implicit-def: $vgpr146
                                        ; implicit-def: $vgpr147
                                        ; implicit-def: $vgpr148
                                        ; implicit-def: $vgpr149
                                        ; implicit-def: $vgpr150
	s_movk_i32 s18, 0x1100
.LBB214_111:                            ;   in Loop: Header=BB214_108 Depth=2
	s_wait_xcnt 0x0
	v_add_nc_u64_e32 v[62:63], s[34:35], v[26:27]
	s_wait_loadcnt 0xe
	v_dual_mov_b32 v136, 0xff :: v_dual_mov_b32 v135, 0xff
	s_mov_b32 s17, exec_lo
	v_cmpx_gt_u32_e64 s58, v97
	s_cbranch_execz .LBB214_113
; %bb.112:                              ;   in Loop: Header=BB214_108 Depth=2
	global_load_u8 v135, v[62:63], off
.LBB214_113:                            ;   in Loop: Header=BB214_108 Depth=2
	s_wait_xcnt 0x0
	s_or_b32 exec_lo, exec_lo, s17
	s_delay_alu instid0(SALU_CYCLE_1)
	s_mov_b32 s17, exec_lo
	v_cmpx_gt_u32_e64 s58, v98
	s_cbranch_execz .LBB214_115
; %bb.114:                              ;   in Loop: Header=BB214_108 Depth=2
	global_load_u8 v136, v[62:63], off offset:32
.LBB214_115:                            ;   in Loop: Header=BB214_108 Depth=2
	s_wait_xcnt 0x0
	s_or_b32 exec_lo, exec_lo, s17
	s_wait_loadcnt 0xc
	v_dual_mov_b32 v138, 0xff :: v_dual_mov_b32 v137, 0xff
	s_mov_b32 s17, exec_lo
	v_cmpx_gt_u32_e64 s58, v99
	s_cbranch_execz .LBB214_117
; %bb.116:                              ;   in Loop: Header=BB214_108 Depth=2
	global_load_u8 v137, v[62:63], off offset:64
.LBB214_117:                            ;   in Loop: Header=BB214_108 Depth=2
	s_wait_xcnt 0x0
	s_or_b32 exec_lo, exec_lo, s17
	s_delay_alu instid0(SALU_CYCLE_1)
	s_mov_b32 s17, exec_lo
	v_cmpx_gt_u32_e64 s58, v100
	s_cbranch_execz .LBB214_119
; %bb.118:                              ;   in Loop: Header=BB214_108 Depth=2
	global_load_u8 v138, v[62:63], off offset:96
.LBB214_119:                            ;   in Loop: Header=BB214_108 Depth=2
	s_wait_xcnt 0x0
	s_or_b32 exec_lo, exec_lo, s17
	s_wait_loadcnt 0xa
	v_dual_mov_b32 v140, 0xff :: v_dual_mov_b32 v139, 0xff
	s_mov_b32 s17, exec_lo
	v_cmpx_gt_u32_e64 s58, v101
	s_cbranch_execz .LBB214_121
; %bb.120:                              ;   in Loop: Header=BB214_108 Depth=2
	global_load_u8 v139, v[62:63], off offset:128
.LBB214_121:                            ;   in Loop: Header=BB214_108 Depth=2
	;; [unrolled: 19-line block ×7, first 2 shown]
	s_wait_xcnt 0x0
	s_or_b32 exec_lo, exec_lo, s17
	s_delay_alu instid0(SALU_CYCLE_1)
	s_mov_b32 s17, exec_lo
	v_cmpx_gt_u32_e64 s58, v112
	s_cbranch_execz .LBB214_143
; %bb.142:                              ;   in Loop: Header=BB214_108 Depth=2
	global_load_u8 v150, v[62:63], off offset:480
.LBB214_143:                            ;   in Loop: Header=BB214_108 Depth=2
	s_wait_xcnt 0x0
	s_or_b32 exec_lo, exec_lo, s17
	v_cmp_gt_u32_e64 s17, s58, v113
	s_sub_co_i32 s18, s54, s34
.LBB214_144:                            ;   in Loop: Header=BB214_108 Depth=2
	v_dual_mov_b32 v151, 0xff :: v_dual_mov_b32 v134, s58
	s_wait_xcnt 0x0
	s_and_saveexec_b32 s19, s17
	s_cbranch_execz .LBB214_146
; %bb.145:                              ;   in Loop: Header=BB214_108 Depth=2
	v_add_nc_u64_e32 v[62:63], s[34:35], v[26:27]
	v_mov_b32_e32 v134, s18
	global_load_u8 v151, v[62:63], off offset:512
.LBB214_146:                            ;   in Loop: Header=BB214_108 Depth=2
	s_wait_xcnt 0x0
	s_or_b32 exec_lo, exec_lo, s19
	s_wait_loadcnt 0xf
	v_and_b32_e32 v62, 0xff, v135
	ds_store_2addr_b32 v90, v1, v1 offset0:136 offset1:137
	ds_store_2addr_b32 v90, v1, v1 offset0:138 offset1:139
	ds_store_b32 v90, v1 offset:560
	s_wait_loadcnt_dscnt 0x0
	s_barrier_signal -1
	s_barrier_wait -1
	v_lshrrev_b32_e32 v62, s43, v62
	; wave barrier
	s_delay_alu instid0(VALU_DEP_1) | instskip(NEXT) | instid1(VALU_DEP_1)
	v_and_b32_e32 v64, s48, v62
	v_lshlrev_b32_e32 v65, 30, v64
	v_bitop3_b32 v63, v62, 1, s48 bitop3:0x80
	s_delay_alu instid0(VALU_DEP_1) | instskip(NEXT) | instid1(VALU_DEP_1)
	v_add_co_u32 v62, s17, v63, -1
	v_cndmask_b32_e64 v63, 0, 1, s17
	s_delay_alu instid0(VALU_DEP_4) | instskip(NEXT) | instid1(VALU_DEP_2)
	v_cmp_gt_i32_e64 s17, 0, v65
	v_cmp_ne_u32_e32 vcc_lo, 0, v63
	v_not_b32_e32 v63, v65
	v_bitop3_b32 v62, vcc_lo, exec_lo, v62 bitop3:0x48
	s_delay_alu instid0(VALU_DEP_2) | instskip(SKIP_2) | instid1(VALU_DEP_3)
	v_dual_ashrrev_i32 v63, 31, v63 :: v_dual_lshlrev_b32 v152, 29, v64
	v_dual_lshlrev_b32 v153, 28, v64 :: v_dual_lshlrev_b32 v154, 27, v64
	v_lshlrev_b32_e32 v155, 26, v64
	v_not_b32_e32 v65, v152
	v_lshlrev_b32_e32 v156, 25, v64
	v_cmp_gt_i32_e64 s18, 0, v152
	v_cmp_gt_i32_e64 s19, 0, v153
	v_not_b32_e32 v152, v153
	v_not_b32_e32 v153, v154
	v_ashrrev_i32_e32 v65, 31, v65
	v_cmp_gt_i32_e64 s20, 0, v154
	v_not_b32_e32 v154, v155
	s_delay_alu instid0(VALU_DEP_4) | instskip(SKIP_3) | instid1(VALU_DEP_4)
	v_dual_ashrrev_i32 v152, 31, v152 :: v_dual_ashrrev_i32 v153, 31, v153
	v_xor_b32_e32 v63, s17, v63
	v_xor_b32_e32 v65, s18, v65
	v_not_b32_e32 v157, v156
	v_xor_b32_e32 v152, s19, v152
	v_xor_b32_e32 v153, s20, v153
	v_cmp_gt_i32_e32 vcc_lo, 0, v155
	v_ashrrev_i32_e32 v154, 31, v154
	v_cmp_gt_i32_e64 s17, 0, v156
	v_ashrrev_i32_e32 v155, 31, v157
	v_bitop3_b32 v62, v62, v65, v63 bitop3:0x80
	s_delay_alu instid0(VALU_DEP_4) | instskip(NEXT) | instid1(VALU_DEP_3)
	v_xor_b32_e32 v63, vcc_lo, v154
	v_xor_b32_e32 v65, s17, v155
	s_delay_alu instid0(VALU_DEP_3) | instskip(NEXT) | instid1(VALU_DEP_1)
	v_bitop3_b32 v62, v62, v153, v152 bitop3:0x80
	v_bitop3_b32 v62, v62, v65, v63 bitop3:0x80
	v_mul_u32_u24_e32 v63, 36, v64
	s_delay_alu instid0(VALU_DEP_2) | instskip(SKIP_1) | instid1(VALU_DEP_3)
	v_mbcnt_lo_u32_b32 v152, v62, 0
	v_cmp_ne_u32_e64 s17, 0, v62
	v_add_nc_u32_e32 v153, v114, v63
	s_delay_alu instid0(VALU_DEP_3) | instskip(SKIP_1) | instid1(SALU_CYCLE_1)
	v_cmp_eq_u32_e32 vcc_lo, 0, v152
	s_and_b32 s18, s17, vcc_lo
	s_and_saveexec_b32 s17, s18
; %bb.147:                              ;   in Loop: Header=BB214_108 Depth=2
	v_bcnt_u32_b32 v62, v62, 0
	ds_store_b32 v153, v62 offset:544
; %bb.148:                              ;   in Loop: Header=BB214_108 Depth=2
	s_or_b32 exec_lo, exec_lo, s17
	v_and_b32_e32 v62, 0xff, v136
	; wave barrier
	s_delay_alu instid0(VALU_DEP_1) | instskip(NEXT) | instid1(VALU_DEP_1)
	v_lshrrev_b32_e32 v62, s43, v62
	v_and_b32_e32 v64, s48, v62
	s_delay_alu instid0(VALU_DEP_1) | instskip(SKIP_1) | instid1(VALU_DEP_1)
	v_lshlrev_b32_e32 v65, 30, v64
	v_bitop3_b32 v63, v62, 1, s48 bitop3:0x80
	v_add_co_u32 v62, s17, v63, -1
	s_delay_alu instid0(VALU_DEP_1) | instskip(NEXT) | instid1(VALU_DEP_4)
	v_cndmask_b32_e64 v63, 0, 1, s17
	v_cmp_gt_i32_e64 s17, 0, v65
	s_delay_alu instid0(VALU_DEP_2) | instskip(SKIP_2) | instid1(VALU_DEP_2)
	v_cmp_ne_u32_e32 vcc_lo, 0, v63
	v_not_b32_e32 v63, v65
	v_bitop3_b32 v62, vcc_lo, exec_lo, v62 bitop3:0x48
	v_dual_ashrrev_i32 v63, 31, v63 :: v_dual_lshlrev_b32 v154, 29, v64
	v_dual_lshlrev_b32 v155, 28, v64 :: v_dual_lshlrev_b32 v156, 27, v64
	v_lshlrev_b32_e32 v157, 26, v64
	s_delay_alu instid0(VALU_DEP_3)
	v_not_b32_e32 v65, v154
	v_lshlrev_b32_e32 v158, 25, v64
	v_cmp_gt_i32_e64 s18, 0, v154
	v_cmp_gt_i32_e64 s19, 0, v155
	v_not_b32_e32 v154, v155
	v_not_b32_e32 v155, v156
	v_ashrrev_i32_e32 v65, 31, v65
	v_cmp_gt_i32_e64 s20, 0, v156
	v_cmp_gt_i32_e64 s21, 0, v157
	v_not_b32_e32 v156, v157
	v_dual_ashrrev_i32 v154, 31, v154 :: v_dual_ashrrev_i32 v155, 31, v155
	v_xor_b32_e32 v63, s17, v63
	v_xor_b32_e32 v65, s18, v65
	v_not_b32_e32 v157, v158
	s_delay_alu instid0(VALU_DEP_4) | instskip(SKIP_1) | instid1(VALU_DEP_4)
	v_dual_ashrrev_i32 v156, 31, v156 :: v_dual_bitop2_b32 v154, s19, v154 bitop3:0x14
	v_xor_b32_e32 v155, s20, v155
	v_bitop3_b32 v62, v62, v65, v63 bitop3:0x80
	v_cmp_gt_i32_e32 vcc_lo, 0, v158
	v_ashrrev_i32_e32 v63, 31, v157
	v_mad_u32_u24 v65, v64, 36, v114
	v_xor_b32_e32 v156, s21, v156
	v_bitop3_b32 v62, v62, v155, v154 bitop3:0x80
	s_delay_alu instid0(VALU_DEP_4) | instskip(SKIP_3) | instid1(VALU_DEP_2)
	v_xor_b32_e32 v63, vcc_lo, v63
	ds_load_b32 v154, v65 offset:544
	; wave barrier
	v_bitop3_b32 v62, v62, v63, v156 bitop3:0x80
	v_mul_u32_u24_e32 v63, 36, v64
	v_mbcnt_lo_u32_b32 v155, v62, 0
	v_cmp_ne_u32_e64 s17, 0, v62
	s_delay_alu instid0(VALU_DEP_3) | instskip(NEXT) | instid1(VALU_DEP_3)
	v_add_nc_u32_e32 v156, v114, v63
	v_cmp_eq_u32_e32 vcc_lo, 0, v155
	s_and_b32 s18, s17, vcc_lo
	s_delay_alu instid0(SALU_CYCLE_1)
	s_and_saveexec_b32 s17, s18
	s_cbranch_execz .LBB214_150
; %bb.149:                              ;   in Loop: Header=BB214_108 Depth=2
	s_wait_dscnt 0x0
	v_bcnt_u32_b32 v62, v62, v154
	ds_store_b32 v156, v62 offset:544
.LBB214_150:                            ;   in Loop: Header=BB214_108 Depth=2
	s_or_b32 exec_lo, exec_lo, s17
	v_and_b32_e32 v62, 0xff, v137
	; wave barrier
	s_delay_alu instid0(VALU_DEP_1) | instskip(NEXT) | instid1(VALU_DEP_1)
	v_lshrrev_b32_e32 v62, s43, v62
	v_and_b32_e32 v64, s48, v62
	s_delay_alu instid0(VALU_DEP_1) | instskip(SKIP_1) | instid1(VALU_DEP_1)
	v_lshlrev_b32_e32 v65, 30, v64
	v_bitop3_b32 v63, v62, 1, s48 bitop3:0x80
	v_add_co_u32 v62, s17, v63, -1
	s_delay_alu instid0(VALU_DEP_1) | instskip(NEXT) | instid1(VALU_DEP_4)
	v_cndmask_b32_e64 v63, 0, 1, s17
	v_cmp_gt_i32_e64 s17, 0, v65
	s_delay_alu instid0(VALU_DEP_2) | instskip(SKIP_2) | instid1(VALU_DEP_2)
	v_cmp_ne_u32_e32 vcc_lo, 0, v63
	v_not_b32_e32 v63, v65
	v_bitop3_b32 v62, vcc_lo, exec_lo, v62 bitop3:0x48
	v_dual_ashrrev_i32 v63, 31, v63 :: v_dual_lshlrev_b32 v157, 29, v64
	v_dual_lshlrev_b32 v158, 28, v64 :: v_dual_lshlrev_b32 v159, 27, v64
	s_delay_alu instid0(VALU_DEP_2) | instskip(NEXT) | instid1(VALU_DEP_3)
	v_dual_lshlrev_b32 v160, 26, v64 :: v_dual_bitop2_b32 v63, s17, v63 bitop3:0x14
	v_not_b32_e32 v65, v157
	v_lshlrev_b32_e32 v161, 25, v64
	v_cmp_gt_i32_e64 s18, 0, v157
	v_cmp_gt_i32_e64 s19, 0, v158
	v_not_b32_e32 v157, v158
	v_not_b32_e32 v158, v159
	v_ashrrev_i32_e32 v65, 31, v65
	v_cmp_gt_i32_e64 s20, 0, v159
	v_cmp_gt_i32_e64 s21, 0, v160
	v_not_b32_e32 v159, v160
	v_dual_ashrrev_i32 v157, 31, v157 :: v_dual_ashrrev_i32 v158, 31, v158
	v_xor_b32_e32 v65, s18, v65
	v_not_b32_e32 v160, v161
	s_delay_alu instid0(VALU_DEP_3) | instskip(NEXT) | instid1(VALU_DEP_4)
	v_dual_ashrrev_i32 v159, 31, v159 :: v_dual_bitop2_b32 v157, s19, v157 bitop3:0x14
	v_xor_b32_e32 v158, s20, v158
	s_delay_alu instid0(VALU_DEP_4)
	v_bitop3_b32 v62, v62, v65, v63 bitop3:0x80
	v_cmp_gt_i32_e32 vcc_lo, 0, v161
	v_ashrrev_i32_e32 v63, 31, v160
	v_mad_u32_u24 v65, v64, 36, v114
	v_xor_b32_e32 v159, s21, v159
	v_bitop3_b32 v62, v62, v158, v157 bitop3:0x80
	s_delay_alu instid0(VALU_DEP_4) | instskip(SKIP_3) | instid1(VALU_DEP_2)
	v_xor_b32_e32 v63, vcc_lo, v63
	ds_load_b32 v157, v65 offset:544
	; wave barrier
	v_bitop3_b32 v62, v62, v63, v159 bitop3:0x80
	v_mul_u32_u24_e32 v63, 36, v64
	v_mbcnt_lo_u32_b32 v158, v62, 0
	v_cmp_ne_u32_e64 s17, 0, v62
	s_delay_alu instid0(VALU_DEP_3) | instskip(NEXT) | instid1(VALU_DEP_3)
	v_add_nc_u32_e32 v159, v114, v63
	v_cmp_eq_u32_e32 vcc_lo, 0, v158
	s_and_b32 s18, s17, vcc_lo
	s_delay_alu instid0(SALU_CYCLE_1)
	s_and_saveexec_b32 s17, s18
	s_cbranch_execz .LBB214_152
; %bb.151:                              ;   in Loop: Header=BB214_108 Depth=2
	s_wait_dscnt 0x0
	v_bcnt_u32_b32 v62, v62, v157
	ds_store_b32 v159, v62 offset:544
.LBB214_152:                            ;   in Loop: Header=BB214_108 Depth=2
	s_or_b32 exec_lo, exec_lo, s17
	v_and_b32_e32 v62, 0xff, v138
	; wave barrier
	s_delay_alu instid0(VALU_DEP_1) | instskip(NEXT) | instid1(VALU_DEP_1)
	v_lshrrev_b32_e32 v62, s43, v62
	v_and_b32_e32 v64, s48, v62
	s_delay_alu instid0(VALU_DEP_1) | instskip(SKIP_1) | instid1(VALU_DEP_1)
	v_lshlrev_b32_e32 v65, 30, v64
	v_bitop3_b32 v63, v62, 1, s48 bitop3:0x80
	v_add_co_u32 v62, s17, v63, -1
	s_delay_alu instid0(VALU_DEP_1) | instskip(NEXT) | instid1(VALU_DEP_4)
	v_cndmask_b32_e64 v63, 0, 1, s17
	v_cmp_gt_i32_e64 s17, 0, v65
	s_delay_alu instid0(VALU_DEP_2) | instskip(SKIP_2) | instid1(VALU_DEP_2)
	v_cmp_ne_u32_e32 vcc_lo, 0, v63
	v_not_b32_e32 v63, v65
	v_bitop3_b32 v62, vcc_lo, exec_lo, v62 bitop3:0x48
	v_dual_ashrrev_i32 v63, 31, v63 :: v_dual_lshlrev_b32 v160, 29, v64
	v_dual_lshlrev_b32 v161, 28, v64 :: v_dual_lshlrev_b32 v162, 27, v64
	v_lshlrev_b32_e32 v163, 26, v64
	s_delay_alu instid0(VALU_DEP_3)
	v_not_b32_e32 v65, v160
	v_lshlrev_b32_e32 v164, 25, v64
	v_cmp_gt_i32_e64 s18, 0, v160
	v_cmp_gt_i32_e64 s19, 0, v161
	v_not_b32_e32 v160, v161
	v_not_b32_e32 v161, v162
	v_ashrrev_i32_e32 v65, 31, v65
	v_cmp_gt_i32_e64 s20, 0, v162
	v_cmp_gt_i32_e64 s21, 0, v163
	v_not_b32_e32 v162, v163
	v_dual_ashrrev_i32 v160, 31, v160 :: v_dual_ashrrev_i32 v161, 31, v161
	v_xor_b32_e32 v63, s17, v63
	v_not_b32_e32 v163, v164
	s_delay_alu instid0(VALU_DEP_4) | instskip(NEXT) | instid1(VALU_DEP_4)
	v_dual_ashrrev_i32 v162, 31, v162 :: v_dual_bitop2_b32 v65, s18, v65 bitop3:0x14
	v_xor_b32_e32 v160, s19, v160
	v_xor_b32_e32 v161, s20, v161
	v_cmp_gt_i32_e32 vcc_lo, 0, v164
	s_delay_alu instid0(VALU_DEP_4) | instskip(SKIP_3) | instid1(VALU_DEP_4)
	v_bitop3_b32 v62, v62, v65, v63 bitop3:0x80
	v_ashrrev_i32_e32 v63, 31, v163
	v_mad_u32_u24 v65, v64, 36, v114
	v_xor_b32_e32 v162, s21, v162
	v_bitop3_b32 v62, v62, v161, v160 bitop3:0x80
	s_delay_alu instid0(VALU_DEP_4) | instskip(SKIP_3) | instid1(VALU_DEP_2)
	v_xor_b32_e32 v63, vcc_lo, v63
	ds_load_b32 v160, v65 offset:544
	; wave barrier
	v_bitop3_b32 v62, v62, v63, v162 bitop3:0x80
	v_mul_u32_u24_e32 v63, 36, v64
	v_mbcnt_lo_u32_b32 v161, v62, 0
	v_cmp_ne_u32_e64 s17, 0, v62
	s_delay_alu instid0(VALU_DEP_3) | instskip(NEXT) | instid1(VALU_DEP_3)
	v_add_nc_u32_e32 v162, v114, v63
	v_cmp_eq_u32_e32 vcc_lo, 0, v161
	s_and_b32 s18, s17, vcc_lo
	s_delay_alu instid0(SALU_CYCLE_1)
	s_and_saveexec_b32 s17, s18
	s_cbranch_execz .LBB214_154
; %bb.153:                              ;   in Loop: Header=BB214_108 Depth=2
	s_wait_dscnt 0x0
	v_bcnt_u32_b32 v62, v62, v160
	ds_store_b32 v162, v62 offset:544
.LBB214_154:                            ;   in Loop: Header=BB214_108 Depth=2
	s_or_b32 exec_lo, exec_lo, s17
	v_and_b32_e32 v62, 0xff, v139
	; wave barrier
	s_delay_alu instid0(VALU_DEP_1) | instskip(NEXT) | instid1(VALU_DEP_1)
	v_lshrrev_b32_e32 v62, s43, v62
	v_and_b32_e32 v64, s48, v62
	s_delay_alu instid0(VALU_DEP_1) | instskip(SKIP_1) | instid1(VALU_DEP_1)
	v_lshlrev_b32_e32 v65, 30, v64
	v_bitop3_b32 v63, v62, 1, s48 bitop3:0x80
	v_add_co_u32 v62, s17, v63, -1
	s_delay_alu instid0(VALU_DEP_1) | instskip(NEXT) | instid1(VALU_DEP_4)
	v_cndmask_b32_e64 v63, 0, 1, s17
	v_cmp_gt_i32_e64 s17, 0, v65
	s_delay_alu instid0(VALU_DEP_2) | instskip(SKIP_2) | instid1(VALU_DEP_2)
	v_cmp_ne_u32_e32 vcc_lo, 0, v63
	v_not_b32_e32 v63, v65
	v_bitop3_b32 v62, vcc_lo, exec_lo, v62 bitop3:0x48
	v_dual_ashrrev_i32 v63, 31, v63 :: v_dual_lshlrev_b32 v163, 29, v64
	v_dual_lshlrev_b32 v164, 28, v64 :: v_dual_lshlrev_b32 v165, 27, v64
	v_lshlrev_b32_e32 v166, 26, v64
	s_delay_alu instid0(VALU_DEP_3)
	v_not_b32_e32 v65, v163
	v_lshlrev_b32_e32 v167, 25, v64
	v_cmp_gt_i32_e64 s18, 0, v163
	v_cmp_gt_i32_e64 s19, 0, v164
	v_not_b32_e32 v163, v164
	v_not_b32_e32 v164, v165
	v_ashrrev_i32_e32 v65, 31, v65
	v_cmp_gt_i32_e64 s20, 0, v165
	v_cmp_gt_i32_e64 s21, 0, v166
	v_not_b32_e32 v165, v166
	v_dual_ashrrev_i32 v163, 31, v163 :: v_dual_ashrrev_i32 v164, 31, v164
	v_xor_b32_e32 v63, s17, v63
	v_not_b32_e32 v166, v167
	v_xor_b32_e32 v65, s18, v65
	s_delay_alu instid0(VALU_DEP_4) | instskip(SKIP_2) | instid1(VALU_DEP_4)
	v_dual_ashrrev_i32 v165, 31, v165 :: v_dual_bitop2_b32 v163, s19, v163 bitop3:0x14
	v_xor_b32_e32 v164, s20, v164
	v_cmp_gt_i32_e32 vcc_lo, 0, v167
	v_bitop3_b32 v62, v62, v65, v63 bitop3:0x80
	v_ashrrev_i32_e32 v63, 31, v166
	v_mad_u32_u24 v65, v64, 36, v114
	v_xor_b32_e32 v165, s21, v165
	s_delay_alu instid0(VALU_DEP_4) | instskip(NEXT) | instid1(VALU_DEP_4)
	v_bitop3_b32 v62, v62, v164, v163 bitop3:0x80
	v_xor_b32_e32 v63, vcc_lo, v63
	ds_load_b32 v163, v65 offset:544
	; wave barrier
	v_bitop3_b32 v62, v62, v63, v165 bitop3:0x80
	v_mul_u32_u24_e32 v63, 36, v64
	s_delay_alu instid0(VALU_DEP_2) | instskip(SKIP_1) | instid1(VALU_DEP_3)
	v_mbcnt_lo_u32_b32 v164, v62, 0
	v_cmp_ne_u32_e64 s17, 0, v62
	v_add_nc_u32_e32 v165, v114, v63
	s_delay_alu instid0(VALU_DEP_3) | instskip(SKIP_1) | instid1(SALU_CYCLE_1)
	v_cmp_eq_u32_e32 vcc_lo, 0, v164
	s_and_b32 s18, s17, vcc_lo
	s_and_saveexec_b32 s17, s18
	s_cbranch_execz .LBB214_156
; %bb.155:                              ;   in Loop: Header=BB214_108 Depth=2
	s_wait_dscnt 0x0
	v_bcnt_u32_b32 v62, v62, v163
	ds_store_b32 v165, v62 offset:544
.LBB214_156:                            ;   in Loop: Header=BB214_108 Depth=2
	s_or_b32 exec_lo, exec_lo, s17
	v_and_b32_e32 v62, 0xff, v140
	; wave barrier
	s_delay_alu instid0(VALU_DEP_1) | instskip(NEXT) | instid1(VALU_DEP_1)
	v_lshrrev_b32_e32 v62, s43, v62
	v_and_b32_e32 v64, s48, v62
	s_delay_alu instid0(VALU_DEP_1) | instskip(SKIP_1) | instid1(VALU_DEP_1)
	v_lshlrev_b32_e32 v65, 30, v64
	v_bitop3_b32 v63, v62, 1, s48 bitop3:0x80
	v_add_co_u32 v62, s17, v63, -1
	s_delay_alu instid0(VALU_DEP_1) | instskip(NEXT) | instid1(VALU_DEP_4)
	v_cndmask_b32_e64 v63, 0, 1, s17
	v_cmp_gt_i32_e64 s17, 0, v65
	s_delay_alu instid0(VALU_DEP_2) | instskip(SKIP_2) | instid1(VALU_DEP_2)
	v_cmp_ne_u32_e32 vcc_lo, 0, v63
	v_not_b32_e32 v63, v65
	v_bitop3_b32 v62, vcc_lo, exec_lo, v62 bitop3:0x48
	v_dual_ashrrev_i32 v63, 31, v63 :: v_dual_lshlrev_b32 v166, 29, v64
	v_dual_lshlrev_b32 v167, 28, v64 :: v_dual_lshlrev_b32 v168, 27, v64
	v_lshlrev_b32_e32 v169, 26, v64
	s_delay_alu instid0(VALU_DEP_3)
	v_not_b32_e32 v65, v166
	v_lshlrev_b32_e32 v170, 25, v64
	v_cmp_gt_i32_e64 s18, 0, v166
	v_cmp_gt_i32_e64 s19, 0, v167
	v_not_b32_e32 v166, v167
	v_not_b32_e32 v167, v168
	v_ashrrev_i32_e32 v65, 31, v65
	v_cmp_gt_i32_e64 s20, 0, v168
	v_cmp_gt_i32_e64 s21, 0, v169
	v_not_b32_e32 v168, v169
	v_dual_ashrrev_i32 v166, 31, v166 :: v_dual_ashrrev_i32 v167, 31, v167
	v_xor_b32_e32 v63, s17, v63
	v_xor_b32_e32 v65, s18, v65
	v_not_b32_e32 v169, v170
	s_delay_alu instid0(VALU_DEP_4) | instskip(SKIP_1) | instid1(VALU_DEP_4)
	v_dual_ashrrev_i32 v168, 31, v168 :: v_dual_bitop2_b32 v166, s19, v166 bitop3:0x14
	v_xor_b32_e32 v167, s20, v167
	v_bitop3_b32 v62, v62, v65, v63 bitop3:0x80
	v_cmp_gt_i32_e32 vcc_lo, 0, v170
	v_ashrrev_i32_e32 v63, 31, v169
	v_mad_u32_u24 v65, v64, 36, v114
	v_xor_b32_e32 v168, s21, v168
	v_bitop3_b32 v62, v62, v167, v166 bitop3:0x80
	s_delay_alu instid0(VALU_DEP_4) | instskip(SKIP_3) | instid1(VALU_DEP_2)
	v_xor_b32_e32 v63, vcc_lo, v63
	ds_load_b32 v166, v65 offset:544
	; wave barrier
	v_bitop3_b32 v62, v62, v63, v168 bitop3:0x80
	v_mul_u32_u24_e32 v63, 36, v64
	v_mbcnt_lo_u32_b32 v167, v62, 0
	v_cmp_ne_u32_e64 s17, 0, v62
	s_delay_alu instid0(VALU_DEP_3) | instskip(NEXT) | instid1(VALU_DEP_3)
	v_add_nc_u32_e32 v168, v114, v63
	v_cmp_eq_u32_e32 vcc_lo, 0, v167
	s_and_b32 s18, s17, vcc_lo
	s_delay_alu instid0(SALU_CYCLE_1)
	s_and_saveexec_b32 s17, s18
	s_cbranch_execz .LBB214_158
; %bb.157:                              ;   in Loop: Header=BB214_108 Depth=2
	s_wait_dscnt 0x0
	v_bcnt_u32_b32 v62, v62, v166
	ds_store_b32 v168, v62 offset:544
.LBB214_158:                            ;   in Loop: Header=BB214_108 Depth=2
	s_or_b32 exec_lo, exec_lo, s17
	v_and_b32_e32 v62, 0xff, v141
	; wave barrier
	s_delay_alu instid0(VALU_DEP_1) | instskip(NEXT) | instid1(VALU_DEP_1)
	v_lshrrev_b32_e32 v62, s43, v62
	v_and_b32_e32 v64, s48, v62
	s_delay_alu instid0(VALU_DEP_1) | instskip(SKIP_1) | instid1(VALU_DEP_1)
	v_lshlrev_b32_e32 v65, 30, v64
	v_bitop3_b32 v63, v62, 1, s48 bitop3:0x80
	v_add_co_u32 v62, s17, v63, -1
	s_delay_alu instid0(VALU_DEP_1) | instskip(NEXT) | instid1(VALU_DEP_4)
	v_cndmask_b32_e64 v63, 0, 1, s17
	v_cmp_gt_i32_e64 s17, 0, v65
	s_delay_alu instid0(VALU_DEP_2) | instskip(SKIP_2) | instid1(VALU_DEP_2)
	v_cmp_ne_u32_e32 vcc_lo, 0, v63
	v_not_b32_e32 v63, v65
	v_bitop3_b32 v62, vcc_lo, exec_lo, v62 bitop3:0x48
	v_dual_ashrrev_i32 v63, 31, v63 :: v_dual_lshlrev_b32 v169, 29, v64
	v_dual_lshlrev_b32 v170, 28, v64 :: v_dual_lshlrev_b32 v171, 27, v64
	s_delay_alu instid0(VALU_DEP_2) | instskip(NEXT) | instid1(VALU_DEP_3)
	v_dual_lshlrev_b32 v172, 26, v64 :: v_dual_bitop2_b32 v63, s17, v63 bitop3:0x14
	v_not_b32_e32 v65, v169
	v_lshlrev_b32_e32 v173, 25, v64
	v_cmp_gt_i32_e64 s18, 0, v169
	v_cmp_gt_i32_e64 s19, 0, v170
	v_not_b32_e32 v169, v170
	v_not_b32_e32 v170, v171
	v_ashrrev_i32_e32 v65, 31, v65
	v_cmp_gt_i32_e64 s20, 0, v171
	v_cmp_gt_i32_e64 s21, 0, v172
	v_not_b32_e32 v171, v172
	v_dual_ashrrev_i32 v169, 31, v169 :: v_dual_ashrrev_i32 v170, 31, v170
	v_xor_b32_e32 v65, s18, v65
	v_not_b32_e32 v172, v173
	s_delay_alu instid0(VALU_DEP_3) | instskip(NEXT) | instid1(VALU_DEP_4)
	v_dual_ashrrev_i32 v171, 31, v171 :: v_dual_bitop2_b32 v169, s19, v169 bitop3:0x14
	v_xor_b32_e32 v170, s20, v170
	s_delay_alu instid0(VALU_DEP_4)
	v_bitop3_b32 v62, v62, v65, v63 bitop3:0x80
	v_cmp_gt_i32_e32 vcc_lo, 0, v173
	v_ashrrev_i32_e32 v63, 31, v172
	v_mad_u32_u24 v65, v64, 36, v114
	v_xor_b32_e32 v171, s21, v171
	v_bitop3_b32 v62, v62, v170, v169 bitop3:0x80
	s_delay_alu instid0(VALU_DEP_4) | instskip(SKIP_3) | instid1(VALU_DEP_2)
	v_xor_b32_e32 v63, vcc_lo, v63
	ds_load_b32 v169, v65 offset:544
	; wave barrier
	v_bitop3_b32 v62, v62, v63, v171 bitop3:0x80
	v_mul_u32_u24_e32 v63, 36, v64
	v_mbcnt_lo_u32_b32 v170, v62, 0
	v_cmp_ne_u32_e64 s17, 0, v62
	s_delay_alu instid0(VALU_DEP_3) | instskip(NEXT) | instid1(VALU_DEP_3)
	v_add_nc_u32_e32 v171, v114, v63
	v_cmp_eq_u32_e32 vcc_lo, 0, v170
	s_and_b32 s18, s17, vcc_lo
	s_delay_alu instid0(SALU_CYCLE_1)
	s_and_saveexec_b32 s17, s18
	s_cbranch_execz .LBB214_160
; %bb.159:                              ;   in Loop: Header=BB214_108 Depth=2
	s_wait_dscnt 0x0
	v_bcnt_u32_b32 v62, v62, v169
	ds_store_b32 v171, v62 offset:544
.LBB214_160:                            ;   in Loop: Header=BB214_108 Depth=2
	s_or_b32 exec_lo, exec_lo, s17
	v_and_b32_e32 v62, 0xff, v142
	; wave barrier
	s_delay_alu instid0(VALU_DEP_1) | instskip(NEXT) | instid1(VALU_DEP_1)
	v_lshrrev_b32_e32 v62, s43, v62
	v_and_b32_e32 v64, s48, v62
	s_delay_alu instid0(VALU_DEP_1) | instskip(SKIP_1) | instid1(VALU_DEP_1)
	v_lshlrev_b32_e32 v65, 30, v64
	v_bitop3_b32 v63, v62, 1, s48 bitop3:0x80
	v_add_co_u32 v62, s17, v63, -1
	s_delay_alu instid0(VALU_DEP_1) | instskip(NEXT) | instid1(VALU_DEP_4)
	v_cndmask_b32_e64 v63, 0, 1, s17
	v_cmp_gt_i32_e64 s17, 0, v65
	s_delay_alu instid0(VALU_DEP_2) | instskip(SKIP_2) | instid1(VALU_DEP_2)
	v_cmp_ne_u32_e32 vcc_lo, 0, v63
	v_not_b32_e32 v63, v65
	v_bitop3_b32 v62, vcc_lo, exec_lo, v62 bitop3:0x48
	v_dual_ashrrev_i32 v63, 31, v63 :: v_dual_lshlrev_b32 v172, 29, v64
	v_dual_lshlrev_b32 v173, 28, v64 :: v_dual_lshlrev_b32 v174, 27, v64
	v_lshlrev_b32_e32 v175, 26, v64
	s_delay_alu instid0(VALU_DEP_3)
	v_not_b32_e32 v65, v172
	v_lshlrev_b32_e32 v176, 25, v64
	v_cmp_gt_i32_e64 s18, 0, v172
	v_cmp_gt_i32_e64 s19, 0, v173
	v_not_b32_e32 v172, v173
	v_not_b32_e32 v173, v174
	v_ashrrev_i32_e32 v65, 31, v65
	v_cmp_gt_i32_e64 s20, 0, v174
	v_cmp_gt_i32_e64 s21, 0, v175
	v_not_b32_e32 v174, v175
	v_dual_ashrrev_i32 v172, 31, v172 :: v_dual_ashrrev_i32 v173, 31, v173
	v_xor_b32_e32 v63, s17, v63
	v_not_b32_e32 v175, v176
	s_delay_alu instid0(VALU_DEP_4) | instskip(NEXT) | instid1(VALU_DEP_4)
	v_dual_ashrrev_i32 v174, 31, v174 :: v_dual_bitop2_b32 v65, s18, v65 bitop3:0x14
	v_xor_b32_e32 v172, s19, v172
	v_xor_b32_e32 v173, s20, v173
	v_cmp_gt_i32_e32 vcc_lo, 0, v176
	s_delay_alu instid0(VALU_DEP_4) | instskip(SKIP_3) | instid1(VALU_DEP_4)
	v_bitop3_b32 v62, v62, v65, v63 bitop3:0x80
	v_ashrrev_i32_e32 v63, 31, v175
	v_mad_u32_u24 v65, v64, 36, v114
	v_xor_b32_e32 v174, s21, v174
	v_bitop3_b32 v62, v62, v173, v172 bitop3:0x80
	s_delay_alu instid0(VALU_DEP_4) | instskip(SKIP_3) | instid1(VALU_DEP_2)
	v_xor_b32_e32 v63, vcc_lo, v63
	ds_load_b32 v172, v65 offset:544
	; wave barrier
	v_bitop3_b32 v62, v62, v63, v174 bitop3:0x80
	v_mul_u32_u24_e32 v63, 36, v64
	v_mbcnt_lo_u32_b32 v173, v62, 0
	v_cmp_ne_u32_e64 s17, 0, v62
	s_delay_alu instid0(VALU_DEP_3) | instskip(NEXT) | instid1(VALU_DEP_3)
	v_add_nc_u32_e32 v174, v114, v63
	v_cmp_eq_u32_e32 vcc_lo, 0, v173
	s_and_b32 s18, s17, vcc_lo
	s_delay_alu instid0(SALU_CYCLE_1)
	s_and_saveexec_b32 s17, s18
	s_cbranch_execz .LBB214_162
; %bb.161:                              ;   in Loop: Header=BB214_108 Depth=2
	s_wait_dscnt 0x0
	v_bcnt_u32_b32 v62, v62, v172
	ds_store_b32 v174, v62 offset:544
.LBB214_162:                            ;   in Loop: Header=BB214_108 Depth=2
	s_or_b32 exec_lo, exec_lo, s17
	v_and_b32_e32 v62, 0xff, v143
	; wave barrier
	s_delay_alu instid0(VALU_DEP_1) | instskip(NEXT) | instid1(VALU_DEP_1)
	v_lshrrev_b32_e32 v62, s43, v62
	v_and_b32_e32 v64, s48, v62
	s_delay_alu instid0(VALU_DEP_1) | instskip(SKIP_1) | instid1(VALU_DEP_1)
	v_lshlrev_b32_e32 v65, 30, v64
	v_bitop3_b32 v63, v62, 1, s48 bitop3:0x80
	v_add_co_u32 v62, s17, v63, -1
	s_delay_alu instid0(VALU_DEP_1) | instskip(NEXT) | instid1(VALU_DEP_4)
	v_cndmask_b32_e64 v63, 0, 1, s17
	v_cmp_gt_i32_e64 s17, 0, v65
	s_delay_alu instid0(VALU_DEP_2) | instskip(SKIP_2) | instid1(VALU_DEP_2)
	v_cmp_ne_u32_e32 vcc_lo, 0, v63
	v_not_b32_e32 v63, v65
	v_bitop3_b32 v62, vcc_lo, exec_lo, v62 bitop3:0x48
	v_dual_ashrrev_i32 v63, 31, v63 :: v_dual_lshlrev_b32 v175, 29, v64
	v_dual_lshlrev_b32 v176, 28, v64 :: v_dual_lshlrev_b32 v177, 27, v64
	v_lshlrev_b32_e32 v178, 26, v64
	s_delay_alu instid0(VALU_DEP_3)
	v_not_b32_e32 v65, v175
	v_lshlrev_b32_e32 v179, 25, v64
	v_cmp_gt_i32_e64 s18, 0, v175
	v_cmp_gt_i32_e64 s19, 0, v176
	v_not_b32_e32 v175, v176
	v_not_b32_e32 v176, v177
	v_ashrrev_i32_e32 v65, 31, v65
	v_cmp_gt_i32_e64 s20, 0, v177
	v_cmp_gt_i32_e64 s21, 0, v178
	v_not_b32_e32 v177, v178
	v_dual_ashrrev_i32 v175, 31, v175 :: v_dual_ashrrev_i32 v176, 31, v176
	v_xor_b32_e32 v63, s17, v63
	v_not_b32_e32 v178, v179
	v_xor_b32_e32 v65, s18, v65
	s_delay_alu instid0(VALU_DEP_4) | instskip(SKIP_2) | instid1(VALU_DEP_4)
	v_dual_ashrrev_i32 v177, 31, v177 :: v_dual_bitop2_b32 v175, s19, v175 bitop3:0x14
	v_xor_b32_e32 v176, s20, v176
	v_cmp_gt_i32_e32 vcc_lo, 0, v179
	v_bitop3_b32 v62, v62, v65, v63 bitop3:0x80
	v_ashrrev_i32_e32 v63, 31, v178
	v_mad_u32_u24 v65, v64, 36, v114
	v_xor_b32_e32 v177, s21, v177
	s_delay_alu instid0(VALU_DEP_4) | instskip(NEXT) | instid1(VALU_DEP_4)
	v_bitop3_b32 v62, v62, v176, v175 bitop3:0x80
	v_xor_b32_e32 v63, vcc_lo, v63
	ds_load_b32 v175, v65 offset:544
	; wave barrier
	v_bitop3_b32 v62, v62, v63, v177 bitop3:0x80
	v_mul_u32_u24_e32 v63, 36, v64
	s_delay_alu instid0(VALU_DEP_2) | instskip(SKIP_1) | instid1(VALU_DEP_3)
	v_mbcnt_lo_u32_b32 v176, v62, 0
	v_cmp_ne_u32_e64 s17, 0, v62
	v_add_nc_u32_e32 v177, v114, v63
	s_delay_alu instid0(VALU_DEP_3) | instskip(SKIP_1) | instid1(SALU_CYCLE_1)
	v_cmp_eq_u32_e32 vcc_lo, 0, v176
	s_and_b32 s18, s17, vcc_lo
	s_and_saveexec_b32 s17, s18
	s_cbranch_execz .LBB214_164
; %bb.163:                              ;   in Loop: Header=BB214_108 Depth=2
	s_wait_dscnt 0x0
	v_bcnt_u32_b32 v62, v62, v175
	ds_store_b32 v177, v62 offset:544
.LBB214_164:                            ;   in Loop: Header=BB214_108 Depth=2
	s_or_b32 exec_lo, exec_lo, s17
	v_and_b32_e32 v62, 0xff, v144
	; wave barrier
	s_delay_alu instid0(VALU_DEP_1) | instskip(NEXT) | instid1(VALU_DEP_1)
	v_lshrrev_b32_e32 v62, s43, v62
	v_and_b32_e32 v64, s48, v62
	s_delay_alu instid0(VALU_DEP_1) | instskip(SKIP_1) | instid1(VALU_DEP_1)
	v_lshlrev_b32_e32 v65, 30, v64
	v_bitop3_b32 v63, v62, 1, s48 bitop3:0x80
	v_add_co_u32 v62, s17, v63, -1
	s_delay_alu instid0(VALU_DEP_1) | instskip(NEXT) | instid1(VALU_DEP_4)
	v_cndmask_b32_e64 v63, 0, 1, s17
	v_cmp_gt_i32_e64 s17, 0, v65
	s_delay_alu instid0(VALU_DEP_2) | instskip(SKIP_2) | instid1(VALU_DEP_2)
	v_cmp_ne_u32_e32 vcc_lo, 0, v63
	v_not_b32_e32 v63, v65
	v_bitop3_b32 v62, vcc_lo, exec_lo, v62 bitop3:0x48
	v_dual_ashrrev_i32 v63, 31, v63 :: v_dual_lshlrev_b32 v178, 29, v64
	v_dual_lshlrev_b32 v179, 28, v64 :: v_dual_lshlrev_b32 v180, 27, v64
	v_lshlrev_b32_e32 v181, 26, v64
	s_delay_alu instid0(VALU_DEP_3)
	v_not_b32_e32 v65, v178
	v_lshlrev_b32_e32 v182, 25, v64
	v_cmp_gt_i32_e64 s18, 0, v178
	v_cmp_gt_i32_e64 s19, 0, v179
	v_not_b32_e32 v178, v179
	v_not_b32_e32 v179, v180
	v_ashrrev_i32_e32 v65, 31, v65
	v_cmp_gt_i32_e64 s20, 0, v180
	v_cmp_gt_i32_e64 s21, 0, v181
	v_not_b32_e32 v180, v181
	v_dual_ashrrev_i32 v178, 31, v178 :: v_dual_ashrrev_i32 v179, 31, v179
	v_xor_b32_e32 v63, s17, v63
	v_xor_b32_e32 v65, s18, v65
	v_not_b32_e32 v181, v182
	s_delay_alu instid0(VALU_DEP_4) | instskip(SKIP_1) | instid1(VALU_DEP_4)
	v_dual_ashrrev_i32 v180, 31, v180 :: v_dual_bitop2_b32 v178, s19, v178 bitop3:0x14
	v_xor_b32_e32 v179, s20, v179
	v_bitop3_b32 v62, v62, v65, v63 bitop3:0x80
	v_cmp_gt_i32_e32 vcc_lo, 0, v182
	v_ashrrev_i32_e32 v63, 31, v181
	v_mad_u32_u24 v65, v64, 36, v114
	v_xor_b32_e32 v180, s21, v180
	v_bitop3_b32 v62, v62, v179, v178 bitop3:0x80
	s_delay_alu instid0(VALU_DEP_4) | instskip(SKIP_3) | instid1(VALU_DEP_2)
	v_xor_b32_e32 v63, vcc_lo, v63
	ds_load_b32 v178, v65 offset:544
	; wave barrier
	v_bitop3_b32 v62, v62, v63, v180 bitop3:0x80
	v_mul_u32_u24_e32 v63, 36, v64
	v_mbcnt_lo_u32_b32 v179, v62, 0
	v_cmp_ne_u32_e64 s17, 0, v62
	s_delay_alu instid0(VALU_DEP_3) | instskip(NEXT) | instid1(VALU_DEP_3)
	v_add_nc_u32_e32 v180, v114, v63
	v_cmp_eq_u32_e32 vcc_lo, 0, v179
	s_and_b32 s18, s17, vcc_lo
	s_delay_alu instid0(SALU_CYCLE_1)
	s_and_saveexec_b32 s17, s18
	s_cbranch_execz .LBB214_166
; %bb.165:                              ;   in Loop: Header=BB214_108 Depth=2
	s_wait_dscnt 0x0
	v_bcnt_u32_b32 v62, v62, v178
	ds_store_b32 v180, v62 offset:544
.LBB214_166:                            ;   in Loop: Header=BB214_108 Depth=2
	s_or_b32 exec_lo, exec_lo, s17
	v_and_b32_e32 v62, 0xff, v145
	; wave barrier
	s_delay_alu instid0(VALU_DEP_1) | instskip(NEXT) | instid1(VALU_DEP_1)
	v_lshrrev_b32_e32 v62, s43, v62
	v_and_b32_e32 v64, s48, v62
	s_delay_alu instid0(VALU_DEP_1) | instskip(SKIP_1) | instid1(VALU_DEP_1)
	v_lshlrev_b32_e32 v65, 30, v64
	v_bitop3_b32 v63, v62, 1, s48 bitop3:0x80
	v_add_co_u32 v62, s17, v63, -1
	s_delay_alu instid0(VALU_DEP_1) | instskip(NEXT) | instid1(VALU_DEP_4)
	v_cndmask_b32_e64 v63, 0, 1, s17
	v_cmp_gt_i32_e64 s17, 0, v65
	s_delay_alu instid0(VALU_DEP_2) | instskip(SKIP_2) | instid1(VALU_DEP_2)
	v_cmp_ne_u32_e32 vcc_lo, 0, v63
	v_not_b32_e32 v63, v65
	v_bitop3_b32 v62, vcc_lo, exec_lo, v62 bitop3:0x48
	v_dual_ashrrev_i32 v63, 31, v63 :: v_dual_lshlrev_b32 v181, 29, v64
	v_dual_lshlrev_b32 v182, 28, v64 :: v_dual_lshlrev_b32 v183, 27, v64
	s_delay_alu instid0(VALU_DEP_2) | instskip(NEXT) | instid1(VALU_DEP_3)
	v_dual_lshlrev_b32 v184, 26, v64 :: v_dual_bitop2_b32 v63, s17, v63 bitop3:0x14
	v_not_b32_e32 v65, v181
	v_lshlrev_b32_e32 v185, 25, v64
	v_cmp_gt_i32_e64 s18, 0, v181
	v_cmp_gt_i32_e64 s19, 0, v182
	v_not_b32_e32 v181, v182
	v_not_b32_e32 v182, v183
	v_ashrrev_i32_e32 v65, 31, v65
	v_cmp_gt_i32_e64 s20, 0, v183
	v_cmp_gt_i32_e64 s21, 0, v184
	v_not_b32_e32 v183, v184
	v_dual_ashrrev_i32 v181, 31, v181 :: v_dual_ashrrev_i32 v182, 31, v182
	v_xor_b32_e32 v65, s18, v65
	v_not_b32_e32 v184, v185
	s_delay_alu instid0(VALU_DEP_3) | instskip(NEXT) | instid1(VALU_DEP_4)
	v_dual_ashrrev_i32 v183, 31, v183 :: v_dual_bitop2_b32 v181, s19, v181 bitop3:0x14
	v_xor_b32_e32 v182, s20, v182
	s_delay_alu instid0(VALU_DEP_4)
	v_bitop3_b32 v62, v62, v65, v63 bitop3:0x80
	v_cmp_gt_i32_e32 vcc_lo, 0, v185
	v_ashrrev_i32_e32 v63, 31, v184
	v_mad_u32_u24 v65, v64, 36, v114
	v_xor_b32_e32 v183, s21, v183
	v_bitop3_b32 v62, v62, v182, v181 bitop3:0x80
	s_delay_alu instid0(VALU_DEP_4) | instskip(SKIP_3) | instid1(VALU_DEP_2)
	v_xor_b32_e32 v63, vcc_lo, v63
	ds_load_b32 v181, v65 offset:544
	; wave barrier
	v_bitop3_b32 v62, v62, v63, v183 bitop3:0x80
	v_mul_u32_u24_e32 v63, 36, v64
	v_mbcnt_lo_u32_b32 v182, v62, 0
	v_cmp_ne_u32_e64 s17, 0, v62
	s_delay_alu instid0(VALU_DEP_3) | instskip(NEXT) | instid1(VALU_DEP_3)
	v_add_nc_u32_e32 v183, v114, v63
	v_cmp_eq_u32_e32 vcc_lo, 0, v182
	s_and_b32 s18, s17, vcc_lo
	s_delay_alu instid0(SALU_CYCLE_1)
	s_and_saveexec_b32 s17, s18
	s_cbranch_execz .LBB214_168
; %bb.167:                              ;   in Loop: Header=BB214_108 Depth=2
	s_wait_dscnt 0x0
	v_bcnt_u32_b32 v62, v62, v181
	ds_store_b32 v183, v62 offset:544
.LBB214_168:                            ;   in Loop: Header=BB214_108 Depth=2
	s_or_b32 exec_lo, exec_lo, s17
	v_and_b32_e32 v62, 0xff, v146
	; wave barrier
	s_delay_alu instid0(VALU_DEP_1) | instskip(NEXT) | instid1(VALU_DEP_1)
	v_lshrrev_b32_e32 v62, s43, v62
	v_and_b32_e32 v64, s48, v62
	s_delay_alu instid0(VALU_DEP_1) | instskip(SKIP_1) | instid1(VALU_DEP_1)
	v_lshlrev_b32_e32 v65, 30, v64
	v_bitop3_b32 v63, v62, 1, s48 bitop3:0x80
	v_add_co_u32 v62, s17, v63, -1
	s_delay_alu instid0(VALU_DEP_1) | instskip(NEXT) | instid1(VALU_DEP_4)
	v_cndmask_b32_e64 v63, 0, 1, s17
	v_cmp_gt_i32_e64 s17, 0, v65
	s_delay_alu instid0(VALU_DEP_2) | instskip(SKIP_2) | instid1(VALU_DEP_2)
	v_cmp_ne_u32_e32 vcc_lo, 0, v63
	v_not_b32_e32 v63, v65
	v_bitop3_b32 v62, vcc_lo, exec_lo, v62 bitop3:0x48
	v_dual_ashrrev_i32 v63, 31, v63 :: v_dual_lshlrev_b32 v184, 29, v64
	v_dual_lshlrev_b32 v185, 28, v64 :: v_dual_lshlrev_b32 v186, 27, v64
	v_lshlrev_b32_e32 v187, 26, v64
	s_delay_alu instid0(VALU_DEP_3)
	v_not_b32_e32 v65, v184
	v_lshlrev_b32_e32 v188, 25, v64
	v_cmp_gt_i32_e64 s18, 0, v184
	v_cmp_gt_i32_e64 s19, 0, v185
	v_not_b32_e32 v184, v185
	v_not_b32_e32 v185, v186
	v_ashrrev_i32_e32 v65, 31, v65
	v_cmp_gt_i32_e64 s20, 0, v186
	v_cmp_gt_i32_e64 s21, 0, v187
	v_not_b32_e32 v186, v187
	v_dual_ashrrev_i32 v184, 31, v184 :: v_dual_ashrrev_i32 v185, 31, v185
	v_xor_b32_e32 v63, s17, v63
	v_not_b32_e32 v187, v188
	s_delay_alu instid0(VALU_DEP_4) | instskip(NEXT) | instid1(VALU_DEP_4)
	v_dual_ashrrev_i32 v186, 31, v186 :: v_dual_bitop2_b32 v65, s18, v65 bitop3:0x14
	v_xor_b32_e32 v184, s19, v184
	v_xor_b32_e32 v185, s20, v185
	v_cmp_gt_i32_e32 vcc_lo, 0, v188
	s_delay_alu instid0(VALU_DEP_4) | instskip(SKIP_3) | instid1(VALU_DEP_4)
	v_bitop3_b32 v62, v62, v65, v63 bitop3:0x80
	v_ashrrev_i32_e32 v63, 31, v187
	v_mad_u32_u24 v65, v64, 36, v114
	v_xor_b32_e32 v186, s21, v186
	v_bitop3_b32 v62, v62, v185, v184 bitop3:0x80
	s_delay_alu instid0(VALU_DEP_4) | instskip(SKIP_3) | instid1(VALU_DEP_2)
	v_xor_b32_e32 v63, vcc_lo, v63
	ds_load_b32 v184, v65 offset:544
	; wave barrier
	v_bitop3_b32 v62, v62, v63, v186 bitop3:0x80
	v_mul_u32_u24_e32 v63, 36, v64
	v_mbcnt_lo_u32_b32 v185, v62, 0
	v_cmp_ne_u32_e64 s17, 0, v62
	s_delay_alu instid0(VALU_DEP_3) | instskip(NEXT) | instid1(VALU_DEP_3)
	v_add_nc_u32_e32 v186, v114, v63
	v_cmp_eq_u32_e32 vcc_lo, 0, v185
	s_and_b32 s18, s17, vcc_lo
	s_delay_alu instid0(SALU_CYCLE_1)
	s_and_saveexec_b32 s17, s18
	s_cbranch_execz .LBB214_170
; %bb.169:                              ;   in Loop: Header=BB214_108 Depth=2
	s_wait_dscnt 0x0
	v_bcnt_u32_b32 v62, v62, v184
	ds_store_b32 v186, v62 offset:544
.LBB214_170:                            ;   in Loop: Header=BB214_108 Depth=2
	s_or_b32 exec_lo, exec_lo, s17
	v_and_b32_e32 v62, 0xff, v147
	; wave barrier
	s_delay_alu instid0(VALU_DEP_1) | instskip(NEXT) | instid1(VALU_DEP_1)
	v_lshrrev_b32_e32 v62, s43, v62
	v_and_b32_e32 v64, s48, v62
	s_delay_alu instid0(VALU_DEP_1) | instskip(SKIP_1) | instid1(VALU_DEP_1)
	v_lshlrev_b32_e32 v65, 30, v64
	v_bitop3_b32 v63, v62, 1, s48 bitop3:0x80
	v_add_co_u32 v62, s17, v63, -1
	s_delay_alu instid0(VALU_DEP_1) | instskip(NEXT) | instid1(VALU_DEP_4)
	v_cndmask_b32_e64 v63, 0, 1, s17
	v_cmp_gt_i32_e64 s17, 0, v65
	s_delay_alu instid0(VALU_DEP_2) | instskip(SKIP_2) | instid1(VALU_DEP_2)
	v_cmp_ne_u32_e32 vcc_lo, 0, v63
	v_not_b32_e32 v63, v65
	v_bitop3_b32 v62, vcc_lo, exec_lo, v62 bitop3:0x48
	v_dual_ashrrev_i32 v63, 31, v63 :: v_dual_lshlrev_b32 v187, 29, v64
	v_dual_lshlrev_b32 v188, 28, v64 :: v_dual_lshlrev_b32 v189, 27, v64
	v_lshlrev_b32_e32 v190, 26, v64
	s_delay_alu instid0(VALU_DEP_3)
	v_not_b32_e32 v65, v187
	v_lshlrev_b32_e32 v191, 25, v64
	v_cmp_gt_i32_e64 s18, 0, v187
	v_cmp_gt_i32_e64 s19, 0, v188
	v_not_b32_e32 v187, v188
	v_not_b32_e32 v188, v189
	v_ashrrev_i32_e32 v65, 31, v65
	v_cmp_gt_i32_e64 s20, 0, v189
	v_cmp_gt_i32_e64 s21, 0, v190
	v_not_b32_e32 v189, v190
	v_dual_ashrrev_i32 v187, 31, v187 :: v_dual_ashrrev_i32 v188, 31, v188
	v_xor_b32_e32 v63, s17, v63
	v_not_b32_e32 v190, v191
	v_xor_b32_e32 v65, s18, v65
	s_delay_alu instid0(VALU_DEP_4) | instskip(SKIP_2) | instid1(VALU_DEP_4)
	v_dual_ashrrev_i32 v189, 31, v189 :: v_dual_bitop2_b32 v187, s19, v187 bitop3:0x14
	v_xor_b32_e32 v188, s20, v188
	v_cmp_gt_i32_e32 vcc_lo, 0, v191
	v_bitop3_b32 v62, v62, v65, v63 bitop3:0x80
	v_ashrrev_i32_e32 v63, 31, v190
	v_mad_u32_u24 v65, v64, 36, v114
	v_xor_b32_e32 v189, s21, v189
	s_delay_alu instid0(VALU_DEP_4) | instskip(NEXT) | instid1(VALU_DEP_4)
	v_bitop3_b32 v62, v62, v188, v187 bitop3:0x80
	v_xor_b32_e32 v63, vcc_lo, v63
	ds_load_b32 v187, v65 offset:544
	; wave barrier
	v_bitop3_b32 v62, v62, v63, v189 bitop3:0x80
	v_mul_u32_u24_e32 v63, 36, v64
	s_delay_alu instid0(VALU_DEP_2) | instskip(SKIP_1) | instid1(VALU_DEP_3)
	v_mbcnt_lo_u32_b32 v188, v62, 0
	v_cmp_ne_u32_e64 s17, 0, v62
	v_add_nc_u32_e32 v189, v114, v63
	s_delay_alu instid0(VALU_DEP_3) | instskip(SKIP_1) | instid1(SALU_CYCLE_1)
	v_cmp_eq_u32_e32 vcc_lo, 0, v188
	s_and_b32 s18, s17, vcc_lo
	s_and_saveexec_b32 s17, s18
	s_cbranch_execz .LBB214_172
; %bb.171:                              ;   in Loop: Header=BB214_108 Depth=2
	s_wait_dscnt 0x0
	v_bcnt_u32_b32 v62, v62, v187
	ds_store_b32 v189, v62 offset:544
.LBB214_172:                            ;   in Loop: Header=BB214_108 Depth=2
	s_or_b32 exec_lo, exec_lo, s17
	v_and_b32_e32 v62, 0xff, v148
	; wave barrier
	s_delay_alu instid0(VALU_DEP_1) | instskip(NEXT) | instid1(VALU_DEP_1)
	v_lshrrev_b32_e32 v62, s43, v62
	v_and_b32_e32 v64, s48, v62
	s_delay_alu instid0(VALU_DEP_1) | instskip(SKIP_1) | instid1(VALU_DEP_1)
	v_lshlrev_b32_e32 v65, 30, v64
	v_bitop3_b32 v63, v62, 1, s48 bitop3:0x80
	v_add_co_u32 v62, s17, v63, -1
	s_delay_alu instid0(VALU_DEP_1) | instskip(NEXT) | instid1(VALU_DEP_4)
	v_cndmask_b32_e64 v63, 0, 1, s17
	v_cmp_gt_i32_e64 s17, 0, v65
	s_delay_alu instid0(VALU_DEP_2) | instskip(SKIP_2) | instid1(VALU_DEP_2)
	v_cmp_ne_u32_e32 vcc_lo, 0, v63
	v_not_b32_e32 v63, v65
	v_bitop3_b32 v62, vcc_lo, exec_lo, v62 bitop3:0x48
	v_dual_ashrrev_i32 v63, 31, v63 :: v_dual_lshlrev_b32 v190, 29, v64
	v_dual_lshlrev_b32 v191, 28, v64 :: v_dual_lshlrev_b32 v192, 27, v64
	v_lshlrev_b32_e32 v193, 26, v64
	s_delay_alu instid0(VALU_DEP_3)
	v_not_b32_e32 v65, v190
	v_lshlrev_b32_e32 v194, 25, v64
	v_cmp_gt_i32_e64 s18, 0, v190
	v_cmp_gt_i32_e64 s19, 0, v191
	v_not_b32_e32 v190, v191
	v_not_b32_e32 v191, v192
	v_ashrrev_i32_e32 v65, 31, v65
	v_cmp_gt_i32_e64 s20, 0, v192
	v_cmp_gt_i32_e64 s21, 0, v193
	v_not_b32_e32 v192, v193
	v_dual_ashrrev_i32 v190, 31, v190 :: v_dual_ashrrev_i32 v191, 31, v191
	v_xor_b32_e32 v63, s17, v63
	v_xor_b32_e32 v65, s18, v65
	v_not_b32_e32 v193, v194
	s_delay_alu instid0(VALU_DEP_4) | instskip(SKIP_1) | instid1(VALU_DEP_4)
	v_dual_ashrrev_i32 v192, 31, v192 :: v_dual_bitop2_b32 v190, s19, v190 bitop3:0x14
	v_xor_b32_e32 v191, s20, v191
	v_bitop3_b32 v62, v62, v65, v63 bitop3:0x80
	v_cmp_gt_i32_e32 vcc_lo, 0, v194
	v_ashrrev_i32_e32 v63, 31, v193
	v_mad_u32_u24 v65, v64, 36, v114
	v_xor_b32_e32 v192, s21, v192
	v_bitop3_b32 v62, v62, v191, v190 bitop3:0x80
	s_delay_alu instid0(VALU_DEP_4) | instskip(SKIP_3) | instid1(VALU_DEP_2)
	v_xor_b32_e32 v63, vcc_lo, v63
	ds_load_b32 v190, v65 offset:544
	; wave barrier
	v_bitop3_b32 v62, v62, v63, v192 bitop3:0x80
	v_mul_u32_u24_e32 v63, 36, v64
	v_mbcnt_lo_u32_b32 v191, v62, 0
	v_cmp_ne_u32_e64 s17, 0, v62
	s_delay_alu instid0(VALU_DEP_3) | instskip(NEXT) | instid1(VALU_DEP_3)
	v_add_nc_u32_e32 v192, v114, v63
	v_cmp_eq_u32_e32 vcc_lo, 0, v191
	s_and_b32 s18, s17, vcc_lo
	s_delay_alu instid0(SALU_CYCLE_1)
	s_and_saveexec_b32 s17, s18
	s_cbranch_execz .LBB214_174
; %bb.173:                              ;   in Loop: Header=BB214_108 Depth=2
	s_wait_dscnt 0x0
	v_bcnt_u32_b32 v62, v62, v190
	ds_store_b32 v192, v62 offset:544
.LBB214_174:                            ;   in Loop: Header=BB214_108 Depth=2
	s_or_b32 exec_lo, exec_lo, s17
	v_and_b32_e32 v62, 0xff, v149
	; wave barrier
	s_delay_alu instid0(VALU_DEP_1) | instskip(NEXT) | instid1(VALU_DEP_1)
	v_lshrrev_b32_e32 v62, s43, v62
	v_and_b32_e32 v64, s48, v62
	s_delay_alu instid0(VALU_DEP_1) | instskip(SKIP_1) | instid1(VALU_DEP_1)
	v_lshlrev_b32_e32 v65, 30, v64
	v_bitop3_b32 v63, v62, 1, s48 bitop3:0x80
	v_add_co_u32 v62, s17, v63, -1
	s_delay_alu instid0(VALU_DEP_1) | instskip(NEXT) | instid1(VALU_DEP_4)
	v_cndmask_b32_e64 v63, 0, 1, s17
	v_cmp_gt_i32_e64 s17, 0, v65
	s_delay_alu instid0(VALU_DEP_2) | instskip(SKIP_2) | instid1(VALU_DEP_2)
	v_cmp_ne_u32_e32 vcc_lo, 0, v63
	v_not_b32_e32 v63, v65
	v_bitop3_b32 v62, vcc_lo, exec_lo, v62 bitop3:0x48
	v_dual_ashrrev_i32 v63, 31, v63 :: v_dual_lshlrev_b32 v193, 29, v64
	v_dual_lshlrev_b32 v194, 28, v64 :: v_dual_lshlrev_b32 v195, 27, v64
	s_delay_alu instid0(VALU_DEP_2) | instskip(NEXT) | instid1(VALU_DEP_3)
	v_dual_lshlrev_b32 v196, 26, v64 :: v_dual_bitop2_b32 v63, s17, v63 bitop3:0x14
	v_not_b32_e32 v65, v193
	v_lshlrev_b32_e32 v197, 25, v64
	v_cmp_gt_i32_e64 s18, 0, v193
	v_cmp_gt_i32_e64 s19, 0, v194
	v_not_b32_e32 v193, v194
	v_not_b32_e32 v194, v195
	v_ashrrev_i32_e32 v65, 31, v65
	v_cmp_gt_i32_e64 s20, 0, v195
	v_cmp_gt_i32_e64 s21, 0, v196
	v_not_b32_e32 v195, v196
	v_dual_ashrrev_i32 v193, 31, v193 :: v_dual_ashrrev_i32 v194, 31, v194
	v_xor_b32_e32 v65, s18, v65
	v_not_b32_e32 v196, v197
	s_delay_alu instid0(VALU_DEP_3) | instskip(NEXT) | instid1(VALU_DEP_4)
	v_dual_ashrrev_i32 v195, 31, v195 :: v_dual_bitop2_b32 v193, s19, v193 bitop3:0x14
	v_xor_b32_e32 v194, s20, v194
	s_delay_alu instid0(VALU_DEP_4)
	v_bitop3_b32 v62, v62, v65, v63 bitop3:0x80
	v_cmp_gt_i32_e32 vcc_lo, 0, v197
	v_ashrrev_i32_e32 v63, 31, v196
	v_mad_u32_u24 v65, v64, 36, v114
	v_xor_b32_e32 v195, s21, v195
	v_bitop3_b32 v62, v62, v194, v193 bitop3:0x80
	s_delay_alu instid0(VALU_DEP_4) | instskip(SKIP_3) | instid1(VALU_DEP_2)
	v_xor_b32_e32 v63, vcc_lo, v63
	ds_load_b32 v193, v65 offset:544
	; wave barrier
	v_bitop3_b32 v62, v62, v63, v195 bitop3:0x80
	v_mul_u32_u24_e32 v63, 36, v64
	v_mbcnt_lo_u32_b32 v194, v62, 0
	v_cmp_ne_u32_e64 s17, 0, v62
	s_delay_alu instid0(VALU_DEP_3) | instskip(NEXT) | instid1(VALU_DEP_3)
	v_add_nc_u32_e32 v195, v114, v63
	v_cmp_eq_u32_e32 vcc_lo, 0, v194
	s_and_b32 s18, s17, vcc_lo
	s_delay_alu instid0(SALU_CYCLE_1)
	s_and_saveexec_b32 s17, s18
	s_cbranch_execz .LBB214_176
; %bb.175:                              ;   in Loop: Header=BB214_108 Depth=2
	s_wait_dscnt 0x0
	v_bcnt_u32_b32 v62, v62, v193
	ds_store_b32 v195, v62 offset:544
.LBB214_176:                            ;   in Loop: Header=BB214_108 Depth=2
	s_or_b32 exec_lo, exec_lo, s17
	v_and_b32_e32 v62, 0xff, v150
	; wave barrier
	s_delay_alu instid0(VALU_DEP_1) | instskip(NEXT) | instid1(VALU_DEP_1)
	v_lshrrev_b32_e32 v62, s43, v62
	v_and_b32_e32 v64, s48, v62
	s_delay_alu instid0(VALU_DEP_1) | instskip(SKIP_1) | instid1(VALU_DEP_1)
	v_lshlrev_b32_e32 v65, 30, v64
	v_bitop3_b32 v63, v62, 1, s48 bitop3:0x80
	v_add_co_u32 v62, s17, v63, -1
	s_delay_alu instid0(VALU_DEP_1) | instskip(NEXT) | instid1(VALU_DEP_4)
	v_cndmask_b32_e64 v63, 0, 1, s17
	v_cmp_gt_i32_e64 s17, 0, v65
	s_delay_alu instid0(VALU_DEP_2) | instskip(SKIP_2) | instid1(VALU_DEP_2)
	v_cmp_ne_u32_e32 vcc_lo, 0, v63
	v_not_b32_e32 v63, v65
	v_bitop3_b32 v62, vcc_lo, exec_lo, v62 bitop3:0x48
	v_dual_ashrrev_i32 v63, 31, v63 :: v_dual_lshlrev_b32 v196, 29, v64
	v_dual_lshlrev_b32 v197, 28, v64 :: v_dual_lshlrev_b32 v198, 27, v64
	v_lshlrev_b32_e32 v199, 26, v64
	s_delay_alu instid0(VALU_DEP_3)
	v_not_b32_e32 v65, v196
	v_lshlrev_b32_e32 v200, 25, v64
	v_cmp_gt_i32_e64 s18, 0, v196
	v_cmp_gt_i32_e64 s19, 0, v197
	v_not_b32_e32 v196, v197
	v_not_b32_e32 v197, v198
	v_ashrrev_i32_e32 v65, 31, v65
	v_cmp_gt_i32_e64 s20, 0, v198
	v_cmp_gt_i32_e64 s21, 0, v199
	v_not_b32_e32 v198, v199
	v_dual_ashrrev_i32 v196, 31, v196 :: v_dual_ashrrev_i32 v197, 31, v197
	v_xor_b32_e32 v63, s17, v63
	v_not_b32_e32 v199, v200
	s_delay_alu instid0(VALU_DEP_4) | instskip(NEXT) | instid1(VALU_DEP_4)
	v_dual_ashrrev_i32 v198, 31, v198 :: v_dual_bitop2_b32 v65, s18, v65 bitop3:0x14
	v_xor_b32_e32 v196, s19, v196
	v_xor_b32_e32 v197, s20, v197
	v_cmp_gt_i32_e32 vcc_lo, 0, v200
	s_delay_alu instid0(VALU_DEP_4) | instskip(SKIP_3) | instid1(VALU_DEP_4)
	v_bitop3_b32 v62, v62, v65, v63 bitop3:0x80
	v_ashrrev_i32_e32 v63, 31, v199
	v_mad_u32_u24 v65, v64, 36, v114
	v_xor_b32_e32 v198, s21, v198
	v_bitop3_b32 v62, v62, v197, v196 bitop3:0x80
	s_delay_alu instid0(VALU_DEP_4) | instskip(SKIP_3) | instid1(VALU_DEP_2)
	v_xor_b32_e32 v63, vcc_lo, v63
	ds_load_b32 v196, v65 offset:544
	; wave barrier
	v_bitop3_b32 v62, v62, v63, v198 bitop3:0x80
	v_mul_u32_u24_e32 v63, 36, v64
	v_mbcnt_lo_u32_b32 v197, v62, 0
	v_cmp_ne_u32_e64 s17, 0, v62
	s_delay_alu instid0(VALU_DEP_3) | instskip(NEXT) | instid1(VALU_DEP_3)
	v_add_nc_u32_e32 v198, v114, v63
	v_cmp_eq_u32_e32 vcc_lo, 0, v197
	s_and_b32 s18, s17, vcc_lo
	s_delay_alu instid0(SALU_CYCLE_1)
	s_and_saveexec_b32 s17, s18
	s_cbranch_execz .LBB214_178
; %bb.177:                              ;   in Loop: Header=BB214_108 Depth=2
	s_wait_dscnt 0x0
	v_bcnt_u32_b32 v62, v62, v196
	ds_store_b32 v198, v62 offset:544
.LBB214_178:                            ;   in Loop: Header=BB214_108 Depth=2
	s_or_b32 exec_lo, exec_lo, s17
	v_and_b32_e32 v62, 0xff, v151
	; wave barrier
	s_delay_alu instid0(VALU_DEP_1) | instskip(NEXT) | instid1(VALU_DEP_1)
	v_lshrrev_b32_e32 v62, s43, v62
	v_and_b32_e32 v64, s48, v62
	s_delay_alu instid0(VALU_DEP_1) | instskip(SKIP_1) | instid1(VALU_DEP_1)
	v_lshlrev_b32_e32 v65, 30, v64
	v_bitop3_b32 v63, v62, 1, s48 bitop3:0x80
	v_add_co_u32 v62, s17, v63, -1
	s_delay_alu instid0(VALU_DEP_1) | instskip(NEXT) | instid1(VALU_DEP_4)
	v_cndmask_b32_e64 v63, 0, 1, s17
	v_cmp_gt_i32_e64 s17, 0, v65
	s_delay_alu instid0(VALU_DEP_2) | instskip(SKIP_2) | instid1(VALU_DEP_2)
	v_cmp_ne_u32_e32 vcc_lo, 0, v63
	v_not_b32_e32 v63, v65
	v_bitop3_b32 v62, vcc_lo, exec_lo, v62 bitop3:0x48
	v_dual_ashrrev_i32 v63, 31, v63 :: v_dual_lshlrev_b32 v199, 29, v64
	v_dual_lshlrev_b32 v200, 28, v64 :: v_dual_lshlrev_b32 v201, 27, v64
	v_lshlrev_b32_e32 v202, 26, v64
	s_delay_alu instid0(VALU_DEP_3)
	v_not_b32_e32 v65, v199
	v_lshlrev_b32_e32 v203, 25, v64
	v_cmp_gt_i32_e64 s18, 0, v199
	v_cmp_gt_i32_e64 s19, 0, v200
	v_not_b32_e32 v199, v200
	v_not_b32_e32 v200, v201
	v_ashrrev_i32_e32 v65, 31, v65
	v_cmp_gt_i32_e64 s20, 0, v201
	v_cmp_gt_i32_e64 s21, 0, v202
	v_not_b32_e32 v201, v202
	v_dual_ashrrev_i32 v199, 31, v199 :: v_dual_ashrrev_i32 v200, 31, v200
	v_xor_b32_e32 v63, s17, v63
	v_not_b32_e32 v202, v203
	v_xor_b32_e32 v65, s18, v65
	s_delay_alu instid0(VALU_DEP_4) | instskip(SKIP_2) | instid1(VALU_DEP_4)
	v_dual_ashrrev_i32 v201, 31, v201 :: v_dual_bitop2_b32 v199, s19, v199 bitop3:0x14
	v_xor_b32_e32 v200, s20, v200
	v_cmp_gt_i32_e32 vcc_lo, 0, v203
	v_bitop3_b32 v62, v62, v65, v63 bitop3:0x80
	v_ashrrev_i32_e32 v63, 31, v202
	v_mad_u32_u24 v65, v64, 36, v114
	v_xor_b32_e32 v201, s21, v201
	s_delay_alu instid0(VALU_DEP_4) | instskip(NEXT) | instid1(VALU_DEP_4)
	v_bitop3_b32 v62, v62, v200, v199 bitop3:0x80
	v_xor_b32_e32 v63, vcc_lo, v63
	ds_load_b32 v199, v65 offset:544
	; wave barrier
	v_bitop3_b32 v62, v62, v63, v201 bitop3:0x80
	v_mul_u32_u24_e32 v63, 36, v64
	s_delay_alu instid0(VALU_DEP_2) | instskip(SKIP_1) | instid1(VALU_DEP_3)
	v_mbcnt_lo_u32_b32 v200, v62, 0
	v_cmp_ne_u32_e64 s17, 0, v62
	v_add_nc_u32_e32 v201, v114, v63
	s_delay_alu instid0(VALU_DEP_3) | instskip(SKIP_1) | instid1(SALU_CYCLE_1)
	v_cmp_eq_u32_e32 vcc_lo, 0, v200
	s_and_b32 s18, s17, vcc_lo
	s_and_saveexec_b32 s17, s18
	s_cbranch_execz .LBB214_180
; %bb.179:                              ;   in Loop: Header=BB214_108 Depth=2
	s_wait_dscnt 0x0
	v_bcnt_u32_b32 v62, v62, v199
	ds_store_b32 v201, v62 offset:544
.LBB214_180:                            ;   in Loop: Header=BB214_108 Depth=2
	s_or_b32 exec_lo, exec_lo, s17
	; wave barrier
	s_wait_dscnt 0x0
	s_barrier_signal -1
	s_barrier_wait -1
	ds_load_2addr_b32 v[64:65], v90 offset0:136 offset1:137
	ds_load_2addr_b32 v[62:63], v90 offset0:138 offset1:139
	ds_load_b32 v202, v90 offset:560
	s_wait_dscnt 0x1
	v_add3_u32 v203, v65, v64, v62
	s_wait_dscnt 0x0
	s_delay_alu instid0(VALU_DEP_1) | instskip(NEXT) | instid1(VALU_DEP_1)
	v_add3_u32 v202, v203, v63, v202
	v_mov_b32_dpp v203, v202 row_shr:1 row_mask:0xf bank_mask:0xf
	s_delay_alu instid0(VALU_DEP_1) | instskip(NEXT) | instid1(VALU_DEP_1)
	v_cndmask_b32_e64 v203, v203, 0, s8
	v_add_nc_u32_e32 v202, v203, v202
	s_delay_alu instid0(VALU_DEP_1) | instskip(NEXT) | instid1(VALU_DEP_1)
	v_mov_b32_dpp v203, v202 row_shr:2 row_mask:0xf bank_mask:0xf
	v_cndmask_b32_e64 v203, 0, v203, s9
	s_delay_alu instid0(VALU_DEP_1) | instskip(NEXT) | instid1(VALU_DEP_1)
	v_add_nc_u32_e32 v202, v202, v203
	v_mov_b32_dpp v203, v202 row_shr:4 row_mask:0xf bank_mask:0xf
	s_delay_alu instid0(VALU_DEP_1) | instskip(NEXT) | instid1(VALU_DEP_1)
	v_cndmask_b32_e64 v203, 0, v203, s10
	v_add_nc_u32_e32 v202, v202, v203
	s_delay_alu instid0(VALU_DEP_1) | instskip(NEXT) | instid1(VALU_DEP_1)
	v_mov_b32_dpp v203, v202 row_shr:8 row_mask:0xf bank_mask:0xf
	v_cndmask_b32_e64 v203, 0, v203, s11
	s_delay_alu instid0(VALU_DEP_1) | instskip(SKIP_3) | instid1(VALU_DEP_1)
	v_add_nc_u32_e32 v202, v202, v203
	ds_swizzle_b32 v203, v202 offset:swizzle(BROADCAST,32,15)
	s_wait_dscnt 0x0
	v_cndmask_b32_e64 v203, v203, 0, s12
	v_add_nc_u32_e32 v202, v202, v203
	s_and_saveexec_b32 s17, s2
; %bb.181:                              ;   in Loop: Header=BB214_108 Depth=2
	ds_store_b32 v83, v202 offset:512
; %bb.182:                              ;   in Loop: Header=BB214_108 Depth=2
	s_or_b32 exec_lo, exec_lo, s17
	s_wait_dscnt 0x0
	s_barrier_signal -1
	s_barrier_wait -1
	s_and_saveexec_b32 s17, s3
	s_cbranch_execz .LBB214_184
; %bb.183:                              ;   in Loop: Header=BB214_108 Depth=2
	ds_load_b32 v203, v92 offset:512
	s_wait_dscnt 0x0
	v_mov_b32_dpp v204, v203 row_shr:1 row_mask:0xf bank_mask:0xf
	s_delay_alu instid0(VALU_DEP_1) | instskip(NEXT) | instid1(VALU_DEP_1)
	v_cndmask_b32_e64 v204, v204, 0, s14
	v_add_nc_u32_e32 v203, v204, v203
	s_delay_alu instid0(VALU_DEP_1) | instskip(NEXT) | instid1(VALU_DEP_1)
	v_mov_b32_dpp v204, v203 row_shr:2 row_mask:0xf bank_mask:0xf
	v_cndmask_b32_e64 v204, 0, v204, s15
	s_delay_alu instid0(VALU_DEP_1) | instskip(NEXT) | instid1(VALU_DEP_1)
	v_add_nc_u32_e32 v203, v203, v204
	v_mov_b32_dpp v204, v203 row_shr:4 row_mask:0xf bank_mask:0xf
	s_delay_alu instid0(VALU_DEP_1) | instskip(NEXT) | instid1(VALU_DEP_1)
	v_cndmask_b32_e64 v204, 0, v204, s16
	v_add_nc_u32_e32 v203, v203, v204
	ds_store_b32 v92, v203 offset:512
.LBB214_184:                            ;   in Loop: Header=BB214_108 Depth=2
	s_or_b32 exec_lo, exec_lo, s17
	v_mov_b32_e32 v203, 0
	s_wait_dscnt 0x0
	s_barrier_signal -1
	s_barrier_wait -1
	s_and_saveexec_b32 s17, s5
; %bb.185:                              ;   in Loop: Header=BB214_108 Depth=2
	ds_load_b32 v203, v83 offset:508
; %bb.186:                              ;   in Loop: Header=BB214_108 Depth=2
	s_or_b32 exec_lo, exec_lo, s17
	s_wait_dscnt 0x0
	v_add_nc_u32_e32 v202, v203, v202
	ds_bpermute_b32 v202, v96, v202
	s_wait_dscnt 0x0
	v_cndmask_b32_e64 v202, v202, v203, s13
	s_delay_alu instid0(VALU_DEP_1) | instskip(NEXT) | instid1(VALU_DEP_1)
	v_cndmask_b32_e64 v202, v202, 0, s6
	v_add_nc_u32_e32 v64, v202, v64
	s_delay_alu instid0(VALU_DEP_1) | instskip(NEXT) | instid1(VALU_DEP_1)
	v_add_nc_u32_e32 v65, v64, v65
	v_add_nc_u32_e32 v62, v65, v62
	s_delay_alu instid0(VALU_DEP_1)
	v_add_nc_u32_e32 v63, v62, v63
	ds_store_2addr_b32 v90, v202, v64 offset0:136 offset1:137
	ds_store_2addr_b32 v90, v65, v62 offset0:138 offset1:139
	ds_store_b32 v90, v63 offset:560
	s_wait_dscnt 0x0
	s_barrier_signal -1
	s_barrier_wait -1
	ds_load_b32 v62, v153 offset:544
	ds_load_b32 v63, v156 offset:544
	;; [unrolled: 1-line block ×17, first 2 shown]
	s_and_saveexec_b32 s17, s0
	s_cbranch_execz .LBB214_190
; %bb.187:                              ;   in Loop: Header=BB214_108 Depth=2
	v_dual_mov_b32 v133, 0x1100 :: v_dual_add_nc_u32 v132, v92, v94
	ds_load_b32 v132, v132 offset:544
	s_and_saveexec_b32 s18, s7
; %bb.188:                              ;   in Loop: Header=BB214_108 Depth=2
	ds_load_b32 v133, v93 offset:544
; %bb.189:                              ;   in Loop: Header=BB214_108 Depth=2
	s_or_b32 exec_lo, exec_lo, s18
	s_wait_dscnt 0x0
	v_sub_nc_u32_e32 v133, v133, v132
.LBB214_190:                            ;   in Loop: Header=BB214_108 Depth=2
	s_or_b32 exec_lo, exec_lo, s17
	s_wait_dscnt 0x0
	s_barrier_signal -1
	s_barrier_wait -1
	s_and_saveexec_b32 s17, s0
	s_cbranch_execz .LBB214_192
; %bb.191:                              ;   in Loop: Header=BB214_108 Depth=2
	ds_load_b32 v162, v66
	s_wait_dscnt 0x0
	v_sub_nc_u32_e32 v162, v162, v132
	ds_store_b32 v66, v162
.LBB214_192:                            ;   in Loop: Header=BB214_108 Depth=2
	s_or_b32 exec_lo, exec_lo, s17
	v_add_nc_u32_e32 v174, v62, v152
	v_add3_u32 v171, v155, v154, v63
	v_add3_u32 v168, v158, v157, v64
	;; [unrolled: 1-line block ×16, first 2 shown]
	v_cmp_lt_u32_e32 vcc_lo, v2, v134
	ds_store_b8 v174, v135 offset:512
	ds_store_b8 v171, v136 offset:512
	ds_store_b8 v168, v137 offset:512
	ds_store_b8 v165, v138 offset:512
	ds_store_b8 v162, v139 offset:512
	ds_store_b8 v161, v140 offset:512
	ds_store_b8 v160, v141 offset:512
	ds_store_b8 v159, v142 offset:512
	ds_store_b8 v158, v143 offset:512
	ds_store_b8 v157, v144 offset:512
	ds_store_b8 v156, v145 offset:512
	ds_store_b8 v155, v146 offset:512
	ds_store_b8 v154, v147 offset:512
	ds_store_b8 v153, v148 offset:512
	ds_store_b8 v152, v149 offset:512
	ds_store_b8 v65, v150 offset:512
	ds_store_b8 v64, v151 offset:512
	s_wait_dscnt 0x0
	s_barrier_signal -1
	s_barrier_wait -1
	s_and_saveexec_b32 s17, vcc_lo
	s_cbranch_execnz .LBB214_265
; %bb.193:                              ;   in Loop: Header=BB214_108 Depth=2
	s_or_b32 exec_lo, exec_lo, s17
	v_cmp_lt_u32_e64 s17, v67, v134
	s_and_saveexec_b32 s18, s17
	s_cbranch_execnz .LBB214_266
.LBB214_194:                            ;   in Loop: Header=BB214_108 Depth=2
	s_or_b32 exec_lo, exec_lo, s18
	v_cmp_lt_u32_e64 s18, v68, v134
	s_and_saveexec_b32 s19, s18
	s_cbranch_execnz .LBB214_267
.LBB214_195:                            ;   in Loop: Header=BB214_108 Depth=2
	s_or_b32 exec_lo, exec_lo, s19
	v_cmp_lt_u32_e64 s19, v69, v134
	s_and_saveexec_b32 s20, s19
	s_cbranch_execnz .LBB214_268
.LBB214_196:                            ;   in Loop: Header=BB214_108 Depth=2
	s_or_b32 exec_lo, exec_lo, s20
	v_cmp_lt_u32_e64 s20, v70, v134
	s_and_saveexec_b32 s21, s20
	s_cbranch_execnz .LBB214_269
.LBB214_197:                            ;   in Loop: Header=BB214_108 Depth=2
	s_or_b32 exec_lo, exec_lo, s21
	v_cmp_lt_u32_e64 s21, v71, v134
	s_and_saveexec_b32 s22, s21
	s_cbranch_execnz .LBB214_270
.LBB214_198:                            ;   in Loop: Header=BB214_108 Depth=2
	s_or_b32 exec_lo, exec_lo, s22
	v_cmp_lt_u32_e64 s22, v72, v134
	s_and_saveexec_b32 s23, s22
	s_cbranch_execnz .LBB214_271
.LBB214_199:                            ;   in Loop: Header=BB214_108 Depth=2
	s_or_b32 exec_lo, exec_lo, s23
	v_cmp_lt_u32_e64 s23, v73, v134
	s_and_saveexec_b32 s24, s23
	s_cbranch_execnz .LBB214_272
.LBB214_200:                            ;   in Loop: Header=BB214_108 Depth=2
	s_or_b32 exec_lo, exec_lo, s24
	v_cmp_lt_u32_e64 s24, v74, v134
	s_and_saveexec_b32 s25, s24
	s_cbranch_execnz .LBB214_273
.LBB214_201:                            ;   in Loop: Header=BB214_108 Depth=2
	s_or_b32 exec_lo, exec_lo, s25
	v_cmp_lt_u32_e64 s25, v75, v134
	s_and_saveexec_b32 s26, s25
	s_cbranch_execnz .LBB214_274
.LBB214_202:                            ;   in Loop: Header=BB214_108 Depth=2
	s_or_b32 exec_lo, exec_lo, s26
	v_cmp_lt_u32_e64 s26, v76, v134
	s_and_saveexec_b32 s27, s26
	s_cbranch_execnz .LBB214_275
.LBB214_203:                            ;   in Loop: Header=BB214_108 Depth=2
	s_or_b32 exec_lo, exec_lo, s27
	v_cmp_lt_u32_e64 s27, v77, v134
	s_and_saveexec_b32 s28, s27
	s_cbranch_execnz .LBB214_276
.LBB214_204:                            ;   in Loop: Header=BB214_108 Depth=2
	s_or_b32 exec_lo, exec_lo, s28
	v_cmp_lt_u32_e64 s28, v78, v134
	s_and_saveexec_b32 s29, s28
	s_cbranch_execnz .LBB214_277
.LBB214_205:                            ;   in Loop: Header=BB214_108 Depth=2
	s_or_b32 exec_lo, exec_lo, s29
	v_cmp_lt_u32_e64 s29, v79, v134
	s_and_saveexec_b32 s30, s29
	s_cbranch_execnz .LBB214_278
.LBB214_206:                            ;   in Loop: Header=BB214_108 Depth=2
	s_or_b32 exec_lo, exec_lo, s30
	v_cmp_lt_u32_e64 s30, v80, v134
	s_and_saveexec_b32 s31, s30
	s_cbranch_execnz .LBB214_279
.LBB214_207:                            ;   in Loop: Header=BB214_108 Depth=2
	s_or_b32 exec_lo, exec_lo, s31
	v_cmp_lt_u32_e64 s31, v81, v134
	s_and_saveexec_b32 s33, s31
	s_cbranch_execnz .LBB214_280
.LBB214_208:                            ;   in Loop: Header=BB214_108 Depth=2
	s_or_b32 exec_lo, exec_lo, s33
	v_cmp_lt_u32_e64 s33, v82, v134
	s_and_saveexec_b32 s60, s33
	s_cbranch_execz .LBB214_210
.LBB214_209:                            ;   in Loop: Header=BB214_108 Depth=2
	ds_load_u8 v62, v2 offset:4608
	s_wait_dscnt 0x0
	v_and_b32_e32 v63, 0xff, v62
	s_delay_alu instid0(VALU_DEP_1) | instskip(NEXT) | instid1(VALU_DEP_1)
	v_lshrrev_b32_e32 v63, s43, v63
	v_and_b32_e32 v63, s48, v63
	s_delay_alu instid0(VALU_DEP_1)
	v_lshlrev_b32_e32 v63, 2, v63
	ds_load_b32 v63, v63
	s_wait_dscnt 0x0
	v_add_nc_u32_e32 v63, v63, v82
	global_store_b8 v63, v62, s[38:39]
.LBB214_210:                            ;   in Loop: Header=BB214_108 Depth=2
	s_wait_xcnt 0x0
	s_or_b32 exec_lo, exec_lo, s60
	v_lshl_add_u64 v[62:63], s[34:35], 3, v[24:25]
	v_cmp_lt_u32_e64 s34, v97, v134
	s_and_saveexec_b32 s60, s34
	s_delay_alu instid0(SALU_CYCLE_1)
	s_xor_b32 s34, exec_lo, s60
	s_cbranch_execnz .LBB214_281
; %bb.211:                              ;   in Loop: Header=BB214_108 Depth=2
	s_or_b32 exec_lo, exec_lo, s34
	s_delay_alu instid0(SALU_CYCLE_1)
	s_mov_b32 s60, exec_lo
	v_cmpx_lt_u32_e64 v98, v134
	s_cbranch_execnz .LBB214_282
.LBB214_212:                            ;   in Loop: Header=BB214_108 Depth=2
	s_or_b32 exec_lo, exec_lo, s60
	s_delay_alu instid0(SALU_CYCLE_1)
	s_mov_b32 s60, exec_lo
	v_cmpx_lt_u32_e64 v99, v134
	s_cbranch_execnz .LBB214_283
.LBB214_213:                            ;   in Loop: Header=BB214_108 Depth=2
	s_or_b32 exec_lo, exec_lo, s60
	s_delay_alu instid0(SALU_CYCLE_1)
	s_mov_b32 s60, exec_lo
	v_cmpx_lt_u32_e64 v100, v134
	s_cbranch_execnz .LBB214_284
.LBB214_214:                            ;   in Loop: Header=BB214_108 Depth=2
	s_or_b32 exec_lo, exec_lo, s60
	s_delay_alu instid0(SALU_CYCLE_1)
	s_mov_b32 s60, exec_lo
	v_cmpx_lt_u32_e64 v101, v134
	s_cbranch_execnz .LBB214_285
.LBB214_215:                            ;   in Loop: Header=BB214_108 Depth=2
	s_or_b32 exec_lo, exec_lo, s60
	s_delay_alu instid0(SALU_CYCLE_1)
	s_mov_b32 s60, exec_lo
	v_cmpx_lt_u32_e64 v102, v134
	s_cbranch_execnz .LBB214_286
.LBB214_216:                            ;   in Loop: Header=BB214_108 Depth=2
	s_or_b32 exec_lo, exec_lo, s60
	s_delay_alu instid0(SALU_CYCLE_1)
	s_mov_b32 s60, exec_lo
	v_cmpx_lt_u32_e64 v103, v134
	s_cbranch_execnz .LBB214_287
.LBB214_217:                            ;   in Loop: Header=BB214_108 Depth=2
	s_or_b32 exec_lo, exec_lo, s60
	s_delay_alu instid0(SALU_CYCLE_1)
	s_mov_b32 s60, exec_lo
	v_cmpx_lt_u32_e64 v104, v134
	s_cbranch_execnz .LBB214_288
.LBB214_218:                            ;   in Loop: Header=BB214_108 Depth=2
	s_or_b32 exec_lo, exec_lo, s60
	s_delay_alu instid0(SALU_CYCLE_1)
	s_mov_b32 s60, exec_lo
	v_cmpx_lt_u32_e64 v105, v134
	s_cbranch_execnz .LBB214_289
.LBB214_219:                            ;   in Loop: Header=BB214_108 Depth=2
	s_or_b32 exec_lo, exec_lo, s60
	s_delay_alu instid0(SALU_CYCLE_1)
	s_mov_b32 s60, exec_lo
	v_cmpx_lt_u32_e64 v106, v134
	s_cbranch_execnz .LBB214_290
.LBB214_220:                            ;   in Loop: Header=BB214_108 Depth=2
	s_or_b32 exec_lo, exec_lo, s60
	s_delay_alu instid0(SALU_CYCLE_1)
	s_mov_b32 s60, exec_lo
	v_cmpx_lt_u32_e64 v107, v134
	s_cbranch_execnz .LBB214_291
.LBB214_221:                            ;   in Loop: Header=BB214_108 Depth=2
	s_or_b32 exec_lo, exec_lo, s60
	s_delay_alu instid0(SALU_CYCLE_1)
	s_mov_b32 s60, exec_lo
	v_cmpx_lt_u32_e64 v108, v134
	s_cbranch_execnz .LBB214_292
.LBB214_222:                            ;   in Loop: Header=BB214_108 Depth=2
	s_or_b32 exec_lo, exec_lo, s60
	s_delay_alu instid0(SALU_CYCLE_1)
	s_mov_b32 s60, exec_lo
	v_cmpx_lt_u32_e64 v109, v134
	s_cbranch_execnz .LBB214_293
.LBB214_223:                            ;   in Loop: Header=BB214_108 Depth=2
	s_or_b32 exec_lo, exec_lo, s60
	s_delay_alu instid0(SALU_CYCLE_1)
	s_mov_b32 s60, exec_lo
	v_cmpx_lt_u32_e64 v110, v134
	s_cbranch_execnz .LBB214_294
.LBB214_224:                            ;   in Loop: Header=BB214_108 Depth=2
	s_or_b32 exec_lo, exec_lo, s60
	s_delay_alu instid0(SALU_CYCLE_1)
	s_mov_b32 s60, exec_lo
	v_cmpx_lt_u32_e64 v111, v134
	s_cbranch_execnz .LBB214_295
.LBB214_225:                            ;   in Loop: Header=BB214_108 Depth=2
	s_or_b32 exec_lo, exec_lo, s60
	s_delay_alu instid0(SALU_CYCLE_1)
	s_mov_b32 s60, exec_lo
	v_cmpx_lt_u32_e64 v112, v134
	s_cbranch_execnz .LBB214_296
.LBB214_226:                            ;   in Loop: Header=BB214_108 Depth=2
	s_or_b32 exec_lo, exec_lo, s60
	s_delay_alu instid0(SALU_CYCLE_1)
	s_mov_b32 s60, exec_lo
	v_cmpx_lt_u32_e64 v113, v134
	s_cbranch_execnz .LBB214_297
.LBB214_227:                            ;   in Loop: Header=BB214_108 Depth=2
	s_or_b32 exec_lo, exec_lo, s60
	s_and_saveexec_b32 s34, vcc_lo
	s_cbranch_execnz .LBB214_298
.LBB214_228:                            ;   in Loop: Header=BB214_108 Depth=2
	s_or_b32 exec_lo, exec_lo, s34
	s_and_saveexec_b32 s34, s17
	s_cbranch_execnz .LBB214_299
.LBB214_229:                            ;   in Loop: Header=BB214_108 Depth=2
	s_or_b32 exec_lo, exec_lo, s34
	s_and_saveexec_b32 s34, s18
	s_cbranch_execnz .LBB214_300
.LBB214_230:                            ;   in Loop: Header=BB214_108 Depth=2
	s_or_b32 exec_lo, exec_lo, s34
	s_and_saveexec_b32 s34, s19
	s_cbranch_execnz .LBB214_301
.LBB214_231:                            ;   in Loop: Header=BB214_108 Depth=2
	s_or_b32 exec_lo, exec_lo, s34
	s_and_saveexec_b32 s34, s20
	s_cbranch_execnz .LBB214_302
.LBB214_232:                            ;   in Loop: Header=BB214_108 Depth=2
	s_or_b32 exec_lo, exec_lo, s34
	s_and_saveexec_b32 s34, s21
	s_cbranch_execnz .LBB214_303
.LBB214_233:                            ;   in Loop: Header=BB214_108 Depth=2
	s_or_b32 exec_lo, exec_lo, s34
	s_and_saveexec_b32 s34, s22
	s_cbranch_execnz .LBB214_304
.LBB214_234:                            ;   in Loop: Header=BB214_108 Depth=2
	s_or_b32 exec_lo, exec_lo, s34
	s_and_saveexec_b32 s34, s23
	s_cbranch_execnz .LBB214_305
.LBB214_235:                            ;   in Loop: Header=BB214_108 Depth=2
	s_or_b32 exec_lo, exec_lo, s34
	s_and_saveexec_b32 s34, s24
	s_cbranch_execnz .LBB214_306
.LBB214_236:                            ;   in Loop: Header=BB214_108 Depth=2
	s_or_b32 exec_lo, exec_lo, s34
	s_and_saveexec_b32 s34, s25
	s_cbranch_execnz .LBB214_307
.LBB214_237:                            ;   in Loop: Header=BB214_108 Depth=2
	s_or_b32 exec_lo, exec_lo, s34
	s_and_saveexec_b32 s34, s26
	s_cbranch_execnz .LBB214_308
.LBB214_238:                            ;   in Loop: Header=BB214_108 Depth=2
	s_or_b32 exec_lo, exec_lo, s34
	s_and_saveexec_b32 s34, s27
	s_cbranch_execnz .LBB214_309
.LBB214_239:                            ;   in Loop: Header=BB214_108 Depth=2
	s_or_b32 exec_lo, exec_lo, s34
	s_and_saveexec_b32 s34, s28
	s_cbranch_execnz .LBB214_310
.LBB214_240:                            ;   in Loop: Header=BB214_108 Depth=2
	s_or_b32 exec_lo, exec_lo, s34
	s_and_saveexec_b32 s34, s29
	s_cbranch_execnz .LBB214_311
.LBB214_241:                            ;   in Loop: Header=BB214_108 Depth=2
	s_or_b32 exec_lo, exec_lo, s34
	s_and_saveexec_b32 s34, s30
	s_cbranch_execnz .LBB214_312
.LBB214_242:                            ;   in Loop: Header=BB214_108 Depth=2
	s_or_b32 exec_lo, exec_lo, s34
	s_and_saveexec_b32 s34, s31
	s_cbranch_execnz .LBB214_313
.LBB214_243:                            ;   in Loop: Header=BB214_108 Depth=2
	s_or_b32 exec_lo, exec_lo, s34
	s_and_saveexec_b32 s34, s33
	s_cbranch_execz .LBB214_245
.LBB214_244:                            ;   in Loop: Header=BB214_108 Depth=2
	ds_load_u8 v62, v2 offset:4608
	s_wait_dscnt 0x0
	v_lshrrev_b32_e32 v62, s43, v62
	s_delay_alu instid0(VALU_DEP_1)
	v_and_b32_e32 v115, s48, v62
.LBB214_245:                            ;   in Loop: Header=BB214_108 Depth=2
	s_or_b32 exec_lo, exec_lo, s34
	v_dual_lshlrev_b32 v62, 3, v174 :: v_dual_lshlrev_b32 v63, 3, v171
	s_wait_loadcnt 0x0
	s_wait_storecnt 0x0
	s_barrier_signal -1
	s_barrier_wait -1
	ds_store_b64 v62, v[60:61] offset:512
	ds_store_b64 v63, v[58:59] offset:512
	v_dual_lshlrev_b32 v62, 3, v168 :: v_dual_lshlrev_b32 v63, 3, v165
	v_dual_lshlrev_b32 v134, 3, v162 :: v_dual_lshlrev_b32 v135, 3, v161
	v_lshlrev_b32_e32 v136, 3, v160
	ds_store_b64 v62, v[56:57] offset:512
	ds_store_b64 v63, v[54:55] offset:512
	ds_store_b64 v134, v[52:53] offset:512
	ds_store_b64 v135, v[50:51] offset:512
	ds_store_b64 v136, v[48:49] offset:512
	v_dual_lshlrev_b32 v62, 3, v159 :: v_dual_lshlrev_b32 v63, 3, v158
	v_dual_lshlrev_b32 v134, 3, v157 :: v_dual_lshlrev_b32 v135, 3, v156
	v_lshlrev_b32_e32 v136, 3, v155
	ds_store_b64 v62, v[46:47] offset:512
	ds_store_b64 v63, v[44:45] offset:512
	ds_store_b64 v134, v[42:43] offset:512
	;; [unrolled: 8-line block ×3, first 2 shown]
	ds_store_b64 v65, v[30:31] offset:512
	ds_store_b64 v64, v[28:29] offset:512
	s_wait_dscnt 0x0
	s_barrier_signal -1
	s_barrier_wait -1
	s_and_saveexec_b32 s34, vcc_lo
	s_cbranch_execnz .LBB214_314
; %bb.246:                              ;   in Loop: Header=BB214_108 Depth=2
	s_or_b32 exec_lo, exec_lo, s34
	s_and_saveexec_b32 s34, s17
	s_cbranch_execnz .LBB214_315
.LBB214_247:                            ;   in Loop: Header=BB214_108 Depth=2
	s_or_b32 exec_lo, exec_lo, s34
	s_and_saveexec_b32 s17, s18
	s_cbranch_execnz .LBB214_316
.LBB214_248:                            ;   in Loop: Header=BB214_108 Depth=2
	s_or_b32 exec_lo, exec_lo, s17
	s_and_saveexec_b32 s17, s19
	s_cbranch_execnz .LBB214_317
.LBB214_249:                            ;   in Loop: Header=BB214_108 Depth=2
	s_or_b32 exec_lo, exec_lo, s17
	s_and_saveexec_b32 s17, s20
	s_cbranch_execnz .LBB214_318
.LBB214_250:                            ;   in Loop: Header=BB214_108 Depth=2
	s_or_b32 exec_lo, exec_lo, s17
	s_and_saveexec_b32 s17, s21
	s_cbranch_execnz .LBB214_319
.LBB214_251:                            ;   in Loop: Header=BB214_108 Depth=2
	s_or_b32 exec_lo, exec_lo, s17
	s_and_saveexec_b32 s17, s22
	s_cbranch_execnz .LBB214_320
.LBB214_252:                            ;   in Loop: Header=BB214_108 Depth=2
	s_or_b32 exec_lo, exec_lo, s17
	s_and_saveexec_b32 s17, s23
	s_cbranch_execnz .LBB214_321
.LBB214_253:                            ;   in Loop: Header=BB214_108 Depth=2
	s_or_b32 exec_lo, exec_lo, s17
	s_and_saveexec_b32 s17, s24
	s_cbranch_execnz .LBB214_322
.LBB214_254:                            ;   in Loop: Header=BB214_108 Depth=2
	s_or_b32 exec_lo, exec_lo, s17
	s_and_saveexec_b32 s17, s25
	s_cbranch_execnz .LBB214_323
.LBB214_255:                            ;   in Loop: Header=BB214_108 Depth=2
	s_or_b32 exec_lo, exec_lo, s17
	s_and_saveexec_b32 s17, s26
	s_cbranch_execnz .LBB214_324
.LBB214_256:                            ;   in Loop: Header=BB214_108 Depth=2
	s_or_b32 exec_lo, exec_lo, s17
	s_and_saveexec_b32 s17, s27
	s_cbranch_execnz .LBB214_325
.LBB214_257:                            ;   in Loop: Header=BB214_108 Depth=2
	s_or_b32 exec_lo, exec_lo, s17
	s_and_saveexec_b32 s17, s28
	s_cbranch_execnz .LBB214_326
.LBB214_258:                            ;   in Loop: Header=BB214_108 Depth=2
	s_or_b32 exec_lo, exec_lo, s17
	s_and_saveexec_b32 s17, s29
	s_cbranch_execnz .LBB214_327
.LBB214_259:                            ;   in Loop: Header=BB214_108 Depth=2
	s_or_b32 exec_lo, exec_lo, s17
	s_and_saveexec_b32 s17, s30
	s_cbranch_execnz .LBB214_328
.LBB214_260:                            ;   in Loop: Header=BB214_108 Depth=2
	s_or_b32 exec_lo, exec_lo, s17
	s_and_saveexec_b32 s17, s31
	s_cbranch_execnz .LBB214_329
.LBB214_261:                            ;   in Loop: Header=BB214_108 Depth=2
	s_or_b32 exec_lo, exec_lo, s17
	s_and_saveexec_b32 s17, s33
	s_cbranch_execz .LBB214_263
.LBB214_262:                            ;   in Loop: Header=BB214_108 Depth=2
	v_lshlrev_b32_e32 v62, 2, v115
	v_add_nc_u32_e32 v63, v2, v95
	ds_load_b32 v64, v62
	ds_load_b64 v[62:63], v63 offset:33280
	s_wait_dscnt 0x1
	v_add_nc_u32_e32 v64, v64, v82
	s_wait_dscnt 0x0
	global_store_b64 v64, v[62:63], s[44:45] scale_offset
.LBB214_263:                            ;   in Loop: Header=BB214_108 Depth=2
	s_wait_xcnt 0x0
	s_or_b32 exec_lo, exec_lo, s17
	s_wait_storecnt 0x0
	s_barrier_signal -1
	s_barrier_wait -1
	s_and_saveexec_b32 s17, s0
	s_cbranch_execz .LBB214_107
; %bb.264:                              ;   in Loop: Header=BB214_108 Depth=2
	ds_load_b32 v62, v66
	s_wait_dscnt 0x0
	v_add3_u32 v62, v132, v133, v62
	ds_store_b32 v66, v62
	s_branch .LBB214_107
.LBB214_265:                            ;   in Loop: Header=BB214_108 Depth=2
	ds_load_u8 v62, v2 offset:512
	s_wait_dscnt 0x0
	v_and_b32_e32 v63, 0xff, v62
	s_delay_alu instid0(VALU_DEP_1) | instskip(NEXT) | instid1(VALU_DEP_1)
	v_lshrrev_b32_e32 v63, s43, v63
	v_and_b32_e32 v63, s48, v63
	s_delay_alu instid0(VALU_DEP_1)
	v_lshlrev_b32_e32 v63, 2, v63
	ds_load_b32 v63, v63
	s_wait_dscnt 0x0
	v_add_nc_u32_e32 v63, v63, v2
	global_store_b8 v63, v62, s[38:39]
	s_wait_xcnt 0x0
	s_or_b32 exec_lo, exec_lo, s17
	v_cmp_lt_u32_e64 s17, v67, v134
	s_and_saveexec_b32 s18, s17
	s_cbranch_execz .LBB214_194
.LBB214_266:                            ;   in Loop: Header=BB214_108 Depth=2
	ds_load_u8 v62, v2 offset:768
	s_wait_dscnt 0x0
	v_and_b32_e32 v63, 0xff, v62
	s_delay_alu instid0(VALU_DEP_1) | instskip(NEXT) | instid1(VALU_DEP_1)
	v_lshrrev_b32_e32 v63, s43, v63
	v_and_b32_e32 v63, s48, v63
	s_delay_alu instid0(VALU_DEP_1)
	v_lshlrev_b32_e32 v63, 2, v63
	ds_load_b32 v63, v63
	s_wait_dscnt 0x0
	v_add_nc_u32_e32 v63, v63, v67
	global_store_b8 v63, v62, s[38:39]
	s_wait_xcnt 0x0
	s_or_b32 exec_lo, exec_lo, s18
	v_cmp_lt_u32_e64 s18, v68, v134
	s_and_saveexec_b32 s19, s18
	s_cbranch_execz .LBB214_195
.LBB214_267:                            ;   in Loop: Header=BB214_108 Depth=2
	ds_load_u8 v62, v2 offset:1024
	s_wait_dscnt 0x0
	v_and_b32_e32 v63, 0xff, v62
	s_delay_alu instid0(VALU_DEP_1) | instskip(NEXT) | instid1(VALU_DEP_1)
	v_lshrrev_b32_e32 v63, s43, v63
	v_and_b32_e32 v63, s48, v63
	s_delay_alu instid0(VALU_DEP_1)
	v_lshlrev_b32_e32 v63, 2, v63
	ds_load_b32 v63, v63
	s_wait_dscnt 0x0
	v_add_nc_u32_e32 v63, v63, v68
	global_store_b8 v63, v62, s[38:39]
	s_wait_xcnt 0x0
	s_or_b32 exec_lo, exec_lo, s19
	v_cmp_lt_u32_e64 s19, v69, v134
	s_and_saveexec_b32 s20, s19
	s_cbranch_execz .LBB214_196
.LBB214_268:                            ;   in Loop: Header=BB214_108 Depth=2
	ds_load_u8 v62, v2 offset:1280
	s_wait_dscnt 0x0
	v_and_b32_e32 v63, 0xff, v62
	s_delay_alu instid0(VALU_DEP_1) | instskip(NEXT) | instid1(VALU_DEP_1)
	v_lshrrev_b32_e32 v63, s43, v63
	v_and_b32_e32 v63, s48, v63
	s_delay_alu instid0(VALU_DEP_1)
	v_lshlrev_b32_e32 v63, 2, v63
	ds_load_b32 v63, v63
	s_wait_dscnt 0x0
	v_add_nc_u32_e32 v63, v63, v69
	global_store_b8 v63, v62, s[38:39]
	s_wait_xcnt 0x0
	s_or_b32 exec_lo, exec_lo, s20
	v_cmp_lt_u32_e64 s20, v70, v134
	s_and_saveexec_b32 s21, s20
	s_cbranch_execz .LBB214_197
.LBB214_269:                            ;   in Loop: Header=BB214_108 Depth=2
	ds_load_u8 v62, v2 offset:1536
	s_wait_dscnt 0x0
	v_and_b32_e32 v63, 0xff, v62
	s_delay_alu instid0(VALU_DEP_1) | instskip(NEXT) | instid1(VALU_DEP_1)
	v_lshrrev_b32_e32 v63, s43, v63
	v_and_b32_e32 v63, s48, v63
	s_delay_alu instid0(VALU_DEP_1)
	v_lshlrev_b32_e32 v63, 2, v63
	ds_load_b32 v63, v63
	s_wait_dscnt 0x0
	v_add_nc_u32_e32 v63, v63, v70
	global_store_b8 v63, v62, s[38:39]
	s_wait_xcnt 0x0
	s_or_b32 exec_lo, exec_lo, s21
	v_cmp_lt_u32_e64 s21, v71, v134
	s_and_saveexec_b32 s22, s21
	s_cbranch_execz .LBB214_198
.LBB214_270:                            ;   in Loop: Header=BB214_108 Depth=2
	ds_load_u8 v62, v2 offset:1792
	s_wait_dscnt 0x0
	v_and_b32_e32 v63, 0xff, v62
	s_delay_alu instid0(VALU_DEP_1) | instskip(NEXT) | instid1(VALU_DEP_1)
	v_lshrrev_b32_e32 v63, s43, v63
	v_and_b32_e32 v63, s48, v63
	s_delay_alu instid0(VALU_DEP_1)
	v_lshlrev_b32_e32 v63, 2, v63
	ds_load_b32 v63, v63
	s_wait_dscnt 0x0
	v_add_nc_u32_e32 v63, v63, v71
	global_store_b8 v63, v62, s[38:39]
	s_wait_xcnt 0x0
	s_or_b32 exec_lo, exec_lo, s22
	v_cmp_lt_u32_e64 s22, v72, v134
	s_and_saveexec_b32 s23, s22
	s_cbranch_execz .LBB214_199
.LBB214_271:                            ;   in Loop: Header=BB214_108 Depth=2
	ds_load_u8 v62, v2 offset:2048
	s_wait_dscnt 0x0
	v_and_b32_e32 v63, 0xff, v62
	s_delay_alu instid0(VALU_DEP_1) | instskip(NEXT) | instid1(VALU_DEP_1)
	v_lshrrev_b32_e32 v63, s43, v63
	v_and_b32_e32 v63, s48, v63
	s_delay_alu instid0(VALU_DEP_1)
	v_lshlrev_b32_e32 v63, 2, v63
	ds_load_b32 v63, v63
	s_wait_dscnt 0x0
	v_add_nc_u32_e32 v63, v63, v72
	global_store_b8 v63, v62, s[38:39]
	s_wait_xcnt 0x0
	s_or_b32 exec_lo, exec_lo, s23
	v_cmp_lt_u32_e64 s23, v73, v134
	s_and_saveexec_b32 s24, s23
	s_cbranch_execz .LBB214_200
.LBB214_272:                            ;   in Loop: Header=BB214_108 Depth=2
	ds_load_u8 v62, v2 offset:2304
	s_wait_dscnt 0x0
	v_and_b32_e32 v63, 0xff, v62
	s_delay_alu instid0(VALU_DEP_1) | instskip(NEXT) | instid1(VALU_DEP_1)
	v_lshrrev_b32_e32 v63, s43, v63
	v_and_b32_e32 v63, s48, v63
	s_delay_alu instid0(VALU_DEP_1)
	v_lshlrev_b32_e32 v63, 2, v63
	ds_load_b32 v63, v63
	s_wait_dscnt 0x0
	v_add_nc_u32_e32 v63, v63, v73
	global_store_b8 v63, v62, s[38:39]
	s_wait_xcnt 0x0
	s_or_b32 exec_lo, exec_lo, s24
	v_cmp_lt_u32_e64 s24, v74, v134
	s_and_saveexec_b32 s25, s24
	s_cbranch_execz .LBB214_201
.LBB214_273:                            ;   in Loop: Header=BB214_108 Depth=2
	ds_load_u8 v62, v2 offset:2560
	s_wait_dscnt 0x0
	v_and_b32_e32 v63, 0xff, v62
	s_delay_alu instid0(VALU_DEP_1) | instskip(NEXT) | instid1(VALU_DEP_1)
	v_lshrrev_b32_e32 v63, s43, v63
	v_and_b32_e32 v63, s48, v63
	s_delay_alu instid0(VALU_DEP_1)
	v_lshlrev_b32_e32 v63, 2, v63
	ds_load_b32 v63, v63
	s_wait_dscnt 0x0
	v_add_nc_u32_e32 v63, v63, v74
	global_store_b8 v63, v62, s[38:39]
	s_wait_xcnt 0x0
	s_or_b32 exec_lo, exec_lo, s25
	v_cmp_lt_u32_e64 s25, v75, v134
	s_and_saveexec_b32 s26, s25
	s_cbranch_execz .LBB214_202
.LBB214_274:                            ;   in Loop: Header=BB214_108 Depth=2
	ds_load_u8 v62, v2 offset:2816
	s_wait_dscnt 0x0
	v_and_b32_e32 v63, 0xff, v62
	s_delay_alu instid0(VALU_DEP_1) | instskip(NEXT) | instid1(VALU_DEP_1)
	v_lshrrev_b32_e32 v63, s43, v63
	v_and_b32_e32 v63, s48, v63
	s_delay_alu instid0(VALU_DEP_1)
	v_lshlrev_b32_e32 v63, 2, v63
	ds_load_b32 v63, v63
	s_wait_dscnt 0x0
	v_add_nc_u32_e32 v63, v63, v75
	global_store_b8 v63, v62, s[38:39]
	s_wait_xcnt 0x0
	s_or_b32 exec_lo, exec_lo, s26
	v_cmp_lt_u32_e64 s26, v76, v134
	s_and_saveexec_b32 s27, s26
	s_cbranch_execz .LBB214_203
.LBB214_275:                            ;   in Loop: Header=BB214_108 Depth=2
	ds_load_u8 v62, v2 offset:3072
	s_wait_dscnt 0x0
	v_and_b32_e32 v63, 0xff, v62
	s_delay_alu instid0(VALU_DEP_1) | instskip(NEXT) | instid1(VALU_DEP_1)
	v_lshrrev_b32_e32 v63, s43, v63
	v_and_b32_e32 v63, s48, v63
	s_delay_alu instid0(VALU_DEP_1)
	v_lshlrev_b32_e32 v63, 2, v63
	ds_load_b32 v63, v63
	s_wait_dscnt 0x0
	v_add_nc_u32_e32 v63, v63, v76
	global_store_b8 v63, v62, s[38:39]
	s_wait_xcnt 0x0
	s_or_b32 exec_lo, exec_lo, s27
	v_cmp_lt_u32_e64 s27, v77, v134
	s_and_saveexec_b32 s28, s27
	s_cbranch_execz .LBB214_204
.LBB214_276:                            ;   in Loop: Header=BB214_108 Depth=2
	ds_load_u8 v62, v2 offset:3328
	s_wait_dscnt 0x0
	v_and_b32_e32 v63, 0xff, v62
	s_delay_alu instid0(VALU_DEP_1) | instskip(NEXT) | instid1(VALU_DEP_1)
	v_lshrrev_b32_e32 v63, s43, v63
	v_and_b32_e32 v63, s48, v63
	s_delay_alu instid0(VALU_DEP_1)
	v_lshlrev_b32_e32 v63, 2, v63
	ds_load_b32 v63, v63
	s_wait_dscnt 0x0
	v_add_nc_u32_e32 v63, v63, v77
	global_store_b8 v63, v62, s[38:39]
	s_wait_xcnt 0x0
	s_or_b32 exec_lo, exec_lo, s28
	v_cmp_lt_u32_e64 s28, v78, v134
	s_and_saveexec_b32 s29, s28
	s_cbranch_execz .LBB214_205
.LBB214_277:                            ;   in Loop: Header=BB214_108 Depth=2
	ds_load_u8 v62, v2 offset:3584
	s_wait_dscnt 0x0
	v_and_b32_e32 v63, 0xff, v62
	s_delay_alu instid0(VALU_DEP_1) | instskip(NEXT) | instid1(VALU_DEP_1)
	v_lshrrev_b32_e32 v63, s43, v63
	v_and_b32_e32 v63, s48, v63
	s_delay_alu instid0(VALU_DEP_1)
	v_lshlrev_b32_e32 v63, 2, v63
	ds_load_b32 v63, v63
	s_wait_dscnt 0x0
	v_add_nc_u32_e32 v63, v63, v78
	global_store_b8 v63, v62, s[38:39]
	s_wait_xcnt 0x0
	s_or_b32 exec_lo, exec_lo, s29
	v_cmp_lt_u32_e64 s29, v79, v134
	s_and_saveexec_b32 s30, s29
	s_cbranch_execz .LBB214_206
.LBB214_278:                            ;   in Loop: Header=BB214_108 Depth=2
	ds_load_u8 v62, v2 offset:3840
	s_wait_dscnt 0x0
	v_and_b32_e32 v63, 0xff, v62
	s_delay_alu instid0(VALU_DEP_1) | instskip(NEXT) | instid1(VALU_DEP_1)
	v_lshrrev_b32_e32 v63, s43, v63
	v_and_b32_e32 v63, s48, v63
	s_delay_alu instid0(VALU_DEP_1)
	v_lshlrev_b32_e32 v63, 2, v63
	ds_load_b32 v63, v63
	s_wait_dscnt 0x0
	v_add_nc_u32_e32 v63, v63, v79
	global_store_b8 v63, v62, s[38:39]
	s_wait_xcnt 0x0
	s_or_b32 exec_lo, exec_lo, s30
	v_cmp_lt_u32_e64 s30, v80, v134
	s_and_saveexec_b32 s31, s30
	s_cbranch_execz .LBB214_207
.LBB214_279:                            ;   in Loop: Header=BB214_108 Depth=2
	ds_load_u8 v62, v2 offset:4096
	s_wait_dscnt 0x0
	v_and_b32_e32 v63, 0xff, v62
	s_delay_alu instid0(VALU_DEP_1) | instskip(NEXT) | instid1(VALU_DEP_1)
	v_lshrrev_b32_e32 v63, s43, v63
	v_and_b32_e32 v63, s48, v63
	s_delay_alu instid0(VALU_DEP_1)
	v_lshlrev_b32_e32 v63, 2, v63
	ds_load_b32 v63, v63
	s_wait_dscnt 0x0
	v_add_nc_u32_e32 v63, v63, v80
	global_store_b8 v63, v62, s[38:39]
	s_wait_xcnt 0x0
	s_or_b32 exec_lo, exec_lo, s31
	v_cmp_lt_u32_e64 s31, v81, v134
	s_and_saveexec_b32 s33, s31
	s_cbranch_execz .LBB214_208
.LBB214_280:                            ;   in Loop: Header=BB214_108 Depth=2
	ds_load_u8 v62, v2 offset:4352
	s_wait_dscnt 0x0
	v_and_b32_e32 v63, 0xff, v62
	s_delay_alu instid0(VALU_DEP_1) | instskip(NEXT) | instid1(VALU_DEP_1)
	v_lshrrev_b32_e32 v63, s43, v63
	v_and_b32_e32 v63, s48, v63
	s_delay_alu instid0(VALU_DEP_1)
	v_lshlrev_b32_e32 v63, 2, v63
	ds_load_b32 v63, v63
	s_wait_dscnt 0x0
	v_add_nc_u32_e32 v63, v63, v81
	global_store_b8 v63, v62, s[38:39]
	s_wait_xcnt 0x0
	s_or_b32 exec_lo, exec_lo, s33
	v_cmp_lt_u32_e64 s33, v82, v134
	s_and_saveexec_b32 s60, s33
	s_cbranch_execnz .LBB214_209
	s_branch .LBB214_210
.LBB214_281:                            ;   in Loop: Header=BB214_108 Depth=2
	global_load_b64 v[60:61], v[62:63], off
	s_wait_xcnt 0x0
	s_or_b32 exec_lo, exec_lo, s34
	s_delay_alu instid0(SALU_CYCLE_1)
	s_mov_b32 s60, exec_lo
	v_cmpx_lt_u32_e64 v98, v134
	s_cbranch_execz .LBB214_212
.LBB214_282:                            ;   in Loop: Header=BB214_108 Depth=2
	global_load_b64 v[58:59], v[62:63], off offset:256
	s_wait_xcnt 0x0
	s_or_b32 exec_lo, exec_lo, s60
	s_delay_alu instid0(SALU_CYCLE_1)
	s_mov_b32 s60, exec_lo
	v_cmpx_lt_u32_e64 v99, v134
	s_cbranch_execz .LBB214_213
.LBB214_283:                            ;   in Loop: Header=BB214_108 Depth=2
	global_load_b64 v[56:57], v[62:63], off offset:512
	s_wait_xcnt 0x0
	s_or_b32 exec_lo, exec_lo, s60
	s_delay_alu instid0(SALU_CYCLE_1)
	s_mov_b32 s60, exec_lo
	v_cmpx_lt_u32_e64 v100, v134
	s_cbranch_execz .LBB214_214
.LBB214_284:                            ;   in Loop: Header=BB214_108 Depth=2
	global_load_b64 v[54:55], v[62:63], off offset:768
	s_wait_xcnt 0x0
	s_or_b32 exec_lo, exec_lo, s60
	s_delay_alu instid0(SALU_CYCLE_1)
	s_mov_b32 s60, exec_lo
	v_cmpx_lt_u32_e64 v101, v134
	s_cbranch_execz .LBB214_215
.LBB214_285:                            ;   in Loop: Header=BB214_108 Depth=2
	global_load_b64 v[52:53], v[62:63], off offset:1024
	s_wait_xcnt 0x0
	s_or_b32 exec_lo, exec_lo, s60
	s_delay_alu instid0(SALU_CYCLE_1)
	s_mov_b32 s60, exec_lo
	v_cmpx_lt_u32_e64 v102, v134
	s_cbranch_execz .LBB214_216
.LBB214_286:                            ;   in Loop: Header=BB214_108 Depth=2
	global_load_b64 v[50:51], v[62:63], off offset:1280
	s_wait_xcnt 0x0
	s_or_b32 exec_lo, exec_lo, s60
	s_delay_alu instid0(SALU_CYCLE_1)
	s_mov_b32 s60, exec_lo
	v_cmpx_lt_u32_e64 v103, v134
	s_cbranch_execz .LBB214_217
.LBB214_287:                            ;   in Loop: Header=BB214_108 Depth=2
	global_load_b64 v[48:49], v[62:63], off offset:1536
	s_wait_xcnt 0x0
	s_or_b32 exec_lo, exec_lo, s60
	s_delay_alu instid0(SALU_CYCLE_1)
	s_mov_b32 s60, exec_lo
	v_cmpx_lt_u32_e64 v104, v134
	s_cbranch_execz .LBB214_218
.LBB214_288:                            ;   in Loop: Header=BB214_108 Depth=2
	global_load_b64 v[46:47], v[62:63], off offset:1792
	s_wait_xcnt 0x0
	s_or_b32 exec_lo, exec_lo, s60
	s_delay_alu instid0(SALU_CYCLE_1)
	s_mov_b32 s60, exec_lo
	v_cmpx_lt_u32_e64 v105, v134
	s_cbranch_execz .LBB214_219
.LBB214_289:                            ;   in Loop: Header=BB214_108 Depth=2
	global_load_b64 v[44:45], v[62:63], off offset:2048
	s_wait_xcnt 0x0
	s_or_b32 exec_lo, exec_lo, s60
	s_delay_alu instid0(SALU_CYCLE_1)
	s_mov_b32 s60, exec_lo
	v_cmpx_lt_u32_e64 v106, v134
	s_cbranch_execz .LBB214_220
.LBB214_290:                            ;   in Loop: Header=BB214_108 Depth=2
	global_load_b64 v[42:43], v[62:63], off offset:2304
	s_wait_xcnt 0x0
	s_or_b32 exec_lo, exec_lo, s60
	s_delay_alu instid0(SALU_CYCLE_1)
	s_mov_b32 s60, exec_lo
	v_cmpx_lt_u32_e64 v107, v134
	s_cbranch_execz .LBB214_221
.LBB214_291:                            ;   in Loop: Header=BB214_108 Depth=2
	global_load_b64 v[40:41], v[62:63], off offset:2560
	s_wait_xcnt 0x0
	s_or_b32 exec_lo, exec_lo, s60
	s_delay_alu instid0(SALU_CYCLE_1)
	s_mov_b32 s60, exec_lo
	v_cmpx_lt_u32_e64 v108, v134
	s_cbranch_execz .LBB214_222
.LBB214_292:                            ;   in Loop: Header=BB214_108 Depth=2
	global_load_b64 v[38:39], v[62:63], off offset:2816
	s_wait_xcnt 0x0
	s_or_b32 exec_lo, exec_lo, s60
	s_delay_alu instid0(SALU_CYCLE_1)
	s_mov_b32 s60, exec_lo
	v_cmpx_lt_u32_e64 v109, v134
	s_cbranch_execz .LBB214_223
.LBB214_293:                            ;   in Loop: Header=BB214_108 Depth=2
	global_load_b64 v[36:37], v[62:63], off offset:3072
	s_wait_xcnt 0x0
	s_or_b32 exec_lo, exec_lo, s60
	s_delay_alu instid0(SALU_CYCLE_1)
	s_mov_b32 s60, exec_lo
	v_cmpx_lt_u32_e64 v110, v134
	s_cbranch_execz .LBB214_224
.LBB214_294:                            ;   in Loop: Header=BB214_108 Depth=2
	global_load_b64 v[34:35], v[62:63], off offset:3328
	s_wait_xcnt 0x0
	s_or_b32 exec_lo, exec_lo, s60
	s_delay_alu instid0(SALU_CYCLE_1)
	s_mov_b32 s60, exec_lo
	v_cmpx_lt_u32_e64 v111, v134
	s_cbranch_execz .LBB214_225
.LBB214_295:                            ;   in Loop: Header=BB214_108 Depth=2
	global_load_b64 v[32:33], v[62:63], off offset:3584
	s_wait_xcnt 0x0
	s_or_b32 exec_lo, exec_lo, s60
	s_delay_alu instid0(SALU_CYCLE_1)
	s_mov_b32 s60, exec_lo
	v_cmpx_lt_u32_e64 v112, v134
	s_cbranch_execz .LBB214_226
.LBB214_296:                            ;   in Loop: Header=BB214_108 Depth=2
	global_load_b64 v[30:31], v[62:63], off offset:3840
	s_wait_xcnt 0x0
	s_or_b32 exec_lo, exec_lo, s60
	s_delay_alu instid0(SALU_CYCLE_1)
	s_mov_b32 s60, exec_lo
	v_cmpx_lt_u32_e64 v113, v134
	s_cbranch_execz .LBB214_227
.LBB214_297:                            ;   in Loop: Header=BB214_108 Depth=2
	global_load_b64 v[28:29], v[62:63], off offset:4096
	s_wait_xcnt 0x0
	s_or_b32 exec_lo, exec_lo, s60
	s_and_saveexec_b32 s34, vcc_lo
	s_cbranch_execz .LBB214_228
.LBB214_298:                            ;   in Loop: Header=BB214_108 Depth=2
	ds_load_u8 v62, v2 offset:512
	s_wait_dscnt 0x0
	v_lshrrev_b32_e32 v62, s43, v62
	s_delay_alu instid0(VALU_DEP_1)
	v_and_b32_e32 v131, s48, v62
	s_or_b32 exec_lo, exec_lo, s34
	s_and_saveexec_b32 s34, s17
	s_cbranch_execz .LBB214_229
.LBB214_299:                            ;   in Loop: Header=BB214_108 Depth=2
	ds_load_u8 v62, v2 offset:768
	s_wait_dscnt 0x0
	v_lshrrev_b32_e32 v62, s43, v62
	s_delay_alu instid0(VALU_DEP_1)
	v_and_b32_e32 v130, s48, v62
	s_or_b32 exec_lo, exec_lo, s34
	s_and_saveexec_b32 s34, s18
	s_cbranch_execz .LBB214_230
.LBB214_300:                            ;   in Loop: Header=BB214_108 Depth=2
	ds_load_u8 v62, v2 offset:1024
	s_wait_dscnt 0x0
	v_lshrrev_b32_e32 v62, s43, v62
	s_delay_alu instid0(VALU_DEP_1)
	v_and_b32_e32 v129, s48, v62
	s_or_b32 exec_lo, exec_lo, s34
	s_and_saveexec_b32 s34, s19
	s_cbranch_execz .LBB214_231
.LBB214_301:                            ;   in Loop: Header=BB214_108 Depth=2
	ds_load_u8 v62, v2 offset:1280
	s_wait_dscnt 0x0
	v_lshrrev_b32_e32 v62, s43, v62
	s_delay_alu instid0(VALU_DEP_1)
	v_and_b32_e32 v128, s48, v62
	s_or_b32 exec_lo, exec_lo, s34
	s_and_saveexec_b32 s34, s20
	s_cbranch_execz .LBB214_232
.LBB214_302:                            ;   in Loop: Header=BB214_108 Depth=2
	ds_load_u8 v62, v2 offset:1536
	s_wait_dscnt 0x0
	v_lshrrev_b32_e32 v62, s43, v62
	s_delay_alu instid0(VALU_DEP_1)
	v_and_b32_e32 v127, s48, v62
	s_or_b32 exec_lo, exec_lo, s34
	s_and_saveexec_b32 s34, s21
	s_cbranch_execz .LBB214_233
.LBB214_303:                            ;   in Loop: Header=BB214_108 Depth=2
	ds_load_u8 v62, v2 offset:1792
	s_wait_dscnt 0x0
	v_lshrrev_b32_e32 v62, s43, v62
	s_delay_alu instid0(VALU_DEP_1)
	v_and_b32_e32 v126, s48, v62
	s_or_b32 exec_lo, exec_lo, s34
	s_and_saveexec_b32 s34, s22
	s_cbranch_execz .LBB214_234
.LBB214_304:                            ;   in Loop: Header=BB214_108 Depth=2
	ds_load_u8 v62, v2 offset:2048
	s_wait_dscnt 0x0
	v_lshrrev_b32_e32 v62, s43, v62
	s_delay_alu instid0(VALU_DEP_1)
	v_and_b32_e32 v125, s48, v62
	s_or_b32 exec_lo, exec_lo, s34
	s_and_saveexec_b32 s34, s23
	s_cbranch_execz .LBB214_235
.LBB214_305:                            ;   in Loop: Header=BB214_108 Depth=2
	ds_load_u8 v62, v2 offset:2304
	s_wait_dscnt 0x0
	v_lshrrev_b32_e32 v62, s43, v62
	s_delay_alu instid0(VALU_DEP_1)
	v_and_b32_e32 v124, s48, v62
	s_or_b32 exec_lo, exec_lo, s34
	s_and_saveexec_b32 s34, s24
	s_cbranch_execz .LBB214_236
.LBB214_306:                            ;   in Loop: Header=BB214_108 Depth=2
	ds_load_u8 v62, v2 offset:2560
	s_wait_dscnt 0x0
	v_lshrrev_b32_e32 v62, s43, v62
	s_delay_alu instid0(VALU_DEP_1)
	v_and_b32_e32 v123, s48, v62
	s_or_b32 exec_lo, exec_lo, s34
	s_and_saveexec_b32 s34, s25
	s_cbranch_execz .LBB214_237
.LBB214_307:                            ;   in Loop: Header=BB214_108 Depth=2
	ds_load_u8 v62, v2 offset:2816
	s_wait_dscnt 0x0
	v_lshrrev_b32_e32 v62, s43, v62
	s_delay_alu instid0(VALU_DEP_1)
	v_and_b32_e32 v122, s48, v62
	s_or_b32 exec_lo, exec_lo, s34
	s_and_saveexec_b32 s34, s26
	s_cbranch_execz .LBB214_238
.LBB214_308:                            ;   in Loop: Header=BB214_108 Depth=2
	ds_load_u8 v62, v2 offset:3072
	s_wait_dscnt 0x0
	v_lshrrev_b32_e32 v62, s43, v62
	s_delay_alu instid0(VALU_DEP_1)
	v_and_b32_e32 v121, s48, v62
	s_or_b32 exec_lo, exec_lo, s34
	s_and_saveexec_b32 s34, s27
	s_cbranch_execz .LBB214_239
.LBB214_309:                            ;   in Loop: Header=BB214_108 Depth=2
	ds_load_u8 v62, v2 offset:3328
	s_wait_dscnt 0x0
	v_lshrrev_b32_e32 v62, s43, v62
	s_delay_alu instid0(VALU_DEP_1)
	v_and_b32_e32 v120, s48, v62
	s_or_b32 exec_lo, exec_lo, s34
	s_and_saveexec_b32 s34, s28
	s_cbranch_execz .LBB214_240
.LBB214_310:                            ;   in Loop: Header=BB214_108 Depth=2
	ds_load_u8 v62, v2 offset:3584
	s_wait_dscnt 0x0
	v_lshrrev_b32_e32 v62, s43, v62
	s_delay_alu instid0(VALU_DEP_1)
	v_and_b32_e32 v119, s48, v62
	s_or_b32 exec_lo, exec_lo, s34
	s_and_saveexec_b32 s34, s29
	s_cbranch_execz .LBB214_241
.LBB214_311:                            ;   in Loop: Header=BB214_108 Depth=2
	ds_load_u8 v62, v2 offset:3840
	s_wait_dscnt 0x0
	v_lshrrev_b32_e32 v62, s43, v62
	s_delay_alu instid0(VALU_DEP_1)
	v_and_b32_e32 v118, s48, v62
	s_or_b32 exec_lo, exec_lo, s34
	s_and_saveexec_b32 s34, s30
	s_cbranch_execz .LBB214_242
.LBB214_312:                            ;   in Loop: Header=BB214_108 Depth=2
	ds_load_u8 v62, v2 offset:4096
	s_wait_dscnt 0x0
	v_lshrrev_b32_e32 v62, s43, v62
	s_delay_alu instid0(VALU_DEP_1)
	v_and_b32_e32 v117, s48, v62
	s_or_b32 exec_lo, exec_lo, s34
	s_and_saveexec_b32 s34, s31
	s_cbranch_execz .LBB214_243
.LBB214_313:                            ;   in Loop: Header=BB214_108 Depth=2
	ds_load_u8 v62, v2 offset:4352
	s_wait_dscnt 0x0
	v_lshrrev_b32_e32 v62, s43, v62
	s_delay_alu instid0(VALU_DEP_1)
	v_and_b32_e32 v116, s48, v62
	s_or_b32 exec_lo, exec_lo, s34
	s_and_saveexec_b32 s34, s33
	s_cbranch_execnz .LBB214_244
	s_branch .LBB214_245
.LBB214_314:                            ;   in Loop: Header=BB214_108 Depth=2
	v_lshlrev_b32_e32 v62, 2, v131
	v_add_nc_u32_e32 v63, v2, v95
	ds_load_b32 v64, v62
	ds_load_b64 v[62:63], v63 offset:512
	s_wait_dscnt 0x1
	v_add_nc_u32_e32 v64, v64, v2
	s_wait_dscnt 0x0
	global_store_b64 v64, v[62:63], s[44:45] scale_offset
	s_wait_xcnt 0x0
	s_or_b32 exec_lo, exec_lo, s34
	s_and_saveexec_b32 s34, s17
	s_cbranch_execz .LBB214_247
.LBB214_315:                            ;   in Loop: Header=BB214_108 Depth=2
	v_dual_lshlrev_b32 v62, 2, v130 :: v_dual_add_nc_u32 v63, v2, v95
	ds_load_b32 v64, v62
	ds_load_b64 v[62:63], v63 offset:2560
	s_wait_dscnt 0x1
	v_add_nc_u32_e32 v64, v64, v67
	s_wait_dscnt 0x0
	global_store_b64 v64, v[62:63], s[44:45] scale_offset
	s_wait_xcnt 0x0
	s_or_b32 exec_lo, exec_lo, s34
	s_and_saveexec_b32 s17, s18
	s_cbranch_execz .LBB214_248
.LBB214_316:                            ;   in Loop: Header=BB214_108 Depth=2
	v_dual_lshlrev_b32 v62, 2, v129 :: v_dual_add_nc_u32 v63, v2, v95
	ds_load_b32 v64, v62
	ds_load_b64 v[62:63], v63 offset:4608
	s_wait_dscnt 0x1
	v_add_nc_u32_e32 v64, v64, v68
	s_wait_dscnt 0x0
	global_store_b64 v64, v[62:63], s[44:45] scale_offset
	s_wait_xcnt 0x0
	s_or_b32 exec_lo, exec_lo, s17
	s_and_saveexec_b32 s17, s19
	s_cbranch_execz .LBB214_249
.LBB214_317:                            ;   in Loop: Header=BB214_108 Depth=2
	v_dual_lshlrev_b32 v62, 2, v128 :: v_dual_add_nc_u32 v63, v2, v95
	ds_load_b32 v64, v62
	ds_load_b64 v[62:63], v63 offset:6656
	s_wait_dscnt 0x1
	v_add_nc_u32_e32 v64, v64, v69
	s_wait_dscnt 0x0
	global_store_b64 v64, v[62:63], s[44:45] scale_offset
	s_wait_xcnt 0x0
	s_or_b32 exec_lo, exec_lo, s17
	s_and_saveexec_b32 s17, s20
	s_cbranch_execz .LBB214_250
.LBB214_318:                            ;   in Loop: Header=BB214_108 Depth=2
	v_lshlrev_b32_e32 v62, 2, v127
	v_add_nc_u32_e32 v63, v2, v95
	ds_load_b32 v64, v62
	ds_load_b64 v[62:63], v63 offset:8704
	s_wait_dscnt 0x1
	v_add_nc_u32_e32 v64, v64, v70
	s_wait_dscnt 0x0
	global_store_b64 v64, v[62:63], s[44:45] scale_offset
	s_wait_xcnt 0x0
	s_or_b32 exec_lo, exec_lo, s17
	s_and_saveexec_b32 s17, s21
	s_cbranch_execz .LBB214_251
.LBB214_319:                            ;   in Loop: Header=BB214_108 Depth=2
	v_dual_lshlrev_b32 v62, 2, v126 :: v_dual_add_nc_u32 v63, v2, v95
	ds_load_b32 v64, v62
	ds_load_b64 v[62:63], v63 offset:10752
	s_wait_dscnt 0x1
	v_add_nc_u32_e32 v64, v64, v71
	s_wait_dscnt 0x0
	global_store_b64 v64, v[62:63], s[44:45] scale_offset
	s_wait_xcnt 0x0
	s_or_b32 exec_lo, exec_lo, s17
	s_and_saveexec_b32 s17, s22
	s_cbranch_execz .LBB214_252
.LBB214_320:                            ;   in Loop: Header=BB214_108 Depth=2
	v_dual_lshlrev_b32 v62, 2, v125 :: v_dual_add_nc_u32 v63, v2, v95
	ds_load_b32 v64, v62
	ds_load_b64 v[62:63], v63 offset:12800
	s_wait_dscnt 0x1
	v_add_nc_u32_e32 v64, v64, v72
	s_wait_dscnt 0x0
	global_store_b64 v64, v[62:63], s[44:45] scale_offset
	s_wait_xcnt 0x0
	s_or_b32 exec_lo, exec_lo, s17
	s_and_saveexec_b32 s17, s23
	s_cbranch_execz .LBB214_253
.LBB214_321:                            ;   in Loop: Header=BB214_108 Depth=2
	v_dual_lshlrev_b32 v62, 2, v124 :: v_dual_add_nc_u32 v63, v2, v95
	ds_load_b32 v64, v62
	ds_load_b64 v[62:63], v63 offset:14848
	s_wait_dscnt 0x1
	v_add_nc_u32_e32 v64, v64, v73
	s_wait_dscnt 0x0
	global_store_b64 v64, v[62:63], s[44:45] scale_offset
	s_wait_xcnt 0x0
	s_or_b32 exec_lo, exec_lo, s17
	s_and_saveexec_b32 s17, s24
	s_cbranch_execz .LBB214_254
.LBB214_322:                            ;   in Loop: Header=BB214_108 Depth=2
	v_lshlrev_b32_e32 v62, 2, v123
	v_add_nc_u32_e32 v63, v2, v95
	ds_load_b32 v64, v62
	ds_load_b64 v[62:63], v63 offset:16896
	s_wait_dscnt 0x1
	v_add_nc_u32_e32 v64, v64, v74
	s_wait_dscnt 0x0
	global_store_b64 v64, v[62:63], s[44:45] scale_offset
	s_wait_xcnt 0x0
	s_or_b32 exec_lo, exec_lo, s17
	s_and_saveexec_b32 s17, s25
	s_cbranch_execz .LBB214_255
.LBB214_323:                            ;   in Loop: Header=BB214_108 Depth=2
	v_dual_lshlrev_b32 v62, 2, v122 :: v_dual_add_nc_u32 v63, v2, v95
	ds_load_b32 v64, v62
	ds_load_b64 v[62:63], v63 offset:18944
	s_wait_dscnt 0x1
	v_add_nc_u32_e32 v64, v64, v75
	s_wait_dscnt 0x0
	global_store_b64 v64, v[62:63], s[44:45] scale_offset
	s_wait_xcnt 0x0
	s_or_b32 exec_lo, exec_lo, s17
	s_and_saveexec_b32 s17, s26
	s_cbranch_execz .LBB214_256
.LBB214_324:                            ;   in Loop: Header=BB214_108 Depth=2
	v_dual_lshlrev_b32 v62, 2, v121 :: v_dual_add_nc_u32 v63, v2, v95
	ds_load_b32 v64, v62
	ds_load_b64 v[62:63], v63 offset:20992
	s_wait_dscnt 0x1
	v_add_nc_u32_e32 v64, v64, v76
	s_wait_dscnt 0x0
	global_store_b64 v64, v[62:63], s[44:45] scale_offset
	s_wait_xcnt 0x0
	s_or_b32 exec_lo, exec_lo, s17
	s_and_saveexec_b32 s17, s27
	s_cbranch_execz .LBB214_257
.LBB214_325:                            ;   in Loop: Header=BB214_108 Depth=2
	v_dual_lshlrev_b32 v62, 2, v120 :: v_dual_add_nc_u32 v63, v2, v95
	ds_load_b32 v64, v62
	ds_load_b64 v[62:63], v63 offset:23040
	s_wait_dscnt 0x1
	v_add_nc_u32_e32 v64, v64, v77
	s_wait_dscnt 0x0
	global_store_b64 v64, v[62:63], s[44:45] scale_offset
	s_wait_xcnt 0x0
	s_or_b32 exec_lo, exec_lo, s17
	s_and_saveexec_b32 s17, s28
	s_cbranch_execz .LBB214_258
.LBB214_326:                            ;   in Loop: Header=BB214_108 Depth=2
	v_lshlrev_b32_e32 v62, 2, v119
	v_add_nc_u32_e32 v63, v2, v95
	ds_load_b32 v64, v62
	ds_load_b64 v[62:63], v63 offset:25088
	s_wait_dscnt 0x1
	v_add_nc_u32_e32 v64, v64, v78
	s_wait_dscnt 0x0
	global_store_b64 v64, v[62:63], s[44:45] scale_offset
	s_wait_xcnt 0x0
	s_or_b32 exec_lo, exec_lo, s17
	s_and_saveexec_b32 s17, s29
	s_cbranch_execz .LBB214_259
.LBB214_327:                            ;   in Loop: Header=BB214_108 Depth=2
	v_dual_lshlrev_b32 v62, 2, v118 :: v_dual_add_nc_u32 v63, v2, v95
	ds_load_b32 v64, v62
	ds_load_b64 v[62:63], v63 offset:27136
	s_wait_dscnt 0x1
	v_add_nc_u32_e32 v64, v64, v79
	s_wait_dscnt 0x0
	global_store_b64 v64, v[62:63], s[44:45] scale_offset
	s_wait_xcnt 0x0
	s_or_b32 exec_lo, exec_lo, s17
	s_and_saveexec_b32 s17, s30
	s_cbranch_execz .LBB214_260
.LBB214_328:                            ;   in Loop: Header=BB214_108 Depth=2
	v_dual_lshlrev_b32 v62, 2, v117 :: v_dual_add_nc_u32 v63, v2, v95
	ds_load_b32 v64, v62
	ds_load_b64 v[62:63], v63 offset:29184
	s_wait_dscnt 0x1
	v_add_nc_u32_e32 v64, v64, v80
	s_wait_dscnt 0x0
	global_store_b64 v64, v[62:63], s[44:45] scale_offset
	s_wait_xcnt 0x0
	s_or_b32 exec_lo, exec_lo, s17
	s_and_saveexec_b32 s17, s31
	s_cbranch_execz .LBB214_261
.LBB214_329:                            ;   in Loop: Header=BB214_108 Depth=2
	v_dual_lshlrev_b32 v62, 2, v116 :: v_dual_add_nc_u32 v63, v2, v95
	ds_load_b32 v64, v62
	ds_load_b64 v[62:63], v63 offset:31232
	s_wait_dscnt 0x1
	v_add_nc_u32_e32 v64, v64, v81
	s_wait_dscnt 0x0
	global_store_b64 v64, v[62:63], s[44:45] scale_offset
	s_wait_xcnt 0x0
	s_or_b32 exec_lo, exec_lo, s17
	s_and_saveexec_b32 s17, s33
	s_cbranch_execnz .LBB214_262
	s_branch .LBB214_263
.LBB214_330:                            ;   in Loop: Header=BB214_20 Depth=1
	s_wait_dscnt 0x0
	s_barrier_signal -1
	s_mov_b32 s8, 0
	s_barrier_wait -1
.LBB214_331:                            ;   in Loop: Header=BB214_20 Depth=1
	s_and_b32 vcc_lo, exec_lo, s8
	s_cbranch_vccz .LBB214_641
; %bb.332:                              ;   in Loop: Header=BB214_20 Depth=1
	v_dual_mov_b32 v39, 0 :: v_dual_mov_b32 v42, 0
	v_dual_mov_b32 v41, 0 :: v_dual_mov_b32 v40, 0
	;; [unrolled: 1-line block ×8, first 2 shown]
	v_mov_b32_e32 v26, 0
	s_mov_b32 s8, s57
	s_mov_b32 s34, s55
	s_barrier_signal -1
	s_barrier_wait -1
	s_branch .LBB214_334
.LBB214_333:                            ;   in Loop: Header=BB214_334 Depth=2
	s_or_b32 exec_lo, exec_lo, s10
	s_addk_co_i32 s8, 0xef00
	s_cmp_ge_u32 s9, s54
	s_mov_b32 s34, s9
	s_cbranch_scc1 .LBB214_406
.LBB214_334:                            ;   Parent Loop BB214_20 Depth=1
                                        ; =>  This Inner Loop Header: Depth=2
	s_add_co_i32 s9, s34, 0x1100
	s_mov_b32 s10, -1
	s_cmp_gt_u32 s9, s54
                                        ; implicit-def: $vgpr24
                                        ; implicit-def: $vgpr25
                                        ; implicit-def: $vgpr43
                                        ; implicit-def: $vgpr44
                                        ; implicit-def: $vgpr45
                                        ; implicit-def: $vgpr46
                                        ; implicit-def: $vgpr47
                                        ; implicit-def: $vgpr48
                                        ; implicit-def: $vgpr49
                                        ; implicit-def: $vgpr50
                                        ; implicit-def: $vgpr51
                                        ; implicit-def: $vgpr52
                                        ; implicit-def: $vgpr53
                                        ; implicit-def: $vgpr54
                                        ; implicit-def: $vgpr55
                                        ; implicit-def: $vgpr56
                                        ; implicit-def: $vgpr57
	s_cbranch_scc1 .LBB214_336
; %bb.335:                              ;   in Loop: Header=BB214_334 Depth=2
	v_add_nc_u64_e32 v[58:59], s[34:35], v[12:13]
	s_mov_b32 s10, 0
	s_clause 0x10
	global_load_u8 v57, v[58:59], off offset:4096
	global_load_u8 v56, v[58:59], off offset:3840
	;; [unrolled: 1-line block ×16, first 2 shown]
	global_load_u8 v24, v[58:59], off
.LBB214_336:                            ;   in Loop: Header=BB214_334 Depth=2
	s_and_not1_b32 vcc_lo, exec_lo, s10
	s_movk_i32 s10, 0x1100
	s_cbranch_vccnz .LBB214_356
; %bb.337:                              ;   in Loop: Header=BB214_334 Depth=2
	s_add_nc_u64 s[10:11], s[38:39], s[34:35]
	s_wait_loadcnt 0x0
	v_add_nc_u64_e32 v[24:25], s[10:11], v[2:3]
	s_mov_b32 s10, exec_lo
	s_wait_xcnt 0x0
	v_cmpx_gt_u32_e64 s8, v2
	s_cbranch_execnz .LBB214_390
; %bb.338:                              ;   in Loop: Header=BB214_334 Depth=2
	s_or_b32 exec_lo, exec_lo, s10
	s_delay_alu instid0(SALU_CYCLE_1)
	s_mov_b32 s10, exec_lo
	v_cmpx_gt_u32_e64 s8, v67
	s_cbranch_execnz .LBB214_391
.LBB214_339:                            ;   in Loop: Header=BB214_334 Depth=2
	s_or_b32 exec_lo, exec_lo, s10
	s_delay_alu instid0(SALU_CYCLE_1)
	s_mov_b32 s10, exec_lo
	v_cmpx_gt_u32_e64 s8, v68
	s_cbranch_execnz .LBB214_392
.LBB214_340:                            ;   in Loop: Header=BB214_334 Depth=2
	s_or_b32 exec_lo, exec_lo, s10
	s_delay_alu instid0(SALU_CYCLE_1)
	s_mov_b32 s10, exec_lo
	v_cmpx_gt_u32_e64 s8, v69
	s_cbranch_execnz .LBB214_393
.LBB214_341:                            ;   in Loop: Header=BB214_334 Depth=2
	s_or_b32 exec_lo, exec_lo, s10
	s_delay_alu instid0(SALU_CYCLE_1)
	s_mov_b32 s10, exec_lo
	v_cmpx_gt_u32_e64 s8, v70
	s_cbranch_execnz .LBB214_394
.LBB214_342:                            ;   in Loop: Header=BB214_334 Depth=2
	s_or_b32 exec_lo, exec_lo, s10
	s_delay_alu instid0(SALU_CYCLE_1)
	s_mov_b32 s10, exec_lo
	v_cmpx_gt_u32_e64 s8, v71
	s_cbranch_execnz .LBB214_395
.LBB214_343:                            ;   in Loop: Header=BB214_334 Depth=2
	s_or_b32 exec_lo, exec_lo, s10
	s_delay_alu instid0(SALU_CYCLE_1)
	s_mov_b32 s10, exec_lo
	v_cmpx_gt_u32_e64 s8, v72
	s_cbranch_execnz .LBB214_396
.LBB214_344:                            ;   in Loop: Header=BB214_334 Depth=2
	s_or_b32 exec_lo, exec_lo, s10
	s_delay_alu instid0(SALU_CYCLE_1)
	s_mov_b32 s10, exec_lo
	v_cmpx_gt_u32_e64 s8, v73
	s_cbranch_execnz .LBB214_397
.LBB214_345:                            ;   in Loop: Header=BB214_334 Depth=2
	s_or_b32 exec_lo, exec_lo, s10
	s_delay_alu instid0(SALU_CYCLE_1)
	s_mov_b32 s10, exec_lo
	v_cmpx_gt_u32_e64 s8, v74
	s_cbranch_execnz .LBB214_398
.LBB214_346:                            ;   in Loop: Header=BB214_334 Depth=2
	s_or_b32 exec_lo, exec_lo, s10
	s_delay_alu instid0(SALU_CYCLE_1)
	s_mov_b32 s10, exec_lo
	v_cmpx_gt_u32_e64 s8, v75
	s_cbranch_execnz .LBB214_399
.LBB214_347:                            ;   in Loop: Header=BB214_334 Depth=2
	s_or_b32 exec_lo, exec_lo, s10
	s_delay_alu instid0(SALU_CYCLE_1)
	s_mov_b32 s10, exec_lo
	v_cmpx_gt_u32_e64 s8, v76
	s_cbranch_execnz .LBB214_400
.LBB214_348:                            ;   in Loop: Header=BB214_334 Depth=2
	s_or_b32 exec_lo, exec_lo, s10
	s_delay_alu instid0(SALU_CYCLE_1)
	s_mov_b32 s10, exec_lo
	v_cmpx_gt_u32_e64 s8, v77
	s_cbranch_execnz .LBB214_401
.LBB214_349:                            ;   in Loop: Header=BB214_334 Depth=2
	s_or_b32 exec_lo, exec_lo, s10
	s_delay_alu instid0(SALU_CYCLE_1)
	s_mov_b32 s10, exec_lo
	v_cmpx_gt_u32_e64 s8, v78
	s_cbranch_execnz .LBB214_402
.LBB214_350:                            ;   in Loop: Header=BB214_334 Depth=2
	s_or_b32 exec_lo, exec_lo, s10
	s_delay_alu instid0(SALU_CYCLE_1)
	s_mov_b32 s10, exec_lo
	v_cmpx_gt_u32_e64 s8, v79
	s_cbranch_execnz .LBB214_403
.LBB214_351:                            ;   in Loop: Header=BB214_334 Depth=2
	s_or_b32 exec_lo, exec_lo, s10
	s_delay_alu instid0(SALU_CYCLE_1)
	s_mov_b32 s10, exec_lo
	v_cmpx_gt_u32_e64 s8, v80
	s_cbranch_execnz .LBB214_404
.LBB214_352:                            ;   in Loop: Header=BB214_334 Depth=2
	s_or_b32 exec_lo, exec_lo, s10
	s_delay_alu instid0(SALU_CYCLE_1)
	s_mov_b32 s10, exec_lo
	v_cmpx_gt_u32_e64 s8, v81
	s_cbranch_execnz .LBB214_405
.LBB214_353:                            ;   in Loop: Header=BB214_334 Depth=2
	s_or_b32 exec_lo, exec_lo, s10
	s_delay_alu instid0(SALU_CYCLE_1)
	s_mov_b32 s10, exec_lo
	v_cmpx_gt_u32_e64 s8, v82
	s_cbranch_execz .LBB214_355
.LBB214_354:                            ;   in Loop: Header=BB214_334 Depth=2
	global_load_u8 v26, v[24:25], off offset:4096
.LBB214_355:                            ;   in Loop: Header=BB214_334 Depth=2
	s_wait_xcnt 0x0
	s_or_b32 exec_lo, exec_lo, s10
	s_wait_loadcnt 0x0
	v_dual_mov_b32 v24, v39 :: v_dual_mov_b32 v25, v42
	v_dual_mov_b32 v43, v41 :: v_dual_mov_b32 v44, v40
	;; [unrolled: 1-line block ×8, first 2 shown]
	v_mov_b32_e32 v57, v26
	s_mov_b32 s10, s8
.LBB214_356:                            ;   in Loop: Header=BB214_334 Depth=2
	s_wait_loadcnt 0xf
	s_delay_alu instid0(VALU_DEP_1)
	v_dual_mov_b32 v26, v57 :: v_dual_mov_b32 v27, v56
	s_wait_loadcnt 0xd
	v_dual_mov_b32 v28, v55 :: v_dual_mov_b32 v29, v54
	s_wait_loadcnt 0xb
	v_dual_mov_b32 v30, v53 :: v_dual_mov_b32 v31, v52
	s_wait_loadcnt 0x9
	v_dual_mov_b32 v32, v51 :: v_dual_mov_b32 v33, v50
	s_wait_loadcnt 0x7
	v_dual_mov_b32 v34, v49 :: v_dual_mov_b32 v35, v48
	s_wait_loadcnt 0x5
	v_dual_mov_b32 v36, v47 :: v_dual_mov_b32 v37, v46
	s_wait_loadcnt 0x3
	v_dual_mov_b32 v38, v45 :: v_dual_mov_b32 v40, v44
	s_wait_loadcnt 0x1
	v_dual_mov_b32 v41, v43 :: v_dual_mov_b32 v42, v25
	s_wait_loadcnt 0x0
	v_mov_b32_e32 v39, v24
	s_mov_b32 s11, exec_lo
	s_wait_xcnt 0x0
	v_cmpx_gt_u32_e64 s10, v2
	s_cbranch_execnz .LBB214_373
; %bb.357:                              ;   in Loop: Header=BB214_334 Depth=2
	s_or_b32 exec_lo, exec_lo, s11
	s_delay_alu instid0(SALU_CYCLE_1)
	s_mov_b32 s11, exec_lo
	v_cmpx_gt_u32_e64 s10, v67
	s_cbranch_execnz .LBB214_374
.LBB214_358:                            ;   in Loop: Header=BB214_334 Depth=2
	s_or_b32 exec_lo, exec_lo, s11
	s_delay_alu instid0(SALU_CYCLE_1)
	s_mov_b32 s11, exec_lo
	v_cmpx_gt_u32_e64 s10, v68
	s_cbranch_execnz .LBB214_375
.LBB214_359:                            ;   in Loop: Header=BB214_334 Depth=2
	s_or_b32 exec_lo, exec_lo, s11
	s_delay_alu instid0(SALU_CYCLE_1)
	s_mov_b32 s11, exec_lo
	v_cmpx_gt_u32_e64 s10, v69
	s_cbranch_execnz .LBB214_376
.LBB214_360:                            ;   in Loop: Header=BB214_334 Depth=2
	s_or_b32 exec_lo, exec_lo, s11
	s_delay_alu instid0(SALU_CYCLE_1)
	s_mov_b32 s11, exec_lo
	v_cmpx_gt_u32_e64 s10, v70
	s_cbranch_execnz .LBB214_377
.LBB214_361:                            ;   in Loop: Header=BB214_334 Depth=2
	s_or_b32 exec_lo, exec_lo, s11
	s_delay_alu instid0(SALU_CYCLE_1)
	s_mov_b32 s11, exec_lo
	v_cmpx_gt_u32_e64 s10, v71
	s_cbranch_execnz .LBB214_378
.LBB214_362:                            ;   in Loop: Header=BB214_334 Depth=2
	s_or_b32 exec_lo, exec_lo, s11
	s_delay_alu instid0(SALU_CYCLE_1)
	s_mov_b32 s11, exec_lo
	v_cmpx_gt_u32_e64 s10, v72
	s_cbranch_execnz .LBB214_379
.LBB214_363:                            ;   in Loop: Header=BB214_334 Depth=2
	s_or_b32 exec_lo, exec_lo, s11
	s_delay_alu instid0(SALU_CYCLE_1)
	s_mov_b32 s11, exec_lo
	v_cmpx_gt_u32_e64 s10, v73
	s_cbranch_execnz .LBB214_380
.LBB214_364:                            ;   in Loop: Header=BB214_334 Depth=2
	s_or_b32 exec_lo, exec_lo, s11
	s_delay_alu instid0(SALU_CYCLE_1)
	s_mov_b32 s11, exec_lo
	v_cmpx_gt_u32_e64 s10, v74
	s_cbranch_execnz .LBB214_381
.LBB214_365:                            ;   in Loop: Header=BB214_334 Depth=2
	s_or_b32 exec_lo, exec_lo, s11
	s_delay_alu instid0(SALU_CYCLE_1)
	s_mov_b32 s11, exec_lo
	v_cmpx_gt_u32_e64 s10, v75
	s_cbranch_execnz .LBB214_382
.LBB214_366:                            ;   in Loop: Header=BB214_334 Depth=2
	s_or_b32 exec_lo, exec_lo, s11
	s_delay_alu instid0(SALU_CYCLE_1)
	s_mov_b32 s11, exec_lo
	v_cmpx_gt_u32_e64 s10, v76
	s_cbranch_execnz .LBB214_383
.LBB214_367:                            ;   in Loop: Header=BB214_334 Depth=2
	s_or_b32 exec_lo, exec_lo, s11
	s_delay_alu instid0(SALU_CYCLE_1)
	s_mov_b32 s11, exec_lo
	v_cmpx_gt_u32_e64 s10, v77
	s_cbranch_execnz .LBB214_384
.LBB214_368:                            ;   in Loop: Header=BB214_334 Depth=2
	s_or_b32 exec_lo, exec_lo, s11
	s_delay_alu instid0(SALU_CYCLE_1)
	s_mov_b32 s11, exec_lo
	v_cmpx_gt_u32_e64 s10, v78
	s_cbranch_execnz .LBB214_385
.LBB214_369:                            ;   in Loop: Header=BB214_334 Depth=2
	s_or_b32 exec_lo, exec_lo, s11
	s_delay_alu instid0(SALU_CYCLE_1)
	s_mov_b32 s11, exec_lo
	v_cmpx_gt_u32_e64 s10, v79
	s_cbranch_execnz .LBB214_386
.LBB214_370:                            ;   in Loop: Header=BB214_334 Depth=2
	s_or_b32 exec_lo, exec_lo, s11
	s_delay_alu instid0(SALU_CYCLE_1)
	s_mov_b32 s11, exec_lo
	v_cmpx_gt_u32_e64 s10, v80
	s_cbranch_execnz .LBB214_387
.LBB214_371:                            ;   in Loop: Header=BB214_334 Depth=2
	s_or_b32 exec_lo, exec_lo, s11
	s_delay_alu instid0(SALU_CYCLE_1)
	s_mov_b32 s11, exec_lo
	v_cmpx_gt_u32_e64 s10, v81
	s_cbranch_execnz .LBB214_388
.LBB214_372:                            ;   in Loop: Header=BB214_334 Depth=2
	s_or_b32 exec_lo, exec_lo, s11
	v_cmp_gt_u32_e32 vcc_lo, s10, v82
	s_and_saveexec_b32 s10, vcc_lo
	s_cbranch_execz .LBB214_333
	s_branch .LBB214_389
.LBB214_373:                            ;   in Loop: Header=BB214_334 Depth=2
	v_and_b32_e32 v24, 0xff, v39
	s_delay_alu instid0(VALU_DEP_1) | instskip(NEXT) | instid1(VALU_DEP_1)
	v_lshrrev_b32_e32 v24, s43, v24
	v_and_b32_e32 v24, s48, v24
	s_delay_alu instid0(VALU_DEP_1) | instskip(SKIP_2) | instid1(SALU_CYCLE_1)
	v_lshl_or_b32 v24, v24, 4, v84
	ds_add_u32 v24, v7
	s_or_b32 exec_lo, exec_lo, s11
	s_mov_b32 s11, exec_lo
	v_cmpx_gt_u32_e64 s10, v67
	s_cbranch_execz .LBB214_358
.LBB214_374:                            ;   in Loop: Header=BB214_334 Depth=2
	v_and_b32_e32 v24, 0xff, v42
	s_delay_alu instid0(VALU_DEP_1) | instskip(NEXT) | instid1(VALU_DEP_1)
	v_lshrrev_b32_e32 v24, s43, v24
	v_and_b32_e32 v24, s48, v24
	s_delay_alu instid0(VALU_DEP_1) | instskip(SKIP_2) | instid1(SALU_CYCLE_1)
	v_lshl_or_b32 v24, v24, 4, v84
	ds_add_u32 v24, v7
	s_or_b32 exec_lo, exec_lo, s11
	s_mov_b32 s11, exec_lo
	v_cmpx_gt_u32_e64 s10, v68
	s_cbranch_execz .LBB214_359
.LBB214_375:                            ;   in Loop: Header=BB214_334 Depth=2
	v_and_b32_e32 v24, 0xff, v41
	s_delay_alu instid0(VALU_DEP_1) | instskip(NEXT) | instid1(VALU_DEP_1)
	v_lshrrev_b32_e32 v24, s43, v24
	v_and_b32_e32 v24, s48, v24
	s_delay_alu instid0(VALU_DEP_1) | instskip(SKIP_2) | instid1(SALU_CYCLE_1)
	v_lshl_or_b32 v24, v24, 4, v84
	ds_add_u32 v24, v7
	s_or_b32 exec_lo, exec_lo, s11
	s_mov_b32 s11, exec_lo
	v_cmpx_gt_u32_e64 s10, v69
	s_cbranch_execz .LBB214_360
.LBB214_376:                            ;   in Loop: Header=BB214_334 Depth=2
	v_and_b32_e32 v24, 0xff, v40
	s_delay_alu instid0(VALU_DEP_1) | instskip(NEXT) | instid1(VALU_DEP_1)
	v_lshrrev_b32_e32 v24, s43, v24
	v_and_b32_e32 v24, s48, v24
	s_delay_alu instid0(VALU_DEP_1) | instskip(SKIP_2) | instid1(SALU_CYCLE_1)
	v_lshl_or_b32 v24, v24, 4, v84
	ds_add_u32 v24, v7
	s_or_b32 exec_lo, exec_lo, s11
	s_mov_b32 s11, exec_lo
	v_cmpx_gt_u32_e64 s10, v70
	s_cbranch_execz .LBB214_361
.LBB214_377:                            ;   in Loop: Header=BB214_334 Depth=2
	v_and_b32_e32 v24, 0xff, v38
	s_delay_alu instid0(VALU_DEP_1) | instskip(NEXT) | instid1(VALU_DEP_1)
	v_lshrrev_b32_e32 v24, s43, v24
	v_and_b32_e32 v24, s48, v24
	s_delay_alu instid0(VALU_DEP_1) | instskip(SKIP_2) | instid1(SALU_CYCLE_1)
	v_lshl_or_b32 v24, v24, 4, v84
	ds_add_u32 v24, v7
	s_or_b32 exec_lo, exec_lo, s11
	s_mov_b32 s11, exec_lo
	v_cmpx_gt_u32_e64 s10, v71
	s_cbranch_execz .LBB214_362
.LBB214_378:                            ;   in Loop: Header=BB214_334 Depth=2
	v_and_b32_e32 v24, 0xff, v37
	s_delay_alu instid0(VALU_DEP_1) | instskip(NEXT) | instid1(VALU_DEP_1)
	v_lshrrev_b32_e32 v24, s43, v24
	v_and_b32_e32 v24, s48, v24
	s_delay_alu instid0(VALU_DEP_1) | instskip(SKIP_2) | instid1(SALU_CYCLE_1)
	v_lshl_or_b32 v24, v24, 4, v84
	ds_add_u32 v24, v7
	s_or_b32 exec_lo, exec_lo, s11
	s_mov_b32 s11, exec_lo
	v_cmpx_gt_u32_e64 s10, v72
	s_cbranch_execz .LBB214_363
.LBB214_379:                            ;   in Loop: Header=BB214_334 Depth=2
	v_and_b32_e32 v24, 0xff, v36
	s_delay_alu instid0(VALU_DEP_1) | instskip(NEXT) | instid1(VALU_DEP_1)
	v_lshrrev_b32_e32 v24, s43, v24
	v_and_b32_e32 v24, s48, v24
	s_delay_alu instid0(VALU_DEP_1) | instskip(SKIP_2) | instid1(SALU_CYCLE_1)
	v_lshl_or_b32 v24, v24, 4, v84
	ds_add_u32 v24, v7
	s_or_b32 exec_lo, exec_lo, s11
	s_mov_b32 s11, exec_lo
	v_cmpx_gt_u32_e64 s10, v73
	s_cbranch_execz .LBB214_364
.LBB214_380:                            ;   in Loop: Header=BB214_334 Depth=2
	v_and_b32_e32 v24, 0xff, v35
	s_delay_alu instid0(VALU_DEP_1) | instskip(NEXT) | instid1(VALU_DEP_1)
	v_lshrrev_b32_e32 v24, s43, v24
	v_and_b32_e32 v24, s48, v24
	s_delay_alu instid0(VALU_DEP_1) | instskip(SKIP_2) | instid1(SALU_CYCLE_1)
	v_lshl_or_b32 v24, v24, 4, v84
	ds_add_u32 v24, v7
	s_or_b32 exec_lo, exec_lo, s11
	s_mov_b32 s11, exec_lo
	v_cmpx_gt_u32_e64 s10, v74
	s_cbranch_execz .LBB214_365
.LBB214_381:                            ;   in Loop: Header=BB214_334 Depth=2
	v_and_b32_e32 v24, 0xff, v34
	s_delay_alu instid0(VALU_DEP_1) | instskip(NEXT) | instid1(VALU_DEP_1)
	v_lshrrev_b32_e32 v24, s43, v24
	v_and_b32_e32 v24, s48, v24
	s_delay_alu instid0(VALU_DEP_1) | instskip(SKIP_2) | instid1(SALU_CYCLE_1)
	v_lshl_or_b32 v24, v24, 4, v84
	ds_add_u32 v24, v7
	s_or_b32 exec_lo, exec_lo, s11
	s_mov_b32 s11, exec_lo
	v_cmpx_gt_u32_e64 s10, v75
	s_cbranch_execz .LBB214_366
.LBB214_382:                            ;   in Loop: Header=BB214_334 Depth=2
	v_and_b32_e32 v24, 0xff, v33
	s_delay_alu instid0(VALU_DEP_1) | instskip(NEXT) | instid1(VALU_DEP_1)
	v_lshrrev_b32_e32 v24, s43, v24
	v_and_b32_e32 v24, s48, v24
	s_delay_alu instid0(VALU_DEP_1) | instskip(SKIP_2) | instid1(SALU_CYCLE_1)
	v_lshl_or_b32 v24, v24, 4, v84
	ds_add_u32 v24, v7
	s_or_b32 exec_lo, exec_lo, s11
	s_mov_b32 s11, exec_lo
	v_cmpx_gt_u32_e64 s10, v76
	s_cbranch_execz .LBB214_367
.LBB214_383:                            ;   in Loop: Header=BB214_334 Depth=2
	v_and_b32_e32 v24, 0xff, v32
	s_delay_alu instid0(VALU_DEP_1) | instskip(NEXT) | instid1(VALU_DEP_1)
	v_lshrrev_b32_e32 v24, s43, v24
	v_and_b32_e32 v24, s48, v24
	s_delay_alu instid0(VALU_DEP_1) | instskip(SKIP_2) | instid1(SALU_CYCLE_1)
	v_lshl_or_b32 v24, v24, 4, v84
	ds_add_u32 v24, v7
	s_or_b32 exec_lo, exec_lo, s11
	s_mov_b32 s11, exec_lo
	v_cmpx_gt_u32_e64 s10, v77
	s_cbranch_execz .LBB214_368
.LBB214_384:                            ;   in Loop: Header=BB214_334 Depth=2
	v_and_b32_e32 v24, 0xff, v31
	s_delay_alu instid0(VALU_DEP_1) | instskip(NEXT) | instid1(VALU_DEP_1)
	v_lshrrev_b32_e32 v24, s43, v24
	v_and_b32_e32 v24, s48, v24
	s_delay_alu instid0(VALU_DEP_1) | instskip(SKIP_2) | instid1(SALU_CYCLE_1)
	v_lshl_or_b32 v24, v24, 4, v84
	ds_add_u32 v24, v7
	s_or_b32 exec_lo, exec_lo, s11
	s_mov_b32 s11, exec_lo
	v_cmpx_gt_u32_e64 s10, v78
	s_cbranch_execz .LBB214_369
.LBB214_385:                            ;   in Loop: Header=BB214_334 Depth=2
	v_and_b32_e32 v24, 0xff, v30
	s_delay_alu instid0(VALU_DEP_1) | instskip(NEXT) | instid1(VALU_DEP_1)
	v_lshrrev_b32_e32 v24, s43, v24
	v_and_b32_e32 v24, s48, v24
	s_delay_alu instid0(VALU_DEP_1) | instskip(SKIP_2) | instid1(SALU_CYCLE_1)
	v_lshl_or_b32 v24, v24, 4, v84
	ds_add_u32 v24, v7
	s_or_b32 exec_lo, exec_lo, s11
	s_mov_b32 s11, exec_lo
	v_cmpx_gt_u32_e64 s10, v79
	s_cbranch_execz .LBB214_370
.LBB214_386:                            ;   in Loop: Header=BB214_334 Depth=2
	v_and_b32_e32 v24, 0xff, v29
	s_delay_alu instid0(VALU_DEP_1) | instskip(NEXT) | instid1(VALU_DEP_1)
	v_lshrrev_b32_e32 v24, s43, v24
	v_and_b32_e32 v24, s48, v24
	s_delay_alu instid0(VALU_DEP_1) | instskip(SKIP_2) | instid1(SALU_CYCLE_1)
	v_lshl_or_b32 v24, v24, 4, v84
	ds_add_u32 v24, v7
	s_or_b32 exec_lo, exec_lo, s11
	s_mov_b32 s11, exec_lo
	v_cmpx_gt_u32_e64 s10, v80
	s_cbranch_execz .LBB214_371
.LBB214_387:                            ;   in Loop: Header=BB214_334 Depth=2
	v_and_b32_e32 v24, 0xff, v28
	s_delay_alu instid0(VALU_DEP_1) | instskip(NEXT) | instid1(VALU_DEP_1)
	v_lshrrev_b32_e32 v24, s43, v24
	v_and_b32_e32 v24, s48, v24
	s_delay_alu instid0(VALU_DEP_1) | instskip(SKIP_2) | instid1(SALU_CYCLE_1)
	v_lshl_or_b32 v24, v24, 4, v84
	ds_add_u32 v24, v7
	s_or_b32 exec_lo, exec_lo, s11
	s_mov_b32 s11, exec_lo
	v_cmpx_gt_u32_e64 s10, v81
	s_cbranch_execz .LBB214_372
.LBB214_388:                            ;   in Loop: Header=BB214_334 Depth=2
	v_and_b32_e32 v24, 0xff, v27
	s_delay_alu instid0(VALU_DEP_1) | instskip(NEXT) | instid1(VALU_DEP_1)
	v_lshrrev_b32_e32 v24, s43, v24
	v_and_b32_e32 v24, s48, v24
	s_delay_alu instid0(VALU_DEP_1)
	v_lshl_or_b32 v24, v24, 4, v84
	ds_add_u32 v24, v7
	s_or_b32 exec_lo, exec_lo, s11
	v_cmp_gt_u32_e32 vcc_lo, s10, v82
	s_and_saveexec_b32 s10, vcc_lo
	s_cbranch_execz .LBB214_333
.LBB214_389:                            ;   in Loop: Header=BB214_334 Depth=2
	v_and_b32_e32 v24, 0xff, v26
	s_delay_alu instid0(VALU_DEP_1) | instskip(NEXT) | instid1(VALU_DEP_1)
	v_lshrrev_b32_e32 v24, s43, v24
	v_and_b32_e32 v24, s48, v24
	s_delay_alu instid0(VALU_DEP_1)
	v_lshl_or_b32 v24, v24, 4, v84
	ds_add_u32 v24, v7
	s_branch .LBB214_333
.LBB214_390:                            ;   in Loop: Header=BB214_334 Depth=2
	global_load_u8 v39, v[24:25], off
	s_wait_xcnt 0x0
	s_or_b32 exec_lo, exec_lo, s10
	s_delay_alu instid0(SALU_CYCLE_1)
	s_mov_b32 s10, exec_lo
	v_cmpx_gt_u32_e64 s8, v67
	s_cbranch_execz .LBB214_339
.LBB214_391:                            ;   in Loop: Header=BB214_334 Depth=2
	global_load_u8 v42, v[24:25], off offset:256
	s_wait_xcnt 0x0
	s_or_b32 exec_lo, exec_lo, s10
	s_delay_alu instid0(SALU_CYCLE_1)
	s_mov_b32 s10, exec_lo
	v_cmpx_gt_u32_e64 s8, v68
	s_cbranch_execz .LBB214_340
.LBB214_392:                            ;   in Loop: Header=BB214_334 Depth=2
	global_load_u8 v41, v[24:25], off offset:512
	s_wait_xcnt 0x0
	s_or_b32 exec_lo, exec_lo, s10
	s_delay_alu instid0(SALU_CYCLE_1)
	s_mov_b32 s10, exec_lo
	v_cmpx_gt_u32_e64 s8, v69
	s_cbranch_execz .LBB214_341
.LBB214_393:                            ;   in Loop: Header=BB214_334 Depth=2
	global_load_u8 v40, v[24:25], off offset:768
	s_wait_xcnt 0x0
	s_or_b32 exec_lo, exec_lo, s10
	s_delay_alu instid0(SALU_CYCLE_1)
	s_mov_b32 s10, exec_lo
	v_cmpx_gt_u32_e64 s8, v70
	s_cbranch_execz .LBB214_342
.LBB214_394:                            ;   in Loop: Header=BB214_334 Depth=2
	global_load_u8 v38, v[24:25], off offset:1024
	s_wait_xcnt 0x0
	s_or_b32 exec_lo, exec_lo, s10
	s_delay_alu instid0(SALU_CYCLE_1)
	s_mov_b32 s10, exec_lo
	v_cmpx_gt_u32_e64 s8, v71
	s_cbranch_execz .LBB214_343
.LBB214_395:                            ;   in Loop: Header=BB214_334 Depth=2
	global_load_u8 v37, v[24:25], off offset:1280
	s_wait_xcnt 0x0
	s_or_b32 exec_lo, exec_lo, s10
	s_delay_alu instid0(SALU_CYCLE_1)
	s_mov_b32 s10, exec_lo
	v_cmpx_gt_u32_e64 s8, v72
	s_cbranch_execz .LBB214_344
.LBB214_396:                            ;   in Loop: Header=BB214_334 Depth=2
	global_load_u8 v36, v[24:25], off offset:1536
	s_wait_xcnt 0x0
	s_or_b32 exec_lo, exec_lo, s10
	s_delay_alu instid0(SALU_CYCLE_1)
	s_mov_b32 s10, exec_lo
	v_cmpx_gt_u32_e64 s8, v73
	s_cbranch_execz .LBB214_345
.LBB214_397:                            ;   in Loop: Header=BB214_334 Depth=2
	global_load_u8 v35, v[24:25], off offset:1792
	s_wait_xcnt 0x0
	s_or_b32 exec_lo, exec_lo, s10
	s_delay_alu instid0(SALU_CYCLE_1)
	s_mov_b32 s10, exec_lo
	v_cmpx_gt_u32_e64 s8, v74
	s_cbranch_execz .LBB214_346
.LBB214_398:                            ;   in Loop: Header=BB214_334 Depth=2
	global_load_u8 v34, v[24:25], off offset:2048
	s_wait_xcnt 0x0
	s_or_b32 exec_lo, exec_lo, s10
	s_delay_alu instid0(SALU_CYCLE_1)
	s_mov_b32 s10, exec_lo
	v_cmpx_gt_u32_e64 s8, v75
	s_cbranch_execz .LBB214_347
.LBB214_399:                            ;   in Loop: Header=BB214_334 Depth=2
	global_load_u8 v33, v[24:25], off offset:2304
	s_wait_xcnt 0x0
	s_or_b32 exec_lo, exec_lo, s10
	s_delay_alu instid0(SALU_CYCLE_1)
	s_mov_b32 s10, exec_lo
	v_cmpx_gt_u32_e64 s8, v76
	s_cbranch_execz .LBB214_348
.LBB214_400:                            ;   in Loop: Header=BB214_334 Depth=2
	global_load_u8 v32, v[24:25], off offset:2560
	s_wait_xcnt 0x0
	s_or_b32 exec_lo, exec_lo, s10
	s_delay_alu instid0(SALU_CYCLE_1)
	s_mov_b32 s10, exec_lo
	v_cmpx_gt_u32_e64 s8, v77
	s_cbranch_execz .LBB214_349
.LBB214_401:                            ;   in Loop: Header=BB214_334 Depth=2
	global_load_u8 v31, v[24:25], off offset:2816
	s_wait_xcnt 0x0
	s_or_b32 exec_lo, exec_lo, s10
	s_delay_alu instid0(SALU_CYCLE_1)
	s_mov_b32 s10, exec_lo
	v_cmpx_gt_u32_e64 s8, v78
	s_cbranch_execz .LBB214_350
.LBB214_402:                            ;   in Loop: Header=BB214_334 Depth=2
	global_load_u8 v30, v[24:25], off offset:3072
	s_wait_xcnt 0x0
	s_or_b32 exec_lo, exec_lo, s10
	s_delay_alu instid0(SALU_CYCLE_1)
	s_mov_b32 s10, exec_lo
	v_cmpx_gt_u32_e64 s8, v79
	s_cbranch_execz .LBB214_351
.LBB214_403:                            ;   in Loop: Header=BB214_334 Depth=2
	global_load_u8 v29, v[24:25], off offset:3328
	s_wait_xcnt 0x0
	s_or_b32 exec_lo, exec_lo, s10
	s_delay_alu instid0(SALU_CYCLE_1)
	s_mov_b32 s10, exec_lo
	v_cmpx_gt_u32_e64 s8, v80
	s_cbranch_execz .LBB214_352
.LBB214_404:                            ;   in Loop: Header=BB214_334 Depth=2
	global_load_u8 v28, v[24:25], off offset:3584
	s_wait_xcnt 0x0
	s_or_b32 exec_lo, exec_lo, s10
	s_delay_alu instid0(SALU_CYCLE_1)
	s_mov_b32 s10, exec_lo
	v_cmpx_gt_u32_e64 s8, v81
	s_cbranch_execz .LBB214_353
.LBB214_405:                            ;   in Loop: Header=BB214_334 Depth=2
	global_load_u8 v27, v[24:25], off offset:3840
	s_wait_xcnt 0x0
	s_or_b32 exec_lo, exec_lo, s10
	s_delay_alu instid0(SALU_CYCLE_1)
	s_mov_b32 s10, exec_lo
	v_cmpx_gt_u32_e64 s8, v82
	s_cbranch_execnz .LBB214_354
	s_branch .LBB214_355
.LBB214_406:                            ;   in Loop: Header=BB214_20 Depth=1
	v_mov_b32_e32 v24, 0
	s_wait_dscnt 0x0
	s_barrier_signal -1
	s_barrier_wait -1
	s_and_saveexec_b32 s8, s0
	s_cbranch_execz .LBB214_408
; %bb.407:                              ;   in Loop: Header=BB214_20 Depth=1
	ds_load_2addr_b64 v[24:27], v85 offset1:1
	s_wait_dscnt 0x0
	v_add_nc_u32_e32 v24, v25, v24
	s_delay_alu instid0(VALU_DEP_1)
	v_add3_u32 v24, v24, v26, v27
.LBB214_408:                            ;   in Loop: Header=BB214_20 Depth=1
	s_or_b32 exec_lo, exec_lo, s8
	v_and_b32_e32 v25, 15, v0
	s_delay_alu instid0(VALU_DEP_2) | instskip(SKIP_1) | instid1(VALU_DEP_3)
	v_mov_b32_dpp v26, v24 row_shr:1 row_mask:0xf bank_mask:0xf
	v_and_b32_e32 v27, 16, v0
	v_cmp_eq_u32_e64 s8, 0, v25
	v_cmp_lt_u32_e64 s9, 1, v25
	s_delay_alu instid0(VALU_DEP_3) | instskip(NEXT) | instid1(VALU_DEP_3)
	v_cmp_eq_u32_e64 s12, 0, v27
	v_cndmask_b32_e64 v26, v26, 0, s8
	s_delay_alu instid0(VALU_DEP_1) | instskip(NEXT) | instid1(VALU_DEP_1)
	v_add_nc_u32_e32 v24, v26, v24
	v_mov_b32_dpp v26, v24 row_shr:2 row_mask:0xf bank_mask:0xf
	s_delay_alu instid0(VALU_DEP_1) | instskip(SKIP_2) | instid1(VALU_DEP_3)
	v_cndmask_b32_e64 v26, 0, v26, s9
	v_cmp_lt_u32_e64 s11, 7, v25
	v_cmp_lt_u32_e64 s10, 3, v25
	v_add_nc_u32_e32 v24, v24, v26
	s_delay_alu instid0(VALU_DEP_1) | instskip(NEXT) | instid1(VALU_DEP_1)
	v_mov_b32_dpp v26, v24 row_shr:4 row_mask:0xf bank_mask:0xf
	v_cndmask_b32_e64 v26, 0, v26, s10
	s_delay_alu instid0(VALU_DEP_1) | instskip(NEXT) | instid1(VALU_DEP_1)
	v_add_nc_u32_e32 v24, v24, v26
	v_mov_b32_dpp v26, v24 row_shr:8 row_mask:0xf bank_mask:0xf
	s_delay_alu instid0(VALU_DEP_1) | instskip(SKIP_1) | instid1(VALU_DEP_2)
	v_cndmask_b32_e64 v25, 0, v26, s11
	v_bfe_i32 v26, v0, 4, 1
	v_add_nc_u32_e32 v24, v24, v25
	ds_swizzle_b32 v25, v24 offset:swizzle(BROADCAST,32,15)
	s_wait_dscnt 0x0
	v_and_b32_e32 v25, v26, v25
	s_delay_alu instid0(VALU_DEP_1)
	v_add_nc_u32_e32 v24, v24, v25
	s_and_saveexec_b32 s13, s1
; %bb.409:                              ;   in Loop: Header=BB214_20 Depth=1
	ds_store_b32 v86, v24
; %bb.410:                              ;   in Loop: Header=BB214_20 Depth=1
	s_or_b32 exec_lo, exec_lo, s13
	s_wait_dscnt 0x0
	s_barrier_signal -1
	s_barrier_wait -1
	s_and_saveexec_b32 s13, s4
	s_cbranch_execz .LBB214_412
; %bb.411:                              ;   in Loop: Header=BB214_20 Depth=1
	ds_load_b32 v25, v87
	s_wait_dscnt 0x0
	v_mov_b32_dpp v27, v25 row_shr:1 row_mask:0xf bank_mask:0xf
	v_and_b32_e32 v26, 3, v0
	s_delay_alu instid0(VALU_DEP_1) | instskip(NEXT) | instid1(VALU_DEP_3)
	v_cmp_ne_u32_e32 vcc_lo, 0, v26
	v_cndmask_b32_e32 v27, 0, v27, vcc_lo
	v_cmp_lt_u32_e32 vcc_lo, 1, v26
	s_delay_alu instid0(VALU_DEP_2) | instskip(NEXT) | instid1(VALU_DEP_1)
	v_add_nc_u32_e32 v25, v27, v25
	v_mov_b32_dpp v27, v25 row_shr:2 row_mask:0xf bank_mask:0xf
	s_delay_alu instid0(VALU_DEP_1) | instskip(NEXT) | instid1(VALU_DEP_1)
	v_cndmask_b32_e32 v26, 0, v27, vcc_lo
	v_add_nc_u32_e32 v25, v25, v26
	ds_store_b32 v87, v25
.LBB214_412:                            ;   in Loop: Header=BB214_20 Depth=1
	s_or_b32 exec_lo, exec_lo, s13
	v_mov_b32_e32 v25, 0
	s_wait_dscnt 0x0
	s_barrier_signal -1
	s_barrier_wait -1
	s_and_saveexec_b32 s13, s5
; %bb.413:                              ;   in Loop: Header=BB214_20 Depth=1
	ds_load_b32 v25, v88
; %bb.414:                              ;   in Loop: Header=BB214_20 Depth=1
	s_or_b32 exec_lo, exec_lo, s13
	v_sub_co_u32 v26, s13, v0, 1
	s_wait_dscnt 0x0
	s_barrier_signal -1
	s_barrier_wait -1
	s_delay_alu instid0(VALU_DEP_1) | instskip(SKIP_1) | instid1(VALU_DEP_1)
	v_cmp_gt_i32_e32 vcc_lo, 0, v26
	v_cndmask_b32_e32 v26, v26, v0, vcc_lo
	v_dual_add_nc_u32 v24, v25, v24 :: v_dual_lshlrev_b32 v96, 2, v26
	ds_bpermute_b32 v24, v96, v24
	s_and_saveexec_b32 s14, s0
	s_cbranch_execz .LBB214_416
; %bb.415:                              ;   in Loop: Header=BB214_20 Depth=1
	s_wait_dscnt 0x0
	v_cndmask_b32_e64 v24, v24, v25, s13
	s_delay_alu instid0(VALU_DEP_1)
	v_add_nc_u32_e32 v24, s55, v24
	ds_store_b32 v66, v24
.LBB214_416:                            ;   in Loop: Header=BB214_20 Depth=1
	s_or_b32 exec_lo, exec_lo, s14
	s_load_b64 s[14:15], s[52:53], 0x0
	s_wait_dscnt 0x0
	v_dual_lshlrev_b32 v24, 3, v0 :: v_dual_bitop2_b32 v26, 7, v0 bitop3:0x40
	v_dual_mov_b32 v25, v1 :: v_dual_bitop2_b32 v97, v0, v6 bitop3:0x54
	s_mov_b32 s58, s57
                                        ; implicit-def: $vgpr30_vgpr31
                                        ; implicit-def: $vgpr32_vgpr33
                                        ; implicit-def: $vgpr34_vgpr35
                                        ; implicit-def: $vgpr36_vgpr37
                                        ; implicit-def: $vgpr38_vgpr39
                                        ; implicit-def: $vgpr40_vgpr41
                                        ; implicit-def: $vgpr42_vgpr43
                                        ; implicit-def: $vgpr44_vgpr45
                                        ; implicit-def: $vgpr46_vgpr47
                                        ; implicit-def: $vgpr48_vgpr49
                                        ; implicit-def: $vgpr50_vgpr51
                                        ; implicit-def: $vgpr52_vgpr53
                                        ; implicit-def: $vgpr54_vgpr55
                                        ; implicit-def: $vgpr56_vgpr57
                                        ; implicit-def: $vgpr58_vgpr59
                                        ; implicit-def: $vgpr60_vgpr61
                                        ; implicit-def: $vgpr115
                                        ; implicit-def: $vgpr116
                                        ; implicit-def: $vgpr117
                                        ; implicit-def: $vgpr118
                                        ; implicit-def: $vgpr119
                                        ; implicit-def: $vgpr120
                                        ; implicit-def: $vgpr121
                                        ; implicit-def: $vgpr122
                                        ; implicit-def: $vgpr123
                                        ; implicit-def: $vgpr124
                                        ; implicit-def: $vgpr125
                                        ; implicit-def: $vgpr126
                                        ; implicit-def: $vgpr127
                                        ; implicit-def: $vgpr128
                                        ; implicit-def: $vgpr129
                                        ; implicit-def: $vgpr130
                                        ; implicit-def: $vgpr131
                                        ; implicit-def: $vgpr132
                                        ; implicit-def: $vgpr133
	s_delay_alu instid0(VALU_DEP_1) | instskip(NEXT) | instid1(VALU_DEP_2)
	v_add_nc_u64_e32 v[24:25], v[14:15], v[24:25]
	v_dual_add_nc_u32 v98, 32, v97 :: v_dual_add_nc_u32 v99, 64, v97
	v_add_nc_u32_e32 v100, 0x60, v97
	v_add_nc_u32_e32 v101, 0x80, v97
	;; [unrolled: 1-line block ×9, first 2 shown]
	s_wait_kmcnt 0x0
	s_cmp_lt_u32 s51, s14
	v_add_nc_u32_e32 v109, 0x180, v97
	s_cselect_b32 s34, 12, 18
	s_cmp_lt_u32 s42, s15
	s_mov_b32 s15, s35
	s_cselect_b32 s14, 14, 20
	v_add_nc_u32_e32 v110, 0x1a0, v97
	s_add_nc_u64 s[14:15], s[52:53], s[14:15]
	v_add_nc_u32_e32 v111, 0x1c0, v97
	s_load_u16 s16, s[14:15], 0x0
	s_wait_xcnt 0x0
	s_add_nc_u64 s[14:15], s[52:53], s[34:35]
	v_add_nc_u32_e32 v112, 0x1e0, v97
	s_load_u16 s17, s[14:15], 0x0
	s_wait_xcnt 0x0
	v_cmp_eq_u32_e64 s14, 0, v26
	v_cmp_lt_u32_e64 s15, 1, v26
	v_add_nc_u32_e32 v113, 0x200, v97
	s_mov_b32 s34, s55
	s_wait_kmcnt 0x0
	v_mad_u32_u24 v27, v89, s16, v91
	v_cmp_lt_u32_e64 s16, 3, v26
	s_delay_alu instid0(VALU_DEP_2) | instskip(NEXT) | instid1(VALU_DEP_1)
	v_mad_u32 v26, v27, s17, v2
	v_lshrrev_b32_e32 v28, 3, v26
	v_add_nc_u64_e32 v[26:27], v[16:17], v[0:1]
	s_delay_alu instid0(VALU_DEP_2)
	v_and_b32_e32 v114, 0x1ffffffc, v28
                                        ; implicit-def: $vgpr28_vgpr29
	s_branch .LBB214_418
.LBB214_417:                            ;   in Loop: Header=BB214_418 Depth=2
	s_or_b32 exec_lo, exec_lo, s17
	s_addk_co_i32 s58, 0xef00
	s_cmp_lt_u32 s59, s54
	s_mov_b32 s34, s59
	s_cbranch_scc0 .LBB214_640
.LBB214_418:                            ;   Parent Loop BB214_20 Depth=1
                                        ; =>  This Inner Loop Header: Depth=2
	s_add_co_i32 s59, s34, 0x1100
	s_delay_alu instid0(SALU_CYCLE_1)
	s_cmp_gt_u32 s59, s54
	s_cbranch_scc1 .LBB214_420
; %bb.419:                              ;   in Loop: Header=BB214_418 Depth=2
	s_delay_alu instid0(VALU_DEP_2)
	v_add_nc_u64_e32 v[62:63], s[34:35], v[26:27]
	s_mov_b32 s17, -1
	s_clause 0xf
	global_load_u8 v135, v[62:63], off
	global_load_u8 v136, v[62:63], off offset:32
	global_load_u8 v137, v[62:63], off offset:64
	;; [unrolled: 1-line block ×15, first 2 shown]
	s_movk_i32 s18, 0x1100
	s_cbranch_execz .LBB214_421
	s_branch .LBB214_454
.LBB214_420:                            ;   in Loop: Header=BB214_418 Depth=2
	s_mov_b32 s17, 0
                                        ; implicit-def: $vgpr135
                                        ; implicit-def: $vgpr136
                                        ; implicit-def: $vgpr137
                                        ; implicit-def: $vgpr138
                                        ; implicit-def: $vgpr139
                                        ; implicit-def: $vgpr140
                                        ; implicit-def: $vgpr141
                                        ; implicit-def: $vgpr142
                                        ; implicit-def: $vgpr143
                                        ; implicit-def: $vgpr144
                                        ; implicit-def: $vgpr145
                                        ; implicit-def: $vgpr146
                                        ; implicit-def: $vgpr147
                                        ; implicit-def: $vgpr148
                                        ; implicit-def: $vgpr149
                                        ; implicit-def: $vgpr150
	s_movk_i32 s18, 0x1100
.LBB214_421:                            ;   in Loop: Header=BB214_418 Depth=2
	s_wait_xcnt 0x0
	v_add_nc_u64_e32 v[62:63], s[34:35], v[26:27]
	s_wait_loadcnt 0xe
	v_dual_mov_b32 v136, 0xff :: v_dual_mov_b32 v135, 0xff
	s_mov_b32 s17, exec_lo
	v_cmpx_gt_u32_e64 s58, v97
	s_cbranch_execz .LBB214_423
; %bb.422:                              ;   in Loop: Header=BB214_418 Depth=2
	global_load_u8 v135, v[62:63], off
.LBB214_423:                            ;   in Loop: Header=BB214_418 Depth=2
	s_wait_xcnt 0x0
	s_or_b32 exec_lo, exec_lo, s17
	s_delay_alu instid0(SALU_CYCLE_1)
	s_mov_b32 s17, exec_lo
	v_cmpx_gt_u32_e64 s58, v98
	s_cbranch_execz .LBB214_425
; %bb.424:                              ;   in Loop: Header=BB214_418 Depth=2
	global_load_u8 v136, v[62:63], off offset:32
.LBB214_425:                            ;   in Loop: Header=BB214_418 Depth=2
	s_wait_xcnt 0x0
	s_or_b32 exec_lo, exec_lo, s17
	s_wait_loadcnt 0xc
	v_dual_mov_b32 v138, 0xff :: v_dual_mov_b32 v137, 0xff
	s_mov_b32 s17, exec_lo
	v_cmpx_gt_u32_e64 s58, v99
	s_cbranch_execz .LBB214_427
; %bb.426:                              ;   in Loop: Header=BB214_418 Depth=2
	global_load_u8 v137, v[62:63], off offset:64
.LBB214_427:                            ;   in Loop: Header=BB214_418 Depth=2
	s_wait_xcnt 0x0
	s_or_b32 exec_lo, exec_lo, s17
	s_delay_alu instid0(SALU_CYCLE_1)
	s_mov_b32 s17, exec_lo
	v_cmpx_gt_u32_e64 s58, v100
	s_cbranch_execz .LBB214_429
; %bb.428:                              ;   in Loop: Header=BB214_418 Depth=2
	global_load_u8 v138, v[62:63], off offset:96
.LBB214_429:                            ;   in Loop: Header=BB214_418 Depth=2
	s_wait_xcnt 0x0
	s_or_b32 exec_lo, exec_lo, s17
	s_wait_loadcnt 0xa
	v_dual_mov_b32 v140, 0xff :: v_dual_mov_b32 v139, 0xff
	s_mov_b32 s17, exec_lo
	v_cmpx_gt_u32_e64 s58, v101
	s_cbranch_execz .LBB214_431
; %bb.430:                              ;   in Loop: Header=BB214_418 Depth=2
	global_load_u8 v139, v[62:63], off offset:128
.LBB214_431:                            ;   in Loop: Header=BB214_418 Depth=2
	;; [unrolled: 19-line block ×7, first 2 shown]
	s_wait_xcnt 0x0
	s_or_b32 exec_lo, exec_lo, s17
	s_delay_alu instid0(SALU_CYCLE_1)
	s_mov_b32 s17, exec_lo
	v_cmpx_gt_u32_e64 s58, v112
	s_cbranch_execz .LBB214_453
; %bb.452:                              ;   in Loop: Header=BB214_418 Depth=2
	global_load_u8 v150, v[62:63], off offset:480
.LBB214_453:                            ;   in Loop: Header=BB214_418 Depth=2
	s_wait_xcnt 0x0
	s_or_b32 exec_lo, exec_lo, s17
	v_cmp_gt_u32_e64 s17, s58, v113
	s_sub_co_i32 s18, s54, s34
.LBB214_454:                            ;   in Loop: Header=BB214_418 Depth=2
	v_dual_mov_b32 v151, 0xff :: v_dual_mov_b32 v134, s58
	s_wait_xcnt 0x0
	s_and_saveexec_b32 s19, s17
	s_cbranch_execz .LBB214_456
; %bb.455:                              ;   in Loop: Header=BB214_418 Depth=2
	v_add_nc_u64_e32 v[62:63], s[34:35], v[26:27]
	v_mov_b32_e32 v134, s18
	global_load_u8 v151, v[62:63], off offset:512
.LBB214_456:                            ;   in Loop: Header=BB214_418 Depth=2
	s_wait_xcnt 0x0
	s_or_b32 exec_lo, exec_lo, s19
	s_wait_loadcnt 0xf
	v_and_b32_e32 v62, 0xff, v135
	ds_store_2addr_b32 v90, v1, v1 offset0:136 offset1:137
	ds_store_2addr_b32 v90, v1, v1 offset0:138 offset1:139
	ds_store_b32 v90, v1 offset:560
	s_wait_loadcnt_dscnt 0x0
	s_barrier_signal -1
	s_barrier_wait -1
	v_lshrrev_b32_e32 v62, s43, v62
	; wave barrier
	s_delay_alu instid0(VALU_DEP_1) | instskip(NEXT) | instid1(VALU_DEP_1)
	v_and_b32_e32 v64, s48, v62
	v_lshlrev_b32_e32 v65, 30, v64
	v_bitop3_b32 v63, v62, 1, s48 bitop3:0x80
	s_delay_alu instid0(VALU_DEP_1) | instskip(NEXT) | instid1(VALU_DEP_1)
	v_add_co_u32 v62, s17, v63, -1
	v_cndmask_b32_e64 v63, 0, 1, s17
	s_delay_alu instid0(VALU_DEP_4) | instskip(NEXT) | instid1(VALU_DEP_2)
	v_cmp_gt_i32_e64 s17, 0, v65
	v_cmp_ne_u32_e32 vcc_lo, 0, v63
	v_not_b32_e32 v63, v65
	v_bitop3_b32 v62, vcc_lo, exec_lo, v62 bitop3:0x48
	s_delay_alu instid0(VALU_DEP_2) | instskip(SKIP_2) | instid1(VALU_DEP_3)
	v_dual_ashrrev_i32 v63, 31, v63 :: v_dual_lshlrev_b32 v152, 29, v64
	v_dual_lshlrev_b32 v153, 28, v64 :: v_dual_lshlrev_b32 v154, 27, v64
	v_lshlrev_b32_e32 v155, 26, v64
	v_not_b32_e32 v65, v152
	v_lshlrev_b32_e32 v156, 25, v64
	v_cmp_gt_i32_e64 s18, 0, v152
	v_cmp_gt_i32_e64 s19, 0, v153
	v_not_b32_e32 v152, v153
	v_not_b32_e32 v153, v154
	v_ashrrev_i32_e32 v65, 31, v65
	v_cmp_gt_i32_e64 s20, 0, v154
	v_not_b32_e32 v154, v155
	s_delay_alu instid0(VALU_DEP_4) | instskip(SKIP_3) | instid1(VALU_DEP_4)
	v_dual_ashrrev_i32 v152, 31, v152 :: v_dual_ashrrev_i32 v153, 31, v153
	v_xor_b32_e32 v63, s17, v63
	v_xor_b32_e32 v65, s18, v65
	v_not_b32_e32 v157, v156
	v_xor_b32_e32 v152, s19, v152
	v_xor_b32_e32 v153, s20, v153
	v_cmp_gt_i32_e32 vcc_lo, 0, v155
	v_ashrrev_i32_e32 v154, 31, v154
	v_cmp_gt_i32_e64 s17, 0, v156
	v_ashrrev_i32_e32 v155, 31, v157
	v_bitop3_b32 v62, v62, v65, v63 bitop3:0x80
	s_delay_alu instid0(VALU_DEP_4) | instskip(NEXT) | instid1(VALU_DEP_3)
	v_xor_b32_e32 v63, vcc_lo, v154
	v_xor_b32_e32 v65, s17, v155
	s_delay_alu instid0(VALU_DEP_3) | instskip(NEXT) | instid1(VALU_DEP_1)
	v_bitop3_b32 v62, v62, v153, v152 bitop3:0x80
	v_bitop3_b32 v62, v62, v65, v63 bitop3:0x80
	v_mul_u32_u24_e32 v63, 36, v64
	s_delay_alu instid0(VALU_DEP_2) | instskip(SKIP_1) | instid1(VALU_DEP_3)
	v_mbcnt_lo_u32_b32 v152, v62, 0
	v_cmp_ne_u32_e64 s17, 0, v62
	v_add_nc_u32_e32 v153, v114, v63
	s_delay_alu instid0(VALU_DEP_3) | instskip(SKIP_1) | instid1(SALU_CYCLE_1)
	v_cmp_eq_u32_e32 vcc_lo, 0, v152
	s_and_b32 s18, s17, vcc_lo
	s_and_saveexec_b32 s17, s18
; %bb.457:                              ;   in Loop: Header=BB214_418 Depth=2
	v_bcnt_u32_b32 v62, v62, 0
	ds_store_b32 v153, v62 offset:544
; %bb.458:                              ;   in Loop: Header=BB214_418 Depth=2
	s_or_b32 exec_lo, exec_lo, s17
	v_and_b32_e32 v62, 0xff, v136
	; wave barrier
	s_delay_alu instid0(VALU_DEP_1) | instskip(NEXT) | instid1(VALU_DEP_1)
	v_lshrrev_b32_e32 v62, s43, v62
	v_and_b32_e32 v64, s48, v62
	s_delay_alu instid0(VALU_DEP_1) | instskip(SKIP_1) | instid1(VALU_DEP_1)
	v_lshlrev_b32_e32 v65, 30, v64
	v_bitop3_b32 v63, v62, 1, s48 bitop3:0x80
	v_add_co_u32 v62, s17, v63, -1
	s_delay_alu instid0(VALU_DEP_1) | instskip(NEXT) | instid1(VALU_DEP_4)
	v_cndmask_b32_e64 v63, 0, 1, s17
	v_cmp_gt_i32_e64 s17, 0, v65
	s_delay_alu instid0(VALU_DEP_2) | instskip(SKIP_2) | instid1(VALU_DEP_2)
	v_cmp_ne_u32_e32 vcc_lo, 0, v63
	v_not_b32_e32 v63, v65
	v_bitop3_b32 v62, vcc_lo, exec_lo, v62 bitop3:0x48
	v_dual_ashrrev_i32 v63, 31, v63 :: v_dual_lshlrev_b32 v154, 29, v64
	v_dual_lshlrev_b32 v155, 28, v64 :: v_dual_lshlrev_b32 v156, 27, v64
	v_lshlrev_b32_e32 v157, 26, v64
	s_delay_alu instid0(VALU_DEP_3)
	v_not_b32_e32 v65, v154
	v_lshlrev_b32_e32 v158, 25, v64
	v_cmp_gt_i32_e64 s18, 0, v154
	v_cmp_gt_i32_e64 s19, 0, v155
	v_not_b32_e32 v154, v155
	v_not_b32_e32 v155, v156
	v_ashrrev_i32_e32 v65, 31, v65
	v_cmp_gt_i32_e64 s20, 0, v156
	v_cmp_gt_i32_e64 s21, 0, v157
	v_not_b32_e32 v156, v157
	v_dual_ashrrev_i32 v154, 31, v154 :: v_dual_ashrrev_i32 v155, 31, v155
	v_xor_b32_e32 v63, s17, v63
	v_xor_b32_e32 v65, s18, v65
	v_not_b32_e32 v157, v158
	s_delay_alu instid0(VALU_DEP_4) | instskip(SKIP_1) | instid1(VALU_DEP_4)
	v_dual_ashrrev_i32 v156, 31, v156 :: v_dual_bitop2_b32 v154, s19, v154 bitop3:0x14
	v_xor_b32_e32 v155, s20, v155
	v_bitop3_b32 v62, v62, v65, v63 bitop3:0x80
	v_cmp_gt_i32_e32 vcc_lo, 0, v158
	v_ashrrev_i32_e32 v63, 31, v157
	v_mad_u32_u24 v65, v64, 36, v114
	v_xor_b32_e32 v156, s21, v156
	v_bitop3_b32 v62, v62, v155, v154 bitop3:0x80
	s_delay_alu instid0(VALU_DEP_4) | instskip(SKIP_3) | instid1(VALU_DEP_2)
	v_xor_b32_e32 v63, vcc_lo, v63
	ds_load_b32 v154, v65 offset:544
	; wave barrier
	v_bitop3_b32 v62, v62, v63, v156 bitop3:0x80
	v_mul_u32_u24_e32 v63, 36, v64
	v_mbcnt_lo_u32_b32 v155, v62, 0
	v_cmp_ne_u32_e64 s17, 0, v62
	s_delay_alu instid0(VALU_DEP_3) | instskip(NEXT) | instid1(VALU_DEP_3)
	v_add_nc_u32_e32 v156, v114, v63
	v_cmp_eq_u32_e32 vcc_lo, 0, v155
	s_and_b32 s18, s17, vcc_lo
	s_delay_alu instid0(SALU_CYCLE_1)
	s_and_saveexec_b32 s17, s18
	s_cbranch_execz .LBB214_460
; %bb.459:                              ;   in Loop: Header=BB214_418 Depth=2
	s_wait_dscnt 0x0
	v_bcnt_u32_b32 v62, v62, v154
	ds_store_b32 v156, v62 offset:544
.LBB214_460:                            ;   in Loop: Header=BB214_418 Depth=2
	s_or_b32 exec_lo, exec_lo, s17
	v_and_b32_e32 v62, 0xff, v137
	; wave barrier
	s_delay_alu instid0(VALU_DEP_1) | instskip(NEXT) | instid1(VALU_DEP_1)
	v_lshrrev_b32_e32 v62, s43, v62
	v_and_b32_e32 v64, s48, v62
	s_delay_alu instid0(VALU_DEP_1) | instskip(SKIP_1) | instid1(VALU_DEP_1)
	v_lshlrev_b32_e32 v65, 30, v64
	v_bitop3_b32 v63, v62, 1, s48 bitop3:0x80
	v_add_co_u32 v62, s17, v63, -1
	s_delay_alu instid0(VALU_DEP_1) | instskip(NEXT) | instid1(VALU_DEP_4)
	v_cndmask_b32_e64 v63, 0, 1, s17
	v_cmp_gt_i32_e64 s17, 0, v65
	s_delay_alu instid0(VALU_DEP_2) | instskip(SKIP_2) | instid1(VALU_DEP_2)
	v_cmp_ne_u32_e32 vcc_lo, 0, v63
	v_not_b32_e32 v63, v65
	v_bitop3_b32 v62, vcc_lo, exec_lo, v62 bitop3:0x48
	v_dual_ashrrev_i32 v63, 31, v63 :: v_dual_lshlrev_b32 v157, 29, v64
	v_dual_lshlrev_b32 v158, 28, v64 :: v_dual_lshlrev_b32 v159, 27, v64
	s_delay_alu instid0(VALU_DEP_2) | instskip(NEXT) | instid1(VALU_DEP_3)
	v_dual_lshlrev_b32 v160, 26, v64 :: v_dual_bitop2_b32 v63, s17, v63 bitop3:0x14
	v_not_b32_e32 v65, v157
	v_lshlrev_b32_e32 v161, 25, v64
	v_cmp_gt_i32_e64 s18, 0, v157
	v_cmp_gt_i32_e64 s19, 0, v158
	v_not_b32_e32 v157, v158
	v_not_b32_e32 v158, v159
	v_ashrrev_i32_e32 v65, 31, v65
	v_cmp_gt_i32_e64 s20, 0, v159
	v_cmp_gt_i32_e64 s21, 0, v160
	v_not_b32_e32 v159, v160
	v_dual_ashrrev_i32 v157, 31, v157 :: v_dual_ashrrev_i32 v158, 31, v158
	v_xor_b32_e32 v65, s18, v65
	v_not_b32_e32 v160, v161
	s_delay_alu instid0(VALU_DEP_3) | instskip(NEXT) | instid1(VALU_DEP_4)
	v_dual_ashrrev_i32 v159, 31, v159 :: v_dual_bitop2_b32 v157, s19, v157 bitop3:0x14
	v_xor_b32_e32 v158, s20, v158
	s_delay_alu instid0(VALU_DEP_4)
	v_bitop3_b32 v62, v62, v65, v63 bitop3:0x80
	v_cmp_gt_i32_e32 vcc_lo, 0, v161
	v_ashrrev_i32_e32 v63, 31, v160
	v_mad_u32_u24 v65, v64, 36, v114
	v_xor_b32_e32 v159, s21, v159
	v_bitop3_b32 v62, v62, v158, v157 bitop3:0x80
	s_delay_alu instid0(VALU_DEP_4) | instskip(SKIP_3) | instid1(VALU_DEP_2)
	v_xor_b32_e32 v63, vcc_lo, v63
	ds_load_b32 v157, v65 offset:544
	; wave barrier
	v_bitop3_b32 v62, v62, v63, v159 bitop3:0x80
	v_mul_u32_u24_e32 v63, 36, v64
	v_mbcnt_lo_u32_b32 v158, v62, 0
	v_cmp_ne_u32_e64 s17, 0, v62
	s_delay_alu instid0(VALU_DEP_3) | instskip(NEXT) | instid1(VALU_DEP_3)
	v_add_nc_u32_e32 v159, v114, v63
	v_cmp_eq_u32_e32 vcc_lo, 0, v158
	s_and_b32 s18, s17, vcc_lo
	s_delay_alu instid0(SALU_CYCLE_1)
	s_and_saveexec_b32 s17, s18
	s_cbranch_execz .LBB214_462
; %bb.461:                              ;   in Loop: Header=BB214_418 Depth=2
	s_wait_dscnt 0x0
	v_bcnt_u32_b32 v62, v62, v157
	ds_store_b32 v159, v62 offset:544
.LBB214_462:                            ;   in Loop: Header=BB214_418 Depth=2
	s_or_b32 exec_lo, exec_lo, s17
	v_and_b32_e32 v62, 0xff, v138
	; wave barrier
	s_delay_alu instid0(VALU_DEP_1) | instskip(NEXT) | instid1(VALU_DEP_1)
	v_lshrrev_b32_e32 v62, s43, v62
	v_and_b32_e32 v64, s48, v62
	s_delay_alu instid0(VALU_DEP_1) | instskip(SKIP_1) | instid1(VALU_DEP_1)
	v_lshlrev_b32_e32 v65, 30, v64
	v_bitop3_b32 v63, v62, 1, s48 bitop3:0x80
	v_add_co_u32 v62, s17, v63, -1
	s_delay_alu instid0(VALU_DEP_1) | instskip(NEXT) | instid1(VALU_DEP_4)
	v_cndmask_b32_e64 v63, 0, 1, s17
	v_cmp_gt_i32_e64 s17, 0, v65
	s_delay_alu instid0(VALU_DEP_2) | instskip(SKIP_2) | instid1(VALU_DEP_2)
	v_cmp_ne_u32_e32 vcc_lo, 0, v63
	v_not_b32_e32 v63, v65
	v_bitop3_b32 v62, vcc_lo, exec_lo, v62 bitop3:0x48
	v_dual_ashrrev_i32 v63, 31, v63 :: v_dual_lshlrev_b32 v160, 29, v64
	v_dual_lshlrev_b32 v161, 28, v64 :: v_dual_lshlrev_b32 v162, 27, v64
	v_lshlrev_b32_e32 v163, 26, v64
	s_delay_alu instid0(VALU_DEP_3)
	v_not_b32_e32 v65, v160
	v_lshlrev_b32_e32 v164, 25, v64
	v_cmp_gt_i32_e64 s18, 0, v160
	v_cmp_gt_i32_e64 s19, 0, v161
	v_not_b32_e32 v160, v161
	v_not_b32_e32 v161, v162
	v_ashrrev_i32_e32 v65, 31, v65
	v_cmp_gt_i32_e64 s20, 0, v162
	v_cmp_gt_i32_e64 s21, 0, v163
	v_not_b32_e32 v162, v163
	v_dual_ashrrev_i32 v160, 31, v160 :: v_dual_ashrrev_i32 v161, 31, v161
	v_xor_b32_e32 v63, s17, v63
	v_not_b32_e32 v163, v164
	s_delay_alu instid0(VALU_DEP_4) | instskip(NEXT) | instid1(VALU_DEP_4)
	v_dual_ashrrev_i32 v162, 31, v162 :: v_dual_bitop2_b32 v65, s18, v65 bitop3:0x14
	v_xor_b32_e32 v160, s19, v160
	v_xor_b32_e32 v161, s20, v161
	v_cmp_gt_i32_e32 vcc_lo, 0, v164
	s_delay_alu instid0(VALU_DEP_4) | instskip(SKIP_3) | instid1(VALU_DEP_4)
	v_bitop3_b32 v62, v62, v65, v63 bitop3:0x80
	v_ashrrev_i32_e32 v63, 31, v163
	v_mad_u32_u24 v65, v64, 36, v114
	v_xor_b32_e32 v162, s21, v162
	v_bitop3_b32 v62, v62, v161, v160 bitop3:0x80
	s_delay_alu instid0(VALU_DEP_4) | instskip(SKIP_3) | instid1(VALU_DEP_2)
	v_xor_b32_e32 v63, vcc_lo, v63
	ds_load_b32 v160, v65 offset:544
	; wave barrier
	v_bitop3_b32 v62, v62, v63, v162 bitop3:0x80
	v_mul_u32_u24_e32 v63, 36, v64
	v_mbcnt_lo_u32_b32 v161, v62, 0
	v_cmp_ne_u32_e64 s17, 0, v62
	s_delay_alu instid0(VALU_DEP_3) | instskip(NEXT) | instid1(VALU_DEP_3)
	v_add_nc_u32_e32 v162, v114, v63
	v_cmp_eq_u32_e32 vcc_lo, 0, v161
	s_and_b32 s18, s17, vcc_lo
	s_delay_alu instid0(SALU_CYCLE_1)
	s_and_saveexec_b32 s17, s18
	s_cbranch_execz .LBB214_464
; %bb.463:                              ;   in Loop: Header=BB214_418 Depth=2
	s_wait_dscnt 0x0
	v_bcnt_u32_b32 v62, v62, v160
	ds_store_b32 v162, v62 offset:544
.LBB214_464:                            ;   in Loop: Header=BB214_418 Depth=2
	s_or_b32 exec_lo, exec_lo, s17
	v_and_b32_e32 v62, 0xff, v139
	; wave barrier
	s_delay_alu instid0(VALU_DEP_1) | instskip(NEXT) | instid1(VALU_DEP_1)
	v_lshrrev_b32_e32 v62, s43, v62
	v_and_b32_e32 v64, s48, v62
	s_delay_alu instid0(VALU_DEP_1) | instskip(SKIP_1) | instid1(VALU_DEP_1)
	v_lshlrev_b32_e32 v65, 30, v64
	v_bitop3_b32 v63, v62, 1, s48 bitop3:0x80
	v_add_co_u32 v62, s17, v63, -1
	s_delay_alu instid0(VALU_DEP_1) | instskip(NEXT) | instid1(VALU_DEP_4)
	v_cndmask_b32_e64 v63, 0, 1, s17
	v_cmp_gt_i32_e64 s17, 0, v65
	s_delay_alu instid0(VALU_DEP_2) | instskip(SKIP_2) | instid1(VALU_DEP_2)
	v_cmp_ne_u32_e32 vcc_lo, 0, v63
	v_not_b32_e32 v63, v65
	v_bitop3_b32 v62, vcc_lo, exec_lo, v62 bitop3:0x48
	v_dual_ashrrev_i32 v63, 31, v63 :: v_dual_lshlrev_b32 v163, 29, v64
	v_dual_lshlrev_b32 v164, 28, v64 :: v_dual_lshlrev_b32 v165, 27, v64
	v_lshlrev_b32_e32 v166, 26, v64
	s_delay_alu instid0(VALU_DEP_3)
	v_not_b32_e32 v65, v163
	v_lshlrev_b32_e32 v167, 25, v64
	v_cmp_gt_i32_e64 s18, 0, v163
	v_cmp_gt_i32_e64 s19, 0, v164
	v_not_b32_e32 v163, v164
	v_not_b32_e32 v164, v165
	v_ashrrev_i32_e32 v65, 31, v65
	v_cmp_gt_i32_e64 s20, 0, v165
	v_cmp_gt_i32_e64 s21, 0, v166
	v_not_b32_e32 v165, v166
	v_dual_ashrrev_i32 v163, 31, v163 :: v_dual_ashrrev_i32 v164, 31, v164
	v_xor_b32_e32 v63, s17, v63
	v_not_b32_e32 v166, v167
	v_xor_b32_e32 v65, s18, v65
	s_delay_alu instid0(VALU_DEP_4) | instskip(SKIP_2) | instid1(VALU_DEP_4)
	v_dual_ashrrev_i32 v165, 31, v165 :: v_dual_bitop2_b32 v163, s19, v163 bitop3:0x14
	v_xor_b32_e32 v164, s20, v164
	v_cmp_gt_i32_e32 vcc_lo, 0, v167
	v_bitop3_b32 v62, v62, v65, v63 bitop3:0x80
	v_ashrrev_i32_e32 v63, 31, v166
	v_mad_u32_u24 v65, v64, 36, v114
	v_xor_b32_e32 v165, s21, v165
	s_delay_alu instid0(VALU_DEP_4) | instskip(NEXT) | instid1(VALU_DEP_4)
	v_bitop3_b32 v62, v62, v164, v163 bitop3:0x80
	v_xor_b32_e32 v63, vcc_lo, v63
	ds_load_b32 v163, v65 offset:544
	; wave barrier
	v_bitop3_b32 v62, v62, v63, v165 bitop3:0x80
	v_mul_u32_u24_e32 v63, 36, v64
	s_delay_alu instid0(VALU_DEP_2) | instskip(SKIP_1) | instid1(VALU_DEP_3)
	v_mbcnt_lo_u32_b32 v164, v62, 0
	v_cmp_ne_u32_e64 s17, 0, v62
	v_add_nc_u32_e32 v165, v114, v63
	s_delay_alu instid0(VALU_DEP_3) | instskip(SKIP_1) | instid1(SALU_CYCLE_1)
	v_cmp_eq_u32_e32 vcc_lo, 0, v164
	s_and_b32 s18, s17, vcc_lo
	s_and_saveexec_b32 s17, s18
	s_cbranch_execz .LBB214_466
; %bb.465:                              ;   in Loop: Header=BB214_418 Depth=2
	s_wait_dscnt 0x0
	v_bcnt_u32_b32 v62, v62, v163
	ds_store_b32 v165, v62 offset:544
.LBB214_466:                            ;   in Loop: Header=BB214_418 Depth=2
	s_or_b32 exec_lo, exec_lo, s17
	v_and_b32_e32 v62, 0xff, v140
	; wave barrier
	s_delay_alu instid0(VALU_DEP_1) | instskip(NEXT) | instid1(VALU_DEP_1)
	v_lshrrev_b32_e32 v62, s43, v62
	v_and_b32_e32 v64, s48, v62
	s_delay_alu instid0(VALU_DEP_1) | instskip(SKIP_1) | instid1(VALU_DEP_1)
	v_lshlrev_b32_e32 v65, 30, v64
	v_bitop3_b32 v63, v62, 1, s48 bitop3:0x80
	v_add_co_u32 v62, s17, v63, -1
	s_delay_alu instid0(VALU_DEP_1) | instskip(NEXT) | instid1(VALU_DEP_4)
	v_cndmask_b32_e64 v63, 0, 1, s17
	v_cmp_gt_i32_e64 s17, 0, v65
	s_delay_alu instid0(VALU_DEP_2) | instskip(SKIP_2) | instid1(VALU_DEP_2)
	v_cmp_ne_u32_e32 vcc_lo, 0, v63
	v_not_b32_e32 v63, v65
	v_bitop3_b32 v62, vcc_lo, exec_lo, v62 bitop3:0x48
	v_dual_ashrrev_i32 v63, 31, v63 :: v_dual_lshlrev_b32 v166, 29, v64
	v_dual_lshlrev_b32 v167, 28, v64 :: v_dual_lshlrev_b32 v168, 27, v64
	v_lshlrev_b32_e32 v169, 26, v64
	s_delay_alu instid0(VALU_DEP_3)
	v_not_b32_e32 v65, v166
	v_lshlrev_b32_e32 v170, 25, v64
	v_cmp_gt_i32_e64 s18, 0, v166
	v_cmp_gt_i32_e64 s19, 0, v167
	v_not_b32_e32 v166, v167
	v_not_b32_e32 v167, v168
	v_ashrrev_i32_e32 v65, 31, v65
	v_cmp_gt_i32_e64 s20, 0, v168
	v_cmp_gt_i32_e64 s21, 0, v169
	v_not_b32_e32 v168, v169
	v_dual_ashrrev_i32 v166, 31, v166 :: v_dual_ashrrev_i32 v167, 31, v167
	v_xor_b32_e32 v63, s17, v63
	v_xor_b32_e32 v65, s18, v65
	v_not_b32_e32 v169, v170
	s_delay_alu instid0(VALU_DEP_4) | instskip(SKIP_1) | instid1(VALU_DEP_4)
	v_dual_ashrrev_i32 v168, 31, v168 :: v_dual_bitop2_b32 v166, s19, v166 bitop3:0x14
	v_xor_b32_e32 v167, s20, v167
	v_bitop3_b32 v62, v62, v65, v63 bitop3:0x80
	v_cmp_gt_i32_e32 vcc_lo, 0, v170
	v_ashrrev_i32_e32 v63, 31, v169
	v_mad_u32_u24 v65, v64, 36, v114
	v_xor_b32_e32 v168, s21, v168
	v_bitop3_b32 v62, v62, v167, v166 bitop3:0x80
	s_delay_alu instid0(VALU_DEP_4) | instskip(SKIP_3) | instid1(VALU_DEP_2)
	v_xor_b32_e32 v63, vcc_lo, v63
	ds_load_b32 v166, v65 offset:544
	; wave barrier
	v_bitop3_b32 v62, v62, v63, v168 bitop3:0x80
	v_mul_u32_u24_e32 v63, 36, v64
	v_mbcnt_lo_u32_b32 v167, v62, 0
	v_cmp_ne_u32_e64 s17, 0, v62
	s_delay_alu instid0(VALU_DEP_3) | instskip(NEXT) | instid1(VALU_DEP_3)
	v_add_nc_u32_e32 v168, v114, v63
	v_cmp_eq_u32_e32 vcc_lo, 0, v167
	s_and_b32 s18, s17, vcc_lo
	s_delay_alu instid0(SALU_CYCLE_1)
	s_and_saveexec_b32 s17, s18
	s_cbranch_execz .LBB214_468
; %bb.467:                              ;   in Loop: Header=BB214_418 Depth=2
	s_wait_dscnt 0x0
	v_bcnt_u32_b32 v62, v62, v166
	ds_store_b32 v168, v62 offset:544
.LBB214_468:                            ;   in Loop: Header=BB214_418 Depth=2
	s_or_b32 exec_lo, exec_lo, s17
	v_and_b32_e32 v62, 0xff, v141
	; wave barrier
	s_delay_alu instid0(VALU_DEP_1) | instskip(NEXT) | instid1(VALU_DEP_1)
	v_lshrrev_b32_e32 v62, s43, v62
	v_and_b32_e32 v64, s48, v62
	s_delay_alu instid0(VALU_DEP_1) | instskip(SKIP_1) | instid1(VALU_DEP_1)
	v_lshlrev_b32_e32 v65, 30, v64
	v_bitop3_b32 v63, v62, 1, s48 bitop3:0x80
	v_add_co_u32 v62, s17, v63, -1
	s_delay_alu instid0(VALU_DEP_1) | instskip(NEXT) | instid1(VALU_DEP_4)
	v_cndmask_b32_e64 v63, 0, 1, s17
	v_cmp_gt_i32_e64 s17, 0, v65
	s_delay_alu instid0(VALU_DEP_2) | instskip(SKIP_2) | instid1(VALU_DEP_2)
	v_cmp_ne_u32_e32 vcc_lo, 0, v63
	v_not_b32_e32 v63, v65
	v_bitop3_b32 v62, vcc_lo, exec_lo, v62 bitop3:0x48
	v_dual_ashrrev_i32 v63, 31, v63 :: v_dual_lshlrev_b32 v169, 29, v64
	v_dual_lshlrev_b32 v170, 28, v64 :: v_dual_lshlrev_b32 v171, 27, v64
	s_delay_alu instid0(VALU_DEP_2) | instskip(NEXT) | instid1(VALU_DEP_3)
	v_dual_lshlrev_b32 v172, 26, v64 :: v_dual_bitop2_b32 v63, s17, v63 bitop3:0x14
	v_not_b32_e32 v65, v169
	v_lshlrev_b32_e32 v173, 25, v64
	v_cmp_gt_i32_e64 s18, 0, v169
	v_cmp_gt_i32_e64 s19, 0, v170
	v_not_b32_e32 v169, v170
	v_not_b32_e32 v170, v171
	v_ashrrev_i32_e32 v65, 31, v65
	v_cmp_gt_i32_e64 s20, 0, v171
	v_cmp_gt_i32_e64 s21, 0, v172
	v_not_b32_e32 v171, v172
	v_dual_ashrrev_i32 v169, 31, v169 :: v_dual_ashrrev_i32 v170, 31, v170
	v_xor_b32_e32 v65, s18, v65
	v_not_b32_e32 v172, v173
	s_delay_alu instid0(VALU_DEP_3) | instskip(NEXT) | instid1(VALU_DEP_4)
	v_dual_ashrrev_i32 v171, 31, v171 :: v_dual_bitop2_b32 v169, s19, v169 bitop3:0x14
	v_xor_b32_e32 v170, s20, v170
	s_delay_alu instid0(VALU_DEP_4)
	v_bitop3_b32 v62, v62, v65, v63 bitop3:0x80
	v_cmp_gt_i32_e32 vcc_lo, 0, v173
	v_ashrrev_i32_e32 v63, 31, v172
	v_mad_u32_u24 v65, v64, 36, v114
	v_xor_b32_e32 v171, s21, v171
	v_bitop3_b32 v62, v62, v170, v169 bitop3:0x80
	s_delay_alu instid0(VALU_DEP_4) | instskip(SKIP_3) | instid1(VALU_DEP_2)
	v_xor_b32_e32 v63, vcc_lo, v63
	ds_load_b32 v169, v65 offset:544
	; wave barrier
	v_bitop3_b32 v62, v62, v63, v171 bitop3:0x80
	v_mul_u32_u24_e32 v63, 36, v64
	v_mbcnt_lo_u32_b32 v170, v62, 0
	v_cmp_ne_u32_e64 s17, 0, v62
	s_delay_alu instid0(VALU_DEP_3) | instskip(NEXT) | instid1(VALU_DEP_3)
	v_add_nc_u32_e32 v171, v114, v63
	v_cmp_eq_u32_e32 vcc_lo, 0, v170
	s_and_b32 s18, s17, vcc_lo
	s_delay_alu instid0(SALU_CYCLE_1)
	s_and_saveexec_b32 s17, s18
	s_cbranch_execz .LBB214_470
; %bb.469:                              ;   in Loop: Header=BB214_418 Depth=2
	s_wait_dscnt 0x0
	v_bcnt_u32_b32 v62, v62, v169
	ds_store_b32 v171, v62 offset:544
.LBB214_470:                            ;   in Loop: Header=BB214_418 Depth=2
	s_or_b32 exec_lo, exec_lo, s17
	v_and_b32_e32 v62, 0xff, v142
	; wave barrier
	s_delay_alu instid0(VALU_DEP_1) | instskip(NEXT) | instid1(VALU_DEP_1)
	v_lshrrev_b32_e32 v62, s43, v62
	v_and_b32_e32 v64, s48, v62
	s_delay_alu instid0(VALU_DEP_1) | instskip(SKIP_1) | instid1(VALU_DEP_1)
	v_lshlrev_b32_e32 v65, 30, v64
	v_bitop3_b32 v63, v62, 1, s48 bitop3:0x80
	v_add_co_u32 v62, s17, v63, -1
	s_delay_alu instid0(VALU_DEP_1) | instskip(NEXT) | instid1(VALU_DEP_4)
	v_cndmask_b32_e64 v63, 0, 1, s17
	v_cmp_gt_i32_e64 s17, 0, v65
	s_delay_alu instid0(VALU_DEP_2) | instskip(SKIP_2) | instid1(VALU_DEP_2)
	v_cmp_ne_u32_e32 vcc_lo, 0, v63
	v_not_b32_e32 v63, v65
	v_bitop3_b32 v62, vcc_lo, exec_lo, v62 bitop3:0x48
	v_dual_ashrrev_i32 v63, 31, v63 :: v_dual_lshlrev_b32 v172, 29, v64
	v_dual_lshlrev_b32 v173, 28, v64 :: v_dual_lshlrev_b32 v174, 27, v64
	v_lshlrev_b32_e32 v175, 26, v64
	s_delay_alu instid0(VALU_DEP_3)
	v_not_b32_e32 v65, v172
	v_lshlrev_b32_e32 v176, 25, v64
	v_cmp_gt_i32_e64 s18, 0, v172
	v_cmp_gt_i32_e64 s19, 0, v173
	v_not_b32_e32 v172, v173
	v_not_b32_e32 v173, v174
	v_ashrrev_i32_e32 v65, 31, v65
	v_cmp_gt_i32_e64 s20, 0, v174
	v_cmp_gt_i32_e64 s21, 0, v175
	v_not_b32_e32 v174, v175
	v_dual_ashrrev_i32 v172, 31, v172 :: v_dual_ashrrev_i32 v173, 31, v173
	v_xor_b32_e32 v63, s17, v63
	v_not_b32_e32 v175, v176
	s_delay_alu instid0(VALU_DEP_4) | instskip(NEXT) | instid1(VALU_DEP_4)
	v_dual_ashrrev_i32 v174, 31, v174 :: v_dual_bitop2_b32 v65, s18, v65 bitop3:0x14
	v_xor_b32_e32 v172, s19, v172
	v_xor_b32_e32 v173, s20, v173
	v_cmp_gt_i32_e32 vcc_lo, 0, v176
	s_delay_alu instid0(VALU_DEP_4) | instskip(SKIP_3) | instid1(VALU_DEP_4)
	v_bitop3_b32 v62, v62, v65, v63 bitop3:0x80
	v_ashrrev_i32_e32 v63, 31, v175
	v_mad_u32_u24 v65, v64, 36, v114
	v_xor_b32_e32 v174, s21, v174
	v_bitop3_b32 v62, v62, v173, v172 bitop3:0x80
	s_delay_alu instid0(VALU_DEP_4) | instskip(SKIP_3) | instid1(VALU_DEP_2)
	v_xor_b32_e32 v63, vcc_lo, v63
	ds_load_b32 v172, v65 offset:544
	; wave barrier
	v_bitop3_b32 v62, v62, v63, v174 bitop3:0x80
	v_mul_u32_u24_e32 v63, 36, v64
	v_mbcnt_lo_u32_b32 v173, v62, 0
	v_cmp_ne_u32_e64 s17, 0, v62
	s_delay_alu instid0(VALU_DEP_3) | instskip(NEXT) | instid1(VALU_DEP_3)
	v_add_nc_u32_e32 v174, v114, v63
	v_cmp_eq_u32_e32 vcc_lo, 0, v173
	s_and_b32 s18, s17, vcc_lo
	s_delay_alu instid0(SALU_CYCLE_1)
	s_and_saveexec_b32 s17, s18
	s_cbranch_execz .LBB214_472
; %bb.471:                              ;   in Loop: Header=BB214_418 Depth=2
	s_wait_dscnt 0x0
	v_bcnt_u32_b32 v62, v62, v172
	ds_store_b32 v174, v62 offset:544
.LBB214_472:                            ;   in Loop: Header=BB214_418 Depth=2
	s_or_b32 exec_lo, exec_lo, s17
	v_and_b32_e32 v62, 0xff, v143
	; wave barrier
	s_delay_alu instid0(VALU_DEP_1) | instskip(NEXT) | instid1(VALU_DEP_1)
	v_lshrrev_b32_e32 v62, s43, v62
	v_and_b32_e32 v64, s48, v62
	s_delay_alu instid0(VALU_DEP_1) | instskip(SKIP_1) | instid1(VALU_DEP_1)
	v_lshlrev_b32_e32 v65, 30, v64
	v_bitop3_b32 v63, v62, 1, s48 bitop3:0x80
	v_add_co_u32 v62, s17, v63, -1
	s_delay_alu instid0(VALU_DEP_1) | instskip(NEXT) | instid1(VALU_DEP_4)
	v_cndmask_b32_e64 v63, 0, 1, s17
	v_cmp_gt_i32_e64 s17, 0, v65
	s_delay_alu instid0(VALU_DEP_2) | instskip(SKIP_2) | instid1(VALU_DEP_2)
	v_cmp_ne_u32_e32 vcc_lo, 0, v63
	v_not_b32_e32 v63, v65
	v_bitop3_b32 v62, vcc_lo, exec_lo, v62 bitop3:0x48
	v_dual_ashrrev_i32 v63, 31, v63 :: v_dual_lshlrev_b32 v175, 29, v64
	v_dual_lshlrev_b32 v176, 28, v64 :: v_dual_lshlrev_b32 v177, 27, v64
	v_lshlrev_b32_e32 v178, 26, v64
	s_delay_alu instid0(VALU_DEP_3)
	v_not_b32_e32 v65, v175
	v_lshlrev_b32_e32 v179, 25, v64
	v_cmp_gt_i32_e64 s18, 0, v175
	v_cmp_gt_i32_e64 s19, 0, v176
	v_not_b32_e32 v175, v176
	v_not_b32_e32 v176, v177
	v_ashrrev_i32_e32 v65, 31, v65
	v_cmp_gt_i32_e64 s20, 0, v177
	v_cmp_gt_i32_e64 s21, 0, v178
	v_not_b32_e32 v177, v178
	v_dual_ashrrev_i32 v175, 31, v175 :: v_dual_ashrrev_i32 v176, 31, v176
	v_xor_b32_e32 v63, s17, v63
	v_not_b32_e32 v178, v179
	v_xor_b32_e32 v65, s18, v65
	s_delay_alu instid0(VALU_DEP_4) | instskip(SKIP_2) | instid1(VALU_DEP_4)
	v_dual_ashrrev_i32 v177, 31, v177 :: v_dual_bitop2_b32 v175, s19, v175 bitop3:0x14
	v_xor_b32_e32 v176, s20, v176
	v_cmp_gt_i32_e32 vcc_lo, 0, v179
	v_bitop3_b32 v62, v62, v65, v63 bitop3:0x80
	v_ashrrev_i32_e32 v63, 31, v178
	v_mad_u32_u24 v65, v64, 36, v114
	v_xor_b32_e32 v177, s21, v177
	s_delay_alu instid0(VALU_DEP_4) | instskip(NEXT) | instid1(VALU_DEP_4)
	v_bitop3_b32 v62, v62, v176, v175 bitop3:0x80
	v_xor_b32_e32 v63, vcc_lo, v63
	ds_load_b32 v175, v65 offset:544
	; wave barrier
	v_bitop3_b32 v62, v62, v63, v177 bitop3:0x80
	v_mul_u32_u24_e32 v63, 36, v64
	s_delay_alu instid0(VALU_DEP_2) | instskip(SKIP_1) | instid1(VALU_DEP_3)
	v_mbcnt_lo_u32_b32 v176, v62, 0
	v_cmp_ne_u32_e64 s17, 0, v62
	v_add_nc_u32_e32 v177, v114, v63
	s_delay_alu instid0(VALU_DEP_3) | instskip(SKIP_1) | instid1(SALU_CYCLE_1)
	v_cmp_eq_u32_e32 vcc_lo, 0, v176
	s_and_b32 s18, s17, vcc_lo
	s_and_saveexec_b32 s17, s18
	s_cbranch_execz .LBB214_474
; %bb.473:                              ;   in Loop: Header=BB214_418 Depth=2
	s_wait_dscnt 0x0
	v_bcnt_u32_b32 v62, v62, v175
	ds_store_b32 v177, v62 offset:544
.LBB214_474:                            ;   in Loop: Header=BB214_418 Depth=2
	s_or_b32 exec_lo, exec_lo, s17
	v_and_b32_e32 v62, 0xff, v144
	; wave barrier
	s_delay_alu instid0(VALU_DEP_1) | instskip(NEXT) | instid1(VALU_DEP_1)
	v_lshrrev_b32_e32 v62, s43, v62
	v_and_b32_e32 v64, s48, v62
	s_delay_alu instid0(VALU_DEP_1) | instskip(SKIP_1) | instid1(VALU_DEP_1)
	v_lshlrev_b32_e32 v65, 30, v64
	v_bitop3_b32 v63, v62, 1, s48 bitop3:0x80
	v_add_co_u32 v62, s17, v63, -1
	s_delay_alu instid0(VALU_DEP_1) | instskip(NEXT) | instid1(VALU_DEP_4)
	v_cndmask_b32_e64 v63, 0, 1, s17
	v_cmp_gt_i32_e64 s17, 0, v65
	s_delay_alu instid0(VALU_DEP_2) | instskip(SKIP_2) | instid1(VALU_DEP_2)
	v_cmp_ne_u32_e32 vcc_lo, 0, v63
	v_not_b32_e32 v63, v65
	v_bitop3_b32 v62, vcc_lo, exec_lo, v62 bitop3:0x48
	v_dual_ashrrev_i32 v63, 31, v63 :: v_dual_lshlrev_b32 v178, 29, v64
	v_dual_lshlrev_b32 v179, 28, v64 :: v_dual_lshlrev_b32 v180, 27, v64
	v_lshlrev_b32_e32 v181, 26, v64
	s_delay_alu instid0(VALU_DEP_3)
	v_not_b32_e32 v65, v178
	v_lshlrev_b32_e32 v182, 25, v64
	v_cmp_gt_i32_e64 s18, 0, v178
	v_cmp_gt_i32_e64 s19, 0, v179
	v_not_b32_e32 v178, v179
	v_not_b32_e32 v179, v180
	v_ashrrev_i32_e32 v65, 31, v65
	v_cmp_gt_i32_e64 s20, 0, v180
	v_cmp_gt_i32_e64 s21, 0, v181
	v_not_b32_e32 v180, v181
	v_dual_ashrrev_i32 v178, 31, v178 :: v_dual_ashrrev_i32 v179, 31, v179
	v_xor_b32_e32 v63, s17, v63
	v_xor_b32_e32 v65, s18, v65
	v_not_b32_e32 v181, v182
	s_delay_alu instid0(VALU_DEP_4) | instskip(SKIP_1) | instid1(VALU_DEP_4)
	v_dual_ashrrev_i32 v180, 31, v180 :: v_dual_bitop2_b32 v178, s19, v178 bitop3:0x14
	v_xor_b32_e32 v179, s20, v179
	v_bitop3_b32 v62, v62, v65, v63 bitop3:0x80
	v_cmp_gt_i32_e32 vcc_lo, 0, v182
	v_ashrrev_i32_e32 v63, 31, v181
	v_mad_u32_u24 v65, v64, 36, v114
	v_xor_b32_e32 v180, s21, v180
	v_bitop3_b32 v62, v62, v179, v178 bitop3:0x80
	s_delay_alu instid0(VALU_DEP_4) | instskip(SKIP_3) | instid1(VALU_DEP_2)
	v_xor_b32_e32 v63, vcc_lo, v63
	ds_load_b32 v178, v65 offset:544
	; wave barrier
	v_bitop3_b32 v62, v62, v63, v180 bitop3:0x80
	v_mul_u32_u24_e32 v63, 36, v64
	v_mbcnt_lo_u32_b32 v179, v62, 0
	v_cmp_ne_u32_e64 s17, 0, v62
	s_delay_alu instid0(VALU_DEP_3) | instskip(NEXT) | instid1(VALU_DEP_3)
	v_add_nc_u32_e32 v180, v114, v63
	v_cmp_eq_u32_e32 vcc_lo, 0, v179
	s_and_b32 s18, s17, vcc_lo
	s_delay_alu instid0(SALU_CYCLE_1)
	s_and_saveexec_b32 s17, s18
	s_cbranch_execz .LBB214_476
; %bb.475:                              ;   in Loop: Header=BB214_418 Depth=2
	s_wait_dscnt 0x0
	v_bcnt_u32_b32 v62, v62, v178
	ds_store_b32 v180, v62 offset:544
.LBB214_476:                            ;   in Loop: Header=BB214_418 Depth=2
	s_or_b32 exec_lo, exec_lo, s17
	v_and_b32_e32 v62, 0xff, v145
	; wave barrier
	s_delay_alu instid0(VALU_DEP_1) | instskip(NEXT) | instid1(VALU_DEP_1)
	v_lshrrev_b32_e32 v62, s43, v62
	v_and_b32_e32 v64, s48, v62
	s_delay_alu instid0(VALU_DEP_1) | instskip(SKIP_1) | instid1(VALU_DEP_1)
	v_lshlrev_b32_e32 v65, 30, v64
	v_bitop3_b32 v63, v62, 1, s48 bitop3:0x80
	v_add_co_u32 v62, s17, v63, -1
	s_delay_alu instid0(VALU_DEP_1) | instskip(NEXT) | instid1(VALU_DEP_4)
	v_cndmask_b32_e64 v63, 0, 1, s17
	v_cmp_gt_i32_e64 s17, 0, v65
	s_delay_alu instid0(VALU_DEP_2) | instskip(SKIP_2) | instid1(VALU_DEP_2)
	v_cmp_ne_u32_e32 vcc_lo, 0, v63
	v_not_b32_e32 v63, v65
	v_bitop3_b32 v62, vcc_lo, exec_lo, v62 bitop3:0x48
	v_dual_ashrrev_i32 v63, 31, v63 :: v_dual_lshlrev_b32 v181, 29, v64
	v_dual_lshlrev_b32 v182, 28, v64 :: v_dual_lshlrev_b32 v183, 27, v64
	s_delay_alu instid0(VALU_DEP_2) | instskip(NEXT) | instid1(VALU_DEP_3)
	v_dual_lshlrev_b32 v184, 26, v64 :: v_dual_bitop2_b32 v63, s17, v63 bitop3:0x14
	v_not_b32_e32 v65, v181
	v_lshlrev_b32_e32 v185, 25, v64
	v_cmp_gt_i32_e64 s18, 0, v181
	v_cmp_gt_i32_e64 s19, 0, v182
	v_not_b32_e32 v181, v182
	v_not_b32_e32 v182, v183
	v_ashrrev_i32_e32 v65, 31, v65
	v_cmp_gt_i32_e64 s20, 0, v183
	v_cmp_gt_i32_e64 s21, 0, v184
	v_not_b32_e32 v183, v184
	v_dual_ashrrev_i32 v181, 31, v181 :: v_dual_ashrrev_i32 v182, 31, v182
	v_xor_b32_e32 v65, s18, v65
	v_not_b32_e32 v184, v185
	s_delay_alu instid0(VALU_DEP_3) | instskip(NEXT) | instid1(VALU_DEP_4)
	v_dual_ashrrev_i32 v183, 31, v183 :: v_dual_bitop2_b32 v181, s19, v181 bitop3:0x14
	v_xor_b32_e32 v182, s20, v182
	s_delay_alu instid0(VALU_DEP_4)
	v_bitop3_b32 v62, v62, v65, v63 bitop3:0x80
	v_cmp_gt_i32_e32 vcc_lo, 0, v185
	v_ashrrev_i32_e32 v63, 31, v184
	v_mad_u32_u24 v65, v64, 36, v114
	v_xor_b32_e32 v183, s21, v183
	v_bitop3_b32 v62, v62, v182, v181 bitop3:0x80
	s_delay_alu instid0(VALU_DEP_4) | instskip(SKIP_3) | instid1(VALU_DEP_2)
	v_xor_b32_e32 v63, vcc_lo, v63
	ds_load_b32 v181, v65 offset:544
	; wave barrier
	v_bitop3_b32 v62, v62, v63, v183 bitop3:0x80
	v_mul_u32_u24_e32 v63, 36, v64
	v_mbcnt_lo_u32_b32 v182, v62, 0
	v_cmp_ne_u32_e64 s17, 0, v62
	s_delay_alu instid0(VALU_DEP_3) | instskip(NEXT) | instid1(VALU_DEP_3)
	v_add_nc_u32_e32 v183, v114, v63
	v_cmp_eq_u32_e32 vcc_lo, 0, v182
	s_and_b32 s18, s17, vcc_lo
	s_delay_alu instid0(SALU_CYCLE_1)
	s_and_saveexec_b32 s17, s18
	s_cbranch_execz .LBB214_478
; %bb.477:                              ;   in Loop: Header=BB214_418 Depth=2
	s_wait_dscnt 0x0
	v_bcnt_u32_b32 v62, v62, v181
	ds_store_b32 v183, v62 offset:544
.LBB214_478:                            ;   in Loop: Header=BB214_418 Depth=2
	s_or_b32 exec_lo, exec_lo, s17
	v_and_b32_e32 v62, 0xff, v146
	; wave barrier
	s_delay_alu instid0(VALU_DEP_1) | instskip(NEXT) | instid1(VALU_DEP_1)
	v_lshrrev_b32_e32 v62, s43, v62
	v_and_b32_e32 v64, s48, v62
	s_delay_alu instid0(VALU_DEP_1) | instskip(SKIP_1) | instid1(VALU_DEP_1)
	v_lshlrev_b32_e32 v65, 30, v64
	v_bitop3_b32 v63, v62, 1, s48 bitop3:0x80
	v_add_co_u32 v62, s17, v63, -1
	s_delay_alu instid0(VALU_DEP_1) | instskip(NEXT) | instid1(VALU_DEP_4)
	v_cndmask_b32_e64 v63, 0, 1, s17
	v_cmp_gt_i32_e64 s17, 0, v65
	s_delay_alu instid0(VALU_DEP_2) | instskip(SKIP_2) | instid1(VALU_DEP_2)
	v_cmp_ne_u32_e32 vcc_lo, 0, v63
	v_not_b32_e32 v63, v65
	v_bitop3_b32 v62, vcc_lo, exec_lo, v62 bitop3:0x48
	v_dual_ashrrev_i32 v63, 31, v63 :: v_dual_lshlrev_b32 v184, 29, v64
	v_dual_lshlrev_b32 v185, 28, v64 :: v_dual_lshlrev_b32 v186, 27, v64
	v_lshlrev_b32_e32 v187, 26, v64
	s_delay_alu instid0(VALU_DEP_3)
	v_not_b32_e32 v65, v184
	v_lshlrev_b32_e32 v188, 25, v64
	v_cmp_gt_i32_e64 s18, 0, v184
	v_cmp_gt_i32_e64 s19, 0, v185
	v_not_b32_e32 v184, v185
	v_not_b32_e32 v185, v186
	v_ashrrev_i32_e32 v65, 31, v65
	v_cmp_gt_i32_e64 s20, 0, v186
	v_cmp_gt_i32_e64 s21, 0, v187
	v_not_b32_e32 v186, v187
	v_dual_ashrrev_i32 v184, 31, v184 :: v_dual_ashrrev_i32 v185, 31, v185
	v_xor_b32_e32 v63, s17, v63
	v_not_b32_e32 v187, v188
	s_delay_alu instid0(VALU_DEP_4) | instskip(NEXT) | instid1(VALU_DEP_4)
	v_dual_ashrrev_i32 v186, 31, v186 :: v_dual_bitop2_b32 v65, s18, v65 bitop3:0x14
	v_xor_b32_e32 v184, s19, v184
	v_xor_b32_e32 v185, s20, v185
	v_cmp_gt_i32_e32 vcc_lo, 0, v188
	s_delay_alu instid0(VALU_DEP_4) | instskip(SKIP_3) | instid1(VALU_DEP_4)
	v_bitop3_b32 v62, v62, v65, v63 bitop3:0x80
	v_ashrrev_i32_e32 v63, 31, v187
	v_mad_u32_u24 v65, v64, 36, v114
	v_xor_b32_e32 v186, s21, v186
	v_bitop3_b32 v62, v62, v185, v184 bitop3:0x80
	s_delay_alu instid0(VALU_DEP_4) | instskip(SKIP_3) | instid1(VALU_DEP_2)
	v_xor_b32_e32 v63, vcc_lo, v63
	ds_load_b32 v184, v65 offset:544
	; wave barrier
	v_bitop3_b32 v62, v62, v63, v186 bitop3:0x80
	v_mul_u32_u24_e32 v63, 36, v64
	v_mbcnt_lo_u32_b32 v185, v62, 0
	v_cmp_ne_u32_e64 s17, 0, v62
	s_delay_alu instid0(VALU_DEP_3) | instskip(NEXT) | instid1(VALU_DEP_3)
	v_add_nc_u32_e32 v186, v114, v63
	v_cmp_eq_u32_e32 vcc_lo, 0, v185
	s_and_b32 s18, s17, vcc_lo
	s_delay_alu instid0(SALU_CYCLE_1)
	s_and_saveexec_b32 s17, s18
	s_cbranch_execz .LBB214_480
; %bb.479:                              ;   in Loop: Header=BB214_418 Depth=2
	s_wait_dscnt 0x0
	v_bcnt_u32_b32 v62, v62, v184
	ds_store_b32 v186, v62 offset:544
.LBB214_480:                            ;   in Loop: Header=BB214_418 Depth=2
	s_or_b32 exec_lo, exec_lo, s17
	v_and_b32_e32 v62, 0xff, v147
	; wave barrier
	s_delay_alu instid0(VALU_DEP_1) | instskip(NEXT) | instid1(VALU_DEP_1)
	v_lshrrev_b32_e32 v62, s43, v62
	v_and_b32_e32 v64, s48, v62
	s_delay_alu instid0(VALU_DEP_1) | instskip(SKIP_1) | instid1(VALU_DEP_1)
	v_lshlrev_b32_e32 v65, 30, v64
	v_bitop3_b32 v63, v62, 1, s48 bitop3:0x80
	v_add_co_u32 v62, s17, v63, -1
	s_delay_alu instid0(VALU_DEP_1) | instskip(NEXT) | instid1(VALU_DEP_4)
	v_cndmask_b32_e64 v63, 0, 1, s17
	v_cmp_gt_i32_e64 s17, 0, v65
	s_delay_alu instid0(VALU_DEP_2) | instskip(SKIP_2) | instid1(VALU_DEP_2)
	v_cmp_ne_u32_e32 vcc_lo, 0, v63
	v_not_b32_e32 v63, v65
	v_bitop3_b32 v62, vcc_lo, exec_lo, v62 bitop3:0x48
	v_dual_ashrrev_i32 v63, 31, v63 :: v_dual_lshlrev_b32 v187, 29, v64
	v_dual_lshlrev_b32 v188, 28, v64 :: v_dual_lshlrev_b32 v189, 27, v64
	v_lshlrev_b32_e32 v190, 26, v64
	s_delay_alu instid0(VALU_DEP_3)
	v_not_b32_e32 v65, v187
	v_lshlrev_b32_e32 v191, 25, v64
	v_cmp_gt_i32_e64 s18, 0, v187
	v_cmp_gt_i32_e64 s19, 0, v188
	v_not_b32_e32 v187, v188
	v_not_b32_e32 v188, v189
	v_ashrrev_i32_e32 v65, 31, v65
	v_cmp_gt_i32_e64 s20, 0, v189
	v_cmp_gt_i32_e64 s21, 0, v190
	v_not_b32_e32 v189, v190
	v_dual_ashrrev_i32 v187, 31, v187 :: v_dual_ashrrev_i32 v188, 31, v188
	v_xor_b32_e32 v63, s17, v63
	v_not_b32_e32 v190, v191
	v_xor_b32_e32 v65, s18, v65
	s_delay_alu instid0(VALU_DEP_4) | instskip(SKIP_2) | instid1(VALU_DEP_4)
	v_dual_ashrrev_i32 v189, 31, v189 :: v_dual_bitop2_b32 v187, s19, v187 bitop3:0x14
	v_xor_b32_e32 v188, s20, v188
	v_cmp_gt_i32_e32 vcc_lo, 0, v191
	v_bitop3_b32 v62, v62, v65, v63 bitop3:0x80
	v_ashrrev_i32_e32 v63, 31, v190
	v_mad_u32_u24 v65, v64, 36, v114
	v_xor_b32_e32 v189, s21, v189
	s_delay_alu instid0(VALU_DEP_4) | instskip(NEXT) | instid1(VALU_DEP_4)
	v_bitop3_b32 v62, v62, v188, v187 bitop3:0x80
	v_xor_b32_e32 v63, vcc_lo, v63
	ds_load_b32 v187, v65 offset:544
	; wave barrier
	v_bitop3_b32 v62, v62, v63, v189 bitop3:0x80
	v_mul_u32_u24_e32 v63, 36, v64
	s_delay_alu instid0(VALU_DEP_2) | instskip(SKIP_1) | instid1(VALU_DEP_3)
	v_mbcnt_lo_u32_b32 v188, v62, 0
	v_cmp_ne_u32_e64 s17, 0, v62
	v_add_nc_u32_e32 v189, v114, v63
	s_delay_alu instid0(VALU_DEP_3) | instskip(SKIP_1) | instid1(SALU_CYCLE_1)
	v_cmp_eq_u32_e32 vcc_lo, 0, v188
	s_and_b32 s18, s17, vcc_lo
	s_and_saveexec_b32 s17, s18
	s_cbranch_execz .LBB214_482
; %bb.481:                              ;   in Loop: Header=BB214_418 Depth=2
	s_wait_dscnt 0x0
	v_bcnt_u32_b32 v62, v62, v187
	ds_store_b32 v189, v62 offset:544
.LBB214_482:                            ;   in Loop: Header=BB214_418 Depth=2
	s_or_b32 exec_lo, exec_lo, s17
	v_and_b32_e32 v62, 0xff, v148
	; wave barrier
	s_delay_alu instid0(VALU_DEP_1) | instskip(NEXT) | instid1(VALU_DEP_1)
	v_lshrrev_b32_e32 v62, s43, v62
	v_and_b32_e32 v64, s48, v62
	s_delay_alu instid0(VALU_DEP_1) | instskip(SKIP_1) | instid1(VALU_DEP_1)
	v_lshlrev_b32_e32 v65, 30, v64
	v_bitop3_b32 v63, v62, 1, s48 bitop3:0x80
	v_add_co_u32 v62, s17, v63, -1
	s_delay_alu instid0(VALU_DEP_1) | instskip(NEXT) | instid1(VALU_DEP_4)
	v_cndmask_b32_e64 v63, 0, 1, s17
	v_cmp_gt_i32_e64 s17, 0, v65
	s_delay_alu instid0(VALU_DEP_2) | instskip(SKIP_2) | instid1(VALU_DEP_2)
	v_cmp_ne_u32_e32 vcc_lo, 0, v63
	v_not_b32_e32 v63, v65
	v_bitop3_b32 v62, vcc_lo, exec_lo, v62 bitop3:0x48
	v_dual_ashrrev_i32 v63, 31, v63 :: v_dual_lshlrev_b32 v190, 29, v64
	v_dual_lshlrev_b32 v191, 28, v64 :: v_dual_lshlrev_b32 v192, 27, v64
	v_lshlrev_b32_e32 v193, 26, v64
	s_delay_alu instid0(VALU_DEP_3)
	v_not_b32_e32 v65, v190
	v_lshlrev_b32_e32 v194, 25, v64
	v_cmp_gt_i32_e64 s18, 0, v190
	v_cmp_gt_i32_e64 s19, 0, v191
	v_not_b32_e32 v190, v191
	v_not_b32_e32 v191, v192
	v_ashrrev_i32_e32 v65, 31, v65
	v_cmp_gt_i32_e64 s20, 0, v192
	v_cmp_gt_i32_e64 s21, 0, v193
	v_not_b32_e32 v192, v193
	v_dual_ashrrev_i32 v190, 31, v190 :: v_dual_ashrrev_i32 v191, 31, v191
	v_xor_b32_e32 v63, s17, v63
	v_xor_b32_e32 v65, s18, v65
	v_not_b32_e32 v193, v194
	s_delay_alu instid0(VALU_DEP_4) | instskip(SKIP_1) | instid1(VALU_DEP_4)
	v_dual_ashrrev_i32 v192, 31, v192 :: v_dual_bitop2_b32 v190, s19, v190 bitop3:0x14
	v_xor_b32_e32 v191, s20, v191
	v_bitop3_b32 v62, v62, v65, v63 bitop3:0x80
	v_cmp_gt_i32_e32 vcc_lo, 0, v194
	v_ashrrev_i32_e32 v63, 31, v193
	v_mad_u32_u24 v65, v64, 36, v114
	v_xor_b32_e32 v192, s21, v192
	v_bitop3_b32 v62, v62, v191, v190 bitop3:0x80
	s_delay_alu instid0(VALU_DEP_4) | instskip(SKIP_3) | instid1(VALU_DEP_2)
	v_xor_b32_e32 v63, vcc_lo, v63
	ds_load_b32 v190, v65 offset:544
	; wave barrier
	v_bitop3_b32 v62, v62, v63, v192 bitop3:0x80
	v_mul_u32_u24_e32 v63, 36, v64
	v_mbcnt_lo_u32_b32 v191, v62, 0
	v_cmp_ne_u32_e64 s17, 0, v62
	s_delay_alu instid0(VALU_DEP_3) | instskip(NEXT) | instid1(VALU_DEP_3)
	v_add_nc_u32_e32 v192, v114, v63
	v_cmp_eq_u32_e32 vcc_lo, 0, v191
	s_and_b32 s18, s17, vcc_lo
	s_delay_alu instid0(SALU_CYCLE_1)
	s_and_saveexec_b32 s17, s18
	s_cbranch_execz .LBB214_484
; %bb.483:                              ;   in Loop: Header=BB214_418 Depth=2
	s_wait_dscnt 0x0
	v_bcnt_u32_b32 v62, v62, v190
	ds_store_b32 v192, v62 offset:544
.LBB214_484:                            ;   in Loop: Header=BB214_418 Depth=2
	s_or_b32 exec_lo, exec_lo, s17
	v_and_b32_e32 v62, 0xff, v149
	; wave barrier
	s_delay_alu instid0(VALU_DEP_1) | instskip(NEXT) | instid1(VALU_DEP_1)
	v_lshrrev_b32_e32 v62, s43, v62
	v_and_b32_e32 v64, s48, v62
	s_delay_alu instid0(VALU_DEP_1) | instskip(SKIP_1) | instid1(VALU_DEP_1)
	v_lshlrev_b32_e32 v65, 30, v64
	v_bitop3_b32 v63, v62, 1, s48 bitop3:0x80
	v_add_co_u32 v62, s17, v63, -1
	s_delay_alu instid0(VALU_DEP_1) | instskip(NEXT) | instid1(VALU_DEP_4)
	v_cndmask_b32_e64 v63, 0, 1, s17
	v_cmp_gt_i32_e64 s17, 0, v65
	s_delay_alu instid0(VALU_DEP_2) | instskip(SKIP_2) | instid1(VALU_DEP_2)
	v_cmp_ne_u32_e32 vcc_lo, 0, v63
	v_not_b32_e32 v63, v65
	v_bitop3_b32 v62, vcc_lo, exec_lo, v62 bitop3:0x48
	v_dual_ashrrev_i32 v63, 31, v63 :: v_dual_lshlrev_b32 v193, 29, v64
	v_dual_lshlrev_b32 v194, 28, v64 :: v_dual_lshlrev_b32 v195, 27, v64
	s_delay_alu instid0(VALU_DEP_2) | instskip(NEXT) | instid1(VALU_DEP_3)
	v_dual_lshlrev_b32 v196, 26, v64 :: v_dual_bitop2_b32 v63, s17, v63 bitop3:0x14
	v_not_b32_e32 v65, v193
	v_lshlrev_b32_e32 v197, 25, v64
	v_cmp_gt_i32_e64 s18, 0, v193
	v_cmp_gt_i32_e64 s19, 0, v194
	v_not_b32_e32 v193, v194
	v_not_b32_e32 v194, v195
	v_ashrrev_i32_e32 v65, 31, v65
	v_cmp_gt_i32_e64 s20, 0, v195
	v_cmp_gt_i32_e64 s21, 0, v196
	v_not_b32_e32 v195, v196
	v_dual_ashrrev_i32 v193, 31, v193 :: v_dual_ashrrev_i32 v194, 31, v194
	v_xor_b32_e32 v65, s18, v65
	v_not_b32_e32 v196, v197
	s_delay_alu instid0(VALU_DEP_3) | instskip(NEXT) | instid1(VALU_DEP_4)
	v_dual_ashrrev_i32 v195, 31, v195 :: v_dual_bitop2_b32 v193, s19, v193 bitop3:0x14
	v_xor_b32_e32 v194, s20, v194
	s_delay_alu instid0(VALU_DEP_4)
	v_bitop3_b32 v62, v62, v65, v63 bitop3:0x80
	v_cmp_gt_i32_e32 vcc_lo, 0, v197
	v_ashrrev_i32_e32 v63, 31, v196
	v_mad_u32_u24 v65, v64, 36, v114
	v_xor_b32_e32 v195, s21, v195
	v_bitop3_b32 v62, v62, v194, v193 bitop3:0x80
	s_delay_alu instid0(VALU_DEP_4) | instskip(SKIP_3) | instid1(VALU_DEP_2)
	v_xor_b32_e32 v63, vcc_lo, v63
	ds_load_b32 v193, v65 offset:544
	; wave barrier
	v_bitop3_b32 v62, v62, v63, v195 bitop3:0x80
	v_mul_u32_u24_e32 v63, 36, v64
	v_mbcnt_lo_u32_b32 v194, v62, 0
	v_cmp_ne_u32_e64 s17, 0, v62
	s_delay_alu instid0(VALU_DEP_3) | instskip(NEXT) | instid1(VALU_DEP_3)
	v_add_nc_u32_e32 v195, v114, v63
	v_cmp_eq_u32_e32 vcc_lo, 0, v194
	s_and_b32 s18, s17, vcc_lo
	s_delay_alu instid0(SALU_CYCLE_1)
	s_and_saveexec_b32 s17, s18
	s_cbranch_execz .LBB214_486
; %bb.485:                              ;   in Loop: Header=BB214_418 Depth=2
	s_wait_dscnt 0x0
	v_bcnt_u32_b32 v62, v62, v193
	ds_store_b32 v195, v62 offset:544
.LBB214_486:                            ;   in Loop: Header=BB214_418 Depth=2
	s_or_b32 exec_lo, exec_lo, s17
	v_and_b32_e32 v62, 0xff, v150
	; wave barrier
	s_delay_alu instid0(VALU_DEP_1) | instskip(NEXT) | instid1(VALU_DEP_1)
	v_lshrrev_b32_e32 v62, s43, v62
	v_and_b32_e32 v64, s48, v62
	s_delay_alu instid0(VALU_DEP_1) | instskip(SKIP_1) | instid1(VALU_DEP_1)
	v_lshlrev_b32_e32 v65, 30, v64
	v_bitop3_b32 v63, v62, 1, s48 bitop3:0x80
	v_add_co_u32 v62, s17, v63, -1
	s_delay_alu instid0(VALU_DEP_1) | instskip(NEXT) | instid1(VALU_DEP_4)
	v_cndmask_b32_e64 v63, 0, 1, s17
	v_cmp_gt_i32_e64 s17, 0, v65
	s_delay_alu instid0(VALU_DEP_2) | instskip(SKIP_2) | instid1(VALU_DEP_2)
	v_cmp_ne_u32_e32 vcc_lo, 0, v63
	v_not_b32_e32 v63, v65
	v_bitop3_b32 v62, vcc_lo, exec_lo, v62 bitop3:0x48
	v_dual_ashrrev_i32 v63, 31, v63 :: v_dual_lshlrev_b32 v196, 29, v64
	v_dual_lshlrev_b32 v197, 28, v64 :: v_dual_lshlrev_b32 v198, 27, v64
	v_lshlrev_b32_e32 v199, 26, v64
	s_delay_alu instid0(VALU_DEP_3)
	v_not_b32_e32 v65, v196
	v_lshlrev_b32_e32 v200, 25, v64
	v_cmp_gt_i32_e64 s18, 0, v196
	v_cmp_gt_i32_e64 s19, 0, v197
	v_not_b32_e32 v196, v197
	v_not_b32_e32 v197, v198
	v_ashrrev_i32_e32 v65, 31, v65
	v_cmp_gt_i32_e64 s20, 0, v198
	v_cmp_gt_i32_e64 s21, 0, v199
	v_not_b32_e32 v198, v199
	v_dual_ashrrev_i32 v196, 31, v196 :: v_dual_ashrrev_i32 v197, 31, v197
	v_xor_b32_e32 v63, s17, v63
	v_not_b32_e32 v199, v200
	s_delay_alu instid0(VALU_DEP_4) | instskip(NEXT) | instid1(VALU_DEP_4)
	v_dual_ashrrev_i32 v198, 31, v198 :: v_dual_bitop2_b32 v65, s18, v65 bitop3:0x14
	v_xor_b32_e32 v196, s19, v196
	v_xor_b32_e32 v197, s20, v197
	v_cmp_gt_i32_e32 vcc_lo, 0, v200
	s_delay_alu instid0(VALU_DEP_4) | instskip(SKIP_3) | instid1(VALU_DEP_4)
	v_bitop3_b32 v62, v62, v65, v63 bitop3:0x80
	v_ashrrev_i32_e32 v63, 31, v199
	v_mad_u32_u24 v65, v64, 36, v114
	v_xor_b32_e32 v198, s21, v198
	v_bitop3_b32 v62, v62, v197, v196 bitop3:0x80
	s_delay_alu instid0(VALU_DEP_4) | instskip(SKIP_3) | instid1(VALU_DEP_2)
	v_xor_b32_e32 v63, vcc_lo, v63
	ds_load_b32 v196, v65 offset:544
	; wave barrier
	v_bitop3_b32 v62, v62, v63, v198 bitop3:0x80
	v_mul_u32_u24_e32 v63, 36, v64
	v_mbcnt_lo_u32_b32 v197, v62, 0
	v_cmp_ne_u32_e64 s17, 0, v62
	s_delay_alu instid0(VALU_DEP_3) | instskip(NEXT) | instid1(VALU_DEP_3)
	v_add_nc_u32_e32 v198, v114, v63
	v_cmp_eq_u32_e32 vcc_lo, 0, v197
	s_and_b32 s18, s17, vcc_lo
	s_delay_alu instid0(SALU_CYCLE_1)
	s_and_saveexec_b32 s17, s18
	s_cbranch_execz .LBB214_488
; %bb.487:                              ;   in Loop: Header=BB214_418 Depth=2
	s_wait_dscnt 0x0
	v_bcnt_u32_b32 v62, v62, v196
	ds_store_b32 v198, v62 offset:544
.LBB214_488:                            ;   in Loop: Header=BB214_418 Depth=2
	s_or_b32 exec_lo, exec_lo, s17
	v_and_b32_e32 v62, 0xff, v151
	; wave barrier
	s_delay_alu instid0(VALU_DEP_1) | instskip(NEXT) | instid1(VALU_DEP_1)
	v_lshrrev_b32_e32 v62, s43, v62
	v_and_b32_e32 v64, s48, v62
	s_delay_alu instid0(VALU_DEP_1) | instskip(SKIP_1) | instid1(VALU_DEP_1)
	v_lshlrev_b32_e32 v65, 30, v64
	v_bitop3_b32 v63, v62, 1, s48 bitop3:0x80
	v_add_co_u32 v62, s17, v63, -1
	s_delay_alu instid0(VALU_DEP_1) | instskip(NEXT) | instid1(VALU_DEP_4)
	v_cndmask_b32_e64 v63, 0, 1, s17
	v_cmp_gt_i32_e64 s17, 0, v65
	s_delay_alu instid0(VALU_DEP_2) | instskip(SKIP_2) | instid1(VALU_DEP_2)
	v_cmp_ne_u32_e32 vcc_lo, 0, v63
	v_not_b32_e32 v63, v65
	v_bitop3_b32 v62, vcc_lo, exec_lo, v62 bitop3:0x48
	v_dual_ashrrev_i32 v63, 31, v63 :: v_dual_lshlrev_b32 v199, 29, v64
	v_dual_lshlrev_b32 v200, 28, v64 :: v_dual_lshlrev_b32 v201, 27, v64
	v_lshlrev_b32_e32 v202, 26, v64
	s_delay_alu instid0(VALU_DEP_3)
	v_not_b32_e32 v65, v199
	v_lshlrev_b32_e32 v203, 25, v64
	v_cmp_gt_i32_e64 s18, 0, v199
	v_cmp_gt_i32_e64 s19, 0, v200
	v_not_b32_e32 v199, v200
	v_not_b32_e32 v200, v201
	v_ashrrev_i32_e32 v65, 31, v65
	v_cmp_gt_i32_e64 s20, 0, v201
	v_cmp_gt_i32_e64 s21, 0, v202
	v_not_b32_e32 v201, v202
	v_dual_ashrrev_i32 v199, 31, v199 :: v_dual_ashrrev_i32 v200, 31, v200
	v_xor_b32_e32 v63, s17, v63
	v_not_b32_e32 v202, v203
	v_xor_b32_e32 v65, s18, v65
	s_delay_alu instid0(VALU_DEP_4) | instskip(SKIP_2) | instid1(VALU_DEP_4)
	v_dual_ashrrev_i32 v201, 31, v201 :: v_dual_bitop2_b32 v199, s19, v199 bitop3:0x14
	v_xor_b32_e32 v200, s20, v200
	v_cmp_gt_i32_e32 vcc_lo, 0, v203
	v_bitop3_b32 v62, v62, v65, v63 bitop3:0x80
	v_ashrrev_i32_e32 v63, 31, v202
	v_mad_u32_u24 v65, v64, 36, v114
	v_xor_b32_e32 v201, s21, v201
	s_delay_alu instid0(VALU_DEP_4) | instskip(NEXT) | instid1(VALU_DEP_4)
	v_bitop3_b32 v62, v62, v200, v199 bitop3:0x80
	v_xor_b32_e32 v63, vcc_lo, v63
	ds_load_b32 v199, v65 offset:544
	; wave barrier
	v_bitop3_b32 v62, v62, v63, v201 bitop3:0x80
	v_mul_u32_u24_e32 v63, 36, v64
	s_delay_alu instid0(VALU_DEP_2) | instskip(SKIP_1) | instid1(VALU_DEP_3)
	v_mbcnt_lo_u32_b32 v200, v62, 0
	v_cmp_ne_u32_e64 s17, 0, v62
	v_add_nc_u32_e32 v201, v114, v63
	s_delay_alu instid0(VALU_DEP_3) | instskip(SKIP_1) | instid1(SALU_CYCLE_1)
	v_cmp_eq_u32_e32 vcc_lo, 0, v200
	s_and_b32 s18, s17, vcc_lo
	s_and_saveexec_b32 s17, s18
	s_cbranch_execz .LBB214_490
; %bb.489:                              ;   in Loop: Header=BB214_418 Depth=2
	s_wait_dscnt 0x0
	v_bcnt_u32_b32 v62, v62, v199
	ds_store_b32 v201, v62 offset:544
.LBB214_490:                            ;   in Loop: Header=BB214_418 Depth=2
	s_or_b32 exec_lo, exec_lo, s17
	; wave barrier
	s_wait_dscnt 0x0
	s_barrier_signal -1
	s_barrier_wait -1
	ds_load_2addr_b32 v[64:65], v90 offset0:136 offset1:137
	ds_load_2addr_b32 v[62:63], v90 offset0:138 offset1:139
	ds_load_b32 v202, v90 offset:560
	s_wait_dscnt 0x1
	v_add3_u32 v203, v65, v64, v62
	s_wait_dscnt 0x0
	s_delay_alu instid0(VALU_DEP_1) | instskip(NEXT) | instid1(VALU_DEP_1)
	v_add3_u32 v202, v203, v63, v202
	v_mov_b32_dpp v203, v202 row_shr:1 row_mask:0xf bank_mask:0xf
	s_delay_alu instid0(VALU_DEP_1) | instskip(NEXT) | instid1(VALU_DEP_1)
	v_cndmask_b32_e64 v203, v203, 0, s8
	v_add_nc_u32_e32 v202, v203, v202
	s_delay_alu instid0(VALU_DEP_1) | instskip(NEXT) | instid1(VALU_DEP_1)
	v_mov_b32_dpp v203, v202 row_shr:2 row_mask:0xf bank_mask:0xf
	v_cndmask_b32_e64 v203, 0, v203, s9
	s_delay_alu instid0(VALU_DEP_1) | instskip(NEXT) | instid1(VALU_DEP_1)
	v_add_nc_u32_e32 v202, v202, v203
	v_mov_b32_dpp v203, v202 row_shr:4 row_mask:0xf bank_mask:0xf
	s_delay_alu instid0(VALU_DEP_1) | instskip(NEXT) | instid1(VALU_DEP_1)
	v_cndmask_b32_e64 v203, 0, v203, s10
	v_add_nc_u32_e32 v202, v202, v203
	s_delay_alu instid0(VALU_DEP_1) | instskip(NEXT) | instid1(VALU_DEP_1)
	v_mov_b32_dpp v203, v202 row_shr:8 row_mask:0xf bank_mask:0xf
	v_cndmask_b32_e64 v203, 0, v203, s11
	s_delay_alu instid0(VALU_DEP_1) | instskip(SKIP_3) | instid1(VALU_DEP_1)
	v_add_nc_u32_e32 v202, v202, v203
	ds_swizzle_b32 v203, v202 offset:swizzle(BROADCAST,32,15)
	s_wait_dscnt 0x0
	v_cndmask_b32_e64 v203, v203, 0, s12
	v_add_nc_u32_e32 v202, v202, v203
	s_and_saveexec_b32 s17, s2
; %bb.491:                              ;   in Loop: Header=BB214_418 Depth=2
	ds_store_b32 v83, v202 offset:512
; %bb.492:                              ;   in Loop: Header=BB214_418 Depth=2
	s_or_b32 exec_lo, exec_lo, s17
	s_wait_dscnt 0x0
	s_barrier_signal -1
	s_barrier_wait -1
	s_and_saveexec_b32 s17, s3
	s_cbranch_execz .LBB214_494
; %bb.493:                              ;   in Loop: Header=BB214_418 Depth=2
	ds_load_b32 v203, v92 offset:512
	s_wait_dscnt 0x0
	v_mov_b32_dpp v204, v203 row_shr:1 row_mask:0xf bank_mask:0xf
	s_delay_alu instid0(VALU_DEP_1) | instskip(NEXT) | instid1(VALU_DEP_1)
	v_cndmask_b32_e64 v204, v204, 0, s14
	v_add_nc_u32_e32 v203, v204, v203
	s_delay_alu instid0(VALU_DEP_1) | instskip(NEXT) | instid1(VALU_DEP_1)
	v_mov_b32_dpp v204, v203 row_shr:2 row_mask:0xf bank_mask:0xf
	v_cndmask_b32_e64 v204, 0, v204, s15
	s_delay_alu instid0(VALU_DEP_1) | instskip(NEXT) | instid1(VALU_DEP_1)
	v_add_nc_u32_e32 v203, v203, v204
	v_mov_b32_dpp v204, v203 row_shr:4 row_mask:0xf bank_mask:0xf
	s_delay_alu instid0(VALU_DEP_1) | instskip(NEXT) | instid1(VALU_DEP_1)
	v_cndmask_b32_e64 v204, 0, v204, s16
	v_add_nc_u32_e32 v203, v203, v204
	ds_store_b32 v92, v203 offset:512
.LBB214_494:                            ;   in Loop: Header=BB214_418 Depth=2
	s_or_b32 exec_lo, exec_lo, s17
	v_mov_b32_e32 v203, 0
	s_wait_dscnt 0x0
	s_barrier_signal -1
	s_barrier_wait -1
	s_and_saveexec_b32 s17, s5
; %bb.495:                              ;   in Loop: Header=BB214_418 Depth=2
	ds_load_b32 v203, v83 offset:508
; %bb.496:                              ;   in Loop: Header=BB214_418 Depth=2
	s_or_b32 exec_lo, exec_lo, s17
	s_wait_dscnt 0x0
	v_add_nc_u32_e32 v202, v203, v202
	ds_bpermute_b32 v202, v96, v202
	s_wait_dscnt 0x0
	v_cndmask_b32_e64 v202, v202, v203, s13
	s_delay_alu instid0(VALU_DEP_1) | instskip(NEXT) | instid1(VALU_DEP_1)
	v_cndmask_b32_e64 v202, v202, 0, s6
	v_add_nc_u32_e32 v64, v202, v64
	s_delay_alu instid0(VALU_DEP_1) | instskip(NEXT) | instid1(VALU_DEP_1)
	v_add_nc_u32_e32 v65, v64, v65
	v_add_nc_u32_e32 v62, v65, v62
	s_delay_alu instid0(VALU_DEP_1)
	v_add_nc_u32_e32 v63, v62, v63
	ds_store_2addr_b32 v90, v202, v64 offset0:136 offset1:137
	ds_store_2addr_b32 v90, v65, v62 offset0:138 offset1:139
	ds_store_b32 v90, v63 offset:560
	s_wait_dscnt 0x0
	s_barrier_signal -1
	s_barrier_wait -1
	ds_load_b32 v62, v153 offset:544
	ds_load_b32 v63, v156 offset:544
	;; [unrolled: 1-line block ×17, first 2 shown]
	s_and_saveexec_b32 s17, s0
	s_cbranch_execz .LBB214_500
; %bb.497:                              ;   in Loop: Header=BB214_418 Depth=2
	v_dual_mov_b32 v133, 0x1100 :: v_dual_add_nc_u32 v132, v92, v94
	ds_load_b32 v132, v132 offset:544
	s_and_saveexec_b32 s18, s7
; %bb.498:                              ;   in Loop: Header=BB214_418 Depth=2
	ds_load_b32 v133, v93 offset:544
; %bb.499:                              ;   in Loop: Header=BB214_418 Depth=2
	s_or_b32 exec_lo, exec_lo, s18
	s_wait_dscnt 0x0
	v_sub_nc_u32_e32 v133, v133, v132
.LBB214_500:                            ;   in Loop: Header=BB214_418 Depth=2
	s_or_b32 exec_lo, exec_lo, s17
	s_wait_dscnt 0x0
	s_barrier_signal -1
	s_barrier_wait -1
	s_and_saveexec_b32 s17, s0
	s_cbranch_execz .LBB214_502
; %bb.501:                              ;   in Loop: Header=BB214_418 Depth=2
	ds_load_b32 v162, v66
	s_wait_dscnt 0x0
	v_sub_nc_u32_e32 v162, v162, v132
	ds_store_b32 v66, v162
.LBB214_502:                            ;   in Loop: Header=BB214_418 Depth=2
	s_or_b32 exec_lo, exec_lo, s17
	v_add_nc_u32_e32 v174, v62, v152
	v_add3_u32 v171, v155, v154, v63
	v_add3_u32 v168, v158, v157, v64
	;; [unrolled: 1-line block ×16, first 2 shown]
	v_cmp_lt_u32_e32 vcc_lo, v2, v134
	ds_store_b8 v174, v135 offset:512
	ds_store_b8 v171, v136 offset:512
	;; [unrolled: 1-line block ×17, first 2 shown]
	s_wait_dscnt 0x0
	s_barrier_signal -1
	s_barrier_wait -1
	s_and_saveexec_b32 s17, vcc_lo
	s_cbranch_execnz .LBB214_575
; %bb.503:                              ;   in Loop: Header=BB214_418 Depth=2
	s_or_b32 exec_lo, exec_lo, s17
	v_cmp_lt_u32_e64 s17, v67, v134
	s_and_saveexec_b32 s18, s17
	s_cbranch_execnz .LBB214_576
.LBB214_504:                            ;   in Loop: Header=BB214_418 Depth=2
	s_or_b32 exec_lo, exec_lo, s18
	v_cmp_lt_u32_e64 s18, v68, v134
	s_and_saveexec_b32 s19, s18
	s_cbranch_execnz .LBB214_577
.LBB214_505:                            ;   in Loop: Header=BB214_418 Depth=2
	s_or_b32 exec_lo, exec_lo, s19
	v_cmp_lt_u32_e64 s19, v69, v134
	s_and_saveexec_b32 s20, s19
	s_cbranch_execnz .LBB214_578
.LBB214_506:                            ;   in Loop: Header=BB214_418 Depth=2
	s_or_b32 exec_lo, exec_lo, s20
	v_cmp_lt_u32_e64 s20, v70, v134
	s_and_saveexec_b32 s21, s20
	s_cbranch_execnz .LBB214_579
.LBB214_507:                            ;   in Loop: Header=BB214_418 Depth=2
	s_or_b32 exec_lo, exec_lo, s21
	v_cmp_lt_u32_e64 s21, v71, v134
	s_and_saveexec_b32 s22, s21
	s_cbranch_execnz .LBB214_580
.LBB214_508:                            ;   in Loop: Header=BB214_418 Depth=2
	s_or_b32 exec_lo, exec_lo, s22
	v_cmp_lt_u32_e64 s22, v72, v134
	s_and_saveexec_b32 s23, s22
	s_cbranch_execnz .LBB214_581
.LBB214_509:                            ;   in Loop: Header=BB214_418 Depth=2
	s_or_b32 exec_lo, exec_lo, s23
	v_cmp_lt_u32_e64 s23, v73, v134
	s_and_saveexec_b32 s24, s23
	s_cbranch_execnz .LBB214_582
.LBB214_510:                            ;   in Loop: Header=BB214_418 Depth=2
	s_or_b32 exec_lo, exec_lo, s24
	v_cmp_lt_u32_e64 s24, v74, v134
	s_and_saveexec_b32 s25, s24
	s_cbranch_execnz .LBB214_583
.LBB214_511:                            ;   in Loop: Header=BB214_418 Depth=2
	s_or_b32 exec_lo, exec_lo, s25
	v_cmp_lt_u32_e64 s25, v75, v134
	s_and_saveexec_b32 s26, s25
	s_cbranch_execnz .LBB214_584
.LBB214_512:                            ;   in Loop: Header=BB214_418 Depth=2
	s_or_b32 exec_lo, exec_lo, s26
	v_cmp_lt_u32_e64 s26, v76, v134
	s_and_saveexec_b32 s27, s26
	s_cbranch_execnz .LBB214_585
.LBB214_513:                            ;   in Loop: Header=BB214_418 Depth=2
	s_or_b32 exec_lo, exec_lo, s27
	v_cmp_lt_u32_e64 s27, v77, v134
	s_and_saveexec_b32 s28, s27
	s_cbranch_execnz .LBB214_586
.LBB214_514:                            ;   in Loop: Header=BB214_418 Depth=2
	s_or_b32 exec_lo, exec_lo, s28
	v_cmp_lt_u32_e64 s28, v78, v134
	s_and_saveexec_b32 s29, s28
	s_cbranch_execnz .LBB214_587
.LBB214_515:                            ;   in Loop: Header=BB214_418 Depth=2
	s_or_b32 exec_lo, exec_lo, s29
	v_cmp_lt_u32_e64 s29, v79, v134
	s_and_saveexec_b32 s30, s29
	s_cbranch_execnz .LBB214_588
.LBB214_516:                            ;   in Loop: Header=BB214_418 Depth=2
	s_or_b32 exec_lo, exec_lo, s30
	v_cmp_lt_u32_e64 s30, v80, v134
	s_and_saveexec_b32 s31, s30
	s_cbranch_execnz .LBB214_589
.LBB214_517:                            ;   in Loop: Header=BB214_418 Depth=2
	s_or_b32 exec_lo, exec_lo, s31
	v_cmp_lt_u32_e64 s31, v81, v134
	s_and_saveexec_b32 s33, s31
	s_cbranch_execnz .LBB214_590
.LBB214_518:                            ;   in Loop: Header=BB214_418 Depth=2
	s_or_b32 exec_lo, exec_lo, s33
	v_cmp_lt_u32_e64 s33, v82, v134
	s_and_saveexec_b32 s60, s33
	s_cbranch_execz .LBB214_520
.LBB214_519:                            ;   in Loop: Header=BB214_418 Depth=2
	ds_load_u8 v62, v2 offset:4608
	s_wait_dscnt 0x0
	v_and_b32_e32 v63, 0xff, v62
	s_delay_alu instid0(VALU_DEP_1) | instskip(NEXT) | instid1(VALU_DEP_1)
	v_lshrrev_b32_e32 v63, s43, v63
	v_and_b32_e32 v63, s48, v63
	s_delay_alu instid0(VALU_DEP_1)
	v_lshlrev_b32_e32 v63, 2, v63
	ds_load_b32 v63, v63
	s_wait_dscnt 0x0
	v_add_nc_u32_e32 v63, v63, v82
	global_store_b8 v63, v62, s[40:41]
.LBB214_520:                            ;   in Loop: Header=BB214_418 Depth=2
	s_wait_xcnt 0x0
	s_or_b32 exec_lo, exec_lo, s60
	v_lshl_add_u64 v[62:63], s[34:35], 3, v[24:25]
	v_cmp_lt_u32_e64 s34, v97, v134
	s_and_saveexec_b32 s60, s34
	s_delay_alu instid0(SALU_CYCLE_1)
	s_xor_b32 s34, exec_lo, s60
	s_cbranch_execnz .LBB214_591
; %bb.521:                              ;   in Loop: Header=BB214_418 Depth=2
	s_or_b32 exec_lo, exec_lo, s34
	s_delay_alu instid0(SALU_CYCLE_1)
	s_mov_b32 s60, exec_lo
	v_cmpx_lt_u32_e64 v98, v134
	s_cbranch_execnz .LBB214_592
.LBB214_522:                            ;   in Loop: Header=BB214_418 Depth=2
	s_or_b32 exec_lo, exec_lo, s60
	s_delay_alu instid0(SALU_CYCLE_1)
	s_mov_b32 s60, exec_lo
	v_cmpx_lt_u32_e64 v99, v134
	s_cbranch_execnz .LBB214_593
.LBB214_523:                            ;   in Loop: Header=BB214_418 Depth=2
	s_or_b32 exec_lo, exec_lo, s60
	s_delay_alu instid0(SALU_CYCLE_1)
	s_mov_b32 s60, exec_lo
	v_cmpx_lt_u32_e64 v100, v134
	s_cbranch_execnz .LBB214_594
.LBB214_524:                            ;   in Loop: Header=BB214_418 Depth=2
	s_or_b32 exec_lo, exec_lo, s60
	s_delay_alu instid0(SALU_CYCLE_1)
	s_mov_b32 s60, exec_lo
	v_cmpx_lt_u32_e64 v101, v134
	s_cbranch_execnz .LBB214_595
.LBB214_525:                            ;   in Loop: Header=BB214_418 Depth=2
	s_or_b32 exec_lo, exec_lo, s60
	s_delay_alu instid0(SALU_CYCLE_1)
	s_mov_b32 s60, exec_lo
	v_cmpx_lt_u32_e64 v102, v134
	s_cbranch_execnz .LBB214_596
.LBB214_526:                            ;   in Loop: Header=BB214_418 Depth=2
	s_or_b32 exec_lo, exec_lo, s60
	s_delay_alu instid0(SALU_CYCLE_1)
	s_mov_b32 s60, exec_lo
	v_cmpx_lt_u32_e64 v103, v134
	s_cbranch_execnz .LBB214_597
.LBB214_527:                            ;   in Loop: Header=BB214_418 Depth=2
	s_or_b32 exec_lo, exec_lo, s60
	s_delay_alu instid0(SALU_CYCLE_1)
	s_mov_b32 s60, exec_lo
	v_cmpx_lt_u32_e64 v104, v134
	s_cbranch_execnz .LBB214_598
.LBB214_528:                            ;   in Loop: Header=BB214_418 Depth=2
	s_or_b32 exec_lo, exec_lo, s60
	s_delay_alu instid0(SALU_CYCLE_1)
	s_mov_b32 s60, exec_lo
	v_cmpx_lt_u32_e64 v105, v134
	s_cbranch_execnz .LBB214_599
.LBB214_529:                            ;   in Loop: Header=BB214_418 Depth=2
	s_or_b32 exec_lo, exec_lo, s60
	s_delay_alu instid0(SALU_CYCLE_1)
	s_mov_b32 s60, exec_lo
	v_cmpx_lt_u32_e64 v106, v134
	s_cbranch_execnz .LBB214_600
.LBB214_530:                            ;   in Loop: Header=BB214_418 Depth=2
	s_or_b32 exec_lo, exec_lo, s60
	s_delay_alu instid0(SALU_CYCLE_1)
	s_mov_b32 s60, exec_lo
	v_cmpx_lt_u32_e64 v107, v134
	s_cbranch_execnz .LBB214_601
.LBB214_531:                            ;   in Loop: Header=BB214_418 Depth=2
	s_or_b32 exec_lo, exec_lo, s60
	s_delay_alu instid0(SALU_CYCLE_1)
	s_mov_b32 s60, exec_lo
	v_cmpx_lt_u32_e64 v108, v134
	s_cbranch_execnz .LBB214_602
.LBB214_532:                            ;   in Loop: Header=BB214_418 Depth=2
	s_or_b32 exec_lo, exec_lo, s60
	s_delay_alu instid0(SALU_CYCLE_1)
	s_mov_b32 s60, exec_lo
	v_cmpx_lt_u32_e64 v109, v134
	s_cbranch_execnz .LBB214_603
.LBB214_533:                            ;   in Loop: Header=BB214_418 Depth=2
	s_or_b32 exec_lo, exec_lo, s60
	s_delay_alu instid0(SALU_CYCLE_1)
	s_mov_b32 s60, exec_lo
	v_cmpx_lt_u32_e64 v110, v134
	s_cbranch_execnz .LBB214_604
.LBB214_534:                            ;   in Loop: Header=BB214_418 Depth=2
	s_or_b32 exec_lo, exec_lo, s60
	s_delay_alu instid0(SALU_CYCLE_1)
	s_mov_b32 s60, exec_lo
	v_cmpx_lt_u32_e64 v111, v134
	s_cbranch_execnz .LBB214_605
.LBB214_535:                            ;   in Loop: Header=BB214_418 Depth=2
	s_or_b32 exec_lo, exec_lo, s60
	s_delay_alu instid0(SALU_CYCLE_1)
	s_mov_b32 s60, exec_lo
	v_cmpx_lt_u32_e64 v112, v134
	s_cbranch_execnz .LBB214_606
.LBB214_536:                            ;   in Loop: Header=BB214_418 Depth=2
	s_or_b32 exec_lo, exec_lo, s60
	s_delay_alu instid0(SALU_CYCLE_1)
	s_mov_b32 s60, exec_lo
	v_cmpx_lt_u32_e64 v113, v134
	s_cbranch_execnz .LBB214_607
.LBB214_537:                            ;   in Loop: Header=BB214_418 Depth=2
	s_or_b32 exec_lo, exec_lo, s60
	s_and_saveexec_b32 s34, vcc_lo
	s_cbranch_execnz .LBB214_608
.LBB214_538:                            ;   in Loop: Header=BB214_418 Depth=2
	s_or_b32 exec_lo, exec_lo, s34
	s_and_saveexec_b32 s34, s17
	s_cbranch_execnz .LBB214_609
.LBB214_539:                            ;   in Loop: Header=BB214_418 Depth=2
	s_or_b32 exec_lo, exec_lo, s34
	s_and_saveexec_b32 s34, s18
	s_cbranch_execnz .LBB214_610
.LBB214_540:                            ;   in Loop: Header=BB214_418 Depth=2
	s_or_b32 exec_lo, exec_lo, s34
	s_and_saveexec_b32 s34, s19
	s_cbranch_execnz .LBB214_611
.LBB214_541:                            ;   in Loop: Header=BB214_418 Depth=2
	s_or_b32 exec_lo, exec_lo, s34
	s_and_saveexec_b32 s34, s20
	s_cbranch_execnz .LBB214_612
.LBB214_542:                            ;   in Loop: Header=BB214_418 Depth=2
	s_or_b32 exec_lo, exec_lo, s34
	s_and_saveexec_b32 s34, s21
	s_cbranch_execnz .LBB214_613
.LBB214_543:                            ;   in Loop: Header=BB214_418 Depth=2
	s_or_b32 exec_lo, exec_lo, s34
	s_and_saveexec_b32 s34, s22
	s_cbranch_execnz .LBB214_614
.LBB214_544:                            ;   in Loop: Header=BB214_418 Depth=2
	s_or_b32 exec_lo, exec_lo, s34
	s_and_saveexec_b32 s34, s23
	s_cbranch_execnz .LBB214_615
.LBB214_545:                            ;   in Loop: Header=BB214_418 Depth=2
	s_or_b32 exec_lo, exec_lo, s34
	s_and_saveexec_b32 s34, s24
	s_cbranch_execnz .LBB214_616
.LBB214_546:                            ;   in Loop: Header=BB214_418 Depth=2
	s_or_b32 exec_lo, exec_lo, s34
	s_and_saveexec_b32 s34, s25
	s_cbranch_execnz .LBB214_617
.LBB214_547:                            ;   in Loop: Header=BB214_418 Depth=2
	s_or_b32 exec_lo, exec_lo, s34
	s_and_saveexec_b32 s34, s26
	s_cbranch_execnz .LBB214_618
.LBB214_548:                            ;   in Loop: Header=BB214_418 Depth=2
	s_or_b32 exec_lo, exec_lo, s34
	s_and_saveexec_b32 s34, s27
	s_cbranch_execnz .LBB214_619
.LBB214_549:                            ;   in Loop: Header=BB214_418 Depth=2
	s_or_b32 exec_lo, exec_lo, s34
	s_and_saveexec_b32 s34, s28
	s_cbranch_execnz .LBB214_620
.LBB214_550:                            ;   in Loop: Header=BB214_418 Depth=2
	s_or_b32 exec_lo, exec_lo, s34
	s_and_saveexec_b32 s34, s29
	s_cbranch_execnz .LBB214_621
.LBB214_551:                            ;   in Loop: Header=BB214_418 Depth=2
	s_or_b32 exec_lo, exec_lo, s34
	s_and_saveexec_b32 s34, s30
	s_cbranch_execnz .LBB214_622
.LBB214_552:                            ;   in Loop: Header=BB214_418 Depth=2
	s_or_b32 exec_lo, exec_lo, s34
	s_and_saveexec_b32 s34, s31
	s_cbranch_execnz .LBB214_623
.LBB214_553:                            ;   in Loop: Header=BB214_418 Depth=2
	s_or_b32 exec_lo, exec_lo, s34
	s_and_saveexec_b32 s34, s33
	s_cbranch_execz .LBB214_555
.LBB214_554:                            ;   in Loop: Header=BB214_418 Depth=2
	ds_load_u8 v62, v2 offset:4608
	s_wait_dscnt 0x0
	v_lshrrev_b32_e32 v62, s43, v62
	s_delay_alu instid0(VALU_DEP_1)
	v_and_b32_e32 v115, s48, v62
.LBB214_555:                            ;   in Loop: Header=BB214_418 Depth=2
	s_or_b32 exec_lo, exec_lo, s34
	v_dual_lshlrev_b32 v62, 3, v174 :: v_dual_lshlrev_b32 v63, 3, v171
	s_wait_loadcnt 0x0
	s_wait_storecnt 0x0
	s_barrier_signal -1
	s_barrier_wait -1
	ds_store_b64 v62, v[60:61] offset:512
	ds_store_b64 v63, v[58:59] offset:512
	v_dual_lshlrev_b32 v62, 3, v168 :: v_dual_lshlrev_b32 v63, 3, v165
	v_dual_lshlrev_b32 v134, 3, v162 :: v_dual_lshlrev_b32 v135, 3, v161
	v_lshlrev_b32_e32 v136, 3, v160
	ds_store_b64 v62, v[56:57] offset:512
	ds_store_b64 v63, v[54:55] offset:512
	ds_store_b64 v134, v[52:53] offset:512
	ds_store_b64 v135, v[50:51] offset:512
	ds_store_b64 v136, v[48:49] offset:512
	v_dual_lshlrev_b32 v62, 3, v159 :: v_dual_lshlrev_b32 v63, 3, v158
	v_dual_lshlrev_b32 v134, 3, v157 :: v_dual_lshlrev_b32 v135, 3, v156
	v_lshlrev_b32_e32 v136, 3, v155
	ds_store_b64 v62, v[46:47] offset:512
	ds_store_b64 v63, v[44:45] offset:512
	ds_store_b64 v134, v[42:43] offset:512
	;; [unrolled: 8-line block ×3, first 2 shown]
	ds_store_b64 v65, v[30:31] offset:512
	ds_store_b64 v64, v[28:29] offset:512
	s_wait_dscnt 0x0
	s_barrier_signal -1
	s_barrier_wait -1
	s_and_saveexec_b32 s34, vcc_lo
	s_cbranch_execnz .LBB214_624
; %bb.556:                              ;   in Loop: Header=BB214_418 Depth=2
	s_or_b32 exec_lo, exec_lo, s34
	s_and_saveexec_b32 s34, s17
	s_cbranch_execnz .LBB214_625
.LBB214_557:                            ;   in Loop: Header=BB214_418 Depth=2
	s_or_b32 exec_lo, exec_lo, s34
	s_and_saveexec_b32 s17, s18
	s_cbranch_execnz .LBB214_626
.LBB214_558:                            ;   in Loop: Header=BB214_418 Depth=2
	s_or_b32 exec_lo, exec_lo, s17
	s_and_saveexec_b32 s17, s19
	s_cbranch_execnz .LBB214_627
.LBB214_559:                            ;   in Loop: Header=BB214_418 Depth=2
	s_or_b32 exec_lo, exec_lo, s17
	s_and_saveexec_b32 s17, s20
	s_cbranch_execnz .LBB214_628
.LBB214_560:                            ;   in Loop: Header=BB214_418 Depth=2
	s_or_b32 exec_lo, exec_lo, s17
	s_and_saveexec_b32 s17, s21
	s_cbranch_execnz .LBB214_629
.LBB214_561:                            ;   in Loop: Header=BB214_418 Depth=2
	s_or_b32 exec_lo, exec_lo, s17
	s_and_saveexec_b32 s17, s22
	s_cbranch_execnz .LBB214_630
.LBB214_562:                            ;   in Loop: Header=BB214_418 Depth=2
	s_or_b32 exec_lo, exec_lo, s17
	s_and_saveexec_b32 s17, s23
	s_cbranch_execnz .LBB214_631
.LBB214_563:                            ;   in Loop: Header=BB214_418 Depth=2
	s_or_b32 exec_lo, exec_lo, s17
	s_and_saveexec_b32 s17, s24
	s_cbranch_execnz .LBB214_632
.LBB214_564:                            ;   in Loop: Header=BB214_418 Depth=2
	s_or_b32 exec_lo, exec_lo, s17
	s_and_saveexec_b32 s17, s25
	s_cbranch_execnz .LBB214_633
.LBB214_565:                            ;   in Loop: Header=BB214_418 Depth=2
	s_or_b32 exec_lo, exec_lo, s17
	s_and_saveexec_b32 s17, s26
	s_cbranch_execnz .LBB214_634
.LBB214_566:                            ;   in Loop: Header=BB214_418 Depth=2
	s_or_b32 exec_lo, exec_lo, s17
	s_and_saveexec_b32 s17, s27
	s_cbranch_execnz .LBB214_635
.LBB214_567:                            ;   in Loop: Header=BB214_418 Depth=2
	s_or_b32 exec_lo, exec_lo, s17
	s_and_saveexec_b32 s17, s28
	s_cbranch_execnz .LBB214_636
.LBB214_568:                            ;   in Loop: Header=BB214_418 Depth=2
	s_or_b32 exec_lo, exec_lo, s17
	s_and_saveexec_b32 s17, s29
	s_cbranch_execnz .LBB214_637
.LBB214_569:                            ;   in Loop: Header=BB214_418 Depth=2
	s_or_b32 exec_lo, exec_lo, s17
	s_and_saveexec_b32 s17, s30
	s_cbranch_execnz .LBB214_638
.LBB214_570:                            ;   in Loop: Header=BB214_418 Depth=2
	s_or_b32 exec_lo, exec_lo, s17
	s_and_saveexec_b32 s17, s31
	s_cbranch_execnz .LBB214_639
.LBB214_571:                            ;   in Loop: Header=BB214_418 Depth=2
	s_or_b32 exec_lo, exec_lo, s17
	s_and_saveexec_b32 s17, s33
	s_cbranch_execz .LBB214_573
.LBB214_572:                            ;   in Loop: Header=BB214_418 Depth=2
	v_lshlrev_b32_e32 v62, 2, v115
	v_add_nc_u32_e32 v63, v2, v95
	ds_load_b32 v64, v62
	ds_load_b64 v[62:63], v63 offset:33280
	s_wait_dscnt 0x1
	v_add_nc_u32_e32 v64, v64, v82
	s_wait_dscnt 0x0
	global_store_b64 v64, v[62:63], s[46:47] scale_offset
.LBB214_573:                            ;   in Loop: Header=BB214_418 Depth=2
	s_wait_xcnt 0x0
	s_or_b32 exec_lo, exec_lo, s17
	s_wait_storecnt 0x0
	s_barrier_signal -1
	s_barrier_wait -1
	s_and_saveexec_b32 s17, s0
	s_cbranch_execz .LBB214_417
; %bb.574:                              ;   in Loop: Header=BB214_418 Depth=2
	ds_load_b32 v62, v66
	s_wait_dscnt 0x0
	v_add3_u32 v62, v132, v133, v62
	ds_store_b32 v66, v62
	s_branch .LBB214_417
.LBB214_575:                            ;   in Loop: Header=BB214_418 Depth=2
	ds_load_u8 v62, v2 offset:512
	s_wait_dscnt 0x0
	v_and_b32_e32 v63, 0xff, v62
	s_delay_alu instid0(VALU_DEP_1) | instskip(NEXT) | instid1(VALU_DEP_1)
	v_lshrrev_b32_e32 v63, s43, v63
	v_and_b32_e32 v63, s48, v63
	s_delay_alu instid0(VALU_DEP_1)
	v_lshlrev_b32_e32 v63, 2, v63
	ds_load_b32 v63, v63
	s_wait_dscnt 0x0
	v_add_nc_u32_e32 v63, v63, v2
	global_store_b8 v63, v62, s[40:41]
	s_wait_xcnt 0x0
	s_or_b32 exec_lo, exec_lo, s17
	v_cmp_lt_u32_e64 s17, v67, v134
	s_and_saveexec_b32 s18, s17
	s_cbranch_execz .LBB214_504
.LBB214_576:                            ;   in Loop: Header=BB214_418 Depth=2
	ds_load_u8 v62, v2 offset:768
	s_wait_dscnt 0x0
	v_and_b32_e32 v63, 0xff, v62
	s_delay_alu instid0(VALU_DEP_1) | instskip(NEXT) | instid1(VALU_DEP_1)
	v_lshrrev_b32_e32 v63, s43, v63
	v_and_b32_e32 v63, s48, v63
	s_delay_alu instid0(VALU_DEP_1)
	v_lshlrev_b32_e32 v63, 2, v63
	ds_load_b32 v63, v63
	s_wait_dscnt 0x0
	v_add_nc_u32_e32 v63, v63, v67
	global_store_b8 v63, v62, s[40:41]
	s_wait_xcnt 0x0
	s_or_b32 exec_lo, exec_lo, s18
	v_cmp_lt_u32_e64 s18, v68, v134
	s_and_saveexec_b32 s19, s18
	s_cbranch_execz .LBB214_505
.LBB214_577:                            ;   in Loop: Header=BB214_418 Depth=2
	ds_load_u8 v62, v2 offset:1024
	s_wait_dscnt 0x0
	v_and_b32_e32 v63, 0xff, v62
	s_delay_alu instid0(VALU_DEP_1) | instskip(NEXT) | instid1(VALU_DEP_1)
	v_lshrrev_b32_e32 v63, s43, v63
	v_and_b32_e32 v63, s48, v63
	s_delay_alu instid0(VALU_DEP_1)
	v_lshlrev_b32_e32 v63, 2, v63
	ds_load_b32 v63, v63
	s_wait_dscnt 0x0
	v_add_nc_u32_e32 v63, v63, v68
	global_store_b8 v63, v62, s[40:41]
	s_wait_xcnt 0x0
	s_or_b32 exec_lo, exec_lo, s19
	v_cmp_lt_u32_e64 s19, v69, v134
	s_and_saveexec_b32 s20, s19
	s_cbranch_execz .LBB214_506
.LBB214_578:                            ;   in Loop: Header=BB214_418 Depth=2
	ds_load_u8 v62, v2 offset:1280
	s_wait_dscnt 0x0
	v_and_b32_e32 v63, 0xff, v62
	s_delay_alu instid0(VALU_DEP_1) | instskip(NEXT) | instid1(VALU_DEP_1)
	v_lshrrev_b32_e32 v63, s43, v63
	v_and_b32_e32 v63, s48, v63
	s_delay_alu instid0(VALU_DEP_1)
	v_lshlrev_b32_e32 v63, 2, v63
	ds_load_b32 v63, v63
	s_wait_dscnt 0x0
	v_add_nc_u32_e32 v63, v63, v69
	global_store_b8 v63, v62, s[40:41]
	s_wait_xcnt 0x0
	s_or_b32 exec_lo, exec_lo, s20
	v_cmp_lt_u32_e64 s20, v70, v134
	s_and_saveexec_b32 s21, s20
	s_cbranch_execz .LBB214_507
.LBB214_579:                            ;   in Loop: Header=BB214_418 Depth=2
	ds_load_u8 v62, v2 offset:1536
	s_wait_dscnt 0x0
	v_and_b32_e32 v63, 0xff, v62
	s_delay_alu instid0(VALU_DEP_1) | instskip(NEXT) | instid1(VALU_DEP_1)
	v_lshrrev_b32_e32 v63, s43, v63
	v_and_b32_e32 v63, s48, v63
	s_delay_alu instid0(VALU_DEP_1)
	v_lshlrev_b32_e32 v63, 2, v63
	ds_load_b32 v63, v63
	s_wait_dscnt 0x0
	v_add_nc_u32_e32 v63, v63, v70
	global_store_b8 v63, v62, s[40:41]
	s_wait_xcnt 0x0
	s_or_b32 exec_lo, exec_lo, s21
	v_cmp_lt_u32_e64 s21, v71, v134
	s_and_saveexec_b32 s22, s21
	s_cbranch_execz .LBB214_508
.LBB214_580:                            ;   in Loop: Header=BB214_418 Depth=2
	ds_load_u8 v62, v2 offset:1792
	s_wait_dscnt 0x0
	v_and_b32_e32 v63, 0xff, v62
	s_delay_alu instid0(VALU_DEP_1) | instskip(NEXT) | instid1(VALU_DEP_1)
	v_lshrrev_b32_e32 v63, s43, v63
	v_and_b32_e32 v63, s48, v63
	s_delay_alu instid0(VALU_DEP_1)
	v_lshlrev_b32_e32 v63, 2, v63
	ds_load_b32 v63, v63
	s_wait_dscnt 0x0
	v_add_nc_u32_e32 v63, v63, v71
	global_store_b8 v63, v62, s[40:41]
	s_wait_xcnt 0x0
	s_or_b32 exec_lo, exec_lo, s22
	v_cmp_lt_u32_e64 s22, v72, v134
	s_and_saveexec_b32 s23, s22
	s_cbranch_execz .LBB214_509
.LBB214_581:                            ;   in Loop: Header=BB214_418 Depth=2
	ds_load_u8 v62, v2 offset:2048
	s_wait_dscnt 0x0
	v_and_b32_e32 v63, 0xff, v62
	s_delay_alu instid0(VALU_DEP_1) | instskip(NEXT) | instid1(VALU_DEP_1)
	v_lshrrev_b32_e32 v63, s43, v63
	v_and_b32_e32 v63, s48, v63
	s_delay_alu instid0(VALU_DEP_1)
	v_lshlrev_b32_e32 v63, 2, v63
	ds_load_b32 v63, v63
	s_wait_dscnt 0x0
	v_add_nc_u32_e32 v63, v63, v72
	global_store_b8 v63, v62, s[40:41]
	s_wait_xcnt 0x0
	s_or_b32 exec_lo, exec_lo, s23
	v_cmp_lt_u32_e64 s23, v73, v134
	s_and_saveexec_b32 s24, s23
	s_cbranch_execz .LBB214_510
.LBB214_582:                            ;   in Loop: Header=BB214_418 Depth=2
	ds_load_u8 v62, v2 offset:2304
	s_wait_dscnt 0x0
	v_and_b32_e32 v63, 0xff, v62
	s_delay_alu instid0(VALU_DEP_1) | instskip(NEXT) | instid1(VALU_DEP_1)
	v_lshrrev_b32_e32 v63, s43, v63
	v_and_b32_e32 v63, s48, v63
	s_delay_alu instid0(VALU_DEP_1)
	v_lshlrev_b32_e32 v63, 2, v63
	ds_load_b32 v63, v63
	s_wait_dscnt 0x0
	v_add_nc_u32_e32 v63, v63, v73
	global_store_b8 v63, v62, s[40:41]
	s_wait_xcnt 0x0
	s_or_b32 exec_lo, exec_lo, s24
	v_cmp_lt_u32_e64 s24, v74, v134
	s_and_saveexec_b32 s25, s24
	s_cbranch_execz .LBB214_511
.LBB214_583:                            ;   in Loop: Header=BB214_418 Depth=2
	ds_load_u8 v62, v2 offset:2560
	s_wait_dscnt 0x0
	v_and_b32_e32 v63, 0xff, v62
	s_delay_alu instid0(VALU_DEP_1) | instskip(NEXT) | instid1(VALU_DEP_1)
	v_lshrrev_b32_e32 v63, s43, v63
	v_and_b32_e32 v63, s48, v63
	s_delay_alu instid0(VALU_DEP_1)
	v_lshlrev_b32_e32 v63, 2, v63
	ds_load_b32 v63, v63
	s_wait_dscnt 0x0
	v_add_nc_u32_e32 v63, v63, v74
	global_store_b8 v63, v62, s[40:41]
	s_wait_xcnt 0x0
	s_or_b32 exec_lo, exec_lo, s25
	v_cmp_lt_u32_e64 s25, v75, v134
	s_and_saveexec_b32 s26, s25
	s_cbranch_execz .LBB214_512
.LBB214_584:                            ;   in Loop: Header=BB214_418 Depth=2
	ds_load_u8 v62, v2 offset:2816
	s_wait_dscnt 0x0
	v_and_b32_e32 v63, 0xff, v62
	s_delay_alu instid0(VALU_DEP_1) | instskip(NEXT) | instid1(VALU_DEP_1)
	v_lshrrev_b32_e32 v63, s43, v63
	v_and_b32_e32 v63, s48, v63
	s_delay_alu instid0(VALU_DEP_1)
	v_lshlrev_b32_e32 v63, 2, v63
	ds_load_b32 v63, v63
	s_wait_dscnt 0x0
	v_add_nc_u32_e32 v63, v63, v75
	global_store_b8 v63, v62, s[40:41]
	s_wait_xcnt 0x0
	s_or_b32 exec_lo, exec_lo, s26
	v_cmp_lt_u32_e64 s26, v76, v134
	s_and_saveexec_b32 s27, s26
	s_cbranch_execz .LBB214_513
.LBB214_585:                            ;   in Loop: Header=BB214_418 Depth=2
	ds_load_u8 v62, v2 offset:3072
	s_wait_dscnt 0x0
	v_and_b32_e32 v63, 0xff, v62
	s_delay_alu instid0(VALU_DEP_1) | instskip(NEXT) | instid1(VALU_DEP_1)
	v_lshrrev_b32_e32 v63, s43, v63
	v_and_b32_e32 v63, s48, v63
	s_delay_alu instid0(VALU_DEP_1)
	v_lshlrev_b32_e32 v63, 2, v63
	ds_load_b32 v63, v63
	s_wait_dscnt 0x0
	v_add_nc_u32_e32 v63, v63, v76
	global_store_b8 v63, v62, s[40:41]
	s_wait_xcnt 0x0
	s_or_b32 exec_lo, exec_lo, s27
	v_cmp_lt_u32_e64 s27, v77, v134
	s_and_saveexec_b32 s28, s27
	s_cbranch_execz .LBB214_514
.LBB214_586:                            ;   in Loop: Header=BB214_418 Depth=2
	ds_load_u8 v62, v2 offset:3328
	s_wait_dscnt 0x0
	v_and_b32_e32 v63, 0xff, v62
	s_delay_alu instid0(VALU_DEP_1) | instskip(NEXT) | instid1(VALU_DEP_1)
	v_lshrrev_b32_e32 v63, s43, v63
	v_and_b32_e32 v63, s48, v63
	s_delay_alu instid0(VALU_DEP_1)
	v_lshlrev_b32_e32 v63, 2, v63
	ds_load_b32 v63, v63
	s_wait_dscnt 0x0
	v_add_nc_u32_e32 v63, v63, v77
	global_store_b8 v63, v62, s[40:41]
	s_wait_xcnt 0x0
	s_or_b32 exec_lo, exec_lo, s28
	v_cmp_lt_u32_e64 s28, v78, v134
	s_and_saveexec_b32 s29, s28
	s_cbranch_execz .LBB214_515
.LBB214_587:                            ;   in Loop: Header=BB214_418 Depth=2
	ds_load_u8 v62, v2 offset:3584
	s_wait_dscnt 0x0
	v_and_b32_e32 v63, 0xff, v62
	s_delay_alu instid0(VALU_DEP_1) | instskip(NEXT) | instid1(VALU_DEP_1)
	v_lshrrev_b32_e32 v63, s43, v63
	v_and_b32_e32 v63, s48, v63
	s_delay_alu instid0(VALU_DEP_1)
	v_lshlrev_b32_e32 v63, 2, v63
	ds_load_b32 v63, v63
	s_wait_dscnt 0x0
	v_add_nc_u32_e32 v63, v63, v78
	global_store_b8 v63, v62, s[40:41]
	s_wait_xcnt 0x0
	s_or_b32 exec_lo, exec_lo, s29
	v_cmp_lt_u32_e64 s29, v79, v134
	s_and_saveexec_b32 s30, s29
	s_cbranch_execz .LBB214_516
.LBB214_588:                            ;   in Loop: Header=BB214_418 Depth=2
	ds_load_u8 v62, v2 offset:3840
	s_wait_dscnt 0x0
	v_and_b32_e32 v63, 0xff, v62
	s_delay_alu instid0(VALU_DEP_1) | instskip(NEXT) | instid1(VALU_DEP_1)
	v_lshrrev_b32_e32 v63, s43, v63
	v_and_b32_e32 v63, s48, v63
	s_delay_alu instid0(VALU_DEP_1)
	v_lshlrev_b32_e32 v63, 2, v63
	ds_load_b32 v63, v63
	s_wait_dscnt 0x0
	v_add_nc_u32_e32 v63, v63, v79
	global_store_b8 v63, v62, s[40:41]
	s_wait_xcnt 0x0
	s_or_b32 exec_lo, exec_lo, s30
	v_cmp_lt_u32_e64 s30, v80, v134
	s_and_saveexec_b32 s31, s30
	s_cbranch_execz .LBB214_517
.LBB214_589:                            ;   in Loop: Header=BB214_418 Depth=2
	ds_load_u8 v62, v2 offset:4096
	s_wait_dscnt 0x0
	v_and_b32_e32 v63, 0xff, v62
	s_delay_alu instid0(VALU_DEP_1) | instskip(NEXT) | instid1(VALU_DEP_1)
	v_lshrrev_b32_e32 v63, s43, v63
	v_and_b32_e32 v63, s48, v63
	s_delay_alu instid0(VALU_DEP_1)
	v_lshlrev_b32_e32 v63, 2, v63
	ds_load_b32 v63, v63
	s_wait_dscnt 0x0
	v_add_nc_u32_e32 v63, v63, v80
	global_store_b8 v63, v62, s[40:41]
	s_wait_xcnt 0x0
	s_or_b32 exec_lo, exec_lo, s31
	v_cmp_lt_u32_e64 s31, v81, v134
	s_and_saveexec_b32 s33, s31
	s_cbranch_execz .LBB214_518
.LBB214_590:                            ;   in Loop: Header=BB214_418 Depth=2
	ds_load_u8 v62, v2 offset:4352
	s_wait_dscnt 0x0
	v_and_b32_e32 v63, 0xff, v62
	s_delay_alu instid0(VALU_DEP_1) | instskip(NEXT) | instid1(VALU_DEP_1)
	v_lshrrev_b32_e32 v63, s43, v63
	v_and_b32_e32 v63, s48, v63
	s_delay_alu instid0(VALU_DEP_1)
	v_lshlrev_b32_e32 v63, 2, v63
	ds_load_b32 v63, v63
	s_wait_dscnt 0x0
	v_add_nc_u32_e32 v63, v63, v81
	global_store_b8 v63, v62, s[40:41]
	s_wait_xcnt 0x0
	s_or_b32 exec_lo, exec_lo, s33
	v_cmp_lt_u32_e64 s33, v82, v134
	s_and_saveexec_b32 s60, s33
	s_cbranch_execnz .LBB214_519
	s_branch .LBB214_520
.LBB214_591:                            ;   in Loop: Header=BB214_418 Depth=2
	global_load_b64 v[60:61], v[62:63], off
	s_wait_xcnt 0x0
	s_or_b32 exec_lo, exec_lo, s34
	s_delay_alu instid0(SALU_CYCLE_1)
	s_mov_b32 s60, exec_lo
	v_cmpx_lt_u32_e64 v98, v134
	s_cbranch_execz .LBB214_522
.LBB214_592:                            ;   in Loop: Header=BB214_418 Depth=2
	global_load_b64 v[58:59], v[62:63], off offset:256
	s_wait_xcnt 0x0
	s_or_b32 exec_lo, exec_lo, s60
	s_delay_alu instid0(SALU_CYCLE_1)
	s_mov_b32 s60, exec_lo
	v_cmpx_lt_u32_e64 v99, v134
	s_cbranch_execz .LBB214_523
.LBB214_593:                            ;   in Loop: Header=BB214_418 Depth=2
	global_load_b64 v[56:57], v[62:63], off offset:512
	s_wait_xcnt 0x0
	s_or_b32 exec_lo, exec_lo, s60
	s_delay_alu instid0(SALU_CYCLE_1)
	s_mov_b32 s60, exec_lo
	v_cmpx_lt_u32_e64 v100, v134
	s_cbranch_execz .LBB214_524
.LBB214_594:                            ;   in Loop: Header=BB214_418 Depth=2
	global_load_b64 v[54:55], v[62:63], off offset:768
	s_wait_xcnt 0x0
	s_or_b32 exec_lo, exec_lo, s60
	s_delay_alu instid0(SALU_CYCLE_1)
	s_mov_b32 s60, exec_lo
	v_cmpx_lt_u32_e64 v101, v134
	s_cbranch_execz .LBB214_525
.LBB214_595:                            ;   in Loop: Header=BB214_418 Depth=2
	global_load_b64 v[52:53], v[62:63], off offset:1024
	s_wait_xcnt 0x0
	s_or_b32 exec_lo, exec_lo, s60
	s_delay_alu instid0(SALU_CYCLE_1)
	s_mov_b32 s60, exec_lo
	v_cmpx_lt_u32_e64 v102, v134
	s_cbranch_execz .LBB214_526
.LBB214_596:                            ;   in Loop: Header=BB214_418 Depth=2
	global_load_b64 v[50:51], v[62:63], off offset:1280
	s_wait_xcnt 0x0
	s_or_b32 exec_lo, exec_lo, s60
	s_delay_alu instid0(SALU_CYCLE_1)
	s_mov_b32 s60, exec_lo
	v_cmpx_lt_u32_e64 v103, v134
	s_cbranch_execz .LBB214_527
.LBB214_597:                            ;   in Loop: Header=BB214_418 Depth=2
	global_load_b64 v[48:49], v[62:63], off offset:1536
	s_wait_xcnt 0x0
	s_or_b32 exec_lo, exec_lo, s60
	s_delay_alu instid0(SALU_CYCLE_1)
	s_mov_b32 s60, exec_lo
	v_cmpx_lt_u32_e64 v104, v134
	s_cbranch_execz .LBB214_528
.LBB214_598:                            ;   in Loop: Header=BB214_418 Depth=2
	global_load_b64 v[46:47], v[62:63], off offset:1792
	s_wait_xcnt 0x0
	s_or_b32 exec_lo, exec_lo, s60
	s_delay_alu instid0(SALU_CYCLE_1)
	s_mov_b32 s60, exec_lo
	v_cmpx_lt_u32_e64 v105, v134
	s_cbranch_execz .LBB214_529
.LBB214_599:                            ;   in Loop: Header=BB214_418 Depth=2
	global_load_b64 v[44:45], v[62:63], off offset:2048
	s_wait_xcnt 0x0
	s_or_b32 exec_lo, exec_lo, s60
	s_delay_alu instid0(SALU_CYCLE_1)
	s_mov_b32 s60, exec_lo
	v_cmpx_lt_u32_e64 v106, v134
	s_cbranch_execz .LBB214_530
.LBB214_600:                            ;   in Loop: Header=BB214_418 Depth=2
	global_load_b64 v[42:43], v[62:63], off offset:2304
	s_wait_xcnt 0x0
	s_or_b32 exec_lo, exec_lo, s60
	s_delay_alu instid0(SALU_CYCLE_1)
	s_mov_b32 s60, exec_lo
	v_cmpx_lt_u32_e64 v107, v134
	s_cbranch_execz .LBB214_531
.LBB214_601:                            ;   in Loop: Header=BB214_418 Depth=2
	global_load_b64 v[40:41], v[62:63], off offset:2560
	s_wait_xcnt 0x0
	s_or_b32 exec_lo, exec_lo, s60
	s_delay_alu instid0(SALU_CYCLE_1)
	s_mov_b32 s60, exec_lo
	v_cmpx_lt_u32_e64 v108, v134
	s_cbranch_execz .LBB214_532
.LBB214_602:                            ;   in Loop: Header=BB214_418 Depth=2
	global_load_b64 v[38:39], v[62:63], off offset:2816
	s_wait_xcnt 0x0
	s_or_b32 exec_lo, exec_lo, s60
	s_delay_alu instid0(SALU_CYCLE_1)
	s_mov_b32 s60, exec_lo
	v_cmpx_lt_u32_e64 v109, v134
	s_cbranch_execz .LBB214_533
.LBB214_603:                            ;   in Loop: Header=BB214_418 Depth=2
	global_load_b64 v[36:37], v[62:63], off offset:3072
	s_wait_xcnt 0x0
	s_or_b32 exec_lo, exec_lo, s60
	s_delay_alu instid0(SALU_CYCLE_1)
	s_mov_b32 s60, exec_lo
	v_cmpx_lt_u32_e64 v110, v134
	s_cbranch_execz .LBB214_534
.LBB214_604:                            ;   in Loop: Header=BB214_418 Depth=2
	global_load_b64 v[34:35], v[62:63], off offset:3328
	s_wait_xcnt 0x0
	s_or_b32 exec_lo, exec_lo, s60
	s_delay_alu instid0(SALU_CYCLE_1)
	s_mov_b32 s60, exec_lo
	v_cmpx_lt_u32_e64 v111, v134
	s_cbranch_execz .LBB214_535
.LBB214_605:                            ;   in Loop: Header=BB214_418 Depth=2
	global_load_b64 v[32:33], v[62:63], off offset:3584
	s_wait_xcnt 0x0
	s_or_b32 exec_lo, exec_lo, s60
	s_delay_alu instid0(SALU_CYCLE_1)
	s_mov_b32 s60, exec_lo
	v_cmpx_lt_u32_e64 v112, v134
	s_cbranch_execz .LBB214_536
.LBB214_606:                            ;   in Loop: Header=BB214_418 Depth=2
	global_load_b64 v[30:31], v[62:63], off offset:3840
	s_wait_xcnt 0x0
	s_or_b32 exec_lo, exec_lo, s60
	s_delay_alu instid0(SALU_CYCLE_1)
	s_mov_b32 s60, exec_lo
	v_cmpx_lt_u32_e64 v113, v134
	s_cbranch_execz .LBB214_537
.LBB214_607:                            ;   in Loop: Header=BB214_418 Depth=2
	global_load_b64 v[28:29], v[62:63], off offset:4096
	s_wait_xcnt 0x0
	s_or_b32 exec_lo, exec_lo, s60
	s_and_saveexec_b32 s34, vcc_lo
	s_cbranch_execz .LBB214_538
.LBB214_608:                            ;   in Loop: Header=BB214_418 Depth=2
	ds_load_u8 v62, v2 offset:512
	s_wait_dscnt 0x0
	v_lshrrev_b32_e32 v62, s43, v62
	s_delay_alu instid0(VALU_DEP_1)
	v_and_b32_e32 v131, s48, v62
	s_or_b32 exec_lo, exec_lo, s34
	s_and_saveexec_b32 s34, s17
	s_cbranch_execz .LBB214_539
.LBB214_609:                            ;   in Loop: Header=BB214_418 Depth=2
	ds_load_u8 v62, v2 offset:768
	s_wait_dscnt 0x0
	v_lshrrev_b32_e32 v62, s43, v62
	s_delay_alu instid0(VALU_DEP_1)
	v_and_b32_e32 v130, s48, v62
	s_or_b32 exec_lo, exec_lo, s34
	s_and_saveexec_b32 s34, s18
	s_cbranch_execz .LBB214_540
.LBB214_610:                            ;   in Loop: Header=BB214_418 Depth=2
	ds_load_u8 v62, v2 offset:1024
	s_wait_dscnt 0x0
	v_lshrrev_b32_e32 v62, s43, v62
	s_delay_alu instid0(VALU_DEP_1)
	v_and_b32_e32 v129, s48, v62
	s_or_b32 exec_lo, exec_lo, s34
	s_and_saveexec_b32 s34, s19
	s_cbranch_execz .LBB214_541
.LBB214_611:                            ;   in Loop: Header=BB214_418 Depth=2
	ds_load_u8 v62, v2 offset:1280
	s_wait_dscnt 0x0
	v_lshrrev_b32_e32 v62, s43, v62
	s_delay_alu instid0(VALU_DEP_1)
	v_and_b32_e32 v128, s48, v62
	s_or_b32 exec_lo, exec_lo, s34
	s_and_saveexec_b32 s34, s20
	s_cbranch_execz .LBB214_542
.LBB214_612:                            ;   in Loop: Header=BB214_418 Depth=2
	ds_load_u8 v62, v2 offset:1536
	s_wait_dscnt 0x0
	v_lshrrev_b32_e32 v62, s43, v62
	s_delay_alu instid0(VALU_DEP_1)
	v_and_b32_e32 v127, s48, v62
	s_or_b32 exec_lo, exec_lo, s34
	s_and_saveexec_b32 s34, s21
	s_cbranch_execz .LBB214_543
.LBB214_613:                            ;   in Loop: Header=BB214_418 Depth=2
	ds_load_u8 v62, v2 offset:1792
	s_wait_dscnt 0x0
	v_lshrrev_b32_e32 v62, s43, v62
	s_delay_alu instid0(VALU_DEP_1)
	v_and_b32_e32 v126, s48, v62
	s_or_b32 exec_lo, exec_lo, s34
	s_and_saveexec_b32 s34, s22
	s_cbranch_execz .LBB214_544
.LBB214_614:                            ;   in Loop: Header=BB214_418 Depth=2
	ds_load_u8 v62, v2 offset:2048
	s_wait_dscnt 0x0
	v_lshrrev_b32_e32 v62, s43, v62
	s_delay_alu instid0(VALU_DEP_1)
	v_and_b32_e32 v125, s48, v62
	s_or_b32 exec_lo, exec_lo, s34
	s_and_saveexec_b32 s34, s23
	s_cbranch_execz .LBB214_545
.LBB214_615:                            ;   in Loop: Header=BB214_418 Depth=2
	ds_load_u8 v62, v2 offset:2304
	s_wait_dscnt 0x0
	v_lshrrev_b32_e32 v62, s43, v62
	s_delay_alu instid0(VALU_DEP_1)
	v_and_b32_e32 v124, s48, v62
	s_or_b32 exec_lo, exec_lo, s34
	s_and_saveexec_b32 s34, s24
	s_cbranch_execz .LBB214_546
.LBB214_616:                            ;   in Loop: Header=BB214_418 Depth=2
	ds_load_u8 v62, v2 offset:2560
	s_wait_dscnt 0x0
	v_lshrrev_b32_e32 v62, s43, v62
	s_delay_alu instid0(VALU_DEP_1)
	v_and_b32_e32 v123, s48, v62
	s_or_b32 exec_lo, exec_lo, s34
	s_and_saveexec_b32 s34, s25
	s_cbranch_execz .LBB214_547
.LBB214_617:                            ;   in Loop: Header=BB214_418 Depth=2
	ds_load_u8 v62, v2 offset:2816
	s_wait_dscnt 0x0
	v_lshrrev_b32_e32 v62, s43, v62
	s_delay_alu instid0(VALU_DEP_1)
	v_and_b32_e32 v122, s48, v62
	s_or_b32 exec_lo, exec_lo, s34
	s_and_saveexec_b32 s34, s26
	s_cbranch_execz .LBB214_548
.LBB214_618:                            ;   in Loop: Header=BB214_418 Depth=2
	ds_load_u8 v62, v2 offset:3072
	s_wait_dscnt 0x0
	v_lshrrev_b32_e32 v62, s43, v62
	s_delay_alu instid0(VALU_DEP_1)
	v_and_b32_e32 v121, s48, v62
	s_or_b32 exec_lo, exec_lo, s34
	s_and_saveexec_b32 s34, s27
	s_cbranch_execz .LBB214_549
.LBB214_619:                            ;   in Loop: Header=BB214_418 Depth=2
	ds_load_u8 v62, v2 offset:3328
	s_wait_dscnt 0x0
	v_lshrrev_b32_e32 v62, s43, v62
	s_delay_alu instid0(VALU_DEP_1)
	v_and_b32_e32 v120, s48, v62
	s_or_b32 exec_lo, exec_lo, s34
	s_and_saveexec_b32 s34, s28
	s_cbranch_execz .LBB214_550
.LBB214_620:                            ;   in Loop: Header=BB214_418 Depth=2
	ds_load_u8 v62, v2 offset:3584
	s_wait_dscnt 0x0
	v_lshrrev_b32_e32 v62, s43, v62
	s_delay_alu instid0(VALU_DEP_1)
	v_and_b32_e32 v119, s48, v62
	s_or_b32 exec_lo, exec_lo, s34
	s_and_saveexec_b32 s34, s29
	s_cbranch_execz .LBB214_551
.LBB214_621:                            ;   in Loop: Header=BB214_418 Depth=2
	ds_load_u8 v62, v2 offset:3840
	s_wait_dscnt 0x0
	v_lshrrev_b32_e32 v62, s43, v62
	s_delay_alu instid0(VALU_DEP_1)
	v_and_b32_e32 v118, s48, v62
	s_or_b32 exec_lo, exec_lo, s34
	s_and_saveexec_b32 s34, s30
	s_cbranch_execz .LBB214_552
.LBB214_622:                            ;   in Loop: Header=BB214_418 Depth=2
	ds_load_u8 v62, v2 offset:4096
	s_wait_dscnt 0x0
	v_lshrrev_b32_e32 v62, s43, v62
	s_delay_alu instid0(VALU_DEP_1)
	v_and_b32_e32 v117, s48, v62
	s_or_b32 exec_lo, exec_lo, s34
	s_and_saveexec_b32 s34, s31
	s_cbranch_execz .LBB214_553
.LBB214_623:                            ;   in Loop: Header=BB214_418 Depth=2
	ds_load_u8 v62, v2 offset:4352
	s_wait_dscnt 0x0
	v_lshrrev_b32_e32 v62, s43, v62
	s_delay_alu instid0(VALU_DEP_1)
	v_and_b32_e32 v116, s48, v62
	s_or_b32 exec_lo, exec_lo, s34
	s_and_saveexec_b32 s34, s33
	s_cbranch_execnz .LBB214_554
	s_branch .LBB214_555
.LBB214_624:                            ;   in Loop: Header=BB214_418 Depth=2
	v_lshlrev_b32_e32 v62, 2, v131
	v_add_nc_u32_e32 v63, v2, v95
	ds_load_b32 v64, v62
	ds_load_b64 v[62:63], v63 offset:512
	s_wait_dscnt 0x1
	v_add_nc_u32_e32 v64, v64, v2
	s_wait_dscnt 0x0
	global_store_b64 v64, v[62:63], s[46:47] scale_offset
	s_wait_xcnt 0x0
	s_or_b32 exec_lo, exec_lo, s34
	s_and_saveexec_b32 s34, s17
	s_cbranch_execz .LBB214_557
.LBB214_625:                            ;   in Loop: Header=BB214_418 Depth=2
	v_dual_lshlrev_b32 v62, 2, v130 :: v_dual_add_nc_u32 v63, v2, v95
	ds_load_b32 v64, v62
	ds_load_b64 v[62:63], v63 offset:2560
	s_wait_dscnt 0x1
	v_add_nc_u32_e32 v64, v64, v67
	s_wait_dscnt 0x0
	global_store_b64 v64, v[62:63], s[46:47] scale_offset
	s_wait_xcnt 0x0
	s_or_b32 exec_lo, exec_lo, s34
	s_and_saveexec_b32 s17, s18
	s_cbranch_execz .LBB214_558
.LBB214_626:                            ;   in Loop: Header=BB214_418 Depth=2
	v_dual_lshlrev_b32 v62, 2, v129 :: v_dual_add_nc_u32 v63, v2, v95
	ds_load_b32 v64, v62
	ds_load_b64 v[62:63], v63 offset:4608
	s_wait_dscnt 0x1
	v_add_nc_u32_e32 v64, v64, v68
	s_wait_dscnt 0x0
	global_store_b64 v64, v[62:63], s[46:47] scale_offset
	s_wait_xcnt 0x0
	s_or_b32 exec_lo, exec_lo, s17
	s_and_saveexec_b32 s17, s19
	s_cbranch_execz .LBB214_559
.LBB214_627:                            ;   in Loop: Header=BB214_418 Depth=2
	v_dual_lshlrev_b32 v62, 2, v128 :: v_dual_add_nc_u32 v63, v2, v95
	ds_load_b32 v64, v62
	ds_load_b64 v[62:63], v63 offset:6656
	s_wait_dscnt 0x1
	v_add_nc_u32_e32 v64, v64, v69
	s_wait_dscnt 0x0
	global_store_b64 v64, v[62:63], s[46:47] scale_offset
	s_wait_xcnt 0x0
	s_or_b32 exec_lo, exec_lo, s17
	s_and_saveexec_b32 s17, s20
	s_cbranch_execz .LBB214_560
.LBB214_628:                            ;   in Loop: Header=BB214_418 Depth=2
	v_lshlrev_b32_e32 v62, 2, v127
	v_add_nc_u32_e32 v63, v2, v95
	ds_load_b32 v64, v62
	ds_load_b64 v[62:63], v63 offset:8704
	s_wait_dscnt 0x1
	v_add_nc_u32_e32 v64, v64, v70
	s_wait_dscnt 0x0
	global_store_b64 v64, v[62:63], s[46:47] scale_offset
	s_wait_xcnt 0x0
	s_or_b32 exec_lo, exec_lo, s17
	s_and_saveexec_b32 s17, s21
	s_cbranch_execz .LBB214_561
.LBB214_629:                            ;   in Loop: Header=BB214_418 Depth=2
	v_dual_lshlrev_b32 v62, 2, v126 :: v_dual_add_nc_u32 v63, v2, v95
	ds_load_b32 v64, v62
	ds_load_b64 v[62:63], v63 offset:10752
	s_wait_dscnt 0x1
	v_add_nc_u32_e32 v64, v64, v71
	s_wait_dscnt 0x0
	global_store_b64 v64, v[62:63], s[46:47] scale_offset
	s_wait_xcnt 0x0
	s_or_b32 exec_lo, exec_lo, s17
	s_and_saveexec_b32 s17, s22
	s_cbranch_execz .LBB214_562
.LBB214_630:                            ;   in Loop: Header=BB214_418 Depth=2
	v_dual_lshlrev_b32 v62, 2, v125 :: v_dual_add_nc_u32 v63, v2, v95
	ds_load_b32 v64, v62
	ds_load_b64 v[62:63], v63 offset:12800
	s_wait_dscnt 0x1
	v_add_nc_u32_e32 v64, v64, v72
	s_wait_dscnt 0x0
	global_store_b64 v64, v[62:63], s[46:47] scale_offset
	s_wait_xcnt 0x0
	s_or_b32 exec_lo, exec_lo, s17
	s_and_saveexec_b32 s17, s23
	s_cbranch_execz .LBB214_563
.LBB214_631:                            ;   in Loop: Header=BB214_418 Depth=2
	v_dual_lshlrev_b32 v62, 2, v124 :: v_dual_add_nc_u32 v63, v2, v95
	ds_load_b32 v64, v62
	ds_load_b64 v[62:63], v63 offset:14848
	s_wait_dscnt 0x1
	v_add_nc_u32_e32 v64, v64, v73
	s_wait_dscnt 0x0
	global_store_b64 v64, v[62:63], s[46:47] scale_offset
	s_wait_xcnt 0x0
	s_or_b32 exec_lo, exec_lo, s17
	s_and_saveexec_b32 s17, s24
	s_cbranch_execz .LBB214_564
.LBB214_632:                            ;   in Loop: Header=BB214_418 Depth=2
	v_lshlrev_b32_e32 v62, 2, v123
	v_add_nc_u32_e32 v63, v2, v95
	ds_load_b32 v64, v62
	ds_load_b64 v[62:63], v63 offset:16896
	s_wait_dscnt 0x1
	v_add_nc_u32_e32 v64, v64, v74
	s_wait_dscnt 0x0
	global_store_b64 v64, v[62:63], s[46:47] scale_offset
	s_wait_xcnt 0x0
	s_or_b32 exec_lo, exec_lo, s17
	s_and_saveexec_b32 s17, s25
	s_cbranch_execz .LBB214_565
.LBB214_633:                            ;   in Loop: Header=BB214_418 Depth=2
	v_dual_lshlrev_b32 v62, 2, v122 :: v_dual_add_nc_u32 v63, v2, v95
	ds_load_b32 v64, v62
	ds_load_b64 v[62:63], v63 offset:18944
	s_wait_dscnt 0x1
	v_add_nc_u32_e32 v64, v64, v75
	s_wait_dscnt 0x0
	global_store_b64 v64, v[62:63], s[46:47] scale_offset
	s_wait_xcnt 0x0
	s_or_b32 exec_lo, exec_lo, s17
	s_and_saveexec_b32 s17, s26
	s_cbranch_execz .LBB214_566
.LBB214_634:                            ;   in Loop: Header=BB214_418 Depth=2
	v_dual_lshlrev_b32 v62, 2, v121 :: v_dual_add_nc_u32 v63, v2, v95
	ds_load_b32 v64, v62
	ds_load_b64 v[62:63], v63 offset:20992
	s_wait_dscnt 0x1
	v_add_nc_u32_e32 v64, v64, v76
	s_wait_dscnt 0x0
	global_store_b64 v64, v[62:63], s[46:47] scale_offset
	s_wait_xcnt 0x0
	s_or_b32 exec_lo, exec_lo, s17
	s_and_saveexec_b32 s17, s27
	s_cbranch_execz .LBB214_567
.LBB214_635:                            ;   in Loop: Header=BB214_418 Depth=2
	v_dual_lshlrev_b32 v62, 2, v120 :: v_dual_add_nc_u32 v63, v2, v95
	ds_load_b32 v64, v62
	ds_load_b64 v[62:63], v63 offset:23040
	s_wait_dscnt 0x1
	v_add_nc_u32_e32 v64, v64, v77
	s_wait_dscnt 0x0
	global_store_b64 v64, v[62:63], s[46:47] scale_offset
	s_wait_xcnt 0x0
	s_or_b32 exec_lo, exec_lo, s17
	s_and_saveexec_b32 s17, s28
	s_cbranch_execz .LBB214_568
.LBB214_636:                            ;   in Loop: Header=BB214_418 Depth=2
	v_lshlrev_b32_e32 v62, 2, v119
	v_add_nc_u32_e32 v63, v2, v95
	ds_load_b32 v64, v62
	ds_load_b64 v[62:63], v63 offset:25088
	s_wait_dscnt 0x1
	v_add_nc_u32_e32 v64, v64, v78
	s_wait_dscnt 0x0
	global_store_b64 v64, v[62:63], s[46:47] scale_offset
	s_wait_xcnt 0x0
	s_or_b32 exec_lo, exec_lo, s17
	s_and_saveexec_b32 s17, s29
	s_cbranch_execz .LBB214_569
.LBB214_637:                            ;   in Loop: Header=BB214_418 Depth=2
	v_dual_lshlrev_b32 v62, 2, v118 :: v_dual_add_nc_u32 v63, v2, v95
	ds_load_b32 v64, v62
	ds_load_b64 v[62:63], v63 offset:27136
	s_wait_dscnt 0x1
	v_add_nc_u32_e32 v64, v64, v79
	s_wait_dscnt 0x0
	global_store_b64 v64, v[62:63], s[46:47] scale_offset
	s_wait_xcnt 0x0
	s_or_b32 exec_lo, exec_lo, s17
	s_and_saveexec_b32 s17, s30
	s_cbranch_execz .LBB214_570
.LBB214_638:                            ;   in Loop: Header=BB214_418 Depth=2
	v_dual_lshlrev_b32 v62, 2, v117 :: v_dual_add_nc_u32 v63, v2, v95
	ds_load_b32 v64, v62
	ds_load_b64 v[62:63], v63 offset:29184
	s_wait_dscnt 0x1
	v_add_nc_u32_e32 v64, v64, v80
	s_wait_dscnt 0x0
	global_store_b64 v64, v[62:63], s[46:47] scale_offset
	s_wait_xcnt 0x0
	s_or_b32 exec_lo, exec_lo, s17
	s_and_saveexec_b32 s17, s31
	s_cbranch_execz .LBB214_571
.LBB214_639:                            ;   in Loop: Header=BB214_418 Depth=2
	v_dual_lshlrev_b32 v62, 2, v116 :: v_dual_add_nc_u32 v63, v2, v95
	ds_load_b32 v64, v62
	ds_load_b64 v[62:63], v63 offset:31232
	s_wait_dscnt 0x1
	v_add_nc_u32_e32 v64, v64, v81
	s_wait_dscnt 0x0
	global_store_b64 v64, v[62:63], s[46:47] scale_offset
	s_wait_xcnt 0x0
	s_or_b32 exec_lo, exec_lo, s17
	s_and_saveexec_b32 s17, s33
	s_cbranch_execnz .LBB214_572
	s_branch .LBB214_573
.LBB214_640:                            ;   in Loop: Header=BB214_20 Depth=1
	s_wait_dscnt 0x0
	s_barrier_signal -1
	s_barrier_wait -1
.LBB214_641:                            ;   in Loop: Header=BB214_20 Depth=1
	s_mov_b32 s8, 0
.LBB214_642:                            ;   in Loop: Header=BB214_20 Depth=1
	s_delay_alu instid0(SALU_CYCLE_1)
	s_and_not1_b32 vcc_lo, exec_lo, s8
	s_cbranch_vccnz .LBB214_19
; %bb.643:                              ;   in Loop: Header=BB214_20 Depth=1
	s_and_b32 vcc_lo, exec_lo, s56
	s_mov_b32 s8, -1
	s_cbranch_vccz .LBB214_953
; %bb.644:                              ;   in Loop: Header=BB214_20 Depth=1
	v_dual_mov_b32 v39, 0 :: v_dual_mov_b32 v42, 0
	v_dual_mov_b32 v41, 0 :: v_dual_mov_b32 v40, 0
	;; [unrolled: 1-line block ×8, first 2 shown]
	v_mov_b32_e32 v26, 0
	s_mov_b32 s8, s57
	s_mov_b32 s34, s55
	s_barrier_signal -1
	s_barrier_wait -1
	s_branch .LBB214_646
.LBB214_645:                            ;   in Loop: Header=BB214_646 Depth=2
	s_or_b32 exec_lo, exec_lo, s10
	s_addk_co_i32 s8, 0xef00
	s_cmp_ge_u32 s9, s54
	s_mov_b32 s34, s9
	s_cbranch_scc1 .LBB214_718
.LBB214_646:                            ;   Parent Loop BB214_20 Depth=1
                                        ; =>  This Inner Loop Header: Depth=2
	s_add_co_i32 s9, s34, 0x1100
	s_mov_b32 s10, -1
	s_cmp_gt_u32 s9, s54
                                        ; implicit-def: $vgpr24
                                        ; implicit-def: $vgpr25
                                        ; implicit-def: $vgpr43
                                        ; implicit-def: $vgpr44
                                        ; implicit-def: $vgpr45
                                        ; implicit-def: $vgpr46
                                        ; implicit-def: $vgpr47
                                        ; implicit-def: $vgpr48
                                        ; implicit-def: $vgpr49
                                        ; implicit-def: $vgpr50
                                        ; implicit-def: $vgpr51
                                        ; implicit-def: $vgpr52
                                        ; implicit-def: $vgpr53
                                        ; implicit-def: $vgpr54
                                        ; implicit-def: $vgpr55
                                        ; implicit-def: $vgpr56
                                        ; implicit-def: $vgpr57
	s_cbranch_scc1 .LBB214_648
; %bb.647:                              ;   in Loop: Header=BB214_646 Depth=2
	v_add_nc_u64_e32 v[58:59], s[34:35], v[18:19]
	s_mov_b32 s10, 0
	s_clause 0x10
	global_load_u8 v57, v[58:59], off offset:4096
	global_load_u8 v56, v[58:59], off offset:3840
	;; [unrolled: 1-line block ×16, first 2 shown]
	global_load_u8 v24, v[58:59], off
.LBB214_648:                            ;   in Loop: Header=BB214_646 Depth=2
	s_and_not1_b32 vcc_lo, exec_lo, s10
	s_movk_i32 s10, 0x1100
	s_cbranch_vccnz .LBB214_668
; %bb.649:                              ;   in Loop: Header=BB214_646 Depth=2
	s_add_nc_u64 s[10:11], s[36:37], s[34:35]
	s_wait_loadcnt 0x0
	v_add_nc_u64_e32 v[24:25], s[10:11], v[2:3]
	s_mov_b32 s10, exec_lo
	s_wait_xcnt 0x0
	v_cmpx_gt_u32_e64 s8, v2
	s_cbranch_execnz .LBB214_702
; %bb.650:                              ;   in Loop: Header=BB214_646 Depth=2
	s_or_b32 exec_lo, exec_lo, s10
	s_delay_alu instid0(SALU_CYCLE_1)
	s_mov_b32 s10, exec_lo
	v_cmpx_gt_u32_e64 s8, v67
	s_cbranch_execnz .LBB214_703
.LBB214_651:                            ;   in Loop: Header=BB214_646 Depth=2
	s_or_b32 exec_lo, exec_lo, s10
	s_delay_alu instid0(SALU_CYCLE_1)
	s_mov_b32 s10, exec_lo
	v_cmpx_gt_u32_e64 s8, v68
	s_cbranch_execnz .LBB214_704
.LBB214_652:                            ;   in Loop: Header=BB214_646 Depth=2
	s_or_b32 exec_lo, exec_lo, s10
	s_delay_alu instid0(SALU_CYCLE_1)
	s_mov_b32 s10, exec_lo
	v_cmpx_gt_u32_e64 s8, v69
	s_cbranch_execnz .LBB214_705
.LBB214_653:                            ;   in Loop: Header=BB214_646 Depth=2
	s_or_b32 exec_lo, exec_lo, s10
	s_delay_alu instid0(SALU_CYCLE_1)
	s_mov_b32 s10, exec_lo
	v_cmpx_gt_u32_e64 s8, v70
	s_cbranch_execnz .LBB214_706
.LBB214_654:                            ;   in Loop: Header=BB214_646 Depth=2
	s_or_b32 exec_lo, exec_lo, s10
	s_delay_alu instid0(SALU_CYCLE_1)
	s_mov_b32 s10, exec_lo
	v_cmpx_gt_u32_e64 s8, v71
	s_cbranch_execnz .LBB214_707
.LBB214_655:                            ;   in Loop: Header=BB214_646 Depth=2
	s_or_b32 exec_lo, exec_lo, s10
	s_delay_alu instid0(SALU_CYCLE_1)
	s_mov_b32 s10, exec_lo
	v_cmpx_gt_u32_e64 s8, v72
	s_cbranch_execnz .LBB214_708
.LBB214_656:                            ;   in Loop: Header=BB214_646 Depth=2
	s_or_b32 exec_lo, exec_lo, s10
	s_delay_alu instid0(SALU_CYCLE_1)
	s_mov_b32 s10, exec_lo
	v_cmpx_gt_u32_e64 s8, v73
	s_cbranch_execnz .LBB214_709
.LBB214_657:                            ;   in Loop: Header=BB214_646 Depth=2
	s_or_b32 exec_lo, exec_lo, s10
	s_delay_alu instid0(SALU_CYCLE_1)
	s_mov_b32 s10, exec_lo
	v_cmpx_gt_u32_e64 s8, v74
	s_cbranch_execnz .LBB214_710
.LBB214_658:                            ;   in Loop: Header=BB214_646 Depth=2
	s_or_b32 exec_lo, exec_lo, s10
	s_delay_alu instid0(SALU_CYCLE_1)
	s_mov_b32 s10, exec_lo
	v_cmpx_gt_u32_e64 s8, v75
	s_cbranch_execnz .LBB214_711
.LBB214_659:                            ;   in Loop: Header=BB214_646 Depth=2
	s_or_b32 exec_lo, exec_lo, s10
	s_delay_alu instid0(SALU_CYCLE_1)
	s_mov_b32 s10, exec_lo
	v_cmpx_gt_u32_e64 s8, v76
	s_cbranch_execnz .LBB214_712
.LBB214_660:                            ;   in Loop: Header=BB214_646 Depth=2
	s_or_b32 exec_lo, exec_lo, s10
	s_delay_alu instid0(SALU_CYCLE_1)
	s_mov_b32 s10, exec_lo
	v_cmpx_gt_u32_e64 s8, v77
	s_cbranch_execnz .LBB214_713
.LBB214_661:                            ;   in Loop: Header=BB214_646 Depth=2
	s_or_b32 exec_lo, exec_lo, s10
	s_delay_alu instid0(SALU_CYCLE_1)
	s_mov_b32 s10, exec_lo
	v_cmpx_gt_u32_e64 s8, v78
	s_cbranch_execnz .LBB214_714
.LBB214_662:                            ;   in Loop: Header=BB214_646 Depth=2
	s_or_b32 exec_lo, exec_lo, s10
	s_delay_alu instid0(SALU_CYCLE_1)
	s_mov_b32 s10, exec_lo
	v_cmpx_gt_u32_e64 s8, v79
	s_cbranch_execnz .LBB214_715
.LBB214_663:                            ;   in Loop: Header=BB214_646 Depth=2
	s_or_b32 exec_lo, exec_lo, s10
	s_delay_alu instid0(SALU_CYCLE_1)
	s_mov_b32 s10, exec_lo
	v_cmpx_gt_u32_e64 s8, v80
	s_cbranch_execnz .LBB214_716
.LBB214_664:                            ;   in Loop: Header=BB214_646 Depth=2
	s_or_b32 exec_lo, exec_lo, s10
	s_delay_alu instid0(SALU_CYCLE_1)
	s_mov_b32 s10, exec_lo
	v_cmpx_gt_u32_e64 s8, v81
	s_cbranch_execnz .LBB214_717
.LBB214_665:                            ;   in Loop: Header=BB214_646 Depth=2
	s_or_b32 exec_lo, exec_lo, s10
	s_delay_alu instid0(SALU_CYCLE_1)
	s_mov_b32 s10, exec_lo
	v_cmpx_gt_u32_e64 s8, v82
	s_cbranch_execz .LBB214_667
.LBB214_666:                            ;   in Loop: Header=BB214_646 Depth=2
	global_load_u8 v26, v[24:25], off offset:4096
.LBB214_667:                            ;   in Loop: Header=BB214_646 Depth=2
	s_wait_xcnt 0x0
	s_or_b32 exec_lo, exec_lo, s10
	s_wait_loadcnt 0x0
	v_dual_mov_b32 v24, v39 :: v_dual_mov_b32 v25, v42
	v_dual_mov_b32 v43, v41 :: v_dual_mov_b32 v44, v40
	v_dual_mov_b32 v45, v38 :: v_dual_mov_b32 v46, v37
	v_dual_mov_b32 v47, v36 :: v_dual_mov_b32 v48, v35
	v_dual_mov_b32 v49, v34 :: v_dual_mov_b32 v50, v33
	v_dual_mov_b32 v51, v32 :: v_dual_mov_b32 v52, v31
	v_dual_mov_b32 v53, v30 :: v_dual_mov_b32 v54, v29
	v_dual_mov_b32 v55, v28 :: v_dual_mov_b32 v56, v27
	v_mov_b32_e32 v57, v26
	s_mov_b32 s10, s8
.LBB214_668:                            ;   in Loop: Header=BB214_646 Depth=2
	s_wait_loadcnt 0xf
	s_delay_alu instid0(VALU_DEP_1)
	v_dual_mov_b32 v26, v57 :: v_dual_mov_b32 v27, v56
	s_wait_loadcnt 0xd
	v_dual_mov_b32 v28, v55 :: v_dual_mov_b32 v29, v54
	s_wait_loadcnt 0xb
	;; [unrolled: 2-line block ×8, first 2 shown]
	v_mov_b32_e32 v39, v24
	s_mov_b32 s11, exec_lo
	s_wait_xcnt 0x0
	v_cmpx_gt_u32_e64 s10, v2
	s_cbranch_execnz .LBB214_685
; %bb.669:                              ;   in Loop: Header=BB214_646 Depth=2
	s_or_b32 exec_lo, exec_lo, s11
	s_delay_alu instid0(SALU_CYCLE_1)
	s_mov_b32 s11, exec_lo
	v_cmpx_gt_u32_e64 s10, v67
	s_cbranch_execnz .LBB214_686
.LBB214_670:                            ;   in Loop: Header=BB214_646 Depth=2
	s_or_b32 exec_lo, exec_lo, s11
	s_delay_alu instid0(SALU_CYCLE_1)
	s_mov_b32 s11, exec_lo
	v_cmpx_gt_u32_e64 s10, v68
	s_cbranch_execnz .LBB214_687
.LBB214_671:                            ;   in Loop: Header=BB214_646 Depth=2
	s_or_b32 exec_lo, exec_lo, s11
	s_delay_alu instid0(SALU_CYCLE_1)
	s_mov_b32 s11, exec_lo
	v_cmpx_gt_u32_e64 s10, v69
	s_cbranch_execnz .LBB214_688
.LBB214_672:                            ;   in Loop: Header=BB214_646 Depth=2
	s_or_b32 exec_lo, exec_lo, s11
	s_delay_alu instid0(SALU_CYCLE_1)
	s_mov_b32 s11, exec_lo
	v_cmpx_gt_u32_e64 s10, v70
	s_cbranch_execnz .LBB214_689
.LBB214_673:                            ;   in Loop: Header=BB214_646 Depth=2
	s_or_b32 exec_lo, exec_lo, s11
	s_delay_alu instid0(SALU_CYCLE_1)
	s_mov_b32 s11, exec_lo
	v_cmpx_gt_u32_e64 s10, v71
	s_cbranch_execnz .LBB214_690
.LBB214_674:                            ;   in Loop: Header=BB214_646 Depth=2
	s_or_b32 exec_lo, exec_lo, s11
	s_delay_alu instid0(SALU_CYCLE_1)
	s_mov_b32 s11, exec_lo
	v_cmpx_gt_u32_e64 s10, v72
	s_cbranch_execnz .LBB214_691
.LBB214_675:                            ;   in Loop: Header=BB214_646 Depth=2
	s_or_b32 exec_lo, exec_lo, s11
	s_delay_alu instid0(SALU_CYCLE_1)
	s_mov_b32 s11, exec_lo
	v_cmpx_gt_u32_e64 s10, v73
	s_cbranch_execnz .LBB214_692
.LBB214_676:                            ;   in Loop: Header=BB214_646 Depth=2
	s_or_b32 exec_lo, exec_lo, s11
	s_delay_alu instid0(SALU_CYCLE_1)
	s_mov_b32 s11, exec_lo
	v_cmpx_gt_u32_e64 s10, v74
	s_cbranch_execnz .LBB214_693
.LBB214_677:                            ;   in Loop: Header=BB214_646 Depth=2
	s_or_b32 exec_lo, exec_lo, s11
	s_delay_alu instid0(SALU_CYCLE_1)
	s_mov_b32 s11, exec_lo
	v_cmpx_gt_u32_e64 s10, v75
	s_cbranch_execnz .LBB214_694
.LBB214_678:                            ;   in Loop: Header=BB214_646 Depth=2
	s_or_b32 exec_lo, exec_lo, s11
	s_delay_alu instid0(SALU_CYCLE_1)
	s_mov_b32 s11, exec_lo
	v_cmpx_gt_u32_e64 s10, v76
	s_cbranch_execnz .LBB214_695
.LBB214_679:                            ;   in Loop: Header=BB214_646 Depth=2
	s_or_b32 exec_lo, exec_lo, s11
	s_delay_alu instid0(SALU_CYCLE_1)
	s_mov_b32 s11, exec_lo
	v_cmpx_gt_u32_e64 s10, v77
	s_cbranch_execnz .LBB214_696
.LBB214_680:                            ;   in Loop: Header=BB214_646 Depth=2
	s_or_b32 exec_lo, exec_lo, s11
	s_delay_alu instid0(SALU_CYCLE_1)
	s_mov_b32 s11, exec_lo
	v_cmpx_gt_u32_e64 s10, v78
	s_cbranch_execnz .LBB214_697
.LBB214_681:                            ;   in Loop: Header=BB214_646 Depth=2
	s_or_b32 exec_lo, exec_lo, s11
	s_delay_alu instid0(SALU_CYCLE_1)
	s_mov_b32 s11, exec_lo
	v_cmpx_gt_u32_e64 s10, v79
	s_cbranch_execnz .LBB214_698
.LBB214_682:                            ;   in Loop: Header=BB214_646 Depth=2
	s_or_b32 exec_lo, exec_lo, s11
	s_delay_alu instid0(SALU_CYCLE_1)
	s_mov_b32 s11, exec_lo
	v_cmpx_gt_u32_e64 s10, v80
	s_cbranch_execnz .LBB214_699
.LBB214_683:                            ;   in Loop: Header=BB214_646 Depth=2
	s_or_b32 exec_lo, exec_lo, s11
	s_delay_alu instid0(SALU_CYCLE_1)
	s_mov_b32 s11, exec_lo
	v_cmpx_gt_u32_e64 s10, v81
	s_cbranch_execnz .LBB214_700
.LBB214_684:                            ;   in Loop: Header=BB214_646 Depth=2
	s_or_b32 exec_lo, exec_lo, s11
	v_cmp_gt_u32_e32 vcc_lo, s10, v82
	s_and_saveexec_b32 s10, vcc_lo
	s_cbranch_execz .LBB214_645
	s_branch .LBB214_701
.LBB214_685:                            ;   in Loop: Header=BB214_646 Depth=2
	v_and_b32_e32 v24, 0xff, v39
	s_delay_alu instid0(VALU_DEP_1) | instskip(NEXT) | instid1(VALU_DEP_1)
	v_lshrrev_b32_e32 v24, s49, v24
	v_and_b32_e32 v24, s48, v24
	s_delay_alu instid0(VALU_DEP_1) | instskip(SKIP_2) | instid1(SALU_CYCLE_1)
	v_lshl_or_b32 v24, v24, 4, v84
	ds_add_u32 v24, v7
	s_or_b32 exec_lo, exec_lo, s11
	s_mov_b32 s11, exec_lo
	v_cmpx_gt_u32_e64 s10, v67
	s_cbranch_execz .LBB214_670
.LBB214_686:                            ;   in Loop: Header=BB214_646 Depth=2
	v_and_b32_e32 v24, 0xff, v42
	s_delay_alu instid0(VALU_DEP_1) | instskip(NEXT) | instid1(VALU_DEP_1)
	v_lshrrev_b32_e32 v24, s49, v24
	v_and_b32_e32 v24, s48, v24
	s_delay_alu instid0(VALU_DEP_1) | instskip(SKIP_2) | instid1(SALU_CYCLE_1)
	v_lshl_or_b32 v24, v24, 4, v84
	ds_add_u32 v24, v7
	s_or_b32 exec_lo, exec_lo, s11
	s_mov_b32 s11, exec_lo
	v_cmpx_gt_u32_e64 s10, v68
	s_cbranch_execz .LBB214_671
.LBB214_687:                            ;   in Loop: Header=BB214_646 Depth=2
	v_and_b32_e32 v24, 0xff, v41
	s_delay_alu instid0(VALU_DEP_1) | instskip(NEXT) | instid1(VALU_DEP_1)
	v_lshrrev_b32_e32 v24, s49, v24
	v_and_b32_e32 v24, s48, v24
	s_delay_alu instid0(VALU_DEP_1) | instskip(SKIP_2) | instid1(SALU_CYCLE_1)
	v_lshl_or_b32 v24, v24, 4, v84
	ds_add_u32 v24, v7
	s_or_b32 exec_lo, exec_lo, s11
	s_mov_b32 s11, exec_lo
	v_cmpx_gt_u32_e64 s10, v69
	s_cbranch_execz .LBB214_672
.LBB214_688:                            ;   in Loop: Header=BB214_646 Depth=2
	v_and_b32_e32 v24, 0xff, v40
	s_delay_alu instid0(VALU_DEP_1) | instskip(NEXT) | instid1(VALU_DEP_1)
	v_lshrrev_b32_e32 v24, s49, v24
	v_and_b32_e32 v24, s48, v24
	s_delay_alu instid0(VALU_DEP_1) | instskip(SKIP_2) | instid1(SALU_CYCLE_1)
	v_lshl_or_b32 v24, v24, 4, v84
	ds_add_u32 v24, v7
	s_or_b32 exec_lo, exec_lo, s11
	s_mov_b32 s11, exec_lo
	v_cmpx_gt_u32_e64 s10, v70
	s_cbranch_execz .LBB214_673
.LBB214_689:                            ;   in Loop: Header=BB214_646 Depth=2
	v_and_b32_e32 v24, 0xff, v38
	s_delay_alu instid0(VALU_DEP_1) | instskip(NEXT) | instid1(VALU_DEP_1)
	v_lshrrev_b32_e32 v24, s49, v24
	v_and_b32_e32 v24, s48, v24
	s_delay_alu instid0(VALU_DEP_1) | instskip(SKIP_2) | instid1(SALU_CYCLE_1)
	v_lshl_or_b32 v24, v24, 4, v84
	ds_add_u32 v24, v7
	s_or_b32 exec_lo, exec_lo, s11
	s_mov_b32 s11, exec_lo
	v_cmpx_gt_u32_e64 s10, v71
	s_cbranch_execz .LBB214_674
.LBB214_690:                            ;   in Loop: Header=BB214_646 Depth=2
	v_and_b32_e32 v24, 0xff, v37
	s_delay_alu instid0(VALU_DEP_1) | instskip(NEXT) | instid1(VALU_DEP_1)
	v_lshrrev_b32_e32 v24, s49, v24
	v_and_b32_e32 v24, s48, v24
	s_delay_alu instid0(VALU_DEP_1) | instskip(SKIP_2) | instid1(SALU_CYCLE_1)
	v_lshl_or_b32 v24, v24, 4, v84
	ds_add_u32 v24, v7
	s_or_b32 exec_lo, exec_lo, s11
	s_mov_b32 s11, exec_lo
	v_cmpx_gt_u32_e64 s10, v72
	s_cbranch_execz .LBB214_675
.LBB214_691:                            ;   in Loop: Header=BB214_646 Depth=2
	v_and_b32_e32 v24, 0xff, v36
	s_delay_alu instid0(VALU_DEP_1) | instskip(NEXT) | instid1(VALU_DEP_1)
	v_lshrrev_b32_e32 v24, s49, v24
	v_and_b32_e32 v24, s48, v24
	s_delay_alu instid0(VALU_DEP_1) | instskip(SKIP_2) | instid1(SALU_CYCLE_1)
	v_lshl_or_b32 v24, v24, 4, v84
	ds_add_u32 v24, v7
	s_or_b32 exec_lo, exec_lo, s11
	s_mov_b32 s11, exec_lo
	v_cmpx_gt_u32_e64 s10, v73
	s_cbranch_execz .LBB214_676
.LBB214_692:                            ;   in Loop: Header=BB214_646 Depth=2
	v_and_b32_e32 v24, 0xff, v35
	s_delay_alu instid0(VALU_DEP_1) | instskip(NEXT) | instid1(VALU_DEP_1)
	v_lshrrev_b32_e32 v24, s49, v24
	v_and_b32_e32 v24, s48, v24
	s_delay_alu instid0(VALU_DEP_1) | instskip(SKIP_2) | instid1(SALU_CYCLE_1)
	v_lshl_or_b32 v24, v24, 4, v84
	ds_add_u32 v24, v7
	s_or_b32 exec_lo, exec_lo, s11
	s_mov_b32 s11, exec_lo
	v_cmpx_gt_u32_e64 s10, v74
	s_cbranch_execz .LBB214_677
.LBB214_693:                            ;   in Loop: Header=BB214_646 Depth=2
	v_and_b32_e32 v24, 0xff, v34
	s_delay_alu instid0(VALU_DEP_1) | instskip(NEXT) | instid1(VALU_DEP_1)
	v_lshrrev_b32_e32 v24, s49, v24
	v_and_b32_e32 v24, s48, v24
	s_delay_alu instid0(VALU_DEP_1) | instskip(SKIP_2) | instid1(SALU_CYCLE_1)
	v_lshl_or_b32 v24, v24, 4, v84
	ds_add_u32 v24, v7
	s_or_b32 exec_lo, exec_lo, s11
	s_mov_b32 s11, exec_lo
	v_cmpx_gt_u32_e64 s10, v75
	s_cbranch_execz .LBB214_678
.LBB214_694:                            ;   in Loop: Header=BB214_646 Depth=2
	v_and_b32_e32 v24, 0xff, v33
	s_delay_alu instid0(VALU_DEP_1) | instskip(NEXT) | instid1(VALU_DEP_1)
	v_lshrrev_b32_e32 v24, s49, v24
	v_and_b32_e32 v24, s48, v24
	s_delay_alu instid0(VALU_DEP_1) | instskip(SKIP_2) | instid1(SALU_CYCLE_1)
	v_lshl_or_b32 v24, v24, 4, v84
	ds_add_u32 v24, v7
	s_or_b32 exec_lo, exec_lo, s11
	s_mov_b32 s11, exec_lo
	v_cmpx_gt_u32_e64 s10, v76
	s_cbranch_execz .LBB214_679
.LBB214_695:                            ;   in Loop: Header=BB214_646 Depth=2
	v_and_b32_e32 v24, 0xff, v32
	s_delay_alu instid0(VALU_DEP_1) | instskip(NEXT) | instid1(VALU_DEP_1)
	v_lshrrev_b32_e32 v24, s49, v24
	v_and_b32_e32 v24, s48, v24
	s_delay_alu instid0(VALU_DEP_1) | instskip(SKIP_2) | instid1(SALU_CYCLE_1)
	v_lshl_or_b32 v24, v24, 4, v84
	ds_add_u32 v24, v7
	s_or_b32 exec_lo, exec_lo, s11
	s_mov_b32 s11, exec_lo
	v_cmpx_gt_u32_e64 s10, v77
	s_cbranch_execz .LBB214_680
.LBB214_696:                            ;   in Loop: Header=BB214_646 Depth=2
	v_and_b32_e32 v24, 0xff, v31
	s_delay_alu instid0(VALU_DEP_1) | instskip(NEXT) | instid1(VALU_DEP_1)
	v_lshrrev_b32_e32 v24, s49, v24
	v_and_b32_e32 v24, s48, v24
	s_delay_alu instid0(VALU_DEP_1) | instskip(SKIP_2) | instid1(SALU_CYCLE_1)
	v_lshl_or_b32 v24, v24, 4, v84
	ds_add_u32 v24, v7
	s_or_b32 exec_lo, exec_lo, s11
	s_mov_b32 s11, exec_lo
	v_cmpx_gt_u32_e64 s10, v78
	s_cbranch_execz .LBB214_681
.LBB214_697:                            ;   in Loop: Header=BB214_646 Depth=2
	v_and_b32_e32 v24, 0xff, v30
	s_delay_alu instid0(VALU_DEP_1) | instskip(NEXT) | instid1(VALU_DEP_1)
	v_lshrrev_b32_e32 v24, s49, v24
	v_and_b32_e32 v24, s48, v24
	s_delay_alu instid0(VALU_DEP_1) | instskip(SKIP_2) | instid1(SALU_CYCLE_1)
	v_lshl_or_b32 v24, v24, 4, v84
	ds_add_u32 v24, v7
	s_or_b32 exec_lo, exec_lo, s11
	s_mov_b32 s11, exec_lo
	v_cmpx_gt_u32_e64 s10, v79
	s_cbranch_execz .LBB214_682
.LBB214_698:                            ;   in Loop: Header=BB214_646 Depth=2
	v_and_b32_e32 v24, 0xff, v29
	s_delay_alu instid0(VALU_DEP_1) | instskip(NEXT) | instid1(VALU_DEP_1)
	v_lshrrev_b32_e32 v24, s49, v24
	v_and_b32_e32 v24, s48, v24
	s_delay_alu instid0(VALU_DEP_1) | instskip(SKIP_2) | instid1(SALU_CYCLE_1)
	v_lshl_or_b32 v24, v24, 4, v84
	ds_add_u32 v24, v7
	s_or_b32 exec_lo, exec_lo, s11
	s_mov_b32 s11, exec_lo
	v_cmpx_gt_u32_e64 s10, v80
	s_cbranch_execz .LBB214_683
.LBB214_699:                            ;   in Loop: Header=BB214_646 Depth=2
	v_and_b32_e32 v24, 0xff, v28
	s_delay_alu instid0(VALU_DEP_1) | instskip(NEXT) | instid1(VALU_DEP_1)
	v_lshrrev_b32_e32 v24, s49, v24
	v_and_b32_e32 v24, s48, v24
	s_delay_alu instid0(VALU_DEP_1) | instskip(SKIP_2) | instid1(SALU_CYCLE_1)
	v_lshl_or_b32 v24, v24, 4, v84
	ds_add_u32 v24, v7
	s_or_b32 exec_lo, exec_lo, s11
	s_mov_b32 s11, exec_lo
	v_cmpx_gt_u32_e64 s10, v81
	s_cbranch_execz .LBB214_684
.LBB214_700:                            ;   in Loop: Header=BB214_646 Depth=2
	v_and_b32_e32 v24, 0xff, v27
	s_delay_alu instid0(VALU_DEP_1) | instskip(NEXT) | instid1(VALU_DEP_1)
	v_lshrrev_b32_e32 v24, s49, v24
	v_and_b32_e32 v24, s48, v24
	s_delay_alu instid0(VALU_DEP_1)
	v_lshl_or_b32 v24, v24, 4, v84
	ds_add_u32 v24, v7
	s_or_b32 exec_lo, exec_lo, s11
	v_cmp_gt_u32_e32 vcc_lo, s10, v82
	s_and_saveexec_b32 s10, vcc_lo
	s_cbranch_execz .LBB214_645
.LBB214_701:                            ;   in Loop: Header=BB214_646 Depth=2
	v_and_b32_e32 v24, 0xff, v26
	s_delay_alu instid0(VALU_DEP_1) | instskip(NEXT) | instid1(VALU_DEP_1)
	v_lshrrev_b32_e32 v24, s49, v24
	v_and_b32_e32 v24, s48, v24
	s_delay_alu instid0(VALU_DEP_1)
	v_lshl_or_b32 v24, v24, 4, v84
	ds_add_u32 v24, v7
	s_branch .LBB214_645
.LBB214_702:                            ;   in Loop: Header=BB214_646 Depth=2
	global_load_u8 v39, v[24:25], off
	s_wait_xcnt 0x0
	s_or_b32 exec_lo, exec_lo, s10
	s_delay_alu instid0(SALU_CYCLE_1)
	s_mov_b32 s10, exec_lo
	v_cmpx_gt_u32_e64 s8, v67
	s_cbranch_execz .LBB214_651
.LBB214_703:                            ;   in Loop: Header=BB214_646 Depth=2
	global_load_u8 v42, v[24:25], off offset:256
	s_wait_xcnt 0x0
	s_or_b32 exec_lo, exec_lo, s10
	s_delay_alu instid0(SALU_CYCLE_1)
	s_mov_b32 s10, exec_lo
	v_cmpx_gt_u32_e64 s8, v68
	s_cbranch_execz .LBB214_652
.LBB214_704:                            ;   in Loop: Header=BB214_646 Depth=2
	global_load_u8 v41, v[24:25], off offset:512
	s_wait_xcnt 0x0
	s_or_b32 exec_lo, exec_lo, s10
	s_delay_alu instid0(SALU_CYCLE_1)
	s_mov_b32 s10, exec_lo
	v_cmpx_gt_u32_e64 s8, v69
	s_cbranch_execz .LBB214_653
.LBB214_705:                            ;   in Loop: Header=BB214_646 Depth=2
	global_load_u8 v40, v[24:25], off offset:768
	s_wait_xcnt 0x0
	s_or_b32 exec_lo, exec_lo, s10
	s_delay_alu instid0(SALU_CYCLE_1)
	s_mov_b32 s10, exec_lo
	v_cmpx_gt_u32_e64 s8, v70
	s_cbranch_execz .LBB214_654
.LBB214_706:                            ;   in Loop: Header=BB214_646 Depth=2
	global_load_u8 v38, v[24:25], off offset:1024
	s_wait_xcnt 0x0
	s_or_b32 exec_lo, exec_lo, s10
	s_delay_alu instid0(SALU_CYCLE_1)
	s_mov_b32 s10, exec_lo
	v_cmpx_gt_u32_e64 s8, v71
	s_cbranch_execz .LBB214_655
.LBB214_707:                            ;   in Loop: Header=BB214_646 Depth=2
	global_load_u8 v37, v[24:25], off offset:1280
	s_wait_xcnt 0x0
	s_or_b32 exec_lo, exec_lo, s10
	s_delay_alu instid0(SALU_CYCLE_1)
	s_mov_b32 s10, exec_lo
	v_cmpx_gt_u32_e64 s8, v72
	s_cbranch_execz .LBB214_656
.LBB214_708:                            ;   in Loop: Header=BB214_646 Depth=2
	global_load_u8 v36, v[24:25], off offset:1536
	s_wait_xcnt 0x0
	s_or_b32 exec_lo, exec_lo, s10
	s_delay_alu instid0(SALU_CYCLE_1)
	s_mov_b32 s10, exec_lo
	v_cmpx_gt_u32_e64 s8, v73
	s_cbranch_execz .LBB214_657
.LBB214_709:                            ;   in Loop: Header=BB214_646 Depth=2
	global_load_u8 v35, v[24:25], off offset:1792
	s_wait_xcnt 0x0
	s_or_b32 exec_lo, exec_lo, s10
	s_delay_alu instid0(SALU_CYCLE_1)
	s_mov_b32 s10, exec_lo
	v_cmpx_gt_u32_e64 s8, v74
	s_cbranch_execz .LBB214_658
.LBB214_710:                            ;   in Loop: Header=BB214_646 Depth=2
	global_load_u8 v34, v[24:25], off offset:2048
	s_wait_xcnt 0x0
	s_or_b32 exec_lo, exec_lo, s10
	s_delay_alu instid0(SALU_CYCLE_1)
	s_mov_b32 s10, exec_lo
	v_cmpx_gt_u32_e64 s8, v75
	s_cbranch_execz .LBB214_659
.LBB214_711:                            ;   in Loop: Header=BB214_646 Depth=2
	global_load_u8 v33, v[24:25], off offset:2304
	s_wait_xcnt 0x0
	s_or_b32 exec_lo, exec_lo, s10
	s_delay_alu instid0(SALU_CYCLE_1)
	s_mov_b32 s10, exec_lo
	v_cmpx_gt_u32_e64 s8, v76
	s_cbranch_execz .LBB214_660
.LBB214_712:                            ;   in Loop: Header=BB214_646 Depth=2
	global_load_u8 v32, v[24:25], off offset:2560
	s_wait_xcnt 0x0
	s_or_b32 exec_lo, exec_lo, s10
	s_delay_alu instid0(SALU_CYCLE_1)
	s_mov_b32 s10, exec_lo
	v_cmpx_gt_u32_e64 s8, v77
	s_cbranch_execz .LBB214_661
.LBB214_713:                            ;   in Loop: Header=BB214_646 Depth=2
	global_load_u8 v31, v[24:25], off offset:2816
	s_wait_xcnt 0x0
	s_or_b32 exec_lo, exec_lo, s10
	s_delay_alu instid0(SALU_CYCLE_1)
	s_mov_b32 s10, exec_lo
	v_cmpx_gt_u32_e64 s8, v78
	s_cbranch_execz .LBB214_662
.LBB214_714:                            ;   in Loop: Header=BB214_646 Depth=2
	global_load_u8 v30, v[24:25], off offset:3072
	s_wait_xcnt 0x0
	s_or_b32 exec_lo, exec_lo, s10
	s_delay_alu instid0(SALU_CYCLE_1)
	s_mov_b32 s10, exec_lo
	v_cmpx_gt_u32_e64 s8, v79
	s_cbranch_execz .LBB214_663
.LBB214_715:                            ;   in Loop: Header=BB214_646 Depth=2
	global_load_u8 v29, v[24:25], off offset:3328
	s_wait_xcnt 0x0
	s_or_b32 exec_lo, exec_lo, s10
	s_delay_alu instid0(SALU_CYCLE_1)
	s_mov_b32 s10, exec_lo
	v_cmpx_gt_u32_e64 s8, v80
	s_cbranch_execz .LBB214_664
.LBB214_716:                            ;   in Loop: Header=BB214_646 Depth=2
	global_load_u8 v28, v[24:25], off offset:3584
	s_wait_xcnt 0x0
	s_or_b32 exec_lo, exec_lo, s10
	s_delay_alu instid0(SALU_CYCLE_1)
	s_mov_b32 s10, exec_lo
	v_cmpx_gt_u32_e64 s8, v81
	s_cbranch_execz .LBB214_665
.LBB214_717:                            ;   in Loop: Header=BB214_646 Depth=2
	global_load_u8 v27, v[24:25], off offset:3840
	s_wait_xcnt 0x0
	s_or_b32 exec_lo, exec_lo, s10
	s_delay_alu instid0(SALU_CYCLE_1)
	s_mov_b32 s10, exec_lo
	v_cmpx_gt_u32_e64 s8, v82
	s_cbranch_execnz .LBB214_666
	s_branch .LBB214_667
.LBB214_718:                            ;   in Loop: Header=BB214_20 Depth=1
	v_mov_b32_e32 v24, 0
	s_wait_dscnt 0x0
	s_barrier_signal -1
	s_barrier_wait -1
	s_and_saveexec_b32 s8, s0
	s_cbranch_execz .LBB214_720
; %bb.719:                              ;   in Loop: Header=BB214_20 Depth=1
	ds_load_2addr_b64 v[24:27], v85 offset1:1
	s_wait_dscnt 0x0
	v_add_nc_u32_e32 v24, v25, v24
	s_delay_alu instid0(VALU_DEP_1)
	v_add3_u32 v24, v24, v26, v27
.LBB214_720:                            ;   in Loop: Header=BB214_20 Depth=1
	s_or_b32 exec_lo, exec_lo, s8
	v_and_b32_e32 v25, 15, v0
	s_delay_alu instid0(VALU_DEP_2) | instskip(SKIP_1) | instid1(VALU_DEP_3)
	v_mov_b32_dpp v26, v24 row_shr:1 row_mask:0xf bank_mask:0xf
	v_and_b32_e32 v27, 16, v0
	v_cmp_eq_u32_e64 s8, 0, v25
	v_cmp_lt_u32_e64 s9, 1, v25
	s_delay_alu instid0(VALU_DEP_3) | instskip(NEXT) | instid1(VALU_DEP_3)
	v_cmp_eq_u32_e64 s12, 0, v27
	v_cndmask_b32_e64 v26, v26, 0, s8
	s_delay_alu instid0(VALU_DEP_1) | instskip(NEXT) | instid1(VALU_DEP_1)
	v_add_nc_u32_e32 v24, v26, v24
	v_mov_b32_dpp v26, v24 row_shr:2 row_mask:0xf bank_mask:0xf
	s_delay_alu instid0(VALU_DEP_1) | instskip(SKIP_2) | instid1(VALU_DEP_3)
	v_cndmask_b32_e64 v26, 0, v26, s9
	v_cmp_lt_u32_e64 s11, 7, v25
	v_cmp_lt_u32_e64 s10, 3, v25
	v_add_nc_u32_e32 v24, v24, v26
	s_delay_alu instid0(VALU_DEP_1) | instskip(NEXT) | instid1(VALU_DEP_1)
	v_mov_b32_dpp v26, v24 row_shr:4 row_mask:0xf bank_mask:0xf
	v_cndmask_b32_e64 v26, 0, v26, s10
	s_delay_alu instid0(VALU_DEP_1) | instskip(NEXT) | instid1(VALU_DEP_1)
	v_add_nc_u32_e32 v24, v24, v26
	v_mov_b32_dpp v26, v24 row_shr:8 row_mask:0xf bank_mask:0xf
	s_delay_alu instid0(VALU_DEP_1) | instskip(SKIP_1) | instid1(VALU_DEP_2)
	v_cndmask_b32_e64 v25, 0, v26, s11
	v_bfe_i32 v26, v0, 4, 1
	v_add_nc_u32_e32 v24, v24, v25
	ds_swizzle_b32 v25, v24 offset:swizzle(BROADCAST,32,15)
	s_wait_dscnt 0x0
	v_and_b32_e32 v25, v26, v25
	s_delay_alu instid0(VALU_DEP_1)
	v_add_nc_u32_e32 v24, v24, v25
	s_and_saveexec_b32 s13, s1
; %bb.721:                              ;   in Loop: Header=BB214_20 Depth=1
	ds_store_b32 v86, v24
; %bb.722:                              ;   in Loop: Header=BB214_20 Depth=1
	s_or_b32 exec_lo, exec_lo, s13
	s_wait_dscnt 0x0
	s_barrier_signal -1
	s_barrier_wait -1
	s_and_saveexec_b32 s13, s4
	s_cbranch_execz .LBB214_724
; %bb.723:                              ;   in Loop: Header=BB214_20 Depth=1
	ds_load_b32 v25, v87
	s_wait_dscnt 0x0
	v_mov_b32_dpp v27, v25 row_shr:1 row_mask:0xf bank_mask:0xf
	v_and_b32_e32 v26, 3, v0
	s_delay_alu instid0(VALU_DEP_1) | instskip(NEXT) | instid1(VALU_DEP_3)
	v_cmp_ne_u32_e32 vcc_lo, 0, v26
	v_cndmask_b32_e32 v27, 0, v27, vcc_lo
	v_cmp_lt_u32_e32 vcc_lo, 1, v26
	s_delay_alu instid0(VALU_DEP_2) | instskip(NEXT) | instid1(VALU_DEP_1)
	v_add_nc_u32_e32 v25, v27, v25
	v_mov_b32_dpp v27, v25 row_shr:2 row_mask:0xf bank_mask:0xf
	s_delay_alu instid0(VALU_DEP_1) | instskip(NEXT) | instid1(VALU_DEP_1)
	v_cndmask_b32_e32 v26, 0, v27, vcc_lo
	v_add_nc_u32_e32 v25, v25, v26
	ds_store_b32 v87, v25
.LBB214_724:                            ;   in Loop: Header=BB214_20 Depth=1
	s_or_b32 exec_lo, exec_lo, s13
	v_mov_b32_e32 v25, 0
	s_wait_dscnt 0x0
	s_barrier_signal -1
	s_barrier_wait -1
	s_and_saveexec_b32 s13, s5
; %bb.725:                              ;   in Loop: Header=BB214_20 Depth=1
	ds_load_b32 v25, v88
; %bb.726:                              ;   in Loop: Header=BB214_20 Depth=1
	s_or_b32 exec_lo, exec_lo, s13
	v_sub_co_u32 v26, s13, v0, 1
	s_wait_dscnt 0x0
	s_barrier_signal -1
	s_barrier_wait -1
	s_delay_alu instid0(VALU_DEP_1) | instskip(SKIP_1) | instid1(VALU_DEP_1)
	v_cmp_gt_i32_e32 vcc_lo, 0, v26
	v_cndmask_b32_e32 v26, v26, v0, vcc_lo
	v_dual_add_nc_u32 v24, v25, v24 :: v_dual_lshlrev_b32 v96, 2, v26
	ds_bpermute_b32 v24, v96, v24
	s_and_saveexec_b32 s14, s0
	s_cbranch_execz .LBB214_728
; %bb.727:                              ;   in Loop: Header=BB214_20 Depth=1
	s_wait_dscnt 0x0
	v_cndmask_b32_e64 v24, v24, v25, s13
	s_delay_alu instid0(VALU_DEP_1)
	v_add_nc_u32_e32 v24, s55, v24
	ds_store_b32 v66, v24
.LBB214_728:                            ;   in Loop: Header=BB214_20 Depth=1
	s_or_b32 exec_lo, exec_lo, s14
	s_load_b64 s[14:15], s[52:53], 0x0
	s_wait_dscnt 0x0
	v_dual_lshlrev_b32 v24, 3, v0 :: v_dual_bitop2_b32 v26, 7, v0 bitop3:0x40
	v_dual_mov_b32 v25, v1 :: v_dual_bitop2_b32 v97, v0, v6 bitop3:0x54
	s_mov_b32 s58, s57
                                        ; implicit-def: $vgpr30_vgpr31
                                        ; implicit-def: $vgpr32_vgpr33
                                        ; implicit-def: $vgpr34_vgpr35
                                        ; implicit-def: $vgpr36_vgpr37
                                        ; implicit-def: $vgpr38_vgpr39
                                        ; implicit-def: $vgpr40_vgpr41
                                        ; implicit-def: $vgpr42_vgpr43
                                        ; implicit-def: $vgpr44_vgpr45
                                        ; implicit-def: $vgpr46_vgpr47
                                        ; implicit-def: $vgpr48_vgpr49
                                        ; implicit-def: $vgpr50_vgpr51
                                        ; implicit-def: $vgpr52_vgpr53
                                        ; implicit-def: $vgpr54_vgpr55
                                        ; implicit-def: $vgpr56_vgpr57
                                        ; implicit-def: $vgpr58_vgpr59
                                        ; implicit-def: $vgpr60_vgpr61
                                        ; implicit-def: $vgpr115
                                        ; implicit-def: $vgpr116
                                        ; implicit-def: $vgpr117
                                        ; implicit-def: $vgpr118
                                        ; implicit-def: $vgpr119
                                        ; implicit-def: $vgpr120
                                        ; implicit-def: $vgpr121
                                        ; implicit-def: $vgpr122
                                        ; implicit-def: $vgpr123
                                        ; implicit-def: $vgpr124
                                        ; implicit-def: $vgpr125
                                        ; implicit-def: $vgpr126
                                        ; implicit-def: $vgpr127
                                        ; implicit-def: $vgpr128
                                        ; implicit-def: $vgpr129
                                        ; implicit-def: $vgpr130
                                        ; implicit-def: $vgpr131
                                        ; implicit-def: $vgpr132
                                        ; implicit-def: $vgpr133
	s_delay_alu instid0(VALU_DEP_1) | instskip(NEXT) | instid1(VALU_DEP_2)
	v_add_nc_u64_e32 v[24:25], v[20:21], v[24:25]
	v_dual_add_nc_u32 v98, 32, v97 :: v_dual_add_nc_u32 v99, 64, v97
	v_add_nc_u32_e32 v100, 0x60, v97
	v_add_nc_u32_e32 v101, 0x80, v97
	;; [unrolled: 1-line block ×9, first 2 shown]
	s_wait_kmcnt 0x0
	s_cmp_lt_u32 s51, s14
	v_add_nc_u32_e32 v109, 0x180, v97
	s_cselect_b32 s34, 12, 18
	s_cmp_lt_u32 s42, s15
	s_mov_b32 s15, s35
	s_cselect_b32 s14, 14, 20
	v_add_nc_u32_e32 v110, 0x1a0, v97
	s_add_nc_u64 s[14:15], s[52:53], s[14:15]
	v_add_nc_u32_e32 v111, 0x1c0, v97
	s_load_u16 s16, s[14:15], 0x0
	s_wait_xcnt 0x0
	s_add_nc_u64 s[14:15], s[52:53], s[34:35]
	v_add_nc_u32_e32 v112, 0x1e0, v97
	s_load_u16 s17, s[14:15], 0x0
	s_wait_xcnt 0x0
	v_cmp_eq_u32_e64 s14, 0, v26
	v_cmp_lt_u32_e64 s15, 1, v26
	v_add_nc_u32_e32 v113, 0x200, v97
	s_mov_b32 s34, s55
	s_wait_kmcnt 0x0
	v_mad_u32_u24 v27, v89, s16, v91
	v_cmp_lt_u32_e64 s16, 3, v26
	s_delay_alu instid0(VALU_DEP_2) | instskip(NEXT) | instid1(VALU_DEP_1)
	v_mad_u32 v26, v27, s17, v2
	v_lshrrev_b32_e32 v28, 3, v26
	v_add_nc_u64_e32 v[26:27], v[22:23], v[0:1]
	s_delay_alu instid0(VALU_DEP_2)
	v_and_b32_e32 v114, 0x1ffffffc, v28
                                        ; implicit-def: $vgpr28_vgpr29
	s_branch .LBB214_730
.LBB214_729:                            ;   in Loop: Header=BB214_730 Depth=2
	s_or_b32 exec_lo, exec_lo, s17
	s_addk_co_i32 s58, 0xef00
	s_cmp_lt_u32 s59, s54
	s_mov_b32 s34, s59
	s_cbranch_scc0 .LBB214_952
.LBB214_730:                            ;   Parent Loop BB214_20 Depth=1
                                        ; =>  This Inner Loop Header: Depth=2
	s_add_co_i32 s59, s34, 0x1100
	s_delay_alu instid0(SALU_CYCLE_1)
	s_cmp_gt_u32 s59, s54
	s_cbranch_scc1 .LBB214_732
; %bb.731:                              ;   in Loop: Header=BB214_730 Depth=2
	s_delay_alu instid0(VALU_DEP_2)
	v_add_nc_u64_e32 v[62:63], s[34:35], v[26:27]
	s_mov_b32 s17, -1
	s_clause 0xf
	global_load_u8 v135, v[62:63], off
	global_load_u8 v136, v[62:63], off offset:32
	global_load_u8 v137, v[62:63], off offset:64
	;; [unrolled: 1-line block ×15, first 2 shown]
	s_movk_i32 s18, 0x1100
	s_cbranch_execz .LBB214_733
	s_branch .LBB214_766
.LBB214_732:                            ;   in Loop: Header=BB214_730 Depth=2
	s_mov_b32 s17, 0
                                        ; implicit-def: $vgpr135
                                        ; implicit-def: $vgpr136
                                        ; implicit-def: $vgpr137
                                        ; implicit-def: $vgpr138
                                        ; implicit-def: $vgpr139
                                        ; implicit-def: $vgpr140
                                        ; implicit-def: $vgpr141
                                        ; implicit-def: $vgpr142
                                        ; implicit-def: $vgpr143
                                        ; implicit-def: $vgpr144
                                        ; implicit-def: $vgpr145
                                        ; implicit-def: $vgpr146
                                        ; implicit-def: $vgpr147
                                        ; implicit-def: $vgpr148
                                        ; implicit-def: $vgpr149
                                        ; implicit-def: $vgpr150
	s_movk_i32 s18, 0x1100
.LBB214_733:                            ;   in Loop: Header=BB214_730 Depth=2
	s_wait_xcnt 0x0
	v_add_nc_u64_e32 v[62:63], s[34:35], v[26:27]
	s_wait_loadcnt 0xe
	v_dual_mov_b32 v136, 0xff :: v_dual_mov_b32 v135, 0xff
	s_mov_b32 s17, exec_lo
	v_cmpx_gt_u32_e64 s58, v97
	s_cbranch_execz .LBB214_735
; %bb.734:                              ;   in Loop: Header=BB214_730 Depth=2
	global_load_u8 v135, v[62:63], off
.LBB214_735:                            ;   in Loop: Header=BB214_730 Depth=2
	s_wait_xcnt 0x0
	s_or_b32 exec_lo, exec_lo, s17
	s_delay_alu instid0(SALU_CYCLE_1)
	s_mov_b32 s17, exec_lo
	v_cmpx_gt_u32_e64 s58, v98
	s_cbranch_execz .LBB214_737
; %bb.736:                              ;   in Loop: Header=BB214_730 Depth=2
	global_load_u8 v136, v[62:63], off offset:32
.LBB214_737:                            ;   in Loop: Header=BB214_730 Depth=2
	s_wait_xcnt 0x0
	s_or_b32 exec_lo, exec_lo, s17
	s_wait_loadcnt 0xc
	v_dual_mov_b32 v138, 0xff :: v_dual_mov_b32 v137, 0xff
	s_mov_b32 s17, exec_lo
	v_cmpx_gt_u32_e64 s58, v99
	s_cbranch_execz .LBB214_739
; %bb.738:                              ;   in Loop: Header=BB214_730 Depth=2
	global_load_u8 v137, v[62:63], off offset:64
.LBB214_739:                            ;   in Loop: Header=BB214_730 Depth=2
	s_wait_xcnt 0x0
	s_or_b32 exec_lo, exec_lo, s17
	s_delay_alu instid0(SALU_CYCLE_1)
	s_mov_b32 s17, exec_lo
	v_cmpx_gt_u32_e64 s58, v100
	s_cbranch_execz .LBB214_741
; %bb.740:                              ;   in Loop: Header=BB214_730 Depth=2
	global_load_u8 v138, v[62:63], off offset:96
.LBB214_741:                            ;   in Loop: Header=BB214_730 Depth=2
	s_wait_xcnt 0x0
	s_or_b32 exec_lo, exec_lo, s17
	s_wait_loadcnt 0xa
	v_dual_mov_b32 v140, 0xff :: v_dual_mov_b32 v139, 0xff
	s_mov_b32 s17, exec_lo
	v_cmpx_gt_u32_e64 s58, v101
	s_cbranch_execz .LBB214_743
; %bb.742:                              ;   in Loop: Header=BB214_730 Depth=2
	global_load_u8 v139, v[62:63], off offset:128
.LBB214_743:                            ;   in Loop: Header=BB214_730 Depth=2
	;; [unrolled: 19-line block ×7, first 2 shown]
	s_wait_xcnt 0x0
	s_or_b32 exec_lo, exec_lo, s17
	s_delay_alu instid0(SALU_CYCLE_1)
	s_mov_b32 s17, exec_lo
	v_cmpx_gt_u32_e64 s58, v112
	s_cbranch_execz .LBB214_765
; %bb.764:                              ;   in Loop: Header=BB214_730 Depth=2
	global_load_u8 v150, v[62:63], off offset:480
.LBB214_765:                            ;   in Loop: Header=BB214_730 Depth=2
	s_wait_xcnt 0x0
	s_or_b32 exec_lo, exec_lo, s17
	v_cmp_gt_u32_e64 s17, s58, v113
	s_sub_co_i32 s18, s54, s34
.LBB214_766:                            ;   in Loop: Header=BB214_730 Depth=2
	v_dual_mov_b32 v151, 0xff :: v_dual_mov_b32 v134, s58
	s_wait_xcnt 0x0
	s_and_saveexec_b32 s19, s17
	s_cbranch_execz .LBB214_768
; %bb.767:                              ;   in Loop: Header=BB214_730 Depth=2
	v_add_nc_u64_e32 v[62:63], s[34:35], v[26:27]
	v_mov_b32_e32 v134, s18
	global_load_u8 v151, v[62:63], off offset:512
.LBB214_768:                            ;   in Loop: Header=BB214_730 Depth=2
	s_wait_xcnt 0x0
	s_or_b32 exec_lo, exec_lo, s19
	s_wait_loadcnt 0xf
	v_and_b32_e32 v62, 0xff, v135
	ds_store_2addr_b32 v90, v1, v1 offset0:136 offset1:137
	ds_store_2addr_b32 v90, v1, v1 offset0:138 offset1:139
	ds_store_b32 v90, v1 offset:560
	s_wait_loadcnt_dscnt 0x0
	s_barrier_signal -1
	s_barrier_wait -1
	v_lshrrev_b32_e32 v62, s49, v62
	; wave barrier
	s_delay_alu instid0(VALU_DEP_1) | instskip(NEXT) | instid1(VALU_DEP_1)
	v_and_b32_e32 v64, s48, v62
	v_lshlrev_b32_e32 v65, 30, v64
	v_bitop3_b32 v63, v62, 1, s48 bitop3:0x80
	s_delay_alu instid0(VALU_DEP_1) | instskip(NEXT) | instid1(VALU_DEP_1)
	v_add_co_u32 v62, s17, v63, -1
	v_cndmask_b32_e64 v63, 0, 1, s17
	s_delay_alu instid0(VALU_DEP_4) | instskip(NEXT) | instid1(VALU_DEP_2)
	v_cmp_gt_i32_e64 s17, 0, v65
	v_cmp_ne_u32_e32 vcc_lo, 0, v63
	v_not_b32_e32 v63, v65
	v_bitop3_b32 v62, vcc_lo, exec_lo, v62 bitop3:0x48
	s_delay_alu instid0(VALU_DEP_2) | instskip(SKIP_2) | instid1(VALU_DEP_3)
	v_dual_ashrrev_i32 v63, 31, v63 :: v_dual_lshlrev_b32 v152, 29, v64
	v_dual_lshlrev_b32 v153, 28, v64 :: v_dual_lshlrev_b32 v154, 27, v64
	v_lshlrev_b32_e32 v155, 26, v64
	v_not_b32_e32 v65, v152
	v_lshlrev_b32_e32 v156, 25, v64
	v_cmp_gt_i32_e64 s18, 0, v152
	v_cmp_gt_i32_e64 s19, 0, v153
	v_not_b32_e32 v152, v153
	v_not_b32_e32 v153, v154
	v_ashrrev_i32_e32 v65, 31, v65
	v_cmp_gt_i32_e64 s20, 0, v154
	v_not_b32_e32 v154, v155
	s_delay_alu instid0(VALU_DEP_4) | instskip(SKIP_3) | instid1(VALU_DEP_4)
	v_dual_ashrrev_i32 v152, 31, v152 :: v_dual_ashrrev_i32 v153, 31, v153
	v_xor_b32_e32 v63, s17, v63
	v_xor_b32_e32 v65, s18, v65
	v_not_b32_e32 v157, v156
	v_xor_b32_e32 v152, s19, v152
	v_xor_b32_e32 v153, s20, v153
	v_cmp_gt_i32_e32 vcc_lo, 0, v155
	v_ashrrev_i32_e32 v154, 31, v154
	v_cmp_gt_i32_e64 s17, 0, v156
	v_ashrrev_i32_e32 v155, 31, v157
	v_bitop3_b32 v62, v62, v65, v63 bitop3:0x80
	s_delay_alu instid0(VALU_DEP_4) | instskip(NEXT) | instid1(VALU_DEP_3)
	v_xor_b32_e32 v63, vcc_lo, v154
	v_xor_b32_e32 v65, s17, v155
	s_delay_alu instid0(VALU_DEP_3) | instskip(NEXT) | instid1(VALU_DEP_1)
	v_bitop3_b32 v62, v62, v153, v152 bitop3:0x80
	v_bitop3_b32 v62, v62, v65, v63 bitop3:0x80
	v_mul_u32_u24_e32 v63, 36, v64
	s_delay_alu instid0(VALU_DEP_2) | instskip(SKIP_1) | instid1(VALU_DEP_3)
	v_mbcnt_lo_u32_b32 v152, v62, 0
	v_cmp_ne_u32_e64 s17, 0, v62
	v_add_nc_u32_e32 v153, v114, v63
	s_delay_alu instid0(VALU_DEP_3) | instskip(SKIP_1) | instid1(SALU_CYCLE_1)
	v_cmp_eq_u32_e32 vcc_lo, 0, v152
	s_and_b32 s18, s17, vcc_lo
	s_and_saveexec_b32 s17, s18
; %bb.769:                              ;   in Loop: Header=BB214_730 Depth=2
	v_bcnt_u32_b32 v62, v62, 0
	ds_store_b32 v153, v62 offset:544
; %bb.770:                              ;   in Loop: Header=BB214_730 Depth=2
	s_or_b32 exec_lo, exec_lo, s17
	v_and_b32_e32 v62, 0xff, v136
	; wave barrier
	s_delay_alu instid0(VALU_DEP_1) | instskip(NEXT) | instid1(VALU_DEP_1)
	v_lshrrev_b32_e32 v62, s49, v62
	v_and_b32_e32 v64, s48, v62
	s_delay_alu instid0(VALU_DEP_1) | instskip(SKIP_1) | instid1(VALU_DEP_1)
	v_lshlrev_b32_e32 v65, 30, v64
	v_bitop3_b32 v63, v62, 1, s48 bitop3:0x80
	v_add_co_u32 v62, s17, v63, -1
	s_delay_alu instid0(VALU_DEP_1) | instskip(NEXT) | instid1(VALU_DEP_4)
	v_cndmask_b32_e64 v63, 0, 1, s17
	v_cmp_gt_i32_e64 s17, 0, v65
	s_delay_alu instid0(VALU_DEP_2) | instskip(SKIP_2) | instid1(VALU_DEP_2)
	v_cmp_ne_u32_e32 vcc_lo, 0, v63
	v_not_b32_e32 v63, v65
	v_bitop3_b32 v62, vcc_lo, exec_lo, v62 bitop3:0x48
	v_dual_ashrrev_i32 v63, 31, v63 :: v_dual_lshlrev_b32 v154, 29, v64
	v_dual_lshlrev_b32 v155, 28, v64 :: v_dual_lshlrev_b32 v156, 27, v64
	v_lshlrev_b32_e32 v157, 26, v64
	s_delay_alu instid0(VALU_DEP_3)
	v_not_b32_e32 v65, v154
	v_lshlrev_b32_e32 v158, 25, v64
	v_cmp_gt_i32_e64 s18, 0, v154
	v_cmp_gt_i32_e64 s19, 0, v155
	v_not_b32_e32 v154, v155
	v_not_b32_e32 v155, v156
	v_ashrrev_i32_e32 v65, 31, v65
	v_cmp_gt_i32_e64 s20, 0, v156
	v_cmp_gt_i32_e64 s21, 0, v157
	v_not_b32_e32 v156, v157
	v_dual_ashrrev_i32 v154, 31, v154 :: v_dual_ashrrev_i32 v155, 31, v155
	v_xor_b32_e32 v63, s17, v63
	v_xor_b32_e32 v65, s18, v65
	v_not_b32_e32 v157, v158
	s_delay_alu instid0(VALU_DEP_4) | instskip(SKIP_1) | instid1(VALU_DEP_4)
	v_dual_ashrrev_i32 v156, 31, v156 :: v_dual_bitop2_b32 v154, s19, v154 bitop3:0x14
	v_xor_b32_e32 v155, s20, v155
	v_bitop3_b32 v62, v62, v65, v63 bitop3:0x80
	v_cmp_gt_i32_e32 vcc_lo, 0, v158
	v_ashrrev_i32_e32 v63, 31, v157
	v_mad_u32_u24 v65, v64, 36, v114
	v_xor_b32_e32 v156, s21, v156
	v_bitop3_b32 v62, v62, v155, v154 bitop3:0x80
	s_delay_alu instid0(VALU_DEP_4) | instskip(SKIP_3) | instid1(VALU_DEP_2)
	v_xor_b32_e32 v63, vcc_lo, v63
	ds_load_b32 v154, v65 offset:544
	; wave barrier
	v_bitop3_b32 v62, v62, v63, v156 bitop3:0x80
	v_mul_u32_u24_e32 v63, 36, v64
	v_mbcnt_lo_u32_b32 v155, v62, 0
	v_cmp_ne_u32_e64 s17, 0, v62
	s_delay_alu instid0(VALU_DEP_3) | instskip(NEXT) | instid1(VALU_DEP_3)
	v_add_nc_u32_e32 v156, v114, v63
	v_cmp_eq_u32_e32 vcc_lo, 0, v155
	s_and_b32 s18, s17, vcc_lo
	s_delay_alu instid0(SALU_CYCLE_1)
	s_and_saveexec_b32 s17, s18
	s_cbranch_execz .LBB214_772
; %bb.771:                              ;   in Loop: Header=BB214_730 Depth=2
	s_wait_dscnt 0x0
	v_bcnt_u32_b32 v62, v62, v154
	ds_store_b32 v156, v62 offset:544
.LBB214_772:                            ;   in Loop: Header=BB214_730 Depth=2
	s_or_b32 exec_lo, exec_lo, s17
	v_and_b32_e32 v62, 0xff, v137
	; wave barrier
	s_delay_alu instid0(VALU_DEP_1) | instskip(NEXT) | instid1(VALU_DEP_1)
	v_lshrrev_b32_e32 v62, s49, v62
	v_and_b32_e32 v64, s48, v62
	s_delay_alu instid0(VALU_DEP_1) | instskip(SKIP_1) | instid1(VALU_DEP_1)
	v_lshlrev_b32_e32 v65, 30, v64
	v_bitop3_b32 v63, v62, 1, s48 bitop3:0x80
	v_add_co_u32 v62, s17, v63, -1
	s_delay_alu instid0(VALU_DEP_1) | instskip(NEXT) | instid1(VALU_DEP_4)
	v_cndmask_b32_e64 v63, 0, 1, s17
	v_cmp_gt_i32_e64 s17, 0, v65
	s_delay_alu instid0(VALU_DEP_2) | instskip(SKIP_2) | instid1(VALU_DEP_2)
	v_cmp_ne_u32_e32 vcc_lo, 0, v63
	v_not_b32_e32 v63, v65
	v_bitop3_b32 v62, vcc_lo, exec_lo, v62 bitop3:0x48
	v_dual_ashrrev_i32 v63, 31, v63 :: v_dual_lshlrev_b32 v157, 29, v64
	v_dual_lshlrev_b32 v158, 28, v64 :: v_dual_lshlrev_b32 v159, 27, v64
	s_delay_alu instid0(VALU_DEP_2) | instskip(NEXT) | instid1(VALU_DEP_3)
	v_dual_lshlrev_b32 v160, 26, v64 :: v_dual_bitop2_b32 v63, s17, v63 bitop3:0x14
	v_not_b32_e32 v65, v157
	v_lshlrev_b32_e32 v161, 25, v64
	v_cmp_gt_i32_e64 s18, 0, v157
	v_cmp_gt_i32_e64 s19, 0, v158
	v_not_b32_e32 v157, v158
	v_not_b32_e32 v158, v159
	v_ashrrev_i32_e32 v65, 31, v65
	v_cmp_gt_i32_e64 s20, 0, v159
	v_cmp_gt_i32_e64 s21, 0, v160
	v_not_b32_e32 v159, v160
	v_dual_ashrrev_i32 v157, 31, v157 :: v_dual_ashrrev_i32 v158, 31, v158
	v_xor_b32_e32 v65, s18, v65
	v_not_b32_e32 v160, v161
	s_delay_alu instid0(VALU_DEP_3) | instskip(NEXT) | instid1(VALU_DEP_4)
	v_dual_ashrrev_i32 v159, 31, v159 :: v_dual_bitop2_b32 v157, s19, v157 bitop3:0x14
	v_xor_b32_e32 v158, s20, v158
	s_delay_alu instid0(VALU_DEP_4)
	v_bitop3_b32 v62, v62, v65, v63 bitop3:0x80
	v_cmp_gt_i32_e32 vcc_lo, 0, v161
	v_ashrrev_i32_e32 v63, 31, v160
	v_mad_u32_u24 v65, v64, 36, v114
	v_xor_b32_e32 v159, s21, v159
	v_bitop3_b32 v62, v62, v158, v157 bitop3:0x80
	s_delay_alu instid0(VALU_DEP_4) | instskip(SKIP_3) | instid1(VALU_DEP_2)
	v_xor_b32_e32 v63, vcc_lo, v63
	ds_load_b32 v157, v65 offset:544
	; wave barrier
	v_bitop3_b32 v62, v62, v63, v159 bitop3:0x80
	v_mul_u32_u24_e32 v63, 36, v64
	v_mbcnt_lo_u32_b32 v158, v62, 0
	v_cmp_ne_u32_e64 s17, 0, v62
	s_delay_alu instid0(VALU_DEP_3) | instskip(NEXT) | instid1(VALU_DEP_3)
	v_add_nc_u32_e32 v159, v114, v63
	v_cmp_eq_u32_e32 vcc_lo, 0, v158
	s_and_b32 s18, s17, vcc_lo
	s_delay_alu instid0(SALU_CYCLE_1)
	s_and_saveexec_b32 s17, s18
	s_cbranch_execz .LBB214_774
; %bb.773:                              ;   in Loop: Header=BB214_730 Depth=2
	s_wait_dscnt 0x0
	v_bcnt_u32_b32 v62, v62, v157
	ds_store_b32 v159, v62 offset:544
.LBB214_774:                            ;   in Loop: Header=BB214_730 Depth=2
	s_or_b32 exec_lo, exec_lo, s17
	v_and_b32_e32 v62, 0xff, v138
	; wave barrier
	s_delay_alu instid0(VALU_DEP_1) | instskip(NEXT) | instid1(VALU_DEP_1)
	v_lshrrev_b32_e32 v62, s49, v62
	v_and_b32_e32 v64, s48, v62
	s_delay_alu instid0(VALU_DEP_1) | instskip(SKIP_1) | instid1(VALU_DEP_1)
	v_lshlrev_b32_e32 v65, 30, v64
	v_bitop3_b32 v63, v62, 1, s48 bitop3:0x80
	v_add_co_u32 v62, s17, v63, -1
	s_delay_alu instid0(VALU_DEP_1) | instskip(NEXT) | instid1(VALU_DEP_4)
	v_cndmask_b32_e64 v63, 0, 1, s17
	v_cmp_gt_i32_e64 s17, 0, v65
	s_delay_alu instid0(VALU_DEP_2) | instskip(SKIP_2) | instid1(VALU_DEP_2)
	v_cmp_ne_u32_e32 vcc_lo, 0, v63
	v_not_b32_e32 v63, v65
	v_bitop3_b32 v62, vcc_lo, exec_lo, v62 bitop3:0x48
	v_dual_ashrrev_i32 v63, 31, v63 :: v_dual_lshlrev_b32 v160, 29, v64
	v_dual_lshlrev_b32 v161, 28, v64 :: v_dual_lshlrev_b32 v162, 27, v64
	v_lshlrev_b32_e32 v163, 26, v64
	s_delay_alu instid0(VALU_DEP_3)
	v_not_b32_e32 v65, v160
	v_lshlrev_b32_e32 v164, 25, v64
	v_cmp_gt_i32_e64 s18, 0, v160
	v_cmp_gt_i32_e64 s19, 0, v161
	v_not_b32_e32 v160, v161
	v_not_b32_e32 v161, v162
	v_ashrrev_i32_e32 v65, 31, v65
	v_cmp_gt_i32_e64 s20, 0, v162
	v_cmp_gt_i32_e64 s21, 0, v163
	v_not_b32_e32 v162, v163
	v_dual_ashrrev_i32 v160, 31, v160 :: v_dual_ashrrev_i32 v161, 31, v161
	v_xor_b32_e32 v63, s17, v63
	v_not_b32_e32 v163, v164
	s_delay_alu instid0(VALU_DEP_4) | instskip(NEXT) | instid1(VALU_DEP_4)
	v_dual_ashrrev_i32 v162, 31, v162 :: v_dual_bitop2_b32 v65, s18, v65 bitop3:0x14
	v_xor_b32_e32 v160, s19, v160
	v_xor_b32_e32 v161, s20, v161
	v_cmp_gt_i32_e32 vcc_lo, 0, v164
	s_delay_alu instid0(VALU_DEP_4) | instskip(SKIP_3) | instid1(VALU_DEP_4)
	v_bitop3_b32 v62, v62, v65, v63 bitop3:0x80
	v_ashrrev_i32_e32 v63, 31, v163
	v_mad_u32_u24 v65, v64, 36, v114
	v_xor_b32_e32 v162, s21, v162
	v_bitop3_b32 v62, v62, v161, v160 bitop3:0x80
	s_delay_alu instid0(VALU_DEP_4) | instskip(SKIP_3) | instid1(VALU_DEP_2)
	v_xor_b32_e32 v63, vcc_lo, v63
	ds_load_b32 v160, v65 offset:544
	; wave barrier
	v_bitop3_b32 v62, v62, v63, v162 bitop3:0x80
	v_mul_u32_u24_e32 v63, 36, v64
	v_mbcnt_lo_u32_b32 v161, v62, 0
	v_cmp_ne_u32_e64 s17, 0, v62
	s_delay_alu instid0(VALU_DEP_3) | instskip(NEXT) | instid1(VALU_DEP_3)
	v_add_nc_u32_e32 v162, v114, v63
	v_cmp_eq_u32_e32 vcc_lo, 0, v161
	s_and_b32 s18, s17, vcc_lo
	s_delay_alu instid0(SALU_CYCLE_1)
	s_and_saveexec_b32 s17, s18
	s_cbranch_execz .LBB214_776
; %bb.775:                              ;   in Loop: Header=BB214_730 Depth=2
	s_wait_dscnt 0x0
	v_bcnt_u32_b32 v62, v62, v160
	ds_store_b32 v162, v62 offset:544
.LBB214_776:                            ;   in Loop: Header=BB214_730 Depth=2
	s_or_b32 exec_lo, exec_lo, s17
	v_and_b32_e32 v62, 0xff, v139
	; wave barrier
	s_delay_alu instid0(VALU_DEP_1) | instskip(NEXT) | instid1(VALU_DEP_1)
	v_lshrrev_b32_e32 v62, s49, v62
	v_and_b32_e32 v64, s48, v62
	s_delay_alu instid0(VALU_DEP_1) | instskip(SKIP_1) | instid1(VALU_DEP_1)
	v_lshlrev_b32_e32 v65, 30, v64
	v_bitop3_b32 v63, v62, 1, s48 bitop3:0x80
	v_add_co_u32 v62, s17, v63, -1
	s_delay_alu instid0(VALU_DEP_1) | instskip(NEXT) | instid1(VALU_DEP_4)
	v_cndmask_b32_e64 v63, 0, 1, s17
	v_cmp_gt_i32_e64 s17, 0, v65
	s_delay_alu instid0(VALU_DEP_2) | instskip(SKIP_2) | instid1(VALU_DEP_2)
	v_cmp_ne_u32_e32 vcc_lo, 0, v63
	v_not_b32_e32 v63, v65
	v_bitop3_b32 v62, vcc_lo, exec_lo, v62 bitop3:0x48
	v_dual_ashrrev_i32 v63, 31, v63 :: v_dual_lshlrev_b32 v163, 29, v64
	v_dual_lshlrev_b32 v164, 28, v64 :: v_dual_lshlrev_b32 v165, 27, v64
	v_lshlrev_b32_e32 v166, 26, v64
	s_delay_alu instid0(VALU_DEP_3)
	v_not_b32_e32 v65, v163
	v_lshlrev_b32_e32 v167, 25, v64
	v_cmp_gt_i32_e64 s18, 0, v163
	v_cmp_gt_i32_e64 s19, 0, v164
	v_not_b32_e32 v163, v164
	v_not_b32_e32 v164, v165
	v_ashrrev_i32_e32 v65, 31, v65
	v_cmp_gt_i32_e64 s20, 0, v165
	v_cmp_gt_i32_e64 s21, 0, v166
	v_not_b32_e32 v165, v166
	v_dual_ashrrev_i32 v163, 31, v163 :: v_dual_ashrrev_i32 v164, 31, v164
	v_xor_b32_e32 v63, s17, v63
	v_not_b32_e32 v166, v167
	v_xor_b32_e32 v65, s18, v65
	s_delay_alu instid0(VALU_DEP_4) | instskip(SKIP_2) | instid1(VALU_DEP_4)
	v_dual_ashrrev_i32 v165, 31, v165 :: v_dual_bitop2_b32 v163, s19, v163 bitop3:0x14
	v_xor_b32_e32 v164, s20, v164
	v_cmp_gt_i32_e32 vcc_lo, 0, v167
	v_bitop3_b32 v62, v62, v65, v63 bitop3:0x80
	v_ashrrev_i32_e32 v63, 31, v166
	v_mad_u32_u24 v65, v64, 36, v114
	v_xor_b32_e32 v165, s21, v165
	s_delay_alu instid0(VALU_DEP_4) | instskip(NEXT) | instid1(VALU_DEP_4)
	v_bitop3_b32 v62, v62, v164, v163 bitop3:0x80
	v_xor_b32_e32 v63, vcc_lo, v63
	ds_load_b32 v163, v65 offset:544
	; wave barrier
	v_bitop3_b32 v62, v62, v63, v165 bitop3:0x80
	v_mul_u32_u24_e32 v63, 36, v64
	s_delay_alu instid0(VALU_DEP_2) | instskip(SKIP_1) | instid1(VALU_DEP_3)
	v_mbcnt_lo_u32_b32 v164, v62, 0
	v_cmp_ne_u32_e64 s17, 0, v62
	v_add_nc_u32_e32 v165, v114, v63
	s_delay_alu instid0(VALU_DEP_3) | instskip(SKIP_1) | instid1(SALU_CYCLE_1)
	v_cmp_eq_u32_e32 vcc_lo, 0, v164
	s_and_b32 s18, s17, vcc_lo
	s_and_saveexec_b32 s17, s18
	s_cbranch_execz .LBB214_778
; %bb.777:                              ;   in Loop: Header=BB214_730 Depth=2
	s_wait_dscnt 0x0
	v_bcnt_u32_b32 v62, v62, v163
	ds_store_b32 v165, v62 offset:544
.LBB214_778:                            ;   in Loop: Header=BB214_730 Depth=2
	s_or_b32 exec_lo, exec_lo, s17
	v_and_b32_e32 v62, 0xff, v140
	; wave barrier
	s_delay_alu instid0(VALU_DEP_1) | instskip(NEXT) | instid1(VALU_DEP_1)
	v_lshrrev_b32_e32 v62, s49, v62
	v_and_b32_e32 v64, s48, v62
	s_delay_alu instid0(VALU_DEP_1) | instskip(SKIP_1) | instid1(VALU_DEP_1)
	v_lshlrev_b32_e32 v65, 30, v64
	v_bitop3_b32 v63, v62, 1, s48 bitop3:0x80
	v_add_co_u32 v62, s17, v63, -1
	s_delay_alu instid0(VALU_DEP_1) | instskip(NEXT) | instid1(VALU_DEP_4)
	v_cndmask_b32_e64 v63, 0, 1, s17
	v_cmp_gt_i32_e64 s17, 0, v65
	s_delay_alu instid0(VALU_DEP_2) | instskip(SKIP_2) | instid1(VALU_DEP_2)
	v_cmp_ne_u32_e32 vcc_lo, 0, v63
	v_not_b32_e32 v63, v65
	v_bitop3_b32 v62, vcc_lo, exec_lo, v62 bitop3:0x48
	v_dual_ashrrev_i32 v63, 31, v63 :: v_dual_lshlrev_b32 v166, 29, v64
	v_dual_lshlrev_b32 v167, 28, v64 :: v_dual_lshlrev_b32 v168, 27, v64
	v_lshlrev_b32_e32 v169, 26, v64
	s_delay_alu instid0(VALU_DEP_3)
	v_not_b32_e32 v65, v166
	v_lshlrev_b32_e32 v170, 25, v64
	v_cmp_gt_i32_e64 s18, 0, v166
	v_cmp_gt_i32_e64 s19, 0, v167
	v_not_b32_e32 v166, v167
	v_not_b32_e32 v167, v168
	v_ashrrev_i32_e32 v65, 31, v65
	v_cmp_gt_i32_e64 s20, 0, v168
	v_cmp_gt_i32_e64 s21, 0, v169
	v_not_b32_e32 v168, v169
	v_dual_ashrrev_i32 v166, 31, v166 :: v_dual_ashrrev_i32 v167, 31, v167
	v_xor_b32_e32 v63, s17, v63
	v_xor_b32_e32 v65, s18, v65
	v_not_b32_e32 v169, v170
	s_delay_alu instid0(VALU_DEP_4) | instskip(SKIP_1) | instid1(VALU_DEP_4)
	v_dual_ashrrev_i32 v168, 31, v168 :: v_dual_bitop2_b32 v166, s19, v166 bitop3:0x14
	v_xor_b32_e32 v167, s20, v167
	v_bitop3_b32 v62, v62, v65, v63 bitop3:0x80
	v_cmp_gt_i32_e32 vcc_lo, 0, v170
	v_ashrrev_i32_e32 v63, 31, v169
	v_mad_u32_u24 v65, v64, 36, v114
	v_xor_b32_e32 v168, s21, v168
	v_bitop3_b32 v62, v62, v167, v166 bitop3:0x80
	s_delay_alu instid0(VALU_DEP_4) | instskip(SKIP_3) | instid1(VALU_DEP_2)
	v_xor_b32_e32 v63, vcc_lo, v63
	ds_load_b32 v166, v65 offset:544
	; wave barrier
	v_bitop3_b32 v62, v62, v63, v168 bitop3:0x80
	v_mul_u32_u24_e32 v63, 36, v64
	v_mbcnt_lo_u32_b32 v167, v62, 0
	v_cmp_ne_u32_e64 s17, 0, v62
	s_delay_alu instid0(VALU_DEP_3) | instskip(NEXT) | instid1(VALU_DEP_3)
	v_add_nc_u32_e32 v168, v114, v63
	v_cmp_eq_u32_e32 vcc_lo, 0, v167
	s_and_b32 s18, s17, vcc_lo
	s_delay_alu instid0(SALU_CYCLE_1)
	s_and_saveexec_b32 s17, s18
	s_cbranch_execz .LBB214_780
; %bb.779:                              ;   in Loop: Header=BB214_730 Depth=2
	s_wait_dscnt 0x0
	v_bcnt_u32_b32 v62, v62, v166
	ds_store_b32 v168, v62 offset:544
.LBB214_780:                            ;   in Loop: Header=BB214_730 Depth=2
	s_or_b32 exec_lo, exec_lo, s17
	v_and_b32_e32 v62, 0xff, v141
	; wave barrier
	s_delay_alu instid0(VALU_DEP_1) | instskip(NEXT) | instid1(VALU_DEP_1)
	v_lshrrev_b32_e32 v62, s49, v62
	v_and_b32_e32 v64, s48, v62
	s_delay_alu instid0(VALU_DEP_1) | instskip(SKIP_1) | instid1(VALU_DEP_1)
	v_lshlrev_b32_e32 v65, 30, v64
	v_bitop3_b32 v63, v62, 1, s48 bitop3:0x80
	v_add_co_u32 v62, s17, v63, -1
	s_delay_alu instid0(VALU_DEP_1) | instskip(NEXT) | instid1(VALU_DEP_4)
	v_cndmask_b32_e64 v63, 0, 1, s17
	v_cmp_gt_i32_e64 s17, 0, v65
	s_delay_alu instid0(VALU_DEP_2) | instskip(SKIP_2) | instid1(VALU_DEP_2)
	v_cmp_ne_u32_e32 vcc_lo, 0, v63
	v_not_b32_e32 v63, v65
	v_bitop3_b32 v62, vcc_lo, exec_lo, v62 bitop3:0x48
	v_dual_ashrrev_i32 v63, 31, v63 :: v_dual_lshlrev_b32 v169, 29, v64
	v_dual_lshlrev_b32 v170, 28, v64 :: v_dual_lshlrev_b32 v171, 27, v64
	s_delay_alu instid0(VALU_DEP_2) | instskip(NEXT) | instid1(VALU_DEP_3)
	v_dual_lshlrev_b32 v172, 26, v64 :: v_dual_bitop2_b32 v63, s17, v63 bitop3:0x14
	v_not_b32_e32 v65, v169
	v_lshlrev_b32_e32 v173, 25, v64
	v_cmp_gt_i32_e64 s18, 0, v169
	v_cmp_gt_i32_e64 s19, 0, v170
	v_not_b32_e32 v169, v170
	v_not_b32_e32 v170, v171
	v_ashrrev_i32_e32 v65, 31, v65
	v_cmp_gt_i32_e64 s20, 0, v171
	v_cmp_gt_i32_e64 s21, 0, v172
	v_not_b32_e32 v171, v172
	v_dual_ashrrev_i32 v169, 31, v169 :: v_dual_ashrrev_i32 v170, 31, v170
	v_xor_b32_e32 v65, s18, v65
	v_not_b32_e32 v172, v173
	s_delay_alu instid0(VALU_DEP_3) | instskip(NEXT) | instid1(VALU_DEP_4)
	v_dual_ashrrev_i32 v171, 31, v171 :: v_dual_bitop2_b32 v169, s19, v169 bitop3:0x14
	v_xor_b32_e32 v170, s20, v170
	s_delay_alu instid0(VALU_DEP_4)
	v_bitop3_b32 v62, v62, v65, v63 bitop3:0x80
	v_cmp_gt_i32_e32 vcc_lo, 0, v173
	v_ashrrev_i32_e32 v63, 31, v172
	v_mad_u32_u24 v65, v64, 36, v114
	v_xor_b32_e32 v171, s21, v171
	v_bitop3_b32 v62, v62, v170, v169 bitop3:0x80
	s_delay_alu instid0(VALU_DEP_4) | instskip(SKIP_3) | instid1(VALU_DEP_2)
	v_xor_b32_e32 v63, vcc_lo, v63
	ds_load_b32 v169, v65 offset:544
	; wave barrier
	v_bitop3_b32 v62, v62, v63, v171 bitop3:0x80
	v_mul_u32_u24_e32 v63, 36, v64
	v_mbcnt_lo_u32_b32 v170, v62, 0
	v_cmp_ne_u32_e64 s17, 0, v62
	s_delay_alu instid0(VALU_DEP_3) | instskip(NEXT) | instid1(VALU_DEP_3)
	v_add_nc_u32_e32 v171, v114, v63
	v_cmp_eq_u32_e32 vcc_lo, 0, v170
	s_and_b32 s18, s17, vcc_lo
	s_delay_alu instid0(SALU_CYCLE_1)
	s_and_saveexec_b32 s17, s18
	s_cbranch_execz .LBB214_782
; %bb.781:                              ;   in Loop: Header=BB214_730 Depth=2
	s_wait_dscnt 0x0
	v_bcnt_u32_b32 v62, v62, v169
	ds_store_b32 v171, v62 offset:544
.LBB214_782:                            ;   in Loop: Header=BB214_730 Depth=2
	s_or_b32 exec_lo, exec_lo, s17
	v_and_b32_e32 v62, 0xff, v142
	; wave barrier
	s_delay_alu instid0(VALU_DEP_1) | instskip(NEXT) | instid1(VALU_DEP_1)
	v_lshrrev_b32_e32 v62, s49, v62
	v_and_b32_e32 v64, s48, v62
	s_delay_alu instid0(VALU_DEP_1) | instskip(SKIP_1) | instid1(VALU_DEP_1)
	v_lshlrev_b32_e32 v65, 30, v64
	v_bitop3_b32 v63, v62, 1, s48 bitop3:0x80
	v_add_co_u32 v62, s17, v63, -1
	s_delay_alu instid0(VALU_DEP_1) | instskip(NEXT) | instid1(VALU_DEP_4)
	v_cndmask_b32_e64 v63, 0, 1, s17
	v_cmp_gt_i32_e64 s17, 0, v65
	s_delay_alu instid0(VALU_DEP_2) | instskip(SKIP_2) | instid1(VALU_DEP_2)
	v_cmp_ne_u32_e32 vcc_lo, 0, v63
	v_not_b32_e32 v63, v65
	v_bitop3_b32 v62, vcc_lo, exec_lo, v62 bitop3:0x48
	v_dual_ashrrev_i32 v63, 31, v63 :: v_dual_lshlrev_b32 v172, 29, v64
	v_dual_lshlrev_b32 v173, 28, v64 :: v_dual_lshlrev_b32 v174, 27, v64
	v_lshlrev_b32_e32 v175, 26, v64
	s_delay_alu instid0(VALU_DEP_3)
	v_not_b32_e32 v65, v172
	v_lshlrev_b32_e32 v176, 25, v64
	v_cmp_gt_i32_e64 s18, 0, v172
	v_cmp_gt_i32_e64 s19, 0, v173
	v_not_b32_e32 v172, v173
	v_not_b32_e32 v173, v174
	v_ashrrev_i32_e32 v65, 31, v65
	v_cmp_gt_i32_e64 s20, 0, v174
	v_cmp_gt_i32_e64 s21, 0, v175
	v_not_b32_e32 v174, v175
	v_dual_ashrrev_i32 v172, 31, v172 :: v_dual_ashrrev_i32 v173, 31, v173
	v_xor_b32_e32 v63, s17, v63
	v_not_b32_e32 v175, v176
	s_delay_alu instid0(VALU_DEP_4) | instskip(NEXT) | instid1(VALU_DEP_4)
	v_dual_ashrrev_i32 v174, 31, v174 :: v_dual_bitop2_b32 v65, s18, v65 bitop3:0x14
	v_xor_b32_e32 v172, s19, v172
	v_xor_b32_e32 v173, s20, v173
	v_cmp_gt_i32_e32 vcc_lo, 0, v176
	s_delay_alu instid0(VALU_DEP_4) | instskip(SKIP_3) | instid1(VALU_DEP_4)
	v_bitop3_b32 v62, v62, v65, v63 bitop3:0x80
	v_ashrrev_i32_e32 v63, 31, v175
	v_mad_u32_u24 v65, v64, 36, v114
	v_xor_b32_e32 v174, s21, v174
	v_bitop3_b32 v62, v62, v173, v172 bitop3:0x80
	s_delay_alu instid0(VALU_DEP_4) | instskip(SKIP_3) | instid1(VALU_DEP_2)
	v_xor_b32_e32 v63, vcc_lo, v63
	ds_load_b32 v172, v65 offset:544
	; wave barrier
	v_bitop3_b32 v62, v62, v63, v174 bitop3:0x80
	v_mul_u32_u24_e32 v63, 36, v64
	v_mbcnt_lo_u32_b32 v173, v62, 0
	v_cmp_ne_u32_e64 s17, 0, v62
	s_delay_alu instid0(VALU_DEP_3) | instskip(NEXT) | instid1(VALU_DEP_3)
	v_add_nc_u32_e32 v174, v114, v63
	v_cmp_eq_u32_e32 vcc_lo, 0, v173
	s_and_b32 s18, s17, vcc_lo
	s_delay_alu instid0(SALU_CYCLE_1)
	s_and_saveexec_b32 s17, s18
	s_cbranch_execz .LBB214_784
; %bb.783:                              ;   in Loop: Header=BB214_730 Depth=2
	s_wait_dscnt 0x0
	v_bcnt_u32_b32 v62, v62, v172
	ds_store_b32 v174, v62 offset:544
.LBB214_784:                            ;   in Loop: Header=BB214_730 Depth=2
	s_or_b32 exec_lo, exec_lo, s17
	v_and_b32_e32 v62, 0xff, v143
	; wave barrier
	s_delay_alu instid0(VALU_DEP_1) | instskip(NEXT) | instid1(VALU_DEP_1)
	v_lshrrev_b32_e32 v62, s49, v62
	v_and_b32_e32 v64, s48, v62
	s_delay_alu instid0(VALU_DEP_1) | instskip(SKIP_1) | instid1(VALU_DEP_1)
	v_lshlrev_b32_e32 v65, 30, v64
	v_bitop3_b32 v63, v62, 1, s48 bitop3:0x80
	v_add_co_u32 v62, s17, v63, -1
	s_delay_alu instid0(VALU_DEP_1) | instskip(NEXT) | instid1(VALU_DEP_4)
	v_cndmask_b32_e64 v63, 0, 1, s17
	v_cmp_gt_i32_e64 s17, 0, v65
	s_delay_alu instid0(VALU_DEP_2) | instskip(SKIP_2) | instid1(VALU_DEP_2)
	v_cmp_ne_u32_e32 vcc_lo, 0, v63
	v_not_b32_e32 v63, v65
	v_bitop3_b32 v62, vcc_lo, exec_lo, v62 bitop3:0x48
	v_dual_ashrrev_i32 v63, 31, v63 :: v_dual_lshlrev_b32 v175, 29, v64
	v_dual_lshlrev_b32 v176, 28, v64 :: v_dual_lshlrev_b32 v177, 27, v64
	v_lshlrev_b32_e32 v178, 26, v64
	s_delay_alu instid0(VALU_DEP_3)
	v_not_b32_e32 v65, v175
	v_lshlrev_b32_e32 v179, 25, v64
	v_cmp_gt_i32_e64 s18, 0, v175
	v_cmp_gt_i32_e64 s19, 0, v176
	v_not_b32_e32 v175, v176
	v_not_b32_e32 v176, v177
	v_ashrrev_i32_e32 v65, 31, v65
	v_cmp_gt_i32_e64 s20, 0, v177
	v_cmp_gt_i32_e64 s21, 0, v178
	v_not_b32_e32 v177, v178
	v_dual_ashrrev_i32 v175, 31, v175 :: v_dual_ashrrev_i32 v176, 31, v176
	v_xor_b32_e32 v63, s17, v63
	v_not_b32_e32 v178, v179
	v_xor_b32_e32 v65, s18, v65
	s_delay_alu instid0(VALU_DEP_4) | instskip(SKIP_2) | instid1(VALU_DEP_4)
	v_dual_ashrrev_i32 v177, 31, v177 :: v_dual_bitop2_b32 v175, s19, v175 bitop3:0x14
	v_xor_b32_e32 v176, s20, v176
	v_cmp_gt_i32_e32 vcc_lo, 0, v179
	v_bitop3_b32 v62, v62, v65, v63 bitop3:0x80
	v_ashrrev_i32_e32 v63, 31, v178
	v_mad_u32_u24 v65, v64, 36, v114
	v_xor_b32_e32 v177, s21, v177
	s_delay_alu instid0(VALU_DEP_4) | instskip(NEXT) | instid1(VALU_DEP_4)
	v_bitop3_b32 v62, v62, v176, v175 bitop3:0x80
	v_xor_b32_e32 v63, vcc_lo, v63
	ds_load_b32 v175, v65 offset:544
	; wave barrier
	v_bitop3_b32 v62, v62, v63, v177 bitop3:0x80
	v_mul_u32_u24_e32 v63, 36, v64
	s_delay_alu instid0(VALU_DEP_2) | instskip(SKIP_1) | instid1(VALU_DEP_3)
	v_mbcnt_lo_u32_b32 v176, v62, 0
	v_cmp_ne_u32_e64 s17, 0, v62
	v_add_nc_u32_e32 v177, v114, v63
	s_delay_alu instid0(VALU_DEP_3) | instskip(SKIP_1) | instid1(SALU_CYCLE_1)
	v_cmp_eq_u32_e32 vcc_lo, 0, v176
	s_and_b32 s18, s17, vcc_lo
	s_and_saveexec_b32 s17, s18
	s_cbranch_execz .LBB214_786
; %bb.785:                              ;   in Loop: Header=BB214_730 Depth=2
	s_wait_dscnt 0x0
	v_bcnt_u32_b32 v62, v62, v175
	ds_store_b32 v177, v62 offset:544
.LBB214_786:                            ;   in Loop: Header=BB214_730 Depth=2
	s_or_b32 exec_lo, exec_lo, s17
	v_and_b32_e32 v62, 0xff, v144
	; wave barrier
	s_delay_alu instid0(VALU_DEP_1) | instskip(NEXT) | instid1(VALU_DEP_1)
	v_lshrrev_b32_e32 v62, s49, v62
	v_and_b32_e32 v64, s48, v62
	s_delay_alu instid0(VALU_DEP_1) | instskip(SKIP_1) | instid1(VALU_DEP_1)
	v_lshlrev_b32_e32 v65, 30, v64
	v_bitop3_b32 v63, v62, 1, s48 bitop3:0x80
	v_add_co_u32 v62, s17, v63, -1
	s_delay_alu instid0(VALU_DEP_1) | instskip(NEXT) | instid1(VALU_DEP_4)
	v_cndmask_b32_e64 v63, 0, 1, s17
	v_cmp_gt_i32_e64 s17, 0, v65
	s_delay_alu instid0(VALU_DEP_2) | instskip(SKIP_2) | instid1(VALU_DEP_2)
	v_cmp_ne_u32_e32 vcc_lo, 0, v63
	v_not_b32_e32 v63, v65
	v_bitop3_b32 v62, vcc_lo, exec_lo, v62 bitop3:0x48
	v_dual_ashrrev_i32 v63, 31, v63 :: v_dual_lshlrev_b32 v178, 29, v64
	v_dual_lshlrev_b32 v179, 28, v64 :: v_dual_lshlrev_b32 v180, 27, v64
	v_lshlrev_b32_e32 v181, 26, v64
	s_delay_alu instid0(VALU_DEP_3)
	v_not_b32_e32 v65, v178
	v_lshlrev_b32_e32 v182, 25, v64
	v_cmp_gt_i32_e64 s18, 0, v178
	v_cmp_gt_i32_e64 s19, 0, v179
	v_not_b32_e32 v178, v179
	v_not_b32_e32 v179, v180
	v_ashrrev_i32_e32 v65, 31, v65
	v_cmp_gt_i32_e64 s20, 0, v180
	v_cmp_gt_i32_e64 s21, 0, v181
	v_not_b32_e32 v180, v181
	v_dual_ashrrev_i32 v178, 31, v178 :: v_dual_ashrrev_i32 v179, 31, v179
	v_xor_b32_e32 v63, s17, v63
	v_xor_b32_e32 v65, s18, v65
	v_not_b32_e32 v181, v182
	s_delay_alu instid0(VALU_DEP_4) | instskip(SKIP_1) | instid1(VALU_DEP_4)
	v_dual_ashrrev_i32 v180, 31, v180 :: v_dual_bitop2_b32 v178, s19, v178 bitop3:0x14
	v_xor_b32_e32 v179, s20, v179
	v_bitop3_b32 v62, v62, v65, v63 bitop3:0x80
	v_cmp_gt_i32_e32 vcc_lo, 0, v182
	v_ashrrev_i32_e32 v63, 31, v181
	v_mad_u32_u24 v65, v64, 36, v114
	v_xor_b32_e32 v180, s21, v180
	v_bitop3_b32 v62, v62, v179, v178 bitop3:0x80
	s_delay_alu instid0(VALU_DEP_4) | instskip(SKIP_3) | instid1(VALU_DEP_2)
	v_xor_b32_e32 v63, vcc_lo, v63
	ds_load_b32 v178, v65 offset:544
	; wave barrier
	v_bitop3_b32 v62, v62, v63, v180 bitop3:0x80
	v_mul_u32_u24_e32 v63, 36, v64
	v_mbcnt_lo_u32_b32 v179, v62, 0
	v_cmp_ne_u32_e64 s17, 0, v62
	s_delay_alu instid0(VALU_DEP_3) | instskip(NEXT) | instid1(VALU_DEP_3)
	v_add_nc_u32_e32 v180, v114, v63
	v_cmp_eq_u32_e32 vcc_lo, 0, v179
	s_and_b32 s18, s17, vcc_lo
	s_delay_alu instid0(SALU_CYCLE_1)
	s_and_saveexec_b32 s17, s18
	s_cbranch_execz .LBB214_788
; %bb.787:                              ;   in Loop: Header=BB214_730 Depth=2
	s_wait_dscnt 0x0
	v_bcnt_u32_b32 v62, v62, v178
	ds_store_b32 v180, v62 offset:544
.LBB214_788:                            ;   in Loop: Header=BB214_730 Depth=2
	s_or_b32 exec_lo, exec_lo, s17
	v_and_b32_e32 v62, 0xff, v145
	; wave barrier
	s_delay_alu instid0(VALU_DEP_1) | instskip(NEXT) | instid1(VALU_DEP_1)
	v_lshrrev_b32_e32 v62, s49, v62
	v_and_b32_e32 v64, s48, v62
	s_delay_alu instid0(VALU_DEP_1) | instskip(SKIP_1) | instid1(VALU_DEP_1)
	v_lshlrev_b32_e32 v65, 30, v64
	v_bitop3_b32 v63, v62, 1, s48 bitop3:0x80
	v_add_co_u32 v62, s17, v63, -1
	s_delay_alu instid0(VALU_DEP_1) | instskip(NEXT) | instid1(VALU_DEP_4)
	v_cndmask_b32_e64 v63, 0, 1, s17
	v_cmp_gt_i32_e64 s17, 0, v65
	s_delay_alu instid0(VALU_DEP_2) | instskip(SKIP_2) | instid1(VALU_DEP_2)
	v_cmp_ne_u32_e32 vcc_lo, 0, v63
	v_not_b32_e32 v63, v65
	v_bitop3_b32 v62, vcc_lo, exec_lo, v62 bitop3:0x48
	v_dual_ashrrev_i32 v63, 31, v63 :: v_dual_lshlrev_b32 v181, 29, v64
	v_dual_lshlrev_b32 v182, 28, v64 :: v_dual_lshlrev_b32 v183, 27, v64
	s_delay_alu instid0(VALU_DEP_2) | instskip(NEXT) | instid1(VALU_DEP_3)
	v_dual_lshlrev_b32 v184, 26, v64 :: v_dual_bitop2_b32 v63, s17, v63 bitop3:0x14
	v_not_b32_e32 v65, v181
	v_lshlrev_b32_e32 v185, 25, v64
	v_cmp_gt_i32_e64 s18, 0, v181
	v_cmp_gt_i32_e64 s19, 0, v182
	v_not_b32_e32 v181, v182
	v_not_b32_e32 v182, v183
	v_ashrrev_i32_e32 v65, 31, v65
	v_cmp_gt_i32_e64 s20, 0, v183
	v_cmp_gt_i32_e64 s21, 0, v184
	v_not_b32_e32 v183, v184
	v_dual_ashrrev_i32 v181, 31, v181 :: v_dual_ashrrev_i32 v182, 31, v182
	v_xor_b32_e32 v65, s18, v65
	v_not_b32_e32 v184, v185
	s_delay_alu instid0(VALU_DEP_3) | instskip(NEXT) | instid1(VALU_DEP_4)
	v_dual_ashrrev_i32 v183, 31, v183 :: v_dual_bitop2_b32 v181, s19, v181 bitop3:0x14
	v_xor_b32_e32 v182, s20, v182
	s_delay_alu instid0(VALU_DEP_4)
	v_bitop3_b32 v62, v62, v65, v63 bitop3:0x80
	v_cmp_gt_i32_e32 vcc_lo, 0, v185
	v_ashrrev_i32_e32 v63, 31, v184
	v_mad_u32_u24 v65, v64, 36, v114
	v_xor_b32_e32 v183, s21, v183
	v_bitop3_b32 v62, v62, v182, v181 bitop3:0x80
	s_delay_alu instid0(VALU_DEP_4) | instskip(SKIP_3) | instid1(VALU_DEP_2)
	v_xor_b32_e32 v63, vcc_lo, v63
	ds_load_b32 v181, v65 offset:544
	; wave barrier
	v_bitop3_b32 v62, v62, v63, v183 bitop3:0x80
	v_mul_u32_u24_e32 v63, 36, v64
	v_mbcnt_lo_u32_b32 v182, v62, 0
	v_cmp_ne_u32_e64 s17, 0, v62
	s_delay_alu instid0(VALU_DEP_3) | instskip(NEXT) | instid1(VALU_DEP_3)
	v_add_nc_u32_e32 v183, v114, v63
	v_cmp_eq_u32_e32 vcc_lo, 0, v182
	s_and_b32 s18, s17, vcc_lo
	s_delay_alu instid0(SALU_CYCLE_1)
	s_and_saveexec_b32 s17, s18
	s_cbranch_execz .LBB214_790
; %bb.789:                              ;   in Loop: Header=BB214_730 Depth=2
	s_wait_dscnt 0x0
	v_bcnt_u32_b32 v62, v62, v181
	ds_store_b32 v183, v62 offset:544
.LBB214_790:                            ;   in Loop: Header=BB214_730 Depth=2
	s_or_b32 exec_lo, exec_lo, s17
	v_and_b32_e32 v62, 0xff, v146
	; wave barrier
	s_delay_alu instid0(VALU_DEP_1) | instskip(NEXT) | instid1(VALU_DEP_1)
	v_lshrrev_b32_e32 v62, s49, v62
	v_and_b32_e32 v64, s48, v62
	s_delay_alu instid0(VALU_DEP_1) | instskip(SKIP_1) | instid1(VALU_DEP_1)
	v_lshlrev_b32_e32 v65, 30, v64
	v_bitop3_b32 v63, v62, 1, s48 bitop3:0x80
	v_add_co_u32 v62, s17, v63, -1
	s_delay_alu instid0(VALU_DEP_1) | instskip(NEXT) | instid1(VALU_DEP_4)
	v_cndmask_b32_e64 v63, 0, 1, s17
	v_cmp_gt_i32_e64 s17, 0, v65
	s_delay_alu instid0(VALU_DEP_2) | instskip(SKIP_2) | instid1(VALU_DEP_2)
	v_cmp_ne_u32_e32 vcc_lo, 0, v63
	v_not_b32_e32 v63, v65
	v_bitop3_b32 v62, vcc_lo, exec_lo, v62 bitop3:0x48
	v_dual_ashrrev_i32 v63, 31, v63 :: v_dual_lshlrev_b32 v184, 29, v64
	v_dual_lshlrev_b32 v185, 28, v64 :: v_dual_lshlrev_b32 v186, 27, v64
	v_lshlrev_b32_e32 v187, 26, v64
	s_delay_alu instid0(VALU_DEP_3)
	v_not_b32_e32 v65, v184
	v_lshlrev_b32_e32 v188, 25, v64
	v_cmp_gt_i32_e64 s18, 0, v184
	v_cmp_gt_i32_e64 s19, 0, v185
	v_not_b32_e32 v184, v185
	v_not_b32_e32 v185, v186
	v_ashrrev_i32_e32 v65, 31, v65
	v_cmp_gt_i32_e64 s20, 0, v186
	v_cmp_gt_i32_e64 s21, 0, v187
	v_not_b32_e32 v186, v187
	v_dual_ashrrev_i32 v184, 31, v184 :: v_dual_ashrrev_i32 v185, 31, v185
	v_xor_b32_e32 v63, s17, v63
	v_not_b32_e32 v187, v188
	s_delay_alu instid0(VALU_DEP_4) | instskip(NEXT) | instid1(VALU_DEP_4)
	v_dual_ashrrev_i32 v186, 31, v186 :: v_dual_bitop2_b32 v65, s18, v65 bitop3:0x14
	v_xor_b32_e32 v184, s19, v184
	v_xor_b32_e32 v185, s20, v185
	v_cmp_gt_i32_e32 vcc_lo, 0, v188
	s_delay_alu instid0(VALU_DEP_4) | instskip(SKIP_3) | instid1(VALU_DEP_4)
	v_bitop3_b32 v62, v62, v65, v63 bitop3:0x80
	v_ashrrev_i32_e32 v63, 31, v187
	v_mad_u32_u24 v65, v64, 36, v114
	v_xor_b32_e32 v186, s21, v186
	v_bitop3_b32 v62, v62, v185, v184 bitop3:0x80
	s_delay_alu instid0(VALU_DEP_4) | instskip(SKIP_3) | instid1(VALU_DEP_2)
	v_xor_b32_e32 v63, vcc_lo, v63
	ds_load_b32 v184, v65 offset:544
	; wave barrier
	v_bitop3_b32 v62, v62, v63, v186 bitop3:0x80
	v_mul_u32_u24_e32 v63, 36, v64
	v_mbcnt_lo_u32_b32 v185, v62, 0
	v_cmp_ne_u32_e64 s17, 0, v62
	s_delay_alu instid0(VALU_DEP_3) | instskip(NEXT) | instid1(VALU_DEP_3)
	v_add_nc_u32_e32 v186, v114, v63
	v_cmp_eq_u32_e32 vcc_lo, 0, v185
	s_and_b32 s18, s17, vcc_lo
	s_delay_alu instid0(SALU_CYCLE_1)
	s_and_saveexec_b32 s17, s18
	s_cbranch_execz .LBB214_792
; %bb.791:                              ;   in Loop: Header=BB214_730 Depth=2
	s_wait_dscnt 0x0
	v_bcnt_u32_b32 v62, v62, v184
	ds_store_b32 v186, v62 offset:544
.LBB214_792:                            ;   in Loop: Header=BB214_730 Depth=2
	s_or_b32 exec_lo, exec_lo, s17
	v_and_b32_e32 v62, 0xff, v147
	; wave barrier
	s_delay_alu instid0(VALU_DEP_1) | instskip(NEXT) | instid1(VALU_DEP_1)
	v_lshrrev_b32_e32 v62, s49, v62
	v_and_b32_e32 v64, s48, v62
	s_delay_alu instid0(VALU_DEP_1) | instskip(SKIP_1) | instid1(VALU_DEP_1)
	v_lshlrev_b32_e32 v65, 30, v64
	v_bitop3_b32 v63, v62, 1, s48 bitop3:0x80
	v_add_co_u32 v62, s17, v63, -1
	s_delay_alu instid0(VALU_DEP_1) | instskip(NEXT) | instid1(VALU_DEP_4)
	v_cndmask_b32_e64 v63, 0, 1, s17
	v_cmp_gt_i32_e64 s17, 0, v65
	s_delay_alu instid0(VALU_DEP_2) | instskip(SKIP_2) | instid1(VALU_DEP_2)
	v_cmp_ne_u32_e32 vcc_lo, 0, v63
	v_not_b32_e32 v63, v65
	v_bitop3_b32 v62, vcc_lo, exec_lo, v62 bitop3:0x48
	v_dual_ashrrev_i32 v63, 31, v63 :: v_dual_lshlrev_b32 v187, 29, v64
	v_dual_lshlrev_b32 v188, 28, v64 :: v_dual_lshlrev_b32 v189, 27, v64
	v_lshlrev_b32_e32 v190, 26, v64
	s_delay_alu instid0(VALU_DEP_3)
	v_not_b32_e32 v65, v187
	v_lshlrev_b32_e32 v191, 25, v64
	v_cmp_gt_i32_e64 s18, 0, v187
	v_cmp_gt_i32_e64 s19, 0, v188
	v_not_b32_e32 v187, v188
	v_not_b32_e32 v188, v189
	v_ashrrev_i32_e32 v65, 31, v65
	v_cmp_gt_i32_e64 s20, 0, v189
	v_cmp_gt_i32_e64 s21, 0, v190
	v_not_b32_e32 v189, v190
	v_dual_ashrrev_i32 v187, 31, v187 :: v_dual_ashrrev_i32 v188, 31, v188
	v_xor_b32_e32 v63, s17, v63
	v_not_b32_e32 v190, v191
	v_xor_b32_e32 v65, s18, v65
	s_delay_alu instid0(VALU_DEP_4) | instskip(SKIP_2) | instid1(VALU_DEP_4)
	v_dual_ashrrev_i32 v189, 31, v189 :: v_dual_bitop2_b32 v187, s19, v187 bitop3:0x14
	v_xor_b32_e32 v188, s20, v188
	v_cmp_gt_i32_e32 vcc_lo, 0, v191
	v_bitop3_b32 v62, v62, v65, v63 bitop3:0x80
	v_ashrrev_i32_e32 v63, 31, v190
	v_mad_u32_u24 v65, v64, 36, v114
	v_xor_b32_e32 v189, s21, v189
	s_delay_alu instid0(VALU_DEP_4) | instskip(NEXT) | instid1(VALU_DEP_4)
	v_bitop3_b32 v62, v62, v188, v187 bitop3:0x80
	v_xor_b32_e32 v63, vcc_lo, v63
	ds_load_b32 v187, v65 offset:544
	; wave barrier
	v_bitop3_b32 v62, v62, v63, v189 bitop3:0x80
	v_mul_u32_u24_e32 v63, 36, v64
	s_delay_alu instid0(VALU_DEP_2) | instskip(SKIP_1) | instid1(VALU_DEP_3)
	v_mbcnt_lo_u32_b32 v188, v62, 0
	v_cmp_ne_u32_e64 s17, 0, v62
	v_add_nc_u32_e32 v189, v114, v63
	s_delay_alu instid0(VALU_DEP_3) | instskip(SKIP_1) | instid1(SALU_CYCLE_1)
	v_cmp_eq_u32_e32 vcc_lo, 0, v188
	s_and_b32 s18, s17, vcc_lo
	s_and_saveexec_b32 s17, s18
	s_cbranch_execz .LBB214_794
; %bb.793:                              ;   in Loop: Header=BB214_730 Depth=2
	s_wait_dscnt 0x0
	v_bcnt_u32_b32 v62, v62, v187
	ds_store_b32 v189, v62 offset:544
.LBB214_794:                            ;   in Loop: Header=BB214_730 Depth=2
	s_or_b32 exec_lo, exec_lo, s17
	v_and_b32_e32 v62, 0xff, v148
	; wave barrier
	s_delay_alu instid0(VALU_DEP_1) | instskip(NEXT) | instid1(VALU_DEP_1)
	v_lshrrev_b32_e32 v62, s49, v62
	v_and_b32_e32 v64, s48, v62
	s_delay_alu instid0(VALU_DEP_1) | instskip(SKIP_1) | instid1(VALU_DEP_1)
	v_lshlrev_b32_e32 v65, 30, v64
	v_bitop3_b32 v63, v62, 1, s48 bitop3:0x80
	v_add_co_u32 v62, s17, v63, -1
	s_delay_alu instid0(VALU_DEP_1) | instskip(NEXT) | instid1(VALU_DEP_4)
	v_cndmask_b32_e64 v63, 0, 1, s17
	v_cmp_gt_i32_e64 s17, 0, v65
	s_delay_alu instid0(VALU_DEP_2) | instskip(SKIP_2) | instid1(VALU_DEP_2)
	v_cmp_ne_u32_e32 vcc_lo, 0, v63
	v_not_b32_e32 v63, v65
	v_bitop3_b32 v62, vcc_lo, exec_lo, v62 bitop3:0x48
	v_dual_ashrrev_i32 v63, 31, v63 :: v_dual_lshlrev_b32 v190, 29, v64
	v_dual_lshlrev_b32 v191, 28, v64 :: v_dual_lshlrev_b32 v192, 27, v64
	v_lshlrev_b32_e32 v193, 26, v64
	s_delay_alu instid0(VALU_DEP_3)
	v_not_b32_e32 v65, v190
	v_lshlrev_b32_e32 v194, 25, v64
	v_cmp_gt_i32_e64 s18, 0, v190
	v_cmp_gt_i32_e64 s19, 0, v191
	v_not_b32_e32 v190, v191
	v_not_b32_e32 v191, v192
	v_ashrrev_i32_e32 v65, 31, v65
	v_cmp_gt_i32_e64 s20, 0, v192
	v_cmp_gt_i32_e64 s21, 0, v193
	v_not_b32_e32 v192, v193
	v_dual_ashrrev_i32 v190, 31, v190 :: v_dual_ashrrev_i32 v191, 31, v191
	v_xor_b32_e32 v63, s17, v63
	v_xor_b32_e32 v65, s18, v65
	v_not_b32_e32 v193, v194
	s_delay_alu instid0(VALU_DEP_4) | instskip(SKIP_1) | instid1(VALU_DEP_4)
	v_dual_ashrrev_i32 v192, 31, v192 :: v_dual_bitop2_b32 v190, s19, v190 bitop3:0x14
	v_xor_b32_e32 v191, s20, v191
	v_bitop3_b32 v62, v62, v65, v63 bitop3:0x80
	v_cmp_gt_i32_e32 vcc_lo, 0, v194
	v_ashrrev_i32_e32 v63, 31, v193
	v_mad_u32_u24 v65, v64, 36, v114
	v_xor_b32_e32 v192, s21, v192
	v_bitop3_b32 v62, v62, v191, v190 bitop3:0x80
	s_delay_alu instid0(VALU_DEP_4) | instskip(SKIP_3) | instid1(VALU_DEP_2)
	v_xor_b32_e32 v63, vcc_lo, v63
	ds_load_b32 v190, v65 offset:544
	; wave barrier
	v_bitop3_b32 v62, v62, v63, v192 bitop3:0x80
	v_mul_u32_u24_e32 v63, 36, v64
	v_mbcnt_lo_u32_b32 v191, v62, 0
	v_cmp_ne_u32_e64 s17, 0, v62
	s_delay_alu instid0(VALU_DEP_3) | instskip(NEXT) | instid1(VALU_DEP_3)
	v_add_nc_u32_e32 v192, v114, v63
	v_cmp_eq_u32_e32 vcc_lo, 0, v191
	s_and_b32 s18, s17, vcc_lo
	s_delay_alu instid0(SALU_CYCLE_1)
	s_and_saveexec_b32 s17, s18
	s_cbranch_execz .LBB214_796
; %bb.795:                              ;   in Loop: Header=BB214_730 Depth=2
	s_wait_dscnt 0x0
	v_bcnt_u32_b32 v62, v62, v190
	ds_store_b32 v192, v62 offset:544
.LBB214_796:                            ;   in Loop: Header=BB214_730 Depth=2
	s_or_b32 exec_lo, exec_lo, s17
	v_and_b32_e32 v62, 0xff, v149
	; wave barrier
	s_delay_alu instid0(VALU_DEP_1) | instskip(NEXT) | instid1(VALU_DEP_1)
	v_lshrrev_b32_e32 v62, s49, v62
	v_and_b32_e32 v64, s48, v62
	s_delay_alu instid0(VALU_DEP_1) | instskip(SKIP_1) | instid1(VALU_DEP_1)
	v_lshlrev_b32_e32 v65, 30, v64
	v_bitop3_b32 v63, v62, 1, s48 bitop3:0x80
	v_add_co_u32 v62, s17, v63, -1
	s_delay_alu instid0(VALU_DEP_1) | instskip(NEXT) | instid1(VALU_DEP_4)
	v_cndmask_b32_e64 v63, 0, 1, s17
	v_cmp_gt_i32_e64 s17, 0, v65
	s_delay_alu instid0(VALU_DEP_2) | instskip(SKIP_2) | instid1(VALU_DEP_2)
	v_cmp_ne_u32_e32 vcc_lo, 0, v63
	v_not_b32_e32 v63, v65
	v_bitop3_b32 v62, vcc_lo, exec_lo, v62 bitop3:0x48
	v_dual_ashrrev_i32 v63, 31, v63 :: v_dual_lshlrev_b32 v193, 29, v64
	v_dual_lshlrev_b32 v194, 28, v64 :: v_dual_lshlrev_b32 v195, 27, v64
	s_delay_alu instid0(VALU_DEP_2) | instskip(NEXT) | instid1(VALU_DEP_3)
	v_dual_lshlrev_b32 v196, 26, v64 :: v_dual_bitop2_b32 v63, s17, v63 bitop3:0x14
	v_not_b32_e32 v65, v193
	v_lshlrev_b32_e32 v197, 25, v64
	v_cmp_gt_i32_e64 s18, 0, v193
	v_cmp_gt_i32_e64 s19, 0, v194
	v_not_b32_e32 v193, v194
	v_not_b32_e32 v194, v195
	v_ashrrev_i32_e32 v65, 31, v65
	v_cmp_gt_i32_e64 s20, 0, v195
	v_cmp_gt_i32_e64 s21, 0, v196
	v_not_b32_e32 v195, v196
	v_dual_ashrrev_i32 v193, 31, v193 :: v_dual_ashrrev_i32 v194, 31, v194
	v_xor_b32_e32 v65, s18, v65
	v_not_b32_e32 v196, v197
	s_delay_alu instid0(VALU_DEP_3) | instskip(NEXT) | instid1(VALU_DEP_4)
	v_dual_ashrrev_i32 v195, 31, v195 :: v_dual_bitop2_b32 v193, s19, v193 bitop3:0x14
	v_xor_b32_e32 v194, s20, v194
	s_delay_alu instid0(VALU_DEP_4)
	v_bitop3_b32 v62, v62, v65, v63 bitop3:0x80
	v_cmp_gt_i32_e32 vcc_lo, 0, v197
	v_ashrrev_i32_e32 v63, 31, v196
	v_mad_u32_u24 v65, v64, 36, v114
	v_xor_b32_e32 v195, s21, v195
	v_bitop3_b32 v62, v62, v194, v193 bitop3:0x80
	s_delay_alu instid0(VALU_DEP_4) | instskip(SKIP_3) | instid1(VALU_DEP_2)
	v_xor_b32_e32 v63, vcc_lo, v63
	ds_load_b32 v193, v65 offset:544
	; wave barrier
	v_bitop3_b32 v62, v62, v63, v195 bitop3:0x80
	v_mul_u32_u24_e32 v63, 36, v64
	v_mbcnt_lo_u32_b32 v194, v62, 0
	v_cmp_ne_u32_e64 s17, 0, v62
	s_delay_alu instid0(VALU_DEP_3) | instskip(NEXT) | instid1(VALU_DEP_3)
	v_add_nc_u32_e32 v195, v114, v63
	v_cmp_eq_u32_e32 vcc_lo, 0, v194
	s_and_b32 s18, s17, vcc_lo
	s_delay_alu instid0(SALU_CYCLE_1)
	s_and_saveexec_b32 s17, s18
	s_cbranch_execz .LBB214_798
; %bb.797:                              ;   in Loop: Header=BB214_730 Depth=2
	s_wait_dscnt 0x0
	v_bcnt_u32_b32 v62, v62, v193
	ds_store_b32 v195, v62 offset:544
.LBB214_798:                            ;   in Loop: Header=BB214_730 Depth=2
	s_or_b32 exec_lo, exec_lo, s17
	v_and_b32_e32 v62, 0xff, v150
	; wave barrier
	s_delay_alu instid0(VALU_DEP_1) | instskip(NEXT) | instid1(VALU_DEP_1)
	v_lshrrev_b32_e32 v62, s49, v62
	v_and_b32_e32 v64, s48, v62
	s_delay_alu instid0(VALU_DEP_1) | instskip(SKIP_1) | instid1(VALU_DEP_1)
	v_lshlrev_b32_e32 v65, 30, v64
	v_bitop3_b32 v63, v62, 1, s48 bitop3:0x80
	v_add_co_u32 v62, s17, v63, -1
	s_delay_alu instid0(VALU_DEP_1) | instskip(NEXT) | instid1(VALU_DEP_4)
	v_cndmask_b32_e64 v63, 0, 1, s17
	v_cmp_gt_i32_e64 s17, 0, v65
	s_delay_alu instid0(VALU_DEP_2) | instskip(SKIP_2) | instid1(VALU_DEP_2)
	v_cmp_ne_u32_e32 vcc_lo, 0, v63
	v_not_b32_e32 v63, v65
	v_bitop3_b32 v62, vcc_lo, exec_lo, v62 bitop3:0x48
	v_dual_ashrrev_i32 v63, 31, v63 :: v_dual_lshlrev_b32 v196, 29, v64
	v_dual_lshlrev_b32 v197, 28, v64 :: v_dual_lshlrev_b32 v198, 27, v64
	v_lshlrev_b32_e32 v199, 26, v64
	s_delay_alu instid0(VALU_DEP_3)
	v_not_b32_e32 v65, v196
	v_lshlrev_b32_e32 v200, 25, v64
	v_cmp_gt_i32_e64 s18, 0, v196
	v_cmp_gt_i32_e64 s19, 0, v197
	v_not_b32_e32 v196, v197
	v_not_b32_e32 v197, v198
	v_ashrrev_i32_e32 v65, 31, v65
	v_cmp_gt_i32_e64 s20, 0, v198
	v_cmp_gt_i32_e64 s21, 0, v199
	v_not_b32_e32 v198, v199
	v_dual_ashrrev_i32 v196, 31, v196 :: v_dual_ashrrev_i32 v197, 31, v197
	v_xor_b32_e32 v63, s17, v63
	v_not_b32_e32 v199, v200
	s_delay_alu instid0(VALU_DEP_4) | instskip(NEXT) | instid1(VALU_DEP_4)
	v_dual_ashrrev_i32 v198, 31, v198 :: v_dual_bitop2_b32 v65, s18, v65 bitop3:0x14
	v_xor_b32_e32 v196, s19, v196
	v_xor_b32_e32 v197, s20, v197
	v_cmp_gt_i32_e32 vcc_lo, 0, v200
	s_delay_alu instid0(VALU_DEP_4) | instskip(SKIP_3) | instid1(VALU_DEP_4)
	v_bitop3_b32 v62, v62, v65, v63 bitop3:0x80
	v_ashrrev_i32_e32 v63, 31, v199
	v_mad_u32_u24 v65, v64, 36, v114
	v_xor_b32_e32 v198, s21, v198
	v_bitop3_b32 v62, v62, v197, v196 bitop3:0x80
	s_delay_alu instid0(VALU_DEP_4) | instskip(SKIP_3) | instid1(VALU_DEP_2)
	v_xor_b32_e32 v63, vcc_lo, v63
	ds_load_b32 v196, v65 offset:544
	; wave barrier
	v_bitop3_b32 v62, v62, v63, v198 bitop3:0x80
	v_mul_u32_u24_e32 v63, 36, v64
	v_mbcnt_lo_u32_b32 v197, v62, 0
	v_cmp_ne_u32_e64 s17, 0, v62
	s_delay_alu instid0(VALU_DEP_3) | instskip(NEXT) | instid1(VALU_DEP_3)
	v_add_nc_u32_e32 v198, v114, v63
	v_cmp_eq_u32_e32 vcc_lo, 0, v197
	s_and_b32 s18, s17, vcc_lo
	s_delay_alu instid0(SALU_CYCLE_1)
	s_and_saveexec_b32 s17, s18
	s_cbranch_execz .LBB214_800
; %bb.799:                              ;   in Loop: Header=BB214_730 Depth=2
	s_wait_dscnt 0x0
	v_bcnt_u32_b32 v62, v62, v196
	ds_store_b32 v198, v62 offset:544
.LBB214_800:                            ;   in Loop: Header=BB214_730 Depth=2
	s_or_b32 exec_lo, exec_lo, s17
	v_and_b32_e32 v62, 0xff, v151
	; wave barrier
	s_delay_alu instid0(VALU_DEP_1) | instskip(NEXT) | instid1(VALU_DEP_1)
	v_lshrrev_b32_e32 v62, s49, v62
	v_and_b32_e32 v64, s48, v62
	s_delay_alu instid0(VALU_DEP_1) | instskip(SKIP_1) | instid1(VALU_DEP_1)
	v_lshlrev_b32_e32 v65, 30, v64
	v_bitop3_b32 v63, v62, 1, s48 bitop3:0x80
	v_add_co_u32 v62, s17, v63, -1
	s_delay_alu instid0(VALU_DEP_1) | instskip(NEXT) | instid1(VALU_DEP_4)
	v_cndmask_b32_e64 v63, 0, 1, s17
	v_cmp_gt_i32_e64 s17, 0, v65
	s_delay_alu instid0(VALU_DEP_2) | instskip(SKIP_2) | instid1(VALU_DEP_2)
	v_cmp_ne_u32_e32 vcc_lo, 0, v63
	v_not_b32_e32 v63, v65
	v_bitop3_b32 v62, vcc_lo, exec_lo, v62 bitop3:0x48
	v_dual_ashrrev_i32 v63, 31, v63 :: v_dual_lshlrev_b32 v199, 29, v64
	v_dual_lshlrev_b32 v200, 28, v64 :: v_dual_lshlrev_b32 v201, 27, v64
	v_lshlrev_b32_e32 v202, 26, v64
	s_delay_alu instid0(VALU_DEP_3)
	v_not_b32_e32 v65, v199
	v_lshlrev_b32_e32 v203, 25, v64
	v_cmp_gt_i32_e64 s18, 0, v199
	v_cmp_gt_i32_e64 s19, 0, v200
	v_not_b32_e32 v199, v200
	v_not_b32_e32 v200, v201
	v_ashrrev_i32_e32 v65, 31, v65
	v_cmp_gt_i32_e64 s20, 0, v201
	v_cmp_gt_i32_e64 s21, 0, v202
	v_not_b32_e32 v201, v202
	v_dual_ashrrev_i32 v199, 31, v199 :: v_dual_ashrrev_i32 v200, 31, v200
	v_xor_b32_e32 v63, s17, v63
	v_not_b32_e32 v202, v203
	v_xor_b32_e32 v65, s18, v65
	s_delay_alu instid0(VALU_DEP_4) | instskip(SKIP_2) | instid1(VALU_DEP_4)
	v_dual_ashrrev_i32 v201, 31, v201 :: v_dual_bitop2_b32 v199, s19, v199 bitop3:0x14
	v_xor_b32_e32 v200, s20, v200
	v_cmp_gt_i32_e32 vcc_lo, 0, v203
	v_bitop3_b32 v62, v62, v65, v63 bitop3:0x80
	v_ashrrev_i32_e32 v63, 31, v202
	v_mad_u32_u24 v65, v64, 36, v114
	v_xor_b32_e32 v201, s21, v201
	s_delay_alu instid0(VALU_DEP_4) | instskip(NEXT) | instid1(VALU_DEP_4)
	v_bitop3_b32 v62, v62, v200, v199 bitop3:0x80
	v_xor_b32_e32 v63, vcc_lo, v63
	ds_load_b32 v199, v65 offset:544
	; wave barrier
	v_bitop3_b32 v62, v62, v63, v201 bitop3:0x80
	v_mul_u32_u24_e32 v63, 36, v64
	s_delay_alu instid0(VALU_DEP_2) | instskip(SKIP_1) | instid1(VALU_DEP_3)
	v_mbcnt_lo_u32_b32 v200, v62, 0
	v_cmp_ne_u32_e64 s17, 0, v62
	v_add_nc_u32_e32 v201, v114, v63
	s_delay_alu instid0(VALU_DEP_3) | instskip(SKIP_1) | instid1(SALU_CYCLE_1)
	v_cmp_eq_u32_e32 vcc_lo, 0, v200
	s_and_b32 s18, s17, vcc_lo
	s_and_saveexec_b32 s17, s18
	s_cbranch_execz .LBB214_802
; %bb.801:                              ;   in Loop: Header=BB214_730 Depth=2
	s_wait_dscnt 0x0
	v_bcnt_u32_b32 v62, v62, v199
	ds_store_b32 v201, v62 offset:544
.LBB214_802:                            ;   in Loop: Header=BB214_730 Depth=2
	s_or_b32 exec_lo, exec_lo, s17
	; wave barrier
	s_wait_dscnt 0x0
	s_barrier_signal -1
	s_barrier_wait -1
	ds_load_2addr_b32 v[64:65], v90 offset0:136 offset1:137
	ds_load_2addr_b32 v[62:63], v90 offset0:138 offset1:139
	ds_load_b32 v202, v90 offset:560
	s_wait_dscnt 0x1
	v_add3_u32 v203, v65, v64, v62
	s_wait_dscnt 0x0
	s_delay_alu instid0(VALU_DEP_1) | instskip(NEXT) | instid1(VALU_DEP_1)
	v_add3_u32 v202, v203, v63, v202
	v_mov_b32_dpp v203, v202 row_shr:1 row_mask:0xf bank_mask:0xf
	s_delay_alu instid0(VALU_DEP_1) | instskip(NEXT) | instid1(VALU_DEP_1)
	v_cndmask_b32_e64 v203, v203, 0, s8
	v_add_nc_u32_e32 v202, v203, v202
	s_delay_alu instid0(VALU_DEP_1) | instskip(NEXT) | instid1(VALU_DEP_1)
	v_mov_b32_dpp v203, v202 row_shr:2 row_mask:0xf bank_mask:0xf
	v_cndmask_b32_e64 v203, 0, v203, s9
	s_delay_alu instid0(VALU_DEP_1) | instskip(NEXT) | instid1(VALU_DEP_1)
	v_add_nc_u32_e32 v202, v202, v203
	v_mov_b32_dpp v203, v202 row_shr:4 row_mask:0xf bank_mask:0xf
	s_delay_alu instid0(VALU_DEP_1) | instskip(NEXT) | instid1(VALU_DEP_1)
	v_cndmask_b32_e64 v203, 0, v203, s10
	v_add_nc_u32_e32 v202, v202, v203
	s_delay_alu instid0(VALU_DEP_1) | instskip(NEXT) | instid1(VALU_DEP_1)
	v_mov_b32_dpp v203, v202 row_shr:8 row_mask:0xf bank_mask:0xf
	v_cndmask_b32_e64 v203, 0, v203, s11
	s_delay_alu instid0(VALU_DEP_1) | instskip(SKIP_3) | instid1(VALU_DEP_1)
	v_add_nc_u32_e32 v202, v202, v203
	ds_swizzle_b32 v203, v202 offset:swizzle(BROADCAST,32,15)
	s_wait_dscnt 0x0
	v_cndmask_b32_e64 v203, v203, 0, s12
	v_add_nc_u32_e32 v202, v202, v203
	s_and_saveexec_b32 s17, s2
; %bb.803:                              ;   in Loop: Header=BB214_730 Depth=2
	ds_store_b32 v83, v202 offset:512
; %bb.804:                              ;   in Loop: Header=BB214_730 Depth=2
	s_or_b32 exec_lo, exec_lo, s17
	s_wait_dscnt 0x0
	s_barrier_signal -1
	s_barrier_wait -1
	s_and_saveexec_b32 s17, s3
	s_cbranch_execz .LBB214_806
; %bb.805:                              ;   in Loop: Header=BB214_730 Depth=2
	ds_load_b32 v203, v92 offset:512
	s_wait_dscnt 0x0
	v_mov_b32_dpp v204, v203 row_shr:1 row_mask:0xf bank_mask:0xf
	s_delay_alu instid0(VALU_DEP_1) | instskip(NEXT) | instid1(VALU_DEP_1)
	v_cndmask_b32_e64 v204, v204, 0, s14
	v_add_nc_u32_e32 v203, v204, v203
	s_delay_alu instid0(VALU_DEP_1) | instskip(NEXT) | instid1(VALU_DEP_1)
	v_mov_b32_dpp v204, v203 row_shr:2 row_mask:0xf bank_mask:0xf
	v_cndmask_b32_e64 v204, 0, v204, s15
	s_delay_alu instid0(VALU_DEP_1) | instskip(NEXT) | instid1(VALU_DEP_1)
	v_add_nc_u32_e32 v203, v203, v204
	v_mov_b32_dpp v204, v203 row_shr:4 row_mask:0xf bank_mask:0xf
	s_delay_alu instid0(VALU_DEP_1) | instskip(NEXT) | instid1(VALU_DEP_1)
	v_cndmask_b32_e64 v204, 0, v204, s16
	v_add_nc_u32_e32 v203, v203, v204
	ds_store_b32 v92, v203 offset:512
.LBB214_806:                            ;   in Loop: Header=BB214_730 Depth=2
	s_or_b32 exec_lo, exec_lo, s17
	v_mov_b32_e32 v203, 0
	s_wait_dscnt 0x0
	s_barrier_signal -1
	s_barrier_wait -1
	s_and_saveexec_b32 s17, s5
; %bb.807:                              ;   in Loop: Header=BB214_730 Depth=2
	ds_load_b32 v203, v83 offset:508
; %bb.808:                              ;   in Loop: Header=BB214_730 Depth=2
	s_or_b32 exec_lo, exec_lo, s17
	s_wait_dscnt 0x0
	v_add_nc_u32_e32 v202, v203, v202
	ds_bpermute_b32 v202, v96, v202
	s_wait_dscnt 0x0
	v_cndmask_b32_e64 v202, v202, v203, s13
	s_delay_alu instid0(VALU_DEP_1) | instskip(NEXT) | instid1(VALU_DEP_1)
	v_cndmask_b32_e64 v202, v202, 0, s6
	v_add_nc_u32_e32 v64, v202, v64
	s_delay_alu instid0(VALU_DEP_1) | instskip(NEXT) | instid1(VALU_DEP_1)
	v_add_nc_u32_e32 v65, v64, v65
	v_add_nc_u32_e32 v62, v65, v62
	s_delay_alu instid0(VALU_DEP_1)
	v_add_nc_u32_e32 v63, v62, v63
	ds_store_2addr_b32 v90, v202, v64 offset0:136 offset1:137
	ds_store_2addr_b32 v90, v65, v62 offset0:138 offset1:139
	ds_store_b32 v90, v63 offset:560
	s_wait_dscnt 0x0
	s_barrier_signal -1
	s_barrier_wait -1
	ds_load_b32 v62, v153 offset:544
	ds_load_b32 v63, v156 offset:544
	;; [unrolled: 1-line block ×17, first 2 shown]
	s_and_saveexec_b32 s17, s0
	s_cbranch_execz .LBB214_812
; %bb.809:                              ;   in Loop: Header=BB214_730 Depth=2
	v_dual_mov_b32 v133, 0x1100 :: v_dual_add_nc_u32 v132, v92, v94
	ds_load_b32 v132, v132 offset:544
	s_and_saveexec_b32 s18, s7
; %bb.810:                              ;   in Loop: Header=BB214_730 Depth=2
	ds_load_b32 v133, v93 offset:544
; %bb.811:                              ;   in Loop: Header=BB214_730 Depth=2
	s_or_b32 exec_lo, exec_lo, s18
	s_wait_dscnt 0x0
	v_sub_nc_u32_e32 v133, v133, v132
.LBB214_812:                            ;   in Loop: Header=BB214_730 Depth=2
	s_or_b32 exec_lo, exec_lo, s17
	s_wait_dscnt 0x0
	s_barrier_signal -1
	s_barrier_wait -1
	s_and_saveexec_b32 s17, s0
	s_cbranch_execz .LBB214_814
; %bb.813:                              ;   in Loop: Header=BB214_730 Depth=2
	ds_load_b32 v162, v66
	s_wait_dscnt 0x0
	v_sub_nc_u32_e32 v162, v162, v132
	ds_store_b32 v66, v162
.LBB214_814:                            ;   in Loop: Header=BB214_730 Depth=2
	s_or_b32 exec_lo, exec_lo, s17
	v_add_nc_u32_e32 v174, v62, v152
	v_add3_u32 v171, v155, v154, v63
	v_add3_u32 v168, v158, v157, v64
	v_add3_u32 v165, v161, v160, v65
	v_add3_u32 v162, v164, v163, v153
	v_add3_u32 v161, v167, v166, v156
	v_add3_u32 v160, v170, v169, v159
	v_add3_u32 v159, v173, v172, v202
	v_add3_u32 v158, v176, v175, v177
	v_add3_u32 v157, v179, v178, v180
	v_add3_u32 v156, v182, v181, v183
	v_add3_u32 v155, v185, v184, v186
	v_add3_u32 v154, v188, v187, v189
	v_add3_u32 v153, v191, v190, v192
	v_add3_u32 v152, v194, v193, v195
	v_add3_u32 v65, v197, v196, v198
	v_add3_u32 v64, v200, v199, v201
	v_cmp_lt_u32_e32 vcc_lo, v2, v134
	ds_store_b8 v174, v135 offset:512
	ds_store_b8 v171, v136 offset:512
	ds_store_b8 v168, v137 offset:512
	ds_store_b8 v165, v138 offset:512
	ds_store_b8 v162, v139 offset:512
	ds_store_b8 v161, v140 offset:512
	ds_store_b8 v160, v141 offset:512
	ds_store_b8 v159, v142 offset:512
	ds_store_b8 v158, v143 offset:512
	ds_store_b8 v157, v144 offset:512
	ds_store_b8 v156, v145 offset:512
	ds_store_b8 v155, v146 offset:512
	ds_store_b8 v154, v147 offset:512
	ds_store_b8 v153, v148 offset:512
	ds_store_b8 v152, v149 offset:512
	ds_store_b8 v65, v150 offset:512
	ds_store_b8 v64, v151 offset:512
	s_wait_dscnt 0x0
	s_barrier_signal -1
	s_barrier_wait -1
	s_and_saveexec_b32 s17, vcc_lo
	s_cbranch_execnz .LBB214_887
; %bb.815:                              ;   in Loop: Header=BB214_730 Depth=2
	s_or_b32 exec_lo, exec_lo, s17
	v_cmp_lt_u32_e64 s17, v67, v134
	s_and_saveexec_b32 s18, s17
	s_cbranch_execnz .LBB214_888
.LBB214_816:                            ;   in Loop: Header=BB214_730 Depth=2
	s_or_b32 exec_lo, exec_lo, s18
	v_cmp_lt_u32_e64 s18, v68, v134
	s_and_saveexec_b32 s19, s18
	s_cbranch_execnz .LBB214_889
.LBB214_817:                            ;   in Loop: Header=BB214_730 Depth=2
	s_or_b32 exec_lo, exec_lo, s19
	v_cmp_lt_u32_e64 s19, v69, v134
	s_and_saveexec_b32 s20, s19
	s_cbranch_execnz .LBB214_890
.LBB214_818:                            ;   in Loop: Header=BB214_730 Depth=2
	s_or_b32 exec_lo, exec_lo, s20
	v_cmp_lt_u32_e64 s20, v70, v134
	s_and_saveexec_b32 s21, s20
	s_cbranch_execnz .LBB214_891
.LBB214_819:                            ;   in Loop: Header=BB214_730 Depth=2
	s_or_b32 exec_lo, exec_lo, s21
	v_cmp_lt_u32_e64 s21, v71, v134
	s_and_saveexec_b32 s22, s21
	s_cbranch_execnz .LBB214_892
.LBB214_820:                            ;   in Loop: Header=BB214_730 Depth=2
	s_or_b32 exec_lo, exec_lo, s22
	v_cmp_lt_u32_e64 s22, v72, v134
	s_and_saveexec_b32 s23, s22
	s_cbranch_execnz .LBB214_893
.LBB214_821:                            ;   in Loop: Header=BB214_730 Depth=2
	s_or_b32 exec_lo, exec_lo, s23
	v_cmp_lt_u32_e64 s23, v73, v134
	s_and_saveexec_b32 s24, s23
	s_cbranch_execnz .LBB214_894
.LBB214_822:                            ;   in Loop: Header=BB214_730 Depth=2
	s_or_b32 exec_lo, exec_lo, s24
	v_cmp_lt_u32_e64 s24, v74, v134
	s_and_saveexec_b32 s25, s24
	s_cbranch_execnz .LBB214_895
.LBB214_823:                            ;   in Loop: Header=BB214_730 Depth=2
	s_or_b32 exec_lo, exec_lo, s25
	v_cmp_lt_u32_e64 s25, v75, v134
	s_and_saveexec_b32 s26, s25
	s_cbranch_execnz .LBB214_896
.LBB214_824:                            ;   in Loop: Header=BB214_730 Depth=2
	s_or_b32 exec_lo, exec_lo, s26
	v_cmp_lt_u32_e64 s26, v76, v134
	s_and_saveexec_b32 s27, s26
	s_cbranch_execnz .LBB214_897
.LBB214_825:                            ;   in Loop: Header=BB214_730 Depth=2
	s_or_b32 exec_lo, exec_lo, s27
	v_cmp_lt_u32_e64 s27, v77, v134
	s_and_saveexec_b32 s28, s27
	s_cbranch_execnz .LBB214_898
.LBB214_826:                            ;   in Loop: Header=BB214_730 Depth=2
	s_or_b32 exec_lo, exec_lo, s28
	v_cmp_lt_u32_e64 s28, v78, v134
	s_and_saveexec_b32 s29, s28
	s_cbranch_execnz .LBB214_899
.LBB214_827:                            ;   in Loop: Header=BB214_730 Depth=2
	s_or_b32 exec_lo, exec_lo, s29
	v_cmp_lt_u32_e64 s29, v79, v134
	s_and_saveexec_b32 s30, s29
	s_cbranch_execnz .LBB214_900
.LBB214_828:                            ;   in Loop: Header=BB214_730 Depth=2
	s_or_b32 exec_lo, exec_lo, s30
	v_cmp_lt_u32_e64 s30, v80, v134
	s_and_saveexec_b32 s31, s30
	s_cbranch_execnz .LBB214_901
.LBB214_829:                            ;   in Loop: Header=BB214_730 Depth=2
	s_or_b32 exec_lo, exec_lo, s31
	v_cmp_lt_u32_e64 s31, v81, v134
	s_and_saveexec_b32 s33, s31
	s_cbranch_execnz .LBB214_902
.LBB214_830:                            ;   in Loop: Header=BB214_730 Depth=2
	s_or_b32 exec_lo, exec_lo, s33
	v_cmp_lt_u32_e64 s33, v82, v134
	s_and_saveexec_b32 s60, s33
	s_cbranch_execz .LBB214_832
.LBB214_831:                            ;   in Loop: Header=BB214_730 Depth=2
	ds_load_u8 v62, v2 offset:4608
	s_wait_dscnt 0x0
	v_and_b32_e32 v63, 0xff, v62
	s_delay_alu instid0(VALU_DEP_1) | instskip(NEXT) | instid1(VALU_DEP_1)
	v_lshrrev_b32_e32 v63, s49, v63
	v_and_b32_e32 v63, s48, v63
	s_delay_alu instid0(VALU_DEP_1)
	v_lshlrev_b32_e32 v63, 2, v63
	ds_load_b32 v63, v63
	s_wait_dscnt 0x0
	v_add_nc_u32_e32 v63, v63, v82
	global_store_b8 v63, v62, s[38:39]
.LBB214_832:                            ;   in Loop: Header=BB214_730 Depth=2
	s_wait_xcnt 0x0
	s_or_b32 exec_lo, exec_lo, s60
	v_lshl_add_u64 v[62:63], s[34:35], 3, v[24:25]
	v_cmp_lt_u32_e64 s34, v97, v134
	s_and_saveexec_b32 s60, s34
	s_delay_alu instid0(SALU_CYCLE_1)
	s_xor_b32 s34, exec_lo, s60
	s_cbranch_execnz .LBB214_903
; %bb.833:                              ;   in Loop: Header=BB214_730 Depth=2
	s_or_b32 exec_lo, exec_lo, s34
	s_delay_alu instid0(SALU_CYCLE_1)
	s_mov_b32 s60, exec_lo
	v_cmpx_lt_u32_e64 v98, v134
	s_cbranch_execnz .LBB214_904
.LBB214_834:                            ;   in Loop: Header=BB214_730 Depth=2
	s_or_b32 exec_lo, exec_lo, s60
	s_delay_alu instid0(SALU_CYCLE_1)
	s_mov_b32 s60, exec_lo
	v_cmpx_lt_u32_e64 v99, v134
	s_cbranch_execnz .LBB214_905
.LBB214_835:                            ;   in Loop: Header=BB214_730 Depth=2
	s_or_b32 exec_lo, exec_lo, s60
	s_delay_alu instid0(SALU_CYCLE_1)
	s_mov_b32 s60, exec_lo
	v_cmpx_lt_u32_e64 v100, v134
	s_cbranch_execnz .LBB214_906
.LBB214_836:                            ;   in Loop: Header=BB214_730 Depth=2
	s_or_b32 exec_lo, exec_lo, s60
	s_delay_alu instid0(SALU_CYCLE_1)
	s_mov_b32 s60, exec_lo
	v_cmpx_lt_u32_e64 v101, v134
	s_cbranch_execnz .LBB214_907
.LBB214_837:                            ;   in Loop: Header=BB214_730 Depth=2
	s_or_b32 exec_lo, exec_lo, s60
	s_delay_alu instid0(SALU_CYCLE_1)
	s_mov_b32 s60, exec_lo
	v_cmpx_lt_u32_e64 v102, v134
	s_cbranch_execnz .LBB214_908
.LBB214_838:                            ;   in Loop: Header=BB214_730 Depth=2
	s_or_b32 exec_lo, exec_lo, s60
	s_delay_alu instid0(SALU_CYCLE_1)
	s_mov_b32 s60, exec_lo
	v_cmpx_lt_u32_e64 v103, v134
	s_cbranch_execnz .LBB214_909
.LBB214_839:                            ;   in Loop: Header=BB214_730 Depth=2
	s_or_b32 exec_lo, exec_lo, s60
	s_delay_alu instid0(SALU_CYCLE_1)
	s_mov_b32 s60, exec_lo
	v_cmpx_lt_u32_e64 v104, v134
	s_cbranch_execnz .LBB214_910
.LBB214_840:                            ;   in Loop: Header=BB214_730 Depth=2
	s_or_b32 exec_lo, exec_lo, s60
	s_delay_alu instid0(SALU_CYCLE_1)
	s_mov_b32 s60, exec_lo
	v_cmpx_lt_u32_e64 v105, v134
	s_cbranch_execnz .LBB214_911
.LBB214_841:                            ;   in Loop: Header=BB214_730 Depth=2
	s_or_b32 exec_lo, exec_lo, s60
	s_delay_alu instid0(SALU_CYCLE_1)
	s_mov_b32 s60, exec_lo
	v_cmpx_lt_u32_e64 v106, v134
	s_cbranch_execnz .LBB214_912
.LBB214_842:                            ;   in Loop: Header=BB214_730 Depth=2
	s_or_b32 exec_lo, exec_lo, s60
	s_delay_alu instid0(SALU_CYCLE_1)
	s_mov_b32 s60, exec_lo
	v_cmpx_lt_u32_e64 v107, v134
	s_cbranch_execnz .LBB214_913
.LBB214_843:                            ;   in Loop: Header=BB214_730 Depth=2
	s_or_b32 exec_lo, exec_lo, s60
	s_delay_alu instid0(SALU_CYCLE_1)
	s_mov_b32 s60, exec_lo
	v_cmpx_lt_u32_e64 v108, v134
	s_cbranch_execnz .LBB214_914
.LBB214_844:                            ;   in Loop: Header=BB214_730 Depth=2
	s_or_b32 exec_lo, exec_lo, s60
	s_delay_alu instid0(SALU_CYCLE_1)
	s_mov_b32 s60, exec_lo
	v_cmpx_lt_u32_e64 v109, v134
	s_cbranch_execnz .LBB214_915
.LBB214_845:                            ;   in Loop: Header=BB214_730 Depth=2
	s_or_b32 exec_lo, exec_lo, s60
	s_delay_alu instid0(SALU_CYCLE_1)
	s_mov_b32 s60, exec_lo
	v_cmpx_lt_u32_e64 v110, v134
	s_cbranch_execnz .LBB214_916
.LBB214_846:                            ;   in Loop: Header=BB214_730 Depth=2
	s_or_b32 exec_lo, exec_lo, s60
	s_delay_alu instid0(SALU_CYCLE_1)
	s_mov_b32 s60, exec_lo
	v_cmpx_lt_u32_e64 v111, v134
	s_cbranch_execnz .LBB214_917
.LBB214_847:                            ;   in Loop: Header=BB214_730 Depth=2
	s_or_b32 exec_lo, exec_lo, s60
	s_delay_alu instid0(SALU_CYCLE_1)
	s_mov_b32 s60, exec_lo
	v_cmpx_lt_u32_e64 v112, v134
	s_cbranch_execnz .LBB214_918
.LBB214_848:                            ;   in Loop: Header=BB214_730 Depth=2
	s_or_b32 exec_lo, exec_lo, s60
	s_delay_alu instid0(SALU_CYCLE_1)
	s_mov_b32 s60, exec_lo
	v_cmpx_lt_u32_e64 v113, v134
	s_cbranch_execnz .LBB214_919
.LBB214_849:                            ;   in Loop: Header=BB214_730 Depth=2
	s_or_b32 exec_lo, exec_lo, s60
	s_and_saveexec_b32 s34, vcc_lo
	s_cbranch_execnz .LBB214_920
.LBB214_850:                            ;   in Loop: Header=BB214_730 Depth=2
	s_or_b32 exec_lo, exec_lo, s34
	s_and_saveexec_b32 s34, s17
	s_cbranch_execnz .LBB214_921
.LBB214_851:                            ;   in Loop: Header=BB214_730 Depth=2
	s_or_b32 exec_lo, exec_lo, s34
	s_and_saveexec_b32 s34, s18
	s_cbranch_execnz .LBB214_922
.LBB214_852:                            ;   in Loop: Header=BB214_730 Depth=2
	s_or_b32 exec_lo, exec_lo, s34
	s_and_saveexec_b32 s34, s19
	s_cbranch_execnz .LBB214_923
.LBB214_853:                            ;   in Loop: Header=BB214_730 Depth=2
	s_or_b32 exec_lo, exec_lo, s34
	s_and_saveexec_b32 s34, s20
	s_cbranch_execnz .LBB214_924
.LBB214_854:                            ;   in Loop: Header=BB214_730 Depth=2
	s_or_b32 exec_lo, exec_lo, s34
	s_and_saveexec_b32 s34, s21
	s_cbranch_execnz .LBB214_925
.LBB214_855:                            ;   in Loop: Header=BB214_730 Depth=2
	s_or_b32 exec_lo, exec_lo, s34
	s_and_saveexec_b32 s34, s22
	s_cbranch_execnz .LBB214_926
.LBB214_856:                            ;   in Loop: Header=BB214_730 Depth=2
	s_or_b32 exec_lo, exec_lo, s34
	s_and_saveexec_b32 s34, s23
	s_cbranch_execnz .LBB214_927
.LBB214_857:                            ;   in Loop: Header=BB214_730 Depth=2
	s_or_b32 exec_lo, exec_lo, s34
	s_and_saveexec_b32 s34, s24
	s_cbranch_execnz .LBB214_928
.LBB214_858:                            ;   in Loop: Header=BB214_730 Depth=2
	s_or_b32 exec_lo, exec_lo, s34
	s_and_saveexec_b32 s34, s25
	s_cbranch_execnz .LBB214_929
.LBB214_859:                            ;   in Loop: Header=BB214_730 Depth=2
	s_or_b32 exec_lo, exec_lo, s34
	s_and_saveexec_b32 s34, s26
	s_cbranch_execnz .LBB214_930
.LBB214_860:                            ;   in Loop: Header=BB214_730 Depth=2
	s_or_b32 exec_lo, exec_lo, s34
	s_and_saveexec_b32 s34, s27
	s_cbranch_execnz .LBB214_931
.LBB214_861:                            ;   in Loop: Header=BB214_730 Depth=2
	s_or_b32 exec_lo, exec_lo, s34
	s_and_saveexec_b32 s34, s28
	s_cbranch_execnz .LBB214_932
.LBB214_862:                            ;   in Loop: Header=BB214_730 Depth=2
	s_or_b32 exec_lo, exec_lo, s34
	s_and_saveexec_b32 s34, s29
	s_cbranch_execnz .LBB214_933
.LBB214_863:                            ;   in Loop: Header=BB214_730 Depth=2
	s_or_b32 exec_lo, exec_lo, s34
	s_and_saveexec_b32 s34, s30
	s_cbranch_execnz .LBB214_934
.LBB214_864:                            ;   in Loop: Header=BB214_730 Depth=2
	s_or_b32 exec_lo, exec_lo, s34
	s_and_saveexec_b32 s34, s31
	s_cbranch_execnz .LBB214_935
.LBB214_865:                            ;   in Loop: Header=BB214_730 Depth=2
	s_or_b32 exec_lo, exec_lo, s34
	s_and_saveexec_b32 s34, s33
	s_cbranch_execz .LBB214_867
.LBB214_866:                            ;   in Loop: Header=BB214_730 Depth=2
	ds_load_u8 v62, v2 offset:4608
	s_wait_dscnt 0x0
	v_lshrrev_b32_e32 v62, s49, v62
	s_delay_alu instid0(VALU_DEP_1)
	v_and_b32_e32 v115, s48, v62
.LBB214_867:                            ;   in Loop: Header=BB214_730 Depth=2
	s_or_b32 exec_lo, exec_lo, s34
	v_dual_lshlrev_b32 v62, 3, v174 :: v_dual_lshlrev_b32 v63, 3, v171
	s_wait_loadcnt 0x0
	s_wait_storecnt 0x0
	s_barrier_signal -1
	s_barrier_wait -1
	ds_store_b64 v62, v[60:61] offset:512
	ds_store_b64 v63, v[58:59] offset:512
	v_dual_lshlrev_b32 v62, 3, v168 :: v_dual_lshlrev_b32 v63, 3, v165
	v_dual_lshlrev_b32 v134, 3, v162 :: v_dual_lshlrev_b32 v135, 3, v161
	v_lshlrev_b32_e32 v136, 3, v160
	ds_store_b64 v62, v[56:57] offset:512
	ds_store_b64 v63, v[54:55] offset:512
	ds_store_b64 v134, v[52:53] offset:512
	ds_store_b64 v135, v[50:51] offset:512
	ds_store_b64 v136, v[48:49] offset:512
	v_dual_lshlrev_b32 v62, 3, v159 :: v_dual_lshlrev_b32 v63, 3, v158
	v_dual_lshlrev_b32 v134, 3, v157 :: v_dual_lshlrev_b32 v135, 3, v156
	v_lshlrev_b32_e32 v136, 3, v155
	ds_store_b64 v62, v[46:47] offset:512
	ds_store_b64 v63, v[44:45] offset:512
	ds_store_b64 v134, v[42:43] offset:512
	;; [unrolled: 8-line block ×3, first 2 shown]
	ds_store_b64 v65, v[30:31] offset:512
	ds_store_b64 v64, v[28:29] offset:512
	s_wait_dscnt 0x0
	s_barrier_signal -1
	s_barrier_wait -1
	s_and_saveexec_b32 s34, vcc_lo
	s_cbranch_execnz .LBB214_936
; %bb.868:                              ;   in Loop: Header=BB214_730 Depth=2
	s_or_b32 exec_lo, exec_lo, s34
	s_and_saveexec_b32 s34, s17
	s_cbranch_execnz .LBB214_937
.LBB214_869:                            ;   in Loop: Header=BB214_730 Depth=2
	s_or_b32 exec_lo, exec_lo, s34
	s_and_saveexec_b32 s17, s18
	s_cbranch_execnz .LBB214_938
.LBB214_870:                            ;   in Loop: Header=BB214_730 Depth=2
	s_or_b32 exec_lo, exec_lo, s17
	s_and_saveexec_b32 s17, s19
	s_cbranch_execnz .LBB214_939
.LBB214_871:                            ;   in Loop: Header=BB214_730 Depth=2
	s_or_b32 exec_lo, exec_lo, s17
	s_and_saveexec_b32 s17, s20
	s_cbranch_execnz .LBB214_940
.LBB214_872:                            ;   in Loop: Header=BB214_730 Depth=2
	s_or_b32 exec_lo, exec_lo, s17
	s_and_saveexec_b32 s17, s21
	s_cbranch_execnz .LBB214_941
.LBB214_873:                            ;   in Loop: Header=BB214_730 Depth=2
	s_or_b32 exec_lo, exec_lo, s17
	s_and_saveexec_b32 s17, s22
	s_cbranch_execnz .LBB214_942
.LBB214_874:                            ;   in Loop: Header=BB214_730 Depth=2
	s_or_b32 exec_lo, exec_lo, s17
	s_and_saveexec_b32 s17, s23
	s_cbranch_execnz .LBB214_943
.LBB214_875:                            ;   in Loop: Header=BB214_730 Depth=2
	s_or_b32 exec_lo, exec_lo, s17
	s_and_saveexec_b32 s17, s24
	s_cbranch_execnz .LBB214_944
.LBB214_876:                            ;   in Loop: Header=BB214_730 Depth=2
	s_or_b32 exec_lo, exec_lo, s17
	s_and_saveexec_b32 s17, s25
	s_cbranch_execnz .LBB214_945
.LBB214_877:                            ;   in Loop: Header=BB214_730 Depth=2
	s_or_b32 exec_lo, exec_lo, s17
	s_and_saveexec_b32 s17, s26
	s_cbranch_execnz .LBB214_946
.LBB214_878:                            ;   in Loop: Header=BB214_730 Depth=2
	s_or_b32 exec_lo, exec_lo, s17
	s_and_saveexec_b32 s17, s27
	s_cbranch_execnz .LBB214_947
.LBB214_879:                            ;   in Loop: Header=BB214_730 Depth=2
	s_or_b32 exec_lo, exec_lo, s17
	s_and_saveexec_b32 s17, s28
	s_cbranch_execnz .LBB214_948
.LBB214_880:                            ;   in Loop: Header=BB214_730 Depth=2
	s_or_b32 exec_lo, exec_lo, s17
	s_and_saveexec_b32 s17, s29
	s_cbranch_execnz .LBB214_949
.LBB214_881:                            ;   in Loop: Header=BB214_730 Depth=2
	s_or_b32 exec_lo, exec_lo, s17
	s_and_saveexec_b32 s17, s30
	s_cbranch_execnz .LBB214_950
.LBB214_882:                            ;   in Loop: Header=BB214_730 Depth=2
	s_or_b32 exec_lo, exec_lo, s17
	s_and_saveexec_b32 s17, s31
	s_cbranch_execnz .LBB214_951
.LBB214_883:                            ;   in Loop: Header=BB214_730 Depth=2
	s_or_b32 exec_lo, exec_lo, s17
	s_and_saveexec_b32 s17, s33
	s_cbranch_execz .LBB214_885
.LBB214_884:                            ;   in Loop: Header=BB214_730 Depth=2
	v_lshlrev_b32_e32 v62, 2, v115
	v_add_nc_u32_e32 v63, v2, v95
	ds_load_b32 v64, v62
	ds_load_b64 v[62:63], v63 offset:33280
	s_wait_dscnt 0x1
	v_add_nc_u32_e32 v64, v64, v82
	s_wait_dscnt 0x0
	global_store_b64 v64, v[62:63], s[44:45] scale_offset
.LBB214_885:                            ;   in Loop: Header=BB214_730 Depth=2
	s_wait_xcnt 0x0
	s_or_b32 exec_lo, exec_lo, s17
	s_wait_storecnt 0x0
	s_barrier_signal -1
	s_barrier_wait -1
	s_and_saveexec_b32 s17, s0
	s_cbranch_execz .LBB214_729
; %bb.886:                              ;   in Loop: Header=BB214_730 Depth=2
	ds_load_b32 v62, v66
	s_wait_dscnt 0x0
	v_add3_u32 v62, v132, v133, v62
	ds_store_b32 v66, v62
	s_branch .LBB214_729
.LBB214_887:                            ;   in Loop: Header=BB214_730 Depth=2
	ds_load_u8 v62, v2 offset:512
	s_wait_dscnt 0x0
	v_and_b32_e32 v63, 0xff, v62
	s_delay_alu instid0(VALU_DEP_1) | instskip(NEXT) | instid1(VALU_DEP_1)
	v_lshrrev_b32_e32 v63, s49, v63
	v_and_b32_e32 v63, s48, v63
	s_delay_alu instid0(VALU_DEP_1)
	v_lshlrev_b32_e32 v63, 2, v63
	ds_load_b32 v63, v63
	s_wait_dscnt 0x0
	v_add_nc_u32_e32 v63, v63, v2
	global_store_b8 v63, v62, s[38:39]
	s_wait_xcnt 0x0
	s_or_b32 exec_lo, exec_lo, s17
	v_cmp_lt_u32_e64 s17, v67, v134
	s_and_saveexec_b32 s18, s17
	s_cbranch_execz .LBB214_816
.LBB214_888:                            ;   in Loop: Header=BB214_730 Depth=2
	ds_load_u8 v62, v2 offset:768
	s_wait_dscnt 0x0
	v_and_b32_e32 v63, 0xff, v62
	s_delay_alu instid0(VALU_DEP_1) | instskip(NEXT) | instid1(VALU_DEP_1)
	v_lshrrev_b32_e32 v63, s49, v63
	v_and_b32_e32 v63, s48, v63
	s_delay_alu instid0(VALU_DEP_1)
	v_lshlrev_b32_e32 v63, 2, v63
	ds_load_b32 v63, v63
	s_wait_dscnt 0x0
	v_add_nc_u32_e32 v63, v63, v67
	global_store_b8 v63, v62, s[38:39]
	s_wait_xcnt 0x0
	s_or_b32 exec_lo, exec_lo, s18
	v_cmp_lt_u32_e64 s18, v68, v134
	s_and_saveexec_b32 s19, s18
	s_cbranch_execz .LBB214_817
.LBB214_889:                            ;   in Loop: Header=BB214_730 Depth=2
	ds_load_u8 v62, v2 offset:1024
	s_wait_dscnt 0x0
	v_and_b32_e32 v63, 0xff, v62
	s_delay_alu instid0(VALU_DEP_1) | instskip(NEXT) | instid1(VALU_DEP_1)
	v_lshrrev_b32_e32 v63, s49, v63
	v_and_b32_e32 v63, s48, v63
	s_delay_alu instid0(VALU_DEP_1)
	v_lshlrev_b32_e32 v63, 2, v63
	ds_load_b32 v63, v63
	s_wait_dscnt 0x0
	v_add_nc_u32_e32 v63, v63, v68
	global_store_b8 v63, v62, s[38:39]
	s_wait_xcnt 0x0
	s_or_b32 exec_lo, exec_lo, s19
	v_cmp_lt_u32_e64 s19, v69, v134
	s_and_saveexec_b32 s20, s19
	s_cbranch_execz .LBB214_818
.LBB214_890:                            ;   in Loop: Header=BB214_730 Depth=2
	ds_load_u8 v62, v2 offset:1280
	s_wait_dscnt 0x0
	v_and_b32_e32 v63, 0xff, v62
	s_delay_alu instid0(VALU_DEP_1) | instskip(NEXT) | instid1(VALU_DEP_1)
	v_lshrrev_b32_e32 v63, s49, v63
	v_and_b32_e32 v63, s48, v63
	s_delay_alu instid0(VALU_DEP_1)
	v_lshlrev_b32_e32 v63, 2, v63
	ds_load_b32 v63, v63
	s_wait_dscnt 0x0
	v_add_nc_u32_e32 v63, v63, v69
	global_store_b8 v63, v62, s[38:39]
	s_wait_xcnt 0x0
	s_or_b32 exec_lo, exec_lo, s20
	v_cmp_lt_u32_e64 s20, v70, v134
	s_and_saveexec_b32 s21, s20
	s_cbranch_execz .LBB214_819
.LBB214_891:                            ;   in Loop: Header=BB214_730 Depth=2
	ds_load_u8 v62, v2 offset:1536
	s_wait_dscnt 0x0
	v_and_b32_e32 v63, 0xff, v62
	s_delay_alu instid0(VALU_DEP_1) | instskip(NEXT) | instid1(VALU_DEP_1)
	v_lshrrev_b32_e32 v63, s49, v63
	v_and_b32_e32 v63, s48, v63
	s_delay_alu instid0(VALU_DEP_1)
	v_lshlrev_b32_e32 v63, 2, v63
	ds_load_b32 v63, v63
	s_wait_dscnt 0x0
	v_add_nc_u32_e32 v63, v63, v70
	global_store_b8 v63, v62, s[38:39]
	s_wait_xcnt 0x0
	s_or_b32 exec_lo, exec_lo, s21
	v_cmp_lt_u32_e64 s21, v71, v134
	s_and_saveexec_b32 s22, s21
	s_cbranch_execz .LBB214_820
.LBB214_892:                            ;   in Loop: Header=BB214_730 Depth=2
	ds_load_u8 v62, v2 offset:1792
	s_wait_dscnt 0x0
	v_and_b32_e32 v63, 0xff, v62
	s_delay_alu instid0(VALU_DEP_1) | instskip(NEXT) | instid1(VALU_DEP_1)
	v_lshrrev_b32_e32 v63, s49, v63
	v_and_b32_e32 v63, s48, v63
	s_delay_alu instid0(VALU_DEP_1)
	v_lshlrev_b32_e32 v63, 2, v63
	ds_load_b32 v63, v63
	s_wait_dscnt 0x0
	v_add_nc_u32_e32 v63, v63, v71
	global_store_b8 v63, v62, s[38:39]
	s_wait_xcnt 0x0
	s_or_b32 exec_lo, exec_lo, s22
	v_cmp_lt_u32_e64 s22, v72, v134
	s_and_saveexec_b32 s23, s22
	s_cbranch_execz .LBB214_821
.LBB214_893:                            ;   in Loop: Header=BB214_730 Depth=2
	ds_load_u8 v62, v2 offset:2048
	s_wait_dscnt 0x0
	v_and_b32_e32 v63, 0xff, v62
	s_delay_alu instid0(VALU_DEP_1) | instskip(NEXT) | instid1(VALU_DEP_1)
	v_lshrrev_b32_e32 v63, s49, v63
	v_and_b32_e32 v63, s48, v63
	s_delay_alu instid0(VALU_DEP_1)
	v_lshlrev_b32_e32 v63, 2, v63
	ds_load_b32 v63, v63
	s_wait_dscnt 0x0
	v_add_nc_u32_e32 v63, v63, v72
	global_store_b8 v63, v62, s[38:39]
	s_wait_xcnt 0x0
	s_or_b32 exec_lo, exec_lo, s23
	v_cmp_lt_u32_e64 s23, v73, v134
	s_and_saveexec_b32 s24, s23
	s_cbranch_execz .LBB214_822
.LBB214_894:                            ;   in Loop: Header=BB214_730 Depth=2
	ds_load_u8 v62, v2 offset:2304
	s_wait_dscnt 0x0
	v_and_b32_e32 v63, 0xff, v62
	s_delay_alu instid0(VALU_DEP_1) | instskip(NEXT) | instid1(VALU_DEP_1)
	v_lshrrev_b32_e32 v63, s49, v63
	v_and_b32_e32 v63, s48, v63
	s_delay_alu instid0(VALU_DEP_1)
	v_lshlrev_b32_e32 v63, 2, v63
	ds_load_b32 v63, v63
	s_wait_dscnt 0x0
	v_add_nc_u32_e32 v63, v63, v73
	global_store_b8 v63, v62, s[38:39]
	s_wait_xcnt 0x0
	s_or_b32 exec_lo, exec_lo, s24
	v_cmp_lt_u32_e64 s24, v74, v134
	s_and_saveexec_b32 s25, s24
	s_cbranch_execz .LBB214_823
.LBB214_895:                            ;   in Loop: Header=BB214_730 Depth=2
	ds_load_u8 v62, v2 offset:2560
	s_wait_dscnt 0x0
	v_and_b32_e32 v63, 0xff, v62
	s_delay_alu instid0(VALU_DEP_1) | instskip(NEXT) | instid1(VALU_DEP_1)
	v_lshrrev_b32_e32 v63, s49, v63
	v_and_b32_e32 v63, s48, v63
	s_delay_alu instid0(VALU_DEP_1)
	v_lshlrev_b32_e32 v63, 2, v63
	ds_load_b32 v63, v63
	s_wait_dscnt 0x0
	v_add_nc_u32_e32 v63, v63, v74
	global_store_b8 v63, v62, s[38:39]
	s_wait_xcnt 0x0
	s_or_b32 exec_lo, exec_lo, s25
	v_cmp_lt_u32_e64 s25, v75, v134
	s_and_saveexec_b32 s26, s25
	s_cbranch_execz .LBB214_824
.LBB214_896:                            ;   in Loop: Header=BB214_730 Depth=2
	ds_load_u8 v62, v2 offset:2816
	s_wait_dscnt 0x0
	v_and_b32_e32 v63, 0xff, v62
	s_delay_alu instid0(VALU_DEP_1) | instskip(NEXT) | instid1(VALU_DEP_1)
	v_lshrrev_b32_e32 v63, s49, v63
	v_and_b32_e32 v63, s48, v63
	s_delay_alu instid0(VALU_DEP_1)
	v_lshlrev_b32_e32 v63, 2, v63
	ds_load_b32 v63, v63
	s_wait_dscnt 0x0
	v_add_nc_u32_e32 v63, v63, v75
	global_store_b8 v63, v62, s[38:39]
	s_wait_xcnt 0x0
	s_or_b32 exec_lo, exec_lo, s26
	v_cmp_lt_u32_e64 s26, v76, v134
	s_and_saveexec_b32 s27, s26
	s_cbranch_execz .LBB214_825
.LBB214_897:                            ;   in Loop: Header=BB214_730 Depth=2
	ds_load_u8 v62, v2 offset:3072
	s_wait_dscnt 0x0
	v_and_b32_e32 v63, 0xff, v62
	s_delay_alu instid0(VALU_DEP_1) | instskip(NEXT) | instid1(VALU_DEP_1)
	v_lshrrev_b32_e32 v63, s49, v63
	v_and_b32_e32 v63, s48, v63
	s_delay_alu instid0(VALU_DEP_1)
	v_lshlrev_b32_e32 v63, 2, v63
	ds_load_b32 v63, v63
	s_wait_dscnt 0x0
	v_add_nc_u32_e32 v63, v63, v76
	global_store_b8 v63, v62, s[38:39]
	s_wait_xcnt 0x0
	s_or_b32 exec_lo, exec_lo, s27
	v_cmp_lt_u32_e64 s27, v77, v134
	s_and_saveexec_b32 s28, s27
	s_cbranch_execz .LBB214_826
.LBB214_898:                            ;   in Loop: Header=BB214_730 Depth=2
	ds_load_u8 v62, v2 offset:3328
	s_wait_dscnt 0x0
	v_and_b32_e32 v63, 0xff, v62
	s_delay_alu instid0(VALU_DEP_1) | instskip(NEXT) | instid1(VALU_DEP_1)
	v_lshrrev_b32_e32 v63, s49, v63
	v_and_b32_e32 v63, s48, v63
	s_delay_alu instid0(VALU_DEP_1)
	v_lshlrev_b32_e32 v63, 2, v63
	ds_load_b32 v63, v63
	s_wait_dscnt 0x0
	v_add_nc_u32_e32 v63, v63, v77
	global_store_b8 v63, v62, s[38:39]
	s_wait_xcnt 0x0
	s_or_b32 exec_lo, exec_lo, s28
	v_cmp_lt_u32_e64 s28, v78, v134
	s_and_saveexec_b32 s29, s28
	s_cbranch_execz .LBB214_827
.LBB214_899:                            ;   in Loop: Header=BB214_730 Depth=2
	ds_load_u8 v62, v2 offset:3584
	s_wait_dscnt 0x0
	v_and_b32_e32 v63, 0xff, v62
	s_delay_alu instid0(VALU_DEP_1) | instskip(NEXT) | instid1(VALU_DEP_1)
	v_lshrrev_b32_e32 v63, s49, v63
	v_and_b32_e32 v63, s48, v63
	s_delay_alu instid0(VALU_DEP_1)
	v_lshlrev_b32_e32 v63, 2, v63
	ds_load_b32 v63, v63
	s_wait_dscnt 0x0
	v_add_nc_u32_e32 v63, v63, v78
	global_store_b8 v63, v62, s[38:39]
	s_wait_xcnt 0x0
	s_or_b32 exec_lo, exec_lo, s29
	v_cmp_lt_u32_e64 s29, v79, v134
	s_and_saveexec_b32 s30, s29
	s_cbranch_execz .LBB214_828
.LBB214_900:                            ;   in Loop: Header=BB214_730 Depth=2
	ds_load_u8 v62, v2 offset:3840
	s_wait_dscnt 0x0
	v_and_b32_e32 v63, 0xff, v62
	s_delay_alu instid0(VALU_DEP_1) | instskip(NEXT) | instid1(VALU_DEP_1)
	v_lshrrev_b32_e32 v63, s49, v63
	v_and_b32_e32 v63, s48, v63
	s_delay_alu instid0(VALU_DEP_1)
	v_lshlrev_b32_e32 v63, 2, v63
	ds_load_b32 v63, v63
	s_wait_dscnt 0x0
	v_add_nc_u32_e32 v63, v63, v79
	global_store_b8 v63, v62, s[38:39]
	s_wait_xcnt 0x0
	s_or_b32 exec_lo, exec_lo, s30
	v_cmp_lt_u32_e64 s30, v80, v134
	s_and_saveexec_b32 s31, s30
	s_cbranch_execz .LBB214_829
.LBB214_901:                            ;   in Loop: Header=BB214_730 Depth=2
	ds_load_u8 v62, v2 offset:4096
	s_wait_dscnt 0x0
	v_and_b32_e32 v63, 0xff, v62
	s_delay_alu instid0(VALU_DEP_1) | instskip(NEXT) | instid1(VALU_DEP_1)
	v_lshrrev_b32_e32 v63, s49, v63
	v_and_b32_e32 v63, s48, v63
	s_delay_alu instid0(VALU_DEP_1)
	v_lshlrev_b32_e32 v63, 2, v63
	ds_load_b32 v63, v63
	s_wait_dscnt 0x0
	v_add_nc_u32_e32 v63, v63, v80
	global_store_b8 v63, v62, s[38:39]
	s_wait_xcnt 0x0
	s_or_b32 exec_lo, exec_lo, s31
	v_cmp_lt_u32_e64 s31, v81, v134
	s_and_saveexec_b32 s33, s31
	s_cbranch_execz .LBB214_830
.LBB214_902:                            ;   in Loop: Header=BB214_730 Depth=2
	ds_load_u8 v62, v2 offset:4352
	s_wait_dscnt 0x0
	v_and_b32_e32 v63, 0xff, v62
	s_delay_alu instid0(VALU_DEP_1) | instskip(NEXT) | instid1(VALU_DEP_1)
	v_lshrrev_b32_e32 v63, s49, v63
	v_and_b32_e32 v63, s48, v63
	s_delay_alu instid0(VALU_DEP_1)
	v_lshlrev_b32_e32 v63, 2, v63
	ds_load_b32 v63, v63
	s_wait_dscnt 0x0
	v_add_nc_u32_e32 v63, v63, v81
	global_store_b8 v63, v62, s[38:39]
	s_wait_xcnt 0x0
	s_or_b32 exec_lo, exec_lo, s33
	v_cmp_lt_u32_e64 s33, v82, v134
	s_and_saveexec_b32 s60, s33
	s_cbranch_execnz .LBB214_831
	s_branch .LBB214_832
.LBB214_903:                            ;   in Loop: Header=BB214_730 Depth=2
	global_load_b64 v[60:61], v[62:63], off
	s_wait_xcnt 0x0
	s_or_b32 exec_lo, exec_lo, s34
	s_delay_alu instid0(SALU_CYCLE_1)
	s_mov_b32 s60, exec_lo
	v_cmpx_lt_u32_e64 v98, v134
	s_cbranch_execz .LBB214_834
.LBB214_904:                            ;   in Loop: Header=BB214_730 Depth=2
	global_load_b64 v[58:59], v[62:63], off offset:256
	s_wait_xcnt 0x0
	s_or_b32 exec_lo, exec_lo, s60
	s_delay_alu instid0(SALU_CYCLE_1)
	s_mov_b32 s60, exec_lo
	v_cmpx_lt_u32_e64 v99, v134
	s_cbranch_execz .LBB214_835
.LBB214_905:                            ;   in Loop: Header=BB214_730 Depth=2
	global_load_b64 v[56:57], v[62:63], off offset:512
	s_wait_xcnt 0x0
	s_or_b32 exec_lo, exec_lo, s60
	s_delay_alu instid0(SALU_CYCLE_1)
	s_mov_b32 s60, exec_lo
	v_cmpx_lt_u32_e64 v100, v134
	s_cbranch_execz .LBB214_836
.LBB214_906:                            ;   in Loop: Header=BB214_730 Depth=2
	global_load_b64 v[54:55], v[62:63], off offset:768
	s_wait_xcnt 0x0
	s_or_b32 exec_lo, exec_lo, s60
	s_delay_alu instid0(SALU_CYCLE_1)
	s_mov_b32 s60, exec_lo
	v_cmpx_lt_u32_e64 v101, v134
	s_cbranch_execz .LBB214_837
.LBB214_907:                            ;   in Loop: Header=BB214_730 Depth=2
	global_load_b64 v[52:53], v[62:63], off offset:1024
	s_wait_xcnt 0x0
	s_or_b32 exec_lo, exec_lo, s60
	s_delay_alu instid0(SALU_CYCLE_1)
	s_mov_b32 s60, exec_lo
	v_cmpx_lt_u32_e64 v102, v134
	s_cbranch_execz .LBB214_838
.LBB214_908:                            ;   in Loop: Header=BB214_730 Depth=2
	global_load_b64 v[50:51], v[62:63], off offset:1280
	s_wait_xcnt 0x0
	s_or_b32 exec_lo, exec_lo, s60
	s_delay_alu instid0(SALU_CYCLE_1)
	s_mov_b32 s60, exec_lo
	v_cmpx_lt_u32_e64 v103, v134
	s_cbranch_execz .LBB214_839
.LBB214_909:                            ;   in Loop: Header=BB214_730 Depth=2
	global_load_b64 v[48:49], v[62:63], off offset:1536
	s_wait_xcnt 0x0
	s_or_b32 exec_lo, exec_lo, s60
	s_delay_alu instid0(SALU_CYCLE_1)
	s_mov_b32 s60, exec_lo
	v_cmpx_lt_u32_e64 v104, v134
	s_cbranch_execz .LBB214_840
.LBB214_910:                            ;   in Loop: Header=BB214_730 Depth=2
	global_load_b64 v[46:47], v[62:63], off offset:1792
	s_wait_xcnt 0x0
	s_or_b32 exec_lo, exec_lo, s60
	s_delay_alu instid0(SALU_CYCLE_1)
	s_mov_b32 s60, exec_lo
	v_cmpx_lt_u32_e64 v105, v134
	s_cbranch_execz .LBB214_841
.LBB214_911:                            ;   in Loop: Header=BB214_730 Depth=2
	global_load_b64 v[44:45], v[62:63], off offset:2048
	s_wait_xcnt 0x0
	s_or_b32 exec_lo, exec_lo, s60
	s_delay_alu instid0(SALU_CYCLE_1)
	s_mov_b32 s60, exec_lo
	v_cmpx_lt_u32_e64 v106, v134
	s_cbranch_execz .LBB214_842
.LBB214_912:                            ;   in Loop: Header=BB214_730 Depth=2
	global_load_b64 v[42:43], v[62:63], off offset:2304
	s_wait_xcnt 0x0
	s_or_b32 exec_lo, exec_lo, s60
	s_delay_alu instid0(SALU_CYCLE_1)
	s_mov_b32 s60, exec_lo
	v_cmpx_lt_u32_e64 v107, v134
	s_cbranch_execz .LBB214_843
.LBB214_913:                            ;   in Loop: Header=BB214_730 Depth=2
	global_load_b64 v[40:41], v[62:63], off offset:2560
	s_wait_xcnt 0x0
	s_or_b32 exec_lo, exec_lo, s60
	s_delay_alu instid0(SALU_CYCLE_1)
	s_mov_b32 s60, exec_lo
	v_cmpx_lt_u32_e64 v108, v134
	s_cbranch_execz .LBB214_844
.LBB214_914:                            ;   in Loop: Header=BB214_730 Depth=2
	global_load_b64 v[38:39], v[62:63], off offset:2816
	s_wait_xcnt 0x0
	s_or_b32 exec_lo, exec_lo, s60
	s_delay_alu instid0(SALU_CYCLE_1)
	s_mov_b32 s60, exec_lo
	v_cmpx_lt_u32_e64 v109, v134
	s_cbranch_execz .LBB214_845
.LBB214_915:                            ;   in Loop: Header=BB214_730 Depth=2
	global_load_b64 v[36:37], v[62:63], off offset:3072
	s_wait_xcnt 0x0
	s_or_b32 exec_lo, exec_lo, s60
	s_delay_alu instid0(SALU_CYCLE_1)
	s_mov_b32 s60, exec_lo
	v_cmpx_lt_u32_e64 v110, v134
	s_cbranch_execz .LBB214_846
.LBB214_916:                            ;   in Loop: Header=BB214_730 Depth=2
	global_load_b64 v[34:35], v[62:63], off offset:3328
	s_wait_xcnt 0x0
	s_or_b32 exec_lo, exec_lo, s60
	s_delay_alu instid0(SALU_CYCLE_1)
	s_mov_b32 s60, exec_lo
	v_cmpx_lt_u32_e64 v111, v134
	s_cbranch_execz .LBB214_847
.LBB214_917:                            ;   in Loop: Header=BB214_730 Depth=2
	global_load_b64 v[32:33], v[62:63], off offset:3584
	s_wait_xcnt 0x0
	s_or_b32 exec_lo, exec_lo, s60
	s_delay_alu instid0(SALU_CYCLE_1)
	s_mov_b32 s60, exec_lo
	v_cmpx_lt_u32_e64 v112, v134
	s_cbranch_execz .LBB214_848
.LBB214_918:                            ;   in Loop: Header=BB214_730 Depth=2
	global_load_b64 v[30:31], v[62:63], off offset:3840
	s_wait_xcnt 0x0
	s_or_b32 exec_lo, exec_lo, s60
	s_delay_alu instid0(SALU_CYCLE_1)
	s_mov_b32 s60, exec_lo
	v_cmpx_lt_u32_e64 v113, v134
	s_cbranch_execz .LBB214_849
.LBB214_919:                            ;   in Loop: Header=BB214_730 Depth=2
	global_load_b64 v[28:29], v[62:63], off offset:4096
	s_wait_xcnt 0x0
	s_or_b32 exec_lo, exec_lo, s60
	s_and_saveexec_b32 s34, vcc_lo
	s_cbranch_execz .LBB214_850
.LBB214_920:                            ;   in Loop: Header=BB214_730 Depth=2
	ds_load_u8 v62, v2 offset:512
	s_wait_dscnt 0x0
	v_lshrrev_b32_e32 v62, s49, v62
	s_delay_alu instid0(VALU_DEP_1)
	v_and_b32_e32 v131, s48, v62
	s_or_b32 exec_lo, exec_lo, s34
	s_and_saveexec_b32 s34, s17
	s_cbranch_execz .LBB214_851
.LBB214_921:                            ;   in Loop: Header=BB214_730 Depth=2
	ds_load_u8 v62, v2 offset:768
	s_wait_dscnt 0x0
	v_lshrrev_b32_e32 v62, s49, v62
	s_delay_alu instid0(VALU_DEP_1)
	v_and_b32_e32 v130, s48, v62
	s_or_b32 exec_lo, exec_lo, s34
	s_and_saveexec_b32 s34, s18
	s_cbranch_execz .LBB214_852
.LBB214_922:                            ;   in Loop: Header=BB214_730 Depth=2
	ds_load_u8 v62, v2 offset:1024
	s_wait_dscnt 0x0
	v_lshrrev_b32_e32 v62, s49, v62
	s_delay_alu instid0(VALU_DEP_1)
	v_and_b32_e32 v129, s48, v62
	s_or_b32 exec_lo, exec_lo, s34
	s_and_saveexec_b32 s34, s19
	s_cbranch_execz .LBB214_853
.LBB214_923:                            ;   in Loop: Header=BB214_730 Depth=2
	ds_load_u8 v62, v2 offset:1280
	s_wait_dscnt 0x0
	v_lshrrev_b32_e32 v62, s49, v62
	s_delay_alu instid0(VALU_DEP_1)
	v_and_b32_e32 v128, s48, v62
	s_or_b32 exec_lo, exec_lo, s34
	s_and_saveexec_b32 s34, s20
	s_cbranch_execz .LBB214_854
.LBB214_924:                            ;   in Loop: Header=BB214_730 Depth=2
	ds_load_u8 v62, v2 offset:1536
	s_wait_dscnt 0x0
	v_lshrrev_b32_e32 v62, s49, v62
	s_delay_alu instid0(VALU_DEP_1)
	v_and_b32_e32 v127, s48, v62
	s_or_b32 exec_lo, exec_lo, s34
	s_and_saveexec_b32 s34, s21
	s_cbranch_execz .LBB214_855
.LBB214_925:                            ;   in Loop: Header=BB214_730 Depth=2
	ds_load_u8 v62, v2 offset:1792
	s_wait_dscnt 0x0
	v_lshrrev_b32_e32 v62, s49, v62
	s_delay_alu instid0(VALU_DEP_1)
	v_and_b32_e32 v126, s48, v62
	s_or_b32 exec_lo, exec_lo, s34
	s_and_saveexec_b32 s34, s22
	s_cbranch_execz .LBB214_856
.LBB214_926:                            ;   in Loop: Header=BB214_730 Depth=2
	ds_load_u8 v62, v2 offset:2048
	s_wait_dscnt 0x0
	v_lshrrev_b32_e32 v62, s49, v62
	s_delay_alu instid0(VALU_DEP_1)
	v_and_b32_e32 v125, s48, v62
	s_or_b32 exec_lo, exec_lo, s34
	s_and_saveexec_b32 s34, s23
	s_cbranch_execz .LBB214_857
.LBB214_927:                            ;   in Loop: Header=BB214_730 Depth=2
	ds_load_u8 v62, v2 offset:2304
	s_wait_dscnt 0x0
	v_lshrrev_b32_e32 v62, s49, v62
	s_delay_alu instid0(VALU_DEP_1)
	v_and_b32_e32 v124, s48, v62
	s_or_b32 exec_lo, exec_lo, s34
	s_and_saveexec_b32 s34, s24
	s_cbranch_execz .LBB214_858
.LBB214_928:                            ;   in Loop: Header=BB214_730 Depth=2
	ds_load_u8 v62, v2 offset:2560
	s_wait_dscnt 0x0
	v_lshrrev_b32_e32 v62, s49, v62
	s_delay_alu instid0(VALU_DEP_1)
	v_and_b32_e32 v123, s48, v62
	s_or_b32 exec_lo, exec_lo, s34
	s_and_saveexec_b32 s34, s25
	s_cbranch_execz .LBB214_859
.LBB214_929:                            ;   in Loop: Header=BB214_730 Depth=2
	ds_load_u8 v62, v2 offset:2816
	s_wait_dscnt 0x0
	v_lshrrev_b32_e32 v62, s49, v62
	s_delay_alu instid0(VALU_DEP_1)
	v_and_b32_e32 v122, s48, v62
	s_or_b32 exec_lo, exec_lo, s34
	s_and_saveexec_b32 s34, s26
	s_cbranch_execz .LBB214_860
.LBB214_930:                            ;   in Loop: Header=BB214_730 Depth=2
	ds_load_u8 v62, v2 offset:3072
	s_wait_dscnt 0x0
	v_lshrrev_b32_e32 v62, s49, v62
	s_delay_alu instid0(VALU_DEP_1)
	v_and_b32_e32 v121, s48, v62
	s_or_b32 exec_lo, exec_lo, s34
	s_and_saveexec_b32 s34, s27
	s_cbranch_execz .LBB214_861
.LBB214_931:                            ;   in Loop: Header=BB214_730 Depth=2
	ds_load_u8 v62, v2 offset:3328
	s_wait_dscnt 0x0
	v_lshrrev_b32_e32 v62, s49, v62
	s_delay_alu instid0(VALU_DEP_1)
	v_and_b32_e32 v120, s48, v62
	s_or_b32 exec_lo, exec_lo, s34
	s_and_saveexec_b32 s34, s28
	s_cbranch_execz .LBB214_862
.LBB214_932:                            ;   in Loop: Header=BB214_730 Depth=2
	ds_load_u8 v62, v2 offset:3584
	s_wait_dscnt 0x0
	v_lshrrev_b32_e32 v62, s49, v62
	s_delay_alu instid0(VALU_DEP_1)
	v_and_b32_e32 v119, s48, v62
	s_or_b32 exec_lo, exec_lo, s34
	s_and_saveexec_b32 s34, s29
	s_cbranch_execz .LBB214_863
.LBB214_933:                            ;   in Loop: Header=BB214_730 Depth=2
	ds_load_u8 v62, v2 offset:3840
	s_wait_dscnt 0x0
	v_lshrrev_b32_e32 v62, s49, v62
	s_delay_alu instid0(VALU_DEP_1)
	v_and_b32_e32 v118, s48, v62
	s_or_b32 exec_lo, exec_lo, s34
	s_and_saveexec_b32 s34, s30
	s_cbranch_execz .LBB214_864
.LBB214_934:                            ;   in Loop: Header=BB214_730 Depth=2
	ds_load_u8 v62, v2 offset:4096
	s_wait_dscnt 0x0
	v_lshrrev_b32_e32 v62, s49, v62
	s_delay_alu instid0(VALU_DEP_1)
	v_and_b32_e32 v117, s48, v62
	s_or_b32 exec_lo, exec_lo, s34
	s_and_saveexec_b32 s34, s31
	s_cbranch_execz .LBB214_865
.LBB214_935:                            ;   in Loop: Header=BB214_730 Depth=2
	ds_load_u8 v62, v2 offset:4352
	s_wait_dscnt 0x0
	v_lshrrev_b32_e32 v62, s49, v62
	s_delay_alu instid0(VALU_DEP_1)
	v_and_b32_e32 v116, s48, v62
	s_or_b32 exec_lo, exec_lo, s34
	s_and_saveexec_b32 s34, s33
	s_cbranch_execnz .LBB214_866
	s_branch .LBB214_867
.LBB214_936:                            ;   in Loop: Header=BB214_730 Depth=2
	v_lshlrev_b32_e32 v62, 2, v131
	v_add_nc_u32_e32 v63, v2, v95
	ds_load_b32 v64, v62
	ds_load_b64 v[62:63], v63 offset:512
	s_wait_dscnt 0x1
	v_add_nc_u32_e32 v64, v64, v2
	s_wait_dscnt 0x0
	global_store_b64 v64, v[62:63], s[44:45] scale_offset
	s_wait_xcnt 0x0
	s_or_b32 exec_lo, exec_lo, s34
	s_and_saveexec_b32 s34, s17
	s_cbranch_execz .LBB214_869
.LBB214_937:                            ;   in Loop: Header=BB214_730 Depth=2
	v_dual_lshlrev_b32 v62, 2, v130 :: v_dual_add_nc_u32 v63, v2, v95
	ds_load_b32 v64, v62
	ds_load_b64 v[62:63], v63 offset:2560
	s_wait_dscnt 0x1
	v_add_nc_u32_e32 v64, v64, v67
	s_wait_dscnt 0x0
	global_store_b64 v64, v[62:63], s[44:45] scale_offset
	s_wait_xcnt 0x0
	s_or_b32 exec_lo, exec_lo, s34
	s_and_saveexec_b32 s17, s18
	s_cbranch_execz .LBB214_870
.LBB214_938:                            ;   in Loop: Header=BB214_730 Depth=2
	v_dual_lshlrev_b32 v62, 2, v129 :: v_dual_add_nc_u32 v63, v2, v95
	ds_load_b32 v64, v62
	ds_load_b64 v[62:63], v63 offset:4608
	s_wait_dscnt 0x1
	v_add_nc_u32_e32 v64, v64, v68
	s_wait_dscnt 0x0
	global_store_b64 v64, v[62:63], s[44:45] scale_offset
	s_wait_xcnt 0x0
	s_or_b32 exec_lo, exec_lo, s17
	s_and_saveexec_b32 s17, s19
	s_cbranch_execz .LBB214_871
.LBB214_939:                            ;   in Loop: Header=BB214_730 Depth=2
	v_dual_lshlrev_b32 v62, 2, v128 :: v_dual_add_nc_u32 v63, v2, v95
	ds_load_b32 v64, v62
	ds_load_b64 v[62:63], v63 offset:6656
	s_wait_dscnt 0x1
	v_add_nc_u32_e32 v64, v64, v69
	s_wait_dscnt 0x0
	global_store_b64 v64, v[62:63], s[44:45] scale_offset
	s_wait_xcnt 0x0
	s_or_b32 exec_lo, exec_lo, s17
	s_and_saveexec_b32 s17, s20
	s_cbranch_execz .LBB214_872
.LBB214_940:                            ;   in Loop: Header=BB214_730 Depth=2
	v_lshlrev_b32_e32 v62, 2, v127
	v_add_nc_u32_e32 v63, v2, v95
	ds_load_b32 v64, v62
	ds_load_b64 v[62:63], v63 offset:8704
	s_wait_dscnt 0x1
	v_add_nc_u32_e32 v64, v64, v70
	s_wait_dscnt 0x0
	global_store_b64 v64, v[62:63], s[44:45] scale_offset
	s_wait_xcnt 0x0
	s_or_b32 exec_lo, exec_lo, s17
	s_and_saveexec_b32 s17, s21
	s_cbranch_execz .LBB214_873
.LBB214_941:                            ;   in Loop: Header=BB214_730 Depth=2
	v_dual_lshlrev_b32 v62, 2, v126 :: v_dual_add_nc_u32 v63, v2, v95
	ds_load_b32 v64, v62
	ds_load_b64 v[62:63], v63 offset:10752
	s_wait_dscnt 0x1
	v_add_nc_u32_e32 v64, v64, v71
	s_wait_dscnt 0x0
	global_store_b64 v64, v[62:63], s[44:45] scale_offset
	s_wait_xcnt 0x0
	s_or_b32 exec_lo, exec_lo, s17
	s_and_saveexec_b32 s17, s22
	s_cbranch_execz .LBB214_874
.LBB214_942:                            ;   in Loop: Header=BB214_730 Depth=2
	v_dual_lshlrev_b32 v62, 2, v125 :: v_dual_add_nc_u32 v63, v2, v95
	ds_load_b32 v64, v62
	ds_load_b64 v[62:63], v63 offset:12800
	s_wait_dscnt 0x1
	v_add_nc_u32_e32 v64, v64, v72
	s_wait_dscnt 0x0
	global_store_b64 v64, v[62:63], s[44:45] scale_offset
	s_wait_xcnt 0x0
	s_or_b32 exec_lo, exec_lo, s17
	s_and_saveexec_b32 s17, s23
	s_cbranch_execz .LBB214_875
.LBB214_943:                            ;   in Loop: Header=BB214_730 Depth=2
	v_dual_lshlrev_b32 v62, 2, v124 :: v_dual_add_nc_u32 v63, v2, v95
	ds_load_b32 v64, v62
	ds_load_b64 v[62:63], v63 offset:14848
	s_wait_dscnt 0x1
	v_add_nc_u32_e32 v64, v64, v73
	s_wait_dscnt 0x0
	global_store_b64 v64, v[62:63], s[44:45] scale_offset
	s_wait_xcnt 0x0
	s_or_b32 exec_lo, exec_lo, s17
	s_and_saveexec_b32 s17, s24
	s_cbranch_execz .LBB214_876
.LBB214_944:                            ;   in Loop: Header=BB214_730 Depth=2
	v_lshlrev_b32_e32 v62, 2, v123
	v_add_nc_u32_e32 v63, v2, v95
	ds_load_b32 v64, v62
	ds_load_b64 v[62:63], v63 offset:16896
	s_wait_dscnt 0x1
	v_add_nc_u32_e32 v64, v64, v74
	s_wait_dscnt 0x0
	global_store_b64 v64, v[62:63], s[44:45] scale_offset
	s_wait_xcnt 0x0
	s_or_b32 exec_lo, exec_lo, s17
	s_and_saveexec_b32 s17, s25
	s_cbranch_execz .LBB214_877
.LBB214_945:                            ;   in Loop: Header=BB214_730 Depth=2
	v_dual_lshlrev_b32 v62, 2, v122 :: v_dual_add_nc_u32 v63, v2, v95
	ds_load_b32 v64, v62
	ds_load_b64 v[62:63], v63 offset:18944
	s_wait_dscnt 0x1
	v_add_nc_u32_e32 v64, v64, v75
	s_wait_dscnt 0x0
	global_store_b64 v64, v[62:63], s[44:45] scale_offset
	s_wait_xcnt 0x0
	s_or_b32 exec_lo, exec_lo, s17
	s_and_saveexec_b32 s17, s26
	s_cbranch_execz .LBB214_878
.LBB214_946:                            ;   in Loop: Header=BB214_730 Depth=2
	v_dual_lshlrev_b32 v62, 2, v121 :: v_dual_add_nc_u32 v63, v2, v95
	ds_load_b32 v64, v62
	ds_load_b64 v[62:63], v63 offset:20992
	s_wait_dscnt 0x1
	v_add_nc_u32_e32 v64, v64, v76
	s_wait_dscnt 0x0
	global_store_b64 v64, v[62:63], s[44:45] scale_offset
	s_wait_xcnt 0x0
	s_or_b32 exec_lo, exec_lo, s17
	s_and_saveexec_b32 s17, s27
	s_cbranch_execz .LBB214_879
.LBB214_947:                            ;   in Loop: Header=BB214_730 Depth=2
	v_dual_lshlrev_b32 v62, 2, v120 :: v_dual_add_nc_u32 v63, v2, v95
	ds_load_b32 v64, v62
	ds_load_b64 v[62:63], v63 offset:23040
	s_wait_dscnt 0x1
	v_add_nc_u32_e32 v64, v64, v77
	s_wait_dscnt 0x0
	global_store_b64 v64, v[62:63], s[44:45] scale_offset
	s_wait_xcnt 0x0
	s_or_b32 exec_lo, exec_lo, s17
	s_and_saveexec_b32 s17, s28
	s_cbranch_execz .LBB214_880
.LBB214_948:                            ;   in Loop: Header=BB214_730 Depth=2
	v_lshlrev_b32_e32 v62, 2, v119
	v_add_nc_u32_e32 v63, v2, v95
	ds_load_b32 v64, v62
	ds_load_b64 v[62:63], v63 offset:25088
	s_wait_dscnt 0x1
	v_add_nc_u32_e32 v64, v64, v78
	s_wait_dscnt 0x0
	global_store_b64 v64, v[62:63], s[44:45] scale_offset
	s_wait_xcnt 0x0
	s_or_b32 exec_lo, exec_lo, s17
	s_and_saveexec_b32 s17, s29
	s_cbranch_execz .LBB214_881
.LBB214_949:                            ;   in Loop: Header=BB214_730 Depth=2
	v_dual_lshlrev_b32 v62, 2, v118 :: v_dual_add_nc_u32 v63, v2, v95
	ds_load_b32 v64, v62
	ds_load_b64 v[62:63], v63 offset:27136
	s_wait_dscnt 0x1
	v_add_nc_u32_e32 v64, v64, v79
	s_wait_dscnt 0x0
	global_store_b64 v64, v[62:63], s[44:45] scale_offset
	s_wait_xcnt 0x0
	s_or_b32 exec_lo, exec_lo, s17
	s_and_saveexec_b32 s17, s30
	s_cbranch_execz .LBB214_882
.LBB214_950:                            ;   in Loop: Header=BB214_730 Depth=2
	v_dual_lshlrev_b32 v62, 2, v117 :: v_dual_add_nc_u32 v63, v2, v95
	ds_load_b32 v64, v62
	ds_load_b64 v[62:63], v63 offset:29184
	s_wait_dscnt 0x1
	v_add_nc_u32_e32 v64, v64, v80
	s_wait_dscnt 0x0
	global_store_b64 v64, v[62:63], s[44:45] scale_offset
	s_wait_xcnt 0x0
	s_or_b32 exec_lo, exec_lo, s17
	s_and_saveexec_b32 s17, s31
	s_cbranch_execz .LBB214_883
.LBB214_951:                            ;   in Loop: Header=BB214_730 Depth=2
	v_dual_lshlrev_b32 v62, 2, v116 :: v_dual_add_nc_u32 v63, v2, v95
	ds_load_b32 v64, v62
	ds_load_b64 v[62:63], v63 offset:31232
	s_wait_dscnt 0x1
	v_add_nc_u32_e32 v64, v64, v81
	s_wait_dscnt 0x0
	global_store_b64 v64, v[62:63], s[44:45] scale_offset
	s_wait_xcnt 0x0
	s_or_b32 exec_lo, exec_lo, s17
	s_and_saveexec_b32 s17, s33
	s_cbranch_execnz .LBB214_884
	s_branch .LBB214_885
.LBB214_952:                            ;   in Loop: Header=BB214_20 Depth=1
	s_wait_dscnt 0x0
	s_barrier_signal -1
	s_mov_b32 s8, 0
	s_barrier_wait -1
.LBB214_953:                            ;   in Loop: Header=BB214_20 Depth=1
	s_and_b32 vcc_lo, exec_lo, s8
	s_cbranch_vccz .LBB214_19
; %bb.954:                              ;   in Loop: Header=BB214_20 Depth=1
	v_dual_mov_b32 v39, 0 :: v_dual_mov_b32 v42, 0
	v_dual_mov_b32 v41, 0 :: v_dual_mov_b32 v40, 0
	;; [unrolled: 1-line block ×8, first 2 shown]
	v_mov_b32_e32 v26, 0
	s_mov_b32 s8, s57
	s_mov_b32 s34, s55
	s_barrier_signal -1
	s_barrier_wait -1
	s_branch .LBB214_956
.LBB214_955:                            ;   in Loop: Header=BB214_956 Depth=2
	s_or_b32 exec_lo, exec_lo, s10
	s_addk_co_i32 s8, 0xef00
	s_cmp_ge_u32 s9, s54
	s_mov_b32 s34, s9
	s_cbranch_scc1 .LBB214_1028
.LBB214_956:                            ;   Parent Loop BB214_20 Depth=1
                                        ; =>  This Inner Loop Header: Depth=2
	s_add_co_i32 s9, s34, 0x1100
	s_mov_b32 s10, -1
	s_cmp_gt_u32 s9, s54
                                        ; implicit-def: $vgpr24
                                        ; implicit-def: $vgpr25
                                        ; implicit-def: $vgpr43
                                        ; implicit-def: $vgpr44
                                        ; implicit-def: $vgpr45
                                        ; implicit-def: $vgpr46
                                        ; implicit-def: $vgpr47
                                        ; implicit-def: $vgpr48
                                        ; implicit-def: $vgpr49
                                        ; implicit-def: $vgpr50
                                        ; implicit-def: $vgpr51
                                        ; implicit-def: $vgpr52
                                        ; implicit-def: $vgpr53
                                        ; implicit-def: $vgpr54
                                        ; implicit-def: $vgpr55
                                        ; implicit-def: $vgpr56
                                        ; implicit-def: $vgpr57
	s_cbranch_scc1 .LBB214_958
; %bb.957:                              ;   in Loop: Header=BB214_956 Depth=2
	v_add_nc_u64_e32 v[58:59], s[34:35], v[18:19]
	s_mov_b32 s10, 0
	s_clause 0x10
	global_load_u8 v57, v[58:59], off offset:4096
	global_load_u8 v56, v[58:59], off offset:3840
	;; [unrolled: 1-line block ×16, first 2 shown]
	global_load_u8 v24, v[58:59], off
.LBB214_958:                            ;   in Loop: Header=BB214_956 Depth=2
	s_and_not1_b32 vcc_lo, exec_lo, s10
	s_movk_i32 s10, 0x1100
	s_cbranch_vccnz .LBB214_978
; %bb.959:                              ;   in Loop: Header=BB214_956 Depth=2
	s_add_nc_u64 s[10:11], s[36:37], s[34:35]
	s_wait_loadcnt 0x0
	v_add_nc_u64_e32 v[24:25], s[10:11], v[2:3]
	s_mov_b32 s10, exec_lo
	s_wait_xcnt 0x0
	v_cmpx_gt_u32_e64 s8, v2
	s_cbranch_execnz .LBB214_1012
; %bb.960:                              ;   in Loop: Header=BB214_956 Depth=2
	s_or_b32 exec_lo, exec_lo, s10
	s_delay_alu instid0(SALU_CYCLE_1)
	s_mov_b32 s10, exec_lo
	v_cmpx_gt_u32_e64 s8, v67
	s_cbranch_execnz .LBB214_1013
.LBB214_961:                            ;   in Loop: Header=BB214_956 Depth=2
	s_or_b32 exec_lo, exec_lo, s10
	s_delay_alu instid0(SALU_CYCLE_1)
	s_mov_b32 s10, exec_lo
	v_cmpx_gt_u32_e64 s8, v68
	s_cbranch_execnz .LBB214_1014
.LBB214_962:                            ;   in Loop: Header=BB214_956 Depth=2
	s_or_b32 exec_lo, exec_lo, s10
	s_delay_alu instid0(SALU_CYCLE_1)
	s_mov_b32 s10, exec_lo
	v_cmpx_gt_u32_e64 s8, v69
	s_cbranch_execnz .LBB214_1015
.LBB214_963:                            ;   in Loop: Header=BB214_956 Depth=2
	s_or_b32 exec_lo, exec_lo, s10
	s_delay_alu instid0(SALU_CYCLE_1)
	s_mov_b32 s10, exec_lo
	v_cmpx_gt_u32_e64 s8, v70
	s_cbranch_execnz .LBB214_1016
.LBB214_964:                            ;   in Loop: Header=BB214_956 Depth=2
	s_or_b32 exec_lo, exec_lo, s10
	s_delay_alu instid0(SALU_CYCLE_1)
	s_mov_b32 s10, exec_lo
	v_cmpx_gt_u32_e64 s8, v71
	s_cbranch_execnz .LBB214_1017
.LBB214_965:                            ;   in Loop: Header=BB214_956 Depth=2
	s_or_b32 exec_lo, exec_lo, s10
	s_delay_alu instid0(SALU_CYCLE_1)
	s_mov_b32 s10, exec_lo
	v_cmpx_gt_u32_e64 s8, v72
	s_cbranch_execnz .LBB214_1018
.LBB214_966:                            ;   in Loop: Header=BB214_956 Depth=2
	s_or_b32 exec_lo, exec_lo, s10
	s_delay_alu instid0(SALU_CYCLE_1)
	s_mov_b32 s10, exec_lo
	v_cmpx_gt_u32_e64 s8, v73
	s_cbranch_execnz .LBB214_1019
.LBB214_967:                            ;   in Loop: Header=BB214_956 Depth=2
	s_or_b32 exec_lo, exec_lo, s10
	s_delay_alu instid0(SALU_CYCLE_1)
	s_mov_b32 s10, exec_lo
	v_cmpx_gt_u32_e64 s8, v74
	s_cbranch_execnz .LBB214_1020
.LBB214_968:                            ;   in Loop: Header=BB214_956 Depth=2
	s_or_b32 exec_lo, exec_lo, s10
	s_delay_alu instid0(SALU_CYCLE_1)
	s_mov_b32 s10, exec_lo
	v_cmpx_gt_u32_e64 s8, v75
	s_cbranch_execnz .LBB214_1021
.LBB214_969:                            ;   in Loop: Header=BB214_956 Depth=2
	s_or_b32 exec_lo, exec_lo, s10
	s_delay_alu instid0(SALU_CYCLE_1)
	s_mov_b32 s10, exec_lo
	v_cmpx_gt_u32_e64 s8, v76
	s_cbranch_execnz .LBB214_1022
.LBB214_970:                            ;   in Loop: Header=BB214_956 Depth=2
	s_or_b32 exec_lo, exec_lo, s10
	s_delay_alu instid0(SALU_CYCLE_1)
	s_mov_b32 s10, exec_lo
	v_cmpx_gt_u32_e64 s8, v77
	s_cbranch_execnz .LBB214_1023
.LBB214_971:                            ;   in Loop: Header=BB214_956 Depth=2
	s_or_b32 exec_lo, exec_lo, s10
	s_delay_alu instid0(SALU_CYCLE_1)
	s_mov_b32 s10, exec_lo
	v_cmpx_gt_u32_e64 s8, v78
	s_cbranch_execnz .LBB214_1024
.LBB214_972:                            ;   in Loop: Header=BB214_956 Depth=2
	s_or_b32 exec_lo, exec_lo, s10
	s_delay_alu instid0(SALU_CYCLE_1)
	s_mov_b32 s10, exec_lo
	v_cmpx_gt_u32_e64 s8, v79
	s_cbranch_execnz .LBB214_1025
.LBB214_973:                            ;   in Loop: Header=BB214_956 Depth=2
	s_or_b32 exec_lo, exec_lo, s10
	s_delay_alu instid0(SALU_CYCLE_1)
	s_mov_b32 s10, exec_lo
	v_cmpx_gt_u32_e64 s8, v80
	s_cbranch_execnz .LBB214_1026
.LBB214_974:                            ;   in Loop: Header=BB214_956 Depth=2
	s_or_b32 exec_lo, exec_lo, s10
	s_delay_alu instid0(SALU_CYCLE_1)
	s_mov_b32 s10, exec_lo
	v_cmpx_gt_u32_e64 s8, v81
	s_cbranch_execnz .LBB214_1027
.LBB214_975:                            ;   in Loop: Header=BB214_956 Depth=2
	s_or_b32 exec_lo, exec_lo, s10
	s_delay_alu instid0(SALU_CYCLE_1)
	s_mov_b32 s10, exec_lo
	v_cmpx_gt_u32_e64 s8, v82
	s_cbranch_execz .LBB214_977
.LBB214_976:                            ;   in Loop: Header=BB214_956 Depth=2
	global_load_u8 v26, v[24:25], off offset:4096
.LBB214_977:                            ;   in Loop: Header=BB214_956 Depth=2
	s_wait_xcnt 0x0
	s_or_b32 exec_lo, exec_lo, s10
	s_wait_loadcnt 0x0
	v_dual_mov_b32 v24, v39 :: v_dual_mov_b32 v25, v42
	v_dual_mov_b32 v43, v41 :: v_dual_mov_b32 v44, v40
	v_dual_mov_b32 v45, v38 :: v_dual_mov_b32 v46, v37
	v_dual_mov_b32 v47, v36 :: v_dual_mov_b32 v48, v35
	v_dual_mov_b32 v49, v34 :: v_dual_mov_b32 v50, v33
	v_dual_mov_b32 v51, v32 :: v_dual_mov_b32 v52, v31
	v_dual_mov_b32 v53, v30 :: v_dual_mov_b32 v54, v29
	v_dual_mov_b32 v55, v28 :: v_dual_mov_b32 v56, v27
	v_mov_b32_e32 v57, v26
	s_mov_b32 s10, s8
.LBB214_978:                            ;   in Loop: Header=BB214_956 Depth=2
	s_wait_loadcnt 0xf
	s_delay_alu instid0(VALU_DEP_1)
	v_dual_mov_b32 v26, v57 :: v_dual_mov_b32 v27, v56
	s_wait_loadcnt 0xd
	v_dual_mov_b32 v28, v55 :: v_dual_mov_b32 v29, v54
	s_wait_loadcnt 0xb
	;; [unrolled: 2-line block ×8, first 2 shown]
	v_mov_b32_e32 v39, v24
	s_mov_b32 s11, exec_lo
	s_wait_xcnt 0x0
	v_cmpx_gt_u32_e64 s10, v2
	s_cbranch_execnz .LBB214_995
; %bb.979:                              ;   in Loop: Header=BB214_956 Depth=2
	s_or_b32 exec_lo, exec_lo, s11
	s_delay_alu instid0(SALU_CYCLE_1)
	s_mov_b32 s11, exec_lo
	v_cmpx_gt_u32_e64 s10, v67
	s_cbranch_execnz .LBB214_996
.LBB214_980:                            ;   in Loop: Header=BB214_956 Depth=2
	s_or_b32 exec_lo, exec_lo, s11
	s_delay_alu instid0(SALU_CYCLE_1)
	s_mov_b32 s11, exec_lo
	v_cmpx_gt_u32_e64 s10, v68
	s_cbranch_execnz .LBB214_997
.LBB214_981:                            ;   in Loop: Header=BB214_956 Depth=2
	s_or_b32 exec_lo, exec_lo, s11
	s_delay_alu instid0(SALU_CYCLE_1)
	s_mov_b32 s11, exec_lo
	v_cmpx_gt_u32_e64 s10, v69
	s_cbranch_execnz .LBB214_998
.LBB214_982:                            ;   in Loop: Header=BB214_956 Depth=2
	s_or_b32 exec_lo, exec_lo, s11
	s_delay_alu instid0(SALU_CYCLE_1)
	s_mov_b32 s11, exec_lo
	v_cmpx_gt_u32_e64 s10, v70
	s_cbranch_execnz .LBB214_999
.LBB214_983:                            ;   in Loop: Header=BB214_956 Depth=2
	s_or_b32 exec_lo, exec_lo, s11
	s_delay_alu instid0(SALU_CYCLE_1)
	s_mov_b32 s11, exec_lo
	v_cmpx_gt_u32_e64 s10, v71
	s_cbranch_execnz .LBB214_1000
.LBB214_984:                            ;   in Loop: Header=BB214_956 Depth=2
	s_or_b32 exec_lo, exec_lo, s11
	s_delay_alu instid0(SALU_CYCLE_1)
	s_mov_b32 s11, exec_lo
	v_cmpx_gt_u32_e64 s10, v72
	s_cbranch_execnz .LBB214_1001
.LBB214_985:                            ;   in Loop: Header=BB214_956 Depth=2
	s_or_b32 exec_lo, exec_lo, s11
	s_delay_alu instid0(SALU_CYCLE_1)
	s_mov_b32 s11, exec_lo
	v_cmpx_gt_u32_e64 s10, v73
	s_cbranch_execnz .LBB214_1002
.LBB214_986:                            ;   in Loop: Header=BB214_956 Depth=2
	s_or_b32 exec_lo, exec_lo, s11
	s_delay_alu instid0(SALU_CYCLE_1)
	s_mov_b32 s11, exec_lo
	v_cmpx_gt_u32_e64 s10, v74
	s_cbranch_execnz .LBB214_1003
.LBB214_987:                            ;   in Loop: Header=BB214_956 Depth=2
	s_or_b32 exec_lo, exec_lo, s11
	s_delay_alu instid0(SALU_CYCLE_1)
	s_mov_b32 s11, exec_lo
	v_cmpx_gt_u32_e64 s10, v75
	s_cbranch_execnz .LBB214_1004
.LBB214_988:                            ;   in Loop: Header=BB214_956 Depth=2
	s_or_b32 exec_lo, exec_lo, s11
	s_delay_alu instid0(SALU_CYCLE_1)
	s_mov_b32 s11, exec_lo
	v_cmpx_gt_u32_e64 s10, v76
	s_cbranch_execnz .LBB214_1005
.LBB214_989:                            ;   in Loop: Header=BB214_956 Depth=2
	s_or_b32 exec_lo, exec_lo, s11
	s_delay_alu instid0(SALU_CYCLE_1)
	s_mov_b32 s11, exec_lo
	v_cmpx_gt_u32_e64 s10, v77
	s_cbranch_execnz .LBB214_1006
.LBB214_990:                            ;   in Loop: Header=BB214_956 Depth=2
	s_or_b32 exec_lo, exec_lo, s11
	s_delay_alu instid0(SALU_CYCLE_1)
	s_mov_b32 s11, exec_lo
	v_cmpx_gt_u32_e64 s10, v78
	s_cbranch_execnz .LBB214_1007
.LBB214_991:                            ;   in Loop: Header=BB214_956 Depth=2
	s_or_b32 exec_lo, exec_lo, s11
	s_delay_alu instid0(SALU_CYCLE_1)
	s_mov_b32 s11, exec_lo
	v_cmpx_gt_u32_e64 s10, v79
	s_cbranch_execnz .LBB214_1008
.LBB214_992:                            ;   in Loop: Header=BB214_956 Depth=2
	s_or_b32 exec_lo, exec_lo, s11
	s_delay_alu instid0(SALU_CYCLE_1)
	s_mov_b32 s11, exec_lo
	v_cmpx_gt_u32_e64 s10, v80
	s_cbranch_execnz .LBB214_1009
.LBB214_993:                            ;   in Loop: Header=BB214_956 Depth=2
	s_or_b32 exec_lo, exec_lo, s11
	s_delay_alu instid0(SALU_CYCLE_1)
	s_mov_b32 s11, exec_lo
	v_cmpx_gt_u32_e64 s10, v81
	s_cbranch_execnz .LBB214_1010
.LBB214_994:                            ;   in Loop: Header=BB214_956 Depth=2
	s_or_b32 exec_lo, exec_lo, s11
	v_cmp_gt_u32_e32 vcc_lo, s10, v82
	s_and_saveexec_b32 s10, vcc_lo
	s_cbranch_execz .LBB214_955
	s_branch .LBB214_1011
.LBB214_995:                            ;   in Loop: Header=BB214_956 Depth=2
	v_and_b32_e32 v24, 0xff, v39
	s_delay_alu instid0(VALU_DEP_1) | instskip(NEXT) | instid1(VALU_DEP_1)
	v_lshrrev_b32_e32 v24, s49, v24
	v_and_b32_e32 v24, s48, v24
	s_delay_alu instid0(VALU_DEP_1) | instskip(SKIP_2) | instid1(SALU_CYCLE_1)
	v_lshl_or_b32 v24, v24, 4, v84
	ds_add_u32 v24, v7
	s_or_b32 exec_lo, exec_lo, s11
	s_mov_b32 s11, exec_lo
	v_cmpx_gt_u32_e64 s10, v67
	s_cbranch_execz .LBB214_980
.LBB214_996:                            ;   in Loop: Header=BB214_956 Depth=2
	v_and_b32_e32 v24, 0xff, v42
	s_delay_alu instid0(VALU_DEP_1) | instskip(NEXT) | instid1(VALU_DEP_1)
	v_lshrrev_b32_e32 v24, s49, v24
	v_and_b32_e32 v24, s48, v24
	s_delay_alu instid0(VALU_DEP_1) | instskip(SKIP_2) | instid1(SALU_CYCLE_1)
	v_lshl_or_b32 v24, v24, 4, v84
	ds_add_u32 v24, v7
	s_or_b32 exec_lo, exec_lo, s11
	s_mov_b32 s11, exec_lo
	v_cmpx_gt_u32_e64 s10, v68
	s_cbranch_execz .LBB214_981
.LBB214_997:                            ;   in Loop: Header=BB214_956 Depth=2
	v_and_b32_e32 v24, 0xff, v41
	s_delay_alu instid0(VALU_DEP_1) | instskip(NEXT) | instid1(VALU_DEP_1)
	v_lshrrev_b32_e32 v24, s49, v24
	v_and_b32_e32 v24, s48, v24
	s_delay_alu instid0(VALU_DEP_1) | instskip(SKIP_2) | instid1(SALU_CYCLE_1)
	v_lshl_or_b32 v24, v24, 4, v84
	ds_add_u32 v24, v7
	s_or_b32 exec_lo, exec_lo, s11
	s_mov_b32 s11, exec_lo
	v_cmpx_gt_u32_e64 s10, v69
	s_cbranch_execz .LBB214_982
.LBB214_998:                            ;   in Loop: Header=BB214_956 Depth=2
	v_and_b32_e32 v24, 0xff, v40
	s_delay_alu instid0(VALU_DEP_1) | instskip(NEXT) | instid1(VALU_DEP_1)
	v_lshrrev_b32_e32 v24, s49, v24
	v_and_b32_e32 v24, s48, v24
	s_delay_alu instid0(VALU_DEP_1) | instskip(SKIP_2) | instid1(SALU_CYCLE_1)
	v_lshl_or_b32 v24, v24, 4, v84
	ds_add_u32 v24, v7
	s_or_b32 exec_lo, exec_lo, s11
	s_mov_b32 s11, exec_lo
	v_cmpx_gt_u32_e64 s10, v70
	s_cbranch_execz .LBB214_983
.LBB214_999:                            ;   in Loop: Header=BB214_956 Depth=2
	v_and_b32_e32 v24, 0xff, v38
	s_delay_alu instid0(VALU_DEP_1) | instskip(NEXT) | instid1(VALU_DEP_1)
	v_lshrrev_b32_e32 v24, s49, v24
	v_and_b32_e32 v24, s48, v24
	s_delay_alu instid0(VALU_DEP_1) | instskip(SKIP_2) | instid1(SALU_CYCLE_1)
	v_lshl_or_b32 v24, v24, 4, v84
	ds_add_u32 v24, v7
	s_or_b32 exec_lo, exec_lo, s11
	s_mov_b32 s11, exec_lo
	v_cmpx_gt_u32_e64 s10, v71
	s_cbranch_execz .LBB214_984
.LBB214_1000:                           ;   in Loop: Header=BB214_956 Depth=2
	v_and_b32_e32 v24, 0xff, v37
	s_delay_alu instid0(VALU_DEP_1) | instskip(NEXT) | instid1(VALU_DEP_1)
	v_lshrrev_b32_e32 v24, s49, v24
	v_and_b32_e32 v24, s48, v24
	s_delay_alu instid0(VALU_DEP_1) | instskip(SKIP_2) | instid1(SALU_CYCLE_1)
	v_lshl_or_b32 v24, v24, 4, v84
	ds_add_u32 v24, v7
	s_or_b32 exec_lo, exec_lo, s11
	s_mov_b32 s11, exec_lo
	v_cmpx_gt_u32_e64 s10, v72
	s_cbranch_execz .LBB214_985
.LBB214_1001:                           ;   in Loop: Header=BB214_956 Depth=2
	v_and_b32_e32 v24, 0xff, v36
	s_delay_alu instid0(VALU_DEP_1) | instskip(NEXT) | instid1(VALU_DEP_1)
	v_lshrrev_b32_e32 v24, s49, v24
	v_and_b32_e32 v24, s48, v24
	s_delay_alu instid0(VALU_DEP_1) | instskip(SKIP_2) | instid1(SALU_CYCLE_1)
	v_lshl_or_b32 v24, v24, 4, v84
	ds_add_u32 v24, v7
	s_or_b32 exec_lo, exec_lo, s11
	s_mov_b32 s11, exec_lo
	v_cmpx_gt_u32_e64 s10, v73
	s_cbranch_execz .LBB214_986
.LBB214_1002:                           ;   in Loop: Header=BB214_956 Depth=2
	v_and_b32_e32 v24, 0xff, v35
	s_delay_alu instid0(VALU_DEP_1) | instskip(NEXT) | instid1(VALU_DEP_1)
	v_lshrrev_b32_e32 v24, s49, v24
	v_and_b32_e32 v24, s48, v24
	s_delay_alu instid0(VALU_DEP_1) | instskip(SKIP_2) | instid1(SALU_CYCLE_1)
	v_lshl_or_b32 v24, v24, 4, v84
	ds_add_u32 v24, v7
	s_or_b32 exec_lo, exec_lo, s11
	s_mov_b32 s11, exec_lo
	v_cmpx_gt_u32_e64 s10, v74
	s_cbranch_execz .LBB214_987
.LBB214_1003:                           ;   in Loop: Header=BB214_956 Depth=2
	v_and_b32_e32 v24, 0xff, v34
	s_delay_alu instid0(VALU_DEP_1) | instskip(NEXT) | instid1(VALU_DEP_1)
	v_lshrrev_b32_e32 v24, s49, v24
	v_and_b32_e32 v24, s48, v24
	s_delay_alu instid0(VALU_DEP_1) | instskip(SKIP_2) | instid1(SALU_CYCLE_1)
	v_lshl_or_b32 v24, v24, 4, v84
	ds_add_u32 v24, v7
	s_or_b32 exec_lo, exec_lo, s11
	s_mov_b32 s11, exec_lo
	v_cmpx_gt_u32_e64 s10, v75
	s_cbranch_execz .LBB214_988
.LBB214_1004:                           ;   in Loop: Header=BB214_956 Depth=2
	v_and_b32_e32 v24, 0xff, v33
	s_delay_alu instid0(VALU_DEP_1) | instskip(NEXT) | instid1(VALU_DEP_1)
	v_lshrrev_b32_e32 v24, s49, v24
	v_and_b32_e32 v24, s48, v24
	s_delay_alu instid0(VALU_DEP_1) | instskip(SKIP_2) | instid1(SALU_CYCLE_1)
	v_lshl_or_b32 v24, v24, 4, v84
	ds_add_u32 v24, v7
	s_or_b32 exec_lo, exec_lo, s11
	s_mov_b32 s11, exec_lo
	v_cmpx_gt_u32_e64 s10, v76
	s_cbranch_execz .LBB214_989
.LBB214_1005:                           ;   in Loop: Header=BB214_956 Depth=2
	v_and_b32_e32 v24, 0xff, v32
	s_delay_alu instid0(VALU_DEP_1) | instskip(NEXT) | instid1(VALU_DEP_1)
	v_lshrrev_b32_e32 v24, s49, v24
	v_and_b32_e32 v24, s48, v24
	s_delay_alu instid0(VALU_DEP_1) | instskip(SKIP_2) | instid1(SALU_CYCLE_1)
	v_lshl_or_b32 v24, v24, 4, v84
	ds_add_u32 v24, v7
	s_or_b32 exec_lo, exec_lo, s11
	s_mov_b32 s11, exec_lo
	v_cmpx_gt_u32_e64 s10, v77
	s_cbranch_execz .LBB214_990
.LBB214_1006:                           ;   in Loop: Header=BB214_956 Depth=2
	v_and_b32_e32 v24, 0xff, v31
	s_delay_alu instid0(VALU_DEP_1) | instskip(NEXT) | instid1(VALU_DEP_1)
	v_lshrrev_b32_e32 v24, s49, v24
	v_and_b32_e32 v24, s48, v24
	s_delay_alu instid0(VALU_DEP_1) | instskip(SKIP_2) | instid1(SALU_CYCLE_1)
	v_lshl_or_b32 v24, v24, 4, v84
	ds_add_u32 v24, v7
	s_or_b32 exec_lo, exec_lo, s11
	s_mov_b32 s11, exec_lo
	v_cmpx_gt_u32_e64 s10, v78
	s_cbranch_execz .LBB214_991
.LBB214_1007:                           ;   in Loop: Header=BB214_956 Depth=2
	v_and_b32_e32 v24, 0xff, v30
	s_delay_alu instid0(VALU_DEP_1) | instskip(NEXT) | instid1(VALU_DEP_1)
	v_lshrrev_b32_e32 v24, s49, v24
	v_and_b32_e32 v24, s48, v24
	s_delay_alu instid0(VALU_DEP_1) | instskip(SKIP_2) | instid1(SALU_CYCLE_1)
	v_lshl_or_b32 v24, v24, 4, v84
	ds_add_u32 v24, v7
	s_or_b32 exec_lo, exec_lo, s11
	s_mov_b32 s11, exec_lo
	v_cmpx_gt_u32_e64 s10, v79
	s_cbranch_execz .LBB214_992
.LBB214_1008:                           ;   in Loop: Header=BB214_956 Depth=2
	v_and_b32_e32 v24, 0xff, v29
	s_delay_alu instid0(VALU_DEP_1) | instskip(NEXT) | instid1(VALU_DEP_1)
	v_lshrrev_b32_e32 v24, s49, v24
	v_and_b32_e32 v24, s48, v24
	s_delay_alu instid0(VALU_DEP_1) | instskip(SKIP_2) | instid1(SALU_CYCLE_1)
	v_lshl_or_b32 v24, v24, 4, v84
	ds_add_u32 v24, v7
	s_or_b32 exec_lo, exec_lo, s11
	s_mov_b32 s11, exec_lo
	v_cmpx_gt_u32_e64 s10, v80
	s_cbranch_execz .LBB214_993
.LBB214_1009:                           ;   in Loop: Header=BB214_956 Depth=2
	v_and_b32_e32 v24, 0xff, v28
	s_delay_alu instid0(VALU_DEP_1) | instskip(NEXT) | instid1(VALU_DEP_1)
	v_lshrrev_b32_e32 v24, s49, v24
	v_and_b32_e32 v24, s48, v24
	s_delay_alu instid0(VALU_DEP_1) | instskip(SKIP_2) | instid1(SALU_CYCLE_1)
	v_lshl_or_b32 v24, v24, 4, v84
	ds_add_u32 v24, v7
	s_or_b32 exec_lo, exec_lo, s11
	s_mov_b32 s11, exec_lo
	v_cmpx_gt_u32_e64 s10, v81
	s_cbranch_execz .LBB214_994
.LBB214_1010:                           ;   in Loop: Header=BB214_956 Depth=2
	v_and_b32_e32 v24, 0xff, v27
	s_delay_alu instid0(VALU_DEP_1) | instskip(NEXT) | instid1(VALU_DEP_1)
	v_lshrrev_b32_e32 v24, s49, v24
	v_and_b32_e32 v24, s48, v24
	s_delay_alu instid0(VALU_DEP_1)
	v_lshl_or_b32 v24, v24, 4, v84
	ds_add_u32 v24, v7
	s_or_b32 exec_lo, exec_lo, s11
	v_cmp_gt_u32_e32 vcc_lo, s10, v82
	s_and_saveexec_b32 s10, vcc_lo
	s_cbranch_execz .LBB214_955
.LBB214_1011:                           ;   in Loop: Header=BB214_956 Depth=2
	v_and_b32_e32 v24, 0xff, v26
	s_delay_alu instid0(VALU_DEP_1) | instskip(NEXT) | instid1(VALU_DEP_1)
	v_lshrrev_b32_e32 v24, s49, v24
	v_and_b32_e32 v24, s48, v24
	s_delay_alu instid0(VALU_DEP_1)
	v_lshl_or_b32 v24, v24, 4, v84
	ds_add_u32 v24, v7
	s_branch .LBB214_955
.LBB214_1012:                           ;   in Loop: Header=BB214_956 Depth=2
	global_load_u8 v39, v[24:25], off
	s_wait_xcnt 0x0
	s_or_b32 exec_lo, exec_lo, s10
	s_delay_alu instid0(SALU_CYCLE_1)
	s_mov_b32 s10, exec_lo
	v_cmpx_gt_u32_e64 s8, v67
	s_cbranch_execz .LBB214_961
.LBB214_1013:                           ;   in Loop: Header=BB214_956 Depth=2
	global_load_u8 v42, v[24:25], off offset:256
	s_wait_xcnt 0x0
	s_or_b32 exec_lo, exec_lo, s10
	s_delay_alu instid0(SALU_CYCLE_1)
	s_mov_b32 s10, exec_lo
	v_cmpx_gt_u32_e64 s8, v68
	s_cbranch_execz .LBB214_962
.LBB214_1014:                           ;   in Loop: Header=BB214_956 Depth=2
	global_load_u8 v41, v[24:25], off offset:512
	s_wait_xcnt 0x0
	s_or_b32 exec_lo, exec_lo, s10
	s_delay_alu instid0(SALU_CYCLE_1)
	s_mov_b32 s10, exec_lo
	v_cmpx_gt_u32_e64 s8, v69
	s_cbranch_execz .LBB214_963
.LBB214_1015:                           ;   in Loop: Header=BB214_956 Depth=2
	global_load_u8 v40, v[24:25], off offset:768
	s_wait_xcnt 0x0
	s_or_b32 exec_lo, exec_lo, s10
	s_delay_alu instid0(SALU_CYCLE_1)
	s_mov_b32 s10, exec_lo
	v_cmpx_gt_u32_e64 s8, v70
	s_cbranch_execz .LBB214_964
.LBB214_1016:                           ;   in Loop: Header=BB214_956 Depth=2
	global_load_u8 v38, v[24:25], off offset:1024
	s_wait_xcnt 0x0
	s_or_b32 exec_lo, exec_lo, s10
	s_delay_alu instid0(SALU_CYCLE_1)
	s_mov_b32 s10, exec_lo
	v_cmpx_gt_u32_e64 s8, v71
	s_cbranch_execz .LBB214_965
.LBB214_1017:                           ;   in Loop: Header=BB214_956 Depth=2
	global_load_u8 v37, v[24:25], off offset:1280
	s_wait_xcnt 0x0
	s_or_b32 exec_lo, exec_lo, s10
	s_delay_alu instid0(SALU_CYCLE_1)
	s_mov_b32 s10, exec_lo
	v_cmpx_gt_u32_e64 s8, v72
	s_cbranch_execz .LBB214_966
.LBB214_1018:                           ;   in Loop: Header=BB214_956 Depth=2
	global_load_u8 v36, v[24:25], off offset:1536
	s_wait_xcnt 0x0
	s_or_b32 exec_lo, exec_lo, s10
	s_delay_alu instid0(SALU_CYCLE_1)
	s_mov_b32 s10, exec_lo
	v_cmpx_gt_u32_e64 s8, v73
	s_cbranch_execz .LBB214_967
.LBB214_1019:                           ;   in Loop: Header=BB214_956 Depth=2
	global_load_u8 v35, v[24:25], off offset:1792
	s_wait_xcnt 0x0
	s_or_b32 exec_lo, exec_lo, s10
	s_delay_alu instid0(SALU_CYCLE_1)
	s_mov_b32 s10, exec_lo
	v_cmpx_gt_u32_e64 s8, v74
	s_cbranch_execz .LBB214_968
.LBB214_1020:                           ;   in Loop: Header=BB214_956 Depth=2
	global_load_u8 v34, v[24:25], off offset:2048
	s_wait_xcnt 0x0
	s_or_b32 exec_lo, exec_lo, s10
	s_delay_alu instid0(SALU_CYCLE_1)
	s_mov_b32 s10, exec_lo
	v_cmpx_gt_u32_e64 s8, v75
	s_cbranch_execz .LBB214_969
.LBB214_1021:                           ;   in Loop: Header=BB214_956 Depth=2
	global_load_u8 v33, v[24:25], off offset:2304
	s_wait_xcnt 0x0
	s_or_b32 exec_lo, exec_lo, s10
	s_delay_alu instid0(SALU_CYCLE_1)
	s_mov_b32 s10, exec_lo
	v_cmpx_gt_u32_e64 s8, v76
	s_cbranch_execz .LBB214_970
.LBB214_1022:                           ;   in Loop: Header=BB214_956 Depth=2
	global_load_u8 v32, v[24:25], off offset:2560
	s_wait_xcnt 0x0
	s_or_b32 exec_lo, exec_lo, s10
	s_delay_alu instid0(SALU_CYCLE_1)
	s_mov_b32 s10, exec_lo
	v_cmpx_gt_u32_e64 s8, v77
	s_cbranch_execz .LBB214_971
.LBB214_1023:                           ;   in Loop: Header=BB214_956 Depth=2
	global_load_u8 v31, v[24:25], off offset:2816
	s_wait_xcnt 0x0
	s_or_b32 exec_lo, exec_lo, s10
	s_delay_alu instid0(SALU_CYCLE_1)
	s_mov_b32 s10, exec_lo
	v_cmpx_gt_u32_e64 s8, v78
	s_cbranch_execz .LBB214_972
.LBB214_1024:                           ;   in Loop: Header=BB214_956 Depth=2
	global_load_u8 v30, v[24:25], off offset:3072
	s_wait_xcnt 0x0
	s_or_b32 exec_lo, exec_lo, s10
	s_delay_alu instid0(SALU_CYCLE_1)
	s_mov_b32 s10, exec_lo
	v_cmpx_gt_u32_e64 s8, v79
	s_cbranch_execz .LBB214_973
.LBB214_1025:                           ;   in Loop: Header=BB214_956 Depth=2
	global_load_u8 v29, v[24:25], off offset:3328
	s_wait_xcnt 0x0
	s_or_b32 exec_lo, exec_lo, s10
	s_delay_alu instid0(SALU_CYCLE_1)
	s_mov_b32 s10, exec_lo
	v_cmpx_gt_u32_e64 s8, v80
	s_cbranch_execz .LBB214_974
.LBB214_1026:                           ;   in Loop: Header=BB214_956 Depth=2
	global_load_u8 v28, v[24:25], off offset:3584
	s_wait_xcnt 0x0
	s_or_b32 exec_lo, exec_lo, s10
	s_delay_alu instid0(SALU_CYCLE_1)
	s_mov_b32 s10, exec_lo
	v_cmpx_gt_u32_e64 s8, v81
	s_cbranch_execz .LBB214_975
.LBB214_1027:                           ;   in Loop: Header=BB214_956 Depth=2
	global_load_u8 v27, v[24:25], off offset:3840
	s_wait_xcnt 0x0
	s_or_b32 exec_lo, exec_lo, s10
	s_delay_alu instid0(SALU_CYCLE_1)
	s_mov_b32 s10, exec_lo
	v_cmpx_gt_u32_e64 s8, v82
	s_cbranch_execnz .LBB214_976
	s_branch .LBB214_977
.LBB214_1028:                           ;   in Loop: Header=BB214_20 Depth=1
	v_mov_b32_e32 v24, 0
	s_wait_dscnt 0x0
	s_barrier_signal -1
	s_barrier_wait -1
	s_and_saveexec_b32 s8, s0
	s_cbranch_execz .LBB214_1030
; %bb.1029:                             ;   in Loop: Header=BB214_20 Depth=1
	ds_load_2addr_b64 v[24:27], v85 offset1:1
	s_wait_dscnt 0x0
	v_add_nc_u32_e32 v24, v25, v24
	s_delay_alu instid0(VALU_DEP_1)
	v_add3_u32 v24, v24, v26, v27
.LBB214_1030:                           ;   in Loop: Header=BB214_20 Depth=1
	s_or_b32 exec_lo, exec_lo, s8
	v_and_b32_e32 v25, 15, v0
	s_delay_alu instid0(VALU_DEP_2) | instskip(SKIP_1) | instid1(VALU_DEP_3)
	v_mov_b32_dpp v26, v24 row_shr:1 row_mask:0xf bank_mask:0xf
	v_and_b32_e32 v27, 16, v0
	v_cmp_eq_u32_e64 s8, 0, v25
	v_cmp_lt_u32_e64 s9, 1, v25
	s_delay_alu instid0(VALU_DEP_3) | instskip(NEXT) | instid1(VALU_DEP_3)
	v_cmp_eq_u32_e64 s12, 0, v27
	v_cndmask_b32_e64 v26, v26, 0, s8
	s_delay_alu instid0(VALU_DEP_1) | instskip(NEXT) | instid1(VALU_DEP_1)
	v_add_nc_u32_e32 v24, v26, v24
	v_mov_b32_dpp v26, v24 row_shr:2 row_mask:0xf bank_mask:0xf
	s_delay_alu instid0(VALU_DEP_1) | instskip(SKIP_2) | instid1(VALU_DEP_3)
	v_cndmask_b32_e64 v26, 0, v26, s9
	v_cmp_lt_u32_e64 s11, 7, v25
	v_cmp_lt_u32_e64 s10, 3, v25
	v_add_nc_u32_e32 v24, v24, v26
	s_delay_alu instid0(VALU_DEP_1) | instskip(NEXT) | instid1(VALU_DEP_1)
	v_mov_b32_dpp v26, v24 row_shr:4 row_mask:0xf bank_mask:0xf
	v_cndmask_b32_e64 v26, 0, v26, s10
	s_delay_alu instid0(VALU_DEP_1) | instskip(NEXT) | instid1(VALU_DEP_1)
	v_add_nc_u32_e32 v24, v24, v26
	v_mov_b32_dpp v26, v24 row_shr:8 row_mask:0xf bank_mask:0xf
	s_delay_alu instid0(VALU_DEP_1) | instskip(SKIP_1) | instid1(VALU_DEP_2)
	v_cndmask_b32_e64 v25, 0, v26, s11
	v_bfe_i32 v26, v0, 4, 1
	v_add_nc_u32_e32 v24, v24, v25
	ds_swizzle_b32 v25, v24 offset:swizzle(BROADCAST,32,15)
	s_wait_dscnt 0x0
	v_and_b32_e32 v25, v26, v25
	s_delay_alu instid0(VALU_DEP_1)
	v_add_nc_u32_e32 v24, v24, v25
	s_and_saveexec_b32 s13, s1
; %bb.1031:                             ;   in Loop: Header=BB214_20 Depth=1
	ds_store_b32 v86, v24
; %bb.1032:                             ;   in Loop: Header=BB214_20 Depth=1
	s_or_b32 exec_lo, exec_lo, s13
	s_wait_dscnt 0x0
	s_barrier_signal -1
	s_barrier_wait -1
	s_and_saveexec_b32 s13, s4
	s_cbranch_execz .LBB214_1034
; %bb.1033:                             ;   in Loop: Header=BB214_20 Depth=1
	ds_load_b32 v25, v87
	s_wait_dscnt 0x0
	v_mov_b32_dpp v27, v25 row_shr:1 row_mask:0xf bank_mask:0xf
	v_and_b32_e32 v26, 3, v0
	s_delay_alu instid0(VALU_DEP_1) | instskip(NEXT) | instid1(VALU_DEP_3)
	v_cmp_ne_u32_e32 vcc_lo, 0, v26
	v_cndmask_b32_e32 v27, 0, v27, vcc_lo
	v_cmp_lt_u32_e32 vcc_lo, 1, v26
	s_delay_alu instid0(VALU_DEP_2) | instskip(NEXT) | instid1(VALU_DEP_1)
	v_add_nc_u32_e32 v25, v27, v25
	v_mov_b32_dpp v27, v25 row_shr:2 row_mask:0xf bank_mask:0xf
	s_delay_alu instid0(VALU_DEP_1) | instskip(NEXT) | instid1(VALU_DEP_1)
	v_cndmask_b32_e32 v26, 0, v27, vcc_lo
	v_add_nc_u32_e32 v25, v25, v26
	ds_store_b32 v87, v25
.LBB214_1034:                           ;   in Loop: Header=BB214_20 Depth=1
	s_or_b32 exec_lo, exec_lo, s13
	v_mov_b32_e32 v25, 0
	s_wait_dscnt 0x0
	s_barrier_signal -1
	s_barrier_wait -1
	s_and_saveexec_b32 s13, s5
; %bb.1035:                             ;   in Loop: Header=BB214_20 Depth=1
	ds_load_b32 v25, v88
; %bb.1036:                             ;   in Loop: Header=BB214_20 Depth=1
	s_or_b32 exec_lo, exec_lo, s13
	v_sub_co_u32 v26, s13, v0, 1
	s_wait_dscnt 0x0
	s_barrier_signal -1
	s_barrier_wait -1
	s_delay_alu instid0(VALU_DEP_1) | instskip(SKIP_1) | instid1(VALU_DEP_1)
	v_cmp_gt_i32_e32 vcc_lo, 0, v26
	v_cndmask_b32_e32 v26, v26, v0, vcc_lo
	v_dual_add_nc_u32 v24, v25, v24 :: v_dual_lshlrev_b32 v96, 2, v26
	ds_bpermute_b32 v24, v96, v24
	s_and_saveexec_b32 s14, s0
	s_cbranch_execz .LBB214_1038
; %bb.1037:                             ;   in Loop: Header=BB214_20 Depth=1
	s_wait_dscnt 0x0
	v_cndmask_b32_e64 v24, v24, v25, s13
	s_delay_alu instid0(VALU_DEP_1)
	v_add_nc_u32_e32 v24, s55, v24
	ds_store_b32 v66, v24
.LBB214_1038:                           ;   in Loop: Header=BB214_20 Depth=1
	s_or_b32 exec_lo, exec_lo, s14
	s_load_b64 s[14:15], s[52:53], 0x0
	s_wait_dscnt 0x0
	v_dual_lshlrev_b32 v24, 3, v0 :: v_dual_bitop2_b32 v26, 7, v0 bitop3:0x40
	v_dual_mov_b32 v25, v1 :: v_dual_bitop2_b32 v97, v0, v6 bitop3:0x54
	s_mov_b32 s58, s57
                                        ; implicit-def: $vgpr30_vgpr31
                                        ; implicit-def: $vgpr32_vgpr33
                                        ; implicit-def: $vgpr34_vgpr35
                                        ; implicit-def: $vgpr36_vgpr37
                                        ; implicit-def: $vgpr38_vgpr39
                                        ; implicit-def: $vgpr40_vgpr41
                                        ; implicit-def: $vgpr42_vgpr43
                                        ; implicit-def: $vgpr44_vgpr45
                                        ; implicit-def: $vgpr46_vgpr47
                                        ; implicit-def: $vgpr48_vgpr49
                                        ; implicit-def: $vgpr50_vgpr51
                                        ; implicit-def: $vgpr52_vgpr53
                                        ; implicit-def: $vgpr54_vgpr55
                                        ; implicit-def: $vgpr56_vgpr57
                                        ; implicit-def: $vgpr58_vgpr59
                                        ; implicit-def: $vgpr60_vgpr61
                                        ; implicit-def: $vgpr115
                                        ; implicit-def: $vgpr116
                                        ; implicit-def: $vgpr117
                                        ; implicit-def: $vgpr118
                                        ; implicit-def: $vgpr119
                                        ; implicit-def: $vgpr120
                                        ; implicit-def: $vgpr121
                                        ; implicit-def: $vgpr122
                                        ; implicit-def: $vgpr123
                                        ; implicit-def: $vgpr124
                                        ; implicit-def: $vgpr125
                                        ; implicit-def: $vgpr126
                                        ; implicit-def: $vgpr127
                                        ; implicit-def: $vgpr128
                                        ; implicit-def: $vgpr129
                                        ; implicit-def: $vgpr130
                                        ; implicit-def: $vgpr131
                                        ; implicit-def: $vgpr132
                                        ; implicit-def: $vgpr133
	s_delay_alu instid0(VALU_DEP_1) | instskip(NEXT) | instid1(VALU_DEP_2)
	v_add_nc_u64_e32 v[24:25], v[20:21], v[24:25]
	v_dual_add_nc_u32 v98, 32, v97 :: v_dual_add_nc_u32 v99, 64, v97
	v_add_nc_u32_e32 v100, 0x60, v97
	v_add_nc_u32_e32 v101, 0x80, v97
	;; [unrolled: 1-line block ×9, first 2 shown]
	s_wait_kmcnt 0x0
	s_cmp_lt_u32 s51, s14
	v_add_nc_u32_e32 v109, 0x180, v97
	s_cselect_b32 s34, 12, 18
	s_cmp_lt_u32 s42, s15
	s_mov_b32 s15, s35
	s_cselect_b32 s14, 14, 20
	v_add_nc_u32_e32 v110, 0x1a0, v97
	s_add_nc_u64 s[14:15], s[52:53], s[14:15]
	v_add_nc_u32_e32 v111, 0x1c0, v97
	s_load_u16 s16, s[14:15], 0x0
	s_wait_xcnt 0x0
	s_add_nc_u64 s[14:15], s[52:53], s[34:35]
	v_add_nc_u32_e32 v112, 0x1e0, v97
	s_load_u16 s17, s[14:15], 0x0
	s_wait_xcnt 0x0
	v_cmp_eq_u32_e64 s14, 0, v26
	v_cmp_lt_u32_e64 s15, 1, v26
	v_add_nc_u32_e32 v113, 0x200, v97
	s_mov_b32 s34, s55
	s_wait_kmcnt 0x0
	v_mad_u32_u24 v27, v89, s16, v91
	v_cmp_lt_u32_e64 s16, 3, v26
	s_delay_alu instid0(VALU_DEP_2) | instskip(NEXT) | instid1(VALU_DEP_1)
	v_mad_u32 v26, v27, s17, v2
	v_lshrrev_b32_e32 v28, 3, v26
	v_add_nc_u64_e32 v[26:27], v[22:23], v[0:1]
	s_delay_alu instid0(VALU_DEP_2)
	v_and_b32_e32 v114, 0x1ffffffc, v28
                                        ; implicit-def: $vgpr28_vgpr29
	s_branch .LBB214_1040
.LBB214_1039:                           ;   in Loop: Header=BB214_1040 Depth=2
	s_or_b32 exec_lo, exec_lo, s17
	s_addk_co_i32 s58, 0xef00
	s_cmp_lt_u32 s59, s54
	s_mov_b32 s34, s59
	s_cbranch_scc0 .LBB214_18
.LBB214_1040:                           ;   Parent Loop BB214_20 Depth=1
                                        ; =>  This Inner Loop Header: Depth=2
	s_add_co_i32 s59, s34, 0x1100
	s_delay_alu instid0(SALU_CYCLE_1)
	s_cmp_gt_u32 s59, s54
	s_cbranch_scc1 .LBB214_1042
; %bb.1041:                             ;   in Loop: Header=BB214_1040 Depth=2
	s_delay_alu instid0(VALU_DEP_2)
	v_add_nc_u64_e32 v[62:63], s[34:35], v[26:27]
	s_mov_b32 s17, -1
	s_clause 0xf
	global_load_u8 v135, v[62:63], off
	global_load_u8 v136, v[62:63], off offset:32
	global_load_u8 v137, v[62:63], off offset:64
	;; [unrolled: 1-line block ×15, first 2 shown]
	s_movk_i32 s18, 0x1100
	s_cbranch_execz .LBB214_1043
	s_branch .LBB214_1076
.LBB214_1042:                           ;   in Loop: Header=BB214_1040 Depth=2
	s_mov_b32 s17, 0
                                        ; implicit-def: $vgpr135
                                        ; implicit-def: $vgpr136
                                        ; implicit-def: $vgpr137
                                        ; implicit-def: $vgpr138
                                        ; implicit-def: $vgpr139
                                        ; implicit-def: $vgpr140
                                        ; implicit-def: $vgpr141
                                        ; implicit-def: $vgpr142
                                        ; implicit-def: $vgpr143
                                        ; implicit-def: $vgpr144
                                        ; implicit-def: $vgpr145
                                        ; implicit-def: $vgpr146
                                        ; implicit-def: $vgpr147
                                        ; implicit-def: $vgpr148
                                        ; implicit-def: $vgpr149
                                        ; implicit-def: $vgpr150
	s_movk_i32 s18, 0x1100
.LBB214_1043:                           ;   in Loop: Header=BB214_1040 Depth=2
	s_wait_xcnt 0x0
	v_add_nc_u64_e32 v[62:63], s[34:35], v[26:27]
	s_wait_loadcnt 0xe
	v_dual_mov_b32 v136, 0xff :: v_dual_mov_b32 v135, 0xff
	s_mov_b32 s17, exec_lo
	v_cmpx_gt_u32_e64 s58, v97
	s_cbranch_execz .LBB214_1045
; %bb.1044:                             ;   in Loop: Header=BB214_1040 Depth=2
	global_load_u8 v135, v[62:63], off
.LBB214_1045:                           ;   in Loop: Header=BB214_1040 Depth=2
	s_wait_xcnt 0x0
	s_or_b32 exec_lo, exec_lo, s17
	s_delay_alu instid0(SALU_CYCLE_1)
	s_mov_b32 s17, exec_lo
	v_cmpx_gt_u32_e64 s58, v98
	s_cbranch_execz .LBB214_1047
; %bb.1046:                             ;   in Loop: Header=BB214_1040 Depth=2
	global_load_u8 v136, v[62:63], off offset:32
.LBB214_1047:                           ;   in Loop: Header=BB214_1040 Depth=2
	s_wait_xcnt 0x0
	s_or_b32 exec_lo, exec_lo, s17
	s_wait_loadcnt 0xc
	v_dual_mov_b32 v138, 0xff :: v_dual_mov_b32 v137, 0xff
	s_mov_b32 s17, exec_lo
	v_cmpx_gt_u32_e64 s58, v99
	s_cbranch_execz .LBB214_1049
; %bb.1048:                             ;   in Loop: Header=BB214_1040 Depth=2
	global_load_u8 v137, v[62:63], off offset:64
.LBB214_1049:                           ;   in Loop: Header=BB214_1040 Depth=2
	s_wait_xcnt 0x0
	s_or_b32 exec_lo, exec_lo, s17
	s_delay_alu instid0(SALU_CYCLE_1)
	s_mov_b32 s17, exec_lo
	v_cmpx_gt_u32_e64 s58, v100
	s_cbranch_execz .LBB214_1051
; %bb.1050:                             ;   in Loop: Header=BB214_1040 Depth=2
	global_load_u8 v138, v[62:63], off offset:96
.LBB214_1051:                           ;   in Loop: Header=BB214_1040 Depth=2
	s_wait_xcnt 0x0
	s_or_b32 exec_lo, exec_lo, s17
	s_wait_loadcnt 0xa
	v_dual_mov_b32 v140, 0xff :: v_dual_mov_b32 v139, 0xff
	s_mov_b32 s17, exec_lo
	v_cmpx_gt_u32_e64 s58, v101
	s_cbranch_execz .LBB214_1053
; %bb.1052:                             ;   in Loop: Header=BB214_1040 Depth=2
	global_load_u8 v139, v[62:63], off offset:128
.LBB214_1053:                           ;   in Loop: Header=BB214_1040 Depth=2
	;; [unrolled: 19-line block ×7, first 2 shown]
	s_wait_xcnt 0x0
	s_or_b32 exec_lo, exec_lo, s17
	s_delay_alu instid0(SALU_CYCLE_1)
	s_mov_b32 s17, exec_lo
	v_cmpx_gt_u32_e64 s58, v112
	s_cbranch_execz .LBB214_1075
; %bb.1074:                             ;   in Loop: Header=BB214_1040 Depth=2
	global_load_u8 v150, v[62:63], off offset:480
.LBB214_1075:                           ;   in Loop: Header=BB214_1040 Depth=2
	s_wait_xcnt 0x0
	s_or_b32 exec_lo, exec_lo, s17
	v_cmp_gt_u32_e64 s17, s58, v113
	s_sub_co_i32 s18, s54, s34
.LBB214_1076:                           ;   in Loop: Header=BB214_1040 Depth=2
	v_dual_mov_b32 v151, 0xff :: v_dual_mov_b32 v134, s58
	s_wait_xcnt 0x0
	s_and_saveexec_b32 s19, s17
	s_cbranch_execz .LBB214_1078
; %bb.1077:                             ;   in Loop: Header=BB214_1040 Depth=2
	v_add_nc_u64_e32 v[62:63], s[34:35], v[26:27]
	v_mov_b32_e32 v134, s18
	global_load_u8 v151, v[62:63], off offset:512
.LBB214_1078:                           ;   in Loop: Header=BB214_1040 Depth=2
	s_wait_xcnt 0x0
	s_or_b32 exec_lo, exec_lo, s19
	s_wait_loadcnt 0xf
	v_and_b32_e32 v62, 0xff, v135
	ds_store_2addr_b32 v90, v1, v1 offset0:136 offset1:137
	ds_store_2addr_b32 v90, v1, v1 offset0:138 offset1:139
	ds_store_b32 v90, v1 offset:560
	s_wait_loadcnt_dscnt 0x0
	s_barrier_signal -1
	s_barrier_wait -1
	v_lshrrev_b32_e32 v62, s49, v62
	; wave barrier
	s_delay_alu instid0(VALU_DEP_1) | instskip(NEXT) | instid1(VALU_DEP_1)
	v_and_b32_e32 v64, s48, v62
	v_lshlrev_b32_e32 v65, 30, v64
	v_bitop3_b32 v63, v62, 1, s48 bitop3:0x80
	s_delay_alu instid0(VALU_DEP_1) | instskip(NEXT) | instid1(VALU_DEP_1)
	v_add_co_u32 v62, s17, v63, -1
	v_cndmask_b32_e64 v63, 0, 1, s17
	s_delay_alu instid0(VALU_DEP_4) | instskip(NEXT) | instid1(VALU_DEP_2)
	v_cmp_gt_i32_e64 s17, 0, v65
	v_cmp_ne_u32_e32 vcc_lo, 0, v63
	v_not_b32_e32 v63, v65
	v_bitop3_b32 v62, vcc_lo, exec_lo, v62 bitop3:0x48
	s_delay_alu instid0(VALU_DEP_2) | instskip(SKIP_2) | instid1(VALU_DEP_3)
	v_dual_ashrrev_i32 v63, 31, v63 :: v_dual_lshlrev_b32 v152, 29, v64
	v_dual_lshlrev_b32 v153, 28, v64 :: v_dual_lshlrev_b32 v154, 27, v64
	v_lshlrev_b32_e32 v155, 26, v64
	v_not_b32_e32 v65, v152
	v_lshlrev_b32_e32 v156, 25, v64
	v_cmp_gt_i32_e64 s18, 0, v152
	v_cmp_gt_i32_e64 s19, 0, v153
	v_not_b32_e32 v152, v153
	v_not_b32_e32 v153, v154
	v_ashrrev_i32_e32 v65, 31, v65
	v_cmp_gt_i32_e64 s20, 0, v154
	v_not_b32_e32 v154, v155
	s_delay_alu instid0(VALU_DEP_4) | instskip(SKIP_3) | instid1(VALU_DEP_4)
	v_dual_ashrrev_i32 v152, 31, v152 :: v_dual_ashrrev_i32 v153, 31, v153
	v_xor_b32_e32 v63, s17, v63
	v_xor_b32_e32 v65, s18, v65
	v_not_b32_e32 v157, v156
	v_xor_b32_e32 v152, s19, v152
	v_xor_b32_e32 v153, s20, v153
	v_cmp_gt_i32_e32 vcc_lo, 0, v155
	v_ashrrev_i32_e32 v154, 31, v154
	v_cmp_gt_i32_e64 s17, 0, v156
	v_ashrrev_i32_e32 v155, 31, v157
	v_bitop3_b32 v62, v62, v65, v63 bitop3:0x80
	s_delay_alu instid0(VALU_DEP_4) | instskip(NEXT) | instid1(VALU_DEP_3)
	v_xor_b32_e32 v63, vcc_lo, v154
	v_xor_b32_e32 v65, s17, v155
	s_delay_alu instid0(VALU_DEP_3) | instskip(NEXT) | instid1(VALU_DEP_1)
	v_bitop3_b32 v62, v62, v153, v152 bitop3:0x80
	v_bitop3_b32 v62, v62, v65, v63 bitop3:0x80
	v_mul_u32_u24_e32 v63, 36, v64
	s_delay_alu instid0(VALU_DEP_2) | instskip(SKIP_1) | instid1(VALU_DEP_3)
	v_mbcnt_lo_u32_b32 v152, v62, 0
	v_cmp_ne_u32_e64 s17, 0, v62
	v_add_nc_u32_e32 v153, v114, v63
	s_delay_alu instid0(VALU_DEP_3) | instskip(SKIP_1) | instid1(SALU_CYCLE_1)
	v_cmp_eq_u32_e32 vcc_lo, 0, v152
	s_and_b32 s18, s17, vcc_lo
	s_and_saveexec_b32 s17, s18
; %bb.1079:                             ;   in Loop: Header=BB214_1040 Depth=2
	v_bcnt_u32_b32 v62, v62, 0
	ds_store_b32 v153, v62 offset:544
; %bb.1080:                             ;   in Loop: Header=BB214_1040 Depth=2
	s_or_b32 exec_lo, exec_lo, s17
	v_and_b32_e32 v62, 0xff, v136
	; wave barrier
	s_delay_alu instid0(VALU_DEP_1) | instskip(NEXT) | instid1(VALU_DEP_1)
	v_lshrrev_b32_e32 v62, s49, v62
	v_and_b32_e32 v64, s48, v62
	s_delay_alu instid0(VALU_DEP_1) | instskip(SKIP_1) | instid1(VALU_DEP_1)
	v_lshlrev_b32_e32 v65, 30, v64
	v_bitop3_b32 v63, v62, 1, s48 bitop3:0x80
	v_add_co_u32 v62, s17, v63, -1
	s_delay_alu instid0(VALU_DEP_1) | instskip(NEXT) | instid1(VALU_DEP_4)
	v_cndmask_b32_e64 v63, 0, 1, s17
	v_cmp_gt_i32_e64 s17, 0, v65
	s_delay_alu instid0(VALU_DEP_2) | instskip(SKIP_2) | instid1(VALU_DEP_2)
	v_cmp_ne_u32_e32 vcc_lo, 0, v63
	v_not_b32_e32 v63, v65
	v_bitop3_b32 v62, vcc_lo, exec_lo, v62 bitop3:0x48
	v_dual_ashrrev_i32 v63, 31, v63 :: v_dual_lshlrev_b32 v154, 29, v64
	v_dual_lshlrev_b32 v155, 28, v64 :: v_dual_lshlrev_b32 v156, 27, v64
	v_lshlrev_b32_e32 v157, 26, v64
	s_delay_alu instid0(VALU_DEP_3)
	v_not_b32_e32 v65, v154
	v_lshlrev_b32_e32 v158, 25, v64
	v_cmp_gt_i32_e64 s18, 0, v154
	v_cmp_gt_i32_e64 s19, 0, v155
	v_not_b32_e32 v154, v155
	v_not_b32_e32 v155, v156
	v_ashrrev_i32_e32 v65, 31, v65
	v_cmp_gt_i32_e64 s20, 0, v156
	v_cmp_gt_i32_e64 s21, 0, v157
	v_not_b32_e32 v156, v157
	v_dual_ashrrev_i32 v154, 31, v154 :: v_dual_ashrrev_i32 v155, 31, v155
	v_xor_b32_e32 v63, s17, v63
	v_xor_b32_e32 v65, s18, v65
	v_not_b32_e32 v157, v158
	s_delay_alu instid0(VALU_DEP_4) | instskip(SKIP_1) | instid1(VALU_DEP_4)
	v_dual_ashrrev_i32 v156, 31, v156 :: v_dual_bitop2_b32 v154, s19, v154 bitop3:0x14
	v_xor_b32_e32 v155, s20, v155
	v_bitop3_b32 v62, v62, v65, v63 bitop3:0x80
	v_cmp_gt_i32_e32 vcc_lo, 0, v158
	v_ashrrev_i32_e32 v63, 31, v157
	v_mad_u32_u24 v65, v64, 36, v114
	v_xor_b32_e32 v156, s21, v156
	v_bitop3_b32 v62, v62, v155, v154 bitop3:0x80
	s_delay_alu instid0(VALU_DEP_4) | instskip(SKIP_3) | instid1(VALU_DEP_2)
	v_xor_b32_e32 v63, vcc_lo, v63
	ds_load_b32 v154, v65 offset:544
	; wave barrier
	v_bitop3_b32 v62, v62, v63, v156 bitop3:0x80
	v_mul_u32_u24_e32 v63, 36, v64
	v_mbcnt_lo_u32_b32 v155, v62, 0
	v_cmp_ne_u32_e64 s17, 0, v62
	s_delay_alu instid0(VALU_DEP_3) | instskip(NEXT) | instid1(VALU_DEP_3)
	v_add_nc_u32_e32 v156, v114, v63
	v_cmp_eq_u32_e32 vcc_lo, 0, v155
	s_and_b32 s18, s17, vcc_lo
	s_delay_alu instid0(SALU_CYCLE_1)
	s_and_saveexec_b32 s17, s18
	s_cbranch_execz .LBB214_1082
; %bb.1081:                             ;   in Loop: Header=BB214_1040 Depth=2
	s_wait_dscnt 0x0
	v_bcnt_u32_b32 v62, v62, v154
	ds_store_b32 v156, v62 offset:544
.LBB214_1082:                           ;   in Loop: Header=BB214_1040 Depth=2
	s_or_b32 exec_lo, exec_lo, s17
	v_and_b32_e32 v62, 0xff, v137
	; wave barrier
	s_delay_alu instid0(VALU_DEP_1) | instskip(NEXT) | instid1(VALU_DEP_1)
	v_lshrrev_b32_e32 v62, s49, v62
	v_and_b32_e32 v64, s48, v62
	s_delay_alu instid0(VALU_DEP_1) | instskip(SKIP_1) | instid1(VALU_DEP_1)
	v_lshlrev_b32_e32 v65, 30, v64
	v_bitop3_b32 v63, v62, 1, s48 bitop3:0x80
	v_add_co_u32 v62, s17, v63, -1
	s_delay_alu instid0(VALU_DEP_1) | instskip(NEXT) | instid1(VALU_DEP_4)
	v_cndmask_b32_e64 v63, 0, 1, s17
	v_cmp_gt_i32_e64 s17, 0, v65
	s_delay_alu instid0(VALU_DEP_2) | instskip(SKIP_2) | instid1(VALU_DEP_2)
	v_cmp_ne_u32_e32 vcc_lo, 0, v63
	v_not_b32_e32 v63, v65
	v_bitop3_b32 v62, vcc_lo, exec_lo, v62 bitop3:0x48
	v_dual_ashrrev_i32 v63, 31, v63 :: v_dual_lshlrev_b32 v157, 29, v64
	v_dual_lshlrev_b32 v158, 28, v64 :: v_dual_lshlrev_b32 v159, 27, v64
	s_delay_alu instid0(VALU_DEP_2) | instskip(NEXT) | instid1(VALU_DEP_3)
	v_dual_lshlrev_b32 v160, 26, v64 :: v_dual_bitop2_b32 v63, s17, v63 bitop3:0x14
	v_not_b32_e32 v65, v157
	v_lshlrev_b32_e32 v161, 25, v64
	v_cmp_gt_i32_e64 s18, 0, v157
	v_cmp_gt_i32_e64 s19, 0, v158
	v_not_b32_e32 v157, v158
	v_not_b32_e32 v158, v159
	v_ashrrev_i32_e32 v65, 31, v65
	v_cmp_gt_i32_e64 s20, 0, v159
	v_cmp_gt_i32_e64 s21, 0, v160
	v_not_b32_e32 v159, v160
	v_dual_ashrrev_i32 v157, 31, v157 :: v_dual_ashrrev_i32 v158, 31, v158
	v_xor_b32_e32 v65, s18, v65
	v_not_b32_e32 v160, v161
	s_delay_alu instid0(VALU_DEP_3) | instskip(NEXT) | instid1(VALU_DEP_4)
	v_dual_ashrrev_i32 v159, 31, v159 :: v_dual_bitop2_b32 v157, s19, v157 bitop3:0x14
	v_xor_b32_e32 v158, s20, v158
	s_delay_alu instid0(VALU_DEP_4)
	v_bitop3_b32 v62, v62, v65, v63 bitop3:0x80
	v_cmp_gt_i32_e32 vcc_lo, 0, v161
	v_ashrrev_i32_e32 v63, 31, v160
	v_mad_u32_u24 v65, v64, 36, v114
	v_xor_b32_e32 v159, s21, v159
	v_bitop3_b32 v62, v62, v158, v157 bitop3:0x80
	s_delay_alu instid0(VALU_DEP_4) | instskip(SKIP_3) | instid1(VALU_DEP_2)
	v_xor_b32_e32 v63, vcc_lo, v63
	ds_load_b32 v157, v65 offset:544
	; wave barrier
	v_bitop3_b32 v62, v62, v63, v159 bitop3:0x80
	v_mul_u32_u24_e32 v63, 36, v64
	v_mbcnt_lo_u32_b32 v158, v62, 0
	v_cmp_ne_u32_e64 s17, 0, v62
	s_delay_alu instid0(VALU_DEP_3) | instskip(NEXT) | instid1(VALU_DEP_3)
	v_add_nc_u32_e32 v159, v114, v63
	v_cmp_eq_u32_e32 vcc_lo, 0, v158
	s_and_b32 s18, s17, vcc_lo
	s_delay_alu instid0(SALU_CYCLE_1)
	s_and_saveexec_b32 s17, s18
	s_cbranch_execz .LBB214_1084
; %bb.1083:                             ;   in Loop: Header=BB214_1040 Depth=2
	s_wait_dscnt 0x0
	v_bcnt_u32_b32 v62, v62, v157
	ds_store_b32 v159, v62 offset:544
.LBB214_1084:                           ;   in Loop: Header=BB214_1040 Depth=2
	s_or_b32 exec_lo, exec_lo, s17
	v_and_b32_e32 v62, 0xff, v138
	; wave barrier
	s_delay_alu instid0(VALU_DEP_1) | instskip(NEXT) | instid1(VALU_DEP_1)
	v_lshrrev_b32_e32 v62, s49, v62
	v_and_b32_e32 v64, s48, v62
	s_delay_alu instid0(VALU_DEP_1) | instskip(SKIP_1) | instid1(VALU_DEP_1)
	v_lshlrev_b32_e32 v65, 30, v64
	v_bitop3_b32 v63, v62, 1, s48 bitop3:0x80
	v_add_co_u32 v62, s17, v63, -1
	s_delay_alu instid0(VALU_DEP_1) | instskip(NEXT) | instid1(VALU_DEP_4)
	v_cndmask_b32_e64 v63, 0, 1, s17
	v_cmp_gt_i32_e64 s17, 0, v65
	s_delay_alu instid0(VALU_DEP_2) | instskip(SKIP_2) | instid1(VALU_DEP_2)
	v_cmp_ne_u32_e32 vcc_lo, 0, v63
	v_not_b32_e32 v63, v65
	v_bitop3_b32 v62, vcc_lo, exec_lo, v62 bitop3:0x48
	v_dual_ashrrev_i32 v63, 31, v63 :: v_dual_lshlrev_b32 v160, 29, v64
	v_dual_lshlrev_b32 v161, 28, v64 :: v_dual_lshlrev_b32 v162, 27, v64
	v_lshlrev_b32_e32 v163, 26, v64
	s_delay_alu instid0(VALU_DEP_3)
	v_not_b32_e32 v65, v160
	v_lshlrev_b32_e32 v164, 25, v64
	v_cmp_gt_i32_e64 s18, 0, v160
	v_cmp_gt_i32_e64 s19, 0, v161
	v_not_b32_e32 v160, v161
	v_not_b32_e32 v161, v162
	v_ashrrev_i32_e32 v65, 31, v65
	v_cmp_gt_i32_e64 s20, 0, v162
	v_cmp_gt_i32_e64 s21, 0, v163
	v_not_b32_e32 v162, v163
	v_dual_ashrrev_i32 v160, 31, v160 :: v_dual_ashrrev_i32 v161, 31, v161
	v_xor_b32_e32 v63, s17, v63
	v_not_b32_e32 v163, v164
	s_delay_alu instid0(VALU_DEP_4) | instskip(NEXT) | instid1(VALU_DEP_4)
	v_dual_ashrrev_i32 v162, 31, v162 :: v_dual_bitop2_b32 v65, s18, v65 bitop3:0x14
	v_xor_b32_e32 v160, s19, v160
	v_xor_b32_e32 v161, s20, v161
	v_cmp_gt_i32_e32 vcc_lo, 0, v164
	s_delay_alu instid0(VALU_DEP_4) | instskip(SKIP_3) | instid1(VALU_DEP_4)
	v_bitop3_b32 v62, v62, v65, v63 bitop3:0x80
	v_ashrrev_i32_e32 v63, 31, v163
	v_mad_u32_u24 v65, v64, 36, v114
	v_xor_b32_e32 v162, s21, v162
	v_bitop3_b32 v62, v62, v161, v160 bitop3:0x80
	s_delay_alu instid0(VALU_DEP_4) | instskip(SKIP_3) | instid1(VALU_DEP_2)
	v_xor_b32_e32 v63, vcc_lo, v63
	ds_load_b32 v160, v65 offset:544
	; wave barrier
	v_bitop3_b32 v62, v62, v63, v162 bitop3:0x80
	v_mul_u32_u24_e32 v63, 36, v64
	v_mbcnt_lo_u32_b32 v161, v62, 0
	v_cmp_ne_u32_e64 s17, 0, v62
	s_delay_alu instid0(VALU_DEP_3) | instskip(NEXT) | instid1(VALU_DEP_3)
	v_add_nc_u32_e32 v162, v114, v63
	v_cmp_eq_u32_e32 vcc_lo, 0, v161
	s_and_b32 s18, s17, vcc_lo
	s_delay_alu instid0(SALU_CYCLE_1)
	s_and_saveexec_b32 s17, s18
	s_cbranch_execz .LBB214_1086
; %bb.1085:                             ;   in Loop: Header=BB214_1040 Depth=2
	s_wait_dscnt 0x0
	v_bcnt_u32_b32 v62, v62, v160
	ds_store_b32 v162, v62 offset:544
.LBB214_1086:                           ;   in Loop: Header=BB214_1040 Depth=2
	s_or_b32 exec_lo, exec_lo, s17
	v_and_b32_e32 v62, 0xff, v139
	; wave barrier
	s_delay_alu instid0(VALU_DEP_1) | instskip(NEXT) | instid1(VALU_DEP_1)
	v_lshrrev_b32_e32 v62, s49, v62
	v_and_b32_e32 v64, s48, v62
	s_delay_alu instid0(VALU_DEP_1) | instskip(SKIP_1) | instid1(VALU_DEP_1)
	v_lshlrev_b32_e32 v65, 30, v64
	v_bitop3_b32 v63, v62, 1, s48 bitop3:0x80
	v_add_co_u32 v62, s17, v63, -1
	s_delay_alu instid0(VALU_DEP_1) | instskip(NEXT) | instid1(VALU_DEP_4)
	v_cndmask_b32_e64 v63, 0, 1, s17
	v_cmp_gt_i32_e64 s17, 0, v65
	s_delay_alu instid0(VALU_DEP_2) | instskip(SKIP_2) | instid1(VALU_DEP_2)
	v_cmp_ne_u32_e32 vcc_lo, 0, v63
	v_not_b32_e32 v63, v65
	v_bitop3_b32 v62, vcc_lo, exec_lo, v62 bitop3:0x48
	v_dual_ashrrev_i32 v63, 31, v63 :: v_dual_lshlrev_b32 v163, 29, v64
	v_dual_lshlrev_b32 v164, 28, v64 :: v_dual_lshlrev_b32 v165, 27, v64
	v_lshlrev_b32_e32 v166, 26, v64
	s_delay_alu instid0(VALU_DEP_3)
	v_not_b32_e32 v65, v163
	v_lshlrev_b32_e32 v167, 25, v64
	v_cmp_gt_i32_e64 s18, 0, v163
	v_cmp_gt_i32_e64 s19, 0, v164
	v_not_b32_e32 v163, v164
	v_not_b32_e32 v164, v165
	v_ashrrev_i32_e32 v65, 31, v65
	v_cmp_gt_i32_e64 s20, 0, v165
	v_cmp_gt_i32_e64 s21, 0, v166
	v_not_b32_e32 v165, v166
	v_dual_ashrrev_i32 v163, 31, v163 :: v_dual_ashrrev_i32 v164, 31, v164
	v_xor_b32_e32 v63, s17, v63
	v_not_b32_e32 v166, v167
	v_xor_b32_e32 v65, s18, v65
	s_delay_alu instid0(VALU_DEP_4) | instskip(SKIP_2) | instid1(VALU_DEP_4)
	v_dual_ashrrev_i32 v165, 31, v165 :: v_dual_bitop2_b32 v163, s19, v163 bitop3:0x14
	v_xor_b32_e32 v164, s20, v164
	v_cmp_gt_i32_e32 vcc_lo, 0, v167
	v_bitop3_b32 v62, v62, v65, v63 bitop3:0x80
	v_ashrrev_i32_e32 v63, 31, v166
	v_mad_u32_u24 v65, v64, 36, v114
	v_xor_b32_e32 v165, s21, v165
	s_delay_alu instid0(VALU_DEP_4) | instskip(NEXT) | instid1(VALU_DEP_4)
	v_bitop3_b32 v62, v62, v164, v163 bitop3:0x80
	v_xor_b32_e32 v63, vcc_lo, v63
	ds_load_b32 v163, v65 offset:544
	; wave barrier
	v_bitop3_b32 v62, v62, v63, v165 bitop3:0x80
	v_mul_u32_u24_e32 v63, 36, v64
	s_delay_alu instid0(VALU_DEP_2) | instskip(SKIP_1) | instid1(VALU_DEP_3)
	v_mbcnt_lo_u32_b32 v164, v62, 0
	v_cmp_ne_u32_e64 s17, 0, v62
	v_add_nc_u32_e32 v165, v114, v63
	s_delay_alu instid0(VALU_DEP_3) | instskip(SKIP_1) | instid1(SALU_CYCLE_1)
	v_cmp_eq_u32_e32 vcc_lo, 0, v164
	s_and_b32 s18, s17, vcc_lo
	s_and_saveexec_b32 s17, s18
	s_cbranch_execz .LBB214_1088
; %bb.1087:                             ;   in Loop: Header=BB214_1040 Depth=2
	s_wait_dscnt 0x0
	v_bcnt_u32_b32 v62, v62, v163
	ds_store_b32 v165, v62 offset:544
.LBB214_1088:                           ;   in Loop: Header=BB214_1040 Depth=2
	s_or_b32 exec_lo, exec_lo, s17
	v_and_b32_e32 v62, 0xff, v140
	; wave barrier
	s_delay_alu instid0(VALU_DEP_1) | instskip(NEXT) | instid1(VALU_DEP_1)
	v_lshrrev_b32_e32 v62, s49, v62
	v_and_b32_e32 v64, s48, v62
	s_delay_alu instid0(VALU_DEP_1) | instskip(SKIP_1) | instid1(VALU_DEP_1)
	v_lshlrev_b32_e32 v65, 30, v64
	v_bitop3_b32 v63, v62, 1, s48 bitop3:0x80
	v_add_co_u32 v62, s17, v63, -1
	s_delay_alu instid0(VALU_DEP_1) | instskip(NEXT) | instid1(VALU_DEP_4)
	v_cndmask_b32_e64 v63, 0, 1, s17
	v_cmp_gt_i32_e64 s17, 0, v65
	s_delay_alu instid0(VALU_DEP_2) | instskip(SKIP_2) | instid1(VALU_DEP_2)
	v_cmp_ne_u32_e32 vcc_lo, 0, v63
	v_not_b32_e32 v63, v65
	v_bitop3_b32 v62, vcc_lo, exec_lo, v62 bitop3:0x48
	v_dual_ashrrev_i32 v63, 31, v63 :: v_dual_lshlrev_b32 v166, 29, v64
	v_dual_lshlrev_b32 v167, 28, v64 :: v_dual_lshlrev_b32 v168, 27, v64
	v_lshlrev_b32_e32 v169, 26, v64
	s_delay_alu instid0(VALU_DEP_3)
	v_not_b32_e32 v65, v166
	v_lshlrev_b32_e32 v170, 25, v64
	v_cmp_gt_i32_e64 s18, 0, v166
	v_cmp_gt_i32_e64 s19, 0, v167
	v_not_b32_e32 v166, v167
	v_not_b32_e32 v167, v168
	v_ashrrev_i32_e32 v65, 31, v65
	v_cmp_gt_i32_e64 s20, 0, v168
	v_cmp_gt_i32_e64 s21, 0, v169
	v_not_b32_e32 v168, v169
	v_dual_ashrrev_i32 v166, 31, v166 :: v_dual_ashrrev_i32 v167, 31, v167
	v_xor_b32_e32 v63, s17, v63
	v_xor_b32_e32 v65, s18, v65
	v_not_b32_e32 v169, v170
	s_delay_alu instid0(VALU_DEP_4) | instskip(SKIP_1) | instid1(VALU_DEP_4)
	v_dual_ashrrev_i32 v168, 31, v168 :: v_dual_bitop2_b32 v166, s19, v166 bitop3:0x14
	v_xor_b32_e32 v167, s20, v167
	v_bitop3_b32 v62, v62, v65, v63 bitop3:0x80
	v_cmp_gt_i32_e32 vcc_lo, 0, v170
	v_ashrrev_i32_e32 v63, 31, v169
	v_mad_u32_u24 v65, v64, 36, v114
	v_xor_b32_e32 v168, s21, v168
	v_bitop3_b32 v62, v62, v167, v166 bitop3:0x80
	s_delay_alu instid0(VALU_DEP_4) | instskip(SKIP_3) | instid1(VALU_DEP_2)
	v_xor_b32_e32 v63, vcc_lo, v63
	ds_load_b32 v166, v65 offset:544
	; wave barrier
	v_bitop3_b32 v62, v62, v63, v168 bitop3:0x80
	v_mul_u32_u24_e32 v63, 36, v64
	v_mbcnt_lo_u32_b32 v167, v62, 0
	v_cmp_ne_u32_e64 s17, 0, v62
	s_delay_alu instid0(VALU_DEP_3) | instskip(NEXT) | instid1(VALU_DEP_3)
	v_add_nc_u32_e32 v168, v114, v63
	v_cmp_eq_u32_e32 vcc_lo, 0, v167
	s_and_b32 s18, s17, vcc_lo
	s_delay_alu instid0(SALU_CYCLE_1)
	s_and_saveexec_b32 s17, s18
	s_cbranch_execz .LBB214_1090
; %bb.1089:                             ;   in Loop: Header=BB214_1040 Depth=2
	s_wait_dscnt 0x0
	v_bcnt_u32_b32 v62, v62, v166
	ds_store_b32 v168, v62 offset:544
.LBB214_1090:                           ;   in Loop: Header=BB214_1040 Depth=2
	s_or_b32 exec_lo, exec_lo, s17
	v_and_b32_e32 v62, 0xff, v141
	; wave barrier
	s_delay_alu instid0(VALU_DEP_1) | instskip(NEXT) | instid1(VALU_DEP_1)
	v_lshrrev_b32_e32 v62, s49, v62
	v_and_b32_e32 v64, s48, v62
	s_delay_alu instid0(VALU_DEP_1) | instskip(SKIP_1) | instid1(VALU_DEP_1)
	v_lshlrev_b32_e32 v65, 30, v64
	v_bitop3_b32 v63, v62, 1, s48 bitop3:0x80
	v_add_co_u32 v62, s17, v63, -1
	s_delay_alu instid0(VALU_DEP_1) | instskip(NEXT) | instid1(VALU_DEP_4)
	v_cndmask_b32_e64 v63, 0, 1, s17
	v_cmp_gt_i32_e64 s17, 0, v65
	s_delay_alu instid0(VALU_DEP_2) | instskip(SKIP_2) | instid1(VALU_DEP_2)
	v_cmp_ne_u32_e32 vcc_lo, 0, v63
	v_not_b32_e32 v63, v65
	v_bitop3_b32 v62, vcc_lo, exec_lo, v62 bitop3:0x48
	v_dual_ashrrev_i32 v63, 31, v63 :: v_dual_lshlrev_b32 v169, 29, v64
	v_dual_lshlrev_b32 v170, 28, v64 :: v_dual_lshlrev_b32 v171, 27, v64
	s_delay_alu instid0(VALU_DEP_2) | instskip(NEXT) | instid1(VALU_DEP_3)
	v_dual_lshlrev_b32 v172, 26, v64 :: v_dual_bitop2_b32 v63, s17, v63 bitop3:0x14
	v_not_b32_e32 v65, v169
	v_lshlrev_b32_e32 v173, 25, v64
	v_cmp_gt_i32_e64 s18, 0, v169
	v_cmp_gt_i32_e64 s19, 0, v170
	v_not_b32_e32 v169, v170
	v_not_b32_e32 v170, v171
	v_ashrrev_i32_e32 v65, 31, v65
	v_cmp_gt_i32_e64 s20, 0, v171
	v_cmp_gt_i32_e64 s21, 0, v172
	v_not_b32_e32 v171, v172
	v_dual_ashrrev_i32 v169, 31, v169 :: v_dual_ashrrev_i32 v170, 31, v170
	v_xor_b32_e32 v65, s18, v65
	v_not_b32_e32 v172, v173
	s_delay_alu instid0(VALU_DEP_3) | instskip(NEXT) | instid1(VALU_DEP_4)
	v_dual_ashrrev_i32 v171, 31, v171 :: v_dual_bitop2_b32 v169, s19, v169 bitop3:0x14
	v_xor_b32_e32 v170, s20, v170
	s_delay_alu instid0(VALU_DEP_4)
	v_bitop3_b32 v62, v62, v65, v63 bitop3:0x80
	v_cmp_gt_i32_e32 vcc_lo, 0, v173
	v_ashrrev_i32_e32 v63, 31, v172
	v_mad_u32_u24 v65, v64, 36, v114
	v_xor_b32_e32 v171, s21, v171
	v_bitop3_b32 v62, v62, v170, v169 bitop3:0x80
	s_delay_alu instid0(VALU_DEP_4) | instskip(SKIP_3) | instid1(VALU_DEP_2)
	v_xor_b32_e32 v63, vcc_lo, v63
	ds_load_b32 v169, v65 offset:544
	; wave barrier
	v_bitop3_b32 v62, v62, v63, v171 bitop3:0x80
	v_mul_u32_u24_e32 v63, 36, v64
	v_mbcnt_lo_u32_b32 v170, v62, 0
	v_cmp_ne_u32_e64 s17, 0, v62
	s_delay_alu instid0(VALU_DEP_3) | instskip(NEXT) | instid1(VALU_DEP_3)
	v_add_nc_u32_e32 v171, v114, v63
	v_cmp_eq_u32_e32 vcc_lo, 0, v170
	s_and_b32 s18, s17, vcc_lo
	s_delay_alu instid0(SALU_CYCLE_1)
	s_and_saveexec_b32 s17, s18
	s_cbranch_execz .LBB214_1092
; %bb.1091:                             ;   in Loop: Header=BB214_1040 Depth=2
	s_wait_dscnt 0x0
	v_bcnt_u32_b32 v62, v62, v169
	ds_store_b32 v171, v62 offset:544
.LBB214_1092:                           ;   in Loop: Header=BB214_1040 Depth=2
	s_or_b32 exec_lo, exec_lo, s17
	v_and_b32_e32 v62, 0xff, v142
	; wave barrier
	s_delay_alu instid0(VALU_DEP_1) | instskip(NEXT) | instid1(VALU_DEP_1)
	v_lshrrev_b32_e32 v62, s49, v62
	v_and_b32_e32 v64, s48, v62
	s_delay_alu instid0(VALU_DEP_1) | instskip(SKIP_1) | instid1(VALU_DEP_1)
	v_lshlrev_b32_e32 v65, 30, v64
	v_bitop3_b32 v63, v62, 1, s48 bitop3:0x80
	v_add_co_u32 v62, s17, v63, -1
	s_delay_alu instid0(VALU_DEP_1) | instskip(NEXT) | instid1(VALU_DEP_4)
	v_cndmask_b32_e64 v63, 0, 1, s17
	v_cmp_gt_i32_e64 s17, 0, v65
	s_delay_alu instid0(VALU_DEP_2) | instskip(SKIP_2) | instid1(VALU_DEP_2)
	v_cmp_ne_u32_e32 vcc_lo, 0, v63
	v_not_b32_e32 v63, v65
	v_bitop3_b32 v62, vcc_lo, exec_lo, v62 bitop3:0x48
	v_dual_ashrrev_i32 v63, 31, v63 :: v_dual_lshlrev_b32 v172, 29, v64
	v_dual_lshlrev_b32 v173, 28, v64 :: v_dual_lshlrev_b32 v174, 27, v64
	v_lshlrev_b32_e32 v175, 26, v64
	s_delay_alu instid0(VALU_DEP_3)
	v_not_b32_e32 v65, v172
	v_lshlrev_b32_e32 v176, 25, v64
	v_cmp_gt_i32_e64 s18, 0, v172
	v_cmp_gt_i32_e64 s19, 0, v173
	v_not_b32_e32 v172, v173
	v_not_b32_e32 v173, v174
	v_ashrrev_i32_e32 v65, 31, v65
	v_cmp_gt_i32_e64 s20, 0, v174
	v_cmp_gt_i32_e64 s21, 0, v175
	v_not_b32_e32 v174, v175
	v_dual_ashrrev_i32 v172, 31, v172 :: v_dual_ashrrev_i32 v173, 31, v173
	v_xor_b32_e32 v63, s17, v63
	v_not_b32_e32 v175, v176
	s_delay_alu instid0(VALU_DEP_4) | instskip(NEXT) | instid1(VALU_DEP_4)
	v_dual_ashrrev_i32 v174, 31, v174 :: v_dual_bitop2_b32 v65, s18, v65 bitop3:0x14
	v_xor_b32_e32 v172, s19, v172
	v_xor_b32_e32 v173, s20, v173
	v_cmp_gt_i32_e32 vcc_lo, 0, v176
	s_delay_alu instid0(VALU_DEP_4) | instskip(SKIP_3) | instid1(VALU_DEP_4)
	v_bitop3_b32 v62, v62, v65, v63 bitop3:0x80
	v_ashrrev_i32_e32 v63, 31, v175
	v_mad_u32_u24 v65, v64, 36, v114
	v_xor_b32_e32 v174, s21, v174
	v_bitop3_b32 v62, v62, v173, v172 bitop3:0x80
	s_delay_alu instid0(VALU_DEP_4) | instskip(SKIP_3) | instid1(VALU_DEP_2)
	v_xor_b32_e32 v63, vcc_lo, v63
	ds_load_b32 v172, v65 offset:544
	; wave barrier
	v_bitop3_b32 v62, v62, v63, v174 bitop3:0x80
	v_mul_u32_u24_e32 v63, 36, v64
	v_mbcnt_lo_u32_b32 v173, v62, 0
	v_cmp_ne_u32_e64 s17, 0, v62
	s_delay_alu instid0(VALU_DEP_3) | instskip(NEXT) | instid1(VALU_DEP_3)
	v_add_nc_u32_e32 v174, v114, v63
	v_cmp_eq_u32_e32 vcc_lo, 0, v173
	s_and_b32 s18, s17, vcc_lo
	s_delay_alu instid0(SALU_CYCLE_1)
	s_and_saveexec_b32 s17, s18
	s_cbranch_execz .LBB214_1094
; %bb.1093:                             ;   in Loop: Header=BB214_1040 Depth=2
	s_wait_dscnt 0x0
	v_bcnt_u32_b32 v62, v62, v172
	ds_store_b32 v174, v62 offset:544
.LBB214_1094:                           ;   in Loop: Header=BB214_1040 Depth=2
	s_or_b32 exec_lo, exec_lo, s17
	v_and_b32_e32 v62, 0xff, v143
	; wave barrier
	s_delay_alu instid0(VALU_DEP_1) | instskip(NEXT) | instid1(VALU_DEP_1)
	v_lshrrev_b32_e32 v62, s49, v62
	v_and_b32_e32 v64, s48, v62
	s_delay_alu instid0(VALU_DEP_1) | instskip(SKIP_1) | instid1(VALU_DEP_1)
	v_lshlrev_b32_e32 v65, 30, v64
	v_bitop3_b32 v63, v62, 1, s48 bitop3:0x80
	v_add_co_u32 v62, s17, v63, -1
	s_delay_alu instid0(VALU_DEP_1) | instskip(NEXT) | instid1(VALU_DEP_4)
	v_cndmask_b32_e64 v63, 0, 1, s17
	v_cmp_gt_i32_e64 s17, 0, v65
	s_delay_alu instid0(VALU_DEP_2) | instskip(SKIP_2) | instid1(VALU_DEP_2)
	v_cmp_ne_u32_e32 vcc_lo, 0, v63
	v_not_b32_e32 v63, v65
	v_bitop3_b32 v62, vcc_lo, exec_lo, v62 bitop3:0x48
	v_dual_ashrrev_i32 v63, 31, v63 :: v_dual_lshlrev_b32 v175, 29, v64
	v_dual_lshlrev_b32 v176, 28, v64 :: v_dual_lshlrev_b32 v177, 27, v64
	v_lshlrev_b32_e32 v178, 26, v64
	s_delay_alu instid0(VALU_DEP_3)
	v_not_b32_e32 v65, v175
	v_lshlrev_b32_e32 v179, 25, v64
	v_cmp_gt_i32_e64 s18, 0, v175
	v_cmp_gt_i32_e64 s19, 0, v176
	v_not_b32_e32 v175, v176
	v_not_b32_e32 v176, v177
	v_ashrrev_i32_e32 v65, 31, v65
	v_cmp_gt_i32_e64 s20, 0, v177
	v_cmp_gt_i32_e64 s21, 0, v178
	v_not_b32_e32 v177, v178
	v_dual_ashrrev_i32 v175, 31, v175 :: v_dual_ashrrev_i32 v176, 31, v176
	v_xor_b32_e32 v63, s17, v63
	v_not_b32_e32 v178, v179
	v_xor_b32_e32 v65, s18, v65
	s_delay_alu instid0(VALU_DEP_4) | instskip(SKIP_2) | instid1(VALU_DEP_4)
	v_dual_ashrrev_i32 v177, 31, v177 :: v_dual_bitop2_b32 v175, s19, v175 bitop3:0x14
	v_xor_b32_e32 v176, s20, v176
	v_cmp_gt_i32_e32 vcc_lo, 0, v179
	v_bitop3_b32 v62, v62, v65, v63 bitop3:0x80
	v_ashrrev_i32_e32 v63, 31, v178
	v_mad_u32_u24 v65, v64, 36, v114
	v_xor_b32_e32 v177, s21, v177
	s_delay_alu instid0(VALU_DEP_4) | instskip(NEXT) | instid1(VALU_DEP_4)
	v_bitop3_b32 v62, v62, v176, v175 bitop3:0x80
	v_xor_b32_e32 v63, vcc_lo, v63
	ds_load_b32 v175, v65 offset:544
	; wave barrier
	v_bitop3_b32 v62, v62, v63, v177 bitop3:0x80
	v_mul_u32_u24_e32 v63, 36, v64
	s_delay_alu instid0(VALU_DEP_2) | instskip(SKIP_1) | instid1(VALU_DEP_3)
	v_mbcnt_lo_u32_b32 v176, v62, 0
	v_cmp_ne_u32_e64 s17, 0, v62
	v_add_nc_u32_e32 v177, v114, v63
	s_delay_alu instid0(VALU_DEP_3) | instskip(SKIP_1) | instid1(SALU_CYCLE_1)
	v_cmp_eq_u32_e32 vcc_lo, 0, v176
	s_and_b32 s18, s17, vcc_lo
	s_and_saveexec_b32 s17, s18
	s_cbranch_execz .LBB214_1096
; %bb.1095:                             ;   in Loop: Header=BB214_1040 Depth=2
	s_wait_dscnt 0x0
	v_bcnt_u32_b32 v62, v62, v175
	ds_store_b32 v177, v62 offset:544
.LBB214_1096:                           ;   in Loop: Header=BB214_1040 Depth=2
	s_or_b32 exec_lo, exec_lo, s17
	v_and_b32_e32 v62, 0xff, v144
	; wave barrier
	s_delay_alu instid0(VALU_DEP_1) | instskip(NEXT) | instid1(VALU_DEP_1)
	v_lshrrev_b32_e32 v62, s49, v62
	v_and_b32_e32 v64, s48, v62
	s_delay_alu instid0(VALU_DEP_1) | instskip(SKIP_1) | instid1(VALU_DEP_1)
	v_lshlrev_b32_e32 v65, 30, v64
	v_bitop3_b32 v63, v62, 1, s48 bitop3:0x80
	v_add_co_u32 v62, s17, v63, -1
	s_delay_alu instid0(VALU_DEP_1) | instskip(NEXT) | instid1(VALU_DEP_4)
	v_cndmask_b32_e64 v63, 0, 1, s17
	v_cmp_gt_i32_e64 s17, 0, v65
	s_delay_alu instid0(VALU_DEP_2) | instskip(SKIP_2) | instid1(VALU_DEP_2)
	v_cmp_ne_u32_e32 vcc_lo, 0, v63
	v_not_b32_e32 v63, v65
	v_bitop3_b32 v62, vcc_lo, exec_lo, v62 bitop3:0x48
	v_dual_ashrrev_i32 v63, 31, v63 :: v_dual_lshlrev_b32 v178, 29, v64
	v_dual_lshlrev_b32 v179, 28, v64 :: v_dual_lshlrev_b32 v180, 27, v64
	v_lshlrev_b32_e32 v181, 26, v64
	s_delay_alu instid0(VALU_DEP_3)
	v_not_b32_e32 v65, v178
	v_lshlrev_b32_e32 v182, 25, v64
	v_cmp_gt_i32_e64 s18, 0, v178
	v_cmp_gt_i32_e64 s19, 0, v179
	v_not_b32_e32 v178, v179
	v_not_b32_e32 v179, v180
	v_ashrrev_i32_e32 v65, 31, v65
	v_cmp_gt_i32_e64 s20, 0, v180
	v_cmp_gt_i32_e64 s21, 0, v181
	v_not_b32_e32 v180, v181
	v_dual_ashrrev_i32 v178, 31, v178 :: v_dual_ashrrev_i32 v179, 31, v179
	v_xor_b32_e32 v63, s17, v63
	v_xor_b32_e32 v65, s18, v65
	v_not_b32_e32 v181, v182
	s_delay_alu instid0(VALU_DEP_4) | instskip(SKIP_1) | instid1(VALU_DEP_4)
	v_dual_ashrrev_i32 v180, 31, v180 :: v_dual_bitop2_b32 v178, s19, v178 bitop3:0x14
	v_xor_b32_e32 v179, s20, v179
	v_bitop3_b32 v62, v62, v65, v63 bitop3:0x80
	v_cmp_gt_i32_e32 vcc_lo, 0, v182
	v_ashrrev_i32_e32 v63, 31, v181
	v_mad_u32_u24 v65, v64, 36, v114
	v_xor_b32_e32 v180, s21, v180
	v_bitop3_b32 v62, v62, v179, v178 bitop3:0x80
	s_delay_alu instid0(VALU_DEP_4) | instskip(SKIP_3) | instid1(VALU_DEP_2)
	v_xor_b32_e32 v63, vcc_lo, v63
	ds_load_b32 v178, v65 offset:544
	; wave barrier
	v_bitop3_b32 v62, v62, v63, v180 bitop3:0x80
	v_mul_u32_u24_e32 v63, 36, v64
	v_mbcnt_lo_u32_b32 v179, v62, 0
	v_cmp_ne_u32_e64 s17, 0, v62
	s_delay_alu instid0(VALU_DEP_3) | instskip(NEXT) | instid1(VALU_DEP_3)
	v_add_nc_u32_e32 v180, v114, v63
	v_cmp_eq_u32_e32 vcc_lo, 0, v179
	s_and_b32 s18, s17, vcc_lo
	s_delay_alu instid0(SALU_CYCLE_1)
	s_and_saveexec_b32 s17, s18
	s_cbranch_execz .LBB214_1098
; %bb.1097:                             ;   in Loop: Header=BB214_1040 Depth=2
	s_wait_dscnt 0x0
	v_bcnt_u32_b32 v62, v62, v178
	ds_store_b32 v180, v62 offset:544
.LBB214_1098:                           ;   in Loop: Header=BB214_1040 Depth=2
	s_or_b32 exec_lo, exec_lo, s17
	v_and_b32_e32 v62, 0xff, v145
	; wave barrier
	s_delay_alu instid0(VALU_DEP_1) | instskip(NEXT) | instid1(VALU_DEP_1)
	v_lshrrev_b32_e32 v62, s49, v62
	v_and_b32_e32 v64, s48, v62
	s_delay_alu instid0(VALU_DEP_1) | instskip(SKIP_1) | instid1(VALU_DEP_1)
	v_lshlrev_b32_e32 v65, 30, v64
	v_bitop3_b32 v63, v62, 1, s48 bitop3:0x80
	v_add_co_u32 v62, s17, v63, -1
	s_delay_alu instid0(VALU_DEP_1) | instskip(NEXT) | instid1(VALU_DEP_4)
	v_cndmask_b32_e64 v63, 0, 1, s17
	v_cmp_gt_i32_e64 s17, 0, v65
	s_delay_alu instid0(VALU_DEP_2) | instskip(SKIP_2) | instid1(VALU_DEP_2)
	v_cmp_ne_u32_e32 vcc_lo, 0, v63
	v_not_b32_e32 v63, v65
	v_bitop3_b32 v62, vcc_lo, exec_lo, v62 bitop3:0x48
	v_dual_ashrrev_i32 v63, 31, v63 :: v_dual_lshlrev_b32 v181, 29, v64
	v_dual_lshlrev_b32 v182, 28, v64 :: v_dual_lshlrev_b32 v183, 27, v64
	s_delay_alu instid0(VALU_DEP_2) | instskip(NEXT) | instid1(VALU_DEP_3)
	v_dual_lshlrev_b32 v184, 26, v64 :: v_dual_bitop2_b32 v63, s17, v63 bitop3:0x14
	v_not_b32_e32 v65, v181
	v_lshlrev_b32_e32 v185, 25, v64
	v_cmp_gt_i32_e64 s18, 0, v181
	v_cmp_gt_i32_e64 s19, 0, v182
	v_not_b32_e32 v181, v182
	v_not_b32_e32 v182, v183
	v_ashrrev_i32_e32 v65, 31, v65
	v_cmp_gt_i32_e64 s20, 0, v183
	v_cmp_gt_i32_e64 s21, 0, v184
	v_not_b32_e32 v183, v184
	v_dual_ashrrev_i32 v181, 31, v181 :: v_dual_ashrrev_i32 v182, 31, v182
	v_xor_b32_e32 v65, s18, v65
	v_not_b32_e32 v184, v185
	s_delay_alu instid0(VALU_DEP_3) | instskip(NEXT) | instid1(VALU_DEP_4)
	v_dual_ashrrev_i32 v183, 31, v183 :: v_dual_bitop2_b32 v181, s19, v181 bitop3:0x14
	v_xor_b32_e32 v182, s20, v182
	s_delay_alu instid0(VALU_DEP_4)
	v_bitop3_b32 v62, v62, v65, v63 bitop3:0x80
	v_cmp_gt_i32_e32 vcc_lo, 0, v185
	v_ashrrev_i32_e32 v63, 31, v184
	v_mad_u32_u24 v65, v64, 36, v114
	v_xor_b32_e32 v183, s21, v183
	v_bitop3_b32 v62, v62, v182, v181 bitop3:0x80
	s_delay_alu instid0(VALU_DEP_4) | instskip(SKIP_3) | instid1(VALU_DEP_2)
	v_xor_b32_e32 v63, vcc_lo, v63
	ds_load_b32 v181, v65 offset:544
	; wave barrier
	v_bitop3_b32 v62, v62, v63, v183 bitop3:0x80
	v_mul_u32_u24_e32 v63, 36, v64
	v_mbcnt_lo_u32_b32 v182, v62, 0
	v_cmp_ne_u32_e64 s17, 0, v62
	s_delay_alu instid0(VALU_DEP_3) | instskip(NEXT) | instid1(VALU_DEP_3)
	v_add_nc_u32_e32 v183, v114, v63
	v_cmp_eq_u32_e32 vcc_lo, 0, v182
	s_and_b32 s18, s17, vcc_lo
	s_delay_alu instid0(SALU_CYCLE_1)
	s_and_saveexec_b32 s17, s18
	s_cbranch_execz .LBB214_1100
; %bb.1099:                             ;   in Loop: Header=BB214_1040 Depth=2
	s_wait_dscnt 0x0
	v_bcnt_u32_b32 v62, v62, v181
	ds_store_b32 v183, v62 offset:544
.LBB214_1100:                           ;   in Loop: Header=BB214_1040 Depth=2
	s_or_b32 exec_lo, exec_lo, s17
	v_and_b32_e32 v62, 0xff, v146
	; wave barrier
	s_delay_alu instid0(VALU_DEP_1) | instskip(NEXT) | instid1(VALU_DEP_1)
	v_lshrrev_b32_e32 v62, s49, v62
	v_and_b32_e32 v64, s48, v62
	s_delay_alu instid0(VALU_DEP_1) | instskip(SKIP_1) | instid1(VALU_DEP_1)
	v_lshlrev_b32_e32 v65, 30, v64
	v_bitop3_b32 v63, v62, 1, s48 bitop3:0x80
	v_add_co_u32 v62, s17, v63, -1
	s_delay_alu instid0(VALU_DEP_1) | instskip(NEXT) | instid1(VALU_DEP_4)
	v_cndmask_b32_e64 v63, 0, 1, s17
	v_cmp_gt_i32_e64 s17, 0, v65
	s_delay_alu instid0(VALU_DEP_2) | instskip(SKIP_2) | instid1(VALU_DEP_2)
	v_cmp_ne_u32_e32 vcc_lo, 0, v63
	v_not_b32_e32 v63, v65
	v_bitop3_b32 v62, vcc_lo, exec_lo, v62 bitop3:0x48
	v_dual_ashrrev_i32 v63, 31, v63 :: v_dual_lshlrev_b32 v184, 29, v64
	v_dual_lshlrev_b32 v185, 28, v64 :: v_dual_lshlrev_b32 v186, 27, v64
	v_lshlrev_b32_e32 v187, 26, v64
	s_delay_alu instid0(VALU_DEP_3)
	v_not_b32_e32 v65, v184
	v_lshlrev_b32_e32 v188, 25, v64
	v_cmp_gt_i32_e64 s18, 0, v184
	v_cmp_gt_i32_e64 s19, 0, v185
	v_not_b32_e32 v184, v185
	v_not_b32_e32 v185, v186
	v_ashrrev_i32_e32 v65, 31, v65
	v_cmp_gt_i32_e64 s20, 0, v186
	v_cmp_gt_i32_e64 s21, 0, v187
	v_not_b32_e32 v186, v187
	v_dual_ashrrev_i32 v184, 31, v184 :: v_dual_ashrrev_i32 v185, 31, v185
	v_xor_b32_e32 v63, s17, v63
	v_not_b32_e32 v187, v188
	s_delay_alu instid0(VALU_DEP_4) | instskip(NEXT) | instid1(VALU_DEP_4)
	v_dual_ashrrev_i32 v186, 31, v186 :: v_dual_bitop2_b32 v65, s18, v65 bitop3:0x14
	v_xor_b32_e32 v184, s19, v184
	v_xor_b32_e32 v185, s20, v185
	v_cmp_gt_i32_e32 vcc_lo, 0, v188
	s_delay_alu instid0(VALU_DEP_4) | instskip(SKIP_3) | instid1(VALU_DEP_4)
	v_bitop3_b32 v62, v62, v65, v63 bitop3:0x80
	v_ashrrev_i32_e32 v63, 31, v187
	v_mad_u32_u24 v65, v64, 36, v114
	v_xor_b32_e32 v186, s21, v186
	v_bitop3_b32 v62, v62, v185, v184 bitop3:0x80
	s_delay_alu instid0(VALU_DEP_4) | instskip(SKIP_3) | instid1(VALU_DEP_2)
	v_xor_b32_e32 v63, vcc_lo, v63
	ds_load_b32 v184, v65 offset:544
	; wave barrier
	v_bitop3_b32 v62, v62, v63, v186 bitop3:0x80
	v_mul_u32_u24_e32 v63, 36, v64
	v_mbcnt_lo_u32_b32 v185, v62, 0
	v_cmp_ne_u32_e64 s17, 0, v62
	s_delay_alu instid0(VALU_DEP_3) | instskip(NEXT) | instid1(VALU_DEP_3)
	v_add_nc_u32_e32 v186, v114, v63
	v_cmp_eq_u32_e32 vcc_lo, 0, v185
	s_and_b32 s18, s17, vcc_lo
	s_delay_alu instid0(SALU_CYCLE_1)
	s_and_saveexec_b32 s17, s18
	s_cbranch_execz .LBB214_1102
; %bb.1101:                             ;   in Loop: Header=BB214_1040 Depth=2
	s_wait_dscnt 0x0
	v_bcnt_u32_b32 v62, v62, v184
	ds_store_b32 v186, v62 offset:544
.LBB214_1102:                           ;   in Loop: Header=BB214_1040 Depth=2
	s_or_b32 exec_lo, exec_lo, s17
	v_and_b32_e32 v62, 0xff, v147
	; wave barrier
	s_delay_alu instid0(VALU_DEP_1) | instskip(NEXT) | instid1(VALU_DEP_1)
	v_lshrrev_b32_e32 v62, s49, v62
	v_and_b32_e32 v64, s48, v62
	s_delay_alu instid0(VALU_DEP_1) | instskip(SKIP_1) | instid1(VALU_DEP_1)
	v_lshlrev_b32_e32 v65, 30, v64
	v_bitop3_b32 v63, v62, 1, s48 bitop3:0x80
	v_add_co_u32 v62, s17, v63, -1
	s_delay_alu instid0(VALU_DEP_1) | instskip(NEXT) | instid1(VALU_DEP_4)
	v_cndmask_b32_e64 v63, 0, 1, s17
	v_cmp_gt_i32_e64 s17, 0, v65
	s_delay_alu instid0(VALU_DEP_2) | instskip(SKIP_2) | instid1(VALU_DEP_2)
	v_cmp_ne_u32_e32 vcc_lo, 0, v63
	v_not_b32_e32 v63, v65
	v_bitop3_b32 v62, vcc_lo, exec_lo, v62 bitop3:0x48
	v_dual_ashrrev_i32 v63, 31, v63 :: v_dual_lshlrev_b32 v187, 29, v64
	v_dual_lshlrev_b32 v188, 28, v64 :: v_dual_lshlrev_b32 v189, 27, v64
	v_lshlrev_b32_e32 v190, 26, v64
	s_delay_alu instid0(VALU_DEP_3)
	v_not_b32_e32 v65, v187
	v_lshlrev_b32_e32 v191, 25, v64
	v_cmp_gt_i32_e64 s18, 0, v187
	v_cmp_gt_i32_e64 s19, 0, v188
	v_not_b32_e32 v187, v188
	v_not_b32_e32 v188, v189
	v_ashrrev_i32_e32 v65, 31, v65
	v_cmp_gt_i32_e64 s20, 0, v189
	v_cmp_gt_i32_e64 s21, 0, v190
	v_not_b32_e32 v189, v190
	v_dual_ashrrev_i32 v187, 31, v187 :: v_dual_ashrrev_i32 v188, 31, v188
	v_xor_b32_e32 v63, s17, v63
	v_not_b32_e32 v190, v191
	v_xor_b32_e32 v65, s18, v65
	s_delay_alu instid0(VALU_DEP_4) | instskip(SKIP_2) | instid1(VALU_DEP_4)
	v_dual_ashrrev_i32 v189, 31, v189 :: v_dual_bitop2_b32 v187, s19, v187 bitop3:0x14
	v_xor_b32_e32 v188, s20, v188
	v_cmp_gt_i32_e32 vcc_lo, 0, v191
	v_bitop3_b32 v62, v62, v65, v63 bitop3:0x80
	v_ashrrev_i32_e32 v63, 31, v190
	v_mad_u32_u24 v65, v64, 36, v114
	v_xor_b32_e32 v189, s21, v189
	s_delay_alu instid0(VALU_DEP_4) | instskip(NEXT) | instid1(VALU_DEP_4)
	v_bitop3_b32 v62, v62, v188, v187 bitop3:0x80
	v_xor_b32_e32 v63, vcc_lo, v63
	ds_load_b32 v187, v65 offset:544
	; wave barrier
	v_bitop3_b32 v62, v62, v63, v189 bitop3:0x80
	v_mul_u32_u24_e32 v63, 36, v64
	s_delay_alu instid0(VALU_DEP_2) | instskip(SKIP_1) | instid1(VALU_DEP_3)
	v_mbcnt_lo_u32_b32 v188, v62, 0
	v_cmp_ne_u32_e64 s17, 0, v62
	v_add_nc_u32_e32 v189, v114, v63
	s_delay_alu instid0(VALU_DEP_3) | instskip(SKIP_1) | instid1(SALU_CYCLE_1)
	v_cmp_eq_u32_e32 vcc_lo, 0, v188
	s_and_b32 s18, s17, vcc_lo
	s_and_saveexec_b32 s17, s18
	s_cbranch_execz .LBB214_1104
; %bb.1103:                             ;   in Loop: Header=BB214_1040 Depth=2
	s_wait_dscnt 0x0
	v_bcnt_u32_b32 v62, v62, v187
	ds_store_b32 v189, v62 offset:544
.LBB214_1104:                           ;   in Loop: Header=BB214_1040 Depth=2
	s_or_b32 exec_lo, exec_lo, s17
	v_and_b32_e32 v62, 0xff, v148
	; wave barrier
	s_delay_alu instid0(VALU_DEP_1) | instskip(NEXT) | instid1(VALU_DEP_1)
	v_lshrrev_b32_e32 v62, s49, v62
	v_and_b32_e32 v64, s48, v62
	s_delay_alu instid0(VALU_DEP_1) | instskip(SKIP_1) | instid1(VALU_DEP_1)
	v_lshlrev_b32_e32 v65, 30, v64
	v_bitop3_b32 v63, v62, 1, s48 bitop3:0x80
	v_add_co_u32 v62, s17, v63, -1
	s_delay_alu instid0(VALU_DEP_1) | instskip(NEXT) | instid1(VALU_DEP_4)
	v_cndmask_b32_e64 v63, 0, 1, s17
	v_cmp_gt_i32_e64 s17, 0, v65
	s_delay_alu instid0(VALU_DEP_2) | instskip(SKIP_2) | instid1(VALU_DEP_2)
	v_cmp_ne_u32_e32 vcc_lo, 0, v63
	v_not_b32_e32 v63, v65
	v_bitop3_b32 v62, vcc_lo, exec_lo, v62 bitop3:0x48
	v_dual_ashrrev_i32 v63, 31, v63 :: v_dual_lshlrev_b32 v190, 29, v64
	v_dual_lshlrev_b32 v191, 28, v64 :: v_dual_lshlrev_b32 v192, 27, v64
	v_lshlrev_b32_e32 v193, 26, v64
	s_delay_alu instid0(VALU_DEP_3)
	v_not_b32_e32 v65, v190
	v_lshlrev_b32_e32 v194, 25, v64
	v_cmp_gt_i32_e64 s18, 0, v190
	v_cmp_gt_i32_e64 s19, 0, v191
	v_not_b32_e32 v190, v191
	v_not_b32_e32 v191, v192
	v_ashrrev_i32_e32 v65, 31, v65
	v_cmp_gt_i32_e64 s20, 0, v192
	v_cmp_gt_i32_e64 s21, 0, v193
	v_not_b32_e32 v192, v193
	v_dual_ashrrev_i32 v190, 31, v190 :: v_dual_ashrrev_i32 v191, 31, v191
	v_xor_b32_e32 v63, s17, v63
	v_xor_b32_e32 v65, s18, v65
	v_not_b32_e32 v193, v194
	s_delay_alu instid0(VALU_DEP_4) | instskip(SKIP_1) | instid1(VALU_DEP_4)
	v_dual_ashrrev_i32 v192, 31, v192 :: v_dual_bitop2_b32 v190, s19, v190 bitop3:0x14
	v_xor_b32_e32 v191, s20, v191
	v_bitop3_b32 v62, v62, v65, v63 bitop3:0x80
	v_cmp_gt_i32_e32 vcc_lo, 0, v194
	v_ashrrev_i32_e32 v63, 31, v193
	v_mad_u32_u24 v65, v64, 36, v114
	v_xor_b32_e32 v192, s21, v192
	v_bitop3_b32 v62, v62, v191, v190 bitop3:0x80
	s_delay_alu instid0(VALU_DEP_4) | instskip(SKIP_3) | instid1(VALU_DEP_2)
	v_xor_b32_e32 v63, vcc_lo, v63
	ds_load_b32 v190, v65 offset:544
	; wave barrier
	v_bitop3_b32 v62, v62, v63, v192 bitop3:0x80
	v_mul_u32_u24_e32 v63, 36, v64
	v_mbcnt_lo_u32_b32 v191, v62, 0
	v_cmp_ne_u32_e64 s17, 0, v62
	s_delay_alu instid0(VALU_DEP_3) | instskip(NEXT) | instid1(VALU_DEP_3)
	v_add_nc_u32_e32 v192, v114, v63
	v_cmp_eq_u32_e32 vcc_lo, 0, v191
	s_and_b32 s18, s17, vcc_lo
	s_delay_alu instid0(SALU_CYCLE_1)
	s_and_saveexec_b32 s17, s18
	s_cbranch_execz .LBB214_1106
; %bb.1105:                             ;   in Loop: Header=BB214_1040 Depth=2
	s_wait_dscnt 0x0
	v_bcnt_u32_b32 v62, v62, v190
	ds_store_b32 v192, v62 offset:544
.LBB214_1106:                           ;   in Loop: Header=BB214_1040 Depth=2
	s_or_b32 exec_lo, exec_lo, s17
	v_and_b32_e32 v62, 0xff, v149
	; wave barrier
	s_delay_alu instid0(VALU_DEP_1) | instskip(NEXT) | instid1(VALU_DEP_1)
	v_lshrrev_b32_e32 v62, s49, v62
	v_and_b32_e32 v64, s48, v62
	s_delay_alu instid0(VALU_DEP_1) | instskip(SKIP_1) | instid1(VALU_DEP_1)
	v_lshlrev_b32_e32 v65, 30, v64
	v_bitop3_b32 v63, v62, 1, s48 bitop3:0x80
	v_add_co_u32 v62, s17, v63, -1
	s_delay_alu instid0(VALU_DEP_1) | instskip(NEXT) | instid1(VALU_DEP_4)
	v_cndmask_b32_e64 v63, 0, 1, s17
	v_cmp_gt_i32_e64 s17, 0, v65
	s_delay_alu instid0(VALU_DEP_2) | instskip(SKIP_2) | instid1(VALU_DEP_2)
	v_cmp_ne_u32_e32 vcc_lo, 0, v63
	v_not_b32_e32 v63, v65
	v_bitop3_b32 v62, vcc_lo, exec_lo, v62 bitop3:0x48
	v_dual_ashrrev_i32 v63, 31, v63 :: v_dual_lshlrev_b32 v193, 29, v64
	v_dual_lshlrev_b32 v194, 28, v64 :: v_dual_lshlrev_b32 v195, 27, v64
	s_delay_alu instid0(VALU_DEP_2) | instskip(NEXT) | instid1(VALU_DEP_3)
	v_dual_lshlrev_b32 v196, 26, v64 :: v_dual_bitop2_b32 v63, s17, v63 bitop3:0x14
	v_not_b32_e32 v65, v193
	v_lshlrev_b32_e32 v197, 25, v64
	v_cmp_gt_i32_e64 s18, 0, v193
	v_cmp_gt_i32_e64 s19, 0, v194
	v_not_b32_e32 v193, v194
	v_not_b32_e32 v194, v195
	v_ashrrev_i32_e32 v65, 31, v65
	v_cmp_gt_i32_e64 s20, 0, v195
	v_cmp_gt_i32_e64 s21, 0, v196
	v_not_b32_e32 v195, v196
	v_dual_ashrrev_i32 v193, 31, v193 :: v_dual_ashrrev_i32 v194, 31, v194
	v_xor_b32_e32 v65, s18, v65
	v_not_b32_e32 v196, v197
	s_delay_alu instid0(VALU_DEP_3) | instskip(NEXT) | instid1(VALU_DEP_4)
	v_dual_ashrrev_i32 v195, 31, v195 :: v_dual_bitop2_b32 v193, s19, v193 bitop3:0x14
	v_xor_b32_e32 v194, s20, v194
	s_delay_alu instid0(VALU_DEP_4)
	v_bitop3_b32 v62, v62, v65, v63 bitop3:0x80
	v_cmp_gt_i32_e32 vcc_lo, 0, v197
	v_ashrrev_i32_e32 v63, 31, v196
	v_mad_u32_u24 v65, v64, 36, v114
	v_xor_b32_e32 v195, s21, v195
	v_bitop3_b32 v62, v62, v194, v193 bitop3:0x80
	s_delay_alu instid0(VALU_DEP_4) | instskip(SKIP_3) | instid1(VALU_DEP_2)
	v_xor_b32_e32 v63, vcc_lo, v63
	ds_load_b32 v193, v65 offset:544
	; wave barrier
	v_bitop3_b32 v62, v62, v63, v195 bitop3:0x80
	v_mul_u32_u24_e32 v63, 36, v64
	v_mbcnt_lo_u32_b32 v194, v62, 0
	v_cmp_ne_u32_e64 s17, 0, v62
	s_delay_alu instid0(VALU_DEP_3) | instskip(NEXT) | instid1(VALU_DEP_3)
	v_add_nc_u32_e32 v195, v114, v63
	v_cmp_eq_u32_e32 vcc_lo, 0, v194
	s_and_b32 s18, s17, vcc_lo
	s_delay_alu instid0(SALU_CYCLE_1)
	s_and_saveexec_b32 s17, s18
	s_cbranch_execz .LBB214_1108
; %bb.1107:                             ;   in Loop: Header=BB214_1040 Depth=2
	s_wait_dscnt 0x0
	v_bcnt_u32_b32 v62, v62, v193
	ds_store_b32 v195, v62 offset:544
.LBB214_1108:                           ;   in Loop: Header=BB214_1040 Depth=2
	s_or_b32 exec_lo, exec_lo, s17
	v_and_b32_e32 v62, 0xff, v150
	; wave barrier
	s_delay_alu instid0(VALU_DEP_1) | instskip(NEXT) | instid1(VALU_DEP_1)
	v_lshrrev_b32_e32 v62, s49, v62
	v_and_b32_e32 v64, s48, v62
	s_delay_alu instid0(VALU_DEP_1) | instskip(SKIP_1) | instid1(VALU_DEP_1)
	v_lshlrev_b32_e32 v65, 30, v64
	v_bitop3_b32 v63, v62, 1, s48 bitop3:0x80
	v_add_co_u32 v62, s17, v63, -1
	s_delay_alu instid0(VALU_DEP_1) | instskip(NEXT) | instid1(VALU_DEP_4)
	v_cndmask_b32_e64 v63, 0, 1, s17
	v_cmp_gt_i32_e64 s17, 0, v65
	s_delay_alu instid0(VALU_DEP_2) | instskip(SKIP_2) | instid1(VALU_DEP_2)
	v_cmp_ne_u32_e32 vcc_lo, 0, v63
	v_not_b32_e32 v63, v65
	v_bitop3_b32 v62, vcc_lo, exec_lo, v62 bitop3:0x48
	v_dual_ashrrev_i32 v63, 31, v63 :: v_dual_lshlrev_b32 v196, 29, v64
	v_dual_lshlrev_b32 v197, 28, v64 :: v_dual_lshlrev_b32 v198, 27, v64
	v_lshlrev_b32_e32 v199, 26, v64
	s_delay_alu instid0(VALU_DEP_3)
	v_not_b32_e32 v65, v196
	v_lshlrev_b32_e32 v200, 25, v64
	v_cmp_gt_i32_e64 s18, 0, v196
	v_cmp_gt_i32_e64 s19, 0, v197
	v_not_b32_e32 v196, v197
	v_not_b32_e32 v197, v198
	v_ashrrev_i32_e32 v65, 31, v65
	v_cmp_gt_i32_e64 s20, 0, v198
	v_cmp_gt_i32_e64 s21, 0, v199
	v_not_b32_e32 v198, v199
	v_dual_ashrrev_i32 v196, 31, v196 :: v_dual_ashrrev_i32 v197, 31, v197
	v_xor_b32_e32 v63, s17, v63
	v_not_b32_e32 v199, v200
	s_delay_alu instid0(VALU_DEP_4) | instskip(NEXT) | instid1(VALU_DEP_4)
	v_dual_ashrrev_i32 v198, 31, v198 :: v_dual_bitop2_b32 v65, s18, v65 bitop3:0x14
	v_xor_b32_e32 v196, s19, v196
	v_xor_b32_e32 v197, s20, v197
	v_cmp_gt_i32_e32 vcc_lo, 0, v200
	s_delay_alu instid0(VALU_DEP_4) | instskip(SKIP_3) | instid1(VALU_DEP_4)
	v_bitop3_b32 v62, v62, v65, v63 bitop3:0x80
	v_ashrrev_i32_e32 v63, 31, v199
	v_mad_u32_u24 v65, v64, 36, v114
	v_xor_b32_e32 v198, s21, v198
	v_bitop3_b32 v62, v62, v197, v196 bitop3:0x80
	s_delay_alu instid0(VALU_DEP_4) | instskip(SKIP_3) | instid1(VALU_DEP_2)
	v_xor_b32_e32 v63, vcc_lo, v63
	ds_load_b32 v196, v65 offset:544
	; wave barrier
	v_bitop3_b32 v62, v62, v63, v198 bitop3:0x80
	v_mul_u32_u24_e32 v63, 36, v64
	v_mbcnt_lo_u32_b32 v197, v62, 0
	v_cmp_ne_u32_e64 s17, 0, v62
	s_delay_alu instid0(VALU_DEP_3) | instskip(NEXT) | instid1(VALU_DEP_3)
	v_add_nc_u32_e32 v198, v114, v63
	v_cmp_eq_u32_e32 vcc_lo, 0, v197
	s_and_b32 s18, s17, vcc_lo
	s_delay_alu instid0(SALU_CYCLE_1)
	s_and_saveexec_b32 s17, s18
	s_cbranch_execz .LBB214_1110
; %bb.1109:                             ;   in Loop: Header=BB214_1040 Depth=2
	s_wait_dscnt 0x0
	v_bcnt_u32_b32 v62, v62, v196
	ds_store_b32 v198, v62 offset:544
.LBB214_1110:                           ;   in Loop: Header=BB214_1040 Depth=2
	s_or_b32 exec_lo, exec_lo, s17
	v_and_b32_e32 v62, 0xff, v151
	; wave barrier
	s_delay_alu instid0(VALU_DEP_1) | instskip(NEXT) | instid1(VALU_DEP_1)
	v_lshrrev_b32_e32 v62, s49, v62
	v_and_b32_e32 v64, s48, v62
	s_delay_alu instid0(VALU_DEP_1) | instskip(SKIP_1) | instid1(VALU_DEP_1)
	v_lshlrev_b32_e32 v65, 30, v64
	v_bitop3_b32 v63, v62, 1, s48 bitop3:0x80
	v_add_co_u32 v62, s17, v63, -1
	s_delay_alu instid0(VALU_DEP_1) | instskip(NEXT) | instid1(VALU_DEP_4)
	v_cndmask_b32_e64 v63, 0, 1, s17
	v_cmp_gt_i32_e64 s17, 0, v65
	s_delay_alu instid0(VALU_DEP_2) | instskip(SKIP_2) | instid1(VALU_DEP_2)
	v_cmp_ne_u32_e32 vcc_lo, 0, v63
	v_not_b32_e32 v63, v65
	v_bitop3_b32 v62, vcc_lo, exec_lo, v62 bitop3:0x48
	v_dual_ashrrev_i32 v63, 31, v63 :: v_dual_lshlrev_b32 v199, 29, v64
	v_dual_lshlrev_b32 v200, 28, v64 :: v_dual_lshlrev_b32 v201, 27, v64
	v_lshlrev_b32_e32 v202, 26, v64
	s_delay_alu instid0(VALU_DEP_3)
	v_not_b32_e32 v65, v199
	v_lshlrev_b32_e32 v203, 25, v64
	v_cmp_gt_i32_e64 s18, 0, v199
	v_cmp_gt_i32_e64 s19, 0, v200
	v_not_b32_e32 v199, v200
	v_not_b32_e32 v200, v201
	v_ashrrev_i32_e32 v65, 31, v65
	v_cmp_gt_i32_e64 s20, 0, v201
	v_cmp_gt_i32_e64 s21, 0, v202
	v_not_b32_e32 v201, v202
	v_dual_ashrrev_i32 v199, 31, v199 :: v_dual_ashrrev_i32 v200, 31, v200
	v_xor_b32_e32 v63, s17, v63
	v_not_b32_e32 v202, v203
	v_xor_b32_e32 v65, s18, v65
	s_delay_alu instid0(VALU_DEP_4) | instskip(SKIP_2) | instid1(VALU_DEP_4)
	v_dual_ashrrev_i32 v201, 31, v201 :: v_dual_bitop2_b32 v199, s19, v199 bitop3:0x14
	v_xor_b32_e32 v200, s20, v200
	v_cmp_gt_i32_e32 vcc_lo, 0, v203
	v_bitop3_b32 v62, v62, v65, v63 bitop3:0x80
	v_ashrrev_i32_e32 v63, 31, v202
	v_mad_u32_u24 v65, v64, 36, v114
	v_xor_b32_e32 v201, s21, v201
	s_delay_alu instid0(VALU_DEP_4) | instskip(NEXT) | instid1(VALU_DEP_4)
	v_bitop3_b32 v62, v62, v200, v199 bitop3:0x80
	v_xor_b32_e32 v63, vcc_lo, v63
	ds_load_b32 v199, v65 offset:544
	; wave barrier
	v_bitop3_b32 v62, v62, v63, v201 bitop3:0x80
	v_mul_u32_u24_e32 v63, 36, v64
	s_delay_alu instid0(VALU_DEP_2) | instskip(SKIP_1) | instid1(VALU_DEP_3)
	v_mbcnt_lo_u32_b32 v200, v62, 0
	v_cmp_ne_u32_e64 s17, 0, v62
	v_add_nc_u32_e32 v201, v114, v63
	s_delay_alu instid0(VALU_DEP_3) | instskip(SKIP_1) | instid1(SALU_CYCLE_1)
	v_cmp_eq_u32_e32 vcc_lo, 0, v200
	s_and_b32 s18, s17, vcc_lo
	s_and_saveexec_b32 s17, s18
	s_cbranch_execz .LBB214_1112
; %bb.1111:                             ;   in Loop: Header=BB214_1040 Depth=2
	s_wait_dscnt 0x0
	v_bcnt_u32_b32 v62, v62, v199
	ds_store_b32 v201, v62 offset:544
.LBB214_1112:                           ;   in Loop: Header=BB214_1040 Depth=2
	s_or_b32 exec_lo, exec_lo, s17
	; wave barrier
	s_wait_dscnt 0x0
	s_barrier_signal -1
	s_barrier_wait -1
	ds_load_2addr_b32 v[64:65], v90 offset0:136 offset1:137
	ds_load_2addr_b32 v[62:63], v90 offset0:138 offset1:139
	ds_load_b32 v202, v90 offset:560
	s_wait_dscnt 0x1
	v_add3_u32 v203, v65, v64, v62
	s_wait_dscnt 0x0
	s_delay_alu instid0(VALU_DEP_1) | instskip(NEXT) | instid1(VALU_DEP_1)
	v_add3_u32 v202, v203, v63, v202
	v_mov_b32_dpp v203, v202 row_shr:1 row_mask:0xf bank_mask:0xf
	s_delay_alu instid0(VALU_DEP_1) | instskip(NEXT) | instid1(VALU_DEP_1)
	v_cndmask_b32_e64 v203, v203, 0, s8
	v_add_nc_u32_e32 v202, v203, v202
	s_delay_alu instid0(VALU_DEP_1) | instskip(NEXT) | instid1(VALU_DEP_1)
	v_mov_b32_dpp v203, v202 row_shr:2 row_mask:0xf bank_mask:0xf
	v_cndmask_b32_e64 v203, 0, v203, s9
	s_delay_alu instid0(VALU_DEP_1) | instskip(NEXT) | instid1(VALU_DEP_1)
	v_add_nc_u32_e32 v202, v202, v203
	v_mov_b32_dpp v203, v202 row_shr:4 row_mask:0xf bank_mask:0xf
	s_delay_alu instid0(VALU_DEP_1) | instskip(NEXT) | instid1(VALU_DEP_1)
	v_cndmask_b32_e64 v203, 0, v203, s10
	v_add_nc_u32_e32 v202, v202, v203
	s_delay_alu instid0(VALU_DEP_1) | instskip(NEXT) | instid1(VALU_DEP_1)
	v_mov_b32_dpp v203, v202 row_shr:8 row_mask:0xf bank_mask:0xf
	v_cndmask_b32_e64 v203, 0, v203, s11
	s_delay_alu instid0(VALU_DEP_1) | instskip(SKIP_3) | instid1(VALU_DEP_1)
	v_add_nc_u32_e32 v202, v202, v203
	ds_swizzle_b32 v203, v202 offset:swizzle(BROADCAST,32,15)
	s_wait_dscnt 0x0
	v_cndmask_b32_e64 v203, v203, 0, s12
	v_add_nc_u32_e32 v202, v202, v203
	s_and_saveexec_b32 s17, s2
; %bb.1113:                             ;   in Loop: Header=BB214_1040 Depth=2
	ds_store_b32 v83, v202 offset:512
; %bb.1114:                             ;   in Loop: Header=BB214_1040 Depth=2
	s_or_b32 exec_lo, exec_lo, s17
	s_wait_dscnt 0x0
	s_barrier_signal -1
	s_barrier_wait -1
	s_and_saveexec_b32 s17, s3
	s_cbranch_execz .LBB214_1116
; %bb.1115:                             ;   in Loop: Header=BB214_1040 Depth=2
	ds_load_b32 v203, v92 offset:512
	s_wait_dscnt 0x0
	v_mov_b32_dpp v204, v203 row_shr:1 row_mask:0xf bank_mask:0xf
	s_delay_alu instid0(VALU_DEP_1) | instskip(NEXT) | instid1(VALU_DEP_1)
	v_cndmask_b32_e64 v204, v204, 0, s14
	v_add_nc_u32_e32 v203, v204, v203
	s_delay_alu instid0(VALU_DEP_1) | instskip(NEXT) | instid1(VALU_DEP_1)
	v_mov_b32_dpp v204, v203 row_shr:2 row_mask:0xf bank_mask:0xf
	v_cndmask_b32_e64 v204, 0, v204, s15
	s_delay_alu instid0(VALU_DEP_1) | instskip(NEXT) | instid1(VALU_DEP_1)
	v_add_nc_u32_e32 v203, v203, v204
	v_mov_b32_dpp v204, v203 row_shr:4 row_mask:0xf bank_mask:0xf
	s_delay_alu instid0(VALU_DEP_1) | instskip(NEXT) | instid1(VALU_DEP_1)
	v_cndmask_b32_e64 v204, 0, v204, s16
	v_add_nc_u32_e32 v203, v203, v204
	ds_store_b32 v92, v203 offset:512
.LBB214_1116:                           ;   in Loop: Header=BB214_1040 Depth=2
	s_or_b32 exec_lo, exec_lo, s17
	v_mov_b32_e32 v203, 0
	s_wait_dscnt 0x0
	s_barrier_signal -1
	s_barrier_wait -1
	s_and_saveexec_b32 s17, s5
; %bb.1117:                             ;   in Loop: Header=BB214_1040 Depth=2
	ds_load_b32 v203, v83 offset:508
; %bb.1118:                             ;   in Loop: Header=BB214_1040 Depth=2
	s_or_b32 exec_lo, exec_lo, s17
	s_wait_dscnt 0x0
	v_add_nc_u32_e32 v202, v203, v202
	ds_bpermute_b32 v202, v96, v202
	s_wait_dscnt 0x0
	v_cndmask_b32_e64 v202, v202, v203, s13
	s_delay_alu instid0(VALU_DEP_1) | instskip(NEXT) | instid1(VALU_DEP_1)
	v_cndmask_b32_e64 v202, v202, 0, s6
	v_add_nc_u32_e32 v64, v202, v64
	s_delay_alu instid0(VALU_DEP_1) | instskip(NEXT) | instid1(VALU_DEP_1)
	v_add_nc_u32_e32 v65, v64, v65
	v_add_nc_u32_e32 v62, v65, v62
	s_delay_alu instid0(VALU_DEP_1)
	v_add_nc_u32_e32 v63, v62, v63
	ds_store_2addr_b32 v90, v202, v64 offset0:136 offset1:137
	ds_store_2addr_b32 v90, v65, v62 offset0:138 offset1:139
	ds_store_b32 v90, v63 offset:560
	s_wait_dscnt 0x0
	s_barrier_signal -1
	s_barrier_wait -1
	ds_load_b32 v62, v153 offset:544
	ds_load_b32 v63, v156 offset:544
	;; [unrolled: 1-line block ×17, first 2 shown]
	s_and_saveexec_b32 s17, s0
	s_cbranch_execz .LBB214_1122
; %bb.1119:                             ;   in Loop: Header=BB214_1040 Depth=2
	v_dual_mov_b32 v133, 0x1100 :: v_dual_add_nc_u32 v132, v92, v94
	ds_load_b32 v132, v132 offset:544
	s_and_saveexec_b32 s18, s7
; %bb.1120:                             ;   in Loop: Header=BB214_1040 Depth=2
	ds_load_b32 v133, v93 offset:544
; %bb.1121:                             ;   in Loop: Header=BB214_1040 Depth=2
	s_or_b32 exec_lo, exec_lo, s18
	s_wait_dscnt 0x0
	v_sub_nc_u32_e32 v133, v133, v132
.LBB214_1122:                           ;   in Loop: Header=BB214_1040 Depth=2
	s_or_b32 exec_lo, exec_lo, s17
	s_wait_dscnt 0x0
	s_barrier_signal -1
	s_barrier_wait -1
	s_and_saveexec_b32 s17, s0
	s_cbranch_execz .LBB214_1124
; %bb.1123:                             ;   in Loop: Header=BB214_1040 Depth=2
	ds_load_b32 v162, v66
	s_wait_dscnt 0x0
	v_sub_nc_u32_e32 v162, v162, v132
	ds_store_b32 v66, v162
.LBB214_1124:                           ;   in Loop: Header=BB214_1040 Depth=2
	s_or_b32 exec_lo, exec_lo, s17
	v_add_nc_u32_e32 v174, v62, v152
	v_add3_u32 v171, v155, v154, v63
	v_add3_u32 v168, v158, v157, v64
	;; [unrolled: 1-line block ×16, first 2 shown]
	v_cmp_lt_u32_e32 vcc_lo, v2, v134
	ds_store_b8 v174, v135 offset:512
	ds_store_b8 v171, v136 offset:512
	;; [unrolled: 1-line block ×17, first 2 shown]
	s_wait_dscnt 0x0
	s_barrier_signal -1
	s_barrier_wait -1
	s_and_saveexec_b32 s17, vcc_lo
	s_cbranch_execnz .LBB214_1197
; %bb.1125:                             ;   in Loop: Header=BB214_1040 Depth=2
	s_or_b32 exec_lo, exec_lo, s17
	v_cmp_lt_u32_e64 s17, v67, v134
	s_and_saveexec_b32 s18, s17
	s_cbranch_execnz .LBB214_1198
.LBB214_1126:                           ;   in Loop: Header=BB214_1040 Depth=2
	s_or_b32 exec_lo, exec_lo, s18
	v_cmp_lt_u32_e64 s18, v68, v134
	s_and_saveexec_b32 s19, s18
	s_cbranch_execnz .LBB214_1199
.LBB214_1127:                           ;   in Loop: Header=BB214_1040 Depth=2
	s_or_b32 exec_lo, exec_lo, s19
	v_cmp_lt_u32_e64 s19, v69, v134
	s_and_saveexec_b32 s20, s19
	s_cbranch_execnz .LBB214_1200
.LBB214_1128:                           ;   in Loop: Header=BB214_1040 Depth=2
	s_or_b32 exec_lo, exec_lo, s20
	v_cmp_lt_u32_e64 s20, v70, v134
	s_and_saveexec_b32 s21, s20
	s_cbranch_execnz .LBB214_1201
.LBB214_1129:                           ;   in Loop: Header=BB214_1040 Depth=2
	s_or_b32 exec_lo, exec_lo, s21
	v_cmp_lt_u32_e64 s21, v71, v134
	s_and_saveexec_b32 s22, s21
	s_cbranch_execnz .LBB214_1202
.LBB214_1130:                           ;   in Loop: Header=BB214_1040 Depth=2
	s_or_b32 exec_lo, exec_lo, s22
	v_cmp_lt_u32_e64 s22, v72, v134
	s_and_saveexec_b32 s23, s22
	s_cbranch_execnz .LBB214_1203
.LBB214_1131:                           ;   in Loop: Header=BB214_1040 Depth=2
	s_or_b32 exec_lo, exec_lo, s23
	v_cmp_lt_u32_e64 s23, v73, v134
	s_and_saveexec_b32 s24, s23
	s_cbranch_execnz .LBB214_1204
.LBB214_1132:                           ;   in Loop: Header=BB214_1040 Depth=2
	s_or_b32 exec_lo, exec_lo, s24
	v_cmp_lt_u32_e64 s24, v74, v134
	s_and_saveexec_b32 s25, s24
	s_cbranch_execnz .LBB214_1205
.LBB214_1133:                           ;   in Loop: Header=BB214_1040 Depth=2
	s_or_b32 exec_lo, exec_lo, s25
	v_cmp_lt_u32_e64 s25, v75, v134
	s_and_saveexec_b32 s26, s25
	s_cbranch_execnz .LBB214_1206
.LBB214_1134:                           ;   in Loop: Header=BB214_1040 Depth=2
	s_or_b32 exec_lo, exec_lo, s26
	v_cmp_lt_u32_e64 s26, v76, v134
	s_and_saveexec_b32 s27, s26
	s_cbranch_execnz .LBB214_1207
.LBB214_1135:                           ;   in Loop: Header=BB214_1040 Depth=2
	s_or_b32 exec_lo, exec_lo, s27
	v_cmp_lt_u32_e64 s27, v77, v134
	s_and_saveexec_b32 s28, s27
	s_cbranch_execnz .LBB214_1208
.LBB214_1136:                           ;   in Loop: Header=BB214_1040 Depth=2
	s_or_b32 exec_lo, exec_lo, s28
	v_cmp_lt_u32_e64 s28, v78, v134
	s_and_saveexec_b32 s29, s28
	s_cbranch_execnz .LBB214_1209
.LBB214_1137:                           ;   in Loop: Header=BB214_1040 Depth=2
	s_or_b32 exec_lo, exec_lo, s29
	v_cmp_lt_u32_e64 s29, v79, v134
	s_and_saveexec_b32 s30, s29
	s_cbranch_execnz .LBB214_1210
.LBB214_1138:                           ;   in Loop: Header=BB214_1040 Depth=2
	s_or_b32 exec_lo, exec_lo, s30
	v_cmp_lt_u32_e64 s30, v80, v134
	s_and_saveexec_b32 s31, s30
	s_cbranch_execnz .LBB214_1211
.LBB214_1139:                           ;   in Loop: Header=BB214_1040 Depth=2
	s_or_b32 exec_lo, exec_lo, s31
	v_cmp_lt_u32_e64 s31, v81, v134
	s_and_saveexec_b32 s33, s31
	s_cbranch_execnz .LBB214_1212
.LBB214_1140:                           ;   in Loop: Header=BB214_1040 Depth=2
	s_or_b32 exec_lo, exec_lo, s33
	v_cmp_lt_u32_e64 s33, v82, v134
	s_and_saveexec_b32 s60, s33
	s_cbranch_execz .LBB214_1142
.LBB214_1141:                           ;   in Loop: Header=BB214_1040 Depth=2
	ds_load_u8 v62, v2 offset:4608
	s_wait_dscnt 0x0
	v_and_b32_e32 v63, 0xff, v62
	s_delay_alu instid0(VALU_DEP_1) | instskip(NEXT) | instid1(VALU_DEP_1)
	v_lshrrev_b32_e32 v63, s49, v63
	v_and_b32_e32 v63, s48, v63
	s_delay_alu instid0(VALU_DEP_1)
	v_lshlrev_b32_e32 v63, 2, v63
	ds_load_b32 v63, v63
	s_wait_dscnt 0x0
	v_add_nc_u32_e32 v63, v63, v82
	global_store_b8 v63, v62, s[40:41]
.LBB214_1142:                           ;   in Loop: Header=BB214_1040 Depth=2
	s_wait_xcnt 0x0
	s_or_b32 exec_lo, exec_lo, s60
	v_lshl_add_u64 v[62:63], s[34:35], 3, v[24:25]
	v_cmp_lt_u32_e64 s34, v97, v134
	s_and_saveexec_b32 s60, s34
	s_delay_alu instid0(SALU_CYCLE_1)
	s_xor_b32 s34, exec_lo, s60
	s_cbranch_execnz .LBB214_1213
; %bb.1143:                             ;   in Loop: Header=BB214_1040 Depth=2
	s_or_b32 exec_lo, exec_lo, s34
	s_delay_alu instid0(SALU_CYCLE_1)
	s_mov_b32 s60, exec_lo
	v_cmpx_lt_u32_e64 v98, v134
	s_cbranch_execnz .LBB214_1214
.LBB214_1144:                           ;   in Loop: Header=BB214_1040 Depth=2
	s_or_b32 exec_lo, exec_lo, s60
	s_delay_alu instid0(SALU_CYCLE_1)
	s_mov_b32 s60, exec_lo
	v_cmpx_lt_u32_e64 v99, v134
	s_cbranch_execnz .LBB214_1215
.LBB214_1145:                           ;   in Loop: Header=BB214_1040 Depth=2
	s_or_b32 exec_lo, exec_lo, s60
	s_delay_alu instid0(SALU_CYCLE_1)
	s_mov_b32 s60, exec_lo
	v_cmpx_lt_u32_e64 v100, v134
	s_cbranch_execnz .LBB214_1216
.LBB214_1146:                           ;   in Loop: Header=BB214_1040 Depth=2
	s_or_b32 exec_lo, exec_lo, s60
	s_delay_alu instid0(SALU_CYCLE_1)
	s_mov_b32 s60, exec_lo
	v_cmpx_lt_u32_e64 v101, v134
	s_cbranch_execnz .LBB214_1217
.LBB214_1147:                           ;   in Loop: Header=BB214_1040 Depth=2
	s_or_b32 exec_lo, exec_lo, s60
	s_delay_alu instid0(SALU_CYCLE_1)
	s_mov_b32 s60, exec_lo
	v_cmpx_lt_u32_e64 v102, v134
	s_cbranch_execnz .LBB214_1218
.LBB214_1148:                           ;   in Loop: Header=BB214_1040 Depth=2
	s_or_b32 exec_lo, exec_lo, s60
	s_delay_alu instid0(SALU_CYCLE_1)
	s_mov_b32 s60, exec_lo
	v_cmpx_lt_u32_e64 v103, v134
	s_cbranch_execnz .LBB214_1219
.LBB214_1149:                           ;   in Loop: Header=BB214_1040 Depth=2
	s_or_b32 exec_lo, exec_lo, s60
	s_delay_alu instid0(SALU_CYCLE_1)
	s_mov_b32 s60, exec_lo
	v_cmpx_lt_u32_e64 v104, v134
	s_cbranch_execnz .LBB214_1220
.LBB214_1150:                           ;   in Loop: Header=BB214_1040 Depth=2
	s_or_b32 exec_lo, exec_lo, s60
	s_delay_alu instid0(SALU_CYCLE_1)
	s_mov_b32 s60, exec_lo
	v_cmpx_lt_u32_e64 v105, v134
	s_cbranch_execnz .LBB214_1221
.LBB214_1151:                           ;   in Loop: Header=BB214_1040 Depth=2
	s_or_b32 exec_lo, exec_lo, s60
	s_delay_alu instid0(SALU_CYCLE_1)
	s_mov_b32 s60, exec_lo
	v_cmpx_lt_u32_e64 v106, v134
	s_cbranch_execnz .LBB214_1222
.LBB214_1152:                           ;   in Loop: Header=BB214_1040 Depth=2
	s_or_b32 exec_lo, exec_lo, s60
	s_delay_alu instid0(SALU_CYCLE_1)
	s_mov_b32 s60, exec_lo
	v_cmpx_lt_u32_e64 v107, v134
	s_cbranch_execnz .LBB214_1223
.LBB214_1153:                           ;   in Loop: Header=BB214_1040 Depth=2
	s_or_b32 exec_lo, exec_lo, s60
	s_delay_alu instid0(SALU_CYCLE_1)
	s_mov_b32 s60, exec_lo
	v_cmpx_lt_u32_e64 v108, v134
	s_cbranch_execnz .LBB214_1224
.LBB214_1154:                           ;   in Loop: Header=BB214_1040 Depth=2
	s_or_b32 exec_lo, exec_lo, s60
	s_delay_alu instid0(SALU_CYCLE_1)
	s_mov_b32 s60, exec_lo
	v_cmpx_lt_u32_e64 v109, v134
	s_cbranch_execnz .LBB214_1225
.LBB214_1155:                           ;   in Loop: Header=BB214_1040 Depth=2
	s_or_b32 exec_lo, exec_lo, s60
	s_delay_alu instid0(SALU_CYCLE_1)
	s_mov_b32 s60, exec_lo
	v_cmpx_lt_u32_e64 v110, v134
	s_cbranch_execnz .LBB214_1226
.LBB214_1156:                           ;   in Loop: Header=BB214_1040 Depth=2
	s_or_b32 exec_lo, exec_lo, s60
	s_delay_alu instid0(SALU_CYCLE_1)
	s_mov_b32 s60, exec_lo
	v_cmpx_lt_u32_e64 v111, v134
	s_cbranch_execnz .LBB214_1227
.LBB214_1157:                           ;   in Loop: Header=BB214_1040 Depth=2
	s_or_b32 exec_lo, exec_lo, s60
	s_delay_alu instid0(SALU_CYCLE_1)
	s_mov_b32 s60, exec_lo
	v_cmpx_lt_u32_e64 v112, v134
	s_cbranch_execnz .LBB214_1228
.LBB214_1158:                           ;   in Loop: Header=BB214_1040 Depth=2
	s_or_b32 exec_lo, exec_lo, s60
	s_delay_alu instid0(SALU_CYCLE_1)
	s_mov_b32 s60, exec_lo
	v_cmpx_lt_u32_e64 v113, v134
	s_cbranch_execnz .LBB214_1229
.LBB214_1159:                           ;   in Loop: Header=BB214_1040 Depth=2
	s_or_b32 exec_lo, exec_lo, s60
	s_and_saveexec_b32 s34, vcc_lo
	s_cbranch_execnz .LBB214_1230
.LBB214_1160:                           ;   in Loop: Header=BB214_1040 Depth=2
	s_or_b32 exec_lo, exec_lo, s34
	s_and_saveexec_b32 s34, s17
	s_cbranch_execnz .LBB214_1231
.LBB214_1161:                           ;   in Loop: Header=BB214_1040 Depth=2
	s_or_b32 exec_lo, exec_lo, s34
	s_and_saveexec_b32 s34, s18
	s_cbranch_execnz .LBB214_1232
.LBB214_1162:                           ;   in Loop: Header=BB214_1040 Depth=2
	s_or_b32 exec_lo, exec_lo, s34
	s_and_saveexec_b32 s34, s19
	s_cbranch_execnz .LBB214_1233
.LBB214_1163:                           ;   in Loop: Header=BB214_1040 Depth=2
	s_or_b32 exec_lo, exec_lo, s34
	s_and_saveexec_b32 s34, s20
	s_cbranch_execnz .LBB214_1234
.LBB214_1164:                           ;   in Loop: Header=BB214_1040 Depth=2
	s_or_b32 exec_lo, exec_lo, s34
	s_and_saveexec_b32 s34, s21
	s_cbranch_execnz .LBB214_1235
.LBB214_1165:                           ;   in Loop: Header=BB214_1040 Depth=2
	s_or_b32 exec_lo, exec_lo, s34
	s_and_saveexec_b32 s34, s22
	s_cbranch_execnz .LBB214_1236
.LBB214_1166:                           ;   in Loop: Header=BB214_1040 Depth=2
	s_or_b32 exec_lo, exec_lo, s34
	s_and_saveexec_b32 s34, s23
	s_cbranch_execnz .LBB214_1237
.LBB214_1167:                           ;   in Loop: Header=BB214_1040 Depth=2
	s_or_b32 exec_lo, exec_lo, s34
	s_and_saveexec_b32 s34, s24
	s_cbranch_execnz .LBB214_1238
.LBB214_1168:                           ;   in Loop: Header=BB214_1040 Depth=2
	s_or_b32 exec_lo, exec_lo, s34
	s_and_saveexec_b32 s34, s25
	s_cbranch_execnz .LBB214_1239
.LBB214_1169:                           ;   in Loop: Header=BB214_1040 Depth=2
	s_or_b32 exec_lo, exec_lo, s34
	s_and_saveexec_b32 s34, s26
	s_cbranch_execnz .LBB214_1240
.LBB214_1170:                           ;   in Loop: Header=BB214_1040 Depth=2
	s_or_b32 exec_lo, exec_lo, s34
	s_and_saveexec_b32 s34, s27
	s_cbranch_execnz .LBB214_1241
.LBB214_1171:                           ;   in Loop: Header=BB214_1040 Depth=2
	s_or_b32 exec_lo, exec_lo, s34
	s_and_saveexec_b32 s34, s28
	s_cbranch_execnz .LBB214_1242
.LBB214_1172:                           ;   in Loop: Header=BB214_1040 Depth=2
	s_or_b32 exec_lo, exec_lo, s34
	s_and_saveexec_b32 s34, s29
	s_cbranch_execnz .LBB214_1243
.LBB214_1173:                           ;   in Loop: Header=BB214_1040 Depth=2
	s_or_b32 exec_lo, exec_lo, s34
	s_and_saveexec_b32 s34, s30
	s_cbranch_execnz .LBB214_1244
.LBB214_1174:                           ;   in Loop: Header=BB214_1040 Depth=2
	s_or_b32 exec_lo, exec_lo, s34
	s_and_saveexec_b32 s34, s31
	s_cbranch_execnz .LBB214_1245
.LBB214_1175:                           ;   in Loop: Header=BB214_1040 Depth=2
	s_or_b32 exec_lo, exec_lo, s34
	s_and_saveexec_b32 s34, s33
	s_cbranch_execz .LBB214_1177
.LBB214_1176:                           ;   in Loop: Header=BB214_1040 Depth=2
	ds_load_u8 v62, v2 offset:4608
	s_wait_dscnt 0x0
	v_lshrrev_b32_e32 v62, s49, v62
	s_delay_alu instid0(VALU_DEP_1)
	v_and_b32_e32 v115, s48, v62
.LBB214_1177:                           ;   in Loop: Header=BB214_1040 Depth=2
	s_or_b32 exec_lo, exec_lo, s34
	v_dual_lshlrev_b32 v62, 3, v174 :: v_dual_lshlrev_b32 v63, 3, v171
	s_wait_loadcnt 0x0
	s_wait_storecnt 0x0
	s_barrier_signal -1
	s_barrier_wait -1
	ds_store_b64 v62, v[60:61] offset:512
	ds_store_b64 v63, v[58:59] offset:512
	v_dual_lshlrev_b32 v62, 3, v168 :: v_dual_lshlrev_b32 v63, 3, v165
	v_dual_lshlrev_b32 v134, 3, v162 :: v_dual_lshlrev_b32 v135, 3, v161
	v_lshlrev_b32_e32 v136, 3, v160
	ds_store_b64 v62, v[56:57] offset:512
	ds_store_b64 v63, v[54:55] offset:512
	ds_store_b64 v134, v[52:53] offset:512
	ds_store_b64 v135, v[50:51] offset:512
	ds_store_b64 v136, v[48:49] offset:512
	v_dual_lshlrev_b32 v62, 3, v159 :: v_dual_lshlrev_b32 v63, 3, v158
	v_dual_lshlrev_b32 v134, 3, v157 :: v_dual_lshlrev_b32 v135, 3, v156
	v_lshlrev_b32_e32 v136, 3, v155
	ds_store_b64 v62, v[46:47] offset:512
	ds_store_b64 v63, v[44:45] offset:512
	ds_store_b64 v134, v[42:43] offset:512
	ds_store_b64 v135, v[40:41] offset:512
	ds_store_b64 v136, v[38:39] offset:512
	v_dual_lshlrev_b32 v62, 3, v154 :: v_dual_lshlrev_b32 v63, 3, v153
	v_dual_lshlrev_b32 v134, 3, v152 :: v_dual_lshlrev_b32 v65, 3, v65
	v_lshlrev_b32_e32 v64, 3, v64
	ds_store_b64 v62, v[36:37] offset:512
	ds_store_b64 v63, v[34:35] offset:512
	ds_store_b64 v134, v[32:33] offset:512
	ds_store_b64 v65, v[30:31] offset:512
	ds_store_b64 v64, v[28:29] offset:512
	v_add_nc_u32_e32 v62, v2, v95
	s_wait_dscnt 0x0
	s_barrier_signal -1
	s_barrier_wait -1
	s_and_saveexec_b32 s34, vcc_lo
	s_cbranch_execnz .LBB214_1246
; %bb.1178:                             ;   in Loop: Header=BB214_1040 Depth=2
	s_or_b32 exec_lo, exec_lo, s34
	s_and_saveexec_b32 s34, s17
	s_cbranch_execnz .LBB214_1247
.LBB214_1179:                           ;   in Loop: Header=BB214_1040 Depth=2
	s_or_b32 exec_lo, exec_lo, s34
	s_and_saveexec_b32 s17, s18
	s_cbranch_execnz .LBB214_1248
.LBB214_1180:                           ;   in Loop: Header=BB214_1040 Depth=2
	s_or_b32 exec_lo, exec_lo, s17
	s_and_saveexec_b32 s17, s19
	s_cbranch_execnz .LBB214_1249
.LBB214_1181:                           ;   in Loop: Header=BB214_1040 Depth=2
	s_or_b32 exec_lo, exec_lo, s17
	s_and_saveexec_b32 s17, s20
	s_cbranch_execnz .LBB214_1250
.LBB214_1182:                           ;   in Loop: Header=BB214_1040 Depth=2
	s_or_b32 exec_lo, exec_lo, s17
	s_and_saveexec_b32 s17, s21
	s_cbranch_execnz .LBB214_1251
.LBB214_1183:                           ;   in Loop: Header=BB214_1040 Depth=2
	s_or_b32 exec_lo, exec_lo, s17
	s_and_saveexec_b32 s17, s22
	s_cbranch_execnz .LBB214_1252
.LBB214_1184:                           ;   in Loop: Header=BB214_1040 Depth=2
	s_or_b32 exec_lo, exec_lo, s17
	s_and_saveexec_b32 s17, s23
	s_cbranch_execnz .LBB214_1253
.LBB214_1185:                           ;   in Loop: Header=BB214_1040 Depth=2
	s_or_b32 exec_lo, exec_lo, s17
	s_and_saveexec_b32 s17, s24
	s_cbranch_execnz .LBB214_1254
.LBB214_1186:                           ;   in Loop: Header=BB214_1040 Depth=2
	s_or_b32 exec_lo, exec_lo, s17
	s_and_saveexec_b32 s17, s25
	s_cbranch_execnz .LBB214_1255
.LBB214_1187:                           ;   in Loop: Header=BB214_1040 Depth=2
	s_or_b32 exec_lo, exec_lo, s17
	s_and_saveexec_b32 s17, s26
	s_cbranch_execnz .LBB214_1256
.LBB214_1188:                           ;   in Loop: Header=BB214_1040 Depth=2
	s_or_b32 exec_lo, exec_lo, s17
	s_and_saveexec_b32 s17, s27
	s_cbranch_execnz .LBB214_1257
.LBB214_1189:                           ;   in Loop: Header=BB214_1040 Depth=2
	s_or_b32 exec_lo, exec_lo, s17
	s_and_saveexec_b32 s17, s28
	s_cbranch_execnz .LBB214_1258
.LBB214_1190:                           ;   in Loop: Header=BB214_1040 Depth=2
	s_or_b32 exec_lo, exec_lo, s17
	s_and_saveexec_b32 s17, s29
	s_cbranch_execnz .LBB214_1259
.LBB214_1191:                           ;   in Loop: Header=BB214_1040 Depth=2
	s_or_b32 exec_lo, exec_lo, s17
	s_and_saveexec_b32 s17, s30
	s_cbranch_execnz .LBB214_1260
.LBB214_1192:                           ;   in Loop: Header=BB214_1040 Depth=2
	s_or_b32 exec_lo, exec_lo, s17
	s_and_saveexec_b32 s17, s31
	s_cbranch_execnz .LBB214_1261
.LBB214_1193:                           ;   in Loop: Header=BB214_1040 Depth=2
	s_or_b32 exec_lo, exec_lo, s17
	s_and_saveexec_b32 s17, s33
	s_cbranch_execz .LBB214_1195
.LBB214_1194:                           ;   in Loop: Header=BB214_1040 Depth=2
	v_lshlrev_b32_e32 v63, 2, v115
	ds_load_b32 v64, v63
	ds_load_b64 v[62:63], v62 offset:33280
	s_wait_dscnt 0x1
	v_add_nc_u32_e32 v64, v64, v82
	s_wait_dscnt 0x0
	global_store_b64 v64, v[62:63], s[46:47] scale_offset
.LBB214_1195:                           ;   in Loop: Header=BB214_1040 Depth=2
	s_wait_xcnt 0x0
	s_or_b32 exec_lo, exec_lo, s17
	s_wait_storecnt 0x0
	s_barrier_signal -1
	s_barrier_wait -1
	s_and_saveexec_b32 s17, s0
	s_cbranch_execz .LBB214_1039
; %bb.1196:                             ;   in Loop: Header=BB214_1040 Depth=2
	ds_load_b32 v62, v66
	s_wait_dscnt 0x0
	v_add3_u32 v62, v132, v133, v62
	ds_store_b32 v66, v62
	s_branch .LBB214_1039
.LBB214_1197:                           ;   in Loop: Header=BB214_1040 Depth=2
	ds_load_u8 v62, v2 offset:512
	s_wait_dscnt 0x0
	v_and_b32_e32 v63, 0xff, v62
	s_delay_alu instid0(VALU_DEP_1) | instskip(NEXT) | instid1(VALU_DEP_1)
	v_lshrrev_b32_e32 v63, s49, v63
	v_and_b32_e32 v63, s48, v63
	s_delay_alu instid0(VALU_DEP_1)
	v_lshlrev_b32_e32 v63, 2, v63
	ds_load_b32 v63, v63
	s_wait_dscnt 0x0
	v_add_nc_u32_e32 v63, v63, v2
	global_store_b8 v63, v62, s[40:41]
	s_wait_xcnt 0x0
	s_or_b32 exec_lo, exec_lo, s17
	v_cmp_lt_u32_e64 s17, v67, v134
	s_and_saveexec_b32 s18, s17
	s_cbranch_execz .LBB214_1126
.LBB214_1198:                           ;   in Loop: Header=BB214_1040 Depth=2
	ds_load_u8 v62, v2 offset:768
	s_wait_dscnt 0x0
	v_and_b32_e32 v63, 0xff, v62
	s_delay_alu instid0(VALU_DEP_1) | instskip(NEXT) | instid1(VALU_DEP_1)
	v_lshrrev_b32_e32 v63, s49, v63
	v_and_b32_e32 v63, s48, v63
	s_delay_alu instid0(VALU_DEP_1)
	v_lshlrev_b32_e32 v63, 2, v63
	ds_load_b32 v63, v63
	s_wait_dscnt 0x0
	v_add_nc_u32_e32 v63, v63, v67
	global_store_b8 v63, v62, s[40:41]
	s_wait_xcnt 0x0
	s_or_b32 exec_lo, exec_lo, s18
	v_cmp_lt_u32_e64 s18, v68, v134
	s_and_saveexec_b32 s19, s18
	s_cbranch_execz .LBB214_1127
.LBB214_1199:                           ;   in Loop: Header=BB214_1040 Depth=2
	ds_load_u8 v62, v2 offset:1024
	s_wait_dscnt 0x0
	v_and_b32_e32 v63, 0xff, v62
	s_delay_alu instid0(VALU_DEP_1) | instskip(NEXT) | instid1(VALU_DEP_1)
	v_lshrrev_b32_e32 v63, s49, v63
	v_and_b32_e32 v63, s48, v63
	s_delay_alu instid0(VALU_DEP_1)
	v_lshlrev_b32_e32 v63, 2, v63
	ds_load_b32 v63, v63
	s_wait_dscnt 0x0
	v_add_nc_u32_e32 v63, v63, v68
	global_store_b8 v63, v62, s[40:41]
	s_wait_xcnt 0x0
	s_or_b32 exec_lo, exec_lo, s19
	v_cmp_lt_u32_e64 s19, v69, v134
	s_and_saveexec_b32 s20, s19
	s_cbranch_execz .LBB214_1128
.LBB214_1200:                           ;   in Loop: Header=BB214_1040 Depth=2
	ds_load_u8 v62, v2 offset:1280
	s_wait_dscnt 0x0
	v_and_b32_e32 v63, 0xff, v62
	s_delay_alu instid0(VALU_DEP_1) | instskip(NEXT) | instid1(VALU_DEP_1)
	v_lshrrev_b32_e32 v63, s49, v63
	v_and_b32_e32 v63, s48, v63
	s_delay_alu instid0(VALU_DEP_1)
	v_lshlrev_b32_e32 v63, 2, v63
	ds_load_b32 v63, v63
	s_wait_dscnt 0x0
	v_add_nc_u32_e32 v63, v63, v69
	global_store_b8 v63, v62, s[40:41]
	s_wait_xcnt 0x0
	s_or_b32 exec_lo, exec_lo, s20
	v_cmp_lt_u32_e64 s20, v70, v134
	s_and_saveexec_b32 s21, s20
	s_cbranch_execz .LBB214_1129
.LBB214_1201:                           ;   in Loop: Header=BB214_1040 Depth=2
	ds_load_u8 v62, v2 offset:1536
	s_wait_dscnt 0x0
	v_and_b32_e32 v63, 0xff, v62
	s_delay_alu instid0(VALU_DEP_1) | instskip(NEXT) | instid1(VALU_DEP_1)
	v_lshrrev_b32_e32 v63, s49, v63
	v_and_b32_e32 v63, s48, v63
	s_delay_alu instid0(VALU_DEP_1)
	v_lshlrev_b32_e32 v63, 2, v63
	ds_load_b32 v63, v63
	s_wait_dscnt 0x0
	v_add_nc_u32_e32 v63, v63, v70
	global_store_b8 v63, v62, s[40:41]
	s_wait_xcnt 0x0
	s_or_b32 exec_lo, exec_lo, s21
	v_cmp_lt_u32_e64 s21, v71, v134
	s_and_saveexec_b32 s22, s21
	s_cbranch_execz .LBB214_1130
.LBB214_1202:                           ;   in Loop: Header=BB214_1040 Depth=2
	ds_load_u8 v62, v2 offset:1792
	s_wait_dscnt 0x0
	v_and_b32_e32 v63, 0xff, v62
	s_delay_alu instid0(VALU_DEP_1) | instskip(NEXT) | instid1(VALU_DEP_1)
	v_lshrrev_b32_e32 v63, s49, v63
	v_and_b32_e32 v63, s48, v63
	s_delay_alu instid0(VALU_DEP_1)
	v_lshlrev_b32_e32 v63, 2, v63
	ds_load_b32 v63, v63
	s_wait_dscnt 0x0
	v_add_nc_u32_e32 v63, v63, v71
	global_store_b8 v63, v62, s[40:41]
	s_wait_xcnt 0x0
	s_or_b32 exec_lo, exec_lo, s22
	v_cmp_lt_u32_e64 s22, v72, v134
	s_and_saveexec_b32 s23, s22
	s_cbranch_execz .LBB214_1131
.LBB214_1203:                           ;   in Loop: Header=BB214_1040 Depth=2
	ds_load_u8 v62, v2 offset:2048
	s_wait_dscnt 0x0
	v_and_b32_e32 v63, 0xff, v62
	s_delay_alu instid0(VALU_DEP_1) | instskip(NEXT) | instid1(VALU_DEP_1)
	v_lshrrev_b32_e32 v63, s49, v63
	v_and_b32_e32 v63, s48, v63
	s_delay_alu instid0(VALU_DEP_1)
	v_lshlrev_b32_e32 v63, 2, v63
	ds_load_b32 v63, v63
	s_wait_dscnt 0x0
	v_add_nc_u32_e32 v63, v63, v72
	global_store_b8 v63, v62, s[40:41]
	s_wait_xcnt 0x0
	s_or_b32 exec_lo, exec_lo, s23
	v_cmp_lt_u32_e64 s23, v73, v134
	s_and_saveexec_b32 s24, s23
	s_cbranch_execz .LBB214_1132
.LBB214_1204:                           ;   in Loop: Header=BB214_1040 Depth=2
	ds_load_u8 v62, v2 offset:2304
	s_wait_dscnt 0x0
	v_and_b32_e32 v63, 0xff, v62
	s_delay_alu instid0(VALU_DEP_1) | instskip(NEXT) | instid1(VALU_DEP_1)
	v_lshrrev_b32_e32 v63, s49, v63
	v_and_b32_e32 v63, s48, v63
	s_delay_alu instid0(VALU_DEP_1)
	v_lshlrev_b32_e32 v63, 2, v63
	ds_load_b32 v63, v63
	s_wait_dscnt 0x0
	v_add_nc_u32_e32 v63, v63, v73
	global_store_b8 v63, v62, s[40:41]
	s_wait_xcnt 0x0
	s_or_b32 exec_lo, exec_lo, s24
	v_cmp_lt_u32_e64 s24, v74, v134
	s_and_saveexec_b32 s25, s24
	s_cbranch_execz .LBB214_1133
.LBB214_1205:                           ;   in Loop: Header=BB214_1040 Depth=2
	ds_load_u8 v62, v2 offset:2560
	s_wait_dscnt 0x0
	v_and_b32_e32 v63, 0xff, v62
	s_delay_alu instid0(VALU_DEP_1) | instskip(NEXT) | instid1(VALU_DEP_1)
	v_lshrrev_b32_e32 v63, s49, v63
	v_and_b32_e32 v63, s48, v63
	s_delay_alu instid0(VALU_DEP_1)
	v_lshlrev_b32_e32 v63, 2, v63
	ds_load_b32 v63, v63
	s_wait_dscnt 0x0
	v_add_nc_u32_e32 v63, v63, v74
	global_store_b8 v63, v62, s[40:41]
	s_wait_xcnt 0x0
	s_or_b32 exec_lo, exec_lo, s25
	v_cmp_lt_u32_e64 s25, v75, v134
	s_and_saveexec_b32 s26, s25
	s_cbranch_execz .LBB214_1134
.LBB214_1206:                           ;   in Loop: Header=BB214_1040 Depth=2
	ds_load_u8 v62, v2 offset:2816
	s_wait_dscnt 0x0
	v_and_b32_e32 v63, 0xff, v62
	s_delay_alu instid0(VALU_DEP_1) | instskip(NEXT) | instid1(VALU_DEP_1)
	v_lshrrev_b32_e32 v63, s49, v63
	v_and_b32_e32 v63, s48, v63
	s_delay_alu instid0(VALU_DEP_1)
	v_lshlrev_b32_e32 v63, 2, v63
	ds_load_b32 v63, v63
	s_wait_dscnt 0x0
	v_add_nc_u32_e32 v63, v63, v75
	global_store_b8 v63, v62, s[40:41]
	s_wait_xcnt 0x0
	s_or_b32 exec_lo, exec_lo, s26
	v_cmp_lt_u32_e64 s26, v76, v134
	s_and_saveexec_b32 s27, s26
	s_cbranch_execz .LBB214_1135
.LBB214_1207:                           ;   in Loop: Header=BB214_1040 Depth=2
	ds_load_u8 v62, v2 offset:3072
	s_wait_dscnt 0x0
	v_and_b32_e32 v63, 0xff, v62
	s_delay_alu instid0(VALU_DEP_1) | instskip(NEXT) | instid1(VALU_DEP_1)
	v_lshrrev_b32_e32 v63, s49, v63
	v_and_b32_e32 v63, s48, v63
	s_delay_alu instid0(VALU_DEP_1)
	v_lshlrev_b32_e32 v63, 2, v63
	ds_load_b32 v63, v63
	s_wait_dscnt 0x0
	v_add_nc_u32_e32 v63, v63, v76
	global_store_b8 v63, v62, s[40:41]
	s_wait_xcnt 0x0
	s_or_b32 exec_lo, exec_lo, s27
	v_cmp_lt_u32_e64 s27, v77, v134
	s_and_saveexec_b32 s28, s27
	s_cbranch_execz .LBB214_1136
.LBB214_1208:                           ;   in Loop: Header=BB214_1040 Depth=2
	ds_load_u8 v62, v2 offset:3328
	s_wait_dscnt 0x0
	v_and_b32_e32 v63, 0xff, v62
	s_delay_alu instid0(VALU_DEP_1) | instskip(NEXT) | instid1(VALU_DEP_1)
	v_lshrrev_b32_e32 v63, s49, v63
	v_and_b32_e32 v63, s48, v63
	s_delay_alu instid0(VALU_DEP_1)
	v_lshlrev_b32_e32 v63, 2, v63
	ds_load_b32 v63, v63
	s_wait_dscnt 0x0
	v_add_nc_u32_e32 v63, v63, v77
	global_store_b8 v63, v62, s[40:41]
	s_wait_xcnt 0x0
	s_or_b32 exec_lo, exec_lo, s28
	v_cmp_lt_u32_e64 s28, v78, v134
	s_and_saveexec_b32 s29, s28
	s_cbranch_execz .LBB214_1137
.LBB214_1209:                           ;   in Loop: Header=BB214_1040 Depth=2
	ds_load_u8 v62, v2 offset:3584
	s_wait_dscnt 0x0
	v_and_b32_e32 v63, 0xff, v62
	s_delay_alu instid0(VALU_DEP_1) | instskip(NEXT) | instid1(VALU_DEP_1)
	v_lshrrev_b32_e32 v63, s49, v63
	v_and_b32_e32 v63, s48, v63
	s_delay_alu instid0(VALU_DEP_1)
	v_lshlrev_b32_e32 v63, 2, v63
	ds_load_b32 v63, v63
	s_wait_dscnt 0x0
	v_add_nc_u32_e32 v63, v63, v78
	global_store_b8 v63, v62, s[40:41]
	s_wait_xcnt 0x0
	s_or_b32 exec_lo, exec_lo, s29
	v_cmp_lt_u32_e64 s29, v79, v134
	s_and_saveexec_b32 s30, s29
	s_cbranch_execz .LBB214_1138
.LBB214_1210:                           ;   in Loop: Header=BB214_1040 Depth=2
	ds_load_u8 v62, v2 offset:3840
	s_wait_dscnt 0x0
	v_and_b32_e32 v63, 0xff, v62
	s_delay_alu instid0(VALU_DEP_1) | instskip(NEXT) | instid1(VALU_DEP_1)
	v_lshrrev_b32_e32 v63, s49, v63
	v_and_b32_e32 v63, s48, v63
	s_delay_alu instid0(VALU_DEP_1)
	v_lshlrev_b32_e32 v63, 2, v63
	ds_load_b32 v63, v63
	s_wait_dscnt 0x0
	v_add_nc_u32_e32 v63, v63, v79
	global_store_b8 v63, v62, s[40:41]
	s_wait_xcnt 0x0
	s_or_b32 exec_lo, exec_lo, s30
	v_cmp_lt_u32_e64 s30, v80, v134
	s_and_saveexec_b32 s31, s30
	s_cbranch_execz .LBB214_1139
.LBB214_1211:                           ;   in Loop: Header=BB214_1040 Depth=2
	ds_load_u8 v62, v2 offset:4096
	s_wait_dscnt 0x0
	v_and_b32_e32 v63, 0xff, v62
	s_delay_alu instid0(VALU_DEP_1) | instskip(NEXT) | instid1(VALU_DEP_1)
	v_lshrrev_b32_e32 v63, s49, v63
	v_and_b32_e32 v63, s48, v63
	s_delay_alu instid0(VALU_DEP_1)
	v_lshlrev_b32_e32 v63, 2, v63
	ds_load_b32 v63, v63
	s_wait_dscnt 0x0
	v_add_nc_u32_e32 v63, v63, v80
	global_store_b8 v63, v62, s[40:41]
	s_wait_xcnt 0x0
	s_or_b32 exec_lo, exec_lo, s31
	v_cmp_lt_u32_e64 s31, v81, v134
	s_and_saveexec_b32 s33, s31
	s_cbranch_execz .LBB214_1140
.LBB214_1212:                           ;   in Loop: Header=BB214_1040 Depth=2
	ds_load_u8 v62, v2 offset:4352
	s_wait_dscnt 0x0
	v_and_b32_e32 v63, 0xff, v62
	s_delay_alu instid0(VALU_DEP_1) | instskip(NEXT) | instid1(VALU_DEP_1)
	v_lshrrev_b32_e32 v63, s49, v63
	v_and_b32_e32 v63, s48, v63
	s_delay_alu instid0(VALU_DEP_1)
	v_lshlrev_b32_e32 v63, 2, v63
	ds_load_b32 v63, v63
	s_wait_dscnt 0x0
	v_add_nc_u32_e32 v63, v63, v81
	global_store_b8 v63, v62, s[40:41]
	s_wait_xcnt 0x0
	s_or_b32 exec_lo, exec_lo, s33
	v_cmp_lt_u32_e64 s33, v82, v134
	s_and_saveexec_b32 s60, s33
	s_cbranch_execnz .LBB214_1141
	s_branch .LBB214_1142
.LBB214_1213:                           ;   in Loop: Header=BB214_1040 Depth=2
	global_load_b64 v[60:61], v[62:63], off
	s_wait_xcnt 0x0
	s_or_b32 exec_lo, exec_lo, s34
	s_delay_alu instid0(SALU_CYCLE_1)
	s_mov_b32 s60, exec_lo
	v_cmpx_lt_u32_e64 v98, v134
	s_cbranch_execz .LBB214_1144
.LBB214_1214:                           ;   in Loop: Header=BB214_1040 Depth=2
	global_load_b64 v[58:59], v[62:63], off offset:256
	s_wait_xcnt 0x0
	s_or_b32 exec_lo, exec_lo, s60
	s_delay_alu instid0(SALU_CYCLE_1)
	s_mov_b32 s60, exec_lo
	v_cmpx_lt_u32_e64 v99, v134
	s_cbranch_execz .LBB214_1145
.LBB214_1215:                           ;   in Loop: Header=BB214_1040 Depth=2
	global_load_b64 v[56:57], v[62:63], off offset:512
	s_wait_xcnt 0x0
	s_or_b32 exec_lo, exec_lo, s60
	s_delay_alu instid0(SALU_CYCLE_1)
	s_mov_b32 s60, exec_lo
	v_cmpx_lt_u32_e64 v100, v134
	s_cbranch_execz .LBB214_1146
.LBB214_1216:                           ;   in Loop: Header=BB214_1040 Depth=2
	global_load_b64 v[54:55], v[62:63], off offset:768
	s_wait_xcnt 0x0
	s_or_b32 exec_lo, exec_lo, s60
	s_delay_alu instid0(SALU_CYCLE_1)
	s_mov_b32 s60, exec_lo
	v_cmpx_lt_u32_e64 v101, v134
	s_cbranch_execz .LBB214_1147
.LBB214_1217:                           ;   in Loop: Header=BB214_1040 Depth=2
	global_load_b64 v[52:53], v[62:63], off offset:1024
	s_wait_xcnt 0x0
	s_or_b32 exec_lo, exec_lo, s60
	s_delay_alu instid0(SALU_CYCLE_1)
	s_mov_b32 s60, exec_lo
	v_cmpx_lt_u32_e64 v102, v134
	s_cbranch_execz .LBB214_1148
.LBB214_1218:                           ;   in Loop: Header=BB214_1040 Depth=2
	global_load_b64 v[50:51], v[62:63], off offset:1280
	s_wait_xcnt 0x0
	s_or_b32 exec_lo, exec_lo, s60
	s_delay_alu instid0(SALU_CYCLE_1)
	s_mov_b32 s60, exec_lo
	v_cmpx_lt_u32_e64 v103, v134
	s_cbranch_execz .LBB214_1149
.LBB214_1219:                           ;   in Loop: Header=BB214_1040 Depth=2
	global_load_b64 v[48:49], v[62:63], off offset:1536
	s_wait_xcnt 0x0
	s_or_b32 exec_lo, exec_lo, s60
	s_delay_alu instid0(SALU_CYCLE_1)
	s_mov_b32 s60, exec_lo
	v_cmpx_lt_u32_e64 v104, v134
	s_cbranch_execz .LBB214_1150
.LBB214_1220:                           ;   in Loop: Header=BB214_1040 Depth=2
	global_load_b64 v[46:47], v[62:63], off offset:1792
	s_wait_xcnt 0x0
	s_or_b32 exec_lo, exec_lo, s60
	s_delay_alu instid0(SALU_CYCLE_1)
	s_mov_b32 s60, exec_lo
	v_cmpx_lt_u32_e64 v105, v134
	s_cbranch_execz .LBB214_1151
.LBB214_1221:                           ;   in Loop: Header=BB214_1040 Depth=2
	global_load_b64 v[44:45], v[62:63], off offset:2048
	s_wait_xcnt 0x0
	s_or_b32 exec_lo, exec_lo, s60
	s_delay_alu instid0(SALU_CYCLE_1)
	s_mov_b32 s60, exec_lo
	v_cmpx_lt_u32_e64 v106, v134
	s_cbranch_execz .LBB214_1152
.LBB214_1222:                           ;   in Loop: Header=BB214_1040 Depth=2
	global_load_b64 v[42:43], v[62:63], off offset:2304
	s_wait_xcnt 0x0
	s_or_b32 exec_lo, exec_lo, s60
	s_delay_alu instid0(SALU_CYCLE_1)
	s_mov_b32 s60, exec_lo
	v_cmpx_lt_u32_e64 v107, v134
	s_cbranch_execz .LBB214_1153
.LBB214_1223:                           ;   in Loop: Header=BB214_1040 Depth=2
	global_load_b64 v[40:41], v[62:63], off offset:2560
	s_wait_xcnt 0x0
	s_or_b32 exec_lo, exec_lo, s60
	s_delay_alu instid0(SALU_CYCLE_1)
	s_mov_b32 s60, exec_lo
	v_cmpx_lt_u32_e64 v108, v134
	s_cbranch_execz .LBB214_1154
.LBB214_1224:                           ;   in Loop: Header=BB214_1040 Depth=2
	global_load_b64 v[38:39], v[62:63], off offset:2816
	s_wait_xcnt 0x0
	s_or_b32 exec_lo, exec_lo, s60
	s_delay_alu instid0(SALU_CYCLE_1)
	s_mov_b32 s60, exec_lo
	v_cmpx_lt_u32_e64 v109, v134
	s_cbranch_execz .LBB214_1155
.LBB214_1225:                           ;   in Loop: Header=BB214_1040 Depth=2
	global_load_b64 v[36:37], v[62:63], off offset:3072
	s_wait_xcnt 0x0
	s_or_b32 exec_lo, exec_lo, s60
	s_delay_alu instid0(SALU_CYCLE_1)
	s_mov_b32 s60, exec_lo
	v_cmpx_lt_u32_e64 v110, v134
	s_cbranch_execz .LBB214_1156
.LBB214_1226:                           ;   in Loop: Header=BB214_1040 Depth=2
	global_load_b64 v[34:35], v[62:63], off offset:3328
	s_wait_xcnt 0x0
	s_or_b32 exec_lo, exec_lo, s60
	s_delay_alu instid0(SALU_CYCLE_1)
	s_mov_b32 s60, exec_lo
	v_cmpx_lt_u32_e64 v111, v134
	s_cbranch_execz .LBB214_1157
.LBB214_1227:                           ;   in Loop: Header=BB214_1040 Depth=2
	global_load_b64 v[32:33], v[62:63], off offset:3584
	s_wait_xcnt 0x0
	s_or_b32 exec_lo, exec_lo, s60
	s_delay_alu instid0(SALU_CYCLE_1)
	s_mov_b32 s60, exec_lo
	v_cmpx_lt_u32_e64 v112, v134
	s_cbranch_execz .LBB214_1158
.LBB214_1228:                           ;   in Loop: Header=BB214_1040 Depth=2
	global_load_b64 v[30:31], v[62:63], off offset:3840
	s_wait_xcnt 0x0
	s_or_b32 exec_lo, exec_lo, s60
	s_delay_alu instid0(SALU_CYCLE_1)
	s_mov_b32 s60, exec_lo
	v_cmpx_lt_u32_e64 v113, v134
	s_cbranch_execz .LBB214_1159
.LBB214_1229:                           ;   in Loop: Header=BB214_1040 Depth=2
	global_load_b64 v[28:29], v[62:63], off offset:4096
	s_wait_xcnt 0x0
	s_or_b32 exec_lo, exec_lo, s60
	s_and_saveexec_b32 s34, vcc_lo
	s_cbranch_execz .LBB214_1160
.LBB214_1230:                           ;   in Loop: Header=BB214_1040 Depth=2
	ds_load_u8 v62, v2 offset:512
	s_wait_dscnt 0x0
	v_lshrrev_b32_e32 v62, s49, v62
	s_delay_alu instid0(VALU_DEP_1)
	v_and_b32_e32 v131, s48, v62
	s_or_b32 exec_lo, exec_lo, s34
	s_and_saveexec_b32 s34, s17
	s_cbranch_execz .LBB214_1161
.LBB214_1231:                           ;   in Loop: Header=BB214_1040 Depth=2
	ds_load_u8 v62, v2 offset:768
	s_wait_dscnt 0x0
	v_lshrrev_b32_e32 v62, s49, v62
	s_delay_alu instid0(VALU_DEP_1)
	v_and_b32_e32 v130, s48, v62
	s_or_b32 exec_lo, exec_lo, s34
	s_and_saveexec_b32 s34, s18
	s_cbranch_execz .LBB214_1162
.LBB214_1232:                           ;   in Loop: Header=BB214_1040 Depth=2
	ds_load_u8 v62, v2 offset:1024
	s_wait_dscnt 0x0
	v_lshrrev_b32_e32 v62, s49, v62
	s_delay_alu instid0(VALU_DEP_1)
	v_and_b32_e32 v129, s48, v62
	s_or_b32 exec_lo, exec_lo, s34
	s_and_saveexec_b32 s34, s19
	s_cbranch_execz .LBB214_1163
.LBB214_1233:                           ;   in Loop: Header=BB214_1040 Depth=2
	ds_load_u8 v62, v2 offset:1280
	s_wait_dscnt 0x0
	v_lshrrev_b32_e32 v62, s49, v62
	s_delay_alu instid0(VALU_DEP_1)
	v_and_b32_e32 v128, s48, v62
	s_or_b32 exec_lo, exec_lo, s34
	s_and_saveexec_b32 s34, s20
	s_cbranch_execz .LBB214_1164
.LBB214_1234:                           ;   in Loop: Header=BB214_1040 Depth=2
	ds_load_u8 v62, v2 offset:1536
	s_wait_dscnt 0x0
	v_lshrrev_b32_e32 v62, s49, v62
	s_delay_alu instid0(VALU_DEP_1)
	v_and_b32_e32 v127, s48, v62
	s_or_b32 exec_lo, exec_lo, s34
	s_and_saveexec_b32 s34, s21
	s_cbranch_execz .LBB214_1165
.LBB214_1235:                           ;   in Loop: Header=BB214_1040 Depth=2
	ds_load_u8 v62, v2 offset:1792
	s_wait_dscnt 0x0
	v_lshrrev_b32_e32 v62, s49, v62
	s_delay_alu instid0(VALU_DEP_1)
	v_and_b32_e32 v126, s48, v62
	s_or_b32 exec_lo, exec_lo, s34
	s_and_saveexec_b32 s34, s22
	s_cbranch_execz .LBB214_1166
.LBB214_1236:                           ;   in Loop: Header=BB214_1040 Depth=2
	ds_load_u8 v62, v2 offset:2048
	s_wait_dscnt 0x0
	v_lshrrev_b32_e32 v62, s49, v62
	s_delay_alu instid0(VALU_DEP_1)
	v_and_b32_e32 v125, s48, v62
	s_or_b32 exec_lo, exec_lo, s34
	s_and_saveexec_b32 s34, s23
	s_cbranch_execz .LBB214_1167
.LBB214_1237:                           ;   in Loop: Header=BB214_1040 Depth=2
	ds_load_u8 v62, v2 offset:2304
	s_wait_dscnt 0x0
	v_lshrrev_b32_e32 v62, s49, v62
	s_delay_alu instid0(VALU_DEP_1)
	v_and_b32_e32 v124, s48, v62
	s_or_b32 exec_lo, exec_lo, s34
	s_and_saveexec_b32 s34, s24
	s_cbranch_execz .LBB214_1168
.LBB214_1238:                           ;   in Loop: Header=BB214_1040 Depth=2
	ds_load_u8 v62, v2 offset:2560
	s_wait_dscnt 0x0
	v_lshrrev_b32_e32 v62, s49, v62
	s_delay_alu instid0(VALU_DEP_1)
	v_and_b32_e32 v123, s48, v62
	s_or_b32 exec_lo, exec_lo, s34
	s_and_saveexec_b32 s34, s25
	s_cbranch_execz .LBB214_1169
.LBB214_1239:                           ;   in Loop: Header=BB214_1040 Depth=2
	ds_load_u8 v62, v2 offset:2816
	s_wait_dscnt 0x0
	v_lshrrev_b32_e32 v62, s49, v62
	s_delay_alu instid0(VALU_DEP_1)
	v_and_b32_e32 v122, s48, v62
	s_or_b32 exec_lo, exec_lo, s34
	s_and_saveexec_b32 s34, s26
	s_cbranch_execz .LBB214_1170
.LBB214_1240:                           ;   in Loop: Header=BB214_1040 Depth=2
	ds_load_u8 v62, v2 offset:3072
	s_wait_dscnt 0x0
	v_lshrrev_b32_e32 v62, s49, v62
	s_delay_alu instid0(VALU_DEP_1)
	v_and_b32_e32 v121, s48, v62
	s_or_b32 exec_lo, exec_lo, s34
	s_and_saveexec_b32 s34, s27
	s_cbranch_execz .LBB214_1171
.LBB214_1241:                           ;   in Loop: Header=BB214_1040 Depth=2
	ds_load_u8 v62, v2 offset:3328
	s_wait_dscnt 0x0
	v_lshrrev_b32_e32 v62, s49, v62
	s_delay_alu instid0(VALU_DEP_1)
	v_and_b32_e32 v120, s48, v62
	s_or_b32 exec_lo, exec_lo, s34
	s_and_saveexec_b32 s34, s28
	s_cbranch_execz .LBB214_1172
.LBB214_1242:                           ;   in Loop: Header=BB214_1040 Depth=2
	ds_load_u8 v62, v2 offset:3584
	s_wait_dscnt 0x0
	v_lshrrev_b32_e32 v62, s49, v62
	s_delay_alu instid0(VALU_DEP_1)
	v_and_b32_e32 v119, s48, v62
	s_or_b32 exec_lo, exec_lo, s34
	s_and_saveexec_b32 s34, s29
	s_cbranch_execz .LBB214_1173
.LBB214_1243:                           ;   in Loop: Header=BB214_1040 Depth=2
	ds_load_u8 v62, v2 offset:3840
	s_wait_dscnt 0x0
	v_lshrrev_b32_e32 v62, s49, v62
	s_delay_alu instid0(VALU_DEP_1)
	v_and_b32_e32 v118, s48, v62
	s_or_b32 exec_lo, exec_lo, s34
	s_and_saveexec_b32 s34, s30
	s_cbranch_execz .LBB214_1174
.LBB214_1244:                           ;   in Loop: Header=BB214_1040 Depth=2
	ds_load_u8 v62, v2 offset:4096
	s_wait_dscnt 0x0
	v_lshrrev_b32_e32 v62, s49, v62
	s_delay_alu instid0(VALU_DEP_1)
	v_and_b32_e32 v117, s48, v62
	s_or_b32 exec_lo, exec_lo, s34
	s_and_saveexec_b32 s34, s31
	s_cbranch_execz .LBB214_1175
.LBB214_1245:                           ;   in Loop: Header=BB214_1040 Depth=2
	ds_load_u8 v62, v2 offset:4352
	s_wait_dscnt 0x0
	v_lshrrev_b32_e32 v62, s49, v62
	s_delay_alu instid0(VALU_DEP_1)
	v_and_b32_e32 v116, s48, v62
	s_or_b32 exec_lo, exec_lo, s34
	s_and_saveexec_b32 s34, s33
	s_cbranch_execnz .LBB214_1176
	s_branch .LBB214_1177
.LBB214_1246:                           ;   in Loop: Header=BB214_1040 Depth=2
	v_lshlrev_b32_e32 v63, 2, v131
	ds_load_b32 v63, v63
	ds_load_b64 v[64:65], v62 offset:512
	s_wait_dscnt 0x1
	v_add_nc_u32_e32 v63, v63, v2
	s_wait_dscnt 0x0
	global_store_b64 v63, v[64:65], s[46:47] scale_offset
	s_wait_xcnt 0x0
	s_or_b32 exec_lo, exec_lo, s34
	s_and_saveexec_b32 s34, s17
	s_cbranch_execz .LBB214_1179
.LBB214_1247:                           ;   in Loop: Header=BB214_1040 Depth=2
	v_lshlrev_b32_e32 v63, 2, v130
	ds_load_b32 v63, v63
	ds_load_b64 v[64:65], v62 offset:2560
	s_wait_dscnt 0x1
	v_add_nc_u32_e32 v63, v63, v67
	s_wait_dscnt 0x0
	global_store_b64 v63, v[64:65], s[46:47] scale_offset
	s_wait_xcnt 0x0
	s_or_b32 exec_lo, exec_lo, s34
	s_and_saveexec_b32 s17, s18
	s_cbranch_execz .LBB214_1180
.LBB214_1248:                           ;   in Loop: Header=BB214_1040 Depth=2
	v_lshlrev_b32_e32 v63, 2, v129
	ds_load_b32 v63, v63
	ds_load_b64 v[64:65], v62 offset:4608
	s_wait_dscnt 0x1
	v_add_nc_u32_e32 v63, v63, v68
	s_wait_dscnt 0x0
	global_store_b64 v63, v[64:65], s[46:47] scale_offset
	s_wait_xcnt 0x0
	s_or_b32 exec_lo, exec_lo, s17
	s_and_saveexec_b32 s17, s19
	s_cbranch_execz .LBB214_1181
.LBB214_1249:                           ;   in Loop: Header=BB214_1040 Depth=2
	v_lshlrev_b32_e32 v63, 2, v128
	ds_load_b32 v63, v63
	ds_load_b64 v[64:65], v62 offset:6656
	s_wait_dscnt 0x1
	v_add_nc_u32_e32 v63, v63, v69
	s_wait_dscnt 0x0
	global_store_b64 v63, v[64:65], s[46:47] scale_offset
	s_wait_xcnt 0x0
	s_or_b32 exec_lo, exec_lo, s17
	s_and_saveexec_b32 s17, s20
	s_cbranch_execz .LBB214_1182
.LBB214_1250:                           ;   in Loop: Header=BB214_1040 Depth=2
	v_lshlrev_b32_e32 v63, 2, v127
	ds_load_b32 v63, v63
	ds_load_b64 v[64:65], v62 offset:8704
	s_wait_dscnt 0x1
	v_add_nc_u32_e32 v63, v63, v70
	s_wait_dscnt 0x0
	global_store_b64 v63, v[64:65], s[46:47] scale_offset
	s_wait_xcnt 0x0
	s_or_b32 exec_lo, exec_lo, s17
	s_and_saveexec_b32 s17, s21
	s_cbranch_execz .LBB214_1183
.LBB214_1251:                           ;   in Loop: Header=BB214_1040 Depth=2
	v_lshlrev_b32_e32 v63, 2, v126
	ds_load_b32 v63, v63
	ds_load_b64 v[64:65], v62 offset:10752
	s_wait_dscnt 0x1
	v_add_nc_u32_e32 v63, v63, v71
	s_wait_dscnt 0x0
	global_store_b64 v63, v[64:65], s[46:47] scale_offset
	s_wait_xcnt 0x0
	s_or_b32 exec_lo, exec_lo, s17
	s_and_saveexec_b32 s17, s22
	s_cbranch_execz .LBB214_1184
.LBB214_1252:                           ;   in Loop: Header=BB214_1040 Depth=2
	v_lshlrev_b32_e32 v63, 2, v125
	ds_load_b32 v63, v63
	ds_load_b64 v[64:65], v62 offset:12800
	s_wait_dscnt 0x1
	v_add_nc_u32_e32 v63, v63, v72
	s_wait_dscnt 0x0
	global_store_b64 v63, v[64:65], s[46:47] scale_offset
	s_wait_xcnt 0x0
	s_or_b32 exec_lo, exec_lo, s17
	s_and_saveexec_b32 s17, s23
	s_cbranch_execz .LBB214_1185
.LBB214_1253:                           ;   in Loop: Header=BB214_1040 Depth=2
	v_lshlrev_b32_e32 v63, 2, v124
	ds_load_b32 v63, v63
	ds_load_b64 v[64:65], v62 offset:14848
	s_wait_dscnt 0x1
	v_add_nc_u32_e32 v63, v63, v73
	s_wait_dscnt 0x0
	global_store_b64 v63, v[64:65], s[46:47] scale_offset
	s_wait_xcnt 0x0
	s_or_b32 exec_lo, exec_lo, s17
	s_and_saveexec_b32 s17, s24
	s_cbranch_execz .LBB214_1186
.LBB214_1254:                           ;   in Loop: Header=BB214_1040 Depth=2
	v_lshlrev_b32_e32 v63, 2, v123
	ds_load_b32 v63, v63
	ds_load_b64 v[64:65], v62 offset:16896
	s_wait_dscnt 0x1
	v_add_nc_u32_e32 v63, v63, v74
	s_wait_dscnt 0x0
	global_store_b64 v63, v[64:65], s[46:47] scale_offset
	s_wait_xcnt 0x0
	s_or_b32 exec_lo, exec_lo, s17
	s_and_saveexec_b32 s17, s25
	s_cbranch_execz .LBB214_1187
.LBB214_1255:                           ;   in Loop: Header=BB214_1040 Depth=2
	v_lshlrev_b32_e32 v63, 2, v122
	ds_load_b32 v63, v63
	ds_load_b64 v[64:65], v62 offset:18944
	s_wait_dscnt 0x1
	v_add_nc_u32_e32 v63, v63, v75
	s_wait_dscnt 0x0
	global_store_b64 v63, v[64:65], s[46:47] scale_offset
	s_wait_xcnt 0x0
	s_or_b32 exec_lo, exec_lo, s17
	s_and_saveexec_b32 s17, s26
	s_cbranch_execz .LBB214_1188
.LBB214_1256:                           ;   in Loop: Header=BB214_1040 Depth=2
	v_lshlrev_b32_e32 v63, 2, v121
	ds_load_b32 v63, v63
	ds_load_b64 v[64:65], v62 offset:20992
	s_wait_dscnt 0x1
	v_add_nc_u32_e32 v63, v63, v76
	s_wait_dscnt 0x0
	global_store_b64 v63, v[64:65], s[46:47] scale_offset
	s_wait_xcnt 0x0
	s_or_b32 exec_lo, exec_lo, s17
	s_and_saveexec_b32 s17, s27
	s_cbranch_execz .LBB214_1189
.LBB214_1257:                           ;   in Loop: Header=BB214_1040 Depth=2
	v_lshlrev_b32_e32 v63, 2, v120
	ds_load_b32 v63, v63
	ds_load_b64 v[64:65], v62 offset:23040
	s_wait_dscnt 0x1
	v_add_nc_u32_e32 v63, v63, v77
	s_wait_dscnt 0x0
	global_store_b64 v63, v[64:65], s[46:47] scale_offset
	s_wait_xcnt 0x0
	s_or_b32 exec_lo, exec_lo, s17
	s_and_saveexec_b32 s17, s28
	s_cbranch_execz .LBB214_1190
.LBB214_1258:                           ;   in Loop: Header=BB214_1040 Depth=2
	v_lshlrev_b32_e32 v63, 2, v119
	ds_load_b32 v63, v63
	ds_load_b64 v[64:65], v62 offset:25088
	s_wait_dscnt 0x1
	v_add_nc_u32_e32 v63, v63, v78
	s_wait_dscnt 0x0
	global_store_b64 v63, v[64:65], s[46:47] scale_offset
	s_wait_xcnt 0x0
	s_or_b32 exec_lo, exec_lo, s17
	s_and_saveexec_b32 s17, s29
	s_cbranch_execz .LBB214_1191
.LBB214_1259:                           ;   in Loop: Header=BB214_1040 Depth=2
	v_lshlrev_b32_e32 v63, 2, v118
	ds_load_b32 v63, v63
	ds_load_b64 v[64:65], v62 offset:27136
	s_wait_dscnt 0x1
	v_add_nc_u32_e32 v63, v63, v79
	s_wait_dscnt 0x0
	global_store_b64 v63, v[64:65], s[46:47] scale_offset
	s_wait_xcnt 0x0
	s_or_b32 exec_lo, exec_lo, s17
	s_and_saveexec_b32 s17, s30
	s_cbranch_execz .LBB214_1192
.LBB214_1260:                           ;   in Loop: Header=BB214_1040 Depth=2
	v_lshlrev_b32_e32 v63, 2, v117
	ds_load_b32 v63, v63
	ds_load_b64 v[64:65], v62 offset:29184
	s_wait_dscnt 0x1
	v_add_nc_u32_e32 v63, v63, v80
	s_wait_dscnt 0x0
	global_store_b64 v63, v[64:65], s[46:47] scale_offset
	s_wait_xcnt 0x0
	s_or_b32 exec_lo, exec_lo, s17
	s_and_saveexec_b32 s17, s31
	s_cbranch_execz .LBB214_1193
.LBB214_1261:                           ;   in Loop: Header=BB214_1040 Depth=2
	v_lshlrev_b32_e32 v63, 2, v116
	ds_load_b32 v63, v63
	ds_load_b64 v[64:65], v62 offset:31232
	s_wait_dscnt 0x1
	v_add_nc_u32_e32 v63, v63, v81
	s_wait_dscnt 0x0
	global_store_b64 v63, v[64:65], s[46:47] scale_offset
	s_wait_xcnt 0x0
	s_or_b32 exec_lo, exec_lo, s17
	s_and_saveexec_b32 s17, s33
	s_cbranch_execnz .LBB214_1194
	s_branch .LBB214_1195
.LBB214_1262:
	s_endpgm
	.section	.rodata,"a",@progbits
	.p2align	6, 0x0
	.amdhsa_kernel _ZN7rocprim17ROCPRIM_400000_NS6detail17trampoline_kernelINS0_14default_configENS1_36segmented_radix_sort_config_selectorIhlEEZNS1_25segmented_radix_sort_implIS3_Lb0EPKhPhPKlPlN2at6native12_GLOBAL__N_18offset_tEEE10hipError_tPvRmT1_PNSt15iterator_traitsISK_E10value_typeET2_T3_PNSL_ISQ_E10value_typeET4_jRbjT5_SW_jjP12ihipStream_tbEUlT_E2_NS1_11comp_targetILNS1_3genE0ELNS1_11target_archE4294967295ELNS1_3gpuE0ELNS1_3repE0EEENS1_30default_config_static_selectorELNS0_4arch9wavefront6targetE0EEEvSK_
		.amdhsa_group_segment_fixed_size 35344
		.amdhsa_private_segment_fixed_size 0
		.amdhsa_kernarg_size 336
		.amdhsa_user_sgpr_count 4
		.amdhsa_user_sgpr_dispatch_ptr 0
		.amdhsa_user_sgpr_queue_ptr 1
		.amdhsa_user_sgpr_kernarg_segment_ptr 1
		.amdhsa_user_sgpr_dispatch_id 0
		.amdhsa_user_sgpr_kernarg_preload_length 0
		.amdhsa_user_sgpr_kernarg_preload_offset 0
		.amdhsa_user_sgpr_private_segment_size 0
		.amdhsa_wavefront_size32 1
		.amdhsa_uses_dynamic_stack 0
		.amdhsa_enable_private_segment 0
		.amdhsa_system_sgpr_workgroup_id_x 1
		.amdhsa_system_sgpr_workgroup_id_y 1
		.amdhsa_system_sgpr_workgroup_id_z 0
		.amdhsa_system_sgpr_workgroup_info 0
		.amdhsa_system_vgpr_workitem_id 2
		.amdhsa_next_free_vgpr 319
		.amdhsa_next_free_sgpr 61
		.amdhsa_named_barrier_count 0
		.amdhsa_reserve_vcc 1
		.amdhsa_float_round_mode_32 0
		.amdhsa_float_round_mode_16_64 0
		.amdhsa_float_denorm_mode_32 3
		.amdhsa_float_denorm_mode_16_64 3
		.amdhsa_fp16_overflow 0
		.amdhsa_memory_ordered 1
		.amdhsa_forward_progress 1
		.amdhsa_inst_pref_size 255
		.amdhsa_round_robin_scheduling 0
		.amdhsa_exception_fp_ieee_invalid_op 0
		.amdhsa_exception_fp_denorm_src 0
		.amdhsa_exception_fp_ieee_div_zero 0
		.amdhsa_exception_fp_ieee_overflow 0
		.amdhsa_exception_fp_ieee_underflow 0
		.amdhsa_exception_fp_ieee_inexact 0
		.amdhsa_exception_int_div_zero 0
	.end_amdhsa_kernel
	.section	.text._ZN7rocprim17ROCPRIM_400000_NS6detail17trampoline_kernelINS0_14default_configENS1_36segmented_radix_sort_config_selectorIhlEEZNS1_25segmented_radix_sort_implIS3_Lb0EPKhPhPKlPlN2at6native12_GLOBAL__N_18offset_tEEE10hipError_tPvRmT1_PNSt15iterator_traitsISK_E10value_typeET2_T3_PNSL_ISQ_E10value_typeET4_jRbjT5_SW_jjP12ihipStream_tbEUlT_E2_NS1_11comp_targetILNS1_3genE0ELNS1_11target_archE4294967295ELNS1_3gpuE0ELNS1_3repE0EEENS1_30default_config_static_selectorELNS0_4arch9wavefront6targetE0EEEvSK_,"axG",@progbits,_ZN7rocprim17ROCPRIM_400000_NS6detail17trampoline_kernelINS0_14default_configENS1_36segmented_radix_sort_config_selectorIhlEEZNS1_25segmented_radix_sort_implIS3_Lb0EPKhPhPKlPlN2at6native12_GLOBAL__N_18offset_tEEE10hipError_tPvRmT1_PNSt15iterator_traitsISK_E10value_typeET2_T3_PNSL_ISQ_E10value_typeET4_jRbjT5_SW_jjP12ihipStream_tbEUlT_E2_NS1_11comp_targetILNS1_3genE0ELNS1_11target_archE4294967295ELNS1_3gpuE0ELNS1_3repE0EEENS1_30default_config_static_selectorELNS0_4arch9wavefront6targetE0EEEvSK_,comdat
.Lfunc_end214:
	.size	_ZN7rocprim17ROCPRIM_400000_NS6detail17trampoline_kernelINS0_14default_configENS1_36segmented_radix_sort_config_selectorIhlEEZNS1_25segmented_radix_sort_implIS3_Lb0EPKhPhPKlPlN2at6native12_GLOBAL__N_18offset_tEEE10hipError_tPvRmT1_PNSt15iterator_traitsISK_E10value_typeET2_T3_PNSL_ISQ_E10value_typeET4_jRbjT5_SW_jjP12ihipStream_tbEUlT_E2_NS1_11comp_targetILNS1_3genE0ELNS1_11target_archE4294967295ELNS1_3gpuE0ELNS1_3repE0EEENS1_30default_config_static_selectorELNS0_4arch9wavefront6targetE0EEEvSK_, .Lfunc_end214-_ZN7rocprim17ROCPRIM_400000_NS6detail17trampoline_kernelINS0_14default_configENS1_36segmented_radix_sort_config_selectorIhlEEZNS1_25segmented_radix_sort_implIS3_Lb0EPKhPhPKlPlN2at6native12_GLOBAL__N_18offset_tEEE10hipError_tPvRmT1_PNSt15iterator_traitsISK_E10value_typeET2_T3_PNSL_ISQ_E10value_typeET4_jRbjT5_SW_jjP12ihipStream_tbEUlT_E2_NS1_11comp_targetILNS1_3genE0ELNS1_11target_archE4294967295ELNS1_3gpuE0ELNS1_3repE0EEENS1_30default_config_static_selectorELNS0_4arch9wavefront6targetE0EEEvSK_
                                        ; -- End function
	.set _ZN7rocprim17ROCPRIM_400000_NS6detail17trampoline_kernelINS0_14default_configENS1_36segmented_radix_sort_config_selectorIhlEEZNS1_25segmented_radix_sort_implIS3_Lb0EPKhPhPKlPlN2at6native12_GLOBAL__N_18offset_tEEE10hipError_tPvRmT1_PNSt15iterator_traitsISK_E10value_typeET2_T3_PNSL_ISQ_E10value_typeET4_jRbjT5_SW_jjP12ihipStream_tbEUlT_E2_NS1_11comp_targetILNS1_3genE0ELNS1_11target_archE4294967295ELNS1_3gpuE0ELNS1_3repE0EEENS1_30default_config_static_selectorELNS0_4arch9wavefront6targetE0EEEvSK_.num_vgpr, max(205, .L_ZN7rocprim17ROCPRIM_400000_NS6detail26segmented_warp_sort_helperINS1_20WarpSortHelperConfigILj32ELj4ELj256EEEhlLi256ELb0EvE4sortIPKhPhPKlPlEEvT_T0_T1_T2_jjjjRNS5_12storage_typeE.num_vgpr, .L_ZN7rocprim17ROCPRIM_400000_NS6detail40segmented_radix_sort_single_block_helperIhlLj256ELj17ELb0EE4sortIPKhPhPKlPlEEbT_T0_T1_T2_jjjjRNS3_12storage_typeE.num_vgpr)
	.set _ZN7rocprim17ROCPRIM_400000_NS6detail17trampoline_kernelINS0_14default_configENS1_36segmented_radix_sort_config_selectorIhlEEZNS1_25segmented_radix_sort_implIS3_Lb0EPKhPhPKlPlN2at6native12_GLOBAL__N_18offset_tEEE10hipError_tPvRmT1_PNSt15iterator_traitsISK_E10value_typeET2_T3_PNSL_ISQ_E10value_typeET4_jRbjT5_SW_jjP12ihipStream_tbEUlT_E2_NS1_11comp_targetILNS1_3genE0ELNS1_11target_archE4294967295ELNS1_3gpuE0ELNS1_3repE0EEENS1_30default_config_static_selectorELNS0_4arch9wavefront6targetE0EEEvSK_.num_agpr, max(0, .L_ZN7rocprim17ROCPRIM_400000_NS6detail26segmented_warp_sort_helperINS1_20WarpSortHelperConfigILj32ELj4ELj256EEEhlLi256ELb0EvE4sortIPKhPhPKlPlEEvT_T0_T1_T2_jjjjRNS5_12storage_typeE.num_agpr, .L_ZN7rocprim17ROCPRIM_400000_NS6detail40segmented_radix_sort_single_block_helperIhlLj256ELj17ELb0EE4sortIPKhPhPKlPlEEbT_T0_T1_T2_jjjjRNS3_12storage_typeE.num_agpr)
	.set _ZN7rocprim17ROCPRIM_400000_NS6detail17trampoline_kernelINS0_14default_configENS1_36segmented_radix_sort_config_selectorIhlEEZNS1_25segmented_radix_sort_implIS3_Lb0EPKhPhPKlPlN2at6native12_GLOBAL__N_18offset_tEEE10hipError_tPvRmT1_PNSt15iterator_traitsISK_E10value_typeET2_T3_PNSL_ISQ_E10value_typeET4_jRbjT5_SW_jjP12ihipStream_tbEUlT_E2_NS1_11comp_targetILNS1_3genE0ELNS1_11target_archE4294967295ELNS1_3gpuE0ELNS1_3repE0EEENS1_30default_config_static_selectorELNS0_4arch9wavefront6targetE0EEEvSK_.numbered_sgpr, max(61, .L_ZN7rocprim17ROCPRIM_400000_NS6detail26segmented_warp_sort_helperINS1_20WarpSortHelperConfigILj32ELj4ELj256EEEhlLi256ELb0EvE4sortIPKhPhPKlPlEEvT_T0_T1_T2_jjjjRNS5_12storage_typeE.numbered_sgpr, .L_ZN7rocprim17ROCPRIM_400000_NS6detail40segmented_radix_sort_single_block_helperIhlLj256ELj17ELb0EE4sortIPKhPhPKlPlEEbT_T0_T1_T2_jjjjRNS3_12storage_typeE.numbered_sgpr)
	.set _ZN7rocprim17ROCPRIM_400000_NS6detail17trampoline_kernelINS0_14default_configENS1_36segmented_radix_sort_config_selectorIhlEEZNS1_25segmented_radix_sort_implIS3_Lb0EPKhPhPKlPlN2at6native12_GLOBAL__N_18offset_tEEE10hipError_tPvRmT1_PNSt15iterator_traitsISK_E10value_typeET2_T3_PNSL_ISQ_E10value_typeET4_jRbjT5_SW_jjP12ihipStream_tbEUlT_E2_NS1_11comp_targetILNS1_3genE0ELNS1_11target_archE4294967295ELNS1_3gpuE0ELNS1_3repE0EEENS1_30default_config_static_selectorELNS0_4arch9wavefront6targetE0EEEvSK_.num_named_barrier, max(0, .L_ZN7rocprim17ROCPRIM_400000_NS6detail26segmented_warp_sort_helperINS1_20WarpSortHelperConfigILj32ELj4ELj256EEEhlLi256ELb0EvE4sortIPKhPhPKlPlEEvT_T0_T1_T2_jjjjRNS5_12storage_typeE.num_named_barrier, .L_ZN7rocprim17ROCPRIM_400000_NS6detail40segmented_radix_sort_single_block_helperIhlLj256ELj17ELb0EE4sortIPKhPhPKlPlEEbT_T0_T1_T2_jjjjRNS3_12storage_typeE.num_named_barrier)
	.set _ZN7rocprim17ROCPRIM_400000_NS6detail17trampoline_kernelINS0_14default_configENS1_36segmented_radix_sort_config_selectorIhlEEZNS1_25segmented_radix_sort_implIS3_Lb0EPKhPhPKlPlN2at6native12_GLOBAL__N_18offset_tEEE10hipError_tPvRmT1_PNSt15iterator_traitsISK_E10value_typeET2_T3_PNSL_ISQ_E10value_typeET4_jRbjT5_SW_jjP12ihipStream_tbEUlT_E2_NS1_11comp_targetILNS1_3genE0ELNS1_11target_archE4294967295ELNS1_3gpuE0ELNS1_3repE0EEENS1_30default_config_static_selectorELNS0_4arch9wavefront6targetE0EEEvSK_.private_seg_size, 0+max(.L_ZN7rocprim17ROCPRIM_400000_NS6detail26segmented_warp_sort_helperINS1_20WarpSortHelperConfigILj32ELj4ELj256EEEhlLi256ELb0EvE4sortIPKhPhPKlPlEEvT_T0_T1_T2_jjjjRNS5_12storage_typeE.private_seg_size, .L_ZN7rocprim17ROCPRIM_400000_NS6detail40segmented_radix_sort_single_block_helperIhlLj256ELj17ELb0EE4sortIPKhPhPKlPlEEbT_T0_T1_T2_jjjjRNS3_12storage_typeE.private_seg_size)
	.set _ZN7rocprim17ROCPRIM_400000_NS6detail17trampoline_kernelINS0_14default_configENS1_36segmented_radix_sort_config_selectorIhlEEZNS1_25segmented_radix_sort_implIS3_Lb0EPKhPhPKlPlN2at6native12_GLOBAL__N_18offset_tEEE10hipError_tPvRmT1_PNSt15iterator_traitsISK_E10value_typeET2_T3_PNSL_ISQ_E10value_typeET4_jRbjT5_SW_jjP12ihipStream_tbEUlT_E2_NS1_11comp_targetILNS1_3genE0ELNS1_11target_archE4294967295ELNS1_3gpuE0ELNS1_3repE0EEENS1_30default_config_static_selectorELNS0_4arch9wavefront6targetE0EEEvSK_.uses_vcc, or(1, .L_ZN7rocprim17ROCPRIM_400000_NS6detail26segmented_warp_sort_helperINS1_20WarpSortHelperConfigILj32ELj4ELj256EEEhlLi256ELb0EvE4sortIPKhPhPKlPlEEvT_T0_T1_T2_jjjjRNS5_12storage_typeE.uses_vcc, .L_ZN7rocprim17ROCPRIM_400000_NS6detail40segmented_radix_sort_single_block_helperIhlLj256ELj17ELb0EE4sortIPKhPhPKlPlEEbT_T0_T1_T2_jjjjRNS3_12storage_typeE.uses_vcc)
	.set _ZN7rocprim17ROCPRIM_400000_NS6detail17trampoline_kernelINS0_14default_configENS1_36segmented_radix_sort_config_selectorIhlEEZNS1_25segmented_radix_sort_implIS3_Lb0EPKhPhPKlPlN2at6native12_GLOBAL__N_18offset_tEEE10hipError_tPvRmT1_PNSt15iterator_traitsISK_E10value_typeET2_T3_PNSL_ISQ_E10value_typeET4_jRbjT5_SW_jjP12ihipStream_tbEUlT_E2_NS1_11comp_targetILNS1_3genE0ELNS1_11target_archE4294967295ELNS1_3gpuE0ELNS1_3repE0EEENS1_30default_config_static_selectorELNS0_4arch9wavefront6targetE0EEEvSK_.uses_flat_scratch, or(0, .L_ZN7rocprim17ROCPRIM_400000_NS6detail26segmented_warp_sort_helperINS1_20WarpSortHelperConfigILj32ELj4ELj256EEEhlLi256ELb0EvE4sortIPKhPhPKlPlEEvT_T0_T1_T2_jjjjRNS5_12storage_typeE.uses_flat_scratch, .L_ZN7rocprim17ROCPRIM_400000_NS6detail40segmented_radix_sort_single_block_helperIhlLj256ELj17ELb0EE4sortIPKhPhPKlPlEEbT_T0_T1_T2_jjjjRNS3_12storage_typeE.uses_flat_scratch)
	.set _ZN7rocprim17ROCPRIM_400000_NS6detail17trampoline_kernelINS0_14default_configENS1_36segmented_radix_sort_config_selectorIhlEEZNS1_25segmented_radix_sort_implIS3_Lb0EPKhPhPKlPlN2at6native12_GLOBAL__N_18offset_tEEE10hipError_tPvRmT1_PNSt15iterator_traitsISK_E10value_typeET2_T3_PNSL_ISQ_E10value_typeET4_jRbjT5_SW_jjP12ihipStream_tbEUlT_E2_NS1_11comp_targetILNS1_3genE0ELNS1_11target_archE4294967295ELNS1_3gpuE0ELNS1_3repE0EEENS1_30default_config_static_selectorELNS0_4arch9wavefront6targetE0EEEvSK_.has_dyn_sized_stack, or(0, .L_ZN7rocprim17ROCPRIM_400000_NS6detail26segmented_warp_sort_helperINS1_20WarpSortHelperConfigILj32ELj4ELj256EEEhlLi256ELb0EvE4sortIPKhPhPKlPlEEvT_T0_T1_T2_jjjjRNS5_12storage_typeE.has_dyn_sized_stack, .L_ZN7rocprim17ROCPRIM_400000_NS6detail40segmented_radix_sort_single_block_helperIhlLj256ELj17ELb0EE4sortIPKhPhPKlPlEEbT_T0_T1_T2_jjjjRNS3_12storage_typeE.has_dyn_sized_stack)
	.set _ZN7rocprim17ROCPRIM_400000_NS6detail17trampoline_kernelINS0_14default_configENS1_36segmented_radix_sort_config_selectorIhlEEZNS1_25segmented_radix_sort_implIS3_Lb0EPKhPhPKlPlN2at6native12_GLOBAL__N_18offset_tEEE10hipError_tPvRmT1_PNSt15iterator_traitsISK_E10value_typeET2_T3_PNSL_ISQ_E10value_typeET4_jRbjT5_SW_jjP12ihipStream_tbEUlT_E2_NS1_11comp_targetILNS1_3genE0ELNS1_11target_archE4294967295ELNS1_3gpuE0ELNS1_3repE0EEENS1_30default_config_static_selectorELNS0_4arch9wavefront6targetE0EEEvSK_.has_recursion, or(0, .L_ZN7rocprim17ROCPRIM_400000_NS6detail26segmented_warp_sort_helperINS1_20WarpSortHelperConfigILj32ELj4ELj256EEEhlLi256ELb0EvE4sortIPKhPhPKlPlEEvT_T0_T1_T2_jjjjRNS5_12storage_typeE.has_recursion, .L_ZN7rocprim17ROCPRIM_400000_NS6detail40segmented_radix_sort_single_block_helperIhlLj256ELj17ELb0EE4sortIPKhPhPKlPlEEbT_T0_T1_T2_jjjjRNS3_12storage_typeE.has_recursion)
	.set _ZN7rocprim17ROCPRIM_400000_NS6detail17trampoline_kernelINS0_14default_configENS1_36segmented_radix_sort_config_selectorIhlEEZNS1_25segmented_radix_sort_implIS3_Lb0EPKhPhPKlPlN2at6native12_GLOBAL__N_18offset_tEEE10hipError_tPvRmT1_PNSt15iterator_traitsISK_E10value_typeET2_T3_PNSL_ISQ_E10value_typeET4_jRbjT5_SW_jjP12ihipStream_tbEUlT_E2_NS1_11comp_targetILNS1_3genE0ELNS1_11target_archE4294967295ELNS1_3gpuE0ELNS1_3repE0EEENS1_30default_config_static_selectorELNS0_4arch9wavefront6targetE0EEEvSK_.has_indirect_call, or(0, .L_ZN7rocprim17ROCPRIM_400000_NS6detail26segmented_warp_sort_helperINS1_20WarpSortHelperConfigILj32ELj4ELj256EEEhlLi256ELb0EvE4sortIPKhPhPKlPlEEvT_T0_T1_T2_jjjjRNS5_12storage_typeE.has_indirect_call, .L_ZN7rocprim17ROCPRIM_400000_NS6detail40segmented_radix_sort_single_block_helperIhlLj256ELj17ELb0EE4sortIPKhPhPKlPlEEbT_T0_T1_T2_jjjjRNS3_12storage_typeE.has_indirect_call)
	.section	.AMDGPU.csdata,"",@progbits
; Kernel info:
; codeLenInByte = 70428
; TotalNumSgprs: 63
; NumVgprs: 319
; ScratchSize: 0
; MemoryBound: 0
; FloatMode: 240
; IeeeMode: 1
; LDSByteSize: 35344 bytes/workgroup (compile time only)
; SGPRBlocks: 0
; VGPRBlocks: 19
; NumSGPRsForWavesPerEU: 63
; NumVGPRsForWavesPerEU: 319
; NamedBarCnt: 0
; Occupancy: 3
; WaveLimiterHint : 1
; COMPUTE_PGM_RSRC2:SCRATCH_EN: 0
; COMPUTE_PGM_RSRC2:USER_SGPR: 4
; COMPUTE_PGM_RSRC2:TRAP_HANDLER: 0
; COMPUTE_PGM_RSRC2:TGID_X_EN: 1
; COMPUTE_PGM_RSRC2:TGID_Y_EN: 1
; COMPUTE_PGM_RSRC2:TGID_Z_EN: 0
; COMPUTE_PGM_RSRC2:TIDIG_COMP_CNT: 2
	.section	.text._ZN7rocprim17ROCPRIM_400000_NS6detail17trampoline_kernelINS0_14default_configENS1_36segmented_radix_sort_config_selectorIhlEEZNS1_25segmented_radix_sort_implIS3_Lb0EPKhPhPKlPlN2at6native12_GLOBAL__N_18offset_tEEE10hipError_tPvRmT1_PNSt15iterator_traitsISK_E10value_typeET2_T3_PNSL_ISQ_E10value_typeET4_jRbjT5_SW_jjP12ihipStream_tbEUlT_E2_NS1_11comp_targetILNS1_3genE5ELNS1_11target_archE942ELNS1_3gpuE9ELNS1_3repE0EEENS1_30default_config_static_selectorELNS0_4arch9wavefront6targetE0EEEvSK_,"axG",@progbits,_ZN7rocprim17ROCPRIM_400000_NS6detail17trampoline_kernelINS0_14default_configENS1_36segmented_radix_sort_config_selectorIhlEEZNS1_25segmented_radix_sort_implIS3_Lb0EPKhPhPKlPlN2at6native12_GLOBAL__N_18offset_tEEE10hipError_tPvRmT1_PNSt15iterator_traitsISK_E10value_typeET2_T3_PNSL_ISQ_E10value_typeET4_jRbjT5_SW_jjP12ihipStream_tbEUlT_E2_NS1_11comp_targetILNS1_3genE5ELNS1_11target_archE942ELNS1_3gpuE9ELNS1_3repE0EEENS1_30default_config_static_selectorELNS0_4arch9wavefront6targetE0EEEvSK_,comdat
	.globl	_ZN7rocprim17ROCPRIM_400000_NS6detail17trampoline_kernelINS0_14default_configENS1_36segmented_radix_sort_config_selectorIhlEEZNS1_25segmented_radix_sort_implIS3_Lb0EPKhPhPKlPlN2at6native12_GLOBAL__N_18offset_tEEE10hipError_tPvRmT1_PNSt15iterator_traitsISK_E10value_typeET2_T3_PNSL_ISQ_E10value_typeET4_jRbjT5_SW_jjP12ihipStream_tbEUlT_E2_NS1_11comp_targetILNS1_3genE5ELNS1_11target_archE942ELNS1_3gpuE9ELNS1_3repE0EEENS1_30default_config_static_selectorELNS0_4arch9wavefront6targetE0EEEvSK_ ; -- Begin function _ZN7rocprim17ROCPRIM_400000_NS6detail17trampoline_kernelINS0_14default_configENS1_36segmented_radix_sort_config_selectorIhlEEZNS1_25segmented_radix_sort_implIS3_Lb0EPKhPhPKlPlN2at6native12_GLOBAL__N_18offset_tEEE10hipError_tPvRmT1_PNSt15iterator_traitsISK_E10value_typeET2_T3_PNSL_ISQ_E10value_typeET4_jRbjT5_SW_jjP12ihipStream_tbEUlT_E2_NS1_11comp_targetILNS1_3genE5ELNS1_11target_archE942ELNS1_3gpuE9ELNS1_3repE0EEENS1_30default_config_static_selectorELNS0_4arch9wavefront6targetE0EEEvSK_
	.p2align	8
	.type	_ZN7rocprim17ROCPRIM_400000_NS6detail17trampoline_kernelINS0_14default_configENS1_36segmented_radix_sort_config_selectorIhlEEZNS1_25segmented_radix_sort_implIS3_Lb0EPKhPhPKlPlN2at6native12_GLOBAL__N_18offset_tEEE10hipError_tPvRmT1_PNSt15iterator_traitsISK_E10value_typeET2_T3_PNSL_ISQ_E10value_typeET4_jRbjT5_SW_jjP12ihipStream_tbEUlT_E2_NS1_11comp_targetILNS1_3genE5ELNS1_11target_archE942ELNS1_3gpuE9ELNS1_3repE0EEENS1_30default_config_static_selectorELNS0_4arch9wavefront6targetE0EEEvSK_,@function
_ZN7rocprim17ROCPRIM_400000_NS6detail17trampoline_kernelINS0_14default_configENS1_36segmented_radix_sort_config_selectorIhlEEZNS1_25segmented_radix_sort_implIS3_Lb0EPKhPhPKlPlN2at6native12_GLOBAL__N_18offset_tEEE10hipError_tPvRmT1_PNSt15iterator_traitsISK_E10value_typeET2_T3_PNSL_ISQ_E10value_typeET4_jRbjT5_SW_jjP12ihipStream_tbEUlT_E2_NS1_11comp_targetILNS1_3genE5ELNS1_11target_archE942ELNS1_3gpuE9ELNS1_3repE0EEENS1_30default_config_static_selectorELNS0_4arch9wavefront6targetE0EEEvSK_: ; @_ZN7rocprim17ROCPRIM_400000_NS6detail17trampoline_kernelINS0_14default_configENS1_36segmented_radix_sort_config_selectorIhlEEZNS1_25segmented_radix_sort_implIS3_Lb0EPKhPhPKlPlN2at6native12_GLOBAL__N_18offset_tEEE10hipError_tPvRmT1_PNSt15iterator_traitsISK_E10value_typeET2_T3_PNSL_ISQ_E10value_typeET4_jRbjT5_SW_jjP12ihipStream_tbEUlT_E2_NS1_11comp_targetILNS1_3genE5ELNS1_11target_archE942ELNS1_3gpuE9ELNS1_3repE0EEENS1_30default_config_static_selectorELNS0_4arch9wavefront6targetE0EEEvSK_
; %bb.0:
	.section	.rodata,"a",@progbits
	.p2align	6, 0x0
	.amdhsa_kernel _ZN7rocprim17ROCPRIM_400000_NS6detail17trampoline_kernelINS0_14default_configENS1_36segmented_radix_sort_config_selectorIhlEEZNS1_25segmented_radix_sort_implIS3_Lb0EPKhPhPKlPlN2at6native12_GLOBAL__N_18offset_tEEE10hipError_tPvRmT1_PNSt15iterator_traitsISK_E10value_typeET2_T3_PNSL_ISQ_E10value_typeET4_jRbjT5_SW_jjP12ihipStream_tbEUlT_E2_NS1_11comp_targetILNS1_3genE5ELNS1_11target_archE942ELNS1_3gpuE9ELNS1_3repE0EEENS1_30default_config_static_selectorELNS0_4arch9wavefront6targetE0EEEvSK_
		.amdhsa_group_segment_fixed_size 0
		.amdhsa_private_segment_fixed_size 0
		.amdhsa_kernarg_size 80
		.amdhsa_user_sgpr_count 2
		.amdhsa_user_sgpr_dispatch_ptr 0
		.amdhsa_user_sgpr_queue_ptr 0
		.amdhsa_user_sgpr_kernarg_segment_ptr 1
		.amdhsa_user_sgpr_dispatch_id 0
		.amdhsa_user_sgpr_kernarg_preload_length 0
		.amdhsa_user_sgpr_kernarg_preload_offset 0
		.amdhsa_user_sgpr_private_segment_size 0
		.amdhsa_wavefront_size32 1
		.amdhsa_uses_dynamic_stack 0
		.amdhsa_enable_private_segment 0
		.amdhsa_system_sgpr_workgroup_id_x 1
		.amdhsa_system_sgpr_workgroup_id_y 0
		.amdhsa_system_sgpr_workgroup_id_z 0
		.amdhsa_system_sgpr_workgroup_info 0
		.amdhsa_system_vgpr_workitem_id 0
		.amdhsa_next_free_vgpr 1
		.amdhsa_next_free_sgpr 1
		.amdhsa_named_barrier_count 0
		.amdhsa_reserve_vcc 0
		.amdhsa_float_round_mode_32 0
		.amdhsa_float_round_mode_16_64 0
		.amdhsa_float_denorm_mode_32 3
		.amdhsa_float_denorm_mode_16_64 3
		.amdhsa_fp16_overflow 0
		.amdhsa_memory_ordered 1
		.amdhsa_forward_progress 1
		.amdhsa_inst_pref_size 0
		.amdhsa_round_robin_scheduling 0
		.amdhsa_exception_fp_ieee_invalid_op 0
		.amdhsa_exception_fp_denorm_src 0
		.amdhsa_exception_fp_ieee_div_zero 0
		.amdhsa_exception_fp_ieee_overflow 0
		.amdhsa_exception_fp_ieee_underflow 0
		.amdhsa_exception_fp_ieee_inexact 0
		.amdhsa_exception_int_div_zero 0
	.end_amdhsa_kernel
	.section	.text._ZN7rocprim17ROCPRIM_400000_NS6detail17trampoline_kernelINS0_14default_configENS1_36segmented_radix_sort_config_selectorIhlEEZNS1_25segmented_radix_sort_implIS3_Lb0EPKhPhPKlPlN2at6native12_GLOBAL__N_18offset_tEEE10hipError_tPvRmT1_PNSt15iterator_traitsISK_E10value_typeET2_T3_PNSL_ISQ_E10value_typeET4_jRbjT5_SW_jjP12ihipStream_tbEUlT_E2_NS1_11comp_targetILNS1_3genE5ELNS1_11target_archE942ELNS1_3gpuE9ELNS1_3repE0EEENS1_30default_config_static_selectorELNS0_4arch9wavefront6targetE0EEEvSK_,"axG",@progbits,_ZN7rocprim17ROCPRIM_400000_NS6detail17trampoline_kernelINS0_14default_configENS1_36segmented_radix_sort_config_selectorIhlEEZNS1_25segmented_radix_sort_implIS3_Lb0EPKhPhPKlPlN2at6native12_GLOBAL__N_18offset_tEEE10hipError_tPvRmT1_PNSt15iterator_traitsISK_E10value_typeET2_T3_PNSL_ISQ_E10value_typeET4_jRbjT5_SW_jjP12ihipStream_tbEUlT_E2_NS1_11comp_targetILNS1_3genE5ELNS1_11target_archE942ELNS1_3gpuE9ELNS1_3repE0EEENS1_30default_config_static_selectorELNS0_4arch9wavefront6targetE0EEEvSK_,comdat
.Lfunc_end215:
	.size	_ZN7rocprim17ROCPRIM_400000_NS6detail17trampoline_kernelINS0_14default_configENS1_36segmented_radix_sort_config_selectorIhlEEZNS1_25segmented_radix_sort_implIS3_Lb0EPKhPhPKlPlN2at6native12_GLOBAL__N_18offset_tEEE10hipError_tPvRmT1_PNSt15iterator_traitsISK_E10value_typeET2_T3_PNSL_ISQ_E10value_typeET4_jRbjT5_SW_jjP12ihipStream_tbEUlT_E2_NS1_11comp_targetILNS1_3genE5ELNS1_11target_archE942ELNS1_3gpuE9ELNS1_3repE0EEENS1_30default_config_static_selectorELNS0_4arch9wavefront6targetE0EEEvSK_, .Lfunc_end215-_ZN7rocprim17ROCPRIM_400000_NS6detail17trampoline_kernelINS0_14default_configENS1_36segmented_radix_sort_config_selectorIhlEEZNS1_25segmented_radix_sort_implIS3_Lb0EPKhPhPKlPlN2at6native12_GLOBAL__N_18offset_tEEE10hipError_tPvRmT1_PNSt15iterator_traitsISK_E10value_typeET2_T3_PNSL_ISQ_E10value_typeET4_jRbjT5_SW_jjP12ihipStream_tbEUlT_E2_NS1_11comp_targetILNS1_3genE5ELNS1_11target_archE942ELNS1_3gpuE9ELNS1_3repE0EEENS1_30default_config_static_selectorELNS0_4arch9wavefront6targetE0EEEvSK_
                                        ; -- End function
	.set _ZN7rocprim17ROCPRIM_400000_NS6detail17trampoline_kernelINS0_14default_configENS1_36segmented_radix_sort_config_selectorIhlEEZNS1_25segmented_radix_sort_implIS3_Lb0EPKhPhPKlPlN2at6native12_GLOBAL__N_18offset_tEEE10hipError_tPvRmT1_PNSt15iterator_traitsISK_E10value_typeET2_T3_PNSL_ISQ_E10value_typeET4_jRbjT5_SW_jjP12ihipStream_tbEUlT_E2_NS1_11comp_targetILNS1_3genE5ELNS1_11target_archE942ELNS1_3gpuE9ELNS1_3repE0EEENS1_30default_config_static_selectorELNS0_4arch9wavefront6targetE0EEEvSK_.num_vgpr, 0
	.set _ZN7rocprim17ROCPRIM_400000_NS6detail17trampoline_kernelINS0_14default_configENS1_36segmented_radix_sort_config_selectorIhlEEZNS1_25segmented_radix_sort_implIS3_Lb0EPKhPhPKlPlN2at6native12_GLOBAL__N_18offset_tEEE10hipError_tPvRmT1_PNSt15iterator_traitsISK_E10value_typeET2_T3_PNSL_ISQ_E10value_typeET4_jRbjT5_SW_jjP12ihipStream_tbEUlT_E2_NS1_11comp_targetILNS1_3genE5ELNS1_11target_archE942ELNS1_3gpuE9ELNS1_3repE0EEENS1_30default_config_static_selectorELNS0_4arch9wavefront6targetE0EEEvSK_.num_agpr, 0
	.set _ZN7rocprim17ROCPRIM_400000_NS6detail17trampoline_kernelINS0_14default_configENS1_36segmented_radix_sort_config_selectorIhlEEZNS1_25segmented_radix_sort_implIS3_Lb0EPKhPhPKlPlN2at6native12_GLOBAL__N_18offset_tEEE10hipError_tPvRmT1_PNSt15iterator_traitsISK_E10value_typeET2_T3_PNSL_ISQ_E10value_typeET4_jRbjT5_SW_jjP12ihipStream_tbEUlT_E2_NS1_11comp_targetILNS1_3genE5ELNS1_11target_archE942ELNS1_3gpuE9ELNS1_3repE0EEENS1_30default_config_static_selectorELNS0_4arch9wavefront6targetE0EEEvSK_.numbered_sgpr, 0
	.set _ZN7rocprim17ROCPRIM_400000_NS6detail17trampoline_kernelINS0_14default_configENS1_36segmented_radix_sort_config_selectorIhlEEZNS1_25segmented_radix_sort_implIS3_Lb0EPKhPhPKlPlN2at6native12_GLOBAL__N_18offset_tEEE10hipError_tPvRmT1_PNSt15iterator_traitsISK_E10value_typeET2_T3_PNSL_ISQ_E10value_typeET4_jRbjT5_SW_jjP12ihipStream_tbEUlT_E2_NS1_11comp_targetILNS1_3genE5ELNS1_11target_archE942ELNS1_3gpuE9ELNS1_3repE0EEENS1_30default_config_static_selectorELNS0_4arch9wavefront6targetE0EEEvSK_.num_named_barrier, 0
	.set _ZN7rocprim17ROCPRIM_400000_NS6detail17trampoline_kernelINS0_14default_configENS1_36segmented_radix_sort_config_selectorIhlEEZNS1_25segmented_radix_sort_implIS3_Lb0EPKhPhPKlPlN2at6native12_GLOBAL__N_18offset_tEEE10hipError_tPvRmT1_PNSt15iterator_traitsISK_E10value_typeET2_T3_PNSL_ISQ_E10value_typeET4_jRbjT5_SW_jjP12ihipStream_tbEUlT_E2_NS1_11comp_targetILNS1_3genE5ELNS1_11target_archE942ELNS1_3gpuE9ELNS1_3repE0EEENS1_30default_config_static_selectorELNS0_4arch9wavefront6targetE0EEEvSK_.private_seg_size, 0
	.set _ZN7rocprim17ROCPRIM_400000_NS6detail17trampoline_kernelINS0_14default_configENS1_36segmented_radix_sort_config_selectorIhlEEZNS1_25segmented_radix_sort_implIS3_Lb0EPKhPhPKlPlN2at6native12_GLOBAL__N_18offset_tEEE10hipError_tPvRmT1_PNSt15iterator_traitsISK_E10value_typeET2_T3_PNSL_ISQ_E10value_typeET4_jRbjT5_SW_jjP12ihipStream_tbEUlT_E2_NS1_11comp_targetILNS1_3genE5ELNS1_11target_archE942ELNS1_3gpuE9ELNS1_3repE0EEENS1_30default_config_static_selectorELNS0_4arch9wavefront6targetE0EEEvSK_.uses_vcc, 0
	.set _ZN7rocprim17ROCPRIM_400000_NS6detail17trampoline_kernelINS0_14default_configENS1_36segmented_radix_sort_config_selectorIhlEEZNS1_25segmented_radix_sort_implIS3_Lb0EPKhPhPKlPlN2at6native12_GLOBAL__N_18offset_tEEE10hipError_tPvRmT1_PNSt15iterator_traitsISK_E10value_typeET2_T3_PNSL_ISQ_E10value_typeET4_jRbjT5_SW_jjP12ihipStream_tbEUlT_E2_NS1_11comp_targetILNS1_3genE5ELNS1_11target_archE942ELNS1_3gpuE9ELNS1_3repE0EEENS1_30default_config_static_selectorELNS0_4arch9wavefront6targetE0EEEvSK_.uses_flat_scratch, 0
	.set _ZN7rocprim17ROCPRIM_400000_NS6detail17trampoline_kernelINS0_14default_configENS1_36segmented_radix_sort_config_selectorIhlEEZNS1_25segmented_radix_sort_implIS3_Lb0EPKhPhPKlPlN2at6native12_GLOBAL__N_18offset_tEEE10hipError_tPvRmT1_PNSt15iterator_traitsISK_E10value_typeET2_T3_PNSL_ISQ_E10value_typeET4_jRbjT5_SW_jjP12ihipStream_tbEUlT_E2_NS1_11comp_targetILNS1_3genE5ELNS1_11target_archE942ELNS1_3gpuE9ELNS1_3repE0EEENS1_30default_config_static_selectorELNS0_4arch9wavefront6targetE0EEEvSK_.has_dyn_sized_stack, 0
	.set _ZN7rocprim17ROCPRIM_400000_NS6detail17trampoline_kernelINS0_14default_configENS1_36segmented_radix_sort_config_selectorIhlEEZNS1_25segmented_radix_sort_implIS3_Lb0EPKhPhPKlPlN2at6native12_GLOBAL__N_18offset_tEEE10hipError_tPvRmT1_PNSt15iterator_traitsISK_E10value_typeET2_T3_PNSL_ISQ_E10value_typeET4_jRbjT5_SW_jjP12ihipStream_tbEUlT_E2_NS1_11comp_targetILNS1_3genE5ELNS1_11target_archE942ELNS1_3gpuE9ELNS1_3repE0EEENS1_30default_config_static_selectorELNS0_4arch9wavefront6targetE0EEEvSK_.has_recursion, 0
	.set _ZN7rocprim17ROCPRIM_400000_NS6detail17trampoline_kernelINS0_14default_configENS1_36segmented_radix_sort_config_selectorIhlEEZNS1_25segmented_radix_sort_implIS3_Lb0EPKhPhPKlPlN2at6native12_GLOBAL__N_18offset_tEEE10hipError_tPvRmT1_PNSt15iterator_traitsISK_E10value_typeET2_T3_PNSL_ISQ_E10value_typeET4_jRbjT5_SW_jjP12ihipStream_tbEUlT_E2_NS1_11comp_targetILNS1_3genE5ELNS1_11target_archE942ELNS1_3gpuE9ELNS1_3repE0EEENS1_30default_config_static_selectorELNS0_4arch9wavefront6targetE0EEEvSK_.has_indirect_call, 0
	.section	.AMDGPU.csdata,"",@progbits
; Kernel info:
; codeLenInByte = 0
; TotalNumSgprs: 0
; NumVgprs: 0
; ScratchSize: 0
; MemoryBound: 0
; FloatMode: 240
; IeeeMode: 1
; LDSByteSize: 0 bytes/workgroup (compile time only)
; SGPRBlocks: 0
; VGPRBlocks: 0
; NumSGPRsForWavesPerEU: 1
; NumVGPRsForWavesPerEU: 1
; NamedBarCnt: 0
; Occupancy: 16
; WaveLimiterHint : 0
; COMPUTE_PGM_RSRC2:SCRATCH_EN: 0
; COMPUTE_PGM_RSRC2:USER_SGPR: 2
; COMPUTE_PGM_RSRC2:TRAP_HANDLER: 0
; COMPUTE_PGM_RSRC2:TGID_X_EN: 1
; COMPUTE_PGM_RSRC2:TGID_Y_EN: 0
; COMPUTE_PGM_RSRC2:TGID_Z_EN: 0
; COMPUTE_PGM_RSRC2:TIDIG_COMP_CNT: 0
	.section	.text._ZN7rocprim17ROCPRIM_400000_NS6detail17trampoline_kernelINS0_14default_configENS1_36segmented_radix_sort_config_selectorIhlEEZNS1_25segmented_radix_sort_implIS3_Lb0EPKhPhPKlPlN2at6native12_GLOBAL__N_18offset_tEEE10hipError_tPvRmT1_PNSt15iterator_traitsISK_E10value_typeET2_T3_PNSL_ISQ_E10value_typeET4_jRbjT5_SW_jjP12ihipStream_tbEUlT_E2_NS1_11comp_targetILNS1_3genE4ELNS1_11target_archE910ELNS1_3gpuE8ELNS1_3repE0EEENS1_30default_config_static_selectorELNS0_4arch9wavefront6targetE0EEEvSK_,"axG",@progbits,_ZN7rocprim17ROCPRIM_400000_NS6detail17trampoline_kernelINS0_14default_configENS1_36segmented_radix_sort_config_selectorIhlEEZNS1_25segmented_radix_sort_implIS3_Lb0EPKhPhPKlPlN2at6native12_GLOBAL__N_18offset_tEEE10hipError_tPvRmT1_PNSt15iterator_traitsISK_E10value_typeET2_T3_PNSL_ISQ_E10value_typeET4_jRbjT5_SW_jjP12ihipStream_tbEUlT_E2_NS1_11comp_targetILNS1_3genE4ELNS1_11target_archE910ELNS1_3gpuE8ELNS1_3repE0EEENS1_30default_config_static_selectorELNS0_4arch9wavefront6targetE0EEEvSK_,comdat
	.globl	_ZN7rocprim17ROCPRIM_400000_NS6detail17trampoline_kernelINS0_14default_configENS1_36segmented_radix_sort_config_selectorIhlEEZNS1_25segmented_radix_sort_implIS3_Lb0EPKhPhPKlPlN2at6native12_GLOBAL__N_18offset_tEEE10hipError_tPvRmT1_PNSt15iterator_traitsISK_E10value_typeET2_T3_PNSL_ISQ_E10value_typeET4_jRbjT5_SW_jjP12ihipStream_tbEUlT_E2_NS1_11comp_targetILNS1_3genE4ELNS1_11target_archE910ELNS1_3gpuE8ELNS1_3repE0EEENS1_30default_config_static_selectorELNS0_4arch9wavefront6targetE0EEEvSK_ ; -- Begin function _ZN7rocprim17ROCPRIM_400000_NS6detail17trampoline_kernelINS0_14default_configENS1_36segmented_radix_sort_config_selectorIhlEEZNS1_25segmented_radix_sort_implIS3_Lb0EPKhPhPKlPlN2at6native12_GLOBAL__N_18offset_tEEE10hipError_tPvRmT1_PNSt15iterator_traitsISK_E10value_typeET2_T3_PNSL_ISQ_E10value_typeET4_jRbjT5_SW_jjP12ihipStream_tbEUlT_E2_NS1_11comp_targetILNS1_3genE4ELNS1_11target_archE910ELNS1_3gpuE8ELNS1_3repE0EEENS1_30default_config_static_selectorELNS0_4arch9wavefront6targetE0EEEvSK_
	.p2align	8
	.type	_ZN7rocprim17ROCPRIM_400000_NS6detail17trampoline_kernelINS0_14default_configENS1_36segmented_radix_sort_config_selectorIhlEEZNS1_25segmented_radix_sort_implIS3_Lb0EPKhPhPKlPlN2at6native12_GLOBAL__N_18offset_tEEE10hipError_tPvRmT1_PNSt15iterator_traitsISK_E10value_typeET2_T3_PNSL_ISQ_E10value_typeET4_jRbjT5_SW_jjP12ihipStream_tbEUlT_E2_NS1_11comp_targetILNS1_3genE4ELNS1_11target_archE910ELNS1_3gpuE8ELNS1_3repE0EEENS1_30default_config_static_selectorELNS0_4arch9wavefront6targetE0EEEvSK_,@function
_ZN7rocprim17ROCPRIM_400000_NS6detail17trampoline_kernelINS0_14default_configENS1_36segmented_radix_sort_config_selectorIhlEEZNS1_25segmented_radix_sort_implIS3_Lb0EPKhPhPKlPlN2at6native12_GLOBAL__N_18offset_tEEE10hipError_tPvRmT1_PNSt15iterator_traitsISK_E10value_typeET2_T3_PNSL_ISQ_E10value_typeET4_jRbjT5_SW_jjP12ihipStream_tbEUlT_E2_NS1_11comp_targetILNS1_3genE4ELNS1_11target_archE910ELNS1_3gpuE8ELNS1_3repE0EEENS1_30default_config_static_selectorELNS0_4arch9wavefront6targetE0EEEvSK_: ; @_ZN7rocprim17ROCPRIM_400000_NS6detail17trampoline_kernelINS0_14default_configENS1_36segmented_radix_sort_config_selectorIhlEEZNS1_25segmented_radix_sort_implIS3_Lb0EPKhPhPKlPlN2at6native12_GLOBAL__N_18offset_tEEE10hipError_tPvRmT1_PNSt15iterator_traitsISK_E10value_typeET2_T3_PNSL_ISQ_E10value_typeET4_jRbjT5_SW_jjP12ihipStream_tbEUlT_E2_NS1_11comp_targetILNS1_3genE4ELNS1_11target_archE910ELNS1_3gpuE8ELNS1_3repE0EEENS1_30default_config_static_selectorELNS0_4arch9wavefront6targetE0EEEvSK_
; %bb.0:
	.section	.rodata,"a",@progbits
	.p2align	6, 0x0
	.amdhsa_kernel _ZN7rocprim17ROCPRIM_400000_NS6detail17trampoline_kernelINS0_14default_configENS1_36segmented_radix_sort_config_selectorIhlEEZNS1_25segmented_radix_sort_implIS3_Lb0EPKhPhPKlPlN2at6native12_GLOBAL__N_18offset_tEEE10hipError_tPvRmT1_PNSt15iterator_traitsISK_E10value_typeET2_T3_PNSL_ISQ_E10value_typeET4_jRbjT5_SW_jjP12ihipStream_tbEUlT_E2_NS1_11comp_targetILNS1_3genE4ELNS1_11target_archE910ELNS1_3gpuE8ELNS1_3repE0EEENS1_30default_config_static_selectorELNS0_4arch9wavefront6targetE0EEEvSK_
		.amdhsa_group_segment_fixed_size 0
		.amdhsa_private_segment_fixed_size 0
		.amdhsa_kernarg_size 80
		.amdhsa_user_sgpr_count 2
		.amdhsa_user_sgpr_dispatch_ptr 0
		.amdhsa_user_sgpr_queue_ptr 0
		.amdhsa_user_sgpr_kernarg_segment_ptr 1
		.amdhsa_user_sgpr_dispatch_id 0
		.amdhsa_user_sgpr_kernarg_preload_length 0
		.amdhsa_user_sgpr_kernarg_preload_offset 0
		.amdhsa_user_sgpr_private_segment_size 0
		.amdhsa_wavefront_size32 1
		.amdhsa_uses_dynamic_stack 0
		.amdhsa_enable_private_segment 0
		.amdhsa_system_sgpr_workgroup_id_x 1
		.amdhsa_system_sgpr_workgroup_id_y 0
		.amdhsa_system_sgpr_workgroup_id_z 0
		.amdhsa_system_sgpr_workgroup_info 0
		.amdhsa_system_vgpr_workitem_id 0
		.amdhsa_next_free_vgpr 1
		.amdhsa_next_free_sgpr 1
		.amdhsa_named_barrier_count 0
		.amdhsa_reserve_vcc 0
		.amdhsa_float_round_mode_32 0
		.amdhsa_float_round_mode_16_64 0
		.amdhsa_float_denorm_mode_32 3
		.amdhsa_float_denorm_mode_16_64 3
		.amdhsa_fp16_overflow 0
		.amdhsa_memory_ordered 1
		.amdhsa_forward_progress 1
		.amdhsa_inst_pref_size 0
		.amdhsa_round_robin_scheduling 0
		.amdhsa_exception_fp_ieee_invalid_op 0
		.amdhsa_exception_fp_denorm_src 0
		.amdhsa_exception_fp_ieee_div_zero 0
		.amdhsa_exception_fp_ieee_overflow 0
		.amdhsa_exception_fp_ieee_underflow 0
		.amdhsa_exception_fp_ieee_inexact 0
		.amdhsa_exception_int_div_zero 0
	.end_amdhsa_kernel
	.section	.text._ZN7rocprim17ROCPRIM_400000_NS6detail17trampoline_kernelINS0_14default_configENS1_36segmented_radix_sort_config_selectorIhlEEZNS1_25segmented_radix_sort_implIS3_Lb0EPKhPhPKlPlN2at6native12_GLOBAL__N_18offset_tEEE10hipError_tPvRmT1_PNSt15iterator_traitsISK_E10value_typeET2_T3_PNSL_ISQ_E10value_typeET4_jRbjT5_SW_jjP12ihipStream_tbEUlT_E2_NS1_11comp_targetILNS1_3genE4ELNS1_11target_archE910ELNS1_3gpuE8ELNS1_3repE0EEENS1_30default_config_static_selectorELNS0_4arch9wavefront6targetE0EEEvSK_,"axG",@progbits,_ZN7rocprim17ROCPRIM_400000_NS6detail17trampoline_kernelINS0_14default_configENS1_36segmented_radix_sort_config_selectorIhlEEZNS1_25segmented_radix_sort_implIS3_Lb0EPKhPhPKlPlN2at6native12_GLOBAL__N_18offset_tEEE10hipError_tPvRmT1_PNSt15iterator_traitsISK_E10value_typeET2_T3_PNSL_ISQ_E10value_typeET4_jRbjT5_SW_jjP12ihipStream_tbEUlT_E2_NS1_11comp_targetILNS1_3genE4ELNS1_11target_archE910ELNS1_3gpuE8ELNS1_3repE0EEENS1_30default_config_static_selectorELNS0_4arch9wavefront6targetE0EEEvSK_,comdat
.Lfunc_end216:
	.size	_ZN7rocprim17ROCPRIM_400000_NS6detail17trampoline_kernelINS0_14default_configENS1_36segmented_radix_sort_config_selectorIhlEEZNS1_25segmented_radix_sort_implIS3_Lb0EPKhPhPKlPlN2at6native12_GLOBAL__N_18offset_tEEE10hipError_tPvRmT1_PNSt15iterator_traitsISK_E10value_typeET2_T3_PNSL_ISQ_E10value_typeET4_jRbjT5_SW_jjP12ihipStream_tbEUlT_E2_NS1_11comp_targetILNS1_3genE4ELNS1_11target_archE910ELNS1_3gpuE8ELNS1_3repE0EEENS1_30default_config_static_selectorELNS0_4arch9wavefront6targetE0EEEvSK_, .Lfunc_end216-_ZN7rocprim17ROCPRIM_400000_NS6detail17trampoline_kernelINS0_14default_configENS1_36segmented_radix_sort_config_selectorIhlEEZNS1_25segmented_radix_sort_implIS3_Lb0EPKhPhPKlPlN2at6native12_GLOBAL__N_18offset_tEEE10hipError_tPvRmT1_PNSt15iterator_traitsISK_E10value_typeET2_T3_PNSL_ISQ_E10value_typeET4_jRbjT5_SW_jjP12ihipStream_tbEUlT_E2_NS1_11comp_targetILNS1_3genE4ELNS1_11target_archE910ELNS1_3gpuE8ELNS1_3repE0EEENS1_30default_config_static_selectorELNS0_4arch9wavefront6targetE0EEEvSK_
                                        ; -- End function
	.set _ZN7rocprim17ROCPRIM_400000_NS6detail17trampoline_kernelINS0_14default_configENS1_36segmented_radix_sort_config_selectorIhlEEZNS1_25segmented_radix_sort_implIS3_Lb0EPKhPhPKlPlN2at6native12_GLOBAL__N_18offset_tEEE10hipError_tPvRmT1_PNSt15iterator_traitsISK_E10value_typeET2_T3_PNSL_ISQ_E10value_typeET4_jRbjT5_SW_jjP12ihipStream_tbEUlT_E2_NS1_11comp_targetILNS1_3genE4ELNS1_11target_archE910ELNS1_3gpuE8ELNS1_3repE0EEENS1_30default_config_static_selectorELNS0_4arch9wavefront6targetE0EEEvSK_.num_vgpr, 0
	.set _ZN7rocprim17ROCPRIM_400000_NS6detail17trampoline_kernelINS0_14default_configENS1_36segmented_radix_sort_config_selectorIhlEEZNS1_25segmented_radix_sort_implIS3_Lb0EPKhPhPKlPlN2at6native12_GLOBAL__N_18offset_tEEE10hipError_tPvRmT1_PNSt15iterator_traitsISK_E10value_typeET2_T3_PNSL_ISQ_E10value_typeET4_jRbjT5_SW_jjP12ihipStream_tbEUlT_E2_NS1_11comp_targetILNS1_3genE4ELNS1_11target_archE910ELNS1_3gpuE8ELNS1_3repE0EEENS1_30default_config_static_selectorELNS0_4arch9wavefront6targetE0EEEvSK_.num_agpr, 0
	.set _ZN7rocprim17ROCPRIM_400000_NS6detail17trampoline_kernelINS0_14default_configENS1_36segmented_radix_sort_config_selectorIhlEEZNS1_25segmented_radix_sort_implIS3_Lb0EPKhPhPKlPlN2at6native12_GLOBAL__N_18offset_tEEE10hipError_tPvRmT1_PNSt15iterator_traitsISK_E10value_typeET2_T3_PNSL_ISQ_E10value_typeET4_jRbjT5_SW_jjP12ihipStream_tbEUlT_E2_NS1_11comp_targetILNS1_3genE4ELNS1_11target_archE910ELNS1_3gpuE8ELNS1_3repE0EEENS1_30default_config_static_selectorELNS0_4arch9wavefront6targetE0EEEvSK_.numbered_sgpr, 0
	.set _ZN7rocprim17ROCPRIM_400000_NS6detail17trampoline_kernelINS0_14default_configENS1_36segmented_radix_sort_config_selectorIhlEEZNS1_25segmented_radix_sort_implIS3_Lb0EPKhPhPKlPlN2at6native12_GLOBAL__N_18offset_tEEE10hipError_tPvRmT1_PNSt15iterator_traitsISK_E10value_typeET2_T3_PNSL_ISQ_E10value_typeET4_jRbjT5_SW_jjP12ihipStream_tbEUlT_E2_NS1_11comp_targetILNS1_3genE4ELNS1_11target_archE910ELNS1_3gpuE8ELNS1_3repE0EEENS1_30default_config_static_selectorELNS0_4arch9wavefront6targetE0EEEvSK_.num_named_barrier, 0
	.set _ZN7rocprim17ROCPRIM_400000_NS6detail17trampoline_kernelINS0_14default_configENS1_36segmented_radix_sort_config_selectorIhlEEZNS1_25segmented_radix_sort_implIS3_Lb0EPKhPhPKlPlN2at6native12_GLOBAL__N_18offset_tEEE10hipError_tPvRmT1_PNSt15iterator_traitsISK_E10value_typeET2_T3_PNSL_ISQ_E10value_typeET4_jRbjT5_SW_jjP12ihipStream_tbEUlT_E2_NS1_11comp_targetILNS1_3genE4ELNS1_11target_archE910ELNS1_3gpuE8ELNS1_3repE0EEENS1_30default_config_static_selectorELNS0_4arch9wavefront6targetE0EEEvSK_.private_seg_size, 0
	.set _ZN7rocprim17ROCPRIM_400000_NS6detail17trampoline_kernelINS0_14default_configENS1_36segmented_radix_sort_config_selectorIhlEEZNS1_25segmented_radix_sort_implIS3_Lb0EPKhPhPKlPlN2at6native12_GLOBAL__N_18offset_tEEE10hipError_tPvRmT1_PNSt15iterator_traitsISK_E10value_typeET2_T3_PNSL_ISQ_E10value_typeET4_jRbjT5_SW_jjP12ihipStream_tbEUlT_E2_NS1_11comp_targetILNS1_3genE4ELNS1_11target_archE910ELNS1_3gpuE8ELNS1_3repE0EEENS1_30default_config_static_selectorELNS0_4arch9wavefront6targetE0EEEvSK_.uses_vcc, 0
	.set _ZN7rocprim17ROCPRIM_400000_NS6detail17trampoline_kernelINS0_14default_configENS1_36segmented_radix_sort_config_selectorIhlEEZNS1_25segmented_radix_sort_implIS3_Lb0EPKhPhPKlPlN2at6native12_GLOBAL__N_18offset_tEEE10hipError_tPvRmT1_PNSt15iterator_traitsISK_E10value_typeET2_T3_PNSL_ISQ_E10value_typeET4_jRbjT5_SW_jjP12ihipStream_tbEUlT_E2_NS1_11comp_targetILNS1_3genE4ELNS1_11target_archE910ELNS1_3gpuE8ELNS1_3repE0EEENS1_30default_config_static_selectorELNS0_4arch9wavefront6targetE0EEEvSK_.uses_flat_scratch, 0
	.set _ZN7rocprim17ROCPRIM_400000_NS6detail17trampoline_kernelINS0_14default_configENS1_36segmented_radix_sort_config_selectorIhlEEZNS1_25segmented_radix_sort_implIS3_Lb0EPKhPhPKlPlN2at6native12_GLOBAL__N_18offset_tEEE10hipError_tPvRmT1_PNSt15iterator_traitsISK_E10value_typeET2_T3_PNSL_ISQ_E10value_typeET4_jRbjT5_SW_jjP12ihipStream_tbEUlT_E2_NS1_11comp_targetILNS1_3genE4ELNS1_11target_archE910ELNS1_3gpuE8ELNS1_3repE0EEENS1_30default_config_static_selectorELNS0_4arch9wavefront6targetE0EEEvSK_.has_dyn_sized_stack, 0
	.set _ZN7rocprim17ROCPRIM_400000_NS6detail17trampoline_kernelINS0_14default_configENS1_36segmented_radix_sort_config_selectorIhlEEZNS1_25segmented_radix_sort_implIS3_Lb0EPKhPhPKlPlN2at6native12_GLOBAL__N_18offset_tEEE10hipError_tPvRmT1_PNSt15iterator_traitsISK_E10value_typeET2_T3_PNSL_ISQ_E10value_typeET4_jRbjT5_SW_jjP12ihipStream_tbEUlT_E2_NS1_11comp_targetILNS1_3genE4ELNS1_11target_archE910ELNS1_3gpuE8ELNS1_3repE0EEENS1_30default_config_static_selectorELNS0_4arch9wavefront6targetE0EEEvSK_.has_recursion, 0
	.set _ZN7rocprim17ROCPRIM_400000_NS6detail17trampoline_kernelINS0_14default_configENS1_36segmented_radix_sort_config_selectorIhlEEZNS1_25segmented_radix_sort_implIS3_Lb0EPKhPhPKlPlN2at6native12_GLOBAL__N_18offset_tEEE10hipError_tPvRmT1_PNSt15iterator_traitsISK_E10value_typeET2_T3_PNSL_ISQ_E10value_typeET4_jRbjT5_SW_jjP12ihipStream_tbEUlT_E2_NS1_11comp_targetILNS1_3genE4ELNS1_11target_archE910ELNS1_3gpuE8ELNS1_3repE0EEENS1_30default_config_static_selectorELNS0_4arch9wavefront6targetE0EEEvSK_.has_indirect_call, 0
	.section	.AMDGPU.csdata,"",@progbits
; Kernel info:
; codeLenInByte = 0
; TotalNumSgprs: 0
; NumVgprs: 0
; ScratchSize: 0
; MemoryBound: 0
; FloatMode: 240
; IeeeMode: 1
; LDSByteSize: 0 bytes/workgroup (compile time only)
; SGPRBlocks: 0
; VGPRBlocks: 0
; NumSGPRsForWavesPerEU: 1
; NumVGPRsForWavesPerEU: 1
; NamedBarCnt: 0
; Occupancy: 16
; WaveLimiterHint : 0
; COMPUTE_PGM_RSRC2:SCRATCH_EN: 0
; COMPUTE_PGM_RSRC2:USER_SGPR: 2
; COMPUTE_PGM_RSRC2:TRAP_HANDLER: 0
; COMPUTE_PGM_RSRC2:TGID_X_EN: 1
; COMPUTE_PGM_RSRC2:TGID_Y_EN: 0
; COMPUTE_PGM_RSRC2:TGID_Z_EN: 0
; COMPUTE_PGM_RSRC2:TIDIG_COMP_CNT: 0
	.section	.text._ZN7rocprim17ROCPRIM_400000_NS6detail17trampoline_kernelINS0_14default_configENS1_36segmented_radix_sort_config_selectorIhlEEZNS1_25segmented_radix_sort_implIS3_Lb0EPKhPhPKlPlN2at6native12_GLOBAL__N_18offset_tEEE10hipError_tPvRmT1_PNSt15iterator_traitsISK_E10value_typeET2_T3_PNSL_ISQ_E10value_typeET4_jRbjT5_SW_jjP12ihipStream_tbEUlT_E2_NS1_11comp_targetILNS1_3genE3ELNS1_11target_archE908ELNS1_3gpuE7ELNS1_3repE0EEENS1_30default_config_static_selectorELNS0_4arch9wavefront6targetE0EEEvSK_,"axG",@progbits,_ZN7rocprim17ROCPRIM_400000_NS6detail17trampoline_kernelINS0_14default_configENS1_36segmented_radix_sort_config_selectorIhlEEZNS1_25segmented_radix_sort_implIS3_Lb0EPKhPhPKlPlN2at6native12_GLOBAL__N_18offset_tEEE10hipError_tPvRmT1_PNSt15iterator_traitsISK_E10value_typeET2_T3_PNSL_ISQ_E10value_typeET4_jRbjT5_SW_jjP12ihipStream_tbEUlT_E2_NS1_11comp_targetILNS1_3genE3ELNS1_11target_archE908ELNS1_3gpuE7ELNS1_3repE0EEENS1_30default_config_static_selectorELNS0_4arch9wavefront6targetE0EEEvSK_,comdat
	.globl	_ZN7rocprim17ROCPRIM_400000_NS6detail17trampoline_kernelINS0_14default_configENS1_36segmented_radix_sort_config_selectorIhlEEZNS1_25segmented_radix_sort_implIS3_Lb0EPKhPhPKlPlN2at6native12_GLOBAL__N_18offset_tEEE10hipError_tPvRmT1_PNSt15iterator_traitsISK_E10value_typeET2_T3_PNSL_ISQ_E10value_typeET4_jRbjT5_SW_jjP12ihipStream_tbEUlT_E2_NS1_11comp_targetILNS1_3genE3ELNS1_11target_archE908ELNS1_3gpuE7ELNS1_3repE0EEENS1_30default_config_static_selectorELNS0_4arch9wavefront6targetE0EEEvSK_ ; -- Begin function _ZN7rocprim17ROCPRIM_400000_NS6detail17trampoline_kernelINS0_14default_configENS1_36segmented_radix_sort_config_selectorIhlEEZNS1_25segmented_radix_sort_implIS3_Lb0EPKhPhPKlPlN2at6native12_GLOBAL__N_18offset_tEEE10hipError_tPvRmT1_PNSt15iterator_traitsISK_E10value_typeET2_T3_PNSL_ISQ_E10value_typeET4_jRbjT5_SW_jjP12ihipStream_tbEUlT_E2_NS1_11comp_targetILNS1_3genE3ELNS1_11target_archE908ELNS1_3gpuE7ELNS1_3repE0EEENS1_30default_config_static_selectorELNS0_4arch9wavefront6targetE0EEEvSK_
	.p2align	8
	.type	_ZN7rocprim17ROCPRIM_400000_NS6detail17trampoline_kernelINS0_14default_configENS1_36segmented_radix_sort_config_selectorIhlEEZNS1_25segmented_radix_sort_implIS3_Lb0EPKhPhPKlPlN2at6native12_GLOBAL__N_18offset_tEEE10hipError_tPvRmT1_PNSt15iterator_traitsISK_E10value_typeET2_T3_PNSL_ISQ_E10value_typeET4_jRbjT5_SW_jjP12ihipStream_tbEUlT_E2_NS1_11comp_targetILNS1_3genE3ELNS1_11target_archE908ELNS1_3gpuE7ELNS1_3repE0EEENS1_30default_config_static_selectorELNS0_4arch9wavefront6targetE0EEEvSK_,@function
_ZN7rocprim17ROCPRIM_400000_NS6detail17trampoline_kernelINS0_14default_configENS1_36segmented_radix_sort_config_selectorIhlEEZNS1_25segmented_radix_sort_implIS3_Lb0EPKhPhPKlPlN2at6native12_GLOBAL__N_18offset_tEEE10hipError_tPvRmT1_PNSt15iterator_traitsISK_E10value_typeET2_T3_PNSL_ISQ_E10value_typeET4_jRbjT5_SW_jjP12ihipStream_tbEUlT_E2_NS1_11comp_targetILNS1_3genE3ELNS1_11target_archE908ELNS1_3gpuE7ELNS1_3repE0EEENS1_30default_config_static_selectorELNS0_4arch9wavefront6targetE0EEEvSK_: ; @_ZN7rocprim17ROCPRIM_400000_NS6detail17trampoline_kernelINS0_14default_configENS1_36segmented_radix_sort_config_selectorIhlEEZNS1_25segmented_radix_sort_implIS3_Lb0EPKhPhPKlPlN2at6native12_GLOBAL__N_18offset_tEEE10hipError_tPvRmT1_PNSt15iterator_traitsISK_E10value_typeET2_T3_PNSL_ISQ_E10value_typeET4_jRbjT5_SW_jjP12ihipStream_tbEUlT_E2_NS1_11comp_targetILNS1_3genE3ELNS1_11target_archE908ELNS1_3gpuE7ELNS1_3repE0EEENS1_30default_config_static_selectorELNS0_4arch9wavefront6targetE0EEEvSK_
; %bb.0:
	.section	.rodata,"a",@progbits
	.p2align	6, 0x0
	.amdhsa_kernel _ZN7rocprim17ROCPRIM_400000_NS6detail17trampoline_kernelINS0_14default_configENS1_36segmented_radix_sort_config_selectorIhlEEZNS1_25segmented_radix_sort_implIS3_Lb0EPKhPhPKlPlN2at6native12_GLOBAL__N_18offset_tEEE10hipError_tPvRmT1_PNSt15iterator_traitsISK_E10value_typeET2_T3_PNSL_ISQ_E10value_typeET4_jRbjT5_SW_jjP12ihipStream_tbEUlT_E2_NS1_11comp_targetILNS1_3genE3ELNS1_11target_archE908ELNS1_3gpuE7ELNS1_3repE0EEENS1_30default_config_static_selectorELNS0_4arch9wavefront6targetE0EEEvSK_
		.amdhsa_group_segment_fixed_size 0
		.amdhsa_private_segment_fixed_size 0
		.amdhsa_kernarg_size 80
		.amdhsa_user_sgpr_count 2
		.amdhsa_user_sgpr_dispatch_ptr 0
		.amdhsa_user_sgpr_queue_ptr 0
		.amdhsa_user_sgpr_kernarg_segment_ptr 1
		.amdhsa_user_sgpr_dispatch_id 0
		.amdhsa_user_sgpr_kernarg_preload_length 0
		.amdhsa_user_sgpr_kernarg_preload_offset 0
		.amdhsa_user_sgpr_private_segment_size 0
		.amdhsa_wavefront_size32 1
		.amdhsa_uses_dynamic_stack 0
		.amdhsa_enable_private_segment 0
		.amdhsa_system_sgpr_workgroup_id_x 1
		.amdhsa_system_sgpr_workgroup_id_y 0
		.amdhsa_system_sgpr_workgroup_id_z 0
		.amdhsa_system_sgpr_workgroup_info 0
		.amdhsa_system_vgpr_workitem_id 0
		.amdhsa_next_free_vgpr 1
		.amdhsa_next_free_sgpr 1
		.amdhsa_named_barrier_count 0
		.amdhsa_reserve_vcc 0
		.amdhsa_float_round_mode_32 0
		.amdhsa_float_round_mode_16_64 0
		.amdhsa_float_denorm_mode_32 3
		.amdhsa_float_denorm_mode_16_64 3
		.amdhsa_fp16_overflow 0
		.amdhsa_memory_ordered 1
		.amdhsa_forward_progress 1
		.amdhsa_inst_pref_size 0
		.amdhsa_round_robin_scheduling 0
		.amdhsa_exception_fp_ieee_invalid_op 0
		.amdhsa_exception_fp_denorm_src 0
		.amdhsa_exception_fp_ieee_div_zero 0
		.amdhsa_exception_fp_ieee_overflow 0
		.amdhsa_exception_fp_ieee_underflow 0
		.amdhsa_exception_fp_ieee_inexact 0
		.amdhsa_exception_int_div_zero 0
	.end_amdhsa_kernel
	.section	.text._ZN7rocprim17ROCPRIM_400000_NS6detail17trampoline_kernelINS0_14default_configENS1_36segmented_radix_sort_config_selectorIhlEEZNS1_25segmented_radix_sort_implIS3_Lb0EPKhPhPKlPlN2at6native12_GLOBAL__N_18offset_tEEE10hipError_tPvRmT1_PNSt15iterator_traitsISK_E10value_typeET2_T3_PNSL_ISQ_E10value_typeET4_jRbjT5_SW_jjP12ihipStream_tbEUlT_E2_NS1_11comp_targetILNS1_3genE3ELNS1_11target_archE908ELNS1_3gpuE7ELNS1_3repE0EEENS1_30default_config_static_selectorELNS0_4arch9wavefront6targetE0EEEvSK_,"axG",@progbits,_ZN7rocprim17ROCPRIM_400000_NS6detail17trampoline_kernelINS0_14default_configENS1_36segmented_radix_sort_config_selectorIhlEEZNS1_25segmented_radix_sort_implIS3_Lb0EPKhPhPKlPlN2at6native12_GLOBAL__N_18offset_tEEE10hipError_tPvRmT1_PNSt15iterator_traitsISK_E10value_typeET2_T3_PNSL_ISQ_E10value_typeET4_jRbjT5_SW_jjP12ihipStream_tbEUlT_E2_NS1_11comp_targetILNS1_3genE3ELNS1_11target_archE908ELNS1_3gpuE7ELNS1_3repE0EEENS1_30default_config_static_selectorELNS0_4arch9wavefront6targetE0EEEvSK_,comdat
.Lfunc_end217:
	.size	_ZN7rocprim17ROCPRIM_400000_NS6detail17trampoline_kernelINS0_14default_configENS1_36segmented_radix_sort_config_selectorIhlEEZNS1_25segmented_radix_sort_implIS3_Lb0EPKhPhPKlPlN2at6native12_GLOBAL__N_18offset_tEEE10hipError_tPvRmT1_PNSt15iterator_traitsISK_E10value_typeET2_T3_PNSL_ISQ_E10value_typeET4_jRbjT5_SW_jjP12ihipStream_tbEUlT_E2_NS1_11comp_targetILNS1_3genE3ELNS1_11target_archE908ELNS1_3gpuE7ELNS1_3repE0EEENS1_30default_config_static_selectorELNS0_4arch9wavefront6targetE0EEEvSK_, .Lfunc_end217-_ZN7rocprim17ROCPRIM_400000_NS6detail17trampoline_kernelINS0_14default_configENS1_36segmented_radix_sort_config_selectorIhlEEZNS1_25segmented_radix_sort_implIS3_Lb0EPKhPhPKlPlN2at6native12_GLOBAL__N_18offset_tEEE10hipError_tPvRmT1_PNSt15iterator_traitsISK_E10value_typeET2_T3_PNSL_ISQ_E10value_typeET4_jRbjT5_SW_jjP12ihipStream_tbEUlT_E2_NS1_11comp_targetILNS1_3genE3ELNS1_11target_archE908ELNS1_3gpuE7ELNS1_3repE0EEENS1_30default_config_static_selectorELNS0_4arch9wavefront6targetE0EEEvSK_
                                        ; -- End function
	.set _ZN7rocprim17ROCPRIM_400000_NS6detail17trampoline_kernelINS0_14default_configENS1_36segmented_radix_sort_config_selectorIhlEEZNS1_25segmented_radix_sort_implIS3_Lb0EPKhPhPKlPlN2at6native12_GLOBAL__N_18offset_tEEE10hipError_tPvRmT1_PNSt15iterator_traitsISK_E10value_typeET2_T3_PNSL_ISQ_E10value_typeET4_jRbjT5_SW_jjP12ihipStream_tbEUlT_E2_NS1_11comp_targetILNS1_3genE3ELNS1_11target_archE908ELNS1_3gpuE7ELNS1_3repE0EEENS1_30default_config_static_selectorELNS0_4arch9wavefront6targetE0EEEvSK_.num_vgpr, 0
	.set _ZN7rocprim17ROCPRIM_400000_NS6detail17trampoline_kernelINS0_14default_configENS1_36segmented_radix_sort_config_selectorIhlEEZNS1_25segmented_radix_sort_implIS3_Lb0EPKhPhPKlPlN2at6native12_GLOBAL__N_18offset_tEEE10hipError_tPvRmT1_PNSt15iterator_traitsISK_E10value_typeET2_T3_PNSL_ISQ_E10value_typeET4_jRbjT5_SW_jjP12ihipStream_tbEUlT_E2_NS1_11comp_targetILNS1_3genE3ELNS1_11target_archE908ELNS1_3gpuE7ELNS1_3repE0EEENS1_30default_config_static_selectorELNS0_4arch9wavefront6targetE0EEEvSK_.num_agpr, 0
	.set _ZN7rocprim17ROCPRIM_400000_NS6detail17trampoline_kernelINS0_14default_configENS1_36segmented_radix_sort_config_selectorIhlEEZNS1_25segmented_radix_sort_implIS3_Lb0EPKhPhPKlPlN2at6native12_GLOBAL__N_18offset_tEEE10hipError_tPvRmT1_PNSt15iterator_traitsISK_E10value_typeET2_T3_PNSL_ISQ_E10value_typeET4_jRbjT5_SW_jjP12ihipStream_tbEUlT_E2_NS1_11comp_targetILNS1_3genE3ELNS1_11target_archE908ELNS1_3gpuE7ELNS1_3repE0EEENS1_30default_config_static_selectorELNS0_4arch9wavefront6targetE0EEEvSK_.numbered_sgpr, 0
	.set _ZN7rocprim17ROCPRIM_400000_NS6detail17trampoline_kernelINS0_14default_configENS1_36segmented_radix_sort_config_selectorIhlEEZNS1_25segmented_radix_sort_implIS3_Lb0EPKhPhPKlPlN2at6native12_GLOBAL__N_18offset_tEEE10hipError_tPvRmT1_PNSt15iterator_traitsISK_E10value_typeET2_T3_PNSL_ISQ_E10value_typeET4_jRbjT5_SW_jjP12ihipStream_tbEUlT_E2_NS1_11comp_targetILNS1_3genE3ELNS1_11target_archE908ELNS1_3gpuE7ELNS1_3repE0EEENS1_30default_config_static_selectorELNS0_4arch9wavefront6targetE0EEEvSK_.num_named_barrier, 0
	.set _ZN7rocprim17ROCPRIM_400000_NS6detail17trampoline_kernelINS0_14default_configENS1_36segmented_radix_sort_config_selectorIhlEEZNS1_25segmented_radix_sort_implIS3_Lb0EPKhPhPKlPlN2at6native12_GLOBAL__N_18offset_tEEE10hipError_tPvRmT1_PNSt15iterator_traitsISK_E10value_typeET2_T3_PNSL_ISQ_E10value_typeET4_jRbjT5_SW_jjP12ihipStream_tbEUlT_E2_NS1_11comp_targetILNS1_3genE3ELNS1_11target_archE908ELNS1_3gpuE7ELNS1_3repE0EEENS1_30default_config_static_selectorELNS0_4arch9wavefront6targetE0EEEvSK_.private_seg_size, 0
	.set _ZN7rocprim17ROCPRIM_400000_NS6detail17trampoline_kernelINS0_14default_configENS1_36segmented_radix_sort_config_selectorIhlEEZNS1_25segmented_radix_sort_implIS3_Lb0EPKhPhPKlPlN2at6native12_GLOBAL__N_18offset_tEEE10hipError_tPvRmT1_PNSt15iterator_traitsISK_E10value_typeET2_T3_PNSL_ISQ_E10value_typeET4_jRbjT5_SW_jjP12ihipStream_tbEUlT_E2_NS1_11comp_targetILNS1_3genE3ELNS1_11target_archE908ELNS1_3gpuE7ELNS1_3repE0EEENS1_30default_config_static_selectorELNS0_4arch9wavefront6targetE0EEEvSK_.uses_vcc, 0
	.set _ZN7rocprim17ROCPRIM_400000_NS6detail17trampoline_kernelINS0_14default_configENS1_36segmented_radix_sort_config_selectorIhlEEZNS1_25segmented_radix_sort_implIS3_Lb0EPKhPhPKlPlN2at6native12_GLOBAL__N_18offset_tEEE10hipError_tPvRmT1_PNSt15iterator_traitsISK_E10value_typeET2_T3_PNSL_ISQ_E10value_typeET4_jRbjT5_SW_jjP12ihipStream_tbEUlT_E2_NS1_11comp_targetILNS1_3genE3ELNS1_11target_archE908ELNS1_3gpuE7ELNS1_3repE0EEENS1_30default_config_static_selectorELNS0_4arch9wavefront6targetE0EEEvSK_.uses_flat_scratch, 0
	.set _ZN7rocprim17ROCPRIM_400000_NS6detail17trampoline_kernelINS0_14default_configENS1_36segmented_radix_sort_config_selectorIhlEEZNS1_25segmented_radix_sort_implIS3_Lb0EPKhPhPKlPlN2at6native12_GLOBAL__N_18offset_tEEE10hipError_tPvRmT1_PNSt15iterator_traitsISK_E10value_typeET2_T3_PNSL_ISQ_E10value_typeET4_jRbjT5_SW_jjP12ihipStream_tbEUlT_E2_NS1_11comp_targetILNS1_3genE3ELNS1_11target_archE908ELNS1_3gpuE7ELNS1_3repE0EEENS1_30default_config_static_selectorELNS0_4arch9wavefront6targetE0EEEvSK_.has_dyn_sized_stack, 0
	.set _ZN7rocprim17ROCPRIM_400000_NS6detail17trampoline_kernelINS0_14default_configENS1_36segmented_radix_sort_config_selectorIhlEEZNS1_25segmented_radix_sort_implIS3_Lb0EPKhPhPKlPlN2at6native12_GLOBAL__N_18offset_tEEE10hipError_tPvRmT1_PNSt15iterator_traitsISK_E10value_typeET2_T3_PNSL_ISQ_E10value_typeET4_jRbjT5_SW_jjP12ihipStream_tbEUlT_E2_NS1_11comp_targetILNS1_3genE3ELNS1_11target_archE908ELNS1_3gpuE7ELNS1_3repE0EEENS1_30default_config_static_selectorELNS0_4arch9wavefront6targetE0EEEvSK_.has_recursion, 0
	.set _ZN7rocprim17ROCPRIM_400000_NS6detail17trampoline_kernelINS0_14default_configENS1_36segmented_radix_sort_config_selectorIhlEEZNS1_25segmented_radix_sort_implIS3_Lb0EPKhPhPKlPlN2at6native12_GLOBAL__N_18offset_tEEE10hipError_tPvRmT1_PNSt15iterator_traitsISK_E10value_typeET2_T3_PNSL_ISQ_E10value_typeET4_jRbjT5_SW_jjP12ihipStream_tbEUlT_E2_NS1_11comp_targetILNS1_3genE3ELNS1_11target_archE908ELNS1_3gpuE7ELNS1_3repE0EEENS1_30default_config_static_selectorELNS0_4arch9wavefront6targetE0EEEvSK_.has_indirect_call, 0
	.section	.AMDGPU.csdata,"",@progbits
; Kernel info:
; codeLenInByte = 0
; TotalNumSgprs: 0
; NumVgprs: 0
; ScratchSize: 0
; MemoryBound: 0
; FloatMode: 240
; IeeeMode: 1
; LDSByteSize: 0 bytes/workgroup (compile time only)
; SGPRBlocks: 0
; VGPRBlocks: 0
; NumSGPRsForWavesPerEU: 1
; NumVGPRsForWavesPerEU: 1
; NamedBarCnt: 0
; Occupancy: 16
; WaveLimiterHint : 0
; COMPUTE_PGM_RSRC2:SCRATCH_EN: 0
; COMPUTE_PGM_RSRC2:USER_SGPR: 2
; COMPUTE_PGM_RSRC2:TRAP_HANDLER: 0
; COMPUTE_PGM_RSRC2:TGID_X_EN: 1
; COMPUTE_PGM_RSRC2:TGID_Y_EN: 0
; COMPUTE_PGM_RSRC2:TGID_Z_EN: 0
; COMPUTE_PGM_RSRC2:TIDIG_COMP_CNT: 0
	.section	.text._ZN7rocprim17ROCPRIM_400000_NS6detail17trampoline_kernelINS0_14default_configENS1_36segmented_radix_sort_config_selectorIhlEEZNS1_25segmented_radix_sort_implIS3_Lb0EPKhPhPKlPlN2at6native12_GLOBAL__N_18offset_tEEE10hipError_tPvRmT1_PNSt15iterator_traitsISK_E10value_typeET2_T3_PNSL_ISQ_E10value_typeET4_jRbjT5_SW_jjP12ihipStream_tbEUlT_E2_NS1_11comp_targetILNS1_3genE2ELNS1_11target_archE906ELNS1_3gpuE6ELNS1_3repE0EEENS1_30default_config_static_selectorELNS0_4arch9wavefront6targetE0EEEvSK_,"axG",@progbits,_ZN7rocprim17ROCPRIM_400000_NS6detail17trampoline_kernelINS0_14default_configENS1_36segmented_radix_sort_config_selectorIhlEEZNS1_25segmented_radix_sort_implIS3_Lb0EPKhPhPKlPlN2at6native12_GLOBAL__N_18offset_tEEE10hipError_tPvRmT1_PNSt15iterator_traitsISK_E10value_typeET2_T3_PNSL_ISQ_E10value_typeET4_jRbjT5_SW_jjP12ihipStream_tbEUlT_E2_NS1_11comp_targetILNS1_3genE2ELNS1_11target_archE906ELNS1_3gpuE6ELNS1_3repE0EEENS1_30default_config_static_selectorELNS0_4arch9wavefront6targetE0EEEvSK_,comdat
	.globl	_ZN7rocprim17ROCPRIM_400000_NS6detail17trampoline_kernelINS0_14default_configENS1_36segmented_radix_sort_config_selectorIhlEEZNS1_25segmented_radix_sort_implIS3_Lb0EPKhPhPKlPlN2at6native12_GLOBAL__N_18offset_tEEE10hipError_tPvRmT1_PNSt15iterator_traitsISK_E10value_typeET2_T3_PNSL_ISQ_E10value_typeET4_jRbjT5_SW_jjP12ihipStream_tbEUlT_E2_NS1_11comp_targetILNS1_3genE2ELNS1_11target_archE906ELNS1_3gpuE6ELNS1_3repE0EEENS1_30default_config_static_selectorELNS0_4arch9wavefront6targetE0EEEvSK_ ; -- Begin function _ZN7rocprim17ROCPRIM_400000_NS6detail17trampoline_kernelINS0_14default_configENS1_36segmented_radix_sort_config_selectorIhlEEZNS1_25segmented_radix_sort_implIS3_Lb0EPKhPhPKlPlN2at6native12_GLOBAL__N_18offset_tEEE10hipError_tPvRmT1_PNSt15iterator_traitsISK_E10value_typeET2_T3_PNSL_ISQ_E10value_typeET4_jRbjT5_SW_jjP12ihipStream_tbEUlT_E2_NS1_11comp_targetILNS1_3genE2ELNS1_11target_archE906ELNS1_3gpuE6ELNS1_3repE0EEENS1_30default_config_static_selectorELNS0_4arch9wavefront6targetE0EEEvSK_
	.p2align	8
	.type	_ZN7rocprim17ROCPRIM_400000_NS6detail17trampoline_kernelINS0_14default_configENS1_36segmented_radix_sort_config_selectorIhlEEZNS1_25segmented_radix_sort_implIS3_Lb0EPKhPhPKlPlN2at6native12_GLOBAL__N_18offset_tEEE10hipError_tPvRmT1_PNSt15iterator_traitsISK_E10value_typeET2_T3_PNSL_ISQ_E10value_typeET4_jRbjT5_SW_jjP12ihipStream_tbEUlT_E2_NS1_11comp_targetILNS1_3genE2ELNS1_11target_archE906ELNS1_3gpuE6ELNS1_3repE0EEENS1_30default_config_static_selectorELNS0_4arch9wavefront6targetE0EEEvSK_,@function
_ZN7rocprim17ROCPRIM_400000_NS6detail17trampoline_kernelINS0_14default_configENS1_36segmented_radix_sort_config_selectorIhlEEZNS1_25segmented_radix_sort_implIS3_Lb0EPKhPhPKlPlN2at6native12_GLOBAL__N_18offset_tEEE10hipError_tPvRmT1_PNSt15iterator_traitsISK_E10value_typeET2_T3_PNSL_ISQ_E10value_typeET4_jRbjT5_SW_jjP12ihipStream_tbEUlT_E2_NS1_11comp_targetILNS1_3genE2ELNS1_11target_archE906ELNS1_3gpuE6ELNS1_3repE0EEENS1_30default_config_static_selectorELNS0_4arch9wavefront6targetE0EEEvSK_: ; @_ZN7rocprim17ROCPRIM_400000_NS6detail17trampoline_kernelINS0_14default_configENS1_36segmented_radix_sort_config_selectorIhlEEZNS1_25segmented_radix_sort_implIS3_Lb0EPKhPhPKlPlN2at6native12_GLOBAL__N_18offset_tEEE10hipError_tPvRmT1_PNSt15iterator_traitsISK_E10value_typeET2_T3_PNSL_ISQ_E10value_typeET4_jRbjT5_SW_jjP12ihipStream_tbEUlT_E2_NS1_11comp_targetILNS1_3genE2ELNS1_11target_archE906ELNS1_3gpuE6ELNS1_3repE0EEENS1_30default_config_static_selectorELNS0_4arch9wavefront6targetE0EEEvSK_
; %bb.0:
	.section	.rodata,"a",@progbits
	.p2align	6, 0x0
	.amdhsa_kernel _ZN7rocprim17ROCPRIM_400000_NS6detail17trampoline_kernelINS0_14default_configENS1_36segmented_radix_sort_config_selectorIhlEEZNS1_25segmented_radix_sort_implIS3_Lb0EPKhPhPKlPlN2at6native12_GLOBAL__N_18offset_tEEE10hipError_tPvRmT1_PNSt15iterator_traitsISK_E10value_typeET2_T3_PNSL_ISQ_E10value_typeET4_jRbjT5_SW_jjP12ihipStream_tbEUlT_E2_NS1_11comp_targetILNS1_3genE2ELNS1_11target_archE906ELNS1_3gpuE6ELNS1_3repE0EEENS1_30default_config_static_selectorELNS0_4arch9wavefront6targetE0EEEvSK_
		.amdhsa_group_segment_fixed_size 0
		.amdhsa_private_segment_fixed_size 0
		.amdhsa_kernarg_size 80
		.amdhsa_user_sgpr_count 2
		.amdhsa_user_sgpr_dispatch_ptr 0
		.amdhsa_user_sgpr_queue_ptr 0
		.amdhsa_user_sgpr_kernarg_segment_ptr 1
		.amdhsa_user_sgpr_dispatch_id 0
		.amdhsa_user_sgpr_kernarg_preload_length 0
		.amdhsa_user_sgpr_kernarg_preload_offset 0
		.amdhsa_user_sgpr_private_segment_size 0
		.amdhsa_wavefront_size32 1
		.amdhsa_uses_dynamic_stack 0
		.amdhsa_enable_private_segment 0
		.amdhsa_system_sgpr_workgroup_id_x 1
		.amdhsa_system_sgpr_workgroup_id_y 0
		.amdhsa_system_sgpr_workgroup_id_z 0
		.amdhsa_system_sgpr_workgroup_info 0
		.amdhsa_system_vgpr_workitem_id 0
		.amdhsa_next_free_vgpr 1
		.amdhsa_next_free_sgpr 1
		.amdhsa_named_barrier_count 0
		.amdhsa_reserve_vcc 0
		.amdhsa_float_round_mode_32 0
		.amdhsa_float_round_mode_16_64 0
		.amdhsa_float_denorm_mode_32 3
		.amdhsa_float_denorm_mode_16_64 3
		.amdhsa_fp16_overflow 0
		.amdhsa_memory_ordered 1
		.amdhsa_forward_progress 1
		.amdhsa_inst_pref_size 0
		.amdhsa_round_robin_scheduling 0
		.amdhsa_exception_fp_ieee_invalid_op 0
		.amdhsa_exception_fp_denorm_src 0
		.amdhsa_exception_fp_ieee_div_zero 0
		.amdhsa_exception_fp_ieee_overflow 0
		.amdhsa_exception_fp_ieee_underflow 0
		.amdhsa_exception_fp_ieee_inexact 0
		.amdhsa_exception_int_div_zero 0
	.end_amdhsa_kernel
	.section	.text._ZN7rocprim17ROCPRIM_400000_NS6detail17trampoline_kernelINS0_14default_configENS1_36segmented_radix_sort_config_selectorIhlEEZNS1_25segmented_radix_sort_implIS3_Lb0EPKhPhPKlPlN2at6native12_GLOBAL__N_18offset_tEEE10hipError_tPvRmT1_PNSt15iterator_traitsISK_E10value_typeET2_T3_PNSL_ISQ_E10value_typeET4_jRbjT5_SW_jjP12ihipStream_tbEUlT_E2_NS1_11comp_targetILNS1_3genE2ELNS1_11target_archE906ELNS1_3gpuE6ELNS1_3repE0EEENS1_30default_config_static_selectorELNS0_4arch9wavefront6targetE0EEEvSK_,"axG",@progbits,_ZN7rocprim17ROCPRIM_400000_NS6detail17trampoline_kernelINS0_14default_configENS1_36segmented_radix_sort_config_selectorIhlEEZNS1_25segmented_radix_sort_implIS3_Lb0EPKhPhPKlPlN2at6native12_GLOBAL__N_18offset_tEEE10hipError_tPvRmT1_PNSt15iterator_traitsISK_E10value_typeET2_T3_PNSL_ISQ_E10value_typeET4_jRbjT5_SW_jjP12ihipStream_tbEUlT_E2_NS1_11comp_targetILNS1_3genE2ELNS1_11target_archE906ELNS1_3gpuE6ELNS1_3repE0EEENS1_30default_config_static_selectorELNS0_4arch9wavefront6targetE0EEEvSK_,comdat
.Lfunc_end218:
	.size	_ZN7rocprim17ROCPRIM_400000_NS6detail17trampoline_kernelINS0_14default_configENS1_36segmented_radix_sort_config_selectorIhlEEZNS1_25segmented_radix_sort_implIS3_Lb0EPKhPhPKlPlN2at6native12_GLOBAL__N_18offset_tEEE10hipError_tPvRmT1_PNSt15iterator_traitsISK_E10value_typeET2_T3_PNSL_ISQ_E10value_typeET4_jRbjT5_SW_jjP12ihipStream_tbEUlT_E2_NS1_11comp_targetILNS1_3genE2ELNS1_11target_archE906ELNS1_3gpuE6ELNS1_3repE0EEENS1_30default_config_static_selectorELNS0_4arch9wavefront6targetE0EEEvSK_, .Lfunc_end218-_ZN7rocprim17ROCPRIM_400000_NS6detail17trampoline_kernelINS0_14default_configENS1_36segmented_radix_sort_config_selectorIhlEEZNS1_25segmented_radix_sort_implIS3_Lb0EPKhPhPKlPlN2at6native12_GLOBAL__N_18offset_tEEE10hipError_tPvRmT1_PNSt15iterator_traitsISK_E10value_typeET2_T3_PNSL_ISQ_E10value_typeET4_jRbjT5_SW_jjP12ihipStream_tbEUlT_E2_NS1_11comp_targetILNS1_3genE2ELNS1_11target_archE906ELNS1_3gpuE6ELNS1_3repE0EEENS1_30default_config_static_selectorELNS0_4arch9wavefront6targetE0EEEvSK_
                                        ; -- End function
	.set _ZN7rocprim17ROCPRIM_400000_NS6detail17trampoline_kernelINS0_14default_configENS1_36segmented_radix_sort_config_selectorIhlEEZNS1_25segmented_radix_sort_implIS3_Lb0EPKhPhPKlPlN2at6native12_GLOBAL__N_18offset_tEEE10hipError_tPvRmT1_PNSt15iterator_traitsISK_E10value_typeET2_T3_PNSL_ISQ_E10value_typeET4_jRbjT5_SW_jjP12ihipStream_tbEUlT_E2_NS1_11comp_targetILNS1_3genE2ELNS1_11target_archE906ELNS1_3gpuE6ELNS1_3repE0EEENS1_30default_config_static_selectorELNS0_4arch9wavefront6targetE0EEEvSK_.num_vgpr, 0
	.set _ZN7rocprim17ROCPRIM_400000_NS6detail17trampoline_kernelINS0_14default_configENS1_36segmented_radix_sort_config_selectorIhlEEZNS1_25segmented_radix_sort_implIS3_Lb0EPKhPhPKlPlN2at6native12_GLOBAL__N_18offset_tEEE10hipError_tPvRmT1_PNSt15iterator_traitsISK_E10value_typeET2_T3_PNSL_ISQ_E10value_typeET4_jRbjT5_SW_jjP12ihipStream_tbEUlT_E2_NS1_11comp_targetILNS1_3genE2ELNS1_11target_archE906ELNS1_3gpuE6ELNS1_3repE0EEENS1_30default_config_static_selectorELNS0_4arch9wavefront6targetE0EEEvSK_.num_agpr, 0
	.set _ZN7rocprim17ROCPRIM_400000_NS6detail17trampoline_kernelINS0_14default_configENS1_36segmented_radix_sort_config_selectorIhlEEZNS1_25segmented_radix_sort_implIS3_Lb0EPKhPhPKlPlN2at6native12_GLOBAL__N_18offset_tEEE10hipError_tPvRmT1_PNSt15iterator_traitsISK_E10value_typeET2_T3_PNSL_ISQ_E10value_typeET4_jRbjT5_SW_jjP12ihipStream_tbEUlT_E2_NS1_11comp_targetILNS1_3genE2ELNS1_11target_archE906ELNS1_3gpuE6ELNS1_3repE0EEENS1_30default_config_static_selectorELNS0_4arch9wavefront6targetE0EEEvSK_.numbered_sgpr, 0
	.set _ZN7rocprim17ROCPRIM_400000_NS6detail17trampoline_kernelINS0_14default_configENS1_36segmented_radix_sort_config_selectorIhlEEZNS1_25segmented_radix_sort_implIS3_Lb0EPKhPhPKlPlN2at6native12_GLOBAL__N_18offset_tEEE10hipError_tPvRmT1_PNSt15iterator_traitsISK_E10value_typeET2_T3_PNSL_ISQ_E10value_typeET4_jRbjT5_SW_jjP12ihipStream_tbEUlT_E2_NS1_11comp_targetILNS1_3genE2ELNS1_11target_archE906ELNS1_3gpuE6ELNS1_3repE0EEENS1_30default_config_static_selectorELNS0_4arch9wavefront6targetE0EEEvSK_.num_named_barrier, 0
	.set _ZN7rocprim17ROCPRIM_400000_NS6detail17trampoline_kernelINS0_14default_configENS1_36segmented_radix_sort_config_selectorIhlEEZNS1_25segmented_radix_sort_implIS3_Lb0EPKhPhPKlPlN2at6native12_GLOBAL__N_18offset_tEEE10hipError_tPvRmT1_PNSt15iterator_traitsISK_E10value_typeET2_T3_PNSL_ISQ_E10value_typeET4_jRbjT5_SW_jjP12ihipStream_tbEUlT_E2_NS1_11comp_targetILNS1_3genE2ELNS1_11target_archE906ELNS1_3gpuE6ELNS1_3repE0EEENS1_30default_config_static_selectorELNS0_4arch9wavefront6targetE0EEEvSK_.private_seg_size, 0
	.set _ZN7rocprim17ROCPRIM_400000_NS6detail17trampoline_kernelINS0_14default_configENS1_36segmented_radix_sort_config_selectorIhlEEZNS1_25segmented_radix_sort_implIS3_Lb0EPKhPhPKlPlN2at6native12_GLOBAL__N_18offset_tEEE10hipError_tPvRmT1_PNSt15iterator_traitsISK_E10value_typeET2_T3_PNSL_ISQ_E10value_typeET4_jRbjT5_SW_jjP12ihipStream_tbEUlT_E2_NS1_11comp_targetILNS1_3genE2ELNS1_11target_archE906ELNS1_3gpuE6ELNS1_3repE0EEENS1_30default_config_static_selectorELNS0_4arch9wavefront6targetE0EEEvSK_.uses_vcc, 0
	.set _ZN7rocprim17ROCPRIM_400000_NS6detail17trampoline_kernelINS0_14default_configENS1_36segmented_radix_sort_config_selectorIhlEEZNS1_25segmented_radix_sort_implIS3_Lb0EPKhPhPKlPlN2at6native12_GLOBAL__N_18offset_tEEE10hipError_tPvRmT1_PNSt15iterator_traitsISK_E10value_typeET2_T3_PNSL_ISQ_E10value_typeET4_jRbjT5_SW_jjP12ihipStream_tbEUlT_E2_NS1_11comp_targetILNS1_3genE2ELNS1_11target_archE906ELNS1_3gpuE6ELNS1_3repE0EEENS1_30default_config_static_selectorELNS0_4arch9wavefront6targetE0EEEvSK_.uses_flat_scratch, 0
	.set _ZN7rocprim17ROCPRIM_400000_NS6detail17trampoline_kernelINS0_14default_configENS1_36segmented_radix_sort_config_selectorIhlEEZNS1_25segmented_radix_sort_implIS3_Lb0EPKhPhPKlPlN2at6native12_GLOBAL__N_18offset_tEEE10hipError_tPvRmT1_PNSt15iterator_traitsISK_E10value_typeET2_T3_PNSL_ISQ_E10value_typeET4_jRbjT5_SW_jjP12ihipStream_tbEUlT_E2_NS1_11comp_targetILNS1_3genE2ELNS1_11target_archE906ELNS1_3gpuE6ELNS1_3repE0EEENS1_30default_config_static_selectorELNS0_4arch9wavefront6targetE0EEEvSK_.has_dyn_sized_stack, 0
	.set _ZN7rocprim17ROCPRIM_400000_NS6detail17trampoline_kernelINS0_14default_configENS1_36segmented_radix_sort_config_selectorIhlEEZNS1_25segmented_radix_sort_implIS3_Lb0EPKhPhPKlPlN2at6native12_GLOBAL__N_18offset_tEEE10hipError_tPvRmT1_PNSt15iterator_traitsISK_E10value_typeET2_T3_PNSL_ISQ_E10value_typeET4_jRbjT5_SW_jjP12ihipStream_tbEUlT_E2_NS1_11comp_targetILNS1_3genE2ELNS1_11target_archE906ELNS1_3gpuE6ELNS1_3repE0EEENS1_30default_config_static_selectorELNS0_4arch9wavefront6targetE0EEEvSK_.has_recursion, 0
	.set _ZN7rocprim17ROCPRIM_400000_NS6detail17trampoline_kernelINS0_14default_configENS1_36segmented_radix_sort_config_selectorIhlEEZNS1_25segmented_radix_sort_implIS3_Lb0EPKhPhPKlPlN2at6native12_GLOBAL__N_18offset_tEEE10hipError_tPvRmT1_PNSt15iterator_traitsISK_E10value_typeET2_T3_PNSL_ISQ_E10value_typeET4_jRbjT5_SW_jjP12ihipStream_tbEUlT_E2_NS1_11comp_targetILNS1_3genE2ELNS1_11target_archE906ELNS1_3gpuE6ELNS1_3repE0EEENS1_30default_config_static_selectorELNS0_4arch9wavefront6targetE0EEEvSK_.has_indirect_call, 0
	.section	.AMDGPU.csdata,"",@progbits
; Kernel info:
; codeLenInByte = 0
; TotalNumSgprs: 0
; NumVgprs: 0
; ScratchSize: 0
; MemoryBound: 0
; FloatMode: 240
; IeeeMode: 1
; LDSByteSize: 0 bytes/workgroup (compile time only)
; SGPRBlocks: 0
; VGPRBlocks: 0
; NumSGPRsForWavesPerEU: 1
; NumVGPRsForWavesPerEU: 1
; NamedBarCnt: 0
; Occupancy: 16
; WaveLimiterHint : 0
; COMPUTE_PGM_RSRC2:SCRATCH_EN: 0
; COMPUTE_PGM_RSRC2:USER_SGPR: 2
; COMPUTE_PGM_RSRC2:TRAP_HANDLER: 0
; COMPUTE_PGM_RSRC2:TGID_X_EN: 1
; COMPUTE_PGM_RSRC2:TGID_Y_EN: 0
; COMPUTE_PGM_RSRC2:TGID_Z_EN: 0
; COMPUTE_PGM_RSRC2:TIDIG_COMP_CNT: 0
	.section	.text._ZN7rocprim17ROCPRIM_400000_NS6detail17trampoline_kernelINS0_14default_configENS1_36segmented_radix_sort_config_selectorIhlEEZNS1_25segmented_radix_sort_implIS3_Lb0EPKhPhPKlPlN2at6native12_GLOBAL__N_18offset_tEEE10hipError_tPvRmT1_PNSt15iterator_traitsISK_E10value_typeET2_T3_PNSL_ISQ_E10value_typeET4_jRbjT5_SW_jjP12ihipStream_tbEUlT_E2_NS1_11comp_targetILNS1_3genE10ELNS1_11target_archE1201ELNS1_3gpuE5ELNS1_3repE0EEENS1_30default_config_static_selectorELNS0_4arch9wavefront6targetE0EEEvSK_,"axG",@progbits,_ZN7rocprim17ROCPRIM_400000_NS6detail17trampoline_kernelINS0_14default_configENS1_36segmented_radix_sort_config_selectorIhlEEZNS1_25segmented_radix_sort_implIS3_Lb0EPKhPhPKlPlN2at6native12_GLOBAL__N_18offset_tEEE10hipError_tPvRmT1_PNSt15iterator_traitsISK_E10value_typeET2_T3_PNSL_ISQ_E10value_typeET4_jRbjT5_SW_jjP12ihipStream_tbEUlT_E2_NS1_11comp_targetILNS1_3genE10ELNS1_11target_archE1201ELNS1_3gpuE5ELNS1_3repE0EEENS1_30default_config_static_selectorELNS0_4arch9wavefront6targetE0EEEvSK_,comdat
	.globl	_ZN7rocprim17ROCPRIM_400000_NS6detail17trampoline_kernelINS0_14default_configENS1_36segmented_radix_sort_config_selectorIhlEEZNS1_25segmented_radix_sort_implIS3_Lb0EPKhPhPKlPlN2at6native12_GLOBAL__N_18offset_tEEE10hipError_tPvRmT1_PNSt15iterator_traitsISK_E10value_typeET2_T3_PNSL_ISQ_E10value_typeET4_jRbjT5_SW_jjP12ihipStream_tbEUlT_E2_NS1_11comp_targetILNS1_3genE10ELNS1_11target_archE1201ELNS1_3gpuE5ELNS1_3repE0EEENS1_30default_config_static_selectorELNS0_4arch9wavefront6targetE0EEEvSK_ ; -- Begin function _ZN7rocprim17ROCPRIM_400000_NS6detail17trampoline_kernelINS0_14default_configENS1_36segmented_radix_sort_config_selectorIhlEEZNS1_25segmented_radix_sort_implIS3_Lb0EPKhPhPKlPlN2at6native12_GLOBAL__N_18offset_tEEE10hipError_tPvRmT1_PNSt15iterator_traitsISK_E10value_typeET2_T3_PNSL_ISQ_E10value_typeET4_jRbjT5_SW_jjP12ihipStream_tbEUlT_E2_NS1_11comp_targetILNS1_3genE10ELNS1_11target_archE1201ELNS1_3gpuE5ELNS1_3repE0EEENS1_30default_config_static_selectorELNS0_4arch9wavefront6targetE0EEEvSK_
	.p2align	8
	.type	_ZN7rocprim17ROCPRIM_400000_NS6detail17trampoline_kernelINS0_14default_configENS1_36segmented_radix_sort_config_selectorIhlEEZNS1_25segmented_radix_sort_implIS3_Lb0EPKhPhPKlPlN2at6native12_GLOBAL__N_18offset_tEEE10hipError_tPvRmT1_PNSt15iterator_traitsISK_E10value_typeET2_T3_PNSL_ISQ_E10value_typeET4_jRbjT5_SW_jjP12ihipStream_tbEUlT_E2_NS1_11comp_targetILNS1_3genE10ELNS1_11target_archE1201ELNS1_3gpuE5ELNS1_3repE0EEENS1_30default_config_static_selectorELNS0_4arch9wavefront6targetE0EEEvSK_,@function
_ZN7rocprim17ROCPRIM_400000_NS6detail17trampoline_kernelINS0_14default_configENS1_36segmented_radix_sort_config_selectorIhlEEZNS1_25segmented_radix_sort_implIS3_Lb0EPKhPhPKlPlN2at6native12_GLOBAL__N_18offset_tEEE10hipError_tPvRmT1_PNSt15iterator_traitsISK_E10value_typeET2_T3_PNSL_ISQ_E10value_typeET4_jRbjT5_SW_jjP12ihipStream_tbEUlT_E2_NS1_11comp_targetILNS1_3genE10ELNS1_11target_archE1201ELNS1_3gpuE5ELNS1_3repE0EEENS1_30default_config_static_selectorELNS0_4arch9wavefront6targetE0EEEvSK_: ; @_ZN7rocprim17ROCPRIM_400000_NS6detail17trampoline_kernelINS0_14default_configENS1_36segmented_radix_sort_config_selectorIhlEEZNS1_25segmented_radix_sort_implIS3_Lb0EPKhPhPKlPlN2at6native12_GLOBAL__N_18offset_tEEE10hipError_tPvRmT1_PNSt15iterator_traitsISK_E10value_typeET2_T3_PNSL_ISQ_E10value_typeET4_jRbjT5_SW_jjP12ihipStream_tbEUlT_E2_NS1_11comp_targetILNS1_3genE10ELNS1_11target_archE1201ELNS1_3gpuE5ELNS1_3repE0EEENS1_30default_config_static_selectorELNS0_4arch9wavefront6targetE0EEEvSK_
; %bb.0:
	.section	.rodata,"a",@progbits
	.p2align	6, 0x0
	.amdhsa_kernel _ZN7rocprim17ROCPRIM_400000_NS6detail17trampoline_kernelINS0_14default_configENS1_36segmented_radix_sort_config_selectorIhlEEZNS1_25segmented_radix_sort_implIS3_Lb0EPKhPhPKlPlN2at6native12_GLOBAL__N_18offset_tEEE10hipError_tPvRmT1_PNSt15iterator_traitsISK_E10value_typeET2_T3_PNSL_ISQ_E10value_typeET4_jRbjT5_SW_jjP12ihipStream_tbEUlT_E2_NS1_11comp_targetILNS1_3genE10ELNS1_11target_archE1201ELNS1_3gpuE5ELNS1_3repE0EEENS1_30default_config_static_selectorELNS0_4arch9wavefront6targetE0EEEvSK_
		.amdhsa_group_segment_fixed_size 0
		.amdhsa_private_segment_fixed_size 0
		.amdhsa_kernarg_size 80
		.amdhsa_user_sgpr_count 2
		.amdhsa_user_sgpr_dispatch_ptr 0
		.amdhsa_user_sgpr_queue_ptr 0
		.amdhsa_user_sgpr_kernarg_segment_ptr 1
		.amdhsa_user_sgpr_dispatch_id 0
		.amdhsa_user_sgpr_kernarg_preload_length 0
		.amdhsa_user_sgpr_kernarg_preload_offset 0
		.amdhsa_user_sgpr_private_segment_size 0
		.amdhsa_wavefront_size32 1
		.amdhsa_uses_dynamic_stack 0
		.amdhsa_enable_private_segment 0
		.amdhsa_system_sgpr_workgroup_id_x 1
		.amdhsa_system_sgpr_workgroup_id_y 0
		.amdhsa_system_sgpr_workgroup_id_z 0
		.amdhsa_system_sgpr_workgroup_info 0
		.amdhsa_system_vgpr_workitem_id 0
		.amdhsa_next_free_vgpr 1
		.amdhsa_next_free_sgpr 1
		.amdhsa_named_barrier_count 0
		.amdhsa_reserve_vcc 0
		.amdhsa_float_round_mode_32 0
		.amdhsa_float_round_mode_16_64 0
		.amdhsa_float_denorm_mode_32 3
		.amdhsa_float_denorm_mode_16_64 3
		.amdhsa_fp16_overflow 0
		.amdhsa_memory_ordered 1
		.amdhsa_forward_progress 1
		.amdhsa_inst_pref_size 0
		.amdhsa_round_robin_scheduling 0
		.amdhsa_exception_fp_ieee_invalid_op 0
		.amdhsa_exception_fp_denorm_src 0
		.amdhsa_exception_fp_ieee_div_zero 0
		.amdhsa_exception_fp_ieee_overflow 0
		.amdhsa_exception_fp_ieee_underflow 0
		.amdhsa_exception_fp_ieee_inexact 0
		.amdhsa_exception_int_div_zero 0
	.end_amdhsa_kernel
	.section	.text._ZN7rocprim17ROCPRIM_400000_NS6detail17trampoline_kernelINS0_14default_configENS1_36segmented_radix_sort_config_selectorIhlEEZNS1_25segmented_radix_sort_implIS3_Lb0EPKhPhPKlPlN2at6native12_GLOBAL__N_18offset_tEEE10hipError_tPvRmT1_PNSt15iterator_traitsISK_E10value_typeET2_T3_PNSL_ISQ_E10value_typeET4_jRbjT5_SW_jjP12ihipStream_tbEUlT_E2_NS1_11comp_targetILNS1_3genE10ELNS1_11target_archE1201ELNS1_3gpuE5ELNS1_3repE0EEENS1_30default_config_static_selectorELNS0_4arch9wavefront6targetE0EEEvSK_,"axG",@progbits,_ZN7rocprim17ROCPRIM_400000_NS6detail17trampoline_kernelINS0_14default_configENS1_36segmented_radix_sort_config_selectorIhlEEZNS1_25segmented_radix_sort_implIS3_Lb0EPKhPhPKlPlN2at6native12_GLOBAL__N_18offset_tEEE10hipError_tPvRmT1_PNSt15iterator_traitsISK_E10value_typeET2_T3_PNSL_ISQ_E10value_typeET4_jRbjT5_SW_jjP12ihipStream_tbEUlT_E2_NS1_11comp_targetILNS1_3genE10ELNS1_11target_archE1201ELNS1_3gpuE5ELNS1_3repE0EEENS1_30default_config_static_selectorELNS0_4arch9wavefront6targetE0EEEvSK_,comdat
.Lfunc_end219:
	.size	_ZN7rocprim17ROCPRIM_400000_NS6detail17trampoline_kernelINS0_14default_configENS1_36segmented_radix_sort_config_selectorIhlEEZNS1_25segmented_radix_sort_implIS3_Lb0EPKhPhPKlPlN2at6native12_GLOBAL__N_18offset_tEEE10hipError_tPvRmT1_PNSt15iterator_traitsISK_E10value_typeET2_T3_PNSL_ISQ_E10value_typeET4_jRbjT5_SW_jjP12ihipStream_tbEUlT_E2_NS1_11comp_targetILNS1_3genE10ELNS1_11target_archE1201ELNS1_3gpuE5ELNS1_3repE0EEENS1_30default_config_static_selectorELNS0_4arch9wavefront6targetE0EEEvSK_, .Lfunc_end219-_ZN7rocprim17ROCPRIM_400000_NS6detail17trampoline_kernelINS0_14default_configENS1_36segmented_radix_sort_config_selectorIhlEEZNS1_25segmented_radix_sort_implIS3_Lb0EPKhPhPKlPlN2at6native12_GLOBAL__N_18offset_tEEE10hipError_tPvRmT1_PNSt15iterator_traitsISK_E10value_typeET2_T3_PNSL_ISQ_E10value_typeET4_jRbjT5_SW_jjP12ihipStream_tbEUlT_E2_NS1_11comp_targetILNS1_3genE10ELNS1_11target_archE1201ELNS1_3gpuE5ELNS1_3repE0EEENS1_30default_config_static_selectorELNS0_4arch9wavefront6targetE0EEEvSK_
                                        ; -- End function
	.set _ZN7rocprim17ROCPRIM_400000_NS6detail17trampoline_kernelINS0_14default_configENS1_36segmented_radix_sort_config_selectorIhlEEZNS1_25segmented_radix_sort_implIS3_Lb0EPKhPhPKlPlN2at6native12_GLOBAL__N_18offset_tEEE10hipError_tPvRmT1_PNSt15iterator_traitsISK_E10value_typeET2_T3_PNSL_ISQ_E10value_typeET4_jRbjT5_SW_jjP12ihipStream_tbEUlT_E2_NS1_11comp_targetILNS1_3genE10ELNS1_11target_archE1201ELNS1_3gpuE5ELNS1_3repE0EEENS1_30default_config_static_selectorELNS0_4arch9wavefront6targetE0EEEvSK_.num_vgpr, 0
	.set _ZN7rocprim17ROCPRIM_400000_NS6detail17trampoline_kernelINS0_14default_configENS1_36segmented_radix_sort_config_selectorIhlEEZNS1_25segmented_radix_sort_implIS3_Lb0EPKhPhPKlPlN2at6native12_GLOBAL__N_18offset_tEEE10hipError_tPvRmT1_PNSt15iterator_traitsISK_E10value_typeET2_T3_PNSL_ISQ_E10value_typeET4_jRbjT5_SW_jjP12ihipStream_tbEUlT_E2_NS1_11comp_targetILNS1_3genE10ELNS1_11target_archE1201ELNS1_3gpuE5ELNS1_3repE0EEENS1_30default_config_static_selectorELNS0_4arch9wavefront6targetE0EEEvSK_.num_agpr, 0
	.set _ZN7rocprim17ROCPRIM_400000_NS6detail17trampoline_kernelINS0_14default_configENS1_36segmented_radix_sort_config_selectorIhlEEZNS1_25segmented_radix_sort_implIS3_Lb0EPKhPhPKlPlN2at6native12_GLOBAL__N_18offset_tEEE10hipError_tPvRmT1_PNSt15iterator_traitsISK_E10value_typeET2_T3_PNSL_ISQ_E10value_typeET4_jRbjT5_SW_jjP12ihipStream_tbEUlT_E2_NS1_11comp_targetILNS1_3genE10ELNS1_11target_archE1201ELNS1_3gpuE5ELNS1_3repE0EEENS1_30default_config_static_selectorELNS0_4arch9wavefront6targetE0EEEvSK_.numbered_sgpr, 0
	.set _ZN7rocprim17ROCPRIM_400000_NS6detail17trampoline_kernelINS0_14default_configENS1_36segmented_radix_sort_config_selectorIhlEEZNS1_25segmented_radix_sort_implIS3_Lb0EPKhPhPKlPlN2at6native12_GLOBAL__N_18offset_tEEE10hipError_tPvRmT1_PNSt15iterator_traitsISK_E10value_typeET2_T3_PNSL_ISQ_E10value_typeET4_jRbjT5_SW_jjP12ihipStream_tbEUlT_E2_NS1_11comp_targetILNS1_3genE10ELNS1_11target_archE1201ELNS1_3gpuE5ELNS1_3repE0EEENS1_30default_config_static_selectorELNS0_4arch9wavefront6targetE0EEEvSK_.num_named_barrier, 0
	.set _ZN7rocprim17ROCPRIM_400000_NS6detail17trampoline_kernelINS0_14default_configENS1_36segmented_radix_sort_config_selectorIhlEEZNS1_25segmented_radix_sort_implIS3_Lb0EPKhPhPKlPlN2at6native12_GLOBAL__N_18offset_tEEE10hipError_tPvRmT1_PNSt15iterator_traitsISK_E10value_typeET2_T3_PNSL_ISQ_E10value_typeET4_jRbjT5_SW_jjP12ihipStream_tbEUlT_E2_NS1_11comp_targetILNS1_3genE10ELNS1_11target_archE1201ELNS1_3gpuE5ELNS1_3repE0EEENS1_30default_config_static_selectorELNS0_4arch9wavefront6targetE0EEEvSK_.private_seg_size, 0
	.set _ZN7rocprim17ROCPRIM_400000_NS6detail17trampoline_kernelINS0_14default_configENS1_36segmented_radix_sort_config_selectorIhlEEZNS1_25segmented_radix_sort_implIS3_Lb0EPKhPhPKlPlN2at6native12_GLOBAL__N_18offset_tEEE10hipError_tPvRmT1_PNSt15iterator_traitsISK_E10value_typeET2_T3_PNSL_ISQ_E10value_typeET4_jRbjT5_SW_jjP12ihipStream_tbEUlT_E2_NS1_11comp_targetILNS1_3genE10ELNS1_11target_archE1201ELNS1_3gpuE5ELNS1_3repE0EEENS1_30default_config_static_selectorELNS0_4arch9wavefront6targetE0EEEvSK_.uses_vcc, 0
	.set _ZN7rocprim17ROCPRIM_400000_NS6detail17trampoline_kernelINS0_14default_configENS1_36segmented_radix_sort_config_selectorIhlEEZNS1_25segmented_radix_sort_implIS3_Lb0EPKhPhPKlPlN2at6native12_GLOBAL__N_18offset_tEEE10hipError_tPvRmT1_PNSt15iterator_traitsISK_E10value_typeET2_T3_PNSL_ISQ_E10value_typeET4_jRbjT5_SW_jjP12ihipStream_tbEUlT_E2_NS1_11comp_targetILNS1_3genE10ELNS1_11target_archE1201ELNS1_3gpuE5ELNS1_3repE0EEENS1_30default_config_static_selectorELNS0_4arch9wavefront6targetE0EEEvSK_.uses_flat_scratch, 0
	.set _ZN7rocprim17ROCPRIM_400000_NS6detail17trampoline_kernelINS0_14default_configENS1_36segmented_radix_sort_config_selectorIhlEEZNS1_25segmented_radix_sort_implIS3_Lb0EPKhPhPKlPlN2at6native12_GLOBAL__N_18offset_tEEE10hipError_tPvRmT1_PNSt15iterator_traitsISK_E10value_typeET2_T3_PNSL_ISQ_E10value_typeET4_jRbjT5_SW_jjP12ihipStream_tbEUlT_E2_NS1_11comp_targetILNS1_3genE10ELNS1_11target_archE1201ELNS1_3gpuE5ELNS1_3repE0EEENS1_30default_config_static_selectorELNS0_4arch9wavefront6targetE0EEEvSK_.has_dyn_sized_stack, 0
	.set _ZN7rocprim17ROCPRIM_400000_NS6detail17trampoline_kernelINS0_14default_configENS1_36segmented_radix_sort_config_selectorIhlEEZNS1_25segmented_radix_sort_implIS3_Lb0EPKhPhPKlPlN2at6native12_GLOBAL__N_18offset_tEEE10hipError_tPvRmT1_PNSt15iterator_traitsISK_E10value_typeET2_T3_PNSL_ISQ_E10value_typeET4_jRbjT5_SW_jjP12ihipStream_tbEUlT_E2_NS1_11comp_targetILNS1_3genE10ELNS1_11target_archE1201ELNS1_3gpuE5ELNS1_3repE0EEENS1_30default_config_static_selectorELNS0_4arch9wavefront6targetE0EEEvSK_.has_recursion, 0
	.set _ZN7rocprim17ROCPRIM_400000_NS6detail17trampoline_kernelINS0_14default_configENS1_36segmented_radix_sort_config_selectorIhlEEZNS1_25segmented_radix_sort_implIS3_Lb0EPKhPhPKlPlN2at6native12_GLOBAL__N_18offset_tEEE10hipError_tPvRmT1_PNSt15iterator_traitsISK_E10value_typeET2_T3_PNSL_ISQ_E10value_typeET4_jRbjT5_SW_jjP12ihipStream_tbEUlT_E2_NS1_11comp_targetILNS1_3genE10ELNS1_11target_archE1201ELNS1_3gpuE5ELNS1_3repE0EEENS1_30default_config_static_selectorELNS0_4arch9wavefront6targetE0EEEvSK_.has_indirect_call, 0
	.section	.AMDGPU.csdata,"",@progbits
; Kernel info:
; codeLenInByte = 0
; TotalNumSgprs: 0
; NumVgprs: 0
; ScratchSize: 0
; MemoryBound: 0
; FloatMode: 240
; IeeeMode: 1
; LDSByteSize: 0 bytes/workgroup (compile time only)
; SGPRBlocks: 0
; VGPRBlocks: 0
; NumSGPRsForWavesPerEU: 1
; NumVGPRsForWavesPerEU: 1
; NamedBarCnt: 0
; Occupancy: 16
; WaveLimiterHint : 0
; COMPUTE_PGM_RSRC2:SCRATCH_EN: 0
; COMPUTE_PGM_RSRC2:USER_SGPR: 2
; COMPUTE_PGM_RSRC2:TRAP_HANDLER: 0
; COMPUTE_PGM_RSRC2:TGID_X_EN: 1
; COMPUTE_PGM_RSRC2:TGID_Y_EN: 0
; COMPUTE_PGM_RSRC2:TGID_Z_EN: 0
; COMPUTE_PGM_RSRC2:TIDIG_COMP_CNT: 0
	.section	.text._ZN7rocprim17ROCPRIM_400000_NS6detail17trampoline_kernelINS0_14default_configENS1_36segmented_radix_sort_config_selectorIhlEEZNS1_25segmented_radix_sort_implIS3_Lb0EPKhPhPKlPlN2at6native12_GLOBAL__N_18offset_tEEE10hipError_tPvRmT1_PNSt15iterator_traitsISK_E10value_typeET2_T3_PNSL_ISQ_E10value_typeET4_jRbjT5_SW_jjP12ihipStream_tbEUlT_E2_NS1_11comp_targetILNS1_3genE10ELNS1_11target_archE1200ELNS1_3gpuE4ELNS1_3repE0EEENS1_30default_config_static_selectorELNS0_4arch9wavefront6targetE0EEEvSK_,"axG",@progbits,_ZN7rocprim17ROCPRIM_400000_NS6detail17trampoline_kernelINS0_14default_configENS1_36segmented_radix_sort_config_selectorIhlEEZNS1_25segmented_radix_sort_implIS3_Lb0EPKhPhPKlPlN2at6native12_GLOBAL__N_18offset_tEEE10hipError_tPvRmT1_PNSt15iterator_traitsISK_E10value_typeET2_T3_PNSL_ISQ_E10value_typeET4_jRbjT5_SW_jjP12ihipStream_tbEUlT_E2_NS1_11comp_targetILNS1_3genE10ELNS1_11target_archE1200ELNS1_3gpuE4ELNS1_3repE0EEENS1_30default_config_static_selectorELNS0_4arch9wavefront6targetE0EEEvSK_,comdat
	.globl	_ZN7rocprim17ROCPRIM_400000_NS6detail17trampoline_kernelINS0_14default_configENS1_36segmented_radix_sort_config_selectorIhlEEZNS1_25segmented_radix_sort_implIS3_Lb0EPKhPhPKlPlN2at6native12_GLOBAL__N_18offset_tEEE10hipError_tPvRmT1_PNSt15iterator_traitsISK_E10value_typeET2_T3_PNSL_ISQ_E10value_typeET4_jRbjT5_SW_jjP12ihipStream_tbEUlT_E2_NS1_11comp_targetILNS1_3genE10ELNS1_11target_archE1200ELNS1_3gpuE4ELNS1_3repE0EEENS1_30default_config_static_selectorELNS0_4arch9wavefront6targetE0EEEvSK_ ; -- Begin function _ZN7rocprim17ROCPRIM_400000_NS6detail17trampoline_kernelINS0_14default_configENS1_36segmented_radix_sort_config_selectorIhlEEZNS1_25segmented_radix_sort_implIS3_Lb0EPKhPhPKlPlN2at6native12_GLOBAL__N_18offset_tEEE10hipError_tPvRmT1_PNSt15iterator_traitsISK_E10value_typeET2_T3_PNSL_ISQ_E10value_typeET4_jRbjT5_SW_jjP12ihipStream_tbEUlT_E2_NS1_11comp_targetILNS1_3genE10ELNS1_11target_archE1200ELNS1_3gpuE4ELNS1_3repE0EEENS1_30default_config_static_selectorELNS0_4arch9wavefront6targetE0EEEvSK_
	.p2align	8
	.type	_ZN7rocprim17ROCPRIM_400000_NS6detail17trampoline_kernelINS0_14default_configENS1_36segmented_radix_sort_config_selectorIhlEEZNS1_25segmented_radix_sort_implIS3_Lb0EPKhPhPKlPlN2at6native12_GLOBAL__N_18offset_tEEE10hipError_tPvRmT1_PNSt15iterator_traitsISK_E10value_typeET2_T3_PNSL_ISQ_E10value_typeET4_jRbjT5_SW_jjP12ihipStream_tbEUlT_E2_NS1_11comp_targetILNS1_3genE10ELNS1_11target_archE1200ELNS1_3gpuE4ELNS1_3repE0EEENS1_30default_config_static_selectorELNS0_4arch9wavefront6targetE0EEEvSK_,@function
_ZN7rocprim17ROCPRIM_400000_NS6detail17trampoline_kernelINS0_14default_configENS1_36segmented_radix_sort_config_selectorIhlEEZNS1_25segmented_radix_sort_implIS3_Lb0EPKhPhPKlPlN2at6native12_GLOBAL__N_18offset_tEEE10hipError_tPvRmT1_PNSt15iterator_traitsISK_E10value_typeET2_T3_PNSL_ISQ_E10value_typeET4_jRbjT5_SW_jjP12ihipStream_tbEUlT_E2_NS1_11comp_targetILNS1_3genE10ELNS1_11target_archE1200ELNS1_3gpuE4ELNS1_3repE0EEENS1_30default_config_static_selectorELNS0_4arch9wavefront6targetE0EEEvSK_: ; @_ZN7rocprim17ROCPRIM_400000_NS6detail17trampoline_kernelINS0_14default_configENS1_36segmented_radix_sort_config_selectorIhlEEZNS1_25segmented_radix_sort_implIS3_Lb0EPKhPhPKlPlN2at6native12_GLOBAL__N_18offset_tEEE10hipError_tPvRmT1_PNSt15iterator_traitsISK_E10value_typeET2_T3_PNSL_ISQ_E10value_typeET4_jRbjT5_SW_jjP12ihipStream_tbEUlT_E2_NS1_11comp_targetILNS1_3genE10ELNS1_11target_archE1200ELNS1_3gpuE4ELNS1_3repE0EEENS1_30default_config_static_selectorELNS0_4arch9wavefront6targetE0EEEvSK_
; %bb.0:
	.section	.rodata,"a",@progbits
	.p2align	6, 0x0
	.amdhsa_kernel _ZN7rocprim17ROCPRIM_400000_NS6detail17trampoline_kernelINS0_14default_configENS1_36segmented_radix_sort_config_selectorIhlEEZNS1_25segmented_radix_sort_implIS3_Lb0EPKhPhPKlPlN2at6native12_GLOBAL__N_18offset_tEEE10hipError_tPvRmT1_PNSt15iterator_traitsISK_E10value_typeET2_T3_PNSL_ISQ_E10value_typeET4_jRbjT5_SW_jjP12ihipStream_tbEUlT_E2_NS1_11comp_targetILNS1_3genE10ELNS1_11target_archE1200ELNS1_3gpuE4ELNS1_3repE0EEENS1_30default_config_static_selectorELNS0_4arch9wavefront6targetE0EEEvSK_
		.amdhsa_group_segment_fixed_size 0
		.amdhsa_private_segment_fixed_size 0
		.amdhsa_kernarg_size 80
		.amdhsa_user_sgpr_count 2
		.amdhsa_user_sgpr_dispatch_ptr 0
		.amdhsa_user_sgpr_queue_ptr 0
		.amdhsa_user_sgpr_kernarg_segment_ptr 1
		.amdhsa_user_sgpr_dispatch_id 0
		.amdhsa_user_sgpr_kernarg_preload_length 0
		.amdhsa_user_sgpr_kernarg_preload_offset 0
		.amdhsa_user_sgpr_private_segment_size 0
		.amdhsa_wavefront_size32 1
		.amdhsa_uses_dynamic_stack 0
		.amdhsa_enable_private_segment 0
		.amdhsa_system_sgpr_workgroup_id_x 1
		.amdhsa_system_sgpr_workgroup_id_y 0
		.amdhsa_system_sgpr_workgroup_id_z 0
		.amdhsa_system_sgpr_workgroup_info 0
		.amdhsa_system_vgpr_workitem_id 0
		.amdhsa_next_free_vgpr 1
		.amdhsa_next_free_sgpr 1
		.amdhsa_named_barrier_count 0
		.amdhsa_reserve_vcc 0
		.amdhsa_float_round_mode_32 0
		.amdhsa_float_round_mode_16_64 0
		.amdhsa_float_denorm_mode_32 3
		.amdhsa_float_denorm_mode_16_64 3
		.amdhsa_fp16_overflow 0
		.amdhsa_memory_ordered 1
		.amdhsa_forward_progress 1
		.amdhsa_inst_pref_size 0
		.amdhsa_round_robin_scheduling 0
		.amdhsa_exception_fp_ieee_invalid_op 0
		.amdhsa_exception_fp_denorm_src 0
		.amdhsa_exception_fp_ieee_div_zero 0
		.amdhsa_exception_fp_ieee_overflow 0
		.amdhsa_exception_fp_ieee_underflow 0
		.amdhsa_exception_fp_ieee_inexact 0
		.amdhsa_exception_int_div_zero 0
	.end_amdhsa_kernel
	.section	.text._ZN7rocprim17ROCPRIM_400000_NS6detail17trampoline_kernelINS0_14default_configENS1_36segmented_radix_sort_config_selectorIhlEEZNS1_25segmented_radix_sort_implIS3_Lb0EPKhPhPKlPlN2at6native12_GLOBAL__N_18offset_tEEE10hipError_tPvRmT1_PNSt15iterator_traitsISK_E10value_typeET2_T3_PNSL_ISQ_E10value_typeET4_jRbjT5_SW_jjP12ihipStream_tbEUlT_E2_NS1_11comp_targetILNS1_3genE10ELNS1_11target_archE1200ELNS1_3gpuE4ELNS1_3repE0EEENS1_30default_config_static_selectorELNS0_4arch9wavefront6targetE0EEEvSK_,"axG",@progbits,_ZN7rocprim17ROCPRIM_400000_NS6detail17trampoline_kernelINS0_14default_configENS1_36segmented_radix_sort_config_selectorIhlEEZNS1_25segmented_radix_sort_implIS3_Lb0EPKhPhPKlPlN2at6native12_GLOBAL__N_18offset_tEEE10hipError_tPvRmT1_PNSt15iterator_traitsISK_E10value_typeET2_T3_PNSL_ISQ_E10value_typeET4_jRbjT5_SW_jjP12ihipStream_tbEUlT_E2_NS1_11comp_targetILNS1_3genE10ELNS1_11target_archE1200ELNS1_3gpuE4ELNS1_3repE0EEENS1_30default_config_static_selectorELNS0_4arch9wavefront6targetE0EEEvSK_,comdat
.Lfunc_end220:
	.size	_ZN7rocprim17ROCPRIM_400000_NS6detail17trampoline_kernelINS0_14default_configENS1_36segmented_radix_sort_config_selectorIhlEEZNS1_25segmented_radix_sort_implIS3_Lb0EPKhPhPKlPlN2at6native12_GLOBAL__N_18offset_tEEE10hipError_tPvRmT1_PNSt15iterator_traitsISK_E10value_typeET2_T3_PNSL_ISQ_E10value_typeET4_jRbjT5_SW_jjP12ihipStream_tbEUlT_E2_NS1_11comp_targetILNS1_3genE10ELNS1_11target_archE1200ELNS1_3gpuE4ELNS1_3repE0EEENS1_30default_config_static_selectorELNS0_4arch9wavefront6targetE0EEEvSK_, .Lfunc_end220-_ZN7rocprim17ROCPRIM_400000_NS6detail17trampoline_kernelINS0_14default_configENS1_36segmented_radix_sort_config_selectorIhlEEZNS1_25segmented_radix_sort_implIS3_Lb0EPKhPhPKlPlN2at6native12_GLOBAL__N_18offset_tEEE10hipError_tPvRmT1_PNSt15iterator_traitsISK_E10value_typeET2_T3_PNSL_ISQ_E10value_typeET4_jRbjT5_SW_jjP12ihipStream_tbEUlT_E2_NS1_11comp_targetILNS1_3genE10ELNS1_11target_archE1200ELNS1_3gpuE4ELNS1_3repE0EEENS1_30default_config_static_selectorELNS0_4arch9wavefront6targetE0EEEvSK_
                                        ; -- End function
	.set _ZN7rocprim17ROCPRIM_400000_NS6detail17trampoline_kernelINS0_14default_configENS1_36segmented_radix_sort_config_selectorIhlEEZNS1_25segmented_radix_sort_implIS3_Lb0EPKhPhPKlPlN2at6native12_GLOBAL__N_18offset_tEEE10hipError_tPvRmT1_PNSt15iterator_traitsISK_E10value_typeET2_T3_PNSL_ISQ_E10value_typeET4_jRbjT5_SW_jjP12ihipStream_tbEUlT_E2_NS1_11comp_targetILNS1_3genE10ELNS1_11target_archE1200ELNS1_3gpuE4ELNS1_3repE0EEENS1_30default_config_static_selectorELNS0_4arch9wavefront6targetE0EEEvSK_.num_vgpr, 0
	.set _ZN7rocprim17ROCPRIM_400000_NS6detail17trampoline_kernelINS0_14default_configENS1_36segmented_radix_sort_config_selectorIhlEEZNS1_25segmented_radix_sort_implIS3_Lb0EPKhPhPKlPlN2at6native12_GLOBAL__N_18offset_tEEE10hipError_tPvRmT1_PNSt15iterator_traitsISK_E10value_typeET2_T3_PNSL_ISQ_E10value_typeET4_jRbjT5_SW_jjP12ihipStream_tbEUlT_E2_NS1_11comp_targetILNS1_3genE10ELNS1_11target_archE1200ELNS1_3gpuE4ELNS1_3repE0EEENS1_30default_config_static_selectorELNS0_4arch9wavefront6targetE0EEEvSK_.num_agpr, 0
	.set _ZN7rocprim17ROCPRIM_400000_NS6detail17trampoline_kernelINS0_14default_configENS1_36segmented_radix_sort_config_selectorIhlEEZNS1_25segmented_radix_sort_implIS3_Lb0EPKhPhPKlPlN2at6native12_GLOBAL__N_18offset_tEEE10hipError_tPvRmT1_PNSt15iterator_traitsISK_E10value_typeET2_T3_PNSL_ISQ_E10value_typeET4_jRbjT5_SW_jjP12ihipStream_tbEUlT_E2_NS1_11comp_targetILNS1_3genE10ELNS1_11target_archE1200ELNS1_3gpuE4ELNS1_3repE0EEENS1_30default_config_static_selectorELNS0_4arch9wavefront6targetE0EEEvSK_.numbered_sgpr, 0
	.set _ZN7rocprim17ROCPRIM_400000_NS6detail17trampoline_kernelINS0_14default_configENS1_36segmented_radix_sort_config_selectorIhlEEZNS1_25segmented_radix_sort_implIS3_Lb0EPKhPhPKlPlN2at6native12_GLOBAL__N_18offset_tEEE10hipError_tPvRmT1_PNSt15iterator_traitsISK_E10value_typeET2_T3_PNSL_ISQ_E10value_typeET4_jRbjT5_SW_jjP12ihipStream_tbEUlT_E2_NS1_11comp_targetILNS1_3genE10ELNS1_11target_archE1200ELNS1_3gpuE4ELNS1_3repE0EEENS1_30default_config_static_selectorELNS0_4arch9wavefront6targetE0EEEvSK_.num_named_barrier, 0
	.set _ZN7rocprim17ROCPRIM_400000_NS6detail17trampoline_kernelINS0_14default_configENS1_36segmented_radix_sort_config_selectorIhlEEZNS1_25segmented_radix_sort_implIS3_Lb0EPKhPhPKlPlN2at6native12_GLOBAL__N_18offset_tEEE10hipError_tPvRmT1_PNSt15iterator_traitsISK_E10value_typeET2_T3_PNSL_ISQ_E10value_typeET4_jRbjT5_SW_jjP12ihipStream_tbEUlT_E2_NS1_11comp_targetILNS1_3genE10ELNS1_11target_archE1200ELNS1_3gpuE4ELNS1_3repE0EEENS1_30default_config_static_selectorELNS0_4arch9wavefront6targetE0EEEvSK_.private_seg_size, 0
	.set _ZN7rocprim17ROCPRIM_400000_NS6detail17trampoline_kernelINS0_14default_configENS1_36segmented_radix_sort_config_selectorIhlEEZNS1_25segmented_radix_sort_implIS3_Lb0EPKhPhPKlPlN2at6native12_GLOBAL__N_18offset_tEEE10hipError_tPvRmT1_PNSt15iterator_traitsISK_E10value_typeET2_T3_PNSL_ISQ_E10value_typeET4_jRbjT5_SW_jjP12ihipStream_tbEUlT_E2_NS1_11comp_targetILNS1_3genE10ELNS1_11target_archE1200ELNS1_3gpuE4ELNS1_3repE0EEENS1_30default_config_static_selectorELNS0_4arch9wavefront6targetE0EEEvSK_.uses_vcc, 0
	.set _ZN7rocprim17ROCPRIM_400000_NS6detail17trampoline_kernelINS0_14default_configENS1_36segmented_radix_sort_config_selectorIhlEEZNS1_25segmented_radix_sort_implIS3_Lb0EPKhPhPKlPlN2at6native12_GLOBAL__N_18offset_tEEE10hipError_tPvRmT1_PNSt15iterator_traitsISK_E10value_typeET2_T3_PNSL_ISQ_E10value_typeET4_jRbjT5_SW_jjP12ihipStream_tbEUlT_E2_NS1_11comp_targetILNS1_3genE10ELNS1_11target_archE1200ELNS1_3gpuE4ELNS1_3repE0EEENS1_30default_config_static_selectorELNS0_4arch9wavefront6targetE0EEEvSK_.uses_flat_scratch, 0
	.set _ZN7rocprim17ROCPRIM_400000_NS6detail17trampoline_kernelINS0_14default_configENS1_36segmented_radix_sort_config_selectorIhlEEZNS1_25segmented_radix_sort_implIS3_Lb0EPKhPhPKlPlN2at6native12_GLOBAL__N_18offset_tEEE10hipError_tPvRmT1_PNSt15iterator_traitsISK_E10value_typeET2_T3_PNSL_ISQ_E10value_typeET4_jRbjT5_SW_jjP12ihipStream_tbEUlT_E2_NS1_11comp_targetILNS1_3genE10ELNS1_11target_archE1200ELNS1_3gpuE4ELNS1_3repE0EEENS1_30default_config_static_selectorELNS0_4arch9wavefront6targetE0EEEvSK_.has_dyn_sized_stack, 0
	.set _ZN7rocprim17ROCPRIM_400000_NS6detail17trampoline_kernelINS0_14default_configENS1_36segmented_radix_sort_config_selectorIhlEEZNS1_25segmented_radix_sort_implIS3_Lb0EPKhPhPKlPlN2at6native12_GLOBAL__N_18offset_tEEE10hipError_tPvRmT1_PNSt15iterator_traitsISK_E10value_typeET2_T3_PNSL_ISQ_E10value_typeET4_jRbjT5_SW_jjP12ihipStream_tbEUlT_E2_NS1_11comp_targetILNS1_3genE10ELNS1_11target_archE1200ELNS1_3gpuE4ELNS1_3repE0EEENS1_30default_config_static_selectorELNS0_4arch9wavefront6targetE0EEEvSK_.has_recursion, 0
	.set _ZN7rocprim17ROCPRIM_400000_NS6detail17trampoline_kernelINS0_14default_configENS1_36segmented_radix_sort_config_selectorIhlEEZNS1_25segmented_radix_sort_implIS3_Lb0EPKhPhPKlPlN2at6native12_GLOBAL__N_18offset_tEEE10hipError_tPvRmT1_PNSt15iterator_traitsISK_E10value_typeET2_T3_PNSL_ISQ_E10value_typeET4_jRbjT5_SW_jjP12ihipStream_tbEUlT_E2_NS1_11comp_targetILNS1_3genE10ELNS1_11target_archE1200ELNS1_3gpuE4ELNS1_3repE0EEENS1_30default_config_static_selectorELNS0_4arch9wavefront6targetE0EEEvSK_.has_indirect_call, 0
	.section	.AMDGPU.csdata,"",@progbits
; Kernel info:
; codeLenInByte = 0
; TotalNumSgprs: 0
; NumVgprs: 0
; ScratchSize: 0
; MemoryBound: 0
; FloatMode: 240
; IeeeMode: 1
; LDSByteSize: 0 bytes/workgroup (compile time only)
; SGPRBlocks: 0
; VGPRBlocks: 0
; NumSGPRsForWavesPerEU: 1
; NumVGPRsForWavesPerEU: 1
; NamedBarCnt: 0
; Occupancy: 16
; WaveLimiterHint : 0
; COMPUTE_PGM_RSRC2:SCRATCH_EN: 0
; COMPUTE_PGM_RSRC2:USER_SGPR: 2
; COMPUTE_PGM_RSRC2:TRAP_HANDLER: 0
; COMPUTE_PGM_RSRC2:TGID_X_EN: 1
; COMPUTE_PGM_RSRC2:TGID_Y_EN: 0
; COMPUTE_PGM_RSRC2:TGID_Z_EN: 0
; COMPUTE_PGM_RSRC2:TIDIG_COMP_CNT: 0
	.section	.text._ZN7rocprim17ROCPRIM_400000_NS6detail17trampoline_kernelINS0_14default_configENS1_36segmented_radix_sort_config_selectorIhlEEZNS1_25segmented_radix_sort_implIS3_Lb0EPKhPhPKlPlN2at6native12_GLOBAL__N_18offset_tEEE10hipError_tPvRmT1_PNSt15iterator_traitsISK_E10value_typeET2_T3_PNSL_ISQ_E10value_typeET4_jRbjT5_SW_jjP12ihipStream_tbEUlT_E2_NS1_11comp_targetILNS1_3genE9ELNS1_11target_archE1100ELNS1_3gpuE3ELNS1_3repE0EEENS1_30default_config_static_selectorELNS0_4arch9wavefront6targetE0EEEvSK_,"axG",@progbits,_ZN7rocprim17ROCPRIM_400000_NS6detail17trampoline_kernelINS0_14default_configENS1_36segmented_radix_sort_config_selectorIhlEEZNS1_25segmented_radix_sort_implIS3_Lb0EPKhPhPKlPlN2at6native12_GLOBAL__N_18offset_tEEE10hipError_tPvRmT1_PNSt15iterator_traitsISK_E10value_typeET2_T3_PNSL_ISQ_E10value_typeET4_jRbjT5_SW_jjP12ihipStream_tbEUlT_E2_NS1_11comp_targetILNS1_3genE9ELNS1_11target_archE1100ELNS1_3gpuE3ELNS1_3repE0EEENS1_30default_config_static_selectorELNS0_4arch9wavefront6targetE0EEEvSK_,comdat
	.globl	_ZN7rocprim17ROCPRIM_400000_NS6detail17trampoline_kernelINS0_14default_configENS1_36segmented_radix_sort_config_selectorIhlEEZNS1_25segmented_radix_sort_implIS3_Lb0EPKhPhPKlPlN2at6native12_GLOBAL__N_18offset_tEEE10hipError_tPvRmT1_PNSt15iterator_traitsISK_E10value_typeET2_T3_PNSL_ISQ_E10value_typeET4_jRbjT5_SW_jjP12ihipStream_tbEUlT_E2_NS1_11comp_targetILNS1_3genE9ELNS1_11target_archE1100ELNS1_3gpuE3ELNS1_3repE0EEENS1_30default_config_static_selectorELNS0_4arch9wavefront6targetE0EEEvSK_ ; -- Begin function _ZN7rocprim17ROCPRIM_400000_NS6detail17trampoline_kernelINS0_14default_configENS1_36segmented_radix_sort_config_selectorIhlEEZNS1_25segmented_radix_sort_implIS3_Lb0EPKhPhPKlPlN2at6native12_GLOBAL__N_18offset_tEEE10hipError_tPvRmT1_PNSt15iterator_traitsISK_E10value_typeET2_T3_PNSL_ISQ_E10value_typeET4_jRbjT5_SW_jjP12ihipStream_tbEUlT_E2_NS1_11comp_targetILNS1_3genE9ELNS1_11target_archE1100ELNS1_3gpuE3ELNS1_3repE0EEENS1_30default_config_static_selectorELNS0_4arch9wavefront6targetE0EEEvSK_
	.p2align	8
	.type	_ZN7rocprim17ROCPRIM_400000_NS6detail17trampoline_kernelINS0_14default_configENS1_36segmented_radix_sort_config_selectorIhlEEZNS1_25segmented_radix_sort_implIS3_Lb0EPKhPhPKlPlN2at6native12_GLOBAL__N_18offset_tEEE10hipError_tPvRmT1_PNSt15iterator_traitsISK_E10value_typeET2_T3_PNSL_ISQ_E10value_typeET4_jRbjT5_SW_jjP12ihipStream_tbEUlT_E2_NS1_11comp_targetILNS1_3genE9ELNS1_11target_archE1100ELNS1_3gpuE3ELNS1_3repE0EEENS1_30default_config_static_selectorELNS0_4arch9wavefront6targetE0EEEvSK_,@function
_ZN7rocprim17ROCPRIM_400000_NS6detail17trampoline_kernelINS0_14default_configENS1_36segmented_radix_sort_config_selectorIhlEEZNS1_25segmented_radix_sort_implIS3_Lb0EPKhPhPKlPlN2at6native12_GLOBAL__N_18offset_tEEE10hipError_tPvRmT1_PNSt15iterator_traitsISK_E10value_typeET2_T3_PNSL_ISQ_E10value_typeET4_jRbjT5_SW_jjP12ihipStream_tbEUlT_E2_NS1_11comp_targetILNS1_3genE9ELNS1_11target_archE1100ELNS1_3gpuE3ELNS1_3repE0EEENS1_30default_config_static_selectorELNS0_4arch9wavefront6targetE0EEEvSK_: ; @_ZN7rocprim17ROCPRIM_400000_NS6detail17trampoline_kernelINS0_14default_configENS1_36segmented_radix_sort_config_selectorIhlEEZNS1_25segmented_radix_sort_implIS3_Lb0EPKhPhPKlPlN2at6native12_GLOBAL__N_18offset_tEEE10hipError_tPvRmT1_PNSt15iterator_traitsISK_E10value_typeET2_T3_PNSL_ISQ_E10value_typeET4_jRbjT5_SW_jjP12ihipStream_tbEUlT_E2_NS1_11comp_targetILNS1_3genE9ELNS1_11target_archE1100ELNS1_3gpuE3ELNS1_3repE0EEENS1_30default_config_static_selectorELNS0_4arch9wavefront6targetE0EEEvSK_
; %bb.0:
	.section	.rodata,"a",@progbits
	.p2align	6, 0x0
	.amdhsa_kernel _ZN7rocprim17ROCPRIM_400000_NS6detail17trampoline_kernelINS0_14default_configENS1_36segmented_radix_sort_config_selectorIhlEEZNS1_25segmented_radix_sort_implIS3_Lb0EPKhPhPKlPlN2at6native12_GLOBAL__N_18offset_tEEE10hipError_tPvRmT1_PNSt15iterator_traitsISK_E10value_typeET2_T3_PNSL_ISQ_E10value_typeET4_jRbjT5_SW_jjP12ihipStream_tbEUlT_E2_NS1_11comp_targetILNS1_3genE9ELNS1_11target_archE1100ELNS1_3gpuE3ELNS1_3repE0EEENS1_30default_config_static_selectorELNS0_4arch9wavefront6targetE0EEEvSK_
		.amdhsa_group_segment_fixed_size 0
		.amdhsa_private_segment_fixed_size 0
		.amdhsa_kernarg_size 80
		.amdhsa_user_sgpr_count 2
		.amdhsa_user_sgpr_dispatch_ptr 0
		.amdhsa_user_sgpr_queue_ptr 0
		.amdhsa_user_sgpr_kernarg_segment_ptr 1
		.amdhsa_user_sgpr_dispatch_id 0
		.amdhsa_user_sgpr_kernarg_preload_length 0
		.amdhsa_user_sgpr_kernarg_preload_offset 0
		.amdhsa_user_sgpr_private_segment_size 0
		.amdhsa_wavefront_size32 1
		.amdhsa_uses_dynamic_stack 0
		.amdhsa_enable_private_segment 0
		.amdhsa_system_sgpr_workgroup_id_x 1
		.amdhsa_system_sgpr_workgroup_id_y 0
		.amdhsa_system_sgpr_workgroup_id_z 0
		.amdhsa_system_sgpr_workgroup_info 0
		.amdhsa_system_vgpr_workitem_id 0
		.amdhsa_next_free_vgpr 1
		.amdhsa_next_free_sgpr 1
		.amdhsa_named_barrier_count 0
		.amdhsa_reserve_vcc 0
		.amdhsa_float_round_mode_32 0
		.amdhsa_float_round_mode_16_64 0
		.amdhsa_float_denorm_mode_32 3
		.amdhsa_float_denorm_mode_16_64 3
		.amdhsa_fp16_overflow 0
		.amdhsa_memory_ordered 1
		.amdhsa_forward_progress 1
		.amdhsa_inst_pref_size 0
		.amdhsa_round_robin_scheduling 0
		.amdhsa_exception_fp_ieee_invalid_op 0
		.amdhsa_exception_fp_denorm_src 0
		.amdhsa_exception_fp_ieee_div_zero 0
		.amdhsa_exception_fp_ieee_overflow 0
		.amdhsa_exception_fp_ieee_underflow 0
		.amdhsa_exception_fp_ieee_inexact 0
		.amdhsa_exception_int_div_zero 0
	.end_amdhsa_kernel
	.section	.text._ZN7rocprim17ROCPRIM_400000_NS6detail17trampoline_kernelINS0_14default_configENS1_36segmented_radix_sort_config_selectorIhlEEZNS1_25segmented_radix_sort_implIS3_Lb0EPKhPhPKlPlN2at6native12_GLOBAL__N_18offset_tEEE10hipError_tPvRmT1_PNSt15iterator_traitsISK_E10value_typeET2_T3_PNSL_ISQ_E10value_typeET4_jRbjT5_SW_jjP12ihipStream_tbEUlT_E2_NS1_11comp_targetILNS1_3genE9ELNS1_11target_archE1100ELNS1_3gpuE3ELNS1_3repE0EEENS1_30default_config_static_selectorELNS0_4arch9wavefront6targetE0EEEvSK_,"axG",@progbits,_ZN7rocprim17ROCPRIM_400000_NS6detail17trampoline_kernelINS0_14default_configENS1_36segmented_radix_sort_config_selectorIhlEEZNS1_25segmented_radix_sort_implIS3_Lb0EPKhPhPKlPlN2at6native12_GLOBAL__N_18offset_tEEE10hipError_tPvRmT1_PNSt15iterator_traitsISK_E10value_typeET2_T3_PNSL_ISQ_E10value_typeET4_jRbjT5_SW_jjP12ihipStream_tbEUlT_E2_NS1_11comp_targetILNS1_3genE9ELNS1_11target_archE1100ELNS1_3gpuE3ELNS1_3repE0EEENS1_30default_config_static_selectorELNS0_4arch9wavefront6targetE0EEEvSK_,comdat
.Lfunc_end221:
	.size	_ZN7rocprim17ROCPRIM_400000_NS6detail17trampoline_kernelINS0_14default_configENS1_36segmented_radix_sort_config_selectorIhlEEZNS1_25segmented_radix_sort_implIS3_Lb0EPKhPhPKlPlN2at6native12_GLOBAL__N_18offset_tEEE10hipError_tPvRmT1_PNSt15iterator_traitsISK_E10value_typeET2_T3_PNSL_ISQ_E10value_typeET4_jRbjT5_SW_jjP12ihipStream_tbEUlT_E2_NS1_11comp_targetILNS1_3genE9ELNS1_11target_archE1100ELNS1_3gpuE3ELNS1_3repE0EEENS1_30default_config_static_selectorELNS0_4arch9wavefront6targetE0EEEvSK_, .Lfunc_end221-_ZN7rocprim17ROCPRIM_400000_NS6detail17trampoline_kernelINS0_14default_configENS1_36segmented_radix_sort_config_selectorIhlEEZNS1_25segmented_radix_sort_implIS3_Lb0EPKhPhPKlPlN2at6native12_GLOBAL__N_18offset_tEEE10hipError_tPvRmT1_PNSt15iterator_traitsISK_E10value_typeET2_T3_PNSL_ISQ_E10value_typeET4_jRbjT5_SW_jjP12ihipStream_tbEUlT_E2_NS1_11comp_targetILNS1_3genE9ELNS1_11target_archE1100ELNS1_3gpuE3ELNS1_3repE0EEENS1_30default_config_static_selectorELNS0_4arch9wavefront6targetE0EEEvSK_
                                        ; -- End function
	.set _ZN7rocprim17ROCPRIM_400000_NS6detail17trampoline_kernelINS0_14default_configENS1_36segmented_radix_sort_config_selectorIhlEEZNS1_25segmented_radix_sort_implIS3_Lb0EPKhPhPKlPlN2at6native12_GLOBAL__N_18offset_tEEE10hipError_tPvRmT1_PNSt15iterator_traitsISK_E10value_typeET2_T3_PNSL_ISQ_E10value_typeET4_jRbjT5_SW_jjP12ihipStream_tbEUlT_E2_NS1_11comp_targetILNS1_3genE9ELNS1_11target_archE1100ELNS1_3gpuE3ELNS1_3repE0EEENS1_30default_config_static_selectorELNS0_4arch9wavefront6targetE0EEEvSK_.num_vgpr, 0
	.set _ZN7rocprim17ROCPRIM_400000_NS6detail17trampoline_kernelINS0_14default_configENS1_36segmented_radix_sort_config_selectorIhlEEZNS1_25segmented_radix_sort_implIS3_Lb0EPKhPhPKlPlN2at6native12_GLOBAL__N_18offset_tEEE10hipError_tPvRmT1_PNSt15iterator_traitsISK_E10value_typeET2_T3_PNSL_ISQ_E10value_typeET4_jRbjT5_SW_jjP12ihipStream_tbEUlT_E2_NS1_11comp_targetILNS1_3genE9ELNS1_11target_archE1100ELNS1_3gpuE3ELNS1_3repE0EEENS1_30default_config_static_selectorELNS0_4arch9wavefront6targetE0EEEvSK_.num_agpr, 0
	.set _ZN7rocprim17ROCPRIM_400000_NS6detail17trampoline_kernelINS0_14default_configENS1_36segmented_radix_sort_config_selectorIhlEEZNS1_25segmented_radix_sort_implIS3_Lb0EPKhPhPKlPlN2at6native12_GLOBAL__N_18offset_tEEE10hipError_tPvRmT1_PNSt15iterator_traitsISK_E10value_typeET2_T3_PNSL_ISQ_E10value_typeET4_jRbjT5_SW_jjP12ihipStream_tbEUlT_E2_NS1_11comp_targetILNS1_3genE9ELNS1_11target_archE1100ELNS1_3gpuE3ELNS1_3repE0EEENS1_30default_config_static_selectorELNS0_4arch9wavefront6targetE0EEEvSK_.numbered_sgpr, 0
	.set _ZN7rocprim17ROCPRIM_400000_NS6detail17trampoline_kernelINS0_14default_configENS1_36segmented_radix_sort_config_selectorIhlEEZNS1_25segmented_radix_sort_implIS3_Lb0EPKhPhPKlPlN2at6native12_GLOBAL__N_18offset_tEEE10hipError_tPvRmT1_PNSt15iterator_traitsISK_E10value_typeET2_T3_PNSL_ISQ_E10value_typeET4_jRbjT5_SW_jjP12ihipStream_tbEUlT_E2_NS1_11comp_targetILNS1_3genE9ELNS1_11target_archE1100ELNS1_3gpuE3ELNS1_3repE0EEENS1_30default_config_static_selectorELNS0_4arch9wavefront6targetE0EEEvSK_.num_named_barrier, 0
	.set _ZN7rocprim17ROCPRIM_400000_NS6detail17trampoline_kernelINS0_14default_configENS1_36segmented_radix_sort_config_selectorIhlEEZNS1_25segmented_radix_sort_implIS3_Lb0EPKhPhPKlPlN2at6native12_GLOBAL__N_18offset_tEEE10hipError_tPvRmT1_PNSt15iterator_traitsISK_E10value_typeET2_T3_PNSL_ISQ_E10value_typeET4_jRbjT5_SW_jjP12ihipStream_tbEUlT_E2_NS1_11comp_targetILNS1_3genE9ELNS1_11target_archE1100ELNS1_3gpuE3ELNS1_3repE0EEENS1_30default_config_static_selectorELNS0_4arch9wavefront6targetE0EEEvSK_.private_seg_size, 0
	.set _ZN7rocprim17ROCPRIM_400000_NS6detail17trampoline_kernelINS0_14default_configENS1_36segmented_radix_sort_config_selectorIhlEEZNS1_25segmented_radix_sort_implIS3_Lb0EPKhPhPKlPlN2at6native12_GLOBAL__N_18offset_tEEE10hipError_tPvRmT1_PNSt15iterator_traitsISK_E10value_typeET2_T3_PNSL_ISQ_E10value_typeET4_jRbjT5_SW_jjP12ihipStream_tbEUlT_E2_NS1_11comp_targetILNS1_3genE9ELNS1_11target_archE1100ELNS1_3gpuE3ELNS1_3repE0EEENS1_30default_config_static_selectorELNS0_4arch9wavefront6targetE0EEEvSK_.uses_vcc, 0
	.set _ZN7rocprim17ROCPRIM_400000_NS6detail17trampoline_kernelINS0_14default_configENS1_36segmented_radix_sort_config_selectorIhlEEZNS1_25segmented_radix_sort_implIS3_Lb0EPKhPhPKlPlN2at6native12_GLOBAL__N_18offset_tEEE10hipError_tPvRmT1_PNSt15iterator_traitsISK_E10value_typeET2_T3_PNSL_ISQ_E10value_typeET4_jRbjT5_SW_jjP12ihipStream_tbEUlT_E2_NS1_11comp_targetILNS1_3genE9ELNS1_11target_archE1100ELNS1_3gpuE3ELNS1_3repE0EEENS1_30default_config_static_selectorELNS0_4arch9wavefront6targetE0EEEvSK_.uses_flat_scratch, 0
	.set _ZN7rocprim17ROCPRIM_400000_NS6detail17trampoline_kernelINS0_14default_configENS1_36segmented_radix_sort_config_selectorIhlEEZNS1_25segmented_radix_sort_implIS3_Lb0EPKhPhPKlPlN2at6native12_GLOBAL__N_18offset_tEEE10hipError_tPvRmT1_PNSt15iterator_traitsISK_E10value_typeET2_T3_PNSL_ISQ_E10value_typeET4_jRbjT5_SW_jjP12ihipStream_tbEUlT_E2_NS1_11comp_targetILNS1_3genE9ELNS1_11target_archE1100ELNS1_3gpuE3ELNS1_3repE0EEENS1_30default_config_static_selectorELNS0_4arch9wavefront6targetE0EEEvSK_.has_dyn_sized_stack, 0
	.set _ZN7rocprim17ROCPRIM_400000_NS6detail17trampoline_kernelINS0_14default_configENS1_36segmented_radix_sort_config_selectorIhlEEZNS1_25segmented_radix_sort_implIS3_Lb0EPKhPhPKlPlN2at6native12_GLOBAL__N_18offset_tEEE10hipError_tPvRmT1_PNSt15iterator_traitsISK_E10value_typeET2_T3_PNSL_ISQ_E10value_typeET4_jRbjT5_SW_jjP12ihipStream_tbEUlT_E2_NS1_11comp_targetILNS1_3genE9ELNS1_11target_archE1100ELNS1_3gpuE3ELNS1_3repE0EEENS1_30default_config_static_selectorELNS0_4arch9wavefront6targetE0EEEvSK_.has_recursion, 0
	.set _ZN7rocprim17ROCPRIM_400000_NS6detail17trampoline_kernelINS0_14default_configENS1_36segmented_radix_sort_config_selectorIhlEEZNS1_25segmented_radix_sort_implIS3_Lb0EPKhPhPKlPlN2at6native12_GLOBAL__N_18offset_tEEE10hipError_tPvRmT1_PNSt15iterator_traitsISK_E10value_typeET2_T3_PNSL_ISQ_E10value_typeET4_jRbjT5_SW_jjP12ihipStream_tbEUlT_E2_NS1_11comp_targetILNS1_3genE9ELNS1_11target_archE1100ELNS1_3gpuE3ELNS1_3repE0EEENS1_30default_config_static_selectorELNS0_4arch9wavefront6targetE0EEEvSK_.has_indirect_call, 0
	.section	.AMDGPU.csdata,"",@progbits
; Kernel info:
; codeLenInByte = 0
; TotalNumSgprs: 0
; NumVgprs: 0
; ScratchSize: 0
; MemoryBound: 0
; FloatMode: 240
; IeeeMode: 1
; LDSByteSize: 0 bytes/workgroup (compile time only)
; SGPRBlocks: 0
; VGPRBlocks: 0
; NumSGPRsForWavesPerEU: 1
; NumVGPRsForWavesPerEU: 1
; NamedBarCnt: 0
; Occupancy: 16
; WaveLimiterHint : 0
; COMPUTE_PGM_RSRC2:SCRATCH_EN: 0
; COMPUTE_PGM_RSRC2:USER_SGPR: 2
; COMPUTE_PGM_RSRC2:TRAP_HANDLER: 0
; COMPUTE_PGM_RSRC2:TGID_X_EN: 1
; COMPUTE_PGM_RSRC2:TGID_Y_EN: 0
; COMPUTE_PGM_RSRC2:TGID_Z_EN: 0
; COMPUTE_PGM_RSRC2:TIDIG_COMP_CNT: 0
	.section	.text._ZN7rocprim17ROCPRIM_400000_NS6detail17trampoline_kernelINS0_14default_configENS1_36segmented_radix_sort_config_selectorIhlEEZNS1_25segmented_radix_sort_implIS3_Lb0EPKhPhPKlPlN2at6native12_GLOBAL__N_18offset_tEEE10hipError_tPvRmT1_PNSt15iterator_traitsISK_E10value_typeET2_T3_PNSL_ISQ_E10value_typeET4_jRbjT5_SW_jjP12ihipStream_tbEUlT_E2_NS1_11comp_targetILNS1_3genE8ELNS1_11target_archE1030ELNS1_3gpuE2ELNS1_3repE0EEENS1_30default_config_static_selectorELNS0_4arch9wavefront6targetE0EEEvSK_,"axG",@progbits,_ZN7rocprim17ROCPRIM_400000_NS6detail17trampoline_kernelINS0_14default_configENS1_36segmented_radix_sort_config_selectorIhlEEZNS1_25segmented_radix_sort_implIS3_Lb0EPKhPhPKlPlN2at6native12_GLOBAL__N_18offset_tEEE10hipError_tPvRmT1_PNSt15iterator_traitsISK_E10value_typeET2_T3_PNSL_ISQ_E10value_typeET4_jRbjT5_SW_jjP12ihipStream_tbEUlT_E2_NS1_11comp_targetILNS1_3genE8ELNS1_11target_archE1030ELNS1_3gpuE2ELNS1_3repE0EEENS1_30default_config_static_selectorELNS0_4arch9wavefront6targetE0EEEvSK_,comdat
	.globl	_ZN7rocprim17ROCPRIM_400000_NS6detail17trampoline_kernelINS0_14default_configENS1_36segmented_radix_sort_config_selectorIhlEEZNS1_25segmented_radix_sort_implIS3_Lb0EPKhPhPKlPlN2at6native12_GLOBAL__N_18offset_tEEE10hipError_tPvRmT1_PNSt15iterator_traitsISK_E10value_typeET2_T3_PNSL_ISQ_E10value_typeET4_jRbjT5_SW_jjP12ihipStream_tbEUlT_E2_NS1_11comp_targetILNS1_3genE8ELNS1_11target_archE1030ELNS1_3gpuE2ELNS1_3repE0EEENS1_30default_config_static_selectorELNS0_4arch9wavefront6targetE0EEEvSK_ ; -- Begin function _ZN7rocprim17ROCPRIM_400000_NS6detail17trampoline_kernelINS0_14default_configENS1_36segmented_radix_sort_config_selectorIhlEEZNS1_25segmented_radix_sort_implIS3_Lb0EPKhPhPKlPlN2at6native12_GLOBAL__N_18offset_tEEE10hipError_tPvRmT1_PNSt15iterator_traitsISK_E10value_typeET2_T3_PNSL_ISQ_E10value_typeET4_jRbjT5_SW_jjP12ihipStream_tbEUlT_E2_NS1_11comp_targetILNS1_3genE8ELNS1_11target_archE1030ELNS1_3gpuE2ELNS1_3repE0EEENS1_30default_config_static_selectorELNS0_4arch9wavefront6targetE0EEEvSK_
	.p2align	8
	.type	_ZN7rocprim17ROCPRIM_400000_NS6detail17trampoline_kernelINS0_14default_configENS1_36segmented_radix_sort_config_selectorIhlEEZNS1_25segmented_radix_sort_implIS3_Lb0EPKhPhPKlPlN2at6native12_GLOBAL__N_18offset_tEEE10hipError_tPvRmT1_PNSt15iterator_traitsISK_E10value_typeET2_T3_PNSL_ISQ_E10value_typeET4_jRbjT5_SW_jjP12ihipStream_tbEUlT_E2_NS1_11comp_targetILNS1_3genE8ELNS1_11target_archE1030ELNS1_3gpuE2ELNS1_3repE0EEENS1_30default_config_static_selectorELNS0_4arch9wavefront6targetE0EEEvSK_,@function
_ZN7rocprim17ROCPRIM_400000_NS6detail17trampoline_kernelINS0_14default_configENS1_36segmented_radix_sort_config_selectorIhlEEZNS1_25segmented_radix_sort_implIS3_Lb0EPKhPhPKlPlN2at6native12_GLOBAL__N_18offset_tEEE10hipError_tPvRmT1_PNSt15iterator_traitsISK_E10value_typeET2_T3_PNSL_ISQ_E10value_typeET4_jRbjT5_SW_jjP12ihipStream_tbEUlT_E2_NS1_11comp_targetILNS1_3genE8ELNS1_11target_archE1030ELNS1_3gpuE2ELNS1_3repE0EEENS1_30default_config_static_selectorELNS0_4arch9wavefront6targetE0EEEvSK_: ; @_ZN7rocprim17ROCPRIM_400000_NS6detail17trampoline_kernelINS0_14default_configENS1_36segmented_radix_sort_config_selectorIhlEEZNS1_25segmented_radix_sort_implIS3_Lb0EPKhPhPKlPlN2at6native12_GLOBAL__N_18offset_tEEE10hipError_tPvRmT1_PNSt15iterator_traitsISK_E10value_typeET2_T3_PNSL_ISQ_E10value_typeET4_jRbjT5_SW_jjP12ihipStream_tbEUlT_E2_NS1_11comp_targetILNS1_3genE8ELNS1_11target_archE1030ELNS1_3gpuE2ELNS1_3repE0EEENS1_30default_config_static_selectorELNS0_4arch9wavefront6targetE0EEEvSK_
; %bb.0:
	.section	.rodata,"a",@progbits
	.p2align	6, 0x0
	.amdhsa_kernel _ZN7rocprim17ROCPRIM_400000_NS6detail17trampoline_kernelINS0_14default_configENS1_36segmented_radix_sort_config_selectorIhlEEZNS1_25segmented_radix_sort_implIS3_Lb0EPKhPhPKlPlN2at6native12_GLOBAL__N_18offset_tEEE10hipError_tPvRmT1_PNSt15iterator_traitsISK_E10value_typeET2_T3_PNSL_ISQ_E10value_typeET4_jRbjT5_SW_jjP12ihipStream_tbEUlT_E2_NS1_11comp_targetILNS1_3genE8ELNS1_11target_archE1030ELNS1_3gpuE2ELNS1_3repE0EEENS1_30default_config_static_selectorELNS0_4arch9wavefront6targetE0EEEvSK_
		.amdhsa_group_segment_fixed_size 0
		.amdhsa_private_segment_fixed_size 0
		.amdhsa_kernarg_size 80
		.amdhsa_user_sgpr_count 2
		.amdhsa_user_sgpr_dispatch_ptr 0
		.amdhsa_user_sgpr_queue_ptr 0
		.amdhsa_user_sgpr_kernarg_segment_ptr 1
		.amdhsa_user_sgpr_dispatch_id 0
		.amdhsa_user_sgpr_kernarg_preload_length 0
		.amdhsa_user_sgpr_kernarg_preload_offset 0
		.amdhsa_user_sgpr_private_segment_size 0
		.amdhsa_wavefront_size32 1
		.amdhsa_uses_dynamic_stack 0
		.amdhsa_enable_private_segment 0
		.amdhsa_system_sgpr_workgroup_id_x 1
		.amdhsa_system_sgpr_workgroup_id_y 0
		.amdhsa_system_sgpr_workgroup_id_z 0
		.amdhsa_system_sgpr_workgroup_info 0
		.amdhsa_system_vgpr_workitem_id 0
		.amdhsa_next_free_vgpr 1
		.amdhsa_next_free_sgpr 1
		.amdhsa_named_barrier_count 0
		.amdhsa_reserve_vcc 0
		.amdhsa_float_round_mode_32 0
		.amdhsa_float_round_mode_16_64 0
		.amdhsa_float_denorm_mode_32 3
		.amdhsa_float_denorm_mode_16_64 3
		.amdhsa_fp16_overflow 0
		.amdhsa_memory_ordered 1
		.amdhsa_forward_progress 1
		.amdhsa_inst_pref_size 0
		.amdhsa_round_robin_scheduling 0
		.amdhsa_exception_fp_ieee_invalid_op 0
		.amdhsa_exception_fp_denorm_src 0
		.amdhsa_exception_fp_ieee_div_zero 0
		.amdhsa_exception_fp_ieee_overflow 0
		.amdhsa_exception_fp_ieee_underflow 0
		.amdhsa_exception_fp_ieee_inexact 0
		.amdhsa_exception_int_div_zero 0
	.end_amdhsa_kernel
	.section	.text._ZN7rocprim17ROCPRIM_400000_NS6detail17trampoline_kernelINS0_14default_configENS1_36segmented_radix_sort_config_selectorIhlEEZNS1_25segmented_radix_sort_implIS3_Lb0EPKhPhPKlPlN2at6native12_GLOBAL__N_18offset_tEEE10hipError_tPvRmT1_PNSt15iterator_traitsISK_E10value_typeET2_T3_PNSL_ISQ_E10value_typeET4_jRbjT5_SW_jjP12ihipStream_tbEUlT_E2_NS1_11comp_targetILNS1_3genE8ELNS1_11target_archE1030ELNS1_3gpuE2ELNS1_3repE0EEENS1_30default_config_static_selectorELNS0_4arch9wavefront6targetE0EEEvSK_,"axG",@progbits,_ZN7rocprim17ROCPRIM_400000_NS6detail17trampoline_kernelINS0_14default_configENS1_36segmented_radix_sort_config_selectorIhlEEZNS1_25segmented_radix_sort_implIS3_Lb0EPKhPhPKlPlN2at6native12_GLOBAL__N_18offset_tEEE10hipError_tPvRmT1_PNSt15iterator_traitsISK_E10value_typeET2_T3_PNSL_ISQ_E10value_typeET4_jRbjT5_SW_jjP12ihipStream_tbEUlT_E2_NS1_11comp_targetILNS1_3genE8ELNS1_11target_archE1030ELNS1_3gpuE2ELNS1_3repE0EEENS1_30default_config_static_selectorELNS0_4arch9wavefront6targetE0EEEvSK_,comdat
.Lfunc_end222:
	.size	_ZN7rocprim17ROCPRIM_400000_NS6detail17trampoline_kernelINS0_14default_configENS1_36segmented_radix_sort_config_selectorIhlEEZNS1_25segmented_radix_sort_implIS3_Lb0EPKhPhPKlPlN2at6native12_GLOBAL__N_18offset_tEEE10hipError_tPvRmT1_PNSt15iterator_traitsISK_E10value_typeET2_T3_PNSL_ISQ_E10value_typeET4_jRbjT5_SW_jjP12ihipStream_tbEUlT_E2_NS1_11comp_targetILNS1_3genE8ELNS1_11target_archE1030ELNS1_3gpuE2ELNS1_3repE0EEENS1_30default_config_static_selectorELNS0_4arch9wavefront6targetE0EEEvSK_, .Lfunc_end222-_ZN7rocprim17ROCPRIM_400000_NS6detail17trampoline_kernelINS0_14default_configENS1_36segmented_radix_sort_config_selectorIhlEEZNS1_25segmented_radix_sort_implIS3_Lb0EPKhPhPKlPlN2at6native12_GLOBAL__N_18offset_tEEE10hipError_tPvRmT1_PNSt15iterator_traitsISK_E10value_typeET2_T3_PNSL_ISQ_E10value_typeET4_jRbjT5_SW_jjP12ihipStream_tbEUlT_E2_NS1_11comp_targetILNS1_3genE8ELNS1_11target_archE1030ELNS1_3gpuE2ELNS1_3repE0EEENS1_30default_config_static_selectorELNS0_4arch9wavefront6targetE0EEEvSK_
                                        ; -- End function
	.set _ZN7rocprim17ROCPRIM_400000_NS6detail17trampoline_kernelINS0_14default_configENS1_36segmented_radix_sort_config_selectorIhlEEZNS1_25segmented_radix_sort_implIS3_Lb0EPKhPhPKlPlN2at6native12_GLOBAL__N_18offset_tEEE10hipError_tPvRmT1_PNSt15iterator_traitsISK_E10value_typeET2_T3_PNSL_ISQ_E10value_typeET4_jRbjT5_SW_jjP12ihipStream_tbEUlT_E2_NS1_11comp_targetILNS1_3genE8ELNS1_11target_archE1030ELNS1_3gpuE2ELNS1_3repE0EEENS1_30default_config_static_selectorELNS0_4arch9wavefront6targetE0EEEvSK_.num_vgpr, 0
	.set _ZN7rocprim17ROCPRIM_400000_NS6detail17trampoline_kernelINS0_14default_configENS1_36segmented_radix_sort_config_selectorIhlEEZNS1_25segmented_radix_sort_implIS3_Lb0EPKhPhPKlPlN2at6native12_GLOBAL__N_18offset_tEEE10hipError_tPvRmT1_PNSt15iterator_traitsISK_E10value_typeET2_T3_PNSL_ISQ_E10value_typeET4_jRbjT5_SW_jjP12ihipStream_tbEUlT_E2_NS1_11comp_targetILNS1_3genE8ELNS1_11target_archE1030ELNS1_3gpuE2ELNS1_3repE0EEENS1_30default_config_static_selectorELNS0_4arch9wavefront6targetE0EEEvSK_.num_agpr, 0
	.set _ZN7rocprim17ROCPRIM_400000_NS6detail17trampoline_kernelINS0_14default_configENS1_36segmented_radix_sort_config_selectorIhlEEZNS1_25segmented_radix_sort_implIS3_Lb0EPKhPhPKlPlN2at6native12_GLOBAL__N_18offset_tEEE10hipError_tPvRmT1_PNSt15iterator_traitsISK_E10value_typeET2_T3_PNSL_ISQ_E10value_typeET4_jRbjT5_SW_jjP12ihipStream_tbEUlT_E2_NS1_11comp_targetILNS1_3genE8ELNS1_11target_archE1030ELNS1_3gpuE2ELNS1_3repE0EEENS1_30default_config_static_selectorELNS0_4arch9wavefront6targetE0EEEvSK_.numbered_sgpr, 0
	.set _ZN7rocprim17ROCPRIM_400000_NS6detail17trampoline_kernelINS0_14default_configENS1_36segmented_radix_sort_config_selectorIhlEEZNS1_25segmented_radix_sort_implIS3_Lb0EPKhPhPKlPlN2at6native12_GLOBAL__N_18offset_tEEE10hipError_tPvRmT1_PNSt15iterator_traitsISK_E10value_typeET2_T3_PNSL_ISQ_E10value_typeET4_jRbjT5_SW_jjP12ihipStream_tbEUlT_E2_NS1_11comp_targetILNS1_3genE8ELNS1_11target_archE1030ELNS1_3gpuE2ELNS1_3repE0EEENS1_30default_config_static_selectorELNS0_4arch9wavefront6targetE0EEEvSK_.num_named_barrier, 0
	.set _ZN7rocprim17ROCPRIM_400000_NS6detail17trampoline_kernelINS0_14default_configENS1_36segmented_radix_sort_config_selectorIhlEEZNS1_25segmented_radix_sort_implIS3_Lb0EPKhPhPKlPlN2at6native12_GLOBAL__N_18offset_tEEE10hipError_tPvRmT1_PNSt15iterator_traitsISK_E10value_typeET2_T3_PNSL_ISQ_E10value_typeET4_jRbjT5_SW_jjP12ihipStream_tbEUlT_E2_NS1_11comp_targetILNS1_3genE8ELNS1_11target_archE1030ELNS1_3gpuE2ELNS1_3repE0EEENS1_30default_config_static_selectorELNS0_4arch9wavefront6targetE0EEEvSK_.private_seg_size, 0
	.set _ZN7rocprim17ROCPRIM_400000_NS6detail17trampoline_kernelINS0_14default_configENS1_36segmented_radix_sort_config_selectorIhlEEZNS1_25segmented_radix_sort_implIS3_Lb0EPKhPhPKlPlN2at6native12_GLOBAL__N_18offset_tEEE10hipError_tPvRmT1_PNSt15iterator_traitsISK_E10value_typeET2_T3_PNSL_ISQ_E10value_typeET4_jRbjT5_SW_jjP12ihipStream_tbEUlT_E2_NS1_11comp_targetILNS1_3genE8ELNS1_11target_archE1030ELNS1_3gpuE2ELNS1_3repE0EEENS1_30default_config_static_selectorELNS0_4arch9wavefront6targetE0EEEvSK_.uses_vcc, 0
	.set _ZN7rocprim17ROCPRIM_400000_NS6detail17trampoline_kernelINS0_14default_configENS1_36segmented_radix_sort_config_selectorIhlEEZNS1_25segmented_radix_sort_implIS3_Lb0EPKhPhPKlPlN2at6native12_GLOBAL__N_18offset_tEEE10hipError_tPvRmT1_PNSt15iterator_traitsISK_E10value_typeET2_T3_PNSL_ISQ_E10value_typeET4_jRbjT5_SW_jjP12ihipStream_tbEUlT_E2_NS1_11comp_targetILNS1_3genE8ELNS1_11target_archE1030ELNS1_3gpuE2ELNS1_3repE0EEENS1_30default_config_static_selectorELNS0_4arch9wavefront6targetE0EEEvSK_.uses_flat_scratch, 0
	.set _ZN7rocprim17ROCPRIM_400000_NS6detail17trampoline_kernelINS0_14default_configENS1_36segmented_radix_sort_config_selectorIhlEEZNS1_25segmented_radix_sort_implIS3_Lb0EPKhPhPKlPlN2at6native12_GLOBAL__N_18offset_tEEE10hipError_tPvRmT1_PNSt15iterator_traitsISK_E10value_typeET2_T3_PNSL_ISQ_E10value_typeET4_jRbjT5_SW_jjP12ihipStream_tbEUlT_E2_NS1_11comp_targetILNS1_3genE8ELNS1_11target_archE1030ELNS1_3gpuE2ELNS1_3repE0EEENS1_30default_config_static_selectorELNS0_4arch9wavefront6targetE0EEEvSK_.has_dyn_sized_stack, 0
	.set _ZN7rocprim17ROCPRIM_400000_NS6detail17trampoline_kernelINS0_14default_configENS1_36segmented_radix_sort_config_selectorIhlEEZNS1_25segmented_radix_sort_implIS3_Lb0EPKhPhPKlPlN2at6native12_GLOBAL__N_18offset_tEEE10hipError_tPvRmT1_PNSt15iterator_traitsISK_E10value_typeET2_T3_PNSL_ISQ_E10value_typeET4_jRbjT5_SW_jjP12ihipStream_tbEUlT_E2_NS1_11comp_targetILNS1_3genE8ELNS1_11target_archE1030ELNS1_3gpuE2ELNS1_3repE0EEENS1_30default_config_static_selectorELNS0_4arch9wavefront6targetE0EEEvSK_.has_recursion, 0
	.set _ZN7rocprim17ROCPRIM_400000_NS6detail17trampoline_kernelINS0_14default_configENS1_36segmented_radix_sort_config_selectorIhlEEZNS1_25segmented_radix_sort_implIS3_Lb0EPKhPhPKlPlN2at6native12_GLOBAL__N_18offset_tEEE10hipError_tPvRmT1_PNSt15iterator_traitsISK_E10value_typeET2_T3_PNSL_ISQ_E10value_typeET4_jRbjT5_SW_jjP12ihipStream_tbEUlT_E2_NS1_11comp_targetILNS1_3genE8ELNS1_11target_archE1030ELNS1_3gpuE2ELNS1_3repE0EEENS1_30default_config_static_selectorELNS0_4arch9wavefront6targetE0EEEvSK_.has_indirect_call, 0
	.section	.AMDGPU.csdata,"",@progbits
; Kernel info:
; codeLenInByte = 0
; TotalNumSgprs: 0
; NumVgprs: 0
; ScratchSize: 0
; MemoryBound: 0
; FloatMode: 240
; IeeeMode: 1
; LDSByteSize: 0 bytes/workgroup (compile time only)
; SGPRBlocks: 0
; VGPRBlocks: 0
; NumSGPRsForWavesPerEU: 1
; NumVGPRsForWavesPerEU: 1
; NamedBarCnt: 0
; Occupancy: 16
; WaveLimiterHint : 0
; COMPUTE_PGM_RSRC2:SCRATCH_EN: 0
; COMPUTE_PGM_RSRC2:USER_SGPR: 2
; COMPUTE_PGM_RSRC2:TRAP_HANDLER: 0
; COMPUTE_PGM_RSRC2:TGID_X_EN: 1
; COMPUTE_PGM_RSRC2:TGID_Y_EN: 0
; COMPUTE_PGM_RSRC2:TGID_Z_EN: 0
; COMPUTE_PGM_RSRC2:TIDIG_COMP_CNT: 0
	.section	.text._ZN2at6native12_GLOBAL__N_123sort_postprocess_kernelIaEEvPKT_PS3_PlPK15HIP_vector_typeIiLj2EEii,"axG",@progbits,_ZN2at6native12_GLOBAL__N_123sort_postprocess_kernelIaEEvPKT_PS3_PlPK15HIP_vector_typeIiLj2EEii,comdat
	.globl	_ZN2at6native12_GLOBAL__N_123sort_postprocess_kernelIaEEvPKT_PS3_PlPK15HIP_vector_typeIiLj2EEii ; -- Begin function _ZN2at6native12_GLOBAL__N_123sort_postprocess_kernelIaEEvPKT_PS3_PlPK15HIP_vector_typeIiLj2EEii
	.p2align	8
	.type	_ZN2at6native12_GLOBAL__N_123sort_postprocess_kernelIaEEvPKT_PS3_PlPK15HIP_vector_typeIiLj2EEii,@function
_ZN2at6native12_GLOBAL__N_123sort_postprocess_kernelIaEEvPKT_PS3_PlPK15HIP_vector_typeIiLj2EEii: ; @_ZN2at6native12_GLOBAL__N_123sort_postprocess_kernelIaEEvPKT_PS3_PlPK15HIP_vector_typeIiLj2EEii
; %bb.0:
	s_clause 0x1
	s_load_b32 s2, s[0:1], 0x34
	s_load_b64 s[4:5], s[0:1], 0x20
	s_bfe_u32 s7, ttmp6, 0x4000c
	s_and_b32 s6, ttmp6, 15
	s_add_co_i32 s7, s7, 1
	s_getreg_b32 s8, hwreg(HW_REG_IB_STS2, 6, 4)
	s_mul_i32 s7, ttmp9, s7
	s_mov_b32 s3, 0
	s_add_co_i32 s6, s6, s7
	s_cmp_eq_u32 s8, 0
	v_mov_b32_e32 v1, 0
	s_mov_b32 s19, s3
	s_cselect_b32 s18, ttmp9, s6
	s_mov_b32 s17, s3
	s_wait_kmcnt 0x0
	s_and_b32 s16, s2, 0xffff
	s_mul_i32 s14, s5, s4
	s_mul_u64 s[12:13], s[16:17], s[18:19]
	s_ashr_i32 s15, s14, 31
	v_add_nc_u64_e32 v[2:3], s[12:13], v[0:1]
	s_mov_b32 s2, exec_lo
	s_delay_alu instid0(VALU_DEP_1)
	v_cmpx_gt_i64_e64 s[14:15], v[2:3]
	s_cbranch_execz .LBB223_3
; %bb.1:
	s_abs_i32 s17, s5
	s_add_nc_u64 s[20:21], s[0:1], 40
	s_cvt_f32_u32 s2, s17
	s_sub_co_i32 s19, 0, s17
	s_mul_i32 s18, s18, s16
	s_delay_alu instid0(SALU_CYCLE_1)
	v_rcp_iflag_f32_e32 v2, s2
	s_load_b32 s2, s[20:21], 0x0
	s_load_b256 s[4:11], s[0:1], 0x0
	s_wait_xcnt 0x0
	s_mov_b32 s1, s3
	v_nop
	s_delay_alu instid0(TRANS32_DEP_1) | instskip(SKIP_2) | instid1(SALU_CYCLE_3)
	v_readfirstlane_b32 s0, v2
	v_mov_b64_e32 v[2:3], v[0:1]
	s_mul_f32 s0, s0, 0x4f7ffffe
	s_cvt_u32_f32 s0, s0
	s_wait_kmcnt 0x0
	s_mul_i32 s2, s2, s16
	s_delay_alu instid0(SALU_CYCLE_1) | instskip(SKIP_2) | instid1(SALU_CYCLE_1)
	s_mul_i32 s19, s19, s0
	s_mov_b32 s16, s3
	s_mul_hi_u32 s19, s0, s19
	s_add_co_i32 s0, s0, s19
.LBB223_2:                              ; =>This Inner Loop Header: Depth=1
	v_add_nc_u32_e32 v6, s18, v2
	v_add_nc_u64_e32 v[2:3], s[2:3], v[2:3]
	s_delay_alu instid0(VALU_DEP_2) | instskip(NEXT) | instid1(VALU_DEP_1)
	v_sub_nc_u32_e32 v0, 0, v6
	v_max_i32_e32 v0, v6, v0
	s_delay_alu instid0(VALU_DEP_1) | instskip(NEXT) | instid1(VALU_DEP_1)
	v_mul_u64_e32 v[4:5], s[0:1], v[0:1]
	v_mul_lo_u32 v4, v5, s17
	s_delay_alu instid0(VALU_DEP_1) | instskip(NEXT) | instid1(VALU_DEP_1)
	v_dual_sub_nc_u32 v0, v0, v4 :: v_dual_ashrrev_i32 v7, 31, v6
	v_subrev_nc_u32_e32 v4, s17, v0
	v_cmp_le_u32_e32 vcc_lo, s17, v0
	s_delay_alu instid0(VALU_DEP_2) | instskip(NEXT) | instid1(VALU_DEP_1)
	v_cndmask_b32_e32 v0, v0, v4, vcc_lo
	v_subrev_nc_u32_e32 v4, s17, v0
	v_cmp_le_u32_e32 vcc_lo, s17, v0
	s_delay_alu instid0(VALU_DEP_2) | instskip(NEXT) | instid1(VALU_DEP_1)
	v_dual_cndmask_b32 v0, v0, v4, vcc_lo :: v_dual_add_nc_u32 v4, v6, v7
	v_xor_b32_e32 v0, v0, v7
	s_delay_alu instid0(VALU_DEP_1) | instskip(NEXT) | instid1(VALU_DEP_1)
	v_sub_nc_u32_e32 v4, v4, v0
	v_dual_sub_nc_u32 v6, v0, v7 :: v_dual_ashrrev_i32 v5, 31, v4
	s_delay_alu instid0(VALU_DEP_1) | instskip(NEXT) | instid1(VALU_DEP_2)
	v_ashrrev_i32_e32 v7, 31, v6
	v_lshlrev_b64_e32 v[8:9], 3, v[4:5]
	s_delay_alu instid0(VALU_DEP_2) | instskip(SKIP_2) | instid1(VALU_DEP_4)
	v_lshlrev_b64_e32 v[10:11], 3, v[6:7]
	v_add_nc_u64_e32 v[14:15], s[4:5], v[4:5]
	v_add_nc_u64_e32 v[4:5], s[6:7], v[4:5]
	;; [unrolled: 1-line block ×4, first 2 shown]
	s_delay_alu instid0(VALU_DEP_3) | instskip(NEXT) | instid1(VALU_DEP_3)
	v_add_nc_u64_e32 v[4:5], v[4:5], v[6:7]
	v_add_nc_u64_e32 v[12:13], v[12:13], v[10:11]
	s_delay_alu instid0(VALU_DEP_3) | instskip(SKIP_4) | instid1(VALU_DEP_1)
	v_add_nc_u64_e32 v[8:9], v[8:9], v[10:11]
	global_load_b32 v12, v[12:13], off offset:4
	s_wait_loadcnt 0x0
	s_wait_xcnt 0x0
	v_ashrrev_i32_e32 v13, 31, v12
	v_add_nc_u64_e32 v[10:11], v[14:15], v[12:13]
	global_store_b64 v[8:9], v[12:13], off
	s_wait_xcnt 0x0
	v_add_nc_u64_e32 v[8:9], s[12:13], v[2:3]
	global_load_u8 v0, v[10:11], off
	v_cmp_le_i64_e32 vcc_lo, s[14:15], v[8:9]
	s_or_b32 s16, vcc_lo, s16
	s_wait_loadcnt 0x0
	global_store_b8 v[4:5], v0, off
	s_wait_xcnt 0x0
	s_and_not1_b32 exec_lo, exec_lo, s16
	s_cbranch_execnz .LBB223_2
.LBB223_3:
	s_endpgm
	.section	.rodata,"a",@progbits
	.p2align	6, 0x0
	.amdhsa_kernel _ZN2at6native12_GLOBAL__N_123sort_postprocess_kernelIaEEvPKT_PS3_PlPK15HIP_vector_typeIiLj2EEii
		.amdhsa_group_segment_fixed_size 0
		.amdhsa_private_segment_fixed_size 0
		.amdhsa_kernarg_size 296
		.amdhsa_user_sgpr_count 2
		.amdhsa_user_sgpr_dispatch_ptr 0
		.amdhsa_user_sgpr_queue_ptr 0
		.amdhsa_user_sgpr_kernarg_segment_ptr 1
		.amdhsa_user_sgpr_dispatch_id 0
		.amdhsa_user_sgpr_kernarg_preload_length 0
		.amdhsa_user_sgpr_kernarg_preload_offset 0
		.amdhsa_user_sgpr_private_segment_size 0
		.amdhsa_wavefront_size32 1
		.amdhsa_uses_dynamic_stack 0
		.amdhsa_enable_private_segment 0
		.amdhsa_system_sgpr_workgroup_id_x 1
		.amdhsa_system_sgpr_workgroup_id_y 0
		.amdhsa_system_sgpr_workgroup_id_z 0
		.amdhsa_system_sgpr_workgroup_info 0
		.amdhsa_system_vgpr_workitem_id 0
		.amdhsa_next_free_vgpr 16
		.amdhsa_next_free_sgpr 22
		.amdhsa_named_barrier_count 0
		.amdhsa_reserve_vcc 1
		.amdhsa_float_round_mode_32 0
		.amdhsa_float_round_mode_16_64 0
		.amdhsa_float_denorm_mode_32 3
		.amdhsa_float_denorm_mode_16_64 3
		.amdhsa_fp16_overflow 0
		.amdhsa_memory_ordered 1
		.amdhsa_forward_progress 1
		.amdhsa_inst_pref_size 4
		.amdhsa_round_robin_scheduling 0
		.amdhsa_exception_fp_ieee_invalid_op 0
		.amdhsa_exception_fp_denorm_src 0
		.amdhsa_exception_fp_ieee_div_zero 0
		.amdhsa_exception_fp_ieee_overflow 0
		.amdhsa_exception_fp_ieee_underflow 0
		.amdhsa_exception_fp_ieee_inexact 0
		.amdhsa_exception_int_div_zero 0
	.end_amdhsa_kernel
	.section	.text._ZN2at6native12_GLOBAL__N_123sort_postprocess_kernelIaEEvPKT_PS3_PlPK15HIP_vector_typeIiLj2EEii,"axG",@progbits,_ZN2at6native12_GLOBAL__N_123sort_postprocess_kernelIaEEvPKT_PS3_PlPK15HIP_vector_typeIiLj2EEii,comdat
.Lfunc_end223:
	.size	_ZN2at6native12_GLOBAL__N_123sort_postprocess_kernelIaEEvPKT_PS3_PlPK15HIP_vector_typeIiLj2EEii, .Lfunc_end223-_ZN2at6native12_GLOBAL__N_123sort_postprocess_kernelIaEEvPKT_PS3_PlPK15HIP_vector_typeIiLj2EEii
                                        ; -- End function
	.set _ZN2at6native12_GLOBAL__N_123sort_postprocess_kernelIaEEvPKT_PS3_PlPK15HIP_vector_typeIiLj2EEii.num_vgpr, 16
	.set _ZN2at6native12_GLOBAL__N_123sort_postprocess_kernelIaEEvPKT_PS3_PlPK15HIP_vector_typeIiLj2EEii.num_agpr, 0
	.set _ZN2at6native12_GLOBAL__N_123sort_postprocess_kernelIaEEvPKT_PS3_PlPK15HIP_vector_typeIiLj2EEii.numbered_sgpr, 22
	.set _ZN2at6native12_GLOBAL__N_123sort_postprocess_kernelIaEEvPKT_PS3_PlPK15HIP_vector_typeIiLj2EEii.num_named_barrier, 0
	.set _ZN2at6native12_GLOBAL__N_123sort_postprocess_kernelIaEEvPKT_PS3_PlPK15HIP_vector_typeIiLj2EEii.private_seg_size, 0
	.set _ZN2at6native12_GLOBAL__N_123sort_postprocess_kernelIaEEvPKT_PS3_PlPK15HIP_vector_typeIiLj2EEii.uses_vcc, 1
	.set _ZN2at6native12_GLOBAL__N_123sort_postprocess_kernelIaEEvPKT_PS3_PlPK15HIP_vector_typeIiLj2EEii.uses_flat_scratch, 0
	.set _ZN2at6native12_GLOBAL__N_123sort_postprocess_kernelIaEEvPKT_PS3_PlPK15HIP_vector_typeIiLj2EEii.has_dyn_sized_stack, 0
	.set _ZN2at6native12_GLOBAL__N_123sort_postprocess_kernelIaEEvPKT_PS3_PlPK15HIP_vector_typeIiLj2EEii.has_recursion, 0
	.set _ZN2at6native12_GLOBAL__N_123sort_postprocess_kernelIaEEvPKT_PS3_PlPK15HIP_vector_typeIiLj2EEii.has_indirect_call, 0
	.section	.AMDGPU.csdata,"",@progbits
; Kernel info:
; codeLenInByte = 500
; TotalNumSgprs: 24
; NumVgprs: 16
; ScratchSize: 0
; MemoryBound: 0
; FloatMode: 240
; IeeeMode: 1
; LDSByteSize: 0 bytes/workgroup (compile time only)
; SGPRBlocks: 0
; VGPRBlocks: 0
; NumSGPRsForWavesPerEU: 24
; NumVGPRsForWavesPerEU: 16
; NamedBarCnt: 0
; Occupancy: 16
; WaveLimiterHint : 1
; COMPUTE_PGM_RSRC2:SCRATCH_EN: 0
; COMPUTE_PGM_RSRC2:USER_SGPR: 2
; COMPUTE_PGM_RSRC2:TRAP_HANDLER: 0
; COMPUTE_PGM_RSRC2:TGID_X_EN: 1
; COMPUTE_PGM_RSRC2:TGID_Y_EN: 0
; COMPUTE_PGM_RSRC2:TGID_Z_EN: 0
; COMPUTE_PGM_RSRC2:TIDIG_COMP_CNT: 0
	.section	.text._ZN7rocprim17ROCPRIM_400000_NS6detail17trampoline_kernelINS0_13select_configILj256ELj13ELNS0_17block_load_methodE3ELS4_3ELS4_3ELNS0_20block_scan_algorithmE0ELj4294967295EEENS1_25partition_config_selectorILNS1_17partition_subalgoE4EjNS0_10empty_typeEbEEZZNS1_14partition_implILS8_4ELb0ES6_15HIP_vector_typeIjLj2EENS0_17counting_iteratorIjlEEPS9_SG_NS0_5tupleIJPjSI_NS0_16reverse_iteratorISI_EEEEENSH_IJSG_SG_SG_EEES9_SI_JZNS1_25segmented_radix_sort_implINS0_14default_configELb1EPKaPaPKlPlN2at6native12_GLOBAL__N_18offset_tEEE10hipError_tPvRmT1_PNSt15iterator_traitsIS12_E10value_typeET2_T3_PNS13_IS18_E10value_typeET4_jRbjT5_S1E_jjP12ihipStream_tbEUljE_ZNSN_ISO_Lb1ESQ_SR_ST_SU_SY_EESZ_S10_S11_S12_S16_S17_S18_S1B_S1C_jS1D_jS1E_S1E_jjS1G_bEUljE0_EEESZ_S10_S11_S18_S1C_S1E_T6_T7_T9_mT8_S1G_bDpT10_ENKUlT_T0_E_clISt17integral_constantIbLb0EES1U_EEDaS1P_S1Q_EUlS1P_E_NS1_11comp_targetILNS1_3genE0ELNS1_11target_archE4294967295ELNS1_3gpuE0ELNS1_3repE0EEENS1_30default_config_static_selectorELNS0_4arch9wavefront6targetE0EEEvS12_,"axG",@progbits,_ZN7rocprim17ROCPRIM_400000_NS6detail17trampoline_kernelINS0_13select_configILj256ELj13ELNS0_17block_load_methodE3ELS4_3ELS4_3ELNS0_20block_scan_algorithmE0ELj4294967295EEENS1_25partition_config_selectorILNS1_17partition_subalgoE4EjNS0_10empty_typeEbEEZZNS1_14partition_implILS8_4ELb0ES6_15HIP_vector_typeIjLj2EENS0_17counting_iteratorIjlEEPS9_SG_NS0_5tupleIJPjSI_NS0_16reverse_iteratorISI_EEEEENSH_IJSG_SG_SG_EEES9_SI_JZNS1_25segmented_radix_sort_implINS0_14default_configELb1EPKaPaPKlPlN2at6native12_GLOBAL__N_18offset_tEEE10hipError_tPvRmT1_PNSt15iterator_traitsIS12_E10value_typeET2_T3_PNS13_IS18_E10value_typeET4_jRbjT5_S1E_jjP12ihipStream_tbEUljE_ZNSN_ISO_Lb1ESQ_SR_ST_SU_SY_EESZ_S10_S11_S12_S16_S17_S18_S1B_S1C_jS1D_jS1E_S1E_jjS1G_bEUljE0_EEESZ_S10_S11_S18_S1C_S1E_T6_T7_T9_mT8_S1G_bDpT10_ENKUlT_T0_E_clISt17integral_constantIbLb0EES1U_EEDaS1P_S1Q_EUlS1P_E_NS1_11comp_targetILNS1_3genE0ELNS1_11target_archE4294967295ELNS1_3gpuE0ELNS1_3repE0EEENS1_30default_config_static_selectorELNS0_4arch9wavefront6targetE0EEEvS12_,comdat
	.globl	_ZN7rocprim17ROCPRIM_400000_NS6detail17trampoline_kernelINS0_13select_configILj256ELj13ELNS0_17block_load_methodE3ELS4_3ELS4_3ELNS0_20block_scan_algorithmE0ELj4294967295EEENS1_25partition_config_selectorILNS1_17partition_subalgoE4EjNS0_10empty_typeEbEEZZNS1_14partition_implILS8_4ELb0ES6_15HIP_vector_typeIjLj2EENS0_17counting_iteratorIjlEEPS9_SG_NS0_5tupleIJPjSI_NS0_16reverse_iteratorISI_EEEEENSH_IJSG_SG_SG_EEES9_SI_JZNS1_25segmented_radix_sort_implINS0_14default_configELb1EPKaPaPKlPlN2at6native12_GLOBAL__N_18offset_tEEE10hipError_tPvRmT1_PNSt15iterator_traitsIS12_E10value_typeET2_T3_PNS13_IS18_E10value_typeET4_jRbjT5_S1E_jjP12ihipStream_tbEUljE_ZNSN_ISO_Lb1ESQ_SR_ST_SU_SY_EESZ_S10_S11_S12_S16_S17_S18_S1B_S1C_jS1D_jS1E_S1E_jjS1G_bEUljE0_EEESZ_S10_S11_S18_S1C_S1E_T6_T7_T9_mT8_S1G_bDpT10_ENKUlT_T0_E_clISt17integral_constantIbLb0EES1U_EEDaS1P_S1Q_EUlS1P_E_NS1_11comp_targetILNS1_3genE0ELNS1_11target_archE4294967295ELNS1_3gpuE0ELNS1_3repE0EEENS1_30default_config_static_selectorELNS0_4arch9wavefront6targetE0EEEvS12_ ; -- Begin function _ZN7rocprim17ROCPRIM_400000_NS6detail17trampoline_kernelINS0_13select_configILj256ELj13ELNS0_17block_load_methodE3ELS4_3ELS4_3ELNS0_20block_scan_algorithmE0ELj4294967295EEENS1_25partition_config_selectorILNS1_17partition_subalgoE4EjNS0_10empty_typeEbEEZZNS1_14partition_implILS8_4ELb0ES6_15HIP_vector_typeIjLj2EENS0_17counting_iteratorIjlEEPS9_SG_NS0_5tupleIJPjSI_NS0_16reverse_iteratorISI_EEEEENSH_IJSG_SG_SG_EEES9_SI_JZNS1_25segmented_radix_sort_implINS0_14default_configELb1EPKaPaPKlPlN2at6native12_GLOBAL__N_18offset_tEEE10hipError_tPvRmT1_PNSt15iterator_traitsIS12_E10value_typeET2_T3_PNS13_IS18_E10value_typeET4_jRbjT5_S1E_jjP12ihipStream_tbEUljE_ZNSN_ISO_Lb1ESQ_SR_ST_SU_SY_EESZ_S10_S11_S12_S16_S17_S18_S1B_S1C_jS1D_jS1E_S1E_jjS1G_bEUljE0_EEESZ_S10_S11_S18_S1C_S1E_T6_T7_T9_mT8_S1G_bDpT10_ENKUlT_T0_E_clISt17integral_constantIbLb0EES1U_EEDaS1P_S1Q_EUlS1P_E_NS1_11comp_targetILNS1_3genE0ELNS1_11target_archE4294967295ELNS1_3gpuE0ELNS1_3repE0EEENS1_30default_config_static_selectorELNS0_4arch9wavefront6targetE0EEEvS12_
	.p2align	8
	.type	_ZN7rocprim17ROCPRIM_400000_NS6detail17trampoline_kernelINS0_13select_configILj256ELj13ELNS0_17block_load_methodE3ELS4_3ELS4_3ELNS0_20block_scan_algorithmE0ELj4294967295EEENS1_25partition_config_selectorILNS1_17partition_subalgoE4EjNS0_10empty_typeEbEEZZNS1_14partition_implILS8_4ELb0ES6_15HIP_vector_typeIjLj2EENS0_17counting_iteratorIjlEEPS9_SG_NS0_5tupleIJPjSI_NS0_16reverse_iteratorISI_EEEEENSH_IJSG_SG_SG_EEES9_SI_JZNS1_25segmented_radix_sort_implINS0_14default_configELb1EPKaPaPKlPlN2at6native12_GLOBAL__N_18offset_tEEE10hipError_tPvRmT1_PNSt15iterator_traitsIS12_E10value_typeET2_T3_PNS13_IS18_E10value_typeET4_jRbjT5_S1E_jjP12ihipStream_tbEUljE_ZNSN_ISO_Lb1ESQ_SR_ST_SU_SY_EESZ_S10_S11_S12_S16_S17_S18_S1B_S1C_jS1D_jS1E_S1E_jjS1G_bEUljE0_EEESZ_S10_S11_S18_S1C_S1E_T6_T7_T9_mT8_S1G_bDpT10_ENKUlT_T0_E_clISt17integral_constantIbLb0EES1U_EEDaS1P_S1Q_EUlS1P_E_NS1_11comp_targetILNS1_3genE0ELNS1_11target_archE4294967295ELNS1_3gpuE0ELNS1_3repE0EEENS1_30default_config_static_selectorELNS0_4arch9wavefront6targetE0EEEvS12_,@function
_ZN7rocprim17ROCPRIM_400000_NS6detail17trampoline_kernelINS0_13select_configILj256ELj13ELNS0_17block_load_methodE3ELS4_3ELS4_3ELNS0_20block_scan_algorithmE0ELj4294967295EEENS1_25partition_config_selectorILNS1_17partition_subalgoE4EjNS0_10empty_typeEbEEZZNS1_14partition_implILS8_4ELb0ES6_15HIP_vector_typeIjLj2EENS0_17counting_iteratorIjlEEPS9_SG_NS0_5tupleIJPjSI_NS0_16reverse_iteratorISI_EEEEENSH_IJSG_SG_SG_EEES9_SI_JZNS1_25segmented_radix_sort_implINS0_14default_configELb1EPKaPaPKlPlN2at6native12_GLOBAL__N_18offset_tEEE10hipError_tPvRmT1_PNSt15iterator_traitsIS12_E10value_typeET2_T3_PNS13_IS18_E10value_typeET4_jRbjT5_S1E_jjP12ihipStream_tbEUljE_ZNSN_ISO_Lb1ESQ_SR_ST_SU_SY_EESZ_S10_S11_S12_S16_S17_S18_S1B_S1C_jS1D_jS1E_S1E_jjS1G_bEUljE0_EEESZ_S10_S11_S18_S1C_S1E_T6_T7_T9_mT8_S1G_bDpT10_ENKUlT_T0_E_clISt17integral_constantIbLb0EES1U_EEDaS1P_S1Q_EUlS1P_E_NS1_11comp_targetILNS1_3genE0ELNS1_11target_archE4294967295ELNS1_3gpuE0ELNS1_3repE0EEENS1_30default_config_static_selectorELNS0_4arch9wavefront6targetE0EEEvS12_: ; @_ZN7rocprim17ROCPRIM_400000_NS6detail17trampoline_kernelINS0_13select_configILj256ELj13ELNS0_17block_load_methodE3ELS4_3ELS4_3ELNS0_20block_scan_algorithmE0ELj4294967295EEENS1_25partition_config_selectorILNS1_17partition_subalgoE4EjNS0_10empty_typeEbEEZZNS1_14partition_implILS8_4ELb0ES6_15HIP_vector_typeIjLj2EENS0_17counting_iteratorIjlEEPS9_SG_NS0_5tupleIJPjSI_NS0_16reverse_iteratorISI_EEEEENSH_IJSG_SG_SG_EEES9_SI_JZNS1_25segmented_radix_sort_implINS0_14default_configELb1EPKaPaPKlPlN2at6native12_GLOBAL__N_18offset_tEEE10hipError_tPvRmT1_PNSt15iterator_traitsIS12_E10value_typeET2_T3_PNS13_IS18_E10value_typeET4_jRbjT5_S1E_jjP12ihipStream_tbEUljE_ZNSN_ISO_Lb1ESQ_SR_ST_SU_SY_EESZ_S10_S11_S12_S16_S17_S18_S1B_S1C_jS1D_jS1E_S1E_jjS1G_bEUljE0_EEESZ_S10_S11_S18_S1C_S1E_T6_T7_T9_mT8_S1G_bDpT10_ENKUlT_T0_E_clISt17integral_constantIbLb0EES1U_EEDaS1P_S1Q_EUlS1P_E_NS1_11comp_targetILNS1_3genE0ELNS1_11target_archE4294967295ELNS1_3gpuE0ELNS1_3repE0EEENS1_30default_config_static_selectorELNS0_4arch9wavefront6targetE0EEEvS12_
; %bb.0:
	s_clause 0x4
	s_load_b128 s[24:27], s[0:1], 0x58
	s_load_b32 s4, s[0:1], 0x80
	s_load_b64 s[34:35], s[0:1], 0x10
	s_load_b64 s[2:3], s[0:1], 0x68
	s_load_b32 s8, s[0:1], 0x8
	s_bfe_u32 s5, ttmp6, 0x4000c
	s_and_b32 s6, ttmp6, 15
	s_add_co_i32 s5, s5, 1
	s_getreg_b32 s7, hwreg(HW_REG_IB_STS2, 6, 4)
	s_mul_i32 s5, ttmp9, s5
	s_load_b64 s[42:43], s[0:1], 0xa8
	s_add_co_i32 s6, s6, s5
	s_cmp_eq_u32 s7, 0
	s_load_b256 s[16:23], s[0:1], 0x88
	s_cselect_b32 s33, ttmp9, s6
	s_mov_b32 s5, 0
	s_mul_i32 s40, s33, 0xd00
	s_wait_kmcnt 0x0
	s_add_co_i32 s9, s4, -1
	s_mulk_i32 s4, 0xd00
	s_load_b128 s[28:31], s[26:27], 0x0
	s_cmp_eq_u32 s33, s9
	s_add_nc_u64 s[6:7], s[34:35], s[4:5]
	s_cselect_b32 s15, -1, 0
	s_cmp_lg_u32 s33, s9
	v_cmp_gt_u64_e64 s3, s[2:3], s[6:7]
	s_cselect_b32 s5, -1, 0
	s_add_co_i32 s6, s8, s40
	s_delay_alu instid0(SALU_CYCLE_1) | instskip(NEXT) | instid1(SALU_CYCLE_1)
	s_add_co_i32 s6, s6, s34
	v_add_nc_u32_e32 v1, s6, v0
	s_or_b32 s3, s5, s3
	s_mov_b32 s5, -1
	s_and_b32 vcc_lo, exec_lo, s3
	s_delay_alu instid0(VALU_DEP_1)
	v_add_nc_u32_e32 v2, 0x100, v1
	v_add_nc_u32_e32 v3, 0x200, v1
	v_add_nc_u32_e32 v4, 0x300, v1
	v_add_nc_u32_e32 v5, 0x400, v1
	v_add_nc_u32_e32 v6, 0x500, v1
	v_add_nc_u32_e32 v7, 0x600, v1
	v_add_nc_u32_e32 v8, 0x700, v1
	v_add_nc_u32_e32 v9, 0x800, v1
	v_add_nc_u32_e32 v10, 0x900, v1
	v_add_nc_u32_e32 v11, 0xa00, v1
	v_add_nc_u32_e32 v12, 0xb00, v1
	v_add_nc_u32_e32 v13, 0xc00, v1
	s_cbranch_vccz .LBB224_2
; %bb.1:
	v_lshlrev_b32_e32 v14, 2, v0
	s_mov_b32 s5, 0
	ds_store_2addr_stride64_b32 v14, v1, v2 offset1:4
	ds_store_2addr_stride64_b32 v14, v3, v4 offset0:8 offset1:12
	ds_store_2addr_stride64_b32 v14, v5, v6 offset0:16 offset1:20
	;; [unrolled: 1-line block ×5, first 2 shown]
	ds_store_b32 v14, v13 offset:12288
	s_wait_dscnt 0x0
	s_barrier_signal -1
	s_barrier_wait -1
.LBB224_2:
	s_and_not1_b32 vcc_lo, exec_lo, s5
	s_add_co_i32 s4, s4, s34
	s_cbranch_vccnz .LBB224_4
; %bb.3:
	v_lshlrev_b32_e32 v14, 2, v0
	ds_store_2addr_stride64_b32 v14, v1, v2 offset1:4
	ds_store_2addr_stride64_b32 v14, v3, v4 offset0:8 offset1:12
	ds_store_2addr_stride64_b32 v14, v5, v6 offset0:16 offset1:20
	;; [unrolled: 1-line block ×5, first 2 shown]
	ds_store_b32 v14, v13 offset:12288
	s_wait_dscnt 0x0
	s_barrier_signal -1
	s_barrier_wait -1
.LBB224_4:
	v_mul_u32_u24_e32 v30, 13, v0
	s_load_b128 s[36:39], s[0:1], 0x28
	s_wait_xcnt 0x0
	s_load_b64 s[26:27], s[0:1], 0x38
	v_cndmask_b32_e64 v29, 0, 1, s3
	s_sub_co_i32 s41, s2, s4
	v_lshlrev_b32_e32 v1, 2, v30
	s_and_not1_b32 vcc_lo, exec_lo, s3
	ds_load_b32 v28, v1 offset:48
	ds_load_2addr_b32 v[10:11], v1 offset0:10 offset1:11
	ds_load_2addr_b32 v[12:13], v1 offset0:8 offset1:9
	;; [unrolled: 1-line block ×4, first 2 shown]
	ds_load_2addr_b32 v[20:21], v1 offset1:1
	ds_load_2addr_b32 v[18:19], v1 offset0:2 offset1:3
	s_wait_dscnt 0x0
	s_barrier_signal -1
	s_barrier_wait -1
	s_cbranch_vccnz .LBB224_32
; %bb.5:
	v_dual_add_nc_u32 v1, s17, v20 :: v_dual_add_nc_u32 v2, s19, v20
	s_mov_b32 s45, 0
	s_mov_b32 s44, 0
	s_mov_b32 s3, exec_lo
	s_delay_alu instid0(VALU_DEP_1) | instskip(SKIP_1) | instid1(VALU_DEP_1)
	v_mul_lo_u32 v1, v1, s16
	v_mul_lo_u32 v2, v2, s18
	v_sub_nc_u32_e32 v1, v1, v2
	s_delay_alu instid0(VALU_DEP_1)
	v_cmp_lt_u32_e32 vcc_lo, s20, v1
	v_cmpx_ge_u32_e64 s20, v1
	s_cbranch_execz .LBB224_7
; %bb.6:
	v_dual_add_nc_u32 v1, s22, v20 :: v_dual_add_nc_u32 v2, s42, v20
	s_delay_alu instid0(VALU_DEP_1) | instskip(NEXT) | instid1(VALU_DEP_2)
	v_mul_lo_u32 v1, v1, s21
	v_mul_lo_u32 v2, v2, s23
	s_delay_alu instid0(VALU_DEP_1) | instskip(NEXT) | instid1(VALU_DEP_1)
	v_sub_nc_u32_e32 v1, v1, v2
	v_cmp_lt_u32_e64 s2, s43, v1
	s_and_b32 s44, s2, exec_lo
.LBB224_7:
	s_or_b32 exec_lo, exec_lo, s3
	v_dual_add_nc_u32 v1, s17, v21 :: v_dual_add_nc_u32 v2, s19, v21
	s_mov_b32 s4, exec_lo
	s_delay_alu instid0(VALU_DEP_1) | instskip(NEXT) | instid1(VALU_DEP_2)
	v_mul_lo_u32 v1, v1, s16
	v_mul_lo_u32 v2, v2, s18
	s_delay_alu instid0(VALU_DEP_1) | instskip(NEXT) | instid1(VALU_DEP_1)
	v_sub_nc_u32_e32 v1, v1, v2
	v_cmp_lt_u32_e64 s2, s20, v1
	v_cmpx_ge_u32_e64 s20, v1
	s_cbranch_execz .LBB224_9
; %bb.8:
	v_dual_add_nc_u32 v1, s22, v21 :: v_dual_add_nc_u32 v2, s42, v21
	s_delay_alu instid0(VALU_DEP_1) | instskip(NEXT) | instid1(VALU_DEP_2)
	v_mul_lo_u32 v1, v1, s21
	v_mul_lo_u32 v2, v2, s23
	s_delay_alu instid0(VALU_DEP_1) | instskip(NEXT) | instid1(VALU_DEP_1)
	v_sub_nc_u32_e32 v1, v1, v2
	v_cmp_lt_u32_e64 s3, s43, v1
	s_and_b32 s45, s3, exec_lo
.LBB224_9:
	s_or_b32 exec_lo, exec_lo, s4
	v_dual_add_nc_u32 v1, s17, v18 :: v_dual_add_nc_u32 v2, s19, v18
	s_mov_b32 s47, 0
	s_mov_b32 s46, 0
	s_mov_b32 s5, exec_lo
	s_delay_alu instid0(VALU_DEP_1) | instskip(SKIP_1) | instid1(VALU_DEP_1)
	v_mul_lo_u32 v1, v1, s16
	v_mul_lo_u32 v2, v2, s18
	v_sub_nc_u32_e32 v1, v1, v2
	s_delay_alu instid0(VALU_DEP_1)
	v_cmp_lt_u32_e64 s3, s20, v1
	v_cmpx_ge_u32_e64 s20, v1
	s_cbranch_execz .LBB224_11
; %bb.10:
	v_dual_add_nc_u32 v1, s22, v18 :: v_dual_add_nc_u32 v2, s42, v18
	s_delay_alu instid0(VALU_DEP_1) | instskip(NEXT) | instid1(VALU_DEP_2)
	v_mul_lo_u32 v1, v1, s21
	v_mul_lo_u32 v2, v2, s23
	s_delay_alu instid0(VALU_DEP_1) | instskip(NEXT) | instid1(VALU_DEP_1)
	v_sub_nc_u32_e32 v1, v1, v2
	v_cmp_lt_u32_e64 s4, s43, v1
	s_and_b32 s46, s4, exec_lo
.LBB224_11:
	s_or_b32 exec_lo, exec_lo, s5
	v_dual_add_nc_u32 v1, s17, v19 :: v_dual_add_nc_u32 v2, s19, v19
	s_mov_b32 s6, exec_lo
	s_delay_alu instid0(VALU_DEP_1) | instskip(NEXT) | instid1(VALU_DEP_2)
	v_mul_lo_u32 v1, v1, s16
	v_mul_lo_u32 v2, v2, s18
	s_delay_alu instid0(VALU_DEP_1) | instskip(NEXT) | instid1(VALU_DEP_1)
	v_sub_nc_u32_e32 v1, v1, v2
	v_cmp_lt_u32_e64 s4, s20, v1
	v_cmpx_ge_u32_e64 s20, v1
	s_cbranch_execz .LBB224_13
; %bb.12:
	v_dual_add_nc_u32 v1, s22, v19 :: v_dual_add_nc_u32 v2, s42, v19
	s_delay_alu instid0(VALU_DEP_1) | instskip(NEXT) | instid1(VALU_DEP_2)
	v_mul_lo_u32 v1, v1, s21
	v_mul_lo_u32 v2, v2, s23
	s_delay_alu instid0(VALU_DEP_1) | instskip(NEXT) | instid1(VALU_DEP_1)
	v_sub_nc_u32_e32 v1, v1, v2
	v_cmp_lt_u32_e64 s5, s43, v1
	s_and_b32 s47, s5, exec_lo
.LBB224_13:
	s_or_b32 exec_lo, exec_lo, s6
	v_dual_add_nc_u32 v1, s17, v16 :: v_dual_add_nc_u32 v2, s19, v16
	s_mov_b32 s49, 0
	s_mov_b32 s48, 0
	s_mov_b32 s7, exec_lo
	s_delay_alu instid0(VALU_DEP_1) | instskip(SKIP_1) | instid1(VALU_DEP_1)
	v_mul_lo_u32 v1, v1, s16
	v_mul_lo_u32 v2, v2, s18
	v_sub_nc_u32_e32 v1, v1, v2
	s_delay_alu instid0(VALU_DEP_1)
	v_cmp_lt_u32_e64 s5, s20, v1
	;; [unrolled: 44-line block ×6, first 2 shown]
	v_cmpx_ge_u32_e64 s20, v1
	s_cbranch_execz .LBB224_31
; %bb.30:
	v_dual_add_nc_u32 v1, s22, v28 :: v_dual_add_nc_u32 v2, s42, v28
	s_delay_alu instid0(VALU_DEP_1) | instskip(NEXT) | instid1(VALU_DEP_2)
	v_mul_lo_u32 v1, v1, s21
	v_mul_lo_u32 v2, v2, s23
	s_delay_alu instid0(VALU_DEP_1) | instskip(NEXT) | instid1(VALU_DEP_1)
	v_sub_nc_u32_e32 v1, v1, v2
	v_cmp_lt_u32_e64 s14, s43, v1
	s_and_b32 s57, s14, exec_lo
.LBB224_31:
	s_or_b32 exec_lo, exec_lo, s58
	v_cndmask_b32_e64 v2, 0, 1, s2
	v_cndmask_b32_e64 v4, 0, 1, s4
	v_cndmask_b32_e64 v1, 0, 1, vcc_lo
	v_cndmask_b32_e64 v3, 0, 1, s3
	v_cndmask_b32_e64 v6, 0, 1, s6
	v_lshlrev_b16 v2, 8, v2
	v_lshlrev_b16 v4, 8, v4
	v_cndmask_b32_e64 v8, 0, 1, s8
	v_cndmask_b32_e64 v22, 0, 1, s10
	;; [unrolled: 1-line block ×3, first 2 shown]
	v_or_b32_e32 v1, v1, v2
	v_or_b32_e32 v2, v3, v4
	v_cndmask_b32_e64 v4, 0, 1, s46
	v_cndmask_b32_e64 v5, 0, 1, s5
	;; [unrolled: 1-line block ×4, first 2 shown]
	v_lshlrev_b32_e32 v2, 16, v2
	v_and_b32_e32 v1, 0xffff, v1
	v_cndmask_b32_e64 v33, 0, 1, s50
	v_cndmask_b32_e64 v36, 0, 1, s48
	;; [unrolled: 1-line block ×4, first 2 shown]
	v_or_b32_e32 v31, v1, v2
	v_lshlrev_b16 v1, 8, v6
	v_lshlrev_b16 v2, 8, v8
	;; [unrolled: 1-line block ×5, first 2 shown]
	v_cndmask_b32_e64 v7, 0, 1, s7
	v_cndmask_b32_e64 v24, 0, 1, s56
	;; [unrolled: 1-line block ×6, first 2 shown]
	v_lshlrev_b16 v22, 8, v39
	v_or_b32_e32 v4, v37, v4
	v_or_b32_e32 v1, v5, v1
	;; [unrolled: 1-line block ×4, first 2 shown]
	v_lshlrev_b16 v8, 8, v36
	v_lshlrev_b16 v9, 8, v33
	v_cndmask_b32_e64 v26, 0, 1, s54
	v_cndmask_b32_e64 v32, 0, 1, s51
	v_lshlrev_b16 v23, 8, v24
	v_or_b32_e32 v3, v3, v8
	v_or_b32_e32 v8, v35, v9
	;; [unrolled: 1-line block ×4, first 2 shown]
	v_lshlrev_b16 v22, 8, v27
	v_and_b32_e32 v5, 0xffff, v5
	v_lshlrev_b32_e32 v4, 16, v4
	v_and_b32_e32 v1, 0xffff, v1
	v_and_b32_e32 v7, 0xffff, v7
	v_or_b32_e32 v9, v32, v22
	v_or_b32_e32 v22, v26, v23
	v_and_b32_e32 v3, 0xffff, v3
	v_dual_lshlrev_b32 v8, 16, v8 :: v_dual_lshlrev_b32 v2, 16, v2
	s_delay_alu instid0(VALU_DEP_4) | instskip(NEXT) | instid1(VALU_DEP_4)
	v_and_b32_e32 v9, 0xffff, v9
	v_lshlrev_b32_e32 v22, 16, v22
	v_lshlrev_b32_e32 v6, 16, v6
	v_cndmask_b32_e64 v34, 0, 1, s55
	v_cndmask_b32_e64 v38, 0, 1, s57
	v_or_b32_e32 v33, v1, v2
	v_or_b32_e32 v37, v7, v4
	;; [unrolled: 1-line block ×5, first 2 shown]
	s_load_b64 s[4:5], s[0:1], 0x78
	s_and_b32 vcc_lo, exec_lo, s52
	s_add_co_i32 s6, s41, 0xd00
	s_cbranch_vccnz .LBB224_33
	s_branch .LBB224_110
.LBB224_32:
                                        ; implicit-def: $vgpr38
                                        ; implicit-def: $vgpr34
                                        ; implicit-def: $vgpr35
                                        ; implicit-def: $vgpr32
                                        ; implicit-def: $vgpr37
                                        ; implicit-def: $vgpr36
                                        ; implicit-def: $vgpr33
                                        ; implicit-def: $vgpr31
	s_load_b64 s[4:5], s[0:1], 0x78
	s_add_co_i32 s6, s41, 0xd00
	s_cbranch_execz .LBB224_110
.LBB224_33:
	v_dual_mov_b32 v2, 0 :: v_dual_mov_b32 v1, 0
	s_wait_xcnt 0x0
	s_mov_b32 s1, exec_lo
	v_cmpx_gt_u32_e64 s6, v30
	s_cbranch_execz .LBB224_37
; %bb.34:
	v_dual_add_nc_u32 v1, s17, v20 :: v_dual_add_nc_u32 v2, s19, v20
	s_mov_b32 s3, 0
	s_mov_b32 s2, exec_lo
	s_delay_alu instid0(VALU_DEP_1) | instskip(NEXT) | instid1(VALU_DEP_2)
	v_mul_lo_u32 v1, v1, s16
	v_mul_lo_u32 v2, v2, s18
	s_delay_alu instid0(VALU_DEP_1) | instskip(NEXT) | instid1(VALU_DEP_1)
	v_sub_nc_u32_e32 v1, v1, v2
	v_cmp_lt_u32_e32 vcc_lo, s20, v1
	v_cmpx_ge_u32_e64 s20, v1
	s_cbranch_execz .LBB224_36
; %bb.35:
	v_dual_add_nc_u32 v1, s22, v20 :: v_dual_add_nc_u32 v2, s42, v20
	s_delay_alu instid0(VALU_DEP_1) | instskip(NEXT) | instid1(VALU_DEP_2)
	v_mul_lo_u32 v1, v1, s21
	v_mul_lo_u32 v2, v2, s23
	s_delay_alu instid0(VALU_DEP_1) | instskip(NEXT) | instid1(VALU_DEP_1)
	v_sub_nc_u32_e32 v1, v1, v2
	v_cmp_lt_u32_e64 s0, s43, v1
	s_and_b32 s3, s0, exec_lo
.LBB224_36:
	s_or_b32 exec_lo, exec_lo, s2
	v_cndmask_b32_e64 v2, 0, 1, s3
	v_cndmask_b32_e64 v1, 0, 1, vcc_lo
.LBB224_37:
	s_or_b32 exec_lo, exec_lo, s1
	s_delay_alu instid0(VALU_DEP_2) | instskip(SKIP_2) | instid1(VALU_DEP_3)
	v_lshlrev_b16 v2, 8, v2
	v_add_nc_u32_e32 v3, 1, v30
	v_lshlrev_b16 v9, 8, 0
                                        ; implicit-def: $vgpr5
                                        ; implicit-def: $vgpr7
                                        ; implicit-def: $vgpr4
                                        ; implicit-def: $vgpr8
	v_and_b32_e32 v6, 0xffff, v2
	s_delay_alu instid0(VALU_DEP_3) | instskip(NEXT) | instid1(VALU_DEP_2)
	v_cmp_le_u32_e32 vcc_lo, s6, v3
                                        ; implicit-def: $vgpr3
                                        ; implicit-def: $vgpr2
	v_lshrrev_b32_e32 v22, 8, v6
	s_and_saveexec_b32 s0, vcc_lo
	s_delay_alu instid0(SALU_CYCLE_1)
	s_xor_b32 s0, exec_lo, s0
	s_cbranch_execz .LBB224_39
; %bb.38:
	s_delay_alu instid0(VALU_DEP_1) | instskip(SKIP_3) | instid1(VALU_DEP_4)
	v_lshlrev_b16 v2, 8, v22
	v_bitop3_b16 v3, 0, v9, 0xff bitop3:0xec
	v_and_b32_e32 v8, 0xff, v1
                                        ; implicit-def: $vgpr1
                                        ; implicit-def: $vgpr9
                                        ; implicit-def: $vgpr22
	v_mov_b32_e32 v5, 0
	v_bitop3_b16 v6, v6, v2, 0xff bitop3:0xec
	v_mov_b32_e32 v2, 0
	v_and_b32_e32 v4, 0xffff, v3
	v_and_b32_e32 v3, 0xffff, v3
	s_delay_alu instid0(VALU_DEP_4)
	v_and_b32_e32 v7, 0xffff, v6
                                        ; implicit-def: $vgpr6
.LBB224_39:
	s_and_not1_saveexec_b32 s1, s0
	s_cbranch_execz .LBB224_43
; %bb.40:
	v_dual_add_nc_u32 v2, s17, v21 :: v_dual_add_nc_u32 v3, s19, v21
	s_mov_b32 s2, 0
	s_mov_b32 s3, exec_lo
	s_delay_alu instid0(VALU_DEP_1) | instskip(NEXT) | instid1(VALU_DEP_2)
	v_mul_lo_u32 v2, v2, s16
	v_mul_lo_u32 v3, v3, s18
	s_delay_alu instid0(VALU_DEP_1) | instskip(NEXT) | instid1(VALU_DEP_1)
	v_sub_nc_u32_e32 v2, v2, v3
	v_cmp_lt_u32_e32 vcc_lo, s20, v2
	v_cmpx_ge_u32_e64 s20, v2
	s_cbranch_execz .LBB224_42
; %bb.41:
	v_dual_add_nc_u32 v2, s22, v21 :: v_dual_add_nc_u32 v3, s42, v21
	s_delay_alu instid0(VALU_DEP_1) | instskip(NEXT) | instid1(VALU_DEP_2)
	v_mul_lo_u32 v2, v2, s21
	v_mul_lo_u32 v3, v3, s23
	s_delay_alu instid0(VALU_DEP_1) | instskip(NEXT) | instid1(VALU_DEP_1)
	v_sub_nc_u32_e32 v2, v2, v3
	v_cmp_lt_u32_e64 s0, s43, v2
	s_and_b32 s2, s0, exec_lo
.LBB224_42:
	s_or_b32 exec_lo, exec_lo, s3
	v_cndmask_b32_e64 v2, 0, 1, vcc_lo
	v_lshlrev_b16 v3, 8, v22
	v_cndmask_b32_e64 v7, 0, 1, s2
	v_mov_b32_e32 v5, 0
	s_delay_alu instid0(VALU_DEP_4) | instskip(NEXT) | instid1(VALU_DEP_4)
	v_lshlrev_b16 v2, 8, v2
	v_bitop3_b16 v3, v6, v3, 0xff bitop3:0xec
	v_bitop3_b16 v6, 0, v9, 0xff bitop3:0xec
	s_delay_alu instid0(VALU_DEP_3) | instskip(NEXT) | instid1(VALU_DEP_3)
	v_bitop3_b16 v1, v1, v2, 0xff bitop3:0xec
	v_and_b32_e32 v3, 0xffff, v3
	v_mov_b32_e32 v2, 0
	s_delay_alu instid0(VALU_DEP_4) | instskip(NEXT) | instid1(VALU_DEP_4)
	v_and_b32_e32 v4, 0xffff, v6
	v_and_b32_e32 v8, 0xffff, v1
	s_delay_alu instid0(VALU_DEP_4)
	v_lshl_or_b32 v7, v7, 16, v3
	v_and_b32_e32 v3, 0xffff, v6
.LBB224_43:
	s_or_b32 exec_lo, exec_lo, s1
	s_delay_alu instid0(VALU_DEP_3) | instskip(NEXT) | instid1(VALU_DEP_1)
	v_dual_add_nc_u32 v1, 2, v30 :: v_dual_lshrrev_b32 v9, 8, v8
                                        ; implicit-def: $vgpr6
	v_cmp_le_u32_e32 vcc_lo, s6, v1
                                        ; implicit-def: $vgpr1
	s_and_saveexec_b32 s0, vcc_lo
	s_delay_alu instid0(SALU_CYCLE_1)
	s_xor_b32 s0, exec_lo, s0
	s_cbranch_execz .LBB224_45
; %bb.44:
	v_lshlrev_b16 v1, 8, v9
	v_and_b32_e32 v9, 0xff0000, v7
	v_perm_b32 v4, v4, v4, 0x3060504
	s_delay_alu instid0(VALU_DEP_3) | instskip(NEXT) | instid1(VALU_DEP_1)
	v_bitop3_b16 v1, v8, v1, 0xff bitop3:0xec
	v_and_b32_e32 v1, 0xffff, v1
	s_delay_alu instid0(VALU_DEP_1)
	v_and_or_b32 v6, 0xff000000, v8, v1
	v_perm_b32 v1, v7, v9, 0x3020504
                                        ; implicit-def: $vgpr9
                                        ; implicit-def: $vgpr8
                                        ; implicit-def: $vgpr7
.LBB224_45:
	s_and_not1_saveexec_b32 s1, s0
	s_cbranch_execz .LBB224_49
; %bb.46:
	v_dual_add_nc_u32 v1, s17, v18 :: v_dual_add_nc_u32 v6, s19, v18
	s_mov_b32 s2, 0
	s_mov_b32 s3, exec_lo
	s_delay_alu instid0(VALU_DEP_1) | instskip(NEXT) | instid1(VALU_DEP_2)
	v_mul_lo_u32 v1, v1, s16
	v_mul_lo_u32 v6, v6, s18
	s_delay_alu instid0(VALU_DEP_1) | instskip(NEXT) | instid1(VALU_DEP_1)
	v_sub_nc_u32_e32 v1, v1, v6
	v_cmp_lt_u32_e32 vcc_lo, s20, v1
	v_cmpx_ge_u32_e64 s20, v1
	s_cbranch_execz .LBB224_48
; %bb.47:
	v_dual_add_nc_u32 v1, s22, v18 :: v_dual_add_nc_u32 v6, s42, v18
	s_delay_alu instid0(VALU_DEP_1) | instskip(NEXT) | instid1(VALU_DEP_2)
	v_mul_lo_u32 v1, v1, s21
	v_mul_lo_u32 v6, v6, s23
	s_delay_alu instid0(VALU_DEP_1) | instskip(NEXT) | instid1(VALU_DEP_1)
	v_sub_nc_u32_e32 v1, v1, v6
	v_cmp_lt_u32_e64 s0, s43, v1
	s_and_b32 s2, s0, exec_lo
.LBB224_48:
	s_or_b32 exec_lo, exec_lo, s3
	v_dual_lshrrev_b32 v1, 24, v8 :: v_dual_lshrrev_b32 v23, 8, v7
	v_cndmask_b32_e64 v6, 0, 1, s2
	v_cndmask_b32_e64 v22, 0, 1, vcc_lo
	v_lshlrev_b16 v9, 8, v9
	s_delay_alu instid0(VALU_DEP_4)
	v_lshlrev_b16 v1, 8, v1
	v_lshrrev_b32_e32 v24, 16, v7
	v_lshlrev_b16 v6, 8, v6
	v_lshlrev_b16 v23, 8, v23
	v_bitop3_b16 v8, v8, v9, 0xff bitop3:0xec
	v_or_b32_e32 v1, v22, v1
	s_delay_alu instid0(VALU_DEP_4) | instskip(NEXT) | instid1(VALU_DEP_4)
	v_bitop3_b16 v6, v24, v6, 0xff bitop3:0xec
	v_bitop3_b16 v7, v7, v23, 0xff bitop3:0xec
	s_delay_alu instid0(VALU_DEP_4) | instskip(NEXT) | instid1(VALU_DEP_3)
	v_and_b32_e32 v8, 0xffff, v8
	v_dual_lshlrev_b32 v1, 16, v1 :: v_dual_lshlrev_b32 v9, 16, v6
	s_delay_alu instid0(VALU_DEP_3) | instskip(NEXT) | instid1(VALU_DEP_2)
	v_and_b32_e32 v7, 0xffff, v7
	v_or_b32_e32 v6, v8, v1
	s_delay_alu instid0(VALU_DEP_2)
	v_or_b32_e32 v1, v7, v9
.LBB224_49:
	s_or_b32 exec_lo, exec_lo, s1
	v_dual_add_nc_u32 v8, 3, v30 :: v_dual_lshrrev_b32 v9, 24, v5
	v_lshrrev_b32_e32 v7, 16, v5
                                        ; implicit-def: $vgpr31
	s_delay_alu instid0(VALU_DEP_2) | instskip(SKIP_2) | instid1(SALU_CYCLE_1)
	v_cmp_le_u32_e32 vcc_lo, s6, v8
	v_lshrrev_b32_e32 v8, 8, v5
                                        ; implicit-def: $vgpr5
	s_and_saveexec_b32 s0, vcc_lo
	s_xor_b32 s0, exec_lo, s0
	s_cbranch_execz .LBB224_51
; %bb.50:
	v_lshlrev_b16 v5, 8, v9
	v_lshlrev_b16 v8, 8, v8
	v_perm_b32 v4, v4, v4, 0x3060504
	v_perm_b32 v3, v3, v3, 0x3060504
                                        ; implicit-def: $vgpr9
	s_delay_alu instid0(VALU_DEP_4) | instskip(SKIP_2) | instid1(VALU_DEP_3)
	v_bitop3_b16 v5, v7, v5, 0xff bitop3:0xec
	v_and_b32_e32 v7, 0xff0000, v6
	v_and_b32_e32 v8, 0xffff, v8
	v_lshlrev_b32_e32 v5, 16, v5
	s_delay_alu instid0(VALU_DEP_3) | instskip(NEXT) | instid1(VALU_DEP_2)
	v_perm_b32 v31, v6, v7, 0x3020504
                                        ; implicit-def: $vgpr6
                                        ; implicit-def: $vgpr7
	v_or_b32_e32 v5, v8, v5
                                        ; implicit-def: $vgpr8
.LBB224_51:
	s_and_not1_saveexec_b32 s1, s0
	s_cbranch_execz .LBB224_55
; %bb.52:
	v_dual_add_nc_u32 v5, s17, v19 :: v_dual_add_nc_u32 v22, s19, v19
	s_mov_b32 s2, 0
	s_mov_b32 s3, exec_lo
	s_delay_alu instid0(VALU_DEP_1) | instskip(NEXT) | instid1(VALU_DEP_2)
	v_mul_lo_u32 v5, v5, s16
	v_mul_lo_u32 v22, v22, s18
	s_delay_alu instid0(VALU_DEP_1) | instskip(NEXT) | instid1(VALU_DEP_1)
	v_sub_nc_u32_e32 v5, v5, v22
	v_cmp_lt_u32_e32 vcc_lo, s20, v5
	v_cmpx_ge_u32_e64 s20, v5
	s_cbranch_execz .LBB224_54
; %bb.53:
	v_dual_add_nc_u32 v5, s22, v19 :: v_dual_add_nc_u32 v22, s42, v19
	s_delay_alu instid0(VALU_DEP_1) | instskip(NEXT) | instid1(VALU_DEP_2)
	v_mul_lo_u32 v5, v5, s21
	v_mul_lo_u32 v22, v22, s23
	s_delay_alu instid0(VALU_DEP_1) | instskip(NEXT) | instid1(VALU_DEP_1)
	v_sub_nc_u32_e32 v5, v5, v22
	v_cmp_lt_u32_e64 s0, s43, v5
	s_and_b32 s2, s0, exec_lo
.LBB224_54:
	s_or_b32 exec_lo, exec_lo, s3
	v_cndmask_b32_e64 v5, 0, 1, vcc_lo
	v_dual_lshrrev_b32 v22, 8, v6 :: v_dual_lshrrev_b32 v24, 16, v6
	v_cndmask_b32_e64 v23, 0, 1, s2
	v_lshlrev_b16 v9, 8, v9
	s_delay_alu instid0(VALU_DEP_4) | instskip(NEXT) | instid1(VALU_DEP_4)
	v_lshlrev_b16 v5, 8, v5
	v_lshlrev_b16 v22, 8, v22
	;; [unrolled: 1-line block ×3, first 2 shown]
	s_delay_alu instid0(VALU_DEP_4) | instskip(NEXT) | instid1(VALU_DEP_4)
	v_bitop3_b16 v7, v7, v9, 0xff bitop3:0xec
	v_bitop3_b16 v5, v24, v5, 0xff bitop3:0xec
	s_delay_alu instid0(VALU_DEP_4) | instskip(NEXT) | instid1(VALU_DEP_3)
	v_bitop3_b16 v6, v6, v22, 0xff bitop3:0xec
	v_dual_lshlrev_b32 v7, 16, v7 :: v_dual_bitop2_b32 v8, v23, v8 bitop3:0x54
	s_delay_alu instid0(VALU_DEP_3) | instskip(NEXT) | instid1(VALU_DEP_3)
	v_lshlrev_b32_e32 v5, 16, v5
	v_and_b32_e32 v6, 0xffff, v6
	s_delay_alu instid0(VALU_DEP_3) | instskip(NEXT) | instid1(VALU_DEP_2)
	v_and_b32_e32 v8, 0xffff, v8
	v_or_b32_e32 v31, v6, v5
	s_delay_alu instid0(VALU_DEP_2)
	v_or_b32_e32 v5, v8, v7
.LBB224_55:
	s_or_b32 exec_lo, exec_lo, s1
	v_dual_add_nc_u32 v6, 4, v30 :: v_dual_lshrrev_b32 v22, 8, v4
	v_dual_lshrrev_b32 v7, 16, v4 :: v_dual_lshrrev_b32 v23, 24, v4
	s_delay_alu instid0(VALU_DEP_3) | instskip(NEXT) | instid1(VALU_DEP_3)
	v_dual_lshrrev_b32 v9, 24, v5 :: v_dual_lshrrev_b32 v8, 16, v5
	v_cmp_le_u32_e32 vcc_lo, s6, v6
                                        ; implicit-def: $vgpr4
                                        ; implicit-def: $vgpr6
	s_and_saveexec_b32 s0, vcc_lo
	s_delay_alu instid0(SALU_CYCLE_1)
	s_xor_b32 s0, exec_lo, s0
	s_cbranch_execz .LBB224_57
; %bb.56:
	v_lshlrev_b16 v4, 8, v23
	v_lshlrev_b16 v6, 8, v22
	;; [unrolled: 1-line block ×3, first 2 shown]
	v_perm_b32 v3, v3, v3, 0x3060504
                                        ; implicit-def: $vgpr22
                                        ; implicit-def: $vgpr23
	s_delay_alu instid0(VALU_DEP_4) | instskip(NEXT) | instid1(VALU_DEP_4)
	v_bitop3_b16 v4, v7, v4, 0xff bitop3:0xec
	v_and_b32_e32 v6, 0xffff, v6
	s_delay_alu instid0(VALU_DEP_4) | instskip(NEXT) | instid1(VALU_DEP_3)
	v_bitop3_b16 v7, v8, v9, 0xff bitop3:0xec
                                        ; implicit-def: $vgpr9
	v_lshlrev_b32_e32 v8, 16, v4
	s_delay_alu instid0(VALU_DEP_2) | instskip(NEXT) | instid1(VALU_DEP_2)
	v_perm_b32 v4, v7, v5, 0x5040c00
                                        ; implicit-def: $vgpr5
                                        ; implicit-def: $vgpr7
	v_or_b32_e32 v6, v6, v8
                                        ; implicit-def: $vgpr8
.LBB224_57:
	s_and_not1_saveexec_b32 s1, s0
	s_cbranch_execz .LBB224_61
; %bb.58:
	v_dual_add_nc_u32 v4, s17, v16 :: v_dual_add_nc_u32 v6, s19, v16
	s_mov_b32 s2, 0
	s_mov_b32 s3, exec_lo
	s_delay_alu instid0(VALU_DEP_1) | instskip(NEXT) | instid1(VALU_DEP_2)
	v_mul_lo_u32 v4, v4, s16
	v_mul_lo_u32 v6, v6, s18
	s_delay_alu instid0(VALU_DEP_1) | instskip(NEXT) | instid1(VALU_DEP_1)
	v_sub_nc_u32_e32 v4, v4, v6
	v_cmp_lt_u32_e32 vcc_lo, s20, v4
	v_cmpx_ge_u32_e64 s20, v4
	s_cbranch_execz .LBB224_60
; %bb.59:
	v_dual_add_nc_u32 v4, s22, v16 :: v_dual_add_nc_u32 v6, s42, v16
	s_delay_alu instid0(VALU_DEP_1) | instskip(NEXT) | instid1(VALU_DEP_2)
	v_mul_lo_u32 v4, v4, s21
	v_mul_lo_u32 v6, v6, s23
	s_delay_alu instid0(VALU_DEP_1) | instskip(NEXT) | instid1(VALU_DEP_1)
	v_sub_nc_u32_e32 v4, v4, v6
	v_cmp_lt_u32_e64 s0, s43, v4
	s_and_b32 s2, s0, exec_lo
.LBB224_60:
	s_or_b32 exec_lo, exec_lo, s3
	v_cndmask_b32_e64 v4, 0, 1, s2
	v_cndmask_b32_e64 v6, 0, 1, vcc_lo
	v_lshlrev_b16 v23, 8, v23
	v_lshlrev_b16 v22, 8, v22
	;; [unrolled: 1-line block ×4, first 2 shown]
	s_delay_alu instid0(VALU_DEP_4) | instskip(NEXT) | instid1(VALU_DEP_4)
	v_bitop3_b16 v7, v7, v23, 0xff bitop3:0xec
	v_or_b32_e32 v6, v6, v22
	s_delay_alu instid0(VALU_DEP_4) | instskip(NEXT) | instid1(VALU_DEP_4)
	v_bitop3_b16 v8, v8, v9, 0xff bitop3:0xec
	v_bitop3_b16 v4, v5, v4, 0xff bitop3:0xec
	s_delay_alu instid0(VALU_DEP_4) | instskip(NEXT) | instid1(VALU_DEP_4)
	v_lshlrev_b32_e32 v5, 16, v7
	v_and_b32_e32 v6, 0xffff, v6
	s_delay_alu instid0(VALU_DEP_4) | instskip(NEXT) | instid1(VALU_DEP_4)
	v_lshlrev_b32_e32 v7, 16, v8
	v_and_b32_e32 v4, 0xffff, v4
	s_delay_alu instid0(VALU_DEP_3) | instskip(NEXT) | instid1(VALU_DEP_2)
	v_or_b32_e32 v6, v6, v5
	v_or_b32_e32 v4, v4, v7
.LBB224_61:
	s_or_b32 exec_lo, exec_lo, s1
	s_delay_alu instid0(VALU_DEP_1) | instskip(NEXT) | instid1(VALU_DEP_2)
	v_dual_add_nc_u32 v5, 5, v30 :: v_dual_lshrrev_b32 v22, 8, v4
	v_dual_lshrrev_b32 v8, 16, v6 :: v_dual_lshrrev_b32 v9, 24, v6
                                        ; implicit-def: $vgpr7
	s_delay_alu instid0(VALU_DEP_2) | instskip(SKIP_1) | instid1(SALU_CYCLE_1)
	v_cmp_le_u32_e32 vcc_lo, s6, v5
                                        ; implicit-def: $vgpr5
	s_and_saveexec_b32 s0, vcc_lo
	s_xor_b32 s0, exec_lo, s0
	s_cbranch_execz .LBB224_63
; %bb.62:
	v_lshlrev_b16 v5, 8, v22
	v_lshlrev_b16 v7, 8, v9
	v_perm_b32 v3, v3, v3, 0x3060504
                                        ; implicit-def: $vgpr9
                                        ; implicit-def: $vgpr22
	s_delay_alu instid0(VALU_DEP_3) | instskip(NEXT) | instid1(VALU_DEP_3)
	v_bitop3_b16 v5, v4, v5, 0xff bitop3:0xec
	v_bitop3_b16 v7, v8, v7, 0xff bitop3:0xec
                                        ; implicit-def: $vgpr8
	s_delay_alu instid0(VALU_DEP_2) | instskip(NEXT) | instid1(VALU_DEP_2)
	v_and_b32_e32 v5, 0xffff, v5
	v_perm_b32 v7, v7, v6, 0x5040c00
                                        ; implicit-def: $vgpr6
	s_delay_alu instid0(VALU_DEP_2)
	v_and_or_b32 v5, 0xff000000, v4, v5
                                        ; implicit-def: $vgpr4
.LBB224_63:
	s_and_not1_saveexec_b32 s1, s0
	s_cbranch_execz .LBB224_67
; %bb.64:
	v_dual_add_nc_u32 v5, s17, v17 :: v_dual_add_nc_u32 v7, s19, v17
	s_mov_b32 s2, 0
	s_mov_b32 s3, exec_lo
	s_delay_alu instid0(VALU_DEP_1) | instskip(NEXT) | instid1(VALU_DEP_2)
	v_mul_lo_u32 v5, v5, s16
	v_mul_lo_u32 v7, v7, s18
	s_delay_alu instid0(VALU_DEP_1) | instskip(NEXT) | instid1(VALU_DEP_1)
	v_sub_nc_u32_e32 v5, v5, v7
	v_cmp_lt_u32_e32 vcc_lo, s20, v5
	v_cmpx_ge_u32_e64 s20, v5
	s_cbranch_execz .LBB224_66
; %bb.65:
	v_dual_add_nc_u32 v5, s22, v17 :: v_dual_add_nc_u32 v7, s42, v17
	s_delay_alu instid0(VALU_DEP_1) | instskip(NEXT) | instid1(VALU_DEP_2)
	v_mul_lo_u32 v5, v5, s21
	v_mul_lo_u32 v7, v7, s23
	s_delay_alu instid0(VALU_DEP_1) | instskip(NEXT) | instid1(VALU_DEP_1)
	v_sub_nc_u32_e32 v5, v5, v7
	v_cmp_lt_u32_e64 s0, s43, v5
	s_and_b32 s2, s0, exec_lo
.LBB224_66:
	s_or_b32 exec_lo, exec_lo, s3
	v_cndmask_b32_e64 v5, 0, 1, vcc_lo
	v_lshrrev_b32_e32 v7, 24, v4
	v_cndmask_b32_e64 v23, 0, 1, s2
	v_lshlrev_b16 v9, 8, v9
	v_lshlrev_b16 v22, 8, v22
	v_lshlrev_b16 v5, 8, v5
	v_lshlrev_b16 v7, 8, v7
	s_delay_alu instid0(VALU_DEP_4) | instskip(NEXT) | instid1(VALU_DEP_4)
	v_bitop3_b16 v8, v8, v9, 0xff bitop3:0xec
	v_bitop3_b16 v4, v4, v22, 0xff bitop3:0xec
	s_delay_alu instid0(VALU_DEP_4) | instskip(NEXT) | instid1(VALU_DEP_3)
	v_bitop3_b16 v5, v6, v5, 0xff bitop3:0xec
	v_dual_lshlrev_b32 v7, 16, v8 :: v_dual_bitop2_b32 v6, v23, v7 bitop3:0x54
	s_delay_alu instid0(VALU_DEP_3) | instskip(NEXT) | instid1(VALU_DEP_3)
	v_and_b32_e32 v4, 0xffff, v4
	v_and_b32_e32 v5, 0xffff, v5
	s_delay_alu instid0(VALU_DEP_1) | instskip(NEXT) | instid1(VALU_DEP_1)
	v_dual_lshlrev_b32 v6, 16, v6 :: v_dual_bitop2_b32 v7, v5, v7 bitop3:0x54
	v_or_b32_e32 v5, v4, v6
.LBB224_67:
	s_or_b32 exec_lo, exec_lo, s1
	s_delay_alu instid0(VALU_DEP_2) | instskip(NEXT) | instid1(VALU_DEP_1)
	v_dual_add_nc_u32 v4, 6, v30 :: v_dual_lshrrev_b32 v6, 8, v7
                                        ; implicit-def: $vgpr32
	v_cmp_le_u32_e32 vcc_lo, s6, v4
                                        ; implicit-def: $vgpr4
	s_and_saveexec_b32 s0, vcc_lo
	s_delay_alu instid0(SALU_CYCLE_1)
	s_xor_b32 s0, exec_lo, s0
	s_cbranch_execz .LBB224_69
; %bb.68:
	v_lshlrev_b16 v4, 8, v6
	v_and_b32_e32 v6, 0xff0000, v5
	v_perm_b32 v3, v3, v3, 0x3060504
	s_delay_alu instid0(VALU_DEP_3) | instskip(NEXT) | instid1(VALU_DEP_3)
	v_bitop3_b16 v4, v7, v4, 0xff bitop3:0xec
	v_perm_b32 v32, v5, v6, 0x3020504
                                        ; implicit-def: $vgpr6
                                        ; implicit-def: $vgpr5
	s_delay_alu instid0(VALU_DEP_2) | instskip(NEXT) | instid1(VALU_DEP_1)
	v_and_b32_e32 v4, 0xffff, v4
	v_and_or_b32 v4, 0xff000000, v7, v4
                                        ; implicit-def: $vgpr7
.LBB224_69:
	s_and_not1_saveexec_b32 s1, s0
	s_cbranch_execz .LBB224_73
; %bb.70:
	v_dual_add_nc_u32 v4, s17, v14 :: v_dual_add_nc_u32 v8, s19, v14
	s_mov_b32 s2, 0
	s_mov_b32 s3, exec_lo
	s_delay_alu instid0(VALU_DEP_1) | instskip(NEXT) | instid1(VALU_DEP_2)
	v_mul_lo_u32 v4, v4, s16
	v_mul_lo_u32 v8, v8, s18
	s_delay_alu instid0(VALU_DEP_1) | instskip(NEXT) | instid1(VALU_DEP_1)
	v_sub_nc_u32_e32 v4, v4, v8
	v_cmp_lt_u32_e32 vcc_lo, s20, v4
	v_cmpx_ge_u32_e64 s20, v4
	s_cbranch_execz .LBB224_72
; %bb.71:
	v_dual_add_nc_u32 v4, s22, v14 :: v_dual_add_nc_u32 v8, s42, v14
	s_delay_alu instid0(VALU_DEP_1) | instskip(NEXT) | instid1(VALU_DEP_2)
	v_mul_lo_u32 v4, v4, s21
	v_mul_lo_u32 v8, v8, s23
	s_delay_alu instid0(VALU_DEP_1) | instskip(NEXT) | instid1(VALU_DEP_1)
	v_sub_nc_u32_e32 v4, v4, v8
	v_cmp_lt_u32_e64 s0, s43, v4
	s_and_b32 s2, s0, exec_lo
.LBB224_72:
	s_or_b32 exec_lo, exec_lo, s3
	v_dual_lshrrev_b32 v4, 24, v7 :: v_dual_lshrrev_b32 v22, 8, v5
	v_cndmask_b32_e64 v8, 0, 1, s2
	v_cndmask_b32_e64 v9, 0, 1, vcc_lo
	v_lshlrev_b16 v6, 8, v6
	s_delay_alu instid0(VALU_DEP_4)
	v_lshlrev_b16 v4, 8, v4
	v_lshrrev_b32_e32 v23, 16, v5
	v_lshlrev_b16 v8, 8, v8
	v_lshlrev_b16 v22, 8, v22
	v_bitop3_b16 v6, v7, v6, 0xff bitop3:0xec
	v_or_b32_e32 v4, v9, v4
	s_delay_alu instid0(VALU_DEP_4) | instskip(NEXT) | instid1(VALU_DEP_4)
	v_bitop3_b16 v7, v23, v8, 0xff bitop3:0xec
	v_bitop3_b16 v5, v5, v22, 0xff bitop3:0xec
	s_delay_alu instid0(VALU_DEP_4) | instskip(NEXT) | instid1(VALU_DEP_3)
	v_and_b32_e32 v6, 0xffff, v6
	v_dual_lshlrev_b32 v4, 16, v4 :: v_dual_lshlrev_b32 v7, 16, v7
	s_delay_alu instid0(VALU_DEP_3) | instskip(NEXT) | instid1(VALU_DEP_2)
	v_and_b32_e32 v5, 0xffff, v5
	v_or_b32_e32 v4, v6, v4
	s_delay_alu instid0(VALU_DEP_2)
	v_or_b32_e32 v32, v5, v7
.LBB224_73:
	s_or_b32 exec_lo, exec_lo, s1
	v_dual_add_nc_u32 v7, 7, v30 :: v_dual_lshrrev_b32 v5, 8, v3
	v_lshrrev_b32_e32 v6, 16, v3
                                        ; implicit-def: $vgpr33
	s_delay_alu instid0(VALU_DEP_2) | instskip(SKIP_2) | instid1(SALU_CYCLE_1)
	v_cmp_le_u32_e32 vcc_lo, s6, v7
	v_lshrrev_b32_e32 v7, 24, v3
                                        ; implicit-def: $vgpr3
	s_and_saveexec_b32 s0, vcc_lo
	s_xor_b32 s0, exec_lo, s0
	s_cbranch_execz .LBB224_75
; %bb.74:
	s_delay_alu instid0(VALU_DEP_1) | instskip(SKIP_1) | instid1(VALU_DEP_2)
	v_lshlrev_b16 v3, 8, v7
	v_lshlrev_b16 v5, 8, v5
                                        ; implicit-def: $vgpr7
	v_bitop3_b16 v3, v6, v3, 0xff bitop3:0xec
	v_and_b32_e32 v6, 0xff0000, v4
	s_delay_alu instid0(VALU_DEP_3) | instskip(NEXT) | instid1(VALU_DEP_3)
	v_and_b32_e32 v5, 0xffff, v5
	v_lshlrev_b32_e32 v3, 16, v3
	s_delay_alu instid0(VALU_DEP_3) | instskip(NEXT) | instid1(VALU_DEP_2)
	v_perm_b32 v33, v4, v6, 0x3020504
                                        ; implicit-def: $vgpr4
                                        ; implicit-def: $vgpr6
	v_or_b32_e32 v3, v5, v3
                                        ; implicit-def: $vgpr5
.LBB224_75:
	s_and_not1_saveexec_b32 s1, s0
	s_cbranch_execz .LBB224_79
; %bb.76:
	v_dual_add_nc_u32 v3, s17, v15 :: v_dual_add_nc_u32 v8, s19, v15
	s_mov_b32 s2, 0
	s_mov_b32 s3, exec_lo
	s_delay_alu instid0(VALU_DEP_1) | instskip(NEXT) | instid1(VALU_DEP_2)
	v_mul_lo_u32 v3, v3, s16
	v_mul_lo_u32 v8, v8, s18
	s_delay_alu instid0(VALU_DEP_1) | instskip(NEXT) | instid1(VALU_DEP_1)
	v_sub_nc_u32_e32 v3, v3, v8
	v_cmp_lt_u32_e32 vcc_lo, s20, v3
	v_cmpx_ge_u32_e64 s20, v3
	s_cbranch_execz .LBB224_78
; %bb.77:
	v_dual_add_nc_u32 v3, s22, v15 :: v_dual_add_nc_u32 v8, s42, v15
	s_delay_alu instid0(VALU_DEP_1) | instskip(NEXT) | instid1(VALU_DEP_2)
	v_mul_lo_u32 v3, v3, s21
	v_mul_lo_u32 v8, v8, s23
	s_delay_alu instid0(VALU_DEP_1) | instskip(NEXT) | instid1(VALU_DEP_1)
	v_sub_nc_u32_e32 v3, v3, v8
	v_cmp_lt_u32_e64 s0, s43, v3
	s_and_b32 s2, s0, exec_lo
.LBB224_78:
	s_or_b32 exec_lo, exec_lo, s3
	v_cndmask_b32_e64 v3, 0, 1, vcc_lo
	v_dual_lshrrev_b32 v8, 8, v4 :: v_dual_lshrrev_b32 v22, 16, v4
	v_cndmask_b32_e64 v9, 0, 1, s2
	v_lshlrev_b16 v7, 8, v7
	s_delay_alu instid0(VALU_DEP_4) | instskip(NEXT) | instid1(VALU_DEP_4)
	v_lshlrev_b16 v3, 8, v3
	v_lshlrev_b16 v8, 8, v8
	;; [unrolled: 1-line block ×3, first 2 shown]
	s_delay_alu instid0(VALU_DEP_4) | instskip(NEXT) | instid1(VALU_DEP_4)
	v_bitop3_b16 v6, v6, v7, 0xff bitop3:0xec
	v_bitop3_b16 v3, v22, v3, 0xff bitop3:0xec
	s_delay_alu instid0(VALU_DEP_4) | instskip(NEXT) | instid1(VALU_DEP_3)
	v_bitop3_b16 v4, v4, v8, 0xff bitop3:0xec
	v_dual_lshlrev_b32 v6, 16, v6 :: v_dual_bitop2_b32 v5, v9, v5 bitop3:0x54
	s_delay_alu instid0(VALU_DEP_3) | instskip(NEXT) | instid1(VALU_DEP_3)
	v_lshlrev_b32_e32 v3, 16, v3
	v_and_b32_e32 v4, 0xffff, v4
	s_delay_alu instid0(VALU_DEP_3) | instskip(NEXT) | instid1(VALU_DEP_2)
	v_and_b32_e32 v5, 0xffff, v5
	v_or_b32_e32 v33, v4, v3
	s_delay_alu instid0(VALU_DEP_2)
	v_or_b32_e32 v3, v5, v6
.LBB224_79:
	s_or_b32 exec_lo, exec_lo, s1
	s_delay_alu instid0(VALU_DEP_1) | instskip(SKIP_2) | instid1(VALU_DEP_3)
	v_dual_add_nc_u32 v4, 8, v30 :: v_dual_lshrrev_b32 v5, 16, v3
	v_dual_lshrrev_b32 v6, 24, v3 :: v_dual_lshrrev_b32 v9, 24, v2
	v_dual_lshrrev_b32 v7, 16, v2 :: v_dual_lshrrev_b32 v8, 8, v2
	v_cmp_le_u32_e32 vcc_lo, s6, v4
                                        ; implicit-def: $vgpr2
                                        ; implicit-def: $vgpr4
	s_and_saveexec_b32 s0, vcc_lo
	s_delay_alu instid0(SALU_CYCLE_1)
	s_xor_b32 s0, exec_lo, s0
	s_cbranch_execz .LBB224_81
; %bb.80:
	v_lshlrev_b16 v2, 8, v9
	v_lshlrev_b16 v4, 8, v8
	;; [unrolled: 1-line block ×3, first 2 shown]
	v_perm_b32 v1, v1, v1, 0x3060504
                                        ; implicit-def: $vgpr9
                                        ; implicit-def: $vgpr8
	s_delay_alu instid0(VALU_DEP_4) | instskip(NEXT) | instid1(VALU_DEP_4)
	v_bitop3_b16 v2, v7, v2, 0xff bitop3:0xec
	v_and_b32_e32 v4, 0xffff, v4
	s_delay_alu instid0(VALU_DEP_4) | instskip(NEXT) | instid1(VALU_DEP_3)
	v_bitop3_b16 v5, v5, v6, 0xff bitop3:0xec
                                        ; implicit-def: $vgpr6
                                        ; implicit-def: $vgpr7
	v_lshlrev_b32_e32 v2, 16, v2
	s_delay_alu instid0(VALU_DEP_1) | instskip(NEXT) | instid1(VALU_DEP_3)
	v_or_b32_e32 v4, v4, v2
	v_perm_b32 v2, v5, v3, 0x5040c00
                                        ; implicit-def: $vgpr3
                                        ; implicit-def: $vgpr5
.LBB224_81:
	s_and_not1_saveexec_b32 s1, s0
	s_cbranch_execz .LBB224_85
; %bb.82:
	v_dual_add_nc_u32 v2, s17, v12 :: v_dual_add_nc_u32 v4, s19, v12
	s_mov_b32 s2, 0
	s_mov_b32 s3, exec_lo
	s_delay_alu instid0(VALU_DEP_1) | instskip(NEXT) | instid1(VALU_DEP_2)
	v_mul_lo_u32 v2, v2, s16
	v_mul_lo_u32 v4, v4, s18
	s_delay_alu instid0(VALU_DEP_1) | instskip(NEXT) | instid1(VALU_DEP_1)
	v_sub_nc_u32_e32 v2, v2, v4
	v_cmp_lt_u32_e32 vcc_lo, s20, v2
	v_cmpx_ge_u32_e64 s20, v2
	s_cbranch_execz .LBB224_84
; %bb.83:
	v_dual_add_nc_u32 v2, s22, v12 :: v_dual_add_nc_u32 v4, s42, v12
	s_delay_alu instid0(VALU_DEP_1) | instskip(NEXT) | instid1(VALU_DEP_2)
	v_mul_lo_u32 v2, v2, s21
	v_mul_lo_u32 v4, v4, s23
	s_delay_alu instid0(VALU_DEP_1) | instskip(NEXT) | instid1(VALU_DEP_1)
	v_sub_nc_u32_e32 v2, v2, v4
	v_cmp_lt_u32_e64 s0, s43, v2
	s_and_b32 s2, s0, exec_lo
.LBB224_84:
	s_or_b32 exec_lo, exec_lo, s3
	v_cndmask_b32_e64 v2, 0, 1, s2
	v_cndmask_b32_e64 v4, 0, 1, vcc_lo
	v_lshlrev_b16 v9, 8, v9
	v_lshlrev_b16 v8, 8, v8
	;; [unrolled: 1-line block ×4, first 2 shown]
	s_delay_alu instid0(VALU_DEP_4) | instskip(NEXT) | instid1(VALU_DEP_4)
	v_bitop3_b16 v7, v7, v9, 0xff bitop3:0xec
	v_or_b32_e32 v4, v4, v8
	s_delay_alu instid0(VALU_DEP_4) | instskip(NEXT) | instid1(VALU_DEP_4)
	v_bitop3_b16 v5, v5, v6, 0xff bitop3:0xec
	v_bitop3_b16 v2, v3, v2, 0xff bitop3:0xec
	s_delay_alu instid0(VALU_DEP_4) | instskip(NEXT) | instid1(VALU_DEP_4)
	v_lshlrev_b32_e32 v3, 16, v7
	v_and_b32_e32 v4, 0xffff, v4
	s_delay_alu instid0(VALU_DEP_4) | instskip(NEXT) | instid1(VALU_DEP_4)
	v_lshlrev_b32_e32 v5, 16, v5
	v_and_b32_e32 v2, 0xffff, v2
	s_delay_alu instid0(VALU_DEP_3) | instskip(NEXT) | instid1(VALU_DEP_2)
	v_or_b32_e32 v4, v4, v3
	v_or_b32_e32 v2, v2, v5
.LBB224_85:
	s_or_b32 exec_lo, exec_lo, s1
	s_delay_alu instid0(VALU_DEP_2) | instskip(NEXT) | instid1(VALU_DEP_2)
	v_dual_add_nc_u32 v3, 9, v30 :: v_dual_lshrrev_b32 v8, 24, v4
	v_dual_lshrrev_b32 v7, 8, v2 :: v_dual_lshrrev_b32 v6, 16, v4
                                        ; implicit-def: $vgpr5
	s_delay_alu instid0(VALU_DEP_2) | instskip(SKIP_1) | instid1(SALU_CYCLE_1)
	v_cmp_le_u32_e32 vcc_lo, s6, v3
                                        ; implicit-def: $vgpr3
	s_and_saveexec_b32 s0, vcc_lo
	s_xor_b32 s0, exec_lo, s0
	s_cbranch_execz .LBB224_87
; %bb.86:
	v_lshlrev_b16 v3, 8, v7
	v_lshlrev_b16 v5, 8, v8
	v_perm_b32 v1, v1, v1, 0x3060504
                                        ; implicit-def: $vgpr7
                                        ; implicit-def: $vgpr8
	s_delay_alu instid0(VALU_DEP_3) | instskip(NEXT) | instid1(VALU_DEP_3)
	v_bitop3_b16 v3, v2, v3, 0xff bitop3:0xec
	v_bitop3_b16 v5, v6, v5, 0xff bitop3:0xec
                                        ; implicit-def: $vgpr6
	s_delay_alu instid0(VALU_DEP_2) | instskip(NEXT) | instid1(VALU_DEP_2)
	v_and_b32_e32 v3, 0xffff, v3
	v_perm_b32 v5, v5, v4, 0x5040c00
                                        ; implicit-def: $vgpr4
	s_delay_alu instid0(VALU_DEP_2)
	v_and_or_b32 v3, 0xff000000, v2, v3
                                        ; implicit-def: $vgpr2
.LBB224_87:
	s_and_not1_saveexec_b32 s1, s0
	s_cbranch_execz .LBB224_91
; %bb.88:
	v_dual_add_nc_u32 v3, s17, v13 :: v_dual_add_nc_u32 v5, s19, v13
	s_mov_b32 s2, 0
	s_mov_b32 s3, exec_lo
	s_delay_alu instid0(VALU_DEP_1) | instskip(NEXT) | instid1(VALU_DEP_2)
	v_mul_lo_u32 v3, v3, s16
	v_mul_lo_u32 v5, v5, s18
	s_delay_alu instid0(VALU_DEP_1) | instskip(NEXT) | instid1(VALU_DEP_1)
	v_sub_nc_u32_e32 v3, v3, v5
	v_cmp_lt_u32_e32 vcc_lo, s20, v3
	v_cmpx_ge_u32_e64 s20, v3
	s_cbranch_execz .LBB224_90
; %bb.89:
	v_dual_add_nc_u32 v3, s22, v13 :: v_dual_add_nc_u32 v5, s42, v13
	s_delay_alu instid0(VALU_DEP_1) | instskip(NEXT) | instid1(VALU_DEP_2)
	v_mul_lo_u32 v3, v3, s21
	v_mul_lo_u32 v5, v5, s23
	s_delay_alu instid0(VALU_DEP_1) | instskip(NEXT) | instid1(VALU_DEP_1)
	v_sub_nc_u32_e32 v3, v3, v5
	v_cmp_lt_u32_e64 s0, s43, v3
	s_and_b32 s2, s0, exec_lo
.LBB224_90:
	s_or_b32 exec_lo, exec_lo, s3
	v_cndmask_b32_e64 v3, 0, 1, vcc_lo
	v_lshrrev_b32_e32 v5, 24, v2
	v_cndmask_b32_e64 v9, 0, 1, s2
	v_lshlrev_b16 v8, 8, v8
	v_lshlrev_b16 v7, 8, v7
	;; [unrolled: 1-line block ×4, first 2 shown]
	s_delay_alu instid0(VALU_DEP_4) | instskip(NEXT) | instid1(VALU_DEP_4)
	v_bitop3_b16 v6, v6, v8, 0xff bitop3:0xec
	v_bitop3_b16 v2, v2, v7, 0xff bitop3:0xec
	s_delay_alu instid0(VALU_DEP_4) | instskip(NEXT) | instid1(VALU_DEP_3)
	v_bitop3_b16 v3, v4, v3, 0xff bitop3:0xec
	v_dual_lshlrev_b32 v5, 16, v6 :: v_dual_bitop2_b32 v4, v9, v5 bitop3:0x54
	s_delay_alu instid0(VALU_DEP_3) | instskip(NEXT) | instid1(VALU_DEP_3)
	v_and_b32_e32 v2, 0xffff, v2
	v_and_b32_e32 v3, 0xffff, v3
	s_delay_alu instid0(VALU_DEP_1) | instskip(NEXT) | instid1(VALU_DEP_1)
	v_dual_lshlrev_b32 v4, 16, v4 :: v_dual_bitop2_b32 v5, v3, v5 bitop3:0x54
	v_or_b32_e32 v3, v2, v4
.LBB224_91:
	s_or_b32 exec_lo, exec_lo, s1
	s_delay_alu instid0(VALU_DEP_2) | instskip(NEXT) | instid1(VALU_DEP_1)
	v_dual_add_nc_u32 v2, 10, v30 :: v_dual_lshrrev_b32 v4, 8, v5
                                        ; implicit-def: $vgpr35
	v_cmp_le_u32_e32 vcc_lo, s6, v2
                                        ; implicit-def: $vgpr2
	s_and_saveexec_b32 s0, vcc_lo
	s_delay_alu instid0(SALU_CYCLE_1)
	s_xor_b32 s0, exec_lo, s0
	s_cbranch_execz .LBB224_93
; %bb.92:
	v_lshlrev_b16 v2, 8, v4
	v_and_b32_e32 v4, 0xff0000, v3
	v_perm_b32 v1, v1, v1, 0x3060504
	s_delay_alu instid0(VALU_DEP_3) | instskip(NEXT) | instid1(VALU_DEP_3)
	v_bitop3_b16 v2, v5, v2, 0xff bitop3:0xec
	v_perm_b32 v35, v3, v4, 0x3020504
                                        ; implicit-def: $vgpr4
                                        ; implicit-def: $vgpr3
	s_delay_alu instid0(VALU_DEP_2) | instskip(NEXT) | instid1(VALU_DEP_1)
	v_and_b32_e32 v2, 0xffff, v2
	v_and_or_b32 v2, 0xff000000, v5, v2
                                        ; implicit-def: $vgpr5
.LBB224_93:
	s_and_not1_saveexec_b32 s1, s0
	s_cbranch_execz .LBB224_97
; %bb.94:
	v_dual_add_nc_u32 v2, s17, v10 :: v_dual_add_nc_u32 v6, s19, v10
	s_mov_b32 s2, 0
	s_mov_b32 s3, exec_lo
	s_delay_alu instid0(VALU_DEP_1) | instskip(NEXT) | instid1(VALU_DEP_2)
	v_mul_lo_u32 v2, v2, s16
	v_mul_lo_u32 v6, v6, s18
	s_delay_alu instid0(VALU_DEP_1) | instskip(NEXT) | instid1(VALU_DEP_1)
	v_sub_nc_u32_e32 v2, v2, v6
	v_cmp_lt_u32_e32 vcc_lo, s20, v2
	v_cmpx_ge_u32_e64 s20, v2
	s_cbranch_execz .LBB224_96
; %bb.95:
	v_dual_add_nc_u32 v2, s22, v10 :: v_dual_add_nc_u32 v6, s42, v10
	s_delay_alu instid0(VALU_DEP_1) | instskip(NEXT) | instid1(VALU_DEP_2)
	v_mul_lo_u32 v2, v2, s21
	v_mul_lo_u32 v6, v6, s23
	s_delay_alu instid0(VALU_DEP_1) | instskip(NEXT) | instid1(VALU_DEP_1)
	v_sub_nc_u32_e32 v2, v2, v6
	v_cmp_lt_u32_e64 s0, s43, v2
	s_and_b32 s2, s0, exec_lo
.LBB224_96:
	s_or_b32 exec_lo, exec_lo, s3
	v_dual_lshrrev_b32 v2, 24, v5 :: v_dual_lshrrev_b32 v8, 8, v3
	v_cndmask_b32_e64 v6, 0, 1, s2
	v_cndmask_b32_e64 v7, 0, 1, vcc_lo
	v_lshlrev_b16 v4, 8, v4
	s_delay_alu instid0(VALU_DEP_4)
	v_lshlrev_b16 v2, 8, v2
	v_lshrrev_b32_e32 v9, 16, v3
	v_lshlrev_b16 v6, 8, v6
	v_lshlrev_b16 v8, 8, v8
	v_bitop3_b16 v4, v5, v4, 0xff bitop3:0xec
	v_or_b32_e32 v2, v7, v2
	s_delay_alu instid0(VALU_DEP_4) | instskip(NEXT) | instid1(VALU_DEP_4)
	v_bitop3_b16 v5, v9, v6, 0xff bitop3:0xec
	v_bitop3_b16 v3, v3, v8, 0xff bitop3:0xec
	s_delay_alu instid0(VALU_DEP_4) | instskip(NEXT) | instid1(VALU_DEP_3)
	v_and_b32_e32 v4, 0xffff, v4
	v_dual_lshlrev_b32 v2, 16, v2 :: v_dual_lshlrev_b32 v5, 16, v5
	s_delay_alu instid0(VALU_DEP_3) | instskip(NEXT) | instid1(VALU_DEP_2)
	v_and_b32_e32 v3, 0xffff, v3
	v_or_b32_e32 v2, v4, v2
	s_delay_alu instid0(VALU_DEP_2)
	v_or_b32_e32 v35, v3, v5
.LBB224_97:
	s_or_b32 exec_lo, exec_lo, s1
	v_dual_mov_b32 v34, 0 :: v_dual_add_nc_u32 v3, 11, v30
	s_mov_b32 s0, exec_lo
                                        ; implicit-def: $vgpr36
	s_delay_alu instid0(VALU_DEP_1)
	v_cmpx_le_u32_e64 s6, v3
	s_xor_b32 s0, exec_lo, s0
; %bb.98:
	v_and_b32_e32 v3, 0xff0000, v2
	v_perm_b32 v1, v1, v1, 0x3060504
	s_delay_alu instid0(VALU_DEP_2)
	v_perm_b32 v36, v2, v3, 0x3020504
                                        ; implicit-def: $vgpr2
; %bb.99:
	s_and_not1_saveexec_b32 s1, s0
	s_cbranch_execz .LBB224_103
; %bb.100:
	v_dual_add_nc_u32 v3, s17, v11 :: v_dual_add_nc_u32 v4, s19, v11
	s_mov_b32 s2, 0
	s_mov_b32 s3, exec_lo
	s_delay_alu instid0(VALU_DEP_1) | instskip(NEXT) | instid1(VALU_DEP_2)
	v_mul_lo_u32 v3, v3, s16
	v_mul_lo_u32 v4, v4, s18
	s_delay_alu instid0(VALU_DEP_1) | instskip(NEXT) | instid1(VALU_DEP_1)
	v_sub_nc_u32_e32 v3, v3, v4
	v_cmp_lt_u32_e32 vcc_lo, s20, v3
	v_cmpx_ge_u32_e64 s20, v3
	s_cbranch_execz .LBB224_102
; %bb.101:
	v_dual_add_nc_u32 v3, s22, v11 :: v_dual_add_nc_u32 v4, s42, v11
	s_delay_alu instid0(VALU_DEP_1) | instskip(NEXT) | instid1(VALU_DEP_2)
	v_mul_lo_u32 v3, v3, s21
	v_mul_lo_u32 v4, v4, s23
	s_delay_alu instid0(VALU_DEP_1) | instskip(NEXT) | instid1(VALU_DEP_1)
	v_sub_nc_u32_e32 v3, v3, v4
	v_cmp_lt_u32_e64 s0, s43, v3
	s_and_b32 s2, s0, exec_lo
.LBB224_102:
	s_or_b32 exec_lo, exec_lo, s3
	v_cndmask_b32_e64 v3, 0, 1, vcc_lo
	v_dual_lshrrev_b32 v4, 8, v2 :: v_dual_lshrrev_b32 v5, 16, v2
	v_cndmask_b32_e64 v34, 0, 1, s2
	s_delay_alu instid0(VALU_DEP_3) | instskip(NEXT) | instid1(VALU_DEP_3)
	v_lshlrev_b16 v3, 8, v3
	v_lshlrev_b16 v4, 8, v4
	s_delay_alu instid0(VALU_DEP_2) | instskip(NEXT) | instid1(VALU_DEP_2)
	v_bitop3_b16 v3, v5, v3, 0xff bitop3:0xec
	v_bitop3_b16 v2, v2, v4, 0xff bitop3:0xec
	s_delay_alu instid0(VALU_DEP_2) | instskip(NEXT) | instid1(VALU_DEP_2)
	v_lshlrev_b32_e32 v3, 16, v3
	v_and_b32_e32 v2, 0xffff, v2
	s_delay_alu instid0(VALU_DEP_1)
	v_or_b32_e32 v36, v2, v3
.LBB224_103:
	s_or_b32 exec_lo, exec_lo, s1
	v_dual_add_nc_u32 v4, 12, v30 :: v_dual_lshrrev_b32 v2, 8, v1
	v_dual_lshrrev_b32 v3, 16, v1 :: v_dual_lshrrev_b32 v1, 24, v1
	s_mov_b32 s0, exec_lo
                                        ; implicit-def: $vgpr37
	s_delay_alu instid0(VALU_DEP_2)
	v_cmpx_le_u32_e64 s6, v4
	s_xor_b32 s0, exec_lo, s0
; %bb.104:
	s_delay_alu instid0(VALU_DEP_2) | instskip(SKIP_1) | instid1(VALU_DEP_2)
	v_lshlrev_b16 v1, 8, v1
	v_lshlrev_b16 v2, 8, v2
	v_bitop3_b16 v1, v3, v1, 0xff bitop3:0xec
	s_delay_alu instid0(VALU_DEP_2) | instskip(NEXT) | instid1(VALU_DEP_2)
	v_and_b32_e32 v2, 0xffff, v2
                                        ; implicit-def: $vgpr3
	v_lshlrev_b32_e32 v1, 16, v1
	s_delay_alu instid0(VALU_DEP_1)
	v_or_b32_e32 v37, v2, v1
                                        ; implicit-def: $vgpr1
                                        ; implicit-def: $vgpr2
; %bb.105:
	s_or_saveexec_b32 s1, s0
	v_mov_b32_e32 v38, 0
	s_xor_b32 exec_lo, exec_lo, s1
	s_cbranch_execz .LBB224_109
; %bb.106:
	v_dual_add_nc_u32 v4, s19, v28 :: v_dual_add_nc_u32 v5, s17, v28
	s_mov_b32 s2, 0
	s_mov_b32 s3, exec_lo
	s_delay_alu instid0(VALU_DEP_1) | instskip(NEXT) | instid1(VALU_DEP_2)
	v_mul_lo_u32 v4, v4, s18
	v_mul_lo_u32 v5, v5, s16
	s_delay_alu instid0(VALU_DEP_1) | instskip(NEXT) | instid1(VALU_DEP_1)
	v_sub_nc_u32_e32 v4, v5, v4
	v_cmp_lt_u32_e32 vcc_lo, s20, v4
	v_cmpx_ge_u32_e64 s20, v4
	s_cbranch_execz .LBB224_108
; %bb.107:
	v_dual_add_nc_u32 v4, s42, v28 :: v_dual_add_nc_u32 v5, s22, v28
	s_delay_alu instid0(VALU_DEP_1) | instskip(NEXT) | instid1(VALU_DEP_2)
	v_mul_lo_u32 v4, v4, s23
	v_mul_lo_u32 v5, v5, s21
	s_delay_alu instid0(VALU_DEP_1) | instskip(NEXT) | instid1(VALU_DEP_1)
	v_sub_nc_u32_e32 v4, v5, v4
	v_cmp_lt_u32_e64 s0, s43, v4
	s_and_b32 s2, s0, exec_lo
.LBB224_108:
	s_or_b32 exec_lo, exec_lo, s3
	v_cndmask_b32_e64 v4, 0, 1, vcc_lo
	v_lshlrev_b16 v1, 8, v1
	v_lshlrev_b16 v2, 8, v2
	v_cndmask_b32_e64 v38, 0, 1, s2
	s_delay_alu instid0(VALU_DEP_3) | instskip(NEXT) | instid1(VALU_DEP_1)
	v_bitop3_b16 v1, v3, v1, 0xff bitop3:0xec
	v_dual_lshlrev_b32 v1, 16, v1 :: v_dual_bitop2_b32 v2, v4, v2 bitop3:0x54
	s_delay_alu instid0(VALU_DEP_1) | instskip(NEXT) | instid1(VALU_DEP_1)
	v_and_b32_e32 v2, 0xffff, v2
	v_or_b32_e32 v37, v2, v1
.LBB224_109:
	s_or_b32 exec_lo, exec_lo, s1
.LBB224_110:
	v_and_b32_e32 v61, 0xff, v31
	s_delay_alu instid0(VALU_DEP_2)
	v_bfe_u32 v62, v37, 8, 8
	v_bfe_u32 v59, v31, 8, 8
	v_bfe_u32 v60, v37, 16, 8
	v_bfe_u32 v58, v31, 16, 8
	v_dual_lshrrev_b32 v44, 24, v37 :: v_dual_lshrrev_b32 v43, 24, v31
	v_and_b32_e32 v57, 0xff, v32
	v_and_b32_e32 v55, 0xff, v33
	v_bfe_u32 v56, v32, 8, 8
	v_add3_u32 v1, v59, v61, v58
	v_add3_u32 v2, v60, v62, v44
	v_bfe_u32 v53, v33, 8, 8
	v_bfe_u32 v54, v32, 16, 8
	;; [unrolled: 1-line block ×3, first 2 shown]
	v_dual_lshrrev_b32 v42, 24, v32 :: v_dual_lshrrev_b32 v41, 24, v33
	v_add3_u32 v1, v1, v43, v55
	v_add3_u32 v2, v2, v57, v56
	v_and_b32_e32 v52, 0xff, v35
	v_and_b32_e32 v48, 0xff, v36
	v_bfe_u32 v50, v35, 8, 8
	v_add3_u32 v1, v1, v53, v51
	v_add3_u32 v2, v2, v54, v42
	v_bfe_u32 v47, v36, 8, 8
	v_bfe_u32 v49, v35, 16, 8
	;; [unrolled: 1-line block ×3, first 2 shown]
	v_dual_lshrrev_b32 v40, 24, v35 :: v_dual_lshrrev_b32 v39, 24, v36
	v_add3_u32 v1, v1, v41, v48
	v_add3_u32 v2, v2, v52, v50
	v_mbcnt_lo_u32_b32 v63, -1, 0
	v_and_b32_e32 v45, 0xff, v34
	v_and_b32_e32 v3, 0xff, v37
	;; [unrolled: 1-line block ×3, first 2 shown]
	v_add3_u32 v1, v1, v47, v46
	v_add3_u32 v2, v2, v49, v40
	v_dual_lshrrev_b32 v64, 5, v0 :: v_dual_bitop2_b32 v65, 15, v63 bitop3:0x40
	v_and_b32_e32 v67, 16, v63
	s_delay_alu instid0(VALU_DEP_4) | instskip(NEXT) | instid1(VALU_DEP_4)
	v_add3_u32 v68, v1, v39, v3
	v_add3_u32 v69, v2, v45, v4
	s_wait_xcnt 0x0
	v_cmp_eq_u32_e64 s1, 0, v65
	v_cmp_lt_u32_e64 s0, 1, v65
	v_cmp_lt_u32_e64 s2, 3, v65
	v_or_b32_e32 v66, 31, v0
	s_cmp_lg_u32 s33, 0
	s_mov_b32 s3, -1
	v_cmp_lt_u32_e32 vcc_lo, 7, v65
	s_cbranch_scc0 .LBB224_131
; %bb.111:
	v_mov_b32_dpp v1, v69 row_shr:1 row_mask:0xf bank_mask:0xf
	v_mov_b32_dpp v2, v68 row_shr:1 row_mask:0xf bank_mask:0xf
	s_mov_b32 s3, exec_lo
	s_delay_alu instid0(VALU_DEP_1) | instskip(NEXT) | instid1(VALU_DEP_1)
	v_dual_add_nc_u32 v1, v1, v69 :: v_dual_add_nc_u32 v2, v2, v68
	v_dual_cndmask_b32 v1, v1, v69, s1 :: v_dual_cndmask_b32 v2, v2, v68, s1
	s_delay_alu instid0(VALU_DEP_1) | instskip(NEXT) | instid1(VALU_DEP_2)
	v_mov_b32_dpp v3, v1 row_shr:2 row_mask:0xf bank_mask:0xf
	v_mov_b32_dpp v4, v2 row_shr:2 row_mask:0xf bank_mask:0xf
	s_delay_alu instid0(VALU_DEP_1) | instskip(NEXT) | instid1(VALU_DEP_1)
	v_dual_add_nc_u32 v3, v1, v3 :: v_dual_add_nc_u32 v4, v2, v4
	v_dual_cndmask_b32 v1, v1, v3, s0 :: v_dual_cndmask_b32 v2, v2, v4, s0
	s_delay_alu instid0(VALU_DEP_1) | instskip(NEXT) | instid1(VALU_DEP_2)
	v_mov_b32_dpp v3, v1 row_shr:4 row_mask:0xf bank_mask:0xf
	v_mov_b32_dpp v4, v2 row_shr:4 row_mask:0xf bank_mask:0xf
	;; [unrolled: 6-line block ×3, first 2 shown]
	s_delay_alu instid0(VALU_DEP_1) | instskip(NEXT) | instid1(VALU_DEP_1)
	v_dual_add_nc_u32 v3, v1, v3 :: v_dual_add_nc_u32 v4, v2, v4
	v_dual_cndmask_b32 v1, v1, v3 :: v_dual_cndmask_b32 v2, v2, v4
	v_cmp_eq_u32_e32 vcc_lo, 0, v67
	ds_swizzle_b32 v3, v1 offset:swizzle(BROADCAST,32,15)
	ds_swizzle_b32 v4, v2 offset:swizzle(BROADCAST,32,15)
	s_wait_dscnt 0x0
	v_dual_add_nc_u32 v3, v1, v3 :: v_dual_add_nc_u32 v4, v2, v4
	v_cmpx_eq_u32_e64 v0, v66
; %bb.112:
	s_delay_alu instid0(VALU_DEP_2) | instskip(NEXT) | instid1(VALU_DEP_3)
	v_dual_lshlrev_b32 v5, 3, v64 :: v_dual_cndmask_b32 v7, v3, v1, vcc_lo
	v_cndmask_b32_e32 v6, v4, v2, vcc_lo
	ds_store_b64 v5, v[6:7]
; %bb.113:
	s_or_b32 exec_lo, exec_lo, s3
	s_delay_alu instid0(SALU_CYCLE_1)
	s_mov_b32 s3, exec_lo
	s_wait_dscnt 0x0
	s_barrier_signal -1
	s_barrier_wait -1
	v_cmpx_gt_u32_e32 8, v0
	s_cbranch_execz .LBB224_115
; %bb.114:
	v_dual_lshlrev_b32 v5, 3, v0 :: v_dual_bitop2_b32 v22, 7, v63 bitop3:0x40
	ds_load_b64 v[6:7], v5
	v_cmp_eq_u32_e64 s2, 0, v22
	s_wait_dscnt 0x0
	v_mov_b32_dpp v8, v6 row_shr:1 row_mask:0xf bank_mask:0xf
	v_mov_b32_dpp v9, v7 row_shr:1 row_mask:0xf bank_mask:0xf
	s_delay_alu instid0(VALU_DEP_1) | instskip(NEXT) | instid1(VALU_DEP_1)
	v_dual_add_nc_u32 v8, v8, v6 :: v_dual_add_nc_u32 v9, v9, v7
	v_dual_cndmask_b32 v6, v8, v6, s2 :: v_dual_cndmask_b32 v7, v9, v7, s2
	v_cmp_lt_u32_e64 s2, 1, v22
	s_delay_alu instid0(VALU_DEP_2) | instskip(NEXT) | instid1(VALU_DEP_3)
	v_mov_b32_dpp v8, v6 row_shr:2 row_mask:0xf bank_mask:0xf
	v_mov_b32_dpp v9, v7 row_shr:2 row_mask:0xf bank_mask:0xf
	s_delay_alu instid0(VALU_DEP_1) | instskip(NEXT) | instid1(VALU_DEP_1)
	v_dual_add_nc_u32 v8, v6, v8 :: v_dual_add_nc_u32 v9, v7, v9
	v_dual_cndmask_b32 v6, v6, v8, s2 :: v_dual_cndmask_b32 v7, v7, v9, s2
	v_cmp_lt_u32_e64 s2, 3, v22
	s_delay_alu instid0(VALU_DEP_2) | instskip(NEXT) | instid1(VALU_DEP_3)
	v_mov_b32_dpp v8, v6 row_shr:4 row_mask:0xf bank_mask:0xf
	v_mov_b32_dpp v9, v7 row_shr:4 row_mask:0xf bank_mask:0xf
	s_delay_alu instid0(VALU_DEP_1) | instskip(NEXT) | instid1(VALU_DEP_1)
	v_dual_cndmask_b32 v8, 0, v8, s2 :: v_dual_cndmask_b32 v9, 0, v9, s2
	v_dual_add_nc_u32 v6, v8, v6 :: v_dual_add_nc_u32 v7, v9, v7
	ds_store_b64 v5, v[6:7]
.LBB224_115:
	s_or_b32 exec_lo, exec_lo, s3
	v_dual_cndmask_b32 v1, v3, v1 :: v_dual_cndmask_b32 v2, v4, v2
	s_mov_b32 s3, exec_lo
	v_cmp_gt_u32_e32 vcc_lo, 32, v0
	s_wait_dscnt 0x0
	s_barrier_signal -1
	s_barrier_wait -1
                                        ; implicit-def: $vgpr22
	v_cmpx_lt_u32_e32 31, v0
	s_cbranch_execz .LBB224_117
; %bb.116:
	v_lshl_add_u32 v3, v64, 3, -8
	ds_load_b64 v[22:23], v3
	s_wait_dscnt 0x0
	v_dual_add_nc_u32 v1, v23, v1 :: v_dual_add_nc_u32 v2, v22, v2
.LBB224_117:
	s_or_b32 exec_lo, exec_lo, s3
	v_sub_co_u32 v3, s2, v63, 1
	s_delay_alu instid0(VALU_DEP_1) | instskip(NEXT) | instid1(VALU_DEP_1)
	v_cmp_gt_i32_e64 s3, 0, v3
	v_cndmask_b32_e64 v3, v3, v63, s3
	s_delay_alu instid0(VALU_DEP_1)
	v_lshlrev_b32_e32 v3, 2, v3
	ds_bpermute_b32 v70, v3, v2
	ds_bpermute_b32 v1, v3, v1
	s_and_saveexec_b32 s3, vcc_lo
	s_cbranch_execz .LBB224_136
; %bb.118:
	v_mov_b32_e32 v5, 0
	ds_load_b64 v[2:3], v5 offset:56
	s_and_saveexec_b32 s7, s2
	s_cbranch_execz .LBB224_120
; %bb.119:
	s_add_co_i32 s8, s33, 32
	s_mov_b32 s9, 0
	v_mov_b32_e32 v4, 1
	s_lshl_b64 s[8:9], s[8:9], 4
	s_wait_kmcnt 0x0
	s_add_nc_u64 s[8:9], s[4:5], s[8:9]
	s_delay_alu instid0(SALU_CYCLE_1)
	v_mov_b64_e32 v[6:7], s[8:9]
	s_wait_dscnt 0x0
	;;#ASMSTART
	global_store_b128 v[6:7], v[2:5] off scope:SCOPE_DEV	
s_wait_storecnt 0x0
	;;#ASMEND
.LBB224_120:
	s_or_b32 exec_lo, exec_lo, s7
	v_xad_u32 v24, v63, -1, s33
	s_mov_b32 s8, 0
	s_mov_b32 s7, exec_lo
	s_delay_alu instid0(VALU_DEP_1) | instskip(SKIP_1) | instid1(VALU_DEP_1)
	v_add_nc_u32_e32 v4, 32, v24
	s_wait_kmcnt 0x0
	v_lshl_add_u64 v[4:5], v[4:5], 4, s[4:5]
	;;#ASMSTART
	global_load_b128 v[6:9], v[4:5] off scope:SCOPE_DEV	
s_wait_loadcnt 0x0
	;;#ASMEND
	v_and_b32_e32 v9, 0xff, v8
	s_delay_alu instid0(VALU_DEP_1)
	v_cmpx_eq_u16_e32 0, v9
	s_cbranch_execz .LBB224_123
.LBB224_121:                            ; =>This Inner Loop Header: Depth=1
	;;#ASMSTART
	global_load_b128 v[6:9], v[4:5] off scope:SCOPE_DEV	
s_wait_loadcnt 0x0
	;;#ASMEND
	v_and_b32_e32 v9, 0xff, v8
	s_delay_alu instid0(VALU_DEP_1) | instskip(SKIP_1) | instid1(SALU_CYCLE_1)
	v_cmp_ne_u16_e32 vcc_lo, 0, v9
	s_or_b32 s8, vcc_lo, s8
	s_and_not1_b32 exec_lo, exec_lo, s8
	s_cbranch_execnz .LBB224_121
; %bb.122:
	s_or_b32 exec_lo, exec_lo, s8
.LBB224_123:
	s_delay_alu instid0(SALU_CYCLE_1)
	s_or_b32 exec_lo, exec_lo, s7
	v_cmp_ne_u32_e32 vcc_lo, 31, v63
	v_lshlrev_b32_e64 v72, v63, -1
	v_lshl_or_b32 v79, v63, 2, 64
	v_dual_add_nc_u32 v76, 4, v63 :: v_dual_add_nc_u32 v80, 16, v63
	v_add_co_ci_u32_e64 v4, null, 0, v63, vcc_lo
	s_delay_alu instid0(VALU_DEP_1)
	v_lshlrev_b32_e32 v71, 2, v4
	v_and_b32_e32 v4, 0xff, v8
	ds_bpermute_b32 v5, v71, v7
	v_cmp_eq_u16_e32 vcc_lo, 2, v4
	s_wait_dscnt 0x0
	v_add_nc_u32_e32 v5, v5, v7
	ds_bpermute_b32 v4, v71, v6
	v_and_b32_e32 v9, vcc_lo, v72
	v_cmp_gt_u32_e32 vcc_lo, 30, v63
	v_cndmask_b32_e64 v25, 0, 2, vcc_lo
	s_delay_alu instid0(VALU_DEP_1) | instskip(SKIP_3) | instid1(VALU_DEP_1)
	v_add_lshl_u32 v73, v25, v63, 2
	s_wait_dscnt 0x0
	v_add_nc_u32_e32 v4, v4, v6
	v_or_b32_e32 v9, 0x80000000, v9
	v_ctz_i32_b32_e32 v9, v9
	s_delay_alu instid0(VALU_DEP_1) | instskip(NEXT) | instid1(VALU_DEP_4)
	v_cmp_lt_u32_e32 vcc_lo, v63, v9
	v_dual_cndmask_b32 v5, v7, v5 :: v_dual_cndmask_b32 v4, v6, v4
	v_cmp_gt_u32_e32 vcc_lo, 28, v63
	ds_bpermute_b32 v6, v73, v5
	ds_bpermute_b32 v7, v73, v4
	v_add_nc_u32_e32 v74, 2, v63
	v_cndmask_b32_e64 v25, 0, 4, vcc_lo
	s_delay_alu instid0(VALU_DEP_1) | instskip(SKIP_4) | instid1(VALU_DEP_2)
	v_add_lshl_u32 v75, v25, v63, 2
	s_wait_dscnt 0x1
	v_add_nc_u32_e32 v6, v5, v6
	v_cmp_gt_u32_e32 vcc_lo, v74, v9
	s_wait_dscnt 0x0
	v_dual_add_nc_u32 v7, v4, v7 :: v_dual_cndmask_b32 v5, v6, v5, vcc_lo
	s_delay_alu instid0(VALU_DEP_1)
	v_cndmask_b32_e32 v4, v7, v4, vcc_lo
	v_cmp_gt_u32_e32 vcc_lo, 24, v63
	ds_bpermute_b32 v6, v75, v5
	ds_bpermute_b32 v7, v75, v4
	v_cndmask_b32_e64 v25, 0, 8, vcc_lo
	v_cmp_gt_u32_e32 vcc_lo, v76, v9
	s_delay_alu instid0(VALU_DEP_2) | instskip(SKIP_3) | instid1(VALU_DEP_1)
	v_add_lshl_u32 v77, v25, v63, 2
	s_wait_dscnt 0x1
	v_dual_mov_b32 v25, 0 :: v_dual_add_nc_u32 v6, v5, v6
	s_wait_dscnt 0x0
	v_dual_add_nc_u32 v7, v4, v7 :: v_dual_cndmask_b32 v5, v6, v5, vcc_lo
	s_delay_alu instid0(VALU_DEP_1) | instskip(SKIP_4) | instid1(VALU_DEP_1)
	v_cndmask_b32_e32 v4, v7, v4, vcc_lo
	ds_bpermute_b32 v6, v77, v5
	ds_bpermute_b32 v7, v77, v4
	s_wait_dscnt 0x1
	v_dual_add_nc_u32 v78, 8, v63 :: v_dual_add_nc_u32 v6, v5, v6
	v_cmp_gt_u32_e32 vcc_lo, v78, v9
	s_wait_dscnt 0x0
	s_delay_alu instid0(VALU_DEP_2) | instskip(NEXT) | instid1(VALU_DEP_1)
	v_dual_add_nc_u32 v7, v4, v7 :: v_dual_cndmask_b32 v5, v6, v5, vcc_lo
	v_cndmask_b32_e32 v4, v7, v4, vcc_lo
	v_cmp_le_u32_e32 vcc_lo, v80, v9
	ds_bpermute_b32 v7, v79, v5
	ds_bpermute_b32 v6, v79, v4
	s_wait_dscnt 0x0
	v_dual_cndmask_b32 v7, 0, v7 :: v_dual_cndmask_b32 v6, 0, v6
	s_delay_alu instid0(VALU_DEP_1)
	v_dual_add_nc_u32 v7, v7, v5 :: v_dual_add_nc_u32 v6, v6, v4
	s_branch .LBB224_127
.LBB224_124:                            ;   in Loop: Header=BB224_127 Depth=1
	s_or_b32 exec_lo, exec_lo, s8
.LBB224_125:                            ;   in Loop: Header=BB224_127 Depth=1
	s_delay_alu instid0(SALU_CYCLE_1)
	s_or_b32 exec_lo, exec_lo, s7
	ds_bpermute_b32 v9, v71, v6
	ds_bpermute_b32 v26, v71, v7
	v_and_b32_e32 v27, 0xff, v8
	v_subrev_nc_u32_e32 v24, 32, v24
	s_mov_b32 s7, 0
	s_delay_alu instid0(VALU_DEP_2) | instskip(SKIP_1) | instid1(VALU_DEP_1)
	v_cmp_eq_u16_e32 vcc_lo, 2, v27
	v_and_or_b32 v27, vcc_lo, v72, 0x80000000
	v_ctz_i32_b32_e32 v27, v27
	s_wait_dscnt 0x0
	v_dual_add_nc_u32 v9, v9, v6 :: v_dual_add_nc_u32 v26, v26, v7
	s_delay_alu instid0(VALU_DEP_2) | instskip(NEXT) | instid1(VALU_DEP_2)
	v_cmp_lt_u32_e32 vcc_lo, v63, v27
	v_dual_cndmask_b32 v7, v7, v26 :: v_dual_cndmask_b32 v6, v6, v9
	v_cmp_gt_u32_e32 vcc_lo, v74, v27
	ds_bpermute_b32 v26, v73, v7
	ds_bpermute_b32 v9, v73, v6
	s_wait_dscnt 0x0
	v_dual_add_nc_u32 v26, v7, v26 :: v_dual_add_nc_u32 v9, v6, v9
	s_delay_alu instid0(VALU_DEP_1)
	v_dual_cndmask_b32 v7, v26, v7 :: v_dual_cndmask_b32 v6, v9, v6
	v_cmp_gt_u32_e32 vcc_lo, v76, v27
	ds_bpermute_b32 v26, v75, v7
	ds_bpermute_b32 v9, v75, v6
	s_wait_dscnt 0x0
	v_dual_add_nc_u32 v26, v7, v26 :: v_dual_add_nc_u32 v9, v6, v9
	s_delay_alu instid0(VALU_DEP_1)
	;; [unrolled: 7-line block ×3, first 2 shown]
	v_dual_cndmask_b32 v7, v26, v7 :: v_dual_cndmask_b32 v6, v9, v6
	v_cmp_le_u32_e32 vcc_lo, v80, v27
	ds_bpermute_b32 v26, v79, v7
	ds_bpermute_b32 v9, v79, v6
	s_wait_dscnt 0x0
	v_dual_cndmask_b32 v26, 0, v26 :: v_dual_cndmask_b32 v9, 0, v9
	s_delay_alu instid0(VALU_DEP_1) | instskip(NEXT) | instid1(VALU_DEP_2)
	v_add3_u32 v7, v7, v5, v26
	v_add3_u32 v6, v6, v4, v9
.LBB224_126:                            ;   in Loop: Header=BB224_127 Depth=1
	s_and_b32 vcc_lo, exec_lo, s7
	s_cbranch_vccnz .LBB224_132
.LBB224_127:                            ; =>This Loop Header: Depth=1
                                        ;     Child Loop BB224_130 Depth 2
	v_and_b32_e32 v4, 0xff, v8
	s_mov_b32 s7, -1
                                        ; implicit-def: $vgpr8
	s_delay_alu instid0(VALU_DEP_1)
	v_cmp_ne_u16_e32 vcc_lo, 2, v4
	v_mov_b64_e32 v[4:5], v[6:7]
                                        ; implicit-def: $vgpr6_vgpr7
	s_cmp_lg_u32 vcc_lo, exec_lo
	s_cbranch_scc1 .LBB224_126
; %bb.128:                              ;   in Loop: Header=BB224_127 Depth=1
	v_lshl_add_u64 v[26:27], v[24:25], 4, s[4:5]
	;;#ASMSTART
	global_load_b128 v[6:9], v[26:27] off scope:SCOPE_DEV	
s_wait_loadcnt 0x0
	;;#ASMEND
	v_and_b32_e32 v9, 0xff, v8
	s_mov_b32 s7, exec_lo
	s_delay_alu instid0(VALU_DEP_1)
	v_cmpx_eq_u16_e32 0, v9
	s_cbranch_execz .LBB224_125
; %bb.129:                              ;   in Loop: Header=BB224_127 Depth=1
	s_mov_b32 s8, 0
.LBB224_130:                            ;   Parent Loop BB224_127 Depth=1
                                        ; =>  This Inner Loop Header: Depth=2
	;;#ASMSTART
	global_load_b128 v[6:9], v[26:27] off scope:SCOPE_DEV	
s_wait_loadcnt 0x0
	;;#ASMEND
	v_and_b32_e32 v9, 0xff, v8
	s_delay_alu instid0(VALU_DEP_1) | instskip(SKIP_1) | instid1(SALU_CYCLE_1)
	v_cmp_ne_u16_e32 vcc_lo, 0, v9
	s_or_b32 s8, vcc_lo, s8
	s_and_not1_b32 exec_lo, exec_lo, s8
	s_cbranch_execnz .LBB224_130
	s_branch .LBB224_124
.LBB224_131:
                                        ; implicit-def: $vgpr1
                                        ; implicit-def: $vgpr4
                                        ; implicit-def: $vgpr6
                                        ; implicit-def: $vgpr8
                                        ; implicit-def: $vgpr22
	s_and_b32 vcc_lo, exec_lo, s3
	s_cbranch_vccnz .LBB224_137
	s_branch .LBB224_146
.LBB224_132:
	s_and_saveexec_b32 s7, s2
	s_cbranch_execz .LBB224_134
; %bb.133:
	s_add_co_i32 s8, s33, 32
	s_mov_b32 s9, 0
	v_dual_mov_b32 v8, 2 :: v_dual_mov_b32 v9, 0
	s_lshl_b64 s[8:9], s[8:9], 4
	v_dual_add_nc_u32 v7, v5, v3 :: v_dual_add_nc_u32 v6, v4, v2
	s_add_nc_u64 s[8:9], s[4:5], s[8:9]
	s_delay_alu instid0(SALU_CYCLE_1)
	v_mov_b64_e32 v[24:25], s[8:9]
	;;#ASMSTART
	global_store_b128 v[24:25], v[6:9] off scope:SCOPE_DEV	
s_wait_storecnt 0x0
	;;#ASMEND
	ds_store_b128 v9, v[2:5] offset:13312
.LBB224_134:
	s_or_b32 exec_lo, exec_lo, s7
	v_cmp_eq_u32_e32 vcc_lo, 0, v0
	s_and_b32 exec_lo, exec_lo, vcc_lo
; %bb.135:
	v_mov_b32_e32 v2, 0
	ds_store_b64 v2, v[4:5] offset:56
.LBB224_136:
	s_or_b32 exec_lo, exec_lo, s3
	s_wait_dscnt 0x0
	v_dual_mov_b32 v2, 0 :: v_dual_cndmask_b32 v1, v1, v23, s2
	s_barrier_signal -1
	s_barrier_wait -1
	ds_load_b64 v[8:9], v2 offset:56
	s_wait_dscnt 0x0
	s_barrier_signal -1
	s_barrier_wait -1
	ds_load_b128 v[2:5], v2 offset:13312
	v_cndmask_b32_e64 v6, v70, v22, s2
	v_cmp_eq_u32_e32 vcc_lo, 0, v0
	s_delay_alu instid0(VALU_DEP_2) | instskip(SKIP_2) | instid1(VALU_DEP_2)
	v_dual_add_nc_u32 v1, v9, v1 :: v_dual_add_nc_u32 v7, v8, v6
	s_wait_dscnt 0x0
	v_mov_b32_e32 v6, v5
	v_dual_cndmask_b32 v1, v1, v9 :: v_dual_cndmask_b32 v22, v7, v8
	v_mov_b32_e32 v8, v3
	s_branch .LBB224_146
.LBB224_137:
	v_mov_b32_dpp v1, v68 row_shr:1 row_mask:0xf bank_mask:0xf
	v_mov_b32_dpp v2, v69 row_shr:1 row_mask:0xf bank_mask:0xf
	v_cmp_lt_u32_e32 vcc_lo, 3, v65
	s_delay_alu instid0(VALU_DEP_2) | instskip(NEXT) | instid1(VALU_DEP_1)
	v_dual_add_nc_u32 v1, v1, v68 :: v_dual_add_nc_u32 v2, v2, v69
	v_dual_cndmask_b32 v1, v1, v68, s1 :: v_dual_cndmask_b32 v2, v2, v69, s1
	s_mov_b32 s1, exec_lo
	s_delay_alu instid0(VALU_DEP_1) | instskip(NEXT) | instid1(VALU_DEP_2)
	v_mov_b32_dpp v3, v1 row_shr:2 row_mask:0xf bank_mask:0xf
	v_mov_b32_dpp v4, v2 row_shr:2 row_mask:0xf bank_mask:0xf
	s_delay_alu instid0(VALU_DEP_1) | instskip(NEXT) | instid1(VALU_DEP_1)
	v_dual_add_nc_u32 v3, v1, v3 :: v_dual_add_nc_u32 v4, v2, v4
	v_dual_cndmask_b32 v1, v1, v3, s0 :: v_dual_cndmask_b32 v2, v2, v4, s0
	s_delay_alu instid0(VALU_DEP_1) | instskip(NEXT) | instid1(VALU_DEP_2)
	v_mov_b32_dpp v3, v1 row_shr:4 row_mask:0xf bank_mask:0xf
	v_mov_b32_dpp v4, v2 row_shr:4 row_mask:0xf bank_mask:0xf
	s_delay_alu instid0(VALU_DEP_1) | instskip(NEXT) | instid1(VALU_DEP_1)
	v_dual_add_nc_u32 v3, v1, v3 :: v_dual_add_nc_u32 v4, v2, v4
	v_dual_cndmask_b32 v3, v1, v3 :: v_dual_cndmask_b32 v2, v2, v4
	v_cmp_lt_u32_e32 vcc_lo, 7, v65
	s_delay_alu instid0(VALU_DEP_2) | instskip(NEXT) | instid1(VALU_DEP_3)
	v_mov_b32_dpp v1, v3 row_shr:8 row_mask:0xf bank_mask:0xf
	v_mov_b32_dpp v4, v2 row_shr:8 row_mask:0xf bank_mask:0xf
	s_delay_alu instid0(VALU_DEP_1) | instskip(NEXT) | instid1(VALU_DEP_1)
	v_dual_add_nc_u32 v5, v3, v1 :: v_dual_add_nc_u32 v1, v2, v4
	v_cndmask_b32_e32 v1, v2, v1, vcc_lo
	s_delay_alu instid0(VALU_DEP_2)
	v_cndmask_b32_e32 v2, v3, v5, vcc_lo
	v_cmp_eq_u32_e32 vcc_lo, 0, v67
	ds_swizzle_b32 v4, v2 offset:swizzle(BROADCAST,32,15)
	s_wait_dscnt 0x0
	v_add_nc_u32_e32 v4, v2, v4
	ds_swizzle_b32 v3, v1 offset:swizzle(BROADCAST,32,15)
	s_wait_dscnt 0x0
	v_add_nc_u32_e32 v3, v1, v3
	v_cmpx_eq_u32_e64 v0, v66
; %bb.138:
	s_delay_alu instid0(VALU_DEP_2)
	v_dual_cndmask_b32 v6, v4, v2 :: v_dual_cndmask_b32 v7, v3, v1
	v_lshlrev_b32_e32 v5, 3, v64
	ds_store_b64 v5, v[6:7]
; %bb.139:
	s_or_b32 exec_lo, exec_lo, s1
	s_delay_alu instid0(SALU_CYCLE_1)
	s_mov_b32 s1, exec_lo
	s_wait_dscnt 0x0
	s_barrier_signal -1
	s_barrier_wait -1
	v_cmpx_gt_u32_e32 8, v0
	s_cbranch_execz .LBB224_141
; %bb.140:
	v_dual_lshlrev_b32 v5, 3, v0 :: v_dual_bitop2_b32 v22, 7, v63 bitop3:0x40
	ds_load_b64 v[6:7], v5
	v_cmp_eq_u32_e64 s0, 0, v22
	s_wait_dscnt 0x0
	v_mov_b32_dpp v8, v6 row_shr:1 row_mask:0xf bank_mask:0xf
	v_mov_b32_dpp v9, v7 row_shr:1 row_mask:0xf bank_mask:0xf
	s_delay_alu instid0(VALU_DEP_1) | instskip(NEXT) | instid1(VALU_DEP_1)
	v_dual_add_nc_u32 v8, v8, v6 :: v_dual_add_nc_u32 v9, v9, v7
	v_dual_cndmask_b32 v6, v8, v6, s0 :: v_dual_cndmask_b32 v7, v9, v7, s0
	v_cmp_lt_u32_e64 s0, 1, v22
	s_delay_alu instid0(VALU_DEP_2) | instskip(NEXT) | instid1(VALU_DEP_3)
	v_mov_b32_dpp v8, v6 row_shr:2 row_mask:0xf bank_mask:0xf
	v_mov_b32_dpp v9, v7 row_shr:2 row_mask:0xf bank_mask:0xf
	s_delay_alu instid0(VALU_DEP_1) | instskip(NEXT) | instid1(VALU_DEP_1)
	v_dual_add_nc_u32 v8, v6, v8 :: v_dual_add_nc_u32 v9, v7, v9
	v_dual_cndmask_b32 v6, v6, v8, s0 :: v_dual_cndmask_b32 v7, v7, v9, s0
	v_cmp_lt_u32_e64 s0, 3, v22
	s_delay_alu instid0(VALU_DEP_2) | instskip(NEXT) | instid1(VALU_DEP_3)
	v_mov_b32_dpp v8, v6 row_shr:4 row_mask:0xf bank_mask:0xf
	v_mov_b32_dpp v9, v7 row_shr:4 row_mask:0xf bank_mask:0xf
	s_delay_alu instid0(VALU_DEP_1) | instskip(NEXT) | instid1(VALU_DEP_1)
	v_dual_cndmask_b32 v8, 0, v8, s0 :: v_dual_cndmask_b32 v9, 0, v9, s0
	v_dual_add_nc_u32 v6, v8, v6 :: v_dual_add_nc_u32 v7, v9, v7
	ds_store_b64 v5, v[6:7]
.LBB224_141:
	s_or_b32 exec_lo, exec_lo, s1
	v_dual_mov_b32 v5, 0 :: v_dual_mov_b32 v6, 0
	v_mov_b32_e32 v7, 0
	s_mov_b32 s1, exec_lo
	s_wait_dscnt 0x0
	s_barrier_signal -1
	s_barrier_wait -1
	v_cmpx_lt_u32_e32 31, v0
; %bb.142:
	v_lshl_add_u32 v6, v64, 3, -8
	ds_load_b64 v[6:7], v6
; %bb.143:
	s_or_b32 exec_lo, exec_lo, s1
	v_sub_co_u32 v8, s0, v63, 1
	v_dual_cndmask_b32 v2, v4, v2 :: v_dual_cndmask_b32 v1, v3, v1
	v_cmp_eq_u32_e32 vcc_lo, 0, v0
	s_delay_alu instid0(VALU_DEP_3) | instskip(SKIP_1) | instid1(VALU_DEP_1)
	v_cmp_gt_i32_e64 s1, 0, v8
	s_wait_dscnt 0x0
	v_dual_add_nc_u32 v2, v6, v2 :: v_dual_cndmask_b32 v4, v8, v63, s1
	s_delay_alu instid0(VALU_DEP_1)
	v_dual_lshlrev_b32 v3, 2, v4 :: v_dual_add_nc_u32 v4, v7, v1
	ds_bpermute_b32 v1, v3, v2
	ds_bpermute_b32 v8, v3, v4
	ds_load_b64 v[2:3], v5 offset:56
	s_and_saveexec_b32 s1, vcc_lo
	s_cbranch_execz .LBB224_145
; %bb.144:
	s_wait_kmcnt 0x0
	s_add_nc_u64 s[2:3], s[4:5], 0x200
	v_dual_mov_b32 v4, 2 :: v_dual_mov_b32 v5, 0
	v_mov_b64_e32 v[22:23], s[2:3]
	s_wait_dscnt 0x0
	;;#ASMSTART
	global_store_b128 v[22:23], v[2:5] off scope:SCOPE_DEV	
s_wait_storecnt 0x0
	;;#ASMEND
.LBB224_145:
	s_or_b32 exec_lo, exec_lo, s1
	s_wait_dscnt 0x1
	v_dual_cndmask_b32 v5, v8, v7, s0 :: v_dual_cndmask_b32 v7, v1, v6, s0
	v_dual_mov_b32 v6, 0 :: v_dual_mov_b32 v4, 0
	s_wait_dscnt 0x0
	v_mov_b32_e32 v8, v3
	s_delay_alu instid0(VALU_DEP_3)
	v_cndmask_b32_e64 v1, v5, 0, vcc_lo
	v_cndmask_b32_e64 v22, v7, 0, vcc_lo
	s_barrier_signal -1
	s_barrier_wait -1
.LBB224_146:
	s_delay_alu instid0(VALU_DEP_1) | instskip(SKIP_1) | instid1(VALU_DEP_2)
	v_dual_add_nc_u32 v62, v1, v62 :: v_dual_add_nc_u32 v70, v22, v61
	v_dual_mov_b32 v5, 0 :: v_dual_lshrrev_b32 v68, 16, v37
	v_dual_lshrrev_b32 v3, 8, v37 :: v_dual_add_nc_u32 v71, v62, v60
	s_delay_alu instid0(VALU_DEP_3) | instskip(SKIP_1) | instid1(VALU_DEP_3)
	v_dual_add_nc_u32 v59, v70, v59 :: v_dual_lshlrev_b32 v60, 1, v2
	v_dual_sub_nc_u32 v72, v22, v4 :: v_dual_sub_nc_u32 v1, v1, v6
	v_dual_add_nc_u32 v73, v71, v44 :: v_dual_bitop2_b32 v74, 1, v31 bitop3:0x40
	s_delay_alu instid0(VALU_DEP_3) | instskip(NEXT) | instid1(VALU_DEP_3)
	v_dual_add_nc_u32 v58, v59, v58 :: v_dual_bitop2_b32 v75, 1, v3 bitop3:0x40
	v_dual_add_nc_u32 v1, v1, v2 :: v_dual_sub_nc_u32 v70, v70, v4
	s_delay_alu instid0(VALU_DEP_2)
	v_dual_add_nc_u32 v57, v73, v57 :: v_dual_add_nc_u32 v76, v58, v43
	v_mov_b32_e32 v61, v5
	s_wait_kmcnt 0x0
	v_add_nc_u64_e32 v[22:23], s[28:29], v[4:5]
	v_dual_mov_b32 v3, v5 :: v_dual_mov_b32 v7, v5
	v_dual_add_nc_u32 v55, v76, v55 :: v_dual_add_nc_u32 v56, v57, v56
	v_cmp_eq_u32_e32 vcc_lo, 1, v75
	v_dual_lshrrev_b32 v69, 8, v31 :: v_dual_lshrrev_b32 v67, 16, v31
	s_delay_alu instid0(VALU_DEP_3) | instskip(NEXT) | instid1(VALU_DEP_4)
	v_dual_add_nc_u32 v53, v55, v53 :: v_dual_mov_b32 v9, v5
	v_add_nc_u32_e32 v54, v56, v54
	v_add3_u32 v5, v60, v8, v30
	s_delay_alu instid0(VALU_DEP_3) | instskip(NEXT) | instid1(VALU_DEP_3)
	v_dual_sub_nc_u32 v62, v62, v6 :: v_dual_add_nc_u32 v51, v53, v51
	v_dual_add_nc_u32 v78, v72, v1 :: v_dual_add_nc_u32 v77, v54, v42
	s_delay_alu instid0(VALU_DEP_2) | instskip(NEXT) | instid1(VALU_DEP_2)
	v_dual_sub_nc_u32 v59, v59, v4 :: v_dual_add_nc_u32 v62, v62, v2
	v_dual_add_nc_u32 v79, v51, v41 :: v_dual_sub_nc_u32 v78, v5, v78
	s_delay_alu instid0(VALU_DEP_3) | instskip(SKIP_1) | instid1(VALU_DEP_3)
	v_add_nc_u32_e32 v52, v77, v52
	v_dual_sub_nc_u32 v73, v73, v6 :: v_dual_sub_nc_u32 v58, v58, v4
	v_add_nc_u32_e32 v48, v79, v48
	s_delay_alu instid0(VALU_DEP_4) | instskip(SKIP_2) | instid1(VALU_DEP_4)
	v_dual_sub_nc_u32 v71, v71, v6 :: v_dual_cndmask_b32 v1, v78, v1, vcc_lo
	v_cmp_eq_u32_e32 vcc_lo, 1, v74
	v_add_nc_u32_e32 v50, v52, v50
	v_dual_add_nc_u32 v80, v62, v70 :: v_dual_add_nc_u32 v47, v48, v47
	v_dual_lshrrev_b32 v66, 8, v32 :: v_dual_lshrrev_b32 v65, 16, v32
	v_dual_cndmask_b32 v1, v1, v72, vcc_lo :: v_dual_add_nc_u32 v71, v71, v2
	s_delay_alu instid0(VALU_DEP_3) | instskip(NEXT) | instid1(VALU_DEP_4)
	v_dual_add_nc_u32 v49, v50, v49 :: v_dual_add_nc_u32 v46, v47, v46
	v_sub_nc_u32_e32 v74, v5, v80
	s_delay_alu instid0(VALU_DEP_3) | instskip(NEXT) | instid1(VALU_DEP_3)
	v_dual_add_nc_u32 v75, v71, v59 :: v_dual_bitop2_b32 v68, 1, v68 bitop3:0x40
	v_dual_add_nc_u32 v72, v49, v40 :: v_dual_bitop2_b32 v69, 1, v69 bitop3:0x40
	s_delay_alu instid0(VALU_DEP_3) | instskip(NEXT) | instid1(VALU_DEP_3)
	v_add_nc_u32_e32 v74, 1, v74
	v_cmp_eq_u32_e32 vcc_lo, 1, v68
	s_delay_alu instid0(VALU_DEP_3) | instskip(SKIP_1) | instid1(VALU_DEP_4)
	v_dual_sub_nc_u32 v75, v5, v75 :: v_dual_add_nc_u32 v45, v72, v45
	v_dual_add_nc_u32 v68, v73, v2 :: v_dual_bitop2_b32 v44, 1, v44 bitop3:0x40
	v_cndmask_b32_e32 v62, v74, v62, vcc_lo
	v_cmp_eq_u32_e32 vcc_lo, 1, v69
	s_delay_alu instid0(VALU_DEP_3)
	v_dual_add_nc_u32 v73, 2, v75 :: v_dual_add_nc_u32 v69, v58, v68
	v_dual_lshlrev_b32 v1, 2, v1 :: v_dual_bitop2_b32 v67, 1, v67 bitop3:0x40
	v_add_nc_u32_e32 v78, v46, v39
	v_cndmask_b32_e32 v62, v62, v70, vcc_lo
	v_cmp_eq_u32_e32 vcc_lo, 1, v44
	v_dual_sub_nc_u32 v57, v57, v6 :: v_dual_bitop2_b32 v43, 1, v43 bitop3:0x40
	ds_store_b32 v1, v20
	v_dual_lshlrev_b32 v20, 2, v62 :: v_dual_cndmask_b32 v44, v73, v71, vcc_lo
	v_cmp_eq_u32_e32 vcc_lo, 1, v67
	v_sub_nc_u32_e32 v1, v5, v69
	v_dual_lshrrev_b32 v63, 16, v33 :: v_dual_lshrrev_b32 v64, 8, v33
	ds_store_b32 v20, v21
	v_dual_cndmask_b32 v44, v44, v59, vcc_lo :: v_dual_bitop2_b32 v32, 1, v32 bitop3:0x40
	v_dual_add_nc_u32 v1, 3, v1 :: v_dual_add_nc_u32 v57, v57, v2
	v_dual_sub_nc_u32 v54, v54, v6 :: v_dual_lshrrev_b32 v25, 16, v35
	v_lshrrev_b32_e32 v27, 8, v35
	s_delay_alu instid0(VALU_DEP_4)
	v_cmp_eq_u32_e32 vcc_lo, 1, v32
	v_sub_nc_u32_e32 v56, v56, v6
	v_sub_nc_u32_e32 v32, v76, v4
	v_dual_lshrrev_b32 v26, 8, v36 :: v_dual_lshrrev_b32 v24, 16, v36
	v_cndmask_b32_e32 v1, v1, v68, vcc_lo
	v_cmp_eq_u32_e32 vcc_lo, 1, v43
	v_dual_sub_nc_u32 v55, v55, v4 :: v_dual_add_nc_u32 v56, v56, v2
	v_dual_add_nc_u32 v43, v32, v57 :: v_dual_lshlrev_b32 v21, 2, v44
	s_delay_alu instid0(VALU_DEP_4) | instskip(NEXT) | instid1(VALU_DEP_2)
	v_dual_cndmask_b32 v1, v1, v58, vcc_lo :: v_dual_bitop2_b32 v58, 1, v65 bitop3:0x40
	v_dual_add_nc_u32 v20, v55, v56 :: v_dual_sub_nc_u32 v43, v5, v43
	s_delay_alu instid0(VALU_DEP_2) | instskip(NEXT) | instid1(VALU_DEP_2)
	v_dual_lshlrev_b32 v1, 2, v1 :: v_dual_bitop2_b32 v44, 1, v66 bitop3:0x40
	v_dual_sub_nc_u32 v20, v5, v20 :: v_dual_bitop2_b32 v33, 1, v33 bitop3:0x40
	s_delay_alu instid0(VALU_DEP_3) | instskip(NEXT) | instid1(VALU_DEP_3)
	v_add_nc_u32_e32 v43, 4, v43
	v_cmp_eq_u32_e32 vcc_lo, 1, v44
	v_dual_sub_nc_u32 v53, v53, v4 :: v_dual_add_nc_u32 v54, v54, v2
	s_delay_alu instid0(VALU_DEP_4)
	v_add_nc_u32_e32 v20, 5, v20
	ds_store_b32 v21, v18
	v_cndmask_b32_e32 v43, v43, v57, vcc_lo
	v_cmp_eq_u32_e32 vcc_lo, 1, v58
	v_and_b32_e32 v44, 1, v64
	ds_store_b32 v1, v19
	v_and_b32_e32 v21, 1, v63
	v_sub_nc_u64_e32 v[30:31], s[30:31], v[2:3]
	v_dual_cndmask_b32 v20, v20, v56, vcc_lo :: v_dual_add_nc_u32 v56, v53, v54
	v_cmp_eq_u32_e32 vcc_lo, 1, v33
	v_sub_nc_u32_e32 v33, v52, v6
	s_mov_b32 s41, 0
	s_delay_alu instid0(VALU_DEP_3)
	v_dual_sub_nc_u32 v18, v5, v56 :: v_dual_bitop2_b32 v27, 1, v27 bitop3:0x40
	v_cndmask_b32_e32 v32, v43, v32, vcc_lo
	v_cmp_eq_u32_e32 vcc_lo, 1, v44
	v_add_nc_u64_e32 v[30:31], v[30:31], v[6:7]
	s_add_nc_u64 s[0:1], s[34:35], s[40:41]
	v_dual_add_nc_u32 v18, 6, v18 :: v_dual_cndmask_b32 v20, v20, v55, vcc_lo
	v_dual_lshlrev_b32 v1, 2, v32 :: v_dual_sub_nc_u32 v32, v77, v6
	s_delay_alu instid0(VALU_DEP_2)
	v_dual_lshlrev_b32 v19, 2, v20 :: v_dual_bitop2_b32 v20, 1, v42 bitop3:0x40
	v_sub_nc_u32_e32 v42, v79, v4
	ds_store_b32 v1, v16
	ds_store_b32 v19, v17
	v_cmp_eq_u32_e32 vcc_lo, 1, v20
	v_dual_sub_nc_u32 v20, v51, v4 :: v_dual_add_nc_u32 v32, v32, v2
	v_dual_add_nc_u32 v33, v33, v2 :: v_dual_bitop2_b32 v19, 1, v35 bitop3:0x40
	v_cndmask_b32_e32 v18, v18, v54, vcc_lo
	v_cmp_eq_u32_e32 vcc_lo, 1, v21
	s_delay_alu instid0(VALU_DEP_4) | instskip(NEXT) | instid1(VALU_DEP_3)
	v_add_nc_u32_e32 v21, v20, v32
	v_dual_cndmask_b32 v18, v18, v53 :: v_dual_sub_nc_u32 v35, v48, v4
	v_add_nc_u32_e32 v1, v42, v33
	s_delay_alu instid0(VALU_DEP_3) | instskip(SKIP_1) | instid1(VALU_DEP_4)
	v_dual_sub_nc_u32 v17, v5, v21 :: v_dual_sub_nc_u32 v21, v50, v6
	v_cmp_eq_u32_e32 vcc_lo, 1, v19
	v_dual_lshlrev_b32 v16, 2, v18 :: v_dual_bitop2_b32 v18, 1, v41 bitop3:0x40
	s_delay_alu instid0(VALU_DEP_4) | instskip(NEXT) | instid1(VALU_DEP_4)
	v_sub_nc_u32_e32 v1, v5, v1
	v_dual_add_nc_u32 v17, 7, v17 :: v_dual_add_nc_u32 v21, v21, v2
	ds_store_b32 v16, v14
	v_dual_add_nc_u32 v1, 8, v1 :: v_dual_cndmask_b32 v17, v17, v32, vcc_lo
	v_cmp_eq_u32_e32 vcc_lo, 1, v27
	v_dual_add_nc_u32 v27, v35, v21 :: v_dual_bitop2_b32 v19, 1, v36 bitop3:0x40
	s_delay_alu instid0(VALU_DEP_3) | instskip(SKIP_1) | instid1(VALU_DEP_3)
	v_cndmask_b32_e32 v1, v1, v33, vcc_lo
	v_cmp_eq_u32_e32 vcc_lo, 1, v18
	v_dual_sub_nc_u32 v14, v5, v27 :: v_dual_bitop2_b32 v18, 1, v25 bitop3:0x40
	v_cndmask_b32_e32 v17, v17, v20, vcc_lo
	v_cmp_eq_u32_e32 vcc_lo, 1, v19
	v_dual_sub_nc_u32 v19, v47, v4 :: v_dual_cndmask_b32 v1, v1, v42, vcc_lo
	s_delay_alu instid0(VALU_DEP_4) | instskip(NEXT) | instid1(VALU_DEP_2)
	v_cmp_eq_u32_e32 vcc_lo, 1, v18
	v_lshlrev_b32_e32 v1, 2, v1
	v_dual_lshlrev_b32 v16, 2, v17 :: v_dual_sub_nc_u32 v17, v49, v6
	ds_store_b32 v16, v15
	v_add_nc_u32_e32 v17, v17, v2
	v_add_nc_u32_e32 v14, 9, v14
	ds_store_b32 v1, v12
	v_dual_sub_nc_u32 v16, v45, v6 :: v_dual_add_nc_u32 v15, v19, v17
	v_dual_cndmask_b32 v14, v14, v21, vcc_lo :: v_dual_bitop2_b32 v20, 1, v26 bitop3:0x40
	v_sub_nc_u32_e32 v12, v72, v6
	s_delay_alu instid0(VALU_DEP_3) | instskip(NEXT) | instid1(VALU_DEP_3)
	v_add_nc_u32_e32 v16, v16, v2
	v_cmp_eq_u32_e32 vcc_lo, 1, v20
	v_sub_nc_u32_e32 v20, v78, v4
	v_cndmask_b32_e32 v1, v14, v35, vcc_lo
	v_dual_sub_nc_u32 v14, v5, v15 :: v_dual_bitop2_b32 v15, 1, v40 bitop3:0x40
	v_dual_sub_nc_u32 v18, v46, v4 :: v_dual_add_nc_u32 v12, v12, v2
	s_delay_alu instid0(VALU_DEP_2) | instskip(NEXT) | instid1(VALU_DEP_3)
	v_dual_add_nc_u32 v14, 10, v14 :: v_dual_bitop2_b32 v4, 1, v24 bitop3:0x40
	v_cmp_eq_u32_e32 vcc_lo, 1, v15
	v_add_nc_u32_e32 v15, v20, v16
	s_delay_alu instid0(VALU_DEP_4) | instskip(NEXT) | instid1(VALU_DEP_4)
	v_dual_add_nc_u32 v21, v18, v12 :: v_dual_lshlrev_b32 v1, 2, v1
	v_cndmask_b32_e32 v14, v14, v17, vcc_lo
	v_cmp_eq_u32_e32 vcc_lo, 1, v4
	s_delay_alu instid0(VALU_DEP_3) | instskip(SKIP_4) | instid1(VALU_DEP_3)
	v_dual_sub_nc_u32 v17, v5, v21 :: v_dual_sub_nc_u32 v4, v5, v15
	ds_store_b32 v1, v13
	v_dual_cndmask_b32 v14, v14, v19, vcc_lo :: v_dual_bitop2_b32 v19, 1, v34 bitop3:0x40
	v_dual_add_nc_u32 v17, 11, v17 :: v_dual_bitop2_b32 v15, 1, v39 bitop3:0x40
	v_dual_add_nc_u32 v24, 12, v4 :: v_dual_bitop2_b32 v21, 1, v38 bitop3:0x40
	v_cmp_eq_u32_e32 vcc_lo, 1, v19
	v_add_nc_u64_e32 v[4:5], v[8:9], v[60:61]
	s_delay_alu instid0(VALU_DEP_4) | instskip(SKIP_2) | instid1(VALU_DEP_4)
	v_dual_lshlrev_b32 v14, 2, v14 :: v_dual_cndmask_b32 v12, v17, v12, vcc_lo
	v_and_b32_e32 v17, 1, v37
	v_cmp_eq_u32_e32 vcc_lo, 1, v21
	v_add_nc_u64_e32 v[4:5], v[4:5], v[30:31]
	ds_store_b32 v14, v10
	v_cndmask_b32_e32 v16, v24, v16, vcc_lo
	v_cmp_eq_u32_e32 vcc_lo, 1, v15
	v_add_nc_u64_e32 v[4:5], v[4:5], v[22:23]
	v_cndmask_b32_e32 v12, v12, v18, vcc_lo
	v_cmp_eq_u32_e32 vcc_lo, 1, v17
	v_cndmask_b32_e32 v15, v16, v20, vcc_lo
	v_cmp_ne_u32_e32 vcc_lo, 1, v29
	s_delay_alu instid0(VALU_DEP_2)
	v_dual_lshlrev_b32 v10, 2, v15 :: v_dual_lshlrev_b32 v1, 2, v12
	v_lshlrev_b64_e32 v[12:13], 2, v[30:31]
	v_lshlrev_b64_e32 v[14:15], 2, v[22:23]
	s_and_b32 vcc_lo, exec_lo, vcc_lo
	ds_store_b32 v1, v11
	ds_store_b32 v10, v28
	v_sub_nc_u64_e32 v[10:11], s[0:1], v[4:5]
	v_add_nc_u64_e32 v[4:5], s[38:39], v[12:13]
	v_add_nc_u64_e32 v[12:13], s[36:37], v[14:15]
	v_add_nc_u32_e32 v14, v2, v8
	s_mov_b32 s0, -1
	s_wait_dscnt 0x0
	s_barrier_signal -1
	s_barrier_wait -1
	s_cbranch_vccz .LBB224_150
; %bb.147:
	s_and_b32 vcc_lo, exec_lo, s0
	s_cbranch_vccnz .LBB224_255
.LBB224_148:
	v_cmp_eq_u32_e32 vcc_lo, 0, v0
	s_and_b32 s0, vcc_lo, s15
	s_delay_alu instid0(SALU_CYCLE_1)
	s_and_saveexec_b32 s1, s0
	s_cbranch_execnz .LBB224_373
.LBB224_149:
	s_sendmsg sendmsg(MSG_DEALLOC_VGPRS)
	s_endpgm
.LBB224_150:
	s_mov_b32 s0, exec_lo
	v_cmpx_ge_u32_e64 v0, v2
	s_xor_b32 s0, exec_lo, s0
	s_cbranch_execz .LBB224_156
; %bb.151:
	v_mov_b32_e32 v1, 0
	s_mov_b32 s1, exec_lo
	v_cmpx_ge_u32_e64 v0, v14
	s_xor_b32 s1, exec_lo, s1
	s_cbranch_execz .LBB224_153
; %bb.152:
	v_lshlrev_b32_e32 v15, 2, v0
	v_add_nc_u64_e32 v[16:17], v[10:11], v[0:1]
	ds_load_b32 v1, v15
	v_lshlrev_b64_e32 v[16:17], 2, v[16:17]
	s_delay_alu instid0(VALU_DEP_1)
	v_sub_nc_u64_e32 v[16:17], s[26:27], v[16:17]
	s_wait_dscnt 0x0
	global_store_b32 v[16:17], v1, off offset:-4
.LBB224_153:
	s_wait_xcnt 0x0
	s_and_not1_saveexec_b32 s1, s1
	s_cbranch_execz .LBB224_155
; %bb.154:
	v_lshlrev_b32_e32 v1, 2, v0
	v_readfirstlane_b32 s2, v4
	v_readfirstlane_b32 s3, v5
	ds_load_b32 v1, v1
	s_wait_dscnt 0x0
	global_store_b32 v0, v1, s[2:3] scale_offset
.LBB224_155:
	s_wait_xcnt 0x0
	s_or_b32 exec_lo, exec_lo, s1
.LBB224_156:
	s_and_not1_saveexec_b32 s0, s0
	s_cbranch_execz .LBB224_158
; %bb.157:
	v_lshlrev_b32_e32 v1, 2, v0
	v_readfirstlane_b32 s2, v12
	v_readfirstlane_b32 s3, v13
	ds_load_b32 v1, v1
	s_wait_dscnt 0x0
	global_store_b32 v0, v1, s[2:3] scale_offset
.LBB224_158:
	s_wait_xcnt 0x0
	s_or_b32 exec_lo, exec_lo, s0
	v_or_b32_e32 v1, 0x100, v0
	s_mov_b32 s0, exec_lo
	s_delay_alu instid0(VALU_DEP_1)
	v_cmpx_ge_u32_e64 v1, v2
	s_xor_b32 s0, exec_lo, s0
	s_cbranch_execz .LBB224_164
; %bb.159:
	s_mov_b32 s1, exec_lo
	v_cmpx_ge_u32_e64 v1, v14
	s_xor_b32 s1, exec_lo, s1
	s_cbranch_execz .LBB224_161
; %bb.160:
	v_dual_mov_b32 v1, 0 :: v_dual_lshlrev_b32 v15, 2, v0
	s_delay_alu instid0(VALU_DEP_1) | instskip(SKIP_2) | instid1(VALU_DEP_1)
	v_add_nc_u64_e32 v[16:17], v[10:11], v[0:1]
	ds_load_b32 v1, v15 offset:1024
	v_lshlrev_b64_e32 v[16:17], 2, v[16:17]
	v_sub_nc_u64_e32 v[16:17], s[26:27], v[16:17]
	s_wait_dscnt 0x0
	global_store_b32 v[16:17], v1, off offset:-1028
.LBB224_161:
	s_wait_xcnt 0x0
	s_and_not1_saveexec_b32 s1, s1
	s_cbranch_execz .LBB224_163
; %bb.162:
	v_lshlrev_b32_e32 v1, 2, v0
	v_readfirstlane_b32 s2, v4
	v_readfirstlane_b32 s3, v5
	ds_load_b32 v1, v1 offset:1024
	s_wait_dscnt 0x0
	global_store_b32 v0, v1, s[2:3] offset:1024 scale_offset
.LBB224_163:
	s_wait_xcnt 0x0
	s_or_b32 exec_lo, exec_lo, s1
.LBB224_164:
	s_and_not1_saveexec_b32 s0, s0
	s_cbranch_execz .LBB224_166
; %bb.165:
	v_lshlrev_b32_e32 v1, 2, v0
	v_readfirstlane_b32 s2, v12
	v_readfirstlane_b32 s3, v13
	ds_load_b32 v1, v1 offset:1024
	s_wait_dscnt 0x0
	global_store_b32 v0, v1, s[2:3] offset:1024 scale_offset
.LBB224_166:
	s_wait_xcnt 0x0
	s_or_b32 exec_lo, exec_lo, s0
	v_or_b32_e32 v1, 0x200, v0
	s_mov_b32 s0, exec_lo
	s_delay_alu instid0(VALU_DEP_1)
	v_cmpx_ge_u32_e64 v1, v2
	s_xor_b32 s0, exec_lo, s0
	s_cbranch_execz .LBB224_172
; %bb.167:
	s_mov_b32 s1, exec_lo
	v_cmpx_ge_u32_e64 v1, v14
	s_xor_b32 s1, exec_lo, s1
	s_cbranch_execz .LBB224_169
; %bb.168:
	v_dual_mov_b32 v1, 0 :: v_dual_lshlrev_b32 v15, 2, v0
	s_delay_alu instid0(VALU_DEP_1) | instskip(SKIP_2) | instid1(VALU_DEP_1)
	v_add_nc_u64_e32 v[16:17], v[10:11], v[0:1]
	ds_load_b32 v1, v15 offset:2048
	v_lshlrev_b64_e32 v[16:17], 2, v[16:17]
	v_sub_nc_u64_e32 v[16:17], s[26:27], v[16:17]
	s_wait_dscnt 0x0
	global_store_b32 v[16:17], v1, off offset:-2052
.LBB224_169:
	s_wait_xcnt 0x0
	s_and_not1_saveexec_b32 s1, s1
	s_cbranch_execz .LBB224_171
; %bb.170:
	v_lshlrev_b32_e32 v1, 2, v0
	v_readfirstlane_b32 s2, v4
	v_readfirstlane_b32 s3, v5
	ds_load_b32 v1, v1 offset:2048
	s_wait_dscnt 0x0
	global_store_b32 v0, v1, s[2:3] offset:2048 scale_offset
.LBB224_171:
	s_wait_xcnt 0x0
	s_or_b32 exec_lo, exec_lo, s1
.LBB224_172:
	s_and_not1_saveexec_b32 s0, s0
	s_cbranch_execz .LBB224_174
; %bb.173:
	v_lshlrev_b32_e32 v1, 2, v0
	v_readfirstlane_b32 s2, v12
	v_readfirstlane_b32 s3, v13
	ds_load_b32 v1, v1 offset:2048
	s_wait_dscnt 0x0
	global_store_b32 v0, v1, s[2:3] offset:2048 scale_offset
.LBB224_174:
	;; [unrolled: 47-line block ×12, first 2 shown]
	s_wait_xcnt 0x0
	s_or_b32 exec_lo, exec_lo, s0
	s_branch .LBB224_148
.LBB224_255:
	s_mov_b32 s0, exec_lo
	v_cmpx_gt_u32_e64 s6, v0
	s_cbranch_execz .LBB224_264
; %bb.256:
	s_mov_b32 s1, exec_lo
	v_cmpx_ge_u32_e64 v0, v2
	s_xor_b32 s1, exec_lo, s1
	s_cbranch_execz .LBB224_262
; %bb.257:
	v_mov_b32_e32 v1, 0
	s_mov_b32 s2, exec_lo
	v_cmpx_ge_u32_e64 v0, v14
	s_xor_b32 s2, exec_lo, s2
	s_cbranch_execz .LBB224_259
; %bb.258:
	v_lshlrev_b32_e32 v15, 2, v0
	v_add_nc_u64_e32 v[16:17], v[10:11], v[0:1]
	ds_load_b32 v1, v15
	v_lshlrev_b64_e32 v[16:17], 2, v[16:17]
	s_delay_alu instid0(VALU_DEP_1)
	v_sub_nc_u64_e32 v[16:17], s[26:27], v[16:17]
	s_wait_dscnt 0x0
	global_store_b32 v[16:17], v1, off offset:-4
.LBB224_259:
	s_wait_xcnt 0x0
	s_and_not1_saveexec_b32 s2, s2
	s_cbranch_execz .LBB224_261
; %bb.260:
	v_lshlrev_b32_e32 v1, 2, v0
	v_readfirstlane_b32 s4, v4
	v_readfirstlane_b32 s5, v5
	ds_load_b32 v1, v1
	s_wait_dscnt 0x0
	global_store_b32 v0, v1, s[4:5] scale_offset
.LBB224_261:
	s_wait_xcnt 0x0
	s_or_b32 exec_lo, exec_lo, s2
.LBB224_262:
	s_and_not1_saveexec_b32 s1, s1
	s_cbranch_execz .LBB224_264
; %bb.263:
	v_lshlrev_b32_e32 v1, 2, v0
	v_readfirstlane_b32 s2, v12
	v_readfirstlane_b32 s3, v13
	ds_load_b32 v1, v1
	s_wait_dscnt 0x0
	global_store_b32 v0, v1, s[2:3] scale_offset
.LBB224_264:
	s_wait_xcnt 0x0
	s_or_b32 exec_lo, exec_lo, s0
	v_or_b32_e32 v1, 0x100, v0
	s_mov_b32 s0, exec_lo
	s_delay_alu instid0(VALU_DEP_1)
	v_cmpx_gt_u32_e64 s6, v1
	s_cbranch_execz .LBB224_273
; %bb.265:
	s_mov_b32 s1, exec_lo
	v_cmpx_ge_u32_e64 v1, v2
	s_xor_b32 s1, exec_lo, s1
	s_cbranch_execz .LBB224_271
; %bb.266:
	s_mov_b32 s2, exec_lo
	v_cmpx_ge_u32_e64 v1, v14
	s_xor_b32 s2, exec_lo, s2
	s_cbranch_execz .LBB224_268
; %bb.267:
	v_dual_mov_b32 v1, 0 :: v_dual_lshlrev_b32 v15, 2, v0
	s_delay_alu instid0(VALU_DEP_1) | instskip(SKIP_2) | instid1(VALU_DEP_1)
	v_add_nc_u64_e32 v[16:17], v[10:11], v[0:1]
	ds_load_b32 v1, v15 offset:1024
	v_lshlrev_b64_e32 v[16:17], 2, v[16:17]
	v_sub_nc_u64_e32 v[16:17], s[26:27], v[16:17]
	s_wait_dscnt 0x0
	global_store_b32 v[16:17], v1, off offset:-1028
.LBB224_268:
	s_wait_xcnt 0x0
	s_and_not1_saveexec_b32 s2, s2
	s_cbranch_execz .LBB224_270
; %bb.269:
	v_lshlrev_b32_e32 v1, 2, v0
	v_readfirstlane_b32 s4, v4
	v_readfirstlane_b32 s5, v5
	ds_load_b32 v1, v1 offset:1024
	s_wait_dscnt 0x0
	global_store_b32 v0, v1, s[4:5] offset:1024 scale_offset
.LBB224_270:
	s_wait_xcnt 0x0
	s_or_b32 exec_lo, exec_lo, s2
.LBB224_271:
	s_and_not1_saveexec_b32 s1, s1
	s_cbranch_execz .LBB224_273
; %bb.272:
	v_lshlrev_b32_e32 v1, 2, v0
	v_readfirstlane_b32 s2, v12
	v_readfirstlane_b32 s3, v13
	ds_load_b32 v1, v1 offset:1024
	s_wait_dscnt 0x0
	global_store_b32 v0, v1, s[2:3] offset:1024 scale_offset
.LBB224_273:
	s_wait_xcnt 0x0
	s_or_b32 exec_lo, exec_lo, s0
	v_or_b32_e32 v1, 0x200, v0
	s_mov_b32 s0, exec_lo
	s_delay_alu instid0(VALU_DEP_1)
	v_cmpx_gt_u32_e64 s6, v1
	s_cbranch_execz .LBB224_282
; %bb.274:
	s_mov_b32 s1, exec_lo
	v_cmpx_ge_u32_e64 v1, v2
	s_xor_b32 s1, exec_lo, s1
	s_cbranch_execz .LBB224_280
; %bb.275:
	s_mov_b32 s2, exec_lo
	v_cmpx_ge_u32_e64 v1, v14
	s_xor_b32 s2, exec_lo, s2
	s_cbranch_execz .LBB224_277
; %bb.276:
	v_dual_mov_b32 v1, 0 :: v_dual_lshlrev_b32 v15, 2, v0
	s_delay_alu instid0(VALU_DEP_1) | instskip(SKIP_2) | instid1(VALU_DEP_1)
	v_add_nc_u64_e32 v[16:17], v[10:11], v[0:1]
	ds_load_b32 v1, v15 offset:2048
	v_lshlrev_b64_e32 v[16:17], 2, v[16:17]
	v_sub_nc_u64_e32 v[16:17], s[26:27], v[16:17]
	s_wait_dscnt 0x0
	global_store_b32 v[16:17], v1, off offset:-2052
.LBB224_277:
	s_wait_xcnt 0x0
	s_and_not1_saveexec_b32 s2, s2
	s_cbranch_execz .LBB224_279
; %bb.278:
	v_lshlrev_b32_e32 v1, 2, v0
	v_readfirstlane_b32 s4, v4
	v_readfirstlane_b32 s5, v5
	ds_load_b32 v1, v1 offset:2048
	s_wait_dscnt 0x0
	global_store_b32 v0, v1, s[4:5] offset:2048 scale_offset
.LBB224_279:
	s_wait_xcnt 0x0
	s_or_b32 exec_lo, exec_lo, s2
.LBB224_280:
	s_and_not1_saveexec_b32 s1, s1
	s_cbranch_execz .LBB224_282
; %bb.281:
	v_lshlrev_b32_e32 v1, 2, v0
	v_readfirstlane_b32 s2, v12
	v_readfirstlane_b32 s3, v13
	ds_load_b32 v1, v1 offset:2048
	s_wait_dscnt 0x0
	global_store_b32 v0, v1, s[2:3] offset:2048 scale_offset
.LBB224_282:
	;; [unrolled: 51-line block ×11, first 2 shown]
	s_wait_xcnt 0x0
	s_or_b32 exec_lo, exec_lo, s0
	v_or_b32_e32 v1, 0xc00, v0
	s_mov_b32 s0, exec_lo
	s_delay_alu instid0(VALU_DEP_1)
	v_cmpx_gt_u32_e64 s6, v1
	s_cbranch_execz .LBB224_372
; %bb.364:
	s_mov_b32 s1, exec_lo
	v_cmpx_ge_u32_e64 v1, v2
	s_xor_b32 s1, exec_lo, s1
	s_cbranch_execz .LBB224_370
; %bb.365:
	s_mov_b32 s2, exec_lo
	v_cmpx_ge_u32_e64 v1, v14
	s_xor_b32 s2, exec_lo, s2
	s_cbranch_execz .LBB224_367
; %bb.366:
	v_dual_mov_b32 v1, 0 :: v_dual_lshlrev_b32 v12, 2, v0
	s_delay_alu instid0(VALU_DEP_1) | instskip(SKIP_2) | instid1(VALU_DEP_1)
	v_add_nc_u64_e32 v[4:5], v[10:11], v[0:1]
	ds_load_b32 v1, v12 offset:12288
	v_lshlrev_b64_e32 v[4:5], 2, v[4:5]
	v_sub_nc_u64_e32 v[4:5], s[26:27], v[4:5]
	s_wait_dscnt 0x0
	global_store_b32 v[4:5], v1, off offset:-12292
                                        ; implicit-def: $vgpr4_vgpr5
.LBB224_367:
	s_wait_xcnt 0x0
	s_and_not1_saveexec_b32 s2, s2
	s_cbranch_execz .LBB224_369
; %bb.368:
	v_lshlrev_b32_e32 v1, 2, v0
	v_readfirstlane_b32 s4, v4
	v_readfirstlane_b32 s5, v5
	ds_load_b32 v1, v1 offset:12288
	s_wait_dscnt 0x0
	global_store_b32 v0, v1, s[4:5] offset:12288 scale_offset
.LBB224_369:
	s_wait_xcnt 0x0
	s_or_b32 exec_lo, exec_lo, s2
                                        ; implicit-def: $vgpr12_vgpr13
.LBB224_370:
	s_and_not1_saveexec_b32 s1, s1
	s_cbranch_execz .LBB224_372
; %bb.371:
	v_lshlrev_b32_e32 v1, 2, v0
	v_readfirstlane_b32 s2, v12
	v_readfirstlane_b32 s3, v13
	ds_load_b32 v1, v1 offset:12288
	s_wait_dscnt 0x0
	global_store_b32 v0, v1, s[2:3] offset:12288 scale_offset
.LBB224_372:
	s_wait_xcnt 0x0
	s_or_b32 exec_lo, exec_lo, s0
	v_cmp_eq_u32_e32 vcc_lo, 0, v0
	s_and_b32 s0, vcc_lo, s15
	s_delay_alu instid0(SALU_CYCLE_1)
	s_and_saveexec_b32 s1, s0
	s_cbranch_execz .LBB224_149
.LBB224_373:
	v_add_nc_u64_e32 v[0:1], s[30:31], v[8:9]
	v_add_nc_u64_e32 v[2:3], v[22:23], v[2:3]
	s_delay_alu instid0(VALU_DEP_2)
	v_add_nc_u64_e32 v[4:5], v[0:1], v[6:7]
	v_mov_b32_e32 v0, 0
	global_store_b128 v0, v[2:5], s[24:25]
	s_sendmsg sendmsg(MSG_DEALLOC_VGPRS)
	s_endpgm
	.section	.rodata,"a",@progbits
	.p2align	6, 0x0
	.amdhsa_kernel _ZN7rocprim17ROCPRIM_400000_NS6detail17trampoline_kernelINS0_13select_configILj256ELj13ELNS0_17block_load_methodE3ELS4_3ELS4_3ELNS0_20block_scan_algorithmE0ELj4294967295EEENS1_25partition_config_selectorILNS1_17partition_subalgoE4EjNS0_10empty_typeEbEEZZNS1_14partition_implILS8_4ELb0ES6_15HIP_vector_typeIjLj2EENS0_17counting_iteratorIjlEEPS9_SG_NS0_5tupleIJPjSI_NS0_16reverse_iteratorISI_EEEEENSH_IJSG_SG_SG_EEES9_SI_JZNS1_25segmented_radix_sort_implINS0_14default_configELb1EPKaPaPKlPlN2at6native12_GLOBAL__N_18offset_tEEE10hipError_tPvRmT1_PNSt15iterator_traitsIS12_E10value_typeET2_T3_PNS13_IS18_E10value_typeET4_jRbjT5_S1E_jjP12ihipStream_tbEUljE_ZNSN_ISO_Lb1ESQ_SR_ST_SU_SY_EESZ_S10_S11_S12_S16_S17_S18_S1B_S1C_jS1D_jS1E_S1E_jjS1G_bEUljE0_EEESZ_S10_S11_S18_S1C_S1E_T6_T7_T9_mT8_S1G_bDpT10_ENKUlT_T0_E_clISt17integral_constantIbLb0EES1U_EEDaS1P_S1Q_EUlS1P_E_NS1_11comp_targetILNS1_3genE0ELNS1_11target_archE4294967295ELNS1_3gpuE0ELNS1_3repE0EEENS1_30default_config_static_selectorELNS0_4arch9wavefront6targetE0EEEvS12_
		.amdhsa_group_segment_fixed_size 13328
		.amdhsa_private_segment_fixed_size 0
		.amdhsa_kernarg_size 176
		.amdhsa_user_sgpr_count 2
		.amdhsa_user_sgpr_dispatch_ptr 0
		.amdhsa_user_sgpr_queue_ptr 0
		.amdhsa_user_sgpr_kernarg_segment_ptr 1
		.amdhsa_user_sgpr_dispatch_id 0
		.amdhsa_user_sgpr_kernarg_preload_length 0
		.amdhsa_user_sgpr_kernarg_preload_offset 0
		.amdhsa_user_sgpr_private_segment_size 0
		.amdhsa_wavefront_size32 1
		.amdhsa_uses_dynamic_stack 0
		.amdhsa_enable_private_segment 0
		.amdhsa_system_sgpr_workgroup_id_x 1
		.amdhsa_system_sgpr_workgroup_id_y 0
		.amdhsa_system_sgpr_workgroup_id_z 0
		.amdhsa_system_sgpr_workgroup_info 0
		.amdhsa_system_vgpr_workitem_id 0
		.amdhsa_next_free_vgpr 81
		.amdhsa_next_free_sgpr 59
		.amdhsa_named_barrier_count 0
		.amdhsa_reserve_vcc 1
		.amdhsa_float_round_mode_32 0
		.amdhsa_float_round_mode_16_64 0
		.amdhsa_float_denorm_mode_32 3
		.amdhsa_float_denorm_mode_16_64 3
		.amdhsa_fp16_overflow 0
		.amdhsa_memory_ordered 1
		.amdhsa_forward_progress 1
		.amdhsa_inst_pref_size 139
		.amdhsa_round_robin_scheduling 0
		.amdhsa_exception_fp_ieee_invalid_op 0
		.amdhsa_exception_fp_denorm_src 0
		.amdhsa_exception_fp_ieee_div_zero 0
		.amdhsa_exception_fp_ieee_overflow 0
		.amdhsa_exception_fp_ieee_underflow 0
		.amdhsa_exception_fp_ieee_inexact 0
		.amdhsa_exception_int_div_zero 0
	.end_amdhsa_kernel
	.section	.text._ZN7rocprim17ROCPRIM_400000_NS6detail17trampoline_kernelINS0_13select_configILj256ELj13ELNS0_17block_load_methodE3ELS4_3ELS4_3ELNS0_20block_scan_algorithmE0ELj4294967295EEENS1_25partition_config_selectorILNS1_17partition_subalgoE4EjNS0_10empty_typeEbEEZZNS1_14partition_implILS8_4ELb0ES6_15HIP_vector_typeIjLj2EENS0_17counting_iteratorIjlEEPS9_SG_NS0_5tupleIJPjSI_NS0_16reverse_iteratorISI_EEEEENSH_IJSG_SG_SG_EEES9_SI_JZNS1_25segmented_radix_sort_implINS0_14default_configELb1EPKaPaPKlPlN2at6native12_GLOBAL__N_18offset_tEEE10hipError_tPvRmT1_PNSt15iterator_traitsIS12_E10value_typeET2_T3_PNS13_IS18_E10value_typeET4_jRbjT5_S1E_jjP12ihipStream_tbEUljE_ZNSN_ISO_Lb1ESQ_SR_ST_SU_SY_EESZ_S10_S11_S12_S16_S17_S18_S1B_S1C_jS1D_jS1E_S1E_jjS1G_bEUljE0_EEESZ_S10_S11_S18_S1C_S1E_T6_T7_T9_mT8_S1G_bDpT10_ENKUlT_T0_E_clISt17integral_constantIbLb0EES1U_EEDaS1P_S1Q_EUlS1P_E_NS1_11comp_targetILNS1_3genE0ELNS1_11target_archE4294967295ELNS1_3gpuE0ELNS1_3repE0EEENS1_30default_config_static_selectorELNS0_4arch9wavefront6targetE0EEEvS12_,"axG",@progbits,_ZN7rocprim17ROCPRIM_400000_NS6detail17trampoline_kernelINS0_13select_configILj256ELj13ELNS0_17block_load_methodE3ELS4_3ELS4_3ELNS0_20block_scan_algorithmE0ELj4294967295EEENS1_25partition_config_selectorILNS1_17partition_subalgoE4EjNS0_10empty_typeEbEEZZNS1_14partition_implILS8_4ELb0ES6_15HIP_vector_typeIjLj2EENS0_17counting_iteratorIjlEEPS9_SG_NS0_5tupleIJPjSI_NS0_16reverse_iteratorISI_EEEEENSH_IJSG_SG_SG_EEES9_SI_JZNS1_25segmented_radix_sort_implINS0_14default_configELb1EPKaPaPKlPlN2at6native12_GLOBAL__N_18offset_tEEE10hipError_tPvRmT1_PNSt15iterator_traitsIS12_E10value_typeET2_T3_PNS13_IS18_E10value_typeET4_jRbjT5_S1E_jjP12ihipStream_tbEUljE_ZNSN_ISO_Lb1ESQ_SR_ST_SU_SY_EESZ_S10_S11_S12_S16_S17_S18_S1B_S1C_jS1D_jS1E_S1E_jjS1G_bEUljE0_EEESZ_S10_S11_S18_S1C_S1E_T6_T7_T9_mT8_S1G_bDpT10_ENKUlT_T0_E_clISt17integral_constantIbLb0EES1U_EEDaS1P_S1Q_EUlS1P_E_NS1_11comp_targetILNS1_3genE0ELNS1_11target_archE4294967295ELNS1_3gpuE0ELNS1_3repE0EEENS1_30default_config_static_selectorELNS0_4arch9wavefront6targetE0EEEvS12_,comdat
.Lfunc_end224:
	.size	_ZN7rocprim17ROCPRIM_400000_NS6detail17trampoline_kernelINS0_13select_configILj256ELj13ELNS0_17block_load_methodE3ELS4_3ELS4_3ELNS0_20block_scan_algorithmE0ELj4294967295EEENS1_25partition_config_selectorILNS1_17partition_subalgoE4EjNS0_10empty_typeEbEEZZNS1_14partition_implILS8_4ELb0ES6_15HIP_vector_typeIjLj2EENS0_17counting_iteratorIjlEEPS9_SG_NS0_5tupleIJPjSI_NS0_16reverse_iteratorISI_EEEEENSH_IJSG_SG_SG_EEES9_SI_JZNS1_25segmented_radix_sort_implINS0_14default_configELb1EPKaPaPKlPlN2at6native12_GLOBAL__N_18offset_tEEE10hipError_tPvRmT1_PNSt15iterator_traitsIS12_E10value_typeET2_T3_PNS13_IS18_E10value_typeET4_jRbjT5_S1E_jjP12ihipStream_tbEUljE_ZNSN_ISO_Lb1ESQ_SR_ST_SU_SY_EESZ_S10_S11_S12_S16_S17_S18_S1B_S1C_jS1D_jS1E_S1E_jjS1G_bEUljE0_EEESZ_S10_S11_S18_S1C_S1E_T6_T7_T9_mT8_S1G_bDpT10_ENKUlT_T0_E_clISt17integral_constantIbLb0EES1U_EEDaS1P_S1Q_EUlS1P_E_NS1_11comp_targetILNS1_3genE0ELNS1_11target_archE4294967295ELNS1_3gpuE0ELNS1_3repE0EEENS1_30default_config_static_selectorELNS0_4arch9wavefront6targetE0EEEvS12_, .Lfunc_end224-_ZN7rocprim17ROCPRIM_400000_NS6detail17trampoline_kernelINS0_13select_configILj256ELj13ELNS0_17block_load_methodE3ELS4_3ELS4_3ELNS0_20block_scan_algorithmE0ELj4294967295EEENS1_25partition_config_selectorILNS1_17partition_subalgoE4EjNS0_10empty_typeEbEEZZNS1_14partition_implILS8_4ELb0ES6_15HIP_vector_typeIjLj2EENS0_17counting_iteratorIjlEEPS9_SG_NS0_5tupleIJPjSI_NS0_16reverse_iteratorISI_EEEEENSH_IJSG_SG_SG_EEES9_SI_JZNS1_25segmented_radix_sort_implINS0_14default_configELb1EPKaPaPKlPlN2at6native12_GLOBAL__N_18offset_tEEE10hipError_tPvRmT1_PNSt15iterator_traitsIS12_E10value_typeET2_T3_PNS13_IS18_E10value_typeET4_jRbjT5_S1E_jjP12ihipStream_tbEUljE_ZNSN_ISO_Lb1ESQ_SR_ST_SU_SY_EESZ_S10_S11_S12_S16_S17_S18_S1B_S1C_jS1D_jS1E_S1E_jjS1G_bEUljE0_EEESZ_S10_S11_S18_S1C_S1E_T6_T7_T9_mT8_S1G_bDpT10_ENKUlT_T0_E_clISt17integral_constantIbLb0EES1U_EEDaS1P_S1Q_EUlS1P_E_NS1_11comp_targetILNS1_3genE0ELNS1_11target_archE4294967295ELNS1_3gpuE0ELNS1_3repE0EEENS1_30default_config_static_selectorELNS0_4arch9wavefront6targetE0EEEvS12_
                                        ; -- End function
	.set _ZN7rocprim17ROCPRIM_400000_NS6detail17trampoline_kernelINS0_13select_configILj256ELj13ELNS0_17block_load_methodE3ELS4_3ELS4_3ELNS0_20block_scan_algorithmE0ELj4294967295EEENS1_25partition_config_selectorILNS1_17partition_subalgoE4EjNS0_10empty_typeEbEEZZNS1_14partition_implILS8_4ELb0ES6_15HIP_vector_typeIjLj2EENS0_17counting_iteratorIjlEEPS9_SG_NS0_5tupleIJPjSI_NS0_16reverse_iteratorISI_EEEEENSH_IJSG_SG_SG_EEES9_SI_JZNS1_25segmented_radix_sort_implINS0_14default_configELb1EPKaPaPKlPlN2at6native12_GLOBAL__N_18offset_tEEE10hipError_tPvRmT1_PNSt15iterator_traitsIS12_E10value_typeET2_T3_PNS13_IS18_E10value_typeET4_jRbjT5_S1E_jjP12ihipStream_tbEUljE_ZNSN_ISO_Lb1ESQ_SR_ST_SU_SY_EESZ_S10_S11_S12_S16_S17_S18_S1B_S1C_jS1D_jS1E_S1E_jjS1G_bEUljE0_EEESZ_S10_S11_S18_S1C_S1E_T6_T7_T9_mT8_S1G_bDpT10_ENKUlT_T0_E_clISt17integral_constantIbLb0EES1U_EEDaS1P_S1Q_EUlS1P_E_NS1_11comp_targetILNS1_3genE0ELNS1_11target_archE4294967295ELNS1_3gpuE0ELNS1_3repE0EEENS1_30default_config_static_selectorELNS0_4arch9wavefront6targetE0EEEvS12_.num_vgpr, 81
	.set _ZN7rocprim17ROCPRIM_400000_NS6detail17trampoline_kernelINS0_13select_configILj256ELj13ELNS0_17block_load_methodE3ELS4_3ELS4_3ELNS0_20block_scan_algorithmE0ELj4294967295EEENS1_25partition_config_selectorILNS1_17partition_subalgoE4EjNS0_10empty_typeEbEEZZNS1_14partition_implILS8_4ELb0ES6_15HIP_vector_typeIjLj2EENS0_17counting_iteratorIjlEEPS9_SG_NS0_5tupleIJPjSI_NS0_16reverse_iteratorISI_EEEEENSH_IJSG_SG_SG_EEES9_SI_JZNS1_25segmented_radix_sort_implINS0_14default_configELb1EPKaPaPKlPlN2at6native12_GLOBAL__N_18offset_tEEE10hipError_tPvRmT1_PNSt15iterator_traitsIS12_E10value_typeET2_T3_PNS13_IS18_E10value_typeET4_jRbjT5_S1E_jjP12ihipStream_tbEUljE_ZNSN_ISO_Lb1ESQ_SR_ST_SU_SY_EESZ_S10_S11_S12_S16_S17_S18_S1B_S1C_jS1D_jS1E_S1E_jjS1G_bEUljE0_EEESZ_S10_S11_S18_S1C_S1E_T6_T7_T9_mT8_S1G_bDpT10_ENKUlT_T0_E_clISt17integral_constantIbLb0EES1U_EEDaS1P_S1Q_EUlS1P_E_NS1_11comp_targetILNS1_3genE0ELNS1_11target_archE4294967295ELNS1_3gpuE0ELNS1_3repE0EEENS1_30default_config_static_selectorELNS0_4arch9wavefront6targetE0EEEvS12_.num_agpr, 0
	.set _ZN7rocprim17ROCPRIM_400000_NS6detail17trampoline_kernelINS0_13select_configILj256ELj13ELNS0_17block_load_methodE3ELS4_3ELS4_3ELNS0_20block_scan_algorithmE0ELj4294967295EEENS1_25partition_config_selectorILNS1_17partition_subalgoE4EjNS0_10empty_typeEbEEZZNS1_14partition_implILS8_4ELb0ES6_15HIP_vector_typeIjLj2EENS0_17counting_iteratorIjlEEPS9_SG_NS0_5tupleIJPjSI_NS0_16reverse_iteratorISI_EEEEENSH_IJSG_SG_SG_EEES9_SI_JZNS1_25segmented_radix_sort_implINS0_14default_configELb1EPKaPaPKlPlN2at6native12_GLOBAL__N_18offset_tEEE10hipError_tPvRmT1_PNSt15iterator_traitsIS12_E10value_typeET2_T3_PNS13_IS18_E10value_typeET4_jRbjT5_S1E_jjP12ihipStream_tbEUljE_ZNSN_ISO_Lb1ESQ_SR_ST_SU_SY_EESZ_S10_S11_S12_S16_S17_S18_S1B_S1C_jS1D_jS1E_S1E_jjS1G_bEUljE0_EEESZ_S10_S11_S18_S1C_S1E_T6_T7_T9_mT8_S1G_bDpT10_ENKUlT_T0_E_clISt17integral_constantIbLb0EES1U_EEDaS1P_S1Q_EUlS1P_E_NS1_11comp_targetILNS1_3genE0ELNS1_11target_archE4294967295ELNS1_3gpuE0ELNS1_3repE0EEENS1_30default_config_static_selectorELNS0_4arch9wavefront6targetE0EEEvS12_.numbered_sgpr, 59
	.set _ZN7rocprim17ROCPRIM_400000_NS6detail17trampoline_kernelINS0_13select_configILj256ELj13ELNS0_17block_load_methodE3ELS4_3ELS4_3ELNS0_20block_scan_algorithmE0ELj4294967295EEENS1_25partition_config_selectorILNS1_17partition_subalgoE4EjNS0_10empty_typeEbEEZZNS1_14partition_implILS8_4ELb0ES6_15HIP_vector_typeIjLj2EENS0_17counting_iteratorIjlEEPS9_SG_NS0_5tupleIJPjSI_NS0_16reverse_iteratorISI_EEEEENSH_IJSG_SG_SG_EEES9_SI_JZNS1_25segmented_radix_sort_implINS0_14default_configELb1EPKaPaPKlPlN2at6native12_GLOBAL__N_18offset_tEEE10hipError_tPvRmT1_PNSt15iterator_traitsIS12_E10value_typeET2_T3_PNS13_IS18_E10value_typeET4_jRbjT5_S1E_jjP12ihipStream_tbEUljE_ZNSN_ISO_Lb1ESQ_SR_ST_SU_SY_EESZ_S10_S11_S12_S16_S17_S18_S1B_S1C_jS1D_jS1E_S1E_jjS1G_bEUljE0_EEESZ_S10_S11_S18_S1C_S1E_T6_T7_T9_mT8_S1G_bDpT10_ENKUlT_T0_E_clISt17integral_constantIbLb0EES1U_EEDaS1P_S1Q_EUlS1P_E_NS1_11comp_targetILNS1_3genE0ELNS1_11target_archE4294967295ELNS1_3gpuE0ELNS1_3repE0EEENS1_30default_config_static_selectorELNS0_4arch9wavefront6targetE0EEEvS12_.num_named_barrier, 0
	.set _ZN7rocprim17ROCPRIM_400000_NS6detail17trampoline_kernelINS0_13select_configILj256ELj13ELNS0_17block_load_methodE3ELS4_3ELS4_3ELNS0_20block_scan_algorithmE0ELj4294967295EEENS1_25partition_config_selectorILNS1_17partition_subalgoE4EjNS0_10empty_typeEbEEZZNS1_14partition_implILS8_4ELb0ES6_15HIP_vector_typeIjLj2EENS0_17counting_iteratorIjlEEPS9_SG_NS0_5tupleIJPjSI_NS0_16reverse_iteratorISI_EEEEENSH_IJSG_SG_SG_EEES9_SI_JZNS1_25segmented_radix_sort_implINS0_14default_configELb1EPKaPaPKlPlN2at6native12_GLOBAL__N_18offset_tEEE10hipError_tPvRmT1_PNSt15iterator_traitsIS12_E10value_typeET2_T3_PNS13_IS18_E10value_typeET4_jRbjT5_S1E_jjP12ihipStream_tbEUljE_ZNSN_ISO_Lb1ESQ_SR_ST_SU_SY_EESZ_S10_S11_S12_S16_S17_S18_S1B_S1C_jS1D_jS1E_S1E_jjS1G_bEUljE0_EEESZ_S10_S11_S18_S1C_S1E_T6_T7_T9_mT8_S1G_bDpT10_ENKUlT_T0_E_clISt17integral_constantIbLb0EES1U_EEDaS1P_S1Q_EUlS1P_E_NS1_11comp_targetILNS1_3genE0ELNS1_11target_archE4294967295ELNS1_3gpuE0ELNS1_3repE0EEENS1_30default_config_static_selectorELNS0_4arch9wavefront6targetE0EEEvS12_.private_seg_size, 0
	.set _ZN7rocprim17ROCPRIM_400000_NS6detail17trampoline_kernelINS0_13select_configILj256ELj13ELNS0_17block_load_methodE3ELS4_3ELS4_3ELNS0_20block_scan_algorithmE0ELj4294967295EEENS1_25partition_config_selectorILNS1_17partition_subalgoE4EjNS0_10empty_typeEbEEZZNS1_14partition_implILS8_4ELb0ES6_15HIP_vector_typeIjLj2EENS0_17counting_iteratorIjlEEPS9_SG_NS0_5tupleIJPjSI_NS0_16reverse_iteratorISI_EEEEENSH_IJSG_SG_SG_EEES9_SI_JZNS1_25segmented_radix_sort_implINS0_14default_configELb1EPKaPaPKlPlN2at6native12_GLOBAL__N_18offset_tEEE10hipError_tPvRmT1_PNSt15iterator_traitsIS12_E10value_typeET2_T3_PNS13_IS18_E10value_typeET4_jRbjT5_S1E_jjP12ihipStream_tbEUljE_ZNSN_ISO_Lb1ESQ_SR_ST_SU_SY_EESZ_S10_S11_S12_S16_S17_S18_S1B_S1C_jS1D_jS1E_S1E_jjS1G_bEUljE0_EEESZ_S10_S11_S18_S1C_S1E_T6_T7_T9_mT8_S1G_bDpT10_ENKUlT_T0_E_clISt17integral_constantIbLb0EES1U_EEDaS1P_S1Q_EUlS1P_E_NS1_11comp_targetILNS1_3genE0ELNS1_11target_archE4294967295ELNS1_3gpuE0ELNS1_3repE0EEENS1_30default_config_static_selectorELNS0_4arch9wavefront6targetE0EEEvS12_.uses_vcc, 1
	.set _ZN7rocprim17ROCPRIM_400000_NS6detail17trampoline_kernelINS0_13select_configILj256ELj13ELNS0_17block_load_methodE3ELS4_3ELS4_3ELNS0_20block_scan_algorithmE0ELj4294967295EEENS1_25partition_config_selectorILNS1_17partition_subalgoE4EjNS0_10empty_typeEbEEZZNS1_14partition_implILS8_4ELb0ES6_15HIP_vector_typeIjLj2EENS0_17counting_iteratorIjlEEPS9_SG_NS0_5tupleIJPjSI_NS0_16reverse_iteratorISI_EEEEENSH_IJSG_SG_SG_EEES9_SI_JZNS1_25segmented_radix_sort_implINS0_14default_configELb1EPKaPaPKlPlN2at6native12_GLOBAL__N_18offset_tEEE10hipError_tPvRmT1_PNSt15iterator_traitsIS12_E10value_typeET2_T3_PNS13_IS18_E10value_typeET4_jRbjT5_S1E_jjP12ihipStream_tbEUljE_ZNSN_ISO_Lb1ESQ_SR_ST_SU_SY_EESZ_S10_S11_S12_S16_S17_S18_S1B_S1C_jS1D_jS1E_S1E_jjS1G_bEUljE0_EEESZ_S10_S11_S18_S1C_S1E_T6_T7_T9_mT8_S1G_bDpT10_ENKUlT_T0_E_clISt17integral_constantIbLb0EES1U_EEDaS1P_S1Q_EUlS1P_E_NS1_11comp_targetILNS1_3genE0ELNS1_11target_archE4294967295ELNS1_3gpuE0ELNS1_3repE0EEENS1_30default_config_static_selectorELNS0_4arch9wavefront6targetE0EEEvS12_.uses_flat_scratch, 0
	.set _ZN7rocprim17ROCPRIM_400000_NS6detail17trampoline_kernelINS0_13select_configILj256ELj13ELNS0_17block_load_methodE3ELS4_3ELS4_3ELNS0_20block_scan_algorithmE0ELj4294967295EEENS1_25partition_config_selectorILNS1_17partition_subalgoE4EjNS0_10empty_typeEbEEZZNS1_14partition_implILS8_4ELb0ES6_15HIP_vector_typeIjLj2EENS0_17counting_iteratorIjlEEPS9_SG_NS0_5tupleIJPjSI_NS0_16reverse_iteratorISI_EEEEENSH_IJSG_SG_SG_EEES9_SI_JZNS1_25segmented_radix_sort_implINS0_14default_configELb1EPKaPaPKlPlN2at6native12_GLOBAL__N_18offset_tEEE10hipError_tPvRmT1_PNSt15iterator_traitsIS12_E10value_typeET2_T3_PNS13_IS18_E10value_typeET4_jRbjT5_S1E_jjP12ihipStream_tbEUljE_ZNSN_ISO_Lb1ESQ_SR_ST_SU_SY_EESZ_S10_S11_S12_S16_S17_S18_S1B_S1C_jS1D_jS1E_S1E_jjS1G_bEUljE0_EEESZ_S10_S11_S18_S1C_S1E_T6_T7_T9_mT8_S1G_bDpT10_ENKUlT_T0_E_clISt17integral_constantIbLb0EES1U_EEDaS1P_S1Q_EUlS1P_E_NS1_11comp_targetILNS1_3genE0ELNS1_11target_archE4294967295ELNS1_3gpuE0ELNS1_3repE0EEENS1_30default_config_static_selectorELNS0_4arch9wavefront6targetE0EEEvS12_.has_dyn_sized_stack, 0
	.set _ZN7rocprim17ROCPRIM_400000_NS6detail17trampoline_kernelINS0_13select_configILj256ELj13ELNS0_17block_load_methodE3ELS4_3ELS4_3ELNS0_20block_scan_algorithmE0ELj4294967295EEENS1_25partition_config_selectorILNS1_17partition_subalgoE4EjNS0_10empty_typeEbEEZZNS1_14partition_implILS8_4ELb0ES6_15HIP_vector_typeIjLj2EENS0_17counting_iteratorIjlEEPS9_SG_NS0_5tupleIJPjSI_NS0_16reverse_iteratorISI_EEEEENSH_IJSG_SG_SG_EEES9_SI_JZNS1_25segmented_radix_sort_implINS0_14default_configELb1EPKaPaPKlPlN2at6native12_GLOBAL__N_18offset_tEEE10hipError_tPvRmT1_PNSt15iterator_traitsIS12_E10value_typeET2_T3_PNS13_IS18_E10value_typeET4_jRbjT5_S1E_jjP12ihipStream_tbEUljE_ZNSN_ISO_Lb1ESQ_SR_ST_SU_SY_EESZ_S10_S11_S12_S16_S17_S18_S1B_S1C_jS1D_jS1E_S1E_jjS1G_bEUljE0_EEESZ_S10_S11_S18_S1C_S1E_T6_T7_T9_mT8_S1G_bDpT10_ENKUlT_T0_E_clISt17integral_constantIbLb0EES1U_EEDaS1P_S1Q_EUlS1P_E_NS1_11comp_targetILNS1_3genE0ELNS1_11target_archE4294967295ELNS1_3gpuE0ELNS1_3repE0EEENS1_30default_config_static_selectorELNS0_4arch9wavefront6targetE0EEEvS12_.has_recursion, 0
	.set _ZN7rocprim17ROCPRIM_400000_NS6detail17trampoline_kernelINS0_13select_configILj256ELj13ELNS0_17block_load_methodE3ELS4_3ELS4_3ELNS0_20block_scan_algorithmE0ELj4294967295EEENS1_25partition_config_selectorILNS1_17partition_subalgoE4EjNS0_10empty_typeEbEEZZNS1_14partition_implILS8_4ELb0ES6_15HIP_vector_typeIjLj2EENS0_17counting_iteratorIjlEEPS9_SG_NS0_5tupleIJPjSI_NS0_16reverse_iteratorISI_EEEEENSH_IJSG_SG_SG_EEES9_SI_JZNS1_25segmented_radix_sort_implINS0_14default_configELb1EPKaPaPKlPlN2at6native12_GLOBAL__N_18offset_tEEE10hipError_tPvRmT1_PNSt15iterator_traitsIS12_E10value_typeET2_T3_PNS13_IS18_E10value_typeET4_jRbjT5_S1E_jjP12ihipStream_tbEUljE_ZNSN_ISO_Lb1ESQ_SR_ST_SU_SY_EESZ_S10_S11_S12_S16_S17_S18_S1B_S1C_jS1D_jS1E_S1E_jjS1G_bEUljE0_EEESZ_S10_S11_S18_S1C_S1E_T6_T7_T9_mT8_S1G_bDpT10_ENKUlT_T0_E_clISt17integral_constantIbLb0EES1U_EEDaS1P_S1Q_EUlS1P_E_NS1_11comp_targetILNS1_3genE0ELNS1_11target_archE4294967295ELNS1_3gpuE0ELNS1_3repE0EEENS1_30default_config_static_selectorELNS0_4arch9wavefront6targetE0EEEvS12_.has_indirect_call, 0
	.section	.AMDGPU.csdata,"",@progbits
; Kernel info:
; codeLenInByte = 17784
; TotalNumSgprs: 61
; NumVgprs: 81
; ScratchSize: 0
; MemoryBound: 0
; FloatMode: 240
; IeeeMode: 1
; LDSByteSize: 13328 bytes/workgroup (compile time only)
; SGPRBlocks: 0
; VGPRBlocks: 5
; NumSGPRsForWavesPerEU: 61
; NumVGPRsForWavesPerEU: 81
; NamedBarCnt: 0
; Occupancy: 10
; WaveLimiterHint : 1
; COMPUTE_PGM_RSRC2:SCRATCH_EN: 0
; COMPUTE_PGM_RSRC2:USER_SGPR: 2
; COMPUTE_PGM_RSRC2:TRAP_HANDLER: 0
; COMPUTE_PGM_RSRC2:TGID_X_EN: 1
; COMPUTE_PGM_RSRC2:TGID_Y_EN: 0
; COMPUTE_PGM_RSRC2:TGID_Z_EN: 0
; COMPUTE_PGM_RSRC2:TIDIG_COMP_CNT: 0
	.section	.text._ZN7rocprim17ROCPRIM_400000_NS6detail17trampoline_kernelINS0_13select_configILj256ELj13ELNS0_17block_load_methodE3ELS4_3ELS4_3ELNS0_20block_scan_algorithmE0ELj4294967295EEENS1_25partition_config_selectorILNS1_17partition_subalgoE4EjNS0_10empty_typeEbEEZZNS1_14partition_implILS8_4ELb0ES6_15HIP_vector_typeIjLj2EENS0_17counting_iteratorIjlEEPS9_SG_NS0_5tupleIJPjSI_NS0_16reverse_iteratorISI_EEEEENSH_IJSG_SG_SG_EEES9_SI_JZNS1_25segmented_radix_sort_implINS0_14default_configELb1EPKaPaPKlPlN2at6native12_GLOBAL__N_18offset_tEEE10hipError_tPvRmT1_PNSt15iterator_traitsIS12_E10value_typeET2_T3_PNS13_IS18_E10value_typeET4_jRbjT5_S1E_jjP12ihipStream_tbEUljE_ZNSN_ISO_Lb1ESQ_SR_ST_SU_SY_EESZ_S10_S11_S12_S16_S17_S18_S1B_S1C_jS1D_jS1E_S1E_jjS1G_bEUljE0_EEESZ_S10_S11_S18_S1C_S1E_T6_T7_T9_mT8_S1G_bDpT10_ENKUlT_T0_E_clISt17integral_constantIbLb0EES1U_EEDaS1P_S1Q_EUlS1P_E_NS1_11comp_targetILNS1_3genE5ELNS1_11target_archE942ELNS1_3gpuE9ELNS1_3repE0EEENS1_30default_config_static_selectorELNS0_4arch9wavefront6targetE0EEEvS12_,"axG",@progbits,_ZN7rocprim17ROCPRIM_400000_NS6detail17trampoline_kernelINS0_13select_configILj256ELj13ELNS0_17block_load_methodE3ELS4_3ELS4_3ELNS0_20block_scan_algorithmE0ELj4294967295EEENS1_25partition_config_selectorILNS1_17partition_subalgoE4EjNS0_10empty_typeEbEEZZNS1_14partition_implILS8_4ELb0ES6_15HIP_vector_typeIjLj2EENS0_17counting_iteratorIjlEEPS9_SG_NS0_5tupleIJPjSI_NS0_16reverse_iteratorISI_EEEEENSH_IJSG_SG_SG_EEES9_SI_JZNS1_25segmented_radix_sort_implINS0_14default_configELb1EPKaPaPKlPlN2at6native12_GLOBAL__N_18offset_tEEE10hipError_tPvRmT1_PNSt15iterator_traitsIS12_E10value_typeET2_T3_PNS13_IS18_E10value_typeET4_jRbjT5_S1E_jjP12ihipStream_tbEUljE_ZNSN_ISO_Lb1ESQ_SR_ST_SU_SY_EESZ_S10_S11_S12_S16_S17_S18_S1B_S1C_jS1D_jS1E_S1E_jjS1G_bEUljE0_EEESZ_S10_S11_S18_S1C_S1E_T6_T7_T9_mT8_S1G_bDpT10_ENKUlT_T0_E_clISt17integral_constantIbLb0EES1U_EEDaS1P_S1Q_EUlS1P_E_NS1_11comp_targetILNS1_3genE5ELNS1_11target_archE942ELNS1_3gpuE9ELNS1_3repE0EEENS1_30default_config_static_selectorELNS0_4arch9wavefront6targetE0EEEvS12_,comdat
	.globl	_ZN7rocprim17ROCPRIM_400000_NS6detail17trampoline_kernelINS0_13select_configILj256ELj13ELNS0_17block_load_methodE3ELS4_3ELS4_3ELNS0_20block_scan_algorithmE0ELj4294967295EEENS1_25partition_config_selectorILNS1_17partition_subalgoE4EjNS0_10empty_typeEbEEZZNS1_14partition_implILS8_4ELb0ES6_15HIP_vector_typeIjLj2EENS0_17counting_iteratorIjlEEPS9_SG_NS0_5tupleIJPjSI_NS0_16reverse_iteratorISI_EEEEENSH_IJSG_SG_SG_EEES9_SI_JZNS1_25segmented_radix_sort_implINS0_14default_configELb1EPKaPaPKlPlN2at6native12_GLOBAL__N_18offset_tEEE10hipError_tPvRmT1_PNSt15iterator_traitsIS12_E10value_typeET2_T3_PNS13_IS18_E10value_typeET4_jRbjT5_S1E_jjP12ihipStream_tbEUljE_ZNSN_ISO_Lb1ESQ_SR_ST_SU_SY_EESZ_S10_S11_S12_S16_S17_S18_S1B_S1C_jS1D_jS1E_S1E_jjS1G_bEUljE0_EEESZ_S10_S11_S18_S1C_S1E_T6_T7_T9_mT8_S1G_bDpT10_ENKUlT_T0_E_clISt17integral_constantIbLb0EES1U_EEDaS1P_S1Q_EUlS1P_E_NS1_11comp_targetILNS1_3genE5ELNS1_11target_archE942ELNS1_3gpuE9ELNS1_3repE0EEENS1_30default_config_static_selectorELNS0_4arch9wavefront6targetE0EEEvS12_ ; -- Begin function _ZN7rocprim17ROCPRIM_400000_NS6detail17trampoline_kernelINS0_13select_configILj256ELj13ELNS0_17block_load_methodE3ELS4_3ELS4_3ELNS0_20block_scan_algorithmE0ELj4294967295EEENS1_25partition_config_selectorILNS1_17partition_subalgoE4EjNS0_10empty_typeEbEEZZNS1_14partition_implILS8_4ELb0ES6_15HIP_vector_typeIjLj2EENS0_17counting_iteratorIjlEEPS9_SG_NS0_5tupleIJPjSI_NS0_16reverse_iteratorISI_EEEEENSH_IJSG_SG_SG_EEES9_SI_JZNS1_25segmented_radix_sort_implINS0_14default_configELb1EPKaPaPKlPlN2at6native12_GLOBAL__N_18offset_tEEE10hipError_tPvRmT1_PNSt15iterator_traitsIS12_E10value_typeET2_T3_PNS13_IS18_E10value_typeET4_jRbjT5_S1E_jjP12ihipStream_tbEUljE_ZNSN_ISO_Lb1ESQ_SR_ST_SU_SY_EESZ_S10_S11_S12_S16_S17_S18_S1B_S1C_jS1D_jS1E_S1E_jjS1G_bEUljE0_EEESZ_S10_S11_S18_S1C_S1E_T6_T7_T9_mT8_S1G_bDpT10_ENKUlT_T0_E_clISt17integral_constantIbLb0EES1U_EEDaS1P_S1Q_EUlS1P_E_NS1_11comp_targetILNS1_3genE5ELNS1_11target_archE942ELNS1_3gpuE9ELNS1_3repE0EEENS1_30default_config_static_selectorELNS0_4arch9wavefront6targetE0EEEvS12_
	.p2align	8
	.type	_ZN7rocprim17ROCPRIM_400000_NS6detail17trampoline_kernelINS0_13select_configILj256ELj13ELNS0_17block_load_methodE3ELS4_3ELS4_3ELNS0_20block_scan_algorithmE0ELj4294967295EEENS1_25partition_config_selectorILNS1_17partition_subalgoE4EjNS0_10empty_typeEbEEZZNS1_14partition_implILS8_4ELb0ES6_15HIP_vector_typeIjLj2EENS0_17counting_iteratorIjlEEPS9_SG_NS0_5tupleIJPjSI_NS0_16reverse_iteratorISI_EEEEENSH_IJSG_SG_SG_EEES9_SI_JZNS1_25segmented_radix_sort_implINS0_14default_configELb1EPKaPaPKlPlN2at6native12_GLOBAL__N_18offset_tEEE10hipError_tPvRmT1_PNSt15iterator_traitsIS12_E10value_typeET2_T3_PNS13_IS18_E10value_typeET4_jRbjT5_S1E_jjP12ihipStream_tbEUljE_ZNSN_ISO_Lb1ESQ_SR_ST_SU_SY_EESZ_S10_S11_S12_S16_S17_S18_S1B_S1C_jS1D_jS1E_S1E_jjS1G_bEUljE0_EEESZ_S10_S11_S18_S1C_S1E_T6_T7_T9_mT8_S1G_bDpT10_ENKUlT_T0_E_clISt17integral_constantIbLb0EES1U_EEDaS1P_S1Q_EUlS1P_E_NS1_11comp_targetILNS1_3genE5ELNS1_11target_archE942ELNS1_3gpuE9ELNS1_3repE0EEENS1_30default_config_static_selectorELNS0_4arch9wavefront6targetE0EEEvS12_,@function
_ZN7rocprim17ROCPRIM_400000_NS6detail17trampoline_kernelINS0_13select_configILj256ELj13ELNS0_17block_load_methodE3ELS4_3ELS4_3ELNS0_20block_scan_algorithmE0ELj4294967295EEENS1_25partition_config_selectorILNS1_17partition_subalgoE4EjNS0_10empty_typeEbEEZZNS1_14partition_implILS8_4ELb0ES6_15HIP_vector_typeIjLj2EENS0_17counting_iteratorIjlEEPS9_SG_NS0_5tupleIJPjSI_NS0_16reverse_iteratorISI_EEEEENSH_IJSG_SG_SG_EEES9_SI_JZNS1_25segmented_radix_sort_implINS0_14default_configELb1EPKaPaPKlPlN2at6native12_GLOBAL__N_18offset_tEEE10hipError_tPvRmT1_PNSt15iterator_traitsIS12_E10value_typeET2_T3_PNS13_IS18_E10value_typeET4_jRbjT5_S1E_jjP12ihipStream_tbEUljE_ZNSN_ISO_Lb1ESQ_SR_ST_SU_SY_EESZ_S10_S11_S12_S16_S17_S18_S1B_S1C_jS1D_jS1E_S1E_jjS1G_bEUljE0_EEESZ_S10_S11_S18_S1C_S1E_T6_T7_T9_mT8_S1G_bDpT10_ENKUlT_T0_E_clISt17integral_constantIbLb0EES1U_EEDaS1P_S1Q_EUlS1P_E_NS1_11comp_targetILNS1_3genE5ELNS1_11target_archE942ELNS1_3gpuE9ELNS1_3repE0EEENS1_30default_config_static_selectorELNS0_4arch9wavefront6targetE0EEEvS12_: ; @_ZN7rocprim17ROCPRIM_400000_NS6detail17trampoline_kernelINS0_13select_configILj256ELj13ELNS0_17block_load_methodE3ELS4_3ELS4_3ELNS0_20block_scan_algorithmE0ELj4294967295EEENS1_25partition_config_selectorILNS1_17partition_subalgoE4EjNS0_10empty_typeEbEEZZNS1_14partition_implILS8_4ELb0ES6_15HIP_vector_typeIjLj2EENS0_17counting_iteratorIjlEEPS9_SG_NS0_5tupleIJPjSI_NS0_16reverse_iteratorISI_EEEEENSH_IJSG_SG_SG_EEES9_SI_JZNS1_25segmented_radix_sort_implINS0_14default_configELb1EPKaPaPKlPlN2at6native12_GLOBAL__N_18offset_tEEE10hipError_tPvRmT1_PNSt15iterator_traitsIS12_E10value_typeET2_T3_PNS13_IS18_E10value_typeET4_jRbjT5_S1E_jjP12ihipStream_tbEUljE_ZNSN_ISO_Lb1ESQ_SR_ST_SU_SY_EESZ_S10_S11_S12_S16_S17_S18_S1B_S1C_jS1D_jS1E_S1E_jjS1G_bEUljE0_EEESZ_S10_S11_S18_S1C_S1E_T6_T7_T9_mT8_S1G_bDpT10_ENKUlT_T0_E_clISt17integral_constantIbLb0EES1U_EEDaS1P_S1Q_EUlS1P_E_NS1_11comp_targetILNS1_3genE5ELNS1_11target_archE942ELNS1_3gpuE9ELNS1_3repE0EEENS1_30default_config_static_selectorELNS0_4arch9wavefront6targetE0EEEvS12_
; %bb.0:
	.section	.rodata,"a",@progbits
	.p2align	6, 0x0
	.amdhsa_kernel _ZN7rocprim17ROCPRIM_400000_NS6detail17trampoline_kernelINS0_13select_configILj256ELj13ELNS0_17block_load_methodE3ELS4_3ELS4_3ELNS0_20block_scan_algorithmE0ELj4294967295EEENS1_25partition_config_selectorILNS1_17partition_subalgoE4EjNS0_10empty_typeEbEEZZNS1_14partition_implILS8_4ELb0ES6_15HIP_vector_typeIjLj2EENS0_17counting_iteratorIjlEEPS9_SG_NS0_5tupleIJPjSI_NS0_16reverse_iteratorISI_EEEEENSH_IJSG_SG_SG_EEES9_SI_JZNS1_25segmented_radix_sort_implINS0_14default_configELb1EPKaPaPKlPlN2at6native12_GLOBAL__N_18offset_tEEE10hipError_tPvRmT1_PNSt15iterator_traitsIS12_E10value_typeET2_T3_PNS13_IS18_E10value_typeET4_jRbjT5_S1E_jjP12ihipStream_tbEUljE_ZNSN_ISO_Lb1ESQ_SR_ST_SU_SY_EESZ_S10_S11_S12_S16_S17_S18_S1B_S1C_jS1D_jS1E_S1E_jjS1G_bEUljE0_EEESZ_S10_S11_S18_S1C_S1E_T6_T7_T9_mT8_S1G_bDpT10_ENKUlT_T0_E_clISt17integral_constantIbLb0EES1U_EEDaS1P_S1Q_EUlS1P_E_NS1_11comp_targetILNS1_3genE5ELNS1_11target_archE942ELNS1_3gpuE9ELNS1_3repE0EEENS1_30default_config_static_selectorELNS0_4arch9wavefront6targetE0EEEvS12_
		.amdhsa_group_segment_fixed_size 0
		.amdhsa_private_segment_fixed_size 0
		.amdhsa_kernarg_size 176
		.amdhsa_user_sgpr_count 2
		.amdhsa_user_sgpr_dispatch_ptr 0
		.amdhsa_user_sgpr_queue_ptr 0
		.amdhsa_user_sgpr_kernarg_segment_ptr 1
		.amdhsa_user_sgpr_dispatch_id 0
		.amdhsa_user_sgpr_kernarg_preload_length 0
		.amdhsa_user_sgpr_kernarg_preload_offset 0
		.amdhsa_user_sgpr_private_segment_size 0
		.amdhsa_wavefront_size32 1
		.amdhsa_uses_dynamic_stack 0
		.amdhsa_enable_private_segment 0
		.amdhsa_system_sgpr_workgroup_id_x 1
		.amdhsa_system_sgpr_workgroup_id_y 0
		.amdhsa_system_sgpr_workgroup_id_z 0
		.amdhsa_system_sgpr_workgroup_info 0
		.amdhsa_system_vgpr_workitem_id 0
		.amdhsa_next_free_vgpr 1
		.amdhsa_next_free_sgpr 1
		.amdhsa_named_barrier_count 0
		.amdhsa_reserve_vcc 0
		.amdhsa_float_round_mode_32 0
		.amdhsa_float_round_mode_16_64 0
		.amdhsa_float_denorm_mode_32 3
		.amdhsa_float_denorm_mode_16_64 3
		.amdhsa_fp16_overflow 0
		.amdhsa_memory_ordered 1
		.amdhsa_forward_progress 1
		.amdhsa_inst_pref_size 0
		.amdhsa_round_robin_scheduling 0
		.amdhsa_exception_fp_ieee_invalid_op 0
		.amdhsa_exception_fp_denorm_src 0
		.amdhsa_exception_fp_ieee_div_zero 0
		.amdhsa_exception_fp_ieee_overflow 0
		.amdhsa_exception_fp_ieee_underflow 0
		.amdhsa_exception_fp_ieee_inexact 0
		.amdhsa_exception_int_div_zero 0
	.end_amdhsa_kernel
	.section	.text._ZN7rocprim17ROCPRIM_400000_NS6detail17trampoline_kernelINS0_13select_configILj256ELj13ELNS0_17block_load_methodE3ELS4_3ELS4_3ELNS0_20block_scan_algorithmE0ELj4294967295EEENS1_25partition_config_selectorILNS1_17partition_subalgoE4EjNS0_10empty_typeEbEEZZNS1_14partition_implILS8_4ELb0ES6_15HIP_vector_typeIjLj2EENS0_17counting_iteratorIjlEEPS9_SG_NS0_5tupleIJPjSI_NS0_16reverse_iteratorISI_EEEEENSH_IJSG_SG_SG_EEES9_SI_JZNS1_25segmented_radix_sort_implINS0_14default_configELb1EPKaPaPKlPlN2at6native12_GLOBAL__N_18offset_tEEE10hipError_tPvRmT1_PNSt15iterator_traitsIS12_E10value_typeET2_T3_PNS13_IS18_E10value_typeET4_jRbjT5_S1E_jjP12ihipStream_tbEUljE_ZNSN_ISO_Lb1ESQ_SR_ST_SU_SY_EESZ_S10_S11_S12_S16_S17_S18_S1B_S1C_jS1D_jS1E_S1E_jjS1G_bEUljE0_EEESZ_S10_S11_S18_S1C_S1E_T6_T7_T9_mT8_S1G_bDpT10_ENKUlT_T0_E_clISt17integral_constantIbLb0EES1U_EEDaS1P_S1Q_EUlS1P_E_NS1_11comp_targetILNS1_3genE5ELNS1_11target_archE942ELNS1_3gpuE9ELNS1_3repE0EEENS1_30default_config_static_selectorELNS0_4arch9wavefront6targetE0EEEvS12_,"axG",@progbits,_ZN7rocprim17ROCPRIM_400000_NS6detail17trampoline_kernelINS0_13select_configILj256ELj13ELNS0_17block_load_methodE3ELS4_3ELS4_3ELNS0_20block_scan_algorithmE0ELj4294967295EEENS1_25partition_config_selectorILNS1_17partition_subalgoE4EjNS0_10empty_typeEbEEZZNS1_14partition_implILS8_4ELb0ES6_15HIP_vector_typeIjLj2EENS0_17counting_iteratorIjlEEPS9_SG_NS0_5tupleIJPjSI_NS0_16reverse_iteratorISI_EEEEENSH_IJSG_SG_SG_EEES9_SI_JZNS1_25segmented_radix_sort_implINS0_14default_configELb1EPKaPaPKlPlN2at6native12_GLOBAL__N_18offset_tEEE10hipError_tPvRmT1_PNSt15iterator_traitsIS12_E10value_typeET2_T3_PNS13_IS18_E10value_typeET4_jRbjT5_S1E_jjP12ihipStream_tbEUljE_ZNSN_ISO_Lb1ESQ_SR_ST_SU_SY_EESZ_S10_S11_S12_S16_S17_S18_S1B_S1C_jS1D_jS1E_S1E_jjS1G_bEUljE0_EEESZ_S10_S11_S18_S1C_S1E_T6_T7_T9_mT8_S1G_bDpT10_ENKUlT_T0_E_clISt17integral_constantIbLb0EES1U_EEDaS1P_S1Q_EUlS1P_E_NS1_11comp_targetILNS1_3genE5ELNS1_11target_archE942ELNS1_3gpuE9ELNS1_3repE0EEENS1_30default_config_static_selectorELNS0_4arch9wavefront6targetE0EEEvS12_,comdat
.Lfunc_end225:
	.size	_ZN7rocprim17ROCPRIM_400000_NS6detail17trampoline_kernelINS0_13select_configILj256ELj13ELNS0_17block_load_methodE3ELS4_3ELS4_3ELNS0_20block_scan_algorithmE0ELj4294967295EEENS1_25partition_config_selectorILNS1_17partition_subalgoE4EjNS0_10empty_typeEbEEZZNS1_14partition_implILS8_4ELb0ES6_15HIP_vector_typeIjLj2EENS0_17counting_iteratorIjlEEPS9_SG_NS0_5tupleIJPjSI_NS0_16reverse_iteratorISI_EEEEENSH_IJSG_SG_SG_EEES9_SI_JZNS1_25segmented_radix_sort_implINS0_14default_configELb1EPKaPaPKlPlN2at6native12_GLOBAL__N_18offset_tEEE10hipError_tPvRmT1_PNSt15iterator_traitsIS12_E10value_typeET2_T3_PNS13_IS18_E10value_typeET4_jRbjT5_S1E_jjP12ihipStream_tbEUljE_ZNSN_ISO_Lb1ESQ_SR_ST_SU_SY_EESZ_S10_S11_S12_S16_S17_S18_S1B_S1C_jS1D_jS1E_S1E_jjS1G_bEUljE0_EEESZ_S10_S11_S18_S1C_S1E_T6_T7_T9_mT8_S1G_bDpT10_ENKUlT_T0_E_clISt17integral_constantIbLb0EES1U_EEDaS1P_S1Q_EUlS1P_E_NS1_11comp_targetILNS1_3genE5ELNS1_11target_archE942ELNS1_3gpuE9ELNS1_3repE0EEENS1_30default_config_static_selectorELNS0_4arch9wavefront6targetE0EEEvS12_, .Lfunc_end225-_ZN7rocprim17ROCPRIM_400000_NS6detail17trampoline_kernelINS0_13select_configILj256ELj13ELNS0_17block_load_methodE3ELS4_3ELS4_3ELNS0_20block_scan_algorithmE0ELj4294967295EEENS1_25partition_config_selectorILNS1_17partition_subalgoE4EjNS0_10empty_typeEbEEZZNS1_14partition_implILS8_4ELb0ES6_15HIP_vector_typeIjLj2EENS0_17counting_iteratorIjlEEPS9_SG_NS0_5tupleIJPjSI_NS0_16reverse_iteratorISI_EEEEENSH_IJSG_SG_SG_EEES9_SI_JZNS1_25segmented_radix_sort_implINS0_14default_configELb1EPKaPaPKlPlN2at6native12_GLOBAL__N_18offset_tEEE10hipError_tPvRmT1_PNSt15iterator_traitsIS12_E10value_typeET2_T3_PNS13_IS18_E10value_typeET4_jRbjT5_S1E_jjP12ihipStream_tbEUljE_ZNSN_ISO_Lb1ESQ_SR_ST_SU_SY_EESZ_S10_S11_S12_S16_S17_S18_S1B_S1C_jS1D_jS1E_S1E_jjS1G_bEUljE0_EEESZ_S10_S11_S18_S1C_S1E_T6_T7_T9_mT8_S1G_bDpT10_ENKUlT_T0_E_clISt17integral_constantIbLb0EES1U_EEDaS1P_S1Q_EUlS1P_E_NS1_11comp_targetILNS1_3genE5ELNS1_11target_archE942ELNS1_3gpuE9ELNS1_3repE0EEENS1_30default_config_static_selectorELNS0_4arch9wavefront6targetE0EEEvS12_
                                        ; -- End function
	.set _ZN7rocprim17ROCPRIM_400000_NS6detail17trampoline_kernelINS0_13select_configILj256ELj13ELNS0_17block_load_methodE3ELS4_3ELS4_3ELNS0_20block_scan_algorithmE0ELj4294967295EEENS1_25partition_config_selectorILNS1_17partition_subalgoE4EjNS0_10empty_typeEbEEZZNS1_14partition_implILS8_4ELb0ES6_15HIP_vector_typeIjLj2EENS0_17counting_iteratorIjlEEPS9_SG_NS0_5tupleIJPjSI_NS0_16reverse_iteratorISI_EEEEENSH_IJSG_SG_SG_EEES9_SI_JZNS1_25segmented_radix_sort_implINS0_14default_configELb1EPKaPaPKlPlN2at6native12_GLOBAL__N_18offset_tEEE10hipError_tPvRmT1_PNSt15iterator_traitsIS12_E10value_typeET2_T3_PNS13_IS18_E10value_typeET4_jRbjT5_S1E_jjP12ihipStream_tbEUljE_ZNSN_ISO_Lb1ESQ_SR_ST_SU_SY_EESZ_S10_S11_S12_S16_S17_S18_S1B_S1C_jS1D_jS1E_S1E_jjS1G_bEUljE0_EEESZ_S10_S11_S18_S1C_S1E_T6_T7_T9_mT8_S1G_bDpT10_ENKUlT_T0_E_clISt17integral_constantIbLb0EES1U_EEDaS1P_S1Q_EUlS1P_E_NS1_11comp_targetILNS1_3genE5ELNS1_11target_archE942ELNS1_3gpuE9ELNS1_3repE0EEENS1_30default_config_static_selectorELNS0_4arch9wavefront6targetE0EEEvS12_.num_vgpr, 0
	.set _ZN7rocprim17ROCPRIM_400000_NS6detail17trampoline_kernelINS0_13select_configILj256ELj13ELNS0_17block_load_methodE3ELS4_3ELS4_3ELNS0_20block_scan_algorithmE0ELj4294967295EEENS1_25partition_config_selectorILNS1_17partition_subalgoE4EjNS0_10empty_typeEbEEZZNS1_14partition_implILS8_4ELb0ES6_15HIP_vector_typeIjLj2EENS0_17counting_iteratorIjlEEPS9_SG_NS0_5tupleIJPjSI_NS0_16reverse_iteratorISI_EEEEENSH_IJSG_SG_SG_EEES9_SI_JZNS1_25segmented_radix_sort_implINS0_14default_configELb1EPKaPaPKlPlN2at6native12_GLOBAL__N_18offset_tEEE10hipError_tPvRmT1_PNSt15iterator_traitsIS12_E10value_typeET2_T3_PNS13_IS18_E10value_typeET4_jRbjT5_S1E_jjP12ihipStream_tbEUljE_ZNSN_ISO_Lb1ESQ_SR_ST_SU_SY_EESZ_S10_S11_S12_S16_S17_S18_S1B_S1C_jS1D_jS1E_S1E_jjS1G_bEUljE0_EEESZ_S10_S11_S18_S1C_S1E_T6_T7_T9_mT8_S1G_bDpT10_ENKUlT_T0_E_clISt17integral_constantIbLb0EES1U_EEDaS1P_S1Q_EUlS1P_E_NS1_11comp_targetILNS1_3genE5ELNS1_11target_archE942ELNS1_3gpuE9ELNS1_3repE0EEENS1_30default_config_static_selectorELNS0_4arch9wavefront6targetE0EEEvS12_.num_agpr, 0
	.set _ZN7rocprim17ROCPRIM_400000_NS6detail17trampoline_kernelINS0_13select_configILj256ELj13ELNS0_17block_load_methodE3ELS4_3ELS4_3ELNS0_20block_scan_algorithmE0ELj4294967295EEENS1_25partition_config_selectorILNS1_17partition_subalgoE4EjNS0_10empty_typeEbEEZZNS1_14partition_implILS8_4ELb0ES6_15HIP_vector_typeIjLj2EENS0_17counting_iteratorIjlEEPS9_SG_NS0_5tupleIJPjSI_NS0_16reverse_iteratorISI_EEEEENSH_IJSG_SG_SG_EEES9_SI_JZNS1_25segmented_radix_sort_implINS0_14default_configELb1EPKaPaPKlPlN2at6native12_GLOBAL__N_18offset_tEEE10hipError_tPvRmT1_PNSt15iterator_traitsIS12_E10value_typeET2_T3_PNS13_IS18_E10value_typeET4_jRbjT5_S1E_jjP12ihipStream_tbEUljE_ZNSN_ISO_Lb1ESQ_SR_ST_SU_SY_EESZ_S10_S11_S12_S16_S17_S18_S1B_S1C_jS1D_jS1E_S1E_jjS1G_bEUljE0_EEESZ_S10_S11_S18_S1C_S1E_T6_T7_T9_mT8_S1G_bDpT10_ENKUlT_T0_E_clISt17integral_constantIbLb0EES1U_EEDaS1P_S1Q_EUlS1P_E_NS1_11comp_targetILNS1_3genE5ELNS1_11target_archE942ELNS1_3gpuE9ELNS1_3repE0EEENS1_30default_config_static_selectorELNS0_4arch9wavefront6targetE0EEEvS12_.numbered_sgpr, 0
	.set _ZN7rocprim17ROCPRIM_400000_NS6detail17trampoline_kernelINS0_13select_configILj256ELj13ELNS0_17block_load_methodE3ELS4_3ELS4_3ELNS0_20block_scan_algorithmE0ELj4294967295EEENS1_25partition_config_selectorILNS1_17partition_subalgoE4EjNS0_10empty_typeEbEEZZNS1_14partition_implILS8_4ELb0ES6_15HIP_vector_typeIjLj2EENS0_17counting_iteratorIjlEEPS9_SG_NS0_5tupleIJPjSI_NS0_16reverse_iteratorISI_EEEEENSH_IJSG_SG_SG_EEES9_SI_JZNS1_25segmented_radix_sort_implINS0_14default_configELb1EPKaPaPKlPlN2at6native12_GLOBAL__N_18offset_tEEE10hipError_tPvRmT1_PNSt15iterator_traitsIS12_E10value_typeET2_T3_PNS13_IS18_E10value_typeET4_jRbjT5_S1E_jjP12ihipStream_tbEUljE_ZNSN_ISO_Lb1ESQ_SR_ST_SU_SY_EESZ_S10_S11_S12_S16_S17_S18_S1B_S1C_jS1D_jS1E_S1E_jjS1G_bEUljE0_EEESZ_S10_S11_S18_S1C_S1E_T6_T7_T9_mT8_S1G_bDpT10_ENKUlT_T0_E_clISt17integral_constantIbLb0EES1U_EEDaS1P_S1Q_EUlS1P_E_NS1_11comp_targetILNS1_3genE5ELNS1_11target_archE942ELNS1_3gpuE9ELNS1_3repE0EEENS1_30default_config_static_selectorELNS0_4arch9wavefront6targetE0EEEvS12_.num_named_barrier, 0
	.set _ZN7rocprim17ROCPRIM_400000_NS6detail17trampoline_kernelINS0_13select_configILj256ELj13ELNS0_17block_load_methodE3ELS4_3ELS4_3ELNS0_20block_scan_algorithmE0ELj4294967295EEENS1_25partition_config_selectorILNS1_17partition_subalgoE4EjNS0_10empty_typeEbEEZZNS1_14partition_implILS8_4ELb0ES6_15HIP_vector_typeIjLj2EENS0_17counting_iteratorIjlEEPS9_SG_NS0_5tupleIJPjSI_NS0_16reverse_iteratorISI_EEEEENSH_IJSG_SG_SG_EEES9_SI_JZNS1_25segmented_radix_sort_implINS0_14default_configELb1EPKaPaPKlPlN2at6native12_GLOBAL__N_18offset_tEEE10hipError_tPvRmT1_PNSt15iterator_traitsIS12_E10value_typeET2_T3_PNS13_IS18_E10value_typeET4_jRbjT5_S1E_jjP12ihipStream_tbEUljE_ZNSN_ISO_Lb1ESQ_SR_ST_SU_SY_EESZ_S10_S11_S12_S16_S17_S18_S1B_S1C_jS1D_jS1E_S1E_jjS1G_bEUljE0_EEESZ_S10_S11_S18_S1C_S1E_T6_T7_T9_mT8_S1G_bDpT10_ENKUlT_T0_E_clISt17integral_constantIbLb0EES1U_EEDaS1P_S1Q_EUlS1P_E_NS1_11comp_targetILNS1_3genE5ELNS1_11target_archE942ELNS1_3gpuE9ELNS1_3repE0EEENS1_30default_config_static_selectorELNS0_4arch9wavefront6targetE0EEEvS12_.private_seg_size, 0
	.set _ZN7rocprim17ROCPRIM_400000_NS6detail17trampoline_kernelINS0_13select_configILj256ELj13ELNS0_17block_load_methodE3ELS4_3ELS4_3ELNS0_20block_scan_algorithmE0ELj4294967295EEENS1_25partition_config_selectorILNS1_17partition_subalgoE4EjNS0_10empty_typeEbEEZZNS1_14partition_implILS8_4ELb0ES6_15HIP_vector_typeIjLj2EENS0_17counting_iteratorIjlEEPS9_SG_NS0_5tupleIJPjSI_NS0_16reverse_iteratorISI_EEEEENSH_IJSG_SG_SG_EEES9_SI_JZNS1_25segmented_radix_sort_implINS0_14default_configELb1EPKaPaPKlPlN2at6native12_GLOBAL__N_18offset_tEEE10hipError_tPvRmT1_PNSt15iterator_traitsIS12_E10value_typeET2_T3_PNS13_IS18_E10value_typeET4_jRbjT5_S1E_jjP12ihipStream_tbEUljE_ZNSN_ISO_Lb1ESQ_SR_ST_SU_SY_EESZ_S10_S11_S12_S16_S17_S18_S1B_S1C_jS1D_jS1E_S1E_jjS1G_bEUljE0_EEESZ_S10_S11_S18_S1C_S1E_T6_T7_T9_mT8_S1G_bDpT10_ENKUlT_T0_E_clISt17integral_constantIbLb0EES1U_EEDaS1P_S1Q_EUlS1P_E_NS1_11comp_targetILNS1_3genE5ELNS1_11target_archE942ELNS1_3gpuE9ELNS1_3repE0EEENS1_30default_config_static_selectorELNS0_4arch9wavefront6targetE0EEEvS12_.uses_vcc, 0
	.set _ZN7rocprim17ROCPRIM_400000_NS6detail17trampoline_kernelINS0_13select_configILj256ELj13ELNS0_17block_load_methodE3ELS4_3ELS4_3ELNS0_20block_scan_algorithmE0ELj4294967295EEENS1_25partition_config_selectorILNS1_17partition_subalgoE4EjNS0_10empty_typeEbEEZZNS1_14partition_implILS8_4ELb0ES6_15HIP_vector_typeIjLj2EENS0_17counting_iteratorIjlEEPS9_SG_NS0_5tupleIJPjSI_NS0_16reverse_iteratorISI_EEEEENSH_IJSG_SG_SG_EEES9_SI_JZNS1_25segmented_radix_sort_implINS0_14default_configELb1EPKaPaPKlPlN2at6native12_GLOBAL__N_18offset_tEEE10hipError_tPvRmT1_PNSt15iterator_traitsIS12_E10value_typeET2_T3_PNS13_IS18_E10value_typeET4_jRbjT5_S1E_jjP12ihipStream_tbEUljE_ZNSN_ISO_Lb1ESQ_SR_ST_SU_SY_EESZ_S10_S11_S12_S16_S17_S18_S1B_S1C_jS1D_jS1E_S1E_jjS1G_bEUljE0_EEESZ_S10_S11_S18_S1C_S1E_T6_T7_T9_mT8_S1G_bDpT10_ENKUlT_T0_E_clISt17integral_constantIbLb0EES1U_EEDaS1P_S1Q_EUlS1P_E_NS1_11comp_targetILNS1_3genE5ELNS1_11target_archE942ELNS1_3gpuE9ELNS1_3repE0EEENS1_30default_config_static_selectorELNS0_4arch9wavefront6targetE0EEEvS12_.uses_flat_scratch, 0
	.set _ZN7rocprim17ROCPRIM_400000_NS6detail17trampoline_kernelINS0_13select_configILj256ELj13ELNS0_17block_load_methodE3ELS4_3ELS4_3ELNS0_20block_scan_algorithmE0ELj4294967295EEENS1_25partition_config_selectorILNS1_17partition_subalgoE4EjNS0_10empty_typeEbEEZZNS1_14partition_implILS8_4ELb0ES6_15HIP_vector_typeIjLj2EENS0_17counting_iteratorIjlEEPS9_SG_NS0_5tupleIJPjSI_NS0_16reverse_iteratorISI_EEEEENSH_IJSG_SG_SG_EEES9_SI_JZNS1_25segmented_radix_sort_implINS0_14default_configELb1EPKaPaPKlPlN2at6native12_GLOBAL__N_18offset_tEEE10hipError_tPvRmT1_PNSt15iterator_traitsIS12_E10value_typeET2_T3_PNS13_IS18_E10value_typeET4_jRbjT5_S1E_jjP12ihipStream_tbEUljE_ZNSN_ISO_Lb1ESQ_SR_ST_SU_SY_EESZ_S10_S11_S12_S16_S17_S18_S1B_S1C_jS1D_jS1E_S1E_jjS1G_bEUljE0_EEESZ_S10_S11_S18_S1C_S1E_T6_T7_T9_mT8_S1G_bDpT10_ENKUlT_T0_E_clISt17integral_constantIbLb0EES1U_EEDaS1P_S1Q_EUlS1P_E_NS1_11comp_targetILNS1_3genE5ELNS1_11target_archE942ELNS1_3gpuE9ELNS1_3repE0EEENS1_30default_config_static_selectorELNS0_4arch9wavefront6targetE0EEEvS12_.has_dyn_sized_stack, 0
	.set _ZN7rocprim17ROCPRIM_400000_NS6detail17trampoline_kernelINS0_13select_configILj256ELj13ELNS0_17block_load_methodE3ELS4_3ELS4_3ELNS0_20block_scan_algorithmE0ELj4294967295EEENS1_25partition_config_selectorILNS1_17partition_subalgoE4EjNS0_10empty_typeEbEEZZNS1_14partition_implILS8_4ELb0ES6_15HIP_vector_typeIjLj2EENS0_17counting_iteratorIjlEEPS9_SG_NS0_5tupleIJPjSI_NS0_16reverse_iteratorISI_EEEEENSH_IJSG_SG_SG_EEES9_SI_JZNS1_25segmented_radix_sort_implINS0_14default_configELb1EPKaPaPKlPlN2at6native12_GLOBAL__N_18offset_tEEE10hipError_tPvRmT1_PNSt15iterator_traitsIS12_E10value_typeET2_T3_PNS13_IS18_E10value_typeET4_jRbjT5_S1E_jjP12ihipStream_tbEUljE_ZNSN_ISO_Lb1ESQ_SR_ST_SU_SY_EESZ_S10_S11_S12_S16_S17_S18_S1B_S1C_jS1D_jS1E_S1E_jjS1G_bEUljE0_EEESZ_S10_S11_S18_S1C_S1E_T6_T7_T9_mT8_S1G_bDpT10_ENKUlT_T0_E_clISt17integral_constantIbLb0EES1U_EEDaS1P_S1Q_EUlS1P_E_NS1_11comp_targetILNS1_3genE5ELNS1_11target_archE942ELNS1_3gpuE9ELNS1_3repE0EEENS1_30default_config_static_selectorELNS0_4arch9wavefront6targetE0EEEvS12_.has_recursion, 0
	.set _ZN7rocprim17ROCPRIM_400000_NS6detail17trampoline_kernelINS0_13select_configILj256ELj13ELNS0_17block_load_methodE3ELS4_3ELS4_3ELNS0_20block_scan_algorithmE0ELj4294967295EEENS1_25partition_config_selectorILNS1_17partition_subalgoE4EjNS0_10empty_typeEbEEZZNS1_14partition_implILS8_4ELb0ES6_15HIP_vector_typeIjLj2EENS0_17counting_iteratorIjlEEPS9_SG_NS0_5tupleIJPjSI_NS0_16reverse_iteratorISI_EEEEENSH_IJSG_SG_SG_EEES9_SI_JZNS1_25segmented_radix_sort_implINS0_14default_configELb1EPKaPaPKlPlN2at6native12_GLOBAL__N_18offset_tEEE10hipError_tPvRmT1_PNSt15iterator_traitsIS12_E10value_typeET2_T3_PNS13_IS18_E10value_typeET4_jRbjT5_S1E_jjP12ihipStream_tbEUljE_ZNSN_ISO_Lb1ESQ_SR_ST_SU_SY_EESZ_S10_S11_S12_S16_S17_S18_S1B_S1C_jS1D_jS1E_S1E_jjS1G_bEUljE0_EEESZ_S10_S11_S18_S1C_S1E_T6_T7_T9_mT8_S1G_bDpT10_ENKUlT_T0_E_clISt17integral_constantIbLb0EES1U_EEDaS1P_S1Q_EUlS1P_E_NS1_11comp_targetILNS1_3genE5ELNS1_11target_archE942ELNS1_3gpuE9ELNS1_3repE0EEENS1_30default_config_static_selectorELNS0_4arch9wavefront6targetE0EEEvS12_.has_indirect_call, 0
	.section	.AMDGPU.csdata,"",@progbits
; Kernel info:
; codeLenInByte = 0
; TotalNumSgprs: 0
; NumVgprs: 0
; ScratchSize: 0
; MemoryBound: 0
; FloatMode: 240
; IeeeMode: 1
; LDSByteSize: 0 bytes/workgroup (compile time only)
; SGPRBlocks: 0
; VGPRBlocks: 0
; NumSGPRsForWavesPerEU: 1
; NumVGPRsForWavesPerEU: 1
; NamedBarCnt: 0
; Occupancy: 16
; WaveLimiterHint : 0
; COMPUTE_PGM_RSRC2:SCRATCH_EN: 0
; COMPUTE_PGM_RSRC2:USER_SGPR: 2
; COMPUTE_PGM_RSRC2:TRAP_HANDLER: 0
; COMPUTE_PGM_RSRC2:TGID_X_EN: 1
; COMPUTE_PGM_RSRC2:TGID_Y_EN: 0
; COMPUTE_PGM_RSRC2:TGID_Z_EN: 0
; COMPUTE_PGM_RSRC2:TIDIG_COMP_CNT: 0
	.section	.text._ZN7rocprim17ROCPRIM_400000_NS6detail17trampoline_kernelINS0_13select_configILj256ELj13ELNS0_17block_load_methodE3ELS4_3ELS4_3ELNS0_20block_scan_algorithmE0ELj4294967295EEENS1_25partition_config_selectorILNS1_17partition_subalgoE4EjNS0_10empty_typeEbEEZZNS1_14partition_implILS8_4ELb0ES6_15HIP_vector_typeIjLj2EENS0_17counting_iteratorIjlEEPS9_SG_NS0_5tupleIJPjSI_NS0_16reverse_iteratorISI_EEEEENSH_IJSG_SG_SG_EEES9_SI_JZNS1_25segmented_radix_sort_implINS0_14default_configELb1EPKaPaPKlPlN2at6native12_GLOBAL__N_18offset_tEEE10hipError_tPvRmT1_PNSt15iterator_traitsIS12_E10value_typeET2_T3_PNS13_IS18_E10value_typeET4_jRbjT5_S1E_jjP12ihipStream_tbEUljE_ZNSN_ISO_Lb1ESQ_SR_ST_SU_SY_EESZ_S10_S11_S12_S16_S17_S18_S1B_S1C_jS1D_jS1E_S1E_jjS1G_bEUljE0_EEESZ_S10_S11_S18_S1C_S1E_T6_T7_T9_mT8_S1G_bDpT10_ENKUlT_T0_E_clISt17integral_constantIbLb0EES1U_EEDaS1P_S1Q_EUlS1P_E_NS1_11comp_targetILNS1_3genE4ELNS1_11target_archE910ELNS1_3gpuE8ELNS1_3repE0EEENS1_30default_config_static_selectorELNS0_4arch9wavefront6targetE0EEEvS12_,"axG",@progbits,_ZN7rocprim17ROCPRIM_400000_NS6detail17trampoline_kernelINS0_13select_configILj256ELj13ELNS0_17block_load_methodE3ELS4_3ELS4_3ELNS0_20block_scan_algorithmE0ELj4294967295EEENS1_25partition_config_selectorILNS1_17partition_subalgoE4EjNS0_10empty_typeEbEEZZNS1_14partition_implILS8_4ELb0ES6_15HIP_vector_typeIjLj2EENS0_17counting_iteratorIjlEEPS9_SG_NS0_5tupleIJPjSI_NS0_16reverse_iteratorISI_EEEEENSH_IJSG_SG_SG_EEES9_SI_JZNS1_25segmented_radix_sort_implINS0_14default_configELb1EPKaPaPKlPlN2at6native12_GLOBAL__N_18offset_tEEE10hipError_tPvRmT1_PNSt15iterator_traitsIS12_E10value_typeET2_T3_PNS13_IS18_E10value_typeET4_jRbjT5_S1E_jjP12ihipStream_tbEUljE_ZNSN_ISO_Lb1ESQ_SR_ST_SU_SY_EESZ_S10_S11_S12_S16_S17_S18_S1B_S1C_jS1D_jS1E_S1E_jjS1G_bEUljE0_EEESZ_S10_S11_S18_S1C_S1E_T6_T7_T9_mT8_S1G_bDpT10_ENKUlT_T0_E_clISt17integral_constantIbLb0EES1U_EEDaS1P_S1Q_EUlS1P_E_NS1_11comp_targetILNS1_3genE4ELNS1_11target_archE910ELNS1_3gpuE8ELNS1_3repE0EEENS1_30default_config_static_selectorELNS0_4arch9wavefront6targetE0EEEvS12_,comdat
	.globl	_ZN7rocprim17ROCPRIM_400000_NS6detail17trampoline_kernelINS0_13select_configILj256ELj13ELNS0_17block_load_methodE3ELS4_3ELS4_3ELNS0_20block_scan_algorithmE0ELj4294967295EEENS1_25partition_config_selectorILNS1_17partition_subalgoE4EjNS0_10empty_typeEbEEZZNS1_14partition_implILS8_4ELb0ES6_15HIP_vector_typeIjLj2EENS0_17counting_iteratorIjlEEPS9_SG_NS0_5tupleIJPjSI_NS0_16reverse_iteratorISI_EEEEENSH_IJSG_SG_SG_EEES9_SI_JZNS1_25segmented_radix_sort_implINS0_14default_configELb1EPKaPaPKlPlN2at6native12_GLOBAL__N_18offset_tEEE10hipError_tPvRmT1_PNSt15iterator_traitsIS12_E10value_typeET2_T3_PNS13_IS18_E10value_typeET4_jRbjT5_S1E_jjP12ihipStream_tbEUljE_ZNSN_ISO_Lb1ESQ_SR_ST_SU_SY_EESZ_S10_S11_S12_S16_S17_S18_S1B_S1C_jS1D_jS1E_S1E_jjS1G_bEUljE0_EEESZ_S10_S11_S18_S1C_S1E_T6_T7_T9_mT8_S1G_bDpT10_ENKUlT_T0_E_clISt17integral_constantIbLb0EES1U_EEDaS1P_S1Q_EUlS1P_E_NS1_11comp_targetILNS1_3genE4ELNS1_11target_archE910ELNS1_3gpuE8ELNS1_3repE0EEENS1_30default_config_static_selectorELNS0_4arch9wavefront6targetE0EEEvS12_ ; -- Begin function _ZN7rocprim17ROCPRIM_400000_NS6detail17trampoline_kernelINS0_13select_configILj256ELj13ELNS0_17block_load_methodE3ELS4_3ELS4_3ELNS0_20block_scan_algorithmE0ELj4294967295EEENS1_25partition_config_selectorILNS1_17partition_subalgoE4EjNS0_10empty_typeEbEEZZNS1_14partition_implILS8_4ELb0ES6_15HIP_vector_typeIjLj2EENS0_17counting_iteratorIjlEEPS9_SG_NS0_5tupleIJPjSI_NS0_16reverse_iteratorISI_EEEEENSH_IJSG_SG_SG_EEES9_SI_JZNS1_25segmented_radix_sort_implINS0_14default_configELb1EPKaPaPKlPlN2at6native12_GLOBAL__N_18offset_tEEE10hipError_tPvRmT1_PNSt15iterator_traitsIS12_E10value_typeET2_T3_PNS13_IS18_E10value_typeET4_jRbjT5_S1E_jjP12ihipStream_tbEUljE_ZNSN_ISO_Lb1ESQ_SR_ST_SU_SY_EESZ_S10_S11_S12_S16_S17_S18_S1B_S1C_jS1D_jS1E_S1E_jjS1G_bEUljE0_EEESZ_S10_S11_S18_S1C_S1E_T6_T7_T9_mT8_S1G_bDpT10_ENKUlT_T0_E_clISt17integral_constantIbLb0EES1U_EEDaS1P_S1Q_EUlS1P_E_NS1_11comp_targetILNS1_3genE4ELNS1_11target_archE910ELNS1_3gpuE8ELNS1_3repE0EEENS1_30default_config_static_selectorELNS0_4arch9wavefront6targetE0EEEvS12_
	.p2align	8
	.type	_ZN7rocprim17ROCPRIM_400000_NS6detail17trampoline_kernelINS0_13select_configILj256ELj13ELNS0_17block_load_methodE3ELS4_3ELS4_3ELNS0_20block_scan_algorithmE0ELj4294967295EEENS1_25partition_config_selectorILNS1_17partition_subalgoE4EjNS0_10empty_typeEbEEZZNS1_14partition_implILS8_4ELb0ES6_15HIP_vector_typeIjLj2EENS0_17counting_iteratorIjlEEPS9_SG_NS0_5tupleIJPjSI_NS0_16reverse_iteratorISI_EEEEENSH_IJSG_SG_SG_EEES9_SI_JZNS1_25segmented_radix_sort_implINS0_14default_configELb1EPKaPaPKlPlN2at6native12_GLOBAL__N_18offset_tEEE10hipError_tPvRmT1_PNSt15iterator_traitsIS12_E10value_typeET2_T3_PNS13_IS18_E10value_typeET4_jRbjT5_S1E_jjP12ihipStream_tbEUljE_ZNSN_ISO_Lb1ESQ_SR_ST_SU_SY_EESZ_S10_S11_S12_S16_S17_S18_S1B_S1C_jS1D_jS1E_S1E_jjS1G_bEUljE0_EEESZ_S10_S11_S18_S1C_S1E_T6_T7_T9_mT8_S1G_bDpT10_ENKUlT_T0_E_clISt17integral_constantIbLb0EES1U_EEDaS1P_S1Q_EUlS1P_E_NS1_11comp_targetILNS1_3genE4ELNS1_11target_archE910ELNS1_3gpuE8ELNS1_3repE0EEENS1_30default_config_static_selectorELNS0_4arch9wavefront6targetE0EEEvS12_,@function
_ZN7rocprim17ROCPRIM_400000_NS6detail17trampoline_kernelINS0_13select_configILj256ELj13ELNS0_17block_load_methodE3ELS4_3ELS4_3ELNS0_20block_scan_algorithmE0ELj4294967295EEENS1_25partition_config_selectorILNS1_17partition_subalgoE4EjNS0_10empty_typeEbEEZZNS1_14partition_implILS8_4ELb0ES6_15HIP_vector_typeIjLj2EENS0_17counting_iteratorIjlEEPS9_SG_NS0_5tupleIJPjSI_NS0_16reverse_iteratorISI_EEEEENSH_IJSG_SG_SG_EEES9_SI_JZNS1_25segmented_radix_sort_implINS0_14default_configELb1EPKaPaPKlPlN2at6native12_GLOBAL__N_18offset_tEEE10hipError_tPvRmT1_PNSt15iterator_traitsIS12_E10value_typeET2_T3_PNS13_IS18_E10value_typeET4_jRbjT5_S1E_jjP12ihipStream_tbEUljE_ZNSN_ISO_Lb1ESQ_SR_ST_SU_SY_EESZ_S10_S11_S12_S16_S17_S18_S1B_S1C_jS1D_jS1E_S1E_jjS1G_bEUljE0_EEESZ_S10_S11_S18_S1C_S1E_T6_T7_T9_mT8_S1G_bDpT10_ENKUlT_T0_E_clISt17integral_constantIbLb0EES1U_EEDaS1P_S1Q_EUlS1P_E_NS1_11comp_targetILNS1_3genE4ELNS1_11target_archE910ELNS1_3gpuE8ELNS1_3repE0EEENS1_30default_config_static_selectorELNS0_4arch9wavefront6targetE0EEEvS12_: ; @_ZN7rocprim17ROCPRIM_400000_NS6detail17trampoline_kernelINS0_13select_configILj256ELj13ELNS0_17block_load_methodE3ELS4_3ELS4_3ELNS0_20block_scan_algorithmE0ELj4294967295EEENS1_25partition_config_selectorILNS1_17partition_subalgoE4EjNS0_10empty_typeEbEEZZNS1_14partition_implILS8_4ELb0ES6_15HIP_vector_typeIjLj2EENS0_17counting_iteratorIjlEEPS9_SG_NS0_5tupleIJPjSI_NS0_16reverse_iteratorISI_EEEEENSH_IJSG_SG_SG_EEES9_SI_JZNS1_25segmented_radix_sort_implINS0_14default_configELb1EPKaPaPKlPlN2at6native12_GLOBAL__N_18offset_tEEE10hipError_tPvRmT1_PNSt15iterator_traitsIS12_E10value_typeET2_T3_PNS13_IS18_E10value_typeET4_jRbjT5_S1E_jjP12ihipStream_tbEUljE_ZNSN_ISO_Lb1ESQ_SR_ST_SU_SY_EESZ_S10_S11_S12_S16_S17_S18_S1B_S1C_jS1D_jS1E_S1E_jjS1G_bEUljE0_EEESZ_S10_S11_S18_S1C_S1E_T6_T7_T9_mT8_S1G_bDpT10_ENKUlT_T0_E_clISt17integral_constantIbLb0EES1U_EEDaS1P_S1Q_EUlS1P_E_NS1_11comp_targetILNS1_3genE4ELNS1_11target_archE910ELNS1_3gpuE8ELNS1_3repE0EEENS1_30default_config_static_selectorELNS0_4arch9wavefront6targetE0EEEvS12_
; %bb.0:
	.section	.rodata,"a",@progbits
	.p2align	6, 0x0
	.amdhsa_kernel _ZN7rocprim17ROCPRIM_400000_NS6detail17trampoline_kernelINS0_13select_configILj256ELj13ELNS0_17block_load_methodE3ELS4_3ELS4_3ELNS0_20block_scan_algorithmE0ELj4294967295EEENS1_25partition_config_selectorILNS1_17partition_subalgoE4EjNS0_10empty_typeEbEEZZNS1_14partition_implILS8_4ELb0ES6_15HIP_vector_typeIjLj2EENS0_17counting_iteratorIjlEEPS9_SG_NS0_5tupleIJPjSI_NS0_16reverse_iteratorISI_EEEEENSH_IJSG_SG_SG_EEES9_SI_JZNS1_25segmented_radix_sort_implINS0_14default_configELb1EPKaPaPKlPlN2at6native12_GLOBAL__N_18offset_tEEE10hipError_tPvRmT1_PNSt15iterator_traitsIS12_E10value_typeET2_T3_PNS13_IS18_E10value_typeET4_jRbjT5_S1E_jjP12ihipStream_tbEUljE_ZNSN_ISO_Lb1ESQ_SR_ST_SU_SY_EESZ_S10_S11_S12_S16_S17_S18_S1B_S1C_jS1D_jS1E_S1E_jjS1G_bEUljE0_EEESZ_S10_S11_S18_S1C_S1E_T6_T7_T9_mT8_S1G_bDpT10_ENKUlT_T0_E_clISt17integral_constantIbLb0EES1U_EEDaS1P_S1Q_EUlS1P_E_NS1_11comp_targetILNS1_3genE4ELNS1_11target_archE910ELNS1_3gpuE8ELNS1_3repE0EEENS1_30default_config_static_selectorELNS0_4arch9wavefront6targetE0EEEvS12_
		.amdhsa_group_segment_fixed_size 0
		.amdhsa_private_segment_fixed_size 0
		.amdhsa_kernarg_size 176
		.amdhsa_user_sgpr_count 2
		.amdhsa_user_sgpr_dispatch_ptr 0
		.amdhsa_user_sgpr_queue_ptr 0
		.amdhsa_user_sgpr_kernarg_segment_ptr 1
		.amdhsa_user_sgpr_dispatch_id 0
		.amdhsa_user_sgpr_kernarg_preload_length 0
		.amdhsa_user_sgpr_kernarg_preload_offset 0
		.amdhsa_user_sgpr_private_segment_size 0
		.amdhsa_wavefront_size32 1
		.amdhsa_uses_dynamic_stack 0
		.amdhsa_enable_private_segment 0
		.amdhsa_system_sgpr_workgroup_id_x 1
		.amdhsa_system_sgpr_workgroup_id_y 0
		.amdhsa_system_sgpr_workgroup_id_z 0
		.amdhsa_system_sgpr_workgroup_info 0
		.amdhsa_system_vgpr_workitem_id 0
		.amdhsa_next_free_vgpr 1
		.amdhsa_next_free_sgpr 1
		.amdhsa_named_barrier_count 0
		.amdhsa_reserve_vcc 0
		.amdhsa_float_round_mode_32 0
		.amdhsa_float_round_mode_16_64 0
		.amdhsa_float_denorm_mode_32 3
		.amdhsa_float_denorm_mode_16_64 3
		.amdhsa_fp16_overflow 0
		.amdhsa_memory_ordered 1
		.amdhsa_forward_progress 1
		.amdhsa_inst_pref_size 0
		.amdhsa_round_robin_scheduling 0
		.amdhsa_exception_fp_ieee_invalid_op 0
		.amdhsa_exception_fp_denorm_src 0
		.amdhsa_exception_fp_ieee_div_zero 0
		.amdhsa_exception_fp_ieee_overflow 0
		.amdhsa_exception_fp_ieee_underflow 0
		.amdhsa_exception_fp_ieee_inexact 0
		.amdhsa_exception_int_div_zero 0
	.end_amdhsa_kernel
	.section	.text._ZN7rocprim17ROCPRIM_400000_NS6detail17trampoline_kernelINS0_13select_configILj256ELj13ELNS0_17block_load_methodE3ELS4_3ELS4_3ELNS0_20block_scan_algorithmE0ELj4294967295EEENS1_25partition_config_selectorILNS1_17partition_subalgoE4EjNS0_10empty_typeEbEEZZNS1_14partition_implILS8_4ELb0ES6_15HIP_vector_typeIjLj2EENS0_17counting_iteratorIjlEEPS9_SG_NS0_5tupleIJPjSI_NS0_16reverse_iteratorISI_EEEEENSH_IJSG_SG_SG_EEES9_SI_JZNS1_25segmented_radix_sort_implINS0_14default_configELb1EPKaPaPKlPlN2at6native12_GLOBAL__N_18offset_tEEE10hipError_tPvRmT1_PNSt15iterator_traitsIS12_E10value_typeET2_T3_PNS13_IS18_E10value_typeET4_jRbjT5_S1E_jjP12ihipStream_tbEUljE_ZNSN_ISO_Lb1ESQ_SR_ST_SU_SY_EESZ_S10_S11_S12_S16_S17_S18_S1B_S1C_jS1D_jS1E_S1E_jjS1G_bEUljE0_EEESZ_S10_S11_S18_S1C_S1E_T6_T7_T9_mT8_S1G_bDpT10_ENKUlT_T0_E_clISt17integral_constantIbLb0EES1U_EEDaS1P_S1Q_EUlS1P_E_NS1_11comp_targetILNS1_3genE4ELNS1_11target_archE910ELNS1_3gpuE8ELNS1_3repE0EEENS1_30default_config_static_selectorELNS0_4arch9wavefront6targetE0EEEvS12_,"axG",@progbits,_ZN7rocprim17ROCPRIM_400000_NS6detail17trampoline_kernelINS0_13select_configILj256ELj13ELNS0_17block_load_methodE3ELS4_3ELS4_3ELNS0_20block_scan_algorithmE0ELj4294967295EEENS1_25partition_config_selectorILNS1_17partition_subalgoE4EjNS0_10empty_typeEbEEZZNS1_14partition_implILS8_4ELb0ES6_15HIP_vector_typeIjLj2EENS0_17counting_iteratorIjlEEPS9_SG_NS0_5tupleIJPjSI_NS0_16reverse_iteratorISI_EEEEENSH_IJSG_SG_SG_EEES9_SI_JZNS1_25segmented_radix_sort_implINS0_14default_configELb1EPKaPaPKlPlN2at6native12_GLOBAL__N_18offset_tEEE10hipError_tPvRmT1_PNSt15iterator_traitsIS12_E10value_typeET2_T3_PNS13_IS18_E10value_typeET4_jRbjT5_S1E_jjP12ihipStream_tbEUljE_ZNSN_ISO_Lb1ESQ_SR_ST_SU_SY_EESZ_S10_S11_S12_S16_S17_S18_S1B_S1C_jS1D_jS1E_S1E_jjS1G_bEUljE0_EEESZ_S10_S11_S18_S1C_S1E_T6_T7_T9_mT8_S1G_bDpT10_ENKUlT_T0_E_clISt17integral_constantIbLb0EES1U_EEDaS1P_S1Q_EUlS1P_E_NS1_11comp_targetILNS1_3genE4ELNS1_11target_archE910ELNS1_3gpuE8ELNS1_3repE0EEENS1_30default_config_static_selectorELNS0_4arch9wavefront6targetE0EEEvS12_,comdat
.Lfunc_end226:
	.size	_ZN7rocprim17ROCPRIM_400000_NS6detail17trampoline_kernelINS0_13select_configILj256ELj13ELNS0_17block_load_methodE3ELS4_3ELS4_3ELNS0_20block_scan_algorithmE0ELj4294967295EEENS1_25partition_config_selectorILNS1_17partition_subalgoE4EjNS0_10empty_typeEbEEZZNS1_14partition_implILS8_4ELb0ES6_15HIP_vector_typeIjLj2EENS0_17counting_iteratorIjlEEPS9_SG_NS0_5tupleIJPjSI_NS0_16reverse_iteratorISI_EEEEENSH_IJSG_SG_SG_EEES9_SI_JZNS1_25segmented_radix_sort_implINS0_14default_configELb1EPKaPaPKlPlN2at6native12_GLOBAL__N_18offset_tEEE10hipError_tPvRmT1_PNSt15iterator_traitsIS12_E10value_typeET2_T3_PNS13_IS18_E10value_typeET4_jRbjT5_S1E_jjP12ihipStream_tbEUljE_ZNSN_ISO_Lb1ESQ_SR_ST_SU_SY_EESZ_S10_S11_S12_S16_S17_S18_S1B_S1C_jS1D_jS1E_S1E_jjS1G_bEUljE0_EEESZ_S10_S11_S18_S1C_S1E_T6_T7_T9_mT8_S1G_bDpT10_ENKUlT_T0_E_clISt17integral_constantIbLb0EES1U_EEDaS1P_S1Q_EUlS1P_E_NS1_11comp_targetILNS1_3genE4ELNS1_11target_archE910ELNS1_3gpuE8ELNS1_3repE0EEENS1_30default_config_static_selectorELNS0_4arch9wavefront6targetE0EEEvS12_, .Lfunc_end226-_ZN7rocprim17ROCPRIM_400000_NS6detail17trampoline_kernelINS0_13select_configILj256ELj13ELNS0_17block_load_methodE3ELS4_3ELS4_3ELNS0_20block_scan_algorithmE0ELj4294967295EEENS1_25partition_config_selectorILNS1_17partition_subalgoE4EjNS0_10empty_typeEbEEZZNS1_14partition_implILS8_4ELb0ES6_15HIP_vector_typeIjLj2EENS0_17counting_iteratorIjlEEPS9_SG_NS0_5tupleIJPjSI_NS0_16reverse_iteratorISI_EEEEENSH_IJSG_SG_SG_EEES9_SI_JZNS1_25segmented_radix_sort_implINS0_14default_configELb1EPKaPaPKlPlN2at6native12_GLOBAL__N_18offset_tEEE10hipError_tPvRmT1_PNSt15iterator_traitsIS12_E10value_typeET2_T3_PNS13_IS18_E10value_typeET4_jRbjT5_S1E_jjP12ihipStream_tbEUljE_ZNSN_ISO_Lb1ESQ_SR_ST_SU_SY_EESZ_S10_S11_S12_S16_S17_S18_S1B_S1C_jS1D_jS1E_S1E_jjS1G_bEUljE0_EEESZ_S10_S11_S18_S1C_S1E_T6_T7_T9_mT8_S1G_bDpT10_ENKUlT_T0_E_clISt17integral_constantIbLb0EES1U_EEDaS1P_S1Q_EUlS1P_E_NS1_11comp_targetILNS1_3genE4ELNS1_11target_archE910ELNS1_3gpuE8ELNS1_3repE0EEENS1_30default_config_static_selectorELNS0_4arch9wavefront6targetE0EEEvS12_
                                        ; -- End function
	.set _ZN7rocprim17ROCPRIM_400000_NS6detail17trampoline_kernelINS0_13select_configILj256ELj13ELNS0_17block_load_methodE3ELS4_3ELS4_3ELNS0_20block_scan_algorithmE0ELj4294967295EEENS1_25partition_config_selectorILNS1_17partition_subalgoE4EjNS0_10empty_typeEbEEZZNS1_14partition_implILS8_4ELb0ES6_15HIP_vector_typeIjLj2EENS0_17counting_iteratorIjlEEPS9_SG_NS0_5tupleIJPjSI_NS0_16reverse_iteratorISI_EEEEENSH_IJSG_SG_SG_EEES9_SI_JZNS1_25segmented_radix_sort_implINS0_14default_configELb1EPKaPaPKlPlN2at6native12_GLOBAL__N_18offset_tEEE10hipError_tPvRmT1_PNSt15iterator_traitsIS12_E10value_typeET2_T3_PNS13_IS18_E10value_typeET4_jRbjT5_S1E_jjP12ihipStream_tbEUljE_ZNSN_ISO_Lb1ESQ_SR_ST_SU_SY_EESZ_S10_S11_S12_S16_S17_S18_S1B_S1C_jS1D_jS1E_S1E_jjS1G_bEUljE0_EEESZ_S10_S11_S18_S1C_S1E_T6_T7_T9_mT8_S1G_bDpT10_ENKUlT_T0_E_clISt17integral_constantIbLb0EES1U_EEDaS1P_S1Q_EUlS1P_E_NS1_11comp_targetILNS1_3genE4ELNS1_11target_archE910ELNS1_3gpuE8ELNS1_3repE0EEENS1_30default_config_static_selectorELNS0_4arch9wavefront6targetE0EEEvS12_.num_vgpr, 0
	.set _ZN7rocprim17ROCPRIM_400000_NS6detail17trampoline_kernelINS0_13select_configILj256ELj13ELNS0_17block_load_methodE3ELS4_3ELS4_3ELNS0_20block_scan_algorithmE0ELj4294967295EEENS1_25partition_config_selectorILNS1_17partition_subalgoE4EjNS0_10empty_typeEbEEZZNS1_14partition_implILS8_4ELb0ES6_15HIP_vector_typeIjLj2EENS0_17counting_iteratorIjlEEPS9_SG_NS0_5tupleIJPjSI_NS0_16reverse_iteratorISI_EEEEENSH_IJSG_SG_SG_EEES9_SI_JZNS1_25segmented_radix_sort_implINS0_14default_configELb1EPKaPaPKlPlN2at6native12_GLOBAL__N_18offset_tEEE10hipError_tPvRmT1_PNSt15iterator_traitsIS12_E10value_typeET2_T3_PNS13_IS18_E10value_typeET4_jRbjT5_S1E_jjP12ihipStream_tbEUljE_ZNSN_ISO_Lb1ESQ_SR_ST_SU_SY_EESZ_S10_S11_S12_S16_S17_S18_S1B_S1C_jS1D_jS1E_S1E_jjS1G_bEUljE0_EEESZ_S10_S11_S18_S1C_S1E_T6_T7_T9_mT8_S1G_bDpT10_ENKUlT_T0_E_clISt17integral_constantIbLb0EES1U_EEDaS1P_S1Q_EUlS1P_E_NS1_11comp_targetILNS1_3genE4ELNS1_11target_archE910ELNS1_3gpuE8ELNS1_3repE0EEENS1_30default_config_static_selectorELNS0_4arch9wavefront6targetE0EEEvS12_.num_agpr, 0
	.set _ZN7rocprim17ROCPRIM_400000_NS6detail17trampoline_kernelINS0_13select_configILj256ELj13ELNS0_17block_load_methodE3ELS4_3ELS4_3ELNS0_20block_scan_algorithmE0ELj4294967295EEENS1_25partition_config_selectorILNS1_17partition_subalgoE4EjNS0_10empty_typeEbEEZZNS1_14partition_implILS8_4ELb0ES6_15HIP_vector_typeIjLj2EENS0_17counting_iteratorIjlEEPS9_SG_NS0_5tupleIJPjSI_NS0_16reverse_iteratorISI_EEEEENSH_IJSG_SG_SG_EEES9_SI_JZNS1_25segmented_radix_sort_implINS0_14default_configELb1EPKaPaPKlPlN2at6native12_GLOBAL__N_18offset_tEEE10hipError_tPvRmT1_PNSt15iterator_traitsIS12_E10value_typeET2_T3_PNS13_IS18_E10value_typeET4_jRbjT5_S1E_jjP12ihipStream_tbEUljE_ZNSN_ISO_Lb1ESQ_SR_ST_SU_SY_EESZ_S10_S11_S12_S16_S17_S18_S1B_S1C_jS1D_jS1E_S1E_jjS1G_bEUljE0_EEESZ_S10_S11_S18_S1C_S1E_T6_T7_T9_mT8_S1G_bDpT10_ENKUlT_T0_E_clISt17integral_constantIbLb0EES1U_EEDaS1P_S1Q_EUlS1P_E_NS1_11comp_targetILNS1_3genE4ELNS1_11target_archE910ELNS1_3gpuE8ELNS1_3repE0EEENS1_30default_config_static_selectorELNS0_4arch9wavefront6targetE0EEEvS12_.numbered_sgpr, 0
	.set _ZN7rocprim17ROCPRIM_400000_NS6detail17trampoline_kernelINS0_13select_configILj256ELj13ELNS0_17block_load_methodE3ELS4_3ELS4_3ELNS0_20block_scan_algorithmE0ELj4294967295EEENS1_25partition_config_selectorILNS1_17partition_subalgoE4EjNS0_10empty_typeEbEEZZNS1_14partition_implILS8_4ELb0ES6_15HIP_vector_typeIjLj2EENS0_17counting_iteratorIjlEEPS9_SG_NS0_5tupleIJPjSI_NS0_16reverse_iteratorISI_EEEEENSH_IJSG_SG_SG_EEES9_SI_JZNS1_25segmented_radix_sort_implINS0_14default_configELb1EPKaPaPKlPlN2at6native12_GLOBAL__N_18offset_tEEE10hipError_tPvRmT1_PNSt15iterator_traitsIS12_E10value_typeET2_T3_PNS13_IS18_E10value_typeET4_jRbjT5_S1E_jjP12ihipStream_tbEUljE_ZNSN_ISO_Lb1ESQ_SR_ST_SU_SY_EESZ_S10_S11_S12_S16_S17_S18_S1B_S1C_jS1D_jS1E_S1E_jjS1G_bEUljE0_EEESZ_S10_S11_S18_S1C_S1E_T6_T7_T9_mT8_S1G_bDpT10_ENKUlT_T0_E_clISt17integral_constantIbLb0EES1U_EEDaS1P_S1Q_EUlS1P_E_NS1_11comp_targetILNS1_3genE4ELNS1_11target_archE910ELNS1_3gpuE8ELNS1_3repE0EEENS1_30default_config_static_selectorELNS0_4arch9wavefront6targetE0EEEvS12_.num_named_barrier, 0
	.set _ZN7rocprim17ROCPRIM_400000_NS6detail17trampoline_kernelINS0_13select_configILj256ELj13ELNS0_17block_load_methodE3ELS4_3ELS4_3ELNS0_20block_scan_algorithmE0ELj4294967295EEENS1_25partition_config_selectorILNS1_17partition_subalgoE4EjNS0_10empty_typeEbEEZZNS1_14partition_implILS8_4ELb0ES6_15HIP_vector_typeIjLj2EENS0_17counting_iteratorIjlEEPS9_SG_NS0_5tupleIJPjSI_NS0_16reverse_iteratorISI_EEEEENSH_IJSG_SG_SG_EEES9_SI_JZNS1_25segmented_radix_sort_implINS0_14default_configELb1EPKaPaPKlPlN2at6native12_GLOBAL__N_18offset_tEEE10hipError_tPvRmT1_PNSt15iterator_traitsIS12_E10value_typeET2_T3_PNS13_IS18_E10value_typeET4_jRbjT5_S1E_jjP12ihipStream_tbEUljE_ZNSN_ISO_Lb1ESQ_SR_ST_SU_SY_EESZ_S10_S11_S12_S16_S17_S18_S1B_S1C_jS1D_jS1E_S1E_jjS1G_bEUljE0_EEESZ_S10_S11_S18_S1C_S1E_T6_T7_T9_mT8_S1G_bDpT10_ENKUlT_T0_E_clISt17integral_constantIbLb0EES1U_EEDaS1P_S1Q_EUlS1P_E_NS1_11comp_targetILNS1_3genE4ELNS1_11target_archE910ELNS1_3gpuE8ELNS1_3repE0EEENS1_30default_config_static_selectorELNS0_4arch9wavefront6targetE0EEEvS12_.private_seg_size, 0
	.set _ZN7rocprim17ROCPRIM_400000_NS6detail17trampoline_kernelINS0_13select_configILj256ELj13ELNS0_17block_load_methodE3ELS4_3ELS4_3ELNS0_20block_scan_algorithmE0ELj4294967295EEENS1_25partition_config_selectorILNS1_17partition_subalgoE4EjNS0_10empty_typeEbEEZZNS1_14partition_implILS8_4ELb0ES6_15HIP_vector_typeIjLj2EENS0_17counting_iteratorIjlEEPS9_SG_NS0_5tupleIJPjSI_NS0_16reverse_iteratorISI_EEEEENSH_IJSG_SG_SG_EEES9_SI_JZNS1_25segmented_radix_sort_implINS0_14default_configELb1EPKaPaPKlPlN2at6native12_GLOBAL__N_18offset_tEEE10hipError_tPvRmT1_PNSt15iterator_traitsIS12_E10value_typeET2_T3_PNS13_IS18_E10value_typeET4_jRbjT5_S1E_jjP12ihipStream_tbEUljE_ZNSN_ISO_Lb1ESQ_SR_ST_SU_SY_EESZ_S10_S11_S12_S16_S17_S18_S1B_S1C_jS1D_jS1E_S1E_jjS1G_bEUljE0_EEESZ_S10_S11_S18_S1C_S1E_T6_T7_T9_mT8_S1G_bDpT10_ENKUlT_T0_E_clISt17integral_constantIbLb0EES1U_EEDaS1P_S1Q_EUlS1P_E_NS1_11comp_targetILNS1_3genE4ELNS1_11target_archE910ELNS1_3gpuE8ELNS1_3repE0EEENS1_30default_config_static_selectorELNS0_4arch9wavefront6targetE0EEEvS12_.uses_vcc, 0
	.set _ZN7rocprim17ROCPRIM_400000_NS6detail17trampoline_kernelINS0_13select_configILj256ELj13ELNS0_17block_load_methodE3ELS4_3ELS4_3ELNS0_20block_scan_algorithmE0ELj4294967295EEENS1_25partition_config_selectorILNS1_17partition_subalgoE4EjNS0_10empty_typeEbEEZZNS1_14partition_implILS8_4ELb0ES6_15HIP_vector_typeIjLj2EENS0_17counting_iteratorIjlEEPS9_SG_NS0_5tupleIJPjSI_NS0_16reverse_iteratorISI_EEEEENSH_IJSG_SG_SG_EEES9_SI_JZNS1_25segmented_radix_sort_implINS0_14default_configELb1EPKaPaPKlPlN2at6native12_GLOBAL__N_18offset_tEEE10hipError_tPvRmT1_PNSt15iterator_traitsIS12_E10value_typeET2_T3_PNS13_IS18_E10value_typeET4_jRbjT5_S1E_jjP12ihipStream_tbEUljE_ZNSN_ISO_Lb1ESQ_SR_ST_SU_SY_EESZ_S10_S11_S12_S16_S17_S18_S1B_S1C_jS1D_jS1E_S1E_jjS1G_bEUljE0_EEESZ_S10_S11_S18_S1C_S1E_T6_T7_T9_mT8_S1G_bDpT10_ENKUlT_T0_E_clISt17integral_constantIbLb0EES1U_EEDaS1P_S1Q_EUlS1P_E_NS1_11comp_targetILNS1_3genE4ELNS1_11target_archE910ELNS1_3gpuE8ELNS1_3repE0EEENS1_30default_config_static_selectorELNS0_4arch9wavefront6targetE0EEEvS12_.uses_flat_scratch, 0
	.set _ZN7rocprim17ROCPRIM_400000_NS6detail17trampoline_kernelINS0_13select_configILj256ELj13ELNS0_17block_load_methodE3ELS4_3ELS4_3ELNS0_20block_scan_algorithmE0ELj4294967295EEENS1_25partition_config_selectorILNS1_17partition_subalgoE4EjNS0_10empty_typeEbEEZZNS1_14partition_implILS8_4ELb0ES6_15HIP_vector_typeIjLj2EENS0_17counting_iteratorIjlEEPS9_SG_NS0_5tupleIJPjSI_NS0_16reverse_iteratorISI_EEEEENSH_IJSG_SG_SG_EEES9_SI_JZNS1_25segmented_radix_sort_implINS0_14default_configELb1EPKaPaPKlPlN2at6native12_GLOBAL__N_18offset_tEEE10hipError_tPvRmT1_PNSt15iterator_traitsIS12_E10value_typeET2_T3_PNS13_IS18_E10value_typeET4_jRbjT5_S1E_jjP12ihipStream_tbEUljE_ZNSN_ISO_Lb1ESQ_SR_ST_SU_SY_EESZ_S10_S11_S12_S16_S17_S18_S1B_S1C_jS1D_jS1E_S1E_jjS1G_bEUljE0_EEESZ_S10_S11_S18_S1C_S1E_T6_T7_T9_mT8_S1G_bDpT10_ENKUlT_T0_E_clISt17integral_constantIbLb0EES1U_EEDaS1P_S1Q_EUlS1P_E_NS1_11comp_targetILNS1_3genE4ELNS1_11target_archE910ELNS1_3gpuE8ELNS1_3repE0EEENS1_30default_config_static_selectorELNS0_4arch9wavefront6targetE0EEEvS12_.has_dyn_sized_stack, 0
	.set _ZN7rocprim17ROCPRIM_400000_NS6detail17trampoline_kernelINS0_13select_configILj256ELj13ELNS0_17block_load_methodE3ELS4_3ELS4_3ELNS0_20block_scan_algorithmE0ELj4294967295EEENS1_25partition_config_selectorILNS1_17partition_subalgoE4EjNS0_10empty_typeEbEEZZNS1_14partition_implILS8_4ELb0ES6_15HIP_vector_typeIjLj2EENS0_17counting_iteratorIjlEEPS9_SG_NS0_5tupleIJPjSI_NS0_16reverse_iteratorISI_EEEEENSH_IJSG_SG_SG_EEES9_SI_JZNS1_25segmented_radix_sort_implINS0_14default_configELb1EPKaPaPKlPlN2at6native12_GLOBAL__N_18offset_tEEE10hipError_tPvRmT1_PNSt15iterator_traitsIS12_E10value_typeET2_T3_PNS13_IS18_E10value_typeET4_jRbjT5_S1E_jjP12ihipStream_tbEUljE_ZNSN_ISO_Lb1ESQ_SR_ST_SU_SY_EESZ_S10_S11_S12_S16_S17_S18_S1B_S1C_jS1D_jS1E_S1E_jjS1G_bEUljE0_EEESZ_S10_S11_S18_S1C_S1E_T6_T7_T9_mT8_S1G_bDpT10_ENKUlT_T0_E_clISt17integral_constantIbLb0EES1U_EEDaS1P_S1Q_EUlS1P_E_NS1_11comp_targetILNS1_3genE4ELNS1_11target_archE910ELNS1_3gpuE8ELNS1_3repE0EEENS1_30default_config_static_selectorELNS0_4arch9wavefront6targetE0EEEvS12_.has_recursion, 0
	.set _ZN7rocprim17ROCPRIM_400000_NS6detail17trampoline_kernelINS0_13select_configILj256ELj13ELNS0_17block_load_methodE3ELS4_3ELS4_3ELNS0_20block_scan_algorithmE0ELj4294967295EEENS1_25partition_config_selectorILNS1_17partition_subalgoE4EjNS0_10empty_typeEbEEZZNS1_14partition_implILS8_4ELb0ES6_15HIP_vector_typeIjLj2EENS0_17counting_iteratorIjlEEPS9_SG_NS0_5tupleIJPjSI_NS0_16reverse_iteratorISI_EEEEENSH_IJSG_SG_SG_EEES9_SI_JZNS1_25segmented_radix_sort_implINS0_14default_configELb1EPKaPaPKlPlN2at6native12_GLOBAL__N_18offset_tEEE10hipError_tPvRmT1_PNSt15iterator_traitsIS12_E10value_typeET2_T3_PNS13_IS18_E10value_typeET4_jRbjT5_S1E_jjP12ihipStream_tbEUljE_ZNSN_ISO_Lb1ESQ_SR_ST_SU_SY_EESZ_S10_S11_S12_S16_S17_S18_S1B_S1C_jS1D_jS1E_S1E_jjS1G_bEUljE0_EEESZ_S10_S11_S18_S1C_S1E_T6_T7_T9_mT8_S1G_bDpT10_ENKUlT_T0_E_clISt17integral_constantIbLb0EES1U_EEDaS1P_S1Q_EUlS1P_E_NS1_11comp_targetILNS1_3genE4ELNS1_11target_archE910ELNS1_3gpuE8ELNS1_3repE0EEENS1_30default_config_static_selectorELNS0_4arch9wavefront6targetE0EEEvS12_.has_indirect_call, 0
	.section	.AMDGPU.csdata,"",@progbits
; Kernel info:
; codeLenInByte = 0
; TotalNumSgprs: 0
; NumVgprs: 0
; ScratchSize: 0
; MemoryBound: 0
; FloatMode: 240
; IeeeMode: 1
; LDSByteSize: 0 bytes/workgroup (compile time only)
; SGPRBlocks: 0
; VGPRBlocks: 0
; NumSGPRsForWavesPerEU: 1
; NumVGPRsForWavesPerEU: 1
; NamedBarCnt: 0
; Occupancy: 16
; WaveLimiterHint : 0
; COMPUTE_PGM_RSRC2:SCRATCH_EN: 0
; COMPUTE_PGM_RSRC2:USER_SGPR: 2
; COMPUTE_PGM_RSRC2:TRAP_HANDLER: 0
; COMPUTE_PGM_RSRC2:TGID_X_EN: 1
; COMPUTE_PGM_RSRC2:TGID_Y_EN: 0
; COMPUTE_PGM_RSRC2:TGID_Z_EN: 0
; COMPUTE_PGM_RSRC2:TIDIG_COMP_CNT: 0
	.section	.text._ZN7rocprim17ROCPRIM_400000_NS6detail17trampoline_kernelINS0_13select_configILj256ELj13ELNS0_17block_load_methodE3ELS4_3ELS4_3ELNS0_20block_scan_algorithmE0ELj4294967295EEENS1_25partition_config_selectorILNS1_17partition_subalgoE4EjNS0_10empty_typeEbEEZZNS1_14partition_implILS8_4ELb0ES6_15HIP_vector_typeIjLj2EENS0_17counting_iteratorIjlEEPS9_SG_NS0_5tupleIJPjSI_NS0_16reverse_iteratorISI_EEEEENSH_IJSG_SG_SG_EEES9_SI_JZNS1_25segmented_radix_sort_implINS0_14default_configELb1EPKaPaPKlPlN2at6native12_GLOBAL__N_18offset_tEEE10hipError_tPvRmT1_PNSt15iterator_traitsIS12_E10value_typeET2_T3_PNS13_IS18_E10value_typeET4_jRbjT5_S1E_jjP12ihipStream_tbEUljE_ZNSN_ISO_Lb1ESQ_SR_ST_SU_SY_EESZ_S10_S11_S12_S16_S17_S18_S1B_S1C_jS1D_jS1E_S1E_jjS1G_bEUljE0_EEESZ_S10_S11_S18_S1C_S1E_T6_T7_T9_mT8_S1G_bDpT10_ENKUlT_T0_E_clISt17integral_constantIbLb0EES1U_EEDaS1P_S1Q_EUlS1P_E_NS1_11comp_targetILNS1_3genE3ELNS1_11target_archE908ELNS1_3gpuE7ELNS1_3repE0EEENS1_30default_config_static_selectorELNS0_4arch9wavefront6targetE0EEEvS12_,"axG",@progbits,_ZN7rocprim17ROCPRIM_400000_NS6detail17trampoline_kernelINS0_13select_configILj256ELj13ELNS0_17block_load_methodE3ELS4_3ELS4_3ELNS0_20block_scan_algorithmE0ELj4294967295EEENS1_25partition_config_selectorILNS1_17partition_subalgoE4EjNS0_10empty_typeEbEEZZNS1_14partition_implILS8_4ELb0ES6_15HIP_vector_typeIjLj2EENS0_17counting_iteratorIjlEEPS9_SG_NS0_5tupleIJPjSI_NS0_16reverse_iteratorISI_EEEEENSH_IJSG_SG_SG_EEES9_SI_JZNS1_25segmented_radix_sort_implINS0_14default_configELb1EPKaPaPKlPlN2at6native12_GLOBAL__N_18offset_tEEE10hipError_tPvRmT1_PNSt15iterator_traitsIS12_E10value_typeET2_T3_PNS13_IS18_E10value_typeET4_jRbjT5_S1E_jjP12ihipStream_tbEUljE_ZNSN_ISO_Lb1ESQ_SR_ST_SU_SY_EESZ_S10_S11_S12_S16_S17_S18_S1B_S1C_jS1D_jS1E_S1E_jjS1G_bEUljE0_EEESZ_S10_S11_S18_S1C_S1E_T6_T7_T9_mT8_S1G_bDpT10_ENKUlT_T0_E_clISt17integral_constantIbLb0EES1U_EEDaS1P_S1Q_EUlS1P_E_NS1_11comp_targetILNS1_3genE3ELNS1_11target_archE908ELNS1_3gpuE7ELNS1_3repE0EEENS1_30default_config_static_selectorELNS0_4arch9wavefront6targetE0EEEvS12_,comdat
	.globl	_ZN7rocprim17ROCPRIM_400000_NS6detail17trampoline_kernelINS0_13select_configILj256ELj13ELNS0_17block_load_methodE3ELS4_3ELS4_3ELNS0_20block_scan_algorithmE0ELj4294967295EEENS1_25partition_config_selectorILNS1_17partition_subalgoE4EjNS0_10empty_typeEbEEZZNS1_14partition_implILS8_4ELb0ES6_15HIP_vector_typeIjLj2EENS0_17counting_iteratorIjlEEPS9_SG_NS0_5tupleIJPjSI_NS0_16reverse_iteratorISI_EEEEENSH_IJSG_SG_SG_EEES9_SI_JZNS1_25segmented_radix_sort_implINS0_14default_configELb1EPKaPaPKlPlN2at6native12_GLOBAL__N_18offset_tEEE10hipError_tPvRmT1_PNSt15iterator_traitsIS12_E10value_typeET2_T3_PNS13_IS18_E10value_typeET4_jRbjT5_S1E_jjP12ihipStream_tbEUljE_ZNSN_ISO_Lb1ESQ_SR_ST_SU_SY_EESZ_S10_S11_S12_S16_S17_S18_S1B_S1C_jS1D_jS1E_S1E_jjS1G_bEUljE0_EEESZ_S10_S11_S18_S1C_S1E_T6_T7_T9_mT8_S1G_bDpT10_ENKUlT_T0_E_clISt17integral_constantIbLb0EES1U_EEDaS1P_S1Q_EUlS1P_E_NS1_11comp_targetILNS1_3genE3ELNS1_11target_archE908ELNS1_3gpuE7ELNS1_3repE0EEENS1_30default_config_static_selectorELNS0_4arch9wavefront6targetE0EEEvS12_ ; -- Begin function _ZN7rocprim17ROCPRIM_400000_NS6detail17trampoline_kernelINS0_13select_configILj256ELj13ELNS0_17block_load_methodE3ELS4_3ELS4_3ELNS0_20block_scan_algorithmE0ELj4294967295EEENS1_25partition_config_selectorILNS1_17partition_subalgoE4EjNS0_10empty_typeEbEEZZNS1_14partition_implILS8_4ELb0ES6_15HIP_vector_typeIjLj2EENS0_17counting_iteratorIjlEEPS9_SG_NS0_5tupleIJPjSI_NS0_16reverse_iteratorISI_EEEEENSH_IJSG_SG_SG_EEES9_SI_JZNS1_25segmented_radix_sort_implINS0_14default_configELb1EPKaPaPKlPlN2at6native12_GLOBAL__N_18offset_tEEE10hipError_tPvRmT1_PNSt15iterator_traitsIS12_E10value_typeET2_T3_PNS13_IS18_E10value_typeET4_jRbjT5_S1E_jjP12ihipStream_tbEUljE_ZNSN_ISO_Lb1ESQ_SR_ST_SU_SY_EESZ_S10_S11_S12_S16_S17_S18_S1B_S1C_jS1D_jS1E_S1E_jjS1G_bEUljE0_EEESZ_S10_S11_S18_S1C_S1E_T6_T7_T9_mT8_S1G_bDpT10_ENKUlT_T0_E_clISt17integral_constantIbLb0EES1U_EEDaS1P_S1Q_EUlS1P_E_NS1_11comp_targetILNS1_3genE3ELNS1_11target_archE908ELNS1_3gpuE7ELNS1_3repE0EEENS1_30default_config_static_selectorELNS0_4arch9wavefront6targetE0EEEvS12_
	.p2align	8
	.type	_ZN7rocprim17ROCPRIM_400000_NS6detail17trampoline_kernelINS0_13select_configILj256ELj13ELNS0_17block_load_methodE3ELS4_3ELS4_3ELNS0_20block_scan_algorithmE0ELj4294967295EEENS1_25partition_config_selectorILNS1_17partition_subalgoE4EjNS0_10empty_typeEbEEZZNS1_14partition_implILS8_4ELb0ES6_15HIP_vector_typeIjLj2EENS0_17counting_iteratorIjlEEPS9_SG_NS0_5tupleIJPjSI_NS0_16reverse_iteratorISI_EEEEENSH_IJSG_SG_SG_EEES9_SI_JZNS1_25segmented_radix_sort_implINS0_14default_configELb1EPKaPaPKlPlN2at6native12_GLOBAL__N_18offset_tEEE10hipError_tPvRmT1_PNSt15iterator_traitsIS12_E10value_typeET2_T3_PNS13_IS18_E10value_typeET4_jRbjT5_S1E_jjP12ihipStream_tbEUljE_ZNSN_ISO_Lb1ESQ_SR_ST_SU_SY_EESZ_S10_S11_S12_S16_S17_S18_S1B_S1C_jS1D_jS1E_S1E_jjS1G_bEUljE0_EEESZ_S10_S11_S18_S1C_S1E_T6_T7_T9_mT8_S1G_bDpT10_ENKUlT_T0_E_clISt17integral_constantIbLb0EES1U_EEDaS1P_S1Q_EUlS1P_E_NS1_11comp_targetILNS1_3genE3ELNS1_11target_archE908ELNS1_3gpuE7ELNS1_3repE0EEENS1_30default_config_static_selectorELNS0_4arch9wavefront6targetE0EEEvS12_,@function
_ZN7rocprim17ROCPRIM_400000_NS6detail17trampoline_kernelINS0_13select_configILj256ELj13ELNS0_17block_load_methodE3ELS4_3ELS4_3ELNS0_20block_scan_algorithmE0ELj4294967295EEENS1_25partition_config_selectorILNS1_17partition_subalgoE4EjNS0_10empty_typeEbEEZZNS1_14partition_implILS8_4ELb0ES6_15HIP_vector_typeIjLj2EENS0_17counting_iteratorIjlEEPS9_SG_NS0_5tupleIJPjSI_NS0_16reverse_iteratorISI_EEEEENSH_IJSG_SG_SG_EEES9_SI_JZNS1_25segmented_radix_sort_implINS0_14default_configELb1EPKaPaPKlPlN2at6native12_GLOBAL__N_18offset_tEEE10hipError_tPvRmT1_PNSt15iterator_traitsIS12_E10value_typeET2_T3_PNS13_IS18_E10value_typeET4_jRbjT5_S1E_jjP12ihipStream_tbEUljE_ZNSN_ISO_Lb1ESQ_SR_ST_SU_SY_EESZ_S10_S11_S12_S16_S17_S18_S1B_S1C_jS1D_jS1E_S1E_jjS1G_bEUljE0_EEESZ_S10_S11_S18_S1C_S1E_T6_T7_T9_mT8_S1G_bDpT10_ENKUlT_T0_E_clISt17integral_constantIbLb0EES1U_EEDaS1P_S1Q_EUlS1P_E_NS1_11comp_targetILNS1_3genE3ELNS1_11target_archE908ELNS1_3gpuE7ELNS1_3repE0EEENS1_30default_config_static_selectorELNS0_4arch9wavefront6targetE0EEEvS12_: ; @_ZN7rocprim17ROCPRIM_400000_NS6detail17trampoline_kernelINS0_13select_configILj256ELj13ELNS0_17block_load_methodE3ELS4_3ELS4_3ELNS0_20block_scan_algorithmE0ELj4294967295EEENS1_25partition_config_selectorILNS1_17partition_subalgoE4EjNS0_10empty_typeEbEEZZNS1_14partition_implILS8_4ELb0ES6_15HIP_vector_typeIjLj2EENS0_17counting_iteratorIjlEEPS9_SG_NS0_5tupleIJPjSI_NS0_16reverse_iteratorISI_EEEEENSH_IJSG_SG_SG_EEES9_SI_JZNS1_25segmented_radix_sort_implINS0_14default_configELb1EPKaPaPKlPlN2at6native12_GLOBAL__N_18offset_tEEE10hipError_tPvRmT1_PNSt15iterator_traitsIS12_E10value_typeET2_T3_PNS13_IS18_E10value_typeET4_jRbjT5_S1E_jjP12ihipStream_tbEUljE_ZNSN_ISO_Lb1ESQ_SR_ST_SU_SY_EESZ_S10_S11_S12_S16_S17_S18_S1B_S1C_jS1D_jS1E_S1E_jjS1G_bEUljE0_EEESZ_S10_S11_S18_S1C_S1E_T6_T7_T9_mT8_S1G_bDpT10_ENKUlT_T0_E_clISt17integral_constantIbLb0EES1U_EEDaS1P_S1Q_EUlS1P_E_NS1_11comp_targetILNS1_3genE3ELNS1_11target_archE908ELNS1_3gpuE7ELNS1_3repE0EEENS1_30default_config_static_selectorELNS0_4arch9wavefront6targetE0EEEvS12_
; %bb.0:
	.section	.rodata,"a",@progbits
	.p2align	6, 0x0
	.amdhsa_kernel _ZN7rocprim17ROCPRIM_400000_NS6detail17trampoline_kernelINS0_13select_configILj256ELj13ELNS0_17block_load_methodE3ELS4_3ELS4_3ELNS0_20block_scan_algorithmE0ELj4294967295EEENS1_25partition_config_selectorILNS1_17partition_subalgoE4EjNS0_10empty_typeEbEEZZNS1_14partition_implILS8_4ELb0ES6_15HIP_vector_typeIjLj2EENS0_17counting_iteratorIjlEEPS9_SG_NS0_5tupleIJPjSI_NS0_16reverse_iteratorISI_EEEEENSH_IJSG_SG_SG_EEES9_SI_JZNS1_25segmented_radix_sort_implINS0_14default_configELb1EPKaPaPKlPlN2at6native12_GLOBAL__N_18offset_tEEE10hipError_tPvRmT1_PNSt15iterator_traitsIS12_E10value_typeET2_T3_PNS13_IS18_E10value_typeET4_jRbjT5_S1E_jjP12ihipStream_tbEUljE_ZNSN_ISO_Lb1ESQ_SR_ST_SU_SY_EESZ_S10_S11_S12_S16_S17_S18_S1B_S1C_jS1D_jS1E_S1E_jjS1G_bEUljE0_EEESZ_S10_S11_S18_S1C_S1E_T6_T7_T9_mT8_S1G_bDpT10_ENKUlT_T0_E_clISt17integral_constantIbLb0EES1U_EEDaS1P_S1Q_EUlS1P_E_NS1_11comp_targetILNS1_3genE3ELNS1_11target_archE908ELNS1_3gpuE7ELNS1_3repE0EEENS1_30default_config_static_selectorELNS0_4arch9wavefront6targetE0EEEvS12_
		.amdhsa_group_segment_fixed_size 0
		.amdhsa_private_segment_fixed_size 0
		.amdhsa_kernarg_size 176
		.amdhsa_user_sgpr_count 2
		.amdhsa_user_sgpr_dispatch_ptr 0
		.amdhsa_user_sgpr_queue_ptr 0
		.amdhsa_user_sgpr_kernarg_segment_ptr 1
		.amdhsa_user_sgpr_dispatch_id 0
		.amdhsa_user_sgpr_kernarg_preload_length 0
		.amdhsa_user_sgpr_kernarg_preload_offset 0
		.amdhsa_user_sgpr_private_segment_size 0
		.amdhsa_wavefront_size32 1
		.amdhsa_uses_dynamic_stack 0
		.amdhsa_enable_private_segment 0
		.amdhsa_system_sgpr_workgroup_id_x 1
		.amdhsa_system_sgpr_workgroup_id_y 0
		.amdhsa_system_sgpr_workgroup_id_z 0
		.amdhsa_system_sgpr_workgroup_info 0
		.amdhsa_system_vgpr_workitem_id 0
		.amdhsa_next_free_vgpr 1
		.amdhsa_next_free_sgpr 1
		.amdhsa_named_barrier_count 0
		.amdhsa_reserve_vcc 0
		.amdhsa_float_round_mode_32 0
		.amdhsa_float_round_mode_16_64 0
		.amdhsa_float_denorm_mode_32 3
		.amdhsa_float_denorm_mode_16_64 3
		.amdhsa_fp16_overflow 0
		.amdhsa_memory_ordered 1
		.amdhsa_forward_progress 1
		.amdhsa_inst_pref_size 0
		.amdhsa_round_robin_scheduling 0
		.amdhsa_exception_fp_ieee_invalid_op 0
		.amdhsa_exception_fp_denorm_src 0
		.amdhsa_exception_fp_ieee_div_zero 0
		.amdhsa_exception_fp_ieee_overflow 0
		.amdhsa_exception_fp_ieee_underflow 0
		.amdhsa_exception_fp_ieee_inexact 0
		.amdhsa_exception_int_div_zero 0
	.end_amdhsa_kernel
	.section	.text._ZN7rocprim17ROCPRIM_400000_NS6detail17trampoline_kernelINS0_13select_configILj256ELj13ELNS0_17block_load_methodE3ELS4_3ELS4_3ELNS0_20block_scan_algorithmE0ELj4294967295EEENS1_25partition_config_selectorILNS1_17partition_subalgoE4EjNS0_10empty_typeEbEEZZNS1_14partition_implILS8_4ELb0ES6_15HIP_vector_typeIjLj2EENS0_17counting_iteratorIjlEEPS9_SG_NS0_5tupleIJPjSI_NS0_16reverse_iteratorISI_EEEEENSH_IJSG_SG_SG_EEES9_SI_JZNS1_25segmented_radix_sort_implINS0_14default_configELb1EPKaPaPKlPlN2at6native12_GLOBAL__N_18offset_tEEE10hipError_tPvRmT1_PNSt15iterator_traitsIS12_E10value_typeET2_T3_PNS13_IS18_E10value_typeET4_jRbjT5_S1E_jjP12ihipStream_tbEUljE_ZNSN_ISO_Lb1ESQ_SR_ST_SU_SY_EESZ_S10_S11_S12_S16_S17_S18_S1B_S1C_jS1D_jS1E_S1E_jjS1G_bEUljE0_EEESZ_S10_S11_S18_S1C_S1E_T6_T7_T9_mT8_S1G_bDpT10_ENKUlT_T0_E_clISt17integral_constantIbLb0EES1U_EEDaS1P_S1Q_EUlS1P_E_NS1_11comp_targetILNS1_3genE3ELNS1_11target_archE908ELNS1_3gpuE7ELNS1_3repE0EEENS1_30default_config_static_selectorELNS0_4arch9wavefront6targetE0EEEvS12_,"axG",@progbits,_ZN7rocprim17ROCPRIM_400000_NS6detail17trampoline_kernelINS0_13select_configILj256ELj13ELNS0_17block_load_methodE3ELS4_3ELS4_3ELNS0_20block_scan_algorithmE0ELj4294967295EEENS1_25partition_config_selectorILNS1_17partition_subalgoE4EjNS0_10empty_typeEbEEZZNS1_14partition_implILS8_4ELb0ES6_15HIP_vector_typeIjLj2EENS0_17counting_iteratorIjlEEPS9_SG_NS0_5tupleIJPjSI_NS0_16reverse_iteratorISI_EEEEENSH_IJSG_SG_SG_EEES9_SI_JZNS1_25segmented_radix_sort_implINS0_14default_configELb1EPKaPaPKlPlN2at6native12_GLOBAL__N_18offset_tEEE10hipError_tPvRmT1_PNSt15iterator_traitsIS12_E10value_typeET2_T3_PNS13_IS18_E10value_typeET4_jRbjT5_S1E_jjP12ihipStream_tbEUljE_ZNSN_ISO_Lb1ESQ_SR_ST_SU_SY_EESZ_S10_S11_S12_S16_S17_S18_S1B_S1C_jS1D_jS1E_S1E_jjS1G_bEUljE0_EEESZ_S10_S11_S18_S1C_S1E_T6_T7_T9_mT8_S1G_bDpT10_ENKUlT_T0_E_clISt17integral_constantIbLb0EES1U_EEDaS1P_S1Q_EUlS1P_E_NS1_11comp_targetILNS1_3genE3ELNS1_11target_archE908ELNS1_3gpuE7ELNS1_3repE0EEENS1_30default_config_static_selectorELNS0_4arch9wavefront6targetE0EEEvS12_,comdat
.Lfunc_end227:
	.size	_ZN7rocprim17ROCPRIM_400000_NS6detail17trampoline_kernelINS0_13select_configILj256ELj13ELNS0_17block_load_methodE3ELS4_3ELS4_3ELNS0_20block_scan_algorithmE0ELj4294967295EEENS1_25partition_config_selectorILNS1_17partition_subalgoE4EjNS0_10empty_typeEbEEZZNS1_14partition_implILS8_4ELb0ES6_15HIP_vector_typeIjLj2EENS0_17counting_iteratorIjlEEPS9_SG_NS0_5tupleIJPjSI_NS0_16reverse_iteratorISI_EEEEENSH_IJSG_SG_SG_EEES9_SI_JZNS1_25segmented_radix_sort_implINS0_14default_configELb1EPKaPaPKlPlN2at6native12_GLOBAL__N_18offset_tEEE10hipError_tPvRmT1_PNSt15iterator_traitsIS12_E10value_typeET2_T3_PNS13_IS18_E10value_typeET4_jRbjT5_S1E_jjP12ihipStream_tbEUljE_ZNSN_ISO_Lb1ESQ_SR_ST_SU_SY_EESZ_S10_S11_S12_S16_S17_S18_S1B_S1C_jS1D_jS1E_S1E_jjS1G_bEUljE0_EEESZ_S10_S11_S18_S1C_S1E_T6_T7_T9_mT8_S1G_bDpT10_ENKUlT_T0_E_clISt17integral_constantIbLb0EES1U_EEDaS1P_S1Q_EUlS1P_E_NS1_11comp_targetILNS1_3genE3ELNS1_11target_archE908ELNS1_3gpuE7ELNS1_3repE0EEENS1_30default_config_static_selectorELNS0_4arch9wavefront6targetE0EEEvS12_, .Lfunc_end227-_ZN7rocprim17ROCPRIM_400000_NS6detail17trampoline_kernelINS0_13select_configILj256ELj13ELNS0_17block_load_methodE3ELS4_3ELS4_3ELNS0_20block_scan_algorithmE0ELj4294967295EEENS1_25partition_config_selectorILNS1_17partition_subalgoE4EjNS0_10empty_typeEbEEZZNS1_14partition_implILS8_4ELb0ES6_15HIP_vector_typeIjLj2EENS0_17counting_iteratorIjlEEPS9_SG_NS0_5tupleIJPjSI_NS0_16reverse_iteratorISI_EEEEENSH_IJSG_SG_SG_EEES9_SI_JZNS1_25segmented_radix_sort_implINS0_14default_configELb1EPKaPaPKlPlN2at6native12_GLOBAL__N_18offset_tEEE10hipError_tPvRmT1_PNSt15iterator_traitsIS12_E10value_typeET2_T3_PNS13_IS18_E10value_typeET4_jRbjT5_S1E_jjP12ihipStream_tbEUljE_ZNSN_ISO_Lb1ESQ_SR_ST_SU_SY_EESZ_S10_S11_S12_S16_S17_S18_S1B_S1C_jS1D_jS1E_S1E_jjS1G_bEUljE0_EEESZ_S10_S11_S18_S1C_S1E_T6_T7_T9_mT8_S1G_bDpT10_ENKUlT_T0_E_clISt17integral_constantIbLb0EES1U_EEDaS1P_S1Q_EUlS1P_E_NS1_11comp_targetILNS1_3genE3ELNS1_11target_archE908ELNS1_3gpuE7ELNS1_3repE0EEENS1_30default_config_static_selectorELNS0_4arch9wavefront6targetE0EEEvS12_
                                        ; -- End function
	.set _ZN7rocprim17ROCPRIM_400000_NS6detail17trampoline_kernelINS0_13select_configILj256ELj13ELNS0_17block_load_methodE3ELS4_3ELS4_3ELNS0_20block_scan_algorithmE0ELj4294967295EEENS1_25partition_config_selectorILNS1_17partition_subalgoE4EjNS0_10empty_typeEbEEZZNS1_14partition_implILS8_4ELb0ES6_15HIP_vector_typeIjLj2EENS0_17counting_iteratorIjlEEPS9_SG_NS0_5tupleIJPjSI_NS0_16reverse_iteratorISI_EEEEENSH_IJSG_SG_SG_EEES9_SI_JZNS1_25segmented_radix_sort_implINS0_14default_configELb1EPKaPaPKlPlN2at6native12_GLOBAL__N_18offset_tEEE10hipError_tPvRmT1_PNSt15iterator_traitsIS12_E10value_typeET2_T3_PNS13_IS18_E10value_typeET4_jRbjT5_S1E_jjP12ihipStream_tbEUljE_ZNSN_ISO_Lb1ESQ_SR_ST_SU_SY_EESZ_S10_S11_S12_S16_S17_S18_S1B_S1C_jS1D_jS1E_S1E_jjS1G_bEUljE0_EEESZ_S10_S11_S18_S1C_S1E_T6_T7_T9_mT8_S1G_bDpT10_ENKUlT_T0_E_clISt17integral_constantIbLb0EES1U_EEDaS1P_S1Q_EUlS1P_E_NS1_11comp_targetILNS1_3genE3ELNS1_11target_archE908ELNS1_3gpuE7ELNS1_3repE0EEENS1_30default_config_static_selectorELNS0_4arch9wavefront6targetE0EEEvS12_.num_vgpr, 0
	.set _ZN7rocprim17ROCPRIM_400000_NS6detail17trampoline_kernelINS0_13select_configILj256ELj13ELNS0_17block_load_methodE3ELS4_3ELS4_3ELNS0_20block_scan_algorithmE0ELj4294967295EEENS1_25partition_config_selectorILNS1_17partition_subalgoE4EjNS0_10empty_typeEbEEZZNS1_14partition_implILS8_4ELb0ES6_15HIP_vector_typeIjLj2EENS0_17counting_iteratorIjlEEPS9_SG_NS0_5tupleIJPjSI_NS0_16reverse_iteratorISI_EEEEENSH_IJSG_SG_SG_EEES9_SI_JZNS1_25segmented_radix_sort_implINS0_14default_configELb1EPKaPaPKlPlN2at6native12_GLOBAL__N_18offset_tEEE10hipError_tPvRmT1_PNSt15iterator_traitsIS12_E10value_typeET2_T3_PNS13_IS18_E10value_typeET4_jRbjT5_S1E_jjP12ihipStream_tbEUljE_ZNSN_ISO_Lb1ESQ_SR_ST_SU_SY_EESZ_S10_S11_S12_S16_S17_S18_S1B_S1C_jS1D_jS1E_S1E_jjS1G_bEUljE0_EEESZ_S10_S11_S18_S1C_S1E_T6_T7_T9_mT8_S1G_bDpT10_ENKUlT_T0_E_clISt17integral_constantIbLb0EES1U_EEDaS1P_S1Q_EUlS1P_E_NS1_11comp_targetILNS1_3genE3ELNS1_11target_archE908ELNS1_3gpuE7ELNS1_3repE0EEENS1_30default_config_static_selectorELNS0_4arch9wavefront6targetE0EEEvS12_.num_agpr, 0
	.set _ZN7rocprim17ROCPRIM_400000_NS6detail17trampoline_kernelINS0_13select_configILj256ELj13ELNS0_17block_load_methodE3ELS4_3ELS4_3ELNS0_20block_scan_algorithmE0ELj4294967295EEENS1_25partition_config_selectorILNS1_17partition_subalgoE4EjNS0_10empty_typeEbEEZZNS1_14partition_implILS8_4ELb0ES6_15HIP_vector_typeIjLj2EENS0_17counting_iteratorIjlEEPS9_SG_NS0_5tupleIJPjSI_NS0_16reverse_iteratorISI_EEEEENSH_IJSG_SG_SG_EEES9_SI_JZNS1_25segmented_radix_sort_implINS0_14default_configELb1EPKaPaPKlPlN2at6native12_GLOBAL__N_18offset_tEEE10hipError_tPvRmT1_PNSt15iterator_traitsIS12_E10value_typeET2_T3_PNS13_IS18_E10value_typeET4_jRbjT5_S1E_jjP12ihipStream_tbEUljE_ZNSN_ISO_Lb1ESQ_SR_ST_SU_SY_EESZ_S10_S11_S12_S16_S17_S18_S1B_S1C_jS1D_jS1E_S1E_jjS1G_bEUljE0_EEESZ_S10_S11_S18_S1C_S1E_T6_T7_T9_mT8_S1G_bDpT10_ENKUlT_T0_E_clISt17integral_constantIbLb0EES1U_EEDaS1P_S1Q_EUlS1P_E_NS1_11comp_targetILNS1_3genE3ELNS1_11target_archE908ELNS1_3gpuE7ELNS1_3repE0EEENS1_30default_config_static_selectorELNS0_4arch9wavefront6targetE0EEEvS12_.numbered_sgpr, 0
	.set _ZN7rocprim17ROCPRIM_400000_NS6detail17trampoline_kernelINS0_13select_configILj256ELj13ELNS0_17block_load_methodE3ELS4_3ELS4_3ELNS0_20block_scan_algorithmE0ELj4294967295EEENS1_25partition_config_selectorILNS1_17partition_subalgoE4EjNS0_10empty_typeEbEEZZNS1_14partition_implILS8_4ELb0ES6_15HIP_vector_typeIjLj2EENS0_17counting_iteratorIjlEEPS9_SG_NS0_5tupleIJPjSI_NS0_16reverse_iteratorISI_EEEEENSH_IJSG_SG_SG_EEES9_SI_JZNS1_25segmented_radix_sort_implINS0_14default_configELb1EPKaPaPKlPlN2at6native12_GLOBAL__N_18offset_tEEE10hipError_tPvRmT1_PNSt15iterator_traitsIS12_E10value_typeET2_T3_PNS13_IS18_E10value_typeET4_jRbjT5_S1E_jjP12ihipStream_tbEUljE_ZNSN_ISO_Lb1ESQ_SR_ST_SU_SY_EESZ_S10_S11_S12_S16_S17_S18_S1B_S1C_jS1D_jS1E_S1E_jjS1G_bEUljE0_EEESZ_S10_S11_S18_S1C_S1E_T6_T7_T9_mT8_S1G_bDpT10_ENKUlT_T0_E_clISt17integral_constantIbLb0EES1U_EEDaS1P_S1Q_EUlS1P_E_NS1_11comp_targetILNS1_3genE3ELNS1_11target_archE908ELNS1_3gpuE7ELNS1_3repE0EEENS1_30default_config_static_selectorELNS0_4arch9wavefront6targetE0EEEvS12_.num_named_barrier, 0
	.set _ZN7rocprim17ROCPRIM_400000_NS6detail17trampoline_kernelINS0_13select_configILj256ELj13ELNS0_17block_load_methodE3ELS4_3ELS4_3ELNS0_20block_scan_algorithmE0ELj4294967295EEENS1_25partition_config_selectorILNS1_17partition_subalgoE4EjNS0_10empty_typeEbEEZZNS1_14partition_implILS8_4ELb0ES6_15HIP_vector_typeIjLj2EENS0_17counting_iteratorIjlEEPS9_SG_NS0_5tupleIJPjSI_NS0_16reverse_iteratorISI_EEEEENSH_IJSG_SG_SG_EEES9_SI_JZNS1_25segmented_radix_sort_implINS0_14default_configELb1EPKaPaPKlPlN2at6native12_GLOBAL__N_18offset_tEEE10hipError_tPvRmT1_PNSt15iterator_traitsIS12_E10value_typeET2_T3_PNS13_IS18_E10value_typeET4_jRbjT5_S1E_jjP12ihipStream_tbEUljE_ZNSN_ISO_Lb1ESQ_SR_ST_SU_SY_EESZ_S10_S11_S12_S16_S17_S18_S1B_S1C_jS1D_jS1E_S1E_jjS1G_bEUljE0_EEESZ_S10_S11_S18_S1C_S1E_T6_T7_T9_mT8_S1G_bDpT10_ENKUlT_T0_E_clISt17integral_constantIbLb0EES1U_EEDaS1P_S1Q_EUlS1P_E_NS1_11comp_targetILNS1_3genE3ELNS1_11target_archE908ELNS1_3gpuE7ELNS1_3repE0EEENS1_30default_config_static_selectorELNS0_4arch9wavefront6targetE0EEEvS12_.private_seg_size, 0
	.set _ZN7rocprim17ROCPRIM_400000_NS6detail17trampoline_kernelINS0_13select_configILj256ELj13ELNS0_17block_load_methodE3ELS4_3ELS4_3ELNS0_20block_scan_algorithmE0ELj4294967295EEENS1_25partition_config_selectorILNS1_17partition_subalgoE4EjNS0_10empty_typeEbEEZZNS1_14partition_implILS8_4ELb0ES6_15HIP_vector_typeIjLj2EENS0_17counting_iteratorIjlEEPS9_SG_NS0_5tupleIJPjSI_NS0_16reverse_iteratorISI_EEEEENSH_IJSG_SG_SG_EEES9_SI_JZNS1_25segmented_radix_sort_implINS0_14default_configELb1EPKaPaPKlPlN2at6native12_GLOBAL__N_18offset_tEEE10hipError_tPvRmT1_PNSt15iterator_traitsIS12_E10value_typeET2_T3_PNS13_IS18_E10value_typeET4_jRbjT5_S1E_jjP12ihipStream_tbEUljE_ZNSN_ISO_Lb1ESQ_SR_ST_SU_SY_EESZ_S10_S11_S12_S16_S17_S18_S1B_S1C_jS1D_jS1E_S1E_jjS1G_bEUljE0_EEESZ_S10_S11_S18_S1C_S1E_T6_T7_T9_mT8_S1G_bDpT10_ENKUlT_T0_E_clISt17integral_constantIbLb0EES1U_EEDaS1P_S1Q_EUlS1P_E_NS1_11comp_targetILNS1_3genE3ELNS1_11target_archE908ELNS1_3gpuE7ELNS1_3repE0EEENS1_30default_config_static_selectorELNS0_4arch9wavefront6targetE0EEEvS12_.uses_vcc, 0
	.set _ZN7rocprim17ROCPRIM_400000_NS6detail17trampoline_kernelINS0_13select_configILj256ELj13ELNS0_17block_load_methodE3ELS4_3ELS4_3ELNS0_20block_scan_algorithmE0ELj4294967295EEENS1_25partition_config_selectorILNS1_17partition_subalgoE4EjNS0_10empty_typeEbEEZZNS1_14partition_implILS8_4ELb0ES6_15HIP_vector_typeIjLj2EENS0_17counting_iteratorIjlEEPS9_SG_NS0_5tupleIJPjSI_NS0_16reverse_iteratorISI_EEEEENSH_IJSG_SG_SG_EEES9_SI_JZNS1_25segmented_radix_sort_implINS0_14default_configELb1EPKaPaPKlPlN2at6native12_GLOBAL__N_18offset_tEEE10hipError_tPvRmT1_PNSt15iterator_traitsIS12_E10value_typeET2_T3_PNS13_IS18_E10value_typeET4_jRbjT5_S1E_jjP12ihipStream_tbEUljE_ZNSN_ISO_Lb1ESQ_SR_ST_SU_SY_EESZ_S10_S11_S12_S16_S17_S18_S1B_S1C_jS1D_jS1E_S1E_jjS1G_bEUljE0_EEESZ_S10_S11_S18_S1C_S1E_T6_T7_T9_mT8_S1G_bDpT10_ENKUlT_T0_E_clISt17integral_constantIbLb0EES1U_EEDaS1P_S1Q_EUlS1P_E_NS1_11comp_targetILNS1_3genE3ELNS1_11target_archE908ELNS1_3gpuE7ELNS1_3repE0EEENS1_30default_config_static_selectorELNS0_4arch9wavefront6targetE0EEEvS12_.uses_flat_scratch, 0
	.set _ZN7rocprim17ROCPRIM_400000_NS6detail17trampoline_kernelINS0_13select_configILj256ELj13ELNS0_17block_load_methodE3ELS4_3ELS4_3ELNS0_20block_scan_algorithmE0ELj4294967295EEENS1_25partition_config_selectorILNS1_17partition_subalgoE4EjNS0_10empty_typeEbEEZZNS1_14partition_implILS8_4ELb0ES6_15HIP_vector_typeIjLj2EENS0_17counting_iteratorIjlEEPS9_SG_NS0_5tupleIJPjSI_NS0_16reverse_iteratorISI_EEEEENSH_IJSG_SG_SG_EEES9_SI_JZNS1_25segmented_radix_sort_implINS0_14default_configELb1EPKaPaPKlPlN2at6native12_GLOBAL__N_18offset_tEEE10hipError_tPvRmT1_PNSt15iterator_traitsIS12_E10value_typeET2_T3_PNS13_IS18_E10value_typeET4_jRbjT5_S1E_jjP12ihipStream_tbEUljE_ZNSN_ISO_Lb1ESQ_SR_ST_SU_SY_EESZ_S10_S11_S12_S16_S17_S18_S1B_S1C_jS1D_jS1E_S1E_jjS1G_bEUljE0_EEESZ_S10_S11_S18_S1C_S1E_T6_T7_T9_mT8_S1G_bDpT10_ENKUlT_T0_E_clISt17integral_constantIbLb0EES1U_EEDaS1P_S1Q_EUlS1P_E_NS1_11comp_targetILNS1_3genE3ELNS1_11target_archE908ELNS1_3gpuE7ELNS1_3repE0EEENS1_30default_config_static_selectorELNS0_4arch9wavefront6targetE0EEEvS12_.has_dyn_sized_stack, 0
	.set _ZN7rocprim17ROCPRIM_400000_NS6detail17trampoline_kernelINS0_13select_configILj256ELj13ELNS0_17block_load_methodE3ELS4_3ELS4_3ELNS0_20block_scan_algorithmE0ELj4294967295EEENS1_25partition_config_selectorILNS1_17partition_subalgoE4EjNS0_10empty_typeEbEEZZNS1_14partition_implILS8_4ELb0ES6_15HIP_vector_typeIjLj2EENS0_17counting_iteratorIjlEEPS9_SG_NS0_5tupleIJPjSI_NS0_16reverse_iteratorISI_EEEEENSH_IJSG_SG_SG_EEES9_SI_JZNS1_25segmented_radix_sort_implINS0_14default_configELb1EPKaPaPKlPlN2at6native12_GLOBAL__N_18offset_tEEE10hipError_tPvRmT1_PNSt15iterator_traitsIS12_E10value_typeET2_T3_PNS13_IS18_E10value_typeET4_jRbjT5_S1E_jjP12ihipStream_tbEUljE_ZNSN_ISO_Lb1ESQ_SR_ST_SU_SY_EESZ_S10_S11_S12_S16_S17_S18_S1B_S1C_jS1D_jS1E_S1E_jjS1G_bEUljE0_EEESZ_S10_S11_S18_S1C_S1E_T6_T7_T9_mT8_S1G_bDpT10_ENKUlT_T0_E_clISt17integral_constantIbLb0EES1U_EEDaS1P_S1Q_EUlS1P_E_NS1_11comp_targetILNS1_3genE3ELNS1_11target_archE908ELNS1_3gpuE7ELNS1_3repE0EEENS1_30default_config_static_selectorELNS0_4arch9wavefront6targetE0EEEvS12_.has_recursion, 0
	.set _ZN7rocprim17ROCPRIM_400000_NS6detail17trampoline_kernelINS0_13select_configILj256ELj13ELNS0_17block_load_methodE3ELS4_3ELS4_3ELNS0_20block_scan_algorithmE0ELj4294967295EEENS1_25partition_config_selectorILNS1_17partition_subalgoE4EjNS0_10empty_typeEbEEZZNS1_14partition_implILS8_4ELb0ES6_15HIP_vector_typeIjLj2EENS0_17counting_iteratorIjlEEPS9_SG_NS0_5tupleIJPjSI_NS0_16reverse_iteratorISI_EEEEENSH_IJSG_SG_SG_EEES9_SI_JZNS1_25segmented_radix_sort_implINS0_14default_configELb1EPKaPaPKlPlN2at6native12_GLOBAL__N_18offset_tEEE10hipError_tPvRmT1_PNSt15iterator_traitsIS12_E10value_typeET2_T3_PNS13_IS18_E10value_typeET4_jRbjT5_S1E_jjP12ihipStream_tbEUljE_ZNSN_ISO_Lb1ESQ_SR_ST_SU_SY_EESZ_S10_S11_S12_S16_S17_S18_S1B_S1C_jS1D_jS1E_S1E_jjS1G_bEUljE0_EEESZ_S10_S11_S18_S1C_S1E_T6_T7_T9_mT8_S1G_bDpT10_ENKUlT_T0_E_clISt17integral_constantIbLb0EES1U_EEDaS1P_S1Q_EUlS1P_E_NS1_11comp_targetILNS1_3genE3ELNS1_11target_archE908ELNS1_3gpuE7ELNS1_3repE0EEENS1_30default_config_static_selectorELNS0_4arch9wavefront6targetE0EEEvS12_.has_indirect_call, 0
	.section	.AMDGPU.csdata,"",@progbits
; Kernel info:
; codeLenInByte = 0
; TotalNumSgprs: 0
; NumVgprs: 0
; ScratchSize: 0
; MemoryBound: 0
; FloatMode: 240
; IeeeMode: 1
; LDSByteSize: 0 bytes/workgroup (compile time only)
; SGPRBlocks: 0
; VGPRBlocks: 0
; NumSGPRsForWavesPerEU: 1
; NumVGPRsForWavesPerEU: 1
; NamedBarCnt: 0
; Occupancy: 16
; WaveLimiterHint : 0
; COMPUTE_PGM_RSRC2:SCRATCH_EN: 0
; COMPUTE_PGM_RSRC2:USER_SGPR: 2
; COMPUTE_PGM_RSRC2:TRAP_HANDLER: 0
; COMPUTE_PGM_RSRC2:TGID_X_EN: 1
; COMPUTE_PGM_RSRC2:TGID_Y_EN: 0
; COMPUTE_PGM_RSRC2:TGID_Z_EN: 0
; COMPUTE_PGM_RSRC2:TIDIG_COMP_CNT: 0
	.section	.text._ZN7rocprim17ROCPRIM_400000_NS6detail17trampoline_kernelINS0_13select_configILj256ELj13ELNS0_17block_load_methodE3ELS4_3ELS4_3ELNS0_20block_scan_algorithmE0ELj4294967295EEENS1_25partition_config_selectorILNS1_17partition_subalgoE4EjNS0_10empty_typeEbEEZZNS1_14partition_implILS8_4ELb0ES6_15HIP_vector_typeIjLj2EENS0_17counting_iteratorIjlEEPS9_SG_NS0_5tupleIJPjSI_NS0_16reverse_iteratorISI_EEEEENSH_IJSG_SG_SG_EEES9_SI_JZNS1_25segmented_radix_sort_implINS0_14default_configELb1EPKaPaPKlPlN2at6native12_GLOBAL__N_18offset_tEEE10hipError_tPvRmT1_PNSt15iterator_traitsIS12_E10value_typeET2_T3_PNS13_IS18_E10value_typeET4_jRbjT5_S1E_jjP12ihipStream_tbEUljE_ZNSN_ISO_Lb1ESQ_SR_ST_SU_SY_EESZ_S10_S11_S12_S16_S17_S18_S1B_S1C_jS1D_jS1E_S1E_jjS1G_bEUljE0_EEESZ_S10_S11_S18_S1C_S1E_T6_T7_T9_mT8_S1G_bDpT10_ENKUlT_T0_E_clISt17integral_constantIbLb0EES1U_EEDaS1P_S1Q_EUlS1P_E_NS1_11comp_targetILNS1_3genE2ELNS1_11target_archE906ELNS1_3gpuE6ELNS1_3repE0EEENS1_30default_config_static_selectorELNS0_4arch9wavefront6targetE0EEEvS12_,"axG",@progbits,_ZN7rocprim17ROCPRIM_400000_NS6detail17trampoline_kernelINS0_13select_configILj256ELj13ELNS0_17block_load_methodE3ELS4_3ELS4_3ELNS0_20block_scan_algorithmE0ELj4294967295EEENS1_25partition_config_selectorILNS1_17partition_subalgoE4EjNS0_10empty_typeEbEEZZNS1_14partition_implILS8_4ELb0ES6_15HIP_vector_typeIjLj2EENS0_17counting_iteratorIjlEEPS9_SG_NS0_5tupleIJPjSI_NS0_16reverse_iteratorISI_EEEEENSH_IJSG_SG_SG_EEES9_SI_JZNS1_25segmented_radix_sort_implINS0_14default_configELb1EPKaPaPKlPlN2at6native12_GLOBAL__N_18offset_tEEE10hipError_tPvRmT1_PNSt15iterator_traitsIS12_E10value_typeET2_T3_PNS13_IS18_E10value_typeET4_jRbjT5_S1E_jjP12ihipStream_tbEUljE_ZNSN_ISO_Lb1ESQ_SR_ST_SU_SY_EESZ_S10_S11_S12_S16_S17_S18_S1B_S1C_jS1D_jS1E_S1E_jjS1G_bEUljE0_EEESZ_S10_S11_S18_S1C_S1E_T6_T7_T9_mT8_S1G_bDpT10_ENKUlT_T0_E_clISt17integral_constantIbLb0EES1U_EEDaS1P_S1Q_EUlS1P_E_NS1_11comp_targetILNS1_3genE2ELNS1_11target_archE906ELNS1_3gpuE6ELNS1_3repE0EEENS1_30default_config_static_selectorELNS0_4arch9wavefront6targetE0EEEvS12_,comdat
	.globl	_ZN7rocprim17ROCPRIM_400000_NS6detail17trampoline_kernelINS0_13select_configILj256ELj13ELNS0_17block_load_methodE3ELS4_3ELS4_3ELNS0_20block_scan_algorithmE0ELj4294967295EEENS1_25partition_config_selectorILNS1_17partition_subalgoE4EjNS0_10empty_typeEbEEZZNS1_14partition_implILS8_4ELb0ES6_15HIP_vector_typeIjLj2EENS0_17counting_iteratorIjlEEPS9_SG_NS0_5tupleIJPjSI_NS0_16reverse_iteratorISI_EEEEENSH_IJSG_SG_SG_EEES9_SI_JZNS1_25segmented_radix_sort_implINS0_14default_configELb1EPKaPaPKlPlN2at6native12_GLOBAL__N_18offset_tEEE10hipError_tPvRmT1_PNSt15iterator_traitsIS12_E10value_typeET2_T3_PNS13_IS18_E10value_typeET4_jRbjT5_S1E_jjP12ihipStream_tbEUljE_ZNSN_ISO_Lb1ESQ_SR_ST_SU_SY_EESZ_S10_S11_S12_S16_S17_S18_S1B_S1C_jS1D_jS1E_S1E_jjS1G_bEUljE0_EEESZ_S10_S11_S18_S1C_S1E_T6_T7_T9_mT8_S1G_bDpT10_ENKUlT_T0_E_clISt17integral_constantIbLb0EES1U_EEDaS1P_S1Q_EUlS1P_E_NS1_11comp_targetILNS1_3genE2ELNS1_11target_archE906ELNS1_3gpuE6ELNS1_3repE0EEENS1_30default_config_static_selectorELNS0_4arch9wavefront6targetE0EEEvS12_ ; -- Begin function _ZN7rocprim17ROCPRIM_400000_NS6detail17trampoline_kernelINS0_13select_configILj256ELj13ELNS0_17block_load_methodE3ELS4_3ELS4_3ELNS0_20block_scan_algorithmE0ELj4294967295EEENS1_25partition_config_selectorILNS1_17partition_subalgoE4EjNS0_10empty_typeEbEEZZNS1_14partition_implILS8_4ELb0ES6_15HIP_vector_typeIjLj2EENS0_17counting_iteratorIjlEEPS9_SG_NS0_5tupleIJPjSI_NS0_16reverse_iteratorISI_EEEEENSH_IJSG_SG_SG_EEES9_SI_JZNS1_25segmented_radix_sort_implINS0_14default_configELb1EPKaPaPKlPlN2at6native12_GLOBAL__N_18offset_tEEE10hipError_tPvRmT1_PNSt15iterator_traitsIS12_E10value_typeET2_T3_PNS13_IS18_E10value_typeET4_jRbjT5_S1E_jjP12ihipStream_tbEUljE_ZNSN_ISO_Lb1ESQ_SR_ST_SU_SY_EESZ_S10_S11_S12_S16_S17_S18_S1B_S1C_jS1D_jS1E_S1E_jjS1G_bEUljE0_EEESZ_S10_S11_S18_S1C_S1E_T6_T7_T9_mT8_S1G_bDpT10_ENKUlT_T0_E_clISt17integral_constantIbLb0EES1U_EEDaS1P_S1Q_EUlS1P_E_NS1_11comp_targetILNS1_3genE2ELNS1_11target_archE906ELNS1_3gpuE6ELNS1_3repE0EEENS1_30default_config_static_selectorELNS0_4arch9wavefront6targetE0EEEvS12_
	.p2align	8
	.type	_ZN7rocprim17ROCPRIM_400000_NS6detail17trampoline_kernelINS0_13select_configILj256ELj13ELNS0_17block_load_methodE3ELS4_3ELS4_3ELNS0_20block_scan_algorithmE0ELj4294967295EEENS1_25partition_config_selectorILNS1_17partition_subalgoE4EjNS0_10empty_typeEbEEZZNS1_14partition_implILS8_4ELb0ES6_15HIP_vector_typeIjLj2EENS0_17counting_iteratorIjlEEPS9_SG_NS0_5tupleIJPjSI_NS0_16reverse_iteratorISI_EEEEENSH_IJSG_SG_SG_EEES9_SI_JZNS1_25segmented_radix_sort_implINS0_14default_configELb1EPKaPaPKlPlN2at6native12_GLOBAL__N_18offset_tEEE10hipError_tPvRmT1_PNSt15iterator_traitsIS12_E10value_typeET2_T3_PNS13_IS18_E10value_typeET4_jRbjT5_S1E_jjP12ihipStream_tbEUljE_ZNSN_ISO_Lb1ESQ_SR_ST_SU_SY_EESZ_S10_S11_S12_S16_S17_S18_S1B_S1C_jS1D_jS1E_S1E_jjS1G_bEUljE0_EEESZ_S10_S11_S18_S1C_S1E_T6_T7_T9_mT8_S1G_bDpT10_ENKUlT_T0_E_clISt17integral_constantIbLb0EES1U_EEDaS1P_S1Q_EUlS1P_E_NS1_11comp_targetILNS1_3genE2ELNS1_11target_archE906ELNS1_3gpuE6ELNS1_3repE0EEENS1_30default_config_static_selectorELNS0_4arch9wavefront6targetE0EEEvS12_,@function
_ZN7rocprim17ROCPRIM_400000_NS6detail17trampoline_kernelINS0_13select_configILj256ELj13ELNS0_17block_load_methodE3ELS4_3ELS4_3ELNS0_20block_scan_algorithmE0ELj4294967295EEENS1_25partition_config_selectorILNS1_17partition_subalgoE4EjNS0_10empty_typeEbEEZZNS1_14partition_implILS8_4ELb0ES6_15HIP_vector_typeIjLj2EENS0_17counting_iteratorIjlEEPS9_SG_NS0_5tupleIJPjSI_NS0_16reverse_iteratorISI_EEEEENSH_IJSG_SG_SG_EEES9_SI_JZNS1_25segmented_radix_sort_implINS0_14default_configELb1EPKaPaPKlPlN2at6native12_GLOBAL__N_18offset_tEEE10hipError_tPvRmT1_PNSt15iterator_traitsIS12_E10value_typeET2_T3_PNS13_IS18_E10value_typeET4_jRbjT5_S1E_jjP12ihipStream_tbEUljE_ZNSN_ISO_Lb1ESQ_SR_ST_SU_SY_EESZ_S10_S11_S12_S16_S17_S18_S1B_S1C_jS1D_jS1E_S1E_jjS1G_bEUljE0_EEESZ_S10_S11_S18_S1C_S1E_T6_T7_T9_mT8_S1G_bDpT10_ENKUlT_T0_E_clISt17integral_constantIbLb0EES1U_EEDaS1P_S1Q_EUlS1P_E_NS1_11comp_targetILNS1_3genE2ELNS1_11target_archE906ELNS1_3gpuE6ELNS1_3repE0EEENS1_30default_config_static_selectorELNS0_4arch9wavefront6targetE0EEEvS12_: ; @_ZN7rocprim17ROCPRIM_400000_NS6detail17trampoline_kernelINS0_13select_configILj256ELj13ELNS0_17block_load_methodE3ELS4_3ELS4_3ELNS0_20block_scan_algorithmE0ELj4294967295EEENS1_25partition_config_selectorILNS1_17partition_subalgoE4EjNS0_10empty_typeEbEEZZNS1_14partition_implILS8_4ELb0ES6_15HIP_vector_typeIjLj2EENS0_17counting_iteratorIjlEEPS9_SG_NS0_5tupleIJPjSI_NS0_16reverse_iteratorISI_EEEEENSH_IJSG_SG_SG_EEES9_SI_JZNS1_25segmented_radix_sort_implINS0_14default_configELb1EPKaPaPKlPlN2at6native12_GLOBAL__N_18offset_tEEE10hipError_tPvRmT1_PNSt15iterator_traitsIS12_E10value_typeET2_T3_PNS13_IS18_E10value_typeET4_jRbjT5_S1E_jjP12ihipStream_tbEUljE_ZNSN_ISO_Lb1ESQ_SR_ST_SU_SY_EESZ_S10_S11_S12_S16_S17_S18_S1B_S1C_jS1D_jS1E_S1E_jjS1G_bEUljE0_EEESZ_S10_S11_S18_S1C_S1E_T6_T7_T9_mT8_S1G_bDpT10_ENKUlT_T0_E_clISt17integral_constantIbLb0EES1U_EEDaS1P_S1Q_EUlS1P_E_NS1_11comp_targetILNS1_3genE2ELNS1_11target_archE906ELNS1_3gpuE6ELNS1_3repE0EEENS1_30default_config_static_selectorELNS0_4arch9wavefront6targetE0EEEvS12_
; %bb.0:
	.section	.rodata,"a",@progbits
	.p2align	6, 0x0
	.amdhsa_kernel _ZN7rocprim17ROCPRIM_400000_NS6detail17trampoline_kernelINS0_13select_configILj256ELj13ELNS0_17block_load_methodE3ELS4_3ELS4_3ELNS0_20block_scan_algorithmE0ELj4294967295EEENS1_25partition_config_selectorILNS1_17partition_subalgoE4EjNS0_10empty_typeEbEEZZNS1_14partition_implILS8_4ELb0ES6_15HIP_vector_typeIjLj2EENS0_17counting_iteratorIjlEEPS9_SG_NS0_5tupleIJPjSI_NS0_16reverse_iteratorISI_EEEEENSH_IJSG_SG_SG_EEES9_SI_JZNS1_25segmented_radix_sort_implINS0_14default_configELb1EPKaPaPKlPlN2at6native12_GLOBAL__N_18offset_tEEE10hipError_tPvRmT1_PNSt15iterator_traitsIS12_E10value_typeET2_T3_PNS13_IS18_E10value_typeET4_jRbjT5_S1E_jjP12ihipStream_tbEUljE_ZNSN_ISO_Lb1ESQ_SR_ST_SU_SY_EESZ_S10_S11_S12_S16_S17_S18_S1B_S1C_jS1D_jS1E_S1E_jjS1G_bEUljE0_EEESZ_S10_S11_S18_S1C_S1E_T6_T7_T9_mT8_S1G_bDpT10_ENKUlT_T0_E_clISt17integral_constantIbLb0EES1U_EEDaS1P_S1Q_EUlS1P_E_NS1_11comp_targetILNS1_3genE2ELNS1_11target_archE906ELNS1_3gpuE6ELNS1_3repE0EEENS1_30default_config_static_selectorELNS0_4arch9wavefront6targetE0EEEvS12_
		.amdhsa_group_segment_fixed_size 0
		.amdhsa_private_segment_fixed_size 0
		.amdhsa_kernarg_size 176
		.amdhsa_user_sgpr_count 2
		.amdhsa_user_sgpr_dispatch_ptr 0
		.amdhsa_user_sgpr_queue_ptr 0
		.amdhsa_user_sgpr_kernarg_segment_ptr 1
		.amdhsa_user_sgpr_dispatch_id 0
		.amdhsa_user_sgpr_kernarg_preload_length 0
		.amdhsa_user_sgpr_kernarg_preload_offset 0
		.amdhsa_user_sgpr_private_segment_size 0
		.amdhsa_wavefront_size32 1
		.amdhsa_uses_dynamic_stack 0
		.amdhsa_enable_private_segment 0
		.amdhsa_system_sgpr_workgroup_id_x 1
		.amdhsa_system_sgpr_workgroup_id_y 0
		.amdhsa_system_sgpr_workgroup_id_z 0
		.amdhsa_system_sgpr_workgroup_info 0
		.amdhsa_system_vgpr_workitem_id 0
		.amdhsa_next_free_vgpr 1
		.amdhsa_next_free_sgpr 1
		.amdhsa_named_barrier_count 0
		.amdhsa_reserve_vcc 0
		.amdhsa_float_round_mode_32 0
		.amdhsa_float_round_mode_16_64 0
		.amdhsa_float_denorm_mode_32 3
		.amdhsa_float_denorm_mode_16_64 3
		.amdhsa_fp16_overflow 0
		.amdhsa_memory_ordered 1
		.amdhsa_forward_progress 1
		.amdhsa_inst_pref_size 0
		.amdhsa_round_robin_scheduling 0
		.amdhsa_exception_fp_ieee_invalid_op 0
		.amdhsa_exception_fp_denorm_src 0
		.amdhsa_exception_fp_ieee_div_zero 0
		.amdhsa_exception_fp_ieee_overflow 0
		.amdhsa_exception_fp_ieee_underflow 0
		.amdhsa_exception_fp_ieee_inexact 0
		.amdhsa_exception_int_div_zero 0
	.end_amdhsa_kernel
	.section	.text._ZN7rocprim17ROCPRIM_400000_NS6detail17trampoline_kernelINS0_13select_configILj256ELj13ELNS0_17block_load_methodE3ELS4_3ELS4_3ELNS0_20block_scan_algorithmE0ELj4294967295EEENS1_25partition_config_selectorILNS1_17partition_subalgoE4EjNS0_10empty_typeEbEEZZNS1_14partition_implILS8_4ELb0ES6_15HIP_vector_typeIjLj2EENS0_17counting_iteratorIjlEEPS9_SG_NS0_5tupleIJPjSI_NS0_16reverse_iteratorISI_EEEEENSH_IJSG_SG_SG_EEES9_SI_JZNS1_25segmented_radix_sort_implINS0_14default_configELb1EPKaPaPKlPlN2at6native12_GLOBAL__N_18offset_tEEE10hipError_tPvRmT1_PNSt15iterator_traitsIS12_E10value_typeET2_T3_PNS13_IS18_E10value_typeET4_jRbjT5_S1E_jjP12ihipStream_tbEUljE_ZNSN_ISO_Lb1ESQ_SR_ST_SU_SY_EESZ_S10_S11_S12_S16_S17_S18_S1B_S1C_jS1D_jS1E_S1E_jjS1G_bEUljE0_EEESZ_S10_S11_S18_S1C_S1E_T6_T7_T9_mT8_S1G_bDpT10_ENKUlT_T0_E_clISt17integral_constantIbLb0EES1U_EEDaS1P_S1Q_EUlS1P_E_NS1_11comp_targetILNS1_3genE2ELNS1_11target_archE906ELNS1_3gpuE6ELNS1_3repE0EEENS1_30default_config_static_selectorELNS0_4arch9wavefront6targetE0EEEvS12_,"axG",@progbits,_ZN7rocprim17ROCPRIM_400000_NS6detail17trampoline_kernelINS0_13select_configILj256ELj13ELNS0_17block_load_methodE3ELS4_3ELS4_3ELNS0_20block_scan_algorithmE0ELj4294967295EEENS1_25partition_config_selectorILNS1_17partition_subalgoE4EjNS0_10empty_typeEbEEZZNS1_14partition_implILS8_4ELb0ES6_15HIP_vector_typeIjLj2EENS0_17counting_iteratorIjlEEPS9_SG_NS0_5tupleIJPjSI_NS0_16reverse_iteratorISI_EEEEENSH_IJSG_SG_SG_EEES9_SI_JZNS1_25segmented_radix_sort_implINS0_14default_configELb1EPKaPaPKlPlN2at6native12_GLOBAL__N_18offset_tEEE10hipError_tPvRmT1_PNSt15iterator_traitsIS12_E10value_typeET2_T3_PNS13_IS18_E10value_typeET4_jRbjT5_S1E_jjP12ihipStream_tbEUljE_ZNSN_ISO_Lb1ESQ_SR_ST_SU_SY_EESZ_S10_S11_S12_S16_S17_S18_S1B_S1C_jS1D_jS1E_S1E_jjS1G_bEUljE0_EEESZ_S10_S11_S18_S1C_S1E_T6_T7_T9_mT8_S1G_bDpT10_ENKUlT_T0_E_clISt17integral_constantIbLb0EES1U_EEDaS1P_S1Q_EUlS1P_E_NS1_11comp_targetILNS1_3genE2ELNS1_11target_archE906ELNS1_3gpuE6ELNS1_3repE0EEENS1_30default_config_static_selectorELNS0_4arch9wavefront6targetE0EEEvS12_,comdat
.Lfunc_end228:
	.size	_ZN7rocprim17ROCPRIM_400000_NS6detail17trampoline_kernelINS0_13select_configILj256ELj13ELNS0_17block_load_methodE3ELS4_3ELS4_3ELNS0_20block_scan_algorithmE0ELj4294967295EEENS1_25partition_config_selectorILNS1_17partition_subalgoE4EjNS0_10empty_typeEbEEZZNS1_14partition_implILS8_4ELb0ES6_15HIP_vector_typeIjLj2EENS0_17counting_iteratorIjlEEPS9_SG_NS0_5tupleIJPjSI_NS0_16reverse_iteratorISI_EEEEENSH_IJSG_SG_SG_EEES9_SI_JZNS1_25segmented_radix_sort_implINS0_14default_configELb1EPKaPaPKlPlN2at6native12_GLOBAL__N_18offset_tEEE10hipError_tPvRmT1_PNSt15iterator_traitsIS12_E10value_typeET2_T3_PNS13_IS18_E10value_typeET4_jRbjT5_S1E_jjP12ihipStream_tbEUljE_ZNSN_ISO_Lb1ESQ_SR_ST_SU_SY_EESZ_S10_S11_S12_S16_S17_S18_S1B_S1C_jS1D_jS1E_S1E_jjS1G_bEUljE0_EEESZ_S10_S11_S18_S1C_S1E_T6_T7_T9_mT8_S1G_bDpT10_ENKUlT_T0_E_clISt17integral_constantIbLb0EES1U_EEDaS1P_S1Q_EUlS1P_E_NS1_11comp_targetILNS1_3genE2ELNS1_11target_archE906ELNS1_3gpuE6ELNS1_3repE0EEENS1_30default_config_static_selectorELNS0_4arch9wavefront6targetE0EEEvS12_, .Lfunc_end228-_ZN7rocprim17ROCPRIM_400000_NS6detail17trampoline_kernelINS0_13select_configILj256ELj13ELNS0_17block_load_methodE3ELS4_3ELS4_3ELNS0_20block_scan_algorithmE0ELj4294967295EEENS1_25partition_config_selectorILNS1_17partition_subalgoE4EjNS0_10empty_typeEbEEZZNS1_14partition_implILS8_4ELb0ES6_15HIP_vector_typeIjLj2EENS0_17counting_iteratorIjlEEPS9_SG_NS0_5tupleIJPjSI_NS0_16reverse_iteratorISI_EEEEENSH_IJSG_SG_SG_EEES9_SI_JZNS1_25segmented_radix_sort_implINS0_14default_configELb1EPKaPaPKlPlN2at6native12_GLOBAL__N_18offset_tEEE10hipError_tPvRmT1_PNSt15iterator_traitsIS12_E10value_typeET2_T3_PNS13_IS18_E10value_typeET4_jRbjT5_S1E_jjP12ihipStream_tbEUljE_ZNSN_ISO_Lb1ESQ_SR_ST_SU_SY_EESZ_S10_S11_S12_S16_S17_S18_S1B_S1C_jS1D_jS1E_S1E_jjS1G_bEUljE0_EEESZ_S10_S11_S18_S1C_S1E_T6_T7_T9_mT8_S1G_bDpT10_ENKUlT_T0_E_clISt17integral_constantIbLb0EES1U_EEDaS1P_S1Q_EUlS1P_E_NS1_11comp_targetILNS1_3genE2ELNS1_11target_archE906ELNS1_3gpuE6ELNS1_3repE0EEENS1_30default_config_static_selectorELNS0_4arch9wavefront6targetE0EEEvS12_
                                        ; -- End function
	.set _ZN7rocprim17ROCPRIM_400000_NS6detail17trampoline_kernelINS0_13select_configILj256ELj13ELNS0_17block_load_methodE3ELS4_3ELS4_3ELNS0_20block_scan_algorithmE0ELj4294967295EEENS1_25partition_config_selectorILNS1_17partition_subalgoE4EjNS0_10empty_typeEbEEZZNS1_14partition_implILS8_4ELb0ES6_15HIP_vector_typeIjLj2EENS0_17counting_iteratorIjlEEPS9_SG_NS0_5tupleIJPjSI_NS0_16reverse_iteratorISI_EEEEENSH_IJSG_SG_SG_EEES9_SI_JZNS1_25segmented_radix_sort_implINS0_14default_configELb1EPKaPaPKlPlN2at6native12_GLOBAL__N_18offset_tEEE10hipError_tPvRmT1_PNSt15iterator_traitsIS12_E10value_typeET2_T3_PNS13_IS18_E10value_typeET4_jRbjT5_S1E_jjP12ihipStream_tbEUljE_ZNSN_ISO_Lb1ESQ_SR_ST_SU_SY_EESZ_S10_S11_S12_S16_S17_S18_S1B_S1C_jS1D_jS1E_S1E_jjS1G_bEUljE0_EEESZ_S10_S11_S18_S1C_S1E_T6_T7_T9_mT8_S1G_bDpT10_ENKUlT_T0_E_clISt17integral_constantIbLb0EES1U_EEDaS1P_S1Q_EUlS1P_E_NS1_11comp_targetILNS1_3genE2ELNS1_11target_archE906ELNS1_3gpuE6ELNS1_3repE0EEENS1_30default_config_static_selectorELNS0_4arch9wavefront6targetE0EEEvS12_.num_vgpr, 0
	.set _ZN7rocprim17ROCPRIM_400000_NS6detail17trampoline_kernelINS0_13select_configILj256ELj13ELNS0_17block_load_methodE3ELS4_3ELS4_3ELNS0_20block_scan_algorithmE0ELj4294967295EEENS1_25partition_config_selectorILNS1_17partition_subalgoE4EjNS0_10empty_typeEbEEZZNS1_14partition_implILS8_4ELb0ES6_15HIP_vector_typeIjLj2EENS0_17counting_iteratorIjlEEPS9_SG_NS0_5tupleIJPjSI_NS0_16reverse_iteratorISI_EEEEENSH_IJSG_SG_SG_EEES9_SI_JZNS1_25segmented_radix_sort_implINS0_14default_configELb1EPKaPaPKlPlN2at6native12_GLOBAL__N_18offset_tEEE10hipError_tPvRmT1_PNSt15iterator_traitsIS12_E10value_typeET2_T3_PNS13_IS18_E10value_typeET4_jRbjT5_S1E_jjP12ihipStream_tbEUljE_ZNSN_ISO_Lb1ESQ_SR_ST_SU_SY_EESZ_S10_S11_S12_S16_S17_S18_S1B_S1C_jS1D_jS1E_S1E_jjS1G_bEUljE0_EEESZ_S10_S11_S18_S1C_S1E_T6_T7_T9_mT8_S1G_bDpT10_ENKUlT_T0_E_clISt17integral_constantIbLb0EES1U_EEDaS1P_S1Q_EUlS1P_E_NS1_11comp_targetILNS1_3genE2ELNS1_11target_archE906ELNS1_3gpuE6ELNS1_3repE0EEENS1_30default_config_static_selectorELNS0_4arch9wavefront6targetE0EEEvS12_.num_agpr, 0
	.set _ZN7rocprim17ROCPRIM_400000_NS6detail17trampoline_kernelINS0_13select_configILj256ELj13ELNS0_17block_load_methodE3ELS4_3ELS4_3ELNS0_20block_scan_algorithmE0ELj4294967295EEENS1_25partition_config_selectorILNS1_17partition_subalgoE4EjNS0_10empty_typeEbEEZZNS1_14partition_implILS8_4ELb0ES6_15HIP_vector_typeIjLj2EENS0_17counting_iteratorIjlEEPS9_SG_NS0_5tupleIJPjSI_NS0_16reverse_iteratorISI_EEEEENSH_IJSG_SG_SG_EEES9_SI_JZNS1_25segmented_radix_sort_implINS0_14default_configELb1EPKaPaPKlPlN2at6native12_GLOBAL__N_18offset_tEEE10hipError_tPvRmT1_PNSt15iterator_traitsIS12_E10value_typeET2_T3_PNS13_IS18_E10value_typeET4_jRbjT5_S1E_jjP12ihipStream_tbEUljE_ZNSN_ISO_Lb1ESQ_SR_ST_SU_SY_EESZ_S10_S11_S12_S16_S17_S18_S1B_S1C_jS1D_jS1E_S1E_jjS1G_bEUljE0_EEESZ_S10_S11_S18_S1C_S1E_T6_T7_T9_mT8_S1G_bDpT10_ENKUlT_T0_E_clISt17integral_constantIbLb0EES1U_EEDaS1P_S1Q_EUlS1P_E_NS1_11comp_targetILNS1_3genE2ELNS1_11target_archE906ELNS1_3gpuE6ELNS1_3repE0EEENS1_30default_config_static_selectorELNS0_4arch9wavefront6targetE0EEEvS12_.numbered_sgpr, 0
	.set _ZN7rocprim17ROCPRIM_400000_NS6detail17trampoline_kernelINS0_13select_configILj256ELj13ELNS0_17block_load_methodE3ELS4_3ELS4_3ELNS0_20block_scan_algorithmE0ELj4294967295EEENS1_25partition_config_selectorILNS1_17partition_subalgoE4EjNS0_10empty_typeEbEEZZNS1_14partition_implILS8_4ELb0ES6_15HIP_vector_typeIjLj2EENS0_17counting_iteratorIjlEEPS9_SG_NS0_5tupleIJPjSI_NS0_16reverse_iteratorISI_EEEEENSH_IJSG_SG_SG_EEES9_SI_JZNS1_25segmented_radix_sort_implINS0_14default_configELb1EPKaPaPKlPlN2at6native12_GLOBAL__N_18offset_tEEE10hipError_tPvRmT1_PNSt15iterator_traitsIS12_E10value_typeET2_T3_PNS13_IS18_E10value_typeET4_jRbjT5_S1E_jjP12ihipStream_tbEUljE_ZNSN_ISO_Lb1ESQ_SR_ST_SU_SY_EESZ_S10_S11_S12_S16_S17_S18_S1B_S1C_jS1D_jS1E_S1E_jjS1G_bEUljE0_EEESZ_S10_S11_S18_S1C_S1E_T6_T7_T9_mT8_S1G_bDpT10_ENKUlT_T0_E_clISt17integral_constantIbLb0EES1U_EEDaS1P_S1Q_EUlS1P_E_NS1_11comp_targetILNS1_3genE2ELNS1_11target_archE906ELNS1_3gpuE6ELNS1_3repE0EEENS1_30default_config_static_selectorELNS0_4arch9wavefront6targetE0EEEvS12_.num_named_barrier, 0
	.set _ZN7rocprim17ROCPRIM_400000_NS6detail17trampoline_kernelINS0_13select_configILj256ELj13ELNS0_17block_load_methodE3ELS4_3ELS4_3ELNS0_20block_scan_algorithmE0ELj4294967295EEENS1_25partition_config_selectorILNS1_17partition_subalgoE4EjNS0_10empty_typeEbEEZZNS1_14partition_implILS8_4ELb0ES6_15HIP_vector_typeIjLj2EENS0_17counting_iteratorIjlEEPS9_SG_NS0_5tupleIJPjSI_NS0_16reverse_iteratorISI_EEEEENSH_IJSG_SG_SG_EEES9_SI_JZNS1_25segmented_radix_sort_implINS0_14default_configELb1EPKaPaPKlPlN2at6native12_GLOBAL__N_18offset_tEEE10hipError_tPvRmT1_PNSt15iterator_traitsIS12_E10value_typeET2_T3_PNS13_IS18_E10value_typeET4_jRbjT5_S1E_jjP12ihipStream_tbEUljE_ZNSN_ISO_Lb1ESQ_SR_ST_SU_SY_EESZ_S10_S11_S12_S16_S17_S18_S1B_S1C_jS1D_jS1E_S1E_jjS1G_bEUljE0_EEESZ_S10_S11_S18_S1C_S1E_T6_T7_T9_mT8_S1G_bDpT10_ENKUlT_T0_E_clISt17integral_constantIbLb0EES1U_EEDaS1P_S1Q_EUlS1P_E_NS1_11comp_targetILNS1_3genE2ELNS1_11target_archE906ELNS1_3gpuE6ELNS1_3repE0EEENS1_30default_config_static_selectorELNS0_4arch9wavefront6targetE0EEEvS12_.private_seg_size, 0
	.set _ZN7rocprim17ROCPRIM_400000_NS6detail17trampoline_kernelINS0_13select_configILj256ELj13ELNS0_17block_load_methodE3ELS4_3ELS4_3ELNS0_20block_scan_algorithmE0ELj4294967295EEENS1_25partition_config_selectorILNS1_17partition_subalgoE4EjNS0_10empty_typeEbEEZZNS1_14partition_implILS8_4ELb0ES6_15HIP_vector_typeIjLj2EENS0_17counting_iteratorIjlEEPS9_SG_NS0_5tupleIJPjSI_NS0_16reverse_iteratorISI_EEEEENSH_IJSG_SG_SG_EEES9_SI_JZNS1_25segmented_radix_sort_implINS0_14default_configELb1EPKaPaPKlPlN2at6native12_GLOBAL__N_18offset_tEEE10hipError_tPvRmT1_PNSt15iterator_traitsIS12_E10value_typeET2_T3_PNS13_IS18_E10value_typeET4_jRbjT5_S1E_jjP12ihipStream_tbEUljE_ZNSN_ISO_Lb1ESQ_SR_ST_SU_SY_EESZ_S10_S11_S12_S16_S17_S18_S1B_S1C_jS1D_jS1E_S1E_jjS1G_bEUljE0_EEESZ_S10_S11_S18_S1C_S1E_T6_T7_T9_mT8_S1G_bDpT10_ENKUlT_T0_E_clISt17integral_constantIbLb0EES1U_EEDaS1P_S1Q_EUlS1P_E_NS1_11comp_targetILNS1_3genE2ELNS1_11target_archE906ELNS1_3gpuE6ELNS1_3repE0EEENS1_30default_config_static_selectorELNS0_4arch9wavefront6targetE0EEEvS12_.uses_vcc, 0
	.set _ZN7rocprim17ROCPRIM_400000_NS6detail17trampoline_kernelINS0_13select_configILj256ELj13ELNS0_17block_load_methodE3ELS4_3ELS4_3ELNS0_20block_scan_algorithmE0ELj4294967295EEENS1_25partition_config_selectorILNS1_17partition_subalgoE4EjNS0_10empty_typeEbEEZZNS1_14partition_implILS8_4ELb0ES6_15HIP_vector_typeIjLj2EENS0_17counting_iteratorIjlEEPS9_SG_NS0_5tupleIJPjSI_NS0_16reverse_iteratorISI_EEEEENSH_IJSG_SG_SG_EEES9_SI_JZNS1_25segmented_radix_sort_implINS0_14default_configELb1EPKaPaPKlPlN2at6native12_GLOBAL__N_18offset_tEEE10hipError_tPvRmT1_PNSt15iterator_traitsIS12_E10value_typeET2_T3_PNS13_IS18_E10value_typeET4_jRbjT5_S1E_jjP12ihipStream_tbEUljE_ZNSN_ISO_Lb1ESQ_SR_ST_SU_SY_EESZ_S10_S11_S12_S16_S17_S18_S1B_S1C_jS1D_jS1E_S1E_jjS1G_bEUljE0_EEESZ_S10_S11_S18_S1C_S1E_T6_T7_T9_mT8_S1G_bDpT10_ENKUlT_T0_E_clISt17integral_constantIbLb0EES1U_EEDaS1P_S1Q_EUlS1P_E_NS1_11comp_targetILNS1_3genE2ELNS1_11target_archE906ELNS1_3gpuE6ELNS1_3repE0EEENS1_30default_config_static_selectorELNS0_4arch9wavefront6targetE0EEEvS12_.uses_flat_scratch, 0
	.set _ZN7rocprim17ROCPRIM_400000_NS6detail17trampoline_kernelINS0_13select_configILj256ELj13ELNS0_17block_load_methodE3ELS4_3ELS4_3ELNS0_20block_scan_algorithmE0ELj4294967295EEENS1_25partition_config_selectorILNS1_17partition_subalgoE4EjNS0_10empty_typeEbEEZZNS1_14partition_implILS8_4ELb0ES6_15HIP_vector_typeIjLj2EENS0_17counting_iteratorIjlEEPS9_SG_NS0_5tupleIJPjSI_NS0_16reverse_iteratorISI_EEEEENSH_IJSG_SG_SG_EEES9_SI_JZNS1_25segmented_radix_sort_implINS0_14default_configELb1EPKaPaPKlPlN2at6native12_GLOBAL__N_18offset_tEEE10hipError_tPvRmT1_PNSt15iterator_traitsIS12_E10value_typeET2_T3_PNS13_IS18_E10value_typeET4_jRbjT5_S1E_jjP12ihipStream_tbEUljE_ZNSN_ISO_Lb1ESQ_SR_ST_SU_SY_EESZ_S10_S11_S12_S16_S17_S18_S1B_S1C_jS1D_jS1E_S1E_jjS1G_bEUljE0_EEESZ_S10_S11_S18_S1C_S1E_T6_T7_T9_mT8_S1G_bDpT10_ENKUlT_T0_E_clISt17integral_constantIbLb0EES1U_EEDaS1P_S1Q_EUlS1P_E_NS1_11comp_targetILNS1_3genE2ELNS1_11target_archE906ELNS1_3gpuE6ELNS1_3repE0EEENS1_30default_config_static_selectorELNS0_4arch9wavefront6targetE0EEEvS12_.has_dyn_sized_stack, 0
	.set _ZN7rocprim17ROCPRIM_400000_NS6detail17trampoline_kernelINS0_13select_configILj256ELj13ELNS0_17block_load_methodE3ELS4_3ELS4_3ELNS0_20block_scan_algorithmE0ELj4294967295EEENS1_25partition_config_selectorILNS1_17partition_subalgoE4EjNS0_10empty_typeEbEEZZNS1_14partition_implILS8_4ELb0ES6_15HIP_vector_typeIjLj2EENS0_17counting_iteratorIjlEEPS9_SG_NS0_5tupleIJPjSI_NS0_16reverse_iteratorISI_EEEEENSH_IJSG_SG_SG_EEES9_SI_JZNS1_25segmented_radix_sort_implINS0_14default_configELb1EPKaPaPKlPlN2at6native12_GLOBAL__N_18offset_tEEE10hipError_tPvRmT1_PNSt15iterator_traitsIS12_E10value_typeET2_T3_PNS13_IS18_E10value_typeET4_jRbjT5_S1E_jjP12ihipStream_tbEUljE_ZNSN_ISO_Lb1ESQ_SR_ST_SU_SY_EESZ_S10_S11_S12_S16_S17_S18_S1B_S1C_jS1D_jS1E_S1E_jjS1G_bEUljE0_EEESZ_S10_S11_S18_S1C_S1E_T6_T7_T9_mT8_S1G_bDpT10_ENKUlT_T0_E_clISt17integral_constantIbLb0EES1U_EEDaS1P_S1Q_EUlS1P_E_NS1_11comp_targetILNS1_3genE2ELNS1_11target_archE906ELNS1_3gpuE6ELNS1_3repE0EEENS1_30default_config_static_selectorELNS0_4arch9wavefront6targetE0EEEvS12_.has_recursion, 0
	.set _ZN7rocprim17ROCPRIM_400000_NS6detail17trampoline_kernelINS0_13select_configILj256ELj13ELNS0_17block_load_methodE3ELS4_3ELS4_3ELNS0_20block_scan_algorithmE0ELj4294967295EEENS1_25partition_config_selectorILNS1_17partition_subalgoE4EjNS0_10empty_typeEbEEZZNS1_14partition_implILS8_4ELb0ES6_15HIP_vector_typeIjLj2EENS0_17counting_iteratorIjlEEPS9_SG_NS0_5tupleIJPjSI_NS0_16reverse_iteratorISI_EEEEENSH_IJSG_SG_SG_EEES9_SI_JZNS1_25segmented_radix_sort_implINS0_14default_configELb1EPKaPaPKlPlN2at6native12_GLOBAL__N_18offset_tEEE10hipError_tPvRmT1_PNSt15iterator_traitsIS12_E10value_typeET2_T3_PNS13_IS18_E10value_typeET4_jRbjT5_S1E_jjP12ihipStream_tbEUljE_ZNSN_ISO_Lb1ESQ_SR_ST_SU_SY_EESZ_S10_S11_S12_S16_S17_S18_S1B_S1C_jS1D_jS1E_S1E_jjS1G_bEUljE0_EEESZ_S10_S11_S18_S1C_S1E_T6_T7_T9_mT8_S1G_bDpT10_ENKUlT_T0_E_clISt17integral_constantIbLb0EES1U_EEDaS1P_S1Q_EUlS1P_E_NS1_11comp_targetILNS1_3genE2ELNS1_11target_archE906ELNS1_3gpuE6ELNS1_3repE0EEENS1_30default_config_static_selectorELNS0_4arch9wavefront6targetE0EEEvS12_.has_indirect_call, 0
	.section	.AMDGPU.csdata,"",@progbits
; Kernel info:
; codeLenInByte = 0
; TotalNumSgprs: 0
; NumVgprs: 0
; ScratchSize: 0
; MemoryBound: 0
; FloatMode: 240
; IeeeMode: 1
; LDSByteSize: 0 bytes/workgroup (compile time only)
; SGPRBlocks: 0
; VGPRBlocks: 0
; NumSGPRsForWavesPerEU: 1
; NumVGPRsForWavesPerEU: 1
; NamedBarCnt: 0
; Occupancy: 16
; WaveLimiterHint : 0
; COMPUTE_PGM_RSRC2:SCRATCH_EN: 0
; COMPUTE_PGM_RSRC2:USER_SGPR: 2
; COMPUTE_PGM_RSRC2:TRAP_HANDLER: 0
; COMPUTE_PGM_RSRC2:TGID_X_EN: 1
; COMPUTE_PGM_RSRC2:TGID_Y_EN: 0
; COMPUTE_PGM_RSRC2:TGID_Z_EN: 0
; COMPUTE_PGM_RSRC2:TIDIG_COMP_CNT: 0
	.section	.text._ZN7rocprim17ROCPRIM_400000_NS6detail17trampoline_kernelINS0_13select_configILj256ELj13ELNS0_17block_load_methodE3ELS4_3ELS4_3ELNS0_20block_scan_algorithmE0ELj4294967295EEENS1_25partition_config_selectorILNS1_17partition_subalgoE4EjNS0_10empty_typeEbEEZZNS1_14partition_implILS8_4ELb0ES6_15HIP_vector_typeIjLj2EENS0_17counting_iteratorIjlEEPS9_SG_NS0_5tupleIJPjSI_NS0_16reverse_iteratorISI_EEEEENSH_IJSG_SG_SG_EEES9_SI_JZNS1_25segmented_radix_sort_implINS0_14default_configELb1EPKaPaPKlPlN2at6native12_GLOBAL__N_18offset_tEEE10hipError_tPvRmT1_PNSt15iterator_traitsIS12_E10value_typeET2_T3_PNS13_IS18_E10value_typeET4_jRbjT5_S1E_jjP12ihipStream_tbEUljE_ZNSN_ISO_Lb1ESQ_SR_ST_SU_SY_EESZ_S10_S11_S12_S16_S17_S18_S1B_S1C_jS1D_jS1E_S1E_jjS1G_bEUljE0_EEESZ_S10_S11_S18_S1C_S1E_T6_T7_T9_mT8_S1G_bDpT10_ENKUlT_T0_E_clISt17integral_constantIbLb0EES1U_EEDaS1P_S1Q_EUlS1P_E_NS1_11comp_targetILNS1_3genE10ELNS1_11target_archE1200ELNS1_3gpuE4ELNS1_3repE0EEENS1_30default_config_static_selectorELNS0_4arch9wavefront6targetE0EEEvS12_,"axG",@progbits,_ZN7rocprim17ROCPRIM_400000_NS6detail17trampoline_kernelINS0_13select_configILj256ELj13ELNS0_17block_load_methodE3ELS4_3ELS4_3ELNS0_20block_scan_algorithmE0ELj4294967295EEENS1_25partition_config_selectorILNS1_17partition_subalgoE4EjNS0_10empty_typeEbEEZZNS1_14partition_implILS8_4ELb0ES6_15HIP_vector_typeIjLj2EENS0_17counting_iteratorIjlEEPS9_SG_NS0_5tupleIJPjSI_NS0_16reverse_iteratorISI_EEEEENSH_IJSG_SG_SG_EEES9_SI_JZNS1_25segmented_radix_sort_implINS0_14default_configELb1EPKaPaPKlPlN2at6native12_GLOBAL__N_18offset_tEEE10hipError_tPvRmT1_PNSt15iterator_traitsIS12_E10value_typeET2_T3_PNS13_IS18_E10value_typeET4_jRbjT5_S1E_jjP12ihipStream_tbEUljE_ZNSN_ISO_Lb1ESQ_SR_ST_SU_SY_EESZ_S10_S11_S12_S16_S17_S18_S1B_S1C_jS1D_jS1E_S1E_jjS1G_bEUljE0_EEESZ_S10_S11_S18_S1C_S1E_T6_T7_T9_mT8_S1G_bDpT10_ENKUlT_T0_E_clISt17integral_constantIbLb0EES1U_EEDaS1P_S1Q_EUlS1P_E_NS1_11comp_targetILNS1_3genE10ELNS1_11target_archE1200ELNS1_3gpuE4ELNS1_3repE0EEENS1_30default_config_static_selectorELNS0_4arch9wavefront6targetE0EEEvS12_,comdat
	.globl	_ZN7rocprim17ROCPRIM_400000_NS6detail17trampoline_kernelINS0_13select_configILj256ELj13ELNS0_17block_load_methodE3ELS4_3ELS4_3ELNS0_20block_scan_algorithmE0ELj4294967295EEENS1_25partition_config_selectorILNS1_17partition_subalgoE4EjNS0_10empty_typeEbEEZZNS1_14partition_implILS8_4ELb0ES6_15HIP_vector_typeIjLj2EENS0_17counting_iteratorIjlEEPS9_SG_NS0_5tupleIJPjSI_NS0_16reverse_iteratorISI_EEEEENSH_IJSG_SG_SG_EEES9_SI_JZNS1_25segmented_radix_sort_implINS0_14default_configELb1EPKaPaPKlPlN2at6native12_GLOBAL__N_18offset_tEEE10hipError_tPvRmT1_PNSt15iterator_traitsIS12_E10value_typeET2_T3_PNS13_IS18_E10value_typeET4_jRbjT5_S1E_jjP12ihipStream_tbEUljE_ZNSN_ISO_Lb1ESQ_SR_ST_SU_SY_EESZ_S10_S11_S12_S16_S17_S18_S1B_S1C_jS1D_jS1E_S1E_jjS1G_bEUljE0_EEESZ_S10_S11_S18_S1C_S1E_T6_T7_T9_mT8_S1G_bDpT10_ENKUlT_T0_E_clISt17integral_constantIbLb0EES1U_EEDaS1P_S1Q_EUlS1P_E_NS1_11comp_targetILNS1_3genE10ELNS1_11target_archE1200ELNS1_3gpuE4ELNS1_3repE0EEENS1_30default_config_static_selectorELNS0_4arch9wavefront6targetE0EEEvS12_ ; -- Begin function _ZN7rocprim17ROCPRIM_400000_NS6detail17trampoline_kernelINS0_13select_configILj256ELj13ELNS0_17block_load_methodE3ELS4_3ELS4_3ELNS0_20block_scan_algorithmE0ELj4294967295EEENS1_25partition_config_selectorILNS1_17partition_subalgoE4EjNS0_10empty_typeEbEEZZNS1_14partition_implILS8_4ELb0ES6_15HIP_vector_typeIjLj2EENS0_17counting_iteratorIjlEEPS9_SG_NS0_5tupleIJPjSI_NS0_16reverse_iteratorISI_EEEEENSH_IJSG_SG_SG_EEES9_SI_JZNS1_25segmented_radix_sort_implINS0_14default_configELb1EPKaPaPKlPlN2at6native12_GLOBAL__N_18offset_tEEE10hipError_tPvRmT1_PNSt15iterator_traitsIS12_E10value_typeET2_T3_PNS13_IS18_E10value_typeET4_jRbjT5_S1E_jjP12ihipStream_tbEUljE_ZNSN_ISO_Lb1ESQ_SR_ST_SU_SY_EESZ_S10_S11_S12_S16_S17_S18_S1B_S1C_jS1D_jS1E_S1E_jjS1G_bEUljE0_EEESZ_S10_S11_S18_S1C_S1E_T6_T7_T9_mT8_S1G_bDpT10_ENKUlT_T0_E_clISt17integral_constantIbLb0EES1U_EEDaS1P_S1Q_EUlS1P_E_NS1_11comp_targetILNS1_3genE10ELNS1_11target_archE1200ELNS1_3gpuE4ELNS1_3repE0EEENS1_30default_config_static_selectorELNS0_4arch9wavefront6targetE0EEEvS12_
	.p2align	8
	.type	_ZN7rocprim17ROCPRIM_400000_NS6detail17trampoline_kernelINS0_13select_configILj256ELj13ELNS0_17block_load_methodE3ELS4_3ELS4_3ELNS0_20block_scan_algorithmE0ELj4294967295EEENS1_25partition_config_selectorILNS1_17partition_subalgoE4EjNS0_10empty_typeEbEEZZNS1_14partition_implILS8_4ELb0ES6_15HIP_vector_typeIjLj2EENS0_17counting_iteratorIjlEEPS9_SG_NS0_5tupleIJPjSI_NS0_16reverse_iteratorISI_EEEEENSH_IJSG_SG_SG_EEES9_SI_JZNS1_25segmented_radix_sort_implINS0_14default_configELb1EPKaPaPKlPlN2at6native12_GLOBAL__N_18offset_tEEE10hipError_tPvRmT1_PNSt15iterator_traitsIS12_E10value_typeET2_T3_PNS13_IS18_E10value_typeET4_jRbjT5_S1E_jjP12ihipStream_tbEUljE_ZNSN_ISO_Lb1ESQ_SR_ST_SU_SY_EESZ_S10_S11_S12_S16_S17_S18_S1B_S1C_jS1D_jS1E_S1E_jjS1G_bEUljE0_EEESZ_S10_S11_S18_S1C_S1E_T6_T7_T9_mT8_S1G_bDpT10_ENKUlT_T0_E_clISt17integral_constantIbLb0EES1U_EEDaS1P_S1Q_EUlS1P_E_NS1_11comp_targetILNS1_3genE10ELNS1_11target_archE1200ELNS1_3gpuE4ELNS1_3repE0EEENS1_30default_config_static_selectorELNS0_4arch9wavefront6targetE0EEEvS12_,@function
_ZN7rocprim17ROCPRIM_400000_NS6detail17trampoline_kernelINS0_13select_configILj256ELj13ELNS0_17block_load_methodE3ELS4_3ELS4_3ELNS0_20block_scan_algorithmE0ELj4294967295EEENS1_25partition_config_selectorILNS1_17partition_subalgoE4EjNS0_10empty_typeEbEEZZNS1_14partition_implILS8_4ELb0ES6_15HIP_vector_typeIjLj2EENS0_17counting_iteratorIjlEEPS9_SG_NS0_5tupleIJPjSI_NS0_16reverse_iteratorISI_EEEEENSH_IJSG_SG_SG_EEES9_SI_JZNS1_25segmented_radix_sort_implINS0_14default_configELb1EPKaPaPKlPlN2at6native12_GLOBAL__N_18offset_tEEE10hipError_tPvRmT1_PNSt15iterator_traitsIS12_E10value_typeET2_T3_PNS13_IS18_E10value_typeET4_jRbjT5_S1E_jjP12ihipStream_tbEUljE_ZNSN_ISO_Lb1ESQ_SR_ST_SU_SY_EESZ_S10_S11_S12_S16_S17_S18_S1B_S1C_jS1D_jS1E_S1E_jjS1G_bEUljE0_EEESZ_S10_S11_S18_S1C_S1E_T6_T7_T9_mT8_S1G_bDpT10_ENKUlT_T0_E_clISt17integral_constantIbLb0EES1U_EEDaS1P_S1Q_EUlS1P_E_NS1_11comp_targetILNS1_3genE10ELNS1_11target_archE1200ELNS1_3gpuE4ELNS1_3repE0EEENS1_30default_config_static_selectorELNS0_4arch9wavefront6targetE0EEEvS12_: ; @_ZN7rocprim17ROCPRIM_400000_NS6detail17trampoline_kernelINS0_13select_configILj256ELj13ELNS0_17block_load_methodE3ELS4_3ELS4_3ELNS0_20block_scan_algorithmE0ELj4294967295EEENS1_25partition_config_selectorILNS1_17partition_subalgoE4EjNS0_10empty_typeEbEEZZNS1_14partition_implILS8_4ELb0ES6_15HIP_vector_typeIjLj2EENS0_17counting_iteratorIjlEEPS9_SG_NS0_5tupleIJPjSI_NS0_16reverse_iteratorISI_EEEEENSH_IJSG_SG_SG_EEES9_SI_JZNS1_25segmented_radix_sort_implINS0_14default_configELb1EPKaPaPKlPlN2at6native12_GLOBAL__N_18offset_tEEE10hipError_tPvRmT1_PNSt15iterator_traitsIS12_E10value_typeET2_T3_PNS13_IS18_E10value_typeET4_jRbjT5_S1E_jjP12ihipStream_tbEUljE_ZNSN_ISO_Lb1ESQ_SR_ST_SU_SY_EESZ_S10_S11_S12_S16_S17_S18_S1B_S1C_jS1D_jS1E_S1E_jjS1G_bEUljE0_EEESZ_S10_S11_S18_S1C_S1E_T6_T7_T9_mT8_S1G_bDpT10_ENKUlT_T0_E_clISt17integral_constantIbLb0EES1U_EEDaS1P_S1Q_EUlS1P_E_NS1_11comp_targetILNS1_3genE10ELNS1_11target_archE1200ELNS1_3gpuE4ELNS1_3repE0EEENS1_30default_config_static_selectorELNS0_4arch9wavefront6targetE0EEEvS12_
; %bb.0:
	.section	.rodata,"a",@progbits
	.p2align	6, 0x0
	.amdhsa_kernel _ZN7rocprim17ROCPRIM_400000_NS6detail17trampoline_kernelINS0_13select_configILj256ELj13ELNS0_17block_load_methodE3ELS4_3ELS4_3ELNS0_20block_scan_algorithmE0ELj4294967295EEENS1_25partition_config_selectorILNS1_17partition_subalgoE4EjNS0_10empty_typeEbEEZZNS1_14partition_implILS8_4ELb0ES6_15HIP_vector_typeIjLj2EENS0_17counting_iteratorIjlEEPS9_SG_NS0_5tupleIJPjSI_NS0_16reverse_iteratorISI_EEEEENSH_IJSG_SG_SG_EEES9_SI_JZNS1_25segmented_radix_sort_implINS0_14default_configELb1EPKaPaPKlPlN2at6native12_GLOBAL__N_18offset_tEEE10hipError_tPvRmT1_PNSt15iterator_traitsIS12_E10value_typeET2_T3_PNS13_IS18_E10value_typeET4_jRbjT5_S1E_jjP12ihipStream_tbEUljE_ZNSN_ISO_Lb1ESQ_SR_ST_SU_SY_EESZ_S10_S11_S12_S16_S17_S18_S1B_S1C_jS1D_jS1E_S1E_jjS1G_bEUljE0_EEESZ_S10_S11_S18_S1C_S1E_T6_T7_T9_mT8_S1G_bDpT10_ENKUlT_T0_E_clISt17integral_constantIbLb0EES1U_EEDaS1P_S1Q_EUlS1P_E_NS1_11comp_targetILNS1_3genE10ELNS1_11target_archE1200ELNS1_3gpuE4ELNS1_3repE0EEENS1_30default_config_static_selectorELNS0_4arch9wavefront6targetE0EEEvS12_
		.amdhsa_group_segment_fixed_size 0
		.amdhsa_private_segment_fixed_size 0
		.amdhsa_kernarg_size 176
		.amdhsa_user_sgpr_count 2
		.amdhsa_user_sgpr_dispatch_ptr 0
		.amdhsa_user_sgpr_queue_ptr 0
		.amdhsa_user_sgpr_kernarg_segment_ptr 1
		.amdhsa_user_sgpr_dispatch_id 0
		.amdhsa_user_sgpr_kernarg_preload_length 0
		.amdhsa_user_sgpr_kernarg_preload_offset 0
		.amdhsa_user_sgpr_private_segment_size 0
		.amdhsa_wavefront_size32 1
		.amdhsa_uses_dynamic_stack 0
		.amdhsa_enable_private_segment 0
		.amdhsa_system_sgpr_workgroup_id_x 1
		.amdhsa_system_sgpr_workgroup_id_y 0
		.amdhsa_system_sgpr_workgroup_id_z 0
		.amdhsa_system_sgpr_workgroup_info 0
		.amdhsa_system_vgpr_workitem_id 0
		.amdhsa_next_free_vgpr 1
		.amdhsa_next_free_sgpr 1
		.amdhsa_named_barrier_count 0
		.amdhsa_reserve_vcc 0
		.amdhsa_float_round_mode_32 0
		.amdhsa_float_round_mode_16_64 0
		.amdhsa_float_denorm_mode_32 3
		.amdhsa_float_denorm_mode_16_64 3
		.amdhsa_fp16_overflow 0
		.amdhsa_memory_ordered 1
		.amdhsa_forward_progress 1
		.amdhsa_inst_pref_size 0
		.amdhsa_round_robin_scheduling 0
		.amdhsa_exception_fp_ieee_invalid_op 0
		.amdhsa_exception_fp_denorm_src 0
		.amdhsa_exception_fp_ieee_div_zero 0
		.amdhsa_exception_fp_ieee_overflow 0
		.amdhsa_exception_fp_ieee_underflow 0
		.amdhsa_exception_fp_ieee_inexact 0
		.amdhsa_exception_int_div_zero 0
	.end_amdhsa_kernel
	.section	.text._ZN7rocprim17ROCPRIM_400000_NS6detail17trampoline_kernelINS0_13select_configILj256ELj13ELNS0_17block_load_methodE3ELS4_3ELS4_3ELNS0_20block_scan_algorithmE0ELj4294967295EEENS1_25partition_config_selectorILNS1_17partition_subalgoE4EjNS0_10empty_typeEbEEZZNS1_14partition_implILS8_4ELb0ES6_15HIP_vector_typeIjLj2EENS0_17counting_iteratorIjlEEPS9_SG_NS0_5tupleIJPjSI_NS0_16reverse_iteratorISI_EEEEENSH_IJSG_SG_SG_EEES9_SI_JZNS1_25segmented_radix_sort_implINS0_14default_configELb1EPKaPaPKlPlN2at6native12_GLOBAL__N_18offset_tEEE10hipError_tPvRmT1_PNSt15iterator_traitsIS12_E10value_typeET2_T3_PNS13_IS18_E10value_typeET4_jRbjT5_S1E_jjP12ihipStream_tbEUljE_ZNSN_ISO_Lb1ESQ_SR_ST_SU_SY_EESZ_S10_S11_S12_S16_S17_S18_S1B_S1C_jS1D_jS1E_S1E_jjS1G_bEUljE0_EEESZ_S10_S11_S18_S1C_S1E_T6_T7_T9_mT8_S1G_bDpT10_ENKUlT_T0_E_clISt17integral_constantIbLb0EES1U_EEDaS1P_S1Q_EUlS1P_E_NS1_11comp_targetILNS1_3genE10ELNS1_11target_archE1200ELNS1_3gpuE4ELNS1_3repE0EEENS1_30default_config_static_selectorELNS0_4arch9wavefront6targetE0EEEvS12_,"axG",@progbits,_ZN7rocprim17ROCPRIM_400000_NS6detail17trampoline_kernelINS0_13select_configILj256ELj13ELNS0_17block_load_methodE3ELS4_3ELS4_3ELNS0_20block_scan_algorithmE0ELj4294967295EEENS1_25partition_config_selectorILNS1_17partition_subalgoE4EjNS0_10empty_typeEbEEZZNS1_14partition_implILS8_4ELb0ES6_15HIP_vector_typeIjLj2EENS0_17counting_iteratorIjlEEPS9_SG_NS0_5tupleIJPjSI_NS0_16reverse_iteratorISI_EEEEENSH_IJSG_SG_SG_EEES9_SI_JZNS1_25segmented_radix_sort_implINS0_14default_configELb1EPKaPaPKlPlN2at6native12_GLOBAL__N_18offset_tEEE10hipError_tPvRmT1_PNSt15iterator_traitsIS12_E10value_typeET2_T3_PNS13_IS18_E10value_typeET4_jRbjT5_S1E_jjP12ihipStream_tbEUljE_ZNSN_ISO_Lb1ESQ_SR_ST_SU_SY_EESZ_S10_S11_S12_S16_S17_S18_S1B_S1C_jS1D_jS1E_S1E_jjS1G_bEUljE0_EEESZ_S10_S11_S18_S1C_S1E_T6_T7_T9_mT8_S1G_bDpT10_ENKUlT_T0_E_clISt17integral_constantIbLb0EES1U_EEDaS1P_S1Q_EUlS1P_E_NS1_11comp_targetILNS1_3genE10ELNS1_11target_archE1200ELNS1_3gpuE4ELNS1_3repE0EEENS1_30default_config_static_selectorELNS0_4arch9wavefront6targetE0EEEvS12_,comdat
.Lfunc_end229:
	.size	_ZN7rocprim17ROCPRIM_400000_NS6detail17trampoline_kernelINS0_13select_configILj256ELj13ELNS0_17block_load_methodE3ELS4_3ELS4_3ELNS0_20block_scan_algorithmE0ELj4294967295EEENS1_25partition_config_selectorILNS1_17partition_subalgoE4EjNS0_10empty_typeEbEEZZNS1_14partition_implILS8_4ELb0ES6_15HIP_vector_typeIjLj2EENS0_17counting_iteratorIjlEEPS9_SG_NS0_5tupleIJPjSI_NS0_16reverse_iteratorISI_EEEEENSH_IJSG_SG_SG_EEES9_SI_JZNS1_25segmented_radix_sort_implINS0_14default_configELb1EPKaPaPKlPlN2at6native12_GLOBAL__N_18offset_tEEE10hipError_tPvRmT1_PNSt15iterator_traitsIS12_E10value_typeET2_T3_PNS13_IS18_E10value_typeET4_jRbjT5_S1E_jjP12ihipStream_tbEUljE_ZNSN_ISO_Lb1ESQ_SR_ST_SU_SY_EESZ_S10_S11_S12_S16_S17_S18_S1B_S1C_jS1D_jS1E_S1E_jjS1G_bEUljE0_EEESZ_S10_S11_S18_S1C_S1E_T6_T7_T9_mT8_S1G_bDpT10_ENKUlT_T0_E_clISt17integral_constantIbLb0EES1U_EEDaS1P_S1Q_EUlS1P_E_NS1_11comp_targetILNS1_3genE10ELNS1_11target_archE1200ELNS1_3gpuE4ELNS1_3repE0EEENS1_30default_config_static_selectorELNS0_4arch9wavefront6targetE0EEEvS12_, .Lfunc_end229-_ZN7rocprim17ROCPRIM_400000_NS6detail17trampoline_kernelINS0_13select_configILj256ELj13ELNS0_17block_load_methodE3ELS4_3ELS4_3ELNS0_20block_scan_algorithmE0ELj4294967295EEENS1_25partition_config_selectorILNS1_17partition_subalgoE4EjNS0_10empty_typeEbEEZZNS1_14partition_implILS8_4ELb0ES6_15HIP_vector_typeIjLj2EENS0_17counting_iteratorIjlEEPS9_SG_NS0_5tupleIJPjSI_NS0_16reverse_iteratorISI_EEEEENSH_IJSG_SG_SG_EEES9_SI_JZNS1_25segmented_radix_sort_implINS0_14default_configELb1EPKaPaPKlPlN2at6native12_GLOBAL__N_18offset_tEEE10hipError_tPvRmT1_PNSt15iterator_traitsIS12_E10value_typeET2_T3_PNS13_IS18_E10value_typeET4_jRbjT5_S1E_jjP12ihipStream_tbEUljE_ZNSN_ISO_Lb1ESQ_SR_ST_SU_SY_EESZ_S10_S11_S12_S16_S17_S18_S1B_S1C_jS1D_jS1E_S1E_jjS1G_bEUljE0_EEESZ_S10_S11_S18_S1C_S1E_T6_T7_T9_mT8_S1G_bDpT10_ENKUlT_T0_E_clISt17integral_constantIbLb0EES1U_EEDaS1P_S1Q_EUlS1P_E_NS1_11comp_targetILNS1_3genE10ELNS1_11target_archE1200ELNS1_3gpuE4ELNS1_3repE0EEENS1_30default_config_static_selectorELNS0_4arch9wavefront6targetE0EEEvS12_
                                        ; -- End function
	.set _ZN7rocprim17ROCPRIM_400000_NS6detail17trampoline_kernelINS0_13select_configILj256ELj13ELNS0_17block_load_methodE3ELS4_3ELS4_3ELNS0_20block_scan_algorithmE0ELj4294967295EEENS1_25partition_config_selectorILNS1_17partition_subalgoE4EjNS0_10empty_typeEbEEZZNS1_14partition_implILS8_4ELb0ES6_15HIP_vector_typeIjLj2EENS0_17counting_iteratorIjlEEPS9_SG_NS0_5tupleIJPjSI_NS0_16reverse_iteratorISI_EEEEENSH_IJSG_SG_SG_EEES9_SI_JZNS1_25segmented_radix_sort_implINS0_14default_configELb1EPKaPaPKlPlN2at6native12_GLOBAL__N_18offset_tEEE10hipError_tPvRmT1_PNSt15iterator_traitsIS12_E10value_typeET2_T3_PNS13_IS18_E10value_typeET4_jRbjT5_S1E_jjP12ihipStream_tbEUljE_ZNSN_ISO_Lb1ESQ_SR_ST_SU_SY_EESZ_S10_S11_S12_S16_S17_S18_S1B_S1C_jS1D_jS1E_S1E_jjS1G_bEUljE0_EEESZ_S10_S11_S18_S1C_S1E_T6_T7_T9_mT8_S1G_bDpT10_ENKUlT_T0_E_clISt17integral_constantIbLb0EES1U_EEDaS1P_S1Q_EUlS1P_E_NS1_11comp_targetILNS1_3genE10ELNS1_11target_archE1200ELNS1_3gpuE4ELNS1_3repE0EEENS1_30default_config_static_selectorELNS0_4arch9wavefront6targetE0EEEvS12_.num_vgpr, 0
	.set _ZN7rocprim17ROCPRIM_400000_NS6detail17trampoline_kernelINS0_13select_configILj256ELj13ELNS0_17block_load_methodE3ELS4_3ELS4_3ELNS0_20block_scan_algorithmE0ELj4294967295EEENS1_25partition_config_selectorILNS1_17partition_subalgoE4EjNS0_10empty_typeEbEEZZNS1_14partition_implILS8_4ELb0ES6_15HIP_vector_typeIjLj2EENS0_17counting_iteratorIjlEEPS9_SG_NS0_5tupleIJPjSI_NS0_16reverse_iteratorISI_EEEEENSH_IJSG_SG_SG_EEES9_SI_JZNS1_25segmented_radix_sort_implINS0_14default_configELb1EPKaPaPKlPlN2at6native12_GLOBAL__N_18offset_tEEE10hipError_tPvRmT1_PNSt15iterator_traitsIS12_E10value_typeET2_T3_PNS13_IS18_E10value_typeET4_jRbjT5_S1E_jjP12ihipStream_tbEUljE_ZNSN_ISO_Lb1ESQ_SR_ST_SU_SY_EESZ_S10_S11_S12_S16_S17_S18_S1B_S1C_jS1D_jS1E_S1E_jjS1G_bEUljE0_EEESZ_S10_S11_S18_S1C_S1E_T6_T7_T9_mT8_S1G_bDpT10_ENKUlT_T0_E_clISt17integral_constantIbLb0EES1U_EEDaS1P_S1Q_EUlS1P_E_NS1_11comp_targetILNS1_3genE10ELNS1_11target_archE1200ELNS1_3gpuE4ELNS1_3repE0EEENS1_30default_config_static_selectorELNS0_4arch9wavefront6targetE0EEEvS12_.num_agpr, 0
	.set _ZN7rocprim17ROCPRIM_400000_NS6detail17trampoline_kernelINS0_13select_configILj256ELj13ELNS0_17block_load_methodE3ELS4_3ELS4_3ELNS0_20block_scan_algorithmE0ELj4294967295EEENS1_25partition_config_selectorILNS1_17partition_subalgoE4EjNS0_10empty_typeEbEEZZNS1_14partition_implILS8_4ELb0ES6_15HIP_vector_typeIjLj2EENS0_17counting_iteratorIjlEEPS9_SG_NS0_5tupleIJPjSI_NS0_16reverse_iteratorISI_EEEEENSH_IJSG_SG_SG_EEES9_SI_JZNS1_25segmented_radix_sort_implINS0_14default_configELb1EPKaPaPKlPlN2at6native12_GLOBAL__N_18offset_tEEE10hipError_tPvRmT1_PNSt15iterator_traitsIS12_E10value_typeET2_T3_PNS13_IS18_E10value_typeET4_jRbjT5_S1E_jjP12ihipStream_tbEUljE_ZNSN_ISO_Lb1ESQ_SR_ST_SU_SY_EESZ_S10_S11_S12_S16_S17_S18_S1B_S1C_jS1D_jS1E_S1E_jjS1G_bEUljE0_EEESZ_S10_S11_S18_S1C_S1E_T6_T7_T9_mT8_S1G_bDpT10_ENKUlT_T0_E_clISt17integral_constantIbLb0EES1U_EEDaS1P_S1Q_EUlS1P_E_NS1_11comp_targetILNS1_3genE10ELNS1_11target_archE1200ELNS1_3gpuE4ELNS1_3repE0EEENS1_30default_config_static_selectorELNS0_4arch9wavefront6targetE0EEEvS12_.numbered_sgpr, 0
	.set _ZN7rocprim17ROCPRIM_400000_NS6detail17trampoline_kernelINS0_13select_configILj256ELj13ELNS0_17block_load_methodE3ELS4_3ELS4_3ELNS0_20block_scan_algorithmE0ELj4294967295EEENS1_25partition_config_selectorILNS1_17partition_subalgoE4EjNS0_10empty_typeEbEEZZNS1_14partition_implILS8_4ELb0ES6_15HIP_vector_typeIjLj2EENS0_17counting_iteratorIjlEEPS9_SG_NS0_5tupleIJPjSI_NS0_16reverse_iteratorISI_EEEEENSH_IJSG_SG_SG_EEES9_SI_JZNS1_25segmented_radix_sort_implINS0_14default_configELb1EPKaPaPKlPlN2at6native12_GLOBAL__N_18offset_tEEE10hipError_tPvRmT1_PNSt15iterator_traitsIS12_E10value_typeET2_T3_PNS13_IS18_E10value_typeET4_jRbjT5_S1E_jjP12ihipStream_tbEUljE_ZNSN_ISO_Lb1ESQ_SR_ST_SU_SY_EESZ_S10_S11_S12_S16_S17_S18_S1B_S1C_jS1D_jS1E_S1E_jjS1G_bEUljE0_EEESZ_S10_S11_S18_S1C_S1E_T6_T7_T9_mT8_S1G_bDpT10_ENKUlT_T0_E_clISt17integral_constantIbLb0EES1U_EEDaS1P_S1Q_EUlS1P_E_NS1_11comp_targetILNS1_3genE10ELNS1_11target_archE1200ELNS1_3gpuE4ELNS1_3repE0EEENS1_30default_config_static_selectorELNS0_4arch9wavefront6targetE0EEEvS12_.num_named_barrier, 0
	.set _ZN7rocprim17ROCPRIM_400000_NS6detail17trampoline_kernelINS0_13select_configILj256ELj13ELNS0_17block_load_methodE3ELS4_3ELS4_3ELNS0_20block_scan_algorithmE0ELj4294967295EEENS1_25partition_config_selectorILNS1_17partition_subalgoE4EjNS0_10empty_typeEbEEZZNS1_14partition_implILS8_4ELb0ES6_15HIP_vector_typeIjLj2EENS0_17counting_iteratorIjlEEPS9_SG_NS0_5tupleIJPjSI_NS0_16reverse_iteratorISI_EEEEENSH_IJSG_SG_SG_EEES9_SI_JZNS1_25segmented_radix_sort_implINS0_14default_configELb1EPKaPaPKlPlN2at6native12_GLOBAL__N_18offset_tEEE10hipError_tPvRmT1_PNSt15iterator_traitsIS12_E10value_typeET2_T3_PNS13_IS18_E10value_typeET4_jRbjT5_S1E_jjP12ihipStream_tbEUljE_ZNSN_ISO_Lb1ESQ_SR_ST_SU_SY_EESZ_S10_S11_S12_S16_S17_S18_S1B_S1C_jS1D_jS1E_S1E_jjS1G_bEUljE0_EEESZ_S10_S11_S18_S1C_S1E_T6_T7_T9_mT8_S1G_bDpT10_ENKUlT_T0_E_clISt17integral_constantIbLb0EES1U_EEDaS1P_S1Q_EUlS1P_E_NS1_11comp_targetILNS1_3genE10ELNS1_11target_archE1200ELNS1_3gpuE4ELNS1_3repE0EEENS1_30default_config_static_selectorELNS0_4arch9wavefront6targetE0EEEvS12_.private_seg_size, 0
	.set _ZN7rocprim17ROCPRIM_400000_NS6detail17trampoline_kernelINS0_13select_configILj256ELj13ELNS0_17block_load_methodE3ELS4_3ELS4_3ELNS0_20block_scan_algorithmE0ELj4294967295EEENS1_25partition_config_selectorILNS1_17partition_subalgoE4EjNS0_10empty_typeEbEEZZNS1_14partition_implILS8_4ELb0ES6_15HIP_vector_typeIjLj2EENS0_17counting_iteratorIjlEEPS9_SG_NS0_5tupleIJPjSI_NS0_16reverse_iteratorISI_EEEEENSH_IJSG_SG_SG_EEES9_SI_JZNS1_25segmented_radix_sort_implINS0_14default_configELb1EPKaPaPKlPlN2at6native12_GLOBAL__N_18offset_tEEE10hipError_tPvRmT1_PNSt15iterator_traitsIS12_E10value_typeET2_T3_PNS13_IS18_E10value_typeET4_jRbjT5_S1E_jjP12ihipStream_tbEUljE_ZNSN_ISO_Lb1ESQ_SR_ST_SU_SY_EESZ_S10_S11_S12_S16_S17_S18_S1B_S1C_jS1D_jS1E_S1E_jjS1G_bEUljE0_EEESZ_S10_S11_S18_S1C_S1E_T6_T7_T9_mT8_S1G_bDpT10_ENKUlT_T0_E_clISt17integral_constantIbLb0EES1U_EEDaS1P_S1Q_EUlS1P_E_NS1_11comp_targetILNS1_3genE10ELNS1_11target_archE1200ELNS1_3gpuE4ELNS1_3repE0EEENS1_30default_config_static_selectorELNS0_4arch9wavefront6targetE0EEEvS12_.uses_vcc, 0
	.set _ZN7rocprim17ROCPRIM_400000_NS6detail17trampoline_kernelINS0_13select_configILj256ELj13ELNS0_17block_load_methodE3ELS4_3ELS4_3ELNS0_20block_scan_algorithmE0ELj4294967295EEENS1_25partition_config_selectorILNS1_17partition_subalgoE4EjNS0_10empty_typeEbEEZZNS1_14partition_implILS8_4ELb0ES6_15HIP_vector_typeIjLj2EENS0_17counting_iteratorIjlEEPS9_SG_NS0_5tupleIJPjSI_NS0_16reverse_iteratorISI_EEEEENSH_IJSG_SG_SG_EEES9_SI_JZNS1_25segmented_radix_sort_implINS0_14default_configELb1EPKaPaPKlPlN2at6native12_GLOBAL__N_18offset_tEEE10hipError_tPvRmT1_PNSt15iterator_traitsIS12_E10value_typeET2_T3_PNS13_IS18_E10value_typeET4_jRbjT5_S1E_jjP12ihipStream_tbEUljE_ZNSN_ISO_Lb1ESQ_SR_ST_SU_SY_EESZ_S10_S11_S12_S16_S17_S18_S1B_S1C_jS1D_jS1E_S1E_jjS1G_bEUljE0_EEESZ_S10_S11_S18_S1C_S1E_T6_T7_T9_mT8_S1G_bDpT10_ENKUlT_T0_E_clISt17integral_constantIbLb0EES1U_EEDaS1P_S1Q_EUlS1P_E_NS1_11comp_targetILNS1_3genE10ELNS1_11target_archE1200ELNS1_3gpuE4ELNS1_3repE0EEENS1_30default_config_static_selectorELNS0_4arch9wavefront6targetE0EEEvS12_.uses_flat_scratch, 0
	.set _ZN7rocprim17ROCPRIM_400000_NS6detail17trampoline_kernelINS0_13select_configILj256ELj13ELNS0_17block_load_methodE3ELS4_3ELS4_3ELNS0_20block_scan_algorithmE0ELj4294967295EEENS1_25partition_config_selectorILNS1_17partition_subalgoE4EjNS0_10empty_typeEbEEZZNS1_14partition_implILS8_4ELb0ES6_15HIP_vector_typeIjLj2EENS0_17counting_iteratorIjlEEPS9_SG_NS0_5tupleIJPjSI_NS0_16reverse_iteratorISI_EEEEENSH_IJSG_SG_SG_EEES9_SI_JZNS1_25segmented_radix_sort_implINS0_14default_configELb1EPKaPaPKlPlN2at6native12_GLOBAL__N_18offset_tEEE10hipError_tPvRmT1_PNSt15iterator_traitsIS12_E10value_typeET2_T3_PNS13_IS18_E10value_typeET4_jRbjT5_S1E_jjP12ihipStream_tbEUljE_ZNSN_ISO_Lb1ESQ_SR_ST_SU_SY_EESZ_S10_S11_S12_S16_S17_S18_S1B_S1C_jS1D_jS1E_S1E_jjS1G_bEUljE0_EEESZ_S10_S11_S18_S1C_S1E_T6_T7_T9_mT8_S1G_bDpT10_ENKUlT_T0_E_clISt17integral_constantIbLb0EES1U_EEDaS1P_S1Q_EUlS1P_E_NS1_11comp_targetILNS1_3genE10ELNS1_11target_archE1200ELNS1_3gpuE4ELNS1_3repE0EEENS1_30default_config_static_selectorELNS0_4arch9wavefront6targetE0EEEvS12_.has_dyn_sized_stack, 0
	.set _ZN7rocprim17ROCPRIM_400000_NS6detail17trampoline_kernelINS0_13select_configILj256ELj13ELNS0_17block_load_methodE3ELS4_3ELS4_3ELNS0_20block_scan_algorithmE0ELj4294967295EEENS1_25partition_config_selectorILNS1_17partition_subalgoE4EjNS0_10empty_typeEbEEZZNS1_14partition_implILS8_4ELb0ES6_15HIP_vector_typeIjLj2EENS0_17counting_iteratorIjlEEPS9_SG_NS0_5tupleIJPjSI_NS0_16reverse_iteratorISI_EEEEENSH_IJSG_SG_SG_EEES9_SI_JZNS1_25segmented_radix_sort_implINS0_14default_configELb1EPKaPaPKlPlN2at6native12_GLOBAL__N_18offset_tEEE10hipError_tPvRmT1_PNSt15iterator_traitsIS12_E10value_typeET2_T3_PNS13_IS18_E10value_typeET4_jRbjT5_S1E_jjP12ihipStream_tbEUljE_ZNSN_ISO_Lb1ESQ_SR_ST_SU_SY_EESZ_S10_S11_S12_S16_S17_S18_S1B_S1C_jS1D_jS1E_S1E_jjS1G_bEUljE0_EEESZ_S10_S11_S18_S1C_S1E_T6_T7_T9_mT8_S1G_bDpT10_ENKUlT_T0_E_clISt17integral_constantIbLb0EES1U_EEDaS1P_S1Q_EUlS1P_E_NS1_11comp_targetILNS1_3genE10ELNS1_11target_archE1200ELNS1_3gpuE4ELNS1_3repE0EEENS1_30default_config_static_selectorELNS0_4arch9wavefront6targetE0EEEvS12_.has_recursion, 0
	.set _ZN7rocprim17ROCPRIM_400000_NS6detail17trampoline_kernelINS0_13select_configILj256ELj13ELNS0_17block_load_methodE3ELS4_3ELS4_3ELNS0_20block_scan_algorithmE0ELj4294967295EEENS1_25partition_config_selectorILNS1_17partition_subalgoE4EjNS0_10empty_typeEbEEZZNS1_14partition_implILS8_4ELb0ES6_15HIP_vector_typeIjLj2EENS0_17counting_iteratorIjlEEPS9_SG_NS0_5tupleIJPjSI_NS0_16reverse_iteratorISI_EEEEENSH_IJSG_SG_SG_EEES9_SI_JZNS1_25segmented_radix_sort_implINS0_14default_configELb1EPKaPaPKlPlN2at6native12_GLOBAL__N_18offset_tEEE10hipError_tPvRmT1_PNSt15iterator_traitsIS12_E10value_typeET2_T3_PNS13_IS18_E10value_typeET4_jRbjT5_S1E_jjP12ihipStream_tbEUljE_ZNSN_ISO_Lb1ESQ_SR_ST_SU_SY_EESZ_S10_S11_S12_S16_S17_S18_S1B_S1C_jS1D_jS1E_S1E_jjS1G_bEUljE0_EEESZ_S10_S11_S18_S1C_S1E_T6_T7_T9_mT8_S1G_bDpT10_ENKUlT_T0_E_clISt17integral_constantIbLb0EES1U_EEDaS1P_S1Q_EUlS1P_E_NS1_11comp_targetILNS1_3genE10ELNS1_11target_archE1200ELNS1_3gpuE4ELNS1_3repE0EEENS1_30default_config_static_selectorELNS0_4arch9wavefront6targetE0EEEvS12_.has_indirect_call, 0
	.section	.AMDGPU.csdata,"",@progbits
; Kernel info:
; codeLenInByte = 0
; TotalNumSgprs: 0
; NumVgprs: 0
; ScratchSize: 0
; MemoryBound: 0
; FloatMode: 240
; IeeeMode: 1
; LDSByteSize: 0 bytes/workgroup (compile time only)
; SGPRBlocks: 0
; VGPRBlocks: 0
; NumSGPRsForWavesPerEU: 1
; NumVGPRsForWavesPerEU: 1
; NamedBarCnt: 0
; Occupancy: 16
; WaveLimiterHint : 0
; COMPUTE_PGM_RSRC2:SCRATCH_EN: 0
; COMPUTE_PGM_RSRC2:USER_SGPR: 2
; COMPUTE_PGM_RSRC2:TRAP_HANDLER: 0
; COMPUTE_PGM_RSRC2:TGID_X_EN: 1
; COMPUTE_PGM_RSRC2:TGID_Y_EN: 0
; COMPUTE_PGM_RSRC2:TGID_Z_EN: 0
; COMPUTE_PGM_RSRC2:TIDIG_COMP_CNT: 0
	.section	.text._ZN7rocprim17ROCPRIM_400000_NS6detail17trampoline_kernelINS0_13select_configILj256ELj13ELNS0_17block_load_methodE3ELS4_3ELS4_3ELNS0_20block_scan_algorithmE0ELj4294967295EEENS1_25partition_config_selectorILNS1_17partition_subalgoE4EjNS0_10empty_typeEbEEZZNS1_14partition_implILS8_4ELb0ES6_15HIP_vector_typeIjLj2EENS0_17counting_iteratorIjlEEPS9_SG_NS0_5tupleIJPjSI_NS0_16reverse_iteratorISI_EEEEENSH_IJSG_SG_SG_EEES9_SI_JZNS1_25segmented_radix_sort_implINS0_14default_configELb1EPKaPaPKlPlN2at6native12_GLOBAL__N_18offset_tEEE10hipError_tPvRmT1_PNSt15iterator_traitsIS12_E10value_typeET2_T3_PNS13_IS18_E10value_typeET4_jRbjT5_S1E_jjP12ihipStream_tbEUljE_ZNSN_ISO_Lb1ESQ_SR_ST_SU_SY_EESZ_S10_S11_S12_S16_S17_S18_S1B_S1C_jS1D_jS1E_S1E_jjS1G_bEUljE0_EEESZ_S10_S11_S18_S1C_S1E_T6_T7_T9_mT8_S1G_bDpT10_ENKUlT_T0_E_clISt17integral_constantIbLb0EES1U_EEDaS1P_S1Q_EUlS1P_E_NS1_11comp_targetILNS1_3genE9ELNS1_11target_archE1100ELNS1_3gpuE3ELNS1_3repE0EEENS1_30default_config_static_selectorELNS0_4arch9wavefront6targetE0EEEvS12_,"axG",@progbits,_ZN7rocprim17ROCPRIM_400000_NS6detail17trampoline_kernelINS0_13select_configILj256ELj13ELNS0_17block_load_methodE3ELS4_3ELS4_3ELNS0_20block_scan_algorithmE0ELj4294967295EEENS1_25partition_config_selectorILNS1_17partition_subalgoE4EjNS0_10empty_typeEbEEZZNS1_14partition_implILS8_4ELb0ES6_15HIP_vector_typeIjLj2EENS0_17counting_iteratorIjlEEPS9_SG_NS0_5tupleIJPjSI_NS0_16reverse_iteratorISI_EEEEENSH_IJSG_SG_SG_EEES9_SI_JZNS1_25segmented_radix_sort_implINS0_14default_configELb1EPKaPaPKlPlN2at6native12_GLOBAL__N_18offset_tEEE10hipError_tPvRmT1_PNSt15iterator_traitsIS12_E10value_typeET2_T3_PNS13_IS18_E10value_typeET4_jRbjT5_S1E_jjP12ihipStream_tbEUljE_ZNSN_ISO_Lb1ESQ_SR_ST_SU_SY_EESZ_S10_S11_S12_S16_S17_S18_S1B_S1C_jS1D_jS1E_S1E_jjS1G_bEUljE0_EEESZ_S10_S11_S18_S1C_S1E_T6_T7_T9_mT8_S1G_bDpT10_ENKUlT_T0_E_clISt17integral_constantIbLb0EES1U_EEDaS1P_S1Q_EUlS1P_E_NS1_11comp_targetILNS1_3genE9ELNS1_11target_archE1100ELNS1_3gpuE3ELNS1_3repE0EEENS1_30default_config_static_selectorELNS0_4arch9wavefront6targetE0EEEvS12_,comdat
	.globl	_ZN7rocprim17ROCPRIM_400000_NS6detail17trampoline_kernelINS0_13select_configILj256ELj13ELNS0_17block_load_methodE3ELS4_3ELS4_3ELNS0_20block_scan_algorithmE0ELj4294967295EEENS1_25partition_config_selectorILNS1_17partition_subalgoE4EjNS0_10empty_typeEbEEZZNS1_14partition_implILS8_4ELb0ES6_15HIP_vector_typeIjLj2EENS0_17counting_iteratorIjlEEPS9_SG_NS0_5tupleIJPjSI_NS0_16reverse_iteratorISI_EEEEENSH_IJSG_SG_SG_EEES9_SI_JZNS1_25segmented_radix_sort_implINS0_14default_configELb1EPKaPaPKlPlN2at6native12_GLOBAL__N_18offset_tEEE10hipError_tPvRmT1_PNSt15iterator_traitsIS12_E10value_typeET2_T3_PNS13_IS18_E10value_typeET4_jRbjT5_S1E_jjP12ihipStream_tbEUljE_ZNSN_ISO_Lb1ESQ_SR_ST_SU_SY_EESZ_S10_S11_S12_S16_S17_S18_S1B_S1C_jS1D_jS1E_S1E_jjS1G_bEUljE0_EEESZ_S10_S11_S18_S1C_S1E_T6_T7_T9_mT8_S1G_bDpT10_ENKUlT_T0_E_clISt17integral_constantIbLb0EES1U_EEDaS1P_S1Q_EUlS1P_E_NS1_11comp_targetILNS1_3genE9ELNS1_11target_archE1100ELNS1_3gpuE3ELNS1_3repE0EEENS1_30default_config_static_selectorELNS0_4arch9wavefront6targetE0EEEvS12_ ; -- Begin function _ZN7rocprim17ROCPRIM_400000_NS6detail17trampoline_kernelINS0_13select_configILj256ELj13ELNS0_17block_load_methodE3ELS4_3ELS4_3ELNS0_20block_scan_algorithmE0ELj4294967295EEENS1_25partition_config_selectorILNS1_17partition_subalgoE4EjNS0_10empty_typeEbEEZZNS1_14partition_implILS8_4ELb0ES6_15HIP_vector_typeIjLj2EENS0_17counting_iteratorIjlEEPS9_SG_NS0_5tupleIJPjSI_NS0_16reverse_iteratorISI_EEEEENSH_IJSG_SG_SG_EEES9_SI_JZNS1_25segmented_radix_sort_implINS0_14default_configELb1EPKaPaPKlPlN2at6native12_GLOBAL__N_18offset_tEEE10hipError_tPvRmT1_PNSt15iterator_traitsIS12_E10value_typeET2_T3_PNS13_IS18_E10value_typeET4_jRbjT5_S1E_jjP12ihipStream_tbEUljE_ZNSN_ISO_Lb1ESQ_SR_ST_SU_SY_EESZ_S10_S11_S12_S16_S17_S18_S1B_S1C_jS1D_jS1E_S1E_jjS1G_bEUljE0_EEESZ_S10_S11_S18_S1C_S1E_T6_T7_T9_mT8_S1G_bDpT10_ENKUlT_T0_E_clISt17integral_constantIbLb0EES1U_EEDaS1P_S1Q_EUlS1P_E_NS1_11comp_targetILNS1_3genE9ELNS1_11target_archE1100ELNS1_3gpuE3ELNS1_3repE0EEENS1_30default_config_static_selectorELNS0_4arch9wavefront6targetE0EEEvS12_
	.p2align	8
	.type	_ZN7rocprim17ROCPRIM_400000_NS6detail17trampoline_kernelINS0_13select_configILj256ELj13ELNS0_17block_load_methodE3ELS4_3ELS4_3ELNS0_20block_scan_algorithmE0ELj4294967295EEENS1_25partition_config_selectorILNS1_17partition_subalgoE4EjNS0_10empty_typeEbEEZZNS1_14partition_implILS8_4ELb0ES6_15HIP_vector_typeIjLj2EENS0_17counting_iteratorIjlEEPS9_SG_NS0_5tupleIJPjSI_NS0_16reverse_iteratorISI_EEEEENSH_IJSG_SG_SG_EEES9_SI_JZNS1_25segmented_radix_sort_implINS0_14default_configELb1EPKaPaPKlPlN2at6native12_GLOBAL__N_18offset_tEEE10hipError_tPvRmT1_PNSt15iterator_traitsIS12_E10value_typeET2_T3_PNS13_IS18_E10value_typeET4_jRbjT5_S1E_jjP12ihipStream_tbEUljE_ZNSN_ISO_Lb1ESQ_SR_ST_SU_SY_EESZ_S10_S11_S12_S16_S17_S18_S1B_S1C_jS1D_jS1E_S1E_jjS1G_bEUljE0_EEESZ_S10_S11_S18_S1C_S1E_T6_T7_T9_mT8_S1G_bDpT10_ENKUlT_T0_E_clISt17integral_constantIbLb0EES1U_EEDaS1P_S1Q_EUlS1P_E_NS1_11comp_targetILNS1_3genE9ELNS1_11target_archE1100ELNS1_3gpuE3ELNS1_3repE0EEENS1_30default_config_static_selectorELNS0_4arch9wavefront6targetE0EEEvS12_,@function
_ZN7rocprim17ROCPRIM_400000_NS6detail17trampoline_kernelINS0_13select_configILj256ELj13ELNS0_17block_load_methodE3ELS4_3ELS4_3ELNS0_20block_scan_algorithmE0ELj4294967295EEENS1_25partition_config_selectorILNS1_17partition_subalgoE4EjNS0_10empty_typeEbEEZZNS1_14partition_implILS8_4ELb0ES6_15HIP_vector_typeIjLj2EENS0_17counting_iteratorIjlEEPS9_SG_NS0_5tupleIJPjSI_NS0_16reverse_iteratorISI_EEEEENSH_IJSG_SG_SG_EEES9_SI_JZNS1_25segmented_radix_sort_implINS0_14default_configELb1EPKaPaPKlPlN2at6native12_GLOBAL__N_18offset_tEEE10hipError_tPvRmT1_PNSt15iterator_traitsIS12_E10value_typeET2_T3_PNS13_IS18_E10value_typeET4_jRbjT5_S1E_jjP12ihipStream_tbEUljE_ZNSN_ISO_Lb1ESQ_SR_ST_SU_SY_EESZ_S10_S11_S12_S16_S17_S18_S1B_S1C_jS1D_jS1E_S1E_jjS1G_bEUljE0_EEESZ_S10_S11_S18_S1C_S1E_T6_T7_T9_mT8_S1G_bDpT10_ENKUlT_T0_E_clISt17integral_constantIbLb0EES1U_EEDaS1P_S1Q_EUlS1P_E_NS1_11comp_targetILNS1_3genE9ELNS1_11target_archE1100ELNS1_3gpuE3ELNS1_3repE0EEENS1_30default_config_static_selectorELNS0_4arch9wavefront6targetE0EEEvS12_: ; @_ZN7rocprim17ROCPRIM_400000_NS6detail17trampoline_kernelINS0_13select_configILj256ELj13ELNS0_17block_load_methodE3ELS4_3ELS4_3ELNS0_20block_scan_algorithmE0ELj4294967295EEENS1_25partition_config_selectorILNS1_17partition_subalgoE4EjNS0_10empty_typeEbEEZZNS1_14partition_implILS8_4ELb0ES6_15HIP_vector_typeIjLj2EENS0_17counting_iteratorIjlEEPS9_SG_NS0_5tupleIJPjSI_NS0_16reverse_iteratorISI_EEEEENSH_IJSG_SG_SG_EEES9_SI_JZNS1_25segmented_radix_sort_implINS0_14default_configELb1EPKaPaPKlPlN2at6native12_GLOBAL__N_18offset_tEEE10hipError_tPvRmT1_PNSt15iterator_traitsIS12_E10value_typeET2_T3_PNS13_IS18_E10value_typeET4_jRbjT5_S1E_jjP12ihipStream_tbEUljE_ZNSN_ISO_Lb1ESQ_SR_ST_SU_SY_EESZ_S10_S11_S12_S16_S17_S18_S1B_S1C_jS1D_jS1E_S1E_jjS1G_bEUljE0_EEESZ_S10_S11_S18_S1C_S1E_T6_T7_T9_mT8_S1G_bDpT10_ENKUlT_T0_E_clISt17integral_constantIbLb0EES1U_EEDaS1P_S1Q_EUlS1P_E_NS1_11comp_targetILNS1_3genE9ELNS1_11target_archE1100ELNS1_3gpuE3ELNS1_3repE0EEENS1_30default_config_static_selectorELNS0_4arch9wavefront6targetE0EEEvS12_
; %bb.0:
	.section	.rodata,"a",@progbits
	.p2align	6, 0x0
	.amdhsa_kernel _ZN7rocprim17ROCPRIM_400000_NS6detail17trampoline_kernelINS0_13select_configILj256ELj13ELNS0_17block_load_methodE3ELS4_3ELS4_3ELNS0_20block_scan_algorithmE0ELj4294967295EEENS1_25partition_config_selectorILNS1_17partition_subalgoE4EjNS0_10empty_typeEbEEZZNS1_14partition_implILS8_4ELb0ES6_15HIP_vector_typeIjLj2EENS0_17counting_iteratorIjlEEPS9_SG_NS0_5tupleIJPjSI_NS0_16reverse_iteratorISI_EEEEENSH_IJSG_SG_SG_EEES9_SI_JZNS1_25segmented_radix_sort_implINS0_14default_configELb1EPKaPaPKlPlN2at6native12_GLOBAL__N_18offset_tEEE10hipError_tPvRmT1_PNSt15iterator_traitsIS12_E10value_typeET2_T3_PNS13_IS18_E10value_typeET4_jRbjT5_S1E_jjP12ihipStream_tbEUljE_ZNSN_ISO_Lb1ESQ_SR_ST_SU_SY_EESZ_S10_S11_S12_S16_S17_S18_S1B_S1C_jS1D_jS1E_S1E_jjS1G_bEUljE0_EEESZ_S10_S11_S18_S1C_S1E_T6_T7_T9_mT8_S1G_bDpT10_ENKUlT_T0_E_clISt17integral_constantIbLb0EES1U_EEDaS1P_S1Q_EUlS1P_E_NS1_11comp_targetILNS1_3genE9ELNS1_11target_archE1100ELNS1_3gpuE3ELNS1_3repE0EEENS1_30default_config_static_selectorELNS0_4arch9wavefront6targetE0EEEvS12_
		.amdhsa_group_segment_fixed_size 0
		.amdhsa_private_segment_fixed_size 0
		.amdhsa_kernarg_size 176
		.amdhsa_user_sgpr_count 2
		.amdhsa_user_sgpr_dispatch_ptr 0
		.amdhsa_user_sgpr_queue_ptr 0
		.amdhsa_user_sgpr_kernarg_segment_ptr 1
		.amdhsa_user_sgpr_dispatch_id 0
		.amdhsa_user_sgpr_kernarg_preload_length 0
		.amdhsa_user_sgpr_kernarg_preload_offset 0
		.amdhsa_user_sgpr_private_segment_size 0
		.amdhsa_wavefront_size32 1
		.amdhsa_uses_dynamic_stack 0
		.amdhsa_enable_private_segment 0
		.amdhsa_system_sgpr_workgroup_id_x 1
		.amdhsa_system_sgpr_workgroup_id_y 0
		.amdhsa_system_sgpr_workgroup_id_z 0
		.amdhsa_system_sgpr_workgroup_info 0
		.amdhsa_system_vgpr_workitem_id 0
		.amdhsa_next_free_vgpr 1
		.amdhsa_next_free_sgpr 1
		.amdhsa_named_barrier_count 0
		.amdhsa_reserve_vcc 0
		.amdhsa_float_round_mode_32 0
		.amdhsa_float_round_mode_16_64 0
		.amdhsa_float_denorm_mode_32 3
		.amdhsa_float_denorm_mode_16_64 3
		.amdhsa_fp16_overflow 0
		.amdhsa_memory_ordered 1
		.amdhsa_forward_progress 1
		.amdhsa_inst_pref_size 0
		.amdhsa_round_robin_scheduling 0
		.amdhsa_exception_fp_ieee_invalid_op 0
		.amdhsa_exception_fp_denorm_src 0
		.amdhsa_exception_fp_ieee_div_zero 0
		.amdhsa_exception_fp_ieee_overflow 0
		.amdhsa_exception_fp_ieee_underflow 0
		.amdhsa_exception_fp_ieee_inexact 0
		.amdhsa_exception_int_div_zero 0
	.end_amdhsa_kernel
	.section	.text._ZN7rocprim17ROCPRIM_400000_NS6detail17trampoline_kernelINS0_13select_configILj256ELj13ELNS0_17block_load_methodE3ELS4_3ELS4_3ELNS0_20block_scan_algorithmE0ELj4294967295EEENS1_25partition_config_selectorILNS1_17partition_subalgoE4EjNS0_10empty_typeEbEEZZNS1_14partition_implILS8_4ELb0ES6_15HIP_vector_typeIjLj2EENS0_17counting_iteratorIjlEEPS9_SG_NS0_5tupleIJPjSI_NS0_16reverse_iteratorISI_EEEEENSH_IJSG_SG_SG_EEES9_SI_JZNS1_25segmented_radix_sort_implINS0_14default_configELb1EPKaPaPKlPlN2at6native12_GLOBAL__N_18offset_tEEE10hipError_tPvRmT1_PNSt15iterator_traitsIS12_E10value_typeET2_T3_PNS13_IS18_E10value_typeET4_jRbjT5_S1E_jjP12ihipStream_tbEUljE_ZNSN_ISO_Lb1ESQ_SR_ST_SU_SY_EESZ_S10_S11_S12_S16_S17_S18_S1B_S1C_jS1D_jS1E_S1E_jjS1G_bEUljE0_EEESZ_S10_S11_S18_S1C_S1E_T6_T7_T9_mT8_S1G_bDpT10_ENKUlT_T0_E_clISt17integral_constantIbLb0EES1U_EEDaS1P_S1Q_EUlS1P_E_NS1_11comp_targetILNS1_3genE9ELNS1_11target_archE1100ELNS1_3gpuE3ELNS1_3repE0EEENS1_30default_config_static_selectorELNS0_4arch9wavefront6targetE0EEEvS12_,"axG",@progbits,_ZN7rocprim17ROCPRIM_400000_NS6detail17trampoline_kernelINS0_13select_configILj256ELj13ELNS0_17block_load_methodE3ELS4_3ELS4_3ELNS0_20block_scan_algorithmE0ELj4294967295EEENS1_25partition_config_selectorILNS1_17partition_subalgoE4EjNS0_10empty_typeEbEEZZNS1_14partition_implILS8_4ELb0ES6_15HIP_vector_typeIjLj2EENS0_17counting_iteratorIjlEEPS9_SG_NS0_5tupleIJPjSI_NS0_16reverse_iteratorISI_EEEEENSH_IJSG_SG_SG_EEES9_SI_JZNS1_25segmented_radix_sort_implINS0_14default_configELb1EPKaPaPKlPlN2at6native12_GLOBAL__N_18offset_tEEE10hipError_tPvRmT1_PNSt15iterator_traitsIS12_E10value_typeET2_T3_PNS13_IS18_E10value_typeET4_jRbjT5_S1E_jjP12ihipStream_tbEUljE_ZNSN_ISO_Lb1ESQ_SR_ST_SU_SY_EESZ_S10_S11_S12_S16_S17_S18_S1B_S1C_jS1D_jS1E_S1E_jjS1G_bEUljE0_EEESZ_S10_S11_S18_S1C_S1E_T6_T7_T9_mT8_S1G_bDpT10_ENKUlT_T0_E_clISt17integral_constantIbLb0EES1U_EEDaS1P_S1Q_EUlS1P_E_NS1_11comp_targetILNS1_3genE9ELNS1_11target_archE1100ELNS1_3gpuE3ELNS1_3repE0EEENS1_30default_config_static_selectorELNS0_4arch9wavefront6targetE0EEEvS12_,comdat
.Lfunc_end230:
	.size	_ZN7rocprim17ROCPRIM_400000_NS6detail17trampoline_kernelINS0_13select_configILj256ELj13ELNS0_17block_load_methodE3ELS4_3ELS4_3ELNS0_20block_scan_algorithmE0ELj4294967295EEENS1_25partition_config_selectorILNS1_17partition_subalgoE4EjNS0_10empty_typeEbEEZZNS1_14partition_implILS8_4ELb0ES6_15HIP_vector_typeIjLj2EENS0_17counting_iteratorIjlEEPS9_SG_NS0_5tupleIJPjSI_NS0_16reverse_iteratorISI_EEEEENSH_IJSG_SG_SG_EEES9_SI_JZNS1_25segmented_radix_sort_implINS0_14default_configELb1EPKaPaPKlPlN2at6native12_GLOBAL__N_18offset_tEEE10hipError_tPvRmT1_PNSt15iterator_traitsIS12_E10value_typeET2_T3_PNS13_IS18_E10value_typeET4_jRbjT5_S1E_jjP12ihipStream_tbEUljE_ZNSN_ISO_Lb1ESQ_SR_ST_SU_SY_EESZ_S10_S11_S12_S16_S17_S18_S1B_S1C_jS1D_jS1E_S1E_jjS1G_bEUljE0_EEESZ_S10_S11_S18_S1C_S1E_T6_T7_T9_mT8_S1G_bDpT10_ENKUlT_T0_E_clISt17integral_constantIbLb0EES1U_EEDaS1P_S1Q_EUlS1P_E_NS1_11comp_targetILNS1_3genE9ELNS1_11target_archE1100ELNS1_3gpuE3ELNS1_3repE0EEENS1_30default_config_static_selectorELNS0_4arch9wavefront6targetE0EEEvS12_, .Lfunc_end230-_ZN7rocprim17ROCPRIM_400000_NS6detail17trampoline_kernelINS0_13select_configILj256ELj13ELNS0_17block_load_methodE3ELS4_3ELS4_3ELNS0_20block_scan_algorithmE0ELj4294967295EEENS1_25partition_config_selectorILNS1_17partition_subalgoE4EjNS0_10empty_typeEbEEZZNS1_14partition_implILS8_4ELb0ES6_15HIP_vector_typeIjLj2EENS0_17counting_iteratorIjlEEPS9_SG_NS0_5tupleIJPjSI_NS0_16reverse_iteratorISI_EEEEENSH_IJSG_SG_SG_EEES9_SI_JZNS1_25segmented_radix_sort_implINS0_14default_configELb1EPKaPaPKlPlN2at6native12_GLOBAL__N_18offset_tEEE10hipError_tPvRmT1_PNSt15iterator_traitsIS12_E10value_typeET2_T3_PNS13_IS18_E10value_typeET4_jRbjT5_S1E_jjP12ihipStream_tbEUljE_ZNSN_ISO_Lb1ESQ_SR_ST_SU_SY_EESZ_S10_S11_S12_S16_S17_S18_S1B_S1C_jS1D_jS1E_S1E_jjS1G_bEUljE0_EEESZ_S10_S11_S18_S1C_S1E_T6_T7_T9_mT8_S1G_bDpT10_ENKUlT_T0_E_clISt17integral_constantIbLb0EES1U_EEDaS1P_S1Q_EUlS1P_E_NS1_11comp_targetILNS1_3genE9ELNS1_11target_archE1100ELNS1_3gpuE3ELNS1_3repE0EEENS1_30default_config_static_selectorELNS0_4arch9wavefront6targetE0EEEvS12_
                                        ; -- End function
	.set _ZN7rocprim17ROCPRIM_400000_NS6detail17trampoline_kernelINS0_13select_configILj256ELj13ELNS0_17block_load_methodE3ELS4_3ELS4_3ELNS0_20block_scan_algorithmE0ELj4294967295EEENS1_25partition_config_selectorILNS1_17partition_subalgoE4EjNS0_10empty_typeEbEEZZNS1_14partition_implILS8_4ELb0ES6_15HIP_vector_typeIjLj2EENS0_17counting_iteratorIjlEEPS9_SG_NS0_5tupleIJPjSI_NS0_16reverse_iteratorISI_EEEEENSH_IJSG_SG_SG_EEES9_SI_JZNS1_25segmented_radix_sort_implINS0_14default_configELb1EPKaPaPKlPlN2at6native12_GLOBAL__N_18offset_tEEE10hipError_tPvRmT1_PNSt15iterator_traitsIS12_E10value_typeET2_T3_PNS13_IS18_E10value_typeET4_jRbjT5_S1E_jjP12ihipStream_tbEUljE_ZNSN_ISO_Lb1ESQ_SR_ST_SU_SY_EESZ_S10_S11_S12_S16_S17_S18_S1B_S1C_jS1D_jS1E_S1E_jjS1G_bEUljE0_EEESZ_S10_S11_S18_S1C_S1E_T6_T7_T9_mT8_S1G_bDpT10_ENKUlT_T0_E_clISt17integral_constantIbLb0EES1U_EEDaS1P_S1Q_EUlS1P_E_NS1_11comp_targetILNS1_3genE9ELNS1_11target_archE1100ELNS1_3gpuE3ELNS1_3repE0EEENS1_30default_config_static_selectorELNS0_4arch9wavefront6targetE0EEEvS12_.num_vgpr, 0
	.set _ZN7rocprim17ROCPRIM_400000_NS6detail17trampoline_kernelINS0_13select_configILj256ELj13ELNS0_17block_load_methodE3ELS4_3ELS4_3ELNS0_20block_scan_algorithmE0ELj4294967295EEENS1_25partition_config_selectorILNS1_17partition_subalgoE4EjNS0_10empty_typeEbEEZZNS1_14partition_implILS8_4ELb0ES6_15HIP_vector_typeIjLj2EENS0_17counting_iteratorIjlEEPS9_SG_NS0_5tupleIJPjSI_NS0_16reverse_iteratorISI_EEEEENSH_IJSG_SG_SG_EEES9_SI_JZNS1_25segmented_radix_sort_implINS0_14default_configELb1EPKaPaPKlPlN2at6native12_GLOBAL__N_18offset_tEEE10hipError_tPvRmT1_PNSt15iterator_traitsIS12_E10value_typeET2_T3_PNS13_IS18_E10value_typeET4_jRbjT5_S1E_jjP12ihipStream_tbEUljE_ZNSN_ISO_Lb1ESQ_SR_ST_SU_SY_EESZ_S10_S11_S12_S16_S17_S18_S1B_S1C_jS1D_jS1E_S1E_jjS1G_bEUljE0_EEESZ_S10_S11_S18_S1C_S1E_T6_T7_T9_mT8_S1G_bDpT10_ENKUlT_T0_E_clISt17integral_constantIbLb0EES1U_EEDaS1P_S1Q_EUlS1P_E_NS1_11comp_targetILNS1_3genE9ELNS1_11target_archE1100ELNS1_3gpuE3ELNS1_3repE0EEENS1_30default_config_static_selectorELNS0_4arch9wavefront6targetE0EEEvS12_.num_agpr, 0
	.set _ZN7rocprim17ROCPRIM_400000_NS6detail17trampoline_kernelINS0_13select_configILj256ELj13ELNS0_17block_load_methodE3ELS4_3ELS4_3ELNS0_20block_scan_algorithmE0ELj4294967295EEENS1_25partition_config_selectorILNS1_17partition_subalgoE4EjNS0_10empty_typeEbEEZZNS1_14partition_implILS8_4ELb0ES6_15HIP_vector_typeIjLj2EENS0_17counting_iteratorIjlEEPS9_SG_NS0_5tupleIJPjSI_NS0_16reverse_iteratorISI_EEEEENSH_IJSG_SG_SG_EEES9_SI_JZNS1_25segmented_radix_sort_implINS0_14default_configELb1EPKaPaPKlPlN2at6native12_GLOBAL__N_18offset_tEEE10hipError_tPvRmT1_PNSt15iterator_traitsIS12_E10value_typeET2_T3_PNS13_IS18_E10value_typeET4_jRbjT5_S1E_jjP12ihipStream_tbEUljE_ZNSN_ISO_Lb1ESQ_SR_ST_SU_SY_EESZ_S10_S11_S12_S16_S17_S18_S1B_S1C_jS1D_jS1E_S1E_jjS1G_bEUljE0_EEESZ_S10_S11_S18_S1C_S1E_T6_T7_T9_mT8_S1G_bDpT10_ENKUlT_T0_E_clISt17integral_constantIbLb0EES1U_EEDaS1P_S1Q_EUlS1P_E_NS1_11comp_targetILNS1_3genE9ELNS1_11target_archE1100ELNS1_3gpuE3ELNS1_3repE0EEENS1_30default_config_static_selectorELNS0_4arch9wavefront6targetE0EEEvS12_.numbered_sgpr, 0
	.set _ZN7rocprim17ROCPRIM_400000_NS6detail17trampoline_kernelINS0_13select_configILj256ELj13ELNS0_17block_load_methodE3ELS4_3ELS4_3ELNS0_20block_scan_algorithmE0ELj4294967295EEENS1_25partition_config_selectorILNS1_17partition_subalgoE4EjNS0_10empty_typeEbEEZZNS1_14partition_implILS8_4ELb0ES6_15HIP_vector_typeIjLj2EENS0_17counting_iteratorIjlEEPS9_SG_NS0_5tupleIJPjSI_NS0_16reverse_iteratorISI_EEEEENSH_IJSG_SG_SG_EEES9_SI_JZNS1_25segmented_radix_sort_implINS0_14default_configELb1EPKaPaPKlPlN2at6native12_GLOBAL__N_18offset_tEEE10hipError_tPvRmT1_PNSt15iterator_traitsIS12_E10value_typeET2_T3_PNS13_IS18_E10value_typeET4_jRbjT5_S1E_jjP12ihipStream_tbEUljE_ZNSN_ISO_Lb1ESQ_SR_ST_SU_SY_EESZ_S10_S11_S12_S16_S17_S18_S1B_S1C_jS1D_jS1E_S1E_jjS1G_bEUljE0_EEESZ_S10_S11_S18_S1C_S1E_T6_T7_T9_mT8_S1G_bDpT10_ENKUlT_T0_E_clISt17integral_constantIbLb0EES1U_EEDaS1P_S1Q_EUlS1P_E_NS1_11comp_targetILNS1_3genE9ELNS1_11target_archE1100ELNS1_3gpuE3ELNS1_3repE0EEENS1_30default_config_static_selectorELNS0_4arch9wavefront6targetE0EEEvS12_.num_named_barrier, 0
	.set _ZN7rocprim17ROCPRIM_400000_NS6detail17trampoline_kernelINS0_13select_configILj256ELj13ELNS0_17block_load_methodE3ELS4_3ELS4_3ELNS0_20block_scan_algorithmE0ELj4294967295EEENS1_25partition_config_selectorILNS1_17partition_subalgoE4EjNS0_10empty_typeEbEEZZNS1_14partition_implILS8_4ELb0ES6_15HIP_vector_typeIjLj2EENS0_17counting_iteratorIjlEEPS9_SG_NS0_5tupleIJPjSI_NS0_16reverse_iteratorISI_EEEEENSH_IJSG_SG_SG_EEES9_SI_JZNS1_25segmented_radix_sort_implINS0_14default_configELb1EPKaPaPKlPlN2at6native12_GLOBAL__N_18offset_tEEE10hipError_tPvRmT1_PNSt15iterator_traitsIS12_E10value_typeET2_T3_PNS13_IS18_E10value_typeET4_jRbjT5_S1E_jjP12ihipStream_tbEUljE_ZNSN_ISO_Lb1ESQ_SR_ST_SU_SY_EESZ_S10_S11_S12_S16_S17_S18_S1B_S1C_jS1D_jS1E_S1E_jjS1G_bEUljE0_EEESZ_S10_S11_S18_S1C_S1E_T6_T7_T9_mT8_S1G_bDpT10_ENKUlT_T0_E_clISt17integral_constantIbLb0EES1U_EEDaS1P_S1Q_EUlS1P_E_NS1_11comp_targetILNS1_3genE9ELNS1_11target_archE1100ELNS1_3gpuE3ELNS1_3repE0EEENS1_30default_config_static_selectorELNS0_4arch9wavefront6targetE0EEEvS12_.private_seg_size, 0
	.set _ZN7rocprim17ROCPRIM_400000_NS6detail17trampoline_kernelINS0_13select_configILj256ELj13ELNS0_17block_load_methodE3ELS4_3ELS4_3ELNS0_20block_scan_algorithmE0ELj4294967295EEENS1_25partition_config_selectorILNS1_17partition_subalgoE4EjNS0_10empty_typeEbEEZZNS1_14partition_implILS8_4ELb0ES6_15HIP_vector_typeIjLj2EENS0_17counting_iteratorIjlEEPS9_SG_NS0_5tupleIJPjSI_NS0_16reverse_iteratorISI_EEEEENSH_IJSG_SG_SG_EEES9_SI_JZNS1_25segmented_radix_sort_implINS0_14default_configELb1EPKaPaPKlPlN2at6native12_GLOBAL__N_18offset_tEEE10hipError_tPvRmT1_PNSt15iterator_traitsIS12_E10value_typeET2_T3_PNS13_IS18_E10value_typeET4_jRbjT5_S1E_jjP12ihipStream_tbEUljE_ZNSN_ISO_Lb1ESQ_SR_ST_SU_SY_EESZ_S10_S11_S12_S16_S17_S18_S1B_S1C_jS1D_jS1E_S1E_jjS1G_bEUljE0_EEESZ_S10_S11_S18_S1C_S1E_T6_T7_T9_mT8_S1G_bDpT10_ENKUlT_T0_E_clISt17integral_constantIbLb0EES1U_EEDaS1P_S1Q_EUlS1P_E_NS1_11comp_targetILNS1_3genE9ELNS1_11target_archE1100ELNS1_3gpuE3ELNS1_3repE0EEENS1_30default_config_static_selectorELNS0_4arch9wavefront6targetE0EEEvS12_.uses_vcc, 0
	.set _ZN7rocprim17ROCPRIM_400000_NS6detail17trampoline_kernelINS0_13select_configILj256ELj13ELNS0_17block_load_methodE3ELS4_3ELS4_3ELNS0_20block_scan_algorithmE0ELj4294967295EEENS1_25partition_config_selectorILNS1_17partition_subalgoE4EjNS0_10empty_typeEbEEZZNS1_14partition_implILS8_4ELb0ES6_15HIP_vector_typeIjLj2EENS0_17counting_iteratorIjlEEPS9_SG_NS0_5tupleIJPjSI_NS0_16reverse_iteratorISI_EEEEENSH_IJSG_SG_SG_EEES9_SI_JZNS1_25segmented_radix_sort_implINS0_14default_configELb1EPKaPaPKlPlN2at6native12_GLOBAL__N_18offset_tEEE10hipError_tPvRmT1_PNSt15iterator_traitsIS12_E10value_typeET2_T3_PNS13_IS18_E10value_typeET4_jRbjT5_S1E_jjP12ihipStream_tbEUljE_ZNSN_ISO_Lb1ESQ_SR_ST_SU_SY_EESZ_S10_S11_S12_S16_S17_S18_S1B_S1C_jS1D_jS1E_S1E_jjS1G_bEUljE0_EEESZ_S10_S11_S18_S1C_S1E_T6_T7_T9_mT8_S1G_bDpT10_ENKUlT_T0_E_clISt17integral_constantIbLb0EES1U_EEDaS1P_S1Q_EUlS1P_E_NS1_11comp_targetILNS1_3genE9ELNS1_11target_archE1100ELNS1_3gpuE3ELNS1_3repE0EEENS1_30default_config_static_selectorELNS0_4arch9wavefront6targetE0EEEvS12_.uses_flat_scratch, 0
	.set _ZN7rocprim17ROCPRIM_400000_NS6detail17trampoline_kernelINS0_13select_configILj256ELj13ELNS0_17block_load_methodE3ELS4_3ELS4_3ELNS0_20block_scan_algorithmE0ELj4294967295EEENS1_25partition_config_selectorILNS1_17partition_subalgoE4EjNS0_10empty_typeEbEEZZNS1_14partition_implILS8_4ELb0ES6_15HIP_vector_typeIjLj2EENS0_17counting_iteratorIjlEEPS9_SG_NS0_5tupleIJPjSI_NS0_16reverse_iteratorISI_EEEEENSH_IJSG_SG_SG_EEES9_SI_JZNS1_25segmented_radix_sort_implINS0_14default_configELb1EPKaPaPKlPlN2at6native12_GLOBAL__N_18offset_tEEE10hipError_tPvRmT1_PNSt15iterator_traitsIS12_E10value_typeET2_T3_PNS13_IS18_E10value_typeET4_jRbjT5_S1E_jjP12ihipStream_tbEUljE_ZNSN_ISO_Lb1ESQ_SR_ST_SU_SY_EESZ_S10_S11_S12_S16_S17_S18_S1B_S1C_jS1D_jS1E_S1E_jjS1G_bEUljE0_EEESZ_S10_S11_S18_S1C_S1E_T6_T7_T9_mT8_S1G_bDpT10_ENKUlT_T0_E_clISt17integral_constantIbLb0EES1U_EEDaS1P_S1Q_EUlS1P_E_NS1_11comp_targetILNS1_3genE9ELNS1_11target_archE1100ELNS1_3gpuE3ELNS1_3repE0EEENS1_30default_config_static_selectorELNS0_4arch9wavefront6targetE0EEEvS12_.has_dyn_sized_stack, 0
	.set _ZN7rocprim17ROCPRIM_400000_NS6detail17trampoline_kernelINS0_13select_configILj256ELj13ELNS0_17block_load_methodE3ELS4_3ELS4_3ELNS0_20block_scan_algorithmE0ELj4294967295EEENS1_25partition_config_selectorILNS1_17partition_subalgoE4EjNS0_10empty_typeEbEEZZNS1_14partition_implILS8_4ELb0ES6_15HIP_vector_typeIjLj2EENS0_17counting_iteratorIjlEEPS9_SG_NS0_5tupleIJPjSI_NS0_16reverse_iteratorISI_EEEEENSH_IJSG_SG_SG_EEES9_SI_JZNS1_25segmented_radix_sort_implINS0_14default_configELb1EPKaPaPKlPlN2at6native12_GLOBAL__N_18offset_tEEE10hipError_tPvRmT1_PNSt15iterator_traitsIS12_E10value_typeET2_T3_PNS13_IS18_E10value_typeET4_jRbjT5_S1E_jjP12ihipStream_tbEUljE_ZNSN_ISO_Lb1ESQ_SR_ST_SU_SY_EESZ_S10_S11_S12_S16_S17_S18_S1B_S1C_jS1D_jS1E_S1E_jjS1G_bEUljE0_EEESZ_S10_S11_S18_S1C_S1E_T6_T7_T9_mT8_S1G_bDpT10_ENKUlT_T0_E_clISt17integral_constantIbLb0EES1U_EEDaS1P_S1Q_EUlS1P_E_NS1_11comp_targetILNS1_3genE9ELNS1_11target_archE1100ELNS1_3gpuE3ELNS1_3repE0EEENS1_30default_config_static_selectorELNS0_4arch9wavefront6targetE0EEEvS12_.has_recursion, 0
	.set _ZN7rocprim17ROCPRIM_400000_NS6detail17trampoline_kernelINS0_13select_configILj256ELj13ELNS0_17block_load_methodE3ELS4_3ELS4_3ELNS0_20block_scan_algorithmE0ELj4294967295EEENS1_25partition_config_selectorILNS1_17partition_subalgoE4EjNS0_10empty_typeEbEEZZNS1_14partition_implILS8_4ELb0ES6_15HIP_vector_typeIjLj2EENS0_17counting_iteratorIjlEEPS9_SG_NS0_5tupleIJPjSI_NS0_16reverse_iteratorISI_EEEEENSH_IJSG_SG_SG_EEES9_SI_JZNS1_25segmented_radix_sort_implINS0_14default_configELb1EPKaPaPKlPlN2at6native12_GLOBAL__N_18offset_tEEE10hipError_tPvRmT1_PNSt15iterator_traitsIS12_E10value_typeET2_T3_PNS13_IS18_E10value_typeET4_jRbjT5_S1E_jjP12ihipStream_tbEUljE_ZNSN_ISO_Lb1ESQ_SR_ST_SU_SY_EESZ_S10_S11_S12_S16_S17_S18_S1B_S1C_jS1D_jS1E_S1E_jjS1G_bEUljE0_EEESZ_S10_S11_S18_S1C_S1E_T6_T7_T9_mT8_S1G_bDpT10_ENKUlT_T0_E_clISt17integral_constantIbLb0EES1U_EEDaS1P_S1Q_EUlS1P_E_NS1_11comp_targetILNS1_3genE9ELNS1_11target_archE1100ELNS1_3gpuE3ELNS1_3repE0EEENS1_30default_config_static_selectorELNS0_4arch9wavefront6targetE0EEEvS12_.has_indirect_call, 0
	.section	.AMDGPU.csdata,"",@progbits
; Kernel info:
; codeLenInByte = 0
; TotalNumSgprs: 0
; NumVgprs: 0
; ScratchSize: 0
; MemoryBound: 0
; FloatMode: 240
; IeeeMode: 1
; LDSByteSize: 0 bytes/workgroup (compile time only)
; SGPRBlocks: 0
; VGPRBlocks: 0
; NumSGPRsForWavesPerEU: 1
; NumVGPRsForWavesPerEU: 1
; NamedBarCnt: 0
; Occupancy: 16
; WaveLimiterHint : 0
; COMPUTE_PGM_RSRC2:SCRATCH_EN: 0
; COMPUTE_PGM_RSRC2:USER_SGPR: 2
; COMPUTE_PGM_RSRC2:TRAP_HANDLER: 0
; COMPUTE_PGM_RSRC2:TGID_X_EN: 1
; COMPUTE_PGM_RSRC2:TGID_Y_EN: 0
; COMPUTE_PGM_RSRC2:TGID_Z_EN: 0
; COMPUTE_PGM_RSRC2:TIDIG_COMP_CNT: 0
	.section	.text._ZN7rocprim17ROCPRIM_400000_NS6detail17trampoline_kernelINS0_13select_configILj256ELj13ELNS0_17block_load_methodE3ELS4_3ELS4_3ELNS0_20block_scan_algorithmE0ELj4294967295EEENS1_25partition_config_selectorILNS1_17partition_subalgoE4EjNS0_10empty_typeEbEEZZNS1_14partition_implILS8_4ELb0ES6_15HIP_vector_typeIjLj2EENS0_17counting_iteratorIjlEEPS9_SG_NS0_5tupleIJPjSI_NS0_16reverse_iteratorISI_EEEEENSH_IJSG_SG_SG_EEES9_SI_JZNS1_25segmented_radix_sort_implINS0_14default_configELb1EPKaPaPKlPlN2at6native12_GLOBAL__N_18offset_tEEE10hipError_tPvRmT1_PNSt15iterator_traitsIS12_E10value_typeET2_T3_PNS13_IS18_E10value_typeET4_jRbjT5_S1E_jjP12ihipStream_tbEUljE_ZNSN_ISO_Lb1ESQ_SR_ST_SU_SY_EESZ_S10_S11_S12_S16_S17_S18_S1B_S1C_jS1D_jS1E_S1E_jjS1G_bEUljE0_EEESZ_S10_S11_S18_S1C_S1E_T6_T7_T9_mT8_S1G_bDpT10_ENKUlT_T0_E_clISt17integral_constantIbLb0EES1U_EEDaS1P_S1Q_EUlS1P_E_NS1_11comp_targetILNS1_3genE8ELNS1_11target_archE1030ELNS1_3gpuE2ELNS1_3repE0EEENS1_30default_config_static_selectorELNS0_4arch9wavefront6targetE0EEEvS12_,"axG",@progbits,_ZN7rocprim17ROCPRIM_400000_NS6detail17trampoline_kernelINS0_13select_configILj256ELj13ELNS0_17block_load_methodE3ELS4_3ELS4_3ELNS0_20block_scan_algorithmE0ELj4294967295EEENS1_25partition_config_selectorILNS1_17partition_subalgoE4EjNS0_10empty_typeEbEEZZNS1_14partition_implILS8_4ELb0ES6_15HIP_vector_typeIjLj2EENS0_17counting_iteratorIjlEEPS9_SG_NS0_5tupleIJPjSI_NS0_16reverse_iteratorISI_EEEEENSH_IJSG_SG_SG_EEES9_SI_JZNS1_25segmented_radix_sort_implINS0_14default_configELb1EPKaPaPKlPlN2at6native12_GLOBAL__N_18offset_tEEE10hipError_tPvRmT1_PNSt15iterator_traitsIS12_E10value_typeET2_T3_PNS13_IS18_E10value_typeET4_jRbjT5_S1E_jjP12ihipStream_tbEUljE_ZNSN_ISO_Lb1ESQ_SR_ST_SU_SY_EESZ_S10_S11_S12_S16_S17_S18_S1B_S1C_jS1D_jS1E_S1E_jjS1G_bEUljE0_EEESZ_S10_S11_S18_S1C_S1E_T6_T7_T9_mT8_S1G_bDpT10_ENKUlT_T0_E_clISt17integral_constantIbLb0EES1U_EEDaS1P_S1Q_EUlS1P_E_NS1_11comp_targetILNS1_3genE8ELNS1_11target_archE1030ELNS1_3gpuE2ELNS1_3repE0EEENS1_30default_config_static_selectorELNS0_4arch9wavefront6targetE0EEEvS12_,comdat
	.globl	_ZN7rocprim17ROCPRIM_400000_NS6detail17trampoline_kernelINS0_13select_configILj256ELj13ELNS0_17block_load_methodE3ELS4_3ELS4_3ELNS0_20block_scan_algorithmE0ELj4294967295EEENS1_25partition_config_selectorILNS1_17partition_subalgoE4EjNS0_10empty_typeEbEEZZNS1_14partition_implILS8_4ELb0ES6_15HIP_vector_typeIjLj2EENS0_17counting_iteratorIjlEEPS9_SG_NS0_5tupleIJPjSI_NS0_16reverse_iteratorISI_EEEEENSH_IJSG_SG_SG_EEES9_SI_JZNS1_25segmented_radix_sort_implINS0_14default_configELb1EPKaPaPKlPlN2at6native12_GLOBAL__N_18offset_tEEE10hipError_tPvRmT1_PNSt15iterator_traitsIS12_E10value_typeET2_T3_PNS13_IS18_E10value_typeET4_jRbjT5_S1E_jjP12ihipStream_tbEUljE_ZNSN_ISO_Lb1ESQ_SR_ST_SU_SY_EESZ_S10_S11_S12_S16_S17_S18_S1B_S1C_jS1D_jS1E_S1E_jjS1G_bEUljE0_EEESZ_S10_S11_S18_S1C_S1E_T6_T7_T9_mT8_S1G_bDpT10_ENKUlT_T0_E_clISt17integral_constantIbLb0EES1U_EEDaS1P_S1Q_EUlS1P_E_NS1_11comp_targetILNS1_3genE8ELNS1_11target_archE1030ELNS1_3gpuE2ELNS1_3repE0EEENS1_30default_config_static_selectorELNS0_4arch9wavefront6targetE0EEEvS12_ ; -- Begin function _ZN7rocprim17ROCPRIM_400000_NS6detail17trampoline_kernelINS0_13select_configILj256ELj13ELNS0_17block_load_methodE3ELS4_3ELS4_3ELNS0_20block_scan_algorithmE0ELj4294967295EEENS1_25partition_config_selectorILNS1_17partition_subalgoE4EjNS0_10empty_typeEbEEZZNS1_14partition_implILS8_4ELb0ES6_15HIP_vector_typeIjLj2EENS0_17counting_iteratorIjlEEPS9_SG_NS0_5tupleIJPjSI_NS0_16reverse_iteratorISI_EEEEENSH_IJSG_SG_SG_EEES9_SI_JZNS1_25segmented_radix_sort_implINS0_14default_configELb1EPKaPaPKlPlN2at6native12_GLOBAL__N_18offset_tEEE10hipError_tPvRmT1_PNSt15iterator_traitsIS12_E10value_typeET2_T3_PNS13_IS18_E10value_typeET4_jRbjT5_S1E_jjP12ihipStream_tbEUljE_ZNSN_ISO_Lb1ESQ_SR_ST_SU_SY_EESZ_S10_S11_S12_S16_S17_S18_S1B_S1C_jS1D_jS1E_S1E_jjS1G_bEUljE0_EEESZ_S10_S11_S18_S1C_S1E_T6_T7_T9_mT8_S1G_bDpT10_ENKUlT_T0_E_clISt17integral_constantIbLb0EES1U_EEDaS1P_S1Q_EUlS1P_E_NS1_11comp_targetILNS1_3genE8ELNS1_11target_archE1030ELNS1_3gpuE2ELNS1_3repE0EEENS1_30default_config_static_selectorELNS0_4arch9wavefront6targetE0EEEvS12_
	.p2align	8
	.type	_ZN7rocprim17ROCPRIM_400000_NS6detail17trampoline_kernelINS0_13select_configILj256ELj13ELNS0_17block_load_methodE3ELS4_3ELS4_3ELNS0_20block_scan_algorithmE0ELj4294967295EEENS1_25partition_config_selectorILNS1_17partition_subalgoE4EjNS0_10empty_typeEbEEZZNS1_14partition_implILS8_4ELb0ES6_15HIP_vector_typeIjLj2EENS0_17counting_iteratorIjlEEPS9_SG_NS0_5tupleIJPjSI_NS0_16reverse_iteratorISI_EEEEENSH_IJSG_SG_SG_EEES9_SI_JZNS1_25segmented_radix_sort_implINS0_14default_configELb1EPKaPaPKlPlN2at6native12_GLOBAL__N_18offset_tEEE10hipError_tPvRmT1_PNSt15iterator_traitsIS12_E10value_typeET2_T3_PNS13_IS18_E10value_typeET4_jRbjT5_S1E_jjP12ihipStream_tbEUljE_ZNSN_ISO_Lb1ESQ_SR_ST_SU_SY_EESZ_S10_S11_S12_S16_S17_S18_S1B_S1C_jS1D_jS1E_S1E_jjS1G_bEUljE0_EEESZ_S10_S11_S18_S1C_S1E_T6_T7_T9_mT8_S1G_bDpT10_ENKUlT_T0_E_clISt17integral_constantIbLb0EES1U_EEDaS1P_S1Q_EUlS1P_E_NS1_11comp_targetILNS1_3genE8ELNS1_11target_archE1030ELNS1_3gpuE2ELNS1_3repE0EEENS1_30default_config_static_selectorELNS0_4arch9wavefront6targetE0EEEvS12_,@function
_ZN7rocprim17ROCPRIM_400000_NS6detail17trampoline_kernelINS0_13select_configILj256ELj13ELNS0_17block_load_methodE3ELS4_3ELS4_3ELNS0_20block_scan_algorithmE0ELj4294967295EEENS1_25partition_config_selectorILNS1_17partition_subalgoE4EjNS0_10empty_typeEbEEZZNS1_14partition_implILS8_4ELb0ES6_15HIP_vector_typeIjLj2EENS0_17counting_iteratorIjlEEPS9_SG_NS0_5tupleIJPjSI_NS0_16reverse_iteratorISI_EEEEENSH_IJSG_SG_SG_EEES9_SI_JZNS1_25segmented_radix_sort_implINS0_14default_configELb1EPKaPaPKlPlN2at6native12_GLOBAL__N_18offset_tEEE10hipError_tPvRmT1_PNSt15iterator_traitsIS12_E10value_typeET2_T3_PNS13_IS18_E10value_typeET4_jRbjT5_S1E_jjP12ihipStream_tbEUljE_ZNSN_ISO_Lb1ESQ_SR_ST_SU_SY_EESZ_S10_S11_S12_S16_S17_S18_S1B_S1C_jS1D_jS1E_S1E_jjS1G_bEUljE0_EEESZ_S10_S11_S18_S1C_S1E_T6_T7_T9_mT8_S1G_bDpT10_ENKUlT_T0_E_clISt17integral_constantIbLb0EES1U_EEDaS1P_S1Q_EUlS1P_E_NS1_11comp_targetILNS1_3genE8ELNS1_11target_archE1030ELNS1_3gpuE2ELNS1_3repE0EEENS1_30default_config_static_selectorELNS0_4arch9wavefront6targetE0EEEvS12_: ; @_ZN7rocprim17ROCPRIM_400000_NS6detail17trampoline_kernelINS0_13select_configILj256ELj13ELNS0_17block_load_methodE3ELS4_3ELS4_3ELNS0_20block_scan_algorithmE0ELj4294967295EEENS1_25partition_config_selectorILNS1_17partition_subalgoE4EjNS0_10empty_typeEbEEZZNS1_14partition_implILS8_4ELb0ES6_15HIP_vector_typeIjLj2EENS0_17counting_iteratorIjlEEPS9_SG_NS0_5tupleIJPjSI_NS0_16reverse_iteratorISI_EEEEENSH_IJSG_SG_SG_EEES9_SI_JZNS1_25segmented_radix_sort_implINS0_14default_configELb1EPKaPaPKlPlN2at6native12_GLOBAL__N_18offset_tEEE10hipError_tPvRmT1_PNSt15iterator_traitsIS12_E10value_typeET2_T3_PNS13_IS18_E10value_typeET4_jRbjT5_S1E_jjP12ihipStream_tbEUljE_ZNSN_ISO_Lb1ESQ_SR_ST_SU_SY_EESZ_S10_S11_S12_S16_S17_S18_S1B_S1C_jS1D_jS1E_S1E_jjS1G_bEUljE0_EEESZ_S10_S11_S18_S1C_S1E_T6_T7_T9_mT8_S1G_bDpT10_ENKUlT_T0_E_clISt17integral_constantIbLb0EES1U_EEDaS1P_S1Q_EUlS1P_E_NS1_11comp_targetILNS1_3genE8ELNS1_11target_archE1030ELNS1_3gpuE2ELNS1_3repE0EEENS1_30default_config_static_selectorELNS0_4arch9wavefront6targetE0EEEvS12_
; %bb.0:
	.section	.rodata,"a",@progbits
	.p2align	6, 0x0
	.amdhsa_kernel _ZN7rocprim17ROCPRIM_400000_NS6detail17trampoline_kernelINS0_13select_configILj256ELj13ELNS0_17block_load_methodE3ELS4_3ELS4_3ELNS0_20block_scan_algorithmE0ELj4294967295EEENS1_25partition_config_selectorILNS1_17partition_subalgoE4EjNS0_10empty_typeEbEEZZNS1_14partition_implILS8_4ELb0ES6_15HIP_vector_typeIjLj2EENS0_17counting_iteratorIjlEEPS9_SG_NS0_5tupleIJPjSI_NS0_16reverse_iteratorISI_EEEEENSH_IJSG_SG_SG_EEES9_SI_JZNS1_25segmented_radix_sort_implINS0_14default_configELb1EPKaPaPKlPlN2at6native12_GLOBAL__N_18offset_tEEE10hipError_tPvRmT1_PNSt15iterator_traitsIS12_E10value_typeET2_T3_PNS13_IS18_E10value_typeET4_jRbjT5_S1E_jjP12ihipStream_tbEUljE_ZNSN_ISO_Lb1ESQ_SR_ST_SU_SY_EESZ_S10_S11_S12_S16_S17_S18_S1B_S1C_jS1D_jS1E_S1E_jjS1G_bEUljE0_EEESZ_S10_S11_S18_S1C_S1E_T6_T7_T9_mT8_S1G_bDpT10_ENKUlT_T0_E_clISt17integral_constantIbLb0EES1U_EEDaS1P_S1Q_EUlS1P_E_NS1_11comp_targetILNS1_3genE8ELNS1_11target_archE1030ELNS1_3gpuE2ELNS1_3repE0EEENS1_30default_config_static_selectorELNS0_4arch9wavefront6targetE0EEEvS12_
		.amdhsa_group_segment_fixed_size 0
		.amdhsa_private_segment_fixed_size 0
		.amdhsa_kernarg_size 176
		.amdhsa_user_sgpr_count 2
		.amdhsa_user_sgpr_dispatch_ptr 0
		.amdhsa_user_sgpr_queue_ptr 0
		.amdhsa_user_sgpr_kernarg_segment_ptr 1
		.amdhsa_user_sgpr_dispatch_id 0
		.amdhsa_user_sgpr_kernarg_preload_length 0
		.amdhsa_user_sgpr_kernarg_preload_offset 0
		.amdhsa_user_sgpr_private_segment_size 0
		.amdhsa_wavefront_size32 1
		.amdhsa_uses_dynamic_stack 0
		.amdhsa_enable_private_segment 0
		.amdhsa_system_sgpr_workgroup_id_x 1
		.amdhsa_system_sgpr_workgroup_id_y 0
		.amdhsa_system_sgpr_workgroup_id_z 0
		.amdhsa_system_sgpr_workgroup_info 0
		.amdhsa_system_vgpr_workitem_id 0
		.amdhsa_next_free_vgpr 1
		.amdhsa_next_free_sgpr 1
		.amdhsa_named_barrier_count 0
		.amdhsa_reserve_vcc 0
		.amdhsa_float_round_mode_32 0
		.amdhsa_float_round_mode_16_64 0
		.amdhsa_float_denorm_mode_32 3
		.amdhsa_float_denorm_mode_16_64 3
		.amdhsa_fp16_overflow 0
		.amdhsa_memory_ordered 1
		.amdhsa_forward_progress 1
		.amdhsa_inst_pref_size 0
		.amdhsa_round_robin_scheduling 0
		.amdhsa_exception_fp_ieee_invalid_op 0
		.amdhsa_exception_fp_denorm_src 0
		.amdhsa_exception_fp_ieee_div_zero 0
		.amdhsa_exception_fp_ieee_overflow 0
		.amdhsa_exception_fp_ieee_underflow 0
		.amdhsa_exception_fp_ieee_inexact 0
		.amdhsa_exception_int_div_zero 0
	.end_amdhsa_kernel
	.section	.text._ZN7rocprim17ROCPRIM_400000_NS6detail17trampoline_kernelINS0_13select_configILj256ELj13ELNS0_17block_load_methodE3ELS4_3ELS4_3ELNS0_20block_scan_algorithmE0ELj4294967295EEENS1_25partition_config_selectorILNS1_17partition_subalgoE4EjNS0_10empty_typeEbEEZZNS1_14partition_implILS8_4ELb0ES6_15HIP_vector_typeIjLj2EENS0_17counting_iteratorIjlEEPS9_SG_NS0_5tupleIJPjSI_NS0_16reverse_iteratorISI_EEEEENSH_IJSG_SG_SG_EEES9_SI_JZNS1_25segmented_radix_sort_implINS0_14default_configELb1EPKaPaPKlPlN2at6native12_GLOBAL__N_18offset_tEEE10hipError_tPvRmT1_PNSt15iterator_traitsIS12_E10value_typeET2_T3_PNS13_IS18_E10value_typeET4_jRbjT5_S1E_jjP12ihipStream_tbEUljE_ZNSN_ISO_Lb1ESQ_SR_ST_SU_SY_EESZ_S10_S11_S12_S16_S17_S18_S1B_S1C_jS1D_jS1E_S1E_jjS1G_bEUljE0_EEESZ_S10_S11_S18_S1C_S1E_T6_T7_T9_mT8_S1G_bDpT10_ENKUlT_T0_E_clISt17integral_constantIbLb0EES1U_EEDaS1P_S1Q_EUlS1P_E_NS1_11comp_targetILNS1_3genE8ELNS1_11target_archE1030ELNS1_3gpuE2ELNS1_3repE0EEENS1_30default_config_static_selectorELNS0_4arch9wavefront6targetE0EEEvS12_,"axG",@progbits,_ZN7rocprim17ROCPRIM_400000_NS6detail17trampoline_kernelINS0_13select_configILj256ELj13ELNS0_17block_load_methodE3ELS4_3ELS4_3ELNS0_20block_scan_algorithmE0ELj4294967295EEENS1_25partition_config_selectorILNS1_17partition_subalgoE4EjNS0_10empty_typeEbEEZZNS1_14partition_implILS8_4ELb0ES6_15HIP_vector_typeIjLj2EENS0_17counting_iteratorIjlEEPS9_SG_NS0_5tupleIJPjSI_NS0_16reverse_iteratorISI_EEEEENSH_IJSG_SG_SG_EEES9_SI_JZNS1_25segmented_radix_sort_implINS0_14default_configELb1EPKaPaPKlPlN2at6native12_GLOBAL__N_18offset_tEEE10hipError_tPvRmT1_PNSt15iterator_traitsIS12_E10value_typeET2_T3_PNS13_IS18_E10value_typeET4_jRbjT5_S1E_jjP12ihipStream_tbEUljE_ZNSN_ISO_Lb1ESQ_SR_ST_SU_SY_EESZ_S10_S11_S12_S16_S17_S18_S1B_S1C_jS1D_jS1E_S1E_jjS1G_bEUljE0_EEESZ_S10_S11_S18_S1C_S1E_T6_T7_T9_mT8_S1G_bDpT10_ENKUlT_T0_E_clISt17integral_constantIbLb0EES1U_EEDaS1P_S1Q_EUlS1P_E_NS1_11comp_targetILNS1_3genE8ELNS1_11target_archE1030ELNS1_3gpuE2ELNS1_3repE0EEENS1_30default_config_static_selectorELNS0_4arch9wavefront6targetE0EEEvS12_,comdat
.Lfunc_end231:
	.size	_ZN7rocprim17ROCPRIM_400000_NS6detail17trampoline_kernelINS0_13select_configILj256ELj13ELNS0_17block_load_methodE3ELS4_3ELS4_3ELNS0_20block_scan_algorithmE0ELj4294967295EEENS1_25partition_config_selectorILNS1_17partition_subalgoE4EjNS0_10empty_typeEbEEZZNS1_14partition_implILS8_4ELb0ES6_15HIP_vector_typeIjLj2EENS0_17counting_iteratorIjlEEPS9_SG_NS0_5tupleIJPjSI_NS0_16reverse_iteratorISI_EEEEENSH_IJSG_SG_SG_EEES9_SI_JZNS1_25segmented_radix_sort_implINS0_14default_configELb1EPKaPaPKlPlN2at6native12_GLOBAL__N_18offset_tEEE10hipError_tPvRmT1_PNSt15iterator_traitsIS12_E10value_typeET2_T3_PNS13_IS18_E10value_typeET4_jRbjT5_S1E_jjP12ihipStream_tbEUljE_ZNSN_ISO_Lb1ESQ_SR_ST_SU_SY_EESZ_S10_S11_S12_S16_S17_S18_S1B_S1C_jS1D_jS1E_S1E_jjS1G_bEUljE0_EEESZ_S10_S11_S18_S1C_S1E_T6_T7_T9_mT8_S1G_bDpT10_ENKUlT_T0_E_clISt17integral_constantIbLb0EES1U_EEDaS1P_S1Q_EUlS1P_E_NS1_11comp_targetILNS1_3genE8ELNS1_11target_archE1030ELNS1_3gpuE2ELNS1_3repE0EEENS1_30default_config_static_selectorELNS0_4arch9wavefront6targetE0EEEvS12_, .Lfunc_end231-_ZN7rocprim17ROCPRIM_400000_NS6detail17trampoline_kernelINS0_13select_configILj256ELj13ELNS0_17block_load_methodE3ELS4_3ELS4_3ELNS0_20block_scan_algorithmE0ELj4294967295EEENS1_25partition_config_selectorILNS1_17partition_subalgoE4EjNS0_10empty_typeEbEEZZNS1_14partition_implILS8_4ELb0ES6_15HIP_vector_typeIjLj2EENS0_17counting_iteratorIjlEEPS9_SG_NS0_5tupleIJPjSI_NS0_16reverse_iteratorISI_EEEEENSH_IJSG_SG_SG_EEES9_SI_JZNS1_25segmented_radix_sort_implINS0_14default_configELb1EPKaPaPKlPlN2at6native12_GLOBAL__N_18offset_tEEE10hipError_tPvRmT1_PNSt15iterator_traitsIS12_E10value_typeET2_T3_PNS13_IS18_E10value_typeET4_jRbjT5_S1E_jjP12ihipStream_tbEUljE_ZNSN_ISO_Lb1ESQ_SR_ST_SU_SY_EESZ_S10_S11_S12_S16_S17_S18_S1B_S1C_jS1D_jS1E_S1E_jjS1G_bEUljE0_EEESZ_S10_S11_S18_S1C_S1E_T6_T7_T9_mT8_S1G_bDpT10_ENKUlT_T0_E_clISt17integral_constantIbLb0EES1U_EEDaS1P_S1Q_EUlS1P_E_NS1_11comp_targetILNS1_3genE8ELNS1_11target_archE1030ELNS1_3gpuE2ELNS1_3repE0EEENS1_30default_config_static_selectorELNS0_4arch9wavefront6targetE0EEEvS12_
                                        ; -- End function
	.set _ZN7rocprim17ROCPRIM_400000_NS6detail17trampoline_kernelINS0_13select_configILj256ELj13ELNS0_17block_load_methodE3ELS4_3ELS4_3ELNS0_20block_scan_algorithmE0ELj4294967295EEENS1_25partition_config_selectorILNS1_17partition_subalgoE4EjNS0_10empty_typeEbEEZZNS1_14partition_implILS8_4ELb0ES6_15HIP_vector_typeIjLj2EENS0_17counting_iteratorIjlEEPS9_SG_NS0_5tupleIJPjSI_NS0_16reverse_iteratorISI_EEEEENSH_IJSG_SG_SG_EEES9_SI_JZNS1_25segmented_radix_sort_implINS0_14default_configELb1EPKaPaPKlPlN2at6native12_GLOBAL__N_18offset_tEEE10hipError_tPvRmT1_PNSt15iterator_traitsIS12_E10value_typeET2_T3_PNS13_IS18_E10value_typeET4_jRbjT5_S1E_jjP12ihipStream_tbEUljE_ZNSN_ISO_Lb1ESQ_SR_ST_SU_SY_EESZ_S10_S11_S12_S16_S17_S18_S1B_S1C_jS1D_jS1E_S1E_jjS1G_bEUljE0_EEESZ_S10_S11_S18_S1C_S1E_T6_T7_T9_mT8_S1G_bDpT10_ENKUlT_T0_E_clISt17integral_constantIbLb0EES1U_EEDaS1P_S1Q_EUlS1P_E_NS1_11comp_targetILNS1_3genE8ELNS1_11target_archE1030ELNS1_3gpuE2ELNS1_3repE0EEENS1_30default_config_static_selectorELNS0_4arch9wavefront6targetE0EEEvS12_.num_vgpr, 0
	.set _ZN7rocprim17ROCPRIM_400000_NS6detail17trampoline_kernelINS0_13select_configILj256ELj13ELNS0_17block_load_methodE3ELS4_3ELS4_3ELNS0_20block_scan_algorithmE0ELj4294967295EEENS1_25partition_config_selectorILNS1_17partition_subalgoE4EjNS0_10empty_typeEbEEZZNS1_14partition_implILS8_4ELb0ES6_15HIP_vector_typeIjLj2EENS0_17counting_iteratorIjlEEPS9_SG_NS0_5tupleIJPjSI_NS0_16reverse_iteratorISI_EEEEENSH_IJSG_SG_SG_EEES9_SI_JZNS1_25segmented_radix_sort_implINS0_14default_configELb1EPKaPaPKlPlN2at6native12_GLOBAL__N_18offset_tEEE10hipError_tPvRmT1_PNSt15iterator_traitsIS12_E10value_typeET2_T3_PNS13_IS18_E10value_typeET4_jRbjT5_S1E_jjP12ihipStream_tbEUljE_ZNSN_ISO_Lb1ESQ_SR_ST_SU_SY_EESZ_S10_S11_S12_S16_S17_S18_S1B_S1C_jS1D_jS1E_S1E_jjS1G_bEUljE0_EEESZ_S10_S11_S18_S1C_S1E_T6_T7_T9_mT8_S1G_bDpT10_ENKUlT_T0_E_clISt17integral_constantIbLb0EES1U_EEDaS1P_S1Q_EUlS1P_E_NS1_11comp_targetILNS1_3genE8ELNS1_11target_archE1030ELNS1_3gpuE2ELNS1_3repE0EEENS1_30default_config_static_selectorELNS0_4arch9wavefront6targetE0EEEvS12_.num_agpr, 0
	.set _ZN7rocprim17ROCPRIM_400000_NS6detail17trampoline_kernelINS0_13select_configILj256ELj13ELNS0_17block_load_methodE3ELS4_3ELS4_3ELNS0_20block_scan_algorithmE0ELj4294967295EEENS1_25partition_config_selectorILNS1_17partition_subalgoE4EjNS0_10empty_typeEbEEZZNS1_14partition_implILS8_4ELb0ES6_15HIP_vector_typeIjLj2EENS0_17counting_iteratorIjlEEPS9_SG_NS0_5tupleIJPjSI_NS0_16reverse_iteratorISI_EEEEENSH_IJSG_SG_SG_EEES9_SI_JZNS1_25segmented_radix_sort_implINS0_14default_configELb1EPKaPaPKlPlN2at6native12_GLOBAL__N_18offset_tEEE10hipError_tPvRmT1_PNSt15iterator_traitsIS12_E10value_typeET2_T3_PNS13_IS18_E10value_typeET4_jRbjT5_S1E_jjP12ihipStream_tbEUljE_ZNSN_ISO_Lb1ESQ_SR_ST_SU_SY_EESZ_S10_S11_S12_S16_S17_S18_S1B_S1C_jS1D_jS1E_S1E_jjS1G_bEUljE0_EEESZ_S10_S11_S18_S1C_S1E_T6_T7_T9_mT8_S1G_bDpT10_ENKUlT_T0_E_clISt17integral_constantIbLb0EES1U_EEDaS1P_S1Q_EUlS1P_E_NS1_11comp_targetILNS1_3genE8ELNS1_11target_archE1030ELNS1_3gpuE2ELNS1_3repE0EEENS1_30default_config_static_selectorELNS0_4arch9wavefront6targetE0EEEvS12_.numbered_sgpr, 0
	.set _ZN7rocprim17ROCPRIM_400000_NS6detail17trampoline_kernelINS0_13select_configILj256ELj13ELNS0_17block_load_methodE3ELS4_3ELS4_3ELNS0_20block_scan_algorithmE0ELj4294967295EEENS1_25partition_config_selectorILNS1_17partition_subalgoE4EjNS0_10empty_typeEbEEZZNS1_14partition_implILS8_4ELb0ES6_15HIP_vector_typeIjLj2EENS0_17counting_iteratorIjlEEPS9_SG_NS0_5tupleIJPjSI_NS0_16reverse_iteratorISI_EEEEENSH_IJSG_SG_SG_EEES9_SI_JZNS1_25segmented_radix_sort_implINS0_14default_configELb1EPKaPaPKlPlN2at6native12_GLOBAL__N_18offset_tEEE10hipError_tPvRmT1_PNSt15iterator_traitsIS12_E10value_typeET2_T3_PNS13_IS18_E10value_typeET4_jRbjT5_S1E_jjP12ihipStream_tbEUljE_ZNSN_ISO_Lb1ESQ_SR_ST_SU_SY_EESZ_S10_S11_S12_S16_S17_S18_S1B_S1C_jS1D_jS1E_S1E_jjS1G_bEUljE0_EEESZ_S10_S11_S18_S1C_S1E_T6_T7_T9_mT8_S1G_bDpT10_ENKUlT_T0_E_clISt17integral_constantIbLb0EES1U_EEDaS1P_S1Q_EUlS1P_E_NS1_11comp_targetILNS1_3genE8ELNS1_11target_archE1030ELNS1_3gpuE2ELNS1_3repE0EEENS1_30default_config_static_selectorELNS0_4arch9wavefront6targetE0EEEvS12_.num_named_barrier, 0
	.set _ZN7rocprim17ROCPRIM_400000_NS6detail17trampoline_kernelINS0_13select_configILj256ELj13ELNS0_17block_load_methodE3ELS4_3ELS4_3ELNS0_20block_scan_algorithmE0ELj4294967295EEENS1_25partition_config_selectorILNS1_17partition_subalgoE4EjNS0_10empty_typeEbEEZZNS1_14partition_implILS8_4ELb0ES6_15HIP_vector_typeIjLj2EENS0_17counting_iteratorIjlEEPS9_SG_NS0_5tupleIJPjSI_NS0_16reverse_iteratorISI_EEEEENSH_IJSG_SG_SG_EEES9_SI_JZNS1_25segmented_radix_sort_implINS0_14default_configELb1EPKaPaPKlPlN2at6native12_GLOBAL__N_18offset_tEEE10hipError_tPvRmT1_PNSt15iterator_traitsIS12_E10value_typeET2_T3_PNS13_IS18_E10value_typeET4_jRbjT5_S1E_jjP12ihipStream_tbEUljE_ZNSN_ISO_Lb1ESQ_SR_ST_SU_SY_EESZ_S10_S11_S12_S16_S17_S18_S1B_S1C_jS1D_jS1E_S1E_jjS1G_bEUljE0_EEESZ_S10_S11_S18_S1C_S1E_T6_T7_T9_mT8_S1G_bDpT10_ENKUlT_T0_E_clISt17integral_constantIbLb0EES1U_EEDaS1P_S1Q_EUlS1P_E_NS1_11comp_targetILNS1_3genE8ELNS1_11target_archE1030ELNS1_3gpuE2ELNS1_3repE0EEENS1_30default_config_static_selectorELNS0_4arch9wavefront6targetE0EEEvS12_.private_seg_size, 0
	.set _ZN7rocprim17ROCPRIM_400000_NS6detail17trampoline_kernelINS0_13select_configILj256ELj13ELNS0_17block_load_methodE3ELS4_3ELS4_3ELNS0_20block_scan_algorithmE0ELj4294967295EEENS1_25partition_config_selectorILNS1_17partition_subalgoE4EjNS0_10empty_typeEbEEZZNS1_14partition_implILS8_4ELb0ES6_15HIP_vector_typeIjLj2EENS0_17counting_iteratorIjlEEPS9_SG_NS0_5tupleIJPjSI_NS0_16reverse_iteratorISI_EEEEENSH_IJSG_SG_SG_EEES9_SI_JZNS1_25segmented_radix_sort_implINS0_14default_configELb1EPKaPaPKlPlN2at6native12_GLOBAL__N_18offset_tEEE10hipError_tPvRmT1_PNSt15iterator_traitsIS12_E10value_typeET2_T3_PNS13_IS18_E10value_typeET4_jRbjT5_S1E_jjP12ihipStream_tbEUljE_ZNSN_ISO_Lb1ESQ_SR_ST_SU_SY_EESZ_S10_S11_S12_S16_S17_S18_S1B_S1C_jS1D_jS1E_S1E_jjS1G_bEUljE0_EEESZ_S10_S11_S18_S1C_S1E_T6_T7_T9_mT8_S1G_bDpT10_ENKUlT_T0_E_clISt17integral_constantIbLb0EES1U_EEDaS1P_S1Q_EUlS1P_E_NS1_11comp_targetILNS1_3genE8ELNS1_11target_archE1030ELNS1_3gpuE2ELNS1_3repE0EEENS1_30default_config_static_selectorELNS0_4arch9wavefront6targetE0EEEvS12_.uses_vcc, 0
	.set _ZN7rocprim17ROCPRIM_400000_NS6detail17trampoline_kernelINS0_13select_configILj256ELj13ELNS0_17block_load_methodE3ELS4_3ELS4_3ELNS0_20block_scan_algorithmE0ELj4294967295EEENS1_25partition_config_selectorILNS1_17partition_subalgoE4EjNS0_10empty_typeEbEEZZNS1_14partition_implILS8_4ELb0ES6_15HIP_vector_typeIjLj2EENS0_17counting_iteratorIjlEEPS9_SG_NS0_5tupleIJPjSI_NS0_16reverse_iteratorISI_EEEEENSH_IJSG_SG_SG_EEES9_SI_JZNS1_25segmented_radix_sort_implINS0_14default_configELb1EPKaPaPKlPlN2at6native12_GLOBAL__N_18offset_tEEE10hipError_tPvRmT1_PNSt15iterator_traitsIS12_E10value_typeET2_T3_PNS13_IS18_E10value_typeET4_jRbjT5_S1E_jjP12ihipStream_tbEUljE_ZNSN_ISO_Lb1ESQ_SR_ST_SU_SY_EESZ_S10_S11_S12_S16_S17_S18_S1B_S1C_jS1D_jS1E_S1E_jjS1G_bEUljE0_EEESZ_S10_S11_S18_S1C_S1E_T6_T7_T9_mT8_S1G_bDpT10_ENKUlT_T0_E_clISt17integral_constantIbLb0EES1U_EEDaS1P_S1Q_EUlS1P_E_NS1_11comp_targetILNS1_3genE8ELNS1_11target_archE1030ELNS1_3gpuE2ELNS1_3repE0EEENS1_30default_config_static_selectorELNS0_4arch9wavefront6targetE0EEEvS12_.uses_flat_scratch, 0
	.set _ZN7rocprim17ROCPRIM_400000_NS6detail17trampoline_kernelINS0_13select_configILj256ELj13ELNS0_17block_load_methodE3ELS4_3ELS4_3ELNS0_20block_scan_algorithmE0ELj4294967295EEENS1_25partition_config_selectorILNS1_17partition_subalgoE4EjNS0_10empty_typeEbEEZZNS1_14partition_implILS8_4ELb0ES6_15HIP_vector_typeIjLj2EENS0_17counting_iteratorIjlEEPS9_SG_NS0_5tupleIJPjSI_NS0_16reverse_iteratorISI_EEEEENSH_IJSG_SG_SG_EEES9_SI_JZNS1_25segmented_radix_sort_implINS0_14default_configELb1EPKaPaPKlPlN2at6native12_GLOBAL__N_18offset_tEEE10hipError_tPvRmT1_PNSt15iterator_traitsIS12_E10value_typeET2_T3_PNS13_IS18_E10value_typeET4_jRbjT5_S1E_jjP12ihipStream_tbEUljE_ZNSN_ISO_Lb1ESQ_SR_ST_SU_SY_EESZ_S10_S11_S12_S16_S17_S18_S1B_S1C_jS1D_jS1E_S1E_jjS1G_bEUljE0_EEESZ_S10_S11_S18_S1C_S1E_T6_T7_T9_mT8_S1G_bDpT10_ENKUlT_T0_E_clISt17integral_constantIbLb0EES1U_EEDaS1P_S1Q_EUlS1P_E_NS1_11comp_targetILNS1_3genE8ELNS1_11target_archE1030ELNS1_3gpuE2ELNS1_3repE0EEENS1_30default_config_static_selectorELNS0_4arch9wavefront6targetE0EEEvS12_.has_dyn_sized_stack, 0
	.set _ZN7rocprim17ROCPRIM_400000_NS6detail17trampoline_kernelINS0_13select_configILj256ELj13ELNS0_17block_load_methodE3ELS4_3ELS4_3ELNS0_20block_scan_algorithmE0ELj4294967295EEENS1_25partition_config_selectorILNS1_17partition_subalgoE4EjNS0_10empty_typeEbEEZZNS1_14partition_implILS8_4ELb0ES6_15HIP_vector_typeIjLj2EENS0_17counting_iteratorIjlEEPS9_SG_NS0_5tupleIJPjSI_NS0_16reverse_iteratorISI_EEEEENSH_IJSG_SG_SG_EEES9_SI_JZNS1_25segmented_radix_sort_implINS0_14default_configELb1EPKaPaPKlPlN2at6native12_GLOBAL__N_18offset_tEEE10hipError_tPvRmT1_PNSt15iterator_traitsIS12_E10value_typeET2_T3_PNS13_IS18_E10value_typeET4_jRbjT5_S1E_jjP12ihipStream_tbEUljE_ZNSN_ISO_Lb1ESQ_SR_ST_SU_SY_EESZ_S10_S11_S12_S16_S17_S18_S1B_S1C_jS1D_jS1E_S1E_jjS1G_bEUljE0_EEESZ_S10_S11_S18_S1C_S1E_T6_T7_T9_mT8_S1G_bDpT10_ENKUlT_T0_E_clISt17integral_constantIbLb0EES1U_EEDaS1P_S1Q_EUlS1P_E_NS1_11comp_targetILNS1_3genE8ELNS1_11target_archE1030ELNS1_3gpuE2ELNS1_3repE0EEENS1_30default_config_static_selectorELNS0_4arch9wavefront6targetE0EEEvS12_.has_recursion, 0
	.set _ZN7rocprim17ROCPRIM_400000_NS6detail17trampoline_kernelINS0_13select_configILj256ELj13ELNS0_17block_load_methodE3ELS4_3ELS4_3ELNS0_20block_scan_algorithmE0ELj4294967295EEENS1_25partition_config_selectorILNS1_17partition_subalgoE4EjNS0_10empty_typeEbEEZZNS1_14partition_implILS8_4ELb0ES6_15HIP_vector_typeIjLj2EENS0_17counting_iteratorIjlEEPS9_SG_NS0_5tupleIJPjSI_NS0_16reverse_iteratorISI_EEEEENSH_IJSG_SG_SG_EEES9_SI_JZNS1_25segmented_radix_sort_implINS0_14default_configELb1EPKaPaPKlPlN2at6native12_GLOBAL__N_18offset_tEEE10hipError_tPvRmT1_PNSt15iterator_traitsIS12_E10value_typeET2_T3_PNS13_IS18_E10value_typeET4_jRbjT5_S1E_jjP12ihipStream_tbEUljE_ZNSN_ISO_Lb1ESQ_SR_ST_SU_SY_EESZ_S10_S11_S12_S16_S17_S18_S1B_S1C_jS1D_jS1E_S1E_jjS1G_bEUljE0_EEESZ_S10_S11_S18_S1C_S1E_T6_T7_T9_mT8_S1G_bDpT10_ENKUlT_T0_E_clISt17integral_constantIbLb0EES1U_EEDaS1P_S1Q_EUlS1P_E_NS1_11comp_targetILNS1_3genE8ELNS1_11target_archE1030ELNS1_3gpuE2ELNS1_3repE0EEENS1_30default_config_static_selectorELNS0_4arch9wavefront6targetE0EEEvS12_.has_indirect_call, 0
	.section	.AMDGPU.csdata,"",@progbits
; Kernel info:
; codeLenInByte = 0
; TotalNumSgprs: 0
; NumVgprs: 0
; ScratchSize: 0
; MemoryBound: 0
; FloatMode: 240
; IeeeMode: 1
; LDSByteSize: 0 bytes/workgroup (compile time only)
; SGPRBlocks: 0
; VGPRBlocks: 0
; NumSGPRsForWavesPerEU: 1
; NumVGPRsForWavesPerEU: 1
; NamedBarCnt: 0
; Occupancy: 16
; WaveLimiterHint : 0
; COMPUTE_PGM_RSRC2:SCRATCH_EN: 0
; COMPUTE_PGM_RSRC2:USER_SGPR: 2
; COMPUTE_PGM_RSRC2:TRAP_HANDLER: 0
; COMPUTE_PGM_RSRC2:TGID_X_EN: 1
; COMPUTE_PGM_RSRC2:TGID_Y_EN: 0
; COMPUTE_PGM_RSRC2:TGID_Z_EN: 0
; COMPUTE_PGM_RSRC2:TIDIG_COMP_CNT: 0
	.section	.text._ZN7rocprim17ROCPRIM_400000_NS6detail17trampoline_kernelINS0_13select_configILj256ELj13ELNS0_17block_load_methodE3ELS4_3ELS4_3ELNS0_20block_scan_algorithmE0ELj4294967295EEENS1_25partition_config_selectorILNS1_17partition_subalgoE4EjNS0_10empty_typeEbEEZZNS1_14partition_implILS8_4ELb0ES6_15HIP_vector_typeIjLj2EENS0_17counting_iteratorIjlEEPS9_SG_NS0_5tupleIJPjSI_NS0_16reverse_iteratorISI_EEEEENSH_IJSG_SG_SG_EEES9_SI_JZNS1_25segmented_radix_sort_implINS0_14default_configELb1EPKaPaPKlPlN2at6native12_GLOBAL__N_18offset_tEEE10hipError_tPvRmT1_PNSt15iterator_traitsIS12_E10value_typeET2_T3_PNS13_IS18_E10value_typeET4_jRbjT5_S1E_jjP12ihipStream_tbEUljE_ZNSN_ISO_Lb1ESQ_SR_ST_SU_SY_EESZ_S10_S11_S12_S16_S17_S18_S1B_S1C_jS1D_jS1E_S1E_jjS1G_bEUljE0_EEESZ_S10_S11_S18_S1C_S1E_T6_T7_T9_mT8_S1G_bDpT10_ENKUlT_T0_E_clISt17integral_constantIbLb1EES1U_EEDaS1P_S1Q_EUlS1P_E_NS1_11comp_targetILNS1_3genE0ELNS1_11target_archE4294967295ELNS1_3gpuE0ELNS1_3repE0EEENS1_30default_config_static_selectorELNS0_4arch9wavefront6targetE0EEEvS12_,"axG",@progbits,_ZN7rocprim17ROCPRIM_400000_NS6detail17trampoline_kernelINS0_13select_configILj256ELj13ELNS0_17block_load_methodE3ELS4_3ELS4_3ELNS0_20block_scan_algorithmE0ELj4294967295EEENS1_25partition_config_selectorILNS1_17partition_subalgoE4EjNS0_10empty_typeEbEEZZNS1_14partition_implILS8_4ELb0ES6_15HIP_vector_typeIjLj2EENS0_17counting_iteratorIjlEEPS9_SG_NS0_5tupleIJPjSI_NS0_16reverse_iteratorISI_EEEEENSH_IJSG_SG_SG_EEES9_SI_JZNS1_25segmented_radix_sort_implINS0_14default_configELb1EPKaPaPKlPlN2at6native12_GLOBAL__N_18offset_tEEE10hipError_tPvRmT1_PNSt15iterator_traitsIS12_E10value_typeET2_T3_PNS13_IS18_E10value_typeET4_jRbjT5_S1E_jjP12ihipStream_tbEUljE_ZNSN_ISO_Lb1ESQ_SR_ST_SU_SY_EESZ_S10_S11_S12_S16_S17_S18_S1B_S1C_jS1D_jS1E_S1E_jjS1G_bEUljE0_EEESZ_S10_S11_S18_S1C_S1E_T6_T7_T9_mT8_S1G_bDpT10_ENKUlT_T0_E_clISt17integral_constantIbLb1EES1U_EEDaS1P_S1Q_EUlS1P_E_NS1_11comp_targetILNS1_3genE0ELNS1_11target_archE4294967295ELNS1_3gpuE0ELNS1_3repE0EEENS1_30default_config_static_selectorELNS0_4arch9wavefront6targetE0EEEvS12_,comdat
	.globl	_ZN7rocprim17ROCPRIM_400000_NS6detail17trampoline_kernelINS0_13select_configILj256ELj13ELNS0_17block_load_methodE3ELS4_3ELS4_3ELNS0_20block_scan_algorithmE0ELj4294967295EEENS1_25partition_config_selectorILNS1_17partition_subalgoE4EjNS0_10empty_typeEbEEZZNS1_14partition_implILS8_4ELb0ES6_15HIP_vector_typeIjLj2EENS0_17counting_iteratorIjlEEPS9_SG_NS0_5tupleIJPjSI_NS0_16reverse_iteratorISI_EEEEENSH_IJSG_SG_SG_EEES9_SI_JZNS1_25segmented_radix_sort_implINS0_14default_configELb1EPKaPaPKlPlN2at6native12_GLOBAL__N_18offset_tEEE10hipError_tPvRmT1_PNSt15iterator_traitsIS12_E10value_typeET2_T3_PNS13_IS18_E10value_typeET4_jRbjT5_S1E_jjP12ihipStream_tbEUljE_ZNSN_ISO_Lb1ESQ_SR_ST_SU_SY_EESZ_S10_S11_S12_S16_S17_S18_S1B_S1C_jS1D_jS1E_S1E_jjS1G_bEUljE0_EEESZ_S10_S11_S18_S1C_S1E_T6_T7_T9_mT8_S1G_bDpT10_ENKUlT_T0_E_clISt17integral_constantIbLb1EES1U_EEDaS1P_S1Q_EUlS1P_E_NS1_11comp_targetILNS1_3genE0ELNS1_11target_archE4294967295ELNS1_3gpuE0ELNS1_3repE0EEENS1_30default_config_static_selectorELNS0_4arch9wavefront6targetE0EEEvS12_ ; -- Begin function _ZN7rocprim17ROCPRIM_400000_NS6detail17trampoline_kernelINS0_13select_configILj256ELj13ELNS0_17block_load_methodE3ELS4_3ELS4_3ELNS0_20block_scan_algorithmE0ELj4294967295EEENS1_25partition_config_selectorILNS1_17partition_subalgoE4EjNS0_10empty_typeEbEEZZNS1_14partition_implILS8_4ELb0ES6_15HIP_vector_typeIjLj2EENS0_17counting_iteratorIjlEEPS9_SG_NS0_5tupleIJPjSI_NS0_16reverse_iteratorISI_EEEEENSH_IJSG_SG_SG_EEES9_SI_JZNS1_25segmented_radix_sort_implINS0_14default_configELb1EPKaPaPKlPlN2at6native12_GLOBAL__N_18offset_tEEE10hipError_tPvRmT1_PNSt15iterator_traitsIS12_E10value_typeET2_T3_PNS13_IS18_E10value_typeET4_jRbjT5_S1E_jjP12ihipStream_tbEUljE_ZNSN_ISO_Lb1ESQ_SR_ST_SU_SY_EESZ_S10_S11_S12_S16_S17_S18_S1B_S1C_jS1D_jS1E_S1E_jjS1G_bEUljE0_EEESZ_S10_S11_S18_S1C_S1E_T6_T7_T9_mT8_S1G_bDpT10_ENKUlT_T0_E_clISt17integral_constantIbLb1EES1U_EEDaS1P_S1Q_EUlS1P_E_NS1_11comp_targetILNS1_3genE0ELNS1_11target_archE4294967295ELNS1_3gpuE0ELNS1_3repE0EEENS1_30default_config_static_selectorELNS0_4arch9wavefront6targetE0EEEvS12_
	.p2align	8
	.type	_ZN7rocprim17ROCPRIM_400000_NS6detail17trampoline_kernelINS0_13select_configILj256ELj13ELNS0_17block_load_methodE3ELS4_3ELS4_3ELNS0_20block_scan_algorithmE0ELj4294967295EEENS1_25partition_config_selectorILNS1_17partition_subalgoE4EjNS0_10empty_typeEbEEZZNS1_14partition_implILS8_4ELb0ES6_15HIP_vector_typeIjLj2EENS0_17counting_iteratorIjlEEPS9_SG_NS0_5tupleIJPjSI_NS0_16reverse_iteratorISI_EEEEENSH_IJSG_SG_SG_EEES9_SI_JZNS1_25segmented_radix_sort_implINS0_14default_configELb1EPKaPaPKlPlN2at6native12_GLOBAL__N_18offset_tEEE10hipError_tPvRmT1_PNSt15iterator_traitsIS12_E10value_typeET2_T3_PNS13_IS18_E10value_typeET4_jRbjT5_S1E_jjP12ihipStream_tbEUljE_ZNSN_ISO_Lb1ESQ_SR_ST_SU_SY_EESZ_S10_S11_S12_S16_S17_S18_S1B_S1C_jS1D_jS1E_S1E_jjS1G_bEUljE0_EEESZ_S10_S11_S18_S1C_S1E_T6_T7_T9_mT8_S1G_bDpT10_ENKUlT_T0_E_clISt17integral_constantIbLb1EES1U_EEDaS1P_S1Q_EUlS1P_E_NS1_11comp_targetILNS1_3genE0ELNS1_11target_archE4294967295ELNS1_3gpuE0ELNS1_3repE0EEENS1_30default_config_static_selectorELNS0_4arch9wavefront6targetE0EEEvS12_,@function
_ZN7rocprim17ROCPRIM_400000_NS6detail17trampoline_kernelINS0_13select_configILj256ELj13ELNS0_17block_load_methodE3ELS4_3ELS4_3ELNS0_20block_scan_algorithmE0ELj4294967295EEENS1_25partition_config_selectorILNS1_17partition_subalgoE4EjNS0_10empty_typeEbEEZZNS1_14partition_implILS8_4ELb0ES6_15HIP_vector_typeIjLj2EENS0_17counting_iteratorIjlEEPS9_SG_NS0_5tupleIJPjSI_NS0_16reverse_iteratorISI_EEEEENSH_IJSG_SG_SG_EEES9_SI_JZNS1_25segmented_radix_sort_implINS0_14default_configELb1EPKaPaPKlPlN2at6native12_GLOBAL__N_18offset_tEEE10hipError_tPvRmT1_PNSt15iterator_traitsIS12_E10value_typeET2_T3_PNS13_IS18_E10value_typeET4_jRbjT5_S1E_jjP12ihipStream_tbEUljE_ZNSN_ISO_Lb1ESQ_SR_ST_SU_SY_EESZ_S10_S11_S12_S16_S17_S18_S1B_S1C_jS1D_jS1E_S1E_jjS1G_bEUljE0_EEESZ_S10_S11_S18_S1C_S1E_T6_T7_T9_mT8_S1G_bDpT10_ENKUlT_T0_E_clISt17integral_constantIbLb1EES1U_EEDaS1P_S1Q_EUlS1P_E_NS1_11comp_targetILNS1_3genE0ELNS1_11target_archE4294967295ELNS1_3gpuE0ELNS1_3repE0EEENS1_30default_config_static_selectorELNS0_4arch9wavefront6targetE0EEEvS12_: ; @_ZN7rocprim17ROCPRIM_400000_NS6detail17trampoline_kernelINS0_13select_configILj256ELj13ELNS0_17block_load_methodE3ELS4_3ELS4_3ELNS0_20block_scan_algorithmE0ELj4294967295EEENS1_25partition_config_selectorILNS1_17partition_subalgoE4EjNS0_10empty_typeEbEEZZNS1_14partition_implILS8_4ELb0ES6_15HIP_vector_typeIjLj2EENS0_17counting_iteratorIjlEEPS9_SG_NS0_5tupleIJPjSI_NS0_16reverse_iteratorISI_EEEEENSH_IJSG_SG_SG_EEES9_SI_JZNS1_25segmented_radix_sort_implINS0_14default_configELb1EPKaPaPKlPlN2at6native12_GLOBAL__N_18offset_tEEE10hipError_tPvRmT1_PNSt15iterator_traitsIS12_E10value_typeET2_T3_PNS13_IS18_E10value_typeET4_jRbjT5_S1E_jjP12ihipStream_tbEUljE_ZNSN_ISO_Lb1ESQ_SR_ST_SU_SY_EESZ_S10_S11_S12_S16_S17_S18_S1B_S1C_jS1D_jS1E_S1E_jjS1G_bEUljE0_EEESZ_S10_S11_S18_S1C_S1E_T6_T7_T9_mT8_S1G_bDpT10_ENKUlT_T0_E_clISt17integral_constantIbLb1EES1U_EEDaS1P_S1Q_EUlS1P_E_NS1_11comp_targetILNS1_3genE0ELNS1_11target_archE4294967295ELNS1_3gpuE0ELNS1_3repE0EEENS1_30default_config_static_selectorELNS0_4arch9wavefront6targetE0EEEvS12_
; %bb.0:
	s_endpgm
	.section	.rodata,"a",@progbits
	.p2align	6, 0x0
	.amdhsa_kernel _ZN7rocprim17ROCPRIM_400000_NS6detail17trampoline_kernelINS0_13select_configILj256ELj13ELNS0_17block_load_methodE3ELS4_3ELS4_3ELNS0_20block_scan_algorithmE0ELj4294967295EEENS1_25partition_config_selectorILNS1_17partition_subalgoE4EjNS0_10empty_typeEbEEZZNS1_14partition_implILS8_4ELb0ES6_15HIP_vector_typeIjLj2EENS0_17counting_iteratorIjlEEPS9_SG_NS0_5tupleIJPjSI_NS0_16reverse_iteratorISI_EEEEENSH_IJSG_SG_SG_EEES9_SI_JZNS1_25segmented_radix_sort_implINS0_14default_configELb1EPKaPaPKlPlN2at6native12_GLOBAL__N_18offset_tEEE10hipError_tPvRmT1_PNSt15iterator_traitsIS12_E10value_typeET2_T3_PNS13_IS18_E10value_typeET4_jRbjT5_S1E_jjP12ihipStream_tbEUljE_ZNSN_ISO_Lb1ESQ_SR_ST_SU_SY_EESZ_S10_S11_S12_S16_S17_S18_S1B_S1C_jS1D_jS1E_S1E_jjS1G_bEUljE0_EEESZ_S10_S11_S18_S1C_S1E_T6_T7_T9_mT8_S1G_bDpT10_ENKUlT_T0_E_clISt17integral_constantIbLb1EES1U_EEDaS1P_S1Q_EUlS1P_E_NS1_11comp_targetILNS1_3genE0ELNS1_11target_archE4294967295ELNS1_3gpuE0ELNS1_3repE0EEENS1_30default_config_static_selectorELNS0_4arch9wavefront6targetE0EEEvS12_
		.amdhsa_group_segment_fixed_size 0
		.amdhsa_private_segment_fixed_size 0
		.amdhsa_kernarg_size 184
		.amdhsa_user_sgpr_count 2
		.amdhsa_user_sgpr_dispatch_ptr 0
		.amdhsa_user_sgpr_queue_ptr 0
		.amdhsa_user_sgpr_kernarg_segment_ptr 1
		.amdhsa_user_sgpr_dispatch_id 0
		.amdhsa_user_sgpr_kernarg_preload_length 0
		.amdhsa_user_sgpr_kernarg_preload_offset 0
		.amdhsa_user_sgpr_private_segment_size 0
		.amdhsa_wavefront_size32 1
		.amdhsa_uses_dynamic_stack 0
		.amdhsa_enable_private_segment 0
		.amdhsa_system_sgpr_workgroup_id_x 1
		.amdhsa_system_sgpr_workgroup_id_y 0
		.amdhsa_system_sgpr_workgroup_id_z 0
		.amdhsa_system_sgpr_workgroup_info 0
		.amdhsa_system_vgpr_workitem_id 0
		.amdhsa_next_free_vgpr 1
		.amdhsa_next_free_sgpr 1
		.amdhsa_named_barrier_count 0
		.amdhsa_reserve_vcc 0
		.amdhsa_float_round_mode_32 0
		.amdhsa_float_round_mode_16_64 0
		.amdhsa_float_denorm_mode_32 3
		.amdhsa_float_denorm_mode_16_64 3
		.amdhsa_fp16_overflow 0
		.amdhsa_memory_ordered 1
		.amdhsa_forward_progress 1
		.amdhsa_inst_pref_size 1
		.amdhsa_round_robin_scheduling 0
		.amdhsa_exception_fp_ieee_invalid_op 0
		.amdhsa_exception_fp_denorm_src 0
		.amdhsa_exception_fp_ieee_div_zero 0
		.amdhsa_exception_fp_ieee_overflow 0
		.amdhsa_exception_fp_ieee_underflow 0
		.amdhsa_exception_fp_ieee_inexact 0
		.amdhsa_exception_int_div_zero 0
	.end_amdhsa_kernel
	.section	.text._ZN7rocprim17ROCPRIM_400000_NS6detail17trampoline_kernelINS0_13select_configILj256ELj13ELNS0_17block_load_methodE3ELS4_3ELS4_3ELNS0_20block_scan_algorithmE0ELj4294967295EEENS1_25partition_config_selectorILNS1_17partition_subalgoE4EjNS0_10empty_typeEbEEZZNS1_14partition_implILS8_4ELb0ES6_15HIP_vector_typeIjLj2EENS0_17counting_iteratorIjlEEPS9_SG_NS0_5tupleIJPjSI_NS0_16reverse_iteratorISI_EEEEENSH_IJSG_SG_SG_EEES9_SI_JZNS1_25segmented_radix_sort_implINS0_14default_configELb1EPKaPaPKlPlN2at6native12_GLOBAL__N_18offset_tEEE10hipError_tPvRmT1_PNSt15iterator_traitsIS12_E10value_typeET2_T3_PNS13_IS18_E10value_typeET4_jRbjT5_S1E_jjP12ihipStream_tbEUljE_ZNSN_ISO_Lb1ESQ_SR_ST_SU_SY_EESZ_S10_S11_S12_S16_S17_S18_S1B_S1C_jS1D_jS1E_S1E_jjS1G_bEUljE0_EEESZ_S10_S11_S18_S1C_S1E_T6_T7_T9_mT8_S1G_bDpT10_ENKUlT_T0_E_clISt17integral_constantIbLb1EES1U_EEDaS1P_S1Q_EUlS1P_E_NS1_11comp_targetILNS1_3genE0ELNS1_11target_archE4294967295ELNS1_3gpuE0ELNS1_3repE0EEENS1_30default_config_static_selectorELNS0_4arch9wavefront6targetE0EEEvS12_,"axG",@progbits,_ZN7rocprim17ROCPRIM_400000_NS6detail17trampoline_kernelINS0_13select_configILj256ELj13ELNS0_17block_load_methodE3ELS4_3ELS4_3ELNS0_20block_scan_algorithmE0ELj4294967295EEENS1_25partition_config_selectorILNS1_17partition_subalgoE4EjNS0_10empty_typeEbEEZZNS1_14partition_implILS8_4ELb0ES6_15HIP_vector_typeIjLj2EENS0_17counting_iteratorIjlEEPS9_SG_NS0_5tupleIJPjSI_NS0_16reverse_iteratorISI_EEEEENSH_IJSG_SG_SG_EEES9_SI_JZNS1_25segmented_radix_sort_implINS0_14default_configELb1EPKaPaPKlPlN2at6native12_GLOBAL__N_18offset_tEEE10hipError_tPvRmT1_PNSt15iterator_traitsIS12_E10value_typeET2_T3_PNS13_IS18_E10value_typeET4_jRbjT5_S1E_jjP12ihipStream_tbEUljE_ZNSN_ISO_Lb1ESQ_SR_ST_SU_SY_EESZ_S10_S11_S12_S16_S17_S18_S1B_S1C_jS1D_jS1E_S1E_jjS1G_bEUljE0_EEESZ_S10_S11_S18_S1C_S1E_T6_T7_T9_mT8_S1G_bDpT10_ENKUlT_T0_E_clISt17integral_constantIbLb1EES1U_EEDaS1P_S1Q_EUlS1P_E_NS1_11comp_targetILNS1_3genE0ELNS1_11target_archE4294967295ELNS1_3gpuE0ELNS1_3repE0EEENS1_30default_config_static_selectorELNS0_4arch9wavefront6targetE0EEEvS12_,comdat
.Lfunc_end232:
	.size	_ZN7rocprim17ROCPRIM_400000_NS6detail17trampoline_kernelINS0_13select_configILj256ELj13ELNS0_17block_load_methodE3ELS4_3ELS4_3ELNS0_20block_scan_algorithmE0ELj4294967295EEENS1_25partition_config_selectorILNS1_17partition_subalgoE4EjNS0_10empty_typeEbEEZZNS1_14partition_implILS8_4ELb0ES6_15HIP_vector_typeIjLj2EENS0_17counting_iteratorIjlEEPS9_SG_NS0_5tupleIJPjSI_NS0_16reverse_iteratorISI_EEEEENSH_IJSG_SG_SG_EEES9_SI_JZNS1_25segmented_radix_sort_implINS0_14default_configELb1EPKaPaPKlPlN2at6native12_GLOBAL__N_18offset_tEEE10hipError_tPvRmT1_PNSt15iterator_traitsIS12_E10value_typeET2_T3_PNS13_IS18_E10value_typeET4_jRbjT5_S1E_jjP12ihipStream_tbEUljE_ZNSN_ISO_Lb1ESQ_SR_ST_SU_SY_EESZ_S10_S11_S12_S16_S17_S18_S1B_S1C_jS1D_jS1E_S1E_jjS1G_bEUljE0_EEESZ_S10_S11_S18_S1C_S1E_T6_T7_T9_mT8_S1G_bDpT10_ENKUlT_T0_E_clISt17integral_constantIbLb1EES1U_EEDaS1P_S1Q_EUlS1P_E_NS1_11comp_targetILNS1_3genE0ELNS1_11target_archE4294967295ELNS1_3gpuE0ELNS1_3repE0EEENS1_30default_config_static_selectorELNS0_4arch9wavefront6targetE0EEEvS12_, .Lfunc_end232-_ZN7rocprim17ROCPRIM_400000_NS6detail17trampoline_kernelINS0_13select_configILj256ELj13ELNS0_17block_load_methodE3ELS4_3ELS4_3ELNS0_20block_scan_algorithmE0ELj4294967295EEENS1_25partition_config_selectorILNS1_17partition_subalgoE4EjNS0_10empty_typeEbEEZZNS1_14partition_implILS8_4ELb0ES6_15HIP_vector_typeIjLj2EENS0_17counting_iteratorIjlEEPS9_SG_NS0_5tupleIJPjSI_NS0_16reverse_iteratorISI_EEEEENSH_IJSG_SG_SG_EEES9_SI_JZNS1_25segmented_radix_sort_implINS0_14default_configELb1EPKaPaPKlPlN2at6native12_GLOBAL__N_18offset_tEEE10hipError_tPvRmT1_PNSt15iterator_traitsIS12_E10value_typeET2_T3_PNS13_IS18_E10value_typeET4_jRbjT5_S1E_jjP12ihipStream_tbEUljE_ZNSN_ISO_Lb1ESQ_SR_ST_SU_SY_EESZ_S10_S11_S12_S16_S17_S18_S1B_S1C_jS1D_jS1E_S1E_jjS1G_bEUljE0_EEESZ_S10_S11_S18_S1C_S1E_T6_T7_T9_mT8_S1G_bDpT10_ENKUlT_T0_E_clISt17integral_constantIbLb1EES1U_EEDaS1P_S1Q_EUlS1P_E_NS1_11comp_targetILNS1_3genE0ELNS1_11target_archE4294967295ELNS1_3gpuE0ELNS1_3repE0EEENS1_30default_config_static_selectorELNS0_4arch9wavefront6targetE0EEEvS12_
                                        ; -- End function
	.set _ZN7rocprim17ROCPRIM_400000_NS6detail17trampoline_kernelINS0_13select_configILj256ELj13ELNS0_17block_load_methodE3ELS4_3ELS4_3ELNS0_20block_scan_algorithmE0ELj4294967295EEENS1_25partition_config_selectorILNS1_17partition_subalgoE4EjNS0_10empty_typeEbEEZZNS1_14partition_implILS8_4ELb0ES6_15HIP_vector_typeIjLj2EENS0_17counting_iteratorIjlEEPS9_SG_NS0_5tupleIJPjSI_NS0_16reverse_iteratorISI_EEEEENSH_IJSG_SG_SG_EEES9_SI_JZNS1_25segmented_radix_sort_implINS0_14default_configELb1EPKaPaPKlPlN2at6native12_GLOBAL__N_18offset_tEEE10hipError_tPvRmT1_PNSt15iterator_traitsIS12_E10value_typeET2_T3_PNS13_IS18_E10value_typeET4_jRbjT5_S1E_jjP12ihipStream_tbEUljE_ZNSN_ISO_Lb1ESQ_SR_ST_SU_SY_EESZ_S10_S11_S12_S16_S17_S18_S1B_S1C_jS1D_jS1E_S1E_jjS1G_bEUljE0_EEESZ_S10_S11_S18_S1C_S1E_T6_T7_T9_mT8_S1G_bDpT10_ENKUlT_T0_E_clISt17integral_constantIbLb1EES1U_EEDaS1P_S1Q_EUlS1P_E_NS1_11comp_targetILNS1_3genE0ELNS1_11target_archE4294967295ELNS1_3gpuE0ELNS1_3repE0EEENS1_30default_config_static_selectorELNS0_4arch9wavefront6targetE0EEEvS12_.num_vgpr, 0
	.set _ZN7rocprim17ROCPRIM_400000_NS6detail17trampoline_kernelINS0_13select_configILj256ELj13ELNS0_17block_load_methodE3ELS4_3ELS4_3ELNS0_20block_scan_algorithmE0ELj4294967295EEENS1_25partition_config_selectorILNS1_17partition_subalgoE4EjNS0_10empty_typeEbEEZZNS1_14partition_implILS8_4ELb0ES6_15HIP_vector_typeIjLj2EENS0_17counting_iteratorIjlEEPS9_SG_NS0_5tupleIJPjSI_NS0_16reverse_iteratorISI_EEEEENSH_IJSG_SG_SG_EEES9_SI_JZNS1_25segmented_radix_sort_implINS0_14default_configELb1EPKaPaPKlPlN2at6native12_GLOBAL__N_18offset_tEEE10hipError_tPvRmT1_PNSt15iterator_traitsIS12_E10value_typeET2_T3_PNS13_IS18_E10value_typeET4_jRbjT5_S1E_jjP12ihipStream_tbEUljE_ZNSN_ISO_Lb1ESQ_SR_ST_SU_SY_EESZ_S10_S11_S12_S16_S17_S18_S1B_S1C_jS1D_jS1E_S1E_jjS1G_bEUljE0_EEESZ_S10_S11_S18_S1C_S1E_T6_T7_T9_mT8_S1G_bDpT10_ENKUlT_T0_E_clISt17integral_constantIbLb1EES1U_EEDaS1P_S1Q_EUlS1P_E_NS1_11comp_targetILNS1_3genE0ELNS1_11target_archE4294967295ELNS1_3gpuE0ELNS1_3repE0EEENS1_30default_config_static_selectorELNS0_4arch9wavefront6targetE0EEEvS12_.num_agpr, 0
	.set _ZN7rocprim17ROCPRIM_400000_NS6detail17trampoline_kernelINS0_13select_configILj256ELj13ELNS0_17block_load_methodE3ELS4_3ELS4_3ELNS0_20block_scan_algorithmE0ELj4294967295EEENS1_25partition_config_selectorILNS1_17partition_subalgoE4EjNS0_10empty_typeEbEEZZNS1_14partition_implILS8_4ELb0ES6_15HIP_vector_typeIjLj2EENS0_17counting_iteratorIjlEEPS9_SG_NS0_5tupleIJPjSI_NS0_16reverse_iteratorISI_EEEEENSH_IJSG_SG_SG_EEES9_SI_JZNS1_25segmented_radix_sort_implINS0_14default_configELb1EPKaPaPKlPlN2at6native12_GLOBAL__N_18offset_tEEE10hipError_tPvRmT1_PNSt15iterator_traitsIS12_E10value_typeET2_T3_PNS13_IS18_E10value_typeET4_jRbjT5_S1E_jjP12ihipStream_tbEUljE_ZNSN_ISO_Lb1ESQ_SR_ST_SU_SY_EESZ_S10_S11_S12_S16_S17_S18_S1B_S1C_jS1D_jS1E_S1E_jjS1G_bEUljE0_EEESZ_S10_S11_S18_S1C_S1E_T6_T7_T9_mT8_S1G_bDpT10_ENKUlT_T0_E_clISt17integral_constantIbLb1EES1U_EEDaS1P_S1Q_EUlS1P_E_NS1_11comp_targetILNS1_3genE0ELNS1_11target_archE4294967295ELNS1_3gpuE0ELNS1_3repE0EEENS1_30default_config_static_selectorELNS0_4arch9wavefront6targetE0EEEvS12_.numbered_sgpr, 0
	.set _ZN7rocprim17ROCPRIM_400000_NS6detail17trampoline_kernelINS0_13select_configILj256ELj13ELNS0_17block_load_methodE3ELS4_3ELS4_3ELNS0_20block_scan_algorithmE0ELj4294967295EEENS1_25partition_config_selectorILNS1_17partition_subalgoE4EjNS0_10empty_typeEbEEZZNS1_14partition_implILS8_4ELb0ES6_15HIP_vector_typeIjLj2EENS0_17counting_iteratorIjlEEPS9_SG_NS0_5tupleIJPjSI_NS0_16reverse_iteratorISI_EEEEENSH_IJSG_SG_SG_EEES9_SI_JZNS1_25segmented_radix_sort_implINS0_14default_configELb1EPKaPaPKlPlN2at6native12_GLOBAL__N_18offset_tEEE10hipError_tPvRmT1_PNSt15iterator_traitsIS12_E10value_typeET2_T3_PNS13_IS18_E10value_typeET4_jRbjT5_S1E_jjP12ihipStream_tbEUljE_ZNSN_ISO_Lb1ESQ_SR_ST_SU_SY_EESZ_S10_S11_S12_S16_S17_S18_S1B_S1C_jS1D_jS1E_S1E_jjS1G_bEUljE0_EEESZ_S10_S11_S18_S1C_S1E_T6_T7_T9_mT8_S1G_bDpT10_ENKUlT_T0_E_clISt17integral_constantIbLb1EES1U_EEDaS1P_S1Q_EUlS1P_E_NS1_11comp_targetILNS1_3genE0ELNS1_11target_archE4294967295ELNS1_3gpuE0ELNS1_3repE0EEENS1_30default_config_static_selectorELNS0_4arch9wavefront6targetE0EEEvS12_.num_named_barrier, 0
	.set _ZN7rocprim17ROCPRIM_400000_NS6detail17trampoline_kernelINS0_13select_configILj256ELj13ELNS0_17block_load_methodE3ELS4_3ELS4_3ELNS0_20block_scan_algorithmE0ELj4294967295EEENS1_25partition_config_selectorILNS1_17partition_subalgoE4EjNS0_10empty_typeEbEEZZNS1_14partition_implILS8_4ELb0ES6_15HIP_vector_typeIjLj2EENS0_17counting_iteratorIjlEEPS9_SG_NS0_5tupleIJPjSI_NS0_16reverse_iteratorISI_EEEEENSH_IJSG_SG_SG_EEES9_SI_JZNS1_25segmented_radix_sort_implINS0_14default_configELb1EPKaPaPKlPlN2at6native12_GLOBAL__N_18offset_tEEE10hipError_tPvRmT1_PNSt15iterator_traitsIS12_E10value_typeET2_T3_PNS13_IS18_E10value_typeET4_jRbjT5_S1E_jjP12ihipStream_tbEUljE_ZNSN_ISO_Lb1ESQ_SR_ST_SU_SY_EESZ_S10_S11_S12_S16_S17_S18_S1B_S1C_jS1D_jS1E_S1E_jjS1G_bEUljE0_EEESZ_S10_S11_S18_S1C_S1E_T6_T7_T9_mT8_S1G_bDpT10_ENKUlT_T0_E_clISt17integral_constantIbLb1EES1U_EEDaS1P_S1Q_EUlS1P_E_NS1_11comp_targetILNS1_3genE0ELNS1_11target_archE4294967295ELNS1_3gpuE0ELNS1_3repE0EEENS1_30default_config_static_selectorELNS0_4arch9wavefront6targetE0EEEvS12_.private_seg_size, 0
	.set _ZN7rocprim17ROCPRIM_400000_NS6detail17trampoline_kernelINS0_13select_configILj256ELj13ELNS0_17block_load_methodE3ELS4_3ELS4_3ELNS0_20block_scan_algorithmE0ELj4294967295EEENS1_25partition_config_selectorILNS1_17partition_subalgoE4EjNS0_10empty_typeEbEEZZNS1_14partition_implILS8_4ELb0ES6_15HIP_vector_typeIjLj2EENS0_17counting_iteratorIjlEEPS9_SG_NS0_5tupleIJPjSI_NS0_16reverse_iteratorISI_EEEEENSH_IJSG_SG_SG_EEES9_SI_JZNS1_25segmented_radix_sort_implINS0_14default_configELb1EPKaPaPKlPlN2at6native12_GLOBAL__N_18offset_tEEE10hipError_tPvRmT1_PNSt15iterator_traitsIS12_E10value_typeET2_T3_PNS13_IS18_E10value_typeET4_jRbjT5_S1E_jjP12ihipStream_tbEUljE_ZNSN_ISO_Lb1ESQ_SR_ST_SU_SY_EESZ_S10_S11_S12_S16_S17_S18_S1B_S1C_jS1D_jS1E_S1E_jjS1G_bEUljE0_EEESZ_S10_S11_S18_S1C_S1E_T6_T7_T9_mT8_S1G_bDpT10_ENKUlT_T0_E_clISt17integral_constantIbLb1EES1U_EEDaS1P_S1Q_EUlS1P_E_NS1_11comp_targetILNS1_3genE0ELNS1_11target_archE4294967295ELNS1_3gpuE0ELNS1_3repE0EEENS1_30default_config_static_selectorELNS0_4arch9wavefront6targetE0EEEvS12_.uses_vcc, 0
	.set _ZN7rocprim17ROCPRIM_400000_NS6detail17trampoline_kernelINS0_13select_configILj256ELj13ELNS0_17block_load_methodE3ELS4_3ELS4_3ELNS0_20block_scan_algorithmE0ELj4294967295EEENS1_25partition_config_selectorILNS1_17partition_subalgoE4EjNS0_10empty_typeEbEEZZNS1_14partition_implILS8_4ELb0ES6_15HIP_vector_typeIjLj2EENS0_17counting_iteratorIjlEEPS9_SG_NS0_5tupleIJPjSI_NS0_16reverse_iteratorISI_EEEEENSH_IJSG_SG_SG_EEES9_SI_JZNS1_25segmented_radix_sort_implINS0_14default_configELb1EPKaPaPKlPlN2at6native12_GLOBAL__N_18offset_tEEE10hipError_tPvRmT1_PNSt15iterator_traitsIS12_E10value_typeET2_T3_PNS13_IS18_E10value_typeET4_jRbjT5_S1E_jjP12ihipStream_tbEUljE_ZNSN_ISO_Lb1ESQ_SR_ST_SU_SY_EESZ_S10_S11_S12_S16_S17_S18_S1B_S1C_jS1D_jS1E_S1E_jjS1G_bEUljE0_EEESZ_S10_S11_S18_S1C_S1E_T6_T7_T9_mT8_S1G_bDpT10_ENKUlT_T0_E_clISt17integral_constantIbLb1EES1U_EEDaS1P_S1Q_EUlS1P_E_NS1_11comp_targetILNS1_3genE0ELNS1_11target_archE4294967295ELNS1_3gpuE0ELNS1_3repE0EEENS1_30default_config_static_selectorELNS0_4arch9wavefront6targetE0EEEvS12_.uses_flat_scratch, 0
	.set _ZN7rocprim17ROCPRIM_400000_NS6detail17trampoline_kernelINS0_13select_configILj256ELj13ELNS0_17block_load_methodE3ELS4_3ELS4_3ELNS0_20block_scan_algorithmE0ELj4294967295EEENS1_25partition_config_selectorILNS1_17partition_subalgoE4EjNS0_10empty_typeEbEEZZNS1_14partition_implILS8_4ELb0ES6_15HIP_vector_typeIjLj2EENS0_17counting_iteratorIjlEEPS9_SG_NS0_5tupleIJPjSI_NS0_16reverse_iteratorISI_EEEEENSH_IJSG_SG_SG_EEES9_SI_JZNS1_25segmented_radix_sort_implINS0_14default_configELb1EPKaPaPKlPlN2at6native12_GLOBAL__N_18offset_tEEE10hipError_tPvRmT1_PNSt15iterator_traitsIS12_E10value_typeET2_T3_PNS13_IS18_E10value_typeET4_jRbjT5_S1E_jjP12ihipStream_tbEUljE_ZNSN_ISO_Lb1ESQ_SR_ST_SU_SY_EESZ_S10_S11_S12_S16_S17_S18_S1B_S1C_jS1D_jS1E_S1E_jjS1G_bEUljE0_EEESZ_S10_S11_S18_S1C_S1E_T6_T7_T9_mT8_S1G_bDpT10_ENKUlT_T0_E_clISt17integral_constantIbLb1EES1U_EEDaS1P_S1Q_EUlS1P_E_NS1_11comp_targetILNS1_3genE0ELNS1_11target_archE4294967295ELNS1_3gpuE0ELNS1_3repE0EEENS1_30default_config_static_selectorELNS0_4arch9wavefront6targetE0EEEvS12_.has_dyn_sized_stack, 0
	.set _ZN7rocprim17ROCPRIM_400000_NS6detail17trampoline_kernelINS0_13select_configILj256ELj13ELNS0_17block_load_methodE3ELS4_3ELS4_3ELNS0_20block_scan_algorithmE0ELj4294967295EEENS1_25partition_config_selectorILNS1_17partition_subalgoE4EjNS0_10empty_typeEbEEZZNS1_14partition_implILS8_4ELb0ES6_15HIP_vector_typeIjLj2EENS0_17counting_iteratorIjlEEPS9_SG_NS0_5tupleIJPjSI_NS0_16reverse_iteratorISI_EEEEENSH_IJSG_SG_SG_EEES9_SI_JZNS1_25segmented_radix_sort_implINS0_14default_configELb1EPKaPaPKlPlN2at6native12_GLOBAL__N_18offset_tEEE10hipError_tPvRmT1_PNSt15iterator_traitsIS12_E10value_typeET2_T3_PNS13_IS18_E10value_typeET4_jRbjT5_S1E_jjP12ihipStream_tbEUljE_ZNSN_ISO_Lb1ESQ_SR_ST_SU_SY_EESZ_S10_S11_S12_S16_S17_S18_S1B_S1C_jS1D_jS1E_S1E_jjS1G_bEUljE0_EEESZ_S10_S11_S18_S1C_S1E_T6_T7_T9_mT8_S1G_bDpT10_ENKUlT_T0_E_clISt17integral_constantIbLb1EES1U_EEDaS1P_S1Q_EUlS1P_E_NS1_11comp_targetILNS1_3genE0ELNS1_11target_archE4294967295ELNS1_3gpuE0ELNS1_3repE0EEENS1_30default_config_static_selectorELNS0_4arch9wavefront6targetE0EEEvS12_.has_recursion, 0
	.set _ZN7rocprim17ROCPRIM_400000_NS6detail17trampoline_kernelINS0_13select_configILj256ELj13ELNS0_17block_load_methodE3ELS4_3ELS4_3ELNS0_20block_scan_algorithmE0ELj4294967295EEENS1_25partition_config_selectorILNS1_17partition_subalgoE4EjNS0_10empty_typeEbEEZZNS1_14partition_implILS8_4ELb0ES6_15HIP_vector_typeIjLj2EENS0_17counting_iteratorIjlEEPS9_SG_NS0_5tupleIJPjSI_NS0_16reverse_iteratorISI_EEEEENSH_IJSG_SG_SG_EEES9_SI_JZNS1_25segmented_radix_sort_implINS0_14default_configELb1EPKaPaPKlPlN2at6native12_GLOBAL__N_18offset_tEEE10hipError_tPvRmT1_PNSt15iterator_traitsIS12_E10value_typeET2_T3_PNS13_IS18_E10value_typeET4_jRbjT5_S1E_jjP12ihipStream_tbEUljE_ZNSN_ISO_Lb1ESQ_SR_ST_SU_SY_EESZ_S10_S11_S12_S16_S17_S18_S1B_S1C_jS1D_jS1E_S1E_jjS1G_bEUljE0_EEESZ_S10_S11_S18_S1C_S1E_T6_T7_T9_mT8_S1G_bDpT10_ENKUlT_T0_E_clISt17integral_constantIbLb1EES1U_EEDaS1P_S1Q_EUlS1P_E_NS1_11comp_targetILNS1_3genE0ELNS1_11target_archE4294967295ELNS1_3gpuE0ELNS1_3repE0EEENS1_30default_config_static_selectorELNS0_4arch9wavefront6targetE0EEEvS12_.has_indirect_call, 0
	.section	.AMDGPU.csdata,"",@progbits
; Kernel info:
; codeLenInByte = 4
; TotalNumSgprs: 0
; NumVgprs: 0
; ScratchSize: 0
; MemoryBound: 0
; FloatMode: 240
; IeeeMode: 1
; LDSByteSize: 0 bytes/workgroup (compile time only)
; SGPRBlocks: 0
; VGPRBlocks: 0
; NumSGPRsForWavesPerEU: 1
; NumVGPRsForWavesPerEU: 1
; NamedBarCnt: 0
; Occupancy: 16
; WaveLimiterHint : 0
; COMPUTE_PGM_RSRC2:SCRATCH_EN: 0
; COMPUTE_PGM_RSRC2:USER_SGPR: 2
; COMPUTE_PGM_RSRC2:TRAP_HANDLER: 0
; COMPUTE_PGM_RSRC2:TGID_X_EN: 1
; COMPUTE_PGM_RSRC2:TGID_Y_EN: 0
; COMPUTE_PGM_RSRC2:TGID_Z_EN: 0
; COMPUTE_PGM_RSRC2:TIDIG_COMP_CNT: 0
	.section	.text._ZN7rocprim17ROCPRIM_400000_NS6detail17trampoline_kernelINS0_13select_configILj256ELj13ELNS0_17block_load_methodE3ELS4_3ELS4_3ELNS0_20block_scan_algorithmE0ELj4294967295EEENS1_25partition_config_selectorILNS1_17partition_subalgoE4EjNS0_10empty_typeEbEEZZNS1_14partition_implILS8_4ELb0ES6_15HIP_vector_typeIjLj2EENS0_17counting_iteratorIjlEEPS9_SG_NS0_5tupleIJPjSI_NS0_16reverse_iteratorISI_EEEEENSH_IJSG_SG_SG_EEES9_SI_JZNS1_25segmented_radix_sort_implINS0_14default_configELb1EPKaPaPKlPlN2at6native12_GLOBAL__N_18offset_tEEE10hipError_tPvRmT1_PNSt15iterator_traitsIS12_E10value_typeET2_T3_PNS13_IS18_E10value_typeET4_jRbjT5_S1E_jjP12ihipStream_tbEUljE_ZNSN_ISO_Lb1ESQ_SR_ST_SU_SY_EESZ_S10_S11_S12_S16_S17_S18_S1B_S1C_jS1D_jS1E_S1E_jjS1G_bEUljE0_EEESZ_S10_S11_S18_S1C_S1E_T6_T7_T9_mT8_S1G_bDpT10_ENKUlT_T0_E_clISt17integral_constantIbLb1EES1U_EEDaS1P_S1Q_EUlS1P_E_NS1_11comp_targetILNS1_3genE5ELNS1_11target_archE942ELNS1_3gpuE9ELNS1_3repE0EEENS1_30default_config_static_selectorELNS0_4arch9wavefront6targetE0EEEvS12_,"axG",@progbits,_ZN7rocprim17ROCPRIM_400000_NS6detail17trampoline_kernelINS0_13select_configILj256ELj13ELNS0_17block_load_methodE3ELS4_3ELS4_3ELNS0_20block_scan_algorithmE0ELj4294967295EEENS1_25partition_config_selectorILNS1_17partition_subalgoE4EjNS0_10empty_typeEbEEZZNS1_14partition_implILS8_4ELb0ES6_15HIP_vector_typeIjLj2EENS0_17counting_iteratorIjlEEPS9_SG_NS0_5tupleIJPjSI_NS0_16reverse_iteratorISI_EEEEENSH_IJSG_SG_SG_EEES9_SI_JZNS1_25segmented_radix_sort_implINS0_14default_configELb1EPKaPaPKlPlN2at6native12_GLOBAL__N_18offset_tEEE10hipError_tPvRmT1_PNSt15iterator_traitsIS12_E10value_typeET2_T3_PNS13_IS18_E10value_typeET4_jRbjT5_S1E_jjP12ihipStream_tbEUljE_ZNSN_ISO_Lb1ESQ_SR_ST_SU_SY_EESZ_S10_S11_S12_S16_S17_S18_S1B_S1C_jS1D_jS1E_S1E_jjS1G_bEUljE0_EEESZ_S10_S11_S18_S1C_S1E_T6_T7_T9_mT8_S1G_bDpT10_ENKUlT_T0_E_clISt17integral_constantIbLb1EES1U_EEDaS1P_S1Q_EUlS1P_E_NS1_11comp_targetILNS1_3genE5ELNS1_11target_archE942ELNS1_3gpuE9ELNS1_3repE0EEENS1_30default_config_static_selectorELNS0_4arch9wavefront6targetE0EEEvS12_,comdat
	.globl	_ZN7rocprim17ROCPRIM_400000_NS6detail17trampoline_kernelINS0_13select_configILj256ELj13ELNS0_17block_load_methodE3ELS4_3ELS4_3ELNS0_20block_scan_algorithmE0ELj4294967295EEENS1_25partition_config_selectorILNS1_17partition_subalgoE4EjNS0_10empty_typeEbEEZZNS1_14partition_implILS8_4ELb0ES6_15HIP_vector_typeIjLj2EENS0_17counting_iteratorIjlEEPS9_SG_NS0_5tupleIJPjSI_NS0_16reverse_iteratorISI_EEEEENSH_IJSG_SG_SG_EEES9_SI_JZNS1_25segmented_radix_sort_implINS0_14default_configELb1EPKaPaPKlPlN2at6native12_GLOBAL__N_18offset_tEEE10hipError_tPvRmT1_PNSt15iterator_traitsIS12_E10value_typeET2_T3_PNS13_IS18_E10value_typeET4_jRbjT5_S1E_jjP12ihipStream_tbEUljE_ZNSN_ISO_Lb1ESQ_SR_ST_SU_SY_EESZ_S10_S11_S12_S16_S17_S18_S1B_S1C_jS1D_jS1E_S1E_jjS1G_bEUljE0_EEESZ_S10_S11_S18_S1C_S1E_T6_T7_T9_mT8_S1G_bDpT10_ENKUlT_T0_E_clISt17integral_constantIbLb1EES1U_EEDaS1P_S1Q_EUlS1P_E_NS1_11comp_targetILNS1_3genE5ELNS1_11target_archE942ELNS1_3gpuE9ELNS1_3repE0EEENS1_30default_config_static_selectorELNS0_4arch9wavefront6targetE0EEEvS12_ ; -- Begin function _ZN7rocprim17ROCPRIM_400000_NS6detail17trampoline_kernelINS0_13select_configILj256ELj13ELNS0_17block_load_methodE3ELS4_3ELS4_3ELNS0_20block_scan_algorithmE0ELj4294967295EEENS1_25partition_config_selectorILNS1_17partition_subalgoE4EjNS0_10empty_typeEbEEZZNS1_14partition_implILS8_4ELb0ES6_15HIP_vector_typeIjLj2EENS0_17counting_iteratorIjlEEPS9_SG_NS0_5tupleIJPjSI_NS0_16reverse_iteratorISI_EEEEENSH_IJSG_SG_SG_EEES9_SI_JZNS1_25segmented_radix_sort_implINS0_14default_configELb1EPKaPaPKlPlN2at6native12_GLOBAL__N_18offset_tEEE10hipError_tPvRmT1_PNSt15iterator_traitsIS12_E10value_typeET2_T3_PNS13_IS18_E10value_typeET4_jRbjT5_S1E_jjP12ihipStream_tbEUljE_ZNSN_ISO_Lb1ESQ_SR_ST_SU_SY_EESZ_S10_S11_S12_S16_S17_S18_S1B_S1C_jS1D_jS1E_S1E_jjS1G_bEUljE0_EEESZ_S10_S11_S18_S1C_S1E_T6_T7_T9_mT8_S1G_bDpT10_ENKUlT_T0_E_clISt17integral_constantIbLb1EES1U_EEDaS1P_S1Q_EUlS1P_E_NS1_11comp_targetILNS1_3genE5ELNS1_11target_archE942ELNS1_3gpuE9ELNS1_3repE0EEENS1_30default_config_static_selectorELNS0_4arch9wavefront6targetE0EEEvS12_
	.p2align	8
	.type	_ZN7rocprim17ROCPRIM_400000_NS6detail17trampoline_kernelINS0_13select_configILj256ELj13ELNS0_17block_load_methodE3ELS4_3ELS4_3ELNS0_20block_scan_algorithmE0ELj4294967295EEENS1_25partition_config_selectorILNS1_17partition_subalgoE4EjNS0_10empty_typeEbEEZZNS1_14partition_implILS8_4ELb0ES6_15HIP_vector_typeIjLj2EENS0_17counting_iteratorIjlEEPS9_SG_NS0_5tupleIJPjSI_NS0_16reverse_iteratorISI_EEEEENSH_IJSG_SG_SG_EEES9_SI_JZNS1_25segmented_radix_sort_implINS0_14default_configELb1EPKaPaPKlPlN2at6native12_GLOBAL__N_18offset_tEEE10hipError_tPvRmT1_PNSt15iterator_traitsIS12_E10value_typeET2_T3_PNS13_IS18_E10value_typeET4_jRbjT5_S1E_jjP12ihipStream_tbEUljE_ZNSN_ISO_Lb1ESQ_SR_ST_SU_SY_EESZ_S10_S11_S12_S16_S17_S18_S1B_S1C_jS1D_jS1E_S1E_jjS1G_bEUljE0_EEESZ_S10_S11_S18_S1C_S1E_T6_T7_T9_mT8_S1G_bDpT10_ENKUlT_T0_E_clISt17integral_constantIbLb1EES1U_EEDaS1P_S1Q_EUlS1P_E_NS1_11comp_targetILNS1_3genE5ELNS1_11target_archE942ELNS1_3gpuE9ELNS1_3repE0EEENS1_30default_config_static_selectorELNS0_4arch9wavefront6targetE0EEEvS12_,@function
_ZN7rocprim17ROCPRIM_400000_NS6detail17trampoline_kernelINS0_13select_configILj256ELj13ELNS0_17block_load_methodE3ELS4_3ELS4_3ELNS0_20block_scan_algorithmE0ELj4294967295EEENS1_25partition_config_selectorILNS1_17partition_subalgoE4EjNS0_10empty_typeEbEEZZNS1_14partition_implILS8_4ELb0ES6_15HIP_vector_typeIjLj2EENS0_17counting_iteratorIjlEEPS9_SG_NS0_5tupleIJPjSI_NS0_16reverse_iteratorISI_EEEEENSH_IJSG_SG_SG_EEES9_SI_JZNS1_25segmented_radix_sort_implINS0_14default_configELb1EPKaPaPKlPlN2at6native12_GLOBAL__N_18offset_tEEE10hipError_tPvRmT1_PNSt15iterator_traitsIS12_E10value_typeET2_T3_PNS13_IS18_E10value_typeET4_jRbjT5_S1E_jjP12ihipStream_tbEUljE_ZNSN_ISO_Lb1ESQ_SR_ST_SU_SY_EESZ_S10_S11_S12_S16_S17_S18_S1B_S1C_jS1D_jS1E_S1E_jjS1G_bEUljE0_EEESZ_S10_S11_S18_S1C_S1E_T6_T7_T9_mT8_S1G_bDpT10_ENKUlT_T0_E_clISt17integral_constantIbLb1EES1U_EEDaS1P_S1Q_EUlS1P_E_NS1_11comp_targetILNS1_3genE5ELNS1_11target_archE942ELNS1_3gpuE9ELNS1_3repE0EEENS1_30default_config_static_selectorELNS0_4arch9wavefront6targetE0EEEvS12_: ; @_ZN7rocprim17ROCPRIM_400000_NS6detail17trampoline_kernelINS0_13select_configILj256ELj13ELNS0_17block_load_methodE3ELS4_3ELS4_3ELNS0_20block_scan_algorithmE0ELj4294967295EEENS1_25partition_config_selectorILNS1_17partition_subalgoE4EjNS0_10empty_typeEbEEZZNS1_14partition_implILS8_4ELb0ES6_15HIP_vector_typeIjLj2EENS0_17counting_iteratorIjlEEPS9_SG_NS0_5tupleIJPjSI_NS0_16reverse_iteratorISI_EEEEENSH_IJSG_SG_SG_EEES9_SI_JZNS1_25segmented_radix_sort_implINS0_14default_configELb1EPKaPaPKlPlN2at6native12_GLOBAL__N_18offset_tEEE10hipError_tPvRmT1_PNSt15iterator_traitsIS12_E10value_typeET2_T3_PNS13_IS18_E10value_typeET4_jRbjT5_S1E_jjP12ihipStream_tbEUljE_ZNSN_ISO_Lb1ESQ_SR_ST_SU_SY_EESZ_S10_S11_S12_S16_S17_S18_S1B_S1C_jS1D_jS1E_S1E_jjS1G_bEUljE0_EEESZ_S10_S11_S18_S1C_S1E_T6_T7_T9_mT8_S1G_bDpT10_ENKUlT_T0_E_clISt17integral_constantIbLb1EES1U_EEDaS1P_S1Q_EUlS1P_E_NS1_11comp_targetILNS1_3genE5ELNS1_11target_archE942ELNS1_3gpuE9ELNS1_3repE0EEENS1_30default_config_static_selectorELNS0_4arch9wavefront6targetE0EEEvS12_
; %bb.0:
	.section	.rodata,"a",@progbits
	.p2align	6, 0x0
	.amdhsa_kernel _ZN7rocprim17ROCPRIM_400000_NS6detail17trampoline_kernelINS0_13select_configILj256ELj13ELNS0_17block_load_methodE3ELS4_3ELS4_3ELNS0_20block_scan_algorithmE0ELj4294967295EEENS1_25partition_config_selectorILNS1_17partition_subalgoE4EjNS0_10empty_typeEbEEZZNS1_14partition_implILS8_4ELb0ES6_15HIP_vector_typeIjLj2EENS0_17counting_iteratorIjlEEPS9_SG_NS0_5tupleIJPjSI_NS0_16reverse_iteratorISI_EEEEENSH_IJSG_SG_SG_EEES9_SI_JZNS1_25segmented_radix_sort_implINS0_14default_configELb1EPKaPaPKlPlN2at6native12_GLOBAL__N_18offset_tEEE10hipError_tPvRmT1_PNSt15iterator_traitsIS12_E10value_typeET2_T3_PNS13_IS18_E10value_typeET4_jRbjT5_S1E_jjP12ihipStream_tbEUljE_ZNSN_ISO_Lb1ESQ_SR_ST_SU_SY_EESZ_S10_S11_S12_S16_S17_S18_S1B_S1C_jS1D_jS1E_S1E_jjS1G_bEUljE0_EEESZ_S10_S11_S18_S1C_S1E_T6_T7_T9_mT8_S1G_bDpT10_ENKUlT_T0_E_clISt17integral_constantIbLb1EES1U_EEDaS1P_S1Q_EUlS1P_E_NS1_11comp_targetILNS1_3genE5ELNS1_11target_archE942ELNS1_3gpuE9ELNS1_3repE0EEENS1_30default_config_static_selectorELNS0_4arch9wavefront6targetE0EEEvS12_
		.amdhsa_group_segment_fixed_size 0
		.amdhsa_private_segment_fixed_size 0
		.amdhsa_kernarg_size 184
		.amdhsa_user_sgpr_count 2
		.amdhsa_user_sgpr_dispatch_ptr 0
		.amdhsa_user_sgpr_queue_ptr 0
		.amdhsa_user_sgpr_kernarg_segment_ptr 1
		.amdhsa_user_sgpr_dispatch_id 0
		.amdhsa_user_sgpr_kernarg_preload_length 0
		.amdhsa_user_sgpr_kernarg_preload_offset 0
		.amdhsa_user_sgpr_private_segment_size 0
		.amdhsa_wavefront_size32 1
		.amdhsa_uses_dynamic_stack 0
		.amdhsa_enable_private_segment 0
		.amdhsa_system_sgpr_workgroup_id_x 1
		.amdhsa_system_sgpr_workgroup_id_y 0
		.amdhsa_system_sgpr_workgroup_id_z 0
		.amdhsa_system_sgpr_workgroup_info 0
		.amdhsa_system_vgpr_workitem_id 0
		.amdhsa_next_free_vgpr 1
		.amdhsa_next_free_sgpr 1
		.amdhsa_named_barrier_count 0
		.amdhsa_reserve_vcc 0
		.amdhsa_float_round_mode_32 0
		.amdhsa_float_round_mode_16_64 0
		.amdhsa_float_denorm_mode_32 3
		.amdhsa_float_denorm_mode_16_64 3
		.amdhsa_fp16_overflow 0
		.amdhsa_memory_ordered 1
		.amdhsa_forward_progress 1
		.amdhsa_inst_pref_size 0
		.amdhsa_round_robin_scheduling 0
		.amdhsa_exception_fp_ieee_invalid_op 0
		.amdhsa_exception_fp_denorm_src 0
		.amdhsa_exception_fp_ieee_div_zero 0
		.amdhsa_exception_fp_ieee_overflow 0
		.amdhsa_exception_fp_ieee_underflow 0
		.amdhsa_exception_fp_ieee_inexact 0
		.amdhsa_exception_int_div_zero 0
	.end_amdhsa_kernel
	.section	.text._ZN7rocprim17ROCPRIM_400000_NS6detail17trampoline_kernelINS0_13select_configILj256ELj13ELNS0_17block_load_methodE3ELS4_3ELS4_3ELNS0_20block_scan_algorithmE0ELj4294967295EEENS1_25partition_config_selectorILNS1_17partition_subalgoE4EjNS0_10empty_typeEbEEZZNS1_14partition_implILS8_4ELb0ES6_15HIP_vector_typeIjLj2EENS0_17counting_iteratorIjlEEPS9_SG_NS0_5tupleIJPjSI_NS0_16reverse_iteratorISI_EEEEENSH_IJSG_SG_SG_EEES9_SI_JZNS1_25segmented_radix_sort_implINS0_14default_configELb1EPKaPaPKlPlN2at6native12_GLOBAL__N_18offset_tEEE10hipError_tPvRmT1_PNSt15iterator_traitsIS12_E10value_typeET2_T3_PNS13_IS18_E10value_typeET4_jRbjT5_S1E_jjP12ihipStream_tbEUljE_ZNSN_ISO_Lb1ESQ_SR_ST_SU_SY_EESZ_S10_S11_S12_S16_S17_S18_S1B_S1C_jS1D_jS1E_S1E_jjS1G_bEUljE0_EEESZ_S10_S11_S18_S1C_S1E_T6_T7_T9_mT8_S1G_bDpT10_ENKUlT_T0_E_clISt17integral_constantIbLb1EES1U_EEDaS1P_S1Q_EUlS1P_E_NS1_11comp_targetILNS1_3genE5ELNS1_11target_archE942ELNS1_3gpuE9ELNS1_3repE0EEENS1_30default_config_static_selectorELNS0_4arch9wavefront6targetE0EEEvS12_,"axG",@progbits,_ZN7rocprim17ROCPRIM_400000_NS6detail17trampoline_kernelINS0_13select_configILj256ELj13ELNS0_17block_load_methodE3ELS4_3ELS4_3ELNS0_20block_scan_algorithmE0ELj4294967295EEENS1_25partition_config_selectorILNS1_17partition_subalgoE4EjNS0_10empty_typeEbEEZZNS1_14partition_implILS8_4ELb0ES6_15HIP_vector_typeIjLj2EENS0_17counting_iteratorIjlEEPS9_SG_NS0_5tupleIJPjSI_NS0_16reverse_iteratorISI_EEEEENSH_IJSG_SG_SG_EEES9_SI_JZNS1_25segmented_radix_sort_implINS0_14default_configELb1EPKaPaPKlPlN2at6native12_GLOBAL__N_18offset_tEEE10hipError_tPvRmT1_PNSt15iterator_traitsIS12_E10value_typeET2_T3_PNS13_IS18_E10value_typeET4_jRbjT5_S1E_jjP12ihipStream_tbEUljE_ZNSN_ISO_Lb1ESQ_SR_ST_SU_SY_EESZ_S10_S11_S12_S16_S17_S18_S1B_S1C_jS1D_jS1E_S1E_jjS1G_bEUljE0_EEESZ_S10_S11_S18_S1C_S1E_T6_T7_T9_mT8_S1G_bDpT10_ENKUlT_T0_E_clISt17integral_constantIbLb1EES1U_EEDaS1P_S1Q_EUlS1P_E_NS1_11comp_targetILNS1_3genE5ELNS1_11target_archE942ELNS1_3gpuE9ELNS1_3repE0EEENS1_30default_config_static_selectorELNS0_4arch9wavefront6targetE0EEEvS12_,comdat
.Lfunc_end233:
	.size	_ZN7rocprim17ROCPRIM_400000_NS6detail17trampoline_kernelINS0_13select_configILj256ELj13ELNS0_17block_load_methodE3ELS4_3ELS4_3ELNS0_20block_scan_algorithmE0ELj4294967295EEENS1_25partition_config_selectorILNS1_17partition_subalgoE4EjNS0_10empty_typeEbEEZZNS1_14partition_implILS8_4ELb0ES6_15HIP_vector_typeIjLj2EENS0_17counting_iteratorIjlEEPS9_SG_NS0_5tupleIJPjSI_NS0_16reverse_iteratorISI_EEEEENSH_IJSG_SG_SG_EEES9_SI_JZNS1_25segmented_radix_sort_implINS0_14default_configELb1EPKaPaPKlPlN2at6native12_GLOBAL__N_18offset_tEEE10hipError_tPvRmT1_PNSt15iterator_traitsIS12_E10value_typeET2_T3_PNS13_IS18_E10value_typeET4_jRbjT5_S1E_jjP12ihipStream_tbEUljE_ZNSN_ISO_Lb1ESQ_SR_ST_SU_SY_EESZ_S10_S11_S12_S16_S17_S18_S1B_S1C_jS1D_jS1E_S1E_jjS1G_bEUljE0_EEESZ_S10_S11_S18_S1C_S1E_T6_T7_T9_mT8_S1G_bDpT10_ENKUlT_T0_E_clISt17integral_constantIbLb1EES1U_EEDaS1P_S1Q_EUlS1P_E_NS1_11comp_targetILNS1_3genE5ELNS1_11target_archE942ELNS1_3gpuE9ELNS1_3repE0EEENS1_30default_config_static_selectorELNS0_4arch9wavefront6targetE0EEEvS12_, .Lfunc_end233-_ZN7rocprim17ROCPRIM_400000_NS6detail17trampoline_kernelINS0_13select_configILj256ELj13ELNS0_17block_load_methodE3ELS4_3ELS4_3ELNS0_20block_scan_algorithmE0ELj4294967295EEENS1_25partition_config_selectorILNS1_17partition_subalgoE4EjNS0_10empty_typeEbEEZZNS1_14partition_implILS8_4ELb0ES6_15HIP_vector_typeIjLj2EENS0_17counting_iteratorIjlEEPS9_SG_NS0_5tupleIJPjSI_NS0_16reverse_iteratorISI_EEEEENSH_IJSG_SG_SG_EEES9_SI_JZNS1_25segmented_radix_sort_implINS0_14default_configELb1EPKaPaPKlPlN2at6native12_GLOBAL__N_18offset_tEEE10hipError_tPvRmT1_PNSt15iterator_traitsIS12_E10value_typeET2_T3_PNS13_IS18_E10value_typeET4_jRbjT5_S1E_jjP12ihipStream_tbEUljE_ZNSN_ISO_Lb1ESQ_SR_ST_SU_SY_EESZ_S10_S11_S12_S16_S17_S18_S1B_S1C_jS1D_jS1E_S1E_jjS1G_bEUljE0_EEESZ_S10_S11_S18_S1C_S1E_T6_T7_T9_mT8_S1G_bDpT10_ENKUlT_T0_E_clISt17integral_constantIbLb1EES1U_EEDaS1P_S1Q_EUlS1P_E_NS1_11comp_targetILNS1_3genE5ELNS1_11target_archE942ELNS1_3gpuE9ELNS1_3repE0EEENS1_30default_config_static_selectorELNS0_4arch9wavefront6targetE0EEEvS12_
                                        ; -- End function
	.set _ZN7rocprim17ROCPRIM_400000_NS6detail17trampoline_kernelINS0_13select_configILj256ELj13ELNS0_17block_load_methodE3ELS4_3ELS4_3ELNS0_20block_scan_algorithmE0ELj4294967295EEENS1_25partition_config_selectorILNS1_17partition_subalgoE4EjNS0_10empty_typeEbEEZZNS1_14partition_implILS8_4ELb0ES6_15HIP_vector_typeIjLj2EENS0_17counting_iteratorIjlEEPS9_SG_NS0_5tupleIJPjSI_NS0_16reverse_iteratorISI_EEEEENSH_IJSG_SG_SG_EEES9_SI_JZNS1_25segmented_radix_sort_implINS0_14default_configELb1EPKaPaPKlPlN2at6native12_GLOBAL__N_18offset_tEEE10hipError_tPvRmT1_PNSt15iterator_traitsIS12_E10value_typeET2_T3_PNS13_IS18_E10value_typeET4_jRbjT5_S1E_jjP12ihipStream_tbEUljE_ZNSN_ISO_Lb1ESQ_SR_ST_SU_SY_EESZ_S10_S11_S12_S16_S17_S18_S1B_S1C_jS1D_jS1E_S1E_jjS1G_bEUljE0_EEESZ_S10_S11_S18_S1C_S1E_T6_T7_T9_mT8_S1G_bDpT10_ENKUlT_T0_E_clISt17integral_constantIbLb1EES1U_EEDaS1P_S1Q_EUlS1P_E_NS1_11comp_targetILNS1_3genE5ELNS1_11target_archE942ELNS1_3gpuE9ELNS1_3repE0EEENS1_30default_config_static_selectorELNS0_4arch9wavefront6targetE0EEEvS12_.num_vgpr, 0
	.set _ZN7rocprim17ROCPRIM_400000_NS6detail17trampoline_kernelINS0_13select_configILj256ELj13ELNS0_17block_load_methodE3ELS4_3ELS4_3ELNS0_20block_scan_algorithmE0ELj4294967295EEENS1_25partition_config_selectorILNS1_17partition_subalgoE4EjNS0_10empty_typeEbEEZZNS1_14partition_implILS8_4ELb0ES6_15HIP_vector_typeIjLj2EENS0_17counting_iteratorIjlEEPS9_SG_NS0_5tupleIJPjSI_NS0_16reverse_iteratorISI_EEEEENSH_IJSG_SG_SG_EEES9_SI_JZNS1_25segmented_radix_sort_implINS0_14default_configELb1EPKaPaPKlPlN2at6native12_GLOBAL__N_18offset_tEEE10hipError_tPvRmT1_PNSt15iterator_traitsIS12_E10value_typeET2_T3_PNS13_IS18_E10value_typeET4_jRbjT5_S1E_jjP12ihipStream_tbEUljE_ZNSN_ISO_Lb1ESQ_SR_ST_SU_SY_EESZ_S10_S11_S12_S16_S17_S18_S1B_S1C_jS1D_jS1E_S1E_jjS1G_bEUljE0_EEESZ_S10_S11_S18_S1C_S1E_T6_T7_T9_mT8_S1G_bDpT10_ENKUlT_T0_E_clISt17integral_constantIbLb1EES1U_EEDaS1P_S1Q_EUlS1P_E_NS1_11comp_targetILNS1_3genE5ELNS1_11target_archE942ELNS1_3gpuE9ELNS1_3repE0EEENS1_30default_config_static_selectorELNS0_4arch9wavefront6targetE0EEEvS12_.num_agpr, 0
	.set _ZN7rocprim17ROCPRIM_400000_NS6detail17trampoline_kernelINS0_13select_configILj256ELj13ELNS0_17block_load_methodE3ELS4_3ELS4_3ELNS0_20block_scan_algorithmE0ELj4294967295EEENS1_25partition_config_selectorILNS1_17partition_subalgoE4EjNS0_10empty_typeEbEEZZNS1_14partition_implILS8_4ELb0ES6_15HIP_vector_typeIjLj2EENS0_17counting_iteratorIjlEEPS9_SG_NS0_5tupleIJPjSI_NS0_16reverse_iteratorISI_EEEEENSH_IJSG_SG_SG_EEES9_SI_JZNS1_25segmented_radix_sort_implINS0_14default_configELb1EPKaPaPKlPlN2at6native12_GLOBAL__N_18offset_tEEE10hipError_tPvRmT1_PNSt15iterator_traitsIS12_E10value_typeET2_T3_PNS13_IS18_E10value_typeET4_jRbjT5_S1E_jjP12ihipStream_tbEUljE_ZNSN_ISO_Lb1ESQ_SR_ST_SU_SY_EESZ_S10_S11_S12_S16_S17_S18_S1B_S1C_jS1D_jS1E_S1E_jjS1G_bEUljE0_EEESZ_S10_S11_S18_S1C_S1E_T6_T7_T9_mT8_S1G_bDpT10_ENKUlT_T0_E_clISt17integral_constantIbLb1EES1U_EEDaS1P_S1Q_EUlS1P_E_NS1_11comp_targetILNS1_3genE5ELNS1_11target_archE942ELNS1_3gpuE9ELNS1_3repE0EEENS1_30default_config_static_selectorELNS0_4arch9wavefront6targetE0EEEvS12_.numbered_sgpr, 0
	.set _ZN7rocprim17ROCPRIM_400000_NS6detail17trampoline_kernelINS0_13select_configILj256ELj13ELNS0_17block_load_methodE3ELS4_3ELS4_3ELNS0_20block_scan_algorithmE0ELj4294967295EEENS1_25partition_config_selectorILNS1_17partition_subalgoE4EjNS0_10empty_typeEbEEZZNS1_14partition_implILS8_4ELb0ES6_15HIP_vector_typeIjLj2EENS0_17counting_iteratorIjlEEPS9_SG_NS0_5tupleIJPjSI_NS0_16reverse_iteratorISI_EEEEENSH_IJSG_SG_SG_EEES9_SI_JZNS1_25segmented_radix_sort_implINS0_14default_configELb1EPKaPaPKlPlN2at6native12_GLOBAL__N_18offset_tEEE10hipError_tPvRmT1_PNSt15iterator_traitsIS12_E10value_typeET2_T3_PNS13_IS18_E10value_typeET4_jRbjT5_S1E_jjP12ihipStream_tbEUljE_ZNSN_ISO_Lb1ESQ_SR_ST_SU_SY_EESZ_S10_S11_S12_S16_S17_S18_S1B_S1C_jS1D_jS1E_S1E_jjS1G_bEUljE0_EEESZ_S10_S11_S18_S1C_S1E_T6_T7_T9_mT8_S1G_bDpT10_ENKUlT_T0_E_clISt17integral_constantIbLb1EES1U_EEDaS1P_S1Q_EUlS1P_E_NS1_11comp_targetILNS1_3genE5ELNS1_11target_archE942ELNS1_3gpuE9ELNS1_3repE0EEENS1_30default_config_static_selectorELNS0_4arch9wavefront6targetE0EEEvS12_.num_named_barrier, 0
	.set _ZN7rocprim17ROCPRIM_400000_NS6detail17trampoline_kernelINS0_13select_configILj256ELj13ELNS0_17block_load_methodE3ELS4_3ELS4_3ELNS0_20block_scan_algorithmE0ELj4294967295EEENS1_25partition_config_selectorILNS1_17partition_subalgoE4EjNS0_10empty_typeEbEEZZNS1_14partition_implILS8_4ELb0ES6_15HIP_vector_typeIjLj2EENS0_17counting_iteratorIjlEEPS9_SG_NS0_5tupleIJPjSI_NS0_16reverse_iteratorISI_EEEEENSH_IJSG_SG_SG_EEES9_SI_JZNS1_25segmented_radix_sort_implINS0_14default_configELb1EPKaPaPKlPlN2at6native12_GLOBAL__N_18offset_tEEE10hipError_tPvRmT1_PNSt15iterator_traitsIS12_E10value_typeET2_T3_PNS13_IS18_E10value_typeET4_jRbjT5_S1E_jjP12ihipStream_tbEUljE_ZNSN_ISO_Lb1ESQ_SR_ST_SU_SY_EESZ_S10_S11_S12_S16_S17_S18_S1B_S1C_jS1D_jS1E_S1E_jjS1G_bEUljE0_EEESZ_S10_S11_S18_S1C_S1E_T6_T7_T9_mT8_S1G_bDpT10_ENKUlT_T0_E_clISt17integral_constantIbLb1EES1U_EEDaS1P_S1Q_EUlS1P_E_NS1_11comp_targetILNS1_3genE5ELNS1_11target_archE942ELNS1_3gpuE9ELNS1_3repE0EEENS1_30default_config_static_selectorELNS0_4arch9wavefront6targetE0EEEvS12_.private_seg_size, 0
	.set _ZN7rocprim17ROCPRIM_400000_NS6detail17trampoline_kernelINS0_13select_configILj256ELj13ELNS0_17block_load_methodE3ELS4_3ELS4_3ELNS0_20block_scan_algorithmE0ELj4294967295EEENS1_25partition_config_selectorILNS1_17partition_subalgoE4EjNS0_10empty_typeEbEEZZNS1_14partition_implILS8_4ELb0ES6_15HIP_vector_typeIjLj2EENS0_17counting_iteratorIjlEEPS9_SG_NS0_5tupleIJPjSI_NS0_16reverse_iteratorISI_EEEEENSH_IJSG_SG_SG_EEES9_SI_JZNS1_25segmented_radix_sort_implINS0_14default_configELb1EPKaPaPKlPlN2at6native12_GLOBAL__N_18offset_tEEE10hipError_tPvRmT1_PNSt15iterator_traitsIS12_E10value_typeET2_T3_PNS13_IS18_E10value_typeET4_jRbjT5_S1E_jjP12ihipStream_tbEUljE_ZNSN_ISO_Lb1ESQ_SR_ST_SU_SY_EESZ_S10_S11_S12_S16_S17_S18_S1B_S1C_jS1D_jS1E_S1E_jjS1G_bEUljE0_EEESZ_S10_S11_S18_S1C_S1E_T6_T7_T9_mT8_S1G_bDpT10_ENKUlT_T0_E_clISt17integral_constantIbLb1EES1U_EEDaS1P_S1Q_EUlS1P_E_NS1_11comp_targetILNS1_3genE5ELNS1_11target_archE942ELNS1_3gpuE9ELNS1_3repE0EEENS1_30default_config_static_selectorELNS0_4arch9wavefront6targetE0EEEvS12_.uses_vcc, 0
	.set _ZN7rocprim17ROCPRIM_400000_NS6detail17trampoline_kernelINS0_13select_configILj256ELj13ELNS0_17block_load_methodE3ELS4_3ELS4_3ELNS0_20block_scan_algorithmE0ELj4294967295EEENS1_25partition_config_selectorILNS1_17partition_subalgoE4EjNS0_10empty_typeEbEEZZNS1_14partition_implILS8_4ELb0ES6_15HIP_vector_typeIjLj2EENS0_17counting_iteratorIjlEEPS9_SG_NS0_5tupleIJPjSI_NS0_16reverse_iteratorISI_EEEEENSH_IJSG_SG_SG_EEES9_SI_JZNS1_25segmented_radix_sort_implINS0_14default_configELb1EPKaPaPKlPlN2at6native12_GLOBAL__N_18offset_tEEE10hipError_tPvRmT1_PNSt15iterator_traitsIS12_E10value_typeET2_T3_PNS13_IS18_E10value_typeET4_jRbjT5_S1E_jjP12ihipStream_tbEUljE_ZNSN_ISO_Lb1ESQ_SR_ST_SU_SY_EESZ_S10_S11_S12_S16_S17_S18_S1B_S1C_jS1D_jS1E_S1E_jjS1G_bEUljE0_EEESZ_S10_S11_S18_S1C_S1E_T6_T7_T9_mT8_S1G_bDpT10_ENKUlT_T0_E_clISt17integral_constantIbLb1EES1U_EEDaS1P_S1Q_EUlS1P_E_NS1_11comp_targetILNS1_3genE5ELNS1_11target_archE942ELNS1_3gpuE9ELNS1_3repE0EEENS1_30default_config_static_selectorELNS0_4arch9wavefront6targetE0EEEvS12_.uses_flat_scratch, 0
	.set _ZN7rocprim17ROCPRIM_400000_NS6detail17trampoline_kernelINS0_13select_configILj256ELj13ELNS0_17block_load_methodE3ELS4_3ELS4_3ELNS0_20block_scan_algorithmE0ELj4294967295EEENS1_25partition_config_selectorILNS1_17partition_subalgoE4EjNS0_10empty_typeEbEEZZNS1_14partition_implILS8_4ELb0ES6_15HIP_vector_typeIjLj2EENS0_17counting_iteratorIjlEEPS9_SG_NS0_5tupleIJPjSI_NS0_16reverse_iteratorISI_EEEEENSH_IJSG_SG_SG_EEES9_SI_JZNS1_25segmented_radix_sort_implINS0_14default_configELb1EPKaPaPKlPlN2at6native12_GLOBAL__N_18offset_tEEE10hipError_tPvRmT1_PNSt15iterator_traitsIS12_E10value_typeET2_T3_PNS13_IS18_E10value_typeET4_jRbjT5_S1E_jjP12ihipStream_tbEUljE_ZNSN_ISO_Lb1ESQ_SR_ST_SU_SY_EESZ_S10_S11_S12_S16_S17_S18_S1B_S1C_jS1D_jS1E_S1E_jjS1G_bEUljE0_EEESZ_S10_S11_S18_S1C_S1E_T6_T7_T9_mT8_S1G_bDpT10_ENKUlT_T0_E_clISt17integral_constantIbLb1EES1U_EEDaS1P_S1Q_EUlS1P_E_NS1_11comp_targetILNS1_3genE5ELNS1_11target_archE942ELNS1_3gpuE9ELNS1_3repE0EEENS1_30default_config_static_selectorELNS0_4arch9wavefront6targetE0EEEvS12_.has_dyn_sized_stack, 0
	.set _ZN7rocprim17ROCPRIM_400000_NS6detail17trampoline_kernelINS0_13select_configILj256ELj13ELNS0_17block_load_methodE3ELS4_3ELS4_3ELNS0_20block_scan_algorithmE0ELj4294967295EEENS1_25partition_config_selectorILNS1_17partition_subalgoE4EjNS0_10empty_typeEbEEZZNS1_14partition_implILS8_4ELb0ES6_15HIP_vector_typeIjLj2EENS0_17counting_iteratorIjlEEPS9_SG_NS0_5tupleIJPjSI_NS0_16reverse_iteratorISI_EEEEENSH_IJSG_SG_SG_EEES9_SI_JZNS1_25segmented_radix_sort_implINS0_14default_configELb1EPKaPaPKlPlN2at6native12_GLOBAL__N_18offset_tEEE10hipError_tPvRmT1_PNSt15iterator_traitsIS12_E10value_typeET2_T3_PNS13_IS18_E10value_typeET4_jRbjT5_S1E_jjP12ihipStream_tbEUljE_ZNSN_ISO_Lb1ESQ_SR_ST_SU_SY_EESZ_S10_S11_S12_S16_S17_S18_S1B_S1C_jS1D_jS1E_S1E_jjS1G_bEUljE0_EEESZ_S10_S11_S18_S1C_S1E_T6_T7_T9_mT8_S1G_bDpT10_ENKUlT_T0_E_clISt17integral_constantIbLb1EES1U_EEDaS1P_S1Q_EUlS1P_E_NS1_11comp_targetILNS1_3genE5ELNS1_11target_archE942ELNS1_3gpuE9ELNS1_3repE0EEENS1_30default_config_static_selectorELNS0_4arch9wavefront6targetE0EEEvS12_.has_recursion, 0
	.set _ZN7rocprim17ROCPRIM_400000_NS6detail17trampoline_kernelINS0_13select_configILj256ELj13ELNS0_17block_load_methodE3ELS4_3ELS4_3ELNS0_20block_scan_algorithmE0ELj4294967295EEENS1_25partition_config_selectorILNS1_17partition_subalgoE4EjNS0_10empty_typeEbEEZZNS1_14partition_implILS8_4ELb0ES6_15HIP_vector_typeIjLj2EENS0_17counting_iteratorIjlEEPS9_SG_NS0_5tupleIJPjSI_NS0_16reverse_iteratorISI_EEEEENSH_IJSG_SG_SG_EEES9_SI_JZNS1_25segmented_radix_sort_implINS0_14default_configELb1EPKaPaPKlPlN2at6native12_GLOBAL__N_18offset_tEEE10hipError_tPvRmT1_PNSt15iterator_traitsIS12_E10value_typeET2_T3_PNS13_IS18_E10value_typeET4_jRbjT5_S1E_jjP12ihipStream_tbEUljE_ZNSN_ISO_Lb1ESQ_SR_ST_SU_SY_EESZ_S10_S11_S12_S16_S17_S18_S1B_S1C_jS1D_jS1E_S1E_jjS1G_bEUljE0_EEESZ_S10_S11_S18_S1C_S1E_T6_T7_T9_mT8_S1G_bDpT10_ENKUlT_T0_E_clISt17integral_constantIbLb1EES1U_EEDaS1P_S1Q_EUlS1P_E_NS1_11comp_targetILNS1_3genE5ELNS1_11target_archE942ELNS1_3gpuE9ELNS1_3repE0EEENS1_30default_config_static_selectorELNS0_4arch9wavefront6targetE0EEEvS12_.has_indirect_call, 0
	.section	.AMDGPU.csdata,"",@progbits
; Kernel info:
; codeLenInByte = 0
; TotalNumSgprs: 0
; NumVgprs: 0
; ScratchSize: 0
; MemoryBound: 0
; FloatMode: 240
; IeeeMode: 1
; LDSByteSize: 0 bytes/workgroup (compile time only)
; SGPRBlocks: 0
; VGPRBlocks: 0
; NumSGPRsForWavesPerEU: 1
; NumVGPRsForWavesPerEU: 1
; NamedBarCnt: 0
; Occupancy: 16
; WaveLimiterHint : 0
; COMPUTE_PGM_RSRC2:SCRATCH_EN: 0
; COMPUTE_PGM_RSRC2:USER_SGPR: 2
; COMPUTE_PGM_RSRC2:TRAP_HANDLER: 0
; COMPUTE_PGM_RSRC2:TGID_X_EN: 1
; COMPUTE_PGM_RSRC2:TGID_Y_EN: 0
; COMPUTE_PGM_RSRC2:TGID_Z_EN: 0
; COMPUTE_PGM_RSRC2:TIDIG_COMP_CNT: 0
	.section	.text._ZN7rocprim17ROCPRIM_400000_NS6detail17trampoline_kernelINS0_13select_configILj256ELj13ELNS0_17block_load_methodE3ELS4_3ELS4_3ELNS0_20block_scan_algorithmE0ELj4294967295EEENS1_25partition_config_selectorILNS1_17partition_subalgoE4EjNS0_10empty_typeEbEEZZNS1_14partition_implILS8_4ELb0ES6_15HIP_vector_typeIjLj2EENS0_17counting_iteratorIjlEEPS9_SG_NS0_5tupleIJPjSI_NS0_16reverse_iteratorISI_EEEEENSH_IJSG_SG_SG_EEES9_SI_JZNS1_25segmented_radix_sort_implINS0_14default_configELb1EPKaPaPKlPlN2at6native12_GLOBAL__N_18offset_tEEE10hipError_tPvRmT1_PNSt15iterator_traitsIS12_E10value_typeET2_T3_PNS13_IS18_E10value_typeET4_jRbjT5_S1E_jjP12ihipStream_tbEUljE_ZNSN_ISO_Lb1ESQ_SR_ST_SU_SY_EESZ_S10_S11_S12_S16_S17_S18_S1B_S1C_jS1D_jS1E_S1E_jjS1G_bEUljE0_EEESZ_S10_S11_S18_S1C_S1E_T6_T7_T9_mT8_S1G_bDpT10_ENKUlT_T0_E_clISt17integral_constantIbLb1EES1U_EEDaS1P_S1Q_EUlS1P_E_NS1_11comp_targetILNS1_3genE4ELNS1_11target_archE910ELNS1_3gpuE8ELNS1_3repE0EEENS1_30default_config_static_selectorELNS0_4arch9wavefront6targetE0EEEvS12_,"axG",@progbits,_ZN7rocprim17ROCPRIM_400000_NS6detail17trampoline_kernelINS0_13select_configILj256ELj13ELNS0_17block_load_methodE3ELS4_3ELS4_3ELNS0_20block_scan_algorithmE0ELj4294967295EEENS1_25partition_config_selectorILNS1_17partition_subalgoE4EjNS0_10empty_typeEbEEZZNS1_14partition_implILS8_4ELb0ES6_15HIP_vector_typeIjLj2EENS0_17counting_iteratorIjlEEPS9_SG_NS0_5tupleIJPjSI_NS0_16reverse_iteratorISI_EEEEENSH_IJSG_SG_SG_EEES9_SI_JZNS1_25segmented_radix_sort_implINS0_14default_configELb1EPKaPaPKlPlN2at6native12_GLOBAL__N_18offset_tEEE10hipError_tPvRmT1_PNSt15iterator_traitsIS12_E10value_typeET2_T3_PNS13_IS18_E10value_typeET4_jRbjT5_S1E_jjP12ihipStream_tbEUljE_ZNSN_ISO_Lb1ESQ_SR_ST_SU_SY_EESZ_S10_S11_S12_S16_S17_S18_S1B_S1C_jS1D_jS1E_S1E_jjS1G_bEUljE0_EEESZ_S10_S11_S18_S1C_S1E_T6_T7_T9_mT8_S1G_bDpT10_ENKUlT_T0_E_clISt17integral_constantIbLb1EES1U_EEDaS1P_S1Q_EUlS1P_E_NS1_11comp_targetILNS1_3genE4ELNS1_11target_archE910ELNS1_3gpuE8ELNS1_3repE0EEENS1_30default_config_static_selectorELNS0_4arch9wavefront6targetE0EEEvS12_,comdat
	.globl	_ZN7rocprim17ROCPRIM_400000_NS6detail17trampoline_kernelINS0_13select_configILj256ELj13ELNS0_17block_load_methodE3ELS4_3ELS4_3ELNS0_20block_scan_algorithmE0ELj4294967295EEENS1_25partition_config_selectorILNS1_17partition_subalgoE4EjNS0_10empty_typeEbEEZZNS1_14partition_implILS8_4ELb0ES6_15HIP_vector_typeIjLj2EENS0_17counting_iteratorIjlEEPS9_SG_NS0_5tupleIJPjSI_NS0_16reverse_iteratorISI_EEEEENSH_IJSG_SG_SG_EEES9_SI_JZNS1_25segmented_radix_sort_implINS0_14default_configELb1EPKaPaPKlPlN2at6native12_GLOBAL__N_18offset_tEEE10hipError_tPvRmT1_PNSt15iterator_traitsIS12_E10value_typeET2_T3_PNS13_IS18_E10value_typeET4_jRbjT5_S1E_jjP12ihipStream_tbEUljE_ZNSN_ISO_Lb1ESQ_SR_ST_SU_SY_EESZ_S10_S11_S12_S16_S17_S18_S1B_S1C_jS1D_jS1E_S1E_jjS1G_bEUljE0_EEESZ_S10_S11_S18_S1C_S1E_T6_T7_T9_mT8_S1G_bDpT10_ENKUlT_T0_E_clISt17integral_constantIbLb1EES1U_EEDaS1P_S1Q_EUlS1P_E_NS1_11comp_targetILNS1_3genE4ELNS1_11target_archE910ELNS1_3gpuE8ELNS1_3repE0EEENS1_30default_config_static_selectorELNS0_4arch9wavefront6targetE0EEEvS12_ ; -- Begin function _ZN7rocprim17ROCPRIM_400000_NS6detail17trampoline_kernelINS0_13select_configILj256ELj13ELNS0_17block_load_methodE3ELS4_3ELS4_3ELNS0_20block_scan_algorithmE0ELj4294967295EEENS1_25partition_config_selectorILNS1_17partition_subalgoE4EjNS0_10empty_typeEbEEZZNS1_14partition_implILS8_4ELb0ES6_15HIP_vector_typeIjLj2EENS0_17counting_iteratorIjlEEPS9_SG_NS0_5tupleIJPjSI_NS0_16reverse_iteratorISI_EEEEENSH_IJSG_SG_SG_EEES9_SI_JZNS1_25segmented_radix_sort_implINS0_14default_configELb1EPKaPaPKlPlN2at6native12_GLOBAL__N_18offset_tEEE10hipError_tPvRmT1_PNSt15iterator_traitsIS12_E10value_typeET2_T3_PNS13_IS18_E10value_typeET4_jRbjT5_S1E_jjP12ihipStream_tbEUljE_ZNSN_ISO_Lb1ESQ_SR_ST_SU_SY_EESZ_S10_S11_S12_S16_S17_S18_S1B_S1C_jS1D_jS1E_S1E_jjS1G_bEUljE0_EEESZ_S10_S11_S18_S1C_S1E_T6_T7_T9_mT8_S1G_bDpT10_ENKUlT_T0_E_clISt17integral_constantIbLb1EES1U_EEDaS1P_S1Q_EUlS1P_E_NS1_11comp_targetILNS1_3genE4ELNS1_11target_archE910ELNS1_3gpuE8ELNS1_3repE0EEENS1_30default_config_static_selectorELNS0_4arch9wavefront6targetE0EEEvS12_
	.p2align	8
	.type	_ZN7rocprim17ROCPRIM_400000_NS6detail17trampoline_kernelINS0_13select_configILj256ELj13ELNS0_17block_load_methodE3ELS4_3ELS4_3ELNS0_20block_scan_algorithmE0ELj4294967295EEENS1_25partition_config_selectorILNS1_17partition_subalgoE4EjNS0_10empty_typeEbEEZZNS1_14partition_implILS8_4ELb0ES6_15HIP_vector_typeIjLj2EENS0_17counting_iteratorIjlEEPS9_SG_NS0_5tupleIJPjSI_NS0_16reverse_iteratorISI_EEEEENSH_IJSG_SG_SG_EEES9_SI_JZNS1_25segmented_radix_sort_implINS0_14default_configELb1EPKaPaPKlPlN2at6native12_GLOBAL__N_18offset_tEEE10hipError_tPvRmT1_PNSt15iterator_traitsIS12_E10value_typeET2_T3_PNS13_IS18_E10value_typeET4_jRbjT5_S1E_jjP12ihipStream_tbEUljE_ZNSN_ISO_Lb1ESQ_SR_ST_SU_SY_EESZ_S10_S11_S12_S16_S17_S18_S1B_S1C_jS1D_jS1E_S1E_jjS1G_bEUljE0_EEESZ_S10_S11_S18_S1C_S1E_T6_T7_T9_mT8_S1G_bDpT10_ENKUlT_T0_E_clISt17integral_constantIbLb1EES1U_EEDaS1P_S1Q_EUlS1P_E_NS1_11comp_targetILNS1_3genE4ELNS1_11target_archE910ELNS1_3gpuE8ELNS1_3repE0EEENS1_30default_config_static_selectorELNS0_4arch9wavefront6targetE0EEEvS12_,@function
_ZN7rocprim17ROCPRIM_400000_NS6detail17trampoline_kernelINS0_13select_configILj256ELj13ELNS0_17block_load_methodE3ELS4_3ELS4_3ELNS0_20block_scan_algorithmE0ELj4294967295EEENS1_25partition_config_selectorILNS1_17partition_subalgoE4EjNS0_10empty_typeEbEEZZNS1_14partition_implILS8_4ELb0ES6_15HIP_vector_typeIjLj2EENS0_17counting_iteratorIjlEEPS9_SG_NS0_5tupleIJPjSI_NS0_16reverse_iteratorISI_EEEEENSH_IJSG_SG_SG_EEES9_SI_JZNS1_25segmented_radix_sort_implINS0_14default_configELb1EPKaPaPKlPlN2at6native12_GLOBAL__N_18offset_tEEE10hipError_tPvRmT1_PNSt15iterator_traitsIS12_E10value_typeET2_T3_PNS13_IS18_E10value_typeET4_jRbjT5_S1E_jjP12ihipStream_tbEUljE_ZNSN_ISO_Lb1ESQ_SR_ST_SU_SY_EESZ_S10_S11_S12_S16_S17_S18_S1B_S1C_jS1D_jS1E_S1E_jjS1G_bEUljE0_EEESZ_S10_S11_S18_S1C_S1E_T6_T7_T9_mT8_S1G_bDpT10_ENKUlT_T0_E_clISt17integral_constantIbLb1EES1U_EEDaS1P_S1Q_EUlS1P_E_NS1_11comp_targetILNS1_3genE4ELNS1_11target_archE910ELNS1_3gpuE8ELNS1_3repE0EEENS1_30default_config_static_selectorELNS0_4arch9wavefront6targetE0EEEvS12_: ; @_ZN7rocprim17ROCPRIM_400000_NS6detail17trampoline_kernelINS0_13select_configILj256ELj13ELNS0_17block_load_methodE3ELS4_3ELS4_3ELNS0_20block_scan_algorithmE0ELj4294967295EEENS1_25partition_config_selectorILNS1_17partition_subalgoE4EjNS0_10empty_typeEbEEZZNS1_14partition_implILS8_4ELb0ES6_15HIP_vector_typeIjLj2EENS0_17counting_iteratorIjlEEPS9_SG_NS0_5tupleIJPjSI_NS0_16reverse_iteratorISI_EEEEENSH_IJSG_SG_SG_EEES9_SI_JZNS1_25segmented_radix_sort_implINS0_14default_configELb1EPKaPaPKlPlN2at6native12_GLOBAL__N_18offset_tEEE10hipError_tPvRmT1_PNSt15iterator_traitsIS12_E10value_typeET2_T3_PNS13_IS18_E10value_typeET4_jRbjT5_S1E_jjP12ihipStream_tbEUljE_ZNSN_ISO_Lb1ESQ_SR_ST_SU_SY_EESZ_S10_S11_S12_S16_S17_S18_S1B_S1C_jS1D_jS1E_S1E_jjS1G_bEUljE0_EEESZ_S10_S11_S18_S1C_S1E_T6_T7_T9_mT8_S1G_bDpT10_ENKUlT_T0_E_clISt17integral_constantIbLb1EES1U_EEDaS1P_S1Q_EUlS1P_E_NS1_11comp_targetILNS1_3genE4ELNS1_11target_archE910ELNS1_3gpuE8ELNS1_3repE0EEENS1_30default_config_static_selectorELNS0_4arch9wavefront6targetE0EEEvS12_
; %bb.0:
	.section	.rodata,"a",@progbits
	.p2align	6, 0x0
	.amdhsa_kernel _ZN7rocprim17ROCPRIM_400000_NS6detail17trampoline_kernelINS0_13select_configILj256ELj13ELNS0_17block_load_methodE3ELS4_3ELS4_3ELNS0_20block_scan_algorithmE0ELj4294967295EEENS1_25partition_config_selectorILNS1_17partition_subalgoE4EjNS0_10empty_typeEbEEZZNS1_14partition_implILS8_4ELb0ES6_15HIP_vector_typeIjLj2EENS0_17counting_iteratorIjlEEPS9_SG_NS0_5tupleIJPjSI_NS0_16reverse_iteratorISI_EEEEENSH_IJSG_SG_SG_EEES9_SI_JZNS1_25segmented_radix_sort_implINS0_14default_configELb1EPKaPaPKlPlN2at6native12_GLOBAL__N_18offset_tEEE10hipError_tPvRmT1_PNSt15iterator_traitsIS12_E10value_typeET2_T3_PNS13_IS18_E10value_typeET4_jRbjT5_S1E_jjP12ihipStream_tbEUljE_ZNSN_ISO_Lb1ESQ_SR_ST_SU_SY_EESZ_S10_S11_S12_S16_S17_S18_S1B_S1C_jS1D_jS1E_S1E_jjS1G_bEUljE0_EEESZ_S10_S11_S18_S1C_S1E_T6_T7_T9_mT8_S1G_bDpT10_ENKUlT_T0_E_clISt17integral_constantIbLb1EES1U_EEDaS1P_S1Q_EUlS1P_E_NS1_11comp_targetILNS1_3genE4ELNS1_11target_archE910ELNS1_3gpuE8ELNS1_3repE0EEENS1_30default_config_static_selectorELNS0_4arch9wavefront6targetE0EEEvS12_
		.amdhsa_group_segment_fixed_size 0
		.amdhsa_private_segment_fixed_size 0
		.amdhsa_kernarg_size 184
		.amdhsa_user_sgpr_count 2
		.amdhsa_user_sgpr_dispatch_ptr 0
		.amdhsa_user_sgpr_queue_ptr 0
		.amdhsa_user_sgpr_kernarg_segment_ptr 1
		.amdhsa_user_sgpr_dispatch_id 0
		.amdhsa_user_sgpr_kernarg_preload_length 0
		.amdhsa_user_sgpr_kernarg_preload_offset 0
		.amdhsa_user_sgpr_private_segment_size 0
		.amdhsa_wavefront_size32 1
		.amdhsa_uses_dynamic_stack 0
		.amdhsa_enable_private_segment 0
		.amdhsa_system_sgpr_workgroup_id_x 1
		.amdhsa_system_sgpr_workgroup_id_y 0
		.amdhsa_system_sgpr_workgroup_id_z 0
		.amdhsa_system_sgpr_workgroup_info 0
		.amdhsa_system_vgpr_workitem_id 0
		.amdhsa_next_free_vgpr 1
		.amdhsa_next_free_sgpr 1
		.amdhsa_named_barrier_count 0
		.amdhsa_reserve_vcc 0
		.amdhsa_float_round_mode_32 0
		.amdhsa_float_round_mode_16_64 0
		.amdhsa_float_denorm_mode_32 3
		.amdhsa_float_denorm_mode_16_64 3
		.amdhsa_fp16_overflow 0
		.amdhsa_memory_ordered 1
		.amdhsa_forward_progress 1
		.amdhsa_inst_pref_size 0
		.amdhsa_round_robin_scheduling 0
		.amdhsa_exception_fp_ieee_invalid_op 0
		.amdhsa_exception_fp_denorm_src 0
		.amdhsa_exception_fp_ieee_div_zero 0
		.amdhsa_exception_fp_ieee_overflow 0
		.amdhsa_exception_fp_ieee_underflow 0
		.amdhsa_exception_fp_ieee_inexact 0
		.amdhsa_exception_int_div_zero 0
	.end_amdhsa_kernel
	.section	.text._ZN7rocprim17ROCPRIM_400000_NS6detail17trampoline_kernelINS0_13select_configILj256ELj13ELNS0_17block_load_methodE3ELS4_3ELS4_3ELNS0_20block_scan_algorithmE0ELj4294967295EEENS1_25partition_config_selectorILNS1_17partition_subalgoE4EjNS0_10empty_typeEbEEZZNS1_14partition_implILS8_4ELb0ES6_15HIP_vector_typeIjLj2EENS0_17counting_iteratorIjlEEPS9_SG_NS0_5tupleIJPjSI_NS0_16reverse_iteratorISI_EEEEENSH_IJSG_SG_SG_EEES9_SI_JZNS1_25segmented_radix_sort_implINS0_14default_configELb1EPKaPaPKlPlN2at6native12_GLOBAL__N_18offset_tEEE10hipError_tPvRmT1_PNSt15iterator_traitsIS12_E10value_typeET2_T3_PNS13_IS18_E10value_typeET4_jRbjT5_S1E_jjP12ihipStream_tbEUljE_ZNSN_ISO_Lb1ESQ_SR_ST_SU_SY_EESZ_S10_S11_S12_S16_S17_S18_S1B_S1C_jS1D_jS1E_S1E_jjS1G_bEUljE0_EEESZ_S10_S11_S18_S1C_S1E_T6_T7_T9_mT8_S1G_bDpT10_ENKUlT_T0_E_clISt17integral_constantIbLb1EES1U_EEDaS1P_S1Q_EUlS1P_E_NS1_11comp_targetILNS1_3genE4ELNS1_11target_archE910ELNS1_3gpuE8ELNS1_3repE0EEENS1_30default_config_static_selectorELNS0_4arch9wavefront6targetE0EEEvS12_,"axG",@progbits,_ZN7rocprim17ROCPRIM_400000_NS6detail17trampoline_kernelINS0_13select_configILj256ELj13ELNS0_17block_load_methodE3ELS4_3ELS4_3ELNS0_20block_scan_algorithmE0ELj4294967295EEENS1_25partition_config_selectorILNS1_17partition_subalgoE4EjNS0_10empty_typeEbEEZZNS1_14partition_implILS8_4ELb0ES6_15HIP_vector_typeIjLj2EENS0_17counting_iteratorIjlEEPS9_SG_NS0_5tupleIJPjSI_NS0_16reverse_iteratorISI_EEEEENSH_IJSG_SG_SG_EEES9_SI_JZNS1_25segmented_radix_sort_implINS0_14default_configELb1EPKaPaPKlPlN2at6native12_GLOBAL__N_18offset_tEEE10hipError_tPvRmT1_PNSt15iterator_traitsIS12_E10value_typeET2_T3_PNS13_IS18_E10value_typeET4_jRbjT5_S1E_jjP12ihipStream_tbEUljE_ZNSN_ISO_Lb1ESQ_SR_ST_SU_SY_EESZ_S10_S11_S12_S16_S17_S18_S1B_S1C_jS1D_jS1E_S1E_jjS1G_bEUljE0_EEESZ_S10_S11_S18_S1C_S1E_T6_T7_T9_mT8_S1G_bDpT10_ENKUlT_T0_E_clISt17integral_constantIbLb1EES1U_EEDaS1P_S1Q_EUlS1P_E_NS1_11comp_targetILNS1_3genE4ELNS1_11target_archE910ELNS1_3gpuE8ELNS1_3repE0EEENS1_30default_config_static_selectorELNS0_4arch9wavefront6targetE0EEEvS12_,comdat
.Lfunc_end234:
	.size	_ZN7rocprim17ROCPRIM_400000_NS6detail17trampoline_kernelINS0_13select_configILj256ELj13ELNS0_17block_load_methodE3ELS4_3ELS4_3ELNS0_20block_scan_algorithmE0ELj4294967295EEENS1_25partition_config_selectorILNS1_17partition_subalgoE4EjNS0_10empty_typeEbEEZZNS1_14partition_implILS8_4ELb0ES6_15HIP_vector_typeIjLj2EENS0_17counting_iteratorIjlEEPS9_SG_NS0_5tupleIJPjSI_NS0_16reverse_iteratorISI_EEEEENSH_IJSG_SG_SG_EEES9_SI_JZNS1_25segmented_radix_sort_implINS0_14default_configELb1EPKaPaPKlPlN2at6native12_GLOBAL__N_18offset_tEEE10hipError_tPvRmT1_PNSt15iterator_traitsIS12_E10value_typeET2_T3_PNS13_IS18_E10value_typeET4_jRbjT5_S1E_jjP12ihipStream_tbEUljE_ZNSN_ISO_Lb1ESQ_SR_ST_SU_SY_EESZ_S10_S11_S12_S16_S17_S18_S1B_S1C_jS1D_jS1E_S1E_jjS1G_bEUljE0_EEESZ_S10_S11_S18_S1C_S1E_T6_T7_T9_mT8_S1G_bDpT10_ENKUlT_T0_E_clISt17integral_constantIbLb1EES1U_EEDaS1P_S1Q_EUlS1P_E_NS1_11comp_targetILNS1_3genE4ELNS1_11target_archE910ELNS1_3gpuE8ELNS1_3repE0EEENS1_30default_config_static_selectorELNS0_4arch9wavefront6targetE0EEEvS12_, .Lfunc_end234-_ZN7rocprim17ROCPRIM_400000_NS6detail17trampoline_kernelINS0_13select_configILj256ELj13ELNS0_17block_load_methodE3ELS4_3ELS4_3ELNS0_20block_scan_algorithmE0ELj4294967295EEENS1_25partition_config_selectorILNS1_17partition_subalgoE4EjNS0_10empty_typeEbEEZZNS1_14partition_implILS8_4ELb0ES6_15HIP_vector_typeIjLj2EENS0_17counting_iteratorIjlEEPS9_SG_NS0_5tupleIJPjSI_NS0_16reverse_iteratorISI_EEEEENSH_IJSG_SG_SG_EEES9_SI_JZNS1_25segmented_radix_sort_implINS0_14default_configELb1EPKaPaPKlPlN2at6native12_GLOBAL__N_18offset_tEEE10hipError_tPvRmT1_PNSt15iterator_traitsIS12_E10value_typeET2_T3_PNS13_IS18_E10value_typeET4_jRbjT5_S1E_jjP12ihipStream_tbEUljE_ZNSN_ISO_Lb1ESQ_SR_ST_SU_SY_EESZ_S10_S11_S12_S16_S17_S18_S1B_S1C_jS1D_jS1E_S1E_jjS1G_bEUljE0_EEESZ_S10_S11_S18_S1C_S1E_T6_T7_T9_mT8_S1G_bDpT10_ENKUlT_T0_E_clISt17integral_constantIbLb1EES1U_EEDaS1P_S1Q_EUlS1P_E_NS1_11comp_targetILNS1_3genE4ELNS1_11target_archE910ELNS1_3gpuE8ELNS1_3repE0EEENS1_30default_config_static_selectorELNS0_4arch9wavefront6targetE0EEEvS12_
                                        ; -- End function
	.set _ZN7rocprim17ROCPRIM_400000_NS6detail17trampoline_kernelINS0_13select_configILj256ELj13ELNS0_17block_load_methodE3ELS4_3ELS4_3ELNS0_20block_scan_algorithmE0ELj4294967295EEENS1_25partition_config_selectorILNS1_17partition_subalgoE4EjNS0_10empty_typeEbEEZZNS1_14partition_implILS8_4ELb0ES6_15HIP_vector_typeIjLj2EENS0_17counting_iteratorIjlEEPS9_SG_NS0_5tupleIJPjSI_NS0_16reverse_iteratorISI_EEEEENSH_IJSG_SG_SG_EEES9_SI_JZNS1_25segmented_radix_sort_implINS0_14default_configELb1EPKaPaPKlPlN2at6native12_GLOBAL__N_18offset_tEEE10hipError_tPvRmT1_PNSt15iterator_traitsIS12_E10value_typeET2_T3_PNS13_IS18_E10value_typeET4_jRbjT5_S1E_jjP12ihipStream_tbEUljE_ZNSN_ISO_Lb1ESQ_SR_ST_SU_SY_EESZ_S10_S11_S12_S16_S17_S18_S1B_S1C_jS1D_jS1E_S1E_jjS1G_bEUljE0_EEESZ_S10_S11_S18_S1C_S1E_T6_T7_T9_mT8_S1G_bDpT10_ENKUlT_T0_E_clISt17integral_constantIbLb1EES1U_EEDaS1P_S1Q_EUlS1P_E_NS1_11comp_targetILNS1_3genE4ELNS1_11target_archE910ELNS1_3gpuE8ELNS1_3repE0EEENS1_30default_config_static_selectorELNS0_4arch9wavefront6targetE0EEEvS12_.num_vgpr, 0
	.set _ZN7rocprim17ROCPRIM_400000_NS6detail17trampoline_kernelINS0_13select_configILj256ELj13ELNS0_17block_load_methodE3ELS4_3ELS4_3ELNS0_20block_scan_algorithmE0ELj4294967295EEENS1_25partition_config_selectorILNS1_17partition_subalgoE4EjNS0_10empty_typeEbEEZZNS1_14partition_implILS8_4ELb0ES6_15HIP_vector_typeIjLj2EENS0_17counting_iteratorIjlEEPS9_SG_NS0_5tupleIJPjSI_NS0_16reverse_iteratorISI_EEEEENSH_IJSG_SG_SG_EEES9_SI_JZNS1_25segmented_radix_sort_implINS0_14default_configELb1EPKaPaPKlPlN2at6native12_GLOBAL__N_18offset_tEEE10hipError_tPvRmT1_PNSt15iterator_traitsIS12_E10value_typeET2_T3_PNS13_IS18_E10value_typeET4_jRbjT5_S1E_jjP12ihipStream_tbEUljE_ZNSN_ISO_Lb1ESQ_SR_ST_SU_SY_EESZ_S10_S11_S12_S16_S17_S18_S1B_S1C_jS1D_jS1E_S1E_jjS1G_bEUljE0_EEESZ_S10_S11_S18_S1C_S1E_T6_T7_T9_mT8_S1G_bDpT10_ENKUlT_T0_E_clISt17integral_constantIbLb1EES1U_EEDaS1P_S1Q_EUlS1P_E_NS1_11comp_targetILNS1_3genE4ELNS1_11target_archE910ELNS1_3gpuE8ELNS1_3repE0EEENS1_30default_config_static_selectorELNS0_4arch9wavefront6targetE0EEEvS12_.num_agpr, 0
	.set _ZN7rocprim17ROCPRIM_400000_NS6detail17trampoline_kernelINS0_13select_configILj256ELj13ELNS0_17block_load_methodE3ELS4_3ELS4_3ELNS0_20block_scan_algorithmE0ELj4294967295EEENS1_25partition_config_selectorILNS1_17partition_subalgoE4EjNS0_10empty_typeEbEEZZNS1_14partition_implILS8_4ELb0ES6_15HIP_vector_typeIjLj2EENS0_17counting_iteratorIjlEEPS9_SG_NS0_5tupleIJPjSI_NS0_16reverse_iteratorISI_EEEEENSH_IJSG_SG_SG_EEES9_SI_JZNS1_25segmented_radix_sort_implINS0_14default_configELb1EPKaPaPKlPlN2at6native12_GLOBAL__N_18offset_tEEE10hipError_tPvRmT1_PNSt15iterator_traitsIS12_E10value_typeET2_T3_PNS13_IS18_E10value_typeET4_jRbjT5_S1E_jjP12ihipStream_tbEUljE_ZNSN_ISO_Lb1ESQ_SR_ST_SU_SY_EESZ_S10_S11_S12_S16_S17_S18_S1B_S1C_jS1D_jS1E_S1E_jjS1G_bEUljE0_EEESZ_S10_S11_S18_S1C_S1E_T6_T7_T9_mT8_S1G_bDpT10_ENKUlT_T0_E_clISt17integral_constantIbLb1EES1U_EEDaS1P_S1Q_EUlS1P_E_NS1_11comp_targetILNS1_3genE4ELNS1_11target_archE910ELNS1_3gpuE8ELNS1_3repE0EEENS1_30default_config_static_selectorELNS0_4arch9wavefront6targetE0EEEvS12_.numbered_sgpr, 0
	.set _ZN7rocprim17ROCPRIM_400000_NS6detail17trampoline_kernelINS0_13select_configILj256ELj13ELNS0_17block_load_methodE3ELS4_3ELS4_3ELNS0_20block_scan_algorithmE0ELj4294967295EEENS1_25partition_config_selectorILNS1_17partition_subalgoE4EjNS0_10empty_typeEbEEZZNS1_14partition_implILS8_4ELb0ES6_15HIP_vector_typeIjLj2EENS0_17counting_iteratorIjlEEPS9_SG_NS0_5tupleIJPjSI_NS0_16reverse_iteratorISI_EEEEENSH_IJSG_SG_SG_EEES9_SI_JZNS1_25segmented_radix_sort_implINS0_14default_configELb1EPKaPaPKlPlN2at6native12_GLOBAL__N_18offset_tEEE10hipError_tPvRmT1_PNSt15iterator_traitsIS12_E10value_typeET2_T3_PNS13_IS18_E10value_typeET4_jRbjT5_S1E_jjP12ihipStream_tbEUljE_ZNSN_ISO_Lb1ESQ_SR_ST_SU_SY_EESZ_S10_S11_S12_S16_S17_S18_S1B_S1C_jS1D_jS1E_S1E_jjS1G_bEUljE0_EEESZ_S10_S11_S18_S1C_S1E_T6_T7_T9_mT8_S1G_bDpT10_ENKUlT_T0_E_clISt17integral_constantIbLb1EES1U_EEDaS1P_S1Q_EUlS1P_E_NS1_11comp_targetILNS1_3genE4ELNS1_11target_archE910ELNS1_3gpuE8ELNS1_3repE0EEENS1_30default_config_static_selectorELNS0_4arch9wavefront6targetE0EEEvS12_.num_named_barrier, 0
	.set _ZN7rocprim17ROCPRIM_400000_NS6detail17trampoline_kernelINS0_13select_configILj256ELj13ELNS0_17block_load_methodE3ELS4_3ELS4_3ELNS0_20block_scan_algorithmE0ELj4294967295EEENS1_25partition_config_selectorILNS1_17partition_subalgoE4EjNS0_10empty_typeEbEEZZNS1_14partition_implILS8_4ELb0ES6_15HIP_vector_typeIjLj2EENS0_17counting_iteratorIjlEEPS9_SG_NS0_5tupleIJPjSI_NS0_16reverse_iteratorISI_EEEEENSH_IJSG_SG_SG_EEES9_SI_JZNS1_25segmented_radix_sort_implINS0_14default_configELb1EPKaPaPKlPlN2at6native12_GLOBAL__N_18offset_tEEE10hipError_tPvRmT1_PNSt15iterator_traitsIS12_E10value_typeET2_T3_PNS13_IS18_E10value_typeET4_jRbjT5_S1E_jjP12ihipStream_tbEUljE_ZNSN_ISO_Lb1ESQ_SR_ST_SU_SY_EESZ_S10_S11_S12_S16_S17_S18_S1B_S1C_jS1D_jS1E_S1E_jjS1G_bEUljE0_EEESZ_S10_S11_S18_S1C_S1E_T6_T7_T9_mT8_S1G_bDpT10_ENKUlT_T0_E_clISt17integral_constantIbLb1EES1U_EEDaS1P_S1Q_EUlS1P_E_NS1_11comp_targetILNS1_3genE4ELNS1_11target_archE910ELNS1_3gpuE8ELNS1_3repE0EEENS1_30default_config_static_selectorELNS0_4arch9wavefront6targetE0EEEvS12_.private_seg_size, 0
	.set _ZN7rocprim17ROCPRIM_400000_NS6detail17trampoline_kernelINS0_13select_configILj256ELj13ELNS0_17block_load_methodE3ELS4_3ELS4_3ELNS0_20block_scan_algorithmE0ELj4294967295EEENS1_25partition_config_selectorILNS1_17partition_subalgoE4EjNS0_10empty_typeEbEEZZNS1_14partition_implILS8_4ELb0ES6_15HIP_vector_typeIjLj2EENS0_17counting_iteratorIjlEEPS9_SG_NS0_5tupleIJPjSI_NS0_16reverse_iteratorISI_EEEEENSH_IJSG_SG_SG_EEES9_SI_JZNS1_25segmented_radix_sort_implINS0_14default_configELb1EPKaPaPKlPlN2at6native12_GLOBAL__N_18offset_tEEE10hipError_tPvRmT1_PNSt15iterator_traitsIS12_E10value_typeET2_T3_PNS13_IS18_E10value_typeET4_jRbjT5_S1E_jjP12ihipStream_tbEUljE_ZNSN_ISO_Lb1ESQ_SR_ST_SU_SY_EESZ_S10_S11_S12_S16_S17_S18_S1B_S1C_jS1D_jS1E_S1E_jjS1G_bEUljE0_EEESZ_S10_S11_S18_S1C_S1E_T6_T7_T9_mT8_S1G_bDpT10_ENKUlT_T0_E_clISt17integral_constantIbLb1EES1U_EEDaS1P_S1Q_EUlS1P_E_NS1_11comp_targetILNS1_3genE4ELNS1_11target_archE910ELNS1_3gpuE8ELNS1_3repE0EEENS1_30default_config_static_selectorELNS0_4arch9wavefront6targetE0EEEvS12_.uses_vcc, 0
	.set _ZN7rocprim17ROCPRIM_400000_NS6detail17trampoline_kernelINS0_13select_configILj256ELj13ELNS0_17block_load_methodE3ELS4_3ELS4_3ELNS0_20block_scan_algorithmE0ELj4294967295EEENS1_25partition_config_selectorILNS1_17partition_subalgoE4EjNS0_10empty_typeEbEEZZNS1_14partition_implILS8_4ELb0ES6_15HIP_vector_typeIjLj2EENS0_17counting_iteratorIjlEEPS9_SG_NS0_5tupleIJPjSI_NS0_16reverse_iteratorISI_EEEEENSH_IJSG_SG_SG_EEES9_SI_JZNS1_25segmented_radix_sort_implINS0_14default_configELb1EPKaPaPKlPlN2at6native12_GLOBAL__N_18offset_tEEE10hipError_tPvRmT1_PNSt15iterator_traitsIS12_E10value_typeET2_T3_PNS13_IS18_E10value_typeET4_jRbjT5_S1E_jjP12ihipStream_tbEUljE_ZNSN_ISO_Lb1ESQ_SR_ST_SU_SY_EESZ_S10_S11_S12_S16_S17_S18_S1B_S1C_jS1D_jS1E_S1E_jjS1G_bEUljE0_EEESZ_S10_S11_S18_S1C_S1E_T6_T7_T9_mT8_S1G_bDpT10_ENKUlT_T0_E_clISt17integral_constantIbLb1EES1U_EEDaS1P_S1Q_EUlS1P_E_NS1_11comp_targetILNS1_3genE4ELNS1_11target_archE910ELNS1_3gpuE8ELNS1_3repE0EEENS1_30default_config_static_selectorELNS0_4arch9wavefront6targetE0EEEvS12_.uses_flat_scratch, 0
	.set _ZN7rocprim17ROCPRIM_400000_NS6detail17trampoline_kernelINS0_13select_configILj256ELj13ELNS0_17block_load_methodE3ELS4_3ELS4_3ELNS0_20block_scan_algorithmE0ELj4294967295EEENS1_25partition_config_selectorILNS1_17partition_subalgoE4EjNS0_10empty_typeEbEEZZNS1_14partition_implILS8_4ELb0ES6_15HIP_vector_typeIjLj2EENS0_17counting_iteratorIjlEEPS9_SG_NS0_5tupleIJPjSI_NS0_16reverse_iteratorISI_EEEEENSH_IJSG_SG_SG_EEES9_SI_JZNS1_25segmented_radix_sort_implINS0_14default_configELb1EPKaPaPKlPlN2at6native12_GLOBAL__N_18offset_tEEE10hipError_tPvRmT1_PNSt15iterator_traitsIS12_E10value_typeET2_T3_PNS13_IS18_E10value_typeET4_jRbjT5_S1E_jjP12ihipStream_tbEUljE_ZNSN_ISO_Lb1ESQ_SR_ST_SU_SY_EESZ_S10_S11_S12_S16_S17_S18_S1B_S1C_jS1D_jS1E_S1E_jjS1G_bEUljE0_EEESZ_S10_S11_S18_S1C_S1E_T6_T7_T9_mT8_S1G_bDpT10_ENKUlT_T0_E_clISt17integral_constantIbLb1EES1U_EEDaS1P_S1Q_EUlS1P_E_NS1_11comp_targetILNS1_3genE4ELNS1_11target_archE910ELNS1_3gpuE8ELNS1_3repE0EEENS1_30default_config_static_selectorELNS0_4arch9wavefront6targetE0EEEvS12_.has_dyn_sized_stack, 0
	.set _ZN7rocprim17ROCPRIM_400000_NS6detail17trampoline_kernelINS0_13select_configILj256ELj13ELNS0_17block_load_methodE3ELS4_3ELS4_3ELNS0_20block_scan_algorithmE0ELj4294967295EEENS1_25partition_config_selectorILNS1_17partition_subalgoE4EjNS0_10empty_typeEbEEZZNS1_14partition_implILS8_4ELb0ES6_15HIP_vector_typeIjLj2EENS0_17counting_iteratorIjlEEPS9_SG_NS0_5tupleIJPjSI_NS0_16reverse_iteratorISI_EEEEENSH_IJSG_SG_SG_EEES9_SI_JZNS1_25segmented_radix_sort_implINS0_14default_configELb1EPKaPaPKlPlN2at6native12_GLOBAL__N_18offset_tEEE10hipError_tPvRmT1_PNSt15iterator_traitsIS12_E10value_typeET2_T3_PNS13_IS18_E10value_typeET4_jRbjT5_S1E_jjP12ihipStream_tbEUljE_ZNSN_ISO_Lb1ESQ_SR_ST_SU_SY_EESZ_S10_S11_S12_S16_S17_S18_S1B_S1C_jS1D_jS1E_S1E_jjS1G_bEUljE0_EEESZ_S10_S11_S18_S1C_S1E_T6_T7_T9_mT8_S1G_bDpT10_ENKUlT_T0_E_clISt17integral_constantIbLb1EES1U_EEDaS1P_S1Q_EUlS1P_E_NS1_11comp_targetILNS1_3genE4ELNS1_11target_archE910ELNS1_3gpuE8ELNS1_3repE0EEENS1_30default_config_static_selectorELNS0_4arch9wavefront6targetE0EEEvS12_.has_recursion, 0
	.set _ZN7rocprim17ROCPRIM_400000_NS6detail17trampoline_kernelINS0_13select_configILj256ELj13ELNS0_17block_load_methodE3ELS4_3ELS4_3ELNS0_20block_scan_algorithmE0ELj4294967295EEENS1_25partition_config_selectorILNS1_17partition_subalgoE4EjNS0_10empty_typeEbEEZZNS1_14partition_implILS8_4ELb0ES6_15HIP_vector_typeIjLj2EENS0_17counting_iteratorIjlEEPS9_SG_NS0_5tupleIJPjSI_NS0_16reverse_iteratorISI_EEEEENSH_IJSG_SG_SG_EEES9_SI_JZNS1_25segmented_radix_sort_implINS0_14default_configELb1EPKaPaPKlPlN2at6native12_GLOBAL__N_18offset_tEEE10hipError_tPvRmT1_PNSt15iterator_traitsIS12_E10value_typeET2_T3_PNS13_IS18_E10value_typeET4_jRbjT5_S1E_jjP12ihipStream_tbEUljE_ZNSN_ISO_Lb1ESQ_SR_ST_SU_SY_EESZ_S10_S11_S12_S16_S17_S18_S1B_S1C_jS1D_jS1E_S1E_jjS1G_bEUljE0_EEESZ_S10_S11_S18_S1C_S1E_T6_T7_T9_mT8_S1G_bDpT10_ENKUlT_T0_E_clISt17integral_constantIbLb1EES1U_EEDaS1P_S1Q_EUlS1P_E_NS1_11comp_targetILNS1_3genE4ELNS1_11target_archE910ELNS1_3gpuE8ELNS1_3repE0EEENS1_30default_config_static_selectorELNS0_4arch9wavefront6targetE0EEEvS12_.has_indirect_call, 0
	.section	.AMDGPU.csdata,"",@progbits
; Kernel info:
; codeLenInByte = 0
; TotalNumSgprs: 0
; NumVgprs: 0
; ScratchSize: 0
; MemoryBound: 0
; FloatMode: 240
; IeeeMode: 1
; LDSByteSize: 0 bytes/workgroup (compile time only)
; SGPRBlocks: 0
; VGPRBlocks: 0
; NumSGPRsForWavesPerEU: 1
; NumVGPRsForWavesPerEU: 1
; NamedBarCnt: 0
; Occupancy: 16
; WaveLimiterHint : 0
; COMPUTE_PGM_RSRC2:SCRATCH_EN: 0
; COMPUTE_PGM_RSRC2:USER_SGPR: 2
; COMPUTE_PGM_RSRC2:TRAP_HANDLER: 0
; COMPUTE_PGM_RSRC2:TGID_X_EN: 1
; COMPUTE_PGM_RSRC2:TGID_Y_EN: 0
; COMPUTE_PGM_RSRC2:TGID_Z_EN: 0
; COMPUTE_PGM_RSRC2:TIDIG_COMP_CNT: 0
	.section	.text._ZN7rocprim17ROCPRIM_400000_NS6detail17trampoline_kernelINS0_13select_configILj256ELj13ELNS0_17block_load_methodE3ELS4_3ELS4_3ELNS0_20block_scan_algorithmE0ELj4294967295EEENS1_25partition_config_selectorILNS1_17partition_subalgoE4EjNS0_10empty_typeEbEEZZNS1_14partition_implILS8_4ELb0ES6_15HIP_vector_typeIjLj2EENS0_17counting_iteratorIjlEEPS9_SG_NS0_5tupleIJPjSI_NS0_16reverse_iteratorISI_EEEEENSH_IJSG_SG_SG_EEES9_SI_JZNS1_25segmented_radix_sort_implINS0_14default_configELb1EPKaPaPKlPlN2at6native12_GLOBAL__N_18offset_tEEE10hipError_tPvRmT1_PNSt15iterator_traitsIS12_E10value_typeET2_T3_PNS13_IS18_E10value_typeET4_jRbjT5_S1E_jjP12ihipStream_tbEUljE_ZNSN_ISO_Lb1ESQ_SR_ST_SU_SY_EESZ_S10_S11_S12_S16_S17_S18_S1B_S1C_jS1D_jS1E_S1E_jjS1G_bEUljE0_EEESZ_S10_S11_S18_S1C_S1E_T6_T7_T9_mT8_S1G_bDpT10_ENKUlT_T0_E_clISt17integral_constantIbLb1EES1U_EEDaS1P_S1Q_EUlS1P_E_NS1_11comp_targetILNS1_3genE3ELNS1_11target_archE908ELNS1_3gpuE7ELNS1_3repE0EEENS1_30default_config_static_selectorELNS0_4arch9wavefront6targetE0EEEvS12_,"axG",@progbits,_ZN7rocprim17ROCPRIM_400000_NS6detail17trampoline_kernelINS0_13select_configILj256ELj13ELNS0_17block_load_methodE3ELS4_3ELS4_3ELNS0_20block_scan_algorithmE0ELj4294967295EEENS1_25partition_config_selectorILNS1_17partition_subalgoE4EjNS0_10empty_typeEbEEZZNS1_14partition_implILS8_4ELb0ES6_15HIP_vector_typeIjLj2EENS0_17counting_iteratorIjlEEPS9_SG_NS0_5tupleIJPjSI_NS0_16reverse_iteratorISI_EEEEENSH_IJSG_SG_SG_EEES9_SI_JZNS1_25segmented_radix_sort_implINS0_14default_configELb1EPKaPaPKlPlN2at6native12_GLOBAL__N_18offset_tEEE10hipError_tPvRmT1_PNSt15iterator_traitsIS12_E10value_typeET2_T3_PNS13_IS18_E10value_typeET4_jRbjT5_S1E_jjP12ihipStream_tbEUljE_ZNSN_ISO_Lb1ESQ_SR_ST_SU_SY_EESZ_S10_S11_S12_S16_S17_S18_S1B_S1C_jS1D_jS1E_S1E_jjS1G_bEUljE0_EEESZ_S10_S11_S18_S1C_S1E_T6_T7_T9_mT8_S1G_bDpT10_ENKUlT_T0_E_clISt17integral_constantIbLb1EES1U_EEDaS1P_S1Q_EUlS1P_E_NS1_11comp_targetILNS1_3genE3ELNS1_11target_archE908ELNS1_3gpuE7ELNS1_3repE0EEENS1_30default_config_static_selectorELNS0_4arch9wavefront6targetE0EEEvS12_,comdat
	.globl	_ZN7rocprim17ROCPRIM_400000_NS6detail17trampoline_kernelINS0_13select_configILj256ELj13ELNS0_17block_load_methodE3ELS4_3ELS4_3ELNS0_20block_scan_algorithmE0ELj4294967295EEENS1_25partition_config_selectorILNS1_17partition_subalgoE4EjNS0_10empty_typeEbEEZZNS1_14partition_implILS8_4ELb0ES6_15HIP_vector_typeIjLj2EENS0_17counting_iteratorIjlEEPS9_SG_NS0_5tupleIJPjSI_NS0_16reverse_iteratorISI_EEEEENSH_IJSG_SG_SG_EEES9_SI_JZNS1_25segmented_radix_sort_implINS0_14default_configELb1EPKaPaPKlPlN2at6native12_GLOBAL__N_18offset_tEEE10hipError_tPvRmT1_PNSt15iterator_traitsIS12_E10value_typeET2_T3_PNS13_IS18_E10value_typeET4_jRbjT5_S1E_jjP12ihipStream_tbEUljE_ZNSN_ISO_Lb1ESQ_SR_ST_SU_SY_EESZ_S10_S11_S12_S16_S17_S18_S1B_S1C_jS1D_jS1E_S1E_jjS1G_bEUljE0_EEESZ_S10_S11_S18_S1C_S1E_T6_T7_T9_mT8_S1G_bDpT10_ENKUlT_T0_E_clISt17integral_constantIbLb1EES1U_EEDaS1P_S1Q_EUlS1P_E_NS1_11comp_targetILNS1_3genE3ELNS1_11target_archE908ELNS1_3gpuE7ELNS1_3repE0EEENS1_30default_config_static_selectorELNS0_4arch9wavefront6targetE0EEEvS12_ ; -- Begin function _ZN7rocprim17ROCPRIM_400000_NS6detail17trampoline_kernelINS0_13select_configILj256ELj13ELNS0_17block_load_methodE3ELS4_3ELS4_3ELNS0_20block_scan_algorithmE0ELj4294967295EEENS1_25partition_config_selectorILNS1_17partition_subalgoE4EjNS0_10empty_typeEbEEZZNS1_14partition_implILS8_4ELb0ES6_15HIP_vector_typeIjLj2EENS0_17counting_iteratorIjlEEPS9_SG_NS0_5tupleIJPjSI_NS0_16reverse_iteratorISI_EEEEENSH_IJSG_SG_SG_EEES9_SI_JZNS1_25segmented_radix_sort_implINS0_14default_configELb1EPKaPaPKlPlN2at6native12_GLOBAL__N_18offset_tEEE10hipError_tPvRmT1_PNSt15iterator_traitsIS12_E10value_typeET2_T3_PNS13_IS18_E10value_typeET4_jRbjT5_S1E_jjP12ihipStream_tbEUljE_ZNSN_ISO_Lb1ESQ_SR_ST_SU_SY_EESZ_S10_S11_S12_S16_S17_S18_S1B_S1C_jS1D_jS1E_S1E_jjS1G_bEUljE0_EEESZ_S10_S11_S18_S1C_S1E_T6_T7_T9_mT8_S1G_bDpT10_ENKUlT_T0_E_clISt17integral_constantIbLb1EES1U_EEDaS1P_S1Q_EUlS1P_E_NS1_11comp_targetILNS1_3genE3ELNS1_11target_archE908ELNS1_3gpuE7ELNS1_3repE0EEENS1_30default_config_static_selectorELNS0_4arch9wavefront6targetE0EEEvS12_
	.p2align	8
	.type	_ZN7rocprim17ROCPRIM_400000_NS6detail17trampoline_kernelINS0_13select_configILj256ELj13ELNS0_17block_load_methodE3ELS4_3ELS4_3ELNS0_20block_scan_algorithmE0ELj4294967295EEENS1_25partition_config_selectorILNS1_17partition_subalgoE4EjNS0_10empty_typeEbEEZZNS1_14partition_implILS8_4ELb0ES6_15HIP_vector_typeIjLj2EENS0_17counting_iteratorIjlEEPS9_SG_NS0_5tupleIJPjSI_NS0_16reverse_iteratorISI_EEEEENSH_IJSG_SG_SG_EEES9_SI_JZNS1_25segmented_radix_sort_implINS0_14default_configELb1EPKaPaPKlPlN2at6native12_GLOBAL__N_18offset_tEEE10hipError_tPvRmT1_PNSt15iterator_traitsIS12_E10value_typeET2_T3_PNS13_IS18_E10value_typeET4_jRbjT5_S1E_jjP12ihipStream_tbEUljE_ZNSN_ISO_Lb1ESQ_SR_ST_SU_SY_EESZ_S10_S11_S12_S16_S17_S18_S1B_S1C_jS1D_jS1E_S1E_jjS1G_bEUljE0_EEESZ_S10_S11_S18_S1C_S1E_T6_T7_T9_mT8_S1G_bDpT10_ENKUlT_T0_E_clISt17integral_constantIbLb1EES1U_EEDaS1P_S1Q_EUlS1P_E_NS1_11comp_targetILNS1_3genE3ELNS1_11target_archE908ELNS1_3gpuE7ELNS1_3repE0EEENS1_30default_config_static_selectorELNS0_4arch9wavefront6targetE0EEEvS12_,@function
_ZN7rocprim17ROCPRIM_400000_NS6detail17trampoline_kernelINS0_13select_configILj256ELj13ELNS0_17block_load_methodE3ELS4_3ELS4_3ELNS0_20block_scan_algorithmE0ELj4294967295EEENS1_25partition_config_selectorILNS1_17partition_subalgoE4EjNS0_10empty_typeEbEEZZNS1_14partition_implILS8_4ELb0ES6_15HIP_vector_typeIjLj2EENS0_17counting_iteratorIjlEEPS9_SG_NS0_5tupleIJPjSI_NS0_16reverse_iteratorISI_EEEEENSH_IJSG_SG_SG_EEES9_SI_JZNS1_25segmented_radix_sort_implINS0_14default_configELb1EPKaPaPKlPlN2at6native12_GLOBAL__N_18offset_tEEE10hipError_tPvRmT1_PNSt15iterator_traitsIS12_E10value_typeET2_T3_PNS13_IS18_E10value_typeET4_jRbjT5_S1E_jjP12ihipStream_tbEUljE_ZNSN_ISO_Lb1ESQ_SR_ST_SU_SY_EESZ_S10_S11_S12_S16_S17_S18_S1B_S1C_jS1D_jS1E_S1E_jjS1G_bEUljE0_EEESZ_S10_S11_S18_S1C_S1E_T6_T7_T9_mT8_S1G_bDpT10_ENKUlT_T0_E_clISt17integral_constantIbLb1EES1U_EEDaS1P_S1Q_EUlS1P_E_NS1_11comp_targetILNS1_3genE3ELNS1_11target_archE908ELNS1_3gpuE7ELNS1_3repE0EEENS1_30default_config_static_selectorELNS0_4arch9wavefront6targetE0EEEvS12_: ; @_ZN7rocprim17ROCPRIM_400000_NS6detail17trampoline_kernelINS0_13select_configILj256ELj13ELNS0_17block_load_methodE3ELS4_3ELS4_3ELNS0_20block_scan_algorithmE0ELj4294967295EEENS1_25partition_config_selectorILNS1_17partition_subalgoE4EjNS0_10empty_typeEbEEZZNS1_14partition_implILS8_4ELb0ES6_15HIP_vector_typeIjLj2EENS0_17counting_iteratorIjlEEPS9_SG_NS0_5tupleIJPjSI_NS0_16reverse_iteratorISI_EEEEENSH_IJSG_SG_SG_EEES9_SI_JZNS1_25segmented_radix_sort_implINS0_14default_configELb1EPKaPaPKlPlN2at6native12_GLOBAL__N_18offset_tEEE10hipError_tPvRmT1_PNSt15iterator_traitsIS12_E10value_typeET2_T3_PNS13_IS18_E10value_typeET4_jRbjT5_S1E_jjP12ihipStream_tbEUljE_ZNSN_ISO_Lb1ESQ_SR_ST_SU_SY_EESZ_S10_S11_S12_S16_S17_S18_S1B_S1C_jS1D_jS1E_S1E_jjS1G_bEUljE0_EEESZ_S10_S11_S18_S1C_S1E_T6_T7_T9_mT8_S1G_bDpT10_ENKUlT_T0_E_clISt17integral_constantIbLb1EES1U_EEDaS1P_S1Q_EUlS1P_E_NS1_11comp_targetILNS1_3genE3ELNS1_11target_archE908ELNS1_3gpuE7ELNS1_3repE0EEENS1_30default_config_static_selectorELNS0_4arch9wavefront6targetE0EEEvS12_
; %bb.0:
	.section	.rodata,"a",@progbits
	.p2align	6, 0x0
	.amdhsa_kernel _ZN7rocprim17ROCPRIM_400000_NS6detail17trampoline_kernelINS0_13select_configILj256ELj13ELNS0_17block_load_methodE3ELS4_3ELS4_3ELNS0_20block_scan_algorithmE0ELj4294967295EEENS1_25partition_config_selectorILNS1_17partition_subalgoE4EjNS0_10empty_typeEbEEZZNS1_14partition_implILS8_4ELb0ES6_15HIP_vector_typeIjLj2EENS0_17counting_iteratorIjlEEPS9_SG_NS0_5tupleIJPjSI_NS0_16reverse_iteratorISI_EEEEENSH_IJSG_SG_SG_EEES9_SI_JZNS1_25segmented_radix_sort_implINS0_14default_configELb1EPKaPaPKlPlN2at6native12_GLOBAL__N_18offset_tEEE10hipError_tPvRmT1_PNSt15iterator_traitsIS12_E10value_typeET2_T3_PNS13_IS18_E10value_typeET4_jRbjT5_S1E_jjP12ihipStream_tbEUljE_ZNSN_ISO_Lb1ESQ_SR_ST_SU_SY_EESZ_S10_S11_S12_S16_S17_S18_S1B_S1C_jS1D_jS1E_S1E_jjS1G_bEUljE0_EEESZ_S10_S11_S18_S1C_S1E_T6_T7_T9_mT8_S1G_bDpT10_ENKUlT_T0_E_clISt17integral_constantIbLb1EES1U_EEDaS1P_S1Q_EUlS1P_E_NS1_11comp_targetILNS1_3genE3ELNS1_11target_archE908ELNS1_3gpuE7ELNS1_3repE0EEENS1_30default_config_static_selectorELNS0_4arch9wavefront6targetE0EEEvS12_
		.amdhsa_group_segment_fixed_size 0
		.amdhsa_private_segment_fixed_size 0
		.amdhsa_kernarg_size 184
		.amdhsa_user_sgpr_count 2
		.amdhsa_user_sgpr_dispatch_ptr 0
		.amdhsa_user_sgpr_queue_ptr 0
		.amdhsa_user_sgpr_kernarg_segment_ptr 1
		.amdhsa_user_sgpr_dispatch_id 0
		.amdhsa_user_sgpr_kernarg_preload_length 0
		.amdhsa_user_sgpr_kernarg_preload_offset 0
		.amdhsa_user_sgpr_private_segment_size 0
		.amdhsa_wavefront_size32 1
		.amdhsa_uses_dynamic_stack 0
		.amdhsa_enable_private_segment 0
		.amdhsa_system_sgpr_workgroup_id_x 1
		.amdhsa_system_sgpr_workgroup_id_y 0
		.amdhsa_system_sgpr_workgroup_id_z 0
		.amdhsa_system_sgpr_workgroup_info 0
		.amdhsa_system_vgpr_workitem_id 0
		.amdhsa_next_free_vgpr 1
		.amdhsa_next_free_sgpr 1
		.amdhsa_named_barrier_count 0
		.amdhsa_reserve_vcc 0
		.amdhsa_float_round_mode_32 0
		.amdhsa_float_round_mode_16_64 0
		.amdhsa_float_denorm_mode_32 3
		.amdhsa_float_denorm_mode_16_64 3
		.amdhsa_fp16_overflow 0
		.amdhsa_memory_ordered 1
		.amdhsa_forward_progress 1
		.amdhsa_inst_pref_size 0
		.amdhsa_round_robin_scheduling 0
		.amdhsa_exception_fp_ieee_invalid_op 0
		.amdhsa_exception_fp_denorm_src 0
		.amdhsa_exception_fp_ieee_div_zero 0
		.amdhsa_exception_fp_ieee_overflow 0
		.amdhsa_exception_fp_ieee_underflow 0
		.amdhsa_exception_fp_ieee_inexact 0
		.amdhsa_exception_int_div_zero 0
	.end_amdhsa_kernel
	.section	.text._ZN7rocprim17ROCPRIM_400000_NS6detail17trampoline_kernelINS0_13select_configILj256ELj13ELNS0_17block_load_methodE3ELS4_3ELS4_3ELNS0_20block_scan_algorithmE0ELj4294967295EEENS1_25partition_config_selectorILNS1_17partition_subalgoE4EjNS0_10empty_typeEbEEZZNS1_14partition_implILS8_4ELb0ES6_15HIP_vector_typeIjLj2EENS0_17counting_iteratorIjlEEPS9_SG_NS0_5tupleIJPjSI_NS0_16reverse_iteratorISI_EEEEENSH_IJSG_SG_SG_EEES9_SI_JZNS1_25segmented_radix_sort_implINS0_14default_configELb1EPKaPaPKlPlN2at6native12_GLOBAL__N_18offset_tEEE10hipError_tPvRmT1_PNSt15iterator_traitsIS12_E10value_typeET2_T3_PNS13_IS18_E10value_typeET4_jRbjT5_S1E_jjP12ihipStream_tbEUljE_ZNSN_ISO_Lb1ESQ_SR_ST_SU_SY_EESZ_S10_S11_S12_S16_S17_S18_S1B_S1C_jS1D_jS1E_S1E_jjS1G_bEUljE0_EEESZ_S10_S11_S18_S1C_S1E_T6_T7_T9_mT8_S1G_bDpT10_ENKUlT_T0_E_clISt17integral_constantIbLb1EES1U_EEDaS1P_S1Q_EUlS1P_E_NS1_11comp_targetILNS1_3genE3ELNS1_11target_archE908ELNS1_3gpuE7ELNS1_3repE0EEENS1_30default_config_static_selectorELNS0_4arch9wavefront6targetE0EEEvS12_,"axG",@progbits,_ZN7rocprim17ROCPRIM_400000_NS6detail17trampoline_kernelINS0_13select_configILj256ELj13ELNS0_17block_load_methodE3ELS4_3ELS4_3ELNS0_20block_scan_algorithmE0ELj4294967295EEENS1_25partition_config_selectorILNS1_17partition_subalgoE4EjNS0_10empty_typeEbEEZZNS1_14partition_implILS8_4ELb0ES6_15HIP_vector_typeIjLj2EENS0_17counting_iteratorIjlEEPS9_SG_NS0_5tupleIJPjSI_NS0_16reverse_iteratorISI_EEEEENSH_IJSG_SG_SG_EEES9_SI_JZNS1_25segmented_radix_sort_implINS0_14default_configELb1EPKaPaPKlPlN2at6native12_GLOBAL__N_18offset_tEEE10hipError_tPvRmT1_PNSt15iterator_traitsIS12_E10value_typeET2_T3_PNS13_IS18_E10value_typeET4_jRbjT5_S1E_jjP12ihipStream_tbEUljE_ZNSN_ISO_Lb1ESQ_SR_ST_SU_SY_EESZ_S10_S11_S12_S16_S17_S18_S1B_S1C_jS1D_jS1E_S1E_jjS1G_bEUljE0_EEESZ_S10_S11_S18_S1C_S1E_T6_T7_T9_mT8_S1G_bDpT10_ENKUlT_T0_E_clISt17integral_constantIbLb1EES1U_EEDaS1P_S1Q_EUlS1P_E_NS1_11comp_targetILNS1_3genE3ELNS1_11target_archE908ELNS1_3gpuE7ELNS1_3repE0EEENS1_30default_config_static_selectorELNS0_4arch9wavefront6targetE0EEEvS12_,comdat
.Lfunc_end235:
	.size	_ZN7rocprim17ROCPRIM_400000_NS6detail17trampoline_kernelINS0_13select_configILj256ELj13ELNS0_17block_load_methodE3ELS4_3ELS4_3ELNS0_20block_scan_algorithmE0ELj4294967295EEENS1_25partition_config_selectorILNS1_17partition_subalgoE4EjNS0_10empty_typeEbEEZZNS1_14partition_implILS8_4ELb0ES6_15HIP_vector_typeIjLj2EENS0_17counting_iteratorIjlEEPS9_SG_NS0_5tupleIJPjSI_NS0_16reverse_iteratorISI_EEEEENSH_IJSG_SG_SG_EEES9_SI_JZNS1_25segmented_radix_sort_implINS0_14default_configELb1EPKaPaPKlPlN2at6native12_GLOBAL__N_18offset_tEEE10hipError_tPvRmT1_PNSt15iterator_traitsIS12_E10value_typeET2_T3_PNS13_IS18_E10value_typeET4_jRbjT5_S1E_jjP12ihipStream_tbEUljE_ZNSN_ISO_Lb1ESQ_SR_ST_SU_SY_EESZ_S10_S11_S12_S16_S17_S18_S1B_S1C_jS1D_jS1E_S1E_jjS1G_bEUljE0_EEESZ_S10_S11_S18_S1C_S1E_T6_T7_T9_mT8_S1G_bDpT10_ENKUlT_T0_E_clISt17integral_constantIbLb1EES1U_EEDaS1P_S1Q_EUlS1P_E_NS1_11comp_targetILNS1_3genE3ELNS1_11target_archE908ELNS1_3gpuE7ELNS1_3repE0EEENS1_30default_config_static_selectorELNS0_4arch9wavefront6targetE0EEEvS12_, .Lfunc_end235-_ZN7rocprim17ROCPRIM_400000_NS6detail17trampoline_kernelINS0_13select_configILj256ELj13ELNS0_17block_load_methodE3ELS4_3ELS4_3ELNS0_20block_scan_algorithmE0ELj4294967295EEENS1_25partition_config_selectorILNS1_17partition_subalgoE4EjNS0_10empty_typeEbEEZZNS1_14partition_implILS8_4ELb0ES6_15HIP_vector_typeIjLj2EENS0_17counting_iteratorIjlEEPS9_SG_NS0_5tupleIJPjSI_NS0_16reverse_iteratorISI_EEEEENSH_IJSG_SG_SG_EEES9_SI_JZNS1_25segmented_radix_sort_implINS0_14default_configELb1EPKaPaPKlPlN2at6native12_GLOBAL__N_18offset_tEEE10hipError_tPvRmT1_PNSt15iterator_traitsIS12_E10value_typeET2_T3_PNS13_IS18_E10value_typeET4_jRbjT5_S1E_jjP12ihipStream_tbEUljE_ZNSN_ISO_Lb1ESQ_SR_ST_SU_SY_EESZ_S10_S11_S12_S16_S17_S18_S1B_S1C_jS1D_jS1E_S1E_jjS1G_bEUljE0_EEESZ_S10_S11_S18_S1C_S1E_T6_T7_T9_mT8_S1G_bDpT10_ENKUlT_T0_E_clISt17integral_constantIbLb1EES1U_EEDaS1P_S1Q_EUlS1P_E_NS1_11comp_targetILNS1_3genE3ELNS1_11target_archE908ELNS1_3gpuE7ELNS1_3repE0EEENS1_30default_config_static_selectorELNS0_4arch9wavefront6targetE0EEEvS12_
                                        ; -- End function
	.set _ZN7rocprim17ROCPRIM_400000_NS6detail17trampoline_kernelINS0_13select_configILj256ELj13ELNS0_17block_load_methodE3ELS4_3ELS4_3ELNS0_20block_scan_algorithmE0ELj4294967295EEENS1_25partition_config_selectorILNS1_17partition_subalgoE4EjNS0_10empty_typeEbEEZZNS1_14partition_implILS8_4ELb0ES6_15HIP_vector_typeIjLj2EENS0_17counting_iteratorIjlEEPS9_SG_NS0_5tupleIJPjSI_NS0_16reverse_iteratorISI_EEEEENSH_IJSG_SG_SG_EEES9_SI_JZNS1_25segmented_radix_sort_implINS0_14default_configELb1EPKaPaPKlPlN2at6native12_GLOBAL__N_18offset_tEEE10hipError_tPvRmT1_PNSt15iterator_traitsIS12_E10value_typeET2_T3_PNS13_IS18_E10value_typeET4_jRbjT5_S1E_jjP12ihipStream_tbEUljE_ZNSN_ISO_Lb1ESQ_SR_ST_SU_SY_EESZ_S10_S11_S12_S16_S17_S18_S1B_S1C_jS1D_jS1E_S1E_jjS1G_bEUljE0_EEESZ_S10_S11_S18_S1C_S1E_T6_T7_T9_mT8_S1G_bDpT10_ENKUlT_T0_E_clISt17integral_constantIbLb1EES1U_EEDaS1P_S1Q_EUlS1P_E_NS1_11comp_targetILNS1_3genE3ELNS1_11target_archE908ELNS1_3gpuE7ELNS1_3repE0EEENS1_30default_config_static_selectorELNS0_4arch9wavefront6targetE0EEEvS12_.num_vgpr, 0
	.set _ZN7rocprim17ROCPRIM_400000_NS6detail17trampoline_kernelINS0_13select_configILj256ELj13ELNS0_17block_load_methodE3ELS4_3ELS4_3ELNS0_20block_scan_algorithmE0ELj4294967295EEENS1_25partition_config_selectorILNS1_17partition_subalgoE4EjNS0_10empty_typeEbEEZZNS1_14partition_implILS8_4ELb0ES6_15HIP_vector_typeIjLj2EENS0_17counting_iteratorIjlEEPS9_SG_NS0_5tupleIJPjSI_NS0_16reverse_iteratorISI_EEEEENSH_IJSG_SG_SG_EEES9_SI_JZNS1_25segmented_radix_sort_implINS0_14default_configELb1EPKaPaPKlPlN2at6native12_GLOBAL__N_18offset_tEEE10hipError_tPvRmT1_PNSt15iterator_traitsIS12_E10value_typeET2_T3_PNS13_IS18_E10value_typeET4_jRbjT5_S1E_jjP12ihipStream_tbEUljE_ZNSN_ISO_Lb1ESQ_SR_ST_SU_SY_EESZ_S10_S11_S12_S16_S17_S18_S1B_S1C_jS1D_jS1E_S1E_jjS1G_bEUljE0_EEESZ_S10_S11_S18_S1C_S1E_T6_T7_T9_mT8_S1G_bDpT10_ENKUlT_T0_E_clISt17integral_constantIbLb1EES1U_EEDaS1P_S1Q_EUlS1P_E_NS1_11comp_targetILNS1_3genE3ELNS1_11target_archE908ELNS1_3gpuE7ELNS1_3repE0EEENS1_30default_config_static_selectorELNS0_4arch9wavefront6targetE0EEEvS12_.num_agpr, 0
	.set _ZN7rocprim17ROCPRIM_400000_NS6detail17trampoline_kernelINS0_13select_configILj256ELj13ELNS0_17block_load_methodE3ELS4_3ELS4_3ELNS0_20block_scan_algorithmE0ELj4294967295EEENS1_25partition_config_selectorILNS1_17partition_subalgoE4EjNS0_10empty_typeEbEEZZNS1_14partition_implILS8_4ELb0ES6_15HIP_vector_typeIjLj2EENS0_17counting_iteratorIjlEEPS9_SG_NS0_5tupleIJPjSI_NS0_16reverse_iteratorISI_EEEEENSH_IJSG_SG_SG_EEES9_SI_JZNS1_25segmented_radix_sort_implINS0_14default_configELb1EPKaPaPKlPlN2at6native12_GLOBAL__N_18offset_tEEE10hipError_tPvRmT1_PNSt15iterator_traitsIS12_E10value_typeET2_T3_PNS13_IS18_E10value_typeET4_jRbjT5_S1E_jjP12ihipStream_tbEUljE_ZNSN_ISO_Lb1ESQ_SR_ST_SU_SY_EESZ_S10_S11_S12_S16_S17_S18_S1B_S1C_jS1D_jS1E_S1E_jjS1G_bEUljE0_EEESZ_S10_S11_S18_S1C_S1E_T6_T7_T9_mT8_S1G_bDpT10_ENKUlT_T0_E_clISt17integral_constantIbLb1EES1U_EEDaS1P_S1Q_EUlS1P_E_NS1_11comp_targetILNS1_3genE3ELNS1_11target_archE908ELNS1_3gpuE7ELNS1_3repE0EEENS1_30default_config_static_selectorELNS0_4arch9wavefront6targetE0EEEvS12_.numbered_sgpr, 0
	.set _ZN7rocprim17ROCPRIM_400000_NS6detail17trampoline_kernelINS0_13select_configILj256ELj13ELNS0_17block_load_methodE3ELS4_3ELS4_3ELNS0_20block_scan_algorithmE0ELj4294967295EEENS1_25partition_config_selectorILNS1_17partition_subalgoE4EjNS0_10empty_typeEbEEZZNS1_14partition_implILS8_4ELb0ES6_15HIP_vector_typeIjLj2EENS0_17counting_iteratorIjlEEPS9_SG_NS0_5tupleIJPjSI_NS0_16reverse_iteratorISI_EEEEENSH_IJSG_SG_SG_EEES9_SI_JZNS1_25segmented_radix_sort_implINS0_14default_configELb1EPKaPaPKlPlN2at6native12_GLOBAL__N_18offset_tEEE10hipError_tPvRmT1_PNSt15iterator_traitsIS12_E10value_typeET2_T3_PNS13_IS18_E10value_typeET4_jRbjT5_S1E_jjP12ihipStream_tbEUljE_ZNSN_ISO_Lb1ESQ_SR_ST_SU_SY_EESZ_S10_S11_S12_S16_S17_S18_S1B_S1C_jS1D_jS1E_S1E_jjS1G_bEUljE0_EEESZ_S10_S11_S18_S1C_S1E_T6_T7_T9_mT8_S1G_bDpT10_ENKUlT_T0_E_clISt17integral_constantIbLb1EES1U_EEDaS1P_S1Q_EUlS1P_E_NS1_11comp_targetILNS1_3genE3ELNS1_11target_archE908ELNS1_3gpuE7ELNS1_3repE0EEENS1_30default_config_static_selectorELNS0_4arch9wavefront6targetE0EEEvS12_.num_named_barrier, 0
	.set _ZN7rocprim17ROCPRIM_400000_NS6detail17trampoline_kernelINS0_13select_configILj256ELj13ELNS0_17block_load_methodE3ELS4_3ELS4_3ELNS0_20block_scan_algorithmE0ELj4294967295EEENS1_25partition_config_selectorILNS1_17partition_subalgoE4EjNS0_10empty_typeEbEEZZNS1_14partition_implILS8_4ELb0ES6_15HIP_vector_typeIjLj2EENS0_17counting_iteratorIjlEEPS9_SG_NS0_5tupleIJPjSI_NS0_16reverse_iteratorISI_EEEEENSH_IJSG_SG_SG_EEES9_SI_JZNS1_25segmented_radix_sort_implINS0_14default_configELb1EPKaPaPKlPlN2at6native12_GLOBAL__N_18offset_tEEE10hipError_tPvRmT1_PNSt15iterator_traitsIS12_E10value_typeET2_T3_PNS13_IS18_E10value_typeET4_jRbjT5_S1E_jjP12ihipStream_tbEUljE_ZNSN_ISO_Lb1ESQ_SR_ST_SU_SY_EESZ_S10_S11_S12_S16_S17_S18_S1B_S1C_jS1D_jS1E_S1E_jjS1G_bEUljE0_EEESZ_S10_S11_S18_S1C_S1E_T6_T7_T9_mT8_S1G_bDpT10_ENKUlT_T0_E_clISt17integral_constantIbLb1EES1U_EEDaS1P_S1Q_EUlS1P_E_NS1_11comp_targetILNS1_3genE3ELNS1_11target_archE908ELNS1_3gpuE7ELNS1_3repE0EEENS1_30default_config_static_selectorELNS0_4arch9wavefront6targetE0EEEvS12_.private_seg_size, 0
	.set _ZN7rocprim17ROCPRIM_400000_NS6detail17trampoline_kernelINS0_13select_configILj256ELj13ELNS0_17block_load_methodE3ELS4_3ELS4_3ELNS0_20block_scan_algorithmE0ELj4294967295EEENS1_25partition_config_selectorILNS1_17partition_subalgoE4EjNS0_10empty_typeEbEEZZNS1_14partition_implILS8_4ELb0ES6_15HIP_vector_typeIjLj2EENS0_17counting_iteratorIjlEEPS9_SG_NS0_5tupleIJPjSI_NS0_16reverse_iteratorISI_EEEEENSH_IJSG_SG_SG_EEES9_SI_JZNS1_25segmented_radix_sort_implINS0_14default_configELb1EPKaPaPKlPlN2at6native12_GLOBAL__N_18offset_tEEE10hipError_tPvRmT1_PNSt15iterator_traitsIS12_E10value_typeET2_T3_PNS13_IS18_E10value_typeET4_jRbjT5_S1E_jjP12ihipStream_tbEUljE_ZNSN_ISO_Lb1ESQ_SR_ST_SU_SY_EESZ_S10_S11_S12_S16_S17_S18_S1B_S1C_jS1D_jS1E_S1E_jjS1G_bEUljE0_EEESZ_S10_S11_S18_S1C_S1E_T6_T7_T9_mT8_S1G_bDpT10_ENKUlT_T0_E_clISt17integral_constantIbLb1EES1U_EEDaS1P_S1Q_EUlS1P_E_NS1_11comp_targetILNS1_3genE3ELNS1_11target_archE908ELNS1_3gpuE7ELNS1_3repE0EEENS1_30default_config_static_selectorELNS0_4arch9wavefront6targetE0EEEvS12_.uses_vcc, 0
	.set _ZN7rocprim17ROCPRIM_400000_NS6detail17trampoline_kernelINS0_13select_configILj256ELj13ELNS0_17block_load_methodE3ELS4_3ELS4_3ELNS0_20block_scan_algorithmE0ELj4294967295EEENS1_25partition_config_selectorILNS1_17partition_subalgoE4EjNS0_10empty_typeEbEEZZNS1_14partition_implILS8_4ELb0ES6_15HIP_vector_typeIjLj2EENS0_17counting_iteratorIjlEEPS9_SG_NS0_5tupleIJPjSI_NS0_16reverse_iteratorISI_EEEEENSH_IJSG_SG_SG_EEES9_SI_JZNS1_25segmented_radix_sort_implINS0_14default_configELb1EPKaPaPKlPlN2at6native12_GLOBAL__N_18offset_tEEE10hipError_tPvRmT1_PNSt15iterator_traitsIS12_E10value_typeET2_T3_PNS13_IS18_E10value_typeET4_jRbjT5_S1E_jjP12ihipStream_tbEUljE_ZNSN_ISO_Lb1ESQ_SR_ST_SU_SY_EESZ_S10_S11_S12_S16_S17_S18_S1B_S1C_jS1D_jS1E_S1E_jjS1G_bEUljE0_EEESZ_S10_S11_S18_S1C_S1E_T6_T7_T9_mT8_S1G_bDpT10_ENKUlT_T0_E_clISt17integral_constantIbLb1EES1U_EEDaS1P_S1Q_EUlS1P_E_NS1_11comp_targetILNS1_3genE3ELNS1_11target_archE908ELNS1_3gpuE7ELNS1_3repE0EEENS1_30default_config_static_selectorELNS0_4arch9wavefront6targetE0EEEvS12_.uses_flat_scratch, 0
	.set _ZN7rocprim17ROCPRIM_400000_NS6detail17trampoline_kernelINS0_13select_configILj256ELj13ELNS0_17block_load_methodE3ELS4_3ELS4_3ELNS0_20block_scan_algorithmE0ELj4294967295EEENS1_25partition_config_selectorILNS1_17partition_subalgoE4EjNS0_10empty_typeEbEEZZNS1_14partition_implILS8_4ELb0ES6_15HIP_vector_typeIjLj2EENS0_17counting_iteratorIjlEEPS9_SG_NS0_5tupleIJPjSI_NS0_16reverse_iteratorISI_EEEEENSH_IJSG_SG_SG_EEES9_SI_JZNS1_25segmented_radix_sort_implINS0_14default_configELb1EPKaPaPKlPlN2at6native12_GLOBAL__N_18offset_tEEE10hipError_tPvRmT1_PNSt15iterator_traitsIS12_E10value_typeET2_T3_PNS13_IS18_E10value_typeET4_jRbjT5_S1E_jjP12ihipStream_tbEUljE_ZNSN_ISO_Lb1ESQ_SR_ST_SU_SY_EESZ_S10_S11_S12_S16_S17_S18_S1B_S1C_jS1D_jS1E_S1E_jjS1G_bEUljE0_EEESZ_S10_S11_S18_S1C_S1E_T6_T7_T9_mT8_S1G_bDpT10_ENKUlT_T0_E_clISt17integral_constantIbLb1EES1U_EEDaS1P_S1Q_EUlS1P_E_NS1_11comp_targetILNS1_3genE3ELNS1_11target_archE908ELNS1_3gpuE7ELNS1_3repE0EEENS1_30default_config_static_selectorELNS0_4arch9wavefront6targetE0EEEvS12_.has_dyn_sized_stack, 0
	.set _ZN7rocprim17ROCPRIM_400000_NS6detail17trampoline_kernelINS0_13select_configILj256ELj13ELNS0_17block_load_methodE3ELS4_3ELS4_3ELNS0_20block_scan_algorithmE0ELj4294967295EEENS1_25partition_config_selectorILNS1_17partition_subalgoE4EjNS0_10empty_typeEbEEZZNS1_14partition_implILS8_4ELb0ES6_15HIP_vector_typeIjLj2EENS0_17counting_iteratorIjlEEPS9_SG_NS0_5tupleIJPjSI_NS0_16reverse_iteratorISI_EEEEENSH_IJSG_SG_SG_EEES9_SI_JZNS1_25segmented_radix_sort_implINS0_14default_configELb1EPKaPaPKlPlN2at6native12_GLOBAL__N_18offset_tEEE10hipError_tPvRmT1_PNSt15iterator_traitsIS12_E10value_typeET2_T3_PNS13_IS18_E10value_typeET4_jRbjT5_S1E_jjP12ihipStream_tbEUljE_ZNSN_ISO_Lb1ESQ_SR_ST_SU_SY_EESZ_S10_S11_S12_S16_S17_S18_S1B_S1C_jS1D_jS1E_S1E_jjS1G_bEUljE0_EEESZ_S10_S11_S18_S1C_S1E_T6_T7_T9_mT8_S1G_bDpT10_ENKUlT_T0_E_clISt17integral_constantIbLb1EES1U_EEDaS1P_S1Q_EUlS1P_E_NS1_11comp_targetILNS1_3genE3ELNS1_11target_archE908ELNS1_3gpuE7ELNS1_3repE0EEENS1_30default_config_static_selectorELNS0_4arch9wavefront6targetE0EEEvS12_.has_recursion, 0
	.set _ZN7rocprim17ROCPRIM_400000_NS6detail17trampoline_kernelINS0_13select_configILj256ELj13ELNS0_17block_load_methodE3ELS4_3ELS4_3ELNS0_20block_scan_algorithmE0ELj4294967295EEENS1_25partition_config_selectorILNS1_17partition_subalgoE4EjNS0_10empty_typeEbEEZZNS1_14partition_implILS8_4ELb0ES6_15HIP_vector_typeIjLj2EENS0_17counting_iteratorIjlEEPS9_SG_NS0_5tupleIJPjSI_NS0_16reverse_iteratorISI_EEEEENSH_IJSG_SG_SG_EEES9_SI_JZNS1_25segmented_radix_sort_implINS0_14default_configELb1EPKaPaPKlPlN2at6native12_GLOBAL__N_18offset_tEEE10hipError_tPvRmT1_PNSt15iterator_traitsIS12_E10value_typeET2_T3_PNS13_IS18_E10value_typeET4_jRbjT5_S1E_jjP12ihipStream_tbEUljE_ZNSN_ISO_Lb1ESQ_SR_ST_SU_SY_EESZ_S10_S11_S12_S16_S17_S18_S1B_S1C_jS1D_jS1E_S1E_jjS1G_bEUljE0_EEESZ_S10_S11_S18_S1C_S1E_T6_T7_T9_mT8_S1G_bDpT10_ENKUlT_T0_E_clISt17integral_constantIbLb1EES1U_EEDaS1P_S1Q_EUlS1P_E_NS1_11comp_targetILNS1_3genE3ELNS1_11target_archE908ELNS1_3gpuE7ELNS1_3repE0EEENS1_30default_config_static_selectorELNS0_4arch9wavefront6targetE0EEEvS12_.has_indirect_call, 0
	.section	.AMDGPU.csdata,"",@progbits
; Kernel info:
; codeLenInByte = 0
; TotalNumSgprs: 0
; NumVgprs: 0
; ScratchSize: 0
; MemoryBound: 0
; FloatMode: 240
; IeeeMode: 1
; LDSByteSize: 0 bytes/workgroup (compile time only)
; SGPRBlocks: 0
; VGPRBlocks: 0
; NumSGPRsForWavesPerEU: 1
; NumVGPRsForWavesPerEU: 1
; NamedBarCnt: 0
; Occupancy: 16
; WaveLimiterHint : 0
; COMPUTE_PGM_RSRC2:SCRATCH_EN: 0
; COMPUTE_PGM_RSRC2:USER_SGPR: 2
; COMPUTE_PGM_RSRC2:TRAP_HANDLER: 0
; COMPUTE_PGM_RSRC2:TGID_X_EN: 1
; COMPUTE_PGM_RSRC2:TGID_Y_EN: 0
; COMPUTE_PGM_RSRC2:TGID_Z_EN: 0
; COMPUTE_PGM_RSRC2:TIDIG_COMP_CNT: 0
	.section	.text._ZN7rocprim17ROCPRIM_400000_NS6detail17trampoline_kernelINS0_13select_configILj256ELj13ELNS0_17block_load_methodE3ELS4_3ELS4_3ELNS0_20block_scan_algorithmE0ELj4294967295EEENS1_25partition_config_selectorILNS1_17partition_subalgoE4EjNS0_10empty_typeEbEEZZNS1_14partition_implILS8_4ELb0ES6_15HIP_vector_typeIjLj2EENS0_17counting_iteratorIjlEEPS9_SG_NS0_5tupleIJPjSI_NS0_16reverse_iteratorISI_EEEEENSH_IJSG_SG_SG_EEES9_SI_JZNS1_25segmented_radix_sort_implINS0_14default_configELb1EPKaPaPKlPlN2at6native12_GLOBAL__N_18offset_tEEE10hipError_tPvRmT1_PNSt15iterator_traitsIS12_E10value_typeET2_T3_PNS13_IS18_E10value_typeET4_jRbjT5_S1E_jjP12ihipStream_tbEUljE_ZNSN_ISO_Lb1ESQ_SR_ST_SU_SY_EESZ_S10_S11_S12_S16_S17_S18_S1B_S1C_jS1D_jS1E_S1E_jjS1G_bEUljE0_EEESZ_S10_S11_S18_S1C_S1E_T6_T7_T9_mT8_S1G_bDpT10_ENKUlT_T0_E_clISt17integral_constantIbLb1EES1U_EEDaS1P_S1Q_EUlS1P_E_NS1_11comp_targetILNS1_3genE2ELNS1_11target_archE906ELNS1_3gpuE6ELNS1_3repE0EEENS1_30default_config_static_selectorELNS0_4arch9wavefront6targetE0EEEvS12_,"axG",@progbits,_ZN7rocprim17ROCPRIM_400000_NS6detail17trampoline_kernelINS0_13select_configILj256ELj13ELNS0_17block_load_methodE3ELS4_3ELS4_3ELNS0_20block_scan_algorithmE0ELj4294967295EEENS1_25partition_config_selectorILNS1_17partition_subalgoE4EjNS0_10empty_typeEbEEZZNS1_14partition_implILS8_4ELb0ES6_15HIP_vector_typeIjLj2EENS0_17counting_iteratorIjlEEPS9_SG_NS0_5tupleIJPjSI_NS0_16reverse_iteratorISI_EEEEENSH_IJSG_SG_SG_EEES9_SI_JZNS1_25segmented_radix_sort_implINS0_14default_configELb1EPKaPaPKlPlN2at6native12_GLOBAL__N_18offset_tEEE10hipError_tPvRmT1_PNSt15iterator_traitsIS12_E10value_typeET2_T3_PNS13_IS18_E10value_typeET4_jRbjT5_S1E_jjP12ihipStream_tbEUljE_ZNSN_ISO_Lb1ESQ_SR_ST_SU_SY_EESZ_S10_S11_S12_S16_S17_S18_S1B_S1C_jS1D_jS1E_S1E_jjS1G_bEUljE0_EEESZ_S10_S11_S18_S1C_S1E_T6_T7_T9_mT8_S1G_bDpT10_ENKUlT_T0_E_clISt17integral_constantIbLb1EES1U_EEDaS1P_S1Q_EUlS1P_E_NS1_11comp_targetILNS1_3genE2ELNS1_11target_archE906ELNS1_3gpuE6ELNS1_3repE0EEENS1_30default_config_static_selectorELNS0_4arch9wavefront6targetE0EEEvS12_,comdat
	.globl	_ZN7rocprim17ROCPRIM_400000_NS6detail17trampoline_kernelINS0_13select_configILj256ELj13ELNS0_17block_load_methodE3ELS4_3ELS4_3ELNS0_20block_scan_algorithmE0ELj4294967295EEENS1_25partition_config_selectorILNS1_17partition_subalgoE4EjNS0_10empty_typeEbEEZZNS1_14partition_implILS8_4ELb0ES6_15HIP_vector_typeIjLj2EENS0_17counting_iteratorIjlEEPS9_SG_NS0_5tupleIJPjSI_NS0_16reverse_iteratorISI_EEEEENSH_IJSG_SG_SG_EEES9_SI_JZNS1_25segmented_radix_sort_implINS0_14default_configELb1EPKaPaPKlPlN2at6native12_GLOBAL__N_18offset_tEEE10hipError_tPvRmT1_PNSt15iterator_traitsIS12_E10value_typeET2_T3_PNS13_IS18_E10value_typeET4_jRbjT5_S1E_jjP12ihipStream_tbEUljE_ZNSN_ISO_Lb1ESQ_SR_ST_SU_SY_EESZ_S10_S11_S12_S16_S17_S18_S1B_S1C_jS1D_jS1E_S1E_jjS1G_bEUljE0_EEESZ_S10_S11_S18_S1C_S1E_T6_T7_T9_mT8_S1G_bDpT10_ENKUlT_T0_E_clISt17integral_constantIbLb1EES1U_EEDaS1P_S1Q_EUlS1P_E_NS1_11comp_targetILNS1_3genE2ELNS1_11target_archE906ELNS1_3gpuE6ELNS1_3repE0EEENS1_30default_config_static_selectorELNS0_4arch9wavefront6targetE0EEEvS12_ ; -- Begin function _ZN7rocprim17ROCPRIM_400000_NS6detail17trampoline_kernelINS0_13select_configILj256ELj13ELNS0_17block_load_methodE3ELS4_3ELS4_3ELNS0_20block_scan_algorithmE0ELj4294967295EEENS1_25partition_config_selectorILNS1_17partition_subalgoE4EjNS0_10empty_typeEbEEZZNS1_14partition_implILS8_4ELb0ES6_15HIP_vector_typeIjLj2EENS0_17counting_iteratorIjlEEPS9_SG_NS0_5tupleIJPjSI_NS0_16reverse_iteratorISI_EEEEENSH_IJSG_SG_SG_EEES9_SI_JZNS1_25segmented_radix_sort_implINS0_14default_configELb1EPKaPaPKlPlN2at6native12_GLOBAL__N_18offset_tEEE10hipError_tPvRmT1_PNSt15iterator_traitsIS12_E10value_typeET2_T3_PNS13_IS18_E10value_typeET4_jRbjT5_S1E_jjP12ihipStream_tbEUljE_ZNSN_ISO_Lb1ESQ_SR_ST_SU_SY_EESZ_S10_S11_S12_S16_S17_S18_S1B_S1C_jS1D_jS1E_S1E_jjS1G_bEUljE0_EEESZ_S10_S11_S18_S1C_S1E_T6_T7_T9_mT8_S1G_bDpT10_ENKUlT_T0_E_clISt17integral_constantIbLb1EES1U_EEDaS1P_S1Q_EUlS1P_E_NS1_11comp_targetILNS1_3genE2ELNS1_11target_archE906ELNS1_3gpuE6ELNS1_3repE0EEENS1_30default_config_static_selectorELNS0_4arch9wavefront6targetE0EEEvS12_
	.p2align	8
	.type	_ZN7rocprim17ROCPRIM_400000_NS6detail17trampoline_kernelINS0_13select_configILj256ELj13ELNS0_17block_load_methodE3ELS4_3ELS4_3ELNS0_20block_scan_algorithmE0ELj4294967295EEENS1_25partition_config_selectorILNS1_17partition_subalgoE4EjNS0_10empty_typeEbEEZZNS1_14partition_implILS8_4ELb0ES6_15HIP_vector_typeIjLj2EENS0_17counting_iteratorIjlEEPS9_SG_NS0_5tupleIJPjSI_NS0_16reverse_iteratorISI_EEEEENSH_IJSG_SG_SG_EEES9_SI_JZNS1_25segmented_radix_sort_implINS0_14default_configELb1EPKaPaPKlPlN2at6native12_GLOBAL__N_18offset_tEEE10hipError_tPvRmT1_PNSt15iterator_traitsIS12_E10value_typeET2_T3_PNS13_IS18_E10value_typeET4_jRbjT5_S1E_jjP12ihipStream_tbEUljE_ZNSN_ISO_Lb1ESQ_SR_ST_SU_SY_EESZ_S10_S11_S12_S16_S17_S18_S1B_S1C_jS1D_jS1E_S1E_jjS1G_bEUljE0_EEESZ_S10_S11_S18_S1C_S1E_T6_T7_T9_mT8_S1G_bDpT10_ENKUlT_T0_E_clISt17integral_constantIbLb1EES1U_EEDaS1P_S1Q_EUlS1P_E_NS1_11comp_targetILNS1_3genE2ELNS1_11target_archE906ELNS1_3gpuE6ELNS1_3repE0EEENS1_30default_config_static_selectorELNS0_4arch9wavefront6targetE0EEEvS12_,@function
_ZN7rocprim17ROCPRIM_400000_NS6detail17trampoline_kernelINS0_13select_configILj256ELj13ELNS0_17block_load_methodE3ELS4_3ELS4_3ELNS0_20block_scan_algorithmE0ELj4294967295EEENS1_25partition_config_selectorILNS1_17partition_subalgoE4EjNS0_10empty_typeEbEEZZNS1_14partition_implILS8_4ELb0ES6_15HIP_vector_typeIjLj2EENS0_17counting_iteratorIjlEEPS9_SG_NS0_5tupleIJPjSI_NS0_16reverse_iteratorISI_EEEEENSH_IJSG_SG_SG_EEES9_SI_JZNS1_25segmented_radix_sort_implINS0_14default_configELb1EPKaPaPKlPlN2at6native12_GLOBAL__N_18offset_tEEE10hipError_tPvRmT1_PNSt15iterator_traitsIS12_E10value_typeET2_T3_PNS13_IS18_E10value_typeET4_jRbjT5_S1E_jjP12ihipStream_tbEUljE_ZNSN_ISO_Lb1ESQ_SR_ST_SU_SY_EESZ_S10_S11_S12_S16_S17_S18_S1B_S1C_jS1D_jS1E_S1E_jjS1G_bEUljE0_EEESZ_S10_S11_S18_S1C_S1E_T6_T7_T9_mT8_S1G_bDpT10_ENKUlT_T0_E_clISt17integral_constantIbLb1EES1U_EEDaS1P_S1Q_EUlS1P_E_NS1_11comp_targetILNS1_3genE2ELNS1_11target_archE906ELNS1_3gpuE6ELNS1_3repE0EEENS1_30default_config_static_selectorELNS0_4arch9wavefront6targetE0EEEvS12_: ; @_ZN7rocprim17ROCPRIM_400000_NS6detail17trampoline_kernelINS0_13select_configILj256ELj13ELNS0_17block_load_methodE3ELS4_3ELS4_3ELNS0_20block_scan_algorithmE0ELj4294967295EEENS1_25partition_config_selectorILNS1_17partition_subalgoE4EjNS0_10empty_typeEbEEZZNS1_14partition_implILS8_4ELb0ES6_15HIP_vector_typeIjLj2EENS0_17counting_iteratorIjlEEPS9_SG_NS0_5tupleIJPjSI_NS0_16reverse_iteratorISI_EEEEENSH_IJSG_SG_SG_EEES9_SI_JZNS1_25segmented_radix_sort_implINS0_14default_configELb1EPKaPaPKlPlN2at6native12_GLOBAL__N_18offset_tEEE10hipError_tPvRmT1_PNSt15iterator_traitsIS12_E10value_typeET2_T3_PNS13_IS18_E10value_typeET4_jRbjT5_S1E_jjP12ihipStream_tbEUljE_ZNSN_ISO_Lb1ESQ_SR_ST_SU_SY_EESZ_S10_S11_S12_S16_S17_S18_S1B_S1C_jS1D_jS1E_S1E_jjS1G_bEUljE0_EEESZ_S10_S11_S18_S1C_S1E_T6_T7_T9_mT8_S1G_bDpT10_ENKUlT_T0_E_clISt17integral_constantIbLb1EES1U_EEDaS1P_S1Q_EUlS1P_E_NS1_11comp_targetILNS1_3genE2ELNS1_11target_archE906ELNS1_3gpuE6ELNS1_3repE0EEENS1_30default_config_static_selectorELNS0_4arch9wavefront6targetE0EEEvS12_
; %bb.0:
	.section	.rodata,"a",@progbits
	.p2align	6, 0x0
	.amdhsa_kernel _ZN7rocprim17ROCPRIM_400000_NS6detail17trampoline_kernelINS0_13select_configILj256ELj13ELNS0_17block_load_methodE3ELS4_3ELS4_3ELNS0_20block_scan_algorithmE0ELj4294967295EEENS1_25partition_config_selectorILNS1_17partition_subalgoE4EjNS0_10empty_typeEbEEZZNS1_14partition_implILS8_4ELb0ES6_15HIP_vector_typeIjLj2EENS0_17counting_iteratorIjlEEPS9_SG_NS0_5tupleIJPjSI_NS0_16reverse_iteratorISI_EEEEENSH_IJSG_SG_SG_EEES9_SI_JZNS1_25segmented_radix_sort_implINS0_14default_configELb1EPKaPaPKlPlN2at6native12_GLOBAL__N_18offset_tEEE10hipError_tPvRmT1_PNSt15iterator_traitsIS12_E10value_typeET2_T3_PNS13_IS18_E10value_typeET4_jRbjT5_S1E_jjP12ihipStream_tbEUljE_ZNSN_ISO_Lb1ESQ_SR_ST_SU_SY_EESZ_S10_S11_S12_S16_S17_S18_S1B_S1C_jS1D_jS1E_S1E_jjS1G_bEUljE0_EEESZ_S10_S11_S18_S1C_S1E_T6_T7_T9_mT8_S1G_bDpT10_ENKUlT_T0_E_clISt17integral_constantIbLb1EES1U_EEDaS1P_S1Q_EUlS1P_E_NS1_11comp_targetILNS1_3genE2ELNS1_11target_archE906ELNS1_3gpuE6ELNS1_3repE0EEENS1_30default_config_static_selectorELNS0_4arch9wavefront6targetE0EEEvS12_
		.amdhsa_group_segment_fixed_size 0
		.amdhsa_private_segment_fixed_size 0
		.amdhsa_kernarg_size 184
		.amdhsa_user_sgpr_count 2
		.amdhsa_user_sgpr_dispatch_ptr 0
		.amdhsa_user_sgpr_queue_ptr 0
		.amdhsa_user_sgpr_kernarg_segment_ptr 1
		.amdhsa_user_sgpr_dispatch_id 0
		.amdhsa_user_sgpr_kernarg_preload_length 0
		.amdhsa_user_sgpr_kernarg_preload_offset 0
		.amdhsa_user_sgpr_private_segment_size 0
		.amdhsa_wavefront_size32 1
		.amdhsa_uses_dynamic_stack 0
		.amdhsa_enable_private_segment 0
		.amdhsa_system_sgpr_workgroup_id_x 1
		.amdhsa_system_sgpr_workgroup_id_y 0
		.amdhsa_system_sgpr_workgroup_id_z 0
		.amdhsa_system_sgpr_workgroup_info 0
		.amdhsa_system_vgpr_workitem_id 0
		.amdhsa_next_free_vgpr 1
		.amdhsa_next_free_sgpr 1
		.amdhsa_named_barrier_count 0
		.amdhsa_reserve_vcc 0
		.amdhsa_float_round_mode_32 0
		.amdhsa_float_round_mode_16_64 0
		.amdhsa_float_denorm_mode_32 3
		.amdhsa_float_denorm_mode_16_64 3
		.amdhsa_fp16_overflow 0
		.amdhsa_memory_ordered 1
		.amdhsa_forward_progress 1
		.amdhsa_inst_pref_size 0
		.amdhsa_round_robin_scheduling 0
		.amdhsa_exception_fp_ieee_invalid_op 0
		.amdhsa_exception_fp_denorm_src 0
		.amdhsa_exception_fp_ieee_div_zero 0
		.amdhsa_exception_fp_ieee_overflow 0
		.amdhsa_exception_fp_ieee_underflow 0
		.amdhsa_exception_fp_ieee_inexact 0
		.amdhsa_exception_int_div_zero 0
	.end_amdhsa_kernel
	.section	.text._ZN7rocprim17ROCPRIM_400000_NS6detail17trampoline_kernelINS0_13select_configILj256ELj13ELNS0_17block_load_methodE3ELS4_3ELS4_3ELNS0_20block_scan_algorithmE0ELj4294967295EEENS1_25partition_config_selectorILNS1_17partition_subalgoE4EjNS0_10empty_typeEbEEZZNS1_14partition_implILS8_4ELb0ES6_15HIP_vector_typeIjLj2EENS0_17counting_iteratorIjlEEPS9_SG_NS0_5tupleIJPjSI_NS0_16reverse_iteratorISI_EEEEENSH_IJSG_SG_SG_EEES9_SI_JZNS1_25segmented_radix_sort_implINS0_14default_configELb1EPKaPaPKlPlN2at6native12_GLOBAL__N_18offset_tEEE10hipError_tPvRmT1_PNSt15iterator_traitsIS12_E10value_typeET2_T3_PNS13_IS18_E10value_typeET4_jRbjT5_S1E_jjP12ihipStream_tbEUljE_ZNSN_ISO_Lb1ESQ_SR_ST_SU_SY_EESZ_S10_S11_S12_S16_S17_S18_S1B_S1C_jS1D_jS1E_S1E_jjS1G_bEUljE0_EEESZ_S10_S11_S18_S1C_S1E_T6_T7_T9_mT8_S1G_bDpT10_ENKUlT_T0_E_clISt17integral_constantIbLb1EES1U_EEDaS1P_S1Q_EUlS1P_E_NS1_11comp_targetILNS1_3genE2ELNS1_11target_archE906ELNS1_3gpuE6ELNS1_3repE0EEENS1_30default_config_static_selectorELNS0_4arch9wavefront6targetE0EEEvS12_,"axG",@progbits,_ZN7rocprim17ROCPRIM_400000_NS6detail17trampoline_kernelINS0_13select_configILj256ELj13ELNS0_17block_load_methodE3ELS4_3ELS4_3ELNS0_20block_scan_algorithmE0ELj4294967295EEENS1_25partition_config_selectorILNS1_17partition_subalgoE4EjNS0_10empty_typeEbEEZZNS1_14partition_implILS8_4ELb0ES6_15HIP_vector_typeIjLj2EENS0_17counting_iteratorIjlEEPS9_SG_NS0_5tupleIJPjSI_NS0_16reverse_iteratorISI_EEEEENSH_IJSG_SG_SG_EEES9_SI_JZNS1_25segmented_radix_sort_implINS0_14default_configELb1EPKaPaPKlPlN2at6native12_GLOBAL__N_18offset_tEEE10hipError_tPvRmT1_PNSt15iterator_traitsIS12_E10value_typeET2_T3_PNS13_IS18_E10value_typeET4_jRbjT5_S1E_jjP12ihipStream_tbEUljE_ZNSN_ISO_Lb1ESQ_SR_ST_SU_SY_EESZ_S10_S11_S12_S16_S17_S18_S1B_S1C_jS1D_jS1E_S1E_jjS1G_bEUljE0_EEESZ_S10_S11_S18_S1C_S1E_T6_T7_T9_mT8_S1G_bDpT10_ENKUlT_T0_E_clISt17integral_constantIbLb1EES1U_EEDaS1P_S1Q_EUlS1P_E_NS1_11comp_targetILNS1_3genE2ELNS1_11target_archE906ELNS1_3gpuE6ELNS1_3repE0EEENS1_30default_config_static_selectorELNS0_4arch9wavefront6targetE0EEEvS12_,comdat
.Lfunc_end236:
	.size	_ZN7rocprim17ROCPRIM_400000_NS6detail17trampoline_kernelINS0_13select_configILj256ELj13ELNS0_17block_load_methodE3ELS4_3ELS4_3ELNS0_20block_scan_algorithmE0ELj4294967295EEENS1_25partition_config_selectorILNS1_17partition_subalgoE4EjNS0_10empty_typeEbEEZZNS1_14partition_implILS8_4ELb0ES6_15HIP_vector_typeIjLj2EENS0_17counting_iteratorIjlEEPS9_SG_NS0_5tupleIJPjSI_NS0_16reverse_iteratorISI_EEEEENSH_IJSG_SG_SG_EEES9_SI_JZNS1_25segmented_radix_sort_implINS0_14default_configELb1EPKaPaPKlPlN2at6native12_GLOBAL__N_18offset_tEEE10hipError_tPvRmT1_PNSt15iterator_traitsIS12_E10value_typeET2_T3_PNS13_IS18_E10value_typeET4_jRbjT5_S1E_jjP12ihipStream_tbEUljE_ZNSN_ISO_Lb1ESQ_SR_ST_SU_SY_EESZ_S10_S11_S12_S16_S17_S18_S1B_S1C_jS1D_jS1E_S1E_jjS1G_bEUljE0_EEESZ_S10_S11_S18_S1C_S1E_T6_T7_T9_mT8_S1G_bDpT10_ENKUlT_T0_E_clISt17integral_constantIbLb1EES1U_EEDaS1P_S1Q_EUlS1P_E_NS1_11comp_targetILNS1_3genE2ELNS1_11target_archE906ELNS1_3gpuE6ELNS1_3repE0EEENS1_30default_config_static_selectorELNS0_4arch9wavefront6targetE0EEEvS12_, .Lfunc_end236-_ZN7rocprim17ROCPRIM_400000_NS6detail17trampoline_kernelINS0_13select_configILj256ELj13ELNS0_17block_load_methodE3ELS4_3ELS4_3ELNS0_20block_scan_algorithmE0ELj4294967295EEENS1_25partition_config_selectorILNS1_17partition_subalgoE4EjNS0_10empty_typeEbEEZZNS1_14partition_implILS8_4ELb0ES6_15HIP_vector_typeIjLj2EENS0_17counting_iteratorIjlEEPS9_SG_NS0_5tupleIJPjSI_NS0_16reverse_iteratorISI_EEEEENSH_IJSG_SG_SG_EEES9_SI_JZNS1_25segmented_radix_sort_implINS0_14default_configELb1EPKaPaPKlPlN2at6native12_GLOBAL__N_18offset_tEEE10hipError_tPvRmT1_PNSt15iterator_traitsIS12_E10value_typeET2_T3_PNS13_IS18_E10value_typeET4_jRbjT5_S1E_jjP12ihipStream_tbEUljE_ZNSN_ISO_Lb1ESQ_SR_ST_SU_SY_EESZ_S10_S11_S12_S16_S17_S18_S1B_S1C_jS1D_jS1E_S1E_jjS1G_bEUljE0_EEESZ_S10_S11_S18_S1C_S1E_T6_T7_T9_mT8_S1G_bDpT10_ENKUlT_T0_E_clISt17integral_constantIbLb1EES1U_EEDaS1P_S1Q_EUlS1P_E_NS1_11comp_targetILNS1_3genE2ELNS1_11target_archE906ELNS1_3gpuE6ELNS1_3repE0EEENS1_30default_config_static_selectorELNS0_4arch9wavefront6targetE0EEEvS12_
                                        ; -- End function
	.set _ZN7rocprim17ROCPRIM_400000_NS6detail17trampoline_kernelINS0_13select_configILj256ELj13ELNS0_17block_load_methodE3ELS4_3ELS4_3ELNS0_20block_scan_algorithmE0ELj4294967295EEENS1_25partition_config_selectorILNS1_17partition_subalgoE4EjNS0_10empty_typeEbEEZZNS1_14partition_implILS8_4ELb0ES6_15HIP_vector_typeIjLj2EENS0_17counting_iteratorIjlEEPS9_SG_NS0_5tupleIJPjSI_NS0_16reverse_iteratorISI_EEEEENSH_IJSG_SG_SG_EEES9_SI_JZNS1_25segmented_radix_sort_implINS0_14default_configELb1EPKaPaPKlPlN2at6native12_GLOBAL__N_18offset_tEEE10hipError_tPvRmT1_PNSt15iterator_traitsIS12_E10value_typeET2_T3_PNS13_IS18_E10value_typeET4_jRbjT5_S1E_jjP12ihipStream_tbEUljE_ZNSN_ISO_Lb1ESQ_SR_ST_SU_SY_EESZ_S10_S11_S12_S16_S17_S18_S1B_S1C_jS1D_jS1E_S1E_jjS1G_bEUljE0_EEESZ_S10_S11_S18_S1C_S1E_T6_T7_T9_mT8_S1G_bDpT10_ENKUlT_T0_E_clISt17integral_constantIbLb1EES1U_EEDaS1P_S1Q_EUlS1P_E_NS1_11comp_targetILNS1_3genE2ELNS1_11target_archE906ELNS1_3gpuE6ELNS1_3repE0EEENS1_30default_config_static_selectorELNS0_4arch9wavefront6targetE0EEEvS12_.num_vgpr, 0
	.set _ZN7rocprim17ROCPRIM_400000_NS6detail17trampoline_kernelINS0_13select_configILj256ELj13ELNS0_17block_load_methodE3ELS4_3ELS4_3ELNS0_20block_scan_algorithmE0ELj4294967295EEENS1_25partition_config_selectorILNS1_17partition_subalgoE4EjNS0_10empty_typeEbEEZZNS1_14partition_implILS8_4ELb0ES6_15HIP_vector_typeIjLj2EENS0_17counting_iteratorIjlEEPS9_SG_NS0_5tupleIJPjSI_NS0_16reverse_iteratorISI_EEEEENSH_IJSG_SG_SG_EEES9_SI_JZNS1_25segmented_radix_sort_implINS0_14default_configELb1EPKaPaPKlPlN2at6native12_GLOBAL__N_18offset_tEEE10hipError_tPvRmT1_PNSt15iterator_traitsIS12_E10value_typeET2_T3_PNS13_IS18_E10value_typeET4_jRbjT5_S1E_jjP12ihipStream_tbEUljE_ZNSN_ISO_Lb1ESQ_SR_ST_SU_SY_EESZ_S10_S11_S12_S16_S17_S18_S1B_S1C_jS1D_jS1E_S1E_jjS1G_bEUljE0_EEESZ_S10_S11_S18_S1C_S1E_T6_T7_T9_mT8_S1G_bDpT10_ENKUlT_T0_E_clISt17integral_constantIbLb1EES1U_EEDaS1P_S1Q_EUlS1P_E_NS1_11comp_targetILNS1_3genE2ELNS1_11target_archE906ELNS1_3gpuE6ELNS1_3repE0EEENS1_30default_config_static_selectorELNS0_4arch9wavefront6targetE0EEEvS12_.num_agpr, 0
	.set _ZN7rocprim17ROCPRIM_400000_NS6detail17trampoline_kernelINS0_13select_configILj256ELj13ELNS0_17block_load_methodE3ELS4_3ELS4_3ELNS0_20block_scan_algorithmE0ELj4294967295EEENS1_25partition_config_selectorILNS1_17partition_subalgoE4EjNS0_10empty_typeEbEEZZNS1_14partition_implILS8_4ELb0ES6_15HIP_vector_typeIjLj2EENS0_17counting_iteratorIjlEEPS9_SG_NS0_5tupleIJPjSI_NS0_16reverse_iteratorISI_EEEEENSH_IJSG_SG_SG_EEES9_SI_JZNS1_25segmented_radix_sort_implINS0_14default_configELb1EPKaPaPKlPlN2at6native12_GLOBAL__N_18offset_tEEE10hipError_tPvRmT1_PNSt15iterator_traitsIS12_E10value_typeET2_T3_PNS13_IS18_E10value_typeET4_jRbjT5_S1E_jjP12ihipStream_tbEUljE_ZNSN_ISO_Lb1ESQ_SR_ST_SU_SY_EESZ_S10_S11_S12_S16_S17_S18_S1B_S1C_jS1D_jS1E_S1E_jjS1G_bEUljE0_EEESZ_S10_S11_S18_S1C_S1E_T6_T7_T9_mT8_S1G_bDpT10_ENKUlT_T0_E_clISt17integral_constantIbLb1EES1U_EEDaS1P_S1Q_EUlS1P_E_NS1_11comp_targetILNS1_3genE2ELNS1_11target_archE906ELNS1_3gpuE6ELNS1_3repE0EEENS1_30default_config_static_selectorELNS0_4arch9wavefront6targetE0EEEvS12_.numbered_sgpr, 0
	.set _ZN7rocprim17ROCPRIM_400000_NS6detail17trampoline_kernelINS0_13select_configILj256ELj13ELNS0_17block_load_methodE3ELS4_3ELS4_3ELNS0_20block_scan_algorithmE0ELj4294967295EEENS1_25partition_config_selectorILNS1_17partition_subalgoE4EjNS0_10empty_typeEbEEZZNS1_14partition_implILS8_4ELb0ES6_15HIP_vector_typeIjLj2EENS0_17counting_iteratorIjlEEPS9_SG_NS0_5tupleIJPjSI_NS0_16reverse_iteratorISI_EEEEENSH_IJSG_SG_SG_EEES9_SI_JZNS1_25segmented_radix_sort_implINS0_14default_configELb1EPKaPaPKlPlN2at6native12_GLOBAL__N_18offset_tEEE10hipError_tPvRmT1_PNSt15iterator_traitsIS12_E10value_typeET2_T3_PNS13_IS18_E10value_typeET4_jRbjT5_S1E_jjP12ihipStream_tbEUljE_ZNSN_ISO_Lb1ESQ_SR_ST_SU_SY_EESZ_S10_S11_S12_S16_S17_S18_S1B_S1C_jS1D_jS1E_S1E_jjS1G_bEUljE0_EEESZ_S10_S11_S18_S1C_S1E_T6_T7_T9_mT8_S1G_bDpT10_ENKUlT_T0_E_clISt17integral_constantIbLb1EES1U_EEDaS1P_S1Q_EUlS1P_E_NS1_11comp_targetILNS1_3genE2ELNS1_11target_archE906ELNS1_3gpuE6ELNS1_3repE0EEENS1_30default_config_static_selectorELNS0_4arch9wavefront6targetE0EEEvS12_.num_named_barrier, 0
	.set _ZN7rocprim17ROCPRIM_400000_NS6detail17trampoline_kernelINS0_13select_configILj256ELj13ELNS0_17block_load_methodE3ELS4_3ELS4_3ELNS0_20block_scan_algorithmE0ELj4294967295EEENS1_25partition_config_selectorILNS1_17partition_subalgoE4EjNS0_10empty_typeEbEEZZNS1_14partition_implILS8_4ELb0ES6_15HIP_vector_typeIjLj2EENS0_17counting_iteratorIjlEEPS9_SG_NS0_5tupleIJPjSI_NS0_16reverse_iteratorISI_EEEEENSH_IJSG_SG_SG_EEES9_SI_JZNS1_25segmented_radix_sort_implINS0_14default_configELb1EPKaPaPKlPlN2at6native12_GLOBAL__N_18offset_tEEE10hipError_tPvRmT1_PNSt15iterator_traitsIS12_E10value_typeET2_T3_PNS13_IS18_E10value_typeET4_jRbjT5_S1E_jjP12ihipStream_tbEUljE_ZNSN_ISO_Lb1ESQ_SR_ST_SU_SY_EESZ_S10_S11_S12_S16_S17_S18_S1B_S1C_jS1D_jS1E_S1E_jjS1G_bEUljE0_EEESZ_S10_S11_S18_S1C_S1E_T6_T7_T9_mT8_S1G_bDpT10_ENKUlT_T0_E_clISt17integral_constantIbLb1EES1U_EEDaS1P_S1Q_EUlS1P_E_NS1_11comp_targetILNS1_3genE2ELNS1_11target_archE906ELNS1_3gpuE6ELNS1_3repE0EEENS1_30default_config_static_selectorELNS0_4arch9wavefront6targetE0EEEvS12_.private_seg_size, 0
	.set _ZN7rocprim17ROCPRIM_400000_NS6detail17trampoline_kernelINS0_13select_configILj256ELj13ELNS0_17block_load_methodE3ELS4_3ELS4_3ELNS0_20block_scan_algorithmE0ELj4294967295EEENS1_25partition_config_selectorILNS1_17partition_subalgoE4EjNS0_10empty_typeEbEEZZNS1_14partition_implILS8_4ELb0ES6_15HIP_vector_typeIjLj2EENS0_17counting_iteratorIjlEEPS9_SG_NS0_5tupleIJPjSI_NS0_16reverse_iteratorISI_EEEEENSH_IJSG_SG_SG_EEES9_SI_JZNS1_25segmented_radix_sort_implINS0_14default_configELb1EPKaPaPKlPlN2at6native12_GLOBAL__N_18offset_tEEE10hipError_tPvRmT1_PNSt15iterator_traitsIS12_E10value_typeET2_T3_PNS13_IS18_E10value_typeET4_jRbjT5_S1E_jjP12ihipStream_tbEUljE_ZNSN_ISO_Lb1ESQ_SR_ST_SU_SY_EESZ_S10_S11_S12_S16_S17_S18_S1B_S1C_jS1D_jS1E_S1E_jjS1G_bEUljE0_EEESZ_S10_S11_S18_S1C_S1E_T6_T7_T9_mT8_S1G_bDpT10_ENKUlT_T0_E_clISt17integral_constantIbLb1EES1U_EEDaS1P_S1Q_EUlS1P_E_NS1_11comp_targetILNS1_3genE2ELNS1_11target_archE906ELNS1_3gpuE6ELNS1_3repE0EEENS1_30default_config_static_selectorELNS0_4arch9wavefront6targetE0EEEvS12_.uses_vcc, 0
	.set _ZN7rocprim17ROCPRIM_400000_NS6detail17trampoline_kernelINS0_13select_configILj256ELj13ELNS0_17block_load_methodE3ELS4_3ELS4_3ELNS0_20block_scan_algorithmE0ELj4294967295EEENS1_25partition_config_selectorILNS1_17partition_subalgoE4EjNS0_10empty_typeEbEEZZNS1_14partition_implILS8_4ELb0ES6_15HIP_vector_typeIjLj2EENS0_17counting_iteratorIjlEEPS9_SG_NS0_5tupleIJPjSI_NS0_16reverse_iteratorISI_EEEEENSH_IJSG_SG_SG_EEES9_SI_JZNS1_25segmented_radix_sort_implINS0_14default_configELb1EPKaPaPKlPlN2at6native12_GLOBAL__N_18offset_tEEE10hipError_tPvRmT1_PNSt15iterator_traitsIS12_E10value_typeET2_T3_PNS13_IS18_E10value_typeET4_jRbjT5_S1E_jjP12ihipStream_tbEUljE_ZNSN_ISO_Lb1ESQ_SR_ST_SU_SY_EESZ_S10_S11_S12_S16_S17_S18_S1B_S1C_jS1D_jS1E_S1E_jjS1G_bEUljE0_EEESZ_S10_S11_S18_S1C_S1E_T6_T7_T9_mT8_S1G_bDpT10_ENKUlT_T0_E_clISt17integral_constantIbLb1EES1U_EEDaS1P_S1Q_EUlS1P_E_NS1_11comp_targetILNS1_3genE2ELNS1_11target_archE906ELNS1_3gpuE6ELNS1_3repE0EEENS1_30default_config_static_selectorELNS0_4arch9wavefront6targetE0EEEvS12_.uses_flat_scratch, 0
	.set _ZN7rocprim17ROCPRIM_400000_NS6detail17trampoline_kernelINS0_13select_configILj256ELj13ELNS0_17block_load_methodE3ELS4_3ELS4_3ELNS0_20block_scan_algorithmE0ELj4294967295EEENS1_25partition_config_selectorILNS1_17partition_subalgoE4EjNS0_10empty_typeEbEEZZNS1_14partition_implILS8_4ELb0ES6_15HIP_vector_typeIjLj2EENS0_17counting_iteratorIjlEEPS9_SG_NS0_5tupleIJPjSI_NS0_16reverse_iteratorISI_EEEEENSH_IJSG_SG_SG_EEES9_SI_JZNS1_25segmented_radix_sort_implINS0_14default_configELb1EPKaPaPKlPlN2at6native12_GLOBAL__N_18offset_tEEE10hipError_tPvRmT1_PNSt15iterator_traitsIS12_E10value_typeET2_T3_PNS13_IS18_E10value_typeET4_jRbjT5_S1E_jjP12ihipStream_tbEUljE_ZNSN_ISO_Lb1ESQ_SR_ST_SU_SY_EESZ_S10_S11_S12_S16_S17_S18_S1B_S1C_jS1D_jS1E_S1E_jjS1G_bEUljE0_EEESZ_S10_S11_S18_S1C_S1E_T6_T7_T9_mT8_S1G_bDpT10_ENKUlT_T0_E_clISt17integral_constantIbLb1EES1U_EEDaS1P_S1Q_EUlS1P_E_NS1_11comp_targetILNS1_3genE2ELNS1_11target_archE906ELNS1_3gpuE6ELNS1_3repE0EEENS1_30default_config_static_selectorELNS0_4arch9wavefront6targetE0EEEvS12_.has_dyn_sized_stack, 0
	.set _ZN7rocprim17ROCPRIM_400000_NS6detail17trampoline_kernelINS0_13select_configILj256ELj13ELNS0_17block_load_methodE3ELS4_3ELS4_3ELNS0_20block_scan_algorithmE0ELj4294967295EEENS1_25partition_config_selectorILNS1_17partition_subalgoE4EjNS0_10empty_typeEbEEZZNS1_14partition_implILS8_4ELb0ES6_15HIP_vector_typeIjLj2EENS0_17counting_iteratorIjlEEPS9_SG_NS0_5tupleIJPjSI_NS0_16reverse_iteratorISI_EEEEENSH_IJSG_SG_SG_EEES9_SI_JZNS1_25segmented_radix_sort_implINS0_14default_configELb1EPKaPaPKlPlN2at6native12_GLOBAL__N_18offset_tEEE10hipError_tPvRmT1_PNSt15iterator_traitsIS12_E10value_typeET2_T3_PNS13_IS18_E10value_typeET4_jRbjT5_S1E_jjP12ihipStream_tbEUljE_ZNSN_ISO_Lb1ESQ_SR_ST_SU_SY_EESZ_S10_S11_S12_S16_S17_S18_S1B_S1C_jS1D_jS1E_S1E_jjS1G_bEUljE0_EEESZ_S10_S11_S18_S1C_S1E_T6_T7_T9_mT8_S1G_bDpT10_ENKUlT_T0_E_clISt17integral_constantIbLb1EES1U_EEDaS1P_S1Q_EUlS1P_E_NS1_11comp_targetILNS1_3genE2ELNS1_11target_archE906ELNS1_3gpuE6ELNS1_3repE0EEENS1_30default_config_static_selectorELNS0_4arch9wavefront6targetE0EEEvS12_.has_recursion, 0
	.set _ZN7rocprim17ROCPRIM_400000_NS6detail17trampoline_kernelINS0_13select_configILj256ELj13ELNS0_17block_load_methodE3ELS4_3ELS4_3ELNS0_20block_scan_algorithmE0ELj4294967295EEENS1_25partition_config_selectorILNS1_17partition_subalgoE4EjNS0_10empty_typeEbEEZZNS1_14partition_implILS8_4ELb0ES6_15HIP_vector_typeIjLj2EENS0_17counting_iteratorIjlEEPS9_SG_NS0_5tupleIJPjSI_NS0_16reverse_iteratorISI_EEEEENSH_IJSG_SG_SG_EEES9_SI_JZNS1_25segmented_radix_sort_implINS0_14default_configELb1EPKaPaPKlPlN2at6native12_GLOBAL__N_18offset_tEEE10hipError_tPvRmT1_PNSt15iterator_traitsIS12_E10value_typeET2_T3_PNS13_IS18_E10value_typeET4_jRbjT5_S1E_jjP12ihipStream_tbEUljE_ZNSN_ISO_Lb1ESQ_SR_ST_SU_SY_EESZ_S10_S11_S12_S16_S17_S18_S1B_S1C_jS1D_jS1E_S1E_jjS1G_bEUljE0_EEESZ_S10_S11_S18_S1C_S1E_T6_T7_T9_mT8_S1G_bDpT10_ENKUlT_T0_E_clISt17integral_constantIbLb1EES1U_EEDaS1P_S1Q_EUlS1P_E_NS1_11comp_targetILNS1_3genE2ELNS1_11target_archE906ELNS1_3gpuE6ELNS1_3repE0EEENS1_30default_config_static_selectorELNS0_4arch9wavefront6targetE0EEEvS12_.has_indirect_call, 0
	.section	.AMDGPU.csdata,"",@progbits
; Kernel info:
; codeLenInByte = 0
; TotalNumSgprs: 0
; NumVgprs: 0
; ScratchSize: 0
; MemoryBound: 0
; FloatMode: 240
; IeeeMode: 1
; LDSByteSize: 0 bytes/workgroup (compile time only)
; SGPRBlocks: 0
; VGPRBlocks: 0
; NumSGPRsForWavesPerEU: 1
; NumVGPRsForWavesPerEU: 1
; NamedBarCnt: 0
; Occupancy: 16
; WaveLimiterHint : 0
; COMPUTE_PGM_RSRC2:SCRATCH_EN: 0
; COMPUTE_PGM_RSRC2:USER_SGPR: 2
; COMPUTE_PGM_RSRC2:TRAP_HANDLER: 0
; COMPUTE_PGM_RSRC2:TGID_X_EN: 1
; COMPUTE_PGM_RSRC2:TGID_Y_EN: 0
; COMPUTE_PGM_RSRC2:TGID_Z_EN: 0
; COMPUTE_PGM_RSRC2:TIDIG_COMP_CNT: 0
	.section	.text._ZN7rocprim17ROCPRIM_400000_NS6detail17trampoline_kernelINS0_13select_configILj256ELj13ELNS0_17block_load_methodE3ELS4_3ELS4_3ELNS0_20block_scan_algorithmE0ELj4294967295EEENS1_25partition_config_selectorILNS1_17partition_subalgoE4EjNS0_10empty_typeEbEEZZNS1_14partition_implILS8_4ELb0ES6_15HIP_vector_typeIjLj2EENS0_17counting_iteratorIjlEEPS9_SG_NS0_5tupleIJPjSI_NS0_16reverse_iteratorISI_EEEEENSH_IJSG_SG_SG_EEES9_SI_JZNS1_25segmented_radix_sort_implINS0_14default_configELb1EPKaPaPKlPlN2at6native12_GLOBAL__N_18offset_tEEE10hipError_tPvRmT1_PNSt15iterator_traitsIS12_E10value_typeET2_T3_PNS13_IS18_E10value_typeET4_jRbjT5_S1E_jjP12ihipStream_tbEUljE_ZNSN_ISO_Lb1ESQ_SR_ST_SU_SY_EESZ_S10_S11_S12_S16_S17_S18_S1B_S1C_jS1D_jS1E_S1E_jjS1G_bEUljE0_EEESZ_S10_S11_S18_S1C_S1E_T6_T7_T9_mT8_S1G_bDpT10_ENKUlT_T0_E_clISt17integral_constantIbLb1EES1U_EEDaS1P_S1Q_EUlS1P_E_NS1_11comp_targetILNS1_3genE10ELNS1_11target_archE1200ELNS1_3gpuE4ELNS1_3repE0EEENS1_30default_config_static_selectorELNS0_4arch9wavefront6targetE0EEEvS12_,"axG",@progbits,_ZN7rocprim17ROCPRIM_400000_NS6detail17trampoline_kernelINS0_13select_configILj256ELj13ELNS0_17block_load_methodE3ELS4_3ELS4_3ELNS0_20block_scan_algorithmE0ELj4294967295EEENS1_25partition_config_selectorILNS1_17partition_subalgoE4EjNS0_10empty_typeEbEEZZNS1_14partition_implILS8_4ELb0ES6_15HIP_vector_typeIjLj2EENS0_17counting_iteratorIjlEEPS9_SG_NS0_5tupleIJPjSI_NS0_16reverse_iteratorISI_EEEEENSH_IJSG_SG_SG_EEES9_SI_JZNS1_25segmented_radix_sort_implINS0_14default_configELb1EPKaPaPKlPlN2at6native12_GLOBAL__N_18offset_tEEE10hipError_tPvRmT1_PNSt15iterator_traitsIS12_E10value_typeET2_T3_PNS13_IS18_E10value_typeET4_jRbjT5_S1E_jjP12ihipStream_tbEUljE_ZNSN_ISO_Lb1ESQ_SR_ST_SU_SY_EESZ_S10_S11_S12_S16_S17_S18_S1B_S1C_jS1D_jS1E_S1E_jjS1G_bEUljE0_EEESZ_S10_S11_S18_S1C_S1E_T6_T7_T9_mT8_S1G_bDpT10_ENKUlT_T0_E_clISt17integral_constantIbLb1EES1U_EEDaS1P_S1Q_EUlS1P_E_NS1_11comp_targetILNS1_3genE10ELNS1_11target_archE1200ELNS1_3gpuE4ELNS1_3repE0EEENS1_30default_config_static_selectorELNS0_4arch9wavefront6targetE0EEEvS12_,comdat
	.globl	_ZN7rocprim17ROCPRIM_400000_NS6detail17trampoline_kernelINS0_13select_configILj256ELj13ELNS0_17block_load_methodE3ELS4_3ELS4_3ELNS0_20block_scan_algorithmE0ELj4294967295EEENS1_25partition_config_selectorILNS1_17partition_subalgoE4EjNS0_10empty_typeEbEEZZNS1_14partition_implILS8_4ELb0ES6_15HIP_vector_typeIjLj2EENS0_17counting_iteratorIjlEEPS9_SG_NS0_5tupleIJPjSI_NS0_16reverse_iteratorISI_EEEEENSH_IJSG_SG_SG_EEES9_SI_JZNS1_25segmented_radix_sort_implINS0_14default_configELb1EPKaPaPKlPlN2at6native12_GLOBAL__N_18offset_tEEE10hipError_tPvRmT1_PNSt15iterator_traitsIS12_E10value_typeET2_T3_PNS13_IS18_E10value_typeET4_jRbjT5_S1E_jjP12ihipStream_tbEUljE_ZNSN_ISO_Lb1ESQ_SR_ST_SU_SY_EESZ_S10_S11_S12_S16_S17_S18_S1B_S1C_jS1D_jS1E_S1E_jjS1G_bEUljE0_EEESZ_S10_S11_S18_S1C_S1E_T6_T7_T9_mT8_S1G_bDpT10_ENKUlT_T0_E_clISt17integral_constantIbLb1EES1U_EEDaS1P_S1Q_EUlS1P_E_NS1_11comp_targetILNS1_3genE10ELNS1_11target_archE1200ELNS1_3gpuE4ELNS1_3repE0EEENS1_30default_config_static_selectorELNS0_4arch9wavefront6targetE0EEEvS12_ ; -- Begin function _ZN7rocprim17ROCPRIM_400000_NS6detail17trampoline_kernelINS0_13select_configILj256ELj13ELNS0_17block_load_methodE3ELS4_3ELS4_3ELNS0_20block_scan_algorithmE0ELj4294967295EEENS1_25partition_config_selectorILNS1_17partition_subalgoE4EjNS0_10empty_typeEbEEZZNS1_14partition_implILS8_4ELb0ES6_15HIP_vector_typeIjLj2EENS0_17counting_iteratorIjlEEPS9_SG_NS0_5tupleIJPjSI_NS0_16reverse_iteratorISI_EEEEENSH_IJSG_SG_SG_EEES9_SI_JZNS1_25segmented_radix_sort_implINS0_14default_configELb1EPKaPaPKlPlN2at6native12_GLOBAL__N_18offset_tEEE10hipError_tPvRmT1_PNSt15iterator_traitsIS12_E10value_typeET2_T3_PNS13_IS18_E10value_typeET4_jRbjT5_S1E_jjP12ihipStream_tbEUljE_ZNSN_ISO_Lb1ESQ_SR_ST_SU_SY_EESZ_S10_S11_S12_S16_S17_S18_S1B_S1C_jS1D_jS1E_S1E_jjS1G_bEUljE0_EEESZ_S10_S11_S18_S1C_S1E_T6_T7_T9_mT8_S1G_bDpT10_ENKUlT_T0_E_clISt17integral_constantIbLb1EES1U_EEDaS1P_S1Q_EUlS1P_E_NS1_11comp_targetILNS1_3genE10ELNS1_11target_archE1200ELNS1_3gpuE4ELNS1_3repE0EEENS1_30default_config_static_selectorELNS0_4arch9wavefront6targetE0EEEvS12_
	.p2align	8
	.type	_ZN7rocprim17ROCPRIM_400000_NS6detail17trampoline_kernelINS0_13select_configILj256ELj13ELNS0_17block_load_methodE3ELS4_3ELS4_3ELNS0_20block_scan_algorithmE0ELj4294967295EEENS1_25partition_config_selectorILNS1_17partition_subalgoE4EjNS0_10empty_typeEbEEZZNS1_14partition_implILS8_4ELb0ES6_15HIP_vector_typeIjLj2EENS0_17counting_iteratorIjlEEPS9_SG_NS0_5tupleIJPjSI_NS0_16reverse_iteratorISI_EEEEENSH_IJSG_SG_SG_EEES9_SI_JZNS1_25segmented_radix_sort_implINS0_14default_configELb1EPKaPaPKlPlN2at6native12_GLOBAL__N_18offset_tEEE10hipError_tPvRmT1_PNSt15iterator_traitsIS12_E10value_typeET2_T3_PNS13_IS18_E10value_typeET4_jRbjT5_S1E_jjP12ihipStream_tbEUljE_ZNSN_ISO_Lb1ESQ_SR_ST_SU_SY_EESZ_S10_S11_S12_S16_S17_S18_S1B_S1C_jS1D_jS1E_S1E_jjS1G_bEUljE0_EEESZ_S10_S11_S18_S1C_S1E_T6_T7_T9_mT8_S1G_bDpT10_ENKUlT_T0_E_clISt17integral_constantIbLb1EES1U_EEDaS1P_S1Q_EUlS1P_E_NS1_11comp_targetILNS1_3genE10ELNS1_11target_archE1200ELNS1_3gpuE4ELNS1_3repE0EEENS1_30default_config_static_selectorELNS0_4arch9wavefront6targetE0EEEvS12_,@function
_ZN7rocprim17ROCPRIM_400000_NS6detail17trampoline_kernelINS0_13select_configILj256ELj13ELNS0_17block_load_methodE3ELS4_3ELS4_3ELNS0_20block_scan_algorithmE0ELj4294967295EEENS1_25partition_config_selectorILNS1_17partition_subalgoE4EjNS0_10empty_typeEbEEZZNS1_14partition_implILS8_4ELb0ES6_15HIP_vector_typeIjLj2EENS0_17counting_iteratorIjlEEPS9_SG_NS0_5tupleIJPjSI_NS0_16reverse_iteratorISI_EEEEENSH_IJSG_SG_SG_EEES9_SI_JZNS1_25segmented_radix_sort_implINS0_14default_configELb1EPKaPaPKlPlN2at6native12_GLOBAL__N_18offset_tEEE10hipError_tPvRmT1_PNSt15iterator_traitsIS12_E10value_typeET2_T3_PNS13_IS18_E10value_typeET4_jRbjT5_S1E_jjP12ihipStream_tbEUljE_ZNSN_ISO_Lb1ESQ_SR_ST_SU_SY_EESZ_S10_S11_S12_S16_S17_S18_S1B_S1C_jS1D_jS1E_S1E_jjS1G_bEUljE0_EEESZ_S10_S11_S18_S1C_S1E_T6_T7_T9_mT8_S1G_bDpT10_ENKUlT_T0_E_clISt17integral_constantIbLb1EES1U_EEDaS1P_S1Q_EUlS1P_E_NS1_11comp_targetILNS1_3genE10ELNS1_11target_archE1200ELNS1_3gpuE4ELNS1_3repE0EEENS1_30default_config_static_selectorELNS0_4arch9wavefront6targetE0EEEvS12_: ; @_ZN7rocprim17ROCPRIM_400000_NS6detail17trampoline_kernelINS0_13select_configILj256ELj13ELNS0_17block_load_methodE3ELS4_3ELS4_3ELNS0_20block_scan_algorithmE0ELj4294967295EEENS1_25partition_config_selectorILNS1_17partition_subalgoE4EjNS0_10empty_typeEbEEZZNS1_14partition_implILS8_4ELb0ES6_15HIP_vector_typeIjLj2EENS0_17counting_iteratorIjlEEPS9_SG_NS0_5tupleIJPjSI_NS0_16reverse_iteratorISI_EEEEENSH_IJSG_SG_SG_EEES9_SI_JZNS1_25segmented_radix_sort_implINS0_14default_configELb1EPKaPaPKlPlN2at6native12_GLOBAL__N_18offset_tEEE10hipError_tPvRmT1_PNSt15iterator_traitsIS12_E10value_typeET2_T3_PNS13_IS18_E10value_typeET4_jRbjT5_S1E_jjP12ihipStream_tbEUljE_ZNSN_ISO_Lb1ESQ_SR_ST_SU_SY_EESZ_S10_S11_S12_S16_S17_S18_S1B_S1C_jS1D_jS1E_S1E_jjS1G_bEUljE0_EEESZ_S10_S11_S18_S1C_S1E_T6_T7_T9_mT8_S1G_bDpT10_ENKUlT_T0_E_clISt17integral_constantIbLb1EES1U_EEDaS1P_S1Q_EUlS1P_E_NS1_11comp_targetILNS1_3genE10ELNS1_11target_archE1200ELNS1_3gpuE4ELNS1_3repE0EEENS1_30default_config_static_selectorELNS0_4arch9wavefront6targetE0EEEvS12_
; %bb.0:
	.section	.rodata,"a",@progbits
	.p2align	6, 0x0
	.amdhsa_kernel _ZN7rocprim17ROCPRIM_400000_NS6detail17trampoline_kernelINS0_13select_configILj256ELj13ELNS0_17block_load_methodE3ELS4_3ELS4_3ELNS0_20block_scan_algorithmE0ELj4294967295EEENS1_25partition_config_selectorILNS1_17partition_subalgoE4EjNS0_10empty_typeEbEEZZNS1_14partition_implILS8_4ELb0ES6_15HIP_vector_typeIjLj2EENS0_17counting_iteratorIjlEEPS9_SG_NS0_5tupleIJPjSI_NS0_16reverse_iteratorISI_EEEEENSH_IJSG_SG_SG_EEES9_SI_JZNS1_25segmented_radix_sort_implINS0_14default_configELb1EPKaPaPKlPlN2at6native12_GLOBAL__N_18offset_tEEE10hipError_tPvRmT1_PNSt15iterator_traitsIS12_E10value_typeET2_T3_PNS13_IS18_E10value_typeET4_jRbjT5_S1E_jjP12ihipStream_tbEUljE_ZNSN_ISO_Lb1ESQ_SR_ST_SU_SY_EESZ_S10_S11_S12_S16_S17_S18_S1B_S1C_jS1D_jS1E_S1E_jjS1G_bEUljE0_EEESZ_S10_S11_S18_S1C_S1E_T6_T7_T9_mT8_S1G_bDpT10_ENKUlT_T0_E_clISt17integral_constantIbLb1EES1U_EEDaS1P_S1Q_EUlS1P_E_NS1_11comp_targetILNS1_3genE10ELNS1_11target_archE1200ELNS1_3gpuE4ELNS1_3repE0EEENS1_30default_config_static_selectorELNS0_4arch9wavefront6targetE0EEEvS12_
		.amdhsa_group_segment_fixed_size 0
		.amdhsa_private_segment_fixed_size 0
		.amdhsa_kernarg_size 184
		.amdhsa_user_sgpr_count 2
		.amdhsa_user_sgpr_dispatch_ptr 0
		.amdhsa_user_sgpr_queue_ptr 0
		.amdhsa_user_sgpr_kernarg_segment_ptr 1
		.amdhsa_user_sgpr_dispatch_id 0
		.amdhsa_user_sgpr_kernarg_preload_length 0
		.amdhsa_user_sgpr_kernarg_preload_offset 0
		.amdhsa_user_sgpr_private_segment_size 0
		.amdhsa_wavefront_size32 1
		.amdhsa_uses_dynamic_stack 0
		.amdhsa_enable_private_segment 0
		.amdhsa_system_sgpr_workgroup_id_x 1
		.amdhsa_system_sgpr_workgroup_id_y 0
		.amdhsa_system_sgpr_workgroup_id_z 0
		.amdhsa_system_sgpr_workgroup_info 0
		.amdhsa_system_vgpr_workitem_id 0
		.amdhsa_next_free_vgpr 1
		.amdhsa_next_free_sgpr 1
		.amdhsa_named_barrier_count 0
		.amdhsa_reserve_vcc 0
		.amdhsa_float_round_mode_32 0
		.amdhsa_float_round_mode_16_64 0
		.amdhsa_float_denorm_mode_32 3
		.amdhsa_float_denorm_mode_16_64 3
		.amdhsa_fp16_overflow 0
		.amdhsa_memory_ordered 1
		.amdhsa_forward_progress 1
		.amdhsa_inst_pref_size 0
		.amdhsa_round_robin_scheduling 0
		.amdhsa_exception_fp_ieee_invalid_op 0
		.amdhsa_exception_fp_denorm_src 0
		.amdhsa_exception_fp_ieee_div_zero 0
		.amdhsa_exception_fp_ieee_overflow 0
		.amdhsa_exception_fp_ieee_underflow 0
		.amdhsa_exception_fp_ieee_inexact 0
		.amdhsa_exception_int_div_zero 0
	.end_amdhsa_kernel
	.section	.text._ZN7rocprim17ROCPRIM_400000_NS6detail17trampoline_kernelINS0_13select_configILj256ELj13ELNS0_17block_load_methodE3ELS4_3ELS4_3ELNS0_20block_scan_algorithmE0ELj4294967295EEENS1_25partition_config_selectorILNS1_17partition_subalgoE4EjNS0_10empty_typeEbEEZZNS1_14partition_implILS8_4ELb0ES6_15HIP_vector_typeIjLj2EENS0_17counting_iteratorIjlEEPS9_SG_NS0_5tupleIJPjSI_NS0_16reverse_iteratorISI_EEEEENSH_IJSG_SG_SG_EEES9_SI_JZNS1_25segmented_radix_sort_implINS0_14default_configELb1EPKaPaPKlPlN2at6native12_GLOBAL__N_18offset_tEEE10hipError_tPvRmT1_PNSt15iterator_traitsIS12_E10value_typeET2_T3_PNS13_IS18_E10value_typeET4_jRbjT5_S1E_jjP12ihipStream_tbEUljE_ZNSN_ISO_Lb1ESQ_SR_ST_SU_SY_EESZ_S10_S11_S12_S16_S17_S18_S1B_S1C_jS1D_jS1E_S1E_jjS1G_bEUljE0_EEESZ_S10_S11_S18_S1C_S1E_T6_T7_T9_mT8_S1G_bDpT10_ENKUlT_T0_E_clISt17integral_constantIbLb1EES1U_EEDaS1P_S1Q_EUlS1P_E_NS1_11comp_targetILNS1_3genE10ELNS1_11target_archE1200ELNS1_3gpuE4ELNS1_3repE0EEENS1_30default_config_static_selectorELNS0_4arch9wavefront6targetE0EEEvS12_,"axG",@progbits,_ZN7rocprim17ROCPRIM_400000_NS6detail17trampoline_kernelINS0_13select_configILj256ELj13ELNS0_17block_load_methodE3ELS4_3ELS4_3ELNS0_20block_scan_algorithmE0ELj4294967295EEENS1_25partition_config_selectorILNS1_17partition_subalgoE4EjNS0_10empty_typeEbEEZZNS1_14partition_implILS8_4ELb0ES6_15HIP_vector_typeIjLj2EENS0_17counting_iteratorIjlEEPS9_SG_NS0_5tupleIJPjSI_NS0_16reverse_iteratorISI_EEEEENSH_IJSG_SG_SG_EEES9_SI_JZNS1_25segmented_radix_sort_implINS0_14default_configELb1EPKaPaPKlPlN2at6native12_GLOBAL__N_18offset_tEEE10hipError_tPvRmT1_PNSt15iterator_traitsIS12_E10value_typeET2_T3_PNS13_IS18_E10value_typeET4_jRbjT5_S1E_jjP12ihipStream_tbEUljE_ZNSN_ISO_Lb1ESQ_SR_ST_SU_SY_EESZ_S10_S11_S12_S16_S17_S18_S1B_S1C_jS1D_jS1E_S1E_jjS1G_bEUljE0_EEESZ_S10_S11_S18_S1C_S1E_T6_T7_T9_mT8_S1G_bDpT10_ENKUlT_T0_E_clISt17integral_constantIbLb1EES1U_EEDaS1P_S1Q_EUlS1P_E_NS1_11comp_targetILNS1_3genE10ELNS1_11target_archE1200ELNS1_3gpuE4ELNS1_3repE0EEENS1_30default_config_static_selectorELNS0_4arch9wavefront6targetE0EEEvS12_,comdat
.Lfunc_end237:
	.size	_ZN7rocprim17ROCPRIM_400000_NS6detail17trampoline_kernelINS0_13select_configILj256ELj13ELNS0_17block_load_methodE3ELS4_3ELS4_3ELNS0_20block_scan_algorithmE0ELj4294967295EEENS1_25partition_config_selectorILNS1_17partition_subalgoE4EjNS0_10empty_typeEbEEZZNS1_14partition_implILS8_4ELb0ES6_15HIP_vector_typeIjLj2EENS0_17counting_iteratorIjlEEPS9_SG_NS0_5tupleIJPjSI_NS0_16reverse_iteratorISI_EEEEENSH_IJSG_SG_SG_EEES9_SI_JZNS1_25segmented_radix_sort_implINS0_14default_configELb1EPKaPaPKlPlN2at6native12_GLOBAL__N_18offset_tEEE10hipError_tPvRmT1_PNSt15iterator_traitsIS12_E10value_typeET2_T3_PNS13_IS18_E10value_typeET4_jRbjT5_S1E_jjP12ihipStream_tbEUljE_ZNSN_ISO_Lb1ESQ_SR_ST_SU_SY_EESZ_S10_S11_S12_S16_S17_S18_S1B_S1C_jS1D_jS1E_S1E_jjS1G_bEUljE0_EEESZ_S10_S11_S18_S1C_S1E_T6_T7_T9_mT8_S1G_bDpT10_ENKUlT_T0_E_clISt17integral_constantIbLb1EES1U_EEDaS1P_S1Q_EUlS1P_E_NS1_11comp_targetILNS1_3genE10ELNS1_11target_archE1200ELNS1_3gpuE4ELNS1_3repE0EEENS1_30default_config_static_selectorELNS0_4arch9wavefront6targetE0EEEvS12_, .Lfunc_end237-_ZN7rocprim17ROCPRIM_400000_NS6detail17trampoline_kernelINS0_13select_configILj256ELj13ELNS0_17block_load_methodE3ELS4_3ELS4_3ELNS0_20block_scan_algorithmE0ELj4294967295EEENS1_25partition_config_selectorILNS1_17partition_subalgoE4EjNS0_10empty_typeEbEEZZNS1_14partition_implILS8_4ELb0ES6_15HIP_vector_typeIjLj2EENS0_17counting_iteratorIjlEEPS9_SG_NS0_5tupleIJPjSI_NS0_16reverse_iteratorISI_EEEEENSH_IJSG_SG_SG_EEES9_SI_JZNS1_25segmented_radix_sort_implINS0_14default_configELb1EPKaPaPKlPlN2at6native12_GLOBAL__N_18offset_tEEE10hipError_tPvRmT1_PNSt15iterator_traitsIS12_E10value_typeET2_T3_PNS13_IS18_E10value_typeET4_jRbjT5_S1E_jjP12ihipStream_tbEUljE_ZNSN_ISO_Lb1ESQ_SR_ST_SU_SY_EESZ_S10_S11_S12_S16_S17_S18_S1B_S1C_jS1D_jS1E_S1E_jjS1G_bEUljE0_EEESZ_S10_S11_S18_S1C_S1E_T6_T7_T9_mT8_S1G_bDpT10_ENKUlT_T0_E_clISt17integral_constantIbLb1EES1U_EEDaS1P_S1Q_EUlS1P_E_NS1_11comp_targetILNS1_3genE10ELNS1_11target_archE1200ELNS1_3gpuE4ELNS1_3repE0EEENS1_30default_config_static_selectorELNS0_4arch9wavefront6targetE0EEEvS12_
                                        ; -- End function
	.set _ZN7rocprim17ROCPRIM_400000_NS6detail17trampoline_kernelINS0_13select_configILj256ELj13ELNS0_17block_load_methodE3ELS4_3ELS4_3ELNS0_20block_scan_algorithmE0ELj4294967295EEENS1_25partition_config_selectorILNS1_17partition_subalgoE4EjNS0_10empty_typeEbEEZZNS1_14partition_implILS8_4ELb0ES6_15HIP_vector_typeIjLj2EENS0_17counting_iteratorIjlEEPS9_SG_NS0_5tupleIJPjSI_NS0_16reverse_iteratorISI_EEEEENSH_IJSG_SG_SG_EEES9_SI_JZNS1_25segmented_radix_sort_implINS0_14default_configELb1EPKaPaPKlPlN2at6native12_GLOBAL__N_18offset_tEEE10hipError_tPvRmT1_PNSt15iterator_traitsIS12_E10value_typeET2_T3_PNS13_IS18_E10value_typeET4_jRbjT5_S1E_jjP12ihipStream_tbEUljE_ZNSN_ISO_Lb1ESQ_SR_ST_SU_SY_EESZ_S10_S11_S12_S16_S17_S18_S1B_S1C_jS1D_jS1E_S1E_jjS1G_bEUljE0_EEESZ_S10_S11_S18_S1C_S1E_T6_T7_T9_mT8_S1G_bDpT10_ENKUlT_T0_E_clISt17integral_constantIbLb1EES1U_EEDaS1P_S1Q_EUlS1P_E_NS1_11comp_targetILNS1_3genE10ELNS1_11target_archE1200ELNS1_3gpuE4ELNS1_3repE0EEENS1_30default_config_static_selectorELNS0_4arch9wavefront6targetE0EEEvS12_.num_vgpr, 0
	.set _ZN7rocprim17ROCPRIM_400000_NS6detail17trampoline_kernelINS0_13select_configILj256ELj13ELNS0_17block_load_methodE3ELS4_3ELS4_3ELNS0_20block_scan_algorithmE0ELj4294967295EEENS1_25partition_config_selectorILNS1_17partition_subalgoE4EjNS0_10empty_typeEbEEZZNS1_14partition_implILS8_4ELb0ES6_15HIP_vector_typeIjLj2EENS0_17counting_iteratorIjlEEPS9_SG_NS0_5tupleIJPjSI_NS0_16reverse_iteratorISI_EEEEENSH_IJSG_SG_SG_EEES9_SI_JZNS1_25segmented_radix_sort_implINS0_14default_configELb1EPKaPaPKlPlN2at6native12_GLOBAL__N_18offset_tEEE10hipError_tPvRmT1_PNSt15iterator_traitsIS12_E10value_typeET2_T3_PNS13_IS18_E10value_typeET4_jRbjT5_S1E_jjP12ihipStream_tbEUljE_ZNSN_ISO_Lb1ESQ_SR_ST_SU_SY_EESZ_S10_S11_S12_S16_S17_S18_S1B_S1C_jS1D_jS1E_S1E_jjS1G_bEUljE0_EEESZ_S10_S11_S18_S1C_S1E_T6_T7_T9_mT8_S1G_bDpT10_ENKUlT_T0_E_clISt17integral_constantIbLb1EES1U_EEDaS1P_S1Q_EUlS1P_E_NS1_11comp_targetILNS1_3genE10ELNS1_11target_archE1200ELNS1_3gpuE4ELNS1_3repE0EEENS1_30default_config_static_selectorELNS0_4arch9wavefront6targetE0EEEvS12_.num_agpr, 0
	.set _ZN7rocprim17ROCPRIM_400000_NS6detail17trampoline_kernelINS0_13select_configILj256ELj13ELNS0_17block_load_methodE3ELS4_3ELS4_3ELNS0_20block_scan_algorithmE0ELj4294967295EEENS1_25partition_config_selectorILNS1_17partition_subalgoE4EjNS0_10empty_typeEbEEZZNS1_14partition_implILS8_4ELb0ES6_15HIP_vector_typeIjLj2EENS0_17counting_iteratorIjlEEPS9_SG_NS0_5tupleIJPjSI_NS0_16reverse_iteratorISI_EEEEENSH_IJSG_SG_SG_EEES9_SI_JZNS1_25segmented_radix_sort_implINS0_14default_configELb1EPKaPaPKlPlN2at6native12_GLOBAL__N_18offset_tEEE10hipError_tPvRmT1_PNSt15iterator_traitsIS12_E10value_typeET2_T3_PNS13_IS18_E10value_typeET4_jRbjT5_S1E_jjP12ihipStream_tbEUljE_ZNSN_ISO_Lb1ESQ_SR_ST_SU_SY_EESZ_S10_S11_S12_S16_S17_S18_S1B_S1C_jS1D_jS1E_S1E_jjS1G_bEUljE0_EEESZ_S10_S11_S18_S1C_S1E_T6_T7_T9_mT8_S1G_bDpT10_ENKUlT_T0_E_clISt17integral_constantIbLb1EES1U_EEDaS1P_S1Q_EUlS1P_E_NS1_11comp_targetILNS1_3genE10ELNS1_11target_archE1200ELNS1_3gpuE4ELNS1_3repE0EEENS1_30default_config_static_selectorELNS0_4arch9wavefront6targetE0EEEvS12_.numbered_sgpr, 0
	.set _ZN7rocprim17ROCPRIM_400000_NS6detail17trampoline_kernelINS0_13select_configILj256ELj13ELNS0_17block_load_methodE3ELS4_3ELS4_3ELNS0_20block_scan_algorithmE0ELj4294967295EEENS1_25partition_config_selectorILNS1_17partition_subalgoE4EjNS0_10empty_typeEbEEZZNS1_14partition_implILS8_4ELb0ES6_15HIP_vector_typeIjLj2EENS0_17counting_iteratorIjlEEPS9_SG_NS0_5tupleIJPjSI_NS0_16reverse_iteratorISI_EEEEENSH_IJSG_SG_SG_EEES9_SI_JZNS1_25segmented_radix_sort_implINS0_14default_configELb1EPKaPaPKlPlN2at6native12_GLOBAL__N_18offset_tEEE10hipError_tPvRmT1_PNSt15iterator_traitsIS12_E10value_typeET2_T3_PNS13_IS18_E10value_typeET4_jRbjT5_S1E_jjP12ihipStream_tbEUljE_ZNSN_ISO_Lb1ESQ_SR_ST_SU_SY_EESZ_S10_S11_S12_S16_S17_S18_S1B_S1C_jS1D_jS1E_S1E_jjS1G_bEUljE0_EEESZ_S10_S11_S18_S1C_S1E_T6_T7_T9_mT8_S1G_bDpT10_ENKUlT_T0_E_clISt17integral_constantIbLb1EES1U_EEDaS1P_S1Q_EUlS1P_E_NS1_11comp_targetILNS1_3genE10ELNS1_11target_archE1200ELNS1_3gpuE4ELNS1_3repE0EEENS1_30default_config_static_selectorELNS0_4arch9wavefront6targetE0EEEvS12_.num_named_barrier, 0
	.set _ZN7rocprim17ROCPRIM_400000_NS6detail17trampoline_kernelINS0_13select_configILj256ELj13ELNS0_17block_load_methodE3ELS4_3ELS4_3ELNS0_20block_scan_algorithmE0ELj4294967295EEENS1_25partition_config_selectorILNS1_17partition_subalgoE4EjNS0_10empty_typeEbEEZZNS1_14partition_implILS8_4ELb0ES6_15HIP_vector_typeIjLj2EENS0_17counting_iteratorIjlEEPS9_SG_NS0_5tupleIJPjSI_NS0_16reverse_iteratorISI_EEEEENSH_IJSG_SG_SG_EEES9_SI_JZNS1_25segmented_radix_sort_implINS0_14default_configELb1EPKaPaPKlPlN2at6native12_GLOBAL__N_18offset_tEEE10hipError_tPvRmT1_PNSt15iterator_traitsIS12_E10value_typeET2_T3_PNS13_IS18_E10value_typeET4_jRbjT5_S1E_jjP12ihipStream_tbEUljE_ZNSN_ISO_Lb1ESQ_SR_ST_SU_SY_EESZ_S10_S11_S12_S16_S17_S18_S1B_S1C_jS1D_jS1E_S1E_jjS1G_bEUljE0_EEESZ_S10_S11_S18_S1C_S1E_T6_T7_T9_mT8_S1G_bDpT10_ENKUlT_T0_E_clISt17integral_constantIbLb1EES1U_EEDaS1P_S1Q_EUlS1P_E_NS1_11comp_targetILNS1_3genE10ELNS1_11target_archE1200ELNS1_3gpuE4ELNS1_3repE0EEENS1_30default_config_static_selectorELNS0_4arch9wavefront6targetE0EEEvS12_.private_seg_size, 0
	.set _ZN7rocprim17ROCPRIM_400000_NS6detail17trampoline_kernelINS0_13select_configILj256ELj13ELNS0_17block_load_methodE3ELS4_3ELS4_3ELNS0_20block_scan_algorithmE0ELj4294967295EEENS1_25partition_config_selectorILNS1_17partition_subalgoE4EjNS0_10empty_typeEbEEZZNS1_14partition_implILS8_4ELb0ES6_15HIP_vector_typeIjLj2EENS0_17counting_iteratorIjlEEPS9_SG_NS0_5tupleIJPjSI_NS0_16reverse_iteratorISI_EEEEENSH_IJSG_SG_SG_EEES9_SI_JZNS1_25segmented_radix_sort_implINS0_14default_configELb1EPKaPaPKlPlN2at6native12_GLOBAL__N_18offset_tEEE10hipError_tPvRmT1_PNSt15iterator_traitsIS12_E10value_typeET2_T3_PNS13_IS18_E10value_typeET4_jRbjT5_S1E_jjP12ihipStream_tbEUljE_ZNSN_ISO_Lb1ESQ_SR_ST_SU_SY_EESZ_S10_S11_S12_S16_S17_S18_S1B_S1C_jS1D_jS1E_S1E_jjS1G_bEUljE0_EEESZ_S10_S11_S18_S1C_S1E_T6_T7_T9_mT8_S1G_bDpT10_ENKUlT_T0_E_clISt17integral_constantIbLb1EES1U_EEDaS1P_S1Q_EUlS1P_E_NS1_11comp_targetILNS1_3genE10ELNS1_11target_archE1200ELNS1_3gpuE4ELNS1_3repE0EEENS1_30default_config_static_selectorELNS0_4arch9wavefront6targetE0EEEvS12_.uses_vcc, 0
	.set _ZN7rocprim17ROCPRIM_400000_NS6detail17trampoline_kernelINS0_13select_configILj256ELj13ELNS0_17block_load_methodE3ELS4_3ELS4_3ELNS0_20block_scan_algorithmE0ELj4294967295EEENS1_25partition_config_selectorILNS1_17partition_subalgoE4EjNS0_10empty_typeEbEEZZNS1_14partition_implILS8_4ELb0ES6_15HIP_vector_typeIjLj2EENS0_17counting_iteratorIjlEEPS9_SG_NS0_5tupleIJPjSI_NS0_16reverse_iteratorISI_EEEEENSH_IJSG_SG_SG_EEES9_SI_JZNS1_25segmented_radix_sort_implINS0_14default_configELb1EPKaPaPKlPlN2at6native12_GLOBAL__N_18offset_tEEE10hipError_tPvRmT1_PNSt15iterator_traitsIS12_E10value_typeET2_T3_PNS13_IS18_E10value_typeET4_jRbjT5_S1E_jjP12ihipStream_tbEUljE_ZNSN_ISO_Lb1ESQ_SR_ST_SU_SY_EESZ_S10_S11_S12_S16_S17_S18_S1B_S1C_jS1D_jS1E_S1E_jjS1G_bEUljE0_EEESZ_S10_S11_S18_S1C_S1E_T6_T7_T9_mT8_S1G_bDpT10_ENKUlT_T0_E_clISt17integral_constantIbLb1EES1U_EEDaS1P_S1Q_EUlS1P_E_NS1_11comp_targetILNS1_3genE10ELNS1_11target_archE1200ELNS1_3gpuE4ELNS1_3repE0EEENS1_30default_config_static_selectorELNS0_4arch9wavefront6targetE0EEEvS12_.uses_flat_scratch, 0
	.set _ZN7rocprim17ROCPRIM_400000_NS6detail17trampoline_kernelINS0_13select_configILj256ELj13ELNS0_17block_load_methodE3ELS4_3ELS4_3ELNS0_20block_scan_algorithmE0ELj4294967295EEENS1_25partition_config_selectorILNS1_17partition_subalgoE4EjNS0_10empty_typeEbEEZZNS1_14partition_implILS8_4ELb0ES6_15HIP_vector_typeIjLj2EENS0_17counting_iteratorIjlEEPS9_SG_NS0_5tupleIJPjSI_NS0_16reverse_iteratorISI_EEEEENSH_IJSG_SG_SG_EEES9_SI_JZNS1_25segmented_radix_sort_implINS0_14default_configELb1EPKaPaPKlPlN2at6native12_GLOBAL__N_18offset_tEEE10hipError_tPvRmT1_PNSt15iterator_traitsIS12_E10value_typeET2_T3_PNS13_IS18_E10value_typeET4_jRbjT5_S1E_jjP12ihipStream_tbEUljE_ZNSN_ISO_Lb1ESQ_SR_ST_SU_SY_EESZ_S10_S11_S12_S16_S17_S18_S1B_S1C_jS1D_jS1E_S1E_jjS1G_bEUljE0_EEESZ_S10_S11_S18_S1C_S1E_T6_T7_T9_mT8_S1G_bDpT10_ENKUlT_T0_E_clISt17integral_constantIbLb1EES1U_EEDaS1P_S1Q_EUlS1P_E_NS1_11comp_targetILNS1_3genE10ELNS1_11target_archE1200ELNS1_3gpuE4ELNS1_3repE0EEENS1_30default_config_static_selectorELNS0_4arch9wavefront6targetE0EEEvS12_.has_dyn_sized_stack, 0
	.set _ZN7rocprim17ROCPRIM_400000_NS6detail17trampoline_kernelINS0_13select_configILj256ELj13ELNS0_17block_load_methodE3ELS4_3ELS4_3ELNS0_20block_scan_algorithmE0ELj4294967295EEENS1_25partition_config_selectorILNS1_17partition_subalgoE4EjNS0_10empty_typeEbEEZZNS1_14partition_implILS8_4ELb0ES6_15HIP_vector_typeIjLj2EENS0_17counting_iteratorIjlEEPS9_SG_NS0_5tupleIJPjSI_NS0_16reverse_iteratorISI_EEEEENSH_IJSG_SG_SG_EEES9_SI_JZNS1_25segmented_radix_sort_implINS0_14default_configELb1EPKaPaPKlPlN2at6native12_GLOBAL__N_18offset_tEEE10hipError_tPvRmT1_PNSt15iterator_traitsIS12_E10value_typeET2_T3_PNS13_IS18_E10value_typeET4_jRbjT5_S1E_jjP12ihipStream_tbEUljE_ZNSN_ISO_Lb1ESQ_SR_ST_SU_SY_EESZ_S10_S11_S12_S16_S17_S18_S1B_S1C_jS1D_jS1E_S1E_jjS1G_bEUljE0_EEESZ_S10_S11_S18_S1C_S1E_T6_T7_T9_mT8_S1G_bDpT10_ENKUlT_T0_E_clISt17integral_constantIbLb1EES1U_EEDaS1P_S1Q_EUlS1P_E_NS1_11comp_targetILNS1_3genE10ELNS1_11target_archE1200ELNS1_3gpuE4ELNS1_3repE0EEENS1_30default_config_static_selectorELNS0_4arch9wavefront6targetE0EEEvS12_.has_recursion, 0
	.set _ZN7rocprim17ROCPRIM_400000_NS6detail17trampoline_kernelINS0_13select_configILj256ELj13ELNS0_17block_load_methodE3ELS4_3ELS4_3ELNS0_20block_scan_algorithmE0ELj4294967295EEENS1_25partition_config_selectorILNS1_17partition_subalgoE4EjNS0_10empty_typeEbEEZZNS1_14partition_implILS8_4ELb0ES6_15HIP_vector_typeIjLj2EENS0_17counting_iteratorIjlEEPS9_SG_NS0_5tupleIJPjSI_NS0_16reverse_iteratorISI_EEEEENSH_IJSG_SG_SG_EEES9_SI_JZNS1_25segmented_radix_sort_implINS0_14default_configELb1EPKaPaPKlPlN2at6native12_GLOBAL__N_18offset_tEEE10hipError_tPvRmT1_PNSt15iterator_traitsIS12_E10value_typeET2_T3_PNS13_IS18_E10value_typeET4_jRbjT5_S1E_jjP12ihipStream_tbEUljE_ZNSN_ISO_Lb1ESQ_SR_ST_SU_SY_EESZ_S10_S11_S12_S16_S17_S18_S1B_S1C_jS1D_jS1E_S1E_jjS1G_bEUljE0_EEESZ_S10_S11_S18_S1C_S1E_T6_T7_T9_mT8_S1G_bDpT10_ENKUlT_T0_E_clISt17integral_constantIbLb1EES1U_EEDaS1P_S1Q_EUlS1P_E_NS1_11comp_targetILNS1_3genE10ELNS1_11target_archE1200ELNS1_3gpuE4ELNS1_3repE0EEENS1_30default_config_static_selectorELNS0_4arch9wavefront6targetE0EEEvS12_.has_indirect_call, 0
	.section	.AMDGPU.csdata,"",@progbits
; Kernel info:
; codeLenInByte = 0
; TotalNumSgprs: 0
; NumVgprs: 0
; ScratchSize: 0
; MemoryBound: 0
; FloatMode: 240
; IeeeMode: 1
; LDSByteSize: 0 bytes/workgroup (compile time only)
; SGPRBlocks: 0
; VGPRBlocks: 0
; NumSGPRsForWavesPerEU: 1
; NumVGPRsForWavesPerEU: 1
; NamedBarCnt: 0
; Occupancy: 16
; WaveLimiterHint : 0
; COMPUTE_PGM_RSRC2:SCRATCH_EN: 0
; COMPUTE_PGM_RSRC2:USER_SGPR: 2
; COMPUTE_PGM_RSRC2:TRAP_HANDLER: 0
; COMPUTE_PGM_RSRC2:TGID_X_EN: 1
; COMPUTE_PGM_RSRC2:TGID_Y_EN: 0
; COMPUTE_PGM_RSRC2:TGID_Z_EN: 0
; COMPUTE_PGM_RSRC2:TIDIG_COMP_CNT: 0
	.section	.text._ZN7rocprim17ROCPRIM_400000_NS6detail17trampoline_kernelINS0_13select_configILj256ELj13ELNS0_17block_load_methodE3ELS4_3ELS4_3ELNS0_20block_scan_algorithmE0ELj4294967295EEENS1_25partition_config_selectorILNS1_17partition_subalgoE4EjNS0_10empty_typeEbEEZZNS1_14partition_implILS8_4ELb0ES6_15HIP_vector_typeIjLj2EENS0_17counting_iteratorIjlEEPS9_SG_NS0_5tupleIJPjSI_NS0_16reverse_iteratorISI_EEEEENSH_IJSG_SG_SG_EEES9_SI_JZNS1_25segmented_radix_sort_implINS0_14default_configELb1EPKaPaPKlPlN2at6native12_GLOBAL__N_18offset_tEEE10hipError_tPvRmT1_PNSt15iterator_traitsIS12_E10value_typeET2_T3_PNS13_IS18_E10value_typeET4_jRbjT5_S1E_jjP12ihipStream_tbEUljE_ZNSN_ISO_Lb1ESQ_SR_ST_SU_SY_EESZ_S10_S11_S12_S16_S17_S18_S1B_S1C_jS1D_jS1E_S1E_jjS1G_bEUljE0_EEESZ_S10_S11_S18_S1C_S1E_T6_T7_T9_mT8_S1G_bDpT10_ENKUlT_T0_E_clISt17integral_constantIbLb1EES1U_EEDaS1P_S1Q_EUlS1P_E_NS1_11comp_targetILNS1_3genE9ELNS1_11target_archE1100ELNS1_3gpuE3ELNS1_3repE0EEENS1_30default_config_static_selectorELNS0_4arch9wavefront6targetE0EEEvS12_,"axG",@progbits,_ZN7rocprim17ROCPRIM_400000_NS6detail17trampoline_kernelINS0_13select_configILj256ELj13ELNS0_17block_load_methodE3ELS4_3ELS4_3ELNS0_20block_scan_algorithmE0ELj4294967295EEENS1_25partition_config_selectorILNS1_17partition_subalgoE4EjNS0_10empty_typeEbEEZZNS1_14partition_implILS8_4ELb0ES6_15HIP_vector_typeIjLj2EENS0_17counting_iteratorIjlEEPS9_SG_NS0_5tupleIJPjSI_NS0_16reverse_iteratorISI_EEEEENSH_IJSG_SG_SG_EEES9_SI_JZNS1_25segmented_radix_sort_implINS0_14default_configELb1EPKaPaPKlPlN2at6native12_GLOBAL__N_18offset_tEEE10hipError_tPvRmT1_PNSt15iterator_traitsIS12_E10value_typeET2_T3_PNS13_IS18_E10value_typeET4_jRbjT5_S1E_jjP12ihipStream_tbEUljE_ZNSN_ISO_Lb1ESQ_SR_ST_SU_SY_EESZ_S10_S11_S12_S16_S17_S18_S1B_S1C_jS1D_jS1E_S1E_jjS1G_bEUljE0_EEESZ_S10_S11_S18_S1C_S1E_T6_T7_T9_mT8_S1G_bDpT10_ENKUlT_T0_E_clISt17integral_constantIbLb1EES1U_EEDaS1P_S1Q_EUlS1P_E_NS1_11comp_targetILNS1_3genE9ELNS1_11target_archE1100ELNS1_3gpuE3ELNS1_3repE0EEENS1_30default_config_static_selectorELNS0_4arch9wavefront6targetE0EEEvS12_,comdat
	.globl	_ZN7rocprim17ROCPRIM_400000_NS6detail17trampoline_kernelINS0_13select_configILj256ELj13ELNS0_17block_load_methodE3ELS4_3ELS4_3ELNS0_20block_scan_algorithmE0ELj4294967295EEENS1_25partition_config_selectorILNS1_17partition_subalgoE4EjNS0_10empty_typeEbEEZZNS1_14partition_implILS8_4ELb0ES6_15HIP_vector_typeIjLj2EENS0_17counting_iteratorIjlEEPS9_SG_NS0_5tupleIJPjSI_NS0_16reverse_iteratorISI_EEEEENSH_IJSG_SG_SG_EEES9_SI_JZNS1_25segmented_radix_sort_implINS0_14default_configELb1EPKaPaPKlPlN2at6native12_GLOBAL__N_18offset_tEEE10hipError_tPvRmT1_PNSt15iterator_traitsIS12_E10value_typeET2_T3_PNS13_IS18_E10value_typeET4_jRbjT5_S1E_jjP12ihipStream_tbEUljE_ZNSN_ISO_Lb1ESQ_SR_ST_SU_SY_EESZ_S10_S11_S12_S16_S17_S18_S1B_S1C_jS1D_jS1E_S1E_jjS1G_bEUljE0_EEESZ_S10_S11_S18_S1C_S1E_T6_T7_T9_mT8_S1G_bDpT10_ENKUlT_T0_E_clISt17integral_constantIbLb1EES1U_EEDaS1P_S1Q_EUlS1P_E_NS1_11comp_targetILNS1_3genE9ELNS1_11target_archE1100ELNS1_3gpuE3ELNS1_3repE0EEENS1_30default_config_static_selectorELNS0_4arch9wavefront6targetE0EEEvS12_ ; -- Begin function _ZN7rocprim17ROCPRIM_400000_NS6detail17trampoline_kernelINS0_13select_configILj256ELj13ELNS0_17block_load_methodE3ELS4_3ELS4_3ELNS0_20block_scan_algorithmE0ELj4294967295EEENS1_25partition_config_selectorILNS1_17partition_subalgoE4EjNS0_10empty_typeEbEEZZNS1_14partition_implILS8_4ELb0ES6_15HIP_vector_typeIjLj2EENS0_17counting_iteratorIjlEEPS9_SG_NS0_5tupleIJPjSI_NS0_16reverse_iteratorISI_EEEEENSH_IJSG_SG_SG_EEES9_SI_JZNS1_25segmented_radix_sort_implINS0_14default_configELb1EPKaPaPKlPlN2at6native12_GLOBAL__N_18offset_tEEE10hipError_tPvRmT1_PNSt15iterator_traitsIS12_E10value_typeET2_T3_PNS13_IS18_E10value_typeET4_jRbjT5_S1E_jjP12ihipStream_tbEUljE_ZNSN_ISO_Lb1ESQ_SR_ST_SU_SY_EESZ_S10_S11_S12_S16_S17_S18_S1B_S1C_jS1D_jS1E_S1E_jjS1G_bEUljE0_EEESZ_S10_S11_S18_S1C_S1E_T6_T7_T9_mT8_S1G_bDpT10_ENKUlT_T0_E_clISt17integral_constantIbLb1EES1U_EEDaS1P_S1Q_EUlS1P_E_NS1_11comp_targetILNS1_3genE9ELNS1_11target_archE1100ELNS1_3gpuE3ELNS1_3repE0EEENS1_30default_config_static_selectorELNS0_4arch9wavefront6targetE0EEEvS12_
	.p2align	8
	.type	_ZN7rocprim17ROCPRIM_400000_NS6detail17trampoline_kernelINS0_13select_configILj256ELj13ELNS0_17block_load_methodE3ELS4_3ELS4_3ELNS0_20block_scan_algorithmE0ELj4294967295EEENS1_25partition_config_selectorILNS1_17partition_subalgoE4EjNS0_10empty_typeEbEEZZNS1_14partition_implILS8_4ELb0ES6_15HIP_vector_typeIjLj2EENS0_17counting_iteratorIjlEEPS9_SG_NS0_5tupleIJPjSI_NS0_16reverse_iteratorISI_EEEEENSH_IJSG_SG_SG_EEES9_SI_JZNS1_25segmented_radix_sort_implINS0_14default_configELb1EPKaPaPKlPlN2at6native12_GLOBAL__N_18offset_tEEE10hipError_tPvRmT1_PNSt15iterator_traitsIS12_E10value_typeET2_T3_PNS13_IS18_E10value_typeET4_jRbjT5_S1E_jjP12ihipStream_tbEUljE_ZNSN_ISO_Lb1ESQ_SR_ST_SU_SY_EESZ_S10_S11_S12_S16_S17_S18_S1B_S1C_jS1D_jS1E_S1E_jjS1G_bEUljE0_EEESZ_S10_S11_S18_S1C_S1E_T6_T7_T9_mT8_S1G_bDpT10_ENKUlT_T0_E_clISt17integral_constantIbLb1EES1U_EEDaS1P_S1Q_EUlS1P_E_NS1_11comp_targetILNS1_3genE9ELNS1_11target_archE1100ELNS1_3gpuE3ELNS1_3repE0EEENS1_30default_config_static_selectorELNS0_4arch9wavefront6targetE0EEEvS12_,@function
_ZN7rocprim17ROCPRIM_400000_NS6detail17trampoline_kernelINS0_13select_configILj256ELj13ELNS0_17block_load_methodE3ELS4_3ELS4_3ELNS0_20block_scan_algorithmE0ELj4294967295EEENS1_25partition_config_selectorILNS1_17partition_subalgoE4EjNS0_10empty_typeEbEEZZNS1_14partition_implILS8_4ELb0ES6_15HIP_vector_typeIjLj2EENS0_17counting_iteratorIjlEEPS9_SG_NS0_5tupleIJPjSI_NS0_16reverse_iteratorISI_EEEEENSH_IJSG_SG_SG_EEES9_SI_JZNS1_25segmented_radix_sort_implINS0_14default_configELb1EPKaPaPKlPlN2at6native12_GLOBAL__N_18offset_tEEE10hipError_tPvRmT1_PNSt15iterator_traitsIS12_E10value_typeET2_T3_PNS13_IS18_E10value_typeET4_jRbjT5_S1E_jjP12ihipStream_tbEUljE_ZNSN_ISO_Lb1ESQ_SR_ST_SU_SY_EESZ_S10_S11_S12_S16_S17_S18_S1B_S1C_jS1D_jS1E_S1E_jjS1G_bEUljE0_EEESZ_S10_S11_S18_S1C_S1E_T6_T7_T9_mT8_S1G_bDpT10_ENKUlT_T0_E_clISt17integral_constantIbLb1EES1U_EEDaS1P_S1Q_EUlS1P_E_NS1_11comp_targetILNS1_3genE9ELNS1_11target_archE1100ELNS1_3gpuE3ELNS1_3repE0EEENS1_30default_config_static_selectorELNS0_4arch9wavefront6targetE0EEEvS12_: ; @_ZN7rocprim17ROCPRIM_400000_NS6detail17trampoline_kernelINS0_13select_configILj256ELj13ELNS0_17block_load_methodE3ELS4_3ELS4_3ELNS0_20block_scan_algorithmE0ELj4294967295EEENS1_25partition_config_selectorILNS1_17partition_subalgoE4EjNS0_10empty_typeEbEEZZNS1_14partition_implILS8_4ELb0ES6_15HIP_vector_typeIjLj2EENS0_17counting_iteratorIjlEEPS9_SG_NS0_5tupleIJPjSI_NS0_16reverse_iteratorISI_EEEEENSH_IJSG_SG_SG_EEES9_SI_JZNS1_25segmented_radix_sort_implINS0_14default_configELb1EPKaPaPKlPlN2at6native12_GLOBAL__N_18offset_tEEE10hipError_tPvRmT1_PNSt15iterator_traitsIS12_E10value_typeET2_T3_PNS13_IS18_E10value_typeET4_jRbjT5_S1E_jjP12ihipStream_tbEUljE_ZNSN_ISO_Lb1ESQ_SR_ST_SU_SY_EESZ_S10_S11_S12_S16_S17_S18_S1B_S1C_jS1D_jS1E_S1E_jjS1G_bEUljE0_EEESZ_S10_S11_S18_S1C_S1E_T6_T7_T9_mT8_S1G_bDpT10_ENKUlT_T0_E_clISt17integral_constantIbLb1EES1U_EEDaS1P_S1Q_EUlS1P_E_NS1_11comp_targetILNS1_3genE9ELNS1_11target_archE1100ELNS1_3gpuE3ELNS1_3repE0EEENS1_30default_config_static_selectorELNS0_4arch9wavefront6targetE0EEEvS12_
; %bb.0:
	.section	.rodata,"a",@progbits
	.p2align	6, 0x0
	.amdhsa_kernel _ZN7rocprim17ROCPRIM_400000_NS6detail17trampoline_kernelINS0_13select_configILj256ELj13ELNS0_17block_load_methodE3ELS4_3ELS4_3ELNS0_20block_scan_algorithmE0ELj4294967295EEENS1_25partition_config_selectorILNS1_17partition_subalgoE4EjNS0_10empty_typeEbEEZZNS1_14partition_implILS8_4ELb0ES6_15HIP_vector_typeIjLj2EENS0_17counting_iteratorIjlEEPS9_SG_NS0_5tupleIJPjSI_NS0_16reverse_iteratorISI_EEEEENSH_IJSG_SG_SG_EEES9_SI_JZNS1_25segmented_radix_sort_implINS0_14default_configELb1EPKaPaPKlPlN2at6native12_GLOBAL__N_18offset_tEEE10hipError_tPvRmT1_PNSt15iterator_traitsIS12_E10value_typeET2_T3_PNS13_IS18_E10value_typeET4_jRbjT5_S1E_jjP12ihipStream_tbEUljE_ZNSN_ISO_Lb1ESQ_SR_ST_SU_SY_EESZ_S10_S11_S12_S16_S17_S18_S1B_S1C_jS1D_jS1E_S1E_jjS1G_bEUljE0_EEESZ_S10_S11_S18_S1C_S1E_T6_T7_T9_mT8_S1G_bDpT10_ENKUlT_T0_E_clISt17integral_constantIbLb1EES1U_EEDaS1P_S1Q_EUlS1P_E_NS1_11comp_targetILNS1_3genE9ELNS1_11target_archE1100ELNS1_3gpuE3ELNS1_3repE0EEENS1_30default_config_static_selectorELNS0_4arch9wavefront6targetE0EEEvS12_
		.amdhsa_group_segment_fixed_size 0
		.amdhsa_private_segment_fixed_size 0
		.amdhsa_kernarg_size 184
		.amdhsa_user_sgpr_count 2
		.amdhsa_user_sgpr_dispatch_ptr 0
		.amdhsa_user_sgpr_queue_ptr 0
		.amdhsa_user_sgpr_kernarg_segment_ptr 1
		.amdhsa_user_sgpr_dispatch_id 0
		.amdhsa_user_sgpr_kernarg_preload_length 0
		.amdhsa_user_sgpr_kernarg_preload_offset 0
		.amdhsa_user_sgpr_private_segment_size 0
		.amdhsa_wavefront_size32 1
		.amdhsa_uses_dynamic_stack 0
		.amdhsa_enable_private_segment 0
		.amdhsa_system_sgpr_workgroup_id_x 1
		.amdhsa_system_sgpr_workgroup_id_y 0
		.amdhsa_system_sgpr_workgroup_id_z 0
		.amdhsa_system_sgpr_workgroup_info 0
		.amdhsa_system_vgpr_workitem_id 0
		.amdhsa_next_free_vgpr 1
		.amdhsa_next_free_sgpr 1
		.amdhsa_named_barrier_count 0
		.amdhsa_reserve_vcc 0
		.amdhsa_float_round_mode_32 0
		.amdhsa_float_round_mode_16_64 0
		.amdhsa_float_denorm_mode_32 3
		.amdhsa_float_denorm_mode_16_64 3
		.amdhsa_fp16_overflow 0
		.amdhsa_memory_ordered 1
		.amdhsa_forward_progress 1
		.amdhsa_inst_pref_size 0
		.amdhsa_round_robin_scheduling 0
		.amdhsa_exception_fp_ieee_invalid_op 0
		.amdhsa_exception_fp_denorm_src 0
		.amdhsa_exception_fp_ieee_div_zero 0
		.amdhsa_exception_fp_ieee_overflow 0
		.amdhsa_exception_fp_ieee_underflow 0
		.amdhsa_exception_fp_ieee_inexact 0
		.amdhsa_exception_int_div_zero 0
	.end_amdhsa_kernel
	.section	.text._ZN7rocprim17ROCPRIM_400000_NS6detail17trampoline_kernelINS0_13select_configILj256ELj13ELNS0_17block_load_methodE3ELS4_3ELS4_3ELNS0_20block_scan_algorithmE0ELj4294967295EEENS1_25partition_config_selectorILNS1_17partition_subalgoE4EjNS0_10empty_typeEbEEZZNS1_14partition_implILS8_4ELb0ES6_15HIP_vector_typeIjLj2EENS0_17counting_iteratorIjlEEPS9_SG_NS0_5tupleIJPjSI_NS0_16reverse_iteratorISI_EEEEENSH_IJSG_SG_SG_EEES9_SI_JZNS1_25segmented_radix_sort_implINS0_14default_configELb1EPKaPaPKlPlN2at6native12_GLOBAL__N_18offset_tEEE10hipError_tPvRmT1_PNSt15iterator_traitsIS12_E10value_typeET2_T3_PNS13_IS18_E10value_typeET4_jRbjT5_S1E_jjP12ihipStream_tbEUljE_ZNSN_ISO_Lb1ESQ_SR_ST_SU_SY_EESZ_S10_S11_S12_S16_S17_S18_S1B_S1C_jS1D_jS1E_S1E_jjS1G_bEUljE0_EEESZ_S10_S11_S18_S1C_S1E_T6_T7_T9_mT8_S1G_bDpT10_ENKUlT_T0_E_clISt17integral_constantIbLb1EES1U_EEDaS1P_S1Q_EUlS1P_E_NS1_11comp_targetILNS1_3genE9ELNS1_11target_archE1100ELNS1_3gpuE3ELNS1_3repE0EEENS1_30default_config_static_selectorELNS0_4arch9wavefront6targetE0EEEvS12_,"axG",@progbits,_ZN7rocprim17ROCPRIM_400000_NS6detail17trampoline_kernelINS0_13select_configILj256ELj13ELNS0_17block_load_methodE3ELS4_3ELS4_3ELNS0_20block_scan_algorithmE0ELj4294967295EEENS1_25partition_config_selectorILNS1_17partition_subalgoE4EjNS0_10empty_typeEbEEZZNS1_14partition_implILS8_4ELb0ES6_15HIP_vector_typeIjLj2EENS0_17counting_iteratorIjlEEPS9_SG_NS0_5tupleIJPjSI_NS0_16reverse_iteratorISI_EEEEENSH_IJSG_SG_SG_EEES9_SI_JZNS1_25segmented_radix_sort_implINS0_14default_configELb1EPKaPaPKlPlN2at6native12_GLOBAL__N_18offset_tEEE10hipError_tPvRmT1_PNSt15iterator_traitsIS12_E10value_typeET2_T3_PNS13_IS18_E10value_typeET4_jRbjT5_S1E_jjP12ihipStream_tbEUljE_ZNSN_ISO_Lb1ESQ_SR_ST_SU_SY_EESZ_S10_S11_S12_S16_S17_S18_S1B_S1C_jS1D_jS1E_S1E_jjS1G_bEUljE0_EEESZ_S10_S11_S18_S1C_S1E_T6_T7_T9_mT8_S1G_bDpT10_ENKUlT_T0_E_clISt17integral_constantIbLb1EES1U_EEDaS1P_S1Q_EUlS1P_E_NS1_11comp_targetILNS1_3genE9ELNS1_11target_archE1100ELNS1_3gpuE3ELNS1_3repE0EEENS1_30default_config_static_selectorELNS0_4arch9wavefront6targetE0EEEvS12_,comdat
.Lfunc_end238:
	.size	_ZN7rocprim17ROCPRIM_400000_NS6detail17trampoline_kernelINS0_13select_configILj256ELj13ELNS0_17block_load_methodE3ELS4_3ELS4_3ELNS0_20block_scan_algorithmE0ELj4294967295EEENS1_25partition_config_selectorILNS1_17partition_subalgoE4EjNS0_10empty_typeEbEEZZNS1_14partition_implILS8_4ELb0ES6_15HIP_vector_typeIjLj2EENS0_17counting_iteratorIjlEEPS9_SG_NS0_5tupleIJPjSI_NS0_16reverse_iteratorISI_EEEEENSH_IJSG_SG_SG_EEES9_SI_JZNS1_25segmented_radix_sort_implINS0_14default_configELb1EPKaPaPKlPlN2at6native12_GLOBAL__N_18offset_tEEE10hipError_tPvRmT1_PNSt15iterator_traitsIS12_E10value_typeET2_T3_PNS13_IS18_E10value_typeET4_jRbjT5_S1E_jjP12ihipStream_tbEUljE_ZNSN_ISO_Lb1ESQ_SR_ST_SU_SY_EESZ_S10_S11_S12_S16_S17_S18_S1B_S1C_jS1D_jS1E_S1E_jjS1G_bEUljE0_EEESZ_S10_S11_S18_S1C_S1E_T6_T7_T9_mT8_S1G_bDpT10_ENKUlT_T0_E_clISt17integral_constantIbLb1EES1U_EEDaS1P_S1Q_EUlS1P_E_NS1_11comp_targetILNS1_3genE9ELNS1_11target_archE1100ELNS1_3gpuE3ELNS1_3repE0EEENS1_30default_config_static_selectorELNS0_4arch9wavefront6targetE0EEEvS12_, .Lfunc_end238-_ZN7rocprim17ROCPRIM_400000_NS6detail17trampoline_kernelINS0_13select_configILj256ELj13ELNS0_17block_load_methodE3ELS4_3ELS4_3ELNS0_20block_scan_algorithmE0ELj4294967295EEENS1_25partition_config_selectorILNS1_17partition_subalgoE4EjNS0_10empty_typeEbEEZZNS1_14partition_implILS8_4ELb0ES6_15HIP_vector_typeIjLj2EENS0_17counting_iteratorIjlEEPS9_SG_NS0_5tupleIJPjSI_NS0_16reverse_iteratorISI_EEEEENSH_IJSG_SG_SG_EEES9_SI_JZNS1_25segmented_radix_sort_implINS0_14default_configELb1EPKaPaPKlPlN2at6native12_GLOBAL__N_18offset_tEEE10hipError_tPvRmT1_PNSt15iterator_traitsIS12_E10value_typeET2_T3_PNS13_IS18_E10value_typeET4_jRbjT5_S1E_jjP12ihipStream_tbEUljE_ZNSN_ISO_Lb1ESQ_SR_ST_SU_SY_EESZ_S10_S11_S12_S16_S17_S18_S1B_S1C_jS1D_jS1E_S1E_jjS1G_bEUljE0_EEESZ_S10_S11_S18_S1C_S1E_T6_T7_T9_mT8_S1G_bDpT10_ENKUlT_T0_E_clISt17integral_constantIbLb1EES1U_EEDaS1P_S1Q_EUlS1P_E_NS1_11comp_targetILNS1_3genE9ELNS1_11target_archE1100ELNS1_3gpuE3ELNS1_3repE0EEENS1_30default_config_static_selectorELNS0_4arch9wavefront6targetE0EEEvS12_
                                        ; -- End function
	.set _ZN7rocprim17ROCPRIM_400000_NS6detail17trampoline_kernelINS0_13select_configILj256ELj13ELNS0_17block_load_methodE3ELS4_3ELS4_3ELNS0_20block_scan_algorithmE0ELj4294967295EEENS1_25partition_config_selectorILNS1_17partition_subalgoE4EjNS0_10empty_typeEbEEZZNS1_14partition_implILS8_4ELb0ES6_15HIP_vector_typeIjLj2EENS0_17counting_iteratorIjlEEPS9_SG_NS0_5tupleIJPjSI_NS0_16reverse_iteratorISI_EEEEENSH_IJSG_SG_SG_EEES9_SI_JZNS1_25segmented_radix_sort_implINS0_14default_configELb1EPKaPaPKlPlN2at6native12_GLOBAL__N_18offset_tEEE10hipError_tPvRmT1_PNSt15iterator_traitsIS12_E10value_typeET2_T3_PNS13_IS18_E10value_typeET4_jRbjT5_S1E_jjP12ihipStream_tbEUljE_ZNSN_ISO_Lb1ESQ_SR_ST_SU_SY_EESZ_S10_S11_S12_S16_S17_S18_S1B_S1C_jS1D_jS1E_S1E_jjS1G_bEUljE0_EEESZ_S10_S11_S18_S1C_S1E_T6_T7_T9_mT8_S1G_bDpT10_ENKUlT_T0_E_clISt17integral_constantIbLb1EES1U_EEDaS1P_S1Q_EUlS1P_E_NS1_11comp_targetILNS1_3genE9ELNS1_11target_archE1100ELNS1_3gpuE3ELNS1_3repE0EEENS1_30default_config_static_selectorELNS0_4arch9wavefront6targetE0EEEvS12_.num_vgpr, 0
	.set _ZN7rocprim17ROCPRIM_400000_NS6detail17trampoline_kernelINS0_13select_configILj256ELj13ELNS0_17block_load_methodE3ELS4_3ELS4_3ELNS0_20block_scan_algorithmE0ELj4294967295EEENS1_25partition_config_selectorILNS1_17partition_subalgoE4EjNS0_10empty_typeEbEEZZNS1_14partition_implILS8_4ELb0ES6_15HIP_vector_typeIjLj2EENS0_17counting_iteratorIjlEEPS9_SG_NS0_5tupleIJPjSI_NS0_16reverse_iteratorISI_EEEEENSH_IJSG_SG_SG_EEES9_SI_JZNS1_25segmented_radix_sort_implINS0_14default_configELb1EPKaPaPKlPlN2at6native12_GLOBAL__N_18offset_tEEE10hipError_tPvRmT1_PNSt15iterator_traitsIS12_E10value_typeET2_T3_PNS13_IS18_E10value_typeET4_jRbjT5_S1E_jjP12ihipStream_tbEUljE_ZNSN_ISO_Lb1ESQ_SR_ST_SU_SY_EESZ_S10_S11_S12_S16_S17_S18_S1B_S1C_jS1D_jS1E_S1E_jjS1G_bEUljE0_EEESZ_S10_S11_S18_S1C_S1E_T6_T7_T9_mT8_S1G_bDpT10_ENKUlT_T0_E_clISt17integral_constantIbLb1EES1U_EEDaS1P_S1Q_EUlS1P_E_NS1_11comp_targetILNS1_3genE9ELNS1_11target_archE1100ELNS1_3gpuE3ELNS1_3repE0EEENS1_30default_config_static_selectorELNS0_4arch9wavefront6targetE0EEEvS12_.num_agpr, 0
	.set _ZN7rocprim17ROCPRIM_400000_NS6detail17trampoline_kernelINS0_13select_configILj256ELj13ELNS0_17block_load_methodE3ELS4_3ELS4_3ELNS0_20block_scan_algorithmE0ELj4294967295EEENS1_25partition_config_selectorILNS1_17partition_subalgoE4EjNS0_10empty_typeEbEEZZNS1_14partition_implILS8_4ELb0ES6_15HIP_vector_typeIjLj2EENS0_17counting_iteratorIjlEEPS9_SG_NS0_5tupleIJPjSI_NS0_16reverse_iteratorISI_EEEEENSH_IJSG_SG_SG_EEES9_SI_JZNS1_25segmented_radix_sort_implINS0_14default_configELb1EPKaPaPKlPlN2at6native12_GLOBAL__N_18offset_tEEE10hipError_tPvRmT1_PNSt15iterator_traitsIS12_E10value_typeET2_T3_PNS13_IS18_E10value_typeET4_jRbjT5_S1E_jjP12ihipStream_tbEUljE_ZNSN_ISO_Lb1ESQ_SR_ST_SU_SY_EESZ_S10_S11_S12_S16_S17_S18_S1B_S1C_jS1D_jS1E_S1E_jjS1G_bEUljE0_EEESZ_S10_S11_S18_S1C_S1E_T6_T7_T9_mT8_S1G_bDpT10_ENKUlT_T0_E_clISt17integral_constantIbLb1EES1U_EEDaS1P_S1Q_EUlS1P_E_NS1_11comp_targetILNS1_3genE9ELNS1_11target_archE1100ELNS1_3gpuE3ELNS1_3repE0EEENS1_30default_config_static_selectorELNS0_4arch9wavefront6targetE0EEEvS12_.numbered_sgpr, 0
	.set _ZN7rocprim17ROCPRIM_400000_NS6detail17trampoline_kernelINS0_13select_configILj256ELj13ELNS0_17block_load_methodE3ELS4_3ELS4_3ELNS0_20block_scan_algorithmE0ELj4294967295EEENS1_25partition_config_selectorILNS1_17partition_subalgoE4EjNS0_10empty_typeEbEEZZNS1_14partition_implILS8_4ELb0ES6_15HIP_vector_typeIjLj2EENS0_17counting_iteratorIjlEEPS9_SG_NS0_5tupleIJPjSI_NS0_16reverse_iteratorISI_EEEEENSH_IJSG_SG_SG_EEES9_SI_JZNS1_25segmented_radix_sort_implINS0_14default_configELb1EPKaPaPKlPlN2at6native12_GLOBAL__N_18offset_tEEE10hipError_tPvRmT1_PNSt15iterator_traitsIS12_E10value_typeET2_T3_PNS13_IS18_E10value_typeET4_jRbjT5_S1E_jjP12ihipStream_tbEUljE_ZNSN_ISO_Lb1ESQ_SR_ST_SU_SY_EESZ_S10_S11_S12_S16_S17_S18_S1B_S1C_jS1D_jS1E_S1E_jjS1G_bEUljE0_EEESZ_S10_S11_S18_S1C_S1E_T6_T7_T9_mT8_S1G_bDpT10_ENKUlT_T0_E_clISt17integral_constantIbLb1EES1U_EEDaS1P_S1Q_EUlS1P_E_NS1_11comp_targetILNS1_3genE9ELNS1_11target_archE1100ELNS1_3gpuE3ELNS1_3repE0EEENS1_30default_config_static_selectorELNS0_4arch9wavefront6targetE0EEEvS12_.num_named_barrier, 0
	.set _ZN7rocprim17ROCPRIM_400000_NS6detail17trampoline_kernelINS0_13select_configILj256ELj13ELNS0_17block_load_methodE3ELS4_3ELS4_3ELNS0_20block_scan_algorithmE0ELj4294967295EEENS1_25partition_config_selectorILNS1_17partition_subalgoE4EjNS0_10empty_typeEbEEZZNS1_14partition_implILS8_4ELb0ES6_15HIP_vector_typeIjLj2EENS0_17counting_iteratorIjlEEPS9_SG_NS0_5tupleIJPjSI_NS0_16reverse_iteratorISI_EEEEENSH_IJSG_SG_SG_EEES9_SI_JZNS1_25segmented_radix_sort_implINS0_14default_configELb1EPKaPaPKlPlN2at6native12_GLOBAL__N_18offset_tEEE10hipError_tPvRmT1_PNSt15iterator_traitsIS12_E10value_typeET2_T3_PNS13_IS18_E10value_typeET4_jRbjT5_S1E_jjP12ihipStream_tbEUljE_ZNSN_ISO_Lb1ESQ_SR_ST_SU_SY_EESZ_S10_S11_S12_S16_S17_S18_S1B_S1C_jS1D_jS1E_S1E_jjS1G_bEUljE0_EEESZ_S10_S11_S18_S1C_S1E_T6_T7_T9_mT8_S1G_bDpT10_ENKUlT_T0_E_clISt17integral_constantIbLb1EES1U_EEDaS1P_S1Q_EUlS1P_E_NS1_11comp_targetILNS1_3genE9ELNS1_11target_archE1100ELNS1_3gpuE3ELNS1_3repE0EEENS1_30default_config_static_selectorELNS0_4arch9wavefront6targetE0EEEvS12_.private_seg_size, 0
	.set _ZN7rocprim17ROCPRIM_400000_NS6detail17trampoline_kernelINS0_13select_configILj256ELj13ELNS0_17block_load_methodE3ELS4_3ELS4_3ELNS0_20block_scan_algorithmE0ELj4294967295EEENS1_25partition_config_selectorILNS1_17partition_subalgoE4EjNS0_10empty_typeEbEEZZNS1_14partition_implILS8_4ELb0ES6_15HIP_vector_typeIjLj2EENS0_17counting_iteratorIjlEEPS9_SG_NS0_5tupleIJPjSI_NS0_16reverse_iteratorISI_EEEEENSH_IJSG_SG_SG_EEES9_SI_JZNS1_25segmented_radix_sort_implINS0_14default_configELb1EPKaPaPKlPlN2at6native12_GLOBAL__N_18offset_tEEE10hipError_tPvRmT1_PNSt15iterator_traitsIS12_E10value_typeET2_T3_PNS13_IS18_E10value_typeET4_jRbjT5_S1E_jjP12ihipStream_tbEUljE_ZNSN_ISO_Lb1ESQ_SR_ST_SU_SY_EESZ_S10_S11_S12_S16_S17_S18_S1B_S1C_jS1D_jS1E_S1E_jjS1G_bEUljE0_EEESZ_S10_S11_S18_S1C_S1E_T6_T7_T9_mT8_S1G_bDpT10_ENKUlT_T0_E_clISt17integral_constantIbLb1EES1U_EEDaS1P_S1Q_EUlS1P_E_NS1_11comp_targetILNS1_3genE9ELNS1_11target_archE1100ELNS1_3gpuE3ELNS1_3repE0EEENS1_30default_config_static_selectorELNS0_4arch9wavefront6targetE0EEEvS12_.uses_vcc, 0
	.set _ZN7rocprim17ROCPRIM_400000_NS6detail17trampoline_kernelINS0_13select_configILj256ELj13ELNS0_17block_load_methodE3ELS4_3ELS4_3ELNS0_20block_scan_algorithmE0ELj4294967295EEENS1_25partition_config_selectorILNS1_17partition_subalgoE4EjNS0_10empty_typeEbEEZZNS1_14partition_implILS8_4ELb0ES6_15HIP_vector_typeIjLj2EENS0_17counting_iteratorIjlEEPS9_SG_NS0_5tupleIJPjSI_NS0_16reverse_iteratorISI_EEEEENSH_IJSG_SG_SG_EEES9_SI_JZNS1_25segmented_radix_sort_implINS0_14default_configELb1EPKaPaPKlPlN2at6native12_GLOBAL__N_18offset_tEEE10hipError_tPvRmT1_PNSt15iterator_traitsIS12_E10value_typeET2_T3_PNS13_IS18_E10value_typeET4_jRbjT5_S1E_jjP12ihipStream_tbEUljE_ZNSN_ISO_Lb1ESQ_SR_ST_SU_SY_EESZ_S10_S11_S12_S16_S17_S18_S1B_S1C_jS1D_jS1E_S1E_jjS1G_bEUljE0_EEESZ_S10_S11_S18_S1C_S1E_T6_T7_T9_mT8_S1G_bDpT10_ENKUlT_T0_E_clISt17integral_constantIbLb1EES1U_EEDaS1P_S1Q_EUlS1P_E_NS1_11comp_targetILNS1_3genE9ELNS1_11target_archE1100ELNS1_3gpuE3ELNS1_3repE0EEENS1_30default_config_static_selectorELNS0_4arch9wavefront6targetE0EEEvS12_.uses_flat_scratch, 0
	.set _ZN7rocprim17ROCPRIM_400000_NS6detail17trampoline_kernelINS0_13select_configILj256ELj13ELNS0_17block_load_methodE3ELS4_3ELS4_3ELNS0_20block_scan_algorithmE0ELj4294967295EEENS1_25partition_config_selectorILNS1_17partition_subalgoE4EjNS0_10empty_typeEbEEZZNS1_14partition_implILS8_4ELb0ES6_15HIP_vector_typeIjLj2EENS0_17counting_iteratorIjlEEPS9_SG_NS0_5tupleIJPjSI_NS0_16reverse_iteratorISI_EEEEENSH_IJSG_SG_SG_EEES9_SI_JZNS1_25segmented_radix_sort_implINS0_14default_configELb1EPKaPaPKlPlN2at6native12_GLOBAL__N_18offset_tEEE10hipError_tPvRmT1_PNSt15iterator_traitsIS12_E10value_typeET2_T3_PNS13_IS18_E10value_typeET4_jRbjT5_S1E_jjP12ihipStream_tbEUljE_ZNSN_ISO_Lb1ESQ_SR_ST_SU_SY_EESZ_S10_S11_S12_S16_S17_S18_S1B_S1C_jS1D_jS1E_S1E_jjS1G_bEUljE0_EEESZ_S10_S11_S18_S1C_S1E_T6_T7_T9_mT8_S1G_bDpT10_ENKUlT_T0_E_clISt17integral_constantIbLb1EES1U_EEDaS1P_S1Q_EUlS1P_E_NS1_11comp_targetILNS1_3genE9ELNS1_11target_archE1100ELNS1_3gpuE3ELNS1_3repE0EEENS1_30default_config_static_selectorELNS0_4arch9wavefront6targetE0EEEvS12_.has_dyn_sized_stack, 0
	.set _ZN7rocprim17ROCPRIM_400000_NS6detail17trampoline_kernelINS0_13select_configILj256ELj13ELNS0_17block_load_methodE3ELS4_3ELS4_3ELNS0_20block_scan_algorithmE0ELj4294967295EEENS1_25partition_config_selectorILNS1_17partition_subalgoE4EjNS0_10empty_typeEbEEZZNS1_14partition_implILS8_4ELb0ES6_15HIP_vector_typeIjLj2EENS0_17counting_iteratorIjlEEPS9_SG_NS0_5tupleIJPjSI_NS0_16reverse_iteratorISI_EEEEENSH_IJSG_SG_SG_EEES9_SI_JZNS1_25segmented_radix_sort_implINS0_14default_configELb1EPKaPaPKlPlN2at6native12_GLOBAL__N_18offset_tEEE10hipError_tPvRmT1_PNSt15iterator_traitsIS12_E10value_typeET2_T3_PNS13_IS18_E10value_typeET4_jRbjT5_S1E_jjP12ihipStream_tbEUljE_ZNSN_ISO_Lb1ESQ_SR_ST_SU_SY_EESZ_S10_S11_S12_S16_S17_S18_S1B_S1C_jS1D_jS1E_S1E_jjS1G_bEUljE0_EEESZ_S10_S11_S18_S1C_S1E_T6_T7_T9_mT8_S1G_bDpT10_ENKUlT_T0_E_clISt17integral_constantIbLb1EES1U_EEDaS1P_S1Q_EUlS1P_E_NS1_11comp_targetILNS1_3genE9ELNS1_11target_archE1100ELNS1_3gpuE3ELNS1_3repE0EEENS1_30default_config_static_selectorELNS0_4arch9wavefront6targetE0EEEvS12_.has_recursion, 0
	.set _ZN7rocprim17ROCPRIM_400000_NS6detail17trampoline_kernelINS0_13select_configILj256ELj13ELNS0_17block_load_methodE3ELS4_3ELS4_3ELNS0_20block_scan_algorithmE0ELj4294967295EEENS1_25partition_config_selectorILNS1_17partition_subalgoE4EjNS0_10empty_typeEbEEZZNS1_14partition_implILS8_4ELb0ES6_15HIP_vector_typeIjLj2EENS0_17counting_iteratorIjlEEPS9_SG_NS0_5tupleIJPjSI_NS0_16reverse_iteratorISI_EEEEENSH_IJSG_SG_SG_EEES9_SI_JZNS1_25segmented_radix_sort_implINS0_14default_configELb1EPKaPaPKlPlN2at6native12_GLOBAL__N_18offset_tEEE10hipError_tPvRmT1_PNSt15iterator_traitsIS12_E10value_typeET2_T3_PNS13_IS18_E10value_typeET4_jRbjT5_S1E_jjP12ihipStream_tbEUljE_ZNSN_ISO_Lb1ESQ_SR_ST_SU_SY_EESZ_S10_S11_S12_S16_S17_S18_S1B_S1C_jS1D_jS1E_S1E_jjS1G_bEUljE0_EEESZ_S10_S11_S18_S1C_S1E_T6_T7_T9_mT8_S1G_bDpT10_ENKUlT_T0_E_clISt17integral_constantIbLb1EES1U_EEDaS1P_S1Q_EUlS1P_E_NS1_11comp_targetILNS1_3genE9ELNS1_11target_archE1100ELNS1_3gpuE3ELNS1_3repE0EEENS1_30default_config_static_selectorELNS0_4arch9wavefront6targetE0EEEvS12_.has_indirect_call, 0
	.section	.AMDGPU.csdata,"",@progbits
; Kernel info:
; codeLenInByte = 0
; TotalNumSgprs: 0
; NumVgprs: 0
; ScratchSize: 0
; MemoryBound: 0
; FloatMode: 240
; IeeeMode: 1
; LDSByteSize: 0 bytes/workgroup (compile time only)
; SGPRBlocks: 0
; VGPRBlocks: 0
; NumSGPRsForWavesPerEU: 1
; NumVGPRsForWavesPerEU: 1
; NamedBarCnt: 0
; Occupancy: 16
; WaveLimiterHint : 0
; COMPUTE_PGM_RSRC2:SCRATCH_EN: 0
; COMPUTE_PGM_RSRC2:USER_SGPR: 2
; COMPUTE_PGM_RSRC2:TRAP_HANDLER: 0
; COMPUTE_PGM_RSRC2:TGID_X_EN: 1
; COMPUTE_PGM_RSRC2:TGID_Y_EN: 0
; COMPUTE_PGM_RSRC2:TGID_Z_EN: 0
; COMPUTE_PGM_RSRC2:TIDIG_COMP_CNT: 0
	.section	.text._ZN7rocprim17ROCPRIM_400000_NS6detail17trampoline_kernelINS0_13select_configILj256ELj13ELNS0_17block_load_methodE3ELS4_3ELS4_3ELNS0_20block_scan_algorithmE0ELj4294967295EEENS1_25partition_config_selectorILNS1_17partition_subalgoE4EjNS0_10empty_typeEbEEZZNS1_14partition_implILS8_4ELb0ES6_15HIP_vector_typeIjLj2EENS0_17counting_iteratorIjlEEPS9_SG_NS0_5tupleIJPjSI_NS0_16reverse_iteratorISI_EEEEENSH_IJSG_SG_SG_EEES9_SI_JZNS1_25segmented_radix_sort_implINS0_14default_configELb1EPKaPaPKlPlN2at6native12_GLOBAL__N_18offset_tEEE10hipError_tPvRmT1_PNSt15iterator_traitsIS12_E10value_typeET2_T3_PNS13_IS18_E10value_typeET4_jRbjT5_S1E_jjP12ihipStream_tbEUljE_ZNSN_ISO_Lb1ESQ_SR_ST_SU_SY_EESZ_S10_S11_S12_S16_S17_S18_S1B_S1C_jS1D_jS1E_S1E_jjS1G_bEUljE0_EEESZ_S10_S11_S18_S1C_S1E_T6_T7_T9_mT8_S1G_bDpT10_ENKUlT_T0_E_clISt17integral_constantIbLb1EES1U_EEDaS1P_S1Q_EUlS1P_E_NS1_11comp_targetILNS1_3genE8ELNS1_11target_archE1030ELNS1_3gpuE2ELNS1_3repE0EEENS1_30default_config_static_selectorELNS0_4arch9wavefront6targetE0EEEvS12_,"axG",@progbits,_ZN7rocprim17ROCPRIM_400000_NS6detail17trampoline_kernelINS0_13select_configILj256ELj13ELNS0_17block_load_methodE3ELS4_3ELS4_3ELNS0_20block_scan_algorithmE0ELj4294967295EEENS1_25partition_config_selectorILNS1_17partition_subalgoE4EjNS0_10empty_typeEbEEZZNS1_14partition_implILS8_4ELb0ES6_15HIP_vector_typeIjLj2EENS0_17counting_iteratorIjlEEPS9_SG_NS0_5tupleIJPjSI_NS0_16reverse_iteratorISI_EEEEENSH_IJSG_SG_SG_EEES9_SI_JZNS1_25segmented_radix_sort_implINS0_14default_configELb1EPKaPaPKlPlN2at6native12_GLOBAL__N_18offset_tEEE10hipError_tPvRmT1_PNSt15iterator_traitsIS12_E10value_typeET2_T3_PNS13_IS18_E10value_typeET4_jRbjT5_S1E_jjP12ihipStream_tbEUljE_ZNSN_ISO_Lb1ESQ_SR_ST_SU_SY_EESZ_S10_S11_S12_S16_S17_S18_S1B_S1C_jS1D_jS1E_S1E_jjS1G_bEUljE0_EEESZ_S10_S11_S18_S1C_S1E_T6_T7_T9_mT8_S1G_bDpT10_ENKUlT_T0_E_clISt17integral_constantIbLb1EES1U_EEDaS1P_S1Q_EUlS1P_E_NS1_11comp_targetILNS1_3genE8ELNS1_11target_archE1030ELNS1_3gpuE2ELNS1_3repE0EEENS1_30default_config_static_selectorELNS0_4arch9wavefront6targetE0EEEvS12_,comdat
	.globl	_ZN7rocprim17ROCPRIM_400000_NS6detail17trampoline_kernelINS0_13select_configILj256ELj13ELNS0_17block_load_methodE3ELS4_3ELS4_3ELNS0_20block_scan_algorithmE0ELj4294967295EEENS1_25partition_config_selectorILNS1_17partition_subalgoE4EjNS0_10empty_typeEbEEZZNS1_14partition_implILS8_4ELb0ES6_15HIP_vector_typeIjLj2EENS0_17counting_iteratorIjlEEPS9_SG_NS0_5tupleIJPjSI_NS0_16reverse_iteratorISI_EEEEENSH_IJSG_SG_SG_EEES9_SI_JZNS1_25segmented_radix_sort_implINS0_14default_configELb1EPKaPaPKlPlN2at6native12_GLOBAL__N_18offset_tEEE10hipError_tPvRmT1_PNSt15iterator_traitsIS12_E10value_typeET2_T3_PNS13_IS18_E10value_typeET4_jRbjT5_S1E_jjP12ihipStream_tbEUljE_ZNSN_ISO_Lb1ESQ_SR_ST_SU_SY_EESZ_S10_S11_S12_S16_S17_S18_S1B_S1C_jS1D_jS1E_S1E_jjS1G_bEUljE0_EEESZ_S10_S11_S18_S1C_S1E_T6_T7_T9_mT8_S1G_bDpT10_ENKUlT_T0_E_clISt17integral_constantIbLb1EES1U_EEDaS1P_S1Q_EUlS1P_E_NS1_11comp_targetILNS1_3genE8ELNS1_11target_archE1030ELNS1_3gpuE2ELNS1_3repE0EEENS1_30default_config_static_selectorELNS0_4arch9wavefront6targetE0EEEvS12_ ; -- Begin function _ZN7rocprim17ROCPRIM_400000_NS6detail17trampoline_kernelINS0_13select_configILj256ELj13ELNS0_17block_load_methodE3ELS4_3ELS4_3ELNS0_20block_scan_algorithmE0ELj4294967295EEENS1_25partition_config_selectorILNS1_17partition_subalgoE4EjNS0_10empty_typeEbEEZZNS1_14partition_implILS8_4ELb0ES6_15HIP_vector_typeIjLj2EENS0_17counting_iteratorIjlEEPS9_SG_NS0_5tupleIJPjSI_NS0_16reverse_iteratorISI_EEEEENSH_IJSG_SG_SG_EEES9_SI_JZNS1_25segmented_radix_sort_implINS0_14default_configELb1EPKaPaPKlPlN2at6native12_GLOBAL__N_18offset_tEEE10hipError_tPvRmT1_PNSt15iterator_traitsIS12_E10value_typeET2_T3_PNS13_IS18_E10value_typeET4_jRbjT5_S1E_jjP12ihipStream_tbEUljE_ZNSN_ISO_Lb1ESQ_SR_ST_SU_SY_EESZ_S10_S11_S12_S16_S17_S18_S1B_S1C_jS1D_jS1E_S1E_jjS1G_bEUljE0_EEESZ_S10_S11_S18_S1C_S1E_T6_T7_T9_mT8_S1G_bDpT10_ENKUlT_T0_E_clISt17integral_constantIbLb1EES1U_EEDaS1P_S1Q_EUlS1P_E_NS1_11comp_targetILNS1_3genE8ELNS1_11target_archE1030ELNS1_3gpuE2ELNS1_3repE0EEENS1_30default_config_static_selectorELNS0_4arch9wavefront6targetE0EEEvS12_
	.p2align	8
	.type	_ZN7rocprim17ROCPRIM_400000_NS6detail17trampoline_kernelINS0_13select_configILj256ELj13ELNS0_17block_load_methodE3ELS4_3ELS4_3ELNS0_20block_scan_algorithmE0ELj4294967295EEENS1_25partition_config_selectorILNS1_17partition_subalgoE4EjNS0_10empty_typeEbEEZZNS1_14partition_implILS8_4ELb0ES6_15HIP_vector_typeIjLj2EENS0_17counting_iteratorIjlEEPS9_SG_NS0_5tupleIJPjSI_NS0_16reverse_iteratorISI_EEEEENSH_IJSG_SG_SG_EEES9_SI_JZNS1_25segmented_radix_sort_implINS0_14default_configELb1EPKaPaPKlPlN2at6native12_GLOBAL__N_18offset_tEEE10hipError_tPvRmT1_PNSt15iterator_traitsIS12_E10value_typeET2_T3_PNS13_IS18_E10value_typeET4_jRbjT5_S1E_jjP12ihipStream_tbEUljE_ZNSN_ISO_Lb1ESQ_SR_ST_SU_SY_EESZ_S10_S11_S12_S16_S17_S18_S1B_S1C_jS1D_jS1E_S1E_jjS1G_bEUljE0_EEESZ_S10_S11_S18_S1C_S1E_T6_T7_T9_mT8_S1G_bDpT10_ENKUlT_T0_E_clISt17integral_constantIbLb1EES1U_EEDaS1P_S1Q_EUlS1P_E_NS1_11comp_targetILNS1_3genE8ELNS1_11target_archE1030ELNS1_3gpuE2ELNS1_3repE0EEENS1_30default_config_static_selectorELNS0_4arch9wavefront6targetE0EEEvS12_,@function
_ZN7rocprim17ROCPRIM_400000_NS6detail17trampoline_kernelINS0_13select_configILj256ELj13ELNS0_17block_load_methodE3ELS4_3ELS4_3ELNS0_20block_scan_algorithmE0ELj4294967295EEENS1_25partition_config_selectorILNS1_17partition_subalgoE4EjNS0_10empty_typeEbEEZZNS1_14partition_implILS8_4ELb0ES6_15HIP_vector_typeIjLj2EENS0_17counting_iteratorIjlEEPS9_SG_NS0_5tupleIJPjSI_NS0_16reverse_iteratorISI_EEEEENSH_IJSG_SG_SG_EEES9_SI_JZNS1_25segmented_radix_sort_implINS0_14default_configELb1EPKaPaPKlPlN2at6native12_GLOBAL__N_18offset_tEEE10hipError_tPvRmT1_PNSt15iterator_traitsIS12_E10value_typeET2_T3_PNS13_IS18_E10value_typeET4_jRbjT5_S1E_jjP12ihipStream_tbEUljE_ZNSN_ISO_Lb1ESQ_SR_ST_SU_SY_EESZ_S10_S11_S12_S16_S17_S18_S1B_S1C_jS1D_jS1E_S1E_jjS1G_bEUljE0_EEESZ_S10_S11_S18_S1C_S1E_T6_T7_T9_mT8_S1G_bDpT10_ENKUlT_T0_E_clISt17integral_constantIbLb1EES1U_EEDaS1P_S1Q_EUlS1P_E_NS1_11comp_targetILNS1_3genE8ELNS1_11target_archE1030ELNS1_3gpuE2ELNS1_3repE0EEENS1_30default_config_static_selectorELNS0_4arch9wavefront6targetE0EEEvS12_: ; @_ZN7rocprim17ROCPRIM_400000_NS6detail17trampoline_kernelINS0_13select_configILj256ELj13ELNS0_17block_load_methodE3ELS4_3ELS4_3ELNS0_20block_scan_algorithmE0ELj4294967295EEENS1_25partition_config_selectorILNS1_17partition_subalgoE4EjNS0_10empty_typeEbEEZZNS1_14partition_implILS8_4ELb0ES6_15HIP_vector_typeIjLj2EENS0_17counting_iteratorIjlEEPS9_SG_NS0_5tupleIJPjSI_NS0_16reverse_iteratorISI_EEEEENSH_IJSG_SG_SG_EEES9_SI_JZNS1_25segmented_radix_sort_implINS0_14default_configELb1EPKaPaPKlPlN2at6native12_GLOBAL__N_18offset_tEEE10hipError_tPvRmT1_PNSt15iterator_traitsIS12_E10value_typeET2_T3_PNS13_IS18_E10value_typeET4_jRbjT5_S1E_jjP12ihipStream_tbEUljE_ZNSN_ISO_Lb1ESQ_SR_ST_SU_SY_EESZ_S10_S11_S12_S16_S17_S18_S1B_S1C_jS1D_jS1E_S1E_jjS1G_bEUljE0_EEESZ_S10_S11_S18_S1C_S1E_T6_T7_T9_mT8_S1G_bDpT10_ENKUlT_T0_E_clISt17integral_constantIbLb1EES1U_EEDaS1P_S1Q_EUlS1P_E_NS1_11comp_targetILNS1_3genE8ELNS1_11target_archE1030ELNS1_3gpuE2ELNS1_3repE0EEENS1_30default_config_static_selectorELNS0_4arch9wavefront6targetE0EEEvS12_
; %bb.0:
	.section	.rodata,"a",@progbits
	.p2align	6, 0x0
	.amdhsa_kernel _ZN7rocprim17ROCPRIM_400000_NS6detail17trampoline_kernelINS0_13select_configILj256ELj13ELNS0_17block_load_methodE3ELS4_3ELS4_3ELNS0_20block_scan_algorithmE0ELj4294967295EEENS1_25partition_config_selectorILNS1_17partition_subalgoE4EjNS0_10empty_typeEbEEZZNS1_14partition_implILS8_4ELb0ES6_15HIP_vector_typeIjLj2EENS0_17counting_iteratorIjlEEPS9_SG_NS0_5tupleIJPjSI_NS0_16reverse_iteratorISI_EEEEENSH_IJSG_SG_SG_EEES9_SI_JZNS1_25segmented_radix_sort_implINS0_14default_configELb1EPKaPaPKlPlN2at6native12_GLOBAL__N_18offset_tEEE10hipError_tPvRmT1_PNSt15iterator_traitsIS12_E10value_typeET2_T3_PNS13_IS18_E10value_typeET4_jRbjT5_S1E_jjP12ihipStream_tbEUljE_ZNSN_ISO_Lb1ESQ_SR_ST_SU_SY_EESZ_S10_S11_S12_S16_S17_S18_S1B_S1C_jS1D_jS1E_S1E_jjS1G_bEUljE0_EEESZ_S10_S11_S18_S1C_S1E_T6_T7_T9_mT8_S1G_bDpT10_ENKUlT_T0_E_clISt17integral_constantIbLb1EES1U_EEDaS1P_S1Q_EUlS1P_E_NS1_11comp_targetILNS1_3genE8ELNS1_11target_archE1030ELNS1_3gpuE2ELNS1_3repE0EEENS1_30default_config_static_selectorELNS0_4arch9wavefront6targetE0EEEvS12_
		.amdhsa_group_segment_fixed_size 0
		.amdhsa_private_segment_fixed_size 0
		.amdhsa_kernarg_size 184
		.amdhsa_user_sgpr_count 2
		.amdhsa_user_sgpr_dispatch_ptr 0
		.amdhsa_user_sgpr_queue_ptr 0
		.amdhsa_user_sgpr_kernarg_segment_ptr 1
		.amdhsa_user_sgpr_dispatch_id 0
		.amdhsa_user_sgpr_kernarg_preload_length 0
		.amdhsa_user_sgpr_kernarg_preload_offset 0
		.amdhsa_user_sgpr_private_segment_size 0
		.amdhsa_wavefront_size32 1
		.amdhsa_uses_dynamic_stack 0
		.amdhsa_enable_private_segment 0
		.amdhsa_system_sgpr_workgroup_id_x 1
		.amdhsa_system_sgpr_workgroup_id_y 0
		.amdhsa_system_sgpr_workgroup_id_z 0
		.amdhsa_system_sgpr_workgroup_info 0
		.amdhsa_system_vgpr_workitem_id 0
		.amdhsa_next_free_vgpr 1
		.amdhsa_next_free_sgpr 1
		.amdhsa_named_barrier_count 0
		.amdhsa_reserve_vcc 0
		.amdhsa_float_round_mode_32 0
		.amdhsa_float_round_mode_16_64 0
		.amdhsa_float_denorm_mode_32 3
		.amdhsa_float_denorm_mode_16_64 3
		.amdhsa_fp16_overflow 0
		.amdhsa_memory_ordered 1
		.amdhsa_forward_progress 1
		.amdhsa_inst_pref_size 0
		.amdhsa_round_robin_scheduling 0
		.amdhsa_exception_fp_ieee_invalid_op 0
		.amdhsa_exception_fp_denorm_src 0
		.amdhsa_exception_fp_ieee_div_zero 0
		.amdhsa_exception_fp_ieee_overflow 0
		.amdhsa_exception_fp_ieee_underflow 0
		.amdhsa_exception_fp_ieee_inexact 0
		.amdhsa_exception_int_div_zero 0
	.end_amdhsa_kernel
	.section	.text._ZN7rocprim17ROCPRIM_400000_NS6detail17trampoline_kernelINS0_13select_configILj256ELj13ELNS0_17block_load_methodE3ELS4_3ELS4_3ELNS0_20block_scan_algorithmE0ELj4294967295EEENS1_25partition_config_selectorILNS1_17partition_subalgoE4EjNS0_10empty_typeEbEEZZNS1_14partition_implILS8_4ELb0ES6_15HIP_vector_typeIjLj2EENS0_17counting_iteratorIjlEEPS9_SG_NS0_5tupleIJPjSI_NS0_16reverse_iteratorISI_EEEEENSH_IJSG_SG_SG_EEES9_SI_JZNS1_25segmented_radix_sort_implINS0_14default_configELb1EPKaPaPKlPlN2at6native12_GLOBAL__N_18offset_tEEE10hipError_tPvRmT1_PNSt15iterator_traitsIS12_E10value_typeET2_T3_PNS13_IS18_E10value_typeET4_jRbjT5_S1E_jjP12ihipStream_tbEUljE_ZNSN_ISO_Lb1ESQ_SR_ST_SU_SY_EESZ_S10_S11_S12_S16_S17_S18_S1B_S1C_jS1D_jS1E_S1E_jjS1G_bEUljE0_EEESZ_S10_S11_S18_S1C_S1E_T6_T7_T9_mT8_S1G_bDpT10_ENKUlT_T0_E_clISt17integral_constantIbLb1EES1U_EEDaS1P_S1Q_EUlS1P_E_NS1_11comp_targetILNS1_3genE8ELNS1_11target_archE1030ELNS1_3gpuE2ELNS1_3repE0EEENS1_30default_config_static_selectorELNS0_4arch9wavefront6targetE0EEEvS12_,"axG",@progbits,_ZN7rocprim17ROCPRIM_400000_NS6detail17trampoline_kernelINS0_13select_configILj256ELj13ELNS0_17block_load_methodE3ELS4_3ELS4_3ELNS0_20block_scan_algorithmE0ELj4294967295EEENS1_25partition_config_selectorILNS1_17partition_subalgoE4EjNS0_10empty_typeEbEEZZNS1_14partition_implILS8_4ELb0ES6_15HIP_vector_typeIjLj2EENS0_17counting_iteratorIjlEEPS9_SG_NS0_5tupleIJPjSI_NS0_16reverse_iteratorISI_EEEEENSH_IJSG_SG_SG_EEES9_SI_JZNS1_25segmented_radix_sort_implINS0_14default_configELb1EPKaPaPKlPlN2at6native12_GLOBAL__N_18offset_tEEE10hipError_tPvRmT1_PNSt15iterator_traitsIS12_E10value_typeET2_T3_PNS13_IS18_E10value_typeET4_jRbjT5_S1E_jjP12ihipStream_tbEUljE_ZNSN_ISO_Lb1ESQ_SR_ST_SU_SY_EESZ_S10_S11_S12_S16_S17_S18_S1B_S1C_jS1D_jS1E_S1E_jjS1G_bEUljE0_EEESZ_S10_S11_S18_S1C_S1E_T6_T7_T9_mT8_S1G_bDpT10_ENKUlT_T0_E_clISt17integral_constantIbLb1EES1U_EEDaS1P_S1Q_EUlS1P_E_NS1_11comp_targetILNS1_3genE8ELNS1_11target_archE1030ELNS1_3gpuE2ELNS1_3repE0EEENS1_30default_config_static_selectorELNS0_4arch9wavefront6targetE0EEEvS12_,comdat
.Lfunc_end239:
	.size	_ZN7rocprim17ROCPRIM_400000_NS6detail17trampoline_kernelINS0_13select_configILj256ELj13ELNS0_17block_load_methodE3ELS4_3ELS4_3ELNS0_20block_scan_algorithmE0ELj4294967295EEENS1_25partition_config_selectorILNS1_17partition_subalgoE4EjNS0_10empty_typeEbEEZZNS1_14partition_implILS8_4ELb0ES6_15HIP_vector_typeIjLj2EENS0_17counting_iteratorIjlEEPS9_SG_NS0_5tupleIJPjSI_NS0_16reverse_iteratorISI_EEEEENSH_IJSG_SG_SG_EEES9_SI_JZNS1_25segmented_radix_sort_implINS0_14default_configELb1EPKaPaPKlPlN2at6native12_GLOBAL__N_18offset_tEEE10hipError_tPvRmT1_PNSt15iterator_traitsIS12_E10value_typeET2_T3_PNS13_IS18_E10value_typeET4_jRbjT5_S1E_jjP12ihipStream_tbEUljE_ZNSN_ISO_Lb1ESQ_SR_ST_SU_SY_EESZ_S10_S11_S12_S16_S17_S18_S1B_S1C_jS1D_jS1E_S1E_jjS1G_bEUljE0_EEESZ_S10_S11_S18_S1C_S1E_T6_T7_T9_mT8_S1G_bDpT10_ENKUlT_T0_E_clISt17integral_constantIbLb1EES1U_EEDaS1P_S1Q_EUlS1P_E_NS1_11comp_targetILNS1_3genE8ELNS1_11target_archE1030ELNS1_3gpuE2ELNS1_3repE0EEENS1_30default_config_static_selectorELNS0_4arch9wavefront6targetE0EEEvS12_, .Lfunc_end239-_ZN7rocprim17ROCPRIM_400000_NS6detail17trampoline_kernelINS0_13select_configILj256ELj13ELNS0_17block_load_methodE3ELS4_3ELS4_3ELNS0_20block_scan_algorithmE0ELj4294967295EEENS1_25partition_config_selectorILNS1_17partition_subalgoE4EjNS0_10empty_typeEbEEZZNS1_14partition_implILS8_4ELb0ES6_15HIP_vector_typeIjLj2EENS0_17counting_iteratorIjlEEPS9_SG_NS0_5tupleIJPjSI_NS0_16reverse_iteratorISI_EEEEENSH_IJSG_SG_SG_EEES9_SI_JZNS1_25segmented_radix_sort_implINS0_14default_configELb1EPKaPaPKlPlN2at6native12_GLOBAL__N_18offset_tEEE10hipError_tPvRmT1_PNSt15iterator_traitsIS12_E10value_typeET2_T3_PNS13_IS18_E10value_typeET4_jRbjT5_S1E_jjP12ihipStream_tbEUljE_ZNSN_ISO_Lb1ESQ_SR_ST_SU_SY_EESZ_S10_S11_S12_S16_S17_S18_S1B_S1C_jS1D_jS1E_S1E_jjS1G_bEUljE0_EEESZ_S10_S11_S18_S1C_S1E_T6_T7_T9_mT8_S1G_bDpT10_ENKUlT_T0_E_clISt17integral_constantIbLb1EES1U_EEDaS1P_S1Q_EUlS1P_E_NS1_11comp_targetILNS1_3genE8ELNS1_11target_archE1030ELNS1_3gpuE2ELNS1_3repE0EEENS1_30default_config_static_selectorELNS0_4arch9wavefront6targetE0EEEvS12_
                                        ; -- End function
	.set _ZN7rocprim17ROCPRIM_400000_NS6detail17trampoline_kernelINS0_13select_configILj256ELj13ELNS0_17block_load_methodE3ELS4_3ELS4_3ELNS0_20block_scan_algorithmE0ELj4294967295EEENS1_25partition_config_selectorILNS1_17partition_subalgoE4EjNS0_10empty_typeEbEEZZNS1_14partition_implILS8_4ELb0ES6_15HIP_vector_typeIjLj2EENS0_17counting_iteratorIjlEEPS9_SG_NS0_5tupleIJPjSI_NS0_16reverse_iteratorISI_EEEEENSH_IJSG_SG_SG_EEES9_SI_JZNS1_25segmented_radix_sort_implINS0_14default_configELb1EPKaPaPKlPlN2at6native12_GLOBAL__N_18offset_tEEE10hipError_tPvRmT1_PNSt15iterator_traitsIS12_E10value_typeET2_T3_PNS13_IS18_E10value_typeET4_jRbjT5_S1E_jjP12ihipStream_tbEUljE_ZNSN_ISO_Lb1ESQ_SR_ST_SU_SY_EESZ_S10_S11_S12_S16_S17_S18_S1B_S1C_jS1D_jS1E_S1E_jjS1G_bEUljE0_EEESZ_S10_S11_S18_S1C_S1E_T6_T7_T9_mT8_S1G_bDpT10_ENKUlT_T0_E_clISt17integral_constantIbLb1EES1U_EEDaS1P_S1Q_EUlS1P_E_NS1_11comp_targetILNS1_3genE8ELNS1_11target_archE1030ELNS1_3gpuE2ELNS1_3repE0EEENS1_30default_config_static_selectorELNS0_4arch9wavefront6targetE0EEEvS12_.num_vgpr, 0
	.set _ZN7rocprim17ROCPRIM_400000_NS6detail17trampoline_kernelINS0_13select_configILj256ELj13ELNS0_17block_load_methodE3ELS4_3ELS4_3ELNS0_20block_scan_algorithmE0ELj4294967295EEENS1_25partition_config_selectorILNS1_17partition_subalgoE4EjNS0_10empty_typeEbEEZZNS1_14partition_implILS8_4ELb0ES6_15HIP_vector_typeIjLj2EENS0_17counting_iteratorIjlEEPS9_SG_NS0_5tupleIJPjSI_NS0_16reverse_iteratorISI_EEEEENSH_IJSG_SG_SG_EEES9_SI_JZNS1_25segmented_radix_sort_implINS0_14default_configELb1EPKaPaPKlPlN2at6native12_GLOBAL__N_18offset_tEEE10hipError_tPvRmT1_PNSt15iterator_traitsIS12_E10value_typeET2_T3_PNS13_IS18_E10value_typeET4_jRbjT5_S1E_jjP12ihipStream_tbEUljE_ZNSN_ISO_Lb1ESQ_SR_ST_SU_SY_EESZ_S10_S11_S12_S16_S17_S18_S1B_S1C_jS1D_jS1E_S1E_jjS1G_bEUljE0_EEESZ_S10_S11_S18_S1C_S1E_T6_T7_T9_mT8_S1G_bDpT10_ENKUlT_T0_E_clISt17integral_constantIbLb1EES1U_EEDaS1P_S1Q_EUlS1P_E_NS1_11comp_targetILNS1_3genE8ELNS1_11target_archE1030ELNS1_3gpuE2ELNS1_3repE0EEENS1_30default_config_static_selectorELNS0_4arch9wavefront6targetE0EEEvS12_.num_agpr, 0
	.set _ZN7rocprim17ROCPRIM_400000_NS6detail17trampoline_kernelINS0_13select_configILj256ELj13ELNS0_17block_load_methodE3ELS4_3ELS4_3ELNS0_20block_scan_algorithmE0ELj4294967295EEENS1_25partition_config_selectorILNS1_17partition_subalgoE4EjNS0_10empty_typeEbEEZZNS1_14partition_implILS8_4ELb0ES6_15HIP_vector_typeIjLj2EENS0_17counting_iteratorIjlEEPS9_SG_NS0_5tupleIJPjSI_NS0_16reverse_iteratorISI_EEEEENSH_IJSG_SG_SG_EEES9_SI_JZNS1_25segmented_radix_sort_implINS0_14default_configELb1EPKaPaPKlPlN2at6native12_GLOBAL__N_18offset_tEEE10hipError_tPvRmT1_PNSt15iterator_traitsIS12_E10value_typeET2_T3_PNS13_IS18_E10value_typeET4_jRbjT5_S1E_jjP12ihipStream_tbEUljE_ZNSN_ISO_Lb1ESQ_SR_ST_SU_SY_EESZ_S10_S11_S12_S16_S17_S18_S1B_S1C_jS1D_jS1E_S1E_jjS1G_bEUljE0_EEESZ_S10_S11_S18_S1C_S1E_T6_T7_T9_mT8_S1G_bDpT10_ENKUlT_T0_E_clISt17integral_constantIbLb1EES1U_EEDaS1P_S1Q_EUlS1P_E_NS1_11comp_targetILNS1_3genE8ELNS1_11target_archE1030ELNS1_3gpuE2ELNS1_3repE0EEENS1_30default_config_static_selectorELNS0_4arch9wavefront6targetE0EEEvS12_.numbered_sgpr, 0
	.set _ZN7rocprim17ROCPRIM_400000_NS6detail17trampoline_kernelINS0_13select_configILj256ELj13ELNS0_17block_load_methodE3ELS4_3ELS4_3ELNS0_20block_scan_algorithmE0ELj4294967295EEENS1_25partition_config_selectorILNS1_17partition_subalgoE4EjNS0_10empty_typeEbEEZZNS1_14partition_implILS8_4ELb0ES6_15HIP_vector_typeIjLj2EENS0_17counting_iteratorIjlEEPS9_SG_NS0_5tupleIJPjSI_NS0_16reverse_iteratorISI_EEEEENSH_IJSG_SG_SG_EEES9_SI_JZNS1_25segmented_radix_sort_implINS0_14default_configELb1EPKaPaPKlPlN2at6native12_GLOBAL__N_18offset_tEEE10hipError_tPvRmT1_PNSt15iterator_traitsIS12_E10value_typeET2_T3_PNS13_IS18_E10value_typeET4_jRbjT5_S1E_jjP12ihipStream_tbEUljE_ZNSN_ISO_Lb1ESQ_SR_ST_SU_SY_EESZ_S10_S11_S12_S16_S17_S18_S1B_S1C_jS1D_jS1E_S1E_jjS1G_bEUljE0_EEESZ_S10_S11_S18_S1C_S1E_T6_T7_T9_mT8_S1G_bDpT10_ENKUlT_T0_E_clISt17integral_constantIbLb1EES1U_EEDaS1P_S1Q_EUlS1P_E_NS1_11comp_targetILNS1_3genE8ELNS1_11target_archE1030ELNS1_3gpuE2ELNS1_3repE0EEENS1_30default_config_static_selectorELNS0_4arch9wavefront6targetE0EEEvS12_.num_named_barrier, 0
	.set _ZN7rocprim17ROCPRIM_400000_NS6detail17trampoline_kernelINS0_13select_configILj256ELj13ELNS0_17block_load_methodE3ELS4_3ELS4_3ELNS0_20block_scan_algorithmE0ELj4294967295EEENS1_25partition_config_selectorILNS1_17partition_subalgoE4EjNS0_10empty_typeEbEEZZNS1_14partition_implILS8_4ELb0ES6_15HIP_vector_typeIjLj2EENS0_17counting_iteratorIjlEEPS9_SG_NS0_5tupleIJPjSI_NS0_16reverse_iteratorISI_EEEEENSH_IJSG_SG_SG_EEES9_SI_JZNS1_25segmented_radix_sort_implINS0_14default_configELb1EPKaPaPKlPlN2at6native12_GLOBAL__N_18offset_tEEE10hipError_tPvRmT1_PNSt15iterator_traitsIS12_E10value_typeET2_T3_PNS13_IS18_E10value_typeET4_jRbjT5_S1E_jjP12ihipStream_tbEUljE_ZNSN_ISO_Lb1ESQ_SR_ST_SU_SY_EESZ_S10_S11_S12_S16_S17_S18_S1B_S1C_jS1D_jS1E_S1E_jjS1G_bEUljE0_EEESZ_S10_S11_S18_S1C_S1E_T6_T7_T9_mT8_S1G_bDpT10_ENKUlT_T0_E_clISt17integral_constantIbLb1EES1U_EEDaS1P_S1Q_EUlS1P_E_NS1_11comp_targetILNS1_3genE8ELNS1_11target_archE1030ELNS1_3gpuE2ELNS1_3repE0EEENS1_30default_config_static_selectorELNS0_4arch9wavefront6targetE0EEEvS12_.private_seg_size, 0
	.set _ZN7rocprim17ROCPRIM_400000_NS6detail17trampoline_kernelINS0_13select_configILj256ELj13ELNS0_17block_load_methodE3ELS4_3ELS4_3ELNS0_20block_scan_algorithmE0ELj4294967295EEENS1_25partition_config_selectorILNS1_17partition_subalgoE4EjNS0_10empty_typeEbEEZZNS1_14partition_implILS8_4ELb0ES6_15HIP_vector_typeIjLj2EENS0_17counting_iteratorIjlEEPS9_SG_NS0_5tupleIJPjSI_NS0_16reverse_iteratorISI_EEEEENSH_IJSG_SG_SG_EEES9_SI_JZNS1_25segmented_radix_sort_implINS0_14default_configELb1EPKaPaPKlPlN2at6native12_GLOBAL__N_18offset_tEEE10hipError_tPvRmT1_PNSt15iterator_traitsIS12_E10value_typeET2_T3_PNS13_IS18_E10value_typeET4_jRbjT5_S1E_jjP12ihipStream_tbEUljE_ZNSN_ISO_Lb1ESQ_SR_ST_SU_SY_EESZ_S10_S11_S12_S16_S17_S18_S1B_S1C_jS1D_jS1E_S1E_jjS1G_bEUljE0_EEESZ_S10_S11_S18_S1C_S1E_T6_T7_T9_mT8_S1G_bDpT10_ENKUlT_T0_E_clISt17integral_constantIbLb1EES1U_EEDaS1P_S1Q_EUlS1P_E_NS1_11comp_targetILNS1_3genE8ELNS1_11target_archE1030ELNS1_3gpuE2ELNS1_3repE0EEENS1_30default_config_static_selectorELNS0_4arch9wavefront6targetE0EEEvS12_.uses_vcc, 0
	.set _ZN7rocprim17ROCPRIM_400000_NS6detail17trampoline_kernelINS0_13select_configILj256ELj13ELNS0_17block_load_methodE3ELS4_3ELS4_3ELNS0_20block_scan_algorithmE0ELj4294967295EEENS1_25partition_config_selectorILNS1_17partition_subalgoE4EjNS0_10empty_typeEbEEZZNS1_14partition_implILS8_4ELb0ES6_15HIP_vector_typeIjLj2EENS0_17counting_iteratorIjlEEPS9_SG_NS0_5tupleIJPjSI_NS0_16reverse_iteratorISI_EEEEENSH_IJSG_SG_SG_EEES9_SI_JZNS1_25segmented_radix_sort_implINS0_14default_configELb1EPKaPaPKlPlN2at6native12_GLOBAL__N_18offset_tEEE10hipError_tPvRmT1_PNSt15iterator_traitsIS12_E10value_typeET2_T3_PNS13_IS18_E10value_typeET4_jRbjT5_S1E_jjP12ihipStream_tbEUljE_ZNSN_ISO_Lb1ESQ_SR_ST_SU_SY_EESZ_S10_S11_S12_S16_S17_S18_S1B_S1C_jS1D_jS1E_S1E_jjS1G_bEUljE0_EEESZ_S10_S11_S18_S1C_S1E_T6_T7_T9_mT8_S1G_bDpT10_ENKUlT_T0_E_clISt17integral_constantIbLb1EES1U_EEDaS1P_S1Q_EUlS1P_E_NS1_11comp_targetILNS1_3genE8ELNS1_11target_archE1030ELNS1_3gpuE2ELNS1_3repE0EEENS1_30default_config_static_selectorELNS0_4arch9wavefront6targetE0EEEvS12_.uses_flat_scratch, 0
	.set _ZN7rocprim17ROCPRIM_400000_NS6detail17trampoline_kernelINS0_13select_configILj256ELj13ELNS0_17block_load_methodE3ELS4_3ELS4_3ELNS0_20block_scan_algorithmE0ELj4294967295EEENS1_25partition_config_selectorILNS1_17partition_subalgoE4EjNS0_10empty_typeEbEEZZNS1_14partition_implILS8_4ELb0ES6_15HIP_vector_typeIjLj2EENS0_17counting_iteratorIjlEEPS9_SG_NS0_5tupleIJPjSI_NS0_16reverse_iteratorISI_EEEEENSH_IJSG_SG_SG_EEES9_SI_JZNS1_25segmented_radix_sort_implINS0_14default_configELb1EPKaPaPKlPlN2at6native12_GLOBAL__N_18offset_tEEE10hipError_tPvRmT1_PNSt15iterator_traitsIS12_E10value_typeET2_T3_PNS13_IS18_E10value_typeET4_jRbjT5_S1E_jjP12ihipStream_tbEUljE_ZNSN_ISO_Lb1ESQ_SR_ST_SU_SY_EESZ_S10_S11_S12_S16_S17_S18_S1B_S1C_jS1D_jS1E_S1E_jjS1G_bEUljE0_EEESZ_S10_S11_S18_S1C_S1E_T6_T7_T9_mT8_S1G_bDpT10_ENKUlT_T0_E_clISt17integral_constantIbLb1EES1U_EEDaS1P_S1Q_EUlS1P_E_NS1_11comp_targetILNS1_3genE8ELNS1_11target_archE1030ELNS1_3gpuE2ELNS1_3repE0EEENS1_30default_config_static_selectorELNS0_4arch9wavefront6targetE0EEEvS12_.has_dyn_sized_stack, 0
	.set _ZN7rocprim17ROCPRIM_400000_NS6detail17trampoline_kernelINS0_13select_configILj256ELj13ELNS0_17block_load_methodE3ELS4_3ELS4_3ELNS0_20block_scan_algorithmE0ELj4294967295EEENS1_25partition_config_selectorILNS1_17partition_subalgoE4EjNS0_10empty_typeEbEEZZNS1_14partition_implILS8_4ELb0ES6_15HIP_vector_typeIjLj2EENS0_17counting_iteratorIjlEEPS9_SG_NS0_5tupleIJPjSI_NS0_16reverse_iteratorISI_EEEEENSH_IJSG_SG_SG_EEES9_SI_JZNS1_25segmented_radix_sort_implINS0_14default_configELb1EPKaPaPKlPlN2at6native12_GLOBAL__N_18offset_tEEE10hipError_tPvRmT1_PNSt15iterator_traitsIS12_E10value_typeET2_T3_PNS13_IS18_E10value_typeET4_jRbjT5_S1E_jjP12ihipStream_tbEUljE_ZNSN_ISO_Lb1ESQ_SR_ST_SU_SY_EESZ_S10_S11_S12_S16_S17_S18_S1B_S1C_jS1D_jS1E_S1E_jjS1G_bEUljE0_EEESZ_S10_S11_S18_S1C_S1E_T6_T7_T9_mT8_S1G_bDpT10_ENKUlT_T0_E_clISt17integral_constantIbLb1EES1U_EEDaS1P_S1Q_EUlS1P_E_NS1_11comp_targetILNS1_3genE8ELNS1_11target_archE1030ELNS1_3gpuE2ELNS1_3repE0EEENS1_30default_config_static_selectorELNS0_4arch9wavefront6targetE0EEEvS12_.has_recursion, 0
	.set _ZN7rocprim17ROCPRIM_400000_NS6detail17trampoline_kernelINS0_13select_configILj256ELj13ELNS0_17block_load_methodE3ELS4_3ELS4_3ELNS0_20block_scan_algorithmE0ELj4294967295EEENS1_25partition_config_selectorILNS1_17partition_subalgoE4EjNS0_10empty_typeEbEEZZNS1_14partition_implILS8_4ELb0ES6_15HIP_vector_typeIjLj2EENS0_17counting_iteratorIjlEEPS9_SG_NS0_5tupleIJPjSI_NS0_16reverse_iteratorISI_EEEEENSH_IJSG_SG_SG_EEES9_SI_JZNS1_25segmented_radix_sort_implINS0_14default_configELb1EPKaPaPKlPlN2at6native12_GLOBAL__N_18offset_tEEE10hipError_tPvRmT1_PNSt15iterator_traitsIS12_E10value_typeET2_T3_PNS13_IS18_E10value_typeET4_jRbjT5_S1E_jjP12ihipStream_tbEUljE_ZNSN_ISO_Lb1ESQ_SR_ST_SU_SY_EESZ_S10_S11_S12_S16_S17_S18_S1B_S1C_jS1D_jS1E_S1E_jjS1G_bEUljE0_EEESZ_S10_S11_S18_S1C_S1E_T6_T7_T9_mT8_S1G_bDpT10_ENKUlT_T0_E_clISt17integral_constantIbLb1EES1U_EEDaS1P_S1Q_EUlS1P_E_NS1_11comp_targetILNS1_3genE8ELNS1_11target_archE1030ELNS1_3gpuE2ELNS1_3repE0EEENS1_30default_config_static_selectorELNS0_4arch9wavefront6targetE0EEEvS12_.has_indirect_call, 0
	.section	.AMDGPU.csdata,"",@progbits
; Kernel info:
; codeLenInByte = 0
; TotalNumSgprs: 0
; NumVgprs: 0
; ScratchSize: 0
; MemoryBound: 0
; FloatMode: 240
; IeeeMode: 1
; LDSByteSize: 0 bytes/workgroup (compile time only)
; SGPRBlocks: 0
; VGPRBlocks: 0
; NumSGPRsForWavesPerEU: 1
; NumVGPRsForWavesPerEU: 1
; NamedBarCnt: 0
; Occupancy: 16
; WaveLimiterHint : 0
; COMPUTE_PGM_RSRC2:SCRATCH_EN: 0
; COMPUTE_PGM_RSRC2:USER_SGPR: 2
; COMPUTE_PGM_RSRC2:TRAP_HANDLER: 0
; COMPUTE_PGM_RSRC2:TGID_X_EN: 1
; COMPUTE_PGM_RSRC2:TGID_Y_EN: 0
; COMPUTE_PGM_RSRC2:TGID_Z_EN: 0
; COMPUTE_PGM_RSRC2:TIDIG_COMP_CNT: 0
	.section	.text._ZN7rocprim17ROCPRIM_400000_NS6detail17trampoline_kernelINS0_13select_configILj256ELj13ELNS0_17block_load_methodE3ELS4_3ELS4_3ELNS0_20block_scan_algorithmE0ELj4294967295EEENS1_25partition_config_selectorILNS1_17partition_subalgoE4EjNS0_10empty_typeEbEEZZNS1_14partition_implILS8_4ELb0ES6_15HIP_vector_typeIjLj2EENS0_17counting_iteratorIjlEEPS9_SG_NS0_5tupleIJPjSI_NS0_16reverse_iteratorISI_EEEEENSH_IJSG_SG_SG_EEES9_SI_JZNS1_25segmented_radix_sort_implINS0_14default_configELb1EPKaPaPKlPlN2at6native12_GLOBAL__N_18offset_tEEE10hipError_tPvRmT1_PNSt15iterator_traitsIS12_E10value_typeET2_T3_PNS13_IS18_E10value_typeET4_jRbjT5_S1E_jjP12ihipStream_tbEUljE_ZNSN_ISO_Lb1ESQ_SR_ST_SU_SY_EESZ_S10_S11_S12_S16_S17_S18_S1B_S1C_jS1D_jS1E_S1E_jjS1G_bEUljE0_EEESZ_S10_S11_S18_S1C_S1E_T6_T7_T9_mT8_S1G_bDpT10_ENKUlT_T0_E_clISt17integral_constantIbLb1EES1T_IbLb0EEEEDaS1P_S1Q_EUlS1P_E_NS1_11comp_targetILNS1_3genE0ELNS1_11target_archE4294967295ELNS1_3gpuE0ELNS1_3repE0EEENS1_30default_config_static_selectorELNS0_4arch9wavefront6targetE0EEEvS12_,"axG",@progbits,_ZN7rocprim17ROCPRIM_400000_NS6detail17trampoline_kernelINS0_13select_configILj256ELj13ELNS0_17block_load_methodE3ELS4_3ELS4_3ELNS0_20block_scan_algorithmE0ELj4294967295EEENS1_25partition_config_selectorILNS1_17partition_subalgoE4EjNS0_10empty_typeEbEEZZNS1_14partition_implILS8_4ELb0ES6_15HIP_vector_typeIjLj2EENS0_17counting_iteratorIjlEEPS9_SG_NS0_5tupleIJPjSI_NS0_16reverse_iteratorISI_EEEEENSH_IJSG_SG_SG_EEES9_SI_JZNS1_25segmented_radix_sort_implINS0_14default_configELb1EPKaPaPKlPlN2at6native12_GLOBAL__N_18offset_tEEE10hipError_tPvRmT1_PNSt15iterator_traitsIS12_E10value_typeET2_T3_PNS13_IS18_E10value_typeET4_jRbjT5_S1E_jjP12ihipStream_tbEUljE_ZNSN_ISO_Lb1ESQ_SR_ST_SU_SY_EESZ_S10_S11_S12_S16_S17_S18_S1B_S1C_jS1D_jS1E_S1E_jjS1G_bEUljE0_EEESZ_S10_S11_S18_S1C_S1E_T6_T7_T9_mT8_S1G_bDpT10_ENKUlT_T0_E_clISt17integral_constantIbLb1EES1T_IbLb0EEEEDaS1P_S1Q_EUlS1P_E_NS1_11comp_targetILNS1_3genE0ELNS1_11target_archE4294967295ELNS1_3gpuE0ELNS1_3repE0EEENS1_30default_config_static_selectorELNS0_4arch9wavefront6targetE0EEEvS12_,comdat
	.globl	_ZN7rocprim17ROCPRIM_400000_NS6detail17trampoline_kernelINS0_13select_configILj256ELj13ELNS0_17block_load_methodE3ELS4_3ELS4_3ELNS0_20block_scan_algorithmE0ELj4294967295EEENS1_25partition_config_selectorILNS1_17partition_subalgoE4EjNS0_10empty_typeEbEEZZNS1_14partition_implILS8_4ELb0ES6_15HIP_vector_typeIjLj2EENS0_17counting_iteratorIjlEEPS9_SG_NS0_5tupleIJPjSI_NS0_16reverse_iteratorISI_EEEEENSH_IJSG_SG_SG_EEES9_SI_JZNS1_25segmented_radix_sort_implINS0_14default_configELb1EPKaPaPKlPlN2at6native12_GLOBAL__N_18offset_tEEE10hipError_tPvRmT1_PNSt15iterator_traitsIS12_E10value_typeET2_T3_PNS13_IS18_E10value_typeET4_jRbjT5_S1E_jjP12ihipStream_tbEUljE_ZNSN_ISO_Lb1ESQ_SR_ST_SU_SY_EESZ_S10_S11_S12_S16_S17_S18_S1B_S1C_jS1D_jS1E_S1E_jjS1G_bEUljE0_EEESZ_S10_S11_S18_S1C_S1E_T6_T7_T9_mT8_S1G_bDpT10_ENKUlT_T0_E_clISt17integral_constantIbLb1EES1T_IbLb0EEEEDaS1P_S1Q_EUlS1P_E_NS1_11comp_targetILNS1_3genE0ELNS1_11target_archE4294967295ELNS1_3gpuE0ELNS1_3repE0EEENS1_30default_config_static_selectorELNS0_4arch9wavefront6targetE0EEEvS12_ ; -- Begin function _ZN7rocprim17ROCPRIM_400000_NS6detail17trampoline_kernelINS0_13select_configILj256ELj13ELNS0_17block_load_methodE3ELS4_3ELS4_3ELNS0_20block_scan_algorithmE0ELj4294967295EEENS1_25partition_config_selectorILNS1_17partition_subalgoE4EjNS0_10empty_typeEbEEZZNS1_14partition_implILS8_4ELb0ES6_15HIP_vector_typeIjLj2EENS0_17counting_iteratorIjlEEPS9_SG_NS0_5tupleIJPjSI_NS0_16reverse_iteratorISI_EEEEENSH_IJSG_SG_SG_EEES9_SI_JZNS1_25segmented_radix_sort_implINS0_14default_configELb1EPKaPaPKlPlN2at6native12_GLOBAL__N_18offset_tEEE10hipError_tPvRmT1_PNSt15iterator_traitsIS12_E10value_typeET2_T3_PNS13_IS18_E10value_typeET4_jRbjT5_S1E_jjP12ihipStream_tbEUljE_ZNSN_ISO_Lb1ESQ_SR_ST_SU_SY_EESZ_S10_S11_S12_S16_S17_S18_S1B_S1C_jS1D_jS1E_S1E_jjS1G_bEUljE0_EEESZ_S10_S11_S18_S1C_S1E_T6_T7_T9_mT8_S1G_bDpT10_ENKUlT_T0_E_clISt17integral_constantIbLb1EES1T_IbLb0EEEEDaS1P_S1Q_EUlS1P_E_NS1_11comp_targetILNS1_3genE0ELNS1_11target_archE4294967295ELNS1_3gpuE0ELNS1_3repE0EEENS1_30default_config_static_selectorELNS0_4arch9wavefront6targetE0EEEvS12_
	.p2align	8
	.type	_ZN7rocprim17ROCPRIM_400000_NS6detail17trampoline_kernelINS0_13select_configILj256ELj13ELNS0_17block_load_methodE3ELS4_3ELS4_3ELNS0_20block_scan_algorithmE0ELj4294967295EEENS1_25partition_config_selectorILNS1_17partition_subalgoE4EjNS0_10empty_typeEbEEZZNS1_14partition_implILS8_4ELb0ES6_15HIP_vector_typeIjLj2EENS0_17counting_iteratorIjlEEPS9_SG_NS0_5tupleIJPjSI_NS0_16reverse_iteratorISI_EEEEENSH_IJSG_SG_SG_EEES9_SI_JZNS1_25segmented_radix_sort_implINS0_14default_configELb1EPKaPaPKlPlN2at6native12_GLOBAL__N_18offset_tEEE10hipError_tPvRmT1_PNSt15iterator_traitsIS12_E10value_typeET2_T3_PNS13_IS18_E10value_typeET4_jRbjT5_S1E_jjP12ihipStream_tbEUljE_ZNSN_ISO_Lb1ESQ_SR_ST_SU_SY_EESZ_S10_S11_S12_S16_S17_S18_S1B_S1C_jS1D_jS1E_S1E_jjS1G_bEUljE0_EEESZ_S10_S11_S18_S1C_S1E_T6_T7_T9_mT8_S1G_bDpT10_ENKUlT_T0_E_clISt17integral_constantIbLb1EES1T_IbLb0EEEEDaS1P_S1Q_EUlS1P_E_NS1_11comp_targetILNS1_3genE0ELNS1_11target_archE4294967295ELNS1_3gpuE0ELNS1_3repE0EEENS1_30default_config_static_selectorELNS0_4arch9wavefront6targetE0EEEvS12_,@function
_ZN7rocprim17ROCPRIM_400000_NS6detail17trampoline_kernelINS0_13select_configILj256ELj13ELNS0_17block_load_methodE3ELS4_3ELS4_3ELNS0_20block_scan_algorithmE0ELj4294967295EEENS1_25partition_config_selectorILNS1_17partition_subalgoE4EjNS0_10empty_typeEbEEZZNS1_14partition_implILS8_4ELb0ES6_15HIP_vector_typeIjLj2EENS0_17counting_iteratorIjlEEPS9_SG_NS0_5tupleIJPjSI_NS0_16reverse_iteratorISI_EEEEENSH_IJSG_SG_SG_EEES9_SI_JZNS1_25segmented_radix_sort_implINS0_14default_configELb1EPKaPaPKlPlN2at6native12_GLOBAL__N_18offset_tEEE10hipError_tPvRmT1_PNSt15iterator_traitsIS12_E10value_typeET2_T3_PNS13_IS18_E10value_typeET4_jRbjT5_S1E_jjP12ihipStream_tbEUljE_ZNSN_ISO_Lb1ESQ_SR_ST_SU_SY_EESZ_S10_S11_S12_S16_S17_S18_S1B_S1C_jS1D_jS1E_S1E_jjS1G_bEUljE0_EEESZ_S10_S11_S18_S1C_S1E_T6_T7_T9_mT8_S1G_bDpT10_ENKUlT_T0_E_clISt17integral_constantIbLb1EES1T_IbLb0EEEEDaS1P_S1Q_EUlS1P_E_NS1_11comp_targetILNS1_3genE0ELNS1_11target_archE4294967295ELNS1_3gpuE0ELNS1_3repE0EEENS1_30default_config_static_selectorELNS0_4arch9wavefront6targetE0EEEvS12_: ; @_ZN7rocprim17ROCPRIM_400000_NS6detail17trampoline_kernelINS0_13select_configILj256ELj13ELNS0_17block_load_methodE3ELS4_3ELS4_3ELNS0_20block_scan_algorithmE0ELj4294967295EEENS1_25partition_config_selectorILNS1_17partition_subalgoE4EjNS0_10empty_typeEbEEZZNS1_14partition_implILS8_4ELb0ES6_15HIP_vector_typeIjLj2EENS0_17counting_iteratorIjlEEPS9_SG_NS0_5tupleIJPjSI_NS0_16reverse_iteratorISI_EEEEENSH_IJSG_SG_SG_EEES9_SI_JZNS1_25segmented_radix_sort_implINS0_14default_configELb1EPKaPaPKlPlN2at6native12_GLOBAL__N_18offset_tEEE10hipError_tPvRmT1_PNSt15iterator_traitsIS12_E10value_typeET2_T3_PNS13_IS18_E10value_typeET4_jRbjT5_S1E_jjP12ihipStream_tbEUljE_ZNSN_ISO_Lb1ESQ_SR_ST_SU_SY_EESZ_S10_S11_S12_S16_S17_S18_S1B_S1C_jS1D_jS1E_S1E_jjS1G_bEUljE0_EEESZ_S10_S11_S18_S1C_S1E_T6_T7_T9_mT8_S1G_bDpT10_ENKUlT_T0_E_clISt17integral_constantIbLb1EES1T_IbLb0EEEEDaS1P_S1Q_EUlS1P_E_NS1_11comp_targetILNS1_3genE0ELNS1_11target_archE4294967295ELNS1_3gpuE0ELNS1_3repE0EEENS1_30default_config_static_selectorELNS0_4arch9wavefront6targetE0EEEvS12_
; %bb.0:
	s_endpgm
	.section	.rodata,"a",@progbits
	.p2align	6, 0x0
	.amdhsa_kernel _ZN7rocprim17ROCPRIM_400000_NS6detail17trampoline_kernelINS0_13select_configILj256ELj13ELNS0_17block_load_methodE3ELS4_3ELS4_3ELNS0_20block_scan_algorithmE0ELj4294967295EEENS1_25partition_config_selectorILNS1_17partition_subalgoE4EjNS0_10empty_typeEbEEZZNS1_14partition_implILS8_4ELb0ES6_15HIP_vector_typeIjLj2EENS0_17counting_iteratorIjlEEPS9_SG_NS0_5tupleIJPjSI_NS0_16reverse_iteratorISI_EEEEENSH_IJSG_SG_SG_EEES9_SI_JZNS1_25segmented_radix_sort_implINS0_14default_configELb1EPKaPaPKlPlN2at6native12_GLOBAL__N_18offset_tEEE10hipError_tPvRmT1_PNSt15iterator_traitsIS12_E10value_typeET2_T3_PNS13_IS18_E10value_typeET4_jRbjT5_S1E_jjP12ihipStream_tbEUljE_ZNSN_ISO_Lb1ESQ_SR_ST_SU_SY_EESZ_S10_S11_S12_S16_S17_S18_S1B_S1C_jS1D_jS1E_S1E_jjS1G_bEUljE0_EEESZ_S10_S11_S18_S1C_S1E_T6_T7_T9_mT8_S1G_bDpT10_ENKUlT_T0_E_clISt17integral_constantIbLb1EES1T_IbLb0EEEEDaS1P_S1Q_EUlS1P_E_NS1_11comp_targetILNS1_3genE0ELNS1_11target_archE4294967295ELNS1_3gpuE0ELNS1_3repE0EEENS1_30default_config_static_selectorELNS0_4arch9wavefront6targetE0EEEvS12_
		.amdhsa_group_segment_fixed_size 0
		.amdhsa_private_segment_fixed_size 0
		.amdhsa_kernarg_size 176
		.amdhsa_user_sgpr_count 2
		.amdhsa_user_sgpr_dispatch_ptr 0
		.amdhsa_user_sgpr_queue_ptr 0
		.amdhsa_user_sgpr_kernarg_segment_ptr 1
		.amdhsa_user_sgpr_dispatch_id 0
		.amdhsa_user_sgpr_kernarg_preload_length 0
		.amdhsa_user_sgpr_kernarg_preload_offset 0
		.amdhsa_user_sgpr_private_segment_size 0
		.amdhsa_wavefront_size32 1
		.amdhsa_uses_dynamic_stack 0
		.amdhsa_enable_private_segment 0
		.amdhsa_system_sgpr_workgroup_id_x 1
		.amdhsa_system_sgpr_workgroup_id_y 0
		.amdhsa_system_sgpr_workgroup_id_z 0
		.amdhsa_system_sgpr_workgroup_info 0
		.amdhsa_system_vgpr_workitem_id 0
		.amdhsa_next_free_vgpr 1
		.amdhsa_next_free_sgpr 1
		.amdhsa_named_barrier_count 0
		.amdhsa_reserve_vcc 0
		.amdhsa_float_round_mode_32 0
		.amdhsa_float_round_mode_16_64 0
		.amdhsa_float_denorm_mode_32 3
		.amdhsa_float_denorm_mode_16_64 3
		.amdhsa_fp16_overflow 0
		.amdhsa_memory_ordered 1
		.amdhsa_forward_progress 1
		.amdhsa_inst_pref_size 1
		.amdhsa_round_robin_scheduling 0
		.amdhsa_exception_fp_ieee_invalid_op 0
		.amdhsa_exception_fp_denorm_src 0
		.amdhsa_exception_fp_ieee_div_zero 0
		.amdhsa_exception_fp_ieee_overflow 0
		.amdhsa_exception_fp_ieee_underflow 0
		.amdhsa_exception_fp_ieee_inexact 0
		.amdhsa_exception_int_div_zero 0
	.end_amdhsa_kernel
	.section	.text._ZN7rocprim17ROCPRIM_400000_NS6detail17trampoline_kernelINS0_13select_configILj256ELj13ELNS0_17block_load_methodE3ELS4_3ELS4_3ELNS0_20block_scan_algorithmE0ELj4294967295EEENS1_25partition_config_selectorILNS1_17partition_subalgoE4EjNS0_10empty_typeEbEEZZNS1_14partition_implILS8_4ELb0ES6_15HIP_vector_typeIjLj2EENS0_17counting_iteratorIjlEEPS9_SG_NS0_5tupleIJPjSI_NS0_16reverse_iteratorISI_EEEEENSH_IJSG_SG_SG_EEES9_SI_JZNS1_25segmented_radix_sort_implINS0_14default_configELb1EPKaPaPKlPlN2at6native12_GLOBAL__N_18offset_tEEE10hipError_tPvRmT1_PNSt15iterator_traitsIS12_E10value_typeET2_T3_PNS13_IS18_E10value_typeET4_jRbjT5_S1E_jjP12ihipStream_tbEUljE_ZNSN_ISO_Lb1ESQ_SR_ST_SU_SY_EESZ_S10_S11_S12_S16_S17_S18_S1B_S1C_jS1D_jS1E_S1E_jjS1G_bEUljE0_EEESZ_S10_S11_S18_S1C_S1E_T6_T7_T9_mT8_S1G_bDpT10_ENKUlT_T0_E_clISt17integral_constantIbLb1EES1T_IbLb0EEEEDaS1P_S1Q_EUlS1P_E_NS1_11comp_targetILNS1_3genE0ELNS1_11target_archE4294967295ELNS1_3gpuE0ELNS1_3repE0EEENS1_30default_config_static_selectorELNS0_4arch9wavefront6targetE0EEEvS12_,"axG",@progbits,_ZN7rocprim17ROCPRIM_400000_NS6detail17trampoline_kernelINS0_13select_configILj256ELj13ELNS0_17block_load_methodE3ELS4_3ELS4_3ELNS0_20block_scan_algorithmE0ELj4294967295EEENS1_25partition_config_selectorILNS1_17partition_subalgoE4EjNS0_10empty_typeEbEEZZNS1_14partition_implILS8_4ELb0ES6_15HIP_vector_typeIjLj2EENS0_17counting_iteratorIjlEEPS9_SG_NS0_5tupleIJPjSI_NS0_16reverse_iteratorISI_EEEEENSH_IJSG_SG_SG_EEES9_SI_JZNS1_25segmented_radix_sort_implINS0_14default_configELb1EPKaPaPKlPlN2at6native12_GLOBAL__N_18offset_tEEE10hipError_tPvRmT1_PNSt15iterator_traitsIS12_E10value_typeET2_T3_PNS13_IS18_E10value_typeET4_jRbjT5_S1E_jjP12ihipStream_tbEUljE_ZNSN_ISO_Lb1ESQ_SR_ST_SU_SY_EESZ_S10_S11_S12_S16_S17_S18_S1B_S1C_jS1D_jS1E_S1E_jjS1G_bEUljE0_EEESZ_S10_S11_S18_S1C_S1E_T6_T7_T9_mT8_S1G_bDpT10_ENKUlT_T0_E_clISt17integral_constantIbLb1EES1T_IbLb0EEEEDaS1P_S1Q_EUlS1P_E_NS1_11comp_targetILNS1_3genE0ELNS1_11target_archE4294967295ELNS1_3gpuE0ELNS1_3repE0EEENS1_30default_config_static_selectorELNS0_4arch9wavefront6targetE0EEEvS12_,comdat
.Lfunc_end240:
	.size	_ZN7rocprim17ROCPRIM_400000_NS6detail17trampoline_kernelINS0_13select_configILj256ELj13ELNS0_17block_load_methodE3ELS4_3ELS4_3ELNS0_20block_scan_algorithmE0ELj4294967295EEENS1_25partition_config_selectorILNS1_17partition_subalgoE4EjNS0_10empty_typeEbEEZZNS1_14partition_implILS8_4ELb0ES6_15HIP_vector_typeIjLj2EENS0_17counting_iteratorIjlEEPS9_SG_NS0_5tupleIJPjSI_NS0_16reverse_iteratorISI_EEEEENSH_IJSG_SG_SG_EEES9_SI_JZNS1_25segmented_radix_sort_implINS0_14default_configELb1EPKaPaPKlPlN2at6native12_GLOBAL__N_18offset_tEEE10hipError_tPvRmT1_PNSt15iterator_traitsIS12_E10value_typeET2_T3_PNS13_IS18_E10value_typeET4_jRbjT5_S1E_jjP12ihipStream_tbEUljE_ZNSN_ISO_Lb1ESQ_SR_ST_SU_SY_EESZ_S10_S11_S12_S16_S17_S18_S1B_S1C_jS1D_jS1E_S1E_jjS1G_bEUljE0_EEESZ_S10_S11_S18_S1C_S1E_T6_T7_T9_mT8_S1G_bDpT10_ENKUlT_T0_E_clISt17integral_constantIbLb1EES1T_IbLb0EEEEDaS1P_S1Q_EUlS1P_E_NS1_11comp_targetILNS1_3genE0ELNS1_11target_archE4294967295ELNS1_3gpuE0ELNS1_3repE0EEENS1_30default_config_static_selectorELNS0_4arch9wavefront6targetE0EEEvS12_, .Lfunc_end240-_ZN7rocprim17ROCPRIM_400000_NS6detail17trampoline_kernelINS0_13select_configILj256ELj13ELNS0_17block_load_methodE3ELS4_3ELS4_3ELNS0_20block_scan_algorithmE0ELj4294967295EEENS1_25partition_config_selectorILNS1_17partition_subalgoE4EjNS0_10empty_typeEbEEZZNS1_14partition_implILS8_4ELb0ES6_15HIP_vector_typeIjLj2EENS0_17counting_iteratorIjlEEPS9_SG_NS0_5tupleIJPjSI_NS0_16reverse_iteratorISI_EEEEENSH_IJSG_SG_SG_EEES9_SI_JZNS1_25segmented_radix_sort_implINS0_14default_configELb1EPKaPaPKlPlN2at6native12_GLOBAL__N_18offset_tEEE10hipError_tPvRmT1_PNSt15iterator_traitsIS12_E10value_typeET2_T3_PNS13_IS18_E10value_typeET4_jRbjT5_S1E_jjP12ihipStream_tbEUljE_ZNSN_ISO_Lb1ESQ_SR_ST_SU_SY_EESZ_S10_S11_S12_S16_S17_S18_S1B_S1C_jS1D_jS1E_S1E_jjS1G_bEUljE0_EEESZ_S10_S11_S18_S1C_S1E_T6_T7_T9_mT8_S1G_bDpT10_ENKUlT_T0_E_clISt17integral_constantIbLb1EES1T_IbLb0EEEEDaS1P_S1Q_EUlS1P_E_NS1_11comp_targetILNS1_3genE0ELNS1_11target_archE4294967295ELNS1_3gpuE0ELNS1_3repE0EEENS1_30default_config_static_selectorELNS0_4arch9wavefront6targetE0EEEvS12_
                                        ; -- End function
	.set _ZN7rocprim17ROCPRIM_400000_NS6detail17trampoline_kernelINS0_13select_configILj256ELj13ELNS0_17block_load_methodE3ELS4_3ELS4_3ELNS0_20block_scan_algorithmE0ELj4294967295EEENS1_25partition_config_selectorILNS1_17partition_subalgoE4EjNS0_10empty_typeEbEEZZNS1_14partition_implILS8_4ELb0ES6_15HIP_vector_typeIjLj2EENS0_17counting_iteratorIjlEEPS9_SG_NS0_5tupleIJPjSI_NS0_16reverse_iteratorISI_EEEEENSH_IJSG_SG_SG_EEES9_SI_JZNS1_25segmented_radix_sort_implINS0_14default_configELb1EPKaPaPKlPlN2at6native12_GLOBAL__N_18offset_tEEE10hipError_tPvRmT1_PNSt15iterator_traitsIS12_E10value_typeET2_T3_PNS13_IS18_E10value_typeET4_jRbjT5_S1E_jjP12ihipStream_tbEUljE_ZNSN_ISO_Lb1ESQ_SR_ST_SU_SY_EESZ_S10_S11_S12_S16_S17_S18_S1B_S1C_jS1D_jS1E_S1E_jjS1G_bEUljE0_EEESZ_S10_S11_S18_S1C_S1E_T6_T7_T9_mT8_S1G_bDpT10_ENKUlT_T0_E_clISt17integral_constantIbLb1EES1T_IbLb0EEEEDaS1P_S1Q_EUlS1P_E_NS1_11comp_targetILNS1_3genE0ELNS1_11target_archE4294967295ELNS1_3gpuE0ELNS1_3repE0EEENS1_30default_config_static_selectorELNS0_4arch9wavefront6targetE0EEEvS12_.num_vgpr, 0
	.set _ZN7rocprim17ROCPRIM_400000_NS6detail17trampoline_kernelINS0_13select_configILj256ELj13ELNS0_17block_load_methodE3ELS4_3ELS4_3ELNS0_20block_scan_algorithmE0ELj4294967295EEENS1_25partition_config_selectorILNS1_17partition_subalgoE4EjNS0_10empty_typeEbEEZZNS1_14partition_implILS8_4ELb0ES6_15HIP_vector_typeIjLj2EENS0_17counting_iteratorIjlEEPS9_SG_NS0_5tupleIJPjSI_NS0_16reverse_iteratorISI_EEEEENSH_IJSG_SG_SG_EEES9_SI_JZNS1_25segmented_radix_sort_implINS0_14default_configELb1EPKaPaPKlPlN2at6native12_GLOBAL__N_18offset_tEEE10hipError_tPvRmT1_PNSt15iterator_traitsIS12_E10value_typeET2_T3_PNS13_IS18_E10value_typeET4_jRbjT5_S1E_jjP12ihipStream_tbEUljE_ZNSN_ISO_Lb1ESQ_SR_ST_SU_SY_EESZ_S10_S11_S12_S16_S17_S18_S1B_S1C_jS1D_jS1E_S1E_jjS1G_bEUljE0_EEESZ_S10_S11_S18_S1C_S1E_T6_T7_T9_mT8_S1G_bDpT10_ENKUlT_T0_E_clISt17integral_constantIbLb1EES1T_IbLb0EEEEDaS1P_S1Q_EUlS1P_E_NS1_11comp_targetILNS1_3genE0ELNS1_11target_archE4294967295ELNS1_3gpuE0ELNS1_3repE0EEENS1_30default_config_static_selectorELNS0_4arch9wavefront6targetE0EEEvS12_.num_agpr, 0
	.set _ZN7rocprim17ROCPRIM_400000_NS6detail17trampoline_kernelINS0_13select_configILj256ELj13ELNS0_17block_load_methodE3ELS4_3ELS4_3ELNS0_20block_scan_algorithmE0ELj4294967295EEENS1_25partition_config_selectorILNS1_17partition_subalgoE4EjNS0_10empty_typeEbEEZZNS1_14partition_implILS8_4ELb0ES6_15HIP_vector_typeIjLj2EENS0_17counting_iteratorIjlEEPS9_SG_NS0_5tupleIJPjSI_NS0_16reverse_iteratorISI_EEEEENSH_IJSG_SG_SG_EEES9_SI_JZNS1_25segmented_radix_sort_implINS0_14default_configELb1EPKaPaPKlPlN2at6native12_GLOBAL__N_18offset_tEEE10hipError_tPvRmT1_PNSt15iterator_traitsIS12_E10value_typeET2_T3_PNS13_IS18_E10value_typeET4_jRbjT5_S1E_jjP12ihipStream_tbEUljE_ZNSN_ISO_Lb1ESQ_SR_ST_SU_SY_EESZ_S10_S11_S12_S16_S17_S18_S1B_S1C_jS1D_jS1E_S1E_jjS1G_bEUljE0_EEESZ_S10_S11_S18_S1C_S1E_T6_T7_T9_mT8_S1G_bDpT10_ENKUlT_T0_E_clISt17integral_constantIbLb1EES1T_IbLb0EEEEDaS1P_S1Q_EUlS1P_E_NS1_11comp_targetILNS1_3genE0ELNS1_11target_archE4294967295ELNS1_3gpuE0ELNS1_3repE0EEENS1_30default_config_static_selectorELNS0_4arch9wavefront6targetE0EEEvS12_.numbered_sgpr, 0
	.set _ZN7rocprim17ROCPRIM_400000_NS6detail17trampoline_kernelINS0_13select_configILj256ELj13ELNS0_17block_load_methodE3ELS4_3ELS4_3ELNS0_20block_scan_algorithmE0ELj4294967295EEENS1_25partition_config_selectorILNS1_17partition_subalgoE4EjNS0_10empty_typeEbEEZZNS1_14partition_implILS8_4ELb0ES6_15HIP_vector_typeIjLj2EENS0_17counting_iteratorIjlEEPS9_SG_NS0_5tupleIJPjSI_NS0_16reverse_iteratorISI_EEEEENSH_IJSG_SG_SG_EEES9_SI_JZNS1_25segmented_radix_sort_implINS0_14default_configELb1EPKaPaPKlPlN2at6native12_GLOBAL__N_18offset_tEEE10hipError_tPvRmT1_PNSt15iterator_traitsIS12_E10value_typeET2_T3_PNS13_IS18_E10value_typeET4_jRbjT5_S1E_jjP12ihipStream_tbEUljE_ZNSN_ISO_Lb1ESQ_SR_ST_SU_SY_EESZ_S10_S11_S12_S16_S17_S18_S1B_S1C_jS1D_jS1E_S1E_jjS1G_bEUljE0_EEESZ_S10_S11_S18_S1C_S1E_T6_T7_T9_mT8_S1G_bDpT10_ENKUlT_T0_E_clISt17integral_constantIbLb1EES1T_IbLb0EEEEDaS1P_S1Q_EUlS1P_E_NS1_11comp_targetILNS1_3genE0ELNS1_11target_archE4294967295ELNS1_3gpuE0ELNS1_3repE0EEENS1_30default_config_static_selectorELNS0_4arch9wavefront6targetE0EEEvS12_.num_named_barrier, 0
	.set _ZN7rocprim17ROCPRIM_400000_NS6detail17trampoline_kernelINS0_13select_configILj256ELj13ELNS0_17block_load_methodE3ELS4_3ELS4_3ELNS0_20block_scan_algorithmE0ELj4294967295EEENS1_25partition_config_selectorILNS1_17partition_subalgoE4EjNS0_10empty_typeEbEEZZNS1_14partition_implILS8_4ELb0ES6_15HIP_vector_typeIjLj2EENS0_17counting_iteratorIjlEEPS9_SG_NS0_5tupleIJPjSI_NS0_16reverse_iteratorISI_EEEEENSH_IJSG_SG_SG_EEES9_SI_JZNS1_25segmented_radix_sort_implINS0_14default_configELb1EPKaPaPKlPlN2at6native12_GLOBAL__N_18offset_tEEE10hipError_tPvRmT1_PNSt15iterator_traitsIS12_E10value_typeET2_T3_PNS13_IS18_E10value_typeET4_jRbjT5_S1E_jjP12ihipStream_tbEUljE_ZNSN_ISO_Lb1ESQ_SR_ST_SU_SY_EESZ_S10_S11_S12_S16_S17_S18_S1B_S1C_jS1D_jS1E_S1E_jjS1G_bEUljE0_EEESZ_S10_S11_S18_S1C_S1E_T6_T7_T9_mT8_S1G_bDpT10_ENKUlT_T0_E_clISt17integral_constantIbLb1EES1T_IbLb0EEEEDaS1P_S1Q_EUlS1P_E_NS1_11comp_targetILNS1_3genE0ELNS1_11target_archE4294967295ELNS1_3gpuE0ELNS1_3repE0EEENS1_30default_config_static_selectorELNS0_4arch9wavefront6targetE0EEEvS12_.private_seg_size, 0
	.set _ZN7rocprim17ROCPRIM_400000_NS6detail17trampoline_kernelINS0_13select_configILj256ELj13ELNS0_17block_load_methodE3ELS4_3ELS4_3ELNS0_20block_scan_algorithmE0ELj4294967295EEENS1_25partition_config_selectorILNS1_17partition_subalgoE4EjNS0_10empty_typeEbEEZZNS1_14partition_implILS8_4ELb0ES6_15HIP_vector_typeIjLj2EENS0_17counting_iteratorIjlEEPS9_SG_NS0_5tupleIJPjSI_NS0_16reverse_iteratorISI_EEEEENSH_IJSG_SG_SG_EEES9_SI_JZNS1_25segmented_radix_sort_implINS0_14default_configELb1EPKaPaPKlPlN2at6native12_GLOBAL__N_18offset_tEEE10hipError_tPvRmT1_PNSt15iterator_traitsIS12_E10value_typeET2_T3_PNS13_IS18_E10value_typeET4_jRbjT5_S1E_jjP12ihipStream_tbEUljE_ZNSN_ISO_Lb1ESQ_SR_ST_SU_SY_EESZ_S10_S11_S12_S16_S17_S18_S1B_S1C_jS1D_jS1E_S1E_jjS1G_bEUljE0_EEESZ_S10_S11_S18_S1C_S1E_T6_T7_T9_mT8_S1G_bDpT10_ENKUlT_T0_E_clISt17integral_constantIbLb1EES1T_IbLb0EEEEDaS1P_S1Q_EUlS1P_E_NS1_11comp_targetILNS1_3genE0ELNS1_11target_archE4294967295ELNS1_3gpuE0ELNS1_3repE0EEENS1_30default_config_static_selectorELNS0_4arch9wavefront6targetE0EEEvS12_.uses_vcc, 0
	.set _ZN7rocprim17ROCPRIM_400000_NS6detail17trampoline_kernelINS0_13select_configILj256ELj13ELNS0_17block_load_methodE3ELS4_3ELS4_3ELNS0_20block_scan_algorithmE0ELj4294967295EEENS1_25partition_config_selectorILNS1_17partition_subalgoE4EjNS0_10empty_typeEbEEZZNS1_14partition_implILS8_4ELb0ES6_15HIP_vector_typeIjLj2EENS0_17counting_iteratorIjlEEPS9_SG_NS0_5tupleIJPjSI_NS0_16reverse_iteratorISI_EEEEENSH_IJSG_SG_SG_EEES9_SI_JZNS1_25segmented_radix_sort_implINS0_14default_configELb1EPKaPaPKlPlN2at6native12_GLOBAL__N_18offset_tEEE10hipError_tPvRmT1_PNSt15iterator_traitsIS12_E10value_typeET2_T3_PNS13_IS18_E10value_typeET4_jRbjT5_S1E_jjP12ihipStream_tbEUljE_ZNSN_ISO_Lb1ESQ_SR_ST_SU_SY_EESZ_S10_S11_S12_S16_S17_S18_S1B_S1C_jS1D_jS1E_S1E_jjS1G_bEUljE0_EEESZ_S10_S11_S18_S1C_S1E_T6_T7_T9_mT8_S1G_bDpT10_ENKUlT_T0_E_clISt17integral_constantIbLb1EES1T_IbLb0EEEEDaS1P_S1Q_EUlS1P_E_NS1_11comp_targetILNS1_3genE0ELNS1_11target_archE4294967295ELNS1_3gpuE0ELNS1_3repE0EEENS1_30default_config_static_selectorELNS0_4arch9wavefront6targetE0EEEvS12_.uses_flat_scratch, 0
	.set _ZN7rocprim17ROCPRIM_400000_NS6detail17trampoline_kernelINS0_13select_configILj256ELj13ELNS0_17block_load_methodE3ELS4_3ELS4_3ELNS0_20block_scan_algorithmE0ELj4294967295EEENS1_25partition_config_selectorILNS1_17partition_subalgoE4EjNS0_10empty_typeEbEEZZNS1_14partition_implILS8_4ELb0ES6_15HIP_vector_typeIjLj2EENS0_17counting_iteratorIjlEEPS9_SG_NS0_5tupleIJPjSI_NS0_16reverse_iteratorISI_EEEEENSH_IJSG_SG_SG_EEES9_SI_JZNS1_25segmented_radix_sort_implINS0_14default_configELb1EPKaPaPKlPlN2at6native12_GLOBAL__N_18offset_tEEE10hipError_tPvRmT1_PNSt15iterator_traitsIS12_E10value_typeET2_T3_PNS13_IS18_E10value_typeET4_jRbjT5_S1E_jjP12ihipStream_tbEUljE_ZNSN_ISO_Lb1ESQ_SR_ST_SU_SY_EESZ_S10_S11_S12_S16_S17_S18_S1B_S1C_jS1D_jS1E_S1E_jjS1G_bEUljE0_EEESZ_S10_S11_S18_S1C_S1E_T6_T7_T9_mT8_S1G_bDpT10_ENKUlT_T0_E_clISt17integral_constantIbLb1EES1T_IbLb0EEEEDaS1P_S1Q_EUlS1P_E_NS1_11comp_targetILNS1_3genE0ELNS1_11target_archE4294967295ELNS1_3gpuE0ELNS1_3repE0EEENS1_30default_config_static_selectorELNS0_4arch9wavefront6targetE0EEEvS12_.has_dyn_sized_stack, 0
	.set _ZN7rocprim17ROCPRIM_400000_NS6detail17trampoline_kernelINS0_13select_configILj256ELj13ELNS0_17block_load_methodE3ELS4_3ELS4_3ELNS0_20block_scan_algorithmE0ELj4294967295EEENS1_25partition_config_selectorILNS1_17partition_subalgoE4EjNS0_10empty_typeEbEEZZNS1_14partition_implILS8_4ELb0ES6_15HIP_vector_typeIjLj2EENS0_17counting_iteratorIjlEEPS9_SG_NS0_5tupleIJPjSI_NS0_16reverse_iteratorISI_EEEEENSH_IJSG_SG_SG_EEES9_SI_JZNS1_25segmented_radix_sort_implINS0_14default_configELb1EPKaPaPKlPlN2at6native12_GLOBAL__N_18offset_tEEE10hipError_tPvRmT1_PNSt15iterator_traitsIS12_E10value_typeET2_T3_PNS13_IS18_E10value_typeET4_jRbjT5_S1E_jjP12ihipStream_tbEUljE_ZNSN_ISO_Lb1ESQ_SR_ST_SU_SY_EESZ_S10_S11_S12_S16_S17_S18_S1B_S1C_jS1D_jS1E_S1E_jjS1G_bEUljE0_EEESZ_S10_S11_S18_S1C_S1E_T6_T7_T9_mT8_S1G_bDpT10_ENKUlT_T0_E_clISt17integral_constantIbLb1EES1T_IbLb0EEEEDaS1P_S1Q_EUlS1P_E_NS1_11comp_targetILNS1_3genE0ELNS1_11target_archE4294967295ELNS1_3gpuE0ELNS1_3repE0EEENS1_30default_config_static_selectorELNS0_4arch9wavefront6targetE0EEEvS12_.has_recursion, 0
	.set _ZN7rocprim17ROCPRIM_400000_NS6detail17trampoline_kernelINS0_13select_configILj256ELj13ELNS0_17block_load_methodE3ELS4_3ELS4_3ELNS0_20block_scan_algorithmE0ELj4294967295EEENS1_25partition_config_selectorILNS1_17partition_subalgoE4EjNS0_10empty_typeEbEEZZNS1_14partition_implILS8_4ELb0ES6_15HIP_vector_typeIjLj2EENS0_17counting_iteratorIjlEEPS9_SG_NS0_5tupleIJPjSI_NS0_16reverse_iteratorISI_EEEEENSH_IJSG_SG_SG_EEES9_SI_JZNS1_25segmented_radix_sort_implINS0_14default_configELb1EPKaPaPKlPlN2at6native12_GLOBAL__N_18offset_tEEE10hipError_tPvRmT1_PNSt15iterator_traitsIS12_E10value_typeET2_T3_PNS13_IS18_E10value_typeET4_jRbjT5_S1E_jjP12ihipStream_tbEUljE_ZNSN_ISO_Lb1ESQ_SR_ST_SU_SY_EESZ_S10_S11_S12_S16_S17_S18_S1B_S1C_jS1D_jS1E_S1E_jjS1G_bEUljE0_EEESZ_S10_S11_S18_S1C_S1E_T6_T7_T9_mT8_S1G_bDpT10_ENKUlT_T0_E_clISt17integral_constantIbLb1EES1T_IbLb0EEEEDaS1P_S1Q_EUlS1P_E_NS1_11comp_targetILNS1_3genE0ELNS1_11target_archE4294967295ELNS1_3gpuE0ELNS1_3repE0EEENS1_30default_config_static_selectorELNS0_4arch9wavefront6targetE0EEEvS12_.has_indirect_call, 0
	.section	.AMDGPU.csdata,"",@progbits
; Kernel info:
; codeLenInByte = 4
; TotalNumSgprs: 0
; NumVgprs: 0
; ScratchSize: 0
; MemoryBound: 0
; FloatMode: 240
; IeeeMode: 1
; LDSByteSize: 0 bytes/workgroup (compile time only)
; SGPRBlocks: 0
; VGPRBlocks: 0
; NumSGPRsForWavesPerEU: 1
; NumVGPRsForWavesPerEU: 1
; NamedBarCnt: 0
; Occupancy: 16
; WaveLimiterHint : 0
; COMPUTE_PGM_RSRC2:SCRATCH_EN: 0
; COMPUTE_PGM_RSRC2:USER_SGPR: 2
; COMPUTE_PGM_RSRC2:TRAP_HANDLER: 0
; COMPUTE_PGM_RSRC2:TGID_X_EN: 1
; COMPUTE_PGM_RSRC2:TGID_Y_EN: 0
; COMPUTE_PGM_RSRC2:TGID_Z_EN: 0
; COMPUTE_PGM_RSRC2:TIDIG_COMP_CNT: 0
	.section	.text._ZN7rocprim17ROCPRIM_400000_NS6detail17trampoline_kernelINS0_13select_configILj256ELj13ELNS0_17block_load_methodE3ELS4_3ELS4_3ELNS0_20block_scan_algorithmE0ELj4294967295EEENS1_25partition_config_selectorILNS1_17partition_subalgoE4EjNS0_10empty_typeEbEEZZNS1_14partition_implILS8_4ELb0ES6_15HIP_vector_typeIjLj2EENS0_17counting_iteratorIjlEEPS9_SG_NS0_5tupleIJPjSI_NS0_16reverse_iteratorISI_EEEEENSH_IJSG_SG_SG_EEES9_SI_JZNS1_25segmented_radix_sort_implINS0_14default_configELb1EPKaPaPKlPlN2at6native12_GLOBAL__N_18offset_tEEE10hipError_tPvRmT1_PNSt15iterator_traitsIS12_E10value_typeET2_T3_PNS13_IS18_E10value_typeET4_jRbjT5_S1E_jjP12ihipStream_tbEUljE_ZNSN_ISO_Lb1ESQ_SR_ST_SU_SY_EESZ_S10_S11_S12_S16_S17_S18_S1B_S1C_jS1D_jS1E_S1E_jjS1G_bEUljE0_EEESZ_S10_S11_S18_S1C_S1E_T6_T7_T9_mT8_S1G_bDpT10_ENKUlT_T0_E_clISt17integral_constantIbLb1EES1T_IbLb0EEEEDaS1P_S1Q_EUlS1P_E_NS1_11comp_targetILNS1_3genE5ELNS1_11target_archE942ELNS1_3gpuE9ELNS1_3repE0EEENS1_30default_config_static_selectorELNS0_4arch9wavefront6targetE0EEEvS12_,"axG",@progbits,_ZN7rocprim17ROCPRIM_400000_NS6detail17trampoline_kernelINS0_13select_configILj256ELj13ELNS0_17block_load_methodE3ELS4_3ELS4_3ELNS0_20block_scan_algorithmE0ELj4294967295EEENS1_25partition_config_selectorILNS1_17partition_subalgoE4EjNS0_10empty_typeEbEEZZNS1_14partition_implILS8_4ELb0ES6_15HIP_vector_typeIjLj2EENS0_17counting_iteratorIjlEEPS9_SG_NS0_5tupleIJPjSI_NS0_16reverse_iteratorISI_EEEEENSH_IJSG_SG_SG_EEES9_SI_JZNS1_25segmented_radix_sort_implINS0_14default_configELb1EPKaPaPKlPlN2at6native12_GLOBAL__N_18offset_tEEE10hipError_tPvRmT1_PNSt15iterator_traitsIS12_E10value_typeET2_T3_PNS13_IS18_E10value_typeET4_jRbjT5_S1E_jjP12ihipStream_tbEUljE_ZNSN_ISO_Lb1ESQ_SR_ST_SU_SY_EESZ_S10_S11_S12_S16_S17_S18_S1B_S1C_jS1D_jS1E_S1E_jjS1G_bEUljE0_EEESZ_S10_S11_S18_S1C_S1E_T6_T7_T9_mT8_S1G_bDpT10_ENKUlT_T0_E_clISt17integral_constantIbLb1EES1T_IbLb0EEEEDaS1P_S1Q_EUlS1P_E_NS1_11comp_targetILNS1_3genE5ELNS1_11target_archE942ELNS1_3gpuE9ELNS1_3repE0EEENS1_30default_config_static_selectorELNS0_4arch9wavefront6targetE0EEEvS12_,comdat
	.globl	_ZN7rocprim17ROCPRIM_400000_NS6detail17trampoline_kernelINS0_13select_configILj256ELj13ELNS0_17block_load_methodE3ELS4_3ELS4_3ELNS0_20block_scan_algorithmE0ELj4294967295EEENS1_25partition_config_selectorILNS1_17partition_subalgoE4EjNS0_10empty_typeEbEEZZNS1_14partition_implILS8_4ELb0ES6_15HIP_vector_typeIjLj2EENS0_17counting_iteratorIjlEEPS9_SG_NS0_5tupleIJPjSI_NS0_16reverse_iteratorISI_EEEEENSH_IJSG_SG_SG_EEES9_SI_JZNS1_25segmented_radix_sort_implINS0_14default_configELb1EPKaPaPKlPlN2at6native12_GLOBAL__N_18offset_tEEE10hipError_tPvRmT1_PNSt15iterator_traitsIS12_E10value_typeET2_T3_PNS13_IS18_E10value_typeET4_jRbjT5_S1E_jjP12ihipStream_tbEUljE_ZNSN_ISO_Lb1ESQ_SR_ST_SU_SY_EESZ_S10_S11_S12_S16_S17_S18_S1B_S1C_jS1D_jS1E_S1E_jjS1G_bEUljE0_EEESZ_S10_S11_S18_S1C_S1E_T6_T7_T9_mT8_S1G_bDpT10_ENKUlT_T0_E_clISt17integral_constantIbLb1EES1T_IbLb0EEEEDaS1P_S1Q_EUlS1P_E_NS1_11comp_targetILNS1_3genE5ELNS1_11target_archE942ELNS1_3gpuE9ELNS1_3repE0EEENS1_30default_config_static_selectorELNS0_4arch9wavefront6targetE0EEEvS12_ ; -- Begin function _ZN7rocprim17ROCPRIM_400000_NS6detail17trampoline_kernelINS0_13select_configILj256ELj13ELNS0_17block_load_methodE3ELS4_3ELS4_3ELNS0_20block_scan_algorithmE0ELj4294967295EEENS1_25partition_config_selectorILNS1_17partition_subalgoE4EjNS0_10empty_typeEbEEZZNS1_14partition_implILS8_4ELb0ES6_15HIP_vector_typeIjLj2EENS0_17counting_iteratorIjlEEPS9_SG_NS0_5tupleIJPjSI_NS0_16reverse_iteratorISI_EEEEENSH_IJSG_SG_SG_EEES9_SI_JZNS1_25segmented_radix_sort_implINS0_14default_configELb1EPKaPaPKlPlN2at6native12_GLOBAL__N_18offset_tEEE10hipError_tPvRmT1_PNSt15iterator_traitsIS12_E10value_typeET2_T3_PNS13_IS18_E10value_typeET4_jRbjT5_S1E_jjP12ihipStream_tbEUljE_ZNSN_ISO_Lb1ESQ_SR_ST_SU_SY_EESZ_S10_S11_S12_S16_S17_S18_S1B_S1C_jS1D_jS1E_S1E_jjS1G_bEUljE0_EEESZ_S10_S11_S18_S1C_S1E_T6_T7_T9_mT8_S1G_bDpT10_ENKUlT_T0_E_clISt17integral_constantIbLb1EES1T_IbLb0EEEEDaS1P_S1Q_EUlS1P_E_NS1_11comp_targetILNS1_3genE5ELNS1_11target_archE942ELNS1_3gpuE9ELNS1_3repE0EEENS1_30default_config_static_selectorELNS0_4arch9wavefront6targetE0EEEvS12_
	.p2align	8
	.type	_ZN7rocprim17ROCPRIM_400000_NS6detail17trampoline_kernelINS0_13select_configILj256ELj13ELNS0_17block_load_methodE3ELS4_3ELS4_3ELNS0_20block_scan_algorithmE0ELj4294967295EEENS1_25partition_config_selectorILNS1_17partition_subalgoE4EjNS0_10empty_typeEbEEZZNS1_14partition_implILS8_4ELb0ES6_15HIP_vector_typeIjLj2EENS0_17counting_iteratorIjlEEPS9_SG_NS0_5tupleIJPjSI_NS0_16reverse_iteratorISI_EEEEENSH_IJSG_SG_SG_EEES9_SI_JZNS1_25segmented_radix_sort_implINS0_14default_configELb1EPKaPaPKlPlN2at6native12_GLOBAL__N_18offset_tEEE10hipError_tPvRmT1_PNSt15iterator_traitsIS12_E10value_typeET2_T3_PNS13_IS18_E10value_typeET4_jRbjT5_S1E_jjP12ihipStream_tbEUljE_ZNSN_ISO_Lb1ESQ_SR_ST_SU_SY_EESZ_S10_S11_S12_S16_S17_S18_S1B_S1C_jS1D_jS1E_S1E_jjS1G_bEUljE0_EEESZ_S10_S11_S18_S1C_S1E_T6_T7_T9_mT8_S1G_bDpT10_ENKUlT_T0_E_clISt17integral_constantIbLb1EES1T_IbLb0EEEEDaS1P_S1Q_EUlS1P_E_NS1_11comp_targetILNS1_3genE5ELNS1_11target_archE942ELNS1_3gpuE9ELNS1_3repE0EEENS1_30default_config_static_selectorELNS0_4arch9wavefront6targetE0EEEvS12_,@function
_ZN7rocprim17ROCPRIM_400000_NS6detail17trampoline_kernelINS0_13select_configILj256ELj13ELNS0_17block_load_methodE3ELS4_3ELS4_3ELNS0_20block_scan_algorithmE0ELj4294967295EEENS1_25partition_config_selectorILNS1_17partition_subalgoE4EjNS0_10empty_typeEbEEZZNS1_14partition_implILS8_4ELb0ES6_15HIP_vector_typeIjLj2EENS0_17counting_iteratorIjlEEPS9_SG_NS0_5tupleIJPjSI_NS0_16reverse_iteratorISI_EEEEENSH_IJSG_SG_SG_EEES9_SI_JZNS1_25segmented_radix_sort_implINS0_14default_configELb1EPKaPaPKlPlN2at6native12_GLOBAL__N_18offset_tEEE10hipError_tPvRmT1_PNSt15iterator_traitsIS12_E10value_typeET2_T3_PNS13_IS18_E10value_typeET4_jRbjT5_S1E_jjP12ihipStream_tbEUljE_ZNSN_ISO_Lb1ESQ_SR_ST_SU_SY_EESZ_S10_S11_S12_S16_S17_S18_S1B_S1C_jS1D_jS1E_S1E_jjS1G_bEUljE0_EEESZ_S10_S11_S18_S1C_S1E_T6_T7_T9_mT8_S1G_bDpT10_ENKUlT_T0_E_clISt17integral_constantIbLb1EES1T_IbLb0EEEEDaS1P_S1Q_EUlS1P_E_NS1_11comp_targetILNS1_3genE5ELNS1_11target_archE942ELNS1_3gpuE9ELNS1_3repE0EEENS1_30default_config_static_selectorELNS0_4arch9wavefront6targetE0EEEvS12_: ; @_ZN7rocprim17ROCPRIM_400000_NS6detail17trampoline_kernelINS0_13select_configILj256ELj13ELNS0_17block_load_methodE3ELS4_3ELS4_3ELNS0_20block_scan_algorithmE0ELj4294967295EEENS1_25partition_config_selectorILNS1_17partition_subalgoE4EjNS0_10empty_typeEbEEZZNS1_14partition_implILS8_4ELb0ES6_15HIP_vector_typeIjLj2EENS0_17counting_iteratorIjlEEPS9_SG_NS0_5tupleIJPjSI_NS0_16reverse_iteratorISI_EEEEENSH_IJSG_SG_SG_EEES9_SI_JZNS1_25segmented_radix_sort_implINS0_14default_configELb1EPKaPaPKlPlN2at6native12_GLOBAL__N_18offset_tEEE10hipError_tPvRmT1_PNSt15iterator_traitsIS12_E10value_typeET2_T3_PNS13_IS18_E10value_typeET4_jRbjT5_S1E_jjP12ihipStream_tbEUljE_ZNSN_ISO_Lb1ESQ_SR_ST_SU_SY_EESZ_S10_S11_S12_S16_S17_S18_S1B_S1C_jS1D_jS1E_S1E_jjS1G_bEUljE0_EEESZ_S10_S11_S18_S1C_S1E_T6_T7_T9_mT8_S1G_bDpT10_ENKUlT_T0_E_clISt17integral_constantIbLb1EES1T_IbLb0EEEEDaS1P_S1Q_EUlS1P_E_NS1_11comp_targetILNS1_3genE5ELNS1_11target_archE942ELNS1_3gpuE9ELNS1_3repE0EEENS1_30default_config_static_selectorELNS0_4arch9wavefront6targetE0EEEvS12_
; %bb.0:
	.section	.rodata,"a",@progbits
	.p2align	6, 0x0
	.amdhsa_kernel _ZN7rocprim17ROCPRIM_400000_NS6detail17trampoline_kernelINS0_13select_configILj256ELj13ELNS0_17block_load_methodE3ELS4_3ELS4_3ELNS0_20block_scan_algorithmE0ELj4294967295EEENS1_25partition_config_selectorILNS1_17partition_subalgoE4EjNS0_10empty_typeEbEEZZNS1_14partition_implILS8_4ELb0ES6_15HIP_vector_typeIjLj2EENS0_17counting_iteratorIjlEEPS9_SG_NS0_5tupleIJPjSI_NS0_16reverse_iteratorISI_EEEEENSH_IJSG_SG_SG_EEES9_SI_JZNS1_25segmented_radix_sort_implINS0_14default_configELb1EPKaPaPKlPlN2at6native12_GLOBAL__N_18offset_tEEE10hipError_tPvRmT1_PNSt15iterator_traitsIS12_E10value_typeET2_T3_PNS13_IS18_E10value_typeET4_jRbjT5_S1E_jjP12ihipStream_tbEUljE_ZNSN_ISO_Lb1ESQ_SR_ST_SU_SY_EESZ_S10_S11_S12_S16_S17_S18_S1B_S1C_jS1D_jS1E_S1E_jjS1G_bEUljE0_EEESZ_S10_S11_S18_S1C_S1E_T6_T7_T9_mT8_S1G_bDpT10_ENKUlT_T0_E_clISt17integral_constantIbLb1EES1T_IbLb0EEEEDaS1P_S1Q_EUlS1P_E_NS1_11comp_targetILNS1_3genE5ELNS1_11target_archE942ELNS1_3gpuE9ELNS1_3repE0EEENS1_30default_config_static_selectorELNS0_4arch9wavefront6targetE0EEEvS12_
		.amdhsa_group_segment_fixed_size 0
		.amdhsa_private_segment_fixed_size 0
		.amdhsa_kernarg_size 176
		.amdhsa_user_sgpr_count 2
		.amdhsa_user_sgpr_dispatch_ptr 0
		.amdhsa_user_sgpr_queue_ptr 0
		.amdhsa_user_sgpr_kernarg_segment_ptr 1
		.amdhsa_user_sgpr_dispatch_id 0
		.amdhsa_user_sgpr_kernarg_preload_length 0
		.amdhsa_user_sgpr_kernarg_preload_offset 0
		.amdhsa_user_sgpr_private_segment_size 0
		.amdhsa_wavefront_size32 1
		.amdhsa_uses_dynamic_stack 0
		.amdhsa_enable_private_segment 0
		.amdhsa_system_sgpr_workgroup_id_x 1
		.amdhsa_system_sgpr_workgroup_id_y 0
		.amdhsa_system_sgpr_workgroup_id_z 0
		.amdhsa_system_sgpr_workgroup_info 0
		.amdhsa_system_vgpr_workitem_id 0
		.amdhsa_next_free_vgpr 1
		.amdhsa_next_free_sgpr 1
		.amdhsa_named_barrier_count 0
		.amdhsa_reserve_vcc 0
		.amdhsa_float_round_mode_32 0
		.amdhsa_float_round_mode_16_64 0
		.amdhsa_float_denorm_mode_32 3
		.amdhsa_float_denorm_mode_16_64 3
		.amdhsa_fp16_overflow 0
		.amdhsa_memory_ordered 1
		.amdhsa_forward_progress 1
		.amdhsa_inst_pref_size 0
		.amdhsa_round_robin_scheduling 0
		.amdhsa_exception_fp_ieee_invalid_op 0
		.amdhsa_exception_fp_denorm_src 0
		.amdhsa_exception_fp_ieee_div_zero 0
		.amdhsa_exception_fp_ieee_overflow 0
		.amdhsa_exception_fp_ieee_underflow 0
		.amdhsa_exception_fp_ieee_inexact 0
		.amdhsa_exception_int_div_zero 0
	.end_amdhsa_kernel
	.section	.text._ZN7rocprim17ROCPRIM_400000_NS6detail17trampoline_kernelINS0_13select_configILj256ELj13ELNS0_17block_load_methodE3ELS4_3ELS4_3ELNS0_20block_scan_algorithmE0ELj4294967295EEENS1_25partition_config_selectorILNS1_17partition_subalgoE4EjNS0_10empty_typeEbEEZZNS1_14partition_implILS8_4ELb0ES6_15HIP_vector_typeIjLj2EENS0_17counting_iteratorIjlEEPS9_SG_NS0_5tupleIJPjSI_NS0_16reverse_iteratorISI_EEEEENSH_IJSG_SG_SG_EEES9_SI_JZNS1_25segmented_radix_sort_implINS0_14default_configELb1EPKaPaPKlPlN2at6native12_GLOBAL__N_18offset_tEEE10hipError_tPvRmT1_PNSt15iterator_traitsIS12_E10value_typeET2_T3_PNS13_IS18_E10value_typeET4_jRbjT5_S1E_jjP12ihipStream_tbEUljE_ZNSN_ISO_Lb1ESQ_SR_ST_SU_SY_EESZ_S10_S11_S12_S16_S17_S18_S1B_S1C_jS1D_jS1E_S1E_jjS1G_bEUljE0_EEESZ_S10_S11_S18_S1C_S1E_T6_T7_T9_mT8_S1G_bDpT10_ENKUlT_T0_E_clISt17integral_constantIbLb1EES1T_IbLb0EEEEDaS1P_S1Q_EUlS1P_E_NS1_11comp_targetILNS1_3genE5ELNS1_11target_archE942ELNS1_3gpuE9ELNS1_3repE0EEENS1_30default_config_static_selectorELNS0_4arch9wavefront6targetE0EEEvS12_,"axG",@progbits,_ZN7rocprim17ROCPRIM_400000_NS6detail17trampoline_kernelINS0_13select_configILj256ELj13ELNS0_17block_load_methodE3ELS4_3ELS4_3ELNS0_20block_scan_algorithmE0ELj4294967295EEENS1_25partition_config_selectorILNS1_17partition_subalgoE4EjNS0_10empty_typeEbEEZZNS1_14partition_implILS8_4ELb0ES6_15HIP_vector_typeIjLj2EENS0_17counting_iteratorIjlEEPS9_SG_NS0_5tupleIJPjSI_NS0_16reverse_iteratorISI_EEEEENSH_IJSG_SG_SG_EEES9_SI_JZNS1_25segmented_radix_sort_implINS0_14default_configELb1EPKaPaPKlPlN2at6native12_GLOBAL__N_18offset_tEEE10hipError_tPvRmT1_PNSt15iterator_traitsIS12_E10value_typeET2_T3_PNS13_IS18_E10value_typeET4_jRbjT5_S1E_jjP12ihipStream_tbEUljE_ZNSN_ISO_Lb1ESQ_SR_ST_SU_SY_EESZ_S10_S11_S12_S16_S17_S18_S1B_S1C_jS1D_jS1E_S1E_jjS1G_bEUljE0_EEESZ_S10_S11_S18_S1C_S1E_T6_T7_T9_mT8_S1G_bDpT10_ENKUlT_T0_E_clISt17integral_constantIbLb1EES1T_IbLb0EEEEDaS1P_S1Q_EUlS1P_E_NS1_11comp_targetILNS1_3genE5ELNS1_11target_archE942ELNS1_3gpuE9ELNS1_3repE0EEENS1_30default_config_static_selectorELNS0_4arch9wavefront6targetE0EEEvS12_,comdat
.Lfunc_end241:
	.size	_ZN7rocprim17ROCPRIM_400000_NS6detail17trampoline_kernelINS0_13select_configILj256ELj13ELNS0_17block_load_methodE3ELS4_3ELS4_3ELNS0_20block_scan_algorithmE0ELj4294967295EEENS1_25partition_config_selectorILNS1_17partition_subalgoE4EjNS0_10empty_typeEbEEZZNS1_14partition_implILS8_4ELb0ES6_15HIP_vector_typeIjLj2EENS0_17counting_iteratorIjlEEPS9_SG_NS0_5tupleIJPjSI_NS0_16reverse_iteratorISI_EEEEENSH_IJSG_SG_SG_EEES9_SI_JZNS1_25segmented_radix_sort_implINS0_14default_configELb1EPKaPaPKlPlN2at6native12_GLOBAL__N_18offset_tEEE10hipError_tPvRmT1_PNSt15iterator_traitsIS12_E10value_typeET2_T3_PNS13_IS18_E10value_typeET4_jRbjT5_S1E_jjP12ihipStream_tbEUljE_ZNSN_ISO_Lb1ESQ_SR_ST_SU_SY_EESZ_S10_S11_S12_S16_S17_S18_S1B_S1C_jS1D_jS1E_S1E_jjS1G_bEUljE0_EEESZ_S10_S11_S18_S1C_S1E_T6_T7_T9_mT8_S1G_bDpT10_ENKUlT_T0_E_clISt17integral_constantIbLb1EES1T_IbLb0EEEEDaS1P_S1Q_EUlS1P_E_NS1_11comp_targetILNS1_3genE5ELNS1_11target_archE942ELNS1_3gpuE9ELNS1_3repE0EEENS1_30default_config_static_selectorELNS0_4arch9wavefront6targetE0EEEvS12_, .Lfunc_end241-_ZN7rocprim17ROCPRIM_400000_NS6detail17trampoline_kernelINS0_13select_configILj256ELj13ELNS0_17block_load_methodE3ELS4_3ELS4_3ELNS0_20block_scan_algorithmE0ELj4294967295EEENS1_25partition_config_selectorILNS1_17partition_subalgoE4EjNS0_10empty_typeEbEEZZNS1_14partition_implILS8_4ELb0ES6_15HIP_vector_typeIjLj2EENS0_17counting_iteratorIjlEEPS9_SG_NS0_5tupleIJPjSI_NS0_16reverse_iteratorISI_EEEEENSH_IJSG_SG_SG_EEES9_SI_JZNS1_25segmented_radix_sort_implINS0_14default_configELb1EPKaPaPKlPlN2at6native12_GLOBAL__N_18offset_tEEE10hipError_tPvRmT1_PNSt15iterator_traitsIS12_E10value_typeET2_T3_PNS13_IS18_E10value_typeET4_jRbjT5_S1E_jjP12ihipStream_tbEUljE_ZNSN_ISO_Lb1ESQ_SR_ST_SU_SY_EESZ_S10_S11_S12_S16_S17_S18_S1B_S1C_jS1D_jS1E_S1E_jjS1G_bEUljE0_EEESZ_S10_S11_S18_S1C_S1E_T6_T7_T9_mT8_S1G_bDpT10_ENKUlT_T0_E_clISt17integral_constantIbLb1EES1T_IbLb0EEEEDaS1P_S1Q_EUlS1P_E_NS1_11comp_targetILNS1_3genE5ELNS1_11target_archE942ELNS1_3gpuE9ELNS1_3repE0EEENS1_30default_config_static_selectorELNS0_4arch9wavefront6targetE0EEEvS12_
                                        ; -- End function
	.set _ZN7rocprim17ROCPRIM_400000_NS6detail17trampoline_kernelINS0_13select_configILj256ELj13ELNS0_17block_load_methodE3ELS4_3ELS4_3ELNS0_20block_scan_algorithmE0ELj4294967295EEENS1_25partition_config_selectorILNS1_17partition_subalgoE4EjNS0_10empty_typeEbEEZZNS1_14partition_implILS8_4ELb0ES6_15HIP_vector_typeIjLj2EENS0_17counting_iteratorIjlEEPS9_SG_NS0_5tupleIJPjSI_NS0_16reverse_iteratorISI_EEEEENSH_IJSG_SG_SG_EEES9_SI_JZNS1_25segmented_radix_sort_implINS0_14default_configELb1EPKaPaPKlPlN2at6native12_GLOBAL__N_18offset_tEEE10hipError_tPvRmT1_PNSt15iterator_traitsIS12_E10value_typeET2_T3_PNS13_IS18_E10value_typeET4_jRbjT5_S1E_jjP12ihipStream_tbEUljE_ZNSN_ISO_Lb1ESQ_SR_ST_SU_SY_EESZ_S10_S11_S12_S16_S17_S18_S1B_S1C_jS1D_jS1E_S1E_jjS1G_bEUljE0_EEESZ_S10_S11_S18_S1C_S1E_T6_T7_T9_mT8_S1G_bDpT10_ENKUlT_T0_E_clISt17integral_constantIbLb1EES1T_IbLb0EEEEDaS1P_S1Q_EUlS1P_E_NS1_11comp_targetILNS1_3genE5ELNS1_11target_archE942ELNS1_3gpuE9ELNS1_3repE0EEENS1_30default_config_static_selectorELNS0_4arch9wavefront6targetE0EEEvS12_.num_vgpr, 0
	.set _ZN7rocprim17ROCPRIM_400000_NS6detail17trampoline_kernelINS0_13select_configILj256ELj13ELNS0_17block_load_methodE3ELS4_3ELS4_3ELNS0_20block_scan_algorithmE0ELj4294967295EEENS1_25partition_config_selectorILNS1_17partition_subalgoE4EjNS0_10empty_typeEbEEZZNS1_14partition_implILS8_4ELb0ES6_15HIP_vector_typeIjLj2EENS0_17counting_iteratorIjlEEPS9_SG_NS0_5tupleIJPjSI_NS0_16reverse_iteratorISI_EEEEENSH_IJSG_SG_SG_EEES9_SI_JZNS1_25segmented_radix_sort_implINS0_14default_configELb1EPKaPaPKlPlN2at6native12_GLOBAL__N_18offset_tEEE10hipError_tPvRmT1_PNSt15iterator_traitsIS12_E10value_typeET2_T3_PNS13_IS18_E10value_typeET4_jRbjT5_S1E_jjP12ihipStream_tbEUljE_ZNSN_ISO_Lb1ESQ_SR_ST_SU_SY_EESZ_S10_S11_S12_S16_S17_S18_S1B_S1C_jS1D_jS1E_S1E_jjS1G_bEUljE0_EEESZ_S10_S11_S18_S1C_S1E_T6_T7_T9_mT8_S1G_bDpT10_ENKUlT_T0_E_clISt17integral_constantIbLb1EES1T_IbLb0EEEEDaS1P_S1Q_EUlS1P_E_NS1_11comp_targetILNS1_3genE5ELNS1_11target_archE942ELNS1_3gpuE9ELNS1_3repE0EEENS1_30default_config_static_selectorELNS0_4arch9wavefront6targetE0EEEvS12_.num_agpr, 0
	.set _ZN7rocprim17ROCPRIM_400000_NS6detail17trampoline_kernelINS0_13select_configILj256ELj13ELNS0_17block_load_methodE3ELS4_3ELS4_3ELNS0_20block_scan_algorithmE0ELj4294967295EEENS1_25partition_config_selectorILNS1_17partition_subalgoE4EjNS0_10empty_typeEbEEZZNS1_14partition_implILS8_4ELb0ES6_15HIP_vector_typeIjLj2EENS0_17counting_iteratorIjlEEPS9_SG_NS0_5tupleIJPjSI_NS0_16reverse_iteratorISI_EEEEENSH_IJSG_SG_SG_EEES9_SI_JZNS1_25segmented_radix_sort_implINS0_14default_configELb1EPKaPaPKlPlN2at6native12_GLOBAL__N_18offset_tEEE10hipError_tPvRmT1_PNSt15iterator_traitsIS12_E10value_typeET2_T3_PNS13_IS18_E10value_typeET4_jRbjT5_S1E_jjP12ihipStream_tbEUljE_ZNSN_ISO_Lb1ESQ_SR_ST_SU_SY_EESZ_S10_S11_S12_S16_S17_S18_S1B_S1C_jS1D_jS1E_S1E_jjS1G_bEUljE0_EEESZ_S10_S11_S18_S1C_S1E_T6_T7_T9_mT8_S1G_bDpT10_ENKUlT_T0_E_clISt17integral_constantIbLb1EES1T_IbLb0EEEEDaS1P_S1Q_EUlS1P_E_NS1_11comp_targetILNS1_3genE5ELNS1_11target_archE942ELNS1_3gpuE9ELNS1_3repE0EEENS1_30default_config_static_selectorELNS0_4arch9wavefront6targetE0EEEvS12_.numbered_sgpr, 0
	.set _ZN7rocprim17ROCPRIM_400000_NS6detail17trampoline_kernelINS0_13select_configILj256ELj13ELNS0_17block_load_methodE3ELS4_3ELS4_3ELNS0_20block_scan_algorithmE0ELj4294967295EEENS1_25partition_config_selectorILNS1_17partition_subalgoE4EjNS0_10empty_typeEbEEZZNS1_14partition_implILS8_4ELb0ES6_15HIP_vector_typeIjLj2EENS0_17counting_iteratorIjlEEPS9_SG_NS0_5tupleIJPjSI_NS0_16reverse_iteratorISI_EEEEENSH_IJSG_SG_SG_EEES9_SI_JZNS1_25segmented_radix_sort_implINS0_14default_configELb1EPKaPaPKlPlN2at6native12_GLOBAL__N_18offset_tEEE10hipError_tPvRmT1_PNSt15iterator_traitsIS12_E10value_typeET2_T3_PNS13_IS18_E10value_typeET4_jRbjT5_S1E_jjP12ihipStream_tbEUljE_ZNSN_ISO_Lb1ESQ_SR_ST_SU_SY_EESZ_S10_S11_S12_S16_S17_S18_S1B_S1C_jS1D_jS1E_S1E_jjS1G_bEUljE0_EEESZ_S10_S11_S18_S1C_S1E_T6_T7_T9_mT8_S1G_bDpT10_ENKUlT_T0_E_clISt17integral_constantIbLb1EES1T_IbLb0EEEEDaS1P_S1Q_EUlS1P_E_NS1_11comp_targetILNS1_3genE5ELNS1_11target_archE942ELNS1_3gpuE9ELNS1_3repE0EEENS1_30default_config_static_selectorELNS0_4arch9wavefront6targetE0EEEvS12_.num_named_barrier, 0
	.set _ZN7rocprim17ROCPRIM_400000_NS6detail17trampoline_kernelINS0_13select_configILj256ELj13ELNS0_17block_load_methodE3ELS4_3ELS4_3ELNS0_20block_scan_algorithmE0ELj4294967295EEENS1_25partition_config_selectorILNS1_17partition_subalgoE4EjNS0_10empty_typeEbEEZZNS1_14partition_implILS8_4ELb0ES6_15HIP_vector_typeIjLj2EENS0_17counting_iteratorIjlEEPS9_SG_NS0_5tupleIJPjSI_NS0_16reverse_iteratorISI_EEEEENSH_IJSG_SG_SG_EEES9_SI_JZNS1_25segmented_radix_sort_implINS0_14default_configELb1EPKaPaPKlPlN2at6native12_GLOBAL__N_18offset_tEEE10hipError_tPvRmT1_PNSt15iterator_traitsIS12_E10value_typeET2_T3_PNS13_IS18_E10value_typeET4_jRbjT5_S1E_jjP12ihipStream_tbEUljE_ZNSN_ISO_Lb1ESQ_SR_ST_SU_SY_EESZ_S10_S11_S12_S16_S17_S18_S1B_S1C_jS1D_jS1E_S1E_jjS1G_bEUljE0_EEESZ_S10_S11_S18_S1C_S1E_T6_T7_T9_mT8_S1G_bDpT10_ENKUlT_T0_E_clISt17integral_constantIbLb1EES1T_IbLb0EEEEDaS1P_S1Q_EUlS1P_E_NS1_11comp_targetILNS1_3genE5ELNS1_11target_archE942ELNS1_3gpuE9ELNS1_3repE0EEENS1_30default_config_static_selectorELNS0_4arch9wavefront6targetE0EEEvS12_.private_seg_size, 0
	.set _ZN7rocprim17ROCPRIM_400000_NS6detail17trampoline_kernelINS0_13select_configILj256ELj13ELNS0_17block_load_methodE3ELS4_3ELS4_3ELNS0_20block_scan_algorithmE0ELj4294967295EEENS1_25partition_config_selectorILNS1_17partition_subalgoE4EjNS0_10empty_typeEbEEZZNS1_14partition_implILS8_4ELb0ES6_15HIP_vector_typeIjLj2EENS0_17counting_iteratorIjlEEPS9_SG_NS0_5tupleIJPjSI_NS0_16reverse_iteratorISI_EEEEENSH_IJSG_SG_SG_EEES9_SI_JZNS1_25segmented_radix_sort_implINS0_14default_configELb1EPKaPaPKlPlN2at6native12_GLOBAL__N_18offset_tEEE10hipError_tPvRmT1_PNSt15iterator_traitsIS12_E10value_typeET2_T3_PNS13_IS18_E10value_typeET4_jRbjT5_S1E_jjP12ihipStream_tbEUljE_ZNSN_ISO_Lb1ESQ_SR_ST_SU_SY_EESZ_S10_S11_S12_S16_S17_S18_S1B_S1C_jS1D_jS1E_S1E_jjS1G_bEUljE0_EEESZ_S10_S11_S18_S1C_S1E_T6_T7_T9_mT8_S1G_bDpT10_ENKUlT_T0_E_clISt17integral_constantIbLb1EES1T_IbLb0EEEEDaS1P_S1Q_EUlS1P_E_NS1_11comp_targetILNS1_3genE5ELNS1_11target_archE942ELNS1_3gpuE9ELNS1_3repE0EEENS1_30default_config_static_selectorELNS0_4arch9wavefront6targetE0EEEvS12_.uses_vcc, 0
	.set _ZN7rocprim17ROCPRIM_400000_NS6detail17trampoline_kernelINS0_13select_configILj256ELj13ELNS0_17block_load_methodE3ELS4_3ELS4_3ELNS0_20block_scan_algorithmE0ELj4294967295EEENS1_25partition_config_selectorILNS1_17partition_subalgoE4EjNS0_10empty_typeEbEEZZNS1_14partition_implILS8_4ELb0ES6_15HIP_vector_typeIjLj2EENS0_17counting_iteratorIjlEEPS9_SG_NS0_5tupleIJPjSI_NS0_16reverse_iteratorISI_EEEEENSH_IJSG_SG_SG_EEES9_SI_JZNS1_25segmented_radix_sort_implINS0_14default_configELb1EPKaPaPKlPlN2at6native12_GLOBAL__N_18offset_tEEE10hipError_tPvRmT1_PNSt15iterator_traitsIS12_E10value_typeET2_T3_PNS13_IS18_E10value_typeET4_jRbjT5_S1E_jjP12ihipStream_tbEUljE_ZNSN_ISO_Lb1ESQ_SR_ST_SU_SY_EESZ_S10_S11_S12_S16_S17_S18_S1B_S1C_jS1D_jS1E_S1E_jjS1G_bEUljE0_EEESZ_S10_S11_S18_S1C_S1E_T6_T7_T9_mT8_S1G_bDpT10_ENKUlT_T0_E_clISt17integral_constantIbLb1EES1T_IbLb0EEEEDaS1P_S1Q_EUlS1P_E_NS1_11comp_targetILNS1_3genE5ELNS1_11target_archE942ELNS1_3gpuE9ELNS1_3repE0EEENS1_30default_config_static_selectorELNS0_4arch9wavefront6targetE0EEEvS12_.uses_flat_scratch, 0
	.set _ZN7rocprim17ROCPRIM_400000_NS6detail17trampoline_kernelINS0_13select_configILj256ELj13ELNS0_17block_load_methodE3ELS4_3ELS4_3ELNS0_20block_scan_algorithmE0ELj4294967295EEENS1_25partition_config_selectorILNS1_17partition_subalgoE4EjNS0_10empty_typeEbEEZZNS1_14partition_implILS8_4ELb0ES6_15HIP_vector_typeIjLj2EENS0_17counting_iteratorIjlEEPS9_SG_NS0_5tupleIJPjSI_NS0_16reverse_iteratorISI_EEEEENSH_IJSG_SG_SG_EEES9_SI_JZNS1_25segmented_radix_sort_implINS0_14default_configELb1EPKaPaPKlPlN2at6native12_GLOBAL__N_18offset_tEEE10hipError_tPvRmT1_PNSt15iterator_traitsIS12_E10value_typeET2_T3_PNS13_IS18_E10value_typeET4_jRbjT5_S1E_jjP12ihipStream_tbEUljE_ZNSN_ISO_Lb1ESQ_SR_ST_SU_SY_EESZ_S10_S11_S12_S16_S17_S18_S1B_S1C_jS1D_jS1E_S1E_jjS1G_bEUljE0_EEESZ_S10_S11_S18_S1C_S1E_T6_T7_T9_mT8_S1G_bDpT10_ENKUlT_T0_E_clISt17integral_constantIbLb1EES1T_IbLb0EEEEDaS1P_S1Q_EUlS1P_E_NS1_11comp_targetILNS1_3genE5ELNS1_11target_archE942ELNS1_3gpuE9ELNS1_3repE0EEENS1_30default_config_static_selectorELNS0_4arch9wavefront6targetE0EEEvS12_.has_dyn_sized_stack, 0
	.set _ZN7rocprim17ROCPRIM_400000_NS6detail17trampoline_kernelINS0_13select_configILj256ELj13ELNS0_17block_load_methodE3ELS4_3ELS4_3ELNS0_20block_scan_algorithmE0ELj4294967295EEENS1_25partition_config_selectorILNS1_17partition_subalgoE4EjNS0_10empty_typeEbEEZZNS1_14partition_implILS8_4ELb0ES6_15HIP_vector_typeIjLj2EENS0_17counting_iteratorIjlEEPS9_SG_NS0_5tupleIJPjSI_NS0_16reverse_iteratorISI_EEEEENSH_IJSG_SG_SG_EEES9_SI_JZNS1_25segmented_radix_sort_implINS0_14default_configELb1EPKaPaPKlPlN2at6native12_GLOBAL__N_18offset_tEEE10hipError_tPvRmT1_PNSt15iterator_traitsIS12_E10value_typeET2_T3_PNS13_IS18_E10value_typeET4_jRbjT5_S1E_jjP12ihipStream_tbEUljE_ZNSN_ISO_Lb1ESQ_SR_ST_SU_SY_EESZ_S10_S11_S12_S16_S17_S18_S1B_S1C_jS1D_jS1E_S1E_jjS1G_bEUljE0_EEESZ_S10_S11_S18_S1C_S1E_T6_T7_T9_mT8_S1G_bDpT10_ENKUlT_T0_E_clISt17integral_constantIbLb1EES1T_IbLb0EEEEDaS1P_S1Q_EUlS1P_E_NS1_11comp_targetILNS1_3genE5ELNS1_11target_archE942ELNS1_3gpuE9ELNS1_3repE0EEENS1_30default_config_static_selectorELNS0_4arch9wavefront6targetE0EEEvS12_.has_recursion, 0
	.set _ZN7rocprim17ROCPRIM_400000_NS6detail17trampoline_kernelINS0_13select_configILj256ELj13ELNS0_17block_load_methodE3ELS4_3ELS4_3ELNS0_20block_scan_algorithmE0ELj4294967295EEENS1_25partition_config_selectorILNS1_17partition_subalgoE4EjNS0_10empty_typeEbEEZZNS1_14partition_implILS8_4ELb0ES6_15HIP_vector_typeIjLj2EENS0_17counting_iteratorIjlEEPS9_SG_NS0_5tupleIJPjSI_NS0_16reverse_iteratorISI_EEEEENSH_IJSG_SG_SG_EEES9_SI_JZNS1_25segmented_radix_sort_implINS0_14default_configELb1EPKaPaPKlPlN2at6native12_GLOBAL__N_18offset_tEEE10hipError_tPvRmT1_PNSt15iterator_traitsIS12_E10value_typeET2_T3_PNS13_IS18_E10value_typeET4_jRbjT5_S1E_jjP12ihipStream_tbEUljE_ZNSN_ISO_Lb1ESQ_SR_ST_SU_SY_EESZ_S10_S11_S12_S16_S17_S18_S1B_S1C_jS1D_jS1E_S1E_jjS1G_bEUljE0_EEESZ_S10_S11_S18_S1C_S1E_T6_T7_T9_mT8_S1G_bDpT10_ENKUlT_T0_E_clISt17integral_constantIbLb1EES1T_IbLb0EEEEDaS1P_S1Q_EUlS1P_E_NS1_11comp_targetILNS1_3genE5ELNS1_11target_archE942ELNS1_3gpuE9ELNS1_3repE0EEENS1_30default_config_static_selectorELNS0_4arch9wavefront6targetE0EEEvS12_.has_indirect_call, 0
	.section	.AMDGPU.csdata,"",@progbits
; Kernel info:
; codeLenInByte = 0
; TotalNumSgprs: 0
; NumVgprs: 0
; ScratchSize: 0
; MemoryBound: 0
; FloatMode: 240
; IeeeMode: 1
; LDSByteSize: 0 bytes/workgroup (compile time only)
; SGPRBlocks: 0
; VGPRBlocks: 0
; NumSGPRsForWavesPerEU: 1
; NumVGPRsForWavesPerEU: 1
; NamedBarCnt: 0
; Occupancy: 16
; WaveLimiterHint : 0
; COMPUTE_PGM_RSRC2:SCRATCH_EN: 0
; COMPUTE_PGM_RSRC2:USER_SGPR: 2
; COMPUTE_PGM_RSRC2:TRAP_HANDLER: 0
; COMPUTE_PGM_RSRC2:TGID_X_EN: 1
; COMPUTE_PGM_RSRC2:TGID_Y_EN: 0
; COMPUTE_PGM_RSRC2:TGID_Z_EN: 0
; COMPUTE_PGM_RSRC2:TIDIG_COMP_CNT: 0
	.section	.text._ZN7rocprim17ROCPRIM_400000_NS6detail17trampoline_kernelINS0_13select_configILj256ELj13ELNS0_17block_load_methodE3ELS4_3ELS4_3ELNS0_20block_scan_algorithmE0ELj4294967295EEENS1_25partition_config_selectorILNS1_17partition_subalgoE4EjNS0_10empty_typeEbEEZZNS1_14partition_implILS8_4ELb0ES6_15HIP_vector_typeIjLj2EENS0_17counting_iteratorIjlEEPS9_SG_NS0_5tupleIJPjSI_NS0_16reverse_iteratorISI_EEEEENSH_IJSG_SG_SG_EEES9_SI_JZNS1_25segmented_radix_sort_implINS0_14default_configELb1EPKaPaPKlPlN2at6native12_GLOBAL__N_18offset_tEEE10hipError_tPvRmT1_PNSt15iterator_traitsIS12_E10value_typeET2_T3_PNS13_IS18_E10value_typeET4_jRbjT5_S1E_jjP12ihipStream_tbEUljE_ZNSN_ISO_Lb1ESQ_SR_ST_SU_SY_EESZ_S10_S11_S12_S16_S17_S18_S1B_S1C_jS1D_jS1E_S1E_jjS1G_bEUljE0_EEESZ_S10_S11_S18_S1C_S1E_T6_T7_T9_mT8_S1G_bDpT10_ENKUlT_T0_E_clISt17integral_constantIbLb1EES1T_IbLb0EEEEDaS1P_S1Q_EUlS1P_E_NS1_11comp_targetILNS1_3genE4ELNS1_11target_archE910ELNS1_3gpuE8ELNS1_3repE0EEENS1_30default_config_static_selectorELNS0_4arch9wavefront6targetE0EEEvS12_,"axG",@progbits,_ZN7rocprim17ROCPRIM_400000_NS6detail17trampoline_kernelINS0_13select_configILj256ELj13ELNS0_17block_load_methodE3ELS4_3ELS4_3ELNS0_20block_scan_algorithmE0ELj4294967295EEENS1_25partition_config_selectorILNS1_17partition_subalgoE4EjNS0_10empty_typeEbEEZZNS1_14partition_implILS8_4ELb0ES6_15HIP_vector_typeIjLj2EENS0_17counting_iteratorIjlEEPS9_SG_NS0_5tupleIJPjSI_NS0_16reverse_iteratorISI_EEEEENSH_IJSG_SG_SG_EEES9_SI_JZNS1_25segmented_radix_sort_implINS0_14default_configELb1EPKaPaPKlPlN2at6native12_GLOBAL__N_18offset_tEEE10hipError_tPvRmT1_PNSt15iterator_traitsIS12_E10value_typeET2_T3_PNS13_IS18_E10value_typeET4_jRbjT5_S1E_jjP12ihipStream_tbEUljE_ZNSN_ISO_Lb1ESQ_SR_ST_SU_SY_EESZ_S10_S11_S12_S16_S17_S18_S1B_S1C_jS1D_jS1E_S1E_jjS1G_bEUljE0_EEESZ_S10_S11_S18_S1C_S1E_T6_T7_T9_mT8_S1G_bDpT10_ENKUlT_T0_E_clISt17integral_constantIbLb1EES1T_IbLb0EEEEDaS1P_S1Q_EUlS1P_E_NS1_11comp_targetILNS1_3genE4ELNS1_11target_archE910ELNS1_3gpuE8ELNS1_3repE0EEENS1_30default_config_static_selectorELNS0_4arch9wavefront6targetE0EEEvS12_,comdat
	.globl	_ZN7rocprim17ROCPRIM_400000_NS6detail17trampoline_kernelINS0_13select_configILj256ELj13ELNS0_17block_load_methodE3ELS4_3ELS4_3ELNS0_20block_scan_algorithmE0ELj4294967295EEENS1_25partition_config_selectorILNS1_17partition_subalgoE4EjNS0_10empty_typeEbEEZZNS1_14partition_implILS8_4ELb0ES6_15HIP_vector_typeIjLj2EENS0_17counting_iteratorIjlEEPS9_SG_NS0_5tupleIJPjSI_NS0_16reverse_iteratorISI_EEEEENSH_IJSG_SG_SG_EEES9_SI_JZNS1_25segmented_radix_sort_implINS0_14default_configELb1EPKaPaPKlPlN2at6native12_GLOBAL__N_18offset_tEEE10hipError_tPvRmT1_PNSt15iterator_traitsIS12_E10value_typeET2_T3_PNS13_IS18_E10value_typeET4_jRbjT5_S1E_jjP12ihipStream_tbEUljE_ZNSN_ISO_Lb1ESQ_SR_ST_SU_SY_EESZ_S10_S11_S12_S16_S17_S18_S1B_S1C_jS1D_jS1E_S1E_jjS1G_bEUljE0_EEESZ_S10_S11_S18_S1C_S1E_T6_T7_T9_mT8_S1G_bDpT10_ENKUlT_T0_E_clISt17integral_constantIbLb1EES1T_IbLb0EEEEDaS1P_S1Q_EUlS1P_E_NS1_11comp_targetILNS1_3genE4ELNS1_11target_archE910ELNS1_3gpuE8ELNS1_3repE0EEENS1_30default_config_static_selectorELNS0_4arch9wavefront6targetE0EEEvS12_ ; -- Begin function _ZN7rocprim17ROCPRIM_400000_NS6detail17trampoline_kernelINS0_13select_configILj256ELj13ELNS0_17block_load_methodE3ELS4_3ELS4_3ELNS0_20block_scan_algorithmE0ELj4294967295EEENS1_25partition_config_selectorILNS1_17partition_subalgoE4EjNS0_10empty_typeEbEEZZNS1_14partition_implILS8_4ELb0ES6_15HIP_vector_typeIjLj2EENS0_17counting_iteratorIjlEEPS9_SG_NS0_5tupleIJPjSI_NS0_16reverse_iteratorISI_EEEEENSH_IJSG_SG_SG_EEES9_SI_JZNS1_25segmented_radix_sort_implINS0_14default_configELb1EPKaPaPKlPlN2at6native12_GLOBAL__N_18offset_tEEE10hipError_tPvRmT1_PNSt15iterator_traitsIS12_E10value_typeET2_T3_PNS13_IS18_E10value_typeET4_jRbjT5_S1E_jjP12ihipStream_tbEUljE_ZNSN_ISO_Lb1ESQ_SR_ST_SU_SY_EESZ_S10_S11_S12_S16_S17_S18_S1B_S1C_jS1D_jS1E_S1E_jjS1G_bEUljE0_EEESZ_S10_S11_S18_S1C_S1E_T6_T7_T9_mT8_S1G_bDpT10_ENKUlT_T0_E_clISt17integral_constantIbLb1EES1T_IbLb0EEEEDaS1P_S1Q_EUlS1P_E_NS1_11comp_targetILNS1_3genE4ELNS1_11target_archE910ELNS1_3gpuE8ELNS1_3repE0EEENS1_30default_config_static_selectorELNS0_4arch9wavefront6targetE0EEEvS12_
	.p2align	8
	.type	_ZN7rocprim17ROCPRIM_400000_NS6detail17trampoline_kernelINS0_13select_configILj256ELj13ELNS0_17block_load_methodE3ELS4_3ELS4_3ELNS0_20block_scan_algorithmE0ELj4294967295EEENS1_25partition_config_selectorILNS1_17partition_subalgoE4EjNS0_10empty_typeEbEEZZNS1_14partition_implILS8_4ELb0ES6_15HIP_vector_typeIjLj2EENS0_17counting_iteratorIjlEEPS9_SG_NS0_5tupleIJPjSI_NS0_16reverse_iteratorISI_EEEEENSH_IJSG_SG_SG_EEES9_SI_JZNS1_25segmented_radix_sort_implINS0_14default_configELb1EPKaPaPKlPlN2at6native12_GLOBAL__N_18offset_tEEE10hipError_tPvRmT1_PNSt15iterator_traitsIS12_E10value_typeET2_T3_PNS13_IS18_E10value_typeET4_jRbjT5_S1E_jjP12ihipStream_tbEUljE_ZNSN_ISO_Lb1ESQ_SR_ST_SU_SY_EESZ_S10_S11_S12_S16_S17_S18_S1B_S1C_jS1D_jS1E_S1E_jjS1G_bEUljE0_EEESZ_S10_S11_S18_S1C_S1E_T6_T7_T9_mT8_S1G_bDpT10_ENKUlT_T0_E_clISt17integral_constantIbLb1EES1T_IbLb0EEEEDaS1P_S1Q_EUlS1P_E_NS1_11comp_targetILNS1_3genE4ELNS1_11target_archE910ELNS1_3gpuE8ELNS1_3repE0EEENS1_30default_config_static_selectorELNS0_4arch9wavefront6targetE0EEEvS12_,@function
_ZN7rocprim17ROCPRIM_400000_NS6detail17trampoline_kernelINS0_13select_configILj256ELj13ELNS0_17block_load_methodE3ELS4_3ELS4_3ELNS0_20block_scan_algorithmE0ELj4294967295EEENS1_25partition_config_selectorILNS1_17partition_subalgoE4EjNS0_10empty_typeEbEEZZNS1_14partition_implILS8_4ELb0ES6_15HIP_vector_typeIjLj2EENS0_17counting_iteratorIjlEEPS9_SG_NS0_5tupleIJPjSI_NS0_16reverse_iteratorISI_EEEEENSH_IJSG_SG_SG_EEES9_SI_JZNS1_25segmented_radix_sort_implINS0_14default_configELb1EPKaPaPKlPlN2at6native12_GLOBAL__N_18offset_tEEE10hipError_tPvRmT1_PNSt15iterator_traitsIS12_E10value_typeET2_T3_PNS13_IS18_E10value_typeET4_jRbjT5_S1E_jjP12ihipStream_tbEUljE_ZNSN_ISO_Lb1ESQ_SR_ST_SU_SY_EESZ_S10_S11_S12_S16_S17_S18_S1B_S1C_jS1D_jS1E_S1E_jjS1G_bEUljE0_EEESZ_S10_S11_S18_S1C_S1E_T6_T7_T9_mT8_S1G_bDpT10_ENKUlT_T0_E_clISt17integral_constantIbLb1EES1T_IbLb0EEEEDaS1P_S1Q_EUlS1P_E_NS1_11comp_targetILNS1_3genE4ELNS1_11target_archE910ELNS1_3gpuE8ELNS1_3repE0EEENS1_30default_config_static_selectorELNS0_4arch9wavefront6targetE0EEEvS12_: ; @_ZN7rocprim17ROCPRIM_400000_NS6detail17trampoline_kernelINS0_13select_configILj256ELj13ELNS0_17block_load_methodE3ELS4_3ELS4_3ELNS0_20block_scan_algorithmE0ELj4294967295EEENS1_25partition_config_selectorILNS1_17partition_subalgoE4EjNS0_10empty_typeEbEEZZNS1_14partition_implILS8_4ELb0ES6_15HIP_vector_typeIjLj2EENS0_17counting_iteratorIjlEEPS9_SG_NS0_5tupleIJPjSI_NS0_16reverse_iteratorISI_EEEEENSH_IJSG_SG_SG_EEES9_SI_JZNS1_25segmented_radix_sort_implINS0_14default_configELb1EPKaPaPKlPlN2at6native12_GLOBAL__N_18offset_tEEE10hipError_tPvRmT1_PNSt15iterator_traitsIS12_E10value_typeET2_T3_PNS13_IS18_E10value_typeET4_jRbjT5_S1E_jjP12ihipStream_tbEUljE_ZNSN_ISO_Lb1ESQ_SR_ST_SU_SY_EESZ_S10_S11_S12_S16_S17_S18_S1B_S1C_jS1D_jS1E_S1E_jjS1G_bEUljE0_EEESZ_S10_S11_S18_S1C_S1E_T6_T7_T9_mT8_S1G_bDpT10_ENKUlT_T0_E_clISt17integral_constantIbLb1EES1T_IbLb0EEEEDaS1P_S1Q_EUlS1P_E_NS1_11comp_targetILNS1_3genE4ELNS1_11target_archE910ELNS1_3gpuE8ELNS1_3repE0EEENS1_30default_config_static_selectorELNS0_4arch9wavefront6targetE0EEEvS12_
; %bb.0:
	.section	.rodata,"a",@progbits
	.p2align	6, 0x0
	.amdhsa_kernel _ZN7rocprim17ROCPRIM_400000_NS6detail17trampoline_kernelINS0_13select_configILj256ELj13ELNS0_17block_load_methodE3ELS4_3ELS4_3ELNS0_20block_scan_algorithmE0ELj4294967295EEENS1_25partition_config_selectorILNS1_17partition_subalgoE4EjNS0_10empty_typeEbEEZZNS1_14partition_implILS8_4ELb0ES6_15HIP_vector_typeIjLj2EENS0_17counting_iteratorIjlEEPS9_SG_NS0_5tupleIJPjSI_NS0_16reverse_iteratorISI_EEEEENSH_IJSG_SG_SG_EEES9_SI_JZNS1_25segmented_radix_sort_implINS0_14default_configELb1EPKaPaPKlPlN2at6native12_GLOBAL__N_18offset_tEEE10hipError_tPvRmT1_PNSt15iterator_traitsIS12_E10value_typeET2_T3_PNS13_IS18_E10value_typeET4_jRbjT5_S1E_jjP12ihipStream_tbEUljE_ZNSN_ISO_Lb1ESQ_SR_ST_SU_SY_EESZ_S10_S11_S12_S16_S17_S18_S1B_S1C_jS1D_jS1E_S1E_jjS1G_bEUljE0_EEESZ_S10_S11_S18_S1C_S1E_T6_T7_T9_mT8_S1G_bDpT10_ENKUlT_T0_E_clISt17integral_constantIbLb1EES1T_IbLb0EEEEDaS1P_S1Q_EUlS1P_E_NS1_11comp_targetILNS1_3genE4ELNS1_11target_archE910ELNS1_3gpuE8ELNS1_3repE0EEENS1_30default_config_static_selectorELNS0_4arch9wavefront6targetE0EEEvS12_
		.amdhsa_group_segment_fixed_size 0
		.amdhsa_private_segment_fixed_size 0
		.amdhsa_kernarg_size 176
		.amdhsa_user_sgpr_count 2
		.amdhsa_user_sgpr_dispatch_ptr 0
		.amdhsa_user_sgpr_queue_ptr 0
		.amdhsa_user_sgpr_kernarg_segment_ptr 1
		.amdhsa_user_sgpr_dispatch_id 0
		.amdhsa_user_sgpr_kernarg_preload_length 0
		.amdhsa_user_sgpr_kernarg_preload_offset 0
		.amdhsa_user_sgpr_private_segment_size 0
		.amdhsa_wavefront_size32 1
		.amdhsa_uses_dynamic_stack 0
		.amdhsa_enable_private_segment 0
		.amdhsa_system_sgpr_workgroup_id_x 1
		.amdhsa_system_sgpr_workgroup_id_y 0
		.amdhsa_system_sgpr_workgroup_id_z 0
		.amdhsa_system_sgpr_workgroup_info 0
		.amdhsa_system_vgpr_workitem_id 0
		.amdhsa_next_free_vgpr 1
		.amdhsa_next_free_sgpr 1
		.amdhsa_named_barrier_count 0
		.amdhsa_reserve_vcc 0
		.amdhsa_float_round_mode_32 0
		.amdhsa_float_round_mode_16_64 0
		.amdhsa_float_denorm_mode_32 3
		.amdhsa_float_denorm_mode_16_64 3
		.amdhsa_fp16_overflow 0
		.amdhsa_memory_ordered 1
		.amdhsa_forward_progress 1
		.amdhsa_inst_pref_size 0
		.amdhsa_round_robin_scheduling 0
		.amdhsa_exception_fp_ieee_invalid_op 0
		.amdhsa_exception_fp_denorm_src 0
		.amdhsa_exception_fp_ieee_div_zero 0
		.amdhsa_exception_fp_ieee_overflow 0
		.amdhsa_exception_fp_ieee_underflow 0
		.amdhsa_exception_fp_ieee_inexact 0
		.amdhsa_exception_int_div_zero 0
	.end_amdhsa_kernel
	.section	.text._ZN7rocprim17ROCPRIM_400000_NS6detail17trampoline_kernelINS0_13select_configILj256ELj13ELNS0_17block_load_methodE3ELS4_3ELS4_3ELNS0_20block_scan_algorithmE0ELj4294967295EEENS1_25partition_config_selectorILNS1_17partition_subalgoE4EjNS0_10empty_typeEbEEZZNS1_14partition_implILS8_4ELb0ES6_15HIP_vector_typeIjLj2EENS0_17counting_iteratorIjlEEPS9_SG_NS0_5tupleIJPjSI_NS0_16reverse_iteratorISI_EEEEENSH_IJSG_SG_SG_EEES9_SI_JZNS1_25segmented_radix_sort_implINS0_14default_configELb1EPKaPaPKlPlN2at6native12_GLOBAL__N_18offset_tEEE10hipError_tPvRmT1_PNSt15iterator_traitsIS12_E10value_typeET2_T3_PNS13_IS18_E10value_typeET4_jRbjT5_S1E_jjP12ihipStream_tbEUljE_ZNSN_ISO_Lb1ESQ_SR_ST_SU_SY_EESZ_S10_S11_S12_S16_S17_S18_S1B_S1C_jS1D_jS1E_S1E_jjS1G_bEUljE0_EEESZ_S10_S11_S18_S1C_S1E_T6_T7_T9_mT8_S1G_bDpT10_ENKUlT_T0_E_clISt17integral_constantIbLb1EES1T_IbLb0EEEEDaS1P_S1Q_EUlS1P_E_NS1_11comp_targetILNS1_3genE4ELNS1_11target_archE910ELNS1_3gpuE8ELNS1_3repE0EEENS1_30default_config_static_selectorELNS0_4arch9wavefront6targetE0EEEvS12_,"axG",@progbits,_ZN7rocprim17ROCPRIM_400000_NS6detail17trampoline_kernelINS0_13select_configILj256ELj13ELNS0_17block_load_methodE3ELS4_3ELS4_3ELNS0_20block_scan_algorithmE0ELj4294967295EEENS1_25partition_config_selectorILNS1_17partition_subalgoE4EjNS0_10empty_typeEbEEZZNS1_14partition_implILS8_4ELb0ES6_15HIP_vector_typeIjLj2EENS0_17counting_iteratorIjlEEPS9_SG_NS0_5tupleIJPjSI_NS0_16reverse_iteratorISI_EEEEENSH_IJSG_SG_SG_EEES9_SI_JZNS1_25segmented_radix_sort_implINS0_14default_configELb1EPKaPaPKlPlN2at6native12_GLOBAL__N_18offset_tEEE10hipError_tPvRmT1_PNSt15iterator_traitsIS12_E10value_typeET2_T3_PNS13_IS18_E10value_typeET4_jRbjT5_S1E_jjP12ihipStream_tbEUljE_ZNSN_ISO_Lb1ESQ_SR_ST_SU_SY_EESZ_S10_S11_S12_S16_S17_S18_S1B_S1C_jS1D_jS1E_S1E_jjS1G_bEUljE0_EEESZ_S10_S11_S18_S1C_S1E_T6_T7_T9_mT8_S1G_bDpT10_ENKUlT_T0_E_clISt17integral_constantIbLb1EES1T_IbLb0EEEEDaS1P_S1Q_EUlS1P_E_NS1_11comp_targetILNS1_3genE4ELNS1_11target_archE910ELNS1_3gpuE8ELNS1_3repE0EEENS1_30default_config_static_selectorELNS0_4arch9wavefront6targetE0EEEvS12_,comdat
.Lfunc_end242:
	.size	_ZN7rocprim17ROCPRIM_400000_NS6detail17trampoline_kernelINS0_13select_configILj256ELj13ELNS0_17block_load_methodE3ELS4_3ELS4_3ELNS0_20block_scan_algorithmE0ELj4294967295EEENS1_25partition_config_selectorILNS1_17partition_subalgoE4EjNS0_10empty_typeEbEEZZNS1_14partition_implILS8_4ELb0ES6_15HIP_vector_typeIjLj2EENS0_17counting_iteratorIjlEEPS9_SG_NS0_5tupleIJPjSI_NS0_16reverse_iteratorISI_EEEEENSH_IJSG_SG_SG_EEES9_SI_JZNS1_25segmented_radix_sort_implINS0_14default_configELb1EPKaPaPKlPlN2at6native12_GLOBAL__N_18offset_tEEE10hipError_tPvRmT1_PNSt15iterator_traitsIS12_E10value_typeET2_T3_PNS13_IS18_E10value_typeET4_jRbjT5_S1E_jjP12ihipStream_tbEUljE_ZNSN_ISO_Lb1ESQ_SR_ST_SU_SY_EESZ_S10_S11_S12_S16_S17_S18_S1B_S1C_jS1D_jS1E_S1E_jjS1G_bEUljE0_EEESZ_S10_S11_S18_S1C_S1E_T6_T7_T9_mT8_S1G_bDpT10_ENKUlT_T0_E_clISt17integral_constantIbLb1EES1T_IbLb0EEEEDaS1P_S1Q_EUlS1P_E_NS1_11comp_targetILNS1_3genE4ELNS1_11target_archE910ELNS1_3gpuE8ELNS1_3repE0EEENS1_30default_config_static_selectorELNS0_4arch9wavefront6targetE0EEEvS12_, .Lfunc_end242-_ZN7rocprim17ROCPRIM_400000_NS6detail17trampoline_kernelINS0_13select_configILj256ELj13ELNS0_17block_load_methodE3ELS4_3ELS4_3ELNS0_20block_scan_algorithmE0ELj4294967295EEENS1_25partition_config_selectorILNS1_17partition_subalgoE4EjNS0_10empty_typeEbEEZZNS1_14partition_implILS8_4ELb0ES6_15HIP_vector_typeIjLj2EENS0_17counting_iteratorIjlEEPS9_SG_NS0_5tupleIJPjSI_NS0_16reverse_iteratorISI_EEEEENSH_IJSG_SG_SG_EEES9_SI_JZNS1_25segmented_radix_sort_implINS0_14default_configELb1EPKaPaPKlPlN2at6native12_GLOBAL__N_18offset_tEEE10hipError_tPvRmT1_PNSt15iterator_traitsIS12_E10value_typeET2_T3_PNS13_IS18_E10value_typeET4_jRbjT5_S1E_jjP12ihipStream_tbEUljE_ZNSN_ISO_Lb1ESQ_SR_ST_SU_SY_EESZ_S10_S11_S12_S16_S17_S18_S1B_S1C_jS1D_jS1E_S1E_jjS1G_bEUljE0_EEESZ_S10_S11_S18_S1C_S1E_T6_T7_T9_mT8_S1G_bDpT10_ENKUlT_T0_E_clISt17integral_constantIbLb1EES1T_IbLb0EEEEDaS1P_S1Q_EUlS1P_E_NS1_11comp_targetILNS1_3genE4ELNS1_11target_archE910ELNS1_3gpuE8ELNS1_3repE0EEENS1_30default_config_static_selectorELNS0_4arch9wavefront6targetE0EEEvS12_
                                        ; -- End function
	.set _ZN7rocprim17ROCPRIM_400000_NS6detail17trampoline_kernelINS0_13select_configILj256ELj13ELNS0_17block_load_methodE3ELS4_3ELS4_3ELNS0_20block_scan_algorithmE0ELj4294967295EEENS1_25partition_config_selectorILNS1_17partition_subalgoE4EjNS0_10empty_typeEbEEZZNS1_14partition_implILS8_4ELb0ES6_15HIP_vector_typeIjLj2EENS0_17counting_iteratorIjlEEPS9_SG_NS0_5tupleIJPjSI_NS0_16reverse_iteratorISI_EEEEENSH_IJSG_SG_SG_EEES9_SI_JZNS1_25segmented_radix_sort_implINS0_14default_configELb1EPKaPaPKlPlN2at6native12_GLOBAL__N_18offset_tEEE10hipError_tPvRmT1_PNSt15iterator_traitsIS12_E10value_typeET2_T3_PNS13_IS18_E10value_typeET4_jRbjT5_S1E_jjP12ihipStream_tbEUljE_ZNSN_ISO_Lb1ESQ_SR_ST_SU_SY_EESZ_S10_S11_S12_S16_S17_S18_S1B_S1C_jS1D_jS1E_S1E_jjS1G_bEUljE0_EEESZ_S10_S11_S18_S1C_S1E_T6_T7_T9_mT8_S1G_bDpT10_ENKUlT_T0_E_clISt17integral_constantIbLb1EES1T_IbLb0EEEEDaS1P_S1Q_EUlS1P_E_NS1_11comp_targetILNS1_3genE4ELNS1_11target_archE910ELNS1_3gpuE8ELNS1_3repE0EEENS1_30default_config_static_selectorELNS0_4arch9wavefront6targetE0EEEvS12_.num_vgpr, 0
	.set _ZN7rocprim17ROCPRIM_400000_NS6detail17trampoline_kernelINS0_13select_configILj256ELj13ELNS0_17block_load_methodE3ELS4_3ELS4_3ELNS0_20block_scan_algorithmE0ELj4294967295EEENS1_25partition_config_selectorILNS1_17partition_subalgoE4EjNS0_10empty_typeEbEEZZNS1_14partition_implILS8_4ELb0ES6_15HIP_vector_typeIjLj2EENS0_17counting_iteratorIjlEEPS9_SG_NS0_5tupleIJPjSI_NS0_16reverse_iteratorISI_EEEEENSH_IJSG_SG_SG_EEES9_SI_JZNS1_25segmented_radix_sort_implINS0_14default_configELb1EPKaPaPKlPlN2at6native12_GLOBAL__N_18offset_tEEE10hipError_tPvRmT1_PNSt15iterator_traitsIS12_E10value_typeET2_T3_PNS13_IS18_E10value_typeET4_jRbjT5_S1E_jjP12ihipStream_tbEUljE_ZNSN_ISO_Lb1ESQ_SR_ST_SU_SY_EESZ_S10_S11_S12_S16_S17_S18_S1B_S1C_jS1D_jS1E_S1E_jjS1G_bEUljE0_EEESZ_S10_S11_S18_S1C_S1E_T6_T7_T9_mT8_S1G_bDpT10_ENKUlT_T0_E_clISt17integral_constantIbLb1EES1T_IbLb0EEEEDaS1P_S1Q_EUlS1P_E_NS1_11comp_targetILNS1_3genE4ELNS1_11target_archE910ELNS1_3gpuE8ELNS1_3repE0EEENS1_30default_config_static_selectorELNS0_4arch9wavefront6targetE0EEEvS12_.num_agpr, 0
	.set _ZN7rocprim17ROCPRIM_400000_NS6detail17trampoline_kernelINS0_13select_configILj256ELj13ELNS0_17block_load_methodE3ELS4_3ELS4_3ELNS0_20block_scan_algorithmE0ELj4294967295EEENS1_25partition_config_selectorILNS1_17partition_subalgoE4EjNS0_10empty_typeEbEEZZNS1_14partition_implILS8_4ELb0ES6_15HIP_vector_typeIjLj2EENS0_17counting_iteratorIjlEEPS9_SG_NS0_5tupleIJPjSI_NS0_16reverse_iteratorISI_EEEEENSH_IJSG_SG_SG_EEES9_SI_JZNS1_25segmented_radix_sort_implINS0_14default_configELb1EPKaPaPKlPlN2at6native12_GLOBAL__N_18offset_tEEE10hipError_tPvRmT1_PNSt15iterator_traitsIS12_E10value_typeET2_T3_PNS13_IS18_E10value_typeET4_jRbjT5_S1E_jjP12ihipStream_tbEUljE_ZNSN_ISO_Lb1ESQ_SR_ST_SU_SY_EESZ_S10_S11_S12_S16_S17_S18_S1B_S1C_jS1D_jS1E_S1E_jjS1G_bEUljE0_EEESZ_S10_S11_S18_S1C_S1E_T6_T7_T9_mT8_S1G_bDpT10_ENKUlT_T0_E_clISt17integral_constantIbLb1EES1T_IbLb0EEEEDaS1P_S1Q_EUlS1P_E_NS1_11comp_targetILNS1_3genE4ELNS1_11target_archE910ELNS1_3gpuE8ELNS1_3repE0EEENS1_30default_config_static_selectorELNS0_4arch9wavefront6targetE0EEEvS12_.numbered_sgpr, 0
	.set _ZN7rocprim17ROCPRIM_400000_NS6detail17trampoline_kernelINS0_13select_configILj256ELj13ELNS0_17block_load_methodE3ELS4_3ELS4_3ELNS0_20block_scan_algorithmE0ELj4294967295EEENS1_25partition_config_selectorILNS1_17partition_subalgoE4EjNS0_10empty_typeEbEEZZNS1_14partition_implILS8_4ELb0ES6_15HIP_vector_typeIjLj2EENS0_17counting_iteratorIjlEEPS9_SG_NS0_5tupleIJPjSI_NS0_16reverse_iteratorISI_EEEEENSH_IJSG_SG_SG_EEES9_SI_JZNS1_25segmented_radix_sort_implINS0_14default_configELb1EPKaPaPKlPlN2at6native12_GLOBAL__N_18offset_tEEE10hipError_tPvRmT1_PNSt15iterator_traitsIS12_E10value_typeET2_T3_PNS13_IS18_E10value_typeET4_jRbjT5_S1E_jjP12ihipStream_tbEUljE_ZNSN_ISO_Lb1ESQ_SR_ST_SU_SY_EESZ_S10_S11_S12_S16_S17_S18_S1B_S1C_jS1D_jS1E_S1E_jjS1G_bEUljE0_EEESZ_S10_S11_S18_S1C_S1E_T6_T7_T9_mT8_S1G_bDpT10_ENKUlT_T0_E_clISt17integral_constantIbLb1EES1T_IbLb0EEEEDaS1P_S1Q_EUlS1P_E_NS1_11comp_targetILNS1_3genE4ELNS1_11target_archE910ELNS1_3gpuE8ELNS1_3repE0EEENS1_30default_config_static_selectorELNS0_4arch9wavefront6targetE0EEEvS12_.num_named_barrier, 0
	.set _ZN7rocprim17ROCPRIM_400000_NS6detail17trampoline_kernelINS0_13select_configILj256ELj13ELNS0_17block_load_methodE3ELS4_3ELS4_3ELNS0_20block_scan_algorithmE0ELj4294967295EEENS1_25partition_config_selectorILNS1_17partition_subalgoE4EjNS0_10empty_typeEbEEZZNS1_14partition_implILS8_4ELb0ES6_15HIP_vector_typeIjLj2EENS0_17counting_iteratorIjlEEPS9_SG_NS0_5tupleIJPjSI_NS0_16reverse_iteratorISI_EEEEENSH_IJSG_SG_SG_EEES9_SI_JZNS1_25segmented_radix_sort_implINS0_14default_configELb1EPKaPaPKlPlN2at6native12_GLOBAL__N_18offset_tEEE10hipError_tPvRmT1_PNSt15iterator_traitsIS12_E10value_typeET2_T3_PNS13_IS18_E10value_typeET4_jRbjT5_S1E_jjP12ihipStream_tbEUljE_ZNSN_ISO_Lb1ESQ_SR_ST_SU_SY_EESZ_S10_S11_S12_S16_S17_S18_S1B_S1C_jS1D_jS1E_S1E_jjS1G_bEUljE0_EEESZ_S10_S11_S18_S1C_S1E_T6_T7_T9_mT8_S1G_bDpT10_ENKUlT_T0_E_clISt17integral_constantIbLb1EES1T_IbLb0EEEEDaS1P_S1Q_EUlS1P_E_NS1_11comp_targetILNS1_3genE4ELNS1_11target_archE910ELNS1_3gpuE8ELNS1_3repE0EEENS1_30default_config_static_selectorELNS0_4arch9wavefront6targetE0EEEvS12_.private_seg_size, 0
	.set _ZN7rocprim17ROCPRIM_400000_NS6detail17trampoline_kernelINS0_13select_configILj256ELj13ELNS0_17block_load_methodE3ELS4_3ELS4_3ELNS0_20block_scan_algorithmE0ELj4294967295EEENS1_25partition_config_selectorILNS1_17partition_subalgoE4EjNS0_10empty_typeEbEEZZNS1_14partition_implILS8_4ELb0ES6_15HIP_vector_typeIjLj2EENS0_17counting_iteratorIjlEEPS9_SG_NS0_5tupleIJPjSI_NS0_16reverse_iteratorISI_EEEEENSH_IJSG_SG_SG_EEES9_SI_JZNS1_25segmented_radix_sort_implINS0_14default_configELb1EPKaPaPKlPlN2at6native12_GLOBAL__N_18offset_tEEE10hipError_tPvRmT1_PNSt15iterator_traitsIS12_E10value_typeET2_T3_PNS13_IS18_E10value_typeET4_jRbjT5_S1E_jjP12ihipStream_tbEUljE_ZNSN_ISO_Lb1ESQ_SR_ST_SU_SY_EESZ_S10_S11_S12_S16_S17_S18_S1B_S1C_jS1D_jS1E_S1E_jjS1G_bEUljE0_EEESZ_S10_S11_S18_S1C_S1E_T6_T7_T9_mT8_S1G_bDpT10_ENKUlT_T0_E_clISt17integral_constantIbLb1EES1T_IbLb0EEEEDaS1P_S1Q_EUlS1P_E_NS1_11comp_targetILNS1_3genE4ELNS1_11target_archE910ELNS1_3gpuE8ELNS1_3repE0EEENS1_30default_config_static_selectorELNS0_4arch9wavefront6targetE0EEEvS12_.uses_vcc, 0
	.set _ZN7rocprim17ROCPRIM_400000_NS6detail17trampoline_kernelINS0_13select_configILj256ELj13ELNS0_17block_load_methodE3ELS4_3ELS4_3ELNS0_20block_scan_algorithmE0ELj4294967295EEENS1_25partition_config_selectorILNS1_17partition_subalgoE4EjNS0_10empty_typeEbEEZZNS1_14partition_implILS8_4ELb0ES6_15HIP_vector_typeIjLj2EENS0_17counting_iteratorIjlEEPS9_SG_NS0_5tupleIJPjSI_NS0_16reverse_iteratorISI_EEEEENSH_IJSG_SG_SG_EEES9_SI_JZNS1_25segmented_radix_sort_implINS0_14default_configELb1EPKaPaPKlPlN2at6native12_GLOBAL__N_18offset_tEEE10hipError_tPvRmT1_PNSt15iterator_traitsIS12_E10value_typeET2_T3_PNS13_IS18_E10value_typeET4_jRbjT5_S1E_jjP12ihipStream_tbEUljE_ZNSN_ISO_Lb1ESQ_SR_ST_SU_SY_EESZ_S10_S11_S12_S16_S17_S18_S1B_S1C_jS1D_jS1E_S1E_jjS1G_bEUljE0_EEESZ_S10_S11_S18_S1C_S1E_T6_T7_T9_mT8_S1G_bDpT10_ENKUlT_T0_E_clISt17integral_constantIbLb1EES1T_IbLb0EEEEDaS1P_S1Q_EUlS1P_E_NS1_11comp_targetILNS1_3genE4ELNS1_11target_archE910ELNS1_3gpuE8ELNS1_3repE0EEENS1_30default_config_static_selectorELNS0_4arch9wavefront6targetE0EEEvS12_.uses_flat_scratch, 0
	.set _ZN7rocprim17ROCPRIM_400000_NS6detail17trampoline_kernelINS0_13select_configILj256ELj13ELNS0_17block_load_methodE3ELS4_3ELS4_3ELNS0_20block_scan_algorithmE0ELj4294967295EEENS1_25partition_config_selectorILNS1_17partition_subalgoE4EjNS0_10empty_typeEbEEZZNS1_14partition_implILS8_4ELb0ES6_15HIP_vector_typeIjLj2EENS0_17counting_iteratorIjlEEPS9_SG_NS0_5tupleIJPjSI_NS0_16reverse_iteratorISI_EEEEENSH_IJSG_SG_SG_EEES9_SI_JZNS1_25segmented_radix_sort_implINS0_14default_configELb1EPKaPaPKlPlN2at6native12_GLOBAL__N_18offset_tEEE10hipError_tPvRmT1_PNSt15iterator_traitsIS12_E10value_typeET2_T3_PNS13_IS18_E10value_typeET4_jRbjT5_S1E_jjP12ihipStream_tbEUljE_ZNSN_ISO_Lb1ESQ_SR_ST_SU_SY_EESZ_S10_S11_S12_S16_S17_S18_S1B_S1C_jS1D_jS1E_S1E_jjS1G_bEUljE0_EEESZ_S10_S11_S18_S1C_S1E_T6_T7_T9_mT8_S1G_bDpT10_ENKUlT_T0_E_clISt17integral_constantIbLb1EES1T_IbLb0EEEEDaS1P_S1Q_EUlS1P_E_NS1_11comp_targetILNS1_3genE4ELNS1_11target_archE910ELNS1_3gpuE8ELNS1_3repE0EEENS1_30default_config_static_selectorELNS0_4arch9wavefront6targetE0EEEvS12_.has_dyn_sized_stack, 0
	.set _ZN7rocprim17ROCPRIM_400000_NS6detail17trampoline_kernelINS0_13select_configILj256ELj13ELNS0_17block_load_methodE3ELS4_3ELS4_3ELNS0_20block_scan_algorithmE0ELj4294967295EEENS1_25partition_config_selectorILNS1_17partition_subalgoE4EjNS0_10empty_typeEbEEZZNS1_14partition_implILS8_4ELb0ES6_15HIP_vector_typeIjLj2EENS0_17counting_iteratorIjlEEPS9_SG_NS0_5tupleIJPjSI_NS0_16reverse_iteratorISI_EEEEENSH_IJSG_SG_SG_EEES9_SI_JZNS1_25segmented_radix_sort_implINS0_14default_configELb1EPKaPaPKlPlN2at6native12_GLOBAL__N_18offset_tEEE10hipError_tPvRmT1_PNSt15iterator_traitsIS12_E10value_typeET2_T3_PNS13_IS18_E10value_typeET4_jRbjT5_S1E_jjP12ihipStream_tbEUljE_ZNSN_ISO_Lb1ESQ_SR_ST_SU_SY_EESZ_S10_S11_S12_S16_S17_S18_S1B_S1C_jS1D_jS1E_S1E_jjS1G_bEUljE0_EEESZ_S10_S11_S18_S1C_S1E_T6_T7_T9_mT8_S1G_bDpT10_ENKUlT_T0_E_clISt17integral_constantIbLb1EES1T_IbLb0EEEEDaS1P_S1Q_EUlS1P_E_NS1_11comp_targetILNS1_3genE4ELNS1_11target_archE910ELNS1_3gpuE8ELNS1_3repE0EEENS1_30default_config_static_selectorELNS0_4arch9wavefront6targetE0EEEvS12_.has_recursion, 0
	.set _ZN7rocprim17ROCPRIM_400000_NS6detail17trampoline_kernelINS0_13select_configILj256ELj13ELNS0_17block_load_methodE3ELS4_3ELS4_3ELNS0_20block_scan_algorithmE0ELj4294967295EEENS1_25partition_config_selectorILNS1_17partition_subalgoE4EjNS0_10empty_typeEbEEZZNS1_14partition_implILS8_4ELb0ES6_15HIP_vector_typeIjLj2EENS0_17counting_iteratorIjlEEPS9_SG_NS0_5tupleIJPjSI_NS0_16reverse_iteratorISI_EEEEENSH_IJSG_SG_SG_EEES9_SI_JZNS1_25segmented_radix_sort_implINS0_14default_configELb1EPKaPaPKlPlN2at6native12_GLOBAL__N_18offset_tEEE10hipError_tPvRmT1_PNSt15iterator_traitsIS12_E10value_typeET2_T3_PNS13_IS18_E10value_typeET4_jRbjT5_S1E_jjP12ihipStream_tbEUljE_ZNSN_ISO_Lb1ESQ_SR_ST_SU_SY_EESZ_S10_S11_S12_S16_S17_S18_S1B_S1C_jS1D_jS1E_S1E_jjS1G_bEUljE0_EEESZ_S10_S11_S18_S1C_S1E_T6_T7_T9_mT8_S1G_bDpT10_ENKUlT_T0_E_clISt17integral_constantIbLb1EES1T_IbLb0EEEEDaS1P_S1Q_EUlS1P_E_NS1_11comp_targetILNS1_3genE4ELNS1_11target_archE910ELNS1_3gpuE8ELNS1_3repE0EEENS1_30default_config_static_selectorELNS0_4arch9wavefront6targetE0EEEvS12_.has_indirect_call, 0
	.section	.AMDGPU.csdata,"",@progbits
; Kernel info:
; codeLenInByte = 0
; TotalNumSgprs: 0
; NumVgprs: 0
; ScratchSize: 0
; MemoryBound: 0
; FloatMode: 240
; IeeeMode: 1
; LDSByteSize: 0 bytes/workgroup (compile time only)
; SGPRBlocks: 0
; VGPRBlocks: 0
; NumSGPRsForWavesPerEU: 1
; NumVGPRsForWavesPerEU: 1
; NamedBarCnt: 0
; Occupancy: 16
; WaveLimiterHint : 0
; COMPUTE_PGM_RSRC2:SCRATCH_EN: 0
; COMPUTE_PGM_RSRC2:USER_SGPR: 2
; COMPUTE_PGM_RSRC2:TRAP_HANDLER: 0
; COMPUTE_PGM_RSRC2:TGID_X_EN: 1
; COMPUTE_PGM_RSRC2:TGID_Y_EN: 0
; COMPUTE_PGM_RSRC2:TGID_Z_EN: 0
; COMPUTE_PGM_RSRC2:TIDIG_COMP_CNT: 0
	.section	.text._ZN7rocprim17ROCPRIM_400000_NS6detail17trampoline_kernelINS0_13select_configILj256ELj13ELNS0_17block_load_methodE3ELS4_3ELS4_3ELNS0_20block_scan_algorithmE0ELj4294967295EEENS1_25partition_config_selectorILNS1_17partition_subalgoE4EjNS0_10empty_typeEbEEZZNS1_14partition_implILS8_4ELb0ES6_15HIP_vector_typeIjLj2EENS0_17counting_iteratorIjlEEPS9_SG_NS0_5tupleIJPjSI_NS0_16reverse_iteratorISI_EEEEENSH_IJSG_SG_SG_EEES9_SI_JZNS1_25segmented_radix_sort_implINS0_14default_configELb1EPKaPaPKlPlN2at6native12_GLOBAL__N_18offset_tEEE10hipError_tPvRmT1_PNSt15iterator_traitsIS12_E10value_typeET2_T3_PNS13_IS18_E10value_typeET4_jRbjT5_S1E_jjP12ihipStream_tbEUljE_ZNSN_ISO_Lb1ESQ_SR_ST_SU_SY_EESZ_S10_S11_S12_S16_S17_S18_S1B_S1C_jS1D_jS1E_S1E_jjS1G_bEUljE0_EEESZ_S10_S11_S18_S1C_S1E_T6_T7_T9_mT8_S1G_bDpT10_ENKUlT_T0_E_clISt17integral_constantIbLb1EES1T_IbLb0EEEEDaS1P_S1Q_EUlS1P_E_NS1_11comp_targetILNS1_3genE3ELNS1_11target_archE908ELNS1_3gpuE7ELNS1_3repE0EEENS1_30default_config_static_selectorELNS0_4arch9wavefront6targetE0EEEvS12_,"axG",@progbits,_ZN7rocprim17ROCPRIM_400000_NS6detail17trampoline_kernelINS0_13select_configILj256ELj13ELNS0_17block_load_methodE3ELS4_3ELS4_3ELNS0_20block_scan_algorithmE0ELj4294967295EEENS1_25partition_config_selectorILNS1_17partition_subalgoE4EjNS0_10empty_typeEbEEZZNS1_14partition_implILS8_4ELb0ES6_15HIP_vector_typeIjLj2EENS0_17counting_iteratorIjlEEPS9_SG_NS0_5tupleIJPjSI_NS0_16reverse_iteratorISI_EEEEENSH_IJSG_SG_SG_EEES9_SI_JZNS1_25segmented_radix_sort_implINS0_14default_configELb1EPKaPaPKlPlN2at6native12_GLOBAL__N_18offset_tEEE10hipError_tPvRmT1_PNSt15iterator_traitsIS12_E10value_typeET2_T3_PNS13_IS18_E10value_typeET4_jRbjT5_S1E_jjP12ihipStream_tbEUljE_ZNSN_ISO_Lb1ESQ_SR_ST_SU_SY_EESZ_S10_S11_S12_S16_S17_S18_S1B_S1C_jS1D_jS1E_S1E_jjS1G_bEUljE0_EEESZ_S10_S11_S18_S1C_S1E_T6_T7_T9_mT8_S1G_bDpT10_ENKUlT_T0_E_clISt17integral_constantIbLb1EES1T_IbLb0EEEEDaS1P_S1Q_EUlS1P_E_NS1_11comp_targetILNS1_3genE3ELNS1_11target_archE908ELNS1_3gpuE7ELNS1_3repE0EEENS1_30default_config_static_selectorELNS0_4arch9wavefront6targetE0EEEvS12_,comdat
	.globl	_ZN7rocprim17ROCPRIM_400000_NS6detail17trampoline_kernelINS0_13select_configILj256ELj13ELNS0_17block_load_methodE3ELS4_3ELS4_3ELNS0_20block_scan_algorithmE0ELj4294967295EEENS1_25partition_config_selectorILNS1_17partition_subalgoE4EjNS0_10empty_typeEbEEZZNS1_14partition_implILS8_4ELb0ES6_15HIP_vector_typeIjLj2EENS0_17counting_iteratorIjlEEPS9_SG_NS0_5tupleIJPjSI_NS0_16reverse_iteratorISI_EEEEENSH_IJSG_SG_SG_EEES9_SI_JZNS1_25segmented_radix_sort_implINS0_14default_configELb1EPKaPaPKlPlN2at6native12_GLOBAL__N_18offset_tEEE10hipError_tPvRmT1_PNSt15iterator_traitsIS12_E10value_typeET2_T3_PNS13_IS18_E10value_typeET4_jRbjT5_S1E_jjP12ihipStream_tbEUljE_ZNSN_ISO_Lb1ESQ_SR_ST_SU_SY_EESZ_S10_S11_S12_S16_S17_S18_S1B_S1C_jS1D_jS1E_S1E_jjS1G_bEUljE0_EEESZ_S10_S11_S18_S1C_S1E_T6_T7_T9_mT8_S1G_bDpT10_ENKUlT_T0_E_clISt17integral_constantIbLb1EES1T_IbLb0EEEEDaS1P_S1Q_EUlS1P_E_NS1_11comp_targetILNS1_3genE3ELNS1_11target_archE908ELNS1_3gpuE7ELNS1_3repE0EEENS1_30default_config_static_selectorELNS0_4arch9wavefront6targetE0EEEvS12_ ; -- Begin function _ZN7rocprim17ROCPRIM_400000_NS6detail17trampoline_kernelINS0_13select_configILj256ELj13ELNS0_17block_load_methodE3ELS4_3ELS4_3ELNS0_20block_scan_algorithmE0ELj4294967295EEENS1_25partition_config_selectorILNS1_17partition_subalgoE4EjNS0_10empty_typeEbEEZZNS1_14partition_implILS8_4ELb0ES6_15HIP_vector_typeIjLj2EENS0_17counting_iteratorIjlEEPS9_SG_NS0_5tupleIJPjSI_NS0_16reverse_iteratorISI_EEEEENSH_IJSG_SG_SG_EEES9_SI_JZNS1_25segmented_radix_sort_implINS0_14default_configELb1EPKaPaPKlPlN2at6native12_GLOBAL__N_18offset_tEEE10hipError_tPvRmT1_PNSt15iterator_traitsIS12_E10value_typeET2_T3_PNS13_IS18_E10value_typeET4_jRbjT5_S1E_jjP12ihipStream_tbEUljE_ZNSN_ISO_Lb1ESQ_SR_ST_SU_SY_EESZ_S10_S11_S12_S16_S17_S18_S1B_S1C_jS1D_jS1E_S1E_jjS1G_bEUljE0_EEESZ_S10_S11_S18_S1C_S1E_T6_T7_T9_mT8_S1G_bDpT10_ENKUlT_T0_E_clISt17integral_constantIbLb1EES1T_IbLb0EEEEDaS1P_S1Q_EUlS1P_E_NS1_11comp_targetILNS1_3genE3ELNS1_11target_archE908ELNS1_3gpuE7ELNS1_3repE0EEENS1_30default_config_static_selectorELNS0_4arch9wavefront6targetE0EEEvS12_
	.p2align	8
	.type	_ZN7rocprim17ROCPRIM_400000_NS6detail17trampoline_kernelINS0_13select_configILj256ELj13ELNS0_17block_load_methodE3ELS4_3ELS4_3ELNS0_20block_scan_algorithmE0ELj4294967295EEENS1_25partition_config_selectorILNS1_17partition_subalgoE4EjNS0_10empty_typeEbEEZZNS1_14partition_implILS8_4ELb0ES6_15HIP_vector_typeIjLj2EENS0_17counting_iteratorIjlEEPS9_SG_NS0_5tupleIJPjSI_NS0_16reverse_iteratorISI_EEEEENSH_IJSG_SG_SG_EEES9_SI_JZNS1_25segmented_radix_sort_implINS0_14default_configELb1EPKaPaPKlPlN2at6native12_GLOBAL__N_18offset_tEEE10hipError_tPvRmT1_PNSt15iterator_traitsIS12_E10value_typeET2_T3_PNS13_IS18_E10value_typeET4_jRbjT5_S1E_jjP12ihipStream_tbEUljE_ZNSN_ISO_Lb1ESQ_SR_ST_SU_SY_EESZ_S10_S11_S12_S16_S17_S18_S1B_S1C_jS1D_jS1E_S1E_jjS1G_bEUljE0_EEESZ_S10_S11_S18_S1C_S1E_T6_T7_T9_mT8_S1G_bDpT10_ENKUlT_T0_E_clISt17integral_constantIbLb1EES1T_IbLb0EEEEDaS1P_S1Q_EUlS1P_E_NS1_11comp_targetILNS1_3genE3ELNS1_11target_archE908ELNS1_3gpuE7ELNS1_3repE0EEENS1_30default_config_static_selectorELNS0_4arch9wavefront6targetE0EEEvS12_,@function
_ZN7rocprim17ROCPRIM_400000_NS6detail17trampoline_kernelINS0_13select_configILj256ELj13ELNS0_17block_load_methodE3ELS4_3ELS4_3ELNS0_20block_scan_algorithmE0ELj4294967295EEENS1_25partition_config_selectorILNS1_17partition_subalgoE4EjNS0_10empty_typeEbEEZZNS1_14partition_implILS8_4ELb0ES6_15HIP_vector_typeIjLj2EENS0_17counting_iteratorIjlEEPS9_SG_NS0_5tupleIJPjSI_NS0_16reverse_iteratorISI_EEEEENSH_IJSG_SG_SG_EEES9_SI_JZNS1_25segmented_radix_sort_implINS0_14default_configELb1EPKaPaPKlPlN2at6native12_GLOBAL__N_18offset_tEEE10hipError_tPvRmT1_PNSt15iterator_traitsIS12_E10value_typeET2_T3_PNS13_IS18_E10value_typeET4_jRbjT5_S1E_jjP12ihipStream_tbEUljE_ZNSN_ISO_Lb1ESQ_SR_ST_SU_SY_EESZ_S10_S11_S12_S16_S17_S18_S1B_S1C_jS1D_jS1E_S1E_jjS1G_bEUljE0_EEESZ_S10_S11_S18_S1C_S1E_T6_T7_T9_mT8_S1G_bDpT10_ENKUlT_T0_E_clISt17integral_constantIbLb1EES1T_IbLb0EEEEDaS1P_S1Q_EUlS1P_E_NS1_11comp_targetILNS1_3genE3ELNS1_11target_archE908ELNS1_3gpuE7ELNS1_3repE0EEENS1_30default_config_static_selectorELNS0_4arch9wavefront6targetE0EEEvS12_: ; @_ZN7rocprim17ROCPRIM_400000_NS6detail17trampoline_kernelINS0_13select_configILj256ELj13ELNS0_17block_load_methodE3ELS4_3ELS4_3ELNS0_20block_scan_algorithmE0ELj4294967295EEENS1_25partition_config_selectorILNS1_17partition_subalgoE4EjNS0_10empty_typeEbEEZZNS1_14partition_implILS8_4ELb0ES6_15HIP_vector_typeIjLj2EENS0_17counting_iteratorIjlEEPS9_SG_NS0_5tupleIJPjSI_NS0_16reverse_iteratorISI_EEEEENSH_IJSG_SG_SG_EEES9_SI_JZNS1_25segmented_radix_sort_implINS0_14default_configELb1EPKaPaPKlPlN2at6native12_GLOBAL__N_18offset_tEEE10hipError_tPvRmT1_PNSt15iterator_traitsIS12_E10value_typeET2_T3_PNS13_IS18_E10value_typeET4_jRbjT5_S1E_jjP12ihipStream_tbEUljE_ZNSN_ISO_Lb1ESQ_SR_ST_SU_SY_EESZ_S10_S11_S12_S16_S17_S18_S1B_S1C_jS1D_jS1E_S1E_jjS1G_bEUljE0_EEESZ_S10_S11_S18_S1C_S1E_T6_T7_T9_mT8_S1G_bDpT10_ENKUlT_T0_E_clISt17integral_constantIbLb1EES1T_IbLb0EEEEDaS1P_S1Q_EUlS1P_E_NS1_11comp_targetILNS1_3genE3ELNS1_11target_archE908ELNS1_3gpuE7ELNS1_3repE0EEENS1_30default_config_static_selectorELNS0_4arch9wavefront6targetE0EEEvS12_
; %bb.0:
	.section	.rodata,"a",@progbits
	.p2align	6, 0x0
	.amdhsa_kernel _ZN7rocprim17ROCPRIM_400000_NS6detail17trampoline_kernelINS0_13select_configILj256ELj13ELNS0_17block_load_methodE3ELS4_3ELS4_3ELNS0_20block_scan_algorithmE0ELj4294967295EEENS1_25partition_config_selectorILNS1_17partition_subalgoE4EjNS0_10empty_typeEbEEZZNS1_14partition_implILS8_4ELb0ES6_15HIP_vector_typeIjLj2EENS0_17counting_iteratorIjlEEPS9_SG_NS0_5tupleIJPjSI_NS0_16reverse_iteratorISI_EEEEENSH_IJSG_SG_SG_EEES9_SI_JZNS1_25segmented_radix_sort_implINS0_14default_configELb1EPKaPaPKlPlN2at6native12_GLOBAL__N_18offset_tEEE10hipError_tPvRmT1_PNSt15iterator_traitsIS12_E10value_typeET2_T3_PNS13_IS18_E10value_typeET4_jRbjT5_S1E_jjP12ihipStream_tbEUljE_ZNSN_ISO_Lb1ESQ_SR_ST_SU_SY_EESZ_S10_S11_S12_S16_S17_S18_S1B_S1C_jS1D_jS1E_S1E_jjS1G_bEUljE0_EEESZ_S10_S11_S18_S1C_S1E_T6_T7_T9_mT8_S1G_bDpT10_ENKUlT_T0_E_clISt17integral_constantIbLb1EES1T_IbLb0EEEEDaS1P_S1Q_EUlS1P_E_NS1_11comp_targetILNS1_3genE3ELNS1_11target_archE908ELNS1_3gpuE7ELNS1_3repE0EEENS1_30default_config_static_selectorELNS0_4arch9wavefront6targetE0EEEvS12_
		.amdhsa_group_segment_fixed_size 0
		.amdhsa_private_segment_fixed_size 0
		.amdhsa_kernarg_size 176
		.amdhsa_user_sgpr_count 2
		.amdhsa_user_sgpr_dispatch_ptr 0
		.amdhsa_user_sgpr_queue_ptr 0
		.amdhsa_user_sgpr_kernarg_segment_ptr 1
		.amdhsa_user_sgpr_dispatch_id 0
		.amdhsa_user_sgpr_kernarg_preload_length 0
		.amdhsa_user_sgpr_kernarg_preload_offset 0
		.amdhsa_user_sgpr_private_segment_size 0
		.amdhsa_wavefront_size32 1
		.amdhsa_uses_dynamic_stack 0
		.amdhsa_enable_private_segment 0
		.amdhsa_system_sgpr_workgroup_id_x 1
		.amdhsa_system_sgpr_workgroup_id_y 0
		.amdhsa_system_sgpr_workgroup_id_z 0
		.amdhsa_system_sgpr_workgroup_info 0
		.amdhsa_system_vgpr_workitem_id 0
		.amdhsa_next_free_vgpr 1
		.amdhsa_next_free_sgpr 1
		.amdhsa_named_barrier_count 0
		.amdhsa_reserve_vcc 0
		.amdhsa_float_round_mode_32 0
		.amdhsa_float_round_mode_16_64 0
		.amdhsa_float_denorm_mode_32 3
		.amdhsa_float_denorm_mode_16_64 3
		.amdhsa_fp16_overflow 0
		.amdhsa_memory_ordered 1
		.amdhsa_forward_progress 1
		.amdhsa_inst_pref_size 0
		.amdhsa_round_robin_scheduling 0
		.amdhsa_exception_fp_ieee_invalid_op 0
		.amdhsa_exception_fp_denorm_src 0
		.amdhsa_exception_fp_ieee_div_zero 0
		.amdhsa_exception_fp_ieee_overflow 0
		.amdhsa_exception_fp_ieee_underflow 0
		.amdhsa_exception_fp_ieee_inexact 0
		.amdhsa_exception_int_div_zero 0
	.end_amdhsa_kernel
	.section	.text._ZN7rocprim17ROCPRIM_400000_NS6detail17trampoline_kernelINS0_13select_configILj256ELj13ELNS0_17block_load_methodE3ELS4_3ELS4_3ELNS0_20block_scan_algorithmE0ELj4294967295EEENS1_25partition_config_selectorILNS1_17partition_subalgoE4EjNS0_10empty_typeEbEEZZNS1_14partition_implILS8_4ELb0ES6_15HIP_vector_typeIjLj2EENS0_17counting_iteratorIjlEEPS9_SG_NS0_5tupleIJPjSI_NS0_16reverse_iteratorISI_EEEEENSH_IJSG_SG_SG_EEES9_SI_JZNS1_25segmented_radix_sort_implINS0_14default_configELb1EPKaPaPKlPlN2at6native12_GLOBAL__N_18offset_tEEE10hipError_tPvRmT1_PNSt15iterator_traitsIS12_E10value_typeET2_T3_PNS13_IS18_E10value_typeET4_jRbjT5_S1E_jjP12ihipStream_tbEUljE_ZNSN_ISO_Lb1ESQ_SR_ST_SU_SY_EESZ_S10_S11_S12_S16_S17_S18_S1B_S1C_jS1D_jS1E_S1E_jjS1G_bEUljE0_EEESZ_S10_S11_S18_S1C_S1E_T6_T7_T9_mT8_S1G_bDpT10_ENKUlT_T0_E_clISt17integral_constantIbLb1EES1T_IbLb0EEEEDaS1P_S1Q_EUlS1P_E_NS1_11comp_targetILNS1_3genE3ELNS1_11target_archE908ELNS1_3gpuE7ELNS1_3repE0EEENS1_30default_config_static_selectorELNS0_4arch9wavefront6targetE0EEEvS12_,"axG",@progbits,_ZN7rocprim17ROCPRIM_400000_NS6detail17trampoline_kernelINS0_13select_configILj256ELj13ELNS0_17block_load_methodE3ELS4_3ELS4_3ELNS0_20block_scan_algorithmE0ELj4294967295EEENS1_25partition_config_selectorILNS1_17partition_subalgoE4EjNS0_10empty_typeEbEEZZNS1_14partition_implILS8_4ELb0ES6_15HIP_vector_typeIjLj2EENS0_17counting_iteratorIjlEEPS9_SG_NS0_5tupleIJPjSI_NS0_16reverse_iteratorISI_EEEEENSH_IJSG_SG_SG_EEES9_SI_JZNS1_25segmented_radix_sort_implINS0_14default_configELb1EPKaPaPKlPlN2at6native12_GLOBAL__N_18offset_tEEE10hipError_tPvRmT1_PNSt15iterator_traitsIS12_E10value_typeET2_T3_PNS13_IS18_E10value_typeET4_jRbjT5_S1E_jjP12ihipStream_tbEUljE_ZNSN_ISO_Lb1ESQ_SR_ST_SU_SY_EESZ_S10_S11_S12_S16_S17_S18_S1B_S1C_jS1D_jS1E_S1E_jjS1G_bEUljE0_EEESZ_S10_S11_S18_S1C_S1E_T6_T7_T9_mT8_S1G_bDpT10_ENKUlT_T0_E_clISt17integral_constantIbLb1EES1T_IbLb0EEEEDaS1P_S1Q_EUlS1P_E_NS1_11comp_targetILNS1_3genE3ELNS1_11target_archE908ELNS1_3gpuE7ELNS1_3repE0EEENS1_30default_config_static_selectorELNS0_4arch9wavefront6targetE0EEEvS12_,comdat
.Lfunc_end243:
	.size	_ZN7rocprim17ROCPRIM_400000_NS6detail17trampoline_kernelINS0_13select_configILj256ELj13ELNS0_17block_load_methodE3ELS4_3ELS4_3ELNS0_20block_scan_algorithmE0ELj4294967295EEENS1_25partition_config_selectorILNS1_17partition_subalgoE4EjNS0_10empty_typeEbEEZZNS1_14partition_implILS8_4ELb0ES6_15HIP_vector_typeIjLj2EENS0_17counting_iteratorIjlEEPS9_SG_NS0_5tupleIJPjSI_NS0_16reverse_iteratorISI_EEEEENSH_IJSG_SG_SG_EEES9_SI_JZNS1_25segmented_radix_sort_implINS0_14default_configELb1EPKaPaPKlPlN2at6native12_GLOBAL__N_18offset_tEEE10hipError_tPvRmT1_PNSt15iterator_traitsIS12_E10value_typeET2_T3_PNS13_IS18_E10value_typeET4_jRbjT5_S1E_jjP12ihipStream_tbEUljE_ZNSN_ISO_Lb1ESQ_SR_ST_SU_SY_EESZ_S10_S11_S12_S16_S17_S18_S1B_S1C_jS1D_jS1E_S1E_jjS1G_bEUljE0_EEESZ_S10_S11_S18_S1C_S1E_T6_T7_T9_mT8_S1G_bDpT10_ENKUlT_T0_E_clISt17integral_constantIbLb1EES1T_IbLb0EEEEDaS1P_S1Q_EUlS1P_E_NS1_11comp_targetILNS1_3genE3ELNS1_11target_archE908ELNS1_3gpuE7ELNS1_3repE0EEENS1_30default_config_static_selectorELNS0_4arch9wavefront6targetE0EEEvS12_, .Lfunc_end243-_ZN7rocprim17ROCPRIM_400000_NS6detail17trampoline_kernelINS0_13select_configILj256ELj13ELNS0_17block_load_methodE3ELS4_3ELS4_3ELNS0_20block_scan_algorithmE0ELj4294967295EEENS1_25partition_config_selectorILNS1_17partition_subalgoE4EjNS0_10empty_typeEbEEZZNS1_14partition_implILS8_4ELb0ES6_15HIP_vector_typeIjLj2EENS0_17counting_iteratorIjlEEPS9_SG_NS0_5tupleIJPjSI_NS0_16reverse_iteratorISI_EEEEENSH_IJSG_SG_SG_EEES9_SI_JZNS1_25segmented_radix_sort_implINS0_14default_configELb1EPKaPaPKlPlN2at6native12_GLOBAL__N_18offset_tEEE10hipError_tPvRmT1_PNSt15iterator_traitsIS12_E10value_typeET2_T3_PNS13_IS18_E10value_typeET4_jRbjT5_S1E_jjP12ihipStream_tbEUljE_ZNSN_ISO_Lb1ESQ_SR_ST_SU_SY_EESZ_S10_S11_S12_S16_S17_S18_S1B_S1C_jS1D_jS1E_S1E_jjS1G_bEUljE0_EEESZ_S10_S11_S18_S1C_S1E_T6_T7_T9_mT8_S1G_bDpT10_ENKUlT_T0_E_clISt17integral_constantIbLb1EES1T_IbLb0EEEEDaS1P_S1Q_EUlS1P_E_NS1_11comp_targetILNS1_3genE3ELNS1_11target_archE908ELNS1_3gpuE7ELNS1_3repE0EEENS1_30default_config_static_selectorELNS0_4arch9wavefront6targetE0EEEvS12_
                                        ; -- End function
	.set _ZN7rocprim17ROCPRIM_400000_NS6detail17trampoline_kernelINS0_13select_configILj256ELj13ELNS0_17block_load_methodE3ELS4_3ELS4_3ELNS0_20block_scan_algorithmE0ELj4294967295EEENS1_25partition_config_selectorILNS1_17partition_subalgoE4EjNS0_10empty_typeEbEEZZNS1_14partition_implILS8_4ELb0ES6_15HIP_vector_typeIjLj2EENS0_17counting_iteratorIjlEEPS9_SG_NS0_5tupleIJPjSI_NS0_16reverse_iteratorISI_EEEEENSH_IJSG_SG_SG_EEES9_SI_JZNS1_25segmented_radix_sort_implINS0_14default_configELb1EPKaPaPKlPlN2at6native12_GLOBAL__N_18offset_tEEE10hipError_tPvRmT1_PNSt15iterator_traitsIS12_E10value_typeET2_T3_PNS13_IS18_E10value_typeET4_jRbjT5_S1E_jjP12ihipStream_tbEUljE_ZNSN_ISO_Lb1ESQ_SR_ST_SU_SY_EESZ_S10_S11_S12_S16_S17_S18_S1B_S1C_jS1D_jS1E_S1E_jjS1G_bEUljE0_EEESZ_S10_S11_S18_S1C_S1E_T6_T7_T9_mT8_S1G_bDpT10_ENKUlT_T0_E_clISt17integral_constantIbLb1EES1T_IbLb0EEEEDaS1P_S1Q_EUlS1P_E_NS1_11comp_targetILNS1_3genE3ELNS1_11target_archE908ELNS1_3gpuE7ELNS1_3repE0EEENS1_30default_config_static_selectorELNS0_4arch9wavefront6targetE0EEEvS12_.num_vgpr, 0
	.set _ZN7rocprim17ROCPRIM_400000_NS6detail17trampoline_kernelINS0_13select_configILj256ELj13ELNS0_17block_load_methodE3ELS4_3ELS4_3ELNS0_20block_scan_algorithmE0ELj4294967295EEENS1_25partition_config_selectorILNS1_17partition_subalgoE4EjNS0_10empty_typeEbEEZZNS1_14partition_implILS8_4ELb0ES6_15HIP_vector_typeIjLj2EENS0_17counting_iteratorIjlEEPS9_SG_NS0_5tupleIJPjSI_NS0_16reverse_iteratorISI_EEEEENSH_IJSG_SG_SG_EEES9_SI_JZNS1_25segmented_radix_sort_implINS0_14default_configELb1EPKaPaPKlPlN2at6native12_GLOBAL__N_18offset_tEEE10hipError_tPvRmT1_PNSt15iterator_traitsIS12_E10value_typeET2_T3_PNS13_IS18_E10value_typeET4_jRbjT5_S1E_jjP12ihipStream_tbEUljE_ZNSN_ISO_Lb1ESQ_SR_ST_SU_SY_EESZ_S10_S11_S12_S16_S17_S18_S1B_S1C_jS1D_jS1E_S1E_jjS1G_bEUljE0_EEESZ_S10_S11_S18_S1C_S1E_T6_T7_T9_mT8_S1G_bDpT10_ENKUlT_T0_E_clISt17integral_constantIbLb1EES1T_IbLb0EEEEDaS1P_S1Q_EUlS1P_E_NS1_11comp_targetILNS1_3genE3ELNS1_11target_archE908ELNS1_3gpuE7ELNS1_3repE0EEENS1_30default_config_static_selectorELNS0_4arch9wavefront6targetE0EEEvS12_.num_agpr, 0
	.set _ZN7rocprim17ROCPRIM_400000_NS6detail17trampoline_kernelINS0_13select_configILj256ELj13ELNS0_17block_load_methodE3ELS4_3ELS4_3ELNS0_20block_scan_algorithmE0ELj4294967295EEENS1_25partition_config_selectorILNS1_17partition_subalgoE4EjNS0_10empty_typeEbEEZZNS1_14partition_implILS8_4ELb0ES6_15HIP_vector_typeIjLj2EENS0_17counting_iteratorIjlEEPS9_SG_NS0_5tupleIJPjSI_NS0_16reverse_iteratorISI_EEEEENSH_IJSG_SG_SG_EEES9_SI_JZNS1_25segmented_radix_sort_implINS0_14default_configELb1EPKaPaPKlPlN2at6native12_GLOBAL__N_18offset_tEEE10hipError_tPvRmT1_PNSt15iterator_traitsIS12_E10value_typeET2_T3_PNS13_IS18_E10value_typeET4_jRbjT5_S1E_jjP12ihipStream_tbEUljE_ZNSN_ISO_Lb1ESQ_SR_ST_SU_SY_EESZ_S10_S11_S12_S16_S17_S18_S1B_S1C_jS1D_jS1E_S1E_jjS1G_bEUljE0_EEESZ_S10_S11_S18_S1C_S1E_T6_T7_T9_mT8_S1G_bDpT10_ENKUlT_T0_E_clISt17integral_constantIbLb1EES1T_IbLb0EEEEDaS1P_S1Q_EUlS1P_E_NS1_11comp_targetILNS1_3genE3ELNS1_11target_archE908ELNS1_3gpuE7ELNS1_3repE0EEENS1_30default_config_static_selectorELNS0_4arch9wavefront6targetE0EEEvS12_.numbered_sgpr, 0
	.set _ZN7rocprim17ROCPRIM_400000_NS6detail17trampoline_kernelINS0_13select_configILj256ELj13ELNS0_17block_load_methodE3ELS4_3ELS4_3ELNS0_20block_scan_algorithmE0ELj4294967295EEENS1_25partition_config_selectorILNS1_17partition_subalgoE4EjNS0_10empty_typeEbEEZZNS1_14partition_implILS8_4ELb0ES6_15HIP_vector_typeIjLj2EENS0_17counting_iteratorIjlEEPS9_SG_NS0_5tupleIJPjSI_NS0_16reverse_iteratorISI_EEEEENSH_IJSG_SG_SG_EEES9_SI_JZNS1_25segmented_radix_sort_implINS0_14default_configELb1EPKaPaPKlPlN2at6native12_GLOBAL__N_18offset_tEEE10hipError_tPvRmT1_PNSt15iterator_traitsIS12_E10value_typeET2_T3_PNS13_IS18_E10value_typeET4_jRbjT5_S1E_jjP12ihipStream_tbEUljE_ZNSN_ISO_Lb1ESQ_SR_ST_SU_SY_EESZ_S10_S11_S12_S16_S17_S18_S1B_S1C_jS1D_jS1E_S1E_jjS1G_bEUljE0_EEESZ_S10_S11_S18_S1C_S1E_T6_T7_T9_mT8_S1G_bDpT10_ENKUlT_T0_E_clISt17integral_constantIbLb1EES1T_IbLb0EEEEDaS1P_S1Q_EUlS1P_E_NS1_11comp_targetILNS1_3genE3ELNS1_11target_archE908ELNS1_3gpuE7ELNS1_3repE0EEENS1_30default_config_static_selectorELNS0_4arch9wavefront6targetE0EEEvS12_.num_named_barrier, 0
	.set _ZN7rocprim17ROCPRIM_400000_NS6detail17trampoline_kernelINS0_13select_configILj256ELj13ELNS0_17block_load_methodE3ELS4_3ELS4_3ELNS0_20block_scan_algorithmE0ELj4294967295EEENS1_25partition_config_selectorILNS1_17partition_subalgoE4EjNS0_10empty_typeEbEEZZNS1_14partition_implILS8_4ELb0ES6_15HIP_vector_typeIjLj2EENS0_17counting_iteratorIjlEEPS9_SG_NS0_5tupleIJPjSI_NS0_16reverse_iteratorISI_EEEEENSH_IJSG_SG_SG_EEES9_SI_JZNS1_25segmented_radix_sort_implINS0_14default_configELb1EPKaPaPKlPlN2at6native12_GLOBAL__N_18offset_tEEE10hipError_tPvRmT1_PNSt15iterator_traitsIS12_E10value_typeET2_T3_PNS13_IS18_E10value_typeET4_jRbjT5_S1E_jjP12ihipStream_tbEUljE_ZNSN_ISO_Lb1ESQ_SR_ST_SU_SY_EESZ_S10_S11_S12_S16_S17_S18_S1B_S1C_jS1D_jS1E_S1E_jjS1G_bEUljE0_EEESZ_S10_S11_S18_S1C_S1E_T6_T7_T9_mT8_S1G_bDpT10_ENKUlT_T0_E_clISt17integral_constantIbLb1EES1T_IbLb0EEEEDaS1P_S1Q_EUlS1P_E_NS1_11comp_targetILNS1_3genE3ELNS1_11target_archE908ELNS1_3gpuE7ELNS1_3repE0EEENS1_30default_config_static_selectorELNS0_4arch9wavefront6targetE0EEEvS12_.private_seg_size, 0
	.set _ZN7rocprim17ROCPRIM_400000_NS6detail17trampoline_kernelINS0_13select_configILj256ELj13ELNS0_17block_load_methodE3ELS4_3ELS4_3ELNS0_20block_scan_algorithmE0ELj4294967295EEENS1_25partition_config_selectorILNS1_17partition_subalgoE4EjNS0_10empty_typeEbEEZZNS1_14partition_implILS8_4ELb0ES6_15HIP_vector_typeIjLj2EENS0_17counting_iteratorIjlEEPS9_SG_NS0_5tupleIJPjSI_NS0_16reverse_iteratorISI_EEEEENSH_IJSG_SG_SG_EEES9_SI_JZNS1_25segmented_radix_sort_implINS0_14default_configELb1EPKaPaPKlPlN2at6native12_GLOBAL__N_18offset_tEEE10hipError_tPvRmT1_PNSt15iterator_traitsIS12_E10value_typeET2_T3_PNS13_IS18_E10value_typeET4_jRbjT5_S1E_jjP12ihipStream_tbEUljE_ZNSN_ISO_Lb1ESQ_SR_ST_SU_SY_EESZ_S10_S11_S12_S16_S17_S18_S1B_S1C_jS1D_jS1E_S1E_jjS1G_bEUljE0_EEESZ_S10_S11_S18_S1C_S1E_T6_T7_T9_mT8_S1G_bDpT10_ENKUlT_T0_E_clISt17integral_constantIbLb1EES1T_IbLb0EEEEDaS1P_S1Q_EUlS1P_E_NS1_11comp_targetILNS1_3genE3ELNS1_11target_archE908ELNS1_3gpuE7ELNS1_3repE0EEENS1_30default_config_static_selectorELNS0_4arch9wavefront6targetE0EEEvS12_.uses_vcc, 0
	.set _ZN7rocprim17ROCPRIM_400000_NS6detail17trampoline_kernelINS0_13select_configILj256ELj13ELNS0_17block_load_methodE3ELS4_3ELS4_3ELNS0_20block_scan_algorithmE0ELj4294967295EEENS1_25partition_config_selectorILNS1_17partition_subalgoE4EjNS0_10empty_typeEbEEZZNS1_14partition_implILS8_4ELb0ES6_15HIP_vector_typeIjLj2EENS0_17counting_iteratorIjlEEPS9_SG_NS0_5tupleIJPjSI_NS0_16reverse_iteratorISI_EEEEENSH_IJSG_SG_SG_EEES9_SI_JZNS1_25segmented_radix_sort_implINS0_14default_configELb1EPKaPaPKlPlN2at6native12_GLOBAL__N_18offset_tEEE10hipError_tPvRmT1_PNSt15iterator_traitsIS12_E10value_typeET2_T3_PNS13_IS18_E10value_typeET4_jRbjT5_S1E_jjP12ihipStream_tbEUljE_ZNSN_ISO_Lb1ESQ_SR_ST_SU_SY_EESZ_S10_S11_S12_S16_S17_S18_S1B_S1C_jS1D_jS1E_S1E_jjS1G_bEUljE0_EEESZ_S10_S11_S18_S1C_S1E_T6_T7_T9_mT8_S1G_bDpT10_ENKUlT_T0_E_clISt17integral_constantIbLb1EES1T_IbLb0EEEEDaS1P_S1Q_EUlS1P_E_NS1_11comp_targetILNS1_3genE3ELNS1_11target_archE908ELNS1_3gpuE7ELNS1_3repE0EEENS1_30default_config_static_selectorELNS0_4arch9wavefront6targetE0EEEvS12_.uses_flat_scratch, 0
	.set _ZN7rocprim17ROCPRIM_400000_NS6detail17trampoline_kernelINS0_13select_configILj256ELj13ELNS0_17block_load_methodE3ELS4_3ELS4_3ELNS0_20block_scan_algorithmE0ELj4294967295EEENS1_25partition_config_selectorILNS1_17partition_subalgoE4EjNS0_10empty_typeEbEEZZNS1_14partition_implILS8_4ELb0ES6_15HIP_vector_typeIjLj2EENS0_17counting_iteratorIjlEEPS9_SG_NS0_5tupleIJPjSI_NS0_16reverse_iteratorISI_EEEEENSH_IJSG_SG_SG_EEES9_SI_JZNS1_25segmented_radix_sort_implINS0_14default_configELb1EPKaPaPKlPlN2at6native12_GLOBAL__N_18offset_tEEE10hipError_tPvRmT1_PNSt15iterator_traitsIS12_E10value_typeET2_T3_PNS13_IS18_E10value_typeET4_jRbjT5_S1E_jjP12ihipStream_tbEUljE_ZNSN_ISO_Lb1ESQ_SR_ST_SU_SY_EESZ_S10_S11_S12_S16_S17_S18_S1B_S1C_jS1D_jS1E_S1E_jjS1G_bEUljE0_EEESZ_S10_S11_S18_S1C_S1E_T6_T7_T9_mT8_S1G_bDpT10_ENKUlT_T0_E_clISt17integral_constantIbLb1EES1T_IbLb0EEEEDaS1P_S1Q_EUlS1P_E_NS1_11comp_targetILNS1_3genE3ELNS1_11target_archE908ELNS1_3gpuE7ELNS1_3repE0EEENS1_30default_config_static_selectorELNS0_4arch9wavefront6targetE0EEEvS12_.has_dyn_sized_stack, 0
	.set _ZN7rocprim17ROCPRIM_400000_NS6detail17trampoline_kernelINS0_13select_configILj256ELj13ELNS0_17block_load_methodE3ELS4_3ELS4_3ELNS0_20block_scan_algorithmE0ELj4294967295EEENS1_25partition_config_selectorILNS1_17partition_subalgoE4EjNS0_10empty_typeEbEEZZNS1_14partition_implILS8_4ELb0ES6_15HIP_vector_typeIjLj2EENS0_17counting_iteratorIjlEEPS9_SG_NS0_5tupleIJPjSI_NS0_16reverse_iteratorISI_EEEEENSH_IJSG_SG_SG_EEES9_SI_JZNS1_25segmented_radix_sort_implINS0_14default_configELb1EPKaPaPKlPlN2at6native12_GLOBAL__N_18offset_tEEE10hipError_tPvRmT1_PNSt15iterator_traitsIS12_E10value_typeET2_T3_PNS13_IS18_E10value_typeET4_jRbjT5_S1E_jjP12ihipStream_tbEUljE_ZNSN_ISO_Lb1ESQ_SR_ST_SU_SY_EESZ_S10_S11_S12_S16_S17_S18_S1B_S1C_jS1D_jS1E_S1E_jjS1G_bEUljE0_EEESZ_S10_S11_S18_S1C_S1E_T6_T7_T9_mT8_S1G_bDpT10_ENKUlT_T0_E_clISt17integral_constantIbLb1EES1T_IbLb0EEEEDaS1P_S1Q_EUlS1P_E_NS1_11comp_targetILNS1_3genE3ELNS1_11target_archE908ELNS1_3gpuE7ELNS1_3repE0EEENS1_30default_config_static_selectorELNS0_4arch9wavefront6targetE0EEEvS12_.has_recursion, 0
	.set _ZN7rocprim17ROCPRIM_400000_NS6detail17trampoline_kernelINS0_13select_configILj256ELj13ELNS0_17block_load_methodE3ELS4_3ELS4_3ELNS0_20block_scan_algorithmE0ELj4294967295EEENS1_25partition_config_selectorILNS1_17partition_subalgoE4EjNS0_10empty_typeEbEEZZNS1_14partition_implILS8_4ELb0ES6_15HIP_vector_typeIjLj2EENS0_17counting_iteratorIjlEEPS9_SG_NS0_5tupleIJPjSI_NS0_16reverse_iteratorISI_EEEEENSH_IJSG_SG_SG_EEES9_SI_JZNS1_25segmented_radix_sort_implINS0_14default_configELb1EPKaPaPKlPlN2at6native12_GLOBAL__N_18offset_tEEE10hipError_tPvRmT1_PNSt15iterator_traitsIS12_E10value_typeET2_T3_PNS13_IS18_E10value_typeET4_jRbjT5_S1E_jjP12ihipStream_tbEUljE_ZNSN_ISO_Lb1ESQ_SR_ST_SU_SY_EESZ_S10_S11_S12_S16_S17_S18_S1B_S1C_jS1D_jS1E_S1E_jjS1G_bEUljE0_EEESZ_S10_S11_S18_S1C_S1E_T6_T7_T9_mT8_S1G_bDpT10_ENKUlT_T0_E_clISt17integral_constantIbLb1EES1T_IbLb0EEEEDaS1P_S1Q_EUlS1P_E_NS1_11comp_targetILNS1_3genE3ELNS1_11target_archE908ELNS1_3gpuE7ELNS1_3repE0EEENS1_30default_config_static_selectorELNS0_4arch9wavefront6targetE0EEEvS12_.has_indirect_call, 0
	.section	.AMDGPU.csdata,"",@progbits
; Kernel info:
; codeLenInByte = 0
; TotalNumSgprs: 0
; NumVgprs: 0
; ScratchSize: 0
; MemoryBound: 0
; FloatMode: 240
; IeeeMode: 1
; LDSByteSize: 0 bytes/workgroup (compile time only)
; SGPRBlocks: 0
; VGPRBlocks: 0
; NumSGPRsForWavesPerEU: 1
; NumVGPRsForWavesPerEU: 1
; NamedBarCnt: 0
; Occupancy: 16
; WaveLimiterHint : 0
; COMPUTE_PGM_RSRC2:SCRATCH_EN: 0
; COMPUTE_PGM_RSRC2:USER_SGPR: 2
; COMPUTE_PGM_RSRC2:TRAP_HANDLER: 0
; COMPUTE_PGM_RSRC2:TGID_X_EN: 1
; COMPUTE_PGM_RSRC2:TGID_Y_EN: 0
; COMPUTE_PGM_RSRC2:TGID_Z_EN: 0
; COMPUTE_PGM_RSRC2:TIDIG_COMP_CNT: 0
	.section	.text._ZN7rocprim17ROCPRIM_400000_NS6detail17trampoline_kernelINS0_13select_configILj256ELj13ELNS0_17block_load_methodE3ELS4_3ELS4_3ELNS0_20block_scan_algorithmE0ELj4294967295EEENS1_25partition_config_selectorILNS1_17partition_subalgoE4EjNS0_10empty_typeEbEEZZNS1_14partition_implILS8_4ELb0ES6_15HIP_vector_typeIjLj2EENS0_17counting_iteratorIjlEEPS9_SG_NS0_5tupleIJPjSI_NS0_16reverse_iteratorISI_EEEEENSH_IJSG_SG_SG_EEES9_SI_JZNS1_25segmented_radix_sort_implINS0_14default_configELb1EPKaPaPKlPlN2at6native12_GLOBAL__N_18offset_tEEE10hipError_tPvRmT1_PNSt15iterator_traitsIS12_E10value_typeET2_T3_PNS13_IS18_E10value_typeET4_jRbjT5_S1E_jjP12ihipStream_tbEUljE_ZNSN_ISO_Lb1ESQ_SR_ST_SU_SY_EESZ_S10_S11_S12_S16_S17_S18_S1B_S1C_jS1D_jS1E_S1E_jjS1G_bEUljE0_EEESZ_S10_S11_S18_S1C_S1E_T6_T7_T9_mT8_S1G_bDpT10_ENKUlT_T0_E_clISt17integral_constantIbLb1EES1T_IbLb0EEEEDaS1P_S1Q_EUlS1P_E_NS1_11comp_targetILNS1_3genE2ELNS1_11target_archE906ELNS1_3gpuE6ELNS1_3repE0EEENS1_30default_config_static_selectorELNS0_4arch9wavefront6targetE0EEEvS12_,"axG",@progbits,_ZN7rocprim17ROCPRIM_400000_NS6detail17trampoline_kernelINS0_13select_configILj256ELj13ELNS0_17block_load_methodE3ELS4_3ELS4_3ELNS0_20block_scan_algorithmE0ELj4294967295EEENS1_25partition_config_selectorILNS1_17partition_subalgoE4EjNS0_10empty_typeEbEEZZNS1_14partition_implILS8_4ELb0ES6_15HIP_vector_typeIjLj2EENS0_17counting_iteratorIjlEEPS9_SG_NS0_5tupleIJPjSI_NS0_16reverse_iteratorISI_EEEEENSH_IJSG_SG_SG_EEES9_SI_JZNS1_25segmented_radix_sort_implINS0_14default_configELb1EPKaPaPKlPlN2at6native12_GLOBAL__N_18offset_tEEE10hipError_tPvRmT1_PNSt15iterator_traitsIS12_E10value_typeET2_T3_PNS13_IS18_E10value_typeET4_jRbjT5_S1E_jjP12ihipStream_tbEUljE_ZNSN_ISO_Lb1ESQ_SR_ST_SU_SY_EESZ_S10_S11_S12_S16_S17_S18_S1B_S1C_jS1D_jS1E_S1E_jjS1G_bEUljE0_EEESZ_S10_S11_S18_S1C_S1E_T6_T7_T9_mT8_S1G_bDpT10_ENKUlT_T0_E_clISt17integral_constantIbLb1EES1T_IbLb0EEEEDaS1P_S1Q_EUlS1P_E_NS1_11comp_targetILNS1_3genE2ELNS1_11target_archE906ELNS1_3gpuE6ELNS1_3repE0EEENS1_30default_config_static_selectorELNS0_4arch9wavefront6targetE0EEEvS12_,comdat
	.globl	_ZN7rocprim17ROCPRIM_400000_NS6detail17trampoline_kernelINS0_13select_configILj256ELj13ELNS0_17block_load_methodE3ELS4_3ELS4_3ELNS0_20block_scan_algorithmE0ELj4294967295EEENS1_25partition_config_selectorILNS1_17partition_subalgoE4EjNS0_10empty_typeEbEEZZNS1_14partition_implILS8_4ELb0ES6_15HIP_vector_typeIjLj2EENS0_17counting_iteratorIjlEEPS9_SG_NS0_5tupleIJPjSI_NS0_16reverse_iteratorISI_EEEEENSH_IJSG_SG_SG_EEES9_SI_JZNS1_25segmented_radix_sort_implINS0_14default_configELb1EPKaPaPKlPlN2at6native12_GLOBAL__N_18offset_tEEE10hipError_tPvRmT1_PNSt15iterator_traitsIS12_E10value_typeET2_T3_PNS13_IS18_E10value_typeET4_jRbjT5_S1E_jjP12ihipStream_tbEUljE_ZNSN_ISO_Lb1ESQ_SR_ST_SU_SY_EESZ_S10_S11_S12_S16_S17_S18_S1B_S1C_jS1D_jS1E_S1E_jjS1G_bEUljE0_EEESZ_S10_S11_S18_S1C_S1E_T6_T7_T9_mT8_S1G_bDpT10_ENKUlT_T0_E_clISt17integral_constantIbLb1EES1T_IbLb0EEEEDaS1P_S1Q_EUlS1P_E_NS1_11comp_targetILNS1_3genE2ELNS1_11target_archE906ELNS1_3gpuE6ELNS1_3repE0EEENS1_30default_config_static_selectorELNS0_4arch9wavefront6targetE0EEEvS12_ ; -- Begin function _ZN7rocprim17ROCPRIM_400000_NS6detail17trampoline_kernelINS0_13select_configILj256ELj13ELNS0_17block_load_methodE3ELS4_3ELS4_3ELNS0_20block_scan_algorithmE0ELj4294967295EEENS1_25partition_config_selectorILNS1_17partition_subalgoE4EjNS0_10empty_typeEbEEZZNS1_14partition_implILS8_4ELb0ES6_15HIP_vector_typeIjLj2EENS0_17counting_iteratorIjlEEPS9_SG_NS0_5tupleIJPjSI_NS0_16reverse_iteratorISI_EEEEENSH_IJSG_SG_SG_EEES9_SI_JZNS1_25segmented_radix_sort_implINS0_14default_configELb1EPKaPaPKlPlN2at6native12_GLOBAL__N_18offset_tEEE10hipError_tPvRmT1_PNSt15iterator_traitsIS12_E10value_typeET2_T3_PNS13_IS18_E10value_typeET4_jRbjT5_S1E_jjP12ihipStream_tbEUljE_ZNSN_ISO_Lb1ESQ_SR_ST_SU_SY_EESZ_S10_S11_S12_S16_S17_S18_S1B_S1C_jS1D_jS1E_S1E_jjS1G_bEUljE0_EEESZ_S10_S11_S18_S1C_S1E_T6_T7_T9_mT8_S1G_bDpT10_ENKUlT_T0_E_clISt17integral_constantIbLb1EES1T_IbLb0EEEEDaS1P_S1Q_EUlS1P_E_NS1_11comp_targetILNS1_3genE2ELNS1_11target_archE906ELNS1_3gpuE6ELNS1_3repE0EEENS1_30default_config_static_selectorELNS0_4arch9wavefront6targetE0EEEvS12_
	.p2align	8
	.type	_ZN7rocprim17ROCPRIM_400000_NS6detail17trampoline_kernelINS0_13select_configILj256ELj13ELNS0_17block_load_methodE3ELS4_3ELS4_3ELNS0_20block_scan_algorithmE0ELj4294967295EEENS1_25partition_config_selectorILNS1_17partition_subalgoE4EjNS0_10empty_typeEbEEZZNS1_14partition_implILS8_4ELb0ES6_15HIP_vector_typeIjLj2EENS0_17counting_iteratorIjlEEPS9_SG_NS0_5tupleIJPjSI_NS0_16reverse_iteratorISI_EEEEENSH_IJSG_SG_SG_EEES9_SI_JZNS1_25segmented_radix_sort_implINS0_14default_configELb1EPKaPaPKlPlN2at6native12_GLOBAL__N_18offset_tEEE10hipError_tPvRmT1_PNSt15iterator_traitsIS12_E10value_typeET2_T3_PNS13_IS18_E10value_typeET4_jRbjT5_S1E_jjP12ihipStream_tbEUljE_ZNSN_ISO_Lb1ESQ_SR_ST_SU_SY_EESZ_S10_S11_S12_S16_S17_S18_S1B_S1C_jS1D_jS1E_S1E_jjS1G_bEUljE0_EEESZ_S10_S11_S18_S1C_S1E_T6_T7_T9_mT8_S1G_bDpT10_ENKUlT_T0_E_clISt17integral_constantIbLb1EES1T_IbLb0EEEEDaS1P_S1Q_EUlS1P_E_NS1_11comp_targetILNS1_3genE2ELNS1_11target_archE906ELNS1_3gpuE6ELNS1_3repE0EEENS1_30default_config_static_selectorELNS0_4arch9wavefront6targetE0EEEvS12_,@function
_ZN7rocprim17ROCPRIM_400000_NS6detail17trampoline_kernelINS0_13select_configILj256ELj13ELNS0_17block_load_methodE3ELS4_3ELS4_3ELNS0_20block_scan_algorithmE0ELj4294967295EEENS1_25partition_config_selectorILNS1_17partition_subalgoE4EjNS0_10empty_typeEbEEZZNS1_14partition_implILS8_4ELb0ES6_15HIP_vector_typeIjLj2EENS0_17counting_iteratorIjlEEPS9_SG_NS0_5tupleIJPjSI_NS0_16reverse_iteratorISI_EEEEENSH_IJSG_SG_SG_EEES9_SI_JZNS1_25segmented_radix_sort_implINS0_14default_configELb1EPKaPaPKlPlN2at6native12_GLOBAL__N_18offset_tEEE10hipError_tPvRmT1_PNSt15iterator_traitsIS12_E10value_typeET2_T3_PNS13_IS18_E10value_typeET4_jRbjT5_S1E_jjP12ihipStream_tbEUljE_ZNSN_ISO_Lb1ESQ_SR_ST_SU_SY_EESZ_S10_S11_S12_S16_S17_S18_S1B_S1C_jS1D_jS1E_S1E_jjS1G_bEUljE0_EEESZ_S10_S11_S18_S1C_S1E_T6_T7_T9_mT8_S1G_bDpT10_ENKUlT_T0_E_clISt17integral_constantIbLb1EES1T_IbLb0EEEEDaS1P_S1Q_EUlS1P_E_NS1_11comp_targetILNS1_3genE2ELNS1_11target_archE906ELNS1_3gpuE6ELNS1_3repE0EEENS1_30default_config_static_selectorELNS0_4arch9wavefront6targetE0EEEvS12_: ; @_ZN7rocprim17ROCPRIM_400000_NS6detail17trampoline_kernelINS0_13select_configILj256ELj13ELNS0_17block_load_methodE3ELS4_3ELS4_3ELNS0_20block_scan_algorithmE0ELj4294967295EEENS1_25partition_config_selectorILNS1_17partition_subalgoE4EjNS0_10empty_typeEbEEZZNS1_14partition_implILS8_4ELb0ES6_15HIP_vector_typeIjLj2EENS0_17counting_iteratorIjlEEPS9_SG_NS0_5tupleIJPjSI_NS0_16reverse_iteratorISI_EEEEENSH_IJSG_SG_SG_EEES9_SI_JZNS1_25segmented_radix_sort_implINS0_14default_configELb1EPKaPaPKlPlN2at6native12_GLOBAL__N_18offset_tEEE10hipError_tPvRmT1_PNSt15iterator_traitsIS12_E10value_typeET2_T3_PNS13_IS18_E10value_typeET4_jRbjT5_S1E_jjP12ihipStream_tbEUljE_ZNSN_ISO_Lb1ESQ_SR_ST_SU_SY_EESZ_S10_S11_S12_S16_S17_S18_S1B_S1C_jS1D_jS1E_S1E_jjS1G_bEUljE0_EEESZ_S10_S11_S18_S1C_S1E_T6_T7_T9_mT8_S1G_bDpT10_ENKUlT_T0_E_clISt17integral_constantIbLb1EES1T_IbLb0EEEEDaS1P_S1Q_EUlS1P_E_NS1_11comp_targetILNS1_3genE2ELNS1_11target_archE906ELNS1_3gpuE6ELNS1_3repE0EEENS1_30default_config_static_selectorELNS0_4arch9wavefront6targetE0EEEvS12_
; %bb.0:
	.section	.rodata,"a",@progbits
	.p2align	6, 0x0
	.amdhsa_kernel _ZN7rocprim17ROCPRIM_400000_NS6detail17trampoline_kernelINS0_13select_configILj256ELj13ELNS0_17block_load_methodE3ELS4_3ELS4_3ELNS0_20block_scan_algorithmE0ELj4294967295EEENS1_25partition_config_selectorILNS1_17partition_subalgoE4EjNS0_10empty_typeEbEEZZNS1_14partition_implILS8_4ELb0ES6_15HIP_vector_typeIjLj2EENS0_17counting_iteratorIjlEEPS9_SG_NS0_5tupleIJPjSI_NS0_16reverse_iteratorISI_EEEEENSH_IJSG_SG_SG_EEES9_SI_JZNS1_25segmented_radix_sort_implINS0_14default_configELb1EPKaPaPKlPlN2at6native12_GLOBAL__N_18offset_tEEE10hipError_tPvRmT1_PNSt15iterator_traitsIS12_E10value_typeET2_T3_PNS13_IS18_E10value_typeET4_jRbjT5_S1E_jjP12ihipStream_tbEUljE_ZNSN_ISO_Lb1ESQ_SR_ST_SU_SY_EESZ_S10_S11_S12_S16_S17_S18_S1B_S1C_jS1D_jS1E_S1E_jjS1G_bEUljE0_EEESZ_S10_S11_S18_S1C_S1E_T6_T7_T9_mT8_S1G_bDpT10_ENKUlT_T0_E_clISt17integral_constantIbLb1EES1T_IbLb0EEEEDaS1P_S1Q_EUlS1P_E_NS1_11comp_targetILNS1_3genE2ELNS1_11target_archE906ELNS1_3gpuE6ELNS1_3repE0EEENS1_30default_config_static_selectorELNS0_4arch9wavefront6targetE0EEEvS12_
		.amdhsa_group_segment_fixed_size 0
		.amdhsa_private_segment_fixed_size 0
		.amdhsa_kernarg_size 176
		.amdhsa_user_sgpr_count 2
		.amdhsa_user_sgpr_dispatch_ptr 0
		.amdhsa_user_sgpr_queue_ptr 0
		.amdhsa_user_sgpr_kernarg_segment_ptr 1
		.amdhsa_user_sgpr_dispatch_id 0
		.amdhsa_user_sgpr_kernarg_preload_length 0
		.amdhsa_user_sgpr_kernarg_preload_offset 0
		.amdhsa_user_sgpr_private_segment_size 0
		.amdhsa_wavefront_size32 1
		.amdhsa_uses_dynamic_stack 0
		.amdhsa_enable_private_segment 0
		.amdhsa_system_sgpr_workgroup_id_x 1
		.amdhsa_system_sgpr_workgroup_id_y 0
		.amdhsa_system_sgpr_workgroup_id_z 0
		.amdhsa_system_sgpr_workgroup_info 0
		.amdhsa_system_vgpr_workitem_id 0
		.amdhsa_next_free_vgpr 1
		.amdhsa_next_free_sgpr 1
		.amdhsa_named_barrier_count 0
		.amdhsa_reserve_vcc 0
		.amdhsa_float_round_mode_32 0
		.amdhsa_float_round_mode_16_64 0
		.amdhsa_float_denorm_mode_32 3
		.amdhsa_float_denorm_mode_16_64 3
		.amdhsa_fp16_overflow 0
		.amdhsa_memory_ordered 1
		.amdhsa_forward_progress 1
		.amdhsa_inst_pref_size 0
		.amdhsa_round_robin_scheduling 0
		.amdhsa_exception_fp_ieee_invalid_op 0
		.amdhsa_exception_fp_denorm_src 0
		.amdhsa_exception_fp_ieee_div_zero 0
		.amdhsa_exception_fp_ieee_overflow 0
		.amdhsa_exception_fp_ieee_underflow 0
		.amdhsa_exception_fp_ieee_inexact 0
		.amdhsa_exception_int_div_zero 0
	.end_amdhsa_kernel
	.section	.text._ZN7rocprim17ROCPRIM_400000_NS6detail17trampoline_kernelINS0_13select_configILj256ELj13ELNS0_17block_load_methodE3ELS4_3ELS4_3ELNS0_20block_scan_algorithmE0ELj4294967295EEENS1_25partition_config_selectorILNS1_17partition_subalgoE4EjNS0_10empty_typeEbEEZZNS1_14partition_implILS8_4ELb0ES6_15HIP_vector_typeIjLj2EENS0_17counting_iteratorIjlEEPS9_SG_NS0_5tupleIJPjSI_NS0_16reverse_iteratorISI_EEEEENSH_IJSG_SG_SG_EEES9_SI_JZNS1_25segmented_radix_sort_implINS0_14default_configELb1EPKaPaPKlPlN2at6native12_GLOBAL__N_18offset_tEEE10hipError_tPvRmT1_PNSt15iterator_traitsIS12_E10value_typeET2_T3_PNS13_IS18_E10value_typeET4_jRbjT5_S1E_jjP12ihipStream_tbEUljE_ZNSN_ISO_Lb1ESQ_SR_ST_SU_SY_EESZ_S10_S11_S12_S16_S17_S18_S1B_S1C_jS1D_jS1E_S1E_jjS1G_bEUljE0_EEESZ_S10_S11_S18_S1C_S1E_T6_T7_T9_mT8_S1G_bDpT10_ENKUlT_T0_E_clISt17integral_constantIbLb1EES1T_IbLb0EEEEDaS1P_S1Q_EUlS1P_E_NS1_11comp_targetILNS1_3genE2ELNS1_11target_archE906ELNS1_3gpuE6ELNS1_3repE0EEENS1_30default_config_static_selectorELNS0_4arch9wavefront6targetE0EEEvS12_,"axG",@progbits,_ZN7rocprim17ROCPRIM_400000_NS6detail17trampoline_kernelINS0_13select_configILj256ELj13ELNS0_17block_load_methodE3ELS4_3ELS4_3ELNS0_20block_scan_algorithmE0ELj4294967295EEENS1_25partition_config_selectorILNS1_17partition_subalgoE4EjNS0_10empty_typeEbEEZZNS1_14partition_implILS8_4ELb0ES6_15HIP_vector_typeIjLj2EENS0_17counting_iteratorIjlEEPS9_SG_NS0_5tupleIJPjSI_NS0_16reverse_iteratorISI_EEEEENSH_IJSG_SG_SG_EEES9_SI_JZNS1_25segmented_radix_sort_implINS0_14default_configELb1EPKaPaPKlPlN2at6native12_GLOBAL__N_18offset_tEEE10hipError_tPvRmT1_PNSt15iterator_traitsIS12_E10value_typeET2_T3_PNS13_IS18_E10value_typeET4_jRbjT5_S1E_jjP12ihipStream_tbEUljE_ZNSN_ISO_Lb1ESQ_SR_ST_SU_SY_EESZ_S10_S11_S12_S16_S17_S18_S1B_S1C_jS1D_jS1E_S1E_jjS1G_bEUljE0_EEESZ_S10_S11_S18_S1C_S1E_T6_T7_T9_mT8_S1G_bDpT10_ENKUlT_T0_E_clISt17integral_constantIbLb1EES1T_IbLb0EEEEDaS1P_S1Q_EUlS1P_E_NS1_11comp_targetILNS1_3genE2ELNS1_11target_archE906ELNS1_3gpuE6ELNS1_3repE0EEENS1_30default_config_static_selectorELNS0_4arch9wavefront6targetE0EEEvS12_,comdat
.Lfunc_end244:
	.size	_ZN7rocprim17ROCPRIM_400000_NS6detail17trampoline_kernelINS0_13select_configILj256ELj13ELNS0_17block_load_methodE3ELS4_3ELS4_3ELNS0_20block_scan_algorithmE0ELj4294967295EEENS1_25partition_config_selectorILNS1_17partition_subalgoE4EjNS0_10empty_typeEbEEZZNS1_14partition_implILS8_4ELb0ES6_15HIP_vector_typeIjLj2EENS0_17counting_iteratorIjlEEPS9_SG_NS0_5tupleIJPjSI_NS0_16reverse_iteratorISI_EEEEENSH_IJSG_SG_SG_EEES9_SI_JZNS1_25segmented_radix_sort_implINS0_14default_configELb1EPKaPaPKlPlN2at6native12_GLOBAL__N_18offset_tEEE10hipError_tPvRmT1_PNSt15iterator_traitsIS12_E10value_typeET2_T3_PNS13_IS18_E10value_typeET4_jRbjT5_S1E_jjP12ihipStream_tbEUljE_ZNSN_ISO_Lb1ESQ_SR_ST_SU_SY_EESZ_S10_S11_S12_S16_S17_S18_S1B_S1C_jS1D_jS1E_S1E_jjS1G_bEUljE0_EEESZ_S10_S11_S18_S1C_S1E_T6_T7_T9_mT8_S1G_bDpT10_ENKUlT_T0_E_clISt17integral_constantIbLb1EES1T_IbLb0EEEEDaS1P_S1Q_EUlS1P_E_NS1_11comp_targetILNS1_3genE2ELNS1_11target_archE906ELNS1_3gpuE6ELNS1_3repE0EEENS1_30default_config_static_selectorELNS0_4arch9wavefront6targetE0EEEvS12_, .Lfunc_end244-_ZN7rocprim17ROCPRIM_400000_NS6detail17trampoline_kernelINS0_13select_configILj256ELj13ELNS0_17block_load_methodE3ELS4_3ELS4_3ELNS0_20block_scan_algorithmE0ELj4294967295EEENS1_25partition_config_selectorILNS1_17partition_subalgoE4EjNS0_10empty_typeEbEEZZNS1_14partition_implILS8_4ELb0ES6_15HIP_vector_typeIjLj2EENS0_17counting_iteratorIjlEEPS9_SG_NS0_5tupleIJPjSI_NS0_16reverse_iteratorISI_EEEEENSH_IJSG_SG_SG_EEES9_SI_JZNS1_25segmented_radix_sort_implINS0_14default_configELb1EPKaPaPKlPlN2at6native12_GLOBAL__N_18offset_tEEE10hipError_tPvRmT1_PNSt15iterator_traitsIS12_E10value_typeET2_T3_PNS13_IS18_E10value_typeET4_jRbjT5_S1E_jjP12ihipStream_tbEUljE_ZNSN_ISO_Lb1ESQ_SR_ST_SU_SY_EESZ_S10_S11_S12_S16_S17_S18_S1B_S1C_jS1D_jS1E_S1E_jjS1G_bEUljE0_EEESZ_S10_S11_S18_S1C_S1E_T6_T7_T9_mT8_S1G_bDpT10_ENKUlT_T0_E_clISt17integral_constantIbLb1EES1T_IbLb0EEEEDaS1P_S1Q_EUlS1P_E_NS1_11comp_targetILNS1_3genE2ELNS1_11target_archE906ELNS1_3gpuE6ELNS1_3repE0EEENS1_30default_config_static_selectorELNS0_4arch9wavefront6targetE0EEEvS12_
                                        ; -- End function
	.set _ZN7rocprim17ROCPRIM_400000_NS6detail17trampoline_kernelINS0_13select_configILj256ELj13ELNS0_17block_load_methodE3ELS4_3ELS4_3ELNS0_20block_scan_algorithmE0ELj4294967295EEENS1_25partition_config_selectorILNS1_17partition_subalgoE4EjNS0_10empty_typeEbEEZZNS1_14partition_implILS8_4ELb0ES6_15HIP_vector_typeIjLj2EENS0_17counting_iteratorIjlEEPS9_SG_NS0_5tupleIJPjSI_NS0_16reverse_iteratorISI_EEEEENSH_IJSG_SG_SG_EEES9_SI_JZNS1_25segmented_radix_sort_implINS0_14default_configELb1EPKaPaPKlPlN2at6native12_GLOBAL__N_18offset_tEEE10hipError_tPvRmT1_PNSt15iterator_traitsIS12_E10value_typeET2_T3_PNS13_IS18_E10value_typeET4_jRbjT5_S1E_jjP12ihipStream_tbEUljE_ZNSN_ISO_Lb1ESQ_SR_ST_SU_SY_EESZ_S10_S11_S12_S16_S17_S18_S1B_S1C_jS1D_jS1E_S1E_jjS1G_bEUljE0_EEESZ_S10_S11_S18_S1C_S1E_T6_T7_T9_mT8_S1G_bDpT10_ENKUlT_T0_E_clISt17integral_constantIbLb1EES1T_IbLb0EEEEDaS1P_S1Q_EUlS1P_E_NS1_11comp_targetILNS1_3genE2ELNS1_11target_archE906ELNS1_3gpuE6ELNS1_3repE0EEENS1_30default_config_static_selectorELNS0_4arch9wavefront6targetE0EEEvS12_.num_vgpr, 0
	.set _ZN7rocprim17ROCPRIM_400000_NS6detail17trampoline_kernelINS0_13select_configILj256ELj13ELNS0_17block_load_methodE3ELS4_3ELS4_3ELNS0_20block_scan_algorithmE0ELj4294967295EEENS1_25partition_config_selectorILNS1_17partition_subalgoE4EjNS0_10empty_typeEbEEZZNS1_14partition_implILS8_4ELb0ES6_15HIP_vector_typeIjLj2EENS0_17counting_iteratorIjlEEPS9_SG_NS0_5tupleIJPjSI_NS0_16reverse_iteratorISI_EEEEENSH_IJSG_SG_SG_EEES9_SI_JZNS1_25segmented_radix_sort_implINS0_14default_configELb1EPKaPaPKlPlN2at6native12_GLOBAL__N_18offset_tEEE10hipError_tPvRmT1_PNSt15iterator_traitsIS12_E10value_typeET2_T3_PNS13_IS18_E10value_typeET4_jRbjT5_S1E_jjP12ihipStream_tbEUljE_ZNSN_ISO_Lb1ESQ_SR_ST_SU_SY_EESZ_S10_S11_S12_S16_S17_S18_S1B_S1C_jS1D_jS1E_S1E_jjS1G_bEUljE0_EEESZ_S10_S11_S18_S1C_S1E_T6_T7_T9_mT8_S1G_bDpT10_ENKUlT_T0_E_clISt17integral_constantIbLb1EES1T_IbLb0EEEEDaS1P_S1Q_EUlS1P_E_NS1_11comp_targetILNS1_3genE2ELNS1_11target_archE906ELNS1_3gpuE6ELNS1_3repE0EEENS1_30default_config_static_selectorELNS0_4arch9wavefront6targetE0EEEvS12_.num_agpr, 0
	.set _ZN7rocprim17ROCPRIM_400000_NS6detail17trampoline_kernelINS0_13select_configILj256ELj13ELNS0_17block_load_methodE3ELS4_3ELS4_3ELNS0_20block_scan_algorithmE0ELj4294967295EEENS1_25partition_config_selectorILNS1_17partition_subalgoE4EjNS0_10empty_typeEbEEZZNS1_14partition_implILS8_4ELb0ES6_15HIP_vector_typeIjLj2EENS0_17counting_iteratorIjlEEPS9_SG_NS0_5tupleIJPjSI_NS0_16reverse_iteratorISI_EEEEENSH_IJSG_SG_SG_EEES9_SI_JZNS1_25segmented_radix_sort_implINS0_14default_configELb1EPKaPaPKlPlN2at6native12_GLOBAL__N_18offset_tEEE10hipError_tPvRmT1_PNSt15iterator_traitsIS12_E10value_typeET2_T3_PNS13_IS18_E10value_typeET4_jRbjT5_S1E_jjP12ihipStream_tbEUljE_ZNSN_ISO_Lb1ESQ_SR_ST_SU_SY_EESZ_S10_S11_S12_S16_S17_S18_S1B_S1C_jS1D_jS1E_S1E_jjS1G_bEUljE0_EEESZ_S10_S11_S18_S1C_S1E_T6_T7_T9_mT8_S1G_bDpT10_ENKUlT_T0_E_clISt17integral_constantIbLb1EES1T_IbLb0EEEEDaS1P_S1Q_EUlS1P_E_NS1_11comp_targetILNS1_3genE2ELNS1_11target_archE906ELNS1_3gpuE6ELNS1_3repE0EEENS1_30default_config_static_selectorELNS0_4arch9wavefront6targetE0EEEvS12_.numbered_sgpr, 0
	.set _ZN7rocprim17ROCPRIM_400000_NS6detail17trampoline_kernelINS0_13select_configILj256ELj13ELNS0_17block_load_methodE3ELS4_3ELS4_3ELNS0_20block_scan_algorithmE0ELj4294967295EEENS1_25partition_config_selectorILNS1_17partition_subalgoE4EjNS0_10empty_typeEbEEZZNS1_14partition_implILS8_4ELb0ES6_15HIP_vector_typeIjLj2EENS0_17counting_iteratorIjlEEPS9_SG_NS0_5tupleIJPjSI_NS0_16reverse_iteratorISI_EEEEENSH_IJSG_SG_SG_EEES9_SI_JZNS1_25segmented_radix_sort_implINS0_14default_configELb1EPKaPaPKlPlN2at6native12_GLOBAL__N_18offset_tEEE10hipError_tPvRmT1_PNSt15iterator_traitsIS12_E10value_typeET2_T3_PNS13_IS18_E10value_typeET4_jRbjT5_S1E_jjP12ihipStream_tbEUljE_ZNSN_ISO_Lb1ESQ_SR_ST_SU_SY_EESZ_S10_S11_S12_S16_S17_S18_S1B_S1C_jS1D_jS1E_S1E_jjS1G_bEUljE0_EEESZ_S10_S11_S18_S1C_S1E_T6_T7_T9_mT8_S1G_bDpT10_ENKUlT_T0_E_clISt17integral_constantIbLb1EES1T_IbLb0EEEEDaS1P_S1Q_EUlS1P_E_NS1_11comp_targetILNS1_3genE2ELNS1_11target_archE906ELNS1_3gpuE6ELNS1_3repE0EEENS1_30default_config_static_selectorELNS0_4arch9wavefront6targetE0EEEvS12_.num_named_barrier, 0
	.set _ZN7rocprim17ROCPRIM_400000_NS6detail17trampoline_kernelINS0_13select_configILj256ELj13ELNS0_17block_load_methodE3ELS4_3ELS4_3ELNS0_20block_scan_algorithmE0ELj4294967295EEENS1_25partition_config_selectorILNS1_17partition_subalgoE4EjNS0_10empty_typeEbEEZZNS1_14partition_implILS8_4ELb0ES6_15HIP_vector_typeIjLj2EENS0_17counting_iteratorIjlEEPS9_SG_NS0_5tupleIJPjSI_NS0_16reverse_iteratorISI_EEEEENSH_IJSG_SG_SG_EEES9_SI_JZNS1_25segmented_radix_sort_implINS0_14default_configELb1EPKaPaPKlPlN2at6native12_GLOBAL__N_18offset_tEEE10hipError_tPvRmT1_PNSt15iterator_traitsIS12_E10value_typeET2_T3_PNS13_IS18_E10value_typeET4_jRbjT5_S1E_jjP12ihipStream_tbEUljE_ZNSN_ISO_Lb1ESQ_SR_ST_SU_SY_EESZ_S10_S11_S12_S16_S17_S18_S1B_S1C_jS1D_jS1E_S1E_jjS1G_bEUljE0_EEESZ_S10_S11_S18_S1C_S1E_T6_T7_T9_mT8_S1G_bDpT10_ENKUlT_T0_E_clISt17integral_constantIbLb1EES1T_IbLb0EEEEDaS1P_S1Q_EUlS1P_E_NS1_11comp_targetILNS1_3genE2ELNS1_11target_archE906ELNS1_3gpuE6ELNS1_3repE0EEENS1_30default_config_static_selectorELNS0_4arch9wavefront6targetE0EEEvS12_.private_seg_size, 0
	.set _ZN7rocprim17ROCPRIM_400000_NS6detail17trampoline_kernelINS0_13select_configILj256ELj13ELNS0_17block_load_methodE3ELS4_3ELS4_3ELNS0_20block_scan_algorithmE0ELj4294967295EEENS1_25partition_config_selectorILNS1_17partition_subalgoE4EjNS0_10empty_typeEbEEZZNS1_14partition_implILS8_4ELb0ES6_15HIP_vector_typeIjLj2EENS0_17counting_iteratorIjlEEPS9_SG_NS0_5tupleIJPjSI_NS0_16reverse_iteratorISI_EEEEENSH_IJSG_SG_SG_EEES9_SI_JZNS1_25segmented_radix_sort_implINS0_14default_configELb1EPKaPaPKlPlN2at6native12_GLOBAL__N_18offset_tEEE10hipError_tPvRmT1_PNSt15iterator_traitsIS12_E10value_typeET2_T3_PNS13_IS18_E10value_typeET4_jRbjT5_S1E_jjP12ihipStream_tbEUljE_ZNSN_ISO_Lb1ESQ_SR_ST_SU_SY_EESZ_S10_S11_S12_S16_S17_S18_S1B_S1C_jS1D_jS1E_S1E_jjS1G_bEUljE0_EEESZ_S10_S11_S18_S1C_S1E_T6_T7_T9_mT8_S1G_bDpT10_ENKUlT_T0_E_clISt17integral_constantIbLb1EES1T_IbLb0EEEEDaS1P_S1Q_EUlS1P_E_NS1_11comp_targetILNS1_3genE2ELNS1_11target_archE906ELNS1_3gpuE6ELNS1_3repE0EEENS1_30default_config_static_selectorELNS0_4arch9wavefront6targetE0EEEvS12_.uses_vcc, 0
	.set _ZN7rocprim17ROCPRIM_400000_NS6detail17trampoline_kernelINS0_13select_configILj256ELj13ELNS0_17block_load_methodE3ELS4_3ELS4_3ELNS0_20block_scan_algorithmE0ELj4294967295EEENS1_25partition_config_selectorILNS1_17partition_subalgoE4EjNS0_10empty_typeEbEEZZNS1_14partition_implILS8_4ELb0ES6_15HIP_vector_typeIjLj2EENS0_17counting_iteratorIjlEEPS9_SG_NS0_5tupleIJPjSI_NS0_16reverse_iteratorISI_EEEEENSH_IJSG_SG_SG_EEES9_SI_JZNS1_25segmented_radix_sort_implINS0_14default_configELb1EPKaPaPKlPlN2at6native12_GLOBAL__N_18offset_tEEE10hipError_tPvRmT1_PNSt15iterator_traitsIS12_E10value_typeET2_T3_PNS13_IS18_E10value_typeET4_jRbjT5_S1E_jjP12ihipStream_tbEUljE_ZNSN_ISO_Lb1ESQ_SR_ST_SU_SY_EESZ_S10_S11_S12_S16_S17_S18_S1B_S1C_jS1D_jS1E_S1E_jjS1G_bEUljE0_EEESZ_S10_S11_S18_S1C_S1E_T6_T7_T9_mT8_S1G_bDpT10_ENKUlT_T0_E_clISt17integral_constantIbLb1EES1T_IbLb0EEEEDaS1P_S1Q_EUlS1P_E_NS1_11comp_targetILNS1_3genE2ELNS1_11target_archE906ELNS1_3gpuE6ELNS1_3repE0EEENS1_30default_config_static_selectorELNS0_4arch9wavefront6targetE0EEEvS12_.uses_flat_scratch, 0
	.set _ZN7rocprim17ROCPRIM_400000_NS6detail17trampoline_kernelINS0_13select_configILj256ELj13ELNS0_17block_load_methodE3ELS4_3ELS4_3ELNS0_20block_scan_algorithmE0ELj4294967295EEENS1_25partition_config_selectorILNS1_17partition_subalgoE4EjNS0_10empty_typeEbEEZZNS1_14partition_implILS8_4ELb0ES6_15HIP_vector_typeIjLj2EENS0_17counting_iteratorIjlEEPS9_SG_NS0_5tupleIJPjSI_NS0_16reverse_iteratorISI_EEEEENSH_IJSG_SG_SG_EEES9_SI_JZNS1_25segmented_radix_sort_implINS0_14default_configELb1EPKaPaPKlPlN2at6native12_GLOBAL__N_18offset_tEEE10hipError_tPvRmT1_PNSt15iterator_traitsIS12_E10value_typeET2_T3_PNS13_IS18_E10value_typeET4_jRbjT5_S1E_jjP12ihipStream_tbEUljE_ZNSN_ISO_Lb1ESQ_SR_ST_SU_SY_EESZ_S10_S11_S12_S16_S17_S18_S1B_S1C_jS1D_jS1E_S1E_jjS1G_bEUljE0_EEESZ_S10_S11_S18_S1C_S1E_T6_T7_T9_mT8_S1G_bDpT10_ENKUlT_T0_E_clISt17integral_constantIbLb1EES1T_IbLb0EEEEDaS1P_S1Q_EUlS1P_E_NS1_11comp_targetILNS1_3genE2ELNS1_11target_archE906ELNS1_3gpuE6ELNS1_3repE0EEENS1_30default_config_static_selectorELNS0_4arch9wavefront6targetE0EEEvS12_.has_dyn_sized_stack, 0
	.set _ZN7rocprim17ROCPRIM_400000_NS6detail17trampoline_kernelINS0_13select_configILj256ELj13ELNS0_17block_load_methodE3ELS4_3ELS4_3ELNS0_20block_scan_algorithmE0ELj4294967295EEENS1_25partition_config_selectorILNS1_17partition_subalgoE4EjNS0_10empty_typeEbEEZZNS1_14partition_implILS8_4ELb0ES6_15HIP_vector_typeIjLj2EENS0_17counting_iteratorIjlEEPS9_SG_NS0_5tupleIJPjSI_NS0_16reverse_iteratorISI_EEEEENSH_IJSG_SG_SG_EEES9_SI_JZNS1_25segmented_radix_sort_implINS0_14default_configELb1EPKaPaPKlPlN2at6native12_GLOBAL__N_18offset_tEEE10hipError_tPvRmT1_PNSt15iterator_traitsIS12_E10value_typeET2_T3_PNS13_IS18_E10value_typeET4_jRbjT5_S1E_jjP12ihipStream_tbEUljE_ZNSN_ISO_Lb1ESQ_SR_ST_SU_SY_EESZ_S10_S11_S12_S16_S17_S18_S1B_S1C_jS1D_jS1E_S1E_jjS1G_bEUljE0_EEESZ_S10_S11_S18_S1C_S1E_T6_T7_T9_mT8_S1G_bDpT10_ENKUlT_T0_E_clISt17integral_constantIbLb1EES1T_IbLb0EEEEDaS1P_S1Q_EUlS1P_E_NS1_11comp_targetILNS1_3genE2ELNS1_11target_archE906ELNS1_3gpuE6ELNS1_3repE0EEENS1_30default_config_static_selectorELNS0_4arch9wavefront6targetE0EEEvS12_.has_recursion, 0
	.set _ZN7rocprim17ROCPRIM_400000_NS6detail17trampoline_kernelINS0_13select_configILj256ELj13ELNS0_17block_load_methodE3ELS4_3ELS4_3ELNS0_20block_scan_algorithmE0ELj4294967295EEENS1_25partition_config_selectorILNS1_17partition_subalgoE4EjNS0_10empty_typeEbEEZZNS1_14partition_implILS8_4ELb0ES6_15HIP_vector_typeIjLj2EENS0_17counting_iteratorIjlEEPS9_SG_NS0_5tupleIJPjSI_NS0_16reverse_iteratorISI_EEEEENSH_IJSG_SG_SG_EEES9_SI_JZNS1_25segmented_radix_sort_implINS0_14default_configELb1EPKaPaPKlPlN2at6native12_GLOBAL__N_18offset_tEEE10hipError_tPvRmT1_PNSt15iterator_traitsIS12_E10value_typeET2_T3_PNS13_IS18_E10value_typeET4_jRbjT5_S1E_jjP12ihipStream_tbEUljE_ZNSN_ISO_Lb1ESQ_SR_ST_SU_SY_EESZ_S10_S11_S12_S16_S17_S18_S1B_S1C_jS1D_jS1E_S1E_jjS1G_bEUljE0_EEESZ_S10_S11_S18_S1C_S1E_T6_T7_T9_mT8_S1G_bDpT10_ENKUlT_T0_E_clISt17integral_constantIbLb1EES1T_IbLb0EEEEDaS1P_S1Q_EUlS1P_E_NS1_11comp_targetILNS1_3genE2ELNS1_11target_archE906ELNS1_3gpuE6ELNS1_3repE0EEENS1_30default_config_static_selectorELNS0_4arch9wavefront6targetE0EEEvS12_.has_indirect_call, 0
	.section	.AMDGPU.csdata,"",@progbits
; Kernel info:
; codeLenInByte = 0
; TotalNumSgprs: 0
; NumVgprs: 0
; ScratchSize: 0
; MemoryBound: 0
; FloatMode: 240
; IeeeMode: 1
; LDSByteSize: 0 bytes/workgroup (compile time only)
; SGPRBlocks: 0
; VGPRBlocks: 0
; NumSGPRsForWavesPerEU: 1
; NumVGPRsForWavesPerEU: 1
; NamedBarCnt: 0
; Occupancy: 16
; WaveLimiterHint : 0
; COMPUTE_PGM_RSRC2:SCRATCH_EN: 0
; COMPUTE_PGM_RSRC2:USER_SGPR: 2
; COMPUTE_PGM_RSRC2:TRAP_HANDLER: 0
; COMPUTE_PGM_RSRC2:TGID_X_EN: 1
; COMPUTE_PGM_RSRC2:TGID_Y_EN: 0
; COMPUTE_PGM_RSRC2:TGID_Z_EN: 0
; COMPUTE_PGM_RSRC2:TIDIG_COMP_CNT: 0
	.section	.text._ZN7rocprim17ROCPRIM_400000_NS6detail17trampoline_kernelINS0_13select_configILj256ELj13ELNS0_17block_load_methodE3ELS4_3ELS4_3ELNS0_20block_scan_algorithmE0ELj4294967295EEENS1_25partition_config_selectorILNS1_17partition_subalgoE4EjNS0_10empty_typeEbEEZZNS1_14partition_implILS8_4ELb0ES6_15HIP_vector_typeIjLj2EENS0_17counting_iteratorIjlEEPS9_SG_NS0_5tupleIJPjSI_NS0_16reverse_iteratorISI_EEEEENSH_IJSG_SG_SG_EEES9_SI_JZNS1_25segmented_radix_sort_implINS0_14default_configELb1EPKaPaPKlPlN2at6native12_GLOBAL__N_18offset_tEEE10hipError_tPvRmT1_PNSt15iterator_traitsIS12_E10value_typeET2_T3_PNS13_IS18_E10value_typeET4_jRbjT5_S1E_jjP12ihipStream_tbEUljE_ZNSN_ISO_Lb1ESQ_SR_ST_SU_SY_EESZ_S10_S11_S12_S16_S17_S18_S1B_S1C_jS1D_jS1E_S1E_jjS1G_bEUljE0_EEESZ_S10_S11_S18_S1C_S1E_T6_T7_T9_mT8_S1G_bDpT10_ENKUlT_T0_E_clISt17integral_constantIbLb1EES1T_IbLb0EEEEDaS1P_S1Q_EUlS1P_E_NS1_11comp_targetILNS1_3genE10ELNS1_11target_archE1200ELNS1_3gpuE4ELNS1_3repE0EEENS1_30default_config_static_selectorELNS0_4arch9wavefront6targetE0EEEvS12_,"axG",@progbits,_ZN7rocprim17ROCPRIM_400000_NS6detail17trampoline_kernelINS0_13select_configILj256ELj13ELNS0_17block_load_methodE3ELS4_3ELS4_3ELNS0_20block_scan_algorithmE0ELj4294967295EEENS1_25partition_config_selectorILNS1_17partition_subalgoE4EjNS0_10empty_typeEbEEZZNS1_14partition_implILS8_4ELb0ES6_15HIP_vector_typeIjLj2EENS0_17counting_iteratorIjlEEPS9_SG_NS0_5tupleIJPjSI_NS0_16reverse_iteratorISI_EEEEENSH_IJSG_SG_SG_EEES9_SI_JZNS1_25segmented_radix_sort_implINS0_14default_configELb1EPKaPaPKlPlN2at6native12_GLOBAL__N_18offset_tEEE10hipError_tPvRmT1_PNSt15iterator_traitsIS12_E10value_typeET2_T3_PNS13_IS18_E10value_typeET4_jRbjT5_S1E_jjP12ihipStream_tbEUljE_ZNSN_ISO_Lb1ESQ_SR_ST_SU_SY_EESZ_S10_S11_S12_S16_S17_S18_S1B_S1C_jS1D_jS1E_S1E_jjS1G_bEUljE0_EEESZ_S10_S11_S18_S1C_S1E_T6_T7_T9_mT8_S1G_bDpT10_ENKUlT_T0_E_clISt17integral_constantIbLb1EES1T_IbLb0EEEEDaS1P_S1Q_EUlS1P_E_NS1_11comp_targetILNS1_3genE10ELNS1_11target_archE1200ELNS1_3gpuE4ELNS1_3repE0EEENS1_30default_config_static_selectorELNS0_4arch9wavefront6targetE0EEEvS12_,comdat
	.globl	_ZN7rocprim17ROCPRIM_400000_NS6detail17trampoline_kernelINS0_13select_configILj256ELj13ELNS0_17block_load_methodE3ELS4_3ELS4_3ELNS0_20block_scan_algorithmE0ELj4294967295EEENS1_25partition_config_selectorILNS1_17partition_subalgoE4EjNS0_10empty_typeEbEEZZNS1_14partition_implILS8_4ELb0ES6_15HIP_vector_typeIjLj2EENS0_17counting_iteratorIjlEEPS9_SG_NS0_5tupleIJPjSI_NS0_16reverse_iteratorISI_EEEEENSH_IJSG_SG_SG_EEES9_SI_JZNS1_25segmented_radix_sort_implINS0_14default_configELb1EPKaPaPKlPlN2at6native12_GLOBAL__N_18offset_tEEE10hipError_tPvRmT1_PNSt15iterator_traitsIS12_E10value_typeET2_T3_PNS13_IS18_E10value_typeET4_jRbjT5_S1E_jjP12ihipStream_tbEUljE_ZNSN_ISO_Lb1ESQ_SR_ST_SU_SY_EESZ_S10_S11_S12_S16_S17_S18_S1B_S1C_jS1D_jS1E_S1E_jjS1G_bEUljE0_EEESZ_S10_S11_S18_S1C_S1E_T6_T7_T9_mT8_S1G_bDpT10_ENKUlT_T0_E_clISt17integral_constantIbLb1EES1T_IbLb0EEEEDaS1P_S1Q_EUlS1P_E_NS1_11comp_targetILNS1_3genE10ELNS1_11target_archE1200ELNS1_3gpuE4ELNS1_3repE0EEENS1_30default_config_static_selectorELNS0_4arch9wavefront6targetE0EEEvS12_ ; -- Begin function _ZN7rocprim17ROCPRIM_400000_NS6detail17trampoline_kernelINS0_13select_configILj256ELj13ELNS0_17block_load_methodE3ELS4_3ELS4_3ELNS0_20block_scan_algorithmE0ELj4294967295EEENS1_25partition_config_selectorILNS1_17partition_subalgoE4EjNS0_10empty_typeEbEEZZNS1_14partition_implILS8_4ELb0ES6_15HIP_vector_typeIjLj2EENS0_17counting_iteratorIjlEEPS9_SG_NS0_5tupleIJPjSI_NS0_16reverse_iteratorISI_EEEEENSH_IJSG_SG_SG_EEES9_SI_JZNS1_25segmented_radix_sort_implINS0_14default_configELb1EPKaPaPKlPlN2at6native12_GLOBAL__N_18offset_tEEE10hipError_tPvRmT1_PNSt15iterator_traitsIS12_E10value_typeET2_T3_PNS13_IS18_E10value_typeET4_jRbjT5_S1E_jjP12ihipStream_tbEUljE_ZNSN_ISO_Lb1ESQ_SR_ST_SU_SY_EESZ_S10_S11_S12_S16_S17_S18_S1B_S1C_jS1D_jS1E_S1E_jjS1G_bEUljE0_EEESZ_S10_S11_S18_S1C_S1E_T6_T7_T9_mT8_S1G_bDpT10_ENKUlT_T0_E_clISt17integral_constantIbLb1EES1T_IbLb0EEEEDaS1P_S1Q_EUlS1P_E_NS1_11comp_targetILNS1_3genE10ELNS1_11target_archE1200ELNS1_3gpuE4ELNS1_3repE0EEENS1_30default_config_static_selectorELNS0_4arch9wavefront6targetE0EEEvS12_
	.p2align	8
	.type	_ZN7rocprim17ROCPRIM_400000_NS6detail17trampoline_kernelINS0_13select_configILj256ELj13ELNS0_17block_load_methodE3ELS4_3ELS4_3ELNS0_20block_scan_algorithmE0ELj4294967295EEENS1_25partition_config_selectorILNS1_17partition_subalgoE4EjNS0_10empty_typeEbEEZZNS1_14partition_implILS8_4ELb0ES6_15HIP_vector_typeIjLj2EENS0_17counting_iteratorIjlEEPS9_SG_NS0_5tupleIJPjSI_NS0_16reverse_iteratorISI_EEEEENSH_IJSG_SG_SG_EEES9_SI_JZNS1_25segmented_radix_sort_implINS0_14default_configELb1EPKaPaPKlPlN2at6native12_GLOBAL__N_18offset_tEEE10hipError_tPvRmT1_PNSt15iterator_traitsIS12_E10value_typeET2_T3_PNS13_IS18_E10value_typeET4_jRbjT5_S1E_jjP12ihipStream_tbEUljE_ZNSN_ISO_Lb1ESQ_SR_ST_SU_SY_EESZ_S10_S11_S12_S16_S17_S18_S1B_S1C_jS1D_jS1E_S1E_jjS1G_bEUljE0_EEESZ_S10_S11_S18_S1C_S1E_T6_T7_T9_mT8_S1G_bDpT10_ENKUlT_T0_E_clISt17integral_constantIbLb1EES1T_IbLb0EEEEDaS1P_S1Q_EUlS1P_E_NS1_11comp_targetILNS1_3genE10ELNS1_11target_archE1200ELNS1_3gpuE4ELNS1_3repE0EEENS1_30default_config_static_selectorELNS0_4arch9wavefront6targetE0EEEvS12_,@function
_ZN7rocprim17ROCPRIM_400000_NS6detail17trampoline_kernelINS0_13select_configILj256ELj13ELNS0_17block_load_methodE3ELS4_3ELS4_3ELNS0_20block_scan_algorithmE0ELj4294967295EEENS1_25partition_config_selectorILNS1_17partition_subalgoE4EjNS0_10empty_typeEbEEZZNS1_14partition_implILS8_4ELb0ES6_15HIP_vector_typeIjLj2EENS0_17counting_iteratorIjlEEPS9_SG_NS0_5tupleIJPjSI_NS0_16reverse_iteratorISI_EEEEENSH_IJSG_SG_SG_EEES9_SI_JZNS1_25segmented_radix_sort_implINS0_14default_configELb1EPKaPaPKlPlN2at6native12_GLOBAL__N_18offset_tEEE10hipError_tPvRmT1_PNSt15iterator_traitsIS12_E10value_typeET2_T3_PNS13_IS18_E10value_typeET4_jRbjT5_S1E_jjP12ihipStream_tbEUljE_ZNSN_ISO_Lb1ESQ_SR_ST_SU_SY_EESZ_S10_S11_S12_S16_S17_S18_S1B_S1C_jS1D_jS1E_S1E_jjS1G_bEUljE0_EEESZ_S10_S11_S18_S1C_S1E_T6_T7_T9_mT8_S1G_bDpT10_ENKUlT_T0_E_clISt17integral_constantIbLb1EES1T_IbLb0EEEEDaS1P_S1Q_EUlS1P_E_NS1_11comp_targetILNS1_3genE10ELNS1_11target_archE1200ELNS1_3gpuE4ELNS1_3repE0EEENS1_30default_config_static_selectorELNS0_4arch9wavefront6targetE0EEEvS12_: ; @_ZN7rocprim17ROCPRIM_400000_NS6detail17trampoline_kernelINS0_13select_configILj256ELj13ELNS0_17block_load_methodE3ELS4_3ELS4_3ELNS0_20block_scan_algorithmE0ELj4294967295EEENS1_25partition_config_selectorILNS1_17partition_subalgoE4EjNS0_10empty_typeEbEEZZNS1_14partition_implILS8_4ELb0ES6_15HIP_vector_typeIjLj2EENS0_17counting_iteratorIjlEEPS9_SG_NS0_5tupleIJPjSI_NS0_16reverse_iteratorISI_EEEEENSH_IJSG_SG_SG_EEES9_SI_JZNS1_25segmented_radix_sort_implINS0_14default_configELb1EPKaPaPKlPlN2at6native12_GLOBAL__N_18offset_tEEE10hipError_tPvRmT1_PNSt15iterator_traitsIS12_E10value_typeET2_T3_PNS13_IS18_E10value_typeET4_jRbjT5_S1E_jjP12ihipStream_tbEUljE_ZNSN_ISO_Lb1ESQ_SR_ST_SU_SY_EESZ_S10_S11_S12_S16_S17_S18_S1B_S1C_jS1D_jS1E_S1E_jjS1G_bEUljE0_EEESZ_S10_S11_S18_S1C_S1E_T6_T7_T9_mT8_S1G_bDpT10_ENKUlT_T0_E_clISt17integral_constantIbLb1EES1T_IbLb0EEEEDaS1P_S1Q_EUlS1P_E_NS1_11comp_targetILNS1_3genE10ELNS1_11target_archE1200ELNS1_3gpuE4ELNS1_3repE0EEENS1_30default_config_static_selectorELNS0_4arch9wavefront6targetE0EEEvS12_
; %bb.0:
	.section	.rodata,"a",@progbits
	.p2align	6, 0x0
	.amdhsa_kernel _ZN7rocprim17ROCPRIM_400000_NS6detail17trampoline_kernelINS0_13select_configILj256ELj13ELNS0_17block_load_methodE3ELS4_3ELS4_3ELNS0_20block_scan_algorithmE0ELj4294967295EEENS1_25partition_config_selectorILNS1_17partition_subalgoE4EjNS0_10empty_typeEbEEZZNS1_14partition_implILS8_4ELb0ES6_15HIP_vector_typeIjLj2EENS0_17counting_iteratorIjlEEPS9_SG_NS0_5tupleIJPjSI_NS0_16reverse_iteratorISI_EEEEENSH_IJSG_SG_SG_EEES9_SI_JZNS1_25segmented_radix_sort_implINS0_14default_configELb1EPKaPaPKlPlN2at6native12_GLOBAL__N_18offset_tEEE10hipError_tPvRmT1_PNSt15iterator_traitsIS12_E10value_typeET2_T3_PNS13_IS18_E10value_typeET4_jRbjT5_S1E_jjP12ihipStream_tbEUljE_ZNSN_ISO_Lb1ESQ_SR_ST_SU_SY_EESZ_S10_S11_S12_S16_S17_S18_S1B_S1C_jS1D_jS1E_S1E_jjS1G_bEUljE0_EEESZ_S10_S11_S18_S1C_S1E_T6_T7_T9_mT8_S1G_bDpT10_ENKUlT_T0_E_clISt17integral_constantIbLb1EES1T_IbLb0EEEEDaS1P_S1Q_EUlS1P_E_NS1_11comp_targetILNS1_3genE10ELNS1_11target_archE1200ELNS1_3gpuE4ELNS1_3repE0EEENS1_30default_config_static_selectorELNS0_4arch9wavefront6targetE0EEEvS12_
		.amdhsa_group_segment_fixed_size 0
		.amdhsa_private_segment_fixed_size 0
		.amdhsa_kernarg_size 176
		.amdhsa_user_sgpr_count 2
		.amdhsa_user_sgpr_dispatch_ptr 0
		.amdhsa_user_sgpr_queue_ptr 0
		.amdhsa_user_sgpr_kernarg_segment_ptr 1
		.amdhsa_user_sgpr_dispatch_id 0
		.amdhsa_user_sgpr_kernarg_preload_length 0
		.amdhsa_user_sgpr_kernarg_preload_offset 0
		.amdhsa_user_sgpr_private_segment_size 0
		.amdhsa_wavefront_size32 1
		.amdhsa_uses_dynamic_stack 0
		.amdhsa_enable_private_segment 0
		.amdhsa_system_sgpr_workgroup_id_x 1
		.amdhsa_system_sgpr_workgroup_id_y 0
		.amdhsa_system_sgpr_workgroup_id_z 0
		.amdhsa_system_sgpr_workgroup_info 0
		.amdhsa_system_vgpr_workitem_id 0
		.amdhsa_next_free_vgpr 1
		.amdhsa_next_free_sgpr 1
		.amdhsa_named_barrier_count 0
		.amdhsa_reserve_vcc 0
		.amdhsa_float_round_mode_32 0
		.amdhsa_float_round_mode_16_64 0
		.amdhsa_float_denorm_mode_32 3
		.amdhsa_float_denorm_mode_16_64 3
		.amdhsa_fp16_overflow 0
		.amdhsa_memory_ordered 1
		.amdhsa_forward_progress 1
		.amdhsa_inst_pref_size 0
		.amdhsa_round_robin_scheduling 0
		.amdhsa_exception_fp_ieee_invalid_op 0
		.amdhsa_exception_fp_denorm_src 0
		.amdhsa_exception_fp_ieee_div_zero 0
		.amdhsa_exception_fp_ieee_overflow 0
		.amdhsa_exception_fp_ieee_underflow 0
		.amdhsa_exception_fp_ieee_inexact 0
		.amdhsa_exception_int_div_zero 0
	.end_amdhsa_kernel
	.section	.text._ZN7rocprim17ROCPRIM_400000_NS6detail17trampoline_kernelINS0_13select_configILj256ELj13ELNS0_17block_load_methodE3ELS4_3ELS4_3ELNS0_20block_scan_algorithmE0ELj4294967295EEENS1_25partition_config_selectorILNS1_17partition_subalgoE4EjNS0_10empty_typeEbEEZZNS1_14partition_implILS8_4ELb0ES6_15HIP_vector_typeIjLj2EENS0_17counting_iteratorIjlEEPS9_SG_NS0_5tupleIJPjSI_NS0_16reverse_iteratorISI_EEEEENSH_IJSG_SG_SG_EEES9_SI_JZNS1_25segmented_radix_sort_implINS0_14default_configELb1EPKaPaPKlPlN2at6native12_GLOBAL__N_18offset_tEEE10hipError_tPvRmT1_PNSt15iterator_traitsIS12_E10value_typeET2_T3_PNS13_IS18_E10value_typeET4_jRbjT5_S1E_jjP12ihipStream_tbEUljE_ZNSN_ISO_Lb1ESQ_SR_ST_SU_SY_EESZ_S10_S11_S12_S16_S17_S18_S1B_S1C_jS1D_jS1E_S1E_jjS1G_bEUljE0_EEESZ_S10_S11_S18_S1C_S1E_T6_T7_T9_mT8_S1G_bDpT10_ENKUlT_T0_E_clISt17integral_constantIbLb1EES1T_IbLb0EEEEDaS1P_S1Q_EUlS1P_E_NS1_11comp_targetILNS1_3genE10ELNS1_11target_archE1200ELNS1_3gpuE4ELNS1_3repE0EEENS1_30default_config_static_selectorELNS0_4arch9wavefront6targetE0EEEvS12_,"axG",@progbits,_ZN7rocprim17ROCPRIM_400000_NS6detail17trampoline_kernelINS0_13select_configILj256ELj13ELNS0_17block_load_methodE3ELS4_3ELS4_3ELNS0_20block_scan_algorithmE0ELj4294967295EEENS1_25partition_config_selectorILNS1_17partition_subalgoE4EjNS0_10empty_typeEbEEZZNS1_14partition_implILS8_4ELb0ES6_15HIP_vector_typeIjLj2EENS0_17counting_iteratorIjlEEPS9_SG_NS0_5tupleIJPjSI_NS0_16reverse_iteratorISI_EEEEENSH_IJSG_SG_SG_EEES9_SI_JZNS1_25segmented_radix_sort_implINS0_14default_configELb1EPKaPaPKlPlN2at6native12_GLOBAL__N_18offset_tEEE10hipError_tPvRmT1_PNSt15iterator_traitsIS12_E10value_typeET2_T3_PNS13_IS18_E10value_typeET4_jRbjT5_S1E_jjP12ihipStream_tbEUljE_ZNSN_ISO_Lb1ESQ_SR_ST_SU_SY_EESZ_S10_S11_S12_S16_S17_S18_S1B_S1C_jS1D_jS1E_S1E_jjS1G_bEUljE0_EEESZ_S10_S11_S18_S1C_S1E_T6_T7_T9_mT8_S1G_bDpT10_ENKUlT_T0_E_clISt17integral_constantIbLb1EES1T_IbLb0EEEEDaS1P_S1Q_EUlS1P_E_NS1_11comp_targetILNS1_3genE10ELNS1_11target_archE1200ELNS1_3gpuE4ELNS1_3repE0EEENS1_30default_config_static_selectorELNS0_4arch9wavefront6targetE0EEEvS12_,comdat
.Lfunc_end245:
	.size	_ZN7rocprim17ROCPRIM_400000_NS6detail17trampoline_kernelINS0_13select_configILj256ELj13ELNS0_17block_load_methodE3ELS4_3ELS4_3ELNS0_20block_scan_algorithmE0ELj4294967295EEENS1_25partition_config_selectorILNS1_17partition_subalgoE4EjNS0_10empty_typeEbEEZZNS1_14partition_implILS8_4ELb0ES6_15HIP_vector_typeIjLj2EENS0_17counting_iteratorIjlEEPS9_SG_NS0_5tupleIJPjSI_NS0_16reverse_iteratorISI_EEEEENSH_IJSG_SG_SG_EEES9_SI_JZNS1_25segmented_radix_sort_implINS0_14default_configELb1EPKaPaPKlPlN2at6native12_GLOBAL__N_18offset_tEEE10hipError_tPvRmT1_PNSt15iterator_traitsIS12_E10value_typeET2_T3_PNS13_IS18_E10value_typeET4_jRbjT5_S1E_jjP12ihipStream_tbEUljE_ZNSN_ISO_Lb1ESQ_SR_ST_SU_SY_EESZ_S10_S11_S12_S16_S17_S18_S1B_S1C_jS1D_jS1E_S1E_jjS1G_bEUljE0_EEESZ_S10_S11_S18_S1C_S1E_T6_T7_T9_mT8_S1G_bDpT10_ENKUlT_T0_E_clISt17integral_constantIbLb1EES1T_IbLb0EEEEDaS1P_S1Q_EUlS1P_E_NS1_11comp_targetILNS1_3genE10ELNS1_11target_archE1200ELNS1_3gpuE4ELNS1_3repE0EEENS1_30default_config_static_selectorELNS0_4arch9wavefront6targetE0EEEvS12_, .Lfunc_end245-_ZN7rocprim17ROCPRIM_400000_NS6detail17trampoline_kernelINS0_13select_configILj256ELj13ELNS0_17block_load_methodE3ELS4_3ELS4_3ELNS0_20block_scan_algorithmE0ELj4294967295EEENS1_25partition_config_selectorILNS1_17partition_subalgoE4EjNS0_10empty_typeEbEEZZNS1_14partition_implILS8_4ELb0ES6_15HIP_vector_typeIjLj2EENS0_17counting_iteratorIjlEEPS9_SG_NS0_5tupleIJPjSI_NS0_16reverse_iteratorISI_EEEEENSH_IJSG_SG_SG_EEES9_SI_JZNS1_25segmented_radix_sort_implINS0_14default_configELb1EPKaPaPKlPlN2at6native12_GLOBAL__N_18offset_tEEE10hipError_tPvRmT1_PNSt15iterator_traitsIS12_E10value_typeET2_T3_PNS13_IS18_E10value_typeET4_jRbjT5_S1E_jjP12ihipStream_tbEUljE_ZNSN_ISO_Lb1ESQ_SR_ST_SU_SY_EESZ_S10_S11_S12_S16_S17_S18_S1B_S1C_jS1D_jS1E_S1E_jjS1G_bEUljE0_EEESZ_S10_S11_S18_S1C_S1E_T6_T7_T9_mT8_S1G_bDpT10_ENKUlT_T0_E_clISt17integral_constantIbLb1EES1T_IbLb0EEEEDaS1P_S1Q_EUlS1P_E_NS1_11comp_targetILNS1_3genE10ELNS1_11target_archE1200ELNS1_3gpuE4ELNS1_3repE0EEENS1_30default_config_static_selectorELNS0_4arch9wavefront6targetE0EEEvS12_
                                        ; -- End function
	.set _ZN7rocprim17ROCPRIM_400000_NS6detail17trampoline_kernelINS0_13select_configILj256ELj13ELNS0_17block_load_methodE3ELS4_3ELS4_3ELNS0_20block_scan_algorithmE0ELj4294967295EEENS1_25partition_config_selectorILNS1_17partition_subalgoE4EjNS0_10empty_typeEbEEZZNS1_14partition_implILS8_4ELb0ES6_15HIP_vector_typeIjLj2EENS0_17counting_iteratorIjlEEPS9_SG_NS0_5tupleIJPjSI_NS0_16reverse_iteratorISI_EEEEENSH_IJSG_SG_SG_EEES9_SI_JZNS1_25segmented_radix_sort_implINS0_14default_configELb1EPKaPaPKlPlN2at6native12_GLOBAL__N_18offset_tEEE10hipError_tPvRmT1_PNSt15iterator_traitsIS12_E10value_typeET2_T3_PNS13_IS18_E10value_typeET4_jRbjT5_S1E_jjP12ihipStream_tbEUljE_ZNSN_ISO_Lb1ESQ_SR_ST_SU_SY_EESZ_S10_S11_S12_S16_S17_S18_S1B_S1C_jS1D_jS1E_S1E_jjS1G_bEUljE0_EEESZ_S10_S11_S18_S1C_S1E_T6_T7_T9_mT8_S1G_bDpT10_ENKUlT_T0_E_clISt17integral_constantIbLb1EES1T_IbLb0EEEEDaS1P_S1Q_EUlS1P_E_NS1_11comp_targetILNS1_3genE10ELNS1_11target_archE1200ELNS1_3gpuE4ELNS1_3repE0EEENS1_30default_config_static_selectorELNS0_4arch9wavefront6targetE0EEEvS12_.num_vgpr, 0
	.set _ZN7rocprim17ROCPRIM_400000_NS6detail17trampoline_kernelINS0_13select_configILj256ELj13ELNS0_17block_load_methodE3ELS4_3ELS4_3ELNS0_20block_scan_algorithmE0ELj4294967295EEENS1_25partition_config_selectorILNS1_17partition_subalgoE4EjNS0_10empty_typeEbEEZZNS1_14partition_implILS8_4ELb0ES6_15HIP_vector_typeIjLj2EENS0_17counting_iteratorIjlEEPS9_SG_NS0_5tupleIJPjSI_NS0_16reverse_iteratorISI_EEEEENSH_IJSG_SG_SG_EEES9_SI_JZNS1_25segmented_radix_sort_implINS0_14default_configELb1EPKaPaPKlPlN2at6native12_GLOBAL__N_18offset_tEEE10hipError_tPvRmT1_PNSt15iterator_traitsIS12_E10value_typeET2_T3_PNS13_IS18_E10value_typeET4_jRbjT5_S1E_jjP12ihipStream_tbEUljE_ZNSN_ISO_Lb1ESQ_SR_ST_SU_SY_EESZ_S10_S11_S12_S16_S17_S18_S1B_S1C_jS1D_jS1E_S1E_jjS1G_bEUljE0_EEESZ_S10_S11_S18_S1C_S1E_T6_T7_T9_mT8_S1G_bDpT10_ENKUlT_T0_E_clISt17integral_constantIbLb1EES1T_IbLb0EEEEDaS1P_S1Q_EUlS1P_E_NS1_11comp_targetILNS1_3genE10ELNS1_11target_archE1200ELNS1_3gpuE4ELNS1_3repE0EEENS1_30default_config_static_selectorELNS0_4arch9wavefront6targetE0EEEvS12_.num_agpr, 0
	.set _ZN7rocprim17ROCPRIM_400000_NS6detail17trampoline_kernelINS0_13select_configILj256ELj13ELNS0_17block_load_methodE3ELS4_3ELS4_3ELNS0_20block_scan_algorithmE0ELj4294967295EEENS1_25partition_config_selectorILNS1_17partition_subalgoE4EjNS0_10empty_typeEbEEZZNS1_14partition_implILS8_4ELb0ES6_15HIP_vector_typeIjLj2EENS0_17counting_iteratorIjlEEPS9_SG_NS0_5tupleIJPjSI_NS0_16reverse_iteratorISI_EEEEENSH_IJSG_SG_SG_EEES9_SI_JZNS1_25segmented_radix_sort_implINS0_14default_configELb1EPKaPaPKlPlN2at6native12_GLOBAL__N_18offset_tEEE10hipError_tPvRmT1_PNSt15iterator_traitsIS12_E10value_typeET2_T3_PNS13_IS18_E10value_typeET4_jRbjT5_S1E_jjP12ihipStream_tbEUljE_ZNSN_ISO_Lb1ESQ_SR_ST_SU_SY_EESZ_S10_S11_S12_S16_S17_S18_S1B_S1C_jS1D_jS1E_S1E_jjS1G_bEUljE0_EEESZ_S10_S11_S18_S1C_S1E_T6_T7_T9_mT8_S1G_bDpT10_ENKUlT_T0_E_clISt17integral_constantIbLb1EES1T_IbLb0EEEEDaS1P_S1Q_EUlS1P_E_NS1_11comp_targetILNS1_3genE10ELNS1_11target_archE1200ELNS1_3gpuE4ELNS1_3repE0EEENS1_30default_config_static_selectorELNS0_4arch9wavefront6targetE0EEEvS12_.numbered_sgpr, 0
	.set _ZN7rocprim17ROCPRIM_400000_NS6detail17trampoline_kernelINS0_13select_configILj256ELj13ELNS0_17block_load_methodE3ELS4_3ELS4_3ELNS0_20block_scan_algorithmE0ELj4294967295EEENS1_25partition_config_selectorILNS1_17partition_subalgoE4EjNS0_10empty_typeEbEEZZNS1_14partition_implILS8_4ELb0ES6_15HIP_vector_typeIjLj2EENS0_17counting_iteratorIjlEEPS9_SG_NS0_5tupleIJPjSI_NS0_16reverse_iteratorISI_EEEEENSH_IJSG_SG_SG_EEES9_SI_JZNS1_25segmented_radix_sort_implINS0_14default_configELb1EPKaPaPKlPlN2at6native12_GLOBAL__N_18offset_tEEE10hipError_tPvRmT1_PNSt15iterator_traitsIS12_E10value_typeET2_T3_PNS13_IS18_E10value_typeET4_jRbjT5_S1E_jjP12ihipStream_tbEUljE_ZNSN_ISO_Lb1ESQ_SR_ST_SU_SY_EESZ_S10_S11_S12_S16_S17_S18_S1B_S1C_jS1D_jS1E_S1E_jjS1G_bEUljE0_EEESZ_S10_S11_S18_S1C_S1E_T6_T7_T9_mT8_S1G_bDpT10_ENKUlT_T0_E_clISt17integral_constantIbLb1EES1T_IbLb0EEEEDaS1P_S1Q_EUlS1P_E_NS1_11comp_targetILNS1_3genE10ELNS1_11target_archE1200ELNS1_3gpuE4ELNS1_3repE0EEENS1_30default_config_static_selectorELNS0_4arch9wavefront6targetE0EEEvS12_.num_named_barrier, 0
	.set _ZN7rocprim17ROCPRIM_400000_NS6detail17trampoline_kernelINS0_13select_configILj256ELj13ELNS0_17block_load_methodE3ELS4_3ELS4_3ELNS0_20block_scan_algorithmE0ELj4294967295EEENS1_25partition_config_selectorILNS1_17partition_subalgoE4EjNS0_10empty_typeEbEEZZNS1_14partition_implILS8_4ELb0ES6_15HIP_vector_typeIjLj2EENS0_17counting_iteratorIjlEEPS9_SG_NS0_5tupleIJPjSI_NS0_16reverse_iteratorISI_EEEEENSH_IJSG_SG_SG_EEES9_SI_JZNS1_25segmented_radix_sort_implINS0_14default_configELb1EPKaPaPKlPlN2at6native12_GLOBAL__N_18offset_tEEE10hipError_tPvRmT1_PNSt15iterator_traitsIS12_E10value_typeET2_T3_PNS13_IS18_E10value_typeET4_jRbjT5_S1E_jjP12ihipStream_tbEUljE_ZNSN_ISO_Lb1ESQ_SR_ST_SU_SY_EESZ_S10_S11_S12_S16_S17_S18_S1B_S1C_jS1D_jS1E_S1E_jjS1G_bEUljE0_EEESZ_S10_S11_S18_S1C_S1E_T6_T7_T9_mT8_S1G_bDpT10_ENKUlT_T0_E_clISt17integral_constantIbLb1EES1T_IbLb0EEEEDaS1P_S1Q_EUlS1P_E_NS1_11comp_targetILNS1_3genE10ELNS1_11target_archE1200ELNS1_3gpuE4ELNS1_3repE0EEENS1_30default_config_static_selectorELNS0_4arch9wavefront6targetE0EEEvS12_.private_seg_size, 0
	.set _ZN7rocprim17ROCPRIM_400000_NS6detail17trampoline_kernelINS0_13select_configILj256ELj13ELNS0_17block_load_methodE3ELS4_3ELS4_3ELNS0_20block_scan_algorithmE0ELj4294967295EEENS1_25partition_config_selectorILNS1_17partition_subalgoE4EjNS0_10empty_typeEbEEZZNS1_14partition_implILS8_4ELb0ES6_15HIP_vector_typeIjLj2EENS0_17counting_iteratorIjlEEPS9_SG_NS0_5tupleIJPjSI_NS0_16reverse_iteratorISI_EEEEENSH_IJSG_SG_SG_EEES9_SI_JZNS1_25segmented_radix_sort_implINS0_14default_configELb1EPKaPaPKlPlN2at6native12_GLOBAL__N_18offset_tEEE10hipError_tPvRmT1_PNSt15iterator_traitsIS12_E10value_typeET2_T3_PNS13_IS18_E10value_typeET4_jRbjT5_S1E_jjP12ihipStream_tbEUljE_ZNSN_ISO_Lb1ESQ_SR_ST_SU_SY_EESZ_S10_S11_S12_S16_S17_S18_S1B_S1C_jS1D_jS1E_S1E_jjS1G_bEUljE0_EEESZ_S10_S11_S18_S1C_S1E_T6_T7_T9_mT8_S1G_bDpT10_ENKUlT_T0_E_clISt17integral_constantIbLb1EES1T_IbLb0EEEEDaS1P_S1Q_EUlS1P_E_NS1_11comp_targetILNS1_3genE10ELNS1_11target_archE1200ELNS1_3gpuE4ELNS1_3repE0EEENS1_30default_config_static_selectorELNS0_4arch9wavefront6targetE0EEEvS12_.uses_vcc, 0
	.set _ZN7rocprim17ROCPRIM_400000_NS6detail17trampoline_kernelINS0_13select_configILj256ELj13ELNS0_17block_load_methodE3ELS4_3ELS4_3ELNS0_20block_scan_algorithmE0ELj4294967295EEENS1_25partition_config_selectorILNS1_17partition_subalgoE4EjNS0_10empty_typeEbEEZZNS1_14partition_implILS8_4ELb0ES6_15HIP_vector_typeIjLj2EENS0_17counting_iteratorIjlEEPS9_SG_NS0_5tupleIJPjSI_NS0_16reverse_iteratorISI_EEEEENSH_IJSG_SG_SG_EEES9_SI_JZNS1_25segmented_radix_sort_implINS0_14default_configELb1EPKaPaPKlPlN2at6native12_GLOBAL__N_18offset_tEEE10hipError_tPvRmT1_PNSt15iterator_traitsIS12_E10value_typeET2_T3_PNS13_IS18_E10value_typeET4_jRbjT5_S1E_jjP12ihipStream_tbEUljE_ZNSN_ISO_Lb1ESQ_SR_ST_SU_SY_EESZ_S10_S11_S12_S16_S17_S18_S1B_S1C_jS1D_jS1E_S1E_jjS1G_bEUljE0_EEESZ_S10_S11_S18_S1C_S1E_T6_T7_T9_mT8_S1G_bDpT10_ENKUlT_T0_E_clISt17integral_constantIbLb1EES1T_IbLb0EEEEDaS1P_S1Q_EUlS1P_E_NS1_11comp_targetILNS1_3genE10ELNS1_11target_archE1200ELNS1_3gpuE4ELNS1_3repE0EEENS1_30default_config_static_selectorELNS0_4arch9wavefront6targetE0EEEvS12_.uses_flat_scratch, 0
	.set _ZN7rocprim17ROCPRIM_400000_NS6detail17trampoline_kernelINS0_13select_configILj256ELj13ELNS0_17block_load_methodE3ELS4_3ELS4_3ELNS0_20block_scan_algorithmE0ELj4294967295EEENS1_25partition_config_selectorILNS1_17partition_subalgoE4EjNS0_10empty_typeEbEEZZNS1_14partition_implILS8_4ELb0ES6_15HIP_vector_typeIjLj2EENS0_17counting_iteratorIjlEEPS9_SG_NS0_5tupleIJPjSI_NS0_16reverse_iteratorISI_EEEEENSH_IJSG_SG_SG_EEES9_SI_JZNS1_25segmented_radix_sort_implINS0_14default_configELb1EPKaPaPKlPlN2at6native12_GLOBAL__N_18offset_tEEE10hipError_tPvRmT1_PNSt15iterator_traitsIS12_E10value_typeET2_T3_PNS13_IS18_E10value_typeET4_jRbjT5_S1E_jjP12ihipStream_tbEUljE_ZNSN_ISO_Lb1ESQ_SR_ST_SU_SY_EESZ_S10_S11_S12_S16_S17_S18_S1B_S1C_jS1D_jS1E_S1E_jjS1G_bEUljE0_EEESZ_S10_S11_S18_S1C_S1E_T6_T7_T9_mT8_S1G_bDpT10_ENKUlT_T0_E_clISt17integral_constantIbLb1EES1T_IbLb0EEEEDaS1P_S1Q_EUlS1P_E_NS1_11comp_targetILNS1_3genE10ELNS1_11target_archE1200ELNS1_3gpuE4ELNS1_3repE0EEENS1_30default_config_static_selectorELNS0_4arch9wavefront6targetE0EEEvS12_.has_dyn_sized_stack, 0
	.set _ZN7rocprim17ROCPRIM_400000_NS6detail17trampoline_kernelINS0_13select_configILj256ELj13ELNS0_17block_load_methodE3ELS4_3ELS4_3ELNS0_20block_scan_algorithmE0ELj4294967295EEENS1_25partition_config_selectorILNS1_17partition_subalgoE4EjNS0_10empty_typeEbEEZZNS1_14partition_implILS8_4ELb0ES6_15HIP_vector_typeIjLj2EENS0_17counting_iteratorIjlEEPS9_SG_NS0_5tupleIJPjSI_NS0_16reverse_iteratorISI_EEEEENSH_IJSG_SG_SG_EEES9_SI_JZNS1_25segmented_radix_sort_implINS0_14default_configELb1EPKaPaPKlPlN2at6native12_GLOBAL__N_18offset_tEEE10hipError_tPvRmT1_PNSt15iterator_traitsIS12_E10value_typeET2_T3_PNS13_IS18_E10value_typeET4_jRbjT5_S1E_jjP12ihipStream_tbEUljE_ZNSN_ISO_Lb1ESQ_SR_ST_SU_SY_EESZ_S10_S11_S12_S16_S17_S18_S1B_S1C_jS1D_jS1E_S1E_jjS1G_bEUljE0_EEESZ_S10_S11_S18_S1C_S1E_T6_T7_T9_mT8_S1G_bDpT10_ENKUlT_T0_E_clISt17integral_constantIbLb1EES1T_IbLb0EEEEDaS1P_S1Q_EUlS1P_E_NS1_11comp_targetILNS1_3genE10ELNS1_11target_archE1200ELNS1_3gpuE4ELNS1_3repE0EEENS1_30default_config_static_selectorELNS0_4arch9wavefront6targetE0EEEvS12_.has_recursion, 0
	.set _ZN7rocprim17ROCPRIM_400000_NS6detail17trampoline_kernelINS0_13select_configILj256ELj13ELNS0_17block_load_methodE3ELS4_3ELS4_3ELNS0_20block_scan_algorithmE0ELj4294967295EEENS1_25partition_config_selectorILNS1_17partition_subalgoE4EjNS0_10empty_typeEbEEZZNS1_14partition_implILS8_4ELb0ES6_15HIP_vector_typeIjLj2EENS0_17counting_iteratorIjlEEPS9_SG_NS0_5tupleIJPjSI_NS0_16reverse_iteratorISI_EEEEENSH_IJSG_SG_SG_EEES9_SI_JZNS1_25segmented_radix_sort_implINS0_14default_configELb1EPKaPaPKlPlN2at6native12_GLOBAL__N_18offset_tEEE10hipError_tPvRmT1_PNSt15iterator_traitsIS12_E10value_typeET2_T3_PNS13_IS18_E10value_typeET4_jRbjT5_S1E_jjP12ihipStream_tbEUljE_ZNSN_ISO_Lb1ESQ_SR_ST_SU_SY_EESZ_S10_S11_S12_S16_S17_S18_S1B_S1C_jS1D_jS1E_S1E_jjS1G_bEUljE0_EEESZ_S10_S11_S18_S1C_S1E_T6_T7_T9_mT8_S1G_bDpT10_ENKUlT_T0_E_clISt17integral_constantIbLb1EES1T_IbLb0EEEEDaS1P_S1Q_EUlS1P_E_NS1_11comp_targetILNS1_3genE10ELNS1_11target_archE1200ELNS1_3gpuE4ELNS1_3repE0EEENS1_30default_config_static_selectorELNS0_4arch9wavefront6targetE0EEEvS12_.has_indirect_call, 0
	.section	.AMDGPU.csdata,"",@progbits
; Kernel info:
; codeLenInByte = 0
; TotalNumSgprs: 0
; NumVgprs: 0
; ScratchSize: 0
; MemoryBound: 0
; FloatMode: 240
; IeeeMode: 1
; LDSByteSize: 0 bytes/workgroup (compile time only)
; SGPRBlocks: 0
; VGPRBlocks: 0
; NumSGPRsForWavesPerEU: 1
; NumVGPRsForWavesPerEU: 1
; NamedBarCnt: 0
; Occupancy: 16
; WaveLimiterHint : 0
; COMPUTE_PGM_RSRC2:SCRATCH_EN: 0
; COMPUTE_PGM_RSRC2:USER_SGPR: 2
; COMPUTE_PGM_RSRC2:TRAP_HANDLER: 0
; COMPUTE_PGM_RSRC2:TGID_X_EN: 1
; COMPUTE_PGM_RSRC2:TGID_Y_EN: 0
; COMPUTE_PGM_RSRC2:TGID_Z_EN: 0
; COMPUTE_PGM_RSRC2:TIDIG_COMP_CNT: 0
	.section	.text._ZN7rocprim17ROCPRIM_400000_NS6detail17trampoline_kernelINS0_13select_configILj256ELj13ELNS0_17block_load_methodE3ELS4_3ELS4_3ELNS0_20block_scan_algorithmE0ELj4294967295EEENS1_25partition_config_selectorILNS1_17partition_subalgoE4EjNS0_10empty_typeEbEEZZNS1_14partition_implILS8_4ELb0ES6_15HIP_vector_typeIjLj2EENS0_17counting_iteratorIjlEEPS9_SG_NS0_5tupleIJPjSI_NS0_16reverse_iteratorISI_EEEEENSH_IJSG_SG_SG_EEES9_SI_JZNS1_25segmented_radix_sort_implINS0_14default_configELb1EPKaPaPKlPlN2at6native12_GLOBAL__N_18offset_tEEE10hipError_tPvRmT1_PNSt15iterator_traitsIS12_E10value_typeET2_T3_PNS13_IS18_E10value_typeET4_jRbjT5_S1E_jjP12ihipStream_tbEUljE_ZNSN_ISO_Lb1ESQ_SR_ST_SU_SY_EESZ_S10_S11_S12_S16_S17_S18_S1B_S1C_jS1D_jS1E_S1E_jjS1G_bEUljE0_EEESZ_S10_S11_S18_S1C_S1E_T6_T7_T9_mT8_S1G_bDpT10_ENKUlT_T0_E_clISt17integral_constantIbLb1EES1T_IbLb0EEEEDaS1P_S1Q_EUlS1P_E_NS1_11comp_targetILNS1_3genE9ELNS1_11target_archE1100ELNS1_3gpuE3ELNS1_3repE0EEENS1_30default_config_static_selectorELNS0_4arch9wavefront6targetE0EEEvS12_,"axG",@progbits,_ZN7rocprim17ROCPRIM_400000_NS6detail17trampoline_kernelINS0_13select_configILj256ELj13ELNS0_17block_load_methodE3ELS4_3ELS4_3ELNS0_20block_scan_algorithmE0ELj4294967295EEENS1_25partition_config_selectorILNS1_17partition_subalgoE4EjNS0_10empty_typeEbEEZZNS1_14partition_implILS8_4ELb0ES6_15HIP_vector_typeIjLj2EENS0_17counting_iteratorIjlEEPS9_SG_NS0_5tupleIJPjSI_NS0_16reverse_iteratorISI_EEEEENSH_IJSG_SG_SG_EEES9_SI_JZNS1_25segmented_radix_sort_implINS0_14default_configELb1EPKaPaPKlPlN2at6native12_GLOBAL__N_18offset_tEEE10hipError_tPvRmT1_PNSt15iterator_traitsIS12_E10value_typeET2_T3_PNS13_IS18_E10value_typeET4_jRbjT5_S1E_jjP12ihipStream_tbEUljE_ZNSN_ISO_Lb1ESQ_SR_ST_SU_SY_EESZ_S10_S11_S12_S16_S17_S18_S1B_S1C_jS1D_jS1E_S1E_jjS1G_bEUljE0_EEESZ_S10_S11_S18_S1C_S1E_T6_T7_T9_mT8_S1G_bDpT10_ENKUlT_T0_E_clISt17integral_constantIbLb1EES1T_IbLb0EEEEDaS1P_S1Q_EUlS1P_E_NS1_11comp_targetILNS1_3genE9ELNS1_11target_archE1100ELNS1_3gpuE3ELNS1_3repE0EEENS1_30default_config_static_selectorELNS0_4arch9wavefront6targetE0EEEvS12_,comdat
	.globl	_ZN7rocprim17ROCPRIM_400000_NS6detail17trampoline_kernelINS0_13select_configILj256ELj13ELNS0_17block_load_methodE3ELS4_3ELS4_3ELNS0_20block_scan_algorithmE0ELj4294967295EEENS1_25partition_config_selectorILNS1_17partition_subalgoE4EjNS0_10empty_typeEbEEZZNS1_14partition_implILS8_4ELb0ES6_15HIP_vector_typeIjLj2EENS0_17counting_iteratorIjlEEPS9_SG_NS0_5tupleIJPjSI_NS0_16reverse_iteratorISI_EEEEENSH_IJSG_SG_SG_EEES9_SI_JZNS1_25segmented_radix_sort_implINS0_14default_configELb1EPKaPaPKlPlN2at6native12_GLOBAL__N_18offset_tEEE10hipError_tPvRmT1_PNSt15iterator_traitsIS12_E10value_typeET2_T3_PNS13_IS18_E10value_typeET4_jRbjT5_S1E_jjP12ihipStream_tbEUljE_ZNSN_ISO_Lb1ESQ_SR_ST_SU_SY_EESZ_S10_S11_S12_S16_S17_S18_S1B_S1C_jS1D_jS1E_S1E_jjS1G_bEUljE0_EEESZ_S10_S11_S18_S1C_S1E_T6_T7_T9_mT8_S1G_bDpT10_ENKUlT_T0_E_clISt17integral_constantIbLb1EES1T_IbLb0EEEEDaS1P_S1Q_EUlS1P_E_NS1_11comp_targetILNS1_3genE9ELNS1_11target_archE1100ELNS1_3gpuE3ELNS1_3repE0EEENS1_30default_config_static_selectorELNS0_4arch9wavefront6targetE0EEEvS12_ ; -- Begin function _ZN7rocprim17ROCPRIM_400000_NS6detail17trampoline_kernelINS0_13select_configILj256ELj13ELNS0_17block_load_methodE3ELS4_3ELS4_3ELNS0_20block_scan_algorithmE0ELj4294967295EEENS1_25partition_config_selectorILNS1_17partition_subalgoE4EjNS0_10empty_typeEbEEZZNS1_14partition_implILS8_4ELb0ES6_15HIP_vector_typeIjLj2EENS0_17counting_iteratorIjlEEPS9_SG_NS0_5tupleIJPjSI_NS0_16reverse_iteratorISI_EEEEENSH_IJSG_SG_SG_EEES9_SI_JZNS1_25segmented_radix_sort_implINS0_14default_configELb1EPKaPaPKlPlN2at6native12_GLOBAL__N_18offset_tEEE10hipError_tPvRmT1_PNSt15iterator_traitsIS12_E10value_typeET2_T3_PNS13_IS18_E10value_typeET4_jRbjT5_S1E_jjP12ihipStream_tbEUljE_ZNSN_ISO_Lb1ESQ_SR_ST_SU_SY_EESZ_S10_S11_S12_S16_S17_S18_S1B_S1C_jS1D_jS1E_S1E_jjS1G_bEUljE0_EEESZ_S10_S11_S18_S1C_S1E_T6_T7_T9_mT8_S1G_bDpT10_ENKUlT_T0_E_clISt17integral_constantIbLb1EES1T_IbLb0EEEEDaS1P_S1Q_EUlS1P_E_NS1_11comp_targetILNS1_3genE9ELNS1_11target_archE1100ELNS1_3gpuE3ELNS1_3repE0EEENS1_30default_config_static_selectorELNS0_4arch9wavefront6targetE0EEEvS12_
	.p2align	8
	.type	_ZN7rocprim17ROCPRIM_400000_NS6detail17trampoline_kernelINS0_13select_configILj256ELj13ELNS0_17block_load_methodE3ELS4_3ELS4_3ELNS0_20block_scan_algorithmE0ELj4294967295EEENS1_25partition_config_selectorILNS1_17partition_subalgoE4EjNS0_10empty_typeEbEEZZNS1_14partition_implILS8_4ELb0ES6_15HIP_vector_typeIjLj2EENS0_17counting_iteratorIjlEEPS9_SG_NS0_5tupleIJPjSI_NS0_16reverse_iteratorISI_EEEEENSH_IJSG_SG_SG_EEES9_SI_JZNS1_25segmented_radix_sort_implINS0_14default_configELb1EPKaPaPKlPlN2at6native12_GLOBAL__N_18offset_tEEE10hipError_tPvRmT1_PNSt15iterator_traitsIS12_E10value_typeET2_T3_PNS13_IS18_E10value_typeET4_jRbjT5_S1E_jjP12ihipStream_tbEUljE_ZNSN_ISO_Lb1ESQ_SR_ST_SU_SY_EESZ_S10_S11_S12_S16_S17_S18_S1B_S1C_jS1D_jS1E_S1E_jjS1G_bEUljE0_EEESZ_S10_S11_S18_S1C_S1E_T6_T7_T9_mT8_S1G_bDpT10_ENKUlT_T0_E_clISt17integral_constantIbLb1EES1T_IbLb0EEEEDaS1P_S1Q_EUlS1P_E_NS1_11comp_targetILNS1_3genE9ELNS1_11target_archE1100ELNS1_3gpuE3ELNS1_3repE0EEENS1_30default_config_static_selectorELNS0_4arch9wavefront6targetE0EEEvS12_,@function
_ZN7rocprim17ROCPRIM_400000_NS6detail17trampoline_kernelINS0_13select_configILj256ELj13ELNS0_17block_load_methodE3ELS4_3ELS4_3ELNS0_20block_scan_algorithmE0ELj4294967295EEENS1_25partition_config_selectorILNS1_17partition_subalgoE4EjNS0_10empty_typeEbEEZZNS1_14partition_implILS8_4ELb0ES6_15HIP_vector_typeIjLj2EENS0_17counting_iteratorIjlEEPS9_SG_NS0_5tupleIJPjSI_NS0_16reverse_iteratorISI_EEEEENSH_IJSG_SG_SG_EEES9_SI_JZNS1_25segmented_radix_sort_implINS0_14default_configELb1EPKaPaPKlPlN2at6native12_GLOBAL__N_18offset_tEEE10hipError_tPvRmT1_PNSt15iterator_traitsIS12_E10value_typeET2_T3_PNS13_IS18_E10value_typeET4_jRbjT5_S1E_jjP12ihipStream_tbEUljE_ZNSN_ISO_Lb1ESQ_SR_ST_SU_SY_EESZ_S10_S11_S12_S16_S17_S18_S1B_S1C_jS1D_jS1E_S1E_jjS1G_bEUljE0_EEESZ_S10_S11_S18_S1C_S1E_T6_T7_T9_mT8_S1G_bDpT10_ENKUlT_T0_E_clISt17integral_constantIbLb1EES1T_IbLb0EEEEDaS1P_S1Q_EUlS1P_E_NS1_11comp_targetILNS1_3genE9ELNS1_11target_archE1100ELNS1_3gpuE3ELNS1_3repE0EEENS1_30default_config_static_selectorELNS0_4arch9wavefront6targetE0EEEvS12_: ; @_ZN7rocprim17ROCPRIM_400000_NS6detail17trampoline_kernelINS0_13select_configILj256ELj13ELNS0_17block_load_methodE3ELS4_3ELS4_3ELNS0_20block_scan_algorithmE0ELj4294967295EEENS1_25partition_config_selectorILNS1_17partition_subalgoE4EjNS0_10empty_typeEbEEZZNS1_14partition_implILS8_4ELb0ES6_15HIP_vector_typeIjLj2EENS0_17counting_iteratorIjlEEPS9_SG_NS0_5tupleIJPjSI_NS0_16reverse_iteratorISI_EEEEENSH_IJSG_SG_SG_EEES9_SI_JZNS1_25segmented_radix_sort_implINS0_14default_configELb1EPKaPaPKlPlN2at6native12_GLOBAL__N_18offset_tEEE10hipError_tPvRmT1_PNSt15iterator_traitsIS12_E10value_typeET2_T3_PNS13_IS18_E10value_typeET4_jRbjT5_S1E_jjP12ihipStream_tbEUljE_ZNSN_ISO_Lb1ESQ_SR_ST_SU_SY_EESZ_S10_S11_S12_S16_S17_S18_S1B_S1C_jS1D_jS1E_S1E_jjS1G_bEUljE0_EEESZ_S10_S11_S18_S1C_S1E_T6_T7_T9_mT8_S1G_bDpT10_ENKUlT_T0_E_clISt17integral_constantIbLb1EES1T_IbLb0EEEEDaS1P_S1Q_EUlS1P_E_NS1_11comp_targetILNS1_3genE9ELNS1_11target_archE1100ELNS1_3gpuE3ELNS1_3repE0EEENS1_30default_config_static_selectorELNS0_4arch9wavefront6targetE0EEEvS12_
; %bb.0:
	.section	.rodata,"a",@progbits
	.p2align	6, 0x0
	.amdhsa_kernel _ZN7rocprim17ROCPRIM_400000_NS6detail17trampoline_kernelINS0_13select_configILj256ELj13ELNS0_17block_load_methodE3ELS4_3ELS4_3ELNS0_20block_scan_algorithmE0ELj4294967295EEENS1_25partition_config_selectorILNS1_17partition_subalgoE4EjNS0_10empty_typeEbEEZZNS1_14partition_implILS8_4ELb0ES6_15HIP_vector_typeIjLj2EENS0_17counting_iteratorIjlEEPS9_SG_NS0_5tupleIJPjSI_NS0_16reverse_iteratorISI_EEEEENSH_IJSG_SG_SG_EEES9_SI_JZNS1_25segmented_radix_sort_implINS0_14default_configELb1EPKaPaPKlPlN2at6native12_GLOBAL__N_18offset_tEEE10hipError_tPvRmT1_PNSt15iterator_traitsIS12_E10value_typeET2_T3_PNS13_IS18_E10value_typeET4_jRbjT5_S1E_jjP12ihipStream_tbEUljE_ZNSN_ISO_Lb1ESQ_SR_ST_SU_SY_EESZ_S10_S11_S12_S16_S17_S18_S1B_S1C_jS1D_jS1E_S1E_jjS1G_bEUljE0_EEESZ_S10_S11_S18_S1C_S1E_T6_T7_T9_mT8_S1G_bDpT10_ENKUlT_T0_E_clISt17integral_constantIbLb1EES1T_IbLb0EEEEDaS1P_S1Q_EUlS1P_E_NS1_11comp_targetILNS1_3genE9ELNS1_11target_archE1100ELNS1_3gpuE3ELNS1_3repE0EEENS1_30default_config_static_selectorELNS0_4arch9wavefront6targetE0EEEvS12_
		.amdhsa_group_segment_fixed_size 0
		.amdhsa_private_segment_fixed_size 0
		.amdhsa_kernarg_size 176
		.amdhsa_user_sgpr_count 2
		.amdhsa_user_sgpr_dispatch_ptr 0
		.amdhsa_user_sgpr_queue_ptr 0
		.amdhsa_user_sgpr_kernarg_segment_ptr 1
		.amdhsa_user_sgpr_dispatch_id 0
		.amdhsa_user_sgpr_kernarg_preload_length 0
		.amdhsa_user_sgpr_kernarg_preload_offset 0
		.amdhsa_user_sgpr_private_segment_size 0
		.amdhsa_wavefront_size32 1
		.amdhsa_uses_dynamic_stack 0
		.amdhsa_enable_private_segment 0
		.amdhsa_system_sgpr_workgroup_id_x 1
		.amdhsa_system_sgpr_workgroup_id_y 0
		.amdhsa_system_sgpr_workgroup_id_z 0
		.amdhsa_system_sgpr_workgroup_info 0
		.amdhsa_system_vgpr_workitem_id 0
		.amdhsa_next_free_vgpr 1
		.amdhsa_next_free_sgpr 1
		.amdhsa_named_barrier_count 0
		.amdhsa_reserve_vcc 0
		.amdhsa_float_round_mode_32 0
		.amdhsa_float_round_mode_16_64 0
		.amdhsa_float_denorm_mode_32 3
		.amdhsa_float_denorm_mode_16_64 3
		.amdhsa_fp16_overflow 0
		.amdhsa_memory_ordered 1
		.amdhsa_forward_progress 1
		.amdhsa_inst_pref_size 0
		.amdhsa_round_robin_scheduling 0
		.amdhsa_exception_fp_ieee_invalid_op 0
		.amdhsa_exception_fp_denorm_src 0
		.amdhsa_exception_fp_ieee_div_zero 0
		.amdhsa_exception_fp_ieee_overflow 0
		.amdhsa_exception_fp_ieee_underflow 0
		.amdhsa_exception_fp_ieee_inexact 0
		.amdhsa_exception_int_div_zero 0
	.end_amdhsa_kernel
	.section	.text._ZN7rocprim17ROCPRIM_400000_NS6detail17trampoline_kernelINS0_13select_configILj256ELj13ELNS0_17block_load_methodE3ELS4_3ELS4_3ELNS0_20block_scan_algorithmE0ELj4294967295EEENS1_25partition_config_selectorILNS1_17partition_subalgoE4EjNS0_10empty_typeEbEEZZNS1_14partition_implILS8_4ELb0ES6_15HIP_vector_typeIjLj2EENS0_17counting_iteratorIjlEEPS9_SG_NS0_5tupleIJPjSI_NS0_16reverse_iteratorISI_EEEEENSH_IJSG_SG_SG_EEES9_SI_JZNS1_25segmented_radix_sort_implINS0_14default_configELb1EPKaPaPKlPlN2at6native12_GLOBAL__N_18offset_tEEE10hipError_tPvRmT1_PNSt15iterator_traitsIS12_E10value_typeET2_T3_PNS13_IS18_E10value_typeET4_jRbjT5_S1E_jjP12ihipStream_tbEUljE_ZNSN_ISO_Lb1ESQ_SR_ST_SU_SY_EESZ_S10_S11_S12_S16_S17_S18_S1B_S1C_jS1D_jS1E_S1E_jjS1G_bEUljE0_EEESZ_S10_S11_S18_S1C_S1E_T6_T7_T9_mT8_S1G_bDpT10_ENKUlT_T0_E_clISt17integral_constantIbLb1EES1T_IbLb0EEEEDaS1P_S1Q_EUlS1P_E_NS1_11comp_targetILNS1_3genE9ELNS1_11target_archE1100ELNS1_3gpuE3ELNS1_3repE0EEENS1_30default_config_static_selectorELNS0_4arch9wavefront6targetE0EEEvS12_,"axG",@progbits,_ZN7rocprim17ROCPRIM_400000_NS6detail17trampoline_kernelINS0_13select_configILj256ELj13ELNS0_17block_load_methodE3ELS4_3ELS4_3ELNS0_20block_scan_algorithmE0ELj4294967295EEENS1_25partition_config_selectorILNS1_17partition_subalgoE4EjNS0_10empty_typeEbEEZZNS1_14partition_implILS8_4ELb0ES6_15HIP_vector_typeIjLj2EENS0_17counting_iteratorIjlEEPS9_SG_NS0_5tupleIJPjSI_NS0_16reverse_iteratorISI_EEEEENSH_IJSG_SG_SG_EEES9_SI_JZNS1_25segmented_radix_sort_implINS0_14default_configELb1EPKaPaPKlPlN2at6native12_GLOBAL__N_18offset_tEEE10hipError_tPvRmT1_PNSt15iterator_traitsIS12_E10value_typeET2_T3_PNS13_IS18_E10value_typeET4_jRbjT5_S1E_jjP12ihipStream_tbEUljE_ZNSN_ISO_Lb1ESQ_SR_ST_SU_SY_EESZ_S10_S11_S12_S16_S17_S18_S1B_S1C_jS1D_jS1E_S1E_jjS1G_bEUljE0_EEESZ_S10_S11_S18_S1C_S1E_T6_T7_T9_mT8_S1G_bDpT10_ENKUlT_T0_E_clISt17integral_constantIbLb1EES1T_IbLb0EEEEDaS1P_S1Q_EUlS1P_E_NS1_11comp_targetILNS1_3genE9ELNS1_11target_archE1100ELNS1_3gpuE3ELNS1_3repE0EEENS1_30default_config_static_selectorELNS0_4arch9wavefront6targetE0EEEvS12_,comdat
.Lfunc_end246:
	.size	_ZN7rocprim17ROCPRIM_400000_NS6detail17trampoline_kernelINS0_13select_configILj256ELj13ELNS0_17block_load_methodE3ELS4_3ELS4_3ELNS0_20block_scan_algorithmE0ELj4294967295EEENS1_25partition_config_selectorILNS1_17partition_subalgoE4EjNS0_10empty_typeEbEEZZNS1_14partition_implILS8_4ELb0ES6_15HIP_vector_typeIjLj2EENS0_17counting_iteratorIjlEEPS9_SG_NS0_5tupleIJPjSI_NS0_16reverse_iteratorISI_EEEEENSH_IJSG_SG_SG_EEES9_SI_JZNS1_25segmented_radix_sort_implINS0_14default_configELb1EPKaPaPKlPlN2at6native12_GLOBAL__N_18offset_tEEE10hipError_tPvRmT1_PNSt15iterator_traitsIS12_E10value_typeET2_T3_PNS13_IS18_E10value_typeET4_jRbjT5_S1E_jjP12ihipStream_tbEUljE_ZNSN_ISO_Lb1ESQ_SR_ST_SU_SY_EESZ_S10_S11_S12_S16_S17_S18_S1B_S1C_jS1D_jS1E_S1E_jjS1G_bEUljE0_EEESZ_S10_S11_S18_S1C_S1E_T6_T7_T9_mT8_S1G_bDpT10_ENKUlT_T0_E_clISt17integral_constantIbLb1EES1T_IbLb0EEEEDaS1P_S1Q_EUlS1P_E_NS1_11comp_targetILNS1_3genE9ELNS1_11target_archE1100ELNS1_3gpuE3ELNS1_3repE0EEENS1_30default_config_static_selectorELNS0_4arch9wavefront6targetE0EEEvS12_, .Lfunc_end246-_ZN7rocprim17ROCPRIM_400000_NS6detail17trampoline_kernelINS0_13select_configILj256ELj13ELNS0_17block_load_methodE3ELS4_3ELS4_3ELNS0_20block_scan_algorithmE0ELj4294967295EEENS1_25partition_config_selectorILNS1_17partition_subalgoE4EjNS0_10empty_typeEbEEZZNS1_14partition_implILS8_4ELb0ES6_15HIP_vector_typeIjLj2EENS0_17counting_iteratorIjlEEPS9_SG_NS0_5tupleIJPjSI_NS0_16reverse_iteratorISI_EEEEENSH_IJSG_SG_SG_EEES9_SI_JZNS1_25segmented_radix_sort_implINS0_14default_configELb1EPKaPaPKlPlN2at6native12_GLOBAL__N_18offset_tEEE10hipError_tPvRmT1_PNSt15iterator_traitsIS12_E10value_typeET2_T3_PNS13_IS18_E10value_typeET4_jRbjT5_S1E_jjP12ihipStream_tbEUljE_ZNSN_ISO_Lb1ESQ_SR_ST_SU_SY_EESZ_S10_S11_S12_S16_S17_S18_S1B_S1C_jS1D_jS1E_S1E_jjS1G_bEUljE0_EEESZ_S10_S11_S18_S1C_S1E_T6_T7_T9_mT8_S1G_bDpT10_ENKUlT_T0_E_clISt17integral_constantIbLb1EES1T_IbLb0EEEEDaS1P_S1Q_EUlS1P_E_NS1_11comp_targetILNS1_3genE9ELNS1_11target_archE1100ELNS1_3gpuE3ELNS1_3repE0EEENS1_30default_config_static_selectorELNS0_4arch9wavefront6targetE0EEEvS12_
                                        ; -- End function
	.set _ZN7rocprim17ROCPRIM_400000_NS6detail17trampoline_kernelINS0_13select_configILj256ELj13ELNS0_17block_load_methodE3ELS4_3ELS4_3ELNS0_20block_scan_algorithmE0ELj4294967295EEENS1_25partition_config_selectorILNS1_17partition_subalgoE4EjNS0_10empty_typeEbEEZZNS1_14partition_implILS8_4ELb0ES6_15HIP_vector_typeIjLj2EENS0_17counting_iteratorIjlEEPS9_SG_NS0_5tupleIJPjSI_NS0_16reverse_iteratorISI_EEEEENSH_IJSG_SG_SG_EEES9_SI_JZNS1_25segmented_radix_sort_implINS0_14default_configELb1EPKaPaPKlPlN2at6native12_GLOBAL__N_18offset_tEEE10hipError_tPvRmT1_PNSt15iterator_traitsIS12_E10value_typeET2_T3_PNS13_IS18_E10value_typeET4_jRbjT5_S1E_jjP12ihipStream_tbEUljE_ZNSN_ISO_Lb1ESQ_SR_ST_SU_SY_EESZ_S10_S11_S12_S16_S17_S18_S1B_S1C_jS1D_jS1E_S1E_jjS1G_bEUljE0_EEESZ_S10_S11_S18_S1C_S1E_T6_T7_T9_mT8_S1G_bDpT10_ENKUlT_T0_E_clISt17integral_constantIbLb1EES1T_IbLb0EEEEDaS1P_S1Q_EUlS1P_E_NS1_11comp_targetILNS1_3genE9ELNS1_11target_archE1100ELNS1_3gpuE3ELNS1_3repE0EEENS1_30default_config_static_selectorELNS0_4arch9wavefront6targetE0EEEvS12_.num_vgpr, 0
	.set _ZN7rocprim17ROCPRIM_400000_NS6detail17trampoline_kernelINS0_13select_configILj256ELj13ELNS0_17block_load_methodE3ELS4_3ELS4_3ELNS0_20block_scan_algorithmE0ELj4294967295EEENS1_25partition_config_selectorILNS1_17partition_subalgoE4EjNS0_10empty_typeEbEEZZNS1_14partition_implILS8_4ELb0ES6_15HIP_vector_typeIjLj2EENS0_17counting_iteratorIjlEEPS9_SG_NS0_5tupleIJPjSI_NS0_16reverse_iteratorISI_EEEEENSH_IJSG_SG_SG_EEES9_SI_JZNS1_25segmented_radix_sort_implINS0_14default_configELb1EPKaPaPKlPlN2at6native12_GLOBAL__N_18offset_tEEE10hipError_tPvRmT1_PNSt15iterator_traitsIS12_E10value_typeET2_T3_PNS13_IS18_E10value_typeET4_jRbjT5_S1E_jjP12ihipStream_tbEUljE_ZNSN_ISO_Lb1ESQ_SR_ST_SU_SY_EESZ_S10_S11_S12_S16_S17_S18_S1B_S1C_jS1D_jS1E_S1E_jjS1G_bEUljE0_EEESZ_S10_S11_S18_S1C_S1E_T6_T7_T9_mT8_S1G_bDpT10_ENKUlT_T0_E_clISt17integral_constantIbLb1EES1T_IbLb0EEEEDaS1P_S1Q_EUlS1P_E_NS1_11comp_targetILNS1_3genE9ELNS1_11target_archE1100ELNS1_3gpuE3ELNS1_3repE0EEENS1_30default_config_static_selectorELNS0_4arch9wavefront6targetE0EEEvS12_.num_agpr, 0
	.set _ZN7rocprim17ROCPRIM_400000_NS6detail17trampoline_kernelINS0_13select_configILj256ELj13ELNS0_17block_load_methodE3ELS4_3ELS4_3ELNS0_20block_scan_algorithmE0ELj4294967295EEENS1_25partition_config_selectorILNS1_17partition_subalgoE4EjNS0_10empty_typeEbEEZZNS1_14partition_implILS8_4ELb0ES6_15HIP_vector_typeIjLj2EENS0_17counting_iteratorIjlEEPS9_SG_NS0_5tupleIJPjSI_NS0_16reverse_iteratorISI_EEEEENSH_IJSG_SG_SG_EEES9_SI_JZNS1_25segmented_radix_sort_implINS0_14default_configELb1EPKaPaPKlPlN2at6native12_GLOBAL__N_18offset_tEEE10hipError_tPvRmT1_PNSt15iterator_traitsIS12_E10value_typeET2_T3_PNS13_IS18_E10value_typeET4_jRbjT5_S1E_jjP12ihipStream_tbEUljE_ZNSN_ISO_Lb1ESQ_SR_ST_SU_SY_EESZ_S10_S11_S12_S16_S17_S18_S1B_S1C_jS1D_jS1E_S1E_jjS1G_bEUljE0_EEESZ_S10_S11_S18_S1C_S1E_T6_T7_T9_mT8_S1G_bDpT10_ENKUlT_T0_E_clISt17integral_constantIbLb1EES1T_IbLb0EEEEDaS1P_S1Q_EUlS1P_E_NS1_11comp_targetILNS1_3genE9ELNS1_11target_archE1100ELNS1_3gpuE3ELNS1_3repE0EEENS1_30default_config_static_selectorELNS0_4arch9wavefront6targetE0EEEvS12_.numbered_sgpr, 0
	.set _ZN7rocprim17ROCPRIM_400000_NS6detail17trampoline_kernelINS0_13select_configILj256ELj13ELNS0_17block_load_methodE3ELS4_3ELS4_3ELNS0_20block_scan_algorithmE0ELj4294967295EEENS1_25partition_config_selectorILNS1_17partition_subalgoE4EjNS0_10empty_typeEbEEZZNS1_14partition_implILS8_4ELb0ES6_15HIP_vector_typeIjLj2EENS0_17counting_iteratorIjlEEPS9_SG_NS0_5tupleIJPjSI_NS0_16reverse_iteratorISI_EEEEENSH_IJSG_SG_SG_EEES9_SI_JZNS1_25segmented_radix_sort_implINS0_14default_configELb1EPKaPaPKlPlN2at6native12_GLOBAL__N_18offset_tEEE10hipError_tPvRmT1_PNSt15iterator_traitsIS12_E10value_typeET2_T3_PNS13_IS18_E10value_typeET4_jRbjT5_S1E_jjP12ihipStream_tbEUljE_ZNSN_ISO_Lb1ESQ_SR_ST_SU_SY_EESZ_S10_S11_S12_S16_S17_S18_S1B_S1C_jS1D_jS1E_S1E_jjS1G_bEUljE0_EEESZ_S10_S11_S18_S1C_S1E_T6_T7_T9_mT8_S1G_bDpT10_ENKUlT_T0_E_clISt17integral_constantIbLb1EES1T_IbLb0EEEEDaS1P_S1Q_EUlS1P_E_NS1_11comp_targetILNS1_3genE9ELNS1_11target_archE1100ELNS1_3gpuE3ELNS1_3repE0EEENS1_30default_config_static_selectorELNS0_4arch9wavefront6targetE0EEEvS12_.num_named_barrier, 0
	.set _ZN7rocprim17ROCPRIM_400000_NS6detail17trampoline_kernelINS0_13select_configILj256ELj13ELNS0_17block_load_methodE3ELS4_3ELS4_3ELNS0_20block_scan_algorithmE0ELj4294967295EEENS1_25partition_config_selectorILNS1_17partition_subalgoE4EjNS0_10empty_typeEbEEZZNS1_14partition_implILS8_4ELb0ES6_15HIP_vector_typeIjLj2EENS0_17counting_iteratorIjlEEPS9_SG_NS0_5tupleIJPjSI_NS0_16reverse_iteratorISI_EEEEENSH_IJSG_SG_SG_EEES9_SI_JZNS1_25segmented_radix_sort_implINS0_14default_configELb1EPKaPaPKlPlN2at6native12_GLOBAL__N_18offset_tEEE10hipError_tPvRmT1_PNSt15iterator_traitsIS12_E10value_typeET2_T3_PNS13_IS18_E10value_typeET4_jRbjT5_S1E_jjP12ihipStream_tbEUljE_ZNSN_ISO_Lb1ESQ_SR_ST_SU_SY_EESZ_S10_S11_S12_S16_S17_S18_S1B_S1C_jS1D_jS1E_S1E_jjS1G_bEUljE0_EEESZ_S10_S11_S18_S1C_S1E_T6_T7_T9_mT8_S1G_bDpT10_ENKUlT_T0_E_clISt17integral_constantIbLb1EES1T_IbLb0EEEEDaS1P_S1Q_EUlS1P_E_NS1_11comp_targetILNS1_3genE9ELNS1_11target_archE1100ELNS1_3gpuE3ELNS1_3repE0EEENS1_30default_config_static_selectorELNS0_4arch9wavefront6targetE0EEEvS12_.private_seg_size, 0
	.set _ZN7rocprim17ROCPRIM_400000_NS6detail17trampoline_kernelINS0_13select_configILj256ELj13ELNS0_17block_load_methodE3ELS4_3ELS4_3ELNS0_20block_scan_algorithmE0ELj4294967295EEENS1_25partition_config_selectorILNS1_17partition_subalgoE4EjNS0_10empty_typeEbEEZZNS1_14partition_implILS8_4ELb0ES6_15HIP_vector_typeIjLj2EENS0_17counting_iteratorIjlEEPS9_SG_NS0_5tupleIJPjSI_NS0_16reverse_iteratorISI_EEEEENSH_IJSG_SG_SG_EEES9_SI_JZNS1_25segmented_radix_sort_implINS0_14default_configELb1EPKaPaPKlPlN2at6native12_GLOBAL__N_18offset_tEEE10hipError_tPvRmT1_PNSt15iterator_traitsIS12_E10value_typeET2_T3_PNS13_IS18_E10value_typeET4_jRbjT5_S1E_jjP12ihipStream_tbEUljE_ZNSN_ISO_Lb1ESQ_SR_ST_SU_SY_EESZ_S10_S11_S12_S16_S17_S18_S1B_S1C_jS1D_jS1E_S1E_jjS1G_bEUljE0_EEESZ_S10_S11_S18_S1C_S1E_T6_T7_T9_mT8_S1G_bDpT10_ENKUlT_T0_E_clISt17integral_constantIbLb1EES1T_IbLb0EEEEDaS1P_S1Q_EUlS1P_E_NS1_11comp_targetILNS1_3genE9ELNS1_11target_archE1100ELNS1_3gpuE3ELNS1_3repE0EEENS1_30default_config_static_selectorELNS0_4arch9wavefront6targetE0EEEvS12_.uses_vcc, 0
	.set _ZN7rocprim17ROCPRIM_400000_NS6detail17trampoline_kernelINS0_13select_configILj256ELj13ELNS0_17block_load_methodE3ELS4_3ELS4_3ELNS0_20block_scan_algorithmE0ELj4294967295EEENS1_25partition_config_selectorILNS1_17partition_subalgoE4EjNS0_10empty_typeEbEEZZNS1_14partition_implILS8_4ELb0ES6_15HIP_vector_typeIjLj2EENS0_17counting_iteratorIjlEEPS9_SG_NS0_5tupleIJPjSI_NS0_16reverse_iteratorISI_EEEEENSH_IJSG_SG_SG_EEES9_SI_JZNS1_25segmented_radix_sort_implINS0_14default_configELb1EPKaPaPKlPlN2at6native12_GLOBAL__N_18offset_tEEE10hipError_tPvRmT1_PNSt15iterator_traitsIS12_E10value_typeET2_T3_PNS13_IS18_E10value_typeET4_jRbjT5_S1E_jjP12ihipStream_tbEUljE_ZNSN_ISO_Lb1ESQ_SR_ST_SU_SY_EESZ_S10_S11_S12_S16_S17_S18_S1B_S1C_jS1D_jS1E_S1E_jjS1G_bEUljE0_EEESZ_S10_S11_S18_S1C_S1E_T6_T7_T9_mT8_S1G_bDpT10_ENKUlT_T0_E_clISt17integral_constantIbLb1EES1T_IbLb0EEEEDaS1P_S1Q_EUlS1P_E_NS1_11comp_targetILNS1_3genE9ELNS1_11target_archE1100ELNS1_3gpuE3ELNS1_3repE0EEENS1_30default_config_static_selectorELNS0_4arch9wavefront6targetE0EEEvS12_.uses_flat_scratch, 0
	.set _ZN7rocprim17ROCPRIM_400000_NS6detail17trampoline_kernelINS0_13select_configILj256ELj13ELNS0_17block_load_methodE3ELS4_3ELS4_3ELNS0_20block_scan_algorithmE0ELj4294967295EEENS1_25partition_config_selectorILNS1_17partition_subalgoE4EjNS0_10empty_typeEbEEZZNS1_14partition_implILS8_4ELb0ES6_15HIP_vector_typeIjLj2EENS0_17counting_iteratorIjlEEPS9_SG_NS0_5tupleIJPjSI_NS0_16reverse_iteratorISI_EEEEENSH_IJSG_SG_SG_EEES9_SI_JZNS1_25segmented_radix_sort_implINS0_14default_configELb1EPKaPaPKlPlN2at6native12_GLOBAL__N_18offset_tEEE10hipError_tPvRmT1_PNSt15iterator_traitsIS12_E10value_typeET2_T3_PNS13_IS18_E10value_typeET4_jRbjT5_S1E_jjP12ihipStream_tbEUljE_ZNSN_ISO_Lb1ESQ_SR_ST_SU_SY_EESZ_S10_S11_S12_S16_S17_S18_S1B_S1C_jS1D_jS1E_S1E_jjS1G_bEUljE0_EEESZ_S10_S11_S18_S1C_S1E_T6_T7_T9_mT8_S1G_bDpT10_ENKUlT_T0_E_clISt17integral_constantIbLb1EES1T_IbLb0EEEEDaS1P_S1Q_EUlS1P_E_NS1_11comp_targetILNS1_3genE9ELNS1_11target_archE1100ELNS1_3gpuE3ELNS1_3repE0EEENS1_30default_config_static_selectorELNS0_4arch9wavefront6targetE0EEEvS12_.has_dyn_sized_stack, 0
	.set _ZN7rocprim17ROCPRIM_400000_NS6detail17trampoline_kernelINS0_13select_configILj256ELj13ELNS0_17block_load_methodE3ELS4_3ELS4_3ELNS0_20block_scan_algorithmE0ELj4294967295EEENS1_25partition_config_selectorILNS1_17partition_subalgoE4EjNS0_10empty_typeEbEEZZNS1_14partition_implILS8_4ELb0ES6_15HIP_vector_typeIjLj2EENS0_17counting_iteratorIjlEEPS9_SG_NS0_5tupleIJPjSI_NS0_16reverse_iteratorISI_EEEEENSH_IJSG_SG_SG_EEES9_SI_JZNS1_25segmented_radix_sort_implINS0_14default_configELb1EPKaPaPKlPlN2at6native12_GLOBAL__N_18offset_tEEE10hipError_tPvRmT1_PNSt15iterator_traitsIS12_E10value_typeET2_T3_PNS13_IS18_E10value_typeET4_jRbjT5_S1E_jjP12ihipStream_tbEUljE_ZNSN_ISO_Lb1ESQ_SR_ST_SU_SY_EESZ_S10_S11_S12_S16_S17_S18_S1B_S1C_jS1D_jS1E_S1E_jjS1G_bEUljE0_EEESZ_S10_S11_S18_S1C_S1E_T6_T7_T9_mT8_S1G_bDpT10_ENKUlT_T0_E_clISt17integral_constantIbLb1EES1T_IbLb0EEEEDaS1P_S1Q_EUlS1P_E_NS1_11comp_targetILNS1_3genE9ELNS1_11target_archE1100ELNS1_3gpuE3ELNS1_3repE0EEENS1_30default_config_static_selectorELNS0_4arch9wavefront6targetE0EEEvS12_.has_recursion, 0
	.set _ZN7rocprim17ROCPRIM_400000_NS6detail17trampoline_kernelINS0_13select_configILj256ELj13ELNS0_17block_load_methodE3ELS4_3ELS4_3ELNS0_20block_scan_algorithmE0ELj4294967295EEENS1_25partition_config_selectorILNS1_17partition_subalgoE4EjNS0_10empty_typeEbEEZZNS1_14partition_implILS8_4ELb0ES6_15HIP_vector_typeIjLj2EENS0_17counting_iteratorIjlEEPS9_SG_NS0_5tupleIJPjSI_NS0_16reverse_iteratorISI_EEEEENSH_IJSG_SG_SG_EEES9_SI_JZNS1_25segmented_radix_sort_implINS0_14default_configELb1EPKaPaPKlPlN2at6native12_GLOBAL__N_18offset_tEEE10hipError_tPvRmT1_PNSt15iterator_traitsIS12_E10value_typeET2_T3_PNS13_IS18_E10value_typeET4_jRbjT5_S1E_jjP12ihipStream_tbEUljE_ZNSN_ISO_Lb1ESQ_SR_ST_SU_SY_EESZ_S10_S11_S12_S16_S17_S18_S1B_S1C_jS1D_jS1E_S1E_jjS1G_bEUljE0_EEESZ_S10_S11_S18_S1C_S1E_T6_T7_T9_mT8_S1G_bDpT10_ENKUlT_T0_E_clISt17integral_constantIbLb1EES1T_IbLb0EEEEDaS1P_S1Q_EUlS1P_E_NS1_11comp_targetILNS1_3genE9ELNS1_11target_archE1100ELNS1_3gpuE3ELNS1_3repE0EEENS1_30default_config_static_selectorELNS0_4arch9wavefront6targetE0EEEvS12_.has_indirect_call, 0
	.section	.AMDGPU.csdata,"",@progbits
; Kernel info:
; codeLenInByte = 0
; TotalNumSgprs: 0
; NumVgprs: 0
; ScratchSize: 0
; MemoryBound: 0
; FloatMode: 240
; IeeeMode: 1
; LDSByteSize: 0 bytes/workgroup (compile time only)
; SGPRBlocks: 0
; VGPRBlocks: 0
; NumSGPRsForWavesPerEU: 1
; NumVGPRsForWavesPerEU: 1
; NamedBarCnt: 0
; Occupancy: 16
; WaveLimiterHint : 0
; COMPUTE_PGM_RSRC2:SCRATCH_EN: 0
; COMPUTE_PGM_RSRC2:USER_SGPR: 2
; COMPUTE_PGM_RSRC2:TRAP_HANDLER: 0
; COMPUTE_PGM_RSRC2:TGID_X_EN: 1
; COMPUTE_PGM_RSRC2:TGID_Y_EN: 0
; COMPUTE_PGM_RSRC2:TGID_Z_EN: 0
; COMPUTE_PGM_RSRC2:TIDIG_COMP_CNT: 0
	.section	.text._ZN7rocprim17ROCPRIM_400000_NS6detail17trampoline_kernelINS0_13select_configILj256ELj13ELNS0_17block_load_methodE3ELS4_3ELS4_3ELNS0_20block_scan_algorithmE0ELj4294967295EEENS1_25partition_config_selectorILNS1_17partition_subalgoE4EjNS0_10empty_typeEbEEZZNS1_14partition_implILS8_4ELb0ES6_15HIP_vector_typeIjLj2EENS0_17counting_iteratorIjlEEPS9_SG_NS0_5tupleIJPjSI_NS0_16reverse_iteratorISI_EEEEENSH_IJSG_SG_SG_EEES9_SI_JZNS1_25segmented_radix_sort_implINS0_14default_configELb1EPKaPaPKlPlN2at6native12_GLOBAL__N_18offset_tEEE10hipError_tPvRmT1_PNSt15iterator_traitsIS12_E10value_typeET2_T3_PNS13_IS18_E10value_typeET4_jRbjT5_S1E_jjP12ihipStream_tbEUljE_ZNSN_ISO_Lb1ESQ_SR_ST_SU_SY_EESZ_S10_S11_S12_S16_S17_S18_S1B_S1C_jS1D_jS1E_S1E_jjS1G_bEUljE0_EEESZ_S10_S11_S18_S1C_S1E_T6_T7_T9_mT8_S1G_bDpT10_ENKUlT_T0_E_clISt17integral_constantIbLb1EES1T_IbLb0EEEEDaS1P_S1Q_EUlS1P_E_NS1_11comp_targetILNS1_3genE8ELNS1_11target_archE1030ELNS1_3gpuE2ELNS1_3repE0EEENS1_30default_config_static_selectorELNS0_4arch9wavefront6targetE0EEEvS12_,"axG",@progbits,_ZN7rocprim17ROCPRIM_400000_NS6detail17trampoline_kernelINS0_13select_configILj256ELj13ELNS0_17block_load_methodE3ELS4_3ELS4_3ELNS0_20block_scan_algorithmE0ELj4294967295EEENS1_25partition_config_selectorILNS1_17partition_subalgoE4EjNS0_10empty_typeEbEEZZNS1_14partition_implILS8_4ELb0ES6_15HIP_vector_typeIjLj2EENS0_17counting_iteratorIjlEEPS9_SG_NS0_5tupleIJPjSI_NS0_16reverse_iteratorISI_EEEEENSH_IJSG_SG_SG_EEES9_SI_JZNS1_25segmented_radix_sort_implINS0_14default_configELb1EPKaPaPKlPlN2at6native12_GLOBAL__N_18offset_tEEE10hipError_tPvRmT1_PNSt15iterator_traitsIS12_E10value_typeET2_T3_PNS13_IS18_E10value_typeET4_jRbjT5_S1E_jjP12ihipStream_tbEUljE_ZNSN_ISO_Lb1ESQ_SR_ST_SU_SY_EESZ_S10_S11_S12_S16_S17_S18_S1B_S1C_jS1D_jS1E_S1E_jjS1G_bEUljE0_EEESZ_S10_S11_S18_S1C_S1E_T6_T7_T9_mT8_S1G_bDpT10_ENKUlT_T0_E_clISt17integral_constantIbLb1EES1T_IbLb0EEEEDaS1P_S1Q_EUlS1P_E_NS1_11comp_targetILNS1_3genE8ELNS1_11target_archE1030ELNS1_3gpuE2ELNS1_3repE0EEENS1_30default_config_static_selectorELNS0_4arch9wavefront6targetE0EEEvS12_,comdat
	.globl	_ZN7rocprim17ROCPRIM_400000_NS6detail17trampoline_kernelINS0_13select_configILj256ELj13ELNS0_17block_load_methodE3ELS4_3ELS4_3ELNS0_20block_scan_algorithmE0ELj4294967295EEENS1_25partition_config_selectorILNS1_17partition_subalgoE4EjNS0_10empty_typeEbEEZZNS1_14partition_implILS8_4ELb0ES6_15HIP_vector_typeIjLj2EENS0_17counting_iteratorIjlEEPS9_SG_NS0_5tupleIJPjSI_NS0_16reverse_iteratorISI_EEEEENSH_IJSG_SG_SG_EEES9_SI_JZNS1_25segmented_radix_sort_implINS0_14default_configELb1EPKaPaPKlPlN2at6native12_GLOBAL__N_18offset_tEEE10hipError_tPvRmT1_PNSt15iterator_traitsIS12_E10value_typeET2_T3_PNS13_IS18_E10value_typeET4_jRbjT5_S1E_jjP12ihipStream_tbEUljE_ZNSN_ISO_Lb1ESQ_SR_ST_SU_SY_EESZ_S10_S11_S12_S16_S17_S18_S1B_S1C_jS1D_jS1E_S1E_jjS1G_bEUljE0_EEESZ_S10_S11_S18_S1C_S1E_T6_T7_T9_mT8_S1G_bDpT10_ENKUlT_T0_E_clISt17integral_constantIbLb1EES1T_IbLb0EEEEDaS1P_S1Q_EUlS1P_E_NS1_11comp_targetILNS1_3genE8ELNS1_11target_archE1030ELNS1_3gpuE2ELNS1_3repE0EEENS1_30default_config_static_selectorELNS0_4arch9wavefront6targetE0EEEvS12_ ; -- Begin function _ZN7rocprim17ROCPRIM_400000_NS6detail17trampoline_kernelINS0_13select_configILj256ELj13ELNS0_17block_load_methodE3ELS4_3ELS4_3ELNS0_20block_scan_algorithmE0ELj4294967295EEENS1_25partition_config_selectorILNS1_17partition_subalgoE4EjNS0_10empty_typeEbEEZZNS1_14partition_implILS8_4ELb0ES6_15HIP_vector_typeIjLj2EENS0_17counting_iteratorIjlEEPS9_SG_NS0_5tupleIJPjSI_NS0_16reverse_iteratorISI_EEEEENSH_IJSG_SG_SG_EEES9_SI_JZNS1_25segmented_radix_sort_implINS0_14default_configELb1EPKaPaPKlPlN2at6native12_GLOBAL__N_18offset_tEEE10hipError_tPvRmT1_PNSt15iterator_traitsIS12_E10value_typeET2_T3_PNS13_IS18_E10value_typeET4_jRbjT5_S1E_jjP12ihipStream_tbEUljE_ZNSN_ISO_Lb1ESQ_SR_ST_SU_SY_EESZ_S10_S11_S12_S16_S17_S18_S1B_S1C_jS1D_jS1E_S1E_jjS1G_bEUljE0_EEESZ_S10_S11_S18_S1C_S1E_T6_T7_T9_mT8_S1G_bDpT10_ENKUlT_T0_E_clISt17integral_constantIbLb1EES1T_IbLb0EEEEDaS1P_S1Q_EUlS1P_E_NS1_11comp_targetILNS1_3genE8ELNS1_11target_archE1030ELNS1_3gpuE2ELNS1_3repE0EEENS1_30default_config_static_selectorELNS0_4arch9wavefront6targetE0EEEvS12_
	.p2align	8
	.type	_ZN7rocprim17ROCPRIM_400000_NS6detail17trampoline_kernelINS0_13select_configILj256ELj13ELNS0_17block_load_methodE3ELS4_3ELS4_3ELNS0_20block_scan_algorithmE0ELj4294967295EEENS1_25partition_config_selectorILNS1_17partition_subalgoE4EjNS0_10empty_typeEbEEZZNS1_14partition_implILS8_4ELb0ES6_15HIP_vector_typeIjLj2EENS0_17counting_iteratorIjlEEPS9_SG_NS0_5tupleIJPjSI_NS0_16reverse_iteratorISI_EEEEENSH_IJSG_SG_SG_EEES9_SI_JZNS1_25segmented_radix_sort_implINS0_14default_configELb1EPKaPaPKlPlN2at6native12_GLOBAL__N_18offset_tEEE10hipError_tPvRmT1_PNSt15iterator_traitsIS12_E10value_typeET2_T3_PNS13_IS18_E10value_typeET4_jRbjT5_S1E_jjP12ihipStream_tbEUljE_ZNSN_ISO_Lb1ESQ_SR_ST_SU_SY_EESZ_S10_S11_S12_S16_S17_S18_S1B_S1C_jS1D_jS1E_S1E_jjS1G_bEUljE0_EEESZ_S10_S11_S18_S1C_S1E_T6_T7_T9_mT8_S1G_bDpT10_ENKUlT_T0_E_clISt17integral_constantIbLb1EES1T_IbLb0EEEEDaS1P_S1Q_EUlS1P_E_NS1_11comp_targetILNS1_3genE8ELNS1_11target_archE1030ELNS1_3gpuE2ELNS1_3repE0EEENS1_30default_config_static_selectorELNS0_4arch9wavefront6targetE0EEEvS12_,@function
_ZN7rocprim17ROCPRIM_400000_NS6detail17trampoline_kernelINS0_13select_configILj256ELj13ELNS0_17block_load_methodE3ELS4_3ELS4_3ELNS0_20block_scan_algorithmE0ELj4294967295EEENS1_25partition_config_selectorILNS1_17partition_subalgoE4EjNS0_10empty_typeEbEEZZNS1_14partition_implILS8_4ELb0ES6_15HIP_vector_typeIjLj2EENS0_17counting_iteratorIjlEEPS9_SG_NS0_5tupleIJPjSI_NS0_16reverse_iteratorISI_EEEEENSH_IJSG_SG_SG_EEES9_SI_JZNS1_25segmented_radix_sort_implINS0_14default_configELb1EPKaPaPKlPlN2at6native12_GLOBAL__N_18offset_tEEE10hipError_tPvRmT1_PNSt15iterator_traitsIS12_E10value_typeET2_T3_PNS13_IS18_E10value_typeET4_jRbjT5_S1E_jjP12ihipStream_tbEUljE_ZNSN_ISO_Lb1ESQ_SR_ST_SU_SY_EESZ_S10_S11_S12_S16_S17_S18_S1B_S1C_jS1D_jS1E_S1E_jjS1G_bEUljE0_EEESZ_S10_S11_S18_S1C_S1E_T6_T7_T9_mT8_S1G_bDpT10_ENKUlT_T0_E_clISt17integral_constantIbLb1EES1T_IbLb0EEEEDaS1P_S1Q_EUlS1P_E_NS1_11comp_targetILNS1_3genE8ELNS1_11target_archE1030ELNS1_3gpuE2ELNS1_3repE0EEENS1_30default_config_static_selectorELNS0_4arch9wavefront6targetE0EEEvS12_: ; @_ZN7rocprim17ROCPRIM_400000_NS6detail17trampoline_kernelINS0_13select_configILj256ELj13ELNS0_17block_load_methodE3ELS4_3ELS4_3ELNS0_20block_scan_algorithmE0ELj4294967295EEENS1_25partition_config_selectorILNS1_17partition_subalgoE4EjNS0_10empty_typeEbEEZZNS1_14partition_implILS8_4ELb0ES6_15HIP_vector_typeIjLj2EENS0_17counting_iteratorIjlEEPS9_SG_NS0_5tupleIJPjSI_NS0_16reverse_iteratorISI_EEEEENSH_IJSG_SG_SG_EEES9_SI_JZNS1_25segmented_radix_sort_implINS0_14default_configELb1EPKaPaPKlPlN2at6native12_GLOBAL__N_18offset_tEEE10hipError_tPvRmT1_PNSt15iterator_traitsIS12_E10value_typeET2_T3_PNS13_IS18_E10value_typeET4_jRbjT5_S1E_jjP12ihipStream_tbEUljE_ZNSN_ISO_Lb1ESQ_SR_ST_SU_SY_EESZ_S10_S11_S12_S16_S17_S18_S1B_S1C_jS1D_jS1E_S1E_jjS1G_bEUljE0_EEESZ_S10_S11_S18_S1C_S1E_T6_T7_T9_mT8_S1G_bDpT10_ENKUlT_T0_E_clISt17integral_constantIbLb1EES1T_IbLb0EEEEDaS1P_S1Q_EUlS1P_E_NS1_11comp_targetILNS1_3genE8ELNS1_11target_archE1030ELNS1_3gpuE2ELNS1_3repE0EEENS1_30default_config_static_selectorELNS0_4arch9wavefront6targetE0EEEvS12_
; %bb.0:
	.section	.rodata,"a",@progbits
	.p2align	6, 0x0
	.amdhsa_kernel _ZN7rocprim17ROCPRIM_400000_NS6detail17trampoline_kernelINS0_13select_configILj256ELj13ELNS0_17block_load_methodE3ELS4_3ELS4_3ELNS0_20block_scan_algorithmE0ELj4294967295EEENS1_25partition_config_selectorILNS1_17partition_subalgoE4EjNS0_10empty_typeEbEEZZNS1_14partition_implILS8_4ELb0ES6_15HIP_vector_typeIjLj2EENS0_17counting_iteratorIjlEEPS9_SG_NS0_5tupleIJPjSI_NS0_16reverse_iteratorISI_EEEEENSH_IJSG_SG_SG_EEES9_SI_JZNS1_25segmented_radix_sort_implINS0_14default_configELb1EPKaPaPKlPlN2at6native12_GLOBAL__N_18offset_tEEE10hipError_tPvRmT1_PNSt15iterator_traitsIS12_E10value_typeET2_T3_PNS13_IS18_E10value_typeET4_jRbjT5_S1E_jjP12ihipStream_tbEUljE_ZNSN_ISO_Lb1ESQ_SR_ST_SU_SY_EESZ_S10_S11_S12_S16_S17_S18_S1B_S1C_jS1D_jS1E_S1E_jjS1G_bEUljE0_EEESZ_S10_S11_S18_S1C_S1E_T6_T7_T9_mT8_S1G_bDpT10_ENKUlT_T0_E_clISt17integral_constantIbLb1EES1T_IbLb0EEEEDaS1P_S1Q_EUlS1P_E_NS1_11comp_targetILNS1_3genE8ELNS1_11target_archE1030ELNS1_3gpuE2ELNS1_3repE0EEENS1_30default_config_static_selectorELNS0_4arch9wavefront6targetE0EEEvS12_
		.amdhsa_group_segment_fixed_size 0
		.amdhsa_private_segment_fixed_size 0
		.amdhsa_kernarg_size 176
		.amdhsa_user_sgpr_count 2
		.amdhsa_user_sgpr_dispatch_ptr 0
		.amdhsa_user_sgpr_queue_ptr 0
		.amdhsa_user_sgpr_kernarg_segment_ptr 1
		.amdhsa_user_sgpr_dispatch_id 0
		.amdhsa_user_sgpr_kernarg_preload_length 0
		.amdhsa_user_sgpr_kernarg_preload_offset 0
		.amdhsa_user_sgpr_private_segment_size 0
		.amdhsa_wavefront_size32 1
		.amdhsa_uses_dynamic_stack 0
		.amdhsa_enable_private_segment 0
		.amdhsa_system_sgpr_workgroup_id_x 1
		.amdhsa_system_sgpr_workgroup_id_y 0
		.amdhsa_system_sgpr_workgroup_id_z 0
		.amdhsa_system_sgpr_workgroup_info 0
		.amdhsa_system_vgpr_workitem_id 0
		.amdhsa_next_free_vgpr 1
		.amdhsa_next_free_sgpr 1
		.amdhsa_named_barrier_count 0
		.amdhsa_reserve_vcc 0
		.amdhsa_float_round_mode_32 0
		.amdhsa_float_round_mode_16_64 0
		.amdhsa_float_denorm_mode_32 3
		.amdhsa_float_denorm_mode_16_64 3
		.amdhsa_fp16_overflow 0
		.amdhsa_memory_ordered 1
		.amdhsa_forward_progress 1
		.amdhsa_inst_pref_size 0
		.amdhsa_round_robin_scheduling 0
		.amdhsa_exception_fp_ieee_invalid_op 0
		.amdhsa_exception_fp_denorm_src 0
		.amdhsa_exception_fp_ieee_div_zero 0
		.amdhsa_exception_fp_ieee_overflow 0
		.amdhsa_exception_fp_ieee_underflow 0
		.amdhsa_exception_fp_ieee_inexact 0
		.amdhsa_exception_int_div_zero 0
	.end_amdhsa_kernel
	.section	.text._ZN7rocprim17ROCPRIM_400000_NS6detail17trampoline_kernelINS0_13select_configILj256ELj13ELNS0_17block_load_methodE3ELS4_3ELS4_3ELNS0_20block_scan_algorithmE0ELj4294967295EEENS1_25partition_config_selectorILNS1_17partition_subalgoE4EjNS0_10empty_typeEbEEZZNS1_14partition_implILS8_4ELb0ES6_15HIP_vector_typeIjLj2EENS0_17counting_iteratorIjlEEPS9_SG_NS0_5tupleIJPjSI_NS0_16reverse_iteratorISI_EEEEENSH_IJSG_SG_SG_EEES9_SI_JZNS1_25segmented_radix_sort_implINS0_14default_configELb1EPKaPaPKlPlN2at6native12_GLOBAL__N_18offset_tEEE10hipError_tPvRmT1_PNSt15iterator_traitsIS12_E10value_typeET2_T3_PNS13_IS18_E10value_typeET4_jRbjT5_S1E_jjP12ihipStream_tbEUljE_ZNSN_ISO_Lb1ESQ_SR_ST_SU_SY_EESZ_S10_S11_S12_S16_S17_S18_S1B_S1C_jS1D_jS1E_S1E_jjS1G_bEUljE0_EEESZ_S10_S11_S18_S1C_S1E_T6_T7_T9_mT8_S1G_bDpT10_ENKUlT_T0_E_clISt17integral_constantIbLb1EES1T_IbLb0EEEEDaS1P_S1Q_EUlS1P_E_NS1_11comp_targetILNS1_3genE8ELNS1_11target_archE1030ELNS1_3gpuE2ELNS1_3repE0EEENS1_30default_config_static_selectorELNS0_4arch9wavefront6targetE0EEEvS12_,"axG",@progbits,_ZN7rocprim17ROCPRIM_400000_NS6detail17trampoline_kernelINS0_13select_configILj256ELj13ELNS0_17block_load_methodE3ELS4_3ELS4_3ELNS0_20block_scan_algorithmE0ELj4294967295EEENS1_25partition_config_selectorILNS1_17partition_subalgoE4EjNS0_10empty_typeEbEEZZNS1_14partition_implILS8_4ELb0ES6_15HIP_vector_typeIjLj2EENS0_17counting_iteratorIjlEEPS9_SG_NS0_5tupleIJPjSI_NS0_16reverse_iteratorISI_EEEEENSH_IJSG_SG_SG_EEES9_SI_JZNS1_25segmented_radix_sort_implINS0_14default_configELb1EPKaPaPKlPlN2at6native12_GLOBAL__N_18offset_tEEE10hipError_tPvRmT1_PNSt15iterator_traitsIS12_E10value_typeET2_T3_PNS13_IS18_E10value_typeET4_jRbjT5_S1E_jjP12ihipStream_tbEUljE_ZNSN_ISO_Lb1ESQ_SR_ST_SU_SY_EESZ_S10_S11_S12_S16_S17_S18_S1B_S1C_jS1D_jS1E_S1E_jjS1G_bEUljE0_EEESZ_S10_S11_S18_S1C_S1E_T6_T7_T9_mT8_S1G_bDpT10_ENKUlT_T0_E_clISt17integral_constantIbLb1EES1T_IbLb0EEEEDaS1P_S1Q_EUlS1P_E_NS1_11comp_targetILNS1_3genE8ELNS1_11target_archE1030ELNS1_3gpuE2ELNS1_3repE0EEENS1_30default_config_static_selectorELNS0_4arch9wavefront6targetE0EEEvS12_,comdat
.Lfunc_end247:
	.size	_ZN7rocprim17ROCPRIM_400000_NS6detail17trampoline_kernelINS0_13select_configILj256ELj13ELNS0_17block_load_methodE3ELS4_3ELS4_3ELNS0_20block_scan_algorithmE0ELj4294967295EEENS1_25partition_config_selectorILNS1_17partition_subalgoE4EjNS0_10empty_typeEbEEZZNS1_14partition_implILS8_4ELb0ES6_15HIP_vector_typeIjLj2EENS0_17counting_iteratorIjlEEPS9_SG_NS0_5tupleIJPjSI_NS0_16reverse_iteratorISI_EEEEENSH_IJSG_SG_SG_EEES9_SI_JZNS1_25segmented_radix_sort_implINS0_14default_configELb1EPKaPaPKlPlN2at6native12_GLOBAL__N_18offset_tEEE10hipError_tPvRmT1_PNSt15iterator_traitsIS12_E10value_typeET2_T3_PNS13_IS18_E10value_typeET4_jRbjT5_S1E_jjP12ihipStream_tbEUljE_ZNSN_ISO_Lb1ESQ_SR_ST_SU_SY_EESZ_S10_S11_S12_S16_S17_S18_S1B_S1C_jS1D_jS1E_S1E_jjS1G_bEUljE0_EEESZ_S10_S11_S18_S1C_S1E_T6_T7_T9_mT8_S1G_bDpT10_ENKUlT_T0_E_clISt17integral_constantIbLb1EES1T_IbLb0EEEEDaS1P_S1Q_EUlS1P_E_NS1_11comp_targetILNS1_3genE8ELNS1_11target_archE1030ELNS1_3gpuE2ELNS1_3repE0EEENS1_30default_config_static_selectorELNS0_4arch9wavefront6targetE0EEEvS12_, .Lfunc_end247-_ZN7rocprim17ROCPRIM_400000_NS6detail17trampoline_kernelINS0_13select_configILj256ELj13ELNS0_17block_load_methodE3ELS4_3ELS4_3ELNS0_20block_scan_algorithmE0ELj4294967295EEENS1_25partition_config_selectorILNS1_17partition_subalgoE4EjNS0_10empty_typeEbEEZZNS1_14partition_implILS8_4ELb0ES6_15HIP_vector_typeIjLj2EENS0_17counting_iteratorIjlEEPS9_SG_NS0_5tupleIJPjSI_NS0_16reverse_iteratorISI_EEEEENSH_IJSG_SG_SG_EEES9_SI_JZNS1_25segmented_radix_sort_implINS0_14default_configELb1EPKaPaPKlPlN2at6native12_GLOBAL__N_18offset_tEEE10hipError_tPvRmT1_PNSt15iterator_traitsIS12_E10value_typeET2_T3_PNS13_IS18_E10value_typeET4_jRbjT5_S1E_jjP12ihipStream_tbEUljE_ZNSN_ISO_Lb1ESQ_SR_ST_SU_SY_EESZ_S10_S11_S12_S16_S17_S18_S1B_S1C_jS1D_jS1E_S1E_jjS1G_bEUljE0_EEESZ_S10_S11_S18_S1C_S1E_T6_T7_T9_mT8_S1G_bDpT10_ENKUlT_T0_E_clISt17integral_constantIbLb1EES1T_IbLb0EEEEDaS1P_S1Q_EUlS1P_E_NS1_11comp_targetILNS1_3genE8ELNS1_11target_archE1030ELNS1_3gpuE2ELNS1_3repE0EEENS1_30default_config_static_selectorELNS0_4arch9wavefront6targetE0EEEvS12_
                                        ; -- End function
	.set _ZN7rocprim17ROCPRIM_400000_NS6detail17trampoline_kernelINS0_13select_configILj256ELj13ELNS0_17block_load_methodE3ELS4_3ELS4_3ELNS0_20block_scan_algorithmE0ELj4294967295EEENS1_25partition_config_selectorILNS1_17partition_subalgoE4EjNS0_10empty_typeEbEEZZNS1_14partition_implILS8_4ELb0ES6_15HIP_vector_typeIjLj2EENS0_17counting_iteratorIjlEEPS9_SG_NS0_5tupleIJPjSI_NS0_16reverse_iteratorISI_EEEEENSH_IJSG_SG_SG_EEES9_SI_JZNS1_25segmented_radix_sort_implINS0_14default_configELb1EPKaPaPKlPlN2at6native12_GLOBAL__N_18offset_tEEE10hipError_tPvRmT1_PNSt15iterator_traitsIS12_E10value_typeET2_T3_PNS13_IS18_E10value_typeET4_jRbjT5_S1E_jjP12ihipStream_tbEUljE_ZNSN_ISO_Lb1ESQ_SR_ST_SU_SY_EESZ_S10_S11_S12_S16_S17_S18_S1B_S1C_jS1D_jS1E_S1E_jjS1G_bEUljE0_EEESZ_S10_S11_S18_S1C_S1E_T6_T7_T9_mT8_S1G_bDpT10_ENKUlT_T0_E_clISt17integral_constantIbLb1EES1T_IbLb0EEEEDaS1P_S1Q_EUlS1P_E_NS1_11comp_targetILNS1_3genE8ELNS1_11target_archE1030ELNS1_3gpuE2ELNS1_3repE0EEENS1_30default_config_static_selectorELNS0_4arch9wavefront6targetE0EEEvS12_.num_vgpr, 0
	.set _ZN7rocprim17ROCPRIM_400000_NS6detail17trampoline_kernelINS0_13select_configILj256ELj13ELNS0_17block_load_methodE3ELS4_3ELS4_3ELNS0_20block_scan_algorithmE0ELj4294967295EEENS1_25partition_config_selectorILNS1_17partition_subalgoE4EjNS0_10empty_typeEbEEZZNS1_14partition_implILS8_4ELb0ES6_15HIP_vector_typeIjLj2EENS0_17counting_iteratorIjlEEPS9_SG_NS0_5tupleIJPjSI_NS0_16reverse_iteratorISI_EEEEENSH_IJSG_SG_SG_EEES9_SI_JZNS1_25segmented_radix_sort_implINS0_14default_configELb1EPKaPaPKlPlN2at6native12_GLOBAL__N_18offset_tEEE10hipError_tPvRmT1_PNSt15iterator_traitsIS12_E10value_typeET2_T3_PNS13_IS18_E10value_typeET4_jRbjT5_S1E_jjP12ihipStream_tbEUljE_ZNSN_ISO_Lb1ESQ_SR_ST_SU_SY_EESZ_S10_S11_S12_S16_S17_S18_S1B_S1C_jS1D_jS1E_S1E_jjS1G_bEUljE0_EEESZ_S10_S11_S18_S1C_S1E_T6_T7_T9_mT8_S1G_bDpT10_ENKUlT_T0_E_clISt17integral_constantIbLb1EES1T_IbLb0EEEEDaS1P_S1Q_EUlS1P_E_NS1_11comp_targetILNS1_3genE8ELNS1_11target_archE1030ELNS1_3gpuE2ELNS1_3repE0EEENS1_30default_config_static_selectorELNS0_4arch9wavefront6targetE0EEEvS12_.num_agpr, 0
	.set _ZN7rocprim17ROCPRIM_400000_NS6detail17trampoline_kernelINS0_13select_configILj256ELj13ELNS0_17block_load_methodE3ELS4_3ELS4_3ELNS0_20block_scan_algorithmE0ELj4294967295EEENS1_25partition_config_selectorILNS1_17partition_subalgoE4EjNS0_10empty_typeEbEEZZNS1_14partition_implILS8_4ELb0ES6_15HIP_vector_typeIjLj2EENS0_17counting_iteratorIjlEEPS9_SG_NS0_5tupleIJPjSI_NS0_16reverse_iteratorISI_EEEEENSH_IJSG_SG_SG_EEES9_SI_JZNS1_25segmented_radix_sort_implINS0_14default_configELb1EPKaPaPKlPlN2at6native12_GLOBAL__N_18offset_tEEE10hipError_tPvRmT1_PNSt15iterator_traitsIS12_E10value_typeET2_T3_PNS13_IS18_E10value_typeET4_jRbjT5_S1E_jjP12ihipStream_tbEUljE_ZNSN_ISO_Lb1ESQ_SR_ST_SU_SY_EESZ_S10_S11_S12_S16_S17_S18_S1B_S1C_jS1D_jS1E_S1E_jjS1G_bEUljE0_EEESZ_S10_S11_S18_S1C_S1E_T6_T7_T9_mT8_S1G_bDpT10_ENKUlT_T0_E_clISt17integral_constantIbLb1EES1T_IbLb0EEEEDaS1P_S1Q_EUlS1P_E_NS1_11comp_targetILNS1_3genE8ELNS1_11target_archE1030ELNS1_3gpuE2ELNS1_3repE0EEENS1_30default_config_static_selectorELNS0_4arch9wavefront6targetE0EEEvS12_.numbered_sgpr, 0
	.set _ZN7rocprim17ROCPRIM_400000_NS6detail17trampoline_kernelINS0_13select_configILj256ELj13ELNS0_17block_load_methodE3ELS4_3ELS4_3ELNS0_20block_scan_algorithmE0ELj4294967295EEENS1_25partition_config_selectorILNS1_17partition_subalgoE4EjNS0_10empty_typeEbEEZZNS1_14partition_implILS8_4ELb0ES6_15HIP_vector_typeIjLj2EENS0_17counting_iteratorIjlEEPS9_SG_NS0_5tupleIJPjSI_NS0_16reverse_iteratorISI_EEEEENSH_IJSG_SG_SG_EEES9_SI_JZNS1_25segmented_radix_sort_implINS0_14default_configELb1EPKaPaPKlPlN2at6native12_GLOBAL__N_18offset_tEEE10hipError_tPvRmT1_PNSt15iterator_traitsIS12_E10value_typeET2_T3_PNS13_IS18_E10value_typeET4_jRbjT5_S1E_jjP12ihipStream_tbEUljE_ZNSN_ISO_Lb1ESQ_SR_ST_SU_SY_EESZ_S10_S11_S12_S16_S17_S18_S1B_S1C_jS1D_jS1E_S1E_jjS1G_bEUljE0_EEESZ_S10_S11_S18_S1C_S1E_T6_T7_T9_mT8_S1G_bDpT10_ENKUlT_T0_E_clISt17integral_constantIbLb1EES1T_IbLb0EEEEDaS1P_S1Q_EUlS1P_E_NS1_11comp_targetILNS1_3genE8ELNS1_11target_archE1030ELNS1_3gpuE2ELNS1_3repE0EEENS1_30default_config_static_selectorELNS0_4arch9wavefront6targetE0EEEvS12_.num_named_barrier, 0
	.set _ZN7rocprim17ROCPRIM_400000_NS6detail17trampoline_kernelINS0_13select_configILj256ELj13ELNS0_17block_load_methodE3ELS4_3ELS4_3ELNS0_20block_scan_algorithmE0ELj4294967295EEENS1_25partition_config_selectorILNS1_17partition_subalgoE4EjNS0_10empty_typeEbEEZZNS1_14partition_implILS8_4ELb0ES6_15HIP_vector_typeIjLj2EENS0_17counting_iteratorIjlEEPS9_SG_NS0_5tupleIJPjSI_NS0_16reverse_iteratorISI_EEEEENSH_IJSG_SG_SG_EEES9_SI_JZNS1_25segmented_radix_sort_implINS0_14default_configELb1EPKaPaPKlPlN2at6native12_GLOBAL__N_18offset_tEEE10hipError_tPvRmT1_PNSt15iterator_traitsIS12_E10value_typeET2_T3_PNS13_IS18_E10value_typeET4_jRbjT5_S1E_jjP12ihipStream_tbEUljE_ZNSN_ISO_Lb1ESQ_SR_ST_SU_SY_EESZ_S10_S11_S12_S16_S17_S18_S1B_S1C_jS1D_jS1E_S1E_jjS1G_bEUljE0_EEESZ_S10_S11_S18_S1C_S1E_T6_T7_T9_mT8_S1G_bDpT10_ENKUlT_T0_E_clISt17integral_constantIbLb1EES1T_IbLb0EEEEDaS1P_S1Q_EUlS1P_E_NS1_11comp_targetILNS1_3genE8ELNS1_11target_archE1030ELNS1_3gpuE2ELNS1_3repE0EEENS1_30default_config_static_selectorELNS0_4arch9wavefront6targetE0EEEvS12_.private_seg_size, 0
	.set _ZN7rocprim17ROCPRIM_400000_NS6detail17trampoline_kernelINS0_13select_configILj256ELj13ELNS0_17block_load_methodE3ELS4_3ELS4_3ELNS0_20block_scan_algorithmE0ELj4294967295EEENS1_25partition_config_selectorILNS1_17partition_subalgoE4EjNS0_10empty_typeEbEEZZNS1_14partition_implILS8_4ELb0ES6_15HIP_vector_typeIjLj2EENS0_17counting_iteratorIjlEEPS9_SG_NS0_5tupleIJPjSI_NS0_16reverse_iteratorISI_EEEEENSH_IJSG_SG_SG_EEES9_SI_JZNS1_25segmented_radix_sort_implINS0_14default_configELb1EPKaPaPKlPlN2at6native12_GLOBAL__N_18offset_tEEE10hipError_tPvRmT1_PNSt15iterator_traitsIS12_E10value_typeET2_T3_PNS13_IS18_E10value_typeET4_jRbjT5_S1E_jjP12ihipStream_tbEUljE_ZNSN_ISO_Lb1ESQ_SR_ST_SU_SY_EESZ_S10_S11_S12_S16_S17_S18_S1B_S1C_jS1D_jS1E_S1E_jjS1G_bEUljE0_EEESZ_S10_S11_S18_S1C_S1E_T6_T7_T9_mT8_S1G_bDpT10_ENKUlT_T0_E_clISt17integral_constantIbLb1EES1T_IbLb0EEEEDaS1P_S1Q_EUlS1P_E_NS1_11comp_targetILNS1_3genE8ELNS1_11target_archE1030ELNS1_3gpuE2ELNS1_3repE0EEENS1_30default_config_static_selectorELNS0_4arch9wavefront6targetE0EEEvS12_.uses_vcc, 0
	.set _ZN7rocprim17ROCPRIM_400000_NS6detail17trampoline_kernelINS0_13select_configILj256ELj13ELNS0_17block_load_methodE3ELS4_3ELS4_3ELNS0_20block_scan_algorithmE0ELj4294967295EEENS1_25partition_config_selectorILNS1_17partition_subalgoE4EjNS0_10empty_typeEbEEZZNS1_14partition_implILS8_4ELb0ES6_15HIP_vector_typeIjLj2EENS0_17counting_iteratorIjlEEPS9_SG_NS0_5tupleIJPjSI_NS0_16reverse_iteratorISI_EEEEENSH_IJSG_SG_SG_EEES9_SI_JZNS1_25segmented_radix_sort_implINS0_14default_configELb1EPKaPaPKlPlN2at6native12_GLOBAL__N_18offset_tEEE10hipError_tPvRmT1_PNSt15iterator_traitsIS12_E10value_typeET2_T3_PNS13_IS18_E10value_typeET4_jRbjT5_S1E_jjP12ihipStream_tbEUljE_ZNSN_ISO_Lb1ESQ_SR_ST_SU_SY_EESZ_S10_S11_S12_S16_S17_S18_S1B_S1C_jS1D_jS1E_S1E_jjS1G_bEUljE0_EEESZ_S10_S11_S18_S1C_S1E_T6_T7_T9_mT8_S1G_bDpT10_ENKUlT_T0_E_clISt17integral_constantIbLb1EES1T_IbLb0EEEEDaS1P_S1Q_EUlS1P_E_NS1_11comp_targetILNS1_3genE8ELNS1_11target_archE1030ELNS1_3gpuE2ELNS1_3repE0EEENS1_30default_config_static_selectorELNS0_4arch9wavefront6targetE0EEEvS12_.uses_flat_scratch, 0
	.set _ZN7rocprim17ROCPRIM_400000_NS6detail17trampoline_kernelINS0_13select_configILj256ELj13ELNS0_17block_load_methodE3ELS4_3ELS4_3ELNS0_20block_scan_algorithmE0ELj4294967295EEENS1_25partition_config_selectorILNS1_17partition_subalgoE4EjNS0_10empty_typeEbEEZZNS1_14partition_implILS8_4ELb0ES6_15HIP_vector_typeIjLj2EENS0_17counting_iteratorIjlEEPS9_SG_NS0_5tupleIJPjSI_NS0_16reverse_iteratorISI_EEEEENSH_IJSG_SG_SG_EEES9_SI_JZNS1_25segmented_radix_sort_implINS0_14default_configELb1EPKaPaPKlPlN2at6native12_GLOBAL__N_18offset_tEEE10hipError_tPvRmT1_PNSt15iterator_traitsIS12_E10value_typeET2_T3_PNS13_IS18_E10value_typeET4_jRbjT5_S1E_jjP12ihipStream_tbEUljE_ZNSN_ISO_Lb1ESQ_SR_ST_SU_SY_EESZ_S10_S11_S12_S16_S17_S18_S1B_S1C_jS1D_jS1E_S1E_jjS1G_bEUljE0_EEESZ_S10_S11_S18_S1C_S1E_T6_T7_T9_mT8_S1G_bDpT10_ENKUlT_T0_E_clISt17integral_constantIbLb1EES1T_IbLb0EEEEDaS1P_S1Q_EUlS1P_E_NS1_11comp_targetILNS1_3genE8ELNS1_11target_archE1030ELNS1_3gpuE2ELNS1_3repE0EEENS1_30default_config_static_selectorELNS0_4arch9wavefront6targetE0EEEvS12_.has_dyn_sized_stack, 0
	.set _ZN7rocprim17ROCPRIM_400000_NS6detail17trampoline_kernelINS0_13select_configILj256ELj13ELNS0_17block_load_methodE3ELS4_3ELS4_3ELNS0_20block_scan_algorithmE0ELj4294967295EEENS1_25partition_config_selectorILNS1_17partition_subalgoE4EjNS0_10empty_typeEbEEZZNS1_14partition_implILS8_4ELb0ES6_15HIP_vector_typeIjLj2EENS0_17counting_iteratorIjlEEPS9_SG_NS0_5tupleIJPjSI_NS0_16reverse_iteratorISI_EEEEENSH_IJSG_SG_SG_EEES9_SI_JZNS1_25segmented_radix_sort_implINS0_14default_configELb1EPKaPaPKlPlN2at6native12_GLOBAL__N_18offset_tEEE10hipError_tPvRmT1_PNSt15iterator_traitsIS12_E10value_typeET2_T3_PNS13_IS18_E10value_typeET4_jRbjT5_S1E_jjP12ihipStream_tbEUljE_ZNSN_ISO_Lb1ESQ_SR_ST_SU_SY_EESZ_S10_S11_S12_S16_S17_S18_S1B_S1C_jS1D_jS1E_S1E_jjS1G_bEUljE0_EEESZ_S10_S11_S18_S1C_S1E_T6_T7_T9_mT8_S1G_bDpT10_ENKUlT_T0_E_clISt17integral_constantIbLb1EES1T_IbLb0EEEEDaS1P_S1Q_EUlS1P_E_NS1_11comp_targetILNS1_3genE8ELNS1_11target_archE1030ELNS1_3gpuE2ELNS1_3repE0EEENS1_30default_config_static_selectorELNS0_4arch9wavefront6targetE0EEEvS12_.has_recursion, 0
	.set _ZN7rocprim17ROCPRIM_400000_NS6detail17trampoline_kernelINS0_13select_configILj256ELj13ELNS0_17block_load_methodE3ELS4_3ELS4_3ELNS0_20block_scan_algorithmE0ELj4294967295EEENS1_25partition_config_selectorILNS1_17partition_subalgoE4EjNS0_10empty_typeEbEEZZNS1_14partition_implILS8_4ELb0ES6_15HIP_vector_typeIjLj2EENS0_17counting_iteratorIjlEEPS9_SG_NS0_5tupleIJPjSI_NS0_16reverse_iteratorISI_EEEEENSH_IJSG_SG_SG_EEES9_SI_JZNS1_25segmented_radix_sort_implINS0_14default_configELb1EPKaPaPKlPlN2at6native12_GLOBAL__N_18offset_tEEE10hipError_tPvRmT1_PNSt15iterator_traitsIS12_E10value_typeET2_T3_PNS13_IS18_E10value_typeET4_jRbjT5_S1E_jjP12ihipStream_tbEUljE_ZNSN_ISO_Lb1ESQ_SR_ST_SU_SY_EESZ_S10_S11_S12_S16_S17_S18_S1B_S1C_jS1D_jS1E_S1E_jjS1G_bEUljE0_EEESZ_S10_S11_S18_S1C_S1E_T6_T7_T9_mT8_S1G_bDpT10_ENKUlT_T0_E_clISt17integral_constantIbLb1EES1T_IbLb0EEEEDaS1P_S1Q_EUlS1P_E_NS1_11comp_targetILNS1_3genE8ELNS1_11target_archE1030ELNS1_3gpuE2ELNS1_3repE0EEENS1_30default_config_static_selectorELNS0_4arch9wavefront6targetE0EEEvS12_.has_indirect_call, 0
	.section	.AMDGPU.csdata,"",@progbits
; Kernel info:
; codeLenInByte = 0
; TotalNumSgprs: 0
; NumVgprs: 0
; ScratchSize: 0
; MemoryBound: 0
; FloatMode: 240
; IeeeMode: 1
; LDSByteSize: 0 bytes/workgroup (compile time only)
; SGPRBlocks: 0
; VGPRBlocks: 0
; NumSGPRsForWavesPerEU: 1
; NumVGPRsForWavesPerEU: 1
; NamedBarCnt: 0
; Occupancy: 16
; WaveLimiterHint : 0
; COMPUTE_PGM_RSRC2:SCRATCH_EN: 0
; COMPUTE_PGM_RSRC2:USER_SGPR: 2
; COMPUTE_PGM_RSRC2:TRAP_HANDLER: 0
; COMPUTE_PGM_RSRC2:TGID_X_EN: 1
; COMPUTE_PGM_RSRC2:TGID_Y_EN: 0
; COMPUTE_PGM_RSRC2:TGID_Z_EN: 0
; COMPUTE_PGM_RSRC2:TIDIG_COMP_CNT: 0
	.section	.text._ZN7rocprim17ROCPRIM_400000_NS6detail17trampoline_kernelINS0_13select_configILj256ELj13ELNS0_17block_load_methodE3ELS4_3ELS4_3ELNS0_20block_scan_algorithmE0ELj4294967295EEENS1_25partition_config_selectorILNS1_17partition_subalgoE4EjNS0_10empty_typeEbEEZZNS1_14partition_implILS8_4ELb0ES6_15HIP_vector_typeIjLj2EENS0_17counting_iteratorIjlEEPS9_SG_NS0_5tupleIJPjSI_NS0_16reverse_iteratorISI_EEEEENSH_IJSG_SG_SG_EEES9_SI_JZNS1_25segmented_radix_sort_implINS0_14default_configELb1EPKaPaPKlPlN2at6native12_GLOBAL__N_18offset_tEEE10hipError_tPvRmT1_PNSt15iterator_traitsIS12_E10value_typeET2_T3_PNS13_IS18_E10value_typeET4_jRbjT5_S1E_jjP12ihipStream_tbEUljE_ZNSN_ISO_Lb1ESQ_SR_ST_SU_SY_EESZ_S10_S11_S12_S16_S17_S18_S1B_S1C_jS1D_jS1E_S1E_jjS1G_bEUljE0_EEESZ_S10_S11_S18_S1C_S1E_T6_T7_T9_mT8_S1G_bDpT10_ENKUlT_T0_E_clISt17integral_constantIbLb0EES1T_IbLb1EEEEDaS1P_S1Q_EUlS1P_E_NS1_11comp_targetILNS1_3genE0ELNS1_11target_archE4294967295ELNS1_3gpuE0ELNS1_3repE0EEENS1_30default_config_static_selectorELNS0_4arch9wavefront6targetE0EEEvS12_,"axG",@progbits,_ZN7rocprim17ROCPRIM_400000_NS6detail17trampoline_kernelINS0_13select_configILj256ELj13ELNS0_17block_load_methodE3ELS4_3ELS4_3ELNS0_20block_scan_algorithmE0ELj4294967295EEENS1_25partition_config_selectorILNS1_17partition_subalgoE4EjNS0_10empty_typeEbEEZZNS1_14partition_implILS8_4ELb0ES6_15HIP_vector_typeIjLj2EENS0_17counting_iteratorIjlEEPS9_SG_NS0_5tupleIJPjSI_NS0_16reverse_iteratorISI_EEEEENSH_IJSG_SG_SG_EEES9_SI_JZNS1_25segmented_radix_sort_implINS0_14default_configELb1EPKaPaPKlPlN2at6native12_GLOBAL__N_18offset_tEEE10hipError_tPvRmT1_PNSt15iterator_traitsIS12_E10value_typeET2_T3_PNS13_IS18_E10value_typeET4_jRbjT5_S1E_jjP12ihipStream_tbEUljE_ZNSN_ISO_Lb1ESQ_SR_ST_SU_SY_EESZ_S10_S11_S12_S16_S17_S18_S1B_S1C_jS1D_jS1E_S1E_jjS1G_bEUljE0_EEESZ_S10_S11_S18_S1C_S1E_T6_T7_T9_mT8_S1G_bDpT10_ENKUlT_T0_E_clISt17integral_constantIbLb0EES1T_IbLb1EEEEDaS1P_S1Q_EUlS1P_E_NS1_11comp_targetILNS1_3genE0ELNS1_11target_archE4294967295ELNS1_3gpuE0ELNS1_3repE0EEENS1_30default_config_static_selectorELNS0_4arch9wavefront6targetE0EEEvS12_,comdat
	.globl	_ZN7rocprim17ROCPRIM_400000_NS6detail17trampoline_kernelINS0_13select_configILj256ELj13ELNS0_17block_load_methodE3ELS4_3ELS4_3ELNS0_20block_scan_algorithmE0ELj4294967295EEENS1_25partition_config_selectorILNS1_17partition_subalgoE4EjNS0_10empty_typeEbEEZZNS1_14partition_implILS8_4ELb0ES6_15HIP_vector_typeIjLj2EENS0_17counting_iteratorIjlEEPS9_SG_NS0_5tupleIJPjSI_NS0_16reverse_iteratorISI_EEEEENSH_IJSG_SG_SG_EEES9_SI_JZNS1_25segmented_radix_sort_implINS0_14default_configELb1EPKaPaPKlPlN2at6native12_GLOBAL__N_18offset_tEEE10hipError_tPvRmT1_PNSt15iterator_traitsIS12_E10value_typeET2_T3_PNS13_IS18_E10value_typeET4_jRbjT5_S1E_jjP12ihipStream_tbEUljE_ZNSN_ISO_Lb1ESQ_SR_ST_SU_SY_EESZ_S10_S11_S12_S16_S17_S18_S1B_S1C_jS1D_jS1E_S1E_jjS1G_bEUljE0_EEESZ_S10_S11_S18_S1C_S1E_T6_T7_T9_mT8_S1G_bDpT10_ENKUlT_T0_E_clISt17integral_constantIbLb0EES1T_IbLb1EEEEDaS1P_S1Q_EUlS1P_E_NS1_11comp_targetILNS1_3genE0ELNS1_11target_archE4294967295ELNS1_3gpuE0ELNS1_3repE0EEENS1_30default_config_static_selectorELNS0_4arch9wavefront6targetE0EEEvS12_ ; -- Begin function _ZN7rocprim17ROCPRIM_400000_NS6detail17trampoline_kernelINS0_13select_configILj256ELj13ELNS0_17block_load_methodE3ELS4_3ELS4_3ELNS0_20block_scan_algorithmE0ELj4294967295EEENS1_25partition_config_selectorILNS1_17partition_subalgoE4EjNS0_10empty_typeEbEEZZNS1_14partition_implILS8_4ELb0ES6_15HIP_vector_typeIjLj2EENS0_17counting_iteratorIjlEEPS9_SG_NS0_5tupleIJPjSI_NS0_16reverse_iteratorISI_EEEEENSH_IJSG_SG_SG_EEES9_SI_JZNS1_25segmented_radix_sort_implINS0_14default_configELb1EPKaPaPKlPlN2at6native12_GLOBAL__N_18offset_tEEE10hipError_tPvRmT1_PNSt15iterator_traitsIS12_E10value_typeET2_T3_PNS13_IS18_E10value_typeET4_jRbjT5_S1E_jjP12ihipStream_tbEUljE_ZNSN_ISO_Lb1ESQ_SR_ST_SU_SY_EESZ_S10_S11_S12_S16_S17_S18_S1B_S1C_jS1D_jS1E_S1E_jjS1G_bEUljE0_EEESZ_S10_S11_S18_S1C_S1E_T6_T7_T9_mT8_S1G_bDpT10_ENKUlT_T0_E_clISt17integral_constantIbLb0EES1T_IbLb1EEEEDaS1P_S1Q_EUlS1P_E_NS1_11comp_targetILNS1_3genE0ELNS1_11target_archE4294967295ELNS1_3gpuE0ELNS1_3repE0EEENS1_30default_config_static_selectorELNS0_4arch9wavefront6targetE0EEEvS12_
	.p2align	8
	.type	_ZN7rocprim17ROCPRIM_400000_NS6detail17trampoline_kernelINS0_13select_configILj256ELj13ELNS0_17block_load_methodE3ELS4_3ELS4_3ELNS0_20block_scan_algorithmE0ELj4294967295EEENS1_25partition_config_selectorILNS1_17partition_subalgoE4EjNS0_10empty_typeEbEEZZNS1_14partition_implILS8_4ELb0ES6_15HIP_vector_typeIjLj2EENS0_17counting_iteratorIjlEEPS9_SG_NS0_5tupleIJPjSI_NS0_16reverse_iteratorISI_EEEEENSH_IJSG_SG_SG_EEES9_SI_JZNS1_25segmented_radix_sort_implINS0_14default_configELb1EPKaPaPKlPlN2at6native12_GLOBAL__N_18offset_tEEE10hipError_tPvRmT1_PNSt15iterator_traitsIS12_E10value_typeET2_T3_PNS13_IS18_E10value_typeET4_jRbjT5_S1E_jjP12ihipStream_tbEUljE_ZNSN_ISO_Lb1ESQ_SR_ST_SU_SY_EESZ_S10_S11_S12_S16_S17_S18_S1B_S1C_jS1D_jS1E_S1E_jjS1G_bEUljE0_EEESZ_S10_S11_S18_S1C_S1E_T6_T7_T9_mT8_S1G_bDpT10_ENKUlT_T0_E_clISt17integral_constantIbLb0EES1T_IbLb1EEEEDaS1P_S1Q_EUlS1P_E_NS1_11comp_targetILNS1_3genE0ELNS1_11target_archE4294967295ELNS1_3gpuE0ELNS1_3repE0EEENS1_30default_config_static_selectorELNS0_4arch9wavefront6targetE0EEEvS12_,@function
_ZN7rocprim17ROCPRIM_400000_NS6detail17trampoline_kernelINS0_13select_configILj256ELj13ELNS0_17block_load_methodE3ELS4_3ELS4_3ELNS0_20block_scan_algorithmE0ELj4294967295EEENS1_25partition_config_selectorILNS1_17partition_subalgoE4EjNS0_10empty_typeEbEEZZNS1_14partition_implILS8_4ELb0ES6_15HIP_vector_typeIjLj2EENS0_17counting_iteratorIjlEEPS9_SG_NS0_5tupleIJPjSI_NS0_16reverse_iteratorISI_EEEEENSH_IJSG_SG_SG_EEES9_SI_JZNS1_25segmented_radix_sort_implINS0_14default_configELb1EPKaPaPKlPlN2at6native12_GLOBAL__N_18offset_tEEE10hipError_tPvRmT1_PNSt15iterator_traitsIS12_E10value_typeET2_T3_PNS13_IS18_E10value_typeET4_jRbjT5_S1E_jjP12ihipStream_tbEUljE_ZNSN_ISO_Lb1ESQ_SR_ST_SU_SY_EESZ_S10_S11_S12_S16_S17_S18_S1B_S1C_jS1D_jS1E_S1E_jjS1G_bEUljE0_EEESZ_S10_S11_S18_S1C_S1E_T6_T7_T9_mT8_S1G_bDpT10_ENKUlT_T0_E_clISt17integral_constantIbLb0EES1T_IbLb1EEEEDaS1P_S1Q_EUlS1P_E_NS1_11comp_targetILNS1_3genE0ELNS1_11target_archE4294967295ELNS1_3gpuE0ELNS1_3repE0EEENS1_30default_config_static_selectorELNS0_4arch9wavefront6targetE0EEEvS12_: ; @_ZN7rocprim17ROCPRIM_400000_NS6detail17trampoline_kernelINS0_13select_configILj256ELj13ELNS0_17block_load_methodE3ELS4_3ELS4_3ELNS0_20block_scan_algorithmE0ELj4294967295EEENS1_25partition_config_selectorILNS1_17partition_subalgoE4EjNS0_10empty_typeEbEEZZNS1_14partition_implILS8_4ELb0ES6_15HIP_vector_typeIjLj2EENS0_17counting_iteratorIjlEEPS9_SG_NS0_5tupleIJPjSI_NS0_16reverse_iteratorISI_EEEEENSH_IJSG_SG_SG_EEES9_SI_JZNS1_25segmented_radix_sort_implINS0_14default_configELb1EPKaPaPKlPlN2at6native12_GLOBAL__N_18offset_tEEE10hipError_tPvRmT1_PNSt15iterator_traitsIS12_E10value_typeET2_T3_PNS13_IS18_E10value_typeET4_jRbjT5_S1E_jjP12ihipStream_tbEUljE_ZNSN_ISO_Lb1ESQ_SR_ST_SU_SY_EESZ_S10_S11_S12_S16_S17_S18_S1B_S1C_jS1D_jS1E_S1E_jjS1G_bEUljE0_EEESZ_S10_S11_S18_S1C_S1E_T6_T7_T9_mT8_S1G_bDpT10_ENKUlT_T0_E_clISt17integral_constantIbLb0EES1T_IbLb1EEEEDaS1P_S1Q_EUlS1P_E_NS1_11comp_targetILNS1_3genE0ELNS1_11target_archE4294967295ELNS1_3gpuE0ELNS1_3repE0EEENS1_30default_config_static_selectorELNS0_4arch9wavefront6targetE0EEEvS12_
; %bb.0:
	s_clause 0x7
	s_load_b64 s[34:35], s[0:1], 0x10
	s_load_b128 s[28:31], s[0:1], 0x28
	s_load_b64 s[14:15], s[0:1], 0x38
	s_load_b128 s[24:27], s[0:1], 0x58
	s_load_b64 s[4:5], s[0:1], 0x68
	s_load_b64 s[36:37], s[0:1], 0x78
	;; [unrolled: 1-line block ×3, first 2 shown]
	s_load_b256 s[16:23], s[0:1], 0x90
	v_cmp_eq_u32_e64 s2, 0, v0
	s_and_saveexec_b32 s3, s2
	s_cbranch_execz .LBB248_4
; %bb.1:
	s_mov_b32 s7, exec_lo
	s_mov_b32 s6, exec_lo
	v_mbcnt_lo_u32_b32 v1, s7, 0
                                        ; implicit-def: $vgpr2
	s_delay_alu instid0(VALU_DEP_1)
	v_cmpx_eq_u32_e32 0, v1
	s_cbranch_execz .LBB248_3
; %bb.2:
	s_load_b64 s[8:9], s[0:1], 0x88
	s_bcnt1_i32_b32 s7, s7
	s_delay_alu instid0(SALU_CYCLE_1)
	v_dual_mov_b32 v2, 0 :: v_dual_mov_b32 v3, s7
	s_wait_xcnt 0x0
	s_wait_kmcnt 0x0
	global_atomic_add_u32 v2, v2, v3, s[8:9] th:TH_ATOMIC_RETURN scope:SCOPE_DEV
.LBB248_3:
	s_wait_xcnt 0x0
	s_or_b32 exec_lo, exec_lo, s6
	s_wait_loadcnt 0x0
	v_readfirstlane_b32 s6, v2
	s_delay_alu instid0(VALU_DEP_1)
	v_dual_mov_b32 v2, 0 :: v_dual_add_nc_u32 v1, s6, v1
	ds_store_b32 v2, v1
.LBB248_4:
	s_or_b32 exec_lo, exec_lo, s3
	v_mov_b32_e32 v1, 0
	s_clause 0x1
	s_load_b32 s3, s[0:1], 0x8
	s_load_b32 s6, s[0:1], 0x80
	s_wait_dscnt 0x0
	s_barrier_signal -1
	s_barrier_wait -1
	ds_load_b32 v6, v1
	s_wait_dscnt 0x0
	s_barrier_signal -1
	s_barrier_wait -1
	s_wait_kmcnt 0x0
	global_load_b128 v[2:5], v1, s[26:27]
	s_mov_b32 s1, 0
	s_add_co_i32 s3, s3, s34
	s_mul_i32 s0, s6, 0xd00
	s_add_co_i32 s6, s6, -1
	s_add_nc_u64 s[8:9], s[34:35], s[0:1]
	s_delay_alu instid0(SALU_CYCLE_1)
	v_cmp_gt_u64_e64 s1, s[4:5], s[8:9]
	v_mul_lo_u32 v14, 0xd00, v6
	s_wait_xcnt 0x0
	v_readfirstlane_b32 s27, v6
	v_cmp_ne_u32_e32 vcc_lo, s6, v6
	s_cmp_eq_u32 s27, s6
	s_cselect_b32 s26, -1, 0
	s_or_b32 s1, s1, vcc_lo
	v_add3_u32 v1, v14, s3, v0
	s_and_b32 vcc_lo, exec_lo, s1
	s_mov_b32 s3, -1
	s_delay_alu instid0(VALU_DEP_1)
	v_add_nc_u32_e32 v6, 0x100, v1
	v_add_nc_u32_e32 v7, 0x200, v1
	;; [unrolled: 1-line block ×12, first 2 shown]
	s_cbranch_vccz .LBB248_6
; %bb.5:
	v_lshlrev_b32_e32 v19, 2, v0
	s_mov_b32 s3, 0
	ds_store_2addr_stride64_b32 v19, v1, v6 offset1:4
	ds_store_2addr_stride64_b32 v19, v7, v8 offset0:8 offset1:12
	ds_store_2addr_stride64_b32 v19, v9, v10 offset0:16 offset1:20
	;; [unrolled: 1-line block ×5, first 2 shown]
	ds_store_b32 v19, v18 offset:12288
	s_wait_loadcnt_dscnt 0x0
	s_barrier_signal -1
	s_barrier_wait -1
.LBB248_6:
	s_and_not1_b32 vcc_lo, exec_lo, s3
	s_add_co_i32 s0, s0, s34
	s_cbranch_vccnz .LBB248_8
; %bb.7:
	v_lshlrev_b32_e32 v19, 2, v0
	ds_store_2addr_stride64_b32 v19, v1, v6 offset1:4
	ds_store_2addr_stride64_b32 v19, v7, v8 offset0:8 offset1:12
	ds_store_2addr_stride64_b32 v19, v9, v10 offset0:16 offset1:20
	;; [unrolled: 1-line block ×5, first 2 shown]
	ds_store_b32 v19, v18 offset:12288
	s_wait_loadcnt_dscnt 0x0
	s_barrier_signal -1
	s_barrier_wait -1
.LBB248_8:
	v_mul_u32_u24_e32 v15, 13, v0
	s_wait_loadcnt 0x0
	v_cndmask_b32_e64 v35, 0, 1, s1
	s_sub_co_i32 s33, s4, s0
	s_and_not1_b32 vcc_lo, exec_lo, s1
	v_lshlrev_b32_e32 v1, 2, v15
	ds_load_b32 v34, v1 offset:48
	ds_load_2addr_b32 v[16:17], v1 offset0:10 offset1:11
	ds_load_2addr_b32 v[18:19], v1 offset0:8 offset1:9
	;; [unrolled: 1-line block ×4, first 2 shown]
	ds_load_2addr_b32 v[26:27], v1 offset1:1
	ds_load_2addr_b32 v[24:25], v1 offset0:2 offset1:3
	s_wait_dscnt 0x0
	s_barrier_signal -1
	s_barrier_wait -1
	s_cbranch_vccnz .LBB248_36
; %bb.9:
	v_dual_add_nc_u32 v1, s17, v26 :: v_dual_add_nc_u32 v6, s19, v26
	s_mov_b32 s41, 0
	s_mov_b32 s40, 0
	s_mov_b32 s1, exec_lo
	s_delay_alu instid0(VALU_DEP_1) | instskip(SKIP_1) | instid1(VALU_DEP_1)
	v_mul_lo_u32 v1, v1, s16
	v_mul_lo_u32 v6, v6, s18
	v_sub_nc_u32_e32 v1, v1, v6
	s_delay_alu instid0(VALU_DEP_1)
	v_cmp_lt_u32_e32 vcc_lo, s20, v1
	v_cmpx_ge_u32_e64 s20, v1
	s_cbranch_execz .LBB248_11
; %bb.10:
	v_dual_add_nc_u32 v1, s22, v26 :: v_dual_add_nc_u32 v6, s38, v26
	s_delay_alu instid0(VALU_DEP_1) | instskip(NEXT) | instid1(VALU_DEP_2)
	v_mul_lo_u32 v1, v1, s21
	v_mul_lo_u32 v6, v6, s23
	s_delay_alu instid0(VALU_DEP_1) | instskip(NEXT) | instid1(VALU_DEP_1)
	v_sub_nc_u32_e32 v1, v1, v6
	v_cmp_lt_u32_e64 s0, s39, v1
	s_and_b32 s40, s0, exec_lo
.LBB248_11:
	s_or_b32 exec_lo, exec_lo, s1
	v_dual_add_nc_u32 v1, s17, v27 :: v_dual_add_nc_u32 v6, s19, v27
	s_mov_b32 s3, exec_lo
	s_delay_alu instid0(VALU_DEP_1) | instskip(NEXT) | instid1(VALU_DEP_2)
	v_mul_lo_u32 v1, v1, s16
	v_mul_lo_u32 v6, v6, s18
	s_delay_alu instid0(VALU_DEP_1) | instskip(NEXT) | instid1(VALU_DEP_1)
	v_sub_nc_u32_e32 v1, v1, v6
	v_cmp_lt_u32_e64 s0, s20, v1
	v_cmpx_ge_u32_e64 s20, v1
	s_cbranch_execz .LBB248_13
; %bb.12:
	v_dual_add_nc_u32 v1, s22, v27 :: v_dual_add_nc_u32 v6, s38, v27
	s_delay_alu instid0(VALU_DEP_1) | instskip(NEXT) | instid1(VALU_DEP_2)
	v_mul_lo_u32 v1, v1, s21
	v_mul_lo_u32 v6, v6, s23
	s_delay_alu instid0(VALU_DEP_1) | instskip(NEXT) | instid1(VALU_DEP_1)
	v_sub_nc_u32_e32 v1, v1, v6
	v_cmp_lt_u32_e64 s1, s39, v1
	s_and_b32 s41, s1, exec_lo
.LBB248_13:
	s_or_b32 exec_lo, exec_lo, s3
	v_dual_add_nc_u32 v1, s17, v24 :: v_dual_add_nc_u32 v6, s19, v24
	s_mov_b32 s43, 0
	s_mov_b32 s42, 0
	s_mov_b32 s4, exec_lo
	s_delay_alu instid0(VALU_DEP_1) | instskip(SKIP_1) | instid1(VALU_DEP_1)
	v_mul_lo_u32 v1, v1, s16
	v_mul_lo_u32 v6, v6, s18
	v_sub_nc_u32_e32 v1, v1, v6
	s_delay_alu instid0(VALU_DEP_1)
	v_cmp_lt_u32_e64 s1, s20, v1
	v_cmpx_ge_u32_e64 s20, v1
	s_cbranch_execz .LBB248_15
; %bb.14:
	v_dual_add_nc_u32 v1, s22, v24 :: v_dual_add_nc_u32 v6, s38, v24
	s_delay_alu instid0(VALU_DEP_1) | instskip(NEXT) | instid1(VALU_DEP_2)
	v_mul_lo_u32 v1, v1, s21
	v_mul_lo_u32 v6, v6, s23
	s_delay_alu instid0(VALU_DEP_1) | instskip(NEXT) | instid1(VALU_DEP_1)
	v_sub_nc_u32_e32 v1, v1, v6
	v_cmp_lt_u32_e64 s3, s39, v1
	s_and_b32 s42, s3, exec_lo
.LBB248_15:
	s_or_b32 exec_lo, exec_lo, s4
	v_dual_add_nc_u32 v1, s17, v25 :: v_dual_add_nc_u32 v6, s19, v25
	s_mov_b32 s5, exec_lo
	s_delay_alu instid0(VALU_DEP_1) | instskip(NEXT) | instid1(VALU_DEP_2)
	v_mul_lo_u32 v1, v1, s16
	v_mul_lo_u32 v6, v6, s18
	s_delay_alu instid0(VALU_DEP_1) | instskip(NEXT) | instid1(VALU_DEP_1)
	v_sub_nc_u32_e32 v1, v1, v6
	v_cmp_lt_u32_e64 s3, s20, v1
	v_cmpx_ge_u32_e64 s20, v1
	s_cbranch_execz .LBB248_17
; %bb.16:
	v_dual_add_nc_u32 v1, s22, v25 :: v_dual_add_nc_u32 v6, s38, v25
	s_delay_alu instid0(VALU_DEP_1) | instskip(NEXT) | instid1(VALU_DEP_2)
	v_mul_lo_u32 v1, v1, s21
	v_mul_lo_u32 v6, v6, s23
	s_delay_alu instid0(VALU_DEP_1) | instskip(NEXT) | instid1(VALU_DEP_1)
	v_sub_nc_u32_e32 v1, v1, v6
	v_cmp_lt_u32_e64 s4, s39, v1
	s_and_b32 s43, s4, exec_lo
.LBB248_17:
	s_or_b32 exec_lo, exec_lo, s5
	v_dual_add_nc_u32 v1, s17, v22 :: v_dual_add_nc_u32 v6, s19, v22
	s_mov_b32 s45, 0
	s_mov_b32 s44, 0
	s_mov_b32 s6, exec_lo
	s_delay_alu instid0(VALU_DEP_1) | instskip(SKIP_1) | instid1(VALU_DEP_1)
	v_mul_lo_u32 v1, v1, s16
	v_mul_lo_u32 v6, v6, s18
	v_sub_nc_u32_e32 v1, v1, v6
	s_delay_alu instid0(VALU_DEP_1)
	v_cmp_lt_u32_e64 s4, s20, v1
	;; [unrolled: 44-line block ×6, first 2 shown]
	v_cmpx_ge_u32_e64 s20, v1
	s_cbranch_execz .LBB248_35
; %bb.34:
	v_dual_add_nc_u32 v1, s22, v34 :: v_dual_add_nc_u32 v6, s38, v34
	s_delay_alu instid0(VALU_DEP_1) | instskip(NEXT) | instid1(VALU_DEP_2)
	v_mul_lo_u32 v1, v1, s21
	v_mul_lo_u32 v6, v6, s23
	s_delay_alu instid0(VALU_DEP_1) | instskip(NEXT) | instid1(VALU_DEP_1)
	v_sub_nc_u32_e32 v1, v1, v6
	v_cmp_lt_u32_e64 s13, s39, v1
	s_and_b32 s53, s13, exec_lo
.LBB248_35:
	s_or_b32 exec_lo, exec_lo, s54
	v_cndmask_b32_e64 v6, 0, 1, s0
	v_cndmask_b32_e64 v8, 0, 1, s3
	v_cndmask_b32_e64 v1, 0, 1, vcc_lo
	v_cndmask_b32_e64 v7, 0, 1, s1
	v_cndmask_b32_e64 v10, 0, 1, s5
	v_lshlrev_b16 v6, 8, v6
	v_lshlrev_b16 v8, 8, v8
	v_cndmask_b32_e64 v12, 0, 1, s7
	v_cndmask_b32_e64 v28, 0, 1, s9
	v_cndmask_b32_e64 v31, 0, 1, s12
	v_or_b32_e32 v1, v1, v6
	v_or_b32_e32 v6, v7, v8
	v_cndmask_b32_e64 v8, 0, 1, s42
	v_cndmask_b32_e64 v9, 0, 1, s4
	;; [unrolled: 1-line block ×4, first 2 shown]
	v_lshlrev_b32_e32 v6, 16, v6
	v_and_b32_e32 v1, 0xffff, v1
	v_cndmask_b32_e64 v38, 0, 1, s46
	v_cndmask_b32_e64 v41, 0, 1, s44
	;; [unrolled: 1-line block ×4, first 2 shown]
	v_or_b32_e32 v36, v1, v6
	v_lshlrev_b16 v1, 8, v10
	v_lshlrev_b16 v6, 8, v12
	;; [unrolled: 1-line block ×5, first 2 shown]
	v_cndmask_b32_e64 v11, 0, 1, s6
	v_cndmask_b32_e64 v30, 0, 1, s52
	;; [unrolled: 1-line block ×6, first 2 shown]
	v_lshlrev_b16 v28, 8, v44
	v_or_b32_e32 v8, v42, v8
	v_or_b32_e32 v1, v9, v1
	v_or_b32_e32 v9, v13, v10
	v_or_b32_e32 v10, v29, v12
	v_lshlrev_b16 v12, 8, v41
	v_lshlrev_b16 v13, 8, v38
	v_cndmask_b32_e64 v32, 0, 1, s50
	v_cndmask_b32_e64 v37, 0, 1, s47
	v_lshlrev_b16 v29, 8, v30
	v_or_b32_e32 v7, v7, v12
	v_or_b32_e32 v12, v40, v13
	;; [unrolled: 1-line block ×4, first 2 shown]
	v_lshlrev_b16 v28, 8, v33
	v_dual_lshlrev_b32 v10, 16, v10 :: v_dual_lshlrev_b32 v8, 16, v8
	v_and_b32_e32 v1, 0xffff, v1
	s_delay_alu instid0(VALU_DEP_4) | instskip(NEXT) | instid1(VALU_DEP_4)
	v_and_b32_e32 v11, 0xffff, v11
	v_or_b32_e32 v13, v37, v28
	v_or_b32_e32 v28, v32, v29
	v_and_b32_e32 v7, 0xffff, v7
	v_dual_lshlrev_b32 v12, 16, v12 :: v_dual_lshlrev_b32 v6, 16, v6
	s_delay_alu instid0(VALU_DEP_4) | instskip(NEXT) | instid1(VALU_DEP_4)
	v_and_b32_e32 v13, 0xffff, v13
	v_lshlrev_b32_e32 v28, 16, v28
	v_and_b32_e32 v9, 0xffff, v9
	v_cndmask_b32_e64 v39, 0, 1, s51
	v_cndmask_b32_e64 v43, 0, 1, s53
	v_or_b32_e32 v38, v1, v6
	v_or_b32_e32 v42, v11, v8
	;; [unrolled: 1-line block ×5, first 2 shown]
	s_and_b32 vcc_lo, exec_lo, s48
	s_add_co_i32 s5, s33, 0xd00
	s_cbranch_vccnz .LBB248_37
	s_branch .LBB248_114
.LBB248_36:
                                        ; implicit-def: $vgpr43
                                        ; implicit-def: $vgpr39
                                        ; implicit-def: $vgpr40
                                        ; implicit-def: $vgpr37
                                        ; implicit-def: $vgpr42
                                        ; implicit-def: $vgpr41
                                        ; implicit-def: $vgpr38
                                        ; implicit-def: $vgpr36
	s_add_co_i32 s5, s33, 0xd00
	s_cbranch_execz .LBB248_114
.LBB248_37:
	v_dual_mov_b32 v6, 0 :: v_dual_mov_b32 v1, 0
	s_mov_b32 s1, exec_lo
	v_cmpx_gt_u32_e64 s5, v15
	s_cbranch_execz .LBB248_41
; %bb.38:
	v_dual_add_nc_u32 v1, s17, v26 :: v_dual_add_nc_u32 v6, s19, v26
	s_mov_b32 s4, 0
	s_mov_b32 s3, exec_lo
	s_delay_alu instid0(VALU_DEP_1) | instskip(NEXT) | instid1(VALU_DEP_2)
	v_mul_lo_u32 v1, v1, s16
	v_mul_lo_u32 v6, v6, s18
	s_delay_alu instid0(VALU_DEP_1) | instskip(NEXT) | instid1(VALU_DEP_1)
	v_sub_nc_u32_e32 v1, v1, v6
	v_cmp_lt_u32_e32 vcc_lo, s20, v1
	v_cmpx_ge_u32_e64 s20, v1
	s_cbranch_execz .LBB248_40
; %bb.39:
	v_dual_add_nc_u32 v1, s22, v26 :: v_dual_add_nc_u32 v6, s38, v26
	s_delay_alu instid0(VALU_DEP_1) | instskip(NEXT) | instid1(VALU_DEP_2)
	v_mul_lo_u32 v1, v1, s21
	v_mul_lo_u32 v6, v6, s23
	s_delay_alu instid0(VALU_DEP_1) | instskip(NEXT) | instid1(VALU_DEP_1)
	v_sub_nc_u32_e32 v1, v1, v6
	v_cmp_lt_u32_e64 s0, s39, v1
	s_and_b32 s4, s0, exec_lo
.LBB248_40:
	s_or_b32 exec_lo, exec_lo, s3
	v_cndmask_b32_e64 v6, 0, 1, s4
	v_cndmask_b32_e64 v1, 0, 1, vcc_lo
.LBB248_41:
	s_or_b32 exec_lo, exec_lo, s1
	s_delay_alu instid0(VALU_DEP_2) | instskip(SKIP_1) | instid1(VALU_DEP_2)
	v_lshlrev_b16 v6, 8, v6
	v_lshlrev_b16 v13, 8, 0
                                        ; implicit-def: $vgpr9
                                        ; implicit-def: $vgpr11
                                        ; implicit-def: $vgpr8
                                        ; implicit-def: $vgpr12
	v_and_b32_e32 v10, 0xffff, v6
	v_add_nc_u32_e32 v7, 1, v15
                                        ; implicit-def: $vgpr6
	s_delay_alu instid0(VALU_DEP_2) | instskip(NEXT) | instid1(VALU_DEP_2)
	v_lshrrev_b32_e32 v28, 8, v10
	v_cmp_le_u32_e32 vcc_lo, s5, v7
                                        ; implicit-def: $vgpr7
	s_and_saveexec_b32 s0, vcc_lo
	s_delay_alu instid0(SALU_CYCLE_1)
	s_xor_b32 s0, exec_lo, s0
	s_cbranch_execz .LBB248_43
; %bb.42:
	v_lshlrev_b16 v6, 8, v28
	v_bitop3_b16 v7, 0, v13, 0xff bitop3:0xec
	v_and_b32_e32 v12, 0xff, v1
                                        ; implicit-def: $vgpr1
                                        ; implicit-def: $vgpr13
                                        ; implicit-def: $vgpr28
	v_mov_b32_e32 v9, 0
	s_delay_alu instid0(VALU_DEP_4) | instskip(SKIP_3) | instid1(VALU_DEP_4)
	v_bitop3_b16 v10, v10, v6, 0xff bitop3:0xec
	v_mov_b32_e32 v6, 0
	v_and_b32_e32 v8, 0xffff, v7
	v_and_b32_e32 v7, 0xffff, v7
	;; [unrolled: 1-line block ×3, first 2 shown]
                                        ; implicit-def: $vgpr10
.LBB248_43:
	s_and_not1_saveexec_b32 s1, s0
	s_cbranch_execz .LBB248_47
; %bb.44:
	v_dual_add_nc_u32 v6, s17, v27 :: v_dual_add_nc_u32 v7, s19, v27
	s_mov_b32 s3, 0
	s_mov_b32 s4, exec_lo
	s_delay_alu instid0(VALU_DEP_1) | instskip(NEXT) | instid1(VALU_DEP_2)
	v_mul_lo_u32 v6, v6, s16
	v_mul_lo_u32 v7, v7, s18
	s_delay_alu instid0(VALU_DEP_1) | instskip(NEXT) | instid1(VALU_DEP_1)
	v_sub_nc_u32_e32 v6, v6, v7
	v_cmp_lt_u32_e32 vcc_lo, s20, v6
	v_cmpx_ge_u32_e64 s20, v6
	s_cbranch_execz .LBB248_46
; %bb.45:
	v_dual_add_nc_u32 v6, s22, v27 :: v_dual_add_nc_u32 v7, s38, v27
	s_delay_alu instid0(VALU_DEP_1) | instskip(NEXT) | instid1(VALU_DEP_2)
	v_mul_lo_u32 v6, v6, s21
	v_mul_lo_u32 v7, v7, s23
	s_delay_alu instid0(VALU_DEP_1) | instskip(NEXT) | instid1(VALU_DEP_1)
	v_sub_nc_u32_e32 v6, v6, v7
	v_cmp_lt_u32_e64 s0, s39, v6
	s_and_b32 s3, s0, exec_lo
.LBB248_46:
	s_or_b32 exec_lo, exec_lo, s4
	v_cndmask_b32_e64 v6, 0, 1, vcc_lo
	v_lshlrev_b16 v7, 8, v28
	v_cndmask_b32_e64 v11, 0, 1, s3
	v_mov_b32_e32 v9, 0
	s_delay_alu instid0(VALU_DEP_4) | instskip(NEXT) | instid1(VALU_DEP_4)
	v_lshlrev_b16 v6, 8, v6
	v_bitop3_b16 v7, v10, v7, 0xff bitop3:0xec
	v_bitop3_b16 v10, 0, v13, 0xff bitop3:0xec
	s_delay_alu instid0(VALU_DEP_3) | instskip(NEXT) | instid1(VALU_DEP_3)
	v_bitop3_b16 v1, v1, v6, 0xff bitop3:0xec
	v_and_b32_e32 v7, 0xffff, v7
	v_mov_b32_e32 v6, 0
	s_delay_alu instid0(VALU_DEP_4) | instskip(NEXT) | instid1(VALU_DEP_4)
	v_and_b32_e32 v8, 0xffff, v10
	v_and_b32_e32 v12, 0xffff, v1
	s_delay_alu instid0(VALU_DEP_4)
	v_lshl_or_b32 v11, v11, 16, v7
	v_and_b32_e32 v7, 0xffff, v10
.LBB248_47:
	s_or_b32 exec_lo, exec_lo, s1
	s_delay_alu instid0(VALU_DEP_3) | instskip(NEXT) | instid1(VALU_DEP_1)
	v_dual_add_nc_u32 v1, 2, v15 :: v_dual_lshrrev_b32 v13, 8, v12
                                        ; implicit-def: $vgpr10
	v_cmp_le_u32_e32 vcc_lo, s5, v1
                                        ; implicit-def: $vgpr1
	s_and_saveexec_b32 s0, vcc_lo
	s_delay_alu instid0(SALU_CYCLE_1)
	s_xor_b32 s0, exec_lo, s0
	s_cbranch_execz .LBB248_49
; %bb.48:
	v_lshlrev_b16 v1, 8, v13
	v_and_b32_e32 v13, 0xff0000, v11
	v_perm_b32 v8, v8, v8, 0x3060504
	s_delay_alu instid0(VALU_DEP_3) | instskip(NEXT) | instid1(VALU_DEP_1)
	v_bitop3_b16 v1, v12, v1, 0xff bitop3:0xec
	v_and_b32_e32 v1, 0xffff, v1
	s_delay_alu instid0(VALU_DEP_1)
	v_and_or_b32 v10, 0xff000000, v12, v1
	v_perm_b32 v1, v11, v13, 0x3020504
                                        ; implicit-def: $vgpr13
                                        ; implicit-def: $vgpr12
                                        ; implicit-def: $vgpr11
.LBB248_49:
	s_and_not1_saveexec_b32 s1, s0
	s_cbranch_execz .LBB248_53
; %bb.50:
	v_dual_add_nc_u32 v1, s17, v24 :: v_dual_add_nc_u32 v10, s19, v24
	s_mov_b32 s3, 0
	s_mov_b32 s4, exec_lo
	s_delay_alu instid0(VALU_DEP_1) | instskip(NEXT) | instid1(VALU_DEP_2)
	v_mul_lo_u32 v1, v1, s16
	v_mul_lo_u32 v10, v10, s18
	s_delay_alu instid0(VALU_DEP_1) | instskip(NEXT) | instid1(VALU_DEP_1)
	v_sub_nc_u32_e32 v1, v1, v10
	v_cmp_lt_u32_e32 vcc_lo, s20, v1
	v_cmpx_ge_u32_e64 s20, v1
	s_cbranch_execz .LBB248_52
; %bb.51:
	v_dual_add_nc_u32 v1, s22, v24 :: v_dual_add_nc_u32 v10, s38, v24
	s_delay_alu instid0(VALU_DEP_1) | instskip(NEXT) | instid1(VALU_DEP_2)
	v_mul_lo_u32 v1, v1, s21
	v_mul_lo_u32 v10, v10, s23
	s_delay_alu instid0(VALU_DEP_1) | instskip(NEXT) | instid1(VALU_DEP_1)
	v_sub_nc_u32_e32 v1, v1, v10
	v_cmp_lt_u32_e64 s0, s39, v1
	s_and_b32 s3, s0, exec_lo
.LBB248_52:
	s_or_b32 exec_lo, exec_lo, s4
	v_dual_lshrrev_b32 v1, 24, v12 :: v_dual_lshrrev_b32 v29, 8, v11
	v_cndmask_b32_e64 v10, 0, 1, s3
	v_cndmask_b32_e64 v28, 0, 1, vcc_lo
	v_lshlrev_b16 v13, 8, v13
	s_delay_alu instid0(VALU_DEP_4)
	v_lshlrev_b16 v1, 8, v1
	v_lshrrev_b32_e32 v30, 16, v11
	v_lshlrev_b16 v10, 8, v10
	v_lshlrev_b16 v29, 8, v29
	v_bitop3_b16 v12, v12, v13, 0xff bitop3:0xec
	v_or_b32_e32 v1, v28, v1
	s_delay_alu instid0(VALU_DEP_4) | instskip(NEXT) | instid1(VALU_DEP_4)
	v_bitop3_b16 v10, v30, v10, 0xff bitop3:0xec
	v_bitop3_b16 v11, v11, v29, 0xff bitop3:0xec
	s_delay_alu instid0(VALU_DEP_4) | instskip(NEXT) | instid1(VALU_DEP_3)
	v_and_b32_e32 v12, 0xffff, v12
	v_dual_lshlrev_b32 v1, 16, v1 :: v_dual_lshlrev_b32 v13, 16, v10
	s_delay_alu instid0(VALU_DEP_3) | instskip(NEXT) | instid1(VALU_DEP_2)
	v_and_b32_e32 v11, 0xffff, v11
	v_or_b32_e32 v10, v12, v1
	s_delay_alu instid0(VALU_DEP_2)
	v_or_b32_e32 v1, v11, v13
.LBB248_53:
	s_or_b32 exec_lo, exec_lo, s1
	v_dual_add_nc_u32 v12, 3, v15 :: v_dual_lshrrev_b32 v13, 24, v9
	v_lshrrev_b32_e32 v11, 16, v9
                                        ; implicit-def: $vgpr36
	s_delay_alu instid0(VALU_DEP_2) | instskip(SKIP_2) | instid1(SALU_CYCLE_1)
	v_cmp_le_u32_e32 vcc_lo, s5, v12
	v_lshrrev_b32_e32 v12, 8, v9
                                        ; implicit-def: $vgpr9
	s_and_saveexec_b32 s0, vcc_lo
	s_xor_b32 s0, exec_lo, s0
	s_cbranch_execz .LBB248_55
; %bb.54:
	v_lshlrev_b16 v9, 8, v13
	v_lshlrev_b16 v12, 8, v12
	v_perm_b32 v8, v8, v8, 0x3060504
	v_perm_b32 v7, v7, v7, 0x3060504
                                        ; implicit-def: $vgpr13
	s_delay_alu instid0(VALU_DEP_4) | instskip(SKIP_2) | instid1(VALU_DEP_3)
	v_bitop3_b16 v9, v11, v9, 0xff bitop3:0xec
	v_and_b32_e32 v11, 0xff0000, v10
	v_and_b32_e32 v12, 0xffff, v12
	v_lshlrev_b32_e32 v9, 16, v9
	s_delay_alu instid0(VALU_DEP_3) | instskip(NEXT) | instid1(VALU_DEP_2)
	v_perm_b32 v36, v10, v11, 0x3020504
                                        ; implicit-def: $vgpr10
                                        ; implicit-def: $vgpr11
	v_or_b32_e32 v9, v12, v9
                                        ; implicit-def: $vgpr12
.LBB248_55:
	s_and_not1_saveexec_b32 s1, s0
	s_cbranch_execz .LBB248_59
; %bb.56:
	v_dual_add_nc_u32 v9, s17, v25 :: v_dual_add_nc_u32 v28, s19, v25
	s_mov_b32 s3, 0
	s_mov_b32 s4, exec_lo
	s_delay_alu instid0(VALU_DEP_1) | instskip(NEXT) | instid1(VALU_DEP_2)
	v_mul_lo_u32 v9, v9, s16
	v_mul_lo_u32 v28, v28, s18
	s_delay_alu instid0(VALU_DEP_1) | instskip(NEXT) | instid1(VALU_DEP_1)
	v_sub_nc_u32_e32 v9, v9, v28
	v_cmp_lt_u32_e32 vcc_lo, s20, v9
	v_cmpx_ge_u32_e64 s20, v9
	s_cbranch_execz .LBB248_58
; %bb.57:
	v_dual_add_nc_u32 v9, s22, v25 :: v_dual_add_nc_u32 v28, s38, v25
	s_delay_alu instid0(VALU_DEP_1) | instskip(NEXT) | instid1(VALU_DEP_2)
	v_mul_lo_u32 v9, v9, s21
	v_mul_lo_u32 v28, v28, s23
	s_delay_alu instid0(VALU_DEP_1) | instskip(NEXT) | instid1(VALU_DEP_1)
	v_sub_nc_u32_e32 v9, v9, v28
	v_cmp_lt_u32_e64 s0, s39, v9
	s_and_b32 s3, s0, exec_lo
.LBB248_58:
	s_or_b32 exec_lo, exec_lo, s4
	v_cndmask_b32_e64 v9, 0, 1, vcc_lo
	v_dual_lshrrev_b32 v28, 8, v10 :: v_dual_lshrrev_b32 v30, 16, v10
	v_cndmask_b32_e64 v29, 0, 1, s3
	v_lshlrev_b16 v13, 8, v13
	s_delay_alu instid0(VALU_DEP_4) | instskip(NEXT) | instid1(VALU_DEP_4)
	v_lshlrev_b16 v9, 8, v9
	v_lshlrev_b16 v28, 8, v28
	;; [unrolled: 1-line block ×3, first 2 shown]
	s_delay_alu instid0(VALU_DEP_4) | instskip(NEXT) | instid1(VALU_DEP_4)
	v_bitop3_b16 v11, v11, v13, 0xff bitop3:0xec
	v_bitop3_b16 v9, v30, v9, 0xff bitop3:0xec
	s_delay_alu instid0(VALU_DEP_4) | instskip(NEXT) | instid1(VALU_DEP_3)
	v_bitop3_b16 v10, v10, v28, 0xff bitop3:0xec
	v_dual_lshlrev_b32 v11, 16, v11 :: v_dual_bitop2_b32 v12, v29, v12 bitop3:0x54
	s_delay_alu instid0(VALU_DEP_3) | instskip(NEXT) | instid1(VALU_DEP_3)
	v_lshlrev_b32_e32 v9, 16, v9
	v_and_b32_e32 v10, 0xffff, v10
	s_delay_alu instid0(VALU_DEP_3) | instskip(NEXT) | instid1(VALU_DEP_2)
	v_and_b32_e32 v12, 0xffff, v12
	v_or_b32_e32 v36, v10, v9
	s_delay_alu instid0(VALU_DEP_2)
	v_or_b32_e32 v9, v12, v11
.LBB248_59:
	s_or_b32 exec_lo, exec_lo, s1
	v_dual_add_nc_u32 v10, 4, v15 :: v_dual_lshrrev_b32 v28, 8, v8
	v_dual_lshrrev_b32 v11, 16, v8 :: v_dual_lshrrev_b32 v29, 24, v8
	s_delay_alu instid0(VALU_DEP_3) | instskip(NEXT) | instid1(VALU_DEP_3)
	v_dual_lshrrev_b32 v13, 24, v9 :: v_dual_lshrrev_b32 v12, 16, v9
	v_cmp_le_u32_e32 vcc_lo, s5, v10
                                        ; implicit-def: $vgpr8
                                        ; implicit-def: $vgpr10
	s_and_saveexec_b32 s0, vcc_lo
	s_delay_alu instid0(SALU_CYCLE_1)
	s_xor_b32 s0, exec_lo, s0
	s_cbranch_execz .LBB248_61
; %bb.60:
	v_lshlrev_b16 v8, 8, v29
	v_lshlrev_b16 v10, 8, v28
	v_lshlrev_b16 v13, 8, v13
	v_perm_b32 v7, v7, v7, 0x3060504
                                        ; implicit-def: $vgpr28
                                        ; implicit-def: $vgpr29
	s_delay_alu instid0(VALU_DEP_4) | instskip(NEXT) | instid1(VALU_DEP_4)
	v_bitop3_b16 v8, v11, v8, 0xff bitop3:0xec
	v_and_b32_e32 v10, 0xffff, v10
	s_delay_alu instid0(VALU_DEP_4) | instskip(NEXT) | instid1(VALU_DEP_3)
	v_bitop3_b16 v11, v12, v13, 0xff bitop3:0xec
                                        ; implicit-def: $vgpr13
	v_lshlrev_b32_e32 v12, 16, v8
	s_delay_alu instid0(VALU_DEP_2) | instskip(NEXT) | instid1(VALU_DEP_2)
	v_perm_b32 v8, v11, v9, 0x5040c00
                                        ; implicit-def: $vgpr9
                                        ; implicit-def: $vgpr11
	v_or_b32_e32 v10, v10, v12
                                        ; implicit-def: $vgpr12
.LBB248_61:
	s_and_not1_saveexec_b32 s1, s0
	s_cbranch_execz .LBB248_65
; %bb.62:
	v_dual_add_nc_u32 v8, s17, v22 :: v_dual_add_nc_u32 v10, s19, v22
	s_mov_b32 s3, 0
	s_mov_b32 s4, exec_lo
	s_delay_alu instid0(VALU_DEP_1) | instskip(NEXT) | instid1(VALU_DEP_2)
	v_mul_lo_u32 v8, v8, s16
	v_mul_lo_u32 v10, v10, s18
	s_delay_alu instid0(VALU_DEP_1) | instskip(NEXT) | instid1(VALU_DEP_1)
	v_sub_nc_u32_e32 v8, v8, v10
	v_cmp_lt_u32_e32 vcc_lo, s20, v8
	v_cmpx_ge_u32_e64 s20, v8
	s_cbranch_execz .LBB248_64
; %bb.63:
	v_dual_add_nc_u32 v8, s22, v22 :: v_dual_add_nc_u32 v10, s38, v22
	s_delay_alu instid0(VALU_DEP_1) | instskip(NEXT) | instid1(VALU_DEP_2)
	v_mul_lo_u32 v8, v8, s21
	v_mul_lo_u32 v10, v10, s23
	s_delay_alu instid0(VALU_DEP_1) | instskip(NEXT) | instid1(VALU_DEP_1)
	v_sub_nc_u32_e32 v8, v8, v10
	v_cmp_lt_u32_e64 s0, s39, v8
	s_and_b32 s3, s0, exec_lo
.LBB248_64:
	s_or_b32 exec_lo, exec_lo, s4
	v_cndmask_b32_e64 v8, 0, 1, s3
	v_cndmask_b32_e64 v10, 0, 1, vcc_lo
	v_lshlrev_b16 v29, 8, v29
	v_lshlrev_b16 v28, 8, v28
	;; [unrolled: 1-line block ×4, first 2 shown]
	s_delay_alu instid0(VALU_DEP_4) | instskip(NEXT) | instid1(VALU_DEP_4)
	v_bitop3_b16 v11, v11, v29, 0xff bitop3:0xec
	v_or_b32_e32 v10, v10, v28
	s_delay_alu instid0(VALU_DEP_4) | instskip(NEXT) | instid1(VALU_DEP_4)
	v_bitop3_b16 v12, v12, v13, 0xff bitop3:0xec
	v_bitop3_b16 v8, v9, v8, 0xff bitop3:0xec
	s_delay_alu instid0(VALU_DEP_4) | instskip(NEXT) | instid1(VALU_DEP_4)
	v_lshlrev_b32_e32 v9, 16, v11
	v_and_b32_e32 v10, 0xffff, v10
	s_delay_alu instid0(VALU_DEP_4) | instskip(NEXT) | instid1(VALU_DEP_4)
	v_lshlrev_b32_e32 v11, 16, v12
	v_and_b32_e32 v8, 0xffff, v8
	s_delay_alu instid0(VALU_DEP_3) | instskip(NEXT) | instid1(VALU_DEP_2)
	v_or_b32_e32 v10, v10, v9
	v_or_b32_e32 v8, v8, v11
.LBB248_65:
	s_or_b32 exec_lo, exec_lo, s1
	s_delay_alu instid0(VALU_DEP_1) | instskip(NEXT) | instid1(VALU_DEP_2)
	v_dual_add_nc_u32 v9, 5, v15 :: v_dual_lshrrev_b32 v12, 16, v10
	v_dual_lshrrev_b32 v13, 24, v10 :: v_dual_lshrrev_b32 v28, 8, v8
                                        ; implicit-def: $vgpr11
	s_delay_alu instid0(VALU_DEP_2) | instskip(SKIP_1) | instid1(SALU_CYCLE_1)
	v_cmp_le_u32_e32 vcc_lo, s5, v9
                                        ; implicit-def: $vgpr9
	s_and_saveexec_b32 s0, vcc_lo
	s_xor_b32 s0, exec_lo, s0
	s_cbranch_execz .LBB248_67
; %bb.66:
	v_lshlrev_b16 v9, 8, v28
	v_lshlrev_b16 v11, 8, v13
	v_perm_b32 v7, v7, v7, 0x3060504
                                        ; implicit-def: $vgpr13
                                        ; implicit-def: $vgpr28
	s_delay_alu instid0(VALU_DEP_3) | instskip(NEXT) | instid1(VALU_DEP_3)
	v_bitop3_b16 v9, v8, v9, 0xff bitop3:0xec
	v_bitop3_b16 v11, v12, v11, 0xff bitop3:0xec
                                        ; implicit-def: $vgpr12
	s_delay_alu instid0(VALU_DEP_2) | instskip(NEXT) | instid1(VALU_DEP_2)
	v_and_b32_e32 v9, 0xffff, v9
	v_perm_b32 v11, v11, v10, 0x5040c00
                                        ; implicit-def: $vgpr10
	s_delay_alu instid0(VALU_DEP_2)
	v_and_or_b32 v9, 0xff000000, v8, v9
                                        ; implicit-def: $vgpr8
.LBB248_67:
	s_and_not1_saveexec_b32 s1, s0
	s_cbranch_execz .LBB248_71
; %bb.68:
	v_dual_add_nc_u32 v9, s17, v23 :: v_dual_add_nc_u32 v11, s19, v23
	s_mov_b32 s3, 0
	s_mov_b32 s4, exec_lo
	s_delay_alu instid0(VALU_DEP_1) | instskip(NEXT) | instid1(VALU_DEP_2)
	v_mul_lo_u32 v9, v9, s16
	v_mul_lo_u32 v11, v11, s18
	s_delay_alu instid0(VALU_DEP_1) | instskip(NEXT) | instid1(VALU_DEP_1)
	v_sub_nc_u32_e32 v9, v9, v11
	v_cmp_lt_u32_e32 vcc_lo, s20, v9
	v_cmpx_ge_u32_e64 s20, v9
	s_cbranch_execz .LBB248_70
; %bb.69:
	v_dual_add_nc_u32 v9, s22, v23 :: v_dual_add_nc_u32 v11, s38, v23
	s_delay_alu instid0(VALU_DEP_1) | instskip(NEXT) | instid1(VALU_DEP_2)
	v_mul_lo_u32 v9, v9, s21
	v_mul_lo_u32 v11, v11, s23
	s_delay_alu instid0(VALU_DEP_1) | instskip(NEXT) | instid1(VALU_DEP_1)
	v_sub_nc_u32_e32 v9, v9, v11
	v_cmp_lt_u32_e64 s0, s39, v9
	s_and_b32 s3, s0, exec_lo
.LBB248_70:
	s_or_b32 exec_lo, exec_lo, s4
	v_cndmask_b32_e64 v9, 0, 1, vcc_lo
	v_lshrrev_b32_e32 v11, 24, v8
	v_cndmask_b32_e64 v29, 0, 1, s3
	v_lshlrev_b16 v13, 8, v13
	v_lshlrev_b16 v28, 8, v28
	;; [unrolled: 1-line block ×4, first 2 shown]
	s_delay_alu instid0(VALU_DEP_4) | instskip(NEXT) | instid1(VALU_DEP_4)
	v_bitop3_b16 v12, v12, v13, 0xff bitop3:0xec
	v_bitop3_b16 v8, v8, v28, 0xff bitop3:0xec
	s_delay_alu instid0(VALU_DEP_4) | instskip(NEXT) | instid1(VALU_DEP_3)
	v_bitop3_b16 v9, v10, v9, 0xff bitop3:0xec
	v_dual_lshlrev_b32 v11, 16, v12 :: v_dual_bitop2_b32 v10, v29, v11 bitop3:0x54
	s_delay_alu instid0(VALU_DEP_3) | instskip(NEXT) | instid1(VALU_DEP_3)
	v_and_b32_e32 v8, 0xffff, v8
	v_and_b32_e32 v9, 0xffff, v9
	s_delay_alu instid0(VALU_DEP_1) | instskip(NEXT) | instid1(VALU_DEP_1)
	v_dual_lshlrev_b32 v10, 16, v10 :: v_dual_bitop2_b32 v11, v9, v11 bitop3:0x54
	v_or_b32_e32 v9, v8, v10
.LBB248_71:
	s_or_b32 exec_lo, exec_lo, s1
	v_add_nc_u32_e32 v8, 6, v15
	s_delay_alu instid0(VALU_DEP_3) | instskip(NEXT) | instid1(VALU_DEP_2)
	v_lshrrev_b32_e32 v10, 8, v11
                                        ; implicit-def: $vgpr37
	v_cmp_le_u32_e32 vcc_lo, s5, v8
                                        ; implicit-def: $vgpr8
	s_and_saveexec_b32 s0, vcc_lo
	s_delay_alu instid0(SALU_CYCLE_1)
	s_xor_b32 s0, exec_lo, s0
	s_cbranch_execz .LBB248_73
; %bb.72:
	v_lshlrev_b16 v8, 8, v10
	v_and_b32_e32 v10, 0xff0000, v9
	v_perm_b32 v7, v7, v7, 0x3060504
	s_delay_alu instid0(VALU_DEP_3) | instskip(NEXT) | instid1(VALU_DEP_3)
	v_bitop3_b16 v8, v11, v8, 0xff bitop3:0xec
	v_perm_b32 v37, v9, v10, 0x3020504
                                        ; implicit-def: $vgpr10
                                        ; implicit-def: $vgpr9
	s_delay_alu instid0(VALU_DEP_2) | instskip(NEXT) | instid1(VALU_DEP_1)
	v_and_b32_e32 v8, 0xffff, v8
	v_and_or_b32 v8, 0xff000000, v11, v8
                                        ; implicit-def: $vgpr11
.LBB248_73:
	s_and_not1_saveexec_b32 s1, s0
	s_cbranch_execz .LBB248_77
; %bb.74:
	v_dual_add_nc_u32 v8, s17, v20 :: v_dual_add_nc_u32 v12, s19, v20
	s_mov_b32 s3, 0
	s_mov_b32 s4, exec_lo
	s_delay_alu instid0(VALU_DEP_1) | instskip(NEXT) | instid1(VALU_DEP_2)
	v_mul_lo_u32 v8, v8, s16
	v_mul_lo_u32 v12, v12, s18
	s_delay_alu instid0(VALU_DEP_1) | instskip(NEXT) | instid1(VALU_DEP_1)
	v_sub_nc_u32_e32 v8, v8, v12
	v_cmp_lt_u32_e32 vcc_lo, s20, v8
	v_cmpx_ge_u32_e64 s20, v8
	s_cbranch_execz .LBB248_76
; %bb.75:
	v_dual_add_nc_u32 v8, s22, v20 :: v_dual_add_nc_u32 v12, s38, v20
	s_delay_alu instid0(VALU_DEP_1) | instskip(NEXT) | instid1(VALU_DEP_2)
	v_mul_lo_u32 v8, v8, s21
	v_mul_lo_u32 v12, v12, s23
	s_delay_alu instid0(VALU_DEP_1) | instskip(NEXT) | instid1(VALU_DEP_1)
	v_sub_nc_u32_e32 v8, v8, v12
	v_cmp_lt_u32_e64 s0, s39, v8
	s_and_b32 s3, s0, exec_lo
.LBB248_76:
	s_or_b32 exec_lo, exec_lo, s4
	v_dual_lshrrev_b32 v8, 24, v11 :: v_dual_lshrrev_b32 v28, 8, v9
	v_cndmask_b32_e64 v12, 0, 1, s3
	v_cndmask_b32_e64 v13, 0, 1, vcc_lo
	v_lshlrev_b16 v10, 8, v10
	s_delay_alu instid0(VALU_DEP_4)
	v_lshlrev_b16 v8, 8, v8
	v_lshrrev_b32_e32 v29, 16, v9
	v_lshlrev_b16 v12, 8, v12
	v_lshlrev_b16 v28, 8, v28
	v_bitop3_b16 v10, v11, v10, 0xff bitop3:0xec
	v_or_b32_e32 v8, v13, v8
	s_delay_alu instid0(VALU_DEP_4) | instskip(NEXT) | instid1(VALU_DEP_4)
	v_bitop3_b16 v11, v29, v12, 0xff bitop3:0xec
	v_bitop3_b16 v9, v9, v28, 0xff bitop3:0xec
	s_delay_alu instid0(VALU_DEP_4) | instskip(NEXT) | instid1(VALU_DEP_3)
	v_and_b32_e32 v10, 0xffff, v10
	v_dual_lshlrev_b32 v8, 16, v8 :: v_dual_lshlrev_b32 v11, 16, v11
	s_delay_alu instid0(VALU_DEP_3) | instskip(NEXT) | instid1(VALU_DEP_2)
	v_and_b32_e32 v9, 0xffff, v9
	v_or_b32_e32 v8, v10, v8
	s_delay_alu instid0(VALU_DEP_2)
	v_or_b32_e32 v37, v9, v11
.LBB248_77:
	s_or_b32 exec_lo, exec_lo, s1
	v_add_nc_u32_e32 v11, 7, v15
	v_dual_lshrrev_b32 v9, 8, v7 :: v_dual_lshrrev_b32 v10, 16, v7
                                        ; implicit-def: $vgpr38
	s_delay_alu instid0(VALU_DEP_2) | instskip(SKIP_2) | instid1(SALU_CYCLE_1)
	v_cmp_le_u32_e32 vcc_lo, s5, v11
	v_lshrrev_b32_e32 v11, 24, v7
                                        ; implicit-def: $vgpr7
	s_and_saveexec_b32 s0, vcc_lo
	s_xor_b32 s0, exec_lo, s0
	s_cbranch_execz .LBB248_79
; %bb.78:
	s_delay_alu instid0(VALU_DEP_1) | instskip(SKIP_1) | instid1(VALU_DEP_2)
	v_lshlrev_b16 v7, 8, v11
	v_lshlrev_b16 v9, 8, v9
                                        ; implicit-def: $vgpr11
	v_bitop3_b16 v7, v10, v7, 0xff bitop3:0xec
	v_and_b32_e32 v10, 0xff0000, v8
	s_delay_alu instid0(VALU_DEP_3) | instskip(NEXT) | instid1(VALU_DEP_3)
	v_and_b32_e32 v9, 0xffff, v9
	v_lshlrev_b32_e32 v7, 16, v7
	s_delay_alu instid0(VALU_DEP_3) | instskip(NEXT) | instid1(VALU_DEP_2)
	v_perm_b32 v38, v8, v10, 0x3020504
                                        ; implicit-def: $vgpr8
                                        ; implicit-def: $vgpr10
	v_or_b32_e32 v7, v9, v7
                                        ; implicit-def: $vgpr9
.LBB248_79:
	s_and_not1_saveexec_b32 s1, s0
	s_cbranch_execz .LBB248_83
; %bb.80:
	v_dual_add_nc_u32 v7, s17, v21 :: v_dual_add_nc_u32 v12, s19, v21
	s_mov_b32 s3, 0
	s_mov_b32 s4, exec_lo
	s_delay_alu instid0(VALU_DEP_1) | instskip(NEXT) | instid1(VALU_DEP_2)
	v_mul_lo_u32 v7, v7, s16
	v_mul_lo_u32 v12, v12, s18
	s_delay_alu instid0(VALU_DEP_1) | instskip(NEXT) | instid1(VALU_DEP_1)
	v_sub_nc_u32_e32 v7, v7, v12
	v_cmp_lt_u32_e32 vcc_lo, s20, v7
	v_cmpx_ge_u32_e64 s20, v7
	s_cbranch_execz .LBB248_82
; %bb.81:
	v_dual_add_nc_u32 v7, s22, v21 :: v_dual_add_nc_u32 v12, s38, v21
	s_delay_alu instid0(VALU_DEP_1) | instskip(NEXT) | instid1(VALU_DEP_2)
	v_mul_lo_u32 v7, v7, s21
	v_mul_lo_u32 v12, v12, s23
	s_delay_alu instid0(VALU_DEP_1) | instskip(NEXT) | instid1(VALU_DEP_1)
	v_sub_nc_u32_e32 v7, v7, v12
	v_cmp_lt_u32_e64 s0, s39, v7
	s_and_b32 s3, s0, exec_lo
.LBB248_82:
	s_or_b32 exec_lo, exec_lo, s4
	v_cndmask_b32_e64 v7, 0, 1, vcc_lo
	v_dual_lshrrev_b32 v12, 8, v8 :: v_dual_lshrrev_b32 v28, 16, v8
	v_cndmask_b32_e64 v13, 0, 1, s3
	v_lshlrev_b16 v11, 8, v11
	s_delay_alu instid0(VALU_DEP_4) | instskip(NEXT) | instid1(VALU_DEP_4)
	v_lshlrev_b16 v7, 8, v7
	v_lshlrev_b16 v12, 8, v12
	;; [unrolled: 1-line block ×3, first 2 shown]
	s_delay_alu instid0(VALU_DEP_4) | instskip(NEXT) | instid1(VALU_DEP_4)
	v_bitop3_b16 v10, v10, v11, 0xff bitop3:0xec
	v_bitop3_b16 v7, v28, v7, 0xff bitop3:0xec
	s_delay_alu instid0(VALU_DEP_4) | instskip(NEXT) | instid1(VALU_DEP_3)
	v_bitop3_b16 v8, v8, v12, 0xff bitop3:0xec
	v_dual_lshlrev_b32 v10, 16, v10 :: v_dual_bitop2_b32 v9, v13, v9 bitop3:0x54
	s_delay_alu instid0(VALU_DEP_3) | instskip(NEXT) | instid1(VALU_DEP_3)
	v_lshlrev_b32_e32 v7, 16, v7
	v_and_b32_e32 v8, 0xffff, v8
	s_delay_alu instid0(VALU_DEP_3) | instskip(NEXT) | instid1(VALU_DEP_2)
	v_and_b32_e32 v9, 0xffff, v9
	v_or_b32_e32 v38, v8, v7
	s_delay_alu instid0(VALU_DEP_2)
	v_or_b32_e32 v7, v9, v10
.LBB248_83:
	s_or_b32 exec_lo, exec_lo, s1
	v_dual_add_nc_u32 v8, 8, v15 :: v_dual_lshrrev_b32 v13, 24, v6
	s_delay_alu instid0(VALU_DEP_2) | instskip(SKIP_1) | instid1(VALU_DEP_3)
	v_dual_lshrrev_b32 v9, 16, v7 :: v_dual_lshrrev_b32 v10, 24, v7
	v_dual_lshrrev_b32 v11, 16, v6 :: v_dual_lshrrev_b32 v12, 8, v6
	v_cmp_le_u32_e32 vcc_lo, s5, v8
                                        ; implicit-def: $vgpr6
                                        ; implicit-def: $vgpr8
	s_and_saveexec_b32 s0, vcc_lo
	s_delay_alu instid0(SALU_CYCLE_1)
	s_xor_b32 s0, exec_lo, s0
	s_cbranch_execz .LBB248_85
; %bb.84:
	v_lshlrev_b16 v6, 8, v13
	v_lshlrev_b16 v8, 8, v12
	;; [unrolled: 1-line block ×3, first 2 shown]
	v_perm_b32 v1, v1, v1, 0x3060504
                                        ; implicit-def: $vgpr13
                                        ; implicit-def: $vgpr12
	s_delay_alu instid0(VALU_DEP_4) | instskip(NEXT) | instid1(VALU_DEP_4)
	v_bitop3_b16 v6, v11, v6, 0xff bitop3:0xec
	v_and_b32_e32 v8, 0xffff, v8
	s_delay_alu instid0(VALU_DEP_4) | instskip(NEXT) | instid1(VALU_DEP_3)
	v_bitop3_b16 v9, v9, v10, 0xff bitop3:0xec
                                        ; implicit-def: $vgpr10
                                        ; implicit-def: $vgpr11
	v_lshlrev_b32_e32 v6, 16, v6
	s_delay_alu instid0(VALU_DEP_1) | instskip(NEXT) | instid1(VALU_DEP_3)
	v_or_b32_e32 v8, v8, v6
	v_perm_b32 v6, v9, v7, 0x5040c00
                                        ; implicit-def: $vgpr7
                                        ; implicit-def: $vgpr9
.LBB248_85:
	s_and_not1_saveexec_b32 s1, s0
	s_cbranch_execz .LBB248_89
; %bb.86:
	v_dual_add_nc_u32 v6, s17, v18 :: v_dual_add_nc_u32 v8, s19, v18
	s_mov_b32 s3, 0
	s_mov_b32 s4, exec_lo
	s_delay_alu instid0(VALU_DEP_1) | instskip(NEXT) | instid1(VALU_DEP_2)
	v_mul_lo_u32 v6, v6, s16
	v_mul_lo_u32 v8, v8, s18
	s_delay_alu instid0(VALU_DEP_1) | instskip(NEXT) | instid1(VALU_DEP_1)
	v_sub_nc_u32_e32 v6, v6, v8
	v_cmp_lt_u32_e32 vcc_lo, s20, v6
	v_cmpx_ge_u32_e64 s20, v6
	s_cbranch_execz .LBB248_88
; %bb.87:
	v_dual_add_nc_u32 v6, s22, v18 :: v_dual_add_nc_u32 v8, s38, v18
	s_delay_alu instid0(VALU_DEP_1) | instskip(NEXT) | instid1(VALU_DEP_2)
	v_mul_lo_u32 v6, v6, s21
	v_mul_lo_u32 v8, v8, s23
	s_delay_alu instid0(VALU_DEP_1) | instskip(NEXT) | instid1(VALU_DEP_1)
	v_sub_nc_u32_e32 v6, v6, v8
	v_cmp_lt_u32_e64 s0, s39, v6
	s_and_b32 s3, s0, exec_lo
.LBB248_88:
	s_or_b32 exec_lo, exec_lo, s4
	v_cndmask_b32_e64 v6, 0, 1, s3
	v_cndmask_b32_e64 v8, 0, 1, vcc_lo
	v_lshlrev_b16 v13, 8, v13
	v_lshlrev_b16 v12, 8, v12
	;; [unrolled: 1-line block ×4, first 2 shown]
	s_delay_alu instid0(VALU_DEP_4) | instskip(NEXT) | instid1(VALU_DEP_4)
	v_bitop3_b16 v11, v11, v13, 0xff bitop3:0xec
	v_or_b32_e32 v8, v8, v12
	s_delay_alu instid0(VALU_DEP_4) | instskip(NEXT) | instid1(VALU_DEP_4)
	v_bitop3_b16 v9, v9, v10, 0xff bitop3:0xec
	v_bitop3_b16 v6, v7, v6, 0xff bitop3:0xec
	s_delay_alu instid0(VALU_DEP_4) | instskip(NEXT) | instid1(VALU_DEP_4)
	v_lshlrev_b32_e32 v7, 16, v11
	v_and_b32_e32 v8, 0xffff, v8
	s_delay_alu instid0(VALU_DEP_4) | instskip(NEXT) | instid1(VALU_DEP_4)
	v_lshlrev_b32_e32 v9, 16, v9
	v_and_b32_e32 v6, 0xffff, v6
	s_delay_alu instid0(VALU_DEP_3) | instskip(NEXT) | instid1(VALU_DEP_2)
	v_or_b32_e32 v8, v8, v7
	v_or_b32_e32 v6, v6, v9
.LBB248_89:
	s_or_b32 exec_lo, exec_lo, s1
	s_delay_alu instid0(VALU_DEP_1) | instskip(NEXT) | instid1(VALU_DEP_3)
	v_dual_add_nc_u32 v7, 9, v15 :: v_dual_lshrrev_b32 v11, 8, v6
	v_dual_lshrrev_b32 v12, 24, v8 :: v_dual_lshrrev_b32 v10, 16, v8
                                        ; implicit-def: $vgpr9
	s_delay_alu instid0(VALU_DEP_2) | instskip(SKIP_1) | instid1(SALU_CYCLE_1)
	v_cmp_le_u32_e32 vcc_lo, s5, v7
                                        ; implicit-def: $vgpr7
	s_and_saveexec_b32 s0, vcc_lo
	s_xor_b32 s0, exec_lo, s0
	s_cbranch_execz .LBB248_91
; %bb.90:
	v_lshlrev_b16 v7, 8, v11
	v_lshlrev_b16 v9, 8, v12
	v_perm_b32 v1, v1, v1, 0x3060504
                                        ; implicit-def: $vgpr11
                                        ; implicit-def: $vgpr12
	s_delay_alu instid0(VALU_DEP_3) | instskip(NEXT) | instid1(VALU_DEP_3)
	v_bitop3_b16 v7, v6, v7, 0xff bitop3:0xec
	v_bitop3_b16 v9, v10, v9, 0xff bitop3:0xec
                                        ; implicit-def: $vgpr10
	s_delay_alu instid0(VALU_DEP_2) | instskip(NEXT) | instid1(VALU_DEP_2)
	v_and_b32_e32 v7, 0xffff, v7
	v_perm_b32 v9, v9, v8, 0x5040c00
                                        ; implicit-def: $vgpr8
	s_delay_alu instid0(VALU_DEP_2)
	v_and_or_b32 v7, 0xff000000, v6, v7
                                        ; implicit-def: $vgpr6
.LBB248_91:
	s_and_not1_saveexec_b32 s1, s0
	s_cbranch_execz .LBB248_95
; %bb.92:
	v_dual_add_nc_u32 v7, s17, v19 :: v_dual_add_nc_u32 v9, s19, v19
	s_mov_b32 s3, 0
	s_mov_b32 s4, exec_lo
	s_delay_alu instid0(VALU_DEP_1) | instskip(NEXT) | instid1(VALU_DEP_2)
	v_mul_lo_u32 v7, v7, s16
	v_mul_lo_u32 v9, v9, s18
	s_delay_alu instid0(VALU_DEP_1) | instskip(NEXT) | instid1(VALU_DEP_1)
	v_sub_nc_u32_e32 v7, v7, v9
	v_cmp_lt_u32_e32 vcc_lo, s20, v7
	v_cmpx_ge_u32_e64 s20, v7
	s_cbranch_execz .LBB248_94
; %bb.93:
	v_dual_add_nc_u32 v7, s22, v19 :: v_dual_add_nc_u32 v9, s38, v19
	s_delay_alu instid0(VALU_DEP_1) | instskip(NEXT) | instid1(VALU_DEP_2)
	v_mul_lo_u32 v7, v7, s21
	v_mul_lo_u32 v9, v9, s23
	s_delay_alu instid0(VALU_DEP_1) | instskip(NEXT) | instid1(VALU_DEP_1)
	v_sub_nc_u32_e32 v7, v7, v9
	v_cmp_lt_u32_e64 s0, s39, v7
	s_and_b32 s3, s0, exec_lo
.LBB248_94:
	s_or_b32 exec_lo, exec_lo, s4
	v_cndmask_b32_e64 v7, 0, 1, vcc_lo
	v_lshrrev_b32_e32 v9, 24, v6
	v_cndmask_b32_e64 v13, 0, 1, s3
	v_lshlrev_b16 v12, 8, v12
	v_lshlrev_b16 v11, 8, v11
	;; [unrolled: 1-line block ×4, first 2 shown]
	s_delay_alu instid0(VALU_DEP_4) | instskip(NEXT) | instid1(VALU_DEP_4)
	v_bitop3_b16 v10, v10, v12, 0xff bitop3:0xec
	v_bitop3_b16 v6, v6, v11, 0xff bitop3:0xec
	s_delay_alu instid0(VALU_DEP_4) | instskip(NEXT) | instid1(VALU_DEP_3)
	v_bitop3_b16 v7, v8, v7, 0xff bitop3:0xec
	v_dual_lshlrev_b32 v9, 16, v10 :: v_dual_bitop2_b32 v8, v13, v9 bitop3:0x54
	s_delay_alu instid0(VALU_DEP_3) | instskip(NEXT) | instid1(VALU_DEP_3)
	v_and_b32_e32 v6, 0xffff, v6
	v_and_b32_e32 v7, 0xffff, v7
	s_delay_alu instid0(VALU_DEP_1) | instskip(NEXT) | instid1(VALU_DEP_1)
	v_dual_lshlrev_b32 v8, 16, v8 :: v_dual_bitop2_b32 v9, v7, v9 bitop3:0x54
	v_or_b32_e32 v7, v6, v8
.LBB248_95:
	s_or_b32 exec_lo, exec_lo, s1
	s_delay_alu instid0(VALU_DEP_2) | instskip(NEXT) | instid1(VALU_DEP_1)
	v_dual_add_nc_u32 v6, 10, v15 :: v_dual_lshrrev_b32 v8, 8, v9
                                        ; implicit-def: $vgpr40
	v_cmp_le_u32_e32 vcc_lo, s5, v6
                                        ; implicit-def: $vgpr6
	s_and_saveexec_b32 s0, vcc_lo
	s_delay_alu instid0(SALU_CYCLE_1)
	s_xor_b32 s0, exec_lo, s0
	s_cbranch_execz .LBB248_97
; %bb.96:
	v_lshlrev_b16 v6, 8, v8
	v_and_b32_e32 v8, 0xff0000, v7
	v_perm_b32 v1, v1, v1, 0x3060504
	s_delay_alu instid0(VALU_DEP_3) | instskip(NEXT) | instid1(VALU_DEP_3)
	v_bitop3_b16 v6, v9, v6, 0xff bitop3:0xec
	v_perm_b32 v40, v7, v8, 0x3020504
                                        ; implicit-def: $vgpr8
                                        ; implicit-def: $vgpr7
	s_delay_alu instid0(VALU_DEP_2) | instskip(NEXT) | instid1(VALU_DEP_1)
	v_and_b32_e32 v6, 0xffff, v6
	v_and_or_b32 v6, 0xff000000, v9, v6
                                        ; implicit-def: $vgpr9
.LBB248_97:
	s_and_not1_saveexec_b32 s1, s0
	s_cbranch_execz .LBB248_101
; %bb.98:
	v_dual_add_nc_u32 v6, s17, v16 :: v_dual_add_nc_u32 v10, s19, v16
	s_mov_b32 s3, 0
	s_mov_b32 s4, exec_lo
	s_delay_alu instid0(VALU_DEP_1) | instskip(NEXT) | instid1(VALU_DEP_2)
	v_mul_lo_u32 v6, v6, s16
	v_mul_lo_u32 v10, v10, s18
	s_delay_alu instid0(VALU_DEP_1) | instskip(NEXT) | instid1(VALU_DEP_1)
	v_sub_nc_u32_e32 v6, v6, v10
	v_cmp_lt_u32_e32 vcc_lo, s20, v6
	v_cmpx_ge_u32_e64 s20, v6
	s_cbranch_execz .LBB248_100
; %bb.99:
	v_dual_add_nc_u32 v6, s22, v16 :: v_dual_add_nc_u32 v10, s38, v16
	s_delay_alu instid0(VALU_DEP_1) | instskip(NEXT) | instid1(VALU_DEP_2)
	v_mul_lo_u32 v6, v6, s21
	v_mul_lo_u32 v10, v10, s23
	s_delay_alu instid0(VALU_DEP_1) | instskip(NEXT) | instid1(VALU_DEP_1)
	v_sub_nc_u32_e32 v6, v6, v10
	v_cmp_lt_u32_e64 s0, s39, v6
	s_and_b32 s3, s0, exec_lo
.LBB248_100:
	s_or_b32 exec_lo, exec_lo, s4
	v_dual_lshrrev_b32 v6, 24, v9 :: v_dual_lshrrev_b32 v12, 8, v7
	v_cndmask_b32_e64 v10, 0, 1, s3
	v_cndmask_b32_e64 v11, 0, 1, vcc_lo
	v_lshlrev_b16 v8, 8, v8
	s_delay_alu instid0(VALU_DEP_4)
	v_lshlrev_b16 v6, 8, v6
	v_lshrrev_b32_e32 v13, 16, v7
	v_lshlrev_b16 v10, 8, v10
	v_lshlrev_b16 v12, 8, v12
	v_bitop3_b16 v8, v9, v8, 0xff bitop3:0xec
	v_or_b32_e32 v6, v11, v6
	s_delay_alu instid0(VALU_DEP_4) | instskip(NEXT) | instid1(VALU_DEP_4)
	v_bitop3_b16 v9, v13, v10, 0xff bitop3:0xec
	v_bitop3_b16 v7, v7, v12, 0xff bitop3:0xec
	s_delay_alu instid0(VALU_DEP_4) | instskip(NEXT) | instid1(VALU_DEP_3)
	v_and_b32_e32 v8, 0xffff, v8
	v_dual_lshlrev_b32 v6, 16, v6 :: v_dual_lshlrev_b32 v9, 16, v9
	s_delay_alu instid0(VALU_DEP_3) | instskip(NEXT) | instid1(VALU_DEP_2)
	v_and_b32_e32 v7, 0xffff, v7
	v_or_b32_e32 v6, v8, v6
	s_delay_alu instid0(VALU_DEP_2)
	v_or_b32_e32 v40, v7, v9
.LBB248_101:
	s_or_b32 exec_lo, exec_lo, s1
	v_dual_add_nc_u32 v7, 11, v15 :: v_dual_mov_b32 v39, 0
	s_mov_b32 s0, exec_lo
                                        ; implicit-def: $vgpr41
	s_delay_alu instid0(VALU_DEP_1)
	v_cmpx_le_u32_e64 s5, v7
	s_xor_b32 s0, exec_lo, s0
; %bb.102:
	v_and_b32_e32 v7, 0xff0000, v6
	v_perm_b32 v1, v1, v1, 0x3060504
	s_delay_alu instid0(VALU_DEP_2)
	v_perm_b32 v41, v6, v7, 0x3020504
                                        ; implicit-def: $vgpr6
; %bb.103:
	s_and_not1_saveexec_b32 s1, s0
	s_cbranch_execz .LBB248_107
; %bb.104:
	v_dual_add_nc_u32 v7, s17, v17 :: v_dual_add_nc_u32 v8, s19, v17
	s_mov_b32 s3, 0
	s_mov_b32 s4, exec_lo
	s_delay_alu instid0(VALU_DEP_1) | instskip(NEXT) | instid1(VALU_DEP_2)
	v_mul_lo_u32 v7, v7, s16
	v_mul_lo_u32 v8, v8, s18
	s_delay_alu instid0(VALU_DEP_1) | instskip(NEXT) | instid1(VALU_DEP_1)
	v_sub_nc_u32_e32 v7, v7, v8
	v_cmp_lt_u32_e32 vcc_lo, s20, v7
	v_cmpx_ge_u32_e64 s20, v7
	s_cbranch_execz .LBB248_106
; %bb.105:
	v_dual_add_nc_u32 v7, s22, v17 :: v_dual_add_nc_u32 v8, s38, v17
	s_delay_alu instid0(VALU_DEP_1) | instskip(NEXT) | instid1(VALU_DEP_2)
	v_mul_lo_u32 v7, v7, s21
	v_mul_lo_u32 v8, v8, s23
	s_delay_alu instid0(VALU_DEP_1) | instskip(NEXT) | instid1(VALU_DEP_1)
	v_sub_nc_u32_e32 v7, v7, v8
	v_cmp_lt_u32_e64 s0, s39, v7
	s_and_b32 s3, s0, exec_lo
.LBB248_106:
	s_or_b32 exec_lo, exec_lo, s4
	v_cndmask_b32_e64 v7, 0, 1, vcc_lo
	v_dual_lshrrev_b32 v8, 8, v6 :: v_dual_lshrrev_b32 v9, 16, v6
	v_cndmask_b32_e64 v39, 0, 1, s3
	s_delay_alu instid0(VALU_DEP_3) | instskip(NEXT) | instid1(VALU_DEP_3)
	v_lshlrev_b16 v7, 8, v7
	v_lshlrev_b16 v8, 8, v8
	s_delay_alu instid0(VALU_DEP_2) | instskip(NEXT) | instid1(VALU_DEP_2)
	v_bitop3_b16 v7, v9, v7, 0xff bitop3:0xec
	v_bitop3_b16 v6, v6, v8, 0xff bitop3:0xec
	s_delay_alu instid0(VALU_DEP_2) | instskip(NEXT) | instid1(VALU_DEP_2)
	v_lshlrev_b32_e32 v7, 16, v7
	v_and_b32_e32 v6, 0xffff, v6
	s_delay_alu instid0(VALU_DEP_1)
	v_or_b32_e32 v41, v6, v7
.LBB248_107:
	s_or_b32 exec_lo, exec_lo, s1
	v_dual_add_nc_u32 v8, 12, v15 :: v_dual_lshrrev_b32 v6, 8, v1
	v_dual_lshrrev_b32 v7, 16, v1 :: v_dual_lshrrev_b32 v1, 24, v1
	s_mov_b32 s0, exec_lo
                                        ; implicit-def: $vgpr42
	s_delay_alu instid0(VALU_DEP_2)
	v_cmpx_le_u32_e64 s5, v8
	s_xor_b32 s0, exec_lo, s0
; %bb.108:
	s_delay_alu instid0(VALU_DEP_2) | instskip(SKIP_1) | instid1(VALU_DEP_2)
	v_lshlrev_b16 v1, 8, v1
	v_lshlrev_b16 v6, 8, v6
	v_bitop3_b16 v1, v7, v1, 0xff bitop3:0xec
	s_delay_alu instid0(VALU_DEP_2) | instskip(NEXT) | instid1(VALU_DEP_2)
	v_and_b32_e32 v6, 0xffff, v6
                                        ; implicit-def: $vgpr7
	v_lshlrev_b32_e32 v1, 16, v1
	s_delay_alu instid0(VALU_DEP_1)
	v_or_b32_e32 v42, v6, v1
                                        ; implicit-def: $vgpr1
                                        ; implicit-def: $vgpr6
; %bb.109:
	s_or_saveexec_b32 s1, s0
	v_mov_b32_e32 v43, 0
	s_xor_b32 exec_lo, exec_lo, s1
	s_cbranch_execz .LBB248_113
; %bb.110:
	v_dual_add_nc_u32 v8, s19, v34 :: v_dual_add_nc_u32 v9, s17, v34
	s_mov_b32 s3, 0
	s_mov_b32 s4, exec_lo
	s_delay_alu instid0(VALU_DEP_1) | instskip(NEXT) | instid1(VALU_DEP_2)
	v_mul_lo_u32 v8, v8, s18
	v_mul_lo_u32 v9, v9, s16
	s_delay_alu instid0(VALU_DEP_1) | instskip(NEXT) | instid1(VALU_DEP_1)
	v_sub_nc_u32_e32 v8, v9, v8
	v_cmp_lt_u32_e32 vcc_lo, s20, v8
	v_cmpx_ge_u32_e64 s20, v8
	s_cbranch_execz .LBB248_112
; %bb.111:
	v_dual_add_nc_u32 v8, s38, v34 :: v_dual_add_nc_u32 v9, s22, v34
	s_delay_alu instid0(VALU_DEP_1) | instskip(NEXT) | instid1(VALU_DEP_2)
	v_mul_lo_u32 v8, v8, s23
	v_mul_lo_u32 v9, v9, s21
	s_delay_alu instid0(VALU_DEP_1) | instskip(NEXT) | instid1(VALU_DEP_1)
	v_sub_nc_u32_e32 v8, v9, v8
	v_cmp_lt_u32_e64 s0, s39, v8
	s_and_b32 s3, s0, exec_lo
.LBB248_112:
	s_or_b32 exec_lo, exec_lo, s4
	v_cndmask_b32_e64 v8, 0, 1, vcc_lo
	v_lshlrev_b16 v1, 8, v1
	v_lshlrev_b16 v6, 8, v6
	v_cndmask_b32_e64 v43, 0, 1, s3
	s_delay_alu instid0(VALU_DEP_3) | instskip(NEXT) | instid1(VALU_DEP_1)
	v_bitop3_b16 v1, v7, v1, 0xff bitop3:0xec
	v_dual_lshlrev_b32 v1, 16, v1 :: v_dual_bitop2_b32 v6, v8, v6 bitop3:0x54
	s_delay_alu instid0(VALU_DEP_1) | instskip(NEXT) | instid1(VALU_DEP_1)
	v_and_b32_e32 v6, 0xffff, v6
	v_or_b32_e32 v42, v6, v1
.LBB248_113:
	s_or_b32 exec_lo, exec_lo, s1
.LBB248_114:
	v_and_b32_e32 v66, 0xff, v36
	s_delay_alu instid0(VALU_DEP_2)
	v_bfe_u32 v67, v42, 8, 8
	v_bfe_u32 v64, v36, 8, 8
	;; [unrolled: 1-line block ×4, first 2 shown]
	v_dual_lshrrev_b32 v49, 24, v42 :: v_dual_lshrrev_b32 v48, 24, v36
	v_and_b32_e32 v62, 0xff, v37
	v_and_b32_e32 v60, 0xff, v38
	v_bfe_u32 v61, v37, 8, 8
	v_add3_u32 v1, v64, v66, v63
	v_add3_u32 v6, v65, v67, v49
	v_bfe_u32 v58, v38, 8, 8
	v_bfe_u32 v59, v37, 16, 8
	;; [unrolled: 1-line block ×3, first 2 shown]
	v_dual_lshrrev_b32 v47, 24, v37 :: v_dual_lshrrev_b32 v46, 24, v38
	v_add3_u32 v1, v1, v48, v60
	v_add3_u32 v6, v6, v62, v61
	v_and_b32_e32 v57, 0xff, v40
	v_and_b32_e32 v53, 0xff, v41
	v_bfe_u32 v55, v40, 8, 8
	v_add3_u32 v1, v1, v58, v56
	v_add3_u32 v6, v6, v59, v47
	v_bfe_u32 v52, v41, 8, 8
	v_bfe_u32 v54, v40, 16, 8
	;; [unrolled: 1-line block ×3, first 2 shown]
	v_dual_lshrrev_b32 v45, 24, v40 :: v_dual_lshrrev_b32 v44, 24, v41
	v_add3_u32 v1, v1, v46, v53
	v_add3_u32 v6, v6, v57, v55
	v_mbcnt_lo_u32_b32 v68, -1, 0
	v_and_b32_e32 v50, 0xff, v39
	v_and_b32_e32 v7, 0xff, v42
	v_and_b32_e32 v8, 0xff, v43
	v_add3_u32 v1, v1, v52, v51
	v_add3_u32 v6, v6, v54, v45
	v_and_b32_e32 v70, 15, v68
	v_and_b32_e32 v72, 16, v68
	v_dual_lshrrev_b32 v69, 5, v0 :: v_dual_bitop2_b32 v71, 31, v0 bitop3:0x54
	v_add3_u32 v73, v1, v44, v7
	v_add3_u32 v74, v6, v50, v8
	v_cmp_eq_u32_e64 s1, 0, v70
	v_cmp_lt_u32_e64 s0, 1, v70
	v_cmp_lt_u32_e64 s3, 3, v70
	s_cmp_lg_u32 s27, 0
	s_mov_b32 s4, -1
	v_cmp_lt_u32_e32 vcc_lo, 7, v70
	s_cbranch_scc0 .LBB248_135
; %bb.115:
	v_mov_b32_dpp v1, v74 row_shr:1 row_mask:0xf bank_mask:0xf
	v_mov_b32_dpp v6, v73 row_shr:1 row_mask:0xf bank_mask:0xf
	s_mov_b32 s4, exec_lo
	s_delay_alu instid0(VALU_DEP_1) | instskip(NEXT) | instid1(VALU_DEP_1)
	v_dual_add_nc_u32 v1, v1, v74 :: v_dual_add_nc_u32 v6, v6, v73
	v_dual_cndmask_b32 v1, v1, v74, s1 :: v_dual_cndmask_b32 v6, v6, v73, s1
	s_delay_alu instid0(VALU_DEP_1) | instskip(NEXT) | instid1(VALU_DEP_2)
	v_mov_b32_dpp v7, v1 row_shr:2 row_mask:0xf bank_mask:0xf
	v_mov_b32_dpp v8, v6 row_shr:2 row_mask:0xf bank_mask:0xf
	s_delay_alu instid0(VALU_DEP_1) | instskip(NEXT) | instid1(VALU_DEP_1)
	v_dual_add_nc_u32 v7, v1, v7 :: v_dual_add_nc_u32 v8, v6, v8
	v_dual_cndmask_b32 v1, v1, v7, s0 :: v_dual_cndmask_b32 v6, v6, v8, s0
	s_delay_alu instid0(VALU_DEP_1) | instskip(NEXT) | instid1(VALU_DEP_2)
	v_mov_b32_dpp v7, v1 row_shr:4 row_mask:0xf bank_mask:0xf
	v_mov_b32_dpp v8, v6 row_shr:4 row_mask:0xf bank_mask:0xf
	;; [unrolled: 6-line block ×3, first 2 shown]
	s_delay_alu instid0(VALU_DEP_1) | instskip(NEXT) | instid1(VALU_DEP_1)
	v_dual_add_nc_u32 v7, v1, v7 :: v_dual_add_nc_u32 v8, v6, v8
	v_dual_cndmask_b32 v1, v1, v7 :: v_dual_cndmask_b32 v6, v6, v8
	v_cmp_eq_u32_e32 vcc_lo, 0, v72
	ds_swizzle_b32 v7, v1 offset:swizzle(BROADCAST,32,15)
	ds_swizzle_b32 v8, v6 offset:swizzle(BROADCAST,32,15)
	s_wait_dscnt 0x0
	v_dual_add_nc_u32 v7, v1, v7 :: v_dual_add_nc_u32 v8, v6, v8
	v_cmpx_eq_u32_e64 v0, v71
; %bb.116:
	s_delay_alu instid0(VALU_DEP_2) | instskip(NEXT) | instid1(VALU_DEP_3)
	v_dual_cndmask_b32 v10, v8, v6 :: v_dual_lshlrev_b32 v9, 3, v69
	v_cndmask_b32_e32 v11, v7, v1, vcc_lo
	ds_store_b64 v9, v[10:11]
; %bb.117:
	s_or_b32 exec_lo, exec_lo, s4
	s_delay_alu instid0(SALU_CYCLE_1)
	s_mov_b32 s4, exec_lo
	s_wait_dscnt 0x0
	s_barrier_signal -1
	s_barrier_wait -1
	v_cmpx_gt_u32_e32 8, v0
	s_cbranch_execz .LBB248_119
; %bb.118:
	v_lshlrev_b32_e32 v9, 3, v0
	ds_load_b64 v[10:11], v9
	s_wait_dscnt 0x0
	v_mov_b32_dpp v12, v10 row_shr:1 row_mask:0xf bank_mask:0xf
	v_mov_b32_dpp v13, v11 row_shr:1 row_mask:0xf bank_mask:0xf
	s_delay_alu instid0(VALU_DEP_2) | instskip(NEXT) | instid1(VALU_DEP_2)
	v_dual_add_nc_u32 v12, v12, v10 :: v_dual_bitop2_b32 v28, 7, v68 bitop3:0x40
	v_add_nc_u32_e32 v13, v13, v11
	s_delay_alu instid0(VALU_DEP_2) | instskip(NEXT) | instid1(VALU_DEP_1)
	v_cmp_eq_u32_e64 s3, 0, v28
	v_dual_cndmask_b32 v11, v13, v11, s3 :: v_dual_cndmask_b32 v10, v12, v10, s3
	v_cmp_lt_u32_e64 s3, 1, v28
	s_delay_alu instid0(VALU_DEP_2) | instskip(NEXT) | instid1(VALU_DEP_3)
	v_mov_b32_dpp v13, v11 row_shr:2 row_mask:0xf bank_mask:0xf
	v_mov_b32_dpp v12, v10 row_shr:2 row_mask:0xf bank_mask:0xf
	s_delay_alu instid0(VALU_DEP_1) | instskip(NEXT) | instid1(VALU_DEP_1)
	v_dual_add_nc_u32 v13, v11, v13 :: v_dual_add_nc_u32 v12, v10, v12
	v_dual_cndmask_b32 v11, v11, v13, s3 :: v_dual_cndmask_b32 v10, v10, v12, s3
	v_cmp_lt_u32_e64 s3, 3, v28
	s_delay_alu instid0(VALU_DEP_2) | instskip(NEXT) | instid1(VALU_DEP_3)
	v_mov_b32_dpp v13, v11 row_shr:4 row_mask:0xf bank_mask:0xf
	v_mov_b32_dpp v12, v10 row_shr:4 row_mask:0xf bank_mask:0xf
	s_delay_alu instid0(VALU_DEP_1) | instskip(NEXT) | instid1(VALU_DEP_1)
	v_dual_cndmask_b32 v13, 0, v13, s3 :: v_dual_cndmask_b32 v12, 0, v12, s3
	v_dual_add_nc_u32 v11, v13, v11 :: v_dual_add_nc_u32 v10, v12, v10
	ds_store_b64 v9, v[10:11]
.LBB248_119:
	s_or_b32 exec_lo, exec_lo, s4
	v_dual_cndmask_b32 v1, v7, v1 :: v_dual_cndmask_b32 v6, v8, v6
	s_mov_b32 s4, exec_lo
	v_cmp_gt_u32_e32 vcc_lo, 32, v0
	s_wait_dscnt 0x0
	s_barrier_signal -1
	s_barrier_wait -1
                                        ; implicit-def: $vgpr28
	v_cmpx_lt_u32_e32 31, v0
	s_cbranch_execz .LBB248_121
; %bb.120:
	v_lshl_add_u32 v7, v69, 3, -8
	ds_load_b64 v[28:29], v7
	s_wait_dscnt 0x0
	v_dual_add_nc_u32 v1, v29, v1 :: v_dual_add_nc_u32 v6, v28, v6
.LBB248_121:
	s_or_b32 exec_lo, exec_lo, s4
	v_sub_co_u32 v7, s3, v68, 1
	s_delay_alu instid0(VALU_DEP_1) | instskip(NEXT) | instid1(VALU_DEP_1)
	v_cmp_gt_i32_e64 s4, 0, v7
	v_cndmask_b32_e64 v7, v7, v68, s4
	s_delay_alu instid0(VALU_DEP_1)
	v_lshlrev_b32_e32 v7, 2, v7
	ds_bpermute_b32 v75, v7, v6
	ds_bpermute_b32 v1, v7, v1
	s_and_saveexec_b32 s4, vcc_lo
	s_cbranch_execz .LBB248_140
; %bb.122:
	v_mov_b32_e32 v9, 0
	ds_load_b64 v[6:7], v9 offset:56
	s_and_saveexec_b32 s6, s3
	s_cbranch_execz .LBB248_124
; %bb.123:
	s_add_co_i32 s8, s27, 32
	s_mov_b32 s9, 0
	v_mov_b32_e32 v8, 1
	s_lshl_b64 s[8:9], s[8:9], 4
	s_delay_alu instid0(SALU_CYCLE_1) | instskip(NEXT) | instid1(SALU_CYCLE_1)
	s_add_nc_u64 s[8:9], s[36:37], s[8:9]
	v_mov_b64_e32 v[10:11], s[8:9]
	s_wait_dscnt 0x0
	;;#ASMSTART
	global_store_b128 v[10:11], v[6:9] off scope:SCOPE_DEV	
s_wait_storecnt 0x0
	;;#ASMEND
.LBB248_124:
	s_or_b32 exec_lo, exec_lo, s6
	v_xad_u32 v30, v68, -1, s27
	s_mov_b32 s7, 0
	s_mov_b32 s6, exec_lo
	s_delay_alu instid0(VALU_DEP_1) | instskip(NEXT) | instid1(VALU_DEP_1)
	v_add_nc_u32_e32 v8, 32, v30
	v_lshl_add_u64 v[8:9], v[8:9], 4, s[36:37]
	;;#ASMSTART
	global_load_b128 v[10:13], v[8:9] off scope:SCOPE_DEV	
s_wait_loadcnt 0x0
	;;#ASMEND
	v_and_b32_e32 v13, 0xff, v12
	s_delay_alu instid0(VALU_DEP_1)
	v_cmpx_eq_u16_e32 0, v13
	s_cbranch_execz .LBB248_127
.LBB248_125:                            ; =>This Inner Loop Header: Depth=1
	;;#ASMSTART
	global_load_b128 v[10:13], v[8:9] off scope:SCOPE_DEV	
s_wait_loadcnt 0x0
	;;#ASMEND
	v_and_b32_e32 v13, 0xff, v12
	s_delay_alu instid0(VALU_DEP_1) | instskip(SKIP_1) | instid1(SALU_CYCLE_1)
	v_cmp_ne_u16_e32 vcc_lo, 0, v13
	s_or_b32 s7, vcc_lo, s7
	s_and_not1_b32 exec_lo, exec_lo, s7
	s_cbranch_execnz .LBB248_125
; %bb.126:
	s_or_b32 exec_lo, exec_lo, s7
.LBB248_127:
	s_delay_alu instid0(SALU_CYCLE_1) | instskip(SKIP_4) | instid1(VALU_DEP_1)
	s_or_b32 exec_lo, exec_lo, s6
	v_cmp_ne_u32_e32 vcc_lo, 31, v68
	v_lshlrev_b32_e64 v77, v68, -1
	v_lshl_or_b32 v84, v68, 2, 64
	v_add_co_ci_u32_e64 v8, null, 0, v68, vcc_lo
	v_lshlrev_b32_e32 v76, 2, v8
	v_and_b32_e32 v8, 0xff, v12
	s_delay_alu instid0(VALU_DEP_1)
	v_cmp_eq_u16_e32 vcc_lo, 2, v8
	v_and_b32_e32 v13, vcc_lo, v77
	ds_bpermute_b32 v9, v76, v11
	ds_bpermute_b32 v8, v76, v10
	v_cmp_gt_u32_e32 vcc_lo, 30, v68
	v_or_b32_e32 v13, 0x80000000, v13
	v_cndmask_b32_e64 v31, 0, 2, vcc_lo
	s_delay_alu instid0(VALU_DEP_2) | instskip(NEXT) | instid1(VALU_DEP_2)
	v_ctz_i32_b32_e32 v13, v13
	v_add_lshl_u32 v78, v31, v68, 2
	s_delay_alu instid0(VALU_DEP_2) | instskip(SKIP_2) | instid1(VALU_DEP_1)
	v_cmp_lt_u32_e32 vcc_lo, v68, v13
	s_wait_dscnt 0x0
	v_dual_add_nc_u32 v9, v9, v11 :: v_dual_add_nc_u32 v8, v8, v10
	v_dual_cndmask_b32 v9, v11, v9 :: v_dual_cndmask_b32 v8, v10, v8
	v_cmp_gt_u32_e32 vcc_lo, 28, v68
	ds_bpermute_b32 v10, v78, v9
	ds_bpermute_b32 v11, v78, v8
	v_add_nc_u32_e32 v79, 2, v68
	v_cndmask_b32_e64 v31, 0, 4, vcc_lo
	s_delay_alu instid0(VALU_DEP_1) | instskip(SKIP_4) | instid1(VALU_DEP_2)
	v_add_lshl_u32 v80, v31, v68, 2
	s_wait_dscnt 0x1
	v_add_nc_u32_e32 v10, v9, v10
	v_cmp_gt_u32_e32 vcc_lo, v79, v13
	s_wait_dscnt 0x0
	v_dual_add_nc_u32 v11, v8, v11 :: v_dual_cndmask_b32 v9, v10, v9, vcc_lo
	ds_bpermute_b32 v10, v80, v9
	v_cndmask_b32_e32 v8, v11, v8, vcc_lo
	v_cmp_gt_u32_e32 vcc_lo, 24, v68
	v_cndmask_b32_e64 v31, 0, 8, vcc_lo
	s_delay_alu instid0(VALU_DEP_1)
	v_add_lshl_u32 v82, v31, v68, 2
	s_wait_dscnt 0x0
	v_dual_mov_b32 v31, 0 :: v_dual_add_nc_u32 v10, v9, v10
	ds_bpermute_b32 v11, v80, v8
	s_wait_dscnt 0x0
	v_dual_add_nc_u32 v81, 4, v68 :: v_dual_add_nc_u32 v11, v8, v11
	s_delay_alu instid0(VALU_DEP_1) | instskip(NEXT) | instid1(VALU_DEP_2)
	v_cmp_gt_u32_e32 vcc_lo, v81, v13
	v_dual_cndmask_b32 v9, v10, v9 :: v_dual_cndmask_b32 v8, v11, v8
	ds_bpermute_b32 v10, v82, v9
	ds_bpermute_b32 v11, v82, v8
	s_wait_dscnt 0x1
	v_dual_add_nc_u32 v83, 8, v68 :: v_dual_add_nc_u32 v10, v9, v10
	s_delay_alu instid0(VALU_DEP_1) | instskip(SKIP_1) | instid1(VALU_DEP_2)
	v_cmp_gt_u32_e32 vcc_lo, v83, v13
	s_wait_dscnt 0x0
	v_dual_add_nc_u32 v11, v8, v11 :: v_dual_cndmask_b32 v9, v10, v9, vcc_lo
	s_delay_alu instid0(VALU_DEP_1) | instskip(SKIP_3) | instid1(VALU_DEP_1)
	v_cndmask_b32_e32 v8, v11, v8, vcc_lo
	ds_bpermute_b32 v11, v84, v9
	ds_bpermute_b32 v10, v84, v8
	v_add_nc_u32_e32 v85, 16, v68
	v_cmp_le_u32_e32 vcc_lo, v85, v13
	s_wait_dscnt 0x0
	v_dual_cndmask_b32 v11, 0, v11 :: v_dual_cndmask_b32 v10, 0, v10
	s_delay_alu instid0(VALU_DEP_1)
	v_dual_add_nc_u32 v11, v11, v9 :: v_dual_add_nc_u32 v10, v10, v8
	s_branch .LBB248_131
.LBB248_128:                            ;   in Loop: Header=BB248_131 Depth=1
	s_or_b32 exec_lo, exec_lo, s7
.LBB248_129:                            ;   in Loop: Header=BB248_131 Depth=1
	s_delay_alu instid0(SALU_CYCLE_1)
	s_or_b32 exec_lo, exec_lo, s6
	ds_bpermute_b32 v13, v76, v10
	ds_bpermute_b32 v32, v76, v11
	v_and_b32_e32 v33, 0xff, v12
	v_subrev_nc_u32_e32 v30, 32, v30
	s_mov_b32 s6, 0
	s_delay_alu instid0(VALU_DEP_2) | instskip(SKIP_1) | instid1(VALU_DEP_1)
	v_cmp_eq_u16_e32 vcc_lo, 2, v33
	v_and_or_b32 v33, vcc_lo, v77, 0x80000000
	v_ctz_i32_b32_e32 v33, v33
	s_wait_dscnt 0x0
	v_dual_add_nc_u32 v13, v13, v10 :: v_dual_add_nc_u32 v32, v32, v11
	s_delay_alu instid0(VALU_DEP_2) | instskip(NEXT) | instid1(VALU_DEP_2)
	v_cmp_lt_u32_e32 vcc_lo, v68, v33
	v_dual_cndmask_b32 v11, v11, v32 :: v_dual_cndmask_b32 v10, v10, v13
	v_cmp_gt_u32_e32 vcc_lo, v79, v33
	ds_bpermute_b32 v32, v78, v11
	ds_bpermute_b32 v13, v78, v10
	s_wait_dscnt 0x0
	v_dual_add_nc_u32 v32, v11, v32 :: v_dual_add_nc_u32 v13, v10, v13
	s_delay_alu instid0(VALU_DEP_1)
	v_dual_cndmask_b32 v11, v32, v11 :: v_dual_cndmask_b32 v10, v13, v10
	v_cmp_gt_u32_e32 vcc_lo, v81, v33
	ds_bpermute_b32 v32, v80, v11
	ds_bpermute_b32 v13, v80, v10
	s_wait_dscnt 0x0
	v_dual_add_nc_u32 v32, v11, v32 :: v_dual_add_nc_u32 v13, v10, v13
	s_delay_alu instid0(VALU_DEP_1)
	;; [unrolled: 7-line block ×3, first 2 shown]
	v_dual_cndmask_b32 v11, v32, v11 :: v_dual_cndmask_b32 v10, v13, v10
	v_cmp_le_u32_e32 vcc_lo, v85, v33
	ds_bpermute_b32 v32, v84, v11
	ds_bpermute_b32 v13, v84, v10
	s_wait_dscnt 0x0
	v_dual_cndmask_b32 v32, 0, v32 :: v_dual_cndmask_b32 v13, 0, v13
	s_delay_alu instid0(VALU_DEP_1) | instskip(NEXT) | instid1(VALU_DEP_2)
	v_add3_u32 v11, v11, v9, v32
	v_add3_u32 v10, v10, v8, v13
.LBB248_130:                            ;   in Loop: Header=BB248_131 Depth=1
	s_and_b32 vcc_lo, exec_lo, s6
	s_cbranch_vccnz .LBB248_136
.LBB248_131:                            ; =>This Loop Header: Depth=1
                                        ;     Child Loop BB248_134 Depth 2
	v_and_b32_e32 v8, 0xff, v12
	s_mov_b32 s6, -1
                                        ; implicit-def: $vgpr12
	s_delay_alu instid0(VALU_DEP_1)
	v_cmp_ne_u16_e32 vcc_lo, 2, v8
	v_mov_b64_e32 v[8:9], v[10:11]
                                        ; implicit-def: $vgpr10_vgpr11
	s_cmp_lg_u32 vcc_lo, exec_lo
	s_cbranch_scc1 .LBB248_130
; %bb.132:                              ;   in Loop: Header=BB248_131 Depth=1
	v_lshl_add_u64 v[32:33], v[30:31], 4, s[36:37]
	;;#ASMSTART
	global_load_b128 v[10:13], v[32:33] off scope:SCOPE_DEV	
s_wait_loadcnt 0x0
	;;#ASMEND
	v_and_b32_e32 v13, 0xff, v12
	s_mov_b32 s6, exec_lo
	s_delay_alu instid0(VALU_DEP_1)
	v_cmpx_eq_u16_e32 0, v13
	s_cbranch_execz .LBB248_129
; %bb.133:                              ;   in Loop: Header=BB248_131 Depth=1
	s_mov_b32 s7, 0
.LBB248_134:                            ;   Parent Loop BB248_131 Depth=1
                                        ; =>  This Inner Loop Header: Depth=2
	;;#ASMSTART
	global_load_b128 v[10:13], v[32:33] off scope:SCOPE_DEV	
s_wait_loadcnt 0x0
	;;#ASMEND
	v_and_b32_e32 v13, 0xff, v12
	s_delay_alu instid0(VALU_DEP_1) | instskip(SKIP_1) | instid1(SALU_CYCLE_1)
	v_cmp_ne_u16_e32 vcc_lo, 0, v13
	s_or_b32 s7, vcc_lo, s7
	s_and_not1_b32 exec_lo, exec_lo, s7
	s_cbranch_execnz .LBB248_134
	s_branch .LBB248_128
.LBB248_135:
                                        ; implicit-def: $vgpr1
                                        ; implicit-def: $vgpr8
                                        ; implicit-def: $vgpr10
                                        ; implicit-def: $vgpr12
                                        ; implicit-def: $vgpr28
	s_and_b32 vcc_lo, exec_lo, s4
	s_cbranch_vccnz .LBB248_141
	s_branch .LBB248_150
.LBB248_136:
	s_and_saveexec_b32 s6, s3
	s_cbranch_execz .LBB248_138
; %bb.137:
	s_add_co_i32 s8, s27, 32
	s_mov_b32 s9, 0
	v_dual_mov_b32 v12, 2 :: v_dual_mov_b32 v13, 0
	s_lshl_b64 s[8:9], s[8:9], 4
	v_dual_add_nc_u32 v11, v9, v7 :: v_dual_add_nc_u32 v10, v8, v6
	s_add_nc_u64 s[8:9], s[36:37], s[8:9]
	s_delay_alu instid0(SALU_CYCLE_1)
	v_mov_b64_e32 v[30:31], s[8:9]
	;;#ASMSTART
	global_store_b128 v[30:31], v[10:13] off scope:SCOPE_DEV	
s_wait_storecnt 0x0
	;;#ASMEND
	ds_store_b128 v13, v[6:9] offset:13312
.LBB248_138:
	s_or_b32 exec_lo, exec_lo, s6
	s_delay_alu instid0(SALU_CYCLE_1)
	s_and_b32 exec_lo, exec_lo, s2
; %bb.139:
	v_mov_b32_e32 v6, 0
	ds_store_b64 v6, v[8:9] offset:56
.LBB248_140:
	s_or_b32 exec_lo, exec_lo, s4
	s_wait_dscnt 0x0
	v_dual_mov_b32 v6, 0 :: v_dual_cndmask_b32 v1, v1, v29, s3
	s_barrier_signal -1
	s_barrier_wait -1
	ds_load_b64 v[12:13], v6 offset:56
	s_wait_dscnt 0x0
	s_barrier_signal -1
	s_barrier_wait -1
	ds_load_b128 v[6:9], v6 offset:13312
	v_cndmask_b32_e64 v10, v75, v28, s3
	s_delay_alu instid0(VALU_DEP_1) | instskip(SKIP_2) | instid1(VALU_DEP_2)
	v_dual_add_nc_u32 v1, v13, v1 :: v_dual_add_nc_u32 v11, v12, v10
	s_wait_dscnt 0x0
	v_mov_b32_e32 v10, v9
	v_dual_cndmask_b32 v1, v1, v13, s2 :: v_dual_cndmask_b32 v28, v11, v12, s2
	v_mov_b32_e32 v12, v7
	s_branch .LBB248_150
.LBB248_141:
	v_mov_b32_dpp v1, v73 row_shr:1 row_mask:0xf bank_mask:0xf
	v_mov_b32_dpp v6, v74 row_shr:1 row_mask:0xf bank_mask:0xf
	v_cmp_lt_u32_e32 vcc_lo, 3, v70
	s_delay_alu instid0(VALU_DEP_2) | instskip(NEXT) | instid1(VALU_DEP_1)
	v_dual_add_nc_u32 v1, v1, v73 :: v_dual_add_nc_u32 v6, v6, v74
	v_dual_cndmask_b32 v1, v1, v73, s1 :: v_dual_cndmask_b32 v6, v6, v74, s1
	s_mov_b32 s1, exec_lo
	s_delay_alu instid0(VALU_DEP_1) | instskip(NEXT) | instid1(VALU_DEP_2)
	v_mov_b32_dpp v7, v1 row_shr:2 row_mask:0xf bank_mask:0xf
	v_mov_b32_dpp v8, v6 row_shr:2 row_mask:0xf bank_mask:0xf
	s_delay_alu instid0(VALU_DEP_1) | instskip(NEXT) | instid1(VALU_DEP_1)
	v_dual_add_nc_u32 v7, v1, v7 :: v_dual_add_nc_u32 v8, v6, v8
	v_dual_cndmask_b32 v1, v1, v7, s0 :: v_dual_cndmask_b32 v6, v6, v8, s0
	s_delay_alu instid0(VALU_DEP_1) | instskip(NEXT) | instid1(VALU_DEP_2)
	v_mov_b32_dpp v7, v1 row_shr:4 row_mask:0xf bank_mask:0xf
	v_mov_b32_dpp v8, v6 row_shr:4 row_mask:0xf bank_mask:0xf
	s_delay_alu instid0(VALU_DEP_1) | instskip(NEXT) | instid1(VALU_DEP_1)
	v_dual_add_nc_u32 v7, v1, v7 :: v_dual_add_nc_u32 v8, v6, v8
	v_dual_cndmask_b32 v7, v1, v7 :: v_dual_cndmask_b32 v6, v6, v8
	v_cmp_lt_u32_e32 vcc_lo, 7, v70
	s_delay_alu instid0(VALU_DEP_2) | instskip(NEXT) | instid1(VALU_DEP_3)
	v_mov_b32_dpp v1, v7 row_shr:8 row_mask:0xf bank_mask:0xf
	v_mov_b32_dpp v8, v6 row_shr:8 row_mask:0xf bank_mask:0xf
	s_delay_alu instid0(VALU_DEP_1) | instskip(NEXT) | instid1(VALU_DEP_1)
	v_dual_add_nc_u32 v9, v7, v1 :: v_dual_add_nc_u32 v1, v6, v8
	v_cndmask_b32_e32 v1, v6, v1, vcc_lo
	s_delay_alu instid0(VALU_DEP_2)
	v_cndmask_b32_e32 v6, v7, v9, vcc_lo
	v_cmp_eq_u32_e32 vcc_lo, 0, v72
	ds_swizzle_b32 v8, v6 offset:swizzle(BROADCAST,32,15)
	s_wait_dscnt 0x0
	v_add_nc_u32_e32 v8, v6, v8
	ds_swizzle_b32 v7, v1 offset:swizzle(BROADCAST,32,15)
	s_wait_dscnt 0x0
	v_add_nc_u32_e32 v7, v1, v7
	v_cmpx_eq_u32_e64 v0, v71
; %bb.142:
	s_delay_alu instid0(VALU_DEP_2)
	v_dual_cndmask_b32 v10, v8, v6 :: v_dual_cndmask_b32 v11, v7, v1
	v_lshlrev_b32_e32 v9, 3, v69
	ds_store_b64 v9, v[10:11]
; %bb.143:
	s_or_b32 exec_lo, exec_lo, s1
	s_delay_alu instid0(SALU_CYCLE_1)
	s_mov_b32 s1, exec_lo
	s_wait_dscnt 0x0
	s_barrier_signal -1
	s_barrier_wait -1
	v_cmpx_gt_u32_e32 8, v0
	s_cbranch_execz .LBB248_145
; %bb.144:
	v_lshlrev_b32_e32 v9, 3, v0
	ds_load_b64 v[10:11], v9
	s_wait_dscnt 0x0
	v_mov_b32_dpp v12, v10 row_shr:1 row_mask:0xf bank_mask:0xf
	v_mov_b32_dpp v13, v11 row_shr:1 row_mask:0xf bank_mask:0xf
	s_delay_alu instid0(VALU_DEP_2) | instskip(NEXT) | instid1(VALU_DEP_2)
	v_dual_add_nc_u32 v12, v12, v10 :: v_dual_bitop2_b32 v28, 7, v68 bitop3:0x40
	v_add_nc_u32_e32 v13, v13, v11
	s_delay_alu instid0(VALU_DEP_2) | instskip(NEXT) | instid1(VALU_DEP_1)
	v_cmp_eq_u32_e64 s0, 0, v28
	v_dual_cndmask_b32 v11, v13, v11, s0 :: v_dual_cndmask_b32 v10, v12, v10, s0
	v_cmp_lt_u32_e64 s0, 1, v28
	s_delay_alu instid0(VALU_DEP_2) | instskip(NEXT) | instid1(VALU_DEP_3)
	v_mov_b32_dpp v13, v11 row_shr:2 row_mask:0xf bank_mask:0xf
	v_mov_b32_dpp v12, v10 row_shr:2 row_mask:0xf bank_mask:0xf
	s_delay_alu instid0(VALU_DEP_1) | instskip(NEXT) | instid1(VALU_DEP_1)
	v_dual_add_nc_u32 v13, v11, v13 :: v_dual_add_nc_u32 v12, v10, v12
	v_dual_cndmask_b32 v11, v11, v13, s0 :: v_dual_cndmask_b32 v10, v10, v12, s0
	v_cmp_lt_u32_e64 s0, 3, v28
	s_delay_alu instid0(VALU_DEP_2) | instskip(NEXT) | instid1(VALU_DEP_3)
	v_mov_b32_dpp v13, v11 row_shr:4 row_mask:0xf bank_mask:0xf
	v_mov_b32_dpp v12, v10 row_shr:4 row_mask:0xf bank_mask:0xf
	s_delay_alu instid0(VALU_DEP_1) | instskip(NEXT) | instid1(VALU_DEP_1)
	v_dual_cndmask_b32 v13, 0, v13, s0 :: v_dual_cndmask_b32 v12, 0, v12, s0
	v_dual_add_nc_u32 v11, v13, v11 :: v_dual_add_nc_u32 v10, v12, v10
	ds_store_b64 v9, v[10:11]
.LBB248_145:
	s_or_b32 exec_lo, exec_lo, s1
	v_dual_mov_b32 v9, 0 :: v_dual_mov_b32 v10, 0
	v_mov_b32_e32 v11, 0
	s_mov_b32 s1, exec_lo
	s_wait_dscnt 0x0
	s_barrier_signal -1
	s_barrier_wait -1
	v_cmpx_lt_u32_e32 31, v0
; %bb.146:
	v_lshl_add_u32 v10, v69, 3, -8
	ds_load_b64 v[10:11], v10
; %bb.147:
	s_or_b32 exec_lo, exec_lo, s1
	v_sub_co_u32 v12, s0, v68, 1
	v_dual_cndmask_b32 v6, v8, v6 :: v_dual_cndmask_b32 v1, v7, v1
	s_delay_alu instid0(VALU_DEP_2) | instskip(SKIP_1) | instid1(VALU_DEP_1)
	v_cmp_gt_i32_e64 s1, 0, v12
	s_wait_dscnt 0x0
	v_dual_add_nc_u32 v6, v10, v6 :: v_dual_cndmask_b32 v8, v12, v68, s1
	s_delay_alu instid0(VALU_DEP_1)
	v_dual_lshlrev_b32 v7, 2, v8 :: v_dual_add_nc_u32 v8, v11, v1
	ds_bpermute_b32 v1, v7, v6
	ds_bpermute_b32 v12, v7, v8
	ds_load_b64 v[6:7], v9 offset:56
	s_and_saveexec_b32 s1, s2
	s_cbranch_execz .LBB248_149
; %bb.148:
	s_add_nc_u64 s[6:7], s[36:37], 0x200
	v_dual_mov_b32 v8, 2 :: v_dual_mov_b32 v9, 0
	v_mov_b64_e32 v[28:29], s[6:7]
	s_wait_dscnt 0x0
	;;#ASMSTART
	global_store_b128 v[28:29], v[6:9] off scope:SCOPE_DEV	
s_wait_storecnt 0x0
	;;#ASMEND
.LBB248_149:
	s_or_b32 exec_lo, exec_lo, s1
	s_wait_dscnt 0x1
	v_dual_cndmask_b32 v9, v12, v11, s0 :: v_dual_cndmask_b32 v11, v1, v10, s0
	v_dual_mov_b32 v10, 0 :: v_dual_mov_b32 v8, 0
	s_wait_dscnt 0x0
	v_mov_b32_e32 v12, v7
	s_delay_alu instid0(VALU_DEP_3)
	v_cndmask_b32_e64 v1, v9, 0, s2
	v_cndmask_b32_e64 v28, v11, 0, s2
	s_barrier_signal -1
	s_barrier_wait -1
.LBB248_150:
	s_delay_alu instid0(VALU_DEP_1) | instskip(SKIP_2) | instid1(VALU_DEP_3)
	v_dual_add_nc_u32 v74, v1, v67 :: v_dual_add_nc_u32 v75, v28, v66
	v_dual_lshrrev_b32 v72, 16, v42 :: v_dual_lshrrev_b32 v7, 8, v42
	v_dual_lshrrev_b32 v73, 8, v36 :: v_dual_lshrrev_b32 v71, 16, v36
	v_dual_add_nc_u32 v65, v74, v65 :: v_dual_add_nc_u32 v64, v75, v64
	v_dual_mov_b32 v9, 0 :: v_dual_lshlrev_b32 v66, 1, v6
	s_delay_alu instid0(VALU_DEP_2) | instskip(NEXT) | instid1(VALU_DEP_3)
	v_dual_add_nc_u32 v76, v65, v49 :: v_dual_bitop2_b32 v36, 1, v36 bitop3:0x40
	v_add_nc_u32_e32 v63, v64, v63
	v_dual_sub_nc_u32 v28, v28, v8 :: v_dual_sub_nc_u32 v1, v1, v10
	s_delay_alu instid0(VALU_DEP_3) | instskip(NEXT) | instid1(VALU_DEP_3)
	v_dual_add_nc_u32 v62, v76, v62 :: v_dual_bitop2_b32 v77, 1, v7 bitop3:0x40
	v_dual_mov_b32 v7, v9 :: v_dual_add_nc_u32 v78, v63, v48
	v_mov_b32_e32 v11, v9
	s_delay_alu instid0(VALU_DEP_3) | instskip(SKIP_1) | instid1(VALU_DEP_4)
	v_dual_add_nc_u32 v1, v1, v6 :: v_dual_add_nc_u32 v61, v62, v61
	v_add3_u32 v15, v66, v12, v15
	v_add_nc_u32_e32 v60, v78, v60
	s_delay_alu instid0(VALU_DEP_3) | instskip(NEXT) | instid1(VALU_DEP_4)
	v_dual_sub_nc_u32 v74, v74, v10 :: v_dual_add_nc_u32 v81, v28, v1
	v_dual_add_nc_u32 v79, v61, v59 :: v_dual_sub_nc_u32 v75, v75, v8
	s_delay_alu instid0(VALU_DEP_3) | instskip(SKIP_1) | instid1(VALU_DEP_4)
	v_add_nc_u32_e32 v80, v60, v58
	v_cmp_eq_u32_e32 vcc_lo, 1, v77
	v_dual_add_nc_u32 v74, v74, v6 :: v_dual_sub_nc_u32 v64, v64, v8
	s_delay_alu instid0(VALU_DEP_3) | instskip(SKIP_2) | instid1(VALU_DEP_3)
	v_dual_add_nc_u32 v82, v79, v47 :: v_dual_add_nc_u32 v56, v80, v56
	v_dual_sub_nc_u32 v81, v15, v81 :: v_dual_sub_nc_u32 v65, v65, v10
	v_sub_nc_u64_e32 v[58:59], v[4:5], v[6:7]
	v_dual_add_nc_u32 v57, v82, v57 :: v_dual_add_nc_u32 v83, v56, v46
	s_delay_alu instid0(VALU_DEP_3) | instskip(SKIP_1) | instid1(VALU_DEP_3)
	v_dual_cndmask_b32 v1, v81, v1, vcc_lo :: v_dual_add_nc_u32 v81, v74, v75
	v_cmp_eq_u32_e32 vcc_lo, 1, v36
	v_dual_add_nc_u32 v55, v57, v55 :: v_dual_add_nc_u32 v77, v83, v53
	v_and_b32_e32 v72, 1, v72
	v_dual_sub_nc_u32 v63, v63, v8 :: v_dual_bitop2_b32 v49, 1, v49 bitop3:0x40
	s_delay_alu instid0(VALU_DEP_3) | instskip(NEXT) | instid1(VALU_DEP_4)
	v_dual_cndmask_b32 v1, v1, v28 :: v_dual_add_nc_u32 v28, v55, v54
	v_add_nc_u32_e32 v36, v77, v52
	v_add_nc_u32_e32 v54, v65, v6
	v_add_nc_u64_e32 v[52:53], v[58:59], v[10:11]
	s_delay_alu instid0(VALU_DEP_4)
	v_lshlrev_b32_e32 v1, 2, v1
	v_add_nc_u32_e32 v58, v28, v45
	v_dual_add_nc_u32 v51, v36, v51 :: v_dual_sub_nc_u32 v59, v15, v81
	v_add_nc_u32_e32 v65, v54, v64
	ds_store_b32 v1, v26
	v_dual_add_nc_u32 v1, v58, v50 :: v_dual_add_nc_u32 v26, v51, v44
	v_dual_sub_nc_u32 v73, v76, v10 :: v_dual_bitop2_b32 v50, 1, v73 bitop3:0x40
	v_dual_sub_nc_u32 v65, v15, v65 :: v_dual_add_nc_u32 v59, 1, v59
	v_cmp_eq_u32_e32 vcc_lo, 1, v72
	s_delay_alu instid0(VALU_DEP_3) | instskip(NEXT) | instid1(VALU_DEP_3)
	v_dual_add_nc_u32 v73, v73, v6 :: v_dual_bitop2_b32 v71, 1, v71 bitop3:0x40
	v_add_nc_u32_e32 v65, 2, v65
	v_dual_lshrrev_b32 v70, 8, v37 :: v_dual_lshrrev_b32 v69, 16, v37
	v_cndmask_b32_e32 v59, v59, v74, vcc_lo
	v_cmp_eq_u32_e32 vcc_lo, 1, v49
	v_dual_add_nc_u32 v72, v63, v73 :: v_dual_lshrrev_b32 v33, 16, v38
	v_dual_lshrrev_b32 v68, 8, v38 :: v_dual_lshrrev_b32 v31, 16, v40
	v_dual_cndmask_b32 v49, v65, v54 :: v_dual_lshrrev_b32 v32, 8, v40
	v_cmp_eq_u32_e32 vcc_lo, 1, v50
	s_delay_alu instid0(VALU_DEP_4)
	v_dual_sub_nc_u32 v54, v15, v72 :: v_dual_lshrrev_b32 v30, 8, v41
	v_dual_lshrrev_b32 v29, 16, v41 :: v_dual_sub_nc_u32 v1, v1, v10
	v_cndmask_b32_e32 v50, v59, v75, vcc_lo
	v_cmp_eq_u32_e32 vcc_lo, 1, v71
	v_dual_sub_nc_u32 v59, v62, v10 :: v_dual_bitop2_b32 v37, 1, v37 bitop3:0x40
	v_dual_add_nc_u32 v54, 3, v54 :: v_dual_bitop2_b32 v48, 1, v48 bitop3:0x40
	v_cndmask_b32_e32 v49, v49, v64, vcc_lo
	v_dual_sub_nc_u32 v62, v78, v8 :: v_dual_lshlrev_b32 v50, 2, v50
	s_delay_alu instid0(VALU_DEP_4) | instskip(SKIP_1) | instid1(VALU_DEP_4)
	v_add_nc_u32_e32 v59, v59, v6
	v_cmp_eq_u32_e32 vcc_lo, 1, v37
	v_lshlrev_b32_e32 v49, 2, v49
	v_add_nc_u64_e32 v[2:3], v[2:3], v[8:9]
	ds_store_b32 v50, v27
	v_dual_sub_nc_u32 v27, v61, v10 :: v_dual_cndmask_b32 v37, v54, v73, vcc_lo
	v_add_nc_u32_e32 v54, v62, v59
	v_cmp_eq_u32_e32 vcc_lo, 1, v48
	ds_store_b32 v49, v24
	v_dual_sub_nc_u32 v48, v60, v8 :: v_dual_sub_nc_u32 v50, v79, v10
	v_dual_cndmask_b32 v37, v37, v63 :: v_dual_sub_nc_u32 v24, v15, v54
	v_dual_add_nc_u32 v27, v27, v6 :: v_dual_mov_b32 v67, v9
	s_delay_alu instid0(VALU_DEP_2) | instskip(NEXT) | instid1(VALU_DEP_3)
	v_dual_mov_b32 v13, v9 :: v_dual_add_nc_u32 v24, 4, v24
	v_dual_lshlrev_b32 v37, 2, v37 :: v_dual_bitop2_b32 v49, 1, v70 bitop3:0x40
	s_delay_alu instid0(VALU_DEP_3)
	v_add_nc_u32_e32 v54, v48, v27
	s_mov_b32 s0, -1
	v_and_b32_e32 v40, 1, v40
	ds_store_b32 v37, v25
	v_cmp_eq_u32_e32 vcc_lo, 1, v49
	v_dual_sub_nc_u32 v49, v80, v8 :: v_dual_bitop2_b32 v38, 1, v38 bitop3:0x40
	v_dual_add_nc_u32 v50, v50, v6 :: v_dual_bitop2_b32 v37, 1, v69 bitop3:0x40
	v_cndmask_b32_e32 v24, v24, v59, vcc_lo
	s_delay_alu instid0(VALU_DEP_3) | instskip(SKIP_1) | instid1(VALU_DEP_3)
	v_cmp_eq_u32_e32 vcc_lo, 1, v38
	v_and_b32_e32 v32, 1, v32
	v_dual_cndmask_b32 v24, v24, v62, vcc_lo :: v_dual_bitop2_b32 v31, 1, v31 bitop3:0x40
	v_sub_nc_u32_e32 v54, v15, v54
	v_cmp_eq_u32_e32 vcc_lo, 1, v37
	s_delay_alu instid0(VALU_DEP_3) | instskip(NEXT) | instid1(VALU_DEP_3)
	v_dual_sub_nc_u32 v37, v57, v10 :: v_dual_lshlrev_b32 v24, 2, v24
	v_add_nc_u32_e32 v38, 5, v54
	v_dual_add_nc_u32 v25, v49, v50 :: v_dual_bitop2_b32 v54, 1, v68 bitop3:0x40
	ds_store_b32 v24, v22
	v_dual_cndmask_b32 v27, v38, v27, vcc_lo :: v_dual_sub_nc_u32 v25, v15, v25
	v_and_b32_e32 v22, 1, v47
	v_cmp_eq_u32_e32 vcc_lo, 1, v54
	v_dual_sub_nc_u32 v38, v55, v10 :: v_dual_sub_nc_u32 v47, v77, v8
	s_delay_alu instid0(VALU_DEP_4) | instskip(SKIP_3) | instid1(VALU_DEP_3)
	v_dual_cndmask_b32 v25, v27, v48 :: v_dual_add_nc_u32 v24, 6, v25
	v_sub_nc_u32_e32 v27, v82, v10
	v_cmp_eq_u32_e32 vcc_lo, 1, v22
	v_and_b32_e32 v33, 1, v33
	v_dual_lshlrev_b32 v25, 2, v25 :: v_dual_add_nc_u32 v27, v27, v6
	v_cndmask_b32_e32 v22, v24, v50, vcc_lo
	v_sub_nc_u32_e32 v24, v56, v8
	s_delay_alu instid0(VALU_DEP_4)
	v_cmp_eq_u32_e32 vcc_lo, 1, v33
	ds_store_b32 v25, v23
	v_dual_sub_nc_u32 v23, v83, v8 :: v_dual_add_nc_u32 v25, v37, v6
	v_dual_cndmask_b32 v22, v22, v49 :: v_dual_add_nc_u32 v33, v24, v27
	v_and_b32_e32 v37, 1, v46
	v_cmp_eq_u32_e32 vcc_lo, 1, v40
	s_delay_alu instid0(VALU_DEP_4) | instskip(NEXT) | instid1(VALU_DEP_4)
	v_add_nc_u32_e32 v46, v23, v25
	v_dual_sub_nc_u32 v33, v15, v33 :: v_dual_lshlrev_b32 v22, 2, v22
	s_delay_alu instid0(VALU_DEP_1)
	v_dual_sub_nc_u32 v46, v15, v46 :: v_dual_add_nc_u32 v33, 7, v33
	v_add_nc_u32_e32 v38, v38, v6
	ds_store_b32 v22, v20
	v_dual_cndmask_b32 v27, v33, v27, vcc_lo :: v_dual_bitop2_b32 v22, 1, v45 bitop3:0x40
	v_cmp_eq_u32_e32 vcc_lo, 1, v37
	v_add_nc_u32_e32 v33, v47, v38
	s_delay_alu instid0(VALU_DEP_3) | instskip(SKIP_2) | instid1(VALU_DEP_3)
	v_dual_add_nc_u32 v40, 8, v46 :: v_dual_cndmask_b32 v24, v27, v24, vcc_lo
	v_and_b32_e32 v27, 1, v41
	v_cmp_eq_u32_e32 vcc_lo, 1, v32
	v_dual_sub_nc_u32 v33, v15, v33 :: v_dual_lshlrev_b32 v24, 2, v24
	s_delay_alu instid0(VALU_DEP_4) | instskip(NEXT) | instid1(VALU_DEP_4)
	v_cndmask_b32_e32 v25, v40, v25, vcc_lo
	v_cmp_eq_u32_e32 vcc_lo, 1, v27
	s_delay_alu instid0(VALU_DEP_3) | instskip(NEXT) | instid1(VALU_DEP_3)
	v_dual_add_nc_u32 v32, 9, v33 :: v_dual_bitop2_b32 v27, 1, v30 bitop3:0x40
	v_dual_cndmask_b32 v23, v25, v23 :: v_dual_sub_nc_u32 v30, v36, v8
	v_sub_nc_u32_e32 v25, v28, v10
	v_cmp_eq_u32_e32 vcc_lo, 1, v31
	s_delay_alu instid0(VALU_DEP_2)
	v_dual_lshlrev_b32 v23, 2, v23 :: v_dual_add_nc_u32 v25, v25, v6
	v_cndmask_b32_e32 v28, v32, v38, vcc_lo
	v_cmp_eq_u32_e32 vcc_lo, 1, v27
	ds_store_b32 v24, v21
	ds_store_b32 v23, v18
	v_sub_nc_u32_e32 v21, v58, v10
	v_dual_add_nc_u32 v20, v30, v25 :: v_dual_sub_nc_u32 v23, v51, v8
	v_dual_cndmask_b32 v27, v28, v47 :: v_dual_sub_nc_u32 v8, v26, v8
	s_delay_alu instid0(VALU_DEP_2) | instskip(NEXT) | instid1(VALU_DEP_2)
	v_dual_add_nc_u32 v1, v1, v6 :: v_dual_sub_nc_u32 v20, v15, v20
	v_dual_add_nc_u32 v21, v21, v6 :: v_dual_lshlrev_b32 v18, 2, v27
	v_cmp_eq_u32_e32 vcc_lo, 1, v22
	s_delay_alu instid0(VALU_DEP_3) | instskip(SKIP_3) | instid1(VALU_DEP_1)
	v_dual_add_nc_u32 v22, v8, v1 :: v_dual_add_nc_u32 v20, 10, v20
	ds_store_b32 v18, v19
	v_cndmask_b32_e32 v20, v20, v25, vcc_lo
	v_add_nc_u32_e32 v26, v23, v21
	v_dual_sub_nc_u32 v18, v15, v26 :: v_dual_bitop2_b32 v24, 1, v29 bitop3:0x40
	s_delay_alu instid0(VALU_DEP_1) | instskip(SKIP_1) | instid1(VALU_DEP_3)
	v_cmp_eq_u32_e32 vcc_lo, 1, v24
	v_dual_sub_nc_u32 v15, v15, v22 :: v_dual_bitop2_b32 v24, 1, v39 bitop3:0x40
	v_dual_add_nc_u32 v25, 11, v18 :: v_dual_bitop2_b32 v22, 1, v44 bitop3:0x40
	v_cndmask_b32_e32 v20, v20, v30, vcc_lo
	s_delay_alu instid0(VALU_DEP_3) | instskip(SKIP_4) | instid1(VALU_DEP_4)
	v_cmp_eq_u32_e32 vcc_lo, 1, v24
	v_and_b32_e32 v26, 1, v43
	v_dual_add_nc_u32 v15, 12, v15 :: v_dual_bitop2_b32 v24, 1, v42 bitop3:0x40
	v_add_nc_u64_e32 v[18:19], v[12:13], v[66:67]
	v_cndmask_b32_e32 v21, v25, v21, vcc_lo
	v_cmp_eq_u32_e32 vcc_lo, 1, v26
	s_delay_alu instid0(VALU_DEP_4)
	v_dual_cndmask_b32 v1, v15, v1 :: v_dual_lshlrev_b32 v20, 2, v20
	v_cmp_eq_u32_e32 vcc_lo, 1, v22
	v_add_nc_u64_e32 v[18:19], v[18:19], v[52:53]
	v_mov_b32_e32 v15, v9
	ds_store_b32 v20, v16
	v_cndmask_b32_e32 v21, v21, v23, vcc_lo
	v_cmp_eq_u32_e32 vcc_lo, 1, v24
	s_delay_alu instid0(VALU_DEP_2)
	v_dual_cndmask_b32 v1, v1, v8 :: v_dual_lshlrev_b32 v22, 2, v21
	v_add_nc_u64_e32 v[8:9], s[34:35], v[14:15]
	v_add_nc_u64_e32 v[14:15], v[18:19], v[2:3]
	v_lshlrev_b64_e32 v[18:19], 2, v[52:53]
	v_lshlrev_b64_e32 v[20:21], 2, v[2:3]
	v_lshlrev_b32_e32 v1, 2, v1
	v_cmp_ne_u32_e32 vcc_lo, 1, v35
	v_sub_nc_u64_e32 v[14:15], v[8:9], v[14:15]
	v_add_nc_u64_e32 v[8:9], s[30:31], v[18:19]
	v_add_nc_u32_e32 v18, v6, v12
	ds_store_b32 v22, v17
	ds_store_b32 v1, v34
	v_add_nc_u64_e32 v[16:17], s[28:29], v[20:21]
	s_wait_dscnt 0x0
	s_barrier_signal -1
	s_barrier_wait -1
	s_cbranch_vccz .LBB248_154
; %bb.151:
	s_and_b32 vcc_lo, exec_lo, s0
	s_cbranch_vccnz .LBB248_259
.LBB248_152:
	s_and_b32 s0, s2, s26
	s_delay_alu instid0(SALU_CYCLE_1)
	s_and_saveexec_b32 s1, s0
	s_cbranch_execnz .LBB248_377
.LBB248_153:
	s_sendmsg sendmsg(MSG_DEALLOC_VGPRS)
	s_endpgm
.LBB248_154:
	s_mov_b32 s0, exec_lo
	v_cmpx_ge_u32_e64 v0, v6
	s_xor_b32 s0, exec_lo, s0
	s_cbranch_execz .LBB248_160
; %bb.155:
	v_mov_b32_e32 v1, 0
	s_mov_b32 s1, exec_lo
	v_cmpx_ge_u32_e64 v0, v18
	s_xor_b32 s1, exec_lo, s1
	s_cbranch_execz .LBB248_157
; %bb.156:
	v_lshlrev_b32_e32 v19, 2, v0
	v_add_nc_u64_e32 v[20:21], v[14:15], v[0:1]
	ds_load_b32 v1, v19
	v_lshlrev_b64_e32 v[20:21], 2, v[20:21]
	s_delay_alu instid0(VALU_DEP_1)
	v_sub_nc_u64_e32 v[20:21], s[14:15], v[20:21]
	s_wait_dscnt 0x0
	global_store_b32 v[20:21], v1, off offset:-4
.LBB248_157:
	s_wait_xcnt 0x0
	s_and_not1_saveexec_b32 s1, s1
	s_cbranch_execz .LBB248_159
; %bb.158:
	v_lshlrev_b32_e32 v1, 2, v0
	v_readfirstlane_b32 s6, v8
	v_readfirstlane_b32 s7, v9
	ds_load_b32 v1, v1
	s_wait_dscnt 0x0
	global_store_b32 v0, v1, s[6:7] scale_offset
.LBB248_159:
	s_wait_xcnt 0x0
	s_or_b32 exec_lo, exec_lo, s1
.LBB248_160:
	s_and_not1_saveexec_b32 s0, s0
	s_cbranch_execz .LBB248_162
; %bb.161:
	v_lshlrev_b32_e32 v1, 2, v0
	v_readfirstlane_b32 s6, v16
	v_readfirstlane_b32 s7, v17
	ds_load_b32 v1, v1
	s_wait_dscnt 0x0
	global_store_b32 v0, v1, s[6:7] scale_offset
.LBB248_162:
	s_wait_xcnt 0x0
	s_or_b32 exec_lo, exec_lo, s0
	v_or_b32_e32 v1, 0x100, v0
	s_mov_b32 s0, exec_lo
	s_delay_alu instid0(VALU_DEP_1)
	v_cmpx_ge_u32_e64 v1, v6
	s_xor_b32 s0, exec_lo, s0
	s_cbranch_execz .LBB248_168
; %bb.163:
	s_mov_b32 s1, exec_lo
	v_cmpx_ge_u32_e64 v1, v18
	s_xor_b32 s1, exec_lo, s1
	s_cbranch_execz .LBB248_165
; %bb.164:
	v_dual_mov_b32 v1, 0 :: v_dual_lshlrev_b32 v19, 2, v0
	s_delay_alu instid0(VALU_DEP_1) | instskip(SKIP_2) | instid1(VALU_DEP_1)
	v_add_nc_u64_e32 v[20:21], v[14:15], v[0:1]
	ds_load_b32 v1, v19 offset:1024
	v_lshlrev_b64_e32 v[20:21], 2, v[20:21]
	v_sub_nc_u64_e32 v[20:21], s[14:15], v[20:21]
	s_wait_dscnt 0x0
	global_store_b32 v[20:21], v1, off offset:-1028
.LBB248_165:
	s_wait_xcnt 0x0
	s_and_not1_saveexec_b32 s1, s1
	s_cbranch_execz .LBB248_167
; %bb.166:
	v_lshlrev_b32_e32 v1, 2, v0
	v_readfirstlane_b32 s6, v8
	v_readfirstlane_b32 s7, v9
	ds_load_b32 v1, v1 offset:1024
	s_wait_dscnt 0x0
	global_store_b32 v0, v1, s[6:7] offset:1024 scale_offset
.LBB248_167:
	s_wait_xcnt 0x0
	s_or_b32 exec_lo, exec_lo, s1
.LBB248_168:
	s_and_not1_saveexec_b32 s0, s0
	s_cbranch_execz .LBB248_170
; %bb.169:
	v_lshlrev_b32_e32 v1, 2, v0
	v_readfirstlane_b32 s6, v16
	v_readfirstlane_b32 s7, v17
	ds_load_b32 v1, v1 offset:1024
	s_wait_dscnt 0x0
	global_store_b32 v0, v1, s[6:7] offset:1024 scale_offset
.LBB248_170:
	s_wait_xcnt 0x0
	s_or_b32 exec_lo, exec_lo, s0
	v_or_b32_e32 v1, 0x200, v0
	s_mov_b32 s0, exec_lo
	s_delay_alu instid0(VALU_DEP_1)
	v_cmpx_ge_u32_e64 v1, v6
	s_xor_b32 s0, exec_lo, s0
	s_cbranch_execz .LBB248_176
; %bb.171:
	s_mov_b32 s1, exec_lo
	v_cmpx_ge_u32_e64 v1, v18
	s_xor_b32 s1, exec_lo, s1
	s_cbranch_execz .LBB248_173
; %bb.172:
	v_dual_mov_b32 v1, 0 :: v_dual_lshlrev_b32 v19, 2, v0
	s_delay_alu instid0(VALU_DEP_1) | instskip(SKIP_2) | instid1(VALU_DEP_1)
	v_add_nc_u64_e32 v[20:21], v[14:15], v[0:1]
	ds_load_b32 v1, v19 offset:2048
	v_lshlrev_b64_e32 v[20:21], 2, v[20:21]
	v_sub_nc_u64_e32 v[20:21], s[14:15], v[20:21]
	s_wait_dscnt 0x0
	global_store_b32 v[20:21], v1, off offset:-2052
.LBB248_173:
	s_wait_xcnt 0x0
	s_and_not1_saveexec_b32 s1, s1
	s_cbranch_execz .LBB248_175
; %bb.174:
	v_lshlrev_b32_e32 v1, 2, v0
	v_readfirstlane_b32 s6, v8
	v_readfirstlane_b32 s7, v9
	ds_load_b32 v1, v1 offset:2048
	s_wait_dscnt 0x0
	global_store_b32 v0, v1, s[6:7] offset:2048 scale_offset
.LBB248_175:
	s_wait_xcnt 0x0
	s_or_b32 exec_lo, exec_lo, s1
.LBB248_176:
	s_and_not1_saveexec_b32 s0, s0
	s_cbranch_execz .LBB248_178
; %bb.177:
	v_lshlrev_b32_e32 v1, 2, v0
	v_readfirstlane_b32 s6, v16
	v_readfirstlane_b32 s7, v17
	ds_load_b32 v1, v1 offset:2048
	s_wait_dscnt 0x0
	global_store_b32 v0, v1, s[6:7] offset:2048 scale_offset
.LBB248_178:
	;; [unrolled: 47-line block ×12, first 2 shown]
	s_wait_xcnt 0x0
	s_or_b32 exec_lo, exec_lo, s0
	s_branch .LBB248_152
.LBB248_259:
	s_mov_b32 s0, exec_lo
	v_cmpx_gt_u32_e64 s5, v0
	s_cbranch_execz .LBB248_268
; %bb.260:
	s_mov_b32 s1, exec_lo
	v_cmpx_ge_u32_e64 v0, v6
	s_xor_b32 s1, exec_lo, s1
	s_cbranch_execz .LBB248_266
; %bb.261:
	v_mov_b32_e32 v1, 0
	s_mov_b32 s3, exec_lo
	v_cmpx_ge_u32_e64 v0, v18
	s_xor_b32 s3, exec_lo, s3
	s_cbranch_execz .LBB248_263
; %bb.262:
	v_lshlrev_b32_e32 v19, 2, v0
	v_add_nc_u64_e32 v[20:21], v[14:15], v[0:1]
	ds_load_b32 v1, v19
	v_lshlrev_b64_e32 v[20:21], 2, v[20:21]
	s_delay_alu instid0(VALU_DEP_1)
	v_sub_nc_u64_e32 v[20:21], s[14:15], v[20:21]
	s_wait_dscnt 0x0
	global_store_b32 v[20:21], v1, off offset:-4
.LBB248_263:
	s_wait_xcnt 0x0
	s_and_not1_saveexec_b32 s3, s3
	s_cbranch_execz .LBB248_265
; %bb.264:
	v_lshlrev_b32_e32 v1, 2, v0
	v_readfirstlane_b32 s6, v8
	v_readfirstlane_b32 s7, v9
	ds_load_b32 v1, v1
	s_wait_dscnt 0x0
	global_store_b32 v0, v1, s[6:7] scale_offset
.LBB248_265:
	s_wait_xcnt 0x0
	s_or_b32 exec_lo, exec_lo, s3
.LBB248_266:
	s_and_not1_saveexec_b32 s1, s1
	s_cbranch_execz .LBB248_268
; %bb.267:
	v_lshlrev_b32_e32 v1, 2, v0
	v_readfirstlane_b32 s6, v16
	v_readfirstlane_b32 s7, v17
	ds_load_b32 v1, v1
	s_wait_dscnt 0x0
	global_store_b32 v0, v1, s[6:7] scale_offset
.LBB248_268:
	s_wait_xcnt 0x0
	s_or_b32 exec_lo, exec_lo, s0
	v_or_b32_e32 v1, 0x100, v0
	s_mov_b32 s0, exec_lo
	s_delay_alu instid0(VALU_DEP_1)
	v_cmpx_gt_u32_e64 s5, v1
	s_cbranch_execz .LBB248_277
; %bb.269:
	s_mov_b32 s1, exec_lo
	v_cmpx_ge_u32_e64 v1, v6
	s_xor_b32 s1, exec_lo, s1
	s_cbranch_execz .LBB248_275
; %bb.270:
	s_mov_b32 s3, exec_lo
	v_cmpx_ge_u32_e64 v1, v18
	s_xor_b32 s3, exec_lo, s3
	s_cbranch_execz .LBB248_272
; %bb.271:
	v_dual_mov_b32 v1, 0 :: v_dual_lshlrev_b32 v19, 2, v0
	s_delay_alu instid0(VALU_DEP_1) | instskip(SKIP_2) | instid1(VALU_DEP_1)
	v_add_nc_u64_e32 v[20:21], v[14:15], v[0:1]
	ds_load_b32 v1, v19 offset:1024
	v_lshlrev_b64_e32 v[20:21], 2, v[20:21]
	v_sub_nc_u64_e32 v[20:21], s[14:15], v[20:21]
	s_wait_dscnt 0x0
	global_store_b32 v[20:21], v1, off offset:-1028
.LBB248_272:
	s_wait_xcnt 0x0
	s_and_not1_saveexec_b32 s3, s3
	s_cbranch_execz .LBB248_274
; %bb.273:
	v_lshlrev_b32_e32 v1, 2, v0
	v_readfirstlane_b32 s6, v8
	v_readfirstlane_b32 s7, v9
	ds_load_b32 v1, v1 offset:1024
	s_wait_dscnt 0x0
	global_store_b32 v0, v1, s[6:7] offset:1024 scale_offset
.LBB248_274:
	s_wait_xcnt 0x0
	s_or_b32 exec_lo, exec_lo, s3
.LBB248_275:
	s_and_not1_saveexec_b32 s1, s1
	s_cbranch_execz .LBB248_277
; %bb.276:
	v_lshlrev_b32_e32 v1, 2, v0
	v_readfirstlane_b32 s6, v16
	v_readfirstlane_b32 s7, v17
	ds_load_b32 v1, v1 offset:1024
	s_wait_dscnt 0x0
	global_store_b32 v0, v1, s[6:7] offset:1024 scale_offset
.LBB248_277:
	s_wait_xcnt 0x0
	s_or_b32 exec_lo, exec_lo, s0
	v_or_b32_e32 v1, 0x200, v0
	s_mov_b32 s0, exec_lo
	s_delay_alu instid0(VALU_DEP_1)
	v_cmpx_gt_u32_e64 s5, v1
	s_cbranch_execz .LBB248_286
; %bb.278:
	s_mov_b32 s1, exec_lo
	v_cmpx_ge_u32_e64 v1, v6
	s_xor_b32 s1, exec_lo, s1
	s_cbranch_execz .LBB248_284
; %bb.279:
	s_mov_b32 s3, exec_lo
	v_cmpx_ge_u32_e64 v1, v18
	s_xor_b32 s3, exec_lo, s3
	s_cbranch_execz .LBB248_281
; %bb.280:
	v_dual_mov_b32 v1, 0 :: v_dual_lshlrev_b32 v19, 2, v0
	s_delay_alu instid0(VALU_DEP_1) | instskip(SKIP_2) | instid1(VALU_DEP_1)
	v_add_nc_u64_e32 v[20:21], v[14:15], v[0:1]
	ds_load_b32 v1, v19 offset:2048
	v_lshlrev_b64_e32 v[20:21], 2, v[20:21]
	v_sub_nc_u64_e32 v[20:21], s[14:15], v[20:21]
	s_wait_dscnt 0x0
	global_store_b32 v[20:21], v1, off offset:-2052
.LBB248_281:
	s_wait_xcnt 0x0
	s_and_not1_saveexec_b32 s3, s3
	s_cbranch_execz .LBB248_283
; %bb.282:
	v_lshlrev_b32_e32 v1, 2, v0
	v_readfirstlane_b32 s6, v8
	v_readfirstlane_b32 s7, v9
	ds_load_b32 v1, v1 offset:2048
	s_wait_dscnt 0x0
	global_store_b32 v0, v1, s[6:7] offset:2048 scale_offset
.LBB248_283:
	s_wait_xcnt 0x0
	s_or_b32 exec_lo, exec_lo, s3
.LBB248_284:
	s_and_not1_saveexec_b32 s1, s1
	s_cbranch_execz .LBB248_286
; %bb.285:
	v_lshlrev_b32_e32 v1, 2, v0
	v_readfirstlane_b32 s6, v16
	v_readfirstlane_b32 s7, v17
	ds_load_b32 v1, v1 offset:2048
	s_wait_dscnt 0x0
	global_store_b32 v0, v1, s[6:7] offset:2048 scale_offset
.LBB248_286:
	;; [unrolled: 51-line block ×11, first 2 shown]
	s_wait_xcnt 0x0
	s_or_b32 exec_lo, exec_lo, s0
	v_or_b32_e32 v1, 0xc00, v0
	s_mov_b32 s0, exec_lo
	s_delay_alu instid0(VALU_DEP_1)
	v_cmpx_gt_u32_e64 s5, v1
	s_cbranch_execz .LBB248_376
; %bb.368:
	s_mov_b32 s1, exec_lo
	v_cmpx_ge_u32_e64 v1, v6
	s_xor_b32 s1, exec_lo, s1
	s_cbranch_execz .LBB248_374
; %bb.369:
	s_mov_b32 s3, exec_lo
	v_cmpx_ge_u32_e64 v1, v18
	s_xor_b32 s3, exec_lo, s3
	s_cbranch_execz .LBB248_371
; %bb.370:
	v_dual_mov_b32 v1, 0 :: v_dual_lshlrev_b32 v8, 2, v0
	s_delay_alu instid0(VALU_DEP_1) | instskip(SKIP_2) | instid1(VALU_DEP_1)
	v_add_nc_u64_e32 v[0:1], v[14:15], v[0:1]
	ds_load_b32 v8, v8 offset:12288
	v_lshlrev_b64_e32 v[0:1], 2, v[0:1]
	v_sub_nc_u64_e32 v[0:1], s[14:15], v[0:1]
	s_wait_dscnt 0x0
	global_store_b32 v[0:1], v8, off offset:-12292
                                        ; implicit-def: $vgpr0
                                        ; implicit-def: $vgpr8_vgpr9
.LBB248_371:
	s_wait_xcnt 0x0
	s_and_not1_saveexec_b32 s3, s3
	s_cbranch_execz .LBB248_373
; %bb.372:
	v_lshlrev_b32_e32 v1, 2, v0
	v_readfirstlane_b32 s4, v8
	v_readfirstlane_b32 s5, v9
	ds_load_b32 v1, v1 offset:12288
	s_wait_dscnt 0x0
	global_store_b32 v0, v1, s[4:5] offset:12288 scale_offset
.LBB248_373:
	s_wait_xcnt 0x0
	s_or_b32 exec_lo, exec_lo, s3
                                        ; implicit-def: $vgpr0
                                        ; implicit-def: $vgpr16_vgpr17
.LBB248_374:
	s_and_not1_saveexec_b32 s1, s1
	s_cbranch_execz .LBB248_376
; %bb.375:
	v_lshlrev_b32_e32 v1, 2, v0
	v_readfirstlane_b32 s4, v16
	v_readfirstlane_b32 s5, v17
	ds_load_b32 v1, v1 offset:12288
	s_wait_dscnt 0x0
	global_store_b32 v0, v1, s[4:5] offset:12288 scale_offset
.LBB248_376:
	s_wait_xcnt 0x0
	s_or_b32 exec_lo, exec_lo, s0
	s_and_b32 s0, s2, s26
	s_delay_alu instid0(SALU_CYCLE_1)
	s_and_saveexec_b32 s1, s0
	s_cbranch_execz .LBB248_153
.LBB248_377:
	v_add_nc_u64_e32 v[0:1], v[4:5], v[12:13]
	v_add_nc_u64_e32 v[2:3], v[2:3], v[6:7]
	s_delay_alu instid0(VALU_DEP_2)
	v_add_nc_u64_e32 v[4:5], v[0:1], v[10:11]
	v_mov_b32_e32 v0, 0
	global_store_b128 v0, v[2:5], s[24:25]
	s_sendmsg sendmsg(MSG_DEALLOC_VGPRS)
	s_endpgm
	.section	.rodata,"a",@progbits
	.p2align	6, 0x0
	.amdhsa_kernel _ZN7rocprim17ROCPRIM_400000_NS6detail17trampoline_kernelINS0_13select_configILj256ELj13ELNS0_17block_load_methodE3ELS4_3ELS4_3ELNS0_20block_scan_algorithmE0ELj4294967295EEENS1_25partition_config_selectorILNS1_17partition_subalgoE4EjNS0_10empty_typeEbEEZZNS1_14partition_implILS8_4ELb0ES6_15HIP_vector_typeIjLj2EENS0_17counting_iteratorIjlEEPS9_SG_NS0_5tupleIJPjSI_NS0_16reverse_iteratorISI_EEEEENSH_IJSG_SG_SG_EEES9_SI_JZNS1_25segmented_radix_sort_implINS0_14default_configELb1EPKaPaPKlPlN2at6native12_GLOBAL__N_18offset_tEEE10hipError_tPvRmT1_PNSt15iterator_traitsIS12_E10value_typeET2_T3_PNS13_IS18_E10value_typeET4_jRbjT5_S1E_jjP12ihipStream_tbEUljE_ZNSN_ISO_Lb1ESQ_SR_ST_SU_SY_EESZ_S10_S11_S12_S16_S17_S18_S1B_S1C_jS1D_jS1E_S1E_jjS1G_bEUljE0_EEESZ_S10_S11_S18_S1C_S1E_T6_T7_T9_mT8_S1G_bDpT10_ENKUlT_T0_E_clISt17integral_constantIbLb0EES1T_IbLb1EEEEDaS1P_S1Q_EUlS1P_E_NS1_11comp_targetILNS1_3genE0ELNS1_11target_archE4294967295ELNS1_3gpuE0ELNS1_3repE0EEENS1_30default_config_static_selectorELNS0_4arch9wavefront6targetE0EEEvS12_
		.amdhsa_group_segment_fixed_size 13328
		.amdhsa_private_segment_fixed_size 0
		.amdhsa_kernarg_size 184
		.amdhsa_user_sgpr_count 2
		.amdhsa_user_sgpr_dispatch_ptr 0
		.amdhsa_user_sgpr_queue_ptr 0
		.amdhsa_user_sgpr_kernarg_segment_ptr 1
		.amdhsa_user_sgpr_dispatch_id 0
		.amdhsa_user_sgpr_kernarg_preload_length 0
		.amdhsa_user_sgpr_kernarg_preload_offset 0
		.amdhsa_user_sgpr_private_segment_size 0
		.amdhsa_wavefront_size32 1
		.amdhsa_uses_dynamic_stack 0
		.amdhsa_enable_private_segment 0
		.amdhsa_system_sgpr_workgroup_id_x 1
		.amdhsa_system_sgpr_workgroup_id_y 0
		.amdhsa_system_sgpr_workgroup_id_z 0
		.amdhsa_system_sgpr_workgroup_info 0
		.amdhsa_system_vgpr_workitem_id 0
		.amdhsa_next_free_vgpr 86
		.amdhsa_next_free_sgpr 55
		.amdhsa_named_barrier_count 0
		.amdhsa_reserve_vcc 1
		.amdhsa_float_round_mode_32 0
		.amdhsa_float_round_mode_16_64 0
		.amdhsa_float_denorm_mode_32 3
		.amdhsa_float_denorm_mode_16_64 3
		.amdhsa_fp16_overflow 0
		.amdhsa_memory_ordered 1
		.amdhsa_forward_progress 1
		.amdhsa_inst_pref_size 140
		.amdhsa_round_robin_scheduling 0
		.amdhsa_exception_fp_ieee_invalid_op 0
		.amdhsa_exception_fp_denorm_src 0
		.amdhsa_exception_fp_ieee_div_zero 0
		.amdhsa_exception_fp_ieee_overflow 0
		.amdhsa_exception_fp_ieee_underflow 0
		.amdhsa_exception_fp_ieee_inexact 0
		.amdhsa_exception_int_div_zero 0
	.end_amdhsa_kernel
	.section	.text._ZN7rocprim17ROCPRIM_400000_NS6detail17trampoline_kernelINS0_13select_configILj256ELj13ELNS0_17block_load_methodE3ELS4_3ELS4_3ELNS0_20block_scan_algorithmE0ELj4294967295EEENS1_25partition_config_selectorILNS1_17partition_subalgoE4EjNS0_10empty_typeEbEEZZNS1_14partition_implILS8_4ELb0ES6_15HIP_vector_typeIjLj2EENS0_17counting_iteratorIjlEEPS9_SG_NS0_5tupleIJPjSI_NS0_16reverse_iteratorISI_EEEEENSH_IJSG_SG_SG_EEES9_SI_JZNS1_25segmented_radix_sort_implINS0_14default_configELb1EPKaPaPKlPlN2at6native12_GLOBAL__N_18offset_tEEE10hipError_tPvRmT1_PNSt15iterator_traitsIS12_E10value_typeET2_T3_PNS13_IS18_E10value_typeET4_jRbjT5_S1E_jjP12ihipStream_tbEUljE_ZNSN_ISO_Lb1ESQ_SR_ST_SU_SY_EESZ_S10_S11_S12_S16_S17_S18_S1B_S1C_jS1D_jS1E_S1E_jjS1G_bEUljE0_EEESZ_S10_S11_S18_S1C_S1E_T6_T7_T9_mT8_S1G_bDpT10_ENKUlT_T0_E_clISt17integral_constantIbLb0EES1T_IbLb1EEEEDaS1P_S1Q_EUlS1P_E_NS1_11comp_targetILNS1_3genE0ELNS1_11target_archE4294967295ELNS1_3gpuE0ELNS1_3repE0EEENS1_30default_config_static_selectorELNS0_4arch9wavefront6targetE0EEEvS12_,"axG",@progbits,_ZN7rocprim17ROCPRIM_400000_NS6detail17trampoline_kernelINS0_13select_configILj256ELj13ELNS0_17block_load_methodE3ELS4_3ELS4_3ELNS0_20block_scan_algorithmE0ELj4294967295EEENS1_25partition_config_selectorILNS1_17partition_subalgoE4EjNS0_10empty_typeEbEEZZNS1_14partition_implILS8_4ELb0ES6_15HIP_vector_typeIjLj2EENS0_17counting_iteratorIjlEEPS9_SG_NS0_5tupleIJPjSI_NS0_16reverse_iteratorISI_EEEEENSH_IJSG_SG_SG_EEES9_SI_JZNS1_25segmented_radix_sort_implINS0_14default_configELb1EPKaPaPKlPlN2at6native12_GLOBAL__N_18offset_tEEE10hipError_tPvRmT1_PNSt15iterator_traitsIS12_E10value_typeET2_T3_PNS13_IS18_E10value_typeET4_jRbjT5_S1E_jjP12ihipStream_tbEUljE_ZNSN_ISO_Lb1ESQ_SR_ST_SU_SY_EESZ_S10_S11_S12_S16_S17_S18_S1B_S1C_jS1D_jS1E_S1E_jjS1G_bEUljE0_EEESZ_S10_S11_S18_S1C_S1E_T6_T7_T9_mT8_S1G_bDpT10_ENKUlT_T0_E_clISt17integral_constantIbLb0EES1T_IbLb1EEEEDaS1P_S1Q_EUlS1P_E_NS1_11comp_targetILNS1_3genE0ELNS1_11target_archE4294967295ELNS1_3gpuE0ELNS1_3repE0EEENS1_30default_config_static_selectorELNS0_4arch9wavefront6targetE0EEEvS12_,comdat
.Lfunc_end248:
	.size	_ZN7rocprim17ROCPRIM_400000_NS6detail17trampoline_kernelINS0_13select_configILj256ELj13ELNS0_17block_load_methodE3ELS4_3ELS4_3ELNS0_20block_scan_algorithmE0ELj4294967295EEENS1_25partition_config_selectorILNS1_17partition_subalgoE4EjNS0_10empty_typeEbEEZZNS1_14partition_implILS8_4ELb0ES6_15HIP_vector_typeIjLj2EENS0_17counting_iteratorIjlEEPS9_SG_NS0_5tupleIJPjSI_NS0_16reverse_iteratorISI_EEEEENSH_IJSG_SG_SG_EEES9_SI_JZNS1_25segmented_radix_sort_implINS0_14default_configELb1EPKaPaPKlPlN2at6native12_GLOBAL__N_18offset_tEEE10hipError_tPvRmT1_PNSt15iterator_traitsIS12_E10value_typeET2_T3_PNS13_IS18_E10value_typeET4_jRbjT5_S1E_jjP12ihipStream_tbEUljE_ZNSN_ISO_Lb1ESQ_SR_ST_SU_SY_EESZ_S10_S11_S12_S16_S17_S18_S1B_S1C_jS1D_jS1E_S1E_jjS1G_bEUljE0_EEESZ_S10_S11_S18_S1C_S1E_T6_T7_T9_mT8_S1G_bDpT10_ENKUlT_T0_E_clISt17integral_constantIbLb0EES1T_IbLb1EEEEDaS1P_S1Q_EUlS1P_E_NS1_11comp_targetILNS1_3genE0ELNS1_11target_archE4294967295ELNS1_3gpuE0ELNS1_3repE0EEENS1_30default_config_static_selectorELNS0_4arch9wavefront6targetE0EEEvS12_, .Lfunc_end248-_ZN7rocprim17ROCPRIM_400000_NS6detail17trampoline_kernelINS0_13select_configILj256ELj13ELNS0_17block_load_methodE3ELS4_3ELS4_3ELNS0_20block_scan_algorithmE0ELj4294967295EEENS1_25partition_config_selectorILNS1_17partition_subalgoE4EjNS0_10empty_typeEbEEZZNS1_14partition_implILS8_4ELb0ES6_15HIP_vector_typeIjLj2EENS0_17counting_iteratorIjlEEPS9_SG_NS0_5tupleIJPjSI_NS0_16reverse_iteratorISI_EEEEENSH_IJSG_SG_SG_EEES9_SI_JZNS1_25segmented_radix_sort_implINS0_14default_configELb1EPKaPaPKlPlN2at6native12_GLOBAL__N_18offset_tEEE10hipError_tPvRmT1_PNSt15iterator_traitsIS12_E10value_typeET2_T3_PNS13_IS18_E10value_typeET4_jRbjT5_S1E_jjP12ihipStream_tbEUljE_ZNSN_ISO_Lb1ESQ_SR_ST_SU_SY_EESZ_S10_S11_S12_S16_S17_S18_S1B_S1C_jS1D_jS1E_S1E_jjS1G_bEUljE0_EEESZ_S10_S11_S18_S1C_S1E_T6_T7_T9_mT8_S1G_bDpT10_ENKUlT_T0_E_clISt17integral_constantIbLb0EES1T_IbLb1EEEEDaS1P_S1Q_EUlS1P_E_NS1_11comp_targetILNS1_3genE0ELNS1_11target_archE4294967295ELNS1_3gpuE0ELNS1_3repE0EEENS1_30default_config_static_selectorELNS0_4arch9wavefront6targetE0EEEvS12_
                                        ; -- End function
	.set _ZN7rocprim17ROCPRIM_400000_NS6detail17trampoline_kernelINS0_13select_configILj256ELj13ELNS0_17block_load_methodE3ELS4_3ELS4_3ELNS0_20block_scan_algorithmE0ELj4294967295EEENS1_25partition_config_selectorILNS1_17partition_subalgoE4EjNS0_10empty_typeEbEEZZNS1_14partition_implILS8_4ELb0ES6_15HIP_vector_typeIjLj2EENS0_17counting_iteratorIjlEEPS9_SG_NS0_5tupleIJPjSI_NS0_16reverse_iteratorISI_EEEEENSH_IJSG_SG_SG_EEES9_SI_JZNS1_25segmented_radix_sort_implINS0_14default_configELb1EPKaPaPKlPlN2at6native12_GLOBAL__N_18offset_tEEE10hipError_tPvRmT1_PNSt15iterator_traitsIS12_E10value_typeET2_T3_PNS13_IS18_E10value_typeET4_jRbjT5_S1E_jjP12ihipStream_tbEUljE_ZNSN_ISO_Lb1ESQ_SR_ST_SU_SY_EESZ_S10_S11_S12_S16_S17_S18_S1B_S1C_jS1D_jS1E_S1E_jjS1G_bEUljE0_EEESZ_S10_S11_S18_S1C_S1E_T6_T7_T9_mT8_S1G_bDpT10_ENKUlT_T0_E_clISt17integral_constantIbLb0EES1T_IbLb1EEEEDaS1P_S1Q_EUlS1P_E_NS1_11comp_targetILNS1_3genE0ELNS1_11target_archE4294967295ELNS1_3gpuE0ELNS1_3repE0EEENS1_30default_config_static_selectorELNS0_4arch9wavefront6targetE0EEEvS12_.num_vgpr, 86
	.set _ZN7rocprim17ROCPRIM_400000_NS6detail17trampoline_kernelINS0_13select_configILj256ELj13ELNS0_17block_load_methodE3ELS4_3ELS4_3ELNS0_20block_scan_algorithmE0ELj4294967295EEENS1_25partition_config_selectorILNS1_17partition_subalgoE4EjNS0_10empty_typeEbEEZZNS1_14partition_implILS8_4ELb0ES6_15HIP_vector_typeIjLj2EENS0_17counting_iteratorIjlEEPS9_SG_NS0_5tupleIJPjSI_NS0_16reverse_iteratorISI_EEEEENSH_IJSG_SG_SG_EEES9_SI_JZNS1_25segmented_radix_sort_implINS0_14default_configELb1EPKaPaPKlPlN2at6native12_GLOBAL__N_18offset_tEEE10hipError_tPvRmT1_PNSt15iterator_traitsIS12_E10value_typeET2_T3_PNS13_IS18_E10value_typeET4_jRbjT5_S1E_jjP12ihipStream_tbEUljE_ZNSN_ISO_Lb1ESQ_SR_ST_SU_SY_EESZ_S10_S11_S12_S16_S17_S18_S1B_S1C_jS1D_jS1E_S1E_jjS1G_bEUljE0_EEESZ_S10_S11_S18_S1C_S1E_T6_T7_T9_mT8_S1G_bDpT10_ENKUlT_T0_E_clISt17integral_constantIbLb0EES1T_IbLb1EEEEDaS1P_S1Q_EUlS1P_E_NS1_11comp_targetILNS1_3genE0ELNS1_11target_archE4294967295ELNS1_3gpuE0ELNS1_3repE0EEENS1_30default_config_static_selectorELNS0_4arch9wavefront6targetE0EEEvS12_.num_agpr, 0
	.set _ZN7rocprim17ROCPRIM_400000_NS6detail17trampoline_kernelINS0_13select_configILj256ELj13ELNS0_17block_load_methodE3ELS4_3ELS4_3ELNS0_20block_scan_algorithmE0ELj4294967295EEENS1_25partition_config_selectorILNS1_17partition_subalgoE4EjNS0_10empty_typeEbEEZZNS1_14partition_implILS8_4ELb0ES6_15HIP_vector_typeIjLj2EENS0_17counting_iteratorIjlEEPS9_SG_NS0_5tupleIJPjSI_NS0_16reverse_iteratorISI_EEEEENSH_IJSG_SG_SG_EEES9_SI_JZNS1_25segmented_radix_sort_implINS0_14default_configELb1EPKaPaPKlPlN2at6native12_GLOBAL__N_18offset_tEEE10hipError_tPvRmT1_PNSt15iterator_traitsIS12_E10value_typeET2_T3_PNS13_IS18_E10value_typeET4_jRbjT5_S1E_jjP12ihipStream_tbEUljE_ZNSN_ISO_Lb1ESQ_SR_ST_SU_SY_EESZ_S10_S11_S12_S16_S17_S18_S1B_S1C_jS1D_jS1E_S1E_jjS1G_bEUljE0_EEESZ_S10_S11_S18_S1C_S1E_T6_T7_T9_mT8_S1G_bDpT10_ENKUlT_T0_E_clISt17integral_constantIbLb0EES1T_IbLb1EEEEDaS1P_S1Q_EUlS1P_E_NS1_11comp_targetILNS1_3genE0ELNS1_11target_archE4294967295ELNS1_3gpuE0ELNS1_3repE0EEENS1_30default_config_static_selectorELNS0_4arch9wavefront6targetE0EEEvS12_.numbered_sgpr, 55
	.set _ZN7rocprim17ROCPRIM_400000_NS6detail17trampoline_kernelINS0_13select_configILj256ELj13ELNS0_17block_load_methodE3ELS4_3ELS4_3ELNS0_20block_scan_algorithmE0ELj4294967295EEENS1_25partition_config_selectorILNS1_17partition_subalgoE4EjNS0_10empty_typeEbEEZZNS1_14partition_implILS8_4ELb0ES6_15HIP_vector_typeIjLj2EENS0_17counting_iteratorIjlEEPS9_SG_NS0_5tupleIJPjSI_NS0_16reverse_iteratorISI_EEEEENSH_IJSG_SG_SG_EEES9_SI_JZNS1_25segmented_radix_sort_implINS0_14default_configELb1EPKaPaPKlPlN2at6native12_GLOBAL__N_18offset_tEEE10hipError_tPvRmT1_PNSt15iterator_traitsIS12_E10value_typeET2_T3_PNS13_IS18_E10value_typeET4_jRbjT5_S1E_jjP12ihipStream_tbEUljE_ZNSN_ISO_Lb1ESQ_SR_ST_SU_SY_EESZ_S10_S11_S12_S16_S17_S18_S1B_S1C_jS1D_jS1E_S1E_jjS1G_bEUljE0_EEESZ_S10_S11_S18_S1C_S1E_T6_T7_T9_mT8_S1G_bDpT10_ENKUlT_T0_E_clISt17integral_constantIbLb0EES1T_IbLb1EEEEDaS1P_S1Q_EUlS1P_E_NS1_11comp_targetILNS1_3genE0ELNS1_11target_archE4294967295ELNS1_3gpuE0ELNS1_3repE0EEENS1_30default_config_static_selectorELNS0_4arch9wavefront6targetE0EEEvS12_.num_named_barrier, 0
	.set _ZN7rocprim17ROCPRIM_400000_NS6detail17trampoline_kernelINS0_13select_configILj256ELj13ELNS0_17block_load_methodE3ELS4_3ELS4_3ELNS0_20block_scan_algorithmE0ELj4294967295EEENS1_25partition_config_selectorILNS1_17partition_subalgoE4EjNS0_10empty_typeEbEEZZNS1_14partition_implILS8_4ELb0ES6_15HIP_vector_typeIjLj2EENS0_17counting_iteratorIjlEEPS9_SG_NS0_5tupleIJPjSI_NS0_16reverse_iteratorISI_EEEEENSH_IJSG_SG_SG_EEES9_SI_JZNS1_25segmented_radix_sort_implINS0_14default_configELb1EPKaPaPKlPlN2at6native12_GLOBAL__N_18offset_tEEE10hipError_tPvRmT1_PNSt15iterator_traitsIS12_E10value_typeET2_T3_PNS13_IS18_E10value_typeET4_jRbjT5_S1E_jjP12ihipStream_tbEUljE_ZNSN_ISO_Lb1ESQ_SR_ST_SU_SY_EESZ_S10_S11_S12_S16_S17_S18_S1B_S1C_jS1D_jS1E_S1E_jjS1G_bEUljE0_EEESZ_S10_S11_S18_S1C_S1E_T6_T7_T9_mT8_S1G_bDpT10_ENKUlT_T0_E_clISt17integral_constantIbLb0EES1T_IbLb1EEEEDaS1P_S1Q_EUlS1P_E_NS1_11comp_targetILNS1_3genE0ELNS1_11target_archE4294967295ELNS1_3gpuE0ELNS1_3repE0EEENS1_30default_config_static_selectorELNS0_4arch9wavefront6targetE0EEEvS12_.private_seg_size, 0
	.set _ZN7rocprim17ROCPRIM_400000_NS6detail17trampoline_kernelINS0_13select_configILj256ELj13ELNS0_17block_load_methodE3ELS4_3ELS4_3ELNS0_20block_scan_algorithmE0ELj4294967295EEENS1_25partition_config_selectorILNS1_17partition_subalgoE4EjNS0_10empty_typeEbEEZZNS1_14partition_implILS8_4ELb0ES6_15HIP_vector_typeIjLj2EENS0_17counting_iteratorIjlEEPS9_SG_NS0_5tupleIJPjSI_NS0_16reverse_iteratorISI_EEEEENSH_IJSG_SG_SG_EEES9_SI_JZNS1_25segmented_radix_sort_implINS0_14default_configELb1EPKaPaPKlPlN2at6native12_GLOBAL__N_18offset_tEEE10hipError_tPvRmT1_PNSt15iterator_traitsIS12_E10value_typeET2_T3_PNS13_IS18_E10value_typeET4_jRbjT5_S1E_jjP12ihipStream_tbEUljE_ZNSN_ISO_Lb1ESQ_SR_ST_SU_SY_EESZ_S10_S11_S12_S16_S17_S18_S1B_S1C_jS1D_jS1E_S1E_jjS1G_bEUljE0_EEESZ_S10_S11_S18_S1C_S1E_T6_T7_T9_mT8_S1G_bDpT10_ENKUlT_T0_E_clISt17integral_constantIbLb0EES1T_IbLb1EEEEDaS1P_S1Q_EUlS1P_E_NS1_11comp_targetILNS1_3genE0ELNS1_11target_archE4294967295ELNS1_3gpuE0ELNS1_3repE0EEENS1_30default_config_static_selectorELNS0_4arch9wavefront6targetE0EEEvS12_.uses_vcc, 1
	.set _ZN7rocprim17ROCPRIM_400000_NS6detail17trampoline_kernelINS0_13select_configILj256ELj13ELNS0_17block_load_methodE3ELS4_3ELS4_3ELNS0_20block_scan_algorithmE0ELj4294967295EEENS1_25partition_config_selectorILNS1_17partition_subalgoE4EjNS0_10empty_typeEbEEZZNS1_14partition_implILS8_4ELb0ES6_15HIP_vector_typeIjLj2EENS0_17counting_iteratorIjlEEPS9_SG_NS0_5tupleIJPjSI_NS0_16reverse_iteratorISI_EEEEENSH_IJSG_SG_SG_EEES9_SI_JZNS1_25segmented_radix_sort_implINS0_14default_configELb1EPKaPaPKlPlN2at6native12_GLOBAL__N_18offset_tEEE10hipError_tPvRmT1_PNSt15iterator_traitsIS12_E10value_typeET2_T3_PNS13_IS18_E10value_typeET4_jRbjT5_S1E_jjP12ihipStream_tbEUljE_ZNSN_ISO_Lb1ESQ_SR_ST_SU_SY_EESZ_S10_S11_S12_S16_S17_S18_S1B_S1C_jS1D_jS1E_S1E_jjS1G_bEUljE0_EEESZ_S10_S11_S18_S1C_S1E_T6_T7_T9_mT8_S1G_bDpT10_ENKUlT_T0_E_clISt17integral_constantIbLb0EES1T_IbLb1EEEEDaS1P_S1Q_EUlS1P_E_NS1_11comp_targetILNS1_3genE0ELNS1_11target_archE4294967295ELNS1_3gpuE0ELNS1_3repE0EEENS1_30default_config_static_selectorELNS0_4arch9wavefront6targetE0EEEvS12_.uses_flat_scratch, 0
	.set _ZN7rocprim17ROCPRIM_400000_NS6detail17trampoline_kernelINS0_13select_configILj256ELj13ELNS0_17block_load_methodE3ELS4_3ELS4_3ELNS0_20block_scan_algorithmE0ELj4294967295EEENS1_25partition_config_selectorILNS1_17partition_subalgoE4EjNS0_10empty_typeEbEEZZNS1_14partition_implILS8_4ELb0ES6_15HIP_vector_typeIjLj2EENS0_17counting_iteratorIjlEEPS9_SG_NS0_5tupleIJPjSI_NS0_16reverse_iteratorISI_EEEEENSH_IJSG_SG_SG_EEES9_SI_JZNS1_25segmented_radix_sort_implINS0_14default_configELb1EPKaPaPKlPlN2at6native12_GLOBAL__N_18offset_tEEE10hipError_tPvRmT1_PNSt15iterator_traitsIS12_E10value_typeET2_T3_PNS13_IS18_E10value_typeET4_jRbjT5_S1E_jjP12ihipStream_tbEUljE_ZNSN_ISO_Lb1ESQ_SR_ST_SU_SY_EESZ_S10_S11_S12_S16_S17_S18_S1B_S1C_jS1D_jS1E_S1E_jjS1G_bEUljE0_EEESZ_S10_S11_S18_S1C_S1E_T6_T7_T9_mT8_S1G_bDpT10_ENKUlT_T0_E_clISt17integral_constantIbLb0EES1T_IbLb1EEEEDaS1P_S1Q_EUlS1P_E_NS1_11comp_targetILNS1_3genE0ELNS1_11target_archE4294967295ELNS1_3gpuE0ELNS1_3repE0EEENS1_30default_config_static_selectorELNS0_4arch9wavefront6targetE0EEEvS12_.has_dyn_sized_stack, 0
	.set _ZN7rocprim17ROCPRIM_400000_NS6detail17trampoline_kernelINS0_13select_configILj256ELj13ELNS0_17block_load_methodE3ELS4_3ELS4_3ELNS0_20block_scan_algorithmE0ELj4294967295EEENS1_25partition_config_selectorILNS1_17partition_subalgoE4EjNS0_10empty_typeEbEEZZNS1_14partition_implILS8_4ELb0ES6_15HIP_vector_typeIjLj2EENS0_17counting_iteratorIjlEEPS9_SG_NS0_5tupleIJPjSI_NS0_16reverse_iteratorISI_EEEEENSH_IJSG_SG_SG_EEES9_SI_JZNS1_25segmented_radix_sort_implINS0_14default_configELb1EPKaPaPKlPlN2at6native12_GLOBAL__N_18offset_tEEE10hipError_tPvRmT1_PNSt15iterator_traitsIS12_E10value_typeET2_T3_PNS13_IS18_E10value_typeET4_jRbjT5_S1E_jjP12ihipStream_tbEUljE_ZNSN_ISO_Lb1ESQ_SR_ST_SU_SY_EESZ_S10_S11_S12_S16_S17_S18_S1B_S1C_jS1D_jS1E_S1E_jjS1G_bEUljE0_EEESZ_S10_S11_S18_S1C_S1E_T6_T7_T9_mT8_S1G_bDpT10_ENKUlT_T0_E_clISt17integral_constantIbLb0EES1T_IbLb1EEEEDaS1P_S1Q_EUlS1P_E_NS1_11comp_targetILNS1_3genE0ELNS1_11target_archE4294967295ELNS1_3gpuE0ELNS1_3repE0EEENS1_30default_config_static_selectorELNS0_4arch9wavefront6targetE0EEEvS12_.has_recursion, 0
	.set _ZN7rocprim17ROCPRIM_400000_NS6detail17trampoline_kernelINS0_13select_configILj256ELj13ELNS0_17block_load_methodE3ELS4_3ELS4_3ELNS0_20block_scan_algorithmE0ELj4294967295EEENS1_25partition_config_selectorILNS1_17partition_subalgoE4EjNS0_10empty_typeEbEEZZNS1_14partition_implILS8_4ELb0ES6_15HIP_vector_typeIjLj2EENS0_17counting_iteratorIjlEEPS9_SG_NS0_5tupleIJPjSI_NS0_16reverse_iteratorISI_EEEEENSH_IJSG_SG_SG_EEES9_SI_JZNS1_25segmented_radix_sort_implINS0_14default_configELb1EPKaPaPKlPlN2at6native12_GLOBAL__N_18offset_tEEE10hipError_tPvRmT1_PNSt15iterator_traitsIS12_E10value_typeET2_T3_PNS13_IS18_E10value_typeET4_jRbjT5_S1E_jjP12ihipStream_tbEUljE_ZNSN_ISO_Lb1ESQ_SR_ST_SU_SY_EESZ_S10_S11_S12_S16_S17_S18_S1B_S1C_jS1D_jS1E_S1E_jjS1G_bEUljE0_EEESZ_S10_S11_S18_S1C_S1E_T6_T7_T9_mT8_S1G_bDpT10_ENKUlT_T0_E_clISt17integral_constantIbLb0EES1T_IbLb1EEEEDaS1P_S1Q_EUlS1P_E_NS1_11comp_targetILNS1_3genE0ELNS1_11target_archE4294967295ELNS1_3gpuE0ELNS1_3repE0EEENS1_30default_config_static_selectorELNS0_4arch9wavefront6targetE0EEEvS12_.has_indirect_call, 0
	.section	.AMDGPU.csdata,"",@progbits
; Kernel info:
; codeLenInByte = 17828
; TotalNumSgprs: 57
; NumVgprs: 86
; ScratchSize: 0
; MemoryBound: 0
; FloatMode: 240
; IeeeMode: 1
; LDSByteSize: 13328 bytes/workgroup (compile time only)
; SGPRBlocks: 0
; VGPRBlocks: 5
; NumSGPRsForWavesPerEU: 57
; NumVGPRsForWavesPerEU: 86
; NamedBarCnt: 0
; Occupancy: 10
; WaveLimiterHint : 1
; COMPUTE_PGM_RSRC2:SCRATCH_EN: 0
; COMPUTE_PGM_RSRC2:USER_SGPR: 2
; COMPUTE_PGM_RSRC2:TRAP_HANDLER: 0
; COMPUTE_PGM_RSRC2:TGID_X_EN: 1
; COMPUTE_PGM_RSRC2:TGID_Y_EN: 0
; COMPUTE_PGM_RSRC2:TGID_Z_EN: 0
; COMPUTE_PGM_RSRC2:TIDIG_COMP_CNT: 0
	.section	.text._ZN7rocprim17ROCPRIM_400000_NS6detail17trampoline_kernelINS0_13select_configILj256ELj13ELNS0_17block_load_methodE3ELS4_3ELS4_3ELNS0_20block_scan_algorithmE0ELj4294967295EEENS1_25partition_config_selectorILNS1_17partition_subalgoE4EjNS0_10empty_typeEbEEZZNS1_14partition_implILS8_4ELb0ES6_15HIP_vector_typeIjLj2EENS0_17counting_iteratorIjlEEPS9_SG_NS0_5tupleIJPjSI_NS0_16reverse_iteratorISI_EEEEENSH_IJSG_SG_SG_EEES9_SI_JZNS1_25segmented_radix_sort_implINS0_14default_configELb1EPKaPaPKlPlN2at6native12_GLOBAL__N_18offset_tEEE10hipError_tPvRmT1_PNSt15iterator_traitsIS12_E10value_typeET2_T3_PNS13_IS18_E10value_typeET4_jRbjT5_S1E_jjP12ihipStream_tbEUljE_ZNSN_ISO_Lb1ESQ_SR_ST_SU_SY_EESZ_S10_S11_S12_S16_S17_S18_S1B_S1C_jS1D_jS1E_S1E_jjS1G_bEUljE0_EEESZ_S10_S11_S18_S1C_S1E_T6_T7_T9_mT8_S1G_bDpT10_ENKUlT_T0_E_clISt17integral_constantIbLb0EES1T_IbLb1EEEEDaS1P_S1Q_EUlS1P_E_NS1_11comp_targetILNS1_3genE5ELNS1_11target_archE942ELNS1_3gpuE9ELNS1_3repE0EEENS1_30default_config_static_selectorELNS0_4arch9wavefront6targetE0EEEvS12_,"axG",@progbits,_ZN7rocprim17ROCPRIM_400000_NS6detail17trampoline_kernelINS0_13select_configILj256ELj13ELNS0_17block_load_methodE3ELS4_3ELS4_3ELNS0_20block_scan_algorithmE0ELj4294967295EEENS1_25partition_config_selectorILNS1_17partition_subalgoE4EjNS0_10empty_typeEbEEZZNS1_14partition_implILS8_4ELb0ES6_15HIP_vector_typeIjLj2EENS0_17counting_iteratorIjlEEPS9_SG_NS0_5tupleIJPjSI_NS0_16reverse_iteratorISI_EEEEENSH_IJSG_SG_SG_EEES9_SI_JZNS1_25segmented_radix_sort_implINS0_14default_configELb1EPKaPaPKlPlN2at6native12_GLOBAL__N_18offset_tEEE10hipError_tPvRmT1_PNSt15iterator_traitsIS12_E10value_typeET2_T3_PNS13_IS18_E10value_typeET4_jRbjT5_S1E_jjP12ihipStream_tbEUljE_ZNSN_ISO_Lb1ESQ_SR_ST_SU_SY_EESZ_S10_S11_S12_S16_S17_S18_S1B_S1C_jS1D_jS1E_S1E_jjS1G_bEUljE0_EEESZ_S10_S11_S18_S1C_S1E_T6_T7_T9_mT8_S1G_bDpT10_ENKUlT_T0_E_clISt17integral_constantIbLb0EES1T_IbLb1EEEEDaS1P_S1Q_EUlS1P_E_NS1_11comp_targetILNS1_3genE5ELNS1_11target_archE942ELNS1_3gpuE9ELNS1_3repE0EEENS1_30default_config_static_selectorELNS0_4arch9wavefront6targetE0EEEvS12_,comdat
	.globl	_ZN7rocprim17ROCPRIM_400000_NS6detail17trampoline_kernelINS0_13select_configILj256ELj13ELNS0_17block_load_methodE3ELS4_3ELS4_3ELNS0_20block_scan_algorithmE0ELj4294967295EEENS1_25partition_config_selectorILNS1_17partition_subalgoE4EjNS0_10empty_typeEbEEZZNS1_14partition_implILS8_4ELb0ES6_15HIP_vector_typeIjLj2EENS0_17counting_iteratorIjlEEPS9_SG_NS0_5tupleIJPjSI_NS0_16reverse_iteratorISI_EEEEENSH_IJSG_SG_SG_EEES9_SI_JZNS1_25segmented_radix_sort_implINS0_14default_configELb1EPKaPaPKlPlN2at6native12_GLOBAL__N_18offset_tEEE10hipError_tPvRmT1_PNSt15iterator_traitsIS12_E10value_typeET2_T3_PNS13_IS18_E10value_typeET4_jRbjT5_S1E_jjP12ihipStream_tbEUljE_ZNSN_ISO_Lb1ESQ_SR_ST_SU_SY_EESZ_S10_S11_S12_S16_S17_S18_S1B_S1C_jS1D_jS1E_S1E_jjS1G_bEUljE0_EEESZ_S10_S11_S18_S1C_S1E_T6_T7_T9_mT8_S1G_bDpT10_ENKUlT_T0_E_clISt17integral_constantIbLb0EES1T_IbLb1EEEEDaS1P_S1Q_EUlS1P_E_NS1_11comp_targetILNS1_3genE5ELNS1_11target_archE942ELNS1_3gpuE9ELNS1_3repE0EEENS1_30default_config_static_selectorELNS0_4arch9wavefront6targetE0EEEvS12_ ; -- Begin function _ZN7rocprim17ROCPRIM_400000_NS6detail17trampoline_kernelINS0_13select_configILj256ELj13ELNS0_17block_load_methodE3ELS4_3ELS4_3ELNS0_20block_scan_algorithmE0ELj4294967295EEENS1_25partition_config_selectorILNS1_17partition_subalgoE4EjNS0_10empty_typeEbEEZZNS1_14partition_implILS8_4ELb0ES6_15HIP_vector_typeIjLj2EENS0_17counting_iteratorIjlEEPS9_SG_NS0_5tupleIJPjSI_NS0_16reverse_iteratorISI_EEEEENSH_IJSG_SG_SG_EEES9_SI_JZNS1_25segmented_radix_sort_implINS0_14default_configELb1EPKaPaPKlPlN2at6native12_GLOBAL__N_18offset_tEEE10hipError_tPvRmT1_PNSt15iterator_traitsIS12_E10value_typeET2_T3_PNS13_IS18_E10value_typeET4_jRbjT5_S1E_jjP12ihipStream_tbEUljE_ZNSN_ISO_Lb1ESQ_SR_ST_SU_SY_EESZ_S10_S11_S12_S16_S17_S18_S1B_S1C_jS1D_jS1E_S1E_jjS1G_bEUljE0_EEESZ_S10_S11_S18_S1C_S1E_T6_T7_T9_mT8_S1G_bDpT10_ENKUlT_T0_E_clISt17integral_constantIbLb0EES1T_IbLb1EEEEDaS1P_S1Q_EUlS1P_E_NS1_11comp_targetILNS1_3genE5ELNS1_11target_archE942ELNS1_3gpuE9ELNS1_3repE0EEENS1_30default_config_static_selectorELNS0_4arch9wavefront6targetE0EEEvS12_
	.p2align	8
	.type	_ZN7rocprim17ROCPRIM_400000_NS6detail17trampoline_kernelINS0_13select_configILj256ELj13ELNS0_17block_load_methodE3ELS4_3ELS4_3ELNS0_20block_scan_algorithmE0ELj4294967295EEENS1_25partition_config_selectorILNS1_17partition_subalgoE4EjNS0_10empty_typeEbEEZZNS1_14partition_implILS8_4ELb0ES6_15HIP_vector_typeIjLj2EENS0_17counting_iteratorIjlEEPS9_SG_NS0_5tupleIJPjSI_NS0_16reverse_iteratorISI_EEEEENSH_IJSG_SG_SG_EEES9_SI_JZNS1_25segmented_radix_sort_implINS0_14default_configELb1EPKaPaPKlPlN2at6native12_GLOBAL__N_18offset_tEEE10hipError_tPvRmT1_PNSt15iterator_traitsIS12_E10value_typeET2_T3_PNS13_IS18_E10value_typeET4_jRbjT5_S1E_jjP12ihipStream_tbEUljE_ZNSN_ISO_Lb1ESQ_SR_ST_SU_SY_EESZ_S10_S11_S12_S16_S17_S18_S1B_S1C_jS1D_jS1E_S1E_jjS1G_bEUljE0_EEESZ_S10_S11_S18_S1C_S1E_T6_T7_T9_mT8_S1G_bDpT10_ENKUlT_T0_E_clISt17integral_constantIbLb0EES1T_IbLb1EEEEDaS1P_S1Q_EUlS1P_E_NS1_11comp_targetILNS1_3genE5ELNS1_11target_archE942ELNS1_3gpuE9ELNS1_3repE0EEENS1_30default_config_static_selectorELNS0_4arch9wavefront6targetE0EEEvS12_,@function
_ZN7rocprim17ROCPRIM_400000_NS6detail17trampoline_kernelINS0_13select_configILj256ELj13ELNS0_17block_load_methodE3ELS4_3ELS4_3ELNS0_20block_scan_algorithmE0ELj4294967295EEENS1_25partition_config_selectorILNS1_17partition_subalgoE4EjNS0_10empty_typeEbEEZZNS1_14partition_implILS8_4ELb0ES6_15HIP_vector_typeIjLj2EENS0_17counting_iteratorIjlEEPS9_SG_NS0_5tupleIJPjSI_NS0_16reverse_iteratorISI_EEEEENSH_IJSG_SG_SG_EEES9_SI_JZNS1_25segmented_radix_sort_implINS0_14default_configELb1EPKaPaPKlPlN2at6native12_GLOBAL__N_18offset_tEEE10hipError_tPvRmT1_PNSt15iterator_traitsIS12_E10value_typeET2_T3_PNS13_IS18_E10value_typeET4_jRbjT5_S1E_jjP12ihipStream_tbEUljE_ZNSN_ISO_Lb1ESQ_SR_ST_SU_SY_EESZ_S10_S11_S12_S16_S17_S18_S1B_S1C_jS1D_jS1E_S1E_jjS1G_bEUljE0_EEESZ_S10_S11_S18_S1C_S1E_T6_T7_T9_mT8_S1G_bDpT10_ENKUlT_T0_E_clISt17integral_constantIbLb0EES1T_IbLb1EEEEDaS1P_S1Q_EUlS1P_E_NS1_11comp_targetILNS1_3genE5ELNS1_11target_archE942ELNS1_3gpuE9ELNS1_3repE0EEENS1_30default_config_static_selectorELNS0_4arch9wavefront6targetE0EEEvS12_: ; @_ZN7rocprim17ROCPRIM_400000_NS6detail17trampoline_kernelINS0_13select_configILj256ELj13ELNS0_17block_load_methodE3ELS4_3ELS4_3ELNS0_20block_scan_algorithmE0ELj4294967295EEENS1_25partition_config_selectorILNS1_17partition_subalgoE4EjNS0_10empty_typeEbEEZZNS1_14partition_implILS8_4ELb0ES6_15HIP_vector_typeIjLj2EENS0_17counting_iteratorIjlEEPS9_SG_NS0_5tupleIJPjSI_NS0_16reverse_iteratorISI_EEEEENSH_IJSG_SG_SG_EEES9_SI_JZNS1_25segmented_radix_sort_implINS0_14default_configELb1EPKaPaPKlPlN2at6native12_GLOBAL__N_18offset_tEEE10hipError_tPvRmT1_PNSt15iterator_traitsIS12_E10value_typeET2_T3_PNS13_IS18_E10value_typeET4_jRbjT5_S1E_jjP12ihipStream_tbEUljE_ZNSN_ISO_Lb1ESQ_SR_ST_SU_SY_EESZ_S10_S11_S12_S16_S17_S18_S1B_S1C_jS1D_jS1E_S1E_jjS1G_bEUljE0_EEESZ_S10_S11_S18_S1C_S1E_T6_T7_T9_mT8_S1G_bDpT10_ENKUlT_T0_E_clISt17integral_constantIbLb0EES1T_IbLb1EEEEDaS1P_S1Q_EUlS1P_E_NS1_11comp_targetILNS1_3genE5ELNS1_11target_archE942ELNS1_3gpuE9ELNS1_3repE0EEENS1_30default_config_static_selectorELNS0_4arch9wavefront6targetE0EEEvS12_
; %bb.0:
	.section	.rodata,"a",@progbits
	.p2align	6, 0x0
	.amdhsa_kernel _ZN7rocprim17ROCPRIM_400000_NS6detail17trampoline_kernelINS0_13select_configILj256ELj13ELNS0_17block_load_methodE3ELS4_3ELS4_3ELNS0_20block_scan_algorithmE0ELj4294967295EEENS1_25partition_config_selectorILNS1_17partition_subalgoE4EjNS0_10empty_typeEbEEZZNS1_14partition_implILS8_4ELb0ES6_15HIP_vector_typeIjLj2EENS0_17counting_iteratorIjlEEPS9_SG_NS0_5tupleIJPjSI_NS0_16reverse_iteratorISI_EEEEENSH_IJSG_SG_SG_EEES9_SI_JZNS1_25segmented_radix_sort_implINS0_14default_configELb1EPKaPaPKlPlN2at6native12_GLOBAL__N_18offset_tEEE10hipError_tPvRmT1_PNSt15iterator_traitsIS12_E10value_typeET2_T3_PNS13_IS18_E10value_typeET4_jRbjT5_S1E_jjP12ihipStream_tbEUljE_ZNSN_ISO_Lb1ESQ_SR_ST_SU_SY_EESZ_S10_S11_S12_S16_S17_S18_S1B_S1C_jS1D_jS1E_S1E_jjS1G_bEUljE0_EEESZ_S10_S11_S18_S1C_S1E_T6_T7_T9_mT8_S1G_bDpT10_ENKUlT_T0_E_clISt17integral_constantIbLb0EES1T_IbLb1EEEEDaS1P_S1Q_EUlS1P_E_NS1_11comp_targetILNS1_3genE5ELNS1_11target_archE942ELNS1_3gpuE9ELNS1_3repE0EEENS1_30default_config_static_selectorELNS0_4arch9wavefront6targetE0EEEvS12_
		.amdhsa_group_segment_fixed_size 0
		.amdhsa_private_segment_fixed_size 0
		.amdhsa_kernarg_size 184
		.amdhsa_user_sgpr_count 2
		.amdhsa_user_sgpr_dispatch_ptr 0
		.amdhsa_user_sgpr_queue_ptr 0
		.amdhsa_user_sgpr_kernarg_segment_ptr 1
		.amdhsa_user_sgpr_dispatch_id 0
		.amdhsa_user_sgpr_kernarg_preload_length 0
		.amdhsa_user_sgpr_kernarg_preload_offset 0
		.amdhsa_user_sgpr_private_segment_size 0
		.amdhsa_wavefront_size32 1
		.amdhsa_uses_dynamic_stack 0
		.amdhsa_enable_private_segment 0
		.amdhsa_system_sgpr_workgroup_id_x 1
		.amdhsa_system_sgpr_workgroup_id_y 0
		.amdhsa_system_sgpr_workgroup_id_z 0
		.amdhsa_system_sgpr_workgroup_info 0
		.amdhsa_system_vgpr_workitem_id 0
		.amdhsa_next_free_vgpr 1
		.amdhsa_next_free_sgpr 1
		.amdhsa_named_barrier_count 0
		.amdhsa_reserve_vcc 0
		.amdhsa_float_round_mode_32 0
		.amdhsa_float_round_mode_16_64 0
		.amdhsa_float_denorm_mode_32 3
		.amdhsa_float_denorm_mode_16_64 3
		.amdhsa_fp16_overflow 0
		.amdhsa_memory_ordered 1
		.amdhsa_forward_progress 1
		.amdhsa_inst_pref_size 0
		.amdhsa_round_robin_scheduling 0
		.amdhsa_exception_fp_ieee_invalid_op 0
		.amdhsa_exception_fp_denorm_src 0
		.amdhsa_exception_fp_ieee_div_zero 0
		.amdhsa_exception_fp_ieee_overflow 0
		.amdhsa_exception_fp_ieee_underflow 0
		.amdhsa_exception_fp_ieee_inexact 0
		.amdhsa_exception_int_div_zero 0
	.end_amdhsa_kernel
	.section	.text._ZN7rocprim17ROCPRIM_400000_NS6detail17trampoline_kernelINS0_13select_configILj256ELj13ELNS0_17block_load_methodE3ELS4_3ELS4_3ELNS0_20block_scan_algorithmE0ELj4294967295EEENS1_25partition_config_selectorILNS1_17partition_subalgoE4EjNS0_10empty_typeEbEEZZNS1_14partition_implILS8_4ELb0ES6_15HIP_vector_typeIjLj2EENS0_17counting_iteratorIjlEEPS9_SG_NS0_5tupleIJPjSI_NS0_16reverse_iteratorISI_EEEEENSH_IJSG_SG_SG_EEES9_SI_JZNS1_25segmented_radix_sort_implINS0_14default_configELb1EPKaPaPKlPlN2at6native12_GLOBAL__N_18offset_tEEE10hipError_tPvRmT1_PNSt15iterator_traitsIS12_E10value_typeET2_T3_PNS13_IS18_E10value_typeET4_jRbjT5_S1E_jjP12ihipStream_tbEUljE_ZNSN_ISO_Lb1ESQ_SR_ST_SU_SY_EESZ_S10_S11_S12_S16_S17_S18_S1B_S1C_jS1D_jS1E_S1E_jjS1G_bEUljE0_EEESZ_S10_S11_S18_S1C_S1E_T6_T7_T9_mT8_S1G_bDpT10_ENKUlT_T0_E_clISt17integral_constantIbLb0EES1T_IbLb1EEEEDaS1P_S1Q_EUlS1P_E_NS1_11comp_targetILNS1_3genE5ELNS1_11target_archE942ELNS1_3gpuE9ELNS1_3repE0EEENS1_30default_config_static_selectorELNS0_4arch9wavefront6targetE0EEEvS12_,"axG",@progbits,_ZN7rocprim17ROCPRIM_400000_NS6detail17trampoline_kernelINS0_13select_configILj256ELj13ELNS0_17block_load_methodE3ELS4_3ELS4_3ELNS0_20block_scan_algorithmE0ELj4294967295EEENS1_25partition_config_selectorILNS1_17partition_subalgoE4EjNS0_10empty_typeEbEEZZNS1_14partition_implILS8_4ELb0ES6_15HIP_vector_typeIjLj2EENS0_17counting_iteratorIjlEEPS9_SG_NS0_5tupleIJPjSI_NS0_16reverse_iteratorISI_EEEEENSH_IJSG_SG_SG_EEES9_SI_JZNS1_25segmented_radix_sort_implINS0_14default_configELb1EPKaPaPKlPlN2at6native12_GLOBAL__N_18offset_tEEE10hipError_tPvRmT1_PNSt15iterator_traitsIS12_E10value_typeET2_T3_PNS13_IS18_E10value_typeET4_jRbjT5_S1E_jjP12ihipStream_tbEUljE_ZNSN_ISO_Lb1ESQ_SR_ST_SU_SY_EESZ_S10_S11_S12_S16_S17_S18_S1B_S1C_jS1D_jS1E_S1E_jjS1G_bEUljE0_EEESZ_S10_S11_S18_S1C_S1E_T6_T7_T9_mT8_S1G_bDpT10_ENKUlT_T0_E_clISt17integral_constantIbLb0EES1T_IbLb1EEEEDaS1P_S1Q_EUlS1P_E_NS1_11comp_targetILNS1_3genE5ELNS1_11target_archE942ELNS1_3gpuE9ELNS1_3repE0EEENS1_30default_config_static_selectorELNS0_4arch9wavefront6targetE0EEEvS12_,comdat
.Lfunc_end249:
	.size	_ZN7rocprim17ROCPRIM_400000_NS6detail17trampoline_kernelINS0_13select_configILj256ELj13ELNS0_17block_load_methodE3ELS4_3ELS4_3ELNS0_20block_scan_algorithmE0ELj4294967295EEENS1_25partition_config_selectorILNS1_17partition_subalgoE4EjNS0_10empty_typeEbEEZZNS1_14partition_implILS8_4ELb0ES6_15HIP_vector_typeIjLj2EENS0_17counting_iteratorIjlEEPS9_SG_NS0_5tupleIJPjSI_NS0_16reverse_iteratorISI_EEEEENSH_IJSG_SG_SG_EEES9_SI_JZNS1_25segmented_radix_sort_implINS0_14default_configELb1EPKaPaPKlPlN2at6native12_GLOBAL__N_18offset_tEEE10hipError_tPvRmT1_PNSt15iterator_traitsIS12_E10value_typeET2_T3_PNS13_IS18_E10value_typeET4_jRbjT5_S1E_jjP12ihipStream_tbEUljE_ZNSN_ISO_Lb1ESQ_SR_ST_SU_SY_EESZ_S10_S11_S12_S16_S17_S18_S1B_S1C_jS1D_jS1E_S1E_jjS1G_bEUljE0_EEESZ_S10_S11_S18_S1C_S1E_T6_T7_T9_mT8_S1G_bDpT10_ENKUlT_T0_E_clISt17integral_constantIbLb0EES1T_IbLb1EEEEDaS1P_S1Q_EUlS1P_E_NS1_11comp_targetILNS1_3genE5ELNS1_11target_archE942ELNS1_3gpuE9ELNS1_3repE0EEENS1_30default_config_static_selectorELNS0_4arch9wavefront6targetE0EEEvS12_, .Lfunc_end249-_ZN7rocprim17ROCPRIM_400000_NS6detail17trampoline_kernelINS0_13select_configILj256ELj13ELNS0_17block_load_methodE3ELS4_3ELS4_3ELNS0_20block_scan_algorithmE0ELj4294967295EEENS1_25partition_config_selectorILNS1_17partition_subalgoE4EjNS0_10empty_typeEbEEZZNS1_14partition_implILS8_4ELb0ES6_15HIP_vector_typeIjLj2EENS0_17counting_iteratorIjlEEPS9_SG_NS0_5tupleIJPjSI_NS0_16reverse_iteratorISI_EEEEENSH_IJSG_SG_SG_EEES9_SI_JZNS1_25segmented_radix_sort_implINS0_14default_configELb1EPKaPaPKlPlN2at6native12_GLOBAL__N_18offset_tEEE10hipError_tPvRmT1_PNSt15iterator_traitsIS12_E10value_typeET2_T3_PNS13_IS18_E10value_typeET4_jRbjT5_S1E_jjP12ihipStream_tbEUljE_ZNSN_ISO_Lb1ESQ_SR_ST_SU_SY_EESZ_S10_S11_S12_S16_S17_S18_S1B_S1C_jS1D_jS1E_S1E_jjS1G_bEUljE0_EEESZ_S10_S11_S18_S1C_S1E_T6_T7_T9_mT8_S1G_bDpT10_ENKUlT_T0_E_clISt17integral_constantIbLb0EES1T_IbLb1EEEEDaS1P_S1Q_EUlS1P_E_NS1_11comp_targetILNS1_3genE5ELNS1_11target_archE942ELNS1_3gpuE9ELNS1_3repE0EEENS1_30default_config_static_selectorELNS0_4arch9wavefront6targetE0EEEvS12_
                                        ; -- End function
	.set _ZN7rocprim17ROCPRIM_400000_NS6detail17trampoline_kernelINS0_13select_configILj256ELj13ELNS0_17block_load_methodE3ELS4_3ELS4_3ELNS0_20block_scan_algorithmE0ELj4294967295EEENS1_25partition_config_selectorILNS1_17partition_subalgoE4EjNS0_10empty_typeEbEEZZNS1_14partition_implILS8_4ELb0ES6_15HIP_vector_typeIjLj2EENS0_17counting_iteratorIjlEEPS9_SG_NS0_5tupleIJPjSI_NS0_16reverse_iteratorISI_EEEEENSH_IJSG_SG_SG_EEES9_SI_JZNS1_25segmented_radix_sort_implINS0_14default_configELb1EPKaPaPKlPlN2at6native12_GLOBAL__N_18offset_tEEE10hipError_tPvRmT1_PNSt15iterator_traitsIS12_E10value_typeET2_T3_PNS13_IS18_E10value_typeET4_jRbjT5_S1E_jjP12ihipStream_tbEUljE_ZNSN_ISO_Lb1ESQ_SR_ST_SU_SY_EESZ_S10_S11_S12_S16_S17_S18_S1B_S1C_jS1D_jS1E_S1E_jjS1G_bEUljE0_EEESZ_S10_S11_S18_S1C_S1E_T6_T7_T9_mT8_S1G_bDpT10_ENKUlT_T0_E_clISt17integral_constantIbLb0EES1T_IbLb1EEEEDaS1P_S1Q_EUlS1P_E_NS1_11comp_targetILNS1_3genE5ELNS1_11target_archE942ELNS1_3gpuE9ELNS1_3repE0EEENS1_30default_config_static_selectorELNS0_4arch9wavefront6targetE0EEEvS12_.num_vgpr, 0
	.set _ZN7rocprim17ROCPRIM_400000_NS6detail17trampoline_kernelINS0_13select_configILj256ELj13ELNS0_17block_load_methodE3ELS4_3ELS4_3ELNS0_20block_scan_algorithmE0ELj4294967295EEENS1_25partition_config_selectorILNS1_17partition_subalgoE4EjNS0_10empty_typeEbEEZZNS1_14partition_implILS8_4ELb0ES6_15HIP_vector_typeIjLj2EENS0_17counting_iteratorIjlEEPS9_SG_NS0_5tupleIJPjSI_NS0_16reverse_iteratorISI_EEEEENSH_IJSG_SG_SG_EEES9_SI_JZNS1_25segmented_radix_sort_implINS0_14default_configELb1EPKaPaPKlPlN2at6native12_GLOBAL__N_18offset_tEEE10hipError_tPvRmT1_PNSt15iterator_traitsIS12_E10value_typeET2_T3_PNS13_IS18_E10value_typeET4_jRbjT5_S1E_jjP12ihipStream_tbEUljE_ZNSN_ISO_Lb1ESQ_SR_ST_SU_SY_EESZ_S10_S11_S12_S16_S17_S18_S1B_S1C_jS1D_jS1E_S1E_jjS1G_bEUljE0_EEESZ_S10_S11_S18_S1C_S1E_T6_T7_T9_mT8_S1G_bDpT10_ENKUlT_T0_E_clISt17integral_constantIbLb0EES1T_IbLb1EEEEDaS1P_S1Q_EUlS1P_E_NS1_11comp_targetILNS1_3genE5ELNS1_11target_archE942ELNS1_3gpuE9ELNS1_3repE0EEENS1_30default_config_static_selectorELNS0_4arch9wavefront6targetE0EEEvS12_.num_agpr, 0
	.set _ZN7rocprim17ROCPRIM_400000_NS6detail17trampoline_kernelINS0_13select_configILj256ELj13ELNS0_17block_load_methodE3ELS4_3ELS4_3ELNS0_20block_scan_algorithmE0ELj4294967295EEENS1_25partition_config_selectorILNS1_17partition_subalgoE4EjNS0_10empty_typeEbEEZZNS1_14partition_implILS8_4ELb0ES6_15HIP_vector_typeIjLj2EENS0_17counting_iteratorIjlEEPS9_SG_NS0_5tupleIJPjSI_NS0_16reverse_iteratorISI_EEEEENSH_IJSG_SG_SG_EEES9_SI_JZNS1_25segmented_radix_sort_implINS0_14default_configELb1EPKaPaPKlPlN2at6native12_GLOBAL__N_18offset_tEEE10hipError_tPvRmT1_PNSt15iterator_traitsIS12_E10value_typeET2_T3_PNS13_IS18_E10value_typeET4_jRbjT5_S1E_jjP12ihipStream_tbEUljE_ZNSN_ISO_Lb1ESQ_SR_ST_SU_SY_EESZ_S10_S11_S12_S16_S17_S18_S1B_S1C_jS1D_jS1E_S1E_jjS1G_bEUljE0_EEESZ_S10_S11_S18_S1C_S1E_T6_T7_T9_mT8_S1G_bDpT10_ENKUlT_T0_E_clISt17integral_constantIbLb0EES1T_IbLb1EEEEDaS1P_S1Q_EUlS1P_E_NS1_11comp_targetILNS1_3genE5ELNS1_11target_archE942ELNS1_3gpuE9ELNS1_3repE0EEENS1_30default_config_static_selectorELNS0_4arch9wavefront6targetE0EEEvS12_.numbered_sgpr, 0
	.set _ZN7rocprim17ROCPRIM_400000_NS6detail17trampoline_kernelINS0_13select_configILj256ELj13ELNS0_17block_load_methodE3ELS4_3ELS4_3ELNS0_20block_scan_algorithmE0ELj4294967295EEENS1_25partition_config_selectorILNS1_17partition_subalgoE4EjNS0_10empty_typeEbEEZZNS1_14partition_implILS8_4ELb0ES6_15HIP_vector_typeIjLj2EENS0_17counting_iteratorIjlEEPS9_SG_NS0_5tupleIJPjSI_NS0_16reverse_iteratorISI_EEEEENSH_IJSG_SG_SG_EEES9_SI_JZNS1_25segmented_radix_sort_implINS0_14default_configELb1EPKaPaPKlPlN2at6native12_GLOBAL__N_18offset_tEEE10hipError_tPvRmT1_PNSt15iterator_traitsIS12_E10value_typeET2_T3_PNS13_IS18_E10value_typeET4_jRbjT5_S1E_jjP12ihipStream_tbEUljE_ZNSN_ISO_Lb1ESQ_SR_ST_SU_SY_EESZ_S10_S11_S12_S16_S17_S18_S1B_S1C_jS1D_jS1E_S1E_jjS1G_bEUljE0_EEESZ_S10_S11_S18_S1C_S1E_T6_T7_T9_mT8_S1G_bDpT10_ENKUlT_T0_E_clISt17integral_constantIbLb0EES1T_IbLb1EEEEDaS1P_S1Q_EUlS1P_E_NS1_11comp_targetILNS1_3genE5ELNS1_11target_archE942ELNS1_3gpuE9ELNS1_3repE0EEENS1_30default_config_static_selectorELNS0_4arch9wavefront6targetE0EEEvS12_.num_named_barrier, 0
	.set _ZN7rocprim17ROCPRIM_400000_NS6detail17trampoline_kernelINS0_13select_configILj256ELj13ELNS0_17block_load_methodE3ELS4_3ELS4_3ELNS0_20block_scan_algorithmE0ELj4294967295EEENS1_25partition_config_selectorILNS1_17partition_subalgoE4EjNS0_10empty_typeEbEEZZNS1_14partition_implILS8_4ELb0ES6_15HIP_vector_typeIjLj2EENS0_17counting_iteratorIjlEEPS9_SG_NS0_5tupleIJPjSI_NS0_16reverse_iteratorISI_EEEEENSH_IJSG_SG_SG_EEES9_SI_JZNS1_25segmented_radix_sort_implINS0_14default_configELb1EPKaPaPKlPlN2at6native12_GLOBAL__N_18offset_tEEE10hipError_tPvRmT1_PNSt15iterator_traitsIS12_E10value_typeET2_T3_PNS13_IS18_E10value_typeET4_jRbjT5_S1E_jjP12ihipStream_tbEUljE_ZNSN_ISO_Lb1ESQ_SR_ST_SU_SY_EESZ_S10_S11_S12_S16_S17_S18_S1B_S1C_jS1D_jS1E_S1E_jjS1G_bEUljE0_EEESZ_S10_S11_S18_S1C_S1E_T6_T7_T9_mT8_S1G_bDpT10_ENKUlT_T0_E_clISt17integral_constantIbLb0EES1T_IbLb1EEEEDaS1P_S1Q_EUlS1P_E_NS1_11comp_targetILNS1_3genE5ELNS1_11target_archE942ELNS1_3gpuE9ELNS1_3repE0EEENS1_30default_config_static_selectorELNS0_4arch9wavefront6targetE0EEEvS12_.private_seg_size, 0
	.set _ZN7rocprim17ROCPRIM_400000_NS6detail17trampoline_kernelINS0_13select_configILj256ELj13ELNS0_17block_load_methodE3ELS4_3ELS4_3ELNS0_20block_scan_algorithmE0ELj4294967295EEENS1_25partition_config_selectorILNS1_17partition_subalgoE4EjNS0_10empty_typeEbEEZZNS1_14partition_implILS8_4ELb0ES6_15HIP_vector_typeIjLj2EENS0_17counting_iteratorIjlEEPS9_SG_NS0_5tupleIJPjSI_NS0_16reverse_iteratorISI_EEEEENSH_IJSG_SG_SG_EEES9_SI_JZNS1_25segmented_radix_sort_implINS0_14default_configELb1EPKaPaPKlPlN2at6native12_GLOBAL__N_18offset_tEEE10hipError_tPvRmT1_PNSt15iterator_traitsIS12_E10value_typeET2_T3_PNS13_IS18_E10value_typeET4_jRbjT5_S1E_jjP12ihipStream_tbEUljE_ZNSN_ISO_Lb1ESQ_SR_ST_SU_SY_EESZ_S10_S11_S12_S16_S17_S18_S1B_S1C_jS1D_jS1E_S1E_jjS1G_bEUljE0_EEESZ_S10_S11_S18_S1C_S1E_T6_T7_T9_mT8_S1G_bDpT10_ENKUlT_T0_E_clISt17integral_constantIbLb0EES1T_IbLb1EEEEDaS1P_S1Q_EUlS1P_E_NS1_11comp_targetILNS1_3genE5ELNS1_11target_archE942ELNS1_3gpuE9ELNS1_3repE0EEENS1_30default_config_static_selectorELNS0_4arch9wavefront6targetE0EEEvS12_.uses_vcc, 0
	.set _ZN7rocprim17ROCPRIM_400000_NS6detail17trampoline_kernelINS0_13select_configILj256ELj13ELNS0_17block_load_methodE3ELS4_3ELS4_3ELNS0_20block_scan_algorithmE0ELj4294967295EEENS1_25partition_config_selectorILNS1_17partition_subalgoE4EjNS0_10empty_typeEbEEZZNS1_14partition_implILS8_4ELb0ES6_15HIP_vector_typeIjLj2EENS0_17counting_iteratorIjlEEPS9_SG_NS0_5tupleIJPjSI_NS0_16reverse_iteratorISI_EEEEENSH_IJSG_SG_SG_EEES9_SI_JZNS1_25segmented_radix_sort_implINS0_14default_configELb1EPKaPaPKlPlN2at6native12_GLOBAL__N_18offset_tEEE10hipError_tPvRmT1_PNSt15iterator_traitsIS12_E10value_typeET2_T3_PNS13_IS18_E10value_typeET4_jRbjT5_S1E_jjP12ihipStream_tbEUljE_ZNSN_ISO_Lb1ESQ_SR_ST_SU_SY_EESZ_S10_S11_S12_S16_S17_S18_S1B_S1C_jS1D_jS1E_S1E_jjS1G_bEUljE0_EEESZ_S10_S11_S18_S1C_S1E_T6_T7_T9_mT8_S1G_bDpT10_ENKUlT_T0_E_clISt17integral_constantIbLb0EES1T_IbLb1EEEEDaS1P_S1Q_EUlS1P_E_NS1_11comp_targetILNS1_3genE5ELNS1_11target_archE942ELNS1_3gpuE9ELNS1_3repE0EEENS1_30default_config_static_selectorELNS0_4arch9wavefront6targetE0EEEvS12_.uses_flat_scratch, 0
	.set _ZN7rocprim17ROCPRIM_400000_NS6detail17trampoline_kernelINS0_13select_configILj256ELj13ELNS0_17block_load_methodE3ELS4_3ELS4_3ELNS0_20block_scan_algorithmE0ELj4294967295EEENS1_25partition_config_selectorILNS1_17partition_subalgoE4EjNS0_10empty_typeEbEEZZNS1_14partition_implILS8_4ELb0ES6_15HIP_vector_typeIjLj2EENS0_17counting_iteratorIjlEEPS9_SG_NS0_5tupleIJPjSI_NS0_16reverse_iteratorISI_EEEEENSH_IJSG_SG_SG_EEES9_SI_JZNS1_25segmented_radix_sort_implINS0_14default_configELb1EPKaPaPKlPlN2at6native12_GLOBAL__N_18offset_tEEE10hipError_tPvRmT1_PNSt15iterator_traitsIS12_E10value_typeET2_T3_PNS13_IS18_E10value_typeET4_jRbjT5_S1E_jjP12ihipStream_tbEUljE_ZNSN_ISO_Lb1ESQ_SR_ST_SU_SY_EESZ_S10_S11_S12_S16_S17_S18_S1B_S1C_jS1D_jS1E_S1E_jjS1G_bEUljE0_EEESZ_S10_S11_S18_S1C_S1E_T6_T7_T9_mT8_S1G_bDpT10_ENKUlT_T0_E_clISt17integral_constantIbLb0EES1T_IbLb1EEEEDaS1P_S1Q_EUlS1P_E_NS1_11comp_targetILNS1_3genE5ELNS1_11target_archE942ELNS1_3gpuE9ELNS1_3repE0EEENS1_30default_config_static_selectorELNS0_4arch9wavefront6targetE0EEEvS12_.has_dyn_sized_stack, 0
	.set _ZN7rocprim17ROCPRIM_400000_NS6detail17trampoline_kernelINS0_13select_configILj256ELj13ELNS0_17block_load_methodE3ELS4_3ELS4_3ELNS0_20block_scan_algorithmE0ELj4294967295EEENS1_25partition_config_selectorILNS1_17partition_subalgoE4EjNS0_10empty_typeEbEEZZNS1_14partition_implILS8_4ELb0ES6_15HIP_vector_typeIjLj2EENS0_17counting_iteratorIjlEEPS9_SG_NS0_5tupleIJPjSI_NS0_16reverse_iteratorISI_EEEEENSH_IJSG_SG_SG_EEES9_SI_JZNS1_25segmented_radix_sort_implINS0_14default_configELb1EPKaPaPKlPlN2at6native12_GLOBAL__N_18offset_tEEE10hipError_tPvRmT1_PNSt15iterator_traitsIS12_E10value_typeET2_T3_PNS13_IS18_E10value_typeET4_jRbjT5_S1E_jjP12ihipStream_tbEUljE_ZNSN_ISO_Lb1ESQ_SR_ST_SU_SY_EESZ_S10_S11_S12_S16_S17_S18_S1B_S1C_jS1D_jS1E_S1E_jjS1G_bEUljE0_EEESZ_S10_S11_S18_S1C_S1E_T6_T7_T9_mT8_S1G_bDpT10_ENKUlT_T0_E_clISt17integral_constantIbLb0EES1T_IbLb1EEEEDaS1P_S1Q_EUlS1P_E_NS1_11comp_targetILNS1_3genE5ELNS1_11target_archE942ELNS1_3gpuE9ELNS1_3repE0EEENS1_30default_config_static_selectorELNS0_4arch9wavefront6targetE0EEEvS12_.has_recursion, 0
	.set _ZN7rocprim17ROCPRIM_400000_NS6detail17trampoline_kernelINS0_13select_configILj256ELj13ELNS0_17block_load_methodE3ELS4_3ELS4_3ELNS0_20block_scan_algorithmE0ELj4294967295EEENS1_25partition_config_selectorILNS1_17partition_subalgoE4EjNS0_10empty_typeEbEEZZNS1_14partition_implILS8_4ELb0ES6_15HIP_vector_typeIjLj2EENS0_17counting_iteratorIjlEEPS9_SG_NS0_5tupleIJPjSI_NS0_16reverse_iteratorISI_EEEEENSH_IJSG_SG_SG_EEES9_SI_JZNS1_25segmented_radix_sort_implINS0_14default_configELb1EPKaPaPKlPlN2at6native12_GLOBAL__N_18offset_tEEE10hipError_tPvRmT1_PNSt15iterator_traitsIS12_E10value_typeET2_T3_PNS13_IS18_E10value_typeET4_jRbjT5_S1E_jjP12ihipStream_tbEUljE_ZNSN_ISO_Lb1ESQ_SR_ST_SU_SY_EESZ_S10_S11_S12_S16_S17_S18_S1B_S1C_jS1D_jS1E_S1E_jjS1G_bEUljE0_EEESZ_S10_S11_S18_S1C_S1E_T6_T7_T9_mT8_S1G_bDpT10_ENKUlT_T0_E_clISt17integral_constantIbLb0EES1T_IbLb1EEEEDaS1P_S1Q_EUlS1P_E_NS1_11comp_targetILNS1_3genE5ELNS1_11target_archE942ELNS1_3gpuE9ELNS1_3repE0EEENS1_30default_config_static_selectorELNS0_4arch9wavefront6targetE0EEEvS12_.has_indirect_call, 0
	.section	.AMDGPU.csdata,"",@progbits
; Kernel info:
; codeLenInByte = 0
; TotalNumSgprs: 0
; NumVgprs: 0
; ScratchSize: 0
; MemoryBound: 0
; FloatMode: 240
; IeeeMode: 1
; LDSByteSize: 0 bytes/workgroup (compile time only)
; SGPRBlocks: 0
; VGPRBlocks: 0
; NumSGPRsForWavesPerEU: 1
; NumVGPRsForWavesPerEU: 1
; NamedBarCnt: 0
; Occupancy: 16
; WaveLimiterHint : 0
; COMPUTE_PGM_RSRC2:SCRATCH_EN: 0
; COMPUTE_PGM_RSRC2:USER_SGPR: 2
; COMPUTE_PGM_RSRC2:TRAP_HANDLER: 0
; COMPUTE_PGM_RSRC2:TGID_X_EN: 1
; COMPUTE_PGM_RSRC2:TGID_Y_EN: 0
; COMPUTE_PGM_RSRC2:TGID_Z_EN: 0
; COMPUTE_PGM_RSRC2:TIDIG_COMP_CNT: 0
	.section	.text._ZN7rocprim17ROCPRIM_400000_NS6detail17trampoline_kernelINS0_13select_configILj256ELj13ELNS0_17block_load_methodE3ELS4_3ELS4_3ELNS0_20block_scan_algorithmE0ELj4294967295EEENS1_25partition_config_selectorILNS1_17partition_subalgoE4EjNS0_10empty_typeEbEEZZNS1_14partition_implILS8_4ELb0ES6_15HIP_vector_typeIjLj2EENS0_17counting_iteratorIjlEEPS9_SG_NS0_5tupleIJPjSI_NS0_16reverse_iteratorISI_EEEEENSH_IJSG_SG_SG_EEES9_SI_JZNS1_25segmented_radix_sort_implINS0_14default_configELb1EPKaPaPKlPlN2at6native12_GLOBAL__N_18offset_tEEE10hipError_tPvRmT1_PNSt15iterator_traitsIS12_E10value_typeET2_T3_PNS13_IS18_E10value_typeET4_jRbjT5_S1E_jjP12ihipStream_tbEUljE_ZNSN_ISO_Lb1ESQ_SR_ST_SU_SY_EESZ_S10_S11_S12_S16_S17_S18_S1B_S1C_jS1D_jS1E_S1E_jjS1G_bEUljE0_EEESZ_S10_S11_S18_S1C_S1E_T6_T7_T9_mT8_S1G_bDpT10_ENKUlT_T0_E_clISt17integral_constantIbLb0EES1T_IbLb1EEEEDaS1P_S1Q_EUlS1P_E_NS1_11comp_targetILNS1_3genE4ELNS1_11target_archE910ELNS1_3gpuE8ELNS1_3repE0EEENS1_30default_config_static_selectorELNS0_4arch9wavefront6targetE0EEEvS12_,"axG",@progbits,_ZN7rocprim17ROCPRIM_400000_NS6detail17trampoline_kernelINS0_13select_configILj256ELj13ELNS0_17block_load_methodE3ELS4_3ELS4_3ELNS0_20block_scan_algorithmE0ELj4294967295EEENS1_25partition_config_selectorILNS1_17partition_subalgoE4EjNS0_10empty_typeEbEEZZNS1_14partition_implILS8_4ELb0ES6_15HIP_vector_typeIjLj2EENS0_17counting_iteratorIjlEEPS9_SG_NS0_5tupleIJPjSI_NS0_16reverse_iteratorISI_EEEEENSH_IJSG_SG_SG_EEES9_SI_JZNS1_25segmented_radix_sort_implINS0_14default_configELb1EPKaPaPKlPlN2at6native12_GLOBAL__N_18offset_tEEE10hipError_tPvRmT1_PNSt15iterator_traitsIS12_E10value_typeET2_T3_PNS13_IS18_E10value_typeET4_jRbjT5_S1E_jjP12ihipStream_tbEUljE_ZNSN_ISO_Lb1ESQ_SR_ST_SU_SY_EESZ_S10_S11_S12_S16_S17_S18_S1B_S1C_jS1D_jS1E_S1E_jjS1G_bEUljE0_EEESZ_S10_S11_S18_S1C_S1E_T6_T7_T9_mT8_S1G_bDpT10_ENKUlT_T0_E_clISt17integral_constantIbLb0EES1T_IbLb1EEEEDaS1P_S1Q_EUlS1P_E_NS1_11comp_targetILNS1_3genE4ELNS1_11target_archE910ELNS1_3gpuE8ELNS1_3repE0EEENS1_30default_config_static_selectorELNS0_4arch9wavefront6targetE0EEEvS12_,comdat
	.globl	_ZN7rocprim17ROCPRIM_400000_NS6detail17trampoline_kernelINS0_13select_configILj256ELj13ELNS0_17block_load_methodE3ELS4_3ELS4_3ELNS0_20block_scan_algorithmE0ELj4294967295EEENS1_25partition_config_selectorILNS1_17partition_subalgoE4EjNS0_10empty_typeEbEEZZNS1_14partition_implILS8_4ELb0ES6_15HIP_vector_typeIjLj2EENS0_17counting_iteratorIjlEEPS9_SG_NS0_5tupleIJPjSI_NS0_16reverse_iteratorISI_EEEEENSH_IJSG_SG_SG_EEES9_SI_JZNS1_25segmented_radix_sort_implINS0_14default_configELb1EPKaPaPKlPlN2at6native12_GLOBAL__N_18offset_tEEE10hipError_tPvRmT1_PNSt15iterator_traitsIS12_E10value_typeET2_T3_PNS13_IS18_E10value_typeET4_jRbjT5_S1E_jjP12ihipStream_tbEUljE_ZNSN_ISO_Lb1ESQ_SR_ST_SU_SY_EESZ_S10_S11_S12_S16_S17_S18_S1B_S1C_jS1D_jS1E_S1E_jjS1G_bEUljE0_EEESZ_S10_S11_S18_S1C_S1E_T6_T7_T9_mT8_S1G_bDpT10_ENKUlT_T0_E_clISt17integral_constantIbLb0EES1T_IbLb1EEEEDaS1P_S1Q_EUlS1P_E_NS1_11comp_targetILNS1_3genE4ELNS1_11target_archE910ELNS1_3gpuE8ELNS1_3repE0EEENS1_30default_config_static_selectorELNS0_4arch9wavefront6targetE0EEEvS12_ ; -- Begin function _ZN7rocprim17ROCPRIM_400000_NS6detail17trampoline_kernelINS0_13select_configILj256ELj13ELNS0_17block_load_methodE3ELS4_3ELS4_3ELNS0_20block_scan_algorithmE0ELj4294967295EEENS1_25partition_config_selectorILNS1_17partition_subalgoE4EjNS0_10empty_typeEbEEZZNS1_14partition_implILS8_4ELb0ES6_15HIP_vector_typeIjLj2EENS0_17counting_iteratorIjlEEPS9_SG_NS0_5tupleIJPjSI_NS0_16reverse_iteratorISI_EEEEENSH_IJSG_SG_SG_EEES9_SI_JZNS1_25segmented_radix_sort_implINS0_14default_configELb1EPKaPaPKlPlN2at6native12_GLOBAL__N_18offset_tEEE10hipError_tPvRmT1_PNSt15iterator_traitsIS12_E10value_typeET2_T3_PNS13_IS18_E10value_typeET4_jRbjT5_S1E_jjP12ihipStream_tbEUljE_ZNSN_ISO_Lb1ESQ_SR_ST_SU_SY_EESZ_S10_S11_S12_S16_S17_S18_S1B_S1C_jS1D_jS1E_S1E_jjS1G_bEUljE0_EEESZ_S10_S11_S18_S1C_S1E_T6_T7_T9_mT8_S1G_bDpT10_ENKUlT_T0_E_clISt17integral_constantIbLb0EES1T_IbLb1EEEEDaS1P_S1Q_EUlS1P_E_NS1_11comp_targetILNS1_3genE4ELNS1_11target_archE910ELNS1_3gpuE8ELNS1_3repE0EEENS1_30default_config_static_selectorELNS0_4arch9wavefront6targetE0EEEvS12_
	.p2align	8
	.type	_ZN7rocprim17ROCPRIM_400000_NS6detail17trampoline_kernelINS0_13select_configILj256ELj13ELNS0_17block_load_methodE3ELS4_3ELS4_3ELNS0_20block_scan_algorithmE0ELj4294967295EEENS1_25partition_config_selectorILNS1_17partition_subalgoE4EjNS0_10empty_typeEbEEZZNS1_14partition_implILS8_4ELb0ES6_15HIP_vector_typeIjLj2EENS0_17counting_iteratorIjlEEPS9_SG_NS0_5tupleIJPjSI_NS0_16reverse_iteratorISI_EEEEENSH_IJSG_SG_SG_EEES9_SI_JZNS1_25segmented_radix_sort_implINS0_14default_configELb1EPKaPaPKlPlN2at6native12_GLOBAL__N_18offset_tEEE10hipError_tPvRmT1_PNSt15iterator_traitsIS12_E10value_typeET2_T3_PNS13_IS18_E10value_typeET4_jRbjT5_S1E_jjP12ihipStream_tbEUljE_ZNSN_ISO_Lb1ESQ_SR_ST_SU_SY_EESZ_S10_S11_S12_S16_S17_S18_S1B_S1C_jS1D_jS1E_S1E_jjS1G_bEUljE0_EEESZ_S10_S11_S18_S1C_S1E_T6_T7_T9_mT8_S1G_bDpT10_ENKUlT_T0_E_clISt17integral_constantIbLb0EES1T_IbLb1EEEEDaS1P_S1Q_EUlS1P_E_NS1_11comp_targetILNS1_3genE4ELNS1_11target_archE910ELNS1_3gpuE8ELNS1_3repE0EEENS1_30default_config_static_selectorELNS0_4arch9wavefront6targetE0EEEvS12_,@function
_ZN7rocprim17ROCPRIM_400000_NS6detail17trampoline_kernelINS0_13select_configILj256ELj13ELNS0_17block_load_methodE3ELS4_3ELS4_3ELNS0_20block_scan_algorithmE0ELj4294967295EEENS1_25partition_config_selectorILNS1_17partition_subalgoE4EjNS0_10empty_typeEbEEZZNS1_14partition_implILS8_4ELb0ES6_15HIP_vector_typeIjLj2EENS0_17counting_iteratorIjlEEPS9_SG_NS0_5tupleIJPjSI_NS0_16reverse_iteratorISI_EEEEENSH_IJSG_SG_SG_EEES9_SI_JZNS1_25segmented_radix_sort_implINS0_14default_configELb1EPKaPaPKlPlN2at6native12_GLOBAL__N_18offset_tEEE10hipError_tPvRmT1_PNSt15iterator_traitsIS12_E10value_typeET2_T3_PNS13_IS18_E10value_typeET4_jRbjT5_S1E_jjP12ihipStream_tbEUljE_ZNSN_ISO_Lb1ESQ_SR_ST_SU_SY_EESZ_S10_S11_S12_S16_S17_S18_S1B_S1C_jS1D_jS1E_S1E_jjS1G_bEUljE0_EEESZ_S10_S11_S18_S1C_S1E_T6_T7_T9_mT8_S1G_bDpT10_ENKUlT_T0_E_clISt17integral_constantIbLb0EES1T_IbLb1EEEEDaS1P_S1Q_EUlS1P_E_NS1_11comp_targetILNS1_3genE4ELNS1_11target_archE910ELNS1_3gpuE8ELNS1_3repE0EEENS1_30default_config_static_selectorELNS0_4arch9wavefront6targetE0EEEvS12_: ; @_ZN7rocprim17ROCPRIM_400000_NS6detail17trampoline_kernelINS0_13select_configILj256ELj13ELNS0_17block_load_methodE3ELS4_3ELS4_3ELNS0_20block_scan_algorithmE0ELj4294967295EEENS1_25partition_config_selectorILNS1_17partition_subalgoE4EjNS0_10empty_typeEbEEZZNS1_14partition_implILS8_4ELb0ES6_15HIP_vector_typeIjLj2EENS0_17counting_iteratorIjlEEPS9_SG_NS0_5tupleIJPjSI_NS0_16reverse_iteratorISI_EEEEENSH_IJSG_SG_SG_EEES9_SI_JZNS1_25segmented_radix_sort_implINS0_14default_configELb1EPKaPaPKlPlN2at6native12_GLOBAL__N_18offset_tEEE10hipError_tPvRmT1_PNSt15iterator_traitsIS12_E10value_typeET2_T3_PNS13_IS18_E10value_typeET4_jRbjT5_S1E_jjP12ihipStream_tbEUljE_ZNSN_ISO_Lb1ESQ_SR_ST_SU_SY_EESZ_S10_S11_S12_S16_S17_S18_S1B_S1C_jS1D_jS1E_S1E_jjS1G_bEUljE0_EEESZ_S10_S11_S18_S1C_S1E_T6_T7_T9_mT8_S1G_bDpT10_ENKUlT_T0_E_clISt17integral_constantIbLb0EES1T_IbLb1EEEEDaS1P_S1Q_EUlS1P_E_NS1_11comp_targetILNS1_3genE4ELNS1_11target_archE910ELNS1_3gpuE8ELNS1_3repE0EEENS1_30default_config_static_selectorELNS0_4arch9wavefront6targetE0EEEvS12_
; %bb.0:
	.section	.rodata,"a",@progbits
	.p2align	6, 0x0
	.amdhsa_kernel _ZN7rocprim17ROCPRIM_400000_NS6detail17trampoline_kernelINS0_13select_configILj256ELj13ELNS0_17block_load_methodE3ELS4_3ELS4_3ELNS0_20block_scan_algorithmE0ELj4294967295EEENS1_25partition_config_selectorILNS1_17partition_subalgoE4EjNS0_10empty_typeEbEEZZNS1_14partition_implILS8_4ELb0ES6_15HIP_vector_typeIjLj2EENS0_17counting_iteratorIjlEEPS9_SG_NS0_5tupleIJPjSI_NS0_16reverse_iteratorISI_EEEEENSH_IJSG_SG_SG_EEES9_SI_JZNS1_25segmented_radix_sort_implINS0_14default_configELb1EPKaPaPKlPlN2at6native12_GLOBAL__N_18offset_tEEE10hipError_tPvRmT1_PNSt15iterator_traitsIS12_E10value_typeET2_T3_PNS13_IS18_E10value_typeET4_jRbjT5_S1E_jjP12ihipStream_tbEUljE_ZNSN_ISO_Lb1ESQ_SR_ST_SU_SY_EESZ_S10_S11_S12_S16_S17_S18_S1B_S1C_jS1D_jS1E_S1E_jjS1G_bEUljE0_EEESZ_S10_S11_S18_S1C_S1E_T6_T7_T9_mT8_S1G_bDpT10_ENKUlT_T0_E_clISt17integral_constantIbLb0EES1T_IbLb1EEEEDaS1P_S1Q_EUlS1P_E_NS1_11comp_targetILNS1_3genE4ELNS1_11target_archE910ELNS1_3gpuE8ELNS1_3repE0EEENS1_30default_config_static_selectorELNS0_4arch9wavefront6targetE0EEEvS12_
		.amdhsa_group_segment_fixed_size 0
		.amdhsa_private_segment_fixed_size 0
		.amdhsa_kernarg_size 184
		.amdhsa_user_sgpr_count 2
		.amdhsa_user_sgpr_dispatch_ptr 0
		.amdhsa_user_sgpr_queue_ptr 0
		.amdhsa_user_sgpr_kernarg_segment_ptr 1
		.amdhsa_user_sgpr_dispatch_id 0
		.amdhsa_user_sgpr_kernarg_preload_length 0
		.amdhsa_user_sgpr_kernarg_preload_offset 0
		.amdhsa_user_sgpr_private_segment_size 0
		.amdhsa_wavefront_size32 1
		.amdhsa_uses_dynamic_stack 0
		.amdhsa_enable_private_segment 0
		.amdhsa_system_sgpr_workgroup_id_x 1
		.amdhsa_system_sgpr_workgroup_id_y 0
		.amdhsa_system_sgpr_workgroup_id_z 0
		.amdhsa_system_sgpr_workgroup_info 0
		.amdhsa_system_vgpr_workitem_id 0
		.amdhsa_next_free_vgpr 1
		.amdhsa_next_free_sgpr 1
		.amdhsa_named_barrier_count 0
		.amdhsa_reserve_vcc 0
		.amdhsa_float_round_mode_32 0
		.amdhsa_float_round_mode_16_64 0
		.amdhsa_float_denorm_mode_32 3
		.amdhsa_float_denorm_mode_16_64 3
		.amdhsa_fp16_overflow 0
		.amdhsa_memory_ordered 1
		.amdhsa_forward_progress 1
		.amdhsa_inst_pref_size 0
		.amdhsa_round_robin_scheduling 0
		.amdhsa_exception_fp_ieee_invalid_op 0
		.amdhsa_exception_fp_denorm_src 0
		.amdhsa_exception_fp_ieee_div_zero 0
		.amdhsa_exception_fp_ieee_overflow 0
		.amdhsa_exception_fp_ieee_underflow 0
		.amdhsa_exception_fp_ieee_inexact 0
		.amdhsa_exception_int_div_zero 0
	.end_amdhsa_kernel
	.section	.text._ZN7rocprim17ROCPRIM_400000_NS6detail17trampoline_kernelINS0_13select_configILj256ELj13ELNS0_17block_load_methodE3ELS4_3ELS4_3ELNS0_20block_scan_algorithmE0ELj4294967295EEENS1_25partition_config_selectorILNS1_17partition_subalgoE4EjNS0_10empty_typeEbEEZZNS1_14partition_implILS8_4ELb0ES6_15HIP_vector_typeIjLj2EENS0_17counting_iteratorIjlEEPS9_SG_NS0_5tupleIJPjSI_NS0_16reverse_iteratorISI_EEEEENSH_IJSG_SG_SG_EEES9_SI_JZNS1_25segmented_radix_sort_implINS0_14default_configELb1EPKaPaPKlPlN2at6native12_GLOBAL__N_18offset_tEEE10hipError_tPvRmT1_PNSt15iterator_traitsIS12_E10value_typeET2_T3_PNS13_IS18_E10value_typeET4_jRbjT5_S1E_jjP12ihipStream_tbEUljE_ZNSN_ISO_Lb1ESQ_SR_ST_SU_SY_EESZ_S10_S11_S12_S16_S17_S18_S1B_S1C_jS1D_jS1E_S1E_jjS1G_bEUljE0_EEESZ_S10_S11_S18_S1C_S1E_T6_T7_T9_mT8_S1G_bDpT10_ENKUlT_T0_E_clISt17integral_constantIbLb0EES1T_IbLb1EEEEDaS1P_S1Q_EUlS1P_E_NS1_11comp_targetILNS1_3genE4ELNS1_11target_archE910ELNS1_3gpuE8ELNS1_3repE0EEENS1_30default_config_static_selectorELNS0_4arch9wavefront6targetE0EEEvS12_,"axG",@progbits,_ZN7rocprim17ROCPRIM_400000_NS6detail17trampoline_kernelINS0_13select_configILj256ELj13ELNS0_17block_load_methodE3ELS4_3ELS4_3ELNS0_20block_scan_algorithmE0ELj4294967295EEENS1_25partition_config_selectorILNS1_17partition_subalgoE4EjNS0_10empty_typeEbEEZZNS1_14partition_implILS8_4ELb0ES6_15HIP_vector_typeIjLj2EENS0_17counting_iteratorIjlEEPS9_SG_NS0_5tupleIJPjSI_NS0_16reverse_iteratorISI_EEEEENSH_IJSG_SG_SG_EEES9_SI_JZNS1_25segmented_radix_sort_implINS0_14default_configELb1EPKaPaPKlPlN2at6native12_GLOBAL__N_18offset_tEEE10hipError_tPvRmT1_PNSt15iterator_traitsIS12_E10value_typeET2_T3_PNS13_IS18_E10value_typeET4_jRbjT5_S1E_jjP12ihipStream_tbEUljE_ZNSN_ISO_Lb1ESQ_SR_ST_SU_SY_EESZ_S10_S11_S12_S16_S17_S18_S1B_S1C_jS1D_jS1E_S1E_jjS1G_bEUljE0_EEESZ_S10_S11_S18_S1C_S1E_T6_T7_T9_mT8_S1G_bDpT10_ENKUlT_T0_E_clISt17integral_constantIbLb0EES1T_IbLb1EEEEDaS1P_S1Q_EUlS1P_E_NS1_11comp_targetILNS1_3genE4ELNS1_11target_archE910ELNS1_3gpuE8ELNS1_3repE0EEENS1_30default_config_static_selectorELNS0_4arch9wavefront6targetE0EEEvS12_,comdat
.Lfunc_end250:
	.size	_ZN7rocprim17ROCPRIM_400000_NS6detail17trampoline_kernelINS0_13select_configILj256ELj13ELNS0_17block_load_methodE3ELS4_3ELS4_3ELNS0_20block_scan_algorithmE0ELj4294967295EEENS1_25partition_config_selectorILNS1_17partition_subalgoE4EjNS0_10empty_typeEbEEZZNS1_14partition_implILS8_4ELb0ES6_15HIP_vector_typeIjLj2EENS0_17counting_iteratorIjlEEPS9_SG_NS0_5tupleIJPjSI_NS0_16reverse_iteratorISI_EEEEENSH_IJSG_SG_SG_EEES9_SI_JZNS1_25segmented_radix_sort_implINS0_14default_configELb1EPKaPaPKlPlN2at6native12_GLOBAL__N_18offset_tEEE10hipError_tPvRmT1_PNSt15iterator_traitsIS12_E10value_typeET2_T3_PNS13_IS18_E10value_typeET4_jRbjT5_S1E_jjP12ihipStream_tbEUljE_ZNSN_ISO_Lb1ESQ_SR_ST_SU_SY_EESZ_S10_S11_S12_S16_S17_S18_S1B_S1C_jS1D_jS1E_S1E_jjS1G_bEUljE0_EEESZ_S10_S11_S18_S1C_S1E_T6_T7_T9_mT8_S1G_bDpT10_ENKUlT_T0_E_clISt17integral_constantIbLb0EES1T_IbLb1EEEEDaS1P_S1Q_EUlS1P_E_NS1_11comp_targetILNS1_3genE4ELNS1_11target_archE910ELNS1_3gpuE8ELNS1_3repE0EEENS1_30default_config_static_selectorELNS0_4arch9wavefront6targetE0EEEvS12_, .Lfunc_end250-_ZN7rocprim17ROCPRIM_400000_NS6detail17trampoline_kernelINS0_13select_configILj256ELj13ELNS0_17block_load_methodE3ELS4_3ELS4_3ELNS0_20block_scan_algorithmE0ELj4294967295EEENS1_25partition_config_selectorILNS1_17partition_subalgoE4EjNS0_10empty_typeEbEEZZNS1_14partition_implILS8_4ELb0ES6_15HIP_vector_typeIjLj2EENS0_17counting_iteratorIjlEEPS9_SG_NS0_5tupleIJPjSI_NS0_16reverse_iteratorISI_EEEEENSH_IJSG_SG_SG_EEES9_SI_JZNS1_25segmented_radix_sort_implINS0_14default_configELb1EPKaPaPKlPlN2at6native12_GLOBAL__N_18offset_tEEE10hipError_tPvRmT1_PNSt15iterator_traitsIS12_E10value_typeET2_T3_PNS13_IS18_E10value_typeET4_jRbjT5_S1E_jjP12ihipStream_tbEUljE_ZNSN_ISO_Lb1ESQ_SR_ST_SU_SY_EESZ_S10_S11_S12_S16_S17_S18_S1B_S1C_jS1D_jS1E_S1E_jjS1G_bEUljE0_EEESZ_S10_S11_S18_S1C_S1E_T6_T7_T9_mT8_S1G_bDpT10_ENKUlT_T0_E_clISt17integral_constantIbLb0EES1T_IbLb1EEEEDaS1P_S1Q_EUlS1P_E_NS1_11comp_targetILNS1_3genE4ELNS1_11target_archE910ELNS1_3gpuE8ELNS1_3repE0EEENS1_30default_config_static_selectorELNS0_4arch9wavefront6targetE0EEEvS12_
                                        ; -- End function
	.set _ZN7rocprim17ROCPRIM_400000_NS6detail17trampoline_kernelINS0_13select_configILj256ELj13ELNS0_17block_load_methodE3ELS4_3ELS4_3ELNS0_20block_scan_algorithmE0ELj4294967295EEENS1_25partition_config_selectorILNS1_17partition_subalgoE4EjNS0_10empty_typeEbEEZZNS1_14partition_implILS8_4ELb0ES6_15HIP_vector_typeIjLj2EENS0_17counting_iteratorIjlEEPS9_SG_NS0_5tupleIJPjSI_NS0_16reverse_iteratorISI_EEEEENSH_IJSG_SG_SG_EEES9_SI_JZNS1_25segmented_radix_sort_implINS0_14default_configELb1EPKaPaPKlPlN2at6native12_GLOBAL__N_18offset_tEEE10hipError_tPvRmT1_PNSt15iterator_traitsIS12_E10value_typeET2_T3_PNS13_IS18_E10value_typeET4_jRbjT5_S1E_jjP12ihipStream_tbEUljE_ZNSN_ISO_Lb1ESQ_SR_ST_SU_SY_EESZ_S10_S11_S12_S16_S17_S18_S1B_S1C_jS1D_jS1E_S1E_jjS1G_bEUljE0_EEESZ_S10_S11_S18_S1C_S1E_T6_T7_T9_mT8_S1G_bDpT10_ENKUlT_T0_E_clISt17integral_constantIbLb0EES1T_IbLb1EEEEDaS1P_S1Q_EUlS1P_E_NS1_11comp_targetILNS1_3genE4ELNS1_11target_archE910ELNS1_3gpuE8ELNS1_3repE0EEENS1_30default_config_static_selectorELNS0_4arch9wavefront6targetE0EEEvS12_.num_vgpr, 0
	.set _ZN7rocprim17ROCPRIM_400000_NS6detail17trampoline_kernelINS0_13select_configILj256ELj13ELNS0_17block_load_methodE3ELS4_3ELS4_3ELNS0_20block_scan_algorithmE0ELj4294967295EEENS1_25partition_config_selectorILNS1_17partition_subalgoE4EjNS0_10empty_typeEbEEZZNS1_14partition_implILS8_4ELb0ES6_15HIP_vector_typeIjLj2EENS0_17counting_iteratorIjlEEPS9_SG_NS0_5tupleIJPjSI_NS0_16reverse_iteratorISI_EEEEENSH_IJSG_SG_SG_EEES9_SI_JZNS1_25segmented_radix_sort_implINS0_14default_configELb1EPKaPaPKlPlN2at6native12_GLOBAL__N_18offset_tEEE10hipError_tPvRmT1_PNSt15iterator_traitsIS12_E10value_typeET2_T3_PNS13_IS18_E10value_typeET4_jRbjT5_S1E_jjP12ihipStream_tbEUljE_ZNSN_ISO_Lb1ESQ_SR_ST_SU_SY_EESZ_S10_S11_S12_S16_S17_S18_S1B_S1C_jS1D_jS1E_S1E_jjS1G_bEUljE0_EEESZ_S10_S11_S18_S1C_S1E_T6_T7_T9_mT8_S1G_bDpT10_ENKUlT_T0_E_clISt17integral_constantIbLb0EES1T_IbLb1EEEEDaS1P_S1Q_EUlS1P_E_NS1_11comp_targetILNS1_3genE4ELNS1_11target_archE910ELNS1_3gpuE8ELNS1_3repE0EEENS1_30default_config_static_selectorELNS0_4arch9wavefront6targetE0EEEvS12_.num_agpr, 0
	.set _ZN7rocprim17ROCPRIM_400000_NS6detail17trampoline_kernelINS0_13select_configILj256ELj13ELNS0_17block_load_methodE3ELS4_3ELS4_3ELNS0_20block_scan_algorithmE0ELj4294967295EEENS1_25partition_config_selectorILNS1_17partition_subalgoE4EjNS0_10empty_typeEbEEZZNS1_14partition_implILS8_4ELb0ES6_15HIP_vector_typeIjLj2EENS0_17counting_iteratorIjlEEPS9_SG_NS0_5tupleIJPjSI_NS0_16reverse_iteratorISI_EEEEENSH_IJSG_SG_SG_EEES9_SI_JZNS1_25segmented_radix_sort_implINS0_14default_configELb1EPKaPaPKlPlN2at6native12_GLOBAL__N_18offset_tEEE10hipError_tPvRmT1_PNSt15iterator_traitsIS12_E10value_typeET2_T3_PNS13_IS18_E10value_typeET4_jRbjT5_S1E_jjP12ihipStream_tbEUljE_ZNSN_ISO_Lb1ESQ_SR_ST_SU_SY_EESZ_S10_S11_S12_S16_S17_S18_S1B_S1C_jS1D_jS1E_S1E_jjS1G_bEUljE0_EEESZ_S10_S11_S18_S1C_S1E_T6_T7_T9_mT8_S1G_bDpT10_ENKUlT_T0_E_clISt17integral_constantIbLb0EES1T_IbLb1EEEEDaS1P_S1Q_EUlS1P_E_NS1_11comp_targetILNS1_3genE4ELNS1_11target_archE910ELNS1_3gpuE8ELNS1_3repE0EEENS1_30default_config_static_selectorELNS0_4arch9wavefront6targetE0EEEvS12_.numbered_sgpr, 0
	.set _ZN7rocprim17ROCPRIM_400000_NS6detail17trampoline_kernelINS0_13select_configILj256ELj13ELNS0_17block_load_methodE3ELS4_3ELS4_3ELNS0_20block_scan_algorithmE0ELj4294967295EEENS1_25partition_config_selectorILNS1_17partition_subalgoE4EjNS0_10empty_typeEbEEZZNS1_14partition_implILS8_4ELb0ES6_15HIP_vector_typeIjLj2EENS0_17counting_iteratorIjlEEPS9_SG_NS0_5tupleIJPjSI_NS0_16reverse_iteratorISI_EEEEENSH_IJSG_SG_SG_EEES9_SI_JZNS1_25segmented_radix_sort_implINS0_14default_configELb1EPKaPaPKlPlN2at6native12_GLOBAL__N_18offset_tEEE10hipError_tPvRmT1_PNSt15iterator_traitsIS12_E10value_typeET2_T3_PNS13_IS18_E10value_typeET4_jRbjT5_S1E_jjP12ihipStream_tbEUljE_ZNSN_ISO_Lb1ESQ_SR_ST_SU_SY_EESZ_S10_S11_S12_S16_S17_S18_S1B_S1C_jS1D_jS1E_S1E_jjS1G_bEUljE0_EEESZ_S10_S11_S18_S1C_S1E_T6_T7_T9_mT8_S1G_bDpT10_ENKUlT_T0_E_clISt17integral_constantIbLb0EES1T_IbLb1EEEEDaS1P_S1Q_EUlS1P_E_NS1_11comp_targetILNS1_3genE4ELNS1_11target_archE910ELNS1_3gpuE8ELNS1_3repE0EEENS1_30default_config_static_selectorELNS0_4arch9wavefront6targetE0EEEvS12_.num_named_barrier, 0
	.set _ZN7rocprim17ROCPRIM_400000_NS6detail17trampoline_kernelINS0_13select_configILj256ELj13ELNS0_17block_load_methodE3ELS4_3ELS4_3ELNS0_20block_scan_algorithmE0ELj4294967295EEENS1_25partition_config_selectorILNS1_17partition_subalgoE4EjNS0_10empty_typeEbEEZZNS1_14partition_implILS8_4ELb0ES6_15HIP_vector_typeIjLj2EENS0_17counting_iteratorIjlEEPS9_SG_NS0_5tupleIJPjSI_NS0_16reverse_iteratorISI_EEEEENSH_IJSG_SG_SG_EEES9_SI_JZNS1_25segmented_radix_sort_implINS0_14default_configELb1EPKaPaPKlPlN2at6native12_GLOBAL__N_18offset_tEEE10hipError_tPvRmT1_PNSt15iterator_traitsIS12_E10value_typeET2_T3_PNS13_IS18_E10value_typeET4_jRbjT5_S1E_jjP12ihipStream_tbEUljE_ZNSN_ISO_Lb1ESQ_SR_ST_SU_SY_EESZ_S10_S11_S12_S16_S17_S18_S1B_S1C_jS1D_jS1E_S1E_jjS1G_bEUljE0_EEESZ_S10_S11_S18_S1C_S1E_T6_T7_T9_mT8_S1G_bDpT10_ENKUlT_T0_E_clISt17integral_constantIbLb0EES1T_IbLb1EEEEDaS1P_S1Q_EUlS1P_E_NS1_11comp_targetILNS1_3genE4ELNS1_11target_archE910ELNS1_3gpuE8ELNS1_3repE0EEENS1_30default_config_static_selectorELNS0_4arch9wavefront6targetE0EEEvS12_.private_seg_size, 0
	.set _ZN7rocprim17ROCPRIM_400000_NS6detail17trampoline_kernelINS0_13select_configILj256ELj13ELNS0_17block_load_methodE3ELS4_3ELS4_3ELNS0_20block_scan_algorithmE0ELj4294967295EEENS1_25partition_config_selectorILNS1_17partition_subalgoE4EjNS0_10empty_typeEbEEZZNS1_14partition_implILS8_4ELb0ES6_15HIP_vector_typeIjLj2EENS0_17counting_iteratorIjlEEPS9_SG_NS0_5tupleIJPjSI_NS0_16reverse_iteratorISI_EEEEENSH_IJSG_SG_SG_EEES9_SI_JZNS1_25segmented_radix_sort_implINS0_14default_configELb1EPKaPaPKlPlN2at6native12_GLOBAL__N_18offset_tEEE10hipError_tPvRmT1_PNSt15iterator_traitsIS12_E10value_typeET2_T3_PNS13_IS18_E10value_typeET4_jRbjT5_S1E_jjP12ihipStream_tbEUljE_ZNSN_ISO_Lb1ESQ_SR_ST_SU_SY_EESZ_S10_S11_S12_S16_S17_S18_S1B_S1C_jS1D_jS1E_S1E_jjS1G_bEUljE0_EEESZ_S10_S11_S18_S1C_S1E_T6_T7_T9_mT8_S1G_bDpT10_ENKUlT_T0_E_clISt17integral_constantIbLb0EES1T_IbLb1EEEEDaS1P_S1Q_EUlS1P_E_NS1_11comp_targetILNS1_3genE4ELNS1_11target_archE910ELNS1_3gpuE8ELNS1_3repE0EEENS1_30default_config_static_selectorELNS0_4arch9wavefront6targetE0EEEvS12_.uses_vcc, 0
	.set _ZN7rocprim17ROCPRIM_400000_NS6detail17trampoline_kernelINS0_13select_configILj256ELj13ELNS0_17block_load_methodE3ELS4_3ELS4_3ELNS0_20block_scan_algorithmE0ELj4294967295EEENS1_25partition_config_selectorILNS1_17partition_subalgoE4EjNS0_10empty_typeEbEEZZNS1_14partition_implILS8_4ELb0ES6_15HIP_vector_typeIjLj2EENS0_17counting_iteratorIjlEEPS9_SG_NS0_5tupleIJPjSI_NS0_16reverse_iteratorISI_EEEEENSH_IJSG_SG_SG_EEES9_SI_JZNS1_25segmented_radix_sort_implINS0_14default_configELb1EPKaPaPKlPlN2at6native12_GLOBAL__N_18offset_tEEE10hipError_tPvRmT1_PNSt15iterator_traitsIS12_E10value_typeET2_T3_PNS13_IS18_E10value_typeET4_jRbjT5_S1E_jjP12ihipStream_tbEUljE_ZNSN_ISO_Lb1ESQ_SR_ST_SU_SY_EESZ_S10_S11_S12_S16_S17_S18_S1B_S1C_jS1D_jS1E_S1E_jjS1G_bEUljE0_EEESZ_S10_S11_S18_S1C_S1E_T6_T7_T9_mT8_S1G_bDpT10_ENKUlT_T0_E_clISt17integral_constantIbLb0EES1T_IbLb1EEEEDaS1P_S1Q_EUlS1P_E_NS1_11comp_targetILNS1_3genE4ELNS1_11target_archE910ELNS1_3gpuE8ELNS1_3repE0EEENS1_30default_config_static_selectorELNS0_4arch9wavefront6targetE0EEEvS12_.uses_flat_scratch, 0
	.set _ZN7rocprim17ROCPRIM_400000_NS6detail17trampoline_kernelINS0_13select_configILj256ELj13ELNS0_17block_load_methodE3ELS4_3ELS4_3ELNS0_20block_scan_algorithmE0ELj4294967295EEENS1_25partition_config_selectorILNS1_17partition_subalgoE4EjNS0_10empty_typeEbEEZZNS1_14partition_implILS8_4ELb0ES6_15HIP_vector_typeIjLj2EENS0_17counting_iteratorIjlEEPS9_SG_NS0_5tupleIJPjSI_NS0_16reverse_iteratorISI_EEEEENSH_IJSG_SG_SG_EEES9_SI_JZNS1_25segmented_radix_sort_implINS0_14default_configELb1EPKaPaPKlPlN2at6native12_GLOBAL__N_18offset_tEEE10hipError_tPvRmT1_PNSt15iterator_traitsIS12_E10value_typeET2_T3_PNS13_IS18_E10value_typeET4_jRbjT5_S1E_jjP12ihipStream_tbEUljE_ZNSN_ISO_Lb1ESQ_SR_ST_SU_SY_EESZ_S10_S11_S12_S16_S17_S18_S1B_S1C_jS1D_jS1E_S1E_jjS1G_bEUljE0_EEESZ_S10_S11_S18_S1C_S1E_T6_T7_T9_mT8_S1G_bDpT10_ENKUlT_T0_E_clISt17integral_constantIbLb0EES1T_IbLb1EEEEDaS1P_S1Q_EUlS1P_E_NS1_11comp_targetILNS1_3genE4ELNS1_11target_archE910ELNS1_3gpuE8ELNS1_3repE0EEENS1_30default_config_static_selectorELNS0_4arch9wavefront6targetE0EEEvS12_.has_dyn_sized_stack, 0
	.set _ZN7rocprim17ROCPRIM_400000_NS6detail17trampoline_kernelINS0_13select_configILj256ELj13ELNS0_17block_load_methodE3ELS4_3ELS4_3ELNS0_20block_scan_algorithmE0ELj4294967295EEENS1_25partition_config_selectorILNS1_17partition_subalgoE4EjNS0_10empty_typeEbEEZZNS1_14partition_implILS8_4ELb0ES6_15HIP_vector_typeIjLj2EENS0_17counting_iteratorIjlEEPS9_SG_NS0_5tupleIJPjSI_NS0_16reverse_iteratorISI_EEEEENSH_IJSG_SG_SG_EEES9_SI_JZNS1_25segmented_radix_sort_implINS0_14default_configELb1EPKaPaPKlPlN2at6native12_GLOBAL__N_18offset_tEEE10hipError_tPvRmT1_PNSt15iterator_traitsIS12_E10value_typeET2_T3_PNS13_IS18_E10value_typeET4_jRbjT5_S1E_jjP12ihipStream_tbEUljE_ZNSN_ISO_Lb1ESQ_SR_ST_SU_SY_EESZ_S10_S11_S12_S16_S17_S18_S1B_S1C_jS1D_jS1E_S1E_jjS1G_bEUljE0_EEESZ_S10_S11_S18_S1C_S1E_T6_T7_T9_mT8_S1G_bDpT10_ENKUlT_T0_E_clISt17integral_constantIbLb0EES1T_IbLb1EEEEDaS1P_S1Q_EUlS1P_E_NS1_11comp_targetILNS1_3genE4ELNS1_11target_archE910ELNS1_3gpuE8ELNS1_3repE0EEENS1_30default_config_static_selectorELNS0_4arch9wavefront6targetE0EEEvS12_.has_recursion, 0
	.set _ZN7rocprim17ROCPRIM_400000_NS6detail17trampoline_kernelINS0_13select_configILj256ELj13ELNS0_17block_load_methodE3ELS4_3ELS4_3ELNS0_20block_scan_algorithmE0ELj4294967295EEENS1_25partition_config_selectorILNS1_17partition_subalgoE4EjNS0_10empty_typeEbEEZZNS1_14partition_implILS8_4ELb0ES6_15HIP_vector_typeIjLj2EENS0_17counting_iteratorIjlEEPS9_SG_NS0_5tupleIJPjSI_NS0_16reverse_iteratorISI_EEEEENSH_IJSG_SG_SG_EEES9_SI_JZNS1_25segmented_radix_sort_implINS0_14default_configELb1EPKaPaPKlPlN2at6native12_GLOBAL__N_18offset_tEEE10hipError_tPvRmT1_PNSt15iterator_traitsIS12_E10value_typeET2_T3_PNS13_IS18_E10value_typeET4_jRbjT5_S1E_jjP12ihipStream_tbEUljE_ZNSN_ISO_Lb1ESQ_SR_ST_SU_SY_EESZ_S10_S11_S12_S16_S17_S18_S1B_S1C_jS1D_jS1E_S1E_jjS1G_bEUljE0_EEESZ_S10_S11_S18_S1C_S1E_T6_T7_T9_mT8_S1G_bDpT10_ENKUlT_T0_E_clISt17integral_constantIbLb0EES1T_IbLb1EEEEDaS1P_S1Q_EUlS1P_E_NS1_11comp_targetILNS1_3genE4ELNS1_11target_archE910ELNS1_3gpuE8ELNS1_3repE0EEENS1_30default_config_static_selectorELNS0_4arch9wavefront6targetE0EEEvS12_.has_indirect_call, 0
	.section	.AMDGPU.csdata,"",@progbits
; Kernel info:
; codeLenInByte = 0
; TotalNumSgprs: 0
; NumVgprs: 0
; ScratchSize: 0
; MemoryBound: 0
; FloatMode: 240
; IeeeMode: 1
; LDSByteSize: 0 bytes/workgroup (compile time only)
; SGPRBlocks: 0
; VGPRBlocks: 0
; NumSGPRsForWavesPerEU: 1
; NumVGPRsForWavesPerEU: 1
; NamedBarCnt: 0
; Occupancy: 16
; WaveLimiterHint : 0
; COMPUTE_PGM_RSRC2:SCRATCH_EN: 0
; COMPUTE_PGM_RSRC2:USER_SGPR: 2
; COMPUTE_PGM_RSRC2:TRAP_HANDLER: 0
; COMPUTE_PGM_RSRC2:TGID_X_EN: 1
; COMPUTE_PGM_RSRC2:TGID_Y_EN: 0
; COMPUTE_PGM_RSRC2:TGID_Z_EN: 0
; COMPUTE_PGM_RSRC2:TIDIG_COMP_CNT: 0
	.section	.text._ZN7rocprim17ROCPRIM_400000_NS6detail17trampoline_kernelINS0_13select_configILj256ELj13ELNS0_17block_load_methodE3ELS4_3ELS4_3ELNS0_20block_scan_algorithmE0ELj4294967295EEENS1_25partition_config_selectorILNS1_17partition_subalgoE4EjNS0_10empty_typeEbEEZZNS1_14partition_implILS8_4ELb0ES6_15HIP_vector_typeIjLj2EENS0_17counting_iteratorIjlEEPS9_SG_NS0_5tupleIJPjSI_NS0_16reverse_iteratorISI_EEEEENSH_IJSG_SG_SG_EEES9_SI_JZNS1_25segmented_radix_sort_implINS0_14default_configELb1EPKaPaPKlPlN2at6native12_GLOBAL__N_18offset_tEEE10hipError_tPvRmT1_PNSt15iterator_traitsIS12_E10value_typeET2_T3_PNS13_IS18_E10value_typeET4_jRbjT5_S1E_jjP12ihipStream_tbEUljE_ZNSN_ISO_Lb1ESQ_SR_ST_SU_SY_EESZ_S10_S11_S12_S16_S17_S18_S1B_S1C_jS1D_jS1E_S1E_jjS1G_bEUljE0_EEESZ_S10_S11_S18_S1C_S1E_T6_T7_T9_mT8_S1G_bDpT10_ENKUlT_T0_E_clISt17integral_constantIbLb0EES1T_IbLb1EEEEDaS1P_S1Q_EUlS1P_E_NS1_11comp_targetILNS1_3genE3ELNS1_11target_archE908ELNS1_3gpuE7ELNS1_3repE0EEENS1_30default_config_static_selectorELNS0_4arch9wavefront6targetE0EEEvS12_,"axG",@progbits,_ZN7rocprim17ROCPRIM_400000_NS6detail17trampoline_kernelINS0_13select_configILj256ELj13ELNS0_17block_load_methodE3ELS4_3ELS4_3ELNS0_20block_scan_algorithmE0ELj4294967295EEENS1_25partition_config_selectorILNS1_17partition_subalgoE4EjNS0_10empty_typeEbEEZZNS1_14partition_implILS8_4ELb0ES6_15HIP_vector_typeIjLj2EENS0_17counting_iteratorIjlEEPS9_SG_NS0_5tupleIJPjSI_NS0_16reverse_iteratorISI_EEEEENSH_IJSG_SG_SG_EEES9_SI_JZNS1_25segmented_radix_sort_implINS0_14default_configELb1EPKaPaPKlPlN2at6native12_GLOBAL__N_18offset_tEEE10hipError_tPvRmT1_PNSt15iterator_traitsIS12_E10value_typeET2_T3_PNS13_IS18_E10value_typeET4_jRbjT5_S1E_jjP12ihipStream_tbEUljE_ZNSN_ISO_Lb1ESQ_SR_ST_SU_SY_EESZ_S10_S11_S12_S16_S17_S18_S1B_S1C_jS1D_jS1E_S1E_jjS1G_bEUljE0_EEESZ_S10_S11_S18_S1C_S1E_T6_T7_T9_mT8_S1G_bDpT10_ENKUlT_T0_E_clISt17integral_constantIbLb0EES1T_IbLb1EEEEDaS1P_S1Q_EUlS1P_E_NS1_11comp_targetILNS1_3genE3ELNS1_11target_archE908ELNS1_3gpuE7ELNS1_3repE0EEENS1_30default_config_static_selectorELNS0_4arch9wavefront6targetE0EEEvS12_,comdat
	.globl	_ZN7rocprim17ROCPRIM_400000_NS6detail17trampoline_kernelINS0_13select_configILj256ELj13ELNS0_17block_load_methodE3ELS4_3ELS4_3ELNS0_20block_scan_algorithmE0ELj4294967295EEENS1_25partition_config_selectorILNS1_17partition_subalgoE4EjNS0_10empty_typeEbEEZZNS1_14partition_implILS8_4ELb0ES6_15HIP_vector_typeIjLj2EENS0_17counting_iteratorIjlEEPS9_SG_NS0_5tupleIJPjSI_NS0_16reverse_iteratorISI_EEEEENSH_IJSG_SG_SG_EEES9_SI_JZNS1_25segmented_radix_sort_implINS0_14default_configELb1EPKaPaPKlPlN2at6native12_GLOBAL__N_18offset_tEEE10hipError_tPvRmT1_PNSt15iterator_traitsIS12_E10value_typeET2_T3_PNS13_IS18_E10value_typeET4_jRbjT5_S1E_jjP12ihipStream_tbEUljE_ZNSN_ISO_Lb1ESQ_SR_ST_SU_SY_EESZ_S10_S11_S12_S16_S17_S18_S1B_S1C_jS1D_jS1E_S1E_jjS1G_bEUljE0_EEESZ_S10_S11_S18_S1C_S1E_T6_T7_T9_mT8_S1G_bDpT10_ENKUlT_T0_E_clISt17integral_constantIbLb0EES1T_IbLb1EEEEDaS1P_S1Q_EUlS1P_E_NS1_11comp_targetILNS1_3genE3ELNS1_11target_archE908ELNS1_3gpuE7ELNS1_3repE0EEENS1_30default_config_static_selectorELNS0_4arch9wavefront6targetE0EEEvS12_ ; -- Begin function _ZN7rocprim17ROCPRIM_400000_NS6detail17trampoline_kernelINS0_13select_configILj256ELj13ELNS0_17block_load_methodE3ELS4_3ELS4_3ELNS0_20block_scan_algorithmE0ELj4294967295EEENS1_25partition_config_selectorILNS1_17partition_subalgoE4EjNS0_10empty_typeEbEEZZNS1_14partition_implILS8_4ELb0ES6_15HIP_vector_typeIjLj2EENS0_17counting_iteratorIjlEEPS9_SG_NS0_5tupleIJPjSI_NS0_16reverse_iteratorISI_EEEEENSH_IJSG_SG_SG_EEES9_SI_JZNS1_25segmented_radix_sort_implINS0_14default_configELb1EPKaPaPKlPlN2at6native12_GLOBAL__N_18offset_tEEE10hipError_tPvRmT1_PNSt15iterator_traitsIS12_E10value_typeET2_T3_PNS13_IS18_E10value_typeET4_jRbjT5_S1E_jjP12ihipStream_tbEUljE_ZNSN_ISO_Lb1ESQ_SR_ST_SU_SY_EESZ_S10_S11_S12_S16_S17_S18_S1B_S1C_jS1D_jS1E_S1E_jjS1G_bEUljE0_EEESZ_S10_S11_S18_S1C_S1E_T6_T7_T9_mT8_S1G_bDpT10_ENKUlT_T0_E_clISt17integral_constantIbLb0EES1T_IbLb1EEEEDaS1P_S1Q_EUlS1P_E_NS1_11comp_targetILNS1_3genE3ELNS1_11target_archE908ELNS1_3gpuE7ELNS1_3repE0EEENS1_30default_config_static_selectorELNS0_4arch9wavefront6targetE0EEEvS12_
	.p2align	8
	.type	_ZN7rocprim17ROCPRIM_400000_NS6detail17trampoline_kernelINS0_13select_configILj256ELj13ELNS0_17block_load_methodE3ELS4_3ELS4_3ELNS0_20block_scan_algorithmE0ELj4294967295EEENS1_25partition_config_selectorILNS1_17partition_subalgoE4EjNS0_10empty_typeEbEEZZNS1_14partition_implILS8_4ELb0ES6_15HIP_vector_typeIjLj2EENS0_17counting_iteratorIjlEEPS9_SG_NS0_5tupleIJPjSI_NS0_16reverse_iteratorISI_EEEEENSH_IJSG_SG_SG_EEES9_SI_JZNS1_25segmented_radix_sort_implINS0_14default_configELb1EPKaPaPKlPlN2at6native12_GLOBAL__N_18offset_tEEE10hipError_tPvRmT1_PNSt15iterator_traitsIS12_E10value_typeET2_T3_PNS13_IS18_E10value_typeET4_jRbjT5_S1E_jjP12ihipStream_tbEUljE_ZNSN_ISO_Lb1ESQ_SR_ST_SU_SY_EESZ_S10_S11_S12_S16_S17_S18_S1B_S1C_jS1D_jS1E_S1E_jjS1G_bEUljE0_EEESZ_S10_S11_S18_S1C_S1E_T6_T7_T9_mT8_S1G_bDpT10_ENKUlT_T0_E_clISt17integral_constantIbLb0EES1T_IbLb1EEEEDaS1P_S1Q_EUlS1P_E_NS1_11comp_targetILNS1_3genE3ELNS1_11target_archE908ELNS1_3gpuE7ELNS1_3repE0EEENS1_30default_config_static_selectorELNS0_4arch9wavefront6targetE0EEEvS12_,@function
_ZN7rocprim17ROCPRIM_400000_NS6detail17trampoline_kernelINS0_13select_configILj256ELj13ELNS0_17block_load_methodE3ELS4_3ELS4_3ELNS0_20block_scan_algorithmE0ELj4294967295EEENS1_25partition_config_selectorILNS1_17partition_subalgoE4EjNS0_10empty_typeEbEEZZNS1_14partition_implILS8_4ELb0ES6_15HIP_vector_typeIjLj2EENS0_17counting_iteratorIjlEEPS9_SG_NS0_5tupleIJPjSI_NS0_16reverse_iteratorISI_EEEEENSH_IJSG_SG_SG_EEES9_SI_JZNS1_25segmented_radix_sort_implINS0_14default_configELb1EPKaPaPKlPlN2at6native12_GLOBAL__N_18offset_tEEE10hipError_tPvRmT1_PNSt15iterator_traitsIS12_E10value_typeET2_T3_PNS13_IS18_E10value_typeET4_jRbjT5_S1E_jjP12ihipStream_tbEUljE_ZNSN_ISO_Lb1ESQ_SR_ST_SU_SY_EESZ_S10_S11_S12_S16_S17_S18_S1B_S1C_jS1D_jS1E_S1E_jjS1G_bEUljE0_EEESZ_S10_S11_S18_S1C_S1E_T6_T7_T9_mT8_S1G_bDpT10_ENKUlT_T0_E_clISt17integral_constantIbLb0EES1T_IbLb1EEEEDaS1P_S1Q_EUlS1P_E_NS1_11comp_targetILNS1_3genE3ELNS1_11target_archE908ELNS1_3gpuE7ELNS1_3repE0EEENS1_30default_config_static_selectorELNS0_4arch9wavefront6targetE0EEEvS12_: ; @_ZN7rocprim17ROCPRIM_400000_NS6detail17trampoline_kernelINS0_13select_configILj256ELj13ELNS0_17block_load_methodE3ELS4_3ELS4_3ELNS0_20block_scan_algorithmE0ELj4294967295EEENS1_25partition_config_selectorILNS1_17partition_subalgoE4EjNS0_10empty_typeEbEEZZNS1_14partition_implILS8_4ELb0ES6_15HIP_vector_typeIjLj2EENS0_17counting_iteratorIjlEEPS9_SG_NS0_5tupleIJPjSI_NS0_16reverse_iteratorISI_EEEEENSH_IJSG_SG_SG_EEES9_SI_JZNS1_25segmented_radix_sort_implINS0_14default_configELb1EPKaPaPKlPlN2at6native12_GLOBAL__N_18offset_tEEE10hipError_tPvRmT1_PNSt15iterator_traitsIS12_E10value_typeET2_T3_PNS13_IS18_E10value_typeET4_jRbjT5_S1E_jjP12ihipStream_tbEUljE_ZNSN_ISO_Lb1ESQ_SR_ST_SU_SY_EESZ_S10_S11_S12_S16_S17_S18_S1B_S1C_jS1D_jS1E_S1E_jjS1G_bEUljE0_EEESZ_S10_S11_S18_S1C_S1E_T6_T7_T9_mT8_S1G_bDpT10_ENKUlT_T0_E_clISt17integral_constantIbLb0EES1T_IbLb1EEEEDaS1P_S1Q_EUlS1P_E_NS1_11comp_targetILNS1_3genE3ELNS1_11target_archE908ELNS1_3gpuE7ELNS1_3repE0EEENS1_30default_config_static_selectorELNS0_4arch9wavefront6targetE0EEEvS12_
; %bb.0:
	.section	.rodata,"a",@progbits
	.p2align	6, 0x0
	.amdhsa_kernel _ZN7rocprim17ROCPRIM_400000_NS6detail17trampoline_kernelINS0_13select_configILj256ELj13ELNS0_17block_load_methodE3ELS4_3ELS4_3ELNS0_20block_scan_algorithmE0ELj4294967295EEENS1_25partition_config_selectorILNS1_17partition_subalgoE4EjNS0_10empty_typeEbEEZZNS1_14partition_implILS8_4ELb0ES6_15HIP_vector_typeIjLj2EENS0_17counting_iteratorIjlEEPS9_SG_NS0_5tupleIJPjSI_NS0_16reverse_iteratorISI_EEEEENSH_IJSG_SG_SG_EEES9_SI_JZNS1_25segmented_radix_sort_implINS0_14default_configELb1EPKaPaPKlPlN2at6native12_GLOBAL__N_18offset_tEEE10hipError_tPvRmT1_PNSt15iterator_traitsIS12_E10value_typeET2_T3_PNS13_IS18_E10value_typeET4_jRbjT5_S1E_jjP12ihipStream_tbEUljE_ZNSN_ISO_Lb1ESQ_SR_ST_SU_SY_EESZ_S10_S11_S12_S16_S17_S18_S1B_S1C_jS1D_jS1E_S1E_jjS1G_bEUljE0_EEESZ_S10_S11_S18_S1C_S1E_T6_T7_T9_mT8_S1G_bDpT10_ENKUlT_T0_E_clISt17integral_constantIbLb0EES1T_IbLb1EEEEDaS1P_S1Q_EUlS1P_E_NS1_11comp_targetILNS1_3genE3ELNS1_11target_archE908ELNS1_3gpuE7ELNS1_3repE0EEENS1_30default_config_static_selectorELNS0_4arch9wavefront6targetE0EEEvS12_
		.amdhsa_group_segment_fixed_size 0
		.amdhsa_private_segment_fixed_size 0
		.amdhsa_kernarg_size 184
		.amdhsa_user_sgpr_count 2
		.amdhsa_user_sgpr_dispatch_ptr 0
		.amdhsa_user_sgpr_queue_ptr 0
		.amdhsa_user_sgpr_kernarg_segment_ptr 1
		.amdhsa_user_sgpr_dispatch_id 0
		.amdhsa_user_sgpr_kernarg_preload_length 0
		.amdhsa_user_sgpr_kernarg_preload_offset 0
		.amdhsa_user_sgpr_private_segment_size 0
		.amdhsa_wavefront_size32 1
		.amdhsa_uses_dynamic_stack 0
		.amdhsa_enable_private_segment 0
		.amdhsa_system_sgpr_workgroup_id_x 1
		.amdhsa_system_sgpr_workgroup_id_y 0
		.amdhsa_system_sgpr_workgroup_id_z 0
		.amdhsa_system_sgpr_workgroup_info 0
		.amdhsa_system_vgpr_workitem_id 0
		.amdhsa_next_free_vgpr 1
		.amdhsa_next_free_sgpr 1
		.amdhsa_named_barrier_count 0
		.amdhsa_reserve_vcc 0
		.amdhsa_float_round_mode_32 0
		.amdhsa_float_round_mode_16_64 0
		.amdhsa_float_denorm_mode_32 3
		.amdhsa_float_denorm_mode_16_64 3
		.amdhsa_fp16_overflow 0
		.amdhsa_memory_ordered 1
		.amdhsa_forward_progress 1
		.amdhsa_inst_pref_size 0
		.amdhsa_round_robin_scheduling 0
		.amdhsa_exception_fp_ieee_invalid_op 0
		.amdhsa_exception_fp_denorm_src 0
		.amdhsa_exception_fp_ieee_div_zero 0
		.amdhsa_exception_fp_ieee_overflow 0
		.amdhsa_exception_fp_ieee_underflow 0
		.amdhsa_exception_fp_ieee_inexact 0
		.amdhsa_exception_int_div_zero 0
	.end_amdhsa_kernel
	.section	.text._ZN7rocprim17ROCPRIM_400000_NS6detail17trampoline_kernelINS0_13select_configILj256ELj13ELNS0_17block_load_methodE3ELS4_3ELS4_3ELNS0_20block_scan_algorithmE0ELj4294967295EEENS1_25partition_config_selectorILNS1_17partition_subalgoE4EjNS0_10empty_typeEbEEZZNS1_14partition_implILS8_4ELb0ES6_15HIP_vector_typeIjLj2EENS0_17counting_iteratorIjlEEPS9_SG_NS0_5tupleIJPjSI_NS0_16reverse_iteratorISI_EEEEENSH_IJSG_SG_SG_EEES9_SI_JZNS1_25segmented_radix_sort_implINS0_14default_configELb1EPKaPaPKlPlN2at6native12_GLOBAL__N_18offset_tEEE10hipError_tPvRmT1_PNSt15iterator_traitsIS12_E10value_typeET2_T3_PNS13_IS18_E10value_typeET4_jRbjT5_S1E_jjP12ihipStream_tbEUljE_ZNSN_ISO_Lb1ESQ_SR_ST_SU_SY_EESZ_S10_S11_S12_S16_S17_S18_S1B_S1C_jS1D_jS1E_S1E_jjS1G_bEUljE0_EEESZ_S10_S11_S18_S1C_S1E_T6_T7_T9_mT8_S1G_bDpT10_ENKUlT_T0_E_clISt17integral_constantIbLb0EES1T_IbLb1EEEEDaS1P_S1Q_EUlS1P_E_NS1_11comp_targetILNS1_3genE3ELNS1_11target_archE908ELNS1_3gpuE7ELNS1_3repE0EEENS1_30default_config_static_selectorELNS0_4arch9wavefront6targetE0EEEvS12_,"axG",@progbits,_ZN7rocprim17ROCPRIM_400000_NS6detail17trampoline_kernelINS0_13select_configILj256ELj13ELNS0_17block_load_methodE3ELS4_3ELS4_3ELNS0_20block_scan_algorithmE0ELj4294967295EEENS1_25partition_config_selectorILNS1_17partition_subalgoE4EjNS0_10empty_typeEbEEZZNS1_14partition_implILS8_4ELb0ES6_15HIP_vector_typeIjLj2EENS0_17counting_iteratorIjlEEPS9_SG_NS0_5tupleIJPjSI_NS0_16reverse_iteratorISI_EEEEENSH_IJSG_SG_SG_EEES9_SI_JZNS1_25segmented_radix_sort_implINS0_14default_configELb1EPKaPaPKlPlN2at6native12_GLOBAL__N_18offset_tEEE10hipError_tPvRmT1_PNSt15iterator_traitsIS12_E10value_typeET2_T3_PNS13_IS18_E10value_typeET4_jRbjT5_S1E_jjP12ihipStream_tbEUljE_ZNSN_ISO_Lb1ESQ_SR_ST_SU_SY_EESZ_S10_S11_S12_S16_S17_S18_S1B_S1C_jS1D_jS1E_S1E_jjS1G_bEUljE0_EEESZ_S10_S11_S18_S1C_S1E_T6_T7_T9_mT8_S1G_bDpT10_ENKUlT_T0_E_clISt17integral_constantIbLb0EES1T_IbLb1EEEEDaS1P_S1Q_EUlS1P_E_NS1_11comp_targetILNS1_3genE3ELNS1_11target_archE908ELNS1_3gpuE7ELNS1_3repE0EEENS1_30default_config_static_selectorELNS0_4arch9wavefront6targetE0EEEvS12_,comdat
.Lfunc_end251:
	.size	_ZN7rocprim17ROCPRIM_400000_NS6detail17trampoline_kernelINS0_13select_configILj256ELj13ELNS0_17block_load_methodE3ELS4_3ELS4_3ELNS0_20block_scan_algorithmE0ELj4294967295EEENS1_25partition_config_selectorILNS1_17partition_subalgoE4EjNS0_10empty_typeEbEEZZNS1_14partition_implILS8_4ELb0ES6_15HIP_vector_typeIjLj2EENS0_17counting_iteratorIjlEEPS9_SG_NS0_5tupleIJPjSI_NS0_16reverse_iteratorISI_EEEEENSH_IJSG_SG_SG_EEES9_SI_JZNS1_25segmented_radix_sort_implINS0_14default_configELb1EPKaPaPKlPlN2at6native12_GLOBAL__N_18offset_tEEE10hipError_tPvRmT1_PNSt15iterator_traitsIS12_E10value_typeET2_T3_PNS13_IS18_E10value_typeET4_jRbjT5_S1E_jjP12ihipStream_tbEUljE_ZNSN_ISO_Lb1ESQ_SR_ST_SU_SY_EESZ_S10_S11_S12_S16_S17_S18_S1B_S1C_jS1D_jS1E_S1E_jjS1G_bEUljE0_EEESZ_S10_S11_S18_S1C_S1E_T6_T7_T9_mT8_S1G_bDpT10_ENKUlT_T0_E_clISt17integral_constantIbLb0EES1T_IbLb1EEEEDaS1P_S1Q_EUlS1P_E_NS1_11comp_targetILNS1_3genE3ELNS1_11target_archE908ELNS1_3gpuE7ELNS1_3repE0EEENS1_30default_config_static_selectorELNS0_4arch9wavefront6targetE0EEEvS12_, .Lfunc_end251-_ZN7rocprim17ROCPRIM_400000_NS6detail17trampoline_kernelINS0_13select_configILj256ELj13ELNS0_17block_load_methodE3ELS4_3ELS4_3ELNS0_20block_scan_algorithmE0ELj4294967295EEENS1_25partition_config_selectorILNS1_17partition_subalgoE4EjNS0_10empty_typeEbEEZZNS1_14partition_implILS8_4ELb0ES6_15HIP_vector_typeIjLj2EENS0_17counting_iteratorIjlEEPS9_SG_NS0_5tupleIJPjSI_NS0_16reverse_iteratorISI_EEEEENSH_IJSG_SG_SG_EEES9_SI_JZNS1_25segmented_radix_sort_implINS0_14default_configELb1EPKaPaPKlPlN2at6native12_GLOBAL__N_18offset_tEEE10hipError_tPvRmT1_PNSt15iterator_traitsIS12_E10value_typeET2_T3_PNS13_IS18_E10value_typeET4_jRbjT5_S1E_jjP12ihipStream_tbEUljE_ZNSN_ISO_Lb1ESQ_SR_ST_SU_SY_EESZ_S10_S11_S12_S16_S17_S18_S1B_S1C_jS1D_jS1E_S1E_jjS1G_bEUljE0_EEESZ_S10_S11_S18_S1C_S1E_T6_T7_T9_mT8_S1G_bDpT10_ENKUlT_T0_E_clISt17integral_constantIbLb0EES1T_IbLb1EEEEDaS1P_S1Q_EUlS1P_E_NS1_11comp_targetILNS1_3genE3ELNS1_11target_archE908ELNS1_3gpuE7ELNS1_3repE0EEENS1_30default_config_static_selectorELNS0_4arch9wavefront6targetE0EEEvS12_
                                        ; -- End function
	.set _ZN7rocprim17ROCPRIM_400000_NS6detail17trampoline_kernelINS0_13select_configILj256ELj13ELNS0_17block_load_methodE3ELS4_3ELS4_3ELNS0_20block_scan_algorithmE0ELj4294967295EEENS1_25partition_config_selectorILNS1_17partition_subalgoE4EjNS0_10empty_typeEbEEZZNS1_14partition_implILS8_4ELb0ES6_15HIP_vector_typeIjLj2EENS0_17counting_iteratorIjlEEPS9_SG_NS0_5tupleIJPjSI_NS0_16reverse_iteratorISI_EEEEENSH_IJSG_SG_SG_EEES9_SI_JZNS1_25segmented_radix_sort_implINS0_14default_configELb1EPKaPaPKlPlN2at6native12_GLOBAL__N_18offset_tEEE10hipError_tPvRmT1_PNSt15iterator_traitsIS12_E10value_typeET2_T3_PNS13_IS18_E10value_typeET4_jRbjT5_S1E_jjP12ihipStream_tbEUljE_ZNSN_ISO_Lb1ESQ_SR_ST_SU_SY_EESZ_S10_S11_S12_S16_S17_S18_S1B_S1C_jS1D_jS1E_S1E_jjS1G_bEUljE0_EEESZ_S10_S11_S18_S1C_S1E_T6_T7_T9_mT8_S1G_bDpT10_ENKUlT_T0_E_clISt17integral_constantIbLb0EES1T_IbLb1EEEEDaS1P_S1Q_EUlS1P_E_NS1_11comp_targetILNS1_3genE3ELNS1_11target_archE908ELNS1_3gpuE7ELNS1_3repE0EEENS1_30default_config_static_selectorELNS0_4arch9wavefront6targetE0EEEvS12_.num_vgpr, 0
	.set _ZN7rocprim17ROCPRIM_400000_NS6detail17trampoline_kernelINS0_13select_configILj256ELj13ELNS0_17block_load_methodE3ELS4_3ELS4_3ELNS0_20block_scan_algorithmE0ELj4294967295EEENS1_25partition_config_selectorILNS1_17partition_subalgoE4EjNS0_10empty_typeEbEEZZNS1_14partition_implILS8_4ELb0ES6_15HIP_vector_typeIjLj2EENS0_17counting_iteratorIjlEEPS9_SG_NS0_5tupleIJPjSI_NS0_16reverse_iteratorISI_EEEEENSH_IJSG_SG_SG_EEES9_SI_JZNS1_25segmented_radix_sort_implINS0_14default_configELb1EPKaPaPKlPlN2at6native12_GLOBAL__N_18offset_tEEE10hipError_tPvRmT1_PNSt15iterator_traitsIS12_E10value_typeET2_T3_PNS13_IS18_E10value_typeET4_jRbjT5_S1E_jjP12ihipStream_tbEUljE_ZNSN_ISO_Lb1ESQ_SR_ST_SU_SY_EESZ_S10_S11_S12_S16_S17_S18_S1B_S1C_jS1D_jS1E_S1E_jjS1G_bEUljE0_EEESZ_S10_S11_S18_S1C_S1E_T6_T7_T9_mT8_S1G_bDpT10_ENKUlT_T0_E_clISt17integral_constantIbLb0EES1T_IbLb1EEEEDaS1P_S1Q_EUlS1P_E_NS1_11comp_targetILNS1_3genE3ELNS1_11target_archE908ELNS1_3gpuE7ELNS1_3repE0EEENS1_30default_config_static_selectorELNS0_4arch9wavefront6targetE0EEEvS12_.num_agpr, 0
	.set _ZN7rocprim17ROCPRIM_400000_NS6detail17trampoline_kernelINS0_13select_configILj256ELj13ELNS0_17block_load_methodE3ELS4_3ELS4_3ELNS0_20block_scan_algorithmE0ELj4294967295EEENS1_25partition_config_selectorILNS1_17partition_subalgoE4EjNS0_10empty_typeEbEEZZNS1_14partition_implILS8_4ELb0ES6_15HIP_vector_typeIjLj2EENS0_17counting_iteratorIjlEEPS9_SG_NS0_5tupleIJPjSI_NS0_16reverse_iteratorISI_EEEEENSH_IJSG_SG_SG_EEES9_SI_JZNS1_25segmented_radix_sort_implINS0_14default_configELb1EPKaPaPKlPlN2at6native12_GLOBAL__N_18offset_tEEE10hipError_tPvRmT1_PNSt15iterator_traitsIS12_E10value_typeET2_T3_PNS13_IS18_E10value_typeET4_jRbjT5_S1E_jjP12ihipStream_tbEUljE_ZNSN_ISO_Lb1ESQ_SR_ST_SU_SY_EESZ_S10_S11_S12_S16_S17_S18_S1B_S1C_jS1D_jS1E_S1E_jjS1G_bEUljE0_EEESZ_S10_S11_S18_S1C_S1E_T6_T7_T9_mT8_S1G_bDpT10_ENKUlT_T0_E_clISt17integral_constantIbLb0EES1T_IbLb1EEEEDaS1P_S1Q_EUlS1P_E_NS1_11comp_targetILNS1_3genE3ELNS1_11target_archE908ELNS1_3gpuE7ELNS1_3repE0EEENS1_30default_config_static_selectorELNS0_4arch9wavefront6targetE0EEEvS12_.numbered_sgpr, 0
	.set _ZN7rocprim17ROCPRIM_400000_NS6detail17trampoline_kernelINS0_13select_configILj256ELj13ELNS0_17block_load_methodE3ELS4_3ELS4_3ELNS0_20block_scan_algorithmE0ELj4294967295EEENS1_25partition_config_selectorILNS1_17partition_subalgoE4EjNS0_10empty_typeEbEEZZNS1_14partition_implILS8_4ELb0ES6_15HIP_vector_typeIjLj2EENS0_17counting_iteratorIjlEEPS9_SG_NS0_5tupleIJPjSI_NS0_16reverse_iteratorISI_EEEEENSH_IJSG_SG_SG_EEES9_SI_JZNS1_25segmented_radix_sort_implINS0_14default_configELb1EPKaPaPKlPlN2at6native12_GLOBAL__N_18offset_tEEE10hipError_tPvRmT1_PNSt15iterator_traitsIS12_E10value_typeET2_T3_PNS13_IS18_E10value_typeET4_jRbjT5_S1E_jjP12ihipStream_tbEUljE_ZNSN_ISO_Lb1ESQ_SR_ST_SU_SY_EESZ_S10_S11_S12_S16_S17_S18_S1B_S1C_jS1D_jS1E_S1E_jjS1G_bEUljE0_EEESZ_S10_S11_S18_S1C_S1E_T6_T7_T9_mT8_S1G_bDpT10_ENKUlT_T0_E_clISt17integral_constantIbLb0EES1T_IbLb1EEEEDaS1P_S1Q_EUlS1P_E_NS1_11comp_targetILNS1_3genE3ELNS1_11target_archE908ELNS1_3gpuE7ELNS1_3repE0EEENS1_30default_config_static_selectorELNS0_4arch9wavefront6targetE0EEEvS12_.num_named_barrier, 0
	.set _ZN7rocprim17ROCPRIM_400000_NS6detail17trampoline_kernelINS0_13select_configILj256ELj13ELNS0_17block_load_methodE3ELS4_3ELS4_3ELNS0_20block_scan_algorithmE0ELj4294967295EEENS1_25partition_config_selectorILNS1_17partition_subalgoE4EjNS0_10empty_typeEbEEZZNS1_14partition_implILS8_4ELb0ES6_15HIP_vector_typeIjLj2EENS0_17counting_iteratorIjlEEPS9_SG_NS0_5tupleIJPjSI_NS0_16reverse_iteratorISI_EEEEENSH_IJSG_SG_SG_EEES9_SI_JZNS1_25segmented_radix_sort_implINS0_14default_configELb1EPKaPaPKlPlN2at6native12_GLOBAL__N_18offset_tEEE10hipError_tPvRmT1_PNSt15iterator_traitsIS12_E10value_typeET2_T3_PNS13_IS18_E10value_typeET4_jRbjT5_S1E_jjP12ihipStream_tbEUljE_ZNSN_ISO_Lb1ESQ_SR_ST_SU_SY_EESZ_S10_S11_S12_S16_S17_S18_S1B_S1C_jS1D_jS1E_S1E_jjS1G_bEUljE0_EEESZ_S10_S11_S18_S1C_S1E_T6_T7_T9_mT8_S1G_bDpT10_ENKUlT_T0_E_clISt17integral_constantIbLb0EES1T_IbLb1EEEEDaS1P_S1Q_EUlS1P_E_NS1_11comp_targetILNS1_3genE3ELNS1_11target_archE908ELNS1_3gpuE7ELNS1_3repE0EEENS1_30default_config_static_selectorELNS0_4arch9wavefront6targetE0EEEvS12_.private_seg_size, 0
	.set _ZN7rocprim17ROCPRIM_400000_NS6detail17trampoline_kernelINS0_13select_configILj256ELj13ELNS0_17block_load_methodE3ELS4_3ELS4_3ELNS0_20block_scan_algorithmE0ELj4294967295EEENS1_25partition_config_selectorILNS1_17partition_subalgoE4EjNS0_10empty_typeEbEEZZNS1_14partition_implILS8_4ELb0ES6_15HIP_vector_typeIjLj2EENS0_17counting_iteratorIjlEEPS9_SG_NS0_5tupleIJPjSI_NS0_16reverse_iteratorISI_EEEEENSH_IJSG_SG_SG_EEES9_SI_JZNS1_25segmented_radix_sort_implINS0_14default_configELb1EPKaPaPKlPlN2at6native12_GLOBAL__N_18offset_tEEE10hipError_tPvRmT1_PNSt15iterator_traitsIS12_E10value_typeET2_T3_PNS13_IS18_E10value_typeET4_jRbjT5_S1E_jjP12ihipStream_tbEUljE_ZNSN_ISO_Lb1ESQ_SR_ST_SU_SY_EESZ_S10_S11_S12_S16_S17_S18_S1B_S1C_jS1D_jS1E_S1E_jjS1G_bEUljE0_EEESZ_S10_S11_S18_S1C_S1E_T6_T7_T9_mT8_S1G_bDpT10_ENKUlT_T0_E_clISt17integral_constantIbLb0EES1T_IbLb1EEEEDaS1P_S1Q_EUlS1P_E_NS1_11comp_targetILNS1_3genE3ELNS1_11target_archE908ELNS1_3gpuE7ELNS1_3repE0EEENS1_30default_config_static_selectorELNS0_4arch9wavefront6targetE0EEEvS12_.uses_vcc, 0
	.set _ZN7rocprim17ROCPRIM_400000_NS6detail17trampoline_kernelINS0_13select_configILj256ELj13ELNS0_17block_load_methodE3ELS4_3ELS4_3ELNS0_20block_scan_algorithmE0ELj4294967295EEENS1_25partition_config_selectorILNS1_17partition_subalgoE4EjNS0_10empty_typeEbEEZZNS1_14partition_implILS8_4ELb0ES6_15HIP_vector_typeIjLj2EENS0_17counting_iteratorIjlEEPS9_SG_NS0_5tupleIJPjSI_NS0_16reverse_iteratorISI_EEEEENSH_IJSG_SG_SG_EEES9_SI_JZNS1_25segmented_radix_sort_implINS0_14default_configELb1EPKaPaPKlPlN2at6native12_GLOBAL__N_18offset_tEEE10hipError_tPvRmT1_PNSt15iterator_traitsIS12_E10value_typeET2_T3_PNS13_IS18_E10value_typeET4_jRbjT5_S1E_jjP12ihipStream_tbEUljE_ZNSN_ISO_Lb1ESQ_SR_ST_SU_SY_EESZ_S10_S11_S12_S16_S17_S18_S1B_S1C_jS1D_jS1E_S1E_jjS1G_bEUljE0_EEESZ_S10_S11_S18_S1C_S1E_T6_T7_T9_mT8_S1G_bDpT10_ENKUlT_T0_E_clISt17integral_constantIbLb0EES1T_IbLb1EEEEDaS1P_S1Q_EUlS1P_E_NS1_11comp_targetILNS1_3genE3ELNS1_11target_archE908ELNS1_3gpuE7ELNS1_3repE0EEENS1_30default_config_static_selectorELNS0_4arch9wavefront6targetE0EEEvS12_.uses_flat_scratch, 0
	.set _ZN7rocprim17ROCPRIM_400000_NS6detail17trampoline_kernelINS0_13select_configILj256ELj13ELNS0_17block_load_methodE3ELS4_3ELS4_3ELNS0_20block_scan_algorithmE0ELj4294967295EEENS1_25partition_config_selectorILNS1_17partition_subalgoE4EjNS0_10empty_typeEbEEZZNS1_14partition_implILS8_4ELb0ES6_15HIP_vector_typeIjLj2EENS0_17counting_iteratorIjlEEPS9_SG_NS0_5tupleIJPjSI_NS0_16reverse_iteratorISI_EEEEENSH_IJSG_SG_SG_EEES9_SI_JZNS1_25segmented_radix_sort_implINS0_14default_configELb1EPKaPaPKlPlN2at6native12_GLOBAL__N_18offset_tEEE10hipError_tPvRmT1_PNSt15iterator_traitsIS12_E10value_typeET2_T3_PNS13_IS18_E10value_typeET4_jRbjT5_S1E_jjP12ihipStream_tbEUljE_ZNSN_ISO_Lb1ESQ_SR_ST_SU_SY_EESZ_S10_S11_S12_S16_S17_S18_S1B_S1C_jS1D_jS1E_S1E_jjS1G_bEUljE0_EEESZ_S10_S11_S18_S1C_S1E_T6_T7_T9_mT8_S1G_bDpT10_ENKUlT_T0_E_clISt17integral_constantIbLb0EES1T_IbLb1EEEEDaS1P_S1Q_EUlS1P_E_NS1_11comp_targetILNS1_3genE3ELNS1_11target_archE908ELNS1_3gpuE7ELNS1_3repE0EEENS1_30default_config_static_selectorELNS0_4arch9wavefront6targetE0EEEvS12_.has_dyn_sized_stack, 0
	.set _ZN7rocprim17ROCPRIM_400000_NS6detail17trampoline_kernelINS0_13select_configILj256ELj13ELNS0_17block_load_methodE3ELS4_3ELS4_3ELNS0_20block_scan_algorithmE0ELj4294967295EEENS1_25partition_config_selectorILNS1_17partition_subalgoE4EjNS0_10empty_typeEbEEZZNS1_14partition_implILS8_4ELb0ES6_15HIP_vector_typeIjLj2EENS0_17counting_iteratorIjlEEPS9_SG_NS0_5tupleIJPjSI_NS0_16reverse_iteratorISI_EEEEENSH_IJSG_SG_SG_EEES9_SI_JZNS1_25segmented_radix_sort_implINS0_14default_configELb1EPKaPaPKlPlN2at6native12_GLOBAL__N_18offset_tEEE10hipError_tPvRmT1_PNSt15iterator_traitsIS12_E10value_typeET2_T3_PNS13_IS18_E10value_typeET4_jRbjT5_S1E_jjP12ihipStream_tbEUljE_ZNSN_ISO_Lb1ESQ_SR_ST_SU_SY_EESZ_S10_S11_S12_S16_S17_S18_S1B_S1C_jS1D_jS1E_S1E_jjS1G_bEUljE0_EEESZ_S10_S11_S18_S1C_S1E_T6_T7_T9_mT8_S1G_bDpT10_ENKUlT_T0_E_clISt17integral_constantIbLb0EES1T_IbLb1EEEEDaS1P_S1Q_EUlS1P_E_NS1_11comp_targetILNS1_3genE3ELNS1_11target_archE908ELNS1_3gpuE7ELNS1_3repE0EEENS1_30default_config_static_selectorELNS0_4arch9wavefront6targetE0EEEvS12_.has_recursion, 0
	.set _ZN7rocprim17ROCPRIM_400000_NS6detail17trampoline_kernelINS0_13select_configILj256ELj13ELNS0_17block_load_methodE3ELS4_3ELS4_3ELNS0_20block_scan_algorithmE0ELj4294967295EEENS1_25partition_config_selectorILNS1_17partition_subalgoE4EjNS0_10empty_typeEbEEZZNS1_14partition_implILS8_4ELb0ES6_15HIP_vector_typeIjLj2EENS0_17counting_iteratorIjlEEPS9_SG_NS0_5tupleIJPjSI_NS0_16reverse_iteratorISI_EEEEENSH_IJSG_SG_SG_EEES9_SI_JZNS1_25segmented_radix_sort_implINS0_14default_configELb1EPKaPaPKlPlN2at6native12_GLOBAL__N_18offset_tEEE10hipError_tPvRmT1_PNSt15iterator_traitsIS12_E10value_typeET2_T3_PNS13_IS18_E10value_typeET4_jRbjT5_S1E_jjP12ihipStream_tbEUljE_ZNSN_ISO_Lb1ESQ_SR_ST_SU_SY_EESZ_S10_S11_S12_S16_S17_S18_S1B_S1C_jS1D_jS1E_S1E_jjS1G_bEUljE0_EEESZ_S10_S11_S18_S1C_S1E_T6_T7_T9_mT8_S1G_bDpT10_ENKUlT_T0_E_clISt17integral_constantIbLb0EES1T_IbLb1EEEEDaS1P_S1Q_EUlS1P_E_NS1_11comp_targetILNS1_3genE3ELNS1_11target_archE908ELNS1_3gpuE7ELNS1_3repE0EEENS1_30default_config_static_selectorELNS0_4arch9wavefront6targetE0EEEvS12_.has_indirect_call, 0
	.section	.AMDGPU.csdata,"",@progbits
; Kernel info:
; codeLenInByte = 0
; TotalNumSgprs: 0
; NumVgprs: 0
; ScratchSize: 0
; MemoryBound: 0
; FloatMode: 240
; IeeeMode: 1
; LDSByteSize: 0 bytes/workgroup (compile time only)
; SGPRBlocks: 0
; VGPRBlocks: 0
; NumSGPRsForWavesPerEU: 1
; NumVGPRsForWavesPerEU: 1
; NamedBarCnt: 0
; Occupancy: 16
; WaveLimiterHint : 0
; COMPUTE_PGM_RSRC2:SCRATCH_EN: 0
; COMPUTE_PGM_RSRC2:USER_SGPR: 2
; COMPUTE_PGM_RSRC2:TRAP_HANDLER: 0
; COMPUTE_PGM_RSRC2:TGID_X_EN: 1
; COMPUTE_PGM_RSRC2:TGID_Y_EN: 0
; COMPUTE_PGM_RSRC2:TGID_Z_EN: 0
; COMPUTE_PGM_RSRC2:TIDIG_COMP_CNT: 0
	.section	.text._ZN7rocprim17ROCPRIM_400000_NS6detail17trampoline_kernelINS0_13select_configILj256ELj13ELNS0_17block_load_methodE3ELS4_3ELS4_3ELNS0_20block_scan_algorithmE0ELj4294967295EEENS1_25partition_config_selectorILNS1_17partition_subalgoE4EjNS0_10empty_typeEbEEZZNS1_14partition_implILS8_4ELb0ES6_15HIP_vector_typeIjLj2EENS0_17counting_iteratorIjlEEPS9_SG_NS0_5tupleIJPjSI_NS0_16reverse_iteratorISI_EEEEENSH_IJSG_SG_SG_EEES9_SI_JZNS1_25segmented_radix_sort_implINS0_14default_configELb1EPKaPaPKlPlN2at6native12_GLOBAL__N_18offset_tEEE10hipError_tPvRmT1_PNSt15iterator_traitsIS12_E10value_typeET2_T3_PNS13_IS18_E10value_typeET4_jRbjT5_S1E_jjP12ihipStream_tbEUljE_ZNSN_ISO_Lb1ESQ_SR_ST_SU_SY_EESZ_S10_S11_S12_S16_S17_S18_S1B_S1C_jS1D_jS1E_S1E_jjS1G_bEUljE0_EEESZ_S10_S11_S18_S1C_S1E_T6_T7_T9_mT8_S1G_bDpT10_ENKUlT_T0_E_clISt17integral_constantIbLb0EES1T_IbLb1EEEEDaS1P_S1Q_EUlS1P_E_NS1_11comp_targetILNS1_3genE2ELNS1_11target_archE906ELNS1_3gpuE6ELNS1_3repE0EEENS1_30default_config_static_selectorELNS0_4arch9wavefront6targetE0EEEvS12_,"axG",@progbits,_ZN7rocprim17ROCPRIM_400000_NS6detail17trampoline_kernelINS0_13select_configILj256ELj13ELNS0_17block_load_methodE3ELS4_3ELS4_3ELNS0_20block_scan_algorithmE0ELj4294967295EEENS1_25partition_config_selectorILNS1_17partition_subalgoE4EjNS0_10empty_typeEbEEZZNS1_14partition_implILS8_4ELb0ES6_15HIP_vector_typeIjLj2EENS0_17counting_iteratorIjlEEPS9_SG_NS0_5tupleIJPjSI_NS0_16reverse_iteratorISI_EEEEENSH_IJSG_SG_SG_EEES9_SI_JZNS1_25segmented_radix_sort_implINS0_14default_configELb1EPKaPaPKlPlN2at6native12_GLOBAL__N_18offset_tEEE10hipError_tPvRmT1_PNSt15iterator_traitsIS12_E10value_typeET2_T3_PNS13_IS18_E10value_typeET4_jRbjT5_S1E_jjP12ihipStream_tbEUljE_ZNSN_ISO_Lb1ESQ_SR_ST_SU_SY_EESZ_S10_S11_S12_S16_S17_S18_S1B_S1C_jS1D_jS1E_S1E_jjS1G_bEUljE0_EEESZ_S10_S11_S18_S1C_S1E_T6_T7_T9_mT8_S1G_bDpT10_ENKUlT_T0_E_clISt17integral_constantIbLb0EES1T_IbLb1EEEEDaS1P_S1Q_EUlS1P_E_NS1_11comp_targetILNS1_3genE2ELNS1_11target_archE906ELNS1_3gpuE6ELNS1_3repE0EEENS1_30default_config_static_selectorELNS0_4arch9wavefront6targetE0EEEvS12_,comdat
	.globl	_ZN7rocprim17ROCPRIM_400000_NS6detail17trampoline_kernelINS0_13select_configILj256ELj13ELNS0_17block_load_methodE3ELS4_3ELS4_3ELNS0_20block_scan_algorithmE0ELj4294967295EEENS1_25partition_config_selectorILNS1_17partition_subalgoE4EjNS0_10empty_typeEbEEZZNS1_14partition_implILS8_4ELb0ES6_15HIP_vector_typeIjLj2EENS0_17counting_iteratorIjlEEPS9_SG_NS0_5tupleIJPjSI_NS0_16reverse_iteratorISI_EEEEENSH_IJSG_SG_SG_EEES9_SI_JZNS1_25segmented_radix_sort_implINS0_14default_configELb1EPKaPaPKlPlN2at6native12_GLOBAL__N_18offset_tEEE10hipError_tPvRmT1_PNSt15iterator_traitsIS12_E10value_typeET2_T3_PNS13_IS18_E10value_typeET4_jRbjT5_S1E_jjP12ihipStream_tbEUljE_ZNSN_ISO_Lb1ESQ_SR_ST_SU_SY_EESZ_S10_S11_S12_S16_S17_S18_S1B_S1C_jS1D_jS1E_S1E_jjS1G_bEUljE0_EEESZ_S10_S11_S18_S1C_S1E_T6_T7_T9_mT8_S1G_bDpT10_ENKUlT_T0_E_clISt17integral_constantIbLb0EES1T_IbLb1EEEEDaS1P_S1Q_EUlS1P_E_NS1_11comp_targetILNS1_3genE2ELNS1_11target_archE906ELNS1_3gpuE6ELNS1_3repE0EEENS1_30default_config_static_selectorELNS0_4arch9wavefront6targetE0EEEvS12_ ; -- Begin function _ZN7rocprim17ROCPRIM_400000_NS6detail17trampoline_kernelINS0_13select_configILj256ELj13ELNS0_17block_load_methodE3ELS4_3ELS4_3ELNS0_20block_scan_algorithmE0ELj4294967295EEENS1_25partition_config_selectorILNS1_17partition_subalgoE4EjNS0_10empty_typeEbEEZZNS1_14partition_implILS8_4ELb0ES6_15HIP_vector_typeIjLj2EENS0_17counting_iteratorIjlEEPS9_SG_NS0_5tupleIJPjSI_NS0_16reverse_iteratorISI_EEEEENSH_IJSG_SG_SG_EEES9_SI_JZNS1_25segmented_radix_sort_implINS0_14default_configELb1EPKaPaPKlPlN2at6native12_GLOBAL__N_18offset_tEEE10hipError_tPvRmT1_PNSt15iterator_traitsIS12_E10value_typeET2_T3_PNS13_IS18_E10value_typeET4_jRbjT5_S1E_jjP12ihipStream_tbEUljE_ZNSN_ISO_Lb1ESQ_SR_ST_SU_SY_EESZ_S10_S11_S12_S16_S17_S18_S1B_S1C_jS1D_jS1E_S1E_jjS1G_bEUljE0_EEESZ_S10_S11_S18_S1C_S1E_T6_T7_T9_mT8_S1G_bDpT10_ENKUlT_T0_E_clISt17integral_constantIbLb0EES1T_IbLb1EEEEDaS1P_S1Q_EUlS1P_E_NS1_11comp_targetILNS1_3genE2ELNS1_11target_archE906ELNS1_3gpuE6ELNS1_3repE0EEENS1_30default_config_static_selectorELNS0_4arch9wavefront6targetE0EEEvS12_
	.p2align	8
	.type	_ZN7rocprim17ROCPRIM_400000_NS6detail17trampoline_kernelINS0_13select_configILj256ELj13ELNS0_17block_load_methodE3ELS4_3ELS4_3ELNS0_20block_scan_algorithmE0ELj4294967295EEENS1_25partition_config_selectorILNS1_17partition_subalgoE4EjNS0_10empty_typeEbEEZZNS1_14partition_implILS8_4ELb0ES6_15HIP_vector_typeIjLj2EENS0_17counting_iteratorIjlEEPS9_SG_NS0_5tupleIJPjSI_NS0_16reverse_iteratorISI_EEEEENSH_IJSG_SG_SG_EEES9_SI_JZNS1_25segmented_radix_sort_implINS0_14default_configELb1EPKaPaPKlPlN2at6native12_GLOBAL__N_18offset_tEEE10hipError_tPvRmT1_PNSt15iterator_traitsIS12_E10value_typeET2_T3_PNS13_IS18_E10value_typeET4_jRbjT5_S1E_jjP12ihipStream_tbEUljE_ZNSN_ISO_Lb1ESQ_SR_ST_SU_SY_EESZ_S10_S11_S12_S16_S17_S18_S1B_S1C_jS1D_jS1E_S1E_jjS1G_bEUljE0_EEESZ_S10_S11_S18_S1C_S1E_T6_T7_T9_mT8_S1G_bDpT10_ENKUlT_T0_E_clISt17integral_constantIbLb0EES1T_IbLb1EEEEDaS1P_S1Q_EUlS1P_E_NS1_11comp_targetILNS1_3genE2ELNS1_11target_archE906ELNS1_3gpuE6ELNS1_3repE0EEENS1_30default_config_static_selectorELNS0_4arch9wavefront6targetE0EEEvS12_,@function
_ZN7rocprim17ROCPRIM_400000_NS6detail17trampoline_kernelINS0_13select_configILj256ELj13ELNS0_17block_load_methodE3ELS4_3ELS4_3ELNS0_20block_scan_algorithmE0ELj4294967295EEENS1_25partition_config_selectorILNS1_17partition_subalgoE4EjNS0_10empty_typeEbEEZZNS1_14partition_implILS8_4ELb0ES6_15HIP_vector_typeIjLj2EENS0_17counting_iteratorIjlEEPS9_SG_NS0_5tupleIJPjSI_NS0_16reverse_iteratorISI_EEEEENSH_IJSG_SG_SG_EEES9_SI_JZNS1_25segmented_radix_sort_implINS0_14default_configELb1EPKaPaPKlPlN2at6native12_GLOBAL__N_18offset_tEEE10hipError_tPvRmT1_PNSt15iterator_traitsIS12_E10value_typeET2_T3_PNS13_IS18_E10value_typeET4_jRbjT5_S1E_jjP12ihipStream_tbEUljE_ZNSN_ISO_Lb1ESQ_SR_ST_SU_SY_EESZ_S10_S11_S12_S16_S17_S18_S1B_S1C_jS1D_jS1E_S1E_jjS1G_bEUljE0_EEESZ_S10_S11_S18_S1C_S1E_T6_T7_T9_mT8_S1G_bDpT10_ENKUlT_T0_E_clISt17integral_constantIbLb0EES1T_IbLb1EEEEDaS1P_S1Q_EUlS1P_E_NS1_11comp_targetILNS1_3genE2ELNS1_11target_archE906ELNS1_3gpuE6ELNS1_3repE0EEENS1_30default_config_static_selectorELNS0_4arch9wavefront6targetE0EEEvS12_: ; @_ZN7rocprim17ROCPRIM_400000_NS6detail17trampoline_kernelINS0_13select_configILj256ELj13ELNS0_17block_load_methodE3ELS4_3ELS4_3ELNS0_20block_scan_algorithmE0ELj4294967295EEENS1_25partition_config_selectorILNS1_17partition_subalgoE4EjNS0_10empty_typeEbEEZZNS1_14partition_implILS8_4ELb0ES6_15HIP_vector_typeIjLj2EENS0_17counting_iteratorIjlEEPS9_SG_NS0_5tupleIJPjSI_NS0_16reverse_iteratorISI_EEEEENSH_IJSG_SG_SG_EEES9_SI_JZNS1_25segmented_radix_sort_implINS0_14default_configELb1EPKaPaPKlPlN2at6native12_GLOBAL__N_18offset_tEEE10hipError_tPvRmT1_PNSt15iterator_traitsIS12_E10value_typeET2_T3_PNS13_IS18_E10value_typeET4_jRbjT5_S1E_jjP12ihipStream_tbEUljE_ZNSN_ISO_Lb1ESQ_SR_ST_SU_SY_EESZ_S10_S11_S12_S16_S17_S18_S1B_S1C_jS1D_jS1E_S1E_jjS1G_bEUljE0_EEESZ_S10_S11_S18_S1C_S1E_T6_T7_T9_mT8_S1G_bDpT10_ENKUlT_T0_E_clISt17integral_constantIbLb0EES1T_IbLb1EEEEDaS1P_S1Q_EUlS1P_E_NS1_11comp_targetILNS1_3genE2ELNS1_11target_archE906ELNS1_3gpuE6ELNS1_3repE0EEENS1_30default_config_static_selectorELNS0_4arch9wavefront6targetE0EEEvS12_
; %bb.0:
	.section	.rodata,"a",@progbits
	.p2align	6, 0x0
	.amdhsa_kernel _ZN7rocprim17ROCPRIM_400000_NS6detail17trampoline_kernelINS0_13select_configILj256ELj13ELNS0_17block_load_methodE3ELS4_3ELS4_3ELNS0_20block_scan_algorithmE0ELj4294967295EEENS1_25partition_config_selectorILNS1_17partition_subalgoE4EjNS0_10empty_typeEbEEZZNS1_14partition_implILS8_4ELb0ES6_15HIP_vector_typeIjLj2EENS0_17counting_iteratorIjlEEPS9_SG_NS0_5tupleIJPjSI_NS0_16reverse_iteratorISI_EEEEENSH_IJSG_SG_SG_EEES9_SI_JZNS1_25segmented_radix_sort_implINS0_14default_configELb1EPKaPaPKlPlN2at6native12_GLOBAL__N_18offset_tEEE10hipError_tPvRmT1_PNSt15iterator_traitsIS12_E10value_typeET2_T3_PNS13_IS18_E10value_typeET4_jRbjT5_S1E_jjP12ihipStream_tbEUljE_ZNSN_ISO_Lb1ESQ_SR_ST_SU_SY_EESZ_S10_S11_S12_S16_S17_S18_S1B_S1C_jS1D_jS1E_S1E_jjS1G_bEUljE0_EEESZ_S10_S11_S18_S1C_S1E_T6_T7_T9_mT8_S1G_bDpT10_ENKUlT_T0_E_clISt17integral_constantIbLb0EES1T_IbLb1EEEEDaS1P_S1Q_EUlS1P_E_NS1_11comp_targetILNS1_3genE2ELNS1_11target_archE906ELNS1_3gpuE6ELNS1_3repE0EEENS1_30default_config_static_selectorELNS0_4arch9wavefront6targetE0EEEvS12_
		.amdhsa_group_segment_fixed_size 0
		.amdhsa_private_segment_fixed_size 0
		.amdhsa_kernarg_size 184
		.amdhsa_user_sgpr_count 2
		.amdhsa_user_sgpr_dispatch_ptr 0
		.amdhsa_user_sgpr_queue_ptr 0
		.amdhsa_user_sgpr_kernarg_segment_ptr 1
		.amdhsa_user_sgpr_dispatch_id 0
		.amdhsa_user_sgpr_kernarg_preload_length 0
		.amdhsa_user_sgpr_kernarg_preload_offset 0
		.amdhsa_user_sgpr_private_segment_size 0
		.amdhsa_wavefront_size32 1
		.amdhsa_uses_dynamic_stack 0
		.amdhsa_enable_private_segment 0
		.amdhsa_system_sgpr_workgroup_id_x 1
		.amdhsa_system_sgpr_workgroup_id_y 0
		.amdhsa_system_sgpr_workgroup_id_z 0
		.amdhsa_system_sgpr_workgroup_info 0
		.amdhsa_system_vgpr_workitem_id 0
		.amdhsa_next_free_vgpr 1
		.amdhsa_next_free_sgpr 1
		.amdhsa_named_barrier_count 0
		.amdhsa_reserve_vcc 0
		.amdhsa_float_round_mode_32 0
		.amdhsa_float_round_mode_16_64 0
		.amdhsa_float_denorm_mode_32 3
		.amdhsa_float_denorm_mode_16_64 3
		.amdhsa_fp16_overflow 0
		.amdhsa_memory_ordered 1
		.amdhsa_forward_progress 1
		.amdhsa_inst_pref_size 0
		.amdhsa_round_robin_scheduling 0
		.amdhsa_exception_fp_ieee_invalid_op 0
		.amdhsa_exception_fp_denorm_src 0
		.amdhsa_exception_fp_ieee_div_zero 0
		.amdhsa_exception_fp_ieee_overflow 0
		.amdhsa_exception_fp_ieee_underflow 0
		.amdhsa_exception_fp_ieee_inexact 0
		.amdhsa_exception_int_div_zero 0
	.end_amdhsa_kernel
	.section	.text._ZN7rocprim17ROCPRIM_400000_NS6detail17trampoline_kernelINS0_13select_configILj256ELj13ELNS0_17block_load_methodE3ELS4_3ELS4_3ELNS0_20block_scan_algorithmE0ELj4294967295EEENS1_25partition_config_selectorILNS1_17partition_subalgoE4EjNS0_10empty_typeEbEEZZNS1_14partition_implILS8_4ELb0ES6_15HIP_vector_typeIjLj2EENS0_17counting_iteratorIjlEEPS9_SG_NS0_5tupleIJPjSI_NS0_16reverse_iteratorISI_EEEEENSH_IJSG_SG_SG_EEES9_SI_JZNS1_25segmented_radix_sort_implINS0_14default_configELb1EPKaPaPKlPlN2at6native12_GLOBAL__N_18offset_tEEE10hipError_tPvRmT1_PNSt15iterator_traitsIS12_E10value_typeET2_T3_PNS13_IS18_E10value_typeET4_jRbjT5_S1E_jjP12ihipStream_tbEUljE_ZNSN_ISO_Lb1ESQ_SR_ST_SU_SY_EESZ_S10_S11_S12_S16_S17_S18_S1B_S1C_jS1D_jS1E_S1E_jjS1G_bEUljE0_EEESZ_S10_S11_S18_S1C_S1E_T6_T7_T9_mT8_S1G_bDpT10_ENKUlT_T0_E_clISt17integral_constantIbLb0EES1T_IbLb1EEEEDaS1P_S1Q_EUlS1P_E_NS1_11comp_targetILNS1_3genE2ELNS1_11target_archE906ELNS1_3gpuE6ELNS1_3repE0EEENS1_30default_config_static_selectorELNS0_4arch9wavefront6targetE0EEEvS12_,"axG",@progbits,_ZN7rocprim17ROCPRIM_400000_NS6detail17trampoline_kernelINS0_13select_configILj256ELj13ELNS0_17block_load_methodE3ELS4_3ELS4_3ELNS0_20block_scan_algorithmE0ELj4294967295EEENS1_25partition_config_selectorILNS1_17partition_subalgoE4EjNS0_10empty_typeEbEEZZNS1_14partition_implILS8_4ELb0ES6_15HIP_vector_typeIjLj2EENS0_17counting_iteratorIjlEEPS9_SG_NS0_5tupleIJPjSI_NS0_16reverse_iteratorISI_EEEEENSH_IJSG_SG_SG_EEES9_SI_JZNS1_25segmented_radix_sort_implINS0_14default_configELb1EPKaPaPKlPlN2at6native12_GLOBAL__N_18offset_tEEE10hipError_tPvRmT1_PNSt15iterator_traitsIS12_E10value_typeET2_T3_PNS13_IS18_E10value_typeET4_jRbjT5_S1E_jjP12ihipStream_tbEUljE_ZNSN_ISO_Lb1ESQ_SR_ST_SU_SY_EESZ_S10_S11_S12_S16_S17_S18_S1B_S1C_jS1D_jS1E_S1E_jjS1G_bEUljE0_EEESZ_S10_S11_S18_S1C_S1E_T6_T7_T9_mT8_S1G_bDpT10_ENKUlT_T0_E_clISt17integral_constantIbLb0EES1T_IbLb1EEEEDaS1P_S1Q_EUlS1P_E_NS1_11comp_targetILNS1_3genE2ELNS1_11target_archE906ELNS1_3gpuE6ELNS1_3repE0EEENS1_30default_config_static_selectorELNS0_4arch9wavefront6targetE0EEEvS12_,comdat
.Lfunc_end252:
	.size	_ZN7rocprim17ROCPRIM_400000_NS6detail17trampoline_kernelINS0_13select_configILj256ELj13ELNS0_17block_load_methodE3ELS4_3ELS4_3ELNS0_20block_scan_algorithmE0ELj4294967295EEENS1_25partition_config_selectorILNS1_17partition_subalgoE4EjNS0_10empty_typeEbEEZZNS1_14partition_implILS8_4ELb0ES6_15HIP_vector_typeIjLj2EENS0_17counting_iteratorIjlEEPS9_SG_NS0_5tupleIJPjSI_NS0_16reverse_iteratorISI_EEEEENSH_IJSG_SG_SG_EEES9_SI_JZNS1_25segmented_radix_sort_implINS0_14default_configELb1EPKaPaPKlPlN2at6native12_GLOBAL__N_18offset_tEEE10hipError_tPvRmT1_PNSt15iterator_traitsIS12_E10value_typeET2_T3_PNS13_IS18_E10value_typeET4_jRbjT5_S1E_jjP12ihipStream_tbEUljE_ZNSN_ISO_Lb1ESQ_SR_ST_SU_SY_EESZ_S10_S11_S12_S16_S17_S18_S1B_S1C_jS1D_jS1E_S1E_jjS1G_bEUljE0_EEESZ_S10_S11_S18_S1C_S1E_T6_T7_T9_mT8_S1G_bDpT10_ENKUlT_T0_E_clISt17integral_constantIbLb0EES1T_IbLb1EEEEDaS1P_S1Q_EUlS1P_E_NS1_11comp_targetILNS1_3genE2ELNS1_11target_archE906ELNS1_3gpuE6ELNS1_3repE0EEENS1_30default_config_static_selectorELNS0_4arch9wavefront6targetE0EEEvS12_, .Lfunc_end252-_ZN7rocprim17ROCPRIM_400000_NS6detail17trampoline_kernelINS0_13select_configILj256ELj13ELNS0_17block_load_methodE3ELS4_3ELS4_3ELNS0_20block_scan_algorithmE0ELj4294967295EEENS1_25partition_config_selectorILNS1_17partition_subalgoE4EjNS0_10empty_typeEbEEZZNS1_14partition_implILS8_4ELb0ES6_15HIP_vector_typeIjLj2EENS0_17counting_iteratorIjlEEPS9_SG_NS0_5tupleIJPjSI_NS0_16reverse_iteratorISI_EEEEENSH_IJSG_SG_SG_EEES9_SI_JZNS1_25segmented_radix_sort_implINS0_14default_configELb1EPKaPaPKlPlN2at6native12_GLOBAL__N_18offset_tEEE10hipError_tPvRmT1_PNSt15iterator_traitsIS12_E10value_typeET2_T3_PNS13_IS18_E10value_typeET4_jRbjT5_S1E_jjP12ihipStream_tbEUljE_ZNSN_ISO_Lb1ESQ_SR_ST_SU_SY_EESZ_S10_S11_S12_S16_S17_S18_S1B_S1C_jS1D_jS1E_S1E_jjS1G_bEUljE0_EEESZ_S10_S11_S18_S1C_S1E_T6_T7_T9_mT8_S1G_bDpT10_ENKUlT_T0_E_clISt17integral_constantIbLb0EES1T_IbLb1EEEEDaS1P_S1Q_EUlS1P_E_NS1_11comp_targetILNS1_3genE2ELNS1_11target_archE906ELNS1_3gpuE6ELNS1_3repE0EEENS1_30default_config_static_selectorELNS0_4arch9wavefront6targetE0EEEvS12_
                                        ; -- End function
	.set _ZN7rocprim17ROCPRIM_400000_NS6detail17trampoline_kernelINS0_13select_configILj256ELj13ELNS0_17block_load_methodE3ELS4_3ELS4_3ELNS0_20block_scan_algorithmE0ELj4294967295EEENS1_25partition_config_selectorILNS1_17partition_subalgoE4EjNS0_10empty_typeEbEEZZNS1_14partition_implILS8_4ELb0ES6_15HIP_vector_typeIjLj2EENS0_17counting_iteratorIjlEEPS9_SG_NS0_5tupleIJPjSI_NS0_16reverse_iteratorISI_EEEEENSH_IJSG_SG_SG_EEES9_SI_JZNS1_25segmented_radix_sort_implINS0_14default_configELb1EPKaPaPKlPlN2at6native12_GLOBAL__N_18offset_tEEE10hipError_tPvRmT1_PNSt15iterator_traitsIS12_E10value_typeET2_T3_PNS13_IS18_E10value_typeET4_jRbjT5_S1E_jjP12ihipStream_tbEUljE_ZNSN_ISO_Lb1ESQ_SR_ST_SU_SY_EESZ_S10_S11_S12_S16_S17_S18_S1B_S1C_jS1D_jS1E_S1E_jjS1G_bEUljE0_EEESZ_S10_S11_S18_S1C_S1E_T6_T7_T9_mT8_S1G_bDpT10_ENKUlT_T0_E_clISt17integral_constantIbLb0EES1T_IbLb1EEEEDaS1P_S1Q_EUlS1P_E_NS1_11comp_targetILNS1_3genE2ELNS1_11target_archE906ELNS1_3gpuE6ELNS1_3repE0EEENS1_30default_config_static_selectorELNS0_4arch9wavefront6targetE0EEEvS12_.num_vgpr, 0
	.set _ZN7rocprim17ROCPRIM_400000_NS6detail17trampoline_kernelINS0_13select_configILj256ELj13ELNS0_17block_load_methodE3ELS4_3ELS4_3ELNS0_20block_scan_algorithmE0ELj4294967295EEENS1_25partition_config_selectorILNS1_17partition_subalgoE4EjNS0_10empty_typeEbEEZZNS1_14partition_implILS8_4ELb0ES6_15HIP_vector_typeIjLj2EENS0_17counting_iteratorIjlEEPS9_SG_NS0_5tupleIJPjSI_NS0_16reverse_iteratorISI_EEEEENSH_IJSG_SG_SG_EEES9_SI_JZNS1_25segmented_radix_sort_implINS0_14default_configELb1EPKaPaPKlPlN2at6native12_GLOBAL__N_18offset_tEEE10hipError_tPvRmT1_PNSt15iterator_traitsIS12_E10value_typeET2_T3_PNS13_IS18_E10value_typeET4_jRbjT5_S1E_jjP12ihipStream_tbEUljE_ZNSN_ISO_Lb1ESQ_SR_ST_SU_SY_EESZ_S10_S11_S12_S16_S17_S18_S1B_S1C_jS1D_jS1E_S1E_jjS1G_bEUljE0_EEESZ_S10_S11_S18_S1C_S1E_T6_T7_T9_mT8_S1G_bDpT10_ENKUlT_T0_E_clISt17integral_constantIbLb0EES1T_IbLb1EEEEDaS1P_S1Q_EUlS1P_E_NS1_11comp_targetILNS1_3genE2ELNS1_11target_archE906ELNS1_3gpuE6ELNS1_3repE0EEENS1_30default_config_static_selectorELNS0_4arch9wavefront6targetE0EEEvS12_.num_agpr, 0
	.set _ZN7rocprim17ROCPRIM_400000_NS6detail17trampoline_kernelINS0_13select_configILj256ELj13ELNS0_17block_load_methodE3ELS4_3ELS4_3ELNS0_20block_scan_algorithmE0ELj4294967295EEENS1_25partition_config_selectorILNS1_17partition_subalgoE4EjNS0_10empty_typeEbEEZZNS1_14partition_implILS8_4ELb0ES6_15HIP_vector_typeIjLj2EENS0_17counting_iteratorIjlEEPS9_SG_NS0_5tupleIJPjSI_NS0_16reverse_iteratorISI_EEEEENSH_IJSG_SG_SG_EEES9_SI_JZNS1_25segmented_radix_sort_implINS0_14default_configELb1EPKaPaPKlPlN2at6native12_GLOBAL__N_18offset_tEEE10hipError_tPvRmT1_PNSt15iterator_traitsIS12_E10value_typeET2_T3_PNS13_IS18_E10value_typeET4_jRbjT5_S1E_jjP12ihipStream_tbEUljE_ZNSN_ISO_Lb1ESQ_SR_ST_SU_SY_EESZ_S10_S11_S12_S16_S17_S18_S1B_S1C_jS1D_jS1E_S1E_jjS1G_bEUljE0_EEESZ_S10_S11_S18_S1C_S1E_T6_T7_T9_mT8_S1G_bDpT10_ENKUlT_T0_E_clISt17integral_constantIbLb0EES1T_IbLb1EEEEDaS1P_S1Q_EUlS1P_E_NS1_11comp_targetILNS1_3genE2ELNS1_11target_archE906ELNS1_3gpuE6ELNS1_3repE0EEENS1_30default_config_static_selectorELNS0_4arch9wavefront6targetE0EEEvS12_.numbered_sgpr, 0
	.set _ZN7rocprim17ROCPRIM_400000_NS6detail17trampoline_kernelINS0_13select_configILj256ELj13ELNS0_17block_load_methodE3ELS4_3ELS4_3ELNS0_20block_scan_algorithmE0ELj4294967295EEENS1_25partition_config_selectorILNS1_17partition_subalgoE4EjNS0_10empty_typeEbEEZZNS1_14partition_implILS8_4ELb0ES6_15HIP_vector_typeIjLj2EENS0_17counting_iteratorIjlEEPS9_SG_NS0_5tupleIJPjSI_NS0_16reverse_iteratorISI_EEEEENSH_IJSG_SG_SG_EEES9_SI_JZNS1_25segmented_radix_sort_implINS0_14default_configELb1EPKaPaPKlPlN2at6native12_GLOBAL__N_18offset_tEEE10hipError_tPvRmT1_PNSt15iterator_traitsIS12_E10value_typeET2_T3_PNS13_IS18_E10value_typeET4_jRbjT5_S1E_jjP12ihipStream_tbEUljE_ZNSN_ISO_Lb1ESQ_SR_ST_SU_SY_EESZ_S10_S11_S12_S16_S17_S18_S1B_S1C_jS1D_jS1E_S1E_jjS1G_bEUljE0_EEESZ_S10_S11_S18_S1C_S1E_T6_T7_T9_mT8_S1G_bDpT10_ENKUlT_T0_E_clISt17integral_constantIbLb0EES1T_IbLb1EEEEDaS1P_S1Q_EUlS1P_E_NS1_11comp_targetILNS1_3genE2ELNS1_11target_archE906ELNS1_3gpuE6ELNS1_3repE0EEENS1_30default_config_static_selectorELNS0_4arch9wavefront6targetE0EEEvS12_.num_named_barrier, 0
	.set _ZN7rocprim17ROCPRIM_400000_NS6detail17trampoline_kernelINS0_13select_configILj256ELj13ELNS0_17block_load_methodE3ELS4_3ELS4_3ELNS0_20block_scan_algorithmE0ELj4294967295EEENS1_25partition_config_selectorILNS1_17partition_subalgoE4EjNS0_10empty_typeEbEEZZNS1_14partition_implILS8_4ELb0ES6_15HIP_vector_typeIjLj2EENS0_17counting_iteratorIjlEEPS9_SG_NS0_5tupleIJPjSI_NS0_16reverse_iteratorISI_EEEEENSH_IJSG_SG_SG_EEES9_SI_JZNS1_25segmented_radix_sort_implINS0_14default_configELb1EPKaPaPKlPlN2at6native12_GLOBAL__N_18offset_tEEE10hipError_tPvRmT1_PNSt15iterator_traitsIS12_E10value_typeET2_T3_PNS13_IS18_E10value_typeET4_jRbjT5_S1E_jjP12ihipStream_tbEUljE_ZNSN_ISO_Lb1ESQ_SR_ST_SU_SY_EESZ_S10_S11_S12_S16_S17_S18_S1B_S1C_jS1D_jS1E_S1E_jjS1G_bEUljE0_EEESZ_S10_S11_S18_S1C_S1E_T6_T7_T9_mT8_S1G_bDpT10_ENKUlT_T0_E_clISt17integral_constantIbLb0EES1T_IbLb1EEEEDaS1P_S1Q_EUlS1P_E_NS1_11comp_targetILNS1_3genE2ELNS1_11target_archE906ELNS1_3gpuE6ELNS1_3repE0EEENS1_30default_config_static_selectorELNS0_4arch9wavefront6targetE0EEEvS12_.private_seg_size, 0
	.set _ZN7rocprim17ROCPRIM_400000_NS6detail17trampoline_kernelINS0_13select_configILj256ELj13ELNS0_17block_load_methodE3ELS4_3ELS4_3ELNS0_20block_scan_algorithmE0ELj4294967295EEENS1_25partition_config_selectorILNS1_17partition_subalgoE4EjNS0_10empty_typeEbEEZZNS1_14partition_implILS8_4ELb0ES6_15HIP_vector_typeIjLj2EENS0_17counting_iteratorIjlEEPS9_SG_NS0_5tupleIJPjSI_NS0_16reverse_iteratorISI_EEEEENSH_IJSG_SG_SG_EEES9_SI_JZNS1_25segmented_radix_sort_implINS0_14default_configELb1EPKaPaPKlPlN2at6native12_GLOBAL__N_18offset_tEEE10hipError_tPvRmT1_PNSt15iterator_traitsIS12_E10value_typeET2_T3_PNS13_IS18_E10value_typeET4_jRbjT5_S1E_jjP12ihipStream_tbEUljE_ZNSN_ISO_Lb1ESQ_SR_ST_SU_SY_EESZ_S10_S11_S12_S16_S17_S18_S1B_S1C_jS1D_jS1E_S1E_jjS1G_bEUljE0_EEESZ_S10_S11_S18_S1C_S1E_T6_T7_T9_mT8_S1G_bDpT10_ENKUlT_T0_E_clISt17integral_constantIbLb0EES1T_IbLb1EEEEDaS1P_S1Q_EUlS1P_E_NS1_11comp_targetILNS1_3genE2ELNS1_11target_archE906ELNS1_3gpuE6ELNS1_3repE0EEENS1_30default_config_static_selectorELNS0_4arch9wavefront6targetE0EEEvS12_.uses_vcc, 0
	.set _ZN7rocprim17ROCPRIM_400000_NS6detail17trampoline_kernelINS0_13select_configILj256ELj13ELNS0_17block_load_methodE3ELS4_3ELS4_3ELNS0_20block_scan_algorithmE0ELj4294967295EEENS1_25partition_config_selectorILNS1_17partition_subalgoE4EjNS0_10empty_typeEbEEZZNS1_14partition_implILS8_4ELb0ES6_15HIP_vector_typeIjLj2EENS0_17counting_iteratorIjlEEPS9_SG_NS0_5tupleIJPjSI_NS0_16reverse_iteratorISI_EEEEENSH_IJSG_SG_SG_EEES9_SI_JZNS1_25segmented_radix_sort_implINS0_14default_configELb1EPKaPaPKlPlN2at6native12_GLOBAL__N_18offset_tEEE10hipError_tPvRmT1_PNSt15iterator_traitsIS12_E10value_typeET2_T3_PNS13_IS18_E10value_typeET4_jRbjT5_S1E_jjP12ihipStream_tbEUljE_ZNSN_ISO_Lb1ESQ_SR_ST_SU_SY_EESZ_S10_S11_S12_S16_S17_S18_S1B_S1C_jS1D_jS1E_S1E_jjS1G_bEUljE0_EEESZ_S10_S11_S18_S1C_S1E_T6_T7_T9_mT8_S1G_bDpT10_ENKUlT_T0_E_clISt17integral_constantIbLb0EES1T_IbLb1EEEEDaS1P_S1Q_EUlS1P_E_NS1_11comp_targetILNS1_3genE2ELNS1_11target_archE906ELNS1_3gpuE6ELNS1_3repE0EEENS1_30default_config_static_selectorELNS0_4arch9wavefront6targetE0EEEvS12_.uses_flat_scratch, 0
	.set _ZN7rocprim17ROCPRIM_400000_NS6detail17trampoline_kernelINS0_13select_configILj256ELj13ELNS0_17block_load_methodE3ELS4_3ELS4_3ELNS0_20block_scan_algorithmE0ELj4294967295EEENS1_25partition_config_selectorILNS1_17partition_subalgoE4EjNS0_10empty_typeEbEEZZNS1_14partition_implILS8_4ELb0ES6_15HIP_vector_typeIjLj2EENS0_17counting_iteratorIjlEEPS9_SG_NS0_5tupleIJPjSI_NS0_16reverse_iteratorISI_EEEEENSH_IJSG_SG_SG_EEES9_SI_JZNS1_25segmented_radix_sort_implINS0_14default_configELb1EPKaPaPKlPlN2at6native12_GLOBAL__N_18offset_tEEE10hipError_tPvRmT1_PNSt15iterator_traitsIS12_E10value_typeET2_T3_PNS13_IS18_E10value_typeET4_jRbjT5_S1E_jjP12ihipStream_tbEUljE_ZNSN_ISO_Lb1ESQ_SR_ST_SU_SY_EESZ_S10_S11_S12_S16_S17_S18_S1B_S1C_jS1D_jS1E_S1E_jjS1G_bEUljE0_EEESZ_S10_S11_S18_S1C_S1E_T6_T7_T9_mT8_S1G_bDpT10_ENKUlT_T0_E_clISt17integral_constantIbLb0EES1T_IbLb1EEEEDaS1P_S1Q_EUlS1P_E_NS1_11comp_targetILNS1_3genE2ELNS1_11target_archE906ELNS1_3gpuE6ELNS1_3repE0EEENS1_30default_config_static_selectorELNS0_4arch9wavefront6targetE0EEEvS12_.has_dyn_sized_stack, 0
	.set _ZN7rocprim17ROCPRIM_400000_NS6detail17trampoline_kernelINS0_13select_configILj256ELj13ELNS0_17block_load_methodE3ELS4_3ELS4_3ELNS0_20block_scan_algorithmE0ELj4294967295EEENS1_25partition_config_selectorILNS1_17partition_subalgoE4EjNS0_10empty_typeEbEEZZNS1_14partition_implILS8_4ELb0ES6_15HIP_vector_typeIjLj2EENS0_17counting_iteratorIjlEEPS9_SG_NS0_5tupleIJPjSI_NS0_16reverse_iteratorISI_EEEEENSH_IJSG_SG_SG_EEES9_SI_JZNS1_25segmented_radix_sort_implINS0_14default_configELb1EPKaPaPKlPlN2at6native12_GLOBAL__N_18offset_tEEE10hipError_tPvRmT1_PNSt15iterator_traitsIS12_E10value_typeET2_T3_PNS13_IS18_E10value_typeET4_jRbjT5_S1E_jjP12ihipStream_tbEUljE_ZNSN_ISO_Lb1ESQ_SR_ST_SU_SY_EESZ_S10_S11_S12_S16_S17_S18_S1B_S1C_jS1D_jS1E_S1E_jjS1G_bEUljE0_EEESZ_S10_S11_S18_S1C_S1E_T6_T7_T9_mT8_S1G_bDpT10_ENKUlT_T0_E_clISt17integral_constantIbLb0EES1T_IbLb1EEEEDaS1P_S1Q_EUlS1P_E_NS1_11comp_targetILNS1_3genE2ELNS1_11target_archE906ELNS1_3gpuE6ELNS1_3repE0EEENS1_30default_config_static_selectorELNS0_4arch9wavefront6targetE0EEEvS12_.has_recursion, 0
	.set _ZN7rocprim17ROCPRIM_400000_NS6detail17trampoline_kernelINS0_13select_configILj256ELj13ELNS0_17block_load_methodE3ELS4_3ELS4_3ELNS0_20block_scan_algorithmE0ELj4294967295EEENS1_25partition_config_selectorILNS1_17partition_subalgoE4EjNS0_10empty_typeEbEEZZNS1_14partition_implILS8_4ELb0ES6_15HIP_vector_typeIjLj2EENS0_17counting_iteratorIjlEEPS9_SG_NS0_5tupleIJPjSI_NS0_16reverse_iteratorISI_EEEEENSH_IJSG_SG_SG_EEES9_SI_JZNS1_25segmented_radix_sort_implINS0_14default_configELb1EPKaPaPKlPlN2at6native12_GLOBAL__N_18offset_tEEE10hipError_tPvRmT1_PNSt15iterator_traitsIS12_E10value_typeET2_T3_PNS13_IS18_E10value_typeET4_jRbjT5_S1E_jjP12ihipStream_tbEUljE_ZNSN_ISO_Lb1ESQ_SR_ST_SU_SY_EESZ_S10_S11_S12_S16_S17_S18_S1B_S1C_jS1D_jS1E_S1E_jjS1G_bEUljE0_EEESZ_S10_S11_S18_S1C_S1E_T6_T7_T9_mT8_S1G_bDpT10_ENKUlT_T0_E_clISt17integral_constantIbLb0EES1T_IbLb1EEEEDaS1P_S1Q_EUlS1P_E_NS1_11comp_targetILNS1_3genE2ELNS1_11target_archE906ELNS1_3gpuE6ELNS1_3repE0EEENS1_30default_config_static_selectorELNS0_4arch9wavefront6targetE0EEEvS12_.has_indirect_call, 0
	.section	.AMDGPU.csdata,"",@progbits
; Kernel info:
; codeLenInByte = 0
; TotalNumSgprs: 0
; NumVgprs: 0
; ScratchSize: 0
; MemoryBound: 0
; FloatMode: 240
; IeeeMode: 1
; LDSByteSize: 0 bytes/workgroup (compile time only)
; SGPRBlocks: 0
; VGPRBlocks: 0
; NumSGPRsForWavesPerEU: 1
; NumVGPRsForWavesPerEU: 1
; NamedBarCnt: 0
; Occupancy: 16
; WaveLimiterHint : 0
; COMPUTE_PGM_RSRC2:SCRATCH_EN: 0
; COMPUTE_PGM_RSRC2:USER_SGPR: 2
; COMPUTE_PGM_RSRC2:TRAP_HANDLER: 0
; COMPUTE_PGM_RSRC2:TGID_X_EN: 1
; COMPUTE_PGM_RSRC2:TGID_Y_EN: 0
; COMPUTE_PGM_RSRC2:TGID_Z_EN: 0
; COMPUTE_PGM_RSRC2:TIDIG_COMP_CNT: 0
	.section	.text._ZN7rocprim17ROCPRIM_400000_NS6detail17trampoline_kernelINS0_13select_configILj256ELj13ELNS0_17block_load_methodE3ELS4_3ELS4_3ELNS0_20block_scan_algorithmE0ELj4294967295EEENS1_25partition_config_selectorILNS1_17partition_subalgoE4EjNS0_10empty_typeEbEEZZNS1_14partition_implILS8_4ELb0ES6_15HIP_vector_typeIjLj2EENS0_17counting_iteratorIjlEEPS9_SG_NS0_5tupleIJPjSI_NS0_16reverse_iteratorISI_EEEEENSH_IJSG_SG_SG_EEES9_SI_JZNS1_25segmented_radix_sort_implINS0_14default_configELb1EPKaPaPKlPlN2at6native12_GLOBAL__N_18offset_tEEE10hipError_tPvRmT1_PNSt15iterator_traitsIS12_E10value_typeET2_T3_PNS13_IS18_E10value_typeET4_jRbjT5_S1E_jjP12ihipStream_tbEUljE_ZNSN_ISO_Lb1ESQ_SR_ST_SU_SY_EESZ_S10_S11_S12_S16_S17_S18_S1B_S1C_jS1D_jS1E_S1E_jjS1G_bEUljE0_EEESZ_S10_S11_S18_S1C_S1E_T6_T7_T9_mT8_S1G_bDpT10_ENKUlT_T0_E_clISt17integral_constantIbLb0EES1T_IbLb1EEEEDaS1P_S1Q_EUlS1P_E_NS1_11comp_targetILNS1_3genE10ELNS1_11target_archE1200ELNS1_3gpuE4ELNS1_3repE0EEENS1_30default_config_static_selectorELNS0_4arch9wavefront6targetE0EEEvS12_,"axG",@progbits,_ZN7rocprim17ROCPRIM_400000_NS6detail17trampoline_kernelINS0_13select_configILj256ELj13ELNS0_17block_load_methodE3ELS4_3ELS4_3ELNS0_20block_scan_algorithmE0ELj4294967295EEENS1_25partition_config_selectorILNS1_17partition_subalgoE4EjNS0_10empty_typeEbEEZZNS1_14partition_implILS8_4ELb0ES6_15HIP_vector_typeIjLj2EENS0_17counting_iteratorIjlEEPS9_SG_NS0_5tupleIJPjSI_NS0_16reverse_iteratorISI_EEEEENSH_IJSG_SG_SG_EEES9_SI_JZNS1_25segmented_radix_sort_implINS0_14default_configELb1EPKaPaPKlPlN2at6native12_GLOBAL__N_18offset_tEEE10hipError_tPvRmT1_PNSt15iterator_traitsIS12_E10value_typeET2_T3_PNS13_IS18_E10value_typeET4_jRbjT5_S1E_jjP12ihipStream_tbEUljE_ZNSN_ISO_Lb1ESQ_SR_ST_SU_SY_EESZ_S10_S11_S12_S16_S17_S18_S1B_S1C_jS1D_jS1E_S1E_jjS1G_bEUljE0_EEESZ_S10_S11_S18_S1C_S1E_T6_T7_T9_mT8_S1G_bDpT10_ENKUlT_T0_E_clISt17integral_constantIbLb0EES1T_IbLb1EEEEDaS1P_S1Q_EUlS1P_E_NS1_11comp_targetILNS1_3genE10ELNS1_11target_archE1200ELNS1_3gpuE4ELNS1_3repE0EEENS1_30default_config_static_selectorELNS0_4arch9wavefront6targetE0EEEvS12_,comdat
	.globl	_ZN7rocprim17ROCPRIM_400000_NS6detail17trampoline_kernelINS0_13select_configILj256ELj13ELNS0_17block_load_methodE3ELS4_3ELS4_3ELNS0_20block_scan_algorithmE0ELj4294967295EEENS1_25partition_config_selectorILNS1_17partition_subalgoE4EjNS0_10empty_typeEbEEZZNS1_14partition_implILS8_4ELb0ES6_15HIP_vector_typeIjLj2EENS0_17counting_iteratorIjlEEPS9_SG_NS0_5tupleIJPjSI_NS0_16reverse_iteratorISI_EEEEENSH_IJSG_SG_SG_EEES9_SI_JZNS1_25segmented_radix_sort_implINS0_14default_configELb1EPKaPaPKlPlN2at6native12_GLOBAL__N_18offset_tEEE10hipError_tPvRmT1_PNSt15iterator_traitsIS12_E10value_typeET2_T3_PNS13_IS18_E10value_typeET4_jRbjT5_S1E_jjP12ihipStream_tbEUljE_ZNSN_ISO_Lb1ESQ_SR_ST_SU_SY_EESZ_S10_S11_S12_S16_S17_S18_S1B_S1C_jS1D_jS1E_S1E_jjS1G_bEUljE0_EEESZ_S10_S11_S18_S1C_S1E_T6_T7_T9_mT8_S1G_bDpT10_ENKUlT_T0_E_clISt17integral_constantIbLb0EES1T_IbLb1EEEEDaS1P_S1Q_EUlS1P_E_NS1_11comp_targetILNS1_3genE10ELNS1_11target_archE1200ELNS1_3gpuE4ELNS1_3repE0EEENS1_30default_config_static_selectorELNS0_4arch9wavefront6targetE0EEEvS12_ ; -- Begin function _ZN7rocprim17ROCPRIM_400000_NS6detail17trampoline_kernelINS0_13select_configILj256ELj13ELNS0_17block_load_methodE3ELS4_3ELS4_3ELNS0_20block_scan_algorithmE0ELj4294967295EEENS1_25partition_config_selectorILNS1_17partition_subalgoE4EjNS0_10empty_typeEbEEZZNS1_14partition_implILS8_4ELb0ES6_15HIP_vector_typeIjLj2EENS0_17counting_iteratorIjlEEPS9_SG_NS0_5tupleIJPjSI_NS0_16reverse_iteratorISI_EEEEENSH_IJSG_SG_SG_EEES9_SI_JZNS1_25segmented_radix_sort_implINS0_14default_configELb1EPKaPaPKlPlN2at6native12_GLOBAL__N_18offset_tEEE10hipError_tPvRmT1_PNSt15iterator_traitsIS12_E10value_typeET2_T3_PNS13_IS18_E10value_typeET4_jRbjT5_S1E_jjP12ihipStream_tbEUljE_ZNSN_ISO_Lb1ESQ_SR_ST_SU_SY_EESZ_S10_S11_S12_S16_S17_S18_S1B_S1C_jS1D_jS1E_S1E_jjS1G_bEUljE0_EEESZ_S10_S11_S18_S1C_S1E_T6_T7_T9_mT8_S1G_bDpT10_ENKUlT_T0_E_clISt17integral_constantIbLb0EES1T_IbLb1EEEEDaS1P_S1Q_EUlS1P_E_NS1_11comp_targetILNS1_3genE10ELNS1_11target_archE1200ELNS1_3gpuE4ELNS1_3repE0EEENS1_30default_config_static_selectorELNS0_4arch9wavefront6targetE0EEEvS12_
	.p2align	8
	.type	_ZN7rocprim17ROCPRIM_400000_NS6detail17trampoline_kernelINS0_13select_configILj256ELj13ELNS0_17block_load_methodE3ELS4_3ELS4_3ELNS0_20block_scan_algorithmE0ELj4294967295EEENS1_25partition_config_selectorILNS1_17partition_subalgoE4EjNS0_10empty_typeEbEEZZNS1_14partition_implILS8_4ELb0ES6_15HIP_vector_typeIjLj2EENS0_17counting_iteratorIjlEEPS9_SG_NS0_5tupleIJPjSI_NS0_16reverse_iteratorISI_EEEEENSH_IJSG_SG_SG_EEES9_SI_JZNS1_25segmented_radix_sort_implINS0_14default_configELb1EPKaPaPKlPlN2at6native12_GLOBAL__N_18offset_tEEE10hipError_tPvRmT1_PNSt15iterator_traitsIS12_E10value_typeET2_T3_PNS13_IS18_E10value_typeET4_jRbjT5_S1E_jjP12ihipStream_tbEUljE_ZNSN_ISO_Lb1ESQ_SR_ST_SU_SY_EESZ_S10_S11_S12_S16_S17_S18_S1B_S1C_jS1D_jS1E_S1E_jjS1G_bEUljE0_EEESZ_S10_S11_S18_S1C_S1E_T6_T7_T9_mT8_S1G_bDpT10_ENKUlT_T0_E_clISt17integral_constantIbLb0EES1T_IbLb1EEEEDaS1P_S1Q_EUlS1P_E_NS1_11comp_targetILNS1_3genE10ELNS1_11target_archE1200ELNS1_3gpuE4ELNS1_3repE0EEENS1_30default_config_static_selectorELNS0_4arch9wavefront6targetE0EEEvS12_,@function
_ZN7rocprim17ROCPRIM_400000_NS6detail17trampoline_kernelINS0_13select_configILj256ELj13ELNS0_17block_load_methodE3ELS4_3ELS4_3ELNS0_20block_scan_algorithmE0ELj4294967295EEENS1_25partition_config_selectorILNS1_17partition_subalgoE4EjNS0_10empty_typeEbEEZZNS1_14partition_implILS8_4ELb0ES6_15HIP_vector_typeIjLj2EENS0_17counting_iteratorIjlEEPS9_SG_NS0_5tupleIJPjSI_NS0_16reverse_iteratorISI_EEEEENSH_IJSG_SG_SG_EEES9_SI_JZNS1_25segmented_radix_sort_implINS0_14default_configELb1EPKaPaPKlPlN2at6native12_GLOBAL__N_18offset_tEEE10hipError_tPvRmT1_PNSt15iterator_traitsIS12_E10value_typeET2_T3_PNS13_IS18_E10value_typeET4_jRbjT5_S1E_jjP12ihipStream_tbEUljE_ZNSN_ISO_Lb1ESQ_SR_ST_SU_SY_EESZ_S10_S11_S12_S16_S17_S18_S1B_S1C_jS1D_jS1E_S1E_jjS1G_bEUljE0_EEESZ_S10_S11_S18_S1C_S1E_T6_T7_T9_mT8_S1G_bDpT10_ENKUlT_T0_E_clISt17integral_constantIbLb0EES1T_IbLb1EEEEDaS1P_S1Q_EUlS1P_E_NS1_11comp_targetILNS1_3genE10ELNS1_11target_archE1200ELNS1_3gpuE4ELNS1_3repE0EEENS1_30default_config_static_selectorELNS0_4arch9wavefront6targetE0EEEvS12_: ; @_ZN7rocprim17ROCPRIM_400000_NS6detail17trampoline_kernelINS0_13select_configILj256ELj13ELNS0_17block_load_methodE3ELS4_3ELS4_3ELNS0_20block_scan_algorithmE0ELj4294967295EEENS1_25partition_config_selectorILNS1_17partition_subalgoE4EjNS0_10empty_typeEbEEZZNS1_14partition_implILS8_4ELb0ES6_15HIP_vector_typeIjLj2EENS0_17counting_iteratorIjlEEPS9_SG_NS0_5tupleIJPjSI_NS0_16reverse_iteratorISI_EEEEENSH_IJSG_SG_SG_EEES9_SI_JZNS1_25segmented_radix_sort_implINS0_14default_configELb1EPKaPaPKlPlN2at6native12_GLOBAL__N_18offset_tEEE10hipError_tPvRmT1_PNSt15iterator_traitsIS12_E10value_typeET2_T3_PNS13_IS18_E10value_typeET4_jRbjT5_S1E_jjP12ihipStream_tbEUljE_ZNSN_ISO_Lb1ESQ_SR_ST_SU_SY_EESZ_S10_S11_S12_S16_S17_S18_S1B_S1C_jS1D_jS1E_S1E_jjS1G_bEUljE0_EEESZ_S10_S11_S18_S1C_S1E_T6_T7_T9_mT8_S1G_bDpT10_ENKUlT_T0_E_clISt17integral_constantIbLb0EES1T_IbLb1EEEEDaS1P_S1Q_EUlS1P_E_NS1_11comp_targetILNS1_3genE10ELNS1_11target_archE1200ELNS1_3gpuE4ELNS1_3repE0EEENS1_30default_config_static_selectorELNS0_4arch9wavefront6targetE0EEEvS12_
; %bb.0:
	.section	.rodata,"a",@progbits
	.p2align	6, 0x0
	.amdhsa_kernel _ZN7rocprim17ROCPRIM_400000_NS6detail17trampoline_kernelINS0_13select_configILj256ELj13ELNS0_17block_load_methodE3ELS4_3ELS4_3ELNS0_20block_scan_algorithmE0ELj4294967295EEENS1_25partition_config_selectorILNS1_17partition_subalgoE4EjNS0_10empty_typeEbEEZZNS1_14partition_implILS8_4ELb0ES6_15HIP_vector_typeIjLj2EENS0_17counting_iteratorIjlEEPS9_SG_NS0_5tupleIJPjSI_NS0_16reverse_iteratorISI_EEEEENSH_IJSG_SG_SG_EEES9_SI_JZNS1_25segmented_radix_sort_implINS0_14default_configELb1EPKaPaPKlPlN2at6native12_GLOBAL__N_18offset_tEEE10hipError_tPvRmT1_PNSt15iterator_traitsIS12_E10value_typeET2_T3_PNS13_IS18_E10value_typeET4_jRbjT5_S1E_jjP12ihipStream_tbEUljE_ZNSN_ISO_Lb1ESQ_SR_ST_SU_SY_EESZ_S10_S11_S12_S16_S17_S18_S1B_S1C_jS1D_jS1E_S1E_jjS1G_bEUljE0_EEESZ_S10_S11_S18_S1C_S1E_T6_T7_T9_mT8_S1G_bDpT10_ENKUlT_T0_E_clISt17integral_constantIbLb0EES1T_IbLb1EEEEDaS1P_S1Q_EUlS1P_E_NS1_11comp_targetILNS1_3genE10ELNS1_11target_archE1200ELNS1_3gpuE4ELNS1_3repE0EEENS1_30default_config_static_selectorELNS0_4arch9wavefront6targetE0EEEvS12_
		.amdhsa_group_segment_fixed_size 0
		.amdhsa_private_segment_fixed_size 0
		.amdhsa_kernarg_size 184
		.amdhsa_user_sgpr_count 2
		.amdhsa_user_sgpr_dispatch_ptr 0
		.amdhsa_user_sgpr_queue_ptr 0
		.amdhsa_user_sgpr_kernarg_segment_ptr 1
		.amdhsa_user_sgpr_dispatch_id 0
		.amdhsa_user_sgpr_kernarg_preload_length 0
		.amdhsa_user_sgpr_kernarg_preload_offset 0
		.amdhsa_user_sgpr_private_segment_size 0
		.amdhsa_wavefront_size32 1
		.amdhsa_uses_dynamic_stack 0
		.amdhsa_enable_private_segment 0
		.amdhsa_system_sgpr_workgroup_id_x 1
		.amdhsa_system_sgpr_workgroup_id_y 0
		.amdhsa_system_sgpr_workgroup_id_z 0
		.amdhsa_system_sgpr_workgroup_info 0
		.amdhsa_system_vgpr_workitem_id 0
		.amdhsa_next_free_vgpr 1
		.amdhsa_next_free_sgpr 1
		.amdhsa_named_barrier_count 0
		.amdhsa_reserve_vcc 0
		.amdhsa_float_round_mode_32 0
		.amdhsa_float_round_mode_16_64 0
		.amdhsa_float_denorm_mode_32 3
		.amdhsa_float_denorm_mode_16_64 3
		.amdhsa_fp16_overflow 0
		.amdhsa_memory_ordered 1
		.amdhsa_forward_progress 1
		.amdhsa_inst_pref_size 0
		.amdhsa_round_robin_scheduling 0
		.amdhsa_exception_fp_ieee_invalid_op 0
		.amdhsa_exception_fp_denorm_src 0
		.amdhsa_exception_fp_ieee_div_zero 0
		.amdhsa_exception_fp_ieee_overflow 0
		.amdhsa_exception_fp_ieee_underflow 0
		.amdhsa_exception_fp_ieee_inexact 0
		.amdhsa_exception_int_div_zero 0
	.end_amdhsa_kernel
	.section	.text._ZN7rocprim17ROCPRIM_400000_NS6detail17trampoline_kernelINS0_13select_configILj256ELj13ELNS0_17block_load_methodE3ELS4_3ELS4_3ELNS0_20block_scan_algorithmE0ELj4294967295EEENS1_25partition_config_selectorILNS1_17partition_subalgoE4EjNS0_10empty_typeEbEEZZNS1_14partition_implILS8_4ELb0ES6_15HIP_vector_typeIjLj2EENS0_17counting_iteratorIjlEEPS9_SG_NS0_5tupleIJPjSI_NS0_16reverse_iteratorISI_EEEEENSH_IJSG_SG_SG_EEES9_SI_JZNS1_25segmented_radix_sort_implINS0_14default_configELb1EPKaPaPKlPlN2at6native12_GLOBAL__N_18offset_tEEE10hipError_tPvRmT1_PNSt15iterator_traitsIS12_E10value_typeET2_T3_PNS13_IS18_E10value_typeET4_jRbjT5_S1E_jjP12ihipStream_tbEUljE_ZNSN_ISO_Lb1ESQ_SR_ST_SU_SY_EESZ_S10_S11_S12_S16_S17_S18_S1B_S1C_jS1D_jS1E_S1E_jjS1G_bEUljE0_EEESZ_S10_S11_S18_S1C_S1E_T6_T7_T9_mT8_S1G_bDpT10_ENKUlT_T0_E_clISt17integral_constantIbLb0EES1T_IbLb1EEEEDaS1P_S1Q_EUlS1P_E_NS1_11comp_targetILNS1_3genE10ELNS1_11target_archE1200ELNS1_3gpuE4ELNS1_3repE0EEENS1_30default_config_static_selectorELNS0_4arch9wavefront6targetE0EEEvS12_,"axG",@progbits,_ZN7rocprim17ROCPRIM_400000_NS6detail17trampoline_kernelINS0_13select_configILj256ELj13ELNS0_17block_load_methodE3ELS4_3ELS4_3ELNS0_20block_scan_algorithmE0ELj4294967295EEENS1_25partition_config_selectorILNS1_17partition_subalgoE4EjNS0_10empty_typeEbEEZZNS1_14partition_implILS8_4ELb0ES6_15HIP_vector_typeIjLj2EENS0_17counting_iteratorIjlEEPS9_SG_NS0_5tupleIJPjSI_NS0_16reverse_iteratorISI_EEEEENSH_IJSG_SG_SG_EEES9_SI_JZNS1_25segmented_radix_sort_implINS0_14default_configELb1EPKaPaPKlPlN2at6native12_GLOBAL__N_18offset_tEEE10hipError_tPvRmT1_PNSt15iterator_traitsIS12_E10value_typeET2_T3_PNS13_IS18_E10value_typeET4_jRbjT5_S1E_jjP12ihipStream_tbEUljE_ZNSN_ISO_Lb1ESQ_SR_ST_SU_SY_EESZ_S10_S11_S12_S16_S17_S18_S1B_S1C_jS1D_jS1E_S1E_jjS1G_bEUljE0_EEESZ_S10_S11_S18_S1C_S1E_T6_T7_T9_mT8_S1G_bDpT10_ENKUlT_T0_E_clISt17integral_constantIbLb0EES1T_IbLb1EEEEDaS1P_S1Q_EUlS1P_E_NS1_11comp_targetILNS1_3genE10ELNS1_11target_archE1200ELNS1_3gpuE4ELNS1_3repE0EEENS1_30default_config_static_selectorELNS0_4arch9wavefront6targetE0EEEvS12_,comdat
.Lfunc_end253:
	.size	_ZN7rocprim17ROCPRIM_400000_NS6detail17trampoline_kernelINS0_13select_configILj256ELj13ELNS0_17block_load_methodE3ELS4_3ELS4_3ELNS0_20block_scan_algorithmE0ELj4294967295EEENS1_25partition_config_selectorILNS1_17partition_subalgoE4EjNS0_10empty_typeEbEEZZNS1_14partition_implILS8_4ELb0ES6_15HIP_vector_typeIjLj2EENS0_17counting_iteratorIjlEEPS9_SG_NS0_5tupleIJPjSI_NS0_16reverse_iteratorISI_EEEEENSH_IJSG_SG_SG_EEES9_SI_JZNS1_25segmented_radix_sort_implINS0_14default_configELb1EPKaPaPKlPlN2at6native12_GLOBAL__N_18offset_tEEE10hipError_tPvRmT1_PNSt15iterator_traitsIS12_E10value_typeET2_T3_PNS13_IS18_E10value_typeET4_jRbjT5_S1E_jjP12ihipStream_tbEUljE_ZNSN_ISO_Lb1ESQ_SR_ST_SU_SY_EESZ_S10_S11_S12_S16_S17_S18_S1B_S1C_jS1D_jS1E_S1E_jjS1G_bEUljE0_EEESZ_S10_S11_S18_S1C_S1E_T6_T7_T9_mT8_S1G_bDpT10_ENKUlT_T0_E_clISt17integral_constantIbLb0EES1T_IbLb1EEEEDaS1P_S1Q_EUlS1P_E_NS1_11comp_targetILNS1_3genE10ELNS1_11target_archE1200ELNS1_3gpuE4ELNS1_3repE0EEENS1_30default_config_static_selectorELNS0_4arch9wavefront6targetE0EEEvS12_, .Lfunc_end253-_ZN7rocprim17ROCPRIM_400000_NS6detail17trampoline_kernelINS0_13select_configILj256ELj13ELNS0_17block_load_methodE3ELS4_3ELS4_3ELNS0_20block_scan_algorithmE0ELj4294967295EEENS1_25partition_config_selectorILNS1_17partition_subalgoE4EjNS0_10empty_typeEbEEZZNS1_14partition_implILS8_4ELb0ES6_15HIP_vector_typeIjLj2EENS0_17counting_iteratorIjlEEPS9_SG_NS0_5tupleIJPjSI_NS0_16reverse_iteratorISI_EEEEENSH_IJSG_SG_SG_EEES9_SI_JZNS1_25segmented_radix_sort_implINS0_14default_configELb1EPKaPaPKlPlN2at6native12_GLOBAL__N_18offset_tEEE10hipError_tPvRmT1_PNSt15iterator_traitsIS12_E10value_typeET2_T3_PNS13_IS18_E10value_typeET4_jRbjT5_S1E_jjP12ihipStream_tbEUljE_ZNSN_ISO_Lb1ESQ_SR_ST_SU_SY_EESZ_S10_S11_S12_S16_S17_S18_S1B_S1C_jS1D_jS1E_S1E_jjS1G_bEUljE0_EEESZ_S10_S11_S18_S1C_S1E_T6_T7_T9_mT8_S1G_bDpT10_ENKUlT_T0_E_clISt17integral_constantIbLb0EES1T_IbLb1EEEEDaS1P_S1Q_EUlS1P_E_NS1_11comp_targetILNS1_3genE10ELNS1_11target_archE1200ELNS1_3gpuE4ELNS1_3repE0EEENS1_30default_config_static_selectorELNS0_4arch9wavefront6targetE0EEEvS12_
                                        ; -- End function
	.set _ZN7rocprim17ROCPRIM_400000_NS6detail17trampoline_kernelINS0_13select_configILj256ELj13ELNS0_17block_load_methodE3ELS4_3ELS4_3ELNS0_20block_scan_algorithmE0ELj4294967295EEENS1_25partition_config_selectorILNS1_17partition_subalgoE4EjNS0_10empty_typeEbEEZZNS1_14partition_implILS8_4ELb0ES6_15HIP_vector_typeIjLj2EENS0_17counting_iteratorIjlEEPS9_SG_NS0_5tupleIJPjSI_NS0_16reverse_iteratorISI_EEEEENSH_IJSG_SG_SG_EEES9_SI_JZNS1_25segmented_radix_sort_implINS0_14default_configELb1EPKaPaPKlPlN2at6native12_GLOBAL__N_18offset_tEEE10hipError_tPvRmT1_PNSt15iterator_traitsIS12_E10value_typeET2_T3_PNS13_IS18_E10value_typeET4_jRbjT5_S1E_jjP12ihipStream_tbEUljE_ZNSN_ISO_Lb1ESQ_SR_ST_SU_SY_EESZ_S10_S11_S12_S16_S17_S18_S1B_S1C_jS1D_jS1E_S1E_jjS1G_bEUljE0_EEESZ_S10_S11_S18_S1C_S1E_T6_T7_T9_mT8_S1G_bDpT10_ENKUlT_T0_E_clISt17integral_constantIbLb0EES1T_IbLb1EEEEDaS1P_S1Q_EUlS1P_E_NS1_11comp_targetILNS1_3genE10ELNS1_11target_archE1200ELNS1_3gpuE4ELNS1_3repE0EEENS1_30default_config_static_selectorELNS0_4arch9wavefront6targetE0EEEvS12_.num_vgpr, 0
	.set _ZN7rocprim17ROCPRIM_400000_NS6detail17trampoline_kernelINS0_13select_configILj256ELj13ELNS0_17block_load_methodE3ELS4_3ELS4_3ELNS0_20block_scan_algorithmE0ELj4294967295EEENS1_25partition_config_selectorILNS1_17partition_subalgoE4EjNS0_10empty_typeEbEEZZNS1_14partition_implILS8_4ELb0ES6_15HIP_vector_typeIjLj2EENS0_17counting_iteratorIjlEEPS9_SG_NS0_5tupleIJPjSI_NS0_16reverse_iteratorISI_EEEEENSH_IJSG_SG_SG_EEES9_SI_JZNS1_25segmented_radix_sort_implINS0_14default_configELb1EPKaPaPKlPlN2at6native12_GLOBAL__N_18offset_tEEE10hipError_tPvRmT1_PNSt15iterator_traitsIS12_E10value_typeET2_T3_PNS13_IS18_E10value_typeET4_jRbjT5_S1E_jjP12ihipStream_tbEUljE_ZNSN_ISO_Lb1ESQ_SR_ST_SU_SY_EESZ_S10_S11_S12_S16_S17_S18_S1B_S1C_jS1D_jS1E_S1E_jjS1G_bEUljE0_EEESZ_S10_S11_S18_S1C_S1E_T6_T7_T9_mT8_S1G_bDpT10_ENKUlT_T0_E_clISt17integral_constantIbLb0EES1T_IbLb1EEEEDaS1P_S1Q_EUlS1P_E_NS1_11comp_targetILNS1_3genE10ELNS1_11target_archE1200ELNS1_3gpuE4ELNS1_3repE0EEENS1_30default_config_static_selectorELNS0_4arch9wavefront6targetE0EEEvS12_.num_agpr, 0
	.set _ZN7rocprim17ROCPRIM_400000_NS6detail17trampoline_kernelINS0_13select_configILj256ELj13ELNS0_17block_load_methodE3ELS4_3ELS4_3ELNS0_20block_scan_algorithmE0ELj4294967295EEENS1_25partition_config_selectorILNS1_17partition_subalgoE4EjNS0_10empty_typeEbEEZZNS1_14partition_implILS8_4ELb0ES6_15HIP_vector_typeIjLj2EENS0_17counting_iteratorIjlEEPS9_SG_NS0_5tupleIJPjSI_NS0_16reverse_iteratorISI_EEEEENSH_IJSG_SG_SG_EEES9_SI_JZNS1_25segmented_radix_sort_implINS0_14default_configELb1EPKaPaPKlPlN2at6native12_GLOBAL__N_18offset_tEEE10hipError_tPvRmT1_PNSt15iterator_traitsIS12_E10value_typeET2_T3_PNS13_IS18_E10value_typeET4_jRbjT5_S1E_jjP12ihipStream_tbEUljE_ZNSN_ISO_Lb1ESQ_SR_ST_SU_SY_EESZ_S10_S11_S12_S16_S17_S18_S1B_S1C_jS1D_jS1E_S1E_jjS1G_bEUljE0_EEESZ_S10_S11_S18_S1C_S1E_T6_T7_T9_mT8_S1G_bDpT10_ENKUlT_T0_E_clISt17integral_constantIbLb0EES1T_IbLb1EEEEDaS1P_S1Q_EUlS1P_E_NS1_11comp_targetILNS1_3genE10ELNS1_11target_archE1200ELNS1_3gpuE4ELNS1_3repE0EEENS1_30default_config_static_selectorELNS0_4arch9wavefront6targetE0EEEvS12_.numbered_sgpr, 0
	.set _ZN7rocprim17ROCPRIM_400000_NS6detail17trampoline_kernelINS0_13select_configILj256ELj13ELNS0_17block_load_methodE3ELS4_3ELS4_3ELNS0_20block_scan_algorithmE0ELj4294967295EEENS1_25partition_config_selectorILNS1_17partition_subalgoE4EjNS0_10empty_typeEbEEZZNS1_14partition_implILS8_4ELb0ES6_15HIP_vector_typeIjLj2EENS0_17counting_iteratorIjlEEPS9_SG_NS0_5tupleIJPjSI_NS0_16reverse_iteratorISI_EEEEENSH_IJSG_SG_SG_EEES9_SI_JZNS1_25segmented_radix_sort_implINS0_14default_configELb1EPKaPaPKlPlN2at6native12_GLOBAL__N_18offset_tEEE10hipError_tPvRmT1_PNSt15iterator_traitsIS12_E10value_typeET2_T3_PNS13_IS18_E10value_typeET4_jRbjT5_S1E_jjP12ihipStream_tbEUljE_ZNSN_ISO_Lb1ESQ_SR_ST_SU_SY_EESZ_S10_S11_S12_S16_S17_S18_S1B_S1C_jS1D_jS1E_S1E_jjS1G_bEUljE0_EEESZ_S10_S11_S18_S1C_S1E_T6_T7_T9_mT8_S1G_bDpT10_ENKUlT_T0_E_clISt17integral_constantIbLb0EES1T_IbLb1EEEEDaS1P_S1Q_EUlS1P_E_NS1_11comp_targetILNS1_3genE10ELNS1_11target_archE1200ELNS1_3gpuE4ELNS1_3repE0EEENS1_30default_config_static_selectorELNS0_4arch9wavefront6targetE0EEEvS12_.num_named_barrier, 0
	.set _ZN7rocprim17ROCPRIM_400000_NS6detail17trampoline_kernelINS0_13select_configILj256ELj13ELNS0_17block_load_methodE3ELS4_3ELS4_3ELNS0_20block_scan_algorithmE0ELj4294967295EEENS1_25partition_config_selectorILNS1_17partition_subalgoE4EjNS0_10empty_typeEbEEZZNS1_14partition_implILS8_4ELb0ES6_15HIP_vector_typeIjLj2EENS0_17counting_iteratorIjlEEPS9_SG_NS0_5tupleIJPjSI_NS0_16reverse_iteratorISI_EEEEENSH_IJSG_SG_SG_EEES9_SI_JZNS1_25segmented_radix_sort_implINS0_14default_configELb1EPKaPaPKlPlN2at6native12_GLOBAL__N_18offset_tEEE10hipError_tPvRmT1_PNSt15iterator_traitsIS12_E10value_typeET2_T3_PNS13_IS18_E10value_typeET4_jRbjT5_S1E_jjP12ihipStream_tbEUljE_ZNSN_ISO_Lb1ESQ_SR_ST_SU_SY_EESZ_S10_S11_S12_S16_S17_S18_S1B_S1C_jS1D_jS1E_S1E_jjS1G_bEUljE0_EEESZ_S10_S11_S18_S1C_S1E_T6_T7_T9_mT8_S1G_bDpT10_ENKUlT_T0_E_clISt17integral_constantIbLb0EES1T_IbLb1EEEEDaS1P_S1Q_EUlS1P_E_NS1_11comp_targetILNS1_3genE10ELNS1_11target_archE1200ELNS1_3gpuE4ELNS1_3repE0EEENS1_30default_config_static_selectorELNS0_4arch9wavefront6targetE0EEEvS12_.private_seg_size, 0
	.set _ZN7rocprim17ROCPRIM_400000_NS6detail17trampoline_kernelINS0_13select_configILj256ELj13ELNS0_17block_load_methodE3ELS4_3ELS4_3ELNS0_20block_scan_algorithmE0ELj4294967295EEENS1_25partition_config_selectorILNS1_17partition_subalgoE4EjNS0_10empty_typeEbEEZZNS1_14partition_implILS8_4ELb0ES6_15HIP_vector_typeIjLj2EENS0_17counting_iteratorIjlEEPS9_SG_NS0_5tupleIJPjSI_NS0_16reverse_iteratorISI_EEEEENSH_IJSG_SG_SG_EEES9_SI_JZNS1_25segmented_radix_sort_implINS0_14default_configELb1EPKaPaPKlPlN2at6native12_GLOBAL__N_18offset_tEEE10hipError_tPvRmT1_PNSt15iterator_traitsIS12_E10value_typeET2_T3_PNS13_IS18_E10value_typeET4_jRbjT5_S1E_jjP12ihipStream_tbEUljE_ZNSN_ISO_Lb1ESQ_SR_ST_SU_SY_EESZ_S10_S11_S12_S16_S17_S18_S1B_S1C_jS1D_jS1E_S1E_jjS1G_bEUljE0_EEESZ_S10_S11_S18_S1C_S1E_T6_T7_T9_mT8_S1G_bDpT10_ENKUlT_T0_E_clISt17integral_constantIbLb0EES1T_IbLb1EEEEDaS1P_S1Q_EUlS1P_E_NS1_11comp_targetILNS1_3genE10ELNS1_11target_archE1200ELNS1_3gpuE4ELNS1_3repE0EEENS1_30default_config_static_selectorELNS0_4arch9wavefront6targetE0EEEvS12_.uses_vcc, 0
	.set _ZN7rocprim17ROCPRIM_400000_NS6detail17trampoline_kernelINS0_13select_configILj256ELj13ELNS0_17block_load_methodE3ELS4_3ELS4_3ELNS0_20block_scan_algorithmE0ELj4294967295EEENS1_25partition_config_selectorILNS1_17partition_subalgoE4EjNS0_10empty_typeEbEEZZNS1_14partition_implILS8_4ELb0ES6_15HIP_vector_typeIjLj2EENS0_17counting_iteratorIjlEEPS9_SG_NS0_5tupleIJPjSI_NS0_16reverse_iteratorISI_EEEEENSH_IJSG_SG_SG_EEES9_SI_JZNS1_25segmented_radix_sort_implINS0_14default_configELb1EPKaPaPKlPlN2at6native12_GLOBAL__N_18offset_tEEE10hipError_tPvRmT1_PNSt15iterator_traitsIS12_E10value_typeET2_T3_PNS13_IS18_E10value_typeET4_jRbjT5_S1E_jjP12ihipStream_tbEUljE_ZNSN_ISO_Lb1ESQ_SR_ST_SU_SY_EESZ_S10_S11_S12_S16_S17_S18_S1B_S1C_jS1D_jS1E_S1E_jjS1G_bEUljE0_EEESZ_S10_S11_S18_S1C_S1E_T6_T7_T9_mT8_S1G_bDpT10_ENKUlT_T0_E_clISt17integral_constantIbLb0EES1T_IbLb1EEEEDaS1P_S1Q_EUlS1P_E_NS1_11comp_targetILNS1_3genE10ELNS1_11target_archE1200ELNS1_3gpuE4ELNS1_3repE0EEENS1_30default_config_static_selectorELNS0_4arch9wavefront6targetE0EEEvS12_.uses_flat_scratch, 0
	.set _ZN7rocprim17ROCPRIM_400000_NS6detail17trampoline_kernelINS0_13select_configILj256ELj13ELNS0_17block_load_methodE3ELS4_3ELS4_3ELNS0_20block_scan_algorithmE0ELj4294967295EEENS1_25partition_config_selectorILNS1_17partition_subalgoE4EjNS0_10empty_typeEbEEZZNS1_14partition_implILS8_4ELb0ES6_15HIP_vector_typeIjLj2EENS0_17counting_iteratorIjlEEPS9_SG_NS0_5tupleIJPjSI_NS0_16reverse_iteratorISI_EEEEENSH_IJSG_SG_SG_EEES9_SI_JZNS1_25segmented_radix_sort_implINS0_14default_configELb1EPKaPaPKlPlN2at6native12_GLOBAL__N_18offset_tEEE10hipError_tPvRmT1_PNSt15iterator_traitsIS12_E10value_typeET2_T3_PNS13_IS18_E10value_typeET4_jRbjT5_S1E_jjP12ihipStream_tbEUljE_ZNSN_ISO_Lb1ESQ_SR_ST_SU_SY_EESZ_S10_S11_S12_S16_S17_S18_S1B_S1C_jS1D_jS1E_S1E_jjS1G_bEUljE0_EEESZ_S10_S11_S18_S1C_S1E_T6_T7_T9_mT8_S1G_bDpT10_ENKUlT_T0_E_clISt17integral_constantIbLb0EES1T_IbLb1EEEEDaS1P_S1Q_EUlS1P_E_NS1_11comp_targetILNS1_3genE10ELNS1_11target_archE1200ELNS1_3gpuE4ELNS1_3repE0EEENS1_30default_config_static_selectorELNS0_4arch9wavefront6targetE0EEEvS12_.has_dyn_sized_stack, 0
	.set _ZN7rocprim17ROCPRIM_400000_NS6detail17trampoline_kernelINS0_13select_configILj256ELj13ELNS0_17block_load_methodE3ELS4_3ELS4_3ELNS0_20block_scan_algorithmE0ELj4294967295EEENS1_25partition_config_selectorILNS1_17partition_subalgoE4EjNS0_10empty_typeEbEEZZNS1_14partition_implILS8_4ELb0ES6_15HIP_vector_typeIjLj2EENS0_17counting_iteratorIjlEEPS9_SG_NS0_5tupleIJPjSI_NS0_16reverse_iteratorISI_EEEEENSH_IJSG_SG_SG_EEES9_SI_JZNS1_25segmented_radix_sort_implINS0_14default_configELb1EPKaPaPKlPlN2at6native12_GLOBAL__N_18offset_tEEE10hipError_tPvRmT1_PNSt15iterator_traitsIS12_E10value_typeET2_T3_PNS13_IS18_E10value_typeET4_jRbjT5_S1E_jjP12ihipStream_tbEUljE_ZNSN_ISO_Lb1ESQ_SR_ST_SU_SY_EESZ_S10_S11_S12_S16_S17_S18_S1B_S1C_jS1D_jS1E_S1E_jjS1G_bEUljE0_EEESZ_S10_S11_S18_S1C_S1E_T6_T7_T9_mT8_S1G_bDpT10_ENKUlT_T0_E_clISt17integral_constantIbLb0EES1T_IbLb1EEEEDaS1P_S1Q_EUlS1P_E_NS1_11comp_targetILNS1_3genE10ELNS1_11target_archE1200ELNS1_3gpuE4ELNS1_3repE0EEENS1_30default_config_static_selectorELNS0_4arch9wavefront6targetE0EEEvS12_.has_recursion, 0
	.set _ZN7rocprim17ROCPRIM_400000_NS6detail17trampoline_kernelINS0_13select_configILj256ELj13ELNS0_17block_load_methodE3ELS4_3ELS4_3ELNS0_20block_scan_algorithmE0ELj4294967295EEENS1_25partition_config_selectorILNS1_17partition_subalgoE4EjNS0_10empty_typeEbEEZZNS1_14partition_implILS8_4ELb0ES6_15HIP_vector_typeIjLj2EENS0_17counting_iteratorIjlEEPS9_SG_NS0_5tupleIJPjSI_NS0_16reverse_iteratorISI_EEEEENSH_IJSG_SG_SG_EEES9_SI_JZNS1_25segmented_radix_sort_implINS0_14default_configELb1EPKaPaPKlPlN2at6native12_GLOBAL__N_18offset_tEEE10hipError_tPvRmT1_PNSt15iterator_traitsIS12_E10value_typeET2_T3_PNS13_IS18_E10value_typeET4_jRbjT5_S1E_jjP12ihipStream_tbEUljE_ZNSN_ISO_Lb1ESQ_SR_ST_SU_SY_EESZ_S10_S11_S12_S16_S17_S18_S1B_S1C_jS1D_jS1E_S1E_jjS1G_bEUljE0_EEESZ_S10_S11_S18_S1C_S1E_T6_T7_T9_mT8_S1G_bDpT10_ENKUlT_T0_E_clISt17integral_constantIbLb0EES1T_IbLb1EEEEDaS1P_S1Q_EUlS1P_E_NS1_11comp_targetILNS1_3genE10ELNS1_11target_archE1200ELNS1_3gpuE4ELNS1_3repE0EEENS1_30default_config_static_selectorELNS0_4arch9wavefront6targetE0EEEvS12_.has_indirect_call, 0
	.section	.AMDGPU.csdata,"",@progbits
; Kernel info:
; codeLenInByte = 0
; TotalNumSgprs: 0
; NumVgprs: 0
; ScratchSize: 0
; MemoryBound: 0
; FloatMode: 240
; IeeeMode: 1
; LDSByteSize: 0 bytes/workgroup (compile time only)
; SGPRBlocks: 0
; VGPRBlocks: 0
; NumSGPRsForWavesPerEU: 1
; NumVGPRsForWavesPerEU: 1
; NamedBarCnt: 0
; Occupancy: 16
; WaveLimiterHint : 0
; COMPUTE_PGM_RSRC2:SCRATCH_EN: 0
; COMPUTE_PGM_RSRC2:USER_SGPR: 2
; COMPUTE_PGM_RSRC2:TRAP_HANDLER: 0
; COMPUTE_PGM_RSRC2:TGID_X_EN: 1
; COMPUTE_PGM_RSRC2:TGID_Y_EN: 0
; COMPUTE_PGM_RSRC2:TGID_Z_EN: 0
; COMPUTE_PGM_RSRC2:TIDIG_COMP_CNT: 0
	.section	.text._ZN7rocprim17ROCPRIM_400000_NS6detail17trampoline_kernelINS0_13select_configILj256ELj13ELNS0_17block_load_methodE3ELS4_3ELS4_3ELNS0_20block_scan_algorithmE0ELj4294967295EEENS1_25partition_config_selectorILNS1_17partition_subalgoE4EjNS0_10empty_typeEbEEZZNS1_14partition_implILS8_4ELb0ES6_15HIP_vector_typeIjLj2EENS0_17counting_iteratorIjlEEPS9_SG_NS0_5tupleIJPjSI_NS0_16reverse_iteratorISI_EEEEENSH_IJSG_SG_SG_EEES9_SI_JZNS1_25segmented_radix_sort_implINS0_14default_configELb1EPKaPaPKlPlN2at6native12_GLOBAL__N_18offset_tEEE10hipError_tPvRmT1_PNSt15iterator_traitsIS12_E10value_typeET2_T3_PNS13_IS18_E10value_typeET4_jRbjT5_S1E_jjP12ihipStream_tbEUljE_ZNSN_ISO_Lb1ESQ_SR_ST_SU_SY_EESZ_S10_S11_S12_S16_S17_S18_S1B_S1C_jS1D_jS1E_S1E_jjS1G_bEUljE0_EEESZ_S10_S11_S18_S1C_S1E_T6_T7_T9_mT8_S1G_bDpT10_ENKUlT_T0_E_clISt17integral_constantIbLb0EES1T_IbLb1EEEEDaS1P_S1Q_EUlS1P_E_NS1_11comp_targetILNS1_3genE9ELNS1_11target_archE1100ELNS1_3gpuE3ELNS1_3repE0EEENS1_30default_config_static_selectorELNS0_4arch9wavefront6targetE0EEEvS12_,"axG",@progbits,_ZN7rocprim17ROCPRIM_400000_NS6detail17trampoline_kernelINS0_13select_configILj256ELj13ELNS0_17block_load_methodE3ELS4_3ELS4_3ELNS0_20block_scan_algorithmE0ELj4294967295EEENS1_25partition_config_selectorILNS1_17partition_subalgoE4EjNS0_10empty_typeEbEEZZNS1_14partition_implILS8_4ELb0ES6_15HIP_vector_typeIjLj2EENS0_17counting_iteratorIjlEEPS9_SG_NS0_5tupleIJPjSI_NS0_16reverse_iteratorISI_EEEEENSH_IJSG_SG_SG_EEES9_SI_JZNS1_25segmented_radix_sort_implINS0_14default_configELb1EPKaPaPKlPlN2at6native12_GLOBAL__N_18offset_tEEE10hipError_tPvRmT1_PNSt15iterator_traitsIS12_E10value_typeET2_T3_PNS13_IS18_E10value_typeET4_jRbjT5_S1E_jjP12ihipStream_tbEUljE_ZNSN_ISO_Lb1ESQ_SR_ST_SU_SY_EESZ_S10_S11_S12_S16_S17_S18_S1B_S1C_jS1D_jS1E_S1E_jjS1G_bEUljE0_EEESZ_S10_S11_S18_S1C_S1E_T6_T7_T9_mT8_S1G_bDpT10_ENKUlT_T0_E_clISt17integral_constantIbLb0EES1T_IbLb1EEEEDaS1P_S1Q_EUlS1P_E_NS1_11comp_targetILNS1_3genE9ELNS1_11target_archE1100ELNS1_3gpuE3ELNS1_3repE0EEENS1_30default_config_static_selectorELNS0_4arch9wavefront6targetE0EEEvS12_,comdat
	.globl	_ZN7rocprim17ROCPRIM_400000_NS6detail17trampoline_kernelINS0_13select_configILj256ELj13ELNS0_17block_load_methodE3ELS4_3ELS4_3ELNS0_20block_scan_algorithmE0ELj4294967295EEENS1_25partition_config_selectorILNS1_17partition_subalgoE4EjNS0_10empty_typeEbEEZZNS1_14partition_implILS8_4ELb0ES6_15HIP_vector_typeIjLj2EENS0_17counting_iteratorIjlEEPS9_SG_NS0_5tupleIJPjSI_NS0_16reverse_iteratorISI_EEEEENSH_IJSG_SG_SG_EEES9_SI_JZNS1_25segmented_radix_sort_implINS0_14default_configELb1EPKaPaPKlPlN2at6native12_GLOBAL__N_18offset_tEEE10hipError_tPvRmT1_PNSt15iterator_traitsIS12_E10value_typeET2_T3_PNS13_IS18_E10value_typeET4_jRbjT5_S1E_jjP12ihipStream_tbEUljE_ZNSN_ISO_Lb1ESQ_SR_ST_SU_SY_EESZ_S10_S11_S12_S16_S17_S18_S1B_S1C_jS1D_jS1E_S1E_jjS1G_bEUljE0_EEESZ_S10_S11_S18_S1C_S1E_T6_T7_T9_mT8_S1G_bDpT10_ENKUlT_T0_E_clISt17integral_constantIbLb0EES1T_IbLb1EEEEDaS1P_S1Q_EUlS1P_E_NS1_11comp_targetILNS1_3genE9ELNS1_11target_archE1100ELNS1_3gpuE3ELNS1_3repE0EEENS1_30default_config_static_selectorELNS0_4arch9wavefront6targetE0EEEvS12_ ; -- Begin function _ZN7rocprim17ROCPRIM_400000_NS6detail17trampoline_kernelINS0_13select_configILj256ELj13ELNS0_17block_load_methodE3ELS4_3ELS4_3ELNS0_20block_scan_algorithmE0ELj4294967295EEENS1_25partition_config_selectorILNS1_17partition_subalgoE4EjNS0_10empty_typeEbEEZZNS1_14partition_implILS8_4ELb0ES6_15HIP_vector_typeIjLj2EENS0_17counting_iteratorIjlEEPS9_SG_NS0_5tupleIJPjSI_NS0_16reverse_iteratorISI_EEEEENSH_IJSG_SG_SG_EEES9_SI_JZNS1_25segmented_radix_sort_implINS0_14default_configELb1EPKaPaPKlPlN2at6native12_GLOBAL__N_18offset_tEEE10hipError_tPvRmT1_PNSt15iterator_traitsIS12_E10value_typeET2_T3_PNS13_IS18_E10value_typeET4_jRbjT5_S1E_jjP12ihipStream_tbEUljE_ZNSN_ISO_Lb1ESQ_SR_ST_SU_SY_EESZ_S10_S11_S12_S16_S17_S18_S1B_S1C_jS1D_jS1E_S1E_jjS1G_bEUljE0_EEESZ_S10_S11_S18_S1C_S1E_T6_T7_T9_mT8_S1G_bDpT10_ENKUlT_T0_E_clISt17integral_constantIbLb0EES1T_IbLb1EEEEDaS1P_S1Q_EUlS1P_E_NS1_11comp_targetILNS1_3genE9ELNS1_11target_archE1100ELNS1_3gpuE3ELNS1_3repE0EEENS1_30default_config_static_selectorELNS0_4arch9wavefront6targetE0EEEvS12_
	.p2align	8
	.type	_ZN7rocprim17ROCPRIM_400000_NS6detail17trampoline_kernelINS0_13select_configILj256ELj13ELNS0_17block_load_methodE3ELS4_3ELS4_3ELNS0_20block_scan_algorithmE0ELj4294967295EEENS1_25partition_config_selectorILNS1_17partition_subalgoE4EjNS0_10empty_typeEbEEZZNS1_14partition_implILS8_4ELb0ES6_15HIP_vector_typeIjLj2EENS0_17counting_iteratorIjlEEPS9_SG_NS0_5tupleIJPjSI_NS0_16reverse_iteratorISI_EEEEENSH_IJSG_SG_SG_EEES9_SI_JZNS1_25segmented_radix_sort_implINS0_14default_configELb1EPKaPaPKlPlN2at6native12_GLOBAL__N_18offset_tEEE10hipError_tPvRmT1_PNSt15iterator_traitsIS12_E10value_typeET2_T3_PNS13_IS18_E10value_typeET4_jRbjT5_S1E_jjP12ihipStream_tbEUljE_ZNSN_ISO_Lb1ESQ_SR_ST_SU_SY_EESZ_S10_S11_S12_S16_S17_S18_S1B_S1C_jS1D_jS1E_S1E_jjS1G_bEUljE0_EEESZ_S10_S11_S18_S1C_S1E_T6_T7_T9_mT8_S1G_bDpT10_ENKUlT_T0_E_clISt17integral_constantIbLb0EES1T_IbLb1EEEEDaS1P_S1Q_EUlS1P_E_NS1_11comp_targetILNS1_3genE9ELNS1_11target_archE1100ELNS1_3gpuE3ELNS1_3repE0EEENS1_30default_config_static_selectorELNS0_4arch9wavefront6targetE0EEEvS12_,@function
_ZN7rocprim17ROCPRIM_400000_NS6detail17trampoline_kernelINS0_13select_configILj256ELj13ELNS0_17block_load_methodE3ELS4_3ELS4_3ELNS0_20block_scan_algorithmE0ELj4294967295EEENS1_25partition_config_selectorILNS1_17partition_subalgoE4EjNS0_10empty_typeEbEEZZNS1_14partition_implILS8_4ELb0ES6_15HIP_vector_typeIjLj2EENS0_17counting_iteratorIjlEEPS9_SG_NS0_5tupleIJPjSI_NS0_16reverse_iteratorISI_EEEEENSH_IJSG_SG_SG_EEES9_SI_JZNS1_25segmented_radix_sort_implINS0_14default_configELb1EPKaPaPKlPlN2at6native12_GLOBAL__N_18offset_tEEE10hipError_tPvRmT1_PNSt15iterator_traitsIS12_E10value_typeET2_T3_PNS13_IS18_E10value_typeET4_jRbjT5_S1E_jjP12ihipStream_tbEUljE_ZNSN_ISO_Lb1ESQ_SR_ST_SU_SY_EESZ_S10_S11_S12_S16_S17_S18_S1B_S1C_jS1D_jS1E_S1E_jjS1G_bEUljE0_EEESZ_S10_S11_S18_S1C_S1E_T6_T7_T9_mT8_S1G_bDpT10_ENKUlT_T0_E_clISt17integral_constantIbLb0EES1T_IbLb1EEEEDaS1P_S1Q_EUlS1P_E_NS1_11comp_targetILNS1_3genE9ELNS1_11target_archE1100ELNS1_3gpuE3ELNS1_3repE0EEENS1_30default_config_static_selectorELNS0_4arch9wavefront6targetE0EEEvS12_: ; @_ZN7rocprim17ROCPRIM_400000_NS6detail17trampoline_kernelINS0_13select_configILj256ELj13ELNS0_17block_load_methodE3ELS4_3ELS4_3ELNS0_20block_scan_algorithmE0ELj4294967295EEENS1_25partition_config_selectorILNS1_17partition_subalgoE4EjNS0_10empty_typeEbEEZZNS1_14partition_implILS8_4ELb0ES6_15HIP_vector_typeIjLj2EENS0_17counting_iteratorIjlEEPS9_SG_NS0_5tupleIJPjSI_NS0_16reverse_iteratorISI_EEEEENSH_IJSG_SG_SG_EEES9_SI_JZNS1_25segmented_radix_sort_implINS0_14default_configELb1EPKaPaPKlPlN2at6native12_GLOBAL__N_18offset_tEEE10hipError_tPvRmT1_PNSt15iterator_traitsIS12_E10value_typeET2_T3_PNS13_IS18_E10value_typeET4_jRbjT5_S1E_jjP12ihipStream_tbEUljE_ZNSN_ISO_Lb1ESQ_SR_ST_SU_SY_EESZ_S10_S11_S12_S16_S17_S18_S1B_S1C_jS1D_jS1E_S1E_jjS1G_bEUljE0_EEESZ_S10_S11_S18_S1C_S1E_T6_T7_T9_mT8_S1G_bDpT10_ENKUlT_T0_E_clISt17integral_constantIbLb0EES1T_IbLb1EEEEDaS1P_S1Q_EUlS1P_E_NS1_11comp_targetILNS1_3genE9ELNS1_11target_archE1100ELNS1_3gpuE3ELNS1_3repE0EEENS1_30default_config_static_selectorELNS0_4arch9wavefront6targetE0EEEvS12_
; %bb.0:
	.section	.rodata,"a",@progbits
	.p2align	6, 0x0
	.amdhsa_kernel _ZN7rocprim17ROCPRIM_400000_NS6detail17trampoline_kernelINS0_13select_configILj256ELj13ELNS0_17block_load_methodE3ELS4_3ELS4_3ELNS0_20block_scan_algorithmE0ELj4294967295EEENS1_25partition_config_selectorILNS1_17partition_subalgoE4EjNS0_10empty_typeEbEEZZNS1_14partition_implILS8_4ELb0ES6_15HIP_vector_typeIjLj2EENS0_17counting_iteratorIjlEEPS9_SG_NS0_5tupleIJPjSI_NS0_16reverse_iteratorISI_EEEEENSH_IJSG_SG_SG_EEES9_SI_JZNS1_25segmented_radix_sort_implINS0_14default_configELb1EPKaPaPKlPlN2at6native12_GLOBAL__N_18offset_tEEE10hipError_tPvRmT1_PNSt15iterator_traitsIS12_E10value_typeET2_T3_PNS13_IS18_E10value_typeET4_jRbjT5_S1E_jjP12ihipStream_tbEUljE_ZNSN_ISO_Lb1ESQ_SR_ST_SU_SY_EESZ_S10_S11_S12_S16_S17_S18_S1B_S1C_jS1D_jS1E_S1E_jjS1G_bEUljE0_EEESZ_S10_S11_S18_S1C_S1E_T6_T7_T9_mT8_S1G_bDpT10_ENKUlT_T0_E_clISt17integral_constantIbLb0EES1T_IbLb1EEEEDaS1P_S1Q_EUlS1P_E_NS1_11comp_targetILNS1_3genE9ELNS1_11target_archE1100ELNS1_3gpuE3ELNS1_3repE0EEENS1_30default_config_static_selectorELNS0_4arch9wavefront6targetE0EEEvS12_
		.amdhsa_group_segment_fixed_size 0
		.amdhsa_private_segment_fixed_size 0
		.amdhsa_kernarg_size 184
		.amdhsa_user_sgpr_count 2
		.amdhsa_user_sgpr_dispatch_ptr 0
		.amdhsa_user_sgpr_queue_ptr 0
		.amdhsa_user_sgpr_kernarg_segment_ptr 1
		.amdhsa_user_sgpr_dispatch_id 0
		.amdhsa_user_sgpr_kernarg_preload_length 0
		.amdhsa_user_sgpr_kernarg_preload_offset 0
		.amdhsa_user_sgpr_private_segment_size 0
		.amdhsa_wavefront_size32 1
		.amdhsa_uses_dynamic_stack 0
		.amdhsa_enable_private_segment 0
		.amdhsa_system_sgpr_workgroup_id_x 1
		.amdhsa_system_sgpr_workgroup_id_y 0
		.amdhsa_system_sgpr_workgroup_id_z 0
		.amdhsa_system_sgpr_workgroup_info 0
		.amdhsa_system_vgpr_workitem_id 0
		.amdhsa_next_free_vgpr 1
		.amdhsa_next_free_sgpr 1
		.amdhsa_named_barrier_count 0
		.amdhsa_reserve_vcc 0
		.amdhsa_float_round_mode_32 0
		.amdhsa_float_round_mode_16_64 0
		.amdhsa_float_denorm_mode_32 3
		.amdhsa_float_denorm_mode_16_64 3
		.amdhsa_fp16_overflow 0
		.amdhsa_memory_ordered 1
		.amdhsa_forward_progress 1
		.amdhsa_inst_pref_size 0
		.amdhsa_round_robin_scheduling 0
		.amdhsa_exception_fp_ieee_invalid_op 0
		.amdhsa_exception_fp_denorm_src 0
		.amdhsa_exception_fp_ieee_div_zero 0
		.amdhsa_exception_fp_ieee_overflow 0
		.amdhsa_exception_fp_ieee_underflow 0
		.amdhsa_exception_fp_ieee_inexact 0
		.amdhsa_exception_int_div_zero 0
	.end_amdhsa_kernel
	.section	.text._ZN7rocprim17ROCPRIM_400000_NS6detail17trampoline_kernelINS0_13select_configILj256ELj13ELNS0_17block_load_methodE3ELS4_3ELS4_3ELNS0_20block_scan_algorithmE0ELj4294967295EEENS1_25partition_config_selectorILNS1_17partition_subalgoE4EjNS0_10empty_typeEbEEZZNS1_14partition_implILS8_4ELb0ES6_15HIP_vector_typeIjLj2EENS0_17counting_iteratorIjlEEPS9_SG_NS0_5tupleIJPjSI_NS0_16reverse_iteratorISI_EEEEENSH_IJSG_SG_SG_EEES9_SI_JZNS1_25segmented_radix_sort_implINS0_14default_configELb1EPKaPaPKlPlN2at6native12_GLOBAL__N_18offset_tEEE10hipError_tPvRmT1_PNSt15iterator_traitsIS12_E10value_typeET2_T3_PNS13_IS18_E10value_typeET4_jRbjT5_S1E_jjP12ihipStream_tbEUljE_ZNSN_ISO_Lb1ESQ_SR_ST_SU_SY_EESZ_S10_S11_S12_S16_S17_S18_S1B_S1C_jS1D_jS1E_S1E_jjS1G_bEUljE0_EEESZ_S10_S11_S18_S1C_S1E_T6_T7_T9_mT8_S1G_bDpT10_ENKUlT_T0_E_clISt17integral_constantIbLb0EES1T_IbLb1EEEEDaS1P_S1Q_EUlS1P_E_NS1_11comp_targetILNS1_3genE9ELNS1_11target_archE1100ELNS1_3gpuE3ELNS1_3repE0EEENS1_30default_config_static_selectorELNS0_4arch9wavefront6targetE0EEEvS12_,"axG",@progbits,_ZN7rocprim17ROCPRIM_400000_NS6detail17trampoline_kernelINS0_13select_configILj256ELj13ELNS0_17block_load_methodE3ELS4_3ELS4_3ELNS0_20block_scan_algorithmE0ELj4294967295EEENS1_25partition_config_selectorILNS1_17partition_subalgoE4EjNS0_10empty_typeEbEEZZNS1_14partition_implILS8_4ELb0ES6_15HIP_vector_typeIjLj2EENS0_17counting_iteratorIjlEEPS9_SG_NS0_5tupleIJPjSI_NS0_16reverse_iteratorISI_EEEEENSH_IJSG_SG_SG_EEES9_SI_JZNS1_25segmented_radix_sort_implINS0_14default_configELb1EPKaPaPKlPlN2at6native12_GLOBAL__N_18offset_tEEE10hipError_tPvRmT1_PNSt15iterator_traitsIS12_E10value_typeET2_T3_PNS13_IS18_E10value_typeET4_jRbjT5_S1E_jjP12ihipStream_tbEUljE_ZNSN_ISO_Lb1ESQ_SR_ST_SU_SY_EESZ_S10_S11_S12_S16_S17_S18_S1B_S1C_jS1D_jS1E_S1E_jjS1G_bEUljE0_EEESZ_S10_S11_S18_S1C_S1E_T6_T7_T9_mT8_S1G_bDpT10_ENKUlT_T0_E_clISt17integral_constantIbLb0EES1T_IbLb1EEEEDaS1P_S1Q_EUlS1P_E_NS1_11comp_targetILNS1_3genE9ELNS1_11target_archE1100ELNS1_3gpuE3ELNS1_3repE0EEENS1_30default_config_static_selectorELNS0_4arch9wavefront6targetE0EEEvS12_,comdat
.Lfunc_end254:
	.size	_ZN7rocprim17ROCPRIM_400000_NS6detail17trampoline_kernelINS0_13select_configILj256ELj13ELNS0_17block_load_methodE3ELS4_3ELS4_3ELNS0_20block_scan_algorithmE0ELj4294967295EEENS1_25partition_config_selectorILNS1_17partition_subalgoE4EjNS0_10empty_typeEbEEZZNS1_14partition_implILS8_4ELb0ES6_15HIP_vector_typeIjLj2EENS0_17counting_iteratorIjlEEPS9_SG_NS0_5tupleIJPjSI_NS0_16reverse_iteratorISI_EEEEENSH_IJSG_SG_SG_EEES9_SI_JZNS1_25segmented_radix_sort_implINS0_14default_configELb1EPKaPaPKlPlN2at6native12_GLOBAL__N_18offset_tEEE10hipError_tPvRmT1_PNSt15iterator_traitsIS12_E10value_typeET2_T3_PNS13_IS18_E10value_typeET4_jRbjT5_S1E_jjP12ihipStream_tbEUljE_ZNSN_ISO_Lb1ESQ_SR_ST_SU_SY_EESZ_S10_S11_S12_S16_S17_S18_S1B_S1C_jS1D_jS1E_S1E_jjS1G_bEUljE0_EEESZ_S10_S11_S18_S1C_S1E_T6_T7_T9_mT8_S1G_bDpT10_ENKUlT_T0_E_clISt17integral_constantIbLb0EES1T_IbLb1EEEEDaS1P_S1Q_EUlS1P_E_NS1_11comp_targetILNS1_3genE9ELNS1_11target_archE1100ELNS1_3gpuE3ELNS1_3repE0EEENS1_30default_config_static_selectorELNS0_4arch9wavefront6targetE0EEEvS12_, .Lfunc_end254-_ZN7rocprim17ROCPRIM_400000_NS6detail17trampoline_kernelINS0_13select_configILj256ELj13ELNS0_17block_load_methodE3ELS4_3ELS4_3ELNS0_20block_scan_algorithmE0ELj4294967295EEENS1_25partition_config_selectorILNS1_17partition_subalgoE4EjNS0_10empty_typeEbEEZZNS1_14partition_implILS8_4ELb0ES6_15HIP_vector_typeIjLj2EENS0_17counting_iteratorIjlEEPS9_SG_NS0_5tupleIJPjSI_NS0_16reverse_iteratorISI_EEEEENSH_IJSG_SG_SG_EEES9_SI_JZNS1_25segmented_radix_sort_implINS0_14default_configELb1EPKaPaPKlPlN2at6native12_GLOBAL__N_18offset_tEEE10hipError_tPvRmT1_PNSt15iterator_traitsIS12_E10value_typeET2_T3_PNS13_IS18_E10value_typeET4_jRbjT5_S1E_jjP12ihipStream_tbEUljE_ZNSN_ISO_Lb1ESQ_SR_ST_SU_SY_EESZ_S10_S11_S12_S16_S17_S18_S1B_S1C_jS1D_jS1E_S1E_jjS1G_bEUljE0_EEESZ_S10_S11_S18_S1C_S1E_T6_T7_T9_mT8_S1G_bDpT10_ENKUlT_T0_E_clISt17integral_constantIbLb0EES1T_IbLb1EEEEDaS1P_S1Q_EUlS1P_E_NS1_11comp_targetILNS1_3genE9ELNS1_11target_archE1100ELNS1_3gpuE3ELNS1_3repE0EEENS1_30default_config_static_selectorELNS0_4arch9wavefront6targetE0EEEvS12_
                                        ; -- End function
	.set _ZN7rocprim17ROCPRIM_400000_NS6detail17trampoline_kernelINS0_13select_configILj256ELj13ELNS0_17block_load_methodE3ELS4_3ELS4_3ELNS0_20block_scan_algorithmE0ELj4294967295EEENS1_25partition_config_selectorILNS1_17partition_subalgoE4EjNS0_10empty_typeEbEEZZNS1_14partition_implILS8_4ELb0ES6_15HIP_vector_typeIjLj2EENS0_17counting_iteratorIjlEEPS9_SG_NS0_5tupleIJPjSI_NS0_16reverse_iteratorISI_EEEEENSH_IJSG_SG_SG_EEES9_SI_JZNS1_25segmented_radix_sort_implINS0_14default_configELb1EPKaPaPKlPlN2at6native12_GLOBAL__N_18offset_tEEE10hipError_tPvRmT1_PNSt15iterator_traitsIS12_E10value_typeET2_T3_PNS13_IS18_E10value_typeET4_jRbjT5_S1E_jjP12ihipStream_tbEUljE_ZNSN_ISO_Lb1ESQ_SR_ST_SU_SY_EESZ_S10_S11_S12_S16_S17_S18_S1B_S1C_jS1D_jS1E_S1E_jjS1G_bEUljE0_EEESZ_S10_S11_S18_S1C_S1E_T6_T7_T9_mT8_S1G_bDpT10_ENKUlT_T0_E_clISt17integral_constantIbLb0EES1T_IbLb1EEEEDaS1P_S1Q_EUlS1P_E_NS1_11comp_targetILNS1_3genE9ELNS1_11target_archE1100ELNS1_3gpuE3ELNS1_3repE0EEENS1_30default_config_static_selectorELNS0_4arch9wavefront6targetE0EEEvS12_.num_vgpr, 0
	.set _ZN7rocprim17ROCPRIM_400000_NS6detail17trampoline_kernelINS0_13select_configILj256ELj13ELNS0_17block_load_methodE3ELS4_3ELS4_3ELNS0_20block_scan_algorithmE0ELj4294967295EEENS1_25partition_config_selectorILNS1_17partition_subalgoE4EjNS0_10empty_typeEbEEZZNS1_14partition_implILS8_4ELb0ES6_15HIP_vector_typeIjLj2EENS0_17counting_iteratorIjlEEPS9_SG_NS0_5tupleIJPjSI_NS0_16reverse_iteratorISI_EEEEENSH_IJSG_SG_SG_EEES9_SI_JZNS1_25segmented_radix_sort_implINS0_14default_configELb1EPKaPaPKlPlN2at6native12_GLOBAL__N_18offset_tEEE10hipError_tPvRmT1_PNSt15iterator_traitsIS12_E10value_typeET2_T3_PNS13_IS18_E10value_typeET4_jRbjT5_S1E_jjP12ihipStream_tbEUljE_ZNSN_ISO_Lb1ESQ_SR_ST_SU_SY_EESZ_S10_S11_S12_S16_S17_S18_S1B_S1C_jS1D_jS1E_S1E_jjS1G_bEUljE0_EEESZ_S10_S11_S18_S1C_S1E_T6_T7_T9_mT8_S1G_bDpT10_ENKUlT_T0_E_clISt17integral_constantIbLb0EES1T_IbLb1EEEEDaS1P_S1Q_EUlS1P_E_NS1_11comp_targetILNS1_3genE9ELNS1_11target_archE1100ELNS1_3gpuE3ELNS1_3repE0EEENS1_30default_config_static_selectorELNS0_4arch9wavefront6targetE0EEEvS12_.num_agpr, 0
	.set _ZN7rocprim17ROCPRIM_400000_NS6detail17trampoline_kernelINS0_13select_configILj256ELj13ELNS0_17block_load_methodE3ELS4_3ELS4_3ELNS0_20block_scan_algorithmE0ELj4294967295EEENS1_25partition_config_selectorILNS1_17partition_subalgoE4EjNS0_10empty_typeEbEEZZNS1_14partition_implILS8_4ELb0ES6_15HIP_vector_typeIjLj2EENS0_17counting_iteratorIjlEEPS9_SG_NS0_5tupleIJPjSI_NS0_16reverse_iteratorISI_EEEEENSH_IJSG_SG_SG_EEES9_SI_JZNS1_25segmented_radix_sort_implINS0_14default_configELb1EPKaPaPKlPlN2at6native12_GLOBAL__N_18offset_tEEE10hipError_tPvRmT1_PNSt15iterator_traitsIS12_E10value_typeET2_T3_PNS13_IS18_E10value_typeET4_jRbjT5_S1E_jjP12ihipStream_tbEUljE_ZNSN_ISO_Lb1ESQ_SR_ST_SU_SY_EESZ_S10_S11_S12_S16_S17_S18_S1B_S1C_jS1D_jS1E_S1E_jjS1G_bEUljE0_EEESZ_S10_S11_S18_S1C_S1E_T6_T7_T9_mT8_S1G_bDpT10_ENKUlT_T0_E_clISt17integral_constantIbLb0EES1T_IbLb1EEEEDaS1P_S1Q_EUlS1P_E_NS1_11comp_targetILNS1_3genE9ELNS1_11target_archE1100ELNS1_3gpuE3ELNS1_3repE0EEENS1_30default_config_static_selectorELNS0_4arch9wavefront6targetE0EEEvS12_.numbered_sgpr, 0
	.set _ZN7rocprim17ROCPRIM_400000_NS6detail17trampoline_kernelINS0_13select_configILj256ELj13ELNS0_17block_load_methodE3ELS4_3ELS4_3ELNS0_20block_scan_algorithmE0ELj4294967295EEENS1_25partition_config_selectorILNS1_17partition_subalgoE4EjNS0_10empty_typeEbEEZZNS1_14partition_implILS8_4ELb0ES6_15HIP_vector_typeIjLj2EENS0_17counting_iteratorIjlEEPS9_SG_NS0_5tupleIJPjSI_NS0_16reverse_iteratorISI_EEEEENSH_IJSG_SG_SG_EEES9_SI_JZNS1_25segmented_radix_sort_implINS0_14default_configELb1EPKaPaPKlPlN2at6native12_GLOBAL__N_18offset_tEEE10hipError_tPvRmT1_PNSt15iterator_traitsIS12_E10value_typeET2_T3_PNS13_IS18_E10value_typeET4_jRbjT5_S1E_jjP12ihipStream_tbEUljE_ZNSN_ISO_Lb1ESQ_SR_ST_SU_SY_EESZ_S10_S11_S12_S16_S17_S18_S1B_S1C_jS1D_jS1E_S1E_jjS1G_bEUljE0_EEESZ_S10_S11_S18_S1C_S1E_T6_T7_T9_mT8_S1G_bDpT10_ENKUlT_T0_E_clISt17integral_constantIbLb0EES1T_IbLb1EEEEDaS1P_S1Q_EUlS1P_E_NS1_11comp_targetILNS1_3genE9ELNS1_11target_archE1100ELNS1_3gpuE3ELNS1_3repE0EEENS1_30default_config_static_selectorELNS0_4arch9wavefront6targetE0EEEvS12_.num_named_barrier, 0
	.set _ZN7rocprim17ROCPRIM_400000_NS6detail17trampoline_kernelINS0_13select_configILj256ELj13ELNS0_17block_load_methodE3ELS4_3ELS4_3ELNS0_20block_scan_algorithmE0ELj4294967295EEENS1_25partition_config_selectorILNS1_17partition_subalgoE4EjNS0_10empty_typeEbEEZZNS1_14partition_implILS8_4ELb0ES6_15HIP_vector_typeIjLj2EENS0_17counting_iteratorIjlEEPS9_SG_NS0_5tupleIJPjSI_NS0_16reverse_iteratorISI_EEEEENSH_IJSG_SG_SG_EEES9_SI_JZNS1_25segmented_radix_sort_implINS0_14default_configELb1EPKaPaPKlPlN2at6native12_GLOBAL__N_18offset_tEEE10hipError_tPvRmT1_PNSt15iterator_traitsIS12_E10value_typeET2_T3_PNS13_IS18_E10value_typeET4_jRbjT5_S1E_jjP12ihipStream_tbEUljE_ZNSN_ISO_Lb1ESQ_SR_ST_SU_SY_EESZ_S10_S11_S12_S16_S17_S18_S1B_S1C_jS1D_jS1E_S1E_jjS1G_bEUljE0_EEESZ_S10_S11_S18_S1C_S1E_T6_T7_T9_mT8_S1G_bDpT10_ENKUlT_T0_E_clISt17integral_constantIbLb0EES1T_IbLb1EEEEDaS1P_S1Q_EUlS1P_E_NS1_11comp_targetILNS1_3genE9ELNS1_11target_archE1100ELNS1_3gpuE3ELNS1_3repE0EEENS1_30default_config_static_selectorELNS0_4arch9wavefront6targetE0EEEvS12_.private_seg_size, 0
	.set _ZN7rocprim17ROCPRIM_400000_NS6detail17trampoline_kernelINS0_13select_configILj256ELj13ELNS0_17block_load_methodE3ELS4_3ELS4_3ELNS0_20block_scan_algorithmE0ELj4294967295EEENS1_25partition_config_selectorILNS1_17partition_subalgoE4EjNS0_10empty_typeEbEEZZNS1_14partition_implILS8_4ELb0ES6_15HIP_vector_typeIjLj2EENS0_17counting_iteratorIjlEEPS9_SG_NS0_5tupleIJPjSI_NS0_16reverse_iteratorISI_EEEEENSH_IJSG_SG_SG_EEES9_SI_JZNS1_25segmented_radix_sort_implINS0_14default_configELb1EPKaPaPKlPlN2at6native12_GLOBAL__N_18offset_tEEE10hipError_tPvRmT1_PNSt15iterator_traitsIS12_E10value_typeET2_T3_PNS13_IS18_E10value_typeET4_jRbjT5_S1E_jjP12ihipStream_tbEUljE_ZNSN_ISO_Lb1ESQ_SR_ST_SU_SY_EESZ_S10_S11_S12_S16_S17_S18_S1B_S1C_jS1D_jS1E_S1E_jjS1G_bEUljE0_EEESZ_S10_S11_S18_S1C_S1E_T6_T7_T9_mT8_S1G_bDpT10_ENKUlT_T0_E_clISt17integral_constantIbLb0EES1T_IbLb1EEEEDaS1P_S1Q_EUlS1P_E_NS1_11comp_targetILNS1_3genE9ELNS1_11target_archE1100ELNS1_3gpuE3ELNS1_3repE0EEENS1_30default_config_static_selectorELNS0_4arch9wavefront6targetE0EEEvS12_.uses_vcc, 0
	.set _ZN7rocprim17ROCPRIM_400000_NS6detail17trampoline_kernelINS0_13select_configILj256ELj13ELNS0_17block_load_methodE3ELS4_3ELS4_3ELNS0_20block_scan_algorithmE0ELj4294967295EEENS1_25partition_config_selectorILNS1_17partition_subalgoE4EjNS0_10empty_typeEbEEZZNS1_14partition_implILS8_4ELb0ES6_15HIP_vector_typeIjLj2EENS0_17counting_iteratorIjlEEPS9_SG_NS0_5tupleIJPjSI_NS0_16reverse_iteratorISI_EEEEENSH_IJSG_SG_SG_EEES9_SI_JZNS1_25segmented_radix_sort_implINS0_14default_configELb1EPKaPaPKlPlN2at6native12_GLOBAL__N_18offset_tEEE10hipError_tPvRmT1_PNSt15iterator_traitsIS12_E10value_typeET2_T3_PNS13_IS18_E10value_typeET4_jRbjT5_S1E_jjP12ihipStream_tbEUljE_ZNSN_ISO_Lb1ESQ_SR_ST_SU_SY_EESZ_S10_S11_S12_S16_S17_S18_S1B_S1C_jS1D_jS1E_S1E_jjS1G_bEUljE0_EEESZ_S10_S11_S18_S1C_S1E_T6_T7_T9_mT8_S1G_bDpT10_ENKUlT_T0_E_clISt17integral_constantIbLb0EES1T_IbLb1EEEEDaS1P_S1Q_EUlS1P_E_NS1_11comp_targetILNS1_3genE9ELNS1_11target_archE1100ELNS1_3gpuE3ELNS1_3repE0EEENS1_30default_config_static_selectorELNS0_4arch9wavefront6targetE0EEEvS12_.uses_flat_scratch, 0
	.set _ZN7rocprim17ROCPRIM_400000_NS6detail17trampoline_kernelINS0_13select_configILj256ELj13ELNS0_17block_load_methodE3ELS4_3ELS4_3ELNS0_20block_scan_algorithmE0ELj4294967295EEENS1_25partition_config_selectorILNS1_17partition_subalgoE4EjNS0_10empty_typeEbEEZZNS1_14partition_implILS8_4ELb0ES6_15HIP_vector_typeIjLj2EENS0_17counting_iteratorIjlEEPS9_SG_NS0_5tupleIJPjSI_NS0_16reverse_iteratorISI_EEEEENSH_IJSG_SG_SG_EEES9_SI_JZNS1_25segmented_radix_sort_implINS0_14default_configELb1EPKaPaPKlPlN2at6native12_GLOBAL__N_18offset_tEEE10hipError_tPvRmT1_PNSt15iterator_traitsIS12_E10value_typeET2_T3_PNS13_IS18_E10value_typeET4_jRbjT5_S1E_jjP12ihipStream_tbEUljE_ZNSN_ISO_Lb1ESQ_SR_ST_SU_SY_EESZ_S10_S11_S12_S16_S17_S18_S1B_S1C_jS1D_jS1E_S1E_jjS1G_bEUljE0_EEESZ_S10_S11_S18_S1C_S1E_T6_T7_T9_mT8_S1G_bDpT10_ENKUlT_T0_E_clISt17integral_constantIbLb0EES1T_IbLb1EEEEDaS1P_S1Q_EUlS1P_E_NS1_11comp_targetILNS1_3genE9ELNS1_11target_archE1100ELNS1_3gpuE3ELNS1_3repE0EEENS1_30default_config_static_selectorELNS0_4arch9wavefront6targetE0EEEvS12_.has_dyn_sized_stack, 0
	.set _ZN7rocprim17ROCPRIM_400000_NS6detail17trampoline_kernelINS0_13select_configILj256ELj13ELNS0_17block_load_methodE3ELS4_3ELS4_3ELNS0_20block_scan_algorithmE0ELj4294967295EEENS1_25partition_config_selectorILNS1_17partition_subalgoE4EjNS0_10empty_typeEbEEZZNS1_14partition_implILS8_4ELb0ES6_15HIP_vector_typeIjLj2EENS0_17counting_iteratorIjlEEPS9_SG_NS0_5tupleIJPjSI_NS0_16reverse_iteratorISI_EEEEENSH_IJSG_SG_SG_EEES9_SI_JZNS1_25segmented_radix_sort_implINS0_14default_configELb1EPKaPaPKlPlN2at6native12_GLOBAL__N_18offset_tEEE10hipError_tPvRmT1_PNSt15iterator_traitsIS12_E10value_typeET2_T3_PNS13_IS18_E10value_typeET4_jRbjT5_S1E_jjP12ihipStream_tbEUljE_ZNSN_ISO_Lb1ESQ_SR_ST_SU_SY_EESZ_S10_S11_S12_S16_S17_S18_S1B_S1C_jS1D_jS1E_S1E_jjS1G_bEUljE0_EEESZ_S10_S11_S18_S1C_S1E_T6_T7_T9_mT8_S1G_bDpT10_ENKUlT_T0_E_clISt17integral_constantIbLb0EES1T_IbLb1EEEEDaS1P_S1Q_EUlS1P_E_NS1_11comp_targetILNS1_3genE9ELNS1_11target_archE1100ELNS1_3gpuE3ELNS1_3repE0EEENS1_30default_config_static_selectorELNS0_4arch9wavefront6targetE0EEEvS12_.has_recursion, 0
	.set _ZN7rocprim17ROCPRIM_400000_NS6detail17trampoline_kernelINS0_13select_configILj256ELj13ELNS0_17block_load_methodE3ELS4_3ELS4_3ELNS0_20block_scan_algorithmE0ELj4294967295EEENS1_25partition_config_selectorILNS1_17partition_subalgoE4EjNS0_10empty_typeEbEEZZNS1_14partition_implILS8_4ELb0ES6_15HIP_vector_typeIjLj2EENS0_17counting_iteratorIjlEEPS9_SG_NS0_5tupleIJPjSI_NS0_16reverse_iteratorISI_EEEEENSH_IJSG_SG_SG_EEES9_SI_JZNS1_25segmented_radix_sort_implINS0_14default_configELb1EPKaPaPKlPlN2at6native12_GLOBAL__N_18offset_tEEE10hipError_tPvRmT1_PNSt15iterator_traitsIS12_E10value_typeET2_T3_PNS13_IS18_E10value_typeET4_jRbjT5_S1E_jjP12ihipStream_tbEUljE_ZNSN_ISO_Lb1ESQ_SR_ST_SU_SY_EESZ_S10_S11_S12_S16_S17_S18_S1B_S1C_jS1D_jS1E_S1E_jjS1G_bEUljE0_EEESZ_S10_S11_S18_S1C_S1E_T6_T7_T9_mT8_S1G_bDpT10_ENKUlT_T0_E_clISt17integral_constantIbLb0EES1T_IbLb1EEEEDaS1P_S1Q_EUlS1P_E_NS1_11comp_targetILNS1_3genE9ELNS1_11target_archE1100ELNS1_3gpuE3ELNS1_3repE0EEENS1_30default_config_static_selectorELNS0_4arch9wavefront6targetE0EEEvS12_.has_indirect_call, 0
	.section	.AMDGPU.csdata,"",@progbits
; Kernel info:
; codeLenInByte = 0
; TotalNumSgprs: 0
; NumVgprs: 0
; ScratchSize: 0
; MemoryBound: 0
; FloatMode: 240
; IeeeMode: 1
; LDSByteSize: 0 bytes/workgroup (compile time only)
; SGPRBlocks: 0
; VGPRBlocks: 0
; NumSGPRsForWavesPerEU: 1
; NumVGPRsForWavesPerEU: 1
; NamedBarCnt: 0
; Occupancy: 16
; WaveLimiterHint : 0
; COMPUTE_PGM_RSRC2:SCRATCH_EN: 0
; COMPUTE_PGM_RSRC2:USER_SGPR: 2
; COMPUTE_PGM_RSRC2:TRAP_HANDLER: 0
; COMPUTE_PGM_RSRC2:TGID_X_EN: 1
; COMPUTE_PGM_RSRC2:TGID_Y_EN: 0
; COMPUTE_PGM_RSRC2:TGID_Z_EN: 0
; COMPUTE_PGM_RSRC2:TIDIG_COMP_CNT: 0
	.section	.text._ZN7rocprim17ROCPRIM_400000_NS6detail17trampoline_kernelINS0_13select_configILj256ELj13ELNS0_17block_load_methodE3ELS4_3ELS4_3ELNS0_20block_scan_algorithmE0ELj4294967295EEENS1_25partition_config_selectorILNS1_17partition_subalgoE4EjNS0_10empty_typeEbEEZZNS1_14partition_implILS8_4ELb0ES6_15HIP_vector_typeIjLj2EENS0_17counting_iteratorIjlEEPS9_SG_NS0_5tupleIJPjSI_NS0_16reverse_iteratorISI_EEEEENSH_IJSG_SG_SG_EEES9_SI_JZNS1_25segmented_radix_sort_implINS0_14default_configELb1EPKaPaPKlPlN2at6native12_GLOBAL__N_18offset_tEEE10hipError_tPvRmT1_PNSt15iterator_traitsIS12_E10value_typeET2_T3_PNS13_IS18_E10value_typeET4_jRbjT5_S1E_jjP12ihipStream_tbEUljE_ZNSN_ISO_Lb1ESQ_SR_ST_SU_SY_EESZ_S10_S11_S12_S16_S17_S18_S1B_S1C_jS1D_jS1E_S1E_jjS1G_bEUljE0_EEESZ_S10_S11_S18_S1C_S1E_T6_T7_T9_mT8_S1G_bDpT10_ENKUlT_T0_E_clISt17integral_constantIbLb0EES1T_IbLb1EEEEDaS1P_S1Q_EUlS1P_E_NS1_11comp_targetILNS1_3genE8ELNS1_11target_archE1030ELNS1_3gpuE2ELNS1_3repE0EEENS1_30default_config_static_selectorELNS0_4arch9wavefront6targetE0EEEvS12_,"axG",@progbits,_ZN7rocprim17ROCPRIM_400000_NS6detail17trampoline_kernelINS0_13select_configILj256ELj13ELNS0_17block_load_methodE3ELS4_3ELS4_3ELNS0_20block_scan_algorithmE0ELj4294967295EEENS1_25partition_config_selectorILNS1_17partition_subalgoE4EjNS0_10empty_typeEbEEZZNS1_14partition_implILS8_4ELb0ES6_15HIP_vector_typeIjLj2EENS0_17counting_iteratorIjlEEPS9_SG_NS0_5tupleIJPjSI_NS0_16reverse_iteratorISI_EEEEENSH_IJSG_SG_SG_EEES9_SI_JZNS1_25segmented_radix_sort_implINS0_14default_configELb1EPKaPaPKlPlN2at6native12_GLOBAL__N_18offset_tEEE10hipError_tPvRmT1_PNSt15iterator_traitsIS12_E10value_typeET2_T3_PNS13_IS18_E10value_typeET4_jRbjT5_S1E_jjP12ihipStream_tbEUljE_ZNSN_ISO_Lb1ESQ_SR_ST_SU_SY_EESZ_S10_S11_S12_S16_S17_S18_S1B_S1C_jS1D_jS1E_S1E_jjS1G_bEUljE0_EEESZ_S10_S11_S18_S1C_S1E_T6_T7_T9_mT8_S1G_bDpT10_ENKUlT_T0_E_clISt17integral_constantIbLb0EES1T_IbLb1EEEEDaS1P_S1Q_EUlS1P_E_NS1_11comp_targetILNS1_3genE8ELNS1_11target_archE1030ELNS1_3gpuE2ELNS1_3repE0EEENS1_30default_config_static_selectorELNS0_4arch9wavefront6targetE0EEEvS12_,comdat
	.globl	_ZN7rocprim17ROCPRIM_400000_NS6detail17trampoline_kernelINS0_13select_configILj256ELj13ELNS0_17block_load_methodE3ELS4_3ELS4_3ELNS0_20block_scan_algorithmE0ELj4294967295EEENS1_25partition_config_selectorILNS1_17partition_subalgoE4EjNS0_10empty_typeEbEEZZNS1_14partition_implILS8_4ELb0ES6_15HIP_vector_typeIjLj2EENS0_17counting_iteratorIjlEEPS9_SG_NS0_5tupleIJPjSI_NS0_16reverse_iteratorISI_EEEEENSH_IJSG_SG_SG_EEES9_SI_JZNS1_25segmented_radix_sort_implINS0_14default_configELb1EPKaPaPKlPlN2at6native12_GLOBAL__N_18offset_tEEE10hipError_tPvRmT1_PNSt15iterator_traitsIS12_E10value_typeET2_T3_PNS13_IS18_E10value_typeET4_jRbjT5_S1E_jjP12ihipStream_tbEUljE_ZNSN_ISO_Lb1ESQ_SR_ST_SU_SY_EESZ_S10_S11_S12_S16_S17_S18_S1B_S1C_jS1D_jS1E_S1E_jjS1G_bEUljE0_EEESZ_S10_S11_S18_S1C_S1E_T6_T7_T9_mT8_S1G_bDpT10_ENKUlT_T0_E_clISt17integral_constantIbLb0EES1T_IbLb1EEEEDaS1P_S1Q_EUlS1P_E_NS1_11comp_targetILNS1_3genE8ELNS1_11target_archE1030ELNS1_3gpuE2ELNS1_3repE0EEENS1_30default_config_static_selectorELNS0_4arch9wavefront6targetE0EEEvS12_ ; -- Begin function _ZN7rocprim17ROCPRIM_400000_NS6detail17trampoline_kernelINS0_13select_configILj256ELj13ELNS0_17block_load_methodE3ELS4_3ELS4_3ELNS0_20block_scan_algorithmE0ELj4294967295EEENS1_25partition_config_selectorILNS1_17partition_subalgoE4EjNS0_10empty_typeEbEEZZNS1_14partition_implILS8_4ELb0ES6_15HIP_vector_typeIjLj2EENS0_17counting_iteratorIjlEEPS9_SG_NS0_5tupleIJPjSI_NS0_16reverse_iteratorISI_EEEEENSH_IJSG_SG_SG_EEES9_SI_JZNS1_25segmented_radix_sort_implINS0_14default_configELb1EPKaPaPKlPlN2at6native12_GLOBAL__N_18offset_tEEE10hipError_tPvRmT1_PNSt15iterator_traitsIS12_E10value_typeET2_T3_PNS13_IS18_E10value_typeET4_jRbjT5_S1E_jjP12ihipStream_tbEUljE_ZNSN_ISO_Lb1ESQ_SR_ST_SU_SY_EESZ_S10_S11_S12_S16_S17_S18_S1B_S1C_jS1D_jS1E_S1E_jjS1G_bEUljE0_EEESZ_S10_S11_S18_S1C_S1E_T6_T7_T9_mT8_S1G_bDpT10_ENKUlT_T0_E_clISt17integral_constantIbLb0EES1T_IbLb1EEEEDaS1P_S1Q_EUlS1P_E_NS1_11comp_targetILNS1_3genE8ELNS1_11target_archE1030ELNS1_3gpuE2ELNS1_3repE0EEENS1_30default_config_static_selectorELNS0_4arch9wavefront6targetE0EEEvS12_
	.p2align	8
	.type	_ZN7rocprim17ROCPRIM_400000_NS6detail17trampoline_kernelINS0_13select_configILj256ELj13ELNS0_17block_load_methodE3ELS4_3ELS4_3ELNS0_20block_scan_algorithmE0ELj4294967295EEENS1_25partition_config_selectorILNS1_17partition_subalgoE4EjNS0_10empty_typeEbEEZZNS1_14partition_implILS8_4ELb0ES6_15HIP_vector_typeIjLj2EENS0_17counting_iteratorIjlEEPS9_SG_NS0_5tupleIJPjSI_NS0_16reverse_iteratorISI_EEEEENSH_IJSG_SG_SG_EEES9_SI_JZNS1_25segmented_radix_sort_implINS0_14default_configELb1EPKaPaPKlPlN2at6native12_GLOBAL__N_18offset_tEEE10hipError_tPvRmT1_PNSt15iterator_traitsIS12_E10value_typeET2_T3_PNS13_IS18_E10value_typeET4_jRbjT5_S1E_jjP12ihipStream_tbEUljE_ZNSN_ISO_Lb1ESQ_SR_ST_SU_SY_EESZ_S10_S11_S12_S16_S17_S18_S1B_S1C_jS1D_jS1E_S1E_jjS1G_bEUljE0_EEESZ_S10_S11_S18_S1C_S1E_T6_T7_T9_mT8_S1G_bDpT10_ENKUlT_T0_E_clISt17integral_constantIbLb0EES1T_IbLb1EEEEDaS1P_S1Q_EUlS1P_E_NS1_11comp_targetILNS1_3genE8ELNS1_11target_archE1030ELNS1_3gpuE2ELNS1_3repE0EEENS1_30default_config_static_selectorELNS0_4arch9wavefront6targetE0EEEvS12_,@function
_ZN7rocprim17ROCPRIM_400000_NS6detail17trampoline_kernelINS0_13select_configILj256ELj13ELNS0_17block_load_methodE3ELS4_3ELS4_3ELNS0_20block_scan_algorithmE0ELj4294967295EEENS1_25partition_config_selectorILNS1_17partition_subalgoE4EjNS0_10empty_typeEbEEZZNS1_14partition_implILS8_4ELb0ES6_15HIP_vector_typeIjLj2EENS0_17counting_iteratorIjlEEPS9_SG_NS0_5tupleIJPjSI_NS0_16reverse_iteratorISI_EEEEENSH_IJSG_SG_SG_EEES9_SI_JZNS1_25segmented_radix_sort_implINS0_14default_configELb1EPKaPaPKlPlN2at6native12_GLOBAL__N_18offset_tEEE10hipError_tPvRmT1_PNSt15iterator_traitsIS12_E10value_typeET2_T3_PNS13_IS18_E10value_typeET4_jRbjT5_S1E_jjP12ihipStream_tbEUljE_ZNSN_ISO_Lb1ESQ_SR_ST_SU_SY_EESZ_S10_S11_S12_S16_S17_S18_S1B_S1C_jS1D_jS1E_S1E_jjS1G_bEUljE0_EEESZ_S10_S11_S18_S1C_S1E_T6_T7_T9_mT8_S1G_bDpT10_ENKUlT_T0_E_clISt17integral_constantIbLb0EES1T_IbLb1EEEEDaS1P_S1Q_EUlS1P_E_NS1_11comp_targetILNS1_3genE8ELNS1_11target_archE1030ELNS1_3gpuE2ELNS1_3repE0EEENS1_30default_config_static_selectorELNS0_4arch9wavefront6targetE0EEEvS12_: ; @_ZN7rocprim17ROCPRIM_400000_NS6detail17trampoline_kernelINS0_13select_configILj256ELj13ELNS0_17block_load_methodE3ELS4_3ELS4_3ELNS0_20block_scan_algorithmE0ELj4294967295EEENS1_25partition_config_selectorILNS1_17partition_subalgoE4EjNS0_10empty_typeEbEEZZNS1_14partition_implILS8_4ELb0ES6_15HIP_vector_typeIjLj2EENS0_17counting_iteratorIjlEEPS9_SG_NS0_5tupleIJPjSI_NS0_16reverse_iteratorISI_EEEEENSH_IJSG_SG_SG_EEES9_SI_JZNS1_25segmented_radix_sort_implINS0_14default_configELb1EPKaPaPKlPlN2at6native12_GLOBAL__N_18offset_tEEE10hipError_tPvRmT1_PNSt15iterator_traitsIS12_E10value_typeET2_T3_PNS13_IS18_E10value_typeET4_jRbjT5_S1E_jjP12ihipStream_tbEUljE_ZNSN_ISO_Lb1ESQ_SR_ST_SU_SY_EESZ_S10_S11_S12_S16_S17_S18_S1B_S1C_jS1D_jS1E_S1E_jjS1G_bEUljE0_EEESZ_S10_S11_S18_S1C_S1E_T6_T7_T9_mT8_S1G_bDpT10_ENKUlT_T0_E_clISt17integral_constantIbLb0EES1T_IbLb1EEEEDaS1P_S1Q_EUlS1P_E_NS1_11comp_targetILNS1_3genE8ELNS1_11target_archE1030ELNS1_3gpuE2ELNS1_3repE0EEENS1_30default_config_static_selectorELNS0_4arch9wavefront6targetE0EEEvS12_
; %bb.0:
	.section	.rodata,"a",@progbits
	.p2align	6, 0x0
	.amdhsa_kernel _ZN7rocprim17ROCPRIM_400000_NS6detail17trampoline_kernelINS0_13select_configILj256ELj13ELNS0_17block_load_methodE3ELS4_3ELS4_3ELNS0_20block_scan_algorithmE0ELj4294967295EEENS1_25partition_config_selectorILNS1_17partition_subalgoE4EjNS0_10empty_typeEbEEZZNS1_14partition_implILS8_4ELb0ES6_15HIP_vector_typeIjLj2EENS0_17counting_iteratorIjlEEPS9_SG_NS0_5tupleIJPjSI_NS0_16reverse_iteratorISI_EEEEENSH_IJSG_SG_SG_EEES9_SI_JZNS1_25segmented_radix_sort_implINS0_14default_configELb1EPKaPaPKlPlN2at6native12_GLOBAL__N_18offset_tEEE10hipError_tPvRmT1_PNSt15iterator_traitsIS12_E10value_typeET2_T3_PNS13_IS18_E10value_typeET4_jRbjT5_S1E_jjP12ihipStream_tbEUljE_ZNSN_ISO_Lb1ESQ_SR_ST_SU_SY_EESZ_S10_S11_S12_S16_S17_S18_S1B_S1C_jS1D_jS1E_S1E_jjS1G_bEUljE0_EEESZ_S10_S11_S18_S1C_S1E_T6_T7_T9_mT8_S1G_bDpT10_ENKUlT_T0_E_clISt17integral_constantIbLb0EES1T_IbLb1EEEEDaS1P_S1Q_EUlS1P_E_NS1_11comp_targetILNS1_3genE8ELNS1_11target_archE1030ELNS1_3gpuE2ELNS1_3repE0EEENS1_30default_config_static_selectorELNS0_4arch9wavefront6targetE0EEEvS12_
		.amdhsa_group_segment_fixed_size 0
		.amdhsa_private_segment_fixed_size 0
		.amdhsa_kernarg_size 184
		.amdhsa_user_sgpr_count 2
		.amdhsa_user_sgpr_dispatch_ptr 0
		.amdhsa_user_sgpr_queue_ptr 0
		.amdhsa_user_sgpr_kernarg_segment_ptr 1
		.amdhsa_user_sgpr_dispatch_id 0
		.amdhsa_user_sgpr_kernarg_preload_length 0
		.amdhsa_user_sgpr_kernarg_preload_offset 0
		.amdhsa_user_sgpr_private_segment_size 0
		.amdhsa_wavefront_size32 1
		.amdhsa_uses_dynamic_stack 0
		.amdhsa_enable_private_segment 0
		.amdhsa_system_sgpr_workgroup_id_x 1
		.amdhsa_system_sgpr_workgroup_id_y 0
		.amdhsa_system_sgpr_workgroup_id_z 0
		.amdhsa_system_sgpr_workgroup_info 0
		.amdhsa_system_vgpr_workitem_id 0
		.amdhsa_next_free_vgpr 1
		.amdhsa_next_free_sgpr 1
		.amdhsa_named_barrier_count 0
		.amdhsa_reserve_vcc 0
		.amdhsa_float_round_mode_32 0
		.amdhsa_float_round_mode_16_64 0
		.amdhsa_float_denorm_mode_32 3
		.amdhsa_float_denorm_mode_16_64 3
		.amdhsa_fp16_overflow 0
		.amdhsa_memory_ordered 1
		.amdhsa_forward_progress 1
		.amdhsa_inst_pref_size 0
		.amdhsa_round_robin_scheduling 0
		.amdhsa_exception_fp_ieee_invalid_op 0
		.amdhsa_exception_fp_denorm_src 0
		.amdhsa_exception_fp_ieee_div_zero 0
		.amdhsa_exception_fp_ieee_overflow 0
		.amdhsa_exception_fp_ieee_underflow 0
		.amdhsa_exception_fp_ieee_inexact 0
		.amdhsa_exception_int_div_zero 0
	.end_amdhsa_kernel
	.section	.text._ZN7rocprim17ROCPRIM_400000_NS6detail17trampoline_kernelINS0_13select_configILj256ELj13ELNS0_17block_load_methodE3ELS4_3ELS4_3ELNS0_20block_scan_algorithmE0ELj4294967295EEENS1_25partition_config_selectorILNS1_17partition_subalgoE4EjNS0_10empty_typeEbEEZZNS1_14partition_implILS8_4ELb0ES6_15HIP_vector_typeIjLj2EENS0_17counting_iteratorIjlEEPS9_SG_NS0_5tupleIJPjSI_NS0_16reverse_iteratorISI_EEEEENSH_IJSG_SG_SG_EEES9_SI_JZNS1_25segmented_radix_sort_implINS0_14default_configELb1EPKaPaPKlPlN2at6native12_GLOBAL__N_18offset_tEEE10hipError_tPvRmT1_PNSt15iterator_traitsIS12_E10value_typeET2_T3_PNS13_IS18_E10value_typeET4_jRbjT5_S1E_jjP12ihipStream_tbEUljE_ZNSN_ISO_Lb1ESQ_SR_ST_SU_SY_EESZ_S10_S11_S12_S16_S17_S18_S1B_S1C_jS1D_jS1E_S1E_jjS1G_bEUljE0_EEESZ_S10_S11_S18_S1C_S1E_T6_T7_T9_mT8_S1G_bDpT10_ENKUlT_T0_E_clISt17integral_constantIbLb0EES1T_IbLb1EEEEDaS1P_S1Q_EUlS1P_E_NS1_11comp_targetILNS1_3genE8ELNS1_11target_archE1030ELNS1_3gpuE2ELNS1_3repE0EEENS1_30default_config_static_selectorELNS0_4arch9wavefront6targetE0EEEvS12_,"axG",@progbits,_ZN7rocprim17ROCPRIM_400000_NS6detail17trampoline_kernelINS0_13select_configILj256ELj13ELNS0_17block_load_methodE3ELS4_3ELS4_3ELNS0_20block_scan_algorithmE0ELj4294967295EEENS1_25partition_config_selectorILNS1_17partition_subalgoE4EjNS0_10empty_typeEbEEZZNS1_14partition_implILS8_4ELb0ES6_15HIP_vector_typeIjLj2EENS0_17counting_iteratorIjlEEPS9_SG_NS0_5tupleIJPjSI_NS0_16reverse_iteratorISI_EEEEENSH_IJSG_SG_SG_EEES9_SI_JZNS1_25segmented_radix_sort_implINS0_14default_configELb1EPKaPaPKlPlN2at6native12_GLOBAL__N_18offset_tEEE10hipError_tPvRmT1_PNSt15iterator_traitsIS12_E10value_typeET2_T3_PNS13_IS18_E10value_typeET4_jRbjT5_S1E_jjP12ihipStream_tbEUljE_ZNSN_ISO_Lb1ESQ_SR_ST_SU_SY_EESZ_S10_S11_S12_S16_S17_S18_S1B_S1C_jS1D_jS1E_S1E_jjS1G_bEUljE0_EEESZ_S10_S11_S18_S1C_S1E_T6_T7_T9_mT8_S1G_bDpT10_ENKUlT_T0_E_clISt17integral_constantIbLb0EES1T_IbLb1EEEEDaS1P_S1Q_EUlS1P_E_NS1_11comp_targetILNS1_3genE8ELNS1_11target_archE1030ELNS1_3gpuE2ELNS1_3repE0EEENS1_30default_config_static_selectorELNS0_4arch9wavefront6targetE0EEEvS12_,comdat
.Lfunc_end255:
	.size	_ZN7rocprim17ROCPRIM_400000_NS6detail17trampoline_kernelINS0_13select_configILj256ELj13ELNS0_17block_load_methodE3ELS4_3ELS4_3ELNS0_20block_scan_algorithmE0ELj4294967295EEENS1_25partition_config_selectorILNS1_17partition_subalgoE4EjNS0_10empty_typeEbEEZZNS1_14partition_implILS8_4ELb0ES6_15HIP_vector_typeIjLj2EENS0_17counting_iteratorIjlEEPS9_SG_NS0_5tupleIJPjSI_NS0_16reverse_iteratorISI_EEEEENSH_IJSG_SG_SG_EEES9_SI_JZNS1_25segmented_radix_sort_implINS0_14default_configELb1EPKaPaPKlPlN2at6native12_GLOBAL__N_18offset_tEEE10hipError_tPvRmT1_PNSt15iterator_traitsIS12_E10value_typeET2_T3_PNS13_IS18_E10value_typeET4_jRbjT5_S1E_jjP12ihipStream_tbEUljE_ZNSN_ISO_Lb1ESQ_SR_ST_SU_SY_EESZ_S10_S11_S12_S16_S17_S18_S1B_S1C_jS1D_jS1E_S1E_jjS1G_bEUljE0_EEESZ_S10_S11_S18_S1C_S1E_T6_T7_T9_mT8_S1G_bDpT10_ENKUlT_T0_E_clISt17integral_constantIbLb0EES1T_IbLb1EEEEDaS1P_S1Q_EUlS1P_E_NS1_11comp_targetILNS1_3genE8ELNS1_11target_archE1030ELNS1_3gpuE2ELNS1_3repE0EEENS1_30default_config_static_selectorELNS0_4arch9wavefront6targetE0EEEvS12_, .Lfunc_end255-_ZN7rocprim17ROCPRIM_400000_NS6detail17trampoline_kernelINS0_13select_configILj256ELj13ELNS0_17block_load_methodE3ELS4_3ELS4_3ELNS0_20block_scan_algorithmE0ELj4294967295EEENS1_25partition_config_selectorILNS1_17partition_subalgoE4EjNS0_10empty_typeEbEEZZNS1_14partition_implILS8_4ELb0ES6_15HIP_vector_typeIjLj2EENS0_17counting_iteratorIjlEEPS9_SG_NS0_5tupleIJPjSI_NS0_16reverse_iteratorISI_EEEEENSH_IJSG_SG_SG_EEES9_SI_JZNS1_25segmented_radix_sort_implINS0_14default_configELb1EPKaPaPKlPlN2at6native12_GLOBAL__N_18offset_tEEE10hipError_tPvRmT1_PNSt15iterator_traitsIS12_E10value_typeET2_T3_PNS13_IS18_E10value_typeET4_jRbjT5_S1E_jjP12ihipStream_tbEUljE_ZNSN_ISO_Lb1ESQ_SR_ST_SU_SY_EESZ_S10_S11_S12_S16_S17_S18_S1B_S1C_jS1D_jS1E_S1E_jjS1G_bEUljE0_EEESZ_S10_S11_S18_S1C_S1E_T6_T7_T9_mT8_S1G_bDpT10_ENKUlT_T0_E_clISt17integral_constantIbLb0EES1T_IbLb1EEEEDaS1P_S1Q_EUlS1P_E_NS1_11comp_targetILNS1_3genE8ELNS1_11target_archE1030ELNS1_3gpuE2ELNS1_3repE0EEENS1_30default_config_static_selectorELNS0_4arch9wavefront6targetE0EEEvS12_
                                        ; -- End function
	.set _ZN7rocprim17ROCPRIM_400000_NS6detail17trampoline_kernelINS0_13select_configILj256ELj13ELNS0_17block_load_methodE3ELS4_3ELS4_3ELNS0_20block_scan_algorithmE0ELj4294967295EEENS1_25partition_config_selectorILNS1_17partition_subalgoE4EjNS0_10empty_typeEbEEZZNS1_14partition_implILS8_4ELb0ES6_15HIP_vector_typeIjLj2EENS0_17counting_iteratorIjlEEPS9_SG_NS0_5tupleIJPjSI_NS0_16reverse_iteratorISI_EEEEENSH_IJSG_SG_SG_EEES9_SI_JZNS1_25segmented_radix_sort_implINS0_14default_configELb1EPKaPaPKlPlN2at6native12_GLOBAL__N_18offset_tEEE10hipError_tPvRmT1_PNSt15iterator_traitsIS12_E10value_typeET2_T3_PNS13_IS18_E10value_typeET4_jRbjT5_S1E_jjP12ihipStream_tbEUljE_ZNSN_ISO_Lb1ESQ_SR_ST_SU_SY_EESZ_S10_S11_S12_S16_S17_S18_S1B_S1C_jS1D_jS1E_S1E_jjS1G_bEUljE0_EEESZ_S10_S11_S18_S1C_S1E_T6_T7_T9_mT8_S1G_bDpT10_ENKUlT_T0_E_clISt17integral_constantIbLb0EES1T_IbLb1EEEEDaS1P_S1Q_EUlS1P_E_NS1_11comp_targetILNS1_3genE8ELNS1_11target_archE1030ELNS1_3gpuE2ELNS1_3repE0EEENS1_30default_config_static_selectorELNS0_4arch9wavefront6targetE0EEEvS12_.num_vgpr, 0
	.set _ZN7rocprim17ROCPRIM_400000_NS6detail17trampoline_kernelINS0_13select_configILj256ELj13ELNS0_17block_load_methodE3ELS4_3ELS4_3ELNS0_20block_scan_algorithmE0ELj4294967295EEENS1_25partition_config_selectorILNS1_17partition_subalgoE4EjNS0_10empty_typeEbEEZZNS1_14partition_implILS8_4ELb0ES6_15HIP_vector_typeIjLj2EENS0_17counting_iteratorIjlEEPS9_SG_NS0_5tupleIJPjSI_NS0_16reverse_iteratorISI_EEEEENSH_IJSG_SG_SG_EEES9_SI_JZNS1_25segmented_radix_sort_implINS0_14default_configELb1EPKaPaPKlPlN2at6native12_GLOBAL__N_18offset_tEEE10hipError_tPvRmT1_PNSt15iterator_traitsIS12_E10value_typeET2_T3_PNS13_IS18_E10value_typeET4_jRbjT5_S1E_jjP12ihipStream_tbEUljE_ZNSN_ISO_Lb1ESQ_SR_ST_SU_SY_EESZ_S10_S11_S12_S16_S17_S18_S1B_S1C_jS1D_jS1E_S1E_jjS1G_bEUljE0_EEESZ_S10_S11_S18_S1C_S1E_T6_T7_T9_mT8_S1G_bDpT10_ENKUlT_T0_E_clISt17integral_constantIbLb0EES1T_IbLb1EEEEDaS1P_S1Q_EUlS1P_E_NS1_11comp_targetILNS1_3genE8ELNS1_11target_archE1030ELNS1_3gpuE2ELNS1_3repE0EEENS1_30default_config_static_selectorELNS0_4arch9wavefront6targetE0EEEvS12_.num_agpr, 0
	.set _ZN7rocprim17ROCPRIM_400000_NS6detail17trampoline_kernelINS0_13select_configILj256ELj13ELNS0_17block_load_methodE3ELS4_3ELS4_3ELNS0_20block_scan_algorithmE0ELj4294967295EEENS1_25partition_config_selectorILNS1_17partition_subalgoE4EjNS0_10empty_typeEbEEZZNS1_14partition_implILS8_4ELb0ES6_15HIP_vector_typeIjLj2EENS0_17counting_iteratorIjlEEPS9_SG_NS0_5tupleIJPjSI_NS0_16reverse_iteratorISI_EEEEENSH_IJSG_SG_SG_EEES9_SI_JZNS1_25segmented_radix_sort_implINS0_14default_configELb1EPKaPaPKlPlN2at6native12_GLOBAL__N_18offset_tEEE10hipError_tPvRmT1_PNSt15iterator_traitsIS12_E10value_typeET2_T3_PNS13_IS18_E10value_typeET4_jRbjT5_S1E_jjP12ihipStream_tbEUljE_ZNSN_ISO_Lb1ESQ_SR_ST_SU_SY_EESZ_S10_S11_S12_S16_S17_S18_S1B_S1C_jS1D_jS1E_S1E_jjS1G_bEUljE0_EEESZ_S10_S11_S18_S1C_S1E_T6_T7_T9_mT8_S1G_bDpT10_ENKUlT_T0_E_clISt17integral_constantIbLb0EES1T_IbLb1EEEEDaS1P_S1Q_EUlS1P_E_NS1_11comp_targetILNS1_3genE8ELNS1_11target_archE1030ELNS1_3gpuE2ELNS1_3repE0EEENS1_30default_config_static_selectorELNS0_4arch9wavefront6targetE0EEEvS12_.numbered_sgpr, 0
	.set _ZN7rocprim17ROCPRIM_400000_NS6detail17trampoline_kernelINS0_13select_configILj256ELj13ELNS0_17block_load_methodE3ELS4_3ELS4_3ELNS0_20block_scan_algorithmE0ELj4294967295EEENS1_25partition_config_selectorILNS1_17partition_subalgoE4EjNS0_10empty_typeEbEEZZNS1_14partition_implILS8_4ELb0ES6_15HIP_vector_typeIjLj2EENS0_17counting_iteratorIjlEEPS9_SG_NS0_5tupleIJPjSI_NS0_16reverse_iteratorISI_EEEEENSH_IJSG_SG_SG_EEES9_SI_JZNS1_25segmented_radix_sort_implINS0_14default_configELb1EPKaPaPKlPlN2at6native12_GLOBAL__N_18offset_tEEE10hipError_tPvRmT1_PNSt15iterator_traitsIS12_E10value_typeET2_T3_PNS13_IS18_E10value_typeET4_jRbjT5_S1E_jjP12ihipStream_tbEUljE_ZNSN_ISO_Lb1ESQ_SR_ST_SU_SY_EESZ_S10_S11_S12_S16_S17_S18_S1B_S1C_jS1D_jS1E_S1E_jjS1G_bEUljE0_EEESZ_S10_S11_S18_S1C_S1E_T6_T7_T9_mT8_S1G_bDpT10_ENKUlT_T0_E_clISt17integral_constantIbLb0EES1T_IbLb1EEEEDaS1P_S1Q_EUlS1P_E_NS1_11comp_targetILNS1_3genE8ELNS1_11target_archE1030ELNS1_3gpuE2ELNS1_3repE0EEENS1_30default_config_static_selectorELNS0_4arch9wavefront6targetE0EEEvS12_.num_named_barrier, 0
	.set _ZN7rocprim17ROCPRIM_400000_NS6detail17trampoline_kernelINS0_13select_configILj256ELj13ELNS0_17block_load_methodE3ELS4_3ELS4_3ELNS0_20block_scan_algorithmE0ELj4294967295EEENS1_25partition_config_selectorILNS1_17partition_subalgoE4EjNS0_10empty_typeEbEEZZNS1_14partition_implILS8_4ELb0ES6_15HIP_vector_typeIjLj2EENS0_17counting_iteratorIjlEEPS9_SG_NS0_5tupleIJPjSI_NS0_16reverse_iteratorISI_EEEEENSH_IJSG_SG_SG_EEES9_SI_JZNS1_25segmented_radix_sort_implINS0_14default_configELb1EPKaPaPKlPlN2at6native12_GLOBAL__N_18offset_tEEE10hipError_tPvRmT1_PNSt15iterator_traitsIS12_E10value_typeET2_T3_PNS13_IS18_E10value_typeET4_jRbjT5_S1E_jjP12ihipStream_tbEUljE_ZNSN_ISO_Lb1ESQ_SR_ST_SU_SY_EESZ_S10_S11_S12_S16_S17_S18_S1B_S1C_jS1D_jS1E_S1E_jjS1G_bEUljE0_EEESZ_S10_S11_S18_S1C_S1E_T6_T7_T9_mT8_S1G_bDpT10_ENKUlT_T0_E_clISt17integral_constantIbLb0EES1T_IbLb1EEEEDaS1P_S1Q_EUlS1P_E_NS1_11comp_targetILNS1_3genE8ELNS1_11target_archE1030ELNS1_3gpuE2ELNS1_3repE0EEENS1_30default_config_static_selectorELNS0_4arch9wavefront6targetE0EEEvS12_.private_seg_size, 0
	.set _ZN7rocprim17ROCPRIM_400000_NS6detail17trampoline_kernelINS0_13select_configILj256ELj13ELNS0_17block_load_methodE3ELS4_3ELS4_3ELNS0_20block_scan_algorithmE0ELj4294967295EEENS1_25partition_config_selectorILNS1_17partition_subalgoE4EjNS0_10empty_typeEbEEZZNS1_14partition_implILS8_4ELb0ES6_15HIP_vector_typeIjLj2EENS0_17counting_iteratorIjlEEPS9_SG_NS0_5tupleIJPjSI_NS0_16reverse_iteratorISI_EEEEENSH_IJSG_SG_SG_EEES9_SI_JZNS1_25segmented_radix_sort_implINS0_14default_configELb1EPKaPaPKlPlN2at6native12_GLOBAL__N_18offset_tEEE10hipError_tPvRmT1_PNSt15iterator_traitsIS12_E10value_typeET2_T3_PNS13_IS18_E10value_typeET4_jRbjT5_S1E_jjP12ihipStream_tbEUljE_ZNSN_ISO_Lb1ESQ_SR_ST_SU_SY_EESZ_S10_S11_S12_S16_S17_S18_S1B_S1C_jS1D_jS1E_S1E_jjS1G_bEUljE0_EEESZ_S10_S11_S18_S1C_S1E_T6_T7_T9_mT8_S1G_bDpT10_ENKUlT_T0_E_clISt17integral_constantIbLb0EES1T_IbLb1EEEEDaS1P_S1Q_EUlS1P_E_NS1_11comp_targetILNS1_3genE8ELNS1_11target_archE1030ELNS1_3gpuE2ELNS1_3repE0EEENS1_30default_config_static_selectorELNS0_4arch9wavefront6targetE0EEEvS12_.uses_vcc, 0
	.set _ZN7rocprim17ROCPRIM_400000_NS6detail17trampoline_kernelINS0_13select_configILj256ELj13ELNS0_17block_load_methodE3ELS4_3ELS4_3ELNS0_20block_scan_algorithmE0ELj4294967295EEENS1_25partition_config_selectorILNS1_17partition_subalgoE4EjNS0_10empty_typeEbEEZZNS1_14partition_implILS8_4ELb0ES6_15HIP_vector_typeIjLj2EENS0_17counting_iteratorIjlEEPS9_SG_NS0_5tupleIJPjSI_NS0_16reverse_iteratorISI_EEEEENSH_IJSG_SG_SG_EEES9_SI_JZNS1_25segmented_radix_sort_implINS0_14default_configELb1EPKaPaPKlPlN2at6native12_GLOBAL__N_18offset_tEEE10hipError_tPvRmT1_PNSt15iterator_traitsIS12_E10value_typeET2_T3_PNS13_IS18_E10value_typeET4_jRbjT5_S1E_jjP12ihipStream_tbEUljE_ZNSN_ISO_Lb1ESQ_SR_ST_SU_SY_EESZ_S10_S11_S12_S16_S17_S18_S1B_S1C_jS1D_jS1E_S1E_jjS1G_bEUljE0_EEESZ_S10_S11_S18_S1C_S1E_T6_T7_T9_mT8_S1G_bDpT10_ENKUlT_T0_E_clISt17integral_constantIbLb0EES1T_IbLb1EEEEDaS1P_S1Q_EUlS1P_E_NS1_11comp_targetILNS1_3genE8ELNS1_11target_archE1030ELNS1_3gpuE2ELNS1_3repE0EEENS1_30default_config_static_selectorELNS0_4arch9wavefront6targetE0EEEvS12_.uses_flat_scratch, 0
	.set _ZN7rocprim17ROCPRIM_400000_NS6detail17trampoline_kernelINS0_13select_configILj256ELj13ELNS0_17block_load_methodE3ELS4_3ELS4_3ELNS0_20block_scan_algorithmE0ELj4294967295EEENS1_25partition_config_selectorILNS1_17partition_subalgoE4EjNS0_10empty_typeEbEEZZNS1_14partition_implILS8_4ELb0ES6_15HIP_vector_typeIjLj2EENS0_17counting_iteratorIjlEEPS9_SG_NS0_5tupleIJPjSI_NS0_16reverse_iteratorISI_EEEEENSH_IJSG_SG_SG_EEES9_SI_JZNS1_25segmented_radix_sort_implINS0_14default_configELb1EPKaPaPKlPlN2at6native12_GLOBAL__N_18offset_tEEE10hipError_tPvRmT1_PNSt15iterator_traitsIS12_E10value_typeET2_T3_PNS13_IS18_E10value_typeET4_jRbjT5_S1E_jjP12ihipStream_tbEUljE_ZNSN_ISO_Lb1ESQ_SR_ST_SU_SY_EESZ_S10_S11_S12_S16_S17_S18_S1B_S1C_jS1D_jS1E_S1E_jjS1G_bEUljE0_EEESZ_S10_S11_S18_S1C_S1E_T6_T7_T9_mT8_S1G_bDpT10_ENKUlT_T0_E_clISt17integral_constantIbLb0EES1T_IbLb1EEEEDaS1P_S1Q_EUlS1P_E_NS1_11comp_targetILNS1_3genE8ELNS1_11target_archE1030ELNS1_3gpuE2ELNS1_3repE0EEENS1_30default_config_static_selectorELNS0_4arch9wavefront6targetE0EEEvS12_.has_dyn_sized_stack, 0
	.set _ZN7rocprim17ROCPRIM_400000_NS6detail17trampoline_kernelINS0_13select_configILj256ELj13ELNS0_17block_load_methodE3ELS4_3ELS4_3ELNS0_20block_scan_algorithmE0ELj4294967295EEENS1_25partition_config_selectorILNS1_17partition_subalgoE4EjNS0_10empty_typeEbEEZZNS1_14partition_implILS8_4ELb0ES6_15HIP_vector_typeIjLj2EENS0_17counting_iteratorIjlEEPS9_SG_NS0_5tupleIJPjSI_NS0_16reverse_iteratorISI_EEEEENSH_IJSG_SG_SG_EEES9_SI_JZNS1_25segmented_radix_sort_implINS0_14default_configELb1EPKaPaPKlPlN2at6native12_GLOBAL__N_18offset_tEEE10hipError_tPvRmT1_PNSt15iterator_traitsIS12_E10value_typeET2_T3_PNS13_IS18_E10value_typeET4_jRbjT5_S1E_jjP12ihipStream_tbEUljE_ZNSN_ISO_Lb1ESQ_SR_ST_SU_SY_EESZ_S10_S11_S12_S16_S17_S18_S1B_S1C_jS1D_jS1E_S1E_jjS1G_bEUljE0_EEESZ_S10_S11_S18_S1C_S1E_T6_T7_T9_mT8_S1G_bDpT10_ENKUlT_T0_E_clISt17integral_constantIbLb0EES1T_IbLb1EEEEDaS1P_S1Q_EUlS1P_E_NS1_11comp_targetILNS1_3genE8ELNS1_11target_archE1030ELNS1_3gpuE2ELNS1_3repE0EEENS1_30default_config_static_selectorELNS0_4arch9wavefront6targetE0EEEvS12_.has_recursion, 0
	.set _ZN7rocprim17ROCPRIM_400000_NS6detail17trampoline_kernelINS0_13select_configILj256ELj13ELNS0_17block_load_methodE3ELS4_3ELS4_3ELNS0_20block_scan_algorithmE0ELj4294967295EEENS1_25partition_config_selectorILNS1_17partition_subalgoE4EjNS0_10empty_typeEbEEZZNS1_14partition_implILS8_4ELb0ES6_15HIP_vector_typeIjLj2EENS0_17counting_iteratorIjlEEPS9_SG_NS0_5tupleIJPjSI_NS0_16reverse_iteratorISI_EEEEENSH_IJSG_SG_SG_EEES9_SI_JZNS1_25segmented_radix_sort_implINS0_14default_configELb1EPKaPaPKlPlN2at6native12_GLOBAL__N_18offset_tEEE10hipError_tPvRmT1_PNSt15iterator_traitsIS12_E10value_typeET2_T3_PNS13_IS18_E10value_typeET4_jRbjT5_S1E_jjP12ihipStream_tbEUljE_ZNSN_ISO_Lb1ESQ_SR_ST_SU_SY_EESZ_S10_S11_S12_S16_S17_S18_S1B_S1C_jS1D_jS1E_S1E_jjS1G_bEUljE0_EEESZ_S10_S11_S18_S1C_S1E_T6_T7_T9_mT8_S1G_bDpT10_ENKUlT_T0_E_clISt17integral_constantIbLb0EES1T_IbLb1EEEEDaS1P_S1Q_EUlS1P_E_NS1_11comp_targetILNS1_3genE8ELNS1_11target_archE1030ELNS1_3gpuE2ELNS1_3repE0EEENS1_30default_config_static_selectorELNS0_4arch9wavefront6targetE0EEEvS12_.has_indirect_call, 0
	.section	.AMDGPU.csdata,"",@progbits
; Kernel info:
; codeLenInByte = 0
; TotalNumSgprs: 0
; NumVgprs: 0
; ScratchSize: 0
; MemoryBound: 0
; FloatMode: 240
; IeeeMode: 1
; LDSByteSize: 0 bytes/workgroup (compile time only)
; SGPRBlocks: 0
; VGPRBlocks: 0
; NumSGPRsForWavesPerEU: 1
; NumVGPRsForWavesPerEU: 1
; NamedBarCnt: 0
; Occupancy: 16
; WaveLimiterHint : 0
; COMPUTE_PGM_RSRC2:SCRATCH_EN: 0
; COMPUTE_PGM_RSRC2:USER_SGPR: 2
; COMPUTE_PGM_RSRC2:TRAP_HANDLER: 0
; COMPUTE_PGM_RSRC2:TGID_X_EN: 1
; COMPUTE_PGM_RSRC2:TGID_Y_EN: 0
; COMPUTE_PGM_RSRC2:TGID_Z_EN: 0
; COMPUTE_PGM_RSRC2:TIDIG_COMP_CNT: 0
	.section	.text._ZN7rocprim17ROCPRIM_400000_NS6detail17trampoline_kernelINS0_13select_configILj256ELj13ELNS0_17block_load_methodE3ELS4_3ELS4_3ELNS0_20block_scan_algorithmE0ELj4294967295EEENS1_25partition_config_selectorILNS1_17partition_subalgoE3EjNS0_10empty_typeEbEEZZNS1_14partition_implILS8_3ELb0ES6_jNS0_17counting_iteratorIjlEEPS9_SE_NS0_5tupleIJPjSE_EEENSF_IJSE_SE_EEES9_SG_JZNS1_25segmented_radix_sort_implINS0_14default_configELb1EPKaPaPKlPlN2at6native12_GLOBAL__N_18offset_tEEE10hipError_tPvRmT1_PNSt15iterator_traitsISY_E10value_typeET2_T3_PNSZ_IS14_E10value_typeET4_jRbjT5_S1A_jjP12ihipStream_tbEUljE_EEESV_SW_SX_S14_S18_S1A_T6_T7_T9_mT8_S1C_bDpT10_ENKUlT_T0_E_clISt17integral_constantIbLb0EES1P_EEDaS1K_S1L_EUlS1K_E_NS1_11comp_targetILNS1_3genE0ELNS1_11target_archE4294967295ELNS1_3gpuE0ELNS1_3repE0EEENS1_30default_config_static_selectorELNS0_4arch9wavefront6targetE0EEEvSY_,"axG",@progbits,_ZN7rocprim17ROCPRIM_400000_NS6detail17trampoline_kernelINS0_13select_configILj256ELj13ELNS0_17block_load_methodE3ELS4_3ELS4_3ELNS0_20block_scan_algorithmE0ELj4294967295EEENS1_25partition_config_selectorILNS1_17partition_subalgoE3EjNS0_10empty_typeEbEEZZNS1_14partition_implILS8_3ELb0ES6_jNS0_17counting_iteratorIjlEEPS9_SE_NS0_5tupleIJPjSE_EEENSF_IJSE_SE_EEES9_SG_JZNS1_25segmented_radix_sort_implINS0_14default_configELb1EPKaPaPKlPlN2at6native12_GLOBAL__N_18offset_tEEE10hipError_tPvRmT1_PNSt15iterator_traitsISY_E10value_typeET2_T3_PNSZ_IS14_E10value_typeET4_jRbjT5_S1A_jjP12ihipStream_tbEUljE_EEESV_SW_SX_S14_S18_S1A_T6_T7_T9_mT8_S1C_bDpT10_ENKUlT_T0_E_clISt17integral_constantIbLb0EES1P_EEDaS1K_S1L_EUlS1K_E_NS1_11comp_targetILNS1_3genE0ELNS1_11target_archE4294967295ELNS1_3gpuE0ELNS1_3repE0EEENS1_30default_config_static_selectorELNS0_4arch9wavefront6targetE0EEEvSY_,comdat
	.globl	_ZN7rocprim17ROCPRIM_400000_NS6detail17trampoline_kernelINS0_13select_configILj256ELj13ELNS0_17block_load_methodE3ELS4_3ELS4_3ELNS0_20block_scan_algorithmE0ELj4294967295EEENS1_25partition_config_selectorILNS1_17partition_subalgoE3EjNS0_10empty_typeEbEEZZNS1_14partition_implILS8_3ELb0ES6_jNS0_17counting_iteratorIjlEEPS9_SE_NS0_5tupleIJPjSE_EEENSF_IJSE_SE_EEES9_SG_JZNS1_25segmented_radix_sort_implINS0_14default_configELb1EPKaPaPKlPlN2at6native12_GLOBAL__N_18offset_tEEE10hipError_tPvRmT1_PNSt15iterator_traitsISY_E10value_typeET2_T3_PNSZ_IS14_E10value_typeET4_jRbjT5_S1A_jjP12ihipStream_tbEUljE_EEESV_SW_SX_S14_S18_S1A_T6_T7_T9_mT8_S1C_bDpT10_ENKUlT_T0_E_clISt17integral_constantIbLb0EES1P_EEDaS1K_S1L_EUlS1K_E_NS1_11comp_targetILNS1_3genE0ELNS1_11target_archE4294967295ELNS1_3gpuE0ELNS1_3repE0EEENS1_30default_config_static_selectorELNS0_4arch9wavefront6targetE0EEEvSY_ ; -- Begin function _ZN7rocprim17ROCPRIM_400000_NS6detail17trampoline_kernelINS0_13select_configILj256ELj13ELNS0_17block_load_methodE3ELS4_3ELS4_3ELNS0_20block_scan_algorithmE0ELj4294967295EEENS1_25partition_config_selectorILNS1_17partition_subalgoE3EjNS0_10empty_typeEbEEZZNS1_14partition_implILS8_3ELb0ES6_jNS0_17counting_iteratorIjlEEPS9_SE_NS0_5tupleIJPjSE_EEENSF_IJSE_SE_EEES9_SG_JZNS1_25segmented_radix_sort_implINS0_14default_configELb1EPKaPaPKlPlN2at6native12_GLOBAL__N_18offset_tEEE10hipError_tPvRmT1_PNSt15iterator_traitsISY_E10value_typeET2_T3_PNSZ_IS14_E10value_typeET4_jRbjT5_S1A_jjP12ihipStream_tbEUljE_EEESV_SW_SX_S14_S18_S1A_T6_T7_T9_mT8_S1C_bDpT10_ENKUlT_T0_E_clISt17integral_constantIbLb0EES1P_EEDaS1K_S1L_EUlS1K_E_NS1_11comp_targetILNS1_3genE0ELNS1_11target_archE4294967295ELNS1_3gpuE0ELNS1_3repE0EEENS1_30default_config_static_selectorELNS0_4arch9wavefront6targetE0EEEvSY_
	.p2align	8
	.type	_ZN7rocprim17ROCPRIM_400000_NS6detail17trampoline_kernelINS0_13select_configILj256ELj13ELNS0_17block_load_methodE3ELS4_3ELS4_3ELNS0_20block_scan_algorithmE0ELj4294967295EEENS1_25partition_config_selectorILNS1_17partition_subalgoE3EjNS0_10empty_typeEbEEZZNS1_14partition_implILS8_3ELb0ES6_jNS0_17counting_iteratorIjlEEPS9_SE_NS0_5tupleIJPjSE_EEENSF_IJSE_SE_EEES9_SG_JZNS1_25segmented_radix_sort_implINS0_14default_configELb1EPKaPaPKlPlN2at6native12_GLOBAL__N_18offset_tEEE10hipError_tPvRmT1_PNSt15iterator_traitsISY_E10value_typeET2_T3_PNSZ_IS14_E10value_typeET4_jRbjT5_S1A_jjP12ihipStream_tbEUljE_EEESV_SW_SX_S14_S18_S1A_T6_T7_T9_mT8_S1C_bDpT10_ENKUlT_T0_E_clISt17integral_constantIbLb0EES1P_EEDaS1K_S1L_EUlS1K_E_NS1_11comp_targetILNS1_3genE0ELNS1_11target_archE4294967295ELNS1_3gpuE0ELNS1_3repE0EEENS1_30default_config_static_selectorELNS0_4arch9wavefront6targetE0EEEvSY_,@function
_ZN7rocprim17ROCPRIM_400000_NS6detail17trampoline_kernelINS0_13select_configILj256ELj13ELNS0_17block_load_methodE3ELS4_3ELS4_3ELNS0_20block_scan_algorithmE0ELj4294967295EEENS1_25partition_config_selectorILNS1_17partition_subalgoE3EjNS0_10empty_typeEbEEZZNS1_14partition_implILS8_3ELb0ES6_jNS0_17counting_iteratorIjlEEPS9_SE_NS0_5tupleIJPjSE_EEENSF_IJSE_SE_EEES9_SG_JZNS1_25segmented_radix_sort_implINS0_14default_configELb1EPKaPaPKlPlN2at6native12_GLOBAL__N_18offset_tEEE10hipError_tPvRmT1_PNSt15iterator_traitsISY_E10value_typeET2_T3_PNSZ_IS14_E10value_typeET4_jRbjT5_S1A_jjP12ihipStream_tbEUljE_EEESV_SW_SX_S14_S18_S1A_T6_T7_T9_mT8_S1C_bDpT10_ENKUlT_T0_E_clISt17integral_constantIbLb0EES1P_EEDaS1K_S1L_EUlS1K_E_NS1_11comp_targetILNS1_3genE0ELNS1_11target_archE4294967295ELNS1_3gpuE0ELNS1_3repE0EEENS1_30default_config_static_selectorELNS0_4arch9wavefront6targetE0EEEvSY_: ; @_ZN7rocprim17ROCPRIM_400000_NS6detail17trampoline_kernelINS0_13select_configILj256ELj13ELNS0_17block_load_methodE3ELS4_3ELS4_3ELNS0_20block_scan_algorithmE0ELj4294967295EEENS1_25partition_config_selectorILNS1_17partition_subalgoE3EjNS0_10empty_typeEbEEZZNS1_14partition_implILS8_3ELb0ES6_jNS0_17counting_iteratorIjlEEPS9_SE_NS0_5tupleIJPjSE_EEENSF_IJSE_SE_EEES9_SG_JZNS1_25segmented_radix_sort_implINS0_14default_configELb1EPKaPaPKlPlN2at6native12_GLOBAL__N_18offset_tEEE10hipError_tPvRmT1_PNSt15iterator_traitsISY_E10value_typeET2_T3_PNSZ_IS14_E10value_typeET4_jRbjT5_S1A_jjP12ihipStream_tbEUljE_EEESV_SW_SX_S14_S18_S1A_T6_T7_T9_mT8_S1C_bDpT10_ENKUlT_T0_E_clISt17integral_constantIbLb0EES1P_EEDaS1K_S1L_EUlS1K_E_NS1_11comp_targetILNS1_3genE0ELNS1_11target_archE4294967295ELNS1_3gpuE0ELNS1_3repE0EEENS1_30default_config_static_selectorELNS0_4arch9wavefront6targetE0EEEvSY_
; %bb.0:
	s_clause 0x4
	s_load_b128 s[8:11], s[0:1], 0x48
	s_load_b32 s2, s[0:1], 0x70
	s_load_b64 s[12:13], s[0:1], 0x10
	s_load_b64 s[14:15], s[0:1], 0x58
	s_load_b32 s20, s[0:1], 0x8
	s_bfe_u32 s3, ttmp6, 0x4000c
	s_and_b32 s4, ttmp6, 15
	s_add_co_i32 s3, s3, 1
	s_getreg_b32 s5, hwreg(HW_REG_IB_STS2, 6, 4)
	s_mul_i32 s3, ttmp9, s3
	s_mov_b32 s17, 0
	s_add_co_i32 s16, s4, s3
	s_cmp_eq_u32 s5, 0
	s_clause 0x1
	s_load_b32 s3, s[0:1], 0x88
	s_load_b128 s[4:7], s[0:1], 0x78
	s_cselect_b32 s24, ttmp9, s16
	v_lshlrev_b32_e32 v19, 2, v0
	s_wait_kmcnt 0x0
	s_load_b64 s[18:19], s[10:11], 0x0
	s_mul_i32 s16, s2, 0xd00
	s_add_co_i32 s2, s2, -1
	s_add_co_i32 s21, s16, s12
	s_wait_xcnt 0x0
	s_add_nc_u64 s[10:11], s[12:13], s[16:17]
	s_sub_co_i32 s23, s14, s21
	v_cmp_gt_u64_e64 s11, s[14:15], s[10:11]
	s_addk_co_i32 s23, 0xd00
	s_cmp_eq_u32 s24, s2
	s_mul_i32 s10, s24, 0xd00
	s_cselect_b32 s22, -1, 0
	s_cmp_lg_u32 s24, s2
	s_mov_b32 s17, -1
	s_cselect_b32 s2, -1, 0
	s_add_co_i32 s16, s20, s10
	s_or_b32 s11, s2, s11
	s_add_co_i32 s16, s16, s12
	s_and_b32 vcc_lo, exec_lo, s11
	v_add_nc_u32_e32 v1, s16, v0
	s_cbranch_vccz .LBB256_2
; %bb.1:
	s_delay_alu instid0(VALU_DEP_1)
	v_add_nc_u32_e32 v2, 0x100, v1
	v_add_nc_u32_e32 v3, 0x200, v1
	;; [unrolled: 1-line block ×12, first 2 shown]
	ds_store_2addr_stride64_b32 v19, v1, v2 offset1:4
	ds_store_2addr_stride64_b32 v19, v3, v4 offset0:8 offset1:12
	ds_store_2addr_stride64_b32 v19, v5, v6 offset0:16 offset1:20
	;; [unrolled: 1-line block ×5, first 2 shown]
	ds_store_b32 v19, v13 offset:12288
	s_wait_dscnt 0x0
	s_barrier_signal -1
	s_mov_b32 s17, 0
	s_barrier_wait -1
.LBB256_2:
	v_cmp_gt_u32_e64 s2, s23, v0
	v_or_b32_e32 v40, 0x100, v0
	v_or_b32_e32 v38, 0x200, v0
	;; [unrolled: 1-line block ×12, first 2 shown]
	s_and_not1_b32 vcc_lo, exec_lo, s17
	s_cbranch_vccnz .LBB256_4
; %bb.3:
	v_dual_add_nc_u32 v2, s16, v40 :: v_dual_cndmask_b32 v1, 0, v1, s2
	v_cmp_gt_u32_e32 vcc_lo, s23, v40
	v_dual_add_nc_u32 v3, s16, v38 :: v_dual_add_nc_u32 v4, s16, v36
	v_dual_add_nc_u32 v7, s16, v30 :: v_dual_add_nc_u32 v8, s16, v28
	s_delay_alu instid0(VALU_DEP_4)
	v_cndmask_b32_e32 v2, 0, v2, vcc_lo
	v_cmp_gt_u32_e32 vcc_lo, s23, v38
	v_dual_add_nc_u32 v11, s16, v22 :: v_dual_add_nc_u32 v12, s16, v20
	v_cndmask_b32_e32 v3, 0, v3, vcc_lo
	v_cmp_gt_u32_e32 vcc_lo, s23, v36
	v_dual_cndmask_b32 v4, 0, v4 :: v_dual_add_nc_u32 v5, s16, v34
	v_cmp_gt_u32_e32 vcc_lo, s23, v34
	s_delay_alu instid0(VALU_DEP_2) | instskip(SKIP_1) | instid1(VALU_DEP_2)
	v_dual_cndmask_b32 v5, 0, v5 :: v_dual_add_nc_u32 v6, s16, v32
	v_cmp_gt_u32_e32 vcc_lo, s23, v32
	v_cndmask_b32_e32 v6, 0, v6, vcc_lo
	v_cmp_gt_u32_e32 vcc_lo, s23, v30
	v_cndmask_b32_e32 v7, 0, v7, vcc_lo
	v_cmp_gt_u32_e32 vcc_lo, s23, v28
	v_dual_cndmask_b32 v8, 0, v8 :: v_dual_add_nc_u32 v9, s16, v26
	v_cmp_gt_u32_e32 vcc_lo, s23, v26
	s_delay_alu instid0(VALU_DEP_2) | instskip(SKIP_1) | instid1(VALU_DEP_2)
	v_dual_cndmask_b32 v9, 0, v9 :: v_dual_add_nc_u32 v10, s16, v24
	v_cmp_gt_u32_e32 vcc_lo, s23, v24
	v_cndmask_b32_e32 v10, 0, v10, vcc_lo
	v_cmp_gt_u32_e32 vcc_lo, s23, v22
	v_cndmask_b32_e32 v11, 0, v11, vcc_lo
	v_cmp_gt_u32_e32 vcc_lo, s23, v20
	v_dual_cndmask_b32 v12, 0, v12 :: v_dual_add_nc_u32 v13, s16, v18
	v_cmp_gt_u32_e32 vcc_lo, s23, v18
	s_delay_alu instid0(VALU_DEP_2)
	v_cndmask_b32_e32 v13, 0, v13, vcc_lo
	ds_store_2addr_stride64_b32 v19, v1, v2 offset1:4
	ds_store_2addr_stride64_b32 v19, v3, v4 offset0:8 offset1:12
	ds_store_2addr_stride64_b32 v19, v5, v6 offset0:16 offset1:20
	;; [unrolled: 1-line block ×5, first 2 shown]
	ds_store_b32 v19, v13 offset:12288
	s_wait_dscnt 0x0
	s_barrier_signal -1
	s_barrier_wait -1
.LBB256_4:
	v_mul_u32_u24_e32 v23, 13, v0
	v_cndmask_b32_e64 v21, 0, 1, s11
	s_and_not1_b32 vcc_lo, exec_lo, s11
	s_delay_alu instid0(VALU_DEP_2)
	v_lshlrev_b32_e32 v2, 2, v23
	ds_load_2addr_b32 v[50:51], v2 offset0:2 offset1:3
	ds_load_2addr_b32 v[46:47], v2 offset0:6 offset1:7
	;; [unrolled: 1-line block ×3, first 2 shown]
	ds_load_2addr_b32 v[52:53], v2 offset1:1
	ds_load_2addr_b32 v[42:43], v2 offset0:10 offset1:11
	ds_load_b32 v1, v2 offset:48
	ds_load_2addr_b32 v[44:45], v2 offset0:8 offset1:9
	s_wait_dscnt 0x0
	s_barrier_signal -1
	s_barrier_wait -1
	s_cbranch_vccnz .LBB256_6
; %bb.5:
	v_dual_add_nc_u32 v2, s5, v51 :: v_dual_add_nc_u32 v3, s5, v53
	v_dual_add_nc_u32 v4, s5, v52 :: v_dual_add_nc_u32 v5, s5, v50
	;; [unrolled: 1-line block ×4, first 2 shown]
	s_delay_alu instid0(VALU_DEP_3) | instskip(NEXT) | instid1(VALU_DEP_4)
	v_mul_lo_u32 v5, v5, s4
	v_mul_lo_u32 v4, v4, s4
	v_mul_lo_u32 v3, v3, s4
	v_mul_lo_u32 v2, v2, s4
	v_mul_lo_u32 v6, v6, s6
	v_mul_lo_u32 v7, v7, s6
	v_mul_lo_u32 v8, v8, s6
	v_mul_lo_u32 v9, v9, s6
	v_dual_add_nc_u32 v10, s5, v48 :: v_dual_add_nc_u32 v11, s7, v48
	v_dual_add_nc_u32 v14, s7, v43 :: v_dual_add_nc_u32 v15, s5, v42
	;; [unrolled: 1-line block ×3, first 2 shown]
	s_delay_alu instid0(VALU_DEP_3)
	v_mul_lo_u32 v10, v10, s4
	v_dual_sub_nc_u32 v2, v2, v6 :: v_dual_sub_nc_u32 v3, v3, v7
	v_dual_sub_nc_u32 v4, v4, v8 :: v_dual_sub_nc_u32 v5, v5, v9
	v_dual_add_nc_u32 v6, s5, v49 :: v_dual_add_nc_u32 v7, s7, v49
	v_dual_add_nc_u32 v8, s5, v47 :: v_dual_add_nc_u32 v9, s7, v47
	v_mul_lo_u32 v11, v11, s6
	s_delay_alu instid0(VALU_DEP_3) | instskip(NEXT) | instid1(VALU_DEP_4)
	v_mul_lo_u32 v6, v6, s4
	v_mul_lo_u32 v7, v7, s6
	s_delay_alu instid0(VALU_DEP_4)
	v_mul_lo_u32 v8, v8, s4
	v_mul_lo_u32 v9, v9, s6
	v_cmp_lt_u32_e32 vcc_lo, s3, v2
	v_dual_add_nc_u32 v12, s5, v46 :: v_dual_add_nc_u32 v13, s5, v44
	v_mul_lo_u32 v14, v14, s6
	v_mul_lo_u32 v16, v16, s6
	v_cndmask_b32_e64 v2, 0, 1, vcc_lo
	v_cmp_lt_u32_e32 vcc_lo, s3, v3
	v_mul_lo_u32 v13, v13, s4
	v_dual_sub_nc_u32 v6, v6, v7 :: v_dual_add_nc_u32 v7, s7, v46
	v_dual_sub_nc_u32 v8, v8, v9 :: v_dual_sub_nc_u32 v9, v10, v11
	v_dual_add_nc_u32 v11, s5, v45 :: v_dual_add_nc_u32 v10, s5, v43
	v_cndmask_b32_e64 v3, 0, 1, vcc_lo
	s_delay_alu instid0(VALU_DEP_4)
	v_cmp_lt_u32_e32 vcc_lo, s3, v6
	v_mul_lo_u32 v12, v12, s4
	v_mul_lo_u32 v7, v7, s6
	;; [unrolled: 1-line block ×4, first 2 shown]
	v_cndmask_b32_e64 v6, 0, 1, vcc_lo
	v_cmp_lt_u32_e32 vcc_lo, s3, v8
	v_lshlrev_b16 v3, 8, v3
	v_add_nc_u32_e32 v25, s7, v42
	v_mul_lo_u32 v17, v17, s6
	v_lshlrev_b16 v6, 8, v6
	v_cndmask_b32_e64 v8, 0, 1, vcc_lo
	v_cmp_lt_u32_e32 vcc_lo, s3, v4
	v_dual_sub_nc_u32 v7, v12, v7 :: v_dual_sub_nc_u32 v10, v10, v14
	v_mul_lo_u32 v12, v15, s4
	v_mul_lo_u32 v15, v25, s6
	v_dual_add_nc_u32 v25, s7, v1 :: v_dual_lshrrev_b32 v3, 8, v3
	v_sub_nc_u32_e32 v11, v11, v16
	v_cndmask_b32_e64 v4, 0, 1, vcc_lo
	v_cmp_lt_u32_e32 vcc_lo, s3, v10
	v_dual_lshrrev_b32 v6, 8, v6 :: v_dual_add_nc_u32 v14, s5, v1
	v_mul_lo_u32 v16, v25, s6
	v_lshlrev_b16 v2, 8, v2
	v_cndmask_b32_e64 v10, 0, 1, vcc_lo
	v_cmp_lt_u32_e32 vcc_lo, s3, v11
	v_mul_lo_u32 v14, v14, s4
	v_dual_sub_nc_u32 v13, v13, v17 :: v_dual_sub_nc_u32 v12, v12, v15
	v_lshlrev_b16 v3, 8, v3
	v_cndmask_b32_e64 v11, 0, 1, vcc_lo
	v_cmp_lt_u32_e32 vcc_lo, s3, v5
	v_lshrrev_b32_e32 v2, 8, v2
	v_lshlrev_b16 v8, 8, v8
	v_or_b32_e32 v3, v4, v3
	v_lshlrev_b16 v4, 8, v10
	v_cndmask_b32_e64 v5, 0, 1, vcc_lo
	v_cmp_lt_u32_e32 vcc_lo, s3, v9
	v_lshlrev_b16 v10, 8, v11
	v_sub_nc_u32_e32 v11, v14, v16
	v_lshlrev_b16 v2, 8, v2
	v_lshrrev_b32_e32 v4, 8, v4
	v_cndmask_b32_e64 v9, 0, 1, vcc_lo
	v_cmp_lt_u32_e32 vcc_lo, s3, v7
	v_lshrrev_b32_e32 v10, 8, v10
	v_lshlrev_b16 v6, 8, v6
	v_or_b32_e32 v2, v5, v2
	v_lshlrev_b16 v4, 8, v4
	v_cndmask_b32_e64 v7, 0, 1, vcc_lo
	v_cmp_lt_u32_e32 vcc_lo, s3, v13
	v_lshlrev_b16 v10, 8, v10
	v_or_b32_e32 v5, v9, v6
	v_and_b32_e32 v3, 0xffff, v3
	v_dual_lshlrev_b32 v2, 16, v2 :: v_dual_bitop2_b32 v6, v7, v8 bitop3:0x54
	v_cndmask_b32_e64 v13, 0, 1, vcc_lo
	v_cmp_lt_u32_e32 vcc_lo, s3, v12
	s_delay_alu instid0(VALU_DEP_3) | instskip(SKIP_4) | instid1(VALU_DEP_4)
	v_lshlrev_b32_e32 v6, 16, v6
	v_and_b32_e32 v5, 0xffff, v5
	v_or_b32_e32 v35, v3, v2
	v_cndmask_b32_e64 v12, 0, 1, vcc_lo
	v_cmp_lt_u32_e32 vcc_lo, s3, v11
	v_or_b32_e32 v31, v5, v6
	s_delay_alu instid0(VALU_DEP_3) | instskip(SKIP_2) | instid1(VALU_DEP_3)
	v_or_b32_e32 v4, v12, v4
	v_or_b32_e32 v7, v13, v10
	v_cndmask_b32_e64 v25, 0, 1, vcc_lo
	v_lshlrev_b32_e32 v4, 16, v4
	s_delay_alu instid0(VALU_DEP_3) | instskip(NEXT) | instid1(VALU_DEP_1)
	v_and_b32_e32 v7, 0xffff, v7
	v_or_b32_e32 v27, v7, v4
	s_load_b64 s[20:21], s[0:1], 0x68
	s_cbranch_execz .LBB256_7
	s_branch .LBB256_34
.LBB256_6:
                                        ; implicit-def: $vgpr25
                                        ; implicit-def: $vgpr27
                                        ; implicit-def: $vgpr31
                                        ; implicit-def: $vgpr35
	s_load_b64 s[20:21], s[0:1], 0x68
.LBB256_7:
	v_dual_mov_b32 v3, 0 :: v_dual_mov_b32 v2, 0
	s_mov_b32 s2, exec_lo
	v_cmpx_gt_u32_e64 s23, v23
	s_cbranch_execz .LBB256_9
; %bb.8:
	v_dual_add_nc_u32 v2, s5, v52 :: v_dual_add_nc_u32 v4, s7, v52
	s_delay_alu instid0(VALU_DEP_1) | instskip(NEXT) | instid1(VALU_DEP_2)
	v_mul_lo_u32 v2, v2, s4
	v_mul_lo_u32 v4, v4, s6
	s_delay_alu instid0(VALU_DEP_1) | instskip(NEXT) | instid1(VALU_DEP_1)
	v_sub_nc_u32_e32 v2, v2, v4
	v_cmp_lt_u32_e32 vcc_lo, s3, v2
	v_cndmask_b32_e64 v2, 0, 1, vcc_lo
.LBB256_9:
	s_or_b32 exec_lo, exec_lo, s2
	v_add_nc_u32_e32 v4, 1, v23
	s_mov_b32 s2, exec_lo
	s_delay_alu instid0(VALU_DEP_1)
	v_cmpx_gt_u32_e64 s23, v4
	s_cbranch_execz .LBB256_11
; %bb.10:
	v_dual_add_nc_u32 v3, s5, v53 :: v_dual_add_nc_u32 v4, s7, v53
	s_delay_alu instid0(VALU_DEP_1) | instskip(NEXT) | instid1(VALU_DEP_2)
	v_mul_lo_u32 v3, v3, s4
	v_mul_lo_u32 v4, v4, s6
	s_delay_alu instid0(VALU_DEP_1) | instskip(NEXT) | instid1(VALU_DEP_1)
	v_sub_nc_u32_e32 v3, v3, v4
	v_cmp_lt_u32_e32 vcc_lo, s3, v3
	v_cndmask_b32_e64 v3, 0, 1, vcc_lo
.LBB256_11:
	s_or_b32 exec_lo, exec_lo, s2
	v_dual_mov_b32 v5, 0 :: v_dual_add_nc_u32 v4, 2, v23
	s_delay_alu instid0(VALU_DEP_1)
	v_cmp_gt_u32_e32 vcc_lo, s23, v4
	v_mov_b32_e32 v4, 0
	s_and_saveexec_b32 s2, vcc_lo
	s_cbranch_execz .LBB256_13
; %bb.12:
	v_dual_add_nc_u32 v4, s5, v50 :: v_dual_add_nc_u32 v6, s7, v50
	s_delay_alu instid0(VALU_DEP_1) | instskip(NEXT) | instid1(VALU_DEP_2)
	v_mul_lo_u32 v4, v4, s4
	v_mul_lo_u32 v6, v6, s6
	s_delay_alu instid0(VALU_DEP_1) | instskip(NEXT) | instid1(VALU_DEP_1)
	v_sub_nc_u32_e32 v4, v4, v6
	v_cmp_lt_u32_e32 vcc_lo, s3, v4
	v_cndmask_b32_e64 v4, 0, 1, vcc_lo
.LBB256_13:
	s_or_b32 exec_lo, exec_lo, s2
	v_add_nc_u32_e32 v6, 3, v23
	s_mov_b32 s2, exec_lo
	s_delay_alu instid0(VALU_DEP_1)
	v_cmpx_gt_u32_e64 s23, v6
	s_cbranch_execz .LBB256_15
; %bb.14:
	v_dual_add_nc_u32 v5, s5, v51 :: v_dual_add_nc_u32 v6, s7, v51
	s_delay_alu instid0(VALU_DEP_1) | instskip(NEXT) | instid1(VALU_DEP_2)
	v_mul_lo_u32 v5, v5, s4
	v_mul_lo_u32 v6, v6, s6
	s_delay_alu instid0(VALU_DEP_1) | instskip(NEXT) | instid1(VALU_DEP_1)
	v_sub_nc_u32_e32 v5, v5, v6
	v_cmp_lt_u32_e32 vcc_lo, s3, v5
	v_cndmask_b32_e64 v5, 0, 1, vcc_lo
.LBB256_15:
	s_or_b32 exec_lo, exec_lo, s2
	v_dual_mov_b32 v7, 0 :: v_dual_add_nc_u32 v6, 4, v23
	s_delay_alu instid0(VALU_DEP_1)
	v_cmp_gt_u32_e32 vcc_lo, s23, v6
	v_mov_b32_e32 v6, 0
	s_and_saveexec_b32 s2, vcc_lo
	;; [unrolled: 33-line block ×5, first 2 shown]
	s_cbranch_execz .LBB256_29
; %bb.28:
	v_dual_add_nc_u32 v12, s5, v42 :: v_dual_add_nc_u32 v14, s7, v42
	s_delay_alu instid0(VALU_DEP_1) | instskip(NEXT) | instid1(VALU_DEP_2)
	v_mul_lo_u32 v12, v12, s4
	v_mul_lo_u32 v14, v14, s6
	s_delay_alu instid0(VALU_DEP_1) | instskip(NEXT) | instid1(VALU_DEP_1)
	v_sub_nc_u32_e32 v12, v12, v14
	v_cmp_lt_u32_e32 vcc_lo, s3, v12
	v_cndmask_b32_e64 v12, 0, 1, vcc_lo
.LBB256_29:
	s_or_b32 exec_lo, exec_lo, s2
	v_add_nc_u32_e32 v14, 11, v23
	s_mov_b32 s2, exec_lo
	s_delay_alu instid0(VALU_DEP_1)
	v_cmpx_gt_u32_e64 s23, v14
	s_cbranch_execz .LBB256_31
; %bb.30:
	v_dual_add_nc_u32 v13, s5, v43 :: v_dual_add_nc_u32 v14, s7, v43
	s_delay_alu instid0(VALU_DEP_1) | instskip(NEXT) | instid1(VALU_DEP_2)
	v_mul_lo_u32 v13, v13, s4
	v_mul_lo_u32 v14, v14, s6
	s_delay_alu instid0(VALU_DEP_1) | instskip(NEXT) | instid1(VALU_DEP_1)
	v_sub_nc_u32_e32 v13, v13, v14
	v_cmp_lt_u32_e32 vcc_lo, s3, v13
	v_cndmask_b32_e64 v13, 0, 1, vcc_lo
.LBB256_31:
	s_or_b32 exec_lo, exec_lo, s2
	v_dual_mov_b32 v25, 0 :: v_dual_add_nc_u32 v14, 12, v23
	s_mov_b32 s2, exec_lo
	s_delay_alu instid0(VALU_DEP_1)
	v_cmpx_gt_u32_e64 s23, v14
	s_cbranch_execz .LBB256_33
; %bb.32:
	v_dual_add_nc_u32 v14, s7, v1 :: v_dual_add_nc_u32 v15, s5, v1
	s_delay_alu instid0(VALU_DEP_1) | instskip(NEXT) | instid1(VALU_DEP_2)
	v_mul_lo_u32 v14, v14, s6
	v_mul_lo_u32 v15, v15, s4
	s_delay_alu instid0(VALU_DEP_1) | instskip(NEXT) | instid1(VALU_DEP_1)
	v_sub_nc_u32_e32 v14, v15, v14
	v_cmp_lt_u32_e32 vcc_lo, s3, v14
	v_cndmask_b32_e64 v25, 0, 1, vcc_lo
.LBB256_33:
	s_or_b32 exec_lo, exec_lo, s2
	v_lshlrev_b16 v5, 8, v5
	v_lshlrev_b16 v7, 8, v7
	;; [unrolled: 1-line block ×5, first 2 shown]
	v_or_b32_e32 v4, v4, v5
	v_or_b32_e32 v5, v6, v7
	;; [unrolled: 1-line block ×3, first 2 shown]
	s_delay_alu instid0(VALU_DEP_4) | instskip(NEXT) | instid1(VALU_DEP_3)
	v_or_b32_e32 v7, v10, v11
	v_and_b32_e32 v5, 0xffff, v5
	s_delay_alu instid0(VALU_DEP_3) | instskip(SKIP_3) | instid1(VALU_DEP_4)
	v_dual_lshlrev_b32 v6, 16, v6 :: v_dual_bitop2_b32 v2, v2, v3 bitop3:0x54
	v_lshlrev_b32_e32 v4, 16, v4
	v_lshlrev_b16 v3, 8, v13
	v_and_b32_e32 v7, 0xffff, v7
	v_or_b32_e32 v31, v5, v6
	v_and_b32_e32 v2, 0xffff, v2
	s_delay_alu instid0(VALU_DEP_4) | instskip(NEXT) | instid1(VALU_DEP_1)
	v_or_b32_e32 v3, v12, v3
	v_dual_lshlrev_b32 v3, 16, v3 :: v_dual_bitop2_b32 v35, v2, v4 bitop3:0x54
	s_delay_alu instid0(VALU_DEP_1)
	v_or_b32_e32 v27, v7, v3
.LBB256_34:
	s_delay_alu instid0(VALU_DEP_2)
	v_bfe_u32 v39, v35, 16, 8
	v_bfe_u32 v41, v35, 8, 8
	v_and_b32_e32 v55, 0xff, v35
	v_and_b32_e32 v56, 0xff, v31
	v_mbcnt_lo_u32_b32 v62, -1, 0
	v_lshrrev_b32_e32 v37, 24, v35
	v_bfe_u32 v57, v31, 16, 8
	v_add3_u32 v2, v41, v55, v39
	v_bfe_u32 v58, v31, 8, 8
	v_and_b32_e32 v4, 15, v62
	s_load_b64 s[16:17], s[0:1], 0x28
	v_dual_lshrrev_b32 v33, 24, v31 :: v_dual_lshrrev_b32 v63, 5, v0
	v_add3_u32 v2, v2, v37, v56
	v_and_b32_e32 v59, 0xff, v27
	v_bfe_u32 v60, v27, 16, 8
	v_bfe_u32 v61, v27, 8, 8
	v_dual_lshrrev_b32 v29, 24, v27 :: v_dual_bitop2_b32 v5, 31, v0 bitop3:0x54
	v_add3_u32 v2, v2, v58, v57
	v_and_b32_e32 v3, 0xff, v25
	v_and_b32_e32 v6, 16, v62
	v_cmp_eq_u32_e64 s5, 0, v4
	v_cmp_lt_u32_e64 s4, 1, v4
	v_add3_u32 v2, v2, v33, v59
	v_cmp_lt_u32_e64 s3, 3, v4
	v_cmp_lt_u32_e64 s2, 7, v4
	s_wait_xcnt 0x0
	v_cmp_eq_u32_e64 s1, 0, v6
	v_cmp_eq_u32_e64 s0, v0, v5
	v_add3_u32 v2, v2, v61, v60
	s_cmp_lg_u32 s24, 0
	s_mov_b32 s6, -1
	s_delay_alu instid0(VALU_DEP_1)
	v_add3_u32 v64, v2, v29, v3
	s_cbranch_scc0 .LBB256_56
; %bb.35:
	s_delay_alu instid0(VALU_DEP_1) | instskip(NEXT) | instid1(VALU_DEP_1)
	v_mov_b32_dpp v2, v64 row_shr:1 row_mask:0xf bank_mask:0xf
	v_cndmask_b32_e64 v2, v2, 0, s5
	s_delay_alu instid0(VALU_DEP_1) | instskip(NEXT) | instid1(VALU_DEP_1)
	v_add_nc_u32_e32 v2, v2, v64
	v_mov_b32_dpp v3, v2 row_shr:2 row_mask:0xf bank_mask:0xf
	s_delay_alu instid0(VALU_DEP_1) | instskip(NEXT) | instid1(VALU_DEP_1)
	v_cndmask_b32_e64 v3, 0, v3, s4
	v_add_nc_u32_e32 v2, v2, v3
	s_delay_alu instid0(VALU_DEP_1) | instskip(NEXT) | instid1(VALU_DEP_1)
	v_mov_b32_dpp v3, v2 row_shr:4 row_mask:0xf bank_mask:0xf
	v_cndmask_b32_e64 v3, 0, v3, s3
	s_delay_alu instid0(VALU_DEP_1) | instskip(NEXT) | instid1(VALU_DEP_1)
	v_add_nc_u32_e32 v2, v2, v3
	v_mov_b32_dpp v3, v2 row_shr:8 row_mask:0xf bank_mask:0xf
	s_delay_alu instid0(VALU_DEP_1) | instskip(NEXT) | instid1(VALU_DEP_1)
	v_cndmask_b32_e64 v3, 0, v3, s2
	v_add_nc_u32_e32 v2, v2, v3
	ds_swizzle_b32 v3, v2 offset:swizzle(BROADCAST,32,15)
	s_wait_dscnt 0x0
	v_cndmask_b32_e64 v3, v3, 0, s1
	s_delay_alu instid0(VALU_DEP_1)
	v_add_nc_u32_e32 v2, v2, v3
	s_and_saveexec_b32 s6, s0
; %bb.36:
	v_lshlrev_b32_e32 v3, 2, v63
	ds_store_b32 v3, v2
; %bb.37:
	s_or_b32 exec_lo, exec_lo, s6
	s_delay_alu instid0(SALU_CYCLE_1)
	s_mov_b32 s6, exec_lo
	s_wait_dscnt 0x0
	s_barrier_signal -1
	s_barrier_wait -1
	v_cmpx_gt_u32_e32 8, v0
	s_cbranch_execz .LBB256_39
; %bb.38:
	ds_load_b32 v3, v19
	s_wait_dscnt 0x0
	v_mov_b32_dpp v5, v3 row_shr:1 row_mask:0xf bank_mask:0xf
	v_and_b32_e32 v4, 7, v62
	s_delay_alu instid0(VALU_DEP_1) | instskip(NEXT) | instid1(VALU_DEP_3)
	v_cmp_ne_u32_e32 vcc_lo, 0, v4
	v_cndmask_b32_e32 v5, 0, v5, vcc_lo
	v_cmp_lt_u32_e32 vcc_lo, 1, v4
	s_delay_alu instid0(VALU_DEP_2) | instskip(NEXT) | instid1(VALU_DEP_1)
	v_add_nc_u32_e32 v3, v5, v3
	v_mov_b32_dpp v5, v3 row_shr:2 row_mask:0xf bank_mask:0xf
	s_delay_alu instid0(VALU_DEP_1) | instskip(SKIP_1) | instid1(VALU_DEP_2)
	v_cndmask_b32_e32 v5, 0, v5, vcc_lo
	v_cmp_lt_u32_e32 vcc_lo, 3, v4
	v_add_nc_u32_e32 v3, v3, v5
	s_delay_alu instid0(VALU_DEP_1) | instskip(NEXT) | instid1(VALU_DEP_1)
	v_mov_b32_dpp v5, v3 row_shr:4 row_mask:0xf bank_mask:0xf
	v_cndmask_b32_e32 v4, 0, v5, vcc_lo
	s_delay_alu instid0(VALU_DEP_1)
	v_add_nc_u32_e32 v3, v3, v4
	ds_store_b32 v19, v3
.LBB256_39:
	s_or_b32 exec_lo, exec_lo, s6
	s_delay_alu instid0(SALU_CYCLE_1)
	s_mov_b32 s7, exec_lo
	v_cmp_gt_u32_e32 vcc_lo, 32, v0
	s_wait_dscnt 0x0
	s_barrier_signal -1
	s_barrier_wait -1
                                        ; implicit-def: $vgpr10
	v_cmpx_lt_u32_e32 31, v0
	s_cbranch_execz .LBB256_41
; %bb.40:
	v_lshl_add_u32 v3, v63, 2, -4
	ds_load_b32 v10, v3
	s_wait_dscnt 0x0
	v_add_nc_u32_e32 v2, v10, v2
.LBB256_41:
	s_or_b32 exec_lo, exec_lo, s7
	v_sub_co_u32 v3, s6, v62, 1
	s_delay_alu instid0(VALU_DEP_1) | instskip(NEXT) | instid1(VALU_DEP_1)
	v_cmp_gt_i32_e64 s7, 0, v3
	v_cndmask_b32_e64 v3, v3, v62, s7
	s_delay_alu instid0(VALU_DEP_1)
	v_lshlrev_b32_e32 v3, 2, v3
	ds_bpermute_b32 v11, v3, v2
	s_and_saveexec_b32 s7, vcc_lo
	s_cbranch_execz .LBB256_61
; %bb.42:
	v_mov_b32_e32 v9, 0
	ds_load_b32 v2, v9 offset:28
	s_and_saveexec_b32 s11, s6
	s_cbranch_execz .LBB256_44
; %bb.43:
	s_add_co_i32 s25, s24, 32
	s_delay_alu instid0(SALU_CYCLE_1)
	v_dual_mov_b32 v3, 1 :: v_dual_mov_b32 v4, s25
	s_wait_dscnt 0x0
	s_wait_kmcnt 0x0
	global_store_b64 v4, v[2:3], s[20:21] scale_offset scope:SCOPE_DEV
.LBB256_44:
	s_wait_xcnt 0x0
	s_or_b32 exec_lo, exec_lo, s11
	v_xad_u32 v4, v62, -1, s24
	s_mov_b32 s25, 0
	s_mov_b32 s11, exec_lo
	s_delay_alu instid0(VALU_DEP_1)
	v_add_nc_u32_e32 v8, 32, v4
	s_wait_kmcnt 0x0
	global_load_b64 v[6:7], v8, s[20:21] scale_offset scope:SCOPE_DEV
	s_wait_loadcnt 0x0
	v_and_b32_e32 v3, 0xff, v7
	s_wait_xcnt 0x0
	s_delay_alu instid0(VALU_DEP_1)
	v_cmpx_eq_u16_e32 0, v3
	s_cbranch_execz .LBB256_48
; %bb.45:
	v_lshl_add_u64 v[8:9], v[8:9], 3, s[20:21]
.LBB256_46:                             ; =>This Inner Loop Header: Depth=1
	global_load_b64 v[6:7], v[8:9], off scope:SCOPE_DEV
	s_wait_loadcnt 0x0
	v_and_b32_e32 v3, 0xff, v7
	s_delay_alu instid0(VALU_DEP_1)
	v_cmp_ne_u16_e32 vcc_lo, 0, v3
	s_or_b32 s25, vcc_lo, s25
	s_wait_xcnt 0x0
	s_and_not1_b32 exec_lo, exec_lo, s25
	s_cbranch_execnz .LBB256_46
; %bb.47:
	s_or_b32 exec_lo, exec_lo, s25
.LBB256_48:
	s_delay_alu instid0(SALU_CYCLE_1)
	s_or_b32 exec_lo, exec_lo, s11
	v_cmp_ne_u32_e32 vcc_lo, 31, v62
	v_lshlrev_b32_e64 v13, v62, -1
	v_dual_add_nc_u32 v15, 2, v62 :: v_dual_add_nc_u32 v17, 4, v62
	v_dual_add_nc_u32 v65, 8, v62 :: v_dual_add_nc_u32 v67, 16, v62
	v_add_co_ci_u32_e64 v3, null, 0, v62, vcc_lo
	v_lshl_or_b32 v66, v62, 2, 64
	s_delay_alu instid0(VALU_DEP_2)
	v_lshlrev_b32_e32 v12, 2, v3
	v_and_b32_e32 v3, 0xff, v7
	ds_bpermute_b32 v5, v12, v6
	v_cmp_eq_u16_e32 vcc_lo, 2, v3
	v_and_or_b32 v3, vcc_lo, v13, 0x80000000
	v_cmp_gt_u32_e32 vcc_lo, 30, v62
	s_delay_alu instid0(VALU_DEP_2) | instskip(SKIP_1) | instid1(VALU_DEP_2)
	v_ctz_i32_b32_e32 v3, v3
	v_cndmask_b32_e64 v8, 0, 2, vcc_lo
	v_cmp_lt_u32_e32 vcc_lo, v62, v3
	s_delay_alu instid0(VALU_DEP_2)
	v_add_lshl_u32 v14, v8, v62, 2
	s_wait_dscnt 0x0
	v_cndmask_b32_e32 v5, 0, v5, vcc_lo
	v_cmp_gt_u32_e32 vcc_lo, 28, v62
	v_cndmask_b32_e64 v8, 0, 4, vcc_lo
	v_cmp_le_u32_e32 vcc_lo, v15, v3
	s_delay_alu instid0(VALU_DEP_4) | instskip(NEXT) | instid1(VALU_DEP_3)
	v_add_nc_u32_e32 v5, v5, v6
	v_add_lshl_u32 v16, v8, v62, 2
	ds_bpermute_b32 v6, v14, v5
	s_wait_dscnt 0x0
	v_cndmask_b32_e32 v6, 0, v6, vcc_lo
	v_cmp_gt_u32_e32 vcc_lo, 24, v62
	v_cndmask_b32_e64 v8, 0, 8, vcc_lo
	v_cmp_le_u32_e32 vcc_lo, v17, v3
	s_delay_alu instid0(VALU_DEP_4) | instskip(NEXT) | instid1(VALU_DEP_3)
	v_add_nc_u32_e32 v5, v5, v6
	v_add_lshl_u32 v54, v8, v62, 2
	ds_bpermute_b32 v6, v16, v5
	s_wait_dscnt 0x0
	v_cndmask_b32_e32 v6, 0, v6, vcc_lo
	v_cmp_le_u32_e32 vcc_lo, v65, v3
	s_delay_alu instid0(VALU_DEP_2) | instskip(SKIP_4) | instid1(VALU_DEP_2)
	v_add_nc_u32_e32 v5, v5, v6
	ds_bpermute_b32 v6, v54, v5
	s_wait_dscnt 0x0
	v_cndmask_b32_e32 v6, 0, v6, vcc_lo
	v_cmp_le_u32_e32 vcc_lo, v67, v3
	v_add_nc_u32_e32 v5, v5, v6
	ds_bpermute_b32 v6, v66, v5
	s_wait_dscnt 0x0
	v_cndmask_b32_e32 v3, 0, v6, vcc_lo
	s_delay_alu instid0(VALU_DEP_1)
	v_dual_mov_b32 v5, 0 :: v_dual_add_nc_u32 v6, v5, v3
	s_branch .LBB256_52
.LBB256_49:                             ;   in Loop: Header=BB256_52 Depth=1
	s_or_b32 exec_lo, exec_lo, s25
.LBB256_50:                             ;   in Loop: Header=BB256_52 Depth=1
	s_delay_alu instid0(SALU_CYCLE_1)
	s_or_b32 exec_lo, exec_lo, s11
	v_and_b32_e32 v8, 0xff, v7
	ds_bpermute_b32 v9, v12, v6
	v_subrev_nc_u32_e32 v4, 32, v4
	s_mov_b32 s11, 0
	v_cmp_eq_u16_e32 vcc_lo, 2, v8
	v_and_or_b32 v8, vcc_lo, v13, 0x80000000
	s_delay_alu instid0(VALU_DEP_1) | instskip(NEXT) | instid1(VALU_DEP_1)
	v_ctz_i32_b32_e32 v8, v8
	v_cmp_lt_u32_e32 vcc_lo, v62, v8
	s_wait_dscnt 0x0
	v_cndmask_b32_e32 v9, 0, v9, vcc_lo
	v_cmp_le_u32_e32 vcc_lo, v15, v8
	s_delay_alu instid0(VALU_DEP_2) | instskip(SKIP_4) | instid1(VALU_DEP_2)
	v_add_nc_u32_e32 v6, v9, v6
	ds_bpermute_b32 v9, v14, v6
	s_wait_dscnt 0x0
	v_cndmask_b32_e32 v9, 0, v9, vcc_lo
	v_cmp_le_u32_e32 vcc_lo, v17, v8
	v_add_nc_u32_e32 v6, v6, v9
	ds_bpermute_b32 v9, v16, v6
	s_wait_dscnt 0x0
	v_cndmask_b32_e32 v9, 0, v9, vcc_lo
	v_cmp_le_u32_e32 vcc_lo, v65, v8
	s_delay_alu instid0(VALU_DEP_2) | instskip(SKIP_4) | instid1(VALU_DEP_2)
	v_add_nc_u32_e32 v6, v6, v9
	ds_bpermute_b32 v9, v54, v6
	s_wait_dscnt 0x0
	v_cndmask_b32_e32 v9, 0, v9, vcc_lo
	v_cmp_le_u32_e32 vcc_lo, v67, v8
	v_add_nc_u32_e32 v6, v6, v9
	ds_bpermute_b32 v9, v66, v6
	s_wait_dscnt 0x0
	v_cndmask_b32_e32 v8, 0, v9, vcc_lo
	s_delay_alu instid0(VALU_DEP_1)
	v_add3_u32 v6, v8, v3, v6
.LBB256_51:                             ;   in Loop: Header=BB256_52 Depth=1
	s_and_b32 vcc_lo, exec_lo, s11
	s_cbranch_vccnz .LBB256_57
.LBB256_52:                             ; =>This Loop Header: Depth=1
                                        ;     Child Loop BB256_55 Depth 2
	v_and_b32_e32 v3, 0xff, v7
	s_mov_b32 s11, -1
                                        ; implicit-def: $vgpr7
	s_delay_alu instid0(VALU_DEP_1)
	v_cmp_ne_u16_e32 vcc_lo, 2, v3
	v_mov_b32_e32 v3, v6
                                        ; implicit-def: $vgpr6
	s_cmp_lg_u32 vcc_lo, exec_lo
	s_cbranch_scc1 .LBB256_51
; %bb.53:                               ;   in Loop: Header=BB256_52 Depth=1
	global_load_b64 v[6:7], v4, s[20:21] scale_offset scope:SCOPE_DEV
	s_mov_b32 s11, exec_lo
	s_wait_loadcnt 0x0
	v_and_b32_e32 v8, 0xff, v7
	s_wait_xcnt 0x0
	s_delay_alu instid0(VALU_DEP_1)
	v_cmpx_eq_u16_e32 0, v8
	s_cbranch_execz .LBB256_50
; %bb.54:                               ;   in Loop: Header=BB256_52 Depth=1
	v_lshl_add_u64 v[8:9], v[4:5], 3, s[20:21]
	s_mov_b32 s25, 0
.LBB256_55:                             ;   Parent Loop BB256_52 Depth=1
                                        ; =>  This Inner Loop Header: Depth=2
	global_load_b64 v[6:7], v[8:9], off scope:SCOPE_DEV
	s_wait_loadcnt 0x0
	v_and_b32_e32 v68, 0xff, v7
	s_delay_alu instid0(VALU_DEP_1)
	v_cmp_ne_u16_e32 vcc_lo, 0, v68
	s_or_b32 s25, vcc_lo, s25
	s_wait_xcnt 0x0
	s_and_not1_b32 exec_lo, exec_lo, s25
	s_cbranch_execnz .LBB256_55
	s_branch .LBB256_49
.LBB256_56:
                                        ; implicit-def: $vgpr2_vgpr3_vgpr4_vgpr5_vgpr6_vgpr7_vgpr8_vgpr9_vgpr10_vgpr11_vgpr12_vgpr13_vgpr14_vgpr15_vgpr16_vgpr17
                                        ; implicit-def: $vgpr54
                                        ; implicit-def: $vgpr16
	s_and_b32 vcc_lo, exec_lo, s6
	s_cbranch_vccnz .LBB256_62
	s_branch .LBB256_71
.LBB256_57:
	s_and_saveexec_b32 s11, s6
	s_cbranch_execz .LBB256_59
; %bb.58:
	s_add_co_i32 s24, s24, 32
	v_dual_mov_b32 v5, 2 :: v_dual_add_nc_u32 v4, v3, v2
	v_dual_mov_b32 v6, s24 :: v_dual_mov_b32 v7, 0
	global_store_b64 v6, v[4:5], s[20:21] scale_offset scope:SCOPE_DEV
	ds_store_b64 v7, v[2:3] offset:13312
.LBB256_59:
	s_wait_xcnt 0x0
	s_or_b32 exec_lo, exec_lo, s11
	v_cmp_eq_u32_e32 vcc_lo, 0, v0
	s_and_b32 exec_lo, exec_lo, vcc_lo
; %bb.60:
	v_mov_b32_e32 v2, 0
	ds_store_b32 v2, v3 offset:28
.LBB256_61:
	s_or_b32 exec_lo, exec_lo, s7
	s_wait_dscnt 0x0
	v_dual_mov_b32 v12, 0 :: v_dual_cndmask_b32 v3, v11, v10, s6
	s_wait_storecnt 0x0
	s_barrier_signal -1
	s_barrier_wait -1
	ds_load_b32 v2, v12 offset:28
	v_cmp_ne_u32_e32 vcc_lo, 0, v0
	s_wait_dscnt 0x0
	s_barrier_signal -1
	s_barrier_wait -1
	v_cndmask_b32_e32 v3, 0, v3, vcc_lo
	ds_load_b64 v[16:17], v12 offset:13312
	v_add_nc_u32_e32 v2, v2, v3
	s_wait_dscnt 0x0
	s_delay_alu instid0(VALU_DEP_1) | instskip(NEXT) | instid1(VALU_DEP_1)
	v_dual_mov_b32 v54, v17 :: v_dual_add_nc_u32 v3, v2, v55
	v_add_nc_u32_e32 v4, v3, v41
	s_delay_alu instid0(VALU_DEP_1) | instskip(NEXT) | instid1(VALU_DEP_1)
	v_add_nc_u32_e32 v5, v4, v39
	v_add_nc_u32_e32 v6, v5, v37
	s_delay_alu instid0(VALU_DEP_1) | instskip(NEXT) | instid1(VALU_DEP_1)
	v_add_nc_u32_e32 v7, v6, v56
	v_add_nc_u32_e32 v8, v7, v58
	s_delay_alu instid0(VALU_DEP_1) | instskip(NEXT) | instid1(VALU_DEP_1)
	v_add_nc_u32_e32 v9, v8, v57
	v_add_nc_u32_e32 v10, v9, v33
	s_delay_alu instid0(VALU_DEP_1) | instskip(NEXT) | instid1(VALU_DEP_1)
	v_add_nc_u32_e32 v11, v10, v59
	v_add_nc_u32_e32 v12, v11, v61
	s_delay_alu instid0(VALU_DEP_1) | instskip(NEXT) | instid1(VALU_DEP_1)
	v_add_nc_u32_e32 v13, v12, v60
	v_add_nc_u32_e32 v14, v13, v29
	s_branch .LBB256_71
.LBB256_62:
	v_mov_b32_dpp v2, v64 row_shr:1 row_mask:0xf bank_mask:0xf
	s_delay_alu instid0(VALU_DEP_1) | instskip(NEXT) | instid1(VALU_DEP_1)
	v_cndmask_b32_e64 v2, v2, 0, s5
	v_add_nc_u32_e32 v2, v2, v64
	s_delay_alu instid0(VALU_DEP_1) | instskip(NEXT) | instid1(VALU_DEP_1)
	v_mov_b32_dpp v3, v2 row_shr:2 row_mask:0xf bank_mask:0xf
	v_cndmask_b32_e64 v3, 0, v3, s4
	s_delay_alu instid0(VALU_DEP_1) | instskip(NEXT) | instid1(VALU_DEP_1)
	v_add_nc_u32_e32 v2, v2, v3
	v_mov_b32_dpp v3, v2 row_shr:4 row_mask:0xf bank_mask:0xf
	s_delay_alu instid0(VALU_DEP_1) | instskip(NEXT) | instid1(VALU_DEP_1)
	v_cndmask_b32_e64 v3, 0, v3, s3
	v_add_nc_u32_e32 v2, v2, v3
	s_delay_alu instid0(VALU_DEP_1) | instskip(NEXT) | instid1(VALU_DEP_1)
	v_mov_b32_dpp v3, v2 row_shr:8 row_mask:0xf bank_mask:0xf
	v_cndmask_b32_e64 v3, 0, v3, s2
	s_delay_alu instid0(VALU_DEP_1) | instskip(SKIP_3) | instid1(VALU_DEP_1)
	v_add_nc_u32_e32 v2, v2, v3
	ds_swizzle_b32 v3, v2 offset:swizzle(BROADCAST,32,15)
	s_wait_dscnt 0x0
	v_cndmask_b32_e64 v3, v3, 0, s1
	v_add_nc_u32_e32 v2, v2, v3
	s_and_saveexec_b32 s1, s0
; %bb.63:
	v_lshlrev_b32_e32 v3, 2, v63
	ds_store_b32 v3, v2
; %bb.64:
	s_or_b32 exec_lo, exec_lo, s1
	s_delay_alu instid0(SALU_CYCLE_1)
	s_mov_b32 s0, exec_lo
	s_wait_dscnt 0x0
	s_barrier_signal -1
	s_barrier_wait -1
	v_cmpx_gt_u32_e32 8, v0
	s_cbranch_execz .LBB256_66
; %bb.65:
	ds_load_b32 v3, v19
	s_wait_dscnt 0x0
	v_mov_b32_dpp v5, v3 row_shr:1 row_mask:0xf bank_mask:0xf
	v_and_b32_e32 v4, 7, v62
	s_delay_alu instid0(VALU_DEP_1) | instskip(NEXT) | instid1(VALU_DEP_3)
	v_cmp_ne_u32_e32 vcc_lo, 0, v4
	v_cndmask_b32_e32 v5, 0, v5, vcc_lo
	v_cmp_lt_u32_e32 vcc_lo, 1, v4
	s_delay_alu instid0(VALU_DEP_2) | instskip(NEXT) | instid1(VALU_DEP_1)
	v_add_nc_u32_e32 v3, v5, v3
	v_mov_b32_dpp v5, v3 row_shr:2 row_mask:0xf bank_mask:0xf
	s_delay_alu instid0(VALU_DEP_1) | instskip(SKIP_1) | instid1(VALU_DEP_2)
	v_cndmask_b32_e32 v5, 0, v5, vcc_lo
	v_cmp_lt_u32_e32 vcc_lo, 3, v4
	v_add_nc_u32_e32 v3, v3, v5
	s_delay_alu instid0(VALU_DEP_1) | instskip(NEXT) | instid1(VALU_DEP_1)
	v_mov_b32_dpp v5, v3 row_shr:4 row_mask:0xf bank_mask:0xf
	v_cndmask_b32_e32 v4, 0, v5, vcc_lo
	s_delay_alu instid0(VALU_DEP_1)
	v_add_nc_u32_e32 v3, v3, v4
	ds_store_b32 v19, v3
.LBB256_66:
	s_or_b32 exec_lo, exec_lo, s0
	v_dual_mov_b32 v4, 0 :: v_dual_mov_b32 v3, 0
	s_mov_b32 s0, exec_lo
	s_wait_dscnt 0x0
	s_barrier_signal -1
	s_barrier_wait -1
	v_cmpx_lt_u32_e32 31, v0
; %bb.67:
	v_lshl_add_u32 v3, v63, 2, -4
	ds_load_b32 v3, v3
; %bb.68:
	s_or_b32 exec_lo, exec_lo, s0
	v_sub_co_u32 v5, vcc_lo, v62, 1
	ds_load_b32 v16, v4 offset:28
	v_cmp_gt_i32_e64 s0, 0, v5
	s_delay_alu instid0(VALU_DEP_1) | instskip(SKIP_3) | instid1(VALU_DEP_3)
	v_cndmask_b32_e64 v5, v5, v62, s0
	s_wait_dscnt 0x1
	v_add_nc_u32_e32 v2, v3, v2
	v_cmp_eq_u32_e64 s0, 0, v0
	v_lshlrev_b32_e32 v5, 2, v5
	ds_bpermute_b32 v2, v5, v2
	s_and_saveexec_b32 s1, s0
	s_cbranch_execz .LBB256_70
; %bb.69:
	v_dual_mov_b32 v4, 0 :: v_dual_mov_b32 v17, 2
	s_wait_dscnt 0x1
	s_wait_kmcnt 0x0
	global_store_b64 v4, v[16:17], s[20:21] offset:256 scope:SCOPE_DEV
.LBB256_70:
	s_wait_xcnt 0x0
	s_or_b32 exec_lo, exec_lo, s1
	s_wait_dscnt 0x0
	v_cndmask_b32_e32 v2, v2, v3, vcc_lo
	s_wait_storecnt 0x0
	s_barrier_signal -1
	s_barrier_wait -1
	s_delay_alu instid0(VALU_DEP_1) | instskip(NEXT) | instid1(VALU_DEP_1)
	v_cndmask_b32_e64 v2, v2, 0, s0
	v_dual_mov_b32 v54, 0 :: v_dual_add_nc_u32 v3, v2, v55
	s_delay_alu instid0(VALU_DEP_1) | instskip(NEXT) | instid1(VALU_DEP_1)
	v_add_nc_u32_e32 v4, v3, v41
	v_add_nc_u32_e32 v5, v4, v39
	s_delay_alu instid0(VALU_DEP_1) | instskip(NEXT) | instid1(VALU_DEP_1)
	v_add_nc_u32_e32 v6, v5, v37
	v_add_nc_u32_e32 v7, v6, v56
	s_delay_alu instid0(VALU_DEP_1) | instskip(NEXT) | instid1(VALU_DEP_1)
	v_add_nc_u32_e32 v8, v7, v58
	v_add_nc_u32_e32 v9, v8, v57
	s_delay_alu instid0(VALU_DEP_1) | instskip(NEXT) | instid1(VALU_DEP_1)
	v_add_nc_u32_e32 v10, v9, v33
	v_add_nc_u32_e32 v11, v10, v59
	s_delay_alu instid0(VALU_DEP_1) | instskip(NEXT) | instid1(VALU_DEP_1)
	v_add_nc_u32_e32 v12, v11, v61
	v_add_nc_u32_e32 v13, v12, v60
	s_delay_alu instid0(VALU_DEP_1)
	v_add_nc_u32_e32 v14, v13, v29
.LBB256_71:
	v_dual_lshrrev_b32 v55, 16, v35 :: v_dual_lshrrev_b32 v56, 8, v35
	v_dual_add_nc_u32 v23, v16, v23 :: v_dual_sub_nc_u32 v3, v3, v54
	v_dual_sub_nc_u32 v2, v2, v54 :: v_dual_bitop2_b32 v35, 1, v35 bitop3:0x40
	s_delay_alu instid0(VALU_DEP_3) | instskip(NEXT) | instid1(VALU_DEP_4)
	v_dual_sub_nc_u32 v4, v4, v54 :: v_dual_bitop2_b32 v56, 1, v56 bitop3:0x40
	v_and_b32_e32 v55, 1, v55
	s_delay_alu instid0(VALU_DEP_3) | instskip(NEXT) | instid1(VALU_DEP_4)
	v_dual_sub_nc_u32 v57, v23, v3 :: v_dual_sub_nc_u32 v58, v23, v2
	v_cmp_eq_u32_e32 vcc_lo, 1, v35
	s_delay_alu instid0(VALU_DEP_4) | instskip(NEXT) | instid1(VALU_DEP_3)
	v_dual_sub_nc_u32 v5, v5, v54 :: v_dual_sub_nc_u32 v59, v23, v4
	v_dual_add_nc_u32 v57, 1, v57 :: v_dual_sub_nc_u32 v6, v6, v54
	s_delay_alu instid0(VALU_DEP_4) | instskip(SKIP_1) | instid1(VALU_DEP_4)
	v_cndmask_b32_e32 v2, v58, v2, vcc_lo
	v_cmp_eq_u32_e32 vcc_lo, 1, v56
	v_dual_sub_nc_u32 v35, v23, v5 :: v_dual_add_nc_u32 v56, 2, v59
	v_dual_lshrrev_b32 v41, 8, v31 :: v_dual_lshrrev_b32 v39, 16, v31
	v_dual_cndmask_b32 v3, v57, v3, vcc_lo :: v_dual_bitop2_b32 v37, 1, v37 bitop3:0x40
	v_lshlrev_b32_e32 v2, 2, v2
	v_cmp_eq_u32_e32 vcc_lo, 1, v55
	v_add_nc_u32_e32 v35, 3, v35
	s_delay_alu instid0(VALU_DEP_4)
	v_lshlrev_b32_e32 v3, 2, v3
	v_dual_lshrrev_b32 v15, 16, v27 :: v_dual_lshrrev_b32 v17, 8, v27
	v_cndmask_b32_e32 v4, v56, v4, vcc_lo
	v_cmp_eq_u32_e32 vcc_lo, 1, v37
	ds_store_b32 v2, v52
	ds_store_b32 v3, v53
	v_dual_lshlrev_b32 v3, 2, v4 :: v_dual_cndmask_b32 v5, v35, v5, vcc_lo
	s_delay_alu instid0(VALU_DEP_1) | instskip(SKIP_1) | instid1(VALU_DEP_2)
	v_dual_sub_nc_u32 v2, v23, v6 :: v_dual_lshlrev_b32 v4, 2, v5
	v_dual_sub_nc_u32 v5, v7, v54 :: v_dual_bitop2_b32 v7, 1, v31 bitop3:0x40
	v_add_nc_u32_e32 v2, 4, v2
	ds_store_b32 v3, v50
	ds_store_b32 v4, v51
	v_sub_nc_u32_e32 v3, v23, v5
	v_cmp_eq_u32_e32 vcc_lo, 1, v7
	s_delay_alu instid0(VALU_DEP_2) | instskip(SKIP_1) | instid1(VALU_DEP_2)
	v_dual_sub_nc_u32 v4, v8, v54 :: v_dual_add_nc_u32 v3, 5, v3
	v_dual_cndmask_b32 v2, v2, v6, vcc_lo :: v_dual_bitop2_b32 v6, 1, v41 bitop3:0x40
	v_dual_sub_nc_u32 v7, v9, v54 :: v_dual_sub_nc_u32 v8, v23, v4
	s_delay_alu instid0(VALU_DEP_2) | instskip(NEXT) | instid1(VALU_DEP_2)
	v_cmp_eq_u32_e32 vcc_lo, 1, v6
	v_dual_lshlrev_b32 v2, 2, v2 :: v_dual_add_nc_u32 v8, 6, v8
	v_cndmask_b32_e32 v3, v3, v5, vcc_lo
	s_delay_alu instid0(VALU_DEP_4)
	v_sub_nc_u32_e32 v5, v23, v7
	v_and_b32_e32 v6, 1, v39
	ds_store_b32 v2, v48
	v_dual_lshlrev_b32 v3, 2, v3 :: v_dual_add_nc_u32 v5, 7, v5
	v_cmp_eq_u32_e32 vcc_lo, 1, v6
	v_dual_sub_nc_u32 v6, v11, v54 :: v_dual_bitop2_b32 v2, 1, v33 bitop3:0x40
	ds_store_b32 v3, v49
	v_cndmask_b32_e32 v4, v8, v4, vcc_lo
	v_cmp_eq_u32_e32 vcc_lo, 1, v2
	s_delay_alu instid0(VALU_DEP_2)
	v_dual_lshlrev_b32 v4, 2, v4 :: v_dual_cndmask_b32 v2, v5, v7, vcc_lo
	v_dual_sub_nc_u32 v5, v10, v54 :: v_dual_bitop2_b32 v7, 1, v17 bitop3:0x40
	v_sub_nc_u32_e32 v3, v23, v6
	ds_store_b32 v4, v46
	v_dual_sub_nc_u32 v4, v23, v5 :: v_dual_lshlrev_b32 v2, 2, v2
	v_add_nc_u32_e32 v3, 9, v3
	v_cmp_eq_u32_e32 vcc_lo, 1, v7
	s_delay_alu instid0(VALU_DEP_3) | instskip(SKIP_3) | instid1(VALU_DEP_2)
	v_dual_sub_nc_u32 v7, v12, v54 :: v_dual_add_nc_u32 v4, 8, v4
	ds_store_b32 v2, v47
	v_dual_cndmask_b32 v3, v3, v6, vcc_lo :: v_dual_bitop2_b32 v2, 1, v27 bitop3:0x40
	v_dual_sub_nc_u32 v6, v13, v54 :: v_dual_sub_nc_u32 v8, v14, v54
	v_cmp_eq_u32_e32 vcc_lo, 1, v2
	v_dual_cndmask_b32 v2, v4, v5 :: v_dual_sub_nc_u32 v5, v23, v7
	s_delay_alu instid0(VALU_DEP_3) | instskip(SKIP_1) | instid1(VALU_DEP_3)
	v_dual_sub_nc_u32 v4, v23, v6 :: v_dual_sub_nc_u32 v9, v23, v8
	v_and_b32_e32 v10, 1, v15
	v_dual_lshlrev_b32 v2, 2, v2 :: v_dual_bitop2_b32 v12, 1, v25 bitop3:0x40
	s_delay_alu instid0(VALU_DEP_3) | instskip(NEXT) | instid1(VALU_DEP_1)
	v_dual_add_nc_u32 v4, 11, v4 :: v_dual_bitop2_b32 v11, 1, v29 bitop3:0x40
	v_cmp_eq_u32_e32 vcc_lo, 1, v11
	s_delay_alu instid0(VALU_DEP_2) | instskip(SKIP_3) | instid1(VALU_DEP_1)
	v_cndmask_b32_e32 v4, v4, v6, vcc_lo
	v_cmp_eq_u32_e32 vcc_lo, 1, v10
	v_add_nc_u32_e32 v9, 12, v9
	v_add_nc_u32_e32 v5, 10, v5
	v_cndmask_b32_e32 v5, v5, v7, vcc_lo
	v_cmp_eq_u32_e32 vcc_lo, 1, v12
	s_delay_alu instid0(VALU_DEP_2) | instskip(SKIP_3) | instid1(VALU_DEP_3)
	v_dual_lshlrev_b32 v3, 2, v3 :: v_dual_lshlrev_b32 v5, 2, v5
	v_cndmask_b32_e32 v6, v9, v8, vcc_lo
	v_lshlrev_b32_e32 v4, 2, v4
	v_cmp_ne_u32_e32 vcc_lo, 1, v21
	v_lshlrev_b32_e32 v6, 2, v6
	ds_store_b32 v2, v44
	ds_store_b32 v3, v45
	;; [unrolled: 1-line block ×5, first 2 shown]
	s_wait_dscnt 0x0
	s_barrier_signal -1
	s_barrier_wait -1
	ds_load_2addr_stride64_b32 v[14:15], v19 offset1:4
	ds_load_2addr_stride64_b32 v[12:13], v19 offset0:8 offset1:12
	ds_load_2addr_stride64_b32 v[10:11], v19 offset0:16 offset1:20
	;; [unrolled: 1-line block ×5, first 2 shown]
	ds_load_b32 v46, v19 offset:12288
	v_mov_b32_e32 v1, 0
	s_and_b32 vcc_lo, exec_lo, vcc_lo
	s_delay_alu instid0(VALU_DEP_1) | instskip(SKIP_3) | instid1(VALU_DEP_3)
	v_dual_mov_b32 v29, v1 :: v_dual_mov_b32 v55, v1
	v_dual_mov_b32 v41, v1 :: v_dual_mov_b32 v39, v1
	;; [unrolled: 1-line block ×3, first 2 shown]
	s_wait_kmcnt 0x0
	v_add_nc_u64_e32 v[2:3], s[18:19], v[54:55]
	v_dual_mov_b32 v33, v1 :: v_dual_mov_b32 v31, v1
	v_dual_mov_b32 v27, v1 :: v_dual_mov_b32 v25, v1
	;; [unrolled: 1-line block ×3, first 2 shown]
	v_mov_b32_e32 v19, v1
	s_cbranch_vccnz .LBB256_125
; %bb.72:
	v_mov_b32_e32 v17, v1
	s_mov_b32 s11, 0
	v_sub_nc_u64_e64 v[42:43], v[2:3], s[12:13]
	s_sub_nc_u64 s[0:1], s[14:15], s[10:11]
	s_delay_alu instid0(VALU_DEP_2) | instid1(SALU_CYCLE_1)
	v_add_nc_u64_e32 v[44:45], s[0:1], v[16:17]
	s_mov_b32 s0, exec_lo
	s_delay_alu instid0(VALU_DEP_1)
	v_add_nc_u64_e32 v[42:43], v[44:45], v[42:43]
                                        ; implicit-def: $vgpr44_vgpr45
	v_cmpx_ge_u32_e64 v0, v16
	s_xor_b32 s0, exec_lo, s0
; %bb.73:
	v_not_b32_e32 v44, v0
	s_delay_alu instid0(VALU_DEP_1) | instskip(NEXT) | instid1(VALU_DEP_1)
	v_ashrrev_i32_e32 v45, 31, v44
	v_add_nc_u64_e32 v[44:45], v[42:43], v[44:45]
; %bb.74:
	s_and_not1_saveexec_b32 s0, s0
; %bb.75:
	v_add_nc_u64_e32 v[44:45], v[2:3], v[0:1]
; %bb.76:
	s_or_b32 exec_lo, exec_lo, s0
	s_delay_alu instid0(VALU_DEP_1)
	v_lshl_add_u64 v[44:45], v[44:45], 2, s[16:17]
	s_mov_b32 s0, exec_lo
	s_wait_dscnt 0x6
	global_store_b32 v[44:45], v14, off
                                        ; implicit-def: $vgpr44_vgpr45
	s_wait_xcnt 0x0
	v_cmpx_ge_u32_e64 v40, v16
	s_xor_b32 s0, exec_lo, s0
; %bb.77:
	v_xor_b32_e32 v44, 0xfffffeff, v0
	s_delay_alu instid0(VALU_DEP_1) | instskip(NEXT) | instid1(VALU_DEP_1)
	v_ashrrev_i32_e32 v45, 31, v44
	v_add_nc_u64_e32 v[44:45], v[42:43], v[44:45]
; %bb.78:
	s_and_not1_saveexec_b32 s0, s0
; %bb.79:
	v_add_nc_u64_e32 v[44:45], v[2:3], v[40:41]
; %bb.80:
	s_or_b32 exec_lo, exec_lo, s0
	s_delay_alu instid0(VALU_DEP_1)
	v_lshl_add_u64 v[44:45], v[44:45], 2, s[16:17]
	s_mov_b32 s0, exec_lo
	global_store_b32 v[44:45], v15, off
                                        ; implicit-def: $vgpr44_vgpr45
	s_wait_xcnt 0x0
	v_cmpx_ge_u32_e64 v38, v16
	s_xor_b32 s0, exec_lo, s0
; %bb.81:
	v_xor_b32_e32 v44, 0xfffffdff, v0
	s_delay_alu instid0(VALU_DEP_1) | instskip(NEXT) | instid1(VALU_DEP_1)
	v_ashrrev_i32_e32 v45, 31, v44
	v_add_nc_u64_e32 v[44:45], v[42:43], v[44:45]
; %bb.82:
	s_and_not1_saveexec_b32 s0, s0
; %bb.83:
	v_add_nc_u64_e32 v[44:45], v[2:3], v[38:39]
; %bb.84:
	s_or_b32 exec_lo, exec_lo, s0
	s_delay_alu instid0(VALU_DEP_1)
	v_lshl_add_u64 v[44:45], v[44:45], 2, s[16:17]
	s_mov_b32 s0, exec_lo
	s_wait_dscnt 0x5
	global_store_b32 v[44:45], v12, off
                                        ; implicit-def: $vgpr44_vgpr45
	s_wait_xcnt 0x0
	v_cmpx_ge_u32_e64 v36, v16
	s_xor_b32 s0, exec_lo, s0
; %bb.85:
	v_xor_b32_e32 v44, 0xfffffcff, v0
	s_delay_alu instid0(VALU_DEP_1) | instskip(NEXT) | instid1(VALU_DEP_1)
	v_ashrrev_i32_e32 v45, 31, v44
	v_add_nc_u64_e32 v[44:45], v[42:43], v[44:45]
; %bb.86:
	s_and_not1_saveexec_b32 s0, s0
; %bb.87:
	v_add_nc_u64_e32 v[44:45], v[2:3], v[36:37]
; %bb.88:
	s_or_b32 exec_lo, exec_lo, s0
	s_delay_alu instid0(VALU_DEP_1)
	v_lshl_add_u64 v[44:45], v[44:45], 2, s[16:17]
	s_mov_b32 s0, exec_lo
	global_store_b32 v[44:45], v13, off
                                        ; implicit-def: $vgpr44_vgpr45
	s_wait_xcnt 0x0
	v_cmpx_ge_u32_e64 v34, v16
	s_xor_b32 s0, exec_lo, s0
; %bb.89:
	v_xor_b32_e32 v44, 0xfffffbff, v0
	;; [unrolled: 39-line block ×6, first 2 shown]
	s_delay_alu instid0(VALU_DEP_1) | instskip(NEXT) | instid1(VALU_DEP_1)
	v_ashrrev_i32_e32 v45, 31, v44
	v_add_nc_u64_e32 v[44:45], v[42:43], v[44:45]
; %bb.122:
	s_and_not1_saveexec_b32 s0, s0
; %bb.123:
	v_add_nc_u64_e32 v[44:45], v[2:3], v[18:19]
; %bb.124:
	s_or_b32 exec_lo, exec_lo, s0
	s_mov_b32 s0, -1
	s_branch .LBB256_205
.LBB256_125:
	s_mov_b32 s0, 0
                                        ; implicit-def: $vgpr44_vgpr45
	s_cbranch_execz .LBB256_205
; %bb.126:
	s_mov_b32 s11, 0
	v_mov_b32_e32 v17, 0
	s_add_nc_u64 s[2:3], s[12:13], s[10:11]
	s_mov_b32 s1, exec_lo
	s_sub_nc_u64 s[2:3], s[14:15], s[2:3]
	s_delay_alu instid0(VALU_DEP_1) | instid1(SALU_CYCLE_1)
	v_add_nc_u64_e32 v[42:43], s[2:3], v[16:17]
	s_delay_alu instid0(VALU_DEP_1)
	v_add_nc_u64_e32 v[42:43], v[42:43], v[2:3]
	v_cmpx_gt_u32_e64 s23, v0
	s_cbranch_execz .LBB256_162
; %bb.127:
	s_mov_b32 s2, exec_lo
                                        ; implicit-def: $vgpr44_vgpr45
	v_cmpx_ge_u32_e64 v0, v16
	s_xor_b32 s2, exec_lo, s2
; %bb.128:
	v_not_b32_e32 v44, v0
	s_delay_alu instid0(VALU_DEP_1) | instskip(NEXT) | instid1(VALU_DEP_1)
	v_ashrrev_i32_e32 v45, 31, v44
	v_add_nc_u64_e32 v[44:45], v[42:43], v[44:45]
; %bb.129:
	s_and_not1_saveexec_b32 s2, s2
; %bb.130:
	v_add_nc_u64_e32 v[44:45], v[2:3], v[0:1]
; %bb.131:
	s_or_b32 exec_lo, exec_lo, s2
	s_delay_alu instid0(VALU_DEP_1) | instskip(SKIP_4) | instid1(SALU_CYCLE_1)
	v_lshl_add_u64 v[44:45], v[44:45], 2, s[16:17]
	s_wait_dscnt 0x6
	global_store_b32 v[44:45], v14, off
	s_wait_xcnt 0x0
	s_or_b32 exec_lo, exec_lo, s1
	s_mov_b32 s1, exec_lo
	v_cmpx_gt_u32_e64 s23, v40
	s_cbranch_execnz .LBB256_163
.LBB256_132:
	s_or_b32 exec_lo, exec_lo, s1
	s_delay_alu instid0(SALU_CYCLE_1)
	s_mov_b32 s1, exec_lo
	v_cmpx_gt_u32_e64 s23, v38
	s_cbranch_execz .LBB256_168
.LBB256_133:
	s_mov_b32 s2, exec_lo
                                        ; implicit-def: $vgpr14_vgpr15
	v_cmpx_ge_u32_e64 v38, v16
	s_xor_b32 s2, exec_lo, s2
	s_cbranch_execz .LBB256_135
; %bb.134:
	s_wait_dscnt 0x6
	v_xor_b32_e32 v14, 0xfffffdff, v0
                                        ; implicit-def: $vgpr38_vgpr39
	s_delay_alu instid0(VALU_DEP_1) | instskip(NEXT) | instid1(VALU_DEP_1)
	v_ashrrev_i32_e32 v15, 31, v14
	v_add_nc_u64_e32 v[14:15], v[42:43], v[14:15]
.LBB256_135:
	s_and_not1_saveexec_b32 s2, s2
	s_cbranch_execz .LBB256_137
; %bb.136:
	s_wait_dscnt 0x6
	v_add_nc_u64_e32 v[14:15], v[2:3], v[38:39]
.LBB256_137:
	s_or_b32 exec_lo, exec_lo, s2
	s_wait_dscnt 0x6
	s_delay_alu instid0(VALU_DEP_1) | instskip(SKIP_4) | instid1(SALU_CYCLE_1)
	v_lshl_add_u64 v[14:15], v[14:15], 2, s[16:17]
	s_wait_dscnt 0x5
	global_store_b32 v[14:15], v12, off
	s_wait_xcnt 0x0
	s_or_b32 exec_lo, exec_lo, s1
	s_mov_b32 s1, exec_lo
	v_cmpx_gt_u32_e64 s23, v36
	s_cbranch_execnz .LBB256_169
.LBB256_138:
	s_or_b32 exec_lo, exec_lo, s1
	s_delay_alu instid0(SALU_CYCLE_1)
	s_mov_b32 s1, exec_lo
	v_cmpx_gt_u32_e64 s23, v34
	s_cbranch_execz .LBB256_174
.LBB256_139:
	s_mov_b32 s2, exec_lo
                                        ; implicit-def: $vgpr12_vgpr13
	v_cmpx_ge_u32_e64 v34, v16
	s_xor_b32 s2, exec_lo, s2
	s_cbranch_execz .LBB256_141
; %bb.140:
	s_wait_dscnt 0x5
	v_xor_b32_e32 v12, 0xfffffbff, v0
                                        ; implicit-def: $vgpr34_vgpr35
	s_delay_alu instid0(VALU_DEP_1) | instskip(NEXT) | instid1(VALU_DEP_1)
	v_ashrrev_i32_e32 v13, 31, v12
	v_add_nc_u64_e32 v[12:13], v[42:43], v[12:13]
.LBB256_141:
	s_and_not1_saveexec_b32 s2, s2
	s_cbranch_execz .LBB256_143
; %bb.142:
	s_wait_dscnt 0x5
	v_add_nc_u64_e32 v[12:13], v[2:3], v[34:35]
.LBB256_143:
	s_or_b32 exec_lo, exec_lo, s2
	s_wait_dscnt 0x5
	s_delay_alu instid0(VALU_DEP_1) | instskip(SKIP_4) | instid1(SALU_CYCLE_1)
	v_lshl_add_u64 v[12:13], v[12:13], 2, s[16:17]
	s_wait_dscnt 0x4
	global_store_b32 v[12:13], v10, off
	s_wait_xcnt 0x0
	s_or_b32 exec_lo, exec_lo, s1
	s_mov_b32 s1, exec_lo
	v_cmpx_gt_u32_e64 s23, v32
	s_cbranch_execnz .LBB256_175
.LBB256_144:
	s_or_b32 exec_lo, exec_lo, s1
	s_delay_alu instid0(SALU_CYCLE_1)
	s_mov_b32 s1, exec_lo
	v_cmpx_gt_u32_e64 s23, v30
	s_cbranch_execz .LBB256_180
.LBB256_145:
	s_mov_b32 s2, exec_lo
                                        ; implicit-def: $vgpr10_vgpr11
	v_cmpx_ge_u32_e64 v30, v16
	s_xor_b32 s2, exec_lo, s2
	s_cbranch_execz .LBB256_147
; %bb.146:
	s_wait_dscnt 0x4
	v_xor_b32_e32 v10, 0xfffff9ff, v0
                                        ; implicit-def: $vgpr30_vgpr31
	s_delay_alu instid0(VALU_DEP_1) | instskip(NEXT) | instid1(VALU_DEP_1)
	v_ashrrev_i32_e32 v11, 31, v10
	v_add_nc_u64_e32 v[10:11], v[42:43], v[10:11]
.LBB256_147:
	s_and_not1_saveexec_b32 s2, s2
	s_cbranch_execz .LBB256_149
; %bb.148:
	s_wait_dscnt 0x4
	v_add_nc_u64_e32 v[10:11], v[2:3], v[30:31]
.LBB256_149:
	s_or_b32 exec_lo, exec_lo, s2
	s_wait_dscnt 0x4
	s_delay_alu instid0(VALU_DEP_1) | instskip(SKIP_4) | instid1(SALU_CYCLE_1)
	v_lshl_add_u64 v[10:11], v[10:11], 2, s[16:17]
	s_wait_dscnt 0x3
	global_store_b32 v[10:11], v8, off
	s_wait_xcnt 0x0
	s_or_b32 exec_lo, exec_lo, s1
	s_mov_b32 s1, exec_lo
	v_cmpx_gt_u32_e64 s23, v28
	s_cbranch_execnz .LBB256_181
.LBB256_150:
	s_or_b32 exec_lo, exec_lo, s1
	s_delay_alu instid0(SALU_CYCLE_1)
	s_mov_b32 s1, exec_lo
	v_cmpx_gt_u32_e64 s23, v26
	s_cbranch_execz .LBB256_186
.LBB256_151:
	s_mov_b32 s2, exec_lo
                                        ; implicit-def: $vgpr8_vgpr9
	v_cmpx_ge_u32_e64 v26, v16
	s_xor_b32 s2, exec_lo, s2
	s_cbranch_execz .LBB256_153
; %bb.152:
	s_wait_dscnt 0x3
	v_xor_b32_e32 v8, 0xfffff7ff, v0
                                        ; implicit-def: $vgpr26_vgpr27
	s_delay_alu instid0(VALU_DEP_1) | instskip(NEXT) | instid1(VALU_DEP_1)
	v_ashrrev_i32_e32 v9, 31, v8
	v_add_nc_u64_e32 v[8:9], v[42:43], v[8:9]
.LBB256_153:
	s_and_not1_saveexec_b32 s2, s2
	s_cbranch_execz .LBB256_155
; %bb.154:
	s_wait_dscnt 0x3
	v_add_nc_u64_e32 v[8:9], v[2:3], v[26:27]
.LBB256_155:
	s_or_b32 exec_lo, exec_lo, s2
	s_wait_dscnt 0x3
	s_delay_alu instid0(VALU_DEP_1) | instskip(SKIP_4) | instid1(SALU_CYCLE_1)
	v_lshl_add_u64 v[8:9], v[8:9], 2, s[16:17]
	s_wait_dscnt 0x2
	global_store_b32 v[8:9], v6, off
	s_wait_xcnt 0x0
	s_or_b32 exec_lo, exec_lo, s1
	s_mov_b32 s1, exec_lo
	v_cmpx_gt_u32_e64 s23, v24
	s_cbranch_execnz .LBB256_187
.LBB256_156:
	s_or_b32 exec_lo, exec_lo, s1
	s_delay_alu instid0(SALU_CYCLE_1)
	s_mov_b32 s1, exec_lo
	v_cmpx_gt_u32_e64 s23, v22
	s_cbranch_execz .LBB256_192
.LBB256_157:
	s_mov_b32 s2, exec_lo
                                        ; implicit-def: $vgpr6_vgpr7
	v_cmpx_ge_u32_e64 v22, v16
	s_xor_b32 s2, exec_lo, s2
	s_cbranch_execz .LBB256_159
; %bb.158:
	s_wait_dscnt 0x2
	v_xor_b32_e32 v6, 0xfffff5ff, v0
                                        ; implicit-def: $vgpr22_vgpr23
	s_delay_alu instid0(VALU_DEP_1) | instskip(NEXT) | instid1(VALU_DEP_1)
	v_ashrrev_i32_e32 v7, 31, v6
	v_add_nc_u64_e32 v[6:7], v[42:43], v[6:7]
.LBB256_159:
	s_and_not1_saveexec_b32 s2, s2
	s_cbranch_execz .LBB256_161
; %bb.160:
	s_wait_dscnt 0x2
	v_add_nc_u64_e32 v[6:7], v[2:3], v[22:23]
.LBB256_161:
	s_or_b32 exec_lo, exec_lo, s2
	s_wait_dscnt 0x2
	s_delay_alu instid0(VALU_DEP_1) | instskip(SKIP_4) | instid1(SALU_CYCLE_1)
	v_lshl_add_u64 v[6:7], v[6:7], 2, s[16:17]
	s_wait_dscnt 0x1
	global_store_b32 v[6:7], v4, off
	s_wait_xcnt 0x0
	s_or_b32 exec_lo, exec_lo, s1
	s_mov_b32 s1, exec_lo
	v_cmpx_gt_u32_e64 s23, v20
	s_cbranch_execz .LBB256_198
	s_branch .LBB256_193
.LBB256_162:
	s_or_b32 exec_lo, exec_lo, s1
	s_delay_alu instid0(SALU_CYCLE_1)
	s_mov_b32 s1, exec_lo
	v_cmpx_gt_u32_e64 s23, v40
	s_cbranch_execz .LBB256_132
.LBB256_163:
	s_mov_b32 s2, exec_lo
                                        ; implicit-def: $vgpr44_vgpr45
	v_cmpx_ge_u32_e64 v40, v16
	s_xor_b32 s2, exec_lo, s2
; %bb.164:
	v_xor_b32_e32 v40, 0xfffffeff, v0
	s_delay_alu instid0(VALU_DEP_1) | instskip(NEXT) | instid1(VALU_DEP_1)
	v_ashrrev_i32_e32 v41, 31, v40
	v_add_nc_u64_e32 v[44:45], v[42:43], v[40:41]
                                        ; implicit-def: $vgpr40_vgpr41
; %bb.165:
	s_and_not1_saveexec_b32 s2, s2
; %bb.166:
	v_add_nc_u64_e32 v[44:45], v[2:3], v[40:41]
; %bb.167:
	s_or_b32 exec_lo, exec_lo, s2
	s_delay_alu instid0(VALU_DEP_1) | instskip(SKIP_4) | instid1(SALU_CYCLE_1)
	v_lshl_add_u64 v[40:41], v[44:45], 2, s[16:17]
	s_wait_dscnt 0x6
	global_store_b32 v[40:41], v15, off
	s_wait_xcnt 0x0
	s_or_b32 exec_lo, exec_lo, s1
	s_mov_b32 s1, exec_lo
	v_cmpx_gt_u32_e64 s23, v38
	s_cbranch_execnz .LBB256_133
.LBB256_168:
	s_or_b32 exec_lo, exec_lo, s1
	s_delay_alu instid0(SALU_CYCLE_1)
	s_mov_b32 s1, exec_lo
	v_cmpx_gt_u32_e64 s23, v36
	s_cbranch_execz .LBB256_138
.LBB256_169:
	s_mov_b32 s2, exec_lo
                                        ; implicit-def: $vgpr14_vgpr15
	v_cmpx_ge_u32_e64 v36, v16
	s_xor_b32 s2, exec_lo, s2
	s_cbranch_execz .LBB256_171
; %bb.170:
	s_wait_dscnt 0x6
	v_xor_b32_e32 v14, 0xfffffcff, v0
                                        ; implicit-def: $vgpr36_vgpr37
	s_delay_alu instid0(VALU_DEP_1) | instskip(NEXT) | instid1(VALU_DEP_1)
	v_ashrrev_i32_e32 v15, 31, v14
	v_add_nc_u64_e32 v[14:15], v[42:43], v[14:15]
.LBB256_171:
	s_and_not1_saveexec_b32 s2, s2
	s_cbranch_execz .LBB256_173
; %bb.172:
	s_wait_dscnt 0x6
	v_add_nc_u64_e32 v[14:15], v[2:3], v[36:37]
.LBB256_173:
	s_or_b32 exec_lo, exec_lo, s2
	s_wait_dscnt 0x6
	s_delay_alu instid0(VALU_DEP_1) | instskip(SKIP_4) | instid1(SALU_CYCLE_1)
	v_lshl_add_u64 v[14:15], v[14:15], 2, s[16:17]
	s_wait_dscnt 0x5
	global_store_b32 v[14:15], v13, off
	s_wait_xcnt 0x0
	s_or_b32 exec_lo, exec_lo, s1
	s_mov_b32 s1, exec_lo
	v_cmpx_gt_u32_e64 s23, v34
	s_cbranch_execnz .LBB256_139
.LBB256_174:
	s_or_b32 exec_lo, exec_lo, s1
	s_delay_alu instid0(SALU_CYCLE_1)
	s_mov_b32 s1, exec_lo
	v_cmpx_gt_u32_e64 s23, v32
	s_cbranch_execz .LBB256_144
.LBB256_175:
	s_mov_b32 s2, exec_lo
                                        ; implicit-def: $vgpr12_vgpr13
	v_cmpx_ge_u32_e64 v32, v16
	s_xor_b32 s2, exec_lo, s2
	s_cbranch_execz .LBB256_177
; %bb.176:
	s_wait_dscnt 0x5
	v_xor_b32_e32 v12, 0xfffffaff, v0
                                        ; implicit-def: $vgpr32_vgpr33
	s_delay_alu instid0(VALU_DEP_1) | instskip(NEXT) | instid1(VALU_DEP_1)
	v_ashrrev_i32_e32 v13, 31, v12
	v_add_nc_u64_e32 v[12:13], v[42:43], v[12:13]
.LBB256_177:
	s_and_not1_saveexec_b32 s2, s2
	s_cbranch_execz .LBB256_179
; %bb.178:
	s_wait_dscnt 0x5
	v_add_nc_u64_e32 v[12:13], v[2:3], v[32:33]
.LBB256_179:
	s_or_b32 exec_lo, exec_lo, s2
	s_wait_dscnt 0x5
	s_delay_alu instid0(VALU_DEP_1) | instskip(SKIP_4) | instid1(SALU_CYCLE_1)
	v_lshl_add_u64 v[12:13], v[12:13], 2, s[16:17]
	s_wait_dscnt 0x4
	global_store_b32 v[12:13], v11, off
	s_wait_xcnt 0x0
	s_or_b32 exec_lo, exec_lo, s1
	s_mov_b32 s1, exec_lo
	v_cmpx_gt_u32_e64 s23, v30
	s_cbranch_execnz .LBB256_145
.LBB256_180:
	s_or_b32 exec_lo, exec_lo, s1
	s_delay_alu instid0(SALU_CYCLE_1)
	s_mov_b32 s1, exec_lo
	v_cmpx_gt_u32_e64 s23, v28
	s_cbranch_execz .LBB256_150
.LBB256_181:
	s_mov_b32 s2, exec_lo
                                        ; implicit-def: $vgpr10_vgpr11
	v_cmpx_ge_u32_e64 v28, v16
	s_xor_b32 s2, exec_lo, s2
	s_cbranch_execz .LBB256_183
; %bb.182:
	s_wait_dscnt 0x4
	v_xor_b32_e32 v10, 0xfffff8ff, v0
                                        ; implicit-def: $vgpr28_vgpr29
	s_delay_alu instid0(VALU_DEP_1) | instskip(NEXT) | instid1(VALU_DEP_1)
	v_ashrrev_i32_e32 v11, 31, v10
	v_add_nc_u64_e32 v[10:11], v[42:43], v[10:11]
.LBB256_183:
	s_and_not1_saveexec_b32 s2, s2
	s_cbranch_execz .LBB256_185
; %bb.184:
	s_wait_dscnt 0x4
	v_add_nc_u64_e32 v[10:11], v[2:3], v[28:29]
.LBB256_185:
	s_or_b32 exec_lo, exec_lo, s2
	s_wait_dscnt 0x4
	s_delay_alu instid0(VALU_DEP_1) | instskip(SKIP_4) | instid1(SALU_CYCLE_1)
	v_lshl_add_u64 v[10:11], v[10:11], 2, s[16:17]
	s_wait_dscnt 0x3
	global_store_b32 v[10:11], v9, off
	s_wait_xcnt 0x0
	s_or_b32 exec_lo, exec_lo, s1
	s_mov_b32 s1, exec_lo
	v_cmpx_gt_u32_e64 s23, v26
	s_cbranch_execnz .LBB256_151
.LBB256_186:
	s_or_b32 exec_lo, exec_lo, s1
	s_delay_alu instid0(SALU_CYCLE_1)
	s_mov_b32 s1, exec_lo
	v_cmpx_gt_u32_e64 s23, v24
	s_cbranch_execz .LBB256_156
.LBB256_187:
	s_mov_b32 s2, exec_lo
                                        ; implicit-def: $vgpr8_vgpr9
	v_cmpx_ge_u32_e64 v24, v16
	s_xor_b32 s2, exec_lo, s2
	s_cbranch_execz .LBB256_189
; %bb.188:
	s_wait_dscnt 0x3
	v_xor_b32_e32 v8, 0xfffff6ff, v0
                                        ; implicit-def: $vgpr24_vgpr25
	s_delay_alu instid0(VALU_DEP_1) | instskip(NEXT) | instid1(VALU_DEP_1)
	v_ashrrev_i32_e32 v9, 31, v8
	v_add_nc_u64_e32 v[8:9], v[42:43], v[8:9]
.LBB256_189:
	s_and_not1_saveexec_b32 s2, s2
	s_cbranch_execz .LBB256_191
; %bb.190:
	s_wait_dscnt 0x3
	v_add_nc_u64_e32 v[8:9], v[2:3], v[24:25]
.LBB256_191:
	s_or_b32 exec_lo, exec_lo, s2
	s_wait_dscnt 0x3
	s_delay_alu instid0(VALU_DEP_1) | instskip(SKIP_4) | instid1(SALU_CYCLE_1)
	v_lshl_add_u64 v[8:9], v[8:9], 2, s[16:17]
	s_wait_dscnt 0x2
	global_store_b32 v[8:9], v7, off
	s_wait_xcnt 0x0
	s_or_b32 exec_lo, exec_lo, s1
	s_mov_b32 s1, exec_lo
	v_cmpx_gt_u32_e64 s23, v22
	s_cbranch_execnz .LBB256_157
.LBB256_192:
	s_or_b32 exec_lo, exec_lo, s1
	s_delay_alu instid0(SALU_CYCLE_1)
	s_mov_b32 s1, exec_lo
	v_cmpx_gt_u32_e64 s23, v20
	s_cbranch_execz .LBB256_198
.LBB256_193:
	s_mov_b32 s2, exec_lo
                                        ; implicit-def: $vgpr6_vgpr7
	v_cmpx_ge_u32_e64 v20, v16
	s_xor_b32 s2, exec_lo, s2
	s_cbranch_execz .LBB256_195
; %bb.194:
	s_wait_dscnt 0x2
	v_xor_b32_e32 v6, 0xfffff4ff, v0
                                        ; implicit-def: $vgpr20_vgpr21
	s_delay_alu instid0(VALU_DEP_1) | instskip(NEXT) | instid1(VALU_DEP_1)
	v_ashrrev_i32_e32 v7, 31, v6
	v_add_nc_u64_e32 v[6:7], v[42:43], v[6:7]
.LBB256_195:
	s_and_not1_saveexec_b32 s2, s2
	s_cbranch_execz .LBB256_197
; %bb.196:
	s_wait_dscnt 0x2
	v_add_nc_u64_e32 v[6:7], v[2:3], v[20:21]
.LBB256_197:
	s_or_b32 exec_lo, exec_lo, s2
	s_wait_dscnt 0x2
	s_delay_alu instid0(VALU_DEP_1)
	v_lshl_add_u64 v[6:7], v[6:7], 2, s[16:17]
	s_wait_dscnt 0x1
	global_store_b32 v[6:7], v5, off
.LBB256_198:
	s_wait_xcnt 0x0
	s_or_b32 exec_lo, exec_lo, s1
	s_delay_alu instid0(SALU_CYCLE_1)
	s_mov_b32 s1, exec_lo
                                        ; implicit-def: $vgpr44_vgpr45
	v_cmpx_gt_u32_e64 s23, v18
	s_cbranch_execz .LBB256_204
; %bb.199:
	s_mov_b32 s2, exec_lo
                                        ; implicit-def: $vgpr44_vgpr45
	v_cmpx_ge_u32_e64 v18, v16
	s_xor_b32 s2, exec_lo, s2
	s_cbranch_execz .LBB256_201
; %bb.200:
	s_wait_dscnt 0x1
	v_xor_b32_e32 v4, 0xfffff3ff, v0
                                        ; implicit-def: $vgpr18_vgpr19
	s_delay_alu instid0(VALU_DEP_1) | instskip(NEXT) | instid1(VALU_DEP_1)
	v_ashrrev_i32_e32 v5, 31, v4
	v_add_nc_u64_e32 v[44:45], v[42:43], v[4:5]
.LBB256_201:
	s_and_not1_saveexec_b32 s2, s2
; %bb.202:
	v_add_nc_u64_e32 v[44:45], v[2:3], v[18:19]
; %bb.203:
	s_or_b32 exec_lo, exec_lo, s2
	s_delay_alu instid0(SALU_CYCLE_1)
	s_or_b32 s0, s0, exec_lo
.LBB256_204:
	s_or_b32 exec_lo, exec_lo, s1
.LBB256_205:
	s_and_saveexec_b32 s1, s0
	s_cbranch_execz .LBB256_207
; %bb.206:
	s_wait_dscnt 0x1
	v_lshl_add_u64 v[4:5], v[44:45], 2, s[16:17]
	s_wait_dscnt 0x0
	global_store_b32 v[4:5], v46, off
.LBB256_207:
	s_wait_xcnt 0x0
	s_or_b32 exec_lo, exec_lo, s1
	v_cmp_eq_u32_e32 vcc_lo, 0, v0
	s_and_b32 s0, vcc_lo, s22
	s_delay_alu instid0(SALU_CYCLE_1)
	s_and_saveexec_b32 s1, s0
	s_cbranch_execz .LBB256_209
; %bb.208:
	v_mov_b32_e32 v17, 0
	s_delay_alu instid0(VALU_DEP_1)
	v_add_nc_u64_e32 v[0:1], v[2:3], v[16:17]
	global_store_b64 v17, v[0:1], s[8:9]
.LBB256_209:
	s_sendmsg sendmsg(MSG_DEALLOC_VGPRS)
	s_endpgm
	.section	.rodata,"a",@progbits
	.p2align	6, 0x0
	.amdhsa_kernel _ZN7rocprim17ROCPRIM_400000_NS6detail17trampoline_kernelINS0_13select_configILj256ELj13ELNS0_17block_load_methodE3ELS4_3ELS4_3ELNS0_20block_scan_algorithmE0ELj4294967295EEENS1_25partition_config_selectorILNS1_17partition_subalgoE3EjNS0_10empty_typeEbEEZZNS1_14partition_implILS8_3ELb0ES6_jNS0_17counting_iteratorIjlEEPS9_SE_NS0_5tupleIJPjSE_EEENSF_IJSE_SE_EEES9_SG_JZNS1_25segmented_radix_sort_implINS0_14default_configELb1EPKaPaPKlPlN2at6native12_GLOBAL__N_18offset_tEEE10hipError_tPvRmT1_PNSt15iterator_traitsISY_E10value_typeET2_T3_PNSZ_IS14_E10value_typeET4_jRbjT5_S1A_jjP12ihipStream_tbEUljE_EEESV_SW_SX_S14_S18_S1A_T6_T7_T9_mT8_S1C_bDpT10_ENKUlT_T0_E_clISt17integral_constantIbLb0EES1P_EEDaS1K_S1L_EUlS1K_E_NS1_11comp_targetILNS1_3genE0ELNS1_11target_archE4294967295ELNS1_3gpuE0ELNS1_3repE0EEENS1_30default_config_static_selectorELNS0_4arch9wavefront6targetE0EEEvSY_
		.amdhsa_group_segment_fixed_size 13320
		.amdhsa_private_segment_fixed_size 0
		.amdhsa_kernarg_size 144
		.amdhsa_user_sgpr_count 2
		.amdhsa_user_sgpr_dispatch_ptr 0
		.amdhsa_user_sgpr_queue_ptr 0
		.amdhsa_user_sgpr_kernarg_segment_ptr 1
		.amdhsa_user_sgpr_dispatch_id 0
		.amdhsa_user_sgpr_kernarg_preload_length 0
		.amdhsa_user_sgpr_kernarg_preload_offset 0
		.amdhsa_user_sgpr_private_segment_size 0
		.amdhsa_wavefront_size32 1
		.amdhsa_uses_dynamic_stack 0
		.amdhsa_enable_private_segment 0
		.amdhsa_system_sgpr_workgroup_id_x 1
		.amdhsa_system_sgpr_workgroup_id_y 0
		.amdhsa_system_sgpr_workgroup_id_z 0
		.amdhsa_system_sgpr_workgroup_info 0
		.amdhsa_system_vgpr_workitem_id 0
		.amdhsa_next_free_vgpr 69
		.amdhsa_next_free_sgpr 26
		.amdhsa_named_barrier_count 0
		.amdhsa_reserve_vcc 1
		.amdhsa_float_round_mode_32 0
		.amdhsa_float_round_mode_16_64 0
		.amdhsa_float_denorm_mode_32 3
		.amdhsa_float_denorm_mode_16_64 3
		.amdhsa_fp16_overflow 0
		.amdhsa_memory_ordered 1
		.amdhsa_forward_progress 1
		.amdhsa_inst_pref_size 70
		.amdhsa_round_robin_scheduling 0
		.amdhsa_exception_fp_ieee_invalid_op 0
		.amdhsa_exception_fp_denorm_src 0
		.amdhsa_exception_fp_ieee_div_zero 0
		.amdhsa_exception_fp_ieee_overflow 0
		.amdhsa_exception_fp_ieee_underflow 0
		.amdhsa_exception_fp_ieee_inexact 0
		.amdhsa_exception_int_div_zero 0
	.end_amdhsa_kernel
	.section	.text._ZN7rocprim17ROCPRIM_400000_NS6detail17trampoline_kernelINS0_13select_configILj256ELj13ELNS0_17block_load_methodE3ELS4_3ELS4_3ELNS0_20block_scan_algorithmE0ELj4294967295EEENS1_25partition_config_selectorILNS1_17partition_subalgoE3EjNS0_10empty_typeEbEEZZNS1_14partition_implILS8_3ELb0ES6_jNS0_17counting_iteratorIjlEEPS9_SE_NS0_5tupleIJPjSE_EEENSF_IJSE_SE_EEES9_SG_JZNS1_25segmented_radix_sort_implINS0_14default_configELb1EPKaPaPKlPlN2at6native12_GLOBAL__N_18offset_tEEE10hipError_tPvRmT1_PNSt15iterator_traitsISY_E10value_typeET2_T3_PNSZ_IS14_E10value_typeET4_jRbjT5_S1A_jjP12ihipStream_tbEUljE_EEESV_SW_SX_S14_S18_S1A_T6_T7_T9_mT8_S1C_bDpT10_ENKUlT_T0_E_clISt17integral_constantIbLb0EES1P_EEDaS1K_S1L_EUlS1K_E_NS1_11comp_targetILNS1_3genE0ELNS1_11target_archE4294967295ELNS1_3gpuE0ELNS1_3repE0EEENS1_30default_config_static_selectorELNS0_4arch9wavefront6targetE0EEEvSY_,"axG",@progbits,_ZN7rocprim17ROCPRIM_400000_NS6detail17trampoline_kernelINS0_13select_configILj256ELj13ELNS0_17block_load_methodE3ELS4_3ELS4_3ELNS0_20block_scan_algorithmE0ELj4294967295EEENS1_25partition_config_selectorILNS1_17partition_subalgoE3EjNS0_10empty_typeEbEEZZNS1_14partition_implILS8_3ELb0ES6_jNS0_17counting_iteratorIjlEEPS9_SE_NS0_5tupleIJPjSE_EEENSF_IJSE_SE_EEES9_SG_JZNS1_25segmented_radix_sort_implINS0_14default_configELb1EPKaPaPKlPlN2at6native12_GLOBAL__N_18offset_tEEE10hipError_tPvRmT1_PNSt15iterator_traitsISY_E10value_typeET2_T3_PNSZ_IS14_E10value_typeET4_jRbjT5_S1A_jjP12ihipStream_tbEUljE_EEESV_SW_SX_S14_S18_S1A_T6_T7_T9_mT8_S1C_bDpT10_ENKUlT_T0_E_clISt17integral_constantIbLb0EES1P_EEDaS1K_S1L_EUlS1K_E_NS1_11comp_targetILNS1_3genE0ELNS1_11target_archE4294967295ELNS1_3gpuE0ELNS1_3repE0EEENS1_30default_config_static_selectorELNS0_4arch9wavefront6targetE0EEEvSY_,comdat
.Lfunc_end256:
	.size	_ZN7rocprim17ROCPRIM_400000_NS6detail17trampoline_kernelINS0_13select_configILj256ELj13ELNS0_17block_load_methodE3ELS4_3ELS4_3ELNS0_20block_scan_algorithmE0ELj4294967295EEENS1_25partition_config_selectorILNS1_17partition_subalgoE3EjNS0_10empty_typeEbEEZZNS1_14partition_implILS8_3ELb0ES6_jNS0_17counting_iteratorIjlEEPS9_SE_NS0_5tupleIJPjSE_EEENSF_IJSE_SE_EEES9_SG_JZNS1_25segmented_radix_sort_implINS0_14default_configELb1EPKaPaPKlPlN2at6native12_GLOBAL__N_18offset_tEEE10hipError_tPvRmT1_PNSt15iterator_traitsISY_E10value_typeET2_T3_PNSZ_IS14_E10value_typeET4_jRbjT5_S1A_jjP12ihipStream_tbEUljE_EEESV_SW_SX_S14_S18_S1A_T6_T7_T9_mT8_S1C_bDpT10_ENKUlT_T0_E_clISt17integral_constantIbLb0EES1P_EEDaS1K_S1L_EUlS1K_E_NS1_11comp_targetILNS1_3genE0ELNS1_11target_archE4294967295ELNS1_3gpuE0ELNS1_3repE0EEENS1_30default_config_static_selectorELNS0_4arch9wavefront6targetE0EEEvSY_, .Lfunc_end256-_ZN7rocprim17ROCPRIM_400000_NS6detail17trampoline_kernelINS0_13select_configILj256ELj13ELNS0_17block_load_methodE3ELS4_3ELS4_3ELNS0_20block_scan_algorithmE0ELj4294967295EEENS1_25partition_config_selectorILNS1_17partition_subalgoE3EjNS0_10empty_typeEbEEZZNS1_14partition_implILS8_3ELb0ES6_jNS0_17counting_iteratorIjlEEPS9_SE_NS0_5tupleIJPjSE_EEENSF_IJSE_SE_EEES9_SG_JZNS1_25segmented_radix_sort_implINS0_14default_configELb1EPKaPaPKlPlN2at6native12_GLOBAL__N_18offset_tEEE10hipError_tPvRmT1_PNSt15iterator_traitsISY_E10value_typeET2_T3_PNSZ_IS14_E10value_typeET4_jRbjT5_S1A_jjP12ihipStream_tbEUljE_EEESV_SW_SX_S14_S18_S1A_T6_T7_T9_mT8_S1C_bDpT10_ENKUlT_T0_E_clISt17integral_constantIbLb0EES1P_EEDaS1K_S1L_EUlS1K_E_NS1_11comp_targetILNS1_3genE0ELNS1_11target_archE4294967295ELNS1_3gpuE0ELNS1_3repE0EEENS1_30default_config_static_selectorELNS0_4arch9wavefront6targetE0EEEvSY_
                                        ; -- End function
	.set _ZN7rocprim17ROCPRIM_400000_NS6detail17trampoline_kernelINS0_13select_configILj256ELj13ELNS0_17block_load_methodE3ELS4_3ELS4_3ELNS0_20block_scan_algorithmE0ELj4294967295EEENS1_25partition_config_selectorILNS1_17partition_subalgoE3EjNS0_10empty_typeEbEEZZNS1_14partition_implILS8_3ELb0ES6_jNS0_17counting_iteratorIjlEEPS9_SE_NS0_5tupleIJPjSE_EEENSF_IJSE_SE_EEES9_SG_JZNS1_25segmented_radix_sort_implINS0_14default_configELb1EPKaPaPKlPlN2at6native12_GLOBAL__N_18offset_tEEE10hipError_tPvRmT1_PNSt15iterator_traitsISY_E10value_typeET2_T3_PNSZ_IS14_E10value_typeET4_jRbjT5_S1A_jjP12ihipStream_tbEUljE_EEESV_SW_SX_S14_S18_S1A_T6_T7_T9_mT8_S1C_bDpT10_ENKUlT_T0_E_clISt17integral_constantIbLb0EES1P_EEDaS1K_S1L_EUlS1K_E_NS1_11comp_targetILNS1_3genE0ELNS1_11target_archE4294967295ELNS1_3gpuE0ELNS1_3repE0EEENS1_30default_config_static_selectorELNS0_4arch9wavefront6targetE0EEEvSY_.num_vgpr, 69
	.set _ZN7rocprim17ROCPRIM_400000_NS6detail17trampoline_kernelINS0_13select_configILj256ELj13ELNS0_17block_load_methodE3ELS4_3ELS4_3ELNS0_20block_scan_algorithmE0ELj4294967295EEENS1_25partition_config_selectorILNS1_17partition_subalgoE3EjNS0_10empty_typeEbEEZZNS1_14partition_implILS8_3ELb0ES6_jNS0_17counting_iteratorIjlEEPS9_SE_NS0_5tupleIJPjSE_EEENSF_IJSE_SE_EEES9_SG_JZNS1_25segmented_radix_sort_implINS0_14default_configELb1EPKaPaPKlPlN2at6native12_GLOBAL__N_18offset_tEEE10hipError_tPvRmT1_PNSt15iterator_traitsISY_E10value_typeET2_T3_PNSZ_IS14_E10value_typeET4_jRbjT5_S1A_jjP12ihipStream_tbEUljE_EEESV_SW_SX_S14_S18_S1A_T6_T7_T9_mT8_S1C_bDpT10_ENKUlT_T0_E_clISt17integral_constantIbLb0EES1P_EEDaS1K_S1L_EUlS1K_E_NS1_11comp_targetILNS1_3genE0ELNS1_11target_archE4294967295ELNS1_3gpuE0ELNS1_3repE0EEENS1_30default_config_static_selectorELNS0_4arch9wavefront6targetE0EEEvSY_.num_agpr, 0
	.set _ZN7rocprim17ROCPRIM_400000_NS6detail17trampoline_kernelINS0_13select_configILj256ELj13ELNS0_17block_load_methodE3ELS4_3ELS4_3ELNS0_20block_scan_algorithmE0ELj4294967295EEENS1_25partition_config_selectorILNS1_17partition_subalgoE3EjNS0_10empty_typeEbEEZZNS1_14partition_implILS8_3ELb0ES6_jNS0_17counting_iteratorIjlEEPS9_SE_NS0_5tupleIJPjSE_EEENSF_IJSE_SE_EEES9_SG_JZNS1_25segmented_radix_sort_implINS0_14default_configELb1EPKaPaPKlPlN2at6native12_GLOBAL__N_18offset_tEEE10hipError_tPvRmT1_PNSt15iterator_traitsISY_E10value_typeET2_T3_PNSZ_IS14_E10value_typeET4_jRbjT5_S1A_jjP12ihipStream_tbEUljE_EEESV_SW_SX_S14_S18_S1A_T6_T7_T9_mT8_S1C_bDpT10_ENKUlT_T0_E_clISt17integral_constantIbLb0EES1P_EEDaS1K_S1L_EUlS1K_E_NS1_11comp_targetILNS1_3genE0ELNS1_11target_archE4294967295ELNS1_3gpuE0ELNS1_3repE0EEENS1_30default_config_static_selectorELNS0_4arch9wavefront6targetE0EEEvSY_.numbered_sgpr, 26
	.set _ZN7rocprim17ROCPRIM_400000_NS6detail17trampoline_kernelINS0_13select_configILj256ELj13ELNS0_17block_load_methodE3ELS4_3ELS4_3ELNS0_20block_scan_algorithmE0ELj4294967295EEENS1_25partition_config_selectorILNS1_17partition_subalgoE3EjNS0_10empty_typeEbEEZZNS1_14partition_implILS8_3ELb0ES6_jNS0_17counting_iteratorIjlEEPS9_SE_NS0_5tupleIJPjSE_EEENSF_IJSE_SE_EEES9_SG_JZNS1_25segmented_radix_sort_implINS0_14default_configELb1EPKaPaPKlPlN2at6native12_GLOBAL__N_18offset_tEEE10hipError_tPvRmT1_PNSt15iterator_traitsISY_E10value_typeET2_T3_PNSZ_IS14_E10value_typeET4_jRbjT5_S1A_jjP12ihipStream_tbEUljE_EEESV_SW_SX_S14_S18_S1A_T6_T7_T9_mT8_S1C_bDpT10_ENKUlT_T0_E_clISt17integral_constantIbLb0EES1P_EEDaS1K_S1L_EUlS1K_E_NS1_11comp_targetILNS1_3genE0ELNS1_11target_archE4294967295ELNS1_3gpuE0ELNS1_3repE0EEENS1_30default_config_static_selectorELNS0_4arch9wavefront6targetE0EEEvSY_.num_named_barrier, 0
	.set _ZN7rocprim17ROCPRIM_400000_NS6detail17trampoline_kernelINS0_13select_configILj256ELj13ELNS0_17block_load_methodE3ELS4_3ELS4_3ELNS0_20block_scan_algorithmE0ELj4294967295EEENS1_25partition_config_selectorILNS1_17partition_subalgoE3EjNS0_10empty_typeEbEEZZNS1_14partition_implILS8_3ELb0ES6_jNS0_17counting_iteratorIjlEEPS9_SE_NS0_5tupleIJPjSE_EEENSF_IJSE_SE_EEES9_SG_JZNS1_25segmented_radix_sort_implINS0_14default_configELb1EPKaPaPKlPlN2at6native12_GLOBAL__N_18offset_tEEE10hipError_tPvRmT1_PNSt15iterator_traitsISY_E10value_typeET2_T3_PNSZ_IS14_E10value_typeET4_jRbjT5_S1A_jjP12ihipStream_tbEUljE_EEESV_SW_SX_S14_S18_S1A_T6_T7_T9_mT8_S1C_bDpT10_ENKUlT_T0_E_clISt17integral_constantIbLb0EES1P_EEDaS1K_S1L_EUlS1K_E_NS1_11comp_targetILNS1_3genE0ELNS1_11target_archE4294967295ELNS1_3gpuE0ELNS1_3repE0EEENS1_30default_config_static_selectorELNS0_4arch9wavefront6targetE0EEEvSY_.private_seg_size, 0
	.set _ZN7rocprim17ROCPRIM_400000_NS6detail17trampoline_kernelINS0_13select_configILj256ELj13ELNS0_17block_load_methodE3ELS4_3ELS4_3ELNS0_20block_scan_algorithmE0ELj4294967295EEENS1_25partition_config_selectorILNS1_17partition_subalgoE3EjNS0_10empty_typeEbEEZZNS1_14partition_implILS8_3ELb0ES6_jNS0_17counting_iteratorIjlEEPS9_SE_NS0_5tupleIJPjSE_EEENSF_IJSE_SE_EEES9_SG_JZNS1_25segmented_radix_sort_implINS0_14default_configELb1EPKaPaPKlPlN2at6native12_GLOBAL__N_18offset_tEEE10hipError_tPvRmT1_PNSt15iterator_traitsISY_E10value_typeET2_T3_PNSZ_IS14_E10value_typeET4_jRbjT5_S1A_jjP12ihipStream_tbEUljE_EEESV_SW_SX_S14_S18_S1A_T6_T7_T9_mT8_S1C_bDpT10_ENKUlT_T0_E_clISt17integral_constantIbLb0EES1P_EEDaS1K_S1L_EUlS1K_E_NS1_11comp_targetILNS1_3genE0ELNS1_11target_archE4294967295ELNS1_3gpuE0ELNS1_3repE0EEENS1_30default_config_static_selectorELNS0_4arch9wavefront6targetE0EEEvSY_.uses_vcc, 1
	.set _ZN7rocprim17ROCPRIM_400000_NS6detail17trampoline_kernelINS0_13select_configILj256ELj13ELNS0_17block_load_methodE3ELS4_3ELS4_3ELNS0_20block_scan_algorithmE0ELj4294967295EEENS1_25partition_config_selectorILNS1_17partition_subalgoE3EjNS0_10empty_typeEbEEZZNS1_14partition_implILS8_3ELb0ES6_jNS0_17counting_iteratorIjlEEPS9_SE_NS0_5tupleIJPjSE_EEENSF_IJSE_SE_EEES9_SG_JZNS1_25segmented_radix_sort_implINS0_14default_configELb1EPKaPaPKlPlN2at6native12_GLOBAL__N_18offset_tEEE10hipError_tPvRmT1_PNSt15iterator_traitsISY_E10value_typeET2_T3_PNSZ_IS14_E10value_typeET4_jRbjT5_S1A_jjP12ihipStream_tbEUljE_EEESV_SW_SX_S14_S18_S1A_T6_T7_T9_mT8_S1C_bDpT10_ENKUlT_T0_E_clISt17integral_constantIbLb0EES1P_EEDaS1K_S1L_EUlS1K_E_NS1_11comp_targetILNS1_3genE0ELNS1_11target_archE4294967295ELNS1_3gpuE0ELNS1_3repE0EEENS1_30default_config_static_selectorELNS0_4arch9wavefront6targetE0EEEvSY_.uses_flat_scratch, 0
	.set _ZN7rocprim17ROCPRIM_400000_NS6detail17trampoline_kernelINS0_13select_configILj256ELj13ELNS0_17block_load_methodE3ELS4_3ELS4_3ELNS0_20block_scan_algorithmE0ELj4294967295EEENS1_25partition_config_selectorILNS1_17partition_subalgoE3EjNS0_10empty_typeEbEEZZNS1_14partition_implILS8_3ELb0ES6_jNS0_17counting_iteratorIjlEEPS9_SE_NS0_5tupleIJPjSE_EEENSF_IJSE_SE_EEES9_SG_JZNS1_25segmented_radix_sort_implINS0_14default_configELb1EPKaPaPKlPlN2at6native12_GLOBAL__N_18offset_tEEE10hipError_tPvRmT1_PNSt15iterator_traitsISY_E10value_typeET2_T3_PNSZ_IS14_E10value_typeET4_jRbjT5_S1A_jjP12ihipStream_tbEUljE_EEESV_SW_SX_S14_S18_S1A_T6_T7_T9_mT8_S1C_bDpT10_ENKUlT_T0_E_clISt17integral_constantIbLb0EES1P_EEDaS1K_S1L_EUlS1K_E_NS1_11comp_targetILNS1_3genE0ELNS1_11target_archE4294967295ELNS1_3gpuE0ELNS1_3repE0EEENS1_30default_config_static_selectorELNS0_4arch9wavefront6targetE0EEEvSY_.has_dyn_sized_stack, 0
	.set _ZN7rocprim17ROCPRIM_400000_NS6detail17trampoline_kernelINS0_13select_configILj256ELj13ELNS0_17block_load_methodE3ELS4_3ELS4_3ELNS0_20block_scan_algorithmE0ELj4294967295EEENS1_25partition_config_selectorILNS1_17partition_subalgoE3EjNS0_10empty_typeEbEEZZNS1_14partition_implILS8_3ELb0ES6_jNS0_17counting_iteratorIjlEEPS9_SE_NS0_5tupleIJPjSE_EEENSF_IJSE_SE_EEES9_SG_JZNS1_25segmented_radix_sort_implINS0_14default_configELb1EPKaPaPKlPlN2at6native12_GLOBAL__N_18offset_tEEE10hipError_tPvRmT1_PNSt15iterator_traitsISY_E10value_typeET2_T3_PNSZ_IS14_E10value_typeET4_jRbjT5_S1A_jjP12ihipStream_tbEUljE_EEESV_SW_SX_S14_S18_S1A_T6_T7_T9_mT8_S1C_bDpT10_ENKUlT_T0_E_clISt17integral_constantIbLb0EES1P_EEDaS1K_S1L_EUlS1K_E_NS1_11comp_targetILNS1_3genE0ELNS1_11target_archE4294967295ELNS1_3gpuE0ELNS1_3repE0EEENS1_30default_config_static_selectorELNS0_4arch9wavefront6targetE0EEEvSY_.has_recursion, 0
	.set _ZN7rocprim17ROCPRIM_400000_NS6detail17trampoline_kernelINS0_13select_configILj256ELj13ELNS0_17block_load_methodE3ELS4_3ELS4_3ELNS0_20block_scan_algorithmE0ELj4294967295EEENS1_25partition_config_selectorILNS1_17partition_subalgoE3EjNS0_10empty_typeEbEEZZNS1_14partition_implILS8_3ELb0ES6_jNS0_17counting_iteratorIjlEEPS9_SE_NS0_5tupleIJPjSE_EEENSF_IJSE_SE_EEES9_SG_JZNS1_25segmented_radix_sort_implINS0_14default_configELb1EPKaPaPKlPlN2at6native12_GLOBAL__N_18offset_tEEE10hipError_tPvRmT1_PNSt15iterator_traitsISY_E10value_typeET2_T3_PNSZ_IS14_E10value_typeET4_jRbjT5_S1A_jjP12ihipStream_tbEUljE_EEESV_SW_SX_S14_S18_S1A_T6_T7_T9_mT8_S1C_bDpT10_ENKUlT_T0_E_clISt17integral_constantIbLb0EES1P_EEDaS1K_S1L_EUlS1K_E_NS1_11comp_targetILNS1_3genE0ELNS1_11target_archE4294967295ELNS1_3gpuE0ELNS1_3repE0EEENS1_30default_config_static_selectorELNS0_4arch9wavefront6targetE0EEEvSY_.has_indirect_call, 0
	.section	.AMDGPU.csdata,"",@progbits
; Kernel info:
; codeLenInByte = 8920
; TotalNumSgprs: 28
; NumVgprs: 69
; ScratchSize: 0
; MemoryBound: 0
; FloatMode: 240
; IeeeMode: 1
; LDSByteSize: 13320 bytes/workgroup (compile time only)
; SGPRBlocks: 0
; VGPRBlocks: 4
; NumSGPRsForWavesPerEU: 28
; NumVGPRsForWavesPerEU: 69
; NamedBarCnt: 0
; Occupancy: 12
; WaveLimiterHint : 0
; COMPUTE_PGM_RSRC2:SCRATCH_EN: 0
; COMPUTE_PGM_RSRC2:USER_SGPR: 2
; COMPUTE_PGM_RSRC2:TRAP_HANDLER: 0
; COMPUTE_PGM_RSRC2:TGID_X_EN: 1
; COMPUTE_PGM_RSRC2:TGID_Y_EN: 0
; COMPUTE_PGM_RSRC2:TGID_Z_EN: 0
; COMPUTE_PGM_RSRC2:TIDIG_COMP_CNT: 0
	.section	.text._ZN7rocprim17ROCPRIM_400000_NS6detail17trampoline_kernelINS0_13select_configILj256ELj13ELNS0_17block_load_methodE3ELS4_3ELS4_3ELNS0_20block_scan_algorithmE0ELj4294967295EEENS1_25partition_config_selectorILNS1_17partition_subalgoE3EjNS0_10empty_typeEbEEZZNS1_14partition_implILS8_3ELb0ES6_jNS0_17counting_iteratorIjlEEPS9_SE_NS0_5tupleIJPjSE_EEENSF_IJSE_SE_EEES9_SG_JZNS1_25segmented_radix_sort_implINS0_14default_configELb1EPKaPaPKlPlN2at6native12_GLOBAL__N_18offset_tEEE10hipError_tPvRmT1_PNSt15iterator_traitsISY_E10value_typeET2_T3_PNSZ_IS14_E10value_typeET4_jRbjT5_S1A_jjP12ihipStream_tbEUljE_EEESV_SW_SX_S14_S18_S1A_T6_T7_T9_mT8_S1C_bDpT10_ENKUlT_T0_E_clISt17integral_constantIbLb0EES1P_EEDaS1K_S1L_EUlS1K_E_NS1_11comp_targetILNS1_3genE5ELNS1_11target_archE942ELNS1_3gpuE9ELNS1_3repE0EEENS1_30default_config_static_selectorELNS0_4arch9wavefront6targetE0EEEvSY_,"axG",@progbits,_ZN7rocprim17ROCPRIM_400000_NS6detail17trampoline_kernelINS0_13select_configILj256ELj13ELNS0_17block_load_methodE3ELS4_3ELS4_3ELNS0_20block_scan_algorithmE0ELj4294967295EEENS1_25partition_config_selectorILNS1_17partition_subalgoE3EjNS0_10empty_typeEbEEZZNS1_14partition_implILS8_3ELb0ES6_jNS0_17counting_iteratorIjlEEPS9_SE_NS0_5tupleIJPjSE_EEENSF_IJSE_SE_EEES9_SG_JZNS1_25segmented_radix_sort_implINS0_14default_configELb1EPKaPaPKlPlN2at6native12_GLOBAL__N_18offset_tEEE10hipError_tPvRmT1_PNSt15iterator_traitsISY_E10value_typeET2_T3_PNSZ_IS14_E10value_typeET4_jRbjT5_S1A_jjP12ihipStream_tbEUljE_EEESV_SW_SX_S14_S18_S1A_T6_T7_T9_mT8_S1C_bDpT10_ENKUlT_T0_E_clISt17integral_constantIbLb0EES1P_EEDaS1K_S1L_EUlS1K_E_NS1_11comp_targetILNS1_3genE5ELNS1_11target_archE942ELNS1_3gpuE9ELNS1_3repE0EEENS1_30default_config_static_selectorELNS0_4arch9wavefront6targetE0EEEvSY_,comdat
	.globl	_ZN7rocprim17ROCPRIM_400000_NS6detail17trampoline_kernelINS0_13select_configILj256ELj13ELNS0_17block_load_methodE3ELS4_3ELS4_3ELNS0_20block_scan_algorithmE0ELj4294967295EEENS1_25partition_config_selectorILNS1_17partition_subalgoE3EjNS0_10empty_typeEbEEZZNS1_14partition_implILS8_3ELb0ES6_jNS0_17counting_iteratorIjlEEPS9_SE_NS0_5tupleIJPjSE_EEENSF_IJSE_SE_EEES9_SG_JZNS1_25segmented_radix_sort_implINS0_14default_configELb1EPKaPaPKlPlN2at6native12_GLOBAL__N_18offset_tEEE10hipError_tPvRmT1_PNSt15iterator_traitsISY_E10value_typeET2_T3_PNSZ_IS14_E10value_typeET4_jRbjT5_S1A_jjP12ihipStream_tbEUljE_EEESV_SW_SX_S14_S18_S1A_T6_T7_T9_mT8_S1C_bDpT10_ENKUlT_T0_E_clISt17integral_constantIbLb0EES1P_EEDaS1K_S1L_EUlS1K_E_NS1_11comp_targetILNS1_3genE5ELNS1_11target_archE942ELNS1_3gpuE9ELNS1_3repE0EEENS1_30default_config_static_selectorELNS0_4arch9wavefront6targetE0EEEvSY_ ; -- Begin function _ZN7rocprim17ROCPRIM_400000_NS6detail17trampoline_kernelINS0_13select_configILj256ELj13ELNS0_17block_load_methodE3ELS4_3ELS4_3ELNS0_20block_scan_algorithmE0ELj4294967295EEENS1_25partition_config_selectorILNS1_17partition_subalgoE3EjNS0_10empty_typeEbEEZZNS1_14partition_implILS8_3ELb0ES6_jNS0_17counting_iteratorIjlEEPS9_SE_NS0_5tupleIJPjSE_EEENSF_IJSE_SE_EEES9_SG_JZNS1_25segmented_radix_sort_implINS0_14default_configELb1EPKaPaPKlPlN2at6native12_GLOBAL__N_18offset_tEEE10hipError_tPvRmT1_PNSt15iterator_traitsISY_E10value_typeET2_T3_PNSZ_IS14_E10value_typeET4_jRbjT5_S1A_jjP12ihipStream_tbEUljE_EEESV_SW_SX_S14_S18_S1A_T6_T7_T9_mT8_S1C_bDpT10_ENKUlT_T0_E_clISt17integral_constantIbLb0EES1P_EEDaS1K_S1L_EUlS1K_E_NS1_11comp_targetILNS1_3genE5ELNS1_11target_archE942ELNS1_3gpuE9ELNS1_3repE0EEENS1_30default_config_static_selectorELNS0_4arch9wavefront6targetE0EEEvSY_
	.p2align	8
	.type	_ZN7rocprim17ROCPRIM_400000_NS6detail17trampoline_kernelINS0_13select_configILj256ELj13ELNS0_17block_load_methodE3ELS4_3ELS4_3ELNS0_20block_scan_algorithmE0ELj4294967295EEENS1_25partition_config_selectorILNS1_17partition_subalgoE3EjNS0_10empty_typeEbEEZZNS1_14partition_implILS8_3ELb0ES6_jNS0_17counting_iteratorIjlEEPS9_SE_NS0_5tupleIJPjSE_EEENSF_IJSE_SE_EEES9_SG_JZNS1_25segmented_radix_sort_implINS0_14default_configELb1EPKaPaPKlPlN2at6native12_GLOBAL__N_18offset_tEEE10hipError_tPvRmT1_PNSt15iterator_traitsISY_E10value_typeET2_T3_PNSZ_IS14_E10value_typeET4_jRbjT5_S1A_jjP12ihipStream_tbEUljE_EEESV_SW_SX_S14_S18_S1A_T6_T7_T9_mT8_S1C_bDpT10_ENKUlT_T0_E_clISt17integral_constantIbLb0EES1P_EEDaS1K_S1L_EUlS1K_E_NS1_11comp_targetILNS1_3genE5ELNS1_11target_archE942ELNS1_3gpuE9ELNS1_3repE0EEENS1_30default_config_static_selectorELNS0_4arch9wavefront6targetE0EEEvSY_,@function
_ZN7rocprim17ROCPRIM_400000_NS6detail17trampoline_kernelINS0_13select_configILj256ELj13ELNS0_17block_load_methodE3ELS4_3ELS4_3ELNS0_20block_scan_algorithmE0ELj4294967295EEENS1_25partition_config_selectorILNS1_17partition_subalgoE3EjNS0_10empty_typeEbEEZZNS1_14partition_implILS8_3ELb0ES6_jNS0_17counting_iteratorIjlEEPS9_SE_NS0_5tupleIJPjSE_EEENSF_IJSE_SE_EEES9_SG_JZNS1_25segmented_radix_sort_implINS0_14default_configELb1EPKaPaPKlPlN2at6native12_GLOBAL__N_18offset_tEEE10hipError_tPvRmT1_PNSt15iterator_traitsISY_E10value_typeET2_T3_PNSZ_IS14_E10value_typeET4_jRbjT5_S1A_jjP12ihipStream_tbEUljE_EEESV_SW_SX_S14_S18_S1A_T6_T7_T9_mT8_S1C_bDpT10_ENKUlT_T0_E_clISt17integral_constantIbLb0EES1P_EEDaS1K_S1L_EUlS1K_E_NS1_11comp_targetILNS1_3genE5ELNS1_11target_archE942ELNS1_3gpuE9ELNS1_3repE0EEENS1_30default_config_static_selectorELNS0_4arch9wavefront6targetE0EEEvSY_: ; @_ZN7rocprim17ROCPRIM_400000_NS6detail17trampoline_kernelINS0_13select_configILj256ELj13ELNS0_17block_load_methodE3ELS4_3ELS4_3ELNS0_20block_scan_algorithmE0ELj4294967295EEENS1_25partition_config_selectorILNS1_17partition_subalgoE3EjNS0_10empty_typeEbEEZZNS1_14partition_implILS8_3ELb0ES6_jNS0_17counting_iteratorIjlEEPS9_SE_NS0_5tupleIJPjSE_EEENSF_IJSE_SE_EEES9_SG_JZNS1_25segmented_radix_sort_implINS0_14default_configELb1EPKaPaPKlPlN2at6native12_GLOBAL__N_18offset_tEEE10hipError_tPvRmT1_PNSt15iterator_traitsISY_E10value_typeET2_T3_PNSZ_IS14_E10value_typeET4_jRbjT5_S1A_jjP12ihipStream_tbEUljE_EEESV_SW_SX_S14_S18_S1A_T6_T7_T9_mT8_S1C_bDpT10_ENKUlT_T0_E_clISt17integral_constantIbLb0EES1P_EEDaS1K_S1L_EUlS1K_E_NS1_11comp_targetILNS1_3genE5ELNS1_11target_archE942ELNS1_3gpuE9ELNS1_3repE0EEENS1_30default_config_static_selectorELNS0_4arch9wavefront6targetE0EEEvSY_
; %bb.0:
	.section	.rodata,"a",@progbits
	.p2align	6, 0x0
	.amdhsa_kernel _ZN7rocprim17ROCPRIM_400000_NS6detail17trampoline_kernelINS0_13select_configILj256ELj13ELNS0_17block_load_methodE3ELS4_3ELS4_3ELNS0_20block_scan_algorithmE0ELj4294967295EEENS1_25partition_config_selectorILNS1_17partition_subalgoE3EjNS0_10empty_typeEbEEZZNS1_14partition_implILS8_3ELb0ES6_jNS0_17counting_iteratorIjlEEPS9_SE_NS0_5tupleIJPjSE_EEENSF_IJSE_SE_EEES9_SG_JZNS1_25segmented_radix_sort_implINS0_14default_configELb1EPKaPaPKlPlN2at6native12_GLOBAL__N_18offset_tEEE10hipError_tPvRmT1_PNSt15iterator_traitsISY_E10value_typeET2_T3_PNSZ_IS14_E10value_typeET4_jRbjT5_S1A_jjP12ihipStream_tbEUljE_EEESV_SW_SX_S14_S18_S1A_T6_T7_T9_mT8_S1C_bDpT10_ENKUlT_T0_E_clISt17integral_constantIbLb0EES1P_EEDaS1K_S1L_EUlS1K_E_NS1_11comp_targetILNS1_3genE5ELNS1_11target_archE942ELNS1_3gpuE9ELNS1_3repE0EEENS1_30default_config_static_selectorELNS0_4arch9wavefront6targetE0EEEvSY_
		.amdhsa_group_segment_fixed_size 0
		.amdhsa_private_segment_fixed_size 0
		.amdhsa_kernarg_size 144
		.amdhsa_user_sgpr_count 2
		.amdhsa_user_sgpr_dispatch_ptr 0
		.amdhsa_user_sgpr_queue_ptr 0
		.amdhsa_user_sgpr_kernarg_segment_ptr 1
		.amdhsa_user_sgpr_dispatch_id 0
		.amdhsa_user_sgpr_kernarg_preload_length 0
		.amdhsa_user_sgpr_kernarg_preload_offset 0
		.amdhsa_user_sgpr_private_segment_size 0
		.amdhsa_wavefront_size32 1
		.amdhsa_uses_dynamic_stack 0
		.amdhsa_enable_private_segment 0
		.amdhsa_system_sgpr_workgroup_id_x 1
		.amdhsa_system_sgpr_workgroup_id_y 0
		.amdhsa_system_sgpr_workgroup_id_z 0
		.amdhsa_system_sgpr_workgroup_info 0
		.amdhsa_system_vgpr_workitem_id 0
		.amdhsa_next_free_vgpr 1
		.amdhsa_next_free_sgpr 1
		.amdhsa_named_barrier_count 0
		.amdhsa_reserve_vcc 0
		.amdhsa_float_round_mode_32 0
		.amdhsa_float_round_mode_16_64 0
		.amdhsa_float_denorm_mode_32 3
		.amdhsa_float_denorm_mode_16_64 3
		.amdhsa_fp16_overflow 0
		.amdhsa_memory_ordered 1
		.amdhsa_forward_progress 1
		.amdhsa_inst_pref_size 0
		.amdhsa_round_robin_scheduling 0
		.amdhsa_exception_fp_ieee_invalid_op 0
		.amdhsa_exception_fp_denorm_src 0
		.amdhsa_exception_fp_ieee_div_zero 0
		.amdhsa_exception_fp_ieee_overflow 0
		.amdhsa_exception_fp_ieee_underflow 0
		.amdhsa_exception_fp_ieee_inexact 0
		.amdhsa_exception_int_div_zero 0
	.end_amdhsa_kernel
	.section	.text._ZN7rocprim17ROCPRIM_400000_NS6detail17trampoline_kernelINS0_13select_configILj256ELj13ELNS0_17block_load_methodE3ELS4_3ELS4_3ELNS0_20block_scan_algorithmE0ELj4294967295EEENS1_25partition_config_selectorILNS1_17partition_subalgoE3EjNS0_10empty_typeEbEEZZNS1_14partition_implILS8_3ELb0ES6_jNS0_17counting_iteratorIjlEEPS9_SE_NS0_5tupleIJPjSE_EEENSF_IJSE_SE_EEES9_SG_JZNS1_25segmented_radix_sort_implINS0_14default_configELb1EPKaPaPKlPlN2at6native12_GLOBAL__N_18offset_tEEE10hipError_tPvRmT1_PNSt15iterator_traitsISY_E10value_typeET2_T3_PNSZ_IS14_E10value_typeET4_jRbjT5_S1A_jjP12ihipStream_tbEUljE_EEESV_SW_SX_S14_S18_S1A_T6_T7_T9_mT8_S1C_bDpT10_ENKUlT_T0_E_clISt17integral_constantIbLb0EES1P_EEDaS1K_S1L_EUlS1K_E_NS1_11comp_targetILNS1_3genE5ELNS1_11target_archE942ELNS1_3gpuE9ELNS1_3repE0EEENS1_30default_config_static_selectorELNS0_4arch9wavefront6targetE0EEEvSY_,"axG",@progbits,_ZN7rocprim17ROCPRIM_400000_NS6detail17trampoline_kernelINS0_13select_configILj256ELj13ELNS0_17block_load_methodE3ELS4_3ELS4_3ELNS0_20block_scan_algorithmE0ELj4294967295EEENS1_25partition_config_selectorILNS1_17partition_subalgoE3EjNS0_10empty_typeEbEEZZNS1_14partition_implILS8_3ELb0ES6_jNS0_17counting_iteratorIjlEEPS9_SE_NS0_5tupleIJPjSE_EEENSF_IJSE_SE_EEES9_SG_JZNS1_25segmented_radix_sort_implINS0_14default_configELb1EPKaPaPKlPlN2at6native12_GLOBAL__N_18offset_tEEE10hipError_tPvRmT1_PNSt15iterator_traitsISY_E10value_typeET2_T3_PNSZ_IS14_E10value_typeET4_jRbjT5_S1A_jjP12ihipStream_tbEUljE_EEESV_SW_SX_S14_S18_S1A_T6_T7_T9_mT8_S1C_bDpT10_ENKUlT_T0_E_clISt17integral_constantIbLb0EES1P_EEDaS1K_S1L_EUlS1K_E_NS1_11comp_targetILNS1_3genE5ELNS1_11target_archE942ELNS1_3gpuE9ELNS1_3repE0EEENS1_30default_config_static_selectorELNS0_4arch9wavefront6targetE0EEEvSY_,comdat
.Lfunc_end257:
	.size	_ZN7rocprim17ROCPRIM_400000_NS6detail17trampoline_kernelINS0_13select_configILj256ELj13ELNS0_17block_load_methodE3ELS4_3ELS4_3ELNS0_20block_scan_algorithmE0ELj4294967295EEENS1_25partition_config_selectorILNS1_17partition_subalgoE3EjNS0_10empty_typeEbEEZZNS1_14partition_implILS8_3ELb0ES6_jNS0_17counting_iteratorIjlEEPS9_SE_NS0_5tupleIJPjSE_EEENSF_IJSE_SE_EEES9_SG_JZNS1_25segmented_radix_sort_implINS0_14default_configELb1EPKaPaPKlPlN2at6native12_GLOBAL__N_18offset_tEEE10hipError_tPvRmT1_PNSt15iterator_traitsISY_E10value_typeET2_T3_PNSZ_IS14_E10value_typeET4_jRbjT5_S1A_jjP12ihipStream_tbEUljE_EEESV_SW_SX_S14_S18_S1A_T6_T7_T9_mT8_S1C_bDpT10_ENKUlT_T0_E_clISt17integral_constantIbLb0EES1P_EEDaS1K_S1L_EUlS1K_E_NS1_11comp_targetILNS1_3genE5ELNS1_11target_archE942ELNS1_3gpuE9ELNS1_3repE0EEENS1_30default_config_static_selectorELNS0_4arch9wavefront6targetE0EEEvSY_, .Lfunc_end257-_ZN7rocprim17ROCPRIM_400000_NS6detail17trampoline_kernelINS0_13select_configILj256ELj13ELNS0_17block_load_methodE3ELS4_3ELS4_3ELNS0_20block_scan_algorithmE0ELj4294967295EEENS1_25partition_config_selectorILNS1_17partition_subalgoE3EjNS0_10empty_typeEbEEZZNS1_14partition_implILS8_3ELb0ES6_jNS0_17counting_iteratorIjlEEPS9_SE_NS0_5tupleIJPjSE_EEENSF_IJSE_SE_EEES9_SG_JZNS1_25segmented_radix_sort_implINS0_14default_configELb1EPKaPaPKlPlN2at6native12_GLOBAL__N_18offset_tEEE10hipError_tPvRmT1_PNSt15iterator_traitsISY_E10value_typeET2_T3_PNSZ_IS14_E10value_typeET4_jRbjT5_S1A_jjP12ihipStream_tbEUljE_EEESV_SW_SX_S14_S18_S1A_T6_T7_T9_mT8_S1C_bDpT10_ENKUlT_T0_E_clISt17integral_constantIbLb0EES1P_EEDaS1K_S1L_EUlS1K_E_NS1_11comp_targetILNS1_3genE5ELNS1_11target_archE942ELNS1_3gpuE9ELNS1_3repE0EEENS1_30default_config_static_selectorELNS0_4arch9wavefront6targetE0EEEvSY_
                                        ; -- End function
	.set _ZN7rocprim17ROCPRIM_400000_NS6detail17trampoline_kernelINS0_13select_configILj256ELj13ELNS0_17block_load_methodE3ELS4_3ELS4_3ELNS0_20block_scan_algorithmE0ELj4294967295EEENS1_25partition_config_selectorILNS1_17partition_subalgoE3EjNS0_10empty_typeEbEEZZNS1_14partition_implILS8_3ELb0ES6_jNS0_17counting_iteratorIjlEEPS9_SE_NS0_5tupleIJPjSE_EEENSF_IJSE_SE_EEES9_SG_JZNS1_25segmented_radix_sort_implINS0_14default_configELb1EPKaPaPKlPlN2at6native12_GLOBAL__N_18offset_tEEE10hipError_tPvRmT1_PNSt15iterator_traitsISY_E10value_typeET2_T3_PNSZ_IS14_E10value_typeET4_jRbjT5_S1A_jjP12ihipStream_tbEUljE_EEESV_SW_SX_S14_S18_S1A_T6_T7_T9_mT8_S1C_bDpT10_ENKUlT_T0_E_clISt17integral_constantIbLb0EES1P_EEDaS1K_S1L_EUlS1K_E_NS1_11comp_targetILNS1_3genE5ELNS1_11target_archE942ELNS1_3gpuE9ELNS1_3repE0EEENS1_30default_config_static_selectorELNS0_4arch9wavefront6targetE0EEEvSY_.num_vgpr, 0
	.set _ZN7rocprim17ROCPRIM_400000_NS6detail17trampoline_kernelINS0_13select_configILj256ELj13ELNS0_17block_load_methodE3ELS4_3ELS4_3ELNS0_20block_scan_algorithmE0ELj4294967295EEENS1_25partition_config_selectorILNS1_17partition_subalgoE3EjNS0_10empty_typeEbEEZZNS1_14partition_implILS8_3ELb0ES6_jNS0_17counting_iteratorIjlEEPS9_SE_NS0_5tupleIJPjSE_EEENSF_IJSE_SE_EEES9_SG_JZNS1_25segmented_radix_sort_implINS0_14default_configELb1EPKaPaPKlPlN2at6native12_GLOBAL__N_18offset_tEEE10hipError_tPvRmT1_PNSt15iterator_traitsISY_E10value_typeET2_T3_PNSZ_IS14_E10value_typeET4_jRbjT5_S1A_jjP12ihipStream_tbEUljE_EEESV_SW_SX_S14_S18_S1A_T6_T7_T9_mT8_S1C_bDpT10_ENKUlT_T0_E_clISt17integral_constantIbLb0EES1P_EEDaS1K_S1L_EUlS1K_E_NS1_11comp_targetILNS1_3genE5ELNS1_11target_archE942ELNS1_3gpuE9ELNS1_3repE0EEENS1_30default_config_static_selectorELNS0_4arch9wavefront6targetE0EEEvSY_.num_agpr, 0
	.set _ZN7rocprim17ROCPRIM_400000_NS6detail17trampoline_kernelINS0_13select_configILj256ELj13ELNS0_17block_load_methodE3ELS4_3ELS4_3ELNS0_20block_scan_algorithmE0ELj4294967295EEENS1_25partition_config_selectorILNS1_17partition_subalgoE3EjNS0_10empty_typeEbEEZZNS1_14partition_implILS8_3ELb0ES6_jNS0_17counting_iteratorIjlEEPS9_SE_NS0_5tupleIJPjSE_EEENSF_IJSE_SE_EEES9_SG_JZNS1_25segmented_radix_sort_implINS0_14default_configELb1EPKaPaPKlPlN2at6native12_GLOBAL__N_18offset_tEEE10hipError_tPvRmT1_PNSt15iterator_traitsISY_E10value_typeET2_T3_PNSZ_IS14_E10value_typeET4_jRbjT5_S1A_jjP12ihipStream_tbEUljE_EEESV_SW_SX_S14_S18_S1A_T6_T7_T9_mT8_S1C_bDpT10_ENKUlT_T0_E_clISt17integral_constantIbLb0EES1P_EEDaS1K_S1L_EUlS1K_E_NS1_11comp_targetILNS1_3genE5ELNS1_11target_archE942ELNS1_3gpuE9ELNS1_3repE0EEENS1_30default_config_static_selectorELNS0_4arch9wavefront6targetE0EEEvSY_.numbered_sgpr, 0
	.set _ZN7rocprim17ROCPRIM_400000_NS6detail17trampoline_kernelINS0_13select_configILj256ELj13ELNS0_17block_load_methodE3ELS4_3ELS4_3ELNS0_20block_scan_algorithmE0ELj4294967295EEENS1_25partition_config_selectorILNS1_17partition_subalgoE3EjNS0_10empty_typeEbEEZZNS1_14partition_implILS8_3ELb0ES6_jNS0_17counting_iteratorIjlEEPS9_SE_NS0_5tupleIJPjSE_EEENSF_IJSE_SE_EEES9_SG_JZNS1_25segmented_radix_sort_implINS0_14default_configELb1EPKaPaPKlPlN2at6native12_GLOBAL__N_18offset_tEEE10hipError_tPvRmT1_PNSt15iterator_traitsISY_E10value_typeET2_T3_PNSZ_IS14_E10value_typeET4_jRbjT5_S1A_jjP12ihipStream_tbEUljE_EEESV_SW_SX_S14_S18_S1A_T6_T7_T9_mT8_S1C_bDpT10_ENKUlT_T0_E_clISt17integral_constantIbLb0EES1P_EEDaS1K_S1L_EUlS1K_E_NS1_11comp_targetILNS1_3genE5ELNS1_11target_archE942ELNS1_3gpuE9ELNS1_3repE0EEENS1_30default_config_static_selectorELNS0_4arch9wavefront6targetE0EEEvSY_.num_named_barrier, 0
	.set _ZN7rocprim17ROCPRIM_400000_NS6detail17trampoline_kernelINS0_13select_configILj256ELj13ELNS0_17block_load_methodE3ELS4_3ELS4_3ELNS0_20block_scan_algorithmE0ELj4294967295EEENS1_25partition_config_selectorILNS1_17partition_subalgoE3EjNS0_10empty_typeEbEEZZNS1_14partition_implILS8_3ELb0ES6_jNS0_17counting_iteratorIjlEEPS9_SE_NS0_5tupleIJPjSE_EEENSF_IJSE_SE_EEES9_SG_JZNS1_25segmented_radix_sort_implINS0_14default_configELb1EPKaPaPKlPlN2at6native12_GLOBAL__N_18offset_tEEE10hipError_tPvRmT1_PNSt15iterator_traitsISY_E10value_typeET2_T3_PNSZ_IS14_E10value_typeET4_jRbjT5_S1A_jjP12ihipStream_tbEUljE_EEESV_SW_SX_S14_S18_S1A_T6_T7_T9_mT8_S1C_bDpT10_ENKUlT_T0_E_clISt17integral_constantIbLb0EES1P_EEDaS1K_S1L_EUlS1K_E_NS1_11comp_targetILNS1_3genE5ELNS1_11target_archE942ELNS1_3gpuE9ELNS1_3repE0EEENS1_30default_config_static_selectorELNS0_4arch9wavefront6targetE0EEEvSY_.private_seg_size, 0
	.set _ZN7rocprim17ROCPRIM_400000_NS6detail17trampoline_kernelINS0_13select_configILj256ELj13ELNS0_17block_load_methodE3ELS4_3ELS4_3ELNS0_20block_scan_algorithmE0ELj4294967295EEENS1_25partition_config_selectorILNS1_17partition_subalgoE3EjNS0_10empty_typeEbEEZZNS1_14partition_implILS8_3ELb0ES6_jNS0_17counting_iteratorIjlEEPS9_SE_NS0_5tupleIJPjSE_EEENSF_IJSE_SE_EEES9_SG_JZNS1_25segmented_radix_sort_implINS0_14default_configELb1EPKaPaPKlPlN2at6native12_GLOBAL__N_18offset_tEEE10hipError_tPvRmT1_PNSt15iterator_traitsISY_E10value_typeET2_T3_PNSZ_IS14_E10value_typeET4_jRbjT5_S1A_jjP12ihipStream_tbEUljE_EEESV_SW_SX_S14_S18_S1A_T6_T7_T9_mT8_S1C_bDpT10_ENKUlT_T0_E_clISt17integral_constantIbLb0EES1P_EEDaS1K_S1L_EUlS1K_E_NS1_11comp_targetILNS1_3genE5ELNS1_11target_archE942ELNS1_3gpuE9ELNS1_3repE0EEENS1_30default_config_static_selectorELNS0_4arch9wavefront6targetE0EEEvSY_.uses_vcc, 0
	.set _ZN7rocprim17ROCPRIM_400000_NS6detail17trampoline_kernelINS0_13select_configILj256ELj13ELNS0_17block_load_methodE3ELS4_3ELS4_3ELNS0_20block_scan_algorithmE0ELj4294967295EEENS1_25partition_config_selectorILNS1_17partition_subalgoE3EjNS0_10empty_typeEbEEZZNS1_14partition_implILS8_3ELb0ES6_jNS0_17counting_iteratorIjlEEPS9_SE_NS0_5tupleIJPjSE_EEENSF_IJSE_SE_EEES9_SG_JZNS1_25segmented_radix_sort_implINS0_14default_configELb1EPKaPaPKlPlN2at6native12_GLOBAL__N_18offset_tEEE10hipError_tPvRmT1_PNSt15iterator_traitsISY_E10value_typeET2_T3_PNSZ_IS14_E10value_typeET4_jRbjT5_S1A_jjP12ihipStream_tbEUljE_EEESV_SW_SX_S14_S18_S1A_T6_T7_T9_mT8_S1C_bDpT10_ENKUlT_T0_E_clISt17integral_constantIbLb0EES1P_EEDaS1K_S1L_EUlS1K_E_NS1_11comp_targetILNS1_3genE5ELNS1_11target_archE942ELNS1_3gpuE9ELNS1_3repE0EEENS1_30default_config_static_selectorELNS0_4arch9wavefront6targetE0EEEvSY_.uses_flat_scratch, 0
	.set _ZN7rocprim17ROCPRIM_400000_NS6detail17trampoline_kernelINS0_13select_configILj256ELj13ELNS0_17block_load_methodE3ELS4_3ELS4_3ELNS0_20block_scan_algorithmE0ELj4294967295EEENS1_25partition_config_selectorILNS1_17partition_subalgoE3EjNS0_10empty_typeEbEEZZNS1_14partition_implILS8_3ELb0ES6_jNS0_17counting_iteratorIjlEEPS9_SE_NS0_5tupleIJPjSE_EEENSF_IJSE_SE_EEES9_SG_JZNS1_25segmented_radix_sort_implINS0_14default_configELb1EPKaPaPKlPlN2at6native12_GLOBAL__N_18offset_tEEE10hipError_tPvRmT1_PNSt15iterator_traitsISY_E10value_typeET2_T3_PNSZ_IS14_E10value_typeET4_jRbjT5_S1A_jjP12ihipStream_tbEUljE_EEESV_SW_SX_S14_S18_S1A_T6_T7_T9_mT8_S1C_bDpT10_ENKUlT_T0_E_clISt17integral_constantIbLb0EES1P_EEDaS1K_S1L_EUlS1K_E_NS1_11comp_targetILNS1_3genE5ELNS1_11target_archE942ELNS1_3gpuE9ELNS1_3repE0EEENS1_30default_config_static_selectorELNS0_4arch9wavefront6targetE0EEEvSY_.has_dyn_sized_stack, 0
	.set _ZN7rocprim17ROCPRIM_400000_NS6detail17trampoline_kernelINS0_13select_configILj256ELj13ELNS0_17block_load_methodE3ELS4_3ELS4_3ELNS0_20block_scan_algorithmE0ELj4294967295EEENS1_25partition_config_selectorILNS1_17partition_subalgoE3EjNS0_10empty_typeEbEEZZNS1_14partition_implILS8_3ELb0ES6_jNS0_17counting_iteratorIjlEEPS9_SE_NS0_5tupleIJPjSE_EEENSF_IJSE_SE_EEES9_SG_JZNS1_25segmented_radix_sort_implINS0_14default_configELb1EPKaPaPKlPlN2at6native12_GLOBAL__N_18offset_tEEE10hipError_tPvRmT1_PNSt15iterator_traitsISY_E10value_typeET2_T3_PNSZ_IS14_E10value_typeET4_jRbjT5_S1A_jjP12ihipStream_tbEUljE_EEESV_SW_SX_S14_S18_S1A_T6_T7_T9_mT8_S1C_bDpT10_ENKUlT_T0_E_clISt17integral_constantIbLb0EES1P_EEDaS1K_S1L_EUlS1K_E_NS1_11comp_targetILNS1_3genE5ELNS1_11target_archE942ELNS1_3gpuE9ELNS1_3repE0EEENS1_30default_config_static_selectorELNS0_4arch9wavefront6targetE0EEEvSY_.has_recursion, 0
	.set _ZN7rocprim17ROCPRIM_400000_NS6detail17trampoline_kernelINS0_13select_configILj256ELj13ELNS0_17block_load_methodE3ELS4_3ELS4_3ELNS0_20block_scan_algorithmE0ELj4294967295EEENS1_25partition_config_selectorILNS1_17partition_subalgoE3EjNS0_10empty_typeEbEEZZNS1_14partition_implILS8_3ELb0ES6_jNS0_17counting_iteratorIjlEEPS9_SE_NS0_5tupleIJPjSE_EEENSF_IJSE_SE_EEES9_SG_JZNS1_25segmented_radix_sort_implINS0_14default_configELb1EPKaPaPKlPlN2at6native12_GLOBAL__N_18offset_tEEE10hipError_tPvRmT1_PNSt15iterator_traitsISY_E10value_typeET2_T3_PNSZ_IS14_E10value_typeET4_jRbjT5_S1A_jjP12ihipStream_tbEUljE_EEESV_SW_SX_S14_S18_S1A_T6_T7_T9_mT8_S1C_bDpT10_ENKUlT_T0_E_clISt17integral_constantIbLb0EES1P_EEDaS1K_S1L_EUlS1K_E_NS1_11comp_targetILNS1_3genE5ELNS1_11target_archE942ELNS1_3gpuE9ELNS1_3repE0EEENS1_30default_config_static_selectorELNS0_4arch9wavefront6targetE0EEEvSY_.has_indirect_call, 0
	.section	.AMDGPU.csdata,"",@progbits
; Kernel info:
; codeLenInByte = 0
; TotalNumSgprs: 0
; NumVgprs: 0
; ScratchSize: 0
; MemoryBound: 0
; FloatMode: 240
; IeeeMode: 1
; LDSByteSize: 0 bytes/workgroup (compile time only)
; SGPRBlocks: 0
; VGPRBlocks: 0
; NumSGPRsForWavesPerEU: 1
; NumVGPRsForWavesPerEU: 1
; NamedBarCnt: 0
; Occupancy: 16
; WaveLimiterHint : 0
; COMPUTE_PGM_RSRC2:SCRATCH_EN: 0
; COMPUTE_PGM_RSRC2:USER_SGPR: 2
; COMPUTE_PGM_RSRC2:TRAP_HANDLER: 0
; COMPUTE_PGM_RSRC2:TGID_X_EN: 1
; COMPUTE_PGM_RSRC2:TGID_Y_EN: 0
; COMPUTE_PGM_RSRC2:TGID_Z_EN: 0
; COMPUTE_PGM_RSRC2:TIDIG_COMP_CNT: 0
	.section	.text._ZN7rocprim17ROCPRIM_400000_NS6detail17trampoline_kernelINS0_13select_configILj256ELj13ELNS0_17block_load_methodE3ELS4_3ELS4_3ELNS0_20block_scan_algorithmE0ELj4294967295EEENS1_25partition_config_selectorILNS1_17partition_subalgoE3EjNS0_10empty_typeEbEEZZNS1_14partition_implILS8_3ELb0ES6_jNS0_17counting_iteratorIjlEEPS9_SE_NS0_5tupleIJPjSE_EEENSF_IJSE_SE_EEES9_SG_JZNS1_25segmented_radix_sort_implINS0_14default_configELb1EPKaPaPKlPlN2at6native12_GLOBAL__N_18offset_tEEE10hipError_tPvRmT1_PNSt15iterator_traitsISY_E10value_typeET2_T3_PNSZ_IS14_E10value_typeET4_jRbjT5_S1A_jjP12ihipStream_tbEUljE_EEESV_SW_SX_S14_S18_S1A_T6_T7_T9_mT8_S1C_bDpT10_ENKUlT_T0_E_clISt17integral_constantIbLb0EES1P_EEDaS1K_S1L_EUlS1K_E_NS1_11comp_targetILNS1_3genE4ELNS1_11target_archE910ELNS1_3gpuE8ELNS1_3repE0EEENS1_30default_config_static_selectorELNS0_4arch9wavefront6targetE0EEEvSY_,"axG",@progbits,_ZN7rocprim17ROCPRIM_400000_NS6detail17trampoline_kernelINS0_13select_configILj256ELj13ELNS0_17block_load_methodE3ELS4_3ELS4_3ELNS0_20block_scan_algorithmE0ELj4294967295EEENS1_25partition_config_selectorILNS1_17partition_subalgoE3EjNS0_10empty_typeEbEEZZNS1_14partition_implILS8_3ELb0ES6_jNS0_17counting_iteratorIjlEEPS9_SE_NS0_5tupleIJPjSE_EEENSF_IJSE_SE_EEES9_SG_JZNS1_25segmented_radix_sort_implINS0_14default_configELb1EPKaPaPKlPlN2at6native12_GLOBAL__N_18offset_tEEE10hipError_tPvRmT1_PNSt15iterator_traitsISY_E10value_typeET2_T3_PNSZ_IS14_E10value_typeET4_jRbjT5_S1A_jjP12ihipStream_tbEUljE_EEESV_SW_SX_S14_S18_S1A_T6_T7_T9_mT8_S1C_bDpT10_ENKUlT_T0_E_clISt17integral_constantIbLb0EES1P_EEDaS1K_S1L_EUlS1K_E_NS1_11comp_targetILNS1_3genE4ELNS1_11target_archE910ELNS1_3gpuE8ELNS1_3repE0EEENS1_30default_config_static_selectorELNS0_4arch9wavefront6targetE0EEEvSY_,comdat
	.globl	_ZN7rocprim17ROCPRIM_400000_NS6detail17trampoline_kernelINS0_13select_configILj256ELj13ELNS0_17block_load_methodE3ELS4_3ELS4_3ELNS0_20block_scan_algorithmE0ELj4294967295EEENS1_25partition_config_selectorILNS1_17partition_subalgoE3EjNS0_10empty_typeEbEEZZNS1_14partition_implILS8_3ELb0ES6_jNS0_17counting_iteratorIjlEEPS9_SE_NS0_5tupleIJPjSE_EEENSF_IJSE_SE_EEES9_SG_JZNS1_25segmented_radix_sort_implINS0_14default_configELb1EPKaPaPKlPlN2at6native12_GLOBAL__N_18offset_tEEE10hipError_tPvRmT1_PNSt15iterator_traitsISY_E10value_typeET2_T3_PNSZ_IS14_E10value_typeET4_jRbjT5_S1A_jjP12ihipStream_tbEUljE_EEESV_SW_SX_S14_S18_S1A_T6_T7_T9_mT8_S1C_bDpT10_ENKUlT_T0_E_clISt17integral_constantIbLb0EES1P_EEDaS1K_S1L_EUlS1K_E_NS1_11comp_targetILNS1_3genE4ELNS1_11target_archE910ELNS1_3gpuE8ELNS1_3repE0EEENS1_30default_config_static_selectorELNS0_4arch9wavefront6targetE0EEEvSY_ ; -- Begin function _ZN7rocprim17ROCPRIM_400000_NS6detail17trampoline_kernelINS0_13select_configILj256ELj13ELNS0_17block_load_methodE3ELS4_3ELS4_3ELNS0_20block_scan_algorithmE0ELj4294967295EEENS1_25partition_config_selectorILNS1_17partition_subalgoE3EjNS0_10empty_typeEbEEZZNS1_14partition_implILS8_3ELb0ES6_jNS0_17counting_iteratorIjlEEPS9_SE_NS0_5tupleIJPjSE_EEENSF_IJSE_SE_EEES9_SG_JZNS1_25segmented_radix_sort_implINS0_14default_configELb1EPKaPaPKlPlN2at6native12_GLOBAL__N_18offset_tEEE10hipError_tPvRmT1_PNSt15iterator_traitsISY_E10value_typeET2_T3_PNSZ_IS14_E10value_typeET4_jRbjT5_S1A_jjP12ihipStream_tbEUljE_EEESV_SW_SX_S14_S18_S1A_T6_T7_T9_mT8_S1C_bDpT10_ENKUlT_T0_E_clISt17integral_constantIbLb0EES1P_EEDaS1K_S1L_EUlS1K_E_NS1_11comp_targetILNS1_3genE4ELNS1_11target_archE910ELNS1_3gpuE8ELNS1_3repE0EEENS1_30default_config_static_selectorELNS0_4arch9wavefront6targetE0EEEvSY_
	.p2align	8
	.type	_ZN7rocprim17ROCPRIM_400000_NS6detail17trampoline_kernelINS0_13select_configILj256ELj13ELNS0_17block_load_methodE3ELS4_3ELS4_3ELNS0_20block_scan_algorithmE0ELj4294967295EEENS1_25partition_config_selectorILNS1_17partition_subalgoE3EjNS0_10empty_typeEbEEZZNS1_14partition_implILS8_3ELb0ES6_jNS0_17counting_iteratorIjlEEPS9_SE_NS0_5tupleIJPjSE_EEENSF_IJSE_SE_EEES9_SG_JZNS1_25segmented_radix_sort_implINS0_14default_configELb1EPKaPaPKlPlN2at6native12_GLOBAL__N_18offset_tEEE10hipError_tPvRmT1_PNSt15iterator_traitsISY_E10value_typeET2_T3_PNSZ_IS14_E10value_typeET4_jRbjT5_S1A_jjP12ihipStream_tbEUljE_EEESV_SW_SX_S14_S18_S1A_T6_T7_T9_mT8_S1C_bDpT10_ENKUlT_T0_E_clISt17integral_constantIbLb0EES1P_EEDaS1K_S1L_EUlS1K_E_NS1_11comp_targetILNS1_3genE4ELNS1_11target_archE910ELNS1_3gpuE8ELNS1_3repE0EEENS1_30default_config_static_selectorELNS0_4arch9wavefront6targetE0EEEvSY_,@function
_ZN7rocprim17ROCPRIM_400000_NS6detail17trampoline_kernelINS0_13select_configILj256ELj13ELNS0_17block_load_methodE3ELS4_3ELS4_3ELNS0_20block_scan_algorithmE0ELj4294967295EEENS1_25partition_config_selectorILNS1_17partition_subalgoE3EjNS0_10empty_typeEbEEZZNS1_14partition_implILS8_3ELb0ES6_jNS0_17counting_iteratorIjlEEPS9_SE_NS0_5tupleIJPjSE_EEENSF_IJSE_SE_EEES9_SG_JZNS1_25segmented_radix_sort_implINS0_14default_configELb1EPKaPaPKlPlN2at6native12_GLOBAL__N_18offset_tEEE10hipError_tPvRmT1_PNSt15iterator_traitsISY_E10value_typeET2_T3_PNSZ_IS14_E10value_typeET4_jRbjT5_S1A_jjP12ihipStream_tbEUljE_EEESV_SW_SX_S14_S18_S1A_T6_T7_T9_mT8_S1C_bDpT10_ENKUlT_T0_E_clISt17integral_constantIbLb0EES1P_EEDaS1K_S1L_EUlS1K_E_NS1_11comp_targetILNS1_3genE4ELNS1_11target_archE910ELNS1_3gpuE8ELNS1_3repE0EEENS1_30default_config_static_selectorELNS0_4arch9wavefront6targetE0EEEvSY_: ; @_ZN7rocprim17ROCPRIM_400000_NS6detail17trampoline_kernelINS0_13select_configILj256ELj13ELNS0_17block_load_methodE3ELS4_3ELS4_3ELNS0_20block_scan_algorithmE0ELj4294967295EEENS1_25partition_config_selectorILNS1_17partition_subalgoE3EjNS0_10empty_typeEbEEZZNS1_14partition_implILS8_3ELb0ES6_jNS0_17counting_iteratorIjlEEPS9_SE_NS0_5tupleIJPjSE_EEENSF_IJSE_SE_EEES9_SG_JZNS1_25segmented_radix_sort_implINS0_14default_configELb1EPKaPaPKlPlN2at6native12_GLOBAL__N_18offset_tEEE10hipError_tPvRmT1_PNSt15iterator_traitsISY_E10value_typeET2_T3_PNSZ_IS14_E10value_typeET4_jRbjT5_S1A_jjP12ihipStream_tbEUljE_EEESV_SW_SX_S14_S18_S1A_T6_T7_T9_mT8_S1C_bDpT10_ENKUlT_T0_E_clISt17integral_constantIbLb0EES1P_EEDaS1K_S1L_EUlS1K_E_NS1_11comp_targetILNS1_3genE4ELNS1_11target_archE910ELNS1_3gpuE8ELNS1_3repE0EEENS1_30default_config_static_selectorELNS0_4arch9wavefront6targetE0EEEvSY_
; %bb.0:
	.section	.rodata,"a",@progbits
	.p2align	6, 0x0
	.amdhsa_kernel _ZN7rocprim17ROCPRIM_400000_NS6detail17trampoline_kernelINS0_13select_configILj256ELj13ELNS0_17block_load_methodE3ELS4_3ELS4_3ELNS0_20block_scan_algorithmE0ELj4294967295EEENS1_25partition_config_selectorILNS1_17partition_subalgoE3EjNS0_10empty_typeEbEEZZNS1_14partition_implILS8_3ELb0ES6_jNS0_17counting_iteratorIjlEEPS9_SE_NS0_5tupleIJPjSE_EEENSF_IJSE_SE_EEES9_SG_JZNS1_25segmented_radix_sort_implINS0_14default_configELb1EPKaPaPKlPlN2at6native12_GLOBAL__N_18offset_tEEE10hipError_tPvRmT1_PNSt15iterator_traitsISY_E10value_typeET2_T3_PNSZ_IS14_E10value_typeET4_jRbjT5_S1A_jjP12ihipStream_tbEUljE_EEESV_SW_SX_S14_S18_S1A_T6_T7_T9_mT8_S1C_bDpT10_ENKUlT_T0_E_clISt17integral_constantIbLb0EES1P_EEDaS1K_S1L_EUlS1K_E_NS1_11comp_targetILNS1_3genE4ELNS1_11target_archE910ELNS1_3gpuE8ELNS1_3repE0EEENS1_30default_config_static_selectorELNS0_4arch9wavefront6targetE0EEEvSY_
		.amdhsa_group_segment_fixed_size 0
		.amdhsa_private_segment_fixed_size 0
		.amdhsa_kernarg_size 144
		.amdhsa_user_sgpr_count 2
		.amdhsa_user_sgpr_dispatch_ptr 0
		.amdhsa_user_sgpr_queue_ptr 0
		.amdhsa_user_sgpr_kernarg_segment_ptr 1
		.amdhsa_user_sgpr_dispatch_id 0
		.amdhsa_user_sgpr_kernarg_preload_length 0
		.amdhsa_user_sgpr_kernarg_preload_offset 0
		.amdhsa_user_sgpr_private_segment_size 0
		.amdhsa_wavefront_size32 1
		.amdhsa_uses_dynamic_stack 0
		.amdhsa_enable_private_segment 0
		.amdhsa_system_sgpr_workgroup_id_x 1
		.amdhsa_system_sgpr_workgroup_id_y 0
		.amdhsa_system_sgpr_workgroup_id_z 0
		.amdhsa_system_sgpr_workgroup_info 0
		.amdhsa_system_vgpr_workitem_id 0
		.amdhsa_next_free_vgpr 1
		.amdhsa_next_free_sgpr 1
		.amdhsa_named_barrier_count 0
		.amdhsa_reserve_vcc 0
		.amdhsa_float_round_mode_32 0
		.amdhsa_float_round_mode_16_64 0
		.amdhsa_float_denorm_mode_32 3
		.amdhsa_float_denorm_mode_16_64 3
		.amdhsa_fp16_overflow 0
		.amdhsa_memory_ordered 1
		.amdhsa_forward_progress 1
		.amdhsa_inst_pref_size 0
		.amdhsa_round_robin_scheduling 0
		.amdhsa_exception_fp_ieee_invalid_op 0
		.amdhsa_exception_fp_denorm_src 0
		.amdhsa_exception_fp_ieee_div_zero 0
		.amdhsa_exception_fp_ieee_overflow 0
		.amdhsa_exception_fp_ieee_underflow 0
		.amdhsa_exception_fp_ieee_inexact 0
		.amdhsa_exception_int_div_zero 0
	.end_amdhsa_kernel
	.section	.text._ZN7rocprim17ROCPRIM_400000_NS6detail17trampoline_kernelINS0_13select_configILj256ELj13ELNS0_17block_load_methodE3ELS4_3ELS4_3ELNS0_20block_scan_algorithmE0ELj4294967295EEENS1_25partition_config_selectorILNS1_17partition_subalgoE3EjNS0_10empty_typeEbEEZZNS1_14partition_implILS8_3ELb0ES6_jNS0_17counting_iteratorIjlEEPS9_SE_NS0_5tupleIJPjSE_EEENSF_IJSE_SE_EEES9_SG_JZNS1_25segmented_radix_sort_implINS0_14default_configELb1EPKaPaPKlPlN2at6native12_GLOBAL__N_18offset_tEEE10hipError_tPvRmT1_PNSt15iterator_traitsISY_E10value_typeET2_T3_PNSZ_IS14_E10value_typeET4_jRbjT5_S1A_jjP12ihipStream_tbEUljE_EEESV_SW_SX_S14_S18_S1A_T6_T7_T9_mT8_S1C_bDpT10_ENKUlT_T0_E_clISt17integral_constantIbLb0EES1P_EEDaS1K_S1L_EUlS1K_E_NS1_11comp_targetILNS1_3genE4ELNS1_11target_archE910ELNS1_3gpuE8ELNS1_3repE0EEENS1_30default_config_static_selectorELNS0_4arch9wavefront6targetE0EEEvSY_,"axG",@progbits,_ZN7rocprim17ROCPRIM_400000_NS6detail17trampoline_kernelINS0_13select_configILj256ELj13ELNS0_17block_load_methodE3ELS4_3ELS4_3ELNS0_20block_scan_algorithmE0ELj4294967295EEENS1_25partition_config_selectorILNS1_17partition_subalgoE3EjNS0_10empty_typeEbEEZZNS1_14partition_implILS8_3ELb0ES6_jNS0_17counting_iteratorIjlEEPS9_SE_NS0_5tupleIJPjSE_EEENSF_IJSE_SE_EEES9_SG_JZNS1_25segmented_radix_sort_implINS0_14default_configELb1EPKaPaPKlPlN2at6native12_GLOBAL__N_18offset_tEEE10hipError_tPvRmT1_PNSt15iterator_traitsISY_E10value_typeET2_T3_PNSZ_IS14_E10value_typeET4_jRbjT5_S1A_jjP12ihipStream_tbEUljE_EEESV_SW_SX_S14_S18_S1A_T6_T7_T9_mT8_S1C_bDpT10_ENKUlT_T0_E_clISt17integral_constantIbLb0EES1P_EEDaS1K_S1L_EUlS1K_E_NS1_11comp_targetILNS1_3genE4ELNS1_11target_archE910ELNS1_3gpuE8ELNS1_3repE0EEENS1_30default_config_static_selectorELNS0_4arch9wavefront6targetE0EEEvSY_,comdat
.Lfunc_end258:
	.size	_ZN7rocprim17ROCPRIM_400000_NS6detail17trampoline_kernelINS0_13select_configILj256ELj13ELNS0_17block_load_methodE3ELS4_3ELS4_3ELNS0_20block_scan_algorithmE0ELj4294967295EEENS1_25partition_config_selectorILNS1_17partition_subalgoE3EjNS0_10empty_typeEbEEZZNS1_14partition_implILS8_3ELb0ES6_jNS0_17counting_iteratorIjlEEPS9_SE_NS0_5tupleIJPjSE_EEENSF_IJSE_SE_EEES9_SG_JZNS1_25segmented_radix_sort_implINS0_14default_configELb1EPKaPaPKlPlN2at6native12_GLOBAL__N_18offset_tEEE10hipError_tPvRmT1_PNSt15iterator_traitsISY_E10value_typeET2_T3_PNSZ_IS14_E10value_typeET4_jRbjT5_S1A_jjP12ihipStream_tbEUljE_EEESV_SW_SX_S14_S18_S1A_T6_T7_T9_mT8_S1C_bDpT10_ENKUlT_T0_E_clISt17integral_constantIbLb0EES1P_EEDaS1K_S1L_EUlS1K_E_NS1_11comp_targetILNS1_3genE4ELNS1_11target_archE910ELNS1_3gpuE8ELNS1_3repE0EEENS1_30default_config_static_selectorELNS0_4arch9wavefront6targetE0EEEvSY_, .Lfunc_end258-_ZN7rocprim17ROCPRIM_400000_NS6detail17trampoline_kernelINS0_13select_configILj256ELj13ELNS0_17block_load_methodE3ELS4_3ELS4_3ELNS0_20block_scan_algorithmE0ELj4294967295EEENS1_25partition_config_selectorILNS1_17partition_subalgoE3EjNS0_10empty_typeEbEEZZNS1_14partition_implILS8_3ELb0ES6_jNS0_17counting_iteratorIjlEEPS9_SE_NS0_5tupleIJPjSE_EEENSF_IJSE_SE_EEES9_SG_JZNS1_25segmented_radix_sort_implINS0_14default_configELb1EPKaPaPKlPlN2at6native12_GLOBAL__N_18offset_tEEE10hipError_tPvRmT1_PNSt15iterator_traitsISY_E10value_typeET2_T3_PNSZ_IS14_E10value_typeET4_jRbjT5_S1A_jjP12ihipStream_tbEUljE_EEESV_SW_SX_S14_S18_S1A_T6_T7_T9_mT8_S1C_bDpT10_ENKUlT_T0_E_clISt17integral_constantIbLb0EES1P_EEDaS1K_S1L_EUlS1K_E_NS1_11comp_targetILNS1_3genE4ELNS1_11target_archE910ELNS1_3gpuE8ELNS1_3repE0EEENS1_30default_config_static_selectorELNS0_4arch9wavefront6targetE0EEEvSY_
                                        ; -- End function
	.set _ZN7rocprim17ROCPRIM_400000_NS6detail17trampoline_kernelINS0_13select_configILj256ELj13ELNS0_17block_load_methodE3ELS4_3ELS4_3ELNS0_20block_scan_algorithmE0ELj4294967295EEENS1_25partition_config_selectorILNS1_17partition_subalgoE3EjNS0_10empty_typeEbEEZZNS1_14partition_implILS8_3ELb0ES6_jNS0_17counting_iteratorIjlEEPS9_SE_NS0_5tupleIJPjSE_EEENSF_IJSE_SE_EEES9_SG_JZNS1_25segmented_radix_sort_implINS0_14default_configELb1EPKaPaPKlPlN2at6native12_GLOBAL__N_18offset_tEEE10hipError_tPvRmT1_PNSt15iterator_traitsISY_E10value_typeET2_T3_PNSZ_IS14_E10value_typeET4_jRbjT5_S1A_jjP12ihipStream_tbEUljE_EEESV_SW_SX_S14_S18_S1A_T6_T7_T9_mT8_S1C_bDpT10_ENKUlT_T0_E_clISt17integral_constantIbLb0EES1P_EEDaS1K_S1L_EUlS1K_E_NS1_11comp_targetILNS1_3genE4ELNS1_11target_archE910ELNS1_3gpuE8ELNS1_3repE0EEENS1_30default_config_static_selectorELNS0_4arch9wavefront6targetE0EEEvSY_.num_vgpr, 0
	.set _ZN7rocprim17ROCPRIM_400000_NS6detail17trampoline_kernelINS0_13select_configILj256ELj13ELNS0_17block_load_methodE3ELS4_3ELS4_3ELNS0_20block_scan_algorithmE0ELj4294967295EEENS1_25partition_config_selectorILNS1_17partition_subalgoE3EjNS0_10empty_typeEbEEZZNS1_14partition_implILS8_3ELb0ES6_jNS0_17counting_iteratorIjlEEPS9_SE_NS0_5tupleIJPjSE_EEENSF_IJSE_SE_EEES9_SG_JZNS1_25segmented_radix_sort_implINS0_14default_configELb1EPKaPaPKlPlN2at6native12_GLOBAL__N_18offset_tEEE10hipError_tPvRmT1_PNSt15iterator_traitsISY_E10value_typeET2_T3_PNSZ_IS14_E10value_typeET4_jRbjT5_S1A_jjP12ihipStream_tbEUljE_EEESV_SW_SX_S14_S18_S1A_T6_T7_T9_mT8_S1C_bDpT10_ENKUlT_T0_E_clISt17integral_constantIbLb0EES1P_EEDaS1K_S1L_EUlS1K_E_NS1_11comp_targetILNS1_3genE4ELNS1_11target_archE910ELNS1_3gpuE8ELNS1_3repE0EEENS1_30default_config_static_selectorELNS0_4arch9wavefront6targetE0EEEvSY_.num_agpr, 0
	.set _ZN7rocprim17ROCPRIM_400000_NS6detail17trampoline_kernelINS0_13select_configILj256ELj13ELNS0_17block_load_methodE3ELS4_3ELS4_3ELNS0_20block_scan_algorithmE0ELj4294967295EEENS1_25partition_config_selectorILNS1_17partition_subalgoE3EjNS0_10empty_typeEbEEZZNS1_14partition_implILS8_3ELb0ES6_jNS0_17counting_iteratorIjlEEPS9_SE_NS0_5tupleIJPjSE_EEENSF_IJSE_SE_EEES9_SG_JZNS1_25segmented_radix_sort_implINS0_14default_configELb1EPKaPaPKlPlN2at6native12_GLOBAL__N_18offset_tEEE10hipError_tPvRmT1_PNSt15iterator_traitsISY_E10value_typeET2_T3_PNSZ_IS14_E10value_typeET4_jRbjT5_S1A_jjP12ihipStream_tbEUljE_EEESV_SW_SX_S14_S18_S1A_T6_T7_T9_mT8_S1C_bDpT10_ENKUlT_T0_E_clISt17integral_constantIbLb0EES1P_EEDaS1K_S1L_EUlS1K_E_NS1_11comp_targetILNS1_3genE4ELNS1_11target_archE910ELNS1_3gpuE8ELNS1_3repE0EEENS1_30default_config_static_selectorELNS0_4arch9wavefront6targetE0EEEvSY_.numbered_sgpr, 0
	.set _ZN7rocprim17ROCPRIM_400000_NS6detail17trampoline_kernelINS0_13select_configILj256ELj13ELNS0_17block_load_methodE3ELS4_3ELS4_3ELNS0_20block_scan_algorithmE0ELj4294967295EEENS1_25partition_config_selectorILNS1_17partition_subalgoE3EjNS0_10empty_typeEbEEZZNS1_14partition_implILS8_3ELb0ES6_jNS0_17counting_iteratorIjlEEPS9_SE_NS0_5tupleIJPjSE_EEENSF_IJSE_SE_EEES9_SG_JZNS1_25segmented_radix_sort_implINS0_14default_configELb1EPKaPaPKlPlN2at6native12_GLOBAL__N_18offset_tEEE10hipError_tPvRmT1_PNSt15iterator_traitsISY_E10value_typeET2_T3_PNSZ_IS14_E10value_typeET4_jRbjT5_S1A_jjP12ihipStream_tbEUljE_EEESV_SW_SX_S14_S18_S1A_T6_T7_T9_mT8_S1C_bDpT10_ENKUlT_T0_E_clISt17integral_constantIbLb0EES1P_EEDaS1K_S1L_EUlS1K_E_NS1_11comp_targetILNS1_3genE4ELNS1_11target_archE910ELNS1_3gpuE8ELNS1_3repE0EEENS1_30default_config_static_selectorELNS0_4arch9wavefront6targetE0EEEvSY_.num_named_barrier, 0
	.set _ZN7rocprim17ROCPRIM_400000_NS6detail17trampoline_kernelINS0_13select_configILj256ELj13ELNS0_17block_load_methodE3ELS4_3ELS4_3ELNS0_20block_scan_algorithmE0ELj4294967295EEENS1_25partition_config_selectorILNS1_17partition_subalgoE3EjNS0_10empty_typeEbEEZZNS1_14partition_implILS8_3ELb0ES6_jNS0_17counting_iteratorIjlEEPS9_SE_NS0_5tupleIJPjSE_EEENSF_IJSE_SE_EEES9_SG_JZNS1_25segmented_radix_sort_implINS0_14default_configELb1EPKaPaPKlPlN2at6native12_GLOBAL__N_18offset_tEEE10hipError_tPvRmT1_PNSt15iterator_traitsISY_E10value_typeET2_T3_PNSZ_IS14_E10value_typeET4_jRbjT5_S1A_jjP12ihipStream_tbEUljE_EEESV_SW_SX_S14_S18_S1A_T6_T7_T9_mT8_S1C_bDpT10_ENKUlT_T0_E_clISt17integral_constantIbLb0EES1P_EEDaS1K_S1L_EUlS1K_E_NS1_11comp_targetILNS1_3genE4ELNS1_11target_archE910ELNS1_3gpuE8ELNS1_3repE0EEENS1_30default_config_static_selectorELNS0_4arch9wavefront6targetE0EEEvSY_.private_seg_size, 0
	.set _ZN7rocprim17ROCPRIM_400000_NS6detail17trampoline_kernelINS0_13select_configILj256ELj13ELNS0_17block_load_methodE3ELS4_3ELS4_3ELNS0_20block_scan_algorithmE0ELj4294967295EEENS1_25partition_config_selectorILNS1_17partition_subalgoE3EjNS0_10empty_typeEbEEZZNS1_14partition_implILS8_3ELb0ES6_jNS0_17counting_iteratorIjlEEPS9_SE_NS0_5tupleIJPjSE_EEENSF_IJSE_SE_EEES9_SG_JZNS1_25segmented_radix_sort_implINS0_14default_configELb1EPKaPaPKlPlN2at6native12_GLOBAL__N_18offset_tEEE10hipError_tPvRmT1_PNSt15iterator_traitsISY_E10value_typeET2_T3_PNSZ_IS14_E10value_typeET4_jRbjT5_S1A_jjP12ihipStream_tbEUljE_EEESV_SW_SX_S14_S18_S1A_T6_T7_T9_mT8_S1C_bDpT10_ENKUlT_T0_E_clISt17integral_constantIbLb0EES1P_EEDaS1K_S1L_EUlS1K_E_NS1_11comp_targetILNS1_3genE4ELNS1_11target_archE910ELNS1_3gpuE8ELNS1_3repE0EEENS1_30default_config_static_selectorELNS0_4arch9wavefront6targetE0EEEvSY_.uses_vcc, 0
	.set _ZN7rocprim17ROCPRIM_400000_NS6detail17trampoline_kernelINS0_13select_configILj256ELj13ELNS0_17block_load_methodE3ELS4_3ELS4_3ELNS0_20block_scan_algorithmE0ELj4294967295EEENS1_25partition_config_selectorILNS1_17partition_subalgoE3EjNS0_10empty_typeEbEEZZNS1_14partition_implILS8_3ELb0ES6_jNS0_17counting_iteratorIjlEEPS9_SE_NS0_5tupleIJPjSE_EEENSF_IJSE_SE_EEES9_SG_JZNS1_25segmented_radix_sort_implINS0_14default_configELb1EPKaPaPKlPlN2at6native12_GLOBAL__N_18offset_tEEE10hipError_tPvRmT1_PNSt15iterator_traitsISY_E10value_typeET2_T3_PNSZ_IS14_E10value_typeET4_jRbjT5_S1A_jjP12ihipStream_tbEUljE_EEESV_SW_SX_S14_S18_S1A_T6_T7_T9_mT8_S1C_bDpT10_ENKUlT_T0_E_clISt17integral_constantIbLb0EES1P_EEDaS1K_S1L_EUlS1K_E_NS1_11comp_targetILNS1_3genE4ELNS1_11target_archE910ELNS1_3gpuE8ELNS1_3repE0EEENS1_30default_config_static_selectorELNS0_4arch9wavefront6targetE0EEEvSY_.uses_flat_scratch, 0
	.set _ZN7rocprim17ROCPRIM_400000_NS6detail17trampoline_kernelINS0_13select_configILj256ELj13ELNS0_17block_load_methodE3ELS4_3ELS4_3ELNS0_20block_scan_algorithmE0ELj4294967295EEENS1_25partition_config_selectorILNS1_17partition_subalgoE3EjNS0_10empty_typeEbEEZZNS1_14partition_implILS8_3ELb0ES6_jNS0_17counting_iteratorIjlEEPS9_SE_NS0_5tupleIJPjSE_EEENSF_IJSE_SE_EEES9_SG_JZNS1_25segmented_radix_sort_implINS0_14default_configELb1EPKaPaPKlPlN2at6native12_GLOBAL__N_18offset_tEEE10hipError_tPvRmT1_PNSt15iterator_traitsISY_E10value_typeET2_T3_PNSZ_IS14_E10value_typeET4_jRbjT5_S1A_jjP12ihipStream_tbEUljE_EEESV_SW_SX_S14_S18_S1A_T6_T7_T9_mT8_S1C_bDpT10_ENKUlT_T0_E_clISt17integral_constantIbLb0EES1P_EEDaS1K_S1L_EUlS1K_E_NS1_11comp_targetILNS1_3genE4ELNS1_11target_archE910ELNS1_3gpuE8ELNS1_3repE0EEENS1_30default_config_static_selectorELNS0_4arch9wavefront6targetE0EEEvSY_.has_dyn_sized_stack, 0
	.set _ZN7rocprim17ROCPRIM_400000_NS6detail17trampoline_kernelINS0_13select_configILj256ELj13ELNS0_17block_load_methodE3ELS4_3ELS4_3ELNS0_20block_scan_algorithmE0ELj4294967295EEENS1_25partition_config_selectorILNS1_17partition_subalgoE3EjNS0_10empty_typeEbEEZZNS1_14partition_implILS8_3ELb0ES6_jNS0_17counting_iteratorIjlEEPS9_SE_NS0_5tupleIJPjSE_EEENSF_IJSE_SE_EEES9_SG_JZNS1_25segmented_radix_sort_implINS0_14default_configELb1EPKaPaPKlPlN2at6native12_GLOBAL__N_18offset_tEEE10hipError_tPvRmT1_PNSt15iterator_traitsISY_E10value_typeET2_T3_PNSZ_IS14_E10value_typeET4_jRbjT5_S1A_jjP12ihipStream_tbEUljE_EEESV_SW_SX_S14_S18_S1A_T6_T7_T9_mT8_S1C_bDpT10_ENKUlT_T0_E_clISt17integral_constantIbLb0EES1P_EEDaS1K_S1L_EUlS1K_E_NS1_11comp_targetILNS1_3genE4ELNS1_11target_archE910ELNS1_3gpuE8ELNS1_3repE0EEENS1_30default_config_static_selectorELNS0_4arch9wavefront6targetE0EEEvSY_.has_recursion, 0
	.set _ZN7rocprim17ROCPRIM_400000_NS6detail17trampoline_kernelINS0_13select_configILj256ELj13ELNS0_17block_load_methodE3ELS4_3ELS4_3ELNS0_20block_scan_algorithmE0ELj4294967295EEENS1_25partition_config_selectorILNS1_17partition_subalgoE3EjNS0_10empty_typeEbEEZZNS1_14partition_implILS8_3ELb0ES6_jNS0_17counting_iteratorIjlEEPS9_SE_NS0_5tupleIJPjSE_EEENSF_IJSE_SE_EEES9_SG_JZNS1_25segmented_radix_sort_implINS0_14default_configELb1EPKaPaPKlPlN2at6native12_GLOBAL__N_18offset_tEEE10hipError_tPvRmT1_PNSt15iterator_traitsISY_E10value_typeET2_T3_PNSZ_IS14_E10value_typeET4_jRbjT5_S1A_jjP12ihipStream_tbEUljE_EEESV_SW_SX_S14_S18_S1A_T6_T7_T9_mT8_S1C_bDpT10_ENKUlT_T0_E_clISt17integral_constantIbLb0EES1P_EEDaS1K_S1L_EUlS1K_E_NS1_11comp_targetILNS1_3genE4ELNS1_11target_archE910ELNS1_3gpuE8ELNS1_3repE0EEENS1_30default_config_static_selectorELNS0_4arch9wavefront6targetE0EEEvSY_.has_indirect_call, 0
	.section	.AMDGPU.csdata,"",@progbits
; Kernel info:
; codeLenInByte = 0
; TotalNumSgprs: 0
; NumVgprs: 0
; ScratchSize: 0
; MemoryBound: 0
; FloatMode: 240
; IeeeMode: 1
; LDSByteSize: 0 bytes/workgroup (compile time only)
; SGPRBlocks: 0
; VGPRBlocks: 0
; NumSGPRsForWavesPerEU: 1
; NumVGPRsForWavesPerEU: 1
; NamedBarCnt: 0
; Occupancy: 16
; WaveLimiterHint : 0
; COMPUTE_PGM_RSRC2:SCRATCH_EN: 0
; COMPUTE_PGM_RSRC2:USER_SGPR: 2
; COMPUTE_PGM_RSRC2:TRAP_HANDLER: 0
; COMPUTE_PGM_RSRC2:TGID_X_EN: 1
; COMPUTE_PGM_RSRC2:TGID_Y_EN: 0
; COMPUTE_PGM_RSRC2:TGID_Z_EN: 0
; COMPUTE_PGM_RSRC2:TIDIG_COMP_CNT: 0
	.section	.text._ZN7rocprim17ROCPRIM_400000_NS6detail17trampoline_kernelINS0_13select_configILj256ELj13ELNS0_17block_load_methodE3ELS4_3ELS4_3ELNS0_20block_scan_algorithmE0ELj4294967295EEENS1_25partition_config_selectorILNS1_17partition_subalgoE3EjNS0_10empty_typeEbEEZZNS1_14partition_implILS8_3ELb0ES6_jNS0_17counting_iteratorIjlEEPS9_SE_NS0_5tupleIJPjSE_EEENSF_IJSE_SE_EEES9_SG_JZNS1_25segmented_radix_sort_implINS0_14default_configELb1EPKaPaPKlPlN2at6native12_GLOBAL__N_18offset_tEEE10hipError_tPvRmT1_PNSt15iterator_traitsISY_E10value_typeET2_T3_PNSZ_IS14_E10value_typeET4_jRbjT5_S1A_jjP12ihipStream_tbEUljE_EEESV_SW_SX_S14_S18_S1A_T6_T7_T9_mT8_S1C_bDpT10_ENKUlT_T0_E_clISt17integral_constantIbLb0EES1P_EEDaS1K_S1L_EUlS1K_E_NS1_11comp_targetILNS1_3genE3ELNS1_11target_archE908ELNS1_3gpuE7ELNS1_3repE0EEENS1_30default_config_static_selectorELNS0_4arch9wavefront6targetE0EEEvSY_,"axG",@progbits,_ZN7rocprim17ROCPRIM_400000_NS6detail17trampoline_kernelINS0_13select_configILj256ELj13ELNS0_17block_load_methodE3ELS4_3ELS4_3ELNS0_20block_scan_algorithmE0ELj4294967295EEENS1_25partition_config_selectorILNS1_17partition_subalgoE3EjNS0_10empty_typeEbEEZZNS1_14partition_implILS8_3ELb0ES6_jNS0_17counting_iteratorIjlEEPS9_SE_NS0_5tupleIJPjSE_EEENSF_IJSE_SE_EEES9_SG_JZNS1_25segmented_radix_sort_implINS0_14default_configELb1EPKaPaPKlPlN2at6native12_GLOBAL__N_18offset_tEEE10hipError_tPvRmT1_PNSt15iterator_traitsISY_E10value_typeET2_T3_PNSZ_IS14_E10value_typeET4_jRbjT5_S1A_jjP12ihipStream_tbEUljE_EEESV_SW_SX_S14_S18_S1A_T6_T7_T9_mT8_S1C_bDpT10_ENKUlT_T0_E_clISt17integral_constantIbLb0EES1P_EEDaS1K_S1L_EUlS1K_E_NS1_11comp_targetILNS1_3genE3ELNS1_11target_archE908ELNS1_3gpuE7ELNS1_3repE0EEENS1_30default_config_static_selectorELNS0_4arch9wavefront6targetE0EEEvSY_,comdat
	.globl	_ZN7rocprim17ROCPRIM_400000_NS6detail17trampoline_kernelINS0_13select_configILj256ELj13ELNS0_17block_load_methodE3ELS4_3ELS4_3ELNS0_20block_scan_algorithmE0ELj4294967295EEENS1_25partition_config_selectorILNS1_17partition_subalgoE3EjNS0_10empty_typeEbEEZZNS1_14partition_implILS8_3ELb0ES6_jNS0_17counting_iteratorIjlEEPS9_SE_NS0_5tupleIJPjSE_EEENSF_IJSE_SE_EEES9_SG_JZNS1_25segmented_radix_sort_implINS0_14default_configELb1EPKaPaPKlPlN2at6native12_GLOBAL__N_18offset_tEEE10hipError_tPvRmT1_PNSt15iterator_traitsISY_E10value_typeET2_T3_PNSZ_IS14_E10value_typeET4_jRbjT5_S1A_jjP12ihipStream_tbEUljE_EEESV_SW_SX_S14_S18_S1A_T6_T7_T9_mT8_S1C_bDpT10_ENKUlT_T0_E_clISt17integral_constantIbLb0EES1P_EEDaS1K_S1L_EUlS1K_E_NS1_11comp_targetILNS1_3genE3ELNS1_11target_archE908ELNS1_3gpuE7ELNS1_3repE0EEENS1_30default_config_static_selectorELNS0_4arch9wavefront6targetE0EEEvSY_ ; -- Begin function _ZN7rocprim17ROCPRIM_400000_NS6detail17trampoline_kernelINS0_13select_configILj256ELj13ELNS0_17block_load_methodE3ELS4_3ELS4_3ELNS0_20block_scan_algorithmE0ELj4294967295EEENS1_25partition_config_selectorILNS1_17partition_subalgoE3EjNS0_10empty_typeEbEEZZNS1_14partition_implILS8_3ELb0ES6_jNS0_17counting_iteratorIjlEEPS9_SE_NS0_5tupleIJPjSE_EEENSF_IJSE_SE_EEES9_SG_JZNS1_25segmented_radix_sort_implINS0_14default_configELb1EPKaPaPKlPlN2at6native12_GLOBAL__N_18offset_tEEE10hipError_tPvRmT1_PNSt15iterator_traitsISY_E10value_typeET2_T3_PNSZ_IS14_E10value_typeET4_jRbjT5_S1A_jjP12ihipStream_tbEUljE_EEESV_SW_SX_S14_S18_S1A_T6_T7_T9_mT8_S1C_bDpT10_ENKUlT_T0_E_clISt17integral_constantIbLb0EES1P_EEDaS1K_S1L_EUlS1K_E_NS1_11comp_targetILNS1_3genE3ELNS1_11target_archE908ELNS1_3gpuE7ELNS1_3repE0EEENS1_30default_config_static_selectorELNS0_4arch9wavefront6targetE0EEEvSY_
	.p2align	8
	.type	_ZN7rocprim17ROCPRIM_400000_NS6detail17trampoline_kernelINS0_13select_configILj256ELj13ELNS0_17block_load_methodE3ELS4_3ELS4_3ELNS0_20block_scan_algorithmE0ELj4294967295EEENS1_25partition_config_selectorILNS1_17partition_subalgoE3EjNS0_10empty_typeEbEEZZNS1_14partition_implILS8_3ELb0ES6_jNS0_17counting_iteratorIjlEEPS9_SE_NS0_5tupleIJPjSE_EEENSF_IJSE_SE_EEES9_SG_JZNS1_25segmented_radix_sort_implINS0_14default_configELb1EPKaPaPKlPlN2at6native12_GLOBAL__N_18offset_tEEE10hipError_tPvRmT1_PNSt15iterator_traitsISY_E10value_typeET2_T3_PNSZ_IS14_E10value_typeET4_jRbjT5_S1A_jjP12ihipStream_tbEUljE_EEESV_SW_SX_S14_S18_S1A_T6_T7_T9_mT8_S1C_bDpT10_ENKUlT_T0_E_clISt17integral_constantIbLb0EES1P_EEDaS1K_S1L_EUlS1K_E_NS1_11comp_targetILNS1_3genE3ELNS1_11target_archE908ELNS1_3gpuE7ELNS1_3repE0EEENS1_30default_config_static_selectorELNS0_4arch9wavefront6targetE0EEEvSY_,@function
_ZN7rocprim17ROCPRIM_400000_NS6detail17trampoline_kernelINS0_13select_configILj256ELj13ELNS0_17block_load_methodE3ELS4_3ELS4_3ELNS0_20block_scan_algorithmE0ELj4294967295EEENS1_25partition_config_selectorILNS1_17partition_subalgoE3EjNS0_10empty_typeEbEEZZNS1_14partition_implILS8_3ELb0ES6_jNS0_17counting_iteratorIjlEEPS9_SE_NS0_5tupleIJPjSE_EEENSF_IJSE_SE_EEES9_SG_JZNS1_25segmented_radix_sort_implINS0_14default_configELb1EPKaPaPKlPlN2at6native12_GLOBAL__N_18offset_tEEE10hipError_tPvRmT1_PNSt15iterator_traitsISY_E10value_typeET2_T3_PNSZ_IS14_E10value_typeET4_jRbjT5_S1A_jjP12ihipStream_tbEUljE_EEESV_SW_SX_S14_S18_S1A_T6_T7_T9_mT8_S1C_bDpT10_ENKUlT_T0_E_clISt17integral_constantIbLb0EES1P_EEDaS1K_S1L_EUlS1K_E_NS1_11comp_targetILNS1_3genE3ELNS1_11target_archE908ELNS1_3gpuE7ELNS1_3repE0EEENS1_30default_config_static_selectorELNS0_4arch9wavefront6targetE0EEEvSY_: ; @_ZN7rocprim17ROCPRIM_400000_NS6detail17trampoline_kernelINS0_13select_configILj256ELj13ELNS0_17block_load_methodE3ELS4_3ELS4_3ELNS0_20block_scan_algorithmE0ELj4294967295EEENS1_25partition_config_selectorILNS1_17partition_subalgoE3EjNS0_10empty_typeEbEEZZNS1_14partition_implILS8_3ELb0ES6_jNS0_17counting_iteratorIjlEEPS9_SE_NS0_5tupleIJPjSE_EEENSF_IJSE_SE_EEES9_SG_JZNS1_25segmented_radix_sort_implINS0_14default_configELb1EPKaPaPKlPlN2at6native12_GLOBAL__N_18offset_tEEE10hipError_tPvRmT1_PNSt15iterator_traitsISY_E10value_typeET2_T3_PNSZ_IS14_E10value_typeET4_jRbjT5_S1A_jjP12ihipStream_tbEUljE_EEESV_SW_SX_S14_S18_S1A_T6_T7_T9_mT8_S1C_bDpT10_ENKUlT_T0_E_clISt17integral_constantIbLb0EES1P_EEDaS1K_S1L_EUlS1K_E_NS1_11comp_targetILNS1_3genE3ELNS1_11target_archE908ELNS1_3gpuE7ELNS1_3repE0EEENS1_30default_config_static_selectorELNS0_4arch9wavefront6targetE0EEEvSY_
; %bb.0:
	.section	.rodata,"a",@progbits
	.p2align	6, 0x0
	.amdhsa_kernel _ZN7rocprim17ROCPRIM_400000_NS6detail17trampoline_kernelINS0_13select_configILj256ELj13ELNS0_17block_load_methodE3ELS4_3ELS4_3ELNS0_20block_scan_algorithmE0ELj4294967295EEENS1_25partition_config_selectorILNS1_17partition_subalgoE3EjNS0_10empty_typeEbEEZZNS1_14partition_implILS8_3ELb0ES6_jNS0_17counting_iteratorIjlEEPS9_SE_NS0_5tupleIJPjSE_EEENSF_IJSE_SE_EEES9_SG_JZNS1_25segmented_radix_sort_implINS0_14default_configELb1EPKaPaPKlPlN2at6native12_GLOBAL__N_18offset_tEEE10hipError_tPvRmT1_PNSt15iterator_traitsISY_E10value_typeET2_T3_PNSZ_IS14_E10value_typeET4_jRbjT5_S1A_jjP12ihipStream_tbEUljE_EEESV_SW_SX_S14_S18_S1A_T6_T7_T9_mT8_S1C_bDpT10_ENKUlT_T0_E_clISt17integral_constantIbLb0EES1P_EEDaS1K_S1L_EUlS1K_E_NS1_11comp_targetILNS1_3genE3ELNS1_11target_archE908ELNS1_3gpuE7ELNS1_3repE0EEENS1_30default_config_static_selectorELNS0_4arch9wavefront6targetE0EEEvSY_
		.amdhsa_group_segment_fixed_size 0
		.amdhsa_private_segment_fixed_size 0
		.amdhsa_kernarg_size 144
		.amdhsa_user_sgpr_count 2
		.amdhsa_user_sgpr_dispatch_ptr 0
		.amdhsa_user_sgpr_queue_ptr 0
		.amdhsa_user_sgpr_kernarg_segment_ptr 1
		.amdhsa_user_sgpr_dispatch_id 0
		.amdhsa_user_sgpr_kernarg_preload_length 0
		.amdhsa_user_sgpr_kernarg_preload_offset 0
		.amdhsa_user_sgpr_private_segment_size 0
		.amdhsa_wavefront_size32 1
		.amdhsa_uses_dynamic_stack 0
		.amdhsa_enable_private_segment 0
		.amdhsa_system_sgpr_workgroup_id_x 1
		.amdhsa_system_sgpr_workgroup_id_y 0
		.amdhsa_system_sgpr_workgroup_id_z 0
		.amdhsa_system_sgpr_workgroup_info 0
		.amdhsa_system_vgpr_workitem_id 0
		.amdhsa_next_free_vgpr 1
		.amdhsa_next_free_sgpr 1
		.amdhsa_named_barrier_count 0
		.amdhsa_reserve_vcc 0
		.amdhsa_float_round_mode_32 0
		.amdhsa_float_round_mode_16_64 0
		.amdhsa_float_denorm_mode_32 3
		.amdhsa_float_denorm_mode_16_64 3
		.amdhsa_fp16_overflow 0
		.amdhsa_memory_ordered 1
		.amdhsa_forward_progress 1
		.amdhsa_inst_pref_size 0
		.amdhsa_round_robin_scheduling 0
		.amdhsa_exception_fp_ieee_invalid_op 0
		.amdhsa_exception_fp_denorm_src 0
		.amdhsa_exception_fp_ieee_div_zero 0
		.amdhsa_exception_fp_ieee_overflow 0
		.amdhsa_exception_fp_ieee_underflow 0
		.amdhsa_exception_fp_ieee_inexact 0
		.amdhsa_exception_int_div_zero 0
	.end_amdhsa_kernel
	.section	.text._ZN7rocprim17ROCPRIM_400000_NS6detail17trampoline_kernelINS0_13select_configILj256ELj13ELNS0_17block_load_methodE3ELS4_3ELS4_3ELNS0_20block_scan_algorithmE0ELj4294967295EEENS1_25partition_config_selectorILNS1_17partition_subalgoE3EjNS0_10empty_typeEbEEZZNS1_14partition_implILS8_3ELb0ES6_jNS0_17counting_iteratorIjlEEPS9_SE_NS0_5tupleIJPjSE_EEENSF_IJSE_SE_EEES9_SG_JZNS1_25segmented_radix_sort_implINS0_14default_configELb1EPKaPaPKlPlN2at6native12_GLOBAL__N_18offset_tEEE10hipError_tPvRmT1_PNSt15iterator_traitsISY_E10value_typeET2_T3_PNSZ_IS14_E10value_typeET4_jRbjT5_S1A_jjP12ihipStream_tbEUljE_EEESV_SW_SX_S14_S18_S1A_T6_T7_T9_mT8_S1C_bDpT10_ENKUlT_T0_E_clISt17integral_constantIbLb0EES1P_EEDaS1K_S1L_EUlS1K_E_NS1_11comp_targetILNS1_3genE3ELNS1_11target_archE908ELNS1_3gpuE7ELNS1_3repE0EEENS1_30default_config_static_selectorELNS0_4arch9wavefront6targetE0EEEvSY_,"axG",@progbits,_ZN7rocprim17ROCPRIM_400000_NS6detail17trampoline_kernelINS0_13select_configILj256ELj13ELNS0_17block_load_methodE3ELS4_3ELS4_3ELNS0_20block_scan_algorithmE0ELj4294967295EEENS1_25partition_config_selectorILNS1_17partition_subalgoE3EjNS0_10empty_typeEbEEZZNS1_14partition_implILS8_3ELb0ES6_jNS0_17counting_iteratorIjlEEPS9_SE_NS0_5tupleIJPjSE_EEENSF_IJSE_SE_EEES9_SG_JZNS1_25segmented_radix_sort_implINS0_14default_configELb1EPKaPaPKlPlN2at6native12_GLOBAL__N_18offset_tEEE10hipError_tPvRmT1_PNSt15iterator_traitsISY_E10value_typeET2_T3_PNSZ_IS14_E10value_typeET4_jRbjT5_S1A_jjP12ihipStream_tbEUljE_EEESV_SW_SX_S14_S18_S1A_T6_T7_T9_mT8_S1C_bDpT10_ENKUlT_T0_E_clISt17integral_constantIbLb0EES1P_EEDaS1K_S1L_EUlS1K_E_NS1_11comp_targetILNS1_3genE3ELNS1_11target_archE908ELNS1_3gpuE7ELNS1_3repE0EEENS1_30default_config_static_selectorELNS0_4arch9wavefront6targetE0EEEvSY_,comdat
.Lfunc_end259:
	.size	_ZN7rocprim17ROCPRIM_400000_NS6detail17trampoline_kernelINS0_13select_configILj256ELj13ELNS0_17block_load_methodE3ELS4_3ELS4_3ELNS0_20block_scan_algorithmE0ELj4294967295EEENS1_25partition_config_selectorILNS1_17partition_subalgoE3EjNS0_10empty_typeEbEEZZNS1_14partition_implILS8_3ELb0ES6_jNS0_17counting_iteratorIjlEEPS9_SE_NS0_5tupleIJPjSE_EEENSF_IJSE_SE_EEES9_SG_JZNS1_25segmented_radix_sort_implINS0_14default_configELb1EPKaPaPKlPlN2at6native12_GLOBAL__N_18offset_tEEE10hipError_tPvRmT1_PNSt15iterator_traitsISY_E10value_typeET2_T3_PNSZ_IS14_E10value_typeET4_jRbjT5_S1A_jjP12ihipStream_tbEUljE_EEESV_SW_SX_S14_S18_S1A_T6_T7_T9_mT8_S1C_bDpT10_ENKUlT_T0_E_clISt17integral_constantIbLb0EES1P_EEDaS1K_S1L_EUlS1K_E_NS1_11comp_targetILNS1_3genE3ELNS1_11target_archE908ELNS1_3gpuE7ELNS1_3repE0EEENS1_30default_config_static_selectorELNS0_4arch9wavefront6targetE0EEEvSY_, .Lfunc_end259-_ZN7rocprim17ROCPRIM_400000_NS6detail17trampoline_kernelINS0_13select_configILj256ELj13ELNS0_17block_load_methodE3ELS4_3ELS4_3ELNS0_20block_scan_algorithmE0ELj4294967295EEENS1_25partition_config_selectorILNS1_17partition_subalgoE3EjNS0_10empty_typeEbEEZZNS1_14partition_implILS8_3ELb0ES6_jNS0_17counting_iteratorIjlEEPS9_SE_NS0_5tupleIJPjSE_EEENSF_IJSE_SE_EEES9_SG_JZNS1_25segmented_radix_sort_implINS0_14default_configELb1EPKaPaPKlPlN2at6native12_GLOBAL__N_18offset_tEEE10hipError_tPvRmT1_PNSt15iterator_traitsISY_E10value_typeET2_T3_PNSZ_IS14_E10value_typeET4_jRbjT5_S1A_jjP12ihipStream_tbEUljE_EEESV_SW_SX_S14_S18_S1A_T6_T7_T9_mT8_S1C_bDpT10_ENKUlT_T0_E_clISt17integral_constantIbLb0EES1P_EEDaS1K_S1L_EUlS1K_E_NS1_11comp_targetILNS1_3genE3ELNS1_11target_archE908ELNS1_3gpuE7ELNS1_3repE0EEENS1_30default_config_static_selectorELNS0_4arch9wavefront6targetE0EEEvSY_
                                        ; -- End function
	.set _ZN7rocprim17ROCPRIM_400000_NS6detail17trampoline_kernelINS0_13select_configILj256ELj13ELNS0_17block_load_methodE3ELS4_3ELS4_3ELNS0_20block_scan_algorithmE0ELj4294967295EEENS1_25partition_config_selectorILNS1_17partition_subalgoE3EjNS0_10empty_typeEbEEZZNS1_14partition_implILS8_3ELb0ES6_jNS0_17counting_iteratorIjlEEPS9_SE_NS0_5tupleIJPjSE_EEENSF_IJSE_SE_EEES9_SG_JZNS1_25segmented_radix_sort_implINS0_14default_configELb1EPKaPaPKlPlN2at6native12_GLOBAL__N_18offset_tEEE10hipError_tPvRmT1_PNSt15iterator_traitsISY_E10value_typeET2_T3_PNSZ_IS14_E10value_typeET4_jRbjT5_S1A_jjP12ihipStream_tbEUljE_EEESV_SW_SX_S14_S18_S1A_T6_T7_T9_mT8_S1C_bDpT10_ENKUlT_T0_E_clISt17integral_constantIbLb0EES1P_EEDaS1K_S1L_EUlS1K_E_NS1_11comp_targetILNS1_3genE3ELNS1_11target_archE908ELNS1_3gpuE7ELNS1_3repE0EEENS1_30default_config_static_selectorELNS0_4arch9wavefront6targetE0EEEvSY_.num_vgpr, 0
	.set _ZN7rocprim17ROCPRIM_400000_NS6detail17trampoline_kernelINS0_13select_configILj256ELj13ELNS0_17block_load_methodE3ELS4_3ELS4_3ELNS0_20block_scan_algorithmE0ELj4294967295EEENS1_25partition_config_selectorILNS1_17partition_subalgoE3EjNS0_10empty_typeEbEEZZNS1_14partition_implILS8_3ELb0ES6_jNS0_17counting_iteratorIjlEEPS9_SE_NS0_5tupleIJPjSE_EEENSF_IJSE_SE_EEES9_SG_JZNS1_25segmented_radix_sort_implINS0_14default_configELb1EPKaPaPKlPlN2at6native12_GLOBAL__N_18offset_tEEE10hipError_tPvRmT1_PNSt15iterator_traitsISY_E10value_typeET2_T3_PNSZ_IS14_E10value_typeET4_jRbjT5_S1A_jjP12ihipStream_tbEUljE_EEESV_SW_SX_S14_S18_S1A_T6_T7_T9_mT8_S1C_bDpT10_ENKUlT_T0_E_clISt17integral_constantIbLb0EES1P_EEDaS1K_S1L_EUlS1K_E_NS1_11comp_targetILNS1_3genE3ELNS1_11target_archE908ELNS1_3gpuE7ELNS1_3repE0EEENS1_30default_config_static_selectorELNS0_4arch9wavefront6targetE0EEEvSY_.num_agpr, 0
	.set _ZN7rocprim17ROCPRIM_400000_NS6detail17trampoline_kernelINS0_13select_configILj256ELj13ELNS0_17block_load_methodE3ELS4_3ELS4_3ELNS0_20block_scan_algorithmE0ELj4294967295EEENS1_25partition_config_selectorILNS1_17partition_subalgoE3EjNS0_10empty_typeEbEEZZNS1_14partition_implILS8_3ELb0ES6_jNS0_17counting_iteratorIjlEEPS9_SE_NS0_5tupleIJPjSE_EEENSF_IJSE_SE_EEES9_SG_JZNS1_25segmented_radix_sort_implINS0_14default_configELb1EPKaPaPKlPlN2at6native12_GLOBAL__N_18offset_tEEE10hipError_tPvRmT1_PNSt15iterator_traitsISY_E10value_typeET2_T3_PNSZ_IS14_E10value_typeET4_jRbjT5_S1A_jjP12ihipStream_tbEUljE_EEESV_SW_SX_S14_S18_S1A_T6_T7_T9_mT8_S1C_bDpT10_ENKUlT_T0_E_clISt17integral_constantIbLb0EES1P_EEDaS1K_S1L_EUlS1K_E_NS1_11comp_targetILNS1_3genE3ELNS1_11target_archE908ELNS1_3gpuE7ELNS1_3repE0EEENS1_30default_config_static_selectorELNS0_4arch9wavefront6targetE0EEEvSY_.numbered_sgpr, 0
	.set _ZN7rocprim17ROCPRIM_400000_NS6detail17trampoline_kernelINS0_13select_configILj256ELj13ELNS0_17block_load_methodE3ELS4_3ELS4_3ELNS0_20block_scan_algorithmE0ELj4294967295EEENS1_25partition_config_selectorILNS1_17partition_subalgoE3EjNS0_10empty_typeEbEEZZNS1_14partition_implILS8_3ELb0ES6_jNS0_17counting_iteratorIjlEEPS9_SE_NS0_5tupleIJPjSE_EEENSF_IJSE_SE_EEES9_SG_JZNS1_25segmented_radix_sort_implINS0_14default_configELb1EPKaPaPKlPlN2at6native12_GLOBAL__N_18offset_tEEE10hipError_tPvRmT1_PNSt15iterator_traitsISY_E10value_typeET2_T3_PNSZ_IS14_E10value_typeET4_jRbjT5_S1A_jjP12ihipStream_tbEUljE_EEESV_SW_SX_S14_S18_S1A_T6_T7_T9_mT8_S1C_bDpT10_ENKUlT_T0_E_clISt17integral_constantIbLb0EES1P_EEDaS1K_S1L_EUlS1K_E_NS1_11comp_targetILNS1_3genE3ELNS1_11target_archE908ELNS1_3gpuE7ELNS1_3repE0EEENS1_30default_config_static_selectorELNS0_4arch9wavefront6targetE0EEEvSY_.num_named_barrier, 0
	.set _ZN7rocprim17ROCPRIM_400000_NS6detail17trampoline_kernelINS0_13select_configILj256ELj13ELNS0_17block_load_methodE3ELS4_3ELS4_3ELNS0_20block_scan_algorithmE0ELj4294967295EEENS1_25partition_config_selectorILNS1_17partition_subalgoE3EjNS0_10empty_typeEbEEZZNS1_14partition_implILS8_3ELb0ES6_jNS0_17counting_iteratorIjlEEPS9_SE_NS0_5tupleIJPjSE_EEENSF_IJSE_SE_EEES9_SG_JZNS1_25segmented_radix_sort_implINS0_14default_configELb1EPKaPaPKlPlN2at6native12_GLOBAL__N_18offset_tEEE10hipError_tPvRmT1_PNSt15iterator_traitsISY_E10value_typeET2_T3_PNSZ_IS14_E10value_typeET4_jRbjT5_S1A_jjP12ihipStream_tbEUljE_EEESV_SW_SX_S14_S18_S1A_T6_T7_T9_mT8_S1C_bDpT10_ENKUlT_T0_E_clISt17integral_constantIbLb0EES1P_EEDaS1K_S1L_EUlS1K_E_NS1_11comp_targetILNS1_3genE3ELNS1_11target_archE908ELNS1_3gpuE7ELNS1_3repE0EEENS1_30default_config_static_selectorELNS0_4arch9wavefront6targetE0EEEvSY_.private_seg_size, 0
	.set _ZN7rocprim17ROCPRIM_400000_NS6detail17trampoline_kernelINS0_13select_configILj256ELj13ELNS0_17block_load_methodE3ELS4_3ELS4_3ELNS0_20block_scan_algorithmE0ELj4294967295EEENS1_25partition_config_selectorILNS1_17partition_subalgoE3EjNS0_10empty_typeEbEEZZNS1_14partition_implILS8_3ELb0ES6_jNS0_17counting_iteratorIjlEEPS9_SE_NS0_5tupleIJPjSE_EEENSF_IJSE_SE_EEES9_SG_JZNS1_25segmented_radix_sort_implINS0_14default_configELb1EPKaPaPKlPlN2at6native12_GLOBAL__N_18offset_tEEE10hipError_tPvRmT1_PNSt15iterator_traitsISY_E10value_typeET2_T3_PNSZ_IS14_E10value_typeET4_jRbjT5_S1A_jjP12ihipStream_tbEUljE_EEESV_SW_SX_S14_S18_S1A_T6_T7_T9_mT8_S1C_bDpT10_ENKUlT_T0_E_clISt17integral_constantIbLb0EES1P_EEDaS1K_S1L_EUlS1K_E_NS1_11comp_targetILNS1_3genE3ELNS1_11target_archE908ELNS1_3gpuE7ELNS1_3repE0EEENS1_30default_config_static_selectorELNS0_4arch9wavefront6targetE0EEEvSY_.uses_vcc, 0
	.set _ZN7rocprim17ROCPRIM_400000_NS6detail17trampoline_kernelINS0_13select_configILj256ELj13ELNS0_17block_load_methodE3ELS4_3ELS4_3ELNS0_20block_scan_algorithmE0ELj4294967295EEENS1_25partition_config_selectorILNS1_17partition_subalgoE3EjNS0_10empty_typeEbEEZZNS1_14partition_implILS8_3ELb0ES6_jNS0_17counting_iteratorIjlEEPS9_SE_NS0_5tupleIJPjSE_EEENSF_IJSE_SE_EEES9_SG_JZNS1_25segmented_radix_sort_implINS0_14default_configELb1EPKaPaPKlPlN2at6native12_GLOBAL__N_18offset_tEEE10hipError_tPvRmT1_PNSt15iterator_traitsISY_E10value_typeET2_T3_PNSZ_IS14_E10value_typeET4_jRbjT5_S1A_jjP12ihipStream_tbEUljE_EEESV_SW_SX_S14_S18_S1A_T6_T7_T9_mT8_S1C_bDpT10_ENKUlT_T0_E_clISt17integral_constantIbLb0EES1P_EEDaS1K_S1L_EUlS1K_E_NS1_11comp_targetILNS1_3genE3ELNS1_11target_archE908ELNS1_3gpuE7ELNS1_3repE0EEENS1_30default_config_static_selectorELNS0_4arch9wavefront6targetE0EEEvSY_.uses_flat_scratch, 0
	.set _ZN7rocprim17ROCPRIM_400000_NS6detail17trampoline_kernelINS0_13select_configILj256ELj13ELNS0_17block_load_methodE3ELS4_3ELS4_3ELNS0_20block_scan_algorithmE0ELj4294967295EEENS1_25partition_config_selectorILNS1_17partition_subalgoE3EjNS0_10empty_typeEbEEZZNS1_14partition_implILS8_3ELb0ES6_jNS0_17counting_iteratorIjlEEPS9_SE_NS0_5tupleIJPjSE_EEENSF_IJSE_SE_EEES9_SG_JZNS1_25segmented_radix_sort_implINS0_14default_configELb1EPKaPaPKlPlN2at6native12_GLOBAL__N_18offset_tEEE10hipError_tPvRmT1_PNSt15iterator_traitsISY_E10value_typeET2_T3_PNSZ_IS14_E10value_typeET4_jRbjT5_S1A_jjP12ihipStream_tbEUljE_EEESV_SW_SX_S14_S18_S1A_T6_T7_T9_mT8_S1C_bDpT10_ENKUlT_T0_E_clISt17integral_constantIbLb0EES1P_EEDaS1K_S1L_EUlS1K_E_NS1_11comp_targetILNS1_3genE3ELNS1_11target_archE908ELNS1_3gpuE7ELNS1_3repE0EEENS1_30default_config_static_selectorELNS0_4arch9wavefront6targetE0EEEvSY_.has_dyn_sized_stack, 0
	.set _ZN7rocprim17ROCPRIM_400000_NS6detail17trampoline_kernelINS0_13select_configILj256ELj13ELNS0_17block_load_methodE3ELS4_3ELS4_3ELNS0_20block_scan_algorithmE0ELj4294967295EEENS1_25partition_config_selectorILNS1_17partition_subalgoE3EjNS0_10empty_typeEbEEZZNS1_14partition_implILS8_3ELb0ES6_jNS0_17counting_iteratorIjlEEPS9_SE_NS0_5tupleIJPjSE_EEENSF_IJSE_SE_EEES9_SG_JZNS1_25segmented_radix_sort_implINS0_14default_configELb1EPKaPaPKlPlN2at6native12_GLOBAL__N_18offset_tEEE10hipError_tPvRmT1_PNSt15iterator_traitsISY_E10value_typeET2_T3_PNSZ_IS14_E10value_typeET4_jRbjT5_S1A_jjP12ihipStream_tbEUljE_EEESV_SW_SX_S14_S18_S1A_T6_T7_T9_mT8_S1C_bDpT10_ENKUlT_T0_E_clISt17integral_constantIbLb0EES1P_EEDaS1K_S1L_EUlS1K_E_NS1_11comp_targetILNS1_3genE3ELNS1_11target_archE908ELNS1_3gpuE7ELNS1_3repE0EEENS1_30default_config_static_selectorELNS0_4arch9wavefront6targetE0EEEvSY_.has_recursion, 0
	.set _ZN7rocprim17ROCPRIM_400000_NS6detail17trampoline_kernelINS0_13select_configILj256ELj13ELNS0_17block_load_methodE3ELS4_3ELS4_3ELNS0_20block_scan_algorithmE0ELj4294967295EEENS1_25partition_config_selectorILNS1_17partition_subalgoE3EjNS0_10empty_typeEbEEZZNS1_14partition_implILS8_3ELb0ES6_jNS0_17counting_iteratorIjlEEPS9_SE_NS0_5tupleIJPjSE_EEENSF_IJSE_SE_EEES9_SG_JZNS1_25segmented_radix_sort_implINS0_14default_configELb1EPKaPaPKlPlN2at6native12_GLOBAL__N_18offset_tEEE10hipError_tPvRmT1_PNSt15iterator_traitsISY_E10value_typeET2_T3_PNSZ_IS14_E10value_typeET4_jRbjT5_S1A_jjP12ihipStream_tbEUljE_EEESV_SW_SX_S14_S18_S1A_T6_T7_T9_mT8_S1C_bDpT10_ENKUlT_T0_E_clISt17integral_constantIbLb0EES1P_EEDaS1K_S1L_EUlS1K_E_NS1_11comp_targetILNS1_3genE3ELNS1_11target_archE908ELNS1_3gpuE7ELNS1_3repE0EEENS1_30default_config_static_selectorELNS0_4arch9wavefront6targetE0EEEvSY_.has_indirect_call, 0
	.section	.AMDGPU.csdata,"",@progbits
; Kernel info:
; codeLenInByte = 0
; TotalNumSgprs: 0
; NumVgprs: 0
; ScratchSize: 0
; MemoryBound: 0
; FloatMode: 240
; IeeeMode: 1
; LDSByteSize: 0 bytes/workgroup (compile time only)
; SGPRBlocks: 0
; VGPRBlocks: 0
; NumSGPRsForWavesPerEU: 1
; NumVGPRsForWavesPerEU: 1
; NamedBarCnt: 0
; Occupancy: 16
; WaveLimiterHint : 0
; COMPUTE_PGM_RSRC2:SCRATCH_EN: 0
; COMPUTE_PGM_RSRC2:USER_SGPR: 2
; COMPUTE_PGM_RSRC2:TRAP_HANDLER: 0
; COMPUTE_PGM_RSRC2:TGID_X_EN: 1
; COMPUTE_PGM_RSRC2:TGID_Y_EN: 0
; COMPUTE_PGM_RSRC2:TGID_Z_EN: 0
; COMPUTE_PGM_RSRC2:TIDIG_COMP_CNT: 0
	.section	.text._ZN7rocprim17ROCPRIM_400000_NS6detail17trampoline_kernelINS0_13select_configILj256ELj13ELNS0_17block_load_methodE3ELS4_3ELS4_3ELNS0_20block_scan_algorithmE0ELj4294967295EEENS1_25partition_config_selectorILNS1_17partition_subalgoE3EjNS0_10empty_typeEbEEZZNS1_14partition_implILS8_3ELb0ES6_jNS0_17counting_iteratorIjlEEPS9_SE_NS0_5tupleIJPjSE_EEENSF_IJSE_SE_EEES9_SG_JZNS1_25segmented_radix_sort_implINS0_14default_configELb1EPKaPaPKlPlN2at6native12_GLOBAL__N_18offset_tEEE10hipError_tPvRmT1_PNSt15iterator_traitsISY_E10value_typeET2_T3_PNSZ_IS14_E10value_typeET4_jRbjT5_S1A_jjP12ihipStream_tbEUljE_EEESV_SW_SX_S14_S18_S1A_T6_T7_T9_mT8_S1C_bDpT10_ENKUlT_T0_E_clISt17integral_constantIbLb0EES1P_EEDaS1K_S1L_EUlS1K_E_NS1_11comp_targetILNS1_3genE2ELNS1_11target_archE906ELNS1_3gpuE6ELNS1_3repE0EEENS1_30default_config_static_selectorELNS0_4arch9wavefront6targetE0EEEvSY_,"axG",@progbits,_ZN7rocprim17ROCPRIM_400000_NS6detail17trampoline_kernelINS0_13select_configILj256ELj13ELNS0_17block_load_methodE3ELS4_3ELS4_3ELNS0_20block_scan_algorithmE0ELj4294967295EEENS1_25partition_config_selectorILNS1_17partition_subalgoE3EjNS0_10empty_typeEbEEZZNS1_14partition_implILS8_3ELb0ES6_jNS0_17counting_iteratorIjlEEPS9_SE_NS0_5tupleIJPjSE_EEENSF_IJSE_SE_EEES9_SG_JZNS1_25segmented_radix_sort_implINS0_14default_configELb1EPKaPaPKlPlN2at6native12_GLOBAL__N_18offset_tEEE10hipError_tPvRmT1_PNSt15iterator_traitsISY_E10value_typeET2_T3_PNSZ_IS14_E10value_typeET4_jRbjT5_S1A_jjP12ihipStream_tbEUljE_EEESV_SW_SX_S14_S18_S1A_T6_T7_T9_mT8_S1C_bDpT10_ENKUlT_T0_E_clISt17integral_constantIbLb0EES1P_EEDaS1K_S1L_EUlS1K_E_NS1_11comp_targetILNS1_3genE2ELNS1_11target_archE906ELNS1_3gpuE6ELNS1_3repE0EEENS1_30default_config_static_selectorELNS0_4arch9wavefront6targetE0EEEvSY_,comdat
	.globl	_ZN7rocprim17ROCPRIM_400000_NS6detail17trampoline_kernelINS0_13select_configILj256ELj13ELNS0_17block_load_methodE3ELS4_3ELS4_3ELNS0_20block_scan_algorithmE0ELj4294967295EEENS1_25partition_config_selectorILNS1_17partition_subalgoE3EjNS0_10empty_typeEbEEZZNS1_14partition_implILS8_3ELb0ES6_jNS0_17counting_iteratorIjlEEPS9_SE_NS0_5tupleIJPjSE_EEENSF_IJSE_SE_EEES9_SG_JZNS1_25segmented_radix_sort_implINS0_14default_configELb1EPKaPaPKlPlN2at6native12_GLOBAL__N_18offset_tEEE10hipError_tPvRmT1_PNSt15iterator_traitsISY_E10value_typeET2_T3_PNSZ_IS14_E10value_typeET4_jRbjT5_S1A_jjP12ihipStream_tbEUljE_EEESV_SW_SX_S14_S18_S1A_T6_T7_T9_mT8_S1C_bDpT10_ENKUlT_T0_E_clISt17integral_constantIbLb0EES1P_EEDaS1K_S1L_EUlS1K_E_NS1_11comp_targetILNS1_3genE2ELNS1_11target_archE906ELNS1_3gpuE6ELNS1_3repE0EEENS1_30default_config_static_selectorELNS0_4arch9wavefront6targetE0EEEvSY_ ; -- Begin function _ZN7rocprim17ROCPRIM_400000_NS6detail17trampoline_kernelINS0_13select_configILj256ELj13ELNS0_17block_load_methodE3ELS4_3ELS4_3ELNS0_20block_scan_algorithmE0ELj4294967295EEENS1_25partition_config_selectorILNS1_17partition_subalgoE3EjNS0_10empty_typeEbEEZZNS1_14partition_implILS8_3ELb0ES6_jNS0_17counting_iteratorIjlEEPS9_SE_NS0_5tupleIJPjSE_EEENSF_IJSE_SE_EEES9_SG_JZNS1_25segmented_radix_sort_implINS0_14default_configELb1EPKaPaPKlPlN2at6native12_GLOBAL__N_18offset_tEEE10hipError_tPvRmT1_PNSt15iterator_traitsISY_E10value_typeET2_T3_PNSZ_IS14_E10value_typeET4_jRbjT5_S1A_jjP12ihipStream_tbEUljE_EEESV_SW_SX_S14_S18_S1A_T6_T7_T9_mT8_S1C_bDpT10_ENKUlT_T0_E_clISt17integral_constantIbLb0EES1P_EEDaS1K_S1L_EUlS1K_E_NS1_11comp_targetILNS1_3genE2ELNS1_11target_archE906ELNS1_3gpuE6ELNS1_3repE0EEENS1_30default_config_static_selectorELNS0_4arch9wavefront6targetE0EEEvSY_
	.p2align	8
	.type	_ZN7rocprim17ROCPRIM_400000_NS6detail17trampoline_kernelINS0_13select_configILj256ELj13ELNS0_17block_load_methodE3ELS4_3ELS4_3ELNS0_20block_scan_algorithmE0ELj4294967295EEENS1_25partition_config_selectorILNS1_17partition_subalgoE3EjNS0_10empty_typeEbEEZZNS1_14partition_implILS8_3ELb0ES6_jNS0_17counting_iteratorIjlEEPS9_SE_NS0_5tupleIJPjSE_EEENSF_IJSE_SE_EEES9_SG_JZNS1_25segmented_radix_sort_implINS0_14default_configELb1EPKaPaPKlPlN2at6native12_GLOBAL__N_18offset_tEEE10hipError_tPvRmT1_PNSt15iterator_traitsISY_E10value_typeET2_T3_PNSZ_IS14_E10value_typeET4_jRbjT5_S1A_jjP12ihipStream_tbEUljE_EEESV_SW_SX_S14_S18_S1A_T6_T7_T9_mT8_S1C_bDpT10_ENKUlT_T0_E_clISt17integral_constantIbLb0EES1P_EEDaS1K_S1L_EUlS1K_E_NS1_11comp_targetILNS1_3genE2ELNS1_11target_archE906ELNS1_3gpuE6ELNS1_3repE0EEENS1_30default_config_static_selectorELNS0_4arch9wavefront6targetE0EEEvSY_,@function
_ZN7rocprim17ROCPRIM_400000_NS6detail17trampoline_kernelINS0_13select_configILj256ELj13ELNS0_17block_load_methodE3ELS4_3ELS4_3ELNS0_20block_scan_algorithmE0ELj4294967295EEENS1_25partition_config_selectorILNS1_17partition_subalgoE3EjNS0_10empty_typeEbEEZZNS1_14partition_implILS8_3ELb0ES6_jNS0_17counting_iteratorIjlEEPS9_SE_NS0_5tupleIJPjSE_EEENSF_IJSE_SE_EEES9_SG_JZNS1_25segmented_radix_sort_implINS0_14default_configELb1EPKaPaPKlPlN2at6native12_GLOBAL__N_18offset_tEEE10hipError_tPvRmT1_PNSt15iterator_traitsISY_E10value_typeET2_T3_PNSZ_IS14_E10value_typeET4_jRbjT5_S1A_jjP12ihipStream_tbEUljE_EEESV_SW_SX_S14_S18_S1A_T6_T7_T9_mT8_S1C_bDpT10_ENKUlT_T0_E_clISt17integral_constantIbLb0EES1P_EEDaS1K_S1L_EUlS1K_E_NS1_11comp_targetILNS1_3genE2ELNS1_11target_archE906ELNS1_3gpuE6ELNS1_3repE0EEENS1_30default_config_static_selectorELNS0_4arch9wavefront6targetE0EEEvSY_: ; @_ZN7rocprim17ROCPRIM_400000_NS6detail17trampoline_kernelINS0_13select_configILj256ELj13ELNS0_17block_load_methodE3ELS4_3ELS4_3ELNS0_20block_scan_algorithmE0ELj4294967295EEENS1_25partition_config_selectorILNS1_17partition_subalgoE3EjNS0_10empty_typeEbEEZZNS1_14partition_implILS8_3ELb0ES6_jNS0_17counting_iteratorIjlEEPS9_SE_NS0_5tupleIJPjSE_EEENSF_IJSE_SE_EEES9_SG_JZNS1_25segmented_radix_sort_implINS0_14default_configELb1EPKaPaPKlPlN2at6native12_GLOBAL__N_18offset_tEEE10hipError_tPvRmT1_PNSt15iterator_traitsISY_E10value_typeET2_T3_PNSZ_IS14_E10value_typeET4_jRbjT5_S1A_jjP12ihipStream_tbEUljE_EEESV_SW_SX_S14_S18_S1A_T6_T7_T9_mT8_S1C_bDpT10_ENKUlT_T0_E_clISt17integral_constantIbLb0EES1P_EEDaS1K_S1L_EUlS1K_E_NS1_11comp_targetILNS1_3genE2ELNS1_11target_archE906ELNS1_3gpuE6ELNS1_3repE0EEENS1_30default_config_static_selectorELNS0_4arch9wavefront6targetE0EEEvSY_
; %bb.0:
	.section	.rodata,"a",@progbits
	.p2align	6, 0x0
	.amdhsa_kernel _ZN7rocprim17ROCPRIM_400000_NS6detail17trampoline_kernelINS0_13select_configILj256ELj13ELNS0_17block_load_methodE3ELS4_3ELS4_3ELNS0_20block_scan_algorithmE0ELj4294967295EEENS1_25partition_config_selectorILNS1_17partition_subalgoE3EjNS0_10empty_typeEbEEZZNS1_14partition_implILS8_3ELb0ES6_jNS0_17counting_iteratorIjlEEPS9_SE_NS0_5tupleIJPjSE_EEENSF_IJSE_SE_EEES9_SG_JZNS1_25segmented_radix_sort_implINS0_14default_configELb1EPKaPaPKlPlN2at6native12_GLOBAL__N_18offset_tEEE10hipError_tPvRmT1_PNSt15iterator_traitsISY_E10value_typeET2_T3_PNSZ_IS14_E10value_typeET4_jRbjT5_S1A_jjP12ihipStream_tbEUljE_EEESV_SW_SX_S14_S18_S1A_T6_T7_T9_mT8_S1C_bDpT10_ENKUlT_T0_E_clISt17integral_constantIbLb0EES1P_EEDaS1K_S1L_EUlS1K_E_NS1_11comp_targetILNS1_3genE2ELNS1_11target_archE906ELNS1_3gpuE6ELNS1_3repE0EEENS1_30default_config_static_selectorELNS0_4arch9wavefront6targetE0EEEvSY_
		.amdhsa_group_segment_fixed_size 0
		.amdhsa_private_segment_fixed_size 0
		.amdhsa_kernarg_size 144
		.amdhsa_user_sgpr_count 2
		.amdhsa_user_sgpr_dispatch_ptr 0
		.amdhsa_user_sgpr_queue_ptr 0
		.amdhsa_user_sgpr_kernarg_segment_ptr 1
		.amdhsa_user_sgpr_dispatch_id 0
		.amdhsa_user_sgpr_kernarg_preload_length 0
		.amdhsa_user_sgpr_kernarg_preload_offset 0
		.amdhsa_user_sgpr_private_segment_size 0
		.amdhsa_wavefront_size32 1
		.amdhsa_uses_dynamic_stack 0
		.amdhsa_enable_private_segment 0
		.amdhsa_system_sgpr_workgroup_id_x 1
		.amdhsa_system_sgpr_workgroup_id_y 0
		.amdhsa_system_sgpr_workgroup_id_z 0
		.amdhsa_system_sgpr_workgroup_info 0
		.amdhsa_system_vgpr_workitem_id 0
		.amdhsa_next_free_vgpr 1
		.amdhsa_next_free_sgpr 1
		.amdhsa_named_barrier_count 0
		.amdhsa_reserve_vcc 0
		.amdhsa_float_round_mode_32 0
		.amdhsa_float_round_mode_16_64 0
		.amdhsa_float_denorm_mode_32 3
		.amdhsa_float_denorm_mode_16_64 3
		.amdhsa_fp16_overflow 0
		.amdhsa_memory_ordered 1
		.amdhsa_forward_progress 1
		.amdhsa_inst_pref_size 0
		.amdhsa_round_robin_scheduling 0
		.amdhsa_exception_fp_ieee_invalid_op 0
		.amdhsa_exception_fp_denorm_src 0
		.amdhsa_exception_fp_ieee_div_zero 0
		.amdhsa_exception_fp_ieee_overflow 0
		.amdhsa_exception_fp_ieee_underflow 0
		.amdhsa_exception_fp_ieee_inexact 0
		.amdhsa_exception_int_div_zero 0
	.end_amdhsa_kernel
	.section	.text._ZN7rocprim17ROCPRIM_400000_NS6detail17trampoline_kernelINS0_13select_configILj256ELj13ELNS0_17block_load_methodE3ELS4_3ELS4_3ELNS0_20block_scan_algorithmE0ELj4294967295EEENS1_25partition_config_selectorILNS1_17partition_subalgoE3EjNS0_10empty_typeEbEEZZNS1_14partition_implILS8_3ELb0ES6_jNS0_17counting_iteratorIjlEEPS9_SE_NS0_5tupleIJPjSE_EEENSF_IJSE_SE_EEES9_SG_JZNS1_25segmented_radix_sort_implINS0_14default_configELb1EPKaPaPKlPlN2at6native12_GLOBAL__N_18offset_tEEE10hipError_tPvRmT1_PNSt15iterator_traitsISY_E10value_typeET2_T3_PNSZ_IS14_E10value_typeET4_jRbjT5_S1A_jjP12ihipStream_tbEUljE_EEESV_SW_SX_S14_S18_S1A_T6_T7_T9_mT8_S1C_bDpT10_ENKUlT_T0_E_clISt17integral_constantIbLb0EES1P_EEDaS1K_S1L_EUlS1K_E_NS1_11comp_targetILNS1_3genE2ELNS1_11target_archE906ELNS1_3gpuE6ELNS1_3repE0EEENS1_30default_config_static_selectorELNS0_4arch9wavefront6targetE0EEEvSY_,"axG",@progbits,_ZN7rocprim17ROCPRIM_400000_NS6detail17trampoline_kernelINS0_13select_configILj256ELj13ELNS0_17block_load_methodE3ELS4_3ELS4_3ELNS0_20block_scan_algorithmE0ELj4294967295EEENS1_25partition_config_selectorILNS1_17partition_subalgoE3EjNS0_10empty_typeEbEEZZNS1_14partition_implILS8_3ELb0ES6_jNS0_17counting_iteratorIjlEEPS9_SE_NS0_5tupleIJPjSE_EEENSF_IJSE_SE_EEES9_SG_JZNS1_25segmented_radix_sort_implINS0_14default_configELb1EPKaPaPKlPlN2at6native12_GLOBAL__N_18offset_tEEE10hipError_tPvRmT1_PNSt15iterator_traitsISY_E10value_typeET2_T3_PNSZ_IS14_E10value_typeET4_jRbjT5_S1A_jjP12ihipStream_tbEUljE_EEESV_SW_SX_S14_S18_S1A_T6_T7_T9_mT8_S1C_bDpT10_ENKUlT_T0_E_clISt17integral_constantIbLb0EES1P_EEDaS1K_S1L_EUlS1K_E_NS1_11comp_targetILNS1_3genE2ELNS1_11target_archE906ELNS1_3gpuE6ELNS1_3repE0EEENS1_30default_config_static_selectorELNS0_4arch9wavefront6targetE0EEEvSY_,comdat
.Lfunc_end260:
	.size	_ZN7rocprim17ROCPRIM_400000_NS6detail17trampoline_kernelINS0_13select_configILj256ELj13ELNS0_17block_load_methodE3ELS4_3ELS4_3ELNS0_20block_scan_algorithmE0ELj4294967295EEENS1_25partition_config_selectorILNS1_17partition_subalgoE3EjNS0_10empty_typeEbEEZZNS1_14partition_implILS8_3ELb0ES6_jNS0_17counting_iteratorIjlEEPS9_SE_NS0_5tupleIJPjSE_EEENSF_IJSE_SE_EEES9_SG_JZNS1_25segmented_radix_sort_implINS0_14default_configELb1EPKaPaPKlPlN2at6native12_GLOBAL__N_18offset_tEEE10hipError_tPvRmT1_PNSt15iterator_traitsISY_E10value_typeET2_T3_PNSZ_IS14_E10value_typeET4_jRbjT5_S1A_jjP12ihipStream_tbEUljE_EEESV_SW_SX_S14_S18_S1A_T6_T7_T9_mT8_S1C_bDpT10_ENKUlT_T0_E_clISt17integral_constantIbLb0EES1P_EEDaS1K_S1L_EUlS1K_E_NS1_11comp_targetILNS1_3genE2ELNS1_11target_archE906ELNS1_3gpuE6ELNS1_3repE0EEENS1_30default_config_static_selectorELNS0_4arch9wavefront6targetE0EEEvSY_, .Lfunc_end260-_ZN7rocprim17ROCPRIM_400000_NS6detail17trampoline_kernelINS0_13select_configILj256ELj13ELNS0_17block_load_methodE3ELS4_3ELS4_3ELNS0_20block_scan_algorithmE0ELj4294967295EEENS1_25partition_config_selectorILNS1_17partition_subalgoE3EjNS0_10empty_typeEbEEZZNS1_14partition_implILS8_3ELb0ES6_jNS0_17counting_iteratorIjlEEPS9_SE_NS0_5tupleIJPjSE_EEENSF_IJSE_SE_EEES9_SG_JZNS1_25segmented_radix_sort_implINS0_14default_configELb1EPKaPaPKlPlN2at6native12_GLOBAL__N_18offset_tEEE10hipError_tPvRmT1_PNSt15iterator_traitsISY_E10value_typeET2_T3_PNSZ_IS14_E10value_typeET4_jRbjT5_S1A_jjP12ihipStream_tbEUljE_EEESV_SW_SX_S14_S18_S1A_T6_T7_T9_mT8_S1C_bDpT10_ENKUlT_T0_E_clISt17integral_constantIbLb0EES1P_EEDaS1K_S1L_EUlS1K_E_NS1_11comp_targetILNS1_3genE2ELNS1_11target_archE906ELNS1_3gpuE6ELNS1_3repE0EEENS1_30default_config_static_selectorELNS0_4arch9wavefront6targetE0EEEvSY_
                                        ; -- End function
	.set _ZN7rocprim17ROCPRIM_400000_NS6detail17trampoline_kernelINS0_13select_configILj256ELj13ELNS0_17block_load_methodE3ELS4_3ELS4_3ELNS0_20block_scan_algorithmE0ELj4294967295EEENS1_25partition_config_selectorILNS1_17partition_subalgoE3EjNS0_10empty_typeEbEEZZNS1_14partition_implILS8_3ELb0ES6_jNS0_17counting_iteratorIjlEEPS9_SE_NS0_5tupleIJPjSE_EEENSF_IJSE_SE_EEES9_SG_JZNS1_25segmented_radix_sort_implINS0_14default_configELb1EPKaPaPKlPlN2at6native12_GLOBAL__N_18offset_tEEE10hipError_tPvRmT1_PNSt15iterator_traitsISY_E10value_typeET2_T3_PNSZ_IS14_E10value_typeET4_jRbjT5_S1A_jjP12ihipStream_tbEUljE_EEESV_SW_SX_S14_S18_S1A_T6_T7_T9_mT8_S1C_bDpT10_ENKUlT_T0_E_clISt17integral_constantIbLb0EES1P_EEDaS1K_S1L_EUlS1K_E_NS1_11comp_targetILNS1_3genE2ELNS1_11target_archE906ELNS1_3gpuE6ELNS1_3repE0EEENS1_30default_config_static_selectorELNS0_4arch9wavefront6targetE0EEEvSY_.num_vgpr, 0
	.set _ZN7rocprim17ROCPRIM_400000_NS6detail17trampoline_kernelINS0_13select_configILj256ELj13ELNS0_17block_load_methodE3ELS4_3ELS4_3ELNS0_20block_scan_algorithmE0ELj4294967295EEENS1_25partition_config_selectorILNS1_17partition_subalgoE3EjNS0_10empty_typeEbEEZZNS1_14partition_implILS8_3ELb0ES6_jNS0_17counting_iteratorIjlEEPS9_SE_NS0_5tupleIJPjSE_EEENSF_IJSE_SE_EEES9_SG_JZNS1_25segmented_radix_sort_implINS0_14default_configELb1EPKaPaPKlPlN2at6native12_GLOBAL__N_18offset_tEEE10hipError_tPvRmT1_PNSt15iterator_traitsISY_E10value_typeET2_T3_PNSZ_IS14_E10value_typeET4_jRbjT5_S1A_jjP12ihipStream_tbEUljE_EEESV_SW_SX_S14_S18_S1A_T6_T7_T9_mT8_S1C_bDpT10_ENKUlT_T0_E_clISt17integral_constantIbLb0EES1P_EEDaS1K_S1L_EUlS1K_E_NS1_11comp_targetILNS1_3genE2ELNS1_11target_archE906ELNS1_3gpuE6ELNS1_3repE0EEENS1_30default_config_static_selectorELNS0_4arch9wavefront6targetE0EEEvSY_.num_agpr, 0
	.set _ZN7rocprim17ROCPRIM_400000_NS6detail17trampoline_kernelINS0_13select_configILj256ELj13ELNS0_17block_load_methodE3ELS4_3ELS4_3ELNS0_20block_scan_algorithmE0ELj4294967295EEENS1_25partition_config_selectorILNS1_17partition_subalgoE3EjNS0_10empty_typeEbEEZZNS1_14partition_implILS8_3ELb0ES6_jNS0_17counting_iteratorIjlEEPS9_SE_NS0_5tupleIJPjSE_EEENSF_IJSE_SE_EEES9_SG_JZNS1_25segmented_radix_sort_implINS0_14default_configELb1EPKaPaPKlPlN2at6native12_GLOBAL__N_18offset_tEEE10hipError_tPvRmT1_PNSt15iterator_traitsISY_E10value_typeET2_T3_PNSZ_IS14_E10value_typeET4_jRbjT5_S1A_jjP12ihipStream_tbEUljE_EEESV_SW_SX_S14_S18_S1A_T6_T7_T9_mT8_S1C_bDpT10_ENKUlT_T0_E_clISt17integral_constantIbLb0EES1P_EEDaS1K_S1L_EUlS1K_E_NS1_11comp_targetILNS1_3genE2ELNS1_11target_archE906ELNS1_3gpuE6ELNS1_3repE0EEENS1_30default_config_static_selectorELNS0_4arch9wavefront6targetE0EEEvSY_.numbered_sgpr, 0
	.set _ZN7rocprim17ROCPRIM_400000_NS6detail17trampoline_kernelINS0_13select_configILj256ELj13ELNS0_17block_load_methodE3ELS4_3ELS4_3ELNS0_20block_scan_algorithmE0ELj4294967295EEENS1_25partition_config_selectorILNS1_17partition_subalgoE3EjNS0_10empty_typeEbEEZZNS1_14partition_implILS8_3ELb0ES6_jNS0_17counting_iteratorIjlEEPS9_SE_NS0_5tupleIJPjSE_EEENSF_IJSE_SE_EEES9_SG_JZNS1_25segmented_radix_sort_implINS0_14default_configELb1EPKaPaPKlPlN2at6native12_GLOBAL__N_18offset_tEEE10hipError_tPvRmT1_PNSt15iterator_traitsISY_E10value_typeET2_T3_PNSZ_IS14_E10value_typeET4_jRbjT5_S1A_jjP12ihipStream_tbEUljE_EEESV_SW_SX_S14_S18_S1A_T6_T7_T9_mT8_S1C_bDpT10_ENKUlT_T0_E_clISt17integral_constantIbLb0EES1P_EEDaS1K_S1L_EUlS1K_E_NS1_11comp_targetILNS1_3genE2ELNS1_11target_archE906ELNS1_3gpuE6ELNS1_3repE0EEENS1_30default_config_static_selectorELNS0_4arch9wavefront6targetE0EEEvSY_.num_named_barrier, 0
	.set _ZN7rocprim17ROCPRIM_400000_NS6detail17trampoline_kernelINS0_13select_configILj256ELj13ELNS0_17block_load_methodE3ELS4_3ELS4_3ELNS0_20block_scan_algorithmE0ELj4294967295EEENS1_25partition_config_selectorILNS1_17partition_subalgoE3EjNS0_10empty_typeEbEEZZNS1_14partition_implILS8_3ELb0ES6_jNS0_17counting_iteratorIjlEEPS9_SE_NS0_5tupleIJPjSE_EEENSF_IJSE_SE_EEES9_SG_JZNS1_25segmented_radix_sort_implINS0_14default_configELb1EPKaPaPKlPlN2at6native12_GLOBAL__N_18offset_tEEE10hipError_tPvRmT1_PNSt15iterator_traitsISY_E10value_typeET2_T3_PNSZ_IS14_E10value_typeET4_jRbjT5_S1A_jjP12ihipStream_tbEUljE_EEESV_SW_SX_S14_S18_S1A_T6_T7_T9_mT8_S1C_bDpT10_ENKUlT_T0_E_clISt17integral_constantIbLb0EES1P_EEDaS1K_S1L_EUlS1K_E_NS1_11comp_targetILNS1_3genE2ELNS1_11target_archE906ELNS1_3gpuE6ELNS1_3repE0EEENS1_30default_config_static_selectorELNS0_4arch9wavefront6targetE0EEEvSY_.private_seg_size, 0
	.set _ZN7rocprim17ROCPRIM_400000_NS6detail17trampoline_kernelINS0_13select_configILj256ELj13ELNS0_17block_load_methodE3ELS4_3ELS4_3ELNS0_20block_scan_algorithmE0ELj4294967295EEENS1_25partition_config_selectorILNS1_17partition_subalgoE3EjNS0_10empty_typeEbEEZZNS1_14partition_implILS8_3ELb0ES6_jNS0_17counting_iteratorIjlEEPS9_SE_NS0_5tupleIJPjSE_EEENSF_IJSE_SE_EEES9_SG_JZNS1_25segmented_radix_sort_implINS0_14default_configELb1EPKaPaPKlPlN2at6native12_GLOBAL__N_18offset_tEEE10hipError_tPvRmT1_PNSt15iterator_traitsISY_E10value_typeET2_T3_PNSZ_IS14_E10value_typeET4_jRbjT5_S1A_jjP12ihipStream_tbEUljE_EEESV_SW_SX_S14_S18_S1A_T6_T7_T9_mT8_S1C_bDpT10_ENKUlT_T0_E_clISt17integral_constantIbLb0EES1P_EEDaS1K_S1L_EUlS1K_E_NS1_11comp_targetILNS1_3genE2ELNS1_11target_archE906ELNS1_3gpuE6ELNS1_3repE0EEENS1_30default_config_static_selectorELNS0_4arch9wavefront6targetE0EEEvSY_.uses_vcc, 0
	.set _ZN7rocprim17ROCPRIM_400000_NS6detail17trampoline_kernelINS0_13select_configILj256ELj13ELNS0_17block_load_methodE3ELS4_3ELS4_3ELNS0_20block_scan_algorithmE0ELj4294967295EEENS1_25partition_config_selectorILNS1_17partition_subalgoE3EjNS0_10empty_typeEbEEZZNS1_14partition_implILS8_3ELb0ES6_jNS0_17counting_iteratorIjlEEPS9_SE_NS0_5tupleIJPjSE_EEENSF_IJSE_SE_EEES9_SG_JZNS1_25segmented_radix_sort_implINS0_14default_configELb1EPKaPaPKlPlN2at6native12_GLOBAL__N_18offset_tEEE10hipError_tPvRmT1_PNSt15iterator_traitsISY_E10value_typeET2_T3_PNSZ_IS14_E10value_typeET4_jRbjT5_S1A_jjP12ihipStream_tbEUljE_EEESV_SW_SX_S14_S18_S1A_T6_T7_T9_mT8_S1C_bDpT10_ENKUlT_T0_E_clISt17integral_constantIbLb0EES1P_EEDaS1K_S1L_EUlS1K_E_NS1_11comp_targetILNS1_3genE2ELNS1_11target_archE906ELNS1_3gpuE6ELNS1_3repE0EEENS1_30default_config_static_selectorELNS0_4arch9wavefront6targetE0EEEvSY_.uses_flat_scratch, 0
	.set _ZN7rocprim17ROCPRIM_400000_NS6detail17trampoline_kernelINS0_13select_configILj256ELj13ELNS0_17block_load_methodE3ELS4_3ELS4_3ELNS0_20block_scan_algorithmE0ELj4294967295EEENS1_25partition_config_selectorILNS1_17partition_subalgoE3EjNS0_10empty_typeEbEEZZNS1_14partition_implILS8_3ELb0ES6_jNS0_17counting_iteratorIjlEEPS9_SE_NS0_5tupleIJPjSE_EEENSF_IJSE_SE_EEES9_SG_JZNS1_25segmented_radix_sort_implINS0_14default_configELb1EPKaPaPKlPlN2at6native12_GLOBAL__N_18offset_tEEE10hipError_tPvRmT1_PNSt15iterator_traitsISY_E10value_typeET2_T3_PNSZ_IS14_E10value_typeET4_jRbjT5_S1A_jjP12ihipStream_tbEUljE_EEESV_SW_SX_S14_S18_S1A_T6_T7_T9_mT8_S1C_bDpT10_ENKUlT_T0_E_clISt17integral_constantIbLb0EES1P_EEDaS1K_S1L_EUlS1K_E_NS1_11comp_targetILNS1_3genE2ELNS1_11target_archE906ELNS1_3gpuE6ELNS1_3repE0EEENS1_30default_config_static_selectorELNS0_4arch9wavefront6targetE0EEEvSY_.has_dyn_sized_stack, 0
	.set _ZN7rocprim17ROCPRIM_400000_NS6detail17trampoline_kernelINS0_13select_configILj256ELj13ELNS0_17block_load_methodE3ELS4_3ELS4_3ELNS0_20block_scan_algorithmE0ELj4294967295EEENS1_25partition_config_selectorILNS1_17partition_subalgoE3EjNS0_10empty_typeEbEEZZNS1_14partition_implILS8_3ELb0ES6_jNS0_17counting_iteratorIjlEEPS9_SE_NS0_5tupleIJPjSE_EEENSF_IJSE_SE_EEES9_SG_JZNS1_25segmented_radix_sort_implINS0_14default_configELb1EPKaPaPKlPlN2at6native12_GLOBAL__N_18offset_tEEE10hipError_tPvRmT1_PNSt15iterator_traitsISY_E10value_typeET2_T3_PNSZ_IS14_E10value_typeET4_jRbjT5_S1A_jjP12ihipStream_tbEUljE_EEESV_SW_SX_S14_S18_S1A_T6_T7_T9_mT8_S1C_bDpT10_ENKUlT_T0_E_clISt17integral_constantIbLb0EES1P_EEDaS1K_S1L_EUlS1K_E_NS1_11comp_targetILNS1_3genE2ELNS1_11target_archE906ELNS1_3gpuE6ELNS1_3repE0EEENS1_30default_config_static_selectorELNS0_4arch9wavefront6targetE0EEEvSY_.has_recursion, 0
	.set _ZN7rocprim17ROCPRIM_400000_NS6detail17trampoline_kernelINS0_13select_configILj256ELj13ELNS0_17block_load_methodE3ELS4_3ELS4_3ELNS0_20block_scan_algorithmE0ELj4294967295EEENS1_25partition_config_selectorILNS1_17partition_subalgoE3EjNS0_10empty_typeEbEEZZNS1_14partition_implILS8_3ELb0ES6_jNS0_17counting_iteratorIjlEEPS9_SE_NS0_5tupleIJPjSE_EEENSF_IJSE_SE_EEES9_SG_JZNS1_25segmented_radix_sort_implINS0_14default_configELb1EPKaPaPKlPlN2at6native12_GLOBAL__N_18offset_tEEE10hipError_tPvRmT1_PNSt15iterator_traitsISY_E10value_typeET2_T3_PNSZ_IS14_E10value_typeET4_jRbjT5_S1A_jjP12ihipStream_tbEUljE_EEESV_SW_SX_S14_S18_S1A_T6_T7_T9_mT8_S1C_bDpT10_ENKUlT_T0_E_clISt17integral_constantIbLb0EES1P_EEDaS1K_S1L_EUlS1K_E_NS1_11comp_targetILNS1_3genE2ELNS1_11target_archE906ELNS1_3gpuE6ELNS1_3repE0EEENS1_30default_config_static_selectorELNS0_4arch9wavefront6targetE0EEEvSY_.has_indirect_call, 0
	.section	.AMDGPU.csdata,"",@progbits
; Kernel info:
; codeLenInByte = 0
; TotalNumSgprs: 0
; NumVgprs: 0
; ScratchSize: 0
; MemoryBound: 0
; FloatMode: 240
; IeeeMode: 1
; LDSByteSize: 0 bytes/workgroup (compile time only)
; SGPRBlocks: 0
; VGPRBlocks: 0
; NumSGPRsForWavesPerEU: 1
; NumVGPRsForWavesPerEU: 1
; NamedBarCnt: 0
; Occupancy: 16
; WaveLimiterHint : 0
; COMPUTE_PGM_RSRC2:SCRATCH_EN: 0
; COMPUTE_PGM_RSRC2:USER_SGPR: 2
; COMPUTE_PGM_RSRC2:TRAP_HANDLER: 0
; COMPUTE_PGM_RSRC2:TGID_X_EN: 1
; COMPUTE_PGM_RSRC2:TGID_Y_EN: 0
; COMPUTE_PGM_RSRC2:TGID_Z_EN: 0
; COMPUTE_PGM_RSRC2:TIDIG_COMP_CNT: 0
	.section	.text._ZN7rocprim17ROCPRIM_400000_NS6detail17trampoline_kernelINS0_13select_configILj256ELj13ELNS0_17block_load_methodE3ELS4_3ELS4_3ELNS0_20block_scan_algorithmE0ELj4294967295EEENS1_25partition_config_selectorILNS1_17partition_subalgoE3EjNS0_10empty_typeEbEEZZNS1_14partition_implILS8_3ELb0ES6_jNS0_17counting_iteratorIjlEEPS9_SE_NS0_5tupleIJPjSE_EEENSF_IJSE_SE_EEES9_SG_JZNS1_25segmented_radix_sort_implINS0_14default_configELb1EPKaPaPKlPlN2at6native12_GLOBAL__N_18offset_tEEE10hipError_tPvRmT1_PNSt15iterator_traitsISY_E10value_typeET2_T3_PNSZ_IS14_E10value_typeET4_jRbjT5_S1A_jjP12ihipStream_tbEUljE_EEESV_SW_SX_S14_S18_S1A_T6_T7_T9_mT8_S1C_bDpT10_ENKUlT_T0_E_clISt17integral_constantIbLb0EES1P_EEDaS1K_S1L_EUlS1K_E_NS1_11comp_targetILNS1_3genE10ELNS1_11target_archE1200ELNS1_3gpuE4ELNS1_3repE0EEENS1_30default_config_static_selectorELNS0_4arch9wavefront6targetE0EEEvSY_,"axG",@progbits,_ZN7rocprim17ROCPRIM_400000_NS6detail17trampoline_kernelINS0_13select_configILj256ELj13ELNS0_17block_load_methodE3ELS4_3ELS4_3ELNS0_20block_scan_algorithmE0ELj4294967295EEENS1_25partition_config_selectorILNS1_17partition_subalgoE3EjNS0_10empty_typeEbEEZZNS1_14partition_implILS8_3ELb0ES6_jNS0_17counting_iteratorIjlEEPS9_SE_NS0_5tupleIJPjSE_EEENSF_IJSE_SE_EEES9_SG_JZNS1_25segmented_radix_sort_implINS0_14default_configELb1EPKaPaPKlPlN2at6native12_GLOBAL__N_18offset_tEEE10hipError_tPvRmT1_PNSt15iterator_traitsISY_E10value_typeET2_T3_PNSZ_IS14_E10value_typeET4_jRbjT5_S1A_jjP12ihipStream_tbEUljE_EEESV_SW_SX_S14_S18_S1A_T6_T7_T9_mT8_S1C_bDpT10_ENKUlT_T0_E_clISt17integral_constantIbLb0EES1P_EEDaS1K_S1L_EUlS1K_E_NS1_11comp_targetILNS1_3genE10ELNS1_11target_archE1200ELNS1_3gpuE4ELNS1_3repE0EEENS1_30default_config_static_selectorELNS0_4arch9wavefront6targetE0EEEvSY_,comdat
	.globl	_ZN7rocprim17ROCPRIM_400000_NS6detail17trampoline_kernelINS0_13select_configILj256ELj13ELNS0_17block_load_methodE3ELS4_3ELS4_3ELNS0_20block_scan_algorithmE0ELj4294967295EEENS1_25partition_config_selectorILNS1_17partition_subalgoE3EjNS0_10empty_typeEbEEZZNS1_14partition_implILS8_3ELb0ES6_jNS0_17counting_iteratorIjlEEPS9_SE_NS0_5tupleIJPjSE_EEENSF_IJSE_SE_EEES9_SG_JZNS1_25segmented_radix_sort_implINS0_14default_configELb1EPKaPaPKlPlN2at6native12_GLOBAL__N_18offset_tEEE10hipError_tPvRmT1_PNSt15iterator_traitsISY_E10value_typeET2_T3_PNSZ_IS14_E10value_typeET4_jRbjT5_S1A_jjP12ihipStream_tbEUljE_EEESV_SW_SX_S14_S18_S1A_T6_T7_T9_mT8_S1C_bDpT10_ENKUlT_T0_E_clISt17integral_constantIbLb0EES1P_EEDaS1K_S1L_EUlS1K_E_NS1_11comp_targetILNS1_3genE10ELNS1_11target_archE1200ELNS1_3gpuE4ELNS1_3repE0EEENS1_30default_config_static_selectorELNS0_4arch9wavefront6targetE0EEEvSY_ ; -- Begin function _ZN7rocprim17ROCPRIM_400000_NS6detail17trampoline_kernelINS0_13select_configILj256ELj13ELNS0_17block_load_methodE3ELS4_3ELS4_3ELNS0_20block_scan_algorithmE0ELj4294967295EEENS1_25partition_config_selectorILNS1_17partition_subalgoE3EjNS0_10empty_typeEbEEZZNS1_14partition_implILS8_3ELb0ES6_jNS0_17counting_iteratorIjlEEPS9_SE_NS0_5tupleIJPjSE_EEENSF_IJSE_SE_EEES9_SG_JZNS1_25segmented_radix_sort_implINS0_14default_configELb1EPKaPaPKlPlN2at6native12_GLOBAL__N_18offset_tEEE10hipError_tPvRmT1_PNSt15iterator_traitsISY_E10value_typeET2_T3_PNSZ_IS14_E10value_typeET4_jRbjT5_S1A_jjP12ihipStream_tbEUljE_EEESV_SW_SX_S14_S18_S1A_T6_T7_T9_mT8_S1C_bDpT10_ENKUlT_T0_E_clISt17integral_constantIbLb0EES1P_EEDaS1K_S1L_EUlS1K_E_NS1_11comp_targetILNS1_3genE10ELNS1_11target_archE1200ELNS1_3gpuE4ELNS1_3repE0EEENS1_30default_config_static_selectorELNS0_4arch9wavefront6targetE0EEEvSY_
	.p2align	8
	.type	_ZN7rocprim17ROCPRIM_400000_NS6detail17trampoline_kernelINS0_13select_configILj256ELj13ELNS0_17block_load_methodE3ELS4_3ELS4_3ELNS0_20block_scan_algorithmE0ELj4294967295EEENS1_25partition_config_selectorILNS1_17partition_subalgoE3EjNS0_10empty_typeEbEEZZNS1_14partition_implILS8_3ELb0ES6_jNS0_17counting_iteratorIjlEEPS9_SE_NS0_5tupleIJPjSE_EEENSF_IJSE_SE_EEES9_SG_JZNS1_25segmented_radix_sort_implINS0_14default_configELb1EPKaPaPKlPlN2at6native12_GLOBAL__N_18offset_tEEE10hipError_tPvRmT1_PNSt15iterator_traitsISY_E10value_typeET2_T3_PNSZ_IS14_E10value_typeET4_jRbjT5_S1A_jjP12ihipStream_tbEUljE_EEESV_SW_SX_S14_S18_S1A_T6_T7_T9_mT8_S1C_bDpT10_ENKUlT_T0_E_clISt17integral_constantIbLb0EES1P_EEDaS1K_S1L_EUlS1K_E_NS1_11comp_targetILNS1_3genE10ELNS1_11target_archE1200ELNS1_3gpuE4ELNS1_3repE0EEENS1_30default_config_static_selectorELNS0_4arch9wavefront6targetE0EEEvSY_,@function
_ZN7rocprim17ROCPRIM_400000_NS6detail17trampoline_kernelINS0_13select_configILj256ELj13ELNS0_17block_load_methodE3ELS4_3ELS4_3ELNS0_20block_scan_algorithmE0ELj4294967295EEENS1_25partition_config_selectorILNS1_17partition_subalgoE3EjNS0_10empty_typeEbEEZZNS1_14partition_implILS8_3ELb0ES6_jNS0_17counting_iteratorIjlEEPS9_SE_NS0_5tupleIJPjSE_EEENSF_IJSE_SE_EEES9_SG_JZNS1_25segmented_radix_sort_implINS0_14default_configELb1EPKaPaPKlPlN2at6native12_GLOBAL__N_18offset_tEEE10hipError_tPvRmT1_PNSt15iterator_traitsISY_E10value_typeET2_T3_PNSZ_IS14_E10value_typeET4_jRbjT5_S1A_jjP12ihipStream_tbEUljE_EEESV_SW_SX_S14_S18_S1A_T6_T7_T9_mT8_S1C_bDpT10_ENKUlT_T0_E_clISt17integral_constantIbLb0EES1P_EEDaS1K_S1L_EUlS1K_E_NS1_11comp_targetILNS1_3genE10ELNS1_11target_archE1200ELNS1_3gpuE4ELNS1_3repE0EEENS1_30default_config_static_selectorELNS0_4arch9wavefront6targetE0EEEvSY_: ; @_ZN7rocprim17ROCPRIM_400000_NS6detail17trampoline_kernelINS0_13select_configILj256ELj13ELNS0_17block_load_methodE3ELS4_3ELS4_3ELNS0_20block_scan_algorithmE0ELj4294967295EEENS1_25partition_config_selectorILNS1_17partition_subalgoE3EjNS0_10empty_typeEbEEZZNS1_14partition_implILS8_3ELb0ES6_jNS0_17counting_iteratorIjlEEPS9_SE_NS0_5tupleIJPjSE_EEENSF_IJSE_SE_EEES9_SG_JZNS1_25segmented_radix_sort_implINS0_14default_configELb1EPKaPaPKlPlN2at6native12_GLOBAL__N_18offset_tEEE10hipError_tPvRmT1_PNSt15iterator_traitsISY_E10value_typeET2_T3_PNSZ_IS14_E10value_typeET4_jRbjT5_S1A_jjP12ihipStream_tbEUljE_EEESV_SW_SX_S14_S18_S1A_T6_T7_T9_mT8_S1C_bDpT10_ENKUlT_T0_E_clISt17integral_constantIbLb0EES1P_EEDaS1K_S1L_EUlS1K_E_NS1_11comp_targetILNS1_3genE10ELNS1_11target_archE1200ELNS1_3gpuE4ELNS1_3repE0EEENS1_30default_config_static_selectorELNS0_4arch9wavefront6targetE0EEEvSY_
; %bb.0:
	.section	.rodata,"a",@progbits
	.p2align	6, 0x0
	.amdhsa_kernel _ZN7rocprim17ROCPRIM_400000_NS6detail17trampoline_kernelINS0_13select_configILj256ELj13ELNS0_17block_load_methodE3ELS4_3ELS4_3ELNS0_20block_scan_algorithmE0ELj4294967295EEENS1_25partition_config_selectorILNS1_17partition_subalgoE3EjNS0_10empty_typeEbEEZZNS1_14partition_implILS8_3ELb0ES6_jNS0_17counting_iteratorIjlEEPS9_SE_NS0_5tupleIJPjSE_EEENSF_IJSE_SE_EEES9_SG_JZNS1_25segmented_radix_sort_implINS0_14default_configELb1EPKaPaPKlPlN2at6native12_GLOBAL__N_18offset_tEEE10hipError_tPvRmT1_PNSt15iterator_traitsISY_E10value_typeET2_T3_PNSZ_IS14_E10value_typeET4_jRbjT5_S1A_jjP12ihipStream_tbEUljE_EEESV_SW_SX_S14_S18_S1A_T6_T7_T9_mT8_S1C_bDpT10_ENKUlT_T0_E_clISt17integral_constantIbLb0EES1P_EEDaS1K_S1L_EUlS1K_E_NS1_11comp_targetILNS1_3genE10ELNS1_11target_archE1200ELNS1_3gpuE4ELNS1_3repE0EEENS1_30default_config_static_selectorELNS0_4arch9wavefront6targetE0EEEvSY_
		.amdhsa_group_segment_fixed_size 0
		.amdhsa_private_segment_fixed_size 0
		.amdhsa_kernarg_size 144
		.amdhsa_user_sgpr_count 2
		.amdhsa_user_sgpr_dispatch_ptr 0
		.amdhsa_user_sgpr_queue_ptr 0
		.amdhsa_user_sgpr_kernarg_segment_ptr 1
		.amdhsa_user_sgpr_dispatch_id 0
		.amdhsa_user_sgpr_kernarg_preload_length 0
		.amdhsa_user_sgpr_kernarg_preload_offset 0
		.amdhsa_user_sgpr_private_segment_size 0
		.amdhsa_wavefront_size32 1
		.amdhsa_uses_dynamic_stack 0
		.amdhsa_enable_private_segment 0
		.amdhsa_system_sgpr_workgroup_id_x 1
		.amdhsa_system_sgpr_workgroup_id_y 0
		.amdhsa_system_sgpr_workgroup_id_z 0
		.amdhsa_system_sgpr_workgroup_info 0
		.amdhsa_system_vgpr_workitem_id 0
		.amdhsa_next_free_vgpr 1
		.amdhsa_next_free_sgpr 1
		.amdhsa_named_barrier_count 0
		.amdhsa_reserve_vcc 0
		.amdhsa_float_round_mode_32 0
		.amdhsa_float_round_mode_16_64 0
		.amdhsa_float_denorm_mode_32 3
		.amdhsa_float_denorm_mode_16_64 3
		.amdhsa_fp16_overflow 0
		.amdhsa_memory_ordered 1
		.amdhsa_forward_progress 1
		.amdhsa_inst_pref_size 0
		.amdhsa_round_robin_scheduling 0
		.amdhsa_exception_fp_ieee_invalid_op 0
		.amdhsa_exception_fp_denorm_src 0
		.amdhsa_exception_fp_ieee_div_zero 0
		.amdhsa_exception_fp_ieee_overflow 0
		.amdhsa_exception_fp_ieee_underflow 0
		.amdhsa_exception_fp_ieee_inexact 0
		.amdhsa_exception_int_div_zero 0
	.end_amdhsa_kernel
	.section	.text._ZN7rocprim17ROCPRIM_400000_NS6detail17trampoline_kernelINS0_13select_configILj256ELj13ELNS0_17block_load_methodE3ELS4_3ELS4_3ELNS0_20block_scan_algorithmE0ELj4294967295EEENS1_25partition_config_selectorILNS1_17partition_subalgoE3EjNS0_10empty_typeEbEEZZNS1_14partition_implILS8_3ELb0ES6_jNS0_17counting_iteratorIjlEEPS9_SE_NS0_5tupleIJPjSE_EEENSF_IJSE_SE_EEES9_SG_JZNS1_25segmented_radix_sort_implINS0_14default_configELb1EPKaPaPKlPlN2at6native12_GLOBAL__N_18offset_tEEE10hipError_tPvRmT1_PNSt15iterator_traitsISY_E10value_typeET2_T3_PNSZ_IS14_E10value_typeET4_jRbjT5_S1A_jjP12ihipStream_tbEUljE_EEESV_SW_SX_S14_S18_S1A_T6_T7_T9_mT8_S1C_bDpT10_ENKUlT_T0_E_clISt17integral_constantIbLb0EES1P_EEDaS1K_S1L_EUlS1K_E_NS1_11comp_targetILNS1_3genE10ELNS1_11target_archE1200ELNS1_3gpuE4ELNS1_3repE0EEENS1_30default_config_static_selectorELNS0_4arch9wavefront6targetE0EEEvSY_,"axG",@progbits,_ZN7rocprim17ROCPRIM_400000_NS6detail17trampoline_kernelINS0_13select_configILj256ELj13ELNS0_17block_load_methodE3ELS4_3ELS4_3ELNS0_20block_scan_algorithmE0ELj4294967295EEENS1_25partition_config_selectorILNS1_17partition_subalgoE3EjNS0_10empty_typeEbEEZZNS1_14partition_implILS8_3ELb0ES6_jNS0_17counting_iteratorIjlEEPS9_SE_NS0_5tupleIJPjSE_EEENSF_IJSE_SE_EEES9_SG_JZNS1_25segmented_radix_sort_implINS0_14default_configELb1EPKaPaPKlPlN2at6native12_GLOBAL__N_18offset_tEEE10hipError_tPvRmT1_PNSt15iterator_traitsISY_E10value_typeET2_T3_PNSZ_IS14_E10value_typeET4_jRbjT5_S1A_jjP12ihipStream_tbEUljE_EEESV_SW_SX_S14_S18_S1A_T6_T7_T9_mT8_S1C_bDpT10_ENKUlT_T0_E_clISt17integral_constantIbLb0EES1P_EEDaS1K_S1L_EUlS1K_E_NS1_11comp_targetILNS1_3genE10ELNS1_11target_archE1200ELNS1_3gpuE4ELNS1_3repE0EEENS1_30default_config_static_selectorELNS0_4arch9wavefront6targetE0EEEvSY_,comdat
.Lfunc_end261:
	.size	_ZN7rocprim17ROCPRIM_400000_NS6detail17trampoline_kernelINS0_13select_configILj256ELj13ELNS0_17block_load_methodE3ELS4_3ELS4_3ELNS0_20block_scan_algorithmE0ELj4294967295EEENS1_25partition_config_selectorILNS1_17partition_subalgoE3EjNS0_10empty_typeEbEEZZNS1_14partition_implILS8_3ELb0ES6_jNS0_17counting_iteratorIjlEEPS9_SE_NS0_5tupleIJPjSE_EEENSF_IJSE_SE_EEES9_SG_JZNS1_25segmented_radix_sort_implINS0_14default_configELb1EPKaPaPKlPlN2at6native12_GLOBAL__N_18offset_tEEE10hipError_tPvRmT1_PNSt15iterator_traitsISY_E10value_typeET2_T3_PNSZ_IS14_E10value_typeET4_jRbjT5_S1A_jjP12ihipStream_tbEUljE_EEESV_SW_SX_S14_S18_S1A_T6_T7_T9_mT8_S1C_bDpT10_ENKUlT_T0_E_clISt17integral_constantIbLb0EES1P_EEDaS1K_S1L_EUlS1K_E_NS1_11comp_targetILNS1_3genE10ELNS1_11target_archE1200ELNS1_3gpuE4ELNS1_3repE0EEENS1_30default_config_static_selectorELNS0_4arch9wavefront6targetE0EEEvSY_, .Lfunc_end261-_ZN7rocprim17ROCPRIM_400000_NS6detail17trampoline_kernelINS0_13select_configILj256ELj13ELNS0_17block_load_methodE3ELS4_3ELS4_3ELNS0_20block_scan_algorithmE0ELj4294967295EEENS1_25partition_config_selectorILNS1_17partition_subalgoE3EjNS0_10empty_typeEbEEZZNS1_14partition_implILS8_3ELb0ES6_jNS0_17counting_iteratorIjlEEPS9_SE_NS0_5tupleIJPjSE_EEENSF_IJSE_SE_EEES9_SG_JZNS1_25segmented_radix_sort_implINS0_14default_configELb1EPKaPaPKlPlN2at6native12_GLOBAL__N_18offset_tEEE10hipError_tPvRmT1_PNSt15iterator_traitsISY_E10value_typeET2_T3_PNSZ_IS14_E10value_typeET4_jRbjT5_S1A_jjP12ihipStream_tbEUljE_EEESV_SW_SX_S14_S18_S1A_T6_T7_T9_mT8_S1C_bDpT10_ENKUlT_T0_E_clISt17integral_constantIbLb0EES1P_EEDaS1K_S1L_EUlS1K_E_NS1_11comp_targetILNS1_3genE10ELNS1_11target_archE1200ELNS1_3gpuE4ELNS1_3repE0EEENS1_30default_config_static_selectorELNS0_4arch9wavefront6targetE0EEEvSY_
                                        ; -- End function
	.set _ZN7rocprim17ROCPRIM_400000_NS6detail17trampoline_kernelINS0_13select_configILj256ELj13ELNS0_17block_load_methodE3ELS4_3ELS4_3ELNS0_20block_scan_algorithmE0ELj4294967295EEENS1_25partition_config_selectorILNS1_17partition_subalgoE3EjNS0_10empty_typeEbEEZZNS1_14partition_implILS8_3ELb0ES6_jNS0_17counting_iteratorIjlEEPS9_SE_NS0_5tupleIJPjSE_EEENSF_IJSE_SE_EEES9_SG_JZNS1_25segmented_radix_sort_implINS0_14default_configELb1EPKaPaPKlPlN2at6native12_GLOBAL__N_18offset_tEEE10hipError_tPvRmT1_PNSt15iterator_traitsISY_E10value_typeET2_T3_PNSZ_IS14_E10value_typeET4_jRbjT5_S1A_jjP12ihipStream_tbEUljE_EEESV_SW_SX_S14_S18_S1A_T6_T7_T9_mT8_S1C_bDpT10_ENKUlT_T0_E_clISt17integral_constantIbLb0EES1P_EEDaS1K_S1L_EUlS1K_E_NS1_11comp_targetILNS1_3genE10ELNS1_11target_archE1200ELNS1_3gpuE4ELNS1_3repE0EEENS1_30default_config_static_selectorELNS0_4arch9wavefront6targetE0EEEvSY_.num_vgpr, 0
	.set _ZN7rocprim17ROCPRIM_400000_NS6detail17trampoline_kernelINS0_13select_configILj256ELj13ELNS0_17block_load_methodE3ELS4_3ELS4_3ELNS0_20block_scan_algorithmE0ELj4294967295EEENS1_25partition_config_selectorILNS1_17partition_subalgoE3EjNS0_10empty_typeEbEEZZNS1_14partition_implILS8_3ELb0ES6_jNS0_17counting_iteratorIjlEEPS9_SE_NS0_5tupleIJPjSE_EEENSF_IJSE_SE_EEES9_SG_JZNS1_25segmented_radix_sort_implINS0_14default_configELb1EPKaPaPKlPlN2at6native12_GLOBAL__N_18offset_tEEE10hipError_tPvRmT1_PNSt15iterator_traitsISY_E10value_typeET2_T3_PNSZ_IS14_E10value_typeET4_jRbjT5_S1A_jjP12ihipStream_tbEUljE_EEESV_SW_SX_S14_S18_S1A_T6_T7_T9_mT8_S1C_bDpT10_ENKUlT_T0_E_clISt17integral_constantIbLb0EES1P_EEDaS1K_S1L_EUlS1K_E_NS1_11comp_targetILNS1_3genE10ELNS1_11target_archE1200ELNS1_3gpuE4ELNS1_3repE0EEENS1_30default_config_static_selectorELNS0_4arch9wavefront6targetE0EEEvSY_.num_agpr, 0
	.set _ZN7rocprim17ROCPRIM_400000_NS6detail17trampoline_kernelINS0_13select_configILj256ELj13ELNS0_17block_load_methodE3ELS4_3ELS4_3ELNS0_20block_scan_algorithmE0ELj4294967295EEENS1_25partition_config_selectorILNS1_17partition_subalgoE3EjNS0_10empty_typeEbEEZZNS1_14partition_implILS8_3ELb0ES6_jNS0_17counting_iteratorIjlEEPS9_SE_NS0_5tupleIJPjSE_EEENSF_IJSE_SE_EEES9_SG_JZNS1_25segmented_radix_sort_implINS0_14default_configELb1EPKaPaPKlPlN2at6native12_GLOBAL__N_18offset_tEEE10hipError_tPvRmT1_PNSt15iterator_traitsISY_E10value_typeET2_T3_PNSZ_IS14_E10value_typeET4_jRbjT5_S1A_jjP12ihipStream_tbEUljE_EEESV_SW_SX_S14_S18_S1A_T6_T7_T9_mT8_S1C_bDpT10_ENKUlT_T0_E_clISt17integral_constantIbLb0EES1P_EEDaS1K_S1L_EUlS1K_E_NS1_11comp_targetILNS1_3genE10ELNS1_11target_archE1200ELNS1_3gpuE4ELNS1_3repE0EEENS1_30default_config_static_selectorELNS0_4arch9wavefront6targetE0EEEvSY_.numbered_sgpr, 0
	.set _ZN7rocprim17ROCPRIM_400000_NS6detail17trampoline_kernelINS0_13select_configILj256ELj13ELNS0_17block_load_methodE3ELS4_3ELS4_3ELNS0_20block_scan_algorithmE0ELj4294967295EEENS1_25partition_config_selectorILNS1_17partition_subalgoE3EjNS0_10empty_typeEbEEZZNS1_14partition_implILS8_3ELb0ES6_jNS0_17counting_iteratorIjlEEPS9_SE_NS0_5tupleIJPjSE_EEENSF_IJSE_SE_EEES9_SG_JZNS1_25segmented_radix_sort_implINS0_14default_configELb1EPKaPaPKlPlN2at6native12_GLOBAL__N_18offset_tEEE10hipError_tPvRmT1_PNSt15iterator_traitsISY_E10value_typeET2_T3_PNSZ_IS14_E10value_typeET4_jRbjT5_S1A_jjP12ihipStream_tbEUljE_EEESV_SW_SX_S14_S18_S1A_T6_T7_T9_mT8_S1C_bDpT10_ENKUlT_T0_E_clISt17integral_constantIbLb0EES1P_EEDaS1K_S1L_EUlS1K_E_NS1_11comp_targetILNS1_3genE10ELNS1_11target_archE1200ELNS1_3gpuE4ELNS1_3repE0EEENS1_30default_config_static_selectorELNS0_4arch9wavefront6targetE0EEEvSY_.num_named_barrier, 0
	.set _ZN7rocprim17ROCPRIM_400000_NS6detail17trampoline_kernelINS0_13select_configILj256ELj13ELNS0_17block_load_methodE3ELS4_3ELS4_3ELNS0_20block_scan_algorithmE0ELj4294967295EEENS1_25partition_config_selectorILNS1_17partition_subalgoE3EjNS0_10empty_typeEbEEZZNS1_14partition_implILS8_3ELb0ES6_jNS0_17counting_iteratorIjlEEPS9_SE_NS0_5tupleIJPjSE_EEENSF_IJSE_SE_EEES9_SG_JZNS1_25segmented_radix_sort_implINS0_14default_configELb1EPKaPaPKlPlN2at6native12_GLOBAL__N_18offset_tEEE10hipError_tPvRmT1_PNSt15iterator_traitsISY_E10value_typeET2_T3_PNSZ_IS14_E10value_typeET4_jRbjT5_S1A_jjP12ihipStream_tbEUljE_EEESV_SW_SX_S14_S18_S1A_T6_T7_T9_mT8_S1C_bDpT10_ENKUlT_T0_E_clISt17integral_constantIbLb0EES1P_EEDaS1K_S1L_EUlS1K_E_NS1_11comp_targetILNS1_3genE10ELNS1_11target_archE1200ELNS1_3gpuE4ELNS1_3repE0EEENS1_30default_config_static_selectorELNS0_4arch9wavefront6targetE0EEEvSY_.private_seg_size, 0
	.set _ZN7rocprim17ROCPRIM_400000_NS6detail17trampoline_kernelINS0_13select_configILj256ELj13ELNS0_17block_load_methodE3ELS4_3ELS4_3ELNS0_20block_scan_algorithmE0ELj4294967295EEENS1_25partition_config_selectorILNS1_17partition_subalgoE3EjNS0_10empty_typeEbEEZZNS1_14partition_implILS8_3ELb0ES6_jNS0_17counting_iteratorIjlEEPS9_SE_NS0_5tupleIJPjSE_EEENSF_IJSE_SE_EEES9_SG_JZNS1_25segmented_radix_sort_implINS0_14default_configELb1EPKaPaPKlPlN2at6native12_GLOBAL__N_18offset_tEEE10hipError_tPvRmT1_PNSt15iterator_traitsISY_E10value_typeET2_T3_PNSZ_IS14_E10value_typeET4_jRbjT5_S1A_jjP12ihipStream_tbEUljE_EEESV_SW_SX_S14_S18_S1A_T6_T7_T9_mT8_S1C_bDpT10_ENKUlT_T0_E_clISt17integral_constantIbLb0EES1P_EEDaS1K_S1L_EUlS1K_E_NS1_11comp_targetILNS1_3genE10ELNS1_11target_archE1200ELNS1_3gpuE4ELNS1_3repE0EEENS1_30default_config_static_selectorELNS0_4arch9wavefront6targetE0EEEvSY_.uses_vcc, 0
	.set _ZN7rocprim17ROCPRIM_400000_NS6detail17trampoline_kernelINS0_13select_configILj256ELj13ELNS0_17block_load_methodE3ELS4_3ELS4_3ELNS0_20block_scan_algorithmE0ELj4294967295EEENS1_25partition_config_selectorILNS1_17partition_subalgoE3EjNS0_10empty_typeEbEEZZNS1_14partition_implILS8_3ELb0ES6_jNS0_17counting_iteratorIjlEEPS9_SE_NS0_5tupleIJPjSE_EEENSF_IJSE_SE_EEES9_SG_JZNS1_25segmented_radix_sort_implINS0_14default_configELb1EPKaPaPKlPlN2at6native12_GLOBAL__N_18offset_tEEE10hipError_tPvRmT1_PNSt15iterator_traitsISY_E10value_typeET2_T3_PNSZ_IS14_E10value_typeET4_jRbjT5_S1A_jjP12ihipStream_tbEUljE_EEESV_SW_SX_S14_S18_S1A_T6_T7_T9_mT8_S1C_bDpT10_ENKUlT_T0_E_clISt17integral_constantIbLb0EES1P_EEDaS1K_S1L_EUlS1K_E_NS1_11comp_targetILNS1_3genE10ELNS1_11target_archE1200ELNS1_3gpuE4ELNS1_3repE0EEENS1_30default_config_static_selectorELNS0_4arch9wavefront6targetE0EEEvSY_.uses_flat_scratch, 0
	.set _ZN7rocprim17ROCPRIM_400000_NS6detail17trampoline_kernelINS0_13select_configILj256ELj13ELNS0_17block_load_methodE3ELS4_3ELS4_3ELNS0_20block_scan_algorithmE0ELj4294967295EEENS1_25partition_config_selectorILNS1_17partition_subalgoE3EjNS0_10empty_typeEbEEZZNS1_14partition_implILS8_3ELb0ES6_jNS0_17counting_iteratorIjlEEPS9_SE_NS0_5tupleIJPjSE_EEENSF_IJSE_SE_EEES9_SG_JZNS1_25segmented_radix_sort_implINS0_14default_configELb1EPKaPaPKlPlN2at6native12_GLOBAL__N_18offset_tEEE10hipError_tPvRmT1_PNSt15iterator_traitsISY_E10value_typeET2_T3_PNSZ_IS14_E10value_typeET4_jRbjT5_S1A_jjP12ihipStream_tbEUljE_EEESV_SW_SX_S14_S18_S1A_T6_T7_T9_mT8_S1C_bDpT10_ENKUlT_T0_E_clISt17integral_constantIbLb0EES1P_EEDaS1K_S1L_EUlS1K_E_NS1_11comp_targetILNS1_3genE10ELNS1_11target_archE1200ELNS1_3gpuE4ELNS1_3repE0EEENS1_30default_config_static_selectorELNS0_4arch9wavefront6targetE0EEEvSY_.has_dyn_sized_stack, 0
	.set _ZN7rocprim17ROCPRIM_400000_NS6detail17trampoline_kernelINS0_13select_configILj256ELj13ELNS0_17block_load_methodE3ELS4_3ELS4_3ELNS0_20block_scan_algorithmE0ELj4294967295EEENS1_25partition_config_selectorILNS1_17partition_subalgoE3EjNS0_10empty_typeEbEEZZNS1_14partition_implILS8_3ELb0ES6_jNS0_17counting_iteratorIjlEEPS9_SE_NS0_5tupleIJPjSE_EEENSF_IJSE_SE_EEES9_SG_JZNS1_25segmented_radix_sort_implINS0_14default_configELb1EPKaPaPKlPlN2at6native12_GLOBAL__N_18offset_tEEE10hipError_tPvRmT1_PNSt15iterator_traitsISY_E10value_typeET2_T3_PNSZ_IS14_E10value_typeET4_jRbjT5_S1A_jjP12ihipStream_tbEUljE_EEESV_SW_SX_S14_S18_S1A_T6_T7_T9_mT8_S1C_bDpT10_ENKUlT_T0_E_clISt17integral_constantIbLb0EES1P_EEDaS1K_S1L_EUlS1K_E_NS1_11comp_targetILNS1_3genE10ELNS1_11target_archE1200ELNS1_3gpuE4ELNS1_3repE0EEENS1_30default_config_static_selectorELNS0_4arch9wavefront6targetE0EEEvSY_.has_recursion, 0
	.set _ZN7rocprim17ROCPRIM_400000_NS6detail17trampoline_kernelINS0_13select_configILj256ELj13ELNS0_17block_load_methodE3ELS4_3ELS4_3ELNS0_20block_scan_algorithmE0ELj4294967295EEENS1_25partition_config_selectorILNS1_17partition_subalgoE3EjNS0_10empty_typeEbEEZZNS1_14partition_implILS8_3ELb0ES6_jNS0_17counting_iteratorIjlEEPS9_SE_NS0_5tupleIJPjSE_EEENSF_IJSE_SE_EEES9_SG_JZNS1_25segmented_radix_sort_implINS0_14default_configELb1EPKaPaPKlPlN2at6native12_GLOBAL__N_18offset_tEEE10hipError_tPvRmT1_PNSt15iterator_traitsISY_E10value_typeET2_T3_PNSZ_IS14_E10value_typeET4_jRbjT5_S1A_jjP12ihipStream_tbEUljE_EEESV_SW_SX_S14_S18_S1A_T6_T7_T9_mT8_S1C_bDpT10_ENKUlT_T0_E_clISt17integral_constantIbLb0EES1P_EEDaS1K_S1L_EUlS1K_E_NS1_11comp_targetILNS1_3genE10ELNS1_11target_archE1200ELNS1_3gpuE4ELNS1_3repE0EEENS1_30default_config_static_selectorELNS0_4arch9wavefront6targetE0EEEvSY_.has_indirect_call, 0
	.section	.AMDGPU.csdata,"",@progbits
; Kernel info:
; codeLenInByte = 0
; TotalNumSgprs: 0
; NumVgprs: 0
; ScratchSize: 0
; MemoryBound: 0
; FloatMode: 240
; IeeeMode: 1
; LDSByteSize: 0 bytes/workgroup (compile time only)
; SGPRBlocks: 0
; VGPRBlocks: 0
; NumSGPRsForWavesPerEU: 1
; NumVGPRsForWavesPerEU: 1
; NamedBarCnt: 0
; Occupancy: 16
; WaveLimiterHint : 0
; COMPUTE_PGM_RSRC2:SCRATCH_EN: 0
; COMPUTE_PGM_RSRC2:USER_SGPR: 2
; COMPUTE_PGM_RSRC2:TRAP_HANDLER: 0
; COMPUTE_PGM_RSRC2:TGID_X_EN: 1
; COMPUTE_PGM_RSRC2:TGID_Y_EN: 0
; COMPUTE_PGM_RSRC2:TGID_Z_EN: 0
; COMPUTE_PGM_RSRC2:TIDIG_COMP_CNT: 0
	.section	.text._ZN7rocprim17ROCPRIM_400000_NS6detail17trampoline_kernelINS0_13select_configILj256ELj13ELNS0_17block_load_methodE3ELS4_3ELS4_3ELNS0_20block_scan_algorithmE0ELj4294967295EEENS1_25partition_config_selectorILNS1_17partition_subalgoE3EjNS0_10empty_typeEbEEZZNS1_14partition_implILS8_3ELb0ES6_jNS0_17counting_iteratorIjlEEPS9_SE_NS0_5tupleIJPjSE_EEENSF_IJSE_SE_EEES9_SG_JZNS1_25segmented_radix_sort_implINS0_14default_configELb1EPKaPaPKlPlN2at6native12_GLOBAL__N_18offset_tEEE10hipError_tPvRmT1_PNSt15iterator_traitsISY_E10value_typeET2_T3_PNSZ_IS14_E10value_typeET4_jRbjT5_S1A_jjP12ihipStream_tbEUljE_EEESV_SW_SX_S14_S18_S1A_T6_T7_T9_mT8_S1C_bDpT10_ENKUlT_T0_E_clISt17integral_constantIbLb0EES1P_EEDaS1K_S1L_EUlS1K_E_NS1_11comp_targetILNS1_3genE9ELNS1_11target_archE1100ELNS1_3gpuE3ELNS1_3repE0EEENS1_30default_config_static_selectorELNS0_4arch9wavefront6targetE0EEEvSY_,"axG",@progbits,_ZN7rocprim17ROCPRIM_400000_NS6detail17trampoline_kernelINS0_13select_configILj256ELj13ELNS0_17block_load_methodE3ELS4_3ELS4_3ELNS0_20block_scan_algorithmE0ELj4294967295EEENS1_25partition_config_selectorILNS1_17partition_subalgoE3EjNS0_10empty_typeEbEEZZNS1_14partition_implILS8_3ELb0ES6_jNS0_17counting_iteratorIjlEEPS9_SE_NS0_5tupleIJPjSE_EEENSF_IJSE_SE_EEES9_SG_JZNS1_25segmented_radix_sort_implINS0_14default_configELb1EPKaPaPKlPlN2at6native12_GLOBAL__N_18offset_tEEE10hipError_tPvRmT1_PNSt15iterator_traitsISY_E10value_typeET2_T3_PNSZ_IS14_E10value_typeET4_jRbjT5_S1A_jjP12ihipStream_tbEUljE_EEESV_SW_SX_S14_S18_S1A_T6_T7_T9_mT8_S1C_bDpT10_ENKUlT_T0_E_clISt17integral_constantIbLb0EES1P_EEDaS1K_S1L_EUlS1K_E_NS1_11comp_targetILNS1_3genE9ELNS1_11target_archE1100ELNS1_3gpuE3ELNS1_3repE0EEENS1_30default_config_static_selectorELNS0_4arch9wavefront6targetE0EEEvSY_,comdat
	.globl	_ZN7rocprim17ROCPRIM_400000_NS6detail17trampoline_kernelINS0_13select_configILj256ELj13ELNS0_17block_load_methodE3ELS4_3ELS4_3ELNS0_20block_scan_algorithmE0ELj4294967295EEENS1_25partition_config_selectorILNS1_17partition_subalgoE3EjNS0_10empty_typeEbEEZZNS1_14partition_implILS8_3ELb0ES6_jNS0_17counting_iteratorIjlEEPS9_SE_NS0_5tupleIJPjSE_EEENSF_IJSE_SE_EEES9_SG_JZNS1_25segmented_radix_sort_implINS0_14default_configELb1EPKaPaPKlPlN2at6native12_GLOBAL__N_18offset_tEEE10hipError_tPvRmT1_PNSt15iterator_traitsISY_E10value_typeET2_T3_PNSZ_IS14_E10value_typeET4_jRbjT5_S1A_jjP12ihipStream_tbEUljE_EEESV_SW_SX_S14_S18_S1A_T6_T7_T9_mT8_S1C_bDpT10_ENKUlT_T0_E_clISt17integral_constantIbLb0EES1P_EEDaS1K_S1L_EUlS1K_E_NS1_11comp_targetILNS1_3genE9ELNS1_11target_archE1100ELNS1_3gpuE3ELNS1_3repE0EEENS1_30default_config_static_selectorELNS0_4arch9wavefront6targetE0EEEvSY_ ; -- Begin function _ZN7rocprim17ROCPRIM_400000_NS6detail17trampoline_kernelINS0_13select_configILj256ELj13ELNS0_17block_load_methodE3ELS4_3ELS4_3ELNS0_20block_scan_algorithmE0ELj4294967295EEENS1_25partition_config_selectorILNS1_17partition_subalgoE3EjNS0_10empty_typeEbEEZZNS1_14partition_implILS8_3ELb0ES6_jNS0_17counting_iteratorIjlEEPS9_SE_NS0_5tupleIJPjSE_EEENSF_IJSE_SE_EEES9_SG_JZNS1_25segmented_radix_sort_implINS0_14default_configELb1EPKaPaPKlPlN2at6native12_GLOBAL__N_18offset_tEEE10hipError_tPvRmT1_PNSt15iterator_traitsISY_E10value_typeET2_T3_PNSZ_IS14_E10value_typeET4_jRbjT5_S1A_jjP12ihipStream_tbEUljE_EEESV_SW_SX_S14_S18_S1A_T6_T7_T9_mT8_S1C_bDpT10_ENKUlT_T0_E_clISt17integral_constantIbLb0EES1P_EEDaS1K_S1L_EUlS1K_E_NS1_11comp_targetILNS1_3genE9ELNS1_11target_archE1100ELNS1_3gpuE3ELNS1_3repE0EEENS1_30default_config_static_selectorELNS0_4arch9wavefront6targetE0EEEvSY_
	.p2align	8
	.type	_ZN7rocprim17ROCPRIM_400000_NS6detail17trampoline_kernelINS0_13select_configILj256ELj13ELNS0_17block_load_methodE3ELS4_3ELS4_3ELNS0_20block_scan_algorithmE0ELj4294967295EEENS1_25partition_config_selectorILNS1_17partition_subalgoE3EjNS0_10empty_typeEbEEZZNS1_14partition_implILS8_3ELb0ES6_jNS0_17counting_iteratorIjlEEPS9_SE_NS0_5tupleIJPjSE_EEENSF_IJSE_SE_EEES9_SG_JZNS1_25segmented_radix_sort_implINS0_14default_configELb1EPKaPaPKlPlN2at6native12_GLOBAL__N_18offset_tEEE10hipError_tPvRmT1_PNSt15iterator_traitsISY_E10value_typeET2_T3_PNSZ_IS14_E10value_typeET4_jRbjT5_S1A_jjP12ihipStream_tbEUljE_EEESV_SW_SX_S14_S18_S1A_T6_T7_T9_mT8_S1C_bDpT10_ENKUlT_T0_E_clISt17integral_constantIbLb0EES1P_EEDaS1K_S1L_EUlS1K_E_NS1_11comp_targetILNS1_3genE9ELNS1_11target_archE1100ELNS1_3gpuE3ELNS1_3repE0EEENS1_30default_config_static_selectorELNS0_4arch9wavefront6targetE0EEEvSY_,@function
_ZN7rocprim17ROCPRIM_400000_NS6detail17trampoline_kernelINS0_13select_configILj256ELj13ELNS0_17block_load_methodE3ELS4_3ELS4_3ELNS0_20block_scan_algorithmE0ELj4294967295EEENS1_25partition_config_selectorILNS1_17partition_subalgoE3EjNS0_10empty_typeEbEEZZNS1_14partition_implILS8_3ELb0ES6_jNS0_17counting_iteratorIjlEEPS9_SE_NS0_5tupleIJPjSE_EEENSF_IJSE_SE_EEES9_SG_JZNS1_25segmented_radix_sort_implINS0_14default_configELb1EPKaPaPKlPlN2at6native12_GLOBAL__N_18offset_tEEE10hipError_tPvRmT1_PNSt15iterator_traitsISY_E10value_typeET2_T3_PNSZ_IS14_E10value_typeET4_jRbjT5_S1A_jjP12ihipStream_tbEUljE_EEESV_SW_SX_S14_S18_S1A_T6_T7_T9_mT8_S1C_bDpT10_ENKUlT_T0_E_clISt17integral_constantIbLb0EES1P_EEDaS1K_S1L_EUlS1K_E_NS1_11comp_targetILNS1_3genE9ELNS1_11target_archE1100ELNS1_3gpuE3ELNS1_3repE0EEENS1_30default_config_static_selectorELNS0_4arch9wavefront6targetE0EEEvSY_: ; @_ZN7rocprim17ROCPRIM_400000_NS6detail17trampoline_kernelINS0_13select_configILj256ELj13ELNS0_17block_load_methodE3ELS4_3ELS4_3ELNS0_20block_scan_algorithmE0ELj4294967295EEENS1_25partition_config_selectorILNS1_17partition_subalgoE3EjNS0_10empty_typeEbEEZZNS1_14partition_implILS8_3ELb0ES6_jNS0_17counting_iteratorIjlEEPS9_SE_NS0_5tupleIJPjSE_EEENSF_IJSE_SE_EEES9_SG_JZNS1_25segmented_radix_sort_implINS0_14default_configELb1EPKaPaPKlPlN2at6native12_GLOBAL__N_18offset_tEEE10hipError_tPvRmT1_PNSt15iterator_traitsISY_E10value_typeET2_T3_PNSZ_IS14_E10value_typeET4_jRbjT5_S1A_jjP12ihipStream_tbEUljE_EEESV_SW_SX_S14_S18_S1A_T6_T7_T9_mT8_S1C_bDpT10_ENKUlT_T0_E_clISt17integral_constantIbLb0EES1P_EEDaS1K_S1L_EUlS1K_E_NS1_11comp_targetILNS1_3genE9ELNS1_11target_archE1100ELNS1_3gpuE3ELNS1_3repE0EEENS1_30default_config_static_selectorELNS0_4arch9wavefront6targetE0EEEvSY_
; %bb.0:
	.section	.rodata,"a",@progbits
	.p2align	6, 0x0
	.amdhsa_kernel _ZN7rocprim17ROCPRIM_400000_NS6detail17trampoline_kernelINS0_13select_configILj256ELj13ELNS0_17block_load_methodE3ELS4_3ELS4_3ELNS0_20block_scan_algorithmE0ELj4294967295EEENS1_25partition_config_selectorILNS1_17partition_subalgoE3EjNS0_10empty_typeEbEEZZNS1_14partition_implILS8_3ELb0ES6_jNS0_17counting_iteratorIjlEEPS9_SE_NS0_5tupleIJPjSE_EEENSF_IJSE_SE_EEES9_SG_JZNS1_25segmented_radix_sort_implINS0_14default_configELb1EPKaPaPKlPlN2at6native12_GLOBAL__N_18offset_tEEE10hipError_tPvRmT1_PNSt15iterator_traitsISY_E10value_typeET2_T3_PNSZ_IS14_E10value_typeET4_jRbjT5_S1A_jjP12ihipStream_tbEUljE_EEESV_SW_SX_S14_S18_S1A_T6_T7_T9_mT8_S1C_bDpT10_ENKUlT_T0_E_clISt17integral_constantIbLb0EES1P_EEDaS1K_S1L_EUlS1K_E_NS1_11comp_targetILNS1_3genE9ELNS1_11target_archE1100ELNS1_3gpuE3ELNS1_3repE0EEENS1_30default_config_static_selectorELNS0_4arch9wavefront6targetE0EEEvSY_
		.amdhsa_group_segment_fixed_size 0
		.amdhsa_private_segment_fixed_size 0
		.amdhsa_kernarg_size 144
		.amdhsa_user_sgpr_count 2
		.amdhsa_user_sgpr_dispatch_ptr 0
		.amdhsa_user_sgpr_queue_ptr 0
		.amdhsa_user_sgpr_kernarg_segment_ptr 1
		.amdhsa_user_sgpr_dispatch_id 0
		.amdhsa_user_sgpr_kernarg_preload_length 0
		.amdhsa_user_sgpr_kernarg_preload_offset 0
		.amdhsa_user_sgpr_private_segment_size 0
		.amdhsa_wavefront_size32 1
		.amdhsa_uses_dynamic_stack 0
		.amdhsa_enable_private_segment 0
		.amdhsa_system_sgpr_workgroup_id_x 1
		.amdhsa_system_sgpr_workgroup_id_y 0
		.amdhsa_system_sgpr_workgroup_id_z 0
		.amdhsa_system_sgpr_workgroup_info 0
		.amdhsa_system_vgpr_workitem_id 0
		.amdhsa_next_free_vgpr 1
		.amdhsa_next_free_sgpr 1
		.amdhsa_named_barrier_count 0
		.amdhsa_reserve_vcc 0
		.amdhsa_float_round_mode_32 0
		.amdhsa_float_round_mode_16_64 0
		.amdhsa_float_denorm_mode_32 3
		.amdhsa_float_denorm_mode_16_64 3
		.amdhsa_fp16_overflow 0
		.amdhsa_memory_ordered 1
		.amdhsa_forward_progress 1
		.amdhsa_inst_pref_size 0
		.amdhsa_round_robin_scheduling 0
		.amdhsa_exception_fp_ieee_invalid_op 0
		.amdhsa_exception_fp_denorm_src 0
		.amdhsa_exception_fp_ieee_div_zero 0
		.amdhsa_exception_fp_ieee_overflow 0
		.amdhsa_exception_fp_ieee_underflow 0
		.amdhsa_exception_fp_ieee_inexact 0
		.amdhsa_exception_int_div_zero 0
	.end_amdhsa_kernel
	.section	.text._ZN7rocprim17ROCPRIM_400000_NS6detail17trampoline_kernelINS0_13select_configILj256ELj13ELNS0_17block_load_methodE3ELS4_3ELS4_3ELNS0_20block_scan_algorithmE0ELj4294967295EEENS1_25partition_config_selectorILNS1_17partition_subalgoE3EjNS0_10empty_typeEbEEZZNS1_14partition_implILS8_3ELb0ES6_jNS0_17counting_iteratorIjlEEPS9_SE_NS0_5tupleIJPjSE_EEENSF_IJSE_SE_EEES9_SG_JZNS1_25segmented_radix_sort_implINS0_14default_configELb1EPKaPaPKlPlN2at6native12_GLOBAL__N_18offset_tEEE10hipError_tPvRmT1_PNSt15iterator_traitsISY_E10value_typeET2_T3_PNSZ_IS14_E10value_typeET4_jRbjT5_S1A_jjP12ihipStream_tbEUljE_EEESV_SW_SX_S14_S18_S1A_T6_T7_T9_mT8_S1C_bDpT10_ENKUlT_T0_E_clISt17integral_constantIbLb0EES1P_EEDaS1K_S1L_EUlS1K_E_NS1_11comp_targetILNS1_3genE9ELNS1_11target_archE1100ELNS1_3gpuE3ELNS1_3repE0EEENS1_30default_config_static_selectorELNS0_4arch9wavefront6targetE0EEEvSY_,"axG",@progbits,_ZN7rocprim17ROCPRIM_400000_NS6detail17trampoline_kernelINS0_13select_configILj256ELj13ELNS0_17block_load_methodE3ELS4_3ELS4_3ELNS0_20block_scan_algorithmE0ELj4294967295EEENS1_25partition_config_selectorILNS1_17partition_subalgoE3EjNS0_10empty_typeEbEEZZNS1_14partition_implILS8_3ELb0ES6_jNS0_17counting_iteratorIjlEEPS9_SE_NS0_5tupleIJPjSE_EEENSF_IJSE_SE_EEES9_SG_JZNS1_25segmented_radix_sort_implINS0_14default_configELb1EPKaPaPKlPlN2at6native12_GLOBAL__N_18offset_tEEE10hipError_tPvRmT1_PNSt15iterator_traitsISY_E10value_typeET2_T3_PNSZ_IS14_E10value_typeET4_jRbjT5_S1A_jjP12ihipStream_tbEUljE_EEESV_SW_SX_S14_S18_S1A_T6_T7_T9_mT8_S1C_bDpT10_ENKUlT_T0_E_clISt17integral_constantIbLb0EES1P_EEDaS1K_S1L_EUlS1K_E_NS1_11comp_targetILNS1_3genE9ELNS1_11target_archE1100ELNS1_3gpuE3ELNS1_3repE0EEENS1_30default_config_static_selectorELNS0_4arch9wavefront6targetE0EEEvSY_,comdat
.Lfunc_end262:
	.size	_ZN7rocprim17ROCPRIM_400000_NS6detail17trampoline_kernelINS0_13select_configILj256ELj13ELNS0_17block_load_methodE3ELS4_3ELS4_3ELNS0_20block_scan_algorithmE0ELj4294967295EEENS1_25partition_config_selectorILNS1_17partition_subalgoE3EjNS0_10empty_typeEbEEZZNS1_14partition_implILS8_3ELb0ES6_jNS0_17counting_iteratorIjlEEPS9_SE_NS0_5tupleIJPjSE_EEENSF_IJSE_SE_EEES9_SG_JZNS1_25segmented_radix_sort_implINS0_14default_configELb1EPKaPaPKlPlN2at6native12_GLOBAL__N_18offset_tEEE10hipError_tPvRmT1_PNSt15iterator_traitsISY_E10value_typeET2_T3_PNSZ_IS14_E10value_typeET4_jRbjT5_S1A_jjP12ihipStream_tbEUljE_EEESV_SW_SX_S14_S18_S1A_T6_T7_T9_mT8_S1C_bDpT10_ENKUlT_T0_E_clISt17integral_constantIbLb0EES1P_EEDaS1K_S1L_EUlS1K_E_NS1_11comp_targetILNS1_3genE9ELNS1_11target_archE1100ELNS1_3gpuE3ELNS1_3repE0EEENS1_30default_config_static_selectorELNS0_4arch9wavefront6targetE0EEEvSY_, .Lfunc_end262-_ZN7rocprim17ROCPRIM_400000_NS6detail17trampoline_kernelINS0_13select_configILj256ELj13ELNS0_17block_load_methodE3ELS4_3ELS4_3ELNS0_20block_scan_algorithmE0ELj4294967295EEENS1_25partition_config_selectorILNS1_17partition_subalgoE3EjNS0_10empty_typeEbEEZZNS1_14partition_implILS8_3ELb0ES6_jNS0_17counting_iteratorIjlEEPS9_SE_NS0_5tupleIJPjSE_EEENSF_IJSE_SE_EEES9_SG_JZNS1_25segmented_radix_sort_implINS0_14default_configELb1EPKaPaPKlPlN2at6native12_GLOBAL__N_18offset_tEEE10hipError_tPvRmT1_PNSt15iterator_traitsISY_E10value_typeET2_T3_PNSZ_IS14_E10value_typeET4_jRbjT5_S1A_jjP12ihipStream_tbEUljE_EEESV_SW_SX_S14_S18_S1A_T6_T7_T9_mT8_S1C_bDpT10_ENKUlT_T0_E_clISt17integral_constantIbLb0EES1P_EEDaS1K_S1L_EUlS1K_E_NS1_11comp_targetILNS1_3genE9ELNS1_11target_archE1100ELNS1_3gpuE3ELNS1_3repE0EEENS1_30default_config_static_selectorELNS0_4arch9wavefront6targetE0EEEvSY_
                                        ; -- End function
	.set _ZN7rocprim17ROCPRIM_400000_NS6detail17trampoline_kernelINS0_13select_configILj256ELj13ELNS0_17block_load_methodE3ELS4_3ELS4_3ELNS0_20block_scan_algorithmE0ELj4294967295EEENS1_25partition_config_selectorILNS1_17partition_subalgoE3EjNS0_10empty_typeEbEEZZNS1_14partition_implILS8_3ELb0ES6_jNS0_17counting_iteratorIjlEEPS9_SE_NS0_5tupleIJPjSE_EEENSF_IJSE_SE_EEES9_SG_JZNS1_25segmented_radix_sort_implINS0_14default_configELb1EPKaPaPKlPlN2at6native12_GLOBAL__N_18offset_tEEE10hipError_tPvRmT1_PNSt15iterator_traitsISY_E10value_typeET2_T3_PNSZ_IS14_E10value_typeET4_jRbjT5_S1A_jjP12ihipStream_tbEUljE_EEESV_SW_SX_S14_S18_S1A_T6_T7_T9_mT8_S1C_bDpT10_ENKUlT_T0_E_clISt17integral_constantIbLb0EES1P_EEDaS1K_S1L_EUlS1K_E_NS1_11comp_targetILNS1_3genE9ELNS1_11target_archE1100ELNS1_3gpuE3ELNS1_3repE0EEENS1_30default_config_static_selectorELNS0_4arch9wavefront6targetE0EEEvSY_.num_vgpr, 0
	.set _ZN7rocprim17ROCPRIM_400000_NS6detail17trampoline_kernelINS0_13select_configILj256ELj13ELNS0_17block_load_methodE3ELS4_3ELS4_3ELNS0_20block_scan_algorithmE0ELj4294967295EEENS1_25partition_config_selectorILNS1_17partition_subalgoE3EjNS0_10empty_typeEbEEZZNS1_14partition_implILS8_3ELb0ES6_jNS0_17counting_iteratorIjlEEPS9_SE_NS0_5tupleIJPjSE_EEENSF_IJSE_SE_EEES9_SG_JZNS1_25segmented_radix_sort_implINS0_14default_configELb1EPKaPaPKlPlN2at6native12_GLOBAL__N_18offset_tEEE10hipError_tPvRmT1_PNSt15iterator_traitsISY_E10value_typeET2_T3_PNSZ_IS14_E10value_typeET4_jRbjT5_S1A_jjP12ihipStream_tbEUljE_EEESV_SW_SX_S14_S18_S1A_T6_T7_T9_mT8_S1C_bDpT10_ENKUlT_T0_E_clISt17integral_constantIbLb0EES1P_EEDaS1K_S1L_EUlS1K_E_NS1_11comp_targetILNS1_3genE9ELNS1_11target_archE1100ELNS1_3gpuE3ELNS1_3repE0EEENS1_30default_config_static_selectorELNS0_4arch9wavefront6targetE0EEEvSY_.num_agpr, 0
	.set _ZN7rocprim17ROCPRIM_400000_NS6detail17trampoline_kernelINS0_13select_configILj256ELj13ELNS0_17block_load_methodE3ELS4_3ELS4_3ELNS0_20block_scan_algorithmE0ELj4294967295EEENS1_25partition_config_selectorILNS1_17partition_subalgoE3EjNS0_10empty_typeEbEEZZNS1_14partition_implILS8_3ELb0ES6_jNS0_17counting_iteratorIjlEEPS9_SE_NS0_5tupleIJPjSE_EEENSF_IJSE_SE_EEES9_SG_JZNS1_25segmented_radix_sort_implINS0_14default_configELb1EPKaPaPKlPlN2at6native12_GLOBAL__N_18offset_tEEE10hipError_tPvRmT1_PNSt15iterator_traitsISY_E10value_typeET2_T3_PNSZ_IS14_E10value_typeET4_jRbjT5_S1A_jjP12ihipStream_tbEUljE_EEESV_SW_SX_S14_S18_S1A_T6_T7_T9_mT8_S1C_bDpT10_ENKUlT_T0_E_clISt17integral_constantIbLb0EES1P_EEDaS1K_S1L_EUlS1K_E_NS1_11comp_targetILNS1_3genE9ELNS1_11target_archE1100ELNS1_3gpuE3ELNS1_3repE0EEENS1_30default_config_static_selectorELNS0_4arch9wavefront6targetE0EEEvSY_.numbered_sgpr, 0
	.set _ZN7rocprim17ROCPRIM_400000_NS6detail17trampoline_kernelINS0_13select_configILj256ELj13ELNS0_17block_load_methodE3ELS4_3ELS4_3ELNS0_20block_scan_algorithmE0ELj4294967295EEENS1_25partition_config_selectorILNS1_17partition_subalgoE3EjNS0_10empty_typeEbEEZZNS1_14partition_implILS8_3ELb0ES6_jNS0_17counting_iteratorIjlEEPS9_SE_NS0_5tupleIJPjSE_EEENSF_IJSE_SE_EEES9_SG_JZNS1_25segmented_radix_sort_implINS0_14default_configELb1EPKaPaPKlPlN2at6native12_GLOBAL__N_18offset_tEEE10hipError_tPvRmT1_PNSt15iterator_traitsISY_E10value_typeET2_T3_PNSZ_IS14_E10value_typeET4_jRbjT5_S1A_jjP12ihipStream_tbEUljE_EEESV_SW_SX_S14_S18_S1A_T6_T7_T9_mT8_S1C_bDpT10_ENKUlT_T0_E_clISt17integral_constantIbLb0EES1P_EEDaS1K_S1L_EUlS1K_E_NS1_11comp_targetILNS1_3genE9ELNS1_11target_archE1100ELNS1_3gpuE3ELNS1_3repE0EEENS1_30default_config_static_selectorELNS0_4arch9wavefront6targetE0EEEvSY_.num_named_barrier, 0
	.set _ZN7rocprim17ROCPRIM_400000_NS6detail17trampoline_kernelINS0_13select_configILj256ELj13ELNS0_17block_load_methodE3ELS4_3ELS4_3ELNS0_20block_scan_algorithmE0ELj4294967295EEENS1_25partition_config_selectorILNS1_17partition_subalgoE3EjNS0_10empty_typeEbEEZZNS1_14partition_implILS8_3ELb0ES6_jNS0_17counting_iteratorIjlEEPS9_SE_NS0_5tupleIJPjSE_EEENSF_IJSE_SE_EEES9_SG_JZNS1_25segmented_radix_sort_implINS0_14default_configELb1EPKaPaPKlPlN2at6native12_GLOBAL__N_18offset_tEEE10hipError_tPvRmT1_PNSt15iterator_traitsISY_E10value_typeET2_T3_PNSZ_IS14_E10value_typeET4_jRbjT5_S1A_jjP12ihipStream_tbEUljE_EEESV_SW_SX_S14_S18_S1A_T6_T7_T9_mT8_S1C_bDpT10_ENKUlT_T0_E_clISt17integral_constantIbLb0EES1P_EEDaS1K_S1L_EUlS1K_E_NS1_11comp_targetILNS1_3genE9ELNS1_11target_archE1100ELNS1_3gpuE3ELNS1_3repE0EEENS1_30default_config_static_selectorELNS0_4arch9wavefront6targetE0EEEvSY_.private_seg_size, 0
	.set _ZN7rocprim17ROCPRIM_400000_NS6detail17trampoline_kernelINS0_13select_configILj256ELj13ELNS0_17block_load_methodE3ELS4_3ELS4_3ELNS0_20block_scan_algorithmE0ELj4294967295EEENS1_25partition_config_selectorILNS1_17partition_subalgoE3EjNS0_10empty_typeEbEEZZNS1_14partition_implILS8_3ELb0ES6_jNS0_17counting_iteratorIjlEEPS9_SE_NS0_5tupleIJPjSE_EEENSF_IJSE_SE_EEES9_SG_JZNS1_25segmented_radix_sort_implINS0_14default_configELb1EPKaPaPKlPlN2at6native12_GLOBAL__N_18offset_tEEE10hipError_tPvRmT1_PNSt15iterator_traitsISY_E10value_typeET2_T3_PNSZ_IS14_E10value_typeET4_jRbjT5_S1A_jjP12ihipStream_tbEUljE_EEESV_SW_SX_S14_S18_S1A_T6_T7_T9_mT8_S1C_bDpT10_ENKUlT_T0_E_clISt17integral_constantIbLb0EES1P_EEDaS1K_S1L_EUlS1K_E_NS1_11comp_targetILNS1_3genE9ELNS1_11target_archE1100ELNS1_3gpuE3ELNS1_3repE0EEENS1_30default_config_static_selectorELNS0_4arch9wavefront6targetE0EEEvSY_.uses_vcc, 0
	.set _ZN7rocprim17ROCPRIM_400000_NS6detail17trampoline_kernelINS0_13select_configILj256ELj13ELNS0_17block_load_methodE3ELS4_3ELS4_3ELNS0_20block_scan_algorithmE0ELj4294967295EEENS1_25partition_config_selectorILNS1_17partition_subalgoE3EjNS0_10empty_typeEbEEZZNS1_14partition_implILS8_3ELb0ES6_jNS0_17counting_iteratorIjlEEPS9_SE_NS0_5tupleIJPjSE_EEENSF_IJSE_SE_EEES9_SG_JZNS1_25segmented_radix_sort_implINS0_14default_configELb1EPKaPaPKlPlN2at6native12_GLOBAL__N_18offset_tEEE10hipError_tPvRmT1_PNSt15iterator_traitsISY_E10value_typeET2_T3_PNSZ_IS14_E10value_typeET4_jRbjT5_S1A_jjP12ihipStream_tbEUljE_EEESV_SW_SX_S14_S18_S1A_T6_T7_T9_mT8_S1C_bDpT10_ENKUlT_T0_E_clISt17integral_constantIbLb0EES1P_EEDaS1K_S1L_EUlS1K_E_NS1_11comp_targetILNS1_3genE9ELNS1_11target_archE1100ELNS1_3gpuE3ELNS1_3repE0EEENS1_30default_config_static_selectorELNS0_4arch9wavefront6targetE0EEEvSY_.uses_flat_scratch, 0
	.set _ZN7rocprim17ROCPRIM_400000_NS6detail17trampoline_kernelINS0_13select_configILj256ELj13ELNS0_17block_load_methodE3ELS4_3ELS4_3ELNS0_20block_scan_algorithmE0ELj4294967295EEENS1_25partition_config_selectorILNS1_17partition_subalgoE3EjNS0_10empty_typeEbEEZZNS1_14partition_implILS8_3ELb0ES6_jNS0_17counting_iteratorIjlEEPS9_SE_NS0_5tupleIJPjSE_EEENSF_IJSE_SE_EEES9_SG_JZNS1_25segmented_radix_sort_implINS0_14default_configELb1EPKaPaPKlPlN2at6native12_GLOBAL__N_18offset_tEEE10hipError_tPvRmT1_PNSt15iterator_traitsISY_E10value_typeET2_T3_PNSZ_IS14_E10value_typeET4_jRbjT5_S1A_jjP12ihipStream_tbEUljE_EEESV_SW_SX_S14_S18_S1A_T6_T7_T9_mT8_S1C_bDpT10_ENKUlT_T0_E_clISt17integral_constantIbLb0EES1P_EEDaS1K_S1L_EUlS1K_E_NS1_11comp_targetILNS1_3genE9ELNS1_11target_archE1100ELNS1_3gpuE3ELNS1_3repE0EEENS1_30default_config_static_selectorELNS0_4arch9wavefront6targetE0EEEvSY_.has_dyn_sized_stack, 0
	.set _ZN7rocprim17ROCPRIM_400000_NS6detail17trampoline_kernelINS0_13select_configILj256ELj13ELNS0_17block_load_methodE3ELS4_3ELS4_3ELNS0_20block_scan_algorithmE0ELj4294967295EEENS1_25partition_config_selectorILNS1_17partition_subalgoE3EjNS0_10empty_typeEbEEZZNS1_14partition_implILS8_3ELb0ES6_jNS0_17counting_iteratorIjlEEPS9_SE_NS0_5tupleIJPjSE_EEENSF_IJSE_SE_EEES9_SG_JZNS1_25segmented_radix_sort_implINS0_14default_configELb1EPKaPaPKlPlN2at6native12_GLOBAL__N_18offset_tEEE10hipError_tPvRmT1_PNSt15iterator_traitsISY_E10value_typeET2_T3_PNSZ_IS14_E10value_typeET4_jRbjT5_S1A_jjP12ihipStream_tbEUljE_EEESV_SW_SX_S14_S18_S1A_T6_T7_T9_mT8_S1C_bDpT10_ENKUlT_T0_E_clISt17integral_constantIbLb0EES1P_EEDaS1K_S1L_EUlS1K_E_NS1_11comp_targetILNS1_3genE9ELNS1_11target_archE1100ELNS1_3gpuE3ELNS1_3repE0EEENS1_30default_config_static_selectorELNS0_4arch9wavefront6targetE0EEEvSY_.has_recursion, 0
	.set _ZN7rocprim17ROCPRIM_400000_NS6detail17trampoline_kernelINS0_13select_configILj256ELj13ELNS0_17block_load_methodE3ELS4_3ELS4_3ELNS0_20block_scan_algorithmE0ELj4294967295EEENS1_25partition_config_selectorILNS1_17partition_subalgoE3EjNS0_10empty_typeEbEEZZNS1_14partition_implILS8_3ELb0ES6_jNS0_17counting_iteratorIjlEEPS9_SE_NS0_5tupleIJPjSE_EEENSF_IJSE_SE_EEES9_SG_JZNS1_25segmented_radix_sort_implINS0_14default_configELb1EPKaPaPKlPlN2at6native12_GLOBAL__N_18offset_tEEE10hipError_tPvRmT1_PNSt15iterator_traitsISY_E10value_typeET2_T3_PNSZ_IS14_E10value_typeET4_jRbjT5_S1A_jjP12ihipStream_tbEUljE_EEESV_SW_SX_S14_S18_S1A_T6_T7_T9_mT8_S1C_bDpT10_ENKUlT_T0_E_clISt17integral_constantIbLb0EES1P_EEDaS1K_S1L_EUlS1K_E_NS1_11comp_targetILNS1_3genE9ELNS1_11target_archE1100ELNS1_3gpuE3ELNS1_3repE0EEENS1_30default_config_static_selectorELNS0_4arch9wavefront6targetE0EEEvSY_.has_indirect_call, 0
	.section	.AMDGPU.csdata,"",@progbits
; Kernel info:
; codeLenInByte = 0
; TotalNumSgprs: 0
; NumVgprs: 0
; ScratchSize: 0
; MemoryBound: 0
; FloatMode: 240
; IeeeMode: 1
; LDSByteSize: 0 bytes/workgroup (compile time only)
; SGPRBlocks: 0
; VGPRBlocks: 0
; NumSGPRsForWavesPerEU: 1
; NumVGPRsForWavesPerEU: 1
; NamedBarCnt: 0
; Occupancy: 16
; WaveLimiterHint : 0
; COMPUTE_PGM_RSRC2:SCRATCH_EN: 0
; COMPUTE_PGM_RSRC2:USER_SGPR: 2
; COMPUTE_PGM_RSRC2:TRAP_HANDLER: 0
; COMPUTE_PGM_RSRC2:TGID_X_EN: 1
; COMPUTE_PGM_RSRC2:TGID_Y_EN: 0
; COMPUTE_PGM_RSRC2:TGID_Z_EN: 0
; COMPUTE_PGM_RSRC2:TIDIG_COMP_CNT: 0
	.section	.text._ZN7rocprim17ROCPRIM_400000_NS6detail17trampoline_kernelINS0_13select_configILj256ELj13ELNS0_17block_load_methodE3ELS4_3ELS4_3ELNS0_20block_scan_algorithmE0ELj4294967295EEENS1_25partition_config_selectorILNS1_17partition_subalgoE3EjNS0_10empty_typeEbEEZZNS1_14partition_implILS8_3ELb0ES6_jNS0_17counting_iteratorIjlEEPS9_SE_NS0_5tupleIJPjSE_EEENSF_IJSE_SE_EEES9_SG_JZNS1_25segmented_radix_sort_implINS0_14default_configELb1EPKaPaPKlPlN2at6native12_GLOBAL__N_18offset_tEEE10hipError_tPvRmT1_PNSt15iterator_traitsISY_E10value_typeET2_T3_PNSZ_IS14_E10value_typeET4_jRbjT5_S1A_jjP12ihipStream_tbEUljE_EEESV_SW_SX_S14_S18_S1A_T6_T7_T9_mT8_S1C_bDpT10_ENKUlT_T0_E_clISt17integral_constantIbLb0EES1P_EEDaS1K_S1L_EUlS1K_E_NS1_11comp_targetILNS1_3genE8ELNS1_11target_archE1030ELNS1_3gpuE2ELNS1_3repE0EEENS1_30default_config_static_selectorELNS0_4arch9wavefront6targetE0EEEvSY_,"axG",@progbits,_ZN7rocprim17ROCPRIM_400000_NS6detail17trampoline_kernelINS0_13select_configILj256ELj13ELNS0_17block_load_methodE3ELS4_3ELS4_3ELNS0_20block_scan_algorithmE0ELj4294967295EEENS1_25partition_config_selectorILNS1_17partition_subalgoE3EjNS0_10empty_typeEbEEZZNS1_14partition_implILS8_3ELb0ES6_jNS0_17counting_iteratorIjlEEPS9_SE_NS0_5tupleIJPjSE_EEENSF_IJSE_SE_EEES9_SG_JZNS1_25segmented_radix_sort_implINS0_14default_configELb1EPKaPaPKlPlN2at6native12_GLOBAL__N_18offset_tEEE10hipError_tPvRmT1_PNSt15iterator_traitsISY_E10value_typeET2_T3_PNSZ_IS14_E10value_typeET4_jRbjT5_S1A_jjP12ihipStream_tbEUljE_EEESV_SW_SX_S14_S18_S1A_T6_T7_T9_mT8_S1C_bDpT10_ENKUlT_T0_E_clISt17integral_constantIbLb0EES1P_EEDaS1K_S1L_EUlS1K_E_NS1_11comp_targetILNS1_3genE8ELNS1_11target_archE1030ELNS1_3gpuE2ELNS1_3repE0EEENS1_30default_config_static_selectorELNS0_4arch9wavefront6targetE0EEEvSY_,comdat
	.globl	_ZN7rocprim17ROCPRIM_400000_NS6detail17trampoline_kernelINS0_13select_configILj256ELj13ELNS0_17block_load_methodE3ELS4_3ELS4_3ELNS0_20block_scan_algorithmE0ELj4294967295EEENS1_25partition_config_selectorILNS1_17partition_subalgoE3EjNS0_10empty_typeEbEEZZNS1_14partition_implILS8_3ELb0ES6_jNS0_17counting_iteratorIjlEEPS9_SE_NS0_5tupleIJPjSE_EEENSF_IJSE_SE_EEES9_SG_JZNS1_25segmented_radix_sort_implINS0_14default_configELb1EPKaPaPKlPlN2at6native12_GLOBAL__N_18offset_tEEE10hipError_tPvRmT1_PNSt15iterator_traitsISY_E10value_typeET2_T3_PNSZ_IS14_E10value_typeET4_jRbjT5_S1A_jjP12ihipStream_tbEUljE_EEESV_SW_SX_S14_S18_S1A_T6_T7_T9_mT8_S1C_bDpT10_ENKUlT_T0_E_clISt17integral_constantIbLb0EES1P_EEDaS1K_S1L_EUlS1K_E_NS1_11comp_targetILNS1_3genE8ELNS1_11target_archE1030ELNS1_3gpuE2ELNS1_3repE0EEENS1_30default_config_static_selectorELNS0_4arch9wavefront6targetE0EEEvSY_ ; -- Begin function _ZN7rocprim17ROCPRIM_400000_NS6detail17trampoline_kernelINS0_13select_configILj256ELj13ELNS0_17block_load_methodE3ELS4_3ELS4_3ELNS0_20block_scan_algorithmE0ELj4294967295EEENS1_25partition_config_selectorILNS1_17partition_subalgoE3EjNS0_10empty_typeEbEEZZNS1_14partition_implILS8_3ELb0ES6_jNS0_17counting_iteratorIjlEEPS9_SE_NS0_5tupleIJPjSE_EEENSF_IJSE_SE_EEES9_SG_JZNS1_25segmented_radix_sort_implINS0_14default_configELb1EPKaPaPKlPlN2at6native12_GLOBAL__N_18offset_tEEE10hipError_tPvRmT1_PNSt15iterator_traitsISY_E10value_typeET2_T3_PNSZ_IS14_E10value_typeET4_jRbjT5_S1A_jjP12ihipStream_tbEUljE_EEESV_SW_SX_S14_S18_S1A_T6_T7_T9_mT8_S1C_bDpT10_ENKUlT_T0_E_clISt17integral_constantIbLb0EES1P_EEDaS1K_S1L_EUlS1K_E_NS1_11comp_targetILNS1_3genE8ELNS1_11target_archE1030ELNS1_3gpuE2ELNS1_3repE0EEENS1_30default_config_static_selectorELNS0_4arch9wavefront6targetE0EEEvSY_
	.p2align	8
	.type	_ZN7rocprim17ROCPRIM_400000_NS6detail17trampoline_kernelINS0_13select_configILj256ELj13ELNS0_17block_load_methodE3ELS4_3ELS4_3ELNS0_20block_scan_algorithmE0ELj4294967295EEENS1_25partition_config_selectorILNS1_17partition_subalgoE3EjNS0_10empty_typeEbEEZZNS1_14partition_implILS8_3ELb0ES6_jNS0_17counting_iteratorIjlEEPS9_SE_NS0_5tupleIJPjSE_EEENSF_IJSE_SE_EEES9_SG_JZNS1_25segmented_radix_sort_implINS0_14default_configELb1EPKaPaPKlPlN2at6native12_GLOBAL__N_18offset_tEEE10hipError_tPvRmT1_PNSt15iterator_traitsISY_E10value_typeET2_T3_PNSZ_IS14_E10value_typeET4_jRbjT5_S1A_jjP12ihipStream_tbEUljE_EEESV_SW_SX_S14_S18_S1A_T6_T7_T9_mT8_S1C_bDpT10_ENKUlT_T0_E_clISt17integral_constantIbLb0EES1P_EEDaS1K_S1L_EUlS1K_E_NS1_11comp_targetILNS1_3genE8ELNS1_11target_archE1030ELNS1_3gpuE2ELNS1_3repE0EEENS1_30default_config_static_selectorELNS0_4arch9wavefront6targetE0EEEvSY_,@function
_ZN7rocprim17ROCPRIM_400000_NS6detail17trampoline_kernelINS0_13select_configILj256ELj13ELNS0_17block_load_methodE3ELS4_3ELS4_3ELNS0_20block_scan_algorithmE0ELj4294967295EEENS1_25partition_config_selectorILNS1_17partition_subalgoE3EjNS0_10empty_typeEbEEZZNS1_14partition_implILS8_3ELb0ES6_jNS0_17counting_iteratorIjlEEPS9_SE_NS0_5tupleIJPjSE_EEENSF_IJSE_SE_EEES9_SG_JZNS1_25segmented_radix_sort_implINS0_14default_configELb1EPKaPaPKlPlN2at6native12_GLOBAL__N_18offset_tEEE10hipError_tPvRmT1_PNSt15iterator_traitsISY_E10value_typeET2_T3_PNSZ_IS14_E10value_typeET4_jRbjT5_S1A_jjP12ihipStream_tbEUljE_EEESV_SW_SX_S14_S18_S1A_T6_T7_T9_mT8_S1C_bDpT10_ENKUlT_T0_E_clISt17integral_constantIbLb0EES1P_EEDaS1K_S1L_EUlS1K_E_NS1_11comp_targetILNS1_3genE8ELNS1_11target_archE1030ELNS1_3gpuE2ELNS1_3repE0EEENS1_30default_config_static_selectorELNS0_4arch9wavefront6targetE0EEEvSY_: ; @_ZN7rocprim17ROCPRIM_400000_NS6detail17trampoline_kernelINS0_13select_configILj256ELj13ELNS0_17block_load_methodE3ELS4_3ELS4_3ELNS0_20block_scan_algorithmE0ELj4294967295EEENS1_25partition_config_selectorILNS1_17partition_subalgoE3EjNS0_10empty_typeEbEEZZNS1_14partition_implILS8_3ELb0ES6_jNS0_17counting_iteratorIjlEEPS9_SE_NS0_5tupleIJPjSE_EEENSF_IJSE_SE_EEES9_SG_JZNS1_25segmented_radix_sort_implINS0_14default_configELb1EPKaPaPKlPlN2at6native12_GLOBAL__N_18offset_tEEE10hipError_tPvRmT1_PNSt15iterator_traitsISY_E10value_typeET2_T3_PNSZ_IS14_E10value_typeET4_jRbjT5_S1A_jjP12ihipStream_tbEUljE_EEESV_SW_SX_S14_S18_S1A_T6_T7_T9_mT8_S1C_bDpT10_ENKUlT_T0_E_clISt17integral_constantIbLb0EES1P_EEDaS1K_S1L_EUlS1K_E_NS1_11comp_targetILNS1_3genE8ELNS1_11target_archE1030ELNS1_3gpuE2ELNS1_3repE0EEENS1_30default_config_static_selectorELNS0_4arch9wavefront6targetE0EEEvSY_
; %bb.0:
	.section	.rodata,"a",@progbits
	.p2align	6, 0x0
	.amdhsa_kernel _ZN7rocprim17ROCPRIM_400000_NS6detail17trampoline_kernelINS0_13select_configILj256ELj13ELNS0_17block_load_methodE3ELS4_3ELS4_3ELNS0_20block_scan_algorithmE0ELj4294967295EEENS1_25partition_config_selectorILNS1_17partition_subalgoE3EjNS0_10empty_typeEbEEZZNS1_14partition_implILS8_3ELb0ES6_jNS0_17counting_iteratorIjlEEPS9_SE_NS0_5tupleIJPjSE_EEENSF_IJSE_SE_EEES9_SG_JZNS1_25segmented_radix_sort_implINS0_14default_configELb1EPKaPaPKlPlN2at6native12_GLOBAL__N_18offset_tEEE10hipError_tPvRmT1_PNSt15iterator_traitsISY_E10value_typeET2_T3_PNSZ_IS14_E10value_typeET4_jRbjT5_S1A_jjP12ihipStream_tbEUljE_EEESV_SW_SX_S14_S18_S1A_T6_T7_T9_mT8_S1C_bDpT10_ENKUlT_T0_E_clISt17integral_constantIbLb0EES1P_EEDaS1K_S1L_EUlS1K_E_NS1_11comp_targetILNS1_3genE8ELNS1_11target_archE1030ELNS1_3gpuE2ELNS1_3repE0EEENS1_30default_config_static_selectorELNS0_4arch9wavefront6targetE0EEEvSY_
		.amdhsa_group_segment_fixed_size 0
		.amdhsa_private_segment_fixed_size 0
		.amdhsa_kernarg_size 144
		.amdhsa_user_sgpr_count 2
		.amdhsa_user_sgpr_dispatch_ptr 0
		.amdhsa_user_sgpr_queue_ptr 0
		.amdhsa_user_sgpr_kernarg_segment_ptr 1
		.amdhsa_user_sgpr_dispatch_id 0
		.amdhsa_user_sgpr_kernarg_preload_length 0
		.amdhsa_user_sgpr_kernarg_preload_offset 0
		.amdhsa_user_sgpr_private_segment_size 0
		.amdhsa_wavefront_size32 1
		.amdhsa_uses_dynamic_stack 0
		.amdhsa_enable_private_segment 0
		.amdhsa_system_sgpr_workgroup_id_x 1
		.amdhsa_system_sgpr_workgroup_id_y 0
		.amdhsa_system_sgpr_workgroup_id_z 0
		.amdhsa_system_sgpr_workgroup_info 0
		.amdhsa_system_vgpr_workitem_id 0
		.amdhsa_next_free_vgpr 1
		.amdhsa_next_free_sgpr 1
		.amdhsa_named_barrier_count 0
		.amdhsa_reserve_vcc 0
		.amdhsa_float_round_mode_32 0
		.amdhsa_float_round_mode_16_64 0
		.amdhsa_float_denorm_mode_32 3
		.amdhsa_float_denorm_mode_16_64 3
		.amdhsa_fp16_overflow 0
		.amdhsa_memory_ordered 1
		.amdhsa_forward_progress 1
		.amdhsa_inst_pref_size 0
		.amdhsa_round_robin_scheduling 0
		.amdhsa_exception_fp_ieee_invalid_op 0
		.amdhsa_exception_fp_denorm_src 0
		.amdhsa_exception_fp_ieee_div_zero 0
		.amdhsa_exception_fp_ieee_overflow 0
		.amdhsa_exception_fp_ieee_underflow 0
		.amdhsa_exception_fp_ieee_inexact 0
		.amdhsa_exception_int_div_zero 0
	.end_amdhsa_kernel
	.section	.text._ZN7rocprim17ROCPRIM_400000_NS6detail17trampoline_kernelINS0_13select_configILj256ELj13ELNS0_17block_load_methodE3ELS4_3ELS4_3ELNS0_20block_scan_algorithmE0ELj4294967295EEENS1_25partition_config_selectorILNS1_17partition_subalgoE3EjNS0_10empty_typeEbEEZZNS1_14partition_implILS8_3ELb0ES6_jNS0_17counting_iteratorIjlEEPS9_SE_NS0_5tupleIJPjSE_EEENSF_IJSE_SE_EEES9_SG_JZNS1_25segmented_radix_sort_implINS0_14default_configELb1EPKaPaPKlPlN2at6native12_GLOBAL__N_18offset_tEEE10hipError_tPvRmT1_PNSt15iterator_traitsISY_E10value_typeET2_T3_PNSZ_IS14_E10value_typeET4_jRbjT5_S1A_jjP12ihipStream_tbEUljE_EEESV_SW_SX_S14_S18_S1A_T6_T7_T9_mT8_S1C_bDpT10_ENKUlT_T0_E_clISt17integral_constantIbLb0EES1P_EEDaS1K_S1L_EUlS1K_E_NS1_11comp_targetILNS1_3genE8ELNS1_11target_archE1030ELNS1_3gpuE2ELNS1_3repE0EEENS1_30default_config_static_selectorELNS0_4arch9wavefront6targetE0EEEvSY_,"axG",@progbits,_ZN7rocprim17ROCPRIM_400000_NS6detail17trampoline_kernelINS0_13select_configILj256ELj13ELNS0_17block_load_methodE3ELS4_3ELS4_3ELNS0_20block_scan_algorithmE0ELj4294967295EEENS1_25partition_config_selectorILNS1_17partition_subalgoE3EjNS0_10empty_typeEbEEZZNS1_14partition_implILS8_3ELb0ES6_jNS0_17counting_iteratorIjlEEPS9_SE_NS0_5tupleIJPjSE_EEENSF_IJSE_SE_EEES9_SG_JZNS1_25segmented_radix_sort_implINS0_14default_configELb1EPKaPaPKlPlN2at6native12_GLOBAL__N_18offset_tEEE10hipError_tPvRmT1_PNSt15iterator_traitsISY_E10value_typeET2_T3_PNSZ_IS14_E10value_typeET4_jRbjT5_S1A_jjP12ihipStream_tbEUljE_EEESV_SW_SX_S14_S18_S1A_T6_T7_T9_mT8_S1C_bDpT10_ENKUlT_T0_E_clISt17integral_constantIbLb0EES1P_EEDaS1K_S1L_EUlS1K_E_NS1_11comp_targetILNS1_3genE8ELNS1_11target_archE1030ELNS1_3gpuE2ELNS1_3repE0EEENS1_30default_config_static_selectorELNS0_4arch9wavefront6targetE0EEEvSY_,comdat
.Lfunc_end263:
	.size	_ZN7rocprim17ROCPRIM_400000_NS6detail17trampoline_kernelINS0_13select_configILj256ELj13ELNS0_17block_load_methodE3ELS4_3ELS4_3ELNS0_20block_scan_algorithmE0ELj4294967295EEENS1_25partition_config_selectorILNS1_17partition_subalgoE3EjNS0_10empty_typeEbEEZZNS1_14partition_implILS8_3ELb0ES6_jNS0_17counting_iteratorIjlEEPS9_SE_NS0_5tupleIJPjSE_EEENSF_IJSE_SE_EEES9_SG_JZNS1_25segmented_radix_sort_implINS0_14default_configELb1EPKaPaPKlPlN2at6native12_GLOBAL__N_18offset_tEEE10hipError_tPvRmT1_PNSt15iterator_traitsISY_E10value_typeET2_T3_PNSZ_IS14_E10value_typeET4_jRbjT5_S1A_jjP12ihipStream_tbEUljE_EEESV_SW_SX_S14_S18_S1A_T6_T7_T9_mT8_S1C_bDpT10_ENKUlT_T0_E_clISt17integral_constantIbLb0EES1P_EEDaS1K_S1L_EUlS1K_E_NS1_11comp_targetILNS1_3genE8ELNS1_11target_archE1030ELNS1_3gpuE2ELNS1_3repE0EEENS1_30default_config_static_selectorELNS0_4arch9wavefront6targetE0EEEvSY_, .Lfunc_end263-_ZN7rocprim17ROCPRIM_400000_NS6detail17trampoline_kernelINS0_13select_configILj256ELj13ELNS0_17block_load_methodE3ELS4_3ELS4_3ELNS0_20block_scan_algorithmE0ELj4294967295EEENS1_25partition_config_selectorILNS1_17partition_subalgoE3EjNS0_10empty_typeEbEEZZNS1_14partition_implILS8_3ELb0ES6_jNS0_17counting_iteratorIjlEEPS9_SE_NS0_5tupleIJPjSE_EEENSF_IJSE_SE_EEES9_SG_JZNS1_25segmented_radix_sort_implINS0_14default_configELb1EPKaPaPKlPlN2at6native12_GLOBAL__N_18offset_tEEE10hipError_tPvRmT1_PNSt15iterator_traitsISY_E10value_typeET2_T3_PNSZ_IS14_E10value_typeET4_jRbjT5_S1A_jjP12ihipStream_tbEUljE_EEESV_SW_SX_S14_S18_S1A_T6_T7_T9_mT8_S1C_bDpT10_ENKUlT_T0_E_clISt17integral_constantIbLb0EES1P_EEDaS1K_S1L_EUlS1K_E_NS1_11comp_targetILNS1_3genE8ELNS1_11target_archE1030ELNS1_3gpuE2ELNS1_3repE0EEENS1_30default_config_static_selectorELNS0_4arch9wavefront6targetE0EEEvSY_
                                        ; -- End function
	.set _ZN7rocprim17ROCPRIM_400000_NS6detail17trampoline_kernelINS0_13select_configILj256ELj13ELNS0_17block_load_methodE3ELS4_3ELS4_3ELNS0_20block_scan_algorithmE0ELj4294967295EEENS1_25partition_config_selectorILNS1_17partition_subalgoE3EjNS0_10empty_typeEbEEZZNS1_14partition_implILS8_3ELb0ES6_jNS0_17counting_iteratorIjlEEPS9_SE_NS0_5tupleIJPjSE_EEENSF_IJSE_SE_EEES9_SG_JZNS1_25segmented_radix_sort_implINS0_14default_configELb1EPKaPaPKlPlN2at6native12_GLOBAL__N_18offset_tEEE10hipError_tPvRmT1_PNSt15iterator_traitsISY_E10value_typeET2_T3_PNSZ_IS14_E10value_typeET4_jRbjT5_S1A_jjP12ihipStream_tbEUljE_EEESV_SW_SX_S14_S18_S1A_T6_T7_T9_mT8_S1C_bDpT10_ENKUlT_T0_E_clISt17integral_constantIbLb0EES1P_EEDaS1K_S1L_EUlS1K_E_NS1_11comp_targetILNS1_3genE8ELNS1_11target_archE1030ELNS1_3gpuE2ELNS1_3repE0EEENS1_30default_config_static_selectorELNS0_4arch9wavefront6targetE0EEEvSY_.num_vgpr, 0
	.set _ZN7rocprim17ROCPRIM_400000_NS6detail17trampoline_kernelINS0_13select_configILj256ELj13ELNS0_17block_load_methodE3ELS4_3ELS4_3ELNS0_20block_scan_algorithmE0ELj4294967295EEENS1_25partition_config_selectorILNS1_17partition_subalgoE3EjNS0_10empty_typeEbEEZZNS1_14partition_implILS8_3ELb0ES6_jNS0_17counting_iteratorIjlEEPS9_SE_NS0_5tupleIJPjSE_EEENSF_IJSE_SE_EEES9_SG_JZNS1_25segmented_radix_sort_implINS0_14default_configELb1EPKaPaPKlPlN2at6native12_GLOBAL__N_18offset_tEEE10hipError_tPvRmT1_PNSt15iterator_traitsISY_E10value_typeET2_T3_PNSZ_IS14_E10value_typeET4_jRbjT5_S1A_jjP12ihipStream_tbEUljE_EEESV_SW_SX_S14_S18_S1A_T6_T7_T9_mT8_S1C_bDpT10_ENKUlT_T0_E_clISt17integral_constantIbLb0EES1P_EEDaS1K_S1L_EUlS1K_E_NS1_11comp_targetILNS1_3genE8ELNS1_11target_archE1030ELNS1_3gpuE2ELNS1_3repE0EEENS1_30default_config_static_selectorELNS0_4arch9wavefront6targetE0EEEvSY_.num_agpr, 0
	.set _ZN7rocprim17ROCPRIM_400000_NS6detail17trampoline_kernelINS0_13select_configILj256ELj13ELNS0_17block_load_methodE3ELS4_3ELS4_3ELNS0_20block_scan_algorithmE0ELj4294967295EEENS1_25partition_config_selectorILNS1_17partition_subalgoE3EjNS0_10empty_typeEbEEZZNS1_14partition_implILS8_3ELb0ES6_jNS0_17counting_iteratorIjlEEPS9_SE_NS0_5tupleIJPjSE_EEENSF_IJSE_SE_EEES9_SG_JZNS1_25segmented_radix_sort_implINS0_14default_configELb1EPKaPaPKlPlN2at6native12_GLOBAL__N_18offset_tEEE10hipError_tPvRmT1_PNSt15iterator_traitsISY_E10value_typeET2_T3_PNSZ_IS14_E10value_typeET4_jRbjT5_S1A_jjP12ihipStream_tbEUljE_EEESV_SW_SX_S14_S18_S1A_T6_T7_T9_mT8_S1C_bDpT10_ENKUlT_T0_E_clISt17integral_constantIbLb0EES1P_EEDaS1K_S1L_EUlS1K_E_NS1_11comp_targetILNS1_3genE8ELNS1_11target_archE1030ELNS1_3gpuE2ELNS1_3repE0EEENS1_30default_config_static_selectorELNS0_4arch9wavefront6targetE0EEEvSY_.numbered_sgpr, 0
	.set _ZN7rocprim17ROCPRIM_400000_NS6detail17trampoline_kernelINS0_13select_configILj256ELj13ELNS0_17block_load_methodE3ELS4_3ELS4_3ELNS0_20block_scan_algorithmE0ELj4294967295EEENS1_25partition_config_selectorILNS1_17partition_subalgoE3EjNS0_10empty_typeEbEEZZNS1_14partition_implILS8_3ELb0ES6_jNS0_17counting_iteratorIjlEEPS9_SE_NS0_5tupleIJPjSE_EEENSF_IJSE_SE_EEES9_SG_JZNS1_25segmented_radix_sort_implINS0_14default_configELb1EPKaPaPKlPlN2at6native12_GLOBAL__N_18offset_tEEE10hipError_tPvRmT1_PNSt15iterator_traitsISY_E10value_typeET2_T3_PNSZ_IS14_E10value_typeET4_jRbjT5_S1A_jjP12ihipStream_tbEUljE_EEESV_SW_SX_S14_S18_S1A_T6_T7_T9_mT8_S1C_bDpT10_ENKUlT_T0_E_clISt17integral_constantIbLb0EES1P_EEDaS1K_S1L_EUlS1K_E_NS1_11comp_targetILNS1_3genE8ELNS1_11target_archE1030ELNS1_3gpuE2ELNS1_3repE0EEENS1_30default_config_static_selectorELNS0_4arch9wavefront6targetE0EEEvSY_.num_named_barrier, 0
	.set _ZN7rocprim17ROCPRIM_400000_NS6detail17trampoline_kernelINS0_13select_configILj256ELj13ELNS0_17block_load_methodE3ELS4_3ELS4_3ELNS0_20block_scan_algorithmE0ELj4294967295EEENS1_25partition_config_selectorILNS1_17partition_subalgoE3EjNS0_10empty_typeEbEEZZNS1_14partition_implILS8_3ELb0ES6_jNS0_17counting_iteratorIjlEEPS9_SE_NS0_5tupleIJPjSE_EEENSF_IJSE_SE_EEES9_SG_JZNS1_25segmented_radix_sort_implINS0_14default_configELb1EPKaPaPKlPlN2at6native12_GLOBAL__N_18offset_tEEE10hipError_tPvRmT1_PNSt15iterator_traitsISY_E10value_typeET2_T3_PNSZ_IS14_E10value_typeET4_jRbjT5_S1A_jjP12ihipStream_tbEUljE_EEESV_SW_SX_S14_S18_S1A_T6_T7_T9_mT8_S1C_bDpT10_ENKUlT_T0_E_clISt17integral_constantIbLb0EES1P_EEDaS1K_S1L_EUlS1K_E_NS1_11comp_targetILNS1_3genE8ELNS1_11target_archE1030ELNS1_3gpuE2ELNS1_3repE0EEENS1_30default_config_static_selectorELNS0_4arch9wavefront6targetE0EEEvSY_.private_seg_size, 0
	.set _ZN7rocprim17ROCPRIM_400000_NS6detail17trampoline_kernelINS0_13select_configILj256ELj13ELNS0_17block_load_methodE3ELS4_3ELS4_3ELNS0_20block_scan_algorithmE0ELj4294967295EEENS1_25partition_config_selectorILNS1_17partition_subalgoE3EjNS0_10empty_typeEbEEZZNS1_14partition_implILS8_3ELb0ES6_jNS0_17counting_iteratorIjlEEPS9_SE_NS0_5tupleIJPjSE_EEENSF_IJSE_SE_EEES9_SG_JZNS1_25segmented_radix_sort_implINS0_14default_configELb1EPKaPaPKlPlN2at6native12_GLOBAL__N_18offset_tEEE10hipError_tPvRmT1_PNSt15iterator_traitsISY_E10value_typeET2_T3_PNSZ_IS14_E10value_typeET4_jRbjT5_S1A_jjP12ihipStream_tbEUljE_EEESV_SW_SX_S14_S18_S1A_T6_T7_T9_mT8_S1C_bDpT10_ENKUlT_T0_E_clISt17integral_constantIbLb0EES1P_EEDaS1K_S1L_EUlS1K_E_NS1_11comp_targetILNS1_3genE8ELNS1_11target_archE1030ELNS1_3gpuE2ELNS1_3repE0EEENS1_30default_config_static_selectorELNS0_4arch9wavefront6targetE0EEEvSY_.uses_vcc, 0
	.set _ZN7rocprim17ROCPRIM_400000_NS6detail17trampoline_kernelINS0_13select_configILj256ELj13ELNS0_17block_load_methodE3ELS4_3ELS4_3ELNS0_20block_scan_algorithmE0ELj4294967295EEENS1_25partition_config_selectorILNS1_17partition_subalgoE3EjNS0_10empty_typeEbEEZZNS1_14partition_implILS8_3ELb0ES6_jNS0_17counting_iteratorIjlEEPS9_SE_NS0_5tupleIJPjSE_EEENSF_IJSE_SE_EEES9_SG_JZNS1_25segmented_radix_sort_implINS0_14default_configELb1EPKaPaPKlPlN2at6native12_GLOBAL__N_18offset_tEEE10hipError_tPvRmT1_PNSt15iterator_traitsISY_E10value_typeET2_T3_PNSZ_IS14_E10value_typeET4_jRbjT5_S1A_jjP12ihipStream_tbEUljE_EEESV_SW_SX_S14_S18_S1A_T6_T7_T9_mT8_S1C_bDpT10_ENKUlT_T0_E_clISt17integral_constantIbLb0EES1P_EEDaS1K_S1L_EUlS1K_E_NS1_11comp_targetILNS1_3genE8ELNS1_11target_archE1030ELNS1_3gpuE2ELNS1_3repE0EEENS1_30default_config_static_selectorELNS0_4arch9wavefront6targetE0EEEvSY_.uses_flat_scratch, 0
	.set _ZN7rocprim17ROCPRIM_400000_NS6detail17trampoline_kernelINS0_13select_configILj256ELj13ELNS0_17block_load_methodE3ELS4_3ELS4_3ELNS0_20block_scan_algorithmE0ELj4294967295EEENS1_25partition_config_selectorILNS1_17partition_subalgoE3EjNS0_10empty_typeEbEEZZNS1_14partition_implILS8_3ELb0ES6_jNS0_17counting_iteratorIjlEEPS9_SE_NS0_5tupleIJPjSE_EEENSF_IJSE_SE_EEES9_SG_JZNS1_25segmented_radix_sort_implINS0_14default_configELb1EPKaPaPKlPlN2at6native12_GLOBAL__N_18offset_tEEE10hipError_tPvRmT1_PNSt15iterator_traitsISY_E10value_typeET2_T3_PNSZ_IS14_E10value_typeET4_jRbjT5_S1A_jjP12ihipStream_tbEUljE_EEESV_SW_SX_S14_S18_S1A_T6_T7_T9_mT8_S1C_bDpT10_ENKUlT_T0_E_clISt17integral_constantIbLb0EES1P_EEDaS1K_S1L_EUlS1K_E_NS1_11comp_targetILNS1_3genE8ELNS1_11target_archE1030ELNS1_3gpuE2ELNS1_3repE0EEENS1_30default_config_static_selectorELNS0_4arch9wavefront6targetE0EEEvSY_.has_dyn_sized_stack, 0
	.set _ZN7rocprim17ROCPRIM_400000_NS6detail17trampoline_kernelINS0_13select_configILj256ELj13ELNS0_17block_load_methodE3ELS4_3ELS4_3ELNS0_20block_scan_algorithmE0ELj4294967295EEENS1_25partition_config_selectorILNS1_17partition_subalgoE3EjNS0_10empty_typeEbEEZZNS1_14partition_implILS8_3ELb0ES6_jNS0_17counting_iteratorIjlEEPS9_SE_NS0_5tupleIJPjSE_EEENSF_IJSE_SE_EEES9_SG_JZNS1_25segmented_radix_sort_implINS0_14default_configELb1EPKaPaPKlPlN2at6native12_GLOBAL__N_18offset_tEEE10hipError_tPvRmT1_PNSt15iterator_traitsISY_E10value_typeET2_T3_PNSZ_IS14_E10value_typeET4_jRbjT5_S1A_jjP12ihipStream_tbEUljE_EEESV_SW_SX_S14_S18_S1A_T6_T7_T9_mT8_S1C_bDpT10_ENKUlT_T0_E_clISt17integral_constantIbLb0EES1P_EEDaS1K_S1L_EUlS1K_E_NS1_11comp_targetILNS1_3genE8ELNS1_11target_archE1030ELNS1_3gpuE2ELNS1_3repE0EEENS1_30default_config_static_selectorELNS0_4arch9wavefront6targetE0EEEvSY_.has_recursion, 0
	.set _ZN7rocprim17ROCPRIM_400000_NS6detail17trampoline_kernelINS0_13select_configILj256ELj13ELNS0_17block_load_methodE3ELS4_3ELS4_3ELNS0_20block_scan_algorithmE0ELj4294967295EEENS1_25partition_config_selectorILNS1_17partition_subalgoE3EjNS0_10empty_typeEbEEZZNS1_14partition_implILS8_3ELb0ES6_jNS0_17counting_iteratorIjlEEPS9_SE_NS0_5tupleIJPjSE_EEENSF_IJSE_SE_EEES9_SG_JZNS1_25segmented_radix_sort_implINS0_14default_configELb1EPKaPaPKlPlN2at6native12_GLOBAL__N_18offset_tEEE10hipError_tPvRmT1_PNSt15iterator_traitsISY_E10value_typeET2_T3_PNSZ_IS14_E10value_typeET4_jRbjT5_S1A_jjP12ihipStream_tbEUljE_EEESV_SW_SX_S14_S18_S1A_T6_T7_T9_mT8_S1C_bDpT10_ENKUlT_T0_E_clISt17integral_constantIbLb0EES1P_EEDaS1K_S1L_EUlS1K_E_NS1_11comp_targetILNS1_3genE8ELNS1_11target_archE1030ELNS1_3gpuE2ELNS1_3repE0EEENS1_30default_config_static_selectorELNS0_4arch9wavefront6targetE0EEEvSY_.has_indirect_call, 0
	.section	.AMDGPU.csdata,"",@progbits
; Kernel info:
; codeLenInByte = 0
; TotalNumSgprs: 0
; NumVgprs: 0
; ScratchSize: 0
; MemoryBound: 0
; FloatMode: 240
; IeeeMode: 1
; LDSByteSize: 0 bytes/workgroup (compile time only)
; SGPRBlocks: 0
; VGPRBlocks: 0
; NumSGPRsForWavesPerEU: 1
; NumVGPRsForWavesPerEU: 1
; NamedBarCnt: 0
; Occupancy: 16
; WaveLimiterHint : 0
; COMPUTE_PGM_RSRC2:SCRATCH_EN: 0
; COMPUTE_PGM_RSRC2:USER_SGPR: 2
; COMPUTE_PGM_RSRC2:TRAP_HANDLER: 0
; COMPUTE_PGM_RSRC2:TGID_X_EN: 1
; COMPUTE_PGM_RSRC2:TGID_Y_EN: 0
; COMPUTE_PGM_RSRC2:TGID_Z_EN: 0
; COMPUTE_PGM_RSRC2:TIDIG_COMP_CNT: 0
	.section	.text._ZN7rocprim17ROCPRIM_400000_NS6detail17trampoline_kernelINS0_13select_configILj256ELj13ELNS0_17block_load_methodE3ELS4_3ELS4_3ELNS0_20block_scan_algorithmE0ELj4294967295EEENS1_25partition_config_selectorILNS1_17partition_subalgoE3EjNS0_10empty_typeEbEEZZNS1_14partition_implILS8_3ELb0ES6_jNS0_17counting_iteratorIjlEEPS9_SE_NS0_5tupleIJPjSE_EEENSF_IJSE_SE_EEES9_SG_JZNS1_25segmented_radix_sort_implINS0_14default_configELb1EPKaPaPKlPlN2at6native12_GLOBAL__N_18offset_tEEE10hipError_tPvRmT1_PNSt15iterator_traitsISY_E10value_typeET2_T3_PNSZ_IS14_E10value_typeET4_jRbjT5_S1A_jjP12ihipStream_tbEUljE_EEESV_SW_SX_S14_S18_S1A_T6_T7_T9_mT8_S1C_bDpT10_ENKUlT_T0_E_clISt17integral_constantIbLb1EES1P_EEDaS1K_S1L_EUlS1K_E_NS1_11comp_targetILNS1_3genE0ELNS1_11target_archE4294967295ELNS1_3gpuE0ELNS1_3repE0EEENS1_30default_config_static_selectorELNS0_4arch9wavefront6targetE0EEEvSY_,"axG",@progbits,_ZN7rocprim17ROCPRIM_400000_NS6detail17trampoline_kernelINS0_13select_configILj256ELj13ELNS0_17block_load_methodE3ELS4_3ELS4_3ELNS0_20block_scan_algorithmE0ELj4294967295EEENS1_25partition_config_selectorILNS1_17partition_subalgoE3EjNS0_10empty_typeEbEEZZNS1_14partition_implILS8_3ELb0ES6_jNS0_17counting_iteratorIjlEEPS9_SE_NS0_5tupleIJPjSE_EEENSF_IJSE_SE_EEES9_SG_JZNS1_25segmented_radix_sort_implINS0_14default_configELb1EPKaPaPKlPlN2at6native12_GLOBAL__N_18offset_tEEE10hipError_tPvRmT1_PNSt15iterator_traitsISY_E10value_typeET2_T3_PNSZ_IS14_E10value_typeET4_jRbjT5_S1A_jjP12ihipStream_tbEUljE_EEESV_SW_SX_S14_S18_S1A_T6_T7_T9_mT8_S1C_bDpT10_ENKUlT_T0_E_clISt17integral_constantIbLb1EES1P_EEDaS1K_S1L_EUlS1K_E_NS1_11comp_targetILNS1_3genE0ELNS1_11target_archE4294967295ELNS1_3gpuE0ELNS1_3repE0EEENS1_30default_config_static_selectorELNS0_4arch9wavefront6targetE0EEEvSY_,comdat
	.globl	_ZN7rocprim17ROCPRIM_400000_NS6detail17trampoline_kernelINS0_13select_configILj256ELj13ELNS0_17block_load_methodE3ELS4_3ELS4_3ELNS0_20block_scan_algorithmE0ELj4294967295EEENS1_25partition_config_selectorILNS1_17partition_subalgoE3EjNS0_10empty_typeEbEEZZNS1_14partition_implILS8_3ELb0ES6_jNS0_17counting_iteratorIjlEEPS9_SE_NS0_5tupleIJPjSE_EEENSF_IJSE_SE_EEES9_SG_JZNS1_25segmented_radix_sort_implINS0_14default_configELb1EPKaPaPKlPlN2at6native12_GLOBAL__N_18offset_tEEE10hipError_tPvRmT1_PNSt15iterator_traitsISY_E10value_typeET2_T3_PNSZ_IS14_E10value_typeET4_jRbjT5_S1A_jjP12ihipStream_tbEUljE_EEESV_SW_SX_S14_S18_S1A_T6_T7_T9_mT8_S1C_bDpT10_ENKUlT_T0_E_clISt17integral_constantIbLb1EES1P_EEDaS1K_S1L_EUlS1K_E_NS1_11comp_targetILNS1_3genE0ELNS1_11target_archE4294967295ELNS1_3gpuE0ELNS1_3repE0EEENS1_30default_config_static_selectorELNS0_4arch9wavefront6targetE0EEEvSY_ ; -- Begin function _ZN7rocprim17ROCPRIM_400000_NS6detail17trampoline_kernelINS0_13select_configILj256ELj13ELNS0_17block_load_methodE3ELS4_3ELS4_3ELNS0_20block_scan_algorithmE0ELj4294967295EEENS1_25partition_config_selectorILNS1_17partition_subalgoE3EjNS0_10empty_typeEbEEZZNS1_14partition_implILS8_3ELb0ES6_jNS0_17counting_iteratorIjlEEPS9_SE_NS0_5tupleIJPjSE_EEENSF_IJSE_SE_EEES9_SG_JZNS1_25segmented_radix_sort_implINS0_14default_configELb1EPKaPaPKlPlN2at6native12_GLOBAL__N_18offset_tEEE10hipError_tPvRmT1_PNSt15iterator_traitsISY_E10value_typeET2_T3_PNSZ_IS14_E10value_typeET4_jRbjT5_S1A_jjP12ihipStream_tbEUljE_EEESV_SW_SX_S14_S18_S1A_T6_T7_T9_mT8_S1C_bDpT10_ENKUlT_T0_E_clISt17integral_constantIbLb1EES1P_EEDaS1K_S1L_EUlS1K_E_NS1_11comp_targetILNS1_3genE0ELNS1_11target_archE4294967295ELNS1_3gpuE0ELNS1_3repE0EEENS1_30default_config_static_selectorELNS0_4arch9wavefront6targetE0EEEvSY_
	.p2align	8
	.type	_ZN7rocprim17ROCPRIM_400000_NS6detail17trampoline_kernelINS0_13select_configILj256ELj13ELNS0_17block_load_methodE3ELS4_3ELS4_3ELNS0_20block_scan_algorithmE0ELj4294967295EEENS1_25partition_config_selectorILNS1_17partition_subalgoE3EjNS0_10empty_typeEbEEZZNS1_14partition_implILS8_3ELb0ES6_jNS0_17counting_iteratorIjlEEPS9_SE_NS0_5tupleIJPjSE_EEENSF_IJSE_SE_EEES9_SG_JZNS1_25segmented_radix_sort_implINS0_14default_configELb1EPKaPaPKlPlN2at6native12_GLOBAL__N_18offset_tEEE10hipError_tPvRmT1_PNSt15iterator_traitsISY_E10value_typeET2_T3_PNSZ_IS14_E10value_typeET4_jRbjT5_S1A_jjP12ihipStream_tbEUljE_EEESV_SW_SX_S14_S18_S1A_T6_T7_T9_mT8_S1C_bDpT10_ENKUlT_T0_E_clISt17integral_constantIbLb1EES1P_EEDaS1K_S1L_EUlS1K_E_NS1_11comp_targetILNS1_3genE0ELNS1_11target_archE4294967295ELNS1_3gpuE0ELNS1_3repE0EEENS1_30default_config_static_selectorELNS0_4arch9wavefront6targetE0EEEvSY_,@function
_ZN7rocprim17ROCPRIM_400000_NS6detail17trampoline_kernelINS0_13select_configILj256ELj13ELNS0_17block_load_methodE3ELS4_3ELS4_3ELNS0_20block_scan_algorithmE0ELj4294967295EEENS1_25partition_config_selectorILNS1_17partition_subalgoE3EjNS0_10empty_typeEbEEZZNS1_14partition_implILS8_3ELb0ES6_jNS0_17counting_iteratorIjlEEPS9_SE_NS0_5tupleIJPjSE_EEENSF_IJSE_SE_EEES9_SG_JZNS1_25segmented_radix_sort_implINS0_14default_configELb1EPKaPaPKlPlN2at6native12_GLOBAL__N_18offset_tEEE10hipError_tPvRmT1_PNSt15iterator_traitsISY_E10value_typeET2_T3_PNSZ_IS14_E10value_typeET4_jRbjT5_S1A_jjP12ihipStream_tbEUljE_EEESV_SW_SX_S14_S18_S1A_T6_T7_T9_mT8_S1C_bDpT10_ENKUlT_T0_E_clISt17integral_constantIbLb1EES1P_EEDaS1K_S1L_EUlS1K_E_NS1_11comp_targetILNS1_3genE0ELNS1_11target_archE4294967295ELNS1_3gpuE0ELNS1_3repE0EEENS1_30default_config_static_selectorELNS0_4arch9wavefront6targetE0EEEvSY_: ; @_ZN7rocprim17ROCPRIM_400000_NS6detail17trampoline_kernelINS0_13select_configILj256ELj13ELNS0_17block_load_methodE3ELS4_3ELS4_3ELNS0_20block_scan_algorithmE0ELj4294967295EEENS1_25partition_config_selectorILNS1_17partition_subalgoE3EjNS0_10empty_typeEbEEZZNS1_14partition_implILS8_3ELb0ES6_jNS0_17counting_iteratorIjlEEPS9_SE_NS0_5tupleIJPjSE_EEENSF_IJSE_SE_EEES9_SG_JZNS1_25segmented_radix_sort_implINS0_14default_configELb1EPKaPaPKlPlN2at6native12_GLOBAL__N_18offset_tEEE10hipError_tPvRmT1_PNSt15iterator_traitsISY_E10value_typeET2_T3_PNSZ_IS14_E10value_typeET4_jRbjT5_S1A_jjP12ihipStream_tbEUljE_EEESV_SW_SX_S14_S18_S1A_T6_T7_T9_mT8_S1C_bDpT10_ENKUlT_T0_E_clISt17integral_constantIbLb1EES1P_EEDaS1K_S1L_EUlS1K_E_NS1_11comp_targetILNS1_3genE0ELNS1_11target_archE4294967295ELNS1_3gpuE0ELNS1_3repE0EEENS1_30default_config_static_selectorELNS0_4arch9wavefront6targetE0EEEvSY_
; %bb.0:
	s_endpgm
	.section	.rodata,"a",@progbits
	.p2align	6, 0x0
	.amdhsa_kernel _ZN7rocprim17ROCPRIM_400000_NS6detail17trampoline_kernelINS0_13select_configILj256ELj13ELNS0_17block_load_methodE3ELS4_3ELS4_3ELNS0_20block_scan_algorithmE0ELj4294967295EEENS1_25partition_config_selectorILNS1_17partition_subalgoE3EjNS0_10empty_typeEbEEZZNS1_14partition_implILS8_3ELb0ES6_jNS0_17counting_iteratorIjlEEPS9_SE_NS0_5tupleIJPjSE_EEENSF_IJSE_SE_EEES9_SG_JZNS1_25segmented_radix_sort_implINS0_14default_configELb1EPKaPaPKlPlN2at6native12_GLOBAL__N_18offset_tEEE10hipError_tPvRmT1_PNSt15iterator_traitsISY_E10value_typeET2_T3_PNSZ_IS14_E10value_typeET4_jRbjT5_S1A_jjP12ihipStream_tbEUljE_EEESV_SW_SX_S14_S18_S1A_T6_T7_T9_mT8_S1C_bDpT10_ENKUlT_T0_E_clISt17integral_constantIbLb1EES1P_EEDaS1K_S1L_EUlS1K_E_NS1_11comp_targetILNS1_3genE0ELNS1_11target_archE4294967295ELNS1_3gpuE0ELNS1_3repE0EEENS1_30default_config_static_selectorELNS0_4arch9wavefront6targetE0EEEvSY_
		.amdhsa_group_segment_fixed_size 0
		.amdhsa_private_segment_fixed_size 0
		.amdhsa_kernarg_size 152
		.amdhsa_user_sgpr_count 2
		.amdhsa_user_sgpr_dispatch_ptr 0
		.amdhsa_user_sgpr_queue_ptr 0
		.amdhsa_user_sgpr_kernarg_segment_ptr 1
		.amdhsa_user_sgpr_dispatch_id 0
		.amdhsa_user_sgpr_kernarg_preload_length 0
		.amdhsa_user_sgpr_kernarg_preload_offset 0
		.amdhsa_user_sgpr_private_segment_size 0
		.amdhsa_wavefront_size32 1
		.amdhsa_uses_dynamic_stack 0
		.amdhsa_enable_private_segment 0
		.amdhsa_system_sgpr_workgroup_id_x 1
		.amdhsa_system_sgpr_workgroup_id_y 0
		.amdhsa_system_sgpr_workgroup_id_z 0
		.amdhsa_system_sgpr_workgroup_info 0
		.amdhsa_system_vgpr_workitem_id 0
		.amdhsa_next_free_vgpr 1
		.amdhsa_next_free_sgpr 1
		.amdhsa_named_barrier_count 0
		.amdhsa_reserve_vcc 0
		.amdhsa_float_round_mode_32 0
		.amdhsa_float_round_mode_16_64 0
		.amdhsa_float_denorm_mode_32 3
		.amdhsa_float_denorm_mode_16_64 3
		.amdhsa_fp16_overflow 0
		.amdhsa_memory_ordered 1
		.amdhsa_forward_progress 1
		.amdhsa_inst_pref_size 1
		.amdhsa_round_robin_scheduling 0
		.amdhsa_exception_fp_ieee_invalid_op 0
		.amdhsa_exception_fp_denorm_src 0
		.amdhsa_exception_fp_ieee_div_zero 0
		.amdhsa_exception_fp_ieee_overflow 0
		.amdhsa_exception_fp_ieee_underflow 0
		.amdhsa_exception_fp_ieee_inexact 0
		.amdhsa_exception_int_div_zero 0
	.end_amdhsa_kernel
	.section	.text._ZN7rocprim17ROCPRIM_400000_NS6detail17trampoline_kernelINS0_13select_configILj256ELj13ELNS0_17block_load_methodE3ELS4_3ELS4_3ELNS0_20block_scan_algorithmE0ELj4294967295EEENS1_25partition_config_selectorILNS1_17partition_subalgoE3EjNS0_10empty_typeEbEEZZNS1_14partition_implILS8_3ELb0ES6_jNS0_17counting_iteratorIjlEEPS9_SE_NS0_5tupleIJPjSE_EEENSF_IJSE_SE_EEES9_SG_JZNS1_25segmented_radix_sort_implINS0_14default_configELb1EPKaPaPKlPlN2at6native12_GLOBAL__N_18offset_tEEE10hipError_tPvRmT1_PNSt15iterator_traitsISY_E10value_typeET2_T3_PNSZ_IS14_E10value_typeET4_jRbjT5_S1A_jjP12ihipStream_tbEUljE_EEESV_SW_SX_S14_S18_S1A_T6_T7_T9_mT8_S1C_bDpT10_ENKUlT_T0_E_clISt17integral_constantIbLb1EES1P_EEDaS1K_S1L_EUlS1K_E_NS1_11comp_targetILNS1_3genE0ELNS1_11target_archE4294967295ELNS1_3gpuE0ELNS1_3repE0EEENS1_30default_config_static_selectorELNS0_4arch9wavefront6targetE0EEEvSY_,"axG",@progbits,_ZN7rocprim17ROCPRIM_400000_NS6detail17trampoline_kernelINS0_13select_configILj256ELj13ELNS0_17block_load_methodE3ELS4_3ELS4_3ELNS0_20block_scan_algorithmE0ELj4294967295EEENS1_25partition_config_selectorILNS1_17partition_subalgoE3EjNS0_10empty_typeEbEEZZNS1_14partition_implILS8_3ELb0ES6_jNS0_17counting_iteratorIjlEEPS9_SE_NS0_5tupleIJPjSE_EEENSF_IJSE_SE_EEES9_SG_JZNS1_25segmented_radix_sort_implINS0_14default_configELb1EPKaPaPKlPlN2at6native12_GLOBAL__N_18offset_tEEE10hipError_tPvRmT1_PNSt15iterator_traitsISY_E10value_typeET2_T3_PNSZ_IS14_E10value_typeET4_jRbjT5_S1A_jjP12ihipStream_tbEUljE_EEESV_SW_SX_S14_S18_S1A_T6_T7_T9_mT8_S1C_bDpT10_ENKUlT_T0_E_clISt17integral_constantIbLb1EES1P_EEDaS1K_S1L_EUlS1K_E_NS1_11comp_targetILNS1_3genE0ELNS1_11target_archE4294967295ELNS1_3gpuE0ELNS1_3repE0EEENS1_30default_config_static_selectorELNS0_4arch9wavefront6targetE0EEEvSY_,comdat
.Lfunc_end264:
	.size	_ZN7rocprim17ROCPRIM_400000_NS6detail17trampoline_kernelINS0_13select_configILj256ELj13ELNS0_17block_load_methodE3ELS4_3ELS4_3ELNS0_20block_scan_algorithmE0ELj4294967295EEENS1_25partition_config_selectorILNS1_17partition_subalgoE3EjNS0_10empty_typeEbEEZZNS1_14partition_implILS8_3ELb0ES6_jNS0_17counting_iteratorIjlEEPS9_SE_NS0_5tupleIJPjSE_EEENSF_IJSE_SE_EEES9_SG_JZNS1_25segmented_radix_sort_implINS0_14default_configELb1EPKaPaPKlPlN2at6native12_GLOBAL__N_18offset_tEEE10hipError_tPvRmT1_PNSt15iterator_traitsISY_E10value_typeET2_T3_PNSZ_IS14_E10value_typeET4_jRbjT5_S1A_jjP12ihipStream_tbEUljE_EEESV_SW_SX_S14_S18_S1A_T6_T7_T9_mT8_S1C_bDpT10_ENKUlT_T0_E_clISt17integral_constantIbLb1EES1P_EEDaS1K_S1L_EUlS1K_E_NS1_11comp_targetILNS1_3genE0ELNS1_11target_archE4294967295ELNS1_3gpuE0ELNS1_3repE0EEENS1_30default_config_static_selectorELNS0_4arch9wavefront6targetE0EEEvSY_, .Lfunc_end264-_ZN7rocprim17ROCPRIM_400000_NS6detail17trampoline_kernelINS0_13select_configILj256ELj13ELNS0_17block_load_methodE3ELS4_3ELS4_3ELNS0_20block_scan_algorithmE0ELj4294967295EEENS1_25partition_config_selectorILNS1_17partition_subalgoE3EjNS0_10empty_typeEbEEZZNS1_14partition_implILS8_3ELb0ES6_jNS0_17counting_iteratorIjlEEPS9_SE_NS0_5tupleIJPjSE_EEENSF_IJSE_SE_EEES9_SG_JZNS1_25segmented_radix_sort_implINS0_14default_configELb1EPKaPaPKlPlN2at6native12_GLOBAL__N_18offset_tEEE10hipError_tPvRmT1_PNSt15iterator_traitsISY_E10value_typeET2_T3_PNSZ_IS14_E10value_typeET4_jRbjT5_S1A_jjP12ihipStream_tbEUljE_EEESV_SW_SX_S14_S18_S1A_T6_T7_T9_mT8_S1C_bDpT10_ENKUlT_T0_E_clISt17integral_constantIbLb1EES1P_EEDaS1K_S1L_EUlS1K_E_NS1_11comp_targetILNS1_3genE0ELNS1_11target_archE4294967295ELNS1_3gpuE0ELNS1_3repE0EEENS1_30default_config_static_selectorELNS0_4arch9wavefront6targetE0EEEvSY_
                                        ; -- End function
	.set _ZN7rocprim17ROCPRIM_400000_NS6detail17trampoline_kernelINS0_13select_configILj256ELj13ELNS0_17block_load_methodE3ELS4_3ELS4_3ELNS0_20block_scan_algorithmE0ELj4294967295EEENS1_25partition_config_selectorILNS1_17partition_subalgoE3EjNS0_10empty_typeEbEEZZNS1_14partition_implILS8_3ELb0ES6_jNS0_17counting_iteratorIjlEEPS9_SE_NS0_5tupleIJPjSE_EEENSF_IJSE_SE_EEES9_SG_JZNS1_25segmented_radix_sort_implINS0_14default_configELb1EPKaPaPKlPlN2at6native12_GLOBAL__N_18offset_tEEE10hipError_tPvRmT1_PNSt15iterator_traitsISY_E10value_typeET2_T3_PNSZ_IS14_E10value_typeET4_jRbjT5_S1A_jjP12ihipStream_tbEUljE_EEESV_SW_SX_S14_S18_S1A_T6_T7_T9_mT8_S1C_bDpT10_ENKUlT_T0_E_clISt17integral_constantIbLb1EES1P_EEDaS1K_S1L_EUlS1K_E_NS1_11comp_targetILNS1_3genE0ELNS1_11target_archE4294967295ELNS1_3gpuE0ELNS1_3repE0EEENS1_30default_config_static_selectorELNS0_4arch9wavefront6targetE0EEEvSY_.num_vgpr, 0
	.set _ZN7rocprim17ROCPRIM_400000_NS6detail17trampoline_kernelINS0_13select_configILj256ELj13ELNS0_17block_load_methodE3ELS4_3ELS4_3ELNS0_20block_scan_algorithmE0ELj4294967295EEENS1_25partition_config_selectorILNS1_17partition_subalgoE3EjNS0_10empty_typeEbEEZZNS1_14partition_implILS8_3ELb0ES6_jNS0_17counting_iteratorIjlEEPS9_SE_NS0_5tupleIJPjSE_EEENSF_IJSE_SE_EEES9_SG_JZNS1_25segmented_radix_sort_implINS0_14default_configELb1EPKaPaPKlPlN2at6native12_GLOBAL__N_18offset_tEEE10hipError_tPvRmT1_PNSt15iterator_traitsISY_E10value_typeET2_T3_PNSZ_IS14_E10value_typeET4_jRbjT5_S1A_jjP12ihipStream_tbEUljE_EEESV_SW_SX_S14_S18_S1A_T6_T7_T9_mT8_S1C_bDpT10_ENKUlT_T0_E_clISt17integral_constantIbLb1EES1P_EEDaS1K_S1L_EUlS1K_E_NS1_11comp_targetILNS1_3genE0ELNS1_11target_archE4294967295ELNS1_3gpuE0ELNS1_3repE0EEENS1_30default_config_static_selectorELNS0_4arch9wavefront6targetE0EEEvSY_.num_agpr, 0
	.set _ZN7rocprim17ROCPRIM_400000_NS6detail17trampoline_kernelINS0_13select_configILj256ELj13ELNS0_17block_load_methodE3ELS4_3ELS4_3ELNS0_20block_scan_algorithmE0ELj4294967295EEENS1_25partition_config_selectorILNS1_17partition_subalgoE3EjNS0_10empty_typeEbEEZZNS1_14partition_implILS8_3ELb0ES6_jNS0_17counting_iteratorIjlEEPS9_SE_NS0_5tupleIJPjSE_EEENSF_IJSE_SE_EEES9_SG_JZNS1_25segmented_radix_sort_implINS0_14default_configELb1EPKaPaPKlPlN2at6native12_GLOBAL__N_18offset_tEEE10hipError_tPvRmT1_PNSt15iterator_traitsISY_E10value_typeET2_T3_PNSZ_IS14_E10value_typeET4_jRbjT5_S1A_jjP12ihipStream_tbEUljE_EEESV_SW_SX_S14_S18_S1A_T6_T7_T9_mT8_S1C_bDpT10_ENKUlT_T0_E_clISt17integral_constantIbLb1EES1P_EEDaS1K_S1L_EUlS1K_E_NS1_11comp_targetILNS1_3genE0ELNS1_11target_archE4294967295ELNS1_3gpuE0ELNS1_3repE0EEENS1_30default_config_static_selectorELNS0_4arch9wavefront6targetE0EEEvSY_.numbered_sgpr, 0
	.set _ZN7rocprim17ROCPRIM_400000_NS6detail17trampoline_kernelINS0_13select_configILj256ELj13ELNS0_17block_load_methodE3ELS4_3ELS4_3ELNS0_20block_scan_algorithmE0ELj4294967295EEENS1_25partition_config_selectorILNS1_17partition_subalgoE3EjNS0_10empty_typeEbEEZZNS1_14partition_implILS8_3ELb0ES6_jNS0_17counting_iteratorIjlEEPS9_SE_NS0_5tupleIJPjSE_EEENSF_IJSE_SE_EEES9_SG_JZNS1_25segmented_radix_sort_implINS0_14default_configELb1EPKaPaPKlPlN2at6native12_GLOBAL__N_18offset_tEEE10hipError_tPvRmT1_PNSt15iterator_traitsISY_E10value_typeET2_T3_PNSZ_IS14_E10value_typeET4_jRbjT5_S1A_jjP12ihipStream_tbEUljE_EEESV_SW_SX_S14_S18_S1A_T6_T7_T9_mT8_S1C_bDpT10_ENKUlT_T0_E_clISt17integral_constantIbLb1EES1P_EEDaS1K_S1L_EUlS1K_E_NS1_11comp_targetILNS1_3genE0ELNS1_11target_archE4294967295ELNS1_3gpuE0ELNS1_3repE0EEENS1_30default_config_static_selectorELNS0_4arch9wavefront6targetE0EEEvSY_.num_named_barrier, 0
	.set _ZN7rocprim17ROCPRIM_400000_NS6detail17trampoline_kernelINS0_13select_configILj256ELj13ELNS0_17block_load_methodE3ELS4_3ELS4_3ELNS0_20block_scan_algorithmE0ELj4294967295EEENS1_25partition_config_selectorILNS1_17partition_subalgoE3EjNS0_10empty_typeEbEEZZNS1_14partition_implILS8_3ELb0ES6_jNS0_17counting_iteratorIjlEEPS9_SE_NS0_5tupleIJPjSE_EEENSF_IJSE_SE_EEES9_SG_JZNS1_25segmented_radix_sort_implINS0_14default_configELb1EPKaPaPKlPlN2at6native12_GLOBAL__N_18offset_tEEE10hipError_tPvRmT1_PNSt15iterator_traitsISY_E10value_typeET2_T3_PNSZ_IS14_E10value_typeET4_jRbjT5_S1A_jjP12ihipStream_tbEUljE_EEESV_SW_SX_S14_S18_S1A_T6_T7_T9_mT8_S1C_bDpT10_ENKUlT_T0_E_clISt17integral_constantIbLb1EES1P_EEDaS1K_S1L_EUlS1K_E_NS1_11comp_targetILNS1_3genE0ELNS1_11target_archE4294967295ELNS1_3gpuE0ELNS1_3repE0EEENS1_30default_config_static_selectorELNS0_4arch9wavefront6targetE0EEEvSY_.private_seg_size, 0
	.set _ZN7rocprim17ROCPRIM_400000_NS6detail17trampoline_kernelINS0_13select_configILj256ELj13ELNS0_17block_load_methodE3ELS4_3ELS4_3ELNS0_20block_scan_algorithmE0ELj4294967295EEENS1_25partition_config_selectorILNS1_17partition_subalgoE3EjNS0_10empty_typeEbEEZZNS1_14partition_implILS8_3ELb0ES6_jNS0_17counting_iteratorIjlEEPS9_SE_NS0_5tupleIJPjSE_EEENSF_IJSE_SE_EEES9_SG_JZNS1_25segmented_radix_sort_implINS0_14default_configELb1EPKaPaPKlPlN2at6native12_GLOBAL__N_18offset_tEEE10hipError_tPvRmT1_PNSt15iterator_traitsISY_E10value_typeET2_T3_PNSZ_IS14_E10value_typeET4_jRbjT5_S1A_jjP12ihipStream_tbEUljE_EEESV_SW_SX_S14_S18_S1A_T6_T7_T9_mT8_S1C_bDpT10_ENKUlT_T0_E_clISt17integral_constantIbLb1EES1P_EEDaS1K_S1L_EUlS1K_E_NS1_11comp_targetILNS1_3genE0ELNS1_11target_archE4294967295ELNS1_3gpuE0ELNS1_3repE0EEENS1_30default_config_static_selectorELNS0_4arch9wavefront6targetE0EEEvSY_.uses_vcc, 0
	.set _ZN7rocprim17ROCPRIM_400000_NS6detail17trampoline_kernelINS0_13select_configILj256ELj13ELNS0_17block_load_methodE3ELS4_3ELS4_3ELNS0_20block_scan_algorithmE0ELj4294967295EEENS1_25partition_config_selectorILNS1_17partition_subalgoE3EjNS0_10empty_typeEbEEZZNS1_14partition_implILS8_3ELb0ES6_jNS0_17counting_iteratorIjlEEPS9_SE_NS0_5tupleIJPjSE_EEENSF_IJSE_SE_EEES9_SG_JZNS1_25segmented_radix_sort_implINS0_14default_configELb1EPKaPaPKlPlN2at6native12_GLOBAL__N_18offset_tEEE10hipError_tPvRmT1_PNSt15iterator_traitsISY_E10value_typeET2_T3_PNSZ_IS14_E10value_typeET4_jRbjT5_S1A_jjP12ihipStream_tbEUljE_EEESV_SW_SX_S14_S18_S1A_T6_T7_T9_mT8_S1C_bDpT10_ENKUlT_T0_E_clISt17integral_constantIbLb1EES1P_EEDaS1K_S1L_EUlS1K_E_NS1_11comp_targetILNS1_3genE0ELNS1_11target_archE4294967295ELNS1_3gpuE0ELNS1_3repE0EEENS1_30default_config_static_selectorELNS0_4arch9wavefront6targetE0EEEvSY_.uses_flat_scratch, 0
	.set _ZN7rocprim17ROCPRIM_400000_NS6detail17trampoline_kernelINS0_13select_configILj256ELj13ELNS0_17block_load_methodE3ELS4_3ELS4_3ELNS0_20block_scan_algorithmE0ELj4294967295EEENS1_25partition_config_selectorILNS1_17partition_subalgoE3EjNS0_10empty_typeEbEEZZNS1_14partition_implILS8_3ELb0ES6_jNS0_17counting_iteratorIjlEEPS9_SE_NS0_5tupleIJPjSE_EEENSF_IJSE_SE_EEES9_SG_JZNS1_25segmented_radix_sort_implINS0_14default_configELb1EPKaPaPKlPlN2at6native12_GLOBAL__N_18offset_tEEE10hipError_tPvRmT1_PNSt15iterator_traitsISY_E10value_typeET2_T3_PNSZ_IS14_E10value_typeET4_jRbjT5_S1A_jjP12ihipStream_tbEUljE_EEESV_SW_SX_S14_S18_S1A_T6_T7_T9_mT8_S1C_bDpT10_ENKUlT_T0_E_clISt17integral_constantIbLb1EES1P_EEDaS1K_S1L_EUlS1K_E_NS1_11comp_targetILNS1_3genE0ELNS1_11target_archE4294967295ELNS1_3gpuE0ELNS1_3repE0EEENS1_30default_config_static_selectorELNS0_4arch9wavefront6targetE0EEEvSY_.has_dyn_sized_stack, 0
	.set _ZN7rocprim17ROCPRIM_400000_NS6detail17trampoline_kernelINS0_13select_configILj256ELj13ELNS0_17block_load_methodE3ELS4_3ELS4_3ELNS0_20block_scan_algorithmE0ELj4294967295EEENS1_25partition_config_selectorILNS1_17partition_subalgoE3EjNS0_10empty_typeEbEEZZNS1_14partition_implILS8_3ELb0ES6_jNS0_17counting_iteratorIjlEEPS9_SE_NS0_5tupleIJPjSE_EEENSF_IJSE_SE_EEES9_SG_JZNS1_25segmented_radix_sort_implINS0_14default_configELb1EPKaPaPKlPlN2at6native12_GLOBAL__N_18offset_tEEE10hipError_tPvRmT1_PNSt15iterator_traitsISY_E10value_typeET2_T3_PNSZ_IS14_E10value_typeET4_jRbjT5_S1A_jjP12ihipStream_tbEUljE_EEESV_SW_SX_S14_S18_S1A_T6_T7_T9_mT8_S1C_bDpT10_ENKUlT_T0_E_clISt17integral_constantIbLb1EES1P_EEDaS1K_S1L_EUlS1K_E_NS1_11comp_targetILNS1_3genE0ELNS1_11target_archE4294967295ELNS1_3gpuE0ELNS1_3repE0EEENS1_30default_config_static_selectorELNS0_4arch9wavefront6targetE0EEEvSY_.has_recursion, 0
	.set _ZN7rocprim17ROCPRIM_400000_NS6detail17trampoline_kernelINS0_13select_configILj256ELj13ELNS0_17block_load_methodE3ELS4_3ELS4_3ELNS0_20block_scan_algorithmE0ELj4294967295EEENS1_25partition_config_selectorILNS1_17partition_subalgoE3EjNS0_10empty_typeEbEEZZNS1_14partition_implILS8_3ELb0ES6_jNS0_17counting_iteratorIjlEEPS9_SE_NS0_5tupleIJPjSE_EEENSF_IJSE_SE_EEES9_SG_JZNS1_25segmented_radix_sort_implINS0_14default_configELb1EPKaPaPKlPlN2at6native12_GLOBAL__N_18offset_tEEE10hipError_tPvRmT1_PNSt15iterator_traitsISY_E10value_typeET2_T3_PNSZ_IS14_E10value_typeET4_jRbjT5_S1A_jjP12ihipStream_tbEUljE_EEESV_SW_SX_S14_S18_S1A_T6_T7_T9_mT8_S1C_bDpT10_ENKUlT_T0_E_clISt17integral_constantIbLb1EES1P_EEDaS1K_S1L_EUlS1K_E_NS1_11comp_targetILNS1_3genE0ELNS1_11target_archE4294967295ELNS1_3gpuE0ELNS1_3repE0EEENS1_30default_config_static_selectorELNS0_4arch9wavefront6targetE0EEEvSY_.has_indirect_call, 0
	.section	.AMDGPU.csdata,"",@progbits
; Kernel info:
; codeLenInByte = 4
; TotalNumSgprs: 0
; NumVgprs: 0
; ScratchSize: 0
; MemoryBound: 0
; FloatMode: 240
; IeeeMode: 1
; LDSByteSize: 0 bytes/workgroup (compile time only)
; SGPRBlocks: 0
; VGPRBlocks: 0
; NumSGPRsForWavesPerEU: 1
; NumVGPRsForWavesPerEU: 1
; NamedBarCnt: 0
; Occupancy: 16
; WaveLimiterHint : 0
; COMPUTE_PGM_RSRC2:SCRATCH_EN: 0
; COMPUTE_PGM_RSRC2:USER_SGPR: 2
; COMPUTE_PGM_RSRC2:TRAP_HANDLER: 0
; COMPUTE_PGM_RSRC2:TGID_X_EN: 1
; COMPUTE_PGM_RSRC2:TGID_Y_EN: 0
; COMPUTE_PGM_RSRC2:TGID_Z_EN: 0
; COMPUTE_PGM_RSRC2:TIDIG_COMP_CNT: 0
	.section	.text._ZN7rocprim17ROCPRIM_400000_NS6detail17trampoline_kernelINS0_13select_configILj256ELj13ELNS0_17block_load_methodE3ELS4_3ELS4_3ELNS0_20block_scan_algorithmE0ELj4294967295EEENS1_25partition_config_selectorILNS1_17partition_subalgoE3EjNS0_10empty_typeEbEEZZNS1_14partition_implILS8_3ELb0ES6_jNS0_17counting_iteratorIjlEEPS9_SE_NS0_5tupleIJPjSE_EEENSF_IJSE_SE_EEES9_SG_JZNS1_25segmented_radix_sort_implINS0_14default_configELb1EPKaPaPKlPlN2at6native12_GLOBAL__N_18offset_tEEE10hipError_tPvRmT1_PNSt15iterator_traitsISY_E10value_typeET2_T3_PNSZ_IS14_E10value_typeET4_jRbjT5_S1A_jjP12ihipStream_tbEUljE_EEESV_SW_SX_S14_S18_S1A_T6_T7_T9_mT8_S1C_bDpT10_ENKUlT_T0_E_clISt17integral_constantIbLb1EES1P_EEDaS1K_S1L_EUlS1K_E_NS1_11comp_targetILNS1_3genE5ELNS1_11target_archE942ELNS1_3gpuE9ELNS1_3repE0EEENS1_30default_config_static_selectorELNS0_4arch9wavefront6targetE0EEEvSY_,"axG",@progbits,_ZN7rocprim17ROCPRIM_400000_NS6detail17trampoline_kernelINS0_13select_configILj256ELj13ELNS0_17block_load_methodE3ELS4_3ELS4_3ELNS0_20block_scan_algorithmE0ELj4294967295EEENS1_25partition_config_selectorILNS1_17partition_subalgoE3EjNS0_10empty_typeEbEEZZNS1_14partition_implILS8_3ELb0ES6_jNS0_17counting_iteratorIjlEEPS9_SE_NS0_5tupleIJPjSE_EEENSF_IJSE_SE_EEES9_SG_JZNS1_25segmented_radix_sort_implINS0_14default_configELb1EPKaPaPKlPlN2at6native12_GLOBAL__N_18offset_tEEE10hipError_tPvRmT1_PNSt15iterator_traitsISY_E10value_typeET2_T3_PNSZ_IS14_E10value_typeET4_jRbjT5_S1A_jjP12ihipStream_tbEUljE_EEESV_SW_SX_S14_S18_S1A_T6_T7_T9_mT8_S1C_bDpT10_ENKUlT_T0_E_clISt17integral_constantIbLb1EES1P_EEDaS1K_S1L_EUlS1K_E_NS1_11comp_targetILNS1_3genE5ELNS1_11target_archE942ELNS1_3gpuE9ELNS1_3repE0EEENS1_30default_config_static_selectorELNS0_4arch9wavefront6targetE0EEEvSY_,comdat
	.globl	_ZN7rocprim17ROCPRIM_400000_NS6detail17trampoline_kernelINS0_13select_configILj256ELj13ELNS0_17block_load_methodE3ELS4_3ELS4_3ELNS0_20block_scan_algorithmE0ELj4294967295EEENS1_25partition_config_selectorILNS1_17partition_subalgoE3EjNS0_10empty_typeEbEEZZNS1_14partition_implILS8_3ELb0ES6_jNS0_17counting_iteratorIjlEEPS9_SE_NS0_5tupleIJPjSE_EEENSF_IJSE_SE_EEES9_SG_JZNS1_25segmented_radix_sort_implINS0_14default_configELb1EPKaPaPKlPlN2at6native12_GLOBAL__N_18offset_tEEE10hipError_tPvRmT1_PNSt15iterator_traitsISY_E10value_typeET2_T3_PNSZ_IS14_E10value_typeET4_jRbjT5_S1A_jjP12ihipStream_tbEUljE_EEESV_SW_SX_S14_S18_S1A_T6_T7_T9_mT8_S1C_bDpT10_ENKUlT_T0_E_clISt17integral_constantIbLb1EES1P_EEDaS1K_S1L_EUlS1K_E_NS1_11comp_targetILNS1_3genE5ELNS1_11target_archE942ELNS1_3gpuE9ELNS1_3repE0EEENS1_30default_config_static_selectorELNS0_4arch9wavefront6targetE0EEEvSY_ ; -- Begin function _ZN7rocprim17ROCPRIM_400000_NS6detail17trampoline_kernelINS0_13select_configILj256ELj13ELNS0_17block_load_methodE3ELS4_3ELS4_3ELNS0_20block_scan_algorithmE0ELj4294967295EEENS1_25partition_config_selectorILNS1_17partition_subalgoE3EjNS0_10empty_typeEbEEZZNS1_14partition_implILS8_3ELb0ES6_jNS0_17counting_iteratorIjlEEPS9_SE_NS0_5tupleIJPjSE_EEENSF_IJSE_SE_EEES9_SG_JZNS1_25segmented_radix_sort_implINS0_14default_configELb1EPKaPaPKlPlN2at6native12_GLOBAL__N_18offset_tEEE10hipError_tPvRmT1_PNSt15iterator_traitsISY_E10value_typeET2_T3_PNSZ_IS14_E10value_typeET4_jRbjT5_S1A_jjP12ihipStream_tbEUljE_EEESV_SW_SX_S14_S18_S1A_T6_T7_T9_mT8_S1C_bDpT10_ENKUlT_T0_E_clISt17integral_constantIbLb1EES1P_EEDaS1K_S1L_EUlS1K_E_NS1_11comp_targetILNS1_3genE5ELNS1_11target_archE942ELNS1_3gpuE9ELNS1_3repE0EEENS1_30default_config_static_selectorELNS0_4arch9wavefront6targetE0EEEvSY_
	.p2align	8
	.type	_ZN7rocprim17ROCPRIM_400000_NS6detail17trampoline_kernelINS0_13select_configILj256ELj13ELNS0_17block_load_methodE3ELS4_3ELS4_3ELNS0_20block_scan_algorithmE0ELj4294967295EEENS1_25partition_config_selectorILNS1_17partition_subalgoE3EjNS0_10empty_typeEbEEZZNS1_14partition_implILS8_3ELb0ES6_jNS0_17counting_iteratorIjlEEPS9_SE_NS0_5tupleIJPjSE_EEENSF_IJSE_SE_EEES9_SG_JZNS1_25segmented_radix_sort_implINS0_14default_configELb1EPKaPaPKlPlN2at6native12_GLOBAL__N_18offset_tEEE10hipError_tPvRmT1_PNSt15iterator_traitsISY_E10value_typeET2_T3_PNSZ_IS14_E10value_typeET4_jRbjT5_S1A_jjP12ihipStream_tbEUljE_EEESV_SW_SX_S14_S18_S1A_T6_T7_T9_mT8_S1C_bDpT10_ENKUlT_T0_E_clISt17integral_constantIbLb1EES1P_EEDaS1K_S1L_EUlS1K_E_NS1_11comp_targetILNS1_3genE5ELNS1_11target_archE942ELNS1_3gpuE9ELNS1_3repE0EEENS1_30default_config_static_selectorELNS0_4arch9wavefront6targetE0EEEvSY_,@function
_ZN7rocprim17ROCPRIM_400000_NS6detail17trampoline_kernelINS0_13select_configILj256ELj13ELNS0_17block_load_methodE3ELS4_3ELS4_3ELNS0_20block_scan_algorithmE0ELj4294967295EEENS1_25partition_config_selectorILNS1_17partition_subalgoE3EjNS0_10empty_typeEbEEZZNS1_14partition_implILS8_3ELb0ES6_jNS0_17counting_iteratorIjlEEPS9_SE_NS0_5tupleIJPjSE_EEENSF_IJSE_SE_EEES9_SG_JZNS1_25segmented_radix_sort_implINS0_14default_configELb1EPKaPaPKlPlN2at6native12_GLOBAL__N_18offset_tEEE10hipError_tPvRmT1_PNSt15iterator_traitsISY_E10value_typeET2_T3_PNSZ_IS14_E10value_typeET4_jRbjT5_S1A_jjP12ihipStream_tbEUljE_EEESV_SW_SX_S14_S18_S1A_T6_T7_T9_mT8_S1C_bDpT10_ENKUlT_T0_E_clISt17integral_constantIbLb1EES1P_EEDaS1K_S1L_EUlS1K_E_NS1_11comp_targetILNS1_3genE5ELNS1_11target_archE942ELNS1_3gpuE9ELNS1_3repE0EEENS1_30default_config_static_selectorELNS0_4arch9wavefront6targetE0EEEvSY_: ; @_ZN7rocprim17ROCPRIM_400000_NS6detail17trampoline_kernelINS0_13select_configILj256ELj13ELNS0_17block_load_methodE3ELS4_3ELS4_3ELNS0_20block_scan_algorithmE0ELj4294967295EEENS1_25partition_config_selectorILNS1_17partition_subalgoE3EjNS0_10empty_typeEbEEZZNS1_14partition_implILS8_3ELb0ES6_jNS0_17counting_iteratorIjlEEPS9_SE_NS0_5tupleIJPjSE_EEENSF_IJSE_SE_EEES9_SG_JZNS1_25segmented_radix_sort_implINS0_14default_configELb1EPKaPaPKlPlN2at6native12_GLOBAL__N_18offset_tEEE10hipError_tPvRmT1_PNSt15iterator_traitsISY_E10value_typeET2_T3_PNSZ_IS14_E10value_typeET4_jRbjT5_S1A_jjP12ihipStream_tbEUljE_EEESV_SW_SX_S14_S18_S1A_T6_T7_T9_mT8_S1C_bDpT10_ENKUlT_T0_E_clISt17integral_constantIbLb1EES1P_EEDaS1K_S1L_EUlS1K_E_NS1_11comp_targetILNS1_3genE5ELNS1_11target_archE942ELNS1_3gpuE9ELNS1_3repE0EEENS1_30default_config_static_selectorELNS0_4arch9wavefront6targetE0EEEvSY_
; %bb.0:
	.section	.rodata,"a",@progbits
	.p2align	6, 0x0
	.amdhsa_kernel _ZN7rocprim17ROCPRIM_400000_NS6detail17trampoline_kernelINS0_13select_configILj256ELj13ELNS0_17block_load_methodE3ELS4_3ELS4_3ELNS0_20block_scan_algorithmE0ELj4294967295EEENS1_25partition_config_selectorILNS1_17partition_subalgoE3EjNS0_10empty_typeEbEEZZNS1_14partition_implILS8_3ELb0ES6_jNS0_17counting_iteratorIjlEEPS9_SE_NS0_5tupleIJPjSE_EEENSF_IJSE_SE_EEES9_SG_JZNS1_25segmented_radix_sort_implINS0_14default_configELb1EPKaPaPKlPlN2at6native12_GLOBAL__N_18offset_tEEE10hipError_tPvRmT1_PNSt15iterator_traitsISY_E10value_typeET2_T3_PNSZ_IS14_E10value_typeET4_jRbjT5_S1A_jjP12ihipStream_tbEUljE_EEESV_SW_SX_S14_S18_S1A_T6_T7_T9_mT8_S1C_bDpT10_ENKUlT_T0_E_clISt17integral_constantIbLb1EES1P_EEDaS1K_S1L_EUlS1K_E_NS1_11comp_targetILNS1_3genE5ELNS1_11target_archE942ELNS1_3gpuE9ELNS1_3repE0EEENS1_30default_config_static_selectorELNS0_4arch9wavefront6targetE0EEEvSY_
		.amdhsa_group_segment_fixed_size 0
		.amdhsa_private_segment_fixed_size 0
		.amdhsa_kernarg_size 152
		.amdhsa_user_sgpr_count 2
		.amdhsa_user_sgpr_dispatch_ptr 0
		.amdhsa_user_sgpr_queue_ptr 0
		.amdhsa_user_sgpr_kernarg_segment_ptr 1
		.amdhsa_user_sgpr_dispatch_id 0
		.amdhsa_user_sgpr_kernarg_preload_length 0
		.amdhsa_user_sgpr_kernarg_preload_offset 0
		.amdhsa_user_sgpr_private_segment_size 0
		.amdhsa_wavefront_size32 1
		.amdhsa_uses_dynamic_stack 0
		.amdhsa_enable_private_segment 0
		.amdhsa_system_sgpr_workgroup_id_x 1
		.amdhsa_system_sgpr_workgroup_id_y 0
		.amdhsa_system_sgpr_workgroup_id_z 0
		.amdhsa_system_sgpr_workgroup_info 0
		.amdhsa_system_vgpr_workitem_id 0
		.amdhsa_next_free_vgpr 1
		.amdhsa_next_free_sgpr 1
		.amdhsa_named_barrier_count 0
		.amdhsa_reserve_vcc 0
		.amdhsa_float_round_mode_32 0
		.amdhsa_float_round_mode_16_64 0
		.amdhsa_float_denorm_mode_32 3
		.amdhsa_float_denorm_mode_16_64 3
		.amdhsa_fp16_overflow 0
		.amdhsa_memory_ordered 1
		.amdhsa_forward_progress 1
		.amdhsa_inst_pref_size 0
		.amdhsa_round_robin_scheduling 0
		.amdhsa_exception_fp_ieee_invalid_op 0
		.amdhsa_exception_fp_denorm_src 0
		.amdhsa_exception_fp_ieee_div_zero 0
		.amdhsa_exception_fp_ieee_overflow 0
		.amdhsa_exception_fp_ieee_underflow 0
		.amdhsa_exception_fp_ieee_inexact 0
		.amdhsa_exception_int_div_zero 0
	.end_amdhsa_kernel
	.section	.text._ZN7rocprim17ROCPRIM_400000_NS6detail17trampoline_kernelINS0_13select_configILj256ELj13ELNS0_17block_load_methodE3ELS4_3ELS4_3ELNS0_20block_scan_algorithmE0ELj4294967295EEENS1_25partition_config_selectorILNS1_17partition_subalgoE3EjNS0_10empty_typeEbEEZZNS1_14partition_implILS8_3ELb0ES6_jNS0_17counting_iteratorIjlEEPS9_SE_NS0_5tupleIJPjSE_EEENSF_IJSE_SE_EEES9_SG_JZNS1_25segmented_radix_sort_implINS0_14default_configELb1EPKaPaPKlPlN2at6native12_GLOBAL__N_18offset_tEEE10hipError_tPvRmT1_PNSt15iterator_traitsISY_E10value_typeET2_T3_PNSZ_IS14_E10value_typeET4_jRbjT5_S1A_jjP12ihipStream_tbEUljE_EEESV_SW_SX_S14_S18_S1A_T6_T7_T9_mT8_S1C_bDpT10_ENKUlT_T0_E_clISt17integral_constantIbLb1EES1P_EEDaS1K_S1L_EUlS1K_E_NS1_11comp_targetILNS1_3genE5ELNS1_11target_archE942ELNS1_3gpuE9ELNS1_3repE0EEENS1_30default_config_static_selectorELNS0_4arch9wavefront6targetE0EEEvSY_,"axG",@progbits,_ZN7rocprim17ROCPRIM_400000_NS6detail17trampoline_kernelINS0_13select_configILj256ELj13ELNS0_17block_load_methodE3ELS4_3ELS4_3ELNS0_20block_scan_algorithmE0ELj4294967295EEENS1_25partition_config_selectorILNS1_17partition_subalgoE3EjNS0_10empty_typeEbEEZZNS1_14partition_implILS8_3ELb0ES6_jNS0_17counting_iteratorIjlEEPS9_SE_NS0_5tupleIJPjSE_EEENSF_IJSE_SE_EEES9_SG_JZNS1_25segmented_radix_sort_implINS0_14default_configELb1EPKaPaPKlPlN2at6native12_GLOBAL__N_18offset_tEEE10hipError_tPvRmT1_PNSt15iterator_traitsISY_E10value_typeET2_T3_PNSZ_IS14_E10value_typeET4_jRbjT5_S1A_jjP12ihipStream_tbEUljE_EEESV_SW_SX_S14_S18_S1A_T6_T7_T9_mT8_S1C_bDpT10_ENKUlT_T0_E_clISt17integral_constantIbLb1EES1P_EEDaS1K_S1L_EUlS1K_E_NS1_11comp_targetILNS1_3genE5ELNS1_11target_archE942ELNS1_3gpuE9ELNS1_3repE0EEENS1_30default_config_static_selectorELNS0_4arch9wavefront6targetE0EEEvSY_,comdat
.Lfunc_end265:
	.size	_ZN7rocprim17ROCPRIM_400000_NS6detail17trampoline_kernelINS0_13select_configILj256ELj13ELNS0_17block_load_methodE3ELS4_3ELS4_3ELNS0_20block_scan_algorithmE0ELj4294967295EEENS1_25partition_config_selectorILNS1_17partition_subalgoE3EjNS0_10empty_typeEbEEZZNS1_14partition_implILS8_3ELb0ES6_jNS0_17counting_iteratorIjlEEPS9_SE_NS0_5tupleIJPjSE_EEENSF_IJSE_SE_EEES9_SG_JZNS1_25segmented_radix_sort_implINS0_14default_configELb1EPKaPaPKlPlN2at6native12_GLOBAL__N_18offset_tEEE10hipError_tPvRmT1_PNSt15iterator_traitsISY_E10value_typeET2_T3_PNSZ_IS14_E10value_typeET4_jRbjT5_S1A_jjP12ihipStream_tbEUljE_EEESV_SW_SX_S14_S18_S1A_T6_T7_T9_mT8_S1C_bDpT10_ENKUlT_T0_E_clISt17integral_constantIbLb1EES1P_EEDaS1K_S1L_EUlS1K_E_NS1_11comp_targetILNS1_3genE5ELNS1_11target_archE942ELNS1_3gpuE9ELNS1_3repE0EEENS1_30default_config_static_selectorELNS0_4arch9wavefront6targetE0EEEvSY_, .Lfunc_end265-_ZN7rocprim17ROCPRIM_400000_NS6detail17trampoline_kernelINS0_13select_configILj256ELj13ELNS0_17block_load_methodE3ELS4_3ELS4_3ELNS0_20block_scan_algorithmE0ELj4294967295EEENS1_25partition_config_selectorILNS1_17partition_subalgoE3EjNS0_10empty_typeEbEEZZNS1_14partition_implILS8_3ELb0ES6_jNS0_17counting_iteratorIjlEEPS9_SE_NS0_5tupleIJPjSE_EEENSF_IJSE_SE_EEES9_SG_JZNS1_25segmented_radix_sort_implINS0_14default_configELb1EPKaPaPKlPlN2at6native12_GLOBAL__N_18offset_tEEE10hipError_tPvRmT1_PNSt15iterator_traitsISY_E10value_typeET2_T3_PNSZ_IS14_E10value_typeET4_jRbjT5_S1A_jjP12ihipStream_tbEUljE_EEESV_SW_SX_S14_S18_S1A_T6_T7_T9_mT8_S1C_bDpT10_ENKUlT_T0_E_clISt17integral_constantIbLb1EES1P_EEDaS1K_S1L_EUlS1K_E_NS1_11comp_targetILNS1_3genE5ELNS1_11target_archE942ELNS1_3gpuE9ELNS1_3repE0EEENS1_30default_config_static_selectorELNS0_4arch9wavefront6targetE0EEEvSY_
                                        ; -- End function
	.set _ZN7rocprim17ROCPRIM_400000_NS6detail17trampoline_kernelINS0_13select_configILj256ELj13ELNS0_17block_load_methodE3ELS4_3ELS4_3ELNS0_20block_scan_algorithmE0ELj4294967295EEENS1_25partition_config_selectorILNS1_17partition_subalgoE3EjNS0_10empty_typeEbEEZZNS1_14partition_implILS8_3ELb0ES6_jNS0_17counting_iteratorIjlEEPS9_SE_NS0_5tupleIJPjSE_EEENSF_IJSE_SE_EEES9_SG_JZNS1_25segmented_radix_sort_implINS0_14default_configELb1EPKaPaPKlPlN2at6native12_GLOBAL__N_18offset_tEEE10hipError_tPvRmT1_PNSt15iterator_traitsISY_E10value_typeET2_T3_PNSZ_IS14_E10value_typeET4_jRbjT5_S1A_jjP12ihipStream_tbEUljE_EEESV_SW_SX_S14_S18_S1A_T6_T7_T9_mT8_S1C_bDpT10_ENKUlT_T0_E_clISt17integral_constantIbLb1EES1P_EEDaS1K_S1L_EUlS1K_E_NS1_11comp_targetILNS1_3genE5ELNS1_11target_archE942ELNS1_3gpuE9ELNS1_3repE0EEENS1_30default_config_static_selectorELNS0_4arch9wavefront6targetE0EEEvSY_.num_vgpr, 0
	.set _ZN7rocprim17ROCPRIM_400000_NS6detail17trampoline_kernelINS0_13select_configILj256ELj13ELNS0_17block_load_methodE3ELS4_3ELS4_3ELNS0_20block_scan_algorithmE0ELj4294967295EEENS1_25partition_config_selectorILNS1_17partition_subalgoE3EjNS0_10empty_typeEbEEZZNS1_14partition_implILS8_3ELb0ES6_jNS0_17counting_iteratorIjlEEPS9_SE_NS0_5tupleIJPjSE_EEENSF_IJSE_SE_EEES9_SG_JZNS1_25segmented_radix_sort_implINS0_14default_configELb1EPKaPaPKlPlN2at6native12_GLOBAL__N_18offset_tEEE10hipError_tPvRmT1_PNSt15iterator_traitsISY_E10value_typeET2_T3_PNSZ_IS14_E10value_typeET4_jRbjT5_S1A_jjP12ihipStream_tbEUljE_EEESV_SW_SX_S14_S18_S1A_T6_T7_T9_mT8_S1C_bDpT10_ENKUlT_T0_E_clISt17integral_constantIbLb1EES1P_EEDaS1K_S1L_EUlS1K_E_NS1_11comp_targetILNS1_3genE5ELNS1_11target_archE942ELNS1_3gpuE9ELNS1_3repE0EEENS1_30default_config_static_selectorELNS0_4arch9wavefront6targetE0EEEvSY_.num_agpr, 0
	.set _ZN7rocprim17ROCPRIM_400000_NS6detail17trampoline_kernelINS0_13select_configILj256ELj13ELNS0_17block_load_methodE3ELS4_3ELS4_3ELNS0_20block_scan_algorithmE0ELj4294967295EEENS1_25partition_config_selectorILNS1_17partition_subalgoE3EjNS0_10empty_typeEbEEZZNS1_14partition_implILS8_3ELb0ES6_jNS0_17counting_iteratorIjlEEPS9_SE_NS0_5tupleIJPjSE_EEENSF_IJSE_SE_EEES9_SG_JZNS1_25segmented_radix_sort_implINS0_14default_configELb1EPKaPaPKlPlN2at6native12_GLOBAL__N_18offset_tEEE10hipError_tPvRmT1_PNSt15iterator_traitsISY_E10value_typeET2_T3_PNSZ_IS14_E10value_typeET4_jRbjT5_S1A_jjP12ihipStream_tbEUljE_EEESV_SW_SX_S14_S18_S1A_T6_T7_T9_mT8_S1C_bDpT10_ENKUlT_T0_E_clISt17integral_constantIbLb1EES1P_EEDaS1K_S1L_EUlS1K_E_NS1_11comp_targetILNS1_3genE5ELNS1_11target_archE942ELNS1_3gpuE9ELNS1_3repE0EEENS1_30default_config_static_selectorELNS0_4arch9wavefront6targetE0EEEvSY_.numbered_sgpr, 0
	.set _ZN7rocprim17ROCPRIM_400000_NS6detail17trampoline_kernelINS0_13select_configILj256ELj13ELNS0_17block_load_methodE3ELS4_3ELS4_3ELNS0_20block_scan_algorithmE0ELj4294967295EEENS1_25partition_config_selectorILNS1_17partition_subalgoE3EjNS0_10empty_typeEbEEZZNS1_14partition_implILS8_3ELb0ES6_jNS0_17counting_iteratorIjlEEPS9_SE_NS0_5tupleIJPjSE_EEENSF_IJSE_SE_EEES9_SG_JZNS1_25segmented_radix_sort_implINS0_14default_configELb1EPKaPaPKlPlN2at6native12_GLOBAL__N_18offset_tEEE10hipError_tPvRmT1_PNSt15iterator_traitsISY_E10value_typeET2_T3_PNSZ_IS14_E10value_typeET4_jRbjT5_S1A_jjP12ihipStream_tbEUljE_EEESV_SW_SX_S14_S18_S1A_T6_T7_T9_mT8_S1C_bDpT10_ENKUlT_T0_E_clISt17integral_constantIbLb1EES1P_EEDaS1K_S1L_EUlS1K_E_NS1_11comp_targetILNS1_3genE5ELNS1_11target_archE942ELNS1_3gpuE9ELNS1_3repE0EEENS1_30default_config_static_selectorELNS0_4arch9wavefront6targetE0EEEvSY_.num_named_barrier, 0
	.set _ZN7rocprim17ROCPRIM_400000_NS6detail17trampoline_kernelINS0_13select_configILj256ELj13ELNS0_17block_load_methodE3ELS4_3ELS4_3ELNS0_20block_scan_algorithmE0ELj4294967295EEENS1_25partition_config_selectorILNS1_17partition_subalgoE3EjNS0_10empty_typeEbEEZZNS1_14partition_implILS8_3ELb0ES6_jNS0_17counting_iteratorIjlEEPS9_SE_NS0_5tupleIJPjSE_EEENSF_IJSE_SE_EEES9_SG_JZNS1_25segmented_radix_sort_implINS0_14default_configELb1EPKaPaPKlPlN2at6native12_GLOBAL__N_18offset_tEEE10hipError_tPvRmT1_PNSt15iterator_traitsISY_E10value_typeET2_T3_PNSZ_IS14_E10value_typeET4_jRbjT5_S1A_jjP12ihipStream_tbEUljE_EEESV_SW_SX_S14_S18_S1A_T6_T7_T9_mT8_S1C_bDpT10_ENKUlT_T0_E_clISt17integral_constantIbLb1EES1P_EEDaS1K_S1L_EUlS1K_E_NS1_11comp_targetILNS1_3genE5ELNS1_11target_archE942ELNS1_3gpuE9ELNS1_3repE0EEENS1_30default_config_static_selectorELNS0_4arch9wavefront6targetE0EEEvSY_.private_seg_size, 0
	.set _ZN7rocprim17ROCPRIM_400000_NS6detail17trampoline_kernelINS0_13select_configILj256ELj13ELNS0_17block_load_methodE3ELS4_3ELS4_3ELNS0_20block_scan_algorithmE0ELj4294967295EEENS1_25partition_config_selectorILNS1_17partition_subalgoE3EjNS0_10empty_typeEbEEZZNS1_14partition_implILS8_3ELb0ES6_jNS0_17counting_iteratorIjlEEPS9_SE_NS0_5tupleIJPjSE_EEENSF_IJSE_SE_EEES9_SG_JZNS1_25segmented_radix_sort_implINS0_14default_configELb1EPKaPaPKlPlN2at6native12_GLOBAL__N_18offset_tEEE10hipError_tPvRmT1_PNSt15iterator_traitsISY_E10value_typeET2_T3_PNSZ_IS14_E10value_typeET4_jRbjT5_S1A_jjP12ihipStream_tbEUljE_EEESV_SW_SX_S14_S18_S1A_T6_T7_T9_mT8_S1C_bDpT10_ENKUlT_T0_E_clISt17integral_constantIbLb1EES1P_EEDaS1K_S1L_EUlS1K_E_NS1_11comp_targetILNS1_3genE5ELNS1_11target_archE942ELNS1_3gpuE9ELNS1_3repE0EEENS1_30default_config_static_selectorELNS0_4arch9wavefront6targetE0EEEvSY_.uses_vcc, 0
	.set _ZN7rocprim17ROCPRIM_400000_NS6detail17trampoline_kernelINS0_13select_configILj256ELj13ELNS0_17block_load_methodE3ELS4_3ELS4_3ELNS0_20block_scan_algorithmE0ELj4294967295EEENS1_25partition_config_selectorILNS1_17partition_subalgoE3EjNS0_10empty_typeEbEEZZNS1_14partition_implILS8_3ELb0ES6_jNS0_17counting_iteratorIjlEEPS9_SE_NS0_5tupleIJPjSE_EEENSF_IJSE_SE_EEES9_SG_JZNS1_25segmented_radix_sort_implINS0_14default_configELb1EPKaPaPKlPlN2at6native12_GLOBAL__N_18offset_tEEE10hipError_tPvRmT1_PNSt15iterator_traitsISY_E10value_typeET2_T3_PNSZ_IS14_E10value_typeET4_jRbjT5_S1A_jjP12ihipStream_tbEUljE_EEESV_SW_SX_S14_S18_S1A_T6_T7_T9_mT8_S1C_bDpT10_ENKUlT_T0_E_clISt17integral_constantIbLb1EES1P_EEDaS1K_S1L_EUlS1K_E_NS1_11comp_targetILNS1_3genE5ELNS1_11target_archE942ELNS1_3gpuE9ELNS1_3repE0EEENS1_30default_config_static_selectorELNS0_4arch9wavefront6targetE0EEEvSY_.uses_flat_scratch, 0
	.set _ZN7rocprim17ROCPRIM_400000_NS6detail17trampoline_kernelINS0_13select_configILj256ELj13ELNS0_17block_load_methodE3ELS4_3ELS4_3ELNS0_20block_scan_algorithmE0ELj4294967295EEENS1_25partition_config_selectorILNS1_17partition_subalgoE3EjNS0_10empty_typeEbEEZZNS1_14partition_implILS8_3ELb0ES6_jNS0_17counting_iteratorIjlEEPS9_SE_NS0_5tupleIJPjSE_EEENSF_IJSE_SE_EEES9_SG_JZNS1_25segmented_radix_sort_implINS0_14default_configELb1EPKaPaPKlPlN2at6native12_GLOBAL__N_18offset_tEEE10hipError_tPvRmT1_PNSt15iterator_traitsISY_E10value_typeET2_T3_PNSZ_IS14_E10value_typeET4_jRbjT5_S1A_jjP12ihipStream_tbEUljE_EEESV_SW_SX_S14_S18_S1A_T6_T7_T9_mT8_S1C_bDpT10_ENKUlT_T0_E_clISt17integral_constantIbLb1EES1P_EEDaS1K_S1L_EUlS1K_E_NS1_11comp_targetILNS1_3genE5ELNS1_11target_archE942ELNS1_3gpuE9ELNS1_3repE0EEENS1_30default_config_static_selectorELNS0_4arch9wavefront6targetE0EEEvSY_.has_dyn_sized_stack, 0
	.set _ZN7rocprim17ROCPRIM_400000_NS6detail17trampoline_kernelINS0_13select_configILj256ELj13ELNS0_17block_load_methodE3ELS4_3ELS4_3ELNS0_20block_scan_algorithmE0ELj4294967295EEENS1_25partition_config_selectorILNS1_17partition_subalgoE3EjNS0_10empty_typeEbEEZZNS1_14partition_implILS8_3ELb0ES6_jNS0_17counting_iteratorIjlEEPS9_SE_NS0_5tupleIJPjSE_EEENSF_IJSE_SE_EEES9_SG_JZNS1_25segmented_radix_sort_implINS0_14default_configELb1EPKaPaPKlPlN2at6native12_GLOBAL__N_18offset_tEEE10hipError_tPvRmT1_PNSt15iterator_traitsISY_E10value_typeET2_T3_PNSZ_IS14_E10value_typeET4_jRbjT5_S1A_jjP12ihipStream_tbEUljE_EEESV_SW_SX_S14_S18_S1A_T6_T7_T9_mT8_S1C_bDpT10_ENKUlT_T0_E_clISt17integral_constantIbLb1EES1P_EEDaS1K_S1L_EUlS1K_E_NS1_11comp_targetILNS1_3genE5ELNS1_11target_archE942ELNS1_3gpuE9ELNS1_3repE0EEENS1_30default_config_static_selectorELNS0_4arch9wavefront6targetE0EEEvSY_.has_recursion, 0
	.set _ZN7rocprim17ROCPRIM_400000_NS6detail17trampoline_kernelINS0_13select_configILj256ELj13ELNS0_17block_load_methodE3ELS4_3ELS4_3ELNS0_20block_scan_algorithmE0ELj4294967295EEENS1_25partition_config_selectorILNS1_17partition_subalgoE3EjNS0_10empty_typeEbEEZZNS1_14partition_implILS8_3ELb0ES6_jNS0_17counting_iteratorIjlEEPS9_SE_NS0_5tupleIJPjSE_EEENSF_IJSE_SE_EEES9_SG_JZNS1_25segmented_radix_sort_implINS0_14default_configELb1EPKaPaPKlPlN2at6native12_GLOBAL__N_18offset_tEEE10hipError_tPvRmT1_PNSt15iterator_traitsISY_E10value_typeET2_T3_PNSZ_IS14_E10value_typeET4_jRbjT5_S1A_jjP12ihipStream_tbEUljE_EEESV_SW_SX_S14_S18_S1A_T6_T7_T9_mT8_S1C_bDpT10_ENKUlT_T0_E_clISt17integral_constantIbLb1EES1P_EEDaS1K_S1L_EUlS1K_E_NS1_11comp_targetILNS1_3genE5ELNS1_11target_archE942ELNS1_3gpuE9ELNS1_3repE0EEENS1_30default_config_static_selectorELNS0_4arch9wavefront6targetE0EEEvSY_.has_indirect_call, 0
	.section	.AMDGPU.csdata,"",@progbits
; Kernel info:
; codeLenInByte = 0
; TotalNumSgprs: 0
; NumVgprs: 0
; ScratchSize: 0
; MemoryBound: 0
; FloatMode: 240
; IeeeMode: 1
; LDSByteSize: 0 bytes/workgroup (compile time only)
; SGPRBlocks: 0
; VGPRBlocks: 0
; NumSGPRsForWavesPerEU: 1
; NumVGPRsForWavesPerEU: 1
; NamedBarCnt: 0
; Occupancy: 16
; WaveLimiterHint : 0
; COMPUTE_PGM_RSRC2:SCRATCH_EN: 0
; COMPUTE_PGM_RSRC2:USER_SGPR: 2
; COMPUTE_PGM_RSRC2:TRAP_HANDLER: 0
; COMPUTE_PGM_RSRC2:TGID_X_EN: 1
; COMPUTE_PGM_RSRC2:TGID_Y_EN: 0
; COMPUTE_PGM_RSRC2:TGID_Z_EN: 0
; COMPUTE_PGM_RSRC2:TIDIG_COMP_CNT: 0
	.section	.text._ZN7rocprim17ROCPRIM_400000_NS6detail17trampoline_kernelINS0_13select_configILj256ELj13ELNS0_17block_load_methodE3ELS4_3ELS4_3ELNS0_20block_scan_algorithmE0ELj4294967295EEENS1_25partition_config_selectorILNS1_17partition_subalgoE3EjNS0_10empty_typeEbEEZZNS1_14partition_implILS8_3ELb0ES6_jNS0_17counting_iteratorIjlEEPS9_SE_NS0_5tupleIJPjSE_EEENSF_IJSE_SE_EEES9_SG_JZNS1_25segmented_radix_sort_implINS0_14default_configELb1EPKaPaPKlPlN2at6native12_GLOBAL__N_18offset_tEEE10hipError_tPvRmT1_PNSt15iterator_traitsISY_E10value_typeET2_T3_PNSZ_IS14_E10value_typeET4_jRbjT5_S1A_jjP12ihipStream_tbEUljE_EEESV_SW_SX_S14_S18_S1A_T6_T7_T9_mT8_S1C_bDpT10_ENKUlT_T0_E_clISt17integral_constantIbLb1EES1P_EEDaS1K_S1L_EUlS1K_E_NS1_11comp_targetILNS1_3genE4ELNS1_11target_archE910ELNS1_3gpuE8ELNS1_3repE0EEENS1_30default_config_static_selectorELNS0_4arch9wavefront6targetE0EEEvSY_,"axG",@progbits,_ZN7rocprim17ROCPRIM_400000_NS6detail17trampoline_kernelINS0_13select_configILj256ELj13ELNS0_17block_load_methodE3ELS4_3ELS4_3ELNS0_20block_scan_algorithmE0ELj4294967295EEENS1_25partition_config_selectorILNS1_17partition_subalgoE3EjNS0_10empty_typeEbEEZZNS1_14partition_implILS8_3ELb0ES6_jNS0_17counting_iteratorIjlEEPS9_SE_NS0_5tupleIJPjSE_EEENSF_IJSE_SE_EEES9_SG_JZNS1_25segmented_radix_sort_implINS0_14default_configELb1EPKaPaPKlPlN2at6native12_GLOBAL__N_18offset_tEEE10hipError_tPvRmT1_PNSt15iterator_traitsISY_E10value_typeET2_T3_PNSZ_IS14_E10value_typeET4_jRbjT5_S1A_jjP12ihipStream_tbEUljE_EEESV_SW_SX_S14_S18_S1A_T6_T7_T9_mT8_S1C_bDpT10_ENKUlT_T0_E_clISt17integral_constantIbLb1EES1P_EEDaS1K_S1L_EUlS1K_E_NS1_11comp_targetILNS1_3genE4ELNS1_11target_archE910ELNS1_3gpuE8ELNS1_3repE0EEENS1_30default_config_static_selectorELNS0_4arch9wavefront6targetE0EEEvSY_,comdat
	.globl	_ZN7rocprim17ROCPRIM_400000_NS6detail17trampoline_kernelINS0_13select_configILj256ELj13ELNS0_17block_load_methodE3ELS4_3ELS4_3ELNS0_20block_scan_algorithmE0ELj4294967295EEENS1_25partition_config_selectorILNS1_17partition_subalgoE3EjNS0_10empty_typeEbEEZZNS1_14partition_implILS8_3ELb0ES6_jNS0_17counting_iteratorIjlEEPS9_SE_NS0_5tupleIJPjSE_EEENSF_IJSE_SE_EEES9_SG_JZNS1_25segmented_radix_sort_implINS0_14default_configELb1EPKaPaPKlPlN2at6native12_GLOBAL__N_18offset_tEEE10hipError_tPvRmT1_PNSt15iterator_traitsISY_E10value_typeET2_T3_PNSZ_IS14_E10value_typeET4_jRbjT5_S1A_jjP12ihipStream_tbEUljE_EEESV_SW_SX_S14_S18_S1A_T6_T7_T9_mT8_S1C_bDpT10_ENKUlT_T0_E_clISt17integral_constantIbLb1EES1P_EEDaS1K_S1L_EUlS1K_E_NS1_11comp_targetILNS1_3genE4ELNS1_11target_archE910ELNS1_3gpuE8ELNS1_3repE0EEENS1_30default_config_static_selectorELNS0_4arch9wavefront6targetE0EEEvSY_ ; -- Begin function _ZN7rocprim17ROCPRIM_400000_NS6detail17trampoline_kernelINS0_13select_configILj256ELj13ELNS0_17block_load_methodE3ELS4_3ELS4_3ELNS0_20block_scan_algorithmE0ELj4294967295EEENS1_25partition_config_selectorILNS1_17partition_subalgoE3EjNS0_10empty_typeEbEEZZNS1_14partition_implILS8_3ELb0ES6_jNS0_17counting_iteratorIjlEEPS9_SE_NS0_5tupleIJPjSE_EEENSF_IJSE_SE_EEES9_SG_JZNS1_25segmented_radix_sort_implINS0_14default_configELb1EPKaPaPKlPlN2at6native12_GLOBAL__N_18offset_tEEE10hipError_tPvRmT1_PNSt15iterator_traitsISY_E10value_typeET2_T3_PNSZ_IS14_E10value_typeET4_jRbjT5_S1A_jjP12ihipStream_tbEUljE_EEESV_SW_SX_S14_S18_S1A_T6_T7_T9_mT8_S1C_bDpT10_ENKUlT_T0_E_clISt17integral_constantIbLb1EES1P_EEDaS1K_S1L_EUlS1K_E_NS1_11comp_targetILNS1_3genE4ELNS1_11target_archE910ELNS1_3gpuE8ELNS1_3repE0EEENS1_30default_config_static_selectorELNS0_4arch9wavefront6targetE0EEEvSY_
	.p2align	8
	.type	_ZN7rocprim17ROCPRIM_400000_NS6detail17trampoline_kernelINS0_13select_configILj256ELj13ELNS0_17block_load_methodE3ELS4_3ELS4_3ELNS0_20block_scan_algorithmE0ELj4294967295EEENS1_25partition_config_selectorILNS1_17partition_subalgoE3EjNS0_10empty_typeEbEEZZNS1_14partition_implILS8_3ELb0ES6_jNS0_17counting_iteratorIjlEEPS9_SE_NS0_5tupleIJPjSE_EEENSF_IJSE_SE_EEES9_SG_JZNS1_25segmented_radix_sort_implINS0_14default_configELb1EPKaPaPKlPlN2at6native12_GLOBAL__N_18offset_tEEE10hipError_tPvRmT1_PNSt15iterator_traitsISY_E10value_typeET2_T3_PNSZ_IS14_E10value_typeET4_jRbjT5_S1A_jjP12ihipStream_tbEUljE_EEESV_SW_SX_S14_S18_S1A_T6_T7_T9_mT8_S1C_bDpT10_ENKUlT_T0_E_clISt17integral_constantIbLb1EES1P_EEDaS1K_S1L_EUlS1K_E_NS1_11comp_targetILNS1_3genE4ELNS1_11target_archE910ELNS1_3gpuE8ELNS1_3repE0EEENS1_30default_config_static_selectorELNS0_4arch9wavefront6targetE0EEEvSY_,@function
_ZN7rocprim17ROCPRIM_400000_NS6detail17trampoline_kernelINS0_13select_configILj256ELj13ELNS0_17block_load_methodE3ELS4_3ELS4_3ELNS0_20block_scan_algorithmE0ELj4294967295EEENS1_25partition_config_selectorILNS1_17partition_subalgoE3EjNS0_10empty_typeEbEEZZNS1_14partition_implILS8_3ELb0ES6_jNS0_17counting_iteratorIjlEEPS9_SE_NS0_5tupleIJPjSE_EEENSF_IJSE_SE_EEES9_SG_JZNS1_25segmented_radix_sort_implINS0_14default_configELb1EPKaPaPKlPlN2at6native12_GLOBAL__N_18offset_tEEE10hipError_tPvRmT1_PNSt15iterator_traitsISY_E10value_typeET2_T3_PNSZ_IS14_E10value_typeET4_jRbjT5_S1A_jjP12ihipStream_tbEUljE_EEESV_SW_SX_S14_S18_S1A_T6_T7_T9_mT8_S1C_bDpT10_ENKUlT_T0_E_clISt17integral_constantIbLb1EES1P_EEDaS1K_S1L_EUlS1K_E_NS1_11comp_targetILNS1_3genE4ELNS1_11target_archE910ELNS1_3gpuE8ELNS1_3repE0EEENS1_30default_config_static_selectorELNS0_4arch9wavefront6targetE0EEEvSY_: ; @_ZN7rocprim17ROCPRIM_400000_NS6detail17trampoline_kernelINS0_13select_configILj256ELj13ELNS0_17block_load_methodE3ELS4_3ELS4_3ELNS0_20block_scan_algorithmE0ELj4294967295EEENS1_25partition_config_selectorILNS1_17partition_subalgoE3EjNS0_10empty_typeEbEEZZNS1_14partition_implILS8_3ELb0ES6_jNS0_17counting_iteratorIjlEEPS9_SE_NS0_5tupleIJPjSE_EEENSF_IJSE_SE_EEES9_SG_JZNS1_25segmented_radix_sort_implINS0_14default_configELb1EPKaPaPKlPlN2at6native12_GLOBAL__N_18offset_tEEE10hipError_tPvRmT1_PNSt15iterator_traitsISY_E10value_typeET2_T3_PNSZ_IS14_E10value_typeET4_jRbjT5_S1A_jjP12ihipStream_tbEUljE_EEESV_SW_SX_S14_S18_S1A_T6_T7_T9_mT8_S1C_bDpT10_ENKUlT_T0_E_clISt17integral_constantIbLb1EES1P_EEDaS1K_S1L_EUlS1K_E_NS1_11comp_targetILNS1_3genE4ELNS1_11target_archE910ELNS1_3gpuE8ELNS1_3repE0EEENS1_30default_config_static_selectorELNS0_4arch9wavefront6targetE0EEEvSY_
; %bb.0:
	.section	.rodata,"a",@progbits
	.p2align	6, 0x0
	.amdhsa_kernel _ZN7rocprim17ROCPRIM_400000_NS6detail17trampoline_kernelINS0_13select_configILj256ELj13ELNS0_17block_load_methodE3ELS4_3ELS4_3ELNS0_20block_scan_algorithmE0ELj4294967295EEENS1_25partition_config_selectorILNS1_17partition_subalgoE3EjNS0_10empty_typeEbEEZZNS1_14partition_implILS8_3ELb0ES6_jNS0_17counting_iteratorIjlEEPS9_SE_NS0_5tupleIJPjSE_EEENSF_IJSE_SE_EEES9_SG_JZNS1_25segmented_radix_sort_implINS0_14default_configELb1EPKaPaPKlPlN2at6native12_GLOBAL__N_18offset_tEEE10hipError_tPvRmT1_PNSt15iterator_traitsISY_E10value_typeET2_T3_PNSZ_IS14_E10value_typeET4_jRbjT5_S1A_jjP12ihipStream_tbEUljE_EEESV_SW_SX_S14_S18_S1A_T6_T7_T9_mT8_S1C_bDpT10_ENKUlT_T0_E_clISt17integral_constantIbLb1EES1P_EEDaS1K_S1L_EUlS1K_E_NS1_11comp_targetILNS1_3genE4ELNS1_11target_archE910ELNS1_3gpuE8ELNS1_3repE0EEENS1_30default_config_static_selectorELNS0_4arch9wavefront6targetE0EEEvSY_
		.amdhsa_group_segment_fixed_size 0
		.amdhsa_private_segment_fixed_size 0
		.amdhsa_kernarg_size 152
		.amdhsa_user_sgpr_count 2
		.amdhsa_user_sgpr_dispatch_ptr 0
		.amdhsa_user_sgpr_queue_ptr 0
		.amdhsa_user_sgpr_kernarg_segment_ptr 1
		.amdhsa_user_sgpr_dispatch_id 0
		.amdhsa_user_sgpr_kernarg_preload_length 0
		.amdhsa_user_sgpr_kernarg_preload_offset 0
		.amdhsa_user_sgpr_private_segment_size 0
		.amdhsa_wavefront_size32 1
		.amdhsa_uses_dynamic_stack 0
		.amdhsa_enable_private_segment 0
		.amdhsa_system_sgpr_workgroup_id_x 1
		.amdhsa_system_sgpr_workgroup_id_y 0
		.amdhsa_system_sgpr_workgroup_id_z 0
		.amdhsa_system_sgpr_workgroup_info 0
		.amdhsa_system_vgpr_workitem_id 0
		.amdhsa_next_free_vgpr 1
		.amdhsa_next_free_sgpr 1
		.amdhsa_named_barrier_count 0
		.amdhsa_reserve_vcc 0
		.amdhsa_float_round_mode_32 0
		.amdhsa_float_round_mode_16_64 0
		.amdhsa_float_denorm_mode_32 3
		.amdhsa_float_denorm_mode_16_64 3
		.amdhsa_fp16_overflow 0
		.amdhsa_memory_ordered 1
		.amdhsa_forward_progress 1
		.amdhsa_inst_pref_size 0
		.amdhsa_round_robin_scheduling 0
		.amdhsa_exception_fp_ieee_invalid_op 0
		.amdhsa_exception_fp_denorm_src 0
		.amdhsa_exception_fp_ieee_div_zero 0
		.amdhsa_exception_fp_ieee_overflow 0
		.amdhsa_exception_fp_ieee_underflow 0
		.amdhsa_exception_fp_ieee_inexact 0
		.amdhsa_exception_int_div_zero 0
	.end_amdhsa_kernel
	.section	.text._ZN7rocprim17ROCPRIM_400000_NS6detail17trampoline_kernelINS0_13select_configILj256ELj13ELNS0_17block_load_methodE3ELS4_3ELS4_3ELNS0_20block_scan_algorithmE0ELj4294967295EEENS1_25partition_config_selectorILNS1_17partition_subalgoE3EjNS0_10empty_typeEbEEZZNS1_14partition_implILS8_3ELb0ES6_jNS0_17counting_iteratorIjlEEPS9_SE_NS0_5tupleIJPjSE_EEENSF_IJSE_SE_EEES9_SG_JZNS1_25segmented_radix_sort_implINS0_14default_configELb1EPKaPaPKlPlN2at6native12_GLOBAL__N_18offset_tEEE10hipError_tPvRmT1_PNSt15iterator_traitsISY_E10value_typeET2_T3_PNSZ_IS14_E10value_typeET4_jRbjT5_S1A_jjP12ihipStream_tbEUljE_EEESV_SW_SX_S14_S18_S1A_T6_T7_T9_mT8_S1C_bDpT10_ENKUlT_T0_E_clISt17integral_constantIbLb1EES1P_EEDaS1K_S1L_EUlS1K_E_NS1_11comp_targetILNS1_3genE4ELNS1_11target_archE910ELNS1_3gpuE8ELNS1_3repE0EEENS1_30default_config_static_selectorELNS0_4arch9wavefront6targetE0EEEvSY_,"axG",@progbits,_ZN7rocprim17ROCPRIM_400000_NS6detail17trampoline_kernelINS0_13select_configILj256ELj13ELNS0_17block_load_methodE3ELS4_3ELS4_3ELNS0_20block_scan_algorithmE0ELj4294967295EEENS1_25partition_config_selectorILNS1_17partition_subalgoE3EjNS0_10empty_typeEbEEZZNS1_14partition_implILS8_3ELb0ES6_jNS0_17counting_iteratorIjlEEPS9_SE_NS0_5tupleIJPjSE_EEENSF_IJSE_SE_EEES9_SG_JZNS1_25segmented_radix_sort_implINS0_14default_configELb1EPKaPaPKlPlN2at6native12_GLOBAL__N_18offset_tEEE10hipError_tPvRmT1_PNSt15iterator_traitsISY_E10value_typeET2_T3_PNSZ_IS14_E10value_typeET4_jRbjT5_S1A_jjP12ihipStream_tbEUljE_EEESV_SW_SX_S14_S18_S1A_T6_T7_T9_mT8_S1C_bDpT10_ENKUlT_T0_E_clISt17integral_constantIbLb1EES1P_EEDaS1K_S1L_EUlS1K_E_NS1_11comp_targetILNS1_3genE4ELNS1_11target_archE910ELNS1_3gpuE8ELNS1_3repE0EEENS1_30default_config_static_selectorELNS0_4arch9wavefront6targetE0EEEvSY_,comdat
.Lfunc_end266:
	.size	_ZN7rocprim17ROCPRIM_400000_NS6detail17trampoline_kernelINS0_13select_configILj256ELj13ELNS0_17block_load_methodE3ELS4_3ELS4_3ELNS0_20block_scan_algorithmE0ELj4294967295EEENS1_25partition_config_selectorILNS1_17partition_subalgoE3EjNS0_10empty_typeEbEEZZNS1_14partition_implILS8_3ELb0ES6_jNS0_17counting_iteratorIjlEEPS9_SE_NS0_5tupleIJPjSE_EEENSF_IJSE_SE_EEES9_SG_JZNS1_25segmented_radix_sort_implINS0_14default_configELb1EPKaPaPKlPlN2at6native12_GLOBAL__N_18offset_tEEE10hipError_tPvRmT1_PNSt15iterator_traitsISY_E10value_typeET2_T3_PNSZ_IS14_E10value_typeET4_jRbjT5_S1A_jjP12ihipStream_tbEUljE_EEESV_SW_SX_S14_S18_S1A_T6_T7_T9_mT8_S1C_bDpT10_ENKUlT_T0_E_clISt17integral_constantIbLb1EES1P_EEDaS1K_S1L_EUlS1K_E_NS1_11comp_targetILNS1_3genE4ELNS1_11target_archE910ELNS1_3gpuE8ELNS1_3repE0EEENS1_30default_config_static_selectorELNS0_4arch9wavefront6targetE0EEEvSY_, .Lfunc_end266-_ZN7rocprim17ROCPRIM_400000_NS6detail17trampoline_kernelINS0_13select_configILj256ELj13ELNS0_17block_load_methodE3ELS4_3ELS4_3ELNS0_20block_scan_algorithmE0ELj4294967295EEENS1_25partition_config_selectorILNS1_17partition_subalgoE3EjNS0_10empty_typeEbEEZZNS1_14partition_implILS8_3ELb0ES6_jNS0_17counting_iteratorIjlEEPS9_SE_NS0_5tupleIJPjSE_EEENSF_IJSE_SE_EEES9_SG_JZNS1_25segmented_radix_sort_implINS0_14default_configELb1EPKaPaPKlPlN2at6native12_GLOBAL__N_18offset_tEEE10hipError_tPvRmT1_PNSt15iterator_traitsISY_E10value_typeET2_T3_PNSZ_IS14_E10value_typeET4_jRbjT5_S1A_jjP12ihipStream_tbEUljE_EEESV_SW_SX_S14_S18_S1A_T6_T7_T9_mT8_S1C_bDpT10_ENKUlT_T0_E_clISt17integral_constantIbLb1EES1P_EEDaS1K_S1L_EUlS1K_E_NS1_11comp_targetILNS1_3genE4ELNS1_11target_archE910ELNS1_3gpuE8ELNS1_3repE0EEENS1_30default_config_static_selectorELNS0_4arch9wavefront6targetE0EEEvSY_
                                        ; -- End function
	.set _ZN7rocprim17ROCPRIM_400000_NS6detail17trampoline_kernelINS0_13select_configILj256ELj13ELNS0_17block_load_methodE3ELS4_3ELS4_3ELNS0_20block_scan_algorithmE0ELj4294967295EEENS1_25partition_config_selectorILNS1_17partition_subalgoE3EjNS0_10empty_typeEbEEZZNS1_14partition_implILS8_3ELb0ES6_jNS0_17counting_iteratorIjlEEPS9_SE_NS0_5tupleIJPjSE_EEENSF_IJSE_SE_EEES9_SG_JZNS1_25segmented_radix_sort_implINS0_14default_configELb1EPKaPaPKlPlN2at6native12_GLOBAL__N_18offset_tEEE10hipError_tPvRmT1_PNSt15iterator_traitsISY_E10value_typeET2_T3_PNSZ_IS14_E10value_typeET4_jRbjT5_S1A_jjP12ihipStream_tbEUljE_EEESV_SW_SX_S14_S18_S1A_T6_T7_T9_mT8_S1C_bDpT10_ENKUlT_T0_E_clISt17integral_constantIbLb1EES1P_EEDaS1K_S1L_EUlS1K_E_NS1_11comp_targetILNS1_3genE4ELNS1_11target_archE910ELNS1_3gpuE8ELNS1_3repE0EEENS1_30default_config_static_selectorELNS0_4arch9wavefront6targetE0EEEvSY_.num_vgpr, 0
	.set _ZN7rocprim17ROCPRIM_400000_NS6detail17trampoline_kernelINS0_13select_configILj256ELj13ELNS0_17block_load_methodE3ELS4_3ELS4_3ELNS0_20block_scan_algorithmE0ELj4294967295EEENS1_25partition_config_selectorILNS1_17partition_subalgoE3EjNS0_10empty_typeEbEEZZNS1_14partition_implILS8_3ELb0ES6_jNS0_17counting_iteratorIjlEEPS9_SE_NS0_5tupleIJPjSE_EEENSF_IJSE_SE_EEES9_SG_JZNS1_25segmented_radix_sort_implINS0_14default_configELb1EPKaPaPKlPlN2at6native12_GLOBAL__N_18offset_tEEE10hipError_tPvRmT1_PNSt15iterator_traitsISY_E10value_typeET2_T3_PNSZ_IS14_E10value_typeET4_jRbjT5_S1A_jjP12ihipStream_tbEUljE_EEESV_SW_SX_S14_S18_S1A_T6_T7_T9_mT8_S1C_bDpT10_ENKUlT_T0_E_clISt17integral_constantIbLb1EES1P_EEDaS1K_S1L_EUlS1K_E_NS1_11comp_targetILNS1_3genE4ELNS1_11target_archE910ELNS1_3gpuE8ELNS1_3repE0EEENS1_30default_config_static_selectorELNS0_4arch9wavefront6targetE0EEEvSY_.num_agpr, 0
	.set _ZN7rocprim17ROCPRIM_400000_NS6detail17trampoline_kernelINS0_13select_configILj256ELj13ELNS0_17block_load_methodE3ELS4_3ELS4_3ELNS0_20block_scan_algorithmE0ELj4294967295EEENS1_25partition_config_selectorILNS1_17partition_subalgoE3EjNS0_10empty_typeEbEEZZNS1_14partition_implILS8_3ELb0ES6_jNS0_17counting_iteratorIjlEEPS9_SE_NS0_5tupleIJPjSE_EEENSF_IJSE_SE_EEES9_SG_JZNS1_25segmented_radix_sort_implINS0_14default_configELb1EPKaPaPKlPlN2at6native12_GLOBAL__N_18offset_tEEE10hipError_tPvRmT1_PNSt15iterator_traitsISY_E10value_typeET2_T3_PNSZ_IS14_E10value_typeET4_jRbjT5_S1A_jjP12ihipStream_tbEUljE_EEESV_SW_SX_S14_S18_S1A_T6_T7_T9_mT8_S1C_bDpT10_ENKUlT_T0_E_clISt17integral_constantIbLb1EES1P_EEDaS1K_S1L_EUlS1K_E_NS1_11comp_targetILNS1_3genE4ELNS1_11target_archE910ELNS1_3gpuE8ELNS1_3repE0EEENS1_30default_config_static_selectorELNS0_4arch9wavefront6targetE0EEEvSY_.numbered_sgpr, 0
	.set _ZN7rocprim17ROCPRIM_400000_NS6detail17trampoline_kernelINS0_13select_configILj256ELj13ELNS0_17block_load_methodE3ELS4_3ELS4_3ELNS0_20block_scan_algorithmE0ELj4294967295EEENS1_25partition_config_selectorILNS1_17partition_subalgoE3EjNS0_10empty_typeEbEEZZNS1_14partition_implILS8_3ELb0ES6_jNS0_17counting_iteratorIjlEEPS9_SE_NS0_5tupleIJPjSE_EEENSF_IJSE_SE_EEES9_SG_JZNS1_25segmented_radix_sort_implINS0_14default_configELb1EPKaPaPKlPlN2at6native12_GLOBAL__N_18offset_tEEE10hipError_tPvRmT1_PNSt15iterator_traitsISY_E10value_typeET2_T3_PNSZ_IS14_E10value_typeET4_jRbjT5_S1A_jjP12ihipStream_tbEUljE_EEESV_SW_SX_S14_S18_S1A_T6_T7_T9_mT8_S1C_bDpT10_ENKUlT_T0_E_clISt17integral_constantIbLb1EES1P_EEDaS1K_S1L_EUlS1K_E_NS1_11comp_targetILNS1_3genE4ELNS1_11target_archE910ELNS1_3gpuE8ELNS1_3repE0EEENS1_30default_config_static_selectorELNS0_4arch9wavefront6targetE0EEEvSY_.num_named_barrier, 0
	.set _ZN7rocprim17ROCPRIM_400000_NS6detail17trampoline_kernelINS0_13select_configILj256ELj13ELNS0_17block_load_methodE3ELS4_3ELS4_3ELNS0_20block_scan_algorithmE0ELj4294967295EEENS1_25partition_config_selectorILNS1_17partition_subalgoE3EjNS0_10empty_typeEbEEZZNS1_14partition_implILS8_3ELb0ES6_jNS0_17counting_iteratorIjlEEPS9_SE_NS0_5tupleIJPjSE_EEENSF_IJSE_SE_EEES9_SG_JZNS1_25segmented_radix_sort_implINS0_14default_configELb1EPKaPaPKlPlN2at6native12_GLOBAL__N_18offset_tEEE10hipError_tPvRmT1_PNSt15iterator_traitsISY_E10value_typeET2_T3_PNSZ_IS14_E10value_typeET4_jRbjT5_S1A_jjP12ihipStream_tbEUljE_EEESV_SW_SX_S14_S18_S1A_T6_T7_T9_mT8_S1C_bDpT10_ENKUlT_T0_E_clISt17integral_constantIbLb1EES1P_EEDaS1K_S1L_EUlS1K_E_NS1_11comp_targetILNS1_3genE4ELNS1_11target_archE910ELNS1_3gpuE8ELNS1_3repE0EEENS1_30default_config_static_selectorELNS0_4arch9wavefront6targetE0EEEvSY_.private_seg_size, 0
	.set _ZN7rocprim17ROCPRIM_400000_NS6detail17trampoline_kernelINS0_13select_configILj256ELj13ELNS0_17block_load_methodE3ELS4_3ELS4_3ELNS0_20block_scan_algorithmE0ELj4294967295EEENS1_25partition_config_selectorILNS1_17partition_subalgoE3EjNS0_10empty_typeEbEEZZNS1_14partition_implILS8_3ELb0ES6_jNS0_17counting_iteratorIjlEEPS9_SE_NS0_5tupleIJPjSE_EEENSF_IJSE_SE_EEES9_SG_JZNS1_25segmented_radix_sort_implINS0_14default_configELb1EPKaPaPKlPlN2at6native12_GLOBAL__N_18offset_tEEE10hipError_tPvRmT1_PNSt15iterator_traitsISY_E10value_typeET2_T3_PNSZ_IS14_E10value_typeET4_jRbjT5_S1A_jjP12ihipStream_tbEUljE_EEESV_SW_SX_S14_S18_S1A_T6_T7_T9_mT8_S1C_bDpT10_ENKUlT_T0_E_clISt17integral_constantIbLb1EES1P_EEDaS1K_S1L_EUlS1K_E_NS1_11comp_targetILNS1_3genE4ELNS1_11target_archE910ELNS1_3gpuE8ELNS1_3repE0EEENS1_30default_config_static_selectorELNS0_4arch9wavefront6targetE0EEEvSY_.uses_vcc, 0
	.set _ZN7rocprim17ROCPRIM_400000_NS6detail17trampoline_kernelINS0_13select_configILj256ELj13ELNS0_17block_load_methodE3ELS4_3ELS4_3ELNS0_20block_scan_algorithmE0ELj4294967295EEENS1_25partition_config_selectorILNS1_17partition_subalgoE3EjNS0_10empty_typeEbEEZZNS1_14partition_implILS8_3ELb0ES6_jNS0_17counting_iteratorIjlEEPS9_SE_NS0_5tupleIJPjSE_EEENSF_IJSE_SE_EEES9_SG_JZNS1_25segmented_radix_sort_implINS0_14default_configELb1EPKaPaPKlPlN2at6native12_GLOBAL__N_18offset_tEEE10hipError_tPvRmT1_PNSt15iterator_traitsISY_E10value_typeET2_T3_PNSZ_IS14_E10value_typeET4_jRbjT5_S1A_jjP12ihipStream_tbEUljE_EEESV_SW_SX_S14_S18_S1A_T6_T7_T9_mT8_S1C_bDpT10_ENKUlT_T0_E_clISt17integral_constantIbLb1EES1P_EEDaS1K_S1L_EUlS1K_E_NS1_11comp_targetILNS1_3genE4ELNS1_11target_archE910ELNS1_3gpuE8ELNS1_3repE0EEENS1_30default_config_static_selectorELNS0_4arch9wavefront6targetE0EEEvSY_.uses_flat_scratch, 0
	.set _ZN7rocprim17ROCPRIM_400000_NS6detail17trampoline_kernelINS0_13select_configILj256ELj13ELNS0_17block_load_methodE3ELS4_3ELS4_3ELNS0_20block_scan_algorithmE0ELj4294967295EEENS1_25partition_config_selectorILNS1_17partition_subalgoE3EjNS0_10empty_typeEbEEZZNS1_14partition_implILS8_3ELb0ES6_jNS0_17counting_iteratorIjlEEPS9_SE_NS0_5tupleIJPjSE_EEENSF_IJSE_SE_EEES9_SG_JZNS1_25segmented_radix_sort_implINS0_14default_configELb1EPKaPaPKlPlN2at6native12_GLOBAL__N_18offset_tEEE10hipError_tPvRmT1_PNSt15iterator_traitsISY_E10value_typeET2_T3_PNSZ_IS14_E10value_typeET4_jRbjT5_S1A_jjP12ihipStream_tbEUljE_EEESV_SW_SX_S14_S18_S1A_T6_T7_T9_mT8_S1C_bDpT10_ENKUlT_T0_E_clISt17integral_constantIbLb1EES1P_EEDaS1K_S1L_EUlS1K_E_NS1_11comp_targetILNS1_3genE4ELNS1_11target_archE910ELNS1_3gpuE8ELNS1_3repE0EEENS1_30default_config_static_selectorELNS0_4arch9wavefront6targetE0EEEvSY_.has_dyn_sized_stack, 0
	.set _ZN7rocprim17ROCPRIM_400000_NS6detail17trampoline_kernelINS0_13select_configILj256ELj13ELNS0_17block_load_methodE3ELS4_3ELS4_3ELNS0_20block_scan_algorithmE0ELj4294967295EEENS1_25partition_config_selectorILNS1_17partition_subalgoE3EjNS0_10empty_typeEbEEZZNS1_14partition_implILS8_3ELb0ES6_jNS0_17counting_iteratorIjlEEPS9_SE_NS0_5tupleIJPjSE_EEENSF_IJSE_SE_EEES9_SG_JZNS1_25segmented_radix_sort_implINS0_14default_configELb1EPKaPaPKlPlN2at6native12_GLOBAL__N_18offset_tEEE10hipError_tPvRmT1_PNSt15iterator_traitsISY_E10value_typeET2_T3_PNSZ_IS14_E10value_typeET4_jRbjT5_S1A_jjP12ihipStream_tbEUljE_EEESV_SW_SX_S14_S18_S1A_T6_T7_T9_mT8_S1C_bDpT10_ENKUlT_T0_E_clISt17integral_constantIbLb1EES1P_EEDaS1K_S1L_EUlS1K_E_NS1_11comp_targetILNS1_3genE4ELNS1_11target_archE910ELNS1_3gpuE8ELNS1_3repE0EEENS1_30default_config_static_selectorELNS0_4arch9wavefront6targetE0EEEvSY_.has_recursion, 0
	.set _ZN7rocprim17ROCPRIM_400000_NS6detail17trampoline_kernelINS0_13select_configILj256ELj13ELNS0_17block_load_methodE3ELS4_3ELS4_3ELNS0_20block_scan_algorithmE0ELj4294967295EEENS1_25partition_config_selectorILNS1_17partition_subalgoE3EjNS0_10empty_typeEbEEZZNS1_14partition_implILS8_3ELb0ES6_jNS0_17counting_iteratorIjlEEPS9_SE_NS0_5tupleIJPjSE_EEENSF_IJSE_SE_EEES9_SG_JZNS1_25segmented_radix_sort_implINS0_14default_configELb1EPKaPaPKlPlN2at6native12_GLOBAL__N_18offset_tEEE10hipError_tPvRmT1_PNSt15iterator_traitsISY_E10value_typeET2_T3_PNSZ_IS14_E10value_typeET4_jRbjT5_S1A_jjP12ihipStream_tbEUljE_EEESV_SW_SX_S14_S18_S1A_T6_T7_T9_mT8_S1C_bDpT10_ENKUlT_T0_E_clISt17integral_constantIbLb1EES1P_EEDaS1K_S1L_EUlS1K_E_NS1_11comp_targetILNS1_3genE4ELNS1_11target_archE910ELNS1_3gpuE8ELNS1_3repE0EEENS1_30default_config_static_selectorELNS0_4arch9wavefront6targetE0EEEvSY_.has_indirect_call, 0
	.section	.AMDGPU.csdata,"",@progbits
; Kernel info:
; codeLenInByte = 0
; TotalNumSgprs: 0
; NumVgprs: 0
; ScratchSize: 0
; MemoryBound: 0
; FloatMode: 240
; IeeeMode: 1
; LDSByteSize: 0 bytes/workgroup (compile time only)
; SGPRBlocks: 0
; VGPRBlocks: 0
; NumSGPRsForWavesPerEU: 1
; NumVGPRsForWavesPerEU: 1
; NamedBarCnt: 0
; Occupancy: 16
; WaveLimiterHint : 0
; COMPUTE_PGM_RSRC2:SCRATCH_EN: 0
; COMPUTE_PGM_RSRC2:USER_SGPR: 2
; COMPUTE_PGM_RSRC2:TRAP_HANDLER: 0
; COMPUTE_PGM_RSRC2:TGID_X_EN: 1
; COMPUTE_PGM_RSRC2:TGID_Y_EN: 0
; COMPUTE_PGM_RSRC2:TGID_Z_EN: 0
; COMPUTE_PGM_RSRC2:TIDIG_COMP_CNT: 0
	.section	.text._ZN7rocprim17ROCPRIM_400000_NS6detail17trampoline_kernelINS0_13select_configILj256ELj13ELNS0_17block_load_methodE3ELS4_3ELS4_3ELNS0_20block_scan_algorithmE0ELj4294967295EEENS1_25partition_config_selectorILNS1_17partition_subalgoE3EjNS0_10empty_typeEbEEZZNS1_14partition_implILS8_3ELb0ES6_jNS0_17counting_iteratorIjlEEPS9_SE_NS0_5tupleIJPjSE_EEENSF_IJSE_SE_EEES9_SG_JZNS1_25segmented_radix_sort_implINS0_14default_configELb1EPKaPaPKlPlN2at6native12_GLOBAL__N_18offset_tEEE10hipError_tPvRmT1_PNSt15iterator_traitsISY_E10value_typeET2_T3_PNSZ_IS14_E10value_typeET4_jRbjT5_S1A_jjP12ihipStream_tbEUljE_EEESV_SW_SX_S14_S18_S1A_T6_T7_T9_mT8_S1C_bDpT10_ENKUlT_T0_E_clISt17integral_constantIbLb1EES1P_EEDaS1K_S1L_EUlS1K_E_NS1_11comp_targetILNS1_3genE3ELNS1_11target_archE908ELNS1_3gpuE7ELNS1_3repE0EEENS1_30default_config_static_selectorELNS0_4arch9wavefront6targetE0EEEvSY_,"axG",@progbits,_ZN7rocprim17ROCPRIM_400000_NS6detail17trampoline_kernelINS0_13select_configILj256ELj13ELNS0_17block_load_methodE3ELS4_3ELS4_3ELNS0_20block_scan_algorithmE0ELj4294967295EEENS1_25partition_config_selectorILNS1_17partition_subalgoE3EjNS0_10empty_typeEbEEZZNS1_14partition_implILS8_3ELb0ES6_jNS0_17counting_iteratorIjlEEPS9_SE_NS0_5tupleIJPjSE_EEENSF_IJSE_SE_EEES9_SG_JZNS1_25segmented_radix_sort_implINS0_14default_configELb1EPKaPaPKlPlN2at6native12_GLOBAL__N_18offset_tEEE10hipError_tPvRmT1_PNSt15iterator_traitsISY_E10value_typeET2_T3_PNSZ_IS14_E10value_typeET4_jRbjT5_S1A_jjP12ihipStream_tbEUljE_EEESV_SW_SX_S14_S18_S1A_T6_T7_T9_mT8_S1C_bDpT10_ENKUlT_T0_E_clISt17integral_constantIbLb1EES1P_EEDaS1K_S1L_EUlS1K_E_NS1_11comp_targetILNS1_3genE3ELNS1_11target_archE908ELNS1_3gpuE7ELNS1_3repE0EEENS1_30default_config_static_selectorELNS0_4arch9wavefront6targetE0EEEvSY_,comdat
	.globl	_ZN7rocprim17ROCPRIM_400000_NS6detail17trampoline_kernelINS0_13select_configILj256ELj13ELNS0_17block_load_methodE3ELS4_3ELS4_3ELNS0_20block_scan_algorithmE0ELj4294967295EEENS1_25partition_config_selectorILNS1_17partition_subalgoE3EjNS0_10empty_typeEbEEZZNS1_14partition_implILS8_3ELb0ES6_jNS0_17counting_iteratorIjlEEPS9_SE_NS0_5tupleIJPjSE_EEENSF_IJSE_SE_EEES9_SG_JZNS1_25segmented_radix_sort_implINS0_14default_configELb1EPKaPaPKlPlN2at6native12_GLOBAL__N_18offset_tEEE10hipError_tPvRmT1_PNSt15iterator_traitsISY_E10value_typeET2_T3_PNSZ_IS14_E10value_typeET4_jRbjT5_S1A_jjP12ihipStream_tbEUljE_EEESV_SW_SX_S14_S18_S1A_T6_T7_T9_mT8_S1C_bDpT10_ENKUlT_T0_E_clISt17integral_constantIbLb1EES1P_EEDaS1K_S1L_EUlS1K_E_NS1_11comp_targetILNS1_3genE3ELNS1_11target_archE908ELNS1_3gpuE7ELNS1_3repE0EEENS1_30default_config_static_selectorELNS0_4arch9wavefront6targetE0EEEvSY_ ; -- Begin function _ZN7rocprim17ROCPRIM_400000_NS6detail17trampoline_kernelINS0_13select_configILj256ELj13ELNS0_17block_load_methodE3ELS4_3ELS4_3ELNS0_20block_scan_algorithmE0ELj4294967295EEENS1_25partition_config_selectorILNS1_17partition_subalgoE3EjNS0_10empty_typeEbEEZZNS1_14partition_implILS8_3ELb0ES6_jNS0_17counting_iteratorIjlEEPS9_SE_NS0_5tupleIJPjSE_EEENSF_IJSE_SE_EEES9_SG_JZNS1_25segmented_radix_sort_implINS0_14default_configELb1EPKaPaPKlPlN2at6native12_GLOBAL__N_18offset_tEEE10hipError_tPvRmT1_PNSt15iterator_traitsISY_E10value_typeET2_T3_PNSZ_IS14_E10value_typeET4_jRbjT5_S1A_jjP12ihipStream_tbEUljE_EEESV_SW_SX_S14_S18_S1A_T6_T7_T9_mT8_S1C_bDpT10_ENKUlT_T0_E_clISt17integral_constantIbLb1EES1P_EEDaS1K_S1L_EUlS1K_E_NS1_11comp_targetILNS1_3genE3ELNS1_11target_archE908ELNS1_3gpuE7ELNS1_3repE0EEENS1_30default_config_static_selectorELNS0_4arch9wavefront6targetE0EEEvSY_
	.p2align	8
	.type	_ZN7rocprim17ROCPRIM_400000_NS6detail17trampoline_kernelINS0_13select_configILj256ELj13ELNS0_17block_load_methodE3ELS4_3ELS4_3ELNS0_20block_scan_algorithmE0ELj4294967295EEENS1_25partition_config_selectorILNS1_17partition_subalgoE3EjNS0_10empty_typeEbEEZZNS1_14partition_implILS8_3ELb0ES6_jNS0_17counting_iteratorIjlEEPS9_SE_NS0_5tupleIJPjSE_EEENSF_IJSE_SE_EEES9_SG_JZNS1_25segmented_radix_sort_implINS0_14default_configELb1EPKaPaPKlPlN2at6native12_GLOBAL__N_18offset_tEEE10hipError_tPvRmT1_PNSt15iterator_traitsISY_E10value_typeET2_T3_PNSZ_IS14_E10value_typeET4_jRbjT5_S1A_jjP12ihipStream_tbEUljE_EEESV_SW_SX_S14_S18_S1A_T6_T7_T9_mT8_S1C_bDpT10_ENKUlT_T0_E_clISt17integral_constantIbLb1EES1P_EEDaS1K_S1L_EUlS1K_E_NS1_11comp_targetILNS1_3genE3ELNS1_11target_archE908ELNS1_3gpuE7ELNS1_3repE0EEENS1_30default_config_static_selectorELNS0_4arch9wavefront6targetE0EEEvSY_,@function
_ZN7rocprim17ROCPRIM_400000_NS6detail17trampoline_kernelINS0_13select_configILj256ELj13ELNS0_17block_load_methodE3ELS4_3ELS4_3ELNS0_20block_scan_algorithmE0ELj4294967295EEENS1_25partition_config_selectorILNS1_17partition_subalgoE3EjNS0_10empty_typeEbEEZZNS1_14partition_implILS8_3ELb0ES6_jNS0_17counting_iteratorIjlEEPS9_SE_NS0_5tupleIJPjSE_EEENSF_IJSE_SE_EEES9_SG_JZNS1_25segmented_radix_sort_implINS0_14default_configELb1EPKaPaPKlPlN2at6native12_GLOBAL__N_18offset_tEEE10hipError_tPvRmT1_PNSt15iterator_traitsISY_E10value_typeET2_T3_PNSZ_IS14_E10value_typeET4_jRbjT5_S1A_jjP12ihipStream_tbEUljE_EEESV_SW_SX_S14_S18_S1A_T6_T7_T9_mT8_S1C_bDpT10_ENKUlT_T0_E_clISt17integral_constantIbLb1EES1P_EEDaS1K_S1L_EUlS1K_E_NS1_11comp_targetILNS1_3genE3ELNS1_11target_archE908ELNS1_3gpuE7ELNS1_3repE0EEENS1_30default_config_static_selectorELNS0_4arch9wavefront6targetE0EEEvSY_: ; @_ZN7rocprim17ROCPRIM_400000_NS6detail17trampoline_kernelINS0_13select_configILj256ELj13ELNS0_17block_load_methodE3ELS4_3ELS4_3ELNS0_20block_scan_algorithmE0ELj4294967295EEENS1_25partition_config_selectorILNS1_17partition_subalgoE3EjNS0_10empty_typeEbEEZZNS1_14partition_implILS8_3ELb0ES6_jNS0_17counting_iteratorIjlEEPS9_SE_NS0_5tupleIJPjSE_EEENSF_IJSE_SE_EEES9_SG_JZNS1_25segmented_radix_sort_implINS0_14default_configELb1EPKaPaPKlPlN2at6native12_GLOBAL__N_18offset_tEEE10hipError_tPvRmT1_PNSt15iterator_traitsISY_E10value_typeET2_T3_PNSZ_IS14_E10value_typeET4_jRbjT5_S1A_jjP12ihipStream_tbEUljE_EEESV_SW_SX_S14_S18_S1A_T6_T7_T9_mT8_S1C_bDpT10_ENKUlT_T0_E_clISt17integral_constantIbLb1EES1P_EEDaS1K_S1L_EUlS1K_E_NS1_11comp_targetILNS1_3genE3ELNS1_11target_archE908ELNS1_3gpuE7ELNS1_3repE0EEENS1_30default_config_static_selectorELNS0_4arch9wavefront6targetE0EEEvSY_
; %bb.0:
	.section	.rodata,"a",@progbits
	.p2align	6, 0x0
	.amdhsa_kernel _ZN7rocprim17ROCPRIM_400000_NS6detail17trampoline_kernelINS0_13select_configILj256ELj13ELNS0_17block_load_methodE3ELS4_3ELS4_3ELNS0_20block_scan_algorithmE0ELj4294967295EEENS1_25partition_config_selectorILNS1_17partition_subalgoE3EjNS0_10empty_typeEbEEZZNS1_14partition_implILS8_3ELb0ES6_jNS0_17counting_iteratorIjlEEPS9_SE_NS0_5tupleIJPjSE_EEENSF_IJSE_SE_EEES9_SG_JZNS1_25segmented_radix_sort_implINS0_14default_configELb1EPKaPaPKlPlN2at6native12_GLOBAL__N_18offset_tEEE10hipError_tPvRmT1_PNSt15iterator_traitsISY_E10value_typeET2_T3_PNSZ_IS14_E10value_typeET4_jRbjT5_S1A_jjP12ihipStream_tbEUljE_EEESV_SW_SX_S14_S18_S1A_T6_T7_T9_mT8_S1C_bDpT10_ENKUlT_T0_E_clISt17integral_constantIbLb1EES1P_EEDaS1K_S1L_EUlS1K_E_NS1_11comp_targetILNS1_3genE3ELNS1_11target_archE908ELNS1_3gpuE7ELNS1_3repE0EEENS1_30default_config_static_selectorELNS0_4arch9wavefront6targetE0EEEvSY_
		.amdhsa_group_segment_fixed_size 0
		.amdhsa_private_segment_fixed_size 0
		.amdhsa_kernarg_size 152
		.amdhsa_user_sgpr_count 2
		.amdhsa_user_sgpr_dispatch_ptr 0
		.amdhsa_user_sgpr_queue_ptr 0
		.amdhsa_user_sgpr_kernarg_segment_ptr 1
		.amdhsa_user_sgpr_dispatch_id 0
		.amdhsa_user_sgpr_kernarg_preload_length 0
		.amdhsa_user_sgpr_kernarg_preload_offset 0
		.amdhsa_user_sgpr_private_segment_size 0
		.amdhsa_wavefront_size32 1
		.amdhsa_uses_dynamic_stack 0
		.amdhsa_enable_private_segment 0
		.amdhsa_system_sgpr_workgroup_id_x 1
		.amdhsa_system_sgpr_workgroup_id_y 0
		.amdhsa_system_sgpr_workgroup_id_z 0
		.amdhsa_system_sgpr_workgroup_info 0
		.amdhsa_system_vgpr_workitem_id 0
		.amdhsa_next_free_vgpr 1
		.amdhsa_next_free_sgpr 1
		.amdhsa_named_barrier_count 0
		.amdhsa_reserve_vcc 0
		.amdhsa_float_round_mode_32 0
		.amdhsa_float_round_mode_16_64 0
		.amdhsa_float_denorm_mode_32 3
		.amdhsa_float_denorm_mode_16_64 3
		.amdhsa_fp16_overflow 0
		.amdhsa_memory_ordered 1
		.amdhsa_forward_progress 1
		.amdhsa_inst_pref_size 0
		.amdhsa_round_robin_scheduling 0
		.amdhsa_exception_fp_ieee_invalid_op 0
		.amdhsa_exception_fp_denorm_src 0
		.amdhsa_exception_fp_ieee_div_zero 0
		.amdhsa_exception_fp_ieee_overflow 0
		.amdhsa_exception_fp_ieee_underflow 0
		.amdhsa_exception_fp_ieee_inexact 0
		.amdhsa_exception_int_div_zero 0
	.end_amdhsa_kernel
	.section	.text._ZN7rocprim17ROCPRIM_400000_NS6detail17trampoline_kernelINS0_13select_configILj256ELj13ELNS0_17block_load_methodE3ELS4_3ELS4_3ELNS0_20block_scan_algorithmE0ELj4294967295EEENS1_25partition_config_selectorILNS1_17partition_subalgoE3EjNS0_10empty_typeEbEEZZNS1_14partition_implILS8_3ELb0ES6_jNS0_17counting_iteratorIjlEEPS9_SE_NS0_5tupleIJPjSE_EEENSF_IJSE_SE_EEES9_SG_JZNS1_25segmented_radix_sort_implINS0_14default_configELb1EPKaPaPKlPlN2at6native12_GLOBAL__N_18offset_tEEE10hipError_tPvRmT1_PNSt15iterator_traitsISY_E10value_typeET2_T3_PNSZ_IS14_E10value_typeET4_jRbjT5_S1A_jjP12ihipStream_tbEUljE_EEESV_SW_SX_S14_S18_S1A_T6_T7_T9_mT8_S1C_bDpT10_ENKUlT_T0_E_clISt17integral_constantIbLb1EES1P_EEDaS1K_S1L_EUlS1K_E_NS1_11comp_targetILNS1_3genE3ELNS1_11target_archE908ELNS1_3gpuE7ELNS1_3repE0EEENS1_30default_config_static_selectorELNS0_4arch9wavefront6targetE0EEEvSY_,"axG",@progbits,_ZN7rocprim17ROCPRIM_400000_NS6detail17trampoline_kernelINS0_13select_configILj256ELj13ELNS0_17block_load_methodE3ELS4_3ELS4_3ELNS0_20block_scan_algorithmE0ELj4294967295EEENS1_25partition_config_selectorILNS1_17partition_subalgoE3EjNS0_10empty_typeEbEEZZNS1_14partition_implILS8_3ELb0ES6_jNS0_17counting_iteratorIjlEEPS9_SE_NS0_5tupleIJPjSE_EEENSF_IJSE_SE_EEES9_SG_JZNS1_25segmented_radix_sort_implINS0_14default_configELb1EPKaPaPKlPlN2at6native12_GLOBAL__N_18offset_tEEE10hipError_tPvRmT1_PNSt15iterator_traitsISY_E10value_typeET2_T3_PNSZ_IS14_E10value_typeET4_jRbjT5_S1A_jjP12ihipStream_tbEUljE_EEESV_SW_SX_S14_S18_S1A_T6_T7_T9_mT8_S1C_bDpT10_ENKUlT_T0_E_clISt17integral_constantIbLb1EES1P_EEDaS1K_S1L_EUlS1K_E_NS1_11comp_targetILNS1_3genE3ELNS1_11target_archE908ELNS1_3gpuE7ELNS1_3repE0EEENS1_30default_config_static_selectorELNS0_4arch9wavefront6targetE0EEEvSY_,comdat
.Lfunc_end267:
	.size	_ZN7rocprim17ROCPRIM_400000_NS6detail17trampoline_kernelINS0_13select_configILj256ELj13ELNS0_17block_load_methodE3ELS4_3ELS4_3ELNS0_20block_scan_algorithmE0ELj4294967295EEENS1_25partition_config_selectorILNS1_17partition_subalgoE3EjNS0_10empty_typeEbEEZZNS1_14partition_implILS8_3ELb0ES6_jNS0_17counting_iteratorIjlEEPS9_SE_NS0_5tupleIJPjSE_EEENSF_IJSE_SE_EEES9_SG_JZNS1_25segmented_radix_sort_implINS0_14default_configELb1EPKaPaPKlPlN2at6native12_GLOBAL__N_18offset_tEEE10hipError_tPvRmT1_PNSt15iterator_traitsISY_E10value_typeET2_T3_PNSZ_IS14_E10value_typeET4_jRbjT5_S1A_jjP12ihipStream_tbEUljE_EEESV_SW_SX_S14_S18_S1A_T6_T7_T9_mT8_S1C_bDpT10_ENKUlT_T0_E_clISt17integral_constantIbLb1EES1P_EEDaS1K_S1L_EUlS1K_E_NS1_11comp_targetILNS1_3genE3ELNS1_11target_archE908ELNS1_3gpuE7ELNS1_3repE0EEENS1_30default_config_static_selectorELNS0_4arch9wavefront6targetE0EEEvSY_, .Lfunc_end267-_ZN7rocprim17ROCPRIM_400000_NS6detail17trampoline_kernelINS0_13select_configILj256ELj13ELNS0_17block_load_methodE3ELS4_3ELS4_3ELNS0_20block_scan_algorithmE0ELj4294967295EEENS1_25partition_config_selectorILNS1_17partition_subalgoE3EjNS0_10empty_typeEbEEZZNS1_14partition_implILS8_3ELb0ES6_jNS0_17counting_iteratorIjlEEPS9_SE_NS0_5tupleIJPjSE_EEENSF_IJSE_SE_EEES9_SG_JZNS1_25segmented_radix_sort_implINS0_14default_configELb1EPKaPaPKlPlN2at6native12_GLOBAL__N_18offset_tEEE10hipError_tPvRmT1_PNSt15iterator_traitsISY_E10value_typeET2_T3_PNSZ_IS14_E10value_typeET4_jRbjT5_S1A_jjP12ihipStream_tbEUljE_EEESV_SW_SX_S14_S18_S1A_T6_T7_T9_mT8_S1C_bDpT10_ENKUlT_T0_E_clISt17integral_constantIbLb1EES1P_EEDaS1K_S1L_EUlS1K_E_NS1_11comp_targetILNS1_3genE3ELNS1_11target_archE908ELNS1_3gpuE7ELNS1_3repE0EEENS1_30default_config_static_selectorELNS0_4arch9wavefront6targetE0EEEvSY_
                                        ; -- End function
	.set _ZN7rocprim17ROCPRIM_400000_NS6detail17trampoline_kernelINS0_13select_configILj256ELj13ELNS0_17block_load_methodE3ELS4_3ELS4_3ELNS0_20block_scan_algorithmE0ELj4294967295EEENS1_25partition_config_selectorILNS1_17partition_subalgoE3EjNS0_10empty_typeEbEEZZNS1_14partition_implILS8_3ELb0ES6_jNS0_17counting_iteratorIjlEEPS9_SE_NS0_5tupleIJPjSE_EEENSF_IJSE_SE_EEES9_SG_JZNS1_25segmented_radix_sort_implINS0_14default_configELb1EPKaPaPKlPlN2at6native12_GLOBAL__N_18offset_tEEE10hipError_tPvRmT1_PNSt15iterator_traitsISY_E10value_typeET2_T3_PNSZ_IS14_E10value_typeET4_jRbjT5_S1A_jjP12ihipStream_tbEUljE_EEESV_SW_SX_S14_S18_S1A_T6_T7_T9_mT8_S1C_bDpT10_ENKUlT_T0_E_clISt17integral_constantIbLb1EES1P_EEDaS1K_S1L_EUlS1K_E_NS1_11comp_targetILNS1_3genE3ELNS1_11target_archE908ELNS1_3gpuE7ELNS1_3repE0EEENS1_30default_config_static_selectorELNS0_4arch9wavefront6targetE0EEEvSY_.num_vgpr, 0
	.set _ZN7rocprim17ROCPRIM_400000_NS6detail17trampoline_kernelINS0_13select_configILj256ELj13ELNS0_17block_load_methodE3ELS4_3ELS4_3ELNS0_20block_scan_algorithmE0ELj4294967295EEENS1_25partition_config_selectorILNS1_17partition_subalgoE3EjNS0_10empty_typeEbEEZZNS1_14partition_implILS8_3ELb0ES6_jNS0_17counting_iteratorIjlEEPS9_SE_NS0_5tupleIJPjSE_EEENSF_IJSE_SE_EEES9_SG_JZNS1_25segmented_radix_sort_implINS0_14default_configELb1EPKaPaPKlPlN2at6native12_GLOBAL__N_18offset_tEEE10hipError_tPvRmT1_PNSt15iterator_traitsISY_E10value_typeET2_T3_PNSZ_IS14_E10value_typeET4_jRbjT5_S1A_jjP12ihipStream_tbEUljE_EEESV_SW_SX_S14_S18_S1A_T6_T7_T9_mT8_S1C_bDpT10_ENKUlT_T0_E_clISt17integral_constantIbLb1EES1P_EEDaS1K_S1L_EUlS1K_E_NS1_11comp_targetILNS1_3genE3ELNS1_11target_archE908ELNS1_3gpuE7ELNS1_3repE0EEENS1_30default_config_static_selectorELNS0_4arch9wavefront6targetE0EEEvSY_.num_agpr, 0
	.set _ZN7rocprim17ROCPRIM_400000_NS6detail17trampoline_kernelINS0_13select_configILj256ELj13ELNS0_17block_load_methodE3ELS4_3ELS4_3ELNS0_20block_scan_algorithmE0ELj4294967295EEENS1_25partition_config_selectorILNS1_17partition_subalgoE3EjNS0_10empty_typeEbEEZZNS1_14partition_implILS8_3ELb0ES6_jNS0_17counting_iteratorIjlEEPS9_SE_NS0_5tupleIJPjSE_EEENSF_IJSE_SE_EEES9_SG_JZNS1_25segmented_radix_sort_implINS0_14default_configELb1EPKaPaPKlPlN2at6native12_GLOBAL__N_18offset_tEEE10hipError_tPvRmT1_PNSt15iterator_traitsISY_E10value_typeET2_T3_PNSZ_IS14_E10value_typeET4_jRbjT5_S1A_jjP12ihipStream_tbEUljE_EEESV_SW_SX_S14_S18_S1A_T6_T7_T9_mT8_S1C_bDpT10_ENKUlT_T0_E_clISt17integral_constantIbLb1EES1P_EEDaS1K_S1L_EUlS1K_E_NS1_11comp_targetILNS1_3genE3ELNS1_11target_archE908ELNS1_3gpuE7ELNS1_3repE0EEENS1_30default_config_static_selectorELNS0_4arch9wavefront6targetE0EEEvSY_.numbered_sgpr, 0
	.set _ZN7rocprim17ROCPRIM_400000_NS6detail17trampoline_kernelINS0_13select_configILj256ELj13ELNS0_17block_load_methodE3ELS4_3ELS4_3ELNS0_20block_scan_algorithmE0ELj4294967295EEENS1_25partition_config_selectorILNS1_17partition_subalgoE3EjNS0_10empty_typeEbEEZZNS1_14partition_implILS8_3ELb0ES6_jNS0_17counting_iteratorIjlEEPS9_SE_NS0_5tupleIJPjSE_EEENSF_IJSE_SE_EEES9_SG_JZNS1_25segmented_radix_sort_implINS0_14default_configELb1EPKaPaPKlPlN2at6native12_GLOBAL__N_18offset_tEEE10hipError_tPvRmT1_PNSt15iterator_traitsISY_E10value_typeET2_T3_PNSZ_IS14_E10value_typeET4_jRbjT5_S1A_jjP12ihipStream_tbEUljE_EEESV_SW_SX_S14_S18_S1A_T6_T7_T9_mT8_S1C_bDpT10_ENKUlT_T0_E_clISt17integral_constantIbLb1EES1P_EEDaS1K_S1L_EUlS1K_E_NS1_11comp_targetILNS1_3genE3ELNS1_11target_archE908ELNS1_3gpuE7ELNS1_3repE0EEENS1_30default_config_static_selectorELNS0_4arch9wavefront6targetE0EEEvSY_.num_named_barrier, 0
	.set _ZN7rocprim17ROCPRIM_400000_NS6detail17trampoline_kernelINS0_13select_configILj256ELj13ELNS0_17block_load_methodE3ELS4_3ELS4_3ELNS0_20block_scan_algorithmE0ELj4294967295EEENS1_25partition_config_selectorILNS1_17partition_subalgoE3EjNS0_10empty_typeEbEEZZNS1_14partition_implILS8_3ELb0ES6_jNS0_17counting_iteratorIjlEEPS9_SE_NS0_5tupleIJPjSE_EEENSF_IJSE_SE_EEES9_SG_JZNS1_25segmented_radix_sort_implINS0_14default_configELb1EPKaPaPKlPlN2at6native12_GLOBAL__N_18offset_tEEE10hipError_tPvRmT1_PNSt15iterator_traitsISY_E10value_typeET2_T3_PNSZ_IS14_E10value_typeET4_jRbjT5_S1A_jjP12ihipStream_tbEUljE_EEESV_SW_SX_S14_S18_S1A_T6_T7_T9_mT8_S1C_bDpT10_ENKUlT_T0_E_clISt17integral_constantIbLb1EES1P_EEDaS1K_S1L_EUlS1K_E_NS1_11comp_targetILNS1_3genE3ELNS1_11target_archE908ELNS1_3gpuE7ELNS1_3repE0EEENS1_30default_config_static_selectorELNS0_4arch9wavefront6targetE0EEEvSY_.private_seg_size, 0
	.set _ZN7rocprim17ROCPRIM_400000_NS6detail17trampoline_kernelINS0_13select_configILj256ELj13ELNS0_17block_load_methodE3ELS4_3ELS4_3ELNS0_20block_scan_algorithmE0ELj4294967295EEENS1_25partition_config_selectorILNS1_17partition_subalgoE3EjNS0_10empty_typeEbEEZZNS1_14partition_implILS8_3ELb0ES6_jNS0_17counting_iteratorIjlEEPS9_SE_NS0_5tupleIJPjSE_EEENSF_IJSE_SE_EEES9_SG_JZNS1_25segmented_radix_sort_implINS0_14default_configELb1EPKaPaPKlPlN2at6native12_GLOBAL__N_18offset_tEEE10hipError_tPvRmT1_PNSt15iterator_traitsISY_E10value_typeET2_T3_PNSZ_IS14_E10value_typeET4_jRbjT5_S1A_jjP12ihipStream_tbEUljE_EEESV_SW_SX_S14_S18_S1A_T6_T7_T9_mT8_S1C_bDpT10_ENKUlT_T0_E_clISt17integral_constantIbLb1EES1P_EEDaS1K_S1L_EUlS1K_E_NS1_11comp_targetILNS1_3genE3ELNS1_11target_archE908ELNS1_3gpuE7ELNS1_3repE0EEENS1_30default_config_static_selectorELNS0_4arch9wavefront6targetE0EEEvSY_.uses_vcc, 0
	.set _ZN7rocprim17ROCPRIM_400000_NS6detail17trampoline_kernelINS0_13select_configILj256ELj13ELNS0_17block_load_methodE3ELS4_3ELS4_3ELNS0_20block_scan_algorithmE0ELj4294967295EEENS1_25partition_config_selectorILNS1_17partition_subalgoE3EjNS0_10empty_typeEbEEZZNS1_14partition_implILS8_3ELb0ES6_jNS0_17counting_iteratorIjlEEPS9_SE_NS0_5tupleIJPjSE_EEENSF_IJSE_SE_EEES9_SG_JZNS1_25segmented_radix_sort_implINS0_14default_configELb1EPKaPaPKlPlN2at6native12_GLOBAL__N_18offset_tEEE10hipError_tPvRmT1_PNSt15iterator_traitsISY_E10value_typeET2_T3_PNSZ_IS14_E10value_typeET4_jRbjT5_S1A_jjP12ihipStream_tbEUljE_EEESV_SW_SX_S14_S18_S1A_T6_T7_T9_mT8_S1C_bDpT10_ENKUlT_T0_E_clISt17integral_constantIbLb1EES1P_EEDaS1K_S1L_EUlS1K_E_NS1_11comp_targetILNS1_3genE3ELNS1_11target_archE908ELNS1_3gpuE7ELNS1_3repE0EEENS1_30default_config_static_selectorELNS0_4arch9wavefront6targetE0EEEvSY_.uses_flat_scratch, 0
	.set _ZN7rocprim17ROCPRIM_400000_NS6detail17trampoline_kernelINS0_13select_configILj256ELj13ELNS0_17block_load_methodE3ELS4_3ELS4_3ELNS0_20block_scan_algorithmE0ELj4294967295EEENS1_25partition_config_selectorILNS1_17partition_subalgoE3EjNS0_10empty_typeEbEEZZNS1_14partition_implILS8_3ELb0ES6_jNS0_17counting_iteratorIjlEEPS9_SE_NS0_5tupleIJPjSE_EEENSF_IJSE_SE_EEES9_SG_JZNS1_25segmented_radix_sort_implINS0_14default_configELb1EPKaPaPKlPlN2at6native12_GLOBAL__N_18offset_tEEE10hipError_tPvRmT1_PNSt15iterator_traitsISY_E10value_typeET2_T3_PNSZ_IS14_E10value_typeET4_jRbjT5_S1A_jjP12ihipStream_tbEUljE_EEESV_SW_SX_S14_S18_S1A_T6_T7_T9_mT8_S1C_bDpT10_ENKUlT_T0_E_clISt17integral_constantIbLb1EES1P_EEDaS1K_S1L_EUlS1K_E_NS1_11comp_targetILNS1_3genE3ELNS1_11target_archE908ELNS1_3gpuE7ELNS1_3repE0EEENS1_30default_config_static_selectorELNS0_4arch9wavefront6targetE0EEEvSY_.has_dyn_sized_stack, 0
	.set _ZN7rocprim17ROCPRIM_400000_NS6detail17trampoline_kernelINS0_13select_configILj256ELj13ELNS0_17block_load_methodE3ELS4_3ELS4_3ELNS0_20block_scan_algorithmE0ELj4294967295EEENS1_25partition_config_selectorILNS1_17partition_subalgoE3EjNS0_10empty_typeEbEEZZNS1_14partition_implILS8_3ELb0ES6_jNS0_17counting_iteratorIjlEEPS9_SE_NS0_5tupleIJPjSE_EEENSF_IJSE_SE_EEES9_SG_JZNS1_25segmented_radix_sort_implINS0_14default_configELb1EPKaPaPKlPlN2at6native12_GLOBAL__N_18offset_tEEE10hipError_tPvRmT1_PNSt15iterator_traitsISY_E10value_typeET2_T3_PNSZ_IS14_E10value_typeET4_jRbjT5_S1A_jjP12ihipStream_tbEUljE_EEESV_SW_SX_S14_S18_S1A_T6_T7_T9_mT8_S1C_bDpT10_ENKUlT_T0_E_clISt17integral_constantIbLb1EES1P_EEDaS1K_S1L_EUlS1K_E_NS1_11comp_targetILNS1_3genE3ELNS1_11target_archE908ELNS1_3gpuE7ELNS1_3repE0EEENS1_30default_config_static_selectorELNS0_4arch9wavefront6targetE0EEEvSY_.has_recursion, 0
	.set _ZN7rocprim17ROCPRIM_400000_NS6detail17trampoline_kernelINS0_13select_configILj256ELj13ELNS0_17block_load_methodE3ELS4_3ELS4_3ELNS0_20block_scan_algorithmE0ELj4294967295EEENS1_25partition_config_selectorILNS1_17partition_subalgoE3EjNS0_10empty_typeEbEEZZNS1_14partition_implILS8_3ELb0ES6_jNS0_17counting_iteratorIjlEEPS9_SE_NS0_5tupleIJPjSE_EEENSF_IJSE_SE_EEES9_SG_JZNS1_25segmented_radix_sort_implINS0_14default_configELb1EPKaPaPKlPlN2at6native12_GLOBAL__N_18offset_tEEE10hipError_tPvRmT1_PNSt15iterator_traitsISY_E10value_typeET2_T3_PNSZ_IS14_E10value_typeET4_jRbjT5_S1A_jjP12ihipStream_tbEUljE_EEESV_SW_SX_S14_S18_S1A_T6_T7_T9_mT8_S1C_bDpT10_ENKUlT_T0_E_clISt17integral_constantIbLb1EES1P_EEDaS1K_S1L_EUlS1K_E_NS1_11comp_targetILNS1_3genE3ELNS1_11target_archE908ELNS1_3gpuE7ELNS1_3repE0EEENS1_30default_config_static_selectorELNS0_4arch9wavefront6targetE0EEEvSY_.has_indirect_call, 0
	.section	.AMDGPU.csdata,"",@progbits
; Kernel info:
; codeLenInByte = 0
; TotalNumSgprs: 0
; NumVgprs: 0
; ScratchSize: 0
; MemoryBound: 0
; FloatMode: 240
; IeeeMode: 1
; LDSByteSize: 0 bytes/workgroup (compile time only)
; SGPRBlocks: 0
; VGPRBlocks: 0
; NumSGPRsForWavesPerEU: 1
; NumVGPRsForWavesPerEU: 1
; NamedBarCnt: 0
; Occupancy: 16
; WaveLimiterHint : 0
; COMPUTE_PGM_RSRC2:SCRATCH_EN: 0
; COMPUTE_PGM_RSRC2:USER_SGPR: 2
; COMPUTE_PGM_RSRC2:TRAP_HANDLER: 0
; COMPUTE_PGM_RSRC2:TGID_X_EN: 1
; COMPUTE_PGM_RSRC2:TGID_Y_EN: 0
; COMPUTE_PGM_RSRC2:TGID_Z_EN: 0
; COMPUTE_PGM_RSRC2:TIDIG_COMP_CNT: 0
	.section	.text._ZN7rocprim17ROCPRIM_400000_NS6detail17trampoline_kernelINS0_13select_configILj256ELj13ELNS0_17block_load_methodE3ELS4_3ELS4_3ELNS0_20block_scan_algorithmE0ELj4294967295EEENS1_25partition_config_selectorILNS1_17partition_subalgoE3EjNS0_10empty_typeEbEEZZNS1_14partition_implILS8_3ELb0ES6_jNS0_17counting_iteratorIjlEEPS9_SE_NS0_5tupleIJPjSE_EEENSF_IJSE_SE_EEES9_SG_JZNS1_25segmented_radix_sort_implINS0_14default_configELb1EPKaPaPKlPlN2at6native12_GLOBAL__N_18offset_tEEE10hipError_tPvRmT1_PNSt15iterator_traitsISY_E10value_typeET2_T3_PNSZ_IS14_E10value_typeET4_jRbjT5_S1A_jjP12ihipStream_tbEUljE_EEESV_SW_SX_S14_S18_S1A_T6_T7_T9_mT8_S1C_bDpT10_ENKUlT_T0_E_clISt17integral_constantIbLb1EES1P_EEDaS1K_S1L_EUlS1K_E_NS1_11comp_targetILNS1_3genE2ELNS1_11target_archE906ELNS1_3gpuE6ELNS1_3repE0EEENS1_30default_config_static_selectorELNS0_4arch9wavefront6targetE0EEEvSY_,"axG",@progbits,_ZN7rocprim17ROCPRIM_400000_NS6detail17trampoline_kernelINS0_13select_configILj256ELj13ELNS0_17block_load_methodE3ELS4_3ELS4_3ELNS0_20block_scan_algorithmE0ELj4294967295EEENS1_25partition_config_selectorILNS1_17partition_subalgoE3EjNS0_10empty_typeEbEEZZNS1_14partition_implILS8_3ELb0ES6_jNS0_17counting_iteratorIjlEEPS9_SE_NS0_5tupleIJPjSE_EEENSF_IJSE_SE_EEES9_SG_JZNS1_25segmented_radix_sort_implINS0_14default_configELb1EPKaPaPKlPlN2at6native12_GLOBAL__N_18offset_tEEE10hipError_tPvRmT1_PNSt15iterator_traitsISY_E10value_typeET2_T3_PNSZ_IS14_E10value_typeET4_jRbjT5_S1A_jjP12ihipStream_tbEUljE_EEESV_SW_SX_S14_S18_S1A_T6_T7_T9_mT8_S1C_bDpT10_ENKUlT_T0_E_clISt17integral_constantIbLb1EES1P_EEDaS1K_S1L_EUlS1K_E_NS1_11comp_targetILNS1_3genE2ELNS1_11target_archE906ELNS1_3gpuE6ELNS1_3repE0EEENS1_30default_config_static_selectorELNS0_4arch9wavefront6targetE0EEEvSY_,comdat
	.globl	_ZN7rocprim17ROCPRIM_400000_NS6detail17trampoline_kernelINS0_13select_configILj256ELj13ELNS0_17block_load_methodE3ELS4_3ELS4_3ELNS0_20block_scan_algorithmE0ELj4294967295EEENS1_25partition_config_selectorILNS1_17partition_subalgoE3EjNS0_10empty_typeEbEEZZNS1_14partition_implILS8_3ELb0ES6_jNS0_17counting_iteratorIjlEEPS9_SE_NS0_5tupleIJPjSE_EEENSF_IJSE_SE_EEES9_SG_JZNS1_25segmented_radix_sort_implINS0_14default_configELb1EPKaPaPKlPlN2at6native12_GLOBAL__N_18offset_tEEE10hipError_tPvRmT1_PNSt15iterator_traitsISY_E10value_typeET2_T3_PNSZ_IS14_E10value_typeET4_jRbjT5_S1A_jjP12ihipStream_tbEUljE_EEESV_SW_SX_S14_S18_S1A_T6_T7_T9_mT8_S1C_bDpT10_ENKUlT_T0_E_clISt17integral_constantIbLb1EES1P_EEDaS1K_S1L_EUlS1K_E_NS1_11comp_targetILNS1_3genE2ELNS1_11target_archE906ELNS1_3gpuE6ELNS1_3repE0EEENS1_30default_config_static_selectorELNS0_4arch9wavefront6targetE0EEEvSY_ ; -- Begin function _ZN7rocprim17ROCPRIM_400000_NS6detail17trampoline_kernelINS0_13select_configILj256ELj13ELNS0_17block_load_methodE3ELS4_3ELS4_3ELNS0_20block_scan_algorithmE0ELj4294967295EEENS1_25partition_config_selectorILNS1_17partition_subalgoE3EjNS0_10empty_typeEbEEZZNS1_14partition_implILS8_3ELb0ES6_jNS0_17counting_iteratorIjlEEPS9_SE_NS0_5tupleIJPjSE_EEENSF_IJSE_SE_EEES9_SG_JZNS1_25segmented_radix_sort_implINS0_14default_configELb1EPKaPaPKlPlN2at6native12_GLOBAL__N_18offset_tEEE10hipError_tPvRmT1_PNSt15iterator_traitsISY_E10value_typeET2_T3_PNSZ_IS14_E10value_typeET4_jRbjT5_S1A_jjP12ihipStream_tbEUljE_EEESV_SW_SX_S14_S18_S1A_T6_T7_T9_mT8_S1C_bDpT10_ENKUlT_T0_E_clISt17integral_constantIbLb1EES1P_EEDaS1K_S1L_EUlS1K_E_NS1_11comp_targetILNS1_3genE2ELNS1_11target_archE906ELNS1_3gpuE6ELNS1_3repE0EEENS1_30default_config_static_selectorELNS0_4arch9wavefront6targetE0EEEvSY_
	.p2align	8
	.type	_ZN7rocprim17ROCPRIM_400000_NS6detail17trampoline_kernelINS0_13select_configILj256ELj13ELNS0_17block_load_methodE3ELS4_3ELS4_3ELNS0_20block_scan_algorithmE0ELj4294967295EEENS1_25partition_config_selectorILNS1_17partition_subalgoE3EjNS0_10empty_typeEbEEZZNS1_14partition_implILS8_3ELb0ES6_jNS0_17counting_iteratorIjlEEPS9_SE_NS0_5tupleIJPjSE_EEENSF_IJSE_SE_EEES9_SG_JZNS1_25segmented_radix_sort_implINS0_14default_configELb1EPKaPaPKlPlN2at6native12_GLOBAL__N_18offset_tEEE10hipError_tPvRmT1_PNSt15iterator_traitsISY_E10value_typeET2_T3_PNSZ_IS14_E10value_typeET4_jRbjT5_S1A_jjP12ihipStream_tbEUljE_EEESV_SW_SX_S14_S18_S1A_T6_T7_T9_mT8_S1C_bDpT10_ENKUlT_T0_E_clISt17integral_constantIbLb1EES1P_EEDaS1K_S1L_EUlS1K_E_NS1_11comp_targetILNS1_3genE2ELNS1_11target_archE906ELNS1_3gpuE6ELNS1_3repE0EEENS1_30default_config_static_selectorELNS0_4arch9wavefront6targetE0EEEvSY_,@function
_ZN7rocprim17ROCPRIM_400000_NS6detail17trampoline_kernelINS0_13select_configILj256ELj13ELNS0_17block_load_methodE3ELS4_3ELS4_3ELNS0_20block_scan_algorithmE0ELj4294967295EEENS1_25partition_config_selectorILNS1_17partition_subalgoE3EjNS0_10empty_typeEbEEZZNS1_14partition_implILS8_3ELb0ES6_jNS0_17counting_iteratorIjlEEPS9_SE_NS0_5tupleIJPjSE_EEENSF_IJSE_SE_EEES9_SG_JZNS1_25segmented_radix_sort_implINS0_14default_configELb1EPKaPaPKlPlN2at6native12_GLOBAL__N_18offset_tEEE10hipError_tPvRmT1_PNSt15iterator_traitsISY_E10value_typeET2_T3_PNSZ_IS14_E10value_typeET4_jRbjT5_S1A_jjP12ihipStream_tbEUljE_EEESV_SW_SX_S14_S18_S1A_T6_T7_T9_mT8_S1C_bDpT10_ENKUlT_T0_E_clISt17integral_constantIbLb1EES1P_EEDaS1K_S1L_EUlS1K_E_NS1_11comp_targetILNS1_3genE2ELNS1_11target_archE906ELNS1_3gpuE6ELNS1_3repE0EEENS1_30default_config_static_selectorELNS0_4arch9wavefront6targetE0EEEvSY_: ; @_ZN7rocprim17ROCPRIM_400000_NS6detail17trampoline_kernelINS0_13select_configILj256ELj13ELNS0_17block_load_methodE3ELS4_3ELS4_3ELNS0_20block_scan_algorithmE0ELj4294967295EEENS1_25partition_config_selectorILNS1_17partition_subalgoE3EjNS0_10empty_typeEbEEZZNS1_14partition_implILS8_3ELb0ES6_jNS0_17counting_iteratorIjlEEPS9_SE_NS0_5tupleIJPjSE_EEENSF_IJSE_SE_EEES9_SG_JZNS1_25segmented_radix_sort_implINS0_14default_configELb1EPKaPaPKlPlN2at6native12_GLOBAL__N_18offset_tEEE10hipError_tPvRmT1_PNSt15iterator_traitsISY_E10value_typeET2_T3_PNSZ_IS14_E10value_typeET4_jRbjT5_S1A_jjP12ihipStream_tbEUljE_EEESV_SW_SX_S14_S18_S1A_T6_T7_T9_mT8_S1C_bDpT10_ENKUlT_T0_E_clISt17integral_constantIbLb1EES1P_EEDaS1K_S1L_EUlS1K_E_NS1_11comp_targetILNS1_3genE2ELNS1_11target_archE906ELNS1_3gpuE6ELNS1_3repE0EEENS1_30default_config_static_selectorELNS0_4arch9wavefront6targetE0EEEvSY_
; %bb.0:
	.section	.rodata,"a",@progbits
	.p2align	6, 0x0
	.amdhsa_kernel _ZN7rocprim17ROCPRIM_400000_NS6detail17trampoline_kernelINS0_13select_configILj256ELj13ELNS0_17block_load_methodE3ELS4_3ELS4_3ELNS0_20block_scan_algorithmE0ELj4294967295EEENS1_25partition_config_selectorILNS1_17partition_subalgoE3EjNS0_10empty_typeEbEEZZNS1_14partition_implILS8_3ELb0ES6_jNS0_17counting_iteratorIjlEEPS9_SE_NS0_5tupleIJPjSE_EEENSF_IJSE_SE_EEES9_SG_JZNS1_25segmented_radix_sort_implINS0_14default_configELb1EPKaPaPKlPlN2at6native12_GLOBAL__N_18offset_tEEE10hipError_tPvRmT1_PNSt15iterator_traitsISY_E10value_typeET2_T3_PNSZ_IS14_E10value_typeET4_jRbjT5_S1A_jjP12ihipStream_tbEUljE_EEESV_SW_SX_S14_S18_S1A_T6_T7_T9_mT8_S1C_bDpT10_ENKUlT_T0_E_clISt17integral_constantIbLb1EES1P_EEDaS1K_S1L_EUlS1K_E_NS1_11comp_targetILNS1_3genE2ELNS1_11target_archE906ELNS1_3gpuE6ELNS1_3repE0EEENS1_30default_config_static_selectorELNS0_4arch9wavefront6targetE0EEEvSY_
		.amdhsa_group_segment_fixed_size 0
		.amdhsa_private_segment_fixed_size 0
		.amdhsa_kernarg_size 152
		.amdhsa_user_sgpr_count 2
		.amdhsa_user_sgpr_dispatch_ptr 0
		.amdhsa_user_sgpr_queue_ptr 0
		.amdhsa_user_sgpr_kernarg_segment_ptr 1
		.amdhsa_user_sgpr_dispatch_id 0
		.amdhsa_user_sgpr_kernarg_preload_length 0
		.amdhsa_user_sgpr_kernarg_preload_offset 0
		.amdhsa_user_sgpr_private_segment_size 0
		.amdhsa_wavefront_size32 1
		.amdhsa_uses_dynamic_stack 0
		.amdhsa_enable_private_segment 0
		.amdhsa_system_sgpr_workgroup_id_x 1
		.amdhsa_system_sgpr_workgroup_id_y 0
		.amdhsa_system_sgpr_workgroup_id_z 0
		.amdhsa_system_sgpr_workgroup_info 0
		.amdhsa_system_vgpr_workitem_id 0
		.amdhsa_next_free_vgpr 1
		.amdhsa_next_free_sgpr 1
		.amdhsa_named_barrier_count 0
		.amdhsa_reserve_vcc 0
		.amdhsa_float_round_mode_32 0
		.amdhsa_float_round_mode_16_64 0
		.amdhsa_float_denorm_mode_32 3
		.amdhsa_float_denorm_mode_16_64 3
		.amdhsa_fp16_overflow 0
		.amdhsa_memory_ordered 1
		.amdhsa_forward_progress 1
		.amdhsa_inst_pref_size 0
		.amdhsa_round_robin_scheduling 0
		.amdhsa_exception_fp_ieee_invalid_op 0
		.amdhsa_exception_fp_denorm_src 0
		.amdhsa_exception_fp_ieee_div_zero 0
		.amdhsa_exception_fp_ieee_overflow 0
		.amdhsa_exception_fp_ieee_underflow 0
		.amdhsa_exception_fp_ieee_inexact 0
		.amdhsa_exception_int_div_zero 0
	.end_amdhsa_kernel
	.section	.text._ZN7rocprim17ROCPRIM_400000_NS6detail17trampoline_kernelINS0_13select_configILj256ELj13ELNS0_17block_load_methodE3ELS4_3ELS4_3ELNS0_20block_scan_algorithmE0ELj4294967295EEENS1_25partition_config_selectorILNS1_17partition_subalgoE3EjNS0_10empty_typeEbEEZZNS1_14partition_implILS8_3ELb0ES6_jNS0_17counting_iteratorIjlEEPS9_SE_NS0_5tupleIJPjSE_EEENSF_IJSE_SE_EEES9_SG_JZNS1_25segmented_radix_sort_implINS0_14default_configELb1EPKaPaPKlPlN2at6native12_GLOBAL__N_18offset_tEEE10hipError_tPvRmT1_PNSt15iterator_traitsISY_E10value_typeET2_T3_PNSZ_IS14_E10value_typeET4_jRbjT5_S1A_jjP12ihipStream_tbEUljE_EEESV_SW_SX_S14_S18_S1A_T6_T7_T9_mT8_S1C_bDpT10_ENKUlT_T0_E_clISt17integral_constantIbLb1EES1P_EEDaS1K_S1L_EUlS1K_E_NS1_11comp_targetILNS1_3genE2ELNS1_11target_archE906ELNS1_3gpuE6ELNS1_3repE0EEENS1_30default_config_static_selectorELNS0_4arch9wavefront6targetE0EEEvSY_,"axG",@progbits,_ZN7rocprim17ROCPRIM_400000_NS6detail17trampoline_kernelINS0_13select_configILj256ELj13ELNS0_17block_load_methodE3ELS4_3ELS4_3ELNS0_20block_scan_algorithmE0ELj4294967295EEENS1_25partition_config_selectorILNS1_17partition_subalgoE3EjNS0_10empty_typeEbEEZZNS1_14partition_implILS8_3ELb0ES6_jNS0_17counting_iteratorIjlEEPS9_SE_NS0_5tupleIJPjSE_EEENSF_IJSE_SE_EEES9_SG_JZNS1_25segmented_radix_sort_implINS0_14default_configELb1EPKaPaPKlPlN2at6native12_GLOBAL__N_18offset_tEEE10hipError_tPvRmT1_PNSt15iterator_traitsISY_E10value_typeET2_T3_PNSZ_IS14_E10value_typeET4_jRbjT5_S1A_jjP12ihipStream_tbEUljE_EEESV_SW_SX_S14_S18_S1A_T6_T7_T9_mT8_S1C_bDpT10_ENKUlT_T0_E_clISt17integral_constantIbLb1EES1P_EEDaS1K_S1L_EUlS1K_E_NS1_11comp_targetILNS1_3genE2ELNS1_11target_archE906ELNS1_3gpuE6ELNS1_3repE0EEENS1_30default_config_static_selectorELNS0_4arch9wavefront6targetE0EEEvSY_,comdat
.Lfunc_end268:
	.size	_ZN7rocprim17ROCPRIM_400000_NS6detail17trampoline_kernelINS0_13select_configILj256ELj13ELNS0_17block_load_methodE3ELS4_3ELS4_3ELNS0_20block_scan_algorithmE0ELj4294967295EEENS1_25partition_config_selectorILNS1_17partition_subalgoE3EjNS0_10empty_typeEbEEZZNS1_14partition_implILS8_3ELb0ES6_jNS0_17counting_iteratorIjlEEPS9_SE_NS0_5tupleIJPjSE_EEENSF_IJSE_SE_EEES9_SG_JZNS1_25segmented_radix_sort_implINS0_14default_configELb1EPKaPaPKlPlN2at6native12_GLOBAL__N_18offset_tEEE10hipError_tPvRmT1_PNSt15iterator_traitsISY_E10value_typeET2_T3_PNSZ_IS14_E10value_typeET4_jRbjT5_S1A_jjP12ihipStream_tbEUljE_EEESV_SW_SX_S14_S18_S1A_T6_T7_T9_mT8_S1C_bDpT10_ENKUlT_T0_E_clISt17integral_constantIbLb1EES1P_EEDaS1K_S1L_EUlS1K_E_NS1_11comp_targetILNS1_3genE2ELNS1_11target_archE906ELNS1_3gpuE6ELNS1_3repE0EEENS1_30default_config_static_selectorELNS0_4arch9wavefront6targetE0EEEvSY_, .Lfunc_end268-_ZN7rocprim17ROCPRIM_400000_NS6detail17trampoline_kernelINS0_13select_configILj256ELj13ELNS0_17block_load_methodE3ELS4_3ELS4_3ELNS0_20block_scan_algorithmE0ELj4294967295EEENS1_25partition_config_selectorILNS1_17partition_subalgoE3EjNS0_10empty_typeEbEEZZNS1_14partition_implILS8_3ELb0ES6_jNS0_17counting_iteratorIjlEEPS9_SE_NS0_5tupleIJPjSE_EEENSF_IJSE_SE_EEES9_SG_JZNS1_25segmented_radix_sort_implINS0_14default_configELb1EPKaPaPKlPlN2at6native12_GLOBAL__N_18offset_tEEE10hipError_tPvRmT1_PNSt15iterator_traitsISY_E10value_typeET2_T3_PNSZ_IS14_E10value_typeET4_jRbjT5_S1A_jjP12ihipStream_tbEUljE_EEESV_SW_SX_S14_S18_S1A_T6_T7_T9_mT8_S1C_bDpT10_ENKUlT_T0_E_clISt17integral_constantIbLb1EES1P_EEDaS1K_S1L_EUlS1K_E_NS1_11comp_targetILNS1_3genE2ELNS1_11target_archE906ELNS1_3gpuE6ELNS1_3repE0EEENS1_30default_config_static_selectorELNS0_4arch9wavefront6targetE0EEEvSY_
                                        ; -- End function
	.set _ZN7rocprim17ROCPRIM_400000_NS6detail17trampoline_kernelINS0_13select_configILj256ELj13ELNS0_17block_load_methodE3ELS4_3ELS4_3ELNS0_20block_scan_algorithmE0ELj4294967295EEENS1_25partition_config_selectorILNS1_17partition_subalgoE3EjNS0_10empty_typeEbEEZZNS1_14partition_implILS8_3ELb0ES6_jNS0_17counting_iteratorIjlEEPS9_SE_NS0_5tupleIJPjSE_EEENSF_IJSE_SE_EEES9_SG_JZNS1_25segmented_radix_sort_implINS0_14default_configELb1EPKaPaPKlPlN2at6native12_GLOBAL__N_18offset_tEEE10hipError_tPvRmT1_PNSt15iterator_traitsISY_E10value_typeET2_T3_PNSZ_IS14_E10value_typeET4_jRbjT5_S1A_jjP12ihipStream_tbEUljE_EEESV_SW_SX_S14_S18_S1A_T6_T7_T9_mT8_S1C_bDpT10_ENKUlT_T0_E_clISt17integral_constantIbLb1EES1P_EEDaS1K_S1L_EUlS1K_E_NS1_11comp_targetILNS1_3genE2ELNS1_11target_archE906ELNS1_3gpuE6ELNS1_3repE0EEENS1_30default_config_static_selectorELNS0_4arch9wavefront6targetE0EEEvSY_.num_vgpr, 0
	.set _ZN7rocprim17ROCPRIM_400000_NS6detail17trampoline_kernelINS0_13select_configILj256ELj13ELNS0_17block_load_methodE3ELS4_3ELS4_3ELNS0_20block_scan_algorithmE0ELj4294967295EEENS1_25partition_config_selectorILNS1_17partition_subalgoE3EjNS0_10empty_typeEbEEZZNS1_14partition_implILS8_3ELb0ES6_jNS0_17counting_iteratorIjlEEPS9_SE_NS0_5tupleIJPjSE_EEENSF_IJSE_SE_EEES9_SG_JZNS1_25segmented_radix_sort_implINS0_14default_configELb1EPKaPaPKlPlN2at6native12_GLOBAL__N_18offset_tEEE10hipError_tPvRmT1_PNSt15iterator_traitsISY_E10value_typeET2_T3_PNSZ_IS14_E10value_typeET4_jRbjT5_S1A_jjP12ihipStream_tbEUljE_EEESV_SW_SX_S14_S18_S1A_T6_T7_T9_mT8_S1C_bDpT10_ENKUlT_T0_E_clISt17integral_constantIbLb1EES1P_EEDaS1K_S1L_EUlS1K_E_NS1_11comp_targetILNS1_3genE2ELNS1_11target_archE906ELNS1_3gpuE6ELNS1_3repE0EEENS1_30default_config_static_selectorELNS0_4arch9wavefront6targetE0EEEvSY_.num_agpr, 0
	.set _ZN7rocprim17ROCPRIM_400000_NS6detail17trampoline_kernelINS0_13select_configILj256ELj13ELNS0_17block_load_methodE3ELS4_3ELS4_3ELNS0_20block_scan_algorithmE0ELj4294967295EEENS1_25partition_config_selectorILNS1_17partition_subalgoE3EjNS0_10empty_typeEbEEZZNS1_14partition_implILS8_3ELb0ES6_jNS0_17counting_iteratorIjlEEPS9_SE_NS0_5tupleIJPjSE_EEENSF_IJSE_SE_EEES9_SG_JZNS1_25segmented_radix_sort_implINS0_14default_configELb1EPKaPaPKlPlN2at6native12_GLOBAL__N_18offset_tEEE10hipError_tPvRmT1_PNSt15iterator_traitsISY_E10value_typeET2_T3_PNSZ_IS14_E10value_typeET4_jRbjT5_S1A_jjP12ihipStream_tbEUljE_EEESV_SW_SX_S14_S18_S1A_T6_T7_T9_mT8_S1C_bDpT10_ENKUlT_T0_E_clISt17integral_constantIbLb1EES1P_EEDaS1K_S1L_EUlS1K_E_NS1_11comp_targetILNS1_3genE2ELNS1_11target_archE906ELNS1_3gpuE6ELNS1_3repE0EEENS1_30default_config_static_selectorELNS0_4arch9wavefront6targetE0EEEvSY_.numbered_sgpr, 0
	.set _ZN7rocprim17ROCPRIM_400000_NS6detail17trampoline_kernelINS0_13select_configILj256ELj13ELNS0_17block_load_methodE3ELS4_3ELS4_3ELNS0_20block_scan_algorithmE0ELj4294967295EEENS1_25partition_config_selectorILNS1_17partition_subalgoE3EjNS0_10empty_typeEbEEZZNS1_14partition_implILS8_3ELb0ES6_jNS0_17counting_iteratorIjlEEPS9_SE_NS0_5tupleIJPjSE_EEENSF_IJSE_SE_EEES9_SG_JZNS1_25segmented_radix_sort_implINS0_14default_configELb1EPKaPaPKlPlN2at6native12_GLOBAL__N_18offset_tEEE10hipError_tPvRmT1_PNSt15iterator_traitsISY_E10value_typeET2_T3_PNSZ_IS14_E10value_typeET4_jRbjT5_S1A_jjP12ihipStream_tbEUljE_EEESV_SW_SX_S14_S18_S1A_T6_T7_T9_mT8_S1C_bDpT10_ENKUlT_T0_E_clISt17integral_constantIbLb1EES1P_EEDaS1K_S1L_EUlS1K_E_NS1_11comp_targetILNS1_3genE2ELNS1_11target_archE906ELNS1_3gpuE6ELNS1_3repE0EEENS1_30default_config_static_selectorELNS0_4arch9wavefront6targetE0EEEvSY_.num_named_barrier, 0
	.set _ZN7rocprim17ROCPRIM_400000_NS6detail17trampoline_kernelINS0_13select_configILj256ELj13ELNS0_17block_load_methodE3ELS4_3ELS4_3ELNS0_20block_scan_algorithmE0ELj4294967295EEENS1_25partition_config_selectorILNS1_17partition_subalgoE3EjNS0_10empty_typeEbEEZZNS1_14partition_implILS8_3ELb0ES6_jNS0_17counting_iteratorIjlEEPS9_SE_NS0_5tupleIJPjSE_EEENSF_IJSE_SE_EEES9_SG_JZNS1_25segmented_radix_sort_implINS0_14default_configELb1EPKaPaPKlPlN2at6native12_GLOBAL__N_18offset_tEEE10hipError_tPvRmT1_PNSt15iterator_traitsISY_E10value_typeET2_T3_PNSZ_IS14_E10value_typeET4_jRbjT5_S1A_jjP12ihipStream_tbEUljE_EEESV_SW_SX_S14_S18_S1A_T6_T7_T9_mT8_S1C_bDpT10_ENKUlT_T0_E_clISt17integral_constantIbLb1EES1P_EEDaS1K_S1L_EUlS1K_E_NS1_11comp_targetILNS1_3genE2ELNS1_11target_archE906ELNS1_3gpuE6ELNS1_3repE0EEENS1_30default_config_static_selectorELNS0_4arch9wavefront6targetE0EEEvSY_.private_seg_size, 0
	.set _ZN7rocprim17ROCPRIM_400000_NS6detail17trampoline_kernelINS0_13select_configILj256ELj13ELNS0_17block_load_methodE3ELS4_3ELS4_3ELNS0_20block_scan_algorithmE0ELj4294967295EEENS1_25partition_config_selectorILNS1_17partition_subalgoE3EjNS0_10empty_typeEbEEZZNS1_14partition_implILS8_3ELb0ES6_jNS0_17counting_iteratorIjlEEPS9_SE_NS0_5tupleIJPjSE_EEENSF_IJSE_SE_EEES9_SG_JZNS1_25segmented_radix_sort_implINS0_14default_configELb1EPKaPaPKlPlN2at6native12_GLOBAL__N_18offset_tEEE10hipError_tPvRmT1_PNSt15iterator_traitsISY_E10value_typeET2_T3_PNSZ_IS14_E10value_typeET4_jRbjT5_S1A_jjP12ihipStream_tbEUljE_EEESV_SW_SX_S14_S18_S1A_T6_T7_T9_mT8_S1C_bDpT10_ENKUlT_T0_E_clISt17integral_constantIbLb1EES1P_EEDaS1K_S1L_EUlS1K_E_NS1_11comp_targetILNS1_3genE2ELNS1_11target_archE906ELNS1_3gpuE6ELNS1_3repE0EEENS1_30default_config_static_selectorELNS0_4arch9wavefront6targetE0EEEvSY_.uses_vcc, 0
	.set _ZN7rocprim17ROCPRIM_400000_NS6detail17trampoline_kernelINS0_13select_configILj256ELj13ELNS0_17block_load_methodE3ELS4_3ELS4_3ELNS0_20block_scan_algorithmE0ELj4294967295EEENS1_25partition_config_selectorILNS1_17partition_subalgoE3EjNS0_10empty_typeEbEEZZNS1_14partition_implILS8_3ELb0ES6_jNS0_17counting_iteratorIjlEEPS9_SE_NS0_5tupleIJPjSE_EEENSF_IJSE_SE_EEES9_SG_JZNS1_25segmented_radix_sort_implINS0_14default_configELb1EPKaPaPKlPlN2at6native12_GLOBAL__N_18offset_tEEE10hipError_tPvRmT1_PNSt15iterator_traitsISY_E10value_typeET2_T3_PNSZ_IS14_E10value_typeET4_jRbjT5_S1A_jjP12ihipStream_tbEUljE_EEESV_SW_SX_S14_S18_S1A_T6_T7_T9_mT8_S1C_bDpT10_ENKUlT_T0_E_clISt17integral_constantIbLb1EES1P_EEDaS1K_S1L_EUlS1K_E_NS1_11comp_targetILNS1_3genE2ELNS1_11target_archE906ELNS1_3gpuE6ELNS1_3repE0EEENS1_30default_config_static_selectorELNS0_4arch9wavefront6targetE0EEEvSY_.uses_flat_scratch, 0
	.set _ZN7rocprim17ROCPRIM_400000_NS6detail17trampoline_kernelINS0_13select_configILj256ELj13ELNS0_17block_load_methodE3ELS4_3ELS4_3ELNS0_20block_scan_algorithmE0ELj4294967295EEENS1_25partition_config_selectorILNS1_17partition_subalgoE3EjNS0_10empty_typeEbEEZZNS1_14partition_implILS8_3ELb0ES6_jNS0_17counting_iteratorIjlEEPS9_SE_NS0_5tupleIJPjSE_EEENSF_IJSE_SE_EEES9_SG_JZNS1_25segmented_radix_sort_implINS0_14default_configELb1EPKaPaPKlPlN2at6native12_GLOBAL__N_18offset_tEEE10hipError_tPvRmT1_PNSt15iterator_traitsISY_E10value_typeET2_T3_PNSZ_IS14_E10value_typeET4_jRbjT5_S1A_jjP12ihipStream_tbEUljE_EEESV_SW_SX_S14_S18_S1A_T6_T7_T9_mT8_S1C_bDpT10_ENKUlT_T0_E_clISt17integral_constantIbLb1EES1P_EEDaS1K_S1L_EUlS1K_E_NS1_11comp_targetILNS1_3genE2ELNS1_11target_archE906ELNS1_3gpuE6ELNS1_3repE0EEENS1_30default_config_static_selectorELNS0_4arch9wavefront6targetE0EEEvSY_.has_dyn_sized_stack, 0
	.set _ZN7rocprim17ROCPRIM_400000_NS6detail17trampoline_kernelINS0_13select_configILj256ELj13ELNS0_17block_load_methodE3ELS4_3ELS4_3ELNS0_20block_scan_algorithmE0ELj4294967295EEENS1_25partition_config_selectorILNS1_17partition_subalgoE3EjNS0_10empty_typeEbEEZZNS1_14partition_implILS8_3ELb0ES6_jNS0_17counting_iteratorIjlEEPS9_SE_NS0_5tupleIJPjSE_EEENSF_IJSE_SE_EEES9_SG_JZNS1_25segmented_radix_sort_implINS0_14default_configELb1EPKaPaPKlPlN2at6native12_GLOBAL__N_18offset_tEEE10hipError_tPvRmT1_PNSt15iterator_traitsISY_E10value_typeET2_T3_PNSZ_IS14_E10value_typeET4_jRbjT5_S1A_jjP12ihipStream_tbEUljE_EEESV_SW_SX_S14_S18_S1A_T6_T7_T9_mT8_S1C_bDpT10_ENKUlT_T0_E_clISt17integral_constantIbLb1EES1P_EEDaS1K_S1L_EUlS1K_E_NS1_11comp_targetILNS1_3genE2ELNS1_11target_archE906ELNS1_3gpuE6ELNS1_3repE0EEENS1_30default_config_static_selectorELNS0_4arch9wavefront6targetE0EEEvSY_.has_recursion, 0
	.set _ZN7rocprim17ROCPRIM_400000_NS6detail17trampoline_kernelINS0_13select_configILj256ELj13ELNS0_17block_load_methodE3ELS4_3ELS4_3ELNS0_20block_scan_algorithmE0ELj4294967295EEENS1_25partition_config_selectorILNS1_17partition_subalgoE3EjNS0_10empty_typeEbEEZZNS1_14partition_implILS8_3ELb0ES6_jNS0_17counting_iteratorIjlEEPS9_SE_NS0_5tupleIJPjSE_EEENSF_IJSE_SE_EEES9_SG_JZNS1_25segmented_radix_sort_implINS0_14default_configELb1EPKaPaPKlPlN2at6native12_GLOBAL__N_18offset_tEEE10hipError_tPvRmT1_PNSt15iterator_traitsISY_E10value_typeET2_T3_PNSZ_IS14_E10value_typeET4_jRbjT5_S1A_jjP12ihipStream_tbEUljE_EEESV_SW_SX_S14_S18_S1A_T6_T7_T9_mT8_S1C_bDpT10_ENKUlT_T0_E_clISt17integral_constantIbLb1EES1P_EEDaS1K_S1L_EUlS1K_E_NS1_11comp_targetILNS1_3genE2ELNS1_11target_archE906ELNS1_3gpuE6ELNS1_3repE0EEENS1_30default_config_static_selectorELNS0_4arch9wavefront6targetE0EEEvSY_.has_indirect_call, 0
	.section	.AMDGPU.csdata,"",@progbits
; Kernel info:
; codeLenInByte = 0
; TotalNumSgprs: 0
; NumVgprs: 0
; ScratchSize: 0
; MemoryBound: 0
; FloatMode: 240
; IeeeMode: 1
; LDSByteSize: 0 bytes/workgroup (compile time only)
; SGPRBlocks: 0
; VGPRBlocks: 0
; NumSGPRsForWavesPerEU: 1
; NumVGPRsForWavesPerEU: 1
; NamedBarCnt: 0
; Occupancy: 16
; WaveLimiterHint : 0
; COMPUTE_PGM_RSRC2:SCRATCH_EN: 0
; COMPUTE_PGM_RSRC2:USER_SGPR: 2
; COMPUTE_PGM_RSRC2:TRAP_HANDLER: 0
; COMPUTE_PGM_RSRC2:TGID_X_EN: 1
; COMPUTE_PGM_RSRC2:TGID_Y_EN: 0
; COMPUTE_PGM_RSRC2:TGID_Z_EN: 0
; COMPUTE_PGM_RSRC2:TIDIG_COMP_CNT: 0
	.section	.text._ZN7rocprim17ROCPRIM_400000_NS6detail17trampoline_kernelINS0_13select_configILj256ELj13ELNS0_17block_load_methodE3ELS4_3ELS4_3ELNS0_20block_scan_algorithmE0ELj4294967295EEENS1_25partition_config_selectorILNS1_17partition_subalgoE3EjNS0_10empty_typeEbEEZZNS1_14partition_implILS8_3ELb0ES6_jNS0_17counting_iteratorIjlEEPS9_SE_NS0_5tupleIJPjSE_EEENSF_IJSE_SE_EEES9_SG_JZNS1_25segmented_radix_sort_implINS0_14default_configELb1EPKaPaPKlPlN2at6native12_GLOBAL__N_18offset_tEEE10hipError_tPvRmT1_PNSt15iterator_traitsISY_E10value_typeET2_T3_PNSZ_IS14_E10value_typeET4_jRbjT5_S1A_jjP12ihipStream_tbEUljE_EEESV_SW_SX_S14_S18_S1A_T6_T7_T9_mT8_S1C_bDpT10_ENKUlT_T0_E_clISt17integral_constantIbLb1EES1P_EEDaS1K_S1L_EUlS1K_E_NS1_11comp_targetILNS1_3genE10ELNS1_11target_archE1200ELNS1_3gpuE4ELNS1_3repE0EEENS1_30default_config_static_selectorELNS0_4arch9wavefront6targetE0EEEvSY_,"axG",@progbits,_ZN7rocprim17ROCPRIM_400000_NS6detail17trampoline_kernelINS0_13select_configILj256ELj13ELNS0_17block_load_methodE3ELS4_3ELS4_3ELNS0_20block_scan_algorithmE0ELj4294967295EEENS1_25partition_config_selectorILNS1_17partition_subalgoE3EjNS0_10empty_typeEbEEZZNS1_14partition_implILS8_3ELb0ES6_jNS0_17counting_iteratorIjlEEPS9_SE_NS0_5tupleIJPjSE_EEENSF_IJSE_SE_EEES9_SG_JZNS1_25segmented_radix_sort_implINS0_14default_configELb1EPKaPaPKlPlN2at6native12_GLOBAL__N_18offset_tEEE10hipError_tPvRmT1_PNSt15iterator_traitsISY_E10value_typeET2_T3_PNSZ_IS14_E10value_typeET4_jRbjT5_S1A_jjP12ihipStream_tbEUljE_EEESV_SW_SX_S14_S18_S1A_T6_T7_T9_mT8_S1C_bDpT10_ENKUlT_T0_E_clISt17integral_constantIbLb1EES1P_EEDaS1K_S1L_EUlS1K_E_NS1_11comp_targetILNS1_3genE10ELNS1_11target_archE1200ELNS1_3gpuE4ELNS1_3repE0EEENS1_30default_config_static_selectorELNS0_4arch9wavefront6targetE0EEEvSY_,comdat
	.globl	_ZN7rocprim17ROCPRIM_400000_NS6detail17trampoline_kernelINS0_13select_configILj256ELj13ELNS0_17block_load_methodE3ELS4_3ELS4_3ELNS0_20block_scan_algorithmE0ELj4294967295EEENS1_25partition_config_selectorILNS1_17partition_subalgoE3EjNS0_10empty_typeEbEEZZNS1_14partition_implILS8_3ELb0ES6_jNS0_17counting_iteratorIjlEEPS9_SE_NS0_5tupleIJPjSE_EEENSF_IJSE_SE_EEES9_SG_JZNS1_25segmented_radix_sort_implINS0_14default_configELb1EPKaPaPKlPlN2at6native12_GLOBAL__N_18offset_tEEE10hipError_tPvRmT1_PNSt15iterator_traitsISY_E10value_typeET2_T3_PNSZ_IS14_E10value_typeET4_jRbjT5_S1A_jjP12ihipStream_tbEUljE_EEESV_SW_SX_S14_S18_S1A_T6_T7_T9_mT8_S1C_bDpT10_ENKUlT_T0_E_clISt17integral_constantIbLb1EES1P_EEDaS1K_S1L_EUlS1K_E_NS1_11comp_targetILNS1_3genE10ELNS1_11target_archE1200ELNS1_3gpuE4ELNS1_3repE0EEENS1_30default_config_static_selectorELNS0_4arch9wavefront6targetE0EEEvSY_ ; -- Begin function _ZN7rocprim17ROCPRIM_400000_NS6detail17trampoline_kernelINS0_13select_configILj256ELj13ELNS0_17block_load_methodE3ELS4_3ELS4_3ELNS0_20block_scan_algorithmE0ELj4294967295EEENS1_25partition_config_selectorILNS1_17partition_subalgoE3EjNS0_10empty_typeEbEEZZNS1_14partition_implILS8_3ELb0ES6_jNS0_17counting_iteratorIjlEEPS9_SE_NS0_5tupleIJPjSE_EEENSF_IJSE_SE_EEES9_SG_JZNS1_25segmented_radix_sort_implINS0_14default_configELb1EPKaPaPKlPlN2at6native12_GLOBAL__N_18offset_tEEE10hipError_tPvRmT1_PNSt15iterator_traitsISY_E10value_typeET2_T3_PNSZ_IS14_E10value_typeET4_jRbjT5_S1A_jjP12ihipStream_tbEUljE_EEESV_SW_SX_S14_S18_S1A_T6_T7_T9_mT8_S1C_bDpT10_ENKUlT_T0_E_clISt17integral_constantIbLb1EES1P_EEDaS1K_S1L_EUlS1K_E_NS1_11comp_targetILNS1_3genE10ELNS1_11target_archE1200ELNS1_3gpuE4ELNS1_3repE0EEENS1_30default_config_static_selectorELNS0_4arch9wavefront6targetE0EEEvSY_
	.p2align	8
	.type	_ZN7rocprim17ROCPRIM_400000_NS6detail17trampoline_kernelINS0_13select_configILj256ELj13ELNS0_17block_load_methodE3ELS4_3ELS4_3ELNS0_20block_scan_algorithmE0ELj4294967295EEENS1_25partition_config_selectorILNS1_17partition_subalgoE3EjNS0_10empty_typeEbEEZZNS1_14partition_implILS8_3ELb0ES6_jNS0_17counting_iteratorIjlEEPS9_SE_NS0_5tupleIJPjSE_EEENSF_IJSE_SE_EEES9_SG_JZNS1_25segmented_radix_sort_implINS0_14default_configELb1EPKaPaPKlPlN2at6native12_GLOBAL__N_18offset_tEEE10hipError_tPvRmT1_PNSt15iterator_traitsISY_E10value_typeET2_T3_PNSZ_IS14_E10value_typeET4_jRbjT5_S1A_jjP12ihipStream_tbEUljE_EEESV_SW_SX_S14_S18_S1A_T6_T7_T9_mT8_S1C_bDpT10_ENKUlT_T0_E_clISt17integral_constantIbLb1EES1P_EEDaS1K_S1L_EUlS1K_E_NS1_11comp_targetILNS1_3genE10ELNS1_11target_archE1200ELNS1_3gpuE4ELNS1_3repE0EEENS1_30default_config_static_selectorELNS0_4arch9wavefront6targetE0EEEvSY_,@function
_ZN7rocprim17ROCPRIM_400000_NS6detail17trampoline_kernelINS0_13select_configILj256ELj13ELNS0_17block_load_methodE3ELS4_3ELS4_3ELNS0_20block_scan_algorithmE0ELj4294967295EEENS1_25partition_config_selectorILNS1_17partition_subalgoE3EjNS0_10empty_typeEbEEZZNS1_14partition_implILS8_3ELb0ES6_jNS0_17counting_iteratorIjlEEPS9_SE_NS0_5tupleIJPjSE_EEENSF_IJSE_SE_EEES9_SG_JZNS1_25segmented_radix_sort_implINS0_14default_configELb1EPKaPaPKlPlN2at6native12_GLOBAL__N_18offset_tEEE10hipError_tPvRmT1_PNSt15iterator_traitsISY_E10value_typeET2_T3_PNSZ_IS14_E10value_typeET4_jRbjT5_S1A_jjP12ihipStream_tbEUljE_EEESV_SW_SX_S14_S18_S1A_T6_T7_T9_mT8_S1C_bDpT10_ENKUlT_T0_E_clISt17integral_constantIbLb1EES1P_EEDaS1K_S1L_EUlS1K_E_NS1_11comp_targetILNS1_3genE10ELNS1_11target_archE1200ELNS1_3gpuE4ELNS1_3repE0EEENS1_30default_config_static_selectorELNS0_4arch9wavefront6targetE0EEEvSY_: ; @_ZN7rocprim17ROCPRIM_400000_NS6detail17trampoline_kernelINS0_13select_configILj256ELj13ELNS0_17block_load_methodE3ELS4_3ELS4_3ELNS0_20block_scan_algorithmE0ELj4294967295EEENS1_25partition_config_selectorILNS1_17partition_subalgoE3EjNS0_10empty_typeEbEEZZNS1_14partition_implILS8_3ELb0ES6_jNS0_17counting_iteratorIjlEEPS9_SE_NS0_5tupleIJPjSE_EEENSF_IJSE_SE_EEES9_SG_JZNS1_25segmented_radix_sort_implINS0_14default_configELb1EPKaPaPKlPlN2at6native12_GLOBAL__N_18offset_tEEE10hipError_tPvRmT1_PNSt15iterator_traitsISY_E10value_typeET2_T3_PNSZ_IS14_E10value_typeET4_jRbjT5_S1A_jjP12ihipStream_tbEUljE_EEESV_SW_SX_S14_S18_S1A_T6_T7_T9_mT8_S1C_bDpT10_ENKUlT_T0_E_clISt17integral_constantIbLb1EES1P_EEDaS1K_S1L_EUlS1K_E_NS1_11comp_targetILNS1_3genE10ELNS1_11target_archE1200ELNS1_3gpuE4ELNS1_3repE0EEENS1_30default_config_static_selectorELNS0_4arch9wavefront6targetE0EEEvSY_
; %bb.0:
	.section	.rodata,"a",@progbits
	.p2align	6, 0x0
	.amdhsa_kernel _ZN7rocprim17ROCPRIM_400000_NS6detail17trampoline_kernelINS0_13select_configILj256ELj13ELNS0_17block_load_methodE3ELS4_3ELS4_3ELNS0_20block_scan_algorithmE0ELj4294967295EEENS1_25partition_config_selectorILNS1_17partition_subalgoE3EjNS0_10empty_typeEbEEZZNS1_14partition_implILS8_3ELb0ES6_jNS0_17counting_iteratorIjlEEPS9_SE_NS0_5tupleIJPjSE_EEENSF_IJSE_SE_EEES9_SG_JZNS1_25segmented_radix_sort_implINS0_14default_configELb1EPKaPaPKlPlN2at6native12_GLOBAL__N_18offset_tEEE10hipError_tPvRmT1_PNSt15iterator_traitsISY_E10value_typeET2_T3_PNSZ_IS14_E10value_typeET4_jRbjT5_S1A_jjP12ihipStream_tbEUljE_EEESV_SW_SX_S14_S18_S1A_T6_T7_T9_mT8_S1C_bDpT10_ENKUlT_T0_E_clISt17integral_constantIbLb1EES1P_EEDaS1K_S1L_EUlS1K_E_NS1_11comp_targetILNS1_3genE10ELNS1_11target_archE1200ELNS1_3gpuE4ELNS1_3repE0EEENS1_30default_config_static_selectorELNS0_4arch9wavefront6targetE0EEEvSY_
		.amdhsa_group_segment_fixed_size 0
		.amdhsa_private_segment_fixed_size 0
		.amdhsa_kernarg_size 152
		.amdhsa_user_sgpr_count 2
		.amdhsa_user_sgpr_dispatch_ptr 0
		.amdhsa_user_sgpr_queue_ptr 0
		.amdhsa_user_sgpr_kernarg_segment_ptr 1
		.amdhsa_user_sgpr_dispatch_id 0
		.amdhsa_user_sgpr_kernarg_preload_length 0
		.amdhsa_user_sgpr_kernarg_preload_offset 0
		.amdhsa_user_sgpr_private_segment_size 0
		.amdhsa_wavefront_size32 1
		.amdhsa_uses_dynamic_stack 0
		.amdhsa_enable_private_segment 0
		.amdhsa_system_sgpr_workgroup_id_x 1
		.amdhsa_system_sgpr_workgroup_id_y 0
		.amdhsa_system_sgpr_workgroup_id_z 0
		.amdhsa_system_sgpr_workgroup_info 0
		.amdhsa_system_vgpr_workitem_id 0
		.amdhsa_next_free_vgpr 1
		.amdhsa_next_free_sgpr 1
		.amdhsa_named_barrier_count 0
		.amdhsa_reserve_vcc 0
		.amdhsa_float_round_mode_32 0
		.amdhsa_float_round_mode_16_64 0
		.amdhsa_float_denorm_mode_32 3
		.amdhsa_float_denorm_mode_16_64 3
		.amdhsa_fp16_overflow 0
		.amdhsa_memory_ordered 1
		.amdhsa_forward_progress 1
		.amdhsa_inst_pref_size 0
		.amdhsa_round_robin_scheduling 0
		.amdhsa_exception_fp_ieee_invalid_op 0
		.amdhsa_exception_fp_denorm_src 0
		.amdhsa_exception_fp_ieee_div_zero 0
		.amdhsa_exception_fp_ieee_overflow 0
		.amdhsa_exception_fp_ieee_underflow 0
		.amdhsa_exception_fp_ieee_inexact 0
		.amdhsa_exception_int_div_zero 0
	.end_amdhsa_kernel
	.section	.text._ZN7rocprim17ROCPRIM_400000_NS6detail17trampoline_kernelINS0_13select_configILj256ELj13ELNS0_17block_load_methodE3ELS4_3ELS4_3ELNS0_20block_scan_algorithmE0ELj4294967295EEENS1_25partition_config_selectorILNS1_17partition_subalgoE3EjNS0_10empty_typeEbEEZZNS1_14partition_implILS8_3ELb0ES6_jNS0_17counting_iteratorIjlEEPS9_SE_NS0_5tupleIJPjSE_EEENSF_IJSE_SE_EEES9_SG_JZNS1_25segmented_radix_sort_implINS0_14default_configELb1EPKaPaPKlPlN2at6native12_GLOBAL__N_18offset_tEEE10hipError_tPvRmT1_PNSt15iterator_traitsISY_E10value_typeET2_T3_PNSZ_IS14_E10value_typeET4_jRbjT5_S1A_jjP12ihipStream_tbEUljE_EEESV_SW_SX_S14_S18_S1A_T6_T7_T9_mT8_S1C_bDpT10_ENKUlT_T0_E_clISt17integral_constantIbLb1EES1P_EEDaS1K_S1L_EUlS1K_E_NS1_11comp_targetILNS1_3genE10ELNS1_11target_archE1200ELNS1_3gpuE4ELNS1_3repE0EEENS1_30default_config_static_selectorELNS0_4arch9wavefront6targetE0EEEvSY_,"axG",@progbits,_ZN7rocprim17ROCPRIM_400000_NS6detail17trampoline_kernelINS0_13select_configILj256ELj13ELNS0_17block_load_methodE3ELS4_3ELS4_3ELNS0_20block_scan_algorithmE0ELj4294967295EEENS1_25partition_config_selectorILNS1_17partition_subalgoE3EjNS0_10empty_typeEbEEZZNS1_14partition_implILS8_3ELb0ES6_jNS0_17counting_iteratorIjlEEPS9_SE_NS0_5tupleIJPjSE_EEENSF_IJSE_SE_EEES9_SG_JZNS1_25segmented_radix_sort_implINS0_14default_configELb1EPKaPaPKlPlN2at6native12_GLOBAL__N_18offset_tEEE10hipError_tPvRmT1_PNSt15iterator_traitsISY_E10value_typeET2_T3_PNSZ_IS14_E10value_typeET4_jRbjT5_S1A_jjP12ihipStream_tbEUljE_EEESV_SW_SX_S14_S18_S1A_T6_T7_T9_mT8_S1C_bDpT10_ENKUlT_T0_E_clISt17integral_constantIbLb1EES1P_EEDaS1K_S1L_EUlS1K_E_NS1_11comp_targetILNS1_3genE10ELNS1_11target_archE1200ELNS1_3gpuE4ELNS1_3repE0EEENS1_30default_config_static_selectorELNS0_4arch9wavefront6targetE0EEEvSY_,comdat
.Lfunc_end269:
	.size	_ZN7rocprim17ROCPRIM_400000_NS6detail17trampoline_kernelINS0_13select_configILj256ELj13ELNS0_17block_load_methodE3ELS4_3ELS4_3ELNS0_20block_scan_algorithmE0ELj4294967295EEENS1_25partition_config_selectorILNS1_17partition_subalgoE3EjNS0_10empty_typeEbEEZZNS1_14partition_implILS8_3ELb0ES6_jNS0_17counting_iteratorIjlEEPS9_SE_NS0_5tupleIJPjSE_EEENSF_IJSE_SE_EEES9_SG_JZNS1_25segmented_radix_sort_implINS0_14default_configELb1EPKaPaPKlPlN2at6native12_GLOBAL__N_18offset_tEEE10hipError_tPvRmT1_PNSt15iterator_traitsISY_E10value_typeET2_T3_PNSZ_IS14_E10value_typeET4_jRbjT5_S1A_jjP12ihipStream_tbEUljE_EEESV_SW_SX_S14_S18_S1A_T6_T7_T9_mT8_S1C_bDpT10_ENKUlT_T0_E_clISt17integral_constantIbLb1EES1P_EEDaS1K_S1L_EUlS1K_E_NS1_11comp_targetILNS1_3genE10ELNS1_11target_archE1200ELNS1_3gpuE4ELNS1_3repE0EEENS1_30default_config_static_selectorELNS0_4arch9wavefront6targetE0EEEvSY_, .Lfunc_end269-_ZN7rocprim17ROCPRIM_400000_NS6detail17trampoline_kernelINS0_13select_configILj256ELj13ELNS0_17block_load_methodE3ELS4_3ELS4_3ELNS0_20block_scan_algorithmE0ELj4294967295EEENS1_25partition_config_selectorILNS1_17partition_subalgoE3EjNS0_10empty_typeEbEEZZNS1_14partition_implILS8_3ELb0ES6_jNS0_17counting_iteratorIjlEEPS9_SE_NS0_5tupleIJPjSE_EEENSF_IJSE_SE_EEES9_SG_JZNS1_25segmented_radix_sort_implINS0_14default_configELb1EPKaPaPKlPlN2at6native12_GLOBAL__N_18offset_tEEE10hipError_tPvRmT1_PNSt15iterator_traitsISY_E10value_typeET2_T3_PNSZ_IS14_E10value_typeET4_jRbjT5_S1A_jjP12ihipStream_tbEUljE_EEESV_SW_SX_S14_S18_S1A_T6_T7_T9_mT8_S1C_bDpT10_ENKUlT_T0_E_clISt17integral_constantIbLb1EES1P_EEDaS1K_S1L_EUlS1K_E_NS1_11comp_targetILNS1_3genE10ELNS1_11target_archE1200ELNS1_3gpuE4ELNS1_3repE0EEENS1_30default_config_static_selectorELNS0_4arch9wavefront6targetE0EEEvSY_
                                        ; -- End function
	.set _ZN7rocprim17ROCPRIM_400000_NS6detail17trampoline_kernelINS0_13select_configILj256ELj13ELNS0_17block_load_methodE3ELS4_3ELS4_3ELNS0_20block_scan_algorithmE0ELj4294967295EEENS1_25partition_config_selectorILNS1_17partition_subalgoE3EjNS0_10empty_typeEbEEZZNS1_14partition_implILS8_3ELb0ES6_jNS0_17counting_iteratorIjlEEPS9_SE_NS0_5tupleIJPjSE_EEENSF_IJSE_SE_EEES9_SG_JZNS1_25segmented_radix_sort_implINS0_14default_configELb1EPKaPaPKlPlN2at6native12_GLOBAL__N_18offset_tEEE10hipError_tPvRmT1_PNSt15iterator_traitsISY_E10value_typeET2_T3_PNSZ_IS14_E10value_typeET4_jRbjT5_S1A_jjP12ihipStream_tbEUljE_EEESV_SW_SX_S14_S18_S1A_T6_T7_T9_mT8_S1C_bDpT10_ENKUlT_T0_E_clISt17integral_constantIbLb1EES1P_EEDaS1K_S1L_EUlS1K_E_NS1_11comp_targetILNS1_3genE10ELNS1_11target_archE1200ELNS1_3gpuE4ELNS1_3repE0EEENS1_30default_config_static_selectorELNS0_4arch9wavefront6targetE0EEEvSY_.num_vgpr, 0
	.set _ZN7rocprim17ROCPRIM_400000_NS6detail17trampoline_kernelINS0_13select_configILj256ELj13ELNS0_17block_load_methodE3ELS4_3ELS4_3ELNS0_20block_scan_algorithmE0ELj4294967295EEENS1_25partition_config_selectorILNS1_17partition_subalgoE3EjNS0_10empty_typeEbEEZZNS1_14partition_implILS8_3ELb0ES6_jNS0_17counting_iteratorIjlEEPS9_SE_NS0_5tupleIJPjSE_EEENSF_IJSE_SE_EEES9_SG_JZNS1_25segmented_radix_sort_implINS0_14default_configELb1EPKaPaPKlPlN2at6native12_GLOBAL__N_18offset_tEEE10hipError_tPvRmT1_PNSt15iterator_traitsISY_E10value_typeET2_T3_PNSZ_IS14_E10value_typeET4_jRbjT5_S1A_jjP12ihipStream_tbEUljE_EEESV_SW_SX_S14_S18_S1A_T6_T7_T9_mT8_S1C_bDpT10_ENKUlT_T0_E_clISt17integral_constantIbLb1EES1P_EEDaS1K_S1L_EUlS1K_E_NS1_11comp_targetILNS1_3genE10ELNS1_11target_archE1200ELNS1_3gpuE4ELNS1_3repE0EEENS1_30default_config_static_selectorELNS0_4arch9wavefront6targetE0EEEvSY_.num_agpr, 0
	.set _ZN7rocprim17ROCPRIM_400000_NS6detail17trampoline_kernelINS0_13select_configILj256ELj13ELNS0_17block_load_methodE3ELS4_3ELS4_3ELNS0_20block_scan_algorithmE0ELj4294967295EEENS1_25partition_config_selectorILNS1_17partition_subalgoE3EjNS0_10empty_typeEbEEZZNS1_14partition_implILS8_3ELb0ES6_jNS0_17counting_iteratorIjlEEPS9_SE_NS0_5tupleIJPjSE_EEENSF_IJSE_SE_EEES9_SG_JZNS1_25segmented_radix_sort_implINS0_14default_configELb1EPKaPaPKlPlN2at6native12_GLOBAL__N_18offset_tEEE10hipError_tPvRmT1_PNSt15iterator_traitsISY_E10value_typeET2_T3_PNSZ_IS14_E10value_typeET4_jRbjT5_S1A_jjP12ihipStream_tbEUljE_EEESV_SW_SX_S14_S18_S1A_T6_T7_T9_mT8_S1C_bDpT10_ENKUlT_T0_E_clISt17integral_constantIbLb1EES1P_EEDaS1K_S1L_EUlS1K_E_NS1_11comp_targetILNS1_3genE10ELNS1_11target_archE1200ELNS1_3gpuE4ELNS1_3repE0EEENS1_30default_config_static_selectorELNS0_4arch9wavefront6targetE0EEEvSY_.numbered_sgpr, 0
	.set _ZN7rocprim17ROCPRIM_400000_NS6detail17trampoline_kernelINS0_13select_configILj256ELj13ELNS0_17block_load_methodE3ELS4_3ELS4_3ELNS0_20block_scan_algorithmE0ELj4294967295EEENS1_25partition_config_selectorILNS1_17partition_subalgoE3EjNS0_10empty_typeEbEEZZNS1_14partition_implILS8_3ELb0ES6_jNS0_17counting_iteratorIjlEEPS9_SE_NS0_5tupleIJPjSE_EEENSF_IJSE_SE_EEES9_SG_JZNS1_25segmented_radix_sort_implINS0_14default_configELb1EPKaPaPKlPlN2at6native12_GLOBAL__N_18offset_tEEE10hipError_tPvRmT1_PNSt15iterator_traitsISY_E10value_typeET2_T3_PNSZ_IS14_E10value_typeET4_jRbjT5_S1A_jjP12ihipStream_tbEUljE_EEESV_SW_SX_S14_S18_S1A_T6_T7_T9_mT8_S1C_bDpT10_ENKUlT_T0_E_clISt17integral_constantIbLb1EES1P_EEDaS1K_S1L_EUlS1K_E_NS1_11comp_targetILNS1_3genE10ELNS1_11target_archE1200ELNS1_3gpuE4ELNS1_3repE0EEENS1_30default_config_static_selectorELNS0_4arch9wavefront6targetE0EEEvSY_.num_named_barrier, 0
	.set _ZN7rocprim17ROCPRIM_400000_NS6detail17trampoline_kernelINS0_13select_configILj256ELj13ELNS0_17block_load_methodE3ELS4_3ELS4_3ELNS0_20block_scan_algorithmE0ELj4294967295EEENS1_25partition_config_selectorILNS1_17partition_subalgoE3EjNS0_10empty_typeEbEEZZNS1_14partition_implILS8_3ELb0ES6_jNS0_17counting_iteratorIjlEEPS9_SE_NS0_5tupleIJPjSE_EEENSF_IJSE_SE_EEES9_SG_JZNS1_25segmented_radix_sort_implINS0_14default_configELb1EPKaPaPKlPlN2at6native12_GLOBAL__N_18offset_tEEE10hipError_tPvRmT1_PNSt15iterator_traitsISY_E10value_typeET2_T3_PNSZ_IS14_E10value_typeET4_jRbjT5_S1A_jjP12ihipStream_tbEUljE_EEESV_SW_SX_S14_S18_S1A_T6_T7_T9_mT8_S1C_bDpT10_ENKUlT_T0_E_clISt17integral_constantIbLb1EES1P_EEDaS1K_S1L_EUlS1K_E_NS1_11comp_targetILNS1_3genE10ELNS1_11target_archE1200ELNS1_3gpuE4ELNS1_3repE0EEENS1_30default_config_static_selectorELNS0_4arch9wavefront6targetE0EEEvSY_.private_seg_size, 0
	.set _ZN7rocprim17ROCPRIM_400000_NS6detail17trampoline_kernelINS0_13select_configILj256ELj13ELNS0_17block_load_methodE3ELS4_3ELS4_3ELNS0_20block_scan_algorithmE0ELj4294967295EEENS1_25partition_config_selectorILNS1_17partition_subalgoE3EjNS0_10empty_typeEbEEZZNS1_14partition_implILS8_3ELb0ES6_jNS0_17counting_iteratorIjlEEPS9_SE_NS0_5tupleIJPjSE_EEENSF_IJSE_SE_EEES9_SG_JZNS1_25segmented_radix_sort_implINS0_14default_configELb1EPKaPaPKlPlN2at6native12_GLOBAL__N_18offset_tEEE10hipError_tPvRmT1_PNSt15iterator_traitsISY_E10value_typeET2_T3_PNSZ_IS14_E10value_typeET4_jRbjT5_S1A_jjP12ihipStream_tbEUljE_EEESV_SW_SX_S14_S18_S1A_T6_T7_T9_mT8_S1C_bDpT10_ENKUlT_T0_E_clISt17integral_constantIbLb1EES1P_EEDaS1K_S1L_EUlS1K_E_NS1_11comp_targetILNS1_3genE10ELNS1_11target_archE1200ELNS1_3gpuE4ELNS1_3repE0EEENS1_30default_config_static_selectorELNS0_4arch9wavefront6targetE0EEEvSY_.uses_vcc, 0
	.set _ZN7rocprim17ROCPRIM_400000_NS6detail17trampoline_kernelINS0_13select_configILj256ELj13ELNS0_17block_load_methodE3ELS4_3ELS4_3ELNS0_20block_scan_algorithmE0ELj4294967295EEENS1_25partition_config_selectorILNS1_17partition_subalgoE3EjNS0_10empty_typeEbEEZZNS1_14partition_implILS8_3ELb0ES6_jNS0_17counting_iteratorIjlEEPS9_SE_NS0_5tupleIJPjSE_EEENSF_IJSE_SE_EEES9_SG_JZNS1_25segmented_radix_sort_implINS0_14default_configELb1EPKaPaPKlPlN2at6native12_GLOBAL__N_18offset_tEEE10hipError_tPvRmT1_PNSt15iterator_traitsISY_E10value_typeET2_T3_PNSZ_IS14_E10value_typeET4_jRbjT5_S1A_jjP12ihipStream_tbEUljE_EEESV_SW_SX_S14_S18_S1A_T6_T7_T9_mT8_S1C_bDpT10_ENKUlT_T0_E_clISt17integral_constantIbLb1EES1P_EEDaS1K_S1L_EUlS1K_E_NS1_11comp_targetILNS1_3genE10ELNS1_11target_archE1200ELNS1_3gpuE4ELNS1_3repE0EEENS1_30default_config_static_selectorELNS0_4arch9wavefront6targetE0EEEvSY_.uses_flat_scratch, 0
	.set _ZN7rocprim17ROCPRIM_400000_NS6detail17trampoline_kernelINS0_13select_configILj256ELj13ELNS0_17block_load_methodE3ELS4_3ELS4_3ELNS0_20block_scan_algorithmE0ELj4294967295EEENS1_25partition_config_selectorILNS1_17partition_subalgoE3EjNS0_10empty_typeEbEEZZNS1_14partition_implILS8_3ELb0ES6_jNS0_17counting_iteratorIjlEEPS9_SE_NS0_5tupleIJPjSE_EEENSF_IJSE_SE_EEES9_SG_JZNS1_25segmented_radix_sort_implINS0_14default_configELb1EPKaPaPKlPlN2at6native12_GLOBAL__N_18offset_tEEE10hipError_tPvRmT1_PNSt15iterator_traitsISY_E10value_typeET2_T3_PNSZ_IS14_E10value_typeET4_jRbjT5_S1A_jjP12ihipStream_tbEUljE_EEESV_SW_SX_S14_S18_S1A_T6_T7_T9_mT8_S1C_bDpT10_ENKUlT_T0_E_clISt17integral_constantIbLb1EES1P_EEDaS1K_S1L_EUlS1K_E_NS1_11comp_targetILNS1_3genE10ELNS1_11target_archE1200ELNS1_3gpuE4ELNS1_3repE0EEENS1_30default_config_static_selectorELNS0_4arch9wavefront6targetE0EEEvSY_.has_dyn_sized_stack, 0
	.set _ZN7rocprim17ROCPRIM_400000_NS6detail17trampoline_kernelINS0_13select_configILj256ELj13ELNS0_17block_load_methodE3ELS4_3ELS4_3ELNS0_20block_scan_algorithmE0ELj4294967295EEENS1_25partition_config_selectorILNS1_17partition_subalgoE3EjNS0_10empty_typeEbEEZZNS1_14partition_implILS8_3ELb0ES6_jNS0_17counting_iteratorIjlEEPS9_SE_NS0_5tupleIJPjSE_EEENSF_IJSE_SE_EEES9_SG_JZNS1_25segmented_radix_sort_implINS0_14default_configELb1EPKaPaPKlPlN2at6native12_GLOBAL__N_18offset_tEEE10hipError_tPvRmT1_PNSt15iterator_traitsISY_E10value_typeET2_T3_PNSZ_IS14_E10value_typeET4_jRbjT5_S1A_jjP12ihipStream_tbEUljE_EEESV_SW_SX_S14_S18_S1A_T6_T7_T9_mT8_S1C_bDpT10_ENKUlT_T0_E_clISt17integral_constantIbLb1EES1P_EEDaS1K_S1L_EUlS1K_E_NS1_11comp_targetILNS1_3genE10ELNS1_11target_archE1200ELNS1_3gpuE4ELNS1_3repE0EEENS1_30default_config_static_selectorELNS0_4arch9wavefront6targetE0EEEvSY_.has_recursion, 0
	.set _ZN7rocprim17ROCPRIM_400000_NS6detail17trampoline_kernelINS0_13select_configILj256ELj13ELNS0_17block_load_methodE3ELS4_3ELS4_3ELNS0_20block_scan_algorithmE0ELj4294967295EEENS1_25partition_config_selectorILNS1_17partition_subalgoE3EjNS0_10empty_typeEbEEZZNS1_14partition_implILS8_3ELb0ES6_jNS0_17counting_iteratorIjlEEPS9_SE_NS0_5tupleIJPjSE_EEENSF_IJSE_SE_EEES9_SG_JZNS1_25segmented_radix_sort_implINS0_14default_configELb1EPKaPaPKlPlN2at6native12_GLOBAL__N_18offset_tEEE10hipError_tPvRmT1_PNSt15iterator_traitsISY_E10value_typeET2_T3_PNSZ_IS14_E10value_typeET4_jRbjT5_S1A_jjP12ihipStream_tbEUljE_EEESV_SW_SX_S14_S18_S1A_T6_T7_T9_mT8_S1C_bDpT10_ENKUlT_T0_E_clISt17integral_constantIbLb1EES1P_EEDaS1K_S1L_EUlS1K_E_NS1_11comp_targetILNS1_3genE10ELNS1_11target_archE1200ELNS1_3gpuE4ELNS1_3repE0EEENS1_30default_config_static_selectorELNS0_4arch9wavefront6targetE0EEEvSY_.has_indirect_call, 0
	.section	.AMDGPU.csdata,"",@progbits
; Kernel info:
; codeLenInByte = 0
; TotalNumSgprs: 0
; NumVgprs: 0
; ScratchSize: 0
; MemoryBound: 0
; FloatMode: 240
; IeeeMode: 1
; LDSByteSize: 0 bytes/workgroup (compile time only)
; SGPRBlocks: 0
; VGPRBlocks: 0
; NumSGPRsForWavesPerEU: 1
; NumVGPRsForWavesPerEU: 1
; NamedBarCnt: 0
; Occupancy: 16
; WaveLimiterHint : 0
; COMPUTE_PGM_RSRC2:SCRATCH_EN: 0
; COMPUTE_PGM_RSRC2:USER_SGPR: 2
; COMPUTE_PGM_RSRC2:TRAP_HANDLER: 0
; COMPUTE_PGM_RSRC2:TGID_X_EN: 1
; COMPUTE_PGM_RSRC2:TGID_Y_EN: 0
; COMPUTE_PGM_RSRC2:TGID_Z_EN: 0
; COMPUTE_PGM_RSRC2:TIDIG_COMP_CNT: 0
	.section	.text._ZN7rocprim17ROCPRIM_400000_NS6detail17trampoline_kernelINS0_13select_configILj256ELj13ELNS0_17block_load_methodE3ELS4_3ELS4_3ELNS0_20block_scan_algorithmE0ELj4294967295EEENS1_25partition_config_selectorILNS1_17partition_subalgoE3EjNS0_10empty_typeEbEEZZNS1_14partition_implILS8_3ELb0ES6_jNS0_17counting_iteratorIjlEEPS9_SE_NS0_5tupleIJPjSE_EEENSF_IJSE_SE_EEES9_SG_JZNS1_25segmented_radix_sort_implINS0_14default_configELb1EPKaPaPKlPlN2at6native12_GLOBAL__N_18offset_tEEE10hipError_tPvRmT1_PNSt15iterator_traitsISY_E10value_typeET2_T3_PNSZ_IS14_E10value_typeET4_jRbjT5_S1A_jjP12ihipStream_tbEUljE_EEESV_SW_SX_S14_S18_S1A_T6_T7_T9_mT8_S1C_bDpT10_ENKUlT_T0_E_clISt17integral_constantIbLb1EES1P_EEDaS1K_S1L_EUlS1K_E_NS1_11comp_targetILNS1_3genE9ELNS1_11target_archE1100ELNS1_3gpuE3ELNS1_3repE0EEENS1_30default_config_static_selectorELNS0_4arch9wavefront6targetE0EEEvSY_,"axG",@progbits,_ZN7rocprim17ROCPRIM_400000_NS6detail17trampoline_kernelINS0_13select_configILj256ELj13ELNS0_17block_load_methodE3ELS4_3ELS4_3ELNS0_20block_scan_algorithmE0ELj4294967295EEENS1_25partition_config_selectorILNS1_17partition_subalgoE3EjNS0_10empty_typeEbEEZZNS1_14partition_implILS8_3ELb0ES6_jNS0_17counting_iteratorIjlEEPS9_SE_NS0_5tupleIJPjSE_EEENSF_IJSE_SE_EEES9_SG_JZNS1_25segmented_radix_sort_implINS0_14default_configELb1EPKaPaPKlPlN2at6native12_GLOBAL__N_18offset_tEEE10hipError_tPvRmT1_PNSt15iterator_traitsISY_E10value_typeET2_T3_PNSZ_IS14_E10value_typeET4_jRbjT5_S1A_jjP12ihipStream_tbEUljE_EEESV_SW_SX_S14_S18_S1A_T6_T7_T9_mT8_S1C_bDpT10_ENKUlT_T0_E_clISt17integral_constantIbLb1EES1P_EEDaS1K_S1L_EUlS1K_E_NS1_11comp_targetILNS1_3genE9ELNS1_11target_archE1100ELNS1_3gpuE3ELNS1_3repE0EEENS1_30default_config_static_selectorELNS0_4arch9wavefront6targetE0EEEvSY_,comdat
	.globl	_ZN7rocprim17ROCPRIM_400000_NS6detail17trampoline_kernelINS0_13select_configILj256ELj13ELNS0_17block_load_methodE3ELS4_3ELS4_3ELNS0_20block_scan_algorithmE0ELj4294967295EEENS1_25partition_config_selectorILNS1_17partition_subalgoE3EjNS0_10empty_typeEbEEZZNS1_14partition_implILS8_3ELb0ES6_jNS0_17counting_iteratorIjlEEPS9_SE_NS0_5tupleIJPjSE_EEENSF_IJSE_SE_EEES9_SG_JZNS1_25segmented_radix_sort_implINS0_14default_configELb1EPKaPaPKlPlN2at6native12_GLOBAL__N_18offset_tEEE10hipError_tPvRmT1_PNSt15iterator_traitsISY_E10value_typeET2_T3_PNSZ_IS14_E10value_typeET4_jRbjT5_S1A_jjP12ihipStream_tbEUljE_EEESV_SW_SX_S14_S18_S1A_T6_T7_T9_mT8_S1C_bDpT10_ENKUlT_T0_E_clISt17integral_constantIbLb1EES1P_EEDaS1K_S1L_EUlS1K_E_NS1_11comp_targetILNS1_3genE9ELNS1_11target_archE1100ELNS1_3gpuE3ELNS1_3repE0EEENS1_30default_config_static_selectorELNS0_4arch9wavefront6targetE0EEEvSY_ ; -- Begin function _ZN7rocprim17ROCPRIM_400000_NS6detail17trampoline_kernelINS0_13select_configILj256ELj13ELNS0_17block_load_methodE3ELS4_3ELS4_3ELNS0_20block_scan_algorithmE0ELj4294967295EEENS1_25partition_config_selectorILNS1_17partition_subalgoE3EjNS0_10empty_typeEbEEZZNS1_14partition_implILS8_3ELb0ES6_jNS0_17counting_iteratorIjlEEPS9_SE_NS0_5tupleIJPjSE_EEENSF_IJSE_SE_EEES9_SG_JZNS1_25segmented_radix_sort_implINS0_14default_configELb1EPKaPaPKlPlN2at6native12_GLOBAL__N_18offset_tEEE10hipError_tPvRmT1_PNSt15iterator_traitsISY_E10value_typeET2_T3_PNSZ_IS14_E10value_typeET4_jRbjT5_S1A_jjP12ihipStream_tbEUljE_EEESV_SW_SX_S14_S18_S1A_T6_T7_T9_mT8_S1C_bDpT10_ENKUlT_T0_E_clISt17integral_constantIbLb1EES1P_EEDaS1K_S1L_EUlS1K_E_NS1_11comp_targetILNS1_3genE9ELNS1_11target_archE1100ELNS1_3gpuE3ELNS1_3repE0EEENS1_30default_config_static_selectorELNS0_4arch9wavefront6targetE0EEEvSY_
	.p2align	8
	.type	_ZN7rocprim17ROCPRIM_400000_NS6detail17trampoline_kernelINS0_13select_configILj256ELj13ELNS0_17block_load_methodE3ELS4_3ELS4_3ELNS0_20block_scan_algorithmE0ELj4294967295EEENS1_25partition_config_selectorILNS1_17partition_subalgoE3EjNS0_10empty_typeEbEEZZNS1_14partition_implILS8_3ELb0ES6_jNS0_17counting_iteratorIjlEEPS9_SE_NS0_5tupleIJPjSE_EEENSF_IJSE_SE_EEES9_SG_JZNS1_25segmented_radix_sort_implINS0_14default_configELb1EPKaPaPKlPlN2at6native12_GLOBAL__N_18offset_tEEE10hipError_tPvRmT1_PNSt15iterator_traitsISY_E10value_typeET2_T3_PNSZ_IS14_E10value_typeET4_jRbjT5_S1A_jjP12ihipStream_tbEUljE_EEESV_SW_SX_S14_S18_S1A_T6_T7_T9_mT8_S1C_bDpT10_ENKUlT_T0_E_clISt17integral_constantIbLb1EES1P_EEDaS1K_S1L_EUlS1K_E_NS1_11comp_targetILNS1_3genE9ELNS1_11target_archE1100ELNS1_3gpuE3ELNS1_3repE0EEENS1_30default_config_static_selectorELNS0_4arch9wavefront6targetE0EEEvSY_,@function
_ZN7rocprim17ROCPRIM_400000_NS6detail17trampoline_kernelINS0_13select_configILj256ELj13ELNS0_17block_load_methodE3ELS4_3ELS4_3ELNS0_20block_scan_algorithmE0ELj4294967295EEENS1_25partition_config_selectorILNS1_17partition_subalgoE3EjNS0_10empty_typeEbEEZZNS1_14partition_implILS8_3ELb0ES6_jNS0_17counting_iteratorIjlEEPS9_SE_NS0_5tupleIJPjSE_EEENSF_IJSE_SE_EEES9_SG_JZNS1_25segmented_radix_sort_implINS0_14default_configELb1EPKaPaPKlPlN2at6native12_GLOBAL__N_18offset_tEEE10hipError_tPvRmT1_PNSt15iterator_traitsISY_E10value_typeET2_T3_PNSZ_IS14_E10value_typeET4_jRbjT5_S1A_jjP12ihipStream_tbEUljE_EEESV_SW_SX_S14_S18_S1A_T6_T7_T9_mT8_S1C_bDpT10_ENKUlT_T0_E_clISt17integral_constantIbLb1EES1P_EEDaS1K_S1L_EUlS1K_E_NS1_11comp_targetILNS1_3genE9ELNS1_11target_archE1100ELNS1_3gpuE3ELNS1_3repE0EEENS1_30default_config_static_selectorELNS0_4arch9wavefront6targetE0EEEvSY_: ; @_ZN7rocprim17ROCPRIM_400000_NS6detail17trampoline_kernelINS0_13select_configILj256ELj13ELNS0_17block_load_methodE3ELS4_3ELS4_3ELNS0_20block_scan_algorithmE0ELj4294967295EEENS1_25partition_config_selectorILNS1_17partition_subalgoE3EjNS0_10empty_typeEbEEZZNS1_14partition_implILS8_3ELb0ES6_jNS0_17counting_iteratorIjlEEPS9_SE_NS0_5tupleIJPjSE_EEENSF_IJSE_SE_EEES9_SG_JZNS1_25segmented_radix_sort_implINS0_14default_configELb1EPKaPaPKlPlN2at6native12_GLOBAL__N_18offset_tEEE10hipError_tPvRmT1_PNSt15iterator_traitsISY_E10value_typeET2_T3_PNSZ_IS14_E10value_typeET4_jRbjT5_S1A_jjP12ihipStream_tbEUljE_EEESV_SW_SX_S14_S18_S1A_T6_T7_T9_mT8_S1C_bDpT10_ENKUlT_T0_E_clISt17integral_constantIbLb1EES1P_EEDaS1K_S1L_EUlS1K_E_NS1_11comp_targetILNS1_3genE9ELNS1_11target_archE1100ELNS1_3gpuE3ELNS1_3repE0EEENS1_30default_config_static_selectorELNS0_4arch9wavefront6targetE0EEEvSY_
; %bb.0:
	.section	.rodata,"a",@progbits
	.p2align	6, 0x0
	.amdhsa_kernel _ZN7rocprim17ROCPRIM_400000_NS6detail17trampoline_kernelINS0_13select_configILj256ELj13ELNS0_17block_load_methodE3ELS4_3ELS4_3ELNS0_20block_scan_algorithmE0ELj4294967295EEENS1_25partition_config_selectorILNS1_17partition_subalgoE3EjNS0_10empty_typeEbEEZZNS1_14partition_implILS8_3ELb0ES6_jNS0_17counting_iteratorIjlEEPS9_SE_NS0_5tupleIJPjSE_EEENSF_IJSE_SE_EEES9_SG_JZNS1_25segmented_radix_sort_implINS0_14default_configELb1EPKaPaPKlPlN2at6native12_GLOBAL__N_18offset_tEEE10hipError_tPvRmT1_PNSt15iterator_traitsISY_E10value_typeET2_T3_PNSZ_IS14_E10value_typeET4_jRbjT5_S1A_jjP12ihipStream_tbEUljE_EEESV_SW_SX_S14_S18_S1A_T6_T7_T9_mT8_S1C_bDpT10_ENKUlT_T0_E_clISt17integral_constantIbLb1EES1P_EEDaS1K_S1L_EUlS1K_E_NS1_11comp_targetILNS1_3genE9ELNS1_11target_archE1100ELNS1_3gpuE3ELNS1_3repE0EEENS1_30default_config_static_selectorELNS0_4arch9wavefront6targetE0EEEvSY_
		.amdhsa_group_segment_fixed_size 0
		.amdhsa_private_segment_fixed_size 0
		.amdhsa_kernarg_size 152
		.amdhsa_user_sgpr_count 2
		.amdhsa_user_sgpr_dispatch_ptr 0
		.amdhsa_user_sgpr_queue_ptr 0
		.amdhsa_user_sgpr_kernarg_segment_ptr 1
		.amdhsa_user_sgpr_dispatch_id 0
		.amdhsa_user_sgpr_kernarg_preload_length 0
		.amdhsa_user_sgpr_kernarg_preload_offset 0
		.amdhsa_user_sgpr_private_segment_size 0
		.amdhsa_wavefront_size32 1
		.amdhsa_uses_dynamic_stack 0
		.amdhsa_enable_private_segment 0
		.amdhsa_system_sgpr_workgroup_id_x 1
		.amdhsa_system_sgpr_workgroup_id_y 0
		.amdhsa_system_sgpr_workgroup_id_z 0
		.amdhsa_system_sgpr_workgroup_info 0
		.amdhsa_system_vgpr_workitem_id 0
		.amdhsa_next_free_vgpr 1
		.amdhsa_next_free_sgpr 1
		.amdhsa_named_barrier_count 0
		.amdhsa_reserve_vcc 0
		.amdhsa_float_round_mode_32 0
		.amdhsa_float_round_mode_16_64 0
		.amdhsa_float_denorm_mode_32 3
		.amdhsa_float_denorm_mode_16_64 3
		.amdhsa_fp16_overflow 0
		.amdhsa_memory_ordered 1
		.amdhsa_forward_progress 1
		.amdhsa_inst_pref_size 0
		.amdhsa_round_robin_scheduling 0
		.amdhsa_exception_fp_ieee_invalid_op 0
		.amdhsa_exception_fp_denorm_src 0
		.amdhsa_exception_fp_ieee_div_zero 0
		.amdhsa_exception_fp_ieee_overflow 0
		.amdhsa_exception_fp_ieee_underflow 0
		.amdhsa_exception_fp_ieee_inexact 0
		.amdhsa_exception_int_div_zero 0
	.end_amdhsa_kernel
	.section	.text._ZN7rocprim17ROCPRIM_400000_NS6detail17trampoline_kernelINS0_13select_configILj256ELj13ELNS0_17block_load_methodE3ELS4_3ELS4_3ELNS0_20block_scan_algorithmE0ELj4294967295EEENS1_25partition_config_selectorILNS1_17partition_subalgoE3EjNS0_10empty_typeEbEEZZNS1_14partition_implILS8_3ELb0ES6_jNS0_17counting_iteratorIjlEEPS9_SE_NS0_5tupleIJPjSE_EEENSF_IJSE_SE_EEES9_SG_JZNS1_25segmented_radix_sort_implINS0_14default_configELb1EPKaPaPKlPlN2at6native12_GLOBAL__N_18offset_tEEE10hipError_tPvRmT1_PNSt15iterator_traitsISY_E10value_typeET2_T3_PNSZ_IS14_E10value_typeET4_jRbjT5_S1A_jjP12ihipStream_tbEUljE_EEESV_SW_SX_S14_S18_S1A_T6_T7_T9_mT8_S1C_bDpT10_ENKUlT_T0_E_clISt17integral_constantIbLb1EES1P_EEDaS1K_S1L_EUlS1K_E_NS1_11comp_targetILNS1_3genE9ELNS1_11target_archE1100ELNS1_3gpuE3ELNS1_3repE0EEENS1_30default_config_static_selectorELNS0_4arch9wavefront6targetE0EEEvSY_,"axG",@progbits,_ZN7rocprim17ROCPRIM_400000_NS6detail17trampoline_kernelINS0_13select_configILj256ELj13ELNS0_17block_load_methodE3ELS4_3ELS4_3ELNS0_20block_scan_algorithmE0ELj4294967295EEENS1_25partition_config_selectorILNS1_17partition_subalgoE3EjNS0_10empty_typeEbEEZZNS1_14partition_implILS8_3ELb0ES6_jNS0_17counting_iteratorIjlEEPS9_SE_NS0_5tupleIJPjSE_EEENSF_IJSE_SE_EEES9_SG_JZNS1_25segmented_radix_sort_implINS0_14default_configELb1EPKaPaPKlPlN2at6native12_GLOBAL__N_18offset_tEEE10hipError_tPvRmT1_PNSt15iterator_traitsISY_E10value_typeET2_T3_PNSZ_IS14_E10value_typeET4_jRbjT5_S1A_jjP12ihipStream_tbEUljE_EEESV_SW_SX_S14_S18_S1A_T6_T7_T9_mT8_S1C_bDpT10_ENKUlT_T0_E_clISt17integral_constantIbLb1EES1P_EEDaS1K_S1L_EUlS1K_E_NS1_11comp_targetILNS1_3genE9ELNS1_11target_archE1100ELNS1_3gpuE3ELNS1_3repE0EEENS1_30default_config_static_selectorELNS0_4arch9wavefront6targetE0EEEvSY_,comdat
.Lfunc_end270:
	.size	_ZN7rocprim17ROCPRIM_400000_NS6detail17trampoline_kernelINS0_13select_configILj256ELj13ELNS0_17block_load_methodE3ELS4_3ELS4_3ELNS0_20block_scan_algorithmE0ELj4294967295EEENS1_25partition_config_selectorILNS1_17partition_subalgoE3EjNS0_10empty_typeEbEEZZNS1_14partition_implILS8_3ELb0ES6_jNS0_17counting_iteratorIjlEEPS9_SE_NS0_5tupleIJPjSE_EEENSF_IJSE_SE_EEES9_SG_JZNS1_25segmented_radix_sort_implINS0_14default_configELb1EPKaPaPKlPlN2at6native12_GLOBAL__N_18offset_tEEE10hipError_tPvRmT1_PNSt15iterator_traitsISY_E10value_typeET2_T3_PNSZ_IS14_E10value_typeET4_jRbjT5_S1A_jjP12ihipStream_tbEUljE_EEESV_SW_SX_S14_S18_S1A_T6_T7_T9_mT8_S1C_bDpT10_ENKUlT_T0_E_clISt17integral_constantIbLb1EES1P_EEDaS1K_S1L_EUlS1K_E_NS1_11comp_targetILNS1_3genE9ELNS1_11target_archE1100ELNS1_3gpuE3ELNS1_3repE0EEENS1_30default_config_static_selectorELNS0_4arch9wavefront6targetE0EEEvSY_, .Lfunc_end270-_ZN7rocprim17ROCPRIM_400000_NS6detail17trampoline_kernelINS0_13select_configILj256ELj13ELNS0_17block_load_methodE3ELS4_3ELS4_3ELNS0_20block_scan_algorithmE0ELj4294967295EEENS1_25partition_config_selectorILNS1_17partition_subalgoE3EjNS0_10empty_typeEbEEZZNS1_14partition_implILS8_3ELb0ES6_jNS0_17counting_iteratorIjlEEPS9_SE_NS0_5tupleIJPjSE_EEENSF_IJSE_SE_EEES9_SG_JZNS1_25segmented_radix_sort_implINS0_14default_configELb1EPKaPaPKlPlN2at6native12_GLOBAL__N_18offset_tEEE10hipError_tPvRmT1_PNSt15iterator_traitsISY_E10value_typeET2_T3_PNSZ_IS14_E10value_typeET4_jRbjT5_S1A_jjP12ihipStream_tbEUljE_EEESV_SW_SX_S14_S18_S1A_T6_T7_T9_mT8_S1C_bDpT10_ENKUlT_T0_E_clISt17integral_constantIbLb1EES1P_EEDaS1K_S1L_EUlS1K_E_NS1_11comp_targetILNS1_3genE9ELNS1_11target_archE1100ELNS1_3gpuE3ELNS1_3repE0EEENS1_30default_config_static_selectorELNS0_4arch9wavefront6targetE0EEEvSY_
                                        ; -- End function
	.set _ZN7rocprim17ROCPRIM_400000_NS6detail17trampoline_kernelINS0_13select_configILj256ELj13ELNS0_17block_load_methodE3ELS4_3ELS4_3ELNS0_20block_scan_algorithmE0ELj4294967295EEENS1_25partition_config_selectorILNS1_17partition_subalgoE3EjNS0_10empty_typeEbEEZZNS1_14partition_implILS8_3ELb0ES6_jNS0_17counting_iteratorIjlEEPS9_SE_NS0_5tupleIJPjSE_EEENSF_IJSE_SE_EEES9_SG_JZNS1_25segmented_radix_sort_implINS0_14default_configELb1EPKaPaPKlPlN2at6native12_GLOBAL__N_18offset_tEEE10hipError_tPvRmT1_PNSt15iterator_traitsISY_E10value_typeET2_T3_PNSZ_IS14_E10value_typeET4_jRbjT5_S1A_jjP12ihipStream_tbEUljE_EEESV_SW_SX_S14_S18_S1A_T6_T7_T9_mT8_S1C_bDpT10_ENKUlT_T0_E_clISt17integral_constantIbLb1EES1P_EEDaS1K_S1L_EUlS1K_E_NS1_11comp_targetILNS1_3genE9ELNS1_11target_archE1100ELNS1_3gpuE3ELNS1_3repE0EEENS1_30default_config_static_selectorELNS0_4arch9wavefront6targetE0EEEvSY_.num_vgpr, 0
	.set _ZN7rocprim17ROCPRIM_400000_NS6detail17trampoline_kernelINS0_13select_configILj256ELj13ELNS0_17block_load_methodE3ELS4_3ELS4_3ELNS0_20block_scan_algorithmE0ELj4294967295EEENS1_25partition_config_selectorILNS1_17partition_subalgoE3EjNS0_10empty_typeEbEEZZNS1_14partition_implILS8_3ELb0ES6_jNS0_17counting_iteratorIjlEEPS9_SE_NS0_5tupleIJPjSE_EEENSF_IJSE_SE_EEES9_SG_JZNS1_25segmented_radix_sort_implINS0_14default_configELb1EPKaPaPKlPlN2at6native12_GLOBAL__N_18offset_tEEE10hipError_tPvRmT1_PNSt15iterator_traitsISY_E10value_typeET2_T3_PNSZ_IS14_E10value_typeET4_jRbjT5_S1A_jjP12ihipStream_tbEUljE_EEESV_SW_SX_S14_S18_S1A_T6_T7_T9_mT8_S1C_bDpT10_ENKUlT_T0_E_clISt17integral_constantIbLb1EES1P_EEDaS1K_S1L_EUlS1K_E_NS1_11comp_targetILNS1_3genE9ELNS1_11target_archE1100ELNS1_3gpuE3ELNS1_3repE0EEENS1_30default_config_static_selectorELNS0_4arch9wavefront6targetE0EEEvSY_.num_agpr, 0
	.set _ZN7rocprim17ROCPRIM_400000_NS6detail17trampoline_kernelINS0_13select_configILj256ELj13ELNS0_17block_load_methodE3ELS4_3ELS4_3ELNS0_20block_scan_algorithmE0ELj4294967295EEENS1_25partition_config_selectorILNS1_17partition_subalgoE3EjNS0_10empty_typeEbEEZZNS1_14partition_implILS8_3ELb0ES6_jNS0_17counting_iteratorIjlEEPS9_SE_NS0_5tupleIJPjSE_EEENSF_IJSE_SE_EEES9_SG_JZNS1_25segmented_radix_sort_implINS0_14default_configELb1EPKaPaPKlPlN2at6native12_GLOBAL__N_18offset_tEEE10hipError_tPvRmT1_PNSt15iterator_traitsISY_E10value_typeET2_T3_PNSZ_IS14_E10value_typeET4_jRbjT5_S1A_jjP12ihipStream_tbEUljE_EEESV_SW_SX_S14_S18_S1A_T6_T7_T9_mT8_S1C_bDpT10_ENKUlT_T0_E_clISt17integral_constantIbLb1EES1P_EEDaS1K_S1L_EUlS1K_E_NS1_11comp_targetILNS1_3genE9ELNS1_11target_archE1100ELNS1_3gpuE3ELNS1_3repE0EEENS1_30default_config_static_selectorELNS0_4arch9wavefront6targetE0EEEvSY_.numbered_sgpr, 0
	.set _ZN7rocprim17ROCPRIM_400000_NS6detail17trampoline_kernelINS0_13select_configILj256ELj13ELNS0_17block_load_methodE3ELS4_3ELS4_3ELNS0_20block_scan_algorithmE0ELj4294967295EEENS1_25partition_config_selectorILNS1_17partition_subalgoE3EjNS0_10empty_typeEbEEZZNS1_14partition_implILS8_3ELb0ES6_jNS0_17counting_iteratorIjlEEPS9_SE_NS0_5tupleIJPjSE_EEENSF_IJSE_SE_EEES9_SG_JZNS1_25segmented_radix_sort_implINS0_14default_configELb1EPKaPaPKlPlN2at6native12_GLOBAL__N_18offset_tEEE10hipError_tPvRmT1_PNSt15iterator_traitsISY_E10value_typeET2_T3_PNSZ_IS14_E10value_typeET4_jRbjT5_S1A_jjP12ihipStream_tbEUljE_EEESV_SW_SX_S14_S18_S1A_T6_T7_T9_mT8_S1C_bDpT10_ENKUlT_T0_E_clISt17integral_constantIbLb1EES1P_EEDaS1K_S1L_EUlS1K_E_NS1_11comp_targetILNS1_3genE9ELNS1_11target_archE1100ELNS1_3gpuE3ELNS1_3repE0EEENS1_30default_config_static_selectorELNS0_4arch9wavefront6targetE0EEEvSY_.num_named_barrier, 0
	.set _ZN7rocprim17ROCPRIM_400000_NS6detail17trampoline_kernelINS0_13select_configILj256ELj13ELNS0_17block_load_methodE3ELS4_3ELS4_3ELNS0_20block_scan_algorithmE0ELj4294967295EEENS1_25partition_config_selectorILNS1_17partition_subalgoE3EjNS0_10empty_typeEbEEZZNS1_14partition_implILS8_3ELb0ES6_jNS0_17counting_iteratorIjlEEPS9_SE_NS0_5tupleIJPjSE_EEENSF_IJSE_SE_EEES9_SG_JZNS1_25segmented_radix_sort_implINS0_14default_configELb1EPKaPaPKlPlN2at6native12_GLOBAL__N_18offset_tEEE10hipError_tPvRmT1_PNSt15iterator_traitsISY_E10value_typeET2_T3_PNSZ_IS14_E10value_typeET4_jRbjT5_S1A_jjP12ihipStream_tbEUljE_EEESV_SW_SX_S14_S18_S1A_T6_T7_T9_mT8_S1C_bDpT10_ENKUlT_T0_E_clISt17integral_constantIbLb1EES1P_EEDaS1K_S1L_EUlS1K_E_NS1_11comp_targetILNS1_3genE9ELNS1_11target_archE1100ELNS1_3gpuE3ELNS1_3repE0EEENS1_30default_config_static_selectorELNS0_4arch9wavefront6targetE0EEEvSY_.private_seg_size, 0
	.set _ZN7rocprim17ROCPRIM_400000_NS6detail17trampoline_kernelINS0_13select_configILj256ELj13ELNS0_17block_load_methodE3ELS4_3ELS4_3ELNS0_20block_scan_algorithmE0ELj4294967295EEENS1_25partition_config_selectorILNS1_17partition_subalgoE3EjNS0_10empty_typeEbEEZZNS1_14partition_implILS8_3ELb0ES6_jNS0_17counting_iteratorIjlEEPS9_SE_NS0_5tupleIJPjSE_EEENSF_IJSE_SE_EEES9_SG_JZNS1_25segmented_radix_sort_implINS0_14default_configELb1EPKaPaPKlPlN2at6native12_GLOBAL__N_18offset_tEEE10hipError_tPvRmT1_PNSt15iterator_traitsISY_E10value_typeET2_T3_PNSZ_IS14_E10value_typeET4_jRbjT5_S1A_jjP12ihipStream_tbEUljE_EEESV_SW_SX_S14_S18_S1A_T6_T7_T9_mT8_S1C_bDpT10_ENKUlT_T0_E_clISt17integral_constantIbLb1EES1P_EEDaS1K_S1L_EUlS1K_E_NS1_11comp_targetILNS1_3genE9ELNS1_11target_archE1100ELNS1_3gpuE3ELNS1_3repE0EEENS1_30default_config_static_selectorELNS0_4arch9wavefront6targetE0EEEvSY_.uses_vcc, 0
	.set _ZN7rocprim17ROCPRIM_400000_NS6detail17trampoline_kernelINS0_13select_configILj256ELj13ELNS0_17block_load_methodE3ELS4_3ELS4_3ELNS0_20block_scan_algorithmE0ELj4294967295EEENS1_25partition_config_selectorILNS1_17partition_subalgoE3EjNS0_10empty_typeEbEEZZNS1_14partition_implILS8_3ELb0ES6_jNS0_17counting_iteratorIjlEEPS9_SE_NS0_5tupleIJPjSE_EEENSF_IJSE_SE_EEES9_SG_JZNS1_25segmented_radix_sort_implINS0_14default_configELb1EPKaPaPKlPlN2at6native12_GLOBAL__N_18offset_tEEE10hipError_tPvRmT1_PNSt15iterator_traitsISY_E10value_typeET2_T3_PNSZ_IS14_E10value_typeET4_jRbjT5_S1A_jjP12ihipStream_tbEUljE_EEESV_SW_SX_S14_S18_S1A_T6_T7_T9_mT8_S1C_bDpT10_ENKUlT_T0_E_clISt17integral_constantIbLb1EES1P_EEDaS1K_S1L_EUlS1K_E_NS1_11comp_targetILNS1_3genE9ELNS1_11target_archE1100ELNS1_3gpuE3ELNS1_3repE0EEENS1_30default_config_static_selectorELNS0_4arch9wavefront6targetE0EEEvSY_.uses_flat_scratch, 0
	.set _ZN7rocprim17ROCPRIM_400000_NS6detail17trampoline_kernelINS0_13select_configILj256ELj13ELNS0_17block_load_methodE3ELS4_3ELS4_3ELNS0_20block_scan_algorithmE0ELj4294967295EEENS1_25partition_config_selectorILNS1_17partition_subalgoE3EjNS0_10empty_typeEbEEZZNS1_14partition_implILS8_3ELb0ES6_jNS0_17counting_iteratorIjlEEPS9_SE_NS0_5tupleIJPjSE_EEENSF_IJSE_SE_EEES9_SG_JZNS1_25segmented_radix_sort_implINS0_14default_configELb1EPKaPaPKlPlN2at6native12_GLOBAL__N_18offset_tEEE10hipError_tPvRmT1_PNSt15iterator_traitsISY_E10value_typeET2_T3_PNSZ_IS14_E10value_typeET4_jRbjT5_S1A_jjP12ihipStream_tbEUljE_EEESV_SW_SX_S14_S18_S1A_T6_T7_T9_mT8_S1C_bDpT10_ENKUlT_T0_E_clISt17integral_constantIbLb1EES1P_EEDaS1K_S1L_EUlS1K_E_NS1_11comp_targetILNS1_3genE9ELNS1_11target_archE1100ELNS1_3gpuE3ELNS1_3repE0EEENS1_30default_config_static_selectorELNS0_4arch9wavefront6targetE0EEEvSY_.has_dyn_sized_stack, 0
	.set _ZN7rocprim17ROCPRIM_400000_NS6detail17trampoline_kernelINS0_13select_configILj256ELj13ELNS0_17block_load_methodE3ELS4_3ELS4_3ELNS0_20block_scan_algorithmE0ELj4294967295EEENS1_25partition_config_selectorILNS1_17partition_subalgoE3EjNS0_10empty_typeEbEEZZNS1_14partition_implILS8_3ELb0ES6_jNS0_17counting_iteratorIjlEEPS9_SE_NS0_5tupleIJPjSE_EEENSF_IJSE_SE_EEES9_SG_JZNS1_25segmented_radix_sort_implINS0_14default_configELb1EPKaPaPKlPlN2at6native12_GLOBAL__N_18offset_tEEE10hipError_tPvRmT1_PNSt15iterator_traitsISY_E10value_typeET2_T3_PNSZ_IS14_E10value_typeET4_jRbjT5_S1A_jjP12ihipStream_tbEUljE_EEESV_SW_SX_S14_S18_S1A_T6_T7_T9_mT8_S1C_bDpT10_ENKUlT_T0_E_clISt17integral_constantIbLb1EES1P_EEDaS1K_S1L_EUlS1K_E_NS1_11comp_targetILNS1_3genE9ELNS1_11target_archE1100ELNS1_3gpuE3ELNS1_3repE0EEENS1_30default_config_static_selectorELNS0_4arch9wavefront6targetE0EEEvSY_.has_recursion, 0
	.set _ZN7rocprim17ROCPRIM_400000_NS6detail17trampoline_kernelINS0_13select_configILj256ELj13ELNS0_17block_load_methodE3ELS4_3ELS4_3ELNS0_20block_scan_algorithmE0ELj4294967295EEENS1_25partition_config_selectorILNS1_17partition_subalgoE3EjNS0_10empty_typeEbEEZZNS1_14partition_implILS8_3ELb0ES6_jNS0_17counting_iteratorIjlEEPS9_SE_NS0_5tupleIJPjSE_EEENSF_IJSE_SE_EEES9_SG_JZNS1_25segmented_radix_sort_implINS0_14default_configELb1EPKaPaPKlPlN2at6native12_GLOBAL__N_18offset_tEEE10hipError_tPvRmT1_PNSt15iterator_traitsISY_E10value_typeET2_T3_PNSZ_IS14_E10value_typeET4_jRbjT5_S1A_jjP12ihipStream_tbEUljE_EEESV_SW_SX_S14_S18_S1A_T6_T7_T9_mT8_S1C_bDpT10_ENKUlT_T0_E_clISt17integral_constantIbLb1EES1P_EEDaS1K_S1L_EUlS1K_E_NS1_11comp_targetILNS1_3genE9ELNS1_11target_archE1100ELNS1_3gpuE3ELNS1_3repE0EEENS1_30default_config_static_selectorELNS0_4arch9wavefront6targetE0EEEvSY_.has_indirect_call, 0
	.section	.AMDGPU.csdata,"",@progbits
; Kernel info:
; codeLenInByte = 0
; TotalNumSgprs: 0
; NumVgprs: 0
; ScratchSize: 0
; MemoryBound: 0
; FloatMode: 240
; IeeeMode: 1
; LDSByteSize: 0 bytes/workgroup (compile time only)
; SGPRBlocks: 0
; VGPRBlocks: 0
; NumSGPRsForWavesPerEU: 1
; NumVGPRsForWavesPerEU: 1
; NamedBarCnt: 0
; Occupancy: 16
; WaveLimiterHint : 0
; COMPUTE_PGM_RSRC2:SCRATCH_EN: 0
; COMPUTE_PGM_RSRC2:USER_SGPR: 2
; COMPUTE_PGM_RSRC2:TRAP_HANDLER: 0
; COMPUTE_PGM_RSRC2:TGID_X_EN: 1
; COMPUTE_PGM_RSRC2:TGID_Y_EN: 0
; COMPUTE_PGM_RSRC2:TGID_Z_EN: 0
; COMPUTE_PGM_RSRC2:TIDIG_COMP_CNT: 0
	.section	.text._ZN7rocprim17ROCPRIM_400000_NS6detail17trampoline_kernelINS0_13select_configILj256ELj13ELNS0_17block_load_methodE3ELS4_3ELS4_3ELNS0_20block_scan_algorithmE0ELj4294967295EEENS1_25partition_config_selectorILNS1_17partition_subalgoE3EjNS0_10empty_typeEbEEZZNS1_14partition_implILS8_3ELb0ES6_jNS0_17counting_iteratorIjlEEPS9_SE_NS0_5tupleIJPjSE_EEENSF_IJSE_SE_EEES9_SG_JZNS1_25segmented_radix_sort_implINS0_14default_configELb1EPKaPaPKlPlN2at6native12_GLOBAL__N_18offset_tEEE10hipError_tPvRmT1_PNSt15iterator_traitsISY_E10value_typeET2_T3_PNSZ_IS14_E10value_typeET4_jRbjT5_S1A_jjP12ihipStream_tbEUljE_EEESV_SW_SX_S14_S18_S1A_T6_T7_T9_mT8_S1C_bDpT10_ENKUlT_T0_E_clISt17integral_constantIbLb1EES1P_EEDaS1K_S1L_EUlS1K_E_NS1_11comp_targetILNS1_3genE8ELNS1_11target_archE1030ELNS1_3gpuE2ELNS1_3repE0EEENS1_30default_config_static_selectorELNS0_4arch9wavefront6targetE0EEEvSY_,"axG",@progbits,_ZN7rocprim17ROCPRIM_400000_NS6detail17trampoline_kernelINS0_13select_configILj256ELj13ELNS0_17block_load_methodE3ELS4_3ELS4_3ELNS0_20block_scan_algorithmE0ELj4294967295EEENS1_25partition_config_selectorILNS1_17partition_subalgoE3EjNS0_10empty_typeEbEEZZNS1_14partition_implILS8_3ELb0ES6_jNS0_17counting_iteratorIjlEEPS9_SE_NS0_5tupleIJPjSE_EEENSF_IJSE_SE_EEES9_SG_JZNS1_25segmented_radix_sort_implINS0_14default_configELb1EPKaPaPKlPlN2at6native12_GLOBAL__N_18offset_tEEE10hipError_tPvRmT1_PNSt15iterator_traitsISY_E10value_typeET2_T3_PNSZ_IS14_E10value_typeET4_jRbjT5_S1A_jjP12ihipStream_tbEUljE_EEESV_SW_SX_S14_S18_S1A_T6_T7_T9_mT8_S1C_bDpT10_ENKUlT_T0_E_clISt17integral_constantIbLb1EES1P_EEDaS1K_S1L_EUlS1K_E_NS1_11comp_targetILNS1_3genE8ELNS1_11target_archE1030ELNS1_3gpuE2ELNS1_3repE0EEENS1_30default_config_static_selectorELNS0_4arch9wavefront6targetE0EEEvSY_,comdat
	.globl	_ZN7rocprim17ROCPRIM_400000_NS6detail17trampoline_kernelINS0_13select_configILj256ELj13ELNS0_17block_load_methodE3ELS4_3ELS4_3ELNS0_20block_scan_algorithmE0ELj4294967295EEENS1_25partition_config_selectorILNS1_17partition_subalgoE3EjNS0_10empty_typeEbEEZZNS1_14partition_implILS8_3ELb0ES6_jNS0_17counting_iteratorIjlEEPS9_SE_NS0_5tupleIJPjSE_EEENSF_IJSE_SE_EEES9_SG_JZNS1_25segmented_radix_sort_implINS0_14default_configELb1EPKaPaPKlPlN2at6native12_GLOBAL__N_18offset_tEEE10hipError_tPvRmT1_PNSt15iterator_traitsISY_E10value_typeET2_T3_PNSZ_IS14_E10value_typeET4_jRbjT5_S1A_jjP12ihipStream_tbEUljE_EEESV_SW_SX_S14_S18_S1A_T6_T7_T9_mT8_S1C_bDpT10_ENKUlT_T0_E_clISt17integral_constantIbLb1EES1P_EEDaS1K_S1L_EUlS1K_E_NS1_11comp_targetILNS1_3genE8ELNS1_11target_archE1030ELNS1_3gpuE2ELNS1_3repE0EEENS1_30default_config_static_selectorELNS0_4arch9wavefront6targetE0EEEvSY_ ; -- Begin function _ZN7rocprim17ROCPRIM_400000_NS6detail17trampoline_kernelINS0_13select_configILj256ELj13ELNS0_17block_load_methodE3ELS4_3ELS4_3ELNS0_20block_scan_algorithmE0ELj4294967295EEENS1_25partition_config_selectorILNS1_17partition_subalgoE3EjNS0_10empty_typeEbEEZZNS1_14partition_implILS8_3ELb0ES6_jNS0_17counting_iteratorIjlEEPS9_SE_NS0_5tupleIJPjSE_EEENSF_IJSE_SE_EEES9_SG_JZNS1_25segmented_radix_sort_implINS0_14default_configELb1EPKaPaPKlPlN2at6native12_GLOBAL__N_18offset_tEEE10hipError_tPvRmT1_PNSt15iterator_traitsISY_E10value_typeET2_T3_PNSZ_IS14_E10value_typeET4_jRbjT5_S1A_jjP12ihipStream_tbEUljE_EEESV_SW_SX_S14_S18_S1A_T6_T7_T9_mT8_S1C_bDpT10_ENKUlT_T0_E_clISt17integral_constantIbLb1EES1P_EEDaS1K_S1L_EUlS1K_E_NS1_11comp_targetILNS1_3genE8ELNS1_11target_archE1030ELNS1_3gpuE2ELNS1_3repE0EEENS1_30default_config_static_selectorELNS0_4arch9wavefront6targetE0EEEvSY_
	.p2align	8
	.type	_ZN7rocprim17ROCPRIM_400000_NS6detail17trampoline_kernelINS0_13select_configILj256ELj13ELNS0_17block_load_methodE3ELS4_3ELS4_3ELNS0_20block_scan_algorithmE0ELj4294967295EEENS1_25partition_config_selectorILNS1_17partition_subalgoE3EjNS0_10empty_typeEbEEZZNS1_14partition_implILS8_3ELb0ES6_jNS0_17counting_iteratorIjlEEPS9_SE_NS0_5tupleIJPjSE_EEENSF_IJSE_SE_EEES9_SG_JZNS1_25segmented_radix_sort_implINS0_14default_configELb1EPKaPaPKlPlN2at6native12_GLOBAL__N_18offset_tEEE10hipError_tPvRmT1_PNSt15iterator_traitsISY_E10value_typeET2_T3_PNSZ_IS14_E10value_typeET4_jRbjT5_S1A_jjP12ihipStream_tbEUljE_EEESV_SW_SX_S14_S18_S1A_T6_T7_T9_mT8_S1C_bDpT10_ENKUlT_T0_E_clISt17integral_constantIbLb1EES1P_EEDaS1K_S1L_EUlS1K_E_NS1_11comp_targetILNS1_3genE8ELNS1_11target_archE1030ELNS1_3gpuE2ELNS1_3repE0EEENS1_30default_config_static_selectorELNS0_4arch9wavefront6targetE0EEEvSY_,@function
_ZN7rocprim17ROCPRIM_400000_NS6detail17trampoline_kernelINS0_13select_configILj256ELj13ELNS0_17block_load_methodE3ELS4_3ELS4_3ELNS0_20block_scan_algorithmE0ELj4294967295EEENS1_25partition_config_selectorILNS1_17partition_subalgoE3EjNS0_10empty_typeEbEEZZNS1_14partition_implILS8_3ELb0ES6_jNS0_17counting_iteratorIjlEEPS9_SE_NS0_5tupleIJPjSE_EEENSF_IJSE_SE_EEES9_SG_JZNS1_25segmented_radix_sort_implINS0_14default_configELb1EPKaPaPKlPlN2at6native12_GLOBAL__N_18offset_tEEE10hipError_tPvRmT1_PNSt15iterator_traitsISY_E10value_typeET2_T3_PNSZ_IS14_E10value_typeET4_jRbjT5_S1A_jjP12ihipStream_tbEUljE_EEESV_SW_SX_S14_S18_S1A_T6_T7_T9_mT8_S1C_bDpT10_ENKUlT_T0_E_clISt17integral_constantIbLb1EES1P_EEDaS1K_S1L_EUlS1K_E_NS1_11comp_targetILNS1_3genE8ELNS1_11target_archE1030ELNS1_3gpuE2ELNS1_3repE0EEENS1_30default_config_static_selectorELNS0_4arch9wavefront6targetE0EEEvSY_: ; @_ZN7rocprim17ROCPRIM_400000_NS6detail17trampoline_kernelINS0_13select_configILj256ELj13ELNS0_17block_load_methodE3ELS4_3ELS4_3ELNS0_20block_scan_algorithmE0ELj4294967295EEENS1_25partition_config_selectorILNS1_17partition_subalgoE3EjNS0_10empty_typeEbEEZZNS1_14partition_implILS8_3ELb0ES6_jNS0_17counting_iteratorIjlEEPS9_SE_NS0_5tupleIJPjSE_EEENSF_IJSE_SE_EEES9_SG_JZNS1_25segmented_radix_sort_implINS0_14default_configELb1EPKaPaPKlPlN2at6native12_GLOBAL__N_18offset_tEEE10hipError_tPvRmT1_PNSt15iterator_traitsISY_E10value_typeET2_T3_PNSZ_IS14_E10value_typeET4_jRbjT5_S1A_jjP12ihipStream_tbEUljE_EEESV_SW_SX_S14_S18_S1A_T6_T7_T9_mT8_S1C_bDpT10_ENKUlT_T0_E_clISt17integral_constantIbLb1EES1P_EEDaS1K_S1L_EUlS1K_E_NS1_11comp_targetILNS1_3genE8ELNS1_11target_archE1030ELNS1_3gpuE2ELNS1_3repE0EEENS1_30default_config_static_selectorELNS0_4arch9wavefront6targetE0EEEvSY_
; %bb.0:
	.section	.rodata,"a",@progbits
	.p2align	6, 0x0
	.amdhsa_kernel _ZN7rocprim17ROCPRIM_400000_NS6detail17trampoline_kernelINS0_13select_configILj256ELj13ELNS0_17block_load_methodE3ELS4_3ELS4_3ELNS0_20block_scan_algorithmE0ELj4294967295EEENS1_25partition_config_selectorILNS1_17partition_subalgoE3EjNS0_10empty_typeEbEEZZNS1_14partition_implILS8_3ELb0ES6_jNS0_17counting_iteratorIjlEEPS9_SE_NS0_5tupleIJPjSE_EEENSF_IJSE_SE_EEES9_SG_JZNS1_25segmented_radix_sort_implINS0_14default_configELb1EPKaPaPKlPlN2at6native12_GLOBAL__N_18offset_tEEE10hipError_tPvRmT1_PNSt15iterator_traitsISY_E10value_typeET2_T3_PNSZ_IS14_E10value_typeET4_jRbjT5_S1A_jjP12ihipStream_tbEUljE_EEESV_SW_SX_S14_S18_S1A_T6_T7_T9_mT8_S1C_bDpT10_ENKUlT_T0_E_clISt17integral_constantIbLb1EES1P_EEDaS1K_S1L_EUlS1K_E_NS1_11comp_targetILNS1_3genE8ELNS1_11target_archE1030ELNS1_3gpuE2ELNS1_3repE0EEENS1_30default_config_static_selectorELNS0_4arch9wavefront6targetE0EEEvSY_
		.amdhsa_group_segment_fixed_size 0
		.amdhsa_private_segment_fixed_size 0
		.amdhsa_kernarg_size 152
		.amdhsa_user_sgpr_count 2
		.amdhsa_user_sgpr_dispatch_ptr 0
		.amdhsa_user_sgpr_queue_ptr 0
		.amdhsa_user_sgpr_kernarg_segment_ptr 1
		.amdhsa_user_sgpr_dispatch_id 0
		.amdhsa_user_sgpr_kernarg_preload_length 0
		.amdhsa_user_sgpr_kernarg_preload_offset 0
		.amdhsa_user_sgpr_private_segment_size 0
		.amdhsa_wavefront_size32 1
		.amdhsa_uses_dynamic_stack 0
		.amdhsa_enable_private_segment 0
		.amdhsa_system_sgpr_workgroup_id_x 1
		.amdhsa_system_sgpr_workgroup_id_y 0
		.amdhsa_system_sgpr_workgroup_id_z 0
		.amdhsa_system_sgpr_workgroup_info 0
		.amdhsa_system_vgpr_workitem_id 0
		.amdhsa_next_free_vgpr 1
		.amdhsa_next_free_sgpr 1
		.amdhsa_named_barrier_count 0
		.amdhsa_reserve_vcc 0
		.amdhsa_float_round_mode_32 0
		.amdhsa_float_round_mode_16_64 0
		.amdhsa_float_denorm_mode_32 3
		.amdhsa_float_denorm_mode_16_64 3
		.amdhsa_fp16_overflow 0
		.amdhsa_memory_ordered 1
		.amdhsa_forward_progress 1
		.amdhsa_inst_pref_size 0
		.amdhsa_round_robin_scheduling 0
		.amdhsa_exception_fp_ieee_invalid_op 0
		.amdhsa_exception_fp_denorm_src 0
		.amdhsa_exception_fp_ieee_div_zero 0
		.amdhsa_exception_fp_ieee_overflow 0
		.amdhsa_exception_fp_ieee_underflow 0
		.amdhsa_exception_fp_ieee_inexact 0
		.amdhsa_exception_int_div_zero 0
	.end_amdhsa_kernel
	.section	.text._ZN7rocprim17ROCPRIM_400000_NS6detail17trampoline_kernelINS0_13select_configILj256ELj13ELNS0_17block_load_methodE3ELS4_3ELS4_3ELNS0_20block_scan_algorithmE0ELj4294967295EEENS1_25partition_config_selectorILNS1_17partition_subalgoE3EjNS0_10empty_typeEbEEZZNS1_14partition_implILS8_3ELb0ES6_jNS0_17counting_iteratorIjlEEPS9_SE_NS0_5tupleIJPjSE_EEENSF_IJSE_SE_EEES9_SG_JZNS1_25segmented_radix_sort_implINS0_14default_configELb1EPKaPaPKlPlN2at6native12_GLOBAL__N_18offset_tEEE10hipError_tPvRmT1_PNSt15iterator_traitsISY_E10value_typeET2_T3_PNSZ_IS14_E10value_typeET4_jRbjT5_S1A_jjP12ihipStream_tbEUljE_EEESV_SW_SX_S14_S18_S1A_T6_T7_T9_mT8_S1C_bDpT10_ENKUlT_T0_E_clISt17integral_constantIbLb1EES1P_EEDaS1K_S1L_EUlS1K_E_NS1_11comp_targetILNS1_3genE8ELNS1_11target_archE1030ELNS1_3gpuE2ELNS1_3repE0EEENS1_30default_config_static_selectorELNS0_4arch9wavefront6targetE0EEEvSY_,"axG",@progbits,_ZN7rocprim17ROCPRIM_400000_NS6detail17trampoline_kernelINS0_13select_configILj256ELj13ELNS0_17block_load_methodE3ELS4_3ELS4_3ELNS0_20block_scan_algorithmE0ELj4294967295EEENS1_25partition_config_selectorILNS1_17partition_subalgoE3EjNS0_10empty_typeEbEEZZNS1_14partition_implILS8_3ELb0ES6_jNS0_17counting_iteratorIjlEEPS9_SE_NS0_5tupleIJPjSE_EEENSF_IJSE_SE_EEES9_SG_JZNS1_25segmented_radix_sort_implINS0_14default_configELb1EPKaPaPKlPlN2at6native12_GLOBAL__N_18offset_tEEE10hipError_tPvRmT1_PNSt15iterator_traitsISY_E10value_typeET2_T3_PNSZ_IS14_E10value_typeET4_jRbjT5_S1A_jjP12ihipStream_tbEUljE_EEESV_SW_SX_S14_S18_S1A_T6_T7_T9_mT8_S1C_bDpT10_ENKUlT_T0_E_clISt17integral_constantIbLb1EES1P_EEDaS1K_S1L_EUlS1K_E_NS1_11comp_targetILNS1_3genE8ELNS1_11target_archE1030ELNS1_3gpuE2ELNS1_3repE0EEENS1_30default_config_static_selectorELNS0_4arch9wavefront6targetE0EEEvSY_,comdat
.Lfunc_end271:
	.size	_ZN7rocprim17ROCPRIM_400000_NS6detail17trampoline_kernelINS0_13select_configILj256ELj13ELNS0_17block_load_methodE3ELS4_3ELS4_3ELNS0_20block_scan_algorithmE0ELj4294967295EEENS1_25partition_config_selectorILNS1_17partition_subalgoE3EjNS0_10empty_typeEbEEZZNS1_14partition_implILS8_3ELb0ES6_jNS0_17counting_iteratorIjlEEPS9_SE_NS0_5tupleIJPjSE_EEENSF_IJSE_SE_EEES9_SG_JZNS1_25segmented_radix_sort_implINS0_14default_configELb1EPKaPaPKlPlN2at6native12_GLOBAL__N_18offset_tEEE10hipError_tPvRmT1_PNSt15iterator_traitsISY_E10value_typeET2_T3_PNSZ_IS14_E10value_typeET4_jRbjT5_S1A_jjP12ihipStream_tbEUljE_EEESV_SW_SX_S14_S18_S1A_T6_T7_T9_mT8_S1C_bDpT10_ENKUlT_T0_E_clISt17integral_constantIbLb1EES1P_EEDaS1K_S1L_EUlS1K_E_NS1_11comp_targetILNS1_3genE8ELNS1_11target_archE1030ELNS1_3gpuE2ELNS1_3repE0EEENS1_30default_config_static_selectorELNS0_4arch9wavefront6targetE0EEEvSY_, .Lfunc_end271-_ZN7rocprim17ROCPRIM_400000_NS6detail17trampoline_kernelINS0_13select_configILj256ELj13ELNS0_17block_load_methodE3ELS4_3ELS4_3ELNS0_20block_scan_algorithmE0ELj4294967295EEENS1_25partition_config_selectorILNS1_17partition_subalgoE3EjNS0_10empty_typeEbEEZZNS1_14partition_implILS8_3ELb0ES6_jNS0_17counting_iteratorIjlEEPS9_SE_NS0_5tupleIJPjSE_EEENSF_IJSE_SE_EEES9_SG_JZNS1_25segmented_radix_sort_implINS0_14default_configELb1EPKaPaPKlPlN2at6native12_GLOBAL__N_18offset_tEEE10hipError_tPvRmT1_PNSt15iterator_traitsISY_E10value_typeET2_T3_PNSZ_IS14_E10value_typeET4_jRbjT5_S1A_jjP12ihipStream_tbEUljE_EEESV_SW_SX_S14_S18_S1A_T6_T7_T9_mT8_S1C_bDpT10_ENKUlT_T0_E_clISt17integral_constantIbLb1EES1P_EEDaS1K_S1L_EUlS1K_E_NS1_11comp_targetILNS1_3genE8ELNS1_11target_archE1030ELNS1_3gpuE2ELNS1_3repE0EEENS1_30default_config_static_selectorELNS0_4arch9wavefront6targetE0EEEvSY_
                                        ; -- End function
	.set _ZN7rocprim17ROCPRIM_400000_NS6detail17trampoline_kernelINS0_13select_configILj256ELj13ELNS0_17block_load_methodE3ELS4_3ELS4_3ELNS0_20block_scan_algorithmE0ELj4294967295EEENS1_25partition_config_selectorILNS1_17partition_subalgoE3EjNS0_10empty_typeEbEEZZNS1_14partition_implILS8_3ELb0ES6_jNS0_17counting_iteratorIjlEEPS9_SE_NS0_5tupleIJPjSE_EEENSF_IJSE_SE_EEES9_SG_JZNS1_25segmented_radix_sort_implINS0_14default_configELb1EPKaPaPKlPlN2at6native12_GLOBAL__N_18offset_tEEE10hipError_tPvRmT1_PNSt15iterator_traitsISY_E10value_typeET2_T3_PNSZ_IS14_E10value_typeET4_jRbjT5_S1A_jjP12ihipStream_tbEUljE_EEESV_SW_SX_S14_S18_S1A_T6_T7_T9_mT8_S1C_bDpT10_ENKUlT_T0_E_clISt17integral_constantIbLb1EES1P_EEDaS1K_S1L_EUlS1K_E_NS1_11comp_targetILNS1_3genE8ELNS1_11target_archE1030ELNS1_3gpuE2ELNS1_3repE0EEENS1_30default_config_static_selectorELNS0_4arch9wavefront6targetE0EEEvSY_.num_vgpr, 0
	.set _ZN7rocprim17ROCPRIM_400000_NS6detail17trampoline_kernelINS0_13select_configILj256ELj13ELNS0_17block_load_methodE3ELS4_3ELS4_3ELNS0_20block_scan_algorithmE0ELj4294967295EEENS1_25partition_config_selectorILNS1_17partition_subalgoE3EjNS0_10empty_typeEbEEZZNS1_14partition_implILS8_3ELb0ES6_jNS0_17counting_iteratorIjlEEPS9_SE_NS0_5tupleIJPjSE_EEENSF_IJSE_SE_EEES9_SG_JZNS1_25segmented_radix_sort_implINS0_14default_configELb1EPKaPaPKlPlN2at6native12_GLOBAL__N_18offset_tEEE10hipError_tPvRmT1_PNSt15iterator_traitsISY_E10value_typeET2_T3_PNSZ_IS14_E10value_typeET4_jRbjT5_S1A_jjP12ihipStream_tbEUljE_EEESV_SW_SX_S14_S18_S1A_T6_T7_T9_mT8_S1C_bDpT10_ENKUlT_T0_E_clISt17integral_constantIbLb1EES1P_EEDaS1K_S1L_EUlS1K_E_NS1_11comp_targetILNS1_3genE8ELNS1_11target_archE1030ELNS1_3gpuE2ELNS1_3repE0EEENS1_30default_config_static_selectorELNS0_4arch9wavefront6targetE0EEEvSY_.num_agpr, 0
	.set _ZN7rocprim17ROCPRIM_400000_NS6detail17trampoline_kernelINS0_13select_configILj256ELj13ELNS0_17block_load_methodE3ELS4_3ELS4_3ELNS0_20block_scan_algorithmE0ELj4294967295EEENS1_25partition_config_selectorILNS1_17partition_subalgoE3EjNS0_10empty_typeEbEEZZNS1_14partition_implILS8_3ELb0ES6_jNS0_17counting_iteratorIjlEEPS9_SE_NS0_5tupleIJPjSE_EEENSF_IJSE_SE_EEES9_SG_JZNS1_25segmented_radix_sort_implINS0_14default_configELb1EPKaPaPKlPlN2at6native12_GLOBAL__N_18offset_tEEE10hipError_tPvRmT1_PNSt15iterator_traitsISY_E10value_typeET2_T3_PNSZ_IS14_E10value_typeET4_jRbjT5_S1A_jjP12ihipStream_tbEUljE_EEESV_SW_SX_S14_S18_S1A_T6_T7_T9_mT8_S1C_bDpT10_ENKUlT_T0_E_clISt17integral_constantIbLb1EES1P_EEDaS1K_S1L_EUlS1K_E_NS1_11comp_targetILNS1_3genE8ELNS1_11target_archE1030ELNS1_3gpuE2ELNS1_3repE0EEENS1_30default_config_static_selectorELNS0_4arch9wavefront6targetE0EEEvSY_.numbered_sgpr, 0
	.set _ZN7rocprim17ROCPRIM_400000_NS6detail17trampoline_kernelINS0_13select_configILj256ELj13ELNS0_17block_load_methodE3ELS4_3ELS4_3ELNS0_20block_scan_algorithmE0ELj4294967295EEENS1_25partition_config_selectorILNS1_17partition_subalgoE3EjNS0_10empty_typeEbEEZZNS1_14partition_implILS8_3ELb0ES6_jNS0_17counting_iteratorIjlEEPS9_SE_NS0_5tupleIJPjSE_EEENSF_IJSE_SE_EEES9_SG_JZNS1_25segmented_radix_sort_implINS0_14default_configELb1EPKaPaPKlPlN2at6native12_GLOBAL__N_18offset_tEEE10hipError_tPvRmT1_PNSt15iterator_traitsISY_E10value_typeET2_T3_PNSZ_IS14_E10value_typeET4_jRbjT5_S1A_jjP12ihipStream_tbEUljE_EEESV_SW_SX_S14_S18_S1A_T6_T7_T9_mT8_S1C_bDpT10_ENKUlT_T0_E_clISt17integral_constantIbLb1EES1P_EEDaS1K_S1L_EUlS1K_E_NS1_11comp_targetILNS1_3genE8ELNS1_11target_archE1030ELNS1_3gpuE2ELNS1_3repE0EEENS1_30default_config_static_selectorELNS0_4arch9wavefront6targetE0EEEvSY_.num_named_barrier, 0
	.set _ZN7rocprim17ROCPRIM_400000_NS6detail17trampoline_kernelINS0_13select_configILj256ELj13ELNS0_17block_load_methodE3ELS4_3ELS4_3ELNS0_20block_scan_algorithmE0ELj4294967295EEENS1_25partition_config_selectorILNS1_17partition_subalgoE3EjNS0_10empty_typeEbEEZZNS1_14partition_implILS8_3ELb0ES6_jNS0_17counting_iteratorIjlEEPS9_SE_NS0_5tupleIJPjSE_EEENSF_IJSE_SE_EEES9_SG_JZNS1_25segmented_radix_sort_implINS0_14default_configELb1EPKaPaPKlPlN2at6native12_GLOBAL__N_18offset_tEEE10hipError_tPvRmT1_PNSt15iterator_traitsISY_E10value_typeET2_T3_PNSZ_IS14_E10value_typeET4_jRbjT5_S1A_jjP12ihipStream_tbEUljE_EEESV_SW_SX_S14_S18_S1A_T6_T7_T9_mT8_S1C_bDpT10_ENKUlT_T0_E_clISt17integral_constantIbLb1EES1P_EEDaS1K_S1L_EUlS1K_E_NS1_11comp_targetILNS1_3genE8ELNS1_11target_archE1030ELNS1_3gpuE2ELNS1_3repE0EEENS1_30default_config_static_selectorELNS0_4arch9wavefront6targetE0EEEvSY_.private_seg_size, 0
	.set _ZN7rocprim17ROCPRIM_400000_NS6detail17trampoline_kernelINS0_13select_configILj256ELj13ELNS0_17block_load_methodE3ELS4_3ELS4_3ELNS0_20block_scan_algorithmE0ELj4294967295EEENS1_25partition_config_selectorILNS1_17partition_subalgoE3EjNS0_10empty_typeEbEEZZNS1_14partition_implILS8_3ELb0ES6_jNS0_17counting_iteratorIjlEEPS9_SE_NS0_5tupleIJPjSE_EEENSF_IJSE_SE_EEES9_SG_JZNS1_25segmented_radix_sort_implINS0_14default_configELb1EPKaPaPKlPlN2at6native12_GLOBAL__N_18offset_tEEE10hipError_tPvRmT1_PNSt15iterator_traitsISY_E10value_typeET2_T3_PNSZ_IS14_E10value_typeET4_jRbjT5_S1A_jjP12ihipStream_tbEUljE_EEESV_SW_SX_S14_S18_S1A_T6_T7_T9_mT8_S1C_bDpT10_ENKUlT_T0_E_clISt17integral_constantIbLb1EES1P_EEDaS1K_S1L_EUlS1K_E_NS1_11comp_targetILNS1_3genE8ELNS1_11target_archE1030ELNS1_3gpuE2ELNS1_3repE0EEENS1_30default_config_static_selectorELNS0_4arch9wavefront6targetE0EEEvSY_.uses_vcc, 0
	.set _ZN7rocprim17ROCPRIM_400000_NS6detail17trampoline_kernelINS0_13select_configILj256ELj13ELNS0_17block_load_methodE3ELS4_3ELS4_3ELNS0_20block_scan_algorithmE0ELj4294967295EEENS1_25partition_config_selectorILNS1_17partition_subalgoE3EjNS0_10empty_typeEbEEZZNS1_14partition_implILS8_3ELb0ES6_jNS0_17counting_iteratorIjlEEPS9_SE_NS0_5tupleIJPjSE_EEENSF_IJSE_SE_EEES9_SG_JZNS1_25segmented_radix_sort_implINS0_14default_configELb1EPKaPaPKlPlN2at6native12_GLOBAL__N_18offset_tEEE10hipError_tPvRmT1_PNSt15iterator_traitsISY_E10value_typeET2_T3_PNSZ_IS14_E10value_typeET4_jRbjT5_S1A_jjP12ihipStream_tbEUljE_EEESV_SW_SX_S14_S18_S1A_T6_T7_T9_mT8_S1C_bDpT10_ENKUlT_T0_E_clISt17integral_constantIbLb1EES1P_EEDaS1K_S1L_EUlS1K_E_NS1_11comp_targetILNS1_3genE8ELNS1_11target_archE1030ELNS1_3gpuE2ELNS1_3repE0EEENS1_30default_config_static_selectorELNS0_4arch9wavefront6targetE0EEEvSY_.uses_flat_scratch, 0
	.set _ZN7rocprim17ROCPRIM_400000_NS6detail17trampoline_kernelINS0_13select_configILj256ELj13ELNS0_17block_load_methodE3ELS4_3ELS4_3ELNS0_20block_scan_algorithmE0ELj4294967295EEENS1_25partition_config_selectorILNS1_17partition_subalgoE3EjNS0_10empty_typeEbEEZZNS1_14partition_implILS8_3ELb0ES6_jNS0_17counting_iteratorIjlEEPS9_SE_NS0_5tupleIJPjSE_EEENSF_IJSE_SE_EEES9_SG_JZNS1_25segmented_radix_sort_implINS0_14default_configELb1EPKaPaPKlPlN2at6native12_GLOBAL__N_18offset_tEEE10hipError_tPvRmT1_PNSt15iterator_traitsISY_E10value_typeET2_T3_PNSZ_IS14_E10value_typeET4_jRbjT5_S1A_jjP12ihipStream_tbEUljE_EEESV_SW_SX_S14_S18_S1A_T6_T7_T9_mT8_S1C_bDpT10_ENKUlT_T0_E_clISt17integral_constantIbLb1EES1P_EEDaS1K_S1L_EUlS1K_E_NS1_11comp_targetILNS1_3genE8ELNS1_11target_archE1030ELNS1_3gpuE2ELNS1_3repE0EEENS1_30default_config_static_selectorELNS0_4arch9wavefront6targetE0EEEvSY_.has_dyn_sized_stack, 0
	.set _ZN7rocprim17ROCPRIM_400000_NS6detail17trampoline_kernelINS0_13select_configILj256ELj13ELNS0_17block_load_methodE3ELS4_3ELS4_3ELNS0_20block_scan_algorithmE0ELj4294967295EEENS1_25partition_config_selectorILNS1_17partition_subalgoE3EjNS0_10empty_typeEbEEZZNS1_14partition_implILS8_3ELb0ES6_jNS0_17counting_iteratorIjlEEPS9_SE_NS0_5tupleIJPjSE_EEENSF_IJSE_SE_EEES9_SG_JZNS1_25segmented_radix_sort_implINS0_14default_configELb1EPKaPaPKlPlN2at6native12_GLOBAL__N_18offset_tEEE10hipError_tPvRmT1_PNSt15iterator_traitsISY_E10value_typeET2_T3_PNSZ_IS14_E10value_typeET4_jRbjT5_S1A_jjP12ihipStream_tbEUljE_EEESV_SW_SX_S14_S18_S1A_T6_T7_T9_mT8_S1C_bDpT10_ENKUlT_T0_E_clISt17integral_constantIbLb1EES1P_EEDaS1K_S1L_EUlS1K_E_NS1_11comp_targetILNS1_3genE8ELNS1_11target_archE1030ELNS1_3gpuE2ELNS1_3repE0EEENS1_30default_config_static_selectorELNS0_4arch9wavefront6targetE0EEEvSY_.has_recursion, 0
	.set _ZN7rocprim17ROCPRIM_400000_NS6detail17trampoline_kernelINS0_13select_configILj256ELj13ELNS0_17block_load_methodE3ELS4_3ELS4_3ELNS0_20block_scan_algorithmE0ELj4294967295EEENS1_25partition_config_selectorILNS1_17partition_subalgoE3EjNS0_10empty_typeEbEEZZNS1_14partition_implILS8_3ELb0ES6_jNS0_17counting_iteratorIjlEEPS9_SE_NS0_5tupleIJPjSE_EEENSF_IJSE_SE_EEES9_SG_JZNS1_25segmented_radix_sort_implINS0_14default_configELb1EPKaPaPKlPlN2at6native12_GLOBAL__N_18offset_tEEE10hipError_tPvRmT1_PNSt15iterator_traitsISY_E10value_typeET2_T3_PNSZ_IS14_E10value_typeET4_jRbjT5_S1A_jjP12ihipStream_tbEUljE_EEESV_SW_SX_S14_S18_S1A_T6_T7_T9_mT8_S1C_bDpT10_ENKUlT_T0_E_clISt17integral_constantIbLb1EES1P_EEDaS1K_S1L_EUlS1K_E_NS1_11comp_targetILNS1_3genE8ELNS1_11target_archE1030ELNS1_3gpuE2ELNS1_3repE0EEENS1_30default_config_static_selectorELNS0_4arch9wavefront6targetE0EEEvSY_.has_indirect_call, 0
	.section	.AMDGPU.csdata,"",@progbits
; Kernel info:
; codeLenInByte = 0
; TotalNumSgprs: 0
; NumVgprs: 0
; ScratchSize: 0
; MemoryBound: 0
; FloatMode: 240
; IeeeMode: 1
; LDSByteSize: 0 bytes/workgroup (compile time only)
; SGPRBlocks: 0
; VGPRBlocks: 0
; NumSGPRsForWavesPerEU: 1
; NumVGPRsForWavesPerEU: 1
; NamedBarCnt: 0
; Occupancy: 16
; WaveLimiterHint : 0
; COMPUTE_PGM_RSRC2:SCRATCH_EN: 0
; COMPUTE_PGM_RSRC2:USER_SGPR: 2
; COMPUTE_PGM_RSRC2:TRAP_HANDLER: 0
; COMPUTE_PGM_RSRC2:TGID_X_EN: 1
; COMPUTE_PGM_RSRC2:TGID_Y_EN: 0
; COMPUTE_PGM_RSRC2:TGID_Z_EN: 0
; COMPUTE_PGM_RSRC2:TIDIG_COMP_CNT: 0
	.section	.text._ZN7rocprim17ROCPRIM_400000_NS6detail17trampoline_kernelINS0_13select_configILj256ELj13ELNS0_17block_load_methodE3ELS4_3ELS4_3ELNS0_20block_scan_algorithmE0ELj4294967295EEENS1_25partition_config_selectorILNS1_17partition_subalgoE3EjNS0_10empty_typeEbEEZZNS1_14partition_implILS8_3ELb0ES6_jNS0_17counting_iteratorIjlEEPS9_SE_NS0_5tupleIJPjSE_EEENSF_IJSE_SE_EEES9_SG_JZNS1_25segmented_radix_sort_implINS0_14default_configELb1EPKaPaPKlPlN2at6native12_GLOBAL__N_18offset_tEEE10hipError_tPvRmT1_PNSt15iterator_traitsISY_E10value_typeET2_T3_PNSZ_IS14_E10value_typeET4_jRbjT5_S1A_jjP12ihipStream_tbEUljE_EEESV_SW_SX_S14_S18_S1A_T6_T7_T9_mT8_S1C_bDpT10_ENKUlT_T0_E_clISt17integral_constantIbLb1EES1O_IbLb0EEEEDaS1K_S1L_EUlS1K_E_NS1_11comp_targetILNS1_3genE0ELNS1_11target_archE4294967295ELNS1_3gpuE0ELNS1_3repE0EEENS1_30default_config_static_selectorELNS0_4arch9wavefront6targetE0EEEvSY_,"axG",@progbits,_ZN7rocprim17ROCPRIM_400000_NS6detail17trampoline_kernelINS0_13select_configILj256ELj13ELNS0_17block_load_methodE3ELS4_3ELS4_3ELNS0_20block_scan_algorithmE0ELj4294967295EEENS1_25partition_config_selectorILNS1_17partition_subalgoE3EjNS0_10empty_typeEbEEZZNS1_14partition_implILS8_3ELb0ES6_jNS0_17counting_iteratorIjlEEPS9_SE_NS0_5tupleIJPjSE_EEENSF_IJSE_SE_EEES9_SG_JZNS1_25segmented_radix_sort_implINS0_14default_configELb1EPKaPaPKlPlN2at6native12_GLOBAL__N_18offset_tEEE10hipError_tPvRmT1_PNSt15iterator_traitsISY_E10value_typeET2_T3_PNSZ_IS14_E10value_typeET4_jRbjT5_S1A_jjP12ihipStream_tbEUljE_EEESV_SW_SX_S14_S18_S1A_T6_T7_T9_mT8_S1C_bDpT10_ENKUlT_T0_E_clISt17integral_constantIbLb1EES1O_IbLb0EEEEDaS1K_S1L_EUlS1K_E_NS1_11comp_targetILNS1_3genE0ELNS1_11target_archE4294967295ELNS1_3gpuE0ELNS1_3repE0EEENS1_30default_config_static_selectorELNS0_4arch9wavefront6targetE0EEEvSY_,comdat
	.globl	_ZN7rocprim17ROCPRIM_400000_NS6detail17trampoline_kernelINS0_13select_configILj256ELj13ELNS0_17block_load_methodE3ELS4_3ELS4_3ELNS0_20block_scan_algorithmE0ELj4294967295EEENS1_25partition_config_selectorILNS1_17partition_subalgoE3EjNS0_10empty_typeEbEEZZNS1_14partition_implILS8_3ELb0ES6_jNS0_17counting_iteratorIjlEEPS9_SE_NS0_5tupleIJPjSE_EEENSF_IJSE_SE_EEES9_SG_JZNS1_25segmented_radix_sort_implINS0_14default_configELb1EPKaPaPKlPlN2at6native12_GLOBAL__N_18offset_tEEE10hipError_tPvRmT1_PNSt15iterator_traitsISY_E10value_typeET2_T3_PNSZ_IS14_E10value_typeET4_jRbjT5_S1A_jjP12ihipStream_tbEUljE_EEESV_SW_SX_S14_S18_S1A_T6_T7_T9_mT8_S1C_bDpT10_ENKUlT_T0_E_clISt17integral_constantIbLb1EES1O_IbLb0EEEEDaS1K_S1L_EUlS1K_E_NS1_11comp_targetILNS1_3genE0ELNS1_11target_archE4294967295ELNS1_3gpuE0ELNS1_3repE0EEENS1_30default_config_static_selectorELNS0_4arch9wavefront6targetE0EEEvSY_ ; -- Begin function _ZN7rocprim17ROCPRIM_400000_NS6detail17trampoline_kernelINS0_13select_configILj256ELj13ELNS0_17block_load_methodE3ELS4_3ELS4_3ELNS0_20block_scan_algorithmE0ELj4294967295EEENS1_25partition_config_selectorILNS1_17partition_subalgoE3EjNS0_10empty_typeEbEEZZNS1_14partition_implILS8_3ELb0ES6_jNS0_17counting_iteratorIjlEEPS9_SE_NS0_5tupleIJPjSE_EEENSF_IJSE_SE_EEES9_SG_JZNS1_25segmented_radix_sort_implINS0_14default_configELb1EPKaPaPKlPlN2at6native12_GLOBAL__N_18offset_tEEE10hipError_tPvRmT1_PNSt15iterator_traitsISY_E10value_typeET2_T3_PNSZ_IS14_E10value_typeET4_jRbjT5_S1A_jjP12ihipStream_tbEUljE_EEESV_SW_SX_S14_S18_S1A_T6_T7_T9_mT8_S1C_bDpT10_ENKUlT_T0_E_clISt17integral_constantIbLb1EES1O_IbLb0EEEEDaS1K_S1L_EUlS1K_E_NS1_11comp_targetILNS1_3genE0ELNS1_11target_archE4294967295ELNS1_3gpuE0ELNS1_3repE0EEENS1_30default_config_static_selectorELNS0_4arch9wavefront6targetE0EEEvSY_
	.p2align	8
	.type	_ZN7rocprim17ROCPRIM_400000_NS6detail17trampoline_kernelINS0_13select_configILj256ELj13ELNS0_17block_load_methodE3ELS4_3ELS4_3ELNS0_20block_scan_algorithmE0ELj4294967295EEENS1_25partition_config_selectorILNS1_17partition_subalgoE3EjNS0_10empty_typeEbEEZZNS1_14partition_implILS8_3ELb0ES6_jNS0_17counting_iteratorIjlEEPS9_SE_NS0_5tupleIJPjSE_EEENSF_IJSE_SE_EEES9_SG_JZNS1_25segmented_radix_sort_implINS0_14default_configELb1EPKaPaPKlPlN2at6native12_GLOBAL__N_18offset_tEEE10hipError_tPvRmT1_PNSt15iterator_traitsISY_E10value_typeET2_T3_PNSZ_IS14_E10value_typeET4_jRbjT5_S1A_jjP12ihipStream_tbEUljE_EEESV_SW_SX_S14_S18_S1A_T6_T7_T9_mT8_S1C_bDpT10_ENKUlT_T0_E_clISt17integral_constantIbLb1EES1O_IbLb0EEEEDaS1K_S1L_EUlS1K_E_NS1_11comp_targetILNS1_3genE0ELNS1_11target_archE4294967295ELNS1_3gpuE0ELNS1_3repE0EEENS1_30default_config_static_selectorELNS0_4arch9wavefront6targetE0EEEvSY_,@function
_ZN7rocprim17ROCPRIM_400000_NS6detail17trampoline_kernelINS0_13select_configILj256ELj13ELNS0_17block_load_methodE3ELS4_3ELS4_3ELNS0_20block_scan_algorithmE0ELj4294967295EEENS1_25partition_config_selectorILNS1_17partition_subalgoE3EjNS0_10empty_typeEbEEZZNS1_14partition_implILS8_3ELb0ES6_jNS0_17counting_iteratorIjlEEPS9_SE_NS0_5tupleIJPjSE_EEENSF_IJSE_SE_EEES9_SG_JZNS1_25segmented_radix_sort_implINS0_14default_configELb1EPKaPaPKlPlN2at6native12_GLOBAL__N_18offset_tEEE10hipError_tPvRmT1_PNSt15iterator_traitsISY_E10value_typeET2_T3_PNSZ_IS14_E10value_typeET4_jRbjT5_S1A_jjP12ihipStream_tbEUljE_EEESV_SW_SX_S14_S18_S1A_T6_T7_T9_mT8_S1C_bDpT10_ENKUlT_T0_E_clISt17integral_constantIbLb1EES1O_IbLb0EEEEDaS1K_S1L_EUlS1K_E_NS1_11comp_targetILNS1_3genE0ELNS1_11target_archE4294967295ELNS1_3gpuE0ELNS1_3repE0EEENS1_30default_config_static_selectorELNS0_4arch9wavefront6targetE0EEEvSY_: ; @_ZN7rocprim17ROCPRIM_400000_NS6detail17trampoline_kernelINS0_13select_configILj256ELj13ELNS0_17block_load_methodE3ELS4_3ELS4_3ELNS0_20block_scan_algorithmE0ELj4294967295EEENS1_25partition_config_selectorILNS1_17partition_subalgoE3EjNS0_10empty_typeEbEEZZNS1_14partition_implILS8_3ELb0ES6_jNS0_17counting_iteratorIjlEEPS9_SE_NS0_5tupleIJPjSE_EEENSF_IJSE_SE_EEES9_SG_JZNS1_25segmented_radix_sort_implINS0_14default_configELb1EPKaPaPKlPlN2at6native12_GLOBAL__N_18offset_tEEE10hipError_tPvRmT1_PNSt15iterator_traitsISY_E10value_typeET2_T3_PNSZ_IS14_E10value_typeET4_jRbjT5_S1A_jjP12ihipStream_tbEUljE_EEESV_SW_SX_S14_S18_S1A_T6_T7_T9_mT8_S1C_bDpT10_ENKUlT_T0_E_clISt17integral_constantIbLb1EES1O_IbLb0EEEEDaS1K_S1L_EUlS1K_E_NS1_11comp_targetILNS1_3genE0ELNS1_11target_archE4294967295ELNS1_3gpuE0ELNS1_3repE0EEENS1_30default_config_static_selectorELNS0_4arch9wavefront6targetE0EEEvSY_
; %bb.0:
	s_endpgm
	.section	.rodata,"a",@progbits
	.p2align	6, 0x0
	.amdhsa_kernel _ZN7rocprim17ROCPRIM_400000_NS6detail17trampoline_kernelINS0_13select_configILj256ELj13ELNS0_17block_load_methodE3ELS4_3ELS4_3ELNS0_20block_scan_algorithmE0ELj4294967295EEENS1_25partition_config_selectorILNS1_17partition_subalgoE3EjNS0_10empty_typeEbEEZZNS1_14partition_implILS8_3ELb0ES6_jNS0_17counting_iteratorIjlEEPS9_SE_NS0_5tupleIJPjSE_EEENSF_IJSE_SE_EEES9_SG_JZNS1_25segmented_radix_sort_implINS0_14default_configELb1EPKaPaPKlPlN2at6native12_GLOBAL__N_18offset_tEEE10hipError_tPvRmT1_PNSt15iterator_traitsISY_E10value_typeET2_T3_PNSZ_IS14_E10value_typeET4_jRbjT5_S1A_jjP12ihipStream_tbEUljE_EEESV_SW_SX_S14_S18_S1A_T6_T7_T9_mT8_S1C_bDpT10_ENKUlT_T0_E_clISt17integral_constantIbLb1EES1O_IbLb0EEEEDaS1K_S1L_EUlS1K_E_NS1_11comp_targetILNS1_3genE0ELNS1_11target_archE4294967295ELNS1_3gpuE0ELNS1_3repE0EEENS1_30default_config_static_selectorELNS0_4arch9wavefront6targetE0EEEvSY_
		.amdhsa_group_segment_fixed_size 0
		.amdhsa_private_segment_fixed_size 0
		.amdhsa_kernarg_size 144
		.amdhsa_user_sgpr_count 2
		.amdhsa_user_sgpr_dispatch_ptr 0
		.amdhsa_user_sgpr_queue_ptr 0
		.amdhsa_user_sgpr_kernarg_segment_ptr 1
		.amdhsa_user_sgpr_dispatch_id 0
		.amdhsa_user_sgpr_kernarg_preload_length 0
		.amdhsa_user_sgpr_kernarg_preload_offset 0
		.amdhsa_user_sgpr_private_segment_size 0
		.amdhsa_wavefront_size32 1
		.amdhsa_uses_dynamic_stack 0
		.amdhsa_enable_private_segment 0
		.amdhsa_system_sgpr_workgroup_id_x 1
		.amdhsa_system_sgpr_workgroup_id_y 0
		.amdhsa_system_sgpr_workgroup_id_z 0
		.amdhsa_system_sgpr_workgroup_info 0
		.amdhsa_system_vgpr_workitem_id 0
		.amdhsa_next_free_vgpr 1
		.amdhsa_next_free_sgpr 1
		.amdhsa_named_barrier_count 0
		.amdhsa_reserve_vcc 0
		.amdhsa_float_round_mode_32 0
		.amdhsa_float_round_mode_16_64 0
		.amdhsa_float_denorm_mode_32 3
		.amdhsa_float_denorm_mode_16_64 3
		.amdhsa_fp16_overflow 0
		.amdhsa_memory_ordered 1
		.amdhsa_forward_progress 1
		.amdhsa_inst_pref_size 1
		.amdhsa_round_robin_scheduling 0
		.amdhsa_exception_fp_ieee_invalid_op 0
		.amdhsa_exception_fp_denorm_src 0
		.amdhsa_exception_fp_ieee_div_zero 0
		.amdhsa_exception_fp_ieee_overflow 0
		.amdhsa_exception_fp_ieee_underflow 0
		.amdhsa_exception_fp_ieee_inexact 0
		.amdhsa_exception_int_div_zero 0
	.end_amdhsa_kernel
	.section	.text._ZN7rocprim17ROCPRIM_400000_NS6detail17trampoline_kernelINS0_13select_configILj256ELj13ELNS0_17block_load_methodE3ELS4_3ELS4_3ELNS0_20block_scan_algorithmE0ELj4294967295EEENS1_25partition_config_selectorILNS1_17partition_subalgoE3EjNS0_10empty_typeEbEEZZNS1_14partition_implILS8_3ELb0ES6_jNS0_17counting_iteratorIjlEEPS9_SE_NS0_5tupleIJPjSE_EEENSF_IJSE_SE_EEES9_SG_JZNS1_25segmented_radix_sort_implINS0_14default_configELb1EPKaPaPKlPlN2at6native12_GLOBAL__N_18offset_tEEE10hipError_tPvRmT1_PNSt15iterator_traitsISY_E10value_typeET2_T3_PNSZ_IS14_E10value_typeET4_jRbjT5_S1A_jjP12ihipStream_tbEUljE_EEESV_SW_SX_S14_S18_S1A_T6_T7_T9_mT8_S1C_bDpT10_ENKUlT_T0_E_clISt17integral_constantIbLb1EES1O_IbLb0EEEEDaS1K_S1L_EUlS1K_E_NS1_11comp_targetILNS1_3genE0ELNS1_11target_archE4294967295ELNS1_3gpuE0ELNS1_3repE0EEENS1_30default_config_static_selectorELNS0_4arch9wavefront6targetE0EEEvSY_,"axG",@progbits,_ZN7rocprim17ROCPRIM_400000_NS6detail17trampoline_kernelINS0_13select_configILj256ELj13ELNS0_17block_load_methodE3ELS4_3ELS4_3ELNS0_20block_scan_algorithmE0ELj4294967295EEENS1_25partition_config_selectorILNS1_17partition_subalgoE3EjNS0_10empty_typeEbEEZZNS1_14partition_implILS8_3ELb0ES6_jNS0_17counting_iteratorIjlEEPS9_SE_NS0_5tupleIJPjSE_EEENSF_IJSE_SE_EEES9_SG_JZNS1_25segmented_radix_sort_implINS0_14default_configELb1EPKaPaPKlPlN2at6native12_GLOBAL__N_18offset_tEEE10hipError_tPvRmT1_PNSt15iterator_traitsISY_E10value_typeET2_T3_PNSZ_IS14_E10value_typeET4_jRbjT5_S1A_jjP12ihipStream_tbEUljE_EEESV_SW_SX_S14_S18_S1A_T6_T7_T9_mT8_S1C_bDpT10_ENKUlT_T0_E_clISt17integral_constantIbLb1EES1O_IbLb0EEEEDaS1K_S1L_EUlS1K_E_NS1_11comp_targetILNS1_3genE0ELNS1_11target_archE4294967295ELNS1_3gpuE0ELNS1_3repE0EEENS1_30default_config_static_selectorELNS0_4arch9wavefront6targetE0EEEvSY_,comdat
.Lfunc_end272:
	.size	_ZN7rocprim17ROCPRIM_400000_NS6detail17trampoline_kernelINS0_13select_configILj256ELj13ELNS0_17block_load_methodE3ELS4_3ELS4_3ELNS0_20block_scan_algorithmE0ELj4294967295EEENS1_25partition_config_selectorILNS1_17partition_subalgoE3EjNS0_10empty_typeEbEEZZNS1_14partition_implILS8_3ELb0ES6_jNS0_17counting_iteratorIjlEEPS9_SE_NS0_5tupleIJPjSE_EEENSF_IJSE_SE_EEES9_SG_JZNS1_25segmented_radix_sort_implINS0_14default_configELb1EPKaPaPKlPlN2at6native12_GLOBAL__N_18offset_tEEE10hipError_tPvRmT1_PNSt15iterator_traitsISY_E10value_typeET2_T3_PNSZ_IS14_E10value_typeET4_jRbjT5_S1A_jjP12ihipStream_tbEUljE_EEESV_SW_SX_S14_S18_S1A_T6_T7_T9_mT8_S1C_bDpT10_ENKUlT_T0_E_clISt17integral_constantIbLb1EES1O_IbLb0EEEEDaS1K_S1L_EUlS1K_E_NS1_11comp_targetILNS1_3genE0ELNS1_11target_archE4294967295ELNS1_3gpuE0ELNS1_3repE0EEENS1_30default_config_static_selectorELNS0_4arch9wavefront6targetE0EEEvSY_, .Lfunc_end272-_ZN7rocprim17ROCPRIM_400000_NS6detail17trampoline_kernelINS0_13select_configILj256ELj13ELNS0_17block_load_methodE3ELS4_3ELS4_3ELNS0_20block_scan_algorithmE0ELj4294967295EEENS1_25partition_config_selectorILNS1_17partition_subalgoE3EjNS0_10empty_typeEbEEZZNS1_14partition_implILS8_3ELb0ES6_jNS0_17counting_iteratorIjlEEPS9_SE_NS0_5tupleIJPjSE_EEENSF_IJSE_SE_EEES9_SG_JZNS1_25segmented_radix_sort_implINS0_14default_configELb1EPKaPaPKlPlN2at6native12_GLOBAL__N_18offset_tEEE10hipError_tPvRmT1_PNSt15iterator_traitsISY_E10value_typeET2_T3_PNSZ_IS14_E10value_typeET4_jRbjT5_S1A_jjP12ihipStream_tbEUljE_EEESV_SW_SX_S14_S18_S1A_T6_T7_T9_mT8_S1C_bDpT10_ENKUlT_T0_E_clISt17integral_constantIbLb1EES1O_IbLb0EEEEDaS1K_S1L_EUlS1K_E_NS1_11comp_targetILNS1_3genE0ELNS1_11target_archE4294967295ELNS1_3gpuE0ELNS1_3repE0EEENS1_30default_config_static_selectorELNS0_4arch9wavefront6targetE0EEEvSY_
                                        ; -- End function
	.set _ZN7rocprim17ROCPRIM_400000_NS6detail17trampoline_kernelINS0_13select_configILj256ELj13ELNS0_17block_load_methodE3ELS4_3ELS4_3ELNS0_20block_scan_algorithmE0ELj4294967295EEENS1_25partition_config_selectorILNS1_17partition_subalgoE3EjNS0_10empty_typeEbEEZZNS1_14partition_implILS8_3ELb0ES6_jNS0_17counting_iteratorIjlEEPS9_SE_NS0_5tupleIJPjSE_EEENSF_IJSE_SE_EEES9_SG_JZNS1_25segmented_radix_sort_implINS0_14default_configELb1EPKaPaPKlPlN2at6native12_GLOBAL__N_18offset_tEEE10hipError_tPvRmT1_PNSt15iterator_traitsISY_E10value_typeET2_T3_PNSZ_IS14_E10value_typeET4_jRbjT5_S1A_jjP12ihipStream_tbEUljE_EEESV_SW_SX_S14_S18_S1A_T6_T7_T9_mT8_S1C_bDpT10_ENKUlT_T0_E_clISt17integral_constantIbLb1EES1O_IbLb0EEEEDaS1K_S1L_EUlS1K_E_NS1_11comp_targetILNS1_3genE0ELNS1_11target_archE4294967295ELNS1_3gpuE0ELNS1_3repE0EEENS1_30default_config_static_selectorELNS0_4arch9wavefront6targetE0EEEvSY_.num_vgpr, 0
	.set _ZN7rocprim17ROCPRIM_400000_NS6detail17trampoline_kernelINS0_13select_configILj256ELj13ELNS0_17block_load_methodE3ELS4_3ELS4_3ELNS0_20block_scan_algorithmE0ELj4294967295EEENS1_25partition_config_selectorILNS1_17partition_subalgoE3EjNS0_10empty_typeEbEEZZNS1_14partition_implILS8_3ELb0ES6_jNS0_17counting_iteratorIjlEEPS9_SE_NS0_5tupleIJPjSE_EEENSF_IJSE_SE_EEES9_SG_JZNS1_25segmented_radix_sort_implINS0_14default_configELb1EPKaPaPKlPlN2at6native12_GLOBAL__N_18offset_tEEE10hipError_tPvRmT1_PNSt15iterator_traitsISY_E10value_typeET2_T3_PNSZ_IS14_E10value_typeET4_jRbjT5_S1A_jjP12ihipStream_tbEUljE_EEESV_SW_SX_S14_S18_S1A_T6_T7_T9_mT8_S1C_bDpT10_ENKUlT_T0_E_clISt17integral_constantIbLb1EES1O_IbLb0EEEEDaS1K_S1L_EUlS1K_E_NS1_11comp_targetILNS1_3genE0ELNS1_11target_archE4294967295ELNS1_3gpuE0ELNS1_3repE0EEENS1_30default_config_static_selectorELNS0_4arch9wavefront6targetE0EEEvSY_.num_agpr, 0
	.set _ZN7rocprim17ROCPRIM_400000_NS6detail17trampoline_kernelINS0_13select_configILj256ELj13ELNS0_17block_load_methodE3ELS4_3ELS4_3ELNS0_20block_scan_algorithmE0ELj4294967295EEENS1_25partition_config_selectorILNS1_17partition_subalgoE3EjNS0_10empty_typeEbEEZZNS1_14partition_implILS8_3ELb0ES6_jNS0_17counting_iteratorIjlEEPS9_SE_NS0_5tupleIJPjSE_EEENSF_IJSE_SE_EEES9_SG_JZNS1_25segmented_radix_sort_implINS0_14default_configELb1EPKaPaPKlPlN2at6native12_GLOBAL__N_18offset_tEEE10hipError_tPvRmT1_PNSt15iterator_traitsISY_E10value_typeET2_T3_PNSZ_IS14_E10value_typeET4_jRbjT5_S1A_jjP12ihipStream_tbEUljE_EEESV_SW_SX_S14_S18_S1A_T6_T7_T9_mT8_S1C_bDpT10_ENKUlT_T0_E_clISt17integral_constantIbLb1EES1O_IbLb0EEEEDaS1K_S1L_EUlS1K_E_NS1_11comp_targetILNS1_3genE0ELNS1_11target_archE4294967295ELNS1_3gpuE0ELNS1_3repE0EEENS1_30default_config_static_selectorELNS0_4arch9wavefront6targetE0EEEvSY_.numbered_sgpr, 0
	.set _ZN7rocprim17ROCPRIM_400000_NS6detail17trampoline_kernelINS0_13select_configILj256ELj13ELNS0_17block_load_methodE3ELS4_3ELS4_3ELNS0_20block_scan_algorithmE0ELj4294967295EEENS1_25partition_config_selectorILNS1_17partition_subalgoE3EjNS0_10empty_typeEbEEZZNS1_14partition_implILS8_3ELb0ES6_jNS0_17counting_iteratorIjlEEPS9_SE_NS0_5tupleIJPjSE_EEENSF_IJSE_SE_EEES9_SG_JZNS1_25segmented_radix_sort_implINS0_14default_configELb1EPKaPaPKlPlN2at6native12_GLOBAL__N_18offset_tEEE10hipError_tPvRmT1_PNSt15iterator_traitsISY_E10value_typeET2_T3_PNSZ_IS14_E10value_typeET4_jRbjT5_S1A_jjP12ihipStream_tbEUljE_EEESV_SW_SX_S14_S18_S1A_T6_T7_T9_mT8_S1C_bDpT10_ENKUlT_T0_E_clISt17integral_constantIbLb1EES1O_IbLb0EEEEDaS1K_S1L_EUlS1K_E_NS1_11comp_targetILNS1_3genE0ELNS1_11target_archE4294967295ELNS1_3gpuE0ELNS1_3repE0EEENS1_30default_config_static_selectorELNS0_4arch9wavefront6targetE0EEEvSY_.num_named_barrier, 0
	.set _ZN7rocprim17ROCPRIM_400000_NS6detail17trampoline_kernelINS0_13select_configILj256ELj13ELNS0_17block_load_methodE3ELS4_3ELS4_3ELNS0_20block_scan_algorithmE0ELj4294967295EEENS1_25partition_config_selectorILNS1_17partition_subalgoE3EjNS0_10empty_typeEbEEZZNS1_14partition_implILS8_3ELb0ES6_jNS0_17counting_iteratorIjlEEPS9_SE_NS0_5tupleIJPjSE_EEENSF_IJSE_SE_EEES9_SG_JZNS1_25segmented_radix_sort_implINS0_14default_configELb1EPKaPaPKlPlN2at6native12_GLOBAL__N_18offset_tEEE10hipError_tPvRmT1_PNSt15iterator_traitsISY_E10value_typeET2_T3_PNSZ_IS14_E10value_typeET4_jRbjT5_S1A_jjP12ihipStream_tbEUljE_EEESV_SW_SX_S14_S18_S1A_T6_T7_T9_mT8_S1C_bDpT10_ENKUlT_T0_E_clISt17integral_constantIbLb1EES1O_IbLb0EEEEDaS1K_S1L_EUlS1K_E_NS1_11comp_targetILNS1_3genE0ELNS1_11target_archE4294967295ELNS1_3gpuE0ELNS1_3repE0EEENS1_30default_config_static_selectorELNS0_4arch9wavefront6targetE0EEEvSY_.private_seg_size, 0
	.set _ZN7rocprim17ROCPRIM_400000_NS6detail17trampoline_kernelINS0_13select_configILj256ELj13ELNS0_17block_load_methodE3ELS4_3ELS4_3ELNS0_20block_scan_algorithmE0ELj4294967295EEENS1_25partition_config_selectorILNS1_17partition_subalgoE3EjNS0_10empty_typeEbEEZZNS1_14partition_implILS8_3ELb0ES6_jNS0_17counting_iteratorIjlEEPS9_SE_NS0_5tupleIJPjSE_EEENSF_IJSE_SE_EEES9_SG_JZNS1_25segmented_radix_sort_implINS0_14default_configELb1EPKaPaPKlPlN2at6native12_GLOBAL__N_18offset_tEEE10hipError_tPvRmT1_PNSt15iterator_traitsISY_E10value_typeET2_T3_PNSZ_IS14_E10value_typeET4_jRbjT5_S1A_jjP12ihipStream_tbEUljE_EEESV_SW_SX_S14_S18_S1A_T6_T7_T9_mT8_S1C_bDpT10_ENKUlT_T0_E_clISt17integral_constantIbLb1EES1O_IbLb0EEEEDaS1K_S1L_EUlS1K_E_NS1_11comp_targetILNS1_3genE0ELNS1_11target_archE4294967295ELNS1_3gpuE0ELNS1_3repE0EEENS1_30default_config_static_selectorELNS0_4arch9wavefront6targetE0EEEvSY_.uses_vcc, 0
	.set _ZN7rocprim17ROCPRIM_400000_NS6detail17trampoline_kernelINS0_13select_configILj256ELj13ELNS0_17block_load_methodE3ELS4_3ELS4_3ELNS0_20block_scan_algorithmE0ELj4294967295EEENS1_25partition_config_selectorILNS1_17partition_subalgoE3EjNS0_10empty_typeEbEEZZNS1_14partition_implILS8_3ELb0ES6_jNS0_17counting_iteratorIjlEEPS9_SE_NS0_5tupleIJPjSE_EEENSF_IJSE_SE_EEES9_SG_JZNS1_25segmented_radix_sort_implINS0_14default_configELb1EPKaPaPKlPlN2at6native12_GLOBAL__N_18offset_tEEE10hipError_tPvRmT1_PNSt15iterator_traitsISY_E10value_typeET2_T3_PNSZ_IS14_E10value_typeET4_jRbjT5_S1A_jjP12ihipStream_tbEUljE_EEESV_SW_SX_S14_S18_S1A_T6_T7_T9_mT8_S1C_bDpT10_ENKUlT_T0_E_clISt17integral_constantIbLb1EES1O_IbLb0EEEEDaS1K_S1L_EUlS1K_E_NS1_11comp_targetILNS1_3genE0ELNS1_11target_archE4294967295ELNS1_3gpuE0ELNS1_3repE0EEENS1_30default_config_static_selectorELNS0_4arch9wavefront6targetE0EEEvSY_.uses_flat_scratch, 0
	.set _ZN7rocprim17ROCPRIM_400000_NS6detail17trampoline_kernelINS0_13select_configILj256ELj13ELNS0_17block_load_methodE3ELS4_3ELS4_3ELNS0_20block_scan_algorithmE0ELj4294967295EEENS1_25partition_config_selectorILNS1_17partition_subalgoE3EjNS0_10empty_typeEbEEZZNS1_14partition_implILS8_3ELb0ES6_jNS0_17counting_iteratorIjlEEPS9_SE_NS0_5tupleIJPjSE_EEENSF_IJSE_SE_EEES9_SG_JZNS1_25segmented_radix_sort_implINS0_14default_configELb1EPKaPaPKlPlN2at6native12_GLOBAL__N_18offset_tEEE10hipError_tPvRmT1_PNSt15iterator_traitsISY_E10value_typeET2_T3_PNSZ_IS14_E10value_typeET4_jRbjT5_S1A_jjP12ihipStream_tbEUljE_EEESV_SW_SX_S14_S18_S1A_T6_T7_T9_mT8_S1C_bDpT10_ENKUlT_T0_E_clISt17integral_constantIbLb1EES1O_IbLb0EEEEDaS1K_S1L_EUlS1K_E_NS1_11comp_targetILNS1_3genE0ELNS1_11target_archE4294967295ELNS1_3gpuE0ELNS1_3repE0EEENS1_30default_config_static_selectorELNS0_4arch9wavefront6targetE0EEEvSY_.has_dyn_sized_stack, 0
	.set _ZN7rocprim17ROCPRIM_400000_NS6detail17trampoline_kernelINS0_13select_configILj256ELj13ELNS0_17block_load_methodE3ELS4_3ELS4_3ELNS0_20block_scan_algorithmE0ELj4294967295EEENS1_25partition_config_selectorILNS1_17partition_subalgoE3EjNS0_10empty_typeEbEEZZNS1_14partition_implILS8_3ELb0ES6_jNS0_17counting_iteratorIjlEEPS9_SE_NS0_5tupleIJPjSE_EEENSF_IJSE_SE_EEES9_SG_JZNS1_25segmented_radix_sort_implINS0_14default_configELb1EPKaPaPKlPlN2at6native12_GLOBAL__N_18offset_tEEE10hipError_tPvRmT1_PNSt15iterator_traitsISY_E10value_typeET2_T3_PNSZ_IS14_E10value_typeET4_jRbjT5_S1A_jjP12ihipStream_tbEUljE_EEESV_SW_SX_S14_S18_S1A_T6_T7_T9_mT8_S1C_bDpT10_ENKUlT_T0_E_clISt17integral_constantIbLb1EES1O_IbLb0EEEEDaS1K_S1L_EUlS1K_E_NS1_11comp_targetILNS1_3genE0ELNS1_11target_archE4294967295ELNS1_3gpuE0ELNS1_3repE0EEENS1_30default_config_static_selectorELNS0_4arch9wavefront6targetE0EEEvSY_.has_recursion, 0
	.set _ZN7rocprim17ROCPRIM_400000_NS6detail17trampoline_kernelINS0_13select_configILj256ELj13ELNS0_17block_load_methodE3ELS4_3ELS4_3ELNS0_20block_scan_algorithmE0ELj4294967295EEENS1_25partition_config_selectorILNS1_17partition_subalgoE3EjNS0_10empty_typeEbEEZZNS1_14partition_implILS8_3ELb0ES6_jNS0_17counting_iteratorIjlEEPS9_SE_NS0_5tupleIJPjSE_EEENSF_IJSE_SE_EEES9_SG_JZNS1_25segmented_radix_sort_implINS0_14default_configELb1EPKaPaPKlPlN2at6native12_GLOBAL__N_18offset_tEEE10hipError_tPvRmT1_PNSt15iterator_traitsISY_E10value_typeET2_T3_PNSZ_IS14_E10value_typeET4_jRbjT5_S1A_jjP12ihipStream_tbEUljE_EEESV_SW_SX_S14_S18_S1A_T6_T7_T9_mT8_S1C_bDpT10_ENKUlT_T0_E_clISt17integral_constantIbLb1EES1O_IbLb0EEEEDaS1K_S1L_EUlS1K_E_NS1_11comp_targetILNS1_3genE0ELNS1_11target_archE4294967295ELNS1_3gpuE0ELNS1_3repE0EEENS1_30default_config_static_selectorELNS0_4arch9wavefront6targetE0EEEvSY_.has_indirect_call, 0
	.section	.AMDGPU.csdata,"",@progbits
; Kernel info:
; codeLenInByte = 4
; TotalNumSgprs: 0
; NumVgprs: 0
; ScratchSize: 0
; MemoryBound: 0
; FloatMode: 240
; IeeeMode: 1
; LDSByteSize: 0 bytes/workgroup (compile time only)
; SGPRBlocks: 0
; VGPRBlocks: 0
; NumSGPRsForWavesPerEU: 1
; NumVGPRsForWavesPerEU: 1
; NamedBarCnt: 0
; Occupancy: 16
; WaveLimiterHint : 0
; COMPUTE_PGM_RSRC2:SCRATCH_EN: 0
; COMPUTE_PGM_RSRC2:USER_SGPR: 2
; COMPUTE_PGM_RSRC2:TRAP_HANDLER: 0
; COMPUTE_PGM_RSRC2:TGID_X_EN: 1
; COMPUTE_PGM_RSRC2:TGID_Y_EN: 0
; COMPUTE_PGM_RSRC2:TGID_Z_EN: 0
; COMPUTE_PGM_RSRC2:TIDIG_COMP_CNT: 0
	.section	.text._ZN7rocprim17ROCPRIM_400000_NS6detail17trampoline_kernelINS0_13select_configILj256ELj13ELNS0_17block_load_methodE3ELS4_3ELS4_3ELNS0_20block_scan_algorithmE0ELj4294967295EEENS1_25partition_config_selectorILNS1_17partition_subalgoE3EjNS0_10empty_typeEbEEZZNS1_14partition_implILS8_3ELb0ES6_jNS0_17counting_iteratorIjlEEPS9_SE_NS0_5tupleIJPjSE_EEENSF_IJSE_SE_EEES9_SG_JZNS1_25segmented_radix_sort_implINS0_14default_configELb1EPKaPaPKlPlN2at6native12_GLOBAL__N_18offset_tEEE10hipError_tPvRmT1_PNSt15iterator_traitsISY_E10value_typeET2_T3_PNSZ_IS14_E10value_typeET4_jRbjT5_S1A_jjP12ihipStream_tbEUljE_EEESV_SW_SX_S14_S18_S1A_T6_T7_T9_mT8_S1C_bDpT10_ENKUlT_T0_E_clISt17integral_constantIbLb1EES1O_IbLb0EEEEDaS1K_S1L_EUlS1K_E_NS1_11comp_targetILNS1_3genE5ELNS1_11target_archE942ELNS1_3gpuE9ELNS1_3repE0EEENS1_30default_config_static_selectorELNS0_4arch9wavefront6targetE0EEEvSY_,"axG",@progbits,_ZN7rocprim17ROCPRIM_400000_NS6detail17trampoline_kernelINS0_13select_configILj256ELj13ELNS0_17block_load_methodE3ELS4_3ELS4_3ELNS0_20block_scan_algorithmE0ELj4294967295EEENS1_25partition_config_selectorILNS1_17partition_subalgoE3EjNS0_10empty_typeEbEEZZNS1_14partition_implILS8_3ELb0ES6_jNS0_17counting_iteratorIjlEEPS9_SE_NS0_5tupleIJPjSE_EEENSF_IJSE_SE_EEES9_SG_JZNS1_25segmented_radix_sort_implINS0_14default_configELb1EPKaPaPKlPlN2at6native12_GLOBAL__N_18offset_tEEE10hipError_tPvRmT1_PNSt15iterator_traitsISY_E10value_typeET2_T3_PNSZ_IS14_E10value_typeET4_jRbjT5_S1A_jjP12ihipStream_tbEUljE_EEESV_SW_SX_S14_S18_S1A_T6_T7_T9_mT8_S1C_bDpT10_ENKUlT_T0_E_clISt17integral_constantIbLb1EES1O_IbLb0EEEEDaS1K_S1L_EUlS1K_E_NS1_11comp_targetILNS1_3genE5ELNS1_11target_archE942ELNS1_3gpuE9ELNS1_3repE0EEENS1_30default_config_static_selectorELNS0_4arch9wavefront6targetE0EEEvSY_,comdat
	.globl	_ZN7rocprim17ROCPRIM_400000_NS6detail17trampoline_kernelINS0_13select_configILj256ELj13ELNS0_17block_load_methodE3ELS4_3ELS4_3ELNS0_20block_scan_algorithmE0ELj4294967295EEENS1_25partition_config_selectorILNS1_17partition_subalgoE3EjNS0_10empty_typeEbEEZZNS1_14partition_implILS8_3ELb0ES6_jNS0_17counting_iteratorIjlEEPS9_SE_NS0_5tupleIJPjSE_EEENSF_IJSE_SE_EEES9_SG_JZNS1_25segmented_radix_sort_implINS0_14default_configELb1EPKaPaPKlPlN2at6native12_GLOBAL__N_18offset_tEEE10hipError_tPvRmT1_PNSt15iterator_traitsISY_E10value_typeET2_T3_PNSZ_IS14_E10value_typeET4_jRbjT5_S1A_jjP12ihipStream_tbEUljE_EEESV_SW_SX_S14_S18_S1A_T6_T7_T9_mT8_S1C_bDpT10_ENKUlT_T0_E_clISt17integral_constantIbLb1EES1O_IbLb0EEEEDaS1K_S1L_EUlS1K_E_NS1_11comp_targetILNS1_3genE5ELNS1_11target_archE942ELNS1_3gpuE9ELNS1_3repE0EEENS1_30default_config_static_selectorELNS0_4arch9wavefront6targetE0EEEvSY_ ; -- Begin function _ZN7rocprim17ROCPRIM_400000_NS6detail17trampoline_kernelINS0_13select_configILj256ELj13ELNS0_17block_load_methodE3ELS4_3ELS4_3ELNS0_20block_scan_algorithmE0ELj4294967295EEENS1_25partition_config_selectorILNS1_17partition_subalgoE3EjNS0_10empty_typeEbEEZZNS1_14partition_implILS8_3ELb0ES6_jNS0_17counting_iteratorIjlEEPS9_SE_NS0_5tupleIJPjSE_EEENSF_IJSE_SE_EEES9_SG_JZNS1_25segmented_radix_sort_implINS0_14default_configELb1EPKaPaPKlPlN2at6native12_GLOBAL__N_18offset_tEEE10hipError_tPvRmT1_PNSt15iterator_traitsISY_E10value_typeET2_T3_PNSZ_IS14_E10value_typeET4_jRbjT5_S1A_jjP12ihipStream_tbEUljE_EEESV_SW_SX_S14_S18_S1A_T6_T7_T9_mT8_S1C_bDpT10_ENKUlT_T0_E_clISt17integral_constantIbLb1EES1O_IbLb0EEEEDaS1K_S1L_EUlS1K_E_NS1_11comp_targetILNS1_3genE5ELNS1_11target_archE942ELNS1_3gpuE9ELNS1_3repE0EEENS1_30default_config_static_selectorELNS0_4arch9wavefront6targetE0EEEvSY_
	.p2align	8
	.type	_ZN7rocprim17ROCPRIM_400000_NS6detail17trampoline_kernelINS0_13select_configILj256ELj13ELNS0_17block_load_methodE3ELS4_3ELS4_3ELNS0_20block_scan_algorithmE0ELj4294967295EEENS1_25partition_config_selectorILNS1_17partition_subalgoE3EjNS0_10empty_typeEbEEZZNS1_14partition_implILS8_3ELb0ES6_jNS0_17counting_iteratorIjlEEPS9_SE_NS0_5tupleIJPjSE_EEENSF_IJSE_SE_EEES9_SG_JZNS1_25segmented_radix_sort_implINS0_14default_configELb1EPKaPaPKlPlN2at6native12_GLOBAL__N_18offset_tEEE10hipError_tPvRmT1_PNSt15iterator_traitsISY_E10value_typeET2_T3_PNSZ_IS14_E10value_typeET4_jRbjT5_S1A_jjP12ihipStream_tbEUljE_EEESV_SW_SX_S14_S18_S1A_T6_T7_T9_mT8_S1C_bDpT10_ENKUlT_T0_E_clISt17integral_constantIbLb1EES1O_IbLb0EEEEDaS1K_S1L_EUlS1K_E_NS1_11comp_targetILNS1_3genE5ELNS1_11target_archE942ELNS1_3gpuE9ELNS1_3repE0EEENS1_30default_config_static_selectorELNS0_4arch9wavefront6targetE0EEEvSY_,@function
_ZN7rocprim17ROCPRIM_400000_NS6detail17trampoline_kernelINS0_13select_configILj256ELj13ELNS0_17block_load_methodE3ELS4_3ELS4_3ELNS0_20block_scan_algorithmE0ELj4294967295EEENS1_25partition_config_selectorILNS1_17partition_subalgoE3EjNS0_10empty_typeEbEEZZNS1_14partition_implILS8_3ELb0ES6_jNS0_17counting_iteratorIjlEEPS9_SE_NS0_5tupleIJPjSE_EEENSF_IJSE_SE_EEES9_SG_JZNS1_25segmented_radix_sort_implINS0_14default_configELb1EPKaPaPKlPlN2at6native12_GLOBAL__N_18offset_tEEE10hipError_tPvRmT1_PNSt15iterator_traitsISY_E10value_typeET2_T3_PNSZ_IS14_E10value_typeET4_jRbjT5_S1A_jjP12ihipStream_tbEUljE_EEESV_SW_SX_S14_S18_S1A_T6_T7_T9_mT8_S1C_bDpT10_ENKUlT_T0_E_clISt17integral_constantIbLb1EES1O_IbLb0EEEEDaS1K_S1L_EUlS1K_E_NS1_11comp_targetILNS1_3genE5ELNS1_11target_archE942ELNS1_3gpuE9ELNS1_3repE0EEENS1_30default_config_static_selectorELNS0_4arch9wavefront6targetE0EEEvSY_: ; @_ZN7rocprim17ROCPRIM_400000_NS6detail17trampoline_kernelINS0_13select_configILj256ELj13ELNS0_17block_load_methodE3ELS4_3ELS4_3ELNS0_20block_scan_algorithmE0ELj4294967295EEENS1_25partition_config_selectorILNS1_17partition_subalgoE3EjNS0_10empty_typeEbEEZZNS1_14partition_implILS8_3ELb0ES6_jNS0_17counting_iteratorIjlEEPS9_SE_NS0_5tupleIJPjSE_EEENSF_IJSE_SE_EEES9_SG_JZNS1_25segmented_radix_sort_implINS0_14default_configELb1EPKaPaPKlPlN2at6native12_GLOBAL__N_18offset_tEEE10hipError_tPvRmT1_PNSt15iterator_traitsISY_E10value_typeET2_T3_PNSZ_IS14_E10value_typeET4_jRbjT5_S1A_jjP12ihipStream_tbEUljE_EEESV_SW_SX_S14_S18_S1A_T6_T7_T9_mT8_S1C_bDpT10_ENKUlT_T0_E_clISt17integral_constantIbLb1EES1O_IbLb0EEEEDaS1K_S1L_EUlS1K_E_NS1_11comp_targetILNS1_3genE5ELNS1_11target_archE942ELNS1_3gpuE9ELNS1_3repE0EEENS1_30default_config_static_selectorELNS0_4arch9wavefront6targetE0EEEvSY_
; %bb.0:
	.section	.rodata,"a",@progbits
	.p2align	6, 0x0
	.amdhsa_kernel _ZN7rocprim17ROCPRIM_400000_NS6detail17trampoline_kernelINS0_13select_configILj256ELj13ELNS0_17block_load_methodE3ELS4_3ELS4_3ELNS0_20block_scan_algorithmE0ELj4294967295EEENS1_25partition_config_selectorILNS1_17partition_subalgoE3EjNS0_10empty_typeEbEEZZNS1_14partition_implILS8_3ELb0ES6_jNS0_17counting_iteratorIjlEEPS9_SE_NS0_5tupleIJPjSE_EEENSF_IJSE_SE_EEES9_SG_JZNS1_25segmented_radix_sort_implINS0_14default_configELb1EPKaPaPKlPlN2at6native12_GLOBAL__N_18offset_tEEE10hipError_tPvRmT1_PNSt15iterator_traitsISY_E10value_typeET2_T3_PNSZ_IS14_E10value_typeET4_jRbjT5_S1A_jjP12ihipStream_tbEUljE_EEESV_SW_SX_S14_S18_S1A_T6_T7_T9_mT8_S1C_bDpT10_ENKUlT_T0_E_clISt17integral_constantIbLb1EES1O_IbLb0EEEEDaS1K_S1L_EUlS1K_E_NS1_11comp_targetILNS1_3genE5ELNS1_11target_archE942ELNS1_3gpuE9ELNS1_3repE0EEENS1_30default_config_static_selectorELNS0_4arch9wavefront6targetE0EEEvSY_
		.amdhsa_group_segment_fixed_size 0
		.amdhsa_private_segment_fixed_size 0
		.amdhsa_kernarg_size 144
		.amdhsa_user_sgpr_count 2
		.amdhsa_user_sgpr_dispatch_ptr 0
		.amdhsa_user_sgpr_queue_ptr 0
		.amdhsa_user_sgpr_kernarg_segment_ptr 1
		.amdhsa_user_sgpr_dispatch_id 0
		.amdhsa_user_sgpr_kernarg_preload_length 0
		.amdhsa_user_sgpr_kernarg_preload_offset 0
		.amdhsa_user_sgpr_private_segment_size 0
		.amdhsa_wavefront_size32 1
		.amdhsa_uses_dynamic_stack 0
		.amdhsa_enable_private_segment 0
		.amdhsa_system_sgpr_workgroup_id_x 1
		.amdhsa_system_sgpr_workgroup_id_y 0
		.amdhsa_system_sgpr_workgroup_id_z 0
		.amdhsa_system_sgpr_workgroup_info 0
		.amdhsa_system_vgpr_workitem_id 0
		.amdhsa_next_free_vgpr 1
		.amdhsa_next_free_sgpr 1
		.amdhsa_named_barrier_count 0
		.amdhsa_reserve_vcc 0
		.amdhsa_float_round_mode_32 0
		.amdhsa_float_round_mode_16_64 0
		.amdhsa_float_denorm_mode_32 3
		.amdhsa_float_denorm_mode_16_64 3
		.amdhsa_fp16_overflow 0
		.amdhsa_memory_ordered 1
		.amdhsa_forward_progress 1
		.amdhsa_inst_pref_size 0
		.amdhsa_round_robin_scheduling 0
		.amdhsa_exception_fp_ieee_invalid_op 0
		.amdhsa_exception_fp_denorm_src 0
		.amdhsa_exception_fp_ieee_div_zero 0
		.amdhsa_exception_fp_ieee_overflow 0
		.amdhsa_exception_fp_ieee_underflow 0
		.amdhsa_exception_fp_ieee_inexact 0
		.amdhsa_exception_int_div_zero 0
	.end_amdhsa_kernel
	.section	.text._ZN7rocprim17ROCPRIM_400000_NS6detail17trampoline_kernelINS0_13select_configILj256ELj13ELNS0_17block_load_methodE3ELS4_3ELS4_3ELNS0_20block_scan_algorithmE0ELj4294967295EEENS1_25partition_config_selectorILNS1_17partition_subalgoE3EjNS0_10empty_typeEbEEZZNS1_14partition_implILS8_3ELb0ES6_jNS0_17counting_iteratorIjlEEPS9_SE_NS0_5tupleIJPjSE_EEENSF_IJSE_SE_EEES9_SG_JZNS1_25segmented_radix_sort_implINS0_14default_configELb1EPKaPaPKlPlN2at6native12_GLOBAL__N_18offset_tEEE10hipError_tPvRmT1_PNSt15iterator_traitsISY_E10value_typeET2_T3_PNSZ_IS14_E10value_typeET4_jRbjT5_S1A_jjP12ihipStream_tbEUljE_EEESV_SW_SX_S14_S18_S1A_T6_T7_T9_mT8_S1C_bDpT10_ENKUlT_T0_E_clISt17integral_constantIbLb1EES1O_IbLb0EEEEDaS1K_S1L_EUlS1K_E_NS1_11comp_targetILNS1_3genE5ELNS1_11target_archE942ELNS1_3gpuE9ELNS1_3repE0EEENS1_30default_config_static_selectorELNS0_4arch9wavefront6targetE0EEEvSY_,"axG",@progbits,_ZN7rocprim17ROCPRIM_400000_NS6detail17trampoline_kernelINS0_13select_configILj256ELj13ELNS0_17block_load_methodE3ELS4_3ELS4_3ELNS0_20block_scan_algorithmE0ELj4294967295EEENS1_25partition_config_selectorILNS1_17partition_subalgoE3EjNS0_10empty_typeEbEEZZNS1_14partition_implILS8_3ELb0ES6_jNS0_17counting_iteratorIjlEEPS9_SE_NS0_5tupleIJPjSE_EEENSF_IJSE_SE_EEES9_SG_JZNS1_25segmented_radix_sort_implINS0_14default_configELb1EPKaPaPKlPlN2at6native12_GLOBAL__N_18offset_tEEE10hipError_tPvRmT1_PNSt15iterator_traitsISY_E10value_typeET2_T3_PNSZ_IS14_E10value_typeET4_jRbjT5_S1A_jjP12ihipStream_tbEUljE_EEESV_SW_SX_S14_S18_S1A_T6_T7_T9_mT8_S1C_bDpT10_ENKUlT_T0_E_clISt17integral_constantIbLb1EES1O_IbLb0EEEEDaS1K_S1L_EUlS1K_E_NS1_11comp_targetILNS1_3genE5ELNS1_11target_archE942ELNS1_3gpuE9ELNS1_3repE0EEENS1_30default_config_static_selectorELNS0_4arch9wavefront6targetE0EEEvSY_,comdat
.Lfunc_end273:
	.size	_ZN7rocprim17ROCPRIM_400000_NS6detail17trampoline_kernelINS0_13select_configILj256ELj13ELNS0_17block_load_methodE3ELS4_3ELS4_3ELNS0_20block_scan_algorithmE0ELj4294967295EEENS1_25partition_config_selectorILNS1_17partition_subalgoE3EjNS0_10empty_typeEbEEZZNS1_14partition_implILS8_3ELb0ES6_jNS0_17counting_iteratorIjlEEPS9_SE_NS0_5tupleIJPjSE_EEENSF_IJSE_SE_EEES9_SG_JZNS1_25segmented_radix_sort_implINS0_14default_configELb1EPKaPaPKlPlN2at6native12_GLOBAL__N_18offset_tEEE10hipError_tPvRmT1_PNSt15iterator_traitsISY_E10value_typeET2_T3_PNSZ_IS14_E10value_typeET4_jRbjT5_S1A_jjP12ihipStream_tbEUljE_EEESV_SW_SX_S14_S18_S1A_T6_T7_T9_mT8_S1C_bDpT10_ENKUlT_T0_E_clISt17integral_constantIbLb1EES1O_IbLb0EEEEDaS1K_S1L_EUlS1K_E_NS1_11comp_targetILNS1_3genE5ELNS1_11target_archE942ELNS1_3gpuE9ELNS1_3repE0EEENS1_30default_config_static_selectorELNS0_4arch9wavefront6targetE0EEEvSY_, .Lfunc_end273-_ZN7rocprim17ROCPRIM_400000_NS6detail17trampoline_kernelINS0_13select_configILj256ELj13ELNS0_17block_load_methodE3ELS4_3ELS4_3ELNS0_20block_scan_algorithmE0ELj4294967295EEENS1_25partition_config_selectorILNS1_17partition_subalgoE3EjNS0_10empty_typeEbEEZZNS1_14partition_implILS8_3ELb0ES6_jNS0_17counting_iteratorIjlEEPS9_SE_NS0_5tupleIJPjSE_EEENSF_IJSE_SE_EEES9_SG_JZNS1_25segmented_radix_sort_implINS0_14default_configELb1EPKaPaPKlPlN2at6native12_GLOBAL__N_18offset_tEEE10hipError_tPvRmT1_PNSt15iterator_traitsISY_E10value_typeET2_T3_PNSZ_IS14_E10value_typeET4_jRbjT5_S1A_jjP12ihipStream_tbEUljE_EEESV_SW_SX_S14_S18_S1A_T6_T7_T9_mT8_S1C_bDpT10_ENKUlT_T0_E_clISt17integral_constantIbLb1EES1O_IbLb0EEEEDaS1K_S1L_EUlS1K_E_NS1_11comp_targetILNS1_3genE5ELNS1_11target_archE942ELNS1_3gpuE9ELNS1_3repE0EEENS1_30default_config_static_selectorELNS0_4arch9wavefront6targetE0EEEvSY_
                                        ; -- End function
	.set _ZN7rocprim17ROCPRIM_400000_NS6detail17trampoline_kernelINS0_13select_configILj256ELj13ELNS0_17block_load_methodE3ELS4_3ELS4_3ELNS0_20block_scan_algorithmE0ELj4294967295EEENS1_25partition_config_selectorILNS1_17partition_subalgoE3EjNS0_10empty_typeEbEEZZNS1_14partition_implILS8_3ELb0ES6_jNS0_17counting_iteratorIjlEEPS9_SE_NS0_5tupleIJPjSE_EEENSF_IJSE_SE_EEES9_SG_JZNS1_25segmented_radix_sort_implINS0_14default_configELb1EPKaPaPKlPlN2at6native12_GLOBAL__N_18offset_tEEE10hipError_tPvRmT1_PNSt15iterator_traitsISY_E10value_typeET2_T3_PNSZ_IS14_E10value_typeET4_jRbjT5_S1A_jjP12ihipStream_tbEUljE_EEESV_SW_SX_S14_S18_S1A_T6_T7_T9_mT8_S1C_bDpT10_ENKUlT_T0_E_clISt17integral_constantIbLb1EES1O_IbLb0EEEEDaS1K_S1L_EUlS1K_E_NS1_11comp_targetILNS1_3genE5ELNS1_11target_archE942ELNS1_3gpuE9ELNS1_3repE0EEENS1_30default_config_static_selectorELNS0_4arch9wavefront6targetE0EEEvSY_.num_vgpr, 0
	.set _ZN7rocprim17ROCPRIM_400000_NS6detail17trampoline_kernelINS0_13select_configILj256ELj13ELNS0_17block_load_methodE3ELS4_3ELS4_3ELNS0_20block_scan_algorithmE0ELj4294967295EEENS1_25partition_config_selectorILNS1_17partition_subalgoE3EjNS0_10empty_typeEbEEZZNS1_14partition_implILS8_3ELb0ES6_jNS0_17counting_iteratorIjlEEPS9_SE_NS0_5tupleIJPjSE_EEENSF_IJSE_SE_EEES9_SG_JZNS1_25segmented_radix_sort_implINS0_14default_configELb1EPKaPaPKlPlN2at6native12_GLOBAL__N_18offset_tEEE10hipError_tPvRmT1_PNSt15iterator_traitsISY_E10value_typeET2_T3_PNSZ_IS14_E10value_typeET4_jRbjT5_S1A_jjP12ihipStream_tbEUljE_EEESV_SW_SX_S14_S18_S1A_T6_T7_T9_mT8_S1C_bDpT10_ENKUlT_T0_E_clISt17integral_constantIbLb1EES1O_IbLb0EEEEDaS1K_S1L_EUlS1K_E_NS1_11comp_targetILNS1_3genE5ELNS1_11target_archE942ELNS1_3gpuE9ELNS1_3repE0EEENS1_30default_config_static_selectorELNS0_4arch9wavefront6targetE0EEEvSY_.num_agpr, 0
	.set _ZN7rocprim17ROCPRIM_400000_NS6detail17trampoline_kernelINS0_13select_configILj256ELj13ELNS0_17block_load_methodE3ELS4_3ELS4_3ELNS0_20block_scan_algorithmE0ELj4294967295EEENS1_25partition_config_selectorILNS1_17partition_subalgoE3EjNS0_10empty_typeEbEEZZNS1_14partition_implILS8_3ELb0ES6_jNS0_17counting_iteratorIjlEEPS9_SE_NS0_5tupleIJPjSE_EEENSF_IJSE_SE_EEES9_SG_JZNS1_25segmented_radix_sort_implINS0_14default_configELb1EPKaPaPKlPlN2at6native12_GLOBAL__N_18offset_tEEE10hipError_tPvRmT1_PNSt15iterator_traitsISY_E10value_typeET2_T3_PNSZ_IS14_E10value_typeET4_jRbjT5_S1A_jjP12ihipStream_tbEUljE_EEESV_SW_SX_S14_S18_S1A_T6_T7_T9_mT8_S1C_bDpT10_ENKUlT_T0_E_clISt17integral_constantIbLb1EES1O_IbLb0EEEEDaS1K_S1L_EUlS1K_E_NS1_11comp_targetILNS1_3genE5ELNS1_11target_archE942ELNS1_3gpuE9ELNS1_3repE0EEENS1_30default_config_static_selectorELNS0_4arch9wavefront6targetE0EEEvSY_.numbered_sgpr, 0
	.set _ZN7rocprim17ROCPRIM_400000_NS6detail17trampoline_kernelINS0_13select_configILj256ELj13ELNS0_17block_load_methodE3ELS4_3ELS4_3ELNS0_20block_scan_algorithmE0ELj4294967295EEENS1_25partition_config_selectorILNS1_17partition_subalgoE3EjNS0_10empty_typeEbEEZZNS1_14partition_implILS8_3ELb0ES6_jNS0_17counting_iteratorIjlEEPS9_SE_NS0_5tupleIJPjSE_EEENSF_IJSE_SE_EEES9_SG_JZNS1_25segmented_radix_sort_implINS0_14default_configELb1EPKaPaPKlPlN2at6native12_GLOBAL__N_18offset_tEEE10hipError_tPvRmT1_PNSt15iterator_traitsISY_E10value_typeET2_T3_PNSZ_IS14_E10value_typeET4_jRbjT5_S1A_jjP12ihipStream_tbEUljE_EEESV_SW_SX_S14_S18_S1A_T6_T7_T9_mT8_S1C_bDpT10_ENKUlT_T0_E_clISt17integral_constantIbLb1EES1O_IbLb0EEEEDaS1K_S1L_EUlS1K_E_NS1_11comp_targetILNS1_3genE5ELNS1_11target_archE942ELNS1_3gpuE9ELNS1_3repE0EEENS1_30default_config_static_selectorELNS0_4arch9wavefront6targetE0EEEvSY_.num_named_barrier, 0
	.set _ZN7rocprim17ROCPRIM_400000_NS6detail17trampoline_kernelINS0_13select_configILj256ELj13ELNS0_17block_load_methodE3ELS4_3ELS4_3ELNS0_20block_scan_algorithmE0ELj4294967295EEENS1_25partition_config_selectorILNS1_17partition_subalgoE3EjNS0_10empty_typeEbEEZZNS1_14partition_implILS8_3ELb0ES6_jNS0_17counting_iteratorIjlEEPS9_SE_NS0_5tupleIJPjSE_EEENSF_IJSE_SE_EEES9_SG_JZNS1_25segmented_radix_sort_implINS0_14default_configELb1EPKaPaPKlPlN2at6native12_GLOBAL__N_18offset_tEEE10hipError_tPvRmT1_PNSt15iterator_traitsISY_E10value_typeET2_T3_PNSZ_IS14_E10value_typeET4_jRbjT5_S1A_jjP12ihipStream_tbEUljE_EEESV_SW_SX_S14_S18_S1A_T6_T7_T9_mT8_S1C_bDpT10_ENKUlT_T0_E_clISt17integral_constantIbLb1EES1O_IbLb0EEEEDaS1K_S1L_EUlS1K_E_NS1_11comp_targetILNS1_3genE5ELNS1_11target_archE942ELNS1_3gpuE9ELNS1_3repE0EEENS1_30default_config_static_selectorELNS0_4arch9wavefront6targetE0EEEvSY_.private_seg_size, 0
	.set _ZN7rocprim17ROCPRIM_400000_NS6detail17trampoline_kernelINS0_13select_configILj256ELj13ELNS0_17block_load_methodE3ELS4_3ELS4_3ELNS0_20block_scan_algorithmE0ELj4294967295EEENS1_25partition_config_selectorILNS1_17partition_subalgoE3EjNS0_10empty_typeEbEEZZNS1_14partition_implILS8_3ELb0ES6_jNS0_17counting_iteratorIjlEEPS9_SE_NS0_5tupleIJPjSE_EEENSF_IJSE_SE_EEES9_SG_JZNS1_25segmented_radix_sort_implINS0_14default_configELb1EPKaPaPKlPlN2at6native12_GLOBAL__N_18offset_tEEE10hipError_tPvRmT1_PNSt15iterator_traitsISY_E10value_typeET2_T3_PNSZ_IS14_E10value_typeET4_jRbjT5_S1A_jjP12ihipStream_tbEUljE_EEESV_SW_SX_S14_S18_S1A_T6_T7_T9_mT8_S1C_bDpT10_ENKUlT_T0_E_clISt17integral_constantIbLb1EES1O_IbLb0EEEEDaS1K_S1L_EUlS1K_E_NS1_11comp_targetILNS1_3genE5ELNS1_11target_archE942ELNS1_3gpuE9ELNS1_3repE0EEENS1_30default_config_static_selectorELNS0_4arch9wavefront6targetE0EEEvSY_.uses_vcc, 0
	.set _ZN7rocprim17ROCPRIM_400000_NS6detail17trampoline_kernelINS0_13select_configILj256ELj13ELNS0_17block_load_methodE3ELS4_3ELS4_3ELNS0_20block_scan_algorithmE0ELj4294967295EEENS1_25partition_config_selectorILNS1_17partition_subalgoE3EjNS0_10empty_typeEbEEZZNS1_14partition_implILS8_3ELb0ES6_jNS0_17counting_iteratorIjlEEPS9_SE_NS0_5tupleIJPjSE_EEENSF_IJSE_SE_EEES9_SG_JZNS1_25segmented_radix_sort_implINS0_14default_configELb1EPKaPaPKlPlN2at6native12_GLOBAL__N_18offset_tEEE10hipError_tPvRmT1_PNSt15iterator_traitsISY_E10value_typeET2_T3_PNSZ_IS14_E10value_typeET4_jRbjT5_S1A_jjP12ihipStream_tbEUljE_EEESV_SW_SX_S14_S18_S1A_T6_T7_T9_mT8_S1C_bDpT10_ENKUlT_T0_E_clISt17integral_constantIbLb1EES1O_IbLb0EEEEDaS1K_S1L_EUlS1K_E_NS1_11comp_targetILNS1_3genE5ELNS1_11target_archE942ELNS1_3gpuE9ELNS1_3repE0EEENS1_30default_config_static_selectorELNS0_4arch9wavefront6targetE0EEEvSY_.uses_flat_scratch, 0
	.set _ZN7rocprim17ROCPRIM_400000_NS6detail17trampoline_kernelINS0_13select_configILj256ELj13ELNS0_17block_load_methodE3ELS4_3ELS4_3ELNS0_20block_scan_algorithmE0ELj4294967295EEENS1_25partition_config_selectorILNS1_17partition_subalgoE3EjNS0_10empty_typeEbEEZZNS1_14partition_implILS8_3ELb0ES6_jNS0_17counting_iteratorIjlEEPS9_SE_NS0_5tupleIJPjSE_EEENSF_IJSE_SE_EEES9_SG_JZNS1_25segmented_radix_sort_implINS0_14default_configELb1EPKaPaPKlPlN2at6native12_GLOBAL__N_18offset_tEEE10hipError_tPvRmT1_PNSt15iterator_traitsISY_E10value_typeET2_T3_PNSZ_IS14_E10value_typeET4_jRbjT5_S1A_jjP12ihipStream_tbEUljE_EEESV_SW_SX_S14_S18_S1A_T6_T7_T9_mT8_S1C_bDpT10_ENKUlT_T0_E_clISt17integral_constantIbLb1EES1O_IbLb0EEEEDaS1K_S1L_EUlS1K_E_NS1_11comp_targetILNS1_3genE5ELNS1_11target_archE942ELNS1_3gpuE9ELNS1_3repE0EEENS1_30default_config_static_selectorELNS0_4arch9wavefront6targetE0EEEvSY_.has_dyn_sized_stack, 0
	.set _ZN7rocprim17ROCPRIM_400000_NS6detail17trampoline_kernelINS0_13select_configILj256ELj13ELNS0_17block_load_methodE3ELS4_3ELS4_3ELNS0_20block_scan_algorithmE0ELj4294967295EEENS1_25partition_config_selectorILNS1_17partition_subalgoE3EjNS0_10empty_typeEbEEZZNS1_14partition_implILS8_3ELb0ES6_jNS0_17counting_iteratorIjlEEPS9_SE_NS0_5tupleIJPjSE_EEENSF_IJSE_SE_EEES9_SG_JZNS1_25segmented_radix_sort_implINS0_14default_configELb1EPKaPaPKlPlN2at6native12_GLOBAL__N_18offset_tEEE10hipError_tPvRmT1_PNSt15iterator_traitsISY_E10value_typeET2_T3_PNSZ_IS14_E10value_typeET4_jRbjT5_S1A_jjP12ihipStream_tbEUljE_EEESV_SW_SX_S14_S18_S1A_T6_T7_T9_mT8_S1C_bDpT10_ENKUlT_T0_E_clISt17integral_constantIbLb1EES1O_IbLb0EEEEDaS1K_S1L_EUlS1K_E_NS1_11comp_targetILNS1_3genE5ELNS1_11target_archE942ELNS1_3gpuE9ELNS1_3repE0EEENS1_30default_config_static_selectorELNS0_4arch9wavefront6targetE0EEEvSY_.has_recursion, 0
	.set _ZN7rocprim17ROCPRIM_400000_NS6detail17trampoline_kernelINS0_13select_configILj256ELj13ELNS0_17block_load_methodE3ELS4_3ELS4_3ELNS0_20block_scan_algorithmE0ELj4294967295EEENS1_25partition_config_selectorILNS1_17partition_subalgoE3EjNS0_10empty_typeEbEEZZNS1_14partition_implILS8_3ELb0ES6_jNS0_17counting_iteratorIjlEEPS9_SE_NS0_5tupleIJPjSE_EEENSF_IJSE_SE_EEES9_SG_JZNS1_25segmented_radix_sort_implINS0_14default_configELb1EPKaPaPKlPlN2at6native12_GLOBAL__N_18offset_tEEE10hipError_tPvRmT1_PNSt15iterator_traitsISY_E10value_typeET2_T3_PNSZ_IS14_E10value_typeET4_jRbjT5_S1A_jjP12ihipStream_tbEUljE_EEESV_SW_SX_S14_S18_S1A_T6_T7_T9_mT8_S1C_bDpT10_ENKUlT_T0_E_clISt17integral_constantIbLb1EES1O_IbLb0EEEEDaS1K_S1L_EUlS1K_E_NS1_11comp_targetILNS1_3genE5ELNS1_11target_archE942ELNS1_3gpuE9ELNS1_3repE0EEENS1_30default_config_static_selectorELNS0_4arch9wavefront6targetE0EEEvSY_.has_indirect_call, 0
	.section	.AMDGPU.csdata,"",@progbits
; Kernel info:
; codeLenInByte = 0
; TotalNumSgprs: 0
; NumVgprs: 0
; ScratchSize: 0
; MemoryBound: 0
; FloatMode: 240
; IeeeMode: 1
; LDSByteSize: 0 bytes/workgroup (compile time only)
; SGPRBlocks: 0
; VGPRBlocks: 0
; NumSGPRsForWavesPerEU: 1
; NumVGPRsForWavesPerEU: 1
; NamedBarCnt: 0
; Occupancy: 16
; WaveLimiterHint : 0
; COMPUTE_PGM_RSRC2:SCRATCH_EN: 0
; COMPUTE_PGM_RSRC2:USER_SGPR: 2
; COMPUTE_PGM_RSRC2:TRAP_HANDLER: 0
; COMPUTE_PGM_RSRC2:TGID_X_EN: 1
; COMPUTE_PGM_RSRC2:TGID_Y_EN: 0
; COMPUTE_PGM_RSRC2:TGID_Z_EN: 0
; COMPUTE_PGM_RSRC2:TIDIG_COMP_CNT: 0
	.section	.text._ZN7rocprim17ROCPRIM_400000_NS6detail17trampoline_kernelINS0_13select_configILj256ELj13ELNS0_17block_load_methodE3ELS4_3ELS4_3ELNS0_20block_scan_algorithmE0ELj4294967295EEENS1_25partition_config_selectorILNS1_17partition_subalgoE3EjNS0_10empty_typeEbEEZZNS1_14partition_implILS8_3ELb0ES6_jNS0_17counting_iteratorIjlEEPS9_SE_NS0_5tupleIJPjSE_EEENSF_IJSE_SE_EEES9_SG_JZNS1_25segmented_radix_sort_implINS0_14default_configELb1EPKaPaPKlPlN2at6native12_GLOBAL__N_18offset_tEEE10hipError_tPvRmT1_PNSt15iterator_traitsISY_E10value_typeET2_T3_PNSZ_IS14_E10value_typeET4_jRbjT5_S1A_jjP12ihipStream_tbEUljE_EEESV_SW_SX_S14_S18_S1A_T6_T7_T9_mT8_S1C_bDpT10_ENKUlT_T0_E_clISt17integral_constantIbLb1EES1O_IbLb0EEEEDaS1K_S1L_EUlS1K_E_NS1_11comp_targetILNS1_3genE4ELNS1_11target_archE910ELNS1_3gpuE8ELNS1_3repE0EEENS1_30default_config_static_selectorELNS0_4arch9wavefront6targetE0EEEvSY_,"axG",@progbits,_ZN7rocprim17ROCPRIM_400000_NS6detail17trampoline_kernelINS0_13select_configILj256ELj13ELNS0_17block_load_methodE3ELS4_3ELS4_3ELNS0_20block_scan_algorithmE0ELj4294967295EEENS1_25partition_config_selectorILNS1_17partition_subalgoE3EjNS0_10empty_typeEbEEZZNS1_14partition_implILS8_3ELb0ES6_jNS0_17counting_iteratorIjlEEPS9_SE_NS0_5tupleIJPjSE_EEENSF_IJSE_SE_EEES9_SG_JZNS1_25segmented_radix_sort_implINS0_14default_configELb1EPKaPaPKlPlN2at6native12_GLOBAL__N_18offset_tEEE10hipError_tPvRmT1_PNSt15iterator_traitsISY_E10value_typeET2_T3_PNSZ_IS14_E10value_typeET4_jRbjT5_S1A_jjP12ihipStream_tbEUljE_EEESV_SW_SX_S14_S18_S1A_T6_T7_T9_mT8_S1C_bDpT10_ENKUlT_T0_E_clISt17integral_constantIbLb1EES1O_IbLb0EEEEDaS1K_S1L_EUlS1K_E_NS1_11comp_targetILNS1_3genE4ELNS1_11target_archE910ELNS1_3gpuE8ELNS1_3repE0EEENS1_30default_config_static_selectorELNS0_4arch9wavefront6targetE0EEEvSY_,comdat
	.globl	_ZN7rocprim17ROCPRIM_400000_NS6detail17trampoline_kernelINS0_13select_configILj256ELj13ELNS0_17block_load_methodE3ELS4_3ELS4_3ELNS0_20block_scan_algorithmE0ELj4294967295EEENS1_25partition_config_selectorILNS1_17partition_subalgoE3EjNS0_10empty_typeEbEEZZNS1_14partition_implILS8_3ELb0ES6_jNS0_17counting_iteratorIjlEEPS9_SE_NS0_5tupleIJPjSE_EEENSF_IJSE_SE_EEES9_SG_JZNS1_25segmented_radix_sort_implINS0_14default_configELb1EPKaPaPKlPlN2at6native12_GLOBAL__N_18offset_tEEE10hipError_tPvRmT1_PNSt15iterator_traitsISY_E10value_typeET2_T3_PNSZ_IS14_E10value_typeET4_jRbjT5_S1A_jjP12ihipStream_tbEUljE_EEESV_SW_SX_S14_S18_S1A_T6_T7_T9_mT8_S1C_bDpT10_ENKUlT_T0_E_clISt17integral_constantIbLb1EES1O_IbLb0EEEEDaS1K_S1L_EUlS1K_E_NS1_11comp_targetILNS1_3genE4ELNS1_11target_archE910ELNS1_3gpuE8ELNS1_3repE0EEENS1_30default_config_static_selectorELNS0_4arch9wavefront6targetE0EEEvSY_ ; -- Begin function _ZN7rocprim17ROCPRIM_400000_NS6detail17trampoline_kernelINS0_13select_configILj256ELj13ELNS0_17block_load_methodE3ELS4_3ELS4_3ELNS0_20block_scan_algorithmE0ELj4294967295EEENS1_25partition_config_selectorILNS1_17partition_subalgoE3EjNS0_10empty_typeEbEEZZNS1_14partition_implILS8_3ELb0ES6_jNS0_17counting_iteratorIjlEEPS9_SE_NS0_5tupleIJPjSE_EEENSF_IJSE_SE_EEES9_SG_JZNS1_25segmented_radix_sort_implINS0_14default_configELb1EPKaPaPKlPlN2at6native12_GLOBAL__N_18offset_tEEE10hipError_tPvRmT1_PNSt15iterator_traitsISY_E10value_typeET2_T3_PNSZ_IS14_E10value_typeET4_jRbjT5_S1A_jjP12ihipStream_tbEUljE_EEESV_SW_SX_S14_S18_S1A_T6_T7_T9_mT8_S1C_bDpT10_ENKUlT_T0_E_clISt17integral_constantIbLb1EES1O_IbLb0EEEEDaS1K_S1L_EUlS1K_E_NS1_11comp_targetILNS1_3genE4ELNS1_11target_archE910ELNS1_3gpuE8ELNS1_3repE0EEENS1_30default_config_static_selectorELNS0_4arch9wavefront6targetE0EEEvSY_
	.p2align	8
	.type	_ZN7rocprim17ROCPRIM_400000_NS6detail17trampoline_kernelINS0_13select_configILj256ELj13ELNS0_17block_load_methodE3ELS4_3ELS4_3ELNS0_20block_scan_algorithmE0ELj4294967295EEENS1_25partition_config_selectorILNS1_17partition_subalgoE3EjNS0_10empty_typeEbEEZZNS1_14partition_implILS8_3ELb0ES6_jNS0_17counting_iteratorIjlEEPS9_SE_NS0_5tupleIJPjSE_EEENSF_IJSE_SE_EEES9_SG_JZNS1_25segmented_radix_sort_implINS0_14default_configELb1EPKaPaPKlPlN2at6native12_GLOBAL__N_18offset_tEEE10hipError_tPvRmT1_PNSt15iterator_traitsISY_E10value_typeET2_T3_PNSZ_IS14_E10value_typeET4_jRbjT5_S1A_jjP12ihipStream_tbEUljE_EEESV_SW_SX_S14_S18_S1A_T6_T7_T9_mT8_S1C_bDpT10_ENKUlT_T0_E_clISt17integral_constantIbLb1EES1O_IbLb0EEEEDaS1K_S1L_EUlS1K_E_NS1_11comp_targetILNS1_3genE4ELNS1_11target_archE910ELNS1_3gpuE8ELNS1_3repE0EEENS1_30default_config_static_selectorELNS0_4arch9wavefront6targetE0EEEvSY_,@function
_ZN7rocprim17ROCPRIM_400000_NS6detail17trampoline_kernelINS0_13select_configILj256ELj13ELNS0_17block_load_methodE3ELS4_3ELS4_3ELNS0_20block_scan_algorithmE0ELj4294967295EEENS1_25partition_config_selectorILNS1_17partition_subalgoE3EjNS0_10empty_typeEbEEZZNS1_14partition_implILS8_3ELb0ES6_jNS0_17counting_iteratorIjlEEPS9_SE_NS0_5tupleIJPjSE_EEENSF_IJSE_SE_EEES9_SG_JZNS1_25segmented_radix_sort_implINS0_14default_configELb1EPKaPaPKlPlN2at6native12_GLOBAL__N_18offset_tEEE10hipError_tPvRmT1_PNSt15iterator_traitsISY_E10value_typeET2_T3_PNSZ_IS14_E10value_typeET4_jRbjT5_S1A_jjP12ihipStream_tbEUljE_EEESV_SW_SX_S14_S18_S1A_T6_T7_T9_mT8_S1C_bDpT10_ENKUlT_T0_E_clISt17integral_constantIbLb1EES1O_IbLb0EEEEDaS1K_S1L_EUlS1K_E_NS1_11comp_targetILNS1_3genE4ELNS1_11target_archE910ELNS1_3gpuE8ELNS1_3repE0EEENS1_30default_config_static_selectorELNS0_4arch9wavefront6targetE0EEEvSY_: ; @_ZN7rocprim17ROCPRIM_400000_NS6detail17trampoline_kernelINS0_13select_configILj256ELj13ELNS0_17block_load_methodE3ELS4_3ELS4_3ELNS0_20block_scan_algorithmE0ELj4294967295EEENS1_25partition_config_selectorILNS1_17partition_subalgoE3EjNS0_10empty_typeEbEEZZNS1_14partition_implILS8_3ELb0ES6_jNS0_17counting_iteratorIjlEEPS9_SE_NS0_5tupleIJPjSE_EEENSF_IJSE_SE_EEES9_SG_JZNS1_25segmented_radix_sort_implINS0_14default_configELb1EPKaPaPKlPlN2at6native12_GLOBAL__N_18offset_tEEE10hipError_tPvRmT1_PNSt15iterator_traitsISY_E10value_typeET2_T3_PNSZ_IS14_E10value_typeET4_jRbjT5_S1A_jjP12ihipStream_tbEUljE_EEESV_SW_SX_S14_S18_S1A_T6_T7_T9_mT8_S1C_bDpT10_ENKUlT_T0_E_clISt17integral_constantIbLb1EES1O_IbLb0EEEEDaS1K_S1L_EUlS1K_E_NS1_11comp_targetILNS1_3genE4ELNS1_11target_archE910ELNS1_3gpuE8ELNS1_3repE0EEENS1_30default_config_static_selectorELNS0_4arch9wavefront6targetE0EEEvSY_
; %bb.0:
	.section	.rodata,"a",@progbits
	.p2align	6, 0x0
	.amdhsa_kernel _ZN7rocprim17ROCPRIM_400000_NS6detail17trampoline_kernelINS0_13select_configILj256ELj13ELNS0_17block_load_methodE3ELS4_3ELS4_3ELNS0_20block_scan_algorithmE0ELj4294967295EEENS1_25partition_config_selectorILNS1_17partition_subalgoE3EjNS0_10empty_typeEbEEZZNS1_14partition_implILS8_3ELb0ES6_jNS0_17counting_iteratorIjlEEPS9_SE_NS0_5tupleIJPjSE_EEENSF_IJSE_SE_EEES9_SG_JZNS1_25segmented_radix_sort_implINS0_14default_configELb1EPKaPaPKlPlN2at6native12_GLOBAL__N_18offset_tEEE10hipError_tPvRmT1_PNSt15iterator_traitsISY_E10value_typeET2_T3_PNSZ_IS14_E10value_typeET4_jRbjT5_S1A_jjP12ihipStream_tbEUljE_EEESV_SW_SX_S14_S18_S1A_T6_T7_T9_mT8_S1C_bDpT10_ENKUlT_T0_E_clISt17integral_constantIbLb1EES1O_IbLb0EEEEDaS1K_S1L_EUlS1K_E_NS1_11comp_targetILNS1_3genE4ELNS1_11target_archE910ELNS1_3gpuE8ELNS1_3repE0EEENS1_30default_config_static_selectorELNS0_4arch9wavefront6targetE0EEEvSY_
		.amdhsa_group_segment_fixed_size 0
		.amdhsa_private_segment_fixed_size 0
		.amdhsa_kernarg_size 144
		.amdhsa_user_sgpr_count 2
		.amdhsa_user_sgpr_dispatch_ptr 0
		.amdhsa_user_sgpr_queue_ptr 0
		.amdhsa_user_sgpr_kernarg_segment_ptr 1
		.amdhsa_user_sgpr_dispatch_id 0
		.amdhsa_user_sgpr_kernarg_preload_length 0
		.amdhsa_user_sgpr_kernarg_preload_offset 0
		.amdhsa_user_sgpr_private_segment_size 0
		.amdhsa_wavefront_size32 1
		.amdhsa_uses_dynamic_stack 0
		.amdhsa_enable_private_segment 0
		.amdhsa_system_sgpr_workgroup_id_x 1
		.amdhsa_system_sgpr_workgroup_id_y 0
		.amdhsa_system_sgpr_workgroup_id_z 0
		.amdhsa_system_sgpr_workgroup_info 0
		.amdhsa_system_vgpr_workitem_id 0
		.amdhsa_next_free_vgpr 1
		.amdhsa_next_free_sgpr 1
		.amdhsa_named_barrier_count 0
		.amdhsa_reserve_vcc 0
		.amdhsa_float_round_mode_32 0
		.amdhsa_float_round_mode_16_64 0
		.amdhsa_float_denorm_mode_32 3
		.amdhsa_float_denorm_mode_16_64 3
		.amdhsa_fp16_overflow 0
		.amdhsa_memory_ordered 1
		.amdhsa_forward_progress 1
		.amdhsa_inst_pref_size 0
		.amdhsa_round_robin_scheduling 0
		.amdhsa_exception_fp_ieee_invalid_op 0
		.amdhsa_exception_fp_denorm_src 0
		.amdhsa_exception_fp_ieee_div_zero 0
		.amdhsa_exception_fp_ieee_overflow 0
		.amdhsa_exception_fp_ieee_underflow 0
		.amdhsa_exception_fp_ieee_inexact 0
		.amdhsa_exception_int_div_zero 0
	.end_amdhsa_kernel
	.section	.text._ZN7rocprim17ROCPRIM_400000_NS6detail17trampoline_kernelINS0_13select_configILj256ELj13ELNS0_17block_load_methodE3ELS4_3ELS4_3ELNS0_20block_scan_algorithmE0ELj4294967295EEENS1_25partition_config_selectorILNS1_17partition_subalgoE3EjNS0_10empty_typeEbEEZZNS1_14partition_implILS8_3ELb0ES6_jNS0_17counting_iteratorIjlEEPS9_SE_NS0_5tupleIJPjSE_EEENSF_IJSE_SE_EEES9_SG_JZNS1_25segmented_radix_sort_implINS0_14default_configELb1EPKaPaPKlPlN2at6native12_GLOBAL__N_18offset_tEEE10hipError_tPvRmT1_PNSt15iterator_traitsISY_E10value_typeET2_T3_PNSZ_IS14_E10value_typeET4_jRbjT5_S1A_jjP12ihipStream_tbEUljE_EEESV_SW_SX_S14_S18_S1A_T6_T7_T9_mT8_S1C_bDpT10_ENKUlT_T0_E_clISt17integral_constantIbLb1EES1O_IbLb0EEEEDaS1K_S1L_EUlS1K_E_NS1_11comp_targetILNS1_3genE4ELNS1_11target_archE910ELNS1_3gpuE8ELNS1_3repE0EEENS1_30default_config_static_selectorELNS0_4arch9wavefront6targetE0EEEvSY_,"axG",@progbits,_ZN7rocprim17ROCPRIM_400000_NS6detail17trampoline_kernelINS0_13select_configILj256ELj13ELNS0_17block_load_methodE3ELS4_3ELS4_3ELNS0_20block_scan_algorithmE0ELj4294967295EEENS1_25partition_config_selectorILNS1_17partition_subalgoE3EjNS0_10empty_typeEbEEZZNS1_14partition_implILS8_3ELb0ES6_jNS0_17counting_iteratorIjlEEPS9_SE_NS0_5tupleIJPjSE_EEENSF_IJSE_SE_EEES9_SG_JZNS1_25segmented_radix_sort_implINS0_14default_configELb1EPKaPaPKlPlN2at6native12_GLOBAL__N_18offset_tEEE10hipError_tPvRmT1_PNSt15iterator_traitsISY_E10value_typeET2_T3_PNSZ_IS14_E10value_typeET4_jRbjT5_S1A_jjP12ihipStream_tbEUljE_EEESV_SW_SX_S14_S18_S1A_T6_T7_T9_mT8_S1C_bDpT10_ENKUlT_T0_E_clISt17integral_constantIbLb1EES1O_IbLb0EEEEDaS1K_S1L_EUlS1K_E_NS1_11comp_targetILNS1_3genE4ELNS1_11target_archE910ELNS1_3gpuE8ELNS1_3repE0EEENS1_30default_config_static_selectorELNS0_4arch9wavefront6targetE0EEEvSY_,comdat
.Lfunc_end274:
	.size	_ZN7rocprim17ROCPRIM_400000_NS6detail17trampoline_kernelINS0_13select_configILj256ELj13ELNS0_17block_load_methodE3ELS4_3ELS4_3ELNS0_20block_scan_algorithmE0ELj4294967295EEENS1_25partition_config_selectorILNS1_17partition_subalgoE3EjNS0_10empty_typeEbEEZZNS1_14partition_implILS8_3ELb0ES6_jNS0_17counting_iteratorIjlEEPS9_SE_NS0_5tupleIJPjSE_EEENSF_IJSE_SE_EEES9_SG_JZNS1_25segmented_radix_sort_implINS0_14default_configELb1EPKaPaPKlPlN2at6native12_GLOBAL__N_18offset_tEEE10hipError_tPvRmT1_PNSt15iterator_traitsISY_E10value_typeET2_T3_PNSZ_IS14_E10value_typeET4_jRbjT5_S1A_jjP12ihipStream_tbEUljE_EEESV_SW_SX_S14_S18_S1A_T6_T7_T9_mT8_S1C_bDpT10_ENKUlT_T0_E_clISt17integral_constantIbLb1EES1O_IbLb0EEEEDaS1K_S1L_EUlS1K_E_NS1_11comp_targetILNS1_3genE4ELNS1_11target_archE910ELNS1_3gpuE8ELNS1_3repE0EEENS1_30default_config_static_selectorELNS0_4arch9wavefront6targetE0EEEvSY_, .Lfunc_end274-_ZN7rocprim17ROCPRIM_400000_NS6detail17trampoline_kernelINS0_13select_configILj256ELj13ELNS0_17block_load_methodE3ELS4_3ELS4_3ELNS0_20block_scan_algorithmE0ELj4294967295EEENS1_25partition_config_selectorILNS1_17partition_subalgoE3EjNS0_10empty_typeEbEEZZNS1_14partition_implILS8_3ELb0ES6_jNS0_17counting_iteratorIjlEEPS9_SE_NS0_5tupleIJPjSE_EEENSF_IJSE_SE_EEES9_SG_JZNS1_25segmented_radix_sort_implINS0_14default_configELb1EPKaPaPKlPlN2at6native12_GLOBAL__N_18offset_tEEE10hipError_tPvRmT1_PNSt15iterator_traitsISY_E10value_typeET2_T3_PNSZ_IS14_E10value_typeET4_jRbjT5_S1A_jjP12ihipStream_tbEUljE_EEESV_SW_SX_S14_S18_S1A_T6_T7_T9_mT8_S1C_bDpT10_ENKUlT_T0_E_clISt17integral_constantIbLb1EES1O_IbLb0EEEEDaS1K_S1L_EUlS1K_E_NS1_11comp_targetILNS1_3genE4ELNS1_11target_archE910ELNS1_3gpuE8ELNS1_3repE0EEENS1_30default_config_static_selectorELNS0_4arch9wavefront6targetE0EEEvSY_
                                        ; -- End function
	.set _ZN7rocprim17ROCPRIM_400000_NS6detail17trampoline_kernelINS0_13select_configILj256ELj13ELNS0_17block_load_methodE3ELS4_3ELS4_3ELNS0_20block_scan_algorithmE0ELj4294967295EEENS1_25partition_config_selectorILNS1_17partition_subalgoE3EjNS0_10empty_typeEbEEZZNS1_14partition_implILS8_3ELb0ES6_jNS0_17counting_iteratorIjlEEPS9_SE_NS0_5tupleIJPjSE_EEENSF_IJSE_SE_EEES9_SG_JZNS1_25segmented_radix_sort_implINS0_14default_configELb1EPKaPaPKlPlN2at6native12_GLOBAL__N_18offset_tEEE10hipError_tPvRmT1_PNSt15iterator_traitsISY_E10value_typeET2_T3_PNSZ_IS14_E10value_typeET4_jRbjT5_S1A_jjP12ihipStream_tbEUljE_EEESV_SW_SX_S14_S18_S1A_T6_T7_T9_mT8_S1C_bDpT10_ENKUlT_T0_E_clISt17integral_constantIbLb1EES1O_IbLb0EEEEDaS1K_S1L_EUlS1K_E_NS1_11comp_targetILNS1_3genE4ELNS1_11target_archE910ELNS1_3gpuE8ELNS1_3repE0EEENS1_30default_config_static_selectorELNS0_4arch9wavefront6targetE0EEEvSY_.num_vgpr, 0
	.set _ZN7rocprim17ROCPRIM_400000_NS6detail17trampoline_kernelINS0_13select_configILj256ELj13ELNS0_17block_load_methodE3ELS4_3ELS4_3ELNS0_20block_scan_algorithmE0ELj4294967295EEENS1_25partition_config_selectorILNS1_17partition_subalgoE3EjNS0_10empty_typeEbEEZZNS1_14partition_implILS8_3ELb0ES6_jNS0_17counting_iteratorIjlEEPS9_SE_NS0_5tupleIJPjSE_EEENSF_IJSE_SE_EEES9_SG_JZNS1_25segmented_radix_sort_implINS0_14default_configELb1EPKaPaPKlPlN2at6native12_GLOBAL__N_18offset_tEEE10hipError_tPvRmT1_PNSt15iterator_traitsISY_E10value_typeET2_T3_PNSZ_IS14_E10value_typeET4_jRbjT5_S1A_jjP12ihipStream_tbEUljE_EEESV_SW_SX_S14_S18_S1A_T6_T7_T9_mT8_S1C_bDpT10_ENKUlT_T0_E_clISt17integral_constantIbLb1EES1O_IbLb0EEEEDaS1K_S1L_EUlS1K_E_NS1_11comp_targetILNS1_3genE4ELNS1_11target_archE910ELNS1_3gpuE8ELNS1_3repE0EEENS1_30default_config_static_selectorELNS0_4arch9wavefront6targetE0EEEvSY_.num_agpr, 0
	.set _ZN7rocprim17ROCPRIM_400000_NS6detail17trampoline_kernelINS0_13select_configILj256ELj13ELNS0_17block_load_methodE3ELS4_3ELS4_3ELNS0_20block_scan_algorithmE0ELj4294967295EEENS1_25partition_config_selectorILNS1_17partition_subalgoE3EjNS0_10empty_typeEbEEZZNS1_14partition_implILS8_3ELb0ES6_jNS0_17counting_iteratorIjlEEPS9_SE_NS0_5tupleIJPjSE_EEENSF_IJSE_SE_EEES9_SG_JZNS1_25segmented_radix_sort_implINS0_14default_configELb1EPKaPaPKlPlN2at6native12_GLOBAL__N_18offset_tEEE10hipError_tPvRmT1_PNSt15iterator_traitsISY_E10value_typeET2_T3_PNSZ_IS14_E10value_typeET4_jRbjT5_S1A_jjP12ihipStream_tbEUljE_EEESV_SW_SX_S14_S18_S1A_T6_T7_T9_mT8_S1C_bDpT10_ENKUlT_T0_E_clISt17integral_constantIbLb1EES1O_IbLb0EEEEDaS1K_S1L_EUlS1K_E_NS1_11comp_targetILNS1_3genE4ELNS1_11target_archE910ELNS1_3gpuE8ELNS1_3repE0EEENS1_30default_config_static_selectorELNS0_4arch9wavefront6targetE0EEEvSY_.numbered_sgpr, 0
	.set _ZN7rocprim17ROCPRIM_400000_NS6detail17trampoline_kernelINS0_13select_configILj256ELj13ELNS0_17block_load_methodE3ELS4_3ELS4_3ELNS0_20block_scan_algorithmE0ELj4294967295EEENS1_25partition_config_selectorILNS1_17partition_subalgoE3EjNS0_10empty_typeEbEEZZNS1_14partition_implILS8_3ELb0ES6_jNS0_17counting_iteratorIjlEEPS9_SE_NS0_5tupleIJPjSE_EEENSF_IJSE_SE_EEES9_SG_JZNS1_25segmented_radix_sort_implINS0_14default_configELb1EPKaPaPKlPlN2at6native12_GLOBAL__N_18offset_tEEE10hipError_tPvRmT1_PNSt15iterator_traitsISY_E10value_typeET2_T3_PNSZ_IS14_E10value_typeET4_jRbjT5_S1A_jjP12ihipStream_tbEUljE_EEESV_SW_SX_S14_S18_S1A_T6_T7_T9_mT8_S1C_bDpT10_ENKUlT_T0_E_clISt17integral_constantIbLb1EES1O_IbLb0EEEEDaS1K_S1L_EUlS1K_E_NS1_11comp_targetILNS1_3genE4ELNS1_11target_archE910ELNS1_3gpuE8ELNS1_3repE0EEENS1_30default_config_static_selectorELNS0_4arch9wavefront6targetE0EEEvSY_.num_named_barrier, 0
	.set _ZN7rocprim17ROCPRIM_400000_NS6detail17trampoline_kernelINS0_13select_configILj256ELj13ELNS0_17block_load_methodE3ELS4_3ELS4_3ELNS0_20block_scan_algorithmE0ELj4294967295EEENS1_25partition_config_selectorILNS1_17partition_subalgoE3EjNS0_10empty_typeEbEEZZNS1_14partition_implILS8_3ELb0ES6_jNS0_17counting_iteratorIjlEEPS9_SE_NS0_5tupleIJPjSE_EEENSF_IJSE_SE_EEES9_SG_JZNS1_25segmented_radix_sort_implINS0_14default_configELb1EPKaPaPKlPlN2at6native12_GLOBAL__N_18offset_tEEE10hipError_tPvRmT1_PNSt15iterator_traitsISY_E10value_typeET2_T3_PNSZ_IS14_E10value_typeET4_jRbjT5_S1A_jjP12ihipStream_tbEUljE_EEESV_SW_SX_S14_S18_S1A_T6_T7_T9_mT8_S1C_bDpT10_ENKUlT_T0_E_clISt17integral_constantIbLb1EES1O_IbLb0EEEEDaS1K_S1L_EUlS1K_E_NS1_11comp_targetILNS1_3genE4ELNS1_11target_archE910ELNS1_3gpuE8ELNS1_3repE0EEENS1_30default_config_static_selectorELNS0_4arch9wavefront6targetE0EEEvSY_.private_seg_size, 0
	.set _ZN7rocprim17ROCPRIM_400000_NS6detail17trampoline_kernelINS0_13select_configILj256ELj13ELNS0_17block_load_methodE3ELS4_3ELS4_3ELNS0_20block_scan_algorithmE0ELj4294967295EEENS1_25partition_config_selectorILNS1_17partition_subalgoE3EjNS0_10empty_typeEbEEZZNS1_14partition_implILS8_3ELb0ES6_jNS0_17counting_iteratorIjlEEPS9_SE_NS0_5tupleIJPjSE_EEENSF_IJSE_SE_EEES9_SG_JZNS1_25segmented_radix_sort_implINS0_14default_configELb1EPKaPaPKlPlN2at6native12_GLOBAL__N_18offset_tEEE10hipError_tPvRmT1_PNSt15iterator_traitsISY_E10value_typeET2_T3_PNSZ_IS14_E10value_typeET4_jRbjT5_S1A_jjP12ihipStream_tbEUljE_EEESV_SW_SX_S14_S18_S1A_T6_T7_T9_mT8_S1C_bDpT10_ENKUlT_T0_E_clISt17integral_constantIbLb1EES1O_IbLb0EEEEDaS1K_S1L_EUlS1K_E_NS1_11comp_targetILNS1_3genE4ELNS1_11target_archE910ELNS1_3gpuE8ELNS1_3repE0EEENS1_30default_config_static_selectorELNS0_4arch9wavefront6targetE0EEEvSY_.uses_vcc, 0
	.set _ZN7rocprim17ROCPRIM_400000_NS6detail17trampoline_kernelINS0_13select_configILj256ELj13ELNS0_17block_load_methodE3ELS4_3ELS4_3ELNS0_20block_scan_algorithmE0ELj4294967295EEENS1_25partition_config_selectorILNS1_17partition_subalgoE3EjNS0_10empty_typeEbEEZZNS1_14partition_implILS8_3ELb0ES6_jNS0_17counting_iteratorIjlEEPS9_SE_NS0_5tupleIJPjSE_EEENSF_IJSE_SE_EEES9_SG_JZNS1_25segmented_radix_sort_implINS0_14default_configELb1EPKaPaPKlPlN2at6native12_GLOBAL__N_18offset_tEEE10hipError_tPvRmT1_PNSt15iterator_traitsISY_E10value_typeET2_T3_PNSZ_IS14_E10value_typeET4_jRbjT5_S1A_jjP12ihipStream_tbEUljE_EEESV_SW_SX_S14_S18_S1A_T6_T7_T9_mT8_S1C_bDpT10_ENKUlT_T0_E_clISt17integral_constantIbLb1EES1O_IbLb0EEEEDaS1K_S1L_EUlS1K_E_NS1_11comp_targetILNS1_3genE4ELNS1_11target_archE910ELNS1_3gpuE8ELNS1_3repE0EEENS1_30default_config_static_selectorELNS0_4arch9wavefront6targetE0EEEvSY_.uses_flat_scratch, 0
	.set _ZN7rocprim17ROCPRIM_400000_NS6detail17trampoline_kernelINS0_13select_configILj256ELj13ELNS0_17block_load_methodE3ELS4_3ELS4_3ELNS0_20block_scan_algorithmE0ELj4294967295EEENS1_25partition_config_selectorILNS1_17partition_subalgoE3EjNS0_10empty_typeEbEEZZNS1_14partition_implILS8_3ELb0ES6_jNS0_17counting_iteratorIjlEEPS9_SE_NS0_5tupleIJPjSE_EEENSF_IJSE_SE_EEES9_SG_JZNS1_25segmented_radix_sort_implINS0_14default_configELb1EPKaPaPKlPlN2at6native12_GLOBAL__N_18offset_tEEE10hipError_tPvRmT1_PNSt15iterator_traitsISY_E10value_typeET2_T3_PNSZ_IS14_E10value_typeET4_jRbjT5_S1A_jjP12ihipStream_tbEUljE_EEESV_SW_SX_S14_S18_S1A_T6_T7_T9_mT8_S1C_bDpT10_ENKUlT_T0_E_clISt17integral_constantIbLb1EES1O_IbLb0EEEEDaS1K_S1L_EUlS1K_E_NS1_11comp_targetILNS1_3genE4ELNS1_11target_archE910ELNS1_3gpuE8ELNS1_3repE0EEENS1_30default_config_static_selectorELNS0_4arch9wavefront6targetE0EEEvSY_.has_dyn_sized_stack, 0
	.set _ZN7rocprim17ROCPRIM_400000_NS6detail17trampoline_kernelINS0_13select_configILj256ELj13ELNS0_17block_load_methodE3ELS4_3ELS4_3ELNS0_20block_scan_algorithmE0ELj4294967295EEENS1_25partition_config_selectorILNS1_17partition_subalgoE3EjNS0_10empty_typeEbEEZZNS1_14partition_implILS8_3ELb0ES6_jNS0_17counting_iteratorIjlEEPS9_SE_NS0_5tupleIJPjSE_EEENSF_IJSE_SE_EEES9_SG_JZNS1_25segmented_radix_sort_implINS0_14default_configELb1EPKaPaPKlPlN2at6native12_GLOBAL__N_18offset_tEEE10hipError_tPvRmT1_PNSt15iterator_traitsISY_E10value_typeET2_T3_PNSZ_IS14_E10value_typeET4_jRbjT5_S1A_jjP12ihipStream_tbEUljE_EEESV_SW_SX_S14_S18_S1A_T6_T7_T9_mT8_S1C_bDpT10_ENKUlT_T0_E_clISt17integral_constantIbLb1EES1O_IbLb0EEEEDaS1K_S1L_EUlS1K_E_NS1_11comp_targetILNS1_3genE4ELNS1_11target_archE910ELNS1_3gpuE8ELNS1_3repE0EEENS1_30default_config_static_selectorELNS0_4arch9wavefront6targetE0EEEvSY_.has_recursion, 0
	.set _ZN7rocprim17ROCPRIM_400000_NS6detail17trampoline_kernelINS0_13select_configILj256ELj13ELNS0_17block_load_methodE3ELS4_3ELS4_3ELNS0_20block_scan_algorithmE0ELj4294967295EEENS1_25partition_config_selectorILNS1_17partition_subalgoE3EjNS0_10empty_typeEbEEZZNS1_14partition_implILS8_3ELb0ES6_jNS0_17counting_iteratorIjlEEPS9_SE_NS0_5tupleIJPjSE_EEENSF_IJSE_SE_EEES9_SG_JZNS1_25segmented_radix_sort_implINS0_14default_configELb1EPKaPaPKlPlN2at6native12_GLOBAL__N_18offset_tEEE10hipError_tPvRmT1_PNSt15iterator_traitsISY_E10value_typeET2_T3_PNSZ_IS14_E10value_typeET4_jRbjT5_S1A_jjP12ihipStream_tbEUljE_EEESV_SW_SX_S14_S18_S1A_T6_T7_T9_mT8_S1C_bDpT10_ENKUlT_T0_E_clISt17integral_constantIbLb1EES1O_IbLb0EEEEDaS1K_S1L_EUlS1K_E_NS1_11comp_targetILNS1_3genE4ELNS1_11target_archE910ELNS1_3gpuE8ELNS1_3repE0EEENS1_30default_config_static_selectorELNS0_4arch9wavefront6targetE0EEEvSY_.has_indirect_call, 0
	.section	.AMDGPU.csdata,"",@progbits
; Kernel info:
; codeLenInByte = 0
; TotalNumSgprs: 0
; NumVgprs: 0
; ScratchSize: 0
; MemoryBound: 0
; FloatMode: 240
; IeeeMode: 1
; LDSByteSize: 0 bytes/workgroup (compile time only)
; SGPRBlocks: 0
; VGPRBlocks: 0
; NumSGPRsForWavesPerEU: 1
; NumVGPRsForWavesPerEU: 1
; NamedBarCnt: 0
; Occupancy: 16
; WaveLimiterHint : 0
; COMPUTE_PGM_RSRC2:SCRATCH_EN: 0
; COMPUTE_PGM_RSRC2:USER_SGPR: 2
; COMPUTE_PGM_RSRC2:TRAP_HANDLER: 0
; COMPUTE_PGM_RSRC2:TGID_X_EN: 1
; COMPUTE_PGM_RSRC2:TGID_Y_EN: 0
; COMPUTE_PGM_RSRC2:TGID_Z_EN: 0
; COMPUTE_PGM_RSRC2:TIDIG_COMP_CNT: 0
	.section	.text._ZN7rocprim17ROCPRIM_400000_NS6detail17trampoline_kernelINS0_13select_configILj256ELj13ELNS0_17block_load_methodE3ELS4_3ELS4_3ELNS0_20block_scan_algorithmE0ELj4294967295EEENS1_25partition_config_selectorILNS1_17partition_subalgoE3EjNS0_10empty_typeEbEEZZNS1_14partition_implILS8_3ELb0ES6_jNS0_17counting_iteratorIjlEEPS9_SE_NS0_5tupleIJPjSE_EEENSF_IJSE_SE_EEES9_SG_JZNS1_25segmented_radix_sort_implINS0_14default_configELb1EPKaPaPKlPlN2at6native12_GLOBAL__N_18offset_tEEE10hipError_tPvRmT1_PNSt15iterator_traitsISY_E10value_typeET2_T3_PNSZ_IS14_E10value_typeET4_jRbjT5_S1A_jjP12ihipStream_tbEUljE_EEESV_SW_SX_S14_S18_S1A_T6_T7_T9_mT8_S1C_bDpT10_ENKUlT_T0_E_clISt17integral_constantIbLb1EES1O_IbLb0EEEEDaS1K_S1L_EUlS1K_E_NS1_11comp_targetILNS1_3genE3ELNS1_11target_archE908ELNS1_3gpuE7ELNS1_3repE0EEENS1_30default_config_static_selectorELNS0_4arch9wavefront6targetE0EEEvSY_,"axG",@progbits,_ZN7rocprim17ROCPRIM_400000_NS6detail17trampoline_kernelINS0_13select_configILj256ELj13ELNS0_17block_load_methodE3ELS4_3ELS4_3ELNS0_20block_scan_algorithmE0ELj4294967295EEENS1_25partition_config_selectorILNS1_17partition_subalgoE3EjNS0_10empty_typeEbEEZZNS1_14partition_implILS8_3ELb0ES6_jNS0_17counting_iteratorIjlEEPS9_SE_NS0_5tupleIJPjSE_EEENSF_IJSE_SE_EEES9_SG_JZNS1_25segmented_radix_sort_implINS0_14default_configELb1EPKaPaPKlPlN2at6native12_GLOBAL__N_18offset_tEEE10hipError_tPvRmT1_PNSt15iterator_traitsISY_E10value_typeET2_T3_PNSZ_IS14_E10value_typeET4_jRbjT5_S1A_jjP12ihipStream_tbEUljE_EEESV_SW_SX_S14_S18_S1A_T6_T7_T9_mT8_S1C_bDpT10_ENKUlT_T0_E_clISt17integral_constantIbLb1EES1O_IbLb0EEEEDaS1K_S1L_EUlS1K_E_NS1_11comp_targetILNS1_3genE3ELNS1_11target_archE908ELNS1_3gpuE7ELNS1_3repE0EEENS1_30default_config_static_selectorELNS0_4arch9wavefront6targetE0EEEvSY_,comdat
	.globl	_ZN7rocprim17ROCPRIM_400000_NS6detail17trampoline_kernelINS0_13select_configILj256ELj13ELNS0_17block_load_methodE3ELS4_3ELS4_3ELNS0_20block_scan_algorithmE0ELj4294967295EEENS1_25partition_config_selectorILNS1_17partition_subalgoE3EjNS0_10empty_typeEbEEZZNS1_14partition_implILS8_3ELb0ES6_jNS0_17counting_iteratorIjlEEPS9_SE_NS0_5tupleIJPjSE_EEENSF_IJSE_SE_EEES9_SG_JZNS1_25segmented_radix_sort_implINS0_14default_configELb1EPKaPaPKlPlN2at6native12_GLOBAL__N_18offset_tEEE10hipError_tPvRmT1_PNSt15iterator_traitsISY_E10value_typeET2_T3_PNSZ_IS14_E10value_typeET4_jRbjT5_S1A_jjP12ihipStream_tbEUljE_EEESV_SW_SX_S14_S18_S1A_T6_T7_T9_mT8_S1C_bDpT10_ENKUlT_T0_E_clISt17integral_constantIbLb1EES1O_IbLb0EEEEDaS1K_S1L_EUlS1K_E_NS1_11comp_targetILNS1_3genE3ELNS1_11target_archE908ELNS1_3gpuE7ELNS1_3repE0EEENS1_30default_config_static_selectorELNS0_4arch9wavefront6targetE0EEEvSY_ ; -- Begin function _ZN7rocprim17ROCPRIM_400000_NS6detail17trampoline_kernelINS0_13select_configILj256ELj13ELNS0_17block_load_methodE3ELS4_3ELS4_3ELNS0_20block_scan_algorithmE0ELj4294967295EEENS1_25partition_config_selectorILNS1_17partition_subalgoE3EjNS0_10empty_typeEbEEZZNS1_14partition_implILS8_3ELb0ES6_jNS0_17counting_iteratorIjlEEPS9_SE_NS0_5tupleIJPjSE_EEENSF_IJSE_SE_EEES9_SG_JZNS1_25segmented_radix_sort_implINS0_14default_configELb1EPKaPaPKlPlN2at6native12_GLOBAL__N_18offset_tEEE10hipError_tPvRmT1_PNSt15iterator_traitsISY_E10value_typeET2_T3_PNSZ_IS14_E10value_typeET4_jRbjT5_S1A_jjP12ihipStream_tbEUljE_EEESV_SW_SX_S14_S18_S1A_T6_T7_T9_mT8_S1C_bDpT10_ENKUlT_T0_E_clISt17integral_constantIbLb1EES1O_IbLb0EEEEDaS1K_S1L_EUlS1K_E_NS1_11comp_targetILNS1_3genE3ELNS1_11target_archE908ELNS1_3gpuE7ELNS1_3repE0EEENS1_30default_config_static_selectorELNS0_4arch9wavefront6targetE0EEEvSY_
	.p2align	8
	.type	_ZN7rocprim17ROCPRIM_400000_NS6detail17trampoline_kernelINS0_13select_configILj256ELj13ELNS0_17block_load_methodE3ELS4_3ELS4_3ELNS0_20block_scan_algorithmE0ELj4294967295EEENS1_25partition_config_selectorILNS1_17partition_subalgoE3EjNS0_10empty_typeEbEEZZNS1_14partition_implILS8_3ELb0ES6_jNS0_17counting_iteratorIjlEEPS9_SE_NS0_5tupleIJPjSE_EEENSF_IJSE_SE_EEES9_SG_JZNS1_25segmented_radix_sort_implINS0_14default_configELb1EPKaPaPKlPlN2at6native12_GLOBAL__N_18offset_tEEE10hipError_tPvRmT1_PNSt15iterator_traitsISY_E10value_typeET2_T3_PNSZ_IS14_E10value_typeET4_jRbjT5_S1A_jjP12ihipStream_tbEUljE_EEESV_SW_SX_S14_S18_S1A_T6_T7_T9_mT8_S1C_bDpT10_ENKUlT_T0_E_clISt17integral_constantIbLb1EES1O_IbLb0EEEEDaS1K_S1L_EUlS1K_E_NS1_11comp_targetILNS1_3genE3ELNS1_11target_archE908ELNS1_3gpuE7ELNS1_3repE0EEENS1_30default_config_static_selectorELNS0_4arch9wavefront6targetE0EEEvSY_,@function
_ZN7rocprim17ROCPRIM_400000_NS6detail17trampoline_kernelINS0_13select_configILj256ELj13ELNS0_17block_load_methodE3ELS4_3ELS4_3ELNS0_20block_scan_algorithmE0ELj4294967295EEENS1_25partition_config_selectorILNS1_17partition_subalgoE3EjNS0_10empty_typeEbEEZZNS1_14partition_implILS8_3ELb0ES6_jNS0_17counting_iteratorIjlEEPS9_SE_NS0_5tupleIJPjSE_EEENSF_IJSE_SE_EEES9_SG_JZNS1_25segmented_radix_sort_implINS0_14default_configELb1EPKaPaPKlPlN2at6native12_GLOBAL__N_18offset_tEEE10hipError_tPvRmT1_PNSt15iterator_traitsISY_E10value_typeET2_T3_PNSZ_IS14_E10value_typeET4_jRbjT5_S1A_jjP12ihipStream_tbEUljE_EEESV_SW_SX_S14_S18_S1A_T6_T7_T9_mT8_S1C_bDpT10_ENKUlT_T0_E_clISt17integral_constantIbLb1EES1O_IbLb0EEEEDaS1K_S1L_EUlS1K_E_NS1_11comp_targetILNS1_3genE3ELNS1_11target_archE908ELNS1_3gpuE7ELNS1_3repE0EEENS1_30default_config_static_selectorELNS0_4arch9wavefront6targetE0EEEvSY_: ; @_ZN7rocprim17ROCPRIM_400000_NS6detail17trampoline_kernelINS0_13select_configILj256ELj13ELNS0_17block_load_methodE3ELS4_3ELS4_3ELNS0_20block_scan_algorithmE0ELj4294967295EEENS1_25partition_config_selectorILNS1_17partition_subalgoE3EjNS0_10empty_typeEbEEZZNS1_14partition_implILS8_3ELb0ES6_jNS0_17counting_iteratorIjlEEPS9_SE_NS0_5tupleIJPjSE_EEENSF_IJSE_SE_EEES9_SG_JZNS1_25segmented_radix_sort_implINS0_14default_configELb1EPKaPaPKlPlN2at6native12_GLOBAL__N_18offset_tEEE10hipError_tPvRmT1_PNSt15iterator_traitsISY_E10value_typeET2_T3_PNSZ_IS14_E10value_typeET4_jRbjT5_S1A_jjP12ihipStream_tbEUljE_EEESV_SW_SX_S14_S18_S1A_T6_T7_T9_mT8_S1C_bDpT10_ENKUlT_T0_E_clISt17integral_constantIbLb1EES1O_IbLb0EEEEDaS1K_S1L_EUlS1K_E_NS1_11comp_targetILNS1_3genE3ELNS1_11target_archE908ELNS1_3gpuE7ELNS1_3repE0EEENS1_30default_config_static_selectorELNS0_4arch9wavefront6targetE0EEEvSY_
; %bb.0:
	.section	.rodata,"a",@progbits
	.p2align	6, 0x0
	.amdhsa_kernel _ZN7rocprim17ROCPRIM_400000_NS6detail17trampoline_kernelINS0_13select_configILj256ELj13ELNS0_17block_load_methodE3ELS4_3ELS4_3ELNS0_20block_scan_algorithmE0ELj4294967295EEENS1_25partition_config_selectorILNS1_17partition_subalgoE3EjNS0_10empty_typeEbEEZZNS1_14partition_implILS8_3ELb0ES6_jNS0_17counting_iteratorIjlEEPS9_SE_NS0_5tupleIJPjSE_EEENSF_IJSE_SE_EEES9_SG_JZNS1_25segmented_radix_sort_implINS0_14default_configELb1EPKaPaPKlPlN2at6native12_GLOBAL__N_18offset_tEEE10hipError_tPvRmT1_PNSt15iterator_traitsISY_E10value_typeET2_T3_PNSZ_IS14_E10value_typeET4_jRbjT5_S1A_jjP12ihipStream_tbEUljE_EEESV_SW_SX_S14_S18_S1A_T6_T7_T9_mT8_S1C_bDpT10_ENKUlT_T0_E_clISt17integral_constantIbLb1EES1O_IbLb0EEEEDaS1K_S1L_EUlS1K_E_NS1_11comp_targetILNS1_3genE3ELNS1_11target_archE908ELNS1_3gpuE7ELNS1_3repE0EEENS1_30default_config_static_selectorELNS0_4arch9wavefront6targetE0EEEvSY_
		.amdhsa_group_segment_fixed_size 0
		.amdhsa_private_segment_fixed_size 0
		.amdhsa_kernarg_size 144
		.amdhsa_user_sgpr_count 2
		.amdhsa_user_sgpr_dispatch_ptr 0
		.amdhsa_user_sgpr_queue_ptr 0
		.amdhsa_user_sgpr_kernarg_segment_ptr 1
		.amdhsa_user_sgpr_dispatch_id 0
		.amdhsa_user_sgpr_kernarg_preload_length 0
		.amdhsa_user_sgpr_kernarg_preload_offset 0
		.amdhsa_user_sgpr_private_segment_size 0
		.amdhsa_wavefront_size32 1
		.amdhsa_uses_dynamic_stack 0
		.amdhsa_enable_private_segment 0
		.amdhsa_system_sgpr_workgroup_id_x 1
		.amdhsa_system_sgpr_workgroup_id_y 0
		.amdhsa_system_sgpr_workgroup_id_z 0
		.amdhsa_system_sgpr_workgroup_info 0
		.amdhsa_system_vgpr_workitem_id 0
		.amdhsa_next_free_vgpr 1
		.amdhsa_next_free_sgpr 1
		.amdhsa_named_barrier_count 0
		.amdhsa_reserve_vcc 0
		.amdhsa_float_round_mode_32 0
		.amdhsa_float_round_mode_16_64 0
		.amdhsa_float_denorm_mode_32 3
		.amdhsa_float_denorm_mode_16_64 3
		.amdhsa_fp16_overflow 0
		.amdhsa_memory_ordered 1
		.amdhsa_forward_progress 1
		.amdhsa_inst_pref_size 0
		.amdhsa_round_robin_scheduling 0
		.amdhsa_exception_fp_ieee_invalid_op 0
		.amdhsa_exception_fp_denorm_src 0
		.amdhsa_exception_fp_ieee_div_zero 0
		.amdhsa_exception_fp_ieee_overflow 0
		.amdhsa_exception_fp_ieee_underflow 0
		.amdhsa_exception_fp_ieee_inexact 0
		.amdhsa_exception_int_div_zero 0
	.end_amdhsa_kernel
	.section	.text._ZN7rocprim17ROCPRIM_400000_NS6detail17trampoline_kernelINS0_13select_configILj256ELj13ELNS0_17block_load_methodE3ELS4_3ELS4_3ELNS0_20block_scan_algorithmE0ELj4294967295EEENS1_25partition_config_selectorILNS1_17partition_subalgoE3EjNS0_10empty_typeEbEEZZNS1_14partition_implILS8_3ELb0ES6_jNS0_17counting_iteratorIjlEEPS9_SE_NS0_5tupleIJPjSE_EEENSF_IJSE_SE_EEES9_SG_JZNS1_25segmented_radix_sort_implINS0_14default_configELb1EPKaPaPKlPlN2at6native12_GLOBAL__N_18offset_tEEE10hipError_tPvRmT1_PNSt15iterator_traitsISY_E10value_typeET2_T3_PNSZ_IS14_E10value_typeET4_jRbjT5_S1A_jjP12ihipStream_tbEUljE_EEESV_SW_SX_S14_S18_S1A_T6_T7_T9_mT8_S1C_bDpT10_ENKUlT_T0_E_clISt17integral_constantIbLb1EES1O_IbLb0EEEEDaS1K_S1L_EUlS1K_E_NS1_11comp_targetILNS1_3genE3ELNS1_11target_archE908ELNS1_3gpuE7ELNS1_3repE0EEENS1_30default_config_static_selectorELNS0_4arch9wavefront6targetE0EEEvSY_,"axG",@progbits,_ZN7rocprim17ROCPRIM_400000_NS6detail17trampoline_kernelINS0_13select_configILj256ELj13ELNS0_17block_load_methodE3ELS4_3ELS4_3ELNS0_20block_scan_algorithmE0ELj4294967295EEENS1_25partition_config_selectorILNS1_17partition_subalgoE3EjNS0_10empty_typeEbEEZZNS1_14partition_implILS8_3ELb0ES6_jNS0_17counting_iteratorIjlEEPS9_SE_NS0_5tupleIJPjSE_EEENSF_IJSE_SE_EEES9_SG_JZNS1_25segmented_radix_sort_implINS0_14default_configELb1EPKaPaPKlPlN2at6native12_GLOBAL__N_18offset_tEEE10hipError_tPvRmT1_PNSt15iterator_traitsISY_E10value_typeET2_T3_PNSZ_IS14_E10value_typeET4_jRbjT5_S1A_jjP12ihipStream_tbEUljE_EEESV_SW_SX_S14_S18_S1A_T6_T7_T9_mT8_S1C_bDpT10_ENKUlT_T0_E_clISt17integral_constantIbLb1EES1O_IbLb0EEEEDaS1K_S1L_EUlS1K_E_NS1_11comp_targetILNS1_3genE3ELNS1_11target_archE908ELNS1_3gpuE7ELNS1_3repE0EEENS1_30default_config_static_selectorELNS0_4arch9wavefront6targetE0EEEvSY_,comdat
.Lfunc_end275:
	.size	_ZN7rocprim17ROCPRIM_400000_NS6detail17trampoline_kernelINS0_13select_configILj256ELj13ELNS0_17block_load_methodE3ELS4_3ELS4_3ELNS0_20block_scan_algorithmE0ELj4294967295EEENS1_25partition_config_selectorILNS1_17partition_subalgoE3EjNS0_10empty_typeEbEEZZNS1_14partition_implILS8_3ELb0ES6_jNS0_17counting_iteratorIjlEEPS9_SE_NS0_5tupleIJPjSE_EEENSF_IJSE_SE_EEES9_SG_JZNS1_25segmented_radix_sort_implINS0_14default_configELb1EPKaPaPKlPlN2at6native12_GLOBAL__N_18offset_tEEE10hipError_tPvRmT1_PNSt15iterator_traitsISY_E10value_typeET2_T3_PNSZ_IS14_E10value_typeET4_jRbjT5_S1A_jjP12ihipStream_tbEUljE_EEESV_SW_SX_S14_S18_S1A_T6_T7_T9_mT8_S1C_bDpT10_ENKUlT_T0_E_clISt17integral_constantIbLb1EES1O_IbLb0EEEEDaS1K_S1L_EUlS1K_E_NS1_11comp_targetILNS1_3genE3ELNS1_11target_archE908ELNS1_3gpuE7ELNS1_3repE0EEENS1_30default_config_static_selectorELNS0_4arch9wavefront6targetE0EEEvSY_, .Lfunc_end275-_ZN7rocprim17ROCPRIM_400000_NS6detail17trampoline_kernelINS0_13select_configILj256ELj13ELNS0_17block_load_methodE3ELS4_3ELS4_3ELNS0_20block_scan_algorithmE0ELj4294967295EEENS1_25partition_config_selectorILNS1_17partition_subalgoE3EjNS0_10empty_typeEbEEZZNS1_14partition_implILS8_3ELb0ES6_jNS0_17counting_iteratorIjlEEPS9_SE_NS0_5tupleIJPjSE_EEENSF_IJSE_SE_EEES9_SG_JZNS1_25segmented_radix_sort_implINS0_14default_configELb1EPKaPaPKlPlN2at6native12_GLOBAL__N_18offset_tEEE10hipError_tPvRmT1_PNSt15iterator_traitsISY_E10value_typeET2_T3_PNSZ_IS14_E10value_typeET4_jRbjT5_S1A_jjP12ihipStream_tbEUljE_EEESV_SW_SX_S14_S18_S1A_T6_T7_T9_mT8_S1C_bDpT10_ENKUlT_T0_E_clISt17integral_constantIbLb1EES1O_IbLb0EEEEDaS1K_S1L_EUlS1K_E_NS1_11comp_targetILNS1_3genE3ELNS1_11target_archE908ELNS1_3gpuE7ELNS1_3repE0EEENS1_30default_config_static_selectorELNS0_4arch9wavefront6targetE0EEEvSY_
                                        ; -- End function
	.set _ZN7rocprim17ROCPRIM_400000_NS6detail17trampoline_kernelINS0_13select_configILj256ELj13ELNS0_17block_load_methodE3ELS4_3ELS4_3ELNS0_20block_scan_algorithmE0ELj4294967295EEENS1_25partition_config_selectorILNS1_17partition_subalgoE3EjNS0_10empty_typeEbEEZZNS1_14partition_implILS8_3ELb0ES6_jNS0_17counting_iteratorIjlEEPS9_SE_NS0_5tupleIJPjSE_EEENSF_IJSE_SE_EEES9_SG_JZNS1_25segmented_radix_sort_implINS0_14default_configELb1EPKaPaPKlPlN2at6native12_GLOBAL__N_18offset_tEEE10hipError_tPvRmT1_PNSt15iterator_traitsISY_E10value_typeET2_T3_PNSZ_IS14_E10value_typeET4_jRbjT5_S1A_jjP12ihipStream_tbEUljE_EEESV_SW_SX_S14_S18_S1A_T6_T7_T9_mT8_S1C_bDpT10_ENKUlT_T0_E_clISt17integral_constantIbLb1EES1O_IbLb0EEEEDaS1K_S1L_EUlS1K_E_NS1_11comp_targetILNS1_3genE3ELNS1_11target_archE908ELNS1_3gpuE7ELNS1_3repE0EEENS1_30default_config_static_selectorELNS0_4arch9wavefront6targetE0EEEvSY_.num_vgpr, 0
	.set _ZN7rocprim17ROCPRIM_400000_NS6detail17trampoline_kernelINS0_13select_configILj256ELj13ELNS0_17block_load_methodE3ELS4_3ELS4_3ELNS0_20block_scan_algorithmE0ELj4294967295EEENS1_25partition_config_selectorILNS1_17partition_subalgoE3EjNS0_10empty_typeEbEEZZNS1_14partition_implILS8_3ELb0ES6_jNS0_17counting_iteratorIjlEEPS9_SE_NS0_5tupleIJPjSE_EEENSF_IJSE_SE_EEES9_SG_JZNS1_25segmented_radix_sort_implINS0_14default_configELb1EPKaPaPKlPlN2at6native12_GLOBAL__N_18offset_tEEE10hipError_tPvRmT1_PNSt15iterator_traitsISY_E10value_typeET2_T3_PNSZ_IS14_E10value_typeET4_jRbjT5_S1A_jjP12ihipStream_tbEUljE_EEESV_SW_SX_S14_S18_S1A_T6_T7_T9_mT8_S1C_bDpT10_ENKUlT_T0_E_clISt17integral_constantIbLb1EES1O_IbLb0EEEEDaS1K_S1L_EUlS1K_E_NS1_11comp_targetILNS1_3genE3ELNS1_11target_archE908ELNS1_3gpuE7ELNS1_3repE0EEENS1_30default_config_static_selectorELNS0_4arch9wavefront6targetE0EEEvSY_.num_agpr, 0
	.set _ZN7rocprim17ROCPRIM_400000_NS6detail17trampoline_kernelINS0_13select_configILj256ELj13ELNS0_17block_load_methodE3ELS4_3ELS4_3ELNS0_20block_scan_algorithmE0ELj4294967295EEENS1_25partition_config_selectorILNS1_17partition_subalgoE3EjNS0_10empty_typeEbEEZZNS1_14partition_implILS8_3ELb0ES6_jNS0_17counting_iteratorIjlEEPS9_SE_NS0_5tupleIJPjSE_EEENSF_IJSE_SE_EEES9_SG_JZNS1_25segmented_radix_sort_implINS0_14default_configELb1EPKaPaPKlPlN2at6native12_GLOBAL__N_18offset_tEEE10hipError_tPvRmT1_PNSt15iterator_traitsISY_E10value_typeET2_T3_PNSZ_IS14_E10value_typeET4_jRbjT5_S1A_jjP12ihipStream_tbEUljE_EEESV_SW_SX_S14_S18_S1A_T6_T7_T9_mT8_S1C_bDpT10_ENKUlT_T0_E_clISt17integral_constantIbLb1EES1O_IbLb0EEEEDaS1K_S1L_EUlS1K_E_NS1_11comp_targetILNS1_3genE3ELNS1_11target_archE908ELNS1_3gpuE7ELNS1_3repE0EEENS1_30default_config_static_selectorELNS0_4arch9wavefront6targetE0EEEvSY_.numbered_sgpr, 0
	.set _ZN7rocprim17ROCPRIM_400000_NS6detail17trampoline_kernelINS0_13select_configILj256ELj13ELNS0_17block_load_methodE3ELS4_3ELS4_3ELNS0_20block_scan_algorithmE0ELj4294967295EEENS1_25partition_config_selectorILNS1_17partition_subalgoE3EjNS0_10empty_typeEbEEZZNS1_14partition_implILS8_3ELb0ES6_jNS0_17counting_iteratorIjlEEPS9_SE_NS0_5tupleIJPjSE_EEENSF_IJSE_SE_EEES9_SG_JZNS1_25segmented_radix_sort_implINS0_14default_configELb1EPKaPaPKlPlN2at6native12_GLOBAL__N_18offset_tEEE10hipError_tPvRmT1_PNSt15iterator_traitsISY_E10value_typeET2_T3_PNSZ_IS14_E10value_typeET4_jRbjT5_S1A_jjP12ihipStream_tbEUljE_EEESV_SW_SX_S14_S18_S1A_T6_T7_T9_mT8_S1C_bDpT10_ENKUlT_T0_E_clISt17integral_constantIbLb1EES1O_IbLb0EEEEDaS1K_S1L_EUlS1K_E_NS1_11comp_targetILNS1_3genE3ELNS1_11target_archE908ELNS1_3gpuE7ELNS1_3repE0EEENS1_30default_config_static_selectorELNS0_4arch9wavefront6targetE0EEEvSY_.num_named_barrier, 0
	.set _ZN7rocprim17ROCPRIM_400000_NS6detail17trampoline_kernelINS0_13select_configILj256ELj13ELNS0_17block_load_methodE3ELS4_3ELS4_3ELNS0_20block_scan_algorithmE0ELj4294967295EEENS1_25partition_config_selectorILNS1_17partition_subalgoE3EjNS0_10empty_typeEbEEZZNS1_14partition_implILS8_3ELb0ES6_jNS0_17counting_iteratorIjlEEPS9_SE_NS0_5tupleIJPjSE_EEENSF_IJSE_SE_EEES9_SG_JZNS1_25segmented_radix_sort_implINS0_14default_configELb1EPKaPaPKlPlN2at6native12_GLOBAL__N_18offset_tEEE10hipError_tPvRmT1_PNSt15iterator_traitsISY_E10value_typeET2_T3_PNSZ_IS14_E10value_typeET4_jRbjT5_S1A_jjP12ihipStream_tbEUljE_EEESV_SW_SX_S14_S18_S1A_T6_T7_T9_mT8_S1C_bDpT10_ENKUlT_T0_E_clISt17integral_constantIbLb1EES1O_IbLb0EEEEDaS1K_S1L_EUlS1K_E_NS1_11comp_targetILNS1_3genE3ELNS1_11target_archE908ELNS1_3gpuE7ELNS1_3repE0EEENS1_30default_config_static_selectorELNS0_4arch9wavefront6targetE0EEEvSY_.private_seg_size, 0
	.set _ZN7rocprim17ROCPRIM_400000_NS6detail17trampoline_kernelINS0_13select_configILj256ELj13ELNS0_17block_load_methodE3ELS4_3ELS4_3ELNS0_20block_scan_algorithmE0ELj4294967295EEENS1_25partition_config_selectorILNS1_17partition_subalgoE3EjNS0_10empty_typeEbEEZZNS1_14partition_implILS8_3ELb0ES6_jNS0_17counting_iteratorIjlEEPS9_SE_NS0_5tupleIJPjSE_EEENSF_IJSE_SE_EEES9_SG_JZNS1_25segmented_radix_sort_implINS0_14default_configELb1EPKaPaPKlPlN2at6native12_GLOBAL__N_18offset_tEEE10hipError_tPvRmT1_PNSt15iterator_traitsISY_E10value_typeET2_T3_PNSZ_IS14_E10value_typeET4_jRbjT5_S1A_jjP12ihipStream_tbEUljE_EEESV_SW_SX_S14_S18_S1A_T6_T7_T9_mT8_S1C_bDpT10_ENKUlT_T0_E_clISt17integral_constantIbLb1EES1O_IbLb0EEEEDaS1K_S1L_EUlS1K_E_NS1_11comp_targetILNS1_3genE3ELNS1_11target_archE908ELNS1_3gpuE7ELNS1_3repE0EEENS1_30default_config_static_selectorELNS0_4arch9wavefront6targetE0EEEvSY_.uses_vcc, 0
	.set _ZN7rocprim17ROCPRIM_400000_NS6detail17trampoline_kernelINS0_13select_configILj256ELj13ELNS0_17block_load_methodE3ELS4_3ELS4_3ELNS0_20block_scan_algorithmE0ELj4294967295EEENS1_25partition_config_selectorILNS1_17partition_subalgoE3EjNS0_10empty_typeEbEEZZNS1_14partition_implILS8_3ELb0ES6_jNS0_17counting_iteratorIjlEEPS9_SE_NS0_5tupleIJPjSE_EEENSF_IJSE_SE_EEES9_SG_JZNS1_25segmented_radix_sort_implINS0_14default_configELb1EPKaPaPKlPlN2at6native12_GLOBAL__N_18offset_tEEE10hipError_tPvRmT1_PNSt15iterator_traitsISY_E10value_typeET2_T3_PNSZ_IS14_E10value_typeET4_jRbjT5_S1A_jjP12ihipStream_tbEUljE_EEESV_SW_SX_S14_S18_S1A_T6_T7_T9_mT8_S1C_bDpT10_ENKUlT_T0_E_clISt17integral_constantIbLb1EES1O_IbLb0EEEEDaS1K_S1L_EUlS1K_E_NS1_11comp_targetILNS1_3genE3ELNS1_11target_archE908ELNS1_3gpuE7ELNS1_3repE0EEENS1_30default_config_static_selectorELNS0_4arch9wavefront6targetE0EEEvSY_.uses_flat_scratch, 0
	.set _ZN7rocprim17ROCPRIM_400000_NS6detail17trampoline_kernelINS0_13select_configILj256ELj13ELNS0_17block_load_methodE3ELS4_3ELS4_3ELNS0_20block_scan_algorithmE0ELj4294967295EEENS1_25partition_config_selectorILNS1_17partition_subalgoE3EjNS0_10empty_typeEbEEZZNS1_14partition_implILS8_3ELb0ES6_jNS0_17counting_iteratorIjlEEPS9_SE_NS0_5tupleIJPjSE_EEENSF_IJSE_SE_EEES9_SG_JZNS1_25segmented_radix_sort_implINS0_14default_configELb1EPKaPaPKlPlN2at6native12_GLOBAL__N_18offset_tEEE10hipError_tPvRmT1_PNSt15iterator_traitsISY_E10value_typeET2_T3_PNSZ_IS14_E10value_typeET4_jRbjT5_S1A_jjP12ihipStream_tbEUljE_EEESV_SW_SX_S14_S18_S1A_T6_T7_T9_mT8_S1C_bDpT10_ENKUlT_T0_E_clISt17integral_constantIbLb1EES1O_IbLb0EEEEDaS1K_S1L_EUlS1K_E_NS1_11comp_targetILNS1_3genE3ELNS1_11target_archE908ELNS1_3gpuE7ELNS1_3repE0EEENS1_30default_config_static_selectorELNS0_4arch9wavefront6targetE0EEEvSY_.has_dyn_sized_stack, 0
	.set _ZN7rocprim17ROCPRIM_400000_NS6detail17trampoline_kernelINS0_13select_configILj256ELj13ELNS0_17block_load_methodE3ELS4_3ELS4_3ELNS0_20block_scan_algorithmE0ELj4294967295EEENS1_25partition_config_selectorILNS1_17partition_subalgoE3EjNS0_10empty_typeEbEEZZNS1_14partition_implILS8_3ELb0ES6_jNS0_17counting_iteratorIjlEEPS9_SE_NS0_5tupleIJPjSE_EEENSF_IJSE_SE_EEES9_SG_JZNS1_25segmented_radix_sort_implINS0_14default_configELb1EPKaPaPKlPlN2at6native12_GLOBAL__N_18offset_tEEE10hipError_tPvRmT1_PNSt15iterator_traitsISY_E10value_typeET2_T3_PNSZ_IS14_E10value_typeET4_jRbjT5_S1A_jjP12ihipStream_tbEUljE_EEESV_SW_SX_S14_S18_S1A_T6_T7_T9_mT8_S1C_bDpT10_ENKUlT_T0_E_clISt17integral_constantIbLb1EES1O_IbLb0EEEEDaS1K_S1L_EUlS1K_E_NS1_11comp_targetILNS1_3genE3ELNS1_11target_archE908ELNS1_3gpuE7ELNS1_3repE0EEENS1_30default_config_static_selectorELNS0_4arch9wavefront6targetE0EEEvSY_.has_recursion, 0
	.set _ZN7rocprim17ROCPRIM_400000_NS6detail17trampoline_kernelINS0_13select_configILj256ELj13ELNS0_17block_load_methodE3ELS4_3ELS4_3ELNS0_20block_scan_algorithmE0ELj4294967295EEENS1_25partition_config_selectorILNS1_17partition_subalgoE3EjNS0_10empty_typeEbEEZZNS1_14partition_implILS8_3ELb0ES6_jNS0_17counting_iteratorIjlEEPS9_SE_NS0_5tupleIJPjSE_EEENSF_IJSE_SE_EEES9_SG_JZNS1_25segmented_radix_sort_implINS0_14default_configELb1EPKaPaPKlPlN2at6native12_GLOBAL__N_18offset_tEEE10hipError_tPvRmT1_PNSt15iterator_traitsISY_E10value_typeET2_T3_PNSZ_IS14_E10value_typeET4_jRbjT5_S1A_jjP12ihipStream_tbEUljE_EEESV_SW_SX_S14_S18_S1A_T6_T7_T9_mT8_S1C_bDpT10_ENKUlT_T0_E_clISt17integral_constantIbLb1EES1O_IbLb0EEEEDaS1K_S1L_EUlS1K_E_NS1_11comp_targetILNS1_3genE3ELNS1_11target_archE908ELNS1_3gpuE7ELNS1_3repE0EEENS1_30default_config_static_selectorELNS0_4arch9wavefront6targetE0EEEvSY_.has_indirect_call, 0
	.section	.AMDGPU.csdata,"",@progbits
; Kernel info:
; codeLenInByte = 0
; TotalNumSgprs: 0
; NumVgprs: 0
; ScratchSize: 0
; MemoryBound: 0
; FloatMode: 240
; IeeeMode: 1
; LDSByteSize: 0 bytes/workgroup (compile time only)
; SGPRBlocks: 0
; VGPRBlocks: 0
; NumSGPRsForWavesPerEU: 1
; NumVGPRsForWavesPerEU: 1
; NamedBarCnt: 0
; Occupancy: 16
; WaveLimiterHint : 0
; COMPUTE_PGM_RSRC2:SCRATCH_EN: 0
; COMPUTE_PGM_RSRC2:USER_SGPR: 2
; COMPUTE_PGM_RSRC2:TRAP_HANDLER: 0
; COMPUTE_PGM_RSRC2:TGID_X_EN: 1
; COMPUTE_PGM_RSRC2:TGID_Y_EN: 0
; COMPUTE_PGM_RSRC2:TGID_Z_EN: 0
; COMPUTE_PGM_RSRC2:TIDIG_COMP_CNT: 0
	.section	.text._ZN7rocprim17ROCPRIM_400000_NS6detail17trampoline_kernelINS0_13select_configILj256ELj13ELNS0_17block_load_methodE3ELS4_3ELS4_3ELNS0_20block_scan_algorithmE0ELj4294967295EEENS1_25partition_config_selectorILNS1_17partition_subalgoE3EjNS0_10empty_typeEbEEZZNS1_14partition_implILS8_3ELb0ES6_jNS0_17counting_iteratorIjlEEPS9_SE_NS0_5tupleIJPjSE_EEENSF_IJSE_SE_EEES9_SG_JZNS1_25segmented_radix_sort_implINS0_14default_configELb1EPKaPaPKlPlN2at6native12_GLOBAL__N_18offset_tEEE10hipError_tPvRmT1_PNSt15iterator_traitsISY_E10value_typeET2_T3_PNSZ_IS14_E10value_typeET4_jRbjT5_S1A_jjP12ihipStream_tbEUljE_EEESV_SW_SX_S14_S18_S1A_T6_T7_T9_mT8_S1C_bDpT10_ENKUlT_T0_E_clISt17integral_constantIbLb1EES1O_IbLb0EEEEDaS1K_S1L_EUlS1K_E_NS1_11comp_targetILNS1_3genE2ELNS1_11target_archE906ELNS1_3gpuE6ELNS1_3repE0EEENS1_30default_config_static_selectorELNS0_4arch9wavefront6targetE0EEEvSY_,"axG",@progbits,_ZN7rocprim17ROCPRIM_400000_NS6detail17trampoline_kernelINS0_13select_configILj256ELj13ELNS0_17block_load_methodE3ELS4_3ELS4_3ELNS0_20block_scan_algorithmE0ELj4294967295EEENS1_25partition_config_selectorILNS1_17partition_subalgoE3EjNS0_10empty_typeEbEEZZNS1_14partition_implILS8_3ELb0ES6_jNS0_17counting_iteratorIjlEEPS9_SE_NS0_5tupleIJPjSE_EEENSF_IJSE_SE_EEES9_SG_JZNS1_25segmented_radix_sort_implINS0_14default_configELb1EPKaPaPKlPlN2at6native12_GLOBAL__N_18offset_tEEE10hipError_tPvRmT1_PNSt15iterator_traitsISY_E10value_typeET2_T3_PNSZ_IS14_E10value_typeET4_jRbjT5_S1A_jjP12ihipStream_tbEUljE_EEESV_SW_SX_S14_S18_S1A_T6_T7_T9_mT8_S1C_bDpT10_ENKUlT_T0_E_clISt17integral_constantIbLb1EES1O_IbLb0EEEEDaS1K_S1L_EUlS1K_E_NS1_11comp_targetILNS1_3genE2ELNS1_11target_archE906ELNS1_3gpuE6ELNS1_3repE0EEENS1_30default_config_static_selectorELNS0_4arch9wavefront6targetE0EEEvSY_,comdat
	.globl	_ZN7rocprim17ROCPRIM_400000_NS6detail17trampoline_kernelINS0_13select_configILj256ELj13ELNS0_17block_load_methodE3ELS4_3ELS4_3ELNS0_20block_scan_algorithmE0ELj4294967295EEENS1_25partition_config_selectorILNS1_17partition_subalgoE3EjNS0_10empty_typeEbEEZZNS1_14partition_implILS8_3ELb0ES6_jNS0_17counting_iteratorIjlEEPS9_SE_NS0_5tupleIJPjSE_EEENSF_IJSE_SE_EEES9_SG_JZNS1_25segmented_radix_sort_implINS0_14default_configELb1EPKaPaPKlPlN2at6native12_GLOBAL__N_18offset_tEEE10hipError_tPvRmT1_PNSt15iterator_traitsISY_E10value_typeET2_T3_PNSZ_IS14_E10value_typeET4_jRbjT5_S1A_jjP12ihipStream_tbEUljE_EEESV_SW_SX_S14_S18_S1A_T6_T7_T9_mT8_S1C_bDpT10_ENKUlT_T0_E_clISt17integral_constantIbLb1EES1O_IbLb0EEEEDaS1K_S1L_EUlS1K_E_NS1_11comp_targetILNS1_3genE2ELNS1_11target_archE906ELNS1_3gpuE6ELNS1_3repE0EEENS1_30default_config_static_selectorELNS0_4arch9wavefront6targetE0EEEvSY_ ; -- Begin function _ZN7rocprim17ROCPRIM_400000_NS6detail17trampoline_kernelINS0_13select_configILj256ELj13ELNS0_17block_load_methodE3ELS4_3ELS4_3ELNS0_20block_scan_algorithmE0ELj4294967295EEENS1_25partition_config_selectorILNS1_17partition_subalgoE3EjNS0_10empty_typeEbEEZZNS1_14partition_implILS8_3ELb0ES6_jNS0_17counting_iteratorIjlEEPS9_SE_NS0_5tupleIJPjSE_EEENSF_IJSE_SE_EEES9_SG_JZNS1_25segmented_radix_sort_implINS0_14default_configELb1EPKaPaPKlPlN2at6native12_GLOBAL__N_18offset_tEEE10hipError_tPvRmT1_PNSt15iterator_traitsISY_E10value_typeET2_T3_PNSZ_IS14_E10value_typeET4_jRbjT5_S1A_jjP12ihipStream_tbEUljE_EEESV_SW_SX_S14_S18_S1A_T6_T7_T9_mT8_S1C_bDpT10_ENKUlT_T0_E_clISt17integral_constantIbLb1EES1O_IbLb0EEEEDaS1K_S1L_EUlS1K_E_NS1_11comp_targetILNS1_3genE2ELNS1_11target_archE906ELNS1_3gpuE6ELNS1_3repE0EEENS1_30default_config_static_selectorELNS0_4arch9wavefront6targetE0EEEvSY_
	.p2align	8
	.type	_ZN7rocprim17ROCPRIM_400000_NS6detail17trampoline_kernelINS0_13select_configILj256ELj13ELNS0_17block_load_methodE3ELS4_3ELS4_3ELNS0_20block_scan_algorithmE0ELj4294967295EEENS1_25partition_config_selectorILNS1_17partition_subalgoE3EjNS0_10empty_typeEbEEZZNS1_14partition_implILS8_3ELb0ES6_jNS0_17counting_iteratorIjlEEPS9_SE_NS0_5tupleIJPjSE_EEENSF_IJSE_SE_EEES9_SG_JZNS1_25segmented_radix_sort_implINS0_14default_configELb1EPKaPaPKlPlN2at6native12_GLOBAL__N_18offset_tEEE10hipError_tPvRmT1_PNSt15iterator_traitsISY_E10value_typeET2_T3_PNSZ_IS14_E10value_typeET4_jRbjT5_S1A_jjP12ihipStream_tbEUljE_EEESV_SW_SX_S14_S18_S1A_T6_T7_T9_mT8_S1C_bDpT10_ENKUlT_T0_E_clISt17integral_constantIbLb1EES1O_IbLb0EEEEDaS1K_S1L_EUlS1K_E_NS1_11comp_targetILNS1_3genE2ELNS1_11target_archE906ELNS1_3gpuE6ELNS1_3repE0EEENS1_30default_config_static_selectorELNS0_4arch9wavefront6targetE0EEEvSY_,@function
_ZN7rocprim17ROCPRIM_400000_NS6detail17trampoline_kernelINS0_13select_configILj256ELj13ELNS0_17block_load_methodE3ELS4_3ELS4_3ELNS0_20block_scan_algorithmE0ELj4294967295EEENS1_25partition_config_selectorILNS1_17partition_subalgoE3EjNS0_10empty_typeEbEEZZNS1_14partition_implILS8_3ELb0ES6_jNS0_17counting_iteratorIjlEEPS9_SE_NS0_5tupleIJPjSE_EEENSF_IJSE_SE_EEES9_SG_JZNS1_25segmented_radix_sort_implINS0_14default_configELb1EPKaPaPKlPlN2at6native12_GLOBAL__N_18offset_tEEE10hipError_tPvRmT1_PNSt15iterator_traitsISY_E10value_typeET2_T3_PNSZ_IS14_E10value_typeET4_jRbjT5_S1A_jjP12ihipStream_tbEUljE_EEESV_SW_SX_S14_S18_S1A_T6_T7_T9_mT8_S1C_bDpT10_ENKUlT_T0_E_clISt17integral_constantIbLb1EES1O_IbLb0EEEEDaS1K_S1L_EUlS1K_E_NS1_11comp_targetILNS1_3genE2ELNS1_11target_archE906ELNS1_3gpuE6ELNS1_3repE0EEENS1_30default_config_static_selectorELNS0_4arch9wavefront6targetE0EEEvSY_: ; @_ZN7rocprim17ROCPRIM_400000_NS6detail17trampoline_kernelINS0_13select_configILj256ELj13ELNS0_17block_load_methodE3ELS4_3ELS4_3ELNS0_20block_scan_algorithmE0ELj4294967295EEENS1_25partition_config_selectorILNS1_17partition_subalgoE3EjNS0_10empty_typeEbEEZZNS1_14partition_implILS8_3ELb0ES6_jNS0_17counting_iteratorIjlEEPS9_SE_NS0_5tupleIJPjSE_EEENSF_IJSE_SE_EEES9_SG_JZNS1_25segmented_radix_sort_implINS0_14default_configELb1EPKaPaPKlPlN2at6native12_GLOBAL__N_18offset_tEEE10hipError_tPvRmT1_PNSt15iterator_traitsISY_E10value_typeET2_T3_PNSZ_IS14_E10value_typeET4_jRbjT5_S1A_jjP12ihipStream_tbEUljE_EEESV_SW_SX_S14_S18_S1A_T6_T7_T9_mT8_S1C_bDpT10_ENKUlT_T0_E_clISt17integral_constantIbLb1EES1O_IbLb0EEEEDaS1K_S1L_EUlS1K_E_NS1_11comp_targetILNS1_3genE2ELNS1_11target_archE906ELNS1_3gpuE6ELNS1_3repE0EEENS1_30default_config_static_selectorELNS0_4arch9wavefront6targetE0EEEvSY_
; %bb.0:
	.section	.rodata,"a",@progbits
	.p2align	6, 0x0
	.amdhsa_kernel _ZN7rocprim17ROCPRIM_400000_NS6detail17trampoline_kernelINS0_13select_configILj256ELj13ELNS0_17block_load_methodE3ELS4_3ELS4_3ELNS0_20block_scan_algorithmE0ELj4294967295EEENS1_25partition_config_selectorILNS1_17partition_subalgoE3EjNS0_10empty_typeEbEEZZNS1_14partition_implILS8_3ELb0ES6_jNS0_17counting_iteratorIjlEEPS9_SE_NS0_5tupleIJPjSE_EEENSF_IJSE_SE_EEES9_SG_JZNS1_25segmented_radix_sort_implINS0_14default_configELb1EPKaPaPKlPlN2at6native12_GLOBAL__N_18offset_tEEE10hipError_tPvRmT1_PNSt15iterator_traitsISY_E10value_typeET2_T3_PNSZ_IS14_E10value_typeET4_jRbjT5_S1A_jjP12ihipStream_tbEUljE_EEESV_SW_SX_S14_S18_S1A_T6_T7_T9_mT8_S1C_bDpT10_ENKUlT_T0_E_clISt17integral_constantIbLb1EES1O_IbLb0EEEEDaS1K_S1L_EUlS1K_E_NS1_11comp_targetILNS1_3genE2ELNS1_11target_archE906ELNS1_3gpuE6ELNS1_3repE0EEENS1_30default_config_static_selectorELNS0_4arch9wavefront6targetE0EEEvSY_
		.amdhsa_group_segment_fixed_size 0
		.amdhsa_private_segment_fixed_size 0
		.amdhsa_kernarg_size 144
		.amdhsa_user_sgpr_count 2
		.amdhsa_user_sgpr_dispatch_ptr 0
		.amdhsa_user_sgpr_queue_ptr 0
		.amdhsa_user_sgpr_kernarg_segment_ptr 1
		.amdhsa_user_sgpr_dispatch_id 0
		.amdhsa_user_sgpr_kernarg_preload_length 0
		.amdhsa_user_sgpr_kernarg_preload_offset 0
		.amdhsa_user_sgpr_private_segment_size 0
		.amdhsa_wavefront_size32 1
		.amdhsa_uses_dynamic_stack 0
		.amdhsa_enable_private_segment 0
		.amdhsa_system_sgpr_workgroup_id_x 1
		.amdhsa_system_sgpr_workgroup_id_y 0
		.amdhsa_system_sgpr_workgroup_id_z 0
		.amdhsa_system_sgpr_workgroup_info 0
		.amdhsa_system_vgpr_workitem_id 0
		.amdhsa_next_free_vgpr 1
		.amdhsa_next_free_sgpr 1
		.amdhsa_named_barrier_count 0
		.amdhsa_reserve_vcc 0
		.amdhsa_float_round_mode_32 0
		.amdhsa_float_round_mode_16_64 0
		.amdhsa_float_denorm_mode_32 3
		.amdhsa_float_denorm_mode_16_64 3
		.amdhsa_fp16_overflow 0
		.amdhsa_memory_ordered 1
		.amdhsa_forward_progress 1
		.amdhsa_inst_pref_size 0
		.amdhsa_round_robin_scheduling 0
		.amdhsa_exception_fp_ieee_invalid_op 0
		.amdhsa_exception_fp_denorm_src 0
		.amdhsa_exception_fp_ieee_div_zero 0
		.amdhsa_exception_fp_ieee_overflow 0
		.amdhsa_exception_fp_ieee_underflow 0
		.amdhsa_exception_fp_ieee_inexact 0
		.amdhsa_exception_int_div_zero 0
	.end_amdhsa_kernel
	.section	.text._ZN7rocprim17ROCPRIM_400000_NS6detail17trampoline_kernelINS0_13select_configILj256ELj13ELNS0_17block_load_methodE3ELS4_3ELS4_3ELNS0_20block_scan_algorithmE0ELj4294967295EEENS1_25partition_config_selectorILNS1_17partition_subalgoE3EjNS0_10empty_typeEbEEZZNS1_14partition_implILS8_3ELb0ES6_jNS0_17counting_iteratorIjlEEPS9_SE_NS0_5tupleIJPjSE_EEENSF_IJSE_SE_EEES9_SG_JZNS1_25segmented_radix_sort_implINS0_14default_configELb1EPKaPaPKlPlN2at6native12_GLOBAL__N_18offset_tEEE10hipError_tPvRmT1_PNSt15iterator_traitsISY_E10value_typeET2_T3_PNSZ_IS14_E10value_typeET4_jRbjT5_S1A_jjP12ihipStream_tbEUljE_EEESV_SW_SX_S14_S18_S1A_T6_T7_T9_mT8_S1C_bDpT10_ENKUlT_T0_E_clISt17integral_constantIbLb1EES1O_IbLb0EEEEDaS1K_S1L_EUlS1K_E_NS1_11comp_targetILNS1_3genE2ELNS1_11target_archE906ELNS1_3gpuE6ELNS1_3repE0EEENS1_30default_config_static_selectorELNS0_4arch9wavefront6targetE0EEEvSY_,"axG",@progbits,_ZN7rocprim17ROCPRIM_400000_NS6detail17trampoline_kernelINS0_13select_configILj256ELj13ELNS0_17block_load_methodE3ELS4_3ELS4_3ELNS0_20block_scan_algorithmE0ELj4294967295EEENS1_25partition_config_selectorILNS1_17partition_subalgoE3EjNS0_10empty_typeEbEEZZNS1_14partition_implILS8_3ELb0ES6_jNS0_17counting_iteratorIjlEEPS9_SE_NS0_5tupleIJPjSE_EEENSF_IJSE_SE_EEES9_SG_JZNS1_25segmented_radix_sort_implINS0_14default_configELb1EPKaPaPKlPlN2at6native12_GLOBAL__N_18offset_tEEE10hipError_tPvRmT1_PNSt15iterator_traitsISY_E10value_typeET2_T3_PNSZ_IS14_E10value_typeET4_jRbjT5_S1A_jjP12ihipStream_tbEUljE_EEESV_SW_SX_S14_S18_S1A_T6_T7_T9_mT8_S1C_bDpT10_ENKUlT_T0_E_clISt17integral_constantIbLb1EES1O_IbLb0EEEEDaS1K_S1L_EUlS1K_E_NS1_11comp_targetILNS1_3genE2ELNS1_11target_archE906ELNS1_3gpuE6ELNS1_3repE0EEENS1_30default_config_static_selectorELNS0_4arch9wavefront6targetE0EEEvSY_,comdat
.Lfunc_end276:
	.size	_ZN7rocprim17ROCPRIM_400000_NS6detail17trampoline_kernelINS0_13select_configILj256ELj13ELNS0_17block_load_methodE3ELS4_3ELS4_3ELNS0_20block_scan_algorithmE0ELj4294967295EEENS1_25partition_config_selectorILNS1_17partition_subalgoE3EjNS0_10empty_typeEbEEZZNS1_14partition_implILS8_3ELb0ES6_jNS0_17counting_iteratorIjlEEPS9_SE_NS0_5tupleIJPjSE_EEENSF_IJSE_SE_EEES9_SG_JZNS1_25segmented_radix_sort_implINS0_14default_configELb1EPKaPaPKlPlN2at6native12_GLOBAL__N_18offset_tEEE10hipError_tPvRmT1_PNSt15iterator_traitsISY_E10value_typeET2_T3_PNSZ_IS14_E10value_typeET4_jRbjT5_S1A_jjP12ihipStream_tbEUljE_EEESV_SW_SX_S14_S18_S1A_T6_T7_T9_mT8_S1C_bDpT10_ENKUlT_T0_E_clISt17integral_constantIbLb1EES1O_IbLb0EEEEDaS1K_S1L_EUlS1K_E_NS1_11comp_targetILNS1_3genE2ELNS1_11target_archE906ELNS1_3gpuE6ELNS1_3repE0EEENS1_30default_config_static_selectorELNS0_4arch9wavefront6targetE0EEEvSY_, .Lfunc_end276-_ZN7rocprim17ROCPRIM_400000_NS6detail17trampoline_kernelINS0_13select_configILj256ELj13ELNS0_17block_load_methodE3ELS4_3ELS4_3ELNS0_20block_scan_algorithmE0ELj4294967295EEENS1_25partition_config_selectorILNS1_17partition_subalgoE3EjNS0_10empty_typeEbEEZZNS1_14partition_implILS8_3ELb0ES6_jNS0_17counting_iteratorIjlEEPS9_SE_NS0_5tupleIJPjSE_EEENSF_IJSE_SE_EEES9_SG_JZNS1_25segmented_radix_sort_implINS0_14default_configELb1EPKaPaPKlPlN2at6native12_GLOBAL__N_18offset_tEEE10hipError_tPvRmT1_PNSt15iterator_traitsISY_E10value_typeET2_T3_PNSZ_IS14_E10value_typeET4_jRbjT5_S1A_jjP12ihipStream_tbEUljE_EEESV_SW_SX_S14_S18_S1A_T6_T7_T9_mT8_S1C_bDpT10_ENKUlT_T0_E_clISt17integral_constantIbLb1EES1O_IbLb0EEEEDaS1K_S1L_EUlS1K_E_NS1_11comp_targetILNS1_3genE2ELNS1_11target_archE906ELNS1_3gpuE6ELNS1_3repE0EEENS1_30default_config_static_selectorELNS0_4arch9wavefront6targetE0EEEvSY_
                                        ; -- End function
	.set _ZN7rocprim17ROCPRIM_400000_NS6detail17trampoline_kernelINS0_13select_configILj256ELj13ELNS0_17block_load_methodE3ELS4_3ELS4_3ELNS0_20block_scan_algorithmE0ELj4294967295EEENS1_25partition_config_selectorILNS1_17partition_subalgoE3EjNS0_10empty_typeEbEEZZNS1_14partition_implILS8_3ELb0ES6_jNS0_17counting_iteratorIjlEEPS9_SE_NS0_5tupleIJPjSE_EEENSF_IJSE_SE_EEES9_SG_JZNS1_25segmented_radix_sort_implINS0_14default_configELb1EPKaPaPKlPlN2at6native12_GLOBAL__N_18offset_tEEE10hipError_tPvRmT1_PNSt15iterator_traitsISY_E10value_typeET2_T3_PNSZ_IS14_E10value_typeET4_jRbjT5_S1A_jjP12ihipStream_tbEUljE_EEESV_SW_SX_S14_S18_S1A_T6_T7_T9_mT8_S1C_bDpT10_ENKUlT_T0_E_clISt17integral_constantIbLb1EES1O_IbLb0EEEEDaS1K_S1L_EUlS1K_E_NS1_11comp_targetILNS1_3genE2ELNS1_11target_archE906ELNS1_3gpuE6ELNS1_3repE0EEENS1_30default_config_static_selectorELNS0_4arch9wavefront6targetE0EEEvSY_.num_vgpr, 0
	.set _ZN7rocprim17ROCPRIM_400000_NS6detail17trampoline_kernelINS0_13select_configILj256ELj13ELNS0_17block_load_methodE3ELS4_3ELS4_3ELNS0_20block_scan_algorithmE0ELj4294967295EEENS1_25partition_config_selectorILNS1_17partition_subalgoE3EjNS0_10empty_typeEbEEZZNS1_14partition_implILS8_3ELb0ES6_jNS0_17counting_iteratorIjlEEPS9_SE_NS0_5tupleIJPjSE_EEENSF_IJSE_SE_EEES9_SG_JZNS1_25segmented_radix_sort_implINS0_14default_configELb1EPKaPaPKlPlN2at6native12_GLOBAL__N_18offset_tEEE10hipError_tPvRmT1_PNSt15iterator_traitsISY_E10value_typeET2_T3_PNSZ_IS14_E10value_typeET4_jRbjT5_S1A_jjP12ihipStream_tbEUljE_EEESV_SW_SX_S14_S18_S1A_T6_T7_T9_mT8_S1C_bDpT10_ENKUlT_T0_E_clISt17integral_constantIbLb1EES1O_IbLb0EEEEDaS1K_S1L_EUlS1K_E_NS1_11comp_targetILNS1_3genE2ELNS1_11target_archE906ELNS1_3gpuE6ELNS1_3repE0EEENS1_30default_config_static_selectorELNS0_4arch9wavefront6targetE0EEEvSY_.num_agpr, 0
	.set _ZN7rocprim17ROCPRIM_400000_NS6detail17trampoline_kernelINS0_13select_configILj256ELj13ELNS0_17block_load_methodE3ELS4_3ELS4_3ELNS0_20block_scan_algorithmE0ELj4294967295EEENS1_25partition_config_selectorILNS1_17partition_subalgoE3EjNS0_10empty_typeEbEEZZNS1_14partition_implILS8_3ELb0ES6_jNS0_17counting_iteratorIjlEEPS9_SE_NS0_5tupleIJPjSE_EEENSF_IJSE_SE_EEES9_SG_JZNS1_25segmented_radix_sort_implINS0_14default_configELb1EPKaPaPKlPlN2at6native12_GLOBAL__N_18offset_tEEE10hipError_tPvRmT1_PNSt15iterator_traitsISY_E10value_typeET2_T3_PNSZ_IS14_E10value_typeET4_jRbjT5_S1A_jjP12ihipStream_tbEUljE_EEESV_SW_SX_S14_S18_S1A_T6_T7_T9_mT8_S1C_bDpT10_ENKUlT_T0_E_clISt17integral_constantIbLb1EES1O_IbLb0EEEEDaS1K_S1L_EUlS1K_E_NS1_11comp_targetILNS1_3genE2ELNS1_11target_archE906ELNS1_3gpuE6ELNS1_3repE0EEENS1_30default_config_static_selectorELNS0_4arch9wavefront6targetE0EEEvSY_.numbered_sgpr, 0
	.set _ZN7rocprim17ROCPRIM_400000_NS6detail17trampoline_kernelINS0_13select_configILj256ELj13ELNS0_17block_load_methodE3ELS4_3ELS4_3ELNS0_20block_scan_algorithmE0ELj4294967295EEENS1_25partition_config_selectorILNS1_17partition_subalgoE3EjNS0_10empty_typeEbEEZZNS1_14partition_implILS8_3ELb0ES6_jNS0_17counting_iteratorIjlEEPS9_SE_NS0_5tupleIJPjSE_EEENSF_IJSE_SE_EEES9_SG_JZNS1_25segmented_radix_sort_implINS0_14default_configELb1EPKaPaPKlPlN2at6native12_GLOBAL__N_18offset_tEEE10hipError_tPvRmT1_PNSt15iterator_traitsISY_E10value_typeET2_T3_PNSZ_IS14_E10value_typeET4_jRbjT5_S1A_jjP12ihipStream_tbEUljE_EEESV_SW_SX_S14_S18_S1A_T6_T7_T9_mT8_S1C_bDpT10_ENKUlT_T0_E_clISt17integral_constantIbLb1EES1O_IbLb0EEEEDaS1K_S1L_EUlS1K_E_NS1_11comp_targetILNS1_3genE2ELNS1_11target_archE906ELNS1_3gpuE6ELNS1_3repE0EEENS1_30default_config_static_selectorELNS0_4arch9wavefront6targetE0EEEvSY_.num_named_barrier, 0
	.set _ZN7rocprim17ROCPRIM_400000_NS6detail17trampoline_kernelINS0_13select_configILj256ELj13ELNS0_17block_load_methodE3ELS4_3ELS4_3ELNS0_20block_scan_algorithmE0ELj4294967295EEENS1_25partition_config_selectorILNS1_17partition_subalgoE3EjNS0_10empty_typeEbEEZZNS1_14partition_implILS8_3ELb0ES6_jNS0_17counting_iteratorIjlEEPS9_SE_NS0_5tupleIJPjSE_EEENSF_IJSE_SE_EEES9_SG_JZNS1_25segmented_radix_sort_implINS0_14default_configELb1EPKaPaPKlPlN2at6native12_GLOBAL__N_18offset_tEEE10hipError_tPvRmT1_PNSt15iterator_traitsISY_E10value_typeET2_T3_PNSZ_IS14_E10value_typeET4_jRbjT5_S1A_jjP12ihipStream_tbEUljE_EEESV_SW_SX_S14_S18_S1A_T6_T7_T9_mT8_S1C_bDpT10_ENKUlT_T0_E_clISt17integral_constantIbLb1EES1O_IbLb0EEEEDaS1K_S1L_EUlS1K_E_NS1_11comp_targetILNS1_3genE2ELNS1_11target_archE906ELNS1_3gpuE6ELNS1_3repE0EEENS1_30default_config_static_selectorELNS0_4arch9wavefront6targetE0EEEvSY_.private_seg_size, 0
	.set _ZN7rocprim17ROCPRIM_400000_NS6detail17trampoline_kernelINS0_13select_configILj256ELj13ELNS0_17block_load_methodE3ELS4_3ELS4_3ELNS0_20block_scan_algorithmE0ELj4294967295EEENS1_25partition_config_selectorILNS1_17partition_subalgoE3EjNS0_10empty_typeEbEEZZNS1_14partition_implILS8_3ELb0ES6_jNS0_17counting_iteratorIjlEEPS9_SE_NS0_5tupleIJPjSE_EEENSF_IJSE_SE_EEES9_SG_JZNS1_25segmented_radix_sort_implINS0_14default_configELb1EPKaPaPKlPlN2at6native12_GLOBAL__N_18offset_tEEE10hipError_tPvRmT1_PNSt15iterator_traitsISY_E10value_typeET2_T3_PNSZ_IS14_E10value_typeET4_jRbjT5_S1A_jjP12ihipStream_tbEUljE_EEESV_SW_SX_S14_S18_S1A_T6_T7_T9_mT8_S1C_bDpT10_ENKUlT_T0_E_clISt17integral_constantIbLb1EES1O_IbLb0EEEEDaS1K_S1L_EUlS1K_E_NS1_11comp_targetILNS1_3genE2ELNS1_11target_archE906ELNS1_3gpuE6ELNS1_3repE0EEENS1_30default_config_static_selectorELNS0_4arch9wavefront6targetE0EEEvSY_.uses_vcc, 0
	.set _ZN7rocprim17ROCPRIM_400000_NS6detail17trampoline_kernelINS0_13select_configILj256ELj13ELNS0_17block_load_methodE3ELS4_3ELS4_3ELNS0_20block_scan_algorithmE0ELj4294967295EEENS1_25partition_config_selectorILNS1_17partition_subalgoE3EjNS0_10empty_typeEbEEZZNS1_14partition_implILS8_3ELb0ES6_jNS0_17counting_iteratorIjlEEPS9_SE_NS0_5tupleIJPjSE_EEENSF_IJSE_SE_EEES9_SG_JZNS1_25segmented_radix_sort_implINS0_14default_configELb1EPKaPaPKlPlN2at6native12_GLOBAL__N_18offset_tEEE10hipError_tPvRmT1_PNSt15iterator_traitsISY_E10value_typeET2_T3_PNSZ_IS14_E10value_typeET4_jRbjT5_S1A_jjP12ihipStream_tbEUljE_EEESV_SW_SX_S14_S18_S1A_T6_T7_T9_mT8_S1C_bDpT10_ENKUlT_T0_E_clISt17integral_constantIbLb1EES1O_IbLb0EEEEDaS1K_S1L_EUlS1K_E_NS1_11comp_targetILNS1_3genE2ELNS1_11target_archE906ELNS1_3gpuE6ELNS1_3repE0EEENS1_30default_config_static_selectorELNS0_4arch9wavefront6targetE0EEEvSY_.uses_flat_scratch, 0
	.set _ZN7rocprim17ROCPRIM_400000_NS6detail17trampoline_kernelINS0_13select_configILj256ELj13ELNS0_17block_load_methodE3ELS4_3ELS4_3ELNS0_20block_scan_algorithmE0ELj4294967295EEENS1_25partition_config_selectorILNS1_17partition_subalgoE3EjNS0_10empty_typeEbEEZZNS1_14partition_implILS8_3ELb0ES6_jNS0_17counting_iteratorIjlEEPS9_SE_NS0_5tupleIJPjSE_EEENSF_IJSE_SE_EEES9_SG_JZNS1_25segmented_radix_sort_implINS0_14default_configELb1EPKaPaPKlPlN2at6native12_GLOBAL__N_18offset_tEEE10hipError_tPvRmT1_PNSt15iterator_traitsISY_E10value_typeET2_T3_PNSZ_IS14_E10value_typeET4_jRbjT5_S1A_jjP12ihipStream_tbEUljE_EEESV_SW_SX_S14_S18_S1A_T6_T7_T9_mT8_S1C_bDpT10_ENKUlT_T0_E_clISt17integral_constantIbLb1EES1O_IbLb0EEEEDaS1K_S1L_EUlS1K_E_NS1_11comp_targetILNS1_3genE2ELNS1_11target_archE906ELNS1_3gpuE6ELNS1_3repE0EEENS1_30default_config_static_selectorELNS0_4arch9wavefront6targetE0EEEvSY_.has_dyn_sized_stack, 0
	.set _ZN7rocprim17ROCPRIM_400000_NS6detail17trampoline_kernelINS0_13select_configILj256ELj13ELNS0_17block_load_methodE3ELS4_3ELS4_3ELNS0_20block_scan_algorithmE0ELj4294967295EEENS1_25partition_config_selectorILNS1_17partition_subalgoE3EjNS0_10empty_typeEbEEZZNS1_14partition_implILS8_3ELb0ES6_jNS0_17counting_iteratorIjlEEPS9_SE_NS0_5tupleIJPjSE_EEENSF_IJSE_SE_EEES9_SG_JZNS1_25segmented_radix_sort_implINS0_14default_configELb1EPKaPaPKlPlN2at6native12_GLOBAL__N_18offset_tEEE10hipError_tPvRmT1_PNSt15iterator_traitsISY_E10value_typeET2_T3_PNSZ_IS14_E10value_typeET4_jRbjT5_S1A_jjP12ihipStream_tbEUljE_EEESV_SW_SX_S14_S18_S1A_T6_T7_T9_mT8_S1C_bDpT10_ENKUlT_T0_E_clISt17integral_constantIbLb1EES1O_IbLb0EEEEDaS1K_S1L_EUlS1K_E_NS1_11comp_targetILNS1_3genE2ELNS1_11target_archE906ELNS1_3gpuE6ELNS1_3repE0EEENS1_30default_config_static_selectorELNS0_4arch9wavefront6targetE0EEEvSY_.has_recursion, 0
	.set _ZN7rocprim17ROCPRIM_400000_NS6detail17trampoline_kernelINS0_13select_configILj256ELj13ELNS0_17block_load_methodE3ELS4_3ELS4_3ELNS0_20block_scan_algorithmE0ELj4294967295EEENS1_25partition_config_selectorILNS1_17partition_subalgoE3EjNS0_10empty_typeEbEEZZNS1_14partition_implILS8_3ELb0ES6_jNS0_17counting_iteratorIjlEEPS9_SE_NS0_5tupleIJPjSE_EEENSF_IJSE_SE_EEES9_SG_JZNS1_25segmented_radix_sort_implINS0_14default_configELb1EPKaPaPKlPlN2at6native12_GLOBAL__N_18offset_tEEE10hipError_tPvRmT1_PNSt15iterator_traitsISY_E10value_typeET2_T3_PNSZ_IS14_E10value_typeET4_jRbjT5_S1A_jjP12ihipStream_tbEUljE_EEESV_SW_SX_S14_S18_S1A_T6_T7_T9_mT8_S1C_bDpT10_ENKUlT_T0_E_clISt17integral_constantIbLb1EES1O_IbLb0EEEEDaS1K_S1L_EUlS1K_E_NS1_11comp_targetILNS1_3genE2ELNS1_11target_archE906ELNS1_3gpuE6ELNS1_3repE0EEENS1_30default_config_static_selectorELNS0_4arch9wavefront6targetE0EEEvSY_.has_indirect_call, 0
	.section	.AMDGPU.csdata,"",@progbits
; Kernel info:
; codeLenInByte = 0
; TotalNumSgprs: 0
; NumVgprs: 0
; ScratchSize: 0
; MemoryBound: 0
; FloatMode: 240
; IeeeMode: 1
; LDSByteSize: 0 bytes/workgroup (compile time only)
; SGPRBlocks: 0
; VGPRBlocks: 0
; NumSGPRsForWavesPerEU: 1
; NumVGPRsForWavesPerEU: 1
; NamedBarCnt: 0
; Occupancy: 16
; WaveLimiterHint : 0
; COMPUTE_PGM_RSRC2:SCRATCH_EN: 0
; COMPUTE_PGM_RSRC2:USER_SGPR: 2
; COMPUTE_PGM_RSRC2:TRAP_HANDLER: 0
; COMPUTE_PGM_RSRC2:TGID_X_EN: 1
; COMPUTE_PGM_RSRC2:TGID_Y_EN: 0
; COMPUTE_PGM_RSRC2:TGID_Z_EN: 0
; COMPUTE_PGM_RSRC2:TIDIG_COMP_CNT: 0
	.section	.text._ZN7rocprim17ROCPRIM_400000_NS6detail17trampoline_kernelINS0_13select_configILj256ELj13ELNS0_17block_load_methodE3ELS4_3ELS4_3ELNS0_20block_scan_algorithmE0ELj4294967295EEENS1_25partition_config_selectorILNS1_17partition_subalgoE3EjNS0_10empty_typeEbEEZZNS1_14partition_implILS8_3ELb0ES6_jNS0_17counting_iteratorIjlEEPS9_SE_NS0_5tupleIJPjSE_EEENSF_IJSE_SE_EEES9_SG_JZNS1_25segmented_radix_sort_implINS0_14default_configELb1EPKaPaPKlPlN2at6native12_GLOBAL__N_18offset_tEEE10hipError_tPvRmT1_PNSt15iterator_traitsISY_E10value_typeET2_T3_PNSZ_IS14_E10value_typeET4_jRbjT5_S1A_jjP12ihipStream_tbEUljE_EEESV_SW_SX_S14_S18_S1A_T6_T7_T9_mT8_S1C_bDpT10_ENKUlT_T0_E_clISt17integral_constantIbLb1EES1O_IbLb0EEEEDaS1K_S1L_EUlS1K_E_NS1_11comp_targetILNS1_3genE10ELNS1_11target_archE1200ELNS1_3gpuE4ELNS1_3repE0EEENS1_30default_config_static_selectorELNS0_4arch9wavefront6targetE0EEEvSY_,"axG",@progbits,_ZN7rocprim17ROCPRIM_400000_NS6detail17trampoline_kernelINS0_13select_configILj256ELj13ELNS0_17block_load_methodE3ELS4_3ELS4_3ELNS0_20block_scan_algorithmE0ELj4294967295EEENS1_25partition_config_selectorILNS1_17partition_subalgoE3EjNS0_10empty_typeEbEEZZNS1_14partition_implILS8_3ELb0ES6_jNS0_17counting_iteratorIjlEEPS9_SE_NS0_5tupleIJPjSE_EEENSF_IJSE_SE_EEES9_SG_JZNS1_25segmented_radix_sort_implINS0_14default_configELb1EPKaPaPKlPlN2at6native12_GLOBAL__N_18offset_tEEE10hipError_tPvRmT1_PNSt15iterator_traitsISY_E10value_typeET2_T3_PNSZ_IS14_E10value_typeET4_jRbjT5_S1A_jjP12ihipStream_tbEUljE_EEESV_SW_SX_S14_S18_S1A_T6_T7_T9_mT8_S1C_bDpT10_ENKUlT_T0_E_clISt17integral_constantIbLb1EES1O_IbLb0EEEEDaS1K_S1L_EUlS1K_E_NS1_11comp_targetILNS1_3genE10ELNS1_11target_archE1200ELNS1_3gpuE4ELNS1_3repE0EEENS1_30default_config_static_selectorELNS0_4arch9wavefront6targetE0EEEvSY_,comdat
	.globl	_ZN7rocprim17ROCPRIM_400000_NS6detail17trampoline_kernelINS0_13select_configILj256ELj13ELNS0_17block_load_methodE3ELS4_3ELS4_3ELNS0_20block_scan_algorithmE0ELj4294967295EEENS1_25partition_config_selectorILNS1_17partition_subalgoE3EjNS0_10empty_typeEbEEZZNS1_14partition_implILS8_3ELb0ES6_jNS0_17counting_iteratorIjlEEPS9_SE_NS0_5tupleIJPjSE_EEENSF_IJSE_SE_EEES9_SG_JZNS1_25segmented_radix_sort_implINS0_14default_configELb1EPKaPaPKlPlN2at6native12_GLOBAL__N_18offset_tEEE10hipError_tPvRmT1_PNSt15iterator_traitsISY_E10value_typeET2_T3_PNSZ_IS14_E10value_typeET4_jRbjT5_S1A_jjP12ihipStream_tbEUljE_EEESV_SW_SX_S14_S18_S1A_T6_T7_T9_mT8_S1C_bDpT10_ENKUlT_T0_E_clISt17integral_constantIbLb1EES1O_IbLb0EEEEDaS1K_S1L_EUlS1K_E_NS1_11comp_targetILNS1_3genE10ELNS1_11target_archE1200ELNS1_3gpuE4ELNS1_3repE0EEENS1_30default_config_static_selectorELNS0_4arch9wavefront6targetE0EEEvSY_ ; -- Begin function _ZN7rocprim17ROCPRIM_400000_NS6detail17trampoline_kernelINS0_13select_configILj256ELj13ELNS0_17block_load_methodE3ELS4_3ELS4_3ELNS0_20block_scan_algorithmE0ELj4294967295EEENS1_25partition_config_selectorILNS1_17partition_subalgoE3EjNS0_10empty_typeEbEEZZNS1_14partition_implILS8_3ELb0ES6_jNS0_17counting_iteratorIjlEEPS9_SE_NS0_5tupleIJPjSE_EEENSF_IJSE_SE_EEES9_SG_JZNS1_25segmented_radix_sort_implINS0_14default_configELb1EPKaPaPKlPlN2at6native12_GLOBAL__N_18offset_tEEE10hipError_tPvRmT1_PNSt15iterator_traitsISY_E10value_typeET2_T3_PNSZ_IS14_E10value_typeET4_jRbjT5_S1A_jjP12ihipStream_tbEUljE_EEESV_SW_SX_S14_S18_S1A_T6_T7_T9_mT8_S1C_bDpT10_ENKUlT_T0_E_clISt17integral_constantIbLb1EES1O_IbLb0EEEEDaS1K_S1L_EUlS1K_E_NS1_11comp_targetILNS1_3genE10ELNS1_11target_archE1200ELNS1_3gpuE4ELNS1_3repE0EEENS1_30default_config_static_selectorELNS0_4arch9wavefront6targetE0EEEvSY_
	.p2align	8
	.type	_ZN7rocprim17ROCPRIM_400000_NS6detail17trampoline_kernelINS0_13select_configILj256ELj13ELNS0_17block_load_methodE3ELS4_3ELS4_3ELNS0_20block_scan_algorithmE0ELj4294967295EEENS1_25partition_config_selectorILNS1_17partition_subalgoE3EjNS0_10empty_typeEbEEZZNS1_14partition_implILS8_3ELb0ES6_jNS0_17counting_iteratorIjlEEPS9_SE_NS0_5tupleIJPjSE_EEENSF_IJSE_SE_EEES9_SG_JZNS1_25segmented_radix_sort_implINS0_14default_configELb1EPKaPaPKlPlN2at6native12_GLOBAL__N_18offset_tEEE10hipError_tPvRmT1_PNSt15iterator_traitsISY_E10value_typeET2_T3_PNSZ_IS14_E10value_typeET4_jRbjT5_S1A_jjP12ihipStream_tbEUljE_EEESV_SW_SX_S14_S18_S1A_T6_T7_T9_mT8_S1C_bDpT10_ENKUlT_T0_E_clISt17integral_constantIbLb1EES1O_IbLb0EEEEDaS1K_S1L_EUlS1K_E_NS1_11comp_targetILNS1_3genE10ELNS1_11target_archE1200ELNS1_3gpuE4ELNS1_3repE0EEENS1_30default_config_static_selectorELNS0_4arch9wavefront6targetE0EEEvSY_,@function
_ZN7rocprim17ROCPRIM_400000_NS6detail17trampoline_kernelINS0_13select_configILj256ELj13ELNS0_17block_load_methodE3ELS4_3ELS4_3ELNS0_20block_scan_algorithmE0ELj4294967295EEENS1_25partition_config_selectorILNS1_17partition_subalgoE3EjNS0_10empty_typeEbEEZZNS1_14partition_implILS8_3ELb0ES6_jNS0_17counting_iteratorIjlEEPS9_SE_NS0_5tupleIJPjSE_EEENSF_IJSE_SE_EEES9_SG_JZNS1_25segmented_radix_sort_implINS0_14default_configELb1EPKaPaPKlPlN2at6native12_GLOBAL__N_18offset_tEEE10hipError_tPvRmT1_PNSt15iterator_traitsISY_E10value_typeET2_T3_PNSZ_IS14_E10value_typeET4_jRbjT5_S1A_jjP12ihipStream_tbEUljE_EEESV_SW_SX_S14_S18_S1A_T6_T7_T9_mT8_S1C_bDpT10_ENKUlT_T0_E_clISt17integral_constantIbLb1EES1O_IbLb0EEEEDaS1K_S1L_EUlS1K_E_NS1_11comp_targetILNS1_3genE10ELNS1_11target_archE1200ELNS1_3gpuE4ELNS1_3repE0EEENS1_30default_config_static_selectorELNS0_4arch9wavefront6targetE0EEEvSY_: ; @_ZN7rocprim17ROCPRIM_400000_NS6detail17trampoline_kernelINS0_13select_configILj256ELj13ELNS0_17block_load_methodE3ELS4_3ELS4_3ELNS0_20block_scan_algorithmE0ELj4294967295EEENS1_25partition_config_selectorILNS1_17partition_subalgoE3EjNS0_10empty_typeEbEEZZNS1_14partition_implILS8_3ELb0ES6_jNS0_17counting_iteratorIjlEEPS9_SE_NS0_5tupleIJPjSE_EEENSF_IJSE_SE_EEES9_SG_JZNS1_25segmented_radix_sort_implINS0_14default_configELb1EPKaPaPKlPlN2at6native12_GLOBAL__N_18offset_tEEE10hipError_tPvRmT1_PNSt15iterator_traitsISY_E10value_typeET2_T3_PNSZ_IS14_E10value_typeET4_jRbjT5_S1A_jjP12ihipStream_tbEUljE_EEESV_SW_SX_S14_S18_S1A_T6_T7_T9_mT8_S1C_bDpT10_ENKUlT_T0_E_clISt17integral_constantIbLb1EES1O_IbLb0EEEEDaS1K_S1L_EUlS1K_E_NS1_11comp_targetILNS1_3genE10ELNS1_11target_archE1200ELNS1_3gpuE4ELNS1_3repE0EEENS1_30default_config_static_selectorELNS0_4arch9wavefront6targetE0EEEvSY_
; %bb.0:
	.section	.rodata,"a",@progbits
	.p2align	6, 0x0
	.amdhsa_kernel _ZN7rocprim17ROCPRIM_400000_NS6detail17trampoline_kernelINS0_13select_configILj256ELj13ELNS0_17block_load_methodE3ELS4_3ELS4_3ELNS0_20block_scan_algorithmE0ELj4294967295EEENS1_25partition_config_selectorILNS1_17partition_subalgoE3EjNS0_10empty_typeEbEEZZNS1_14partition_implILS8_3ELb0ES6_jNS0_17counting_iteratorIjlEEPS9_SE_NS0_5tupleIJPjSE_EEENSF_IJSE_SE_EEES9_SG_JZNS1_25segmented_radix_sort_implINS0_14default_configELb1EPKaPaPKlPlN2at6native12_GLOBAL__N_18offset_tEEE10hipError_tPvRmT1_PNSt15iterator_traitsISY_E10value_typeET2_T3_PNSZ_IS14_E10value_typeET4_jRbjT5_S1A_jjP12ihipStream_tbEUljE_EEESV_SW_SX_S14_S18_S1A_T6_T7_T9_mT8_S1C_bDpT10_ENKUlT_T0_E_clISt17integral_constantIbLb1EES1O_IbLb0EEEEDaS1K_S1L_EUlS1K_E_NS1_11comp_targetILNS1_3genE10ELNS1_11target_archE1200ELNS1_3gpuE4ELNS1_3repE0EEENS1_30default_config_static_selectorELNS0_4arch9wavefront6targetE0EEEvSY_
		.amdhsa_group_segment_fixed_size 0
		.amdhsa_private_segment_fixed_size 0
		.amdhsa_kernarg_size 144
		.amdhsa_user_sgpr_count 2
		.amdhsa_user_sgpr_dispatch_ptr 0
		.amdhsa_user_sgpr_queue_ptr 0
		.amdhsa_user_sgpr_kernarg_segment_ptr 1
		.amdhsa_user_sgpr_dispatch_id 0
		.amdhsa_user_sgpr_kernarg_preload_length 0
		.amdhsa_user_sgpr_kernarg_preload_offset 0
		.amdhsa_user_sgpr_private_segment_size 0
		.amdhsa_wavefront_size32 1
		.amdhsa_uses_dynamic_stack 0
		.amdhsa_enable_private_segment 0
		.amdhsa_system_sgpr_workgroup_id_x 1
		.amdhsa_system_sgpr_workgroup_id_y 0
		.amdhsa_system_sgpr_workgroup_id_z 0
		.amdhsa_system_sgpr_workgroup_info 0
		.amdhsa_system_vgpr_workitem_id 0
		.amdhsa_next_free_vgpr 1
		.amdhsa_next_free_sgpr 1
		.amdhsa_named_barrier_count 0
		.amdhsa_reserve_vcc 0
		.amdhsa_float_round_mode_32 0
		.amdhsa_float_round_mode_16_64 0
		.amdhsa_float_denorm_mode_32 3
		.amdhsa_float_denorm_mode_16_64 3
		.amdhsa_fp16_overflow 0
		.amdhsa_memory_ordered 1
		.amdhsa_forward_progress 1
		.amdhsa_inst_pref_size 0
		.amdhsa_round_robin_scheduling 0
		.amdhsa_exception_fp_ieee_invalid_op 0
		.amdhsa_exception_fp_denorm_src 0
		.amdhsa_exception_fp_ieee_div_zero 0
		.amdhsa_exception_fp_ieee_overflow 0
		.amdhsa_exception_fp_ieee_underflow 0
		.amdhsa_exception_fp_ieee_inexact 0
		.amdhsa_exception_int_div_zero 0
	.end_amdhsa_kernel
	.section	.text._ZN7rocprim17ROCPRIM_400000_NS6detail17trampoline_kernelINS0_13select_configILj256ELj13ELNS0_17block_load_methodE3ELS4_3ELS4_3ELNS0_20block_scan_algorithmE0ELj4294967295EEENS1_25partition_config_selectorILNS1_17partition_subalgoE3EjNS0_10empty_typeEbEEZZNS1_14partition_implILS8_3ELb0ES6_jNS0_17counting_iteratorIjlEEPS9_SE_NS0_5tupleIJPjSE_EEENSF_IJSE_SE_EEES9_SG_JZNS1_25segmented_radix_sort_implINS0_14default_configELb1EPKaPaPKlPlN2at6native12_GLOBAL__N_18offset_tEEE10hipError_tPvRmT1_PNSt15iterator_traitsISY_E10value_typeET2_T3_PNSZ_IS14_E10value_typeET4_jRbjT5_S1A_jjP12ihipStream_tbEUljE_EEESV_SW_SX_S14_S18_S1A_T6_T7_T9_mT8_S1C_bDpT10_ENKUlT_T0_E_clISt17integral_constantIbLb1EES1O_IbLb0EEEEDaS1K_S1L_EUlS1K_E_NS1_11comp_targetILNS1_3genE10ELNS1_11target_archE1200ELNS1_3gpuE4ELNS1_3repE0EEENS1_30default_config_static_selectorELNS0_4arch9wavefront6targetE0EEEvSY_,"axG",@progbits,_ZN7rocprim17ROCPRIM_400000_NS6detail17trampoline_kernelINS0_13select_configILj256ELj13ELNS0_17block_load_methodE3ELS4_3ELS4_3ELNS0_20block_scan_algorithmE0ELj4294967295EEENS1_25partition_config_selectorILNS1_17partition_subalgoE3EjNS0_10empty_typeEbEEZZNS1_14partition_implILS8_3ELb0ES6_jNS0_17counting_iteratorIjlEEPS9_SE_NS0_5tupleIJPjSE_EEENSF_IJSE_SE_EEES9_SG_JZNS1_25segmented_radix_sort_implINS0_14default_configELb1EPKaPaPKlPlN2at6native12_GLOBAL__N_18offset_tEEE10hipError_tPvRmT1_PNSt15iterator_traitsISY_E10value_typeET2_T3_PNSZ_IS14_E10value_typeET4_jRbjT5_S1A_jjP12ihipStream_tbEUljE_EEESV_SW_SX_S14_S18_S1A_T6_T7_T9_mT8_S1C_bDpT10_ENKUlT_T0_E_clISt17integral_constantIbLb1EES1O_IbLb0EEEEDaS1K_S1L_EUlS1K_E_NS1_11comp_targetILNS1_3genE10ELNS1_11target_archE1200ELNS1_3gpuE4ELNS1_3repE0EEENS1_30default_config_static_selectorELNS0_4arch9wavefront6targetE0EEEvSY_,comdat
.Lfunc_end277:
	.size	_ZN7rocprim17ROCPRIM_400000_NS6detail17trampoline_kernelINS0_13select_configILj256ELj13ELNS0_17block_load_methodE3ELS4_3ELS4_3ELNS0_20block_scan_algorithmE0ELj4294967295EEENS1_25partition_config_selectorILNS1_17partition_subalgoE3EjNS0_10empty_typeEbEEZZNS1_14partition_implILS8_3ELb0ES6_jNS0_17counting_iteratorIjlEEPS9_SE_NS0_5tupleIJPjSE_EEENSF_IJSE_SE_EEES9_SG_JZNS1_25segmented_radix_sort_implINS0_14default_configELb1EPKaPaPKlPlN2at6native12_GLOBAL__N_18offset_tEEE10hipError_tPvRmT1_PNSt15iterator_traitsISY_E10value_typeET2_T3_PNSZ_IS14_E10value_typeET4_jRbjT5_S1A_jjP12ihipStream_tbEUljE_EEESV_SW_SX_S14_S18_S1A_T6_T7_T9_mT8_S1C_bDpT10_ENKUlT_T0_E_clISt17integral_constantIbLb1EES1O_IbLb0EEEEDaS1K_S1L_EUlS1K_E_NS1_11comp_targetILNS1_3genE10ELNS1_11target_archE1200ELNS1_3gpuE4ELNS1_3repE0EEENS1_30default_config_static_selectorELNS0_4arch9wavefront6targetE0EEEvSY_, .Lfunc_end277-_ZN7rocprim17ROCPRIM_400000_NS6detail17trampoline_kernelINS0_13select_configILj256ELj13ELNS0_17block_load_methodE3ELS4_3ELS4_3ELNS0_20block_scan_algorithmE0ELj4294967295EEENS1_25partition_config_selectorILNS1_17partition_subalgoE3EjNS0_10empty_typeEbEEZZNS1_14partition_implILS8_3ELb0ES6_jNS0_17counting_iteratorIjlEEPS9_SE_NS0_5tupleIJPjSE_EEENSF_IJSE_SE_EEES9_SG_JZNS1_25segmented_radix_sort_implINS0_14default_configELb1EPKaPaPKlPlN2at6native12_GLOBAL__N_18offset_tEEE10hipError_tPvRmT1_PNSt15iterator_traitsISY_E10value_typeET2_T3_PNSZ_IS14_E10value_typeET4_jRbjT5_S1A_jjP12ihipStream_tbEUljE_EEESV_SW_SX_S14_S18_S1A_T6_T7_T9_mT8_S1C_bDpT10_ENKUlT_T0_E_clISt17integral_constantIbLb1EES1O_IbLb0EEEEDaS1K_S1L_EUlS1K_E_NS1_11comp_targetILNS1_3genE10ELNS1_11target_archE1200ELNS1_3gpuE4ELNS1_3repE0EEENS1_30default_config_static_selectorELNS0_4arch9wavefront6targetE0EEEvSY_
                                        ; -- End function
	.set _ZN7rocprim17ROCPRIM_400000_NS6detail17trampoline_kernelINS0_13select_configILj256ELj13ELNS0_17block_load_methodE3ELS4_3ELS4_3ELNS0_20block_scan_algorithmE0ELj4294967295EEENS1_25partition_config_selectorILNS1_17partition_subalgoE3EjNS0_10empty_typeEbEEZZNS1_14partition_implILS8_3ELb0ES6_jNS0_17counting_iteratorIjlEEPS9_SE_NS0_5tupleIJPjSE_EEENSF_IJSE_SE_EEES9_SG_JZNS1_25segmented_radix_sort_implINS0_14default_configELb1EPKaPaPKlPlN2at6native12_GLOBAL__N_18offset_tEEE10hipError_tPvRmT1_PNSt15iterator_traitsISY_E10value_typeET2_T3_PNSZ_IS14_E10value_typeET4_jRbjT5_S1A_jjP12ihipStream_tbEUljE_EEESV_SW_SX_S14_S18_S1A_T6_T7_T9_mT8_S1C_bDpT10_ENKUlT_T0_E_clISt17integral_constantIbLb1EES1O_IbLb0EEEEDaS1K_S1L_EUlS1K_E_NS1_11comp_targetILNS1_3genE10ELNS1_11target_archE1200ELNS1_3gpuE4ELNS1_3repE0EEENS1_30default_config_static_selectorELNS0_4arch9wavefront6targetE0EEEvSY_.num_vgpr, 0
	.set _ZN7rocprim17ROCPRIM_400000_NS6detail17trampoline_kernelINS0_13select_configILj256ELj13ELNS0_17block_load_methodE3ELS4_3ELS4_3ELNS0_20block_scan_algorithmE0ELj4294967295EEENS1_25partition_config_selectorILNS1_17partition_subalgoE3EjNS0_10empty_typeEbEEZZNS1_14partition_implILS8_3ELb0ES6_jNS0_17counting_iteratorIjlEEPS9_SE_NS0_5tupleIJPjSE_EEENSF_IJSE_SE_EEES9_SG_JZNS1_25segmented_radix_sort_implINS0_14default_configELb1EPKaPaPKlPlN2at6native12_GLOBAL__N_18offset_tEEE10hipError_tPvRmT1_PNSt15iterator_traitsISY_E10value_typeET2_T3_PNSZ_IS14_E10value_typeET4_jRbjT5_S1A_jjP12ihipStream_tbEUljE_EEESV_SW_SX_S14_S18_S1A_T6_T7_T9_mT8_S1C_bDpT10_ENKUlT_T0_E_clISt17integral_constantIbLb1EES1O_IbLb0EEEEDaS1K_S1L_EUlS1K_E_NS1_11comp_targetILNS1_3genE10ELNS1_11target_archE1200ELNS1_3gpuE4ELNS1_3repE0EEENS1_30default_config_static_selectorELNS0_4arch9wavefront6targetE0EEEvSY_.num_agpr, 0
	.set _ZN7rocprim17ROCPRIM_400000_NS6detail17trampoline_kernelINS0_13select_configILj256ELj13ELNS0_17block_load_methodE3ELS4_3ELS4_3ELNS0_20block_scan_algorithmE0ELj4294967295EEENS1_25partition_config_selectorILNS1_17partition_subalgoE3EjNS0_10empty_typeEbEEZZNS1_14partition_implILS8_3ELb0ES6_jNS0_17counting_iteratorIjlEEPS9_SE_NS0_5tupleIJPjSE_EEENSF_IJSE_SE_EEES9_SG_JZNS1_25segmented_radix_sort_implINS0_14default_configELb1EPKaPaPKlPlN2at6native12_GLOBAL__N_18offset_tEEE10hipError_tPvRmT1_PNSt15iterator_traitsISY_E10value_typeET2_T3_PNSZ_IS14_E10value_typeET4_jRbjT5_S1A_jjP12ihipStream_tbEUljE_EEESV_SW_SX_S14_S18_S1A_T6_T7_T9_mT8_S1C_bDpT10_ENKUlT_T0_E_clISt17integral_constantIbLb1EES1O_IbLb0EEEEDaS1K_S1L_EUlS1K_E_NS1_11comp_targetILNS1_3genE10ELNS1_11target_archE1200ELNS1_3gpuE4ELNS1_3repE0EEENS1_30default_config_static_selectorELNS0_4arch9wavefront6targetE0EEEvSY_.numbered_sgpr, 0
	.set _ZN7rocprim17ROCPRIM_400000_NS6detail17trampoline_kernelINS0_13select_configILj256ELj13ELNS0_17block_load_methodE3ELS4_3ELS4_3ELNS0_20block_scan_algorithmE0ELj4294967295EEENS1_25partition_config_selectorILNS1_17partition_subalgoE3EjNS0_10empty_typeEbEEZZNS1_14partition_implILS8_3ELb0ES6_jNS0_17counting_iteratorIjlEEPS9_SE_NS0_5tupleIJPjSE_EEENSF_IJSE_SE_EEES9_SG_JZNS1_25segmented_radix_sort_implINS0_14default_configELb1EPKaPaPKlPlN2at6native12_GLOBAL__N_18offset_tEEE10hipError_tPvRmT1_PNSt15iterator_traitsISY_E10value_typeET2_T3_PNSZ_IS14_E10value_typeET4_jRbjT5_S1A_jjP12ihipStream_tbEUljE_EEESV_SW_SX_S14_S18_S1A_T6_T7_T9_mT8_S1C_bDpT10_ENKUlT_T0_E_clISt17integral_constantIbLb1EES1O_IbLb0EEEEDaS1K_S1L_EUlS1K_E_NS1_11comp_targetILNS1_3genE10ELNS1_11target_archE1200ELNS1_3gpuE4ELNS1_3repE0EEENS1_30default_config_static_selectorELNS0_4arch9wavefront6targetE0EEEvSY_.num_named_barrier, 0
	.set _ZN7rocprim17ROCPRIM_400000_NS6detail17trampoline_kernelINS0_13select_configILj256ELj13ELNS0_17block_load_methodE3ELS4_3ELS4_3ELNS0_20block_scan_algorithmE0ELj4294967295EEENS1_25partition_config_selectorILNS1_17partition_subalgoE3EjNS0_10empty_typeEbEEZZNS1_14partition_implILS8_3ELb0ES6_jNS0_17counting_iteratorIjlEEPS9_SE_NS0_5tupleIJPjSE_EEENSF_IJSE_SE_EEES9_SG_JZNS1_25segmented_radix_sort_implINS0_14default_configELb1EPKaPaPKlPlN2at6native12_GLOBAL__N_18offset_tEEE10hipError_tPvRmT1_PNSt15iterator_traitsISY_E10value_typeET2_T3_PNSZ_IS14_E10value_typeET4_jRbjT5_S1A_jjP12ihipStream_tbEUljE_EEESV_SW_SX_S14_S18_S1A_T6_T7_T9_mT8_S1C_bDpT10_ENKUlT_T0_E_clISt17integral_constantIbLb1EES1O_IbLb0EEEEDaS1K_S1L_EUlS1K_E_NS1_11comp_targetILNS1_3genE10ELNS1_11target_archE1200ELNS1_3gpuE4ELNS1_3repE0EEENS1_30default_config_static_selectorELNS0_4arch9wavefront6targetE0EEEvSY_.private_seg_size, 0
	.set _ZN7rocprim17ROCPRIM_400000_NS6detail17trampoline_kernelINS0_13select_configILj256ELj13ELNS0_17block_load_methodE3ELS4_3ELS4_3ELNS0_20block_scan_algorithmE0ELj4294967295EEENS1_25partition_config_selectorILNS1_17partition_subalgoE3EjNS0_10empty_typeEbEEZZNS1_14partition_implILS8_3ELb0ES6_jNS0_17counting_iteratorIjlEEPS9_SE_NS0_5tupleIJPjSE_EEENSF_IJSE_SE_EEES9_SG_JZNS1_25segmented_radix_sort_implINS0_14default_configELb1EPKaPaPKlPlN2at6native12_GLOBAL__N_18offset_tEEE10hipError_tPvRmT1_PNSt15iterator_traitsISY_E10value_typeET2_T3_PNSZ_IS14_E10value_typeET4_jRbjT5_S1A_jjP12ihipStream_tbEUljE_EEESV_SW_SX_S14_S18_S1A_T6_T7_T9_mT8_S1C_bDpT10_ENKUlT_T0_E_clISt17integral_constantIbLb1EES1O_IbLb0EEEEDaS1K_S1L_EUlS1K_E_NS1_11comp_targetILNS1_3genE10ELNS1_11target_archE1200ELNS1_3gpuE4ELNS1_3repE0EEENS1_30default_config_static_selectorELNS0_4arch9wavefront6targetE0EEEvSY_.uses_vcc, 0
	.set _ZN7rocprim17ROCPRIM_400000_NS6detail17trampoline_kernelINS0_13select_configILj256ELj13ELNS0_17block_load_methodE3ELS4_3ELS4_3ELNS0_20block_scan_algorithmE0ELj4294967295EEENS1_25partition_config_selectorILNS1_17partition_subalgoE3EjNS0_10empty_typeEbEEZZNS1_14partition_implILS8_3ELb0ES6_jNS0_17counting_iteratorIjlEEPS9_SE_NS0_5tupleIJPjSE_EEENSF_IJSE_SE_EEES9_SG_JZNS1_25segmented_radix_sort_implINS0_14default_configELb1EPKaPaPKlPlN2at6native12_GLOBAL__N_18offset_tEEE10hipError_tPvRmT1_PNSt15iterator_traitsISY_E10value_typeET2_T3_PNSZ_IS14_E10value_typeET4_jRbjT5_S1A_jjP12ihipStream_tbEUljE_EEESV_SW_SX_S14_S18_S1A_T6_T7_T9_mT8_S1C_bDpT10_ENKUlT_T0_E_clISt17integral_constantIbLb1EES1O_IbLb0EEEEDaS1K_S1L_EUlS1K_E_NS1_11comp_targetILNS1_3genE10ELNS1_11target_archE1200ELNS1_3gpuE4ELNS1_3repE0EEENS1_30default_config_static_selectorELNS0_4arch9wavefront6targetE0EEEvSY_.uses_flat_scratch, 0
	.set _ZN7rocprim17ROCPRIM_400000_NS6detail17trampoline_kernelINS0_13select_configILj256ELj13ELNS0_17block_load_methodE3ELS4_3ELS4_3ELNS0_20block_scan_algorithmE0ELj4294967295EEENS1_25partition_config_selectorILNS1_17partition_subalgoE3EjNS0_10empty_typeEbEEZZNS1_14partition_implILS8_3ELb0ES6_jNS0_17counting_iteratorIjlEEPS9_SE_NS0_5tupleIJPjSE_EEENSF_IJSE_SE_EEES9_SG_JZNS1_25segmented_radix_sort_implINS0_14default_configELb1EPKaPaPKlPlN2at6native12_GLOBAL__N_18offset_tEEE10hipError_tPvRmT1_PNSt15iterator_traitsISY_E10value_typeET2_T3_PNSZ_IS14_E10value_typeET4_jRbjT5_S1A_jjP12ihipStream_tbEUljE_EEESV_SW_SX_S14_S18_S1A_T6_T7_T9_mT8_S1C_bDpT10_ENKUlT_T0_E_clISt17integral_constantIbLb1EES1O_IbLb0EEEEDaS1K_S1L_EUlS1K_E_NS1_11comp_targetILNS1_3genE10ELNS1_11target_archE1200ELNS1_3gpuE4ELNS1_3repE0EEENS1_30default_config_static_selectorELNS0_4arch9wavefront6targetE0EEEvSY_.has_dyn_sized_stack, 0
	.set _ZN7rocprim17ROCPRIM_400000_NS6detail17trampoline_kernelINS0_13select_configILj256ELj13ELNS0_17block_load_methodE3ELS4_3ELS4_3ELNS0_20block_scan_algorithmE0ELj4294967295EEENS1_25partition_config_selectorILNS1_17partition_subalgoE3EjNS0_10empty_typeEbEEZZNS1_14partition_implILS8_3ELb0ES6_jNS0_17counting_iteratorIjlEEPS9_SE_NS0_5tupleIJPjSE_EEENSF_IJSE_SE_EEES9_SG_JZNS1_25segmented_radix_sort_implINS0_14default_configELb1EPKaPaPKlPlN2at6native12_GLOBAL__N_18offset_tEEE10hipError_tPvRmT1_PNSt15iterator_traitsISY_E10value_typeET2_T3_PNSZ_IS14_E10value_typeET4_jRbjT5_S1A_jjP12ihipStream_tbEUljE_EEESV_SW_SX_S14_S18_S1A_T6_T7_T9_mT8_S1C_bDpT10_ENKUlT_T0_E_clISt17integral_constantIbLb1EES1O_IbLb0EEEEDaS1K_S1L_EUlS1K_E_NS1_11comp_targetILNS1_3genE10ELNS1_11target_archE1200ELNS1_3gpuE4ELNS1_3repE0EEENS1_30default_config_static_selectorELNS0_4arch9wavefront6targetE0EEEvSY_.has_recursion, 0
	.set _ZN7rocprim17ROCPRIM_400000_NS6detail17trampoline_kernelINS0_13select_configILj256ELj13ELNS0_17block_load_methodE3ELS4_3ELS4_3ELNS0_20block_scan_algorithmE0ELj4294967295EEENS1_25partition_config_selectorILNS1_17partition_subalgoE3EjNS0_10empty_typeEbEEZZNS1_14partition_implILS8_3ELb0ES6_jNS0_17counting_iteratorIjlEEPS9_SE_NS0_5tupleIJPjSE_EEENSF_IJSE_SE_EEES9_SG_JZNS1_25segmented_radix_sort_implINS0_14default_configELb1EPKaPaPKlPlN2at6native12_GLOBAL__N_18offset_tEEE10hipError_tPvRmT1_PNSt15iterator_traitsISY_E10value_typeET2_T3_PNSZ_IS14_E10value_typeET4_jRbjT5_S1A_jjP12ihipStream_tbEUljE_EEESV_SW_SX_S14_S18_S1A_T6_T7_T9_mT8_S1C_bDpT10_ENKUlT_T0_E_clISt17integral_constantIbLb1EES1O_IbLb0EEEEDaS1K_S1L_EUlS1K_E_NS1_11comp_targetILNS1_3genE10ELNS1_11target_archE1200ELNS1_3gpuE4ELNS1_3repE0EEENS1_30default_config_static_selectorELNS0_4arch9wavefront6targetE0EEEvSY_.has_indirect_call, 0
	.section	.AMDGPU.csdata,"",@progbits
; Kernel info:
; codeLenInByte = 0
; TotalNumSgprs: 0
; NumVgprs: 0
; ScratchSize: 0
; MemoryBound: 0
; FloatMode: 240
; IeeeMode: 1
; LDSByteSize: 0 bytes/workgroup (compile time only)
; SGPRBlocks: 0
; VGPRBlocks: 0
; NumSGPRsForWavesPerEU: 1
; NumVGPRsForWavesPerEU: 1
; NamedBarCnt: 0
; Occupancy: 16
; WaveLimiterHint : 0
; COMPUTE_PGM_RSRC2:SCRATCH_EN: 0
; COMPUTE_PGM_RSRC2:USER_SGPR: 2
; COMPUTE_PGM_RSRC2:TRAP_HANDLER: 0
; COMPUTE_PGM_RSRC2:TGID_X_EN: 1
; COMPUTE_PGM_RSRC2:TGID_Y_EN: 0
; COMPUTE_PGM_RSRC2:TGID_Z_EN: 0
; COMPUTE_PGM_RSRC2:TIDIG_COMP_CNT: 0
	.section	.text._ZN7rocprim17ROCPRIM_400000_NS6detail17trampoline_kernelINS0_13select_configILj256ELj13ELNS0_17block_load_methodE3ELS4_3ELS4_3ELNS0_20block_scan_algorithmE0ELj4294967295EEENS1_25partition_config_selectorILNS1_17partition_subalgoE3EjNS0_10empty_typeEbEEZZNS1_14partition_implILS8_3ELb0ES6_jNS0_17counting_iteratorIjlEEPS9_SE_NS0_5tupleIJPjSE_EEENSF_IJSE_SE_EEES9_SG_JZNS1_25segmented_radix_sort_implINS0_14default_configELb1EPKaPaPKlPlN2at6native12_GLOBAL__N_18offset_tEEE10hipError_tPvRmT1_PNSt15iterator_traitsISY_E10value_typeET2_T3_PNSZ_IS14_E10value_typeET4_jRbjT5_S1A_jjP12ihipStream_tbEUljE_EEESV_SW_SX_S14_S18_S1A_T6_T7_T9_mT8_S1C_bDpT10_ENKUlT_T0_E_clISt17integral_constantIbLb1EES1O_IbLb0EEEEDaS1K_S1L_EUlS1K_E_NS1_11comp_targetILNS1_3genE9ELNS1_11target_archE1100ELNS1_3gpuE3ELNS1_3repE0EEENS1_30default_config_static_selectorELNS0_4arch9wavefront6targetE0EEEvSY_,"axG",@progbits,_ZN7rocprim17ROCPRIM_400000_NS6detail17trampoline_kernelINS0_13select_configILj256ELj13ELNS0_17block_load_methodE3ELS4_3ELS4_3ELNS0_20block_scan_algorithmE0ELj4294967295EEENS1_25partition_config_selectorILNS1_17partition_subalgoE3EjNS0_10empty_typeEbEEZZNS1_14partition_implILS8_3ELb0ES6_jNS0_17counting_iteratorIjlEEPS9_SE_NS0_5tupleIJPjSE_EEENSF_IJSE_SE_EEES9_SG_JZNS1_25segmented_radix_sort_implINS0_14default_configELb1EPKaPaPKlPlN2at6native12_GLOBAL__N_18offset_tEEE10hipError_tPvRmT1_PNSt15iterator_traitsISY_E10value_typeET2_T3_PNSZ_IS14_E10value_typeET4_jRbjT5_S1A_jjP12ihipStream_tbEUljE_EEESV_SW_SX_S14_S18_S1A_T6_T7_T9_mT8_S1C_bDpT10_ENKUlT_T0_E_clISt17integral_constantIbLb1EES1O_IbLb0EEEEDaS1K_S1L_EUlS1K_E_NS1_11comp_targetILNS1_3genE9ELNS1_11target_archE1100ELNS1_3gpuE3ELNS1_3repE0EEENS1_30default_config_static_selectorELNS0_4arch9wavefront6targetE0EEEvSY_,comdat
	.globl	_ZN7rocprim17ROCPRIM_400000_NS6detail17trampoline_kernelINS0_13select_configILj256ELj13ELNS0_17block_load_methodE3ELS4_3ELS4_3ELNS0_20block_scan_algorithmE0ELj4294967295EEENS1_25partition_config_selectorILNS1_17partition_subalgoE3EjNS0_10empty_typeEbEEZZNS1_14partition_implILS8_3ELb0ES6_jNS0_17counting_iteratorIjlEEPS9_SE_NS0_5tupleIJPjSE_EEENSF_IJSE_SE_EEES9_SG_JZNS1_25segmented_radix_sort_implINS0_14default_configELb1EPKaPaPKlPlN2at6native12_GLOBAL__N_18offset_tEEE10hipError_tPvRmT1_PNSt15iterator_traitsISY_E10value_typeET2_T3_PNSZ_IS14_E10value_typeET4_jRbjT5_S1A_jjP12ihipStream_tbEUljE_EEESV_SW_SX_S14_S18_S1A_T6_T7_T9_mT8_S1C_bDpT10_ENKUlT_T0_E_clISt17integral_constantIbLb1EES1O_IbLb0EEEEDaS1K_S1L_EUlS1K_E_NS1_11comp_targetILNS1_3genE9ELNS1_11target_archE1100ELNS1_3gpuE3ELNS1_3repE0EEENS1_30default_config_static_selectorELNS0_4arch9wavefront6targetE0EEEvSY_ ; -- Begin function _ZN7rocprim17ROCPRIM_400000_NS6detail17trampoline_kernelINS0_13select_configILj256ELj13ELNS0_17block_load_methodE3ELS4_3ELS4_3ELNS0_20block_scan_algorithmE0ELj4294967295EEENS1_25partition_config_selectorILNS1_17partition_subalgoE3EjNS0_10empty_typeEbEEZZNS1_14partition_implILS8_3ELb0ES6_jNS0_17counting_iteratorIjlEEPS9_SE_NS0_5tupleIJPjSE_EEENSF_IJSE_SE_EEES9_SG_JZNS1_25segmented_radix_sort_implINS0_14default_configELb1EPKaPaPKlPlN2at6native12_GLOBAL__N_18offset_tEEE10hipError_tPvRmT1_PNSt15iterator_traitsISY_E10value_typeET2_T3_PNSZ_IS14_E10value_typeET4_jRbjT5_S1A_jjP12ihipStream_tbEUljE_EEESV_SW_SX_S14_S18_S1A_T6_T7_T9_mT8_S1C_bDpT10_ENKUlT_T0_E_clISt17integral_constantIbLb1EES1O_IbLb0EEEEDaS1K_S1L_EUlS1K_E_NS1_11comp_targetILNS1_3genE9ELNS1_11target_archE1100ELNS1_3gpuE3ELNS1_3repE0EEENS1_30default_config_static_selectorELNS0_4arch9wavefront6targetE0EEEvSY_
	.p2align	8
	.type	_ZN7rocprim17ROCPRIM_400000_NS6detail17trampoline_kernelINS0_13select_configILj256ELj13ELNS0_17block_load_methodE3ELS4_3ELS4_3ELNS0_20block_scan_algorithmE0ELj4294967295EEENS1_25partition_config_selectorILNS1_17partition_subalgoE3EjNS0_10empty_typeEbEEZZNS1_14partition_implILS8_3ELb0ES6_jNS0_17counting_iteratorIjlEEPS9_SE_NS0_5tupleIJPjSE_EEENSF_IJSE_SE_EEES9_SG_JZNS1_25segmented_radix_sort_implINS0_14default_configELb1EPKaPaPKlPlN2at6native12_GLOBAL__N_18offset_tEEE10hipError_tPvRmT1_PNSt15iterator_traitsISY_E10value_typeET2_T3_PNSZ_IS14_E10value_typeET4_jRbjT5_S1A_jjP12ihipStream_tbEUljE_EEESV_SW_SX_S14_S18_S1A_T6_T7_T9_mT8_S1C_bDpT10_ENKUlT_T0_E_clISt17integral_constantIbLb1EES1O_IbLb0EEEEDaS1K_S1L_EUlS1K_E_NS1_11comp_targetILNS1_3genE9ELNS1_11target_archE1100ELNS1_3gpuE3ELNS1_3repE0EEENS1_30default_config_static_selectorELNS0_4arch9wavefront6targetE0EEEvSY_,@function
_ZN7rocprim17ROCPRIM_400000_NS6detail17trampoline_kernelINS0_13select_configILj256ELj13ELNS0_17block_load_methodE3ELS4_3ELS4_3ELNS0_20block_scan_algorithmE0ELj4294967295EEENS1_25partition_config_selectorILNS1_17partition_subalgoE3EjNS0_10empty_typeEbEEZZNS1_14partition_implILS8_3ELb0ES6_jNS0_17counting_iteratorIjlEEPS9_SE_NS0_5tupleIJPjSE_EEENSF_IJSE_SE_EEES9_SG_JZNS1_25segmented_radix_sort_implINS0_14default_configELb1EPKaPaPKlPlN2at6native12_GLOBAL__N_18offset_tEEE10hipError_tPvRmT1_PNSt15iterator_traitsISY_E10value_typeET2_T3_PNSZ_IS14_E10value_typeET4_jRbjT5_S1A_jjP12ihipStream_tbEUljE_EEESV_SW_SX_S14_S18_S1A_T6_T7_T9_mT8_S1C_bDpT10_ENKUlT_T0_E_clISt17integral_constantIbLb1EES1O_IbLb0EEEEDaS1K_S1L_EUlS1K_E_NS1_11comp_targetILNS1_3genE9ELNS1_11target_archE1100ELNS1_3gpuE3ELNS1_3repE0EEENS1_30default_config_static_selectorELNS0_4arch9wavefront6targetE0EEEvSY_: ; @_ZN7rocprim17ROCPRIM_400000_NS6detail17trampoline_kernelINS0_13select_configILj256ELj13ELNS0_17block_load_methodE3ELS4_3ELS4_3ELNS0_20block_scan_algorithmE0ELj4294967295EEENS1_25partition_config_selectorILNS1_17partition_subalgoE3EjNS0_10empty_typeEbEEZZNS1_14partition_implILS8_3ELb0ES6_jNS0_17counting_iteratorIjlEEPS9_SE_NS0_5tupleIJPjSE_EEENSF_IJSE_SE_EEES9_SG_JZNS1_25segmented_radix_sort_implINS0_14default_configELb1EPKaPaPKlPlN2at6native12_GLOBAL__N_18offset_tEEE10hipError_tPvRmT1_PNSt15iterator_traitsISY_E10value_typeET2_T3_PNSZ_IS14_E10value_typeET4_jRbjT5_S1A_jjP12ihipStream_tbEUljE_EEESV_SW_SX_S14_S18_S1A_T6_T7_T9_mT8_S1C_bDpT10_ENKUlT_T0_E_clISt17integral_constantIbLb1EES1O_IbLb0EEEEDaS1K_S1L_EUlS1K_E_NS1_11comp_targetILNS1_3genE9ELNS1_11target_archE1100ELNS1_3gpuE3ELNS1_3repE0EEENS1_30default_config_static_selectorELNS0_4arch9wavefront6targetE0EEEvSY_
; %bb.0:
	.section	.rodata,"a",@progbits
	.p2align	6, 0x0
	.amdhsa_kernel _ZN7rocprim17ROCPRIM_400000_NS6detail17trampoline_kernelINS0_13select_configILj256ELj13ELNS0_17block_load_methodE3ELS4_3ELS4_3ELNS0_20block_scan_algorithmE0ELj4294967295EEENS1_25partition_config_selectorILNS1_17partition_subalgoE3EjNS0_10empty_typeEbEEZZNS1_14partition_implILS8_3ELb0ES6_jNS0_17counting_iteratorIjlEEPS9_SE_NS0_5tupleIJPjSE_EEENSF_IJSE_SE_EEES9_SG_JZNS1_25segmented_radix_sort_implINS0_14default_configELb1EPKaPaPKlPlN2at6native12_GLOBAL__N_18offset_tEEE10hipError_tPvRmT1_PNSt15iterator_traitsISY_E10value_typeET2_T3_PNSZ_IS14_E10value_typeET4_jRbjT5_S1A_jjP12ihipStream_tbEUljE_EEESV_SW_SX_S14_S18_S1A_T6_T7_T9_mT8_S1C_bDpT10_ENKUlT_T0_E_clISt17integral_constantIbLb1EES1O_IbLb0EEEEDaS1K_S1L_EUlS1K_E_NS1_11comp_targetILNS1_3genE9ELNS1_11target_archE1100ELNS1_3gpuE3ELNS1_3repE0EEENS1_30default_config_static_selectorELNS0_4arch9wavefront6targetE0EEEvSY_
		.amdhsa_group_segment_fixed_size 0
		.amdhsa_private_segment_fixed_size 0
		.amdhsa_kernarg_size 144
		.amdhsa_user_sgpr_count 2
		.amdhsa_user_sgpr_dispatch_ptr 0
		.amdhsa_user_sgpr_queue_ptr 0
		.amdhsa_user_sgpr_kernarg_segment_ptr 1
		.amdhsa_user_sgpr_dispatch_id 0
		.amdhsa_user_sgpr_kernarg_preload_length 0
		.amdhsa_user_sgpr_kernarg_preload_offset 0
		.amdhsa_user_sgpr_private_segment_size 0
		.amdhsa_wavefront_size32 1
		.amdhsa_uses_dynamic_stack 0
		.amdhsa_enable_private_segment 0
		.amdhsa_system_sgpr_workgroup_id_x 1
		.amdhsa_system_sgpr_workgroup_id_y 0
		.amdhsa_system_sgpr_workgroup_id_z 0
		.amdhsa_system_sgpr_workgroup_info 0
		.amdhsa_system_vgpr_workitem_id 0
		.amdhsa_next_free_vgpr 1
		.amdhsa_next_free_sgpr 1
		.amdhsa_named_barrier_count 0
		.amdhsa_reserve_vcc 0
		.amdhsa_float_round_mode_32 0
		.amdhsa_float_round_mode_16_64 0
		.amdhsa_float_denorm_mode_32 3
		.amdhsa_float_denorm_mode_16_64 3
		.amdhsa_fp16_overflow 0
		.amdhsa_memory_ordered 1
		.amdhsa_forward_progress 1
		.amdhsa_inst_pref_size 0
		.amdhsa_round_robin_scheduling 0
		.amdhsa_exception_fp_ieee_invalid_op 0
		.amdhsa_exception_fp_denorm_src 0
		.amdhsa_exception_fp_ieee_div_zero 0
		.amdhsa_exception_fp_ieee_overflow 0
		.amdhsa_exception_fp_ieee_underflow 0
		.amdhsa_exception_fp_ieee_inexact 0
		.amdhsa_exception_int_div_zero 0
	.end_amdhsa_kernel
	.section	.text._ZN7rocprim17ROCPRIM_400000_NS6detail17trampoline_kernelINS0_13select_configILj256ELj13ELNS0_17block_load_methodE3ELS4_3ELS4_3ELNS0_20block_scan_algorithmE0ELj4294967295EEENS1_25partition_config_selectorILNS1_17partition_subalgoE3EjNS0_10empty_typeEbEEZZNS1_14partition_implILS8_3ELb0ES6_jNS0_17counting_iteratorIjlEEPS9_SE_NS0_5tupleIJPjSE_EEENSF_IJSE_SE_EEES9_SG_JZNS1_25segmented_radix_sort_implINS0_14default_configELb1EPKaPaPKlPlN2at6native12_GLOBAL__N_18offset_tEEE10hipError_tPvRmT1_PNSt15iterator_traitsISY_E10value_typeET2_T3_PNSZ_IS14_E10value_typeET4_jRbjT5_S1A_jjP12ihipStream_tbEUljE_EEESV_SW_SX_S14_S18_S1A_T6_T7_T9_mT8_S1C_bDpT10_ENKUlT_T0_E_clISt17integral_constantIbLb1EES1O_IbLb0EEEEDaS1K_S1L_EUlS1K_E_NS1_11comp_targetILNS1_3genE9ELNS1_11target_archE1100ELNS1_3gpuE3ELNS1_3repE0EEENS1_30default_config_static_selectorELNS0_4arch9wavefront6targetE0EEEvSY_,"axG",@progbits,_ZN7rocprim17ROCPRIM_400000_NS6detail17trampoline_kernelINS0_13select_configILj256ELj13ELNS0_17block_load_methodE3ELS4_3ELS4_3ELNS0_20block_scan_algorithmE0ELj4294967295EEENS1_25partition_config_selectorILNS1_17partition_subalgoE3EjNS0_10empty_typeEbEEZZNS1_14partition_implILS8_3ELb0ES6_jNS0_17counting_iteratorIjlEEPS9_SE_NS0_5tupleIJPjSE_EEENSF_IJSE_SE_EEES9_SG_JZNS1_25segmented_radix_sort_implINS0_14default_configELb1EPKaPaPKlPlN2at6native12_GLOBAL__N_18offset_tEEE10hipError_tPvRmT1_PNSt15iterator_traitsISY_E10value_typeET2_T3_PNSZ_IS14_E10value_typeET4_jRbjT5_S1A_jjP12ihipStream_tbEUljE_EEESV_SW_SX_S14_S18_S1A_T6_T7_T9_mT8_S1C_bDpT10_ENKUlT_T0_E_clISt17integral_constantIbLb1EES1O_IbLb0EEEEDaS1K_S1L_EUlS1K_E_NS1_11comp_targetILNS1_3genE9ELNS1_11target_archE1100ELNS1_3gpuE3ELNS1_3repE0EEENS1_30default_config_static_selectorELNS0_4arch9wavefront6targetE0EEEvSY_,comdat
.Lfunc_end278:
	.size	_ZN7rocprim17ROCPRIM_400000_NS6detail17trampoline_kernelINS0_13select_configILj256ELj13ELNS0_17block_load_methodE3ELS4_3ELS4_3ELNS0_20block_scan_algorithmE0ELj4294967295EEENS1_25partition_config_selectorILNS1_17partition_subalgoE3EjNS0_10empty_typeEbEEZZNS1_14partition_implILS8_3ELb0ES6_jNS0_17counting_iteratorIjlEEPS9_SE_NS0_5tupleIJPjSE_EEENSF_IJSE_SE_EEES9_SG_JZNS1_25segmented_radix_sort_implINS0_14default_configELb1EPKaPaPKlPlN2at6native12_GLOBAL__N_18offset_tEEE10hipError_tPvRmT1_PNSt15iterator_traitsISY_E10value_typeET2_T3_PNSZ_IS14_E10value_typeET4_jRbjT5_S1A_jjP12ihipStream_tbEUljE_EEESV_SW_SX_S14_S18_S1A_T6_T7_T9_mT8_S1C_bDpT10_ENKUlT_T0_E_clISt17integral_constantIbLb1EES1O_IbLb0EEEEDaS1K_S1L_EUlS1K_E_NS1_11comp_targetILNS1_3genE9ELNS1_11target_archE1100ELNS1_3gpuE3ELNS1_3repE0EEENS1_30default_config_static_selectorELNS0_4arch9wavefront6targetE0EEEvSY_, .Lfunc_end278-_ZN7rocprim17ROCPRIM_400000_NS6detail17trampoline_kernelINS0_13select_configILj256ELj13ELNS0_17block_load_methodE3ELS4_3ELS4_3ELNS0_20block_scan_algorithmE0ELj4294967295EEENS1_25partition_config_selectorILNS1_17partition_subalgoE3EjNS0_10empty_typeEbEEZZNS1_14partition_implILS8_3ELb0ES6_jNS0_17counting_iteratorIjlEEPS9_SE_NS0_5tupleIJPjSE_EEENSF_IJSE_SE_EEES9_SG_JZNS1_25segmented_radix_sort_implINS0_14default_configELb1EPKaPaPKlPlN2at6native12_GLOBAL__N_18offset_tEEE10hipError_tPvRmT1_PNSt15iterator_traitsISY_E10value_typeET2_T3_PNSZ_IS14_E10value_typeET4_jRbjT5_S1A_jjP12ihipStream_tbEUljE_EEESV_SW_SX_S14_S18_S1A_T6_T7_T9_mT8_S1C_bDpT10_ENKUlT_T0_E_clISt17integral_constantIbLb1EES1O_IbLb0EEEEDaS1K_S1L_EUlS1K_E_NS1_11comp_targetILNS1_3genE9ELNS1_11target_archE1100ELNS1_3gpuE3ELNS1_3repE0EEENS1_30default_config_static_selectorELNS0_4arch9wavefront6targetE0EEEvSY_
                                        ; -- End function
	.set _ZN7rocprim17ROCPRIM_400000_NS6detail17trampoline_kernelINS0_13select_configILj256ELj13ELNS0_17block_load_methodE3ELS4_3ELS4_3ELNS0_20block_scan_algorithmE0ELj4294967295EEENS1_25partition_config_selectorILNS1_17partition_subalgoE3EjNS0_10empty_typeEbEEZZNS1_14partition_implILS8_3ELb0ES6_jNS0_17counting_iteratorIjlEEPS9_SE_NS0_5tupleIJPjSE_EEENSF_IJSE_SE_EEES9_SG_JZNS1_25segmented_radix_sort_implINS0_14default_configELb1EPKaPaPKlPlN2at6native12_GLOBAL__N_18offset_tEEE10hipError_tPvRmT1_PNSt15iterator_traitsISY_E10value_typeET2_T3_PNSZ_IS14_E10value_typeET4_jRbjT5_S1A_jjP12ihipStream_tbEUljE_EEESV_SW_SX_S14_S18_S1A_T6_T7_T9_mT8_S1C_bDpT10_ENKUlT_T0_E_clISt17integral_constantIbLb1EES1O_IbLb0EEEEDaS1K_S1L_EUlS1K_E_NS1_11comp_targetILNS1_3genE9ELNS1_11target_archE1100ELNS1_3gpuE3ELNS1_3repE0EEENS1_30default_config_static_selectorELNS0_4arch9wavefront6targetE0EEEvSY_.num_vgpr, 0
	.set _ZN7rocprim17ROCPRIM_400000_NS6detail17trampoline_kernelINS0_13select_configILj256ELj13ELNS0_17block_load_methodE3ELS4_3ELS4_3ELNS0_20block_scan_algorithmE0ELj4294967295EEENS1_25partition_config_selectorILNS1_17partition_subalgoE3EjNS0_10empty_typeEbEEZZNS1_14partition_implILS8_3ELb0ES6_jNS0_17counting_iteratorIjlEEPS9_SE_NS0_5tupleIJPjSE_EEENSF_IJSE_SE_EEES9_SG_JZNS1_25segmented_radix_sort_implINS0_14default_configELb1EPKaPaPKlPlN2at6native12_GLOBAL__N_18offset_tEEE10hipError_tPvRmT1_PNSt15iterator_traitsISY_E10value_typeET2_T3_PNSZ_IS14_E10value_typeET4_jRbjT5_S1A_jjP12ihipStream_tbEUljE_EEESV_SW_SX_S14_S18_S1A_T6_T7_T9_mT8_S1C_bDpT10_ENKUlT_T0_E_clISt17integral_constantIbLb1EES1O_IbLb0EEEEDaS1K_S1L_EUlS1K_E_NS1_11comp_targetILNS1_3genE9ELNS1_11target_archE1100ELNS1_3gpuE3ELNS1_3repE0EEENS1_30default_config_static_selectorELNS0_4arch9wavefront6targetE0EEEvSY_.num_agpr, 0
	.set _ZN7rocprim17ROCPRIM_400000_NS6detail17trampoline_kernelINS0_13select_configILj256ELj13ELNS0_17block_load_methodE3ELS4_3ELS4_3ELNS0_20block_scan_algorithmE0ELj4294967295EEENS1_25partition_config_selectorILNS1_17partition_subalgoE3EjNS0_10empty_typeEbEEZZNS1_14partition_implILS8_3ELb0ES6_jNS0_17counting_iteratorIjlEEPS9_SE_NS0_5tupleIJPjSE_EEENSF_IJSE_SE_EEES9_SG_JZNS1_25segmented_radix_sort_implINS0_14default_configELb1EPKaPaPKlPlN2at6native12_GLOBAL__N_18offset_tEEE10hipError_tPvRmT1_PNSt15iterator_traitsISY_E10value_typeET2_T3_PNSZ_IS14_E10value_typeET4_jRbjT5_S1A_jjP12ihipStream_tbEUljE_EEESV_SW_SX_S14_S18_S1A_T6_T7_T9_mT8_S1C_bDpT10_ENKUlT_T0_E_clISt17integral_constantIbLb1EES1O_IbLb0EEEEDaS1K_S1L_EUlS1K_E_NS1_11comp_targetILNS1_3genE9ELNS1_11target_archE1100ELNS1_3gpuE3ELNS1_3repE0EEENS1_30default_config_static_selectorELNS0_4arch9wavefront6targetE0EEEvSY_.numbered_sgpr, 0
	.set _ZN7rocprim17ROCPRIM_400000_NS6detail17trampoline_kernelINS0_13select_configILj256ELj13ELNS0_17block_load_methodE3ELS4_3ELS4_3ELNS0_20block_scan_algorithmE0ELj4294967295EEENS1_25partition_config_selectorILNS1_17partition_subalgoE3EjNS0_10empty_typeEbEEZZNS1_14partition_implILS8_3ELb0ES6_jNS0_17counting_iteratorIjlEEPS9_SE_NS0_5tupleIJPjSE_EEENSF_IJSE_SE_EEES9_SG_JZNS1_25segmented_radix_sort_implINS0_14default_configELb1EPKaPaPKlPlN2at6native12_GLOBAL__N_18offset_tEEE10hipError_tPvRmT1_PNSt15iterator_traitsISY_E10value_typeET2_T3_PNSZ_IS14_E10value_typeET4_jRbjT5_S1A_jjP12ihipStream_tbEUljE_EEESV_SW_SX_S14_S18_S1A_T6_T7_T9_mT8_S1C_bDpT10_ENKUlT_T0_E_clISt17integral_constantIbLb1EES1O_IbLb0EEEEDaS1K_S1L_EUlS1K_E_NS1_11comp_targetILNS1_3genE9ELNS1_11target_archE1100ELNS1_3gpuE3ELNS1_3repE0EEENS1_30default_config_static_selectorELNS0_4arch9wavefront6targetE0EEEvSY_.num_named_barrier, 0
	.set _ZN7rocprim17ROCPRIM_400000_NS6detail17trampoline_kernelINS0_13select_configILj256ELj13ELNS0_17block_load_methodE3ELS4_3ELS4_3ELNS0_20block_scan_algorithmE0ELj4294967295EEENS1_25partition_config_selectorILNS1_17partition_subalgoE3EjNS0_10empty_typeEbEEZZNS1_14partition_implILS8_3ELb0ES6_jNS0_17counting_iteratorIjlEEPS9_SE_NS0_5tupleIJPjSE_EEENSF_IJSE_SE_EEES9_SG_JZNS1_25segmented_radix_sort_implINS0_14default_configELb1EPKaPaPKlPlN2at6native12_GLOBAL__N_18offset_tEEE10hipError_tPvRmT1_PNSt15iterator_traitsISY_E10value_typeET2_T3_PNSZ_IS14_E10value_typeET4_jRbjT5_S1A_jjP12ihipStream_tbEUljE_EEESV_SW_SX_S14_S18_S1A_T6_T7_T9_mT8_S1C_bDpT10_ENKUlT_T0_E_clISt17integral_constantIbLb1EES1O_IbLb0EEEEDaS1K_S1L_EUlS1K_E_NS1_11comp_targetILNS1_3genE9ELNS1_11target_archE1100ELNS1_3gpuE3ELNS1_3repE0EEENS1_30default_config_static_selectorELNS0_4arch9wavefront6targetE0EEEvSY_.private_seg_size, 0
	.set _ZN7rocprim17ROCPRIM_400000_NS6detail17trampoline_kernelINS0_13select_configILj256ELj13ELNS0_17block_load_methodE3ELS4_3ELS4_3ELNS0_20block_scan_algorithmE0ELj4294967295EEENS1_25partition_config_selectorILNS1_17partition_subalgoE3EjNS0_10empty_typeEbEEZZNS1_14partition_implILS8_3ELb0ES6_jNS0_17counting_iteratorIjlEEPS9_SE_NS0_5tupleIJPjSE_EEENSF_IJSE_SE_EEES9_SG_JZNS1_25segmented_radix_sort_implINS0_14default_configELb1EPKaPaPKlPlN2at6native12_GLOBAL__N_18offset_tEEE10hipError_tPvRmT1_PNSt15iterator_traitsISY_E10value_typeET2_T3_PNSZ_IS14_E10value_typeET4_jRbjT5_S1A_jjP12ihipStream_tbEUljE_EEESV_SW_SX_S14_S18_S1A_T6_T7_T9_mT8_S1C_bDpT10_ENKUlT_T0_E_clISt17integral_constantIbLb1EES1O_IbLb0EEEEDaS1K_S1L_EUlS1K_E_NS1_11comp_targetILNS1_3genE9ELNS1_11target_archE1100ELNS1_3gpuE3ELNS1_3repE0EEENS1_30default_config_static_selectorELNS0_4arch9wavefront6targetE0EEEvSY_.uses_vcc, 0
	.set _ZN7rocprim17ROCPRIM_400000_NS6detail17trampoline_kernelINS0_13select_configILj256ELj13ELNS0_17block_load_methodE3ELS4_3ELS4_3ELNS0_20block_scan_algorithmE0ELj4294967295EEENS1_25partition_config_selectorILNS1_17partition_subalgoE3EjNS0_10empty_typeEbEEZZNS1_14partition_implILS8_3ELb0ES6_jNS0_17counting_iteratorIjlEEPS9_SE_NS0_5tupleIJPjSE_EEENSF_IJSE_SE_EEES9_SG_JZNS1_25segmented_radix_sort_implINS0_14default_configELb1EPKaPaPKlPlN2at6native12_GLOBAL__N_18offset_tEEE10hipError_tPvRmT1_PNSt15iterator_traitsISY_E10value_typeET2_T3_PNSZ_IS14_E10value_typeET4_jRbjT5_S1A_jjP12ihipStream_tbEUljE_EEESV_SW_SX_S14_S18_S1A_T6_T7_T9_mT8_S1C_bDpT10_ENKUlT_T0_E_clISt17integral_constantIbLb1EES1O_IbLb0EEEEDaS1K_S1L_EUlS1K_E_NS1_11comp_targetILNS1_3genE9ELNS1_11target_archE1100ELNS1_3gpuE3ELNS1_3repE0EEENS1_30default_config_static_selectorELNS0_4arch9wavefront6targetE0EEEvSY_.uses_flat_scratch, 0
	.set _ZN7rocprim17ROCPRIM_400000_NS6detail17trampoline_kernelINS0_13select_configILj256ELj13ELNS0_17block_load_methodE3ELS4_3ELS4_3ELNS0_20block_scan_algorithmE0ELj4294967295EEENS1_25partition_config_selectorILNS1_17partition_subalgoE3EjNS0_10empty_typeEbEEZZNS1_14partition_implILS8_3ELb0ES6_jNS0_17counting_iteratorIjlEEPS9_SE_NS0_5tupleIJPjSE_EEENSF_IJSE_SE_EEES9_SG_JZNS1_25segmented_radix_sort_implINS0_14default_configELb1EPKaPaPKlPlN2at6native12_GLOBAL__N_18offset_tEEE10hipError_tPvRmT1_PNSt15iterator_traitsISY_E10value_typeET2_T3_PNSZ_IS14_E10value_typeET4_jRbjT5_S1A_jjP12ihipStream_tbEUljE_EEESV_SW_SX_S14_S18_S1A_T6_T7_T9_mT8_S1C_bDpT10_ENKUlT_T0_E_clISt17integral_constantIbLb1EES1O_IbLb0EEEEDaS1K_S1L_EUlS1K_E_NS1_11comp_targetILNS1_3genE9ELNS1_11target_archE1100ELNS1_3gpuE3ELNS1_3repE0EEENS1_30default_config_static_selectorELNS0_4arch9wavefront6targetE0EEEvSY_.has_dyn_sized_stack, 0
	.set _ZN7rocprim17ROCPRIM_400000_NS6detail17trampoline_kernelINS0_13select_configILj256ELj13ELNS0_17block_load_methodE3ELS4_3ELS4_3ELNS0_20block_scan_algorithmE0ELj4294967295EEENS1_25partition_config_selectorILNS1_17partition_subalgoE3EjNS0_10empty_typeEbEEZZNS1_14partition_implILS8_3ELb0ES6_jNS0_17counting_iteratorIjlEEPS9_SE_NS0_5tupleIJPjSE_EEENSF_IJSE_SE_EEES9_SG_JZNS1_25segmented_radix_sort_implINS0_14default_configELb1EPKaPaPKlPlN2at6native12_GLOBAL__N_18offset_tEEE10hipError_tPvRmT1_PNSt15iterator_traitsISY_E10value_typeET2_T3_PNSZ_IS14_E10value_typeET4_jRbjT5_S1A_jjP12ihipStream_tbEUljE_EEESV_SW_SX_S14_S18_S1A_T6_T7_T9_mT8_S1C_bDpT10_ENKUlT_T0_E_clISt17integral_constantIbLb1EES1O_IbLb0EEEEDaS1K_S1L_EUlS1K_E_NS1_11comp_targetILNS1_3genE9ELNS1_11target_archE1100ELNS1_3gpuE3ELNS1_3repE0EEENS1_30default_config_static_selectorELNS0_4arch9wavefront6targetE0EEEvSY_.has_recursion, 0
	.set _ZN7rocprim17ROCPRIM_400000_NS6detail17trampoline_kernelINS0_13select_configILj256ELj13ELNS0_17block_load_methodE3ELS4_3ELS4_3ELNS0_20block_scan_algorithmE0ELj4294967295EEENS1_25partition_config_selectorILNS1_17partition_subalgoE3EjNS0_10empty_typeEbEEZZNS1_14partition_implILS8_3ELb0ES6_jNS0_17counting_iteratorIjlEEPS9_SE_NS0_5tupleIJPjSE_EEENSF_IJSE_SE_EEES9_SG_JZNS1_25segmented_radix_sort_implINS0_14default_configELb1EPKaPaPKlPlN2at6native12_GLOBAL__N_18offset_tEEE10hipError_tPvRmT1_PNSt15iterator_traitsISY_E10value_typeET2_T3_PNSZ_IS14_E10value_typeET4_jRbjT5_S1A_jjP12ihipStream_tbEUljE_EEESV_SW_SX_S14_S18_S1A_T6_T7_T9_mT8_S1C_bDpT10_ENKUlT_T0_E_clISt17integral_constantIbLb1EES1O_IbLb0EEEEDaS1K_S1L_EUlS1K_E_NS1_11comp_targetILNS1_3genE9ELNS1_11target_archE1100ELNS1_3gpuE3ELNS1_3repE0EEENS1_30default_config_static_selectorELNS0_4arch9wavefront6targetE0EEEvSY_.has_indirect_call, 0
	.section	.AMDGPU.csdata,"",@progbits
; Kernel info:
; codeLenInByte = 0
; TotalNumSgprs: 0
; NumVgprs: 0
; ScratchSize: 0
; MemoryBound: 0
; FloatMode: 240
; IeeeMode: 1
; LDSByteSize: 0 bytes/workgroup (compile time only)
; SGPRBlocks: 0
; VGPRBlocks: 0
; NumSGPRsForWavesPerEU: 1
; NumVGPRsForWavesPerEU: 1
; NamedBarCnt: 0
; Occupancy: 16
; WaveLimiterHint : 0
; COMPUTE_PGM_RSRC2:SCRATCH_EN: 0
; COMPUTE_PGM_RSRC2:USER_SGPR: 2
; COMPUTE_PGM_RSRC2:TRAP_HANDLER: 0
; COMPUTE_PGM_RSRC2:TGID_X_EN: 1
; COMPUTE_PGM_RSRC2:TGID_Y_EN: 0
; COMPUTE_PGM_RSRC2:TGID_Z_EN: 0
; COMPUTE_PGM_RSRC2:TIDIG_COMP_CNT: 0
	.section	.text._ZN7rocprim17ROCPRIM_400000_NS6detail17trampoline_kernelINS0_13select_configILj256ELj13ELNS0_17block_load_methodE3ELS4_3ELS4_3ELNS0_20block_scan_algorithmE0ELj4294967295EEENS1_25partition_config_selectorILNS1_17partition_subalgoE3EjNS0_10empty_typeEbEEZZNS1_14partition_implILS8_3ELb0ES6_jNS0_17counting_iteratorIjlEEPS9_SE_NS0_5tupleIJPjSE_EEENSF_IJSE_SE_EEES9_SG_JZNS1_25segmented_radix_sort_implINS0_14default_configELb1EPKaPaPKlPlN2at6native12_GLOBAL__N_18offset_tEEE10hipError_tPvRmT1_PNSt15iterator_traitsISY_E10value_typeET2_T3_PNSZ_IS14_E10value_typeET4_jRbjT5_S1A_jjP12ihipStream_tbEUljE_EEESV_SW_SX_S14_S18_S1A_T6_T7_T9_mT8_S1C_bDpT10_ENKUlT_T0_E_clISt17integral_constantIbLb1EES1O_IbLb0EEEEDaS1K_S1L_EUlS1K_E_NS1_11comp_targetILNS1_3genE8ELNS1_11target_archE1030ELNS1_3gpuE2ELNS1_3repE0EEENS1_30default_config_static_selectorELNS0_4arch9wavefront6targetE0EEEvSY_,"axG",@progbits,_ZN7rocprim17ROCPRIM_400000_NS6detail17trampoline_kernelINS0_13select_configILj256ELj13ELNS0_17block_load_methodE3ELS4_3ELS4_3ELNS0_20block_scan_algorithmE0ELj4294967295EEENS1_25partition_config_selectorILNS1_17partition_subalgoE3EjNS0_10empty_typeEbEEZZNS1_14partition_implILS8_3ELb0ES6_jNS0_17counting_iteratorIjlEEPS9_SE_NS0_5tupleIJPjSE_EEENSF_IJSE_SE_EEES9_SG_JZNS1_25segmented_radix_sort_implINS0_14default_configELb1EPKaPaPKlPlN2at6native12_GLOBAL__N_18offset_tEEE10hipError_tPvRmT1_PNSt15iterator_traitsISY_E10value_typeET2_T3_PNSZ_IS14_E10value_typeET4_jRbjT5_S1A_jjP12ihipStream_tbEUljE_EEESV_SW_SX_S14_S18_S1A_T6_T7_T9_mT8_S1C_bDpT10_ENKUlT_T0_E_clISt17integral_constantIbLb1EES1O_IbLb0EEEEDaS1K_S1L_EUlS1K_E_NS1_11comp_targetILNS1_3genE8ELNS1_11target_archE1030ELNS1_3gpuE2ELNS1_3repE0EEENS1_30default_config_static_selectorELNS0_4arch9wavefront6targetE0EEEvSY_,comdat
	.globl	_ZN7rocprim17ROCPRIM_400000_NS6detail17trampoline_kernelINS0_13select_configILj256ELj13ELNS0_17block_load_methodE3ELS4_3ELS4_3ELNS0_20block_scan_algorithmE0ELj4294967295EEENS1_25partition_config_selectorILNS1_17partition_subalgoE3EjNS0_10empty_typeEbEEZZNS1_14partition_implILS8_3ELb0ES6_jNS0_17counting_iteratorIjlEEPS9_SE_NS0_5tupleIJPjSE_EEENSF_IJSE_SE_EEES9_SG_JZNS1_25segmented_radix_sort_implINS0_14default_configELb1EPKaPaPKlPlN2at6native12_GLOBAL__N_18offset_tEEE10hipError_tPvRmT1_PNSt15iterator_traitsISY_E10value_typeET2_T3_PNSZ_IS14_E10value_typeET4_jRbjT5_S1A_jjP12ihipStream_tbEUljE_EEESV_SW_SX_S14_S18_S1A_T6_T7_T9_mT8_S1C_bDpT10_ENKUlT_T0_E_clISt17integral_constantIbLb1EES1O_IbLb0EEEEDaS1K_S1L_EUlS1K_E_NS1_11comp_targetILNS1_3genE8ELNS1_11target_archE1030ELNS1_3gpuE2ELNS1_3repE0EEENS1_30default_config_static_selectorELNS0_4arch9wavefront6targetE0EEEvSY_ ; -- Begin function _ZN7rocprim17ROCPRIM_400000_NS6detail17trampoline_kernelINS0_13select_configILj256ELj13ELNS0_17block_load_methodE3ELS4_3ELS4_3ELNS0_20block_scan_algorithmE0ELj4294967295EEENS1_25partition_config_selectorILNS1_17partition_subalgoE3EjNS0_10empty_typeEbEEZZNS1_14partition_implILS8_3ELb0ES6_jNS0_17counting_iteratorIjlEEPS9_SE_NS0_5tupleIJPjSE_EEENSF_IJSE_SE_EEES9_SG_JZNS1_25segmented_radix_sort_implINS0_14default_configELb1EPKaPaPKlPlN2at6native12_GLOBAL__N_18offset_tEEE10hipError_tPvRmT1_PNSt15iterator_traitsISY_E10value_typeET2_T3_PNSZ_IS14_E10value_typeET4_jRbjT5_S1A_jjP12ihipStream_tbEUljE_EEESV_SW_SX_S14_S18_S1A_T6_T7_T9_mT8_S1C_bDpT10_ENKUlT_T0_E_clISt17integral_constantIbLb1EES1O_IbLb0EEEEDaS1K_S1L_EUlS1K_E_NS1_11comp_targetILNS1_3genE8ELNS1_11target_archE1030ELNS1_3gpuE2ELNS1_3repE0EEENS1_30default_config_static_selectorELNS0_4arch9wavefront6targetE0EEEvSY_
	.p2align	8
	.type	_ZN7rocprim17ROCPRIM_400000_NS6detail17trampoline_kernelINS0_13select_configILj256ELj13ELNS0_17block_load_methodE3ELS4_3ELS4_3ELNS0_20block_scan_algorithmE0ELj4294967295EEENS1_25partition_config_selectorILNS1_17partition_subalgoE3EjNS0_10empty_typeEbEEZZNS1_14partition_implILS8_3ELb0ES6_jNS0_17counting_iteratorIjlEEPS9_SE_NS0_5tupleIJPjSE_EEENSF_IJSE_SE_EEES9_SG_JZNS1_25segmented_radix_sort_implINS0_14default_configELb1EPKaPaPKlPlN2at6native12_GLOBAL__N_18offset_tEEE10hipError_tPvRmT1_PNSt15iterator_traitsISY_E10value_typeET2_T3_PNSZ_IS14_E10value_typeET4_jRbjT5_S1A_jjP12ihipStream_tbEUljE_EEESV_SW_SX_S14_S18_S1A_T6_T7_T9_mT8_S1C_bDpT10_ENKUlT_T0_E_clISt17integral_constantIbLb1EES1O_IbLb0EEEEDaS1K_S1L_EUlS1K_E_NS1_11comp_targetILNS1_3genE8ELNS1_11target_archE1030ELNS1_3gpuE2ELNS1_3repE0EEENS1_30default_config_static_selectorELNS0_4arch9wavefront6targetE0EEEvSY_,@function
_ZN7rocprim17ROCPRIM_400000_NS6detail17trampoline_kernelINS0_13select_configILj256ELj13ELNS0_17block_load_methodE3ELS4_3ELS4_3ELNS0_20block_scan_algorithmE0ELj4294967295EEENS1_25partition_config_selectorILNS1_17partition_subalgoE3EjNS0_10empty_typeEbEEZZNS1_14partition_implILS8_3ELb0ES6_jNS0_17counting_iteratorIjlEEPS9_SE_NS0_5tupleIJPjSE_EEENSF_IJSE_SE_EEES9_SG_JZNS1_25segmented_radix_sort_implINS0_14default_configELb1EPKaPaPKlPlN2at6native12_GLOBAL__N_18offset_tEEE10hipError_tPvRmT1_PNSt15iterator_traitsISY_E10value_typeET2_T3_PNSZ_IS14_E10value_typeET4_jRbjT5_S1A_jjP12ihipStream_tbEUljE_EEESV_SW_SX_S14_S18_S1A_T6_T7_T9_mT8_S1C_bDpT10_ENKUlT_T0_E_clISt17integral_constantIbLb1EES1O_IbLb0EEEEDaS1K_S1L_EUlS1K_E_NS1_11comp_targetILNS1_3genE8ELNS1_11target_archE1030ELNS1_3gpuE2ELNS1_3repE0EEENS1_30default_config_static_selectorELNS0_4arch9wavefront6targetE0EEEvSY_: ; @_ZN7rocprim17ROCPRIM_400000_NS6detail17trampoline_kernelINS0_13select_configILj256ELj13ELNS0_17block_load_methodE3ELS4_3ELS4_3ELNS0_20block_scan_algorithmE0ELj4294967295EEENS1_25partition_config_selectorILNS1_17partition_subalgoE3EjNS0_10empty_typeEbEEZZNS1_14partition_implILS8_3ELb0ES6_jNS0_17counting_iteratorIjlEEPS9_SE_NS0_5tupleIJPjSE_EEENSF_IJSE_SE_EEES9_SG_JZNS1_25segmented_radix_sort_implINS0_14default_configELb1EPKaPaPKlPlN2at6native12_GLOBAL__N_18offset_tEEE10hipError_tPvRmT1_PNSt15iterator_traitsISY_E10value_typeET2_T3_PNSZ_IS14_E10value_typeET4_jRbjT5_S1A_jjP12ihipStream_tbEUljE_EEESV_SW_SX_S14_S18_S1A_T6_T7_T9_mT8_S1C_bDpT10_ENKUlT_T0_E_clISt17integral_constantIbLb1EES1O_IbLb0EEEEDaS1K_S1L_EUlS1K_E_NS1_11comp_targetILNS1_3genE8ELNS1_11target_archE1030ELNS1_3gpuE2ELNS1_3repE0EEENS1_30default_config_static_selectorELNS0_4arch9wavefront6targetE0EEEvSY_
; %bb.0:
	.section	.rodata,"a",@progbits
	.p2align	6, 0x0
	.amdhsa_kernel _ZN7rocprim17ROCPRIM_400000_NS6detail17trampoline_kernelINS0_13select_configILj256ELj13ELNS0_17block_load_methodE3ELS4_3ELS4_3ELNS0_20block_scan_algorithmE0ELj4294967295EEENS1_25partition_config_selectorILNS1_17partition_subalgoE3EjNS0_10empty_typeEbEEZZNS1_14partition_implILS8_3ELb0ES6_jNS0_17counting_iteratorIjlEEPS9_SE_NS0_5tupleIJPjSE_EEENSF_IJSE_SE_EEES9_SG_JZNS1_25segmented_radix_sort_implINS0_14default_configELb1EPKaPaPKlPlN2at6native12_GLOBAL__N_18offset_tEEE10hipError_tPvRmT1_PNSt15iterator_traitsISY_E10value_typeET2_T3_PNSZ_IS14_E10value_typeET4_jRbjT5_S1A_jjP12ihipStream_tbEUljE_EEESV_SW_SX_S14_S18_S1A_T6_T7_T9_mT8_S1C_bDpT10_ENKUlT_T0_E_clISt17integral_constantIbLb1EES1O_IbLb0EEEEDaS1K_S1L_EUlS1K_E_NS1_11comp_targetILNS1_3genE8ELNS1_11target_archE1030ELNS1_3gpuE2ELNS1_3repE0EEENS1_30default_config_static_selectorELNS0_4arch9wavefront6targetE0EEEvSY_
		.amdhsa_group_segment_fixed_size 0
		.amdhsa_private_segment_fixed_size 0
		.amdhsa_kernarg_size 144
		.amdhsa_user_sgpr_count 2
		.amdhsa_user_sgpr_dispatch_ptr 0
		.amdhsa_user_sgpr_queue_ptr 0
		.amdhsa_user_sgpr_kernarg_segment_ptr 1
		.amdhsa_user_sgpr_dispatch_id 0
		.amdhsa_user_sgpr_kernarg_preload_length 0
		.amdhsa_user_sgpr_kernarg_preload_offset 0
		.amdhsa_user_sgpr_private_segment_size 0
		.amdhsa_wavefront_size32 1
		.amdhsa_uses_dynamic_stack 0
		.amdhsa_enable_private_segment 0
		.amdhsa_system_sgpr_workgroup_id_x 1
		.amdhsa_system_sgpr_workgroup_id_y 0
		.amdhsa_system_sgpr_workgroup_id_z 0
		.amdhsa_system_sgpr_workgroup_info 0
		.amdhsa_system_vgpr_workitem_id 0
		.amdhsa_next_free_vgpr 1
		.amdhsa_next_free_sgpr 1
		.amdhsa_named_barrier_count 0
		.amdhsa_reserve_vcc 0
		.amdhsa_float_round_mode_32 0
		.amdhsa_float_round_mode_16_64 0
		.amdhsa_float_denorm_mode_32 3
		.amdhsa_float_denorm_mode_16_64 3
		.amdhsa_fp16_overflow 0
		.amdhsa_memory_ordered 1
		.amdhsa_forward_progress 1
		.amdhsa_inst_pref_size 0
		.amdhsa_round_robin_scheduling 0
		.amdhsa_exception_fp_ieee_invalid_op 0
		.amdhsa_exception_fp_denorm_src 0
		.amdhsa_exception_fp_ieee_div_zero 0
		.amdhsa_exception_fp_ieee_overflow 0
		.amdhsa_exception_fp_ieee_underflow 0
		.amdhsa_exception_fp_ieee_inexact 0
		.amdhsa_exception_int_div_zero 0
	.end_amdhsa_kernel
	.section	.text._ZN7rocprim17ROCPRIM_400000_NS6detail17trampoline_kernelINS0_13select_configILj256ELj13ELNS0_17block_load_methodE3ELS4_3ELS4_3ELNS0_20block_scan_algorithmE0ELj4294967295EEENS1_25partition_config_selectorILNS1_17partition_subalgoE3EjNS0_10empty_typeEbEEZZNS1_14partition_implILS8_3ELb0ES6_jNS0_17counting_iteratorIjlEEPS9_SE_NS0_5tupleIJPjSE_EEENSF_IJSE_SE_EEES9_SG_JZNS1_25segmented_radix_sort_implINS0_14default_configELb1EPKaPaPKlPlN2at6native12_GLOBAL__N_18offset_tEEE10hipError_tPvRmT1_PNSt15iterator_traitsISY_E10value_typeET2_T3_PNSZ_IS14_E10value_typeET4_jRbjT5_S1A_jjP12ihipStream_tbEUljE_EEESV_SW_SX_S14_S18_S1A_T6_T7_T9_mT8_S1C_bDpT10_ENKUlT_T0_E_clISt17integral_constantIbLb1EES1O_IbLb0EEEEDaS1K_S1L_EUlS1K_E_NS1_11comp_targetILNS1_3genE8ELNS1_11target_archE1030ELNS1_3gpuE2ELNS1_3repE0EEENS1_30default_config_static_selectorELNS0_4arch9wavefront6targetE0EEEvSY_,"axG",@progbits,_ZN7rocprim17ROCPRIM_400000_NS6detail17trampoline_kernelINS0_13select_configILj256ELj13ELNS0_17block_load_methodE3ELS4_3ELS4_3ELNS0_20block_scan_algorithmE0ELj4294967295EEENS1_25partition_config_selectorILNS1_17partition_subalgoE3EjNS0_10empty_typeEbEEZZNS1_14partition_implILS8_3ELb0ES6_jNS0_17counting_iteratorIjlEEPS9_SE_NS0_5tupleIJPjSE_EEENSF_IJSE_SE_EEES9_SG_JZNS1_25segmented_radix_sort_implINS0_14default_configELb1EPKaPaPKlPlN2at6native12_GLOBAL__N_18offset_tEEE10hipError_tPvRmT1_PNSt15iterator_traitsISY_E10value_typeET2_T3_PNSZ_IS14_E10value_typeET4_jRbjT5_S1A_jjP12ihipStream_tbEUljE_EEESV_SW_SX_S14_S18_S1A_T6_T7_T9_mT8_S1C_bDpT10_ENKUlT_T0_E_clISt17integral_constantIbLb1EES1O_IbLb0EEEEDaS1K_S1L_EUlS1K_E_NS1_11comp_targetILNS1_3genE8ELNS1_11target_archE1030ELNS1_3gpuE2ELNS1_3repE0EEENS1_30default_config_static_selectorELNS0_4arch9wavefront6targetE0EEEvSY_,comdat
.Lfunc_end279:
	.size	_ZN7rocprim17ROCPRIM_400000_NS6detail17trampoline_kernelINS0_13select_configILj256ELj13ELNS0_17block_load_methodE3ELS4_3ELS4_3ELNS0_20block_scan_algorithmE0ELj4294967295EEENS1_25partition_config_selectorILNS1_17partition_subalgoE3EjNS0_10empty_typeEbEEZZNS1_14partition_implILS8_3ELb0ES6_jNS0_17counting_iteratorIjlEEPS9_SE_NS0_5tupleIJPjSE_EEENSF_IJSE_SE_EEES9_SG_JZNS1_25segmented_radix_sort_implINS0_14default_configELb1EPKaPaPKlPlN2at6native12_GLOBAL__N_18offset_tEEE10hipError_tPvRmT1_PNSt15iterator_traitsISY_E10value_typeET2_T3_PNSZ_IS14_E10value_typeET4_jRbjT5_S1A_jjP12ihipStream_tbEUljE_EEESV_SW_SX_S14_S18_S1A_T6_T7_T9_mT8_S1C_bDpT10_ENKUlT_T0_E_clISt17integral_constantIbLb1EES1O_IbLb0EEEEDaS1K_S1L_EUlS1K_E_NS1_11comp_targetILNS1_3genE8ELNS1_11target_archE1030ELNS1_3gpuE2ELNS1_3repE0EEENS1_30default_config_static_selectorELNS0_4arch9wavefront6targetE0EEEvSY_, .Lfunc_end279-_ZN7rocprim17ROCPRIM_400000_NS6detail17trampoline_kernelINS0_13select_configILj256ELj13ELNS0_17block_load_methodE3ELS4_3ELS4_3ELNS0_20block_scan_algorithmE0ELj4294967295EEENS1_25partition_config_selectorILNS1_17partition_subalgoE3EjNS0_10empty_typeEbEEZZNS1_14partition_implILS8_3ELb0ES6_jNS0_17counting_iteratorIjlEEPS9_SE_NS0_5tupleIJPjSE_EEENSF_IJSE_SE_EEES9_SG_JZNS1_25segmented_radix_sort_implINS0_14default_configELb1EPKaPaPKlPlN2at6native12_GLOBAL__N_18offset_tEEE10hipError_tPvRmT1_PNSt15iterator_traitsISY_E10value_typeET2_T3_PNSZ_IS14_E10value_typeET4_jRbjT5_S1A_jjP12ihipStream_tbEUljE_EEESV_SW_SX_S14_S18_S1A_T6_T7_T9_mT8_S1C_bDpT10_ENKUlT_T0_E_clISt17integral_constantIbLb1EES1O_IbLb0EEEEDaS1K_S1L_EUlS1K_E_NS1_11comp_targetILNS1_3genE8ELNS1_11target_archE1030ELNS1_3gpuE2ELNS1_3repE0EEENS1_30default_config_static_selectorELNS0_4arch9wavefront6targetE0EEEvSY_
                                        ; -- End function
	.set _ZN7rocprim17ROCPRIM_400000_NS6detail17trampoline_kernelINS0_13select_configILj256ELj13ELNS0_17block_load_methodE3ELS4_3ELS4_3ELNS0_20block_scan_algorithmE0ELj4294967295EEENS1_25partition_config_selectorILNS1_17partition_subalgoE3EjNS0_10empty_typeEbEEZZNS1_14partition_implILS8_3ELb0ES6_jNS0_17counting_iteratorIjlEEPS9_SE_NS0_5tupleIJPjSE_EEENSF_IJSE_SE_EEES9_SG_JZNS1_25segmented_radix_sort_implINS0_14default_configELb1EPKaPaPKlPlN2at6native12_GLOBAL__N_18offset_tEEE10hipError_tPvRmT1_PNSt15iterator_traitsISY_E10value_typeET2_T3_PNSZ_IS14_E10value_typeET4_jRbjT5_S1A_jjP12ihipStream_tbEUljE_EEESV_SW_SX_S14_S18_S1A_T6_T7_T9_mT8_S1C_bDpT10_ENKUlT_T0_E_clISt17integral_constantIbLb1EES1O_IbLb0EEEEDaS1K_S1L_EUlS1K_E_NS1_11comp_targetILNS1_3genE8ELNS1_11target_archE1030ELNS1_3gpuE2ELNS1_3repE0EEENS1_30default_config_static_selectorELNS0_4arch9wavefront6targetE0EEEvSY_.num_vgpr, 0
	.set _ZN7rocprim17ROCPRIM_400000_NS6detail17trampoline_kernelINS0_13select_configILj256ELj13ELNS0_17block_load_methodE3ELS4_3ELS4_3ELNS0_20block_scan_algorithmE0ELj4294967295EEENS1_25partition_config_selectorILNS1_17partition_subalgoE3EjNS0_10empty_typeEbEEZZNS1_14partition_implILS8_3ELb0ES6_jNS0_17counting_iteratorIjlEEPS9_SE_NS0_5tupleIJPjSE_EEENSF_IJSE_SE_EEES9_SG_JZNS1_25segmented_radix_sort_implINS0_14default_configELb1EPKaPaPKlPlN2at6native12_GLOBAL__N_18offset_tEEE10hipError_tPvRmT1_PNSt15iterator_traitsISY_E10value_typeET2_T3_PNSZ_IS14_E10value_typeET4_jRbjT5_S1A_jjP12ihipStream_tbEUljE_EEESV_SW_SX_S14_S18_S1A_T6_T7_T9_mT8_S1C_bDpT10_ENKUlT_T0_E_clISt17integral_constantIbLb1EES1O_IbLb0EEEEDaS1K_S1L_EUlS1K_E_NS1_11comp_targetILNS1_3genE8ELNS1_11target_archE1030ELNS1_3gpuE2ELNS1_3repE0EEENS1_30default_config_static_selectorELNS0_4arch9wavefront6targetE0EEEvSY_.num_agpr, 0
	.set _ZN7rocprim17ROCPRIM_400000_NS6detail17trampoline_kernelINS0_13select_configILj256ELj13ELNS0_17block_load_methodE3ELS4_3ELS4_3ELNS0_20block_scan_algorithmE0ELj4294967295EEENS1_25partition_config_selectorILNS1_17partition_subalgoE3EjNS0_10empty_typeEbEEZZNS1_14partition_implILS8_3ELb0ES6_jNS0_17counting_iteratorIjlEEPS9_SE_NS0_5tupleIJPjSE_EEENSF_IJSE_SE_EEES9_SG_JZNS1_25segmented_radix_sort_implINS0_14default_configELb1EPKaPaPKlPlN2at6native12_GLOBAL__N_18offset_tEEE10hipError_tPvRmT1_PNSt15iterator_traitsISY_E10value_typeET2_T3_PNSZ_IS14_E10value_typeET4_jRbjT5_S1A_jjP12ihipStream_tbEUljE_EEESV_SW_SX_S14_S18_S1A_T6_T7_T9_mT8_S1C_bDpT10_ENKUlT_T0_E_clISt17integral_constantIbLb1EES1O_IbLb0EEEEDaS1K_S1L_EUlS1K_E_NS1_11comp_targetILNS1_3genE8ELNS1_11target_archE1030ELNS1_3gpuE2ELNS1_3repE0EEENS1_30default_config_static_selectorELNS0_4arch9wavefront6targetE0EEEvSY_.numbered_sgpr, 0
	.set _ZN7rocprim17ROCPRIM_400000_NS6detail17trampoline_kernelINS0_13select_configILj256ELj13ELNS0_17block_load_methodE3ELS4_3ELS4_3ELNS0_20block_scan_algorithmE0ELj4294967295EEENS1_25partition_config_selectorILNS1_17partition_subalgoE3EjNS0_10empty_typeEbEEZZNS1_14partition_implILS8_3ELb0ES6_jNS0_17counting_iteratorIjlEEPS9_SE_NS0_5tupleIJPjSE_EEENSF_IJSE_SE_EEES9_SG_JZNS1_25segmented_radix_sort_implINS0_14default_configELb1EPKaPaPKlPlN2at6native12_GLOBAL__N_18offset_tEEE10hipError_tPvRmT1_PNSt15iterator_traitsISY_E10value_typeET2_T3_PNSZ_IS14_E10value_typeET4_jRbjT5_S1A_jjP12ihipStream_tbEUljE_EEESV_SW_SX_S14_S18_S1A_T6_T7_T9_mT8_S1C_bDpT10_ENKUlT_T0_E_clISt17integral_constantIbLb1EES1O_IbLb0EEEEDaS1K_S1L_EUlS1K_E_NS1_11comp_targetILNS1_3genE8ELNS1_11target_archE1030ELNS1_3gpuE2ELNS1_3repE0EEENS1_30default_config_static_selectorELNS0_4arch9wavefront6targetE0EEEvSY_.num_named_barrier, 0
	.set _ZN7rocprim17ROCPRIM_400000_NS6detail17trampoline_kernelINS0_13select_configILj256ELj13ELNS0_17block_load_methodE3ELS4_3ELS4_3ELNS0_20block_scan_algorithmE0ELj4294967295EEENS1_25partition_config_selectorILNS1_17partition_subalgoE3EjNS0_10empty_typeEbEEZZNS1_14partition_implILS8_3ELb0ES6_jNS0_17counting_iteratorIjlEEPS9_SE_NS0_5tupleIJPjSE_EEENSF_IJSE_SE_EEES9_SG_JZNS1_25segmented_radix_sort_implINS0_14default_configELb1EPKaPaPKlPlN2at6native12_GLOBAL__N_18offset_tEEE10hipError_tPvRmT1_PNSt15iterator_traitsISY_E10value_typeET2_T3_PNSZ_IS14_E10value_typeET4_jRbjT5_S1A_jjP12ihipStream_tbEUljE_EEESV_SW_SX_S14_S18_S1A_T6_T7_T9_mT8_S1C_bDpT10_ENKUlT_T0_E_clISt17integral_constantIbLb1EES1O_IbLb0EEEEDaS1K_S1L_EUlS1K_E_NS1_11comp_targetILNS1_3genE8ELNS1_11target_archE1030ELNS1_3gpuE2ELNS1_3repE0EEENS1_30default_config_static_selectorELNS0_4arch9wavefront6targetE0EEEvSY_.private_seg_size, 0
	.set _ZN7rocprim17ROCPRIM_400000_NS6detail17trampoline_kernelINS0_13select_configILj256ELj13ELNS0_17block_load_methodE3ELS4_3ELS4_3ELNS0_20block_scan_algorithmE0ELj4294967295EEENS1_25partition_config_selectorILNS1_17partition_subalgoE3EjNS0_10empty_typeEbEEZZNS1_14partition_implILS8_3ELb0ES6_jNS0_17counting_iteratorIjlEEPS9_SE_NS0_5tupleIJPjSE_EEENSF_IJSE_SE_EEES9_SG_JZNS1_25segmented_radix_sort_implINS0_14default_configELb1EPKaPaPKlPlN2at6native12_GLOBAL__N_18offset_tEEE10hipError_tPvRmT1_PNSt15iterator_traitsISY_E10value_typeET2_T3_PNSZ_IS14_E10value_typeET4_jRbjT5_S1A_jjP12ihipStream_tbEUljE_EEESV_SW_SX_S14_S18_S1A_T6_T7_T9_mT8_S1C_bDpT10_ENKUlT_T0_E_clISt17integral_constantIbLb1EES1O_IbLb0EEEEDaS1K_S1L_EUlS1K_E_NS1_11comp_targetILNS1_3genE8ELNS1_11target_archE1030ELNS1_3gpuE2ELNS1_3repE0EEENS1_30default_config_static_selectorELNS0_4arch9wavefront6targetE0EEEvSY_.uses_vcc, 0
	.set _ZN7rocprim17ROCPRIM_400000_NS6detail17trampoline_kernelINS0_13select_configILj256ELj13ELNS0_17block_load_methodE3ELS4_3ELS4_3ELNS0_20block_scan_algorithmE0ELj4294967295EEENS1_25partition_config_selectorILNS1_17partition_subalgoE3EjNS0_10empty_typeEbEEZZNS1_14partition_implILS8_3ELb0ES6_jNS0_17counting_iteratorIjlEEPS9_SE_NS0_5tupleIJPjSE_EEENSF_IJSE_SE_EEES9_SG_JZNS1_25segmented_radix_sort_implINS0_14default_configELb1EPKaPaPKlPlN2at6native12_GLOBAL__N_18offset_tEEE10hipError_tPvRmT1_PNSt15iterator_traitsISY_E10value_typeET2_T3_PNSZ_IS14_E10value_typeET4_jRbjT5_S1A_jjP12ihipStream_tbEUljE_EEESV_SW_SX_S14_S18_S1A_T6_T7_T9_mT8_S1C_bDpT10_ENKUlT_T0_E_clISt17integral_constantIbLb1EES1O_IbLb0EEEEDaS1K_S1L_EUlS1K_E_NS1_11comp_targetILNS1_3genE8ELNS1_11target_archE1030ELNS1_3gpuE2ELNS1_3repE0EEENS1_30default_config_static_selectorELNS0_4arch9wavefront6targetE0EEEvSY_.uses_flat_scratch, 0
	.set _ZN7rocprim17ROCPRIM_400000_NS6detail17trampoline_kernelINS0_13select_configILj256ELj13ELNS0_17block_load_methodE3ELS4_3ELS4_3ELNS0_20block_scan_algorithmE0ELj4294967295EEENS1_25partition_config_selectorILNS1_17partition_subalgoE3EjNS0_10empty_typeEbEEZZNS1_14partition_implILS8_3ELb0ES6_jNS0_17counting_iteratorIjlEEPS9_SE_NS0_5tupleIJPjSE_EEENSF_IJSE_SE_EEES9_SG_JZNS1_25segmented_radix_sort_implINS0_14default_configELb1EPKaPaPKlPlN2at6native12_GLOBAL__N_18offset_tEEE10hipError_tPvRmT1_PNSt15iterator_traitsISY_E10value_typeET2_T3_PNSZ_IS14_E10value_typeET4_jRbjT5_S1A_jjP12ihipStream_tbEUljE_EEESV_SW_SX_S14_S18_S1A_T6_T7_T9_mT8_S1C_bDpT10_ENKUlT_T0_E_clISt17integral_constantIbLb1EES1O_IbLb0EEEEDaS1K_S1L_EUlS1K_E_NS1_11comp_targetILNS1_3genE8ELNS1_11target_archE1030ELNS1_3gpuE2ELNS1_3repE0EEENS1_30default_config_static_selectorELNS0_4arch9wavefront6targetE0EEEvSY_.has_dyn_sized_stack, 0
	.set _ZN7rocprim17ROCPRIM_400000_NS6detail17trampoline_kernelINS0_13select_configILj256ELj13ELNS0_17block_load_methodE3ELS4_3ELS4_3ELNS0_20block_scan_algorithmE0ELj4294967295EEENS1_25partition_config_selectorILNS1_17partition_subalgoE3EjNS0_10empty_typeEbEEZZNS1_14partition_implILS8_3ELb0ES6_jNS0_17counting_iteratorIjlEEPS9_SE_NS0_5tupleIJPjSE_EEENSF_IJSE_SE_EEES9_SG_JZNS1_25segmented_radix_sort_implINS0_14default_configELb1EPKaPaPKlPlN2at6native12_GLOBAL__N_18offset_tEEE10hipError_tPvRmT1_PNSt15iterator_traitsISY_E10value_typeET2_T3_PNSZ_IS14_E10value_typeET4_jRbjT5_S1A_jjP12ihipStream_tbEUljE_EEESV_SW_SX_S14_S18_S1A_T6_T7_T9_mT8_S1C_bDpT10_ENKUlT_T0_E_clISt17integral_constantIbLb1EES1O_IbLb0EEEEDaS1K_S1L_EUlS1K_E_NS1_11comp_targetILNS1_3genE8ELNS1_11target_archE1030ELNS1_3gpuE2ELNS1_3repE0EEENS1_30default_config_static_selectorELNS0_4arch9wavefront6targetE0EEEvSY_.has_recursion, 0
	.set _ZN7rocprim17ROCPRIM_400000_NS6detail17trampoline_kernelINS0_13select_configILj256ELj13ELNS0_17block_load_methodE3ELS4_3ELS4_3ELNS0_20block_scan_algorithmE0ELj4294967295EEENS1_25partition_config_selectorILNS1_17partition_subalgoE3EjNS0_10empty_typeEbEEZZNS1_14partition_implILS8_3ELb0ES6_jNS0_17counting_iteratorIjlEEPS9_SE_NS0_5tupleIJPjSE_EEENSF_IJSE_SE_EEES9_SG_JZNS1_25segmented_radix_sort_implINS0_14default_configELb1EPKaPaPKlPlN2at6native12_GLOBAL__N_18offset_tEEE10hipError_tPvRmT1_PNSt15iterator_traitsISY_E10value_typeET2_T3_PNSZ_IS14_E10value_typeET4_jRbjT5_S1A_jjP12ihipStream_tbEUljE_EEESV_SW_SX_S14_S18_S1A_T6_T7_T9_mT8_S1C_bDpT10_ENKUlT_T0_E_clISt17integral_constantIbLb1EES1O_IbLb0EEEEDaS1K_S1L_EUlS1K_E_NS1_11comp_targetILNS1_3genE8ELNS1_11target_archE1030ELNS1_3gpuE2ELNS1_3repE0EEENS1_30default_config_static_selectorELNS0_4arch9wavefront6targetE0EEEvSY_.has_indirect_call, 0
	.section	.AMDGPU.csdata,"",@progbits
; Kernel info:
; codeLenInByte = 0
; TotalNumSgprs: 0
; NumVgprs: 0
; ScratchSize: 0
; MemoryBound: 0
; FloatMode: 240
; IeeeMode: 1
; LDSByteSize: 0 bytes/workgroup (compile time only)
; SGPRBlocks: 0
; VGPRBlocks: 0
; NumSGPRsForWavesPerEU: 1
; NumVGPRsForWavesPerEU: 1
; NamedBarCnt: 0
; Occupancy: 16
; WaveLimiterHint : 0
; COMPUTE_PGM_RSRC2:SCRATCH_EN: 0
; COMPUTE_PGM_RSRC2:USER_SGPR: 2
; COMPUTE_PGM_RSRC2:TRAP_HANDLER: 0
; COMPUTE_PGM_RSRC2:TGID_X_EN: 1
; COMPUTE_PGM_RSRC2:TGID_Y_EN: 0
; COMPUTE_PGM_RSRC2:TGID_Z_EN: 0
; COMPUTE_PGM_RSRC2:TIDIG_COMP_CNT: 0
	.section	.text._ZN7rocprim17ROCPRIM_400000_NS6detail17trampoline_kernelINS0_13select_configILj256ELj13ELNS0_17block_load_methodE3ELS4_3ELS4_3ELNS0_20block_scan_algorithmE0ELj4294967295EEENS1_25partition_config_selectorILNS1_17partition_subalgoE3EjNS0_10empty_typeEbEEZZNS1_14partition_implILS8_3ELb0ES6_jNS0_17counting_iteratorIjlEEPS9_SE_NS0_5tupleIJPjSE_EEENSF_IJSE_SE_EEES9_SG_JZNS1_25segmented_radix_sort_implINS0_14default_configELb1EPKaPaPKlPlN2at6native12_GLOBAL__N_18offset_tEEE10hipError_tPvRmT1_PNSt15iterator_traitsISY_E10value_typeET2_T3_PNSZ_IS14_E10value_typeET4_jRbjT5_S1A_jjP12ihipStream_tbEUljE_EEESV_SW_SX_S14_S18_S1A_T6_T7_T9_mT8_S1C_bDpT10_ENKUlT_T0_E_clISt17integral_constantIbLb0EES1O_IbLb1EEEEDaS1K_S1L_EUlS1K_E_NS1_11comp_targetILNS1_3genE0ELNS1_11target_archE4294967295ELNS1_3gpuE0ELNS1_3repE0EEENS1_30default_config_static_selectorELNS0_4arch9wavefront6targetE0EEEvSY_,"axG",@progbits,_ZN7rocprim17ROCPRIM_400000_NS6detail17trampoline_kernelINS0_13select_configILj256ELj13ELNS0_17block_load_methodE3ELS4_3ELS4_3ELNS0_20block_scan_algorithmE0ELj4294967295EEENS1_25partition_config_selectorILNS1_17partition_subalgoE3EjNS0_10empty_typeEbEEZZNS1_14partition_implILS8_3ELb0ES6_jNS0_17counting_iteratorIjlEEPS9_SE_NS0_5tupleIJPjSE_EEENSF_IJSE_SE_EEES9_SG_JZNS1_25segmented_radix_sort_implINS0_14default_configELb1EPKaPaPKlPlN2at6native12_GLOBAL__N_18offset_tEEE10hipError_tPvRmT1_PNSt15iterator_traitsISY_E10value_typeET2_T3_PNSZ_IS14_E10value_typeET4_jRbjT5_S1A_jjP12ihipStream_tbEUljE_EEESV_SW_SX_S14_S18_S1A_T6_T7_T9_mT8_S1C_bDpT10_ENKUlT_T0_E_clISt17integral_constantIbLb0EES1O_IbLb1EEEEDaS1K_S1L_EUlS1K_E_NS1_11comp_targetILNS1_3genE0ELNS1_11target_archE4294967295ELNS1_3gpuE0ELNS1_3repE0EEENS1_30default_config_static_selectorELNS0_4arch9wavefront6targetE0EEEvSY_,comdat
	.globl	_ZN7rocprim17ROCPRIM_400000_NS6detail17trampoline_kernelINS0_13select_configILj256ELj13ELNS0_17block_load_methodE3ELS4_3ELS4_3ELNS0_20block_scan_algorithmE0ELj4294967295EEENS1_25partition_config_selectorILNS1_17partition_subalgoE3EjNS0_10empty_typeEbEEZZNS1_14partition_implILS8_3ELb0ES6_jNS0_17counting_iteratorIjlEEPS9_SE_NS0_5tupleIJPjSE_EEENSF_IJSE_SE_EEES9_SG_JZNS1_25segmented_radix_sort_implINS0_14default_configELb1EPKaPaPKlPlN2at6native12_GLOBAL__N_18offset_tEEE10hipError_tPvRmT1_PNSt15iterator_traitsISY_E10value_typeET2_T3_PNSZ_IS14_E10value_typeET4_jRbjT5_S1A_jjP12ihipStream_tbEUljE_EEESV_SW_SX_S14_S18_S1A_T6_T7_T9_mT8_S1C_bDpT10_ENKUlT_T0_E_clISt17integral_constantIbLb0EES1O_IbLb1EEEEDaS1K_S1L_EUlS1K_E_NS1_11comp_targetILNS1_3genE0ELNS1_11target_archE4294967295ELNS1_3gpuE0ELNS1_3repE0EEENS1_30default_config_static_selectorELNS0_4arch9wavefront6targetE0EEEvSY_ ; -- Begin function _ZN7rocprim17ROCPRIM_400000_NS6detail17trampoline_kernelINS0_13select_configILj256ELj13ELNS0_17block_load_methodE3ELS4_3ELS4_3ELNS0_20block_scan_algorithmE0ELj4294967295EEENS1_25partition_config_selectorILNS1_17partition_subalgoE3EjNS0_10empty_typeEbEEZZNS1_14partition_implILS8_3ELb0ES6_jNS0_17counting_iteratorIjlEEPS9_SE_NS0_5tupleIJPjSE_EEENSF_IJSE_SE_EEES9_SG_JZNS1_25segmented_radix_sort_implINS0_14default_configELb1EPKaPaPKlPlN2at6native12_GLOBAL__N_18offset_tEEE10hipError_tPvRmT1_PNSt15iterator_traitsISY_E10value_typeET2_T3_PNSZ_IS14_E10value_typeET4_jRbjT5_S1A_jjP12ihipStream_tbEUljE_EEESV_SW_SX_S14_S18_S1A_T6_T7_T9_mT8_S1C_bDpT10_ENKUlT_T0_E_clISt17integral_constantIbLb0EES1O_IbLb1EEEEDaS1K_S1L_EUlS1K_E_NS1_11comp_targetILNS1_3genE0ELNS1_11target_archE4294967295ELNS1_3gpuE0ELNS1_3repE0EEENS1_30default_config_static_selectorELNS0_4arch9wavefront6targetE0EEEvSY_
	.p2align	8
	.type	_ZN7rocprim17ROCPRIM_400000_NS6detail17trampoline_kernelINS0_13select_configILj256ELj13ELNS0_17block_load_methodE3ELS4_3ELS4_3ELNS0_20block_scan_algorithmE0ELj4294967295EEENS1_25partition_config_selectorILNS1_17partition_subalgoE3EjNS0_10empty_typeEbEEZZNS1_14partition_implILS8_3ELb0ES6_jNS0_17counting_iteratorIjlEEPS9_SE_NS0_5tupleIJPjSE_EEENSF_IJSE_SE_EEES9_SG_JZNS1_25segmented_radix_sort_implINS0_14default_configELb1EPKaPaPKlPlN2at6native12_GLOBAL__N_18offset_tEEE10hipError_tPvRmT1_PNSt15iterator_traitsISY_E10value_typeET2_T3_PNSZ_IS14_E10value_typeET4_jRbjT5_S1A_jjP12ihipStream_tbEUljE_EEESV_SW_SX_S14_S18_S1A_T6_T7_T9_mT8_S1C_bDpT10_ENKUlT_T0_E_clISt17integral_constantIbLb0EES1O_IbLb1EEEEDaS1K_S1L_EUlS1K_E_NS1_11comp_targetILNS1_3genE0ELNS1_11target_archE4294967295ELNS1_3gpuE0ELNS1_3repE0EEENS1_30default_config_static_selectorELNS0_4arch9wavefront6targetE0EEEvSY_,@function
_ZN7rocprim17ROCPRIM_400000_NS6detail17trampoline_kernelINS0_13select_configILj256ELj13ELNS0_17block_load_methodE3ELS4_3ELS4_3ELNS0_20block_scan_algorithmE0ELj4294967295EEENS1_25partition_config_selectorILNS1_17partition_subalgoE3EjNS0_10empty_typeEbEEZZNS1_14partition_implILS8_3ELb0ES6_jNS0_17counting_iteratorIjlEEPS9_SE_NS0_5tupleIJPjSE_EEENSF_IJSE_SE_EEES9_SG_JZNS1_25segmented_radix_sort_implINS0_14default_configELb1EPKaPaPKlPlN2at6native12_GLOBAL__N_18offset_tEEE10hipError_tPvRmT1_PNSt15iterator_traitsISY_E10value_typeET2_T3_PNSZ_IS14_E10value_typeET4_jRbjT5_S1A_jjP12ihipStream_tbEUljE_EEESV_SW_SX_S14_S18_S1A_T6_T7_T9_mT8_S1C_bDpT10_ENKUlT_T0_E_clISt17integral_constantIbLb0EES1O_IbLb1EEEEDaS1K_S1L_EUlS1K_E_NS1_11comp_targetILNS1_3genE0ELNS1_11target_archE4294967295ELNS1_3gpuE0ELNS1_3repE0EEENS1_30default_config_static_selectorELNS0_4arch9wavefront6targetE0EEEvSY_: ; @_ZN7rocprim17ROCPRIM_400000_NS6detail17trampoline_kernelINS0_13select_configILj256ELj13ELNS0_17block_load_methodE3ELS4_3ELS4_3ELNS0_20block_scan_algorithmE0ELj4294967295EEENS1_25partition_config_selectorILNS1_17partition_subalgoE3EjNS0_10empty_typeEbEEZZNS1_14partition_implILS8_3ELb0ES6_jNS0_17counting_iteratorIjlEEPS9_SE_NS0_5tupleIJPjSE_EEENSF_IJSE_SE_EEES9_SG_JZNS1_25segmented_radix_sort_implINS0_14default_configELb1EPKaPaPKlPlN2at6native12_GLOBAL__N_18offset_tEEE10hipError_tPvRmT1_PNSt15iterator_traitsISY_E10value_typeET2_T3_PNSZ_IS14_E10value_typeET4_jRbjT5_S1A_jjP12ihipStream_tbEUljE_EEESV_SW_SX_S14_S18_S1A_T6_T7_T9_mT8_S1C_bDpT10_ENKUlT_T0_E_clISt17integral_constantIbLb0EES1O_IbLb1EEEEDaS1K_S1L_EUlS1K_E_NS1_11comp_targetILNS1_3genE0ELNS1_11target_archE4294967295ELNS1_3gpuE0ELNS1_3repE0EEENS1_30default_config_static_selectorELNS0_4arch9wavefront6targetE0EEEvSY_
; %bb.0:
	s_clause 0x5
	s_load_b64 s[16:17], s[0:1], 0x10
	s_load_b128 s[12:15], s[0:1], 0x48
	s_load_b64 s[18:19], s[0:1], 0x58
	s_load_b64 s[20:21], s[0:1], 0x68
	s_load_b32 s3, s[0:1], 0x90
	s_load_b128 s[4:7], s[0:1], 0x80
	v_cmp_eq_u32_e64 s2, 0, v0
	s_and_saveexec_b32 s8, s2
	s_cbranch_execz .LBB280_4
; %bb.1:
	s_mov_b32 s10, exec_lo
	s_mov_b32 s9, exec_lo
	v_mbcnt_lo_u32_b32 v1, s10, 0
                                        ; implicit-def: $vgpr2
	s_delay_alu instid0(VALU_DEP_1)
	v_cmpx_eq_u32_e32 0, v1
	s_cbranch_execz .LBB280_3
; %bb.2:
	s_load_b64 s[22:23], s[0:1], 0x78
	s_bcnt1_i32_b32 s10, s10
	s_delay_alu instid0(SALU_CYCLE_1)
	v_dual_mov_b32 v2, 0 :: v_dual_mov_b32 v3, s10
	s_wait_xcnt 0x0
	s_wait_kmcnt 0x0
	global_atomic_add_u32 v2, v2, v3, s[22:23] th:TH_ATOMIC_RETURN scope:SCOPE_DEV
.LBB280_3:
	s_wait_xcnt 0x0
	s_or_b32 exec_lo, exec_lo, s9
	s_wait_loadcnt 0x0
	v_readfirstlane_b32 s9, v2
	s_delay_alu instid0(VALU_DEP_1)
	v_dual_mov_b32 v2, 0 :: v_dual_add_nc_u32 v1, s9, v1
	ds_store_b32 v2, v1
.LBB280_4:
	s_or_b32 exec_lo, exec_lo, s8
	v_dual_mov_b32 v1, 0 :: v_dual_lshlrev_b32 v19, 2, v0
	s_clause 0x2
	s_load_b32 s8, s[0:1], 0x8
	s_load_b64 s[10:11], s[0:1], 0x28
	s_load_b32 s9, s[0:1], 0x70
	s_wait_dscnt 0x0
	s_barrier_signal -1
	s_barrier_wait -1
	ds_load_b32 v4, v1
	s_wait_dscnt 0x0
	s_barrier_signal -1
	s_barrier_wait -1
	s_wait_kmcnt 0x0
	global_load_b64 v[42:43], v1, s[14:15]
	s_mov_b32 s1, 0
	s_add_co_i32 s8, s8, s16
	s_mul_i32 s0, s9, 0xd00
	s_add_co_i32 s9, s9, -1
	s_wait_xcnt 0x0
	s_add_nc_u64 s[14:15], s[16:17], s[0:1]
	s_add_co_i32 s0, s0, s16
	v_cmp_gt_u64_e64 s1, s[18:19], s[14:15]
	v_readfirstlane_b32 s23, v4
	s_sub_co_i32 s22, s18, s0
	v_cmp_ne_u32_e32 vcc_lo, s9, v4
	s_addk_co_i32 s22, 0xd00
	s_mov_b32 s15, -1
	s_cmp_eq_u32 s23, s9
	s_mul_i32 s14, s23, 0xd00
	s_cselect_b32 s9, -1, 0
	s_or_b32 s1, s1, vcc_lo
	s_delay_alu instid0(SALU_CYCLE_1)
	s_and_b32 vcc_lo, exec_lo, s1
	s_cbranch_vccz .LBB280_6
; %bb.5:
	v_add3_u32 v1, s14, s8, v0
	s_mov_b32 s15, 0
	s_delay_alu instid0(VALU_DEP_1)
	v_add_nc_u32_e32 v2, 0x100, v1
	v_add_nc_u32_e32 v3, 0x200, v1
	;; [unrolled: 1-line block ×12, first 2 shown]
	ds_store_2addr_stride64_b32 v19, v1, v2 offset1:4
	ds_store_2addr_stride64_b32 v19, v3, v5 offset0:8 offset1:12
	ds_store_2addr_stride64_b32 v19, v6, v7 offset0:16 offset1:20
	;; [unrolled: 1-line block ×5, first 2 shown]
	ds_store_b32 v19, v14 offset:12288
	s_wait_loadcnt_dscnt 0x0
	s_barrier_signal -1
	s_barrier_wait -1
.LBB280_6:
	v_cmp_gt_u32_e64 s0, s22, v0
	v_or_b32_e32 v40, 0x100, v0
	v_or_b32_e32 v38, 0x200, v0
	;; [unrolled: 1-line block ×12, first 2 shown]
	s_and_not1_b32 vcc_lo, exec_lo, s15
	s_cbranch_vccnz .LBB280_8
; %bb.7:
	s_add_co_i32 s8, s14, s8
	v_cmp_gt_u32_e32 vcc_lo, s22, v40
	v_dual_add_nc_u32 v1, s8, v0 :: v_dual_add_nc_u32 v3, s8, v38
	v_dual_add_nc_u32 v2, s8, v40 :: v_dual_add_nc_u32 v8, s8, v30
	s_delay_alu instid0(VALU_DEP_2) | instskip(NEXT) | instid1(VALU_DEP_2)
	v_dual_add_nc_u32 v9, s8, v28 :: v_dual_cndmask_b32 v1, 0, v1, s0
	v_dual_cndmask_b32 v2, 0, v2 :: v_dual_add_nc_u32 v5, s8, v36
	v_cmp_gt_u32_e32 vcc_lo, s22, v38
	v_dual_add_nc_u32 v12, s8, v22 :: v_dual_add_nc_u32 v13, s8, v20
	v_dual_add_nc_u32 v6, s8, v34 :: v_dual_add_nc_u32 v7, s8, v32
	v_cndmask_b32_e32 v3, 0, v3, vcc_lo
	v_cmp_gt_u32_e32 vcc_lo, s22, v36
	v_dual_add_nc_u32 v10, s8, v26 :: v_dual_add_nc_u32 v11, s8, v24
	v_cndmask_b32_e32 v5, 0, v5, vcc_lo
	v_cmp_gt_u32_e32 vcc_lo, s22, v34
	v_cndmask_b32_e32 v6, 0, v6, vcc_lo
	v_cmp_gt_u32_e32 vcc_lo, s22, v32
	;; [unrolled: 2-line block ×7, first 2 shown]
	v_dual_add_nc_u32 v14, s8, v18 :: v_dual_cndmask_b32 v12, 0, v12, vcc_lo
	v_cmp_gt_u32_e32 vcc_lo, s22, v20
	v_cndmask_b32_e32 v13, 0, v13, vcc_lo
	v_cmp_gt_u32_e32 vcc_lo, s22, v18
	s_delay_alu instid0(VALU_DEP_4)
	v_cndmask_b32_e32 v14, 0, v14, vcc_lo
	ds_store_2addr_stride64_b32 v19, v1, v2 offset1:4
	ds_store_2addr_stride64_b32 v19, v3, v5 offset0:8 offset1:12
	ds_store_2addr_stride64_b32 v19, v6, v7 offset0:16 offset1:20
	;; [unrolled: 1-line block ×5, first 2 shown]
	ds_store_b32 v19, v14 offset:12288
	s_wait_loadcnt_dscnt 0x0
	s_barrier_signal -1
	s_barrier_wait -1
.LBB280_8:
	v_mul_u32_u24_e32 v23, 13, v0
	s_wait_loadcnt 0x0
	v_cndmask_b32_e64 v21, 0, 1, s1
	s_and_not1_b32 vcc_lo, exec_lo, s1
	s_delay_alu instid0(VALU_DEP_2)
	v_lshlrev_b32_e32 v2, 2, v23
	ds_load_2addr_b32 v[52:53], v2 offset0:2 offset1:3
	ds_load_2addr_b32 v[48:49], v2 offset0:6 offset1:7
	;; [unrolled: 1-line block ×3, first 2 shown]
	ds_load_2addr_b32 v[54:55], v2 offset1:1
	ds_load_2addr_b32 v[44:45], v2 offset0:10 offset1:11
	ds_load_b32 v1, v2 offset:48
	ds_load_2addr_b32 v[46:47], v2 offset0:8 offset1:9
	s_wait_dscnt 0x0
	s_barrier_signal -1
	s_barrier_wait -1
	s_cbranch_vccnz .LBB280_10
; %bb.9:
	v_dual_add_nc_u32 v2, s5, v53 :: v_dual_add_nc_u32 v3, s5, v55
	v_dual_add_nc_u32 v5, s5, v54 :: v_dual_add_nc_u32 v6, s5, v52
	;; [unrolled: 1-line block ×4, first 2 shown]
	s_delay_alu instid0(VALU_DEP_3) | instskip(NEXT) | instid1(VALU_DEP_4)
	v_mul_lo_u32 v6, v6, s4
	v_mul_lo_u32 v5, v5, s4
	;; [unrolled: 1-line block ×8, first 2 shown]
	v_dual_add_nc_u32 v11, s5, v50 :: v_dual_add_nc_u32 v12, s7, v50
	v_dual_add_nc_u32 v13, s5, v48 :: v_dual_add_nc_u32 v15, s7, v45
	v_add_nc_u32_e32 v16, s5, v44
	s_delay_alu instid0(VALU_DEP_3) | instskip(NEXT) | instid1(VALU_DEP_4)
	v_mul_lo_u32 v11, v11, s4
	v_mul_lo_u32 v12, v12, s6
	v_dual_sub_nc_u32 v2, v2, v7 :: v_dual_sub_nc_u32 v3, v3, v8
	v_dual_sub_nc_u32 v5, v5, v9 :: v_dual_sub_nc_u32 v6, v6, v10
	v_dual_add_nc_u32 v7, s5, v51 :: v_dual_add_nc_u32 v8, s7, v51
	v_dual_add_nc_u32 v9, s5, v49 :: v_dual_add_nc_u32 v10, s7, v49
	s_delay_alu instid0(VALU_DEP_4) | instskip(NEXT) | instid1(VALU_DEP_3)
	v_cmp_lt_u32_e32 vcc_lo, s3, v2
	v_mul_lo_u32 v7, v7, s4
	s_delay_alu instid0(VALU_DEP_4) | instskip(NEXT) | instid1(VALU_DEP_4)
	v_mul_lo_u32 v8, v8, s6
	v_mul_lo_u32 v9, v9, s4
	;; [unrolled: 1-line block ×3, first 2 shown]
	v_cndmask_b32_e64 v2, 0, 1, vcc_lo
	v_cmp_lt_u32_e32 vcc_lo, s3, v3
	v_dual_add_nc_u32 v17, s7, v47 :: v_dual_add_nc_u32 v25, s7, v46
	v_mul_lo_u32 v15, v15, s6
	v_add_nc_u32_e32 v14, s5, v46
	v_cndmask_b32_e64 v3, 0, 1, vcc_lo
	s_delay_alu instid0(VALU_DEP_4) | instskip(SKIP_4) | instid1(VALU_DEP_3)
	v_mul_lo_u32 v17, v17, s6
	v_sub_nc_u32_e32 v7, v7, v8
	v_dual_add_nc_u32 v8, s7, v48 :: v_dual_sub_nc_u32 v9, v9, v10
	v_dual_sub_nc_u32 v10, v11, v12 :: v_dual_add_nc_u32 v11, s5, v45
	v_mul_lo_u32 v13, v13, s4
	v_mul_lo_u32 v8, v8, s6
	v_add_nc_u32_e32 v12, s5, v47
	v_cmp_lt_u32_e32 vcc_lo, s3, v7
	v_mul_lo_u32 v11, v11, s4
	v_lshlrev_b16 v3, 8, v3
	v_mul_lo_u32 v14, v14, s4
	v_mul_lo_u32 v12, v12, s4
	v_cndmask_b32_e64 v7, 0, 1, vcc_lo
	v_cmp_lt_u32_e32 vcc_lo, s3, v9
	v_lshrrev_b32_e32 v3, 8, v3
	v_mul_lo_u32 v25, v25, s6
	v_sub_nc_u32_e32 v8, v13, v8
	v_lshlrev_b16 v7, 8, v7
	v_cndmask_b32_e64 v9, 0, 1, vcc_lo
	v_sub_nc_u32_e32 v11, v11, v15
	v_cmp_lt_u32_e32 vcc_lo, s3, v5
	s_delay_alu instid0(VALU_DEP_4)
	v_dual_add_nc_u32 v27, s7, v44 :: v_dual_lshrrev_b32 v7, 8, v7
	v_sub_nc_u32_e32 v12, v12, v17
	v_mul_lo_u32 v13, v16, s4
	v_cndmask_b32_e64 v5, 0, 1, vcc_lo
	v_cmp_lt_u32_e32 vcc_lo, s3, v11
	v_mul_lo_u32 v16, v27, s6
	v_dual_add_nc_u32 v15, s5, v1 :: v_dual_add_nc_u32 v27, s7, v1
	v_lshlrev_b16 v2, 8, v2
	v_cndmask_b32_e64 v11, 0, 1, vcc_lo
	v_cmp_lt_u32_e32 vcc_lo, s3, v12
	s_delay_alu instid0(VALU_DEP_4)
	v_mul_lo_u32 v15, v15, s4
	v_mul_lo_u32 v17, v27, s6
	v_sub_nc_u32_e32 v14, v14, v25
	v_lshlrev_b16 v3, 8, v3
	v_cndmask_b32_e64 v12, 0, 1, vcc_lo
	v_cmp_lt_u32_e32 vcc_lo, s3, v6
	v_dual_sub_nc_u32 v13, v13, v16 :: v_dual_lshrrev_b32 v2, 8, v2
	s_delay_alu instid0(VALU_DEP_4)
	v_or_b32_e32 v3, v5, v3
	v_lshlrev_b16 v5, 8, v11
	v_cndmask_b32_e64 v6, 0, 1, vcc_lo
	v_cmp_lt_u32_e32 vcc_lo, s3, v10
	v_lshlrev_b16 v11, 8, v12
	v_lshlrev_b16 v9, 8, v9
	v_sub_nc_u32_e32 v12, v15, v17
	v_lshlrev_b16 v2, 8, v2
	v_cndmask_b32_e64 v10, 0, 1, vcc_lo
	v_cmp_lt_u32_e32 vcc_lo, s3, v8
	v_lshlrev_b16 v7, 8, v7
	v_dual_lshrrev_b32 v11, 8, v11 :: v_dual_lshrrev_b32 v5, 8, v5
	v_or_b32_e32 v2, v6, v2
	v_cndmask_b32_e64 v8, 0, 1, vcc_lo
	v_cmp_lt_u32_e32 vcc_lo, s3, v14
	s_delay_alu instid0(VALU_DEP_4)
	v_lshlrev_b16 v11, 8, v11
	v_lshlrev_b16 v5, 8, v5
	v_dual_lshlrev_b32 v2, 16, v2 :: v_dual_bitop2_b32 v6, v10, v7 bitop3:0x54
	v_cndmask_b32_e64 v14, 0, 1, vcc_lo
	v_cmp_lt_u32_e32 vcc_lo, s3, v13
	v_or_b32_e32 v7, v8, v9
	v_and_b32_e32 v3, 0xffff, v3
	v_and_b32_e32 v6, 0xffff, v6
	v_cndmask_b32_e64 v13, 0, 1, vcc_lo
	s_delay_alu instid0(VALU_DEP_4) | instskip(SKIP_2) | instid1(VALU_DEP_4)
	v_lshlrev_b32_e32 v7, 16, v7
	v_cmp_lt_u32_e32 vcc_lo, s3, v12
	v_or_b32_e32 v35, v3, v2
	v_or_b32_e32 v5, v13, v5
	;; [unrolled: 1-line block ×3, first 2 shown]
	v_cndmask_b32_e64 v25, 0, 1, vcc_lo
	s_delay_alu instid0(VALU_DEP_3) | instskip(NEXT) | instid1(VALU_DEP_3)
	v_dual_lshlrev_b32 v5, 16, v5 :: v_dual_bitop2_b32 v31, v6, v7 bitop3:0x54
	v_and_b32_e32 v8, 0xffff, v8
	s_delay_alu instid0(VALU_DEP_1)
	v_or_b32_e32 v27, v8, v5
	s_cbranch_execz .LBB280_11
	s_branch .LBB280_38
.LBB280_10:
                                        ; implicit-def: $vgpr25
                                        ; implicit-def: $vgpr27
                                        ; implicit-def: $vgpr31
                                        ; implicit-def: $vgpr35
.LBB280_11:
	v_dual_mov_b32 v3, 0 :: v_dual_mov_b32 v2, 0
	s_mov_b32 s0, exec_lo
	v_cmpx_gt_u32_e64 s22, v23
	s_cbranch_execz .LBB280_13
; %bb.12:
	v_dual_add_nc_u32 v2, s5, v54 :: v_dual_add_nc_u32 v5, s7, v54
	s_delay_alu instid0(VALU_DEP_1) | instskip(NEXT) | instid1(VALU_DEP_2)
	v_mul_lo_u32 v2, v2, s4
	v_mul_lo_u32 v5, v5, s6
	s_delay_alu instid0(VALU_DEP_1) | instskip(NEXT) | instid1(VALU_DEP_1)
	v_sub_nc_u32_e32 v2, v2, v5
	v_cmp_lt_u32_e32 vcc_lo, s3, v2
	v_cndmask_b32_e64 v2, 0, 1, vcc_lo
.LBB280_13:
	s_or_b32 exec_lo, exec_lo, s0
	v_add_nc_u32_e32 v5, 1, v23
	s_mov_b32 s0, exec_lo
	s_delay_alu instid0(VALU_DEP_1)
	v_cmpx_gt_u32_e64 s22, v5
	s_cbranch_execz .LBB280_15
; %bb.14:
	v_dual_add_nc_u32 v3, s5, v55 :: v_dual_add_nc_u32 v5, s7, v55
	s_delay_alu instid0(VALU_DEP_1) | instskip(NEXT) | instid1(VALU_DEP_2)
	v_mul_lo_u32 v3, v3, s4
	v_mul_lo_u32 v5, v5, s6
	s_delay_alu instid0(VALU_DEP_1) | instskip(NEXT) | instid1(VALU_DEP_1)
	v_sub_nc_u32_e32 v3, v3, v5
	v_cmp_lt_u32_e32 vcc_lo, s3, v3
	v_cndmask_b32_e64 v3, 0, 1, vcc_lo
.LBB280_15:
	s_or_b32 exec_lo, exec_lo, s0
	v_dual_mov_b32 v6, 0 :: v_dual_add_nc_u32 v5, 2, v23
	s_delay_alu instid0(VALU_DEP_1)
	v_cmp_gt_u32_e32 vcc_lo, s22, v5
	v_mov_b32_e32 v5, 0
	s_and_saveexec_b32 s0, vcc_lo
	s_cbranch_execz .LBB280_17
; %bb.16:
	v_dual_add_nc_u32 v5, s5, v52 :: v_dual_add_nc_u32 v7, s7, v52
	s_delay_alu instid0(VALU_DEP_1) | instskip(NEXT) | instid1(VALU_DEP_2)
	v_mul_lo_u32 v5, v5, s4
	v_mul_lo_u32 v7, v7, s6
	s_delay_alu instid0(VALU_DEP_1) | instskip(NEXT) | instid1(VALU_DEP_1)
	v_sub_nc_u32_e32 v5, v5, v7
	v_cmp_lt_u32_e32 vcc_lo, s3, v5
	v_cndmask_b32_e64 v5, 0, 1, vcc_lo
.LBB280_17:
	s_or_b32 exec_lo, exec_lo, s0
	v_add_nc_u32_e32 v7, 3, v23
	s_mov_b32 s0, exec_lo
	s_delay_alu instid0(VALU_DEP_1)
	v_cmpx_gt_u32_e64 s22, v7
	s_cbranch_execz .LBB280_19
; %bb.18:
	v_dual_add_nc_u32 v6, s5, v53 :: v_dual_add_nc_u32 v7, s7, v53
	s_delay_alu instid0(VALU_DEP_1) | instskip(NEXT) | instid1(VALU_DEP_2)
	v_mul_lo_u32 v6, v6, s4
	v_mul_lo_u32 v7, v7, s6
	s_delay_alu instid0(VALU_DEP_1) | instskip(NEXT) | instid1(VALU_DEP_1)
	v_sub_nc_u32_e32 v6, v6, v7
	v_cmp_lt_u32_e32 vcc_lo, s3, v6
	v_cndmask_b32_e64 v6, 0, 1, vcc_lo
.LBB280_19:
	s_or_b32 exec_lo, exec_lo, s0
	v_dual_mov_b32 v8, 0 :: v_dual_add_nc_u32 v7, 4, v23
	s_delay_alu instid0(VALU_DEP_1)
	v_cmp_gt_u32_e32 vcc_lo, s22, v7
	v_mov_b32_e32 v7, 0
	s_and_saveexec_b32 s0, vcc_lo
	;; [unrolled: 33-line block ×5, first 2 shown]
	s_cbranch_execz .LBB280_33
; %bb.32:
	v_dual_add_nc_u32 v13, s5, v44 :: v_dual_add_nc_u32 v15, s7, v44
	s_delay_alu instid0(VALU_DEP_1) | instskip(NEXT) | instid1(VALU_DEP_2)
	v_mul_lo_u32 v13, v13, s4
	v_mul_lo_u32 v15, v15, s6
	s_delay_alu instid0(VALU_DEP_1) | instskip(NEXT) | instid1(VALU_DEP_1)
	v_sub_nc_u32_e32 v13, v13, v15
	v_cmp_lt_u32_e32 vcc_lo, s3, v13
	v_cndmask_b32_e64 v13, 0, 1, vcc_lo
.LBB280_33:
	s_or_b32 exec_lo, exec_lo, s0
	v_add_nc_u32_e32 v15, 11, v23
	s_mov_b32 s0, exec_lo
	s_delay_alu instid0(VALU_DEP_1)
	v_cmpx_gt_u32_e64 s22, v15
	s_cbranch_execz .LBB280_35
; %bb.34:
	v_dual_add_nc_u32 v14, s5, v45 :: v_dual_add_nc_u32 v15, s7, v45
	s_delay_alu instid0(VALU_DEP_1) | instskip(NEXT) | instid1(VALU_DEP_2)
	v_mul_lo_u32 v14, v14, s4
	v_mul_lo_u32 v15, v15, s6
	s_delay_alu instid0(VALU_DEP_1) | instskip(NEXT) | instid1(VALU_DEP_1)
	v_sub_nc_u32_e32 v14, v14, v15
	v_cmp_lt_u32_e32 vcc_lo, s3, v14
	v_cndmask_b32_e64 v14, 0, 1, vcc_lo
.LBB280_35:
	s_or_b32 exec_lo, exec_lo, s0
	v_dual_add_nc_u32 v15, 12, v23 :: v_dual_mov_b32 v25, 0
	s_mov_b32 s0, exec_lo
	s_delay_alu instid0(VALU_DEP_1)
	v_cmpx_gt_u32_e64 s22, v15
	s_cbranch_execz .LBB280_37
; %bb.36:
	v_dual_add_nc_u32 v15, s7, v1 :: v_dual_add_nc_u32 v16, s5, v1
	s_delay_alu instid0(VALU_DEP_1) | instskip(NEXT) | instid1(VALU_DEP_2)
	v_mul_lo_u32 v15, v15, s6
	v_mul_lo_u32 v16, v16, s4
	s_delay_alu instid0(VALU_DEP_1) | instskip(NEXT) | instid1(VALU_DEP_1)
	v_sub_nc_u32_e32 v15, v16, v15
	v_cmp_lt_u32_e32 vcc_lo, s3, v15
	v_cndmask_b32_e64 v25, 0, 1, vcc_lo
.LBB280_37:
	s_or_b32 exec_lo, exec_lo, s0
	v_lshlrev_b16 v6, 8, v6
	v_lshlrev_b16 v8, 8, v8
	;; [unrolled: 1-line block ×5, first 2 shown]
	v_or_b32_e32 v5, v5, v6
	v_or_b32_e32 v6, v7, v8
	;; [unrolled: 1-line block ×3, first 2 shown]
	s_delay_alu instid0(VALU_DEP_1) | instskip(NEXT) | instid1(VALU_DEP_4)
	v_dual_lshlrev_b32 v7, 16, v7 :: v_dual_bitop2_b32 v8, v11, v12 bitop3:0x54
	v_dual_lshlrev_b32 v5, 16, v5 :: v_dual_bitop2_b32 v2, v2, v3 bitop3:0x54
	v_lshlrev_b16 v3, 8, v14
	s_delay_alu instid0(VALU_DEP_3) | instskip(NEXT) | instid1(VALU_DEP_3)
	v_and_b32_e32 v8, 0xffff, v8
	v_and_b32_e32 v2, 0xffff, v2
	s_delay_alu instid0(VALU_DEP_3) | instskip(NEXT) | instid1(VALU_DEP_1)
	v_or_b32_e32 v3, v13, v3
	v_dual_lshlrev_b32 v3, 16, v3 :: v_dual_bitop2_b32 v35, v2, v5 bitop3:0x54
	v_and_b32_e32 v6, 0xffff, v6
	s_delay_alu instid0(VALU_DEP_2) | instskip(NEXT) | instid1(VALU_DEP_2)
	v_or_b32_e32 v27, v8, v3
	v_or_b32_e32 v31, v6, v7
.LBB280_38:
	s_delay_alu instid0(VALU_DEP_4) | instskip(SKIP_2) | instid1(VALU_DEP_4)
	v_bfe_u32 v39, v35, 16, 8
	v_bfe_u32 v41, v35, 8, 8
	v_and_b32_e32 v57, 0xff, v35
	v_and_b32_e32 v58, 0xff, v31
	v_mbcnt_lo_u32_b32 v64, -1, 0
	v_lshrrev_b32_e32 v37, 24, v35
	v_bfe_u32 v59, v31, 16, 8
	v_add3_u32 v2, v41, v57, v39
	v_bfe_u32 v60, v31, 8, 8
	v_dual_lshrrev_b32 v33, 24, v31 :: v_dual_bitop2_b32 v5, 15, v64 bitop3:0x40
	v_lshrrev_b32_e32 v65, 5, v0
	s_delay_alu instid0(VALU_DEP_4)
	v_add3_u32 v2, v2, v37, v58
	v_and_b32_e32 v61, 0xff, v27
	v_bfe_u32 v62, v27, 16, 8
	v_bfe_u32 v63, v27, 8, 8
	v_dual_lshrrev_b32 v29, 24, v27 :: v_dual_bitop2_b32 v6, 31, v0 bitop3:0x54
	v_add3_u32 v2, v2, v60, v59
	v_and_b32_e32 v3, 0xff, v25
	v_and_b32_e32 v7, 16, v64
	v_cmp_ne_u32_e32 vcc_lo, 0, v4
	v_cmp_eq_u32_e64 s6, 0, v5
	v_add3_u32 v2, v2, v33, v61
	v_cmp_lt_u32_e64 s5, 1, v5
	v_cmp_lt_u32_e64 s4, 3, v5
	;; [unrolled: 1-line block ×3, first 2 shown]
	v_cmp_eq_u32_e64 s1, 0, v7
	v_add3_u32 v2, v2, v63, v62
	v_cmp_eq_u32_e64 s0, v0, v6
	s_mov_b32 s7, -1
	v_add3_u32 v66, v2, v29, v3
	s_cbranch_vccz .LBB280_60
; %bb.39:
	s_delay_alu instid0(VALU_DEP_1) | instskip(NEXT) | instid1(VALU_DEP_1)
	v_mov_b32_dpp v2, v66 row_shr:1 row_mask:0xf bank_mask:0xf
	v_cndmask_b32_e64 v2, v2, 0, s6
	s_delay_alu instid0(VALU_DEP_1) | instskip(NEXT) | instid1(VALU_DEP_1)
	v_add_nc_u32_e32 v2, v2, v66
	v_mov_b32_dpp v3, v2 row_shr:2 row_mask:0xf bank_mask:0xf
	s_delay_alu instid0(VALU_DEP_1) | instskip(NEXT) | instid1(VALU_DEP_1)
	v_cndmask_b32_e64 v3, 0, v3, s5
	v_add_nc_u32_e32 v2, v2, v3
	s_delay_alu instid0(VALU_DEP_1) | instskip(NEXT) | instid1(VALU_DEP_1)
	v_mov_b32_dpp v3, v2 row_shr:4 row_mask:0xf bank_mask:0xf
	v_cndmask_b32_e64 v3, 0, v3, s4
	s_delay_alu instid0(VALU_DEP_1) | instskip(NEXT) | instid1(VALU_DEP_1)
	v_add_nc_u32_e32 v2, v2, v3
	v_mov_b32_dpp v3, v2 row_shr:8 row_mask:0xf bank_mask:0xf
	s_delay_alu instid0(VALU_DEP_1) | instskip(NEXT) | instid1(VALU_DEP_1)
	v_cndmask_b32_e64 v3, 0, v3, s3
	v_add_nc_u32_e32 v2, v2, v3
	ds_swizzle_b32 v3, v2 offset:swizzle(BROADCAST,32,15)
	s_wait_dscnt 0x0
	v_cndmask_b32_e64 v3, v3, 0, s1
	s_delay_alu instid0(VALU_DEP_1)
	v_add_nc_u32_e32 v2, v2, v3
	s_and_saveexec_b32 s7, s0
; %bb.40:
	v_lshlrev_b32_e32 v3, 2, v65
	ds_store_b32 v3, v2
; %bb.41:
	s_or_b32 exec_lo, exec_lo, s7
	s_delay_alu instid0(SALU_CYCLE_1)
	s_mov_b32 s7, exec_lo
	s_wait_dscnt 0x0
	s_barrier_signal -1
	s_barrier_wait -1
	v_cmpx_gt_u32_e32 8, v0
	s_cbranch_execz .LBB280_43
; %bb.42:
	ds_load_b32 v3, v19
	s_wait_dscnt 0x0
	v_mov_b32_dpp v6, v3 row_shr:1 row_mask:0xf bank_mask:0xf
	v_and_b32_e32 v5, 7, v64
	s_delay_alu instid0(VALU_DEP_1) | instskip(NEXT) | instid1(VALU_DEP_3)
	v_cmp_ne_u32_e32 vcc_lo, 0, v5
	v_cndmask_b32_e32 v6, 0, v6, vcc_lo
	v_cmp_lt_u32_e32 vcc_lo, 1, v5
	s_delay_alu instid0(VALU_DEP_2) | instskip(NEXT) | instid1(VALU_DEP_1)
	v_add_nc_u32_e32 v3, v6, v3
	v_mov_b32_dpp v6, v3 row_shr:2 row_mask:0xf bank_mask:0xf
	s_delay_alu instid0(VALU_DEP_1) | instskip(SKIP_1) | instid1(VALU_DEP_2)
	v_cndmask_b32_e32 v6, 0, v6, vcc_lo
	v_cmp_lt_u32_e32 vcc_lo, 3, v5
	v_add_nc_u32_e32 v3, v3, v6
	s_delay_alu instid0(VALU_DEP_1) | instskip(NEXT) | instid1(VALU_DEP_1)
	v_mov_b32_dpp v6, v3 row_shr:4 row_mask:0xf bank_mask:0xf
	v_cndmask_b32_e32 v5, 0, v6, vcc_lo
	s_delay_alu instid0(VALU_DEP_1)
	v_add_nc_u32_e32 v3, v3, v5
	ds_store_b32 v19, v3
.LBB280_43:
	s_or_b32 exec_lo, exec_lo, s7
	s_delay_alu instid0(SALU_CYCLE_1)
	s_mov_b32 s8, exec_lo
	v_cmp_gt_u32_e32 vcc_lo, 32, v0
	s_wait_dscnt 0x0
	s_barrier_signal -1
	s_barrier_wait -1
                                        ; implicit-def: $vgpr10
	v_cmpx_lt_u32_e32 31, v0
	s_cbranch_execz .LBB280_45
; %bb.44:
	v_lshl_add_u32 v3, v65, 2, -4
	ds_load_b32 v10, v3
	s_wait_dscnt 0x0
	v_add_nc_u32_e32 v2, v10, v2
.LBB280_45:
	s_or_b32 exec_lo, exec_lo, s8
	v_sub_co_u32 v3, s7, v64, 1
	s_delay_alu instid0(VALU_DEP_1) | instskip(NEXT) | instid1(VALU_DEP_1)
	v_cmp_gt_i32_e64 s8, 0, v3
	v_cndmask_b32_e64 v3, v3, v64, s8
	s_delay_alu instid0(VALU_DEP_1)
	v_lshlrev_b32_e32 v3, 2, v3
	ds_bpermute_b32 v11, v3, v2
	s_and_saveexec_b32 s8, vcc_lo
	s_cbranch_execz .LBB280_65
; %bb.46:
	v_dual_mov_b32 v9, 0 :: v_dual_add_nc_u32 v12, 32, v4
	ds_load_b32 v2, v9 offset:28
	s_and_saveexec_b32 s15, s7
	s_cbranch_execz .LBB280_48
; %bb.47:
	v_mov_b32_e32 v3, 1
	s_wait_dscnt 0x0
	global_store_b64 v12, v[2:3], s[20:21] scale_offset scope:SCOPE_DEV
.LBB280_48:
	s_wait_xcnt 0x0
	s_or_b32 exec_lo, exec_lo, s15
	v_xad_u32 v4, v64, -1, v4
	s_mov_b32 s23, 0
	s_mov_b32 s15, exec_lo
	s_delay_alu instid0(VALU_DEP_1) | instskip(SKIP_4) | instid1(VALU_DEP_1)
	v_add_nc_u32_e32 v8, 32, v4
	global_load_b64 v[6:7], v8, s[20:21] scale_offset scope:SCOPE_DEV
	s_wait_loadcnt 0x0
	v_and_b32_e32 v3, 0xff, v7
	s_wait_xcnt 0x0
	v_cmpx_eq_u16_e32 0, v3
	s_cbranch_execz .LBB280_52
; %bb.49:
	v_lshl_add_u64 v[8:9], v[8:9], 3, s[20:21]
.LBB280_50:                             ; =>This Inner Loop Header: Depth=1
	global_load_b64 v[6:7], v[8:9], off scope:SCOPE_DEV
	s_wait_loadcnt 0x0
	v_and_b32_e32 v3, 0xff, v7
	s_delay_alu instid0(VALU_DEP_1)
	v_cmp_ne_u16_e32 vcc_lo, 0, v3
	s_or_b32 s23, vcc_lo, s23
	s_wait_xcnt 0x0
	s_and_not1_b32 exec_lo, exec_lo, s23
	s_cbranch_execnz .LBB280_50
; %bb.51:
	s_or_b32 exec_lo, exec_lo, s23
.LBB280_52:
	s_delay_alu instid0(SALU_CYCLE_1)
	s_or_b32 exec_lo, exec_lo, s15
	v_cmp_ne_u32_e32 vcc_lo, 31, v64
	v_lshlrev_b32_e64 v14, v64, -1
	v_lshl_or_b32 v69, v64, 2, 64
	v_dual_add_nc_u32 v16, 2, v64 :: v_dual_add_nc_u32 v56, 4, v64
	v_add_co_ci_u32_e64 v3, null, 0, v64, vcc_lo
	v_dual_add_nc_u32 v68, 8, v64 :: v_dual_add_nc_u32 v70, 16, v64
	s_delay_alu instid0(VALU_DEP_2)
	v_lshlrev_b32_e32 v13, 2, v3
	v_and_b32_e32 v3, 0xff, v7
	ds_bpermute_b32 v5, v13, v6
	v_cmp_eq_u16_e32 vcc_lo, 2, v3
	v_and_or_b32 v3, vcc_lo, v14, 0x80000000
	v_cmp_gt_u32_e32 vcc_lo, 30, v64
	s_delay_alu instid0(VALU_DEP_2) | instskip(SKIP_1) | instid1(VALU_DEP_2)
	v_ctz_i32_b32_e32 v3, v3
	v_cndmask_b32_e64 v8, 0, 2, vcc_lo
	v_cmp_lt_u32_e32 vcc_lo, v64, v3
	s_delay_alu instid0(VALU_DEP_2) | instskip(SKIP_3) | instid1(VALU_DEP_2)
	v_add_lshl_u32 v15, v8, v64, 2
	s_wait_dscnt 0x0
	v_cndmask_b32_e32 v5, 0, v5, vcc_lo
	v_cmp_gt_u32_e32 vcc_lo, 28, v64
	v_add_nc_u32_e32 v5, v5, v6
	v_cndmask_b32_e64 v8, 0, 4, vcc_lo
	v_cmp_le_u32_e32 vcc_lo, v16, v3
	ds_bpermute_b32 v6, v15, v5
	v_add_lshl_u32 v17, v8, v64, 2
	s_wait_dscnt 0x0
	v_cndmask_b32_e32 v6, 0, v6, vcc_lo
	v_cmp_gt_u32_e32 vcc_lo, 24, v64
	v_cndmask_b32_e64 v8, 0, 8, vcc_lo
	v_cmp_le_u32_e32 vcc_lo, v56, v3
	s_delay_alu instid0(VALU_DEP_4) | instskip(NEXT) | instid1(VALU_DEP_3)
	v_add_nc_u32_e32 v5, v5, v6
	v_add_lshl_u32 v67, v8, v64, 2
	ds_bpermute_b32 v6, v17, v5
	s_wait_dscnt 0x0
	v_cndmask_b32_e32 v6, 0, v6, vcc_lo
	v_cmp_le_u32_e32 vcc_lo, v68, v3
	s_delay_alu instid0(VALU_DEP_2) | instskip(SKIP_4) | instid1(VALU_DEP_2)
	v_add_nc_u32_e32 v5, v5, v6
	ds_bpermute_b32 v6, v67, v5
	s_wait_dscnt 0x0
	v_cndmask_b32_e32 v6, 0, v6, vcc_lo
	v_cmp_le_u32_e32 vcc_lo, v70, v3
	v_add_nc_u32_e32 v5, v5, v6
	ds_bpermute_b32 v6, v69, v5
	s_wait_dscnt 0x0
	v_cndmask_b32_e32 v3, 0, v6, vcc_lo
	s_delay_alu instid0(VALU_DEP_1)
	v_dual_mov_b32 v5, 0 :: v_dual_add_nc_u32 v6, v5, v3
	s_branch .LBB280_56
.LBB280_53:                             ;   in Loop: Header=BB280_56 Depth=1
	s_or_b32 exec_lo, exec_lo, s23
.LBB280_54:                             ;   in Loop: Header=BB280_56 Depth=1
	s_delay_alu instid0(SALU_CYCLE_1)
	s_or_b32 exec_lo, exec_lo, s15
	v_and_b32_e32 v8, 0xff, v7
	ds_bpermute_b32 v9, v13, v6
	v_subrev_nc_u32_e32 v4, 32, v4
	s_mov_b32 s15, 0
	v_cmp_eq_u16_e32 vcc_lo, 2, v8
	v_and_or_b32 v8, vcc_lo, v14, 0x80000000
	s_delay_alu instid0(VALU_DEP_1) | instskip(NEXT) | instid1(VALU_DEP_1)
	v_ctz_i32_b32_e32 v8, v8
	v_cmp_lt_u32_e32 vcc_lo, v64, v8
	s_wait_dscnt 0x0
	v_cndmask_b32_e32 v9, 0, v9, vcc_lo
	v_cmp_le_u32_e32 vcc_lo, v16, v8
	s_delay_alu instid0(VALU_DEP_2) | instskip(SKIP_4) | instid1(VALU_DEP_2)
	v_add_nc_u32_e32 v6, v9, v6
	ds_bpermute_b32 v9, v15, v6
	s_wait_dscnt 0x0
	v_cndmask_b32_e32 v9, 0, v9, vcc_lo
	v_cmp_le_u32_e32 vcc_lo, v56, v8
	v_add_nc_u32_e32 v6, v6, v9
	ds_bpermute_b32 v9, v17, v6
	s_wait_dscnt 0x0
	v_cndmask_b32_e32 v9, 0, v9, vcc_lo
	v_cmp_le_u32_e32 vcc_lo, v68, v8
	s_delay_alu instid0(VALU_DEP_2) | instskip(SKIP_4) | instid1(VALU_DEP_2)
	v_add_nc_u32_e32 v6, v6, v9
	ds_bpermute_b32 v9, v67, v6
	s_wait_dscnt 0x0
	v_cndmask_b32_e32 v9, 0, v9, vcc_lo
	v_cmp_le_u32_e32 vcc_lo, v70, v8
	v_add_nc_u32_e32 v6, v6, v9
	ds_bpermute_b32 v9, v69, v6
	s_wait_dscnt 0x0
	v_cndmask_b32_e32 v8, 0, v9, vcc_lo
	s_delay_alu instid0(VALU_DEP_1)
	v_add3_u32 v6, v8, v3, v6
.LBB280_55:                             ;   in Loop: Header=BB280_56 Depth=1
	s_and_b32 vcc_lo, exec_lo, s15
	s_cbranch_vccnz .LBB280_61
.LBB280_56:                             ; =>This Loop Header: Depth=1
                                        ;     Child Loop BB280_59 Depth 2
	v_and_b32_e32 v3, 0xff, v7
	s_mov_b32 s15, -1
                                        ; implicit-def: $vgpr7
	s_delay_alu instid0(VALU_DEP_1)
	v_cmp_ne_u16_e32 vcc_lo, 2, v3
	v_mov_b32_e32 v3, v6
                                        ; implicit-def: $vgpr6
	s_cmp_lg_u32 vcc_lo, exec_lo
	s_cbranch_scc1 .LBB280_55
; %bb.57:                               ;   in Loop: Header=BB280_56 Depth=1
	global_load_b64 v[6:7], v4, s[20:21] scale_offset scope:SCOPE_DEV
	s_mov_b32 s15, exec_lo
	s_wait_loadcnt 0x0
	v_and_b32_e32 v8, 0xff, v7
	s_wait_xcnt 0x0
	s_delay_alu instid0(VALU_DEP_1)
	v_cmpx_eq_u16_e32 0, v8
	s_cbranch_execz .LBB280_54
; %bb.58:                               ;   in Loop: Header=BB280_56 Depth=1
	v_lshl_add_u64 v[8:9], v[4:5], 3, s[20:21]
	s_mov_b32 s23, 0
.LBB280_59:                             ;   Parent Loop BB280_56 Depth=1
                                        ; =>  This Inner Loop Header: Depth=2
	global_load_b64 v[6:7], v[8:9], off scope:SCOPE_DEV
	s_wait_loadcnt 0x0
	v_and_b32_e32 v71, 0xff, v7
	s_delay_alu instid0(VALU_DEP_1)
	v_cmp_ne_u16_e32 vcc_lo, 0, v71
	s_or_b32 s23, vcc_lo, s23
	s_wait_xcnt 0x0
	s_and_not1_b32 exec_lo, exec_lo, s23
	s_cbranch_execnz .LBB280_59
	s_branch .LBB280_53
.LBB280_60:
                                        ; implicit-def: $vgpr2_vgpr3_vgpr4_vgpr5_vgpr6_vgpr7_vgpr8_vgpr9_vgpr10_vgpr11_vgpr12_vgpr13_vgpr14_vgpr15_vgpr16_vgpr17
                                        ; implicit-def: $vgpr56
                                        ; implicit-def: $vgpr16
	s_and_b32 vcc_lo, exec_lo, s7
	s_cbranch_vccnz .LBB280_66
	s_branch .LBB280_75
.LBB280_61:
	s_and_saveexec_b32 s15, s7
	s_cbranch_execz .LBB280_63
; %bb.62:
	v_dual_mov_b32 v5, 2 :: v_dual_add_nc_u32 v4, v3, v2
	v_mov_b32_e32 v6, 0
	global_store_b64 v12, v[4:5], s[20:21] scale_offset scope:SCOPE_DEV
	ds_store_b64 v6, v[2:3] offset:13312
.LBB280_63:
	s_wait_xcnt 0x0
	s_or_b32 exec_lo, exec_lo, s15
	s_delay_alu instid0(SALU_CYCLE_1)
	s_and_b32 exec_lo, exec_lo, s2
; %bb.64:
	v_mov_b32_e32 v2, 0
	ds_store_b32 v2, v3 offset:28
.LBB280_65:
	s_or_b32 exec_lo, exec_lo, s8
	s_wait_dscnt 0x0
	v_dual_mov_b32 v12, 0 :: v_dual_cndmask_b32 v3, v11, v10, s7
	s_wait_storecnt 0x0
	s_barrier_signal -1
	s_barrier_wait -1
	ds_load_b32 v2, v12 offset:28
	v_cndmask_b32_e64 v3, v3, 0, s2
	s_wait_dscnt 0x0
	s_barrier_signal -1
	s_barrier_wait -1
	ds_load_b64 v[16:17], v12 offset:13312
	v_add_nc_u32_e32 v2, v2, v3
	s_wait_dscnt 0x0
	s_delay_alu instid0(VALU_DEP_1) | instskip(NEXT) | instid1(VALU_DEP_1)
	v_dual_mov_b32 v56, v17 :: v_dual_add_nc_u32 v3, v2, v57
	v_add_nc_u32_e32 v4, v3, v41
	s_delay_alu instid0(VALU_DEP_1) | instskip(NEXT) | instid1(VALU_DEP_1)
	v_add_nc_u32_e32 v5, v4, v39
	v_add_nc_u32_e32 v6, v5, v37
	s_delay_alu instid0(VALU_DEP_1) | instskip(NEXT) | instid1(VALU_DEP_1)
	v_add_nc_u32_e32 v7, v6, v58
	;; [unrolled: 3-line block ×5, first 2 shown]
	v_add_nc_u32_e32 v14, v13, v29
	s_branch .LBB280_75
.LBB280_66:
	v_mov_b32_dpp v2, v66 row_shr:1 row_mask:0xf bank_mask:0xf
	s_delay_alu instid0(VALU_DEP_1) | instskip(NEXT) | instid1(VALU_DEP_1)
	v_cndmask_b32_e64 v2, v2, 0, s6
	v_add_nc_u32_e32 v2, v2, v66
	s_delay_alu instid0(VALU_DEP_1) | instskip(NEXT) | instid1(VALU_DEP_1)
	v_mov_b32_dpp v3, v2 row_shr:2 row_mask:0xf bank_mask:0xf
	v_cndmask_b32_e64 v3, 0, v3, s5
	s_delay_alu instid0(VALU_DEP_1) | instskip(NEXT) | instid1(VALU_DEP_1)
	v_add_nc_u32_e32 v2, v2, v3
	v_mov_b32_dpp v3, v2 row_shr:4 row_mask:0xf bank_mask:0xf
	s_delay_alu instid0(VALU_DEP_1) | instskip(NEXT) | instid1(VALU_DEP_1)
	v_cndmask_b32_e64 v3, 0, v3, s4
	v_add_nc_u32_e32 v2, v2, v3
	s_delay_alu instid0(VALU_DEP_1) | instskip(NEXT) | instid1(VALU_DEP_1)
	v_mov_b32_dpp v3, v2 row_shr:8 row_mask:0xf bank_mask:0xf
	v_cndmask_b32_e64 v3, 0, v3, s3
	s_delay_alu instid0(VALU_DEP_1) | instskip(SKIP_3) | instid1(VALU_DEP_1)
	v_add_nc_u32_e32 v2, v2, v3
	ds_swizzle_b32 v3, v2 offset:swizzle(BROADCAST,32,15)
	s_wait_dscnt 0x0
	v_cndmask_b32_e64 v3, v3, 0, s1
	v_add_nc_u32_e32 v2, v2, v3
	s_and_saveexec_b32 s1, s0
; %bb.67:
	v_lshlrev_b32_e32 v3, 2, v65
	ds_store_b32 v3, v2
; %bb.68:
	s_or_b32 exec_lo, exec_lo, s1
	s_delay_alu instid0(SALU_CYCLE_1)
	s_mov_b32 s0, exec_lo
	s_wait_dscnt 0x0
	s_barrier_signal -1
	s_barrier_wait -1
	v_cmpx_gt_u32_e32 8, v0
	s_cbranch_execz .LBB280_70
; %bb.69:
	ds_load_b32 v3, v19
	s_wait_dscnt 0x0
	v_mov_b32_dpp v5, v3 row_shr:1 row_mask:0xf bank_mask:0xf
	v_and_b32_e32 v4, 7, v64
	s_delay_alu instid0(VALU_DEP_1) | instskip(NEXT) | instid1(VALU_DEP_3)
	v_cmp_ne_u32_e32 vcc_lo, 0, v4
	v_cndmask_b32_e32 v5, 0, v5, vcc_lo
	v_cmp_lt_u32_e32 vcc_lo, 1, v4
	s_delay_alu instid0(VALU_DEP_2) | instskip(NEXT) | instid1(VALU_DEP_1)
	v_add_nc_u32_e32 v3, v5, v3
	v_mov_b32_dpp v5, v3 row_shr:2 row_mask:0xf bank_mask:0xf
	s_delay_alu instid0(VALU_DEP_1) | instskip(SKIP_1) | instid1(VALU_DEP_2)
	v_cndmask_b32_e32 v5, 0, v5, vcc_lo
	v_cmp_lt_u32_e32 vcc_lo, 3, v4
	v_add_nc_u32_e32 v3, v3, v5
	s_delay_alu instid0(VALU_DEP_1) | instskip(NEXT) | instid1(VALU_DEP_1)
	v_mov_b32_dpp v5, v3 row_shr:4 row_mask:0xf bank_mask:0xf
	v_cndmask_b32_e32 v4, 0, v5, vcc_lo
	s_delay_alu instid0(VALU_DEP_1)
	v_add_nc_u32_e32 v3, v3, v4
	ds_store_b32 v19, v3
.LBB280_70:
	s_or_b32 exec_lo, exec_lo, s0
	v_dual_mov_b32 v4, 0 :: v_dual_mov_b32 v3, 0
	s_mov_b32 s0, exec_lo
	s_wait_dscnt 0x0
	s_barrier_signal -1
	s_barrier_wait -1
	v_cmpx_lt_u32_e32 31, v0
; %bb.71:
	v_lshl_add_u32 v3, v65, 2, -4
	ds_load_b32 v3, v3
; %bb.72:
	s_or_b32 exec_lo, exec_lo, s0
	v_sub_co_u32 v5, vcc_lo, v64, 1
	ds_load_b32 v16, v4 offset:28
	s_wait_dscnt 0x1
	v_add_nc_u32_e32 v2, v3, v2
	v_cmp_gt_i32_e64 s0, 0, v5
	s_delay_alu instid0(VALU_DEP_1) | instskip(NEXT) | instid1(VALU_DEP_1)
	v_cndmask_b32_e64 v5, v5, v64, s0
	v_lshlrev_b32_e32 v5, 2, v5
	ds_bpermute_b32 v2, v5, v2
	s_and_saveexec_b32 s0, s2
	s_cbranch_execz .LBB280_74
; %bb.73:
	v_dual_mov_b32 v4, 0 :: v_dual_mov_b32 v17, 2
	s_wait_dscnt 0x1
	global_store_b64 v4, v[16:17], s[20:21] offset:256 scope:SCOPE_DEV
.LBB280_74:
	s_wait_xcnt 0x0
	s_or_b32 exec_lo, exec_lo, s0
	s_wait_dscnt 0x0
	v_cndmask_b32_e32 v2, v2, v3, vcc_lo
	s_wait_storecnt 0x0
	s_barrier_signal -1
	s_barrier_wait -1
	s_delay_alu instid0(VALU_DEP_1) | instskip(NEXT) | instid1(VALU_DEP_1)
	v_cndmask_b32_e64 v2, v2, 0, s2
	v_dual_mov_b32 v56, 0 :: v_dual_add_nc_u32 v3, v2, v57
	s_delay_alu instid0(VALU_DEP_1) | instskip(NEXT) | instid1(VALU_DEP_1)
	v_add_nc_u32_e32 v4, v3, v41
	v_add_nc_u32_e32 v5, v4, v39
	s_delay_alu instid0(VALU_DEP_1) | instskip(NEXT) | instid1(VALU_DEP_1)
	v_add_nc_u32_e32 v6, v5, v37
	v_add_nc_u32_e32 v7, v6, v58
	;; [unrolled: 3-line block ×5, first 2 shown]
	s_delay_alu instid0(VALU_DEP_1)
	v_add_nc_u32_e32 v14, v13, v29
.LBB280_75:
	v_dual_lshrrev_b32 v57, 16, v35 :: v_dual_lshrrev_b32 v58, 8, v35
	v_dual_add_nc_u32 v23, v16, v23 :: v_dual_sub_nc_u32 v3, v3, v56
	v_dual_sub_nc_u32 v2, v2, v56 :: v_dual_bitop2_b32 v35, 1, v35 bitop3:0x40
	s_delay_alu instid0(VALU_DEP_3) | instskip(NEXT) | instid1(VALU_DEP_3)
	v_dual_sub_nc_u32 v4, v4, v56 :: v_dual_bitop2_b32 v58, 1, v58 bitop3:0x40
	v_dual_sub_nc_u32 v59, v23, v3 :: v_dual_bitop2_b32 v57, 1, v57 bitop3:0x40
	s_delay_alu instid0(VALU_DEP_3) | instskip(NEXT) | instid1(VALU_DEP_4)
	v_dual_sub_nc_u32 v60, v23, v2 :: v_dual_sub_nc_u32 v5, v5, v56
	v_cmp_eq_u32_e32 vcc_lo, 1, v35
	s_delay_alu instid0(VALU_DEP_3) | instskip(SKIP_1) | instid1(VALU_DEP_4)
	v_dual_sub_nc_u32 v61, v23, v4 :: v_dual_add_nc_u32 v59, 1, v59
	v_dual_lshrrev_b32 v41, 8, v31 :: v_dual_lshrrev_b32 v39, 16, v31
	v_cndmask_b32_e32 v2, v60, v2, vcc_lo
	v_cmp_eq_u32_e32 vcc_lo, 1, v58
	v_dual_lshrrev_b32 v15, 16, v27 :: v_dual_lshrrev_b32 v17, 8, v27
	v_cndmask_b32_e32 v3, v59, v3, vcc_lo
	s_delay_alu instid0(VALU_DEP_4)
	v_dual_sub_nc_u32 v35, v23, v5 :: v_dual_lshlrev_b32 v2, 2, v2
	v_and_b32_e32 v37, 1, v37
	v_add_nc_u32_e32 v58, 2, v61
	v_cmp_eq_u32_e32 vcc_lo, 1, v57
	v_lshlrev_b32_e32 v3, 2, v3
	v_add_nc_u32_e32 v35, 3, v35
	ds_store_b32 v2, v54
	ds_store_b32 v3, v55
	v_cndmask_b32_e32 v4, v58, v4, vcc_lo
	v_cmp_eq_u32_e32 vcc_lo, 1, v37
	v_dual_cndmask_b32 v5, v35, v5 :: v_dual_sub_nc_u32 v6, v6, v56
	s_delay_alu instid0(VALU_DEP_1) | instskip(NEXT) | instid1(VALU_DEP_2)
	v_dual_lshlrev_b32 v3, 2, v4 :: v_dual_lshlrev_b32 v4, 2, v5
	v_sub_nc_u32_e32 v2, v23, v6
	v_dual_sub_nc_u32 v5, v7, v56 :: v_dual_bitop2_b32 v7, 1, v31 bitop3:0x40
	s_delay_alu instid0(VALU_DEP_2)
	v_add_nc_u32_e32 v2, 4, v2
	ds_store_b32 v3, v52
	ds_store_b32 v4, v53
	v_cmp_eq_u32_e32 vcc_lo, 1, v7
	v_dual_sub_nc_u32 v4, v8, v56 :: v_dual_cndmask_b32 v2, v2, v6, vcc_lo
	v_sub_nc_u32_e32 v3, v23, v5
	v_dual_sub_nc_u32 v7, v9, v56 :: v_dual_bitop2_b32 v6, 1, v41 bitop3:0x40
	s_delay_alu instid0(VALU_DEP_2) | instskip(NEXT) | instid1(VALU_DEP_2)
	v_dual_lshlrev_b32 v2, 2, v2 :: v_dual_add_nc_u32 v3, 5, v3
	v_cmp_eq_u32_e32 vcc_lo, 1, v6
	v_dual_sub_nc_u32 v8, v23, v4 :: v_dual_bitop2_b32 v6, 1, v39 bitop3:0x40
	ds_store_b32 v2, v50
	v_and_b32_e32 v2, 1, v33
	v_cndmask_b32_e32 v3, v3, v5, vcc_lo
	v_dual_sub_nc_u32 v5, v23, v7 :: v_dual_add_nc_u32 v8, 6, v8
	v_cmp_eq_u32_e32 vcc_lo, 1, v6
	s_delay_alu instid0(VALU_DEP_3) | instskip(NEXT) | instid1(VALU_DEP_3)
	v_dual_sub_nc_u32 v6, v11, v56 :: v_dual_lshlrev_b32 v3, 2, v3
	v_dual_cndmask_b32 v4, v8, v4 :: v_dual_add_nc_u32 v5, 7, v5
	v_cmp_eq_u32_e32 vcc_lo, 1, v2
	ds_store_b32 v3, v51
	v_dual_sub_nc_u32 v3, v23, v6 :: v_dual_sub_nc_u32 v8, v14, v56
	v_dual_lshlrev_b32 v4, 2, v4 :: v_dual_cndmask_b32 v2, v5, v7, vcc_lo
	v_dual_sub_nc_u32 v5, v10, v56 :: v_dual_bitop2_b32 v7, 1, v17 bitop3:0x40
	s_delay_alu instid0(VALU_DEP_3)
	v_add_nc_u32_e32 v3, 9, v3
	ds_store_b32 v4, v48
	v_dual_lshlrev_b32 v2, 2, v2 :: v_dual_sub_nc_u32 v4, v23, v5
	v_cmp_eq_u32_e32 vcc_lo, 1, v7
	v_sub_nc_u32_e32 v7, v12, v56
	v_sub_nc_u32_e32 v9, v23, v8
	ds_store_b32 v2, v49
	v_dual_add_nc_u32 v4, 8, v4 :: v_dual_bitop2_b32 v2, 1, v27 bitop3:0x40
	v_dual_cndmask_b32 v3, v3, v6 :: v_dual_sub_nc_u32 v6, v13, v56
	s_delay_alu instid0(VALU_DEP_2) | instskip(NEXT) | instid1(VALU_DEP_2)
	v_cmp_eq_u32_e32 vcc_lo, 1, v2
	v_dual_cndmask_b32 v2, v4, v5, vcc_lo :: v_dual_sub_nc_u32 v4, v23, v6
	v_and_b32_e32 v10, 1, v15
	v_dual_sub_nc_u32 v5, v23, v7 :: v_dual_bitop2_b32 v12, 1, v25 bitop3:0x40
	s_delay_alu instid0(VALU_DEP_3) | instskip(SKIP_1) | instid1(VALU_DEP_1)
	v_dual_lshlrev_b32 v2, 2, v2 :: v_dual_add_nc_u32 v4, 11, v4
	v_and_b32_e32 v11, 1, v29
	v_cmp_eq_u32_e32 vcc_lo, 1, v11
	s_delay_alu instid0(VALU_DEP_3) | instskip(SKIP_3) | instid1(VALU_DEP_1)
	v_cndmask_b32_e32 v4, v4, v6, vcc_lo
	v_cmp_eq_u32_e32 vcc_lo, 1, v10
	v_add_nc_u32_e32 v9, 12, v9
	v_add_nc_u32_e32 v5, 10, v5
	v_cndmask_b32_e32 v5, v5, v7, vcc_lo
	v_cmp_eq_u32_e32 vcc_lo, 1, v12
	s_delay_alu instid0(VALU_DEP_2) | instskip(SKIP_3) | instid1(VALU_DEP_3)
	v_dual_lshlrev_b32 v3, 2, v3 :: v_dual_lshlrev_b32 v5, 2, v5
	v_cndmask_b32_e32 v6, v9, v8, vcc_lo
	v_lshlrev_b32_e32 v4, 2, v4
	v_cmp_ne_u32_e32 vcc_lo, 1, v21
	v_lshlrev_b32_e32 v6, 2, v6
	ds_store_b32 v2, v46
	ds_store_b32 v3, v47
	;; [unrolled: 1-line block ×5, first 2 shown]
	s_wait_dscnt 0x0
	s_barrier_signal -1
	s_barrier_wait -1
	ds_load_2addr_stride64_b32 v[14:15], v19 offset1:4
	ds_load_2addr_stride64_b32 v[12:13], v19 offset0:8 offset1:12
	ds_load_2addr_stride64_b32 v[10:11], v19 offset0:16 offset1:20
	;; [unrolled: 1-line block ×5, first 2 shown]
	ds_load_b32 v46, v19 offset:12288
	v_mov_b32_e32 v1, 0
	s_and_b32 vcc_lo, exec_lo, vcc_lo
	s_delay_alu instid0(VALU_DEP_1) | instskip(SKIP_2) | instid1(VALU_DEP_3)
	v_dual_mov_b32 v29, v1 :: v_dual_mov_b32 v57, v1
	v_dual_mov_b32 v41, v1 :: v_dual_mov_b32 v39, v1
	;; [unrolled: 1-line block ×3, first 2 shown]
	v_add_nc_u64_e32 v[2:3], v[42:43], v[56:57]
	v_dual_mov_b32 v33, v1 :: v_dual_mov_b32 v31, v1
	v_dual_mov_b32 v27, v1 :: v_dual_mov_b32 v25, v1
	;; [unrolled: 1-line block ×3, first 2 shown]
	v_mov_b32_e32 v19, v1
	s_cbranch_vccnz .LBB280_132
; %bb.76:
	v_mov_b32_e32 v17, v1
	s_mov_b32 s15, 0
	v_sub_nc_u64_e64 v[42:43], v[2:3], s[16:17]
	s_sub_nc_u64 s[0:1], s[18:19], s[14:15]
	s_delay_alu instid0(VALU_DEP_2) | instid1(SALU_CYCLE_1)
	v_add_nc_u64_e32 v[44:45], s[0:1], v[16:17]
	s_mov_b32 s0, exec_lo
	s_delay_alu instid0(VALU_DEP_1)
	v_add_nc_u64_e32 v[42:43], v[44:45], v[42:43]
                                        ; implicit-def: $vgpr44_vgpr45
	v_cmpx_ge_u32_e64 v0, v16
	s_xor_b32 s0, exec_lo, s0
; %bb.77:
	v_not_b32_e32 v44, v0
	s_delay_alu instid0(VALU_DEP_1) | instskip(NEXT) | instid1(VALU_DEP_1)
	v_ashrrev_i32_e32 v45, 31, v44
	v_add_nc_u64_e32 v[44:45], v[42:43], v[44:45]
; %bb.78:
	s_and_not1_saveexec_b32 s0, s0
; %bb.79:
	v_add_nc_u64_e32 v[44:45], v[2:3], v[0:1]
; %bb.80:
	s_or_b32 exec_lo, exec_lo, s0
	s_delay_alu instid0(VALU_DEP_1)
	v_lshl_add_u64 v[44:45], v[44:45], 2, s[10:11]
	s_mov_b32 s0, exec_lo
	s_wait_dscnt 0x6
	global_store_b32 v[44:45], v14, off
                                        ; implicit-def: $vgpr44_vgpr45
	s_wait_xcnt 0x0
	v_cmpx_ge_u32_e64 v40, v16
	s_xor_b32 s0, exec_lo, s0
; %bb.81:
	v_xor_b32_e32 v44, 0xfffffeff, v0
	s_delay_alu instid0(VALU_DEP_1) | instskip(NEXT) | instid1(VALU_DEP_1)
	v_ashrrev_i32_e32 v45, 31, v44
	v_add_nc_u64_e32 v[44:45], v[42:43], v[44:45]
; %bb.82:
	s_and_not1_saveexec_b32 s0, s0
; %bb.83:
	v_add_nc_u64_e32 v[44:45], v[2:3], v[40:41]
; %bb.84:
	s_or_b32 exec_lo, exec_lo, s0
	s_delay_alu instid0(VALU_DEP_1)
	v_lshl_add_u64 v[44:45], v[44:45], 2, s[10:11]
	s_mov_b32 s0, exec_lo
	global_store_b32 v[44:45], v15, off
                                        ; implicit-def: $vgpr44_vgpr45
	s_wait_xcnt 0x0
	v_cmpx_ge_u32_e64 v38, v16
	s_xor_b32 s0, exec_lo, s0
; %bb.85:
	v_xor_b32_e32 v44, 0xfffffdff, v0
	s_delay_alu instid0(VALU_DEP_1) | instskip(NEXT) | instid1(VALU_DEP_1)
	v_ashrrev_i32_e32 v45, 31, v44
	v_add_nc_u64_e32 v[44:45], v[42:43], v[44:45]
; %bb.86:
	s_and_not1_saveexec_b32 s0, s0
; %bb.87:
	v_add_nc_u64_e32 v[44:45], v[2:3], v[38:39]
; %bb.88:
	s_or_b32 exec_lo, exec_lo, s0
	s_delay_alu instid0(VALU_DEP_1)
	v_lshl_add_u64 v[44:45], v[44:45], 2, s[10:11]
	s_mov_b32 s0, exec_lo
	s_wait_dscnt 0x5
	global_store_b32 v[44:45], v12, off
                                        ; implicit-def: $vgpr44_vgpr45
	s_wait_xcnt 0x0
	v_cmpx_ge_u32_e64 v36, v16
	s_xor_b32 s0, exec_lo, s0
; %bb.89:
	v_xor_b32_e32 v44, 0xfffffcff, v0
	s_delay_alu instid0(VALU_DEP_1) | instskip(NEXT) | instid1(VALU_DEP_1)
	v_ashrrev_i32_e32 v45, 31, v44
	v_add_nc_u64_e32 v[44:45], v[42:43], v[44:45]
; %bb.90:
	s_and_not1_saveexec_b32 s0, s0
; %bb.91:
	v_add_nc_u64_e32 v[44:45], v[2:3], v[36:37]
; %bb.92:
	s_or_b32 exec_lo, exec_lo, s0
	s_delay_alu instid0(VALU_DEP_1)
	v_lshl_add_u64 v[44:45], v[44:45], 2, s[10:11]
	s_mov_b32 s0, exec_lo
	global_store_b32 v[44:45], v13, off
                                        ; implicit-def: $vgpr44_vgpr45
	s_wait_xcnt 0x0
	v_cmpx_ge_u32_e64 v34, v16
	s_xor_b32 s0, exec_lo, s0
; %bb.93:
	v_xor_b32_e32 v44, 0xfffffbff, v0
	;; [unrolled: 39-line block ×6, first 2 shown]
	s_delay_alu instid0(VALU_DEP_1) | instskip(NEXT) | instid1(VALU_DEP_1)
	v_ashrrev_i32_e32 v45, 31, v44
	v_add_nc_u64_e32 v[44:45], v[42:43], v[44:45]
; %bb.126:
	s_and_not1_saveexec_b32 s0, s0
; %bb.127:
	v_add_nc_u64_e32 v[44:45], v[2:3], v[18:19]
; %bb.128:
	s_or_b32 exec_lo, exec_lo, s0
	s_mov_b32 s0, -1
.LBB280_129:
	s_delay_alu instid0(SALU_CYCLE_1)
	s_and_saveexec_b32 s1, s0
	s_cbranch_execz .LBB280_212
.LBB280_130:
	s_delay_alu instid0(VALU_DEP_1)
	v_lshl_add_u64 v[0:1], v[44:45], 2, s[10:11]
	s_wait_dscnt 0x0
	global_store_b32 v[0:1], v46, off
	s_wait_xcnt 0x0
	s_or_b32 exec_lo, exec_lo, s1
	s_and_b32 s0, s2, s9
	s_delay_alu instid0(SALU_CYCLE_1)
	s_and_saveexec_b32 s1, s0
	s_cbranch_execnz .LBB280_213
.LBB280_131:
	s_sendmsg sendmsg(MSG_DEALLOC_VGPRS)
	s_endpgm
.LBB280_132:
	s_mov_b32 s0, 0
                                        ; implicit-def: $vgpr44_vgpr45
	s_cbranch_execz .LBB280_129
; %bb.133:
	s_mov_b32 s15, 0
	v_mov_b32_e32 v17, 0
	s_add_nc_u64 s[4:5], s[16:17], s[14:15]
	s_mov_b32 s1, exec_lo
	s_sub_nc_u64 s[4:5], s[18:19], s[4:5]
	s_delay_alu instid0(VALU_DEP_1) | instid1(SALU_CYCLE_1)
	v_add_nc_u64_e32 v[42:43], s[4:5], v[16:17]
	s_delay_alu instid0(VALU_DEP_1)
	v_add_nc_u64_e32 v[42:43], v[42:43], v[2:3]
	v_cmpx_gt_u32_e64 s22, v0
	s_cbranch_execz .LBB280_169
; %bb.134:
	s_mov_b32 s3, exec_lo
                                        ; implicit-def: $vgpr44_vgpr45
	v_cmpx_ge_u32_e64 v0, v16
	s_xor_b32 s3, exec_lo, s3
; %bb.135:
	v_not_b32_e32 v44, v0
	s_delay_alu instid0(VALU_DEP_1) | instskip(NEXT) | instid1(VALU_DEP_1)
	v_ashrrev_i32_e32 v45, 31, v44
	v_add_nc_u64_e32 v[44:45], v[42:43], v[44:45]
; %bb.136:
	s_and_not1_saveexec_b32 s3, s3
; %bb.137:
	v_add_nc_u64_e32 v[44:45], v[2:3], v[0:1]
; %bb.138:
	s_or_b32 exec_lo, exec_lo, s3
	s_delay_alu instid0(VALU_DEP_1) | instskip(SKIP_4) | instid1(SALU_CYCLE_1)
	v_lshl_add_u64 v[44:45], v[44:45], 2, s[10:11]
	s_wait_dscnt 0x6
	global_store_b32 v[44:45], v14, off
	s_wait_xcnt 0x0
	s_or_b32 exec_lo, exec_lo, s1
	s_mov_b32 s1, exec_lo
	v_cmpx_gt_u32_e64 s22, v40
	s_cbranch_execnz .LBB280_170
.LBB280_139:
	s_or_b32 exec_lo, exec_lo, s1
	s_delay_alu instid0(SALU_CYCLE_1)
	s_mov_b32 s1, exec_lo
	v_cmpx_gt_u32_e64 s22, v38
	s_cbranch_execz .LBB280_175
.LBB280_140:
	s_mov_b32 s3, exec_lo
                                        ; implicit-def: $vgpr14_vgpr15
	v_cmpx_ge_u32_e64 v38, v16
	s_xor_b32 s3, exec_lo, s3
	s_cbranch_execz .LBB280_142
; %bb.141:
	s_wait_dscnt 0x6
	v_xor_b32_e32 v14, 0xfffffdff, v0
                                        ; implicit-def: $vgpr38_vgpr39
	s_delay_alu instid0(VALU_DEP_1) | instskip(NEXT) | instid1(VALU_DEP_1)
	v_ashrrev_i32_e32 v15, 31, v14
	v_add_nc_u64_e32 v[14:15], v[42:43], v[14:15]
.LBB280_142:
	s_and_not1_saveexec_b32 s3, s3
	s_cbranch_execz .LBB280_144
; %bb.143:
	s_wait_dscnt 0x6
	v_add_nc_u64_e32 v[14:15], v[2:3], v[38:39]
.LBB280_144:
	s_or_b32 exec_lo, exec_lo, s3
	s_wait_dscnt 0x6
	s_delay_alu instid0(VALU_DEP_1) | instskip(SKIP_4) | instid1(SALU_CYCLE_1)
	v_lshl_add_u64 v[14:15], v[14:15], 2, s[10:11]
	s_wait_dscnt 0x5
	global_store_b32 v[14:15], v12, off
	s_wait_xcnt 0x0
	s_or_b32 exec_lo, exec_lo, s1
	s_mov_b32 s1, exec_lo
	v_cmpx_gt_u32_e64 s22, v36
	s_cbranch_execnz .LBB280_176
.LBB280_145:
	s_or_b32 exec_lo, exec_lo, s1
	s_delay_alu instid0(SALU_CYCLE_1)
	s_mov_b32 s1, exec_lo
	v_cmpx_gt_u32_e64 s22, v34
	s_cbranch_execz .LBB280_181
.LBB280_146:
	s_mov_b32 s3, exec_lo
                                        ; implicit-def: $vgpr12_vgpr13
	v_cmpx_ge_u32_e64 v34, v16
	s_xor_b32 s3, exec_lo, s3
	s_cbranch_execz .LBB280_148
; %bb.147:
	s_wait_dscnt 0x5
	v_xor_b32_e32 v12, 0xfffffbff, v0
                                        ; implicit-def: $vgpr34_vgpr35
	s_delay_alu instid0(VALU_DEP_1) | instskip(NEXT) | instid1(VALU_DEP_1)
	v_ashrrev_i32_e32 v13, 31, v12
	v_add_nc_u64_e32 v[12:13], v[42:43], v[12:13]
.LBB280_148:
	s_and_not1_saveexec_b32 s3, s3
	s_cbranch_execz .LBB280_150
; %bb.149:
	s_wait_dscnt 0x5
	v_add_nc_u64_e32 v[12:13], v[2:3], v[34:35]
.LBB280_150:
	s_or_b32 exec_lo, exec_lo, s3
	s_wait_dscnt 0x5
	s_delay_alu instid0(VALU_DEP_1) | instskip(SKIP_4) | instid1(SALU_CYCLE_1)
	v_lshl_add_u64 v[12:13], v[12:13], 2, s[10:11]
	s_wait_dscnt 0x4
	global_store_b32 v[12:13], v10, off
	s_wait_xcnt 0x0
	s_or_b32 exec_lo, exec_lo, s1
	s_mov_b32 s1, exec_lo
	v_cmpx_gt_u32_e64 s22, v32
	s_cbranch_execnz .LBB280_182
.LBB280_151:
	s_or_b32 exec_lo, exec_lo, s1
	s_delay_alu instid0(SALU_CYCLE_1)
	s_mov_b32 s1, exec_lo
	v_cmpx_gt_u32_e64 s22, v30
	s_cbranch_execz .LBB280_187
.LBB280_152:
	s_mov_b32 s3, exec_lo
                                        ; implicit-def: $vgpr10_vgpr11
	v_cmpx_ge_u32_e64 v30, v16
	s_xor_b32 s3, exec_lo, s3
	s_cbranch_execz .LBB280_154
; %bb.153:
	s_wait_dscnt 0x4
	v_xor_b32_e32 v10, 0xfffff9ff, v0
                                        ; implicit-def: $vgpr30_vgpr31
	s_delay_alu instid0(VALU_DEP_1) | instskip(NEXT) | instid1(VALU_DEP_1)
	v_ashrrev_i32_e32 v11, 31, v10
	v_add_nc_u64_e32 v[10:11], v[42:43], v[10:11]
.LBB280_154:
	s_and_not1_saveexec_b32 s3, s3
	s_cbranch_execz .LBB280_156
; %bb.155:
	s_wait_dscnt 0x4
	v_add_nc_u64_e32 v[10:11], v[2:3], v[30:31]
.LBB280_156:
	s_or_b32 exec_lo, exec_lo, s3
	s_wait_dscnt 0x4
	s_delay_alu instid0(VALU_DEP_1) | instskip(SKIP_4) | instid1(SALU_CYCLE_1)
	v_lshl_add_u64 v[10:11], v[10:11], 2, s[10:11]
	s_wait_dscnt 0x3
	global_store_b32 v[10:11], v8, off
	s_wait_xcnt 0x0
	s_or_b32 exec_lo, exec_lo, s1
	s_mov_b32 s1, exec_lo
	v_cmpx_gt_u32_e64 s22, v28
	s_cbranch_execnz .LBB280_188
.LBB280_157:
	s_or_b32 exec_lo, exec_lo, s1
	s_delay_alu instid0(SALU_CYCLE_1)
	s_mov_b32 s1, exec_lo
	v_cmpx_gt_u32_e64 s22, v26
	s_cbranch_execz .LBB280_193
.LBB280_158:
	s_mov_b32 s3, exec_lo
                                        ; implicit-def: $vgpr8_vgpr9
	v_cmpx_ge_u32_e64 v26, v16
	s_xor_b32 s3, exec_lo, s3
	s_cbranch_execz .LBB280_160
; %bb.159:
	s_wait_dscnt 0x3
	v_xor_b32_e32 v8, 0xfffff7ff, v0
                                        ; implicit-def: $vgpr26_vgpr27
	s_delay_alu instid0(VALU_DEP_1) | instskip(NEXT) | instid1(VALU_DEP_1)
	v_ashrrev_i32_e32 v9, 31, v8
	v_add_nc_u64_e32 v[8:9], v[42:43], v[8:9]
.LBB280_160:
	s_and_not1_saveexec_b32 s3, s3
	s_cbranch_execz .LBB280_162
; %bb.161:
	s_wait_dscnt 0x3
	v_add_nc_u64_e32 v[8:9], v[2:3], v[26:27]
.LBB280_162:
	s_or_b32 exec_lo, exec_lo, s3
	s_wait_dscnt 0x3
	s_delay_alu instid0(VALU_DEP_1) | instskip(SKIP_4) | instid1(SALU_CYCLE_1)
	v_lshl_add_u64 v[8:9], v[8:9], 2, s[10:11]
	s_wait_dscnt 0x2
	global_store_b32 v[8:9], v6, off
	s_wait_xcnt 0x0
	s_or_b32 exec_lo, exec_lo, s1
	s_mov_b32 s1, exec_lo
	v_cmpx_gt_u32_e64 s22, v24
	s_cbranch_execnz .LBB280_194
.LBB280_163:
	s_or_b32 exec_lo, exec_lo, s1
	s_delay_alu instid0(SALU_CYCLE_1)
	s_mov_b32 s1, exec_lo
	v_cmpx_gt_u32_e64 s22, v22
	s_cbranch_execz .LBB280_199
.LBB280_164:
	s_mov_b32 s3, exec_lo
                                        ; implicit-def: $vgpr6_vgpr7
	v_cmpx_ge_u32_e64 v22, v16
	s_xor_b32 s3, exec_lo, s3
	s_cbranch_execz .LBB280_166
; %bb.165:
	s_wait_dscnt 0x2
	v_xor_b32_e32 v6, 0xfffff5ff, v0
                                        ; implicit-def: $vgpr22_vgpr23
	s_delay_alu instid0(VALU_DEP_1) | instskip(NEXT) | instid1(VALU_DEP_1)
	v_ashrrev_i32_e32 v7, 31, v6
	v_add_nc_u64_e32 v[6:7], v[42:43], v[6:7]
.LBB280_166:
	s_and_not1_saveexec_b32 s3, s3
	s_cbranch_execz .LBB280_168
; %bb.167:
	s_wait_dscnt 0x2
	v_add_nc_u64_e32 v[6:7], v[2:3], v[22:23]
.LBB280_168:
	s_or_b32 exec_lo, exec_lo, s3
	s_wait_dscnt 0x2
	s_delay_alu instid0(VALU_DEP_1) | instskip(SKIP_4) | instid1(SALU_CYCLE_1)
	v_lshl_add_u64 v[6:7], v[6:7], 2, s[10:11]
	s_wait_dscnt 0x1
	global_store_b32 v[6:7], v4, off
	s_wait_xcnt 0x0
	s_or_b32 exec_lo, exec_lo, s1
	s_mov_b32 s1, exec_lo
	v_cmpx_gt_u32_e64 s22, v20
	s_cbranch_execz .LBB280_205
	s_branch .LBB280_200
.LBB280_169:
	s_or_b32 exec_lo, exec_lo, s1
	s_delay_alu instid0(SALU_CYCLE_1)
	s_mov_b32 s1, exec_lo
	v_cmpx_gt_u32_e64 s22, v40
	s_cbranch_execz .LBB280_139
.LBB280_170:
	s_mov_b32 s3, exec_lo
                                        ; implicit-def: $vgpr44_vgpr45
	v_cmpx_ge_u32_e64 v40, v16
	s_xor_b32 s3, exec_lo, s3
; %bb.171:
	v_xor_b32_e32 v40, 0xfffffeff, v0
	s_delay_alu instid0(VALU_DEP_1) | instskip(NEXT) | instid1(VALU_DEP_1)
	v_ashrrev_i32_e32 v41, 31, v40
	v_add_nc_u64_e32 v[44:45], v[42:43], v[40:41]
                                        ; implicit-def: $vgpr40_vgpr41
; %bb.172:
	s_and_not1_saveexec_b32 s3, s3
; %bb.173:
	v_add_nc_u64_e32 v[44:45], v[2:3], v[40:41]
; %bb.174:
	s_or_b32 exec_lo, exec_lo, s3
	s_delay_alu instid0(VALU_DEP_1) | instskip(SKIP_4) | instid1(SALU_CYCLE_1)
	v_lshl_add_u64 v[40:41], v[44:45], 2, s[10:11]
	s_wait_dscnt 0x6
	global_store_b32 v[40:41], v15, off
	s_wait_xcnt 0x0
	s_or_b32 exec_lo, exec_lo, s1
	s_mov_b32 s1, exec_lo
	v_cmpx_gt_u32_e64 s22, v38
	s_cbranch_execnz .LBB280_140
.LBB280_175:
	s_or_b32 exec_lo, exec_lo, s1
	s_delay_alu instid0(SALU_CYCLE_1)
	s_mov_b32 s1, exec_lo
	v_cmpx_gt_u32_e64 s22, v36
	s_cbranch_execz .LBB280_145
.LBB280_176:
	s_mov_b32 s3, exec_lo
                                        ; implicit-def: $vgpr14_vgpr15
	v_cmpx_ge_u32_e64 v36, v16
	s_xor_b32 s3, exec_lo, s3
	s_cbranch_execz .LBB280_178
; %bb.177:
	s_wait_dscnt 0x6
	v_xor_b32_e32 v14, 0xfffffcff, v0
                                        ; implicit-def: $vgpr36_vgpr37
	s_delay_alu instid0(VALU_DEP_1) | instskip(NEXT) | instid1(VALU_DEP_1)
	v_ashrrev_i32_e32 v15, 31, v14
	v_add_nc_u64_e32 v[14:15], v[42:43], v[14:15]
.LBB280_178:
	s_and_not1_saveexec_b32 s3, s3
	s_cbranch_execz .LBB280_180
; %bb.179:
	s_wait_dscnt 0x6
	v_add_nc_u64_e32 v[14:15], v[2:3], v[36:37]
.LBB280_180:
	s_or_b32 exec_lo, exec_lo, s3
	s_wait_dscnt 0x6
	s_delay_alu instid0(VALU_DEP_1) | instskip(SKIP_4) | instid1(SALU_CYCLE_1)
	v_lshl_add_u64 v[14:15], v[14:15], 2, s[10:11]
	s_wait_dscnt 0x5
	global_store_b32 v[14:15], v13, off
	s_wait_xcnt 0x0
	s_or_b32 exec_lo, exec_lo, s1
	s_mov_b32 s1, exec_lo
	v_cmpx_gt_u32_e64 s22, v34
	s_cbranch_execnz .LBB280_146
.LBB280_181:
	s_or_b32 exec_lo, exec_lo, s1
	s_delay_alu instid0(SALU_CYCLE_1)
	s_mov_b32 s1, exec_lo
	v_cmpx_gt_u32_e64 s22, v32
	s_cbranch_execz .LBB280_151
.LBB280_182:
	s_mov_b32 s3, exec_lo
                                        ; implicit-def: $vgpr12_vgpr13
	v_cmpx_ge_u32_e64 v32, v16
	s_xor_b32 s3, exec_lo, s3
	s_cbranch_execz .LBB280_184
; %bb.183:
	s_wait_dscnt 0x5
	v_xor_b32_e32 v12, 0xfffffaff, v0
                                        ; implicit-def: $vgpr32_vgpr33
	s_delay_alu instid0(VALU_DEP_1) | instskip(NEXT) | instid1(VALU_DEP_1)
	v_ashrrev_i32_e32 v13, 31, v12
	v_add_nc_u64_e32 v[12:13], v[42:43], v[12:13]
.LBB280_184:
	s_and_not1_saveexec_b32 s3, s3
	s_cbranch_execz .LBB280_186
; %bb.185:
	s_wait_dscnt 0x5
	v_add_nc_u64_e32 v[12:13], v[2:3], v[32:33]
.LBB280_186:
	s_or_b32 exec_lo, exec_lo, s3
	s_wait_dscnt 0x5
	s_delay_alu instid0(VALU_DEP_1) | instskip(SKIP_4) | instid1(SALU_CYCLE_1)
	v_lshl_add_u64 v[12:13], v[12:13], 2, s[10:11]
	s_wait_dscnt 0x4
	global_store_b32 v[12:13], v11, off
	s_wait_xcnt 0x0
	s_or_b32 exec_lo, exec_lo, s1
	s_mov_b32 s1, exec_lo
	v_cmpx_gt_u32_e64 s22, v30
	s_cbranch_execnz .LBB280_152
.LBB280_187:
	s_or_b32 exec_lo, exec_lo, s1
	s_delay_alu instid0(SALU_CYCLE_1)
	s_mov_b32 s1, exec_lo
	v_cmpx_gt_u32_e64 s22, v28
	s_cbranch_execz .LBB280_157
.LBB280_188:
	s_mov_b32 s3, exec_lo
                                        ; implicit-def: $vgpr10_vgpr11
	v_cmpx_ge_u32_e64 v28, v16
	s_xor_b32 s3, exec_lo, s3
	s_cbranch_execz .LBB280_190
; %bb.189:
	s_wait_dscnt 0x4
	v_xor_b32_e32 v10, 0xfffff8ff, v0
                                        ; implicit-def: $vgpr28_vgpr29
	s_delay_alu instid0(VALU_DEP_1) | instskip(NEXT) | instid1(VALU_DEP_1)
	v_ashrrev_i32_e32 v11, 31, v10
	v_add_nc_u64_e32 v[10:11], v[42:43], v[10:11]
.LBB280_190:
	s_and_not1_saveexec_b32 s3, s3
	s_cbranch_execz .LBB280_192
; %bb.191:
	s_wait_dscnt 0x4
	v_add_nc_u64_e32 v[10:11], v[2:3], v[28:29]
.LBB280_192:
	s_or_b32 exec_lo, exec_lo, s3
	s_wait_dscnt 0x4
	s_delay_alu instid0(VALU_DEP_1) | instskip(SKIP_4) | instid1(SALU_CYCLE_1)
	v_lshl_add_u64 v[10:11], v[10:11], 2, s[10:11]
	s_wait_dscnt 0x3
	global_store_b32 v[10:11], v9, off
	s_wait_xcnt 0x0
	s_or_b32 exec_lo, exec_lo, s1
	s_mov_b32 s1, exec_lo
	v_cmpx_gt_u32_e64 s22, v26
	s_cbranch_execnz .LBB280_158
.LBB280_193:
	s_or_b32 exec_lo, exec_lo, s1
	s_delay_alu instid0(SALU_CYCLE_1)
	s_mov_b32 s1, exec_lo
	v_cmpx_gt_u32_e64 s22, v24
	s_cbranch_execz .LBB280_163
.LBB280_194:
	s_mov_b32 s3, exec_lo
                                        ; implicit-def: $vgpr8_vgpr9
	v_cmpx_ge_u32_e64 v24, v16
	s_xor_b32 s3, exec_lo, s3
	s_cbranch_execz .LBB280_196
; %bb.195:
	s_wait_dscnt 0x3
	v_xor_b32_e32 v8, 0xfffff6ff, v0
                                        ; implicit-def: $vgpr24_vgpr25
	s_delay_alu instid0(VALU_DEP_1) | instskip(NEXT) | instid1(VALU_DEP_1)
	v_ashrrev_i32_e32 v9, 31, v8
	v_add_nc_u64_e32 v[8:9], v[42:43], v[8:9]
.LBB280_196:
	s_and_not1_saveexec_b32 s3, s3
	s_cbranch_execz .LBB280_198
; %bb.197:
	s_wait_dscnt 0x3
	v_add_nc_u64_e32 v[8:9], v[2:3], v[24:25]
.LBB280_198:
	s_or_b32 exec_lo, exec_lo, s3
	s_wait_dscnt 0x3
	s_delay_alu instid0(VALU_DEP_1) | instskip(SKIP_4) | instid1(SALU_CYCLE_1)
	v_lshl_add_u64 v[8:9], v[8:9], 2, s[10:11]
	s_wait_dscnt 0x2
	global_store_b32 v[8:9], v7, off
	s_wait_xcnt 0x0
	s_or_b32 exec_lo, exec_lo, s1
	s_mov_b32 s1, exec_lo
	v_cmpx_gt_u32_e64 s22, v22
	s_cbranch_execnz .LBB280_164
.LBB280_199:
	s_or_b32 exec_lo, exec_lo, s1
	s_delay_alu instid0(SALU_CYCLE_1)
	s_mov_b32 s1, exec_lo
	v_cmpx_gt_u32_e64 s22, v20
	s_cbranch_execz .LBB280_205
.LBB280_200:
	s_mov_b32 s3, exec_lo
                                        ; implicit-def: $vgpr6_vgpr7
	v_cmpx_ge_u32_e64 v20, v16
	s_xor_b32 s3, exec_lo, s3
	s_cbranch_execz .LBB280_202
; %bb.201:
	s_wait_dscnt 0x2
	v_xor_b32_e32 v6, 0xfffff4ff, v0
                                        ; implicit-def: $vgpr20_vgpr21
	s_delay_alu instid0(VALU_DEP_1) | instskip(NEXT) | instid1(VALU_DEP_1)
	v_ashrrev_i32_e32 v7, 31, v6
	v_add_nc_u64_e32 v[6:7], v[42:43], v[6:7]
.LBB280_202:
	s_and_not1_saveexec_b32 s3, s3
	s_cbranch_execz .LBB280_204
; %bb.203:
	s_wait_dscnt 0x2
	v_add_nc_u64_e32 v[6:7], v[2:3], v[20:21]
.LBB280_204:
	s_or_b32 exec_lo, exec_lo, s3
	s_wait_dscnt 0x2
	s_delay_alu instid0(VALU_DEP_1)
	v_lshl_add_u64 v[6:7], v[6:7], 2, s[10:11]
	s_wait_dscnt 0x1
	global_store_b32 v[6:7], v5, off
.LBB280_205:
	s_wait_xcnt 0x0
	s_or_b32 exec_lo, exec_lo, s1
	s_delay_alu instid0(SALU_CYCLE_1)
	s_mov_b32 s1, exec_lo
                                        ; implicit-def: $vgpr44_vgpr45
	v_cmpx_gt_u32_e64 s22, v18
	s_cbranch_execz .LBB280_211
; %bb.206:
	s_mov_b32 s3, exec_lo
                                        ; implicit-def: $vgpr44_vgpr45
	v_cmpx_ge_u32_e64 v18, v16
	s_xor_b32 s3, exec_lo, s3
; %bb.207:
	v_xor_b32_e32 v0, 0xfffff3ff, v0
                                        ; implicit-def: $vgpr18_vgpr19
	s_delay_alu instid0(VALU_DEP_1) | instskip(NEXT) | instid1(VALU_DEP_1)
	v_ashrrev_i32_e32 v1, 31, v0
	v_add_nc_u64_e32 v[44:45], v[42:43], v[0:1]
; %bb.208:
	s_and_not1_saveexec_b32 s3, s3
; %bb.209:
	v_add_nc_u64_e32 v[44:45], v[2:3], v[18:19]
; %bb.210:
	s_or_b32 exec_lo, exec_lo, s3
	s_delay_alu instid0(SALU_CYCLE_1)
	s_or_b32 s0, s0, exec_lo
.LBB280_211:
	s_or_b32 exec_lo, exec_lo, s1
	s_and_saveexec_b32 s1, s0
	s_cbranch_execnz .LBB280_130
.LBB280_212:
	s_or_b32 exec_lo, exec_lo, s1
	s_and_b32 s0, s2, s9
	s_delay_alu instid0(SALU_CYCLE_1)
	s_and_saveexec_b32 s1, s0
	s_cbranch_execz .LBB280_131
.LBB280_213:
	v_mov_b32_e32 v17, 0
	s_delay_alu instid0(VALU_DEP_1)
	v_add_nc_u64_e32 v[0:1], v[2:3], v[16:17]
	global_store_b64 v17, v[0:1], s[12:13]
	s_sendmsg sendmsg(MSG_DEALLOC_VGPRS)
	s_endpgm
	.section	.rodata,"a",@progbits
	.p2align	6, 0x0
	.amdhsa_kernel _ZN7rocprim17ROCPRIM_400000_NS6detail17trampoline_kernelINS0_13select_configILj256ELj13ELNS0_17block_load_methodE3ELS4_3ELS4_3ELNS0_20block_scan_algorithmE0ELj4294967295EEENS1_25partition_config_selectorILNS1_17partition_subalgoE3EjNS0_10empty_typeEbEEZZNS1_14partition_implILS8_3ELb0ES6_jNS0_17counting_iteratorIjlEEPS9_SE_NS0_5tupleIJPjSE_EEENSF_IJSE_SE_EEES9_SG_JZNS1_25segmented_radix_sort_implINS0_14default_configELb1EPKaPaPKlPlN2at6native12_GLOBAL__N_18offset_tEEE10hipError_tPvRmT1_PNSt15iterator_traitsISY_E10value_typeET2_T3_PNSZ_IS14_E10value_typeET4_jRbjT5_S1A_jjP12ihipStream_tbEUljE_EEESV_SW_SX_S14_S18_S1A_T6_T7_T9_mT8_S1C_bDpT10_ENKUlT_T0_E_clISt17integral_constantIbLb0EES1O_IbLb1EEEEDaS1K_S1L_EUlS1K_E_NS1_11comp_targetILNS1_3genE0ELNS1_11target_archE4294967295ELNS1_3gpuE0ELNS1_3repE0EEENS1_30default_config_static_selectorELNS0_4arch9wavefront6targetE0EEEvSY_
		.amdhsa_group_segment_fixed_size 13320
		.amdhsa_private_segment_fixed_size 0
		.amdhsa_kernarg_size 152
		.amdhsa_user_sgpr_count 2
		.amdhsa_user_sgpr_dispatch_ptr 0
		.amdhsa_user_sgpr_queue_ptr 0
		.amdhsa_user_sgpr_kernarg_segment_ptr 1
		.amdhsa_user_sgpr_dispatch_id 0
		.amdhsa_user_sgpr_kernarg_preload_length 0
		.amdhsa_user_sgpr_kernarg_preload_offset 0
		.amdhsa_user_sgpr_private_segment_size 0
		.amdhsa_wavefront_size32 1
		.amdhsa_uses_dynamic_stack 0
		.amdhsa_enable_private_segment 0
		.amdhsa_system_sgpr_workgroup_id_x 1
		.amdhsa_system_sgpr_workgroup_id_y 0
		.amdhsa_system_sgpr_workgroup_id_z 0
		.amdhsa_system_sgpr_workgroup_info 0
		.amdhsa_system_vgpr_workitem_id 0
		.amdhsa_next_free_vgpr 72
		.amdhsa_next_free_sgpr 24
		.amdhsa_named_barrier_count 0
		.amdhsa_reserve_vcc 1
		.amdhsa_float_round_mode_32 0
		.amdhsa_float_round_mode_16_64 0
		.amdhsa_float_denorm_mode_32 3
		.amdhsa_float_denorm_mode_16_64 3
		.amdhsa_fp16_overflow 0
		.amdhsa_memory_ordered 1
		.amdhsa_forward_progress 1
		.amdhsa_inst_pref_size 71
		.amdhsa_round_robin_scheduling 0
		.amdhsa_exception_fp_ieee_invalid_op 0
		.amdhsa_exception_fp_denorm_src 0
		.amdhsa_exception_fp_ieee_div_zero 0
		.amdhsa_exception_fp_ieee_overflow 0
		.amdhsa_exception_fp_ieee_underflow 0
		.amdhsa_exception_fp_ieee_inexact 0
		.amdhsa_exception_int_div_zero 0
	.end_amdhsa_kernel
	.section	.text._ZN7rocprim17ROCPRIM_400000_NS6detail17trampoline_kernelINS0_13select_configILj256ELj13ELNS0_17block_load_methodE3ELS4_3ELS4_3ELNS0_20block_scan_algorithmE0ELj4294967295EEENS1_25partition_config_selectorILNS1_17partition_subalgoE3EjNS0_10empty_typeEbEEZZNS1_14partition_implILS8_3ELb0ES6_jNS0_17counting_iteratorIjlEEPS9_SE_NS0_5tupleIJPjSE_EEENSF_IJSE_SE_EEES9_SG_JZNS1_25segmented_radix_sort_implINS0_14default_configELb1EPKaPaPKlPlN2at6native12_GLOBAL__N_18offset_tEEE10hipError_tPvRmT1_PNSt15iterator_traitsISY_E10value_typeET2_T3_PNSZ_IS14_E10value_typeET4_jRbjT5_S1A_jjP12ihipStream_tbEUljE_EEESV_SW_SX_S14_S18_S1A_T6_T7_T9_mT8_S1C_bDpT10_ENKUlT_T0_E_clISt17integral_constantIbLb0EES1O_IbLb1EEEEDaS1K_S1L_EUlS1K_E_NS1_11comp_targetILNS1_3genE0ELNS1_11target_archE4294967295ELNS1_3gpuE0ELNS1_3repE0EEENS1_30default_config_static_selectorELNS0_4arch9wavefront6targetE0EEEvSY_,"axG",@progbits,_ZN7rocprim17ROCPRIM_400000_NS6detail17trampoline_kernelINS0_13select_configILj256ELj13ELNS0_17block_load_methodE3ELS4_3ELS4_3ELNS0_20block_scan_algorithmE0ELj4294967295EEENS1_25partition_config_selectorILNS1_17partition_subalgoE3EjNS0_10empty_typeEbEEZZNS1_14partition_implILS8_3ELb0ES6_jNS0_17counting_iteratorIjlEEPS9_SE_NS0_5tupleIJPjSE_EEENSF_IJSE_SE_EEES9_SG_JZNS1_25segmented_radix_sort_implINS0_14default_configELb1EPKaPaPKlPlN2at6native12_GLOBAL__N_18offset_tEEE10hipError_tPvRmT1_PNSt15iterator_traitsISY_E10value_typeET2_T3_PNSZ_IS14_E10value_typeET4_jRbjT5_S1A_jjP12ihipStream_tbEUljE_EEESV_SW_SX_S14_S18_S1A_T6_T7_T9_mT8_S1C_bDpT10_ENKUlT_T0_E_clISt17integral_constantIbLb0EES1O_IbLb1EEEEDaS1K_S1L_EUlS1K_E_NS1_11comp_targetILNS1_3genE0ELNS1_11target_archE4294967295ELNS1_3gpuE0ELNS1_3repE0EEENS1_30default_config_static_selectorELNS0_4arch9wavefront6targetE0EEEvSY_,comdat
.Lfunc_end280:
	.size	_ZN7rocprim17ROCPRIM_400000_NS6detail17trampoline_kernelINS0_13select_configILj256ELj13ELNS0_17block_load_methodE3ELS4_3ELS4_3ELNS0_20block_scan_algorithmE0ELj4294967295EEENS1_25partition_config_selectorILNS1_17partition_subalgoE3EjNS0_10empty_typeEbEEZZNS1_14partition_implILS8_3ELb0ES6_jNS0_17counting_iteratorIjlEEPS9_SE_NS0_5tupleIJPjSE_EEENSF_IJSE_SE_EEES9_SG_JZNS1_25segmented_radix_sort_implINS0_14default_configELb1EPKaPaPKlPlN2at6native12_GLOBAL__N_18offset_tEEE10hipError_tPvRmT1_PNSt15iterator_traitsISY_E10value_typeET2_T3_PNSZ_IS14_E10value_typeET4_jRbjT5_S1A_jjP12ihipStream_tbEUljE_EEESV_SW_SX_S14_S18_S1A_T6_T7_T9_mT8_S1C_bDpT10_ENKUlT_T0_E_clISt17integral_constantIbLb0EES1O_IbLb1EEEEDaS1K_S1L_EUlS1K_E_NS1_11comp_targetILNS1_3genE0ELNS1_11target_archE4294967295ELNS1_3gpuE0ELNS1_3repE0EEENS1_30default_config_static_selectorELNS0_4arch9wavefront6targetE0EEEvSY_, .Lfunc_end280-_ZN7rocprim17ROCPRIM_400000_NS6detail17trampoline_kernelINS0_13select_configILj256ELj13ELNS0_17block_load_methodE3ELS4_3ELS4_3ELNS0_20block_scan_algorithmE0ELj4294967295EEENS1_25partition_config_selectorILNS1_17partition_subalgoE3EjNS0_10empty_typeEbEEZZNS1_14partition_implILS8_3ELb0ES6_jNS0_17counting_iteratorIjlEEPS9_SE_NS0_5tupleIJPjSE_EEENSF_IJSE_SE_EEES9_SG_JZNS1_25segmented_radix_sort_implINS0_14default_configELb1EPKaPaPKlPlN2at6native12_GLOBAL__N_18offset_tEEE10hipError_tPvRmT1_PNSt15iterator_traitsISY_E10value_typeET2_T3_PNSZ_IS14_E10value_typeET4_jRbjT5_S1A_jjP12ihipStream_tbEUljE_EEESV_SW_SX_S14_S18_S1A_T6_T7_T9_mT8_S1C_bDpT10_ENKUlT_T0_E_clISt17integral_constantIbLb0EES1O_IbLb1EEEEDaS1K_S1L_EUlS1K_E_NS1_11comp_targetILNS1_3genE0ELNS1_11target_archE4294967295ELNS1_3gpuE0ELNS1_3repE0EEENS1_30default_config_static_selectorELNS0_4arch9wavefront6targetE0EEEvSY_
                                        ; -- End function
	.set _ZN7rocprim17ROCPRIM_400000_NS6detail17trampoline_kernelINS0_13select_configILj256ELj13ELNS0_17block_load_methodE3ELS4_3ELS4_3ELNS0_20block_scan_algorithmE0ELj4294967295EEENS1_25partition_config_selectorILNS1_17partition_subalgoE3EjNS0_10empty_typeEbEEZZNS1_14partition_implILS8_3ELb0ES6_jNS0_17counting_iteratorIjlEEPS9_SE_NS0_5tupleIJPjSE_EEENSF_IJSE_SE_EEES9_SG_JZNS1_25segmented_radix_sort_implINS0_14default_configELb1EPKaPaPKlPlN2at6native12_GLOBAL__N_18offset_tEEE10hipError_tPvRmT1_PNSt15iterator_traitsISY_E10value_typeET2_T3_PNSZ_IS14_E10value_typeET4_jRbjT5_S1A_jjP12ihipStream_tbEUljE_EEESV_SW_SX_S14_S18_S1A_T6_T7_T9_mT8_S1C_bDpT10_ENKUlT_T0_E_clISt17integral_constantIbLb0EES1O_IbLb1EEEEDaS1K_S1L_EUlS1K_E_NS1_11comp_targetILNS1_3genE0ELNS1_11target_archE4294967295ELNS1_3gpuE0ELNS1_3repE0EEENS1_30default_config_static_selectorELNS0_4arch9wavefront6targetE0EEEvSY_.num_vgpr, 72
	.set _ZN7rocprim17ROCPRIM_400000_NS6detail17trampoline_kernelINS0_13select_configILj256ELj13ELNS0_17block_load_methodE3ELS4_3ELS4_3ELNS0_20block_scan_algorithmE0ELj4294967295EEENS1_25partition_config_selectorILNS1_17partition_subalgoE3EjNS0_10empty_typeEbEEZZNS1_14partition_implILS8_3ELb0ES6_jNS0_17counting_iteratorIjlEEPS9_SE_NS0_5tupleIJPjSE_EEENSF_IJSE_SE_EEES9_SG_JZNS1_25segmented_radix_sort_implINS0_14default_configELb1EPKaPaPKlPlN2at6native12_GLOBAL__N_18offset_tEEE10hipError_tPvRmT1_PNSt15iterator_traitsISY_E10value_typeET2_T3_PNSZ_IS14_E10value_typeET4_jRbjT5_S1A_jjP12ihipStream_tbEUljE_EEESV_SW_SX_S14_S18_S1A_T6_T7_T9_mT8_S1C_bDpT10_ENKUlT_T0_E_clISt17integral_constantIbLb0EES1O_IbLb1EEEEDaS1K_S1L_EUlS1K_E_NS1_11comp_targetILNS1_3genE0ELNS1_11target_archE4294967295ELNS1_3gpuE0ELNS1_3repE0EEENS1_30default_config_static_selectorELNS0_4arch9wavefront6targetE0EEEvSY_.num_agpr, 0
	.set _ZN7rocprim17ROCPRIM_400000_NS6detail17trampoline_kernelINS0_13select_configILj256ELj13ELNS0_17block_load_methodE3ELS4_3ELS4_3ELNS0_20block_scan_algorithmE0ELj4294967295EEENS1_25partition_config_selectorILNS1_17partition_subalgoE3EjNS0_10empty_typeEbEEZZNS1_14partition_implILS8_3ELb0ES6_jNS0_17counting_iteratorIjlEEPS9_SE_NS0_5tupleIJPjSE_EEENSF_IJSE_SE_EEES9_SG_JZNS1_25segmented_radix_sort_implINS0_14default_configELb1EPKaPaPKlPlN2at6native12_GLOBAL__N_18offset_tEEE10hipError_tPvRmT1_PNSt15iterator_traitsISY_E10value_typeET2_T3_PNSZ_IS14_E10value_typeET4_jRbjT5_S1A_jjP12ihipStream_tbEUljE_EEESV_SW_SX_S14_S18_S1A_T6_T7_T9_mT8_S1C_bDpT10_ENKUlT_T0_E_clISt17integral_constantIbLb0EES1O_IbLb1EEEEDaS1K_S1L_EUlS1K_E_NS1_11comp_targetILNS1_3genE0ELNS1_11target_archE4294967295ELNS1_3gpuE0ELNS1_3repE0EEENS1_30default_config_static_selectorELNS0_4arch9wavefront6targetE0EEEvSY_.numbered_sgpr, 24
	.set _ZN7rocprim17ROCPRIM_400000_NS6detail17trampoline_kernelINS0_13select_configILj256ELj13ELNS0_17block_load_methodE3ELS4_3ELS4_3ELNS0_20block_scan_algorithmE0ELj4294967295EEENS1_25partition_config_selectorILNS1_17partition_subalgoE3EjNS0_10empty_typeEbEEZZNS1_14partition_implILS8_3ELb0ES6_jNS0_17counting_iteratorIjlEEPS9_SE_NS0_5tupleIJPjSE_EEENSF_IJSE_SE_EEES9_SG_JZNS1_25segmented_radix_sort_implINS0_14default_configELb1EPKaPaPKlPlN2at6native12_GLOBAL__N_18offset_tEEE10hipError_tPvRmT1_PNSt15iterator_traitsISY_E10value_typeET2_T3_PNSZ_IS14_E10value_typeET4_jRbjT5_S1A_jjP12ihipStream_tbEUljE_EEESV_SW_SX_S14_S18_S1A_T6_T7_T9_mT8_S1C_bDpT10_ENKUlT_T0_E_clISt17integral_constantIbLb0EES1O_IbLb1EEEEDaS1K_S1L_EUlS1K_E_NS1_11comp_targetILNS1_3genE0ELNS1_11target_archE4294967295ELNS1_3gpuE0ELNS1_3repE0EEENS1_30default_config_static_selectorELNS0_4arch9wavefront6targetE0EEEvSY_.num_named_barrier, 0
	.set _ZN7rocprim17ROCPRIM_400000_NS6detail17trampoline_kernelINS0_13select_configILj256ELj13ELNS0_17block_load_methodE3ELS4_3ELS4_3ELNS0_20block_scan_algorithmE0ELj4294967295EEENS1_25partition_config_selectorILNS1_17partition_subalgoE3EjNS0_10empty_typeEbEEZZNS1_14partition_implILS8_3ELb0ES6_jNS0_17counting_iteratorIjlEEPS9_SE_NS0_5tupleIJPjSE_EEENSF_IJSE_SE_EEES9_SG_JZNS1_25segmented_radix_sort_implINS0_14default_configELb1EPKaPaPKlPlN2at6native12_GLOBAL__N_18offset_tEEE10hipError_tPvRmT1_PNSt15iterator_traitsISY_E10value_typeET2_T3_PNSZ_IS14_E10value_typeET4_jRbjT5_S1A_jjP12ihipStream_tbEUljE_EEESV_SW_SX_S14_S18_S1A_T6_T7_T9_mT8_S1C_bDpT10_ENKUlT_T0_E_clISt17integral_constantIbLb0EES1O_IbLb1EEEEDaS1K_S1L_EUlS1K_E_NS1_11comp_targetILNS1_3genE0ELNS1_11target_archE4294967295ELNS1_3gpuE0ELNS1_3repE0EEENS1_30default_config_static_selectorELNS0_4arch9wavefront6targetE0EEEvSY_.private_seg_size, 0
	.set _ZN7rocprim17ROCPRIM_400000_NS6detail17trampoline_kernelINS0_13select_configILj256ELj13ELNS0_17block_load_methodE3ELS4_3ELS4_3ELNS0_20block_scan_algorithmE0ELj4294967295EEENS1_25partition_config_selectorILNS1_17partition_subalgoE3EjNS0_10empty_typeEbEEZZNS1_14partition_implILS8_3ELb0ES6_jNS0_17counting_iteratorIjlEEPS9_SE_NS0_5tupleIJPjSE_EEENSF_IJSE_SE_EEES9_SG_JZNS1_25segmented_radix_sort_implINS0_14default_configELb1EPKaPaPKlPlN2at6native12_GLOBAL__N_18offset_tEEE10hipError_tPvRmT1_PNSt15iterator_traitsISY_E10value_typeET2_T3_PNSZ_IS14_E10value_typeET4_jRbjT5_S1A_jjP12ihipStream_tbEUljE_EEESV_SW_SX_S14_S18_S1A_T6_T7_T9_mT8_S1C_bDpT10_ENKUlT_T0_E_clISt17integral_constantIbLb0EES1O_IbLb1EEEEDaS1K_S1L_EUlS1K_E_NS1_11comp_targetILNS1_3genE0ELNS1_11target_archE4294967295ELNS1_3gpuE0ELNS1_3repE0EEENS1_30default_config_static_selectorELNS0_4arch9wavefront6targetE0EEEvSY_.uses_vcc, 1
	.set _ZN7rocprim17ROCPRIM_400000_NS6detail17trampoline_kernelINS0_13select_configILj256ELj13ELNS0_17block_load_methodE3ELS4_3ELS4_3ELNS0_20block_scan_algorithmE0ELj4294967295EEENS1_25partition_config_selectorILNS1_17partition_subalgoE3EjNS0_10empty_typeEbEEZZNS1_14partition_implILS8_3ELb0ES6_jNS0_17counting_iteratorIjlEEPS9_SE_NS0_5tupleIJPjSE_EEENSF_IJSE_SE_EEES9_SG_JZNS1_25segmented_radix_sort_implINS0_14default_configELb1EPKaPaPKlPlN2at6native12_GLOBAL__N_18offset_tEEE10hipError_tPvRmT1_PNSt15iterator_traitsISY_E10value_typeET2_T3_PNSZ_IS14_E10value_typeET4_jRbjT5_S1A_jjP12ihipStream_tbEUljE_EEESV_SW_SX_S14_S18_S1A_T6_T7_T9_mT8_S1C_bDpT10_ENKUlT_T0_E_clISt17integral_constantIbLb0EES1O_IbLb1EEEEDaS1K_S1L_EUlS1K_E_NS1_11comp_targetILNS1_3genE0ELNS1_11target_archE4294967295ELNS1_3gpuE0ELNS1_3repE0EEENS1_30default_config_static_selectorELNS0_4arch9wavefront6targetE0EEEvSY_.uses_flat_scratch, 0
	.set _ZN7rocprim17ROCPRIM_400000_NS6detail17trampoline_kernelINS0_13select_configILj256ELj13ELNS0_17block_load_methodE3ELS4_3ELS4_3ELNS0_20block_scan_algorithmE0ELj4294967295EEENS1_25partition_config_selectorILNS1_17partition_subalgoE3EjNS0_10empty_typeEbEEZZNS1_14partition_implILS8_3ELb0ES6_jNS0_17counting_iteratorIjlEEPS9_SE_NS0_5tupleIJPjSE_EEENSF_IJSE_SE_EEES9_SG_JZNS1_25segmented_radix_sort_implINS0_14default_configELb1EPKaPaPKlPlN2at6native12_GLOBAL__N_18offset_tEEE10hipError_tPvRmT1_PNSt15iterator_traitsISY_E10value_typeET2_T3_PNSZ_IS14_E10value_typeET4_jRbjT5_S1A_jjP12ihipStream_tbEUljE_EEESV_SW_SX_S14_S18_S1A_T6_T7_T9_mT8_S1C_bDpT10_ENKUlT_T0_E_clISt17integral_constantIbLb0EES1O_IbLb1EEEEDaS1K_S1L_EUlS1K_E_NS1_11comp_targetILNS1_3genE0ELNS1_11target_archE4294967295ELNS1_3gpuE0ELNS1_3repE0EEENS1_30default_config_static_selectorELNS0_4arch9wavefront6targetE0EEEvSY_.has_dyn_sized_stack, 0
	.set _ZN7rocprim17ROCPRIM_400000_NS6detail17trampoline_kernelINS0_13select_configILj256ELj13ELNS0_17block_load_methodE3ELS4_3ELS4_3ELNS0_20block_scan_algorithmE0ELj4294967295EEENS1_25partition_config_selectorILNS1_17partition_subalgoE3EjNS0_10empty_typeEbEEZZNS1_14partition_implILS8_3ELb0ES6_jNS0_17counting_iteratorIjlEEPS9_SE_NS0_5tupleIJPjSE_EEENSF_IJSE_SE_EEES9_SG_JZNS1_25segmented_radix_sort_implINS0_14default_configELb1EPKaPaPKlPlN2at6native12_GLOBAL__N_18offset_tEEE10hipError_tPvRmT1_PNSt15iterator_traitsISY_E10value_typeET2_T3_PNSZ_IS14_E10value_typeET4_jRbjT5_S1A_jjP12ihipStream_tbEUljE_EEESV_SW_SX_S14_S18_S1A_T6_T7_T9_mT8_S1C_bDpT10_ENKUlT_T0_E_clISt17integral_constantIbLb0EES1O_IbLb1EEEEDaS1K_S1L_EUlS1K_E_NS1_11comp_targetILNS1_3genE0ELNS1_11target_archE4294967295ELNS1_3gpuE0ELNS1_3repE0EEENS1_30default_config_static_selectorELNS0_4arch9wavefront6targetE0EEEvSY_.has_recursion, 0
	.set _ZN7rocprim17ROCPRIM_400000_NS6detail17trampoline_kernelINS0_13select_configILj256ELj13ELNS0_17block_load_methodE3ELS4_3ELS4_3ELNS0_20block_scan_algorithmE0ELj4294967295EEENS1_25partition_config_selectorILNS1_17partition_subalgoE3EjNS0_10empty_typeEbEEZZNS1_14partition_implILS8_3ELb0ES6_jNS0_17counting_iteratorIjlEEPS9_SE_NS0_5tupleIJPjSE_EEENSF_IJSE_SE_EEES9_SG_JZNS1_25segmented_radix_sort_implINS0_14default_configELb1EPKaPaPKlPlN2at6native12_GLOBAL__N_18offset_tEEE10hipError_tPvRmT1_PNSt15iterator_traitsISY_E10value_typeET2_T3_PNSZ_IS14_E10value_typeET4_jRbjT5_S1A_jjP12ihipStream_tbEUljE_EEESV_SW_SX_S14_S18_S1A_T6_T7_T9_mT8_S1C_bDpT10_ENKUlT_T0_E_clISt17integral_constantIbLb0EES1O_IbLb1EEEEDaS1K_S1L_EUlS1K_E_NS1_11comp_targetILNS1_3genE0ELNS1_11target_archE4294967295ELNS1_3gpuE0ELNS1_3repE0EEENS1_30default_config_static_selectorELNS0_4arch9wavefront6targetE0EEEvSY_.has_indirect_call, 0
	.section	.AMDGPU.csdata,"",@progbits
; Kernel info:
; codeLenInByte = 9040
; TotalNumSgprs: 26
; NumVgprs: 72
; ScratchSize: 0
; MemoryBound: 0
; FloatMode: 240
; IeeeMode: 1
; LDSByteSize: 13320 bytes/workgroup (compile time only)
; SGPRBlocks: 0
; VGPRBlocks: 4
; NumSGPRsForWavesPerEU: 26
; NumVGPRsForWavesPerEU: 72
; NamedBarCnt: 0
; Occupancy: 12
; WaveLimiterHint : 0
; COMPUTE_PGM_RSRC2:SCRATCH_EN: 0
; COMPUTE_PGM_RSRC2:USER_SGPR: 2
; COMPUTE_PGM_RSRC2:TRAP_HANDLER: 0
; COMPUTE_PGM_RSRC2:TGID_X_EN: 1
; COMPUTE_PGM_RSRC2:TGID_Y_EN: 0
; COMPUTE_PGM_RSRC2:TGID_Z_EN: 0
; COMPUTE_PGM_RSRC2:TIDIG_COMP_CNT: 0
	.section	.text._ZN7rocprim17ROCPRIM_400000_NS6detail17trampoline_kernelINS0_13select_configILj256ELj13ELNS0_17block_load_methodE3ELS4_3ELS4_3ELNS0_20block_scan_algorithmE0ELj4294967295EEENS1_25partition_config_selectorILNS1_17partition_subalgoE3EjNS0_10empty_typeEbEEZZNS1_14partition_implILS8_3ELb0ES6_jNS0_17counting_iteratorIjlEEPS9_SE_NS0_5tupleIJPjSE_EEENSF_IJSE_SE_EEES9_SG_JZNS1_25segmented_radix_sort_implINS0_14default_configELb1EPKaPaPKlPlN2at6native12_GLOBAL__N_18offset_tEEE10hipError_tPvRmT1_PNSt15iterator_traitsISY_E10value_typeET2_T3_PNSZ_IS14_E10value_typeET4_jRbjT5_S1A_jjP12ihipStream_tbEUljE_EEESV_SW_SX_S14_S18_S1A_T6_T7_T9_mT8_S1C_bDpT10_ENKUlT_T0_E_clISt17integral_constantIbLb0EES1O_IbLb1EEEEDaS1K_S1L_EUlS1K_E_NS1_11comp_targetILNS1_3genE5ELNS1_11target_archE942ELNS1_3gpuE9ELNS1_3repE0EEENS1_30default_config_static_selectorELNS0_4arch9wavefront6targetE0EEEvSY_,"axG",@progbits,_ZN7rocprim17ROCPRIM_400000_NS6detail17trampoline_kernelINS0_13select_configILj256ELj13ELNS0_17block_load_methodE3ELS4_3ELS4_3ELNS0_20block_scan_algorithmE0ELj4294967295EEENS1_25partition_config_selectorILNS1_17partition_subalgoE3EjNS0_10empty_typeEbEEZZNS1_14partition_implILS8_3ELb0ES6_jNS0_17counting_iteratorIjlEEPS9_SE_NS0_5tupleIJPjSE_EEENSF_IJSE_SE_EEES9_SG_JZNS1_25segmented_radix_sort_implINS0_14default_configELb1EPKaPaPKlPlN2at6native12_GLOBAL__N_18offset_tEEE10hipError_tPvRmT1_PNSt15iterator_traitsISY_E10value_typeET2_T3_PNSZ_IS14_E10value_typeET4_jRbjT5_S1A_jjP12ihipStream_tbEUljE_EEESV_SW_SX_S14_S18_S1A_T6_T7_T9_mT8_S1C_bDpT10_ENKUlT_T0_E_clISt17integral_constantIbLb0EES1O_IbLb1EEEEDaS1K_S1L_EUlS1K_E_NS1_11comp_targetILNS1_3genE5ELNS1_11target_archE942ELNS1_3gpuE9ELNS1_3repE0EEENS1_30default_config_static_selectorELNS0_4arch9wavefront6targetE0EEEvSY_,comdat
	.globl	_ZN7rocprim17ROCPRIM_400000_NS6detail17trampoline_kernelINS0_13select_configILj256ELj13ELNS0_17block_load_methodE3ELS4_3ELS4_3ELNS0_20block_scan_algorithmE0ELj4294967295EEENS1_25partition_config_selectorILNS1_17partition_subalgoE3EjNS0_10empty_typeEbEEZZNS1_14partition_implILS8_3ELb0ES6_jNS0_17counting_iteratorIjlEEPS9_SE_NS0_5tupleIJPjSE_EEENSF_IJSE_SE_EEES9_SG_JZNS1_25segmented_radix_sort_implINS0_14default_configELb1EPKaPaPKlPlN2at6native12_GLOBAL__N_18offset_tEEE10hipError_tPvRmT1_PNSt15iterator_traitsISY_E10value_typeET2_T3_PNSZ_IS14_E10value_typeET4_jRbjT5_S1A_jjP12ihipStream_tbEUljE_EEESV_SW_SX_S14_S18_S1A_T6_T7_T9_mT8_S1C_bDpT10_ENKUlT_T0_E_clISt17integral_constantIbLb0EES1O_IbLb1EEEEDaS1K_S1L_EUlS1K_E_NS1_11comp_targetILNS1_3genE5ELNS1_11target_archE942ELNS1_3gpuE9ELNS1_3repE0EEENS1_30default_config_static_selectorELNS0_4arch9wavefront6targetE0EEEvSY_ ; -- Begin function _ZN7rocprim17ROCPRIM_400000_NS6detail17trampoline_kernelINS0_13select_configILj256ELj13ELNS0_17block_load_methodE3ELS4_3ELS4_3ELNS0_20block_scan_algorithmE0ELj4294967295EEENS1_25partition_config_selectorILNS1_17partition_subalgoE3EjNS0_10empty_typeEbEEZZNS1_14partition_implILS8_3ELb0ES6_jNS0_17counting_iteratorIjlEEPS9_SE_NS0_5tupleIJPjSE_EEENSF_IJSE_SE_EEES9_SG_JZNS1_25segmented_radix_sort_implINS0_14default_configELb1EPKaPaPKlPlN2at6native12_GLOBAL__N_18offset_tEEE10hipError_tPvRmT1_PNSt15iterator_traitsISY_E10value_typeET2_T3_PNSZ_IS14_E10value_typeET4_jRbjT5_S1A_jjP12ihipStream_tbEUljE_EEESV_SW_SX_S14_S18_S1A_T6_T7_T9_mT8_S1C_bDpT10_ENKUlT_T0_E_clISt17integral_constantIbLb0EES1O_IbLb1EEEEDaS1K_S1L_EUlS1K_E_NS1_11comp_targetILNS1_3genE5ELNS1_11target_archE942ELNS1_3gpuE9ELNS1_3repE0EEENS1_30default_config_static_selectorELNS0_4arch9wavefront6targetE0EEEvSY_
	.p2align	8
	.type	_ZN7rocprim17ROCPRIM_400000_NS6detail17trampoline_kernelINS0_13select_configILj256ELj13ELNS0_17block_load_methodE3ELS4_3ELS4_3ELNS0_20block_scan_algorithmE0ELj4294967295EEENS1_25partition_config_selectorILNS1_17partition_subalgoE3EjNS0_10empty_typeEbEEZZNS1_14partition_implILS8_3ELb0ES6_jNS0_17counting_iteratorIjlEEPS9_SE_NS0_5tupleIJPjSE_EEENSF_IJSE_SE_EEES9_SG_JZNS1_25segmented_radix_sort_implINS0_14default_configELb1EPKaPaPKlPlN2at6native12_GLOBAL__N_18offset_tEEE10hipError_tPvRmT1_PNSt15iterator_traitsISY_E10value_typeET2_T3_PNSZ_IS14_E10value_typeET4_jRbjT5_S1A_jjP12ihipStream_tbEUljE_EEESV_SW_SX_S14_S18_S1A_T6_T7_T9_mT8_S1C_bDpT10_ENKUlT_T0_E_clISt17integral_constantIbLb0EES1O_IbLb1EEEEDaS1K_S1L_EUlS1K_E_NS1_11comp_targetILNS1_3genE5ELNS1_11target_archE942ELNS1_3gpuE9ELNS1_3repE0EEENS1_30default_config_static_selectorELNS0_4arch9wavefront6targetE0EEEvSY_,@function
_ZN7rocprim17ROCPRIM_400000_NS6detail17trampoline_kernelINS0_13select_configILj256ELj13ELNS0_17block_load_methodE3ELS4_3ELS4_3ELNS0_20block_scan_algorithmE0ELj4294967295EEENS1_25partition_config_selectorILNS1_17partition_subalgoE3EjNS0_10empty_typeEbEEZZNS1_14partition_implILS8_3ELb0ES6_jNS0_17counting_iteratorIjlEEPS9_SE_NS0_5tupleIJPjSE_EEENSF_IJSE_SE_EEES9_SG_JZNS1_25segmented_radix_sort_implINS0_14default_configELb1EPKaPaPKlPlN2at6native12_GLOBAL__N_18offset_tEEE10hipError_tPvRmT1_PNSt15iterator_traitsISY_E10value_typeET2_T3_PNSZ_IS14_E10value_typeET4_jRbjT5_S1A_jjP12ihipStream_tbEUljE_EEESV_SW_SX_S14_S18_S1A_T6_T7_T9_mT8_S1C_bDpT10_ENKUlT_T0_E_clISt17integral_constantIbLb0EES1O_IbLb1EEEEDaS1K_S1L_EUlS1K_E_NS1_11comp_targetILNS1_3genE5ELNS1_11target_archE942ELNS1_3gpuE9ELNS1_3repE0EEENS1_30default_config_static_selectorELNS0_4arch9wavefront6targetE0EEEvSY_: ; @_ZN7rocprim17ROCPRIM_400000_NS6detail17trampoline_kernelINS0_13select_configILj256ELj13ELNS0_17block_load_methodE3ELS4_3ELS4_3ELNS0_20block_scan_algorithmE0ELj4294967295EEENS1_25partition_config_selectorILNS1_17partition_subalgoE3EjNS0_10empty_typeEbEEZZNS1_14partition_implILS8_3ELb0ES6_jNS0_17counting_iteratorIjlEEPS9_SE_NS0_5tupleIJPjSE_EEENSF_IJSE_SE_EEES9_SG_JZNS1_25segmented_radix_sort_implINS0_14default_configELb1EPKaPaPKlPlN2at6native12_GLOBAL__N_18offset_tEEE10hipError_tPvRmT1_PNSt15iterator_traitsISY_E10value_typeET2_T3_PNSZ_IS14_E10value_typeET4_jRbjT5_S1A_jjP12ihipStream_tbEUljE_EEESV_SW_SX_S14_S18_S1A_T6_T7_T9_mT8_S1C_bDpT10_ENKUlT_T0_E_clISt17integral_constantIbLb0EES1O_IbLb1EEEEDaS1K_S1L_EUlS1K_E_NS1_11comp_targetILNS1_3genE5ELNS1_11target_archE942ELNS1_3gpuE9ELNS1_3repE0EEENS1_30default_config_static_selectorELNS0_4arch9wavefront6targetE0EEEvSY_
; %bb.0:
	.section	.rodata,"a",@progbits
	.p2align	6, 0x0
	.amdhsa_kernel _ZN7rocprim17ROCPRIM_400000_NS6detail17trampoline_kernelINS0_13select_configILj256ELj13ELNS0_17block_load_methodE3ELS4_3ELS4_3ELNS0_20block_scan_algorithmE0ELj4294967295EEENS1_25partition_config_selectorILNS1_17partition_subalgoE3EjNS0_10empty_typeEbEEZZNS1_14partition_implILS8_3ELb0ES6_jNS0_17counting_iteratorIjlEEPS9_SE_NS0_5tupleIJPjSE_EEENSF_IJSE_SE_EEES9_SG_JZNS1_25segmented_radix_sort_implINS0_14default_configELb1EPKaPaPKlPlN2at6native12_GLOBAL__N_18offset_tEEE10hipError_tPvRmT1_PNSt15iterator_traitsISY_E10value_typeET2_T3_PNSZ_IS14_E10value_typeET4_jRbjT5_S1A_jjP12ihipStream_tbEUljE_EEESV_SW_SX_S14_S18_S1A_T6_T7_T9_mT8_S1C_bDpT10_ENKUlT_T0_E_clISt17integral_constantIbLb0EES1O_IbLb1EEEEDaS1K_S1L_EUlS1K_E_NS1_11comp_targetILNS1_3genE5ELNS1_11target_archE942ELNS1_3gpuE9ELNS1_3repE0EEENS1_30default_config_static_selectorELNS0_4arch9wavefront6targetE0EEEvSY_
		.amdhsa_group_segment_fixed_size 0
		.amdhsa_private_segment_fixed_size 0
		.amdhsa_kernarg_size 152
		.amdhsa_user_sgpr_count 2
		.amdhsa_user_sgpr_dispatch_ptr 0
		.amdhsa_user_sgpr_queue_ptr 0
		.amdhsa_user_sgpr_kernarg_segment_ptr 1
		.amdhsa_user_sgpr_dispatch_id 0
		.amdhsa_user_sgpr_kernarg_preload_length 0
		.amdhsa_user_sgpr_kernarg_preload_offset 0
		.amdhsa_user_sgpr_private_segment_size 0
		.amdhsa_wavefront_size32 1
		.amdhsa_uses_dynamic_stack 0
		.amdhsa_enable_private_segment 0
		.amdhsa_system_sgpr_workgroup_id_x 1
		.amdhsa_system_sgpr_workgroup_id_y 0
		.amdhsa_system_sgpr_workgroup_id_z 0
		.amdhsa_system_sgpr_workgroup_info 0
		.amdhsa_system_vgpr_workitem_id 0
		.amdhsa_next_free_vgpr 1
		.amdhsa_next_free_sgpr 1
		.amdhsa_named_barrier_count 0
		.amdhsa_reserve_vcc 0
		.amdhsa_float_round_mode_32 0
		.amdhsa_float_round_mode_16_64 0
		.amdhsa_float_denorm_mode_32 3
		.amdhsa_float_denorm_mode_16_64 3
		.amdhsa_fp16_overflow 0
		.amdhsa_memory_ordered 1
		.amdhsa_forward_progress 1
		.amdhsa_inst_pref_size 0
		.amdhsa_round_robin_scheduling 0
		.amdhsa_exception_fp_ieee_invalid_op 0
		.amdhsa_exception_fp_denorm_src 0
		.amdhsa_exception_fp_ieee_div_zero 0
		.amdhsa_exception_fp_ieee_overflow 0
		.amdhsa_exception_fp_ieee_underflow 0
		.amdhsa_exception_fp_ieee_inexact 0
		.amdhsa_exception_int_div_zero 0
	.end_amdhsa_kernel
	.section	.text._ZN7rocprim17ROCPRIM_400000_NS6detail17trampoline_kernelINS0_13select_configILj256ELj13ELNS0_17block_load_methodE3ELS4_3ELS4_3ELNS0_20block_scan_algorithmE0ELj4294967295EEENS1_25partition_config_selectorILNS1_17partition_subalgoE3EjNS0_10empty_typeEbEEZZNS1_14partition_implILS8_3ELb0ES6_jNS0_17counting_iteratorIjlEEPS9_SE_NS0_5tupleIJPjSE_EEENSF_IJSE_SE_EEES9_SG_JZNS1_25segmented_radix_sort_implINS0_14default_configELb1EPKaPaPKlPlN2at6native12_GLOBAL__N_18offset_tEEE10hipError_tPvRmT1_PNSt15iterator_traitsISY_E10value_typeET2_T3_PNSZ_IS14_E10value_typeET4_jRbjT5_S1A_jjP12ihipStream_tbEUljE_EEESV_SW_SX_S14_S18_S1A_T6_T7_T9_mT8_S1C_bDpT10_ENKUlT_T0_E_clISt17integral_constantIbLb0EES1O_IbLb1EEEEDaS1K_S1L_EUlS1K_E_NS1_11comp_targetILNS1_3genE5ELNS1_11target_archE942ELNS1_3gpuE9ELNS1_3repE0EEENS1_30default_config_static_selectorELNS0_4arch9wavefront6targetE0EEEvSY_,"axG",@progbits,_ZN7rocprim17ROCPRIM_400000_NS6detail17trampoline_kernelINS0_13select_configILj256ELj13ELNS0_17block_load_methodE3ELS4_3ELS4_3ELNS0_20block_scan_algorithmE0ELj4294967295EEENS1_25partition_config_selectorILNS1_17partition_subalgoE3EjNS0_10empty_typeEbEEZZNS1_14partition_implILS8_3ELb0ES6_jNS0_17counting_iteratorIjlEEPS9_SE_NS0_5tupleIJPjSE_EEENSF_IJSE_SE_EEES9_SG_JZNS1_25segmented_radix_sort_implINS0_14default_configELb1EPKaPaPKlPlN2at6native12_GLOBAL__N_18offset_tEEE10hipError_tPvRmT1_PNSt15iterator_traitsISY_E10value_typeET2_T3_PNSZ_IS14_E10value_typeET4_jRbjT5_S1A_jjP12ihipStream_tbEUljE_EEESV_SW_SX_S14_S18_S1A_T6_T7_T9_mT8_S1C_bDpT10_ENKUlT_T0_E_clISt17integral_constantIbLb0EES1O_IbLb1EEEEDaS1K_S1L_EUlS1K_E_NS1_11comp_targetILNS1_3genE5ELNS1_11target_archE942ELNS1_3gpuE9ELNS1_3repE0EEENS1_30default_config_static_selectorELNS0_4arch9wavefront6targetE0EEEvSY_,comdat
.Lfunc_end281:
	.size	_ZN7rocprim17ROCPRIM_400000_NS6detail17trampoline_kernelINS0_13select_configILj256ELj13ELNS0_17block_load_methodE3ELS4_3ELS4_3ELNS0_20block_scan_algorithmE0ELj4294967295EEENS1_25partition_config_selectorILNS1_17partition_subalgoE3EjNS0_10empty_typeEbEEZZNS1_14partition_implILS8_3ELb0ES6_jNS0_17counting_iteratorIjlEEPS9_SE_NS0_5tupleIJPjSE_EEENSF_IJSE_SE_EEES9_SG_JZNS1_25segmented_radix_sort_implINS0_14default_configELb1EPKaPaPKlPlN2at6native12_GLOBAL__N_18offset_tEEE10hipError_tPvRmT1_PNSt15iterator_traitsISY_E10value_typeET2_T3_PNSZ_IS14_E10value_typeET4_jRbjT5_S1A_jjP12ihipStream_tbEUljE_EEESV_SW_SX_S14_S18_S1A_T6_T7_T9_mT8_S1C_bDpT10_ENKUlT_T0_E_clISt17integral_constantIbLb0EES1O_IbLb1EEEEDaS1K_S1L_EUlS1K_E_NS1_11comp_targetILNS1_3genE5ELNS1_11target_archE942ELNS1_3gpuE9ELNS1_3repE0EEENS1_30default_config_static_selectorELNS0_4arch9wavefront6targetE0EEEvSY_, .Lfunc_end281-_ZN7rocprim17ROCPRIM_400000_NS6detail17trampoline_kernelINS0_13select_configILj256ELj13ELNS0_17block_load_methodE3ELS4_3ELS4_3ELNS0_20block_scan_algorithmE0ELj4294967295EEENS1_25partition_config_selectorILNS1_17partition_subalgoE3EjNS0_10empty_typeEbEEZZNS1_14partition_implILS8_3ELb0ES6_jNS0_17counting_iteratorIjlEEPS9_SE_NS0_5tupleIJPjSE_EEENSF_IJSE_SE_EEES9_SG_JZNS1_25segmented_radix_sort_implINS0_14default_configELb1EPKaPaPKlPlN2at6native12_GLOBAL__N_18offset_tEEE10hipError_tPvRmT1_PNSt15iterator_traitsISY_E10value_typeET2_T3_PNSZ_IS14_E10value_typeET4_jRbjT5_S1A_jjP12ihipStream_tbEUljE_EEESV_SW_SX_S14_S18_S1A_T6_T7_T9_mT8_S1C_bDpT10_ENKUlT_T0_E_clISt17integral_constantIbLb0EES1O_IbLb1EEEEDaS1K_S1L_EUlS1K_E_NS1_11comp_targetILNS1_3genE5ELNS1_11target_archE942ELNS1_3gpuE9ELNS1_3repE0EEENS1_30default_config_static_selectorELNS0_4arch9wavefront6targetE0EEEvSY_
                                        ; -- End function
	.set _ZN7rocprim17ROCPRIM_400000_NS6detail17trampoline_kernelINS0_13select_configILj256ELj13ELNS0_17block_load_methodE3ELS4_3ELS4_3ELNS0_20block_scan_algorithmE0ELj4294967295EEENS1_25partition_config_selectorILNS1_17partition_subalgoE3EjNS0_10empty_typeEbEEZZNS1_14partition_implILS8_3ELb0ES6_jNS0_17counting_iteratorIjlEEPS9_SE_NS0_5tupleIJPjSE_EEENSF_IJSE_SE_EEES9_SG_JZNS1_25segmented_radix_sort_implINS0_14default_configELb1EPKaPaPKlPlN2at6native12_GLOBAL__N_18offset_tEEE10hipError_tPvRmT1_PNSt15iterator_traitsISY_E10value_typeET2_T3_PNSZ_IS14_E10value_typeET4_jRbjT5_S1A_jjP12ihipStream_tbEUljE_EEESV_SW_SX_S14_S18_S1A_T6_T7_T9_mT8_S1C_bDpT10_ENKUlT_T0_E_clISt17integral_constantIbLb0EES1O_IbLb1EEEEDaS1K_S1L_EUlS1K_E_NS1_11comp_targetILNS1_3genE5ELNS1_11target_archE942ELNS1_3gpuE9ELNS1_3repE0EEENS1_30default_config_static_selectorELNS0_4arch9wavefront6targetE0EEEvSY_.num_vgpr, 0
	.set _ZN7rocprim17ROCPRIM_400000_NS6detail17trampoline_kernelINS0_13select_configILj256ELj13ELNS0_17block_load_methodE3ELS4_3ELS4_3ELNS0_20block_scan_algorithmE0ELj4294967295EEENS1_25partition_config_selectorILNS1_17partition_subalgoE3EjNS0_10empty_typeEbEEZZNS1_14partition_implILS8_3ELb0ES6_jNS0_17counting_iteratorIjlEEPS9_SE_NS0_5tupleIJPjSE_EEENSF_IJSE_SE_EEES9_SG_JZNS1_25segmented_radix_sort_implINS0_14default_configELb1EPKaPaPKlPlN2at6native12_GLOBAL__N_18offset_tEEE10hipError_tPvRmT1_PNSt15iterator_traitsISY_E10value_typeET2_T3_PNSZ_IS14_E10value_typeET4_jRbjT5_S1A_jjP12ihipStream_tbEUljE_EEESV_SW_SX_S14_S18_S1A_T6_T7_T9_mT8_S1C_bDpT10_ENKUlT_T0_E_clISt17integral_constantIbLb0EES1O_IbLb1EEEEDaS1K_S1L_EUlS1K_E_NS1_11comp_targetILNS1_3genE5ELNS1_11target_archE942ELNS1_3gpuE9ELNS1_3repE0EEENS1_30default_config_static_selectorELNS0_4arch9wavefront6targetE0EEEvSY_.num_agpr, 0
	.set _ZN7rocprim17ROCPRIM_400000_NS6detail17trampoline_kernelINS0_13select_configILj256ELj13ELNS0_17block_load_methodE3ELS4_3ELS4_3ELNS0_20block_scan_algorithmE0ELj4294967295EEENS1_25partition_config_selectorILNS1_17partition_subalgoE3EjNS0_10empty_typeEbEEZZNS1_14partition_implILS8_3ELb0ES6_jNS0_17counting_iteratorIjlEEPS9_SE_NS0_5tupleIJPjSE_EEENSF_IJSE_SE_EEES9_SG_JZNS1_25segmented_radix_sort_implINS0_14default_configELb1EPKaPaPKlPlN2at6native12_GLOBAL__N_18offset_tEEE10hipError_tPvRmT1_PNSt15iterator_traitsISY_E10value_typeET2_T3_PNSZ_IS14_E10value_typeET4_jRbjT5_S1A_jjP12ihipStream_tbEUljE_EEESV_SW_SX_S14_S18_S1A_T6_T7_T9_mT8_S1C_bDpT10_ENKUlT_T0_E_clISt17integral_constantIbLb0EES1O_IbLb1EEEEDaS1K_S1L_EUlS1K_E_NS1_11comp_targetILNS1_3genE5ELNS1_11target_archE942ELNS1_3gpuE9ELNS1_3repE0EEENS1_30default_config_static_selectorELNS0_4arch9wavefront6targetE0EEEvSY_.numbered_sgpr, 0
	.set _ZN7rocprim17ROCPRIM_400000_NS6detail17trampoline_kernelINS0_13select_configILj256ELj13ELNS0_17block_load_methodE3ELS4_3ELS4_3ELNS0_20block_scan_algorithmE0ELj4294967295EEENS1_25partition_config_selectorILNS1_17partition_subalgoE3EjNS0_10empty_typeEbEEZZNS1_14partition_implILS8_3ELb0ES6_jNS0_17counting_iteratorIjlEEPS9_SE_NS0_5tupleIJPjSE_EEENSF_IJSE_SE_EEES9_SG_JZNS1_25segmented_radix_sort_implINS0_14default_configELb1EPKaPaPKlPlN2at6native12_GLOBAL__N_18offset_tEEE10hipError_tPvRmT1_PNSt15iterator_traitsISY_E10value_typeET2_T3_PNSZ_IS14_E10value_typeET4_jRbjT5_S1A_jjP12ihipStream_tbEUljE_EEESV_SW_SX_S14_S18_S1A_T6_T7_T9_mT8_S1C_bDpT10_ENKUlT_T0_E_clISt17integral_constantIbLb0EES1O_IbLb1EEEEDaS1K_S1L_EUlS1K_E_NS1_11comp_targetILNS1_3genE5ELNS1_11target_archE942ELNS1_3gpuE9ELNS1_3repE0EEENS1_30default_config_static_selectorELNS0_4arch9wavefront6targetE0EEEvSY_.num_named_barrier, 0
	.set _ZN7rocprim17ROCPRIM_400000_NS6detail17trampoline_kernelINS0_13select_configILj256ELj13ELNS0_17block_load_methodE3ELS4_3ELS4_3ELNS0_20block_scan_algorithmE0ELj4294967295EEENS1_25partition_config_selectorILNS1_17partition_subalgoE3EjNS0_10empty_typeEbEEZZNS1_14partition_implILS8_3ELb0ES6_jNS0_17counting_iteratorIjlEEPS9_SE_NS0_5tupleIJPjSE_EEENSF_IJSE_SE_EEES9_SG_JZNS1_25segmented_radix_sort_implINS0_14default_configELb1EPKaPaPKlPlN2at6native12_GLOBAL__N_18offset_tEEE10hipError_tPvRmT1_PNSt15iterator_traitsISY_E10value_typeET2_T3_PNSZ_IS14_E10value_typeET4_jRbjT5_S1A_jjP12ihipStream_tbEUljE_EEESV_SW_SX_S14_S18_S1A_T6_T7_T9_mT8_S1C_bDpT10_ENKUlT_T0_E_clISt17integral_constantIbLb0EES1O_IbLb1EEEEDaS1K_S1L_EUlS1K_E_NS1_11comp_targetILNS1_3genE5ELNS1_11target_archE942ELNS1_3gpuE9ELNS1_3repE0EEENS1_30default_config_static_selectorELNS0_4arch9wavefront6targetE0EEEvSY_.private_seg_size, 0
	.set _ZN7rocprim17ROCPRIM_400000_NS6detail17trampoline_kernelINS0_13select_configILj256ELj13ELNS0_17block_load_methodE3ELS4_3ELS4_3ELNS0_20block_scan_algorithmE0ELj4294967295EEENS1_25partition_config_selectorILNS1_17partition_subalgoE3EjNS0_10empty_typeEbEEZZNS1_14partition_implILS8_3ELb0ES6_jNS0_17counting_iteratorIjlEEPS9_SE_NS0_5tupleIJPjSE_EEENSF_IJSE_SE_EEES9_SG_JZNS1_25segmented_radix_sort_implINS0_14default_configELb1EPKaPaPKlPlN2at6native12_GLOBAL__N_18offset_tEEE10hipError_tPvRmT1_PNSt15iterator_traitsISY_E10value_typeET2_T3_PNSZ_IS14_E10value_typeET4_jRbjT5_S1A_jjP12ihipStream_tbEUljE_EEESV_SW_SX_S14_S18_S1A_T6_T7_T9_mT8_S1C_bDpT10_ENKUlT_T0_E_clISt17integral_constantIbLb0EES1O_IbLb1EEEEDaS1K_S1L_EUlS1K_E_NS1_11comp_targetILNS1_3genE5ELNS1_11target_archE942ELNS1_3gpuE9ELNS1_3repE0EEENS1_30default_config_static_selectorELNS0_4arch9wavefront6targetE0EEEvSY_.uses_vcc, 0
	.set _ZN7rocprim17ROCPRIM_400000_NS6detail17trampoline_kernelINS0_13select_configILj256ELj13ELNS0_17block_load_methodE3ELS4_3ELS4_3ELNS0_20block_scan_algorithmE0ELj4294967295EEENS1_25partition_config_selectorILNS1_17partition_subalgoE3EjNS0_10empty_typeEbEEZZNS1_14partition_implILS8_3ELb0ES6_jNS0_17counting_iteratorIjlEEPS9_SE_NS0_5tupleIJPjSE_EEENSF_IJSE_SE_EEES9_SG_JZNS1_25segmented_radix_sort_implINS0_14default_configELb1EPKaPaPKlPlN2at6native12_GLOBAL__N_18offset_tEEE10hipError_tPvRmT1_PNSt15iterator_traitsISY_E10value_typeET2_T3_PNSZ_IS14_E10value_typeET4_jRbjT5_S1A_jjP12ihipStream_tbEUljE_EEESV_SW_SX_S14_S18_S1A_T6_T7_T9_mT8_S1C_bDpT10_ENKUlT_T0_E_clISt17integral_constantIbLb0EES1O_IbLb1EEEEDaS1K_S1L_EUlS1K_E_NS1_11comp_targetILNS1_3genE5ELNS1_11target_archE942ELNS1_3gpuE9ELNS1_3repE0EEENS1_30default_config_static_selectorELNS0_4arch9wavefront6targetE0EEEvSY_.uses_flat_scratch, 0
	.set _ZN7rocprim17ROCPRIM_400000_NS6detail17trampoline_kernelINS0_13select_configILj256ELj13ELNS0_17block_load_methodE3ELS4_3ELS4_3ELNS0_20block_scan_algorithmE0ELj4294967295EEENS1_25partition_config_selectorILNS1_17partition_subalgoE3EjNS0_10empty_typeEbEEZZNS1_14partition_implILS8_3ELb0ES6_jNS0_17counting_iteratorIjlEEPS9_SE_NS0_5tupleIJPjSE_EEENSF_IJSE_SE_EEES9_SG_JZNS1_25segmented_radix_sort_implINS0_14default_configELb1EPKaPaPKlPlN2at6native12_GLOBAL__N_18offset_tEEE10hipError_tPvRmT1_PNSt15iterator_traitsISY_E10value_typeET2_T3_PNSZ_IS14_E10value_typeET4_jRbjT5_S1A_jjP12ihipStream_tbEUljE_EEESV_SW_SX_S14_S18_S1A_T6_T7_T9_mT8_S1C_bDpT10_ENKUlT_T0_E_clISt17integral_constantIbLb0EES1O_IbLb1EEEEDaS1K_S1L_EUlS1K_E_NS1_11comp_targetILNS1_3genE5ELNS1_11target_archE942ELNS1_3gpuE9ELNS1_3repE0EEENS1_30default_config_static_selectorELNS0_4arch9wavefront6targetE0EEEvSY_.has_dyn_sized_stack, 0
	.set _ZN7rocprim17ROCPRIM_400000_NS6detail17trampoline_kernelINS0_13select_configILj256ELj13ELNS0_17block_load_methodE3ELS4_3ELS4_3ELNS0_20block_scan_algorithmE0ELj4294967295EEENS1_25partition_config_selectorILNS1_17partition_subalgoE3EjNS0_10empty_typeEbEEZZNS1_14partition_implILS8_3ELb0ES6_jNS0_17counting_iteratorIjlEEPS9_SE_NS0_5tupleIJPjSE_EEENSF_IJSE_SE_EEES9_SG_JZNS1_25segmented_radix_sort_implINS0_14default_configELb1EPKaPaPKlPlN2at6native12_GLOBAL__N_18offset_tEEE10hipError_tPvRmT1_PNSt15iterator_traitsISY_E10value_typeET2_T3_PNSZ_IS14_E10value_typeET4_jRbjT5_S1A_jjP12ihipStream_tbEUljE_EEESV_SW_SX_S14_S18_S1A_T6_T7_T9_mT8_S1C_bDpT10_ENKUlT_T0_E_clISt17integral_constantIbLb0EES1O_IbLb1EEEEDaS1K_S1L_EUlS1K_E_NS1_11comp_targetILNS1_3genE5ELNS1_11target_archE942ELNS1_3gpuE9ELNS1_3repE0EEENS1_30default_config_static_selectorELNS0_4arch9wavefront6targetE0EEEvSY_.has_recursion, 0
	.set _ZN7rocprim17ROCPRIM_400000_NS6detail17trampoline_kernelINS0_13select_configILj256ELj13ELNS0_17block_load_methodE3ELS4_3ELS4_3ELNS0_20block_scan_algorithmE0ELj4294967295EEENS1_25partition_config_selectorILNS1_17partition_subalgoE3EjNS0_10empty_typeEbEEZZNS1_14partition_implILS8_3ELb0ES6_jNS0_17counting_iteratorIjlEEPS9_SE_NS0_5tupleIJPjSE_EEENSF_IJSE_SE_EEES9_SG_JZNS1_25segmented_radix_sort_implINS0_14default_configELb1EPKaPaPKlPlN2at6native12_GLOBAL__N_18offset_tEEE10hipError_tPvRmT1_PNSt15iterator_traitsISY_E10value_typeET2_T3_PNSZ_IS14_E10value_typeET4_jRbjT5_S1A_jjP12ihipStream_tbEUljE_EEESV_SW_SX_S14_S18_S1A_T6_T7_T9_mT8_S1C_bDpT10_ENKUlT_T0_E_clISt17integral_constantIbLb0EES1O_IbLb1EEEEDaS1K_S1L_EUlS1K_E_NS1_11comp_targetILNS1_3genE5ELNS1_11target_archE942ELNS1_3gpuE9ELNS1_3repE0EEENS1_30default_config_static_selectorELNS0_4arch9wavefront6targetE0EEEvSY_.has_indirect_call, 0
	.section	.AMDGPU.csdata,"",@progbits
; Kernel info:
; codeLenInByte = 0
; TotalNumSgprs: 0
; NumVgprs: 0
; ScratchSize: 0
; MemoryBound: 0
; FloatMode: 240
; IeeeMode: 1
; LDSByteSize: 0 bytes/workgroup (compile time only)
; SGPRBlocks: 0
; VGPRBlocks: 0
; NumSGPRsForWavesPerEU: 1
; NumVGPRsForWavesPerEU: 1
; NamedBarCnt: 0
; Occupancy: 16
; WaveLimiterHint : 0
; COMPUTE_PGM_RSRC2:SCRATCH_EN: 0
; COMPUTE_PGM_RSRC2:USER_SGPR: 2
; COMPUTE_PGM_RSRC2:TRAP_HANDLER: 0
; COMPUTE_PGM_RSRC2:TGID_X_EN: 1
; COMPUTE_PGM_RSRC2:TGID_Y_EN: 0
; COMPUTE_PGM_RSRC2:TGID_Z_EN: 0
; COMPUTE_PGM_RSRC2:TIDIG_COMP_CNT: 0
	.section	.text._ZN7rocprim17ROCPRIM_400000_NS6detail17trampoline_kernelINS0_13select_configILj256ELj13ELNS0_17block_load_methodE3ELS4_3ELS4_3ELNS0_20block_scan_algorithmE0ELj4294967295EEENS1_25partition_config_selectorILNS1_17partition_subalgoE3EjNS0_10empty_typeEbEEZZNS1_14partition_implILS8_3ELb0ES6_jNS0_17counting_iteratorIjlEEPS9_SE_NS0_5tupleIJPjSE_EEENSF_IJSE_SE_EEES9_SG_JZNS1_25segmented_radix_sort_implINS0_14default_configELb1EPKaPaPKlPlN2at6native12_GLOBAL__N_18offset_tEEE10hipError_tPvRmT1_PNSt15iterator_traitsISY_E10value_typeET2_T3_PNSZ_IS14_E10value_typeET4_jRbjT5_S1A_jjP12ihipStream_tbEUljE_EEESV_SW_SX_S14_S18_S1A_T6_T7_T9_mT8_S1C_bDpT10_ENKUlT_T0_E_clISt17integral_constantIbLb0EES1O_IbLb1EEEEDaS1K_S1L_EUlS1K_E_NS1_11comp_targetILNS1_3genE4ELNS1_11target_archE910ELNS1_3gpuE8ELNS1_3repE0EEENS1_30default_config_static_selectorELNS0_4arch9wavefront6targetE0EEEvSY_,"axG",@progbits,_ZN7rocprim17ROCPRIM_400000_NS6detail17trampoline_kernelINS0_13select_configILj256ELj13ELNS0_17block_load_methodE3ELS4_3ELS4_3ELNS0_20block_scan_algorithmE0ELj4294967295EEENS1_25partition_config_selectorILNS1_17partition_subalgoE3EjNS0_10empty_typeEbEEZZNS1_14partition_implILS8_3ELb0ES6_jNS0_17counting_iteratorIjlEEPS9_SE_NS0_5tupleIJPjSE_EEENSF_IJSE_SE_EEES9_SG_JZNS1_25segmented_radix_sort_implINS0_14default_configELb1EPKaPaPKlPlN2at6native12_GLOBAL__N_18offset_tEEE10hipError_tPvRmT1_PNSt15iterator_traitsISY_E10value_typeET2_T3_PNSZ_IS14_E10value_typeET4_jRbjT5_S1A_jjP12ihipStream_tbEUljE_EEESV_SW_SX_S14_S18_S1A_T6_T7_T9_mT8_S1C_bDpT10_ENKUlT_T0_E_clISt17integral_constantIbLb0EES1O_IbLb1EEEEDaS1K_S1L_EUlS1K_E_NS1_11comp_targetILNS1_3genE4ELNS1_11target_archE910ELNS1_3gpuE8ELNS1_3repE0EEENS1_30default_config_static_selectorELNS0_4arch9wavefront6targetE0EEEvSY_,comdat
	.globl	_ZN7rocprim17ROCPRIM_400000_NS6detail17trampoline_kernelINS0_13select_configILj256ELj13ELNS0_17block_load_methodE3ELS4_3ELS4_3ELNS0_20block_scan_algorithmE0ELj4294967295EEENS1_25partition_config_selectorILNS1_17partition_subalgoE3EjNS0_10empty_typeEbEEZZNS1_14partition_implILS8_3ELb0ES6_jNS0_17counting_iteratorIjlEEPS9_SE_NS0_5tupleIJPjSE_EEENSF_IJSE_SE_EEES9_SG_JZNS1_25segmented_radix_sort_implINS0_14default_configELb1EPKaPaPKlPlN2at6native12_GLOBAL__N_18offset_tEEE10hipError_tPvRmT1_PNSt15iterator_traitsISY_E10value_typeET2_T3_PNSZ_IS14_E10value_typeET4_jRbjT5_S1A_jjP12ihipStream_tbEUljE_EEESV_SW_SX_S14_S18_S1A_T6_T7_T9_mT8_S1C_bDpT10_ENKUlT_T0_E_clISt17integral_constantIbLb0EES1O_IbLb1EEEEDaS1K_S1L_EUlS1K_E_NS1_11comp_targetILNS1_3genE4ELNS1_11target_archE910ELNS1_3gpuE8ELNS1_3repE0EEENS1_30default_config_static_selectorELNS0_4arch9wavefront6targetE0EEEvSY_ ; -- Begin function _ZN7rocprim17ROCPRIM_400000_NS6detail17trampoline_kernelINS0_13select_configILj256ELj13ELNS0_17block_load_methodE3ELS4_3ELS4_3ELNS0_20block_scan_algorithmE0ELj4294967295EEENS1_25partition_config_selectorILNS1_17partition_subalgoE3EjNS0_10empty_typeEbEEZZNS1_14partition_implILS8_3ELb0ES6_jNS0_17counting_iteratorIjlEEPS9_SE_NS0_5tupleIJPjSE_EEENSF_IJSE_SE_EEES9_SG_JZNS1_25segmented_radix_sort_implINS0_14default_configELb1EPKaPaPKlPlN2at6native12_GLOBAL__N_18offset_tEEE10hipError_tPvRmT1_PNSt15iterator_traitsISY_E10value_typeET2_T3_PNSZ_IS14_E10value_typeET4_jRbjT5_S1A_jjP12ihipStream_tbEUljE_EEESV_SW_SX_S14_S18_S1A_T6_T7_T9_mT8_S1C_bDpT10_ENKUlT_T0_E_clISt17integral_constantIbLb0EES1O_IbLb1EEEEDaS1K_S1L_EUlS1K_E_NS1_11comp_targetILNS1_3genE4ELNS1_11target_archE910ELNS1_3gpuE8ELNS1_3repE0EEENS1_30default_config_static_selectorELNS0_4arch9wavefront6targetE0EEEvSY_
	.p2align	8
	.type	_ZN7rocprim17ROCPRIM_400000_NS6detail17trampoline_kernelINS0_13select_configILj256ELj13ELNS0_17block_load_methodE3ELS4_3ELS4_3ELNS0_20block_scan_algorithmE0ELj4294967295EEENS1_25partition_config_selectorILNS1_17partition_subalgoE3EjNS0_10empty_typeEbEEZZNS1_14partition_implILS8_3ELb0ES6_jNS0_17counting_iteratorIjlEEPS9_SE_NS0_5tupleIJPjSE_EEENSF_IJSE_SE_EEES9_SG_JZNS1_25segmented_radix_sort_implINS0_14default_configELb1EPKaPaPKlPlN2at6native12_GLOBAL__N_18offset_tEEE10hipError_tPvRmT1_PNSt15iterator_traitsISY_E10value_typeET2_T3_PNSZ_IS14_E10value_typeET4_jRbjT5_S1A_jjP12ihipStream_tbEUljE_EEESV_SW_SX_S14_S18_S1A_T6_T7_T9_mT8_S1C_bDpT10_ENKUlT_T0_E_clISt17integral_constantIbLb0EES1O_IbLb1EEEEDaS1K_S1L_EUlS1K_E_NS1_11comp_targetILNS1_3genE4ELNS1_11target_archE910ELNS1_3gpuE8ELNS1_3repE0EEENS1_30default_config_static_selectorELNS0_4arch9wavefront6targetE0EEEvSY_,@function
_ZN7rocprim17ROCPRIM_400000_NS6detail17trampoline_kernelINS0_13select_configILj256ELj13ELNS0_17block_load_methodE3ELS4_3ELS4_3ELNS0_20block_scan_algorithmE0ELj4294967295EEENS1_25partition_config_selectorILNS1_17partition_subalgoE3EjNS0_10empty_typeEbEEZZNS1_14partition_implILS8_3ELb0ES6_jNS0_17counting_iteratorIjlEEPS9_SE_NS0_5tupleIJPjSE_EEENSF_IJSE_SE_EEES9_SG_JZNS1_25segmented_radix_sort_implINS0_14default_configELb1EPKaPaPKlPlN2at6native12_GLOBAL__N_18offset_tEEE10hipError_tPvRmT1_PNSt15iterator_traitsISY_E10value_typeET2_T3_PNSZ_IS14_E10value_typeET4_jRbjT5_S1A_jjP12ihipStream_tbEUljE_EEESV_SW_SX_S14_S18_S1A_T6_T7_T9_mT8_S1C_bDpT10_ENKUlT_T0_E_clISt17integral_constantIbLb0EES1O_IbLb1EEEEDaS1K_S1L_EUlS1K_E_NS1_11comp_targetILNS1_3genE4ELNS1_11target_archE910ELNS1_3gpuE8ELNS1_3repE0EEENS1_30default_config_static_selectorELNS0_4arch9wavefront6targetE0EEEvSY_: ; @_ZN7rocprim17ROCPRIM_400000_NS6detail17trampoline_kernelINS0_13select_configILj256ELj13ELNS0_17block_load_methodE3ELS4_3ELS4_3ELNS0_20block_scan_algorithmE0ELj4294967295EEENS1_25partition_config_selectorILNS1_17partition_subalgoE3EjNS0_10empty_typeEbEEZZNS1_14partition_implILS8_3ELb0ES6_jNS0_17counting_iteratorIjlEEPS9_SE_NS0_5tupleIJPjSE_EEENSF_IJSE_SE_EEES9_SG_JZNS1_25segmented_radix_sort_implINS0_14default_configELb1EPKaPaPKlPlN2at6native12_GLOBAL__N_18offset_tEEE10hipError_tPvRmT1_PNSt15iterator_traitsISY_E10value_typeET2_T3_PNSZ_IS14_E10value_typeET4_jRbjT5_S1A_jjP12ihipStream_tbEUljE_EEESV_SW_SX_S14_S18_S1A_T6_T7_T9_mT8_S1C_bDpT10_ENKUlT_T0_E_clISt17integral_constantIbLb0EES1O_IbLb1EEEEDaS1K_S1L_EUlS1K_E_NS1_11comp_targetILNS1_3genE4ELNS1_11target_archE910ELNS1_3gpuE8ELNS1_3repE0EEENS1_30default_config_static_selectorELNS0_4arch9wavefront6targetE0EEEvSY_
; %bb.0:
	.section	.rodata,"a",@progbits
	.p2align	6, 0x0
	.amdhsa_kernel _ZN7rocprim17ROCPRIM_400000_NS6detail17trampoline_kernelINS0_13select_configILj256ELj13ELNS0_17block_load_methodE3ELS4_3ELS4_3ELNS0_20block_scan_algorithmE0ELj4294967295EEENS1_25partition_config_selectorILNS1_17partition_subalgoE3EjNS0_10empty_typeEbEEZZNS1_14partition_implILS8_3ELb0ES6_jNS0_17counting_iteratorIjlEEPS9_SE_NS0_5tupleIJPjSE_EEENSF_IJSE_SE_EEES9_SG_JZNS1_25segmented_radix_sort_implINS0_14default_configELb1EPKaPaPKlPlN2at6native12_GLOBAL__N_18offset_tEEE10hipError_tPvRmT1_PNSt15iterator_traitsISY_E10value_typeET2_T3_PNSZ_IS14_E10value_typeET4_jRbjT5_S1A_jjP12ihipStream_tbEUljE_EEESV_SW_SX_S14_S18_S1A_T6_T7_T9_mT8_S1C_bDpT10_ENKUlT_T0_E_clISt17integral_constantIbLb0EES1O_IbLb1EEEEDaS1K_S1L_EUlS1K_E_NS1_11comp_targetILNS1_3genE4ELNS1_11target_archE910ELNS1_3gpuE8ELNS1_3repE0EEENS1_30default_config_static_selectorELNS0_4arch9wavefront6targetE0EEEvSY_
		.amdhsa_group_segment_fixed_size 0
		.amdhsa_private_segment_fixed_size 0
		.amdhsa_kernarg_size 152
		.amdhsa_user_sgpr_count 2
		.amdhsa_user_sgpr_dispatch_ptr 0
		.amdhsa_user_sgpr_queue_ptr 0
		.amdhsa_user_sgpr_kernarg_segment_ptr 1
		.amdhsa_user_sgpr_dispatch_id 0
		.amdhsa_user_sgpr_kernarg_preload_length 0
		.amdhsa_user_sgpr_kernarg_preload_offset 0
		.amdhsa_user_sgpr_private_segment_size 0
		.amdhsa_wavefront_size32 1
		.amdhsa_uses_dynamic_stack 0
		.amdhsa_enable_private_segment 0
		.amdhsa_system_sgpr_workgroup_id_x 1
		.amdhsa_system_sgpr_workgroup_id_y 0
		.amdhsa_system_sgpr_workgroup_id_z 0
		.amdhsa_system_sgpr_workgroup_info 0
		.amdhsa_system_vgpr_workitem_id 0
		.amdhsa_next_free_vgpr 1
		.amdhsa_next_free_sgpr 1
		.amdhsa_named_barrier_count 0
		.amdhsa_reserve_vcc 0
		.amdhsa_float_round_mode_32 0
		.amdhsa_float_round_mode_16_64 0
		.amdhsa_float_denorm_mode_32 3
		.amdhsa_float_denorm_mode_16_64 3
		.amdhsa_fp16_overflow 0
		.amdhsa_memory_ordered 1
		.amdhsa_forward_progress 1
		.amdhsa_inst_pref_size 0
		.amdhsa_round_robin_scheduling 0
		.amdhsa_exception_fp_ieee_invalid_op 0
		.amdhsa_exception_fp_denorm_src 0
		.amdhsa_exception_fp_ieee_div_zero 0
		.amdhsa_exception_fp_ieee_overflow 0
		.amdhsa_exception_fp_ieee_underflow 0
		.amdhsa_exception_fp_ieee_inexact 0
		.amdhsa_exception_int_div_zero 0
	.end_amdhsa_kernel
	.section	.text._ZN7rocprim17ROCPRIM_400000_NS6detail17trampoline_kernelINS0_13select_configILj256ELj13ELNS0_17block_load_methodE3ELS4_3ELS4_3ELNS0_20block_scan_algorithmE0ELj4294967295EEENS1_25partition_config_selectorILNS1_17partition_subalgoE3EjNS0_10empty_typeEbEEZZNS1_14partition_implILS8_3ELb0ES6_jNS0_17counting_iteratorIjlEEPS9_SE_NS0_5tupleIJPjSE_EEENSF_IJSE_SE_EEES9_SG_JZNS1_25segmented_radix_sort_implINS0_14default_configELb1EPKaPaPKlPlN2at6native12_GLOBAL__N_18offset_tEEE10hipError_tPvRmT1_PNSt15iterator_traitsISY_E10value_typeET2_T3_PNSZ_IS14_E10value_typeET4_jRbjT5_S1A_jjP12ihipStream_tbEUljE_EEESV_SW_SX_S14_S18_S1A_T6_T7_T9_mT8_S1C_bDpT10_ENKUlT_T0_E_clISt17integral_constantIbLb0EES1O_IbLb1EEEEDaS1K_S1L_EUlS1K_E_NS1_11comp_targetILNS1_3genE4ELNS1_11target_archE910ELNS1_3gpuE8ELNS1_3repE0EEENS1_30default_config_static_selectorELNS0_4arch9wavefront6targetE0EEEvSY_,"axG",@progbits,_ZN7rocprim17ROCPRIM_400000_NS6detail17trampoline_kernelINS0_13select_configILj256ELj13ELNS0_17block_load_methodE3ELS4_3ELS4_3ELNS0_20block_scan_algorithmE0ELj4294967295EEENS1_25partition_config_selectorILNS1_17partition_subalgoE3EjNS0_10empty_typeEbEEZZNS1_14partition_implILS8_3ELb0ES6_jNS0_17counting_iteratorIjlEEPS9_SE_NS0_5tupleIJPjSE_EEENSF_IJSE_SE_EEES9_SG_JZNS1_25segmented_radix_sort_implINS0_14default_configELb1EPKaPaPKlPlN2at6native12_GLOBAL__N_18offset_tEEE10hipError_tPvRmT1_PNSt15iterator_traitsISY_E10value_typeET2_T3_PNSZ_IS14_E10value_typeET4_jRbjT5_S1A_jjP12ihipStream_tbEUljE_EEESV_SW_SX_S14_S18_S1A_T6_T7_T9_mT8_S1C_bDpT10_ENKUlT_T0_E_clISt17integral_constantIbLb0EES1O_IbLb1EEEEDaS1K_S1L_EUlS1K_E_NS1_11comp_targetILNS1_3genE4ELNS1_11target_archE910ELNS1_3gpuE8ELNS1_3repE0EEENS1_30default_config_static_selectorELNS0_4arch9wavefront6targetE0EEEvSY_,comdat
.Lfunc_end282:
	.size	_ZN7rocprim17ROCPRIM_400000_NS6detail17trampoline_kernelINS0_13select_configILj256ELj13ELNS0_17block_load_methodE3ELS4_3ELS4_3ELNS0_20block_scan_algorithmE0ELj4294967295EEENS1_25partition_config_selectorILNS1_17partition_subalgoE3EjNS0_10empty_typeEbEEZZNS1_14partition_implILS8_3ELb0ES6_jNS0_17counting_iteratorIjlEEPS9_SE_NS0_5tupleIJPjSE_EEENSF_IJSE_SE_EEES9_SG_JZNS1_25segmented_radix_sort_implINS0_14default_configELb1EPKaPaPKlPlN2at6native12_GLOBAL__N_18offset_tEEE10hipError_tPvRmT1_PNSt15iterator_traitsISY_E10value_typeET2_T3_PNSZ_IS14_E10value_typeET4_jRbjT5_S1A_jjP12ihipStream_tbEUljE_EEESV_SW_SX_S14_S18_S1A_T6_T7_T9_mT8_S1C_bDpT10_ENKUlT_T0_E_clISt17integral_constantIbLb0EES1O_IbLb1EEEEDaS1K_S1L_EUlS1K_E_NS1_11comp_targetILNS1_3genE4ELNS1_11target_archE910ELNS1_3gpuE8ELNS1_3repE0EEENS1_30default_config_static_selectorELNS0_4arch9wavefront6targetE0EEEvSY_, .Lfunc_end282-_ZN7rocprim17ROCPRIM_400000_NS6detail17trampoline_kernelINS0_13select_configILj256ELj13ELNS0_17block_load_methodE3ELS4_3ELS4_3ELNS0_20block_scan_algorithmE0ELj4294967295EEENS1_25partition_config_selectorILNS1_17partition_subalgoE3EjNS0_10empty_typeEbEEZZNS1_14partition_implILS8_3ELb0ES6_jNS0_17counting_iteratorIjlEEPS9_SE_NS0_5tupleIJPjSE_EEENSF_IJSE_SE_EEES9_SG_JZNS1_25segmented_radix_sort_implINS0_14default_configELb1EPKaPaPKlPlN2at6native12_GLOBAL__N_18offset_tEEE10hipError_tPvRmT1_PNSt15iterator_traitsISY_E10value_typeET2_T3_PNSZ_IS14_E10value_typeET4_jRbjT5_S1A_jjP12ihipStream_tbEUljE_EEESV_SW_SX_S14_S18_S1A_T6_T7_T9_mT8_S1C_bDpT10_ENKUlT_T0_E_clISt17integral_constantIbLb0EES1O_IbLb1EEEEDaS1K_S1L_EUlS1K_E_NS1_11comp_targetILNS1_3genE4ELNS1_11target_archE910ELNS1_3gpuE8ELNS1_3repE0EEENS1_30default_config_static_selectorELNS0_4arch9wavefront6targetE0EEEvSY_
                                        ; -- End function
	.set _ZN7rocprim17ROCPRIM_400000_NS6detail17trampoline_kernelINS0_13select_configILj256ELj13ELNS0_17block_load_methodE3ELS4_3ELS4_3ELNS0_20block_scan_algorithmE0ELj4294967295EEENS1_25partition_config_selectorILNS1_17partition_subalgoE3EjNS0_10empty_typeEbEEZZNS1_14partition_implILS8_3ELb0ES6_jNS0_17counting_iteratorIjlEEPS9_SE_NS0_5tupleIJPjSE_EEENSF_IJSE_SE_EEES9_SG_JZNS1_25segmented_radix_sort_implINS0_14default_configELb1EPKaPaPKlPlN2at6native12_GLOBAL__N_18offset_tEEE10hipError_tPvRmT1_PNSt15iterator_traitsISY_E10value_typeET2_T3_PNSZ_IS14_E10value_typeET4_jRbjT5_S1A_jjP12ihipStream_tbEUljE_EEESV_SW_SX_S14_S18_S1A_T6_T7_T9_mT8_S1C_bDpT10_ENKUlT_T0_E_clISt17integral_constantIbLb0EES1O_IbLb1EEEEDaS1K_S1L_EUlS1K_E_NS1_11comp_targetILNS1_3genE4ELNS1_11target_archE910ELNS1_3gpuE8ELNS1_3repE0EEENS1_30default_config_static_selectorELNS0_4arch9wavefront6targetE0EEEvSY_.num_vgpr, 0
	.set _ZN7rocprim17ROCPRIM_400000_NS6detail17trampoline_kernelINS0_13select_configILj256ELj13ELNS0_17block_load_methodE3ELS4_3ELS4_3ELNS0_20block_scan_algorithmE0ELj4294967295EEENS1_25partition_config_selectorILNS1_17partition_subalgoE3EjNS0_10empty_typeEbEEZZNS1_14partition_implILS8_3ELb0ES6_jNS0_17counting_iteratorIjlEEPS9_SE_NS0_5tupleIJPjSE_EEENSF_IJSE_SE_EEES9_SG_JZNS1_25segmented_radix_sort_implINS0_14default_configELb1EPKaPaPKlPlN2at6native12_GLOBAL__N_18offset_tEEE10hipError_tPvRmT1_PNSt15iterator_traitsISY_E10value_typeET2_T3_PNSZ_IS14_E10value_typeET4_jRbjT5_S1A_jjP12ihipStream_tbEUljE_EEESV_SW_SX_S14_S18_S1A_T6_T7_T9_mT8_S1C_bDpT10_ENKUlT_T0_E_clISt17integral_constantIbLb0EES1O_IbLb1EEEEDaS1K_S1L_EUlS1K_E_NS1_11comp_targetILNS1_3genE4ELNS1_11target_archE910ELNS1_3gpuE8ELNS1_3repE0EEENS1_30default_config_static_selectorELNS0_4arch9wavefront6targetE0EEEvSY_.num_agpr, 0
	.set _ZN7rocprim17ROCPRIM_400000_NS6detail17trampoline_kernelINS0_13select_configILj256ELj13ELNS0_17block_load_methodE3ELS4_3ELS4_3ELNS0_20block_scan_algorithmE0ELj4294967295EEENS1_25partition_config_selectorILNS1_17partition_subalgoE3EjNS0_10empty_typeEbEEZZNS1_14partition_implILS8_3ELb0ES6_jNS0_17counting_iteratorIjlEEPS9_SE_NS0_5tupleIJPjSE_EEENSF_IJSE_SE_EEES9_SG_JZNS1_25segmented_radix_sort_implINS0_14default_configELb1EPKaPaPKlPlN2at6native12_GLOBAL__N_18offset_tEEE10hipError_tPvRmT1_PNSt15iterator_traitsISY_E10value_typeET2_T3_PNSZ_IS14_E10value_typeET4_jRbjT5_S1A_jjP12ihipStream_tbEUljE_EEESV_SW_SX_S14_S18_S1A_T6_T7_T9_mT8_S1C_bDpT10_ENKUlT_T0_E_clISt17integral_constantIbLb0EES1O_IbLb1EEEEDaS1K_S1L_EUlS1K_E_NS1_11comp_targetILNS1_3genE4ELNS1_11target_archE910ELNS1_3gpuE8ELNS1_3repE0EEENS1_30default_config_static_selectorELNS0_4arch9wavefront6targetE0EEEvSY_.numbered_sgpr, 0
	.set _ZN7rocprim17ROCPRIM_400000_NS6detail17trampoline_kernelINS0_13select_configILj256ELj13ELNS0_17block_load_methodE3ELS4_3ELS4_3ELNS0_20block_scan_algorithmE0ELj4294967295EEENS1_25partition_config_selectorILNS1_17partition_subalgoE3EjNS0_10empty_typeEbEEZZNS1_14partition_implILS8_3ELb0ES6_jNS0_17counting_iteratorIjlEEPS9_SE_NS0_5tupleIJPjSE_EEENSF_IJSE_SE_EEES9_SG_JZNS1_25segmented_radix_sort_implINS0_14default_configELb1EPKaPaPKlPlN2at6native12_GLOBAL__N_18offset_tEEE10hipError_tPvRmT1_PNSt15iterator_traitsISY_E10value_typeET2_T3_PNSZ_IS14_E10value_typeET4_jRbjT5_S1A_jjP12ihipStream_tbEUljE_EEESV_SW_SX_S14_S18_S1A_T6_T7_T9_mT8_S1C_bDpT10_ENKUlT_T0_E_clISt17integral_constantIbLb0EES1O_IbLb1EEEEDaS1K_S1L_EUlS1K_E_NS1_11comp_targetILNS1_3genE4ELNS1_11target_archE910ELNS1_3gpuE8ELNS1_3repE0EEENS1_30default_config_static_selectorELNS0_4arch9wavefront6targetE0EEEvSY_.num_named_barrier, 0
	.set _ZN7rocprim17ROCPRIM_400000_NS6detail17trampoline_kernelINS0_13select_configILj256ELj13ELNS0_17block_load_methodE3ELS4_3ELS4_3ELNS0_20block_scan_algorithmE0ELj4294967295EEENS1_25partition_config_selectorILNS1_17partition_subalgoE3EjNS0_10empty_typeEbEEZZNS1_14partition_implILS8_3ELb0ES6_jNS0_17counting_iteratorIjlEEPS9_SE_NS0_5tupleIJPjSE_EEENSF_IJSE_SE_EEES9_SG_JZNS1_25segmented_radix_sort_implINS0_14default_configELb1EPKaPaPKlPlN2at6native12_GLOBAL__N_18offset_tEEE10hipError_tPvRmT1_PNSt15iterator_traitsISY_E10value_typeET2_T3_PNSZ_IS14_E10value_typeET4_jRbjT5_S1A_jjP12ihipStream_tbEUljE_EEESV_SW_SX_S14_S18_S1A_T6_T7_T9_mT8_S1C_bDpT10_ENKUlT_T0_E_clISt17integral_constantIbLb0EES1O_IbLb1EEEEDaS1K_S1L_EUlS1K_E_NS1_11comp_targetILNS1_3genE4ELNS1_11target_archE910ELNS1_3gpuE8ELNS1_3repE0EEENS1_30default_config_static_selectorELNS0_4arch9wavefront6targetE0EEEvSY_.private_seg_size, 0
	.set _ZN7rocprim17ROCPRIM_400000_NS6detail17trampoline_kernelINS0_13select_configILj256ELj13ELNS0_17block_load_methodE3ELS4_3ELS4_3ELNS0_20block_scan_algorithmE0ELj4294967295EEENS1_25partition_config_selectorILNS1_17partition_subalgoE3EjNS0_10empty_typeEbEEZZNS1_14partition_implILS8_3ELb0ES6_jNS0_17counting_iteratorIjlEEPS9_SE_NS0_5tupleIJPjSE_EEENSF_IJSE_SE_EEES9_SG_JZNS1_25segmented_radix_sort_implINS0_14default_configELb1EPKaPaPKlPlN2at6native12_GLOBAL__N_18offset_tEEE10hipError_tPvRmT1_PNSt15iterator_traitsISY_E10value_typeET2_T3_PNSZ_IS14_E10value_typeET4_jRbjT5_S1A_jjP12ihipStream_tbEUljE_EEESV_SW_SX_S14_S18_S1A_T6_T7_T9_mT8_S1C_bDpT10_ENKUlT_T0_E_clISt17integral_constantIbLb0EES1O_IbLb1EEEEDaS1K_S1L_EUlS1K_E_NS1_11comp_targetILNS1_3genE4ELNS1_11target_archE910ELNS1_3gpuE8ELNS1_3repE0EEENS1_30default_config_static_selectorELNS0_4arch9wavefront6targetE0EEEvSY_.uses_vcc, 0
	.set _ZN7rocprim17ROCPRIM_400000_NS6detail17trampoline_kernelINS0_13select_configILj256ELj13ELNS0_17block_load_methodE3ELS4_3ELS4_3ELNS0_20block_scan_algorithmE0ELj4294967295EEENS1_25partition_config_selectorILNS1_17partition_subalgoE3EjNS0_10empty_typeEbEEZZNS1_14partition_implILS8_3ELb0ES6_jNS0_17counting_iteratorIjlEEPS9_SE_NS0_5tupleIJPjSE_EEENSF_IJSE_SE_EEES9_SG_JZNS1_25segmented_radix_sort_implINS0_14default_configELb1EPKaPaPKlPlN2at6native12_GLOBAL__N_18offset_tEEE10hipError_tPvRmT1_PNSt15iterator_traitsISY_E10value_typeET2_T3_PNSZ_IS14_E10value_typeET4_jRbjT5_S1A_jjP12ihipStream_tbEUljE_EEESV_SW_SX_S14_S18_S1A_T6_T7_T9_mT8_S1C_bDpT10_ENKUlT_T0_E_clISt17integral_constantIbLb0EES1O_IbLb1EEEEDaS1K_S1L_EUlS1K_E_NS1_11comp_targetILNS1_3genE4ELNS1_11target_archE910ELNS1_3gpuE8ELNS1_3repE0EEENS1_30default_config_static_selectorELNS0_4arch9wavefront6targetE0EEEvSY_.uses_flat_scratch, 0
	.set _ZN7rocprim17ROCPRIM_400000_NS6detail17trampoline_kernelINS0_13select_configILj256ELj13ELNS0_17block_load_methodE3ELS4_3ELS4_3ELNS0_20block_scan_algorithmE0ELj4294967295EEENS1_25partition_config_selectorILNS1_17partition_subalgoE3EjNS0_10empty_typeEbEEZZNS1_14partition_implILS8_3ELb0ES6_jNS0_17counting_iteratorIjlEEPS9_SE_NS0_5tupleIJPjSE_EEENSF_IJSE_SE_EEES9_SG_JZNS1_25segmented_radix_sort_implINS0_14default_configELb1EPKaPaPKlPlN2at6native12_GLOBAL__N_18offset_tEEE10hipError_tPvRmT1_PNSt15iterator_traitsISY_E10value_typeET2_T3_PNSZ_IS14_E10value_typeET4_jRbjT5_S1A_jjP12ihipStream_tbEUljE_EEESV_SW_SX_S14_S18_S1A_T6_T7_T9_mT8_S1C_bDpT10_ENKUlT_T0_E_clISt17integral_constantIbLb0EES1O_IbLb1EEEEDaS1K_S1L_EUlS1K_E_NS1_11comp_targetILNS1_3genE4ELNS1_11target_archE910ELNS1_3gpuE8ELNS1_3repE0EEENS1_30default_config_static_selectorELNS0_4arch9wavefront6targetE0EEEvSY_.has_dyn_sized_stack, 0
	.set _ZN7rocprim17ROCPRIM_400000_NS6detail17trampoline_kernelINS0_13select_configILj256ELj13ELNS0_17block_load_methodE3ELS4_3ELS4_3ELNS0_20block_scan_algorithmE0ELj4294967295EEENS1_25partition_config_selectorILNS1_17partition_subalgoE3EjNS0_10empty_typeEbEEZZNS1_14partition_implILS8_3ELb0ES6_jNS0_17counting_iteratorIjlEEPS9_SE_NS0_5tupleIJPjSE_EEENSF_IJSE_SE_EEES9_SG_JZNS1_25segmented_radix_sort_implINS0_14default_configELb1EPKaPaPKlPlN2at6native12_GLOBAL__N_18offset_tEEE10hipError_tPvRmT1_PNSt15iterator_traitsISY_E10value_typeET2_T3_PNSZ_IS14_E10value_typeET4_jRbjT5_S1A_jjP12ihipStream_tbEUljE_EEESV_SW_SX_S14_S18_S1A_T6_T7_T9_mT8_S1C_bDpT10_ENKUlT_T0_E_clISt17integral_constantIbLb0EES1O_IbLb1EEEEDaS1K_S1L_EUlS1K_E_NS1_11comp_targetILNS1_3genE4ELNS1_11target_archE910ELNS1_3gpuE8ELNS1_3repE0EEENS1_30default_config_static_selectorELNS0_4arch9wavefront6targetE0EEEvSY_.has_recursion, 0
	.set _ZN7rocprim17ROCPRIM_400000_NS6detail17trampoline_kernelINS0_13select_configILj256ELj13ELNS0_17block_load_methodE3ELS4_3ELS4_3ELNS0_20block_scan_algorithmE0ELj4294967295EEENS1_25partition_config_selectorILNS1_17partition_subalgoE3EjNS0_10empty_typeEbEEZZNS1_14partition_implILS8_3ELb0ES6_jNS0_17counting_iteratorIjlEEPS9_SE_NS0_5tupleIJPjSE_EEENSF_IJSE_SE_EEES9_SG_JZNS1_25segmented_radix_sort_implINS0_14default_configELb1EPKaPaPKlPlN2at6native12_GLOBAL__N_18offset_tEEE10hipError_tPvRmT1_PNSt15iterator_traitsISY_E10value_typeET2_T3_PNSZ_IS14_E10value_typeET4_jRbjT5_S1A_jjP12ihipStream_tbEUljE_EEESV_SW_SX_S14_S18_S1A_T6_T7_T9_mT8_S1C_bDpT10_ENKUlT_T0_E_clISt17integral_constantIbLb0EES1O_IbLb1EEEEDaS1K_S1L_EUlS1K_E_NS1_11comp_targetILNS1_3genE4ELNS1_11target_archE910ELNS1_3gpuE8ELNS1_3repE0EEENS1_30default_config_static_selectorELNS0_4arch9wavefront6targetE0EEEvSY_.has_indirect_call, 0
	.section	.AMDGPU.csdata,"",@progbits
; Kernel info:
; codeLenInByte = 0
; TotalNumSgprs: 0
; NumVgprs: 0
; ScratchSize: 0
; MemoryBound: 0
; FloatMode: 240
; IeeeMode: 1
; LDSByteSize: 0 bytes/workgroup (compile time only)
; SGPRBlocks: 0
; VGPRBlocks: 0
; NumSGPRsForWavesPerEU: 1
; NumVGPRsForWavesPerEU: 1
; NamedBarCnt: 0
; Occupancy: 16
; WaveLimiterHint : 0
; COMPUTE_PGM_RSRC2:SCRATCH_EN: 0
; COMPUTE_PGM_RSRC2:USER_SGPR: 2
; COMPUTE_PGM_RSRC2:TRAP_HANDLER: 0
; COMPUTE_PGM_RSRC2:TGID_X_EN: 1
; COMPUTE_PGM_RSRC2:TGID_Y_EN: 0
; COMPUTE_PGM_RSRC2:TGID_Z_EN: 0
; COMPUTE_PGM_RSRC2:TIDIG_COMP_CNT: 0
	.section	.text._ZN7rocprim17ROCPRIM_400000_NS6detail17trampoline_kernelINS0_13select_configILj256ELj13ELNS0_17block_load_methodE3ELS4_3ELS4_3ELNS0_20block_scan_algorithmE0ELj4294967295EEENS1_25partition_config_selectorILNS1_17partition_subalgoE3EjNS0_10empty_typeEbEEZZNS1_14partition_implILS8_3ELb0ES6_jNS0_17counting_iteratorIjlEEPS9_SE_NS0_5tupleIJPjSE_EEENSF_IJSE_SE_EEES9_SG_JZNS1_25segmented_radix_sort_implINS0_14default_configELb1EPKaPaPKlPlN2at6native12_GLOBAL__N_18offset_tEEE10hipError_tPvRmT1_PNSt15iterator_traitsISY_E10value_typeET2_T3_PNSZ_IS14_E10value_typeET4_jRbjT5_S1A_jjP12ihipStream_tbEUljE_EEESV_SW_SX_S14_S18_S1A_T6_T7_T9_mT8_S1C_bDpT10_ENKUlT_T0_E_clISt17integral_constantIbLb0EES1O_IbLb1EEEEDaS1K_S1L_EUlS1K_E_NS1_11comp_targetILNS1_3genE3ELNS1_11target_archE908ELNS1_3gpuE7ELNS1_3repE0EEENS1_30default_config_static_selectorELNS0_4arch9wavefront6targetE0EEEvSY_,"axG",@progbits,_ZN7rocprim17ROCPRIM_400000_NS6detail17trampoline_kernelINS0_13select_configILj256ELj13ELNS0_17block_load_methodE3ELS4_3ELS4_3ELNS0_20block_scan_algorithmE0ELj4294967295EEENS1_25partition_config_selectorILNS1_17partition_subalgoE3EjNS0_10empty_typeEbEEZZNS1_14partition_implILS8_3ELb0ES6_jNS0_17counting_iteratorIjlEEPS9_SE_NS0_5tupleIJPjSE_EEENSF_IJSE_SE_EEES9_SG_JZNS1_25segmented_radix_sort_implINS0_14default_configELb1EPKaPaPKlPlN2at6native12_GLOBAL__N_18offset_tEEE10hipError_tPvRmT1_PNSt15iterator_traitsISY_E10value_typeET2_T3_PNSZ_IS14_E10value_typeET4_jRbjT5_S1A_jjP12ihipStream_tbEUljE_EEESV_SW_SX_S14_S18_S1A_T6_T7_T9_mT8_S1C_bDpT10_ENKUlT_T0_E_clISt17integral_constantIbLb0EES1O_IbLb1EEEEDaS1K_S1L_EUlS1K_E_NS1_11comp_targetILNS1_3genE3ELNS1_11target_archE908ELNS1_3gpuE7ELNS1_3repE0EEENS1_30default_config_static_selectorELNS0_4arch9wavefront6targetE0EEEvSY_,comdat
	.globl	_ZN7rocprim17ROCPRIM_400000_NS6detail17trampoline_kernelINS0_13select_configILj256ELj13ELNS0_17block_load_methodE3ELS4_3ELS4_3ELNS0_20block_scan_algorithmE0ELj4294967295EEENS1_25partition_config_selectorILNS1_17partition_subalgoE3EjNS0_10empty_typeEbEEZZNS1_14partition_implILS8_3ELb0ES6_jNS0_17counting_iteratorIjlEEPS9_SE_NS0_5tupleIJPjSE_EEENSF_IJSE_SE_EEES9_SG_JZNS1_25segmented_radix_sort_implINS0_14default_configELb1EPKaPaPKlPlN2at6native12_GLOBAL__N_18offset_tEEE10hipError_tPvRmT1_PNSt15iterator_traitsISY_E10value_typeET2_T3_PNSZ_IS14_E10value_typeET4_jRbjT5_S1A_jjP12ihipStream_tbEUljE_EEESV_SW_SX_S14_S18_S1A_T6_T7_T9_mT8_S1C_bDpT10_ENKUlT_T0_E_clISt17integral_constantIbLb0EES1O_IbLb1EEEEDaS1K_S1L_EUlS1K_E_NS1_11comp_targetILNS1_3genE3ELNS1_11target_archE908ELNS1_3gpuE7ELNS1_3repE0EEENS1_30default_config_static_selectorELNS0_4arch9wavefront6targetE0EEEvSY_ ; -- Begin function _ZN7rocprim17ROCPRIM_400000_NS6detail17trampoline_kernelINS0_13select_configILj256ELj13ELNS0_17block_load_methodE3ELS4_3ELS4_3ELNS0_20block_scan_algorithmE0ELj4294967295EEENS1_25partition_config_selectorILNS1_17partition_subalgoE3EjNS0_10empty_typeEbEEZZNS1_14partition_implILS8_3ELb0ES6_jNS0_17counting_iteratorIjlEEPS9_SE_NS0_5tupleIJPjSE_EEENSF_IJSE_SE_EEES9_SG_JZNS1_25segmented_radix_sort_implINS0_14default_configELb1EPKaPaPKlPlN2at6native12_GLOBAL__N_18offset_tEEE10hipError_tPvRmT1_PNSt15iterator_traitsISY_E10value_typeET2_T3_PNSZ_IS14_E10value_typeET4_jRbjT5_S1A_jjP12ihipStream_tbEUljE_EEESV_SW_SX_S14_S18_S1A_T6_T7_T9_mT8_S1C_bDpT10_ENKUlT_T0_E_clISt17integral_constantIbLb0EES1O_IbLb1EEEEDaS1K_S1L_EUlS1K_E_NS1_11comp_targetILNS1_3genE3ELNS1_11target_archE908ELNS1_3gpuE7ELNS1_3repE0EEENS1_30default_config_static_selectorELNS0_4arch9wavefront6targetE0EEEvSY_
	.p2align	8
	.type	_ZN7rocprim17ROCPRIM_400000_NS6detail17trampoline_kernelINS0_13select_configILj256ELj13ELNS0_17block_load_methodE3ELS4_3ELS4_3ELNS0_20block_scan_algorithmE0ELj4294967295EEENS1_25partition_config_selectorILNS1_17partition_subalgoE3EjNS0_10empty_typeEbEEZZNS1_14partition_implILS8_3ELb0ES6_jNS0_17counting_iteratorIjlEEPS9_SE_NS0_5tupleIJPjSE_EEENSF_IJSE_SE_EEES9_SG_JZNS1_25segmented_radix_sort_implINS0_14default_configELb1EPKaPaPKlPlN2at6native12_GLOBAL__N_18offset_tEEE10hipError_tPvRmT1_PNSt15iterator_traitsISY_E10value_typeET2_T3_PNSZ_IS14_E10value_typeET4_jRbjT5_S1A_jjP12ihipStream_tbEUljE_EEESV_SW_SX_S14_S18_S1A_T6_T7_T9_mT8_S1C_bDpT10_ENKUlT_T0_E_clISt17integral_constantIbLb0EES1O_IbLb1EEEEDaS1K_S1L_EUlS1K_E_NS1_11comp_targetILNS1_3genE3ELNS1_11target_archE908ELNS1_3gpuE7ELNS1_3repE0EEENS1_30default_config_static_selectorELNS0_4arch9wavefront6targetE0EEEvSY_,@function
_ZN7rocprim17ROCPRIM_400000_NS6detail17trampoline_kernelINS0_13select_configILj256ELj13ELNS0_17block_load_methodE3ELS4_3ELS4_3ELNS0_20block_scan_algorithmE0ELj4294967295EEENS1_25partition_config_selectorILNS1_17partition_subalgoE3EjNS0_10empty_typeEbEEZZNS1_14partition_implILS8_3ELb0ES6_jNS0_17counting_iteratorIjlEEPS9_SE_NS0_5tupleIJPjSE_EEENSF_IJSE_SE_EEES9_SG_JZNS1_25segmented_radix_sort_implINS0_14default_configELb1EPKaPaPKlPlN2at6native12_GLOBAL__N_18offset_tEEE10hipError_tPvRmT1_PNSt15iterator_traitsISY_E10value_typeET2_T3_PNSZ_IS14_E10value_typeET4_jRbjT5_S1A_jjP12ihipStream_tbEUljE_EEESV_SW_SX_S14_S18_S1A_T6_T7_T9_mT8_S1C_bDpT10_ENKUlT_T0_E_clISt17integral_constantIbLb0EES1O_IbLb1EEEEDaS1K_S1L_EUlS1K_E_NS1_11comp_targetILNS1_3genE3ELNS1_11target_archE908ELNS1_3gpuE7ELNS1_3repE0EEENS1_30default_config_static_selectorELNS0_4arch9wavefront6targetE0EEEvSY_: ; @_ZN7rocprim17ROCPRIM_400000_NS6detail17trampoline_kernelINS0_13select_configILj256ELj13ELNS0_17block_load_methodE3ELS4_3ELS4_3ELNS0_20block_scan_algorithmE0ELj4294967295EEENS1_25partition_config_selectorILNS1_17partition_subalgoE3EjNS0_10empty_typeEbEEZZNS1_14partition_implILS8_3ELb0ES6_jNS0_17counting_iteratorIjlEEPS9_SE_NS0_5tupleIJPjSE_EEENSF_IJSE_SE_EEES9_SG_JZNS1_25segmented_radix_sort_implINS0_14default_configELb1EPKaPaPKlPlN2at6native12_GLOBAL__N_18offset_tEEE10hipError_tPvRmT1_PNSt15iterator_traitsISY_E10value_typeET2_T3_PNSZ_IS14_E10value_typeET4_jRbjT5_S1A_jjP12ihipStream_tbEUljE_EEESV_SW_SX_S14_S18_S1A_T6_T7_T9_mT8_S1C_bDpT10_ENKUlT_T0_E_clISt17integral_constantIbLb0EES1O_IbLb1EEEEDaS1K_S1L_EUlS1K_E_NS1_11comp_targetILNS1_3genE3ELNS1_11target_archE908ELNS1_3gpuE7ELNS1_3repE0EEENS1_30default_config_static_selectorELNS0_4arch9wavefront6targetE0EEEvSY_
; %bb.0:
	.section	.rodata,"a",@progbits
	.p2align	6, 0x0
	.amdhsa_kernel _ZN7rocprim17ROCPRIM_400000_NS6detail17trampoline_kernelINS0_13select_configILj256ELj13ELNS0_17block_load_methodE3ELS4_3ELS4_3ELNS0_20block_scan_algorithmE0ELj4294967295EEENS1_25partition_config_selectorILNS1_17partition_subalgoE3EjNS0_10empty_typeEbEEZZNS1_14partition_implILS8_3ELb0ES6_jNS0_17counting_iteratorIjlEEPS9_SE_NS0_5tupleIJPjSE_EEENSF_IJSE_SE_EEES9_SG_JZNS1_25segmented_radix_sort_implINS0_14default_configELb1EPKaPaPKlPlN2at6native12_GLOBAL__N_18offset_tEEE10hipError_tPvRmT1_PNSt15iterator_traitsISY_E10value_typeET2_T3_PNSZ_IS14_E10value_typeET4_jRbjT5_S1A_jjP12ihipStream_tbEUljE_EEESV_SW_SX_S14_S18_S1A_T6_T7_T9_mT8_S1C_bDpT10_ENKUlT_T0_E_clISt17integral_constantIbLb0EES1O_IbLb1EEEEDaS1K_S1L_EUlS1K_E_NS1_11comp_targetILNS1_3genE3ELNS1_11target_archE908ELNS1_3gpuE7ELNS1_3repE0EEENS1_30default_config_static_selectorELNS0_4arch9wavefront6targetE0EEEvSY_
		.amdhsa_group_segment_fixed_size 0
		.amdhsa_private_segment_fixed_size 0
		.amdhsa_kernarg_size 152
		.amdhsa_user_sgpr_count 2
		.amdhsa_user_sgpr_dispatch_ptr 0
		.amdhsa_user_sgpr_queue_ptr 0
		.amdhsa_user_sgpr_kernarg_segment_ptr 1
		.amdhsa_user_sgpr_dispatch_id 0
		.amdhsa_user_sgpr_kernarg_preload_length 0
		.amdhsa_user_sgpr_kernarg_preload_offset 0
		.amdhsa_user_sgpr_private_segment_size 0
		.amdhsa_wavefront_size32 1
		.amdhsa_uses_dynamic_stack 0
		.amdhsa_enable_private_segment 0
		.amdhsa_system_sgpr_workgroup_id_x 1
		.amdhsa_system_sgpr_workgroup_id_y 0
		.amdhsa_system_sgpr_workgroup_id_z 0
		.amdhsa_system_sgpr_workgroup_info 0
		.amdhsa_system_vgpr_workitem_id 0
		.amdhsa_next_free_vgpr 1
		.amdhsa_next_free_sgpr 1
		.amdhsa_named_barrier_count 0
		.amdhsa_reserve_vcc 0
		.amdhsa_float_round_mode_32 0
		.amdhsa_float_round_mode_16_64 0
		.amdhsa_float_denorm_mode_32 3
		.amdhsa_float_denorm_mode_16_64 3
		.amdhsa_fp16_overflow 0
		.amdhsa_memory_ordered 1
		.amdhsa_forward_progress 1
		.amdhsa_inst_pref_size 0
		.amdhsa_round_robin_scheduling 0
		.amdhsa_exception_fp_ieee_invalid_op 0
		.amdhsa_exception_fp_denorm_src 0
		.amdhsa_exception_fp_ieee_div_zero 0
		.amdhsa_exception_fp_ieee_overflow 0
		.amdhsa_exception_fp_ieee_underflow 0
		.amdhsa_exception_fp_ieee_inexact 0
		.amdhsa_exception_int_div_zero 0
	.end_amdhsa_kernel
	.section	.text._ZN7rocprim17ROCPRIM_400000_NS6detail17trampoline_kernelINS0_13select_configILj256ELj13ELNS0_17block_load_methodE3ELS4_3ELS4_3ELNS0_20block_scan_algorithmE0ELj4294967295EEENS1_25partition_config_selectorILNS1_17partition_subalgoE3EjNS0_10empty_typeEbEEZZNS1_14partition_implILS8_3ELb0ES6_jNS0_17counting_iteratorIjlEEPS9_SE_NS0_5tupleIJPjSE_EEENSF_IJSE_SE_EEES9_SG_JZNS1_25segmented_radix_sort_implINS0_14default_configELb1EPKaPaPKlPlN2at6native12_GLOBAL__N_18offset_tEEE10hipError_tPvRmT1_PNSt15iterator_traitsISY_E10value_typeET2_T3_PNSZ_IS14_E10value_typeET4_jRbjT5_S1A_jjP12ihipStream_tbEUljE_EEESV_SW_SX_S14_S18_S1A_T6_T7_T9_mT8_S1C_bDpT10_ENKUlT_T0_E_clISt17integral_constantIbLb0EES1O_IbLb1EEEEDaS1K_S1L_EUlS1K_E_NS1_11comp_targetILNS1_3genE3ELNS1_11target_archE908ELNS1_3gpuE7ELNS1_3repE0EEENS1_30default_config_static_selectorELNS0_4arch9wavefront6targetE0EEEvSY_,"axG",@progbits,_ZN7rocprim17ROCPRIM_400000_NS6detail17trampoline_kernelINS0_13select_configILj256ELj13ELNS0_17block_load_methodE3ELS4_3ELS4_3ELNS0_20block_scan_algorithmE0ELj4294967295EEENS1_25partition_config_selectorILNS1_17partition_subalgoE3EjNS0_10empty_typeEbEEZZNS1_14partition_implILS8_3ELb0ES6_jNS0_17counting_iteratorIjlEEPS9_SE_NS0_5tupleIJPjSE_EEENSF_IJSE_SE_EEES9_SG_JZNS1_25segmented_radix_sort_implINS0_14default_configELb1EPKaPaPKlPlN2at6native12_GLOBAL__N_18offset_tEEE10hipError_tPvRmT1_PNSt15iterator_traitsISY_E10value_typeET2_T3_PNSZ_IS14_E10value_typeET4_jRbjT5_S1A_jjP12ihipStream_tbEUljE_EEESV_SW_SX_S14_S18_S1A_T6_T7_T9_mT8_S1C_bDpT10_ENKUlT_T0_E_clISt17integral_constantIbLb0EES1O_IbLb1EEEEDaS1K_S1L_EUlS1K_E_NS1_11comp_targetILNS1_3genE3ELNS1_11target_archE908ELNS1_3gpuE7ELNS1_3repE0EEENS1_30default_config_static_selectorELNS0_4arch9wavefront6targetE0EEEvSY_,comdat
.Lfunc_end283:
	.size	_ZN7rocprim17ROCPRIM_400000_NS6detail17trampoline_kernelINS0_13select_configILj256ELj13ELNS0_17block_load_methodE3ELS4_3ELS4_3ELNS0_20block_scan_algorithmE0ELj4294967295EEENS1_25partition_config_selectorILNS1_17partition_subalgoE3EjNS0_10empty_typeEbEEZZNS1_14partition_implILS8_3ELb0ES6_jNS0_17counting_iteratorIjlEEPS9_SE_NS0_5tupleIJPjSE_EEENSF_IJSE_SE_EEES9_SG_JZNS1_25segmented_radix_sort_implINS0_14default_configELb1EPKaPaPKlPlN2at6native12_GLOBAL__N_18offset_tEEE10hipError_tPvRmT1_PNSt15iterator_traitsISY_E10value_typeET2_T3_PNSZ_IS14_E10value_typeET4_jRbjT5_S1A_jjP12ihipStream_tbEUljE_EEESV_SW_SX_S14_S18_S1A_T6_T7_T9_mT8_S1C_bDpT10_ENKUlT_T0_E_clISt17integral_constantIbLb0EES1O_IbLb1EEEEDaS1K_S1L_EUlS1K_E_NS1_11comp_targetILNS1_3genE3ELNS1_11target_archE908ELNS1_3gpuE7ELNS1_3repE0EEENS1_30default_config_static_selectorELNS0_4arch9wavefront6targetE0EEEvSY_, .Lfunc_end283-_ZN7rocprim17ROCPRIM_400000_NS6detail17trampoline_kernelINS0_13select_configILj256ELj13ELNS0_17block_load_methodE3ELS4_3ELS4_3ELNS0_20block_scan_algorithmE0ELj4294967295EEENS1_25partition_config_selectorILNS1_17partition_subalgoE3EjNS0_10empty_typeEbEEZZNS1_14partition_implILS8_3ELb0ES6_jNS0_17counting_iteratorIjlEEPS9_SE_NS0_5tupleIJPjSE_EEENSF_IJSE_SE_EEES9_SG_JZNS1_25segmented_radix_sort_implINS0_14default_configELb1EPKaPaPKlPlN2at6native12_GLOBAL__N_18offset_tEEE10hipError_tPvRmT1_PNSt15iterator_traitsISY_E10value_typeET2_T3_PNSZ_IS14_E10value_typeET4_jRbjT5_S1A_jjP12ihipStream_tbEUljE_EEESV_SW_SX_S14_S18_S1A_T6_T7_T9_mT8_S1C_bDpT10_ENKUlT_T0_E_clISt17integral_constantIbLb0EES1O_IbLb1EEEEDaS1K_S1L_EUlS1K_E_NS1_11comp_targetILNS1_3genE3ELNS1_11target_archE908ELNS1_3gpuE7ELNS1_3repE0EEENS1_30default_config_static_selectorELNS0_4arch9wavefront6targetE0EEEvSY_
                                        ; -- End function
	.set _ZN7rocprim17ROCPRIM_400000_NS6detail17trampoline_kernelINS0_13select_configILj256ELj13ELNS0_17block_load_methodE3ELS4_3ELS4_3ELNS0_20block_scan_algorithmE0ELj4294967295EEENS1_25partition_config_selectorILNS1_17partition_subalgoE3EjNS0_10empty_typeEbEEZZNS1_14partition_implILS8_3ELb0ES6_jNS0_17counting_iteratorIjlEEPS9_SE_NS0_5tupleIJPjSE_EEENSF_IJSE_SE_EEES9_SG_JZNS1_25segmented_radix_sort_implINS0_14default_configELb1EPKaPaPKlPlN2at6native12_GLOBAL__N_18offset_tEEE10hipError_tPvRmT1_PNSt15iterator_traitsISY_E10value_typeET2_T3_PNSZ_IS14_E10value_typeET4_jRbjT5_S1A_jjP12ihipStream_tbEUljE_EEESV_SW_SX_S14_S18_S1A_T6_T7_T9_mT8_S1C_bDpT10_ENKUlT_T0_E_clISt17integral_constantIbLb0EES1O_IbLb1EEEEDaS1K_S1L_EUlS1K_E_NS1_11comp_targetILNS1_3genE3ELNS1_11target_archE908ELNS1_3gpuE7ELNS1_3repE0EEENS1_30default_config_static_selectorELNS0_4arch9wavefront6targetE0EEEvSY_.num_vgpr, 0
	.set _ZN7rocprim17ROCPRIM_400000_NS6detail17trampoline_kernelINS0_13select_configILj256ELj13ELNS0_17block_load_methodE3ELS4_3ELS4_3ELNS0_20block_scan_algorithmE0ELj4294967295EEENS1_25partition_config_selectorILNS1_17partition_subalgoE3EjNS0_10empty_typeEbEEZZNS1_14partition_implILS8_3ELb0ES6_jNS0_17counting_iteratorIjlEEPS9_SE_NS0_5tupleIJPjSE_EEENSF_IJSE_SE_EEES9_SG_JZNS1_25segmented_radix_sort_implINS0_14default_configELb1EPKaPaPKlPlN2at6native12_GLOBAL__N_18offset_tEEE10hipError_tPvRmT1_PNSt15iterator_traitsISY_E10value_typeET2_T3_PNSZ_IS14_E10value_typeET4_jRbjT5_S1A_jjP12ihipStream_tbEUljE_EEESV_SW_SX_S14_S18_S1A_T6_T7_T9_mT8_S1C_bDpT10_ENKUlT_T0_E_clISt17integral_constantIbLb0EES1O_IbLb1EEEEDaS1K_S1L_EUlS1K_E_NS1_11comp_targetILNS1_3genE3ELNS1_11target_archE908ELNS1_3gpuE7ELNS1_3repE0EEENS1_30default_config_static_selectorELNS0_4arch9wavefront6targetE0EEEvSY_.num_agpr, 0
	.set _ZN7rocprim17ROCPRIM_400000_NS6detail17trampoline_kernelINS0_13select_configILj256ELj13ELNS0_17block_load_methodE3ELS4_3ELS4_3ELNS0_20block_scan_algorithmE0ELj4294967295EEENS1_25partition_config_selectorILNS1_17partition_subalgoE3EjNS0_10empty_typeEbEEZZNS1_14partition_implILS8_3ELb0ES6_jNS0_17counting_iteratorIjlEEPS9_SE_NS0_5tupleIJPjSE_EEENSF_IJSE_SE_EEES9_SG_JZNS1_25segmented_radix_sort_implINS0_14default_configELb1EPKaPaPKlPlN2at6native12_GLOBAL__N_18offset_tEEE10hipError_tPvRmT1_PNSt15iterator_traitsISY_E10value_typeET2_T3_PNSZ_IS14_E10value_typeET4_jRbjT5_S1A_jjP12ihipStream_tbEUljE_EEESV_SW_SX_S14_S18_S1A_T6_T7_T9_mT8_S1C_bDpT10_ENKUlT_T0_E_clISt17integral_constantIbLb0EES1O_IbLb1EEEEDaS1K_S1L_EUlS1K_E_NS1_11comp_targetILNS1_3genE3ELNS1_11target_archE908ELNS1_3gpuE7ELNS1_3repE0EEENS1_30default_config_static_selectorELNS0_4arch9wavefront6targetE0EEEvSY_.numbered_sgpr, 0
	.set _ZN7rocprim17ROCPRIM_400000_NS6detail17trampoline_kernelINS0_13select_configILj256ELj13ELNS0_17block_load_methodE3ELS4_3ELS4_3ELNS0_20block_scan_algorithmE0ELj4294967295EEENS1_25partition_config_selectorILNS1_17partition_subalgoE3EjNS0_10empty_typeEbEEZZNS1_14partition_implILS8_3ELb0ES6_jNS0_17counting_iteratorIjlEEPS9_SE_NS0_5tupleIJPjSE_EEENSF_IJSE_SE_EEES9_SG_JZNS1_25segmented_radix_sort_implINS0_14default_configELb1EPKaPaPKlPlN2at6native12_GLOBAL__N_18offset_tEEE10hipError_tPvRmT1_PNSt15iterator_traitsISY_E10value_typeET2_T3_PNSZ_IS14_E10value_typeET4_jRbjT5_S1A_jjP12ihipStream_tbEUljE_EEESV_SW_SX_S14_S18_S1A_T6_T7_T9_mT8_S1C_bDpT10_ENKUlT_T0_E_clISt17integral_constantIbLb0EES1O_IbLb1EEEEDaS1K_S1L_EUlS1K_E_NS1_11comp_targetILNS1_3genE3ELNS1_11target_archE908ELNS1_3gpuE7ELNS1_3repE0EEENS1_30default_config_static_selectorELNS0_4arch9wavefront6targetE0EEEvSY_.num_named_barrier, 0
	.set _ZN7rocprim17ROCPRIM_400000_NS6detail17trampoline_kernelINS0_13select_configILj256ELj13ELNS0_17block_load_methodE3ELS4_3ELS4_3ELNS0_20block_scan_algorithmE0ELj4294967295EEENS1_25partition_config_selectorILNS1_17partition_subalgoE3EjNS0_10empty_typeEbEEZZNS1_14partition_implILS8_3ELb0ES6_jNS0_17counting_iteratorIjlEEPS9_SE_NS0_5tupleIJPjSE_EEENSF_IJSE_SE_EEES9_SG_JZNS1_25segmented_radix_sort_implINS0_14default_configELb1EPKaPaPKlPlN2at6native12_GLOBAL__N_18offset_tEEE10hipError_tPvRmT1_PNSt15iterator_traitsISY_E10value_typeET2_T3_PNSZ_IS14_E10value_typeET4_jRbjT5_S1A_jjP12ihipStream_tbEUljE_EEESV_SW_SX_S14_S18_S1A_T6_T7_T9_mT8_S1C_bDpT10_ENKUlT_T0_E_clISt17integral_constantIbLb0EES1O_IbLb1EEEEDaS1K_S1L_EUlS1K_E_NS1_11comp_targetILNS1_3genE3ELNS1_11target_archE908ELNS1_3gpuE7ELNS1_3repE0EEENS1_30default_config_static_selectorELNS0_4arch9wavefront6targetE0EEEvSY_.private_seg_size, 0
	.set _ZN7rocprim17ROCPRIM_400000_NS6detail17trampoline_kernelINS0_13select_configILj256ELj13ELNS0_17block_load_methodE3ELS4_3ELS4_3ELNS0_20block_scan_algorithmE0ELj4294967295EEENS1_25partition_config_selectorILNS1_17partition_subalgoE3EjNS0_10empty_typeEbEEZZNS1_14partition_implILS8_3ELb0ES6_jNS0_17counting_iteratorIjlEEPS9_SE_NS0_5tupleIJPjSE_EEENSF_IJSE_SE_EEES9_SG_JZNS1_25segmented_radix_sort_implINS0_14default_configELb1EPKaPaPKlPlN2at6native12_GLOBAL__N_18offset_tEEE10hipError_tPvRmT1_PNSt15iterator_traitsISY_E10value_typeET2_T3_PNSZ_IS14_E10value_typeET4_jRbjT5_S1A_jjP12ihipStream_tbEUljE_EEESV_SW_SX_S14_S18_S1A_T6_T7_T9_mT8_S1C_bDpT10_ENKUlT_T0_E_clISt17integral_constantIbLb0EES1O_IbLb1EEEEDaS1K_S1L_EUlS1K_E_NS1_11comp_targetILNS1_3genE3ELNS1_11target_archE908ELNS1_3gpuE7ELNS1_3repE0EEENS1_30default_config_static_selectorELNS0_4arch9wavefront6targetE0EEEvSY_.uses_vcc, 0
	.set _ZN7rocprim17ROCPRIM_400000_NS6detail17trampoline_kernelINS0_13select_configILj256ELj13ELNS0_17block_load_methodE3ELS4_3ELS4_3ELNS0_20block_scan_algorithmE0ELj4294967295EEENS1_25partition_config_selectorILNS1_17partition_subalgoE3EjNS0_10empty_typeEbEEZZNS1_14partition_implILS8_3ELb0ES6_jNS0_17counting_iteratorIjlEEPS9_SE_NS0_5tupleIJPjSE_EEENSF_IJSE_SE_EEES9_SG_JZNS1_25segmented_radix_sort_implINS0_14default_configELb1EPKaPaPKlPlN2at6native12_GLOBAL__N_18offset_tEEE10hipError_tPvRmT1_PNSt15iterator_traitsISY_E10value_typeET2_T3_PNSZ_IS14_E10value_typeET4_jRbjT5_S1A_jjP12ihipStream_tbEUljE_EEESV_SW_SX_S14_S18_S1A_T6_T7_T9_mT8_S1C_bDpT10_ENKUlT_T0_E_clISt17integral_constantIbLb0EES1O_IbLb1EEEEDaS1K_S1L_EUlS1K_E_NS1_11comp_targetILNS1_3genE3ELNS1_11target_archE908ELNS1_3gpuE7ELNS1_3repE0EEENS1_30default_config_static_selectorELNS0_4arch9wavefront6targetE0EEEvSY_.uses_flat_scratch, 0
	.set _ZN7rocprim17ROCPRIM_400000_NS6detail17trampoline_kernelINS0_13select_configILj256ELj13ELNS0_17block_load_methodE3ELS4_3ELS4_3ELNS0_20block_scan_algorithmE0ELj4294967295EEENS1_25partition_config_selectorILNS1_17partition_subalgoE3EjNS0_10empty_typeEbEEZZNS1_14partition_implILS8_3ELb0ES6_jNS0_17counting_iteratorIjlEEPS9_SE_NS0_5tupleIJPjSE_EEENSF_IJSE_SE_EEES9_SG_JZNS1_25segmented_radix_sort_implINS0_14default_configELb1EPKaPaPKlPlN2at6native12_GLOBAL__N_18offset_tEEE10hipError_tPvRmT1_PNSt15iterator_traitsISY_E10value_typeET2_T3_PNSZ_IS14_E10value_typeET4_jRbjT5_S1A_jjP12ihipStream_tbEUljE_EEESV_SW_SX_S14_S18_S1A_T6_T7_T9_mT8_S1C_bDpT10_ENKUlT_T0_E_clISt17integral_constantIbLb0EES1O_IbLb1EEEEDaS1K_S1L_EUlS1K_E_NS1_11comp_targetILNS1_3genE3ELNS1_11target_archE908ELNS1_3gpuE7ELNS1_3repE0EEENS1_30default_config_static_selectorELNS0_4arch9wavefront6targetE0EEEvSY_.has_dyn_sized_stack, 0
	.set _ZN7rocprim17ROCPRIM_400000_NS6detail17trampoline_kernelINS0_13select_configILj256ELj13ELNS0_17block_load_methodE3ELS4_3ELS4_3ELNS0_20block_scan_algorithmE0ELj4294967295EEENS1_25partition_config_selectorILNS1_17partition_subalgoE3EjNS0_10empty_typeEbEEZZNS1_14partition_implILS8_3ELb0ES6_jNS0_17counting_iteratorIjlEEPS9_SE_NS0_5tupleIJPjSE_EEENSF_IJSE_SE_EEES9_SG_JZNS1_25segmented_radix_sort_implINS0_14default_configELb1EPKaPaPKlPlN2at6native12_GLOBAL__N_18offset_tEEE10hipError_tPvRmT1_PNSt15iterator_traitsISY_E10value_typeET2_T3_PNSZ_IS14_E10value_typeET4_jRbjT5_S1A_jjP12ihipStream_tbEUljE_EEESV_SW_SX_S14_S18_S1A_T6_T7_T9_mT8_S1C_bDpT10_ENKUlT_T0_E_clISt17integral_constantIbLb0EES1O_IbLb1EEEEDaS1K_S1L_EUlS1K_E_NS1_11comp_targetILNS1_3genE3ELNS1_11target_archE908ELNS1_3gpuE7ELNS1_3repE0EEENS1_30default_config_static_selectorELNS0_4arch9wavefront6targetE0EEEvSY_.has_recursion, 0
	.set _ZN7rocprim17ROCPRIM_400000_NS6detail17trampoline_kernelINS0_13select_configILj256ELj13ELNS0_17block_load_methodE3ELS4_3ELS4_3ELNS0_20block_scan_algorithmE0ELj4294967295EEENS1_25partition_config_selectorILNS1_17partition_subalgoE3EjNS0_10empty_typeEbEEZZNS1_14partition_implILS8_3ELb0ES6_jNS0_17counting_iteratorIjlEEPS9_SE_NS0_5tupleIJPjSE_EEENSF_IJSE_SE_EEES9_SG_JZNS1_25segmented_radix_sort_implINS0_14default_configELb1EPKaPaPKlPlN2at6native12_GLOBAL__N_18offset_tEEE10hipError_tPvRmT1_PNSt15iterator_traitsISY_E10value_typeET2_T3_PNSZ_IS14_E10value_typeET4_jRbjT5_S1A_jjP12ihipStream_tbEUljE_EEESV_SW_SX_S14_S18_S1A_T6_T7_T9_mT8_S1C_bDpT10_ENKUlT_T0_E_clISt17integral_constantIbLb0EES1O_IbLb1EEEEDaS1K_S1L_EUlS1K_E_NS1_11comp_targetILNS1_3genE3ELNS1_11target_archE908ELNS1_3gpuE7ELNS1_3repE0EEENS1_30default_config_static_selectorELNS0_4arch9wavefront6targetE0EEEvSY_.has_indirect_call, 0
	.section	.AMDGPU.csdata,"",@progbits
; Kernel info:
; codeLenInByte = 0
; TotalNumSgprs: 0
; NumVgprs: 0
; ScratchSize: 0
; MemoryBound: 0
; FloatMode: 240
; IeeeMode: 1
; LDSByteSize: 0 bytes/workgroup (compile time only)
; SGPRBlocks: 0
; VGPRBlocks: 0
; NumSGPRsForWavesPerEU: 1
; NumVGPRsForWavesPerEU: 1
; NamedBarCnt: 0
; Occupancy: 16
; WaveLimiterHint : 0
; COMPUTE_PGM_RSRC2:SCRATCH_EN: 0
; COMPUTE_PGM_RSRC2:USER_SGPR: 2
; COMPUTE_PGM_RSRC2:TRAP_HANDLER: 0
; COMPUTE_PGM_RSRC2:TGID_X_EN: 1
; COMPUTE_PGM_RSRC2:TGID_Y_EN: 0
; COMPUTE_PGM_RSRC2:TGID_Z_EN: 0
; COMPUTE_PGM_RSRC2:TIDIG_COMP_CNT: 0
	.section	.text._ZN7rocprim17ROCPRIM_400000_NS6detail17trampoline_kernelINS0_13select_configILj256ELj13ELNS0_17block_load_methodE3ELS4_3ELS4_3ELNS0_20block_scan_algorithmE0ELj4294967295EEENS1_25partition_config_selectorILNS1_17partition_subalgoE3EjNS0_10empty_typeEbEEZZNS1_14partition_implILS8_3ELb0ES6_jNS0_17counting_iteratorIjlEEPS9_SE_NS0_5tupleIJPjSE_EEENSF_IJSE_SE_EEES9_SG_JZNS1_25segmented_radix_sort_implINS0_14default_configELb1EPKaPaPKlPlN2at6native12_GLOBAL__N_18offset_tEEE10hipError_tPvRmT1_PNSt15iterator_traitsISY_E10value_typeET2_T3_PNSZ_IS14_E10value_typeET4_jRbjT5_S1A_jjP12ihipStream_tbEUljE_EEESV_SW_SX_S14_S18_S1A_T6_T7_T9_mT8_S1C_bDpT10_ENKUlT_T0_E_clISt17integral_constantIbLb0EES1O_IbLb1EEEEDaS1K_S1L_EUlS1K_E_NS1_11comp_targetILNS1_3genE2ELNS1_11target_archE906ELNS1_3gpuE6ELNS1_3repE0EEENS1_30default_config_static_selectorELNS0_4arch9wavefront6targetE0EEEvSY_,"axG",@progbits,_ZN7rocprim17ROCPRIM_400000_NS6detail17trampoline_kernelINS0_13select_configILj256ELj13ELNS0_17block_load_methodE3ELS4_3ELS4_3ELNS0_20block_scan_algorithmE0ELj4294967295EEENS1_25partition_config_selectorILNS1_17partition_subalgoE3EjNS0_10empty_typeEbEEZZNS1_14partition_implILS8_3ELb0ES6_jNS0_17counting_iteratorIjlEEPS9_SE_NS0_5tupleIJPjSE_EEENSF_IJSE_SE_EEES9_SG_JZNS1_25segmented_radix_sort_implINS0_14default_configELb1EPKaPaPKlPlN2at6native12_GLOBAL__N_18offset_tEEE10hipError_tPvRmT1_PNSt15iterator_traitsISY_E10value_typeET2_T3_PNSZ_IS14_E10value_typeET4_jRbjT5_S1A_jjP12ihipStream_tbEUljE_EEESV_SW_SX_S14_S18_S1A_T6_T7_T9_mT8_S1C_bDpT10_ENKUlT_T0_E_clISt17integral_constantIbLb0EES1O_IbLb1EEEEDaS1K_S1L_EUlS1K_E_NS1_11comp_targetILNS1_3genE2ELNS1_11target_archE906ELNS1_3gpuE6ELNS1_3repE0EEENS1_30default_config_static_selectorELNS0_4arch9wavefront6targetE0EEEvSY_,comdat
	.globl	_ZN7rocprim17ROCPRIM_400000_NS6detail17trampoline_kernelINS0_13select_configILj256ELj13ELNS0_17block_load_methodE3ELS4_3ELS4_3ELNS0_20block_scan_algorithmE0ELj4294967295EEENS1_25partition_config_selectorILNS1_17partition_subalgoE3EjNS0_10empty_typeEbEEZZNS1_14partition_implILS8_3ELb0ES6_jNS0_17counting_iteratorIjlEEPS9_SE_NS0_5tupleIJPjSE_EEENSF_IJSE_SE_EEES9_SG_JZNS1_25segmented_radix_sort_implINS0_14default_configELb1EPKaPaPKlPlN2at6native12_GLOBAL__N_18offset_tEEE10hipError_tPvRmT1_PNSt15iterator_traitsISY_E10value_typeET2_T3_PNSZ_IS14_E10value_typeET4_jRbjT5_S1A_jjP12ihipStream_tbEUljE_EEESV_SW_SX_S14_S18_S1A_T6_T7_T9_mT8_S1C_bDpT10_ENKUlT_T0_E_clISt17integral_constantIbLb0EES1O_IbLb1EEEEDaS1K_S1L_EUlS1K_E_NS1_11comp_targetILNS1_3genE2ELNS1_11target_archE906ELNS1_3gpuE6ELNS1_3repE0EEENS1_30default_config_static_selectorELNS0_4arch9wavefront6targetE0EEEvSY_ ; -- Begin function _ZN7rocprim17ROCPRIM_400000_NS6detail17trampoline_kernelINS0_13select_configILj256ELj13ELNS0_17block_load_methodE3ELS4_3ELS4_3ELNS0_20block_scan_algorithmE0ELj4294967295EEENS1_25partition_config_selectorILNS1_17partition_subalgoE3EjNS0_10empty_typeEbEEZZNS1_14partition_implILS8_3ELb0ES6_jNS0_17counting_iteratorIjlEEPS9_SE_NS0_5tupleIJPjSE_EEENSF_IJSE_SE_EEES9_SG_JZNS1_25segmented_radix_sort_implINS0_14default_configELb1EPKaPaPKlPlN2at6native12_GLOBAL__N_18offset_tEEE10hipError_tPvRmT1_PNSt15iterator_traitsISY_E10value_typeET2_T3_PNSZ_IS14_E10value_typeET4_jRbjT5_S1A_jjP12ihipStream_tbEUljE_EEESV_SW_SX_S14_S18_S1A_T6_T7_T9_mT8_S1C_bDpT10_ENKUlT_T0_E_clISt17integral_constantIbLb0EES1O_IbLb1EEEEDaS1K_S1L_EUlS1K_E_NS1_11comp_targetILNS1_3genE2ELNS1_11target_archE906ELNS1_3gpuE6ELNS1_3repE0EEENS1_30default_config_static_selectorELNS0_4arch9wavefront6targetE0EEEvSY_
	.p2align	8
	.type	_ZN7rocprim17ROCPRIM_400000_NS6detail17trampoline_kernelINS0_13select_configILj256ELj13ELNS0_17block_load_methodE3ELS4_3ELS4_3ELNS0_20block_scan_algorithmE0ELj4294967295EEENS1_25partition_config_selectorILNS1_17partition_subalgoE3EjNS0_10empty_typeEbEEZZNS1_14partition_implILS8_3ELb0ES6_jNS0_17counting_iteratorIjlEEPS9_SE_NS0_5tupleIJPjSE_EEENSF_IJSE_SE_EEES9_SG_JZNS1_25segmented_radix_sort_implINS0_14default_configELb1EPKaPaPKlPlN2at6native12_GLOBAL__N_18offset_tEEE10hipError_tPvRmT1_PNSt15iterator_traitsISY_E10value_typeET2_T3_PNSZ_IS14_E10value_typeET4_jRbjT5_S1A_jjP12ihipStream_tbEUljE_EEESV_SW_SX_S14_S18_S1A_T6_T7_T9_mT8_S1C_bDpT10_ENKUlT_T0_E_clISt17integral_constantIbLb0EES1O_IbLb1EEEEDaS1K_S1L_EUlS1K_E_NS1_11comp_targetILNS1_3genE2ELNS1_11target_archE906ELNS1_3gpuE6ELNS1_3repE0EEENS1_30default_config_static_selectorELNS0_4arch9wavefront6targetE0EEEvSY_,@function
_ZN7rocprim17ROCPRIM_400000_NS6detail17trampoline_kernelINS0_13select_configILj256ELj13ELNS0_17block_load_methodE3ELS4_3ELS4_3ELNS0_20block_scan_algorithmE0ELj4294967295EEENS1_25partition_config_selectorILNS1_17partition_subalgoE3EjNS0_10empty_typeEbEEZZNS1_14partition_implILS8_3ELb0ES6_jNS0_17counting_iteratorIjlEEPS9_SE_NS0_5tupleIJPjSE_EEENSF_IJSE_SE_EEES9_SG_JZNS1_25segmented_radix_sort_implINS0_14default_configELb1EPKaPaPKlPlN2at6native12_GLOBAL__N_18offset_tEEE10hipError_tPvRmT1_PNSt15iterator_traitsISY_E10value_typeET2_T3_PNSZ_IS14_E10value_typeET4_jRbjT5_S1A_jjP12ihipStream_tbEUljE_EEESV_SW_SX_S14_S18_S1A_T6_T7_T9_mT8_S1C_bDpT10_ENKUlT_T0_E_clISt17integral_constantIbLb0EES1O_IbLb1EEEEDaS1K_S1L_EUlS1K_E_NS1_11comp_targetILNS1_3genE2ELNS1_11target_archE906ELNS1_3gpuE6ELNS1_3repE0EEENS1_30default_config_static_selectorELNS0_4arch9wavefront6targetE0EEEvSY_: ; @_ZN7rocprim17ROCPRIM_400000_NS6detail17trampoline_kernelINS0_13select_configILj256ELj13ELNS0_17block_load_methodE3ELS4_3ELS4_3ELNS0_20block_scan_algorithmE0ELj4294967295EEENS1_25partition_config_selectorILNS1_17partition_subalgoE3EjNS0_10empty_typeEbEEZZNS1_14partition_implILS8_3ELb0ES6_jNS0_17counting_iteratorIjlEEPS9_SE_NS0_5tupleIJPjSE_EEENSF_IJSE_SE_EEES9_SG_JZNS1_25segmented_radix_sort_implINS0_14default_configELb1EPKaPaPKlPlN2at6native12_GLOBAL__N_18offset_tEEE10hipError_tPvRmT1_PNSt15iterator_traitsISY_E10value_typeET2_T3_PNSZ_IS14_E10value_typeET4_jRbjT5_S1A_jjP12ihipStream_tbEUljE_EEESV_SW_SX_S14_S18_S1A_T6_T7_T9_mT8_S1C_bDpT10_ENKUlT_T0_E_clISt17integral_constantIbLb0EES1O_IbLb1EEEEDaS1K_S1L_EUlS1K_E_NS1_11comp_targetILNS1_3genE2ELNS1_11target_archE906ELNS1_3gpuE6ELNS1_3repE0EEENS1_30default_config_static_selectorELNS0_4arch9wavefront6targetE0EEEvSY_
; %bb.0:
	.section	.rodata,"a",@progbits
	.p2align	6, 0x0
	.amdhsa_kernel _ZN7rocprim17ROCPRIM_400000_NS6detail17trampoline_kernelINS0_13select_configILj256ELj13ELNS0_17block_load_methodE3ELS4_3ELS4_3ELNS0_20block_scan_algorithmE0ELj4294967295EEENS1_25partition_config_selectorILNS1_17partition_subalgoE3EjNS0_10empty_typeEbEEZZNS1_14partition_implILS8_3ELb0ES6_jNS0_17counting_iteratorIjlEEPS9_SE_NS0_5tupleIJPjSE_EEENSF_IJSE_SE_EEES9_SG_JZNS1_25segmented_radix_sort_implINS0_14default_configELb1EPKaPaPKlPlN2at6native12_GLOBAL__N_18offset_tEEE10hipError_tPvRmT1_PNSt15iterator_traitsISY_E10value_typeET2_T3_PNSZ_IS14_E10value_typeET4_jRbjT5_S1A_jjP12ihipStream_tbEUljE_EEESV_SW_SX_S14_S18_S1A_T6_T7_T9_mT8_S1C_bDpT10_ENKUlT_T0_E_clISt17integral_constantIbLb0EES1O_IbLb1EEEEDaS1K_S1L_EUlS1K_E_NS1_11comp_targetILNS1_3genE2ELNS1_11target_archE906ELNS1_3gpuE6ELNS1_3repE0EEENS1_30default_config_static_selectorELNS0_4arch9wavefront6targetE0EEEvSY_
		.amdhsa_group_segment_fixed_size 0
		.amdhsa_private_segment_fixed_size 0
		.amdhsa_kernarg_size 152
		.amdhsa_user_sgpr_count 2
		.amdhsa_user_sgpr_dispatch_ptr 0
		.amdhsa_user_sgpr_queue_ptr 0
		.amdhsa_user_sgpr_kernarg_segment_ptr 1
		.amdhsa_user_sgpr_dispatch_id 0
		.amdhsa_user_sgpr_kernarg_preload_length 0
		.amdhsa_user_sgpr_kernarg_preload_offset 0
		.amdhsa_user_sgpr_private_segment_size 0
		.amdhsa_wavefront_size32 1
		.amdhsa_uses_dynamic_stack 0
		.amdhsa_enable_private_segment 0
		.amdhsa_system_sgpr_workgroup_id_x 1
		.amdhsa_system_sgpr_workgroup_id_y 0
		.amdhsa_system_sgpr_workgroup_id_z 0
		.amdhsa_system_sgpr_workgroup_info 0
		.amdhsa_system_vgpr_workitem_id 0
		.amdhsa_next_free_vgpr 1
		.amdhsa_next_free_sgpr 1
		.amdhsa_named_barrier_count 0
		.amdhsa_reserve_vcc 0
		.amdhsa_float_round_mode_32 0
		.amdhsa_float_round_mode_16_64 0
		.amdhsa_float_denorm_mode_32 3
		.amdhsa_float_denorm_mode_16_64 3
		.amdhsa_fp16_overflow 0
		.amdhsa_memory_ordered 1
		.amdhsa_forward_progress 1
		.amdhsa_inst_pref_size 0
		.amdhsa_round_robin_scheduling 0
		.amdhsa_exception_fp_ieee_invalid_op 0
		.amdhsa_exception_fp_denorm_src 0
		.amdhsa_exception_fp_ieee_div_zero 0
		.amdhsa_exception_fp_ieee_overflow 0
		.amdhsa_exception_fp_ieee_underflow 0
		.amdhsa_exception_fp_ieee_inexact 0
		.amdhsa_exception_int_div_zero 0
	.end_amdhsa_kernel
	.section	.text._ZN7rocprim17ROCPRIM_400000_NS6detail17trampoline_kernelINS0_13select_configILj256ELj13ELNS0_17block_load_methodE3ELS4_3ELS4_3ELNS0_20block_scan_algorithmE0ELj4294967295EEENS1_25partition_config_selectorILNS1_17partition_subalgoE3EjNS0_10empty_typeEbEEZZNS1_14partition_implILS8_3ELb0ES6_jNS0_17counting_iteratorIjlEEPS9_SE_NS0_5tupleIJPjSE_EEENSF_IJSE_SE_EEES9_SG_JZNS1_25segmented_radix_sort_implINS0_14default_configELb1EPKaPaPKlPlN2at6native12_GLOBAL__N_18offset_tEEE10hipError_tPvRmT1_PNSt15iterator_traitsISY_E10value_typeET2_T3_PNSZ_IS14_E10value_typeET4_jRbjT5_S1A_jjP12ihipStream_tbEUljE_EEESV_SW_SX_S14_S18_S1A_T6_T7_T9_mT8_S1C_bDpT10_ENKUlT_T0_E_clISt17integral_constantIbLb0EES1O_IbLb1EEEEDaS1K_S1L_EUlS1K_E_NS1_11comp_targetILNS1_3genE2ELNS1_11target_archE906ELNS1_3gpuE6ELNS1_3repE0EEENS1_30default_config_static_selectorELNS0_4arch9wavefront6targetE0EEEvSY_,"axG",@progbits,_ZN7rocprim17ROCPRIM_400000_NS6detail17trampoline_kernelINS0_13select_configILj256ELj13ELNS0_17block_load_methodE3ELS4_3ELS4_3ELNS0_20block_scan_algorithmE0ELj4294967295EEENS1_25partition_config_selectorILNS1_17partition_subalgoE3EjNS0_10empty_typeEbEEZZNS1_14partition_implILS8_3ELb0ES6_jNS0_17counting_iteratorIjlEEPS9_SE_NS0_5tupleIJPjSE_EEENSF_IJSE_SE_EEES9_SG_JZNS1_25segmented_radix_sort_implINS0_14default_configELb1EPKaPaPKlPlN2at6native12_GLOBAL__N_18offset_tEEE10hipError_tPvRmT1_PNSt15iterator_traitsISY_E10value_typeET2_T3_PNSZ_IS14_E10value_typeET4_jRbjT5_S1A_jjP12ihipStream_tbEUljE_EEESV_SW_SX_S14_S18_S1A_T6_T7_T9_mT8_S1C_bDpT10_ENKUlT_T0_E_clISt17integral_constantIbLb0EES1O_IbLb1EEEEDaS1K_S1L_EUlS1K_E_NS1_11comp_targetILNS1_3genE2ELNS1_11target_archE906ELNS1_3gpuE6ELNS1_3repE0EEENS1_30default_config_static_selectorELNS0_4arch9wavefront6targetE0EEEvSY_,comdat
.Lfunc_end284:
	.size	_ZN7rocprim17ROCPRIM_400000_NS6detail17trampoline_kernelINS0_13select_configILj256ELj13ELNS0_17block_load_methodE3ELS4_3ELS4_3ELNS0_20block_scan_algorithmE0ELj4294967295EEENS1_25partition_config_selectorILNS1_17partition_subalgoE3EjNS0_10empty_typeEbEEZZNS1_14partition_implILS8_3ELb0ES6_jNS0_17counting_iteratorIjlEEPS9_SE_NS0_5tupleIJPjSE_EEENSF_IJSE_SE_EEES9_SG_JZNS1_25segmented_radix_sort_implINS0_14default_configELb1EPKaPaPKlPlN2at6native12_GLOBAL__N_18offset_tEEE10hipError_tPvRmT1_PNSt15iterator_traitsISY_E10value_typeET2_T3_PNSZ_IS14_E10value_typeET4_jRbjT5_S1A_jjP12ihipStream_tbEUljE_EEESV_SW_SX_S14_S18_S1A_T6_T7_T9_mT8_S1C_bDpT10_ENKUlT_T0_E_clISt17integral_constantIbLb0EES1O_IbLb1EEEEDaS1K_S1L_EUlS1K_E_NS1_11comp_targetILNS1_3genE2ELNS1_11target_archE906ELNS1_3gpuE6ELNS1_3repE0EEENS1_30default_config_static_selectorELNS0_4arch9wavefront6targetE0EEEvSY_, .Lfunc_end284-_ZN7rocprim17ROCPRIM_400000_NS6detail17trampoline_kernelINS0_13select_configILj256ELj13ELNS0_17block_load_methodE3ELS4_3ELS4_3ELNS0_20block_scan_algorithmE0ELj4294967295EEENS1_25partition_config_selectorILNS1_17partition_subalgoE3EjNS0_10empty_typeEbEEZZNS1_14partition_implILS8_3ELb0ES6_jNS0_17counting_iteratorIjlEEPS9_SE_NS0_5tupleIJPjSE_EEENSF_IJSE_SE_EEES9_SG_JZNS1_25segmented_radix_sort_implINS0_14default_configELb1EPKaPaPKlPlN2at6native12_GLOBAL__N_18offset_tEEE10hipError_tPvRmT1_PNSt15iterator_traitsISY_E10value_typeET2_T3_PNSZ_IS14_E10value_typeET4_jRbjT5_S1A_jjP12ihipStream_tbEUljE_EEESV_SW_SX_S14_S18_S1A_T6_T7_T9_mT8_S1C_bDpT10_ENKUlT_T0_E_clISt17integral_constantIbLb0EES1O_IbLb1EEEEDaS1K_S1L_EUlS1K_E_NS1_11comp_targetILNS1_3genE2ELNS1_11target_archE906ELNS1_3gpuE6ELNS1_3repE0EEENS1_30default_config_static_selectorELNS0_4arch9wavefront6targetE0EEEvSY_
                                        ; -- End function
	.set _ZN7rocprim17ROCPRIM_400000_NS6detail17trampoline_kernelINS0_13select_configILj256ELj13ELNS0_17block_load_methodE3ELS4_3ELS4_3ELNS0_20block_scan_algorithmE0ELj4294967295EEENS1_25partition_config_selectorILNS1_17partition_subalgoE3EjNS0_10empty_typeEbEEZZNS1_14partition_implILS8_3ELb0ES6_jNS0_17counting_iteratorIjlEEPS9_SE_NS0_5tupleIJPjSE_EEENSF_IJSE_SE_EEES9_SG_JZNS1_25segmented_radix_sort_implINS0_14default_configELb1EPKaPaPKlPlN2at6native12_GLOBAL__N_18offset_tEEE10hipError_tPvRmT1_PNSt15iterator_traitsISY_E10value_typeET2_T3_PNSZ_IS14_E10value_typeET4_jRbjT5_S1A_jjP12ihipStream_tbEUljE_EEESV_SW_SX_S14_S18_S1A_T6_T7_T9_mT8_S1C_bDpT10_ENKUlT_T0_E_clISt17integral_constantIbLb0EES1O_IbLb1EEEEDaS1K_S1L_EUlS1K_E_NS1_11comp_targetILNS1_3genE2ELNS1_11target_archE906ELNS1_3gpuE6ELNS1_3repE0EEENS1_30default_config_static_selectorELNS0_4arch9wavefront6targetE0EEEvSY_.num_vgpr, 0
	.set _ZN7rocprim17ROCPRIM_400000_NS6detail17trampoline_kernelINS0_13select_configILj256ELj13ELNS0_17block_load_methodE3ELS4_3ELS4_3ELNS0_20block_scan_algorithmE0ELj4294967295EEENS1_25partition_config_selectorILNS1_17partition_subalgoE3EjNS0_10empty_typeEbEEZZNS1_14partition_implILS8_3ELb0ES6_jNS0_17counting_iteratorIjlEEPS9_SE_NS0_5tupleIJPjSE_EEENSF_IJSE_SE_EEES9_SG_JZNS1_25segmented_radix_sort_implINS0_14default_configELb1EPKaPaPKlPlN2at6native12_GLOBAL__N_18offset_tEEE10hipError_tPvRmT1_PNSt15iterator_traitsISY_E10value_typeET2_T3_PNSZ_IS14_E10value_typeET4_jRbjT5_S1A_jjP12ihipStream_tbEUljE_EEESV_SW_SX_S14_S18_S1A_T6_T7_T9_mT8_S1C_bDpT10_ENKUlT_T0_E_clISt17integral_constantIbLb0EES1O_IbLb1EEEEDaS1K_S1L_EUlS1K_E_NS1_11comp_targetILNS1_3genE2ELNS1_11target_archE906ELNS1_3gpuE6ELNS1_3repE0EEENS1_30default_config_static_selectorELNS0_4arch9wavefront6targetE0EEEvSY_.num_agpr, 0
	.set _ZN7rocprim17ROCPRIM_400000_NS6detail17trampoline_kernelINS0_13select_configILj256ELj13ELNS0_17block_load_methodE3ELS4_3ELS4_3ELNS0_20block_scan_algorithmE0ELj4294967295EEENS1_25partition_config_selectorILNS1_17partition_subalgoE3EjNS0_10empty_typeEbEEZZNS1_14partition_implILS8_3ELb0ES6_jNS0_17counting_iteratorIjlEEPS9_SE_NS0_5tupleIJPjSE_EEENSF_IJSE_SE_EEES9_SG_JZNS1_25segmented_radix_sort_implINS0_14default_configELb1EPKaPaPKlPlN2at6native12_GLOBAL__N_18offset_tEEE10hipError_tPvRmT1_PNSt15iterator_traitsISY_E10value_typeET2_T3_PNSZ_IS14_E10value_typeET4_jRbjT5_S1A_jjP12ihipStream_tbEUljE_EEESV_SW_SX_S14_S18_S1A_T6_T7_T9_mT8_S1C_bDpT10_ENKUlT_T0_E_clISt17integral_constantIbLb0EES1O_IbLb1EEEEDaS1K_S1L_EUlS1K_E_NS1_11comp_targetILNS1_3genE2ELNS1_11target_archE906ELNS1_3gpuE6ELNS1_3repE0EEENS1_30default_config_static_selectorELNS0_4arch9wavefront6targetE0EEEvSY_.numbered_sgpr, 0
	.set _ZN7rocprim17ROCPRIM_400000_NS6detail17trampoline_kernelINS0_13select_configILj256ELj13ELNS0_17block_load_methodE3ELS4_3ELS4_3ELNS0_20block_scan_algorithmE0ELj4294967295EEENS1_25partition_config_selectorILNS1_17partition_subalgoE3EjNS0_10empty_typeEbEEZZNS1_14partition_implILS8_3ELb0ES6_jNS0_17counting_iteratorIjlEEPS9_SE_NS0_5tupleIJPjSE_EEENSF_IJSE_SE_EEES9_SG_JZNS1_25segmented_radix_sort_implINS0_14default_configELb1EPKaPaPKlPlN2at6native12_GLOBAL__N_18offset_tEEE10hipError_tPvRmT1_PNSt15iterator_traitsISY_E10value_typeET2_T3_PNSZ_IS14_E10value_typeET4_jRbjT5_S1A_jjP12ihipStream_tbEUljE_EEESV_SW_SX_S14_S18_S1A_T6_T7_T9_mT8_S1C_bDpT10_ENKUlT_T0_E_clISt17integral_constantIbLb0EES1O_IbLb1EEEEDaS1K_S1L_EUlS1K_E_NS1_11comp_targetILNS1_3genE2ELNS1_11target_archE906ELNS1_3gpuE6ELNS1_3repE0EEENS1_30default_config_static_selectorELNS0_4arch9wavefront6targetE0EEEvSY_.num_named_barrier, 0
	.set _ZN7rocprim17ROCPRIM_400000_NS6detail17trampoline_kernelINS0_13select_configILj256ELj13ELNS0_17block_load_methodE3ELS4_3ELS4_3ELNS0_20block_scan_algorithmE0ELj4294967295EEENS1_25partition_config_selectorILNS1_17partition_subalgoE3EjNS0_10empty_typeEbEEZZNS1_14partition_implILS8_3ELb0ES6_jNS0_17counting_iteratorIjlEEPS9_SE_NS0_5tupleIJPjSE_EEENSF_IJSE_SE_EEES9_SG_JZNS1_25segmented_radix_sort_implINS0_14default_configELb1EPKaPaPKlPlN2at6native12_GLOBAL__N_18offset_tEEE10hipError_tPvRmT1_PNSt15iterator_traitsISY_E10value_typeET2_T3_PNSZ_IS14_E10value_typeET4_jRbjT5_S1A_jjP12ihipStream_tbEUljE_EEESV_SW_SX_S14_S18_S1A_T6_T7_T9_mT8_S1C_bDpT10_ENKUlT_T0_E_clISt17integral_constantIbLb0EES1O_IbLb1EEEEDaS1K_S1L_EUlS1K_E_NS1_11comp_targetILNS1_3genE2ELNS1_11target_archE906ELNS1_3gpuE6ELNS1_3repE0EEENS1_30default_config_static_selectorELNS0_4arch9wavefront6targetE0EEEvSY_.private_seg_size, 0
	.set _ZN7rocprim17ROCPRIM_400000_NS6detail17trampoline_kernelINS0_13select_configILj256ELj13ELNS0_17block_load_methodE3ELS4_3ELS4_3ELNS0_20block_scan_algorithmE0ELj4294967295EEENS1_25partition_config_selectorILNS1_17partition_subalgoE3EjNS0_10empty_typeEbEEZZNS1_14partition_implILS8_3ELb0ES6_jNS0_17counting_iteratorIjlEEPS9_SE_NS0_5tupleIJPjSE_EEENSF_IJSE_SE_EEES9_SG_JZNS1_25segmented_radix_sort_implINS0_14default_configELb1EPKaPaPKlPlN2at6native12_GLOBAL__N_18offset_tEEE10hipError_tPvRmT1_PNSt15iterator_traitsISY_E10value_typeET2_T3_PNSZ_IS14_E10value_typeET4_jRbjT5_S1A_jjP12ihipStream_tbEUljE_EEESV_SW_SX_S14_S18_S1A_T6_T7_T9_mT8_S1C_bDpT10_ENKUlT_T0_E_clISt17integral_constantIbLb0EES1O_IbLb1EEEEDaS1K_S1L_EUlS1K_E_NS1_11comp_targetILNS1_3genE2ELNS1_11target_archE906ELNS1_3gpuE6ELNS1_3repE0EEENS1_30default_config_static_selectorELNS0_4arch9wavefront6targetE0EEEvSY_.uses_vcc, 0
	.set _ZN7rocprim17ROCPRIM_400000_NS6detail17trampoline_kernelINS0_13select_configILj256ELj13ELNS0_17block_load_methodE3ELS4_3ELS4_3ELNS0_20block_scan_algorithmE0ELj4294967295EEENS1_25partition_config_selectorILNS1_17partition_subalgoE3EjNS0_10empty_typeEbEEZZNS1_14partition_implILS8_3ELb0ES6_jNS0_17counting_iteratorIjlEEPS9_SE_NS0_5tupleIJPjSE_EEENSF_IJSE_SE_EEES9_SG_JZNS1_25segmented_radix_sort_implINS0_14default_configELb1EPKaPaPKlPlN2at6native12_GLOBAL__N_18offset_tEEE10hipError_tPvRmT1_PNSt15iterator_traitsISY_E10value_typeET2_T3_PNSZ_IS14_E10value_typeET4_jRbjT5_S1A_jjP12ihipStream_tbEUljE_EEESV_SW_SX_S14_S18_S1A_T6_T7_T9_mT8_S1C_bDpT10_ENKUlT_T0_E_clISt17integral_constantIbLb0EES1O_IbLb1EEEEDaS1K_S1L_EUlS1K_E_NS1_11comp_targetILNS1_3genE2ELNS1_11target_archE906ELNS1_3gpuE6ELNS1_3repE0EEENS1_30default_config_static_selectorELNS0_4arch9wavefront6targetE0EEEvSY_.uses_flat_scratch, 0
	.set _ZN7rocprim17ROCPRIM_400000_NS6detail17trampoline_kernelINS0_13select_configILj256ELj13ELNS0_17block_load_methodE3ELS4_3ELS4_3ELNS0_20block_scan_algorithmE0ELj4294967295EEENS1_25partition_config_selectorILNS1_17partition_subalgoE3EjNS0_10empty_typeEbEEZZNS1_14partition_implILS8_3ELb0ES6_jNS0_17counting_iteratorIjlEEPS9_SE_NS0_5tupleIJPjSE_EEENSF_IJSE_SE_EEES9_SG_JZNS1_25segmented_radix_sort_implINS0_14default_configELb1EPKaPaPKlPlN2at6native12_GLOBAL__N_18offset_tEEE10hipError_tPvRmT1_PNSt15iterator_traitsISY_E10value_typeET2_T3_PNSZ_IS14_E10value_typeET4_jRbjT5_S1A_jjP12ihipStream_tbEUljE_EEESV_SW_SX_S14_S18_S1A_T6_T7_T9_mT8_S1C_bDpT10_ENKUlT_T0_E_clISt17integral_constantIbLb0EES1O_IbLb1EEEEDaS1K_S1L_EUlS1K_E_NS1_11comp_targetILNS1_3genE2ELNS1_11target_archE906ELNS1_3gpuE6ELNS1_3repE0EEENS1_30default_config_static_selectorELNS0_4arch9wavefront6targetE0EEEvSY_.has_dyn_sized_stack, 0
	.set _ZN7rocprim17ROCPRIM_400000_NS6detail17trampoline_kernelINS0_13select_configILj256ELj13ELNS0_17block_load_methodE3ELS4_3ELS4_3ELNS0_20block_scan_algorithmE0ELj4294967295EEENS1_25partition_config_selectorILNS1_17partition_subalgoE3EjNS0_10empty_typeEbEEZZNS1_14partition_implILS8_3ELb0ES6_jNS0_17counting_iteratorIjlEEPS9_SE_NS0_5tupleIJPjSE_EEENSF_IJSE_SE_EEES9_SG_JZNS1_25segmented_radix_sort_implINS0_14default_configELb1EPKaPaPKlPlN2at6native12_GLOBAL__N_18offset_tEEE10hipError_tPvRmT1_PNSt15iterator_traitsISY_E10value_typeET2_T3_PNSZ_IS14_E10value_typeET4_jRbjT5_S1A_jjP12ihipStream_tbEUljE_EEESV_SW_SX_S14_S18_S1A_T6_T7_T9_mT8_S1C_bDpT10_ENKUlT_T0_E_clISt17integral_constantIbLb0EES1O_IbLb1EEEEDaS1K_S1L_EUlS1K_E_NS1_11comp_targetILNS1_3genE2ELNS1_11target_archE906ELNS1_3gpuE6ELNS1_3repE0EEENS1_30default_config_static_selectorELNS0_4arch9wavefront6targetE0EEEvSY_.has_recursion, 0
	.set _ZN7rocprim17ROCPRIM_400000_NS6detail17trampoline_kernelINS0_13select_configILj256ELj13ELNS0_17block_load_methodE3ELS4_3ELS4_3ELNS0_20block_scan_algorithmE0ELj4294967295EEENS1_25partition_config_selectorILNS1_17partition_subalgoE3EjNS0_10empty_typeEbEEZZNS1_14partition_implILS8_3ELb0ES6_jNS0_17counting_iteratorIjlEEPS9_SE_NS0_5tupleIJPjSE_EEENSF_IJSE_SE_EEES9_SG_JZNS1_25segmented_radix_sort_implINS0_14default_configELb1EPKaPaPKlPlN2at6native12_GLOBAL__N_18offset_tEEE10hipError_tPvRmT1_PNSt15iterator_traitsISY_E10value_typeET2_T3_PNSZ_IS14_E10value_typeET4_jRbjT5_S1A_jjP12ihipStream_tbEUljE_EEESV_SW_SX_S14_S18_S1A_T6_T7_T9_mT8_S1C_bDpT10_ENKUlT_T0_E_clISt17integral_constantIbLb0EES1O_IbLb1EEEEDaS1K_S1L_EUlS1K_E_NS1_11comp_targetILNS1_3genE2ELNS1_11target_archE906ELNS1_3gpuE6ELNS1_3repE0EEENS1_30default_config_static_selectorELNS0_4arch9wavefront6targetE0EEEvSY_.has_indirect_call, 0
	.section	.AMDGPU.csdata,"",@progbits
; Kernel info:
; codeLenInByte = 0
; TotalNumSgprs: 0
; NumVgprs: 0
; ScratchSize: 0
; MemoryBound: 0
; FloatMode: 240
; IeeeMode: 1
; LDSByteSize: 0 bytes/workgroup (compile time only)
; SGPRBlocks: 0
; VGPRBlocks: 0
; NumSGPRsForWavesPerEU: 1
; NumVGPRsForWavesPerEU: 1
; NamedBarCnt: 0
; Occupancy: 16
; WaveLimiterHint : 0
; COMPUTE_PGM_RSRC2:SCRATCH_EN: 0
; COMPUTE_PGM_RSRC2:USER_SGPR: 2
; COMPUTE_PGM_RSRC2:TRAP_HANDLER: 0
; COMPUTE_PGM_RSRC2:TGID_X_EN: 1
; COMPUTE_PGM_RSRC2:TGID_Y_EN: 0
; COMPUTE_PGM_RSRC2:TGID_Z_EN: 0
; COMPUTE_PGM_RSRC2:TIDIG_COMP_CNT: 0
	.section	.text._ZN7rocprim17ROCPRIM_400000_NS6detail17trampoline_kernelINS0_13select_configILj256ELj13ELNS0_17block_load_methodE3ELS4_3ELS4_3ELNS0_20block_scan_algorithmE0ELj4294967295EEENS1_25partition_config_selectorILNS1_17partition_subalgoE3EjNS0_10empty_typeEbEEZZNS1_14partition_implILS8_3ELb0ES6_jNS0_17counting_iteratorIjlEEPS9_SE_NS0_5tupleIJPjSE_EEENSF_IJSE_SE_EEES9_SG_JZNS1_25segmented_radix_sort_implINS0_14default_configELb1EPKaPaPKlPlN2at6native12_GLOBAL__N_18offset_tEEE10hipError_tPvRmT1_PNSt15iterator_traitsISY_E10value_typeET2_T3_PNSZ_IS14_E10value_typeET4_jRbjT5_S1A_jjP12ihipStream_tbEUljE_EEESV_SW_SX_S14_S18_S1A_T6_T7_T9_mT8_S1C_bDpT10_ENKUlT_T0_E_clISt17integral_constantIbLb0EES1O_IbLb1EEEEDaS1K_S1L_EUlS1K_E_NS1_11comp_targetILNS1_3genE10ELNS1_11target_archE1200ELNS1_3gpuE4ELNS1_3repE0EEENS1_30default_config_static_selectorELNS0_4arch9wavefront6targetE0EEEvSY_,"axG",@progbits,_ZN7rocprim17ROCPRIM_400000_NS6detail17trampoline_kernelINS0_13select_configILj256ELj13ELNS0_17block_load_methodE3ELS4_3ELS4_3ELNS0_20block_scan_algorithmE0ELj4294967295EEENS1_25partition_config_selectorILNS1_17partition_subalgoE3EjNS0_10empty_typeEbEEZZNS1_14partition_implILS8_3ELb0ES6_jNS0_17counting_iteratorIjlEEPS9_SE_NS0_5tupleIJPjSE_EEENSF_IJSE_SE_EEES9_SG_JZNS1_25segmented_radix_sort_implINS0_14default_configELb1EPKaPaPKlPlN2at6native12_GLOBAL__N_18offset_tEEE10hipError_tPvRmT1_PNSt15iterator_traitsISY_E10value_typeET2_T3_PNSZ_IS14_E10value_typeET4_jRbjT5_S1A_jjP12ihipStream_tbEUljE_EEESV_SW_SX_S14_S18_S1A_T6_T7_T9_mT8_S1C_bDpT10_ENKUlT_T0_E_clISt17integral_constantIbLb0EES1O_IbLb1EEEEDaS1K_S1L_EUlS1K_E_NS1_11comp_targetILNS1_3genE10ELNS1_11target_archE1200ELNS1_3gpuE4ELNS1_3repE0EEENS1_30default_config_static_selectorELNS0_4arch9wavefront6targetE0EEEvSY_,comdat
	.globl	_ZN7rocprim17ROCPRIM_400000_NS6detail17trampoline_kernelINS0_13select_configILj256ELj13ELNS0_17block_load_methodE3ELS4_3ELS4_3ELNS0_20block_scan_algorithmE0ELj4294967295EEENS1_25partition_config_selectorILNS1_17partition_subalgoE3EjNS0_10empty_typeEbEEZZNS1_14partition_implILS8_3ELb0ES6_jNS0_17counting_iteratorIjlEEPS9_SE_NS0_5tupleIJPjSE_EEENSF_IJSE_SE_EEES9_SG_JZNS1_25segmented_radix_sort_implINS0_14default_configELb1EPKaPaPKlPlN2at6native12_GLOBAL__N_18offset_tEEE10hipError_tPvRmT1_PNSt15iterator_traitsISY_E10value_typeET2_T3_PNSZ_IS14_E10value_typeET4_jRbjT5_S1A_jjP12ihipStream_tbEUljE_EEESV_SW_SX_S14_S18_S1A_T6_T7_T9_mT8_S1C_bDpT10_ENKUlT_T0_E_clISt17integral_constantIbLb0EES1O_IbLb1EEEEDaS1K_S1L_EUlS1K_E_NS1_11comp_targetILNS1_3genE10ELNS1_11target_archE1200ELNS1_3gpuE4ELNS1_3repE0EEENS1_30default_config_static_selectorELNS0_4arch9wavefront6targetE0EEEvSY_ ; -- Begin function _ZN7rocprim17ROCPRIM_400000_NS6detail17trampoline_kernelINS0_13select_configILj256ELj13ELNS0_17block_load_methodE3ELS4_3ELS4_3ELNS0_20block_scan_algorithmE0ELj4294967295EEENS1_25partition_config_selectorILNS1_17partition_subalgoE3EjNS0_10empty_typeEbEEZZNS1_14partition_implILS8_3ELb0ES6_jNS0_17counting_iteratorIjlEEPS9_SE_NS0_5tupleIJPjSE_EEENSF_IJSE_SE_EEES9_SG_JZNS1_25segmented_radix_sort_implINS0_14default_configELb1EPKaPaPKlPlN2at6native12_GLOBAL__N_18offset_tEEE10hipError_tPvRmT1_PNSt15iterator_traitsISY_E10value_typeET2_T3_PNSZ_IS14_E10value_typeET4_jRbjT5_S1A_jjP12ihipStream_tbEUljE_EEESV_SW_SX_S14_S18_S1A_T6_T7_T9_mT8_S1C_bDpT10_ENKUlT_T0_E_clISt17integral_constantIbLb0EES1O_IbLb1EEEEDaS1K_S1L_EUlS1K_E_NS1_11comp_targetILNS1_3genE10ELNS1_11target_archE1200ELNS1_3gpuE4ELNS1_3repE0EEENS1_30default_config_static_selectorELNS0_4arch9wavefront6targetE0EEEvSY_
	.p2align	8
	.type	_ZN7rocprim17ROCPRIM_400000_NS6detail17trampoline_kernelINS0_13select_configILj256ELj13ELNS0_17block_load_methodE3ELS4_3ELS4_3ELNS0_20block_scan_algorithmE0ELj4294967295EEENS1_25partition_config_selectorILNS1_17partition_subalgoE3EjNS0_10empty_typeEbEEZZNS1_14partition_implILS8_3ELb0ES6_jNS0_17counting_iteratorIjlEEPS9_SE_NS0_5tupleIJPjSE_EEENSF_IJSE_SE_EEES9_SG_JZNS1_25segmented_radix_sort_implINS0_14default_configELb1EPKaPaPKlPlN2at6native12_GLOBAL__N_18offset_tEEE10hipError_tPvRmT1_PNSt15iterator_traitsISY_E10value_typeET2_T3_PNSZ_IS14_E10value_typeET4_jRbjT5_S1A_jjP12ihipStream_tbEUljE_EEESV_SW_SX_S14_S18_S1A_T6_T7_T9_mT8_S1C_bDpT10_ENKUlT_T0_E_clISt17integral_constantIbLb0EES1O_IbLb1EEEEDaS1K_S1L_EUlS1K_E_NS1_11comp_targetILNS1_3genE10ELNS1_11target_archE1200ELNS1_3gpuE4ELNS1_3repE0EEENS1_30default_config_static_selectorELNS0_4arch9wavefront6targetE0EEEvSY_,@function
_ZN7rocprim17ROCPRIM_400000_NS6detail17trampoline_kernelINS0_13select_configILj256ELj13ELNS0_17block_load_methodE3ELS4_3ELS4_3ELNS0_20block_scan_algorithmE0ELj4294967295EEENS1_25partition_config_selectorILNS1_17partition_subalgoE3EjNS0_10empty_typeEbEEZZNS1_14partition_implILS8_3ELb0ES6_jNS0_17counting_iteratorIjlEEPS9_SE_NS0_5tupleIJPjSE_EEENSF_IJSE_SE_EEES9_SG_JZNS1_25segmented_radix_sort_implINS0_14default_configELb1EPKaPaPKlPlN2at6native12_GLOBAL__N_18offset_tEEE10hipError_tPvRmT1_PNSt15iterator_traitsISY_E10value_typeET2_T3_PNSZ_IS14_E10value_typeET4_jRbjT5_S1A_jjP12ihipStream_tbEUljE_EEESV_SW_SX_S14_S18_S1A_T6_T7_T9_mT8_S1C_bDpT10_ENKUlT_T0_E_clISt17integral_constantIbLb0EES1O_IbLb1EEEEDaS1K_S1L_EUlS1K_E_NS1_11comp_targetILNS1_3genE10ELNS1_11target_archE1200ELNS1_3gpuE4ELNS1_3repE0EEENS1_30default_config_static_selectorELNS0_4arch9wavefront6targetE0EEEvSY_: ; @_ZN7rocprim17ROCPRIM_400000_NS6detail17trampoline_kernelINS0_13select_configILj256ELj13ELNS0_17block_load_methodE3ELS4_3ELS4_3ELNS0_20block_scan_algorithmE0ELj4294967295EEENS1_25partition_config_selectorILNS1_17partition_subalgoE3EjNS0_10empty_typeEbEEZZNS1_14partition_implILS8_3ELb0ES6_jNS0_17counting_iteratorIjlEEPS9_SE_NS0_5tupleIJPjSE_EEENSF_IJSE_SE_EEES9_SG_JZNS1_25segmented_radix_sort_implINS0_14default_configELb1EPKaPaPKlPlN2at6native12_GLOBAL__N_18offset_tEEE10hipError_tPvRmT1_PNSt15iterator_traitsISY_E10value_typeET2_T3_PNSZ_IS14_E10value_typeET4_jRbjT5_S1A_jjP12ihipStream_tbEUljE_EEESV_SW_SX_S14_S18_S1A_T6_T7_T9_mT8_S1C_bDpT10_ENKUlT_T0_E_clISt17integral_constantIbLb0EES1O_IbLb1EEEEDaS1K_S1L_EUlS1K_E_NS1_11comp_targetILNS1_3genE10ELNS1_11target_archE1200ELNS1_3gpuE4ELNS1_3repE0EEENS1_30default_config_static_selectorELNS0_4arch9wavefront6targetE0EEEvSY_
; %bb.0:
	.section	.rodata,"a",@progbits
	.p2align	6, 0x0
	.amdhsa_kernel _ZN7rocprim17ROCPRIM_400000_NS6detail17trampoline_kernelINS0_13select_configILj256ELj13ELNS0_17block_load_methodE3ELS4_3ELS4_3ELNS0_20block_scan_algorithmE0ELj4294967295EEENS1_25partition_config_selectorILNS1_17partition_subalgoE3EjNS0_10empty_typeEbEEZZNS1_14partition_implILS8_3ELb0ES6_jNS0_17counting_iteratorIjlEEPS9_SE_NS0_5tupleIJPjSE_EEENSF_IJSE_SE_EEES9_SG_JZNS1_25segmented_radix_sort_implINS0_14default_configELb1EPKaPaPKlPlN2at6native12_GLOBAL__N_18offset_tEEE10hipError_tPvRmT1_PNSt15iterator_traitsISY_E10value_typeET2_T3_PNSZ_IS14_E10value_typeET4_jRbjT5_S1A_jjP12ihipStream_tbEUljE_EEESV_SW_SX_S14_S18_S1A_T6_T7_T9_mT8_S1C_bDpT10_ENKUlT_T0_E_clISt17integral_constantIbLb0EES1O_IbLb1EEEEDaS1K_S1L_EUlS1K_E_NS1_11comp_targetILNS1_3genE10ELNS1_11target_archE1200ELNS1_3gpuE4ELNS1_3repE0EEENS1_30default_config_static_selectorELNS0_4arch9wavefront6targetE0EEEvSY_
		.amdhsa_group_segment_fixed_size 0
		.amdhsa_private_segment_fixed_size 0
		.amdhsa_kernarg_size 152
		.amdhsa_user_sgpr_count 2
		.amdhsa_user_sgpr_dispatch_ptr 0
		.amdhsa_user_sgpr_queue_ptr 0
		.amdhsa_user_sgpr_kernarg_segment_ptr 1
		.amdhsa_user_sgpr_dispatch_id 0
		.amdhsa_user_sgpr_kernarg_preload_length 0
		.amdhsa_user_sgpr_kernarg_preload_offset 0
		.amdhsa_user_sgpr_private_segment_size 0
		.amdhsa_wavefront_size32 1
		.amdhsa_uses_dynamic_stack 0
		.amdhsa_enable_private_segment 0
		.amdhsa_system_sgpr_workgroup_id_x 1
		.amdhsa_system_sgpr_workgroup_id_y 0
		.amdhsa_system_sgpr_workgroup_id_z 0
		.amdhsa_system_sgpr_workgroup_info 0
		.amdhsa_system_vgpr_workitem_id 0
		.amdhsa_next_free_vgpr 1
		.amdhsa_next_free_sgpr 1
		.amdhsa_named_barrier_count 0
		.amdhsa_reserve_vcc 0
		.amdhsa_float_round_mode_32 0
		.amdhsa_float_round_mode_16_64 0
		.amdhsa_float_denorm_mode_32 3
		.amdhsa_float_denorm_mode_16_64 3
		.amdhsa_fp16_overflow 0
		.amdhsa_memory_ordered 1
		.amdhsa_forward_progress 1
		.amdhsa_inst_pref_size 0
		.amdhsa_round_robin_scheduling 0
		.amdhsa_exception_fp_ieee_invalid_op 0
		.amdhsa_exception_fp_denorm_src 0
		.amdhsa_exception_fp_ieee_div_zero 0
		.amdhsa_exception_fp_ieee_overflow 0
		.amdhsa_exception_fp_ieee_underflow 0
		.amdhsa_exception_fp_ieee_inexact 0
		.amdhsa_exception_int_div_zero 0
	.end_amdhsa_kernel
	.section	.text._ZN7rocprim17ROCPRIM_400000_NS6detail17trampoline_kernelINS0_13select_configILj256ELj13ELNS0_17block_load_methodE3ELS4_3ELS4_3ELNS0_20block_scan_algorithmE0ELj4294967295EEENS1_25partition_config_selectorILNS1_17partition_subalgoE3EjNS0_10empty_typeEbEEZZNS1_14partition_implILS8_3ELb0ES6_jNS0_17counting_iteratorIjlEEPS9_SE_NS0_5tupleIJPjSE_EEENSF_IJSE_SE_EEES9_SG_JZNS1_25segmented_radix_sort_implINS0_14default_configELb1EPKaPaPKlPlN2at6native12_GLOBAL__N_18offset_tEEE10hipError_tPvRmT1_PNSt15iterator_traitsISY_E10value_typeET2_T3_PNSZ_IS14_E10value_typeET4_jRbjT5_S1A_jjP12ihipStream_tbEUljE_EEESV_SW_SX_S14_S18_S1A_T6_T7_T9_mT8_S1C_bDpT10_ENKUlT_T0_E_clISt17integral_constantIbLb0EES1O_IbLb1EEEEDaS1K_S1L_EUlS1K_E_NS1_11comp_targetILNS1_3genE10ELNS1_11target_archE1200ELNS1_3gpuE4ELNS1_3repE0EEENS1_30default_config_static_selectorELNS0_4arch9wavefront6targetE0EEEvSY_,"axG",@progbits,_ZN7rocprim17ROCPRIM_400000_NS6detail17trampoline_kernelINS0_13select_configILj256ELj13ELNS0_17block_load_methodE3ELS4_3ELS4_3ELNS0_20block_scan_algorithmE0ELj4294967295EEENS1_25partition_config_selectorILNS1_17partition_subalgoE3EjNS0_10empty_typeEbEEZZNS1_14partition_implILS8_3ELb0ES6_jNS0_17counting_iteratorIjlEEPS9_SE_NS0_5tupleIJPjSE_EEENSF_IJSE_SE_EEES9_SG_JZNS1_25segmented_radix_sort_implINS0_14default_configELb1EPKaPaPKlPlN2at6native12_GLOBAL__N_18offset_tEEE10hipError_tPvRmT1_PNSt15iterator_traitsISY_E10value_typeET2_T3_PNSZ_IS14_E10value_typeET4_jRbjT5_S1A_jjP12ihipStream_tbEUljE_EEESV_SW_SX_S14_S18_S1A_T6_T7_T9_mT8_S1C_bDpT10_ENKUlT_T0_E_clISt17integral_constantIbLb0EES1O_IbLb1EEEEDaS1K_S1L_EUlS1K_E_NS1_11comp_targetILNS1_3genE10ELNS1_11target_archE1200ELNS1_3gpuE4ELNS1_3repE0EEENS1_30default_config_static_selectorELNS0_4arch9wavefront6targetE0EEEvSY_,comdat
.Lfunc_end285:
	.size	_ZN7rocprim17ROCPRIM_400000_NS6detail17trampoline_kernelINS0_13select_configILj256ELj13ELNS0_17block_load_methodE3ELS4_3ELS4_3ELNS0_20block_scan_algorithmE0ELj4294967295EEENS1_25partition_config_selectorILNS1_17partition_subalgoE3EjNS0_10empty_typeEbEEZZNS1_14partition_implILS8_3ELb0ES6_jNS0_17counting_iteratorIjlEEPS9_SE_NS0_5tupleIJPjSE_EEENSF_IJSE_SE_EEES9_SG_JZNS1_25segmented_radix_sort_implINS0_14default_configELb1EPKaPaPKlPlN2at6native12_GLOBAL__N_18offset_tEEE10hipError_tPvRmT1_PNSt15iterator_traitsISY_E10value_typeET2_T3_PNSZ_IS14_E10value_typeET4_jRbjT5_S1A_jjP12ihipStream_tbEUljE_EEESV_SW_SX_S14_S18_S1A_T6_T7_T9_mT8_S1C_bDpT10_ENKUlT_T0_E_clISt17integral_constantIbLb0EES1O_IbLb1EEEEDaS1K_S1L_EUlS1K_E_NS1_11comp_targetILNS1_3genE10ELNS1_11target_archE1200ELNS1_3gpuE4ELNS1_3repE0EEENS1_30default_config_static_selectorELNS0_4arch9wavefront6targetE0EEEvSY_, .Lfunc_end285-_ZN7rocprim17ROCPRIM_400000_NS6detail17trampoline_kernelINS0_13select_configILj256ELj13ELNS0_17block_load_methodE3ELS4_3ELS4_3ELNS0_20block_scan_algorithmE0ELj4294967295EEENS1_25partition_config_selectorILNS1_17partition_subalgoE3EjNS0_10empty_typeEbEEZZNS1_14partition_implILS8_3ELb0ES6_jNS0_17counting_iteratorIjlEEPS9_SE_NS0_5tupleIJPjSE_EEENSF_IJSE_SE_EEES9_SG_JZNS1_25segmented_radix_sort_implINS0_14default_configELb1EPKaPaPKlPlN2at6native12_GLOBAL__N_18offset_tEEE10hipError_tPvRmT1_PNSt15iterator_traitsISY_E10value_typeET2_T3_PNSZ_IS14_E10value_typeET4_jRbjT5_S1A_jjP12ihipStream_tbEUljE_EEESV_SW_SX_S14_S18_S1A_T6_T7_T9_mT8_S1C_bDpT10_ENKUlT_T0_E_clISt17integral_constantIbLb0EES1O_IbLb1EEEEDaS1K_S1L_EUlS1K_E_NS1_11comp_targetILNS1_3genE10ELNS1_11target_archE1200ELNS1_3gpuE4ELNS1_3repE0EEENS1_30default_config_static_selectorELNS0_4arch9wavefront6targetE0EEEvSY_
                                        ; -- End function
	.set _ZN7rocprim17ROCPRIM_400000_NS6detail17trampoline_kernelINS0_13select_configILj256ELj13ELNS0_17block_load_methodE3ELS4_3ELS4_3ELNS0_20block_scan_algorithmE0ELj4294967295EEENS1_25partition_config_selectorILNS1_17partition_subalgoE3EjNS0_10empty_typeEbEEZZNS1_14partition_implILS8_3ELb0ES6_jNS0_17counting_iteratorIjlEEPS9_SE_NS0_5tupleIJPjSE_EEENSF_IJSE_SE_EEES9_SG_JZNS1_25segmented_radix_sort_implINS0_14default_configELb1EPKaPaPKlPlN2at6native12_GLOBAL__N_18offset_tEEE10hipError_tPvRmT1_PNSt15iterator_traitsISY_E10value_typeET2_T3_PNSZ_IS14_E10value_typeET4_jRbjT5_S1A_jjP12ihipStream_tbEUljE_EEESV_SW_SX_S14_S18_S1A_T6_T7_T9_mT8_S1C_bDpT10_ENKUlT_T0_E_clISt17integral_constantIbLb0EES1O_IbLb1EEEEDaS1K_S1L_EUlS1K_E_NS1_11comp_targetILNS1_3genE10ELNS1_11target_archE1200ELNS1_3gpuE4ELNS1_3repE0EEENS1_30default_config_static_selectorELNS0_4arch9wavefront6targetE0EEEvSY_.num_vgpr, 0
	.set _ZN7rocprim17ROCPRIM_400000_NS6detail17trampoline_kernelINS0_13select_configILj256ELj13ELNS0_17block_load_methodE3ELS4_3ELS4_3ELNS0_20block_scan_algorithmE0ELj4294967295EEENS1_25partition_config_selectorILNS1_17partition_subalgoE3EjNS0_10empty_typeEbEEZZNS1_14partition_implILS8_3ELb0ES6_jNS0_17counting_iteratorIjlEEPS9_SE_NS0_5tupleIJPjSE_EEENSF_IJSE_SE_EEES9_SG_JZNS1_25segmented_radix_sort_implINS0_14default_configELb1EPKaPaPKlPlN2at6native12_GLOBAL__N_18offset_tEEE10hipError_tPvRmT1_PNSt15iterator_traitsISY_E10value_typeET2_T3_PNSZ_IS14_E10value_typeET4_jRbjT5_S1A_jjP12ihipStream_tbEUljE_EEESV_SW_SX_S14_S18_S1A_T6_T7_T9_mT8_S1C_bDpT10_ENKUlT_T0_E_clISt17integral_constantIbLb0EES1O_IbLb1EEEEDaS1K_S1L_EUlS1K_E_NS1_11comp_targetILNS1_3genE10ELNS1_11target_archE1200ELNS1_3gpuE4ELNS1_3repE0EEENS1_30default_config_static_selectorELNS0_4arch9wavefront6targetE0EEEvSY_.num_agpr, 0
	.set _ZN7rocprim17ROCPRIM_400000_NS6detail17trampoline_kernelINS0_13select_configILj256ELj13ELNS0_17block_load_methodE3ELS4_3ELS4_3ELNS0_20block_scan_algorithmE0ELj4294967295EEENS1_25partition_config_selectorILNS1_17partition_subalgoE3EjNS0_10empty_typeEbEEZZNS1_14partition_implILS8_3ELb0ES6_jNS0_17counting_iteratorIjlEEPS9_SE_NS0_5tupleIJPjSE_EEENSF_IJSE_SE_EEES9_SG_JZNS1_25segmented_radix_sort_implINS0_14default_configELb1EPKaPaPKlPlN2at6native12_GLOBAL__N_18offset_tEEE10hipError_tPvRmT1_PNSt15iterator_traitsISY_E10value_typeET2_T3_PNSZ_IS14_E10value_typeET4_jRbjT5_S1A_jjP12ihipStream_tbEUljE_EEESV_SW_SX_S14_S18_S1A_T6_T7_T9_mT8_S1C_bDpT10_ENKUlT_T0_E_clISt17integral_constantIbLb0EES1O_IbLb1EEEEDaS1K_S1L_EUlS1K_E_NS1_11comp_targetILNS1_3genE10ELNS1_11target_archE1200ELNS1_3gpuE4ELNS1_3repE0EEENS1_30default_config_static_selectorELNS0_4arch9wavefront6targetE0EEEvSY_.numbered_sgpr, 0
	.set _ZN7rocprim17ROCPRIM_400000_NS6detail17trampoline_kernelINS0_13select_configILj256ELj13ELNS0_17block_load_methodE3ELS4_3ELS4_3ELNS0_20block_scan_algorithmE0ELj4294967295EEENS1_25partition_config_selectorILNS1_17partition_subalgoE3EjNS0_10empty_typeEbEEZZNS1_14partition_implILS8_3ELb0ES6_jNS0_17counting_iteratorIjlEEPS9_SE_NS0_5tupleIJPjSE_EEENSF_IJSE_SE_EEES9_SG_JZNS1_25segmented_radix_sort_implINS0_14default_configELb1EPKaPaPKlPlN2at6native12_GLOBAL__N_18offset_tEEE10hipError_tPvRmT1_PNSt15iterator_traitsISY_E10value_typeET2_T3_PNSZ_IS14_E10value_typeET4_jRbjT5_S1A_jjP12ihipStream_tbEUljE_EEESV_SW_SX_S14_S18_S1A_T6_T7_T9_mT8_S1C_bDpT10_ENKUlT_T0_E_clISt17integral_constantIbLb0EES1O_IbLb1EEEEDaS1K_S1L_EUlS1K_E_NS1_11comp_targetILNS1_3genE10ELNS1_11target_archE1200ELNS1_3gpuE4ELNS1_3repE0EEENS1_30default_config_static_selectorELNS0_4arch9wavefront6targetE0EEEvSY_.num_named_barrier, 0
	.set _ZN7rocprim17ROCPRIM_400000_NS6detail17trampoline_kernelINS0_13select_configILj256ELj13ELNS0_17block_load_methodE3ELS4_3ELS4_3ELNS0_20block_scan_algorithmE0ELj4294967295EEENS1_25partition_config_selectorILNS1_17partition_subalgoE3EjNS0_10empty_typeEbEEZZNS1_14partition_implILS8_3ELb0ES6_jNS0_17counting_iteratorIjlEEPS9_SE_NS0_5tupleIJPjSE_EEENSF_IJSE_SE_EEES9_SG_JZNS1_25segmented_radix_sort_implINS0_14default_configELb1EPKaPaPKlPlN2at6native12_GLOBAL__N_18offset_tEEE10hipError_tPvRmT1_PNSt15iterator_traitsISY_E10value_typeET2_T3_PNSZ_IS14_E10value_typeET4_jRbjT5_S1A_jjP12ihipStream_tbEUljE_EEESV_SW_SX_S14_S18_S1A_T6_T7_T9_mT8_S1C_bDpT10_ENKUlT_T0_E_clISt17integral_constantIbLb0EES1O_IbLb1EEEEDaS1K_S1L_EUlS1K_E_NS1_11comp_targetILNS1_3genE10ELNS1_11target_archE1200ELNS1_3gpuE4ELNS1_3repE0EEENS1_30default_config_static_selectorELNS0_4arch9wavefront6targetE0EEEvSY_.private_seg_size, 0
	.set _ZN7rocprim17ROCPRIM_400000_NS6detail17trampoline_kernelINS0_13select_configILj256ELj13ELNS0_17block_load_methodE3ELS4_3ELS4_3ELNS0_20block_scan_algorithmE0ELj4294967295EEENS1_25partition_config_selectorILNS1_17partition_subalgoE3EjNS0_10empty_typeEbEEZZNS1_14partition_implILS8_3ELb0ES6_jNS0_17counting_iteratorIjlEEPS9_SE_NS0_5tupleIJPjSE_EEENSF_IJSE_SE_EEES9_SG_JZNS1_25segmented_radix_sort_implINS0_14default_configELb1EPKaPaPKlPlN2at6native12_GLOBAL__N_18offset_tEEE10hipError_tPvRmT1_PNSt15iterator_traitsISY_E10value_typeET2_T3_PNSZ_IS14_E10value_typeET4_jRbjT5_S1A_jjP12ihipStream_tbEUljE_EEESV_SW_SX_S14_S18_S1A_T6_T7_T9_mT8_S1C_bDpT10_ENKUlT_T0_E_clISt17integral_constantIbLb0EES1O_IbLb1EEEEDaS1K_S1L_EUlS1K_E_NS1_11comp_targetILNS1_3genE10ELNS1_11target_archE1200ELNS1_3gpuE4ELNS1_3repE0EEENS1_30default_config_static_selectorELNS0_4arch9wavefront6targetE0EEEvSY_.uses_vcc, 0
	.set _ZN7rocprim17ROCPRIM_400000_NS6detail17trampoline_kernelINS0_13select_configILj256ELj13ELNS0_17block_load_methodE3ELS4_3ELS4_3ELNS0_20block_scan_algorithmE0ELj4294967295EEENS1_25partition_config_selectorILNS1_17partition_subalgoE3EjNS0_10empty_typeEbEEZZNS1_14partition_implILS8_3ELb0ES6_jNS0_17counting_iteratorIjlEEPS9_SE_NS0_5tupleIJPjSE_EEENSF_IJSE_SE_EEES9_SG_JZNS1_25segmented_radix_sort_implINS0_14default_configELb1EPKaPaPKlPlN2at6native12_GLOBAL__N_18offset_tEEE10hipError_tPvRmT1_PNSt15iterator_traitsISY_E10value_typeET2_T3_PNSZ_IS14_E10value_typeET4_jRbjT5_S1A_jjP12ihipStream_tbEUljE_EEESV_SW_SX_S14_S18_S1A_T6_T7_T9_mT8_S1C_bDpT10_ENKUlT_T0_E_clISt17integral_constantIbLb0EES1O_IbLb1EEEEDaS1K_S1L_EUlS1K_E_NS1_11comp_targetILNS1_3genE10ELNS1_11target_archE1200ELNS1_3gpuE4ELNS1_3repE0EEENS1_30default_config_static_selectorELNS0_4arch9wavefront6targetE0EEEvSY_.uses_flat_scratch, 0
	.set _ZN7rocprim17ROCPRIM_400000_NS6detail17trampoline_kernelINS0_13select_configILj256ELj13ELNS0_17block_load_methodE3ELS4_3ELS4_3ELNS0_20block_scan_algorithmE0ELj4294967295EEENS1_25partition_config_selectorILNS1_17partition_subalgoE3EjNS0_10empty_typeEbEEZZNS1_14partition_implILS8_3ELb0ES6_jNS0_17counting_iteratorIjlEEPS9_SE_NS0_5tupleIJPjSE_EEENSF_IJSE_SE_EEES9_SG_JZNS1_25segmented_radix_sort_implINS0_14default_configELb1EPKaPaPKlPlN2at6native12_GLOBAL__N_18offset_tEEE10hipError_tPvRmT1_PNSt15iterator_traitsISY_E10value_typeET2_T3_PNSZ_IS14_E10value_typeET4_jRbjT5_S1A_jjP12ihipStream_tbEUljE_EEESV_SW_SX_S14_S18_S1A_T6_T7_T9_mT8_S1C_bDpT10_ENKUlT_T0_E_clISt17integral_constantIbLb0EES1O_IbLb1EEEEDaS1K_S1L_EUlS1K_E_NS1_11comp_targetILNS1_3genE10ELNS1_11target_archE1200ELNS1_3gpuE4ELNS1_3repE0EEENS1_30default_config_static_selectorELNS0_4arch9wavefront6targetE0EEEvSY_.has_dyn_sized_stack, 0
	.set _ZN7rocprim17ROCPRIM_400000_NS6detail17trampoline_kernelINS0_13select_configILj256ELj13ELNS0_17block_load_methodE3ELS4_3ELS4_3ELNS0_20block_scan_algorithmE0ELj4294967295EEENS1_25partition_config_selectorILNS1_17partition_subalgoE3EjNS0_10empty_typeEbEEZZNS1_14partition_implILS8_3ELb0ES6_jNS0_17counting_iteratorIjlEEPS9_SE_NS0_5tupleIJPjSE_EEENSF_IJSE_SE_EEES9_SG_JZNS1_25segmented_radix_sort_implINS0_14default_configELb1EPKaPaPKlPlN2at6native12_GLOBAL__N_18offset_tEEE10hipError_tPvRmT1_PNSt15iterator_traitsISY_E10value_typeET2_T3_PNSZ_IS14_E10value_typeET4_jRbjT5_S1A_jjP12ihipStream_tbEUljE_EEESV_SW_SX_S14_S18_S1A_T6_T7_T9_mT8_S1C_bDpT10_ENKUlT_T0_E_clISt17integral_constantIbLb0EES1O_IbLb1EEEEDaS1K_S1L_EUlS1K_E_NS1_11comp_targetILNS1_3genE10ELNS1_11target_archE1200ELNS1_3gpuE4ELNS1_3repE0EEENS1_30default_config_static_selectorELNS0_4arch9wavefront6targetE0EEEvSY_.has_recursion, 0
	.set _ZN7rocprim17ROCPRIM_400000_NS6detail17trampoline_kernelINS0_13select_configILj256ELj13ELNS0_17block_load_methodE3ELS4_3ELS4_3ELNS0_20block_scan_algorithmE0ELj4294967295EEENS1_25partition_config_selectorILNS1_17partition_subalgoE3EjNS0_10empty_typeEbEEZZNS1_14partition_implILS8_3ELb0ES6_jNS0_17counting_iteratorIjlEEPS9_SE_NS0_5tupleIJPjSE_EEENSF_IJSE_SE_EEES9_SG_JZNS1_25segmented_radix_sort_implINS0_14default_configELb1EPKaPaPKlPlN2at6native12_GLOBAL__N_18offset_tEEE10hipError_tPvRmT1_PNSt15iterator_traitsISY_E10value_typeET2_T3_PNSZ_IS14_E10value_typeET4_jRbjT5_S1A_jjP12ihipStream_tbEUljE_EEESV_SW_SX_S14_S18_S1A_T6_T7_T9_mT8_S1C_bDpT10_ENKUlT_T0_E_clISt17integral_constantIbLb0EES1O_IbLb1EEEEDaS1K_S1L_EUlS1K_E_NS1_11comp_targetILNS1_3genE10ELNS1_11target_archE1200ELNS1_3gpuE4ELNS1_3repE0EEENS1_30default_config_static_selectorELNS0_4arch9wavefront6targetE0EEEvSY_.has_indirect_call, 0
	.section	.AMDGPU.csdata,"",@progbits
; Kernel info:
; codeLenInByte = 0
; TotalNumSgprs: 0
; NumVgprs: 0
; ScratchSize: 0
; MemoryBound: 0
; FloatMode: 240
; IeeeMode: 1
; LDSByteSize: 0 bytes/workgroup (compile time only)
; SGPRBlocks: 0
; VGPRBlocks: 0
; NumSGPRsForWavesPerEU: 1
; NumVGPRsForWavesPerEU: 1
; NamedBarCnt: 0
; Occupancy: 16
; WaveLimiterHint : 0
; COMPUTE_PGM_RSRC2:SCRATCH_EN: 0
; COMPUTE_PGM_RSRC2:USER_SGPR: 2
; COMPUTE_PGM_RSRC2:TRAP_HANDLER: 0
; COMPUTE_PGM_RSRC2:TGID_X_EN: 1
; COMPUTE_PGM_RSRC2:TGID_Y_EN: 0
; COMPUTE_PGM_RSRC2:TGID_Z_EN: 0
; COMPUTE_PGM_RSRC2:TIDIG_COMP_CNT: 0
	.section	.text._ZN7rocprim17ROCPRIM_400000_NS6detail17trampoline_kernelINS0_13select_configILj256ELj13ELNS0_17block_load_methodE3ELS4_3ELS4_3ELNS0_20block_scan_algorithmE0ELj4294967295EEENS1_25partition_config_selectorILNS1_17partition_subalgoE3EjNS0_10empty_typeEbEEZZNS1_14partition_implILS8_3ELb0ES6_jNS0_17counting_iteratorIjlEEPS9_SE_NS0_5tupleIJPjSE_EEENSF_IJSE_SE_EEES9_SG_JZNS1_25segmented_radix_sort_implINS0_14default_configELb1EPKaPaPKlPlN2at6native12_GLOBAL__N_18offset_tEEE10hipError_tPvRmT1_PNSt15iterator_traitsISY_E10value_typeET2_T3_PNSZ_IS14_E10value_typeET4_jRbjT5_S1A_jjP12ihipStream_tbEUljE_EEESV_SW_SX_S14_S18_S1A_T6_T7_T9_mT8_S1C_bDpT10_ENKUlT_T0_E_clISt17integral_constantIbLb0EES1O_IbLb1EEEEDaS1K_S1L_EUlS1K_E_NS1_11comp_targetILNS1_3genE9ELNS1_11target_archE1100ELNS1_3gpuE3ELNS1_3repE0EEENS1_30default_config_static_selectorELNS0_4arch9wavefront6targetE0EEEvSY_,"axG",@progbits,_ZN7rocprim17ROCPRIM_400000_NS6detail17trampoline_kernelINS0_13select_configILj256ELj13ELNS0_17block_load_methodE3ELS4_3ELS4_3ELNS0_20block_scan_algorithmE0ELj4294967295EEENS1_25partition_config_selectorILNS1_17partition_subalgoE3EjNS0_10empty_typeEbEEZZNS1_14partition_implILS8_3ELb0ES6_jNS0_17counting_iteratorIjlEEPS9_SE_NS0_5tupleIJPjSE_EEENSF_IJSE_SE_EEES9_SG_JZNS1_25segmented_radix_sort_implINS0_14default_configELb1EPKaPaPKlPlN2at6native12_GLOBAL__N_18offset_tEEE10hipError_tPvRmT1_PNSt15iterator_traitsISY_E10value_typeET2_T3_PNSZ_IS14_E10value_typeET4_jRbjT5_S1A_jjP12ihipStream_tbEUljE_EEESV_SW_SX_S14_S18_S1A_T6_T7_T9_mT8_S1C_bDpT10_ENKUlT_T0_E_clISt17integral_constantIbLb0EES1O_IbLb1EEEEDaS1K_S1L_EUlS1K_E_NS1_11comp_targetILNS1_3genE9ELNS1_11target_archE1100ELNS1_3gpuE3ELNS1_3repE0EEENS1_30default_config_static_selectorELNS0_4arch9wavefront6targetE0EEEvSY_,comdat
	.globl	_ZN7rocprim17ROCPRIM_400000_NS6detail17trampoline_kernelINS0_13select_configILj256ELj13ELNS0_17block_load_methodE3ELS4_3ELS4_3ELNS0_20block_scan_algorithmE0ELj4294967295EEENS1_25partition_config_selectorILNS1_17partition_subalgoE3EjNS0_10empty_typeEbEEZZNS1_14partition_implILS8_3ELb0ES6_jNS0_17counting_iteratorIjlEEPS9_SE_NS0_5tupleIJPjSE_EEENSF_IJSE_SE_EEES9_SG_JZNS1_25segmented_radix_sort_implINS0_14default_configELb1EPKaPaPKlPlN2at6native12_GLOBAL__N_18offset_tEEE10hipError_tPvRmT1_PNSt15iterator_traitsISY_E10value_typeET2_T3_PNSZ_IS14_E10value_typeET4_jRbjT5_S1A_jjP12ihipStream_tbEUljE_EEESV_SW_SX_S14_S18_S1A_T6_T7_T9_mT8_S1C_bDpT10_ENKUlT_T0_E_clISt17integral_constantIbLb0EES1O_IbLb1EEEEDaS1K_S1L_EUlS1K_E_NS1_11comp_targetILNS1_3genE9ELNS1_11target_archE1100ELNS1_3gpuE3ELNS1_3repE0EEENS1_30default_config_static_selectorELNS0_4arch9wavefront6targetE0EEEvSY_ ; -- Begin function _ZN7rocprim17ROCPRIM_400000_NS6detail17trampoline_kernelINS0_13select_configILj256ELj13ELNS0_17block_load_methodE3ELS4_3ELS4_3ELNS0_20block_scan_algorithmE0ELj4294967295EEENS1_25partition_config_selectorILNS1_17partition_subalgoE3EjNS0_10empty_typeEbEEZZNS1_14partition_implILS8_3ELb0ES6_jNS0_17counting_iteratorIjlEEPS9_SE_NS0_5tupleIJPjSE_EEENSF_IJSE_SE_EEES9_SG_JZNS1_25segmented_radix_sort_implINS0_14default_configELb1EPKaPaPKlPlN2at6native12_GLOBAL__N_18offset_tEEE10hipError_tPvRmT1_PNSt15iterator_traitsISY_E10value_typeET2_T3_PNSZ_IS14_E10value_typeET4_jRbjT5_S1A_jjP12ihipStream_tbEUljE_EEESV_SW_SX_S14_S18_S1A_T6_T7_T9_mT8_S1C_bDpT10_ENKUlT_T0_E_clISt17integral_constantIbLb0EES1O_IbLb1EEEEDaS1K_S1L_EUlS1K_E_NS1_11comp_targetILNS1_3genE9ELNS1_11target_archE1100ELNS1_3gpuE3ELNS1_3repE0EEENS1_30default_config_static_selectorELNS0_4arch9wavefront6targetE0EEEvSY_
	.p2align	8
	.type	_ZN7rocprim17ROCPRIM_400000_NS6detail17trampoline_kernelINS0_13select_configILj256ELj13ELNS0_17block_load_methodE3ELS4_3ELS4_3ELNS0_20block_scan_algorithmE0ELj4294967295EEENS1_25partition_config_selectorILNS1_17partition_subalgoE3EjNS0_10empty_typeEbEEZZNS1_14partition_implILS8_3ELb0ES6_jNS0_17counting_iteratorIjlEEPS9_SE_NS0_5tupleIJPjSE_EEENSF_IJSE_SE_EEES9_SG_JZNS1_25segmented_radix_sort_implINS0_14default_configELb1EPKaPaPKlPlN2at6native12_GLOBAL__N_18offset_tEEE10hipError_tPvRmT1_PNSt15iterator_traitsISY_E10value_typeET2_T3_PNSZ_IS14_E10value_typeET4_jRbjT5_S1A_jjP12ihipStream_tbEUljE_EEESV_SW_SX_S14_S18_S1A_T6_T7_T9_mT8_S1C_bDpT10_ENKUlT_T0_E_clISt17integral_constantIbLb0EES1O_IbLb1EEEEDaS1K_S1L_EUlS1K_E_NS1_11comp_targetILNS1_3genE9ELNS1_11target_archE1100ELNS1_3gpuE3ELNS1_3repE0EEENS1_30default_config_static_selectorELNS0_4arch9wavefront6targetE0EEEvSY_,@function
_ZN7rocprim17ROCPRIM_400000_NS6detail17trampoline_kernelINS0_13select_configILj256ELj13ELNS0_17block_load_methodE3ELS4_3ELS4_3ELNS0_20block_scan_algorithmE0ELj4294967295EEENS1_25partition_config_selectorILNS1_17partition_subalgoE3EjNS0_10empty_typeEbEEZZNS1_14partition_implILS8_3ELb0ES6_jNS0_17counting_iteratorIjlEEPS9_SE_NS0_5tupleIJPjSE_EEENSF_IJSE_SE_EEES9_SG_JZNS1_25segmented_radix_sort_implINS0_14default_configELb1EPKaPaPKlPlN2at6native12_GLOBAL__N_18offset_tEEE10hipError_tPvRmT1_PNSt15iterator_traitsISY_E10value_typeET2_T3_PNSZ_IS14_E10value_typeET4_jRbjT5_S1A_jjP12ihipStream_tbEUljE_EEESV_SW_SX_S14_S18_S1A_T6_T7_T9_mT8_S1C_bDpT10_ENKUlT_T0_E_clISt17integral_constantIbLb0EES1O_IbLb1EEEEDaS1K_S1L_EUlS1K_E_NS1_11comp_targetILNS1_3genE9ELNS1_11target_archE1100ELNS1_3gpuE3ELNS1_3repE0EEENS1_30default_config_static_selectorELNS0_4arch9wavefront6targetE0EEEvSY_: ; @_ZN7rocprim17ROCPRIM_400000_NS6detail17trampoline_kernelINS0_13select_configILj256ELj13ELNS0_17block_load_methodE3ELS4_3ELS4_3ELNS0_20block_scan_algorithmE0ELj4294967295EEENS1_25partition_config_selectorILNS1_17partition_subalgoE3EjNS0_10empty_typeEbEEZZNS1_14partition_implILS8_3ELb0ES6_jNS0_17counting_iteratorIjlEEPS9_SE_NS0_5tupleIJPjSE_EEENSF_IJSE_SE_EEES9_SG_JZNS1_25segmented_radix_sort_implINS0_14default_configELb1EPKaPaPKlPlN2at6native12_GLOBAL__N_18offset_tEEE10hipError_tPvRmT1_PNSt15iterator_traitsISY_E10value_typeET2_T3_PNSZ_IS14_E10value_typeET4_jRbjT5_S1A_jjP12ihipStream_tbEUljE_EEESV_SW_SX_S14_S18_S1A_T6_T7_T9_mT8_S1C_bDpT10_ENKUlT_T0_E_clISt17integral_constantIbLb0EES1O_IbLb1EEEEDaS1K_S1L_EUlS1K_E_NS1_11comp_targetILNS1_3genE9ELNS1_11target_archE1100ELNS1_3gpuE3ELNS1_3repE0EEENS1_30default_config_static_selectorELNS0_4arch9wavefront6targetE0EEEvSY_
; %bb.0:
	.section	.rodata,"a",@progbits
	.p2align	6, 0x0
	.amdhsa_kernel _ZN7rocprim17ROCPRIM_400000_NS6detail17trampoline_kernelINS0_13select_configILj256ELj13ELNS0_17block_load_methodE3ELS4_3ELS4_3ELNS0_20block_scan_algorithmE0ELj4294967295EEENS1_25partition_config_selectorILNS1_17partition_subalgoE3EjNS0_10empty_typeEbEEZZNS1_14partition_implILS8_3ELb0ES6_jNS0_17counting_iteratorIjlEEPS9_SE_NS0_5tupleIJPjSE_EEENSF_IJSE_SE_EEES9_SG_JZNS1_25segmented_radix_sort_implINS0_14default_configELb1EPKaPaPKlPlN2at6native12_GLOBAL__N_18offset_tEEE10hipError_tPvRmT1_PNSt15iterator_traitsISY_E10value_typeET2_T3_PNSZ_IS14_E10value_typeET4_jRbjT5_S1A_jjP12ihipStream_tbEUljE_EEESV_SW_SX_S14_S18_S1A_T6_T7_T9_mT8_S1C_bDpT10_ENKUlT_T0_E_clISt17integral_constantIbLb0EES1O_IbLb1EEEEDaS1K_S1L_EUlS1K_E_NS1_11comp_targetILNS1_3genE9ELNS1_11target_archE1100ELNS1_3gpuE3ELNS1_3repE0EEENS1_30default_config_static_selectorELNS0_4arch9wavefront6targetE0EEEvSY_
		.amdhsa_group_segment_fixed_size 0
		.amdhsa_private_segment_fixed_size 0
		.amdhsa_kernarg_size 152
		.amdhsa_user_sgpr_count 2
		.amdhsa_user_sgpr_dispatch_ptr 0
		.amdhsa_user_sgpr_queue_ptr 0
		.amdhsa_user_sgpr_kernarg_segment_ptr 1
		.amdhsa_user_sgpr_dispatch_id 0
		.amdhsa_user_sgpr_kernarg_preload_length 0
		.amdhsa_user_sgpr_kernarg_preload_offset 0
		.amdhsa_user_sgpr_private_segment_size 0
		.amdhsa_wavefront_size32 1
		.amdhsa_uses_dynamic_stack 0
		.amdhsa_enable_private_segment 0
		.amdhsa_system_sgpr_workgroup_id_x 1
		.amdhsa_system_sgpr_workgroup_id_y 0
		.amdhsa_system_sgpr_workgroup_id_z 0
		.amdhsa_system_sgpr_workgroup_info 0
		.amdhsa_system_vgpr_workitem_id 0
		.amdhsa_next_free_vgpr 1
		.amdhsa_next_free_sgpr 1
		.amdhsa_named_barrier_count 0
		.amdhsa_reserve_vcc 0
		.amdhsa_float_round_mode_32 0
		.amdhsa_float_round_mode_16_64 0
		.amdhsa_float_denorm_mode_32 3
		.amdhsa_float_denorm_mode_16_64 3
		.amdhsa_fp16_overflow 0
		.amdhsa_memory_ordered 1
		.amdhsa_forward_progress 1
		.amdhsa_inst_pref_size 0
		.amdhsa_round_robin_scheduling 0
		.amdhsa_exception_fp_ieee_invalid_op 0
		.amdhsa_exception_fp_denorm_src 0
		.amdhsa_exception_fp_ieee_div_zero 0
		.amdhsa_exception_fp_ieee_overflow 0
		.amdhsa_exception_fp_ieee_underflow 0
		.amdhsa_exception_fp_ieee_inexact 0
		.amdhsa_exception_int_div_zero 0
	.end_amdhsa_kernel
	.section	.text._ZN7rocprim17ROCPRIM_400000_NS6detail17trampoline_kernelINS0_13select_configILj256ELj13ELNS0_17block_load_methodE3ELS4_3ELS4_3ELNS0_20block_scan_algorithmE0ELj4294967295EEENS1_25partition_config_selectorILNS1_17partition_subalgoE3EjNS0_10empty_typeEbEEZZNS1_14partition_implILS8_3ELb0ES6_jNS0_17counting_iteratorIjlEEPS9_SE_NS0_5tupleIJPjSE_EEENSF_IJSE_SE_EEES9_SG_JZNS1_25segmented_radix_sort_implINS0_14default_configELb1EPKaPaPKlPlN2at6native12_GLOBAL__N_18offset_tEEE10hipError_tPvRmT1_PNSt15iterator_traitsISY_E10value_typeET2_T3_PNSZ_IS14_E10value_typeET4_jRbjT5_S1A_jjP12ihipStream_tbEUljE_EEESV_SW_SX_S14_S18_S1A_T6_T7_T9_mT8_S1C_bDpT10_ENKUlT_T0_E_clISt17integral_constantIbLb0EES1O_IbLb1EEEEDaS1K_S1L_EUlS1K_E_NS1_11comp_targetILNS1_3genE9ELNS1_11target_archE1100ELNS1_3gpuE3ELNS1_3repE0EEENS1_30default_config_static_selectorELNS0_4arch9wavefront6targetE0EEEvSY_,"axG",@progbits,_ZN7rocprim17ROCPRIM_400000_NS6detail17trampoline_kernelINS0_13select_configILj256ELj13ELNS0_17block_load_methodE3ELS4_3ELS4_3ELNS0_20block_scan_algorithmE0ELj4294967295EEENS1_25partition_config_selectorILNS1_17partition_subalgoE3EjNS0_10empty_typeEbEEZZNS1_14partition_implILS8_3ELb0ES6_jNS0_17counting_iteratorIjlEEPS9_SE_NS0_5tupleIJPjSE_EEENSF_IJSE_SE_EEES9_SG_JZNS1_25segmented_radix_sort_implINS0_14default_configELb1EPKaPaPKlPlN2at6native12_GLOBAL__N_18offset_tEEE10hipError_tPvRmT1_PNSt15iterator_traitsISY_E10value_typeET2_T3_PNSZ_IS14_E10value_typeET4_jRbjT5_S1A_jjP12ihipStream_tbEUljE_EEESV_SW_SX_S14_S18_S1A_T6_T7_T9_mT8_S1C_bDpT10_ENKUlT_T0_E_clISt17integral_constantIbLb0EES1O_IbLb1EEEEDaS1K_S1L_EUlS1K_E_NS1_11comp_targetILNS1_3genE9ELNS1_11target_archE1100ELNS1_3gpuE3ELNS1_3repE0EEENS1_30default_config_static_selectorELNS0_4arch9wavefront6targetE0EEEvSY_,comdat
.Lfunc_end286:
	.size	_ZN7rocprim17ROCPRIM_400000_NS6detail17trampoline_kernelINS0_13select_configILj256ELj13ELNS0_17block_load_methodE3ELS4_3ELS4_3ELNS0_20block_scan_algorithmE0ELj4294967295EEENS1_25partition_config_selectorILNS1_17partition_subalgoE3EjNS0_10empty_typeEbEEZZNS1_14partition_implILS8_3ELb0ES6_jNS0_17counting_iteratorIjlEEPS9_SE_NS0_5tupleIJPjSE_EEENSF_IJSE_SE_EEES9_SG_JZNS1_25segmented_radix_sort_implINS0_14default_configELb1EPKaPaPKlPlN2at6native12_GLOBAL__N_18offset_tEEE10hipError_tPvRmT1_PNSt15iterator_traitsISY_E10value_typeET2_T3_PNSZ_IS14_E10value_typeET4_jRbjT5_S1A_jjP12ihipStream_tbEUljE_EEESV_SW_SX_S14_S18_S1A_T6_T7_T9_mT8_S1C_bDpT10_ENKUlT_T0_E_clISt17integral_constantIbLb0EES1O_IbLb1EEEEDaS1K_S1L_EUlS1K_E_NS1_11comp_targetILNS1_3genE9ELNS1_11target_archE1100ELNS1_3gpuE3ELNS1_3repE0EEENS1_30default_config_static_selectorELNS0_4arch9wavefront6targetE0EEEvSY_, .Lfunc_end286-_ZN7rocprim17ROCPRIM_400000_NS6detail17trampoline_kernelINS0_13select_configILj256ELj13ELNS0_17block_load_methodE3ELS4_3ELS4_3ELNS0_20block_scan_algorithmE0ELj4294967295EEENS1_25partition_config_selectorILNS1_17partition_subalgoE3EjNS0_10empty_typeEbEEZZNS1_14partition_implILS8_3ELb0ES6_jNS0_17counting_iteratorIjlEEPS9_SE_NS0_5tupleIJPjSE_EEENSF_IJSE_SE_EEES9_SG_JZNS1_25segmented_radix_sort_implINS0_14default_configELb1EPKaPaPKlPlN2at6native12_GLOBAL__N_18offset_tEEE10hipError_tPvRmT1_PNSt15iterator_traitsISY_E10value_typeET2_T3_PNSZ_IS14_E10value_typeET4_jRbjT5_S1A_jjP12ihipStream_tbEUljE_EEESV_SW_SX_S14_S18_S1A_T6_T7_T9_mT8_S1C_bDpT10_ENKUlT_T0_E_clISt17integral_constantIbLb0EES1O_IbLb1EEEEDaS1K_S1L_EUlS1K_E_NS1_11comp_targetILNS1_3genE9ELNS1_11target_archE1100ELNS1_3gpuE3ELNS1_3repE0EEENS1_30default_config_static_selectorELNS0_4arch9wavefront6targetE0EEEvSY_
                                        ; -- End function
	.set _ZN7rocprim17ROCPRIM_400000_NS6detail17trampoline_kernelINS0_13select_configILj256ELj13ELNS0_17block_load_methodE3ELS4_3ELS4_3ELNS0_20block_scan_algorithmE0ELj4294967295EEENS1_25partition_config_selectorILNS1_17partition_subalgoE3EjNS0_10empty_typeEbEEZZNS1_14partition_implILS8_3ELb0ES6_jNS0_17counting_iteratorIjlEEPS9_SE_NS0_5tupleIJPjSE_EEENSF_IJSE_SE_EEES9_SG_JZNS1_25segmented_radix_sort_implINS0_14default_configELb1EPKaPaPKlPlN2at6native12_GLOBAL__N_18offset_tEEE10hipError_tPvRmT1_PNSt15iterator_traitsISY_E10value_typeET2_T3_PNSZ_IS14_E10value_typeET4_jRbjT5_S1A_jjP12ihipStream_tbEUljE_EEESV_SW_SX_S14_S18_S1A_T6_T7_T9_mT8_S1C_bDpT10_ENKUlT_T0_E_clISt17integral_constantIbLb0EES1O_IbLb1EEEEDaS1K_S1L_EUlS1K_E_NS1_11comp_targetILNS1_3genE9ELNS1_11target_archE1100ELNS1_3gpuE3ELNS1_3repE0EEENS1_30default_config_static_selectorELNS0_4arch9wavefront6targetE0EEEvSY_.num_vgpr, 0
	.set _ZN7rocprim17ROCPRIM_400000_NS6detail17trampoline_kernelINS0_13select_configILj256ELj13ELNS0_17block_load_methodE3ELS4_3ELS4_3ELNS0_20block_scan_algorithmE0ELj4294967295EEENS1_25partition_config_selectorILNS1_17partition_subalgoE3EjNS0_10empty_typeEbEEZZNS1_14partition_implILS8_3ELb0ES6_jNS0_17counting_iteratorIjlEEPS9_SE_NS0_5tupleIJPjSE_EEENSF_IJSE_SE_EEES9_SG_JZNS1_25segmented_radix_sort_implINS0_14default_configELb1EPKaPaPKlPlN2at6native12_GLOBAL__N_18offset_tEEE10hipError_tPvRmT1_PNSt15iterator_traitsISY_E10value_typeET2_T3_PNSZ_IS14_E10value_typeET4_jRbjT5_S1A_jjP12ihipStream_tbEUljE_EEESV_SW_SX_S14_S18_S1A_T6_T7_T9_mT8_S1C_bDpT10_ENKUlT_T0_E_clISt17integral_constantIbLb0EES1O_IbLb1EEEEDaS1K_S1L_EUlS1K_E_NS1_11comp_targetILNS1_3genE9ELNS1_11target_archE1100ELNS1_3gpuE3ELNS1_3repE0EEENS1_30default_config_static_selectorELNS0_4arch9wavefront6targetE0EEEvSY_.num_agpr, 0
	.set _ZN7rocprim17ROCPRIM_400000_NS6detail17trampoline_kernelINS0_13select_configILj256ELj13ELNS0_17block_load_methodE3ELS4_3ELS4_3ELNS0_20block_scan_algorithmE0ELj4294967295EEENS1_25partition_config_selectorILNS1_17partition_subalgoE3EjNS0_10empty_typeEbEEZZNS1_14partition_implILS8_3ELb0ES6_jNS0_17counting_iteratorIjlEEPS9_SE_NS0_5tupleIJPjSE_EEENSF_IJSE_SE_EEES9_SG_JZNS1_25segmented_radix_sort_implINS0_14default_configELb1EPKaPaPKlPlN2at6native12_GLOBAL__N_18offset_tEEE10hipError_tPvRmT1_PNSt15iterator_traitsISY_E10value_typeET2_T3_PNSZ_IS14_E10value_typeET4_jRbjT5_S1A_jjP12ihipStream_tbEUljE_EEESV_SW_SX_S14_S18_S1A_T6_T7_T9_mT8_S1C_bDpT10_ENKUlT_T0_E_clISt17integral_constantIbLb0EES1O_IbLb1EEEEDaS1K_S1L_EUlS1K_E_NS1_11comp_targetILNS1_3genE9ELNS1_11target_archE1100ELNS1_3gpuE3ELNS1_3repE0EEENS1_30default_config_static_selectorELNS0_4arch9wavefront6targetE0EEEvSY_.numbered_sgpr, 0
	.set _ZN7rocprim17ROCPRIM_400000_NS6detail17trampoline_kernelINS0_13select_configILj256ELj13ELNS0_17block_load_methodE3ELS4_3ELS4_3ELNS0_20block_scan_algorithmE0ELj4294967295EEENS1_25partition_config_selectorILNS1_17partition_subalgoE3EjNS0_10empty_typeEbEEZZNS1_14partition_implILS8_3ELb0ES6_jNS0_17counting_iteratorIjlEEPS9_SE_NS0_5tupleIJPjSE_EEENSF_IJSE_SE_EEES9_SG_JZNS1_25segmented_radix_sort_implINS0_14default_configELb1EPKaPaPKlPlN2at6native12_GLOBAL__N_18offset_tEEE10hipError_tPvRmT1_PNSt15iterator_traitsISY_E10value_typeET2_T3_PNSZ_IS14_E10value_typeET4_jRbjT5_S1A_jjP12ihipStream_tbEUljE_EEESV_SW_SX_S14_S18_S1A_T6_T7_T9_mT8_S1C_bDpT10_ENKUlT_T0_E_clISt17integral_constantIbLb0EES1O_IbLb1EEEEDaS1K_S1L_EUlS1K_E_NS1_11comp_targetILNS1_3genE9ELNS1_11target_archE1100ELNS1_3gpuE3ELNS1_3repE0EEENS1_30default_config_static_selectorELNS0_4arch9wavefront6targetE0EEEvSY_.num_named_barrier, 0
	.set _ZN7rocprim17ROCPRIM_400000_NS6detail17trampoline_kernelINS0_13select_configILj256ELj13ELNS0_17block_load_methodE3ELS4_3ELS4_3ELNS0_20block_scan_algorithmE0ELj4294967295EEENS1_25partition_config_selectorILNS1_17partition_subalgoE3EjNS0_10empty_typeEbEEZZNS1_14partition_implILS8_3ELb0ES6_jNS0_17counting_iteratorIjlEEPS9_SE_NS0_5tupleIJPjSE_EEENSF_IJSE_SE_EEES9_SG_JZNS1_25segmented_radix_sort_implINS0_14default_configELb1EPKaPaPKlPlN2at6native12_GLOBAL__N_18offset_tEEE10hipError_tPvRmT1_PNSt15iterator_traitsISY_E10value_typeET2_T3_PNSZ_IS14_E10value_typeET4_jRbjT5_S1A_jjP12ihipStream_tbEUljE_EEESV_SW_SX_S14_S18_S1A_T6_T7_T9_mT8_S1C_bDpT10_ENKUlT_T0_E_clISt17integral_constantIbLb0EES1O_IbLb1EEEEDaS1K_S1L_EUlS1K_E_NS1_11comp_targetILNS1_3genE9ELNS1_11target_archE1100ELNS1_3gpuE3ELNS1_3repE0EEENS1_30default_config_static_selectorELNS0_4arch9wavefront6targetE0EEEvSY_.private_seg_size, 0
	.set _ZN7rocprim17ROCPRIM_400000_NS6detail17trampoline_kernelINS0_13select_configILj256ELj13ELNS0_17block_load_methodE3ELS4_3ELS4_3ELNS0_20block_scan_algorithmE0ELj4294967295EEENS1_25partition_config_selectorILNS1_17partition_subalgoE3EjNS0_10empty_typeEbEEZZNS1_14partition_implILS8_3ELb0ES6_jNS0_17counting_iteratorIjlEEPS9_SE_NS0_5tupleIJPjSE_EEENSF_IJSE_SE_EEES9_SG_JZNS1_25segmented_radix_sort_implINS0_14default_configELb1EPKaPaPKlPlN2at6native12_GLOBAL__N_18offset_tEEE10hipError_tPvRmT1_PNSt15iterator_traitsISY_E10value_typeET2_T3_PNSZ_IS14_E10value_typeET4_jRbjT5_S1A_jjP12ihipStream_tbEUljE_EEESV_SW_SX_S14_S18_S1A_T6_T7_T9_mT8_S1C_bDpT10_ENKUlT_T0_E_clISt17integral_constantIbLb0EES1O_IbLb1EEEEDaS1K_S1L_EUlS1K_E_NS1_11comp_targetILNS1_3genE9ELNS1_11target_archE1100ELNS1_3gpuE3ELNS1_3repE0EEENS1_30default_config_static_selectorELNS0_4arch9wavefront6targetE0EEEvSY_.uses_vcc, 0
	.set _ZN7rocprim17ROCPRIM_400000_NS6detail17trampoline_kernelINS0_13select_configILj256ELj13ELNS0_17block_load_methodE3ELS4_3ELS4_3ELNS0_20block_scan_algorithmE0ELj4294967295EEENS1_25partition_config_selectorILNS1_17partition_subalgoE3EjNS0_10empty_typeEbEEZZNS1_14partition_implILS8_3ELb0ES6_jNS0_17counting_iteratorIjlEEPS9_SE_NS0_5tupleIJPjSE_EEENSF_IJSE_SE_EEES9_SG_JZNS1_25segmented_radix_sort_implINS0_14default_configELb1EPKaPaPKlPlN2at6native12_GLOBAL__N_18offset_tEEE10hipError_tPvRmT1_PNSt15iterator_traitsISY_E10value_typeET2_T3_PNSZ_IS14_E10value_typeET4_jRbjT5_S1A_jjP12ihipStream_tbEUljE_EEESV_SW_SX_S14_S18_S1A_T6_T7_T9_mT8_S1C_bDpT10_ENKUlT_T0_E_clISt17integral_constantIbLb0EES1O_IbLb1EEEEDaS1K_S1L_EUlS1K_E_NS1_11comp_targetILNS1_3genE9ELNS1_11target_archE1100ELNS1_3gpuE3ELNS1_3repE0EEENS1_30default_config_static_selectorELNS0_4arch9wavefront6targetE0EEEvSY_.uses_flat_scratch, 0
	.set _ZN7rocprim17ROCPRIM_400000_NS6detail17trampoline_kernelINS0_13select_configILj256ELj13ELNS0_17block_load_methodE3ELS4_3ELS4_3ELNS0_20block_scan_algorithmE0ELj4294967295EEENS1_25partition_config_selectorILNS1_17partition_subalgoE3EjNS0_10empty_typeEbEEZZNS1_14partition_implILS8_3ELb0ES6_jNS0_17counting_iteratorIjlEEPS9_SE_NS0_5tupleIJPjSE_EEENSF_IJSE_SE_EEES9_SG_JZNS1_25segmented_radix_sort_implINS0_14default_configELb1EPKaPaPKlPlN2at6native12_GLOBAL__N_18offset_tEEE10hipError_tPvRmT1_PNSt15iterator_traitsISY_E10value_typeET2_T3_PNSZ_IS14_E10value_typeET4_jRbjT5_S1A_jjP12ihipStream_tbEUljE_EEESV_SW_SX_S14_S18_S1A_T6_T7_T9_mT8_S1C_bDpT10_ENKUlT_T0_E_clISt17integral_constantIbLb0EES1O_IbLb1EEEEDaS1K_S1L_EUlS1K_E_NS1_11comp_targetILNS1_3genE9ELNS1_11target_archE1100ELNS1_3gpuE3ELNS1_3repE0EEENS1_30default_config_static_selectorELNS0_4arch9wavefront6targetE0EEEvSY_.has_dyn_sized_stack, 0
	.set _ZN7rocprim17ROCPRIM_400000_NS6detail17trampoline_kernelINS0_13select_configILj256ELj13ELNS0_17block_load_methodE3ELS4_3ELS4_3ELNS0_20block_scan_algorithmE0ELj4294967295EEENS1_25partition_config_selectorILNS1_17partition_subalgoE3EjNS0_10empty_typeEbEEZZNS1_14partition_implILS8_3ELb0ES6_jNS0_17counting_iteratorIjlEEPS9_SE_NS0_5tupleIJPjSE_EEENSF_IJSE_SE_EEES9_SG_JZNS1_25segmented_radix_sort_implINS0_14default_configELb1EPKaPaPKlPlN2at6native12_GLOBAL__N_18offset_tEEE10hipError_tPvRmT1_PNSt15iterator_traitsISY_E10value_typeET2_T3_PNSZ_IS14_E10value_typeET4_jRbjT5_S1A_jjP12ihipStream_tbEUljE_EEESV_SW_SX_S14_S18_S1A_T6_T7_T9_mT8_S1C_bDpT10_ENKUlT_T0_E_clISt17integral_constantIbLb0EES1O_IbLb1EEEEDaS1K_S1L_EUlS1K_E_NS1_11comp_targetILNS1_3genE9ELNS1_11target_archE1100ELNS1_3gpuE3ELNS1_3repE0EEENS1_30default_config_static_selectorELNS0_4arch9wavefront6targetE0EEEvSY_.has_recursion, 0
	.set _ZN7rocprim17ROCPRIM_400000_NS6detail17trampoline_kernelINS0_13select_configILj256ELj13ELNS0_17block_load_methodE3ELS4_3ELS4_3ELNS0_20block_scan_algorithmE0ELj4294967295EEENS1_25partition_config_selectorILNS1_17partition_subalgoE3EjNS0_10empty_typeEbEEZZNS1_14partition_implILS8_3ELb0ES6_jNS0_17counting_iteratorIjlEEPS9_SE_NS0_5tupleIJPjSE_EEENSF_IJSE_SE_EEES9_SG_JZNS1_25segmented_radix_sort_implINS0_14default_configELb1EPKaPaPKlPlN2at6native12_GLOBAL__N_18offset_tEEE10hipError_tPvRmT1_PNSt15iterator_traitsISY_E10value_typeET2_T3_PNSZ_IS14_E10value_typeET4_jRbjT5_S1A_jjP12ihipStream_tbEUljE_EEESV_SW_SX_S14_S18_S1A_T6_T7_T9_mT8_S1C_bDpT10_ENKUlT_T0_E_clISt17integral_constantIbLb0EES1O_IbLb1EEEEDaS1K_S1L_EUlS1K_E_NS1_11comp_targetILNS1_3genE9ELNS1_11target_archE1100ELNS1_3gpuE3ELNS1_3repE0EEENS1_30default_config_static_selectorELNS0_4arch9wavefront6targetE0EEEvSY_.has_indirect_call, 0
	.section	.AMDGPU.csdata,"",@progbits
; Kernel info:
; codeLenInByte = 0
; TotalNumSgprs: 0
; NumVgprs: 0
; ScratchSize: 0
; MemoryBound: 0
; FloatMode: 240
; IeeeMode: 1
; LDSByteSize: 0 bytes/workgroup (compile time only)
; SGPRBlocks: 0
; VGPRBlocks: 0
; NumSGPRsForWavesPerEU: 1
; NumVGPRsForWavesPerEU: 1
; NamedBarCnt: 0
; Occupancy: 16
; WaveLimiterHint : 0
; COMPUTE_PGM_RSRC2:SCRATCH_EN: 0
; COMPUTE_PGM_RSRC2:USER_SGPR: 2
; COMPUTE_PGM_RSRC2:TRAP_HANDLER: 0
; COMPUTE_PGM_RSRC2:TGID_X_EN: 1
; COMPUTE_PGM_RSRC2:TGID_Y_EN: 0
; COMPUTE_PGM_RSRC2:TGID_Z_EN: 0
; COMPUTE_PGM_RSRC2:TIDIG_COMP_CNT: 0
	.section	.text._ZN7rocprim17ROCPRIM_400000_NS6detail17trampoline_kernelINS0_13select_configILj256ELj13ELNS0_17block_load_methodE3ELS4_3ELS4_3ELNS0_20block_scan_algorithmE0ELj4294967295EEENS1_25partition_config_selectorILNS1_17partition_subalgoE3EjNS0_10empty_typeEbEEZZNS1_14partition_implILS8_3ELb0ES6_jNS0_17counting_iteratorIjlEEPS9_SE_NS0_5tupleIJPjSE_EEENSF_IJSE_SE_EEES9_SG_JZNS1_25segmented_radix_sort_implINS0_14default_configELb1EPKaPaPKlPlN2at6native12_GLOBAL__N_18offset_tEEE10hipError_tPvRmT1_PNSt15iterator_traitsISY_E10value_typeET2_T3_PNSZ_IS14_E10value_typeET4_jRbjT5_S1A_jjP12ihipStream_tbEUljE_EEESV_SW_SX_S14_S18_S1A_T6_T7_T9_mT8_S1C_bDpT10_ENKUlT_T0_E_clISt17integral_constantIbLb0EES1O_IbLb1EEEEDaS1K_S1L_EUlS1K_E_NS1_11comp_targetILNS1_3genE8ELNS1_11target_archE1030ELNS1_3gpuE2ELNS1_3repE0EEENS1_30default_config_static_selectorELNS0_4arch9wavefront6targetE0EEEvSY_,"axG",@progbits,_ZN7rocprim17ROCPRIM_400000_NS6detail17trampoline_kernelINS0_13select_configILj256ELj13ELNS0_17block_load_methodE3ELS4_3ELS4_3ELNS0_20block_scan_algorithmE0ELj4294967295EEENS1_25partition_config_selectorILNS1_17partition_subalgoE3EjNS0_10empty_typeEbEEZZNS1_14partition_implILS8_3ELb0ES6_jNS0_17counting_iteratorIjlEEPS9_SE_NS0_5tupleIJPjSE_EEENSF_IJSE_SE_EEES9_SG_JZNS1_25segmented_radix_sort_implINS0_14default_configELb1EPKaPaPKlPlN2at6native12_GLOBAL__N_18offset_tEEE10hipError_tPvRmT1_PNSt15iterator_traitsISY_E10value_typeET2_T3_PNSZ_IS14_E10value_typeET4_jRbjT5_S1A_jjP12ihipStream_tbEUljE_EEESV_SW_SX_S14_S18_S1A_T6_T7_T9_mT8_S1C_bDpT10_ENKUlT_T0_E_clISt17integral_constantIbLb0EES1O_IbLb1EEEEDaS1K_S1L_EUlS1K_E_NS1_11comp_targetILNS1_3genE8ELNS1_11target_archE1030ELNS1_3gpuE2ELNS1_3repE0EEENS1_30default_config_static_selectorELNS0_4arch9wavefront6targetE0EEEvSY_,comdat
	.globl	_ZN7rocprim17ROCPRIM_400000_NS6detail17trampoline_kernelINS0_13select_configILj256ELj13ELNS0_17block_load_methodE3ELS4_3ELS4_3ELNS0_20block_scan_algorithmE0ELj4294967295EEENS1_25partition_config_selectorILNS1_17partition_subalgoE3EjNS0_10empty_typeEbEEZZNS1_14partition_implILS8_3ELb0ES6_jNS0_17counting_iteratorIjlEEPS9_SE_NS0_5tupleIJPjSE_EEENSF_IJSE_SE_EEES9_SG_JZNS1_25segmented_radix_sort_implINS0_14default_configELb1EPKaPaPKlPlN2at6native12_GLOBAL__N_18offset_tEEE10hipError_tPvRmT1_PNSt15iterator_traitsISY_E10value_typeET2_T3_PNSZ_IS14_E10value_typeET4_jRbjT5_S1A_jjP12ihipStream_tbEUljE_EEESV_SW_SX_S14_S18_S1A_T6_T7_T9_mT8_S1C_bDpT10_ENKUlT_T0_E_clISt17integral_constantIbLb0EES1O_IbLb1EEEEDaS1K_S1L_EUlS1K_E_NS1_11comp_targetILNS1_3genE8ELNS1_11target_archE1030ELNS1_3gpuE2ELNS1_3repE0EEENS1_30default_config_static_selectorELNS0_4arch9wavefront6targetE0EEEvSY_ ; -- Begin function _ZN7rocprim17ROCPRIM_400000_NS6detail17trampoline_kernelINS0_13select_configILj256ELj13ELNS0_17block_load_methodE3ELS4_3ELS4_3ELNS0_20block_scan_algorithmE0ELj4294967295EEENS1_25partition_config_selectorILNS1_17partition_subalgoE3EjNS0_10empty_typeEbEEZZNS1_14partition_implILS8_3ELb0ES6_jNS0_17counting_iteratorIjlEEPS9_SE_NS0_5tupleIJPjSE_EEENSF_IJSE_SE_EEES9_SG_JZNS1_25segmented_radix_sort_implINS0_14default_configELb1EPKaPaPKlPlN2at6native12_GLOBAL__N_18offset_tEEE10hipError_tPvRmT1_PNSt15iterator_traitsISY_E10value_typeET2_T3_PNSZ_IS14_E10value_typeET4_jRbjT5_S1A_jjP12ihipStream_tbEUljE_EEESV_SW_SX_S14_S18_S1A_T6_T7_T9_mT8_S1C_bDpT10_ENKUlT_T0_E_clISt17integral_constantIbLb0EES1O_IbLb1EEEEDaS1K_S1L_EUlS1K_E_NS1_11comp_targetILNS1_3genE8ELNS1_11target_archE1030ELNS1_3gpuE2ELNS1_3repE0EEENS1_30default_config_static_selectorELNS0_4arch9wavefront6targetE0EEEvSY_
	.p2align	8
	.type	_ZN7rocprim17ROCPRIM_400000_NS6detail17trampoline_kernelINS0_13select_configILj256ELj13ELNS0_17block_load_methodE3ELS4_3ELS4_3ELNS0_20block_scan_algorithmE0ELj4294967295EEENS1_25partition_config_selectorILNS1_17partition_subalgoE3EjNS0_10empty_typeEbEEZZNS1_14partition_implILS8_3ELb0ES6_jNS0_17counting_iteratorIjlEEPS9_SE_NS0_5tupleIJPjSE_EEENSF_IJSE_SE_EEES9_SG_JZNS1_25segmented_radix_sort_implINS0_14default_configELb1EPKaPaPKlPlN2at6native12_GLOBAL__N_18offset_tEEE10hipError_tPvRmT1_PNSt15iterator_traitsISY_E10value_typeET2_T3_PNSZ_IS14_E10value_typeET4_jRbjT5_S1A_jjP12ihipStream_tbEUljE_EEESV_SW_SX_S14_S18_S1A_T6_T7_T9_mT8_S1C_bDpT10_ENKUlT_T0_E_clISt17integral_constantIbLb0EES1O_IbLb1EEEEDaS1K_S1L_EUlS1K_E_NS1_11comp_targetILNS1_3genE8ELNS1_11target_archE1030ELNS1_3gpuE2ELNS1_3repE0EEENS1_30default_config_static_selectorELNS0_4arch9wavefront6targetE0EEEvSY_,@function
_ZN7rocprim17ROCPRIM_400000_NS6detail17trampoline_kernelINS0_13select_configILj256ELj13ELNS0_17block_load_methodE3ELS4_3ELS4_3ELNS0_20block_scan_algorithmE0ELj4294967295EEENS1_25partition_config_selectorILNS1_17partition_subalgoE3EjNS0_10empty_typeEbEEZZNS1_14partition_implILS8_3ELb0ES6_jNS0_17counting_iteratorIjlEEPS9_SE_NS0_5tupleIJPjSE_EEENSF_IJSE_SE_EEES9_SG_JZNS1_25segmented_radix_sort_implINS0_14default_configELb1EPKaPaPKlPlN2at6native12_GLOBAL__N_18offset_tEEE10hipError_tPvRmT1_PNSt15iterator_traitsISY_E10value_typeET2_T3_PNSZ_IS14_E10value_typeET4_jRbjT5_S1A_jjP12ihipStream_tbEUljE_EEESV_SW_SX_S14_S18_S1A_T6_T7_T9_mT8_S1C_bDpT10_ENKUlT_T0_E_clISt17integral_constantIbLb0EES1O_IbLb1EEEEDaS1K_S1L_EUlS1K_E_NS1_11comp_targetILNS1_3genE8ELNS1_11target_archE1030ELNS1_3gpuE2ELNS1_3repE0EEENS1_30default_config_static_selectorELNS0_4arch9wavefront6targetE0EEEvSY_: ; @_ZN7rocprim17ROCPRIM_400000_NS6detail17trampoline_kernelINS0_13select_configILj256ELj13ELNS0_17block_load_methodE3ELS4_3ELS4_3ELNS0_20block_scan_algorithmE0ELj4294967295EEENS1_25partition_config_selectorILNS1_17partition_subalgoE3EjNS0_10empty_typeEbEEZZNS1_14partition_implILS8_3ELb0ES6_jNS0_17counting_iteratorIjlEEPS9_SE_NS0_5tupleIJPjSE_EEENSF_IJSE_SE_EEES9_SG_JZNS1_25segmented_radix_sort_implINS0_14default_configELb1EPKaPaPKlPlN2at6native12_GLOBAL__N_18offset_tEEE10hipError_tPvRmT1_PNSt15iterator_traitsISY_E10value_typeET2_T3_PNSZ_IS14_E10value_typeET4_jRbjT5_S1A_jjP12ihipStream_tbEUljE_EEESV_SW_SX_S14_S18_S1A_T6_T7_T9_mT8_S1C_bDpT10_ENKUlT_T0_E_clISt17integral_constantIbLb0EES1O_IbLb1EEEEDaS1K_S1L_EUlS1K_E_NS1_11comp_targetILNS1_3genE8ELNS1_11target_archE1030ELNS1_3gpuE2ELNS1_3repE0EEENS1_30default_config_static_selectorELNS0_4arch9wavefront6targetE0EEEvSY_
; %bb.0:
	.section	.rodata,"a",@progbits
	.p2align	6, 0x0
	.amdhsa_kernel _ZN7rocprim17ROCPRIM_400000_NS6detail17trampoline_kernelINS0_13select_configILj256ELj13ELNS0_17block_load_methodE3ELS4_3ELS4_3ELNS0_20block_scan_algorithmE0ELj4294967295EEENS1_25partition_config_selectorILNS1_17partition_subalgoE3EjNS0_10empty_typeEbEEZZNS1_14partition_implILS8_3ELb0ES6_jNS0_17counting_iteratorIjlEEPS9_SE_NS0_5tupleIJPjSE_EEENSF_IJSE_SE_EEES9_SG_JZNS1_25segmented_radix_sort_implINS0_14default_configELb1EPKaPaPKlPlN2at6native12_GLOBAL__N_18offset_tEEE10hipError_tPvRmT1_PNSt15iterator_traitsISY_E10value_typeET2_T3_PNSZ_IS14_E10value_typeET4_jRbjT5_S1A_jjP12ihipStream_tbEUljE_EEESV_SW_SX_S14_S18_S1A_T6_T7_T9_mT8_S1C_bDpT10_ENKUlT_T0_E_clISt17integral_constantIbLb0EES1O_IbLb1EEEEDaS1K_S1L_EUlS1K_E_NS1_11comp_targetILNS1_3genE8ELNS1_11target_archE1030ELNS1_3gpuE2ELNS1_3repE0EEENS1_30default_config_static_selectorELNS0_4arch9wavefront6targetE0EEEvSY_
		.amdhsa_group_segment_fixed_size 0
		.amdhsa_private_segment_fixed_size 0
		.amdhsa_kernarg_size 152
		.amdhsa_user_sgpr_count 2
		.amdhsa_user_sgpr_dispatch_ptr 0
		.amdhsa_user_sgpr_queue_ptr 0
		.amdhsa_user_sgpr_kernarg_segment_ptr 1
		.amdhsa_user_sgpr_dispatch_id 0
		.amdhsa_user_sgpr_kernarg_preload_length 0
		.amdhsa_user_sgpr_kernarg_preload_offset 0
		.amdhsa_user_sgpr_private_segment_size 0
		.amdhsa_wavefront_size32 1
		.amdhsa_uses_dynamic_stack 0
		.amdhsa_enable_private_segment 0
		.amdhsa_system_sgpr_workgroup_id_x 1
		.amdhsa_system_sgpr_workgroup_id_y 0
		.amdhsa_system_sgpr_workgroup_id_z 0
		.amdhsa_system_sgpr_workgroup_info 0
		.amdhsa_system_vgpr_workitem_id 0
		.amdhsa_next_free_vgpr 1
		.amdhsa_next_free_sgpr 1
		.amdhsa_named_barrier_count 0
		.amdhsa_reserve_vcc 0
		.amdhsa_float_round_mode_32 0
		.amdhsa_float_round_mode_16_64 0
		.amdhsa_float_denorm_mode_32 3
		.amdhsa_float_denorm_mode_16_64 3
		.amdhsa_fp16_overflow 0
		.amdhsa_memory_ordered 1
		.amdhsa_forward_progress 1
		.amdhsa_inst_pref_size 0
		.amdhsa_round_robin_scheduling 0
		.amdhsa_exception_fp_ieee_invalid_op 0
		.amdhsa_exception_fp_denorm_src 0
		.amdhsa_exception_fp_ieee_div_zero 0
		.amdhsa_exception_fp_ieee_overflow 0
		.amdhsa_exception_fp_ieee_underflow 0
		.amdhsa_exception_fp_ieee_inexact 0
		.amdhsa_exception_int_div_zero 0
	.end_amdhsa_kernel
	.section	.text._ZN7rocprim17ROCPRIM_400000_NS6detail17trampoline_kernelINS0_13select_configILj256ELj13ELNS0_17block_load_methodE3ELS4_3ELS4_3ELNS0_20block_scan_algorithmE0ELj4294967295EEENS1_25partition_config_selectorILNS1_17partition_subalgoE3EjNS0_10empty_typeEbEEZZNS1_14partition_implILS8_3ELb0ES6_jNS0_17counting_iteratorIjlEEPS9_SE_NS0_5tupleIJPjSE_EEENSF_IJSE_SE_EEES9_SG_JZNS1_25segmented_radix_sort_implINS0_14default_configELb1EPKaPaPKlPlN2at6native12_GLOBAL__N_18offset_tEEE10hipError_tPvRmT1_PNSt15iterator_traitsISY_E10value_typeET2_T3_PNSZ_IS14_E10value_typeET4_jRbjT5_S1A_jjP12ihipStream_tbEUljE_EEESV_SW_SX_S14_S18_S1A_T6_T7_T9_mT8_S1C_bDpT10_ENKUlT_T0_E_clISt17integral_constantIbLb0EES1O_IbLb1EEEEDaS1K_S1L_EUlS1K_E_NS1_11comp_targetILNS1_3genE8ELNS1_11target_archE1030ELNS1_3gpuE2ELNS1_3repE0EEENS1_30default_config_static_selectorELNS0_4arch9wavefront6targetE0EEEvSY_,"axG",@progbits,_ZN7rocprim17ROCPRIM_400000_NS6detail17trampoline_kernelINS0_13select_configILj256ELj13ELNS0_17block_load_methodE3ELS4_3ELS4_3ELNS0_20block_scan_algorithmE0ELj4294967295EEENS1_25partition_config_selectorILNS1_17partition_subalgoE3EjNS0_10empty_typeEbEEZZNS1_14partition_implILS8_3ELb0ES6_jNS0_17counting_iteratorIjlEEPS9_SE_NS0_5tupleIJPjSE_EEENSF_IJSE_SE_EEES9_SG_JZNS1_25segmented_radix_sort_implINS0_14default_configELb1EPKaPaPKlPlN2at6native12_GLOBAL__N_18offset_tEEE10hipError_tPvRmT1_PNSt15iterator_traitsISY_E10value_typeET2_T3_PNSZ_IS14_E10value_typeET4_jRbjT5_S1A_jjP12ihipStream_tbEUljE_EEESV_SW_SX_S14_S18_S1A_T6_T7_T9_mT8_S1C_bDpT10_ENKUlT_T0_E_clISt17integral_constantIbLb0EES1O_IbLb1EEEEDaS1K_S1L_EUlS1K_E_NS1_11comp_targetILNS1_3genE8ELNS1_11target_archE1030ELNS1_3gpuE2ELNS1_3repE0EEENS1_30default_config_static_selectorELNS0_4arch9wavefront6targetE0EEEvSY_,comdat
.Lfunc_end287:
	.size	_ZN7rocprim17ROCPRIM_400000_NS6detail17trampoline_kernelINS0_13select_configILj256ELj13ELNS0_17block_load_methodE3ELS4_3ELS4_3ELNS0_20block_scan_algorithmE0ELj4294967295EEENS1_25partition_config_selectorILNS1_17partition_subalgoE3EjNS0_10empty_typeEbEEZZNS1_14partition_implILS8_3ELb0ES6_jNS0_17counting_iteratorIjlEEPS9_SE_NS0_5tupleIJPjSE_EEENSF_IJSE_SE_EEES9_SG_JZNS1_25segmented_radix_sort_implINS0_14default_configELb1EPKaPaPKlPlN2at6native12_GLOBAL__N_18offset_tEEE10hipError_tPvRmT1_PNSt15iterator_traitsISY_E10value_typeET2_T3_PNSZ_IS14_E10value_typeET4_jRbjT5_S1A_jjP12ihipStream_tbEUljE_EEESV_SW_SX_S14_S18_S1A_T6_T7_T9_mT8_S1C_bDpT10_ENKUlT_T0_E_clISt17integral_constantIbLb0EES1O_IbLb1EEEEDaS1K_S1L_EUlS1K_E_NS1_11comp_targetILNS1_3genE8ELNS1_11target_archE1030ELNS1_3gpuE2ELNS1_3repE0EEENS1_30default_config_static_selectorELNS0_4arch9wavefront6targetE0EEEvSY_, .Lfunc_end287-_ZN7rocprim17ROCPRIM_400000_NS6detail17trampoline_kernelINS0_13select_configILj256ELj13ELNS0_17block_load_methodE3ELS4_3ELS4_3ELNS0_20block_scan_algorithmE0ELj4294967295EEENS1_25partition_config_selectorILNS1_17partition_subalgoE3EjNS0_10empty_typeEbEEZZNS1_14partition_implILS8_3ELb0ES6_jNS0_17counting_iteratorIjlEEPS9_SE_NS0_5tupleIJPjSE_EEENSF_IJSE_SE_EEES9_SG_JZNS1_25segmented_radix_sort_implINS0_14default_configELb1EPKaPaPKlPlN2at6native12_GLOBAL__N_18offset_tEEE10hipError_tPvRmT1_PNSt15iterator_traitsISY_E10value_typeET2_T3_PNSZ_IS14_E10value_typeET4_jRbjT5_S1A_jjP12ihipStream_tbEUljE_EEESV_SW_SX_S14_S18_S1A_T6_T7_T9_mT8_S1C_bDpT10_ENKUlT_T0_E_clISt17integral_constantIbLb0EES1O_IbLb1EEEEDaS1K_S1L_EUlS1K_E_NS1_11comp_targetILNS1_3genE8ELNS1_11target_archE1030ELNS1_3gpuE2ELNS1_3repE0EEENS1_30default_config_static_selectorELNS0_4arch9wavefront6targetE0EEEvSY_
                                        ; -- End function
	.set _ZN7rocprim17ROCPRIM_400000_NS6detail17trampoline_kernelINS0_13select_configILj256ELj13ELNS0_17block_load_methodE3ELS4_3ELS4_3ELNS0_20block_scan_algorithmE0ELj4294967295EEENS1_25partition_config_selectorILNS1_17partition_subalgoE3EjNS0_10empty_typeEbEEZZNS1_14partition_implILS8_3ELb0ES6_jNS0_17counting_iteratorIjlEEPS9_SE_NS0_5tupleIJPjSE_EEENSF_IJSE_SE_EEES9_SG_JZNS1_25segmented_radix_sort_implINS0_14default_configELb1EPKaPaPKlPlN2at6native12_GLOBAL__N_18offset_tEEE10hipError_tPvRmT1_PNSt15iterator_traitsISY_E10value_typeET2_T3_PNSZ_IS14_E10value_typeET4_jRbjT5_S1A_jjP12ihipStream_tbEUljE_EEESV_SW_SX_S14_S18_S1A_T6_T7_T9_mT8_S1C_bDpT10_ENKUlT_T0_E_clISt17integral_constantIbLb0EES1O_IbLb1EEEEDaS1K_S1L_EUlS1K_E_NS1_11comp_targetILNS1_3genE8ELNS1_11target_archE1030ELNS1_3gpuE2ELNS1_3repE0EEENS1_30default_config_static_selectorELNS0_4arch9wavefront6targetE0EEEvSY_.num_vgpr, 0
	.set _ZN7rocprim17ROCPRIM_400000_NS6detail17trampoline_kernelINS0_13select_configILj256ELj13ELNS0_17block_load_methodE3ELS4_3ELS4_3ELNS0_20block_scan_algorithmE0ELj4294967295EEENS1_25partition_config_selectorILNS1_17partition_subalgoE3EjNS0_10empty_typeEbEEZZNS1_14partition_implILS8_3ELb0ES6_jNS0_17counting_iteratorIjlEEPS9_SE_NS0_5tupleIJPjSE_EEENSF_IJSE_SE_EEES9_SG_JZNS1_25segmented_radix_sort_implINS0_14default_configELb1EPKaPaPKlPlN2at6native12_GLOBAL__N_18offset_tEEE10hipError_tPvRmT1_PNSt15iterator_traitsISY_E10value_typeET2_T3_PNSZ_IS14_E10value_typeET4_jRbjT5_S1A_jjP12ihipStream_tbEUljE_EEESV_SW_SX_S14_S18_S1A_T6_T7_T9_mT8_S1C_bDpT10_ENKUlT_T0_E_clISt17integral_constantIbLb0EES1O_IbLb1EEEEDaS1K_S1L_EUlS1K_E_NS1_11comp_targetILNS1_3genE8ELNS1_11target_archE1030ELNS1_3gpuE2ELNS1_3repE0EEENS1_30default_config_static_selectorELNS0_4arch9wavefront6targetE0EEEvSY_.num_agpr, 0
	.set _ZN7rocprim17ROCPRIM_400000_NS6detail17trampoline_kernelINS0_13select_configILj256ELj13ELNS0_17block_load_methodE3ELS4_3ELS4_3ELNS0_20block_scan_algorithmE0ELj4294967295EEENS1_25partition_config_selectorILNS1_17partition_subalgoE3EjNS0_10empty_typeEbEEZZNS1_14partition_implILS8_3ELb0ES6_jNS0_17counting_iteratorIjlEEPS9_SE_NS0_5tupleIJPjSE_EEENSF_IJSE_SE_EEES9_SG_JZNS1_25segmented_radix_sort_implINS0_14default_configELb1EPKaPaPKlPlN2at6native12_GLOBAL__N_18offset_tEEE10hipError_tPvRmT1_PNSt15iterator_traitsISY_E10value_typeET2_T3_PNSZ_IS14_E10value_typeET4_jRbjT5_S1A_jjP12ihipStream_tbEUljE_EEESV_SW_SX_S14_S18_S1A_T6_T7_T9_mT8_S1C_bDpT10_ENKUlT_T0_E_clISt17integral_constantIbLb0EES1O_IbLb1EEEEDaS1K_S1L_EUlS1K_E_NS1_11comp_targetILNS1_3genE8ELNS1_11target_archE1030ELNS1_3gpuE2ELNS1_3repE0EEENS1_30default_config_static_selectorELNS0_4arch9wavefront6targetE0EEEvSY_.numbered_sgpr, 0
	.set _ZN7rocprim17ROCPRIM_400000_NS6detail17trampoline_kernelINS0_13select_configILj256ELj13ELNS0_17block_load_methodE3ELS4_3ELS4_3ELNS0_20block_scan_algorithmE0ELj4294967295EEENS1_25partition_config_selectorILNS1_17partition_subalgoE3EjNS0_10empty_typeEbEEZZNS1_14partition_implILS8_3ELb0ES6_jNS0_17counting_iteratorIjlEEPS9_SE_NS0_5tupleIJPjSE_EEENSF_IJSE_SE_EEES9_SG_JZNS1_25segmented_radix_sort_implINS0_14default_configELb1EPKaPaPKlPlN2at6native12_GLOBAL__N_18offset_tEEE10hipError_tPvRmT1_PNSt15iterator_traitsISY_E10value_typeET2_T3_PNSZ_IS14_E10value_typeET4_jRbjT5_S1A_jjP12ihipStream_tbEUljE_EEESV_SW_SX_S14_S18_S1A_T6_T7_T9_mT8_S1C_bDpT10_ENKUlT_T0_E_clISt17integral_constantIbLb0EES1O_IbLb1EEEEDaS1K_S1L_EUlS1K_E_NS1_11comp_targetILNS1_3genE8ELNS1_11target_archE1030ELNS1_3gpuE2ELNS1_3repE0EEENS1_30default_config_static_selectorELNS0_4arch9wavefront6targetE0EEEvSY_.num_named_barrier, 0
	.set _ZN7rocprim17ROCPRIM_400000_NS6detail17trampoline_kernelINS0_13select_configILj256ELj13ELNS0_17block_load_methodE3ELS4_3ELS4_3ELNS0_20block_scan_algorithmE0ELj4294967295EEENS1_25partition_config_selectorILNS1_17partition_subalgoE3EjNS0_10empty_typeEbEEZZNS1_14partition_implILS8_3ELb0ES6_jNS0_17counting_iteratorIjlEEPS9_SE_NS0_5tupleIJPjSE_EEENSF_IJSE_SE_EEES9_SG_JZNS1_25segmented_radix_sort_implINS0_14default_configELb1EPKaPaPKlPlN2at6native12_GLOBAL__N_18offset_tEEE10hipError_tPvRmT1_PNSt15iterator_traitsISY_E10value_typeET2_T3_PNSZ_IS14_E10value_typeET4_jRbjT5_S1A_jjP12ihipStream_tbEUljE_EEESV_SW_SX_S14_S18_S1A_T6_T7_T9_mT8_S1C_bDpT10_ENKUlT_T0_E_clISt17integral_constantIbLb0EES1O_IbLb1EEEEDaS1K_S1L_EUlS1K_E_NS1_11comp_targetILNS1_3genE8ELNS1_11target_archE1030ELNS1_3gpuE2ELNS1_3repE0EEENS1_30default_config_static_selectorELNS0_4arch9wavefront6targetE0EEEvSY_.private_seg_size, 0
	.set _ZN7rocprim17ROCPRIM_400000_NS6detail17trampoline_kernelINS0_13select_configILj256ELj13ELNS0_17block_load_methodE3ELS4_3ELS4_3ELNS0_20block_scan_algorithmE0ELj4294967295EEENS1_25partition_config_selectorILNS1_17partition_subalgoE3EjNS0_10empty_typeEbEEZZNS1_14partition_implILS8_3ELb0ES6_jNS0_17counting_iteratorIjlEEPS9_SE_NS0_5tupleIJPjSE_EEENSF_IJSE_SE_EEES9_SG_JZNS1_25segmented_radix_sort_implINS0_14default_configELb1EPKaPaPKlPlN2at6native12_GLOBAL__N_18offset_tEEE10hipError_tPvRmT1_PNSt15iterator_traitsISY_E10value_typeET2_T3_PNSZ_IS14_E10value_typeET4_jRbjT5_S1A_jjP12ihipStream_tbEUljE_EEESV_SW_SX_S14_S18_S1A_T6_T7_T9_mT8_S1C_bDpT10_ENKUlT_T0_E_clISt17integral_constantIbLb0EES1O_IbLb1EEEEDaS1K_S1L_EUlS1K_E_NS1_11comp_targetILNS1_3genE8ELNS1_11target_archE1030ELNS1_3gpuE2ELNS1_3repE0EEENS1_30default_config_static_selectorELNS0_4arch9wavefront6targetE0EEEvSY_.uses_vcc, 0
	.set _ZN7rocprim17ROCPRIM_400000_NS6detail17trampoline_kernelINS0_13select_configILj256ELj13ELNS0_17block_load_methodE3ELS4_3ELS4_3ELNS0_20block_scan_algorithmE0ELj4294967295EEENS1_25partition_config_selectorILNS1_17partition_subalgoE3EjNS0_10empty_typeEbEEZZNS1_14partition_implILS8_3ELb0ES6_jNS0_17counting_iteratorIjlEEPS9_SE_NS0_5tupleIJPjSE_EEENSF_IJSE_SE_EEES9_SG_JZNS1_25segmented_radix_sort_implINS0_14default_configELb1EPKaPaPKlPlN2at6native12_GLOBAL__N_18offset_tEEE10hipError_tPvRmT1_PNSt15iterator_traitsISY_E10value_typeET2_T3_PNSZ_IS14_E10value_typeET4_jRbjT5_S1A_jjP12ihipStream_tbEUljE_EEESV_SW_SX_S14_S18_S1A_T6_T7_T9_mT8_S1C_bDpT10_ENKUlT_T0_E_clISt17integral_constantIbLb0EES1O_IbLb1EEEEDaS1K_S1L_EUlS1K_E_NS1_11comp_targetILNS1_3genE8ELNS1_11target_archE1030ELNS1_3gpuE2ELNS1_3repE0EEENS1_30default_config_static_selectorELNS0_4arch9wavefront6targetE0EEEvSY_.uses_flat_scratch, 0
	.set _ZN7rocprim17ROCPRIM_400000_NS6detail17trampoline_kernelINS0_13select_configILj256ELj13ELNS0_17block_load_methodE3ELS4_3ELS4_3ELNS0_20block_scan_algorithmE0ELj4294967295EEENS1_25partition_config_selectorILNS1_17partition_subalgoE3EjNS0_10empty_typeEbEEZZNS1_14partition_implILS8_3ELb0ES6_jNS0_17counting_iteratorIjlEEPS9_SE_NS0_5tupleIJPjSE_EEENSF_IJSE_SE_EEES9_SG_JZNS1_25segmented_radix_sort_implINS0_14default_configELb1EPKaPaPKlPlN2at6native12_GLOBAL__N_18offset_tEEE10hipError_tPvRmT1_PNSt15iterator_traitsISY_E10value_typeET2_T3_PNSZ_IS14_E10value_typeET4_jRbjT5_S1A_jjP12ihipStream_tbEUljE_EEESV_SW_SX_S14_S18_S1A_T6_T7_T9_mT8_S1C_bDpT10_ENKUlT_T0_E_clISt17integral_constantIbLb0EES1O_IbLb1EEEEDaS1K_S1L_EUlS1K_E_NS1_11comp_targetILNS1_3genE8ELNS1_11target_archE1030ELNS1_3gpuE2ELNS1_3repE0EEENS1_30default_config_static_selectorELNS0_4arch9wavefront6targetE0EEEvSY_.has_dyn_sized_stack, 0
	.set _ZN7rocprim17ROCPRIM_400000_NS6detail17trampoline_kernelINS0_13select_configILj256ELj13ELNS0_17block_load_methodE3ELS4_3ELS4_3ELNS0_20block_scan_algorithmE0ELj4294967295EEENS1_25partition_config_selectorILNS1_17partition_subalgoE3EjNS0_10empty_typeEbEEZZNS1_14partition_implILS8_3ELb0ES6_jNS0_17counting_iteratorIjlEEPS9_SE_NS0_5tupleIJPjSE_EEENSF_IJSE_SE_EEES9_SG_JZNS1_25segmented_radix_sort_implINS0_14default_configELb1EPKaPaPKlPlN2at6native12_GLOBAL__N_18offset_tEEE10hipError_tPvRmT1_PNSt15iterator_traitsISY_E10value_typeET2_T3_PNSZ_IS14_E10value_typeET4_jRbjT5_S1A_jjP12ihipStream_tbEUljE_EEESV_SW_SX_S14_S18_S1A_T6_T7_T9_mT8_S1C_bDpT10_ENKUlT_T0_E_clISt17integral_constantIbLb0EES1O_IbLb1EEEEDaS1K_S1L_EUlS1K_E_NS1_11comp_targetILNS1_3genE8ELNS1_11target_archE1030ELNS1_3gpuE2ELNS1_3repE0EEENS1_30default_config_static_selectorELNS0_4arch9wavefront6targetE0EEEvSY_.has_recursion, 0
	.set _ZN7rocprim17ROCPRIM_400000_NS6detail17trampoline_kernelINS0_13select_configILj256ELj13ELNS0_17block_load_methodE3ELS4_3ELS4_3ELNS0_20block_scan_algorithmE0ELj4294967295EEENS1_25partition_config_selectorILNS1_17partition_subalgoE3EjNS0_10empty_typeEbEEZZNS1_14partition_implILS8_3ELb0ES6_jNS0_17counting_iteratorIjlEEPS9_SE_NS0_5tupleIJPjSE_EEENSF_IJSE_SE_EEES9_SG_JZNS1_25segmented_radix_sort_implINS0_14default_configELb1EPKaPaPKlPlN2at6native12_GLOBAL__N_18offset_tEEE10hipError_tPvRmT1_PNSt15iterator_traitsISY_E10value_typeET2_T3_PNSZ_IS14_E10value_typeET4_jRbjT5_S1A_jjP12ihipStream_tbEUljE_EEESV_SW_SX_S14_S18_S1A_T6_T7_T9_mT8_S1C_bDpT10_ENKUlT_T0_E_clISt17integral_constantIbLb0EES1O_IbLb1EEEEDaS1K_S1L_EUlS1K_E_NS1_11comp_targetILNS1_3genE8ELNS1_11target_archE1030ELNS1_3gpuE2ELNS1_3repE0EEENS1_30default_config_static_selectorELNS0_4arch9wavefront6targetE0EEEvSY_.has_indirect_call, 0
	.section	.AMDGPU.csdata,"",@progbits
; Kernel info:
; codeLenInByte = 0
; TotalNumSgprs: 0
; NumVgprs: 0
; ScratchSize: 0
; MemoryBound: 0
; FloatMode: 240
; IeeeMode: 1
; LDSByteSize: 0 bytes/workgroup (compile time only)
; SGPRBlocks: 0
; VGPRBlocks: 0
; NumSGPRsForWavesPerEU: 1
; NumVGPRsForWavesPerEU: 1
; NamedBarCnt: 0
; Occupancy: 16
; WaveLimiterHint : 0
; COMPUTE_PGM_RSRC2:SCRATCH_EN: 0
; COMPUTE_PGM_RSRC2:USER_SGPR: 2
; COMPUTE_PGM_RSRC2:TRAP_HANDLER: 0
; COMPUTE_PGM_RSRC2:TGID_X_EN: 1
; COMPUTE_PGM_RSRC2:TGID_Y_EN: 0
; COMPUTE_PGM_RSRC2:TGID_Z_EN: 0
; COMPUTE_PGM_RSRC2:TIDIG_COMP_CNT: 0
	.text
	.p2align	2                               ; -- Begin function _ZN7rocprim17ROCPRIM_400000_NS6detail40segmented_radix_sort_single_block_helperIalLj256ELj17ELb1EE4sortIPKaPaPKlPlEEbT_T0_T1_T2_jjjjRNS3_12storage_typeE
	.type	_ZN7rocprim17ROCPRIM_400000_NS6detail40segmented_radix_sort_single_block_helperIalLj256ELj17ELb1EE4sortIPKaPaPKlPlEEbT_T0_T1_T2_jjjjRNS3_12storage_typeE,@function
_ZN7rocprim17ROCPRIM_400000_NS6detail40segmented_radix_sort_single_block_helperIalLj256ELj17ELb1EE4sortIPKaPaPKlPlEEbT_T0_T1_T2_jjjjRNS3_12storage_typeE: ; @_ZN7rocprim17ROCPRIM_400000_NS6detail40segmented_radix_sort_single_block_helperIalLj256ELj17ELb1EE4sortIPKaPaPKlPlEEbT_T0_T1_T2_jjjjRNS3_12storage_typeE
; %bb.0:
	s_wait_loadcnt_dscnt 0x0
	s_wait_kmcnt 0x0
	s_set_vgpr_msb 64                       ;  msbs: dst=1 src0=0 src1=0 src2=0
	v_sub_nc_u32_e32 v20 /*v276*/, v9, v8
	s_mov_b32 s22, exec_lo
	s_set_vgpr_msb 4                        ;  msbs: dst=0 src0=0 src1=1 src2=0
	s_delay_alu instid0(VALU_DEP_1)
	v_cmpx_gt_u32_e32 0x1101, v20 /*v276*/
	s_set_vgpr_msb 0                        ;  msbs: dst=0 src0=0 src1=0 src2=0
	s_cbranch_execz .LBB288_382
; %bb.1:
	v_bfe_u32 v9, v31, 10, 10
	v_bfe_u32 v15, v31, 20, 10
	v_and_b32_e32 v14, 0x3ff, v31
	v_mbcnt_lo_u32_b32 v16, -1, 0
	s_getreg_b32 s23, hwreg(HW_REG_IB_STS2, 6, 4)
	s_mov_b32 s0, exec_lo
	s_set_vgpr_msb 4                        ;  msbs: dst=0 src0=0 src1=1 src2=0
	v_cmpx_lt_u32_e32 0x800, v20 /*v276*/
	s_xor_b32 s24, exec_lo, s0
	s_set_vgpr_msb 0                        ;  msbs: dst=0 src0=0 src1=0 src2=0
	s_cbranch_execz .LBB288_151
; %bb.2:
	s_load_b64 s[0:1], s[8:9], 0x0
	s_bfe_u32 s3, ttmp6, 0x4000c
	s_bfe_u32 s5, ttmp6, 0x40010
	s_and_b32 s4, ttmp7, 0xffff
	s_add_co_i32 s3, s3, 1
	s_add_co_i32 s5, s5, 1
	s_and_b32 s2, ttmp6, 15
	s_bfe_u32 s6, ttmp6, 0x40004
	s_mul_i32 s3, ttmp9, s3
	s_mul_i32 s5, s4, s5
	s_add_co_i32 s2, s2, s3
	s_add_co_i32 s6, s6, s5
	s_cmp_eq_u32 s23, 0
	s_mov_b32 s3, 0
	s_cselect_b32 s2, ttmp9, s2
	s_cselect_b32 s4, s4, s6
	v_dual_mov_b32 v23, 0x80 :: v_dual_mov_b32 v32, 0x80
	v_dual_mov_b32 v20, 0x80 :: v_dual_mov_b32 v25, 0x80
	s_wait_kmcnt 0x0
	s_cmp_lt_u32 s2, s0
	v_dual_mov_b32 v28, 0x80 :: v_dual_mov_b32 v33, 0x80
	s_cselect_b32 s2, 12, 18
	s_cmp_lt_u32 s4, s1
	s_mov_b32 s1, s3
	s_cselect_b32 s0, 14, 20
	v_dual_mov_b32 v29, 0x80 :: v_dual_mov_b32 v26, 0x80
	s_add_nc_u64 s[0:1], s[8:9], s[0:1]
	v_dual_mov_b32 v21, 0x80 :: v_dual_mov_b32 v34, 0x80
	s_load_u16 s4, s[0:1], 0x0
	s_wait_xcnt 0x0
	s_add_nc_u64 s[0:1], s[8:9], s[2:3]
	v_mov_b32_e32 v31, 0x80
	s_load_u16 s0, s[0:1], 0x0
	v_dual_mov_b32 v27, 0x80 :: v_dual_mov_b32 v22, 0x80
	v_mov_b32_e32 v30, 0x80
	v_mov_b32_e32 v24, 0x80
	s_wait_kmcnt 0x0
	v_mad_u32_u24 v9, v15, s4, v9
	v_mov_b32_e32 v15, 0x80
	s_delay_alu instid0(VALU_DEP_2) | instskip(SKIP_1) | instid1(VALU_DEP_1)
	v_mad_u32 v38, v9, s0, v14
	v_mov_b32_e32 v9, 0
	v_add_nc_u64_e32 v[18:19], v[0:1], v[8:9]
	v_mov_b32_e32 v17, v9
	s_delay_alu instid0(VALU_DEP_4) | instskip(NEXT) | instid1(VALU_DEP_2)
	v_and_b32_e32 v0, 0xffffffe0, v38
	v_add_nc_u64_e32 v[18:19], v[18:19], v[16:17]
	v_mov_b32_e32 v17, 0x80
	s_delay_alu instid0(VALU_DEP_3) | instskip(NEXT) | instid1(VALU_DEP_1)
	v_lshl_add_u32 v0, v0, 4, v0
	v_dual_mov_b32 v1, v9 :: v_dual_bitop2_b32 v35, v0, v16 bitop3:0x54
	s_delay_alu instid0(VALU_DEP_1) | instskip(SKIP_1) | instid1(VALU_DEP_2)
	v_add_nc_u64_e32 v[18:19], v[18:19], v[0:1]
	s_set_vgpr_msb 4                        ;  msbs: dst=0 src0=0 src1=1 src2=0
	v_cmp_lt_u32_e32 vcc_lo, v35, v20 /*v276*/
	s_and_saveexec_b32 s0, vcc_lo
	s_set_vgpr_msb 0                        ;  msbs: dst=0 src0=0 src1=0 src2=0
	s_cbranch_execz .LBB288_4
; %bb.3:
	flat_load_u8 v23, v[18:19]
	v_dual_mov_b32 v15, 0x80 :: v_dual_mov_b32 v30, 0x80
	v_dual_mov_b32 v22, 0x80 :: v_dual_mov_b32 v25, 0x80
	v_dual_mov_b32 v32, 0x80 :: v_dual_mov_b32 v33, 0x80
	v_dual_mov_b32 v20, 0x80 :: v_dual_mov_b32 v29, 0x80
	v_dual_mov_b32 v28, 0x80 :: v_dual_mov_b32 v21, 0x80
	v_dual_mov_b32 v24, 0x80 :: v_dual_mov_b32 v31, 0x80
	v_dual_mov_b32 v17, 0x80 :: v_dual_mov_b32 v26, 0x80
	v_dual_mov_b32 v27, 0x80 :: v_dual_mov_b32 v34, 0x80
.LBB288_4:
	s_wait_xcnt 0x0
	s_or_b32 exec_lo, exec_lo, s0
	v_add_nc_u32_e32 v36, 32, v35
	s_set_vgpr_msb 4                        ;  msbs: dst=0 src0=0 src1=1 src2=0
	s_delay_alu instid0(VALU_DEP_1)
	v_cmp_lt_u32_e64 s0, v36, v20 /*v276*/
	s_and_saveexec_b32 s1, s0
	s_set_vgpr_msb 0                        ;  msbs: dst=0 src0=0 src1=0 src2=0
	s_cbranch_execz .LBB288_6
; %bb.5:
	flat_load_u8 v30, v[18:19] offset:32
.LBB288_6:
	s_wait_xcnt 0x0
	s_or_b32 exec_lo, exec_lo, s1
	v_add_nc_u32_e32 v36, 64, v35
	s_set_vgpr_msb 4                        ;  msbs: dst=0 src0=0 src1=1 src2=0
	s_delay_alu instid0(VALU_DEP_1)
	v_cmp_lt_u32_e64 s1, v36, v20 /*v276*/
	s_and_saveexec_b32 s2, s1
	s_set_vgpr_msb 0                        ;  msbs: dst=0 src0=0 src1=0 src2=0
	s_cbranch_execz .LBB288_8
; %bb.7:
	flat_load_u8 v22, v[18:19] offset:64
.LBB288_8:
	s_wait_xcnt 0x0
	s_or_b32 exec_lo, exec_lo, s2
	v_add_nc_u32_e32 v36, 0x60, v35
	s_set_vgpr_msb 4                        ;  msbs: dst=0 src0=0 src1=1 src2=0
	s_delay_alu instid0(VALU_DEP_1)
	v_cmp_lt_u32_e64 s2, v36, v20 /*v276*/
	s_and_saveexec_b32 s3, s2
	s_set_vgpr_msb 0                        ;  msbs: dst=0 src0=0 src1=0 src2=0
	s_cbranch_execz .LBB288_10
; %bb.9:
	flat_load_u8 v32, v[18:19] offset:96
.LBB288_10:
	s_wait_xcnt 0x0
	s_or_b32 exec_lo, exec_lo, s3
	v_add_nc_u32_e32 v36, 0x80, v35
	s_set_vgpr_msb 4                        ;  msbs: dst=0 src0=0 src1=1 src2=0
	s_delay_alu instid0(VALU_DEP_1)
	v_cmp_lt_u32_e64 s3, v36, v20 /*v276*/
	s_and_saveexec_b32 s4, s3
	s_set_vgpr_msb 0                        ;  msbs: dst=0 src0=0 src1=0 src2=0
	s_cbranch_execz .LBB288_12
; %bb.11:
	flat_load_u8 v20, v[18:19] offset:128
.LBB288_12:
	s_wait_xcnt 0x0
	s_or_b32 exec_lo, exec_lo, s4
	v_add_nc_u32_e32 v36, 0xa0, v35
	s_set_vgpr_msb 4                        ;  msbs: dst=0 src0=0 src1=1 src2=0
	s_delay_alu instid0(VALU_DEP_1)
	v_cmp_lt_u32_e64 s4, v36, v20 /*v276*/
	s_and_saveexec_b32 s5, s4
	s_set_vgpr_msb 0                        ;  msbs: dst=0 src0=0 src1=0 src2=0
	s_cbranch_execz .LBB288_14
; %bb.13:
	flat_load_u8 v28, v[18:19] offset:160
.LBB288_14:
	s_wait_xcnt 0x0
	s_or_b32 exec_lo, exec_lo, s5
	v_add_nc_u32_e32 v36, 0xc0, v35
	s_set_vgpr_msb 4                        ;  msbs: dst=0 src0=0 src1=1 src2=0
	s_delay_alu instid0(VALU_DEP_1)
	v_cmp_lt_u32_e64 s5, v36, v20 /*v276*/
	s_and_saveexec_b32 s6, s5
	s_set_vgpr_msb 0                        ;  msbs: dst=0 src0=0 src1=0 src2=0
	s_cbranch_execz .LBB288_16
; %bb.15:
	flat_load_u8 v25, v[18:19] offset:192
.LBB288_16:
	s_wait_xcnt 0x0
	s_or_b32 exec_lo, exec_lo, s6
	v_add_nc_u32_e32 v36, 0xe0, v35
	s_set_vgpr_msb 4                        ;  msbs: dst=0 src0=0 src1=1 src2=0
	s_delay_alu instid0(VALU_DEP_1)
	v_cmp_lt_u32_e64 s6, v36, v20 /*v276*/
	s_and_saveexec_b32 s7, s6
	s_set_vgpr_msb 0                        ;  msbs: dst=0 src0=0 src1=0 src2=0
	s_cbranch_execz .LBB288_18
; %bb.17:
	flat_load_u8 v33, v[18:19] offset:224
.LBB288_18:
	s_wait_xcnt 0x0
	s_or_b32 exec_lo, exec_lo, s7
	v_add_nc_u32_e32 v36, 0x100, v35
	s_set_vgpr_msb 4                        ;  msbs: dst=0 src0=0 src1=1 src2=0
	s_delay_alu instid0(VALU_DEP_1)
	v_cmp_lt_u32_e64 s7, v36, v20 /*v276*/
	s_and_saveexec_b32 s10, s7
	s_set_vgpr_msb 0                        ;  msbs: dst=0 src0=0 src1=0 src2=0
	s_cbranch_execz .LBB288_20
; %bb.19:
	flat_load_u8 v24, v[18:19] offset:256
.LBB288_20:
	s_wait_xcnt 0x0
	s_or_b32 exec_lo, exec_lo, s10
	v_add_nc_u32_e32 v36, 0x120, v35
	s_set_vgpr_msb 4                        ;  msbs: dst=0 src0=0 src1=1 src2=0
	s_delay_alu instid0(VALU_DEP_1)
	v_cmp_lt_u32_e64 s10, v36, v20 /*v276*/
	s_and_saveexec_b32 s11, s10
	s_set_vgpr_msb 0                        ;  msbs: dst=0 src0=0 src1=0 src2=0
	s_cbranch_execz .LBB288_22
; %bb.21:
	flat_load_u8 v29, v[18:19] offset:288
.LBB288_22:
	s_wait_xcnt 0x0
	s_or_b32 exec_lo, exec_lo, s11
	v_add_nc_u32_e32 v36, 0x140, v35
	s_set_vgpr_msb 4                        ;  msbs: dst=0 src0=0 src1=1 src2=0
	s_delay_alu instid0(VALU_DEP_1)
	v_cmp_lt_u32_e64 s11, v36, v20 /*v276*/
	s_and_saveexec_b32 s12, s11
	s_set_vgpr_msb 0                        ;  msbs: dst=0 src0=0 src1=0 src2=0
	s_cbranch_execz .LBB288_24
; %bb.23:
	flat_load_u8 v21, v[18:19] offset:320
.LBB288_24:
	s_wait_xcnt 0x0
	s_or_b32 exec_lo, exec_lo, s12
	v_add_nc_u32_e32 v36, 0x160, v35
	s_set_vgpr_msb 4                        ;  msbs: dst=0 src0=0 src1=1 src2=0
	s_delay_alu instid0(VALU_DEP_1)
	v_cmp_lt_u32_e64 s12, v36, v20 /*v276*/
	s_and_saveexec_b32 s13, s12
	s_set_vgpr_msb 0                        ;  msbs: dst=0 src0=0 src1=0 src2=0
	s_cbranch_execz .LBB288_26
; %bb.25:
	flat_load_u8 v31, v[18:19] offset:352
.LBB288_26:
	s_wait_xcnt 0x0
	s_or_b32 exec_lo, exec_lo, s13
	v_add_nc_u32_e32 v36, 0x180, v35
	s_set_vgpr_msb 4                        ;  msbs: dst=0 src0=0 src1=1 src2=0
	s_delay_alu instid0(VALU_DEP_1)
	v_cmp_lt_u32_e64 s13, v36, v20 /*v276*/
	s_and_saveexec_b32 s14, s13
	s_set_vgpr_msb 0                        ;  msbs: dst=0 src0=0 src1=0 src2=0
	s_cbranch_execz .LBB288_28
; %bb.27:
	flat_load_u8 v17, v[18:19] offset:384
.LBB288_28:
	s_wait_xcnt 0x0
	s_or_b32 exec_lo, exec_lo, s14
	v_add_nc_u32_e32 v36, 0x1a0, v35
	s_set_vgpr_msb 4                        ;  msbs: dst=0 src0=0 src1=1 src2=0
	s_delay_alu instid0(VALU_DEP_1)
	v_cmp_lt_u32_e64 s14, v36, v20 /*v276*/
	s_and_saveexec_b32 s15, s14
	s_set_vgpr_msb 0                        ;  msbs: dst=0 src0=0 src1=0 src2=0
	s_cbranch_execz .LBB288_30
; %bb.29:
	flat_load_u8 v27, v[18:19] offset:416
.LBB288_30:
	s_wait_xcnt 0x0
	s_or_b32 exec_lo, exec_lo, s15
	v_add_nc_u32_e32 v36, 0x1c0, v35
	s_set_vgpr_msb 4                        ;  msbs: dst=0 src0=0 src1=1 src2=0
	s_delay_alu instid0(VALU_DEP_1)
	v_cmp_lt_u32_e64 s15, v36, v20 /*v276*/
	s_and_saveexec_b32 s16, s15
	s_set_vgpr_msb 0                        ;  msbs: dst=0 src0=0 src1=0 src2=0
	s_cbranch_execz .LBB288_32
; %bb.31:
	flat_load_u8 v26, v[18:19] offset:448
.LBB288_32:
	s_wait_xcnt 0x0
	s_or_b32 exec_lo, exec_lo, s16
	v_add_nc_u32_e32 v36, 0x1e0, v35
	s_set_vgpr_msb 4                        ;  msbs: dst=0 src0=0 src1=1 src2=0
	s_delay_alu instid0(VALU_DEP_1)
	v_cmp_lt_u32_e64 s16, v36, v20 /*v276*/
	s_and_saveexec_b32 s17, s16
	s_set_vgpr_msb 0                        ;  msbs: dst=0 src0=0 src1=0 src2=0
	s_cbranch_execz .LBB288_34
; %bb.33:
	flat_load_u8 v34, v[18:19] offset:480
.LBB288_34:
	s_wait_xcnt 0x0
	s_or_b32 exec_lo, exec_lo, s17
	v_add_nc_u32_e32 v35, 0x200, v35
	s_set_vgpr_msb 4                        ;  msbs: dst=0 src0=0 src1=1 src2=0
	s_delay_alu instid0(VALU_DEP_1)
	v_cmp_lt_u32_e64 s17, v35, v20 /*v276*/
	s_and_saveexec_b32 s18, s17
	s_set_vgpr_msb 0                        ;  msbs: dst=0 src0=0 src1=0 src2=0
	s_cbranch_execz .LBB288_36
; %bb.35:
	flat_load_u8 v15, v[18:19] offset:512
.LBB288_36:
	s_wait_xcnt 0x0
	s_or_b32 exec_lo, exec_lo, s18
	v_lshl_add_u64 v[4:5], v[8:9], 3, v[4:5]
	v_dual_mov_b32 v19, 0 :: v_dual_lshlrev_b32 v18, 3, v16
                                        ; implicit-def: $vgpr84_vgpr85
	s_delay_alu instid0(VALU_DEP_1) | instskip(NEXT) | instid1(VALU_DEP_1)
	v_add_nc_u64_e32 v[4:5], v[4:5], v[18:19]
	v_lshl_add_u64 v[0:1], v[0:1], 3, v[4:5]
	s_and_saveexec_b32 s18, vcc_lo
	s_cbranch_execnz .LBB288_204
; %bb.37:
	s_or_b32 exec_lo, exec_lo, s18
                                        ; implicit-def: $vgpr86_vgpr87
	s_and_saveexec_b32 s18, s0
	s_cbranch_execnz .LBB288_205
.LBB288_38:
	s_or_b32 exec_lo, exec_lo, s18
                                        ; implicit-def: $vgpr96_vgpr97
	s_and_saveexec_b32 s0, s1
	s_cbranch_execnz .LBB288_206
.LBB288_39:
	s_or_b32 exec_lo, exec_lo, s0
                                        ; implicit-def: $vgpr98_vgpr99
	s_and_saveexec_b32 s0, s2
	s_cbranch_execnz .LBB288_207
.LBB288_40:
	s_or_b32 exec_lo, exec_lo, s0
                                        ; implicit-def: $vgpr100_vgpr101
	s_and_saveexec_b32 s0, s3
	s_cbranch_execnz .LBB288_208
.LBB288_41:
	s_or_b32 exec_lo, exec_lo, s0
                                        ; implicit-def: $vgpr102_vgpr103
	s_and_saveexec_b32 s0, s4
	s_cbranch_execnz .LBB288_209
.LBB288_42:
	s_or_b32 exec_lo, exec_lo, s0
                                        ; implicit-def: $vgpr112_vgpr113
	s_and_saveexec_b32 s0, s5
	s_cbranch_execnz .LBB288_210
.LBB288_43:
	s_or_b32 exec_lo, exec_lo, s0
                                        ; implicit-def: $vgpr114_vgpr115
	s_and_saveexec_b32 s0, s6
	s_cbranch_execnz .LBB288_211
.LBB288_44:
	s_or_b32 exec_lo, exec_lo, s0
                                        ; implicit-def: $vgpr116_vgpr117
	s_and_saveexec_b32 s0, s7
	s_cbranch_execnz .LBB288_212
.LBB288_45:
	s_or_b32 exec_lo, exec_lo, s0
                                        ; implicit-def: $vgpr130_vgpr131
	s_and_saveexec_b32 s0, s10
	s_cbranch_execnz .LBB288_213
.LBB288_46:
	s_or_b32 exec_lo, exec_lo, s0
                                        ; implicit-def: $vgpr132_vgpr133
	s_and_saveexec_b32 s0, s11
	s_cbranch_execnz .LBB288_214
.LBB288_47:
	s_or_b32 exec_lo, exec_lo, s0
                                        ; implicit-def: $vgpr134_vgpr135
	s_and_saveexec_b32 s0, s12
	s_cbranch_execnz .LBB288_215
.LBB288_48:
	s_or_b32 exec_lo, exec_lo, s0
                                        ; implicit-def: $vgpr118_vgpr119
	s_and_saveexec_b32 s0, s13
	s_cbranch_execnz .LBB288_216
.LBB288_49:
	s_or_b32 exec_lo, exec_lo, s0
                                        ; implicit-def: $vgpr128_vgpr129
	s_and_saveexec_b32 s0, s14
	s_cbranch_execnz .LBB288_217
.LBB288_50:
	s_or_b32 exec_lo, exec_lo, s0
                                        ; implicit-def: $vgpr144_vgpr145
	s_and_saveexec_b32 s0, s15
	s_cbranch_execnz .LBB288_218
.LBB288_51:
	s_or_b32 exec_lo, exec_lo, s0
                                        ; implicit-def: $vgpr146_vgpr147
	s_and_saveexec_b32 s0, s16
	s_cbranch_execnz .LBB288_219
.LBB288_52:
	s_or_b32 exec_lo, exec_lo, s0
                                        ; implicit-def: $vgpr148_vgpr149
	s_and_saveexec_b32 s0, s17
	s_cbranch_execz .LBB288_54
.LBB288_53:
	flat_load_b64 v[148:149], v[0:1] offset:4096
.LBB288_54:
	s_wait_xcnt 0x0
	s_or_b32 exec_lo, exec_lo, s0
	s_wait_loadcnt_dscnt 0x0
	v_xor_b32_e32 v0, 0x7f, v30
	v_xor_b32_e32 v1, 0x7f, v32
	v_xor_b32_e32 v4, 0x7f, v28
	v_xor_b32_e32 v18, 0x7f, v23
	v_xor_b32_e32 v163, 0x7f, v15
	v_lshlrev_b16 v19, 8, v0
	v_lshlrev_b16 v0, 8, v33
	;; [unrolled: 1-line block ×5, first 2 shown]
	s_get_pc_i64 s[0:1]
	s_add_nc_u64 s[0:1], s[0:1], _ZN7rocprim17ROCPRIM_400000_NS16block_radix_sortIaLj256ELj17ElLj1ELj1ELj8ELNS0_26block_radix_rank_algorithmE2ELNS0_18block_padding_hintE2ELNS0_4arch9wavefront6targetE0EE19radix_bits_per_passE@rel64+4
	v_xor_b32_e32 v28, 0x7f00, v0
	v_xor_b32_e32 v0, 0x7f, v29
	;; [unrolled: 1-line block ×3, first 2 shown]
	s_load_b32 s25, s[0:1], 0x0
	v_dual_lshrrev_b32 v34, 3, v14 :: v_dual_bitop2_b32 v5, 16, v16 bitop3:0x40
	s_delay_alu instid0(VALU_DEP_3) | instskip(SKIP_2) | instid1(VALU_DEP_4)
	v_lshlrev_b16 v30, 8, v0
	v_xor_b32_e32 v0, 0x7f, v27
	v_xor_b32_e32 v20, 0x7f, v20
	v_cmp_eq_u32_e64 s4, 0, v5
	v_and_b32_e32 v34, 0x7c, v34
	v_xor_b32_e32 v24, 0x7f, v24
	v_lshlrev_b16 v0, 8, v0
	v_lshrrev_b32_e32 v29, 8, v1
	v_xor_b32_e32 v1, 0x7f, v31
	v_xor_b32_e32 v31, 0x7f00, v4
	v_and_b32_e32 v4, 15, v16
	v_lshrrev_b32_e32 v33, 8, v0
	v_and_b32_e32 v0, 0x3e0, v14
	v_lshlrev_b16 v27, 8, v1
	v_lshl_add_u32 v1, v14, 5, v12
	v_xor_b32_e32 v26, 0x7f, v26
	v_xor_b32_e32 v22, 0x7f, v22
	;; [unrolled: 1-line block ×4, first 2 shown]
	v_dual_add_nc_u32 v15, 32, v1 :: v_dual_add_nc_u32 v39, 36, v1
	s_set_vgpr_msb 64                       ;  msbs: dst=1 src0=0 src1=0 src2=0
	v_dual_add_nc_u32 v21 /*v277*/, 40, v1 :: v_dual_add_nc_u32 v22 /*v278*/, 44, v1
	v_dual_add_nc_u32 v23 /*v279*/, 48, v1 :: v_dual_add_nc_u32 v24 /*v280*/, 52, v1
	;; [unrolled: 1-line block ×3, first 2 shown]
	s_set_vgpr_msb 0                        ;  msbs: dst=0 src0=0 src1=0 src2=0
	v_min_u32_e32 v1, 0xe0, v0
	v_mul_u32_u24_e32 v0, 17, v0
	v_perm_b32 v21, v21, v27, 0xc0c0104
	v_cmp_gt_u32_e64 s6, 8, v14
	v_cmp_lt_u32_e64 s7, 31, v14
	v_dual_mov_b32 v1, 0 :: v_dual_bitop2_b32 v17, 31, v1 bitop3:0x54
	v_cmp_eq_u32_e32 vcc_lo, 0, v4
	s_wait_xcnt 0x0
	v_cmp_lt_u32_e64 s0, 1, v4
	v_cmp_lt_u32_e64 s1, 3, v4
	;; [unrolled: 1-line block ×3, first 2 shown]
	v_sub_co_u32 v4, s3, v16, 1
	v_or_b32_e32 v0, v16, v0
	v_cmp_eq_u32_e64 s10, 0, v14
	s_set_vgpr_msb 64                       ;  msbs: dst=1 src0=0 src1=0 src2=0
	v_sub_nc_u32_e32 v49 /*v305*/, v11, v10
	v_cmp_gt_i32_e64 s5, 0, v4
	s_mov_b32 s26, 0
	s_wait_storecnt 0x0
	s_barrier_signal -1
	s_barrier_wait -1
	s_set_vgpr_msb 0                        ;  msbs: dst=0 src0=0 src1=0 src2=0
	v_cndmask_b32_e64 v35, v4, v16, s5
	v_add_nc_u64_e32 v[4:5], v[12:13], v[0:1]
	s_set_vgpr_msb 64                       ;  msbs: dst=1 src0=0 src1=0 src2=0
	v_lshrrev_b32_e32 v27 /*v283*/, 5, v38
	v_cmp_eq_u32_e64 s5, v14, v17
	v_lshlrev_b32_e32 v28 /*v284*/, 2, v35
	s_set_vgpr_msb 0                        ;  msbs: dst=0 src0=0 src1=0 src2=0
	v_and_b32_e32 v35, 7, v16
	v_mad_nc_u64_u32 v[16:17], v0, 7, v[4:5]
	v_lshrrev_b32_e32 v0, 8, v19
	v_lshlrev_b16 v19, 8, v29
	v_lshrrev_b32_e32 v29, 8, v30
	v_add_nc_u32_e32 v5, v12, v34
	v_lshl_add_u32 v17, v14, 2, v12
	v_cmp_eq_u32_e64 s11, 0, v35
	v_bitop3_b16 v19, v20, v19, 0xff bitop3:0xec
	v_lshlrev_b16 v20, 8, v29
	v_cmp_lt_u32_e64 s12, 1, v35
	v_cmp_lt_u32_e64 s13, 3, v35
	s_set_vgpr_msb 64                       ;  msbs: dst=1 src0=0 src1=0 src2=0
	v_add_nc_u32_e32 v29 /*v285*/, 0x1a0, v4
	s_set_vgpr_msb 0                        ;  msbs: dst=0 src0=0 src1=0 src2=0
	v_and_b32_e32 v19, 0xffff, v19
	v_bitop3_b16 v20, v24, v20, 0xff bitop3:0xec
	v_bitop3_b16 v24, v26, v31, 0xff bitop3:0xec
	s_set_vgpr_msb 64                       ;  msbs: dst=1 src0=0 src1=0 src2=0
	v_add_nc_u32_e32 v30 /*v286*/, 0x1c0, v4
	v_add_nc_u32_e32 v31 /*v287*/, 0x1e0, v4
	;; [unrolled: 1-line block ×3, first 2 shown]
	s_set_vgpr_msb 0                        ;  msbs: dst=0 src0=0 src1=0 src2=0
	v_and_b32_e32 v20, 0xffff, v20
	v_lshlrev_b32_e32 v24, 16, v24
	v_lshlrev_b16 v0, 8, v0
	s_set_vgpr_msb 64                       ;  msbs: dst=1 src0=0 src1=0 src2=0
	v_add_nc_u32_e32 v33 /*v289*/, 0x100, v16
	v_add_nc_u32_e32 v34 /*v290*/, 0x200, v16
	s_set_vgpr_msb 0                        ;  msbs: dst=0 src0=0 src1=0 src2=0
	v_lshl_or_b32 v177, v21, 16, v20
	v_mov_b64_e32 v[20:21], 0
	v_bitop3_b16 v0, v18, v0, 0xff bitop3:0xec
	v_perm_b32 v18, v22, v23, 0xc0c0104
	v_lshlrev_b16 v22, 8, v33
	v_bitop3_b16 v23, v25, v28, 0xff bitop3:0xec
	s_set_vgpr_msb 64                       ;  msbs: dst=1 src0=0 src1=0 src2=0
	v_add_nc_u32_e32 v35 /*v291*/, 0x300, v16
	s_set_vgpr_msb 0                        ;  msbs: dst=0 src0=0 src1=0 src2=0
	v_and_b32_e32 v0, 0xffff, v0
	s_set_vgpr_msb 64                       ;  msbs: dst=1 src0=0 src1=0 src2=0
	v_add_nc_u32_e32 v36 /*v292*/, 0x400, v16
	s_set_vgpr_msb 0                        ;  msbs: dst=0 src0=0 src1=0 src2=0
	v_bitop3_b16 v22, v32, v22, 0xff bitop3:0xec
	s_set_vgpr_msb 64                       ;  msbs: dst=1 src0=0 src1=0 src2=0
	v_add_nc_u32_e32 v37 /*v293*/, 0x500, v16
	v_add_nc_u32_e32 v38 /*v294*/, 0x600, v16
	;; [unrolled: 1-line block ×4, first 2 shown]
	s_set_vgpr_msb 0                        ;  msbs: dst=0 src0=0 src1=0 src2=0
	v_and_b32_e32 v22, 0xffff, v22
	v_lshlrev_b32_e32 v23, 16, v23
	s_set_vgpr_msb 64                       ;  msbs: dst=1 src0=0 src1=0 src2=0
	v_add_nc_u32_e32 v41 /*v297*/, 0x900, v16
	v_add_nc_u32_e32 v42 /*v298*/, 0xa00, v16
	;; [unrolled: 1-line block ×8, first 2 shown]
	s_set_vgpr_msb 0                        ;  msbs: dst=0 src0=0 src1=0 src2=0
	v_lshl_or_b32 v18, v18, 16, v0
	v_or_b32_e32 v179, v22, v24
	v_or_b32_e32 v167, v19, v23
	s_branch .LBB288_56
.LBB288_55:                             ;   in Loop: Header=BB288_56 Depth=1
	s_or_b32 exec_lo, exec_lo, s15
	s_delay_alu instid0(SALU_CYCLE_1) | instskip(NEXT) | instid1(SALU_CYCLE_1)
	s_and_b32 s14, exec_lo, s16
	s_or_b32 s26, s14, s26
	s_delay_alu instid0(SALU_CYCLE_1)
	s_and_not1_b32 exec_lo, exec_lo, s26
	s_cbranch_execz .LBB288_98
.LBB288_56:                             ; =>This Inner Loop Header: Depth=1
	s_wait_kmcnt 0x0
	s_set_vgpr_msb 4                        ;  msbs: dst=0 src0=0 src1=1 src2=0
	v_min_u32_e32 v0, s25, v49 /*v305*/
	s_set_vgpr_msb 0                        ;  msbs: dst=0 src0=0 src1=0 src2=0
	v_and_b32_e32 v22, 0xff, v18
	v_mov_b32_e32 v19, v167
	v_mov_b64_e32 v[32:33], v[84:85]
	v_mov_b64_e32 v[52:53], v[86:87]
	v_lshlrev_b32_e64 v150, v0, -1
	v_lshrrev_b32_e32 v0, v10, v22
	v_mov_b64_e32 v[50:51], v[96:97]
	v_mov_b64_e32 v[24:25], v[98:99]
	;; [unrolled: 1-line block ×4, first 2 shown]
	v_bitop3_b32 v66, v0, v150, v0 bitop3:0x30
	v_bitop3_b32 v0, v0, 1, v150 bitop3:0x40
	v_mov_b64_e32 v[48:49], v[112:113]
	v_mov_b64_e32 v[36:37], v[114:115]
	;; [unrolled: 1-line block ×3, first 2 shown]
	v_dual_lshlrev_b32 v64, 30, v66 :: v_dual_lshlrev_b32 v68, 29, v66
	v_add_co_u32 v0, s14, v0, -1
	s_delay_alu instid0(VALU_DEP_1) | instskip(NEXT) | instid1(VALU_DEP_3)
	v_cndmask_b32_e64 v65, 0, 1, s14
	v_not_b32_e32 v67, v64
	v_cmp_gt_i32_e64 s15, 0, v64
	v_not_b32_e32 v70, v68
	v_mov_b64_e32 v[28:29], v[130:131]
	v_cmp_ne_u32_e64 s14, 0, v65
	v_dual_ashrrev_i32 v67, 31, v67 :: v_dual_lshlrev_b32 v69, 28, v66
	v_mov_b64_e32 v[34:35], v[132:133]
	v_mov_b64_e32 v[64:65], v[134:135]
	s_delay_alu instid0(VALU_DEP_4) | instskip(NEXT) | instid1(VALU_DEP_4)
	v_xor_b32_e32 v0, s14, v0
	v_xor_b32_e32 v67, s15, v67
	v_not_b32_e32 v71, v69
	v_cmp_gt_i32_e64 s14, 0, v68
	v_ashrrev_i32_e32 v68, 31, v70
	v_lshlrev_b32_e32 v70, 27, v66
	v_cmp_gt_i32_e64 s15, 0, v69
	v_ashrrev_i32_e32 v69, 31, v71
	v_bitop3_b32 v0, v0, v67, exec_lo bitop3:0x80
	v_lshlrev_b32_e32 v67, 26, v66
	v_not_b32_e32 v71, v70
	v_xor_b32_e32 v68, s14, v68
	v_dual_lshlrev_b32 v80, 25, v66 :: v_dual_bitop2_b32 v69, s15, v69 bitop3:0x14
	v_cmp_gt_i32_e64 s14, 0, v70
	v_not_b32_e32 v70, v67
	v_ashrrev_i32_e32 v71, 31, v71
	v_cmp_gt_i32_e64 s15, 0, v67
	v_lshlrev_b32_e32 v67, 24, v66
	v_bitop3_b32 v0, v0, v69, v68 bitop3:0x80
	v_not_b32_e32 v68, v80
	v_dual_ashrrev_i32 v70, 31, v70 :: v_dual_bitop2_b32 v69, s14, v71 bitop3:0x14
	s_delay_alu instid0(VALU_DEP_4) | instskip(SKIP_1) | instid1(VALU_DEP_3)
	v_not_b32_e32 v71, v67
	v_cmp_gt_i32_e64 s14, 0, v80
	v_dual_ashrrev_i32 v68, 31, v68 :: v_dual_bitop2_b32 v70, s15, v70 bitop3:0x14
	v_cmp_gt_i32_e64 s15, 0, v67
	s_delay_alu instid0(VALU_DEP_4) | instskip(NEXT) | instid1(VALU_DEP_3)
	v_dual_ashrrev_i32 v67, 31, v71 :: v_dual_lshlrev_b32 v71, 3, v66
	v_xor_b32_e32 v81, s14, v68
	s_delay_alu instid0(VALU_DEP_4) | instskip(SKIP_1) | instid1(VALU_DEP_4)
	v_bitop3_b32 v80, v0, v70, v69 bitop3:0x80
	v_mov_b64_e32 v[82:83], v[118:119]
	v_xor_b32_e32 v84, s15, v67
	s_set_vgpr_msb 4                        ;  msbs: dst=0 src0=0 src1=1 src2=0
	v_add_lshl_u32 v0, v71, v27 /*v283*/, 2
	v_mov_b64_e32 v[66:67], v[128:129]
	v_mov_b64_e32 v[70:71], v[144:145]
	;; [unrolled: 1-line block ×3, first 2 shown]
	s_set_vgpr_msb 0                        ;  msbs: dst=0 src0=0 src1=0 src2=0
	v_bitop3_b32 v86, v80, v84, v81 bitop3:0x80
	v_add_nc_u64_e32 v[84:85], v[12:13], v[0:1]
	v_mov_b64_e32 v[80:81], v[148:149]
	s_set_vgpr_msb 64                       ;  msbs: dst=1 src0=0 src1=0 src2=0
	v_mov_b32_e32 v50 /*v306*/, v163
	s_set_vgpr_msb 0                        ;  msbs: dst=0 src0=0 src1=0 src2=0
	v_dual_mov_b32 v55, v179 :: v_dual_mov_b32 v54, v177
	v_mbcnt_lo_u32_b32 v0, v86, 0
	v_cmp_ne_u32_e64 s15, 0, v86
	v_add_nc_u64_e32 v[84:85], 32, v[84:85]
	ds_store_b64 v15, v[20:21]
	s_set_vgpr_msb 1                        ;  msbs: dst=0 src0=1 src1=0 src2=0
	ds_store_b64 v21 /*v277*/, v[20:21]
	ds_store_b64 v23 /*v279*/, v[20:21]
	;; [unrolled: 1-line block ×3, first 2 shown]
	v_cmp_eq_u32_e64 s14, 0, v0
	s_wait_dscnt 0x0
	s_barrier_signal -1
	s_barrier_wait -1
	s_and_b32 s15, s15, s14
	; wave barrier
	s_delay_alu instid0(SALU_CYCLE_1)
	s_and_saveexec_b32 s14, s15
; %bb.57:                               ;   in Loop: Header=BB288_56 Depth=1
	s_set_vgpr_msb 0                        ;  msbs: dst=0 src0=0 src1=0 src2=0
	v_bcnt_u32_b32 v85, v86, 0
	ds_store_b32 v84, v85
; %bb.58:                               ;   in Loop: Header=BB288_56 Depth=1
	s_or_b32 exec_lo, exec_lo, s14
	v_bfe_u32 v85, v18, 8, 8
	v_not_b32_e32 v102, v150
	; wave barrier
	s_set_vgpr_msb 4                        ;  msbs: dst=0 src0=0 src1=1 src2=0
	v_and_b32_e32 v114, 0xff, v50 /*v306*/
	s_set_vgpr_msb 0                        ;  msbs: dst=0 src0=0 src1=0 src2=0
	v_lshrrev_b32_e32 v85, v10, v85
	s_delay_alu instid0(VALU_DEP_1) | instskip(NEXT) | instid1(VALU_DEP_1)
	v_and_b32_e32 v86, v85, v102
	v_lshlrev_b32_e32 v97, 30, v86
	v_bitop3_b32 v85, v85, 1, v102 bitop3:0x80
	s_delay_alu instid0(VALU_DEP_2) | instskip(NEXT) | instid1(VALU_DEP_2)
	v_cmp_gt_i32_e64 s15, 0, v97
	v_add_co_u32 v85, s14, v85, -1
	s_delay_alu instid0(VALU_DEP_1) | instskip(NEXT) | instid1(VALU_DEP_1)
	v_cndmask_b32_e64 v96, 0, 1, s14
	v_cmp_ne_u32_e64 s14, 0, v96
	v_not_b32_e32 v96, v97
	s_delay_alu instid0(VALU_DEP_1)
	v_dual_ashrrev_i32 v96, 31, v96 :: v_dual_lshlrev_b32 v98, 29, v86
	v_dual_lshlrev_b32 v99, 28, v86 :: v_dual_lshlrev_b32 v100, 27, v86
	v_lshlrev_b32_e32 v101, 26, v86
	s_set_vgpr_msb 16                       ;  msbs: dst=0 src0=0 src1=0 src2=1
	v_lshl_add_u32 v87, v86, 3, v27 /*v283*/
	v_cmp_gt_i32_e64 s16, 0, v98
	v_not_b32_e32 v97, v98
	v_not_b32_e32 v98, v99
	v_dual_lshlrev_b32 v103, 25, v86 :: v_dual_lshlrev_b32 v86, 24, v86
	v_cmp_gt_i32_e64 s17, 0, v99
	v_cmp_gt_i32_e64 s18, 0, v100
	v_not_b32_e32 v99, v100
	v_dual_ashrrev_i32 v98, 31, v98 :: v_dual_bitop2_b32 v85, s14, v85 bitop3:0x14
	v_dual_ashrrev_i32 v97, 31, v97 :: v_dual_bitop2_b32 v96, s15, v96 bitop3:0x14
	v_not_b32_e32 v100, v101
	v_cmp_gt_i32_e64 s19, 0, v101
	s_delay_alu instid0(VALU_DEP_3)
	v_dual_ashrrev_i32 v99, 31, v99 :: v_dual_bitop2_b32 v97, s16, v97 bitop3:0x14
	v_xor_b32_e32 v98, s17, v98
	v_bitop3_b32 v85, v85, v96, exec_lo bitop3:0x80
	v_ashrrev_i32_e32 v96, 31, v100
	v_not_b32_e32 v100, v103
	v_not_b32_e32 v101, v86
	v_xor_b32_e32 v99, s18, v99
	s_set_vgpr_msb 0                        ;  msbs: dst=0 src0=0 src1=0 src2=0
	v_bitop3_b32 v85, v85, v98, v97 bitop3:0x80
	v_xor_b32_e32 v96, s19, v96
	v_cmp_gt_i32_e64 s14, 0, v103
	v_ashrrev_i32_e32 v97, 31, v100
	v_cmp_gt_i32_e64 s15, 0, v86
	v_ashrrev_i32_e32 v86, 31, v101
	v_lshl_add_u32 v87, v87, 2, v12
	v_bitop3_b32 v96, v85, v96, v99 bitop3:0x80
	v_xor_b32_e32 v97, s14, v97
	s_delay_alu instid0(VALU_DEP_4) | instskip(SKIP_3) | instid1(VALU_DEP_1)
	v_xor_b32_e32 v86, s15, v86
	ds_load_b32 v85, v87 offset:32
	v_add_nc_u32_e32 v87, 32, v87
	; wave barrier
	v_bitop3_b32 v96, v96, v86, v97 bitop3:0x80
	v_mbcnt_lo_u32_b32 v86, v96, 0
	v_cmp_ne_u32_e64 s15, 0, v96
	s_delay_alu instid0(VALU_DEP_2) | instskip(SKIP_1) | instid1(SALU_CYCLE_1)
	v_cmp_eq_u32_e64 s14, 0, v86
	s_and_b32 s15, s15, s14
	s_and_saveexec_b32 s14, s15
	s_cbranch_execz .LBB288_60
; %bb.59:                               ;   in Loop: Header=BB288_56 Depth=1
	s_wait_dscnt 0x0
	v_bcnt_u32_b32 v96, v96, v85
	ds_store_b32 v87, v96
.LBB288_60:                             ;   in Loop: Header=BB288_56 Depth=1
	s_or_b32 exec_lo, exec_lo, s14
	v_bfe_u32 v96, v18, 16, 8
	; wave barrier
	s_delay_alu instid0(VALU_DEP_1) | instskip(NEXT) | instid1(VALU_DEP_1)
	v_lshrrev_b32_e32 v96, v10, v96
	v_and_b32_e32 v97, v96, v102
	s_delay_alu instid0(VALU_DEP_1) | instskip(SKIP_1) | instid1(VALU_DEP_2)
	v_lshlrev_b32_e32 v100, 30, v97
	v_bitop3_b32 v96, v96, 1, v102 bitop3:0x80
	v_cmp_gt_i32_e64 s15, 0, v100
	s_delay_alu instid0(VALU_DEP_2) | instskip(NEXT) | instid1(VALU_DEP_1)
	v_add_co_u32 v96, s14, v96, -1
	v_cndmask_b32_e64 v99, 0, 1, s14
	s_delay_alu instid0(VALU_DEP_1) | instskip(SKIP_1) | instid1(VALU_DEP_1)
	v_cmp_ne_u32_e64 s14, 0, v99
	v_not_b32_e32 v99, v100
	v_dual_ashrrev_i32 v99, 31, v99 :: v_dual_lshlrev_b32 v101, 29, v97
	v_dual_lshlrev_b32 v103, 28, v97 :: v_dual_lshlrev_b32 v112, 27, v97
	v_lshlrev_b32_e32 v113, 26, v97
	s_set_vgpr_msb 16                       ;  msbs: dst=0 src0=0 src1=0 src2=1
	v_lshl_add_u32 v98, v97, 3, v27 /*v283*/
	v_cmp_gt_i32_e64 s16, 0, v101
	v_not_b32_e32 v100, v101
	v_not_b32_e32 v101, v103
	v_dual_lshlrev_b32 v115, 25, v97 :: v_dual_lshlrev_b32 v97, 24, v97
	v_cmp_gt_i32_e64 s17, 0, v103
	v_cmp_gt_i32_e64 s18, 0, v112
	v_not_b32_e32 v103, v112
	v_not_b32_e32 v112, v113
	v_dual_ashrrev_i32 v101, 31, v101 :: v_dual_bitop2_b32 v96, s14, v96 bitop3:0x14
	v_dual_ashrrev_i32 v100, 31, v100 :: v_dual_bitop2_b32 v99, s15, v99 bitop3:0x14
	v_cmp_gt_i32_e64 s19, 0, v113
	s_delay_alu instid0(VALU_DEP_4) | instskip(SKIP_1) | instid1(VALU_DEP_4)
	v_dual_ashrrev_i32 v103, 31, v103 :: v_dual_ashrrev_i32 v112, 31, v112
	v_not_b32_e32 v113, v97
	v_bitop3_b32 v96, v96, v99, exec_lo bitop3:0x80
	v_not_b32_e32 v99, v115
	v_xor_b32_e32 v100, s16, v100
	s_set_vgpr_msb 0                        ;  msbs: dst=0 src0=0 src1=0 src2=0
	v_lshl_add_u32 v98, v98, 2, v12
	v_xor_b32_e32 v101, s17, v101
	v_xor_b32_e32 v103, s18, v103
	;; [unrolled: 1-line block ×3, first 2 shown]
	v_cmp_gt_i32_e64 s14, 0, v115
	v_ashrrev_i32_e32 v99, 31, v99
	v_bitop3_b32 v96, v96, v101, v100 bitop3:0x80
	v_cmp_gt_i32_e64 s15, 0, v97
	s_delay_alu instid0(VALU_DEP_3) | instskip(NEXT) | instid1(VALU_DEP_3)
	v_dual_ashrrev_i32 v97, 31, v113 :: v_dual_bitop2_b32 v99, s14, v99 bitop3:0x14
	v_bitop3_b32 v100, v96, v112, v103 bitop3:0x80
	ds_load_b32 v96, v98 offset:32
	v_dual_add_nc_u32 v98, 32, v98 :: v_dual_bitop2_b32 v97, s15, v97 bitop3:0x14
	; wave barrier
	s_delay_alu instid0(VALU_DEP_1) | instskip(NEXT) | instid1(VALU_DEP_1)
	v_bitop3_b32 v99, v100, v97, v99 bitop3:0x80
	v_mbcnt_lo_u32_b32 v97, v99, 0
	v_cmp_ne_u32_e64 s15, 0, v99
	s_delay_alu instid0(VALU_DEP_2) | instskip(SKIP_1) | instid1(SALU_CYCLE_1)
	v_cmp_eq_u32_e64 s14, 0, v97
	s_and_b32 s15, s15, s14
	s_and_saveexec_b32 s14, s15
	s_cbranch_execz .LBB288_62
; %bb.61:                               ;   in Loop: Header=BB288_56 Depth=1
	s_wait_dscnt 0x0
	v_bcnt_u32_b32 v99, v99, v96
	ds_store_b32 v98, v99
.LBB288_62:                             ;   in Loop: Header=BB288_56 Depth=1
	s_or_b32 exec_lo, exec_lo, s14
	v_alignbit_b32 v99, v19, v18, 24
	; wave barrier
	s_delay_alu instid0(VALU_DEP_1) | instskip(NEXT) | instid1(VALU_DEP_1)
	v_and_b32_e32 v99, 0xff, v99
	v_lshrrev_b32_e32 v99, v10, v99
	s_delay_alu instid0(VALU_DEP_1) | instskip(NEXT) | instid1(VALU_DEP_1)
	v_and_b32_e32 v100, v99, v102
	v_lshlrev_b32_e32 v112, 30, v100
	v_bitop3_b32 v99, v99, 1, v102 bitop3:0x80
	s_delay_alu instid0(VALU_DEP_2) | instskip(NEXT) | instid1(VALU_DEP_2)
	v_cmp_gt_i32_e64 s15, 0, v112
	v_add_co_u32 v99, s14, v99, -1
	s_delay_alu instid0(VALU_DEP_1) | instskip(NEXT) | instid1(VALU_DEP_1)
	v_cndmask_b32_e64 v103, 0, 1, s14
	v_cmp_ne_u32_e64 s14, 0, v103
	v_not_b32_e32 v103, v112
	s_delay_alu instid0(VALU_DEP_1)
	v_dual_ashrrev_i32 v103, 31, v103 :: v_dual_lshlrev_b32 v113, 29, v100
	v_dual_lshlrev_b32 v115, 28, v100 :: v_dual_lshlrev_b32 v116, 27, v100
	v_lshlrev_b32_e32 v117, 26, v100
	s_set_vgpr_msb 16                       ;  msbs: dst=0 src0=0 src1=0 src2=1
	v_lshl_add_u32 v101, v100, 3, v27 /*v283*/
	v_cmp_gt_i32_e64 s16, 0, v113
	v_not_b32_e32 v112, v113
	v_not_b32_e32 v113, v115
	v_dual_lshlrev_b32 v118, 25, v100 :: v_dual_lshlrev_b32 v100, 24, v100
	v_cmp_gt_i32_e64 s17, 0, v115
	v_cmp_gt_i32_e64 s18, 0, v116
	v_not_b32_e32 v115, v116
	v_not_b32_e32 v116, v117
	v_dual_ashrrev_i32 v112, 31, v112 :: v_dual_bitop2_b32 v99, s14, v99 bitop3:0x14
	v_dual_ashrrev_i32 v113, 31, v113 :: v_dual_bitop2_b32 v103, s15, v103 bitop3:0x14
	v_cmp_gt_i32_e64 s19, 0, v117
	v_not_b32_e32 v117, v118
	v_cmp_gt_i32_e64 s21, 0, v100
	v_not_b32_e32 v100, v100
	v_dual_ashrrev_i32 v115, 31, v115 :: v_dual_ashrrev_i32 v116, 31, v116
	v_xor_b32_e32 v112, s16, v112
	s_delay_alu instid0(VALU_DEP_3)
	v_dual_ashrrev_i32 v100, 31, v100 :: v_dual_bitop2_b32 v113, s17, v113 bitop3:0x14
	v_bitop3_b32 v99, v99, v103, exec_lo bitop3:0x80
	v_cmp_gt_i32_e64 s20, 0, v118
	v_dual_ashrrev_i32 v103, 31, v117 :: v_dual_bitop2_b32 v116, s19, v116 bitop3:0x14
	s_set_vgpr_msb 0                        ;  msbs: dst=0 src0=0 src1=0 src2=0
	v_lshl_add_u32 v101, v101, 2, v12
	v_xor_b32_e32 v115, s18, v115
	v_bitop3_b32 v99, v99, v113, v112 bitop3:0x80
	v_xor_b32_e32 v103, s20, v103
	v_xor_b32_e32 v100, s21, v100
	s_delay_alu instid0(VALU_DEP_3) | instskip(SKIP_3) | instid1(VALU_DEP_1)
	v_bitop3_b32 v112, v99, v116, v115 bitop3:0x80
	ds_load_b32 v99, v101 offset:32
	v_add_nc_u32_e32 v101, 32, v101
	; wave barrier
	v_bitop3_b32 v103, v112, v100, v103 bitop3:0x80
	v_mbcnt_lo_u32_b32 v100, v103, 0
	v_cmp_ne_u32_e64 s15, 0, v103
	s_delay_alu instid0(VALU_DEP_2) | instskip(SKIP_1) | instid1(SALU_CYCLE_1)
	v_cmp_eq_u32_e64 s14, 0, v100
	s_and_b32 s15, s15, s14
	s_and_saveexec_b32 s14, s15
	s_cbranch_execz .LBB288_64
; %bb.63:                               ;   in Loop: Header=BB288_56 Depth=1
	s_wait_dscnt 0x0
	v_bcnt_u32_b32 v103, v103, v99
	ds_store_b32 v101, v103
.LBB288_64:                             ;   in Loop: Header=BB288_56 Depth=1
	s_or_b32 exec_lo, exec_lo, s14
	v_and_b32_e32 v103, 0xff, v19
	; wave barrier
	s_delay_alu instid0(VALU_DEP_1) | instskip(NEXT) | instid1(VALU_DEP_1)
	v_lshrrev_b32_e32 v103, v10, v103
	v_and_b32_e32 v112, v103, v102
	s_delay_alu instid0(VALU_DEP_1) | instskip(SKIP_1) | instid1(VALU_DEP_2)
	v_lshlrev_b32_e32 v116, 30, v112
	v_bitop3_b32 v103, v103, 1, v102 bitop3:0x80
	v_cmp_gt_i32_e64 s15, 0, v116
	s_delay_alu instid0(VALU_DEP_2) | instskip(NEXT) | instid1(VALU_DEP_1)
	v_add_co_u32 v103, s14, v103, -1
	v_cndmask_b32_e64 v115, 0, 1, s14
	s_delay_alu instid0(VALU_DEP_1) | instskip(SKIP_1) | instid1(VALU_DEP_1)
	v_cmp_ne_u32_e64 s14, 0, v115
	v_not_b32_e32 v115, v116
	v_dual_ashrrev_i32 v115, 31, v115 :: v_dual_lshlrev_b32 v117, 29, v112
	v_dual_lshlrev_b32 v118, 28, v112 :: v_dual_lshlrev_b32 v119, 27, v112
	v_lshlrev_b32_e32 v128, 26, v112
	s_set_vgpr_msb 16                       ;  msbs: dst=0 src0=0 src1=0 src2=1
	v_lshl_add_u32 v113, v112, 3, v27 /*v283*/
	v_cmp_gt_i32_e64 s16, 0, v117
	v_not_b32_e32 v116, v117
	v_not_b32_e32 v117, v118
	v_dual_lshlrev_b32 v129, 25, v112 :: v_dual_lshlrev_b32 v112, 24, v112
	v_cmp_gt_i32_e64 s17, 0, v118
	v_cmp_gt_i32_e64 s18, 0, v119
	v_not_b32_e32 v118, v119
	v_not_b32_e32 v119, v128
	v_dual_ashrrev_i32 v116, 31, v116 :: v_dual_bitop2_b32 v103, s14, v103 bitop3:0x14
	v_dual_ashrrev_i32 v117, 31, v117 :: v_dual_bitop2_b32 v115, s15, v115 bitop3:0x14
	v_cmp_gt_i32_e64 s19, 0, v128
	s_delay_alu instid0(VALU_DEP_4) | instskip(SKIP_1) | instid1(VALU_DEP_4)
	v_dual_ashrrev_i32 v118, 31, v118 :: v_dual_ashrrev_i32 v119, 31, v119
	v_not_b32_e32 v128, v112
	v_xor_b32_e32 v117, s17, v117
	v_bitop3_b32 v103, v103, v115, exec_lo bitop3:0x80
	v_not_b32_e32 v115, v129
	v_xor_b32_e32 v116, s16, v116
	v_xor_b32_e32 v119, s19, v119
	v_cmp_gt_i32_e64 s14, 0, v129
	v_cmp_gt_i32_e64 s15, 0, v112
	v_dual_ashrrev_i32 v115, 31, v115 :: v_dual_ashrrev_i32 v112, 31, v128
	s_set_vgpr_msb 0                        ;  msbs: dst=0 src0=0 src1=0 src2=0
	v_bitop3_b32 v103, v103, v117, v116 bitop3:0x80
	v_lshl_add_u32 v113, v113, 2, v12
	v_xor_b32_e32 v118, s18, v118
	v_xor_b32_e32 v115, s14, v115
	;; [unrolled: 1-line block ×3, first 2 shown]
	s_delay_alu instid0(VALU_DEP_3) | instskip(SKIP_3) | instid1(VALU_DEP_1)
	v_bitop3_b32 v116, v103, v119, v118 bitop3:0x80
	ds_load_b32 v103, v113 offset:32
	v_add_nc_u32_e32 v113, 32, v113
	; wave barrier
	v_bitop3_b32 v115, v116, v112, v115 bitop3:0x80
	v_mbcnt_lo_u32_b32 v112, v115, 0
	v_cmp_ne_u32_e64 s15, 0, v115
	s_delay_alu instid0(VALU_DEP_2) | instskip(SKIP_1) | instid1(SALU_CYCLE_1)
	v_cmp_eq_u32_e64 s14, 0, v112
	s_and_b32 s15, s15, s14
	s_and_saveexec_b32 s14, s15
	s_cbranch_execz .LBB288_66
; %bb.65:                               ;   in Loop: Header=BB288_56 Depth=1
	s_wait_dscnt 0x0
	v_bcnt_u32_b32 v115, v115, v103
	ds_store_b32 v113, v115
.LBB288_66:                             ;   in Loop: Header=BB288_56 Depth=1
	s_or_b32 exec_lo, exec_lo, s14
	v_bfe_u32 v115, v19, 8, 8
	; wave barrier
	s_delay_alu instid0(VALU_DEP_1) | instskip(NEXT) | instid1(VALU_DEP_1)
	v_lshrrev_b32_e32 v115, v10, v115
	v_and_b32_e32 v116, v115, v102
	s_delay_alu instid0(VALU_DEP_1) | instskip(SKIP_2) | instid1(VALU_DEP_3)
	v_lshlrev_b32_e32 v119, 30, v116
	v_bitop3_b32 v115, v115, 1, v102 bitop3:0x80
	v_lshlrev_b32_e32 v128, 29, v116
	v_cmp_gt_i32_e64 s15, 0, v119
	s_delay_alu instid0(VALU_DEP_3) | instskip(NEXT) | instid1(VALU_DEP_1)
	v_add_co_u32 v115, s14, v115, -1
	v_cndmask_b32_e64 v118, 0, 1, s14
	s_delay_alu instid0(VALU_DEP_1) | instskip(SKIP_2) | instid1(VALU_DEP_2)
	v_cmp_ne_u32_e64 s14, 0, v118
	v_not_b32_e32 v118, v119
	v_not_b32_e32 v119, v128
	v_dual_ashrrev_i32 v118, 31, v118 :: v_dual_bitop2_b32 v115, s14, v115 bitop3:0x14
	s_delay_alu instid0(VALU_DEP_2)
	v_dual_ashrrev_i32 v119, 31, v119 :: v_dual_lshlrev_b32 v129, 28, v116
	v_dual_lshlrev_b32 v130, 27, v116 :: v_dual_lshlrev_b32 v131, 26, v116
	v_cmp_gt_i32_e64 s16, 0, v128
	s_set_vgpr_msb 16                       ;  msbs: dst=0 src0=0 src1=0 src2=1
	v_lshl_add_u32 v117, v116, 3, v27 /*v283*/
	v_not_b32_e32 v128, v129
	v_dual_lshlrev_b32 v132, 25, v116 :: v_dual_lshlrev_b32 v116, 24, v116
	v_cmp_gt_i32_e64 s17, 0, v129
	v_cmp_gt_i32_e64 s18, 0, v130
	v_not_b32_e32 v129, v130
	v_not_b32_e32 v130, v131
	v_dual_ashrrev_i32 v128, 31, v128 :: v_dual_bitop2_b32 v118, s15, v118 bitop3:0x14
	v_cmp_gt_i32_e64 s19, 0, v131
	s_delay_alu instid0(VALU_DEP_3) | instskip(SKIP_1) | instid1(VALU_DEP_4)
	v_dual_ashrrev_i32 v129, 31, v129 :: v_dual_ashrrev_i32 v130, 31, v130
	v_not_b32_e32 v131, v116
	v_xor_b32_e32 v128, s17, v128
	v_bitop3_b32 v115, v115, v118, exec_lo bitop3:0x80
	v_not_b32_e32 v118, v132
	v_xor_b32_e32 v119, s16, v119
	v_xor_b32_e32 v129, s18, v129
	v_cmp_gt_i32_e64 s14, 0, v132
	v_cmp_gt_i32_e64 s15, 0, v116
	v_dual_ashrrev_i32 v118, 31, v118 :: v_dual_ashrrev_i32 v116, 31, v131
	s_set_vgpr_msb 0                        ;  msbs: dst=0 src0=0 src1=0 src2=0
	v_bitop3_b32 v115, v115, v128, v119 bitop3:0x80
	v_lshl_add_u32 v117, v117, 2, v12
	v_xor_b32_e32 v130, s19, v130
	v_xor_b32_e32 v118, s14, v118
	;; [unrolled: 1-line block ×3, first 2 shown]
	s_delay_alu instid0(VALU_DEP_3) | instskip(SKIP_3) | instid1(VALU_DEP_1)
	v_bitop3_b32 v119, v115, v130, v129 bitop3:0x80
	ds_load_b32 v115, v117 offset:32
	v_add_nc_u32_e32 v117, 32, v117
	; wave barrier
	v_bitop3_b32 v118, v119, v116, v118 bitop3:0x80
	v_mbcnt_lo_u32_b32 v116, v118, 0
	v_cmp_ne_u32_e64 s15, 0, v118
	s_delay_alu instid0(VALU_DEP_2) | instskip(SKIP_1) | instid1(SALU_CYCLE_1)
	v_cmp_eq_u32_e64 s14, 0, v116
	s_and_b32 s15, s15, s14
	s_and_saveexec_b32 s14, s15
	s_cbranch_execz .LBB288_68
; %bb.67:                               ;   in Loop: Header=BB288_56 Depth=1
	s_wait_dscnt 0x0
	v_bcnt_u32_b32 v118, v118, v115
	ds_store_b32 v117, v118
.LBB288_68:                             ;   in Loop: Header=BB288_56 Depth=1
	s_or_b32 exec_lo, exec_lo, s14
	v_bfe_u32 v118, v19, 16, 8
	; wave barrier
	s_delay_alu instid0(VALU_DEP_1) | instskip(NEXT) | instid1(VALU_DEP_1)
	v_lshrrev_b32_e32 v118, v10, v118
	v_and_b32_e32 v119, v118, v102
	s_delay_alu instid0(VALU_DEP_1) | instskip(SKIP_1) | instid1(VALU_DEP_2)
	v_lshlrev_b32_e32 v130, 30, v119
	v_bitop3_b32 v118, v118, 1, v102 bitop3:0x80
	v_cmp_gt_i32_e64 s15, 0, v130
	s_delay_alu instid0(VALU_DEP_2) | instskip(NEXT) | instid1(VALU_DEP_1)
	v_add_co_u32 v118, s14, v118, -1
	v_cndmask_b32_e64 v129, 0, 1, s14
	s_delay_alu instid0(VALU_DEP_1) | instskip(SKIP_1) | instid1(VALU_DEP_1)
	v_cmp_ne_u32_e64 s14, 0, v129
	v_not_b32_e32 v129, v130
	v_dual_ashrrev_i32 v129, 31, v129 :: v_dual_lshlrev_b32 v131, 29, v119
	v_dual_lshlrev_b32 v132, 28, v119 :: v_dual_lshlrev_b32 v133, 27, v119
	v_lshlrev_b32_e32 v134, 26, v119
	s_set_vgpr_msb 16                       ;  msbs: dst=0 src0=0 src1=0 src2=1
	v_lshl_add_u32 v128, v119, 3, v27 /*v283*/
	v_cmp_gt_i32_e64 s16, 0, v131
	v_not_b32_e32 v130, v131
	v_not_b32_e32 v131, v132
	v_dual_lshlrev_b32 v135, 25, v119 :: v_dual_lshlrev_b32 v119, 24, v119
	v_cmp_gt_i32_e64 s17, 0, v132
	v_cmp_gt_i32_e64 s18, 0, v133
	v_not_b32_e32 v132, v133
	v_not_b32_e32 v133, v134
	v_dual_ashrrev_i32 v131, 31, v131 :: v_dual_bitop2_b32 v118, s14, v118 bitop3:0x14
	v_dual_ashrrev_i32 v130, 31, v130 :: v_dual_bitop2_b32 v129, s15, v129 bitop3:0x14
	v_cmp_gt_i32_e64 s19, 0, v134
	s_delay_alu instid0(VALU_DEP_4)
	v_dual_ashrrev_i32 v132, 31, v132 :: v_dual_ashrrev_i32 v133, 31, v133
	v_not_b32_e32 v134, v119
	v_xor_b32_e32 v131, s17, v131
	v_bitop3_b32 v118, v118, v129, exec_lo bitop3:0x80
	v_not_b32_e32 v129, v135
	v_xor_b32_e32 v130, s16, v130
	v_xor_b32_e32 v132, s18, v132
	v_cmp_gt_i32_e64 s14, 0, v135
	v_cmp_gt_i32_e64 s15, 0, v119
	v_dual_ashrrev_i32 v129, 31, v129 :: v_dual_ashrrev_i32 v119, 31, v134
	s_set_vgpr_msb 0                        ;  msbs: dst=0 src0=0 src1=0 src2=0
	v_bitop3_b32 v118, v118, v131, v130 bitop3:0x80
	v_lshl_add_u32 v128, v128, 2, v12
	v_xor_b32_e32 v133, s19, v133
	v_xor_b32_e32 v129, s14, v129
	;; [unrolled: 1-line block ×3, first 2 shown]
	s_delay_alu instid0(VALU_DEP_3) | instskip(SKIP_3) | instid1(VALU_DEP_1)
	v_bitop3_b32 v130, v118, v133, v132 bitop3:0x80
	ds_load_b32 v118, v128 offset:32
	v_add_nc_u32_e32 v128, 32, v128
	; wave barrier
	v_bitop3_b32 v129, v130, v119, v129 bitop3:0x80
	v_mbcnt_lo_u32_b32 v119, v129, 0
	v_cmp_ne_u32_e64 s15, 0, v129
	s_delay_alu instid0(VALU_DEP_2) | instskip(SKIP_1) | instid1(SALU_CYCLE_1)
	v_cmp_eq_u32_e64 s14, 0, v119
	s_and_b32 s15, s15, s14
	s_and_saveexec_b32 s14, s15
	s_cbranch_execz .LBB288_70
; %bb.69:                               ;   in Loop: Header=BB288_56 Depth=1
	s_wait_dscnt 0x0
	v_bcnt_u32_b32 v129, v129, v118
	ds_store_b32 v128, v129
.LBB288_70:                             ;   in Loop: Header=BB288_56 Depth=1
	s_or_b32 exec_lo, exec_lo, s14
	s_set_vgpr_msb 64                       ;  msbs: dst=1 src0=0 src1=0 src2=0
	v_lshrrev_b32_e32 v51 /*v307*/, 24, v19
	; wave barrier
	s_set_vgpr_msb 4                        ;  msbs: dst=0 src0=0 src1=1 src2=0
	s_delay_alu instid0(VALU_DEP_1) | instskip(SKIP_1) | instid1(VALU_DEP_1)
	v_lshrrev_b32_e32 v129, v10, v51 /*v307*/
	s_set_vgpr_msb 0                        ;  msbs: dst=0 src0=0 src1=0 src2=0
	v_and_b32_e32 v130, v129, v102
	v_bitop3_b32 v129, v129, 1, v102 bitop3:0x80
	s_delay_alu instid0(VALU_DEP_2) | instskip(NEXT) | instid1(VALU_DEP_2)
	v_lshlrev_b32_e32 v133, 30, v130
	v_add_co_u32 v129, s14, v129, -1
	s_delay_alu instid0(VALU_DEP_1) | instskip(NEXT) | instid1(VALU_DEP_1)
	v_cndmask_b32_e64 v132, 0, 1, s14
	v_cmp_ne_u32_e64 s14, 0, v132
	s_delay_alu instid0(VALU_DEP_4) | instskip(NEXT) | instid1(VALU_DEP_1)
	v_not_b32_e32 v132, v133
	v_dual_ashrrev_i32 v132, 31, v132 :: v_dual_bitop2_b32 v129, s14, v129 bitop3:0x14
	v_dual_lshlrev_b32 v134, 29, v130 :: v_dual_lshlrev_b32 v135, 28, v130
	v_dual_lshlrev_b32 v144, 27, v130 :: v_dual_lshlrev_b32 v145, 26, v130
	v_lshlrev_b32_e32 v146, 25, v130
	v_cmp_gt_i32_e64 s15, 0, v133
	s_delay_alu instid0(VALU_DEP_4)
	v_cmp_gt_i32_e64 s16, 0, v134
	v_not_b32_e32 v133, v134
	v_not_b32_e32 v134, v135
	s_set_vgpr_msb 16                       ;  msbs: dst=0 src0=0 src1=0 src2=1
	v_lshl_add_u32 v131, v130, 3, v27 /*v283*/
	v_lshlrev_b32_e32 v130, 24, v130
	v_cmp_gt_i32_e64 s17, 0, v135
	v_cmp_gt_i32_e64 s18, 0, v144
	v_not_b32_e32 v135, v144
	v_not_b32_e32 v144, v145
	v_dual_ashrrev_i32 v133, 31, v133 :: v_dual_ashrrev_i32 v134, 31, v134
	s_delay_alu instid0(VALU_DEP_3) | instskip(SKIP_1) | instid1(VALU_DEP_3)
	v_dual_ashrrev_i32 v135, 31, v135 :: v_dual_bitop2_b32 v132, s15, v132 bitop3:0x14
	v_cmp_gt_i32_e64 s19, 0, v145
	v_dual_ashrrev_i32 v144, 31, v144 :: v_dual_bitop2_b32 v133, s16, v133 bitop3:0x14
	s_delay_alu instid0(VALU_DEP_3)
	v_bitop3_b32 v129, v129, v132, exec_lo bitop3:0x80
	v_not_b32_e32 v132, v146
	v_xor_b32_e32 v134, s17, v134
	v_not_b32_e32 v145, v130
	v_xor_b32_e32 v135, s18, v135
	v_cmp_gt_i32_e64 s14, 0, v146
	v_ashrrev_i32_e32 v132, 31, v132
	s_set_vgpr_msb 0                        ;  msbs: dst=0 src0=0 src1=0 src2=0
	v_bitop3_b32 v129, v129, v134, v133 bitop3:0x80
	v_cmp_gt_i32_e64 s15, 0, v130
	v_ashrrev_i32_e32 v130, 31, v145
	v_lshl_add_u32 v131, v131, 2, v12
	v_xor_b32_e32 v144, s19, v144
	v_xor_b32_e32 v132, s14, v132
	s_delay_alu instid0(VALU_DEP_4) | instskip(NEXT) | instid1(VALU_DEP_3)
	v_xor_b32_e32 v130, s15, v130
	v_bitop3_b32 v133, v129, v144, v135 bitop3:0x80
	ds_load_b32 v129, v131 offset:32
	v_add_nc_u32_e32 v131, 32, v131
	; wave barrier
	v_bitop3_b32 v132, v133, v130, v132 bitop3:0x80
	s_delay_alu instid0(VALU_DEP_1) | instskip(SKIP_1) | instid1(VALU_DEP_2)
	v_mbcnt_lo_u32_b32 v130, v132, 0
	v_cmp_ne_u32_e64 s15, 0, v132
	v_cmp_eq_u32_e64 s14, 0, v130
	s_and_b32 s15, s15, s14
	s_delay_alu instid0(SALU_CYCLE_1)
	s_and_saveexec_b32 s14, s15
	s_cbranch_execz .LBB288_72
; %bb.71:                               ;   in Loop: Header=BB288_56 Depth=1
	s_wait_dscnt 0x0
	v_bcnt_u32_b32 v132, v132, v129
	ds_store_b32 v131, v132
.LBB288_72:                             ;   in Loop: Header=BB288_56 Depth=1
	s_or_b32 exec_lo, exec_lo, s14
	v_and_b32_e32 v132, 0xff, v54
	; wave barrier
	s_delay_alu instid0(VALU_DEP_1) | instskip(NEXT) | instid1(VALU_DEP_1)
	v_lshrrev_b32_e32 v132, v10, v132
	v_and_b32_e32 v133, v132, v102
	s_delay_alu instid0(VALU_DEP_1) | instskip(SKIP_1) | instid1(VALU_DEP_2)
	v_lshlrev_b32_e32 v144, 30, v133
	v_bitop3_b32 v132, v132, 1, v102 bitop3:0x80
	v_cmp_gt_i32_e64 s15, 0, v144
	s_delay_alu instid0(VALU_DEP_2) | instskip(NEXT) | instid1(VALU_DEP_1)
	v_add_co_u32 v132, s14, v132, -1
	v_cndmask_b32_e64 v135, 0, 1, s14
	s_delay_alu instid0(VALU_DEP_1) | instskip(SKIP_1) | instid1(VALU_DEP_1)
	v_cmp_ne_u32_e64 s14, 0, v135
	v_not_b32_e32 v135, v144
	v_dual_ashrrev_i32 v135, 31, v135 :: v_dual_lshlrev_b32 v145, 29, v133
	v_dual_lshlrev_b32 v146, 28, v133 :: v_dual_lshlrev_b32 v147, 27, v133
	v_lshlrev_b32_e32 v148, 26, v133
	s_set_vgpr_msb 16                       ;  msbs: dst=0 src0=0 src1=0 src2=1
	v_lshl_add_u32 v134, v133, 3, v27 /*v283*/
	v_cmp_gt_i32_e64 s16, 0, v145
	v_not_b32_e32 v144, v145
	v_not_b32_e32 v145, v146
	v_dual_lshlrev_b32 v149, 25, v133 :: v_dual_lshlrev_b32 v133, 24, v133
	v_cmp_gt_i32_e64 s17, 0, v146
	v_cmp_gt_i32_e64 s18, 0, v147
	v_not_b32_e32 v146, v147
	v_not_b32_e32 v147, v148
	v_dual_ashrrev_i32 v145, 31, v145 :: v_dual_bitop2_b32 v132, s14, v132 bitop3:0x14
	v_dual_ashrrev_i32 v144, 31, v144 :: v_dual_bitop2_b32 v135, s15, v135 bitop3:0x14
	v_cmp_gt_i32_e64 s19, 0, v148
	s_delay_alu instid0(VALU_DEP_4)
	v_dual_ashrrev_i32 v146, 31, v146 :: v_dual_ashrrev_i32 v147, 31, v147
	v_not_b32_e32 v148, v133
	v_xor_b32_e32 v145, s17, v145
	v_bitop3_b32 v132, v132, v135, exec_lo bitop3:0x80
	v_not_b32_e32 v135, v149
	v_xor_b32_e32 v144, s16, v144
	v_xor_b32_e32 v146, s18, v146
	v_cmp_gt_i32_e64 s14, 0, v149
	v_cmp_gt_i32_e64 s15, 0, v133
	v_dual_ashrrev_i32 v135, 31, v135 :: v_dual_ashrrev_i32 v133, 31, v148
	s_set_vgpr_msb 0                        ;  msbs: dst=0 src0=0 src1=0 src2=0
	v_bitop3_b32 v132, v132, v145, v144 bitop3:0x80
	v_lshl_add_u32 v134, v134, 2, v12
	v_xor_b32_e32 v147, s19, v147
	v_xor_b32_e32 v135, s14, v135
	;; [unrolled: 1-line block ×3, first 2 shown]
	s_delay_alu instid0(VALU_DEP_3) | instskip(SKIP_3) | instid1(VALU_DEP_1)
	v_bitop3_b32 v144, v132, v147, v146 bitop3:0x80
	ds_load_b32 v132, v134 offset:32
	v_add_nc_u32_e32 v134, 32, v134
	; wave barrier
	v_bitop3_b32 v135, v144, v133, v135 bitop3:0x80
	v_mbcnt_lo_u32_b32 v133, v135, 0
	v_cmp_ne_u32_e64 s15, 0, v135
	s_delay_alu instid0(VALU_DEP_2) | instskip(SKIP_1) | instid1(SALU_CYCLE_1)
	v_cmp_eq_u32_e64 s14, 0, v133
	s_and_b32 s15, s15, s14
	s_and_saveexec_b32 s14, s15
	s_cbranch_execz .LBB288_74
; %bb.73:                               ;   in Loop: Header=BB288_56 Depth=1
	s_wait_dscnt 0x0
	v_bcnt_u32_b32 v135, v135, v132
	ds_store_b32 v134, v135
.LBB288_74:                             ;   in Loop: Header=BB288_56 Depth=1
	s_or_b32 exec_lo, exec_lo, s14
	v_bfe_u32 v135, v54, 8, 8
	; wave barrier
	s_delay_alu instid0(VALU_DEP_1) | instskip(NEXT) | instid1(VALU_DEP_1)
	v_lshrrev_b32_e32 v135, v10, v135
	v_and_b32_e32 v144, v135, v102
	s_delay_alu instid0(VALU_DEP_1) | instskip(SKIP_2) | instid1(VALU_DEP_3)
	v_lshlrev_b32_e32 v147, 30, v144
	v_bitop3_b32 v135, v135, 1, v102 bitop3:0x80
	v_lshlrev_b32_e32 v148, 29, v144
	v_cmp_gt_i32_e64 s15, 0, v147
	s_delay_alu instid0(VALU_DEP_3) | instskip(NEXT) | instid1(VALU_DEP_1)
	v_add_co_u32 v135, s14, v135, -1
	v_cndmask_b32_e64 v146, 0, 1, s14
	s_delay_alu instid0(VALU_DEP_1) | instskip(SKIP_2) | instid1(VALU_DEP_2)
	v_cmp_ne_u32_e64 s14, 0, v146
	v_not_b32_e32 v146, v147
	v_not_b32_e32 v147, v148
	v_dual_ashrrev_i32 v146, 31, v146 :: v_dual_bitop2_b32 v135, s14, v135 bitop3:0x14
	s_delay_alu instid0(VALU_DEP_2)
	v_dual_ashrrev_i32 v147, 31, v147 :: v_dual_lshlrev_b32 v149, 28, v144
	v_dual_lshlrev_b32 v150, 27, v144 :: v_dual_lshlrev_b32 v151, 26, v144
	v_cmp_gt_i32_e64 s16, 0, v148
	s_set_vgpr_msb 16                       ;  msbs: dst=0 src0=0 src1=0 src2=1
	v_lshl_add_u32 v145, v144, 3, v27 /*v283*/
	v_not_b32_e32 v148, v149
	v_dual_lshlrev_b32 v160, 25, v144 :: v_dual_lshlrev_b32 v144, 24, v144
	v_cmp_gt_i32_e64 s17, 0, v149
	v_cmp_gt_i32_e64 s18, 0, v150
	v_not_b32_e32 v149, v150
	v_not_b32_e32 v150, v151
	v_dual_ashrrev_i32 v148, 31, v148 :: v_dual_bitop2_b32 v146, s15, v146 bitop3:0x14
	v_cmp_gt_i32_e64 s19, 0, v151
	s_delay_alu instid0(VALU_DEP_3) | instskip(SKIP_1) | instid1(VALU_DEP_4)
	v_dual_ashrrev_i32 v149, 31, v149 :: v_dual_ashrrev_i32 v150, 31, v150
	v_not_b32_e32 v151, v144
	v_xor_b32_e32 v148, s17, v148
	v_bitop3_b32 v135, v135, v146, exec_lo bitop3:0x80
	v_not_b32_e32 v146, v160
	v_xor_b32_e32 v147, s16, v147
	v_xor_b32_e32 v149, s18, v149
	v_cmp_gt_i32_e64 s14, 0, v160
	v_cmp_gt_i32_e64 s15, 0, v144
	v_dual_ashrrev_i32 v146, 31, v146 :: v_dual_ashrrev_i32 v144, 31, v151
	s_set_vgpr_msb 0                        ;  msbs: dst=0 src0=0 src1=0 src2=0
	v_bitop3_b32 v135, v135, v148, v147 bitop3:0x80
	v_lshl_add_u32 v145, v145, 2, v12
	v_xor_b32_e32 v150, s19, v150
	v_xor_b32_e32 v146, s14, v146
	;; [unrolled: 1-line block ×3, first 2 shown]
	s_delay_alu instid0(VALU_DEP_3) | instskip(SKIP_3) | instid1(VALU_DEP_1)
	v_bitop3_b32 v147, v135, v150, v149 bitop3:0x80
	ds_load_b32 v135, v145 offset:32
	v_add_nc_u32_e32 v145, 32, v145
	; wave barrier
	v_bitop3_b32 v146, v147, v144, v146 bitop3:0x80
	v_mbcnt_lo_u32_b32 v144, v146, 0
	v_cmp_ne_u32_e64 s15, 0, v146
	s_delay_alu instid0(VALU_DEP_2) | instskip(SKIP_1) | instid1(SALU_CYCLE_1)
	v_cmp_eq_u32_e64 s14, 0, v144
	s_and_b32 s15, s15, s14
	s_and_saveexec_b32 s14, s15
	s_cbranch_execz .LBB288_76
; %bb.75:                               ;   in Loop: Header=BB288_56 Depth=1
	s_wait_dscnt 0x0
	v_bcnt_u32_b32 v146, v146, v135
	ds_store_b32 v145, v146
.LBB288_76:                             ;   in Loop: Header=BB288_56 Depth=1
	s_or_b32 exec_lo, exec_lo, s14
	v_bfe_u32 v146, v54, 16, 8
	; wave barrier
	s_delay_alu instid0(VALU_DEP_1) | instskip(NEXT) | instid1(VALU_DEP_1)
	v_lshrrev_b32_e32 v146, v10, v146
	v_and_b32_e32 v147, v146, v102
	s_delay_alu instid0(VALU_DEP_1) | instskip(SKIP_1) | instid1(VALU_DEP_2)
	v_lshlrev_b32_e32 v150, 30, v147
	v_bitop3_b32 v146, v146, 1, v102 bitop3:0x80
	v_cmp_gt_i32_e64 s15, 0, v150
	s_delay_alu instid0(VALU_DEP_2) | instskip(NEXT) | instid1(VALU_DEP_1)
	v_add_co_u32 v146, s14, v146, -1
	v_cndmask_b32_e64 v149, 0, 1, s14
	s_delay_alu instid0(VALU_DEP_1) | instskip(SKIP_1) | instid1(VALU_DEP_1)
	v_cmp_ne_u32_e64 s14, 0, v149
	v_not_b32_e32 v149, v150
	v_dual_ashrrev_i32 v149, 31, v149 :: v_dual_lshlrev_b32 v151, 29, v147
	v_dual_lshlrev_b32 v160, 28, v147 :: v_dual_lshlrev_b32 v161, 27, v147
	v_lshlrev_b32_e32 v162, 26, v147
	s_set_vgpr_msb 16                       ;  msbs: dst=0 src0=0 src1=0 src2=1
	v_lshl_add_u32 v148, v147, 3, v27 /*v283*/
	v_cmp_gt_i32_e64 s16, 0, v151
	v_not_b32_e32 v150, v151
	v_not_b32_e32 v151, v160
	v_dual_lshlrev_b32 v163, 25, v147 :: v_dual_lshlrev_b32 v147, 24, v147
	v_cmp_gt_i32_e64 s17, 0, v160
	v_cmp_gt_i32_e64 s18, 0, v161
	v_not_b32_e32 v160, v161
	v_not_b32_e32 v161, v162
	v_dual_ashrrev_i32 v151, 31, v151 :: v_dual_bitop2_b32 v146, s14, v146 bitop3:0x14
	v_dual_ashrrev_i32 v150, 31, v150 :: v_dual_bitop2_b32 v149, s15, v149 bitop3:0x14
	v_cmp_gt_i32_e64 s19, 0, v162
	s_delay_alu instid0(VALU_DEP_4)
	v_dual_ashrrev_i32 v160, 31, v160 :: v_dual_ashrrev_i32 v161, 31, v161
	v_not_b32_e32 v162, v147
	v_xor_b32_e32 v151, s17, v151
	v_bitop3_b32 v146, v146, v149, exec_lo bitop3:0x80
	v_not_b32_e32 v149, v163
	v_xor_b32_e32 v150, s16, v150
	v_xor_b32_e32 v160, s18, v160
	v_cmp_gt_i32_e64 s14, 0, v163
	v_cmp_gt_i32_e64 s15, 0, v147
	v_dual_ashrrev_i32 v149, 31, v149 :: v_dual_ashrrev_i32 v147, 31, v162
	s_set_vgpr_msb 0                        ;  msbs: dst=0 src0=0 src1=0 src2=0
	v_bitop3_b32 v146, v146, v151, v150 bitop3:0x80
	v_lshl_add_u32 v148, v148, 2, v12
	v_xor_b32_e32 v161, s19, v161
	v_xor_b32_e32 v149, s14, v149
	;; [unrolled: 1-line block ×3, first 2 shown]
	s_delay_alu instid0(VALU_DEP_3) | instskip(SKIP_3) | instid1(VALU_DEP_1)
	v_bitop3_b32 v150, v146, v161, v160 bitop3:0x80
	ds_load_b32 v146, v148 offset:32
	v_add_nc_u32_e32 v148, 32, v148
	; wave barrier
	v_bitop3_b32 v149, v150, v147, v149 bitop3:0x80
	v_mbcnt_lo_u32_b32 v147, v149, 0
	v_cmp_ne_u32_e64 s15, 0, v149
	s_delay_alu instid0(VALU_DEP_2) | instskip(SKIP_1) | instid1(SALU_CYCLE_1)
	v_cmp_eq_u32_e64 s14, 0, v147
	s_and_b32 s15, s15, s14
	s_and_saveexec_b32 s14, s15
	s_cbranch_execz .LBB288_78
; %bb.77:                               ;   in Loop: Header=BB288_56 Depth=1
	s_wait_dscnt 0x0
	v_bcnt_u32_b32 v149, v149, v146
	ds_store_b32 v148, v149
.LBB288_78:                             ;   in Loop: Header=BB288_56 Depth=1
	s_or_b32 exec_lo, exec_lo, s14
	v_alignbit_b32 v149, v55, v54, 24
	; wave barrier
	s_delay_alu instid0(VALU_DEP_1) | instskip(NEXT) | instid1(VALU_DEP_1)
	v_and_b32_e32 v149, 0xff, v149
	v_lshrrev_b32_e32 v149, v10, v149
	s_delay_alu instid0(VALU_DEP_1) | instskip(NEXT) | instid1(VALU_DEP_1)
	v_and_b32_e32 v150, v149, v102
	v_lshlrev_b32_e32 v161, 30, v150
	v_bitop3_b32 v149, v149, 1, v102 bitop3:0x80
	s_delay_alu instid0(VALU_DEP_2) | instskip(NEXT) | instid1(VALU_DEP_2)
	v_cmp_gt_i32_e64 s15, 0, v161
	v_add_co_u32 v149, s14, v149, -1
	s_delay_alu instid0(VALU_DEP_1) | instskip(NEXT) | instid1(VALU_DEP_1)
	v_cndmask_b32_e64 v160, 0, 1, s14
	v_cmp_ne_u32_e64 s14, 0, v160
	v_not_b32_e32 v160, v161
	s_delay_alu instid0(VALU_DEP_1)
	v_dual_ashrrev_i32 v160, 31, v160 :: v_dual_lshlrev_b32 v162, 29, v150
	v_dual_lshlrev_b32 v163, 28, v150 :: v_dual_lshlrev_b32 v164, 27, v150
	v_lshlrev_b32_e32 v165, 26, v150
	s_set_vgpr_msb 16                       ;  msbs: dst=0 src0=0 src1=0 src2=1
	v_lshl_add_u32 v151, v150, 3, v27 /*v283*/
	v_cmp_gt_i32_e64 s16, 0, v162
	v_not_b32_e32 v161, v162
	v_not_b32_e32 v162, v163
	v_dual_lshlrev_b32 v166, 25, v150 :: v_dual_lshlrev_b32 v150, 24, v150
	v_cmp_gt_i32_e64 s17, 0, v163
	v_cmp_gt_i32_e64 s18, 0, v164
	v_not_b32_e32 v163, v164
	v_not_b32_e32 v164, v165
	v_dual_ashrrev_i32 v162, 31, v162 :: v_dual_bitop2_b32 v149, s14, v149 bitop3:0x14
	v_dual_ashrrev_i32 v161, 31, v161 :: v_dual_bitop2_b32 v160, s15, v160 bitop3:0x14
	v_cmp_gt_i32_e64 s19, 0, v165
	v_not_b32_e32 v165, v166
	v_cmp_gt_i32_e64 s21, 0, v150
	v_not_b32_e32 v150, v150
	v_dual_ashrrev_i32 v163, 31, v163 :: v_dual_ashrrev_i32 v164, 31, v164
	v_xor_b32_e32 v161, s16, v161
	v_xor_b32_e32 v162, s17, v162
	v_bitop3_b32 v149, v149, v160, exec_lo bitop3:0x80
	v_cmp_gt_i32_e64 s20, 0, v166
	v_dual_ashrrev_i32 v160, 31, v165 :: v_dual_ashrrev_i32 v150, 31, v150
	v_xor_b32_e32 v163, s18, v163
	s_set_vgpr_msb 0                        ;  msbs: dst=0 src0=0 src1=0 src2=0
	v_bitop3_b32 v149, v149, v162, v161 bitop3:0x80
	v_lshl_add_u32 v151, v151, 2, v12
	v_xor_b32_e32 v164, s19, v164
	v_xor_b32_e32 v160, s20, v160
	s_delay_alu instid0(VALU_DEP_3) | instskip(NEXT) | instid1(VALU_DEP_3)
	v_dual_add_nc_u32 v162, 32, v151 :: v_dual_bitop2_b32 v150, s21, v150 bitop3:0x14
	v_bitop3_b32 v161, v149, v164, v163 bitop3:0x80
	ds_load_b32 v149, v151 offset:32
	; wave barrier
	v_bitop3_b32 v150, v161, v150, v160 bitop3:0x80
	s_delay_alu instid0(VALU_DEP_1) | instskip(SKIP_1) | instid1(VALU_DEP_2)
	v_mbcnt_lo_u32_b32 v194, v150, 0
	v_cmp_ne_u32_e64 s15, 0, v150
	v_cmp_eq_u32_e64 s14, 0, v194
	s_and_b32 s15, s15, s14
	s_delay_alu instid0(SALU_CYCLE_1)
	s_and_saveexec_b32 s14, s15
	s_cbranch_execz .LBB288_80
; %bb.79:                               ;   in Loop: Header=BB288_56 Depth=1
	s_wait_dscnt 0x0
	v_bcnt_u32_b32 v150, v150, v149
	ds_store_b32 v162, v150
.LBB288_80:                             ;   in Loop: Header=BB288_56 Depth=1
	s_or_b32 exec_lo, exec_lo, s14
	v_and_b32_e32 v150, 0xff, v55
	; wave barrier
	s_delay_alu instid0(VALU_DEP_1) | instskip(NEXT) | instid1(VALU_DEP_1)
	v_lshrrev_b32_e32 v150, v10, v150
	v_and_b32_e32 v151, v150, v102
	s_delay_alu instid0(VALU_DEP_1) | instskip(SKIP_1) | instid1(VALU_DEP_2)
	v_lshlrev_b32_e32 v163, 30, v151
	v_bitop3_b32 v150, v150, 1, v102 bitop3:0x80
	v_cmp_gt_i32_e64 s15, 0, v163
	s_delay_alu instid0(VALU_DEP_2) | instskip(NEXT) | instid1(VALU_DEP_1)
	v_add_co_u32 v150, s14, v150, -1
	v_cndmask_b32_e64 v161, 0, 1, s14
	s_delay_alu instid0(VALU_DEP_1) | instskip(SKIP_1) | instid1(VALU_DEP_1)
	v_cmp_ne_u32_e64 s14, 0, v161
	v_not_b32_e32 v161, v163
	v_dual_ashrrev_i32 v161, 31, v161 :: v_dual_lshlrev_b32 v164, 29, v151
	v_dual_lshlrev_b32 v165, 28, v151 :: v_dual_lshlrev_b32 v166, 27, v151
	v_lshlrev_b32_e32 v167, 26, v151
	s_set_vgpr_msb 16                       ;  msbs: dst=0 src0=0 src1=0 src2=1
	v_lshl_add_u32 v160, v151, 3, v27 /*v283*/
	v_cmp_gt_i32_e64 s16, 0, v164
	v_not_b32_e32 v163, v164
	v_not_b32_e32 v164, v165
	v_dual_lshlrev_b32 v176, 25, v151 :: v_dual_lshlrev_b32 v151, 24, v151
	v_cmp_gt_i32_e64 s17, 0, v165
	v_cmp_gt_i32_e64 s18, 0, v166
	v_not_b32_e32 v165, v166
	v_not_b32_e32 v166, v167
	v_dual_ashrrev_i32 v163, 31, v163 :: v_dual_bitop2_b32 v150, s14, v150 bitop3:0x14
	v_dual_ashrrev_i32 v164, 31, v164 :: v_dual_bitop2_b32 v161, s15, v161 bitop3:0x14
	v_cmp_gt_i32_e64 s19, 0, v167
	s_delay_alu instid0(VALU_DEP_4) | instskip(SKIP_1) | instid1(VALU_DEP_4)
	v_dual_ashrrev_i32 v165, 31, v165 :: v_dual_ashrrev_i32 v166, 31, v166
	v_not_b32_e32 v167, v151
	v_xor_b32_e32 v164, s17, v164
	v_bitop3_b32 v150, v150, v161, exec_lo bitop3:0x80
	v_not_b32_e32 v161, v176
	v_xor_b32_e32 v163, s16, v163
	v_xor_b32_e32 v166, s19, v166
	v_cmp_gt_i32_e64 s14, 0, v176
	v_cmp_gt_i32_e64 s15, 0, v151
	v_dual_ashrrev_i32 v161, 31, v161 :: v_dual_ashrrev_i32 v151, 31, v167
	s_set_vgpr_msb 0                        ;  msbs: dst=0 src0=0 src1=0 src2=0
	v_bitop3_b32 v150, v150, v164, v163 bitop3:0x80
	v_lshl_add_u32 v160, v160, 2, v12
	v_xor_b32_e32 v165, s18, v165
	v_xor_b32_e32 v161, s14, v161
	s_delay_alu instid0(VALU_DEP_3) | instskip(NEXT) | instid1(VALU_DEP_3)
	v_dual_add_nc_u32 v164, 32, v160 :: v_dual_bitop2_b32 v151, s15, v151 bitop3:0x14
	v_bitop3_b32 v150, v150, v166, v165 bitop3:0x80
	ds_load_b32 v210, v160 offset:32
	; wave barrier
	v_bitop3_b32 v150, v150, v151, v161 bitop3:0x80
	s_delay_alu instid0(VALU_DEP_1) | instskip(SKIP_1) | instid1(VALU_DEP_2)
	v_mbcnt_lo_u32_b32 v212, v150, 0
	v_cmp_ne_u32_e64 s15, 0, v150
	v_cmp_eq_u32_e64 s14, 0, v212
	s_and_b32 s15, s15, s14
	s_delay_alu instid0(SALU_CYCLE_1)
	s_and_saveexec_b32 s14, s15
	s_cbranch_execz .LBB288_82
; %bb.81:                               ;   in Loop: Header=BB288_56 Depth=1
	s_wait_dscnt 0x0
	v_bcnt_u32_b32 v150, v150, v210
	ds_store_b32 v164, v150
.LBB288_82:                             ;   in Loop: Header=BB288_56 Depth=1
	s_or_b32 exec_lo, exec_lo, s14
	v_bfe_u32 v150, v55, 8, 8
	; wave barrier
	s_delay_alu instid0(VALU_DEP_1) | instskip(NEXT) | instid1(VALU_DEP_1)
	v_lshrrev_b32_e32 v150, v10, v150
	v_and_b32_e32 v151, v150, v102
	s_delay_alu instid0(VALU_DEP_1) | instskip(SKIP_1) | instid1(VALU_DEP_2)
	v_lshlrev_b32_e32 v163, 30, v151
	v_bitop3_b32 v150, v150, 1, v102 bitop3:0x80
	v_cmp_gt_i32_e64 s15, 0, v163
	s_delay_alu instid0(VALU_DEP_2) | instskip(NEXT) | instid1(VALU_DEP_1)
	v_add_co_u32 v150, s14, v150, -1
	v_cndmask_b32_e64 v161, 0, 1, s14
	s_delay_alu instid0(VALU_DEP_1) | instskip(SKIP_1) | instid1(VALU_DEP_1)
	v_cmp_ne_u32_e64 s14, 0, v161
	v_not_b32_e32 v161, v163
	v_dual_ashrrev_i32 v161, 31, v161 :: v_dual_lshlrev_b32 v165, 29, v151
	v_dual_lshlrev_b32 v166, 28, v151 :: v_dual_lshlrev_b32 v167, 27, v151
	v_lshlrev_b32_e32 v176, 26, v151
	s_set_vgpr_msb 16                       ;  msbs: dst=0 src0=0 src1=0 src2=1
	v_lshl_add_u32 v160, v151, 3, v27 /*v283*/
	v_cmp_gt_i32_e64 s16, 0, v165
	v_not_b32_e32 v163, v165
	v_not_b32_e32 v165, v166
	v_dual_lshlrev_b32 v177, 25, v151 :: v_dual_lshlrev_b32 v151, 24, v151
	v_cmp_gt_i32_e64 s17, 0, v166
	v_cmp_gt_i32_e64 s18, 0, v167
	v_not_b32_e32 v166, v167
	v_not_b32_e32 v167, v176
	v_dual_ashrrev_i32 v163, 31, v163 :: v_dual_bitop2_b32 v150, s14, v150 bitop3:0x14
	s_delay_alu instid0(VALU_DEP_3) | instskip(NEXT) | instid1(VALU_DEP_3)
	v_dual_ashrrev_i32 v165, 31, v165 :: v_dual_ashrrev_i32 v166, 31, v166
	v_dual_ashrrev_i32 v167, 31, v167 :: v_dual_bitop2_b32 v161, s15, v161 bitop3:0x14
	v_cmp_gt_i32_e64 s19, 0, v176
	v_not_b32_e32 v176, v151
	s_delay_alu instid0(VALU_DEP_4) | instskip(NEXT) | instid1(VALU_DEP_4)
	v_xor_b32_e32 v165, s17, v165
	v_bitop3_b32 v150, v150, v161, exec_lo bitop3:0x80
	v_not_b32_e32 v161, v177
	v_xor_b32_e32 v163, s16, v163
	v_xor_b32_e32 v166, s18, v166
	v_cmp_gt_i32_e64 s14, 0, v177
	v_cmp_gt_i32_e64 s15, 0, v151
	v_dual_ashrrev_i32 v161, 31, v161 :: v_dual_ashrrev_i32 v151, 31, v176
	s_set_vgpr_msb 0                        ;  msbs: dst=0 src0=0 src1=0 src2=0
	v_bitop3_b32 v150, v150, v165, v163 bitop3:0x80
	v_lshl_add_u32 v160, v160, 2, v12
	v_xor_b32_e32 v167, s19, v167
	v_xor_b32_e32 v161, s14, v161
	;; [unrolled: 1-line block ×3, first 2 shown]
	ds_load_b32 v214, v160 offset:32
	v_bitop3_b32 v150, v150, v167, v166 bitop3:0x80
	v_add_nc_u32_e32 v166, 32, v160
	; wave barrier
	s_delay_alu instid0(VALU_DEP_2) | instskip(NEXT) | instid1(VALU_DEP_1)
	v_bitop3_b32 v150, v150, v151, v161 bitop3:0x80
	v_mbcnt_lo_u32_b32 v224, v150, 0
	v_cmp_ne_u32_e64 s15, 0, v150
	s_delay_alu instid0(VALU_DEP_2) | instskip(SKIP_1) | instid1(SALU_CYCLE_1)
	v_cmp_eq_u32_e64 s14, 0, v224
	s_and_b32 s15, s15, s14
	s_and_saveexec_b32 s14, s15
	s_cbranch_execz .LBB288_84
; %bb.83:                               ;   in Loop: Header=BB288_56 Depth=1
	s_wait_dscnt 0x0
	v_bcnt_u32_b32 v150, v150, v214
	ds_store_b32 v166, v150
.LBB288_84:                             ;   in Loop: Header=BB288_56 Depth=1
	s_or_b32 exec_lo, exec_lo, s14
	v_bfe_u32 v150, v55, 16, 8
	; wave barrier
	s_delay_alu instid0(VALU_DEP_1) | instskip(NEXT) | instid1(VALU_DEP_1)
	v_lshrrev_b32_e32 v150, v10, v150
	v_and_b32_e32 v151, v150, v102
	s_delay_alu instid0(VALU_DEP_1) | instskip(SKIP_1) | instid1(VALU_DEP_2)
	v_lshlrev_b32_e32 v163, 30, v151
	v_bitop3_b32 v150, v150, 1, v102 bitop3:0x80
	v_cmp_gt_i32_e64 s15, 0, v163
	s_delay_alu instid0(VALU_DEP_2) | instskip(NEXT) | instid1(VALU_DEP_1)
	v_add_co_u32 v150, s14, v150, -1
	v_cndmask_b32_e64 v161, 0, 1, s14
	s_delay_alu instid0(VALU_DEP_1) | instskip(SKIP_1) | instid1(VALU_DEP_1)
	v_cmp_ne_u32_e64 s14, 0, v161
	v_not_b32_e32 v161, v163
	v_dual_ashrrev_i32 v161, 31, v161 :: v_dual_lshlrev_b32 v165, 29, v151
	v_dual_lshlrev_b32 v167, 28, v151 :: v_dual_lshlrev_b32 v176, 27, v151
	v_lshlrev_b32_e32 v177, 26, v151
	s_set_vgpr_msb 16                       ;  msbs: dst=0 src0=0 src1=0 src2=1
	v_lshl_add_u32 v160, v151, 3, v27 /*v283*/
	v_cmp_gt_i32_e64 s16, 0, v165
	v_not_b32_e32 v163, v165
	v_not_b32_e32 v165, v167
	v_dual_lshlrev_b32 v178, 25, v151 :: v_dual_lshlrev_b32 v151, 24, v151
	v_cmp_gt_i32_e64 s17, 0, v167
	v_cmp_gt_i32_e64 s18, 0, v176
	v_not_b32_e32 v167, v176
	v_not_b32_e32 v176, v177
	v_dual_ashrrev_i32 v163, 31, v163 :: v_dual_bitop2_b32 v150, s14, v150 bitop3:0x14
	s_delay_alu instid0(VALU_DEP_3) | instskip(NEXT) | instid1(VALU_DEP_3)
	v_dual_ashrrev_i32 v165, 31, v165 :: v_dual_ashrrev_i32 v167, 31, v167
	v_dual_ashrrev_i32 v176, 31, v176 :: v_dual_bitop2_b32 v161, s15, v161 bitop3:0x14
	v_cmp_gt_i32_e64 s19, 0, v177
	v_not_b32_e32 v177, v151
	s_set_vgpr_msb 0                        ;  msbs: dst=0 src0=0 src1=0 src2=0
	v_lshl_add_u32 v160, v160, 2, v12
	v_xor_b32_e32 v165, s17, v165
	v_bitop3_b32 v150, v150, v161, exec_lo bitop3:0x80
	v_not_b32_e32 v161, v178
	v_xor_b32_e32 v163, s16, v163
	v_xor_b32_e32 v167, s18, v167
	v_xor_b32_e32 v176, s19, v176
	v_cmp_gt_i32_e64 s14, 0, v178
	v_ashrrev_i32_e32 v161, 31, v161
	v_bitop3_b32 v150, v150, v165, v163 bitop3:0x80
	v_cmp_gt_i32_e64 s15, 0, v151
	v_ashrrev_i32_e32 v151, 31, v177
	ds_load_b32 v226, v160 offset:32
	v_xor_b32_e32 v161, s14, v161
	v_bitop3_b32 v150, v150, v176, v167 bitop3:0x80
	v_dual_add_nc_u32 v176, 32, v160 :: v_dual_bitop2_b32 v151, s15, v151 bitop3:0x14
	; wave barrier
	s_delay_alu instid0(VALU_DEP_1) | instskip(NEXT) | instid1(VALU_DEP_1)
	v_bitop3_b32 v150, v150, v151, v161 bitop3:0x80
	v_mbcnt_lo_u32_b32 v227, v150, 0
	v_cmp_ne_u32_e64 s15, 0, v150
	s_delay_alu instid0(VALU_DEP_2) | instskip(SKIP_1) | instid1(SALU_CYCLE_1)
	v_cmp_eq_u32_e64 s14, 0, v227
	s_and_b32 s15, s15, s14
	s_and_saveexec_b32 s14, s15
	s_cbranch_execz .LBB288_86
; %bb.85:                               ;   in Loop: Header=BB288_56 Depth=1
	s_wait_dscnt 0x0
	v_bcnt_u32_b32 v150, v150, v226
	ds_store_b32 v176, v150
.LBB288_86:                             ;   in Loop: Header=BB288_56 Depth=1
	s_or_b32 exec_lo, exec_lo, s14
	s_set_vgpr_msb 64                       ;  msbs: dst=1 src0=0 src1=0 src2=0
	v_lshrrev_b32_e32 v52 /*v308*/, 24, v55
	; wave barrier
	s_set_vgpr_msb 4                        ;  msbs: dst=0 src0=0 src1=1 src2=0
	s_delay_alu instid0(VALU_DEP_1) | instskip(SKIP_1) | instid1(VALU_DEP_1)
	v_lshrrev_b32_e32 v150, v10, v52 /*v308*/
	s_set_vgpr_msb 0                        ;  msbs: dst=0 src0=0 src1=0 src2=0
	v_and_b32_e32 v151, v150, v102
	v_bitop3_b32 v150, v150, 1, v102 bitop3:0x80
	s_delay_alu instid0(VALU_DEP_2) | instskip(NEXT) | instid1(VALU_DEP_2)
	v_lshlrev_b32_e32 v163, 30, v151
	v_add_co_u32 v150, s14, v150, -1
	s_delay_alu instid0(VALU_DEP_1) | instskip(NEXT) | instid1(VALU_DEP_1)
	v_cndmask_b32_e64 v161, 0, 1, s14
	v_cmp_ne_u32_e64 s14, 0, v161
	s_delay_alu instid0(VALU_DEP_4) | instskip(NEXT) | instid1(VALU_DEP_1)
	v_not_b32_e32 v161, v163
	v_dual_ashrrev_i32 v161, 31, v161 :: v_dual_bitop2_b32 v150, s14, v150 bitop3:0x14
	v_dual_lshlrev_b32 v165, 29, v151 :: v_dual_lshlrev_b32 v167, 28, v151
	v_dual_lshlrev_b32 v177, 27, v151 :: v_dual_lshlrev_b32 v178, 26, v151
	v_lshlrev_b32_e32 v179, 25, v151
	v_cmp_gt_i32_e64 s15, 0, v163
	s_delay_alu instid0(VALU_DEP_4)
	v_cmp_gt_i32_e64 s16, 0, v165
	v_not_b32_e32 v163, v165
	v_not_b32_e32 v165, v167
	s_set_vgpr_msb 16                       ;  msbs: dst=0 src0=0 src1=0 src2=1
	v_lshl_add_u32 v160, v151, 3, v27 /*v283*/
	v_lshlrev_b32_e32 v151, 24, v151
	v_cmp_gt_i32_e64 s17, 0, v167
	v_cmp_gt_i32_e64 s18, 0, v177
	v_not_b32_e32 v167, v177
	v_not_b32_e32 v177, v178
	v_dual_ashrrev_i32 v163, 31, v163 :: v_dual_ashrrev_i32 v165, 31, v165
	s_delay_alu instid0(VALU_DEP_3) | instskip(SKIP_1) | instid1(VALU_DEP_3)
	v_dual_ashrrev_i32 v167, 31, v167 :: v_dual_bitop2_b32 v161, s15, v161 bitop3:0x14
	v_cmp_gt_i32_e64 s19, 0, v178
	v_dual_ashrrev_i32 v177, 31, v177 :: v_dual_bitop2_b32 v163, s16, v163 bitop3:0x14
	s_delay_alu instid0(VALU_DEP_3)
	v_bitop3_b32 v150, v150, v161, exec_lo bitop3:0x80
	v_not_b32_e32 v161, v179
	v_not_b32_e32 v178, v151
	v_xor_b32_e32 v165, s17, v165
	v_xor_b32_e32 v167, s18, v167
	v_cmp_gt_i32_e64 s14, 0, v179
	v_ashrrev_i32_e32 v161, 31, v161
	v_cmp_gt_i32_e64 s15, 0, v151
	v_ashrrev_i32_e32 v151, 31, v178
	s_set_vgpr_msb 0                        ;  msbs: dst=0 src0=0 src1=0 src2=0
	v_bitop3_b32 v150, v150, v165, v163 bitop3:0x80
	v_lshl_add_u32 v160, v160, 2, v12
	v_xor_b32_e32 v177, s19, v177
	v_xor_b32_e32 v161, s14, v161
	s_delay_alu instid0(VALU_DEP_3) | instskip(NEXT) | instid1(VALU_DEP_3)
	v_dual_add_nc_u32 v178, 32, v160 :: v_dual_bitop2_b32 v151, s15, v151 bitop3:0x14
	v_bitop3_b32 v150, v150, v177, v167 bitop3:0x80
	ds_load_b32 v228, v160 offset:32
	; wave barrier
	v_bitop3_b32 v150, v150, v151, v161 bitop3:0x80
	s_delay_alu instid0(VALU_DEP_1) | instskip(SKIP_1) | instid1(VALU_DEP_2)
	v_mbcnt_lo_u32_b32 v229, v150, 0
	v_cmp_ne_u32_e64 s15, 0, v150
	v_cmp_eq_u32_e64 s14, 0, v229
	s_and_b32 s15, s15, s14
	s_delay_alu instid0(SALU_CYCLE_1)
	s_and_saveexec_b32 s14, s15
	s_cbranch_execz .LBB288_88
; %bb.87:                               ;   in Loop: Header=BB288_56 Depth=1
	s_wait_dscnt 0x0
	v_bcnt_u32_b32 v150, v150, v228
	ds_store_b32 v178, v150
.LBB288_88:                             ;   in Loop: Header=BB288_56 Depth=1
	s_or_b32 exec_lo, exec_lo, s14
	v_lshrrev_b32_e32 v114, v10, v114
	; wave barrier
	s_delay_alu instid0(VALU_DEP_1) | instskip(SKIP_1) | instid1(VALU_DEP_2)
	v_and_b32_e32 v150, v114, v102
	v_bitop3_b32 v102, v114, 1, v102 bitop3:0x80
	v_dual_lshlrev_b32 v160, 30, v150 :: v_dual_lshlrev_b32 v161, 29, v150
	s_delay_alu instid0(VALU_DEP_2) | instskip(NEXT) | instid1(VALU_DEP_1)
	v_add_co_u32 v102, s14, v102, -1
	v_cndmask_b32_e64 v151, 0, 1, s14
	s_delay_alu instid0(VALU_DEP_3) | instskip(NEXT) | instid1(VALU_DEP_4)
	v_cmp_gt_i32_e64 s15, 0, v160
	v_cmp_gt_i32_e64 s16, 0, v161
	s_delay_alu instid0(VALU_DEP_3) | instskip(SKIP_2) | instid1(VALU_DEP_1)
	v_cmp_ne_u32_e64 s14, 0, v151
	v_not_b32_e32 v151, v160
	v_not_b32_e32 v160, v161
	v_dual_ashrrev_i32 v151, 31, v151 :: v_dual_ashrrev_i32 v160, 31, v160
	v_dual_lshlrev_b32 v163, 28, v150 :: v_dual_lshlrev_b32 v165, 27, v150
	s_set_vgpr_msb 16                       ;  msbs: dst=0 src0=0 src1=0 src2=1
	v_lshl_add_u32 v114, v150, 3, v27 /*v283*/
	v_dual_lshlrev_b32 v167, 26, v150 :: v_dual_lshlrev_b32 v177, 25, v150
	s_delay_alu instid0(VALU_DEP_3)
	v_not_b32_e32 v161, v163
	v_lshlrev_b32_e32 v150, 24, v150
	v_cmp_gt_i32_e64 s17, 0, v163
	v_xor_b32_e32 v151, s15, v151
	v_not_b32_e32 v163, v165
	v_dual_ashrrev_i32 v161, 31, v161 :: v_dual_bitop2_b32 v102, s14, v102 bitop3:0x14
	v_not_b32_e32 v179, v167
	v_xor_b32_e32 v160, s16, v160
	v_cmp_gt_i32_e64 s14, 0, v165
	s_delay_alu instid0(VALU_DEP_4)
	v_bitop3_b32 v102, v102, v151, exec_lo bitop3:0x80
	v_dual_ashrrev_i32 v151, 31, v163 :: v_dual_bitop2_b32 v161, s17, v161 bitop3:0x14
	v_cmp_gt_i32_e64 s15, 0, v167
	v_ashrrev_i32_e32 v163, 31, v179
	s_set_vgpr_msb 0                        ;  msbs: dst=0 src0=0 src1=0 src2=0
	v_bitop3_b32 v102, v102, v161, v160 bitop3:0x80
	v_not_b32_e32 v160, v177
	v_not_b32_e32 v161, v150
	v_xor_b32_e32 v151, s14, v151
	v_xor_b32_e32 v163, s15, v163
	v_cmp_gt_i32_e64 s14, 0, v177
	v_ashrrev_i32_e32 v160, 31, v160
	v_cmp_gt_i32_e64 s15, 0, v150
	v_ashrrev_i32_e32 v150, 31, v161
	v_lshl_add_u32 v161, v114, 2, v12
	s_delay_alu instid0(VALU_DEP_1) | instskip(SKIP_4) | instid1(VALU_DEP_1)
	v_dual_add_nc_u32 v180, 32, v161 :: v_dual_bitop2_b32 v150, s15, v150 bitop3:0x14
	v_bitop3_b32 v114, v102, v163, v151 bitop3:0x80
	v_xor_b32_e32 v151, s14, v160
	ds_load_b32 v102, v161 offset:32
	; wave barrier
	v_bitop3_b32 v150, v114, v150, v151 bitop3:0x80
	v_mbcnt_lo_u32_b32 v114, v150, 0
	v_cmp_ne_u32_e64 s15, 0, v150
	s_delay_alu instid0(VALU_DEP_2) | instskip(SKIP_1) | instid1(SALU_CYCLE_1)
	v_cmp_eq_u32_e64 s14, 0, v114
	s_and_b32 s15, s15, s14
	s_and_saveexec_b32 s14, s15
	s_cbranch_execz .LBB288_90
; %bb.89:                               ;   in Loop: Header=BB288_56 Depth=1
	s_wait_dscnt 0x0
	v_bcnt_u32_b32 v150, v150, v102
	ds_store_b32 v180, v150
.LBB288_90:                             ;   in Loop: Header=BB288_56 Depth=1
	s_or_b32 exec_lo, exec_lo, s14
	; wave barrier
	s_wait_dscnt 0x0
	s_barrier_signal -1
	s_barrier_wait -1
	ds_load_b32 v151, v15
	ds_load_b32 v150, v39
	s_set_vgpr_msb 1                        ;  msbs: dst=0 src0=1 src1=0 src2=0
	ds_load_b32 v163, v21 /*v277*/
	ds_load_b32 v167, v22 /*v278*/
	;; [unrolled: 1-line block ×6, first 2 shown]
	s_wait_dscnt 0x6
	s_set_vgpr_msb 0                        ;  msbs: dst=0 src0=0 src1=0 src2=0
	v_add_nc_u32_e32 v161, v150, v151
	s_wait_dscnt 0x4
	s_delay_alu instid0(VALU_DEP_1) | instskip(SKIP_1) | instid1(VALU_DEP_1)
	v_add3_u32 v161, v161, v163, v167
	s_wait_dscnt 0x2
	v_add3_u32 v161, v161, v183, v192
	s_wait_dscnt 0x0
	s_delay_alu instid0(VALU_DEP_1) | instskip(NEXT) | instid1(VALU_DEP_1)
	v_add3_u32 v160, v161, v182, v160
	v_mov_b32_dpp v161, v160 row_shr:1 row_mask:0xf bank_mask:0xf
	s_delay_alu instid0(VALU_DEP_1) | instskip(NEXT) | instid1(VALU_DEP_1)
	v_cndmask_b32_e64 v161, v161, 0, vcc_lo
	v_add_nc_u32_e32 v160, v161, v160
	s_delay_alu instid0(VALU_DEP_1) | instskip(NEXT) | instid1(VALU_DEP_1)
	v_mov_b32_dpp v161, v160 row_shr:2 row_mask:0xf bank_mask:0xf
	v_cndmask_b32_e64 v161, 0, v161, s0
	s_delay_alu instid0(VALU_DEP_1) | instskip(NEXT) | instid1(VALU_DEP_1)
	v_add_nc_u32_e32 v160, v160, v161
	v_mov_b32_dpp v161, v160 row_shr:4 row_mask:0xf bank_mask:0xf
	s_delay_alu instid0(VALU_DEP_1) | instskip(NEXT) | instid1(VALU_DEP_1)
	v_cndmask_b32_e64 v161, 0, v161, s1
	v_add_nc_u32_e32 v160, v160, v161
	s_delay_alu instid0(VALU_DEP_1) | instskip(NEXT) | instid1(VALU_DEP_1)
	v_mov_b32_dpp v161, v160 row_shr:8 row_mask:0xf bank_mask:0xf
	v_cndmask_b32_e64 v161, 0, v161, s2
	s_delay_alu instid0(VALU_DEP_1) | instskip(SKIP_3) | instid1(VALU_DEP_1)
	v_add_nc_u32_e32 v160, v160, v161
	ds_swizzle_b32 v161, v160 offset:swizzle(BROADCAST,32,15)
	s_wait_dscnt 0x0
	v_cndmask_b32_e64 v161, v161, 0, s4
	v_add_nc_u32_e32 v160, v160, v161
	s_and_saveexec_b32 s14, s5
; %bb.91:                               ;   in Loop: Header=BB288_56 Depth=1
	ds_store_b32 v5, v160
; %bb.92:                               ;   in Loop: Header=BB288_56 Depth=1
	s_or_b32 exec_lo, exec_lo, s14
	s_wait_dscnt 0x0
	s_barrier_signal -1
	s_barrier_wait -1
	s_and_saveexec_b32 s14, s6
	s_cbranch_execz .LBB288_94
; %bb.93:                               ;   in Loop: Header=BB288_56 Depth=1
	ds_load_b32 v161, v17
	s_wait_dscnt 0x0
	v_mov_b32_dpp v165, v161 row_shr:1 row_mask:0xf bank_mask:0xf
	s_delay_alu instid0(VALU_DEP_1) | instskip(NEXT) | instid1(VALU_DEP_1)
	v_cndmask_b32_e64 v165, v165, 0, s11
	v_add_nc_u32_e32 v161, v165, v161
	s_delay_alu instid0(VALU_DEP_1) | instskip(NEXT) | instid1(VALU_DEP_1)
	v_mov_b32_dpp v165, v161 row_shr:2 row_mask:0xf bank_mask:0xf
	v_cndmask_b32_e64 v165, 0, v165, s12
	s_delay_alu instid0(VALU_DEP_1) | instskip(NEXT) | instid1(VALU_DEP_1)
	v_add_nc_u32_e32 v161, v161, v165
	v_mov_b32_dpp v165, v161 row_shr:4 row_mask:0xf bank_mask:0xf
	s_delay_alu instid0(VALU_DEP_1) | instskip(NEXT) | instid1(VALU_DEP_1)
	v_cndmask_b32_e64 v165, 0, v165, s13
	v_add_nc_u32_e32 v161, v161, v165
	ds_store_b32 v17, v161
.LBB288_94:                             ;   in Loop: Header=BB288_56 Depth=1
	s_or_b32 exec_lo, exec_lo, s14
	v_mov_b32_e32 v161, 0
	s_wait_dscnt 0x0
	s_barrier_signal -1
	s_barrier_wait -1
	s_and_saveexec_b32 s14, s7
; %bb.95:                               ;   in Loop: Header=BB288_56 Depth=1
	v_add_nc_u32_e32 v161, -4, v5
	ds_load_b32 v161, v161
; %bb.96:                               ;   in Loop: Header=BB288_56 Depth=1
	s_or_b32 exec_lo, exec_lo, s14
	s_wait_dscnt 0x0
	v_add_nc_u32_e32 v160, v161, v160
	v_dual_mov_b32 v177, v1 :: v_dual_mov_b32 v181, v1
	v_dual_mov_b32 v179, v1 :: v_dual_mov_b32 v193, v1
	s_set_vgpr_msb 1                        ;  msbs: dst=0 src0=1 src1=0 src2=0
	ds_bpermute_b32 v160, v28 /*v284*/, v160
	s_set_vgpr_msb 0                        ;  msbs: dst=0 src0=0 src1=0 src2=0
	v_dual_mov_b32 v199, v1 :: v_dual_mov_b32 v197, v1
	v_dual_mov_b32 v209, v1 :: v_dual_mov_b32 v211, v1
	v_mov_b32_e32 v195, v1
	s_set_vgpr_msb 64                       ;  msbs: dst=1 src0=0 src1=0 src2=0
	v_dual_mov_b32 v54 /*v310*/, v18 :: v_dual_lshrrev_b32 v55 /*v311*/, 8, v18
	v_dual_lshrrev_b32 v56 /*v312*/, 16, v18 :: v_dual_lshrrev_b32 v57 /*v313*/, 8, v19
	v_dual_lshrrev_b32 v58 /*v314*/, 16, v19 :: v_dual_lshrrev_b32 v53 /*v309*/, 16, v54
	s_mov_b32 s16, -1
	s_wait_dscnt 0x0
	s_set_vgpr_msb 0                        ;  msbs: dst=0 src0=0 src1=0 src2=0
	v_dual_mov_b32 v165, v1 :: v_dual_cndmask_b32 v160, v160, v161, s3
	s_delay_alu instid0(VALU_DEP_1) | instskip(SKIP_1) | instid1(VALU_DEP_2)
	v_cndmask_b32_e64 v196, v160, 0, s10
	v_lshrrev_b64 v[160:161], 24, v[18:19]
	v_dual_lshrrev_b32 v161, 8, v54 :: v_dual_add_nc_u32 v198, v196, v151
	s_delay_alu instid0(VALU_DEP_1)
	v_add_nc_u32_e32 v208, v198, v150
	v_lshrrev_b64 v[150:151], 24, v[54:55]
	v_dual_lshrrev_b32 v151, 8, v55 :: v_dual_add_nc_u32 v10, 8, v10
	ds_store_b32 v15, v196
	ds_store_b32 v39, v198
	s_set_vgpr_msb 1                        ;  msbs: dst=0 src0=1 src1=0 src2=0
	ds_store_b32 v21 /*v277*/, v208
	s_set_vgpr_msb 0                        ;  msbs: dst=0 src0=0 src1=0 src2=0
	v_dual_add_nc_u32 v213, v208, v163 :: v_dual_mov_b32 v163, v1
	v_cmp_lt_u32_e64 s14, v10, v11
	s_delay_alu instid0(VALU_DEP_2) | instskip(NEXT) | instid1(VALU_DEP_1)
	v_add_nc_u32_e32 v215, v213, v167
	v_dual_mov_b32 v167, v1 :: v_dual_add_nc_u32 v225, v215, v183
	v_mov_b32_e32 v183, v1
	s_delay_alu instid0(VALU_DEP_2) | instskip(NEXT) | instid1(VALU_DEP_1)
	v_add_nc_u32_e32 v192, v225, v192
	v_add_nc_u32_e32 v182, v192, v182
	s_set_vgpr_msb 1                        ;  msbs: dst=0 src0=1 src1=0 src2=0
	ds_store_b32 v22 /*v278*/, v213
	ds_store_b32 v23 /*v279*/, v215
	;; [unrolled: 1-line block ×5, first 2 shown]
	s_wait_dscnt 0x0
	s_barrier_signal -1
	s_barrier_wait -1
	s_set_vgpr_msb 0                        ;  msbs: dst=0 src0=0 src1=0 src2=0
	ds_load_b32 v84, v84
	ds_load_b32 v87, v87
	;; [unrolled: 1-line block ×17, first 2 shown]
	v_dual_mov_b32 v213, v1 :: v_dual_mov_b32 v215, v1
	s_wait_dscnt 0x10
	v_dual_mov_b32 v225, v1 :: v_dual_add_nc_u32 v0, v84, v0
	s_wait_dscnt 0xf
	v_add3_u32 v176, v86, v85, v87
	s_wait_dscnt 0xe
	v_add3_u32 v180, v97, v96, v98
	;; [unrolled: 2-line block ×16, first 2 shown]
	v_add_nc_u64_e32 v[226:227], v[12:13], v[0:1]
	v_add_nc_u64_e32 v[228:229], v[12:13], v[176:177]
	;; [unrolled: 1-line block ×7, first 2 shown]
	s_set_vgpr_msb 64                       ;  msbs: dst=1 src0=0 src1=0 src2=0
	v_add_nc_u64_e32 v[0:1] /*v[256:257]*/, v[12:13], v[198:199]
	v_add_nc_u64_e32 v[2:3] /*v[258:259]*/, v[12:13], v[166:167]
	;; [unrolled: 1-line block ×10, first 2 shown]
	s_set_vgpr_msb 0                        ;  msbs: dst=0 src0=0 src1=0 src2=0
	v_lshrrev_b32_e32 v165, 16, v55
                                        ; implicit-def: $vgpr163
                                        ; implicit-def: $vgpr179
                                        ; implicit-def: $vgpr177
                                        ; implicit-def: $vgpr167
                                        ; implicit-def: $vgpr84_vgpr85
                                        ; implicit-def: $vgpr86_vgpr87
                                        ; implicit-def: $vgpr96_vgpr97
                                        ; implicit-def: $vgpr98_vgpr99
                                        ; implicit-def: $vgpr100_vgpr101
                                        ; implicit-def: $vgpr102_vgpr103
                                        ; implicit-def: $vgpr112_vgpr113
                                        ; implicit-def: $vgpr114_vgpr115
                                        ; implicit-def: $vgpr116_vgpr117
                                        ; implicit-def: $vgpr130_vgpr131
                                        ; implicit-def: $vgpr132_vgpr133
                                        ; implicit-def: $vgpr134_vgpr135
                                        ; implicit-def: $vgpr118_vgpr119
                                        ; implicit-def: $vgpr128_vgpr129
                                        ; implicit-def: $vgpr144_vgpr145
                                        ; implicit-def: $vgpr146_vgpr147
                                        ; implicit-def: $vgpr148_vgpr149
	s_and_saveexec_b32 s15, s14
	s_cbranch_execz .LBB288_55
; %bb.97:                               ;   in Loop: Header=BB288_56 Depth=1
	v_dual_add_nc_u32 v84, 64, v4 :: v_dual_add_nc_u32 v85, 32, v4
	s_barrier_signal -1
	s_barrier_wait -1
	ds_store_b8 v226, v18
	s_set_vgpr_msb 4                        ;  msbs: dst=0 src0=0 src1=1 src2=0
	ds_store_b8 v228, v55 /*v311*/
	ds_store_b8 v230, v56 /*v312*/
	s_set_vgpr_msb 0                        ;  msbs: dst=0 src0=0 src1=0 src2=0
	ds_store_b8 v240, v160
	ds_store_b8 v242, v19
	s_set_vgpr_msb 4                        ;  msbs: dst=0 src0=0 src1=1 src2=0
	ds_store_b8 v244, v57 /*v313*/
	ds_store_b8 v246, v58 /*v314*/
	s_set_vgpr_msb 5                        ;  msbs: dst=0 src0=1 src1=1 src2=0
	ds_store_b8 v0 /*v256*/, v51 /*v307*/
	s_set_vgpr_msb 1                        ;  msbs: dst=0 src0=1 src1=0 src2=0
	ds_store_b8 v2 /*v258*/, v54
	ds_store_b8 v4 /*v260*/, v161
	s_set_vgpr_msb 5                        ;  msbs: dst=0 src0=1 src1=1 src2=0
	ds_store_b8 v6 /*v262*/, v53 /*v309*/
	s_set_vgpr_msb 1                        ;  msbs: dst=0 src0=1 src1=0 src2=0
	ds_store_b8 v8 /*v264*/, v150
	ds_store_b8 v10 /*v266*/, v55
	;; [unrolled: 1-line block ×4, first 2 shown]
	s_set_vgpr_msb 5                        ;  msbs: dst=0 src0=1 src1=1 src2=0
	ds_store_b8 v16 /*v272*/, v52 /*v308*/
	ds_store_b8 v18 /*v274*/, v50 /*v306*/
	s_set_vgpr_msb 1                        ;  msbs: dst=0 src0=1 src1=0 src2=0
	v_add_nc_u32_e32 v18, 0x60, v4
	s_wait_dscnt 0x0
	s_barrier_signal -1
	s_barrier_wait -1
	ds_load_u8 v163, v32 /*v288*/
	s_set_vgpr_msb 0                        ;  msbs: dst=0 src0=0 src1=0 src2=0
	ds_load_u8 v18, v18
	ds_load_u8 v144, v84
	v_add_nc_u32_e32 v84, 0xe0, v4
	v_add_nc_u32_e32 v86, 0xc0, v4
	;; [unrolled: 1-line block ×3, first 2 shown]
	ds_load_u8 v145, v85
	ds_load_u8 v146, v4
	ds_load_u8 v147, v84
	ds_load_u8 v148, v86
	ds_load_u8 v149, v87
	v_add_nc_u32_e32 v84, 0x80, v4
	v_add_nc_u32_e32 v85, 0x160, v4
	;; [unrolled: 1-line block ×5, first 2 shown]
	ds_load_u8 v167, v84
	ds_load_u8 v177, v85
	;; [unrolled: 1-line block ×5, first 2 shown]
	s_set_vgpr_msb 1                        ;  msbs: dst=0 src0=1 src1=0 src2=0
	ds_load_u8 v193, v31 /*v287*/
	ds_load_u8 v195, v30 /*v286*/
	;; [unrolled: 1-line block ×3, first 2 shown]
	s_set_vgpr_msb 0                        ;  msbs: dst=0 src0=0 src1=0 src2=0
	v_mad_nc_u64_u32 v[84:85], v0, 7, v[226:227]
	v_mad_nc_u64_u32 v[86:87], v176, 7, v[228:229]
	v_mad_nc_u64_u32 v[96:97], v180, 7, v[230:231]
	v_mad_nc_u64_u32 v[98:99], v162, 7, v[240:241]
	v_mad_nc_u64_u32 v[100:101], v164, 7, v[242:243]
	v_mad_nc_u64_u32 v[102:103], v178, 7, v[244:245]
	v_add_nc_u32_e32 v85, 0x180, v4
	s_set_vgpr_msb 16                       ;  msbs: dst=0 src0=0 src1=0 src2=1
	v_mad_nc_u64_u32 v[112:113], v210, 7, v[10:11] /*v[266:267]*/
	v_mad_nc_u64_u32 v[114:115], v194, 7, v[12:13] /*v[268:269]*/
	;; [unrolled: 1-line block ×4, first 2 shown]
	ds_load_u8 v199, v85
	s_wait_dscnt 0x0
	s_barrier_signal -1
	s_barrier_wait -1
	ds_store_b64 v84, v[32:33]
	ds_store_b64 v86, v[52:53]
	;; [unrolled: 1-line block ×6, first 2 shown]
	s_set_vgpr_msb 0                        ;  msbs: dst=0 src0=0 src1=0 src2=0
	v_mad_nc_u64_u32 v[84:85], v192, 7, v[246:247]
	s_set_vgpr_msb 16                       ;  msbs: dst=0 src0=0 src1=0 src2=1
	v_mad_nc_u64_u32 v[86:87], v198, 7, v[0:1] /*v[256:257]*/
	v_mad_nc_u64_u32 v[96:97], v166, 7, v[2:3] /*v[258:259]*/
	;; [unrolled: 1-line block ×6, first 2 shown]
	ds_store_b64 v84, v[48:49]
	ds_store_b64 v86, v[36:37]
	;; [unrolled: 1-line block ×11, first 2 shown]
	s_wait_dscnt 0x0
	s_barrier_signal -1
	s_barrier_wait -1
	ds_load_b64 v[84:85], v16
	s_set_vgpr_msb 1                        ;  msbs: dst=0 src0=1 src1=0 src2=0
	ds_load_b64 v[86:87], v33 /*v289*/
	ds_load_b64 v[96:97], v34 /*v290*/
	;; [unrolled: 1-line block ×11, first 2 shown]
	s_set_vgpr_msb 0                        ;  msbs: dst=0 src0=0 src1=0 src2=0
	v_perm_b32 v209, v146, v145, 0xc0c0004
	s_set_vgpr_msb 1                        ;  msbs: dst=0 src0=1 src1=0 src2=0
	ds_load_b64 v[118:119], v44 /*v300*/
	s_set_vgpr_msb 0                        ;  msbs: dst=0 src0=0 src1=0 src2=0
	v_perm_b32 v18, v144, v18, 0xc0c0004
	v_perm_b32 v167, v167, v149, 0xc0c0004
	s_set_vgpr_msb 1                        ;  msbs: dst=0 src0=1 src1=0 src2=0
	ds_load_b64 v[128:129], v45 /*v301*/
	s_set_vgpr_msb 0                        ;  msbs: dst=0 src0=0 src1=0 src2=0
	v_perm_b32 v211, v148, v147, 0xc0c0004
	s_set_vgpr_msb 1                        ;  msbs: dst=0 src0=1 src1=0 src2=0
	ds_load_b64 v[144:145], v46 /*v302*/
	ds_load_b64 v[146:147], v47 /*v303*/
	;; [unrolled: 1-line block ×3, first 2 shown]
	s_set_vgpr_msb 0                        ;  msbs: dst=0 src0=0 src1=0 src2=0
	v_perm_b32 v181, v183, v181, 0xc0c0004
	v_perm_b32 v177, v179, v177, 0xc0c0004
	;; [unrolled: 1-line block ×4, first 2 shown]
	v_lshl_or_b32 v18, v18, 16, v209
	v_lshl_or_b32 v167, v211, 16, v167
	v_lshl_or_b32 v177, v177, 16, v181
	s_set_vgpr_msb 0x44                     ;  msbs: dst=1 src0=0 src1=1 src2=0
	v_add_nc_u32_e32 v49 /*v305*/, -8, v49 /*v305*/
	s_set_vgpr_msb 0                        ;  msbs: dst=0 src0=0 src1=0 src2=0
	v_lshl_or_b32 v179, v183, 16, v179
	s_xor_b32 s16, exec_lo, -1
	s_wait_dscnt 0x0
	s_barrier_signal -1
	s_barrier_wait -1
	s_branch .LBB288_55
.LBB288_98:
	s_or_b32 exec_lo, exec_lo, s26
	v_dual_add_nc_u32 v1, v12, v14 :: v_dual_mov_b32 v39, 0
	v_lshl_add_u32 v0, v0, 3, v12
	v_lshl_add_u32 v10, v176, 3, v12
	;; [unrolled: 1-line block ×3, first 2 shown]
	s_barrier_signal -1
	s_barrier_wait -1
	s_set_vgpr_msb 4                        ;  msbs: dst=0 src0=0 src1=1 src2=0
	ds_store_b8 v226, v54 /*v310*/
	ds_store_b8 v228, v55 /*v311*/
	;; [unrolled: 1-line block ×3, first 2 shown]
	s_set_vgpr_msb 0                        ;  msbs: dst=0 src0=0 src1=0 src2=0
	ds_store_b8 v240, v160
	ds_store_b8 v242, v19
	s_set_vgpr_msb 4                        ;  msbs: dst=0 src0=0 src1=1 src2=0
	ds_store_b8 v244, v57 /*v313*/
	ds_store_b8 v246, v58 /*v314*/
	s_set_vgpr_msb 5                        ;  msbs: dst=0 src0=1 src1=1 src2=0
	ds_store_b8 v0 /*v256*/, v51 /*v307*/
	s_set_vgpr_msb 1                        ;  msbs: dst=0 src0=1 src1=0 src2=0
	ds_store_b8 v2 /*v258*/, v54
	ds_store_b8 v4 /*v260*/, v161
	s_set_vgpr_msb 5                        ;  msbs: dst=0 src0=1 src1=1 src2=0
	ds_store_b8 v6 /*v262*/, v53 /*v309*/
	s_set_vgpr_msb 1                        ;  msbs: dst=0 src0=1 src1=0 src2=0
	ds_store_b8 v8 /*v264*/, v150
	ds_store_b8 v10 /*v266*/, v55
	;; [unrolled: 1-line block ×4, first 2 shown]
	s_set_vgpr_msb 5                        ;  msbs: dst=0 src0=1 src1=1 src2=0
	ds_store_b8 v16 /*v272*/, v52 /*v308*/
	ds_store_b8 v18 /*v274*/, v50 /*v306*/
	s_wait_dscnt 0x0
	s_barrier_signal -1
	s_barrier_wait -1
	s_set_vgpr_msb 0                        ;  msbs: dst=0 src0=0 src1=0 src2=0
	ds_load_u8 v112, v1
	ds_load_u8 v103, v1 offset:256
	ds_load_u8 v102, v1 offset:512
	;; [unrolled: 1-line block ×16, first 2 shown]
	s_wait_dscnt 0x0
	s_barrier_signal -1
	s_barrier_wait -1
	ds_store_b64 v0, v[32:33]
	ds_store_b64 v10, v[52:53]
	;; [unrolled: 1-line block ×3, first 2 shown]
	v_lshl_add_u32 v0, v162, 3, v12
	v_lshl_add_u32 v10, v164, 3, v12
	;; [unrolled: 1-line block ×5, first 2 shown]
	ds_store_b64 v0, v[24:25]
	ds_store_b64 v10, v[22:23]
	;; [unrolled: 1-line block ×5, first 2 shown]
	v_lshl_add_u32 v0, v166, 3, v12
	v_lshl_add_u32 v10, v182, 3, v12
	;; [unrolled: 1-line block ×5, first 2 shown]
	ds_store_b64 v0, v[30:31]
	ds_store_b64 v10, v[28:29]
	;; [unrolled: 1-line block ×5, first 2 shown]
	v_lshl_add_u32 v0, v194, 3, v12
	v_mul_u32_u24_e32 v13, 7, v14
	v_lshl_add_u32 v10, v212, 3, v12
	v_lshl_add_u32 v11, v214, 3, v12
	;; [unrolled: 1-line block ×3, first 2 shown]
	ds_store_b64 v0, v[66:67]
	ds_store_b64 v10, v[70:71]
	;; [unrolled: 1-line block ×4, first 2 shown]
	v_add_nc_u32_e32 v0, v1, v13
	s_wait_dscnt 0x0
	s_barrier_signal -1
	s_barrier_wait -1
	ds_load_2addr_stride64_b64 v[48:51], v0 offset1:4
	ds_load_2addr_stride64_b64 v[34:37], v0 offset0:8 offset1:12
	ds_load_2addr_stride64_b64 v[30:33], v0 offset0:16 offset1:20
	;; [unrolled: 1-line block ×7, first 2 shown]
	ds_load_b64 v[0:1], v0 offset:32768
	v_add_nc_u64_e32 v[2:3], v[2:3], v[8:9]
	s_set_vgpr_msb 4                        ;  msbs: dst=0 src0=0 src1=1 src2=0
	v_cmp_lt_u32_e32 vcc_lo, v38, v20 /*v276*/
	s_wait_dscnt 0x0
	s_barrier_signal -1
	s_barrier_wait -1
	s_set_vgpr_msb 0                        ;  msbs: dst=0 src0=0 src1=0 src2=0
	v_add_nc_u64_e32 v[2:3], v[2:3], v[38:39]
	s_and_saveexec_b32 s0, vcc_lo
	s_cbranch_execz .LBB288_100
; %bb.99:
	v_xor_b32_e32 v52, 0x7f, v112
	flat_store_b8 v[2:3], v52
.LBB288_100:
	s_wait_xcnt 0x0
	s_or_b32 exec_lo, exec_lo, s0
	v_add_nc_u32_e32 v52, 0x100, v38
	s_set_vgpr_msb 4                        ;  msbs: dst=0 src0=0 src1=1 src2=0
	s_delay_alu instid0(VALU_DEP_1)
	v_cmp_lt_u32_e64 s0, v52, v20 /*v276*/
	s_and_saveexec_b32 s1, s0
	s_set_vgpr_msb 0                        ;  msbs: dst=0 src0=0 src1=0 src2=0
	s_cbranch_execz .LBB288_102
; %bb.101:
	v_xor_b32_e32 v52, 0x7f, v103
	flat_store_b8 v[2:3], v52 offset:256
.LBB288_102:
	s_wait_xcnt 0x0
	s_or_b32 exec_lo, exec_lo, s1
	v_add_nc_u32_e32 v52, 0x200, v38
	s_set_vgpr_msb 4                        ;  msbs: dst=0 src0=0 src1=1 src2=0
	s_delay_alu instid0(VALU_DEP_1)
	v_cmp_lt_u32_e64 s1, v52, v20 /*v276*/
	s_and_saveexec_b32 s2, s1
	s_set_vgpr_msb 0                        ;  msbs: dst=0 src0=0 src1=0 src2=0
	s_cbranch_execz .LBB288_104
; %bb.103:
	v_xor_b32_e32 v52, 0x7f, v102
	flat_store_b8 v[2:3], v52 offset:512
.LBB288_104:
	;; [unrolled: 13-line block ×16, first 2 shown]
	s_wait_xcnt 0x0
	s_or_b32 exec_lo, exec_lo, s18
	v_lshl_add_u64 v[2:3], v[8:9], 3, v[6:7]
	s_delay_alu instid0(VALU_DEP_1)
	v_lshl_add_u64 v[2:3], v[38:39], 3, v[2:3]
	s_and_saveexec_b32 s18, vcc_lo
	s_cbranch_execnz .LBB288_220
; %bb.133:
	s_or_b32 exec_lo, exec_lo, s18
	s_and_saveexec_b32 s18, s0
	s_cbranch_execnz .LBB288_221
.LBB288_134:
	s_or_b32 exec_lo, exec_lo, s18
	s_and_saveexec_b32 s0, s1
	s_cbranch_execnz .LBB288_222
.LBB288_135:
	s_or_b32 exec_lo, exec_lo, s0
	s_and_saveexec_b32 s0, s2
	s_cbranch_execnz .LBB288_223
.LBB288_136:
	s_or_b32 exec_lo, exec_lo, s0
	s_and_saveexec_b32 s0, s3
	s_cbranch_execnz .LBB288_224
.LBB288_137:
	s_or_b32 exec_lo, exec_lo, s0
	s_and_saveexec_b32 s0, s4
	s_cbranch_execnz .LBB288_225
.LBB288_138:
	s_or_b32 exec_lo, exec_lo, s0
	s_and_saveexec_b32 s0, s5
	s_cbranch_execnz .LBB288_226
.LBB288_139:
	s_or_b32 exec_lo, exec_lo, s0
	s_and_saveexec_b32 s0, s6
	s_cbranch_execnz .LBB288_227
.LBB288_140:
	s_or_b32 exec_lo, exec_lo, s0
	s_and_saveexec_b32 s0, s7
	s_cbranch_execnz .LBB288_228
.LBB288_141:
	s_or_b32 exec_lo, exec_lo, s0
	s_and_saveexec_b32 s0, s10
	s_cbranch_execnz .LBB288_229
.LBB288_142:
	s_or_b32 exec_lo, exec_lo, s0
	s_and_saveexec_b32 s0, s11
	s_cbranch_execnz .LBB288_230
.LBB288_143:
	s_or_b32 exec_lo, exec_lo, s0
	s_and_saveexec_b32 s0, s12
	s_cbranch_execnz .LBB288_231
.LBB288_144:
	s_or_b32 exec_lo, exec_lo, s0
	s_and_saveexec_b32 s0, s13
	s_cbranch_execnz .LBB288_232
.LBB288_145:
	s_or_b32 exec_lo, exec_lo, s0
	s_and_saveexec_b32 s0, s14
	s_cbranch_execnz .LBB288_233
.LBB288_146:
	s_or_b32 exec_lo, exec_lo, s0
	s_and_saveexec_b32 s0, s15
	s_cbranch_execnz .LBB288_234
.LBB288_147:
	s_or_b32 exec_lo, exec_lo, s0
	s_and_saveexec_b32 s0, s16
	s_cbranch_execnz .LBB288_235
.LBB288_148:
	s_or_b32 exec_lo, exec_lo, s0
	s_and_saveexec_b32 s0, s17
	s_cbranch_execz .LBB288_150
.LBB288_149:
	flat_store_b64 v[2:3], v[0:1] offset:32768
.LBB288_150:
	s_wait_xcnt 0x0
	s_or_b32 exec_lo, exec_lo, s0
                                        ; implicit-def: $vgpr276
                                        ; implicit-def: $vgpr8
                                        ; implicit-def: $vgpr10
                                        ; implicit-def: $vgpr11
                                        ; implicit-def: $vgpr0_vgpr1
                                        ; implicit-def: $vgpr2_vgpr3
                                        ; implicit-def: $vgpr4_vgpr5
                                        ; implicit-def: $vgpr6_vgpr7
                                        ; implicit-def: $vgpr12_vgpr13
                                        ; implicit-def: $vgpr9
                                        ; implicit-def: $vgpr15
                                        ; implicit-def: $vgpr14
                                        ; implicit-def: $vgpr16
.LBB288_151:
	s_and_not1_saveexec_b32 s0, s24
	s_cbranch_execz .LBB288_382
; %bb.152:
	s_mov_b32 s0, exec_lo
	s_set_vgpr_msb 4                        ;  msbs: dst=0 src0=0 src1=1 src2=0
	v_cmpx_lt_u32_e32 0x400, v20 /*v276*/
	s_xor_b32 s24, exec_lo, s0
	s_set_vgpr_msb 0                        ;  msbs: dst=0 src0=0 src1=0 src2=0
	s_cbranch_execz .LBB288_262
; %bb.153:
	s_load_b64 s[0:1], s[8:9], 0x0
	s_bfe_u32 s3, ttmp6, 0x4000c
	s_bfe_u32 s5, ttmp6, 0x40010
	s_and_b32 s4, ttmp7, 0xffff
	s_add_co_i32 s3, s3, 1
	s_add_co_i32 s5, s5, 1
	s_and_b32 s2, ttmp6, 15
	s_bfe_u32 s6, ttmp6, 0x40004
	s_mul_i32 s3, ttmp9, s3
	s_mul_i32 s5, s4, s5
	s_add_co_i32 s2, s2, s3
	s_add_co_i32 s6, s6, s5
	s_cmp_eq_u32 s23, 0
	s_mov_b32 s3, 0
	s_cselect_b32 s2, ttmp9, s2
	s_cselect_b32 s4, s4, s6
	v_dual_mov_b32 v21, 0x80 :: v_dual_mov_b32 v22, 0x80
	v_mov_b32_e32 v23, 0x80
	v_mov_b32_e32 v25, 0x80
	s_wait_kmcnt 0x0
	s_cmp_lt_u32 s2, s0
	v_mov_b32_e32 v24, 0x80
	s_cselect_b32 s2, 12, 18
	s_cmp_lt_u32 s4, s1
	s_mov_b32 s1, s3
	s_cselect_b32 s0, 14, 20
	v_mov_b32_e32 v20, 0x80
	s_add_nc_u64 s[0:1], s[8:9], s[0:1]
	s_load_u16 s4, s[0:1], 0x0
	s_wait_xcnt 0x0
	s_add_nc_u64 s[0:1], s[8:9], s[2:3]
	s_load_u16 s0, s[0:1], 0x0
	s_wait_kmcnt 0x0
	v_mad_u32_u24 v9, v15, s4, v9
	v_mov_b32_e32 v15, 0x80
	s_delay_alu instid0(VALU_DEP_2) | instskip(SKIP_1) | instid1(VALU_DEP_1)
	v_mad_u32 v26, v9, s0, v14
	v_mov_b32_e32 v9, 0
	v_add_nc_u64_e32 v[18:19], v[0:1], v[8:9]
	s_delay_alu instid0(VALU_DEP_3) | instskip(NEXT) | instid1(VALU_DEP_1)
	v_dual_mov_b32 v17, v9 :: v_dual_lshlrev_b32 v0, 3, v26
	v_and_b32_e32 v0, 0xffffff00, v0
	s_delay_alu instid0(VALU_DEP_2) | instskip(SKIP_2) | instid1(VALU_DEP_4)
	v_add_nc_u64_e32 v[18:19], v[18:19], v[16:17]
	v_mov_b32_e32 v1, v9
	v_mov_b32_e32 v17, 0x80
	v_or_b32_e32 v27, v0, v16
	s_delay_alu instid0(VALU_DEP_3) | instskip(SKIP_1) | instid1(VALU_DEP_2)
	v_add_nc_u64_e32 v[18:19], v[18:19], v[0:1]
	s_set_vgpr_msb 4                        ;  msbs: dst=0 src0=0 src1=1 src2=0
	v_cmp_lt_u32_e32 vcc_lo, v27, v20 /*v276*/
	s_and_saveexec_b32 s0, vcc_lo
	s_set_vgpr_msb 0                        ;  msbs: dst=0 src0=0 src1=0 src2=0
	s_cbranch_execz .LBB288_155
; %bb.154:
	flat_load_u8 v15, v[18:19]
	v_dual_mov_b32 v21, 0x80 :: v_dual_mov_b32 v20, 0x80
	v_dual_mov_b32 v17, 0x80 :: v_dual_mov_b32 v22, 0x80
	;; [unrolled: 1-line block ×3, first 2 shown]
	v_mov_b32_e32 v25, 0x80
.LBB288_155:
	s_wait_xcnt 0x0
	s_or_b32 exec_lo, exec_lo, s0
	v_or_b32_e32 v28, 32, v27
	s_set_vgpr_msb 4                        ;  msbs: dst=0 src0=0 src1=1 src2=0
	s_delay_alu instid0(VALU_DEP_1)
	v_cmp_lt_u32_e64 s0, v28, v20 /*v276*/
	s_and_saveexec_b32 s1, s0
	s_set_vgpr_msb 0                        ;  msbs: dst=0 src0=0 src1=0 src2=0
	s_cbranch_execz .LBB288_157
; %bb.156:
	flat_load_u8 v20, v[18:19] offset:32
.LBB288_157:
	s_wait_xcnt 0x0
	s_or_b32 exec_lo, exec_lo, s1
	v_or_b32_e32 v28, 64, v27
	s_set_vgpr_msb 4                        ;  msbs: dst=0 src0=0 src1=1 src2=0
	s_delay_alu instid0(VALU_DEP_1)
	v_cmp_lt_u32_e64 s1, v28, v20 /*v276*/
	s_and_saveexec_b32 s2, s1
	s_set_vgpr_msb 0                        ;  msbs: dst=0 src0=0 src1=0 src2=0
	s_cbranch_execz .LBB288_159
; %bb.158:
	flat_load_u8 v17, v[18:19] offset:64
.LBB288_159:
	;; [unrolled: 12-line block ×7, first 2 shown]
	s_wait_xcnt 0x0
	s_or_b32 exec_lo, exec_lo, s7
	v_lshl_add_u64 v[4:5], v[8:9], 3, v[4:5]
	v_dual_mov_b32 v19, 0 :: v_dual_lshlrev_b32 v18, 3, v16
                                        ; implicit-def: $vgpr52_vgpr53
	s_delay_alu instid0(VALU_DEP_1) | instskip(NEXT) | instid1(VALU_DEP_1)
	v_add_nc_u64_e32 v[4:5], v[4:5], v[18:19]
	v_lshl_add_u64 v[0:1], v[0:1], 3, v[4:5]
	s_and_saveexec_b32 s7, vcc_lo
	s_cbranch_execnz .LBB288_295
; %bb.170:
	s_or_b32 exec_lo, exec_lo, s7
                                        ; implicit-def: $vgpr54_vgpr55
	s_and_saveexec_b32 s7, s0
	s_cbranch_execnz .LBB288_296
.LBB288_171:
	s_or_b32 exec_lo, exec_lo, s7
                                        ; implicit-def: $vgpr66_vgpr67
	s_and_saveexec_b32 s0, s1
	s_cbranch_execnz .LBB288_297
.LBB288_172:
	s_or_b32 exec_lo, exec_lo, s0
                                        ; implicit-def: $vgpr36_vgpr37
	s_and_saveexec_b32 s0, s2
	s_cbranch_execnz .LBB288_298
.LBB288_173:
	s_or_b32 exec_lo, exec_lo, s0
                                        ; implicit-def: $vgpr38_vgpr39
	s_and_saveexec_b32 s0, s3
	s_cbranch_execnz .LBB288_299
.LBB288_174:
	s_or_b32 exec_lo, exec_lo, s0
                                        ; implicit-def: $vgpr48_vgpr49
	s_and_saveexec_b32 s0, s4
	s_cbranch_execnz .LBB288_300
.LBB288_175:
	s_or_b32 exec_lo, exec_lo, s0
                                        ; implicit-def: $vgpr50_vgpr51
	s_and_saveexec_b32 s0, s5
	s_cbranch_execnz .LBB288_301
.LBB288_176:
	s_or_b32 exec_lo, exec_lo, s0
                                        ; implicit-def: $vgpr64_vgpr65
	s_and_saveexec_b32 s0, s6
	s_cbranch_execz .LBB288_178
.LBB288_177:
	flat_load_b64 v[64:65], v[0:1] offset:1792
.LBB288_178:
	s_wait_xcnt 0x0
	s_or_b32 exec_lo, exec_lo, s0
	s_wait_loadcnt_dscnt 0x0
	v_xor_b32_e32 v0, 0x7f, v21
	v_xor_b32_e32 v1, 0x7f, v24
	;; [unrolled: 1-line block ×5, first 2 shown]
	v_lshlrev_b16 v0, 8, v0
	v_lshlrev_b16 v1, 8, v1
	v_xor_b32_e32 v4, 0x7f, v25
	v_xor_b32_e32 v5, 0x7f, v23
	v_sub_co_u32 v25, s2, v16, 1
	s_delay_alu instid0(VALU_DEP_4)
	v_dual_lshrrev_b32 v0, 8, v0 :: v_dual_lshrrev_b32 v20, 8, v1
	v_lshl_add_u32 v1, v14, 5, v12
	v_dual_lshlrev_b32 v22, 3, v14 :: v_dual_bitop2_b32 v23, 15, v16 bitop3:0x40
	s_get_pc_i64 s[0:1]
	s_add_nc_u64 s[0:1], s[0:1], _ZN7rocprim17ROCPRIM_400000_NS16block_radix_sortIaLj256ELj8ElLj1ELj1ELj8ELNS0_26block_radix_rank_algorithmE2ELNS0_18block_padding_hintE2ELNS0_4arch9wavefront6targetE0EE19radix_bits_per_passE@rel64+4
	v_dual_lshrrev_b32 v146, 5, v26 :: v_dual_bitop2_b32 v24, 16, v16 bitop3:0x40
	v_dual_add_nc_u32 v15, 32, v1 :: v_dual_add_nc_u32 v27, 36, v1
	v_dual_add_nc_u32 v132, 40, v1 :: v_dual_add_nc_u32 v133, 44, v1
	;; [unrolled: 1-line block ×4, first 2 shown]
	v_and_b32_e32 v1, 0x3e0, v14
	s_load_b32 s25, s[0:1], 0x0
	v_cmp_eq_u32_e32 vcc_lo, 0, v23
	s_wait_xcnt 0x0
	v_cmp_lt_u32_e64 s0, 1, v23
	v_cmp_lt_u32_e64 s1, 3, v23
	v_min_u32_e32 v1, 0xe0, v1
	v_cmp_lt_u32_e64 s3, 7, v23
	v_lshrrev_b32_e32 v23, 3, v14
	v_cmp_gt_i32_e64 s5, 0, v25
	v_cmp_eq_u32_e64 s4, 0, v24
	v_or_b32_e32 v1, 31, v1
	v_lshlrev_b16 v18, 8, v18
	v_lshlrev_b16 v0, 8, v0
	v_cndmask_b32_e64 v24, v25, v16, s5
	v_lshlrev_b16 v19, 8, v19
	v_cmp_eq_u32_e64 s5, v14, v1
	v_and_b32_e32 v1, 0x7c, v23
	v_and_b32_e32 v23, 7, v16
	v_and_or_b32 v16, 0x1f00, v22, v16
	v_lshlrev_b32_e32 v147, 2, v24
	v_bitop3_b16 v0, v4, v0, 0xff bitop3:0xec
	v_dual_mov_b32 v1, 0 :: v_dual_add_nc_u32 v148, v12, v1
	s_delay_alu instid0(VALU_DEP_4) | instskip(SKIP_1) | instid1(VALU_DEP_4)
	v_add_nc_u32_e32 v150, v12, v16
	v_mul_u32_u24_e32 v16, 7, v16
	v_lshlrev_b32_e32 v0, 16, v0
	v_xor_b32_e32 v17, 0x7f, v17
	v_cmp_gt_u32_e64 s6, 8, v14
	s_delay_alu instid0(VALU_DEP_4)
	v_dual_add_nc_u32 v161, 64, v150 :: v_dual_add_nc_u32 v164, v150, v16
	v_lshrrev_b32_e32 v16, 8, v18
	v_lshlrev_b16 v18, 8, v20
	v_perm_b32 v4, v17, v19, 0xc0c0104
	v_cmp_lt_u32_e64 s7, 31, v14
	v_cmp_eq_u32_e64 s10, 0, v14
	v_lshlrev_b16 v16, 8, v16
	v_bitop3_b16 v5, v5, v18, 0xff bitop3:0xec
	v_mov_b64_e32 v[18:19], 0
	v_lshl_add_u32 v149, v14, 2, v12
	v_cmp_eq_u32_e64 s11, 0, v23
	v_bitop3_b16 v16, v21, v16, 0xff bitop3:0xec
	v_and_b32_e32 v5, 0xffff, v5
	v_cmp_lt_u32_e64 s12, 1, v23
	v_cmp_lt_u32_e64 s13, 3, v23
	v_dual_add_nc_u32 v151, -4, v148 :: v_dual_add_nc_u32 v160, 32, v150
	v_and_b32_e32 v16, 0xffff, v16
	v_add_nc_u32_e32 v162, 0x60, v150
	v_add_nc_u32_e32 v163, 0x80, v150
	;; [unrolled: 1-line block ×12, first 2 shown]
	v_lshl_or_b32 v4, v4, 16, v16
	v_dual_sub_nc_u32 v183, v11, v10 :: v_dual_bitop2_b32 v69, v5, v0 bitop3:0x54
	s_mov_b32 s26, 0
	s_wait_storecnt 0x0
	s_barrier_signal -1
	s_barrier_wait -1
	s_branch .LBB288_180
.LBB288_179:                            ;   in Loop: Header=BB288_180 Depth=1
	s_or_b32 exec_lo, exec_lo, s15
	s_delay_alu instid0(SALU_CYCLE_1) | instskip(NEXT) | instid1(SALU_CYCLE_1)
	s_and_b32 s14, exec_lo, s16
	s_or_b32 s26, s14, s26
	s_delay_alu instid0(SALU_CYCLE_1)
	s_and_not1_b32 exec_lo, exec_lo, s26
	s_cbranch_execz .LBB288_236
.LBB288_180:                            ; =>This Inner Loop Header: Depth=1
	s_wait_kmcnt 0x0
	v_min_u32_e32 v0, s25, v183
	v_and_b32_e32 v16, 0xff, v4
	v_mov_b64_e32 v[20:21], v[54:55]
	v_mov_b64_e32 v[22:23], v[66:67]
	ds_store_b64 v15, v[18:19]
	ds_store_b64 v132, v[18:19]
	v_lshlrev_b32_e64 v5, v0, -1
	v_lshrrev_b32_e32 v0, v10, v16
	v_mov_b64_e32 v[16:17], v[52:53]
	ds_store_b64 v134, v[18:19]
	ds_store_b64 v144, v[18:19]
	s_wait_dscnt 0x0
	s_barrier_signal -1
	v_bitop3_b32 v24, v0, 1, v5 bitop3:0x40
	v_bitop3_b32 v0, v0, v5, v0 bitop3:0x30
	s_barrier_wait -1
	s_delay_alu instid0(VALU_DEP_2) | instskip(NEXT) | instid1(VALU_DEP_1)
	v_add_co_u32 v24, s14, v24, -1
	v_cndmask_b32_e64 v25, 0, 1, s14
	s_delay_alu instid0(VALU_DEP_3) | instskip(SKIP_1) | instid1(VALU_DEP_3)
	v_dual_lshlrev_b32 v28, 30, v0 :: v_dual_lshlrev_b32 v29, 29, v0
	v_dual_lshlrev_b32 v30, 28, v0 :: v_dual_lshlrev_b32 v31, 27, v0
	v_cmp_ne_u32_e64 s14, 0, v25
	s_delay_alu instid0(VALU_DEP_3)
	v_not_b32_e32 v25, v28
	v_cmp_gt_i32_e64 s15, 0, v28
	v_cmp_gt_i32_e64 s16, 0, v29
	v_not_b32_e32 v28, v29
	v_not_b32_e32 v29, v30
	v_dual_ashrrev_i32 v25, 31, v25 :: v_dual_lshlrev_b32 v32, 26, v0
	v_dual_lshlrev_b32 v33, 25, v0 :: v_dual_lshlrev_b32 v34, 24, v0
	s_delay_alu instid0(VALU_DEP_3) | instskip(SKIP_1) | instid1(VALU_DEP_4)
	v_ashrrev_i32_e32 v29, 31, v29
	v_cmp_gt_i32_e64 s17, 0, v30
	v_dual_ashrrev_i32 v28, 31, v28 :: v_dual_bitop2_b32 v25, s15, v25 bitop3:0x14
	v_not_b32_e32 v30, v31
	v_xor_b32_e32 v24, s14, v24
	v_not_b32_e32 v35, v32
	s_delay_alu instid0(VALU_DEP_4)
	v_xor_b32_e32 v28, s16, v28
	v_xor_b32_e32 v29, s17, v29
	v_cmp_gt_i32_e64 s14, 0, v31
	v_bitop3_b32 v24, v24, v25, exec_lo bitop3:0x80
	v_ashrrev_i32_e32 v25, 31, v30
	v_cmp_gt_i32_e64 s15, 0, v32
	v_dual_ashrrev_i32 v30, 31, v35 :: v_dual_lshlrev_b32 v0, 3, v0
	s_delay_alu instid0(VALU_DEP_4)
	v_bitop3_b32 v24, v24, v29, v28 bitop3:0x80
	v_not_b32_e32 v28, v33
	v_not_b32_e32 v29, v34
	v_xor_b32_e32 v25, s14, v25
	v_xor_b32_e32 v30, s15, v30
	v_cmp_gt_i32_e64 s14, 0, v33
	v_ashrrev_i32_e32 v28, 31, v28
	v_cmp_gt_i32_e64 s15, 0, v34
	v_ashrrev_i32_e32 v29, 31, v29
	v_mov_b64_e32 v[34:35], v[36:37]
	v_bitop3_b32 v32, v24, v30, v25 bitop3:0x80
	v_xor_b32_e32 v33, s14, v28
	v_add_lshl_u32 v0, v0, v146, 2
	v_xor_b32_e32 v36, s15, v29
	v_mov_b64_e32 v[24:25], v[38:39]
	v_mov_b64_e32 v[30:31], v[48:49]
	;; [unrolled: 1-line block ×3, first 2 shown]
	; wave barrier
	s_delay_alu instid0(VALU_DEP_4) | instskip(SKIP_2) | instid1(VALU_DEP_3)
	v_bitop3_b32 v38, v32, v36, v33 bitop3:0x80
	v_add_nc_u64_e32 v[36:37], v[12:13], v[0:1]
	v_mov_b64_e32 v[32:33], v[64:65]
	v_mbcnt_lo_u32_b32 v0, v38, 0
	v_cmp_ne_u32_e64 s15, 0, v38
	s_delay_alu instid0(VALU_DEP_4) | instskip(NEXT) | instid1(VALU_DEP_3)
	v_add_nc_u64_e32 v[36:37], 32, v[36:37]
	v_cmp_eq_u32_e64 s14, 0, v0
	s_and_b32 s15, s15, s14
	s_delay_alu instid0(SALU_CYCLE_1)
	s_and_saveexec_b32 s14, s15
; %bb.181:                              ;   in Loop: Header=BB288_180 Depth=1
	v_bcnt_u32_b32 v37, v38, 0
	ds_store_b32 v36, v37
; %bb.182:                              ;   in Loop: Header=BB288_180 Depth=1
	s_or_b32 exec_lo, exec_lo, s14
	v_bfe_u32 v37, v4, 8, 8
	v_not_b32_e32 v51, v5
	; wave barrier
	s_delay_alu instid0(VALU_DEP_2) | instskip(NEXT) | instid1(VALU_DEP_1)
	v_lshrrev_b32_e32 v5, v10, v37
	v_and_b32_e32 v37, v5, v51
	s_delay_alu instid0(VALU_DEP_1) | instskip(SKIP_2) | instid1(VALU_DEP_3)
	v_lshlrev_b32_e32 v48, 30, v37
	v_bitop3_b32 v5, v5, 1, v51 bitop3:0x80
	v_lshlrev_b32_e32 v49, 29, v37
	v_cmp_gt_i32_e64 s15, 0, v48
	s_delay_alu instid0(VALU_DEP_3) | instskip(NEXT) | instid1(VALU_DEP_1)
	v_add_co_u32 v5, s14, v5, -1
	v_cndmask_b32_e64 v39, 0, 1, s14
	s_delay_alu instid0(VALU_DEP_1) | instskip(SKIP_2) | instid1(VALU_DEP_2)
	v_cmp_ne_u32_e64 s14, 0, v39
	v_not_b32_e32 v39, v48
	v_not_b32_e32 v48, v49
	v_dual_ashrrev_i32 v39, 31, v39 :: v_dual_bitop2_b32 v5, s14, v5 bitop3:0x14
	s_delay_alu instid0(VALU_DEP_2) | instskip(SKIP_3) | instid1(VALU_DEP_4)
	v_dual_ashrrev_i32 v48, 31, v48 :: v_dual_lshlrev_b32 v50, 28, v37
	v_dual_lshlrev_b32 v52, 27, v37 :: v_dual_lshlrev_b32 v53, 26, v37
	v_cmp_gt_i32_e64 s16, 0, v49
	v_lshl_add_u32 v38, v37, 3, v146
	v_not_b32_e32 v49, v50
	v_dual_lshlrev_b32 v54, 25, v37 :: v_dual_lshlrev_b32 v37, 24, v37
	v_cmp_gt_i32_e64 s17, 0, v50
	v_cmp_gt_i32_e64 s18, 0, v52
	v_not_b32_e32 v50, v52
	v_dual_ashrrev_i32 v49, 31, v49 :: v_dual_bitop2_b32 v39, s15, v39 bitop3:0x14
	v_not_b32_e32 v52, v53
	v_cmp_gt_i32_e64 s19, 0, v53
	s_delay_alu instid0(VALU_DEP_4) | instskip(NEXT) | instid1(VALU_DEP_4)
	v_dual_ashrrev_i32 v50, 31, v50 :: v_dual_bitop2_b32 v48, s16, v48 bitop3:0x14
	v_xor_b32_e32 v49, s17, v49
	v_bitop3_b32 v5, v5, v39, exec_lo bitop3:0x80
	v_ashrrev_i32_e32 v39, 31, v52
	v_not_b32_e32 v52, v54
	v_not_b32_e32 v53, v37
	v_xor_b32_e32 v50, s18, v50
	v_bitop3_b32 v5, v5, v49, v48 bitop3:0x80
	v_xor_b32_e32 v39, s19, v39
	v_cmp_gt_i32_e64 s14, 0, v54
	v_ashrrev_i32_e32 v48, 31, v52
	v_cmp_gt_i32_e64 s15, 0, v37
	v_ashrrev_i32_e32 v37, 31, v53
	v_lshl_add_u32 v49, v38, 2, v12
	v_bitop3_b32 v5, v5, v39, v50 bitop3:0x80
	v_xor_b32_e32 v38, s14, v48
	s_delay_alu instid0(VALU_DEP_4) | instskip(SKIP_3) | instid1(VALU_DEP_2)
	v_xor_b32_e32 v39, s15, v37
	ds_load_b32 v37, v49 offset:32
	; wave barrier
	v_bitop3_b32 v48, v5, v39, v38 bitop3:0x80
	v_dual_mov_b32 v5, v69 :: v_dual_add_nc_u32 v39, 32, v49
	v_mbcnt_lo_u32_b32 v38, v48, 0
	v_cmp_ne_u32_e64 s15, 0, v48
	s_delay_alu instid0(VALU_DEP_2) | instskip(SKIP_1) | instid1(SALU_CYCLE_1)
	v_cmp_eq_u32_e64 s14, 0, v38
	s_and_b32 s15, s15, s14
	s_and_saveexec_b32 s14, s15
	s_cbranch_execz .LBB288_184
; %bb.183:                              ;   in Loop: Header=BB288_180 Depth=1
	s_wait_dscnt 0x0
	v_bcnt_u32_b32 v48, v48, v37
	ds_store_b32 v39, v48
.LBB288_184:                            ;   in Loop: Header=BB288_180 Depth=1
	s_or_b32 exec_lo, exec_lo, s14
	v_bfe_u32 v48, v4, 16, 8
	; wave barrier
	s_delay_alu instid0(VALU_DEP_1) | instskip(NEXT) | instid1(VALU_DEP_1)
	v_lshrrev_b32_e32 v48, v10, v48
	v_and_b32_e32 v49, v48, v51
	s_delay_alu instid0(VALU_DEP_1) | instskip(SKIP_1) | instid1(VALU_DEP_2)
	v_lshlrev_b32_e32 v53, 30, v49
	v_bitop3_b32 v48, v48, 1, v51 bitop3:0x80
	v_cmp_gt_i32_e64 s15, 0, v53
	s_delay_alu instid0(VALU_DEP_2) | instskip(NEXT) | instid1(VALU_DEP_1)
	v_add_co_u32 v48, s14, v48, -1
	v_cndmask_b32_e64 v52, 0, 1, s14
	s_delay_alu instid0(VALU_DEP_1) | instskip(SKIP_1) | instid1(VALU_DEP_1)
	v_cmp_ne_u32_e64 s14, 0, v52
	v_not_b32_e32 v52, v53
	v_dual_ashrrev_i32 v52, 31, v52 :: v_dual_lshlrev_b32 v54, 29, v49
	v_dual_lshlrev_b32 v55, 28, v49 :: v_dual_lshlrev_b32 v64, 27, v49
	v_lshlrev_b32_e32 v65, 26, v49
	v_lshl_add_u32 v50, v49, 3, v146
	s_delay_alu instid0(VALU_DEP_4)
	v_cmp_gt_i32_e64 s16, 0, v54
	v_not_b32_e32 v53, v54
	v_not_b32_e32 v54, v55
	v_dual_lshlrev_b32 v66, 25, v49 :: v_dual_lshlrev_b32 v49, 24, v49
	v_cmp_gt_i32_e64 s17, 0, v55
	v_cmp_gt_i32_e64 s18, 0, v64
	v_not_b32_e32 v55, v64
	v_not_b32_e32 v64, v65
	v_dual_ashrrev_i32 v53, 31, v53 :: v_dual_bitop2_b32 v48, s14, v48 bitop3:0x14
	v_dual_ashrrev_i32 v54, 31, v54 :: v_dual_bitop2_b32 v52, s15, v52 bitop3:0x14
	v_cmp_gt_i32_e64 s19, 0, v65
	s_delay_alu instid0(VALU_DEP_4) | instskip(SKIP_1) | instid1(VALU_DEP_4)
	v_dual_ashrrev_i32 v55, 31, v55 :: v_dual_ashrrev_i32 v64, 31, v64
	v_not_b32_e32 v65, v49
	v_xor_b32_e32 v54, s17, v54
	v_bitop3_b32 v48, v48, v52, exec_lo bitop3:0x80
	v_not_b32_e32 v52, v66
	v_xor_b32_e32 v53, s16, v53
	v_xor_b32_e32 v64, s19, v64
	v_cmp_gt_i32_e64 s14, 0, v66
	v_cmp_gt_i32_e64 s15, 0, v49
	v_dual_ashrrev_i32 v52, 31, v52 :: v_dual_ashrrev_i32 v49, 31, v65
	v_bitop3_b32 v48, v48, v54, v53 bitop3:0x80
	v_lshl_add_u32 v50, v50, 2, v12
	v_xor_b32_e32 v55, s18, v55
	s_delay_alu instid0(VALU_DEP_4) | instskip(SKIP_1) | instid1(VALU_DEP_3)
	v_xor_b32_e32 v52, s14, v52
	v_xor_b32_e32 v49, s15, v49
	v_bitop3_b32 v53, v48, v64, v55 bitop3:0x80
	ds_load_b32 v48, v50 offset:32
	v_add_nc_u32_e32 v50, 32, v50
	; wave barrier
	v_bitop3_b32 v52, v53, v49, v52 bitop3:0x80
	s_delay_alu instid0(VALU_DEP_1) | instskip(SKIP_1) | instid1(VALU_DEP_2)
	v_mbcnt_lo_u32_b32 v49, v52, 0
	v_cmp_ne_u32_e64 s15, 0, v52
	v_cmp_eq_u32_e64 s14, 0, v49
	s_and_b32 s15, s15, s14
	s_delay_alu instid0(SALU_CYCLE_1)
	s_and_saveexec_b32 s14, s15
	s_cbranch_execz .LBB288_186
; %bb.185:                              ;   in Loop: Header=BB288_180 Depth=1
	s_wait_dscnt 0x0
	v_bcnt_u32_b32 v52, v52, v48
	ds_store_b32 v50, v52
.LBB288_186:                            ;   in Loop: Header=BB288_180 Depth=1
	s_or_b32 exec_lo, exec_lo, s14
	v_alignbit_b32 v52, v5, v4, 24
	; wave barrier
	s_delay_alu instid0(VALU_DEP_1) | instskip(NEXT) | instid1(VALU_DEP_1)
	v_and_b32_e32 v52, 0xff, v52
	v_lshrrev_b32_e32 v52, v10, v52
	s_delay_alu instid0(VALU_DEP_1) | instskip(NEXT) | instid1(VALU_DEP_1)
	v_and_b32_e32 v53, v52, v51
	v_lshlrev_b32_e32 v64, 30, v53
	v_bitop3_b32 v52, v52, 1, v51 bitop3:0x80
	v_lshlrev_b32_e32 v65, 29, v53
	s_delay_alu instid0(VALU_DEP_3) | instskip(NEXT) | instid1(VALU_DEP_3)
	v_cmp_gt_i32_e64 s15, 0, v64
	v_add_co_u32 v52, s14, v52, -1
	s_delay_alu instid0(VALU_DEP_1) | instskip(NEXT) | instid1(VALU_DEP_1)
	v_cndmask_b32_e64 v55, 0, 1, s14
	v_cmp_ne_u32_e64 s14, 0, v55
	v_not_b32_e32 v55, v64
	v_not_b32_e32 v64, v65
	s_delay_alu instid0(VALU_DEP_2) | instskip(NEXT) | instid1(VALU_DEP_2)
	v_dual_ashrrev_i32 v55, 31, v55 :: v_dual_bitop2_b32 v52, s14, v52 bitop3:0x14
	v_dual_ashrrev_i32 v64, 31, v64 :: v_dual_lshlrev_b32 v66, 28, v53
	v_dual_lshlrev_b32 v67, 27, v53 :: v_dual_lshlrev_b32 v68, 26, v53
	v_cmp_gt_i32_e64 s16, 0, v65
	v_lshl_add_u32 v54, v53, 3, v146
	s_delay_alu instid0(VALU_DEP_4)
	v_not_b32_e32 v65, v66
	v_dual_lshlrev_b32 v69, 25, v53 :: v_dual_lshlrev_b32 v53, 24, v53
	v_cmp_gt_i32_e64 s17, 0, v66
	v_cmp_gt_i32_e64 s18, 0, v67
	v_not_b32_e32 v66, v67
	v_not_b32_e32 v67, v68
	v_dual_ashrrev_i32 v65, 31, v65 :: v_dual_bitop2_b32 v55, s15, v55 bitop3:0x14
	v_cmp_gt_i32_e64 s19, 0, v68
	v_not_b32_e32 v68, v69
	v_cmp_gt_i32_e64 s21, 0, v53
	v_not_b32_e32 v53, v53
	v_dual_ashrrev_i32 v66, 31, v66 :: v_dual_ashrrev_i32 v67, 31, v67
	v_xor_b32_e32 v64, s16, v64
	v_xor_b32_e32 v65, s17, v65
	v_bitop3_b32 v52, v52, v55, exec_lo bitop3:0x80
	v_cmp_gt_i32_e64 s20, 0, v69
	v_dual_ashrrev_i32 v55, 31, v68 :: v_dual_ashrrev_i32 v53, 31, v53
	v_xor_b32_e32 v66, s18, v66
	s_delay_alu instid0(VALU_DEP_4) | instskip(SKIP_4) | instid1(VALU_DEP_3)
	v_bitop3_b32 v52, v52, v65, v64 bitop3:0x80
	v_lshl_add_u32 v54, v54, 2, v12
	v_xor_b32_e32 v67, s19, v67
	v_xor_b32_e32 v55, s20, v55
	;; [unrolled: 1-line block ×3, first 2 shown]
	v_bitop3_b32 v64, v52, v67, v66 bitop3:0x80
	ds_load_b32 v52, v54 offset:32
	v_add_nc_u32_e32 v54, 32, v54
	; wave barrier
	v_bitop3_b32 v55, v64, v53, v55 bitop3:0x80
	s_delay_alu instid0(VALU_DEP_1) | instskip(SKIP_1) | instid1(VALU_DEP_2)
	v_mbcnt_lo_u32_b32 v53, v55, 0
	v_cmp_ne_u32_e64 s15, 0, v55
	v_cmp_eq_u32_e64 s14, 0, v53
	s_and_b32 s15, s15, s14
	s_delay_alu instid0(SALU_CYCLE_1)
	s_and_saveexec_b32 s14, s15
	s_cbranch_execz .LBB288_188
; %bb.187:                              ;   in Loop: Header=BB288_180 Depth=1
	s_wait_dscnt 0x0
	v_bcnt_u32_b32 v55, v55, v52
	ds_store_b32 v54, v55
.LBB288_188:                            ;   in Loop: Header=BB288_180 Depth=1
	s_or_b32 exec_lo, exec_lo, s14
	v_and_b32_e32 v55, 0xff, v5
	; wave barrier
	s_delay_alu instid0(VALU_DEP_1) | instskip(NEXT) | instid1(VALU_DEP_1)
	v_lshrrev_b32_e32 v55, v10, v55
	v_and_b32_e32 v64, v55, v51
	s_delay_alu instid0(VALU_DEP_1) | instskip(SKIP_1) | instid1(VALU_DEP_2)
	v_lshlrev_b32_e32 v67, 30, v64
	v_bitop3_b32 v55, v55, 1, v51 bitop3:0x80
	v_cmp_gt_i32_e64 s15, 0, v67
	s_delay_alu instid0(VALU_DEP_2) | instskip(NEXT) | instid1(VALU_DEP_1)
	v_add_co_u32 v55, s14, v55, -1
	v_cndmask_b32_e64 v66, 0, 1, s14
	s_delay_alu instid0(VALU_DEP_1) | instskip(SKIP_1) | instid1(VALU_DEP_1)
	v_cmp_ne_u32_e64 s14, 0, v66
	v_not_b32_e32 v66, v67
	v_dual_ashrrev_i32 v66, 31, v66 :: v_dual_lshlrev_b32 v68, 29, v64
	v_dual_lshlrev_b32 v69, 28, v64 :: v_dual_lshlrev_b32 v70, 27, v64
	v_lshlrev_b32_e32 v71, 26, v64
	v_lshl_add_u32 v65, v64, 3, v146
	s_delay_alu instid0(VALU_DEP_4)
	v_cmp_gt_i32_e64 s16, 0, v68
	v_not_b32_e32 v67, v68
	v_not_b32_e32 v68, v69
	v_dual_lshlrev_b32 v80, 25, v64 :: v_dual_lshlrev_b32 v64, 24, v64
	v_cmp_gt_i32_e64 s17, 0, v69
	v_cmp_gt_i32_e64 s18, 0, v70
	v_not_b32_e32 v69, v70
	v_not_b32_e32 v70, v71
	v_dual_ashrrev_i32 v68, 31, v68 :: v_dual_bitop2_b32 v55, s14, v55 bitop3:0x14
	v_dual_ashrrev_i32 v67, 31, v67 :: v_dual_bitop2_b32 v66, s15, v66 bitop3:0x14
	v_cmp_gt_i32_e64 s19, 0, v71
	s_delay_alu instid0(VALU_DEP_4)
	v_dual_ashrrev_i32 v69, 31, v69 :: v_dual_ashrrev_i32 v70, 31, v70
	v_not_b32_e32 v71, v64
	v_xor_b32_e32 v68, s17, v68
	v_bitop3_b32 v55, v55, v66, exec_lo bitop3:0x80
	v_not_b32_e32 v66, v80
	v_xor_b32_e32 v67, s16, v67
	v_xor_b32_e32 v69, s18, v69
	v_cmp_gt_i32_e64 s14, 0, v80
	v_cmp_gt_i32_e64 s15, 0, v64
	v_dual_ashrrev_i32 v66, 31, v66 :: v_dual_ashrrev_i32 v64, 31, v71
	v_bitop3_b32 v55, v55, v68, v67 bitop3:0x80
	v_lshl_add_u32 v65, v65, 2, v12
	v_xor_b32_e32 v70, s19, v70
	s_delay_alu instid0(VALU_DEP_4) | instskip(SKIP_1) | instid1(VALU_DEP_3)
	v_xor_b32_e32 v66, s14, v66
	v_xor_b32_e32 v64, s15, v64
	v_bitop3_b32 v67, v55, v70, v69 bitop3:0x80
	ds_load_b32 v55, v65 offset:32
	v_add_nc_u32_e32 v65, 32, v65
	; wave barrier
	v_bitop3_b32 v66, v67, v64, v66 bitop3:0x80
	s_delay_alu instid0(VALU_DEP_1) | instskip(SKIP_1) | instid1(VALU_DEP_2)
	v_mbcnt_lo_u32_b32 v64, v66, 0
	v_cmp_ne_u32_e64 s15, 0, v66
	v_cmp_eq_u32_e64 s14, 0, v64
	s_and_b32 s15, s15, s14
	s_delay_alu instid0(SALU_CYCLE_1)
	s_and_saveexec_b32 s14, s15
	s_cbranch_execz .LBB288_190
; %bb.189:                              ;   in Loop: Header=BB288_180 Depth=1
	s_wait_dscnt 0x0
	v_bcnt_u32_b32 v66, v66, v55
	ds_store_b32 v65, v66
.LBB288_190:                            ;   in Loop: Header=BB288_180 Depth=1
	s_or_b32 exec_lo, exec_lo, s14
	v_bfe_u32 v66, v5, 8, 8
	; wave barrier
	s_delay_alu instid0(VALU_DEP_1) | instskip(NEXT) | instid1(VALU_DEP_1)
	v_lshrrev_b32_e32 v66, v10, v66
	v_and_b32_e32 v67, v66, v51
	s_delay_alu instid0(VALU_DEP_1) | instskip(SKIP_1) | instid1(VALU_DEP_2)
	v_lshlrev_b32_e32 v70, 30, v67
	v_bitop3_b32 v66, v66, 1, v51 bitop3:0x80
	v_cmp_gt_i32_e64 s15, 0, v70
	s_delay_alu instid0(VALU_DEP_2) | instskip(NEXT) | instid1(VALU_DEP_1)
	v_add_co_u32 v66, s14, v66, -1
	v_cndmask_b32_e64 v69, 0, 1, s14
	s_delay_alu instid0(VALU_DEP_1) | instskip(SKIP_1) | instid1(VALU_DEP_1)
	v_cmp_ne_u32_e64 s14, 0, v69
	v_not_b32_e32 v69, v70
	v_dual_ashrrev_i32 v69, 31, v69 :: v_dual_lshlrev_b32 v71, 29, v67
	v_dual_lshlrev_b32 v80, 28, v67 :: v_dual_lshlrev_b32 v81, 27, v67
	v_lshlrev_b32_e32 v82, 26, v67
	v_lshl_add_u32 v68, v67, 3, v146
	s_delay_alu instid0(VALU_DEP_4)
	v_cmp_gt_i32_e64 s16, 0, v71
	v_not_b32_e32 v70, v71
	v_not_b32_e32 v71, v80
	v_dual_lshlrev_b32 v83, 25, v67 :: v_dual_lshlrev_b32 v67, 24, v67
	v_cmp_gt_i32_e64 s17, 0, v80
	v_cmp_gt_i32_e64 s18, 0, v81
	v_not_b32_e32 v80, v81
	v_not_b32_e32 v81, v82
	v_dual_ashrrev_i32 v71, 31, v71 :: v_dual_bitop2_b32 v66, s14, v66 bitop3:0x14
	v_dual_ashrrev_i32 v70, 31, v70 :: v_dual_bitop2_b32 v69, s15, v69 bitop3:0x14
	v_cmp_gt_i32_e64 s19, 0, v82
	s_delay_alu instid0(VALU_DEP_4)
	v_dual_ashrrev_i32 v80, 31, v80 :: v_dual_ashrrev_i32 v81, 31, v81
	v_not_b32_e32 v82, v67
	v_xor_b32_e32 v71, s17, v71
	v_bitop3_b32 v66, v66, v69, exec_lo bitop3:0x80
	v_not_b32_e32 v69, v83
	v_xor_b32_e32 v70, s16, v70
	v_xor_b32_e32 v80, s18, v80
	v_cmp_gt_i32_e64 s14, 0, v83
	v_cmp_gt_i32_e64 s15, 0, v67
	v_dual_ashrrev_i32 v69, 31, v69 :: v_dual_ashrrev_i32 v67, 31, v82
	v_bitop3_b32 v66, v66, v71, v70 bitop3:0x80
	v_lshl_add_u32 v68, v68, 2, v12
	v_xor_b32_e32 v81, s19, v81
	s_delay_alu instid0(VALU_DEP_4) | instskip(SKIP_1) | instid1(VALU_DEP_3)
	v_xor_b32_e32 v69, s14, v69
	v_xor_b32_e32 v67, s15, v67
	v_bitop3_b32 v70, v66, v81, v80 bitop3:0x80
	ds_load_b32 v66, v68 offset:32
	v_add_nc_u32_e32 v68, 32, v68
	; wave barrier
	v_bitop3_b32 v69, v70, v67, v69 bitop3:0x80
	s_delay_alu instid0(VALU_DEP_1) | instskip(SKIP_1) | instid1(VALU_DEP_2)
	v_mbcnt_lo_u32_b32 v67, v69, 0
	v_cmp_ne_u32_e64 s15, 0, v69
	v_cmp_eq_u32_e64 s14, 0, v67
	s_and_b32 s15, s15, s14
	s_delay_alu instid0(SALU_CYCLE_1)
	s_and_saveexec_b32 s14, s15
	s_cbranch_execz .LBB288_192
; %bb.191:                              ;   in Loop: Header=BB288_180 Depth=1
	s_wait_dscnt 0x0
	v_bcnt_u32_b32 v69, v69, v66
	ds_store_b32 v68, v69
.LBB288_192:                            ;   in Loop: Header=BB288_180 Depth=1
	s_or_b32 exec_lo, exec_lo, s14
	v_bfe_u32 v69, v5, 16, 8
	; wave barrier
	s_delay_alu instid0(VALU_DEP_1) | instskip(NEXT) | instid1(VALU_DEP_1)
	v_lshrrev_b32_e32 v69, v10, v69
	v_and_b32_e32 v70, v69, v51
	s_delay_alu instid0(VALU_DEP_1) | instskip(SKIP_1) | instid1(VALU_DEP_2)
	v_lshlrev_b32_e32 v81, 30, v70
	v_bitop3_b32 v69, v69, 1, v51 bitop3:0x80
	v_cmp_gt_i32_e64 s15, 0, v81
	s_delay_alu instid0(VALU_DEP_2) | instskip(NEXT) | instid1(VALU_DEP_1)
	v_add_co_u32 v69, s14, v69, -1
	v_cndmask_b32_e64 v80, 0, 1, s14
	s_delay_alu instid0(VALU_DEP_1) | instskip(SKIP_1) | instid1(VALU_DEP_1)
	v_cmp_ne_u32_e64 s14, 0, v80
	v_not_b32_e32 v80, v81
	v_dual_ashrrev_i32 v80, 31, v80 :: v_dual_lshlrev_b32 v82, 29, v70
	v_dual_lshlrev_b32 v83, 28, v70 :: v_dual_lshlrev_b32 v84, 27, v70
	v_lshlrev_b32_e32 v85, 26, v70
	v_lshl_add_u32 v71, v70, 3, v146
	s_delay_alu instid0(VALU_DEP_4)
	v_cmp_gt_i32_e64 s16, 0, v82
	v_not_b32_e32 v81, v82
	v_not_b32_e32 v82, v83
	v_dual_lshlrev_b32 v86, 25, v70 :: v_dual_lshlrev_b32 v70, 24, v70
	v_cmp_gt_i32_e64 s17, 0, v83
	v_cmp_gt_i32_e64 s18, 0, v84
	v_not_b32_e32 v83, v84
	v_not_b32_e32 v84, v85
	v_dual_ashrrev_i32 v82, 31, v82 :: v_dual_bitop2_b32 v69, s14, v69 bitop3:0x14
	v_dual_ashrrev_i32 v81, 31, v81 :: v_dual_bitop2_b32 v80, s15, v80 bitop3:0x14
	v_cmp_gt_i32_e64 s19, 0, v85
	s_delay_alu instid0(VALU_DEP_4)
	v_dual_ashrrev_i32 v83, 31, v83 :: v_dual_ashrrev_i32 v84, 31, v84
	v_not_b32_e32 v85, v70
	v_xor_b32_e32 v82, s17, v82
	v_bitop3_b32 v69, v69, v80, exec_lo bitop3:0x80
	v_not_b32_e32 v80, v86
	v_xor_b32_e32 v81, s16, v81
	v_xor_b32_e32 v83, s18, v83
	v_cmp_gt_i32_e64 s14, 0, v86
	v_cmp_gt_i32_e64 s15, 0, v70
	v_dual_ashrrev_i32 v80, 31, v80 :: v_dual_ashrrev_i32 v70, 31, v85
	v_bitop3_b32 v69, v69, v82, v81 bitop3:0x80
	v_lshl_add_u32 v71, v71, 2, v12
	v_xor_b32_e32 v84, s19, v84
	s_delay_alu instid0(VALU_DEP_4) | instskip(SKIP_3) | instid1(VALU_DEP_1)
	v_xor_b32_e32 v80, s14, v80
	v_xor_b32_e32 v70, s15, v70
	ds_load_b32 v86, v71 offset:32
	v_bitop3_b32 v69, v69, v84, v83 bitop3:0x80
	; wave barrier
	v_bitop3_b32 v70, v69, v70, v80 bitop3:0x80
	v_add_nc_u32_e32 v69, 32, v71
	s_delay_alu instid0(VALU_DEP_2) | instskip(SKIP_1) | instid1(VALU_DEP_2)
	v_mbcnt_lo_u32_b32 v96, v70, 0
	v_cmp_ne_u32_e64 s15, 0, v70
	v_cmp_eq_u32_e64 s14, 0, v96
	s_and_b32 s15, s15, s14
	s_delay_alu instid0(SALU_CYCLE_1)
	s_and_saveexec_b32 s14, s15
	s_cbranch_execz .LBB288_194
; %bb.193:                              ;   in Loop: Header=BB288_180 Depth=1
	s_wait_dscnt 0x0
	v_bcnt_u32_b32 v70, v70, v86
	ds_store_b32 v69, v70
.LBB288_194:                            ;   in Loop: Header=BB288_180 Depth=1
	s_or_b32 exec_lo, exec_lo, s14
	v_lshrrev_b32_e32 v192, 24, v5
	; wave barrier
	s_delay_alu instid0(VALU_DEP_1) | instskip(NEXT) | instid1(VALU_DEP_1)
	v_lshrrev_b32_e32 v70, v10, v192
	v_and_b32_e32 v71, v70, v51
	s_delay_alu instid0(VALU_DEP_1) | instskip(SKIP_3) | instid1(VALU_DEP_3)
	v_lshlrev_b32_e32 v81, 30, v71
	v_bitop3_b32 v51, v70, 1, v51 bitop3:0x80
	v_dual_lshlrev_b32 v82, 29, v71 :: v_dual_lshlrev_b32 v83, 28, v71
	v_dual_lshlrev_b32 v84, 27, v71 :: v_dual_lshlrev_b32 v85, 26, v71
	v_add_co_u32 v51, s14, v51, -1
	s_delay_alu instid0(VALU_DEP_1)
	v_cndmask_b32_e64 v80, 0, 1, s14
	v_cmp_gt_i32_e64 s15, 0, v81
	v_cmp_gt_i32_e64 s16, 0, v82
	v_lshl_add_u32 v70, v71, 3, v146
	v_dual_lshlrev_b32 v87, 25, v71 :: v_dual_lshlrev_b32 v71, 24, v71
	v_cmp_ne_u32_e64 s14, 0, v80
	v_not_b32_e32 v80, v81
	v_not_b32_e32 v81, v82
	;; [unrolled: 1-line block ×3, first 2 shown]
	v_cmp_gt_i32_e64 s17, 0, v83
	v_cmp_gt_i32_e64 s18, 0, v84
	v_dual_ashrrev_i32 v80, 31, v80 :: v_dual_bitop2_b32 v51, s14, v51 bitop3:0x14
	v_not_b32_e32 v83, v84
	v_not_b32_e32 v84, v85
	v_dual_ashrrev_i32 v81, 31, v81 :: v_dual_ashrrev_i32 v82, 31, v82
	s_delay_alu instid0(VALU_DEP_3) | instskip(SKIP_1) | instid1(VALU_DEP_3)
	v_dual_ashrrev_i32 v83, 31, v83 :: v_dual_bitop2_b32 v80, s15, v80 bitop3:0x14
	v_cmp_gt_i32_e64 s19, 0, v85
	v_dual_ashrrev_i32 v84, 31, v84 :: v_dual_bitop2_b32 v81, s16, v81 bitop3:0x14
	s_delay_alu instid0(VALU_DEP_3)
	v_bitop3_b32 v51, v51, v80, exec_lo bitop3:0x80
	v_not_b32_e32 v80, v87
	v_xor_b32_e32 v82, s17, v82
	v_not_b32_e32 v85, v71
	v_xor_b32_e32 v83, s18, v83
	v_cmp_gt_i32_e64 s14, 0, v87
	v_ashrrev_i32_e32 v80, 31, v80
	v_bitop3_b32 v51, v51, v82, v81 bitop3:0x80
	v_cmp_gt_i32_e64 s15, 0, v71
	v_ashrrev_i32_e32 v71, 31, v85
	v_lshl_add_u32 v70, v70, 2, v12
	v_xor_b32_e32 v84, s19, v84
	v_xor_b32_e32 v80, s14, v80
	s_delay_alu instid0(VALU_DEP_4) | instskip(NEXT) | instid1(VALU_DEP_3)
	v_xor_b32_e32 v71, s15, v71
	v_bitop3_b32 v81, v51, v84, v83 bitop3:0x80
	ds_load_b32 v51, v70 offset:32
	v_add_nc_u32_e32 v70, 32, v70
	; wave barrier
	v_bitop3_b32 v71, v81, v71, v80 bitop3:0x80
	s_delay_alu instid0(VALU_DEP_1) | instskip(SKIP_1) | instid1(VALU_DEP_2)
	v_mbcnt_lo_u32_b32 v100, v71, 0
	v_cmp_ne_u32_e64 s15, 0, v71
	v_cmp_eq_u32_e64 s14, 0, v100
	s_and_b32 s15, s15, s14
	s_delay_alu instid0(SALU_CYCLE_1)
	s_and_saveexec_b32 s14, s15
	s_cbranch_execz .LBB288_196
; %bb.195:                              ;   in Loop: Header=BB288_180 Depth=1
	s_wait_dscnt 0x0
	v_bcnt_u32_b32 v71, v71, v51
	ds_store_b32 v70, v71
.LBB288_196:                            ;   in Loop: Header=BB288_180 Depth=1
	s_or_b32 exec_lo, exec_lo, s14
	; wave barrier
	s_wait_dscnt 0x0
	s_barrier_signal -1
	s_barrier_wait -1
	ds_load_b32 v80, v15
	ds_load_b32 v81, v27
	;; [unrolled: 1-line block ×8, first 2 shown]
	s_wait_dscnt 0x6
	v_add_nc_u32_e32 v97, v81, v80
	s_wait_dscnt 0x4
	s_delay_alu instid0(VALU_DEP_1) | instskip(SKIP_1) | instid1(VALU_DEP_1)
	v_add3_u32 v97, v97, v82, v83
	s_wait_dscnt 0x2
	v_add3_u32 v97, v97, v84, v85
	s_wait_dscnt 0x0
	s_delay_alu instid0(VALU_DEP_1) | instskip(NEXT) | instid1(VALU_DEP_1)
	v_add3_u32 v87, v97, v71, v87
	v_mov_b32_dpp v97, v87 row_shr:1 row_mask:0xf bank_mask:0xf
	s_delay_alu instid0(VALU_DEP_1) | instskip(NEXT) | instid1(VALU_DEP_1)
	v_cndmask_b32_e64 v97, v97, 0, vcc_lo
	v_add_nc_u32_e32 v87, v97, v87
	s_delay_alu instid0(VALU_DEP_1) | instskip(NEXT) | instid1(VALU_DEP_1)
	v_mov_b32_dpp v97, v87 row_shr:2 row_mask:0xf bank_mask:0xf
	v_cndmask_b32_e64 v97, 0, v97, s0
	s_delay_alu instid0(VALU_DEP_1) | instskip(NEXT) | instid1(VALU_DEP_1)
	v_add_nc_u32_e32 v87, v87, v97
	v_mov_b32_dpp v97, v87 row_shr:4 row_mask:0xf bank_mask:0xf
	s_delay_alu instid0(VALU_DEP_1) | instskip(NEXT) | instid1(VALU_DEP_1)
	v_cndmask_b32_e64 v97, 0, v97, s1
	v_add_nc_u32_e32 v87, v87, v97
	s_delay_alu instid0(VALU_DEP_1) | instskip(NEXT) | instid1(VALU_DEP_1)
	v_mov_b32_dpp v97, v87 row_shr:8 row_mask:0xf bank_mask:0xf
	v_cndmask_b32_e64 v97, 0, v97, s3
	s_delay_alu instid0(VALU_DEP_1) | instskip(SKIP_3) | instid1(VALU_DEP_1)
	v_add_nc_u32_e32 v87, v87, v97
	ds_swizzle_b32 v97, v87 offset:swizzle(BROADCAST,32,15)
	s_wait_dscnt 0x0
	v_cndmask_b32_e64 v97, v97, 0, s4
	v_add_nc_u32_e32 v87, v87, v97
	s_and_saveexec_b32 s14, s5
; %bb.197:                              ;   in Loop: Header=BB288_180 Depth=1
	ds_store_b32 v148, v87
; %bb.198:                              ;   in Loop: Header=BB288_180 Depth=1
	s_or_b32 exec_lo, exec_lo, s14
	s_wait_dscnt 0x0
	s_barrier_signal -1
	s_barrier_wait -1
	s_and_saveexec_b32 s14, s6
	s_cbranch_execz .LBB288_200
; %bb.199:                              ;   in Loop: Header=BB288_180 Depth=1
	ds_load_b32 v97, v149
	s_wait_dscnt 0x0
	v_mov_b32_dpp v98, v97 row_shr:1 row_mask:0xf bank_mask:0xf
	s_delay_alu instid0(VALU_DEP_1) | instskip(NEXT) | instid1(VALU_DEP_1)
	v_cndmask_b32_e64 v98, v98, 0, s11
	v_add_nc_u32_e32 v97, v98, v97
	s_delay_alu instid0(VALU_DEP_1) | instskip(NEXT) | instid1(VALU_DEP_1)
	v_mov_b32_dpp v98, v97 row_shr:2 row_mask:0xf bank_mask:0xf
	v_cndmask_b32_e64 v98, 0, v98, s12
	s_delay_alu instid0(VALU_DEP_1) | instskip(NEXT) | instid1(VALU_DEP_1)
	v_add_nc_u32_e32 v97, v97, v98
	v_mov_b32_dpp v98, v97 row_shr:4 row_mask:0xf bank_mask:0xf
	s_delay_alu instid0(VALU_DEP_1) | instskip(NEXT) | instid1(VALU_DEP_1)
	v_cndmask_b32_e64 v98, 0, v98, s13
	v_add_nc_u32_e32 v97, v97, v98
	ds_store_b32 v149, v97
.LBB288_200:                            ;   in Loop: Header=BB288_180 Depth=1
	s_or_b32 exec_lo, exec_lo, s14
	v_mov_b32_e32 v97, 0
	s_wait_dscnt 0x0
	s_barrier_signal -1
	s_barrier_wait -1
	s_and_saveexec_b32 s14, s7
; %bb.201:                              ;   in Loop: Header=BB288_180 Depth=1
	ds_load_b32 v97, v151
; %bb.202:                              ;   in Loop: Header=BB288_180 Depth=1
	s_or_b32 exec_lo, exec_lo, s14
	s_wait_dscnt 0x0
	v_add_nc_u32_e32 v87, v97, v87
	v_lshrrev_b64 v[98:99], 24, v[4:5]
	v_dual_lshrrev_b32 v99, 8, v5 :: v_dual_add_nc_u32 v10, 8, v10
	s_mov_b32 s16, -1
	ds_bpermute_b32 v87, v147, v87
	s_mov_b32 s15, exec_lo
	v_dual_mov_b32 v193, v4 :: v_dual_lshrrev_b32 v194, 8, v4
	s_wait_dscnt 0x0
	v_dual_lshrrev_b32 v195, 16, v4 :: v_dual_cndmask_b32 v87, v87, v97, s2
	s_delay_alu instid0(VALU_DEP_1) | instskip(NEXT) | instid1(VALU_DEP_1)
	v_cndmask_b32_e64 v87, v87, 0, s10
	v_add_nc_u32_e32 v80, v87, v80
	s_delay_alu instid0(VALU_DEP_1) | instskip(NEXT) | instid1(VALU_DEP_1)
	v_add_nc_u32_e32 v81, v80, v81
	v_add_nc_u32_e32 v82, v81, v82
	s_delay_alu instid0(VALU_DEP_1)
	v_add_nc_u32_e32 v83, v82, v83
	ds_store_b32 v15, v87
	ds_store_b32 v27, v80
	;; [unrolled: 1-line block ×3, first 2 shown]
	v_dual_mov_b32 v81, v1 :: v_dual_mov_b32 v87, v1
	v_add_nc_u32_e32 v84, v83, v84
	s_delay_alu instid0(VALU_DEP_1) | instskip(NEXT) | instid1(VALU_DEP_1)
	v_add_nc_u32_e32 v85, v84, v85
	v_add_nc_u32_e32 v71, v85, v71
	ds_store_b32 v133, v82
	ds_store_b32 v134, v83
	;; [unrolled: 1-line block ×5, first 2 shown]
	s_wait_dscnt 0x0
	s_barrier_signal -1
	s_barrier_wait -1
	ds_load_b32 v36, v36
	ds_load_b32 v39, v39
	;; [unrolled: 1-line block ×8, first 2 shown]
	v_dual_mov_b32 v69, v1 :: v_dual_mov_b32 v71, v1
	v_dual_mov_b32 v83, v1 :: v_dual_mov_b32 v85, v1
	v_mov_b32_e32 v97, v1
	s_wait_dscnt 0x0
	v_add_nc_u32_e32 v0, v36, v0
	v_add3_u32 v68, v38, v37, v39
	v_add3_u32 v70, v49, v48, v50
	;; [unrolled: 1-line block ×7, first 2 shown]
	v_add_nc_u64_e32 v[130:131], v[12:13], v[0:1]
	v_add_nc_u64_e32 v[128:129], v[12:13], v[68:69]
	v_add_nc_u64_e32 v[118:119], v[12:13], v[70:71]
	v_add_nc_u64_e32 v[116:117], v[12:13], v[82:83]
	v_add_nc_u64_e32 v[114:115], v[12:13], v[80:81]
	v_add_nc_u64_e32 v[112:113], v[12:13], v[84:85]
	v_add_nc_u64_e32 v[102:103], v[12:13], v[86:87]
	v_add_nc_u64_e32 v[100:101], v[12:13], v[96:97]
	v_lshrrev_b32_e32 v71, 16, v5
                                        ; implicit-def: $vgpr69
                                        ; implicit-def: $vgpr52_vgpr53
                                        ; implicit-def: $vgpr54_vgpr55
                                        ; implicit-def: $vgpr66_vgpr67
                                        ; implicit-def: $vgpr36_vgpr37
                                        ; implicit-def: $vgpr38_vgpr39
                                        ; implicit-def: $vgpr48_vgpr49
                                        ; implicit-def: $vgpr50_vgpr51
                                        ; implicit-def: $vgpr64_vgpr65
	v_cmpx_lt_u32_e64 v10, v11
	s_cbranch_execz .LBB288_179
; %bb.203:                              ;   in Loop: Header=BB288_180 Depth=1
	v_mad_nc_u64_u32 v[36:37], v0, 7, v[130:131]
	v_mad_nc_u64_u32 v[38:39], v68, 7, v[128:129]
	;; [unrolled: 1-line block ×7, first 2 shown]
	s_barrier_signal -1
	s_barrier_wait -1
	ds_store_b8 v130, v4
	ds_store_b8 v128, v194
	ds_store_b8 v118, v195
	ds_store_b8 v116, v98
	ds_store_b8 v114, v5
	ds_store_b8 v112, v99
	ds_store_b8 v102, v71
	ds_store_b8 v100, v192
	s_wait_dscnt 0x0
	s_barrier_signal -1
	s_barrier_wait -1
	ds_load_u8 v4, v162
	ds_load_u8 v69, v161
	;; [unrolled: 1-line block ×8, first 2 shown]
	v_mad_nc_u64_u32 v[66:67], v96, 7, v[100:101]
	s_wait_dscnt 0x0
	s_barrier_signal -1
	s_barrier_wait -1
	ds_store_b64 v36, v[16:17]
	ds_store_b64 v38, v[20:21]
	;; [unrolled: 1-line block ×8, first 2 shown]
	s_wait_dscnt 0x0
	s_barrier_signal -1
	s_barrier_wait -1
	ds_load_b64 v[52:53], v164
	ds_load_b64 v[54:55], v176
	;; [unrolled: 1-line block ×8, first 2 shown]
	v_add_nc_u32_e32 v183, -8, v183
	s_xor_b32 s16, exec_lo, -1
	v_perm_b32 v4, v69, v4, 0xc0c0004
	s_wait_dscnt 0x0
	v_perm_b32 v81, v83, v81, 0xc0c0004
	s_barrier_signal -1
	v_perm_b32 v83, v87, v85, 0xc0c0004
	s_barrier_wait -1
	v_perm_b32 v69, v196, v97, 0xc0c0004
	v_lshl_or_b32 v4, v4, 16, v81
	s_delay_alu instid0(VALU_DEP_2)
	v_lshl_or_b32 v69, v83, 16, v69
	s_branch .LBB288_179
.LBB288_204:
	flat_load_b64 v[84:85], v[0:1]
	s_wait_xcnt 0x0
	s_or_b32 exec_lo, exec_lo, s18
                                        ; implicit-def: $vgpr86_vgpr87
	s_and_saveexec_b32 s18, s0
	s_cbranch_execz .LBB288_38
.LBB288_205:
	flat_load_b64 v[86:87], v[0:1] offset:256
	s_wait_xcnt 0x0
	s_or_b32 exec_lo, exec_lo, s18
                                        ; implicit-def: $vgpr96_vgpr97
	s_and_saveexec_b32 s0, s1
	s_cbranch_execz .LBB288_39
.LBB288_206:
	flat_load_b64 v[96:97], v[0:1] offset:512
	s_wait_xcnt 0x0
	s_or_b32 exec_lo, exec_lo, s0
                                        ; implicit-def: $vgpr98_vgpr99
	s_and_saveexec_b32 s0, s2
	s_cbranch_execz .LBB288_40
.LBB288_207:
	flat_load_b64 v[98:99], v[0:1] offset:768
	s_wait_xcnt 0x0
	s_or_b32 exec_lo, exec_lo, s0
                                        ; implicit-def: $vgpr100_vgpr101
	s_and_saveexec_b32 s0, s3
	s_cbranch_execz .LBB288_41
.LBB288_208:
	flat_load_b64 v[100:101], v[0:1] offset:1024
	s_wait_xcnt 0x0
	s_or_b32 exec_lo, exec_lo, s0
                                        ; implicit-def: $vgpr102_vgpr103
	s_and_saveexec_b32 s0, s4
	s_cbranch_execz .LBB288_42
.LBB288_209:
	flat_load_b64 v[102:103], v[0:1] offset:1280
	s_wait_xcnt 0x0
	s_or_b32 exec_lo, exec_lo, s0
                                        ; implicit-def: $vgpr112_vgpr113
	s_and_saveexec_b32 s0, s5
	s_cbranch_execz .LBB288_43
.LBB288_210:
	flat_load_b64 v[112:113], v[0:1] offset:1536
	s_wait_xcnt 0x0
	s_or_b32 exec_lo, exec_lo, s0
                                        ; implicit-def: $vgpr114_vgpr115
	s_and_saveexec_b32 s0, s6
	s_cbranch_execz .LBB288_44
.LBB288_211:
	flat_load_b64 v[114:115], v[0:1] offset:1792
	s_wait_xcnt 0x0
	s_or_b32 exec_lo, exec_lo, s0
                                        ; implicit-def: $vgpr116_vgpr117
	s_and_saveexec_b32 s0, s7
	s_cbranch_execz .LBB288_45
.LBB288_212:
	flat_load_b64 v[116:117], v[0:1] offset:2048
	s_wait_xcnt 0x0
	s_or_b32 exec_lo, exec_lo, s0
                                        ; implicit-def: $vgpr130_vgpr131
	s_and_saveexec_b32 s0, s10
	s_cbranch_execz .LBB288_46
.LBB288_213:
	flat_load_b64 v[130:131], v[0:1] offset:2304
	s_wait_xcnt 0x0
	s_or_b32 exec_lo, exec_lo, s0
                                        ; implicit-def: $vgpr132_vgpr133
	s_and_saveexec_b32 s0, s11
	s_cbranch_execz .LBB288_47
.LBB288_214:
	flat_load_b64 v[132:133], v[0:1] offset:2560
	s_wait_xcnt 0x0
	s_or_b32 exec_lo, exec_lo, s0
                                        ; implicit-def: $vgpr134_vgpr135
	s_and_saveexec_b32 s0, s12
	s_cbranch_execz .LBB288_48
.LBB288_215:
	flat_load_b64 v[134:135], v[0:1] offset:2816
	s_wait_xcnt 0x0
	s_or_b32 exec_lo, exec_lo, s0
                                        ; implicit-def: $vgpr118_vgpr119
	s_and_saveexec_b32 s0, s13
	s_cbranch_execz .LBB288_49
.LBB288_216:
	flat_load_b64 v[118:119], v[0:1] offset:3072
	s_wait_xcnt 0x0
	s_or_b32 exec_lo, exec_lo, s0
                                        ; implicit-def: $vgpr128_vgpr129
	s_and_saveexec_b32 s0, s14
	s_cbranch_execz .LBB288_50
.LBB288_217:
	flat_load_b64 v[128:129], v[0:1] offset:3328
	s_wait_xcnt 0x0
	s_or_b32 exec_lo, exec_lo, s0
                                        ; implicit-def: $vgpr144_vgpr145
	s_and_saveexec_b32 s0, s15
	s_cbranch_execz .LBB288_51
.LBB288_218:
	flat_load_b64 v[144:145], v[0:1] offset:3584
	s_wait_xcnt 0x0
	s_or_b32 exec_lo, exec_lo, s0
                                        ; implicit-def: $vgpr146_vgpr147
	s_and_saveexec_b32 s0, s16
	s_cbranch_execz .LBB288_52
.LBB288_219:
	flat_load_b64 v[146:147], v[0:1] offset:3840
	s_wait_xcnt 0x0
	s_or_b32 exec_lo, exec_lo, s0
                                        ; implicit-def: $vgpr148_vgpr149
	s_and_saveexec_b32 s0, s17
	s_cbranch_execnz .LBB288_53
	s_branch .LBB288_54
.LBB288_220:
	flat_store_b64 v[2:3], v[48:49]
	s_wait_xcnt 0x0
	s_or_b32 exec_lo, exec_lo, s18
	s_and_saveexec_b32 s18, s0
	s_cbranch_execz .LBB288_134
.LBB288_221:
	flat_store_b64 v[2:3], v[50:51] offset:2048
	s_wait_xcnt 0x0
	s_or_b32 exec_lo, exec_lo, s18
	s_and_saveexec_b32 s0, s1
	s_cbranch_execz .LBB288_135
.LBB288_222:
	flat_store_b64 v[2:3], v[34:35] offset:4096
	s_wait_xcnt 0x0
	s_or_b32 exec_lo, exec_lo, s0
	s_and_saveexec_b32 s0, s2
	s_cbranch_execz .LBB288_136
.LBB288_223:
	flat_store_b64 v[2:3], v[36:37] offset:6144
	s_wait_xcnt 0x0
	s_or_b32 exec_lo, exec_lo, s0
	s_and_saveexec_b32 s0, s3
	s_cbranch_execz .LBB288_137
.LBB288_224:
	flat_store_b64 v[2:3], v[30:31] offset:8192
	s_wait_xcnt 0x0
	s_or_b32 exec_lo, exec_lo, s0
	s_and_saveexec_b32 s0, s4
	s_cbranch_execz .LBB288_138
.LBB288_225:
	flat_store_b64 v[2:3], v[32:33] offset:10240
	s_wait_xcnt 0x0
	s_or_b32 exec_lo, exec_lo, s0
	s_and_saveexec_b32 s0, s5
	s_cbranch_execz .LBB288_139
.LBB288_226:
	flat_store_b64 v[2:3], v[26:27] offset:12288
	s_wait_xcnt 0x0
	s_or_b32 exec_lo, exec_lo, s0
	s_and_saveexec_b32 s0, s6
	s_cbranch_execz .LBB288_140
.LBB288_227:
	flat_store_b64 v[2:3], v[28:29] offset:14336
	s_wait_xcnt 0x0
	s_or_b32 exec_lo, exec_lo, s0
	s_and_saveexec_b32 s0, s7
	s_cbranch_execz .LBB288_141
.LBB288_228:
	flat_store_b64 v[2:3], v[22:23] offset:16384
	s_wait_xcnt 0x0
	s_or_b32 exec_lo, exec_lo, s0
	s_and_saveexec_b32 s0, s10
	s_cbranch_execz .LBB288_142
.LBB288_229:
	flat_store_b64 v[2:3], v[24:25] offset:18432
	s_wait_xcnt 0x0
	s_or_b32 exec_lo, exec_lo, s0
	s_and_saveexec_b32 s0, s11
	s_cbranch_execz .LBB288_143
.LBB288_230:
	flat_store_b64 v[2:3], v[18:19] offset:20480
	s_wait_xcnt 0x0
	s_or_b32 exec_lo, exec_lo, s0
	s_and_saveexec_b32 s0, s12
	s_cbranch_execz .LBB288_144
.LBB288_231:
	flat_store_b64 v[2:3], v[20:21] offset:22528
	s_wait_xcnt 0x0
	s_or_b32 exec_lo, exec_lo, s0
	s_and_saveexec_b32 s0, s13
	s_cbranch_execz .LBB288_145
.LBB288_232:
	flat_store_b64 v[2:3], v[14:15] offset:24576
	s_wait_xcnt 0x0
	s_or_b32 exec_lo, exec_lo, s0
	s_and_saveexec_b32 s0, s14
	s_cbranch_execz .LBB288_146
.LBB288_233:
	flat_store_b64 v[2:3], v[16:17] offset:26624
	s_wait_xcnt 0x0
	s_or_b32 exec_lo, exec_lo, s0
	s_and_saveexec_b32 s0, s15
	s_cbranch_execz .LBB288_147
.LBB288_234:
	flat_store_b64 v[2:3], v[10:11] offset:28672
	s_wait_xcnt 0x0
	s_or_b32 exec_lo, exec_lo, s0
	s_and_saveexec_b32 s0, s16
	s_cbranch_execz .LBB288_148
.LBB288_235:
	flat_store_b64 v[2:3], v[12:13] offset:30720
	s_wait_xcnt 0x0
	s_or_b32 exec_lo, exec_lo, s0
	s_and_saveexec_b32 s0, s17
	s_cbranch_execnz .LBB288_149
	s_branch .LBB288_150
.LBB288_236:
	s_or_b32 exec_lo, exec_lo, s26
	v_mad_nc_u64_u32 v[0:1], v0, 7, v[130:131]
	v_mad_nc_u64_u32 v[10:11], v68, 7, v[128:129]
	v_dual_add_nc_u32 v15, v12, v14 :: v_dual_mov_b32 v27, 0
	v_mad_nc_u64_u32 v[12:13], v70, 7, v[118:119]
	v_mad_nc_u64_u32 v[18:19], v82, 7, v[116:117]
	;; [unrolled: 1-line block ×3, first 2 shown]
	s_barrier_signal -1
	s_barrier_wait -1
	ds_store_b8 v130, v193
	ds_store_b8 v128, v194
	ds_store_b8 v118, v195
	ds_store_b8 v116, v98
	ds_store_b8 v114, v5
	ds_store_b8 v112, v99
	ds_store_b8 v102, v71
	ds_store_b8 v100, v192
	s_wait_dscnt 0x0
	s_barrier_signal -1
	s_barrier_wait -1
	ds_load_u8 v49, v15
	ds_load_u8 v48, v15 offset:256
	ds_load_u8 v39, v15 offset:512
	;; [unrolled: 1-line block ×7, first 2 shown]
	s_wait_dscnt 0x0
	s_barrier_signal -1
	v_mad_nc_u64_u32 v[52:53], v84, 7, v[112:113]
	s_barrier_wait -1
	ds_store_b64 v0, v[16:17]
	ds_store_b64 v10, v[20:21]
	ds_store_b64 v12, v[22:23]
	ds_store_b64 v18, v[34:35]
	v_mul_u32_u24_e32 v0, 7, v14
	v_mad_nc_u64_u32 v[54:55], v86, 7, v[102:103]
	v_mad_nc_u64_u32 v[64:65], v96, 7, v[100:101]
	ds_store_b64 v50, v[24:25]
	ds_store_b64 v52, v[30:31]
	;; [unrolled: 1-line block ×4, first 2 shown]
	v_add_nc_u32_e32 v0, v15, v0
	s_wait_dscnt 0x0
	s_barrier_signal -1
	s_barrier_wait -1
	ds_load_2addr_stride64_b64 v[22:25], v0 offset1:4
	ds_load_2addr_stride64_b64 v[18:21], v0 offset0:8 offset1:12
	ds_load_2addr_stride64_b64 v[14:17], v0 offset0:16 offset1:20
	;; [unrolled: 1-line block ×3, first 2 shown]
	v_add_nc_u64_e32 v[0:1], v[2:3], v[8:9]
	s_set_vgpr_msb 4                        ;  msbs: dst=0 src0=0 src1=1 src2=0
	v_cmp_lt_u32_e32 vcc_lo, v26, v20 /*v276*/
	s_wait_dscnt 0x0
	s_barrier_signal -1
	s_barrier_wait -1
	s_set_vgpr_msb 0                        ;  msbs: dst=0 src0=0 src1=0 src2=0
	v_add_nc_u64_e32 v[0:1], v[0:1], v[26:27]
	s_and_saveexec_b32 s0, vcc_lo
	s_cbranch_execz .LBB288_238
; %bb.237:
	v_xor_b32_e32 v2, 0x7f, v49
	flat_store_b8 v[0:1], v2
.LBB288_238:
	s_wait_xcnt 0x0
	s_or_b32 exec_lo, exec_lo, s0
	v_add_nc_u32_e32 v2, 0x100, v26
	s_set_vgpr_msb 4                        ;  msbs: dst=0 src0=0 src1=1 src2=0
	s_delay_alu instid0(VALU_DEP_1)
	v_cmp_lt_u32_e64 s0, v2, v20 /*v276*/
	s_and_saveexec_b32 s1, s0
	s_set_vgpr_msb 0                        ;  msbs: dst=0 src0=0 src1=0 src2=0
	s_cbranch_execz .LBB288_240
; %bb.239:
	v_xor_b32_e32 v2, 0x7f, v48
	flat_store_b8 v[0:1], v2 offset:256
.LBB288_240:
	s_wait_xcnt 0x0
	s_or_b32 exec_lo, exec_lo, s1
	v_add_nc_u32_e32 v2, 0x200, v26
	s_set_vgpr_msb 4                        ;  msbs: dst=0 src0=0 src1=1 src2=0
	s_delay_alu instid0(VALU_DEP_1)
	v_cmp_lt_u32_e64 s1, v2, v20 /*v276*/
	s_and_saveexec_b32 s2, s1
	s_set_vgpr_msb 0                        ;  msbs: dst=0 src0=0 src1=0 src2=0
	s_cbranch_execz .LBB288_242
; %bb.241:
	v_xor_b32_e32 v2, 0x7f, v39
	flat_store_b8 v[0:1], v2 offset:512
.LBB288_242:
	;; [unrolled: 13-line block ×7, first 2 shown]
	s_wait_xcnt 0x0
	s_or_b32 exec_lo, exec_lo, s7
	v_lshl_add_u64 v[0:1], v[8:9], 3, v[6:7]
	s_delay_alu instid0(VALU_DEP_1)
	v_lshl_add_u64 v[0:1], v[26:27], 3, v[0:1]
	s_and_saveexec_b32 s7, vcc_lo
	s_cbranch_execnz .LBB288_302
; %bb.253:
	s_or_b32 exec_lo, exec_lo, s7
	s_and_saveexec_b32 s7, s0
	s_cbranch_execnz .LBB288_303
.LBB288_254:
	s_or_b32 exec_lo, exec_lo, s7
	s_and_saveexec_b32 s0, s1
	s_cbranch_execnz .LBB288_304
.LBB288_255:
	s_or_b32 exec_lo, exec_lo, s0
	s_and_saveexec_b32 s0, s2
	s_cbranch_execnz .LBB288_305
.LBB288_256:
	s_or_b32 exec_lo, exec_lo, s0
	s_and_saveexec_b32 s0, s3
	s_cbranch_execnz .LBB288_306
.LBB288_257:
	s_or_b32 exec_lo, exec_lo, s0
	s_and_saveexec_b32 s0, s4
	s_cbranch_execnz .LBB288_307
.LBB288_258:
	s_or_b32 exec_lo, exec_lo, s0
	s_and_saveexec_b32 s0, s5
	s_cbranch_execnz .LBB288_308
.LBB288_259:
	s_or_b32 exec_lo, exec_lo, s0
	s_and_saveexec_b32 s0, s6
	s_cbranch_execz .LBB288_261
.LBB288_260:
	flat_store_b64 v[0:1], v[12:13] offset:14336
.LBB288_261:
	s_wait_xcnt 0x0
	s_or_b32 exec_lo, exec_lo, s0
                                        ; implicit-def: $vgpr276
                                        ; implicit-def: $vgpr8
                                        ; implicit-def: $vgpr10
                                        ; implicit-def: $vgpr11
                                        ; implicit-def: $vgpr0_vgpr1
                                        ; implicit-def: $vgpr2_vgpr3
                                        ; implicit-def: $vgpr4_vgpr5
                                        ; implicit-def: $vgpr6_vgpr7
                                        ; implicit-def: $vgpr12_vgpr13
                                        ; implicit-def: $vgpr9
                                        ; implicit-def: $vgpr15
                                        ; implicit-def: $vgpr14
                                        ; implicit-def: $vgpr16
.LBB288_262:
	s_and_not1_saveexec_b32 s0, s24
	s_cbranch_execz .LBB288_382
; %bb.263:
	s_mov_b32 s0, exec_lo
	s_set_vgpr_msb 4                        ;  msbs: dst=0 src0=0 src1=1 src2=0
	v_cmpx_lt_u32_e32 0x200, v20 /*v276*/
	s_xor_b32 s20, exec_lo, s0
	s_set_vgpr_msb 0                        ;  msbs: dst=0 src0=0 src1=0 src2=0
	s_cbranch_execz .LBB288_323
; %bb.264:
	s_load_b64 s[0:1], s[8:9], 0x0
	s_bfe_u32 s3, ttmp6, 0x4000c
	s_bfe_u32 s5, ttmp6, 0x40010
	s_and_b32 s4, ttmp7, 0xffff
	s_add_co_i32 s3, s3, 1
	s_add_co_i32 s5, s5, 1
	s_and_b32 s2, ttmp6, 15
	s_bfe_u32 s6, ttmp6, 0x40004
	s_mul_i32 s3, ttmp9, s3
	s_mul_i32 s5, s4, s5
	s_add_co_i32 s2, s2, s3
	s_add_co_i32 s6, s6, s5
	s_cmp_eq_u32 s23, 0
	s_mov_b32 s3, 0
	s_cselect_b32 s2, ttmp9, s2
	s_cselect_b32 s4, s4, s6
	v_dual_mov_b32 v19, 0x80 :: v_dual_mov_b32 v22, 0x80
	s_wait_kmcnt 0x0
	s_cmp_lt_u32 s2, s0
	s_cselect_b32 s2, 12, 18
	s_cmp_lt_u32 s4, s1
	s_mov_b32 s1, s3
	s_cselect_b32 s0, 14, 20
	s_delay_alu instid0(SALU_CYCLE_1)
	s_add_nc_u64 s[0:1], s[8:9], s[0:1]
	s_load_u16 s4, s[0:1], 0x0
	s_wait_xcnt 0x0
	s_add_nc_u64 s[0:1], s[8:9], s[2:3]
	s_load_u16 s0, s[0:1], 0x0
	s_wait_kmcnt 0x0
	v_mad_u32_u24 v9, v15, s4, v9
	v_mov_b32_e32 v15, 0x80
	s_delay_alu instid0(VALU_DEP_2) | instskip(SKIP_1) | instid1(VALU_DEP_1)
	v_mad_u32 v18, v9, s0, v14
	v_mov_b32_e32 v9, 0
	v_add_nc_u64_e32 v[20:21], v[0:1], v[8:9]
	s_delay_alu instid0(VALU_DEP_3) | instskip(SKIP_1) | instid1(VALU_DEP_2)
	v_dual_mov_b32 v17, v9 :: v_dual_lshlrev_b32 v0, 2, v18
	v_mov_b32_e32 v1, v9
	v_and_b32_e32 v0, 0xffffff80, v0
	s_delay_alu instid0(VALU_DEP_3) | instskip(SKIP_1) | instid1(VALU_DEP_3)
	v_add_nc_u64_e32 v[20:21], v[20:21], v[16:17]
	v_mov_b32_e32 v17, 0x80
	v_or_b32_e32 v23, v0, v16
	s_delay_alu instid0(VALU_DEP_3) | instskip(SKIP_1) | instid1(VALU_DEP_2)
	v_add_nc_u64_e32 v[20:21], v[20:21], v[0:1]
	s_set_vgpr_msb 4                        ;  msbs: dst=0 src0=0 src1=1 src2=0
	v_cmp_lt_u32_e32 vcc_lo, v23, v20 /*v276*/
	s_and_saveexec_b32 s0, vcc_lo
	s_set_vgpr_msb 0                        ;  msbs: dst=0 src0=0 src1=0 src2=0
	s_cbranch_execz .LBB288_266
; %bb.265:
	flat_load_u8 v15, v[20:21]
	v_dual_mov_b32 v17, 0x80 :: v_dual_mov_b32 v22, 0x80
	v_mov_b32_e32 v19, 0x80
.LBB288_266:
	s_wait_xcnt 0x0
	s_or_b32 exec_lo, exec_lo, s0
	v_or_b32_e32 v24, 32, v23
	s_set_vgpr_msb 4                        ;  msbs: dst=0 src0=0 src1=1 src2=0
	s_delay_alu instid0(VALU_DEP_1)
	v_cmp_lt_u32_e64 s0, v24, v20 /*v276*/
	s_and_saveexec_b32 s1, s0
	s_set_vgpr_msb 0                        ;  msbs: dst=0 src0=0 src1=0 src2=0
	s_cbranch_execz .LBB288_268
; %bb.267:
	flat_load_u8 v22, v[20:21] offset:32
.LBB288_268:
	s_wait_xcnt 0x0
	s_or_b32 exec_lo, exec_lo, s1
	v_or_b32_e32 v24, 64, v23
	s_set_vgpr_msb 4                        ;  msbs: dst=0 src0=0 src1=1 src2=0
	s_delay_alu instid0(VALU_DEP_1)
	v_cmp_lt_u32_e64 s1, v24, v20 /*v276*/
	s_and_saveexec_b32 s2, s1
	s_set_vgpr_msb 0                        ;  msbs: dst=0 src0=0 src1=0 src2=0
	s_cbranch_execz .LBB288_270
; %bb.269:
	flat_load_u8 v19, v[20:21] offset:64
.LBB288_270:
	;; [unrolled: 12-line block ×3, first 2 shown]
	s_wait_xcnt 0x0
	s_or_b32 exec_lo, exec_lo, s3
	v_lshl_add_u64 v[4:5], v[8:9], 3, v[4:5]
	v_dual_mov_b32 v21, 0 :: v_dual_lshlrev_b32 v20, 3, v16
                                        ; implicit-def: $vgpr26_vgpr27
	s_delay_alu instid0(VALU_DEP_1) | instskip(NEXT) | instid1(VALU_DEP_1)
	v_add_nc_u64_e32 v[4:5], v[4:5], v[20:21]
	v_lshl_add_u64 v[0:1], v[0:1], 3, v[4:5]
	s_and_saveexec_b32 s3, vcc_lo
	s_cbranch_execnz .LBB288_347
; %bb.273:
	s_or_b32 exec_lo, exec_lo, s3
                                        ; implicit-def: $vgpr28_vgpr29
	s_and_saveexec_b32 s3, s0
	s_cbranch_execnz .LBB288_348
.LBB288_274:
	s_or_b32 exec_lo, exec_lo, s3
                                        ; implicit-def: $vgpr30_vgpr31
	s_and_saveexec_b32 s0, s1
	s_cbranch_execnz .LBB288_349
.LBB288_275:
	s_or_b32 exec_lo, exec_lo, s0
                                        ; implicit-def: $vgpr32_vgpr33
	s_and_saveexec_b32 s0, s2
	s_cbranch_execz .LBB288_277
.LBB288_276:
	flat_load_b64 v[32:33], v[0:1] offset:768
.LBB288_277:
	s_wait_xcnt 0x0
	s_or_b32 exec_lo, exec_lo, s0
	s_wait_loadcnt_dscnt 0x0
	v_xor_b32_e32 v0, 0x7f, v22
	v_xor_b32_e32 v1, 0x7f, v17
	;; [unrolled: 1-line block ×4, first 2 shown]
	v_lshl_add_u32 v17, v14, 5, v12
	v_lshlrev_b16 v0, 8, v0
	v_lshlrev_b16 v1, 8, v1
	s_get_pc_i64 s[0:1]
	s_add_nc_u64 s[0:1], s[0:1], _ZN7rocprim17ROCPRIM_400000_NS16block_radix_sortIaLj256ELj4ElLj1ELj1ELj8ELNS0_26block_radix_rank_algorithmE2ELNS0_18block_padding_hintE2ELNS0_4arch9wavefront6targetE0EE19radix_bits_per_passE@rel64+4
	v_cmp_lt_u32_e64 s7, 31, v14
	v_add_nc_u32_e32 v69, 60, v17
	v_bitop3_b16 v0, v4, v0, 0xff bitop3:0xec
	v_bitop3_b16 v1, v5, v1, 0xff bitop3:0xec
	v_and_b32_e32 v4, 16, v16
	v_sub_co_u32 v5, s2, v16, 1
	s_delay_alu instid0(VALU_DEP_4) | instskip(NEXT) | instid1(VALU_DEP_4)
	v_and_b32_e32 v0, 0xffff, v0
	v_dual_lshlrev_b32 v1, 16, v1 :: v_dual_lshrrev_b32 v70, 5, v18
	s_delay_alu instid0(VALU_DEP_4) | instskip(NEXT) | instid1(VALU_DEP_4)
	v_cmp_eq_u32_e64 s4, 0, v4
	v_cmp_gt_i32_e64 s6, 0, v5
	s_load_b32 s21, s[0:1], 0x0
	v_or_b32_e32 v80, v0, v1
	v_and_b32_e32 v0, 0x3e0, v14
	v_dual_add_nc_u32 v68, 56, v17 :: v_dual_bitop2_b32 v1, 15, v16 bitop3:0x40
	v_dual_add_nc_u32 v15, 32, v17 :: v_dual_add_nc_u32 v19, 36, v17
	s_delay_alu instid0(VALU_DEP_3) | instskip(NEXT) | instid1(VALU_DEP_3)
	v_min_u32_e32 v0, 0xe0, v0
	v_cmp_eq_u32_e32 vcc_lo, 0, v1
	s_wait_xcnt 0x0
	v_cmp_lt_u32_e64 s0, 1, v1
	v_lshlrev_b32_e32 v4, 2, v14
	v_cmp_lt_u32_e64 s1, 3, v1
	v_or_b32_e32 v0, 31, v0
	v_cmp_lt_u32_e64 s3, 7, v1
	v_cndmask_b32_e64 v1, v5, v16, s6
	v_and_or_b32 v5, 0xf80, v4, v16
	v_dual_add_nc_u32 v64, 40, v17 :: v_dual_add_nc_u32 v65, 44, v17
	v_cmp_eq_u32_e64 s5, v14, v0
	v_dual_lshrrev_b32 v0, 3, v14 :: v_dual_add_nc_u32 v66, 48, v17
	v_add_nc_u32_e32 v67, 52, v17
	v_cmp_gt_u32_e64 s6, 8, v14
	v_cmp_eq_u32_e64 s10, 0, v14
	s_delay_alu instid0(VALU_DEP_4) | instskip(SKIP_3) | instid1(VALU_DEP_4)
	v_and_b32_e32 v0, 0x7c, v0
	v_add_nc_u32_e32 v82, v12, v5
	v_mul_u32_u24_e32 v5, 7, v5
	v_dual_add_nc_u32 v83, v12, v4 :: v_dual_sub_nc_u32 v100, v11, v10
	v_add_nc_u32_e32 v81, v12, v0
	s_delay_alu instid0(VALU_DEP_3) | instskip(SKIP_2) | instid1(VALU_DEP_3)
	v_dual_add_nc_u32 v84, v82, v5 :: v_dual_bitop2_b32 v0, 7, v16 bitop3:0x40
	v_mov_b64_e32 v[4:5], 0
	v_dual_lshlrev_b32 v71, 2, v1 :: v_dual_mov_b32 v1, 0
	v_cmp_eq_u32_e64 s11, 0, v0
	v_cmp_lt_u32_e64 s12, 1, v0
	v_cmp_lt_u32_e64 s13, 3, v0
	v_dual_add_nc_u32 v85, -4, v81 :: v_dual_add_nc_u32 v86, 32, v82
	v_add_nc_u32_e32 v87, 64, v82
	v_add_nc_u32_e32 v96, 0x60, v82
	;; [unrolled: 1-line block ×5, first 2 shown]
	s_mov_b32 s24, 0
	s_wait_storecnt 0x0
	s_barrier_signal -1
	s_barrier_wait -1
	s_branch .LBB288_279
.LBB288_278:                            ;   in Loop: Header=BB288_279 Depth=1
	s_or_b32 exec_lo, exec_lo, s15
	s_delay_alu instid0(SALU_CYCLE_1) | instskip(NEXT) | instid1(SALU_CYCLE_1)
	s_and_b32 s14, exec_lo, s16
	s_or_b32 s24, s14, s24
	s_delay_alu instid0(SALU_CYCLE_1)
	s_and_not1_b32 exec_lo, exec_lo, s24
	s_cbranch_execz .LBB288_309
.LBB288_279:                            ; =>This Inner Loop Header: Depth=1
	s_wait_kmcnt 0x0
	v_min_u32_e32 v0, s21, v100
	v_and_b32_e32 v16, 0xff, v80
	ds_store_b64 v15, v[4:5]
	ds_store_b64 v64, v[4:5]
	ds_store_b64 v66, v[4:5]
	ds_store_b64 v68, v[4:5]
	s_wait_dscnt 0x0
	v_lshlrev_b32_e64 v34, v0, -1
	v_lshrrev_b32_e32 v0, v10, v16
	s_barrier_signal -1
	s_barrier_wait -1
	s_delay_alu instid0(VALU_DEP_1) | instskip(SKIP_1) | instid1(VALU_DEP_2)
	v_bitop3_b32 v16, v0, 1, v34 bitop3:0x40
	v_bitop3_b32 v0, v0, v34, v0 bitop3:0x30
	; wave barrier
	v_add_co_u32 v16, s14, v16, -1
	s_delay_alu instid0(VALU_DEP_1) | instskip(NEXT) | instid1(VALU_DEP_3)
	v_cndmask_b32_e64 v17, 0, 1, s14
	v_dual_lshlrev_b32 v20, 30, v0 :: v_dual_lshlrev_b32 v21, 29, v0
	v_dual_lshlrev_b32 v22, 28, v0 :: v_dual_lshlrev_b32 v23, 27, v0
	s_delay_alu instid0(VALU_DEP_3) | instskip(NEXT) | instid1(VALU_DEP_3)
	v_cmp_ne_u32_e64 s14, 0, v17
	v_not_b32_e32 v17, v20
	v_dual_lshlrev_b32 v24, 26, v0 :: v_dual_lshlrev_b32 v25, 25, v0
	v_cmp_gt_i32_e64 s15, 0, v20
	v_cmp_gt_i32_e64 s16, 0, v21
	v_not_b32_e32 v20, v21
	v_not_b32_e32 v21, v22
	v_dual_ashrrev_i32 v17, 31, v17 :: v_dual_lshlrev_b32 v35, 24, v0
	v_cmp_gt_i32_e64 s17, 0, v22
	v_cmp_gt_i32_e64 s18, 0, v23
	v_not_b32_e32 v22, v23
	v_xor_b32_e32 v16, s14, v16
	v_dual_ashrrev_i32 v20, 31, v20 :: v_dual_bitop2_b32 v17, s15, v17 bitop3:0x14
	v_ashrrev_i32_e32 v21, 31, v21
	v_not_b32_e32 v23, v24
	v_cmp_gt_i32_e64 s19, 0, v24
	s_delay_alu instid0(VALU_DEP_4) | instskip(SKIP_1) | instid1(VALU_DEP_4)
	v_dual_ashrrev_i32 v22, 31, v22 :: v_dual_bitop2_b32 v20, s16, v20 bitop3:0x14
	v_bitop3_b32 v16, v16, v17, exec_lo bitop3:0x80
	v_ashrrev_i32_e32 v17, 31, v23
	v_not_b32_e32 v23, v25
	v_xor_b32_e32 v21, s17, v21
	v_not_b32_e32 v24, v35
	v_xor_b32_e32 v22, s18, v22
	v_dual_lshlrev_b32 v0, 3, v0 :: v_dual_bitop2_b32 v17, s19, v17 bitop3:0x14
	s_delay_alu instid0(VALU_DEP_4)
	v_bitop3_b32 v16, v16, v21, v20 bitop3:0x80
	v_cmp_gt_i32_e64 s14, 0, v25
	v_ashrrev_i32_e32 v20, 31, v23
	v_cmp_gt_i32_e64 s15, 0, v35
	v_ashrrev_i32_e32 v21, 31, v24
	v_bitop3_b32 v24, v16, v17, v22 bitop3:0x80
	v_add_lshl_u32 v0, v0, v70, 2
	v_xor_b32_e32 v25, s14, v20
	v_mov_b64_e32 v[22:23], v[28:29]
	v_xor_b32_e32 v35, s15, v21
	v_mov_b64_e32 v[16:17], v[26:27]
	v_add_nc_u64_e32 v[26:27], v[12:13], v[0:1]
	v_mov_b64_e32 v[20:21], v[30:31]
	s_delay_alu instid0(VALU_DEP_4) | instskip(SKIP_1) | instid1(VALU_DEP_4)
	v_bitop3_b32 v28, v24, v35, v25 bitop3:0x80
	v_mov_b64_e32 v[24:25], v[32:33]
	v_add_nc_u64_e32 v[26:27], 32, v[26:27]
	s_delay_alu instid0(VALU_DEP_3) | instskip(SKIP_1) | instid1(VALU_DEP_2)
	v_mbcnt_lo_u32_b32 v0, v28, 0
	v_cmp_ne_u32_e64 s15, 0, v28
	v_cmp_eq_u32_e64 s14, 0, v0
	s_and_b32 s15, s15, s14
	s_delay_alu instid0(SALU_CYCLE_1)
	s_and_saveexec_b32 s14, s15
; %bb.280:                              ;   in Loop: Header=BB288_279 Depth=1
	v_bcnt_u32_b32 v27, v28, 0
	ds_store_b32 v26, v27
; %bb.281:                              ;   in Loop: Header=BB288_279 Depth=1
	s_or_b32 exec_lo, exec_lo, s14
	v_bfe_u32 v27, v80, 8, 8
	v_not_b32_e32 v33, v34
	; wave barrier
	s_delay_alu instid0(VALU_DEP_2) | instskip(NEXT) | instid1(VALU_DEP_1)
	v_lshrrev_b32_e32 v27, v10, v27
	v_and_b32_e32 v28, v27, v33
	s_delay_alu instid0(VALU_DEP_1) | instskip(SKIP_1) | instid1(VALU_DEP_2)
	v_lshlrev_b32_e32 v31, 30, v28
	v_bitop3_b32 v27, v27, 1, v33 bitop3:0x80
	v_cmp_gt_i32_e64 s15, 0, v31
	s_delay_alu instid0(VALU_DEP_2) | instskip(NEXT) | instid1(VALU_DEP_1)
	v_add_co_u32 v27, s14, v27, -1
	v_cndmask_b32_e64 v30, 0, 1, s14
	s_delay_alu instid0(VALU_DEP_1) | instskip(SKIP_1) | instid1(VALU_DEP_1)
	v_cmp_ne_u32_e64 s14, 0, v30
	v_not_b32_e32 v30, v31
	v_dual_ashrrev_i32 v30, 31, v30 :: v_dual_lshlrev_b32 v32, 29, v28
	v_dual_lshlrev_b32 v34, 28, v28 :: v_dual_lshlrev_b32 v35, 27, v28
	v_lshlrev_b32_e32 v36, 26, v28
	v_lshl_add_u32 v29, v28, 3, v70
	s_delay_alu instid0(VALU_DEP_4)
	v_cmp_gt_i32_e64 s16, 0, v32
	v_not_b32_e32 v31, v32
	v_not_b32_e32 v32, v34
	v_dual_lshlrev_b32 v37, 25, v28 :: v_dual_lshlrev_b32 v28, 24, v28
	v_cmp_gt_i32_e64 s17, 0, v34
	v_cmp_gt_i32_e64 s18, 0, v35
	v_not_b32_e32 v34, v35
	v_dual_ashrrev_i32 v32, 31, v32 :: v_dual_bitop2_b32 v27, s14, v27 bitop3:0x14
	v_dual_ashrrev_i32 v31, 31, v31 :: v_dual_bitop2_b32 v30, s15, v30 bitop3:0x14
	v_not_b32_e32 v35, v36
	v_cmp_gt_i32_e64 s19, 0, v36
	s_delay_alu instid0(VALU_DEP_3)
	v_dual_ashrrev_i32 v34, 31, v34 :: v_dual_bitop2_b32 v31, s16, v31 bitop3:0x14
	v_xor_b32_e32 v32, s17, v32
	v_bitop3_b32 v27, v27, v30, exec_lo bitop3:0x80
	v_ashrrev_i32_e32 v30, 31, v35
	v_not_b32_e32 v35, v37
	v_not_b32_e32 v36, v28
	v_xor_b32_e32 v34, s18, v34
	v_bitop3_b32 v27, v27, v32, v31 bitop3:0x80
	v_xor_b32_e32 v30, s19, v30
	v_cmp_gt_i32_e64 s14, 0, v37
	v_ashrrev_i32_e32 v31, 31, v35
	v_cmp_gt_i32_e64 s15, 0, v28
	v_ashrrev_i32_e32 v28, 31, v36
	v_lshl_add_u32 v29, v29, 2, v12
	v_bitop3_b32 v30, v27, v30, v34 bitop3:0x80
	v_xor_b32_e32 v31, s14, v31
	s_delay_alu instid0(VALU_DEP_4) | instskip(SKIP_3) | instid1(VALU_DEP_1)
	v_xor_b32_e32 v28, s15, v28
	ds_load_b32 v27, v29 offset:32
	v_add_nc_u32_e32 v29, 32, v29
	; wave barrier
	v_bitop3_b32 v30, v30, v28, v31 bitop3:0x80
	v_mbcnt_lo_u32_b32 v28, v30, 0
	v_cmp_ne_u32_e64 s15, 0, v30
	s_delay_alu instid0(VALU_DEP_2) | instskip(SKIP_1) | instid1(SALU_CYCLE_1)
	v_cmp_eq_u32_e64 s14, 0, v28
	s_and_b32 s15, s15, s14
	s_and_saveexec_b32 s14, s15
	s_cbranch_execz .LBB288_283
; %bb.282:                              ;   in Loop: Header=BB288_279 Depth=1
	s_wait_dscnt 0x0
	v_bcnt_u32_b32 v30, v30, v27
	ds_store_b32 v29, v30
.LBB288_283:                            ;   in Loop: Header=BB288_279 Depth=1
	s_or_b32 exec_lo, exec_lo, s14
	v_bfe_u32 v30, v80, 16, 8
	; wave barrier
	s_delay_alu instid0(VALU_DEP_1) | instskip(NEXT) | instid1(VALU_DEP_1)
	v_lshrrev_b32_e32 v30, v10, v30
	v_and_b32_e32 v31, v30, v33
	s_delay_alu instid0(VALU_DEP_1) | instskip(SKIP_1) | instid1(VALU_DEP_2)
	v_lshlrev_b32_e32 v35, 30, v31
	v_bitop3_b32 v30, v30, 1, v33 bitop3:0x80
	v_cmp_gt_i32_e64 s15, 0, v35
	s_delay_alu instid0(VALU_DEP_2) | instskip(NEXT) | instid1(VALU_DEP_1)
	v_add_co_u32 v30, s14, v30, -1
	v_cndmask_b32_e64 v34, 0, 1, s14
	s_delay_alu instid0(VALU_DEP_1) | instskip(SKIP_1) | instid1(VALU_DEP_1)
	v_cmp_ne_u32_e64 s14, 0, v34
	v_not_b32_e32 v34, v35
	v_dual_ashrrev_i32 v34, 31, v34 :: v_dual_lshlrev_b32 v36, 29, v31
	v_dual_lshlrev_b32 v37, 28, v31 :: v_dual_lshlrev_b32 v38, 27, v31
	v_lshlrev_b32_e32 v39, 26, v31
	v_lshl_add_u32 v32, v31, 3, v70
	s_delay_alu instid0(VALU_DEP_4)
	v_cmp_gt_i32_e64 s16, 0, v36
	v_not_b32_e32 v35, v36
	v_not_b32_e32 v36, v37
	v_dual_lshlrev_b32 v48, 25, v31 :: v_dual_lshlrev_b32 v31, 24, v31
	v_cmp_gt_i32_e64 s17, 0, v37
	v_cmp_gt_i32_e64 s18, 0, v38
	v_not_b32_e32 v37, v38
	v_not_b32_e32 v38, v39
	v_dual_ashrrev_i32 v35, 31, v35 :: v_dual_bitop2_b32 v30, s14, v30 bitop3:0x14
	v_dual_ashrrev_i32 v36, 31, v36 :: v_dual_bitop2_b32 v34, s15, v34 bitop3:0x14
	v_cmp_gt_i32_e64 s19, 0, v39
	s_delay_alu instid0(VALU_DEP_4) | instskip(SKIP_1) | instid1(VALU_DEP_4)
	v_dual_ashrrev_i32 v37, 31, v37 :: v_dual_ashrrev_i32 v38, 31, v38
	v_not_b32_e32 v39, v31
	v_xor_b32_e32 v36, s17, v36
	v_bitop3_b32 v30, v30, v34, exec_lo bitop3:0x80
	v_not_b32_e32 v34, v48
	v_xor_b32_e32 v35, s16, v35
	v_xor_b32_e32 v38, s19, v38
	v_cmp_gt_i32_e64 s14, 0, v48
	v_cmp_gt_i32_e64 s15, 0, v31
	v_dual_ashrrev_i32 v34, 31, v34 :: v_dual_ashrrev_i32 v31, 31, v39
	v_bitop3_b32 v30, v30, v36, v35 bitop3:0x80
	v_lshl_add_u32 v32, v32, 2, v12
	v_xor_b32_e32 v37, s18, v37
	s_delay_alu instid0(VALU_DEP_4) | instskip(SKIP_1) | instid1(VALU_DEP_3)
	v_xor_b32_e32 v34, s14, v34
	v_xor_b32_e32 v31, s15, v31
	v_bitop3_b32 v35, v30, v38, v37 bitop3:0x80
	ds_load_b32 v30, v32 offset:32
	v_add_nc_u32_e32 v32, 32, v32
	; wave barrier
	v_bitop3_b32 v34, v35, v31, v34 bitop3:0x80
	s_delay_alu instid0(VALU_DEP_1) | instskip(SKIP_1) | instid1(VALU_DEP_2)
	v_mbcnt_lo_u32_b32 v31, v34, 0
	v_cmp_ne_u32_e64 s15, 0, v34
	v_cmp_eq_u32_e64 s14, 0, v31
	s_and_b32 s15, s15, s14
	s_delay_alu instid0(SALU_CYCLE_1)
	s_and_saveexec_b32 s14, s15
	s_cbranch_execz .LBB288_285
; %bb.284:                              ;   in Loop: Header=BB288_279 Depth=1
	s_wait_dscnt 0x0
	v_bcnt_u32_b32 v34, v34, v30
	ds_store_b32 v32, v34
.LBB288_285:                            ;   in Loop: Header=BB288_279 Depth=1
	s_or_b32 exec_lo, exec_lo, s14
	v_lshrrev_b32_e32 v101, 24, v80
	; wave barrier
	s_delay_alu instid0(VALU_DEP_1) | instskip(NEXT) | instid1(VALU_DEP_1)
	v_lshrrev_b32_e32 v34, v10, v101
	v_and_b32_e32 v35, v34, v33
	s_delay_alu instid0(VALU_DEP_1) | instskip(SKIP_3) | instid1(VALU_DEP_3)
	v_lshlrev_b32_e32 v37, 30, v35
	v_bitop3_b32 v33, v34, 1, v33 bitop3:0x80
	v_dual_lshlrev_b32 v38, 29, v35 :: v_dual_lshlrev_b32 v39, 28, v35
	v_dual_lshlrev_b32 v48, 27, v35 :: v_dual_lshlrev_b32 v49, 26, v35
	v_add_co_u32 v33, s14, v33, -1
	s_delay_alu instid0(VALU_DEP_1)
	v_cndmask_b32_e64 v36, 0, 1, s14
	v_cmp_gt_i32_e64 s15, 0, v37
	v_cmp_gt_i32_e64 s16, 0, v38
	v_lshl_add_u32 v34, v35, 3, v70
	v_dual_lshlrev_b32 v50, 25, v35 :: v_dual_lshlrev_b32 v35, 24, v35
	v_cmp_ne_u32_e64 s14, 0, v36
	v_not_b32_e32 v36, v37
	v_not_b32_e32 v37, v38
	;; [unrolled: 1-line block ×3, first 2 shown]
	v_cmp_gt_i32_e64 s17, 0, v39
	v_cmp_gt_i32_e64 s18, 0, v48
	v_dual_ashrrev_i32 v36, 31, v36 :: v_dual_bitop2_b32 v33, s14, v33 bitop3:0x14
	v_not_b32_e32 v39, v48
	v_not_b32_e32 v48, v49
	v_dual_ashrrev_i32 v37, 31, v37 :: v_dual_ashrrev_i32 v38, 31, v38
	s_delay_alu instid0(VALU_DEP_3) | instskip(SKIP_1) | instid1(VALU_DEP_3)
	v_dual_ashrrev_i32 v39, 31, v39 :: v_dual_bitop2_b32 v36, s15, v36 bitop3:0x14
	v_cmp_gt_i32_e64 s19, 0, v49
	v_dual_ashrrev_i32 v48, 31, v48 :: v_dual_bitop2_b32 v37, s16, v37 bitop3:0x14
	s_delay_alu instid0(VALU_DEP_3)
	v_bitop3_b32 v33, v33, v36, exec_lo bitop3:0x80
	v_not_b32_e32 v36, v50
	v_xor_b32_e32 v38, s17, v38
	v_not_b32_e32 v49, v35
	v_xor_b32_e32 v39, s18, v39
	v_cmp_gt_i32_e64 s14, 0, v50
	v_ashrrev_i32_e32 v36, 31, v36
	v_bitop3_b32 v33, v33, v38, v37 bitop3:0x80
	v_cmp_gt_i32_e64 s15, 0, v35
	v_ashrrev_i32_e32 v35, 31, v49
	v_lshl_add_u32 v37, v34, 2, v12
	v_xor_b32_e32 v48, s19, v48
	v_xor_b32_e32 v36, s14, v36
	s_delay_alu instid0(VALU_DEP_4) | instskip(NEXT) | instid1(VALU_DEP_3)
	v_xor_b32_e32 v35, s15, v35
	v_bitop3_b32 v34, v33, v48, v39 bitop3:0x80
	ds_load_b32 v33, v37 offset:32
	; wave barrier
	v_bitop3_b32 v36, v34, v35, v36 bitop3:0x80
	v_add_nc_u32_e32 v35, 32, v37
	s_delay_alu instid0(VALU_DEP_2) | instskip(SKIP_1) | instid1(VALU_DEP_2)
	v_mbcnt_lo_u32_b32 v34, v36, 0
	v_cmp_ne_u32_e64 s15, 0, v36
	v_cmp_eq_u32_e64 s14, 0, v34
	s_and_b32 s15, s15, s14
	s_delay_alu instid0(SALU_CYCLE_1)
	s_and_saveexec_b32 s14, s15
	s_cbranch_execz .LBB288_287
; %bb.286:                              ;   in Loop: Header=BB288_279 Depth=1
	s_wait_dscnt 0x0
	v_bcnt_u32_b32 v36, v36, v33
	ds_store_b32 v35, v36
.LBB288_287:                            ;   in Loop: Header=BB288_279 Depth=1
	s_or_b32 exec_lo, exec_lo, s14
	; wave barrier
	s_wait_dscnt 0x0
	s_barrier_signal -1
	s_barrier_wait -1
	ds_load_b32 v37, v15
	ds_load_b32 v38, v19
	;; [unrolled: 1-line block ×8, first 2 shown]
	s_wait_dscnt 0x6
	v_add_nc_u32_e32 v52, v38, v37
	s_wait_dscnt 0x4
	s_delay_alu instid0(VALU_DEP_1) | instskip(SKIP_1) | instid1(VALU_DEP_1)
	v_add3_u32 v52, v52, v39, v48
	s_wait_dscnt 0x2
	v_add3_u32 v52, v52, v49, v50
	s_wait_dscnt 0x0
	s_delay_alu instid0(VALU_DEP_1) | instskip(NEXT) | instid1(VALU_DEP_1)
	v_add3_u32 v51, v52, v36, v51
	v_mov_b32_dpp v52, v51 row_shr:1 row_mask:0xf bank_mask:0xf
	s_delay_alu instid0(VALU_DEP_1) | instskip(NEXT) | instid1(VALU_DEP_1)
	v_cndmask_b32_e64 v52, v52, 0, vcc_lo
	v_add_nc_u32_e32 v51, v52, v51
	s_delay_alu instid0(VALU_DEP_1) | instskip(NEXT) | instid1(VALU_DEP_1)
	v_mov_b32_dpp v52, v51 row_shr:2 row_mask:0xf bank_mask:0xf
	v_cndmask_b32_e64 v52, 0, v52, s0
	s_delay_alu instid0(VALU_DEP_1) | instskip(NEXT) | instid1(VALU_DEP_1)
	v_add_nc_u32_e32 v51, v51, v52
	v_mov_b32_dpp v52, v51 row_shr:4 row_mask:0xf bank_mask:0xf
	s_delay_alu instid0(VALU_DEP_1) | instskip(NEXT) | instid1(VALU_DEP_1)
	v_cndmask_b32_e64 v52, 0, v52, s1
	v_add_nc_u32_e32 v51, v51, v52
	s_delay_alu instid0(VALU_DEP_1) | instskip(NEXT) | instid1(VALU_DEP_1)
	v_mov_b32_dpp v52, v51 row_shr:8 row_mask:0xf bank_mask:0xf
	v_cndmask_b32_e64 v52, 0, v52, s3
	s_delay_alu instid0(VALU_DEP_1) | instskip(SKIP_3) | instid1(VALU_DEP_1)
	v_add_nc_u32_e32 v51, v51, v52
	ds_swizzle_b32 v52, v51 offset:swizzle(BROADCAST,32,15)
	s_wait_dscnt 0x0
	v_cndmask_b32_e64 v52, v52, 0, s4
	v_add_nc_u32_e32 v51, v51, v52
	s_and_saveexec_b32 s14, s5
; %bb.288:                              ;   in Loop: Header=BB288_279 Depth=1
	ds_store_b32 v81, v51
; %bb.289:                              ;   in Loop: Header=BB288_279 Depth=1
	s_or_b32 exec_lo, exec_lo, s14
	s_wait_dscnt 0x0
	s_barrier_signal -1
	s_barrier_wait -1
	s_and_saveexec_b32 s14, s6
	s_cbranch_execz .LBB288_291
; %bb.290:                              ;   in Loop: Header=BB288_279 Depth=1
	ds_load_b32 v52, v83
	s_wait_dscnt 0x0
	v_mov_b32_dpp v53, v52 row_shr:1 row_mask:0xf bank_mask:0xf
	s_delay_alu instid0(VALU_DEP_1) | instskip(NEXT) | instid1(VALU_DEP_1)
	v_cndmask_b32_e64 v53, v53, 0, s11
	v_add_nc_u32_e32 v52, v53, v52
	s_delay_alu instid0(VALU_DEP_1) | instskip(NEXT) | instid1(VALU_DEP_1)
	v_mov_b32_dpp v53, v52 row_shr:2 row_mask:0xf bank_mask:0xf
	v_cndmask_b32_e64 v53, 0, v53, s12
	s_delay_alu instid0(VALU_DEP_1) | instskip(NEXT) | instid1(VALU_DEP_1)
	v_add_nc_u32_e32 v52, v52, v53
	v_mov_b32_dpp v53, v52 row_shr:4 row_mask:0xf bank_mask:0xf
	s_delay_alu instid0(VALU_DEP_1) | instskip(NEXT) | instid1(VALU_DEP_1)
	v_cndmask_b32_e64 v53, 0, v53, s13
	v_add_nc_u32_e32 v52, v52, v53
	ds_store_b32 v83, v52
.LBB288_291:                            ;   in Loop: Header=BB288_279 Depth=1
	s_or_b32 exec_lo, exec_lo, s14
	v_mov_b32_e32 v52, 0
	s_wait_dscnt 0x0
	s_barrier_signal -1
	s_barrier_wait -1
	s_and_saveexec_b32 s14, s7
; %bb.292:                              ;   in Loop: Header=BB288_279 Depth=1
	ds_load_b32 v52, v85
; %bb.293:                              ;   in Loop: Header=BB288_279 Depth=1
	s_or_b32 exec_lo, exec_lo, s14
	s_wait_dscnt 0x0
	v_dual_add_nc_u32 v51, v52, v51 :: v_dual_lshrrev_b32 v103, 8, v80
	s_mov_b32 s16, -1
	s_mov_b32 s15, exec_lo
	v_add_nc_u32_e32 v10, 8, v10
	ds_bpermute_b32 v51, v71, v51
	s_wait_dscnt 0x0
	v_dual_mov_b32 v102, v80 :: v_dual_cndmask_b32 v51, v51, v52, s2
	s_delay_alu instid0(VALU_DEP_1) | instskip(NEXT) | instid1(VALU_DEP_1)
	v_cndmask_b32_e64 v51, v51, 0, s10
	v_add_nc_u32_e32 v37, v51, v37
	s_delay_alu instid0(VALU_DEP_1) | instskip(NEXT) | instid1(VALU_DEP_1)
	v_add_nc_u32_e32 v38, v37, v38
	v_add_nc_u32_e32 v39, v38, v39
	s_delay_alu instid0(VALU_DEP_1) | instskip(NEXT) | instid1(VALU_DEP_1)
	v_add_nc_u32_e32 v48, v39, v48
	v_add_nc_u32_e32 v49, v48, v49
	s_delay_alu instid0(VALU_DEP_1)
	v_add_nc_u32_e32 v50, v49, v50
	ds_store_b32 v15, v51
	ds_store_b32 v19, v37
	;; [unrolled: 1-line block ×3, first 2 shown]
	v_dual_mov_b32 v37, v1 :: v_dual_add_nc_u32 v36, v50, v36
	ds_store_b32 v65, v39
	ds_store_b32 v66, v48
	;; [unrolled: 1-line block ×5, first 2 shown]
	s_wait_dscnt 0x0
	s_barrier_signal -1
	s_barrier_wait -1
	ds_load_b32 v26, v26
	ds_load_b32 v29, v29
	;; [unrolled: 1-line block ×4, first 2 shown]
	v_dual_mov_b32 v49, v1 :: v_dual_mov_b32 v39, v1
	s_wait_dscnt 0x0
	v_add_nc_u32_e32 v48, v26, v0
	v_add3_u32 v0, v28, v27, v29
	v_add3_u32 v38, v31, v30, v32
	;; [unrolled: 1-line block ×3, first 2 shown]
                                        ; implicit-def: $vgpr26_vgpr27
                                        ; implicit-def: $vgpr28_vgpr29
                                        ; implicit-def: $vgpr30_vgpr31
                                        ; implicit-def: $vgpr32_vgpr33
	s_delay_alu instid0(VALU_DEP_4) | instskip(NEXT) | instid1(VALU_DEP_4)
	v_add_nc_u64_e32 v[54:55], v[12:13], v[48:49]
	v_add_nc_u64_e32 v[52:53], v[12:13], v[0:1]
	s_delay_alu instid0(VALU_DEP_4) | instskip(NEXT) | instid1(VALU_DEP_3)
	v_add_nc_u64_e32 v[50:51], v[12:13], v[38:39]
	v_mad_nc_u64_u32 v[34:35], v48, 7, v[54:55]
	v_add_nc_u64_e32 v[48:49], v[12:13], v[36:37]
	v_lshrrev_b32_e32 v35, 16, v80
	v_cmpx_lt_u32_e64 v10, v11
	s_cbranch_execz .LBB288_278
; %bb.294:                              ;   in Loop: Header=BB288_279 Depth=1
	v_mad_nc_u64_u32 v[26:27], v0, 7, v[52:53]
	v_mad_nc_u64_u32 v[28:29], v38, 7, v[50:51]
	s_barrier_signal -1
	s_barrier_wait -1
	ds_store_b8 v54, v80
	ds_store_b8 v52, v103
	;; [unrolled: 1-line block ×4, first 2 shown]
	s_wait_dscnt 0x0
	s_barrier_signal -1
	s_barrier_wait -1
	ds_load_u8 v37, v86
	v_mad_nc_u64_u32 v[30:31], v36, 7, v[48:49]
	ds_load_u8 v39, v82
	ds_load_u8 v55, v96
	;; [unrolled: 1-line block ×3, first 2 shown]
	s_wait_dscnt 0x0
	s_barrier_signal -1
	s_barrier_wait -1
	ds_store_b64 v34, v[16:17]
	ds_store_b64 v26, v[22:23]
	;; [unrolled: 1-line block ×4, first 2 shown]
	s_wait_dscnt 0x0
	s_barrier_signal -1
	s_barrier_wait -1
	ds_load_b64 v[26:27], v84
	ds_load_b64 v[28:29], v97
	ds_load_b64 v[30:31], v98
	ds_load_b64 v[32:33], v99
	v_add_nc_u32_e32 v100, -8, v100
	s_xor_b32 s16, exec_lo, -1
	s_wait_dscnt 0x0
	s_barrier_signal -1
	s_barrier_wait -1
	v_perm_b32 v37, v39, v37, 0xc0c0004
	v_perm_b32 v39, v80, v55, 0xc0c0004
	s_delay_alu instid0(VALU_DEP_1)
	v_lshl_or_b32 v80, v39, 16, v37
	s_branch .LBB288_278
.LBB288_295:
	flat_load_b64 v[52:53], v[0:1]
	s_wait_xcnt 0x0
	s_or_b32 exec_lo, exec_lo, s7
                                        ; implicit-def: $vgpr54_vgpr55
	s_and_saveexec_b32 s7, s0
	s_cbranch_execz .LBB288_171
.LBB288_296:
	flat_load_b64 v[54:55], v[0:1] offset:256
	s_wait_xcnt 0x0
	s_or_b32 exec_lo, exec_lo, s7
                                        ; implicit-def: $vgpr66_vgpr67
	s_and_saveexec_b32 s0, s1
	s_cbranch_execz .LBB288_172
.LBB288_297:
	flat_load_b64 v[66:67], v[0:1] offset:512
	s_wait_xcnt 0x0
	s_or_b32 exec_lo, exec_lo, s0
                                        ; implicit-def: $vgpr36_vgpr37
	s_and_saveexec_b32 s0, s2
	s_cbranch_execz .LBB288_173
.LBB288_298:
	flat_load_b64 v[36:37], v[0:1] offset:768
	s_wait_xcnt 0x0
	s_or_b32 exec_lo, exec_lo, s0
                                        ; implicit-def: $vgpr38_vgpr39
	s_and_saveexec_b32 s0, s3
	s_cbranch_execz .LBB288_174
.LBB288_299:
	flat_load_b64 v[38:39], v[0:1] offset:1024
	s_wait_xcnt 0x0
	s_or_b32 exec_lo, exec_lo, s0
                                        ; implicit-def: $vgpr48_vgpr49
	s_and_saveexec_b32 s0, s4
	s_cbranch_execz .LBB288_175
.LBB288_300:
	flat_load_b64 v[48:49], v[0:1] offset:1280
	s_wait_xcnt 0x0
	s_or_b32 exec_lo, exec_lo, s0
                                        ; implicit-def: $vgpr50_vgpr51
	s_and_saveexec_b32 s0, s5
	s_cbranch_execz .LBB288_176
.LBB288_301:
	flat_load_b64 v[50:51], v[0:1] offset:1536
	s_wait_xcnt 0x0
	s_or_b32 exec_lo, exec_lo, s0
                                        ; implicit-def: $vgpr64_vgpr65
	s_and_saveexec_b32 s0, s6
	s_cbranch_execnz .LBB288_177
	s_branch .LBB288_178
.LBB288_302:
	flat_store_b64 v[0:1], v[22:23]
	s_wait_xcnt 0x0
	s_or_b32 exec_lo, exec_lo, s7
	s_and_saveexec_b32 s7, s0
	s_cbranch_execz .LBB288_254
.LBB288_303:
	flat_store_b64 v[0:1], v[24:25] offset:2048
	s_wait_xcnt 0x0
	s_or_b32 exec_lo, exec_lo, s7
	s_and_saveexec_b32 s0, s1
	s_cbranch_execz .LBB288_255
.LBB288_304:
	flat_store_b64 v[0:1], v[18:19] offset:4096
	s_wait_xcnt 0x0
	s_or_b32 exec_lo, exec_lo, s0
	s_and_saveexec_b32 s0, s2
	s_cbranch_execz .LBB288_256
.LBB288_305:
	flat_store_b64 v[0:1], v[20:21] offset:6144
	s_wait_xcnt 0x0
	s_or_b32 exec_lo, exec_lo, s0
	s_and_saveexec_b32 s0, s3
	s_cbranch_execz .LBB288_257
.LBB288_306:
	flat_store_b64 v[0:1], v[14:15] offset:8192
	s_wait_xcnt 0x0
	s_or_b32 exec_lo, exec_lo, s0
	s_and_saveexec_b32 s0, s4
	s_cbranch_execz .LBB288_258
.LBB288_307:
	flat_store_b64 v[0:1], v[16:17] offset:10240
	s_wait_xcnt 0x0
	s_or_b32 exec_lo, exec_lo, s0
	s_and_saveexec_b32 s0, s5
	s_cbranch_execz .LBB288_259
.LBB288_308:
	flat_store_b64 v[0:1], v[10:11] offset:12288
	s_wait_xcnt 0x0
	s_or_b32 exec_lo, exec_lo, s0
	s_and_saveexec_b32 s0, s6
	s_cbranch_execnz .LBB288_260
	s_branch .LBB288_261
.LBB288_309:
	s_or_b32 exec_lo, exec_lo, s24
	v_mad_nc_u64_u32 v[0:1], v0, 7, v[52:53]
	v_mad_nc_u64_u32 v[10:11], v38, 7, v[50:51]
	v_dual_add_nc_u32 v15, v12, v14 :: v_dual_mov_b32 v19, 0
	v_mad_nc_u64_u32 v[12:13], v36, 7, v[48:49]
	v_mul_u32_u24_e32 v1, 7, v14
	s_barrier_signal -1
	s_barrier_wait -1
	ds_store_b8 v54, v102
	ds_store_b8 v52, v103
	;; [unrolled: 1-line block ×4, first 2 shown]
	s_wait_dscnt 0x0
	s_barrier_signal -1
	s_barrier_wait -1
	ds_load_u8 v27, v15
	ds_load_u8 v26, v15 offset:256
	ds_load_u8 v5, v15 offset:512
	ds_load_u8 v4, v15 offset:768
	s_wait_dscnt 0x0
	s_barrier_signal -1
	s_barrier_wait -1
	ds_store_b64 v34, v[16:17]
	ds_store_b64 v0, v[22:23]
	;; [unrolled: 1-line block ×4, first 2 shown]
	v_add_nc_u32_e32 v0, v15, v1
	s_wait_dscnt 0x0
	s_barrier_signal -1
	s_barrier_wait -1
	ds_load_2addr_stride64_b64 v[14:17], v0 offset1:4
	ds_load_2addr_stride64_b64 v[10:13], v0 offset0:8 offset1:12
	v_add_nc_u64_e32 v[0:1], v[2:3], v[8:9]
	s_set_vgpr_msb 4                        ;  msbs: dst=0 src0=0 src1=1 src2=0
	v_cmp_lt_u32_e32 vcc_lo, v18, v20 /*v276*/
	s_wait_dscnt 0x0
	s_barrier_signal -1
	s_barrier_wait -1
	s_set_vgpr_msb 0                        ;  msbs: dst=0 src0=0 src1=0 src2=0
	v_add_nc_u64_e32 v[0:1], v[0:1], v[18:19]
	s_and_saveexec_b32 s0, vcc_lo
	s_cbranch_execz .LBB288_311
; %bb.310:
	v_xor_b32_e32 v2, 0x7f, v27
	flat_store_b8 v[0:1], v2
.LBB288_311:
	s_wait_xcnt 0x0
	s_or_b32 exec_lo, exec_lo, s0
	v_add_nc_u32_e32 v2, 0x100, v18
	s_set_vgpr_msb 4                        ;  msbs: dst=0 src0=0 src1=1 src2=0
	s_delay_alu instid0(VALU_DEP_1)
	v_cmp_lt_u32_e64 s0, v2, v20 /*v276*/
	s_and_saveexec_b32 s1, s0
	s_set_vgpr_msb 0                        ;  msbs: dst=0 src0=0 src1=0 src2=0
	s_cbranch_execz .LBB288_313
; %bb.312:
	v_xor_b32_e32 v2, 0x7f, v26
	flat_store_b8 v[0:1], v2 offset:256
.LBB288_313:
	s_wait_xcnt 0x0
	s_or_b32 exec_lo, exec_lo, s1
	v_add_nc_u32_e32 v2, 0x200, v18
	s_set_vgpr_msb 4                        ;  msbs: dst=0 src0=0 src1=1 src2=0
	s_delay_alu instid0(VALU_DEP_1)
	v_cmp_lt_u32_e64 s1, v2, v20 /*v276*/
	s_and_saveexec_b32 s2, s1
	s_set_vgpr_msb 0                        ;  msbs: dst=0 src0=0 src1=0 src2=0
	s_cbranch_execz .LBB288_315
; %bb.314:
	v_xor_b32_e32 v2, 0x7f, v5
	flat_store_b8 v[0:1], v2 offset:512
.LBB288_315:
	;; [unrolled: 13-line block ×3, first 2 shown]
	s_wait_xcnt 0x0
	s_or_b32 exec_lo, exec_lo, s3
	v_lshl_add_u64 v[0:1], v[8:9], 3, v[6:7]
	s_delay_alu instid0(VALU_DEP_1)
	v_lshl_add_u64 v[0:1], v[18:19], 3, v[0:1]
	s_and_saveexec_b32 s3, vcc_lo
	s_cbranch_execnz .LBB288_350
; %bb.318:
	s_or_b32 exec_lo, exec_lo, s3
	s_and_saveexec_b32 s3, s0
	s_cbranch_execnz .LBB288_351
.LBB288_319:
	s_or_b32 exec_lo, exec_lo, s3
	s_and_saveexec_b32 s0, s1
	s_cbranch_execnz .LBB288_352
.LBB288_320:
	s_or_b32 exec_lo, exec_lo, s0
	s_and_saveexec_b32 s0, s2
	s_cbranch_execz .LBB288_322
.LBB288_321:
	flat_store_b64 v[0:1], v[12:13] offset:6144
.LBB288_322:
	s_wait_xcnt 0x0
	s_or_b32 exec_lo, exec_lo, s0
                                        ; implicit-def: $vgpr276
                                        ; implicit-def: $vgpr8
                                        ; implicit-def: $vgpr10
                                        ; implicit-def: $vgpr11
                                        ; implicit-def: $vgpr0_vgpr1
                                        ; implicit-def: $vgpr2_vgpr3
                                        ; implicit-def: $vgpr4_vgpr5
                                        ; implicit-def: $vgpr6_vgpr7
                                        ; implicit-def: $vgpr12_vgpr13
                                        ; implicit-def: $vgpr9
                                        ; implicit-def: $vgpr15
                                        ; implicit-def: $vgpr14
                                        ; implicit-def: $vgpr16
.LBB288_323:
	s_and_not1_saveexec_b32 s0, s20
	s_cbranch_execz .LBB288_382
; %bb.324:
	s_load_b64 s[0:1], s[8:9], 0x0
	s_bfe_u32 s3, ttmp6, 0x4000c
	s_bfe_u32 s5, ttmp6, 0x40010
	s_and_b32 s4, ttmp7, 0xffff
	s_add_co_i32 s3, s3, 1
	s_add_co_i32 s5, s5, 1
	s_and_b32 s2, ttmp6, 15
	s_bfe_u32 s6, ttmp6, 0x40004
	s_mul_i32 s3, ttmp9, s3
	s_mul_i32 s5, s4, s5
	s_add_co_i32 s2, s2, s3
	s_add_co_i32 s6, s6, s5
	s_cmp_eq_u32 s23, 0
	s_cselect_b32 s2, ttmp9, s2
	s_cselect_b32 s3, s4, s6
	s_wait_kmcnt 0x0
	s_cmp_lt_u32 s2, s0
	s_cselect_b32 s0, 12, 18
	s_cmp_lt_u32 s3, s1
	s_mov_b32 s1, 0
	s_cselect_b32 s2, 14, 20
	s_mov_b32 s3, s1
	s_add_nc_u64 s[0:1], s[8:9], s[0:1]
	s_add_nc_u64 s[2:3], s[8:9], s[2:3]
	s_clause 0x1
	s_load_u16 s0, s[0:1], 0x0
	s_nop 0
	s_load_u16 s2, s[2:3], 0x0
	s_wait_kmcnt 0x0
	v_mad_u32_u24 v9, v15, s2, v9
	s_delay_alu instid0(VALU_DEP_1)
	v_mad_u32 v18, v9, s0, v14
	v_mov_b32_e32 v9, 0
	s_mov_b32 s0, exec_lo
	s_set_vgpr_msb 4                        ;  msbs: dst=0 src0=0 src1=1 src2=0
	v_cmpx_lt_u32_e32 0x100, v20 /*v276*/
	s_xor_b32 s18, exec_lo, s0
	s_set_vgpr_msb 0                        ;  msbs: dst=0 src0=0 src1=0 src2=0
	s_cbranch_execz .LBB288_362
; %bb.325:
	v_add_nc_u64_e32 v[20:21], v[0:1], v[8:9]
	s_delay_alu instid0(VALU_DEP_4) | instskip(SKIP_1) | instid1(VALU_DEP_2)
	v_dual_mov_b32 v17, v9 :: v_dual_lshlrev_b32 v0, 1, v18
	v_mov_b32_e32 v15, 0x80
	v_and_b32_e32 v0, 0xffffffc0, v0
	s_delay_alu instid0(VALU_DEP_3) | instskip(SKIP_2) | instid1(VALU_DEP_4)
	v_add_nc_u64_e32 v[20:21], v[20:21], v[16:17]
	v_mov_b32_e32 v1, v9
	v_mov_b32_e32 v17, 0x80
	v_or_b32_e32 v19, v16, v0
	s_delay_alu instid0(VALU_DEP_3) | instskip(SKIP_1) | instid1(VALU_DEP_2)
	v_add_nc_u64_e32 v[20:21], v[20:21], v[0:1]
	s_set_vgpr_msb 4                        ;  msbs: dst=0 src0=0 src1=1 src2=0
	v_cmp_lt_u32_e32 vcc_lo, v19, v20 /*v276*/
	s_and_saveexec_b32 s0, vcc_lo
	s_set_vgpr_msb 0                        ;  msbs: dst=0 src0=0 src1=0 src2=0
	s_cbranch_execz .LBB288_327
; %bb.326:
	flat_load_u8 v15, v[20:21]
.LBB288_327:
	s_wait_xcnt 0x0
	s_or_b32 exec_lo, exec_lo, s0
	v_or_b32_e32 v19, 32, v19
	s_set_vgpr_msb 4                        ;  msbs: dst=0 src0=0 src1=1 src2=0
	s_delay_alu instid0(VALU_DEP_1)
	v_cmp_lt_u32_e64 s0, v19, v20 /*v276*/
	s_and_saveexec_b32 s1, s0
	s_set_vgpr_msb 0                        ;  msbs: dst=0 src0=0 src1=0 src2=0
	s_cbranch_execz .LBB288_329
; %bb.328:
	flat_load_u8 v17, v[20:21] offset:32
.LBB288_329:
	s_wait_xcnt 0x0
	s_or_b32 exec_lo, exec_lo, s1
	v_lshl_add_u64 v[4:5], v[8:9], 3, v[4:5]
	v_dual_mov_b32 v21, 0 :: v_dual_lshlrev_b32 v20, 3, v16
	v_mov_b64_e32 v[24:25], 0
	v_mov_b64_e32 v[22:23], 0
	s_delay_alu instid0(VALU_DEP_3) | instskip(NEXT) | instid1(VALU_DEP_1)
	v_add_nc_u64_e32 v[4:5], v[4:5], v[20:21]
	v_lshl_add_u64 v[0:1], v[0:1], 3, v[4:5]
	s_and_saveexec_b32 s1, vcc_lo
	s_cbranch_execz .LBB288_331
; %bb.330:
	flat_load_b64 v[22:23], v[0:1]
.LBB288_331:
	s_wait_xcnt 0x0
	s_or_b32 exec_lo, exec_lo, s1
	s_and_saveexec_b32 s1, s0
	s_cbranch_execz .LBB288_333
; %bb.332:
	flat_load_b64 v[24:25], v[0:1] offset:256
.LBB288_333:
	s_wait_xcnt 0x0
	s_or_b32 exec_lo, exec_lo, s1
	s_wait_loadcnt_dscnt 0x0
	v_xor_b32_e32 v0, 0x7f, v17
	v_xor_b32_e32 v4, 0x7f, v15
	v_lshl_add_u32 v1, v14, 5, v12
	v_and_b32_e32 v5, 0x3e0, v14
	s_get_pc_i64 s[0:1]
	s_add_nc_u64 s[0:1], s[0:1], _ZN7rocprim17ROCPRIM_400000_NS16block_radix_sortIaLj256ELj2ElLj1ELj1ELj8ELNS0_26block_radix_rank_algorithmE2ELNS0_18block_padding_hintE2ELNS0_4arch9wavefront6targetE0EE19radix_bits_per_passE@rel64+4
	v_lshlrev_b16 v0, 8, v0
	s_load_b32 s19, s[0:1], 0x0
	v_dual_add_nc_u32 v15, 32, v1 :: v_dual_add_nc_u32 v19, 36, v1
	v_dual_add_nc_u32 v34, 40, v1 :: v_dual_add_nc_u32 v35, 44, v1
	s_delay_alu instid0(VALU_DEP_3) | instskip(SKIP_2) | instid1(VALU_DEP_3)
	v_bitop3_b16 v0, v4, v0, 0xff bitop3:0xec
	v_dual_add_nc_u32 v36, 48, v1 :: v_dual_add_nc_u32 v37, 52, v1
	v_dual_add_nc_u32 v39, 60, v1 :: v_dual_lshrrev_b32 v48, 5, v18
	v_and_b32_e32 v49, 0xffff, v0
	v_dual_add_nc_u32 v38, 56, v1 :: v_dual_bitop2_b32 v0, 15, v16 bitop3:0x40
	v_min_u32_e32 v1, 0xe0, v5
	v_and_b32_e32 v4, 16, v16
	v_cmp_lt_u32_e64 s7, 31, v14
	s_delay_alu instid0(VALU_DEP_4)
	v_cmp_eq_u32_e32 vcc_lo, 0, v0
	s_wait_xcnt 0x0
	v_cmp_lt_u32_e64 s0, 1, v0
	v_or_b32_e32 v1, 31, v1
	v_cmp_lt_u32_e64 s1, 3, v0
	v_cmp_lt_u32_e64 s2, 7, v0
	v_sub_co_u32 v0, s3, v16, 1
	s_delay_alu instid0(VALU_DEP_4)
	v_cmp_eq_u32_e64 s5, v14, v1
	v_lshrrev_b32_e32 v1, 3, v14
	v_cmp_eq_u32_e64 s4, 0, v4
	v_lshlrev_b32_e32 v4, 1, v14
	v_cmp_gt_i32_e64 s6, 0, v0
	v_cmp_eq_u32_e64 s8, 0, v14
	v_and_b32_e32 v1, 0x7c, v1
	v_sub_nc_u32_e32 v66, v11, v10
	v_and_or_b32 v4, 0x7c0, v4, v16
	v_cndmask_b32_e64 v0, v0, v16, s6
	v_cmp_gt_u32_e64 s6, 8, v14
	v_dual_add_nc_u32 v51, v12, v1 :: v_dual_mov_b32 v1, 0
	s_delay_alu instid0(VALU_DEP_4) | instskip(SKIP_4) | instid1(VALU_DEP_4)
	v_add_nc_u32_e32 v52, v12, v4
	v_mul_u32_u24_e32 v4, 7, v4
	v_lshlrev_b32_e32 v50, 2, v0
	v_and_b32_e32 v0, 7, v16
	v_lshl_add_u32 v53, v14, 2, v12
	v_dual_add_nc_u32 v55, -4, v51 :: v_dual_add_nc_u32 v54, v52, v4
	v_mov_b64_e32 v[4:5], 0
	s_delay_alu instid0(VALU_DEP_4)
	v_cmp_eq_u32_e64 s9, 0, v0
	v_cmp_lt_u32_e64 s10, 1, v0
	v_cmp_lt_u32_e64 s11, 3, v0
	v_add_nc_u32_e32 v64, 32, v52
	v_add_nc_u32_e32 v65, 0x100, v54
	s_mov_b32 s20, 0
	s_wait_storecnt 0x0
	s_barrier_signal -1
	s_barrier_wait -1
	s_branch .LBB288_335
.LBB288_334:                            ;   in Loop: Header=BB288_335 Depth=1
	s_or_b32 exec_lo, exec_lo, s13
	s_delay_alu instid0(SALU_CYCLE_1) | instskip(NEXT) | instid1(SALU_CYCLE_1)
	s_and_b32 s12, exec_lo, s14
	s_or_b32 s20, s12, s20
	s_delay_alu instid0(SALU_CYCLE_1)
	s_and_not1_b32 exec_lo, exec_lo, s20
	s_cbranch_execz .LBB288_353
.LBB288_335:                            ; =>This Inner Loop Header: Depth=1
	s_wait_kmcnt 0x0
	v_min_u32_e32 v0, s19, v66
	v_and_b32_e32 v16, 0xff, v49
	ds_store_b64 v15, v[4:5]
	ds_store_b64 v34, v[4:5]
	;; [unrolled: 1-line block ×4, first 2 shown]
	s_wait_dscnt 0x0
	v_lshlrev_b32_e64 v26, v0, -1
	v_lshrrev_b32_e32 v0, v10, v16
	s_barrier_signal -1
	s_barrier_wait -1
	s_delay_alu instid0(VALU_DEP_1) | instskip(SKIP_1) | instid1(VALU_DEP_2)
	v_bitop3_b32 v16, v0, 1, v26 bitop3:0x40
	v_bitop3_b32 v0, v0, v26, v0 bitop3:0x30
	; wave barrier
	v_add_co_u32 v16, s12, v16, -1
	s_delay_alu instid0(VALU_DEP_1) | instskip(NEXT) | instid1(VALU_DEP_3)
	v_cndmask_b32_e64 v17, 0, 1, s12
	v_dual_lshlrev_b32 v20, 30, v0 :: v_dual_lshlrev_b32 v21, 29, v0
	v_dual_lshlrev_b32 v27, 28, v0 :: v_dual_lshlrev_b32 v28, 27, v0
	s_delay_alu instid0(VALU_DEP_3) | instskip(NEXT) | instid1(VALU_DEP_3)
	v_cmp_ne_u32_e64 s12, 0, v17
	v_not_b32_e32 v17, v20
	v_dual_lshlrev_b32 v29, 26, v0 :: v_dual_lshlrev_b32 v30, 25, v0
	v_cmp_gt_i32_e64 s13, 0, v20
	v_cmp_gt_i32_e64 s14, 0, v21
	v_not_b32_e32 v20, v21
	v_not_b32_e32 v21, v27
	v_dual_ashrrev_i32 v17, 31, v17 :: v_dual_lshlrev_b32 v31, 24, v0
	v_cmp_gt_i32_e64 s15, 0, v27
	v_cmp_gt_i32_e64 s16, 0, v28
	v_not_b32_e32 v27, v28
	v_xor_b32_e32 v16, s12, v16
	v_dual_ashrrev_i32 v20, 31, v20 :: v_dual_bitop2_b32 v17, s13, v17 bitop3:0x14
	v_ashrrev_i32_e32 v21, 31, v21
	v_not_b32_e32 v28, v29
	v_cmp_gt_i32_e64 s17, 0, v29
	v_ashrrev_i32_e32 v27, 31, v27
	v_bitop3_b32 v16, v16, v17, exec_lo bitop3:0x80
	s_delay_alu instid0(VALU_DEP_4)
	v_dual_ashrrev_i32 v17, 31, v28 :: v_dual_bitop2_b32 v21, s15, v21 bitop3:0x14
	v_not_b32_e32 v28, v30
	v_not_b32_e32 v29, v31
	v_xor_b32_e32 v20, s14, v20
	v_xor_b32_e32 v27, s16, v27
	v_dual_lshlrev_b32 v0, 3, v0 :: v_dual_bitop2_b32 v17, s17, v17 bitop3:0x14
	v_cmp_gt_i32_e64 s12, 0, v30
	s_delay_alu instid0(VALU_DEP_4)
	v_bitop3_b32 v16, v16, v21, v20 bitop3:0x80
	v_ashrrev_i32_e32 v20, 31, v28
	v_cmp_gt_i32_e64 s13, 0, v31
	v_ashrrev_i32_e32 v21, 31, v29
	v_add_lshl_u32 v0, v0, v48, 2
	v_bitop3_b32 v27, v16, v17, v27 bitop3:0x80
	v_xor_b32_e32 v20, s12, v20
	v_mov_b64_e32 v[16:17], v[24:25]
	v_xor_b32_e32 v21, s13, v21
	s_delay_alu instid0(VALU_DEP_1) | instskip(SKIP_2) | instid1(VALU_DEP_3)
	v_bitop3_b32 v24, v27, v21, v20 bitop3:0x80
	v_mov_b64_e32 v[20:21], v[22:23]
	v_add_nc_u64_e32 v[22:23], v[12:13], v[0:1]
	v_mbcnt_lo_u32_b32 v0, v24, 0
	v_cmp_ne_u32_e64 s13, 0, v24
	s_delay_alu instid0(VALU_DEP_3) | instskip(NEXT) | instid1(VALU_DEP_3)
	v_add_nc_u64_e32 v[22:23], 32, v[22:23]
	v_cmp_eq_u32_e64 s12, 0, v0
	s_and_b32 s13, s13, s12
	s_delay_alu instid0(SALU_CYCLE_1)
	s_and_saveexec_b32 s12, s13
; %bb.336:                              ;   in Loop: Header=BB288_335 Depth=1
	v_bcnt_u32_b32 v23, v24, 0
	ds_store_b32 v22, v23
; %bb.337:                              ;   in Loop: Header=BB288_335 Depth=1
	s_or_b32 exec_lo, exec_lo, s12
	v_lshrrev_b16 v67, 8, v49
	v_not_b32_e32 v24, v26
	; wave barrier
	s_delay_alu instid0(VALU_DEP_2) | instskip(NEXT) | instid1(VALU_DEP_1)
	v_and_b32_e32 v23, 0xffff, v67
	v_lshrrev_b32_e32 v23, v10, v23
	s_delay_alu instid0(VALU_DEP_1) | instskip(NEXT) | instid1(VALU_DEP_1)
	v_and_b32_e32 v25, v23, v24
	v_lshlrev_b32_e32 v27, 30, v25
	v_bitop3_b32 v23, v23, 1, v24 bitop3:0x80
	s_delay_alu instid0(VALU_DEP_2) | instskip(NEXT) | instid1(VALU_DEP_2)
	v_cmp_gt_i32_e64 s13, 0, v27
	v_add_co_u32 v23, s12, v23, -1
	s_delay_alu instid0(VALU_DEP_1) | instskip(NEXT) | instid1(VALU_DEP_1)
	v_cndmask_b32_e64 v26, 0, 1, s12
	v_cmp_ne_u32_e64 s12, 0, v26
	v_not_b32_e32 v26, v27
	s_delay_alu instid0(VALU_DEP_1) | instskip(SKIP_2) | instid1(VALU_DEP_3)
	v_dual_ashrrev_i32 v26, 31, v26 :: v_dual_lshlrev_b32 v28, 29, v25
	v_dual_lshlrev_b32 v29, 28, v25 :: v_dual_lshlrev_b32 v30, 27, v25
	v_dual_lshlrev_b32 v31, 26, v25 :: v_dual_lshlrev_b32 v32, 25, v25
	v_cmp_gt_i32_e64 s14, 0, v28
	v_not_b32_e32 v27, v28
	s_delay_alu instid0(VALU_DEP_4)
	v_not_b32_e32 v28, v29
	v_lshl_add_u32 v24, v25, 3, v48
	v_lshlrev_b32_e32 v25, 24, v25
	v_cmp_gt_i32_e64 s15, 0, v29
	v_cmp_gt_i32_e64 s16, 0, v30
	v_not_b32_e32 v29, v30
	v_cmp_gt_i32_e64 s17, 0, v31
	v_not_b32_e32 v30, v31
	v_not_b32_e32 v31, v32
	v_dual_ashrrev_i32 v28, 31, v28 :: v_dual_bitop2_b32 v23, s12, v23 bitop3:0x14
	v_dual_ashrrev_i32 v27, 31, v27 :: v_dual_ashrrev_i32 v29, 31, v29
	v_xor_b32_e32 v26, s13, v26
	v_not_b32_e32 v33, v25
	s_delay_alu instid0(VALU_DEP_3) | instskip(SKIP_1) | instid1(VALU_DEP_4)
	v_dual_ashrrev_i32 v30, 31, v30 :: v_dual_bitop2_b32 v27, s14, v27 bitop3:0x14
	v_xor_b32_e32 v28, s15, v28
	v_bitop3_b32 v23, v23, v26, exec_lo bitop3:0x80
	v_cmp_gt_i32_e64 s12, 0, v32
	s_delay_alu instid0(VALU_DEP_4)
	v_dual_ashrrev_i32 v30, 31, v31 :: v_dual_bitop2_b32 v26, s17, v30 bitop3:0x14
	v_cmp_gt_i32_e64 s13, 0, v25
	v_ashrrev_i32_e32 v25, 31, v33
	v_bitop3_b32 v23, v23, v28, v27 bitop3:0x80
	v_lshl_add_u32 v27, v24, 2, v12
	v_xor_b32_e32 v29, s16, v29
	v_xor_b32_e32 v24, s12, v30
	v_xor_b32_e32 v25, s13, v25
	s_delay_alu instid0(VALU_DEP_3) | instskip(SKIP_3) | instid1(VALU_DEP_2)
	v_bitop3_b32 v26, v23, v26, v29 bitop3:0x80
	ds_load_b32 v23, v27 offset:32
	; wave barrier
	v_bitop3_b32 v26, v26, v25, v24 bitop3:0x80
	v_add_nc_u32_e32 v25, 32, v27
	v_mbcnt_lo_u32_b32 v24, v26, 0
	v_cmp_ne_u32_e64 s13, 0, v26
	s_delay_alu instid0(VALU_DEP_2) | instskip(SKIP_1) | instid1(SALU_CYCLE_1)
	v_cmp_eq_u32_e64 s12, 0, v24
	s_and_b32 s13, s13, s12
	s_and_saveexec_b32 s12, s13
	s_cbranch_execz .LBB288_339
; %bb.338:                              ;   in Loop: Header=BB288_335 Depth=1
	s_wait_dscnt 0x0
	v_bcnt_u32_b32 v26, v26, v23
	ds_store_b32 v25, v26
.LBB288_339:                            ;   in Loop: Header=BB288_335 Depth=1
	s_or_b32 exec_lo, exec_lo, s12
	; wave barrier
	s_wait_dscnt 0x0
	s_barrier_signal -1
	s_barrier_wait -1
	ds_load_b32 v27, v15
	ds_load_b32 v28, v19
	;; [unrolled: 1-line block ×8, first 2 shown]
	s_wait_dscnt 0x6
	v_add_nc_u32_e32 v68, v28, v27
	s_wait_dscnt 0x4
	s_delay_alu instid0(VALU_DEP_1) | instskip(SKIP_1) | instid1(VALU_DEP_1)
	v_add3_u32 v68, v68, v29, v30
	s_wait_dscnt 0x2
	v_add3_u32 v68, v68, v31, v32
	s_wait_dscnt 0x0
	s_delay_alu instid0(VALU_DEP_1) | instskip(NEXT) | instid1(VALU_DEP_1)
	v_add3_u32 v33, v68, v26, v33
	v_mov_b32_dpp v68, v33 row_shr:1 row_mask:0xf bank_mask:0xf
	s_delay_alu instid0(VALU_DEP_1) | instskip(NEXT) | instid1(VALU_DEP_1)
	v_cndmask_b32_e64 v68, v68, 0, vcc_lo
	v_add_nc_u32_e32 v33, v68, v33
	s_delay_alu instid0(VALU_DEP_1) | instskip(NEXT) | instid1(VALU_DEP_1)
	v_mov_b32_dpp v68, v33 row_shr:2 row_mask:0xf bank_mask:0xf
	v_cndmask_b32_e64 v68, 0, v68, s0
	s_delay_alu instid0(VALU_DEP_1) | instskip(NEXT) | instid1(VALU_DEP_1)
	v_add_nc_u32_e32 v33, v33, v68
	v_mov_b32_dpp v68, v33 row_shr:4 row_mask:0xf bank_mask:0xf
	s_delay_alu instid0(VALU_DEP_1) | instskip(NEXT) | instid1(VALU_DEP_1)
	v_cndmask_b32_e64 v68, 0, v68, s1
	v_add_nc_u32_e32 v33, v33, v68
	s_delay_alu instid0(VALU_DEP_1) | instskip(NEXT) | instid1(VALU_DEP_1)
	v_mov_b32_dpp v68, v33 row_shr:8 row_mask:0xf bank_mask:0xf
	v_cndmask_b32_e64 v68, 0, v68, s2
	s_delay_alu instid0(VALU_DEP_1) | instskip(SKIP_3) | instid1(VALU_DEP_1)
	v_add_nc_u32_e32 v33, v33, v68
	ds_swizzle_b32 v68, v33 offset:swizzle(BROADCAST,32,15)
	s_wait_dscnt 0x0
	v_cndmask_b32_e64 v68, v68, 0, s4
	v_add_nc_u32_e32 v33, v33, v68
	s_and_saveexec_b32 s12, s5
; %bb.340:                              ;   in Loop: Header=BB288_335 Depth=1
	ds_store_b32 v51, v33
; %bb.341:                              ;   in Loop: Header=BB288_335 Depth=1
	s_or_b32 exec_lo, exec_lo, s12
	s_wait_dscnt 0x0
	s_barrier_signal -1
	s_barrier_wait -1
	s_and_saveexec_b32 s12, s6
	s_cbranch_execz .LBB288_343
; %bb.342:                              ;   in Loop: Header=BB288_335 Depth=1
	ds_load_b32 v68, v53
	s_wait_dscnt 0x0
	v_mov_b32_dpp v69, v68 row_shr:1 row_mask:0xf bank_mask:0xf
	s_delay_alu instid0(VALU_DEP_1) | instskip(NEXT) | instid1(VALU_DEP_1)
	v_cndmask_b32_e64 v69, v69, 0, s9
	v_add_nc_u32_e32 v68, v69, v68
	s_delay_alu instid0(VALU_DEP_1) | instskip(NEXT) | instid1(VALU_DEP_1)
	v_mov_b32_dpp v69, v68 row_shr:2 row_mask:0xf bank_mask:0xf
	v_cndmask_b32_e64 v69, 0, v69, s10
	s_delay_alu instid0(VALU_DEP_1) | instskip(NEXT) | instid1(VALU_DEP_1)
	v_add_nc_u32_e32 v68, v68, v69
	v_mov_b32_dpp v69, v68 row_shr:4 row_mask:0xf bank_mask:0xf
	s_delay_alu instid0(VALU_DEP_1) | instskip(NEXT) | instid1(VALU_DEP_1)
	v_cndmask_b32_e64 v69, 0, v69, s11
	v_add_nc_u32_e32 v68, v68, v69
	ds_store_b32 v53, v68
.LBB288_343:                            ;   in Loop: Header=BB288_335 Depth=1
	s_or_b32 exec_lo, exec_lo, s12
	v_mov_b32_e32 v68, 0
	s_wait_dscnt 0x0
	s_barrier_signal -1
	s_barrier_wait -1
	s_and_saveexec_b32 s12, s7
; %bb.344:                              ;   in Loop: Header=BB288_335 Depth=1
	ds_load_b32 v68, v55
; %bb.345:                              ;   in Loop: Header=BB288_335 Depth=1
	s_or_b32 exec_lo, exec_lo, s12
	s_wait_dscnt 0x0
	v_add_nc_u32_e32 v33, v68, v33
	s_mov_b32 s14, -1
	s_mov_b32 s13, exec_lo
	v_add_nc_u32_e32 v10, 8, v10
	ds_bpermute_b32 v33, v50, v33
	s_wait_dscnt 0x0
	v_cndmask_b32_e64 v33, v33, v68, s3
	s_delay_alu instid0(VALU_DEP_1) | instskip(NEXT) | instid1(VALU_DEP_1)
	v_cndmask_b32_e64 v33, v33, 0, s8
	v_add_nc_u32_e32 v27, v33, v27
	s_delay_alu instid0(VALU_DEP_1) | instskip(NEXT) | instid1(VALU_DEP_1)
	v_add_nc_u32_e32 v28, v27, v28
	v_add_nc_u32_e32 v29, v28, v29
	s_delay_alu instid0(VALU_DEP_1) | instskip(NEXT) | instid1(VALU_DEP_1)
	v_add_nc_u32_e32 v30, v29, v30
	v_add_nc_u32_e32 v31, v30, v31
	s_delay_alu instid0(VALU_DEP_1)
	v_add_nc_u32_e32 v32, v31, v32
	ds_store_b32 v15, v33
	ds_store_b32 v19, v27
	;; [unrolled: 1-line block ×3, first 2 shown]
	v_add_nc_u32_e32 v26, v32, v26
	ds_store_b32 v35, v29
	ds_store_b32 v36, v30
	;; [unrolled: 1-line block ×5, first 2 shown]
	s_wait_dscnt 0x0
	s_barrier_signal -1
	s_barrier_wait -1
	ds_load_b32 v22, v22
	ds_load_b32 v26, v25
	v_mov_b32_e32 v25, v1
	s_wait_dscnt 0x0
	v_add_nc_u32_e32 v0, v22, v0
	v_add3_u32 v24, v24, v23, v26
                                        ; implicit-def: $vgpr22_vgpr23
	s_delay_alu instid0(VALU_DEP_2) | instskip(NEXT) | instid1(VALU_DEP_2)
	v_add_nc_u64_e32 v[30:31], v[12:13], v[0:1]
	v_add_nc_u64_e32 v[32:33], v[12:13], v[24:25]
	s_delay_alu instid0(VALU_DEP_2) | instskip(NEXT) | instid1(VALU_DEP_2)
	v_mad_nc_u64_u32 v[26:27], v0, 7, v[30:31]
	v_mad_nc_u64_u32 v[28:29], v24, 7, v[32:33]
	v_mov_b32_e32 v0, v49
                                        ; implicit-def: $vgpr24_vgpr25
	v_cmpx_lt_u32_e64 v10, v11
	s_cbranch_execz .LBB288_334
; %bb.346:                              ;   in Loop: Header=BB288_335 Depth=1
	s_barrier_signal -1
	s_barrier_wait -1
	ds_store_b8 v30, v49
	ds_store_b8 v32, v67
	s_wait_dscnt 0x0
	s_barrier_signal -1
	s_barrier_wait -1
	ds_load_u8 v27, v64
	ds_load_u8 v29, v52
	s_wait_dscnt 0x0
	s_barrier_signal -1
	s_barrier_wait -1
	ds_store_b64 v26, v[20:21]
	ds_store_b64 v28, v[16:17]
	s_wait_dscnt 0x0
	s_barrier_signal -1
	s_barrier_wait -1
	ds_load_b64 v[22:23], v54
	ds_load_b64 v[24:25], v65
	v_add_nc_u32_e32 v66, -8, v66
	s_xor_b32 s14, exec_lo, -1
	s_wait_dscnt 0x0
	s_barrier_signal -1
	s_barrier_wait -1
	v_perm_b32 v49, v29, v27, 0xc0c0004
	s_branch .LBB288_334
.LBB288_347:
	flat_load_b64 v[26:27], v[0:1]
	s_wait_xcnt 0x0
	s_or_b32 exec_lo, exec_lo, s3
                                        ; implicit-def: $vgpr28_vgpr29
	s_and_saveexec_b32 s3, s0
	s_cbranch_execz .LBB288_274
.LBB288_348:
	flat_load_b64 v[28:29], v[0:1] offset:256
	s_wait_xcnt 0x0
	s_or_b32 exec_lo, exec_lo, s3
                                        ; implicit-def: $vgpr30_vgpr31
	s_and_saveexec_b32 s0, s1
	s_cbranch_execz .LBB288_275
.LBB288_349:
	flat_load_b64 v[30:31], v[0:1] offset:512
	s_wait_xcnt 0x0
	s_or_b32 exec_lo, exec_lo, s0
                                        ; implicit-def: $vgpr32_vgpr33
	s_and_saveexec_b32 s0, s2
	s_cbranch_execnz .LBB288_276
	s_branch .LBB288_277
.LBB288_350:
	flat_store_b64 v[0:1], v[14:15]
	s_wait_xcnt 0x0
	s_or_b32 exec_lo, exec_lo, s3
	s_and_saveexec_b32 s3, s0
	s_cbranch_execz .LBB288_319
.LBB288_351:
	flat_store_b64 v[0:1], v[16:17] offset:2048
	s_wait_xcnt 0x0
	s_or_b32 exec_lo, exec_lo, s3
	s_and_saveexec_b32 s0, s1
	s_cbranch_execz .LBB288_320
.LBB288_352:
	flat_store_b64 v[0:1], v[10:11] offset:4096
	s_wait_xcnt 0x0
	s_or_b32 exec_lo, exec_lo, s0
	s_and_saveexec_b32 s0, s2
	s_cbranch_execnz .LBB288_321
	s_branch .LBB288_322
.LBB288_353:
	s_or_b32 exec_lo, exec_lo, s20
	s_barrier_signal -1
	s_barrier_wait -1
	ds_store_b8 v30, v0
	ds_store_b8 v32, v67
	v_dual_mov_b32 v19, 0 :: v_dual_add_nc_u32 v0, v12, v14
	v_mul_u32_u24_e32 v1, 7, v14
	s_wait_dscnt 0x0
	s_barrier_signal -1
	s_barrier_wait -1
	ds_load_u8 v5, v0
	ds_load_u8 v4, v0 offset:256
	v_add_nc_u32_e32 v0, v0, v1
	s_wait_dscnt 0x0
	s_barrier_signal -1
	s_barrier_wait -1
	ds_store_b64 v26, v[20:21]
	ds_store_b64 v28, v[16:17]
	s_wait_dscnt 0x0
	s_barrier_signal -1
	s_barrier_wait -1
	ds_load_2addr_stride64_b64 v[10:13], v0 offset1:4
	v_add_nc_u64_e32 v[0:1], v[2:3], v[8:9]
	s_set_vgpr_msb 4                        ;  msbs: dst=0 src0=0 src1=1 src2=0
	v_cmp_lt_u32_e32 vcc_lo, v18, v20 /*v276*/
	s_wait_dscnt 0x0
	s_barrier_signal -1
	s_barrier_wait -1
	s_set_vgpr_msb 0                        ;  msbs: dst=0 src0=0 src1=0 src2=0
	v_add_nc_u64_e32 v[0:1], v[0:1], v[18:19]
	s_and_saveexec_b32 s0, vcc_lo
	s_cbranch_execz .LBB288_355
; %bb.354:
	v_xor_b32_e32 v2, 0x7f, v5
	flat_store_b8 v[0:1], v2
.LBB288_355:
	s_wait_xcnt 0x0
	s_or_b32 exec_lo, exec_lo, s0
	v_add_nc_u32_e32 v2, 0x100, v18
	s_set_vgpr_msb 4                        ;  msbs: dst=0 src0=0 src1=1 src2=0
	s_delay_alu instid0(VALU_DEP_1)
	v_cmp_lt_u32_e64 s0, v2, v20 /*v276*/
	s_and_saveexec_b32 s1, s0
	s_set_vgpr_msb 0                        ;  msbs: dst=0 src0=0 src1=0 src2=0
	s_cbranch_execz .LBB288_357
; %bb.356:
	v_xor_b32_e32 v2, 0x7f, v4
	flat_store_b8 v[0:1], v2 offset:256
.LBB288_357:
	s_wait_xcnt 0x0
	s_or_b32 exec_lo, exec_lo, s1
	v_lshl_add_u64 v[0:1], v[8:9], 3, v[6:7]
	s_delay_alu instid0(VALU_DEP_1)
	v_lshl_add_u64 v[0:1], v[18:19], 3, v[0:1]
	s_and_saveexec_b32 s1, vcc_lo
	s_cbranch_execz .LBB288_359
; %bb.358:
	flat_store_b64 v[0:1], v[10:11]
.LBB288_359:
	s_wait_xcnt 0x0
	s_or_b32 exec_lo, exec_lo, s1
	s_and_saveexec_b32 s1, s0
	s_cbranch_execz .LBB288_361
; %bb.360:
	flat_store_b64 v[0:1], v[12:13] offset:2048
.LBB288_361:
	s_wait_xcnt 0x0
	s_or_b32 exec_lo, exec_lo, s1
                                        ; implicit-def: $vgpr18
                                        ; implicit-def: $vgpr8_vgpr9
                                        ; implicit-def: $vgpr276
                                        ; implicit-def: $vgpr10
                                        ; implicit-def: $vgpr11
                                        ; implicit-def: $vgpr0_vgpr1
                                        ; implicit-def: $vgpr2_vgpr3
                                        ; implicit-def: $vgpr4_vgpr5
                                        ; implicit-def: $vgpr6_vgpr7
                                        ; implicit-def: $vgpr12_vgpr13
                                        ; implicit-def: $vgpr14
                                        ; implicit-def: $vgpr16
.LBB288_362:
	s_and_not1_saveexec_b32 s0, s18
	s_cbranch_execz .LBB288_382
; %bb.363:
	s_delay_alu instid0(VALU_DEP_3) | instskip(SKIP_1) | instid1(VALU_DEP_2)
	v_and_b32_e32 v22, 0xffffffe0, v18
	v_mov_b32_e32 v39, 0xff
	v_or_b32_e32 v15, v16, v22
	s_set_vgpr_msb 4                        ;  msbs: dst=0 src0=0 src1=1 src2=0
	s_delay_alu instid0(VALU_DEP_1)
	v_cmp_lt_u32_e32 vcc_lo, v15, v20 /*v276*/
	s_and_saveexec_b32 s0, vcc_lo
	s_set_vgpr_msb 0                        ;  msbs: dst=0 src0=0 src1=0 src2=0
	s_cbranch_execz .LBB288_365
; %bb.364:
	v_add_nc_u64_e32 v[0:1], v[0:1], v[8:9]
	v_mov_b32_e32 v17, 0
	s_delay_alu instid0(VALU_DEP_1) | instskip(NEXT) | instid1(VALU_DEP_3)
	v_mov_b32_e32 v23, v17
	v_add_nc_u64_e32 v[0:1], v[0:1], v[16:17]
	s_delay_alu instid0(VALU_DEP_1)
	v_add_nc_u64_e32 v[0:1], v[0:1], v[22:23]
	flat_load_u8 v0, v[0:1]
	s_wait_loadcnt_dscnt 0x0
	v_xor_b32_e32 v39, 0x7f, v0
.LBB288_365:
	s_wait_xcnt 0x0
	s_or_b32 exec_lo, exec_lo, s0
                                        ; implicit-def: $vgpr20_vgpr21
	s_and_saveexec_b32 s0, vcc_lo
	s_cbranch_execz .LBB288_367
; %bb.366:
	v_lshl_add_u64 v[0:1], v[8:9], 3, v[4:5]
	v_dual_mov_b32 v5, 0 :: v_dual_lshlrev_b32 v4, 3, v16
	s_delay_alu instid0(VALU_DEP_1) | instskip(SKIP_1) | instid1(VALU_DEP_1)
	v_add_nc_u64_e32 v[0:1], v[0:1], v[4:5]
	v_mov_b32_e32 v23, v5
	v_lshl_add_u64 v[0:1], v[22:23], 3, v[0:1]
	flat_load_b64 v[20:21], v[0:1]
.LBB288_367:
	s_wait_xcnt 0x0
	s_or_b32 exec_lo, exec_lo, s0
	v_lshl_add_u32 v0, v14, 5, v12
	v_sub_co_u32 v17, s2, v16, 1
	v_dual_lshrrev_b32 v30, 5, v18 :: v_dual_bitop2_b32 v1, 15, v16 bitop3:0x40
	s_delay_alu instid0(VALU_DEP_3)
	v_dual_add_nc_u32 v15, 32, v0 :: v_dual_add_nc_u32 v19, 36, v0
	v_dual_add_nc_u32 v24, 40, v0 :: v_dual_add_nc_u32 v25, 44, v0
	;; [unrolled: 1-line block ×4, first 2 shown]
	v_and_b32_e32 v0, 0x3e0, v14
	v_and_b32_e32 v5, 16, v16
	v_cmp_gt_i32_e64 s5, 0, v17
	s_get_pc_i64 s[0:1]
	s_add_nc_u64 s[0:1], s[0:1], _ZN7rocprim17ROCPRIM_400000_NS16block_radix_sortIaLj256ELj1ElLj1ELj1ELj8ELNS0_26block_radix_rank_algorithmE2ELNS0_18block_padding_hintE2ELNS0_4arch9wavefront6targetE0EE19radix_bits_per_passE@rel64+4
	v_cmp_eq_u32_e32 vcc_lo, 0, v1
	v_min_u32_e32 v4, 0xe0, v0
	s_load_b32 s18, s[0:1], 0x0
	s_wait_xcnt 0x0
	v_cmp_lt_u32_e64 s0, 1, v1
	v_cmp_lt_u32_e64 s1, 3, v1
	;; [unrolled: 1-line block ×3, first 2 shown]
	v_dual_lshrrev_b32 v4, 3, v14 :: v_dual_bitop2_b32 v1, 31, v4 bitop3:0x54
	v_cmp_eq_u32_e64 s4, 0, v5
	v_cndmask_b32_e64 v5, v17, v16, s5
	v_or_b32_e32 v0, v16, v0
	v_cmp_gt_u32_e64 s6, 8, v14
	v_cmp_lt_u32_e64 s7, 31, v14
	v_cmp_eq_u32_e64 s8, 0, v14
	v_lshlrev_b32_e32 v31, 2, v5
	v_cmp_eq_u32_e64 s5, v14, v1
	v_and_b32_e32 v1, 0x7c, v4
	v_and_b32_e32 v4, 7, v16
	v_lshl_add_u32 v33, v14, 2, v12
	v_sub_nc_u32_e32 v37, v11, v10
	s_mov_b32 s19, 0
	v_dual_mov_b32 v1, 0 :: v_dual_add_nc_u32 v32, v12, v1
	v_add_nc_u32_e32 v34, v12, v0
	v_mul_u32_u24_e32 v0, 7, v0
	v_cmp_eq_u32_e64 s9, 0, v4
	v_cmp_lt_u32_e64 s10, 1, v4
	v_cmp_lt_u32_e64 s11, 3, v4
	v_mov_b64_e32 v[4:5], 0
	v_add_nc_u32_e32 v35, -4, v32
	v_add_nc_u32_e32 v36, v34, v0
	s_wait_storecnt 0x0
	s_wait_loadcnt_dscnt 0x0
	s_barrier_signal -1
	s_barrier_wait -1
	s_branch .LBB288_369
.LBB288_368:                            ;   in Loop: Header=BB288_369 Depth=1
	s_or_b32 exec_lo, exec_lo, s13
	s_delay_alu instid0(SALU_CYCLE_1) | instskip(NEXT) | instid1(SALU_CYCLE_1)
	s_and_b32 s12, exec_lo, s14
	s_or_b32 s19, s12, s19
	s_delay_alu instid0(SALU_CYCLE_1)
	s_and_not1_b32 exec_lo, exec_lo, s19
	s_cbranch_execz .LBB288_379
.LBB288_369:                            ; =>This Inner Loop Header: Depth=1
	v_mov_b32_e32 v38, v39
	s_wait_kmcnt 0x0
	v_min_u32_e32 v0, s18, v37
	ds_store_b64 v15, v[4:5]
	ds_store_b64 v24, v[4:5]
	;; [unrolled: 1-line block ×4, first 2 shown]
	s_wait_dscnt 0x0
	v_and_b32_e32 v16, 0xff, v38
	v_lshlrev_b32_e64 v0, v0, -1
	s_barrier_signal -1
	s_barrier_wait -1
	s_delay_alu instid0(VALU_DEP_2) | instskip(NEXT) | instid1(VALU_DEP_1)
	v_lshrrev_b32_e32 v16, v10, v16
	; wave barrier
	v_bitop3_b32 v17, v16, 1, v0 bitop3:0x40
	v_bitop3_b32 v0, v16, v0, v16 bitop3:0x30
	s_delay_alu instid0(VALU_DEP_2) | instskip(NEXT) | instid1(VALU_DEP_1)
	v_add_co_u32 v16, s12, v17, -1
	v_cndmask_b32_e64 v17, 0, 1, s12
	s_delay_alu instid0(VALU_DEP_3) | instskip(SKIP_1) | instid1(VALU_DEP_3)
	v_dual_lshlrev_b32 v22, 30, v0 :: v_dual_lshlrev_b32 v23, 29, v0
	v_dual_lshlrev_b32 v39, 28, v0 :: v_dual_lshlrev_b32 v48, 27, v0
	v_cmp_ne_u32_e64 s12, 0, v17
	s_delay_alu instid0(VALU_DEP_3)
	v_not_b32_e32 v17, v22
	v_dual_lshlrev_b32 v49, 26, v0 :: v_dual_lshlrev_b32 v50, 25, v0
	v_lshlrev_b32_e32 v51, 24, v0
	v_cmp_gt_i32_e64 s13, 0, v22
	v_cmp_gt_i32_e64 s14, 0, v23
	v_not_b32_e32 v22, v23
	v_not_b32_e32 v23, v39
	v_ashrrev_i32_e32 v17, 31, v17
	v_cmp_gt_i32_e64 s15, 0, v39
	v_cmp_gt_i32_e64 s16, 0, v48
	v_not_b32_e32 v39, v48
	v_not_b32_e32 v48, v49
	v_dual_ashrrev_i32 v22, 31, v22 :: v_dual_bitop2_b32 v16, s12, v16 bitop3:0x14
	v_dual_ashrrev_i32 v23, 31, v23 :: v_dual_bitop2_b32 v17, s13, v17 bitop3:0x14
	v_cmp_gt_i32_e64 s17, 0, v49
	v_not_b32_e32 v49, v50
	v_not_b32_e32 v52, v51
	v_dual_ashrrev_i32 v39, 31, v39 :: v_dual_ashrrev_i32 v48, 31, v48
	v_xor_b32_e32 v22, s14, v22
	v_xor_b32_e32 v23, s15, v23
	v_bitop3_b32 v16, v16, v17, exec_lo bitop3:0x80
	s_delay_alu instid0(VALU_DEP_4)
	v_dual_lshlrev_b32 v0, 3, v0 :: v_dual_bitop2_b32 v39, s16, v39 bitop3:0x14
	v_xor_b32_e32 v17, s17, v48
	v_cmp_gt_i32_e64 s12, 0, v50
	v_ashrrev_i32_e32 v48, 31, v49
	v_cmp_gt_i32_e64 s13, 0, v51
	v_ashrrev_i32_e32 v49, 31, v52
	v_bitop3_b32 v16, v16, v23, v22 bitop3:0x80
	v_add_lshl_u32 v0, v0, v30, 2
	v_xor_b32_e32 v22, s12, v48
	s_delay_alu instid0(VALU_DEP_4) | instskip(NEXT) | instid1(VALU_DEP_4)
	v_xor_b32_e32 v23, s13, v49
	v_bitop3_b32 v16, v16, v17, v39 bitop3:0x80
	s_delay_alu instid0(VALU_DEP_1) | instskip(SKIP_2) | instid1(VALU_DEP_3)
	v_bitop3_b32 v22, v16, v23, v22 bitop3:0x80
	v_mov_b64_e32 v[16:17], v[20:21]
	v_add_nc_u64_e32 v[20:21], v[12:13], v[0:1]
	v_mbcnt_lo_u32_b32 v0, v22, 0
	v_cmp_ne_u32_e64 s13, 0, v22
	s_delay_alu instid0(VALU_DEP_3) | instskip(NEXT) | instid1(VALU_DEP_3)
	v_add_nc_u64_e32 v[20:21], 32, v[20:21]
	v_cmp_eq_u32_e64 s12, 0, v0
	s_and_b32 s13, s13, s12
	s_delay_alu instid0(SALU_CYCLE_1)
	s_and_saveexec_b32 s12, s13
; %bb.370:                              ;   in Loop: Header=BB288_369 Depth=1
	v_bcnt_u32_b32 v21, v22, 0
	ds_store_b32 v20, v21
; %bb.371:                              ;   in Loop: Header=BB288_369 Depth=1
	s_or_b32 exec_lo, exec_lo, s12
	; wave barrier
	s_wait_dscnt 0x0
	s_barrier_signal -1
	s_barrier_wait -1
	ds_load_b32 v22, v15
	ds_load_b32 v23, v19
	;; [unrolled: 1-line block ×8, first 2 shown]
	s_wait_dscnt 0x6
	v_add_nc_u32_e32 v52, v23, v22
	s_wait_dscnt 0x4
	s_delay_alu instid0(VALU_DEP_1) | instskip(SKIP_1) | instid1(VALU_DEP_1)
	v_add3_u32 v52, v52, v39, v48
	s_wait_dscnt 0x2
	v_add3_u32 v52, v52, v49, v50
	s_wait_dscnt 0x0
	s_delay_alu instid0(VALU_DEP_1) | instskip(NEXT) | instid1(VALU_DEP_1)
	v_add3_u32 v51, v52, v21, v51
	v_mov_b32_dpp v52, v51 row_shr:1 row_mask:0xf bank_mask:0xf
	s_delay_alu instid0(VALU_DEP_1) | instskip(NEXT) | instid1(VALU_DEP_1)
	v_cndmask_b32_e64 v52, v52, 0, vcc_lo
	v_add_nc_u32_e32 v51, v52, v51
	s_delay_alu instid0(VALU_DEP_1) | instskip(NEXT) | instid1(VALU_DEP_1)
	v_mov_b32_dpp v52, v51 row_shr:2 row_mask:0xf bank_mask:0xf
	v_cndmask_b32_e64 v52, 0, v52, s0
	s_delay_alu instid0(VALU_DEP_1) | instskip(NEXT) | instid1(VALU_DEP_1)
	v_add_nc_u32_e32 v51, v51, v52
	v_mov_b32_dpp v52, v51 row_shr:4 row_mask:0xf bank_mask:0xf
	s_delay_alu instid0(VALU_DEP_1) | instskip(NEXT) | instid1(VALU_DEP_1)
	v_cndmask_b32_e64 v52, 0, v52, s1
	v_add_nc_u32_e32 v51, v51, v52
	s_delay_alu instid0(VALU_DEP_1) | instskip(NEXT) | instid1(VALU_DEP_1)
	v_mov_b32_dpp v52, v51 row_shr:8 row_mask:0xf bank_mask:0xf
	v_cndmask_b32_e64 v52, 0, v52, s3
	s_delay_alu instid0(VALU_DEP_1) | instskip(SKIP_3) | instid1(VALU_DEP_1)
	v_add_nc_u32_e32 v51, v51, v52
	ds_swizzle_b32 v52, v51 offset:swizzle(BROADCAST,32,15)
	s_wait_dscnt 0x0
	v_cndmask_b32_e64 v52, v52, 0, s4
	v_add_nc_u32_e32 v51, v51, v52
	s_and_saveexec_b32 s12, s5
; %bb.372:                              ;   in Loop: Header=BB288_369 Depth=1
	ds_store_b32 v32, v51
; %bb.373:                              ;   in Loop: Header=BB288_369 Depth=1
	s_or_b32 exec_lo, exec_lo, s12
	s_wait_dscnt 0x0
	s_barrier_signal -1
	s_barrier_wait -1
	s_and_saveexec_b32 s12, s6
	s_cbranch_execz .LBB288_375
; %bb.374:                              ;   in Loop: Header=BB288_369 Depth=1
	ds_load_b32 v52, v33
	s_wait_dscnt 0x0
	v_mov_b32_dpp v53, v52 row_shr:1 row_mask:0xf bank_mask:0xf
	s_delay_alu instid0(VALU_DEP_1) | instskip(NEXT) | instid1(VALU_DEP_1)
	v_cndmask_b32_e64 v53, v53, 0, s9
	v_add_nc_u32_e32 v52, v53, v52
	s_delay_alu instid0(VALU_DEP_1) | instskip(NEXT) | instid1(VALU_DEP_1)
	v_mov_b32_dpp v53, v52 row_shr:2 row_mask:0xf bank_mask:0xf
	v_cndmask_b32_e64 v53, 0, v53, s10
	s_delay_alu instid0(VALU_DEP_1) | instskip(NEXT) | instid1(VALU_DEP_1)
	v_add_nc_u32_e32 v52, v52, v53
	v_mov_b32_dpp v53, v52 row_shr:4 row_mask:0xf bank_mask:0xf
	s_delay_alu instid0(VALU_DEP_1) | instskip(NEXT) | instid1(VALU_DEP_1)
	v_cndmask_b32_e64 v53, 0, v53, s11
	v_add_nc_u32_e32 v52, v52, v53
	ds_store_b32 v33, v52
.LBB288_375:                            ;   in Loop: Header=BB288_369 Depth=1
	s_or_b32 exec_lo, exec_lo, s12
	v_mov_b32_e32 v52, 0
	s_wait_dscnt 0x0
	s_barrier_signal -1
	s_barrier_wait -1
	s_and_saveexec_b32 s12, s7
; %bb.376:                              ;   in Loop: Header=BB288_369 Depth=1
	ds_load_b32 v52, v35
; %bb.377:                              ;   in Loop: Header=BB288_369 Depth=1
	s_or_b32 exec_lo, exec_lo, s12
	s_wait_dscnt 0x0
	v_dual_add_nc_u32 v51, v52, v51 :: v_dual_add_nc_u32 v10, 8, v10
	s_mov_b32 s14, -1
	s_mov_b32 s13, exec_lo
	ds_bpermute_b32 v51, v31, v51
	s_wait_dscnt 0x0
	v_cndmask_b32_e64 v51, v51, v52, s2
	s_delay_alu instid0(VALU_DEP_1) | instskip(NEXT) | instid1(VALU_DEP_1)
	v_cndmask_b32_e64 v51, v51, 0, s8
	v_add_nc_u32_e32 v22, v51, v22
	s_delay_alu instid0(VALU_DEP_1) | instskip(NEXT) | instid1(VALU_DEP_1)
	v_add_nc_u32_e32 v23, v22, v23
	v_add_nc_u32_e32 v39, v23, v39
	s_delay_alu instid0(VALU_DEP_1) | instskip(NEXT) | instid1(VALU_DEP_1)
	v_add_nc_u32_e32 v48, v39, v48
	v_add_nc_u32_e32 v49, v48, v49
	ds_store_b32 v15, v51
	ds_store_b32 v19, v22
	;; [unrolled: 1-line block ×3, first 2 shown]
	v_add_nc_u32_e32 v50, v49, v50
	s_delay_alu instid0(VALU_DEP_1)
	v_add_nc_u32_e32 v21, v50, v21
	ds_store_b32 v25, v39
	ds_store_b32 v26, v48
	;; [unrolled: 1-line block ×5, first 2 shown]
	s_wait_dscnt 0x0
	s_barrier_signal -1
	s_barrier_wait -1
	ds_load_b32 v20, v20
	s_wait_dscnt 0x0
                                        ; implicit-def: $vgpr39
	v_add_nc_u32_e32 v0, v20, v0
                                        ; implicit-def: $vgpr20_vgpr21
	s_delay_alu instid0(VALU_DEP_1)
	v_add_nc_u64_e32 v[22:23], v[12:13], v[0:1]
	v_cmpx_lt_u32_e64 v10, v11
	s_cbranch_execz .LBB288_368
; %bb.378:                              ;   in Loop: Header=BB288_369 Depth=1
	s_delay_alu instid0(VALU_DEP_2)
	v_mad_nc_u64_u32 v[20:21], v0, 7, v[22:23]
	s_barrier_signal -1
	s_barrier_wait -1
	ds_store_b8 v22, v38
	s_wait_dscnt 0x0
	s_barrier_signal -1
	s_barrier_wait -1
	ds_load_u8 v39, v34
	s_wait_dscnt 0x0
	s_barrier_signal -1
	s_barrier_wait -1
	ds_store_b64 v20, v[16:17]
	s_wait_dscnt 0x0
	s_barrier_signal -1
	s_barrier_wait -1
	ds_load_b64 v[20:21], v36
	v_add_nc_u32_e32 v37, -8, v37
	s_xor_b32 s14, exec_lo, -1
	s_wait_dscnt 0x0
	s_barrier_signal -1
	s_barrier_wait -1
	s_branch .LBB288_368
.LBB288_379:
	s_or_b32 exec_lo, exec_lo, s19
	v_mad_nc_u64_u32 v[0:1], v0, 7, v[22:23]
	v_add_nc_u32_e32 v5, v12, v14
	v_mul_u32_u24_e32 v1, 7, v14
	s_barrier_signal -1
	s_barrier_wait -1
	ds_store_b8 v22, v38
	s_wait_dscnt 0x0
	s_barrier_signal -1
	s_barrier_wait -1
	ds_load_u8 v4, v5
	s_wait_dscnt 0x0
	s_barrier_signal -1
	s_barrier_wait -1
	ds_store_b64 v0, v[16:17]
	v_add_nc_u32_e32 v0, v5, v1
	s_wait_dscnt 0x0
	s_barrier_signal -1
	s_barrier_wait -1
	ds_load_b64 v[0:1], v0
	s_mov_b32 s0, exec_lo
	s_wait_dscnt 0x0
	s_barrier_signal -1
	s_barrier_wait -1
	s_set_vgpr_msb 4                        ;  msbs: dst=0 src0=0 src1=1 src2=0
	v_cmpx_lt_u32_e64 v18, v20 /*v276*/
	s_set_vgpr_msb 0                        ;  msbs: dst=0 src0=0 src1=0 src2=0
	s_cbranch_execz .LBB288_381
; %bb.380:
	v_add_nc_u64_e32 v[2:3], v[2:3], v[8:9]
	v_mov_b32_e32 v19, 0
	v_lshl_add_u64 v[6:7], v[8:9], 3, v[6:7]
	v_xor_b32_e32 v8, 0x7f, v4
	s_delay_alu instid0(VALU_DEP_2)
	v_lshl_add_u64 v[4:5], v[18:19], 3, v[6:7]
	v_add_nc_u64_e32 v[2:3], v[2:3], v[18:19]
	flat_store_b8 v[2:3], v8
	flat_store_b64 v[4:5], v[0:1]
.LBB288_381:
	s_wait_xcnt 0x0
	s_or_b32 exec_lo, exec_lo, s0
.LBB288_382:
	s_delay_alu instid0(SALU_CYCLE_1)
	s_or_b32 exec_lo, exec_lo, s22
	s_wait_dscnt 0x0
	s_set_pc_i64 s[30:31]
.Lfunc_end288:
	.size	_ZN7rocprim17ROCPRIM_400000_NS6detail40segmented_radix_sort_single_block_helperIalLj256ELj17ELb1EE4sortIPKaPaPKlPlEEbT_T0_T1_T2_jjjjRNS3_12storage_typeE, .Lfunc_end288-_ZN7rocprim17ROCPRIM_400000_NS6detail40segmented_radix_sort_single_block_helperIalLj256ELj17ELb1EE4sortIPKaPaPKlPlEEbT_T0_T1_T2_jjjjRNS3_12storage_typeE
                                        ; -- End function
	.set .L_ZN7rocprim17ROCPRIM_400000_NS6detail40segmented_radix_sort_single_block_helperIalLj256ELj17ELb1EE4sortIPKaPaPKlPlEEbT_T0_T1_T2_jjjjRNS3_12storage_typeE.num_vgpr, 315
	.set .L_ZN7rocprim17ROCPRIM_400000_NS6detail40segmented_radix_sort_single_block_helperIalLj256ELj17ELb1EE4sortIPKaPaPKlPlEEbT_T0_T1_T2_jjjjRNS3_12storage_typeE.num_agpr, 0
	.set .L_ZN7rocprim17ROCPRIM_400000_NS6detail40segmented_radix_sort_single_block_helperIalLj256ELj17ELb1EE4sortIPKaPaPKlPlEEbT_T0_T1_T2_jjjjRNS3_12storage_typeE.numbered_sgpr, 32
	.set .L_ZN7rocprim17ROCPRIM_400000_NS6detail40segmented_radix_sort_single_block_helperIalLj256ELj17ELb1EE4sortIPKaPaPKlPlEEbT_T0_T1_T2_jjjjRNS3_12storage_typeE.num_named_barrier, 0
	.set .L_ZN7rocprim17ROCPRIM_400000_NS6detail40segmented_radix_sort_single_block_helperIalLj256ELj17ELb1EE4sortIPKaPaPKlPlEEbT_T0_T1_T2_jjjjRNS3_12storage_typeE.private_seg_size, 0
	.set .L_ZN7rocprim17ROCPRIM_400000_NS6detail40segmented_radix_sort_single_block_helperIalLj256ELj17ELb1EE4sortIPKaPaPKlPlEEbT_T0_T1_T2_jjjjRNS3_12storage_typeE.uses_vcc, 1
	.set .L_ZN7rocprim17ROCPRIM_400000_NS6detail40segmented_radix_sort_single_block_helperIalLj256ELj17ELb1EE4sortIPKaPaPKlPlEEbT_T0_T1_T2_jjjjRNS3_12storage_typeE.uses_flat_scratch, 0
	.set .L_ZN7rocprim17ROCPRIM_400000_NS6detail40segmented_radix_sort_single_block_helperIalLj256ELj17ELb1EE4sortIPKaPaPKlPlEEbT_T0_T1_T2_jjjjRNS3_12storage_typeE.has_dyn_sized_stack, 0
	.set .L_ZN7rocprim17ROCPRIM_400000_NS6detail40segmented_radix_sort_single_block_helperIalLj256ELj17ELb1EE4sortIPKaPaPKlPlEEbT_T0_T1_T2_jjjjRNS3_12storage_typeE.has_recursion, 0
	.set .L_ZN7rocprim17ROCPRIM_400000_NS6detail40segmented_radix_sort_single_block_helperIalLj256ELj17ELb1EE4sortIPKaPaPKlPlEEbT_T0_T1_T2_jjjjRNS3_12storage_typeE.has_indirect_call, 0
	.section	.AMDGPU.csdata,"",@progbits
; Function info:
; codeLenInByte = 32124
; TotalNumSgprs: 34
; NumVgprs: 315
; ScratchSize: 0
; MemoryBound: 1
	.section	.text._ZN7rocprim17ROCPRIM_400000_NS6detail17trampoline_kernelINS0_14default_configENS1_36segmented_radix_sort_config_selectorIalEEZNS1_25segmented_radix_sort_implIS3_Lb1EPKaPaPKlPlN2at6native12_GLOBAL__N_18offset_tEEE10hipError_tPvRmT1_PNSt15iterator_traitsISK_E10value_typeET2_T3_PNSL_ISQ_E10value_typeET4_jRbjT5_SW_jjP12ihipStream_tbEUlT_E_NS1_11comp_targetILNS1_3genE0ELNS1_11target_archE4294967295ELNS1_3gpuE0ELNS1_3repE0EEENS1_30default_config_static_selectorELNS0_4arch9wavefront6targetE0EEEvSK_,"axG",@progbits,_ZN7rocprim17ROCPRIM_400000_NS6detail17trampoline_kernelINS0_14default_configENS1_36segmented_radix_sort_config_selectorIalEEZNS1_25segmented_radix_sort_implIS3_Lb1EPKaPaPKlPlN2at6native12_GLOBAL__N_18offset_tEEE10hipError_tPvRmT1_PNSt15iterator_traitsISK_E10value_typeET2_T3_PNSL_ISQ_E10value_typeET4_jRbjT5_SW_jjP12ihipStream_tbEUlT_E_NS1_11comp_targetILNS1_3genE0ELNS1_11target_archE4294967295ELNS1_3gpuE0ELNS1_3repE0EEENS1_30default_config_static_selectorELNS0_4arch9wavefront6targetE0EEEvSK_,comdat
	.globl	_ZN7rocprim17ROCPRIM_400000_NS6detail17trampoline_kernelINS0_14default_configENS1_36segmented_radix_sort_config_selectorIalEEZNS1_25segmented_radix_sort_implIS3_Lb1EPKaPaPKlPlN2at6native12_GLOBAL__N_18offset_tEEE10hipError_tPvRmT1_PNSt15iterator_traitsISK_E10value_typeET2_T3_PNSL_ISQ_E10value_typeET4_jRbjT5_SW_jjP12ihipStream_tbEUlT_E_NS1_11comp_targetILNS1_3genE0ELNS1_11target_archE4294967295ELNS1_3gpuE0ELNS1_3repE0EEENS1_30default_config_static_selectorELNS0_4arch9wavefront6targetE0EEEvSK_ ; -- Begin function _ZN7rocprim17ROCPRIM_400000_NS6detail17trampoline_kernelINS0_14default_configENS1_36segmented_radix_sort_config_selectorIalEEZNS1_25segmented_radix_sort_implIS3_Lb1EPKaPaPKlPlN2at6native12_GLOBAL__N_18offset_tEEE10hipError_tPvRmT1_PNSt15iterator_traitsISK_E10value_typeET2_T3_PNSL_ISQ_E10value_typeET4_jRbjT5_SW_jjP12ihipStream_tbEUlT_E_NS1_11comp_targetILNS1_3genE0ELNS1_11target_archE4294967295ELNS1_3gpuE0ELNS1_3repE0EEENS1_30default_config_static_selectorELNS0_4arch9wavefront6targetE0EEEvSK_
	.p2align	8
	.type	_ZN7rocprim17ROCPRIM_400000_NS6detail17trampoline_kernelINS0_14default_configENS1_36segmented_radix_sort_config_selectorIalEEZNS1_25segmented_radix_sort_implIS3_Lb1EPKaPaPKlPlN2at6native12_GLOBAL__N_18offset_tEEE10hipError_tPvRmT1_PNSt15iterator_traitsISK_E10value_typeET2_T3_PNSL_ISQ_E10value_typeET4_jRbjT5_SW_jjP12ihipStream_tbEUlT_E_NS1_11comp_targetILNS1_3genE0ELNS1_11target_archE4294967295ELNS1_3gpuE0ELNS1_3repE0EEENS1_30default_config_static_selectorELNS0_4arch9wavefront6targetE0EEEvSK_,@function
_ZN7rocprim17ROCPRIM_400000_NS6detail17trampoline_kernelINS0_14default_configENS1_36segmented_radix_sort_config_selectorIalEEZNS1_25segmented_radix_sort_implIS3_Lb1EPKaPaPKlPlN2at6native12_GLOBAL__N_18offset_tEEE10hipError_tPvRmT1_PNSt15iterator_traitsISK_E10value_typeET2_T3_PNSL_ISQ_E10value_typeET4_jRbjT5_SW_jjP12ihipStream_tbEUlT_E_NS1_11comp_targetILNS1_3genE0ELNS1_11target_archE4294967295ELNS1_3gpuE0ELNS1_3repE0EEENS1_30default_config_static_selectorELNS0_4arch9wavefront6targetE0EEEvSK_: ; @_ZN7rocprim17ROCPRIM_400000_NS6detail17trampoline_kernelINS0_14default_configENS1_36segmented_radix_sort_config_selectorIalEEZNS1_25segmented_radix_sort_implIS3_Lb1EPKaPaPKlPlN2at6native12_GLOBAL__N_18offset_tEEE10hipError_tPvRmT1_PNSt15iterator_traitsISK_E10value_typeET2_T3_PNSL_ISQ_E10value_typeET4_jRbjT5_SW_jjP12ihipStream_tbEUlT_E_NS1_11comp_targetILNS1_3genE0ELNS1_11target_archE4294967295ELNS1_3gpuE0ELNS1_3repE0EEENS1_30default_config_static_selectorELNS0_4arch9wavefront6targetE0EEEvSK_
; %bb.0:
	s_load_b64 s[8:9], s[2:3], 0x38
	s_bfe_u32 s4, ttmp6, 0x4000c
	s_and_b32 s5, ttmp6, 15
	s_add_co_i32 s4, s4, 1
	s_getreg_b32 s27, hwreg(HW_REG_IB_STS2, 6, 4)
	s_mul_i32 s4, ttmp9, s4
	s_mov_b32 s32, 0
	s_add_co_i32 s5, s5, s4
	s_cmp_eq_u32 s27, 0
	s_cselect_b32 s51, ttmp9, s5
	s_load_b128 s[4:7], s[2:3], 0x40
	s_wait_kmcnt 0x0
	s_load_b32 s10, s[8:9], s51 offset:0x0 scale_offset
	s_wait_kmcnt 0x0
	s_add_co_i32 s54, s10, s7
	s_add_co_i32 s55, s10, s5
	s_mul_i32 s54, s54, s6
	s_mul_i32 s55, s55, s4
	s_delay_alu instid0(SALU_CYCLE_1)
	s_cmp_le_u32 s54, s55
	s_cbranch_scc1 .LBB289_1254
; %bb.1:
	s_clause 0x3
	s_load_b32 s4, s[2:3], 0x30
	s_load_b128 s[44:47], s[2:3], 0x20
	s_load_b96 s[48:50], s[2:3], 0x50
	s_load_b256 s[36:43], s[2:3], 0x0
	s_wait_kmcnt 0x0
	s_bitcmp1_b32 s4, 0
	s_mov_b32 s4, -1
	s_cselect_b32 s56, -1, 0
	s_sub_co_i32 s57, s54, s55
	s_delay_alu instid0(SALU_CYCLE_1)
	s_cmp_lt_u32 s57, 0x1101
	s_cbranch_scc0 .LBB289_7
; %bb.2:
	v_cndmask_b32_e64 v1, 0, 1, s56
	s_and_b32 s4, s48, 1
	s_get_pc_i64 s[28:29]
	s_add_nc_u64 s[28:29], s[28:29], _ZN7rocprim17ROCPRIM_400000_NS6detail40segmented_radix_sort_single_block_helperIalLj256ELj17ELb1EE4sortIPKaPaPKlPlEEbT_T0_T1_T2_jjjjRNS3_12storage_typeE@rel64+4
	s_delay_alu instid0(VALU_DEP_1)
	v_cmp_ne_u32_e32 vcc_lo, s4, v1
	s_mov_b32 s4, -1
	s_cbranch_vccnz .LBB289_4
; %bb.3:
	s_mov_b64 s[4:5], src_shared_base
	v_dual_mov_b32 v31, v0 :: v_dual_mov_b32 v40, v0
	v_dual_mov_b32 v0, s36 :: v_dual_mov_b32 v1, s37
	;; [unrolled: 1-line block ×8, first 2 shown]
	s_add_nc_u64 s[8:9], s[2:3], 0x60
	s_mov_b64 s[6:7], s[0:1]
	s_mov_b64 s[34:35], s[2:3]
	;; [unrolled: 1-line block ×3, first 2 shown]
	s_swap_pc_i64 s[30:31], s[28:29]
	v_mov_b32_e32 v0, v40
	s_mov_b64 s[0:1], s[52:53]
	s_mov_b64 s[2:3], s[34:35]
	s_mov_b32 s4, 0
.LBB289_4:
	s_delay_alu instid0(SALU_CYCLE_1)
	s_and_not1_b32 vcc_lo, exec_lo, s4
	s_cbranch_vccnz .LBB289_6
; %bb.5:
	s_mov_b64 s[4:5], src_shared_base
	v_dual_mov_b32 v31, v0 :: v_dual_mov_b32 v40, v0
	v_dual_mov_b32 v0, s36 :: v_dual_mov_b32 v1, s37
	;; [unrolled: 1-line block ×8, first 2 shown]
	s_add_nc_u64 s[8:9], s[2:3], 0x60
	s_mov_b64 s[6:7], s[0:1]
	s_mov_b64 s[34:35], s[2:3]
	s_swap_pc_i64 s[30:31], s[28:29]
	v_mov_b32_e32 v0, v40
	s_mov_b64 s[2:3], s[34:35]
.LBB289_6:
	s_mov_b32 s4, 0
.LBB289_7:
	s_delay_alu instid0(SALU_CYCLE_1)
	s_and_not1_b32 vcc_lo, exec_lo, s4
	s_cbranch_vccnz .LBB289_1254
; %bb.8:
	s_cmp_ge_u32 s49, s50
	s_cbranch_scc1 .LBB289_1254
; %bb.9:
	v_dual_mov_b32 v1, 0 :: v_dual_bitop2_b32 v6, 3, v0 bitop3:0x40
	v_and_b32_e32 v2, 0x3ff, v0
	v_and_b32_e32 v8, 0xe0, v0
	s_bfe_u32 s6, ttmp6, 0x40010
	s_delay_alu instid0(VALU_DEP_3)
	v_mov_b32_e32 v3, v1
	v_bfe_u32 v89, v0, 20, 10
	v_lshlrev_b32_e32 v66, 2, v2
	v_min_u32_e32 v7, 0x60, v8
	v_dual_lshrrev_b32 v9, 3, v0 :: v_dual_lshlrev_b32 v84, 2, v6
	v_mul_u32_u24_e32 v6, 17, v8
	s_delay_alu instid0(VALU_DEP_4) | instskip(NEXT) | instid1(VALU_DEP_4)
	v_mad_u32_u24 v85, v2, 12, v66
	v_or_b32_e32 v7, 31, v7
	s_delay_alu instid0(VALU_DEP_4) | instskip(SKIP_1) | instid1(VALU_DEP_4)
	v_and_b32_e32 v83, 28, v9
	v_dual_lshlrev_b32 v9, 4, v2 :: v_dual_bitop2_b32 v8, 31, v8 bitop3:0x54
	v_add_nc_u32_e32 v90, v85, v66
	s_delay_alu instid0(VALU_DEP_4) | instskip(NEXT) | instid1(VALU_DEP_4)
	v_cmp_eq_u32_e64 s1, v2, v7
	v_dual_mov_b32 v7, v1 :: v_dual_add_nc_u32 v88, 0x89fc, v83
	s_add_nc_u64 s[52:53], s[2:3], 0x60
	v_bfe_u32 v91, v0, 10, 10
	v_cmp_eq_u32_e64 s2, v2, v8
	v_dual_add_nc_u32 v8, 1, v2 :: v_dual_sub_nc_u32 v92, v90, v9
	v_lshlrev_b32_e32 v0, 3, v6
	s_add_co_i32 s6, s6, 1
	s_bfe_u32 s7, ttmp6, 0x40004
	s_mul_i32 s6, ttmp7, s6
	v_add_nc_u64_e32 v[4:5], s[40:41], v[2:3]
	s_add_co_i32 s8, s7, s6
	v_mul_u32_u24_e32 v93, 36, v8
	v_cmp_ne_u32_e64 s7, 0x80, v8
	v_add_nc_u64_e32 v[8:9], s[46:47], v[0:1]
	v_add_nc_u64_e32 v[10:11], s[40:41], v[6:7]
	;; [unrolled: 1-line block ×8, first 2 shown]
	v_or_b32_e32 v67, 0x100, v2
	v_or_b32_e32 v68, 0x200, v2
	;; [unrolled: 1-line block ×16, first 2 shown]
	v_cmp_gt_u32_e64 s0, 0x80, v2
	v_or_b32_e32 v86, 0x8a00, v83
	v_cmp_gt_u32_e64 s4, 4, v2
	v_add_nc_u32_e32 v87, 0x8a00, v66
	v_cmp_lt_u32_e64 s5, 31, v2
	v_cmp_gt_u32_e64 s3, 8, v2
	v_cmp_eq_u32_e64 s6, 0, v2
	v_dual_mov_b32 v7, 1 :: v_dual_lshlrev_b32 v94, 5, v2
	v_mul_u32_u24_e32 v95, 7, v2
	v_mbcnt_lo_u32_b32 v0, -1, 0
	s_cmp_eq_u32 s27, 0
	s_mov_b32 s35, 0
	s_cselect_b32 s42, ttmp7, s8
	s_movk_i32 s43, 0xff
	s_mov_b32 s48, s49
	s_branch .LBB289_12
.LBB289_10:                             ;   in Loop: Header=BB289_12 Depth=1
	s_wait_dscnt 0x0
	s_barrier_signal -1
	s_barrier_wait -1
.LBB289_11:                             ;   in Loop: Header=BB289_12 Depth=1
	s_add_co_i32 s48, s48, 7
	s_delay_alu instid0(SALU_CYCLE_1)
	s_cmp_ge_u32 s48, s50
	s_cbranch_scc1 .LBB289_1254
.LBB289_12:                             ; =>This Loop Header: Depth=1
                                        ;     Child Loop BB289_16 Depth 2
                                        ;     Child Loop BB289_100 Depth 2
	;; [unrolled: 1-line block ×8, first 2 shown]
	s_sub_co_i32 s8, s50, s48
	s_xor_b32 s56, s56, -1
	s_min_u32 s8, s8, 7
	ds_store_2addr_stride64_b32 v66, v1, v1 offset1:4
	s_lshl_b32 s8, -1, s8
	s_wait_storecnt_dscnt 0x0
	s_not_b32 s58, s8
	s_cmp_lg_u32 s48, s49
	s_mov_b32 s8, -1
	s_cbranch_scc0 .LBB289_634
; %bb.13:                               ;   in Loop: Header=BB289_12 Depth=1
	s_and_b32 vcc_lo, exec_lo, s56
	s_cbranch_vccz .LBB289_323
; %bb.14:                               ;   in Loop: Header=BB289_12 Depth=1
	v_dual_mov_b32 v39, 0 :: v_dual_mov_b32 v42, 0
	v_dual_mov_b32 v41, 0 :: v_dual_mov_b32 v40, 0
	;; [unrolled: 1-line block ×8, first 2 shown]
	v_mov_b32_e32 v26, 0
	s_mov_b32 s8, s57
	s_mov_b32 s34, s55
	s_barrier_signal -1
	s_barrier_wait -1
	s_branch .LBB289_16
.LBB289_15:                             ;   in Loop: Header=BB289_16 Depth=2
	s_or_b32 exec_lo, exec_lo, s10
	s_addk_co_i32 s8, 0xef00
	s_cmp_ge_u32 s9, s54
	s_mov_b32 s34, s9
	s_cbranch_scc1 .LBB289_88
.LBB289_16:                             ;   Parent Loop BB289_12 Depth=1
                                        ; =>  This Inner Loop Header: Depth=2
	s_add_co_i32 s9, s34, 0x1100
	s_mov_b32 s10, -1
	s_cmp_gt_u32 s9, s54
                                        ; implicit-def: $vgpr24
                                        ; implicit-def: $vgpr25
                                        ; implicit-def: $vgpr43
                                        ; implicit-def: $vgpr44
                                        ; implicit-def: $vgpr45
                                        ; implicit-def: $vgpr46
                                        ; implicit-def: $vgpr47
                                        ; implicit-def: $vgpr48
                                        ; implicit-def: $vgpr49
                                        ; implicit-def: $vgpr50
                                        ; implicit-def: $vgpr51
                                        ; implicit-def: $vgpr52
                                        ; implicit-def: $vgpr53
                                        ; implicit-def: $vgpr54
                                        ; implicit-def: $vgpr55
                                        ; implicit-def: $vgpr56
                                        ; implicit-def: $vgpr57
	s_cbranch_scc1 .LBB289_18
; %bb.17:                               ;   in Loop: Header=BB289_16 Depth=2
	v_add_nc_u64_e32 v[58:59], s[34:35], v[4:5]
	s_mov_b32 s10, 0
	s_clause 0x10
	global_load_u8 v57, v[58:59], off offset:4096
	global_load_u8 v56, v[58:59], off offset:3840
	;; [unrolled: 1-line block ×16, first 2 shown]
	global_load_u8 v24, v[58:59], off
.LBB289_18:                             ;   in Loop: Header=BB289_16 Depth=2
	s_and_not1_b32 vcc_lo, exec_lo, s10
	s_movk_i32 s10, 0x1100
	s_cbranch_vccnz .LBB289_38
; %bb.19:                               ;   in Loop: Header=BB289_16 Depth=2
	s_add_nc_u64 s[10:11], s[40:41], s[34:35]
	s_wait_loadcnt 0x0
	v_add_nc_u64_e32 v[24:25], s[10:11], v[2:3]
	s_mov_b32 s10, exec_lo
	s_wait_xcnt 0x0
	v_cmpx_gt_u32_e64 s8, v2
	s_cbranch_execnz .LBB289_72
; %bb.20:                               ;   in Loop: Header=BB289_16 Depth=2
	s_or_b32 exec_lo, exec_lo, s10
	s_delay_alu instid0(SALU_CYCLE_1)
	s_mov_b32 s10, exec_lo
	v_cmpx_gt_u32_e64 s8, v67
	s_cbranch_execnz .LBB289_73
.LBB289_21:                             ;   in Loop: Header=BB289_16 Depth=2
	s_or_b32 exec_lo, exec_lo, s10
	s_delay_alu instid0(SALU_CYCLE_1)
	s_mov_b32 s10, exec_lo
	v_cmpx_gt_u32_e64 s8, v68
	s_cbranch_execnz .LBB289_74
.LBB289_22:                             ;   in Loop: Header=BB289_16 Depth=2
	s_or_b32 exec_lo, exec_lo, s10
	s_delay_alu instid0(SALU_CYCLE_1)
	s_mov_b32 s10, exec_lo
	v_cmpx_gt_u32_e64 s8, v69
	s_cbranch_execnz .LBB289_75
.LBB289_23:                             ;   in Loop: Header=BB289_16 Depth=2
	s_or_b32 exec_lo, exec_lo, s10
	s_delay_alu instid0(SALU_CYCLE_1)
	s_mov_b32 s10, exec_lo
	v_cmpx_gt_u32_e64 s8, v70
	s_cbranch_execnz .LBB289_76
.LBB289_24:                             ;   in Loop: Header=BB289_16 Depth=2
	s_or_b32 exec_lo, exec_lo, s10
	s_delay_alu instid0(SALU_CYCLE_1)
	s_mov_b32 s10, exec_lo
	v_cmpx_gt_u32_e64 s8, v71
	s_cbranch_execnz .LBB289_77
.LBB289_25:                             ;   in Loop: Header=BB289_16 Depth=2
	s_or_b32 exec_lo, exec_lo, s10
	s_delay_alu instid0(SALU_CYCLE_1)
	s_mov_b32 s10, exec_lo
	v_cmpx_gt_u32_e64 s8, v72
	s_cbranch_execnz .LBB289_78
.LBB289_26:                             ;   in Loop: Header=BB289_16 Depth=2
	s_or_b32 exec_lo, exec_lo, s10
	s_delay_alu instid0(SALU_CYCLE_1)
	s_mov_b32 s10, exec_lo
	v_cmpx_gt_u32_e64 s8, v73
	s_cbranch_execnz .LBB289_79
.LBB289_27:                             ;   in Loop: Header=BB289_16 Depth=2
	s_or_b32 exec_lo, exec_lo, s10
	s_delay_alu instid0(SALU_CYCLE_1)
	s_mov_b32 s10, exec_lo
	v_cmpx_gt_u32_e64 s8, v74
	s_cbranch_execnz .LBB289_80
.LBB289_28:                             ;   in Loop: Header=BB289_16 Depth=2
	s_or_b32 exec_lo, exec_lo, s10
	s_delay_alu instid0(SALU_CYCLE_1)
	s_mov_b32 s10, exec_lo
	v_cmpx_gt_u32_e64 s8, v75
	s_cbranch_execnz .LBB289_81
.LBB289_29:                             ;   in Loop: Header=BB289_16 Depth=2
	s_or_b32 exec_lo, exec_lo, s10
	s_delay_alu instid0(SALU_CYCLE_1)
	s_mov_b32 s10, exec_lo
	v_cmpx_gt_u32_e64 s8, v76
	s_cbranch_execnz .LBB289_82
.LBB289_30:                             ;   in Loop: Header=BB289_16 Depth=2
	s_or_b32 exec_lo, exec_lo, s10
	s_delay_alu instid0(SALU_CYCLE_1)
	s_mov_b32 s10, exec_lo
	v_cmpx_gt_u32_e64 s8, v77
	s_cbranch_execnz .LBB289_83
.LBB289_31:                             ;   in Loop: Header=BB289_16 Depth=2
	s_or_b32 exec_lo, exec_lo, s10
	s_delay_alu instid0(SALU_CYCLE_1)
	s_mov_b32 s10, exec_lo
	v_cmpx_gt_u32_e64 s8, v78
	s_cbranch_execnz .LBB289_84
.LBB289_32:                             ;   in Loop: Header=BB289_16 Depth=2
	s_or_b32 exec_lo, exec_lo, s10
	s_delay_alu instid0(SALU_CYCLE_1)
	s_mov_b32 s10, exec_lo
	v_cmpx_gt_u32_e64 s8, v79
	s_cbranch_execnz .LBB289_85
.LBB289_33:                             ;   in Loop: Header=BB289_16 Depth=2
	s_or_b32 exec_lo, exec_lo, s10
	s_delay_alu instid0(SALU_CYCLE_1)
	s_mov_b32 s10, exec_lo
	v_cmpx_gt_u32_e64 s8, v80
	s_cbranch_execnz .LBB289_86
.LBB289_34:                             ;   in Loop: Header=BB289_16 Depth=2
	s_or_b32 exec_lo, exec_lo, s10
	s_delay_alu instid0(SALU_CYCLE_1)
	s_mov_b32 s10, exec_lo
	v_cmpx_gt_u32_e64 s8, v81
	s_cbranch_execnz .LBB289_87
.LBB289_35:                             ;   in Loop: Header=BB289_16 Depth=2
	s_or_b32 exec_lo, exec_lo, s10
	s_delay_alu instid0(SALU_CYCLE_1)
	s_mov_b32 s10, exec_lo
	v_cmpx_gt_u32_e64 s8, v82
	s_cbranch_execz .LBB289_37
.LBB289_36:                             ;   in Loop: Header=BB289_16 Depth=2
	global_load_u8 v26, v[24:25], off offset:4096
.LBB289_37:                             ;   in Loop: Header=BB289_16 Depth=2
	s_wait_xcnt 0x0
	s_or_b32 exec_lo, exec_lo, s10
	s_wait_loadcnt 0x0
	v_dual_mov_b32 v24, v39 :: v_dual_mov_b32 v25, v42
	v_dual_mov_b32 v43, v41 :: v_dual_mov_b32 v44, v40
	;; [unrolled: 1-line block ×8, first 2 shown]
	v_mov_b32_e32 v57, v26
	s_mov_b32 s10, s8
.LBB289_38:                             ;   in Loop: Header=BB289_16 Depth=2
	s_wait_loadcnt 0xf
	s_delay_alu instid0(VALU_DEP_1)
	v_dual_mov_b32 v26, v57 :: v_dual_mov_b32 v27, v56
	s_wait_loadcnt 0xd
	v_dual_mov_b32 v28, v55 :: v_dual_mov_b32 v29, v54
	s_wait_loadcnt 0xb
	;; [unrolled: 2-line block ×8, first 2 shown]
	v_mov_b32_e32 v39, v24
	s_mov_b32 s11, exec_lo
	s_wait_xcnt 0x0
	v_cmpx_gt_u32_e64 s10, v2
	s_cbranch_execnz .LBB289_55
; %bb.39:                               ;   in Loop: Header=BB289_16 Depth=2
	s_or_b32 exec_lo, exec_lo, s11
	s_delay_alu instid0(SALU_CYCLE_1)
	s_mov_b32 s11, exec_lo
	v_cmpx_gt_u32_e64 s10, v67
	s_cbranch_execnz .LBB289_56
.LBB289_40:                             ;   in Loop: Header=BB289_16 Depth=2
	s_or_b32 exec_lo, exec_lo, s11
	s_delay_alu instid0(SALU_CYCLE_1)
	s_mov_b32 s11, exec_lo
	v_cmpx_gt_u32_e64 s10, v68
	s_cbranch_execnz .LBB289_57
.LBB289_41:                             ;   in Loop: Header=BB289_16 Depth=2
	s_or_b32 exec_lo, exec_lo, s11
	s_delay_alu instid0(SALU_CYCLE_1)
	s_mov_b32 s11, exec_lo
	v_cmpx_gt_u32_e64 s10, v69
	s_cbranch_execnz .LBB289_58
.LBB289_42:                             ;   in Loop: Header=BB289_16 Depth=2
	s_or_b32 exec_lo, exec_lo, s11
	s_delay_alu instid0(SALU_CYCLE_1)
	s_mov_b32 s11, exec_lo
	v_cmpx_gt_u32_e64 s10, v70
	s_cbranch_execnz .LBB289_59
.LBB289_43:                             ;   in Loop: Header=BB289_16 Depth=2
	s_or_b32 exec_lo, exec_lo, s11
	s_delay_alu instid0(SALU_CYCLE_1)
	s_mov_b32 s11, exec_lo
	v_cmpx_gt_u32_e64 s10, v71
	s_cbranch_execnz .LBB289_60
.LBB289_44:                             ;   in Loop: Header=BB289_16 Depth=2
	s_or_b32 exec_lo, exec_lo, s11
	s_delay_alu instid0(SALU_CYCLE_1)
	s_mov_b32 s11, exec_lo
	v_cmpx_gt_u32_e64 s10, v72
	s_cbranch_execnz .LBB289_61
.LBB289_45:                             ;   in Loop: Header=BB289_16 Depth=2
	s_or_b32 exec_lo, exec_lo, s11
	s_delay_alu instid0(SALU_CYCLE_1)
	s_mov_b32 s11, exec_lo
	v_cmpx_gt_u32_e64 s10, v73
	s_cbranch_execnz .LBB289_62
.LBB289_46:                             ;   in Loop: Header=BB289_16 Depth=2
	s_or_b32 exec_lo, exec_lo, s11
	s_delay_alu instid0(SALU_CYCLE_1)
	s_mov_b32 s11, exec_lo
	v_cmpx_gt_u32_e64 s10, v74
	s_cbranch_execnz .LBB289_63
.LBB289_47:                             ;   in Loop: Header=BB289_16 Depth=2
	s_or_b32 exec_lo, exec_lo, s11
	s_delay_alu instid0(SALU_CYCLE_1)
	s_mov_b32 s11, exec_lo
	v_cmpx_gt_u32_e64 s10, v75
	s_cbranch_execnz .LBB289_64
.LBB289_48:                             ;   in Loop: Header=BB289_16 Depth=2
	s_or_b32 exec_lo, exec_lo, s11
	s_delay_alu instid0(SALU_CYCLE_1)
	s_mov_b32 s11, exec_lo
	v_cmpx_gt_u32_e64 s10, v76
	s_cbranch_execnz .LBB289_65
.LBB289_49:                             ;   in Loop: Header=BB289_16 Depth=2
	s_or_b32 exec_lo, exec_lo, s11
	s_delay_alu instid0(SALU_CYCLE_1)
	s_mov_b32 s11, exec_lo
	v_cmpx_gt_u32_e64 s10, v77
	s_cbranch_execnz .LBB289_66
.LBB289_50:                             ;   in Loop: Header=BB289_16 Depth=2
	s_or_b32 exec_lo, exec_lo, s11
	s_delay_alu instid0(SALU_CYCLE_1)
	s_mov_b32 s11, exec_lo
	v_cmpx_gt_u32_e64 s10, v78
	s_cbranch_execnz .LBB289_67
.LBB289_51:                             ;   in Loop: Header=BB289_16 Depth=2
	s_or_b32 exec_lo, exec_lo, s11
	s_delay_alu instid0(SALU_CYCLE_1)
	s_mov_b32 s11, exec_lo
	v_cmpx_gt_u32_e64 s10, v79
	s_cbranch_execnz .LBB289_68
.LBB289_52:                             ;   in Loop: Header=BB289_16 Depth=2
	s_or_b32 exec_lo, exec_lo, s11
	s_delay_alu instid0(SALU_CYCLE_1)
	s_mov_b32 s11, exec_lo
	v_cmpx_gt_u32_e64 s10, v80
	s_cbranch_execnz .LBB289_69
.LBB289_53:                             ;   in Loop: Header=BB289_16 Depth=2
	s_or_b32 exec_lo, exec_lo, s11
	s_delay_alu instid0(SALU_CYCLE_1)
	s_mov_b32 s11, exec_lo
	v_cmpx_gt_u32_e64 s10, v81
	s_cbranch_execnz .LBB289_70
.LBB289_54:                             ;   in Loop: Header=BB289_16 Depth=2
	s_or_b32 exec_lo, exec_lo, s11
	v_cmp_gt_u32_e32 vcc_lo, s10, v82
	s_and_saveexec_b32 s10, vcc_lo
	s_cbranch_execz .LBB289_15
	s_branch .LBB289_71
.LBB289_55:                             ;   in Loop: Header=BB289_16 Depth=2
	v_xor_b32_e32 v24, 0x7f, v39
	s_delay_alu instid0(VALU_DEP_1) | instskip(NEXT) | instid1(VALU_DEP_1)
	v_and_b32_e32 v24, 0xff, v24
	v_lshrrev_b32_e32 v24, s48, v24
	s_delay_alu instid0(VALU_DEP_1) | instskip(NEXT) | instid1(VALU_DEP_1)
	v_and_b32_e32 v24, s58, v24
	v_lshl_or_b32 v24, v24, 4, v84
	ds_add_u32 v24, v7
	s_or_b32 exec_lo, exec_lo, s11
	s_delay_alu instid0(SALU_CYCLE_1)
	s_mov_b32 s11, exec_lo
	v_cmpx_gt_u32_e64 s10, v67
	s_cbranch_execz .LBB289_40
.LBB289_56:                             ;   in Loop: Header=BB289_16 Depth=2
	v_xor_b32_e32 v24, 0x7f, v42
	s_delay_alu instid0(VALU_DEP_1) | instskip(NEXT) | instid1(VALU_DEP_1)
	v_and_b32_e32 v24, 0xff, v24
	v_lshrrev_b32_e32 v24, s48, v24
	s_delay_alu instid0(VALU_DEP_1) | instskip(NEXT) | instid1(VALU_DEP_1)
	v_and_b32_e32 v24, s58, v24
	v_lshl_or_b32 v24, v24, 4, v84
	ds_add_u32 v24, v7
	s_or_b32 exec_lo, exec_lo, s11
	s_delay_alu instid0(SALU_CYCLE_1)
	s_mov_b32 s11, exec_lo
	v_cmpx_gt_u32_e64 s10, v68
	s_cbranch_execz .LBB289_41
.LBB289_57:                             ;   in Loop: Header=BB289_16 Depth=2
	v_xor_b32_e32 v24, 0x7f, v41
	s_delay_alu instid0(VALU_DEP_1) | instskip(NEXT) | instid1(VALU_DEP_1)
	v_and_b32_e32 v24, 0xff, v24
	v_lshrrev_b32_e32 v24, s48, v24
	s_delay_alu instid0(VALU_DEP_1) | instskip(NEXT) | instid1(VALU_DEP_1)
	v_and_b32_e32 v24, s58, v24
	v_lshl_or_b32 v24, v24, 4, v84
	ds_add_u32 v24, v7
	s_or_b32 exec_lo, exec_lo, s11
	s_delay_alu instid0(SALU_CYCLE_1)
	s_mov_b32 s11, exec_lo
	v_cmpx_gt_u32_e64 s10, v69
	s_cbranch_execz .LBB289_42
.LBB289_58:                             ;   in Loop: Header=BB289_16 Depth=2
	v_xor_b32_e32 v24, 0x7f, v40
	s_delay_alu instid0(VALU_DEP_1) | instskip(NEXT) | instid1(VALU_DEP_1)
	v_and_b32_e32 v24, 0xff, v24
	v_lshrrev_b32_e32 v24, s48, v24
	s_delay_alu instid0(VALU_DEP_1) | instskip(NEXT) | instid1(VALU_DEP_1)
	v_and_b32_e32 v24, s58, v24
	v_lshl_or_b32 v24, v24, 4, v84
	ds_add_u32 v24, v7
	s_or_b32 exec_lo, exec_lo, s11
	s_delay_alu instid0(SALU_CYCLE_1)
	s_mov_b32 s11, exec_lo
	v_cmpx_gt_u32_e64 s10, v70
	s_cbranch_execz .LBB289_43
.LBB289_59:                             ;   in Loop: Header=BB289_16 Depth=2
	v_xor_b32_e32 v24, 0x7f, v38
	s_delay_alu instid0(VALU_DEP_1) | instskip(NEXT) | instid1(VALU_DEP_1)
	v_and_b32_e32 v24, 0xff, v24
	v_lshrrev_b32_e32 v24, s48, v24
	s_delay_alu instid0(VALU_DEP_1) | instskip(NEXT) | instid1(VALU_DEP_1)
	v_and_b32_e32 v24, s58, v24
	v_lshl_or_b32 v24, v24, 4, v84
	ds_add_u32 v24, v7
	s_or_b32 exec_lo, exec_lo, s11
	s_delay_alu instid0(SALU_CYCLE_1)
	s_mov_b32 s11, exec_lo
	v_cmpx_gt_u32_e64 s10, v71
	s_cbranch_execz .LBB289_44
.LBB289_60:                             ;   in Loop: Header=BB289_16 Depth=2
	v_xor_b32_e32 v24, 0x7f, v37
	s_delay_alu instid0(VALU_DEP_1) | instskip(NEXT) | instid1(VALU_DEP_1)
	v_and_b32_e32 v24, 0xff, v24
	v_lshrrev_b32_e32 v24, s48, v24
	s_delay_alu instid0(VALU_DEP_1) | instskip(NEXT) | instid1(VALU_DEP_1)
	v_and_b32_e32 v24, s58, v24
	v_lshl_or_b32 v24, v24, 4, v84
	ds_add_u32 v24, v7
	s_or_b32 exec_lo, exec_lo, s11
	s_delay_alu instid0(SALU_CYCLE_1)
	s_mov_b32 s11, exec_lo
	v_cmpx_gt_u32_e64 s10, v72
	s_cbranch_execz .LBB289_45
.LBB289_61:                             ;   in Loop: Header=BB289_16 Depth=2
	v_xor_b32_e32 v24, 0x7f, v36
	s_delay_alu instid0(VALU_DEP_1) | instskip(NEXT) | instid1(VALU_DEP_1)
	v_and_b32_e32 v24, 0xff, v24
	v_lshrrev_b32_e32 v24, s48, v24
	s_delay_alu instid0(VALU_DEP_1) | instskip(NEXT) | instid1(VALU_DEP_1)
	v_and_b32_e32 v24, s58, v24
	v_lshl_or_b32 v24, v24, 4, v84
	ds_add_u32 v24, v7
	s_or_b32 exec_lo, exec_lo, s11
	s_delay_alu instid0(SALU_CYCLE_1)
	s_mov_b32 s11, exec_lo
	v_cmpx_gt_u32_e64 s10, v73
	s_cbranch_execz .LBB289_46
.LBB289_62:                             ;   in Loop: Header=BB289_16 Depth=2
	v_xor_b32_e32 v24, 0x7f, v35
	s_delay_alu instid0(VALU_DEP_1) | instskip(NEXT) | instid1(VALU_DEP_1)
	v_and_b32_e32 v24, 0xff, v24
	v_lshrrev_b32_e32 v24, s48, v24
	s_delay_alu instid0(VALU_DEP_1) | instskip(NEXT) | instid1(VALU_DEP_1)
	v_and_b32_e32 v24, s58, v24
	v_lshl_or_b32 v24, v24, 4, v84
	ds_add_u32 v24, v7
	s_or_b32 exec_lo, exec_lo, s11
	s_delay_alu instid0(SALU_CYCLE_1)
	s_mov_b32 s11, exec_lo
	v_cmpx_gt_u32_e64 s10, v74
	s_cbranch_execz .LBB289_47
.LBB289_63:                             ;   in Loop: Header=BB289_16 Depth=2
	v_xor_b32_e32 v24, 0x7f, v34
	s_delay_alu instid0(VALU_DEP_1) | instskip(NEXT) | instid1(VALU_DEP_1)
	v_and_b32_e32 v24, 0xff, v24
	v_lshrrev_b32_e32 v24, s48, v24
	s_delay_alu instid0(VALU_DEP_1) | instskip(NEXT) | instid1(VALU_DEP_1)
	v_and_b32_e32 v24, s58, v24
	v_lshl_or_b32 v24, v24, 4, v84
	ds_add_u32 v24, v7
	s_or_b32 exec_lo, exec_lo, s11
	s_delay_alu instid0(SALU_CYCLE_1)
	s_mov_b32 s11, exec_lo
	v_cmpx_gt_u32_e64 s10, v75
	s_cbranch_execz .LBB289_48
.LBB289_64:                             ;   in Loop: Header=BB289_16 Depth=2
	v_xor_b32_e32 v24, 0x7f, v33
	s_delay_alu instid0(VALU_DEP_1) | instskip(NEXT) | instid1(VALU_DEP_1)
	v_and_b32_e32 v24, 0xff, v24
	v_lshrrev_b32_e32 v24, s48, v24
	s_delay_alu instid0(VALU_DEP_1) | instskip(NEXT) | instid1(VALU_DEP_1)
	v_and_b32_e32 v24, s58, v24
	v_lshl_or_b32 v24, v24, 4, v84
	ds_add_u32 v24, v7
	s_or_b32 exec_lo, exec_lo, s11
	s_delay_alu instid0(SALU_CYCLE_1)
	s_mov_b32 s11, exec_lo
	v_cmpx_gt_u32_e64 s10, v76
	s_cbranch_execz .LBB289_49
.LBB289_65:                             ;   in Loop: Header=BB289_16 Depth=2
	v_xor_b32_e32 v24, 0x7f, v32
	s_delay_alu instid0(VALU_DEP_1) | instskip(NEXT) | instid1(VALU_DEP_1)
	v_and_b32_e32 v24, 0xff, v24
	v_lshrrev_b32_e32 v24, s48, v24
	s_delay_alu instid0(VALU_DEP_1) | instskip(NEXT) | instid1(VALU_DEP_1)
	v_and_b32_e32 v24, s58, v24
	v_lshl_or_b32 v24, v24, 4, v84
	ds_add_u32 v24, v7
	s_or_b32 exec_lo, exec_lo, s11
	s_delay_alu instid0(SALU_CYCLE_1)
	s_mov_b32 s11, exec_lo
	v_cmpx_gt_u32_e64 s10, v77
	s_cbranch_execz .LBB289_50
.LBB289_66:                             ;   in Loop: Header=BB289_16 Depth=2
	v_xor_b32_e32 v24, 0x7f, v31
	s_delay_alu instid0(VALU_DEP_1) | instskip(NEXT) | instid1(VALU_DEP_1)
	v_and_b32_e32 v24, 0xff, v24
	v_lshrrev_b32_e32 v24, s48, v24
	s_delay_alu instid0(VALU_DEP_1) | instskip(NEXT) | instid1(VALU_DEP_1)
	v_and_b32_e32 v24, s58, v24
	v_lshl_or_b32 v24, v24, 4, v84
	ds_add_u32 v24, v7
	s_or_b32 exec_lo, exec_lo, s11
	s_delay_alu instid0(SALU_CYCLE_1)
	s_mov_b32 s11, exec_lo
	v_cmpx_gt_u32_e64 s10, v78
	s_cbranch_execz .LBB289_51
.LBB289_67:                             ;   in Loop: Header=BB289_16 Depth=2
	v_xor_b32_e32 v24, 0x7f, v30
	s_delay_alu instid0(VALU_DEP_1) | instskip(NEXT) | instid1(VALU_DEP_1)
	v_and_b32_e32 v24, 0xff, v24
	v_lshrrev_b32_e32 v24, s48, v24
	s_delay_alu instid0(VALU_DEP_1) | instskip(NEXT) | instid1(VALU_DEP_1)
	v_and_b32_e32 v24, s58, v24
	v_lshl_or_b32 v24, v24, 4, v84
	ds_add_u32 v24, v7
	s_or_b32 exec_lo, exec_lo, s11
	s_delay_alu instid0(SALU_CYCLE_1)
	s_mov_b32 s11, exec_lo
	v_cmpx_gt_u32_e64 s10, v79
	s_cbranch_execz .LBB289_52
.LBB289_68:                             ;   in Loop: Header=BB289_16 Depth=2
	v_xor_b32_e32 v24, 0x7f, v29
	s_delay_alu instid0(VALU_DEP_1) | instskip(NEXT) | instid1(VALU_DEP_1)
	v_and_b32_e32 v24, 0xff, v24
	v_lshrrev_b32_e32 v24, s48, v24
	s_delay_alu instid0(VALU_DEP_1) | instskip(NEXT) | instid1(VALU_DEP_1)
	v_and_b32_e32 v24, s58, v24
	v_lshl_or_b32 v24, v24, 4, v84
	ds_add_u32 v24, v7
	s_or_b32 exec_lo, exec_lo, s11
	s_delay_alu instid0(SALU_CYCLE_1)
	s_mov_b32 s11, exec_lo
	v_cmpx_gt_u32_e64 s10, v80
	s_cbranch_execz .LBB289_53
.LBB289_69:                             ;   in Loop: Header=BB289_16 Depth=2
	v_xor_b32_e32 v24, 0x7f, v28
	s_delay_alu instid0(VALU_DEP_1) | instskip(NEXT) | instid1(VALU_DEP_1)
	v_and_b32_e32 v24, 0xff, v24
	v_lshrrev_b32_e32 v24, s48, v24
	s_delay_alu instid0(VALU_DEP_1) | instskip(NEXT) | instid1(VALU_DEP_1)
	v_and_b32_e32 v24, s58, v24
	v_lshl_or_b32 v24, v24, 4, v84
	ds_add_u32 v24, v7
	s_or_b32 exec_lo, exec_lo, s11
	s_delay_alu instid0(SALU_CYCLE_1)
	s_mov_b32 s11, exec_lo
	v_cmpx_gt_u32_e64 s10, v81
	s_cbranch_execz .LBB289_54
.LBB289_70:                             ;   in Loop: Header=BB289_16 Depth=2
	v_xor_b32_e32 v24, 0x7f, v27
	s_delay_alu instid0(VALU_DEP_1) | instskip(NEXT) | instid1(VALU_DEP_1)
	v_and_b32_e32 v24, 0xff, v24
	v_lshrrev_b32_e32 v24, s48, v24
	s_delay_alu instid0(VALU_DEP_1) | instskip(NEXT) | instid1(VALU_DEP_1)
	v_and_b32_e32 v24, s58, v24
	v_lshl_or_b32 v24, v24, 4, v84
	ds_add_u32 v24, v7
	s_or_b32 exec_lo, exec_lo, s11
	v_cmp_gt_u32_e32 vcc_lo, s10, v82
	s_and_saveexec_b32 s10, vcc_lo
	s_cbranch_execz .LBB289_15
.LBB289_71:                             ;   in Loop: Header=BB289_16 Depth=2
	v_xor_b32_e32 v24, 0x7f, v26
	s_delay_alu instid0(VALU_DEP_1) | instskip(NEXT) | instid1(VALU_DEP_1)
	v_and_b32_e32 v24, 0xff, v24
	v_lshrrev_b32_e32 v24, s48, v24
	s_delay_alu instid0(VALU_DEP_1) | instskip(NEXT) | instid1(VALU_DEP_1)
	v_and_b32_e32 v24, s58, v24
	v_lshl_or_b32 v24, v24, 4, v84
	ds_add_u32 v24, v7
	s_branch .LBB289_15
.LBB289_72:                             ;   in Loop: Header=BB289_16 Depth=2
	global_load_u8 v39, v[24:25], off
	s_wait_xcnt 0x0
	s_or_b32 exec_lo, exec_lo, s10
	s_delay_alu instid0(SALU_CYCLE_1)
	s_mov_b32 s10, exec_lo
	v_cmpx_gt_u32_e64 s8, v67
	s_cbranch_execz .LBB289_21
.LBB289_73:                             ;   in Loop: Header=BB289_16 Depth=2
	global_load_u8 v42, v[24:25], off offset:256
	s_wait_xcnt 0x0
	s_or_b32 exec_lo, exec_lo, s10
	s_delay_alu instid0(SALU_CYCLE_1)
	s_mov_b32 s10, exec_lo
	v_cmpx_gt_u32_e64 s8, v68
	s_cbranch_execz .LBB289_22
.LBB289_74:                             ;   in Loop: Header=BB289_16 Depth=2
	global_load_u8 v41, v[24:25], off offset:512
	s_wait_xcnt 0x0
	s_or_b32 exec_lo, exec_lo, s10
	s_delay_alu instid0(SALU_CYCLE_1)
	s_mov_b32 s10, exec_lo
	v_cmpx_gt_u32_e64 s8, v69
	s_cbranch_execz .LBB289_23
.LBB289_75:                             ;   in Loop: Header=BB289_16 Depth=2
	global_load_u8 v40, v[24:25], off offset:768
	s_wait_xcnt 0x0
	s_or_b32 exec_lo, exec_lo, s10
	s_delay_alu instid0(SALU_CYCLE_1)
	s_mov_b32 s10, exec_lo
	v_cmpx_gt_u32_e64 s8, v70
	s_cbranch_execz .LBB289_24
.LBB289_76:                             ;   in Loop: Header=BB289_16 Depth=2
	global_load_u8 v38, v[24:25], off offset:1024
	s_wait_xcnt 0x0
	s_or_b32 exec_lo, exec_lo, s10
	s_delay_alu instid0(SALU_CYCLE_1)
	s_mov_b32 s10, exec_lo
	v_cmpx_gt_u32_e64 s8, v71
	s_cbranch_execz .LBB289_25
.LBB289_77:                             ;   in Loop: Header=BB289_16 Depth=2
	global_load_u8 v37, v[24:25], off offset:1280
	s_wait_xcnt 0x0
	s_or_b32 exec_lo, exec_lo, s10
	s_delay_alu instid0(SALU_CYCLE_1)
	s_mov_b32 s10, exec_lo
	v_cmpx_gt_u32_e64 s8, v72
	s_cbranch_execz .LBB289_26
.LBB289_78:                             ;   in Loop: Header=BB289_16 Depth=2
	global_load_u8 v36, v[24:25], off offset:1536
	s_wait_xcnt 0x0
	s_or_b32 exec_lo, exec_lo, s10
	s_delay_alu instid0(SALU_CYCLE_1)
	s_mov_b32 s10, exec_lo
	v_cmpx_gt_u32_e64 s8, v73
	s_cbranch_execz .LBB289_27
.LBB289_79:                             ;   in Loop: Header=BB289_16 Depth=2
	global_load_u8 v35, v[24:25], off offset:1792
	s_wait_xcnt 0x0
	s_or_b32 exec_lo, exec_lo, s10
	s_delay_alu instid0(SALU_CYCLE_1)
	s_mov_b32 s10, exec_lo
	v_cmpx_gt_u32_e64 s8, v74
	s_cbranch_execz .LBB289_28
.LBB289_80:                             ;   in Loop: Header=BB289_16 Depth=2
	global_load_u8 v34, v[24:25], off offset:2048
	s_wait_xcnt 0x0
	s_or_b32 exec_lo, exec_lo, s10
	s_delay_alu instid0(SALU_CYCLE_1)
	s_mov_b32 s10, exec_lo
	v_cmpx_gt_u32_e64 s8, v75
	s_cbranch_execz .LBB289_29
.LBB289_81:                             ;   in Loop: Header=BB289_16 Depth=2
	global_load_u8 v33, v[24:25], off offset:2304
	s_wait_xcnt 0x0
	s_or_b32 exec_lo, exec_lo, s10
	s_delay_alu instid0(SALU_CYCLE_1)
	s_mov_b32 s10, exec_lo
	v_cmpx_gt_u32_e64 s8, v76
	s_cbranch_execz .LBB289_30
.LBB289_82:                             ;   in Loop: Header=BB289_16 Depth=2
	global_load_u8 v32, v[24:25], off offset:2560
	s_wait_xcnt 0x0
	s_or_b32 exec_lo, exec_lo, s10
	s_delay_alu instid0(SALU_CYCLE_1)
	s_mov_b32 s10, exec_lo
	v_cmpx_gt_u32_e64 s8, v77
	s_cbranch_execz .LBB289_31
.LBB289_83:                             ;   in Loop: Header=BB289_16 Depth=2
	global_load_u8 v31, v[24:25], off offset:2816
	s_wait_xcnt 0x0
	s_or_b32 exec_lo, exec_lo, s10
	s_delay_alu instid0(SALU_CYCLE_1)
	s_mov_b32 s10, exec_lo
	v_cmpx_gt_u32_e64 s8, v78
	s_cbranch_execz .LBB289_32
.LBB289_84:                             ;   in Loop: Header=BB289_16 Depth=2
	global_load_u8 v30, v[24:25], off offset:3072
	s_wait_xcnt 0x0
	s_or_b32 exec_lo, exec_lo, s10
	s_delay_alu instid0(SALU_CYCLE_1)
	s_mov_b32 s10, exec_lo
	v_cmpx_gt_u32_e64 s8, v79
	s_cbranch_execz .LBB289_33
.LBB289_85:                             ;   in Loop: Header=BB289_16 Depth=2
	global_load_u8 v29, v[24:25], off offset:3328
	s_wait_xcnt 0x0
	s_or_b32 exec_lo, exec_lo, s10
	s_delay_alu instid0(SALU_CYCLE_1)
	s_mov_b32 s10, exec_lo
	v_cmpx_gt_u32_e64 s8, v80
	s_cbranch_execz .LBB289_34
.LBB289_86:                             ;   in Loop: Header=BB289_16 Depth=2
	global_load_u8 v28, v[24:25], off offset:3584
	s_wait_xcnt 0x0
	s_or_b32 exec_lo, exec_lo, s10
	s_delay_alu instid0(SALU_CYCLE_1)
	s_mov_b32 s10, exec_lo
	v_cmpx_gt_u32_e64 s8, v81
	s_cbranch_execz .LBB289_35
.LBB289_87:                             ;   in Loop: Header=BB289_16 Depth=2
	global_load_u8 v27, v[24:25], off offset:3840
	s_wait_xcnt 0x0
	s_or_b32 exec_lo, exec_lo, s10
	s_delay_alu instid0(SALU_CYCLE_1)
	s_mov_b32 s10, exec_lo
	v_cmpx_gt_u32_e64 s8, v82
	s_cbranch_execnz .LBB289_36
	s_branch .LBB289_37
.LBB289_88:                             ;   in Loop: Header=BB289_12 Depth=1
	v_mov_b32_e32 v24, 0
	s_wait_dscnt 0x0
	s_barrier_signal -1
	s_barrier_wait -1
	s_and_saveexec_b32 s8, s0
	s_cbranch_execz .LBB289_90
; %bb.89:                               ;   in Loop: Header=BB289_12 Depth=1
	ds_load_2addr_b64 v[24:27], v85 offset1:1
	s_wait_dscnt 0x0
	v_add_nc_u32_e32 v24, v25, v24
	s_delay_alu instid0(VALU_DEP_1)
	v_add3_u32 v24, v24, v26, v27
.LBB289_90:                             ;   in Loop: Header=BB289_12 Depth=1
	s_or_b32 exec_lo, exec_lo, s8
	v_and_b32_e32 v25, 15, v0
	s_delay_alu instid0(VALU_DEP_2) | instskip(SKIP_1) | instid1(VALU_DEP_3)
	v_mov_b32_dpp v26, v24 row_shr:1 row_mask:0xf bank_mask:0xf
	v_and_b32_e32 v27, 16, v0
	v_cmp_eq_u32_e64 s8, 0, v25
	v_cmp_lt_u32_e64 s9, 1, v25
	s_delay_alu instid0(VALU_DEP_3) | instskip(NEXT) | instid1(VALU_DEP_3)
	v_cmp_eq_u32_e64 s12, 0, v27
	v_cndmask_b32_e64 v26, v26, 0, s8
	s_delay_alu instid0(VALU_DEP_1) | instskip(NEXT) | instid1(VALU_DEP_1)
	v_add_nc_u32_e32 v24, v26, v24
	v_mov_b32_dpp v26, v24 row_shr:2 row_mask:0xf bank_mask:0xf
	s_delay_alu instid0(VALU_DEP_1) | instskip(SKIP_2) | instid1(VALU_DEP_3)
	v_cndmask_b32_e64 v26, 0, v26, s9
	v_cmp_lt_u32_e64 s11, 7, v25
	v_cmp_lt_u32_e64 s10, 3, v25
	v_add_nc_u32_e32 v24, v24, v26
	s_delay_alu instid0(VALU_DEP_1) | instskip(NEXT) | instid1(VALU_DEP_1)
	v_mov_b32_dpp v26, v24 row_shr:4 row_mask:0xf bank_mask:0xf
	v_cndmask_b32_e64 v26, 0, v26, s10
	s_delay_alu instid0(VALU_DEP_1) | instskip(NEXT) | instid1(VALU_DEP_1)
	v_add_nc_u32_e32 v24, v24, v26
	v_mov_b32_dpp v26, v24 row_shr:8 row_mask:0xf bank_mask:0xf
	s_delay_alu instid0(VALU_DEP_1) | instskip(SKIP_1) | instid1(VALU_DEP_2)
	v_cndmask_b32_e64 v25, 0, v26, s11
	v_bfe_i32 v26, v0, 4, 1
	v_add_nc_u32_e32 v24, v24, v25
	ds_swizzle_b32 v25, v24 offset:swizzle(BROADCAST,32,15)
	s_wait_dscnt 0x0
	v_and_b32_e32 v25, v26, v25
	s_delay_alu instid0(VALU_DEP_1)
	v_add_nc_u32_e32 v24, v24, v25
	s_and_saveexec_b32 s13, s1
; %bb.91:                               ;   in Loop: Header=BB289_12 Depth=1
	ds_store_b32 v86, v24
; %bb.92:                               ;   in Loop: Header=BB289_12 Depth=1
	s_or_b32 exec_lo, exec_lo, s13
	s_wait_dscnt 0x0
	s_barrier_signal -1
	s_barrier_wait -1
	s_and_saveexec_b32 s13, s4
	s_cbranch_execz .LBB289_94
; %bb.93:                               ;   in Loop: Header=BB289_12 Depth=1
	ds_load_b32 v25, v87
	s_wait_dscnt 0x0
	v_mov_b32_dpp v27, v25 row_shr:1 row_mask:0xf bank_mask:0xf
	v_and_b32_e32 v26, 3, v0
	s_delay_alu instid0(VALU_DEP_1) | instskip(NEXT) | instid1(VALU_DEP_3)
	v_cmp_ne_u32_e32 vcc_lo, 0, v26
	v_cndmask_b32_e32 v27, 0, v27, vcc_lo
	v_cmp_lt_u32_e32 vcc_lo, 1, v26
	s_delay_alu instid0(VALU_DEP_2) | instskip(NEXT) | instid1(VALU_DEP_1)
	v_add_nc_u32_e32 v25, v27, v25
	v_mov_b32_dpp v27, v25 row_shr:2 row_mask:0xf bank_mask:0xf
	s_delay_alu instid0(VALU_DEP_1) | instskip(NEXT) | instid1(VALU_DEP_1)
	v_cndmask_b32_e32 v26, 0, v27, vcc_lo
	v_add_nc_u32_e32 v25, v25, v26
	ds_store_b32 v87, v25
.LBB289_94:                             ;   in Loop: Header=BB289_12 Depth=1
	s_or_b32 exec_lo, exec_lo, s13
	v_mov_b32_e32 v25, 0
	s_wait_dscnt 0x0
	s_barrier_signal -1
	s_barrier_wait -1
	s_and_saveexec_b32 s13, s5
; %bb.95:                               ;   in Loop: Header=BB289_12 Depth=1
	ds_load_b32 v25, v88
; %bb.96:                               ;   in Loop: Header=BB289_12 Depth=1
	s_or_b32 exec_lo, exec_lo, s13
	v_sub_co_u32 v26, s13, v0, 1
	s_wait_dscnt 0x0
	s_barrier_signal -1
	s_barrier_wait -1
	s_delay_alu instid0(VALU_DEP_1) | instskip(SKIP_1) | instid1(VALU_DEP_1)
	v_cmp_gt_i32_e32 vcc_lo, 0, v26
	v_cndmask_b32_e32 v26, v26, v0, vcc_lo
	v_dual_add_nc_u32 v24, v25, v24 :: v_dual_lshlrev_b32 v96, 2, v26
	ds_bpermute_b32 v24, v96, v24
	s_and_saveexec_b32 s14, s0
	s_cbranch_execz .LBB289_98
; %bb.97:                               ;   in Loop: Header=BB289_12 Depth=1
	s_wait_dscnt 0x0
	v_cndmask_b32_e64 v24, v24, v25, s13
	s_delay_alu instid0(VALU_DEP_1)
	v_add_nc_u32_e32 v24, s55, v24
	ds_store_b32 v66, v24
.LBB289_98:                             ;   in Loop: Header=BB289_12 Depth=1
	s_or_b32 exec_lo, exec_lo, s14
	s_clause 0x1
	s_load_b32 s14, s[52:53], 0x4
	s_load_b32 s17, s[52:53], 0xc
	v_dual_lshlrev_b32 v26, 3, v0 :: v_dual_bitop2_b32 v28, 7, v0 bitop3:0x40
	v_dual_mov_b32 v27, v1 :: v_dual_bitop2_b32 v97, v0, v6 bitop3:0x54
	s_wait_dscnt 0x0
	v_add_nc_u64_e32 v[24:25], v[10:11], v[0:1]
	s_delay_alu instid0(VALU_DEP_3)
	v_cmp_lt_u32_e64 s16, 3, v28
	v_mov_b32_e32 v115, 0
	v_add_nc_u64_e32 v[26:27], v[8:9], v[26:27]
	v_dual_add_nc_u32 v98, 32, v97 :: v_dual_add_nc_u32 v99, 64, v97
	v_add_nc_u32_e32 v100, 0x60, v97
	v_add_nc_u32_e32 v101, 0x80, v97
	;; [unrolled: 1-line block ×8, first 2 shown]
	s_wait_kmcnt 0x0
	s_cmp_lt_u32 s42, s14
	v_add_nc_u32_e32 v108, 0x160, v97
	s_cselect_b32 s34, 14, 20
	s_and_b32 s17, s17, 0xffff
	s_add_nc_u64 s[14:15], s[52:53], s[34:35]
	v_add_nc_u32_e32 v109, 0x180, v97
	s_load_u16 s18, s[14:15], 0x0
	s_wait_xcnt 0x0
	v_cmp_eq_u32_e64 s14, 0, v28
	v_cmp_lt_u32_e64 s15, 1, v28
	v_add_nc_u32_e32 v110, 0x1a0, v97
	v_add_nc_u32_e32 v111, 0x1c0, v97
	;; [unrolled: 1-line block ×4, first 2 shown]
	s_mov_b32 s59, s57
	s_mov_b32 s34, s55
                                        ; implicit-def: $vgpr30_vgpr31
                                        ; implicit-def: $vgpr32_vgpr33
                                        ; implicit-def: $vgpr34_vgpr35
                                        ; implicit-def: $vgpr36_vgpr37
                                        ; implicit-def: $vgpr38_vgpr39
                                        ; implicit-def: $vgpr40_vgpr41
                                        ; implicit-def: $vgpr42_vgpr43
                                        ; implicit-def: $vgpr44_vgpr45
                                        ; implicit-def: $vgpr46_vgpr47
                                        ; implicit-def: $vgpr48_vgpr49
                                        ; implicit-def: $vgpr50_vgpr51
                                        ; implicit-def: $vgpr52_vgpr53
                                        ; implicit-def: $vgpr54_vgpr55
                                        ; implicit-def: $vgpr56_vgpr57
                                        ; implicit-def: $vgpr58_vgpr59
                                        ; implicit-def: $vgpr60_vgpr61
                                        ; implicit-def: $vgpr116
                                        ; implicit-def: $vgpr117
                                        ; implicit-def: $vgpr118
                                        ; implicit-def: $vgpr119
                                        ; implicit-def: $vgpr120
                                        ; implicit-def: $vgpr121
                                        ; implicit-def: $vgpr122
                                        ; implicit-def: $vgpr123
                                        ; implicit-def: $vgpr124
                                        ; implicit-def: $vgpr125
                                        ; implicit-def: $vgpr126
                                        ; implicit-def: $vgpr127
                                        ; implicit-def: $vgpr128
                                        ; implicit-def: $vgpr129
                                        ; implicit-def: $vgpr130
                                        ; implicit-def: $vgpr131
                                        ; implicit-def: $vgpr132
                                        ; implicit-def: $vgpr133
                                        ; implicit-def: $vgpr134
	s_wait_kmcnt 0x0
	v_mad_u32_u24 v28, v89, s18, v91
	s_delay_alu instid0(VALU_DEP_1) | instskip(NEXT) | instid1(VALU_DEP_1)
	v_mad_u32 v28, v28, s17, v2
	v_lshrrev_b32_e32 v28, 3, v28
	s_delay_alu instid0(VALU_DEP_1)
	v_and_b32_e32 v114, 0x1ffffffc, v28
                                        ; implicit-def: $vgpr28_vgpr29
	s_branch .LBB289_100
.LBB289_99:                             ;   in Loop: Header=BB289_100 Depth=2
	s_or_b32 exec_lo, exec_lo, s17
	s_addk_co_i32 s59, 0xef00
	s_cmp_lt_u32 s60, s54
	s_mov_b32 s34, s60
	s_cbranch_scc0 .LBB289_322
.LBB289_100:                            ;   Parent Loop BB289_12 Depth=1
                                        ; =>  This Inner Loop Header: Depth=2
	s_add_co_i32 s60, s34, 0x1100
	s_delay_alu instid0(SALU_CYCLE_1)
	s_cmp_gt_u32 s60, s54
	s_cbranch_scc1 .LBB289_102
; %bb.101:                              ;   in Loop: Header=BB289_100 Depth=2
	v_add_nc_u64_e32 v[62:63], s[34:35], v[24:25]
	s_mov_b32 s17, -1
	s_clause 0xf
	global_load_u8 v135, v[62:63], off offset:480
	global_load_u8 v65, v[62:63], off offset:448
	global_load_u8 v136, v[62:63], off offset:416
	global_load_u8 v64, v[62:63], off offset:384
	global_load_u8 v140, v[62:63], off offset:352
	global_load_u8 v139, v[62:63], off offset:320
	global_load_u8 v141, v[62:63], off offset:288
	global_load_u8 v138, v[62:63], off offset:256
	global_load_u8 v144, v[62:63], off offset:224
	global_load_u8 v143, v[62:63], off offset:192
	global_load_u8 v145, v[62:63], off offset:160
	global_load_u8 v142, v[62:63], off offset:128
	global_load_u8 v151, v[62:63], off offset:96
	global_load_u8 v148, v[62:63], off offset:64
	global_load_u8 v150, v[62:63], off offset:32
	global_load_u8 v147, v[62:63], off
	s_movk_i32 s18, 0x1100
	s_cbranch_execz .LBB289_103
	s_branch .LBB289_121
.LBB289_102:                            ;   in Loop: Header=BB289_100 Depth=2
	s_mov_b32 s17, 0
                                        ; implicit-def: $vgpr147
                                        ; implicit-def: $vgpr150
                                        ; implicit-def: $vgpr148
                                        ; implicit-def: $vgpr151
                                        ; implicit-def: $vgpr142
                                        ; implicit-def: $vgpr145
                                        ; implicit-def: $vgpr143
                                        ; implicit-def: $vgpr144
                                        ; implicit-def: $vgpr138
                                        ; implicit-def: $vgpr141
                                        ; implicit-def: $vgpr139
                                        ; implicit-def: $vgpr140
                                        ; implicit-def: $vgpr64
                                        ; implicit-def: $vgpr136
                                        ; implicit-def: $vgpr65
                                        ; implicit-def: $vgpr135
                                        ; implicit-def: $vgpr115
	s_movk_i32 s18, 0x1100
.LBB289_103:                            ;   in Loop: Header=BB289_100 Depth=2
	s_wait_xcnt 0x0
	v_add_nc_u64_e32 v[62:63], s[34:35], v[24:25]
	s_wait_loadcnt 0x1
	v_dual_mov_b32 v115, 0x80 :: v_dual_mov_b32 v150, 0x80
	s_wait_loadcnt 0x0
	v_dual_mov_b32 v147, 0x80 :: v_dual_mov_b32 v148, 0x80
	v_dual_mov_b32 v151, 0x80 :: v_dual_mov_b32 v142, 0x80
	;; [unrolled: 1-line block ×7, first 2 shown]
	v_mov_b32_e32 v135, 0x80
	s_mov_b32 s17, exec_lo
	v_cmpx_gt_u32_e64 s59, v97
	s_cbranch_execnz .LBB289_307
; %bb.104:                              ;   in Loop: Header=BB289_100 Depth=2
	s_or_b32 exec_lo, exec_lo, s17
	s_delay_alu instid0(SALU_CYCLE_1)
	s_mov_b32 s17, exec_lo
	v_cmpx_gt_u32_e64 s59, v98
	s_cbranch_execnz .LBB289_308
.LBB289_105:                            ;   in Loop: Header=BB289_100 Depth=2
	s_or_b32 exec_lo, exec_lo, s17
	s_delay_alu instid0(SALU_CYCLE_1)
	s_mov_b32 s17, exec_lo
	v_cmpx_gt_u32_e64 s59, v99
	s_cbranch_execnz .LBB289_309
.LBB289_106:                            ;   in Loop: Header=BB289_100 Depth=2
	s_or_b32 exec_lo, exec_lo, s17
	s_delay_alu instid0(SALU_CYCLE_1)
	s_mov_b32 s17, exec_lo
	v_cmpx_gt_u32_e64 s59, v100
	s_cbranch_execnz .LBB289_310
.LBB289_107:                            ;   in Loop: Header=BB289_100 Depth=2
	s_or_b32 exec_lo, exec_lo, s17
	s_delay_alu instid0(SALU_CYCLE_1)
	s_mov_b32 s17, exec_lo
	v_cmpx_gt_u32_e64 s59, v101
	s_cbranch_execnz .LBB289_311
.LBB289_108:                            ;   in Loop: Header=BB289_100 Depth=2
	s_or_b32 exec_lo, exec_lo, s17
	s_delay_alu instid0(SALU_CYCLE_1)
	s_mov_b32 s17, exec_lo
	v_cmpx_gt_u32_e64 s59, v102
	s_cbranch_execnz .LBB289_312
.LBB289_109:                            ;   in Loop: Header=BB289_100 Depth=2
	s_or_b32 exec_lo, exec_lo, s17
	s_delay_alu instid0(SALU_CYCLE_1)
	s_mov_b32 s17, exec_lo
	v_cmpx_gt_u32_e64 s59, v103
	s_cbranch_execnz .LBB289_313
.LBB289_110:                            ;   in Loop: Header=BB289_100 Depth=2
	s_or_b32 exec_lo, exec_lo, s17
	s_delay_alu instid0(SALU_CYCLE_1)
	s_mov_b32 s17, exec_lo
	v_cmpx_gt_u32_e64 s59, v104
	s_cbranch_execnz .LBB289_314
.LBB289_111:                            ;   in Loop: Header=BB289_100 Depth=2
	s_or_b32 exec_lo, exec_lo, s17
	s_delay_alu instid0(SALU_CYCLE_1)
	s_mov_b32 s17, exec_lo
	v_cmpx_gt_u32_e64 s59, v105
	s_cbranch_execnz .LBB289_315
.LBB289_112:                            ;   in Loop: Header=BB289_100 Depth=2
	s_or_b32 exec_lo, exec_lo, s17
	s_delay_alu instid0(SALU_CYCLE_1)
	s_mov_b32 s17, exec_lo
	v_cmpx_gt_u32_e64 s59, v106
	s_cbranch_execnz .LBB289_316
.LBB289_113:                            ;   in Loop: Header=BB289_100 Depth=2
	s_or_b32 exec_lo, exec_lo, s17
	s_delay_alu instid0(SALU_CYCLE_1)
	s_mov_b32 s17, exec_lo
	v_cmpx_gt_u32_e64 s59, v107
	s_cbranch_execnz .LBB289_317
.LBB289_114:                            ;   in Loop: Header=BB289_100 Depth=2
	s_or_b32 exec_lo, exec_lo, s17
	s_delay_alu instid0(SALU_CYCLE_1)
	s_mov_b32 s17, exec_lo
	v_cmpx_gt_u32_e64 s59, v108
	s_cbranch_execnz .LBB289_318
.LBB289_115:                            ;   in Loop: Header=BB289_100 Depth=2
	s_or_b32 exec_lo, exec_lo, s17
	s_delay_alu instid0(SALU_CYCLE_1)
	s_mov_b32 s17, exec_lo
	v_cmpx_gt_u32_e64 s59, v109
	s_cbranch_execnz .LBB289_319
.LBB289_116:                            ;   in Loop: Header=BB289_100 Depth=2
	s_or_b32 exec_lo, exec_lo, s17
	s_delay_alu instid0(SALU_CYCLE_1)
	s_mov_b32 s17, exec_lo
	v_cmpx_gt_u32_e64 s59, v110
	s_cbranch_execnz .LBB289_320
.LBB289_117:                            ;   in Loop: Header=BB289_100 Depth=2
	s_or_b32 exec_lo, exec_lo, s17
	s_delay_alu instid0(SALU_CYCLE_1)
	s_mov_b32 s17, exec_lo
	v_cmpx_gt_u32_e64 s59, v111
	s_cbranch_execnz .LBB289_321
.LBB289_118:                            ;   in Loop: Header=BB289_100 Depth=2
	s_or_b32 exec_lo, exec_lo, s17
	s_delay_alu instid0(SALU_CYCLE_1)
	s_mov_b32 s17, exec_lo
	v_cmpx_gt_u32_e64 s59, v112
	s_cbranch_execz .LBB289_120
.LBB289_119:                            ;   in Loop: Header=BB289_100 Depth=2
	global_load_u8 v135, v[62:63], off offset:480
.LBB289_120:                            ;   in Loop: Header=BB289_100 Depth=2
	s_wait_xcnt 0x0
	s_or_b32 exec_lo, exec_lo, s17
	v_cmp_gt_u32_e64 s17, s59, v113
	s_sub_co_i32 s18, s54, s34
.LBB289_121:                            ;   in Loop: Header=BB289_100 Depth=2
	v_mov_b32_e32 v137, s59
	s_wait_xcnt 0x0
	s_and_saveexec_b32 s19, s17
	s_cbranch_execz .LBB289_123
; %bb.122:                              ;   in Loop: Header=BB289_100 Depth=2
	v_add_nc_u64_e32 v[62:63], s[34:35], v[24:25]
	v_mov_b32_e32 v137, s18
	global_load_u8 v115, v[62:63], off offset:512
.LBB289_123:                            ;   in Loop: Header=BB289_100 Depth=2
	s_wait_xcnt 0x0
	s_or_b32 exec_lo, exec_lo, s19
	s_wait_loadcnt 0x0
	v_bitop3_b16 v62, v147, s43, 0x7f bitop3:0x48
	ds_store_2addr_b32 v90, v1, v1 offset0:136 offset1:137
	ds_store_2addr_b32 v90, v1, v1 offset0:138 offset1:139
	ds_store_b32 v90, v1 offset:560
	s_wait_dscnt 0x0
	s_barrier_signal -1
	s_barrier_wait -1
	v_and_b32_e32 v62, 0xffff, v62
	; wave barrier
	s_delay_alu instid0(VALU_DEP_1) | instskip(NEXT) | instid1(VALU_DEP_1)
	v_lshrrev_b32_e32 v62, s48, v62
	v_and_b32_e32 v149, s58, v62
	s_delay_alu instid0(VALU_DEP_1) | instskip(SKIP_1) | instid1(VALU_DEP_1)
	v_lshlrev_b32_e32 v146, 30, v149
	v_bitop3_b32 v63, v62, 1, s58 bitop3:0x80
	v_add_co_u32 v62, s17, v63, -1
	s_delay_alu instid0(VALU_DEP_1) | instskip(NEXT) | instid1(VALU_DEP_4)
	v_cndmask_b32_e64 v63, 0, 1, s17
	v_cmp_gt_i32_e64 s17, 0, v146
	s_delay_alu instid0(VALU_DEP_2) | instskip(SKIP_2) | instid1(VALU_DEP_2)
	v_cmp_ne_u32_e32 vcc_lo, 0, v63
	v_not_b32_e32 v63, v146
	v_bitop3_b32 v62, vcc_lo, exec_lo, v62 bitop3:0x48
	v_dual_ashrrev_i32 v63, 31, v63 :: v_dual_lshlrev_b32 v152, 29, v149
	v_dual_lshlrev_b32 v153, 28, v149 :: v_dual_lshlrev_b32 v154, 27, v149
	v_lshlrev_b32_e32 v155, 26, v149
	s_delay_alu instid0(VALU_DEP_3)
	v_not_b32_e32 v146, v152
	v_lshlrev_b32_e32 v156, 25, v149
	v_cmp_gt_i32_e64 s18, 0, v152
	v_cmp_gt_i32_e64 s19, 0, v153
	v_not_b32_e32 v152, v153
	v_not_b32_e32 v153, v154
	v_ashrrev_i32_e32 v146, 31, v146
	v_cmp_gt_i32_e64 s20, 0, v154
	v_cmp_gt_i32_e64 s21, 0, v155
	v_not_b32_e32 v154, v155
	v_not_b32_e32 v155, v156
	v_dual_ashrrev_i32 v152, 31, v152 :: v_dual_ashrrev_i32 v153, 31, v153
	s_delay_alu instid0(VALU_DEP_3) | instskip(NEXT) | instid1(VALU_DEP_3)
	v_dual_ashrrev_i32 v154, 31, v154 :: v_dual_bitop2_b32 v63, s17, v63 bitop3:0x14
	v_dual_ashrrev_i32 v155, 31, v155 :: v_dual_bitop2_b32 v146, s18, v146 bitop3:0x14
	v_cmp_gt_i32_e64 s22, 0, v156
	s_delay_alu instid0(VALU_DEP_4) | instskip(SKIP_1) | instid1(VALU_DEP_4)
	v_xor_b32_e32 v152, s19, v152
	v_xor_b32_e32 v153, s20, v153
	v_bitop3_b32 v62, v62, v146, v63 bitop3:0x80
	v_xor_b32_e32 v63, s21, v154
	v_xor_b32_e32 v146, s22, v155
	s_delay_alu instid0(VALU_DEP_3) | instskip(NEXT) | instid1(VALU_DEP_1)
	v_bitop3_b32 v62, v62, v153, v152 bitop3:0x80
	v_bitop3_b32 v62, v62, v146, v63 bitop3:0x80
	v_mul_u32_u24_e32 v63, 36, v149
	s_delay_alu instid0(VALU_DEP_2) | instskip(SKIP_1) | instid1(VALU_DEP_3)
	v_mbcnt_lo_u32_b32 v146, v62, 0
	v_cmp_ne_u32_e64 s17, 0, v62
	v_add_nc_u32_e32 v149, v114, v63
	s_delay_alu instid0(VALU_DEP_3) | instskip(SKIP_1) | instid1(SALU_CYCLE_1)
	v_cmp_eq_u32_e32 vcc_lo, 0, v146
	s_and_b32 s18, s17, vcc_lo
	s_and_saveexec_b32 s17, s18
; %bb.124:                              ;   in Loop: Header=BB289_100 Depth=2
	v_bcnt_u32_b32 v62, v62, 0
	ds_store_b32 v149, v62 offset:544
; %bb.125:                              ;   in Loop: Header=BB289_100 Depth=2
	s_or_b32 exec_lo, exec_lo, s17
	v_xor_b32_e32 v62, 0x7f, v150
	v_xor_b32_e32 v63, 0x7f, v151
	;; [unrolled: 1-line block ×4, first 2 shown]
	s_delay_alu instid0(VALU_DEP_4) | instskip(NEXT) | instid1(VALU_DEP_4)
	v_lshlrev_b16 v62, 8, v62
	v_lshlrev_b16 v63, 8, v63
	; wave barrier
	s_delay_alu instid0(VALU_DEP_2) | instskip(NEXT) | instid1(VALU_DEP_2)
	v_bitop3_b16 v147, v147, v62, 0xff bitop3:0xec
	v_bitop3_b16 v62, v148, v63, 0xff bitop3:0xec
	s_delay_alu instid0(VALU_DEP_2) | instskip(NEXT) | instid1(VALU_DEP_2)
	v_and_b32_e32 v63, 0xffff, v147
	v_lshlrev_b32_e32 v62, 16, v62
	s_delay_alu instid0(VALU_DEP_1) | instskip(NEXT) | instid1(VALU_DEP_1)
	v_or_b32_e32 v148, v63, v62
	v_bfe_u32 v62, v148, 8, 8
	s_delay_alu instid0(VALU_DEP_1) | instskip(NEXT) | instid1(VALU_DEP_1)
	v_lshrrev_b32_e32 v62, s48, v62
	v_bitop3_b32 v63, v62, 1, s58 bitop3:0x80
	v_and_b32_e32 v152, s58, v62
	s_delay_alu instid0(VALU_DEP_2) | instskip(NEXT) | instid1(VALU_DEP_1)
	v_add_co_u32 v62, s17, v63, -1
	v_cndmask_b32_e64 v63, 0, 1, s17
	s_delay_alu instid0(VALU_DEP_3) | instskip(NEXT) | instid1(VALU_DEP_2)
	v_lshlrev_b32_e32 v150, 30, v152
	v_cmp_ne_u32_e32 vcc_lo, 0, v63
	s_delay_alu instid0(VALU_DEP_2) | instskip(SKIP_2) | instid1(VALU_DEP_3)
	v_not_b32_e32 v63, v150
	v_cmp_gt_i32_e64 s17, 0, v150
	v_bitop3_b32 v62, vcc_lo, exec_lo, v62 bitop3:0x48
	v_dual_ashrrev_i32 v63, 31, v63 :: v_dual_lshlrev_b32 v151, 29, v152
	v_dual_lshlrev_b32 v153, 28, v152 :: v_dual_lshlrev_b32 v154, 27, v152
	v_lshlrev_b32_e32 v155, 26, v152
	s_delay_alu instid0(VALU_DEP_3)
	v_not_b32_e32 v150, v151
	v_lshlrev_b32_e32 v156, 25, v152
	v_cmp_gt_i32_e64 s18, 0, v151
	v_cmp_gt_i32_e64 s19, 0, v153
	v_not_b32_e32 v151, v153
	v_ashrrev_i32_e32 v150, 31, v150
	v_cmp_gt_i32_e64 s20, 0, v154
	v_not_b32_e32 v153, v154
	v_cmp_gt_i32_e64 s21, 0, v155
	v_not_b32_e32 v154, v155
	v_not_b32_e32 v155, v156
	v_xor_b32_e32 v63, s17, v63
	v_dual_ashrrev_i32 v151, 31, v151 :: v_dual_bitop2_b32 v150, s18, v150 bitop3:0x14
	s_delay_alu instid0(VALU_DEP_4) | instskip(NEXT) | instid1(VALU_DEP_4)
	v_dual_ashrrev_i32 v153, 31, v153 :: v_dual_ashrrev_i32 v154, 31, v154
	v_ashrrev_i32_e32 v155, 31, v155
	s_delay_alu instid0(VALU_DEP_3)
	v_bitop3_b32 v62, v62, v150, v63 bitop3:0x80
	v_mad_u32_u24 v63, v152, 36, v114
	v_cmp_gt_i32_e64 s22, 0, v156
	v_xor_b32_e32 v151, s19, v151
	v_xor_b32_e32 v154, s21, v154
	ds_load_b32 v150, v63 offset:544
	v_mul_u32_u24_e32 v63, 36, v152
	v_xor_b32_e32 v153, s20, v153
	v_xor_b32_e32 v155, s22, v155
	; wave barrier
	s_delay_alu instid0(VALU_DEP_3) | instskip(NEXT) | instid1(VALU_DEP_3)
	v_add_nc_u32_e32 v152, v114, v63
	v_bitop3_b32 v62, v62, v153, v151 bitop3:0x80
	s_delay_alu instid0(VALU_DEP_1) | instskip(NEXT) | instid1(VALU_DEP_1)
	v_bitop3_b32 v62, v62, v155, v154 bitop3:0x80
	v_mbcnt_lo_u32_b32 v151, v62, 0
	v_cmp_ne_u32_e64 s17, 0, v62
	s_delay_alu instid0(VALU_DEP_2) | instskip(SKIP_1) | instid1(SALU_CYCLE_1)
	v_cmp_eq_u32_e32 vcc_lo, 0, v151
	s_and_b32 s18, s17, vcc_lo
	s_and_saveexec_b32 s17, s18
	s_cbranch_execz .LBB289_127
; %bb.126:                              ;   in Loop: Header=BB289_100 Depth=2
	s_wait_dscnt 0x0
	v_bcnt_u32_b32 v62, v62, v150
	ds_store_b32 v152, v62 offset:544
.LBB289_127:                            ;   in Loop: Header=BB289_100 Depth=2
	s_or_b32 exec_lo, exec_lo, s17
	v_bfe_u32 v62, v148, 16, 8
	; wave barrier
	s_delay_alu instid0(VALU_DEP_1) | instskip(NEXT) | instid1(VALU_DEP_1)
	v_lshrrev_b32_e32 v62, s48, v62
	v_and_b32_e32 v155, s58, v62
	s_delay_alu instid0(VALU_DEP_1) | instskip(SKIP_1) | instid1(VALU_DEP_1)
	v_lshlrev_b32_e32 v153, 30, v155
	v_bitop3_b32 v63, v62, 1, s58 bitop3:0x80
	v_add_co_u32 v62, s17, v63, -1
	s_delay_alu instid0(VALU_DEP_1) | instskip(NEXT) | instid1(VALU_DEP_4)
	v_cndmask_b32_e64 v63, 0, 1, s17
	v_cmp_gt_i32_e64 s17, 0, v153
	s_delay_alu instid0(VALU_DEP_2) | instskip(SKIP_2) | instid1(VALU_DEP_2)
	v_cmp_ne_u32_e32 vcc_lo, 0, v63
	v_not_b32_e32 v63, v153
	v_bitop3_b32 v62, vcc_lo, exec_lo, v62 bitop3:0x48
	v_ashrrev_i32_e32 v63, 31, v63
	v_dual_lshlrev_b32 v154, 29, v155 :: v_dual_lshlrev_b32 v156, 28, v155
	v_dual_lshlrev_b32 v157, 27, v155 :: v_dual_lshlrev_b32 v158, 26, v155
	s_delay_alu instid0(VALU_DEP_2)
	v_not_b32_e32 v153, v154
	v_lshlrev_b32_e32 v159, 25, v155
	v_cmp_gt_i32_e64 s18, 0, v154
	v_cmp_gt_i32_e64 s19, 0, v156
	v_not_b32_e32 v154, v156
	v_not_b32_e32 v156, v157
	v_ashrrev_i32_e32 v153, 31, v153
	v_cmp_gt_i32_e64 s20, 0, v157
	v_cmp_gt_i32_e64 s21, 0, v158
	v_not_b32_e32 v157, v158
	v_dual_ashrrev_i32 v154, 31, v154 :: v_dual_ashrrev_i32 v156, 31, v156
	v_xor_b32_e32 v63, s17, v63
	v_not_b32_e32 v158, v159
	v_xor_b32_e32 v153, s18, v153
	s_delay_alu instid0(VALU_DEP_4) | instskip(SKIP_2) | instid1(VALU_DEP_4)
	v_dual_ashrrev_i32 v157, 31, v157 :: v_dual_bitop2_b32 v154, s19, v154 bitop3:0x14
	v_xor_b32_e32 v156, s20, v156
	v_cmp_gt_i32_e32 vcc_lo, 0, v159
	v_bitop3_b32 v62, v62, v153, v63 bitop3:0x80
	v_ashrrev_i32_e32 v63, 31, v158
	v_mad_u32_u24 v153, v155, 36, v114
	v_xor_b32_e32 v157, s21, v157
	s_delay_alu instid0(VALU_DEP_4) | instskip(NEXT) | instid1(VALU_DEP_4)
	v_bitop3_b32 v62, v62, v156, v154 bitop3:0x80
	v_xor_b32_e32 v63, vcc_lo, v63
	ds_load_b32 v153, v153 offset:544
	; wave barrier
	v_bitop3_b32 v62, v62, v63, v157 bitop3:0x80
	v_mul_u32_u24_e32 v63, 36, v155
	s_delay_alu instid0(VALU_DEP_2) | instskip(SKIP_1) | instid1(VALU_DEP_3)
	v_mbcnt_lo_u32_b32 v154, v62, 0
	v_cmp_ne_u32_e64 s17, 0, v62
	v_add_nc_u32_e32 v156, v114, v63
	s_delay_alu instid0(VALU_DEP_3) | instskip(SKIP_1) | instid1(SALU_CYCLE_1)
	v_cmp_eq_u32_e32 vcc_lo, 0, v154
	s_and_b32 s18, s17, vcc_lo
	s_and_saveexec_b32 s17, s18
	s_cbranch_execz .LBB289_129
; %bb.128:                              ;   in Loop: Header=BB289_100 Depth=2
	s_wait_dscnt 0x0
	v_bcnt_u32_b32 v62, v62, v153
	ds_store_b32 v156, v62 offset:544
.LBB289_129:                            ;   in Loop: Header=BB289_100 Depth=2
	s_or_b32 exec_lo, exec_lo, s17
	v_lshrrev_b32_e32 v155, 24, v148
	; wave barrier
	s_delay_alu instid0(VALU_DEP_1) | instskip(NEXT) | instid1(VALU_DEP_1)
	v_lshrrev_b32_e32 v62, s48, v155
	v_bitop3_b32 v63, v62, 1, s58 bitop3:0x80
	v_and_b32_e32 v159, s58, v62
	s_delay_alu instid0(VALU_DEP_2) | instskip(NEXT) | instid1(VALU_DEP_1)
	v_add_co_u32 v62, s17, v63, -1
	v_cndmask_b32_e64 v63, 0, 1, s17
	s_delay_alu instid0(VALU_DEP_3) | instskip(SKIP_1) | instid1(VALU_DEP_3)
	v_dual_lshlrev_b32 v157, 30, v159 :: v_dual_lshlrev_b32 v158, 29, v159
	v_dual_lshlrev_b32 v160, 28, v159 :: v_dual_lshlrev_b32 v161, 27, v159
	v_cmp_ne_u32_e32 vcc_lo, 0, v63
	s_delay_alu instid0(VALU_DEP_3)
	v_cmp_gt_i32_e64 s17, 0, v157
	v_not_b32_e32 v63, v157
	v_not_b32_e32 v157, v158
	v_dual_lshlrev_b32 v162, 26, v159 :: v_dual_lshlrev_b32 v163, 25, v159
	v_cmp_gt_i32_e64 s18, 0, v158
	v_cmp_gt_i32_e64 s19, 0, v160
	v_not_b32_e32 v158, v160
	v_not_b32_e32 v160, v161
	v_dual_ashrrev_i32 v63, 31, v63 :: v_dual_ashrrev_i32 v157, 31, v157
	v_cmp_gt_i32_e64 s20, 0, v161
	v_cmp_gt_i32_e64 s21, 0, v162
	v_not_b32_e32 v161, v162
	v_bitop3_b32 v62, vcc_lo, exec_lo, v62 bitop3:0x48
	v_dual_ashrrev_i32 v158, 31, v158 :: v_dual_ashrrev_i32 v160, 31, v160
	v_xor_b32_e32 v63, s17, v63
	v_not_b32_e32 v162, v163
	v_xor_b32_e32 v157, s18, v157
	s_delay_alu instid0(VALU_DEP_4) | instskip(SKIP_2) | instid1(VALU_DEP_4)
	v_dual_ashrrev_i32 v161, 31, v161 :: v_dual_bitop2_b32 v158, s19, v158 bitop3:0x14
	v_xor_b32_e32 v160, s20, v160
	v_cmp_gt_i32_e32 vcc_lo, 0, v163
	v_bitop3_b32 v62, v62, v157, v63 bitop3:0x80
	v_ashrrev_i32_e32 v63, 31, v162
	v_mad_u32_u24 v157, v159, 36, v114
	v_xor_b32_e32 v161, s21, v161
	s_delay_alu instid0(VALU_DEP_4) | instskip(NEXT) | instid1(VALU_DEP_4)
	v_bitop3_b32 v62, v62, v160, v158 bitop3:0x80
	v_xor_b32_e32 v63, vcc_lo, v63
	ds_load_b32 v157, v157 offset:544
	; wave barrier
	v_bitop3_b32 v62, v62, v63, v161 bitop3:0x80
	v_mul_u32_u24_e32 v63, 36, v159
	s_delay_alu instid0(VALU_DEP_2) | instskip(SKIP_1) | instid1(VALU_DEP_3)
	v_mbcnt_lo_u32_b32 v158, v62, 0
	v_cmp_ne_u32_e64 s17, 0, v62
	v_add_nc_u32_e32 v159, v114, v63
	s_delay_alu instid0(VALU_DEP_3) | instskip(SKIP_1) | instid1(SALU_CYCLE_1)
	v_cmp_eq_u32_e32 vcc_lo, 0, v158
	s_and_b32 s18, s17, vcc_lo
	s_and_saveexec_b32 s17, s18
	s_cbranch_execz .LBB289_131
; %bb.130:                              ;   in Loop: Header=BB289_100 Depth=2
	s_wait_dscnt 0x0
	v_bcnt_u32_b32 v62, v62, v157
	ds_store_b32 v159, v62 offset:544
.LBB289_131:                            ;   in Loop: Header=BB289_100 Depth=2
	s_or_b32 exec_lo, exec_lo, s17
	v_bitop3_b16 v62, v142, s43, 0x7f bitop3:0x48
	; wave barrier
	s_delay_alu instid0(VALU_DEP_1) | instskip(NEXT) | instid1(VALU_DEP_1)
	v_and_b32_e32 v62, 0xffff, v62
	v_lshrrev_b32_e32 v62, s48, v62
	s_delay_alu instid0(VALU_DEP_1) | instskip(SKIP_1) | instid1(VALU_DEP_2)
	v_bitop3_b32 v63, v62, 1, s58 bitop3:0x80
	v_and_b32_e32 v162, s58, v62
	v_add_co_u32 v62, s17, v63, -1
	s_delay_alu instid0(VALU_DEP_1) | instskip(NEXT) | instid1(VALU_DEP_3)
	v_cndmask_b32_e64 v63, 0, 1, s17
	v_dual_lshlrev_b32 v160, 30, v162 :: v_dual_lshlrev_b32 v161, 29, v162
	s_delay_alu instid0(VALU_DEP_2) | instskip(NEXT) | instid1(VALU_DEP_2)
	v_cmp_ne_u32_e32 vcc_lo, 0, v63
	v_cmp_gt_i32_e64 s17, 0, v160
	v_not_b32_e32 v63, v160
	s_delay_alu instid0(VALU_DEP_4) | instskip(SKIP_2) | instid1(VALU_DEP_3)
	v_not_b32_e32 v160, v161
	v_cmp_gt_i32_e64 s18, 0, v161
	v_bitop3_b32 v62, vcc_lo, exec_lo, v62 bitop3:0x48
	v_dual_ashrrev_i32 v63, 31, v63 :: v_dual_ashrrev_i32 v160, 31, v160
	v_dual_lshlrev_b32 v163, 28, v162 :: v_dual_lshlrev_b32 v164, 27, v162
	v_dual_lshlrev_b32 v165, 26, v162 :: v_dual_lshlrev_b32 v166, 25, v162
	s_delay_alu instid0(VALU_DEP_2) | instskip(SKIP_1) | instid1(VALU_DEP_4)
	v_cmp_gt_i32_e64 s19, 0, v163
	v_not_b32_e32 v161, v163
	v_cmp_gt_i32_e64 s20, 0, v164
	v_not_b32_e32 v163, v164
	v_cmp_gt_i32_e64 s21, 0, v165
	v_not_b32_e32 v164, v165
	v_not_b32_e32 v165, v166
	v_xor_b32_e32 v63, s17, v63
	v_dual_ashrrev_i32 v161, 31, v161 :: v_dual_bitop2_b32 v160, s18, v160 bitop3:0x14
	s_delay_alu instid0(VALU_DEP_4) | instskip(NEXT) | instid1(VALU_DEP_4)
	v_dual_ashrrev_i32 v163, 31, v163 :: v_dual_ashrrev_i32 v164, 31, v164
	v_ashrrev_i32_e32 v165, 31, v165
	s_delay_alu instid0(VALU_DEP_3)
	v_bitop3_b32 v62, v62, v160, v63 bitop3:0x80
	v_mad_u32_u24 v63, v162, 36, v114
	v_cmp_gt_i32_e64 s22, 0, v166
	v_xor_b32_e32 v163, s20, v163
	v_xor_b32_e32 v164, s21, v164
	ds_load_b32 v160, v63 offset:544
	v_mul_u32_u24_e32 v63, 36, v162
	v_xor_b32_e32 v161, s19, v161
	v_xor_b32_e32 v165, s22, v165
	; wave barrier
	s_delay_alu instid0(VALU_DEP_3) | instskip(NEXT) | instid1(VALU_DEP_3)
	v_add_nc_u32_e32 v162, v114, v63
	v_bitop3_b32 v62, v62, v163, v161 bitop3:0x80
	s_delay_alu instid0(VALU_DEP_1) | instskip(NEXT) | instid1(VALU_DEP_1)
	v_bitop3_b32 v62, v62, v165, v164 bitop3:0x80
	v_mbcnt_lo_u32_b32 v161, v62, 0
	v_cmp_ne_u32_e64 s17, 0, v62
	s_delay_alu instid0(VALU_DEP_2) | instskip(SKIP_1) | instid1(SALU_CYCLE_1)
	v_cmp_eq_u32_e32 vcc_lo, 0, v161
	s_and_b32 s18, s17, vcc_lo
	s_and_saveexec_b32 s17, s18
	s_cbranch_execz .LBB289_133
; %bb.132:                              ;   in Loop: Header=BB289_100 Depth=2
	s_wait_dscnt 0x0
	v_bcnt_u32_b32 v62, v62, v160
	ds_store_b32 v162, v62 offset:544
.LBB289_133:                            ;   in Loop: Header=BB289_100 Depth=2
	s_or_b32 exec_lo, exec_lo, s17
	v_xor_b32_e32 v62, 0x7f, v145
	v_xor_b32_e32 v63, 0x7f, v144
	;; [unrolled: 1-line block ×4, first 2 shown]
	s_delay_alu instid0(VALU_DEP_4) | instskip(NEXT) | instid1(VALU_DEP_4)
	v_lshlrev_b16 v62, 8, v62
	v_lshlrev_b16 v63, 8, v63
	; wave barrier
	s_delay_alu instid0(VALU_DEP_2) | instskip(NEXT) | instid1(VALU_DEP_2)
	v_bitop3_b16 v142, v142, v62, 0xff bitop3:0xec
	v_bitop3_b16 v62, v143, v63, 0xff bitop3:0xec
	s_delay_alu instid0(VALU_DEP_2) | instskip(NEXT) | instid1(VALU_DEP_2)
	v_and_b32_e32 v63, 0xffff, v142
	v_lshlrev_b32_e32 v62, 16, v62
	s_delay_alu instid0(VALU_DEP_1) | instskip(NEXT) | instid1(VALU_DEP_1)
	v_or_b32_e32 v143, v63, v62
	v_bfe_u32 v62, v143, 8, 8
	s_delay_alu instid0(VALU_DEP_1) | instskip(NEXT) | instid1(VALU_DEP_1)
	v_lshrrev_b32_e32 v62, s48, v62
	v_bitop3_b32 v63, v62, 1, s58 bitop3:0x80
	v_and_b32_e32 v163, s58, v62
	s_delay_alu instid0(VALU_DEP_2) | instskip(NEXT) | instid1(VALU_DEP_1)
	v_add_co_u32 v62, s17, v63, -1
	v_cndmask_b32_e64 v63, 0, 1, s17
	s_delay_alu instid0(VALU_DEP_3) | instskip(NEXT) | instid1(VALU_DEP_2)
	v_lshlrev_b32_e32 v144, 30, v163
	v_cmp_ne_u32_e32 vcc_lo, 0, v63
	s_delay_alu instid0(VALU_DEP_2) | instskip(SKIP_2) | instid1(VALU_DEP_3)
	v_not_b32_e32 v63, v144
	v_cmp_gt_i32_e64 s17, 0, v144
	v_bitop3_b32 v62, vcc_lo, exec_lo, v62 bitop3:0x48
	v_ashrrev_i32_e32 v63, 31, v63
	v_dual_lshlrev_b32 v145, 29, v163 :: v_dual_lshlrev_b32 v164, 28, v163
	v_dual_lshlrev_b32 v165, 27, v163 :: v_dual_lshlrev_b32 v166, 26, v163
	s_delay_alu instid0(VALU_DEP_2)
	v_not_b32_e32 v144, v145
	v_lshlrev_b32_e32 v167, 25, v163
	v_cmp_gt_i32_e64 s18, 0, v145
	v_cmp_gt_i32_e64 s19, 0, v164
	v_not_b32_e32 v145, v164
	v_ashrrev_i32_e32 v144, 31, v144
	v_cmp_gt_i32_e64 s20, 0, v165
	v_not_b32_e32 v164, v165
	v_cmp_gt_i32_e64 s21, 0, v166
	v_not_b32_e32 v165, v166
	v_not_b32_e32 v166, v167
	v_xor_b32_e32 v63, s17, v63
	v_dual_ashrrev_i32 v145, 31, v145 :: v_dual_bitop2_b32 v144, s18, v144 bitop3:0x14
	s_delay_alu instid0(VALU_DEP_4) | instskip(NEXT) | instid1(VALU_DEP_4)
	v_dual_ashrrev_i32 v164, 31, v164 :: v_dual_ashrrev_i32 v165, 31, v165
	v_ashrrev_i32_e32 v166, 31, v166
	s_delay_alu instid0(VALU_DEP_3)
	v_bitop3_b32 v62, v62, v144, v63 bitop3:0x80
	v_mad_u32_u24 v63, v163, 36, v114
	v_cmp_gt_i32_e64 s22, 0, v167
	v_xor_b32_e32 v164, s20, v164
	v_xor_b32_e32 v165, s21, v165
	ds_load_b32 v144, v63 offset:544
	v_mul_u32_u24_e32 v63, 36, v163
	v_xor_b32_e32 v145, s19, v145
	v_xor_b32_e32 v166, s22, v166
	; wave barrier
	s_delay_alu instid0(VALU_DEP_3) | instskip(NEXT) | instid1(VALU_DEP_3)
	v_add_nc_u32_e32 v163, v114, v63
	v_bitop3_b32 v62, v62, v164, v145 bitop3:0x80
	s_delay_alu instid0(VALU_DEP_1) | instskip(NEXT) | instid1(VALU_DEP_1)
	v_bitop3_b32 v62, v62, v166, v165 bitop3:0x80
	v_mbcnt_lo_u32_b32 v145, v62, 0
	v_cmp_ne_u32_e64 s17, 0, v62
	s_delay_alu instid0(VALU_DEP_2) | instskip(SKIP_1) | instid1(SALU_CYCLE_1)
	v_cmp_eq_u32_e32 vcc_lo, 0, v145
	s_and_b32 s18, s17, vcc_lo
	s_and_saveexec_b32 s17, s18
	s_cbranch_execz .LBB289_135
; %bb.134:                              ;   in Loop: Header=BB289_100 Depth=2
	s_wait_dscnt 0x0
	v_bcnt_u32_b32 v62, v62, v144
	ds_store_b32 v163, v62 offset:544
.LBB289_135:                            ;   in Loop: Header=BB289_100 Depth=2
	s_or_b32 exec_lo, exec_lo, s17
	v_bfe_u32 v62, v143, 16, 8
	; wave barrier
	s_delay_alu instid0(VALU_DEP_1) | instskip(NEXT) | instid1(VALU_DEP_1)
	v_lshrrev_b32_e32 v62, s48, v62
	v_bitop3_b32 v63, v62, 1, s58 bitop3:0x80
	v_and_b32_e32 v166, s58, v62
	s_delay_alu instid0(VALU_DEP_2) | instskip(NEXT) | instid1(VALU_DEP_1)
	v_add_co_u32 v62, s17, v63, -1
	v_cndmask_b32_e64 v63, 0, 1, s17
	s_delay_alu instid0(VALU_DEP_3) | instskip(NEXT) | instid1(VALU_DEP_2)
	v_dual_lshlrev_b32 v164, 30, v166 :: v_dual_lshlrev_b32 v165, 29, v166
	v_cmp_ne_u32_e32 vcc_lo, 0, v63
	s_delay_alu instid0(VALU_DEP_2) | instskip(SKIP_1) | instid1(VALU_DEP_4)
	v_cmp_gt_i32_e64 s17, 0, v164
	v_not_b32_e32 v63, v164
	v_not_b32_e32 v164, v165
	v_cmp_gt_i32_e64 s18, 0, v165
	v_bitop3_b32 v62, vcc_lo, exec_lo, v62 bitop3:0x48
	s_delay_alu instid0(VALU_DEP_3) | instskip(SKIP_2) | instid1(VALU_DEP_2)
	v_dual_ashrrev_i32 v63, 31, v63 :: v_dual_ashrrev_i32 v164, 31, v164
	v_dual_lshlrev_b32 v167, 28, v166 :: v_dual_lshlrev_b32 v168, 27, v166
	v_dual_lshlrev_b32 v169, 26, v166 :: v_dual_lshlrev_b32 v170, 25, v166
	v_cmp_gt_i32_e64 s19, 0, v167
	v_not_b32_e32 v165, v167
	s_delay_alu instid0(VALU_DEP_4) | instskip(SKIP_3) | instid1(VALU_DEP_4)
	v_not_b32_e32 v167, v168
	v_cmp_gt_i32_e64 s20, 0, v168
	v_cmp_gt_i32_e64 s21, 0, v169
	v_not_b32_e32 v168, v169
	v_dual_ashrrev_i32 v165, 31, v165 :: v_dual_ashrrev_i32 v167, 31, v167
	v_xor_b32_e32 v63, s17, v63
	v_not_b32_e32 v169, v170
	v_xor_b32_e32 v164, s18, v164
	s_delay_alu instid0(VALU_DEP_4) | instskip(SKIP_2) | instid1(VALU_DEP_4)
	v_dual_ashrrev_i32 v168, 31, v168 :: v_dual_bitop2_b32 v165, s19, v165 bitop3:0x14
	v_xor_b32_e32 v167, s20, v167
	v_cmp_gt_i32_e32 vcc_lo, 0, v170
	v_bitop3_b32 v62, v62, v164, v63 bitop3:0x80
	v_ashrrev_i32_e32 v63, 31, v169
	v_mad_u32_u24 v164, v166, 36, v114
	v_xor_b32_e32 v168, s21, v168
	s_delay_alu instid0(VALU_DEP_4) | instskip(NEXT) | instid1(VALU_DEP_4)
	v_bitop3_b32 v62, v62, v167, v165 bitop3:0x80
	v_xor_b32_e32 v63, vcc_lo, v63
	ds_load_b32 v164, v164 offset:544
	; wave barrier
	v_bitop3_b32 v62, v62, v63, v168 bitop3:0x80
	v_mul_u32_u24_e32 v63, 36, v166
	s_delay_alu instid0(VALU_DEP_2) | instskip(SKIP_1) | instid1(VALU_DEP_3)
	v_mbcnt_lo_u32_b32 v165, v62, 0
	v_cmp_ne_u32_e64 s17, 0, v62
	v_add_nc_u32_e32 v167, v114, v63
	s_delay_alu instid0(VALU_DEP_3) | instskip(SKIP_1) | instid1(SALU_CYCLE_1)
	v_cmp_eq_u32_e32 vcc_lo, 0, v165
	s_and_b32 s18, s17, vcc_lo
	s_and_saveexec_b32 s17, s18
	s_cbranch_execz .LBB289_137
; %bb.136:                              ;   in Loop: Header=BB289_100 Depth=2
	s_wait_dscnt 0x0
	v_bcnt_u32_b32 v62, v62, v164
	ds_store_b32 v167, v62 offset:544
.LBB289_137:                            ;   in Loop: Header=BB289_100 Depth=2
	s_or_b32 exec_lo, exec_lo, s17
	v_lshrrev_b32_e32 v166, 24, v143
	; wave barrier
	s_delay_alu instid0(VALU_DEP_1) | instskip(NEXT) | instid1(VALU_DEP_1)
	v_lshrrev_b32_e32 v62, s48, v166
	v_bitop3_b32 v63, v62, 1, s58 bitop3:0x80
	v_and_b32_e32 v170, s58, v62
	s_delay_alu instid0(VALU_DEP_2) | instskip(NEXT) | instid1(VALU_DEP_1)
	v_add_co_u32 v62, s17, v63, -1
	v_cndmask_b32_e64 v63, 0, 1, s17
	s_delay_alu instid0(VALU_DEP_3) | instskip(SKIP_1) | instid1(VALU_DEP_3)
	v_dual_lshlrev_b32 v168, 30, v170 :: v_dual_lshlrev_b32 v169, 29, v170
	v_dual_lshlrev_b32 v171, 28, v170 :: v_dual_lshlrev_b32 v172, 27, v170
	v_cmp_ne_u32_e32 vcc_lo, 0, v63
	s_delay_alu instid0(VALU_DEP_3)
	v_cmp_gt_i32_e64 s17, 0, v168
	v_not_b32_e32 v63, v168
	v_not_b32_e32 v168, v169
	v_dual_lshlrev_b32 v173, 26, v170 :: v_dual_lshlrev_b32 v174, 25, v170
	v_cmp_gt_i32_e64 s18, 0, v169
	v_cmp_gt_i32_e64 s19, 0, v171
	v_not_b32_e32 v169, v171
	v_not_b32_e32 v171, v172
	v_dual_ashrrev_i32 v63, 31, v63 :: v_dual_ashrrev_i32 v168, 31, v168
	v_cmp_gt_i32_e64 s20, 0, v172
	v_cmp_gt_i32_e64 s21, 0, v173
	v_not_b32_e32 v172, v173
	v_bitop3_b32 v62, vcc_lo, exec_lo, v62 bitop3:0x48
	v_dual_ashrrev_i32 v169, 31, v169 :: v_dual_ashrrev_i32 v171, 31, v171
	v_xor_b32_e32 v168, s18, v168
	s_delay_alu instid0(VALU_DEP_4) | instskip(SKIP_1) | instid1(VALU_DEP_4)
	v_dual_ashrrev_i32 v172, 31, v172 :: v_dual_bitop2_b32 v63, s17, v63 bitop3:0x14
	v_not_b32_e32 v173, v174
	v_xor_b32_e32 v169, s19, v169
	v_xor_b32_e32 v171, s20, v171
	s_delay_alu instid0(VALU_DEP_4)
	v_bitop3_b32 v62, v62, v168, v63 bitop3:0x80
	v_cmp_gt_i32_e32 vcc_lo, 0, v174
	v_ashrrev_i32_e32 v63, 31, v173
	v_mad_u32_u24 v168, v170, 36, v114
	v_xor_b32_e32 v172, s21, v172
	v_bitop3_b32 v62, v62, v171, v169 bitop3:0x80
	s_delay_alu instid0(VALU_DEP_4) | instskip(SKIP_3) | instid1(VALU_DEP_2)
	v_xor_b32_e32 v63, vcc_lo, v63
	ds_load_b32 v168, v168 offset:544
	; wave barrier
	v_bitop3_b32 v62, v62, v63, v172 bitop3:0x80
	v_mul_u32_u24_e32 v63, 36, v170
	v_mbcnt_lo_u32_b32 v169, v62, 0
	v_cmp_ne_u32_e64 s17, 0, v62
	s_delay_alu instid0(VALU_DEP_3) | instskip(NEXT) | instid1(VALU_DEP_3)
	v_add_nc_u32_e32 v170, v114, v63
	v_cmp_eq_u32_e32 vcc_lo, 0, v169
	s_and_b32 s18, s17, vcc_lo
	s_delay_alu instid0(SALU_CYCLE_1)
	s_and_saveexec_b32 s17, s18
	s_cbranch_execz .LBB289_139
; %bb.138:                              ;   in Loop: Header=BB289_100 Depth=2
	s_wait_dscnt 0x0
	v_bcnt_u32_b32 v62, v62, v168
	ds_store_b32 v170, v62 offset:544
.LBB289_139:                            ;   in Loop: Header=BB289_100 Depth=2
	s_or_b32 exec_lo, exec_lo, s17
	v_bitop3_b16 v62, v138, s43, 0x7f bitop3:0x48
	; wave barrier
	s_delay_alu instid0(VALU_DEP_1) | instskip(NEXT) | instid1(VALU_DEP_1)
	v_and_b32_e32 v62, 0xffff, v62
	v_lshrrev_b32_e32 v62, s48, v62
	s_delay_alu instid0(VALU_DEP_1) | instskip(NEXT) | instid1(VALU_DEP_1)
	v_and_b32_e32 v173, s58, v62
	v_lshlrev_b32_e32 v171, 30, v173
	v_bitop3_b32 v63, v62, 1, s58 bitop3:0x80
	s_delay_alu instid0(VALU_DEP_1) | instskip(NEXT) | instid1(VALU_DEP_1)
	v_add_co_u32 v62, s17, v63, -1
	v_cndmask_b32_e64 v63, 0, 1, s17
	s_delay_alu instid0(VALU_DEP_4) | instskip(NEXT) | instid1(VALU_DEP_2)
	v_cmp_gt_i32_e64 s17, 0, v171
	v_cmp_ne_u32_e32 vcc_lo, 0, v63
	v_not_b32_e32 v63, v171
	v_bitop3_b32 v62, vcc_lo, exec_lo, v62 bitop3:0x48
	s_delay_alu instid0(VALU_DEP_2) | instskip(SKIP_2) | instid1(VALU_DEP_3)
	v_dual_ashrrev_i32 v63, 31, v63 :: v_dual_lshlrev_b32 v172, 29, v173
	v_dual_lshlrev_b32 v174, 28, v173 :: v_dual_lshlrev_b32 v175, 27, v173
	v_lshlrev_b32_e32 v176, 26, v173
	v_not_b32_e32 v171, v172
	v_lshlrev_b32_e32 v177, 25, v173
	v_cmp_gt_i32_e64 s18, 0, v172
	v_cmp_gt_i32_e64 s19, 0, v174
	v_not_b32_e32 v172, v174
	v_ashrrev_i32_e32 v171, 31, v171
	v_cmp_gt_i32_e64 s20, 0, v175
	v_not_b32_e32 v174, v175
	v_cmp_gt_i32_e64 s21, 0, v176
	v_not_b32_e32 v175, v176
	v_not_b32_e32 v176, v177
	v_xor_b32_e32 v63, s17, v63
	v_dual_ashrrev_i32 v172, 31, v172 :: v_dual_bitop2_b32 v171, s18, v171 bitop3:0x14
	s_delay_alu instid0(VALU_DEP_3) | instskip(SKIP_1) | instid1(VALU_DEP_3)
	v_dual_ashrrev_i32 v174, 31, v174 :: v_dual_ashrrev_i32 v176, 31, v176
	v_cmp_gt_i32_e64 s22, 0, v177
	v_bitop3_b32 v62, v62, v171, v63 bitop3:0x80
	v_mad_u32_u24 v63, v173, 36, v114
	v_dual_ashrrev_i32 v175, 31, v175 :: v_dual_bitop2_b32 v172, s19, v172 bitop3:0x14
	s_delay_alu instid0(VALU_DEP_4) | instskip(SKIP_4) | instid1(VALU_DEP_3)
	v_xor_b32_e32 v176, s22, v176
	ds_load_b32 v171, v63 offset:544
	v_mul_u32_u24_e32 v63, 36, v173
	v_xor_b32_e32 v174, s20, v174
	v_xor_b32_e32 v175, s21, v175
	; wave barrier
	v_add_nc_u32_e32 v173, v114, v63
	s_delay_alu instid0(VALU_DEP_3) | instskip(NEXT) | instid1(VALU_DEP_1)
	v_bitop3_b32 v62, v62, v174, v172 bitop3:0x80
	v_bitop3_b32 v62, v62, v176, v175 bitop3:0x80
	s_delay_alu instid0(VALU_DEP_1) | instskip(SKIP_1) | instid1(VALU_DEP_2)
	v_mbcnt_lo_u32_b32 v172, v62, 0
	v_cmp_ne_u32_e64 s17, 0, v62
	v_cmp_eq_u32_e32 vcc_lo, 0, v172
	s_and_b32 s18, s17, vcc_lo
	s_delay_alu instid0(SALU_CYCLE_1)
	s_and_saveexec_b32 s17, s18
	s_cbranch_execz .LBB289_141
; %bb.140:                              ;   in Loop: Header=BB289_100 Depth=2
	s_wait_dscnt 0x0
	v_bcnt_u32_b32 v62, v62, v171
	ds_store_b32 v173, v62 offset:544
.LBB289_141:                            ;   in Loop: Header=BB289_100 Depth=2
	s_or_b32 exec_lo, exec_lo, s17
	v_xor_b32_e32 v62, 0x7f, v141
	v_xor_b32_e32 v63, 0x7f, v140
	;; [unrolled: 1-line block ×4, first 2 shown]
	s_delay_alu instid0(VALU_DEP_4) | instskip(NEXT) | instid1(VALU_DEP_4)
	v_lshlrev_b16 v62, 8, v62
	v_lshlrev_b16 v63, 8, v63
	; wave barrier
	s_delay_alu instid0(VALU_DEP_2) | instskip(NEXT) | instid1(VALU_DEP_2)
	v_bitop3_b16 v138, v138, v62, 0xff bitop3:0xec
	v_bitop3_b16 v62, v139, v63, 0xff bitop3:0xec
	s_delay_alu instid0(VALU_DEP_2) | instskip(NEXT) | instid1(VALU_DEP_2)
	v_and_b32_e32 v63, 0xffff, v138
	v_lshlrev_b32_e32 v62, 16, v62
	s_delay_alu instid0(VALU_DEP_1) | instskip(NEXT) | instid1(VALU_DEP_1)
	v_or_b32_e32 v139, v63, v62
	v_bfe_u32 v62, v139, 8, 8
	s_delay_alu instid0(VALU_DEP_1) | instskip(NEXT) | instid1(VALU_DEP_1)
	v_lshrrev_b32_e32 v62, s48, v62
	v_bitop3_b32 v63, v62, 1, s58 bitop3:0x80
	v_and_b32_e32 v174, s58, v62
	s_delay_alu instid0(VALU_DEP_2) | instskip(NEXT) | instid1(VALU_DEP_1)
	v_add_co_u32 v62, s17, v63, -1
	v_cndmask_b32_e64 v63, 0, 1, s17
	s_delay_alu instid0(VALU_DEP_3) | instskip(NEXT) | instid1(VALU_DEP_2)
	v_dual_lshlrev_b32 v140, 30, v174 :: v_dual_lshlrev_b32 v141, 29, v174
	v_cmp_ne_u32_e32 vcc_lo, 0, v63
	s_delay_alu instid0(VALU_DEP_2) | instskip(SKIP_1) | instid1(VALU_DEP_4)
	v_cmp_gt_i32_e64 s17, 0, v140
	v_not_b32_e32 v63, v140
	v_not_b32_e32 v140, v141
	v_cmp_gt_i32_e64 s18, 0, v141
	v_bitop3_b32 v62, vcc_lo, exec_lo, v62 bitop3:0x48
	s_delay_alu instid0(VALU_DEP_3) | instskip(SKIP_2) | instid1(VALU_DEP_2)
	v_dual_ashrrev_i32 v63, 31, v63 :: v_dual_ashrrev_i32 v140, 31, v140
	v_dual_lshlrev_b32 v175, 28, v174 :: v_dual_lshlrev_b32 v176, 27, v174
	v_dual_lshlrev_b32 v177, 26, v174 :: v_dual_lshlrev_b32 v178, 25, v174
	v_cmp_gt_i32_e64 s19, 0, v175
	v_not_b32_e32 v141, v175
	s_delay_alu instid0(VALU_DEP_4)
	v_cmp_gt_i32_e64 s20, 0, v176
	v_not_b32_e32 v175, v176
	v_cmp_gt_i32_e64 s21, 0, v177
	v_not_b32_e32 v176, v177
	v_not_b32_e32 v177, v178
	v_xor_b32_e32 v63, s17, v63
	v_dual_ashrrev_i32 v141, 31, v141 :: v_dual_bitop2_b32 v140, s18, v140 bitop3:0x14
	s_delay_alu instid0(VALU_DEP_4) | instskip(NEXT) | instid1(VALU_DEP_4)
	v_dual_ashrrev_i32 v175, 31, v175 :: v_dual_ashrrev_i32 v176, 31, v176
	v_ashrrev_i32_e32 v177, 31, v177
	s_delay_alu instid0(VALU_DEP_3)
	v_bitop3_b32 v62, v62, v140, v63 bitop3:0x80
	v_mad_u32_u24 v63, v174, 36, v114
	v_cmp_gt_i32_e64 s22, 0, v178
	v_xor_b32_e32 v175, s20, v175
	v_xor_b32_e32 v176, s21, v176
	ds_load_b32 v140, v63 offset:544
	v_mul_u32_u24_e32 v63, 36, v174
	v_xor_b32_e32 v141, s19, v141
	v_xor_b32_e32 v177, s22, v177
	; wave barrier
	s_delay_alu instid0(VALU_DEP_3) | instskip(NEXT) | instid1(VALU_DEP_3)
	v_add_nc_u32_e32 v174, v114, v63
	v_bitop3_b32 v62, v62, v175, v141 bitop3:0x80
	s_delay_alu instid0(VALU_DEP_1) | instskip(NEXT) | instid1(VALU_DEP_1)
	v_bitop3_b32 v62, v62, v177, v176 bitop3:0x80
	v_mbcnt_lo_u32_b32 v141, v62, 0
	v_cmp_ne_u32_e64 s17, 0, v62
	s_delay_alu instid0(VALU_DEP_2) | instskip(SKIP_1) | instid1(SALU_CYCLE_1)
	v_cmp_eq_u32_e32 vcc_lo, 0, v141
	s_and_b32 s18, s17, vcc_lo
	s_and_saveexec_b32 s17, s18
	s_cbranch_execz .LBB289_143
; %bb.142:                              ;   in Loop: Header=BB289_100 Depth=2
	s_wait_dscnt 0x0
	v_bcnt_u32_b32 v62, v62, v140
	ds_store_b32 v174, v62 offset:544
.LBB289_143:                            ;   in Loop: Header=BB289_100 Depth=2
	s_or_b32 exec_lo, exec_lo, s17
	v_bfe_u32 v62, v139, 16, 8
	; wave barrier
	s_delay_alu instid0(VALU_DEP_1) | instskip(NEXT) | instid1(VALU_DEP_1)
	v_lshrrev_b32_e32 v62, s48, v62
	v_and_b32_e32 v177, s58, v62
	s_delay_alu instid0(VALU_DEP_1) | instskip(SKIP_1) | instid1(VALU_DEP_1)
	v_lshlrev_b32_e32 v175, 30, v177
	v_bitop3_b32 v63, v62, 1, s58 bitop3:0x80
	v_add_co_u32 v62, s17, v63, -1
	s_delay_alu instid0(VALU_DEP_1) | instskip(NEXT) | instid1(VALU_DEP_4)
	v_cndmask_b32_e64 v63, 0, 1, s17
	v_cmp_gt_i32_e64 s17, 0, v175
	s_delay_alu instid0(VALU_DEP_2) | instskip(SKIP_2) | instid1(VALU_DEP_2)
	v_cmp_ne_u32_e32 vcc_lo, 0, v63
	v_not_b32_e32 v63, v175
	v_bitop3_b32 v62, vcc_lo, exec_lo, v62 bitop3:0x48
	v_dual_ashrrev_i32 v63, 31, v63 :: v_dual_lshlrev_b32 v176, 29, v177
	v_dual_lshlrev_b32 v178, 28, v177 :: v_dual_lshlrev_b32 v179, 27, v177
	s_delay_alu instid0(VALU_DEP_2) | instskip(NEXT) | instid1(VALU_DEP_3)
	v_dual_lshlrev_b32 v180, 26, v177 :: v_dual_bitop2_b32 v63, s17, v63 bitop3:0x14
	v_not_b32_e32 v175, v176
	v_lshlrev_b32_e32 v181, 25, v177
	v_cmp_gt_i32_e64 s18, 0, v176
	v_cmp_gt_i32_e64 s19, 0, v178
	v_not_b32_e32 v176, v178
	v_not_b32_e32 v178, v179
	v_ashrrev_i32_e32 v175, 31, v175
	v_cmp_gt_i32_e64 s20, 0, v179
	v_cmp_gt_i32_e64 s21, 0, v180
	v_not_b32_e32 v179, v180
	v_dual_ashrrev_i32 v176, 31, v176 :: v_dual_ashrrev_i32 v178, 31, v178
	v_not_b32_e32 v180, v181
	v_xor_b32_e32 v175, s18, v175
	s_delay_alu instid0(VALU_DEP_3) | instskip(NEXT) | instid1(VALU_DEP_4)
	v_dual_ashrrev_i32 v179, 31, v179 :: v_dual_bitop2_b32 v176, s19, v176 bitop3:0x14
	v_xor_b32_e32 v178, s20, v178
	v_cmp_gt_i32_e32 vcc_lo, 0, v181
	s_delay_alu instid0(VALU_DEP_4) | instskip(SKIP_3) | instid1(VALU_DEP_4)
	v_bitop3_b32 v62, v62, v175, v63 bitop3:0x80
	v_ashrrev_i32_e32 v63, 31, v180
	v_mad_u32_u24 v175, v177, 36, v114
	v_xor_b32_e32 v179, s21, v179
	v_bitop3_b32 v62, v62, v178, v176 bitop3:0x80
	s_delay_alu instid0(VALU_DEP_4) | instskip(SKIP_3) | instid1(VALU_DEP_2)
	v_xor_b32_e32 v63, vcc_lo, v63
	ds_load_b32 v175, v175 offset:544
	; wave barrier
	v_bitop3_b32 v62, v62, v63, v179 bitop3:0x80
	v_mul_u32_u24_e32 v63, 36, v177
	v_mbcnt_lo_u32_b32 v176, v62, 0
	v_cmp_ne_u32_e64 s17, 0, v62
	s_delay_alu instid0(VALU_DEP_3) | instskip(NEXT) | instid1(VALU_DEP_3)
	v_add_nc_u32_e32 v178, v114, v63
	v_cmp_eq_u32_e32 vcc_lo, 0, v176
	s_and_b32 s18, s17, vcc_lo
	s_delay_alu instid0(SALU_CYCLE_1)
	s_and_saveexec_b32 s17, s18
	s_cbranch_execz .LBB289_145
; %bb.144:                              ;   in Loop: Header=BB289_100 Depth=2
	s_wait_dscnt 0x0
	v_bcnt_u32_b32 v62, v62, v175
	ds_store_b32 v178, v62 offset:544
.LBB289_145:                            ;   in Loop: Header=BB289_100 Depth=2
	s_or_b32 exec_lo, exec_lo, s17
	v_lshrrev_b32_e32 v177, 24, v139
	; wave barrier
	s_delay_alu instid0(VALU_DEP_1) | instskip(NEXT) | instid1(VALU_DEP_1)
	v_lshrrev_b32_e32 v62, s48, v177
	v_bitop3_b32 v63, v62, 1, s58 bitop3:0x80
	v_and_b32_e32 v181, s58, v62
	s_delay_alu instid0(VALU_DEP_2) | instskip(NEXT) | instid1(VALU_DEP_1)
	v_add_co_u32 v62, s17, v63, -1
	v_cndmask_b32_e64 v63, 0, 1, s17
	s_delay_alu instid0(VALU_DEP_3) | instskip(SKIP_1) | instid1(VALU_DEP_3)
	v_dual_lshlrev_b32 v179, 30, v181 :: v_dual_lshlrev_b32 v180, 29, v181
	v_dual_lshlrev_b32 v182, 28, v181 :: v_dual_lshlrev_b32 v183, 27, v181
	v_cmp_ne_u32_e32 vcc_lo, 0, v63
	s_delay_alu instid0(VALU_DEP_3)
	v_cmp_gt_i32_e64 s17, 0, v179
	v_not_b32_e32 v63, v179
	v_not_b32_e32 v179, v180
	v_dual_lshlrev_b32 v184, 26, v181 :: v_dual_lshlrev_b32 v185, 25, v181
	v_cmp_gt_i32_e64 s18, 0, v180
	v_cmp_gt_i32_e64 s19, 0, v182
	v_not_b32_e32 v180, v182
	v_not_b32_e32 v182, v183
	v_ashrrev_i32_e32 v63, 31, v63
	v_ashrrev_i32_e32 v179, 31, v179
	v_cmp_gt_i32_e64 s20, 0, v183
	v_cmp_gt_i32_e64 s21, 0, v184
	v_not_b32_e32 v183, v184
	v_bitop3_b32 v62, vcc_lo, exec_lo, v62 bitop3:0x48
	v_dual_ashrrev_i32 v180, 31, v180 :: v_dual_ashrrev_i32 v182, 31, v182
	v_xor_b32_e32 v63, s17, v63
	v_not_b32_e32 v184, v185
	v_xor_b32_e32 v179, s18, v179
	s_delay_alu instid0(VALU_DEP_4) | instskip(SKIP_2) | instid1(VALU_DEP_4)
	v_dual_ashrrev_i32 v183, 31, v183 :: v_dual_bitop2_b32 v180, s19, v180 bitop3:0x14
	v_xor_b32_e32 v182, s20, v182
	v_cmp_gt_i32_e32 vcc_lo, 0, v185
	v_bitop3_b32 v62, v62, v179, v63 bitop3:0x80
	v_ashrrev_i32_e32 v63, 31, v184
	v_mad_u32_u24 v179, v181, 36, v114
	v_xor_b32_e32 v183, s21, v183
	s_delay_alu instid0(VALU_DEP_4) | instskip(NEXT) | instid1(VALU_DEP_4)
	v_bitop3_b32 v62, v62, v182, v180 bitop3:0x80
	v_xor_b32_e32 v63, vcc_lo, v63
	ds_load_b32 v179, v179 offset:544
	; wave barrier
	v_bitop3_b32 v62, v62, v63, v183 bitop3:0x80
	v_mul_u32_u24_e32 v63, 36, v181
	s_delay_alu instid0(VALU_DEP_2) | instskip(SKIP_1) | instid1(VALU_DEP_3)
	v_mbcnt_lo_u32_b32 v180, v62, 0
	v_cmp_ne_u32_e64 s17, 0, v62
	v_add_nc_u32_e32 v181, v114, v63
	s_delay_alu instid0(VALU_DEP_3) | instskip(SKIP_1) | instid1(SALU_CYCLE_1)
	v_cmp_eq_u32_e32 vcc_lo, 0, v180
	s_and_b32 s18, s17, vcc_lo
	s_and_saveexec_b32 s17, s18
	s_cbranch_execz .LBB289_147
; %bb.146:                              ;   in Loop: Header=BB289_100 Depth=2
	s_wait_dscnt 0x0
	v_bcnt_u32_b32 v62, v62, v179
	ds_store_b32 v181, v62 offset:544
.LBB289_147:                            ;   in Loop: Header=BB289_100 Depth=2
	s_or_b32 exec_lo, exec_lo, s17
	v_bitop3_b16 v62, v64, s43, 0x7f bitop3:0x48
	; wave barrier
	s_delay_alu instid0(VALU_DEP_1) | instskip(NEXT) | instid1(VALU_DEP_1)
	v_and_b32_e32 v62, 0xffff, v62
	v_lshrrev_b32_e32 v62, s48, v62
	s_delay_alu instid0(VALU_DEP_1) | instskip(NEXT) | instid1(VALU_DEP_1)
	v_and_b32_e32 v184, s58, v62
	v_lshlrev_b32_e32 v182, 30, v184
	v_bitop3_b32 v63, v62, 1, s58 bitop3:0x80
	s_delay_alu instid0(VALU_DEP_1) | instskip(NEXT) | instid1(VALU_DEP_1)
	v_add_co_u32 v62, s17, v63, -1
	v_cndmask_b32_e64 v63, 0, 1, s17
	s_delay_alu instid0(VALU_DEP_4) | instskip(NEXT) | instid1(VALU_DEP_2)
	v_cmp_gt_i32_e64 s17, 0, v182
	v_cmp_ne_u32_e32 vcc_lo, 0, v63
	v_not_b32_e32 v63, v182
	v_bitop3_b32 v62, vcc_lo, exec_lo, v62 bitop3:0x48
	s_delay_alu instid0(VALU_DEP_2) | instskip(SKIP_2) | instid1(VALU_DEP_3)
	v_dual_ashrrev_i32 v63, 31, v63 :: v_dual_lshlrev_b32 v183, 29, v184
	v_dual_lshlrev_b32 v185, 28, v184 :: v_dual_lshlrev_b32 v186, 27, v184
	v_lshlrev_b32_e32 v187, 26, v184
	v_not_b32_e32 v182, v183
	v_lshlrev_b32_e32 v188, 25, v184
	v_cmp_gt_i32_e64 s18, 0, v183
	v_cmp_gt_i32_e64 s19, 0, v185
	v_not_b32_e32 v183, v185
	v_not_b32_e32 v185, v186
	v_ashrrev_i32_e32 v182, 31, v182
	v_cmp_gt_i32_e64 s20, 0, v186
	v_cmp_gt_i32_e64 s21, 0, v187
	v_not_b32_e32 v186, v187
	v_not_b32_e32 v187, v188
	v_dual_ashrrev_i32 v183, 31, v183 :: v_dual_ashrrev_i32 v185, 31, v185
	s_delay_alu instid0(VALU_DEP_3) | instskip(NEXT) | instid1(VALU_DEP_3)
	v_dual_ashrrev_i32 v186, 31, v186 :: v_dual_bitop2_b32 v63, s17, v63 bitop3:0x14
	v_dual_ashrrev_i32 v187, 31, v187 :: v_dual_bitop2_b32 v182, s18, v182 bitop3:0x14
	v_cmp_gt_i32_e64 s22, 0, v188
	s_delay_alu instid0(VALU_DEP_4) | instskip(SKIP_1) | instid1(VALU_DEP_4)
	v_xor_b32_e32 v183, s19, v183
	v_xor_b32_e32 v185, s20, v185
	v_bitop3_b32 v62, v62, v182, v63 bitop3:0x80
	v_mad_u32_u24 v63, v184, 36, v114
	v_xor_b32_e32 v187, s22, v187
	s_delay_alu instid0(VALU_DEP_3) | instskip(SKIP_3) | instid1(VALU_DEP_2)
	v_bitop3_b32 v62, v62, v185, v183 bitop3:0x80
	ds_load_b32 v182, v63 offset:544
	v_mul_u32_u24_e32 v63, 36, v184
	v_xor_b32_e32 v186, s21, v186
	; wave barrier
	v_add_nc_u32_e32 v185, v114, v63
	s_delay_alu instid0(VALU_DEP_2) | instskip(NEXT) | instid1(VALU_DEP_1)
	v_bitop3_b32 v62, v62, v187, v186 bitop3:0x80
	v_mbcnt_lo_u32_b32 v183, v62, 0
	v_cmp_ne_u32_e64 s17, 0, v62
	s_delay_alu instid0(VALU_DEP_2) | instskip(SKIP_1) | instid1(SALU_CYCLE_1)
	v_cmp_eq_u32_e32 vcc_lo, 0, v183
	s_and_b32 s18, s17, vcc_lo
	s_and_saveexec_b32 s17, s18
	s_cbranch_execz .LBB289_149
; %bb.148:                              ;   in Loop: Header=BB289_100 Depth=2
	s_wait_dscnt 0x0
	v_bcnt_u32_b32 v62, v62, v182
	ds_store_b32 v185, v62 offset:544
.LBB289_149:                            ;   in Loop: Header=BB289_100 Depth=2
	s_or_b32 exec_lo, exec_lo, s17
	v_xor_b32_e32 v62, 0x7f, v136
	v_xor_b32_e32 v63, 0x7f, v135
	;; [unrolled: 1-line block ×4, first 2 shown]
	s_delay_alu instid0(VALU_DEP_4) | instskip(NEXT) | instid1(VALU_DEP_4)
	v_lshlrev_b16 v62, 8, v62
	v_lshlrev_b16 v63, 8, v63
	; wave barrier
	s_delay_alu instid0(VALU_DEP_2) | instskip(NEXT) | instid1(VALU_DEP_2)
	v_bitop3_b16 v184, v64, v62, 0xff bitop3:0xec
	v_bitop3_b16 v62, v65, v63, 0xff bitop3:0xec
	s_delay_alu instid0(VALU_DEP_2) | instskip(NEXT) | instid1(VALU_DEP_2)
	v_and_b32_e32 v63, 0xffff, v184
	v_lshlrev_b32_e32 v62, 16, v62
	s_delay_alu instid0(VALU_DEP_1) | instskip(NEXT) | instid1(VALU_DEP_1)
	v_or_b32_e32 v135, v63, v62
	v_bfe_u32 v62, v135, 8, 8
	s_delay_alu instid0(VALU_DEP_1) | instskip(NEXT) | instid1(VALU_DEP_1)
	v_lshrrev_b32_e32 v62, s48, v62
	v_bitop3_b32 v63, v62, 1, s58 bitop3:0x80
	v_and_b32_e32 v64, s58, v62
	s_delay_alu instid0(VALU_DEP_2) | instskip(NEXT) | instid1(VALU_DEP_1)
	v_add_co_u32 v62, s17, v63, -1
	v_cndmask_b32_e64 v63, 0, 1, s17
	s_delay_alu instid0(VALU_DEP_3) | instskip(NEXT) | instid1(VALU_DEP_2)
	v_lshlrev_b32_e32 v65, 30, v64
	v_cmp_ne_u32_e32 vcc_lo, 0, v63
	s_delay_alu instid0(VALU_DEP_2) | instskip(SKIP_2) | instid1(VALU_DEP_3)
	v_not_b32_e32 v63, v65
	v_cmp_gt_i32_e64 s17, 0, v65
	v_bitop3_b32 v62, vcc_lo, exec_lo, v62 bitop3:0x48
	v_dual_ashrrev_i32 v63, 31, v63 :: v_dual_lshlrev_b32 v136, 29, v64
	v_dual_lshlrev_b32 v186, 28, v64 :: v_dual_lshlrev_b32 v187, 27, v64
	v_lshlrev_b32_e32 v188, 26, v64
	s_delay_alu instid0(VALU_DEP_3)
	v_not_b32_e32 v65, v136
	v_lshlrev_b32_e32 v189, 25, v64
	v_cmp_gt_i32_e64 s18, 0, v136
	v_cmp_gt_i32_e64 s19, 0, v186
	v_not_b32_e32 v136, v186
	v_not_b32_e32 v186, v187
	v_ashrrev_i32_e32 v65, 31, v65
	v_cmp_gt_i32_e64 s20, 0, v187
	v_cmp_gt_i32_e64 s21, 0, v188
	v_not_b32_e32 v187, v188
	v_not_b32_e32 v188, v189
	v_dual_ashrrev_i32 v136, 31, v136 :: v_dual_ashrrev_i32 v186, 31, v186
	v_xor_b32_e32 v63, s17, v63
	s_delay_alu instid0(VALU_DEP_4)
	v_dual_ashrrev_i32 v187, 31, v187 :: v_dual_bitop2_b32 v65, s18, v65 bitop3:0x14
	v_cmp_gt_i32_e64 s22, 0, v189
	v_ashrrev_i32_e32 v188, 31, v188
	v_xor_b32_e32 v136, s19, v136
	v_xor_b32_e32 v186, s20, v186
	v_bitop3_b32 v62, v62, v65, v63 bitop3:0x80
	v_mad_u32_u24 v63, v64, 36, v114
	v_xor_b32_e32 v65, s21, v187
	v_xor_b32_e32 v187, s22, v188
	s_delay_alu instid0(VALU_DEP_4) | instskip(SKIP_3) | instid1(VALU_DEP_2)
	v_bitop3_b32 v62, v62, v186, v136 bitop3:0x80
	ds_load_b32 v136, v63 offset:544
	v_mul_u32_u24_e32 v63, 36, v64
	; wave barrier
	v_bitop3_b32 v62, v62, v187, v65 bitop3:0x80
	v_add_nc_u32_e32 v187, v114, v63
	s_delay_alu instid0(VALU_DEP_2) | instskip(SKIP_1) | instid1(VALU_DEP_2)
	v_mbcnt_lo_u32_b32 v186, v62, 0
	v_cmp_ne_u32_e64 s17, 0, v62
	v_cmp_eq_u32_e32 vcc_lo, 0, v186
	s_and_b32 s18, s17, vcc_lo
	s_delay_alu instid0(SALU_CYCLE_1)
	s_and_saveexec_b32 s17, s18
	s_cbranch_execz .LBB289_151
; %bb.150:                              ;   in Loop: Header=BB289_100 Depth=2
	s_wait_dscnt 0x0
	v_bcnt_u32_b32 v62, v62, v136
	ds_store_b32 v187, v62 offset:544
.LBB289_151:                            ;   in Loop: Header=BB289_100 Depth=2
	s_or_b32 exec_lo, exec_lo, s17
	v_bfe_u32 v62, v135, 16, 8
	; wave barrier
	s_delay_alu instid0(VALU_DEP_1) | instskip(NEXT) | instid1(VALU_DEP_1)
	v_lshrrev_b32_e32 v62, s48, v62
	v_and_b32_e32 v64, s58, v62
	s_delay_alu instid0(VALU_DEP_1) | instskip(SKIP_1) | instid1(VALU_DEP_1)
	v_lshlrev_b32_e32 v65, 30, v64
	v_bitop3_b32 v63, v62, 1, s58 bitop3:0x80
	v_add_co_u32 v62, s17, v63, -1
	s_delay_alu instid0(VALU_DEP_1) | instskip(NEXT) | instid1(VALU_DEP_4)
	v_cndmask_b32_e64 v63, 0, 1, s17
	v_cmp_gt_i32_e64 s17, 0, v65
	s_delay_alu instid0(VALU_DEP_2) | instskip(SKIP_2) | instid1(VALU_DEP_2)
	v_cmp_ne_u32_e32 vcc_lo, 0, v63
	v_not_b32_e32 v63, v65
	v_bitop3_b32 v62, vcc_lo, exec_lo, v62 bitop3:0x48
	v_dual_ashrrev_i32 v63, 31, v63 :: v_dual_lshlrev_b32 v188, 29, v64
	v_dual_lshlrev_b32 v189, 28, v64 :: v_dual_lshlrev_b32 v190, 27, v64
	v_lshlrev_b32_e32 v191, 26, v64
	s_delay_alu instid0(VALU_DEP_3)
	v_not_b32_e32 v65, v188
	v_lshlrev_b32_e32 v192, 25, v64
	v_cmp_gt_i32_e64 s18, 0, v188
	v_cmp_gt_i32_e64 s19, 0, v189
	v_not_b32_e32 v188, v189
	v_not_b32_e32 v189, v190
	v_ashrrev_i32_e32 v65, 31, v65
	v_cmp_gt_i32_e64 s20, 0, v190
	v_cmp_gt_i32_e64 s21, 0, v191
	v_not_b32_e32 v190, v191
	v_dual_ashrrev_i32 v188, 31, v188 :: v_dual_ashrrev_i32 v189, 31, v189
	v_xor_b32_e32 v63, s17, v63
	v_not_b32_e32 v191, v192
	s_delay_alu instid0(VALU_DEP_4) | instskip(NEXT) | instid1(VALU_DEP_4)
	v_dual_ashrrev_i32 v190, 31, v190 :: v_dual_bitop2_b32 v65, s18, v65 bitop3:0x14
	v_xor_b32_e32 v188, s19, v188
	v_xor_b32_e32 v189, s20, v189
	v_cmp_gt_i32_e32 vcc_lo, 0, v192
	s_delay_alu instid0(VALU_DEP_4) | instskip(SKIP_3) | instid1(VALU_DEP_4)
	v_bitop3_b32 v62, v62, v65, v63 bitop3:0x80
	v_ashrrev_i32_e32 v63, 31, v191
	v_mad_u32_u24 v65, v64, 36, v114
	v_xor_b32_e32 v190, s21, v190
	v_bitop3_b32 v62, v62, v189, v188 bitop3:0x80
	s_delay_alu instid0(VALU_DEP_4) | instskip(SKIP_3) | instid1(VALU_DEP_2)
	v_xor_b32_e32 v63, vcc_lo, v63
	ds_load_b32 v188, v65 offset:544
	; wave barrier
	v_bitop3_b32 v62, v62, v63, v190 bitop3:0x80
	v_mul_u32_u24_e32 v63, 36, v64
	v_mbcnt_lo_u32_b32 v189, v62, 0
	v_cmp_ne_u32_e64 s17, 0, v62
	s_delay_alu instid0(VALU_DEP_3) | instskip(NEXT) | instid1(VALU_DEP_3)
	v_add_nc_u32_e32 v191, v114, v63
	v_cmp_eq_u32_e32 vcc_lo, 0, v189
	s_and_b32 s18, s17, vcc_lo
	s_delay_alu instid0(SALU_CYCLE_1)
	s_and_saveexec_b32 s17, s18
	s_cbranch_execz .LBB289_153
; %bb.152:                              ;   in Loop: Header=BB289_100 Depth=2
	s_wait_dscnt 0x0
	v_bcnt_u32_b32 v62, v62, v188
	ds_store_b32 v191, v62 offset:544
.LBB289_153:                            ;   in Loop: Header=BB289_100 Depth=2
	s_or_b32 exec_lo, exec_lo, s17
	v_lshrrev_b32_e32 v190, 24, v135
	; wave barrier
	s_delay_alu instid0(VALU_DEP_1) | instskip(NEXT) | instid1(VALU_DEP_1)
	v_lshrrev_b32_e32 v62, s48, v190
	v_and_b32_e32 v64, s58, v62
	s_delay_alu instid0(VALU_DEP_1) | instskip(SKIP_3) | instid1(VALU_DEP_3)
	v_lshlrev_b32_e32 v65, 30, v64
	v_bitop3_b32 v63, v62, 1, s58 bitop3:0x80
	v_dual_lshlrev_b32 v192, 29, v64 :: v_dual_lshlrev_b32 v193, 28, v64
	v_dual_lshlrev_b32 v194, 27, v64 :: v_dual_lshlrev_b32 v195, 26, v64
	v_add_co_u32 v62, s17, v63, -1
	s_delay_alu instid0(VALU_DEP_1)
	v_cndmask_b32_e64 v63, 0, 1, s17
	v_cmp_gt_i32_e64 s17, 0, v65
	v_cmp_gt_i32_e64 s18, 0, v192
	;; [unrolled: 1-line block ×4, first 2 shown]
	v_cmp_ne_u32_e32 vcc_lo, 0, v63
	v_not_b32_e32 v63, v65
	v_not_b32_e32 v65, v192
	v_lshlrev_b32_e32 v196, 25, v64
	v_not_b32_e32 v192, v193
	v_not_b32_e32 v193, v194
	s_delay_alu instid0(VALU_DEP_4)
	v_dual_ashrrev_i32 v63, 31, v63 :: v_dual_ashrrev_i32 v65, 31, v65
	v_cmp_gt_i32_e64 s21, 0, v195
	v_not_b32_e32 v194, v195
	v_bitop3_b32 v62, vcc_lo, exec_lo, v62 bitop3:0x48
	v_dual_ashrrev_i32 v192, 31, v192 :: v_dual_ashrrev_i32 v193, 31, v193
	v_xor_b32_e32 v63, s17, v63
	s_delay_alu instid0(VALU_DEP_4) | instskip(SKIP_1) | instid1(VALU_DEP_4)
	v_dual_ashrrev_i32 v194, 31, v194 :: v_dual_bitop2_b32 v65, s18, v65 bitop3:0x14
	v_not_b32_e32 v195, v196
	v_xor_b32_e32 v192, s19, v192
	v_xor_b32_e32 v193, s20, v193
	s_delay_alu instid0(VALU_DEP_4)
	v_bitop3_b32 v62, v62, v65, v63 bitop3:0x80
	v_cmp_gt_i32_e32 vcc_lo, 0, v196
	v_ashrrev_i32_e32 v63, 31, v195
	v_mad_u32_u24 v65, v64, 36, v114
	v_xor_b32_e32 v194, s21, v194
	v_bitop3_b32 v62, v62, v193, v192 bitop3:0x80
	s_delay_alu instid0(VALU_DEP_4) | instskip(SKIP_3) | instid1(VALU_DEP_2)
	v_xor_b32_e32 v63, vcc_lo, v63
	ds_load_b32 v192, v65 offset:544
	; wave barrier
	v_bitop3_b32 v62, v62, v63, v194 bitop3:0x80
	v_mul_u32_u24_e32 v63, 36, v64
	v_mbcnt_lo_u32_b32 v193, v62, 0
	v_cmp_ne_u32_e64 s17, 0, v62
	s_delay_alu instid0(VALU_DEP_3) | instskip(NEXT) | instid1(VALU_DEP_3)
	v_add_nc_u32_e32 v194, v114, v63
	v_cmp_eq_u32_e32 vcc_lo, 0, v193
	s_and_b32 s18, s17, vcc_lo
	s_delay_alu instid0(SALU_CYCLE_1)
	s_and_saveexec_b32 s17, s18
	s_cbranch_execz .LBB289_155
; %bb.154:                              ;   in Loop: Header=BB289_100 Depth=2
	s_wait_dscnt 0x0
	v_bcnt_u32_b32 v62, v62, v192
	ds_store_b32 v194, v62 offset:544
.LBB289_155:                            ;   in Loop: Header=BB289_100 Depth=2
	s_or_b32 exec_lo, exec_lo, s17
	v_xor_b32_e32 v115, 0x7f, v115
	; wave barrier
	s_delay_alu instid0(VALU_DEP_1) | instskip(NEXT) | instid1(VALU_DEP_1)
	v_and_b32_e32 v62, 0xff, v115
	v_lshrrev_b32_e32 v62, s48, v62
	s_delay_alu instid0(VALU_DEP_1) | instskip(NEXT) | instid1(VALU_DEP_1)
	v_and_b32_e32 v64, s58, v62
	v_lshlrev_b32_e32 v65, 30, v64
	v_bitop3_b32 v63, v62, 1, s58 bitop3:0x80
	s_delay_alu instid0(VALU_DEP_1) | instskip(NEXT) | instid1(VALU_DEP_1)
	v_add_co_u32 v62, s17, v63, -1
	v_cndmask_b32_e64 v63, 0, 1, s17
	s_delay_alu instid0(VALU_DEP_4) | instskip(NEXT) | instid1(VALU_DEP_2)
	v_cmp_gt_i32_e64 s17, 0, v65
	v_cmp_ne_u32_e32 vcc_lo, 0, v63
	v_not_b32_e32 v63, v65
	v_bitop3_b32 v62, vcc_lo, exec_lo, v62 bitop3:0x48
	s_delay_alu instid0(VALU_DEP_2) | instskip(SKIP_2) | instid1(VALU_DEP_3)
	v_dual_ashrrev_i32 v63, 31, v63 :: v_dual_lshlrev_b32 v195, 29, v64
	v_dual_lshlrev_b32 v196, 28, v64 :: v_dual_lshlrev_b32 v197, 27, v64
	v_lshlrev_b32_e32 v198, 26, v64
	v_not_b32_e32 v65, v195
	v_lshlrev_b32_e32 v199, 25, v64
	v_cmp_gt_i32_e64 s18, 0, v195
	v_cmp_gt_i32_e64 s19, 0, v196
	v_not_b32_e32 v195, v196
	v_not_b32_e32 v196, v197
	v_ashrrev_i32_e32 v65, 31, v65
	v_cmp_gt_i32_e64 s20, 0, v197
	v_cmp_gt_i32_e64 s21, 0, v198
	v_not_b32_e32 v197, v198
	v_not_b32_e32 v198, v199
	v_dual_ashrrev_i32 v195, 31, v195 :: v_dual_ashrrev_i32 v196, 31, v196
	s_delay_alu instid0(VALU_DEP_3) | instskip(NEXT) | instid1(VALU_DEP_3)
	v_dual_ashrrev_i32 v197, 31, v197 :: v_dual_bitop2_b32 v63, s17, v63 bitop3:0x14
	v_dual_ashrrev_i32 v198, 31, v198 :: v_dual_bitop2_b32 v65, s18, v65 bitop3:0x14
	v_cmp_gt_i32_e64 s22, 0, v199
	s_delay_alu instid0(VALU_DEP_4) | instskip(SKIP_1) | instid1(VALU_DEP_4)
	v_xor_b32_e32 v195, s19, v195
	v_xor_b32_e32 v196, s20, v196
	v_bitop3_b32 v62, v62, v65, v63 bitop3:0x80
	v_mad_u32_u24 v63, v64, 36, v114
	v_xor_b32_e32 v65, s21, v197
	v_xor_b32_e32 v197, s22, v198
	s_delay_alu instid0(VALU_DEP_4) | instskip(SKIP_3) | instid1(VALU_DEP_2)
	v_bitop3_b32 v62, v62, v196, v195 bitop3:0x80
	ds_load_b32 v195, v63 offset:544
	v_mul_u32_u24_e32 v63, 36, v64
	; wave barrier
	v_bitop3_b32 v62, v62, v197, v65 bitop3:0x80
	v_add_nc_u32_e32 v197, v114, v63
	s_delay_alu instid0(VALU_DEP_2) | instskip(SKIP_1) | instid1(VALU_DEP_2)
	v_mbcnt_lo_u32_b32 v196, v62, 0
	v_cmp_ne_u32_e64 s17, 0, v62
	v_cmp_eq_u32_e32 vcc_lo, 0, v196
	s_and_b32 s18, s17, vcc_lo
	s_delay_alu instid0(SALU_CYCLE_1)
	s_and_saveexec_b32 s17, s18
	s_cbranch_execz .LBB289_157
; %bb.156:                              ;   in Loop: Header=BB289_100 Depth=2
	s_wait_dscnt 0x0
	v_bcnt_u32_b32 v62, v62, v195
	ds_store_b32 v197, v62 offset:544
.LBB289_157:                            ;   in Loop: Header=BB289_100 Depth=2
	s_or_b32 exec_lo, exec_lo, s17
	; wave barrier
	s_wait_dscnt 0x0
	s_barrier_signal -1
	s_barrier_wait -1
	ds_load_2addr_b32 v[64:65], v90 offset0:136 offset1:137
	ds_load_2addr_b32 v[62:63], v90 offset0:138 offset1:139
	ds_load_b32 v198, v90 offset:560
	s_wait_dscnt 0x1
	v_add3_u32 v199, v65, v64, v62
	s_wait_dscnt 0x0
	s_delay_alu instid0(VALU_DEP_1) | instskip(NEXT) | instid1(VALU_DEP_1)
	v_add3_u32 v198, v199, v63, v198
	v_mov_b32_dpp v199, v198 row_shr:1 row_mask:0xf bank_mask:0xf
	s_delay_alu instid0(VALU_DEP_1) | instskip(NEXT) | instid1(VALU_DEP_1)
	v_cndmask_b32_e64 v199, v199, 0, s8
	v_add_nc_u32_e32 v198, v199, v198
	s_delay_alu instid0(VALU_DEP_1) | instskip(NEXT) | instid1(VALU_DEP_1)
	v_mov_b32_dpp v199, v198 row_shr:2 row_mask:0xf bank_mask:0xf
	v_cndmask_b32_e64 v199, 0, v199, s9
	s_delay_alu instid0(VALU_DEP_1) | instskip(NEXT) | instid1(VALU_DEP_1)
	v_add_nc_u32_e32 v198, v198, v199
	v_mov_b32_dpp v199, v198 row_shr:4 row_mask:0xf bank_mask:0xf
	s_delay_alu instid0(VALU_DEP_1) | instskip(NEXT) | instid1(VALU_DEP_1)
	v_cndmask_b32_e64 v199, 0, v199, s10
	v_add_nc_u32_e32 v198, v198, v199
	s_delay_alu instid0(VALU_DEP_1) | instskip(NEXT) | instid1(VALU_DEP_1)
	v_mov_b32_dpp v199, v198 row_shr:8 row_mask:0xf bank_mask:0xf
	v_cndmask_b32_e64 v199, 0, v199, s11
	s_delay_alu instid0(VALU_DEP_1) | instskip(SKIP_3) | instid1(VALU_DEP_1)
	v_add_nc_u32_e32 v198, v198, v199
	ds_swizzle_b32 v199, v198 offset:swizzle(BROADCAST,32,15)
	s_wait_dscnt 0x0
	v_cndmask_b32_e64 v199, v199, 0, s12
	v_add_nc_u32_e32 v198, v198, v199
	s_and_saveexec_b32 s17, s2
; %bb.158:                              ;   in Loop: Header=BB289_100 Depth=2
	ds_store_b32 v83, v198 offset:512
; %bb.159:                              ;   in Loop: Header=BB289_100 Depth=2
	s_or_b32 exec_lo, exec_lo, s17
	s_wait_dscnt 0x0
	s_barrier_signal -1
	s_barrier_wait -1
	s_and_saveexec_b32 s17, s3
	s_cbranch_execz .LBB289_161
; %bb.160:                              ;   in Loop: Header=BB289_100 Depth=2
	ds_load_b32 v199, v92 offset:512
	s_wait_dscnt 0x0
	v_mov_b32_dpp v200, v199 row_shr:1 row_mask:0xf bank_mask:0xf
	s_delay_alu instid0(VALU_DEP_1) | instskip(NEXT) | instid1(VALU_DEP_1)
	v_cndmask_b32_e64 v200, v200, 0, s14
	v_add_nc_u32_e32 v199, v200, v199
	s_delay_alu instid0(VALU_DEP_1) | instskip(NEXT) | instid1(VALU_DEP_1)
	v_mov_b32_dpp v200, v199 row_shr:2 row_mask:0xf bank_mask:0xf
	v_cndmask_b32_e64 v200, 0, v200, s15
	s_delay_alu instid0(VALU_DEP_1) | instskip(NEXT) | instid1(VALU_DEP_1)
	v_add_nc_u32_e32 v199, v199, v200
	v_mov_b32_dpp v200, v199 row_shr:4 row_mask:0xf bank_mask:0xf
	s_delay_alu instid0(VALU_DEP_1) | instskip(NEXT) | instid1(VALU_DEP_1)
	v_cndmask_b32_e64 v200, 0, v200, s16
	v_add_nc_u32_e32 v199, v199, v200
	ds_store_b32 v92, v199 offset:512
.LBB289_161:                            ;   in Loop: Header=BB289_100 Depth=2
	s_or_b32 exec_lo, exec_lo, s17
	v_mov_b32_e32 v199, 0
	s_wait_dscnt 0x0
	s_barrier_signal -1
	s_barrier_wait -1
	s_and_saveexec_b32 s17, s5
; %bb.162:                              ;   in Loop: Header=BB289_100 Depth=2
	ds_load_b32 v199, v83 offset:508
; %bb.163:                              ;   in Loop: Header=BB289_100 Depth=2
	s_or_b32 exec_lo, exec_lo, s17
	s_wait_dscnt 0x0
	v_add_nc_u32_e32 v198, v199, v198
	ds_bpermute_b32 v198, v96, v198
	s_wait_dscnt 0x0
	v_cndmask_b32_e64 v198, v198, v199, s13
	s_delay_alu instid0(VALU_DEP_1) | instskip(NEXT) | instid1(VALU_DEP_1)
	v_cndmask_b32_e64 v198, v198, 0, s6
	v_add_nc_u32_e32 v64, v198, v64
	s_delay_alu instid0(VALU_DEP_1) | instskip(NEXT) | instid1(VALU_DEP_1)
	v_add_nc_u32_e32 v65, v64, v65
	v_add_nc_u32_e32 v62, v65, v62
	s_delay_alu instid0(VALU_DEP_1)
	v_add_nc_u32_e32 v63, v62, v63
	ds_store_2addr_b32 v90, v198, v64 offset0:136 offset1:137
	ds_store_2addr_b32 v90, v65, v62 offset0:138 offset1:139
	ds_store_b32 v90, v63 offset:560
	s_wait_dscnt 0x0
	s_barrier_signal -1
	s_barrier_wait -1
	ds_load_b32 v62, v149 offset:544
	ds_load_b32 v63, v152 offset:544
	;; [unrolled: 1-line block ×17, first 2 shown]
	s_and_saveexec_b32 s17, s0
	s_cbranch_execz .LBB289_167
; %bb.164:                              ;   in Loop: Header=BB289_100 Depth=2
	v_dual_mov_b32 v134, 0x1100 :: v_dual_add_nc_u32 v133, v92, v94
	ds_load_b32 v133, v133 offset:544
	s_and_saveexec_b32 s18, s7
; %bb.165:                              ;   in Loop: Header=BB289_100 Depth=2
	ds_load_b32 v134, v93 offset:544
; %bb.166:                              ;   in Loop: Header=BB289_100 Depth=2
	s_or_b32 exec_lo, exec_lo, s18
	s_wait_dscnt 0x0
	v_sub_nc_u32_e32 v134, v134, v133
.LBB289_167:                            ;   in Loop: Header=BB289_100 Depth=2
	s_or_b32 exec_lo, exec_lo, s17
	v_dual_lshrrev_b32 v202, 8, v148 :: v_dual_lshrrev_b32 v203, 16, v148
	v_dual_lshrrev_b32 v200, 8, v143 :: v_dual_lshrrev_b32 v201, 16, v143
	;; [unrolled: 1-line block ×4, first 2 shown]
	s_wait_dscnt 0x0
	s_barrier_signal -1
	s_barrier_wait -1
	s_and_saveexec_b32 s17, s0
	s_cbranch_execz .LBB289_169
; %bb.168:                              ;   in Loop: Header=BB289_100 Depth=2
	ds_load_b32 v135, v66
	s_wait_dscnt 0x0
	v_sub_nc_u32_e32 v135, v135, v133
	ds_store_b32 v66, v135
.LBB289_169:                            ;   in Loop: Header=BB289_100 Depth=2
	s_or_b32 exec_lo, exec_lo, s17
	v_add_nc_u32_e32 v156, v62, v146
	v_add3_u32 v152, v151, v150, v63
	v_add3_u32 v151, v154, v153, v64
	;; [unrolled: 1-line block ×16, first 2 shown]
	v_cmp_lt_u32_e32 vcc_lo, v2, v137
	ds_store_b8 v156, v147 offset:512
	ds_store_b8 v152, v202 offset:512
	;; [unrolled: 1-line block ×17, first 2 shown]
	s_wait_dscnt 0x0
	s_barrier_signal -1
	s_barrier_wait -1
	s_and_saveexec_b32 s17, vcc_lo
	s_cbranch_execnz .LBB289_242
; %bb.170:                              ;   in Loop: Header=BB289_100 Depth=2
	s_or_b32 exec_lo, exec_lo, s17
	v_cmp_lt_u32_e64 s17, v67, v137
	s_and_saveexec_b32 s18, s17
	s_cbranch_execnz .LBB289_243
.LBB289_171:                            ;   in Loop: Header=BB289_100 Depth=2
	s_or_b32 exec_lo, exec_lo, s18
	v_cmp_lt_u32_e64 s18, v68, v137
	s_and_saveexec_b32 s19, s18
	s_cbranch_execnz .LBB289_244
.LBB289_172:                            ;   in Loop: Header=BB289_100 Depth=2
	s_or_b32 exec_lo, exec_lo, s19
	v_cmp_lt_u32_e64 s19, v69, v137
	s_and_saveexec_b32 s20, s19
	s_cbranch_execnz .LBB289_245
.LBB289_173:                            ;   in Loop: Header=BB289_100 Depth=2
	s_or_b32 exec_lo, exec_lo, s20
	v_cmp_lt_u32_e64 s20, v70, v137
	s_and_saveexec_b32 s21, s20
	s_cbranch_execnz .LBB289_246
.LBB289_174:                            ;   in Loop: Header=BB289_100 Depth=2
	s_or_b32 exec_lo, exec_lo, s21
	v_cmp_lt_u32_e64 s21, v71, v137
	s_and_saveexec_b32 s22, s21
	s_cbranch_execnz .LBB289_247
.LBB289_175:                            ;   in Loop: Header=BB289_100 Depth=2
	s_or_b32 exec_lo, exec_lo, s22
	v_cmp_lt_u32_e64 s22, v72, v137
	s_and_saveexec_b32 s23, s22
	s_cbranch_execnz .LBB289_248
.LBB289_176:                            ;   in Loop: Header=BB289_100 Depth=2
	s_or_b32 exec_lo, exec_lo, s23
	v_cmp_lt_u32_e64 s23, v73, v137
	s_and_saveexec_b32 s24, s23
	s_cbranch_execnz .LBB289_249
.LBB289_177:                            ;   in Loop: Header=BB289_100 Depth=2
	s_or_b32 exec_lo, exec_lo, s24
	v_cmp_lt_u32_e64 s24, v74, v137
	s_and_saveexec_b32 s25, s24
	s_cbranch_execnz .LBB289_250
.LBB289_178:                            ;   in Loop: Header=BB289_100 Depth=2
	s_or_b32 exec_lo, exec_lo, s25
	v_cmp_lt_u32_e64 s25, v75, v137
	s_and_saveexec_b32 s26, s25
	s_cbranch_execnz .LBB289_251
.LBB289_179:                            ;   in Loop: Header=BB289_100 Depth=2
	s_or_b32 exec_lo, exec_lo, s26
	v_cmp_lt_u32_e64 s26, v76, v137
	s_and_saveexec_b32 s27, s26
	s_cbranch_execnz .LBB289_252
.LBB289_180:                            ;   in Loop: Header=BB289_100 Depth=2
	s_or_b32 exec_lo, exec_lo, s27
	v_cmp_lt_u32_e64 s27, v77, v137
	s_and_saveexec_b32 s28, s27
	s_cbranch_execnz .LBB289_253
.LBB289_181:                            ;   in Loop: Header=BB289_100 Depth=2
	s_or_b32 exec_lo, exec_lo, s28
	v_cmp_lt_u32_e64 s28, v78, v137
	s_and_saveexec_b32 s29, s28
	s_cbranch_execnz .LBB289_254
.LBB289_182:                            ;   in Loop: Header=BB289_100 Depth=2
	s_or_b32 exec_lo, exec_lo, s29
	v_cmp_lt_u32_e64 s29, v79, v137
	s_and_saveexec_b32 s30, s29
	s_cbranch_execnz .LBB289_255
.LBB289_183:                            ;   in Loop: Header=BB289_100 Depth=2
	s_or_b32 exec_lo, exec_lo, s30
	v_cmp_lt_u32_e64 s30, v80, v137
	s_and_saveexec_b32 s31, s30
	s_cbranch_execnz .LBB289_256
.LBB289_184:                            ;   in Loop: Header=BB289_100 Depth=2
	s_or_b32 exec_lo, exec_lo, s31
	v_cmp_lt_u32_e64 s31, v81, v137
	s_and_saveexec_b32 s33, s31
	s_cbranch_execnz .LBB289_257
.LBB289_185:                            ;   in Loop: Header=BB289_100 Depth=2
	s_or_b32 exec_lo, exec_lo, s33
	v_cmp_lt_u32_e64 s33, v82, v137
	s_and_saveexec_b32 s61, s33
	s_cbranch_execz .LBB289_187
.LBB289_186:                            ;   in Loop: Header=BB289_100 Depth=2
	ds_load_u8 v62, v2 offset:4608
	s_wait_dscnt 0x0
	v_and_b32_e32 v63, 0xff, v62
	v_xor_b32_e32 v62, 0x7f, v62
	s_delay_alu instid0(VALU_DEP_2) | instskip(NEXT) | instid1(VALU_DEP_1)
	v_lshrrev_b32_e32 v63, s48, v63
	v_and_b32_e32 v63, s58, v63
	s_delay_alu instid0(VALU_DEP_1)
	v_lshlrev_b32_e32 v63, 2, v63
	ds_load_b32 v63, v63
	s_wait_dscnt 0x0
	v_add_nc_u32_e32 v63, v63, v82
	global_store_b8 v63, v62, s[38:39]
.LBB289_187:                            ;   in Loop: Header=BB289_100 Depth=2
	s_wait_xcnt 0x0
	s_or_b32 exec_lo, exec_lo, s61
	v_lshl_add_u64 v[62:63], s[34:35], 3, v[26:27]
	v_cmp_lt_u32_e64 s34, v97, v137
	s_and_saveexec_b32 s61, s34
	s_delay_alu instid0(SALU_CYCLE_1)
	s_xor_b32 s34, exec_lo, s61
	s_cbranch_execnz .LBB289_258
; %bb.188:                              ;   in Loop: Header=BB289_100 Depth=2
	s_or_b32 exec_lo, exec_lo, s34
	s_delay_alu instid0(SALU_CYCLE_1)
	s_mov_b32 s61, exec_lo
	v_cmpx_lt_u32_e64 v98, v137
	s_cbranch_execnz .LBB289_259
.LBB289_189:                            ;   in Loop: Header=BB289_100 Depth=2
	s_or_b32 exec_lo, exec_lo, s61
	s_delay_alu instid0(SALU_CYCLE_1)
	s_mov_b32 s61, exec_lo
	v_cmpx_lt_u32_e64 v99, v137
	s_cbranch_execnz .LBB289_260
.LBB289_190:                            ;   in Loop: Header=BB289_100 Depth=2
	s_or_b32 exec_lo, exec_lo, s61
	s_delay_alu instid0(SALU_CYCLE_1)
	s_mov_b32 s61, exec_lo
	v_cmpx_lt_u32_e64 v100, v137
	s_cbranch_execnz .LBB289_261
.LBB289_191:                            ;   in Loop: Header=BB289_100 Depth=2
	s_or_b32 exec_lo, exec_lo, s61
	s_delay_alu instid0(SALU_CYCLE_1)
	s_mov_b32 s61, exec_lo
	v_cmpx_lt_u32_e64 v101, v137
	s_cbranch_execnz .LBB289_262
.LBB289_192:                            ;   in Loop: Header=BB289_100 Depth=2
	s_or_b32 exec_lo, exec_lo, s61
	s_delay_alu instid0(SALU_CYCLE_1)
	s_mov_b32 s61, exec_lo
	v_cmpx_lt_u32_e64 v102, v137
	s_cbranch_execnz .LBB289_263
.LBB289_193:                            ;   in Loop: Header=BB289_100 Depth=2
	s_or_b32 exec_lo, exec_lo, s61
	s_delay_alu instid0(SALU_CYCLE_1)
	s_mov_b32 s61, exec_lo
	v_cmpx_lt_u32_e64 v103, v137
	s_cbranch_execnz .LBB289_264
.LBB289_194:                            ;   in Loop: Header=BB289_100 Depth=2
	s_or_b32 exec_lo, exec_lo, s61
	s_delay_alu instid0(SALU_CYCLE_1)
	s_mov_b32 s61, exec_lo
	v_cmpx_lt_u32_e64 v104, v137
	s_cbranch_execnz .LBB289_265
.LBB289_195:                            ;   in Loop: Header=BB289_100 Depth=2
	s_or_b32 exec_lo, exec_lo, s61
	s_delay_alu instid0(SALU_CYCLE_1)
	s_mov_b32 s61, exec_lo
	v_cmpx_lt_u32_e64 v105, v137
	s_cbranch_execnz .LBB289_266
.LBB289_196:                            ;   in Loop: Header=BB289_100 Depth=2
	s_or_b32 exec_lo, exec_lo, s61
	s_delay_alu instid0(SALU_CYCLE_1)
	s_mov_b32 s61, exec_lo
	v_cmpx_lt_u32_e64 v106, v137
	s_cbranch_execnz .LBB289_267
.LBB289_197:                            ;   in Loop: Header=BB289_100 Depth=2
	s_or_b32 exec_lo, exec_lo, s61
	s_delay_alu instid0(SALU_CYCLE_1)
	s_mov_b32 s61, exec_lo
	v_cmpx_lt_u32_e64 v107, v137
	s_cbranch_execnz .LBB289_268
.LBB289_198:                            ;   in Loop: Header=BB289_100 Depth=2
	s_or_b32 exec_lo, exec_lo, s61
	s_delay_alu instid0(SALU_CYCLE_1)
	s_mov_b32 s61, exec_lo
	v_cmpx_lt_u32_e64 v108, v137
	s_cbranch_execnz .LBB289_269
.LBB289_199:                            ;   in Loop: Header=BB289_100 Depth=2
	s_or_b32 exec_lo, exec_lo, s61
	s_delay_alu instid0(SALU_CYCLE_1)
	s_mov_b32 s61, exec_lo
	v_cmpx_lt_u32_e64 v109, v137
	s_cbranch_execnz .LBB289_270
.LBB289_200:                            ;   in Loop: Header=BB289_100 Depth=2
	s_or_b32 exec_lo, exec_lo, s61
	s_delay_alu instid0(SALU_CYCLE_1)
	s_mov_b32 s61, exec_lo
	v_cmpx_lt_u32_e64 v110, v137
	s_cbranch_execnz .LBB289_271
.LBB289_201:                            ;   in Loop: Header=BB289_100 Depth=2
	s_or_b32 exec_lo, exec_lo, s61
	s_delay_alu instid0(SALU_CYCLE_1)
	s_mov_b32 s61, exec_lo
	v_cmpx_lt_u32_e64 v111, v137
	s_cbranch_execnz .LBB289_272
.LBB289_202:                            ;   in Loop: Header=BB289_100 Depth=2
	s_or_b32 exec_lo, exec_lo, s61
	s_delay_alu instid0(SALU_CYCLE_1)
	s_mov_b32 s61, exec_lo
	v_cmpx_lt_u32_e64 v112, v137
	s_cbranch_execnz .LBB289_273
.LBB289_203:                            ;   in Loop: Header=BB289_100 Depth=2
	s_or_b32 exec_lo, exec_lo, s61
	s_delay_alu instid0(SALU_CYCLE_1)
	s_mov_b32 s61, exec_lo
	v_cmpx_lt_u32_e64 v113, v137
	s_cbranch_execnz .LBB289_274
.LBB289_204:                            ;   in Loop: Header=BB289_100 Depth=2
	s_or_b32 exec_lo, exec_lo, s61
	s_and_saveexec_b32 s34, vcc_lo
	s_cbranch_execnz .LBB289_275
.LBB289_205:                            ;   in Loop: Header=BB289_100 Depth=2
	s_or_b32 exec_lo, exec_lo, s34
	s_and_saveexec_b32 s34, s17
	s_cbranch_execnz .LBB289_276
.LBB289_206:                            ;   in Loop: Header=BB289_100 Depth=2
	s_or_b32 exec_lo, exec_lo, s34
	s_and_saveexec_b32 s34, s18
	s_cbranch_execnz .LBB289_277
.LBB289_207:                            ;   in Loop: Header=BB289_100 Depth=2
	s_or_b32 exec_lo, exec_lo, s34
	s_and_saveexec_b32 s34, s19
	s_cbranch_execnz .LBB289_278
.LBB289_208:                            ;   in Loop: Header=BB289_100 Depth=2
	s_or_b32 exec_lo, exec_lo, s34
	s_and_saveexec_b32 s34, s20
	s_cbranch_execnz .LBB289_279
.LBB289_209:                            ;   in Loop: Header=BB289_100 Depth=2
	s_or_b32 exec_lo, exec_lo, s34
	s_and_saveexec_b32 s34, s21
	s_cbranch_execnz .LBB289_280
.LBB289_210:                            ;   in Loop: Header=BB289_100 Depth=2
	s_or_b32 exec_lo, exec_lo, s34
	s_and_saveexec_b32 s34, s22
	s_cbranch_execnz .LBB289_281
.LBB289_211:                            ;   in Loop: Header=BB289_100 Depth=2
	s_or_b32 exec_lo, exec_lo, s34
	s_and_saveexec_b32 s34, s23
	s_cbranch_execnz .LBB289_282
.LBB289_212:                            ;   in Loop: Header=BB289_100 Depth=2
	s_or_b32 exec_lo, exec_lo, s34
	s_and_saveexec_b32 s34, s24
	s_cbranch_execnz .LBB289_283
.LBB289_213:                            ;   in Loop: Header=BB289_100 Depth=2
	s_or_b32 exec_lo, exec_lo, s34
	s_and_saveexec_b32 s34, s25
	s_cbranch_execnz .LBB289_284
.LBB289_214:                            ;   in Loop: Header=BB289_100 Depth=2
	s_or_b32 exec_lo, exec_lo, s34
	s_and_saveexec_b32 s34, s26
	s_cbranch_execnz .LBB289_285
.LBB289_215:                            ;   in Loop: Header=BB289_100 Depth=2
	s_or_b32 exec_lo, exec_lo, s34
	s_and_saveexec_b32 s34, s27
	s_cbranch_execnz .LBB289_286
.LBB289_216:                            ;   in Loop: Header=BB289_100 Depth=2
	s_or_b32 exec_lo, exec_lo, s34
	s_and_saveexec_b32 s34, s28
	s_cbranch_execnz .LBB289_287
.LBB289_217:                            ;   in Loop: Header=BB289_100 Depth=2
	s_or_b32 exec_lo, exec_lo, s34
	s_and_saveexec_b32 s34, s29
	s_cbranch_execnz .LBB289_288
.LBB289_218:                            ;   in Loop: Header=BB289_100 Depth=2
	s_or_b32 exec_lo, exec_lo, s34
	s_and_saveexec_b32 s34, s30
	s_cbranch_execnz .LBB289_289
.LBB289_219:                            ;   in Loop: Header=BB289_100 Depth=2
	s_or_b32 exec_lo, exec_lo, s34
	s_and_saveexec_b32 s34, s31
	s_cbranch_execnz .LBB289_290
.LBB289_220:                            ;   in Loop: Header=BB289_100 Depth=2
	s_or_b32 exec_lo, exec_lo, s34
	s_and_saveexec_b32 s34, s33
	s_cbranch_execz .LBB289_222
.LBB289_221:                            ;   in Loop: Header=BB289_100 Depth=2
	ds_load_u8 v62, v2 offset:4608
	s_wait_dscnt 0x0
	v_lshrrev_b32_e32 v62, s48, v62
	s_delay_alu instid0(VALU_DEP_1)
	v_and_b32_e32 v116, s58, v62
.LBB289_222:                            ;   in Loop: Header=BB289_100 Depth=2
	s_or_b32 exec_lo, exec_lo, s34
	v_lshlrev_b32_e32 v62, 3, v156
	v_lshlrev_b32_e32 v63, 3, v152
	s_wait_loadcnt 0x0
	s_wait_storecnt 0x0
	s_barrier_signal -1
	s_barrier_wait -1
	ds_store_b64 v62, v[60:61] offset:512
	ds_store_b64 v63, v[58:59] offset:512
	v_dual_lshlrev_b32 v62, 3, v151 :: v_dual_lshlrev_b32 v63, 3, v150
	v_dual_lshlrev_b32 v137, 3, v149 :: v_dual_lshlrev_b32 v138, 3, v148
	v_lshlrev_b32_e32 v142, 3, v146
	ds_store_b64 v62, v[56:57] offset:512
	ds_store_b64 v63, v[54:55] offset:512
	ds_store_b64 v137, v[52:53] offset:512
	ds_store_b64 v138, v[50:51] offset:512
	ds_store_b64 v142, v[48:49] offset:512
	v_dual_lshlrev_b32 v62, 3, v145 :: v_dual_lshlrev_b32 v63, 3, v144
	v_dual_lshlrev_b32 v137, 3, v143 :: v_dual_lshlrev_b32 v138, 3, v141
	v_lshlrev_b32_e32 v140, 3, v140
	ds_store_b64 v62, v[46:47] offset:512
	ds_store_b64 v63, v[44:45] offset:512
	ds_store_b64 v137, v[42:43] offset:512
	;; [unrolled: 8-line block ×3, first 2 shown]
	ds_store_b64 v65, v[30:31] offset:512
	ds_store_b64 v64, v[28:29] offset:512
	s_wait_dscnt 0x0
	s_barrier_signal -1
	s_barrier_wait -1
	s_and_saveexec_b32 s34, vcc_lo
	s_cbranch_execnz .LBB289_291
; %bb.223:                              ;   in Loop: Header=BB289_100 Depth=2
	s_or_b32 exec_lo, exec_lo, s34
	s_and_saveexec_b32 s34, s17
	s_cbranch_execnz .LBB289_292
.LBB289_224:                            ;   in Loop: Header=BB289_100 Depth=2
	s_or_b32 exec_lo, exec_lo, s34
	s_and_saveexec_b32 s17, s18
	s_cbranch_execnz .LBB289_293
.LBB289_225:                            ;   in Loop: Header=BB289_100 Depth=2
	s_or_b32 exec_lo, exec_lo, s17
	s_and_saveexec_b32 s17, s19
	s_cbranch_execnz .LBB289_294
.LBB289_226:                            ;   in Loop: Header=BB289_100 Depth=2
	s_or_b32 exec_lo, exec_lo, s17
	s_and_saveexec_b32 s17, s20
	s_cbranch_execnz .LBB289_295
.LBB289_227:                            ;   in Loop: Header=BB289_100 Depth=2
	s_or_b32 exec_lo, exec_lo, s17
	s_and_saveexec_b32 s17, s21
	s_cbranch_execnz .LBB289_296
.LBB289_228:                            ;   in Loop: Header=BB289_100 Depth=2
	s_or_b32 exec_lo, exec_lo, s17
	s_and_saveexec_b32 s17, s22
	s_cbranch_execnz .LBB289_297
.LBB289_229:                            ;   in Loop: Header=BB289_100 Depth=2
	s_or_b32 exec_lo, exec_lo, s17
	s_and_saveexec_b32 s17, s23
	s_cbranch_execnz .LBB289_298
.LBB289_230:                            ;   in Loop: Header=BB289_100 Depth=2
	s_or_b32 exec_lo, exec_lo, s17
	s_and_saveexec_b32 s17, s24
	s_cbranch_execnz .LBB289_299
.LBB289_231:                            ;   in Loop: Header=BB289_100 Depth=2
	s_or_b32 exec_lo, exec_lo, s17
	s_and_saveexec_b32 s17, s25
	s_cbranch_execnz .LBB289_300
.LBB289_232:                            ;   in Loop: Header=BB289_100 Depth=2
	s_or_b32 exec_lo, exec_lo, s17
	s_and_saveexec_b32 s17, s26
	s_cbranch_execnz .LBB289_301
.LBB289_233:                            ;   in Loop: Header=BB289_100 Depth=2
	s_or_b32 exec_lo, exec_lo, s17
	s_and_saveexec_b32 s17, s27
	s_cbranch_execnz .LBB289_302
.LBB289_234:                            ;   in Loop: Header=BB289_100 Depth=2
	s_or_b32 exec_lo, exec_lo, s17
	s_and_saveexec_b32 s17, s28
	s_cbranch_execnz .LBB289_303
.LBB289_235:                            ;   in Loop: Header=BB289_100 Depth=2
	s_or_b32 exec_lo, exec_lo, s17
	s_and_saveexec_b32 s17, s29
	s_cbranch_execnz .LBB289_304
.LBB289_236:                            ;   in Loop: Header=BB289_100 Depth=2
	s_or_b32 exec_lo, exec_lo, s17
	s_and_saveexec_b32 s17, s30
	s_cbranch_execnz .LBB289_305
.LBB289_237:                            ;   in Loop: Header=BB289_100 Depth=2
	s_or_b32 exec_lo, exec_lo, s17
	s_and_saveexec_b32 s17, s31
	s_cbranch_execnz .LBB289_306
.LBB289_238:                            ;   in Loop: Header=BB289_100 Depth=2
	s_or_b32 exec_lo, exec_lo, s17
	s_and_saveexec_b32 s17, s33
	s_cbranch_execz .LBB289_240
.LBB289_239:                            ;   in Loop: Header=BB289_100 Depth=2
	v_dual_lshlrev_b32 v62, 2, v116 :: v_dual_add_nc_u32 v63, v2, v95
	ds_load_b32 v64, v62
	ds_load_b64 v[62:63], v63 offset:33280
	s_wait_dscnt 0x1
	v_add_nc_u32_e32 v64, v64, v82
	s_wait_dscnt 0x0
	global_store_b64 v64, v[62:63], s[44:45] scale_offset
.LBB289_240:                            ;   in Loop: Header=BB289_100 Depth=2
	s_wait_xcnt 0x0
	s_or_b32 exec_lo, exec_lo, s17
	s_wait_storecnt 0x0
	s_barrier_signal -1
	s_barrier_wait -1
	s_and_saveexec_b32 s17, s0
	s_cbranch_execz .LBB289_99
; %bb.241:                              ;   in Loop: Header=BB289_100 Depth=2
	ds_load_b32 v62, v66
	s_wait_dscnt 0x0
	v_add3_u32 v62, v133, v134, v62
	ds_store_b32 v66, v62
	s_branch .LBB289_99
.LBB289_242:                            ;   in Loop: Header=BB289_100 Depth=2
	ds_load_u8 v62, v2 offset:512
	s_wait_dscnt 0x0
	v_and_b32_e32 v63, 0xff, v62
	v_xor_b32_e32 v62, 0x7f, v62
	s_delay_alu instid0(VALU_DEP_2) | instskip(NEXT) | instid1(VALU_DEP_1)
	v_lshrrev_b32_e32 v63, s48, v63
	v_and_b32_e32 v63, s58, v63
	s_delay_alu instid0(VALU_DEP_1)
	v_lshlrev_b32_e32 v63, 2, v63
	ds_load_b32 v63, v63
	s_wait_dscnt 0x0
	v_add_nc_u32_e32 v63, v63, v2
	global_store_b8 v63, v62, s[38:39]
	s_wait_xcnt 0x0
	s_or_b32 exec_lo, exec_lo, s17
	v_cmp_lt_u32_e64 s17, v67, v137
	s_and_saveexec_b32 s18, s17
	s_cbranch_execz .LBB289_171
.LBB289_243:                            ;   in Loop: Header=BB289_100 Depth=2
	ds_load_u8 v62, v2 offset:768
	s_wait_dscnt 0x0
	v_and_b32_e32 v63, 0xff, v62
	v_xor_b32_e32 v62, 0x7f, v62
	s_delay_alu instid0(VALU_DEP_2) | instskip(NEXT) | instid1(VALU_DEP_1)
	v_lshrrev_b32_e32 v63, s48, v63
	v_and_b32_e32 v63, s58, v63
	s_delay_alu instid0(VALU_DEP_1)
	v_lshlrev_b32_e32 v63, 2, v63
	ds_load_b32 v63, v63
	s_wait_dscnt 0x0
	v_add_nc_u32_e32 v63, v63, v67
	global_store_b8 v63, v62, s[38:39]
	s_wait_xcnt 0x0
	s_or_b32 exec_lo, exec_lo, s18
	v_cmp_lt_u32_e64 s18, v68, v137
	s_and_saveexec_b32 s19, s18
	s_cbranch_execz .LBB289_172
.LBB289_244:                            ;   in Loop: Header=BB289_100 Depth=2
	ds_load_u8 v62, v2 offset:1024
	s_wait_dscnt 0x0
	v_and_b32_e32 v63, 0xff, v62
	v_xor_b32_e32 v62, 0x7f, v62
	s_delay_alu instid0(VALU_DEP_2) | instskip(NEXT) | instid1(VALU_DEP_1)
	v_lshrrev_b32_e32 v63, s48, v63
	v_and_b32_e32 v63, s58, v63
	s_delay_alu instid0(VALU_DEP_1)
	v_lshlrev_b32_e32 v63, 2, v63
	ds_load_b32 v63, v63
	s_wait_dscnt 0x0
	v_add_nc_u32_e32 v63, v63, v68
	global_store_b8 v63, v62, s[38:39]
	s_wait_xcnt 0x0
	s_or_b32 exec_lo, exec_lo, s19
	v_cmp_lt_u32_e64 s19, v69, v137
	s_and_saveexec_b32 s20, s19
	s_cbranch_execz .LBB289_173
.LBB289_245:                            ;   in Loop: Header=BB289_100 Depth=2
	ds_load_u8 v62, v2 offset:1280
	s_wait_dscnt 0x0
	v_and_b32_e32 v63, 0xff, v62
	v_xor_b32_e32 v62, 0x7f, v62
	s_delay_alu instid0(VALU_DEP_2) | instskip(NEXT) | instid1(VALU_DEP_1)
	v_lshrrev_b32_e32 v63, s48, v63
	v_and_b32_e32 v63, s58, v63
	s_delay_alu instid0(VALU_DEP_1)
	v_lshlrev_b32_e32 v63, 2, v63
	ds_load_b32 v63, v63
	s_wait_dscnt 0x0
	v_add_nc_u32_e32 v63, v63, v69
	global_store_b8 v63, v62, s[38:39]
	s_wait_xcnt 0x0
	s_or_b32 exec_lo, exec_lo, s20
	v_cmp_lt_u32_e64 s20, v70, v137
	s_and_saveexec_b32 s21, s20
	s_cbranch_execz .LBB289_174
.LBB289_246:                            ;   in Loop: Header=BB289_100 Depth=2
	ds_load_u8 v62, v2 offset:1536
	s_wait_dscnt 0x0
	v_and_b32_e32 v63, 0xff, v62
	v_xor_b32_e32 v62, 0x7f, v62
	s_delay_alu instid0(VALU_DEP_2) | instskip(NEXT) | instid1(VALU_DEP_1)
	v_lshrrev_b32_e32 v63, s48, v63
	v_and_b32_e32 v63, s58, v63
	s_delay_alu instid0(VALU_DEP_1)
	v_lshlrev_b32_e32 v63, 2, v63
	ds_load_b32 v63, v63
	s_wait_dscnt 0x0
	v_add_nc_u32_e32 v63, v63, v70
	global_store_b8 v63, v62, s[38:39]
	s_wait_xcnt 0x0
	s_or_b32 exec_lo, exec_lo, s21
	v_cmp_lt_u32_e64 s21, v71, v137
	s_and_saveexec_b32 s22, s21
	s_cbranch_execz .LBB289_175
.LBB289_247:                            ;   in Loop: Header=BB289_100 Depth=2
	ds_load_u8 v62, v2 offset:1792
	s_wait_dscnt 0x0
	v_and_b32_e32 v63, 0xff, v62
	v_xor_b32_e32 v62, 0x7f, v62
	s_delay_alu instid0(VALU_DEP_2) | instskip(NEXT) | instid1(VALU_DEP_1)
	v_lshrrev_b32_e32 v63, s48, v63
	v_and_b32_e32 v63, s58, v63
	s_delay_alu instid0(VALU_DEP_1)
	v_lshlrev_b32_e32 v63, 2, v63
	ds_load_b32 v63, v63
	s_wait_dscnt 0x0
	v_add_nc_u32_e32 v63, v63, v71
	global_store_b8 v63, v62, s[38:39]
	s_wait_xcnt 0x0
	s_or_b32 exec_lo, exec_lo, s22
	v_cmp_lt_u32_e64 s22, v72, v137
	s_and_saveexec_b32 s23, s22
	s_cbranch_execz .LBB289_176
.LBB289_248:                            ;   in Loop: Header=BB289_100 Depth=2
	ds_load_u8 v62, v2 offset:2048
	s_wait_dscnt 0x0
	v_and_b32_e32 v63, 0xff, v62
	v_xor_b32_e32 v62, 0x7f, v62
	s_delay_alu instid0(VALU_DEP_2) | instskip(NEXT) | instid1(VALU_DEP_1)
	v_lshrrev_b32_e32 v63, s48, v63
	v_and_b32_e32 v63, s58, v63
	s_delay_alu instid0(VALU_DEP_1)
	v_lshlrev_b32_e32 v63, 2, v63
	ds_load_b32 v63, v63
	s_wait_dscnt 0x0
	v_add_nc_u32_e32 v63, v63, v72
	global_store_b8 v63, v62, s[38:39]
	s_wait_xcnt 0x0
	s_or_b32 exec_lo, exec_lo, s23
	v_cmp_lt_u32_e64 s23, v73, v137
	s_and_saveexec_b32 s24, s23
	s_cbranch_execz .LBB289_177
.LBB289_249:                            ;   in Loop: Header=BB289_100 Depth=2
	ds_load_u8 v62, v2 offset:2304
	s_wait_dscnt 0x0
	v_and_b32_e32 v63, 0xff, v62
	v_xor_b32_e32 v62, 0x7f, v62
	s_delay_alu instid0(VALU_DEP_2) | instskip(NEXT) | instid1(VALU_DEP_1)
	v_lshrrev_b32_e32 v63, s48, v63
	v_and_b32_e32 v63, s58, v63
	s_delay_alu instid0(VALU_DEP_1)
	v_lshlrev_b32_e32 v63, 2, v63
	ds_load_b32 v63, v63
	s_wait_dscnt 0x0
	v_add_nc_u32_e32 v63, v63, v73
	global_store_b8 v63, v62, s[38:39]
	s_wait_xcnt 0x0
	s_or_b32 exec_lo, exec_lo, s24
	v_cmp_lt_u32_e64 s24, v74, v137
	s_and_saveexec_b32 s25, s24
	s_cbranch_execz .LBB289_178
.LBB289_250:                            ;   in Loop: Header=BB289_100 Depth=2
	ds_load_u8 v62, v2 offset:2560
	s_wait_dscnt 0x0
	v_and_b32_e32 v63, 0xff, v62
	v_xor_b32_e32 v62, 0x7f, v62
	s_delay_alu instid0(VALU_DEP_2) | instskip(NEXT) | instid1(VALU_DEP_1)
	v_lshrrev_b32_e32 v63, s48, v63
	v_and_b32_e32 v63, s58, v63
	s_delay_alu instid0(VALU_DEP_1)
	v_lshlrev_b32_e32 v63, 2, v63
	ds_load_b32 v63, v63
	s_wait_dscnt 0x0
	v_add_nc_u32_e32 v63, v63, v74
	global_store_b8 v63, v62, s[38:39]
	s_wait_xcnt 0x0
	s_or_b32 exec_lo, exec_lo, s25
	v_cmp_lt_u32_e64 s25, v75, v137
	s_and_saveexec_b32 s26, s25
	s_cbranch_execz .LBB289_179
.LBB289_251:                            ;   in Loop: Header=BB289_100 Depth=2
	ds_load_u8 v62, v2 offset:2816
	s_wait_dscnt 0x0
	v_and_b32_e32 v63, 0xff, v62
	v_xor_b32_e32 v62, 0x7f, v62
	s_delay_alu instid0(VALU_DEP_2) | instskip(NEXT) | instid1(VALU_DEP_1)
	v_lshrrev_b32_e32 v63, s48, v63
	v_and_b32_e32 v63, s58, v63
	s_delay_alu instid0(VALU_DEP_1)
	v_lshlrev_b32_e32 v63, 2, v63
	ds_load_b32 v63, v63
	s_wait_dscnt 0x0
	v_add_nc_u32_e32 v63, v63, v75
	global_store_b8 v63, v62, s[38:39]
	s_wait_xcnt 0x0
	s_or_b32 exec_lo, exec_lo, s26
	v_cmp_lt_u32_e64 s26, v76, v137
	s_and_saveexec_b32 s27, s26
	s_cbranch_execz .LBB289_180
.LBB289_252:                            ;   in Loop: Header=BB289_100 Depth=2
	ds_load_u8 v62, v2 offset:3072
	s_wait_dscnt 0x0
	v_and_b32_e32 v63, 0xff, v62
	v_xor_b32_e32 v62, 0x7f, v62
	s_delay_alu instid0(VALU_DEP_2) | instskip(NEXT) | instid1(VALU_DEP_1)
	v_lshrrev_b32_e32 v63, s48, v63
	v_and_b32_e32 v63, s58, v63
	s_delay_alu instid0(VALU_DEP_1)
	v_lshlrev_b32_e32 v63, 2, v63
	ds_load_b32 v63, v63
	s_wait_dscnt 0x0
	v_add_nc_u32_e32 v63, v63, v76
	global_store_b8 v63, v62, s[38:39]
	s_wait_xcnt 0x0
	s_or_b32 exec_lo, exec_lo, s27
	v_cmp_lt_u32_e64 s27, v77, v137
	s_and_saveexec_b32 s28, s27
	s_cbranch_execz .LBB289_181
.LBB289_253:                            ;   in Loop: Header=BB289_100 Depth=2
	ds_load_u8 v62, v2 offset:3328
	s_wait_dscnt 0x0
	v_and_b32_e32 v63, 0xff, v62
	v_xor_b32_e32 v62, 0x7f, v62
	s_delay_alu instid0(VALU_DEP_2) | instskip(NEXT) | instid1(VALU_DEP_1)
	v_lshrrev_b32_e32 v63, s48, v63
	v_and_b32_e32 v63, s58, v63
	s_delay_alu instid0(VALU_DEP_1)
	v_lshlrev_b32_e32 v63, 2, v63
	ds_load_b32 v63, v63
	s_wait_dscnt 0x0
	v_add_nc_u32_e32 v63, v63, v77
	global_store_b8 v63, v62, s[38:39]
	s_wait_xcnt 0x0
	s_or_b32 exec_lo, exec_lo, s28
	v_cmp_lt_u32_e64 s28, v78, v137
	s_and_saveexec_b32 s29, s28
	s_cbranch_execz .LBB289_182
.LBB289_254:                            ;   in Loop: Header=BB289_100 Depth=2
	ds_load_u8 v62, v2 offset:3584
	s_wait_dscnt 0x0
	v_and_b32_e32 v63, 0xff, v62
	v_xor_b32_e32 v62, 0x7f, v62
	s_delay_alu instid0(VALU_DEP_2) | instskip(NEXT) | instid1(VALU_DEP_1)
	v_lshrrev_b32_e32 v63, s48, v63
	v_and_b32_e32 v63, s58, v63
	s_delay_alu instid0(VALU_DEP_1)
	v_lshlrev_b32_e32 v63, 2, v63
	ds_load_b32 v63, v63
	s_wait_dscnt 0x0
	v_add_nc_u32_e32 v63, v63, v78
	global_store_b8 v63, v62, s[38:39]
	s_wait_xcnt 0x0
	s_or_b32 exec_lo, exec_lo, s29
	v_cmp_lt_u32_e64 s29, v79, v137
	s_and_saveexec_b32 s30, s29
	s_cbranch_execz .LBB289_183
.LBB289_255:                            ;   in Loop: Header=BB289_100 Depth=2
	ds_load_u8 v62, v2 offset:3840
	s_wait_dscnt 0x0
	v_and_b32_e32 v63, 0xff, v62
	v_xor_b32_e32 v62, 0x7f, v62
	s_delay_alu instid0(VALU_DEP_2) | instskip(NEXT) | instid1(VALU_DEP_1)
	v_lshrrev_b32_e32 v63, s48, v63
	v_and_b32_e32 v63, s58, v63
	s_delay_alu instid0(VALU_DEP_1)
	v_lshlrev_b32_e32 v63, 2, v63
	ds_load_b32 v63, v63
	s_wait_dscnt 0x0
	v_add_nc_u32_e32 v63, v63, v79
	global_store_b8 v63, v62, s[38:39]
	s_wait_xcnt 0x0
	s_or_b32 exec_lo, exec_lo, s30
	v_cmp_lt_u32_e64 s30, v80, v137
	s_and_saveexec_b32 s31, s30
	s_cbranch_execz .LBB289_184
.LBB289_256:                            ;   in Loop: Header=BB289_100 Depth=2
	ds_load_u8 v62, v2 offset:4096
	s_wait_dscnt 0x0
	v_and_b32_e32 v63, 0xff, v62
	v_xor_b32_e32 v62, 0x7f, v62
	s_delay_alu instid0(VALU_DEP_2) | instskip(NEXT) | instid1(VALU_DEP_1)
	v_lshrrev_b32_e32 v63, s48, v63
	v_and_b32_e32 v63, s58, v63
	s_delay_alu instid0(VALU_DEP_1)
	v_lshlrev_b32_e32 v63, 2, v63
	ds_load_b32 v63, v63
	s_wait_dscnt 0x0
	v_add_nc_u32_e32 v63, v63, v80
	global_store_b8 v63, v62, s[38:39]
	s_wait_xcnt 0x0
	s_or_b32 exec_lo, exec_lo, s31
	v_cmp_lt_u32_e64 s31, v81, v137
	s_and_saveexec_b32 s33, s31
	s_cbranch_execz .LBB289_185
.LBB289_257:                            ;   in Loop: Header=BB289_100 Depth=2
	ds_load_u8 v62, v2 offset:4352
	s_wait_dscnt 0x0
	v_and_b32_e32 v63, 0xff, v62
	v_xor_b32_e32 v62, 0x7f, v62
	s_delay_alu instid0(VALU_DEP_2) | instskip(NEXT) | instid1(VALU_DEP_1)
	v_lshrrev_b32_e32 v63, s48, v63
	v_and_b32_e32 v63, s58, v63
	s_delay_alu instid0(VALU_DEP_1)
	v_lshlrev_b32_e32 v63, 2, v63
	ds_load_b32 v63, v63
	s_wait_dscnt 0x0
	v_add_nc_u32_e32 v63, v63, v81
	global_store_b8 v63, v62, s[38:39]
	s_wait_xcnt 0x0
	s_or_b32 exec_lo, exec_lo, s33
	v_cmp_lt_u32_e64 s33, v82, v137
	s_and_saveexec_b32 s61, s33
	s_cbranch_execnz .LBB289_186
	s_branch .LBB289_187
.LBB289_258:                            ;   in Loop: Header=BB289_100 Depth=2
	global_load_b64 v[60:61], v[62:63], off
	s_wait_xcnt 0x0
	s_or_b32 exec_lo, exec_lo, s34
	s_delay_alu instid0(SALU_CYCLE_1)
	s_mov_b32 s61, exec_lo
	v_cmpx_lt_u32_e64 v98, v137
	s_cbranch_execz .LBB289_189
.LBB289_259:                            ;   in Loop: Header=BB289_100 Depth=2
	global_load_b64 v[58:59], v[62:63], off offset:256
	s_wait_xcnt 0x0
	s_or_b32 exec_lo, exec_lo, s61
	s_delay_alu instid0(SALU_CYCLE_1)
	s_mov_b32 s61, exec_lo
	v_cmpx_lt_u32_e64 v99, v137
	s_cbranch_execz .LBB289_190
.LBB289_260:                            ;   in Loop: Header=BB289_100 Depth=2
	global_load_b64 v[56:57], v[62:63], off offset:512
	s_wait_xcnt 0x0
	s_or_b32 exec_lo, exec_lo, s61
	s_delay_alu instid0(SALU_CYCLE_1)
	s_mov_b32 s61, exec_lo
	v_cmpx_lt_u32_e64 v100, v137
	s_cbranch_execz .LBB289_191
.LBB289_261:                            ;   in Loop: Header=BB289_100 Depth=2
	global_load_b64 v[54:55], v[62:63], off offset:768
	s_wait_xcnt 0x0
	s_or_b32 exec_lo, exec_lo, s61
	s_delay_alu instid0(SALU_CYCLE_1)
	s_mov_b32 s61, exec_lo
	v_cmpx_lt_u32_e64 v101, v137
	s_cbranch_execz .LBB289_192
.LBB289_262:                            ;   in Loop: Header=BB289_100 Depth=2
	global_load_b64 v[52:53], v[62:63], off offset:1024
	s_wait_xcnt 0x0
	s_or_b32 exec_lo, exec_lo, s61
	s_delay_alu instid0(SALU_CYCLE_1)
	s_mov_b32 s61, exec_lo
	v_cmpx_lt_u32_e64 v102, v137
	s_cbranch_execz .LBB289_193
.LBB289_263:                            ;   in Loop: Header=BB289_100 Depth=2
	global_load_b64 v[50:51], v[62:63], off offset:1280
	s_wait_xcnt 0x0
	s_or_b32 exec_lo, exec_lo, s61
	s_delay_alu instid0(SALU_CYCLE_1)
	s_mov_b32 s61, exec_lo
	v_cmpx_lt_u32_e64 v103, v137
	s_cbranch_execz .LBB289_194
.LBB289_264:                            ;   in Loop: Header=BB289_100 Depth=2
	global_load_b64 v[48:49], v[62:63], off offset:1536
	s_wait_xcnt 0x0
	s_or_b32 exec_lo, exec_lo, s61
	s_delay_alu instid0(SALU_CYCLE_1)
	s_mov_b32 s61, exec_lo
	v_cmpx_lt_u32_e64 v104, v137
	s_cbranch_execz .LBB289_195
.LBB289_265:                            ;   in Loop: Header=BB289_100 Depth=2
	global_load_b64 v[46:47], v[62:63], off offset:1792
	s_wait_xcnt 0x0
	s_or_b32 exec_lo, exec_lo, s61
	s_delay_alu instid0(SALU_CYCLE_1)
	s_mov_b32 s61, exec_lo
	v_cmpx_lt_u32_e64 v105, v137
	s_cbranch_execz .LBB289_196
.LBB289_266:                            ;   in Loop: Header=BB289_100 Depth=2
	global_load_b64 v[44:45], v[62:63], off offset:2048
	s_wait_xcnt 0x0
	s_or_b32 exec_lo, exec_lo, s61
	s_delay_alu instid0(SALU_CYCLE_1)
	s_mov_b32 s61, exec_lo
	v_cmpx_lt_u32_e64 v106, v137
	s_cbranch_execz .LBB289_197
.LBB289_267:                            ;   in Loop: Header=BB289_100 Depth=2
	global_load_b64 v[42:43], v[62:63], off offset:2304
	s_wait_xcnt 0x0
	s_or_b32 exec_lo, exec_lo, s61
	s_delay_alu instid0(SALU_CYCLE_1)
	s_mov_b32 s61, exec_lo
	v_cmpx_lt_u32_e64 v107, v137
	s_cbranch_execz .LBB289_198
.LBB289_268:                            ;   in Loop: Header=BB289_100 Depth=2
	global_load_b64 v[40:41], v[62:63], off offset:2560
	s_wait_xcnt 0x0
	s_or_b32 exec_lo, exec_lo, s61
	s_delay_alu instid0(SALU_CYCLE_1)
	s_mov_b32 s61, exec_lo
	v_cmpx_lt_u32_e64 v108, v137
	s_cbranch_execz .LBB289_199
.LBB289_269:                            ;   in Loop: Header=BB289_100 Depth=2
	global_load_b64 v[38:39], v[62:63], off offset:2816
	s_wait_xcnt 0x0
	s_or_b32 exec_lo, exec_lo, s61
	s_delay_alu instid0(SALU_CYCLE_1)
	s_mov_b32 s61, exec_lo
	v_cmpx_lt_u32_e64 v109, v137
	s_cbranch_execz .LBB289_200
.LBB289_270:                            ;   in Loop: Header=BB289_100 Depth=2
	global_load_b64 v[36:37], v[62:63], off offset:3072
	s_wait_xcnt 0x0
	s_or_b32 exec_lo, exec_lo, s61
	s_delay_alu instid0(SALU_CYCLE_1)
	s_mov_b32 s61, exec_lo
	v_cmpx_lt_u32_e64 v110, v137
	s_cbranch_execz .LBB289_201
.LBB289_271:                            ;   in Loop: Header=BB289_100 Depth=2
	global_load_b64 v[34:35], v[62:63], off offset:3328
	s_wait_xcnt 0x0
	s_or_b32 exec_lo, exec_lo, s61
	s_delay_alu instid0(SALU_CYCLE_1)
	s_mov_b32 s61, exec_lo
	v_cmpx_lt_u32_e64 v111, v137
	s_cbranch_execz .LBB289_202
.LBB289_272:                            ;   in Loop: Header=BB289_100 Depth=2
	global_load_b64 v[32:33], v[62:63], off offset:3584
	s_wait_xcnt 0x0
	s_or_b32 exec_lo, exec_lo, s61
	s_delay_alu instid0(SALU_CYCLE_1)
	s_mov_b32 s61, exec_lo
	v_cmpx_lt_u32_e64 v112, v137
	s_cbranch_execz .LBB289_203
.LBB289_273:                            ;   in Loop: Header=BB289_100 Depth=2
	global_load_b64 v[30:31], v[62:63], off offset:3840
	s_wait_xcnt 0x0
	s_or_b32 exec_lo, exec_lo, s61
	s_delay_alu instid0(SALU_CYCLE_1)
	s_mov_b32 s61, exec_lo
	v_cmpx_lt_u32_e64 v113, v137
	s_cbranch_execz .LBB289_204
.LBB289_274:                            ;   in Loop: Header=BB289_100 Depth=2
	global_load_b64 v[28:29], v[62:63], off offset:4096
	s_wait_xcnt 0x0
	s_or_b32 exec_lo, exec_lo, s61
	s_and_saveexec_b32 s34, vcc_lo
	s_cbranch_execz .LBB289_205
.LBB289_275:                            ;   in Loop: Header=BB289_100 Depth=2
	ds_load_u8 v62, v2 offset:512
	s_wait_dscnt 0x0
	v_lshrrev_b32_e32 v62, s48, v62
	s_delay_alu instid0(VALU_DEP_1)
	v_and_b32_e32 v132, s58, v62
	s_or_b32 exec_lo, exec_lo, s34
	s_and_saveexec_b32 s34, s17
	s_cbranch_execz .LBB289_206
.LBB289_276:                            ;   in Loop: Header=BB289_100 Depth=2
	ds_load_u8 v62, v2 offset:768
	s_wait_dscnt 0x0
	v_lshrrev_b32_e32 v62, s48, v62
	s_delay_alu instid0(VALU_DEP_1)
	v_and_b32_e32 v131, s58, v62
	s_or_b32 exec_lo, exec_lo, s34
	s_and_saveexec_b32 s34, s18
	s_cbranch_execz .LBB289_207
.LBB289_277:                            ;   in Loop: Header=BB289_100 Depth=2
	ds_load_u8 v62, v2 offset:1024
	s_wait_dscnt 0x0
	v_lshrrev_b32_e32 v62, s48, v62
	s_delay_alu instid0(VALU_DEP_1)
	v_and_b32_e32 v130, s58, v62
	s_or_b32 exec_lo, exec_lo, s34
	s_and_saveexec_b32 s34, s19
	s_cbranch_execz .LBB289_208
.LBB289_278:                            ;   in Loop: Header=BB289_100 Depth=2
	ds_load_u8 v62, v2 offset:1280
	s_wait_dscnt 0x0
	v_lshrrev_b32_e32 v62, s48, v62
	s_delay_alu instid0(VALU_DEP_1)
	v_and_b32_e32 v129, s58, v62
	s_or_b32 exec_lo, exec_lo, s34
	s_and_saveexec_b32 s34, s20
	s_cbranch_execz .LBB289_209
.LBB289_279:                            ;   in Loop: Header=BB289_100 Depth=2
	ds_load_u8 v62, v2 offset:1536
	s_wait_dscnt 0x0
	v_lshrrev_b32_e32 v62, s48, v62
	s_delay_alu instid0(VALU_DEP_1)
	v_and_b32_e32 v128, s58, v62
	s_or_b32 exec_lo, exec_lo, s34
	s_and_saveexec_b32 s34, s21
	s_cbranch_execz .LBB289_210
.LBB289_280:                            ;   in Loop: Header=BB289_100 Depth=2
	ds_load_u8 v62, v2 offset:1792
	s_wait_dscnt 0x0
	v_lshrrev_b32_e32 v62, s48, v62
	s_delay_alu instid0(VALU_DEP_1)
	v_and_b32_e32 v127, s58, v62
	s_or_b32 exec_lo, exec_lo, s34
	s_and_saveexec_b32 s34, s22
	s_cbranch_execz .LBB289_211
.LBB289_281:                            ;   in Loop: Header=BB289_100 Depth=2
	ds_load_u8 v62, v2 offset:2048
	s_wait_dscnt 0x0
	v_lshrrev_b32_e32 v62, s48, v62
	s_delay_alu instid0(VALU_DEP_1)
	v_and_b32_e32 v126, s58, v62
	s_or_b32 exec_lo, exec_lo, s34
	s_and_saveexec_b32 s34, s23
	s_cbranch_execz .LBB289_212
.LBB289_282:                            ;   in Loop: Header=BB289_100 Depth=2
	ds_load_u8 v62, v2 offset:2304
	s_wait_dscnt 0x0
	v_lshrrev_b32_e32 v62, s48, v62
	s_delay_alu instid0(VALU_DEP_1)
	v_and_b32_e32 v125, s58, v62
	s_or_b32 exec_lo, exec_lo, s34
	s_and_saveexec_b32 s34, s24
	s_cbranch_execz .LBB289_213
.LBB289_283:                            ;   in Loop: Header=BB289_100 Depth=2
	ds_load_u8 v62, v2 offset:2560
	s_wait_dscnt 0x0
	v_lshrrev_b32_e32 v62, s48, v62
	s_delay_alu instid0(VALU_DEP_1)
	v_and_b32_e32 v124, s58, v62
	s_or_b32 exec_lo, exec_lo, s34
	s_and_saveexec_b32 s34, s25
	s_cbranch_execz .LBB289_214
.LBB289_284:                            ;   in Loop: Header=BB289_100 Depth=2
	ds_load_u8 v62, v2 offset:2816
	s_wait_dscnt 0x0
	v_lshrrev_b32_e32 v62, s48, v62
	s_delay_alu instid0(VALU_DEP_1)
	v_and_b32_e32 v123, s58, v62
	s_or_b32 exec_lo, exec_lo, s34
	s_and_saveexec_b32 s34, s26
	s_cbranch_execz .LBB289_215
.LBB289_285:                            ;   in Loop: Header=BB289_100 Depth=2
	ds_load_u8 v62, v2 offset:3072
	s_wait_dscnt 0x0
	v_lshrrev_b32_e32 v62, s48, v62
	s_delay_alu instid0(VALU_DEP_1)
	v_and_b32_e32 v122, s58, v62
	s_or_b32 exec_lo, exec_lo, s34
	s_and_saveexec_b32 s34, s27
	s_cbranch_execz .LBB289_216
.LBB289_286:                            ;   in Loop: Header=BB289_100 Depth=2
	ds_load_u8 v62, v2 offset:3328
	s_wait_dscnt 0x0
	v_lshrrev_b32_e32 v62, s48, v62
	s_delay_alu instid0(VALU_DEP_1)
	v_and_b32_e32 v121, s58, v62
	s_or_b32 exec_lo, exec_lo, s34
	s_and_saveexec_b32 s34, s28
	s_cbranch_execz .LBB289_217
.LBB289_287:                            ;   in Loop: Header=BB289_100 Depth=2
	ds_load_u8 v62, v2 offset:3584
	s_wait_dscnt 0x0
	v_lshrrev_b32_e32 v62, s48, v62
	s_delay_alu instid0(VALU_DEP_1)
	v_and_b32_e32 v120, s58, v62
	s_or_b32 exec_lo, exec_lo, s34
	s_and_saveexec_b32 s34, s29
	s_cbranch_execz .LBB289_218
.LBB289_288:                            ;   in Loop: Header=BB289_100 Depth=2
	ds_load_u8 v62, v2 offset:3840
	s_wait_dscnt 0x0
	v_lshrrev_b32_e32 v62, s48, v62
	s_delay_alu instid0(VALU_DEP_1)
	v_and_b32_e32 v119, s58, v62
	s_or_b32 exec_lo, exec_lo, s34
	s_and_saveexec_b32 s34, s30
	s_cbranch_execz .LBB289_219
.LBB289_289:                            ;   in Loop: Header=BB289_100 Depth=2
	ds_load_u8 v62, v2 offset:4096
	s_wait_dscnt 0x0
	v_lshrrev_b32_e32 v62, s48, v62
	s_delay_alu instid0(VALU_DEP_1)
	v_and_b32_e32 v118, s58, v62
	s_or_b32 exec_lo, exec_lo, s34
	s_and_saveexec_b32 s34, s31
	s_cbranch_execz .LBB289_220
.LBB289_290:                            ;   in Loop: Header=BB289_100 Depth=2
	ds_load_u8 v62, v2 offset:4352
	s_wait_dscnt 0x0
	v_lshrrev_b32_e32 v62, s48, v62
	s_delay_alu instid0(VALU_DEP_1)
	v_and_b32_e32 v117, s58, v62
	s_or_b32 exec_lo, exec_lo, s34
	s_and_saveexec_b32 s34, s33
	s_cbranch_execnz .LBB289_221
	s_branch .LBB289_222
.LBB289_291:                            ;   in Loop: Header=BB289_100 Depth=2
	v_dual_lshlrev_b32 v62, 2, v132 :: v_dual_add_nc_u32 v63, v2, v95
	ds_load_b32 v64, v62
	ds_load_b64 v[62:63], v63 offset:512
	s_wait_dscnt 0x1
	v_add_nc_u32_e32 v64, v64, v2
	s_wait_dscnt 0x0
	global_store_b64 v64, v[62:63], s[44:45] scale_offset
	s_wait_xcnt 0x0
	s_or_b32 exec_lo, exec_lo, s34
	s_and_saveexec_b32 s34, s17
	s_cbranch_execz .LBB289_224
.LBB289_292:                            ;   in Loop: Header=BB289_100 Depth=2
	v_lshlrev_b32_e32 v62, 2, v131
	v_add_nc_u32_e32 v63, v2, v95
	ds_load_b32 v64, v62
	ds_load_b64 v[62:63], v63 offset:2560
	s_wait_dscnt 0x1
	v_add_nc_u32_e32 v64, v64, v67
	s_wait_dscnt 0x0
	global_store_b64 v64, v[62:63], s[44:45] scale_offset
	s_wait_xcnt 0x0
	s_or_b32 exec_lo, exec_lo, s34
	s_and_saveexec_b32 s17, s18
	s_cbranch_execz .LBB289_225
.LBB289_293:                            ;   in Loop: Header=BB289_100 Depth=2
	v_dual_lshlrev_b32 v62, 2, v130 :: v_dual_add_nc_u32 v63, v2, v95
	ds_load_b32 v64, v62
	ds_load_b64 v[62:63], v63 offset:4608
	s_wait_dscnt 0x1
	v_add_nc_u32_e32 v64, v64, v68
	s_wait_dscnt 0x0
	global_store_b64 v64, v[62:63], s[44:45] scale_offset
	s_wait_xcnt 0x0
	s_or_b32 exec_lo, exec_lo, s17
	s_and_saveexec_b32 s17, s19
	s_cbranch_execz .LBB289_226
.LBB289_294:                            ;   in Loop: Header=BB289_100 Depth=2
	v_dual_lshlrev_b32 v62, 2, v129 :: v_dual_add_nc_u32 v63, v2, v95
	ds_load_b32 v64, v62
	ds_load_b64 v[62:63], v63 offset:6656
	s_wait_dscnt 0x1
	v_add_nc_u32_e32 v64, v64, v69
	s_wait_dscnt 0x0
	global_store_b64 v64, v[62:63], s[44:45] scale_offset
	s_wait_xcnt 0x0
	s_or_b32 exec_lo, exec_lo, s17
	s_and_saveexec_b32 s17, s20
	s_cbranch_execz .LBB289_227
.LBB289_295:                            ;   in Loop: Header=BB289_100 Depth=2
	v_dual_lshlrev_b32 v62, 2, v128 :: v_dual_add_nc_u32 v63, v2, v95
	ds_load_b32 v64, v62
	ds_load_b64 v[62:63], v63 offset:8704
	s_wait_dscnt 0x1
	v_add_nc_u32_e32 v64, v64, v70
	s_wait_dscnt 0x0
	global_store_b64 v64, v[62:63], s[44:45] scale_offset
	s_wait_xcnt 0x0
	s_or_b32 exec_lo, exec_lo, s17
	s_and_saveexec_b32 s17, s21
	s_cbranch_execz .LBB289_228
.LBB289_296:                            ;   in Loop: Header=BB289_100 Depth=2
	v_lshlrev_b32_e32 v62, 2, v127
	v_add_nc_u32_e32 v63, v2, v95
	ds_load_b32 v64, v62
	ds_load_b64 v[62:63], v63 offset:10752
	s_wait_dscnt 0x1
	v_add_nc_u32_e32 v64, v64, v71
	s_wait_dscnt 0x0
	global_store_b64 v64, v[62:63], s[44:45] scale_offset
	s_wait_xcnt 0x0
	s_or_b32 exec_lo, exec_lo, s17
	s_and_saveexec_b32 s17, s22
	s_cbranch_execz .LBB289_229
.LBB289_297:                            ;   in Loop: Header=BB289_100 Depth=2
	v_dual_lshlrev_b32 v62, 2, v126 :: v_dual_add_nc_u32 v63, v2, v95
	ds_load_b32 v64, v62
	ds_load_b64 v[62:63], v63 offset:12800
	s_wait_dscnt 0x1
	v_add_nc_u32_e32 v64, v64, v72
	s_wait_dscnt 0x0
	global_store_b64 v64, v[62:63], s[44:45] scale_offset
	s_wait_xcnt 0x0
	s_or_b32 exec_lo, exec_lo, s17
	s_and_saveexec_b32 s17, s23
	s_cbranch_execz .LBB289_230
.LBB289_298:                            ;   in Loop: Header=BB289_100 Depth=2
	v_dual_lshlrev_b32 v62, 2, v125 :: v_dual_add_nc_u32 v63, v2, v95
	ds_load_b32 v64, v62
	ds_load_b64 v[62:63], v63 offset:14848
	s_wait_dscnt 0x1
	v_add_nc_u32_e32 v64, v64, v73
	s_wait_dscnt 0x0
	global_store_b64 v64, v[62:63], s[44:45] scale_offset
	s_wait_xcnt 0x0
	s_or_b32 exec_lo, exec_lo, s17
	s_and_saveexec_b32 s17, s24
	s_cbranch_execz .LBB289_231
.LBB289_299:                            ;   in Loop: Header=BB289_100 Depth=2
	v_dual_lshlrev_b32 v62, 2, v124 :: v_dual_add_nc_u32 v63, v2, v95
	ds_load_b32 v64, v62
	ds_load_b64 v[62:63], v63 offset:16896
	s_wait_dscnt 0x1
	v_add_nc_u32_e32 v64, v64, v74
	s_wait_dscnt 0x0
	global_store_b64 v64, v[62:63], s[44:45] scale_offset
	s_wait_xcnt 0x0
	s_or_b32 exec_lo, exec_lo, s17
	s_and_saveexec_b32 s17, s25
	s_cbranch_execz .LBB289_232
.LBB289_300:                            ;   in Loop: Header=BB289_100 Depth=2
	v_lshlrev_b32_e32 v62, 2, v123
	v_add_nc_u32_e32 v63, v2, v95
	ds_load_b32 v64, v62
	ds_load_b64 v[62:63], v63 offset:18944
	s_wait_dscnt 0x1
	v_add_nc_u32_e32 v64, v64, v75
	s_wait_dscnt 0x0
	global_store_b64 v64, v[62:63], s[44:45] scale_offset
	s_wait_xcnt 0x0
	s_or_b32 exec_lo, exec_lo, s17
	s_and_saveexec_b32 s17, s26
	s_cbranch_execz .LBB289_233
.LBB289_301:                            ;   in Loop: Header=BB289_100 Depth=2
	v_dual_lshlrev_b32 v62, 2, v122 :: v_dual_add_nc_u32 v63, v2, v95
	ds_load_b32 v64, v62
	ds_load_b64 v[62:63], v63 offset:20992
	s_wait_dscnt 0x1
	v_add_nc_u32_e32 v64, v64, v76
	s_wait_dscnt 0x0
	global_store_b64 v64, v[62:63], s[44:45] scale_offset
	s_wait_xcnt 0x0
	s_or_b32 exec_lo, exec_lo, s17
	s_and_saveexec_b32 s17, s27
	s_cbranch_execz .LBB289_234
.LBB289_302:                            ;   in Loop: Header=BB289_100 Depth=2
	v_dual_lshlrev_b32 v62, 2, v121 :: v_dual_add_nc_u32 v63, v2, v95
	ds_load_b32 v64, v62
	ds_load_b64 v[62:63], v63 offset:23040
	s_wait_dscnt 0x1
	v_add_nc_u32_e32 v64, v64, v77
	s_wait_dscnt 0x0
	global_store_b64 v64, v[62:63], s[44:45] scale_offset
	s_wait_xcnt 0x0
	s_or_b32 exec_lo, exec_lo, s17
	s_and_saveexec_b32 s17, s28
	s_cbranch_execz .LBB289_235
.LBB289_303:                            ;   in Loop: Header=BB289_100 Depth=2
	v_dual_lshlrev_b32 v62, 2, v120 :: v_dual_add_nc_u32 v63, v2, v95
	ds_load_b32 v64, v62
	ds_load_b64 v[62:63], v63 offset:25088
	s_wait_dscnt 0x1
	v_add_nc_u32_e32 v64, v64, v78
	s_wait_dscnt 0x0
	global_store_b64 v64, v[62:63], s[44:45] scale_offset
	s_wait_xcnt 0x0
	s_or_b32 exec_lo, exec_lo, s17
	s_and_saveexec_b32 s17, s29
	s_cbranch_execz .LBB289_236
.LBB289_304:                            ;   in Loop: Header=BB289_100 Depth=2
	v_lshlrev_b32_e32 v62, 2, v119
	v_add_nc_u32_e32 v63, v2, v95
	ds_load_b32 v64, v62
	ds_load_b64 v[62:63], v63 offset:27136
	s_wait_dscnt 0x1
	v_add_nc_u32_e32 v64, v64, v79
	s_wait_dscnt 0x0
	global_store_b64 v64, v[62:63], s[44:45] scale_offset
	s_wait_xcnt 0x0
	s_or_b32 exec_lo, exec_lo, s17
	s_and_saveexec_b32 s17, s30
	s_cbranch_execz .LBB289_237
.LBB289_305:                            ;   in Loop: Header=BB289_100 Depth=2
	v_dual_lshlrev_b32 v62, 2, v118 :: v_dual_add_nc_u32 v63, v2, v95
	ds_load_b32 v64, v62
	ds_load_b64 v[62:63], v63 offset:29184
	s_wait_dscnt 0x1
	v_add_nc_u32_e32 v64, v64, v80
	s_wait_dscnt 0x0
	global_store_b64 v64, v[62:63], s[44:45] scale_offset
	s_wait_xcnt 0x0
	s_or_b32 exec_lo, exec_lo, s17
	s_and_saveexec_b32 s17, s31
	s_cbranch_execz .LBB289_238
.LBB289_306:                            ;   in Loop: Header=BB289_100 Depth=2
	v_dual_lshlrev_b32 v62, 2, v117 :: v_dual_add_nc_u32 v63, v2, v95
	ds_load_b32 v64, v62
	ds_load_b64 v[62:63], v63 offset:31232
	s_wait_dscnt 0x1
	v_add_nc_u32_e32 v64, v64, v81
	s_wait_dscnt 0x0
	global_store_b64 v64, v[62:63], s[44:45] scale_offset
	s_wait_xcnt 0x0
	s_or_b32 exec_lo, exec_lo, s17
	s_and_saveexec_b32 s17, s33
	s_cbranch_execnz .LBB289_239
	s_branch .LBB289_240
.LBB289_307:                            ;   in Loop: Header=BB289_100 Depth=2
	global_load_u8 v147, v[62:63], off
	v_dual_mov_b32 v115, 0x80 :: v_dual_mov_b32 v150, 0x80
	v_dual_mov_b32 v148, 0x80 :: v_dual_mov_b32 v151, 0x80
	v_dual_mov_b32 v142, 0x80 :: v_dual_mov_b32 v145, 0x80
	v_dual_mov_b32 v143, 0x80 :: v_dual_mov_b32 v144, 0x80
	v_dual_mov_b32 v138, 0x80 :: v_dual_mov_b32 v141, 0x80
	v_dual_mov_b32 v139, 0x80 :: v_dual_mov_b32 v140, 0x80
	v_dual_mov_b32 v64, 0x80 :: v_dual_mov_b32 v65, 0x80
	v_dual_mov_b32 v136, 0x80 :: v_dual_mov_b32 v135, 0x80
	s_wait_xcnt 0x0
	s_or_b32 exec_lo, exec_lo, s17
	s_delay_alu instid0(SALU_CYCLE_1)
	s_mov_b32 s17, exec_lo
	v_cmpx_gt_u32_e64 s59, v98
	s_cbranch_execz .LBB289_105
.LBB289_308:                            ;   in Loop: Header=BB289_100 Depth=2
	global_load_u8 v150, v[62:63], off offset:32
	s_wait_xcnt 0x0
	s_or_b32 exec_lo, exec_lo, s17
	s_delay_alu instid0(SALU_CYCLE_1)
	s_mov_b32 s17, exec_lo
	v_cmpx_gt_u32_e64 s59, v99
	s_cbranch_execz .LBB289_106
.LBB289_309:                            ;   in Loop: Header=BB289_100 Depth=2
	global_load_u8 v148, v[62:63], off offset:64
	s_wait_xcnt 0x0
	s_or_b32 exec_lo, exec_lo, s17
	s_delay_alu instid0(SALU_CYCLE_1)
	s_mov_b32 s17, exec_lo
	v_cmpx_gt_u32_e64 s59, v100
	s_cbranch_execz .LBB289_107
.LBB289_310:                            ;   in Loop: Header=BB289_100 Depth=2
	global_load_u8 v151, v[62:63], off offset:96
	s_wait_xcnt 0x0
	s_or_b32 exec_lo, exec_lo, s17
	s_delay_alu instid0(SALU_CYCLE_1)
	s_mov_b32 s17, exec_lo
	v_cmpx_gt_u32_e64 s59, v101
	s_cbranch_execz .LBB289_108
.LBB289_311:                            ;   in Loop: Header=BB289_100 Depth=2
	global_load_u8 v142, v[62:63], off offset:128
	s_wait_xcnt 0x0
	s_or_b32 exec_lo, exec_lo, s17
	s_delay_alu instid0(SALU_CYCLE_1)
	s_mov_b32 s17, exec_lo
	v_cmpx_gt_u32_e64 s59, v102
	s_cbranch_execz .LBB289_109
.LBB289_312:                            ;   in Loop: Header=BB289_100 Depth=2
	global_load_u8 v145, v[62:63], off offset:160
	s_wait_xcnt 0x0
	s_or_b32 exec_lo, exec_lo, s17
	s_delay_alu instid0(SALU_CYCLE_1)
	s_mov_b32 s17, exec_lo
	v_cmpx_gt_u32_e64 s59, v103
	s_cbranch_execz .LBB289_110
.LBB289_313:                            ;   in Loop: Header=BB289_100 Depth=2
	global_load_u8 v143, v[62:63], off offset:192
	s_wait_xcnt 0x0
	s_or_b32 exec_lo, exec_lo, s17
	s_delay_alu instid0(SALU_CYCLE_1)
	s_mov_b32 s17, exec_lo
	v_cmpx_gt_u32_e64 s59, v104
	s_cbranch_execz .LBB289_111
.LBB289_314:                            ;   in Loop: Header=BB289_100 Depth=2
	global_load_u8 v144, v[62:63], off offset:224
	s_wait_xcnt 0x0
	s_or_b32 exec_lo, exec_lo, s17
	s_delay_alu instid0(SALU_CYCLE_1)
	s_mov_b32 s17, exec_lo
	v_cmpx_gt_u32_e64 s59, v105
	s_cbranch_execz .LBB289_112
.LBB289_315:                            ;   in Loop: Header=BB289_100 Depth=2
	global_load_u8 v138, v[62:63], off offset:256
	s_wait_xcnt 0x0
	s_or_b32 exec_lo, exec_lo, s17
	s_delay_alu instid0(SALU_CYCLE_1)
	s_mov_b32 s17, exec_lo
	v_cmpx_gt_u32_e64 s59, v106
	s_cbranch_execz .LBB289_113
.LBB289_316:                            ;   in Loop: Header=BB289_100 Depth=2
	global_load_u8 v141, v[62:63], off offset:288
	s_wait_xcnt 0x0
	s_or_b32 exec_lo, exec_lo, s17
	s_delay_alu instid0(SALU_CYCLE_1)
	s_mov_b32 s17, exec_lo
	v_cmpx_gt_u32_e64 s59, v107
	s_cbranch_execz .LBB289_114
.LBB289_317:                            ;   in Loop: Header=BB289_100 Depth=2
	global_load_u8 v139, v[62:63], off offset:320
	s_wait_xcnt 0x0
	s_or_b32 exec_lo, exec_lo, s17
	s_delay_alu instid0(SALU_CYCLE_1)
	s_mov_b32 s17, exec_lo
	v_cmpx_gt_u32_e64 s59, v108
	s_cbranch_execz .LBB289_115
.LBB289_318:                            ;   in Loop: Header=BB289_100 Depth=2
	global_load_u8 v140, v[62:63], off offset:352
	s_wait_xcnt 0x0
	s_or_b32 exec_lo, exec_lo, s17
	s_delay_alu instid0(SALU_CYCLE_1)
	s_mov_b32 s17, exec_lo
	v_cmpx_gt_u32_e64 s59, v109
	s_cbranch_execz .LBB289_116
.LBB289_319:                            ;   in Loop: Header=BB289_100 Depth=2
	global_load_u8 v64, v[62:63], off offset:384
	s_wait_xcnt 0x0
	s_or_b32 exec_lo, exec_lo, s17
	s_delay_alu instid0(SALU_CYCLE_1)
	s_mov_b32 s17, exec_lo
	v_cmpx_gt_u32_e64 s59, v110
	s_cbranch_execz .LBB289_117
.LBB289_320:                            ;   in Loop: Header=BB289_100 Depth=2
	global_load_u8 v136, v[62:63], off offset:416
	s_wait_xcnt 0x0
	s_or_b32 exec_lo, exec_lo, s17
	s_delay_alu instid0(SALU_CYCLE_1)
	s_mov_b32 s17, exec_lo
	v_cmpx_gt_u32_e64 s59, v111
	s_cbranch_execz .LBB289_118
.LBB289_321:                            ;   in Loop: Header=BB289_100 Depth=2
	global_load_u8 v65, v[62:63], off offset:448
	s_wait_xcnt 0x0
	s_or_b32 exec_lo, exec_lo, s17
	s_delay_alu instid0(SALU_CYCLE_1)
	s_mov_b32 s17, exec_lo
	v_cmpx_gt_u32_e64 s59, v112
	s_cbranch_execnz .LBB289_119
	s_branch .LBB289_120
.LBB289_322:                            ;   in Loop: Header=BB289_12 Depth=1
	s_wait_dscnt 0x0
	s_barrier_signal -1
	s_mov_b32 s8, 0
	s_barrier_wait -1
.LBB289_323:                            ;   in Loop: Header=BB289_12 Depth=1
	s_and_b32 vcc_lo, exec_lo, s8
	s_cbranch_vccz .LBB289_633
; %bb.324:                              ;   in Loop: Header=BB289_12 Depth=1
	v_dual_mov_b32 v39, 0 :: v_dual_mov_b32 v42, 0
	v_dual_mov_b32 v41, 0 :: v_dual_mov_b32 v40, 0
	;; [unrolled: 1-line block ×8, first 2 shown]
	v_mov_b32_e32 v26, 0
	s_mov_b32 s8, s57
	s_mov_b32 s34, s55
	s_barrier_signal -1
	s_barrier_wait -1
	s_branch .LBB289_326
.LBB289_325:                            ;   in Loop: Header=BB289_326 Depth=2
	s_or_b32 exec_lo, exec_lo, s10
	s_addk_co_i32 s8, 0xef00
	s_cmp_ge_u32 s9, s54
	s_mov_b32 s34, s9
	s_cbranch_scc1 .LBB289_398
.LBB289_326:                            ;   Parent Loop BB289_12 Depth=1
                                        ; =>  This Inner Loop Header: Depth=2
	s_add_co_i32 s9, s34, 0x1100
	s_mov_b32 s10, -1
	s_cmp_gt_u32 s9, s54
                                        ; implicit-def: $vgpr24
                                        ; implicit-def: $vgpr25
                                        ; implicit-def: $vgpr43
                                        ; implicit-def: $vgpr44
                                        ; implicit-def: $vgpr45
                                        ; implicit-def: $vgpr46
                                        ; implicit-def: $vgpr47
                                        ; implicit-def: $vgpr48
                                        ; implicit-def: $vgpr49
                                        ; implicit-def: $vgpr50
                                        ; implicit-def: $vgpr51
                                        ; implicit-def: $vgpr52
                                        ; implicit-def: $vgpr53
                                        ; implicit-def: $vgpr54
                                        ; implicit-def: $vgpr55
                                        ; implicit-def: $vgpr56
                                        ; implicit-def: $vgpr57
	s_cbranch_scc1 .LBB289_328
; %bb.327:                              ;   in Loop: Header=BB289_326 Depth=2
	v_add_nc_u64_e32 v[58:59], s[34:35], v[12:13]
	s_mov_b32 s10, 0
	s_clause 0x10
	global_load_u8 v57, v[58:59], off offset:4096
	global_load_u8 v56, v[58:59], off offset:3840
	;; [unrolled: 1-line block ×16, first 2 shown]
	global_load_u8 v24, v[58:59], off
.LBB289_328:                            ;   in Loop: Header=BB289_326 Depth=2
	s_and_not1_b32 vcc_lo, exec_lo, s10
	s_movk_i32 s10, 0x1100
	s_cbranch_vccnz .LBB289_348
; %bb.329:                              ;   in Loop: Header=BB289_326 Depth=2
	s_add_nc_u64 s[10:11], s[38:39], s[34:35]
	s_wait_loadcnt 0x0
	v_add_nc_u64_e32 v[24:25], s[10:11], v[2:3]
	s_mov_b32 s10, exec_lo
	s_wait_xcnt 0x0
	v_cmpx_gt_u32_e64 s8, v2
	s_cbranch_execnz .LBB289_382
; %bb.330:                              ;   in Loop: Header=BB289_326 Depth=2
	s_or_b32 exec_lo, exec_lo, s10
	s_delay_alu instid0(SALU_CYCLE_1)
	s_mov_b32 s10, exec_lo
	v_cmpx_gt_u32_e64 s8, v67
	s_cbranch_execnz .LBB289_383
.LBB289_331:                            ;   in Loop: Header=BB289_326 Depth=2
	s_or_b32 exec_lo, exec_lo, s10
	s_delay_alu instid0(SALU_CYCLE_1)
	s_mov_b32 s10, exec_lo
	v_cmpx_gt_u32_e64 s8, v68
	s_cbranch_execnz .LBB289_384
.LBB289_332:                            ;   in Loop: Header=BB289_326 Depth=2
	s_or_b32 exec_lo, exec_lo, s10
	s_delay_alu instid0(SALU_CYCLE_1)
	s_mov_b32 s10, exec_lo
	v_cmpx_gt_u32_e64 s8, v69
	s_cbranch_execnz .LBB289_385
.LBB289_333:                            ;   in Loop: Header=BB289_326 Depth=2
	s_or_b32 exec_lo, exec_lo, s10
	s_delay_alu instid0(SALU_CYCLE_1)
	s_mov_b32 s10, exec_lo
	v_cmpx_gt_u32_e64 s8, v70
	s_cbranch_execnz .LBB289_386
.LBB289_334:                            ;   in Loop: Header=BB289_326 Depth=2
	s_or_b32 exec_lo, exec_lo, s10
	s_delay_alu instid0(SALU_CYCLE_1)
	s_mov_b32 s10, exec_lo
	v_cmpx_gt_u32_e64 s8, v71
	s_cbranch_execnz .LBB289_387
.LBB289_335:                            ;   in Loop: Header=BB289_326 Depth=2
	s_or_b32 exec_lo, exec_lo, s10
	s_delay_alu instid0(SALU_CYCLE_1)
	s_mov_b32 s10, exec_lo
	v_cmpx_gt_u32_e64 s8, v72
	s_cbranch_execnz .LBB289_388
.LBB289_336:                            ;   in Loop: Header=BB289_326 Depth=2
	s_or_b32 exec_lo, exec_lo, s10
	s_delay_alu instid0(SALU_CYCLE_1)
	s_mov_b32 s10, exec_lo
	v_cmpx_gt_u32_e64 s8, v73
	s_cbranch_execnz .LBB289_389
.LBB289_337:                            ;   in Loop: Header=BB289_326 Depth=2
	s_or_b32 exec_lo, exec_lo, s10
	s_delay_alu instid0(SALU_CYCLE_1)
	s_mov_b32 s10, exec_lo
	v_cmpx_gt_u32_e64 s8, v74
	s_cbranch_execnz .LBB289_390
.LBB289_338:                            ;   in Loop: Header=BB289_326 Depth=2
	s_or_b32 exec_lo, exec_lo, s10
	s_delay_alu instid0(SALU_CYCLE_1)
	s_mov_b32 s10, exec_lo
	v_cmpx_gt_u32_e64 s8, v75
	s_cbranch_execnz .LBB289_391
.LBB289_339:                            ;   in Loop: Header=BB289_326 Depth=2
	s_or_b32 exec_lo, exec_lo, s10
	s_delay_alu instid0(SALU_CYCLE_1)
	s_mov_b32 s10, exec_lo
	v_cmpx_gt_u32_e64 s8, v76
	s_cbranch_execnz .LBB289_392
.LBB289_340:                            ;   in Loop: Header=BB289_326 Depth=2
	s_or_b32 exec_lo, exec_lo, s10
	s_delay_alu instid0(SALU_CYCLE_1)
	s_mov_b32 s10, exec_lo
	v_cmpx_gt_u32_e64 s8, v77
	s_cbranch_execnz .LBB289_393
.LBB289_341:                            ;   in Loop: Header=BB289_326 Depth=2
	s_or_b32 exec_lo, exec_lo, s10
	s_delay_alu instid0(SALU_CYCLE_1)
	s_mov_b32 s10, exec_lo
	v_cmpx_gt_u32_e64 s8, v78
	s_cbranch_execnz .LBB289_394
.LBB289_342:                            ;   in Loop: Header=BB289_326 Depth=2
	s_or_b32 exec_lo, exec_lo, s10
	s_delay_alu instid0(SALU_CYCLE_1)
	s_mov_b32 s10, exec_lo
	v_cmpx_gt_u32_e64 s8, v79
	s_cbranch_execnz .LBB289_395
.LBB289_343:                            ;   in Loop: Header=BB289_326 Depth=2
	s_or_b32 exec_lo, exec_lo, s10
	s_delay_alu instid0(SALU_CYCLE_1)
	s_mov_b32 s10, exec_lo
	v_cmpx_gt_u32_e64 s8, v80
	s_cbranch_execnz .LBB289_396
.LBB289_344:                            ;   in Loop: Header=BB289_326 Depth=2
	s_or_b32 exec_lo, exec_lo, s10
	s_delay_alu instid0(SALU_CYCLE_1)
	s_mov_b32 s10, exec_lo
	v_cmpx_gt_u32_e64 s8, v81
	s_cbranch_execnz .LBB289_397
.LBB289_345:                            ;   in Loop: Header=BB289_326 Depth=2
	s_or_b32 exec_lo, exec_lo, s10
	s_delay_alu instid0(SALU_CYCLE_1)
	s_mov_b32 s10, exec_lo
	v_cmpx_gt_u32_e64 s8, v82
	s_cbranch_execz .LBB289_347
.LBB289_346:                            ;   in Loop: Header=BB289_326 Depth=2
	global_load_u8 v26, v[24:25], off offset:4096
.LBB289_347:                            ;   in Loop: Header=BB289_326 Depth=2
	s_wait_xcnt 0x0
	s_or_b32 exec_lo, exec_lo, s10
	s_wait_loadcnt 0x0
	v_dual_mov_b32 v24, v39 :: v_dual_mov_b32 v25, v42
	v_dual_mov_b32 v43, v41 :: v_dual_mov_b32 v44, v40
	;; [unrolled: 1-line block ×8, first 2 shown]
	v_mov_b32_e32 v57, v26
	s_mov_b32 s10, s8
.LBB289_348:                            ;   in Loop: Header=BB289_326 Depth=2
	s_wait_loadcnt 0xf
	s_delay_alu instid0(VALU_DEP_1)
	v_dual_mov_b32 v26, v57 :: v_dual_mov_b32 v27, v56
	s_wait_loadcnt 0xd
	v_dual_mov_b32 v28, v55 :: v_dual_mov_b32 v29, v54
	s_wait_loadcnt 0xb
	;; [unrolled: 2-line block ×8, first 2 shown]
	v_mov_b32_e32 v39, v24
	s_mov_b32 s11, exec_lo
	s_wait_xcnt 0x0
	v_cmpx_gt_u32_e64 s10, v2
	s_cbranch_execnz .LBB289_365
; %bb.349:                              ;   in Loop: Header=BB289_326 Depth=2
	s_or_b32 exec_lo, exec_lo, s11
	s_delay_alu instid0(SALU_CYCLE_1)
	s_mov_b32 s11, exec_lo
	v_cmpx_gt_u32_e64 s10, v67
	s_cbranch_execnz .LBB289_366
.LBB289_350:                            ;   in Loop: Header=BB289_326 Depth=2
	s_or_b32 exec_lo, exec_lo, s11
	s_delay_alu instid0(SALU_CYCLE_1)
	s_mov_b32 s11, exec_lo
	v_cmpx_gt_u32_e64 s10, v68
	s_cbranch_execnz .LBB289_367
.LBB289_351:                            ;   in Loop: Header=BB289_326 Depth=2
	s_or_b32 exec_lo, exec_lo, s11
	s_delay_alu instid0(SALU_CYCLE_1)
	s_mov_b32 s11, exec_lo
	v_cmpx_gt_u32_e64 s10, v69
	s_cbranch_execnz .LBB289_368
.LBB289_352:                            ;   in Loop: Header=BB289_326 Depth=2
	s_or_b32 exec_lo, exec_lo, s11
	s_delay_alu instid0(SALU_CYCLE_1)
	s_mov_b32 s11, exec_lo
	v_cmpx_gt_u32_e64 s10, v70
	s_cbranch_execnz .LBB289_369
.LBB289_353:                            ;   in Loop: Header=BB289_326 Depth=2
	s_or_b32 exec_lo, exec_lo, s11
	s_delay_alu instid0(SALU_CYCLE_1)
	s_mov_b32 s11, exec_lo
	v_cmpx_gt_u32_e64 s10, v71
	s_cbranch_execnz .LBB289_370
.LBB289_354:                            ;   in Loop: Header=BB289_326 Depth=2
	s_or_b32 exec_lo, exec_lo, s11
	s_delay_alu instid0(SALU_CYCLE_1)
	s_mov_b32 s11, exec_lo
	v_cmpx_gt_u32_e64 s10, v72
	s_cbranch_execnz .LBB289_371
.LBB289_355:                            ;   in Loop: Header=BB289_326 Depth=2
	s_or_b32 exec_lo, exec_lo, s11
	s_delay_alu instid0(SALU_CYCLE_1)
	s_mov_b32 s11, exec_lo
	v_cmpx_gt_u32_e64 s10, v73
	s_cbranch_execnz .LBB289_372
.LBB289_356:                            ;   in Loop: Header=BB289_326 Depth=2
	s_or_b32 exec_lo, exec_lo, s11
	s_delay_alu instid0(SALU_CYCLE_1)
	s_mov_b32 s11, exec_lo
	v_cmpx_gt_u32_e64 s10, v74
	s_cbranch_execnz .LBB289_373
.LBB289_357:                            ;   in Loop: Header=BB289_326 Depth=2
	s_or_b32 exec_lo, exec_lo, s11
	s_delay_alu instid0(SALU_CYCLE_1)
	s_mov_b32 s11, exec_lo
	v_cmpx_gt_u32_e64 s10, v75
	s_cbranch_execnz .LBB289_374
.LBB289_358:                            ;   in Loop: Header=BB289_326 Depth=2
	s_or_b32 exec_lo, exec_lo, s11
	s_delay_alu instid0(SALU_CYCLE_1)
	s_mov_b32 s11, exec_lo
	v_cmpx_gt_u32_e64 s10, v76
	s_cbranch_execnz .LBB289_375
.LBB289_359:                            ;   in Loop: Header=BB289_326 Depth=2
	s_or_b32 exec_lo, exec_lo, s11
	s_delay_alu instid0(SALU_CYCLE_1)
	s_mov_b32 s11, exec_lo
	v_cmpx_gt_u32_e64 s10, v77
	s_cbranch_execnz .LBB289_376
.LBB289_360:                            ;   in Loop: Header=BB289_326 Depth=2
	s_or_b32 exec_lo, exec_lo, s11
	s_delay_alu instid0(SALU_CYCLE_1)
	s_mov_b32 s11, exec_lo
	v_cmpx_gt_u32_e64 s10, v78
	s_cbranch_execnz .LBB289_377
.LBB289_361:                            ;   in Loop: Header=BB289_326 Depth=2
	s_or_b32 exec_lo, exec_lo, s11
	s_delay_alu instid0(SALU_CYCLE_1)
	s_mov_b32 s11, exec_lo
	v_cmpx_gt_u32_e64 s10, v79
	s_cbranch_execnz .LBB289_378
.LBB289_362:                            ;   in Loop: Header=BB289_326 Depth=2
	s_or_b32 exec_lo, exec_lo, s11
	s_delay_alu instid0(SALU_CYCLE_1)
	s_mov_b32 s11, exec_lo
	v_cmpx_gt_u32_e64 s10, v80
	s_cbranch_execnz .LBB289_379
.LBB289_363:                            ;   in Loop: Header=BB289_326 Depth=2
	s_or_b32 exec_lo, exec_lo, s11
	s_delay_alu instid0(SALU_CYCLE_1)
	s_mov_b32 s11, exec_lo
	v_cmpx_gt_u32_e64 s10, v81
	s_cbranch_execnz .LBB289_380
.LBB289_364:                            ;   in Loop: Header=BB289_326 Depth=2
	s_or_b32 exec_lo, exec_lo, s11
	v_cmp_gt_u32_e32 vcc_lo, s10, v82
	s_and_saveexec_b32 s10, vcc_lo
	s_cbranch_execz .LBB289_325
	s_branch .LBB289_381
.LBB289_365:                            ;   in Loop: Header=BB289_326 Depth=2
	v_xor_b32_e32 v24, 0x7f, v39
	s_delay_alu instid0(VALU_DEP_1) | instskip(NEXT) | instid1(VALU_DEP_1)
	v_and_b32_e32 v24, 0xff, v24
	v_lshrrev_b32_e32 v24, s48, v24
	s_delay_alu instid0(VALU_DEP_1) | instskip(NEXT) | instid1(VALU_DEP_1)
	v_and_b32_e32 v24, s58, v24
	v_lshl_or_b32 v24, v24, 4, v84
	ds_add_u32 v24, v7
	s_or_b32 exec_lo, exec_lo, s11
	s_delay_alu instid0(SALU_CYCLE_1)
	s_mov_b32 s11, exec_lo
	v_cmpx_gt_u32_e64 s10, v67
	s_cbranch_execz .LBB289_350
.LBB289_366:                            ;   in Loop: Header=BB289_326 Depth=2
	v_xor_b32_e32 v24, 0x7f, v42
	s_delay_alu instid0(VALU_DEP_1) | instskip(NEXT) | instid1(VALU_DEP_1)
	v_and_b32_e32 v24, 0xff, v24
	v_lshrrev_b32_e32 v24, s48, v24
	s_delay_alu instid0(VALU_DEP_1) | instskip(NEXT) | instid1(VALU_DEP_1)
	v_and_b32_e32 v24, s58, v24
	v_lshl_or_b32 v24, v24, 4, v84
	ds_add_u32 v24, v7
	s_or_b32 exec_lo, exec_lo, s11
	s_delay_alu instid0(SALU_CYCLE_1)
	s_mov_b32 s11, exec_lo
	v_cmpx_gt_u32_e64 s10, v68
	s_cbranch_execz .LBB289_351
.LBB289_367:                            ;   in Loop: Header=BB289_326 Depth=2
	v_xor_b32_e32 v24, 0x7f, v41
	s_delay_alu instid0(VALU_DEP_1) | instskip(NEXT) | instid1(VALU_DEP_1)
	v_and_b32_e32 v24, 0xff, v24
	v_lshrrev_b32_e32 v24, s48, v24
	s_delay_alu instid0(VALU_DEP_1) | instskip(NEXT) | instid1(VALU_DEP_1)
	v_and_b32_e32 v24, s58, v24
	v_lshl_or_b32 v24, v24, 4, v84
	ds_add_u32 v24, v7
	s_or_b32 exec_lo, exec_lo, s11
	s_delay_alu instid0(SALU_CYCLE_1)
	s_mov_b32 s11, exec_lo
	v_cmpx_gt_u32_e64 s10, v69
	s_cbranch_execz .LBB289_352
.LBB289_368:                            ;   in Loop: Header=BB289_326 Depth=2
	v_xor_b32_e32 v24, 0x7f, v40
	s_delay_alu instid0(VALU_DEP_1) | instskip(NEXT) | instid1(VALU_DEP_1)
	v_and_b32_e32 v24, 0xff, v24
	v_lshrrev_b32_e32 v24, s48, v24
	s_delay_alu instid0(VALU_DEP_1) | instskip(NEXT) | instid1(VALU_DEP_1)
	v_and_b32_e32 v24, s58, v24
	v_lshl_or_b32 v24, v24, 4, v84
	ds_add_u32 v24, v7
	s_or_b32 exec_lo, exec_lo, s11
	s_delay_alu instid0(SALU_CYCLE_1)
	s_mov_b32 s11, exec_lo
	v_cmpx_gt_u32_e64 s10, v70
	s_cbranch_execz .LBB289_353
.LBB289_369:                            ;   in Loop: Header=BB289_326 Depth=2
	v_xor_b32_e32 v24, 0x7f, v38
	s_delay_alu instid0(VALU_DEP_1) | instskip(NEXT) | instid1(VALU_DEP_1)
	v_and_b32_e32 v24, 0xff, v24
	v_lshrrev_b32_e32 v24, s48, v24
	s_delay_alu instid0(VALU_DEP_1) | instskip(NEXT) | instid1(VALU_DEP_1)
	v_and_b32_e32 v24, s58, v24
	v_lshl_or_b32 v24, v24, 4, v84
	ds_add_u32 v24, v7
	s_or_b32 exec_lo, exec_lo, s11
	s_delay_alu instid0(SALU_CYCLE_1)
	s_mov_b32 s11, exec_lo
	v_cmpx_gt_u32_e64 s10, v71
	s_cbranch_execz .LBB289_354
.LBB289_370:                            ;   in Loop: Header=BB289_326 Depth=2
	v_xor_b32_e32 v24, 0x7f, v37
	s_delay_alu instid0(VALU_DEP_1) | instskip(NEXT) | instid1(VALU_DEP_1)
	v_and_b32_e32 v24, 0xff, v24
	v_lshrrev_b32_e32 v24, s48, v24
	s_delay_alu instid0(VALU_DEP_1) | instskip(NEXT) | instid1(VALU_DEP_1)
	v_and_b32_e32 v24, s58, v24
	v_lshl_or_b32 v24, v24, 4, v84
	ds_add_u32 v24, v7
	s_or_b32 exec_lo, exec_lo, s11
	s_delay_alu instid0(SALU_CYCLE_1)
	s_mov_b32 s11, exec_lo
	v_cmpx_gt_u32_e64 s10, v72
	s_cbranch_execz .LBB289_355
.LBB289_371:                            ;   in Loop: Header=BB289_326 Depth=2
	v_xor_b32_e32 v24, 0x7f, v36
	s_delay_alu instid0(VALU_DEP_1) | instskip(NEXT) | instid1(VALU_DEP_1)
	v_and_b32_e32 v24, 0xff, v24
	v_lshrrev_b32_e32 v24, s48, v24
	s_delay_alu instid0(VALU_DEP_1) | instskip(NEXT) | instid1(VALU_DEP_1)
	v_and_b32_e32 v24, s58, v24
	v_lshl_or_b32 v24, v24, 4, v84
	ds_add_u32 v24, v7
	s_or_b32 exec_lo, exec_lo, s11
	s_delay_alu instid0(SALU_CYCLE_1)
	s_mov_b32 s11, exec_lo
	v_cmpx_gt_u32_e64 s10, v73
	s_cbranch_execz .LBB289_356
.LBB289_372:                            ;   in Loop: Header=BB289_326 Depth=2
	v_xor_b32_e32 v24, 0x7f, v35
	s_delay_alu instid0(VALU_DEP_1) | instskip(NEXT) | instid1(VALU_DEP_1)
	v_and_b32_e32 v24, 0xff, v24
	v_lshrrev_b32_e32 v24, s48, v24
	s_delay_alu instid0(VALU_DEP_1) | instskip(NEXT) | instid1(VALU_DEP_1)
	v_and_b32_e32 v24, s58, v24
	v_lshl_or_b32 v24, v24, 4, v84
	ds_add_u32 v24, v7
	s_or_b32 exec_lo, exec_lo, s11
	s_delay_alu instid0(SALU_CYCLE_1)
	s_mov_b32 s11, exec_lo
	v_cmpx_gt_u32_e64 s10, v74
	s_cbranch_execz .LBB289_357
.LBB289_373:                            ;   in Loop: Header=BB289_326 Depth=2
	v_xor_b32_e32 v24, 0x7f, v34
	s_delay_alu instid0(VALU_DEP_1) | instskip(NEXT) | instid1(VALU_DEP_1)
	v_and_b32_e32 v24, 0xff, v24
	v_lshrrev_b32_e32 v24, s48, v24
	s_delay_alu instid0(VALU_DEP_1) | instskip(NEXT) | instid1(VALU_DEP_1)
	v_and_b32_e32 v24, s58, v24
	v_lshl_or_b32 v24, v24, 4, v84
	ds_add_u32 v24, v7
	s_or_b32 exec_lo, exec_lo, s11
	s_delay_alu instid0(SALU_CYCLE_1)
	s_mov_b32 s11, exec_lo
	v_cmpx_gt_u32_e64 s10, v75
	s_cbranch_execz .LBB289_358
.LBB289_374:                            ;   in Loop: Header=BB289_326 Depth=2
	v_xor_b32_e32 v24, 0x7f, v33
	s_delay_alu instid0(VALU_DEP_1) | instskip(NEXT) | instid1(VALU_DEP_1)
	v_and_b32_e32 v24, 0xff, v24
	v_lshrrev_b32_e32 v24, s48, v24
	s_delay_alu instid0(VALU_DEP_1) | instskip(NEXT) | instid1(VALU_DEP_1)
	v_and_b32_e32 v24, s58, v24
	v_lshl_or_b32 v24, v24, 4, v84
	ds_add_u32 v24, v7
	s_or_b32 exec_lo, exec_lo, s11
	s_delay_alu instid0(SALU_CYCLE_1)
	s_mov_b32 s11, exec_lo
	v_cmpx_gt_u32_e64 s10, v76
	s_cbranch_execz .LBB289_359
.LBB289_375:                            ;   in Loop: Header=BB289_326 Depth=2
	v_xor_b32_e32 v24, 0x7f, v32
	s_delay_alu instid0(VALU_DEP_1) | instskip(NEXT) | instid1(VALU_DEP_1)
	v_and_b32_e32 v24, 0xff, v24
	v_lshrrev_b32_e32 v24, s48, v24
	s_delay_alu instid0(VALU_DEP_1) | instskip(NEXT) | instid1(VALU_DEP_1)
	v_and_b32_e32 v24, s58, v24
	v_lshl_or_b32 v24, v24, 4, v84
	ds_add_u32 v24, v7
	s_or_b32 exec_lo, exec_lo, s11
	s_delay_alu instid0(SALU_CYCLE_1)
	s_mov_b32 s11, exec_lo
	v_cmpx_gt_u32_e64 s10, v77
	s_cbranch_execz .LBB289_360
.LBB289_376:                            ;   in Loop: Header=BB289_326 Depth=2
	v_xor_b32_e32 v24, 0x7f, v31
	s_delay_alu instid0(VALU_DEP_1) | instskip(NEXT) | instid1(VALU_DEP_1)
	v_and_b32_e32 v24, 0xff, v24
	v_lshrrev_b32_e32 v24, s48, v24
	s_delay_alu instid0(VALU_DEP_1) | instskip(NEXT) | instid1(VALU_DEP_1)
	v_and_b32_e32 v24, s58, v24
	v_lshl_or_b32 v24, v24, 4, v84
	ds_add_u32 v24, v7
	s_or_b32 exec_lo, exec_lo, s11
	s_delay_alu instid0(SALU_CYCLE_1)
	s_mov_b32 s11, exec_lo
	v_cmpx_gt_u32_e64 s10, v78
	s_cbranch_execz .LBB289_361
.LBB289_377:                            ;   in Loop: Header=BB289_326 Depth=2
	v_xor_b32_e32 v24, 0x7f, v30
	s_delay_alu instid0(VALU_DEP_1) | instskip(NEXT) | instid1(VALU_DEP_1)
	v_and_b32_e32 v24, 0xff, v24
	v_lshrrev_b32_e32 v24, s48, v24
	s_delay_alu instid0(VALU_DEP_1) | instskip(NEXT) | instid1(VALU_DEP_1)
	v_and_b32_e32 v24, s58, v24
	v_lshl_or_b32 v24, v24, 4, v84
	ds_add_u32 v24, v7
	s_or_b32 exec_lo, exec_lo, s11
	s_delay_alu instid0(SALU_CYCLE_1)
	s_mov_b32 s11, exec_lo
	v_cmpx_gt_u32_e64 s10, v79
	s_cbranch_execz .LBB289_362
.LBB289_378:                            ;   in Loop: Header=BB289_326 Depth=2
	v_xor_b32_e32 v24, 0x7f, v29
	s_delay_alu instid0(VALU_DEP_1) | instskip(NEXT) | instid1(VALU_DEP_1)
	v_and_b32_e32 v24, 0xff, v24
	v_lshrrev_b32_e32 v24, s48, v24
	s_delay_alu instid0(VALU_DEP_1) | instskip(NEXT) | instid1(VALU_DEP_1)
	v_and_b32_e32 v24, s58, v24
	v_lshl_or_b32 v24, v24, 4, v84
	ds_add_u32 v24, v7
	s_or_b32 exec_lo, exec_lo, s11
	s_delay_alu instid0(SALU_CYCLE_1)
	s_mov_b32 s11, exec_lo
	v_cmpx_gt_u32_e64 s10, v80
	s_cbranch_execz .LBB289_363
.LBB289_379:                            ;   in Loop: Header=BB289_326 Depth=2
	v_xor_b32_e32 v24, 0x7f, v28
	s_delay_alu instid0(VALU_DEP_1) | instskip(NEXT) | instid1(VALU_DEP_1)
	v_and_b32_e32 v24, 0xff, v24
	v_lshrrev_b32_e32 v24, s48, v24
	s_delay_alu instid0(VALU_DEP_1) | instskip(NEXT) | instid1(VALU_DEP_1)
	v_and_b32_e32 v24, s58, v24
	v_lshl_or_b32 v24, v24, 4, v84
	ds_add_u32 v24, v7
	s_or_b32 exec_lo, exec_lo, s11
	s_delay_alu instid0(SALU_CYCLE_1)
	s_mov_b32 s11, exec_lo
	v_cmpx_gt_u32_e64 s10, v81
	s_cbranch_execz .LBB289_364
.LBB289_380:                            ;   in Loop: Header=BB289_326 Depth=2
	v_xor_b32_e32 v24, 0x7f, v27
	s_delay_alu instid0(VALU_DEP_1) | instskip(NEXT) | instid1(VALU_DEP_1)
	v_and_b32_e32 v24, 0xff, v24
	v_lshrrev_b32_e32 v24, s48, v24
	s_delay_alu instid0(VALU_DEP_1) | instskip(NEXT) | instid1(VALU_DEP_1)
	v_and_b32_e32 v24, s58, v24
	v_lshl_or_b32 v24, v24, 4, v84
	ds_add_u32 v24, v7
	s_or_b32 exec_lo, exec_lo, s11
	v_cmp_gt_u32_e32 vcc_lo, s10, v82
	s_and_saveexec_b32 s10, vcc_lo
	s_cbranch_execz .LBB289_325
.LBB289_381:                            ;   in Loop: Header=BB289_326 Depth=2
	v_xor_b32_e32 v24, 0x7f, v26
	s_delay_alu instid0(VALU_DEP_1) | instskip(NEXT) | instid1(VALU_DEP_1)
	v_and_b32_e32 v24, 0xff, v24
	v_lshrrev_b32_e32 v24, s48, v24
	s_delay_alu instid0(VALU_DEP_1) | instskip(NEXT) | instid1(VALU_DEP_1)
	v_and_b32_e32 v24, s58, v24
	v_lshl_or_b32 v24, v24, 4, v84
	ds_add_u32 v24, v7
	s_branch .LBB289_325
.LBB289_382:                            ;   in Loop: Header=BB289_326 Depth=2
	global_load_u8 v39, v[24:25], off
	s_wait_xcnt 0x0
	s_or_b32 exec_lo, exec_lo, s10
	s_delay_alu instid0(SALU_CYCLE_1)
	s_mov_b32 s10, exec_lo
	v_cmpx_gt_u32_e64 s8, v67
	s_cbranch_execz .LBB289_331
.LBB289_383:                            ;   in Loop: Header=BB289_326 Depth=2
	global_load_u8 v42, v[24:25], off offset:256
	s_wait_xcnt 0x0
	s_or_b32 exec_lo, exec_lo, s10
	s_delay_alu instid0(SALU_CYCLE_1)
	s_mov_b32 s10, exec_lo
	v_cmpx_gt_u32_e64 s8, v68
	s_cbranch_execz .LBB289_332
.LBB289_384:                            ;   in Loop: Header=BB289_326 Depth=2
	global_load_u8 v41, v[24:25], off offset:512
	s_wait_xcnt 0x0
	s_or_b32 exec_lo, exec_lo, s10
	s_delay_alu instid0(SALU_CYCLE_1)
	s_mov_b32 s10, exec_lo
	v_cmpx_gt_u32_e64 s8, v69
	s_cbranch_execz .LBB289_333
.LBB289_385:                            ;   in Loop: Header=BB289_326 Depth=2
	global_load_u8 v40, v[24:25], off offset:768
	s_wait_xcnt 0x0
	s_or_b32 exec_lo, exec_lo, s10
	s_delay_alu instid0(SALU_CYCLE_1)
	s_mov_b32 s10, exec_lo
	v_cmpx_gt_u32_e64 s8, v70
	s_cbranch_execz .LBB289_334
.LBB289_386:                            ;   in Loop: Header=BB289_326 Depth=2
	global_load_u8 v38, v[24:25], off offset:1024
	s_wait_xcnt 0x0
	s_or_b32 exec_lo, exec_lo, s10
	s_delay_alu instid0(SALU_CYCLE_1)
	s_mov_b32 s10, exec_lo
	v_cmpx_gt_u32_e64 s8, v71
	s_cbranch_execz .LBB289_335
.LBB289_387:                            ;   in Loop: Header=BB289_326 Depth=2
	global_load_u8 v37, v[24:25], off offset:1280
	s_wait_xcnt 0x0
	s_or_b32 exec_lo, exec_lo, s10
	s_delay_alu instid0(SALU_CYCLE_1)
	s_mov_b32 s10, exec_lo
	v_cmpx_gt_u32_e64 s8, v72
	s_cbranch_execz .LBB289_336
.LBB289_388:                            ;   in Loop: Header=BB289_326 Depth=2
	global_load_u8 v36, v[24:25], off offset:1536
	s_wait_xcnt 0x0
	s_or_b32 exec_lo, exec_lo, s10
	s_delay_alu instid0(SALU_CYCLE_1)
	s_mov_b32 s10, exec_lo
	v_cmpx_gt_u32_e64 s8, v73
	s_cbranch_execz .LBB289_337
.LBB289_389:                            ;   in Loop: Header=BB289_326 Depth=2
	global_load_u8 v35, v[24:25], off offset:1792
	s_wait_xcnt 0x0
	s_or_b32 exec_lo, exec_lo, s10
	s_delay_alu instid0(SALU_CYCLE_1)
	s_mov_b32 s10, exec_lo
	v_cmpx_gt_u32_e64 s8, v74
	s_cbranch_execz .LBB289_338
.LBB289_390:                            ;   in Loop: Header=BB289_326 Depth=2
	global_load_u8 v34, v[24:25], off offset:2048
	s_wait_xcnt 0x0
	s_or_b32 exec_lo, exec_lo, s10
	s_delay_alu instid0(SALU_CYCLE_1)
	s_mov_b32 s10, exec_lo
	v_cmpx_gt_u32_e64 s8, v75
	s_cbranch_execz .LBB289_339
.LBB289_391:                            ;   in Loop: Header=BB289_326 Depth=2
	global_load_u8 v33, v[24:25], off offset:2304
	s_wait_xcnt 0x0
	s_or_b32 exec_lo, exec_lo, s10
	s_delay_alu instid0(SALU_CYCLE_1)
	s_mov_b32 s10, exec_lo
	v_cmpx_gt_u32_e64 s8, v76
	s_cbranch_execz .LBB289_340
.LBB289_392:                            ;   in Loop: Header=BB289_326 Depth=2
	global_load_u8 v32, v[24:25], off offset:2560
	s_wait_xcnt 0x0
	s_or_b32 exec_lo, exec_lo, s10
	s_delay_alu instid0(SALU_CYCLE_1)
	s_mov_b32 s10, exec_lo
	v_cmpx_gt_u32_e64 s8, v77
	s_cbranch_execz .LBB289_341
.LBB289_393:                            ;   in Loop: Header=BB289_326 Depth=2
	global_load_u8 v31, v[24:25], off offset:2816
	s_wait_xcnt 0x0
	s_or_b32 exec_lo, exec_lo, s10
	s_delay_alu instid0(SALU_CYCLE_1)
	s_mov_b32 s10, exec_lo
	v_cmpx_gt_u32_e64 s8, v78
	s_cbranch_execz .LBB289_342
.LBB289_394:                            ;   in Loop: Header=BB289_326 Depth=2
	global_load_u8 v30, v[24:25], off offset:3072
	s_wait_xcnt 0x0
	s_or_b32 exec_lo, exec_lo, s10
	s_delay_alu instid0(SALU_CYCLE_1)
	s_mov_b32 s10, exec_lo
	v_cmpx_gt_u32_e64 s8, v79
	s_cbranch_execz .LBB289_343
.LBB289_395:                            ;   in Loop: Header=BB289_326 Depth=2
	global_load_u8 v29, v[24:25], off offset:3328
	s_wait_xcnt 0x0
	s_or_b32 exec_lo, exec_lo, s10
	s_delay_alu instid0(SALU_CYCLE_1)
	s_mov_b32 s10, exec_lo
	v_cmpx_gt_u32_e64 s8, v80
	s_cbranch_execz .LBB289_344
.LBB289_396:                            ;   in Loop: Header=BB289_326 Depth=2
	global_load_u8 v28, v[24:25], off offset:3584
	s_wait_xcnt 0x0
	s_or_b32 exec_lo, exec_lo, s10
	s_delay_alu instid0(SALU_CYCLE_1)
	s_mov_b32 s10, exec_lo
	v_cmpx_gt_u32_e64 s8, v81
	s_cbranch_execz .LBB289_345
.LBB289_397:                            ;   in Loop: Header=BB289_326 Depth=2
	global_load_u8 v27, v[24:25], off offset:3840
	s_wait_xcnt 0x0
	s_or_b32 exec_lo, exec_lo, s10
	s_delay_alu instid0(SALU_CYCLE_1)
	s_mov_b32 s10, exec_lo
	v_cmpx_gt_u32_e64 s8, v82
	s_cbranch_execnz .LBB289_346
	s_branch .LBB289_347
.LBB289_398:                            ;   in Loop: Header=BB289_12 Depth=1
	v_mov_b32_e32 v24, 0
	s_wait_dscnt 0x0
	s_barrier_signal -1
	s_barrier_wait -1
	s_and_saveexec_b32 s8, s0
	s_cbranch_execz .LBB289_400
; %bb.399:                              ;   in Loop: Header=BB289_12 Depth=1
	ds_load_2addr_b64 v[24:27], v85 offset1:1
	s_wait_dscnt 0x0
	v_add_nc_u32_e32 v24, v25, v24
	s_delay_alu instid0(VALU_DEP_1)
	v_add3_u32 v24, v24, v26, v27
.LBB289_400:                            ;   in Loop: Header=BB289_12 Depth=1
	s_or_b32 exec_lo, exec_lo, s8
	v_and_b32_e32 v25, 15, v0
	s_delay_alu instid0(VALU_DEP_2) | instskip(SKIP_1) | instid1(VALU_DEP_3)
	v_mov_b32_dpp v26, v24 row_shr:1 row_mask:0xf bank_mask:0xf
	v_and_b32_e32 v27, 16, v0
	v_cmp_eq_u32_e64 s8, 0, v25
	v_cmp_lt_u32_e64 s9, 1, v25
	s_delay_alu instid0(VALU_DEP_3) | instskip(NEXT) | instid1(VALU_DEP_3)
	v_cmp_eq_u32_e64 s12, 0, v27
	v_cndmask_b32_e64 v26, v26, 0, s8
	s_delay_alu instid0(VALU_DEP_1) | instskip(NEXT) | instid1(VALU_DEP_1)
	v_add_nc_u32_e32 v24, v26, v24
	v_mov_b32_dpp v26, v24 row_shr:2 row_mask:0xf bank_mask:0xf
	s_delay_alu instid0(VALU_DEP_1) | instskip(SKIP_2) | instid1(VALU_DEP_3)
	v_cndmask_b32_e64 v26, 0, v26, s9
	v_cmp_lt_u32_e64 s11, 7, v25
	v_cmp_lt_u32_e64 s10, 3, v25
	v_add_nc_u32_e32 v24, v24, v26
	s_delay_alu instid0(VALU_DEP_1) | instskip(NEXT) | instid1(VALU_DEP_1)
	v_mov_b32_dpp v26, v24 row_shr:4 row_mask:0xf bank_mask:0xf
	v_cndmask_b32_e64 v26, 0, v26, s10
	s_delay_alu instid0(VALU_DEP_1) | instskip(NEXT) | instid1(VALU_DEP_1)
	v_add_nc_u32_e32 v24, v24, v26
	v_mov_b32_dpp v26, v24 row_shr:8 row_mask:0xf bank_mask:0xf
	s_delay_alu instid0(VALU_DEP_1) | instskip(SKIP_1) | instid1(VALU_DEP_2)
	v_cndmask_b32_e64 v25, 0, v26, s11
	v_bfe_i32 v26, v0, 4, 1
	v_add_nc_u32_e32 v24, v24, v25
	ds_swizzle_b32 v25, v24 offset:swizzle(BROADCAST,32,15)
	s_wait_dscnt 0x0
	v_and_b32_e32 v25, v26, v25
	s_delay_alu instid0(VALU_DEP_1)
	v_add_nc_u32_e32 v24, v24, v25
	s_and_saveexec_b32 s13, s1
; %bb.401:                              ;   in Loop: Header=BB289_12 Depth=1
	ds_store_b32 v86, v24
; %bb.402:                              ;   in Loop: Header=BB289_12 Depth=1
	s_or_b32 exec_lo, exec_lo, s13
	s_wait_dscnt 0x0
	s_barrier_signal -1
	s_barrier_wait -1
	s_and_saveexec_b32 s13, s4
	s_cbranch_execz .LBB289_404
; %bb.403:                              ;   in Loop: Header=BB289_12 Depth=1
	ds_load_b32 v25, v87
	s_wait_dscnt 0x0
	v_mov_b32_dpp v27, v25 row_shr:1 row_mask:0xf bank_mask:0xf
	v_and_b32_e32 v26, 3, v0
	s_delay_alu instid0(VALU_DEP_1) | instskip(NEXT) | instid1(VALU_DEP_3)
	v_cmp_ne_u32_e32 vcc_lo, 0, v26
	v_cndmask_b32_e32 v27, 0, v27, vcc_lo
	v_cmp_lt_u32_e32 vcc_lo, 1, v26
	s_delay_alu instid0(VALU_DEP_2) | instskip(NEXT) | instid1(VALU_DEP_1)
	v_add_nc_u32_e32 v25, v27, v25
	v_mov_b32_dpp v27, v25 row_shr:2 row_mask:0xf bank_mask:0xf
	s_delay_alu instid0(VALU_DEP_1) | instskip(NEXT) | instid1(VALU_DEP_1)
	v_cndmask_b32_e32 v26, 0, v27, vcc_lo
	v_add_nc_u32_e32 v25, v25, v26
	ds_store_b32 v87, v25
.LBB289_404:                            ;   in Loop: Header=BB289_12 Depth=1
	s_or_b32 exec_lo, exec_lo, s13
	v_mov_b32_e32 v25, 0
	s_wait_dscnt 0x0
	s_barrier_signal -1
	s_barrier_wait -1
	s_and_saveexec_b32 s13, s5
; %bb.405:                              ;   in Loop: Header=BB289_12 Depth=1
	ds_load_b32 v25, v88
; %bb.406:                              ;   in Loop: Header=BB289_12 Depth=1
	s_or_b32 exec_lo, exec_lo, s13
	v_sub_co_u32 v26, s13, v0, 1
	s_wait_dscnt 0x0
	s_barrier_signal -1
	s_barrier_wait -1
	s_delay_alu instid0(VALU_DEP_1) | instskip(SKIP_1) | instid1(VALU_DEP_1)
	v_cmp_gt_i32_e32 vcc_lo, 0, v26
	v_cndmask_b32_e32 v26, v26, v0, vcc_lo
	v_dual_add_nc_u32 v24, v25, v24 :: v_dual_lshlrev_b32 v96, 2, v26
	ds_bpermute_b32 v24, v96, v24
	s_and_saveexec_b32 s14, s0
	s_cbranch_execz .LBB289_408
; %bb.407:                              ;   in Loop: Header=BB289_12 Depth=1
	s_wait_dscnt 0x0
	v_cndmask_b32_e64 v24, v24, v25, s13
	s_delay_alu instid0(VALU_DEP_1)
	v_add_nc_u32_e32 v24, s55, v24
	ds_store_b32 v66, v24
.LBB289_408:                            ;   in Loop: Header=BB289_12 Depth=1
	s_or_b32 exec_lo, exec_lo, s14
	s_load_b64 s[14:15], s[52:53], 0x0
	v_dual_lshlrev_b32 v26, 3, v0 :: v_dual_bitop2_b32 v28, 7, v0 bitop3:0x40
	v_dual_mov_b32 v27, v1 :: v_dual_bitop2_b32 v97, v0, v6 bitop3:0x54
	s_wait_dscnt 0x0
	v_add_nc_u64_e32 v[24:25], v[16:17], v[0:1]
	v_mov_b32_e32 v115, 0
	s_mov_b32 s59, s57
	v_add_nc_u64_e32 v[26:27], v[14:15], v[26:27]
	v_dual_add_nc_u32 v98, 32, v97 :: v_dual_add_nc_u32 v99, 64, v97
	v_add_nc_u32_e32 v100, 0x60, v97
	v_add_nc_u32_e32 v101, 0x80, v97
	;; [unrolled: 1-line block ×9, first 2 shown]
	s_wait_kmcnt 0x0
	s_cmp_lt_u32 s51, s14
	v_add_nc_u32_e32 v109, 0x180, v97
	s_cselect_b32 s34, 12, 18
	s_cmp_lt_u32 s42, s15
	s_mov_b32 s15, s35
	s_cselect_b32 s14, 14, 20
	v_add_nc_u32_e32 v110, 0x1a0, v97
	s_add_nc_u64 s[14:15], s[52:53], s[14:15]
	v_add_nc_u32_e32 v111, 0x1c0, v97
	s_load_u16 s16, s[14:15], 0x0
	s_wait_xcnt 0x0
	s_add_nc_u64 s[14:15], s[52:53], s[34:35]
	v_add_nc_u32_e32 v112, 0x1e0, v97
	s_load_u16 s17, s[14:15], 0x0
	s_wait_xcnt 0x0
	v_cmp_eq_u32_e64 s14, 0, v28
	v_cmp_lt_u32_e64 s15, 1, v28
	v_add_nc_u32_e32 v113, 0x200, v97
	s_mov_b32 s34, s55
                                        ; implicit-def: $vgpr30_vgpr31
                                        ; implicit-def: $vgpr32_vgpr33
                                        ; implicit-def: $vgpr34_vgpr35
                                        ; implicit-def: $vgpr36_vgpr37
                                        ; implicit-def: $vgpr38_vgpr39
                                        ; implicit-def: $vgpr40_vgpr41
                                        ; implicit-def: $vgpr42_vgpr43
                                        ; implicit-def: $vgpr44_vgpr45
                                        ; implicit-def: $vgpr46_vgpr47
                                        ; implicit-def: $vgpr48_vgpr49
                                        ; implicit-def: $vgpr50_vgpr51
                                        ; implicit-def: $vgpr52_vgpr53
                                        ; implicit-def: $vgpr54_vgpr55
                                        ; implicit-def: $vgpr56_vgpr57
                                        ; implicit-def: $vgpr58_vgpr59
                                        ; implicit-def: $vgpr60_vgpr61
                                        ; implicit-def: $vgpr116
                                        ; implicit-def: $vgpr117
                                        ; implicit-def: $vgpr118
                                        ; implicit-def: $vgpr119
                                        ; implicit-def: $vgpr120
                                        ; implicit-def: $vgpr121
                                        ; implicit-def: $vgpr122
                                        ; implicit-def: $vgpr123
                                        ; implicit-def: $vgpr124
                                        ; implicit-def: $vgpr125
                                        ; implicit-def: $vgpr126
                                        ; implicit-def: $vgpr127
                                        ; implicit-def: $vgpr128
                                        ; implicit-def: $vgpr129
                                        ; implicit-def: $vgpr130
                                        ; implicit-def: $vgpr131
                                        ; implicit-def: $vgpr132
                                        ; implicit-def: $vgpr133
                                        ; implicit-def: $vgpr134
	s_wait_kmcnt 0x0
	v_mad_u32_u24 v29, v89, s16, v91
	v_cmp_lt_u32_e64 s16, 3, v28
	s_delay_alu instid0(VALU_DEP_2) | instskip(NEXT) | instid1(VALU_DEP_1)
	v_mad_u32 v28, v29, s17, v2
	v_lshrrev_b32_e32 v28, 3, v28
	s_delay_alu instid0(VALU_DEP_1)
	v_and_b32_e32 v114, 0x1ffffffc, v28
                                        ; implicit-def: $vgpr28_vgpr29
	s_branch .LBB289_410
.LBB289_409:                            ;   in Loop: Header=BB289_410 Depth=2
	s_or_b32 exec_lo, exec_lo, s17
	s_addk_co_i32 s59, 0xef00
	s_cmp_lt_u32 s60, s54
	s_mov_b32 s34, s60
	s_cbranch_scc0 .LBB289_632
.LBB289_410:                            ;   Parent Loop BB289_12 Depth=1
                                        ; =>  This Inner Loop Header: Depth=2
	s_add_co_i32 s60, s34, 0x1100
	s_delay_alu instid0(SALU_CYCLE_1)
	s_cmp_gt_u32 s60, s54
	s_cbranch_scc1 .LBB289_412
; %bb.411:                              ;   in Loop: Header=BB289_410 Depth=2
	v_add_nc_u64_e32 v[62:63], s[34:35], v[24:25]
	s_mov_b32 s17, -1
	s_clause 0xf
	global_load_u8 v135, v[62:63], off offset:480
	global_load_u8 v65, v[62:63], off offset:448
	;; [unrolled: 1-line block ×15, first 2 shown]
	global_load_u8 v147, v[62:63], off
	s_movk_i32 s18, 0x1100
	s_cbranch_execz .LBB289_413
	s_branch .LBB289_431
.LBB289_412:                            ;   in Loop: Header=BB289_410 Depth=2
	s_mov_b32 s17, 0
                                        ; implicit-def: $vgpr147
                                        ; implicit-def: $vgpr150
                                        ; implicit-def: $vgpr148
                                        ; implicit-def: $vgpr151
                                        ; implicit-def: $vgpr142
                                        ; implicit-def: $vgpr145
                                        ; implicit-def: $vgpr143
                                        ; implicit-def: $vgpr144
                                        ; implicit-def: $vgpr138
                                        ; implicit-def: $vgpr141
                                        ; implicit-def: $vgpr139
                                        ; implicit-def: $vgpr140
                                        ; implicit-def: $vgpr64
                                        ; implicit-def: $vgpr136
                                        ; implicit-def: $vgpr65
                                        ; implicit-def: $vgpr135
                                        ; implicit-def: $vgpr115
	s_movk_i32 s18, 0x1100
.LBB289_413:                            ;   in Loop: Header=BB289_410 Depth=2
	s_wait_xcnt 0x0
	v_add_nc_u64_e32 v[62:63], s[34:35], v[24:25]
	s_wait_loadcnt 0x1
	v_dual_mov_b32 v115, 0x80 :: v_dual_mov_b32 v150, 0x80
	s_wait_loadcnt 0x0
	v_dual_mov_b32 v147, 0x80 :: v_dual_mov_b32 v148, 0x80
	v_dual_mov_b32 v151, 0x80 :: v_dual_mov_b32 v142, 0x80
	;; [unrolled: 1-line block ×7, first 2 shown]
	v_mov_b32_e32 v135, 0x80
	s_mov_b32 s17, exec_lo
	v_cmpx_gt_u32_e64 s59, v97
	s_cbranch_execnz .LBB289_617
; %bb.414:                              ;   in Loop: Header=BB289_410 Depth=2
	s_or_b32 exec_lo, exec_lo, s17
	s_delay_alu instid0(SALU_CYCLE_1)
	s_mov_b32 s17, exec_lo
	v_cmpx_gt_u32_e64 s59, v98
	s_cbranch_execnz .LBB289_618
.LBB289_415:                            ;   in Loop: Header=BB289_410 Depth=2
	s_or_b32 exec_lo, exec_lo, s17
	s_delay_alu instid0(SALU_CYCLE_1)
	s_mov_b32 s17, exec_lo
	v_cmpx_gt_u32_e64 s59, v99
	s_cbranch_execnz .LBB289_619
.LBB289_416:                            ;   in Loop: Header=BB289_410 Depth=2
	s_or_b32 exec_lo, exec_lo, s17
	s_delay_alu instid0(SALU_CYCLE_1)
	s_mov_b32 s17, exec_lo
	v_cmpx_gt_u32_e64 s59, v100
	s_cbranch_execnz .LBB289_620
.LBB289_417:                            ;   in Loop: Header=BB289_410 Depth=2
	s_or_b32 exec_lo, exec_lo, s17
	s_delay_alu instid0(SALU_CYCLE_1)
	s_mov_b32 s17, exec_lo
	v_cmpx_gt_u32_e64 s59, v101
	s_cbranch_execnz .LBB289_621
.LBB289_418:                            ;   in Loop: Header=BB289_410 Depth=2
	s_or_b32 exec_lo, exec_lo, s17
	s_delay_alu instid0(SALU_CYCLE_1)
	s_mov_b32 s17, exec_lo
	v_cmpx_gt_u32_e64 s59, v102
	s_cbranch_execnz .LBB289_622
.LBB289_419:                            ;   in Loop: Header=BB289_410 Depth=2
	s_or_b32 exec_lo, exec_lo, s17
	s_delay_alu instid0(SALU_CYCLE_1)
	s_mov_b32 s17, exec_lo
	v_cmpx_gt_u32_e64 s59, v103
	s_cbranch_execnz .LBB289_623
.LBB289_420:                            ;   in Loop: Header=BB289_410 Depth=2
	s_or_b32 exec_lo, exec_lo, s17
	s_delay_alu instid0(SALU_CYCLE_1)
	s_mov_b32 s17, exec_lo
	v_cmpx_gt_u32_e64 s59, v104
	s_cbranch_execnz .LBB289_624
.LBB289_421:                            ;   in Loop: Header=BB289_410 Depth=2
	s_or_b32 exec_lo, exec_lo, s17
	s_delay_alu instid0(SALU_CYCLE_1)
	s_mov_b32 s17, exec_lo
	v_cmpx_gt_u32_e64 s59, v105
	s_cbranch_execnz .LBB289_625
.LBB289_422:                            ;   in Loop: Header=BB289_410 Depth=2
	s_or_b32 exec_lo, exec_lo, s17
	s_delay_alu instid0(SALU_CYCLE_1)
	s_mov_b32 s17, exec_lo
	v_cmpx_gt_u32_e64 s59, v106
	s_cbranch_execnz .LBB289_626
.LBB289_423:                            ;   in Loop: Header=BB289_410 Depth=2
	s_or_b32 exec_lo, exec_lo, s17
	s_delay_alu instid0(SALU_CYCLE_1)
	s_mov_b32 s17, exec_lo
	v_cmpx_gt_u32_e64 s59, v107
	s_cbranch_execnz .LBB289_627
.LBB289_424:                            ;   in Loop: Header=BB289_410 Depth=2
	s_or_b32 exec_lo, exec_lo, s17
	s_delay_alu instid0(SALU_CYCLE_1)
	s_mov_b32 s17, exec_lo
	v_cmpx_gt_u32_e64 s59, v108
	s_cbranch_execnz .LBB289_628
.LBB289_425:                            ;   in Loop: Header=BB289_410 Depth=2
	s_or_b32 exec_lo, exec_lo, s17
	s_delay_alu instid0(SALU_CYCLE_1)
	s_mov_b32 s17, exec_lo
	v_cmpx_gt_u32_e64 s59, v109
	s_cbranch_execnz .LBB289_629
.LBB289_426:                            ;   in Loop: Header=BB289_410 Depth=2
	s_or_b32 exec_lo, exec_lo, s17
	s_delay_alu instid0(SALU_CYCLE_1)
	s_mov_b32 s17, exec_lo
	v_cmpx_gt_u32_e64 s59, v110
	s_cbranch_execnz .LBB289_630
.LBB289_427:                            ;   in Loop: Header=BB289_410 Depth=2
	s_or_b32 exec_lo, exec_lo, s17
	s_delay_alu instid0(SALU_CYCLE_1)
	s_mov_b32 s17, exec_lo
	v_cmpx_gt_u32_e64 s59, v111
	s_cbranch_execnz .LBB289_631
.LBB289_428:                            ;   in Loop: Header=BB289_410 Depth=2
	s_or_b32 exec_lo, exec_lo, s17
	s_delay_alu instid0(SALU_CYCLE_1)
	s_mov_b32 s17, exec_lo
	v_cmpx_gt_u32_e64 s59, v112
	s_cbranch_execz .LBB289_430
.LBB289_429:                            ;   in Loop: Header=BB289_410 Depth=2
	global_load_u8 v135, v[62:63], off offset:480
.LBB289_430:                            ;   in Loop: Header=BB289_410 Depth=2
	s_wait_xcnt 0x0
	s_or_b32 exec_lo, exec_lo, s17
	v_cmp_gt_u32_e64 s17, s59, v113
	s_sub_co_i32 s18, s54, s34
.LBB289_431:                            ;   in Loop: Header=BB289_410 Depth=2
	v_mov_b32_e32 v137, s59
	s_wait_xcnt 0x0
	s_and_saveexec_b32 s19, s17
	s_cbranch_execz .LBB289_433
; %bb.432:                              ;   in Loop: Header=BB289_410 Depth=2
	v_add_nc_u64_e32 v[62:63], s[34:35], v[24:25]
	v_mov_b32_e32 v137, s18
	global_load_u8 v115, v[62:63], off offset:512
.LBB289_433:                            ;   in Loop: Header=BB289_410 Depth=2
	s_wait_xcnt 0x0
	s_or_b32 exec_lo, exec_lo, s19
	s_wait_loadcnt 0x0
	v_bitop3_b16 v62, v147, s43, 0x7f bitop3:0x48
	ds_store_2addr_b32 v90, v1, v1 offset0:136 offset1:137
	ds_store_2addr_b32 v90, v1, v1 offset0:138 offset1:139
	ds_store_b32 v90, v1 offset:560
	s_wait_dscnt 0x0
	s_barrier_signal -1
	s_barrier_wait -1
	v_and_b32_e32 v62, 0xffff, v62
	; wave barrier
	s_delay_alu instid0(VALU_DEP_1) | instskip(NEXT) | instid1(VALU_DEP_1)
	v_lshrrev_b32_e32 v62, s48, v62
	v_and_b32_e32 v149, s58, v62
	s_delay_alu instid0(VALU_DEP_1) | instskip(SKIP_1) | instid1(VALU_DEP_1)
	v_lshlrev_b32_e32 v146, 30, v149
	v_bitop3_b32 v63, v62, 1, s58 bitop3:0x80
	v_add_co_u32 v62, s17, v63, -1
	s_delay_alu instid0(VALU_DEP_1) | instskip(NEXT) | instid1(VALU_DEP_4)
	v_cndmask_b32_e64 v63, 0, 1, s17
	v_cmp_gt_i32_e64 s17, 0, v146
	s_delay_alu instid0(VALU_DEP_2) | instskip(SKIP_2) | instid1(VALU_DEP_2)
	v_cmp_ne_u32_e32 vcc_lo, 0, v63
	v_not_b32_e32 v63, v146
	v_bitop3_b32 v62, vcc_lo, exec_lo, v62 bitop3:0x48
	v_dual_ashrrev_i32 v63, 31, v63 :: v_dual_lshlrev_b32 v152, 29, v149
	v_dual_lshlrev_b32 v153, 28, v149 :: v_dual_lshlrev_b32 v154, 27, v149
	v_lshlrev_b32_e32 v155, 26, v149
	s_delay_alu instid0(VALU_DEP_3)
	v_not_b32_e32 v146, v152
	v_lshlrev_b32_e32 v156, 25, v149
	v_cmp_gt_i32_e64 s18, 0, v152
	v_cmp_gt_i32_e64 s19, 0, v153
	v_not_b32_e32 v152, v153
	v_not_b32_e32 v153, v154
	v_ashrrev_i32_e32 v146, 31, v146
	v_cmp_gt_i32_e64 s20, 0, v154
	v_cmp_gt_i32_e64 s21, 0, v155
	v_not_b32_e32 v154, v155
	v_not_b32_e32 v155, v156
	v_dual_ashrrev_i32 v152, 31, v152 :: v_dual_ashrrev_i32 v153, 31, v153
	s_delay_alu instid0(VALU_DEP_3) | instskip(NEXT) | instid1(VALU_DEP_3)
	v_dual_ashrrev_i32 v154, 31, v154 :: v_dual_bitop2_b32 v63, s17, v63 bitop3:0x14
	v_dual_ashrrev_i32 v155, 31, v155 :: v_dual_bitop2_b32 v146, s18, v146 bitop3:0x14
	v_cmp_gt_i32_e64 s22, 0, v156
	s_delay_alu instid0(VALU_DEP_4) | instskip(SKIP_1) | instid1(VALU_DEP_4)
	v_xor_b32_e32 v152, s19, v152
	v_xor_b32_e32 v153, s20, v153
	v_bitop3_b32 v62, v62, v146, v63 bitop3:0x80
	v_xor_b32_e32 v63, s21, v154
	v_xor_b32_e32 v146, s22, v155
	s_delay_alu instid0(VALU_DEP_3) | instskip(NEXT) | instid1(VALU_DEP_1)
	v_bitop3_b32 v62, v62, v153, v152 bitop3:0x80
	v_bitop3_b32 v62, v62, v146, v63 bitop3:0x80
	v_mul_u32_u24_e32 v63, 36, v149
	s_delay_alu instid0(VALU_DEP_2) | instskip(SKIP_1) | instid1(VALU_DEP_3)
	v_mbcnt_lo_u32_b32 v146, v62, 0
	v_cmp_ne_u32_e64 s17, 0, v62
	v_add_nc_u32_e32 v149, v114, v63
	s_delay_alu instid0(VALU_DEP_3) | instskip(SKIP_1) | instid1(SALU_CYCLE_1)
	v_cmp_eq_u32_e32 vcc_lo, 0, v146
	s_and_b32 s18, s17, vcc_lo
	s_and_saveexec_b32 s17, s18
; %bb.434:                              ;   in Loop: Header=BB289_410 Depth=2
	v_bcnt_u32_b32 v62, v62, 0
	ds_store_b32 v149, v62 offset:544
; %bb.435:                              ;   in Loop: Header=BB289_410 Depth=2
	s_or_b32 exec_lo, exec_lo, s17
	v_xor_b32_e32 v62, 0x7f, v150
	v_xor_b32_e32 v63, 0x7f, v151
	;; [unrolled: 1-line block ×4, first 2 shown]
	s_delay_alu instid0(VALU_DEP_4) | instskip(NEXT) | instid1(VALU_DEP_4)
	v_lshlrev_b16 v62, 8, v62
	v_lshlrev_b16 v63, 8, v63
	; wave barrier
	s_delay_alu instid0(VALU_DEP_2) | instskip(NEXT) | instid1(VALU_DEP_2)
	v_bitop3_b16 v147, v147, v62, 0xff bitop3:0xec
	v_bitop3_b16 v62, v148, v63, 0xff bitop3:0xec
	s_delay_alu instid0(VALU_DEP_2) | instskip(NEXT) | instid1(VALU_DEP_2)
	v_and_b32_e32 v63, 0xffff, v147
	v_lshlrev_b32_e32 v62, 16, v62
	s_delay_alu instid0(VALU_DEP_1) | instskip(NEXT) | instid1(VALU_DEP_1)
	v_or_b32_e32 v148, v63, v62
	v_bfe_u32 v62, v148, 8, 8
	s_delay_alu instid0(VALU_DEP_1) | instskip(NEXT) | instid1(VALU_DEP_1)
	v_lshrrev_b32_e32 v62, s48, v62
	v_bitop3_b32 v63, v62, 1, s58 bitop3:0x80
	v_and_b32_e32 v152, s58, v62
	s_delay_alu instid0(VALU_DEP_2) | instskip(NEXT) | instid1(VALU_DEP_1)
	v_add_co_u32 v62, s17, v63, -1
	v_cndmask_b32_e64 v63, 0, 1, s17
	s_delay_alu instid0(VALU_DEP_3) | instskip(NEXT) | instid1(VALU_DEP_2)
	v_lshlrev_b32_e32 v150, 30, v152
	v_cmp_ne_u32_e32 vcc_lo, 0, v63
	s_delay_alu instid0(VALU_DEP_2) | instskip(SKIP_2) | instid1(VALU_DEP_3)
	v_not_b32_e32 v63, v150
	v_cmp_gt_i32_e64 s17, 0, v150
	v_bitop3_b32 v62, vcc_lo, exec_lo, v62 bitop3:0x48
	v_dual_ashrrev_i32 v63, 31, v63 :: v_dual_lshlrev_b32 v151, 29, v152
	v_dual_lshlrev_b32 v153, 28, v152 :: v_dual_lshlrev_b32 v154, 27, v152
	v_lshlrev_b32_e32 v155, 26, v152
	s_delay_alu instid0(VALU_DEP_3)
	v_not_b32_e32 v150, v151
	v_lshlrev_b32_e32 v156, 25, v152
	v_cmp_gt_i32_e64 s18, 0, v151
	v_cmp_gt_i32_e64 s19, 0, v153
	v_not_b32_e32 v151, v153
	v_ashrrev_i32_e32 v150, 31, v150
	v_cmp_gt_i32_e64 s20, 0, v154
	v_not_b32_e32 v153, v154
	v_cmp_gt_i32_e64 s21, 0, v155
	v_not_b32_e32 v154, v155
	v_not_b32_e32 v155, v156
	v_xor_b32_e32 v63, s17, v63
	v_dual_ashrrev_i32 v151, 31, v151 :: v_dual_bitop2_b32 v150, s18, v150 bitop3:0x14
	s_delay_alu instid0(VALU_DEP_4) | instskip(NEXT) | instid1(VALU_DEP_4)
	v_dual_ashrrev_i32 v153, 31, v153 :: v_dual_ashrrev_i32 v154, 31, v154
	v_ashrrev_i32_e32 v155, 31, v155
	s_delay_alu instid0(VALU_DEP_3)
	v_bitop3_b32 v62, v62, v150, v63 bitop3:0x80
	v_mad_u32_u24 v63, v152, 36, v114
	v_cmp_gt_i32_e64 s22, 0, v156
	v_xor_b32_e32 v151, s19, v151
	v_xor_b32_e32 v154, s21, v154
	ds_load_b32 v150, v63 offset:544
	v_mul_u32_u24_e32 v63, 36, v152
	v_xor_b32_e32 v153, s20, v153
	v_xor_b32_e32 v155, s22, v155
	; wave barrier
	s_delay_alu instid0(VALU_DEP_3) | instskip(NEXT) | instid1(VALU_DEP_3)
	v_add_nc_u32_e32 v152, v114, v63
	v_bitop3_b32 v62, v62, v153, v151 bitop3:0x80
	s_delay_alu instid0(VALU_DEP_1) | instskip(NEXT) | instid1(VALU_DEP_1)
	v_bitop3_b32 v62, v62, v155, v154 bitop3:0x80
	v_mbcnt_lo_u32_b32 v151, v62, 0
	v_cmp_ne_u32_e64 s17, 0, v62
	s_delay_alu instid0(VALU_DEP_2) | instskip(SKIP_1) | instid1(SALU_CYCLE_1)
	v_cmp_eq_u32_e32 vcc_lo, 0, v151
	s_and_b32 s18, s17, vcc_lo
	s_and_saveexec_b32 s17, s18
	s_cbranch_execz .LBB289_437
; %bb.436:                              ;   in Loop: Header=BB289_410 Depth=2
	s_wait_dscnt 0x0
	v_bcnt_u32_b32 v62, v62, v150
	ds_store_b32 v152, v62 offset:544
.LBB289_437:                            ;   in Loop: Header=BB289_410 Depth=2
	s_or_b32 exec_lo, exec_lo, s17
	v_bfe_u32 v62, v148, 16, 8
	; wave barrier
	s_delay_alu instid0(VALU_DEP_1) | instskip(NEXT) | instid1(VALU_DEP_1)
	v_lshrrev_b32_e32 v62, s48, v62
	v_and_b32_e32 v155, s58, v62
	s_delay_alu instid0(VALU_DEP_1) | instskip(SKIP_1) | instid1(VALU_DEP_1)
	v_lshlrev_b32_e32 v153, 30, v155
	v_bitop3_b32 v63, v62, 1, s58 bitop3:0x80
	v_add_co_u32 v62, s17, v63, -1
	s_delay_alu instid0(VALU_DEP_1) | instskip(NEXT) | instid1(VALU_DEP_4)
	v_cndmask_b32_e64 v63, 0, 1, s17
	v_cmp_gt_i32_e64 s17, 0, v153
	s_delay_alu instid0(VALU_DEP_2) | instskip(SKIP_2) | instid1(VALU_DEP_2)
	v_cmp_ne_u32_e32 vcc_lo, 0, v63
	v_not_b32_e32 v63, v153
	v_bitop3_b32 v62, vcc_lo, exec_lo, v62 bitop3:0x48
	v_ashrrev_i32_e32 v63, 31, v63
	v_dual_lshlrev_b32 v154, 29, v155 :: v_dual_lshlrev_b32 v156, 28, v155
	v_dual_lshlrev_b32 v157, 27, v155 :: v_dual_lshlrev_b32 v158, 26, v155
	s_delay_alu instid0(VALU_DEP_2)
	v_not_b32_e32 v153, v154
	v_lshlrev_b32_e32 v159, 25, v155
	v_cmp_gt_i32_e64 s18, 0, v154
	v_cmp_gt_i32_e64 s19, 0, v156
	v_not_b32_e32 v154, v156
	v_not_b32_e32 v156, v157
	v_ashrrev_i32_e32 v153, 31, v153
	v_cmp_gt_i32_e64 s20, 0, v157
	v_cmp_gt_i32_e64 s21, 0, v158
	v_not_b32_e32 v157, v158
	v_dual_ashrrev_i32 v154, 31, v154 :: v_dual_ashrrev_i32 v156, 31, v156
	v_xor_b32_e32 v63, s17, v63
	v_not_b32_e32 v158, v159
	v_xor_b32_e32 v153, s18, v153
	s_delay_alu instid0(VALU_DEP_4) | instskip(SKIP_2) | instid1(VALU_DEP_4)
	v_dual_ashrrev_i32 v157, 31, v157 :: v_dual_bitop2_b32 v154, s19, v154 bitop3:0x14
	v_xor_b32_e32 v156, s20, v156
	v_cmp_gt_i32_e32 vcc_lo, 0, v159
	v_bitop3_b32 v62, v62, v153, v63 bitop3:0x80
	v_ashrrev_i32_e32 v63, 31, v158
	v_mad_u32_u24 v153, v155, 36, v114
	v_xor_b32_e32 v157, s21, v157
	s_delay_alu instid0(VALU_DEP_4) | instskip(NEXT) | instid1(VALU_DEP_4)
	v_bitop3_b32 v62, v62, v156, v154 bitop3:0x80
	v_xor_b32_e32 v63, vcc_lo, v63
	ds_load_b32 v153, v153 offset:544
	; wave barrier
	v_bitop3_b32 v62, v62, v63, v157 bitop3:0x80
	v_mul_u32_u24_e32 v63, 36, v155
	s_delay_alu instid0(VALU_DEP_2) | instskip(SKIP_1) | instid1(VALU_DEP_3)
	v_mbcnt_lo_u32_b32 v154, v62, 0
	v_cmp_ne_u32_e64 s17, 0, v62
	v_add_nc_u32_e32 v156, v114, v63
	s_delay_alu instid0(VALU_DEP_3) | instskip(SKIP_1) | instid1(SALU_CYCLE_1)
	v_cmp_eq_u32_e32 vcc_lo, 0, v154
	s_and_b32 s18, s17, vcc_lo
	s_and_saveexec_b32 s17, s18
	s_cbranch_execz .LBB289_439
; %bb.438:                              ;   in Loop: Header=BB289_410 Depth=2
	s_wait_dscnt 0x0
	v_bcnt_u32_b32 v62, v62, v153
	ds_store_b32 v156, v62 offset:544
.LBB289_439:                            ;   in Loop: Header=BB289_410 Depth=2
	s_or_b32 exec_lo, exec_lo, s17
	v_lshrrev_b32_e32 v155, 24, v148
	; wave barrier
	s_delay_alu instid0(VALU_DEP_1) | instskip(NEXT) | instid1(VALU_DEP_1)
	v_lshrrev_b32_e32 v62, s48, v155
	v_bitop3_b32 v63, v62, 1, s58 bitop3:0x80
	v_and_b32_e32 v159, s58, v62
	s_delay_alu instid0(VALU_DEP_2) | instskip(NEXT) | instid1(VALU_DEP_1)
	v_add_co_u32 v62, s17, v63, -1
	v_cndmask_b32_e64 v63, 0, 1, s17
	s_delay_alu instid0(VALU_DEP_3) | instskip(SKIP_1) | instid1(VALU_DEP_3)
	v_dual_lshlrev_b32 v157, 30, v159 :: v_dual_lshlrev_b32 v158, 29, v159
	v_dual_lshlrev_b32 v160, 28, v159 :: v_dual_lshlrev_b32 v161, 27, v159
	v_cmp_ne_u32_e32 vcc_lo, 0, v63
	s_delay_alu instid0(VALU_DEP_3)
	v_cmp_gt_i32_e64 s17, 0, v157
	v_not_b32_e32 v63, v157
	v_not_b32_e32 v157, v158
	v_dual_lshlrev_b32 v162, 26, v159 :: v_dual_lshlrev_b32 v163, 25, v159
	v_cmp_gt_i32_e64 s18, 0, v158
	v_cmp_gt_i32_e64 s19, 0, v160
	v_not_b32_e32 v158, v160
	v_not_b32_e32 v160, v161
	v_dual_ashrrev_i32 v63, 31, v63 :: v_dual_ashrrev_i32 v157, 31, v157
	v_cmp_gt_i32_e64 s20, 0, v161
	v_cmp_gt_i32_e64 s21, 0, v162
	v_not_b32_e32 v161, v162
	v_bitop3_b32 v62, vcc_lo, exec_lo, v62 bitop3:0x48
	v_dual_ashrrev_i32 v158, 31, v158 :: v_dual_ashrrev_i32 v160, 31, v160
	v_xor_b32_e32 v63, s17, v63
	v_not_b32_e32 v162, v163
	v_xor_b32_e32 v157, s18, v157
	s_delay_alu instid0(VALU_DEP_4) | instskip(SKIP_2) | instid1(VALU_DEP_4)
	v_dual_ashrrev_i32 v161, 31, v161 :: v_dual_bitop2_b32 v158, s19, v158 bitop3:0x14
	v_xor_b32_e32 v160, s20, v160
	v_cmp_gt_i32_e32 vcc_lo, 0, v163
	v_bitop3_b32 v62, v62, v157, v63 bitop3:0x80
	v_ashrrev_i32_e32 v63, 31, v162
	v_mad_u32_u24 v157, v159, 36, v114
	v_xor_b32_e32 v161, s21, v161
	s_delay_alu instid0(VALU_DEP_4) | instskip(NEXT) | instid1(VALU_DEP_4)
	v_bitop3_b32 v62, v62, v160, v158 bitop3:0x80
	v_xor_b32_e32 v63, vcc_lo, v63
	ds_load_b32 v157, v157 offset:544
	; wave barrier
	v_bitop3_b32 v62, v62, v63, v161 bitop3:0x80
	v_mul_u32_u24_e32 v63, 36, v159
	s_delay_alu instid0(VALU_DEP_2) | instskip(SKIP_1) | instid1(VALU_DEP_3)
	v_mbcnt_lo_u32_b32 v158, v62, 0
	v_cmp_ne_u32_e64 s17, 0, v62
	v_add_nc_u32_e32 v159, v114, v63
	s_delay_alu instid0(VALU_DEP_3) | instskip(SKIP_1) | instid1(SALU_CYCLE_1)
	v_cmp_eq_u32_e32 vcc_lo, 0, v158
	s_and_b32 s18, s17, vcc_lo
	s_and_saveexec_b32 s17, s18
	s_cbranch_execz .LBB289_441
; %bb.440:                              ;   in Loop: Header=BB289_410 Depth=2
	s_wait_dscnt 0x0
	v_bcnt_u32_b32 v62, v62, v157
	ds_store_b32 v159, v62 offset:544
.LBB289_441:                            ;   in Loop: Header=BB289_410 Depth=2
	s_or_b32 exec_lo, exec_lo, s17
	v_bitop3_b16 v62, v142, s43, 0x7f bitop3:0x48
	; wave barrier
	s_delay_alu instid0(VALU_DEP_1) | instskip(NEXT) | instid1(VALU_DEP_1)
	v_and_b32_e32 v62, 0xffff, v62
	v_lshrrev_b32_e32 v62, s48, v62
	s_delay_alu instid0(VALU_DEP_1) | instskip(SKIP_1) | instid1(VALU_DEP_2)
	v_bitop3_b32 v63, v62, 1, s58 bitop3:0x80
	v_and_b32_e32 v162, s58, v62
	v_add_co_u32 v62, s17, v63, -1
	s_delay_alu instid0(VALU_DEP_1) | instskip(NEXT) | instid1(VALU_DEP_3)
	v_cndmask_b32_e64 v63, 0, 1, s17
	v_dual_lshlrev_b32 v160, 30, v162 :: v_dual_lshlrev_b32 v161, 29, v162
	s_delay_alu instid0(VALU_DEP_2) | instskip(NEXT) | instid1(VALU_DEP_2)
	v_cmp_ne_u32_e32 vcc_lo, 0, v63
	v_cmp_gt_i32_e64 s17, 0, v160
	v_not_b32_e32 v63, v160
	s_delay_alu instid0(VALU_DEP_4) | instskip(SKIP_2) | instid1(VALU_DEP_3)
	v_not_b32_e32 v160, v161
	v_cmp_gt_i32_e64 s18, 0, v161
	v_bitop3_b32 v62, vcc_lo, exec_lo, v62 bitop3:0x48
	v_dual_ashrrev_i32 v63, 31, v63 :: v_dual_ashrrev_i32 v160, 31, v160
	v_dual_lshlrev_b32 v163, 28, v162 :: v_dual_lshlrev_b32 v164, 27, v162
	v_dual_lshlrev_b32 v165, 26, v162 :: v_dual_lshlrev_b32 v166, 25, v162
	s_delay_alu instid0(VALU_DEP_2) | instskip(SKIP_1) | instid1(VALU_DEP_4)
	v_cmp_gt_i32_e64 s19, 0, v163
	v_not_b32_e32 v161, v163
	v_cmp_gt_i32_e64 s20, 0, v164
	v_not_b32_e32 v163, v164
	v_cmp_gt_i32_e64 s21, 0, v165
	v_not_b32_e32 v164, v165
	v_not_b32_e32 v165, v166
	v_xor_b32_e32 v63, s17, v63
	v_dual_ashrrev_i32 v161, 31, v161 :: v_dual_bitop2_b32 v160, s18, v160 bitop3:0x14
	s_delay_alu instid0(VALU_DEP_4) | instskip(NEXT) | instid1(VALU_DEP_4)
	v_dual_ashrrev_i32 v163, 31, v163 :: v_dual_ashrrev_i32 v164, 31, v164
	v_ashrrev_i32_e32 v165, 31, v165
	s_delay_alu instid0(VALU_DEP_3)
	v_bitop3_b32 v62, v62, v160, v63 bitop3:0x80
	v_mad_u32_u24 v63, v162, 36, v114
	v_cmp_gt_i32_e64 s22, 0, v166
	v_xor_b32_e32 v163, s20, v163
	v_xor_b32_e32 v164, s21, v164
	ds_load_b32 v160, v63 offset:544
	v_mul_u32_u24_e32 v63, 36, v162
	v_xor_b32_e32 v161, s19, v161
	v_xor_b32_e32 v165, s22, v165
	; wave barrier
	s_delay_alu instid0(VALU_DEP_3) | instskip(NEXT) | instid1(VALU_DEP_3)
	v_add_nc_u32_e32 v162, v114, v63
	v_bitop3_b32 v62, v62, v163, v161 bitop3:0x80
	s_delay_alu instid0(VALU_DEP_1) | instskip(NEXT) | instid1(VALU_DEP_1)
	v_bitop3_b32 v62, v62, v165, v164 bitop3:0x80
	v_mbcnt_lo_u32_b32 v161, v62, 0
	v_cmp_ne_u32_e64 s17, 0, v62
	s_delay_alu instid0(VALU_DEP_2) | instskip(SKIP_1) | instid1(SALU_CYCLE_1)
	v_cmp_eq_u32_e32 vcc_lo, 0, v161
	s_and_b32 s18, s17, vcc_lo
	s_and_saveexec_b32 s17, s18
	s_cbranch_execz .LBB289_443
; %bb.442:                              ;   in Loop: Header=BB289_410 Depth=2
	s_wait_dscnt 0x0
	v_bcnt_u32_b32 v62, v62, v160
	ds_store_b32 v162, v62 offset:544
.LBB289_443:                            ;   in Loop: Header=BB289_410 Depth=2
	s_or_b32 exec_lo, exec_lo, s17
	v_xor_b32_e32 v62, 0x7f, v145
	v_xor_b32_e32 v63, 0x7f, v144
	;; [unrolled: 1-line block ×4, first 2 shown]
	s_delay_alu instid0(VALU_DEP_4) | instskip(NEXT) | instid1(VALU_DEP_4)
	v_lshlrev_b16 v62, 8, v62
	v_lshlrev_b16 v63, 8, v63
	; wave barrier
	s_delay_alu instid0(VALU_DEP_2) | instskip(NEXT) | instid1(VALU_DEP_2)
	v_bitop3_b16 v142, v142, v62, 0xff bitop3:0xec
	v_bitop3_b16 v62, v143, v63, 0xff bitop3:0xec
	s_delay_alu instid0(VALU_DEP_2) | instskip(NEXT) | instid1(VALU_DEP_2)
	v_and_b32_e32 v63, 0xffff, v142
	v_lshlrev_b32_e32 v62, 16, v62
	s_delay_alu instid0(VALU_DEP_1) | instskip(NEXT) | instid1(VALU_DEP_1)
	v_or_b32_e32 v143, v63, v62
	v_bfe_u32 v62, v143, 8, 8
	s_delay_alu instid0(VALU_DEP_1) | instskip(NEXT) | instid1(VALU_DEP_1)
	v_lshrrev_b32_e32 v62, s48, v62
	v_bitop3_b32 v63, v62, 1, s58 bitop3:0x80
	v_and_b32_e32 v163, s58, v62
	s_delay_alu instid0(VALU_DEP_2) | instskip(NEXT) | instid1(VALU_DEP_1)
	v_add_co_u32 v62, s17, v63, -1
	v_cndmask_b32_e64 v63, 0, 1, s17
	s_delay_alu instid0(VALU_DEP_3) | instskip(NEXT) | instid1(VALU_DEP_2)
	v_lshlrev_b32_e32 v144, 30, v163
	v_cmp_ne_u32_e32 vcc_lo, 0, v63
	s_delay_alu instid0(VALU_DEP_2) | instskip(SKIP_2) | instid1(VALU_DEP_3)
	v_not_b32_e32 v63, v144
	v_cmp_gt_i32_e64 s17, 0, v144
	v_bitop3_b32 v62, vcc_lo, exec_lo, v62 bitop3:0x48
	v_ashrrev_i32_e32 v63, 31, v63
	v_dual_lshlrev_b32 v145, 29, v163 :: v_dual_lshlrev_b32 v164, 28, v163
	v_dual_lshlrev_b32 v165, 27, v163 :: v_dual_lshlrev_b32 v166, 26, v163
	s_delay_alu instid0(VALU_DEP_2)
	v_not_b32_e32 v144, v145
	v_lshlrev_b32_e32 v167, 25, v163
	v_cmp_gt_i32_e64 s18, 0, v145
	v_cmp_gt_i32_e64 s19, 0, v164
	v_not_b32_e32 v145, v164
	v_ashrrev_i32_e32 v144, 31, v144
	v_cmp_gt_i32_e64 s20, 0, v165
	v_not_b32_e32 v164, v165
	v_cmp_gt_i32_e64 s21, 0, v166
	v_not_b32_e32 v165, v166
	v_not_b32_e32 v166, v167
	v_xor_b32_e32 v63, s17, v63
	v_dual_ashrrev_i32 v145, 31, v145 :: v_dual_bitop2_b32 v144, s18, v144 bitop3:0x14
	s_delay_alu instid0(VALU_DEP_4) | instskip(NEXT) | instid1(VALU_DEP_4)
	v_dual_ashrrev_i32 v164, 31, v164 :: v_dual_ashrrev_i32 v165, 31, v165
	v_ashrrev_i32_e32 v166, 31, v166
	s_delay_alu instid0(VALU_DEP_3)
	v_bitop3_b32 v62, v62, v144, v63 bitop3:0x80
	v_mad_u32_u24 v63, v163, 36, v114
	v_cmp_gt_i32_e64 s22, 0, v167
	v_xor_b32_e32 v164, s20, v164
	v_xor_b32_e32 v165, s21, v165
	ds_load_b32 v144, v63 offset:544
	v_mul_u32_u24_e32 v63, 36, v163
	v_xor_b32_e32 v145, s19, v145
	v_xor_b32_e32 v166, s22, v166
	; wave barrier
	s_delay_alu instid0(VALU_DEP_3) | instskip(NEXT) | instid1(VALU_DEP_3)
	v_add_nc_u32_e32 v163, v114, v63
	v_bitop3_b32 v62, v62, v164, v145 bitop3:0x80
	s_delay_alu instid0(VALU_DEP_1) | instskip(NEXT) | instid1(VALU_DEP_1)
	v_bitop3_b32 v62, v62, v166, v165 bitop3:0x80
	v_mbcnt_lo_u32_b32 v145, v62, 0
	v_cmp_ne_u32_e64 s17, 0, v62
	s_delay_alu instid0(VALU_DEP_2) | instskip(SKIP_1) | instid1(SALU_CYCLE_1)
	v_cmp_eq_u32_e32 vcc_lo, 0, v145
	s_and_b32 s18, s17, vcc_lo
	s_and_saveexec_b32 s17, s18
	s_cbranch_execz .LBB289_445
; %bb.444:                              ;   in Loop: Header=BB289_410 Depth=2
	s_wait_dscnt 0x0
	v_bcnt_u32_b32 v62, v62, v144
	ds_store_b32 v163, v62 offset:544
.LBB289_445:                            ;   in Loop: Header=BB289_410 Depth=2
	s_or_b32 exec_lo, exec_lo, s17
	v_bfe_u32 v62, v143, 16, 8
	; wave barrier
	s_delay_alu instid0(VALU_DEP_1) | instskip(NEXT) | instid1(VALU_DEP_1)
	v_lshrrev_b32_e32 v62, s48, v62
	v_bitop3_b32 v63, v62, 1, s58 bitop3:0x80
	v_and_b32_e32 v166, s58, v62
	s_delay_alu instid0(VALU_DEP_2) | instskip(NEXT) | instid1(VALU_DEP_1)
	v_add_co_u32 v62, s17, v63, -1
	v_cndmask_b32_e64 v63, 0, 1, s17
	s_delay_alu instid0(VALU_DEP_3) | instskip(NEXT) | instid1(VALU_DEP_2)
	v_dual_lshlrev_b32 v164, 30, v166 :: v_dual_lshlrev_b32 v165, 29, v166
	v_cmp_ne_u32_e32 vcc_lo, 0, v63
	s_delay_alu instid0(VALU_DEP_2) | instskip(SKIP_1) | instid1(VALU_DEP_4)
	v_cmp_gt_i32_e64 s17, 0, v164
	v_not_b32_e32 v63, v164
	v_not_b32_e32 v164, v165
	v_cmp_gt_i32_e64 s18, 0, v165
	v_bitop3_b32 v62, vcc_lo, exec_lo, v62 bitop3:0x48
	s_delay_alu instid0(VALU_DEP_3) | instskip(SKIP_2) | instid1(VALU_DEP_2)
	v_dual_ashrrev_i32 v63, 31, v63 :: v_dual_ashrrev_i32 v164, 31, v164
	v_dual_lshlrev_b32 v167, 28, v166 :: v_dual_lshlrev_b32 v168, 27, v166
	v_dual_lshlrev_b32 v169, 26, v166 :: v_dual_lshlrev_b32 v170, 25, v166
	v_cmp_gt_i32_e64 s19, 0, v167
	v_not_b32_e32 v165, v167
	s_delay_alu instid0(VALU_DEP_4) | instskip(SKIP_3) | instid1(VALU_DEP_4)
	v_not_b32_e32 v167, v168
	v_cmp_gt_i32_e64 s20, 0, v168
	v_cmp_gt_i32_e64 s21, 0, v169
	v_not_b32_e32 v168, v169
	v_dual_ashrrev_i32 v165, 31, v165 :: v_dual_ashrrev_i32 v167, 31, v167
	v_xor_b32_e32 v63, s17, v63
	v_not_b32_e32 v169, v170
	v_xor_b32_e32 v164, s18, v164
	s_delay_alu instid0(VALU_DEP_4) | instskip(SKIP_2) | instid1(VALU_DEP_4)
	v_dual_ashrrev_i32 v168, 31, v168 :: v_dual_bitop2_b32 v165, s19, v165 bitop3:0x14
	v_xor_b32_e32 v167, s20, v167
	v_cmp_gt_i32_e32 vcc_lo, 0, v170
	v_bitop3_b32 v62, v62, v164, v63 bitop3:0x80
	v_ashrrev_i32_e32 v63, 31, v169
	v_mad_u32_u24 v164, v166, 36, v114
	v_xor_b32_e32 v168, s21, v168
	s_delay_alu instid0(VALU_DEP_4) | instskip(NEXT) | instid1(VALU_DEP_4)
	v_bitop3_b32 v62, v62, v167, v165 bitop3:0x80
	v_xor_b32_e32 v63, vcc_lo, v63
	ds_load_b32 v164, v164 offset:544
	; wave barrier
	v_bitop3_b32 v62, v62, v63, v168 bitop3:0x80
	v_mul_u32_u24_e32 v63, 36, v166
	s_delay_alu instid0(VALU_DEP_2) | instskip(SKIP_1) | instid1(VALU_DEP_3)
	v_mbcnt_lo_u32_b32 v165, v62, 0
	v_cmp_ne_u32_e64 s17, 0, v62
	v_add_nc_u32_e32 v167, v114, v63
	s_delay_alu instid0(VALU_DEP_3) | instskip(SKIP_1) | instid1(SALU_CYCLE_1)
	v_cmp_eq_u32_e32 vcc_lo, 0, v165
	s_and_b32 s18, s17, vcc_lo
	s_and_saveexec_b32 s17, s18
	s_cbranch_execz .LBB289_447
; %bb.446:                              ;   in Loop: Header=BB289_410 Depth=2
	s_wait_dscnt 0x0
	v_bcnt_u32_b32 v62, v62, v164
	ds_store_b32 v167, v62 offset:544
.LBB289_447:                            ;   in Loop: Header=BB289_410 Depth=2
	s_or_b32 exec_lo, exec_lo, s17
	v_lshrrev_b32_e32 v166, 24, v143
	; wave barrier
	s_delay_alu instid0(VALU_DEP_1) | instskip(NEXT) | instid1(VALU_DEP_1)
	v_lshrrev_b32_e32 v62, s48, v166
	v_bitop3_b32 v63, v62, 1, s58 bitop3:0x80
	v_and_b32_e32 v170, s58, v62
	s_delay_alu instid0(VALU_DEP_2) | instskip(NEXT) | instid1(VALU_DEP_1)
	v_add_co_u32 v62, s17, v63, -1
	v_cndmask_b32_e64 v63, 0, 1, s17
	s_delay_alu instid0(VALU_DEP_3) | instskip(SKIP_1) | instid1(VALU_DEP_3)
	v_dual_lshlrev_b32 v168, 30, v170 :: v_dual_lshlrev_b32 v169, 29, v170
	v_dual_lshlrev_b32 v171, 28, v170 :: v_dual_lshlrev_b32 v172, 27, v170
	v_cmp_ne_u32_e32 vcc_lo, 0, v63
	s_delay_alu instid0(VALU_DEP_3)
	v_cmp_gt_i32_e64 s17, 0, v168
	v_not_b32_e32 v63, v168
	v_not_b32_e32 v168, v169
	v_dual_lshlrev_b32 v173, 26, v170 :: v_dual_lshlrev_b32 v174, 25, v170
	v_cmp_gt_i32_e64 s18, 0, v169
	v_cmp_gt_i32_e64 s19, 0, v171
	v_not_b32_e32 v169, v171
	v_not_b32_e32 v171, v172
	v_dual_ashrrev_i32 v63, 31, v63 :: v_dual_ashrrev_i32 v168, 31, v168
	v_cmp_gt_i32_e64 s20, 0, v172
	v_cmp_gt_i32_e64 s21, 0, v173
	v_not_b32_e32 v172, v173
	v_bitop3_b32 v62, vcc_lo, exec_lo, v62 bitop3:0x48
	v_dual_ashrrev_i32 v169, 31, v169 :: v_dual_ashrrev_i32 v171, 31, v171
	v_xor_b32_e32 v168, s18, v168
	s_delay_alu instid0(VALU_DEP_4) | instskip(SKIP_1) | instid1(VALU_DEP_4)
	v_dual_ashrrev_i32 v172, 31, v172 :: v_dual_bitop2_b32 v63, s17, v63 bitop3:0x14
	v_not_b32_e32 v173, v174
	v_xor_b32_e32 v169, s19, v169
	v_xor_b32_e32 v171, s20, v171
	s_delay_alu instid0(VALU_DEP_4)
	v_bitop3_b32 v62, v62, v168, v63 bitop3:0x80
	v_cmp_gt_i32_e32 vcc_lo, 0, v174
	v_ashrrev_i32_e32 v63, 31, v173
	v_mad_u32_u24 v168, v170, 36, v114
	v_xor_b32_e32 v172, s21, v172
	v_bitop3_b32 v62, v62, v171, v169 bitop3:0x80
	s_delay_alu instid0(VALU_DEP_4) | instskip(SKIP_3) | instid1(VALU_DEP_2)
	v_xor_b32_e32 v63, vcc_lo, v63
	ds_load_b32 v168, v168 offset:544
	; wave barrier
	v_bitop3_b32 v62, v62, v63, v172 bitop3:0x80
	v_mul_u32_u24_e32 v63, 36, v170
	v_mbcnt_lo_u32_b32 v169, v62, 0
	v_cmp_ne_u32_e64 s17, 0, v62
	s_delay_alu instid0(VALU_DEP_3) | instskip(NEXT) | instid1(VALU_DEP_3)
	v_add_nc_u32_e32 v170, v114, v63
	v_cmp_eq_u32_e32 vcc_lo, 0, v169
	s_and_b32 s18, s17, vcc_lo
	s_delay_alu instid0(SALU_CYCLE_1)
	s_and_saveexec_b32 s17, s18
	s_cbranch_execz .LBB289_449
; %bb.448:                              ;   in Loop: Header=BB289_410 Depth=2
	s_wait_dscnt 0x0
	v_bcnt_u32_b32 v62, v62, v168
	ds_store_b32 v170, v62 offset:544
.LBB289_449:                            ;   in Loop: Header=BB289_410 Depth=2
	s_or_b32 exec_lo, exec_lo, s17
	v_bitop3_b16 v62, v138, s43, 0x7f bitop3:0x48
	; wave barrier
	s_delay_alu instid0(VALU_DEP_1) | instskip(NEXT) | instid1(VALU_DEP_1)
	v_and_b32_e32 v62, 0xffff, v62
	v_lshrrev_b32_e32 v62, s48, v62
	s_delay_alu instid0(VALU_DEP_1) | instskip(NEXT) | instid1(VALU_DEP_1)
	v_and_b32_e32 v173, s58, v62
	v_lshlrev_b32_e32 v171, 30, v173
	v_bitop3_b32 v63, v62, 1, s58 bitop3:0x80
	s_delay_alu instid0(VALU_DEP_1) | instskip(NEXT) | instid1(VALU_DEP_1)
	v_add_co_u32 v62, s17, v63, -1
	v_cndmask_b32_e64 v63, 0, 1, s17
	s_delay_alu instid0(VALU_DEP_4) | instskip(NEXT) | instid1(VALU_DEP_2)
	v_cmp_gt_i32_e64 s17, 0, v171
	v_cmp_ne_u32_e32 vcc_lo, 0, v63
	v_not_b32_e32 v63, v171
	v_bitop3_b32 v62, vcc_lo, exec_lo, v62 bitop3:0x48
	s_delay_alu instid0(VALU_DEP_2) | instskip(SKIP_2) | instid1(VALU_DEP_3)
	v_dual_ashrrev_i32 v63, 31, v63 :: v_dual_lshlrev_b32 v172, 29, v173
	v_dual_lshlrev_b32 v174, 28, v173 :: v_dual_lshlrev_b32 v175, 27, v173
	v_lshlrev_b32_e32 v176, 26, v173
	v_not_b32_e32 v171, v172
	v_lshlrev_b32_e32 v177, 25, v173
	v_cmp_gt_i32_e64 s18, 0, v172
	v_cmp_gt_i32_e64 s19, 0, v174
	v_not_b32_e32 v172, v174
	v_ashrrev_i32_e32 v171, 31, v171
	v_cmp_gt_i32_e64 s20, 0, v175
	v_not_b32_e32 v174, v175
	v_cmp_gt_i32_e64 s21, 0, v176
	v_not_b32_e32 v175, v176
	v_not_b32_e32 v176, v177
	v_xor_b32_e32 v63, s17, v63
	v_dual_ashrrev_i32 v172, 31, v172 :: v_dual_bitop2_b32 v171, s18, v171 bitop3:0x14
	s_delay_alu instid0(VALU_DEP_3) | instskip(SKIP_1) | instid1(VALU_DEP_3)
	v_dual_ashrrev_i32 v174, 31, v174 :: v_dual_ashrrev_i32 v176, 31, v176
	v_cmp_gt_i32_e64 s22, 0, v177
	v_bitop3_b32 v62, v62, v171, v63 bitop3:0x80
	v_mad_u32_u24 v63, v173, 36, v114
	v_dual_ashrrev_i32 v175, 31, v175 :: v_dual_bitop2_b32 v172, s19, v172 bitop3:0x14
	s_delay_alu instid0(VALU_DEP_4) | instskip(SKIP_4) | instid1(VALU_DEP_3)
	v_xor_b32_e32 v176, s22, v176
	ds_load_b32 v171, v63 offset:544
	v_mul_u32_u24_e32 v63, 36, v173
	v_xor_b32_e32 v174, s20, v174
	v_xor_b32_e32 v175, s21, v175
	; wave barrier
	v_add_nc_u32_e32 v173, v114, v63
	s_delay_alu instid0(VALU_DEP_3) | instskip(NEXT) | instid1(VALU_DEP_1)
	v_bitop3_b32 v62, v62, v174, v172 bitop3:0x80
	v_bitop3_b32 v62, v62, v176, v175 bitop3:0x80
	s_delay_alu instid0(VALU_DEP_1) | instskip(SKIP_1) | instid1(VALU_DEP_2)
	v_mbcnt_lo_u32_b32 v172, v62, 0
	v_cmp_ne_u32_e64 s17, 0, v62
	v_cmp_eq_u32_e32 vcc_lo, 0, v172
	s_and_b32 s18, s17, vcc_lo
	s_delay_alu instid0(SALU_CYCLE_1)
	s_and_saveexec_b32 s17, s18
	s_cbranch_execz .LBB289_451
; %bb.450:                              ;   in Loop: Header=BB289_410 Depth=2
	s_wait_dscnt 0x0
	v_bcnt_u32_b32 v62, v62, v171
	ds_store_b32 v173, v62 offset:544
.LBB289_451:                            ;   in Loop: Header=BB289_410 Depth=2
	s_or_b32 exec_lo, exec_lo, s17
	v_xor_b32_e32 v62, 0x7f, v141
	v_xor_b32_e32 v63, 0x7f, v140
	;; [unrolled: 1-line block ×4, first 2 shown]
	s_delay_alu instid0(VALU_DEP_4) | instskip(NEXT) | instid1(VALU_DEP_4)
	v_lshlrev_b16 v62, 8, v62
	v_lshlrev_b16 v63, 8, v63
	; wave barrier
	s_delay_alu instid0(VALU_DEP_2) | instskip(NEXT) | instid1(VALU_DEP_2)
	v_bitop3_b16 v138, v138, v62, 0xff bitop3:0xec
	v_bitop3_b16 v62, v139, v63, 0xff bitop3:0xec
	s_delay_alu instid0(VALU_DEP_2) | instskip(NEXT) | instid1(VALU_DEP_2)
	v_and_b32_e32 v63, 0xffff, v138
	v_lshlrev_b32_e32 v62, 16, v62
	s_delay_alu instid0(VALU_DEP_1) | instskip(NEXT) | instid1(VALU_DEP_1)
	v_or_b32_e32 v139, v63, v62
	v_bfe_u32 v62, v139, 8, 8
	s_delay_alu instid0(VALU_DEP_1) | instskip(NEXT) | instid1(VALU_DEP_1)
	v_lshrrev_b32_e32 v62, s48, v62
	v_bitop3_b32 v63, v62, 1, s58 bitop3:0x80
	v_and_b32_e32 v174, s58, v62
	s_delay_alu instid0(VALU_DEP_2) | instskip(NEXT) | instid1(VALU_DEP_1)
	v_add_co_u32 v62, s17, v63, -1
	v_cndmask_b32_e64 v63, 0, 1, s17
	s_delay_alu instid0(VALU_DEP_3) | instskip(NEXT) | instid1(VALU_DEP_2)
	v_dual_lshlrev_b32 v140, 30, v174 :: v_dual_lshlrev_b32 v141, 29, v174
	v_cmp_ne_u32_e32 vcc_lo, 0, v63
	s_delay_alu instid0(VALU_DEP_2) | instskip(SKIP_1) | instid1(VALU_DEP_4)
	v_cmp_gt_i32_e64 s17, 0, v140
	v_not_b32_e32 v63, v140
	v_not_b32_e32 v140, v141
	v_cmp_gt_i32_e64 s18, 0, v141
	v_bitop3_b32 v62, vcc_lo, exec_lo, v62 bitop3:0x48
	s_delay_alu instid0(VALU_DEP_3) | instskip(SKIP_2) | instid1(VALU_DEP_2)
	v_dual_ashrrev_i32 v63, 31, v63 :: v_dual_ashrrev_i32 v140, 31, v140
	v_dual_lshlrev_b32 v175, 28, v174 :: v_dual_lshlrev_b32 v176, 27, v174
	v_dual_lshlrev_b32 v177, 26, v174 :: v_dual_lshlrev_b32 v178, 25, v174
	v_cmp_gt_i32_e64 s19, 0, v175
	v_not_b32_e32 v141, v175
	s_delay_alu instid0(VALU_DEP_4)
	v_cmp_gt_i32_e64 s20, 0, v176
	v_not_b32_e32 v175, v176
	v_cmp_gt_i32_e64 s21, 0, v177
	v_not_b32_e32 v176, v177
	v_not_b32_e32 v177, v178
	v_xor_b32_e32 v63, s17, v63
	v_dual_ashrrev_i32 v141, 31, v141 :: v_dual_bitop2_b32 v140, s18, v140 bitop3:0x14
	s_delay_alu instid0(VALU_DEP_4) | instskip(NEXT) | instid1(VALU_DEP_4)
	v_dual_ashrrev_i32 v175, 31, v175 :: v_dual_ashrrev_i32 v176, 31, v176
	v_ashrrev_i32_e32 v177, 31, v177
	s_delay_alu instid0(VALU_DEP_3)
	v_bitop3_b32 v62, v62, v140, v63 bitop3:0x80
	v_mad_u32_u24 v63, v174, 36, v114
	v_cmp_gt_i32_e64 s22, 0, v178
	v_xor_b32_e32 v175, s20, v175
	v_xor_b32_e32 v176, s21, v176
	ds_load_b32 v140, v63 offset:544
	v_mul_u32_u24_e32 v63, 36, v174
	v_xor_b32_e32 v141, s19, v141
	v_xor_b32_e32 v177, s22, v177
	; wave barrier
	s_delay_alu instid0(VALU_DEP_3) | instskip(NEXT) | instid1(VALU_DEP_3)
	v_add_nc_u32_e32 v174, v114, v63
	v_bitop3_b32 v62, v62, v175, v141 bitop3:0x80
	s_delay_alu instid0(VALU_DEP_1) | instskip(NEXT) | instid1(VALU_DEP_1)
	v_bitop3_b32 v62, v62, v177, v176 bitop3:0x80
	v_mbcnt_lo_u32_b32 v141, v62, 0
	v_cmp_ne_u32_e64 s17, 0, v62
	s_delay_alu instid0(VALU_DEP_2) | instskip(SKIP_1) | instid1(SALU_CYCLE_1)
	v_cmp_eq_u32_e32 vcc_lo, 0, v141
	s_and_b32 s18, s17, vcc_lo
	s_and_saveexec_b32 s17, s18
	s_cbranch_execz .LBB289_453
; %bb.452:                              ;   in Loop: Header=BB289_410 Depth=2
	s_wait_dscnt 0x0
	v_bcnt_u32_b32 v62, v62, v140
	ds_store_b32 v174, v62 offset:544
.LBB289_453:                            ;   in Loop: Header=BB289_410 Depth=2
	s_or_b32 exec_lo, exec_lo, s17
	v_bfe_u32 v62, v139, 16, 8
	; wave barrier
	s_delay_alu instid0(VALU_DEP_1) | instskip(NEXT) | instid1(VALU_DEP_1)
	v_lshrrev_b32_e32 v62, s48, v62
	v_and_b32_e32 v177, s58, v62
	s_delay_alu instid0(VALU_DEP_1) | instskip(SKIP_1) | instid1(VALU_DEP_1)
	v_lshlrev_b32_e32 v175, 30, v177
	v_bitop3_b32 v63, v62, 1, s58 bitop3:0x80
	v_add_co_u32 v62, s17, v63, -1
	s_delay_alu instid0(VALU_DEP_1) | instskip(NEXT) | instid1(VALU_DEP_4)
	v_cndmask_b32_e64 v63, 0, 1, s17
	v_cmp_gt_i32_e64 s17, 0, v175
	s_delay_alu instid0(VALU_DEP_2) | instskip(SKIP_2) | instid1(VALU_DEP_2)
	v_cmp_ne_u32_e32 vcc_lo, 0, v63
	v_not_b32_e32 v63, v175
	v_bitop3_b32 v62, vcc_lo, exec_lo, v62 bitop3:0x48
	v_dual_ashrrev_i32 v63, 31, v63 :: v_dual_lshlrev_b32 v176, 29, v177
	v_dual_lshlrev_b32 v178, 28, v177 :: v_dual_lshlrev_b32 v179, 27, v177
	s_delay_alu instid0(VALU_DEP_2) | instskip(NEXT) | instid1(VALU_DEP_3)
	v_dual_lshlrev_b32 v180, 26, v177 :: v_dual_bitop2_b32 v63, s17, v63 bitop3:0x14
	v_not_b32_e32 v175, v176
	v_lshlrev_b32_e32 v181, 25, v177
	v_cmp_gt_i32_e64 s18, 0, v176
	v_cmp_gt_i32_e64 s19, 0, v178
	v_not_b32_e32 v176, v178
	v_not_b32_e32 v178, v179
	v_ashrrev_i32_e32 v175, 31, v175
	v_cmp_gt_i32_e64 s20, 0, v179
	v_cmp_gt_i32_e64 s21, 0, v180
	v_not_b32_e32 v179, v180
	v_dual_ashrrev_i32 v176, 31, v176 :: v_dual_ashrrev_i32 v178, 31, v178
	v_not_b32_e32 v180, v181
	v_xor_b32_e32 v175, s18, v175
	s_delay_alu instid0(VALU_DEP_3) | instskip(NEXT) | instid1(VALU_DEP_4)
	v_dual_ashrrev_i32 v179, 31, v179 :: v_dual_bitop2_b32 v176, s19, v176 bitop3:0x14
	v_xor_b32_e32 v178, s20, v178
	v_cmp_gt_i32_e32 vcc_lo, 0, v181
	s_delay_alu instid0(VALU_DEP_4) | instskip(SKIP_3) | instid1(VALU_DEP_4)
	v_bitop3_b32 v62, v62, v175, v63 bitop3:0x80
	v_ashrrev_i32_e32 v63, 31, v180
	v_mad_u32_u24 v175, v177, 36, v114
	v_xor_b32_e32 v179, s21, v179
	v_bitop3_b32 v62, v62, v178, v176 bitop3:0x80
	s_delay_alu instid0(VALU_DEP_4) | instskip(SKIP_3) | instid1(VALU_DEP_2)
	v_xor_b32_e32 v63, vcc_lo, v63
	ds_load_b32 v175, v175 offset:544
	; wave barrier
	v_bitop3_b32 v62, v62, v63, v179 bitop3:0x80
	v_mul_u32_u24_e32 v63, 36, v177
	v_mbcnt_lo_u32_b32 v176, v62, 0
	v_cmp_ne_u32_e64 s17, 0, v62
	s_delay_alu instid0(VALU_DEP_3) | instskip(NEXT) | instid1(VALU_DEP_3)
	v_add_nc_u32_e32 v178, v114, v63
	v_cmp_eq_u32_e32 vcc_lo, 0, v176
	s_and_b32 s18, s17, vcc_lo
	s_delay_alu instid0(SALU_CYCLE_1)
	s_and_saveexec_b32 s17, s18
	s_cbranch_execz .LBB289_455
; %bb.454:                              ;   in Loop: Header=BB289_410 Depth=2
	s_wait_dscnt 0x0
	v_bcnt_u32_b32 v62, v62, v175
	ds_store_b32 v178, v62 offset:544
.LBB289_455:                            ;   in Loop: Header=BB289_410 Depth=2
	s_or_b32 exec_lo, exec_lo, s17
	v_lshrrev_b32_e32 v177, 24, v139
	; wave barrier
	s_delay_alu instid0(VALU_DEP_1) | instskip(NEXT) | instid1(VALU_DEP_1)
	v_lshrrev_b32_e32 v62, s48, v177
	v_bitop3_b32 v63, v62, 1, s58 bitop3:0x80
	v_and_b32_e32 v181, s58, v62
	s_delay_alu instid0(VALU_DEP_2) | instskip(NEXT) | instid1(VALU_DEP_1)
	v_add_co_u32 v62, s17, v63, -1
	v_cndmask_b32_e64 v63, 0, 1, s17
	s_delay_alu instid0(VALU_DEP_3) | instskip(SKIP_1) | instid1(VALU_DEP_3)
	v_dual_lshlrev_b32 v179, 30, v181 :: v_dual_lshlrev_b32 v180, 29, v181
	v_dual_lshlrev_b32 v182, 28, v181 :: v_dual_lshlrev_b32 v183, 27, v181
	v_cmp_ne_u32_e32 vcc_lo, 0, v63
	s_delay_alu instid0(VALU_DEP_3)
	v_cmp_gt_i32_e64 s17, 0, v179
	v_not_b32_e32 v63, v179
	v_not_b32_e32 v179, v180
	v_dual_lshlrev_b32 v184, 26, v181 :: v_dual_lshlrev_b32 v185, 25, v181
	v_cmp_gt_i32_e64 s18, 0, v180
	v_cmp_gt_i32_e64 s19, 0, v182
	v_not_b32_e32 v180, v182
	v_not_b32_e32 v182, v183
	v_ashrrev_i32_e32 v63, 31, v63
	v_ashrrev_i32_e32 v179, 31, v179
	v_cmp_gt_i32_e64 s20, 0, v183
	v_cmp_gt_i32_e64 s21, 0, v184
	v_not_b32_e32 v183, v184
	v_bitop3_b32 v62, vcc_lo, exec_lo, v62 bitop3:0x48
	v_dual_ashrrev_i32 v180, 31, v180 :: v_dual_ashrrev_i32 v182, 31, v182
	v_xor_b32_e32 v63, s17, v63
	v_not_b32_e32 v184, v185
	v_xor_b32_e32 v179, s18, v179
	s_delay_alu instid0(VALU_DEP_4) | instskip(SKIP_2) | instid1(VALU_DEP_4)
	v_dual_ashrrev_i32 v183, 31, v183 :: v_dual_bitop2_b32 v180, s19, v180 bitop3:0x14
	v_xor_b32_e32 v182, s20, v182
	v_cmp_gt_i32_e32 vcc_lo, 0, v185
	v_bitop3_b32 v62, v62, v179, v63 bitop3:0x80
	v_ashrrev_i32_e32 v63, 31, v184
	v_mad_u32_u24 v179, v181, 36, v114
	v_xor_b32_e32 v183, s21, v183
	s_delay_alu instid0(VALU_DEP_4) | instskip(NEXT) | instid1(VALU_DEP_4)
	v_bitop3_b32 v62, v62, v182, v180 bitop3:0x80
	v_xor_b32_e32 v63, vcc_lo, v63
	ds_load_b32 v179, v179 offset:544
	; wave barrier
	v_bitop3_b32 v62, v62, v63, v183 bitop3:0x80
	v_mul_u32_u24_e32 v63, 36, v181
	s_delay_alu instid0(VALU_DEP_2) | instskip(SKIP_1) | instid1(VALU_DEP_3)
	v_mbcnt_lo_u32_b32 v180, v62, 0
	v_cmp_ne_u32_e64 s17, 0, v62
	v_add_nc_u32_e32 v181, v114, v63
	s_delay_alu instid0(VALU_DEP_3) | instskip(SKIP_1) | instid1(SALU_CYCLE_1)
	v_cmp_eq_u32_e32 vcc_lo, 0, v180
	s_and_b32 s18, s17, vcc_lo
	s_and_saveexec_b32 s17, s18
	s_cbranch_execz .LBB289_457
; %bb.456:                              ;   in Loop: Header=BB289_410 Depth=2
	s_wait_dscnt 0x0
	v_bcnt_u32_b32 v62, v62, v179
	ds_store_b32 v181, v62 offset:544
.LBB289_457:                            ;   in Loop: Header=BB289_410 Depth=2
	s_or_b32 exec_lo, exec_lo, s17
	v_bitop3_b16 v62, v64, s43, 0x7f bitop3:0x48
	; wave barrier
	s_delay_alu instid0(VALU_DEP_1) | instskip(NEXT) | instid1(VALU_DEP_1)
	v_and_b32_e32 v62, 0xffff, v62
	v_lshrrev_b32_e32 v62, s48, v62
	s_delay_alu instid0(VALU_DEP_1) | instskip(NEXT) | instid1(VALU_DEP_1)
	v_and_b32_e32 v184, s58, v62
	v_lshlrev_b32_e32 v182, 30, v184
	v_bitop3_b32 v63, v62, 1, s58 bitop3:0x80
	s_delay_alu instid0(VALU_DEP_1) | instskip(NEXT) | instid1(VALU_DEP_1)
	v_add_co_u32 v62, s17, v63, -1
	v_cndmask_b32_e64 v63, 0, 1, s17
	s_delay_alu instid0(VALU_DEP_4) | instskip(NEXT) | instid1(VALU_DEP_2)
	v_cmp_gt_i32_e64 s17, 0, v182
	v_cmp_ne_u32_e32 vcc_lo, 0, v63
	v_not_b32_e32 v63, v182
	v_bitop3_b32 v62, vcc_lo, exec_lo, v62 bitop3:0x48
	s_delay_alu instid0(VALU_DEP_2) | instskip(SKIP_2) | instid1(VALU_DEP_3)
	v_dual_ashrrev_i32 v63, 31, v63 :: v_dual_lshlrev_b32 v183, 29, v184
	v_dual_lshlrev_b32 v185, 28, v184 :: v_dual_lshlrev_b32 v186, 27, v184
	v_lshlrev_b32_e32 v187, 26, v184
	v_not_b32_e32 v182, v183
	v_lshlrev_b32_e32 v188, 25, v184
	v_cmp_gt_i32_e64 s18, 0, v183
	v_cmp_gt_i32_e64 s19, 0, v185
	v_not_b32_e32 v183, v185
	v_not_b32_e32 v185, v186
	v_ashrrev_i32_e32 v182, 31, v182
	v_cmp_gt_i32_e64 s20, 0, v186
	v_cmp_gt_i32_e64 s21, 0, v187
	v_not_b32_e32 v186, v187
	v_not_b32_e32 v187, v188
	v_dual_ashrrev_i32 v183, 31, v183 :: v_dual_ashrrev_i32 v185, 31, v185
	s_delay_alu instid0(VALU_DEP_3) | instskip(NEXT) | instid1(VALU_DEP_3)
	v_dual_ashrrev_i32 v186, 31, v186 :: v_dual_bitop2_b32 v63, s17, v63 bitop3:0x14
	v_dual_ashrrev_i32 v187, 31, v187 :: v_dual_bitop2_b32 v182, s18, v182 bitop3:0x14
	v_cmp_gt_i32_e64 s22, 0, v188
	s_delay_alu instid0(VALU_DEP_4) | instskip(SKIP_1) | instid1(VALU_DEP_4)
	v_xor_b32_e32 v183, s19, v183
	v_xor_b32_e32 v185, s20, v185
	v_bitop3_b32 v62, v62, v182, v63 bitop3:0x80
	v_mad_u32_u24 v63, v184, 36, v114
	v_xor_b32_e32 v187, s22, v187
	s_delay_alu instid0(VALU_DEP_3) | instskip(SKIP_3) | instid1(VALU_DEP_2)
	v_bitop3_b32 v62, v62, v185, v183 bitop3:0x80
	ds_load_b32 v182, v63 offset:544
	v_mul_u32_u24_e32 v63, 36, v184
	v_xor_b32_e32 v186, s21, v186
	; wave barrier
	v_add_nc_u32_e32 v185, v114, v63
	s_delay_alu instid0(VALU_DEP_2) | instskip(NEXT) | instid1(VALU_DEP_1)
	v_bitop3_b32 v62, v62, v187, v186 bitop3:0x80
	v_mbcnt_lo_u32_b32 v183, v62, 0
	v_cmp_ne_u32_e64 s17, 0, v62
	s_delay_alu instid0(VALU_DEP_2) | instskip(SKIP_1) | instid1(SALU_CYCLE_1)
	v_cmp_eq_u32_e32 vcc_lo, 0, v183
	s_and_b32 s18, s17, vcc_lo
	s_and_saveexec_b32 s17, s18
	s_cbranch_execz .LBB289_459
; %bb.458:                              ;   in Loop: Header=BB289_410 Depth=2
	s_wait_dscnt 0x0
	v_bcnt_u32_b32 v62, v62, v182
	ds_store_b32 v185, v62 offset:544
.LBB289_459:                            ;   in Loop: Header=BB289_410 Depth=2
	s_or_b32 exec_lo, exec_lo, s17
	v_xor_b32_e32 v62, 0x7f, v136
	v_xor_b32_e32 v63, 0x7f, v135
	;; [unrolled: 1-line block ×4, first 2 shown]
	s_delay_alu instid0(VALU_DEP_4) | instskip(NEXT) | instid1(VALU_DEP_4)
	v_lshlrev_b16 v62, 8, v62
	v_lshlrev_b16 v63, 8, v63
	; wave barrier
	s_delay_alu instid0(VALU_DEP_2) | instskip(NEXT) | instid1(VALU_DEP_2)
	v_bitop3_b16 v184, v64, v62, 0xff bitop3:0xec
	v_bitop3_b16 v62, v65, v63, 0xff bitop3:0xec
	s_delay_alu instid0(VALU_DEP_2) | instskip(NEXT) | instid1(VALU_DEP_2)
	v_and_b32_e32 v63, 0xffff, v184
	v_lshlrev_b32_e32 v62, 16, v62
	s_delay_alu instid0(VALU_DEP_1) | instskip(NEXT) | instid1(VALU_DEP_1)
	v_or_b32_e32 v135, v63, v62
	v_bfe_u32 v62, v135, 8, 8
	s_delay_alu instid0(VALU_DEP_1) | instskip(NEXT) | instid1(VALU_DEP_1)
	v_lshrrev_b32_e32 v62, s48, v62
	v_bitop3_b32 v63, v62, 1, s58 bitop3:0x80
	v_and_b32_e32 v64, s58, v62
	s_delay_alu instid0(VALU_DEP_2) | instskip(NEXT) | instid1(VALU_DEP_1)
	v_add_co_u32 v62, s17, v63, -1
	v_cndmask_b32_e64 v63, 0, 1, s17
	s_delay_alu instid0(VALU_DEP_3) | instskip(NEXT) | instid1(VALU_DEP_2)
	v_lshlrev_b32_e32 v65, 30, v64
	v_cmp_ne_u32_e32 vcc_lo, 0, v63
	s_delay_alu instid0(VALU_DEP_2) | instskip(SKIP_2) | instid1(VALU_DEP_3)
	v_not_b32_e32 v63, v65
	v_cmp_gt_i32_e64 s17, 0, v65
	v_bitop3_b32 v62, vcc_lo, exec_lo, v62 bitop3:0x48
	v_dual_ashrrev_i32 v63, 31, v63 :: v_dual_lshlrev_b32 v136, 29, v64
	v_dual_lshlrev_b32 v186, 28, v64 :: v_dual_lshlrev_b32 v187, 27, v64
	v_lshlrev_b32_e32 v188, 26, v64
	s_delay_alu instid0(VALU_DEP_3)
	v_not_b32_e32 v65, v136
	v_lshlrev_b32_e32 v189, 25, v64
	v_cmp_gt_i32_e64 s18, 0, v136
	v_cmp_gt_i32_e64 s19, 0, v186
	v_not_b32_e32 v136, v186
	v_not_b32_e32 v186, v187
	v_ashrrev_i32_e32 v65, 31, v65
	v_cmp_gt_i32_e64 s20, 0, v187
	v_cmp_gt_i32_e64 s21, 0, v188
	v_not_b32_e32 v187, v188
	v_not_b32_e32 v188, v189
	v_dual_ashrrev_i32 v136, 31, v136 :: v_dual_ashrrev_i32 v186, 31, v186
	v_xor_b32_e32 v63, s17, v63
	s_delay_alu instid0(VALU_DEP_4)
	v_dual_ashrrev_i32 v187, 31, v187 :: v_dual_bitop2_b32 v65, s18, v65 bitop3:0x14
	v_cmp_gt_i32_e64 s22, 0, v189
	v_ashrrev_i32_e32 v188, 31, v188
	v_xor_b32_e32 v136, s19, v136
	v_xor_b32_e32 v186, s20, v186
	v_bitop3_b32 v62, v62, v65, v63 bitop3:0x80
	v_mad_u32_u24 v63, v64, 36, v114
	v_xor_b32_e32 v65, s21, v187
	v_xor_b32_e32 v187, s22, v188
	s_delay_alu instid0(VALU_DEP_4) | instskip(SKIP_3) | instid1(VALU_DEP_2)
	v_bitop3_b32 v62, v62, v186, v136 bitop3:0x80
	ds_load_b32 v136, v63 offset:544
	v_mul_u32_u24_e32 v63, 36, v64
	; wave barrier
	v_bitop3_b32 v62, v62, v187, v65 bitop3:0x80
	v_add_nc_u32_e32 v187, v114, v63
	s_delay_alu instid0(VALU_DEP_2) | instskip(SKIP_1) | instid1(VALU_DEP_2)
	v_mbcnt_lo_u32_b32 v186, v62, 0
	v_cmp_ne_u32_e64 s17, 0, v62
	v_cmp_eq_u32_e32 vcc_lo, 0, v186
	s_and_b32 s18, s17, vcc_lo
	s_delay_alu instid0(SALU_CYCLE_1)
	s_and_saveexec_b32 s17, s18
	s_cbranch_execz .LBB289_461
; %bb.460:                              ;   in Loop: Header=BB289_410 Depth=2
	s_wait_dscnt 0x0
	v_bcnt_u32_b32 v62, v62, v136
	ds_store_b32 v187, v62 offset:544
.LBB289_461:                            ;   in Loop: Header=BB289_410 Depth=2
	s_or_b32 exec_lo, exec_lo, s17
	v_bfe_u32 v62, v135, 16, 8
	; wave barrier
	s_delay_alu instid0(VALU_DEP_1) | instskip(NEXT) | instid1(VALU_DEP_1)
	v_lshrrev_b32_e32 v62, s48, v62
	v_and_b32_e32 v64, s58, v62
	s_delay_alu instid0(VALU_DEP_1) | instskip(SKIP_1) | instid1(VALU_DEP_1)
	v_lshlrev_b32_e32 v65, 30, v64
	v_bitop3_b32 v63, v62, 1, s58 bitop3:0x80
	v_add_co_u32 v62, s17, v63, -1
	s_delay_alu instid0(VALU_DEP_1) | instskip(NEXT) | instid1(VALU_DEP_4)
	v_cndmask_b32_e64 v63, 0, 1, s17
	v_cmp_gt_i32_e64 s17, 0, v65
	s_delay_alu instid0(VALU_DEP_2) | instskip(SKIP_2) | instid1(VALU_DEP_2)
	v_cmp_ne_u32_e32 vcc_lo, 0, v63
	v_not_b32_e32 v63, v65
	v_bitop3_b32 v62, vcc_lo, exec_lo, v62 bitop3:0x48
	v_dual_ashrrev_i32 v63, 31, v63 :: v_dual_lshlrev_b32 v188, 29, v64
	v_dual_lshlrev_b32 v189, 28, v64 :: v_dual_lshlrev_b32 v190, 27, v64
	v_lshlrev_b32_e32 v191, 26, v64
	s_delay_alu instid0(VALU_DEP_3)
	v_not_b32_e32 v65, v188
	v_lshlrev_b32_e32 v192, 25, v64
	v_cmp_gt_i32_e64 s18, 0, v188
	v_cmp_gt_i32_e64 s19, 0, v189
	v_not_b32_e32 v188, v189
	v_not_b32_e32 v189, v190
	v_ashrrev_i32_e32 v65, 31, v65
	v_cmp_gt_i32_e64 s20, 0, v190
	v_cmp_gt_i32_e64 s21, 0, v191
	v_not_b32_e32 v190, v191
	v_dual_ashrrev_i32 v188, 31, v188 :: v_dual_ashrrev_i32 v189, 31, v189
	v_xor_b32_e32 v63, s17, v63
	v_not_b32_e32 v191, v192
	s_delay_alu instid0(VALU_DEP_4) | instskip(NEXT) | instid1(VALU_DEP_4)
	v_dual_ashrrev_i32 v190, 31, v190 :: v_dual_bitop2_b32 v65, s18, v65 bitop3:0x14
	v_xor_b32_e32 v188, s19, v188
	v_xor_b32_e32 v189, s20, v189
	v_cmp_gt_i32_e32 vcc_lo, 0, v192
	s_delay_alu instid0(VALU_DEP_4) | instskip(SKIP_3) | instid1(VALU_DEP_4)
	v_bitop3_b32 v62, v62, v65, v63 bitop3:0x80
	v_ashrrev_i32_e32 v63, 31, v191
	v_mad_u32_u24 v65, v64, 36, v114
	v_xor_b32_e32 v190, s21, v190
	v_bitop3_b32 v62, v62, v189, v188 bitop3:0x80
	s_delay_alu instid0(VALU_DEP_4) | instskip(SKIP_3) | instid1(VALU_DEP_2)
	v_xor_b32_e32 v63, vcc_lo, v63
	ds_load_b32 v188, v65 offset:544
	; wave barrier
	v_bitop3_b32 v62, v62, v63, v190 bitop3:0x80
	v_mul_u32_u24_e32 v63, 36, v64
	v_mbcnt_lo_u32_b32 v189, v62, 0
	v_cmp_ne_u32_e64 s17, 0, v62
	s_delay_alu instid0(VALU_DEP_3) | instskip(NEXT) | instid1(VALU_DEP_3)
	v_add_nc_u32_e32 v191, v114, v63
	v_cmp_eq_u32_e32 vcc_lo, 0, v189
	s_and_b32 s18, s17, vcc_lo
	s_delay_alu instid0(SALU_CYCLE_1)
	s_and_saveexec_b32 s17, s18
	s_cbranch_execz .LBB289_463
; %bb.462:                              ;   in Loop: Header=BB289_410 Depth=2
	s_wait_dscnt 0x0
	v_bcnt_u32_b32 v62, v62, v188
	ds_store_b32 v191, v62 offset:544
.LBB289_463:                            ;   in Loop: Header=BB289_410 Depth=2
	s_or_b32 exec_lo, exec_lo, s17
	v_lshrrev_b32_e32 v190, 24, v135
	; wave barrier
	s_delay_alu instid0(VALU_DEP_1) | instskip(NEXT) | instid1(VALU_DEP_1)
	v_lshrrev_b32_e32 v62, s48, v190
	v_and_b32_e32 v64, s58, v62
	s_delay_alu instid0(VALU_DEP_1) | instskip(SKIP_3) | instid1(VALU_DEP_3)
	v_lshlrev_b32_e32 v65, 30, v64
	v_bitop3_b32 v63, v62, 1, s58 bitop3:0x80
	v_dual_lshlrev_b32 v192, 29, v64 :: v_dual_lshlrev_b32 v193, 28, v64
	v_dual_lshlrev_b32 v194, 27, v64 :: v_dual_lshlrev_b32 v195, 26, v64
	v_add_co_u32 v62, s17, v63, -1
	s_delay_alu instid0(VALU_DEP_1)
	v_cndmask_b32_e64 v63, 0, 1, s17
	v_cmp_gt_i32_e64 s17, 0, v65
	v_cmp_gt_i32_e64 s18, 0, v192
	;; [unrolled: 1-line block ×4, first 2 shown]
	v_cmp_ne_u32_e32 vcc_lo, 0, v63
	v_not_b32_e32 v63, v65
	v_not_b32_e32 v65, v192
	v_lshlrev_b32_e32 v196, 25, v64
	v_not_b32_e32 v192, v193
	v_not_b32_e32 v193, v194
	s_delay_alu instid0(VALU_DEP_4)
	v_dual_ashrrev_i32 v63, 31, v63 :: v_dual_ashrrev_i32 v65, 31, v65
	v_cmp_gt_i32_e64 s21, 0, v195
	v_not_b32_e32 v194, v195
	v_bitop3_b32 v62, vcc_lo, exec_lo, v62 bitop3:0x48
	v_dual_ashrrev_i32 v192, 31, v192 :: v_dual_ashrrev_i32 v193, 31, v193
	v_xor_b32_e32 v63, s17, v63
	s_delay_alu instid0(VALU_DEP_4) | instskip(SKIP_1) | instid1(VALU_DEP_4)
	v_dual_ashrrev_i32 v194, 31, v194 :: v_dual_bitop2_b32 v65, s18, v65 bitop3:0x14
	v_not_b32_e32 v195, v196
	v_xor_b32_e32 v192, s19, v192
	v_xor_b32_e32 v193, s20, v193
	s_delay_alu instid0(VALU_DEP_4)
	v_bitop3_b32 v62, v62, v65, v63 bitop3:0x80
	v_cmp_gt_i32_e32 vcc_lo, 0, v196
	v_ashrrev_i32_e32 v63, 31, v195
	v_mad_u32_u24 v65, v64, 36, v114
	v_xor_b32_e32 v194, s21, v194
	v_bitop3_b32 v62, v62, v193, v192 bitop3:0x80
	s_delay_alu instid0(VALU_DEP_4) | instskip(SKIP_3) | instid1(VALU_DEP_2)
	v_xor_b32_e32 v63, vcc_lo, v63
	ds_load_b32 v192, v65 offset:544
	; wave barrier
	v_bitop3_b32 v62, v62, v63, v194 bitop3:0x80
	v_mul_u32_u24_e32 v63, 36, v64
	v_mbcnt_lo_u32_b32 v193, v62, 0
	v_cmp_ne_u32_e64 s17, 0, v62
	s_delay_alu instid0(VALU_DEP_3) | instskip(NEXT) | instid1(VALU_DEP_3)
	v_add_nc_u32_e32 v194, v114, v63
	v_cmp_eq_u32_e32 vcc_lo, 0, v193
	s_and_b32 s18, s17, vcc_lo
	s_delay_alu instid0(SALU_CYCLE_1)
	s_and_saveexec_b32 s17, s18
	s_cbranch_execz .LBB289_465
; %bb.464:                              ;   in Loop: Header=BB289_410 Depth=2
	s_wait_dscnt 0x0
	v_bcnt_u32_b32 v62, v62, v192
	ds_store_b32 v194, v62 offset:544
.LBB289_465:                            ;   in Loop: Header=BB289_410 Depth=2
	s_or_b32 exec_lo, exec_lo, s17
	v_xor_b32_e32 v115, 0x7f, v115
	; wave barrier
	s_delay_alu instid0(VALU_DEP_1) | instskip(NEXT) | instid1(VALU_DEP_1)
	v_and_b32_e32 v62, 0xff, v115
	v_lshrrev_b32_e32 v62, s48, v62
	s_delay_alu instid0(VALU_DEP_1) | instskip(NEXT) | instid1(VALU_DEP_1)
	v_and_b32_e32 v64, s58, v62
	v_lshlrev_b32_e32 v65, 30, v64
	v_bitop3_b32 v63, v62, 1, s58 bitop3:0x80
	s_delay_alu instid0(VALU_DEP_1) | instskip(NEXT) | instid1(VALU_DEP_1)
	v_add_co_u32 v62, s17, v63, -1
	v_cndmask_b32_e64 v63, 0, 1, s17
	s_delay_alu instid0(VALU_DEP_4) | instskip(NEXT) | instid1(VALU_DEP_2)
	v_cmp_gt_i32_e64 s17, 0, v65
	v_cmp_ne_u32_e32 vcc_lo, 0, v63
	v_not_b32_e32 v63, v65
	v_bitop3_b32 v62, vcc_lo, exec_lo, v62 bitop3:0x48
	s_delay_alu instid0(VALU_DEP_2) | instskip(SKIP_2) | instid1(VALU_DEP_3)
	v_dual_ashrrev_i32 v63, 31, v63 :: v_dual_lshlrev_b32 v195, 29, v64
	v_dual_lshlrev_b32 v196, 28, v64 :: v_dual_lshlrev_b32 v197, 27, v64
	v_lshlrev_b32_e32 v198, 26, v64
	v_not_b32_e32 v65, v195
	v_lshlrev_b32_e32 v199, 25, v64
	v_cmp_gt_i32_e64 s18, 0, v195
	v_cmp_gt_i32_e64 s19, 0, v196
	v_not_b32_e32 v195, v196
	v_not_b32_e32 v196, v197
	v_ashrrev_i32_e32 v65, 31, v65
	v_cmp_gt_i32_e64 s20, 0, v197
	v_cmp_gt_i32_e64 s21, 0, v198
	v_not_b32_e32 v197, v198
	v_not_b32_e32 v198, v199
	v_dual_ashrrev_i32 v195, 31, v195 :: v_dual_ashrrev_i32 v196, 31, v196
	s_delay_alu instid0(VALU_DEP_3) | instskip(NEXT) | instid1(VALU_DEP_3)
	v_dual_ashrrev_i32 v197, 31, v197 :: v_dual_bitop2_b32 v63, s17, v63 bitop3:0x14
	v_dual_ashrrev_i32 v198, 31, v198 :: v_dual_bitop2_b32 v65, s18, v65 bitop3:0x14
	v_cmp_gt_i32_e64 s22, 0, v199
	s_delay_alu instid0(VALU_DEP_4) | instskip(SKIP_1) | instid1(VALU_DEP_4)
	v_xor_b32_e32 v195, s19, v195
	v_xor_b32_e32 v196, s20, v196
	v_bitop3_b32 v62, v62, v65, v63 bitop3:0x80
	v_mad_u32_u24 v63, v64, 36, v114
	v_xor_b32_e32 v65, s21, v197
	v_xor_b32_e32 v197, s22, v198
	s_delay_alu instid0(VALU_DEP_4) | instskip(SKIP_3) | instid1(VALU_DEP_2)
	v_bitop3_b32 v62, v62, v196, v195 bitop3:0x80
	ds_load_b32 v195, v63 offset:544
	v_mul_u32_u24_e32 v63, 36, v64
	; wave barrier
	v_bitop3_b32 v62, v62, v197, v65 bitop3:0x80
	v_add_nc_u32_e32 v197, v114, v63
	s_delay_alu instid0(VALU_DEP_2) | instskip(SKIP_1) | instid1(VALU_DEP_2)
	v_mbcnt_lo_u32_b32 v196, v62, 0
	v_cmp_ne_u32_e64 s17, 0, v62
	v_cmp_eq_u32_e32 vcc_lo, 0, v196
	s_and_b32 s18, s17, vcc_lo
	s_delay_alu instid0(SALU_CYCLE_1)
	s_and_saveexec_b32 s17, s18
	s_cbranch_execz .LBB289_467
; %bb.466:                              ;   in Loop: Header=BB289_410 Depth=2
	s_wait_dscnt 0x0
	v_bcnt_u32_b32 v62, v62, v195
	ds_store_b32 v197, v62 offset:544
.LBB289_467:                            ;   in Loop: Header=BB289_410 Depth=2
	s_or_b32 exec_lo, exec_lo, s17
	; wave barrier
	s_wait_dscnt 0x0
	s_barrier_signal -1
	s_barrier_wait -1
	ds_load_2addr_b32 v[64:65], v90 offset0:136 offset1:137
	ds_load_2addr_b32 v[62:63], v90 offset0:138 offset1:139
	ds_load_b32 v198, v90 offset:560
	s_wait_dscnt 0x1
	v_add3_u32 v199, v65, v64, v62
	s_wait_dscnt 0x0
	s_delay_alu instid0(VALU_DEP_1) | instskip(NEXT) | instid1(VALU_DEP_1)
	v_add3_u32 v198, v199, v63, v198
	v_mov_b32_dpp v199, v198 row_shr:1 row_mask:0xf bank_mask:0xf
	s_delay_alu instid0(VALU_DEP_1) | instskip(NEXT) | instid1(VALU_DEP_1)
	v_cndmask_b32_e64 v199, v199, 0, s8
	v_add_nc_u32_e32 v198, v199, v198
	s_delay_alu instid0(VALU_DEP_1) | instskip(NEXT) | instid1(VALU_DEP_1)
	v_mov_b32_dpp v199, v198 row_shr:2 row_mask:0xf bank_mask:0xf
	v_cndmask_b32_e64 v199, 0, v199, s9
	s_delay_alu instid0(VALU_DEP_1) | instskip(NEXT) | instid1(VALU_DEP_1)
	v_add_nc_u32_e32 v198, v198, v199
	v_mov_b32_dpp v199, v198 row_shr:4 row_mask:0xf bank_mask:0xf
	s_delay_alu instid0(VALU_DEP_1) | instskip(NEXT) | instid1(VALU_DEP_1)
	v_cndmask_b32_e64 v199, 0, v199, s10
	v_add_nc_u32_e32 v198, v198, v199
	s_delay_alu instid0(VALU_DEP_1) | instskip(NEXT) | instid1(VALU_DEP_1)
	v_mov_b32_dpp v199, v198 row_shr:8 row_mask:0xf bank_mask:0xf
	v_cndmask_b32_e64 v199, 0, v199, s11
	s_delay_alu instid0(VALU_DEP_1) | instskip(SKIP_3) | instid1(VALU_DEP_1)
	v_add_nc_u32_e32 v198, v198, v199
	ds_swizzle_b32 v199, v198 offset:swizzle(BROADCAST,32,15)
	s_wait_dscnt 0x0
	v_cndmask_b32_e64 v199, v199, 0, s12
	v_add_nc_u32_e32 v198, v198, v199
	s_and_saveexec_b32 s17, s2
; %bb.468:                              ;   in Loop: Header=BB289_410 Depth=2
	ds_store_b32 v83, v198 offset:512
; %bb.469:                              ;   in Loop: Header=BB289_410 Depth=2
	s_or_b32 exec_lo, exec_lo, s17
	s_wait_dscnt 0x0
	s_barrier_signal -1
	s_barrier_wait -1
	s_and_saveexec_b32 s17, s3
	s_cbranch_execz .LBB289_471
; %bb.470:                              ;   in Loop: Header=BB289_410 Depth=2
	ds_load_b32 v199, v92 offset:512
	s_wait_dscnt 0x0
	v_mov_b32_dpp v200, v199 row_shr:1 row_mask:0xf bank_mask:0xf
	s_delay_alu instid0(VALU_DEP_1) | instskip(NEXT) | instid1(VALU_DEP_1)
	v_cndmask_b32_e64 v200, v200, 0, s14
	v_add_nc_u32_e32 v199, v200, v199
	s_delay_alu instid0(VALU_DEP_1) | instskip(NEXT) | instid1(VALU_DEP_1)
	v_mov_b32_dpp v200, v199 row_shr:2 row_mask:0xf bank_mask:0xf
	v_cndmask_b32_e64 v200, 0, v200, s15
	s_delay_alu instid0(VALU_DEP_1) | instskip(NEXT) | instid1(VALU_DEP_1)
	v_add_nc_u32_e32 v199, v199, v200
	v_mov_b32_dpp v200, v199 row_shr:4 row_mask:0xf bank_mask:0xf
	s_delay_alu instid0(VALU_DEP_1) | instskip(NEXT) | instid1(VALU_DEP_1)
	v_cndmask_b32_e64 v200, 0, v200, s16
	v_add_nc_u32_e32 v199, v199, v200
	ds_store_b32 v92, v199 offset:512
.LBB289_471:                            ;   in Loop: Header=BB289_410 Depth=2
	s_or_b32 exec_lo, exec_lo, s17
	v_mov_b32_e32 v199, 0
	s_wait_dscnt 0x0
	s_barrier_signal -1
	s_barrier_wait -1
	s_and_saveexec_b32 s17, s5
; %bb.472:                              ;   in Loop: Header=BB289_410 Depth=2
	ds_load_b32 v199, v83 offset:508
; %bb.473:                              ;   in Loop: Header=BB289_410 Depth=2
	s_or_b32 exec_lo, exec_lo, s17
	s_wait_dscnt 0x0
	v_add_nc_u32_e32 v198, v199, v198
	ds_bpermute_b32 v198, v96, v198
	s_wait_dscnt 0x0
	v_cndmask_b32_e64 v198, v198, v199, s13
	s_delay_alu instid0(VALU_DEP_1) | instskip(NEXT) | instid1(VALU_DEP_1)
	v_cndmask_b32_e64 v198, v198, 0, s6
	v_add_nc_u32_e32 v64, v198, v64
	s_delay_alu instid0(VALU_DEP_1) | instskip(NEXT) | instid1(VALU_DEP_1)
	v_add_nc_u32_e32 v65, v64, v65
	v_add_nc_u32_e32 v62, v65, v62
	s_delay_alu instid0(VALU_DEP_1)
	v_add_nc_u32_e32 v63, v62, v63
	ds_store_2addr_b32 v90, v198, v64 offset0:136 offset1:137
	ds_store_2addr_b32 v90, v65, v62 offset0:138 offset1:139
	ds_store_b32 v90, v63 offset:560
	s_wait_dscnt 0x0
	s_barrier_signal -1
	s_barrier_wait -1
	ds_load_b32 v62, v149 offset:544
	ds_load_b32 v63, v152 offset:544
	;; [unrolled: 1-line block ×17, first 2 shown]
	s_and_saveexec_b32 s17, s0
	s_cbranch_execz .LBB289_477
; %bb.474:                              ;   in Loop: Header=BB289_410 Depth=2
	v_dual_mov_b32 v134, 0x1100 :: v_dual_add_nc_u32 v133, v92, v94
	ds_load_b32 v133, v133 offset:544
	s_and_saveexec_b32 s18, s7
; %bb.475:                              ;   in Loop: Header=BB289_410 Depth=2
	ds_load_b32 v134, v93 offset:544
; %bb.476:                              ;   in Loop: Header=BB289_410 Depth=2
	s_or_b32 exec_lo, exec_lo, s18
	s_wait_dscnt 0x0
	v_sub_nc_u32_e32 v134, v134, v133
.LBB289_477:                            ;   in Loop: Header=BB289_410 Depth=2
	s_or_b32 exec_lo, exec_lo, s17
	v_dual_lshrrev_b32 v202, 8, v148 :: v_dual_lshrrev_b32 v203, 16, v148
	v_dual_lshrrev_b32 v200, 8, v143 :: v_dual_lshrrev_b32 v201, 16, v143
	v_dual_lshrrev_b32 v198, 8, v139 :: v_dual_lshrrev_b32 v199, 16, v139
	v_dual_lshrrev_b32 v194, 8, v135 :: v_dual_lshrrev_b32 v197, 16, v135
	s_wait_dscnt 0x0
	s_barrier_signal -1
	s_barrier_wait -1
	s_and_saveexec_b32 s17, s0
	s_cbranch_execz .LBB289_479
; %bb.478:                              ;   in Loop: Header=BB289_410 Depth=2
	ds_load_b32 v135, v66
	s_wait_dscnt 0x0
	v_sub_nc_u32_e32 v135, v135, v133
	ds_store_b32 v66, v135
.LBB289_479:                            ;   in Loop: Header=BB289_410 Depth=2
	s_or_b32 exec_lo, exec_lo, s17
	v_add_nc_u32_e32 v156, v62, v146
	v_add3_u32 v152, v151, v150, v63
	v_add3_u32 v151, v154, v153, v64
	;; [unrolled: 1-line block ×16, first 2 shown]
	v_cmp_lt_u32_e32 vcc_lo, v2, v137
	ds_store_b8 v156, v147 offset:512
	ds_store_b8 v152, v202 offset:512
	;; [unrolled: 1-line block ×17, first 2 shown]
	s_wait_dscnt 0x0
	s_barrier_signal -1
	s_barrier_wait -1
	s_and_saveexec_b32 s17, vcc_lo
	s_cbranch_execnz .LBB289_552
; %bb.480:                              ;   in Loop: Header=BB289_410 Depth=2
	s_or_b32 exec_lo, exec_lo, s17
	v_cmp_lt_u32_e64 s17, v67, v137
	s_and_saveexec_b32 s18, s17
	s_cbranch_execnz .LBB289_553
.LBB289_481:                            ;   in Loop: Header=BB289_410 Depth=2
	s_or_b32 exec_lo, exec_lo, s18
	v_cmp_lt_u32_e64 s18, v68, v137
	s_and_saveexec_b32 s19, s18
	s_cbranch_execnz .LBB289_554
.LBB289_482:                            ;   in Loop: Header=BB289_410 Depth=2
	s_or_b32 exec_lo, exec_lo, s19
	v_cmp_lt_u32_e64 s19, v69, v137
	s_and_saveexec_b32 s20, s19
	s_cbranch_execnz .LBB289_555
.LBB289_483:                            ;   in Loop: Header=BB289_410 Depth=2
	s_or_b32 exec_lo, exec_lo, s20
	v_cmp_lt_u32_e64 s20, v70, v137
	s_and_saveexec_b32 s21, s20
	s_cbranch_execnz .LBB289_556
.LBB289_484:                            ;   in Loop: Header=BB289_410 Depth=2
	s_or_b32 exec_lo, exec_lo, s21
	v_cmp_lt_u32_e64 s21, v71, v137
	s_and_saveexec_b32 s22, s21
	s_cbranch_execnz .LBB289_557
.LBB289_485:                            ;   in Loop: Header=BB289_410 Depth=2
	s_or_b32 exec_lo, exec_lo, s22
	v_cmp_lt_u32_e64 s22, v72, v137
	s_and_saveexec_b32 s23, s22
	s_cbranch_execnz .LBB289_558
.LBB289_486:                            ;   in Loop: Header=BB289_410 Depth=2
	s_or_b32 exec_lo, exec_lo, s23
	v_cmp_lt_u32_e64 s23, v73, v137
	s_and_saveexec_b32 s24, s23
	s_cbranch_execnz .LBB289_559
.LBB289_487:                            ;   in Loop: Header=BB289_410 Depth=2
	s_or_b32 exec_lo, exec_lo, s24
	v_cmp_lt_u32_e64 s24, v74, v137
	s_and_saveexec_b32 s25, s24
	s_cbranch_execnz .LBB289_560
.LBB289_488:                            ;   in Loop: Header=BB289_410 Depth=2
	s_or_b32 exec_lo, exec_lo, s25
	v_cmp_lt_u32_e64 s25, v75, v137
	s_and_saveexec_b32 s26, s25
	s_cbranch_execnz .LBB289_561
.LBB289_489:                            ;   in Loop: Header=BB289_410 Depth=2
	s_or_b32 exec_lo, exec_lo, s26
	v_cmp_lt_u32_e64 s26, v76, v137
	s_and_saveexec_b32 s27, s26
	s_cbranch_execnz .LBB289_562
.LBB289_490:                            ;   in Loop: Header=BB289_410 Depth=2
	s_or_b32 exec_lo, exec_lo, s27
	v_cmp_lt_u32_e64 s27, v77, v137
	s_and_saveexec_b32 s28, s27
	s_cbranch_execnz .LBB289_563
.LBB289_491:                            ;   in Loop: Header=BB289_410 Depth=2
	s_or_b32 exec_lo, exec_lo, s28
	v_cmp_lt_u32_e64 s28, v78, v137
	s_and_saveexec_b32 s29, s28
	s_cbranch_execnz .LBB289_564
.LBB289_492:                            ;   in Loop: Header=BB289_410 Depth=2
	s_or_b32 exec_lo, exec_lo, s29
	v_cmp_lt_u32_e64 s29, v79, v137
	s_and_saveexec_b32 s30, s29
	s_cbranch_execnz .LBB289_565
.LBB289_493:                            ;   in Loop: Header=BB289_410 Depth=2
	s_or_b32 exec_lo, exec_lo, s30
	v_cmp_lt_u32_e64 s30, v80, v137
	s_and_saveexec_b32 s31, s30
	s_cbranch_execnz .LBB289_566
.LBB289_494:                            ;   in Loop: Header=BB289_410 Depth=2
	s_or_b32 exec_lo, exec_lo, s31
	v_cmp_lt_u32_e64 s31, v81, v137
	s_and_saveexec_b32 s33, s31
	s_cbranch_execnz .LBB289_567
.LBB289_495:                            ;   in Loop: Header=BB289_410 Depth=2
	s_or_b32 exec_lo, exec_lo, s33
	v_cmp_lt_u32_e64 s33, v82, v137
	s_and_saveexec_b32 s61, s33
	s_cbranch_execz .LBB289_497
.LBB289_496:                            ;   in Loop: Header=BB289_410 Depth=2
	ds_load_u8 v62, v2 offset:4608
	s_wait_dscnt 0x0
	v_and_b32_e32 v63, 0xff, v62
	v_xor_b32_e32 v62, 0x7f, v62
	s_delay_alu instid0(VALU_DEP_2) | instskip(NEXT) | instid1(VALU_DEP_1)
	v_lshrrev_b32_e32 v63, s48, v63
	v_and_b32_e32 v63, s58, v63
	s_delay_alu instid0(VALU_DEP_1)
	v_lshlrev_b32_e32 v63, 2, v63
	ds_load_b32 v63, v63
	s_wait_dscnt 0x0
	v_add_nc_u32_e32 v63, v63, v82
	global_store_b8 v63, v62, s[40:41]
.LBB289_497:                            ;   in Loop: Header=BB289_410 Depth=2
	s_wait_xcnt 0x0
	s_or_b32 exec_lo, exec_lo, s61
	v_lshl_add_u64 v[62:63], s[34:35], 3, v[26:27]
	v_cmp_lt_u32_e64 s34, v97, v137
	s_and_saveexec_b32 s61, s34
	s_delay_alu instid0(SALU_CYCLE_1)
	s_xor_b32 s34, exec_lo, s61
	s_cbranch_execnz .LBB289_568
; %bb.498:                              ;   in Loop: Header=BB289_410 Depth=2
	s_or_b32 exec_lo, exec_lo, s34
	s_delay_alu instid0(SALU_CYCLE_1)
	s_mov_b32 s61, exec_lo
	v_cmpx_lt_u32_e64 v98, v137
	s_cbranch_execnz .LBB289_569
.LBB289_499:                            ;   in Loop: Header=BB289_410 Depth=2
	s_or_b32 exec_lo, exec_lo, s61
	s_delay_alu instid0(SALU_CYCLE_1)
	s_mov_b32 s61, exec_lo
	v_cmpx_lt_u32_e64 v99, v137
	s_cbranch_execnz .LBB289_570
.LBB289_500:                            ;   in Loop: Header=BB289_410 Depth=2
	s_or_b32 exec_lo, exec_lo, s61
	s_delay_alu instid0(SALU_CYCLE_1)
	s_mov_b32 s61, exec_lo
	v_cmpx_lt_u32_e64 v100, v137
	s_cbranch_execnz .LBB289_571
.LBB289_501:                            ;   in Loop: Header=BB289_410 Depth=2
	s_or_b32 exec_lo, exec_lo, s61
	s_delay_alu instid0(SALU_CYCLE_1)
	s_mov_b32 s61, exec_lo
	v_cmpx_lt_u32_e64 v101, v137
	s_cbranch_execnz .LBB289_572
.LBB289_502:                            ;   in Loop: Header=BB289_410 Depth=2
	s_or_b32 exec_lo, exec_lo, s61
	s_delay_alu instid0(SALU_CYCLE_1)
	s_mov_b32 s61, exec_lo
	v_cmpx_lt_u32_e64 v102, v137
	s_cbranch_execnz .LBB289_573
.LBB289_503:                            ;   in Loop: Header=BB289_410 Depth=2
	s_or_b32 exec_lo, exec_lo, s61
	s_delay_alu instid0(SALU_CYCLE_1)
	s_mov_b32 s61, exec_lo
	v_cmpx_lt_u32_e64 v103, v137
	s_cbranch_execnz .LBB289_574
.LBB289_504:                            ;   in Loop: Header=BB289_410 Depth=2
	s_or_b32 exec_lo, exec_lo, s61
	s_delay_alu instid0(SALU_CYCLE_1)
	s_mov_b32 s61, exec_lo
	v_cmpx_lt_u32_e64 v104, v137
	s_cbranch_execnz .LBB289_575
.LBB289_505:                            ;   in Loop: Header=BB289_410 Depth=2
	s_or_b32 exec_lo, exec_lo, s61
	s_delay_alu instid0(SALU_CYCLE_1)
	s_mov_b32 s61, exec_lo
	v_cmpx_lt_u32_e64 v105, v137
	s_cbranch_execnz .LBB289_576
.LBB289_506:                            ;   in Loop: Header=BB289_410 Depth=2
	s_or_b32 exec_lo, exec_lo, s61
	s_delay_alu instid0(SALU_CYCLE_1)
	s_mov_b32 s61, exec_lo
	v_cmpx_lt_u32_e64 v106, v137
	s_cbranch_execnz .LBB289_577
.LBB289_507:                            ;   in Loop: Header=BB289_410 Depth=2
	s_or_b32 exec_lo, exec_lo, s61
	s_delay_alu instid0(SALU_CYCLE_1)
	s_mov_b32 s61, exec_lo
	v_cmpx_lt_u32_e64 v107, v137
	s_cbranch_execnz .LBB289_578
.LBB289_508:                            ;   in Loop: Header=BB289_410 Depth=2
	s_or_b32 exec_lo, exec_lo, s61
	s_delay_alu instid0(SALU_CYCLE_1)
	s_mov_b32 s61, exec_lo
	v_cmpx_lt_u32_e64 v108, v137
	s_cbranch_execnz .LBB289_579
.LBB289_509:                            ;   in Loop: Header=BB289_410 Depth=2
	s_or_b32 exec_lo, exec_lo, s61
	s_delay_alu instid0(SALU_CYCLE_1)
	s_mov_b32 s61, exec_lo
	v_cmpx_lt_u32_e64 v109, v137
	s_cbranch_execnz .LBB289_580
.LBB289_510:                            ;   in Loop: Header=BB289_410 Depth=2
	s_or_b32 exec_lo, exec_lo, s61
	s_delay_alu instid0(SALU_CYCLE_1)
	s_mov_b32 s61, exec_lo
	v_cmpx_lt_u32_e64 v110, v137
	s_cbranch_execnz .LBB289_581
.LBB289_511:                            ;   in Loop: Header=BB289_410 Depth=2
	s_or_b32 exec_lo, exec_lo, s61
	s_delay_alu instid0(SALU_CYCLE_1)
	s_mov_b32 s61, exec_lo
	v_cmpx_lt_u32_e64 v111, v137
	s_cbranch_execnz .LBB289_582
.LBB289_512:                            ;   in Loop: Header=BB289_410 Depth=2
	s_or_b32 exec_lo, exec_lo, s61
	s_delay_alu instid0(SALU_CYCLE_1)
	s_mov_b32 s61, exec_lo
	v_cmpx_lt_u32_e64 v112, v137
	s_cbranch_execnz .LBB289_583
.LBB289_513:                            ;   in Loop: Header=BB289_410 Depth=2
	s_or_b32 exec_lo, exec_lo, s61
	s_delay_alu instid0(SALU_CYCLE_1)
	s_mov_b32 s61, exec_lo
	v_cmpx_lt_u32_e64 v113, v137
	s_cbranch_execnz .LBB289_584
.LBB289_514:                            ;   in Loop: Header=BB289_410 Depth=2
	s_or_b32 exec_lo, exec_lo, s61
	s_and_saveexec_b32 s34, vcc_lo
	s_cbranch_execnz .LBB289_585
.LBB289_515:                            ;   in Loop: Header=BB289_410 Depth=2
	s_or_b32 exec_lo, exec_lo, s34
	s_and_saveexec_b32 s34, s17
	s_cbranch_execnz .LBB289_586
.LBB289_516:                            ;   in Loop: Header=BB289_410 Depth=2
	s_or_b32 exec_lo, exec_lo, s34
	s_and_saveexec_b32 s34, s18
	s_cbranch_execnz .LBB289_587
.LBB289_517:                            ;   in Loop: Header=BB289_410 Depth=2
	s_or_b32 exec_lo, exec_lo, s34
	s_and_saveexec_b32 s34, s19
	s_cbranch_execnz .LBB289_588
.LBB289_518:                            ;   in Loop: Header=BB289_410 Depth=2
	s_or_b32 exec_lo, exec_lo, s34
	s_and_saveexec_b32 s34, s20
	s_cbranch_execnz .LBB289_589
.LBB289_519:                            ;   in Loop: Header=BB289_410 Depth=2
	s_or_b32 exec_lo, exec_lo, s34
	s_and_saveexec_b32 s34, s21
	s_cbranch_execnz .LBB289_590
.LBB289_520:                            ;   in Loop: Header=BB289_410 Depth=2
	s_or_b32 exec_lo, exec_lo, s34
	s_and_saveexec_b32 s34, s22
	s_cbranch_execnz .LBB289_591
.LBB289_521:                            ;   in Loop: Header=BB289_410 Depth=2
	s_or_b32 exec_lo, exec_lo, s34
	s_and_saveexec_b32 s34, s23
	s_cbranch_execnz .LBB289_592
.LBB289_522:                            ;   in Loop: Header=BB289_410 Depth=2
	s_or_b32 exec_lo, exec_lo, s34
	s_and_saveexec_b32 s34, s24
	s_cbranch_execnz .LBB289_593
.LBB289_523:                            ;   in Loop: Header=BB289_410 Depth=2
	s_or_b32 exec_lo, exec_lo, s34
	s_and_saveexec_b32 s34, s25
	s_cbranch_execnz .LBB289_594
.LBB289_524:                            ;   in Loop: Header=BB289_410 Depth=2
	s_or_b32 exec_lo, exec_lo, s34
	s_and_saveexec_b32 s34, s26
	s_cbranch_execnz .LBB289_595
.LBB289_525:                            ;   in Loop: Header=BB289_410 Depth=2
	s_or_b32 exec_lo, exec_lo, s34
	s_and_saveexec_b32 s34, s27
	s_cbranch_execnz .LBB289_596
.LBB289_526:                            ;   in Loop: Header=BB289_410 Depth=2
	s_or_b32 exec_lo, exec_lo, s34
	s_and_saveexec_b32 s34, s28
	s_cbranch_execnz .LBB289_597
.LBB289_527:                            ;   in Loop: Header=BB289_410 Depth=2
	s_or_b32 exec_lo, exec_lo, s34
	s_and_saveexec_b32 s34, s29
	s_cbranch_execnz .LBB289_598
.LBB289_528:                            ;   in Loop: Header=BB289_410 Depth=2
	s_or_b32 exec_lo, exec_lo, s34
	s_and_saveexec_b32 s34, s30
	s_cbranch_execnz .LBB289_599
.LBB289_529:                            ;   in Loop: Header=BB289_410 Depth=2
	s_or_b32 exec_lo, exec_lo, s34
	s_and_saveexec_b32 s34, s31
	s_cbranch_execnz .LBB289_600
.LBB289_530:                            ;   in Loop: Header=BB289_410 Depth=2
	s_or_b32 exec_lo, exec_lo, s34
	s_and_saveexec_b32 s34, s33
	s_cbranch_execz .LBB289_532
.LBB289_531:                            ;   in Loop: Header=BB289_410 Depth=2
	ds_load_u8 v62, v2 offset:4608
	s_wait_dscnt 0x0
	v_lshrrev_b32_e32 v62, s48, v62
	s_delay_alu instid0(VALU_DEP_1)
	v_and_b32_e32 v116, s58, v62
.LBB289_532:                            ;   in Loop: Header=BB289_410 Depth=2
	s_or_b32 exec_lo, exec_lo, s34
	v_lshlrev_b32_e32 v62, 3, v156
	v_lshlrev_b32_e32 v63, 3, v152
	s_wait_loadcnt 0x0
	s_wait_storecnt 0x0
	s_barrier_signal -1
	s_barrier_wait -1
	ds_store_b64 v62, v[60:61] offset:512
	ds_store_b64 v63, v[58:59] offset:512
	v_dual_lshlrev_b32 v62, 3, v151 :: v_dual_lshlrev_b32 v63, 3, v150
	v_dual_lshlrev_b32 v137, 3, v149 :: v_dual_lshlrev_b32 v138, 3, v148
	v_lshlrev_b32_e32 v142, 3, v146
	ds_store_b64 v62, v[56:57] offset:512
	ds_store_b64 v63, v[54:55] offset:512
	ds_store_b64 v137, v[52:53] offset:512
	ds_store_b64 v138, v[50:51] offset:512
	ds_store_b64 v142, v[48:49] offset:512
	v_dual_lshlrev_b32 v62, 3, v145 :: v_dual_lshlrev_b32 v63, 3, v144
	v_dual_lshlrev_b32 v137, 3, v143 :: v_dual_lshlrev_b32 v138, 3, v141
	v_lshlrev_b32_e32 v140, 3, v140
	ds_store_b64 v62, v[46:47] offset:512
	ds_store_b64 v63, v[44:45] offset:512
	ds_store_b64 v137, v[42:43] offset:512
	;; [unrolled: 8-line block ×3, first 2 shown]
	ds_store_b64 v65, v[30:31] offset:512
	ds_store_b64 v64, v[28:29] offset:512
	s_wait_dscnt 0x0
	s_barrier_signal -1
	s_barrier_wait -1
	s_and_saveexec_b32 s34, vcc_lo
	s_cbranch_execnz .LBB289_601
; %bb.533:                              ;   in Loop: Header=BB289_410 Depth=2
	s_or_b32 exec_lo, exec_lo, s34
	s_and_saveexec_b32 s34, s17
	s_cbranch_execnz .LBB289_602
.LBB289_534:                            ;   in Loop: Header=BB289_410 Depth=2
	s_or_b32 exec_lo, exec_lo, s34
	s_and_saveexec_b32 s17, s18
	s_cbranch_execnz .LBB289_603
.LBB289_535:                            ;   in Loop: Header=BB289_410 Depth=2
	s_or_b32 exec_lo, exec_lo, s17
	s_and_saveexec_b32 s17, s19
	s_cbranch_execnz .LBB289_604
.LBB289_536:                            ;   in Loop: Header=BB289_410 Depth=2
	s_or_b32 exec_lo, exec_lo, s17
	s_and_saveexec_b32 s17, s20
	s_cbranch_execnz .LBB289_605
.LBB289_537:                            ;   in Loop: Header=BB289_410 Depth=2
	s_or_b32 exec_lo, exec_lo, s17
	s_and_saveexec_b32 s17, s21
	s_cbranch_execnz .LBB289_606
.LBB289_538:                            ;   in Loop: Header=BB289_410 Depth=2
	s_or_b32 exec_lo, exec_lo, s17
	s_and_saveexec_b32 s17, s22
	s_cbranch_execnz .LBB289_607
.LBB289_539:                            ;   in Loop: Header=BB289_410 Depth=2
	s_or_b32 exec_lo, exec_lo, s17
	s_and_saveexec_b32 s17, s23
	s_cbranch_execnz .LBB289_608
.LBB289_540:                            ;   in Loop: Header=BB289_410 Depth=2
	s_or_b32 exec_lo, exec_lo, s17
	s_and_saveexec_b32 s17, s24
	s_cbranch_execnz .LBB289_609
.LBB289_541:                            ;   in Loop: Header=BB289_410 Depth=2
	s_or_b32 exec_lo, exec_lo, s17
	s_and_saveexec_b32 s17, s25
	s_cbranch_execnz .LBB289_610
.LBB289_542:                            ;   in Loop: Header=BB289_410 Depth=2
	s_or_b32 exec_lo, exec_lo, s17
	s_and_saveexec_b32 s17, s26
	s_cbranch_execnz .LBB289_611
.LBB289_543:                            ;   in Loop: Header=BB289_410 Depth=2
	s_or_b32 exec_lo, exec_lo, s17
	s_and_saveexec_b32 s17, s27
	s_cbranch_execnz .LBB289_612
.LBB289_544:                            ;   in Loop: Header=BB289_410 Depth=2
	s_or_b32 exec_lo, exec_lo, s17
	s_and_saveexec_b32 s17, s28
	s_cbranch_execnz .LBB289_613
.LBB289_545:                            ;   in Loop: Header=BB289_410 Depth=2
	s_or_b32 exec_lo, exec_lo, s17
	s_and_saveexec_b32 s17, s29
	s_cbranch_execnz .LBB289_614
.LBB289_546:                            ;   in Loop: Header=BB289_410 Depth=2
	s_or_b32 exec_lo, exec_lo, s17
	s_and_saveexec_b32 s17, s30
	s_cbranch_execnz .LBB289_615
.LBB289_547:                            ;   in Loop: Header=BB289_410 Depth=2
	s_or_b32 exec_lo, exec_lo, s17
	s_and_saveexec_b32 s17, s31
	s_cbranch_execnz .LBB289_616
.LBB289_548:                            ;   in Loop: Header=BB289_410 Depth=2
	s_or_b32 exec_lo, exec_lo, s17
	s_and_saveexec_b32 s17, s33
	s_cbranch_execz .LBB289_550
.LBB289_549:                            ;   in Loop: Header=BB289_410 Depth=2
	v_dual_lshlrev_b32 v62, 2, v116 :: v_dual_add_nc_u32 v63, v2, v95
	ds_load_b32 v64, v62
	ds_load_b64 v[62:63], v63 offset:33280
	s_wait_dscnt 0x1
	v_add_nc_u32_e32 v64, v64, v82
	s_wait_dscnt 0x0
	global_store_b64 v64, v[62:63], s[46:47] scale_offset
.LBB289_550:                            ;   in Loop: Header=BB289_410 Depth=2
	s_wait_xcnt 0x0
	s_or_b32 exec_lo, exec_lo, s17
	s_wait_storecnt 0x0
	s_barrier_signal -1
	s_barrier_wait -1
	s_and_saveexec_b32 s17, s0
	s_cbranch_execz .LBB289_409
; %bb.551:                              ;   in Loop: Header=BB289_410 Depth=2
	ds_load_b32 v62, v66
	s_wait_dscnt 0x0
	v_add3_u32 v62, v133, v134, v62
	ds_store_b32 v66, v62
	s_branch .LBB289_409
.LBB289_552:                            ;   in Loop: Header=BB289_410 Depth=2
	ds_load_u8 v62, v2 offset:512
	s_wait_dscnt 0x0
	v_and_b32_e32 v63, 0xff, v62
	v_xor_b32_e32 v62, 0x7f, v62
	s_delay_alu instid0(VALU_DEP_2) | instskip(NEXT) | instid1(VALU_DEP_1)
	v_lshrrev_b32_e32 v63, s48, v63
	v_and_b32_e32 v63, s58, v63
	s_delay_alu instid0(VALU_DEP_1)
	v_lshlrev_b32_e32 v63, 2, v63
	ds_load_b32 v63, v63
	s_wait_dscnt 0x0
	v_add_nc_u32_e32 v63, v63, v2
	global_store_b8 v63, v62, s[40:41]
	s_wait_xcnt 0x0
	s_or_b32 exec_lo, exec_lo, s17
	v_cmp_lt_u32_e64 s17, v67, v137
	s_and_saveexec_b32 s18, s17
	s_cbranch_execz .LBB289_481
.LBB289_553:                            ;   in Loop: Header=BB289_410 Depth=2
	ds_load_u8 v62, v2 offset:768
	s_wait_dscnt 0x0
	v_and_b32_e32 v63, 0xff, v62
	v_xor_b32_e32 v62, 0x7f, v62
	s_delay_alu instid0(VALU_DEP_2) | instskip(NEXT) | instid1(VALU_DEP_1)
	v_lshrrev_b32_e32 v63, s48, v63
	v_and_b32_e32 v63, s58, v63
	s_delay_alu instid0(VALU_DEP_1)
	v_lshlrev_b32_e32 v63, 2, v63
	ds_load_b32 v63, v63
	s_wait_dscnt 0x0
	v_add_nc_u32_e32 v63, v63, v67
	global_store_b8 v63, v62, s[40:41]
	s_wait_xcnt 0x0
	s_or_b32 exec_lo, exec_lo, s18
	v_cmp_lt_u32_e64 s18, v68, v137
	s_and_saveexec_b32 s19, s18
	s_cbranch_execz .LBB289_482
.LBB289_554:                            ;   in Loop: Header=BB289_410 Depth=2
	ds_load_u8 v62, v2 offset:1024
	s_wait_dscnt 0x0
	v_and_b32_e32 v63, 0xff, v62
	v_xor_b32_e32 v62, 0x7f, v62
	s_delay_alu instid0(VALU_DEP_2) | instskip(NEXT) | instid1(VALU_DEP_1)
	v_lshrrev_b32_e32 v63, s48, v63
	v_and_b32_e32 v63, s58, v63
	s_delay_alu instid0(VALU_DEP_1)
	v_lshlrev_b32_e32 v63, 2, v63
	ds_load_b32 v63, v63
	s_wait_dscnt 0x0
	v_add_nc_u32_e32 v63, v63, v68
	global_store_b8 v63, v62, s[40:41]
	s_wait_xcnt 0x0
	s_or_b32 exec_lo, exec_lo, s19
	v_cmp_lt_u32_e64 s19, v69, v137
	s_and_saveexec_b32 s20, s19
	s_cbranch_execz .LBB289_483
.LBB289_555:                            ;   in Loop: Header=BB289_410 Depth=2
	ds_load_u8 v62, v2 offset:1280
	s_wait_dscnt 0x0
	v_and_b32_e32 v63, 0xff, v62
	v_xor_b32_e32 v62, 0x7f, v62
	s_delay_alu instid0(VALU_DEP_2) | instskip(NEXT) | instid1(VALU_DEP_1)
	v_lshrrev_b32_e32 v63, s48, v63
	v_and_b32_e32 v63, s58, v63
	s_delay_alu instid0(VALU_DEP_1)
	v_lshlrev_b32_e32 v63, 2, v63
	ds_load_b32 v63, v63
	s_wait_dscnt 0x0
	v_add_nc_u32_e32 v63, v63, v69
	global_store_b8 v63, v62, s[40:41]
	s_wait_xcnt 0x0
	s_or_b32 exec_lo, exec_lo, s20
	v_cmp_lt_u32_e64 s20, v70, v137
	s_and_saveexec_b32 s21, s20
	s_cbranch_execz .LBB289_484
.LBB289_556:                            ;   in Loop: Header=BB289_410 Depth=2
	ds_load_u8 v62, v2 offset:1536
	s_wait_dscnt 0x0
	v_and_b32_e32 v63, 0xff, v62
	v_xor_b32_e32 v62, 0x7f, v62
	s_delay_alu instid0(VALU_DEP_2) | instskip(NEXT) | instid1(VALU_DEP_1)
	v_lshrrev_b32_e32 v63, s48, v63
	v_and_b32_e32 v63, s58, v63
	s_delay_alu instid0(VALU_DEP_1)
	v_lshlrev_b32_e32 v63, 2, v63
	ds_load_b32 v63, v63
	s_wait_dscnt 0x0
	v_add_nc_u32_e32 v63, v63, v70
	global_store_b8 v63, v62, s[40:41]
	s_wait_xcnt 0x0
	s_or_b32 exec_lo, exec_lo, s21
	v_cmp_lt_u32_e64 s21, v71, v137
	s_and_saveexec_b32 s22, s21
	s_cbranch_execz .LBB289_485
.LBB289_557:                            ;   in Loop: Header=BB289_410 Depth=2
	ds_load_u8 v62, v2 offset:1792
	s_wait_dscnt 0x0
	v_and_b32_e32 v63, 0xff, v62
	v_xor_b32_e32 v62, 0x7f, v62
	s_delay_alu instid0(VALU_DEP_2) | instskip(NEXT) | instid1(VALU_DEP_1)
	v_lshrrev_b32_e32 v63, s48, v63
	v_and_b32_e32 v63, s58, v63
	s_delay_alu instid0(VALU_DEP_1)
	v_lshlrev_b32_e32 v63, 2, v63
	ds_load_b32 v63, v63
	s_wait_dscnt 0x0
	v_add_nc_u32_e32 v63, v63, v71
	global_store_b8 v63, v62, s[40:41]
	s_wait_xcnt 0x0
	s_or_b32 exec_lo, exec_lo, s22
	v_cmp_lt_u32_e64 s22, v72, v137
	s_and_saveexec_b32 s23, s22
	s_cbranch_execz .LBB289_486
.LBB289_558:                            ;   in Loop: Header=BB289_410 Depth=2
	ds_load_u8 v62, v2 offset:2048
	s_wait_dscnt 0x0
	v_and_b32_e32 v63, 0xff, v62
	v_xor_b32_e32 v62, 0x7f, v62
	s_delay_alu instid0(VALU_DEP_2) | instskip(NEXT) | instid1(VALU_DEP_1)
	v_lshrrev_b32_e32 v63, s48, v63
	v_and_b32_e32 v63, s58, v63
	s_delay_alu instid0(VALU_DEP_1)
	v_lshlrev_b32_e32 v63, 2, v63
	ds_load_b32 v63, v63
	s_wait_dscnt 0x0
	v_add_nc_u32_e32 v63, v63, v72
	global_store_b8 v63, v62, s[40:41]
	s_wait_xcnt 0x0
	s_or_b32 exec_lo, exec_lo, s23
	v_cmp_lt_u32_e64 s23, v73, v137
	s_and_saveexec_b32 s24, s23
	s_cbranch_execz .LBB289_487
.LBB289_559:                            ;   in Loop: Header=BB289_410 Depth=2
	ds_load_u8 v62, v2 offset:2304
	s_wait_dscnt 0x0
	v_and_b32_e32 v63, 0xff, v62
	v_xor_b32_e32 v62, 0x7f, v62
	s_delay_alu instid0(VALU_DEP_2) | instskip(NEXT) | instid1(VALU_DEP_1)
	v_lshrrev_b32_e32 v63, s48, v63
	v_and_b32_e32 v63, s58, v63
	s_delay_alu instid0(VALU_DEP_1)
	v_lshlrev_b32_e32 v63, 2, v63
	ds_load_b32 v63, v63
	s_wait_dscnt 0x0
	v_add_nc_u32_e32 v63, v63, v73
	global_store_b8 v63, v62, s[40:41]
	s_wait_xcnt 0x0
	s_or_b32 exec_lo, exec_lo, s24
	v_cmp_lt_u32_e64 s24, v74, v137
	s_and_saveexec_b32 s25, s24
	s_cbranch_execz .LBB289_488
.LBB289_560:                            ;   in Loop: Header=BB289_410 Depth=2
	ds_load_u8 v62, v2 offset:2560
	s_wait_dscnt 0x0
	v_and_b32_e32 v63, 0xff, v62
	v_xor_b32_e32 v62, 0x7f, v62
	s_delay_alu instid0(VALU_DEP_2) | instskip(NEXT) | instid1(VALU_DEP_1)
	v_lshrrev_b32_e32 v63, s48, v63
	v_and_b32_e32 v63, s58, v63
	s_delay_alu instid0(VALU_DEP_1)
	v_lshlrev_b32_e32 v63, 2, v63
	ds_load_b32 v63, v63
	s_wait_dscnt 0x0
	v_add_nc_u32_e32 v63, v63, v74
	global_store_b8 v63, v62, s[40:41]
	s_wait_xcnt 0x0
	s_or_b32 exec_lo, exec_lo, s25
	v_cmp_lt_u32_e64 s25, v75, v137
	s_and_saveexec_b32 s26, s25
	s_cbranch_execz .LBB289_489
.LBB289_561:                            ;   in Loop: Header=BB289_410 Depth=2
	ds_load_u8 v62, v2 offset:2816
	s_wait_dscnt 0x0
	v_and_b32_e32 v63, 0xff, v62
	v_xor_b32_e32 v62, 0x7f, v62
	s_delay_alu instid0(VALU_DEP_2) | instskip(NEXT) | instid1(VALU_DEP_1)
	v_lshrrev_b32_e32 v63, s48, v63
	v_and_b32_e32 v63, s58, v63
	s_delay_alu instid0(VALU_DEP_1)
	v_lshlrev_b32_e32 v63, 2, v63
	ds_load_b32 v63, v63
	s_wait_dscnt 0x0
	v_add_nc_u32_e32 v63, v63, v75
	global_store_b8 v63, v62, s[40:41]
	s_wait_xcnt 0x0
	s_or_b32 exec_lo, exec_lo, s26
	v_cmp_lt_u32_e64 s26, v76, v137
	s_and_saveexec_b32 s27, s26
	s_cbranch_execz .LBB289_490
.LBB289_562:                            ;   in Loop: Header=BB289_410 Depth=2
	ds_load_u8 v62, v2 offset:3072
	s_wait_dscnt 0x0
	v_and_b32_e32 v63, 0xff, v62
	v_xor_b32_e32 v62, 0x7f, v62
	s_delay_alu instid0(VALU_DEP_2) | instskip(NEXT) | instid1(VALU_DEP_1)
	v_lshrrev_b32_e32 v63, s48, v63
	v_and_b32_e32 v63, s58, v63
	s_delay_alu instid0(VALU_DEP_1)
	v_lshlrev_b32_e32 v63, 2, v63
	ds_load_b32 v63, v63
	s_wait_dscnt 0x0
	v_add_nc_u32_e32 v63, v63, v76
	global_store_b8 v63, v62, s[40:41]
	s_wait_xcnt 0x0
	s_or_b32 exec_lo, exec_lo, s27
	v_cmp_lt_u32_e64 s27, v77, v137
	s_and_saveexec_b32 s28, s27
	s_cbranch_execz .LBB289_491
.LBB289_563:                            ;   in Loop: Header=BB289_410 Depth=2
	ds_load_u8 v62, v2 offset:3328
	s_wait_dscnt 0x0
	v_and_b32_e32 v63, 0xff, v62
	v_xor_b32_e32 v62, 0x7f, v62
	s_delay_alu instid0(VALU_DEP_2) | instskip(NEXT) | instid1(VALU_DEP_1)
	v_lshrrev_b32_e32 v63, s48, v63
	v_and_b32_e32 v63, s58, v63
	s_delay_alu instid0(VALU_DEP_1)
	v_lshlrev_b32_e32 v63, 2, v63
	ds_load_b32 v63, v63
	s_wait_dscnt 0x0
	v_add_nc_u32_e32 v63, v63, v77
	global_store_b8 v63, v62, s[40:41]
	s_wait_xcnt 0x0
	s_or_b32 exec_lo, exec_lo, s28
	v_cmp_lt_u32_e64 s28, v78, v137
	s_and_saveexec_b32 s29, s28
	s_cbranch_execz .LBB289_492
.LBB289_564:                            ;   in Loop: Header=BB289_410 Depth=2
	ds_load_u8 v62, v2 offset:3584
	s_wait_dscnt 0x0
	v_and_b32_e32 v63, 0xff, v62
	v_xor_b32_e32 v62, 0x7f, v62
	s_delay_alu instid0(VALU_DEP_2) | instskip(NEXT) | instid1(VALU_DEP_1)
	v_lshrrev_b32_e32 v63, s48, v63
	v_and_b32_e32 v63, s58, v63
	s_delay_alu instid0(VALU_DEP_1)
	v_lshlrev_b32_e32 v63, 2, v63
	ds_load_b32 v63, v63
	s_wait_dscnt 0x0
	v_add_nc_u32_e32 v63, v63, v78
	global_store_b8 v63, v62, s[40:41]
	s_wait_xcnt 0x0
	s_or_b32 exec_lo, exec_lo, s29
	v_cmp_lt_u32_e64 s29, v79, v137
	s_and_saveexec_b32 s30, s29
	s_cbranch_execz .LBB289_493
.LBB289_565:                            ;   in Loop: Header=BB289_410 Depth=2
	ds_load_u8 v62, v2 offset:3840
	s_wait_dscnt 0x0
	v_and_b32_e32 v63, 0xff, v62
	v_xor_b32_e32 v62, 0x7f, v62
	s_delay_alu instid0(VALU_DEP_2) | instskip(NEXT) | instid1(VALU_DEP_1)
	v_lshrrev_b32_e32 v63, s48, v63
	v_and_b32_e32 v63, s58, v63
	s_delay_alu instid0(VALU_DEP_1)
	v_lshlrev_b32_e32 v63, 2, v63
	ds_load_b32 v63, v63
	s_wait_dscnt 0x0
	v_add_nc_u32_e32 v63, v63, v79
	global_store_b8 v63, v62, s[40:41]
	s_wait_xcnt 0x0
	s_or_b32 exec_lo, exec_lo, s30
	v_cmp_lt_u32_e64 s30, v80, v137
	s_and_saveexec_b32 s31, s30
	s_cbranch_execz .LBB289_494
.LBB289_566:                            ;   in Loop: Header=BB289_410 Depth=2
	ds_load_u8 v62, v2 offset:4096
	s_wait_dscnt 0x0
	v_and_b32_e32 v63, 0xff, v62
	v_xor_b32_e32 v62, 0x7f, v62
	s_delay_alu instid0(VALU_DEP_2) | instskip(NEXT) | instid1(VALU_DEP_1)
	v_lshrrev_b32_e32 v63, s48, v63
	v_and_b32_e32 v63, s58, v63
	s_delay_alu instid0(VALU_DEP_1)
	v_lshlrev_b32_e32 v63, 2, v63
	ds_load_b32 v63, v63
	s_wait_dscnt 0x0
	v_add_nc_u32_e32 v63, v63, v80
	global_store_b8 v63, v62, s[40:41]
	s_wait_xcnt 0x0
	s_or_b32 exec_lo, exec_lo, s31
	v_cmp_lt_u32_e64 s31, v81, v137
	s_and_saveexec_b32 s33, s31
	s_cbranch_execz .LBB289_495
.LBB289_567:                            ;   in Loop: Header=BB289_410 Depth=2
	ds_load_u8 v62, v2 offset:4352
	s_wait_dscnt 0x0
	v_and_b32_e32 v63, 0xff, v62
	v_xor_b32_e32 v62, 0x7f, v62
	s_delay_alu instid0(VALU_DEP_2) | instskip(NEXT) | instid1(VALU_DEP_1)
	v_lshrrev_b32_e32 v63, s48, v63
	v_and_b32_e32 v63, s58, v63
	s_delay_alu instid0(VALU_DEP_1)
	v_lshlrev_b32_e32 v63, 2, v63
	ds_load_b32 v63, v63
	s_wait_dscnt 0x0
	v_add_nc_u32_e32 v63, v63, v81
	global_store_b8 v63, v62, s[40:41]
	s_wait_xcnt 0x0
	s_or_b32 exec_lo, exec_lo, s33
	v_cmp_lt_u32_e64 s33, v82, v137
	s_and_saveexec_b32 s61, s33
	s_cbranch_execnz .LBB289_496
	s_branch .LBB289_497
.LBB289_568:                            ;   in Loop: Header=BB289_410 Depth=2
	global_load_b64 v[60:61], v[62:63], off
	s_wait_xcnt 0x0
	s_or_b32 exec_lo, exec_lo, s34
	s_delay_alu instid0(SALU_CYCLE_1)
	s_mov_b32 s61, exec_lo
	v_cmpx_lt_u32_e64 v98, v137
	s_cbranch_execz .LBB289_499
.LBB289_569:                            ;   in Loop: Header=BB289_410 Depth=2
	global_load_b64 v[58:59], v[62:63], off offset:256
	s_wait_xcnt 0x0
	s_or_b32 exec_lo, exec_lo, s61
	s_delay_alu instid0(SALU_CYCLE_1)
	s_mov_b32 s61, exec_lo
	v_cmpx_lt_u32_e64 v99, v137
	s_cbranch_execz .LBB289_500
.LBB289_570:                            ;   in Loop: Header=BB289_410 Depth=2
	global_load_b64 v[56:57], v[62:63], off offset:512
	s_wait_xcnt 0x0
	s_or_b32 exec_lo, exec_lo, s61
	s_delay_alu instid0(SALU_CYCLE_1)
	s_mov_b32 s61, exec_lo
	v_cmpx_lt_u32_e64 v100, v137
	s_cbranch_execz .LBB289_501
.LBB289_571:                            ;   in Loop: Header=BB289_410 Depth=2
	global_load_b64 v[54:55], v[62:63], off offset:768
	s_wait_xcnt 0x0
	s_or_b32 exec_lo, exec_lo, s61
	s_delay_alu instid0(SALU_CYCLE_1)
	s_mov_b32 s61, exec_lo
	v_cmpx_lt_u32_e64 v101, v137
	s_cbranch_execz .LBB289_502
.LBB289_572:                            ;   in Loop: Header=BB289_410 Depth=2
	global_load_b64 v[52:53], v[62:63], off offset:1024
	s_wait_xcnt 0x0
	s_or_b32 exec_lo, exec_lo, s61
	s_delay_alu instid0(SALU_CYCLE_1)
	s_mov_b32 s61, exec_lo
	v_cmpx_lt_u32_e64 v102, v137
	s_cbranch_execz .LBB289_503
.LBB289_573:                            ;   in Loop: Header=BB289_410 Depth=2
	global_load_b64 v[50:51], v[62:63], off offset:1280
	s_wait_xcnt 0x0
	s_or_b32 exec_lo, exec_lo, s61
	s_delay_alu instid0(SALU_CYCLE_1)
	s_mov_b32 s61, exec_lo
	v_cmpx_lt_u32_e64 v103, v137
	s_cbranch_execz .LBB289_504
.LBB289_574:                            ;   in Loop: Header=BB289_410 Depth=2
	global_load_b64 v[48:49], v[62:63], off offset:1536
	s_wait_xcnt 0x0
	s_or_b32 exec_lo, exec_lo, s61
	s_delay_alu instid0(SALU_CYCLE_1)
	s_mov_b32 s61, exec_lo
	v_cmpx_lt_u32_e64 v104, v137
	s_cbranch_execz .LBB289_505
.LBB289_575:                            ;   in Loop: Header=BB289_410 Depth=2
	global_load_b64 v[46:47], v[62:63], off offset:1792
	s_wait_xcnt 0x0
	s_or_b32 exec_lo, exec_lo, s61
	s_delay_alu instid0(SALU_CYCLE_1)
	s_mov_b32 s61, exec_lo
	v_cmpx_lt_u32_e64 v105, v137
	s_cbranch_execz .LBB289_506
.LBB289_576:                            ;   in Loop: Header=BB289_410 Depth=2
	global_load_b64 v[44:45], v[62:63], off offset:2048
	s_wait_xcnt 0x0
	s_or_b32 exec_lo, exec_lo, s61
	s_delay_alu instid0(SALU_CYCLE_1)
	s_mov_b32 s61, exec_lo
	v_cmpx_lt_u32_e64 v106, v137
	s_cbranch_execz .LBB289_507
.LBB289_577:                            ;   in Loop: Header=BB289_410 Depth=2
	global_load_b64 v[42:43], v[62:63], off offset:2304
	s_wait_xcnt 0x0
	s_or_b32 exec_lo, exec_lo, s61
	s_delay_alu instid0(SALU_CYCLE_1)
	s_mov_b32 s61, exec_lo
	v_cmpx_lt_u32_e64 v107, v137
	s_cbranch_execz .LBB289_508
.LBB289_578:                            ;   in Loop: Header=BB289_410 Depth=2
	global_load_b64 v[40:41], v[62:63], off offset:2560
	s_wait_xcnt 0x0
	s_or_b32 exec_lo, exec_lo, s61
	s_delay_alu instid0(SALU_CYCLE_1)
	s_mov_b32 s61, exec_lo
	v_cmpx_lt_u32_e64 v108, v137
	s_cbranch_execz .LBB289_509
.LBB289_579:                            ;   in Loop: Header=BB289_410 Depth=2
	global_load_b64 v[38:39], v[62:63], off offset:2816
	s_wait_xcnt 0x0
	s_or_b32 exec_lo, exec_lo, s61
	s_delay_alu instid0(SALU_CYCLE_1)
	s_mov_b32 s61, exec_lo
	v_cmpx_lt_u32_e64 v109, v137
	s_cbranch_execz .LBB289_510
.LBB289_580:                            ;   in Loop: Header=BB289_410 Depth=2
	global_load_b64 v[36:37], v[62:63], off offset:3072
	s_wait_xcnt 0x0
	s_or_b32 exec_lo, exec_lo, s61
	s_delay_alu instid0(SALU_CYCLE_1)
	s_mov_b32 s61, exec_lo
	v_cmpx_lt_u32_e64 v110, v137
	s_cbranch_execz .LBB289_511
.LBB289_581:                            ;   in Loop: Header=BB289_410 Depth=2
	global_load_b64 v[34:35], v[62:63], off offset:3328
	s_wait_xcnt 0x0
	s_or_b32 exec_lo, exec_lo, s61
	s_delay_alu instid0(SALU_CYCLE_1)
	s_mov_b32 s61, exec_lo
	v_cmpx_lt_u32_e64 v111, v137
	s_cbranch_execz .LBB289_512
.LBB289_582:                            ;   in Loop: Header=BB289_410 Depth=2
	global_load_b64 v[32:33], v[62:63], off offset:3584
	s_wait_xcnt 0x0
	s_or_b32 exec_lo, exec_lo, s61
	s_delay_alu instid0(SALU_CYCLE_1)
	s_mov_b32 s61, exec_lo
	v_cmpx_lt_u32_e64 v112, v137
	s_cbranch_execz .LBB289_513
.LBB289_583:                            ;   in Loop: Header=BB289_410 Depth=2
	global_load_b64 v[30:31], v[62:63], off offset:3840
	s_wait_xcnt 0x0
	s_or_b32 exec_lo, exec_lo, s61
	s_delay_alu instid0(SALU_CYCLE_1)
	s_mov_b32 s61, exec_lo
	v_cmpx_lt_u32_e64 v113, v137
	s_cbranch_execz .LBB289_514
.LBB289_584:                            ;   in Loop: Header=BB289_410 Depth=2
	global_load_b64 v[28:29], v[62:63], off offset:4096
	s_wait_xcnt 0x0
	s_or_b32 exec_lo, exec_lo, s61
	s_and_saveexec_b32 s34, vcc_lo
	s_cbranch_execz .LBB289_515
.LBB289_585:                            ;   in Loop: Header=BB289_410 Depth=2
	ds_load_u8 v62, v2 offset:512
	s_wait_dscnt 0x0
	v_lshrrev_b32_e32 v62, s48, v62
	s_delay_alu instid0(VALU_DEP_1)
	v_and_b32_e32 v132, s58, v62
	s_or_b32 exec_lo, exec_lo, s34
	s_and_saveexec_b32 s34, s17
	s_cbranch_execz .LBB289_516
.LBB289_586:                            ;   in Loop: Header=BB289_410 Depth=2
	ds_load_u8 v62, v2 offset:768
	s_wait_dscnt 0x0
	v_lshrrev_b32_e32 v62, s48, v62
	s_delay_alu instid0(VALU_DEP_1)
	v_and_b32_e32 v131, s58, v62
	s_or_b32 exec_lo, exec_lo, s34
	s_and_saveexec_b32 s34, s18
	s_cbranch_execz .LBB289_517
.LBB289_587:                            ;   in Loop: Header=BB289_410 Depth=2
	ds_load_u8 v62, v2 offset:1024
	s_wait_dscnt 0x0
	v_lshrrev_b32_e32 v62, s48, v62
	s_delay_alu instid0(VALU_DEP_1)
	v_and_b32_e32 v130, s58, v62
	s_or_b32 exec_lo, exec_lo, s34
	s_and_saveexec_b32 s34, s19
	s_cbranch_execz .LBB289_518
.LBB289_588:                            ;   in Loop: Header=BB289_410 Depth=2
	ds_load_u8 v62, v2 offset:1280
	s_wait_dscnt 0x0
	v_lshrrev_b32_e32 v62, s48, v62
	s_delay_alu instid0(VALU_DEP_1)
	v_and_b32_e32 v129, s58, v62
	s_or_b32 exec_lo, exec_lo, s34
	s_and_saveexec_b32 s34, s20
	s_cbranch_execz .LBB289_519
.LBB289_589:                            ;   in Loop: Header=BB289_410 Depth=2
	ds_load_u8 v62, v2 offset:1536
	s_wait_dscnt 0x0
	v_lshrrev_b32_e32 v62, s48, v62
	s_delay_alu instid0(VALU_DEP_1)
	v_and_b32_e32 v128, s58, v62
	s_or_b32 exec_lo, exec_lo, s34
	s_and_saveexec_b32 s34, s21
	s_cbranch_execz .LBB289_520
.LBB289_590:                            ;   in Loop: Header=BB289_410 Depth=2
	ds_load_u8 v62, v2 offset:1792
	s_wait_dscnt 0x0
	v_lshrrev_b32_e32 v62, s48, v62
	s_delay_alu instid0(VALU_DEP_1)
	v_and_b32_e32 v127, s58, v62
	s_or_b32 exec_lo, exec_lo, s34
	s_and_saveexec_b32 s34, s22
	s_cbranch_execz .LBB289_521
.LBB289_591:                            ;   in Loop: Header=BB289_410 Depth=2
	ds_load_u8 v62, v2 offset:2048
	s_wait_dscnt 0x0
	v_lshrrev_b32_e32 v62, s48, v62
	s_delay_alu instid0(VALU_DEP_1)
	v_and_b32_e32 v126, s58, v62
	s_or_b32 exec_lo, exec_lo, s34
	s_and_saveexec_b32 s34, s23
	s_cbranch_execz .LBB289_522
.LBB289_592:                            ;   in Loop: Header=BB289_410 Depth=2
	ds_load_u8 v62, v2 offset:2304
	s_wait_dscnt 0x0
	v_lshrrev_b32_e32 v62, s48, v62
	s_delay_alu instid0(VALU_DEP_1)
	v_and_b32_e32 v125, s58, v62
	s_or_b32 exec_lo, exec_lo, s34
	s_and_saveexec_b32 s34, s24
	s_cbranch_execz .LBB289_523
.LBB289_593:                            ;   in Loop: Header=BB289_410 Depth=2
	ds_load_u8 v62, v2 offset:2560
	s_wait_dscnt 0x0
	v_lshrrev_b32_e32 v62, s48, v62
	s_delay_alu instid0(VALU_DEP_1)
	v_and_b32_e32 v124, s58, v62
	s_or_b32 exec_lo, exec_lo, s34
	s_and_saveexec_b32 s34, s25
	s_cbranch_execz .LBB289_524
.LBB289_594:                            ;   in Loop: Header=BB289_410 Depth=2
	ds_load_u8 v62, v2 offset:2816
	s_wait_dscnt 0x0
	v_lshrrev_b32_e32 v62, s48, v62
	s_delay_alu instid0(VALU_DEP_1)
	v_and_b32_e32 v123, s58, v62
	s_or_b32 exec_lo, exec_lo, s34
	s_and_saveexec_b32 s34, s26
	s_cbranch_execz .LBB289_525
.LBB289_595:                            ;   in Loop: Header=BB289_410 Depth=2
	ds_load_u8 v62, v2 offset:3072
	s_wait_dscnt 0x0
	v_lshrrev_b32_e32 v62, s48, v62
	s_delay_alu instid0(VALU_DEP_1)
	v_and_b32_e32 v122, s58, v62
	s_or_b32 exec_lo, exec_lo, s34
	s_and_saveexec_b32 s34, s27
	s_cbranch_execz .LBB289_526
.LBB289_596:                            ;   in Loop: Header=BB289_410 Depth=2
	ds_load_u8 v62, v2 offset:3328
	s_wait_dscnt 0x0
	v_lshrrev_b32_e32 v62, s48, v62
	s_delay_alu instid0(VALU_DEP_1)
	v_and_b32_e32 v121, s58, v62
	s_or_b32 exec_lo, exec_lo, s34
	s_and_saveexec_b32 s34, s28
	s_cbranch_execz .LBB289_527
.LBB289_597:                            ;   in Loop: Header=BB289_410 Depth=2
	ds_load_u8 v62, v2 offset:3584
	s_wait_dscnt 0x0
	v_lshrrev_b32_e32 v62, s48, v62
	s_delay_alu instid0(VALU_DEP_1)
	v_and_b32_e32 v120, s58, v62
	s_or_b32 exec_lo, exec_lo, s34
	s_and_saveexec_b32 s34, s29
	s_cbranch_execz .LBB289_528
.LBB289_598:                            ;   in Loop: Header=BB289_410 Depth=2
	ds_load_u8 v62, v2 offset:3840
	s_wait_dscnt 0x0
	v_lshrrev_b32_e32 v62, s48, v62
	s_delay_alu instid0(VALU_DEP_1)
	v_and_b32_e32 v119, s58, v62
	s_or_b32 exec_lo, exec_lo, s34
	s_and_saveexec_b32 s34, s30
	s_cbranch_execz .LBB289_529
.LBB289_599:                            ;   in Loop: Header=BB289_410 Depth=2
	ds_load_u8 v62, v2 offset:4096
	s_wait_dscnt 0x0
	v_lshrrev_b32_e32 v62, s48, v62
	s_delay_alu instid0(VALU_DEP_1)
	v_and_b32_e32 v118, s58, v62
	s_or_b32 exec_lo, exec_lo, s34
	s_and_saveexec_b32 s34, s31
	s_cbranch_execz .LBB289_530
.LBB289_600:                            ;   in Loop: Header=BB289_410 Depth=2
	ds_load_u8 v62, v2 offset:4352
	s_wait_dscnt 0x0
	v_lshrrev_b32_e32 v62, s48, v62
	s_delay_alu instid0(VALU_DEP_1)
	v_and_b32_e32 v117, s58, v62
	s_or_b32 exec_lo, exec_lo, s34
	s_and_saveexec_b32 s34, s33
	s_cbranch_execnz .LBB289_531
	s_branch .LBB289_532
.LBB289_601:                            ;   in Loop: Header=BB289_410 Depth=2
	v_dual_lshlrev_b32 v62, 2, v132 :: v_dual_add_nc_u32 v63, v2, v95
	ds_load_b32 v64, v62
	ds_load_b64 v[62:63], v63 offset:512
	s_wait_dscnt 0x1
	v_add_nc_u32_e32 v64, v64, v2
	s_wait_dscnt 0x0
	global_store_b64 v64, v[62:63], s[46:47] scale_offset
	s_wait_xcnt 0x0
	s_or_b32 exec_lo, exec_lo, s34
	s_and_saveexec_b32 s34, s17
	s_cbranch_execz .LBB289_534
.LBB289_602:                            ;   in Loop: Header=BB289_410 Depth=2
	v_lshlrev_b32_e32 v62, 2, v131
	v_add_nc_u32_e32 v63, v2, v95
	ds_load_b32 v64, v62
	ds_load_b64 v[62:63], v63 offset:2560
	s_wait_dscnt 0x1
	v_add_nc_u32_e32 v64, v64, v67
	s_wait_dscnt 0x0
	global_store_b64 v64, v[62:63], s[46:47] scale_offset
	s_wait_xcnt 0x0
	s_or_b32 exec_lo, exec_lo, s34
	s_and_saveexec_b32 s17, s18
	s_cbranch_execz .LBB289_535
.LBB289_603:                            ;   in Loop: Header=BB289_410 Depth=2
	v_dual_lshlrev_b32 v62, 2, v130 :: v_dual_add_nc_u32 v63, v2, v95
	ds_load_b32 v64, v62
	ds_load_b64 v[62:63], v63 offset:4608
	s_wait_dscnt 0x1
	v_add_nc_u32_e32 v64, v64, v68
	s_wait_dscnt 0x0
	global_store_b64 v64, v[62:63], s[46:47] scale_offset
	s_wait_xcnt 0x0
	s_or_b32 exec_lo, exec_lo, s17
	s_and_saveexec_b32 s17, s19
	s_cbranch_execz .LBB289_536
.LBB289_604:                            ;   in Loop: Header=BB289_410 Depth=2
	v_dual_lshlrev_b32 v62, 2, v129 :: v_dual_add_nc_u32 v63, v2, v95
	ds_load_b32 v64, v62
	ds_load_b64 v[62:63], v63 offset:6656
	s_wait_dscnt 0x1
	v_add_nc_u32_e32 v64, v64, v69
	s_wait_dscnt 0x0
	global_store_b64 v64, v[62:63], s[46:47] scale_offset
	s_wait_xcnt 0x0
	s_or_b32 exec_lo, exec_lo, s17
	s_and_saveexec_b32 s17, s20
	s_cbranch_execz .LBB289_537
.LBB289_605:                            ;   in Loop: Header=BB289_410 Depth=2
	v_dual_lshlrev_b32 v62, 2, v128 :: v_dual_add_nc_u32 v63, v2, v95
	ds_load_b32 v64, v62
	ds_load_b64 v[62:63], v63 offset:8704
	s_wait_dscnt 0x1
	v_add_nc_u32_e32 v64, v64, v70
	s_wait_dscnt 0x0
	global_store_b64 v64, v[62:63], s[46:47] scale_offset
	s_wait_xcnt 0x0
	s_or_b32 exec_lo, exec_lo, s17
	s_and_saveexec_b32 s17, s21
	s_cbranch_execz .LBB289_538
.LBB289_606:                            ;   in Loop: Header=BB289_410 Depth=2
	v_lshlrev_b32_e32 v62, 2, v127
	v_add_nc_u32_e32 v63, v2, v95
	ds_load_b32 v64, v62
	ds_load_b64 v[62:63], v63 offset:10752
	s_wait_dscnt 0x1
	v_add_nc_u32_e32 v64, v64, v71
	s_wait_dscnt 0x0
	global_store_b64 v64, v[62:63], s[46:47] scale_offset
	s_wait_xcnt 0x0
	s_or_b32 exec_lo, exec_lo, s17
	s_and_saveexec_b32 s17, s22
	s_cbranch_execz .LBB289_539
.LBB289_607:                            ;   in Loop: Header=BB289_410 Depth=2
	v_dual_lshlrev_b32 v62, 2, v126 :: v_dual_add_nc_u32 v63, v2, v95
	ds_load_b32 v64, v62
	ds_load_b64 v[62:63], v63 offset:12800
	s_wait_dscnt 0x1
	v_add_nc_u32_e32 v64, v64, v72
	s_wait_dscnt 0x0
	global_store_b64 v64, v[62:63], s[46:47] scale_offset
	s_wait_xcnt 0x0
	s_or_b32 exec_lo, exec_lo, s17
	s_and_saveexec_b32 s17, s23
	s_cbranch_execz .LBB289_540
.LBB289_608:                            ;   in Loop: Header=BB289_410 Depth=2
	v_dual_lshlrev_b32 v62, 2, v125 :: v_dual_add_nc_u32 v63, v2, v95
	ds_load_b32 v64, v62
	ds_load_b64 v[62:63], v63 offset:14848
	s_wait_dscnt 0x1
	v_add_nc_u32_e32 v64, v64, v73
	s_wait_dscnt 0x0
	global_store_b64 v64, v[62:63], s[46:47] scale_offset
	s_wait_xcnt 0x0
	s_or_b32 exec_lo, exec_lo, s17
	s_and_saveexec_b32 s17, s24
	s_cbranch_execz .LBB289_541
.LBB289_609:                            ;   in Loop: Header=BB289_410 Depth=2
	v_dual_lshlrev_b32 v62, 2, v124 :: v_dual_add_nc_u32 v63, v2, v95
	ds_load_b32 v64, v62
	ds_load_b64 v[62:63], v63 offset:16896
	s_wait_dscnt 0x1
	v_add_nc_u32_e32 v64, v64, v74
	s_wait_dscnt 0x0
	global_store_b64 v64, v[62:63], s[46:47] scale_offset
	s_wait_xcnt 0x0
	s_or_b32 exec_lo, exec_lo, s17
	s_and_saveexec_b32 s17, s25
	s_cbranch_execz .LBB289_542
.LBB289_610:                            ;   in Loop: Header=BB289_410 Depth=2
	v_lshlrev_b32_e32 v62, 2, v123
	v_add_nc_u32_e32 v63, v2, v95
	ds_load_b32 v64, v62
	ds_load_b64 v[62:63], v63 offset:18944
	s_wait_dscnt 0x1
	v_add_nc_u32_e32 v64, v64, v75
	s_wait_dscnt 0x0
	global_store_b64 v64, v[62:63], s[46:47] scale_offset
	s_wait_xcnt 0x0
	s_or_b32 exec_lo, exec_lo, s17
	s_and_saveexec_b32 s17, s26
	s_cbranch_execz .LBB289_543
.LBB289_611:                            ;   in Loop: Header=BB289_410 Depth=2
	v_dual_lshlrev_b32 v62, 2, v122 :: v_dual_add_nc_u32 v63, v2, v95
	ds_load_b32 v64, v62
	ds_load_b64 v[62:63], v63 offset:20992
	s_wait_dscnt 0x1
	v_add_nc_u32_e32 v64, v64, v76
	s_wait_dscnt 0x0
	global_store_b64 v64, v[62:63], s[46:47] scale_offset
	s_wait_xcnt 0x0
	s_or_b32 exec_lo, exec_lo, s17
	s_and_saveexec_b32 s17, s27
	s_cbranch_execz .LBB289_544
.LBB289_612:                            ;   in Loop: Header=BB289_410 Depth=2
	v_dual_lshlrev_b32 v62, 2, v121 :: v_dual_add_nc_u32 v63, v2, v95
	ds_load_b32 v64, v62
	ds_load_b64 v[62:63], v63 offset:23040
	s_wait_dscnt 0x1
	v_add_nc_u32_e32 v64, v64, v77
	s_wait_dscnt 0x0
	global_store_b64 v64, v[62:63], s[46:47] scale_offset
	s_wait_xcnt 0x0
	s_or_b32 exec_lo, exec_lo, s17
	s_and_saveexec_b32 s17, s28
	s_cbranch_execz .LBB289_545
.LBB289_613:                            ;   in Loop: Header=BB289_410 Depth=2
	v_dual_lshlrev_b32 v62, 2, v120 :: v_dual_add_nc_u32 v63, v2, v95
	ds_load_b32 v64, v62
	ds_load_b64 v[62:63], v63 offset:25088
	s_wait_dscnt 0x1
	v_add_nc_u32_e32 v64, v64, v78
	s_wait_dscnt 0x0
	global_store_b64 v64, v[62:63], s[46:47] scale_offset
	s_wait_xcnt 0x0
	s_or_b32 exec_lo, exec_lo, s17
	s_and_saveexec_b32 s17, s29
	s_cbranch_execz .LBB289_546
.LBB289_614:                            ;   in Loop: Header=BB289_410 Depth=2
	v_lshlrev_b32_e32 v62, 2, v119
	v_add_nc_u32_e32 v63, v2, v95
	ds_load_b32 v64, v62
	ds_load_b64 v[62:63], v63 offset:27136
	s_wait_dscnt 0x1
	v_add_nc_u32_e32 v64, v64, v79
	s_wait_dscnt 0x0
	global_store_b64 v64, v[62:63], s[46:47] scale_offset
	s_wait_xcnt 0x0
	s_or_b32 exec_lo, exec_lo, s17
	s_and_saveexec_b32 s17, s30
	s_cbranch_execz .LBB289_547
.LBB289_615:                            ;   in Loop: Header=BB289_410 Depth=2
	v_dual_lshlrev_b32 v62, 2, v118 :: v_dual_add_nc_u32 v63, v2, v95
	ds_load_b32 v64, v62
	ds_load_b64 v[62:63], v63 offset:29184
	s_wait_dscnt 0x1
	v_add_nc_u32_e32 v64, v64, v80
	s_wait_dscnt 0x0
	global_store_b64 v64, v[62:63], s[46:47] scale_offset
	s_wait_xcnt 0x0
	s_or_b32 exec_lo, exec_lo, s17
	s_and_saveexec_b32 s17, s31
	s_cbranch_execz .LBB289_548
.LBB289_616:                            ;   in Loop: Header=BB289_410 Depth=2
	v_dual_lshlrev_b32 v62, 2, v117 :: v_dual_add_nc_u32 v63, v2, v95
	ds_load_b32 v64, v62
	ds_load_b64 v[62:63], v63 offset:31232
	s_wait_dscnt 0x1
	v_add_nc_u32_e32 v64, v64, v81
	s_wait_dscnt 0x0
	global_store_b64 v64, v[62:63], s[46:47] scale_offset
	s_wait_xcnt 0x0
	s_or_b32 exec_lo, exec_lo, s17
	s_and_saveexec_b32 s17, s33
	s_cbranch_execnz .LBB289_549
	s_branch .LBB289_550
.LBB289_617:                            ;   in Loop: Header=BB289_410 Depth=2
	global_load_u8 v147, v[62:63], off
	v_dual_mov_b32 v115, 0x80 :: v_dual_mov_b32 v150, 0x80
	v_dual_mov_b32 v148, 0x80 :: v_dual_mov_b32 v151, 0x80
	;; [unrolled: 1-line block ×8, first 2 shown]
	s_wait_xcnt 0x0
	s_or_b32 exec_lo, exec_lo, s17
	s_delay_alu instid0(SALU_CYCLE_1)
	s_mov_b32 s17, exec_lo
	v_cmpx_gt_u32_e64 s59, v98
	s_cbranch_execz .LBB289_415
.LBB289_618:                            ;   in Loop: Header=BB289_410 Depth=2
	global_load_u8 v150, v[62:63], off offset:32
	s_wait_xcnt 0x0
	s_or_b32 exec_lo, exec_lo, s17
	s_delay_alu instid0(SALU_CYCLE_1)
	s_mov_b32 s17, exec_lo
	v_cmpx_gt_u32_e64 s59, v99
	s_cbranch_execz .LBB289_416
.LBB289_619:                            ;   in Loop: Header=BB289_410 Depth=2
	global_load_u8 v148, v[62:63], off offset:64
	s_wait_xcnt 0x0
	s_or_b32 exec_lo, exec_lo, s17
	s_delay_alu instid0(SALU_CYCLE_1)
	s_mov_b32 s17, exec_lo
	v_cmpx_gt_u32_e64 s59, v100
	s_cbranch_execz .LBB289_417
.LBB289_620:                            ;   in Loop: Header=BB289_410 Depth=2
	global_load_u8 v151, v[62:63], off offset:96
	s_wait_xcnt 0x0
	s_or_b32 exec_lo, exec_lo, s17
	s_delay_alu instid0(SALU_CYCLE_1)
	s_mov_b32 s17, exec_lo
	v_cmpx_gt_u32_e64 s59, v101
	s_cbranch_execz .LBB289_418
.LBB289_621:                            ;   in Loop: Header=BB289_410 Depth=2
	global_load_u8 v142, v[62:63], off offset:128
	s_wait_xcnt 0x0
	s_or_b32 exec_lo, exec_lo, s17
	s_delay_alu instid0(SALU_CYCLE_1)
	s_mov_b32 s17, exec_lo
	v_cmpx_gt_u32_e64 s59, v102
	s_cbranch_execz .LBB289_419
.LBB289_622:                            ;   in Loop: Header=BB289_410 Depth=2
	global_load_u8 v145, v[62:63], off offset:160
	s_wait_xcnt 0x0
	s_or_b32 exec_lo, exec_lo, s17
	s_delay_alu instid0(SALU_CYCLE_1)
	s_mov_b32 s17, exec_lo
	v_cmpx_gt_u32_e64 s59, v103
	s_cbranch_execz .LBB289_420
.LBB289_623:                            ;   in Loop: Header=BB289_410 Depth=2
	global_load_u8 v143, v[62:63], off offset:192
	s_wait_xcnt 0x0
	s_or_b32 exec_lo, exec_lo, s17
	s_delay_alu instid0(SALU_CYCLE_1)
	s_mov_b32 s17, exec_lo
	v_cmpx_gt_u32_e64 s59, v104
	s_cbranch_execz .LBB289_421
.LBB289_624:                            ;   in Loop: Header=BB289_410 Depth=2
	global_load_u8 v144, v[62:63], off offset:224
	s_wait_xcnt 0x0
	s_or_b32 exec_lo, exec_lo, s17
	s_delay_alu instid0(SALU_CYCLE_1)
	s_mov_b32 s17, exec_lo
	v_cmpx_gt_u32_e64 s59, v105
	s_cbranch_execz .LBB289_422
.LBB289_625:                            ;   in Loop: Header=BB289_410 Depth=2
	global_load_u8 v138, v[62:63], off offset:256
	s_wait_xcnt 0x0
	s_or_b32 exec_lo, exec_lo, s17
	s_delay_alu instid0(SALU_CYCLE_1)
	s_mov_b32 s17, exec_lo
	v_cmpx_gt_u32_e64 s59, v106
	s_cbranch_execz .LBB289_423
.LBB289_626:                            ;   in Loop: Header=BB289_410 Depth=2
	global_load_u8 v141, v[62:63], off offset:288
	s_wait_xcnt 0x0
	s_or_b32 exec_lo, exec_lo, s17
	s_delay_alu instid0(SALU_CYCLE_1)
	s_mov_b32 s17, exec_lo
	v_cmpx_gt_u32_e64 s59, v107
	s_cbranch_execz .LBB289_424
.LBB289_627:                            ;   in Loop: Header=BB289_410 Depth=2
	global_load_u8 v139, v[62:63], off offset:320
	s_wait_xcnt 0x0
	s_or_b32 exec_lo, exec_lo, s17
	s_delay_alu instid0(SALU_CYCLE_1)
	s_mov_b32 s17, exec_lo
	v_cmpx_gt_u32_e64 s59, v108
	s_cbranch_execz .LBB289_425
.LBB289_628:                            ;   in Loop: Header=BB289_410 Depth=2
	global_load_u8 v140, v[62:63], off offset:352
	s_wait_xcnt 0x0
	s_or_b32 exec_lo, exec_lo, s17
	s_delay_alu instid0(SALU_CYCLE_1)
	s_mov_b32 s17, exec_lo
	v_cmpx_gt_u32_e64 s59, v109
	s_cbranch_execz .LBB289_426
.LBB289_629:                            ;   in Loop: Header=BB289_410 Depth=2
	global_load_u8 v64, v[62:63], off offset:384
	s_wait_xcnt 0x0
	s_or_b32 exec_lo, exec_lo, s17
	s_delay_alu instid0(SALU_CYCLE_1)
	s_mov_b32 s17, exec_lo
	v_cmpx_gt_u32_e64 s59, v110
	s_cbranch_execz .LBB289_427
.LBB289_630:                            ;   in Loop: Header=BB289_410 Depth=2
	global_load_u8 v136, v[62:63], off offset:416
	s_wait_xcnt 0x0
	s_or_b32 exec_lo, exec_lo, s17
	s_delay_alu instid0(SALU_CYCLE_1)
	s_mov_b32 s17, exec_lo
	v_cmpx_gt_u32_e64 s59, v111
	s_cbranch_execz .LBB289_428
.LBB289_631:                            ;   in Loop: Header=BB289_410 Depth=2
	global_load_u8 v65, v[62:63], off offset:448
	s_wait_xcnt 0x0
	s_or_b32 exec_lo, exec_lo, s17
	s_delay_alu instid0(SALU_CYCLE_1)
	s_mov_b32 s17, exec_lo
	v_cmpx_gt_u32_e64 s59, v112
	s_cbranch_execnz .LBB289_429
	s_branch .LBB289_430
.LBB289_632:                            ;   in Loop: Header=BB289_12 Depth=1
	s_wait_dscnt 0x0
	s_barrier_signal -1
	s_barrier_wait -1
.LBB289_633:                            ;   in Loop: Header=BB289_12 Depth=1
	s_mov_b32 s8, 0
.LBB289_634:                            ;   in Loop: Header=BB289_12 Depth=1
	s_delay_alu instid0(SALU_CYCLE_1)
	s_and_not1_b32 vcc_lo, exec_lo, s8
	s_cbranch_vccnz .LBB289_11
; %bb.635:                              ;   in Loop: Header=BB289_12 Depth=1
	s_and_b32 vcc_lo, exec_lo, s56
	s_mov_b32 s8, -1
	s_cbranch_vccz .LBB289_945
; %bb.636:                              ;   in Loop: Header=BB289_12 Depth=1
	v_dual_mov_b32 v39, 0 :: v_dual_mov_b32 v42, 0
	v_dual_mov_b32 v41, 0 :: v_dual_mov_b32 v40, 0
	;; [unrolled: 1-line block ×8, first 2 shown]
	v_mov_b32_e32 v26, 0
	s_mov_b32 s8, s57
	s_mov_b32 s34, s55
	s_barrier_signal -1
	s_barrier_wait -1
	s_branch .LBB289_638
.LBB289_637:                            ;   in Loop: Header=BB289_638 Depth=2
	s_or_b32 exec_lo, exec_lo, s10
	s_addk_co_i32 s8, 0xef00
	s_cmp_ge_u32 s9, s54
	s_mov_b32 s34, s9
	s_cbranch_scc1 .LBB289_710
.LBB289_638:                            ;   Parent Loop BB289_12 Depth=1
                                        ; =>  This Inner Loop Header: Depth=2
	s_add_co_i32 s9, s34, 0x1100
	s_mov_b32 s10, -1
	s_cmp_gt_u32 s9, s54
                                        ; implicit-def: $vgpr24
                                        ; implicit-def: $vgpr25
                                        ; implicit-def: $vgpr43
                                        ; implicit-def: $vgpr44
                                        ; implicit-def: $vgpr45
                                        ; implicit-def: $vgpr46
                                        ; implicit-def: $vgpr47
                                        ; implicit-def: $vgpr48
                                        ; implicit-def: $vgpr49
                                        ; implicit-def: $vgpr50
                                        ; implicit-def: $vgpr51
                                        ; implicit-def: $vgpr52
                                        ; implicit-def: $vgpr53
                                        ; implicit-def: $vgpr54
                                        ; implicit-def: $vgpr55
                                        ; implicit-def: $vgpr56
                                        ; implicit-def: $vgpr57
	s_cbranch_scc1 .LBB289_640
; %bb.639:                              ;   in Loop: Header=BB289_638 Depth=2
	v_add_nc_u64_e32 v[58:59], s[34:35], v[18:19]
	s_mov_b32 s10, 0
	s_clause 0x10
	global_load_u8 v57, v[58:59], off offset:4096
	global_load_u8 v56, v[58:59], off offset:3840
	;; [unrolled: 1-line block ×16, first 2 shown]
	global_load_u8 v24, v[58:59], off
.LBB289_640:                            ;   in Loop: Header=BB289_638 Depth=2
	s_and_not1_b32 vcc_lo, exec_lo, s10
	s_movk_i32 s10, 0x1100
	s_cbranch_vccnz .LBB289_660
; %bb.641:                              ;   in Loop: Header=BB289_638 Depth=2
	s_add_nc_u64 s[10:11], s[36:37], s[34:35]
	s_wait_loadcnt 0x0
	v_add_nc_u64_e32 v[24:25], s[10:11], v[2:3]
	s_mov_b32 s10, exec_lo
	s_wait_xcnt 0x0
	v_cmpx_gt_u32_e64 s8, v2
	s_cbranch_execnz .LBB289_694
; %bb.642:                              ;   in Loop: Header=BB289_638 Depth=2
	s_or_b32 exec_lo, exec_lo, s10
	s_delay_alu instid0(SALU_CYCLE_1)
	s_mov_b32 s10, exec_lo
	v_cmpx_gt_u32_e64 s8, v67
	s_cbranch_execnz .LBB289_695
.LBB289_643:                            ;   in Loop: Header=BB289_638 Depth=2
	s_or_b32 exec_lo, exec_lo, s10
	s_delay_alu instid0(SALU_CYCLE_1)
	s_mov_b32 s10, exec_lo
	v_cmpx_gt_u32_e64 s8, v68
	s_cbranch_execnz .LBB289_696
.LBB289_644:                            ;   in Loop: Header=BB289_638 Depth=2
	s_or_b32 exec_lo, exec_lo, s10
	s_delay_alu instid0(SALU_CYCLE_1)
	s_mov_b32 s10, exec_lo
	v_cmpx_gt_u32_e64 s8, v69
	s_cbranch_execnz .LBB289_697
.LBB289_645:                            ;   in Loop: Header=BB289_638 Depth=2
	s_or_b32 exec_lo, exec_lo, s10
	s_delay_alu instid0(SALU_CYCLE_1)
	s_mov_b32 s10, exec_lo
	v_cmpx_gt_u32_e64 s8, v70
	s_cbranch_execnz .LBB289_698
.LBB289_646:                            ;   in Loop: Header=BB289_638 Depth=2
	s_or_b32 exec_lo, exec_lo, s10
	s_delay_alu instid0(SALU_CYCLE_1)
	s_mov_b32 s10, exec_lo
	v_cmpx_gt_u32_e64 s8, v71
	s_cbranch_execnz .LBB289_699
.LBB289_647:                            ;   in Loop: Header=BB289_638 Depth=2
	s_or_b32 exec_lo, exec_lo, s10
	s_delay_alu instid0(SALU_CYCLE_1)
	s_mov_b32 s10, exec_lo
	v_cmpx_gt_u32_e64 s8, v72
	s_cbranch_execnz .LBB289_700
.LBB289_648:                            ;   in Loop: Header=BB289_638 Depth=2
	s_or_b32 exec_lo, exec_lo, s10
	s_delay_alu instid0(SALU_CYCLE_1)
	s_mov_b32 s10, exec_lo
	v_cmpx_gt_u32_e64 s8, v73
	s_cbranch_execnz .LBB289_701
.LBB289_649:                            ;   in Loop: Header=BB289_638 Depth=2
	s_or_b32 exec_lo, exec_lo, s10
	s_delay_alu instid0(SALU_CYCLE_1)
	s_mov_b32 s10, exec_lo
	v_cmpx_gt_u32_e64 s8, v74
	s_cbranch_execnz .LBB289_702
.LBB289_650:                            ;   in Loop: Header=BB289_638 Depth=2
	s_or_b32 exec_lo, exec_lo, s10
	s_delay_alu instid0(SALU_CYCLE_1)
	s_mov_b32 s10, exec_lo
	v_cmpx_gt_u32_e64 s8, v75
	s_cbranch_execnz .LBB289_703
.LBB289_651:                            ;   in Loop: Header=BB289_638 Depth=2
	s_or_b32 exec_lo, exec_lo, s10
	s_delay_alu instid0(SALU_CYCLE_1)
	s_mov_b32 s10, exec_lo
	v_cmpx_gt_u32_e64 s8, v76
	s_cbranch_execnz .LBB289_704
.LBB289_652:                            ;   in Loop: Header=BB289_638 Depth=2
	s_or_b32 exec_lo, exec_lo, s10
	s_delay_alu instid0(SALU_CYCLE_1)
	s_mov_b32 s10, exec_lo
	v_cmpx_gt_u32_e64 s8, v77
	s_cbranch_execnz .LBB289_705
.LBB289_653:                            ;   in Loop: Header=BB289_638 Depth=2
	s_or_b32 exec_lo, exec_lo, s10
	s_delay_alu instid0(SALU_CYCLE_1)
	s_mov_b32 s10, exec_lo
	v_cmpx_gt_u32_e64 s8, v78
	s_cbranch_execnz .LBB289_706
.LBB289_654:                            ;   in Loop: Header=BB289_638 Depth=2
	s_or_b32 exec_lo, exec_lo, s10
	s_delay_alu instid0(SALU_CYCLE_1)
	s_mov_b32 s10, exec_lo
	v_cmpx_gt_u32_e64 s8, v79
	s_cbranch_execnz .LBB289_707
.LBB289_655:                            ;   in Loop: Header=BB289_638 Depth=2
	s_or_b32 exec_lo, exec_lo, s10
	s_delay_alu instid0(SALU_CYCLE_1)
	s_mov_b32 s10, exec_lo
	v_cmpx_gt_u32_e64 s8, v80
	s_cbranch_execnz .LBB289_708
.LBB289_656:                            ;   in Loop: Header=BB289_638 Depth=2
	s_or_b32 exec_lo, exec_lo, s10
	s_delay_alu instid0(SALU_CYCLE_1)
	s_mov_b32 s10, exec_lo
	v_cmpx_gt_u32_e64 s8, v81
	s_cbranch_execnz .LBB289_709
.LBB289_657:                            ;   in Loop: Header=BB289_638 Depth=2
	s_or_b32 exec_lo, exec_lo, s10
	s_delay_alu instid0(SALU_CYCLE_1)
	s_mov_b32 s10, exec_lo
	v_cmpx_gt_u32_e64 s8, v82
	s_cbranch_execz .LBB289_659
.LBB289_658:                            ;   in Loop: Header=BB289_638 Depth=2
	global_load_u8 v26, v[24:25], off offset:4096
.LBB289_659:                            ;   in Loop: Header=BB289_638 Depth=2
	s_wait_xcnt 0x0
	s_or_b32 exec_lo, exec_lo, s10
	s_wait_loadcnt 0x0
	v_dual_mov_b32 v24, v39 :: v_dual_mov_b32 v25, v42
	v_dual_mov_b32 v43, v41 :: v_dual_mov_b32 v44, v40
	;; [unrolled: 1-line block ×8, first 2 shown]
	v_mov_b32_e32 v57, v26
	s_mov_b32 s10, s8
.LBB289_660:                            ;   in Loop: Header=BB289_638 Depth=2
	s_wait_loadcnt 0xf
	s_delay_alu instid0(VALU_DEP_1)
	v_dual_mov_b32 v26, v57 :: v_dual_mov_b32 v27, v56
	s_wait_loadcnt 0xd
	v_dual_mov_b32 v28, v55 :: v_dual_mov_b32 v29, v54
	s_wait_loadcnt 0xb
	;; [unrolled: 2-line block ×8, first 2 shown]
	v_mov_b32_e32 v39, v24
	s_mov_b32 s11, exec_lo
	s_wait_xcnt 0x0
	v_cmpx_gt_u32_e64 s10, v2
	s_cbranch_execnz .LBB289_677
; %bb.661:                              ;   in Loop: Header=BB289_638 Depth=2
	s_or_b32 exec_lo, exec_lo, s11
	s_delay_alu instid0(SALU_CYCLE_1)
	s_mov_b32 s11, exec_lo
	v_cmpx_gt_u32_e64 s10, v67
	s_cbranch_execnz .LBB289_678
.LBB289_662:                            ;   in Loop: Header=BB289_638 Depth=2
	s_or_b32 exec_lo, exec_lo, s11
	s_delay_alu instid0(SALU_CYCLE_1)
	s_mov_b32 s11, exec_lo
	v_cmpx_gt_u32_e64 s10, v68
	s_cbranch_execnz .LBB289_679
.LBB289_663:                            ;   in Loop: Header=BB289_638 Depth=2
	s_or_b32 exec_lo, exec_lo, s11
	s_delay_alu instid0(SALU_CYCLE_1)
	s_mov_b32 s11, exec_lo
	v_cmpx_gt_u32_e64 s10, v69
	s_cbranch_execnz .LBB289_680
.LBB289_664:                            ;   in Loop: Header=BB289_638 Depth=2
	s_or_b32 exec_lo, exec_lo, s11
	s_delay_alu instid0(SALU_CYCLE_1)
	s_mov_b32 s11, exec_lo
	v_cmpx_gt_u32_e64 s10, v70
	s_cbranch_execnz .LBB289_681
.LBB289_665:                            ;   in Loop: Header=BB289_638 Depth=2
	s_or_b32 exec_lo, exec_lo, s11
	s_delay_alu instid0(SALU_CYCLE_1)
	s_mov_b32 s11, exec_lo
	v_cmpx_gt_u32_e64 s10, v71
	s_cbranch_execnz .LBB289_682
.LBB289_666:                            ;   in Loop: Header=BB289_638 Depth=2
	s_or_b32 exec_lo, exec_lo, s11
	s_delay_alu instid0(SALU_CYCLE_1)
	s_mov_b32 s11, exec_lo
	v_cmpx_gt_u32_e64 s10, v72
	s_cbranch_execnz .LBB289_683
.LBB289_667:                            ;   in Loop: Header=BB289_638 Depth=2
	s_or_b32 exec_lo, exec_lo, s11
	s_delay_alu instid0(SALU_CYCLE_1)
	s_mov_b32 s11, exec_lo
	v_cmpx_gt_u32_e64 s10, v73
	s_cbranch_execnz .LBB289_684
.LBB289_668:                            ;   in Loop: Header=BB289_638 Depth=2
	s_or_b32 exec_lo, exec_lo, s11
	s_delay_alu instid0(SALU_CYCLE_1)
	s_mov_b32 s11, exec_lo
	v_cmpx_gt_u32_e64 s10, v74
	s_cbranch_execnz .LBB289_685
.LBB289_669:                            ;   in Loop: Header=BB289_638 Depth=2
	s_or_b32 exec_lo, exec_lo, s11
	s_delay_alu instid0(SALU_CYCLE_1)
	s_mov_b32 s11, exec_lo
	v_cmpx_gt_u32_e64 s10, v75
	s_cbranch_execnz .LBB289_686
.LBB289_670:                            ;   in Loop: Header=BB289_638 Depth=2
	s_or_b32 exec_lo, exec_lo, s11
	s_delay_alu instid0(SALU_CYCLE_1)
	s_mov_b32 s11, exec_lo
	v_cmpx_gt_u32_e64 s10, v76
	s_cbranch_execnz .LBB289_687
.LBB289_671:                            ;   in Loop: Header=BB289_638 Depth=2
	s_or_b32 exec_lo, exec_lo, s11
	s_delay_alu instid0(SALU_CYCLE_1)
	s_mov_b32 s11, exec_lo
	v_cmpx_gt_u32_e64 s10, v77
	s_cbranch_execnz .LBB289_688
.LBB289_672:                            ;   in Loop: Header=BB289_638 Depth=2
	s_or_b32 exec_lo, exec_lo, s11
	s_delay_alu instid0(SALU_CYCLE_1)
	s_mov_b32 s11, exec_lo
	v_cmpx_gt_u32_e64 s10, v78
	s_cbranch_execnz .LBB289_689
.LBB289_673:                            ;   in Loop: Header=BB289_638 Depth=2
	s_or_b32 exec_lo, exec_lo, s11
	s_delay_alu instid0(SALU_CYCLE_1)
	s_mov_b32 s11, exec_lo
	v_cmpx_gt_u32_e64 s10, v79
	s_cbranch_execnz .LBB289_690
.LBB289_674:                            ;   in Loop: Header=BB289_638 Depth=2
	s_or_b32 exec_lo, exec_lo, s11
	s_delay_alu instid0(SALU_CYCLE_1)
	s_mov_b32 s11, exec_lo
	v_cmpx_gt_u32_e64 s10, v80
	s_cbranch_execnz .LBB289_691
.LBB289_675:                            ;   in Loop: Header=BB289_638 Depth=2
	s_or_b32 exec_lo, exec_lo, s11
	s_delay_alu instid0(SALU_CYCLE_1)
	s_mov_b32 s11, exec_lo
	v_cmpx_gt_u32_e64 s10, v81
	s_cbranch_execnz .LBB289_692
.LBB289_676:                            ;   in Loop: Header=BB289_638 Depth=2
	s_or_b32 exec_lo, exec_lo, s11
	v_cmp_gt_u32_e32 vcc_lo, s10, v82
	s_and_saveexec_b32 s10, vcc_lo
	s_cbranch_execz .LBB289_637
	s_branch .LBB289_693
.LBB289_677:                            ;   in Loop: Header=BB289_638 Depth=2
	v_xor_b32_e32 v24, 0x7f, v39
	s_delay_alu instid0(VALU_DEP_1) | instskip(NEXT) | instid1(VALU_DEP_1)
	v_and_b32_e32 v24, 0xff, v24
	v_lshrrev_b32_e32 v24, s49, v24
	s_delay_alu instid0(VALU_DEP_1) | instskip(NEXT) | instid1(VALU_DEP_1)
	v_and_b32_e32 v24, s58, v24
	v_lshl_or_b32 v24, v24, 4, v84
	ds_add_u32 v24, v7
	s_or_b32 exec_lo, exec_lo, s11
	s_delay_alu instid0(SALU_CYCLE_1)
	s_mov_b32 s11, exec_lo
	v_cmpx_gt_u32_e64 s10, v67
	s_cbranch_execz .LBB289_662
.LBB289_678:                            ;   in Loop: Header=BB289_638 Depth=2
	v_xor_b32_e32 v24, 0x7f, v42
	s_delay_alu instid0(VALU_DEP_1) | instskip(NEXT) | instid1(VALU_DEP_1)
	v_and_b32_e32 v24, 0xff, v24
	v_lshrrev_b32_e32 v24, s49, v24
	s_delay_alu instid0(VALU_DEP_1) | instskip(NEXT) | instid1(VALU_DEP_1)
	v_and_b32_e32 v24, s58, v24
	v_lshl_or_b32 v24, v24, 4, v84
	ds_add_u32 v24, v7
	s_or_b32 exec_lo, exec_lo, s11
	s_delay_alu instid0(SALU_CYCLE_1)
	s_mov_b32 s11, exec_lo
	v_cmpx_gt_u32_e64 s10, v68
	s_cbranch_execz .LBB289_663
.LBB289_679:                            ;   in Loop: Header=BB289_638 Depth=2
	v_xor_b32_e32 v24, 0x7f, v41
	s_delay_alu instid0(VALU_DEP_1) | instskip(NEXT) | instid1(VALU_DEP_1)
	v_and_b32_e32 v24, 0xff, v24
	v_lshrrev_b32_e32 v24, s49, v24
	s_delay_alu instid0(VALU_DEP_1) | instskip(NEXT) | instid1(VALU_DEP_1)
	v_and_b32_e32 v24, s58, v24
	v_lshl_or_b32 v24, v24, 4, v84
	ds_add_u32 v24, v7
	s_or_b32 exec_lo, exec_lo, s11
	s_delay_alu instid0(SALU_CYCLE_1)
	s_mov_b32 s11, exec_lo
	v_cmpx_gt_u32_e64 s10, v69
	s_cbranch_execz .LBB289_664
.LBB289_680:                            ;   in Loop: Header=BB289_638 Depth=2
	v_xor_b32_e32 v24, 0x7f, v40
	s_delay_alu instid0(VALU_DEP_1) | instskip(NEXT) | instid1(VALU_DEP_1)
	v_and_b32_e32 v24, 0xff, v24
	v_lshrrev_b32_e32 v24, s49, v24
	s_delay_alu instid0(VALU_DEP_1) | instskip(NEXT) | instid1(VALU_DEP_1)
	v_and_b32_e32 v24, s58, v24
	v_lshl_or_b32 v24, v24, 4, v84
	ds_add_u32 v24, v7
	s_or_b32 exec_lo, exec_lo, s11
	s_delay_alu instid0(SALU_CYCLE_1)
	s_mov_b32 s11, exec_lo
	v_cmpx_gt_u32_e64 s10, v70
	s_cbranch_execz .LBB289_665
.LBB289_681:                            ;   in Loop: Header=BB289_638 Depth=2
	v_xor_b32_e32 v24, 0x7f, v38
	s_delay_alu instid0(VALU_DEP_1) | instskip(NEXT) | instid1(VALU_DEP_1)
	v_and_b32_e32 v24, 0xff, v24
	v_lshrrev_b32_e32 v24, s49, v24
	s_delay_alu instid0(VALU_DEP_1) | instskip(NEXT) | instid1(VALU_DEP_1)
	v_and_b32_e32 v24, s58, v24
	v_lshl_or_b32 v24, v24, 4, v84
	ds_add_u32 v24, v7
	s_or_b32 exec_lo, exec_lo, s11
	s_delay_alu instid0(SALU_CYCLE_1)
	s_mov_b32 s11, exec_lo
	v_cmpx_gt_u32_e64 s10, v71
	s_cbranch_execz .LBB289_666
.LBB289_682:                            ;   in Loop: Header=BB289_638 Depth=2
	v_xor_b32_e32 v24, 0x7f, v37
	s_delay_alu instid0(VALU_DEP_1) | instskip(NEXT) | instid1(VALU_DEP_1)
	v_and_b32_e32 v24, 0xff, v24
	v_lshrrev_b32_e32 v24, s49, v24
	s_delay_alu instid0(VALU_DEP_1) | instskip(NEXT) | instid1(VALU_DEP_1)
	v_and_b32_e32 v24, s58, v24
	v_lshl_or_b32 v24, v24, 4, v84
	ds_add_u32 v24, v7
	s_or_b32 exec_lo, exec_lo, s11
	s_delay_alu instid0(SALU_CYCLE_1)
	s_mov_b32 s11, exec_lo
	v_cmpx_gt_u32_e64 s10, v72
	s_cbranch_execz .LBB289_667
.LBB289_683:                            ;   in Loop: Header=BB289_638 Depth=2
	v_xor_b32_e32 v24, 0x7f, v36
	s_delay_alu instid0(VALU_DEP_1) | instskip(NEXT) | instid1(VALU_DEP_1)
	v_and_b32_e32 v24, 0xff, v24
	v_lshrrev_b32_e32 v24, s49, v24
	s_delay_alu instid0(VALU_DEP_1) | instskip(NEXT) | instid1(VALU_DEP_1)
	v_and_b32_e32 v24, s58, v24
	v_lshl_or_b32 v24, v24, 4, v84
	ds_add_u32 v24, v7
	s_or_b32 exec_lo, exec_lo, s11
	s_delay_alu instid0(SALU_CYCLE_1)
	s_mov_b32 s11, exec_lo
	v_cmpx_gt_u32_e64 s10, v73
	s_cbranch_execz .LBB289_668
.LBB289_684:                            ;   in Loop: Header=BB289_638 Depth=2
	v_xor_b32_e32 v24, 0x7f, v35
	s_delay_alu instid0(VALU_DEP_1) | instskip(NEXT) | instid1(VALU_DEP_1)
	v_and_b32_e32 v24, 0xff, v24
	v_lshrrev_b32_e32 v24, s49, v24
	s_delay_alu instid0(VALU_DEP_1) | instskip(NEXT) | instid1(VALU_DEP_1)
	v_and_b32_e32 v24, s58, v24
	v_lshl_or_b32 v24, v24, 4, v84
	ds_add_u32 v24, v7
	s_or_b32 exec_lo, exec_lo, s11
	s_delay_alu instid0(SALU_CYCLE_1)
	s_mov_b32 s11, exec_lo
	v_cmpx_gt_u32_e64 s10, v74
	s_cbranch_execz .LBB289_669
.LBB289_685:                            ;   in Loop: Header=BB289_638 Depth=2
	v_xor_b32_e32 v24, 0x7f, v34
	s_delay_alu instid0(VALU_DEP_1) | instskip(NEXT) | instid1(VALU_DEP_1)
	v_and_b32_e32 v24, 0xff, v24
	v_lshrrev_b32_e32 v24, s49, v24
	s_delay_alu instid0(VALU_DEP_1) | instskip(NEXT) | instid1(VALU_DEP_1)
	v_and_b32_e32 v24, s58, v24
	v_lshl_or_b32 v24, v24, 4, v84
	ds_add_u32 v24, v7
	s_or_b32 exec_lo, exec_lo, s11
	s_delay_alu instid0(SALU_CYCLE_1)
	s_mov_b32 s11, exec_lo
	v_cmpx_gt_u32_e64 s10, v75
	s_cbranch_execz .LBB289_670
.LBB289_686:                            ;   in Loop: Header=BB289_638 Depth=2
	v_xor_b32_e32 v24, 0x7f, v33
	s_delay_alu instid0(VALU_DEP_1) | instskip(NEXT) | instid1(VALU_DEP_1)
	v_and_b32_e32 v24, 0xff, v24
	v_lshrrev_b32_e32 v24, s49, v24
	s_delay_alu instid0(VALU_DEP_1) | instskip(NEXT) | instid1(VALU_DEP_1)
	v_and_b32_e32 v24, s58, v24
	v_lshl_or_b32 v24, v24, 4, v84
	ds_add_u32 v24, v7
	s_or_b32 exec_lo, exec_lo, s11
	s_delay_alu instid0(SALU_CYCLE_1)
	s_mov_b32 s11, exec_lo
	v_cmpx_gt_u32_e64 s10, v76
	s_cbranch_execz .LBB289_671
.LBB289_687:                            ;   in Loop: Header=BB289_638 Depth=2
	v_xor_b32_e32 v24, 0x7f, v32
	s_delay_alu instid0(VALU_DEP_1) | instskip(NEXT) | instid1(VALU_DEP_1)
	v_and_b32_e32 v24, 0xff, v24
	v_lshrrev_b32_e32 v24, s49, v24
	s_delay_alu instid0(VALU_DEP_1) | instskip(NEXT) | instid1(VALU_DEP_1)
	v_and_b32_e32 v24, s58, v24
	v_lshl_or_b32 v24, v24, 4, v84
	ds_add_u32 v24, v7
	s_or_b32 exec_lo, exec_lo, s11
	s_delay_alu instid0(SALU_CYCLE_1)
	s_mov_b32 s11, exec_lo
	v_cmpx_gt_u32_e64 s10, v77
	s_cbranch_execz .LBB289_672
.LBB289_688:                            ;   in Loop: Header=BB289_638 Depth=2
	v_xor_b32_e32 v24, 0x7f, v31
	s_delay_alu instid0(VALU_DEP_1) | instskip(NEXT) | instid1(VALU_DEP_1)
	v_and_b32_e32 v24, 0xff, v24
	v_lshrrev_b32_e32 v24, s49, v24
	s_delay_alu instid0(VALU_DEP_1) | instskip(NEXT) | instid1(VALU_DEP_1)
	v_and_b32_e32 v24, s58, v24
	v_lshl_or_b32 v24, v24, 4, v84
	ds_add_u32 v24, v7
	s_or_b32 exec_lo, exec_lo, s11
	s_delay_alu instid0(SALU_CYCLE_1)
	s_mov_b32 s11, exec_lo
	v_cmpx_gt_u32_e64 s10, v78
	s_cbranch_execz .LBB289_673
.LBB289_689:                            ;   in Loop: Header=BB289_638 Depth=2
	v_xor_b32_e32 v24, 0x7f, v30
	s_delay_alu instid0(VALU_DEP_1) | instskip(NEXT) | instid1(VALU_DEP_1)
	v_and_b32_e32 v24, 0xff, v24
	v_lshrrev_b32_e32 v24, s49, v24
	s_delay_alu instid0(VALU_DEP_1) | instskip(NEXT) | instid1(VALU_DEP_1)
	v_and_b32_e32 v24, s58, v24
	v_lshl_or_b32 v24, v24, 4, v84
	ds_add_u32 v24, v7
	s_or_b32 exec_lo, exec_lo, s11
	s_delay_alu instid0(SALU_CYCLE_1)
	s_mov_b32 s11, exec_lo
	v_cmpx_gt_u32_e64 s10, v79
	s_cbranch_execz .LBB289_674
.LBB289_690:                            ;   in Loop: Header=BB289_638 Depth=2
	v_xor_b32_e32 v24, 0x7f, v29
	s_delay_alu instid0(VALU_DEP_1) | instskip(NEXT) | instid1(VALU_DEP_1)
	v_and_b32_e32 v24, 0xff, v24
	v_lshrrev_b32_e32 v24, s49, v24
	s_delay_alu instid0(VALU_DEP_1) | instskip(NEXT) | instid1(VALU_DEP_1)
	v_and_b32_e32 v24, s58, v24
	v_lshl_or_b32 v24, v24, 4, v84
	ds_add_u32 v24, v7
	s_or_b32 exec_lo, exec_lo, s11
	s_delay_alu instid0(SALU_CYCLE_1)
	s_mov_b32 s11, exec_lo
	v_cmpx_gt_u32_e64 s10, v80
	s_cbranch_execz .LBB289_675
.LBB289_691:                            ;   in Loop: Header=BB289_638 Depth=2
	v_xor_b32_e32 v24, 0x7f, v28
	s_delay_alu instid0(VALU_DEP_1) | instskip(NEXT) | instid1(VALU_DEP_1)
	v_and_b32_e32 v24, 0xff, v24
	v_lshrrev_b32_e32 v24, s49, v24
	s_delay_alu instid0(VALU_DEP_1) | instskip(NEXT) | instid1(VALU_DEP_1)
	v_and_b32_e32 v24, s58, v24
	v_lshl_or_b32 v24, v24, 4, v84
	ds_add_u32 v24, v7
	s_or_b32 exec_lo, exec_lo, s11
	s_delay_alu instid0(SALU_CYCLE_1)
	s_mov_b32 s11, exec_lo
	v_cmpx_gt_u32_e64 s10, v81
	s_cbranch_execz .LBB289_676
.LBB289_692:                            ;   in Loop: Header=BB289_638 Depth=2
	v_xor_b32_e32 v24, 0x7f, v27
	s_delay_alu instid0(VALU_DEP_1) | instskip(NEXT) | instid1(VALU_DEP_1)
	v_and_b32_e32 v24, 0xff, v24
	v_lshrrev_b32_e32 v24, s49, v24
	s_delay_alu instid0(VALU_DEP_1) | instskip(NEXT) | instid1(VALU_DEP_1)
	v_and_b32_e32 v24, s58, v24
	v_lshl_or_b32 v24, v24, 4, v84
	ds_add_u32 v24, v7
	s_or_b32 exec_lo, exec_lo, s11
	v_cmp_gt_u32_e32 vcc_lo, s10, v82
	s_and_saveexec_b32 s10, vcc_lo
	s_cbranch_execz .LBB289_637
.LBB289_693:                            ;   in Loop: Header=BB289_638 Depth=2
	v_xor_b32_e32 v24, 0x7f, v26
	s_delay_alu instid0(VALU_DEP_1) | instskip(NEXT) | instid1(VALU_DEP_1)
	v_and_b32_e32 v24, 0xff, v24
	v_lshrrev_b32_e32 v24, s49, v24
	s_delay_alu instid0(VALU_DEP_1) | instskip(NEXT) | instid1(VALU_DEP_1)
	v_and_b32_e32 v24, s58, v24
	v_lshl_or_b32 v24, v24, 4, v84
	ds_add_u32 v24, v7
	s_branch .LBB289_637
.LBB289_694:                            ;   in Loop: Header=BB289_638 Depth=2
	global_load_u8 v39, v[24:25], off
	s_wait_xcnt 0x0
	s_or_b32 exec_lo, exec_lo, s10
	s_delay_alu instid0(SALU_CYCLE_1)
	s_mov_b32 s10, exec_lo
	v_cmpx_gt_u32_e64 s8, v67
	s_cbranch_execz .LBB289_643
.LBB289_695:                            ;   in Loop: Header=BB289_638 Depth=2
	global_load_u8 v42, v[24:25], off offset:256
	s_wait_xcnt 0x0
	s_or_b32 exec_lo, exec_lo, s10
	s_delay_alu instid0(SALU_CYCLE_1)
	s_mov_b32 s10, exec_lo
	v_cmpx_gt_u32_e64 s8, v68
	s_cbranch_execz .LBB289_644
.LBB289_696:                            ;   in Loop: Header=BB289_638 Depth=2
	global_load_u8 v41, v[24:25], off offset:512
	s_wait_xcnt 0x0
	s_or_b32 exec_lo, exec_lo, s10
	s_delay_alu instid0(SALU_CYCLE_1)
	s_mov_b32 s10, exec_lo
	v_cmpx_gt_u32_e64 s8, v69
	s_cbranch_execz .LBB289_645
.LBB289_697:                            ;   in Loop: Header=BB289_638 Depth=2
	global_load_u8 v40, v[24:25], off offset:768
	s_wait_xcnt 0x0
	s_or_b32 exec_lo, exec_lo, s10
	s_delay_alu instid0(SALU_CYCLE_1)
	s_mov_b32 s10, exec_lo
	v_cmpx_gt_u32_e64 s8, v70
	s_cbranch_execz .LBB289_646
.LBB289_698:                            ;   in Loop: Header=BB289_638 Depth=2
	global_load_u8 v38, v[24:25], off offset:1024
	s_wait_xcnt 0x0
	s_or_b32 exec_lo, exec_lo, s10
	s_delay_alu instid0(SALU_CYCLE_1)
	s_mov_b32 s10, exec_lo
	v_cmpx_gt_u32_e64 s8, v71
	s_cbranch_execz .LBB289_647
.LBB289_699:                            ;   in Loop: Header=BB289_638 Depth=2
	global_load_u8 v37, v[24:25], off offset:1280
	s_wait_xcnt 0x0
	s_or_b32 exec_lo, exec_lo, s10
	s_delay_alu instid0(SALU_CYCLE_1)
	s_mov_b32 s10, exec_lo
	v_cmpx_gt_u32_e64 s8, v72
	s_cbranch_execz .LBB289_648
.LBB289_700:                            ;   in Loop: Header=BB289_638 Depth=2
	global_load_u8 v36, v[24:25], off offset:1536
	s_wait_xcnt 0x0
	s_or_b32 exec_lo, exec_lo, s10
	s_delay_alu instid0(SALU_CYCLE_1)
	s_mov_b32 s10, exec_lo
	v_cmpx_gt_u32_e64 s8, v73
	s_cbranch_execz .LBB289_649
.LBB289_701:                            ;   in Loop: Header=BB289_638 Depth=2
	global_load_u8 v35, v[24:25], off offset:1792
	s_wait_xcnt 0x0
	s_or_b32 exec_lo, exec_lo, s10
	s_delay_alu instid0(SALU_CYCLE_1)
	s_mov_b32 s10, exec_lo
	v_cmpx_gt_u32_e64 s8, v74
	s_cbranch_execz .LBB289_650
.LBB289_702:                            ;   in Loop: Header=BB289_638 Depth=2
	global_load_u8 v34, v[24:25], off offset:2048
	s_wait_xcnt 0x0
	s_or_b32 exec_lo, exec_lo, s10
	s_delay_alu instid0(SALU_CYCLE_1)
	s_mov_b32 s10, exec_lo
	v_cmpx_gt_u32_e64 s8, v75
	s_cbranch_execz .LBB289_651
.LBB289_703:                            ;   in Loop: Header=BB289_638 Depth=2
	global_load_u8 v33, v[24:25], off offset:2304
	s_wait_xcnt 0x0
	s_or_b32 exec_lo, exec_lo, s10
	s_delay_alu instid0(SALU_CYCLE_1)
	s_mov_b32 s10, exec_lo
	v_cmpx_gt_u32_e64 s8, v76
	s_cbranch_execz .LBB289_652
.LBB289_704:                            ;   in Loop: Header=BB289_638 Depth=2
	global_load_u8 v32, v[24:25], off offset:2560
	s_wait_xcnt 0x0
	s_or_b32 exec_lo, exec_lo, s10
	s_delay_alu instid0(SALU_CYCLE_1)
	s_mov_b32 s10, exec_lo
	v_cmpx_gt_u32_e64 s8, v77
	s_cbranch_execz .LBB289_653
.LBB289_705:                            ;   in Loop: Header=BB289_638 Depth=2
	global_load_u8 v31, v[24:25], off offset:2816
	s_wait_xcnt 0x0
	s_or_b32 exec_lo, exec_lo, s10
	s_delay_alu instid0(SALU_CYCLE_1)
	s_mov_b32 s10, exec_lo
	v_cmpx_gt_u32_e64 s8, v78
	s_cbranch_execz .LBB289_654
.LBB289_706:                            ;   in Loop: Header=BB289_638 Depth=2
	global_load_u8 v30, v[24:25], off offset:3072
	s_wait_xcnt 0x0
	s_or_b32 exec_lo, exec_lo, s10
	s_delay_alu instid0(SALU_CYCLE_1)
	s_mov_b32 s10, exec_lo
	v_cmpx_gt_u32_e64 s8, v79
	s_cbranch_execz .LBB289_655
.LBB289_707:                            ;   in Loop: Header=BB289_638 Depth=2
	global_load_u8 v29, v[24:25], off offset:3328
	s_wait_xcnt 0x0
	s_or_b32 exec_lo, exec_lo, s10
	s_delay_alu instid0(SALU_CYCLE_1)
	s_mov_b32 s10, exec_lo
	v_cmpx_gt_u32_e64 s8, v80
	s_cbranch_execz .LBB289_656
.LBB289_708:                            ;   in Loop: Header=BB289_638 Depth=2
	global_load_u8 v28, v[24:25], off offset:3584
	s_wait_xcnt 0x0
	s_or_b32 exec_lo, exec_lo, s10
	s_delay_alu instid0(SALU_CYCLE_1)
	s_mov_b32 s10, exec_lo
	v_cmpx_gt_u32_e64 s8, v81
	s_cbranch_execz .LBB289_657
.LBB289_709:                            ;   in Loop: Header=BB289_638 Depth=2
	global_load_u8 v27, v[24:25], off offset:3840
	s_wait_xcnt 0x0
	s_or_b32 exec_lo, exec_lo, s10
	s_delay_alu instid0(SALU_CYCLE_1)
	s_mov_b32 s10, exec_lo
	v_cmpx_gt_u32_e64 s8, v82
	s_cbranch_execnz .LBB289_658
	s_branch .LBB289_659
.LBB289_710:                            ;   in Loop: Header=BB289_12 Depth=1
	v_mov_b32_e32 v24, 0
	s_wait_dscnt 0x0
	s_barrier_signal -1
	s_barrier_wait -1
	s_and_saveexec_b32 s8, s0
	s_cbranch_execz .LBB289_712
; %bb.711:                              ;   in Loop: Header=BB289_12 Depth=1
	ds_load_2addr_b64 v[24:27], v85 offset1:1
	s_wait_dscnt 0x0
	v_add_nc_u32_e32 v24, v25, v24
	s_delay_alu instid0(VALU_DEP_1)
	v_add3_u32 v24, v24, v26, v27
.LBB289_712:                            ;   in Loop: Header=BB289_12 Depth=1
	s_or_b32 exec_lo, exec_lo, s8
	v_and_b32_e32 v25, 15, v0
	s_delay_alu instid0(VALU_DEP_2) | instskip(SKIP_1) | instid1(VALU_DEP_3)
	v_mov_b32_dpp v26, v24 row_shr:1 row_mask:0xf bank_mask:0xf
	v_and_b32_e32 v27, 16, v0
	v_cmp_eq_u32_e64 s8, 0, v25
	v_cmp_lt_u32_e64 s9, 1, v25
	s_delay_alu instid0(VALU_DEP_3) | instskip(NEXT) | instid1(VALU_DEP_3)
	v_cmp_eq_u32_e64 s12, 0, v27
	v_cndmask_b32_e64 v26, v26, 0, s8
	s_delay_alu instid0(VALU_DEP_1) | instskip(NEXT) | instid1(VALU_DEP_1)
	v_add_nc_u32_e32 v24, v26, v24
	v_mov_b32_dpp v26, v24 row_shr:2 row_mask:0xf bank_mask:0xf
	s_delay_alu instid0(VALU_DEP_1) | instskip(SKIP_2) | instid1(VALU_DEP_3)
	v_cndmask_b32_e64 v26, 0, v26, s9
	v_cmp_lt_u32_e64 s11, 7, v25
	v_cmp_lt_u32_e64 s10, 3, v25
	v_add_nc_u32_e32 v24, v24, v26
	s_delay_alu instid0(VALU_DEP_1) | instskip(NEXT) | instid1(VALU_DEP_1)
	v_mov_b32_dpp v26, v24 row_shr:4 row_mask:0xf bank_mask:0xf
	v_cndmask_b32_e64 v26, 0, v26, s10
	s_delay_alu instid0(VALU_DEP_1) | instskip(NEXT) | instid1(VALU_DEP_1)
	v_add_nc_u32_e32 v24, v24, v26
	v_mov_b32_dpp v26, v24 row_shr:8 row_mask:0xf bank_mask:0xf
	s_delay_alu instid0(VALU_DEP_1) | instskip(SKIP_1) | instid1(VALU_DEP_2)
	v_cndmask_b32_e64 v25, 0, v26, s11
	v_bfe_i32 v26, v0, 4, 1
	v_add_nc_u32_e32 v24, v24, v25
	ds_swizzle_b32 v25, v24 offset:swizzle(BROADCAST,32,15)
	s_wait_dscnt 0x0
	v_and_b32_e32 v25, v26, v25
	s_delay_alu instid0(VALU_DEP_1)
	v_add_nc_u32_e32 v24, v24, v25
	s_and_saveexec_b32 s13, s1
; %bb.713:                              ;   in Loop: Header=BB289_12 Depth=1
	ds_store_b32 v86, v24
; %bb.714:                              ;   in Loop: Header=BB289_12 Depth=1
	s_or_b32 exec_lo, exec_lo, s13
	s_wait_dscnt 0x0
	s_barrier_signal -1
	s_barrier_wait -1
	s_and_saveexec_b32 s13, s4
	s_cbranch_execz .LBB289_716
; %bb.715:                              ;   in Loop: Header=BB289_12 Depth=1
	ds_load_b32 v25, v87
	s_wait_dscnt 0x0
	v_mov_b32_dpp v27, v25 row_shr:1 row_mask:0xf bank_mask:0xf
	v_and_b32_e32 v26, 3, v0
	s_delay_alu instid0(VALU_DEP_1) | instskip(NEXT) | instid1(VALU_DEP_3)
	v_cmp_ne_u32_e32 vcc_lo, 0, v26
	v_cndmask_b32_e32 v27, 0, v27, vcc_lo
	v_cmp_lt_u32_e32 vcc_lo, 1, v26
	s_delay_alu instid0(VALU_DEP_2) | instskip(NEXT) | instid1(VALU_DEP_1)
	v_add_nc_u32_e32 v25, v27, v25
	v_mov_b32_dpp v27, v25 row_shr:2 row_mask:0xf bank_mask:0xf
	s_delay_alu instid0(VALU_DEP_1) | instskip(NEXT) | instid1(VALU_DEP_1)
	v_cndmask_b32_e32 v26, 0, v27, vcc_lo
	v_add_nc_u32_e32 v25, v25, v26
	ds_store_b32 v87, v25
.LBB289_716:                            ;   in Loop: Header=BB289_12 Depth=1
	s_or_b32 exec_lo, exec_lo, s13
	v_mov_b32_e32 v25, 0
	s_wait_dscnt 0x0
	s_barrier_signal -1
	s_barrier_wait -1
	s_and_saveexec_b32 s13, s5
; %bb.717:                              ;   in Loop: Header=BB289_12 Depth=1
	ds_load_b32 v25, v88
; %bb.718:                              ;   in Loop: Header=BB289_12 Depth=1
	s_or_b32 exec_lo, exec_lo, s13
	v_sub_co_u32 v26, s13, v0, 1
	s_wait_dscnt 0x0
	s_barrier_signal -1
	s_barrier_wait -1
	s_delay_alu instid0(VALU_DEP_1) | instskip(SKIP_1) | instid1(VALU_DEP_1)
	v_cmp_gt_i32_e32 vcc_lo, 0, v26
	v_cndmask_b32_e32 v26, v26, v0, vcc_lo
	v_dual_add_nc_u32 v24, v25, v24 :: v_dual_lshlrev_b32 v96, 2, v26
	ds_bpermute_b32 v24, v96, v24
	s_and_saveexec_b32 s14, s0
	s_cbranch_execz .LBB289_720
; %bb.719:                              ;   in Loop: Header=BB289_12 Depth=1
	s_wait_dscnt 0x0
	v_cndmask_b32_e64 v24, v24, v25, s13
	s_delay_alu instid0(VALU_DEP_1)
	v_add_nc_u32_e32 v24, s55, v24
	ds_store_b32 v66, v24
.LBB289_720:                            ;   in Loop: Header=BB289_12 Depth=1
	s_or_b32 exec_lo, exec_lo, s14
	s_load_b64 s[14:15], s[52:53], 0x0
	v_dual_lshlrev_b32 v26, 3, v0 :: v_dual_bitop2_b32 v28, 7, v0 bitop3:0x40
	v_dual_mov_b32 v27, v1 :: v_dual_bitop2_b32 v97, v0, v6 bitop3:0x54
	s_wait_dscnt 0x0
	v_add_nc_u64_e32 v[24:25], v[22:23], v[0:1]
	v_mov_b32_e32 v115, 0
	s_mov_b32 s59, s57
	v_add_nc_u64_e32 v[26:27], v[20:21], v[26:27]
	v_dual_add_nc_u32 v98, 32, v97 :: v_dual_add_nc_u32 v99, 64, v97
	v_add_nc_u32_e32 v100, 0x60, v97
	v_add_nc_u32_e32 v101, 0x80, v97
	;; [unrolled: 1-line block ×9, first 2 shown]
	s_wait_kmcnt 0x0
	s_cmp_lt_u32 s51, s14
	v_add_nc_u32_e32 v109, 0x180, v97
	s_cselect_b32 s34, 12, 18
	s_cmp_lt_u32 s42, s15
	s_mov_b32 s15, s35
	s_cselect_b32 s14, 14, 20
	v_add_nc_u32_e32 v110, 0x1a0, v97
	s_add_nc_u64 s[14:15], s[52:53], s[14:15]
	v_add_nc_u32_e32 v111, 0x1c0, v97
	s_load_u16 s16, s[14:15], 0x0
	s_wait_xcnt 0x0
	s_add_nc_u64 s[14:15], s[52:53], s[34:35]
	v_add_nc_u32_e32 v112, 0x1e0, v97
	s_load_u16 s17, s[14:15], 0x0
	s_wait_xcnt 0x0
	v_cmp_eq_u32_e64 s14, 0, v28
	v_cmp_lt_u32_e64 s15, 1, v28
	v_add_nc_u32_e32 v113, 0x200, v97
	s_mov_b32 s34, s55
                                        ; implicit-def: $vgpr30_vgpr31
                                        ; implicit-def: $vgpr32_vgpr33
                                        ; implicit-def: $vgpr34_vgpr35
                                        ; implicit-def: $vgpr36_vgpr37
                                        ; implicit-def: $vgpr38_vgpr39
                                        ; implicit-def: $vgpr40_vgpr41
                                        ; implicit-def: $vgpr42_vgpr43
                                        ; implicit-def: $vgpr44_vgpr45
                                        ; implicit-def: $vgpr46_vgpr47
                                        ; implicit-def: $vgpr48_vgpr49
                                        ; implicit-def: $vgpr50_vgpr51
                                        ; implicit-def: $vgpr52_vgpr53
                                        ; implicit-def: $vgpr54_vgpr55
                                        ; implicit-def: $vgpr56_vgpr57
                                        ; implicit-def: $vgpr58_vgpr59
                                        ; implicit-def: $vgpr60_vgpr61
                                        ; implicit-def: $vgpr116
                                        ; implicit-def: $vgpr117
                                        ; implicit-def: $vgpr118
                                        ; implicit-def: $vgpr119
                                        ; implicit-def: $vgpr120
                                        ; implicit-def: $vgpr121
                                        ; implicit-def: $vgpr122
                                        ; implicit-def: $vgpr123
                                        ; implicit-def: $vgpr124
                                        ; implicit-def: $vgpr125
                                        ; implicit-def: $vgpr126
                                        ; implicit-def: $vgpr127
                                        ; implicit-def: $vgpr128
                                        ; implicit-def: $vgpr129
                                        ; implicit-def: $vgpr130
                                        ; implicit-def: $vgpr131
                                        ; implicit-def: $vgpr132
                                        ; implicit-def: $vgpr133
                                        ; implicit-def: $vgpr134
	s_wait_kmcnt 0x0
	v_mad_u32_u24 v29, v89, s16, v91
	v_cmp_lt_u32_e64 s16, 3, v28
	s_delay_alu instid0(VALU_DEP_2) | instskip(NEXT) | instid1(VALU_DEP_1)
	v_mad_u32 v28, v29, s17, v2
	v_lshrrev_b32_e32 v28, 3, v28
	s_delay_alu instid0(VALU_DEP_1)
	v_and_b32_e32 v114, 0x1ffffffc, v28
                                        ; implicit-def: $vgpr28_vgpr29
	s_branch .LBB289_722
.LBB289_721:                            ;   in Loop: Header=BB289_722 Depth=2
	s_or_b32 exec_lo, exec_lo, s17
	s_addk_co_i32 s59, 0xef00
	s_cmp_lt_u32 s60, s54
	s_mov_b32 s34, s60
	s_cbranch_scc0 .LBB289_944
.LBB289_722:                            ;   Parent Loop BB289_12 Depth=1
                                        ; =>  This Inner Loop Header: Depth=2
	s_add_co_i32 s60, s34, 0x1100
	s_delay_alu instid0(SALU_CYCLE_1)
	s_cmp_gt_u32 s60, s54
	s_cbranch_scc1 .LBB289_724
; %bb.723:                              ;   in Loop: Header=BB289_722 Depth=2
	v_add_nc_u64_e32 v[62:63], s[34:35], v[24:25]
	s_mov_b32 s17, -1
	s_clause 0xf
	global_load_u8 v135, v[62:63], off offset:480
	global_load_u8 v65, v[62:63], off offset:448
	;; [unrolled: 1-line block ×15, first 2 shown]
	global_load_u8 v147, v[62:63], off
	s_movk_i32 s18, 0x1100
	s_cbranch_execz .LBB289_725
	s_branch .LBB289_743
.LBB289_724:                            ;   in Loop: Header=BB289_722 Depth=2
	s_mov_b32 s17, 0
                                        ; implicit-def: $vgpr147
                                        ; implicit-def: $vgpr150
                                        ; implicit-def: $vgpr148
                                        ; implicit-def: $vgpr151
                                        ; implicit-def: $vgpr142
                                        ; implicit-def: $vgpr145
                                        ; implicit-def: $vgpr143
                                        ; implicit-def: $vgpr144
                                        ; implicit-def: $vgpr138
                                        ; implicit-def: $vgpr141
                                        ; implicit-def: $vgpr139
                                        ; implicit-def: $vgpr140
                                        ; implicit-def: $vgpr64
                                        ; implicit-def: $vgpr136
                                        ; implicit-def: $vgpr65
                                        ; implicit-def: $vgpr135
                                        ; implicit-def: $vgpr115
	s_movk_i32 s18, 0x1100
.LBB289_725:                            ;   in Loop: Header=BB289_722 Depth=2
	s_wait_xcnt 0x0
	v_add_nc_u64_e32 v[62:63], s[34:35], v[24:25]
	s_wait_loadcnt 0x1
	v_dual_mov_b32 v115, 0x80 :: v_dual_mov_b32 v150, 0x80
	s_wait_loadcnt 0x0
	v_dual_mov_b32 v147, 0x80 :: v_dual_mov_b32 v148, 0x80
	v_dual_mov_b32 v151, 0x80 :: v_dual_mov_b32 v142, 0x80
	v_dual_mov_b32 v145, 0x80 :: v_dual_mov_b32 v144, 0x80
	v_dual_mov_b32 v143, 0x80 :: v_dual_mov_b32 v138, 0x80
	v_dual_mov_b32 v141, 0x80 :: v_dual_mov_b32 v140, 0x80
	v_dual_mov_b32 v139, 0x80 :: v_dual_mov_b32 v64, 0x80
	v_dual_mov_b32 v136, 0x80 :: v_dual_mov_b32 v65, 0x80
	v_mov_b32_e32 v135, 0x80
	s_mov_b32 s17, exec_lo
	v_cmpx_gt_u32_e64 s59, v97
	s_cbranch_execnz .LBB289_929
; %bb.726:                              ;   in Loop: Header=BB289_722 Depth=2
	s_or_b32 exec_lo, exec_lo, s17
	s_delay_alu instid0(SALU_CYCLE_1)
	s_mov_b32 s17, exec_lo
	v_cmpx_gt_u32_e64 s59, v98
	s_cbranch_execnz .LBB289_930
.LBB289_727:                            ;   in Loop: Header=BB289_722 Depth=2
	s_or_b32 exec_lo, exec_lo, s17
	s_delay_alu instid0(SALU_CYCLE_1)
	s_mov_b32 s17, exec_lo
	v_cmpx_gt_u32_e64 s59, v99
	s_cbranch_execnz .LBB289_931
.LBB289_728:                            ;   in Loop: Header=BB289_722 Depth=2
	s_or_b32 exec_lo, exec_lo, s17
	s_delay_alu instid0(SALU_CYCLE_1)
	s_mov_b32 s17, exec_lo
	v_cmpx_gt_u32_e64 s59, v100
	s_cbranch_execnz .LBB289_932
.LBB289_729:                            ;   in Loop: Header=BB289_722 Depth=2
	s_or_b32 exec_lo, exec_lo, s17
	s_delay_alu instid0(SALU_CYCLE_1)
	s_mov_b32 s17, exec_lo
	v_cmpx_gt_u32_e64 s59, v101
	s_cbranch_execnz .LBB289_933
.LBB289_730:                            ;   in Loop: Header=BB289_722 Depth=2
	s_or_b32 exec_lo, exec_lo, s17
	s_delay_alu instid0(SALU_CYCLE_1)
	s_mov_b32 s17, exec_lo
	v_cmpx_gt_u32_e64 s59, v102
	s_cbranch_execnz .LBB289_934
.LBB289_731:                            ;   in Loop: Header=BB289_722 Depth=2
	s_or_b32 exec_lo, exec_lo, s17
	s_delay_alu instid0(SALU_CYCLE_1)
	s_mov_b32 s17, exec_lo
	v_cmpx_gt_u32_e64 s59, v103
	s_cbranch_execnz .LBB289_935
.LBB289_732:                            ;   in Loop: Header=BB289_722 Depth=2
	s_or_b32 exec_lo, exec_lo, s17
	s_delay_alu instid0(SALU_CYCLE_1)
	s_mov_b32 s17, exec_lo
	v_cmpx_gt_u32_e64 s59, v104
	s_cbranch_execnz .LBB289_936
.LBB289_733:                            ;   in Loop: Header=BB289_722 Depth=2
	s_or_b32 exec_lo, exec_lo, s17
	s_delay_alu instid0(SALU_CYCLE_1)
	s_mov_b32 s17, exec_lo
	v_cmpx_gt_u32_e64 s59, v105
	s_cbranch_execnz .LBB289_937
.LBB289_734:                            ;   in Loop: Header=BB289_722 Depth=2
	s_or_b32 exec_lo, exec_lo, s17
	s_delay_alu instid0(SALU_CYCLE_1)
	s_mov_b32 s17, exec_lo
	v_cmpx_gt_u32_e64 s59, v106
	s_cbranch_execnz .LBB289_938
.LBB289_735:                            ;   in Loop: Header=BB289_722 Depth=2
	s_or_b32 exec_lo, exec_lo, s17
	s_delay_alu instid0(SALU_CYCLE_1)
	s_mov_b32 s17, exec_lo
	v_cmpx_gt_u32_e64 s59, v107
	s_cbranch_execnz .LBB289_939
.LBB289_736:                            ;   in Loop: Header=BB289_722 Depth=2
	s_or_b32 exec_lo, exec_lo, s17
	s_delay_alu instid0(SALU_CYCLE_1)
	s_mov_b32 s17, exec_lo
	v_cmpx_gt_u32_e64 s59, v108
	s_cbranch_execnz .LBB289_940
.LBB289_737:                            ;   in Loop: Header=BB289_722 Depth=2
	s_or_b32 exec_lo, exec_lo, s17
	s_delay_alu instid0(SALU_CYCLE_1)
	s_mov_b32 s17, exec_lo
	v_cmpx_gt_u32_e64 s59, v109
	s_cbranch_execnz .LBB289_941
.LBB289_738:                            ;   in Loop: Header=BB289_722 Depth=2
	s_or_b32 exec_lo, exec_lo, s17
	s_delay_alu instid0(SALU_CYCLE_1)
	s_mov_b32 s17, exec_lo
	v_cmpx_gt_u32_e64 s59, v110
	s_cbranch_execnz .LBB289_942
.LBB289_739:                            ;   in Loop: Header=BB289_722 Depth=2
	s_or_b32 exec_lo, exec_lo, s17
	s_delay_alu instid0(SALU_CYCLE_1)
	s_mov_b32 s17, exec_lo
	v_cmpx_gt_u32_e64 s59, v111
	s_cbranch_execnz .LBB289_943
.LBB289_740:                            ;   in Loop: Header=BB289_722 Depth=2
	s_or_b32 exec_lo, exec_lo, s17
	s_delay_alu instid0(SALU_CYCLE_1)
	s_mov_b32 s17, exec_lo
	v_cmpx_gt_u32_e64 s59, v112
	s_cbranch_execz .LBB289_742
.LBB289_741:                            ;   in Loop: Header=BB289_722 Depth=2
	global_load_u8 v135, v[62:63], off offset:480
.LBB289_742:                            ;   in Loop: Header=BB289_722 Depth=2
	s_wait_xcnt 0x0
	s_or_b32 exec_lo, exec_lo, s17
	v_cmp_gt_u32_e64 s17, s59, v113
	s_sub_co_i32 s18, s54, s34
.LBB289_743:                            ;   in Loop: Header=BB289_722 Depth=2
	v_mov_b32_e32 v137, s59
	s_wait_xcnt 0x0
	s_and_saveexec_b32 s19, s17
	s_cbranch_execz .LBB289_745
; %bb.744:                              ;   in Loop: Header=BB289_722 Depth=2
	v_add_nc_u64_e32 v[62:63], s[34:35], v[24:25]
	v_mov_b32_e32 v137, s18
	global_load_u8 v115, v[62:63], off offset:512
.LBB289_745:                            ;   in Loop: Header=BB289_722 Depth=2
	s_wait_xcnt 0x0
	s_or_b32 exec_lo, exec_lo, s19
	s_wait_loadcnt 0x0
	v_bitop3_b16 v62, v147, s43, 0x7f bitop3:0x48
	ds_store_2addr_b32 v90, v1, v1 offset0:136 offset1:137
	ds_store_2addr_b32 v90, v1, v1 offset0:138 offset1:139
	ds_store_b32 v90, v1 offset:560
	s_wait_dscnt 0x0
	s_barrier_signal -1
	s_barrier_wait -1
	v_and_b32_e32 v62, 0xffff, v62
	; wave barrier
	s_delay_alu instid0(VALU_DEP_1) | instskip(NEXT) | instid1(VALU_DEP_1)
	v_lshrrev_b32_e32 v62, s49, v62
	v_and_b32_e32 v149, s58, v62
	s_delay_alu instid0(VALU_DEP_1) | instskip(SKIP_1) | instid1(VALU_DEP_1)
	v_lshlrev_b32_e32 v146, 30, v149
	v_bitop3_b32 v63, v62, 1, s58 bitop3:0x80
	v_add_co_u32 v62, s17, v63, -1
	s_delay_alu instid0(VALU_DEP_1) | instskip(NEXT) | instid1(VALU_DEP_4)
	v_cndmask_b32_e64 v63, 0, 1, s17
	v_cmp_gt_i32_e64 s17, 0, v146
	s_delay_alu instid0(VALU_DEP_2) | instskip(SKIP_2) | instid1(VALU_DEP_2)
	v_cmp_ne_u32_e32 vcc_lo, 0, v63
	v_not_b32_e32 v63, v146
	v_bitop3_b32 v62, vcc_lo, exec_lo, v62 bitop3:0x48
	v_dual_ashrrev_i32 v63, 31, v63 :: v_dual_lshlrev_b32 v152, 29, v149
	v_dual_lshlrev_b32 v153, 28, v149 :: v_dual_lshlrev_b32 v154, 27, v149
	v_lshlrev_b32_e32 v155, 26, v149
	s_delay_alu instid0(VALU_DEP_3)
	v_not_b32_e32 v146, v152
	v_lshlrev_b32_e32 v156, 25, v149
	v_cmp_gt_i32_e64 s18, 0, v152
	v_cmp_gt_i32_e64 s19, 0, v153
	v_not_b32_e32 v152, v153
	v_not_b32_e32 v153, v154
	v_ashrrev_i32_e32 v146, 31, v146
	v_cmp_gt_i32_e64 s20, 0, v154
	v_cmp_gt_i32_e64 s21, 0, v155
	v_not_b32_e32 v154, v155
	v_not_b32_e32 v155, v156
	v_dual_ashrrev_i32 v152, 31, v152 :: v_dual_ashrrev_i32 v153, 31, v153
	s_delay_alu instid0(VALU_DEP_3) | instskip(NEXT) | instid1(VALU_DEP_3)
	v_dual_ashrrev_i32 v154, 31, v154 :: v_dual_bitop2_b32 v63, s17, v63 bitop3:0x14
	v_dual_ashrrev_i32 v155, 31, v155 :: v_dual_bitop2_b32 v146, s18, v146 bitop3:0x14
	v_cmp_gt_i32_e64 s22, 0, v156
	s_delay_alu instid0(VALU_DEP_4) | instskip(SKIP_1) | instid1(VALU_DEP_4)
	v_xor_b32_e32 v152, s19, v152
	v_xor_b32_e32 v153, s20, v153
	v_bitop3_b32 v62, v62, v146, v63 bitop3:0x80
	v_xor_b32_e32 v63, s21, v154
	v_xor_b32_e32 v146, s22, v155
	s_delay_alu instid0(VALU_DEP_3) | instskip(NEXT) | instid1(VALU_DEP_1)
	v_bitop3_b32 v62, v62, v153, v152 bitop3:0x80
	v_bitop3_b32 v62, v62, v146, v63 bitop3:0x80
	v_mul_u32_u24_e32 v63, 36, v149
	s_delay_alu instid0(VALU_DEP_2) | instskip(SKIP_1) | instid1(VALU_DEP_3)
	v_mbcnt_lo_u32_b32 v146, v62, 0
	v_cmp_ne_u32_e64 s17, 0, v62
	v_add_nc_u32_e32 v149, v114, v63
	s_delay_alu instid0(VALU_DEP_3) | instskip(SKIP_1) | instid1(SALU_CYCLE_1)
	v_cmp_eq_u32_e32 vcc_lo, 0, v146
	s_and_b32 s18, s17, vcc_lo
	s_and_saveexec_b32 s17, s18
; %bb.746:                              ;   in Loop: Header=BB289_722 Depth=2
	v_bcnt_u32_b32 v62, v62, 0
	ds_store_b32 v149, v62 offset:544
; %bb.747:                              ;   in Loop: Header=BB289_722 Depth=2
	s_or_b32 exec_lo, exec_lo, s17
	v_xor_b32_e32 v62, 0x7f, v150
	v_xor_b32_e32 v63, 0x7f, v151
	;; [unrolled: 1-line block ×4, first 2 shown]
	s_delay_alu instid0(VALU_DEP_4) | instskip(NEXT) | instid1(VALU_DEP_4)
	v_lshlrev_b16 v62, 8, v62
	v_lshlrev_b16 v63, 8, v63
	; wave barrier
	s_delay_alu instid0(VALU_DEP_2) | instskip(NEXT) | instid1(VALU_DEP_2)
	v_bitop3_b16 v147, v147, v62, 0xff bitop3:0xec
	v_bitop3_b16 v62, v148, v63, 0xff bitop3:0xec
	s_delay_alu instid0(VALU_DEP_2) | instskip(NEXT) | instid1(VALU_DEP_2)
	v_and_b32_e32 v63, 0xffff, v147
	v_lshlrev_b32_e32 v62, 16, v62
	s_delay_alu instid0(VALU_DEP_1) | instskip(NEXT) | instid1(VALU_DEP_1)
	v_or_b32_e32 v148, v63, v62
	v_bfe_u32 v62, v148, 8, 8
	s_delay_alu instid0(VALU_DEP_1) | instskip(NEXT) | instid1(VALU_DEP_1)
	v_lshrrev_b32_e32 v62, s49, v62
	v_bitop3_b32 v63, v62, 1, s58 bitop3:0x80
	v_and_b32_e32 v152, s58, v62
	s_delay_alu instid0(VALU_DEP_2) | instskip(NEXT) | instid1(VALU_DEP_1)
	v_add_co_u32 v62, s17, v63, -1
	v_cndmask_b32_e64 v63, 0, 1, s17
	s_delay_alu instid0(VALU_DEP_3) | instskip(NEXT) | instid1(VALU_DEP_2)
	v_lshlrev_b32_e32 v150, 30, v152
	v_cmp_ne_u32_e32 vcc_lo, 0, v63
	s_delay_alu instid0(VALU_DEP_2) | instskip(SKIP_2) | instid1(VALU_DEP_3)
	v_not_b32_e32 v63, v150
	v_cmp_gt_i32_e64 s17, 0, v150
	v_bitop3_b32 v62, vcc_lo, exec_lo, v62 bitop3:0x48
	v_dual_ashrrev_i32 v63, 31, v63 :: v_dual_lshlrev_b32 v151, 29, v152
	v_dual_lshlrev_b32 v153, 28, v152 :: v_dual_lshlrev_b32 v154, 27, v152
	v_lshlrev_b32_e32 v155, 26, v152
	s_delay_alu instid0(VALU_DEP_3)
	v_not_b32_e32 v150, v151
	v_lshlrev_b32_e32 v156, 25, v152
	v_cmp_gt_i32_e64 s18, 0, v151
	v_cmp_gt_i32_e64 s19, 0, v153
	v_not_b32_e32 v151, v153
	v_ashrrev_i32_e32 v150, 31, v150
	v_cmp_gt_i32_e64 s20, 0, v154
	v_not_b32_e32 v153, v154
	v_cmp_gt_i32_e64 s21, 0, v155
	v_not_b32_e32 v154, v155
	v_not_b32_e32 v155, v156
	v_xor_b32_e32 v63, s17, v63
	v_dual_ashrrev_i32 v151, 31, v151 :: v_dual_bitop2_b32 v150, s18, v150 bitop3:0x14
	s_delay_alu instid0(VALU_DEP_4) | instskip(NEXT) | instid1(VALU_DEP_4)
	v_dual_ashrrev_i32 v153, 31, v153 :: v_dual_ashrrev_i32 v154, 31, v154
	v_ashrrev_i32_e32 v155, 31, v155
	s_delay_alu instid0(VALU_DEP_3)
	v_bitop3_b32 v62, v62, v150, v63 bitop3:0x80
	v_mad_u32_u24 v63, v152, 36, v114
	v_cmp_gt_i32_e64 s22, 0, v156
	v_xor_b32_e32 v151, s19, v151
	v_xor_b32_e32 v154, s21, v154
	ds_load_b32 v150, v63 offset:544
	v_mul_u32_u24_e32 v63, 36, v152
	v_xor_b32_e32 v153, s20, v153
	v_xor_b32_e32 v155, s22, v155
	; wave barrier
	s_delay_alu instid0(VALU_DEP_3) | instskip(NEXT) | instid1(VALU_DEP_3)
	v_add_nc_u32_e32 v152, v114, v63
	v_bitop3_b32 v62, v62, v153, v151 bitop3:0x80
	s_delay_alu instid0(VALU_DEP_1) | instskip(NEXT) | instid1(VALU_DEP_1)
	v_bitop3_b32 v62, v62, v155, v154 bitop3:0x80
	v_mbcnt_lo_u32_b32 v151, v62, 0
	v_cmp_ne_u32_e64 s17, 0, v62
	s_delay_alu instid0(VALU_DEP_2) | instskip(SKIP_1) | instid1(SALU_CYCLE_1)
	v_cmp_eq_u32_e32 vcc_lo, 0, v151
	s_and_b32 s18, s17, vcc_lo
	s_and_saveexec_b32 s17, s18
	s_cbranch_execz .LBB289_749
; %bb.748:                              ;   in Loop: Header=BB289_722 Depth=2
	s_wait_dscnt 0x0
	v_bcnt_u32_b32 v62, v62, v150
	ds_store_b32 v152, v62 offset:544
.LBB289_749:                            ;   in Loop: Header=BB289_722 Depth=2
	s_or_b32 exec_lo, exec_lo, s17
	v_bfe_u32 v62, v148, 16, 8
	; wave barrier
	s_delay_alu instid0(VALU_DEP_1) | instskip(NEXT) | instid1(VALU_DEP_1)
	v_lshrrev_b32_e32 v62, s49, v62
	v_and_b32_e32 v155, s58, v62
	s_delay_alu instid0(VALU_DEP_1) | instskip(SKIP_1) | instid1(VALU_DEP_1)
	v_lshlrev_b32_e32 v153, 30, v155
	v_bitop3_b32 v63, v62, 1, s58 bitop3:0x80
	v_add_co_u32 v62, s17, v63, -1
	s_delay_alu instid0(VALU_DEP_1) | instskip(NEXT) | instid1(VALU_DEP_4)
	v_cndmask_b32_e64 v63, 0, 1, s17
	v_cmp_gt_i32_e64 s17, 0, v153
	s_delay_alu instid0(VALU_DEP_2) | instskip(SKIP_2) | instid1(VALU_DEP_2)
	v_cmp_ne_u32_e32 vcc_lo, 0, v63
	v_not_b32_e32 v63, v153
	v_bitop3_b32 v62, vcc_lo, exec_lo, v62 bitop3:0x48
	v_ashrrev_i32_e32 v63, 31, v63
	v_dual_lshlrev_b32 v154, 29, v155 :: v_dual_lshlrev_b32 v156, 28, v155
	v_dual_lshlrev_b32 v157, 27, v155 :: v_dual_lshlrev_b32 v158, 26, v155
	s_delay_alu instid0(VALU_DEP_2)
	v_not_b32_e32 v153, v154
	v_lshlrev_b32_e32 v159, 25, v155
	v_cmp_gt_i32_e64 s18, 0, v154
	v_cmp_gt_i32_e64 s19, 0, v156
	v_not_b32_e32 v154, v156
	v_not_b32_e32 v156, v157
	v_ashrrev_i32_e32 v153, 31, v153
	v_cmp_gt_i32_e64 s20, 0, v157
	v_cmp_gt_i32_e64 s21, 0, v158
	v_not_b32_e32 v157, v158
	v_dual_ashrrev_i32 v154, 31, v154 :: v_dual_ashrrev_i32 v156, 31, v156
	v_xor_b32_e32 v63, s17, v63
	v_not_b32_e32 v158, v159
	v_xor_b32_e32 v153, s18, v153
	s_delay_alu instid0(VALU_DEP_4) | instskip(SKIP_2) | instid1(VALU_DEP_4)
	v_dual_ashrrev_i32 v157, 31, v157 :: v_dual_bitop2_b32 v154, s19, v154 bitop3:0x14
	v_xor_b32_e32 v156, s20, v156
	v_cmp_gt_i32_e32 vcc_lo, 0, v159
	v_bitop3_b32 v62, v62, v153, v63 bitop3:0x80
	v_ashrrev_i32_e32 v63, 31, v158
	v_mad_u32_u24 v153, v155, 36, v114
	v_xor_b32_e32 v157, s21, v157
	s_delay_alu instid0(VALU_DEP_4) | instskip(NEXT) | instid1(VALU_DEP_4)
	v_bitop3_b32 v62, v62, v156, v154 bitop3:0x80
	v_xor_b32_e32 v63, vcc_lo, v63
	ds_load_b32 v153, v153 offset:544
	; wave barrier
	v_bitop3_b32 v62, v62, v63, v157 bitop3:0x80
	v_mul_u32_u24_e32 v63, 36, v155
	s_delay_alu instid0(VALU_DEP_2) | instskip(SKIP_1) | instid1(VALU_DEP_3)
	v_mbcnt_lo_u32_b32 v154, v62, 0
	v_cmp_ne_u32_e64 s17, 0, v62
	v_add_nc_u32_e32 v156, v114, v63
	s_delay_alu instid0(VALU_DEP_3) | instskip(SKIP_1) | instid1(SALU_CYCLE_1)
	v_cmp_eq_u32_e32 vcc_lo, 0, v154
	s_and_b32 s18, s17, vcc_lo
	s_and_saveexec_b32 s17, s18
	s_cbranch_execz .LBB289_751
; %bb.750:                              ;   in Loop: Header=BB289_722 Depth=2
	s_wait_dscnt 0x0
	v_bcnt_u32_b32 v62, v62, v153
	ds_store_b32 v156, v62 offset:544
.LBB289_751:                            ;   in Loop: Header=BB289_722 Depth=2
	s_or_b32 exec_lo, exec_lo, s17
	v_lshrrev_b32_e32 v155, 24, v148
	; wave barrier
	s_delay_alu instid0(VALU_DEP_1) | instskip(NEXT) | instid1(VALU_DEP_1)
	v_lshrrev_b32_e32 v62, s49, v155
	v_bitop3_b32 v63, v62, 1, s58 bitop3:0x80
	v_and_b32_e32 v159, s58, v62
	s_delay_alu instid0(VALU_DEP_2) | instskip(NEXT) | instid1(VALU_DEP_1)
	v_add_co_u32 v62, s17, v63, -1
	v_cndmask_b32_e64 v63, 0, 1, s17
	s_delay_alu instid0(VALU_DEP_3) | instskip(SKIP_1) | instid1(VALU_DEP_3)
	v_dual_lshlrev_b32 v157, 30, v159 :: v_dual_lshlrev_b32 v158, 29, v159
	v_dual_lshlrev_b32 v160, 28, v159 :: v_dual_lshlrev_b32 v161, 27, v159
	v_cmp_ne_u32_e32 vcc_lo, 0, v63
	s_delay_alu instid0(VALU_DEP_3)
	v_cmp_gt_i32_e64 s17, 0, v157
	v_not_b32_e32 v63, v157
	v_not_b32_e32 v157, v158
	v_dual_lshlrev_b32 v162, 26, v159 :: v_dual_lshlrev_b32 v163, 25, v159
	v_cmp_gt_i32_e64 s18, 0, v158
	v_cmp_gt_i32_e64 s19, 0, v160
	v_not_b32_e32 v158, v160
	v_not_b32_e32 v160, v161
	v_dual_ashrrev_i32 v63, 31, v63 :: v_dual_ashrrev_i32 v157, 31, v157
	v_cmp_gt_i32_e64 s20, 0, v161
	v_cmp_gt_i32_e64 s21, 0, v162
	v_not_b32_e32 v161, v162
	v_bitop3_b32 v62, vcc_lo, exec_lo, v62 bitop3:0x48
	v_dual_ashrrev_i32 v158, 31, v158 :: v_dual_ashrrev_i32 v160, 31, v160
	v_xor_b32_e32 v63, s17, v63
	v_not_b32_e32 v162, v163
	v_xor_b32_e32 v157, s18, v157
	s_delay_alu instid0(VALU_DEP_4) | instskip(SKIP_2) | instid1(VALU_DEP_4)
	v_dual_ashrrev_i32 v161, 31, v161 :: v_dual_bitop2_b32 v158, s19, v158 bitop3:0x14
	v_xor_b32_e32 v160, s20, v160
	v_cmp_gt_i32_e32 vcc_lo, 0, v163
	v_bitop3_b32 v62, v62, v157, v63 bitop3:0x80
	v_ashrrev_i32_e32 v63, 31, v162
	v_mad_u32_u24 v157, v159, 36, v114
	v_xor_b32_e32 v161, s21, v161
	s_delay_alu instid0(VALU_DEP_4) | instskip(NEXT) | instid1(VALU_DEP_4)
	v_bitop3_b32 v62, v62, v160, v158 bitop3:0x80
	v_xor_b32_e32 v63, vcc_lo, v63
	ds_load_b32 v157, v157 offset:544
	; wave barrier
	v_bitop3_b32 v62, v62, v63, v161 bitop3:0x80
	v_mul_u32_u24_e32 v63, 36, v159
	s_delay_alu instid0(VALU_DEP_2) | instskip(SKIP_1) | instid1(VALU_DEP_3)
	v_mbcnt_lo_u32_b32 v158, v62, 0
	v_cmp_ne_u32_e64 s17, 0, v62
	v_add_nc_u32_e32 v159, v114, v63
	s_delay_alu instid0(VALU_DEP_3) | instskip(SKIP_1) | instid1(SALU_CYCLE_1)
	v_cmp_eq_u32_e32 vcc_lo, 0, v158
	s_and_b32 s18, s17, vcc_lo
	s_and_saveexec_b32 s17, s18
	s_cbranch_execz .LBB289_753
; %bb.752:                              ;   in Loop: Header=BB289_722 Depth=2
	s_wait_dscnt 0x0
	v_bcnt_u32_b32 v62, v62, v157
	ds_store_b32 v159, v62 offset:544
.LBB289_753:                            ;   in Loop: Header=BB289_722 Depth=2
	s_or_b32 exec_lo, exec_lo, s17
	v_bitop3_b16 v62, v142, s43, 0x7f bitop3:0x48
	; wave barrier
	s_delay_alu instid0(VALU_DEP_1) | instskip(NEXT) | instid1(VALU_DEP_1)
	v_and_b32_e32 v62, 0xffff, v62
	v_lshrrev_b32_e32 v62, s49, v62
	s_delay_alu instid0(VALU_DEP_1) | instskip(SKIP_1) | instid1(VALU_DEP_2)
	v_bitop3_b32 v63, v62, 1, s58 bitop3:0x80
	v_and_b32_e32 v162, s58, v62
	v_add_co_u32 v62, s17, v63, -1
	s_delay_alu instid0(VALU_DEP_1) | instskip(NEXT) | instid1(VALU_DEP_3)
	v_cndmask_b32_e64 v63, 0, 1, s17
	v_dual_lshlrev_b32 v160, 30, v162 :: v_dual_lshlrev_b32 v161, 29, v162
	s_delay_alu instid0(VALU_DEP_2) | instskip(NEXT) | instid1(VALU_DEP_2)
	v_cmp_ne_u32_e32 vcc_lo, 0, v63
	v_cmp_gt_i32_e64 s17, 0, v160
	v_not_b32_e32 v63, v160
	s_delay_alu instid0(VALU_DEP_4) | instskip(SKIP_2) | instid1(VALU_DEP_3)
	v_not_b32_e32 v160, v161
	v_cmp_gt_i32_e64 s18, 0, v161
	v_bitop3_b32 v62, vcc_lo, exec_lo, v62 bitop3:0x48
	v_dual_ashrrev_i32 v63, 31, v63 :: v_dual_ashrrev_i32 v160, 31, v160
	v_dual_lshlrev_b32 v163, 28, v162 :: v_dual_lshlrev_b32 v164, 27, v162
	v_dual_lshlrev_b32 v165, 26, v162 :: v_dual_lshlrev_b32 v166, 25, v162
	s_delay_alu instid0(VALU_DEP_2) | instskip(SKIP_1) | instid1(VALU_DEP_4)
	v_cmp_gt_i32_e64 s19, 0, v163
	v_not_b32_e32 v161, v163
	v_cmp_gt_i32_e64 s20, 0, v164
	v_not_b32_e32 v163, v164
	;; [unrolled: 2-line block ×3, first 2 shown]
	v_not_b32_e32 v165, v166
	v_xor_b32_e32 v63, s17, v63
	v_dual_ashrrev_i32 v161, 31, v161 :: v_dual_bitop2_b32 v160, s18, v160 bitop3:0x14
	s_delay_alu instid0(VALU_DEP_4) | instskip(NEXT) | instid1(VALU_DEP_4)
	v_dual_ashrrev_i32 v163, 31, v163 :: v_dual_ashrrev_i32 v164, 31, v164
	v_ashrrev_i32_e32 v165, 31, v165
	s_delay_alu instid0(VALU_DEP_3)
	v_bitop3_b32 v62, v62, v160, v63 bitop3:0x80
	v_mad_u32_u24 v63, v162, 36, v114
	v_cmp_gt_i32_e64 s22, 0, v166
	v_xor_b32_e32 v163, s20, v163
	v_xor_b32_e32 v164, s21, v164
	ds_load_b32 v160, v63 offset:544
	v_mul_u32_u24_e32 v63, 36, v162
	v_xor_b32_e32 v161, s19, v161
	v_xor_b32_e32 v165, s22, v165
	; wave barrier
	s_delay_alu instid0(VALU_DEP_3) | instskip(NEXT) | instid1(VALU_DEP_3)
	v_add_nc_u32_e32 v162, v114, v63
	v_bitop3_b32 v62, v62, v163, v161 bitop3:0x80
	s_delay_alu instid0(VALU_DEP_1) | instskip(NEXT) | instid1(VALU_DEP_1)
	v_bitop3_b32 v62, v62, v165, v164 bitop3:0x80
	v_mbcnt_lo_u32_b32 v161, v62, 0
	v_cmp_ne_u32_e64 s17, 0, v62
	s_delay_alu instid0(VALU_DEP_2) | instskip(SKIP_1) | instid1(SALU_CYCLE_1)
	v_cmp_eq_u32_e32 vcc_lo, 0, v161
	s_and_b32 s18, s17, vcc_lo
	s_and_saveexec_b32 s17, s18
	s_cbranch_execz .LBB289_755
; %bb.754:                              ;   in Loop: Header=BB289_722 Depth=2
	s_wait_dscnt 0x0
	v_bcnt_u32_b32 v62, v62, v160
	ds_store_b32 v162, v62 offset:544
.LBB289_755:                            ;   in Loop: Header=BB289_722 Depth=2
	s_or_b32 exec_lo, exec_lo, s17
	v_xor_b32_e32 v62, 0x7f, v145
	v_xor_b32_e32 v63, 0x7f, v144
	;; [unrolled: 1-line block ×4, first 2 shown]
	s_delay_alu instid0(VALU_DEP_4) | instskip(NEXT) | instid1(VALU_DEP_4)
	v_lshlrev_b16 v62, 8, v62
	v_lshlrev_b16 v63, 8, v63
	; wave barrier
	s_delay_alu instid0(VALU_DEP_2) | instskip(NEXT) | instid1(VALU_DEP_2)
	v_bitop3_b16 v142, v142, v62, 0xff bitop3:0xec
	v_bitop3_b16 v62, v143, v63, 0xff bitop3:0xec
	s_delay_alu instid0(VALU_DEP_2) | instskip(NEXT) | instid1(VALU_DEP_2)
	v_and_b32_e32 v63, 0xffff, v142
	v_lshlrev_b32_e32 v62, 16, v62
	s_delay_alu instid0(VALU_DEP_1) | instskip(NEXT) | instid1(VALU_DEP_1)
	v_or_b32_e32 v143, v63, v62
	v_bfe_u32 v62, v143, 8, 8
	s_delay_alu instid0(VALU_DEP_1) | instskip(NEXT) | instid1(VALU_DEP_1)
	v_lshrrev_b32_e32 v62, s49, v62
	v_bitop3_b32 v63, v62, 1, s58 bitop3:0x80
	v_and_b32_e32 v163, s58, v62
	s_delay_alu instid0(VALU_DEP_2) | instskip(NEXT) | instid1(VALU_DEP_1)
	v_add_co_u32 v62, s17, v63, -1
	v_cndmask_b32_e64 v63, 0, 1, s17
	s_delay_alu instid0(VALU_DEP_3) | instskip(NEXT) | instid1(VALU_DEP_2)
	v_lshlrev_b32_e32 v144, 30, v163
	v_cmp_ne_u32_e32 vcc_lo, 0, v63
	s_delay_alu instid0(VALU_DEP_2) | instskip(SKIP_2) | instid1(VALU_DEP_3)
	v_not_b32_e32 v63, v144
	v_cmp_gt_i32_e64 s17, 0, v144
	v_bitop3_b32 v62, vcc_lo, exec_lo, v62 bitop3:0x48
	v_ashrrev_i32_e32 v63, 31, v63
	v_dual_lshlrev_b32 v145, 29, v163 :: v_dual_lshlrev_b32 v164, 28, v163
	v_dual_lshlrev_b32 v165, 27, v163 :: v_dual_lshlrev_b32 v166, 26, v163
	s_delay_alu instid0(VALU_DEP_2)
	v_not_b32_e32 v144, v145
	v_lshlrev_b32_e32 v167, 25, v163
	v_cmp_gt_i32_e64 s18, 0, v145
	v_cmp_gt_i32_e64 s19, 0, v164
	v_not_b32_e32 v145, v164
	v_ashrrev_i32_e32 v144, 31, v144
	v_cmp_gt_i32_e64 s20, 0, v165
	v_not_b32_e32 v164, v165
	v_cmp_gt_i32_e64 s21, 0, v166
	v_not_b32_e32 v165, v166
	v_not_b32_e32 v166, v167
	v_xor_b32_e32 v63, s17, v63
	v_dual_ashrrev_i32 v145, 31, v145 :: v_dual_bitop2_b32 v144, s18, v144 bitop3:0x14
	s_delay_alu instid0(VALU_DEP_4) | instskip(NEXT) | instid1(VALU_DEP_4)
	v_dual_ashrrev_i32 v164, 31, v164 :: v_dual_ashrrev_i32 v165, 31, v165
	v_ashrrev_i32_e32 v166, 31, v166
	s_delay_alu instid0(VALU_DEP_3)
	v_bitop3_b32 v62, v62, v144, v63 bitop3:0x80
	v_mad_u32_u24 v63, v163, 36, v114
	v_cmp_gt_i32_e64 s22, 0, v167
	v_xor_b32_e32 v164, s20, v164
	v_xor_b32_e32 v165, s21, v165
	ds_load_b32 v144, v63 offset:544
	v_mul_u32_u24_e32 v63, 36, v163
	v_xor_b32_e32 v145, s19, v145
	v_xor_b32_e32 v166, s22, v166
	; wave barrier
	s_delay_alu instid0(VALU_DEP_3) | instskip(NEXT) | instid1(VALU_DEP_3)
	v_add_nc_u32_e32 v163, v114, v63
	v_bitop3_b32 v62, v62, v164, v145 bitop3:0x80
	s_delay_alu instid0(VALU_DEP_1) | instskip(NEXT) | instid1(VALU_DEP_1)
	v_bitop3_b32 v62, v62, v166, v165 bitop3:0x80
	v_mbcnt_lo_u32_b32 v145, v62, 0
	v_cmp_ne_u32_e64 s17, 0, v62
	s_delay_alu instid0(VALU_DEP_2) | instskip(SKIP_1) | instid1(SALU_CYCLE_1)
	v_cmp_eq_u32_e32 vcc_lo, 0, v145
	s_and_b32 s18, s17, vcc_lo
	s_and_saveexec_b32 s17, s18
	s_cbranch_execz .LBB289_757
; %bb.756:                              ;   in Loop: Header=BB289_722 Depth=2
	s_wait_dscnt 0x0
	v_bcnt_u32_b32 v62, v62, v144
	ds_store_b32 v163, v62 offset:544
.LBB289_757:                            ;   in Loop: Header=BB289_722 Depth=2
	s_or_b32 exec_lo, exec_lo, s17
	v_bfe_u32 v62, v143, 16, 8
	; wave barrier
	s_delay_alu instid0(VALU_DEP_1) | instskip(NEXT) | instid1(VALU_DEP_1)
	v_lshrrev_b32_e32 v62, s49, v62
	v_bitop3_b32 v63, v62, 1, s58 bitop3:0x80
	v_and_b32_e32 v166, s58, v62
	s_delay_alu instid0(VALU_DEP_2) | instskip(NEXT) | instid1(VALU_DEP_1)
	v_add_co_u32 v62, s17, v63, -1
	v_cndmask_b32_e64 v63, 0, 1, s17
	s_delay_alu instid0(VALU_DEP_3) | instskip(NEXT) | instid1(VALU_DEP_2)
	v_dual_lshlrev_b32 v164, 30, v166 :: v_dual_lshlrev_b32 v165, 29, v166
	v_cmp_ne_u32_e32 vcc_lo, 0, v63
	s_delay_alu instid0(VALU_DEP_2) | instskip(SKIP_1) | instid1(VALU_DEP_4)
	v_cmp_gt_i32_e64 s17, 0, v164
	v_not_b32_e32 v63, v164
	v_not_b32_e32 v164, v165
	v_cmp_gt_i32_e64 s18, 0, v165
	v_bitop3_b32 v62, vcc_lo, exec_lo, v62 bitop3:0x48
	s_delay_alu instid0(VALU_DEP_3) | instskip(SKIP_2) | instid1(VALU_DEP_2)
	v_dual_ashrrev_i32 v63, 31, v63 :: v_dual_ashrrev_i32 v164, 31, v164
	v_dual_lshlrev_b32 v167, 28, v166 :: v_dual_lshlrev_b32 v168, 27, v166
	v_dual_lshlrev_b32 v169, 26, v166 :: v_dual_lshlrev_b32 v170, 25, v166
	v_cmp_gt_i32_e64 s19, 0, v167
	v_not_b32_e32 v165, v167
	s_delay_alu instid0(VALU_DEP_4) | instskip(SKIP_3) | instid1(VALU_DEP_4)
	v_not_b32_e32 v167, v168
	v_cmp_gt_i32_e64 s20, 0, v168
	v_cmp_gt_i32_e64 s21, 0, v169
	v_not_b32_e32 v168, v169
	v_dual_ashrrev_i32 v165, 31, v165 :: v_dual_ashrrev_i32 v167, 31, v167
	v_xor_b32_e32 v63, s17, v63
	v_not_b32_e32 v169, v170
	v_xor_b32_e32 v164, s18, v164
	s_delay_alu instid0(VALU_DEP_4) | instskip(SKIP_2) | instid1(VALU_DEP_4)
	v_dual_ashrrev_i32 v168, 31, v168 :: v_dual_bitop2_b32 v165, s19, v165 bitop3:0x14
	v_xor_b32_e32 v167, s20, v167
	v_cmp_gt_i32_e32 vcc_lo, 0, v170
	v_bitop3_b32 v62, v62, v164, v63 bitop3:0x80
	v_ashrrev_i32_e32 v63, 31, v169
	v_mad_u32_u24 v164, v166, 36, v114
	v_xor_b32_e32 v168, s21, v168
	s_delay_alu instid0(VALU_DEP_4) | instskip(NEXT) | instid1(VALU_DEP_4)
	v_bitop3_b32 v62, v62, v167, v165 bitop3:0x80
	v_xor_b32_e32 v63, vcc_lo, v63
	ds_load_b32 v164, v164 offset:544
	; wave barrier
	v_bitop3_b32 v62, v62, v63, v168 bitop3:0x80
	v_mul_u32_u24_e32 v63, 36, v166
	s_delay_alu instid0(VALU_DEP_2) | instskip(SKIP_1) | instid1(VALU_DEP_3)
	v_mbcnt_lo_u32_b32 v165, v62, 0
	v_cmp_ne_u32_e64 s17, 0, v62
	v_add_nc_u32_e32 v167, v114, v63
	s_delay_alu instid0(VALU_DEP_3) | instskip(SKIP_1) | instid1(SALU_CYCLE_1)
	v_cmp_eq_u32_e32 vcc_lo, 0, v165
	s_and_b32 s18, s17, vcc_lo
	s_and_saveexec_b32 s17, s18
	s_cbranch_execz .LBB289_759
; %bb.758:                              ;   in Loop: Header=BB289_722 Depth=2
	s_wait_dscnt 0x0
	v_bcnt_u32_b32 v62, v62, v164
	ds_store_b32 v167, v62 offset:544
.LBB289_759:                            ;   in Loop: Header=BB289_722 Depth=2
	s_or_b32 exec_lo, exec_lo, s17
	v_lshrrev_b32_e32 v166, 24, v143
	; wave barrier
	s_delay_alu instid0(VALU_DEP_1) | instskip(NEXT) | instid1(VALU_DEP_1)
	v_lshrrev_b32_e32 v62, s49, v166
	v_bitop3_b32 v63, v62, 1, s58 bitop3:0x80
	v_and_b32_e32 v170, s58, v62
	s_delay_alu instid0(VALU_DEP_2) | instskip(NEXT) | instid1(VALU_DEP_1)
	v_add_co_u32 v62, s17, v63, -1
	v_cndmask_b32_e64 v63, 0, 1, s17
	s_delay_alu instid0(VALU_DEP_3) | instskip(SKIP_1) | instid1(VALU_DEP_3)
	v_dual_lshlrev_b32 v168, 30, v170 :: v_dual_lshlrev_b32 v169, 29, v170
	v_dual_lshlrev_b32 v171, 28, v170 :: v_dual_lshlrev_b32 v172, 27, v170
	v_cmp_ne_u32_e32 vcc_lo, 0, v63
	s_delay_alu instid0(VALU_DEP_3)
	v_cmp_gt_i32_e64 s17, 0, v168
	v_not_b32_e32 v63, v168
	v_not_b32_e32 v168, v169
	v_dual_lshlrev_b32 v173, 26, v170 :: v_dual_lshlrev_b32 v174, 25, v170
	v_cmp_gt_i32_e64 s18, 0, v169
	v_cmp_gt_i32_e64 s19, 0, v171
	v_not_b32_e32 v169, v171
	v_not_b32_e32 v171, v172
	v_dual_ashrrev_i32 v63, 31, v63 :: v_dual_ashrrev_i32 v168, 31, v168
	v_cmp_gt_i32_e64 s20, 0, v172
	v_cmp_gt_i32_e64 s21, 0, v173
	v_not_b32_e32 v172, v173
	v_bitop3_b32 v62, vcc_lo, exec_lo, v62 bitop3:0x48
	v_dual_ashrrev_i32 v169, 31, v169 :: v_dual_ashrrev_i32 v171, 31, v171
	v_xor_b32_e32 v168, s18, v168
	s_delay_alu instid0(VALU_DEP_4) | instskip(SKIP_1) | instid1(VALU_DEP_4)
	v_dual_ashrrev_i32 v172, 31, v172 :: v_dual_bitop2_b32 v63, s17, v63 bitop3:0x14
	v_not_b32_e32 v173, v174
	v_xor_b32_e32 v169, s19, v169
	v_xor_b32_e32 v171, s20, v171
	s_delay_alu instid0(VALU_DEP_4)
	v_bitop3_b32 v62, v62, v168, v63 bitop3:0x80
	v_cmp_gt_i32_e32 vcc_lo, 0, v174
	v_ashrrev_i32_e32 v63, 31, v173
	v_mad_u32_u24 v168, v170, 36, v114
	v_xor_b32_e32 v172, s21, v172
	v_bitop3_b32 v62, v62, v171, v169 bitop3:0x80
	s_delay_alu instid0(VALU_DEP_4) | instskip(SKIP_3) | instid1(VALU_DEP_2)
	v_xor_b32_e32 v63, vcc_lo, v63
	ds_load_b32 v168, v168 offset:544
	; wave barrier
	v_bitop3_b32 v62, v62, v63, v172 bitop3:0x80
	v_mul_u32_u24_e32 v63, 36, v170
	v_mbcnt_lo_u32_b32 v169, v62, 0
	v_cmp_ne_u32_e64 s17, 0, v62
	s_delay_alu instid0(VALU_DEP_3) | instskip(NEXT) | instid1(VALU_DEP_3)
	v_add_nc_u32_e32 v170, v114, v63
	v_cmp_eq_u32_e32 vcc_lo, 0, v169
	s_and_b32 s18, s17, vcc_lo
	s_delay_alu instid0(SALU_CYCLE_1)
	s_and_saveexec_b32 s17, s18
	s_cbranch_execz .LBB289_761
; %bb.760:                              ;   in Loop: Header=BB289_722 Depth=2
	s_wait_dscnt 0x0
	v_bcnt_u32_b32 v62, v62, v168
	ds_store_b32 v170, v62 offset:544
.LBB289_761:                            ;   in Loop: Header=BB289_722 Depth=2
	s_or_b32 exec_lo, exec_lo, s17
	v_bitop3_b16 v62, v138, s43, 0x7f bitop3:0x48
	; wave barrier
	s_delay_alu instid0(VALU_DEP_1) | instskip(NEXT) | instid1(VALU_DEP_1)
	v_and_b32_e32 v62, 0xffff, v62
	v_lshrrev_b32_e32 v62, s49, v62
	s_delay_alu instid0(VALU_DEP_1) | instskip(NEXT) | instid1(VALU_DEP_1)
	v_and_b32_e32 v173, s58, v62
	v_lshlrev_b32_e32 v171, 30, v173
	v_bitop3_b32 v63, v62, 1, s58 bitop3:0x80
	s_delay_alu instid0(VALU_DEP_1) | instskip(NEXT) | instid1(VALU_DEP_1)
	v_add_co_u32 v62, s17, v63, -1
	v_cndmask_b32_e64 v63, 0, 1, s17
	s_delay_alu instid0(VALU_DEP_4) | instskip(NEXT) | instid1(VALU_DEP_2)
	v_cmp_gt_i32_e64 s17, 0, v171
	v_cmp_ne_u32_e32 vcc_lo, 0, v63
	v_not_b32_e32 v63, v171
	v_bitop3_b32 v62, vcc_lo, exec_lo, v62 bitop3:0x48
	s_delay_alu instid0(VALU_DEP_2) | instskip(SKIP_2) | instid1(VALU_DEP_3)
	v_dual_ashrrev_i32 v63, 31, v63 :: v_dual_lshlrev_b32 v172, 29, v173
	v_dual_lshlrev_b32 v174, 28, v173 :: v_dual_lshlrev_b32 v175, 27, v173
	v_lshlrev_b32_e32 v176, 26, v173
	v_not_b32_e32 v171, v172
	v_lshlrev_b32_e32 v177, 25, v173
	v_cmp_gt_i32_e64 s18, 0, v172
	v_cmp_gt_i32_e64 s19, 0, v174
	v_not_b32_e32 v172, v174
	v_ashrrev_i32_e32 v171, 31, v171
	v_cmp_gt_i32_e64 s20, 0, v175
	v_not_b32_e32 v174, v175
	v_cmp_gt_i32_e64 s21, 0, v176
	v_not_b32_e32 v175, v176
	v_not_b32_e32 v176, v177
	v_xor_b32_e32 v63, s17, v63
	v_dual_ashrrev_i32 v172, 31, v172 :: v_dual_bitop2_b32 v171, s18, v171 bitop3:0x14
	s_delay_alu instid0(VALU_DEP_3) | instskip(SKIP_1) | instid1(VALU_DEP_3)
	v_dual_ashrrev_i32 v174, 31, v174 :: v_dual_ashrrev_i32 v176, 31, v176
	v_cmp_gt_i32_e64 s22, 0, v177
	v_bitop3_b32 v62, v62, v171, v63 bitop3:0x80
	v_mad_u32_u24 v63, v173, 36, v114
	v_dual_ashrrev_i32 v175, 31, v175 :: v_dual_bitop2_b32 v172, s19, v172 bitop3:0x14
	s_delay_alu instid0(VALU_DEP_4) | instskip(SKIP_4) | instid1(VALU_DEP_3)
	v_xor_b32_e32 v176, s22, v176
	ds_load_b32 v171, v63 offset:544
	v_mul_u32_u24_e32 v63, 36, v173
	v_xor_b32_e32 v174, s20, v174
	v_xor_b32_e32 v175, s21, v175
	; wave barrier
	v_add_nc_u32_e32 v173, v114, v63
	s_delay_alu instid0(VALU_DEP_3) | instskip(NEXT) | instid1(VALU_DEP_1)
	v_bitop3_b32 v62, v62, v174, v172 bitop3:0x80
	v_bitop3_b32 v62, v62, v176, v175 bitop3:0x80
	s_delay_alu instid0(VALU_DEP_1) | instskip(SKIP_1) | instid1(VALU_DEP_2)
	v_mbcnt_lo_u32_b32 v172, v62, 0
	v_cmp_ne_u32_e64 s17, 0, v62
	v_cmp_eq_u32_e32 vcc_lo, 0, v172
	s_and_b32 s18, s17, vcc_lo
	s_delay_alu instid0(SALU_CYCLE_1)
	s_and_saveexec_b32 s17, s18
	s_cbranch_execz .LBB289_763
; %bb.762:                              ;   in Loop: Header=BB289_722 Depth=2
	s_wait_dscnt 0x0
	v_bcnt_u32_b32 v62, v62, v171
	ds_store_b32 v173, v62 offset:544
.LBB289_763:                            ;   in Loop: Header=BB289_722 Depth=2
	s_or_b32 exec_lo, exec_lo, s17
	v_xor_b32_e32 v62, 0x7f, v141
	v_xor_b32_e32 v63, 0x7f, v140
	;; [unrolled: 1-line block ×4, first 2 shown]
	s_delay_alu instid0(VALU_DEP_4) | instskip(NEXT) | instid1(VALU_DEP_4)
	v_lshlrev_b16 v62, 8, v62
	v_lshlrev_b16 v63, 8, v63
	; wave barrier
	s_delay_alu instid0(VALU_DEP_2) | instskip(NEXT) | instid1(VALU_DEP_2)
	v_bitop3_b16 v138, v138, v62, 0xff bitop3:0xec
	v_bitop3_b16 v62, v139, v63, 0xff bitop3:0xec
	s_delay_alu instid0(VALU_DEP_2) | instskip(NEXT) | instid1(VALU_DEP_2)
	v_and_b32_e32 v63, 0xffff, v138
	v_lshlrev_b32_e32 v62, 16, v62
	s_delay_alu instid0(VALU_DEP_1) | instskip(NEXT) | instid1(VALU_DEP_1)
	v_or_b32_e32 v139, v63, v62
	v_bfe_u32 v62, v139, 8, 8
	s_delay_alu instid0(VALU_DEP_1) | instskip(NEXT) | instid1(VALU_DEP_1)
	v_lshrrev_b32_e32 v62, s49, v62
	v_bitop3_b32 v63, v62, 1, s58 bitop3:0x80
	v_and_b32_e32 v174, s58, v62
	s_delay_alu instid0(VALU_DEP_2) | instskip(NEXT) | instid1(VALU_DEP_1)
	v_add_co_u32 v62, s17, v63, -1
	v_cndmask_b32_e64 v63, 0, 1, s17
	s_delay_alu instid0(VALU_DEP_3) | instskip(NEXT) | instid1(VALU_DEP_2)
	v_dual_lshlrev_b32 v140, 30, v174 :: v_dual_lshlrev_b32 v141, 29, v174
	v_cmp_ne_u32_e32 vcc_lo, 0, v63
	s_delay_alu instid0(VALU_DEP_2) | instskip(SKIP_1) | instid1(VALU_DEP_4)
	v_cmp_gt_i32_e64 s17, 0, v140
	v_not_b32_e32 v63, v140
	v_not_b32_e32 v140, v141
	v_cmp_gt_i32_e64 s18, 0, v141
	v_bitop3_b32 v62, vcc_lo, exec_lo, v62 bitop3:0x48
	s_delay_alu instid0(VALU_DEP_3) | instskip(SKIP_2) | instid1(VALU_DEP_2)
	v_dual_ashrrev_i32 v63, 31, v63 :: v_dual_ashrrev_i32 v140, 31, v140
	v_dual_lshlrev_b32 v175, 28, v174 :: v_dual_lshlrev_b32 v176, 27, v174
	v_dual_lshlrev_b32 v177, 26, v174 :: v_dual_lshlrev_b32 v178, 25, v174
	v_cmp_gt_i32_e64 s19, 0, v175
	v_not_b32_e32 v141, v175
	s_delay_alu instid0(VALU_DEP_4)
	v_cmp_gt_i32_e64 s20, 0, v176
	v_not_b32_e32 v175, v176
	v_cmp_gt_i32_e64 s21, 0, v177
	v_not_b32_e32 v176, v177
	v_not_b32_e32 v177, v178
	v_xor_b32_e32 v63, s17, v63
	v_dual_ashrrev_i32 v141, 31, v141 :: v_dual_bitop2_b32 v140, s18, v140 bitop3:0x14
	s_delay_alu instid0(VALU_DEP_4) | instskip(NEXT) | instid1(VALU_DEP_4)
	v_dual_ashrrev_i32 v175, 31, v175 :: v_dual_ashrrev_i32 v176, 31, v176
	v_ashrrev_i32_e32 v177, 31, v177
	s_delay_alu instid0(VALU_DEP_3)
	v_bitop3_b32 v62, v62, v140, v63 bitop3:0x80
	v_mad_u32_u24 v63, v174, 36, v114
	v_cmp_gt_i32_e64 s22, 0, v178
	v_xor_b32_e32 v175, s20, v175
	v_xor_b32_e32 v176, s21, v176
	ds_load_b32 v140, v63 offset:544
	v_mul_u32_u24_e32 v63, 36, v174
	v_xor_b32_e32 v141, s19, v141
	v_xor_b32_e32 v177, s22, v177
	; wave barrier
	s_delay_alu instid0(VALU_DEP_3) | instskip(NEXT) | instid1(VALU_DEP_3)
	v_add_nc_u32_e32 v174, v114, v63
	v_bitop3_b32 v62, v62, v175, v141 bitop3:0x80
	s_delay_alu instid0(VALU_DEP_1) | instskip(NEXT) | instid1(VALU_DEP_1)
	v_bitop3_b32 v62, v62, v177, v176 bitop3:0x80
	v_mbcnt_lo_u32_b32 v141, v62, 0
	v_cmp_ne_u32_e64 s17, 0, v62
	s_delay_alu instid0(VALU_DEP_2) | instskip(SKIP_1) | instid1(SALU_CYCLE_1)
	v_cmp_eq_u32_e32 vcc_lo, 0, v141
	s_and_b32 s18, s17, vcc_lo
	s_and_saveexec_b32 s17, s18
	s_cbranch_execz .LBB289_765
; %bb.764:                              ;   in Loop: Header=BB289_722 Depth=2
	s_wait_dscnt 0x0
	v_bcnt_u32_b32 v62, v62, v140
	ds_store_b32 v174, v62 offset:544
.LBB289_765:                            ;   in Loop: Header=BB289_722 Depth=2
	s_or_b32 exec_lo, exec_lo, s17
	v_bfe_u32 v62, v139, 16, 8
	; wave barrier
	s_delay_alu instid0(VALU_DEP_1) | instskip(NEXT) | instid1(VALU_DEP_1)
	v_lshrrev_b32_e32 v62, s49, v62
	v_and_b32_e32 v177, s58, v62
	s_delay_alu instid0(VALU_DEP_1) | instskip(SKIP_1) | instid1(VALU_DEP_1)
	v_lshlrev_b32_e32 v175, 30, v177
	v_bitop3_b32 v63, v62, 1, s58 bitop3:0x80
	v_add_co_u32 v62, s17, v63, -1
	s_delay_alu instid0(VALU_DEP_1) | instskip(NEXT) | instid1(VALU_DEP_4)
	v_cndmask_b32_e64 v63, 0, 1, s17
	v_cmp_gt_i32_e64 s17, 0, v175
	s_delay_alu instid0(VALU_DEP_2) | instskip(SKIP_2) | instid1(VALU_DEP_2)
	v_cmp_ne_u32_e32 vcc_lo, 0, v63
	v_not_b32_e32 v63, v175
	v_bitop3_b32 v62, vcc_lo, exec_lo, v62 bitop3:0x48
	v_dual_ashrrev_i32 v63, 31, v63 :: v_dual_lshlrev_b32 v176, 29, v177
	v_dual_lshlrev_b32 v178, 28, v177 :: v_dual_lshlrev_b32 v179, 27, v177
	s_delay_alu instid0(VALU_DEP_2) | instskip(NEXT) | instid1(VALU_DEP_3)
	v_dual_lshlrev_b32 v180, 26, v177 :: v_dual_bitop2_b32 v63, s17, v63 bitop3:0x14
	v_not_b32_e32 v175, v176
	v_lshlrev_b32_e32 v181, 25, v177
	v_cmp_gt_i32_e64 s18, 0, v176
	v_cmp_gt_i32_e64 s19, 0, v178
	v_not_b32_e32 v176, v178
	v_not_b32_e32 v178, v179
	v_ashrrev_i32_e32 v175, 31, v175
	v_cmp_gt_i32_e64 s20, 0, v179
	v_cmp_gt_i32_e64 s21, 0, v180
	v_not_b32_e32 v179, v180
	v_dual_ashrrev_i32 v176, 31, v176 :: v_dual_ashrrev_i32 v178, 31, v178
	v_not_b32_e32 v180, v181
	v_xor_b32_e32 v175, s18, v175
	s_delay_alu instid0(VALU_DEP_3) | instskip(NEXT) | instid1(VALU_DEP_4)
	v_dual_ashrrev_i32 v179, 31, v179 :: v_dual_bitop2_b32 v176, s19, v176 bitop3:0x14
	v_xor_b32_e32 v178, s20, v178
	v_cmp_gt_i32_e32 vcc_lo, 0, v181
	s_delay_alu instid0(VALU_DEP_4) | instskip(SKIP_3) | instid1(VALU_DEP_4)
	v_bitop3_b32 v62, v62, v175, v63 bitop3:0x80
	v_ashrrev_i32_e32 v63, 31, v180
	v_mad_u32_u24 v175, v177, 36, v114
	v_xor_b32_e32 v179, s21, v179
	v_bitop3_b32 v62, v62, v178, v176 bitop3:0x80
	s_delay_alu instid0(VALU_DEP_4) | instskip(SKIP_3) | instid1(VALU_DEP_2)
	v_xor_b32_e32 v63, vcc_lo, v63
	ds_load_b32 v175, v175 offset:544
	; wave barrier
	v_bitop3_b32 v62, v62, v63, v179 bitop3:0x80
	v_mul_u32_u24_e32 v63, 36, v177
	v_mbcnt_lo_u32_b32 v176, v62, 0
	v_cmp_ne_u32_e64 s17, 0, v62
	s_delay_alu instid0(VALU_DEP_3) | instskip(NEXT) | instid1(VALU_DEP_3)
	v_add_nc_u32_e32 v178, v114, v63
	v_cmp_eq_u32_e32 vcc_lo, 0, v176
	s_and_b32 s18, s17, vcc_lo
	s_delay_alu instid0(SALU_CYCLE_1)
	s_and_saveexec_b32 s17, s18
	s_cbranch_execz .LBB289_767
; %bb.766:                              ;   in Loop: Header=BB289_722 Depth=2
	s_wait_dscnt 0x0
	v_bcnt_u32_b32 v62, v62, v175
	ds_store_b32 v178, v62 offset:544
.LBB289_767:                            ;   in Loop: Header=BB289_722 Depth=2
	s_or_b32 exec_lo, exec_lo, s17
	v_lshrrev_b32_e32 v177, 24, v139
	; wave barrier
	s_delay_alu instid0(VALU_DEP_1) | instskip(NEXT) | instid1(VALU_DEP_1)
	v_lshrrev_b32_e32 v62, s49, v177
	v_bitop3_b32 v63, v62, 1, s58 bitop3:0x80
	v_and_b32_e32 v181, s58, v62
	s_delay_alu instid0(VALU_DEP_2) | instskip(NEXT) | instid1(VALU_DEP_1)
	v_add_co_u32 v62, s17, v63, -1
	v_cndmask_b32_e64 v63, 0, 1, s17
	s_delay_alu instid0(VALU_DEP_3) | instskip(SKIP_1) | instid1(VALU_DEP_3)
	v_dual_lshlrev_b32 v179, 30, v181 :: v_dual_lshlrev_b32 v180, 29, v181
	v_dual_lshlrev_b32 v182, 28, v181 :: v_dual_lshlrev_b32 v183, 27, v181
	v_cmp_ne_u32_e32 vcc_lo, 0, v63
	s_delay_alu instid0(VALU_DEP_3)
	v_cmp_gt_i32_e64 s17, 0, v179
	v_not_b32_e32 v63, v179
	v_not_b32_e32 v179, v180
	v_dual_lshlrev_b32 v184, 26, v181 :: v_dual_lshlrev_b32 v185, 25, v181
	v_cmp_gt_i32_e64 s18, 0, v180
	v_cmp_gt_i32_e64 s19, 0, v182
	v_not_b32_e32 v180, v182
	v_not_b32_e32 v182, v183
	v_ashrrev_i32_e32 v63, 31, v63
	v_ashrrev_i32_e32 v179, 31, v179
	v_cmp_gt_i32_e64 s20, 0, v183
	v_cmp_gt_i32_e64 s21, 0, v184
	v_not_b32_e32 v183, v184
	v_bitop3_b32 v62, vcc_lo, exec_lo, v62 bitop3:0x48
	v_dual_ashrrev_i32 v180, 31, v180 :: v_dual_ashrrev_i32 v182, 31, v182
	v_xor_b32_e32 v63, s17, v63
	v_not_b32_e32 v184, v185
	v_xor_b32_e32 v179, s18, v179
	s_delay_alu instid0(VALU_DEP_4) | instskip(SKIP_2) | instid1(VALU_DEP_4)
	v_dual_ashrrev_i32 v183, 31, v183 :: v_dual_bitop2_b32 v180, s19, v180 bitop3:0x14
	v_xor_b32_e32 v182, s20, v182
	v_cmp_gt_i32_e32 vcc_lo, 0, v185
	v_bitop3_b32 v62, v62, v179, v63 bitop3:0x80
	v_ashrrev_i32_e32 v63, 31, v184
	v_mad_u32_u24 v179, v181, 36, v114
	v_xor_b32_e32 v183, s21, v183
	s_delay_alu instid0(VALU_DEP_4) | instskip(NEXT) | instid1(VALU_DEP_4)
	v_bitop3_b32 v62, v62, v182, v180 bitop3:0x80
	v_xor_b32_e32 v63, vcc_lo, v63
	ds_load_b32 v179, v179 offset:544
	; wave barrier
	v_bitop3_b32 v62, v62, v63, v183 bitop3:0x80
	v_mul_u32_u24_e32 v63, 36, v181
	s_delay_alu instid0(VALU_DEP_2) | instskip(SKIP_1) | instid1(VALU_DEP_3)
	v_mbcnt_lo_u32_b32 v180, v62, 0
	v_cmp_ne_u32_e64 s17, 0, v62
	v_add_nc_u32_e32 v181, v114, v63
	s_delay_alu instid0(VALU_DEP_3) | instskip(SKIP_1) | instid1(SALU_CYCLE_1)
	v_cmp_eq_u32_e32 vcc_lo, 0, v180
	s_and_b32 s18, s17, vcc_lo
	s_and_saveexec_b32 s17, s18
	s_cbranch_execz .LBB289_769
; %bb.768:                              ;   in Loop: Header=BB289_722 Depth=2
	s_wait_dscnt 0x0
	v_bcnt_u32_b32 v62, v62, v179
	ds_store_b32 v181, v62 offset:544
.LBB289_769:                            ;   in Loop: Header=BB289_722 Depth=2
	s_or_b32 exec_lo, exec_lo, s17
	v_bitop3_b16 v62, v64, s43, 0x7f bitop3:0x48
	; wave barrier
	s_delay_alu instid0(VALU_DEP_1) | instskip(NEXT) | instid1(VALU_DEP_1)
	v_and_b32_e32 v62, 0xffff, v62
	v_lshrrev_b32_e32 v62, s49, v62
	s_delay_alu instid0(VALU_DEP_1) | instskip(NEXT) | instid1(VALU_DEP_1)
	v_and_b32_e32 v184, s58, v62
	v_lshlrev_b32_e32 v182, 30, v184
	v_bitop3_b32 v63, v62, 1, s58 bitop3:0x80
	s_delay_alu instid0(VALU_DEP_1) | instskip(NEXT) | instid1(VALU_DEP_1)
	v_add_co_u32 v62, s17, v63, -1
	v_cndmask_b32_e64 v63, 0, 1, s17
	s_delay_alu instid0(VALU_DEP_4) | instskip(NEXT) | instid1(VALU_DEP_2)
	v_cmp_gt_i32_e64 s17, 0, v182
	v_cmp_ne_u32_e32 vcc_lo, 0, v63
	v_not_b32_e32 v63, v182
	v_bitop3_b32 v62, vcc_lo, exec_lo, v62 bitop3:0x48
	s_delay_alu instid0(VALU_DEP_2) | instskip(SKIP_2) | instid1(VALU_DEP_3)
	v_dual_ashrrev_i32 v63, 31, v63 :: v_dual_lshlrev_b32 v183, 29, v184
	v_dual_lshlrev_b32 v185, 28, v184 :: v_dual_lshlrev_b32 v186, 27, v184
	v_lshlrev_b32_e32 v187, 26, v184
	v_not_b32_e32 v182, v183
	v_lshlrev_b32_e32 v188, 25, v184
	v_cmp_gt_i32_e64 s18, 0, v183
	v_cmp_gt_i32_e64 s19, 0, v185
	v_not_b32_e32 v183, v185
	v_not_b32_e32 v185, v186
	v_ashrrev_i32_e32 v182, 31, v182
	v_cmp_gt_i32_e64 s20, 0, v186
	v_cmp_gt_i32_e64 s21, 0, v187
	v_not_b32_e32 v186, v187
	v_not_b32_e32 v187, v188
	v_dual_ashrrev_i32 v183, 31, v183 :: v_dual_ashrrev_i32 v185, 31, v185
	s_delay_alu instid0(VALU_DEP_3) | instskip(NEXT) | instid1(VALU_DEP_3)
	v_dual_ashrrev_i32 v186, 31, v186 :: v_dual_bitop2_b32 v63, s17, v63 bitop3:0x14
	v_dual_ashrrev_i32 v187, 31, v187 :: v_dual_bitop2_b32 v182, s18, v182 bitop3:0x14
	v_cmp_gt_i32_e64 s22, 0, v188
	s_delay_alu instid0(VALU_DEP_4) | instskip(SKIP_1) | instid1(VALU_DEP_4)
	v_xor_b32_e32 v183, s19, v183
	v_xor_b32_e32 v185, s20, v185
	v_bitop3_b32 v62, v62, v182, v63 bitop3:0x80
	v_mad_u32_u24 v63, v184, 36, v114
	v_xor_b32_e32 v187, s22, v187
	s_delay_alu instid0(VALU_DEP_3) | instskip(SKIP_3) | instid1(VALU_DEP_2)
	v_bitop3_b32 v62, v62, v185, v183 bitop3:0x80
	ds_load_b32 v182, v63 offset:544
	v_mul_u32_u24_e32 v63, 36, v184
	v_xor_b32_e32 v186, s21, v186
	; wave barrier
	v_add_nc_u32_e32 v185, v114, v63
	s_delay_alu instid0(VALU_DEP_2) | instskip(NEXT) | instid1(VALU_DEP_1)
	v_bitop3_b32 v62, v62, v187, v186 bitop3:0x80
	v_mbcnt_lo_u32_b32 v183, v62, 0
	v_cmp_ne_u32_e64 s17, 0, v62
	s_delay_alu instid0(VALU_DEP_2) | instskip(SKIP_1) | instid1(SALU_CYCLE_1)
	v_cmp_eq_u32_e32 vcc_lo, 0, v183
	s_and_b32 s18, s17, vcc_lo
	s_and_saveexec_b32 s17, s18
	s_cbranch_execz .LBB289_771
; %bb.770:                              ;   in Loop: Header=BB289_722 Depth=2
	s_wait_dscnt 0x0
	v_bcnt_u32_b32 v62, v62, v182
	ds_store_b32 v185, v62 offset:544
.LBB289_771:                            ;   in Loop: Header=BB289_722 Depth=2
	s_or_b32 exec_lo, exec_lo, s17
	v_xor_b32_e32 v62, 0x7f, v136
	v_xor_b32_e32 v63, 0x7f, v135
	;; [unrolled: 1-line block ×4, first 2 shown]
	s_delay_alu instid0(VALU_DEP_4) | instskip(NEXT) | instid1(VALU_DEP_4)
	v_lshlrev_b16 v62, 8, v62
	v_lshlrev_b16 v63, 8, v63
	; wave barrier
	s_delay_alu instid0(VALU_DEP_2) | instskip(NEXT) | instid1(VALU_DEP_2)
	v_bitop3_b16 v184, v64, v62, 0xff bitop3:0xec
	v_bitop3_b16 v62, v65, v63, 0xff bitop3:0xec
	s_delay_alu instid0(VALU_DEP_2) | instskip(NEXT) | instid1(VALU_DEP_2)
	v_and_b32_e32 v63, 0xffff, v184
	v_lshlrev_b32_e32 v62, 16, v62
	s_delay_alu instid0(VALU_DEP_1) | instskip(NEXT) | instid1(VALU_DEP_1)
	v_or_b32_e32 v135, v63, v62
	v_bfe_u32 v62, v135, 8, 8
	s_delay_alu instid0(VALU_DEP_1) | instskip(NEXT) | instid1(VALU_DEP_1)
	v_lshrrev_b32_e32 v62, s49, v62
	v_bitop3_b32 v63, v62, 1, s58 bitop3:0x80
	v_and_b32_e32 v64, s58, v62
	s_delay_alu instid0(VALU_DEP_2) | instskip(NEXT) | instid1(VALU_DEP_1)
	v_add_co_u32 v62, s17, v63, -1
	v_cndmask_b32_e64 v63, 0, 1, s17
	s_delay_alu instid0(VALU_DEP_3) | instskip(NEXT) | instid1(VALU_DEP_2)
	v_lshlrev_b32_e32 v65, 30, v64
	v_cmp_ne_u32_e32 vcc_lo, 0, v63
	s_delay_alu instid0(VALU_DEP_2) | instskip(SKIP_2) | instid1(VALU_DEP_3)
	v_not_b32_e32 v63, v65
	v_cmp_gt_i32_e64 s17, 0, v65
	v_bitop3_b32 v62, vcc_lo, exec_lo, v62 bitop3:0x48
	v_dual_ashrrev_i32 v63, 31, v63 :: v_dual_lshlrev_b32 v136, 29, v64
	v_dual_lshlrev_b32 v186, 28, v64 :: v_dual_lshlrev_b32 v187, 27, v64
	v_lshlrev_b32_e32 v188, 26, v64
	s_delay_alu instid0(VALU_DEP_3)
	v_not_b32_e32 v65, v136
	v_lshlrev_b32_e32 v189, 25, v64
	v_cmp_gt_i32_e64 s18, 0, v136
	v_cmp_gt_i32_e64 s19, 0, v186
	v_not_b32_e32 v136, v186
	v_not_b32_e32 v186, v187
	v_ashrrev_i32_e32 v65, 31, v65
	v_cmp_gt_i32_e64 s20, 0, v187
	v_cmp_gt_i32_e64 s21, 0, v188
	v_not_b32_e32 v187, v188
	v_not_b32_e32 v188, v189
	v_dual_ashrrev_i32 v136, 31, v136 :: v_dual_ashrrev_i32 v186, 31, v186
	v_xor_b32_e32 v63, s17, v63
	s_delay_alu instid0(VALU_DEP_4)
	v_dual_ashrrev_i32 v187, 31, v187 :: v_dual_bitop2_b32 v65, s18, v65 bitop3:0x14
	v_cmp_gt_i32_e64 s22, 0, v189
	v_ashrrev_i32_e32 v188, 31, v188
	v_xor_b32_e32 v136, s19, v136
	v_xor_b32_e32 v186, s20, v186
	v_bitop3_b32 v62, v62, v65, v63 bitop3:0x80
	v_mad_u32_u24 v63, v64, 36, v114
	v_xor_b32_e32 v65, s21, v187
	v_xor_b32_e32 v187, s22, v188
	s_delay_alu instid0(VALU_DEP_4) | instskip(SKIP_3) | instid1(VALU_DEP_2)
	v_bitop3_b32 v62, v62, v186, v136 bitop3:0x80
	ds_load_b32 v136, v63 offset:544
	v_mul_u32_u24_e32 v63, 36, v64
	; wave barrier
	v_bitop3_b32 v62, v62, v187, v65 bitop3:0x80
	v_add_nc_u32_e32 v187, v114, v63
	s_delay_alu instid0(VALU_DEP_2) | instskip(SKIP_1) | instid1(VALU_DEP_2)
	v_mbcnt_lo_u32_b32 v186, v62, 0
	v_cmp_ne_u32_e64 s17, 0, v62
	v_cmp_eq_u32_e32 vcc_lo, 0, v186
	s_and_b32 s18, s17, vcc_lo
	s_delay_alu instid0(SALU_CYCLE_1)
	s_and_saveexec_b32 s17, s18
	s_cbranch_execz .LBB289_773
; %bb.772:                              ;   in Loop: Header=BB289_722 Depth=2
	s_wait_dscnt 0x0
	v_bcnt_u32_b32 v62, v62, v136
	ds_store_b32 v187, v62 offset:544
.LBB289_773:                            ;   in Loop: Header=BB289_722 Depth=2
	s_or_b32 exec_lo, exec_lo, s17
	v_bfe_u32 v62, v135, 16, 8
	; wave barrier
	s_delay_alu instid0(VALU_DEP_1) | instskip(NEXT) | instid1(VALU_DEP_1)
	v_lshrrev_b32_e32 v62, s49, v62
	v_and_b32_e32 v64, s58, v62
	s_delay_alu instid0(VALU_DEP_1) | instskip(SKIP_1) | instid1(VALU_DEP_1)
	v_lshlrev_b32_e32 v65, 30, v64
	v_bitop3_b32 v63, v62, 1, s58 bitop3:0x80
	v_add_co_u32 v62, s17, v63, -1
	s_delay_alu instid0(VALU_DEP_1) | instskip(NEXT) | instid1(VALU_DEP_4)
	v_cndmask_b32_e64 v63, 0, 1, s17
	v_cmp_gt_i32_e64 s17, 0, v65
	s_delay_alu instid0(VALU_DEP_2) | instskip(SKIP_2) | instid1(VALU_DEP_2)
	v_cmp_ne_u32_e32 vcc_lo, 0, v63
	v_not_b32_e32 v63, v65
	v_bitop3_b32 v62, vcc_lo, exec_lo, v62 bitop3:0x48
	v_dual_ashrrev_i32 v63, 31, v63 :: v_dual_lshlrev_b32 v188, 29, v64
	v_dual_lshlrev_b32 v189, 28, v64 :: v_dual_lshlrev_b32 v190, 27, v64
	v_lshlrev_b32_e32 v191, 26, v64
	s_delay_alu instid0(VALU_DEP_3)
	v_not_b32_e32 v65, v188
	v_lshlrev_b32_e32 v192, 25, v64
	v_cmp_gt_i32_e64 s18, 0, v188
	v_cmp_gt_i32_e64 s19, 0, v189
	v_not_b32_e32 v188, v189
	v_not_b32_e32 v189, v190
	v_ashrrev_i32_e32 v65, 31, v65
	v_cmp_gt_i32_e64 s20, 0, v190
	v_cmp_gt_i32_e64 s21, 0, v191
	v_not_b32_e32 v190, v191
	v_dual_ashrrev_i32 v188, 31, v188 :: v_dual_ashrrev_i32 v189, 31, v189
	v_xor_b32_e32 v63, s17, v63
	v_not_b32_e32 v191, v192
	s_delay_alu instid0(VALU_DEP_4) | instskip(NEXT) | instid1(VALU_DEP_4)
	v_dual_ashrrev_i32 v190, 31, v190 :: v_dual_bitop2_b32 v65, s18, v65 bitop3:0x14
	v_xor_b32_e32 v188, s19, v188
	v_xor_b32_e32 v189, s20, v189
	v_cmp_gt_i32_e32 vcc_lo, 0, v192
	s_delay_alu instid0(VALU_DEP_4) | instskip(SKIP_3) | instid1(VALU_DEP_4)
	v_bitop3_b32 v62, v62, v65, v63 bitop3:0x80
	v_ashrrev_i32_e32 v63, 31, v191
	v_mad_u32_u24 v65, v64, 36, v114
	v_xor_b32_e32 v190, s21, v190
	v_bitop3_b32 v62, v62, v189, v188 bitop3:0x80
	s_delay_alu instid0(VALU_DEP_4) | instskip(SKIP_3) | instid1(VALU_DEP_2)
	v_xor_b32_e32 v63, vcc_lo, v63
	ds_load_b32 v188, v65 offset:544
	; wave barrier
	v_bitop3_b32 v62, v62, v63, v190 bitop3:0x80
	v_mul_u32_u24_e32 v63, 36, v64
	v_mbcnt_lo_u32_b32 v189, v62, 0
	v_cmp_ne_u32_e64 s17, 0, v62
	s_delay_alu instid0(VALU_DEP_3) | instskip(NEXT) | instid1(VALU_DEP_3)
	v_add_nc_u32_e32 v191, v114, v63
	v_cmp_eq_u32_e32 vcc_lo, 0, v189
	s_and_b32 s18, s17, vcc_lo
	s_delay_alu instid0(SALU_CYCLE_1)
	s_and_saveexec_b32 s17, s18
	s_cbranch_execz .LBB289_775
; %bb.774:                              ;   in Loop: Header=BB289_722 Depth=2
	s_wait_dscnt 0x0
	v_bcnt_u32_b32 v62, v62, v188
	ds_store_b32 v191, v62 offset:544
.LBB289_775:                            ;   in Loop: Header=BB289_722 Depth=2
	s_or_b32 exec_lo, exec_lo, s17
	v_lshrrev_b32_e32 v190, 24, v135
	; wave barrier
	s_delay_alu instid0(VALU_DEP_1) | instskip(NEXT) | instid1(VALU_DEP_1)
	v_lshrrev_b32_e32 v62, s49, v190
	v_and_b32_e32 v64, s58, v62
	s_delay_alu instid0(VALU_DEP_1) | instskip(SKIP_3) | instid1(VALU_DEP_3)
	v_lshlrev_b32_e32 v65, 30, v64
	v_bitop3_b32 v63, v62, 1, s58 bitop3:0x80
	v_dual_lshlrev_b32 v192, 29, v64 :: v_dual_lshlrev_b32 v193, 28, v64
	v_dual_lshlrev_b32 v194, 27, v64 :: v_dual_lshlrev_b32 v195, 26, v64
	v_add_co_u32 v62, s17, v63, -1
	s_delay_alu instid0(VALU_DEP_1)
	v_cndmask_b32_e64 v63, 0, 1, s17
	v_cmp_gt_i32_e64 s17, 0, v65
	v_cmp_gt_i32_e64 s18, 0, v192
	;; [unrolled: 1-line block ×4, first 2 shown]
	v_cmp_ne_u32_e32 vcc_lo, 0, v63
	v_not_b32_e32 v63, v65
	v_not_b32_e32 v65, v192
	v_lshlrev_b32_e32 v196, 25, v64
	v_not_b32_e32 v192, v193
	v_not_b32_e32 v193, v194
	s_delay_alu instid0(VALU_DEP_4)
	v_dual_ashrrev_i32 v63, 31, v63 :: v_dual_ashrrev_i32 v65, 31, v65
	v_cmp_gt_i32_e64 s21, 0, v195
	v_not_b32_e32 v194, v195
	v_bitop3_b32 v62, vcc_lo, exec_lo, v62 bitop3:0x48
	v_dual_ashrrev_i32 v192, 31, v192 :: v_dual_ashrrev_i32 v193, 31, v193
	v_xor_b32_e32 v63, s17, v63
	s_delay_alu instid0(VALU_DEP_4) | instskip(SKIP_1) | instid1(VALU_DEP_4)
	v_dual_ashrrev_i32 v194, 31, v194 :: v_dual_bitop2_b32 v65, s18, v65 bitop3:0x14
	v_not_b32_e32 v195, v196
	v_xor_b32_e32 v192, s19, v192
	v_xor_b32_e32 v193, s20, v193
	s_delay_alu instid0(VALU_DEP_4)
	v_bitop3_b32 v62, v62, v65, v63 bitop3:0x80
	v_cmp_gt_i32_e32 vcc_lo, 0, v196
	v_ashrrev_i32_e32 v63, 31, v195
	v_mad_u32_u24 v65, v64, 36, v114
	v_xor_b32_e32 v194, s21, v194
	v_bitop3_b32 v62, v62, v193, v192 bitop3:0x80
	s_delay_alu instid0(VALU_DEP_4) | instskip(SKIP_3) | instid1(VALU_DEP_2)
	v_xor_b32_e32 v63, vcc_lo, v63
	ds_load_b32 v192, v65 offset:544
	; wave barrier
	v_bitop3_b32 v62, v62, v63, v194 bitop3:0x80
	v_mul_u32_u24_e32 v63, 36, v64
	v_mbcnt_lo_u32_b32 v193, v62, 0
	v_cmp_ne_u32_e64 s17, 0, v62
	s_delay_alu instid0(VALU_DEP_3) | instskip(NEXT) | instid1(VALU_DEP_3)
	v_add_nc_u32_e32 v194, v114, v63
	v_cmp_eq_u32_e32 vcc_lo, 0, v193
	s_and_b32 s18, s17, vcc_lo
	s_delay_alu instid0(SALU_CYCLE_1)
	s_and_saveexec_b32 s17, s18
	s_cbranch_execz .LBB289_777
; %bb.776:                              ;   in Loop: Header=BB289_722 Depth=2
	s_wait_dscnt 0x0
	v_bcnt_u32_b32 v62, v62, v192
	ds_store_b32 v194, v62 offset:544
.LBB289_777:                            ;   in Loop: Header=BB289_722 Depth=2
	s_or_b32 exec_lo, exec_lo, s17
	v_xor_b32_e32 v115, 0x7f, v115
	; wave barrier
	s_delay_alu instid0(VALU_DEP_1) | instskip(NEXT) | instid1(VALU_DEP_1)
	v_and_b32_e32 v62, 0xff, v115
	v_lshrrev_b32_e32 v62, s49, v62
	s_delay_alu instid0(VALU_DEP_1) | instskip(NEXT) | instid1(VALU_DEP_1)
	v_and_b32_e32 v64, s58, v62
	v_lshlrev_b32_e32 v65, 30, v64
	v_bitop3_b32 v63, v62, 1, s58 bitop3:0x80
	s_delay_alu instid0(VALU_DEP_1) | instskip(NEXT) | instid1(VALU_DEP_1)
	v_add_co_u32 v62, s17, v63, -1
	v_cndmask_b32_e64 v63, 0, 1, s17
	s_delay_alu instid0(VALU_DEP_4) | instskip(NEXT) | instid1(VALU_DEP_2)
	v_cmp_gt_i32_e64 s17, 0, v65
	v_cmp_ne_u32_e32 vcc_lo, 0, v63
	v_not_b32_e32 v63, v65
	v_bitop3_b32 v62, vcc_lo, exec_lo, v62 bitop3:0x48
	s_delay_alu instid0(VALU_DEP_2) | instskip(SKIP_2) | instid1(VALU_DEP_3)
	v_dual_ashrrev_i32 v63, 31, v63 :: v_dual_lshlrev_b32 v195, 29, v64
	v_dual_lshlrev_b32 v196, 28, v64 :: v_dual_lshlrev_b32 v197, 27, v64
	v_lshlrev_b32_e32 v198, 26, v64
	v_not_b32_e32 v65, v195
	v_lshlrev_b32_e32 v199, 25, v64
	v_cmp_gt_i32_e64 s18, 0, v195
	v_cmp_gt_i32_e64 s19, 0, v196
	v_not_b32_e32 v195, v196
	v_not_b32_e32 v196, v197
	v_ashrrev_i32_e32 v65, 31, v65
	v_cmp_gt_i32_e64 s20, 0, v197
	v_cmp_gt_i32_e64 s21, 0, v198
	v_not_b32_e32 v197, v198
	v_not_b32_e32 v198, v199
	v_dual_ashrrev_i32 v195, 31, v195 :: v_dual_ashrrev_i32 v196, 31, v196
	s_delay_alu instid0(VALU_DEP_3) | instskip(NEXT) | instid1(VALU_DEP_3)
	v_dual_ashrrev_i32 v197, 31, v197 :: v_dual_bitop2_b32 v63, s17, v63 bitop3:0x14
	v_dual_ashrrev_i32 v198, 31, v198 :: v_dual_bitop2_b32 v65, s18, v65 bitop3:0x14
	v_cmp_gt_i32_e64 s22, 0, v199
	s_delay_alu instid0(VALU_DEP_4) | instskip(SKIP_1) | instid1(VALU_DEP_4)
	v_xor_b32_e32 v195, s19, v195
	v_xor_b32_e32 v196, s20, v196
	v_bitop3_b32 v62, v62, v65, v63 bitop3:0x80
	v_mad_u32_u24 v63, v64, 36, v114
	v_xor_b32_e32 v65, s21, v197
	v_xor_b32_e32 v197, s22, v198
	s_delay_alu instid0(VALU_DEP_4) | instskip(SKIP_3) | instid1(VALU_DEP_2)
	v_bitop3_b32 v62, v62, v196, v195 bitop3:0x80
	ds_load_b32 v195, v63 offset:544
	v_mul_u32_u24_e32 v63, 36, v64
	; wave barrier
	v_bitop3_b32 v62, v62, v197, v65 bitop3:0x80
	v_add_nc_u32_e32 v197, v114, v63
	s_delay_alu instid0(VALU_DEP_2) | instskip(SKIP_1) | instid1(VALU_DEP_2)
	v_mbcnt_lo_u32_b32 v196, v62, 0
	v_cmp_ne_u32_e64 s17, 0, v62
	v_cmp_eq_u32_e32 vcc_lo, 0, v196
	s_and_b32 s18, s17, vcc_lo
	s_delay_alu instid0(SALU_CYCLE_1)
	s_and_saveexec_b32 s17, s18
	s_cbranch_execz .LBB289_779
; %bb.778:                              ;   in Loop: Header=BB289_722 Depth=2
	s_wait_dscnt 0x0
	v_bcnt_u32_b32 v62, v62, v195
	ds_store_b32 v197, v62 offset:544
.LBB289_779:                            ;   in Loop: Header=BB289_722 Depth=2
	s_or_b32 exec_lo, exec_lo, s17
	; wave barrier
	s_wait_dscnt 0x0
	s_barrier_signal -1
	s_barrier_wait -1
	ds_load_2addr_b32 v[64:65], v90 offset0:136 offset1:137
	ds_load_2addr_b32 v[62:63], v90 offset0:138 offset1:139
	ds_load_b32 v198, v90 offset:560
	s_wait_dscnt 0x1
	v_add3_u32 v199, v65, v64, v62
	s_wait_dscnt 0x0
	s_delay_alu instid0(VALU_DEP_1) | instskip(NEXT) | instid1(VALU_DEP_1)
	v_add3_u32 v198, v199, v63, v198
	v_mov_b32_dpp v199, v198 row_shr:1 row_mask:0xf bank_mask:0xf
	s_delay_alu instid0(VALU_DEP_1) | instskip(NEXT) | instid1(VALU_DEP_1)
	v_cndmask_b32_e64 v199, v199, 0, s8
	v_add_nc_u32_e32 v198, v199, v198
	s_delay_alu instid0(VALU_DEP_1) | instskip(NEXT) | instid1(VALU_DEP_1)
	v_mov_b32_dpp v199, v198 row_shr:2 row_mask:0xf bank_mask:0xf
	v_cndmask_b32_e64 v199, 0, v199, s9
	s_delay_alu instid0(VALU_DEP_1) | instskip(NEXT) | instid1(VALU_DEP_1)
	v_add_nc_u32_e32 v198, v198, v199
	v_mov_b32_dpp v199, v198 row_shr:4 row_mask:0xf bank_mask:0xf
	s_delay_alu instid0(VALU_DEP_1) | instskip(NEXT) | instid1(VALU_DEP_1)
	v_cndmask_b32_e64 v199, 0, v199, s10
	v_add_nc_u32_e32 v198, v198, v199
	s_delay_alu instid0(VALU_DEP_1) | instskip(NEXT) | instid1(VALU_DEP_1)
	v_mov_b32_dpp v199, v198 row_shr:8 row_mask:0xf bank_mask:0xf
	v_cndmask_b32_e64 v199, 0, v199, s11
	s_delay_alu instid0(VALU_DEP_1) | instskip(SKIP_3) | instid1(VALU_DEP_1)
	v_add_nc_u32_e32 v198, v198, v199
	ds_swizzle_b32 v199, v198 offset:swizzle(BROADCAST,32,15)
	s_wait_dscnt 0x0
	v_cndmask_b32_e64 v199, v199, 0, s12
	v_add_nc_u32_e32 v198, v198, v199
	s_and_saveexec_b32 s17, s2
; %bb.780:                              ;   in Loop: Header=BB289_722 Depth=2
	ds_store_b32 v83, v198 offset:512
; %bb.781:                              ;   in Loop: Header=BB289_722 Depth=2
	s_or_b32 exec_lo, exec_lo, s17
	s_wait_dscnt 0x0
	s_barrier_signal -1
	s_barrier_wait -1
	s_and_saveexec_b32 s17, s3
	s_cbranch_execz .LBB289_783
; %bb.782:                              ;   in Loop: Header=BB289_722 Depth=2
	ds_load_b32 v199, v92 offset:512
	s_wait_dscnt 0x0
	v_mov_b32_dpp v200, v199 row_shr:1 row_mask:0xf bank_mask:0xf
	s_delay_alu instid0(VALU_DEP_1) | instskip(NEXT) | instid1(VALU_DEP_1)
	v_cndmask_b32_e64 v200, v200, 0, s14
	v_add_nc_u32_e32 v199, v200, v199
	s_delay_alu instid0(VALU_DEP_1) | instskip(NEXT) | instid1(VALU_DEP_1)
	v_mov_b32_dpp v200, v199 row_shr:2 row_mask:0xf bank_mask:0xf
	v_cndmask_b32_e64 v200, 0, v200, s15
	s_delay_alu instid0(VALU_DEP_1) | instskip(NEXT) | instid1(VALU_DEP_1)
	v_add_nc_u32_e32 v199, v199, v200
	v_mov_b32_dpp v200, v199 row_shr:4 row_mask:0xf bank_mask:0xf
	s_delay_alu instid0(VALU_DEP_1) | instskip(NEXT) | instid1(VALU_DEP_1)
	v_cndmask_b32_e64 v200, 0, v200, s16
	v_add_nc_u32_e32 v199, v199, v200
	ds_store_b32 v92, v199 offset:512
.LBB289_783:                            ;   in Loop: Header=BB289_722 Depth=2
	s_or_b32 exec_lo, exec_lo, s17
	v_mov_b32_e32 v199, 0
	s_wait_dscnt 0x0
	s_barrier_signal -1
	s_barrier_wait -1
	s_and_saveexec_b32 s17, s5
; %bb.784:                              ;   in Loop: Header=BB289_722 Depth=2
	ds_load_b32 v199, v83 offset:508
; %bb.785:                              ;   in Loop: Header=BB289_722 Depth=2
	s_or_b32 exec_lo, exec_lo, s17
	s_wait_dscnt 0x0
	v_add_nc_u32_e32 v198, v199, v198
	ds_bpermute_b32 v198, v96, v198
	s_wait_dscnt 0x0
	v_cndmask_b32_e64 v198, v198, v199, s13
	s_delay_alu instid0(VALU_DEP_1) | instskip(NEXT) | instid1(VALU_DEP_1)
	v_cndmask_b32_e64 v198, v198, 0, s6
	v_add_nc_u32_e32 v64, v198, v64
	s_delay_alu instid0(VALU_DEP_1) | instskip(NEXT) | instid1(VALU_DEP_1)
	v_add_nc_u32_e32 v65, v64, v65
	v_add_nc_u32_e32 v62, v65, v62
	s_delay_alu instid0(VALU_DEP_1)
	v_add_nc_u32_e32 v63, v62, v63
	ds_store_2addr_b32 v90, v198, v64 offset0:136 offset1:137
	ds_store_2addr_b32 v90, v65, v62 offset0:138 offset1:139
	ds_store_b32 v90, v63 offset:560
	s_wait_dscnt 0x0
	s_barrier_signal -1
	s_barrier_wait -1
	ds_load_b32 v62, v149 offset:544
	ds_load_b32 v63, v152 offset:544
	;; [unrolled: 1-line block ×17, first 2 shown]
	s_and_saveexec_b32 s17, s0
	s_cbranch_execz .LBB289_789
; %bb.786:                              ;   in Loop: Header=BB289_722 Depth=2
	v_dual_mov_b32 v134, 0x1100 :: v_dual_add_nc_u32 v133, v92, v94
	ds_load_b32 v133, v133 offset:544
	s_and_saveexec_b32 s18, s7
; %bb.787:                              ;   in Loop: Header=BB289_722 Depth=2
	ds_load_b32 v134, v93 offset:544
; %bb.788:                              ;   in Loop: Header=BB289_722 Depth=2
	s_or_b32 exec_lo, exec_lo, s18
	s_wait_dscnt 0x0
	v_sub_nc_u32_e32 v134, v134, v133
.LBB289_789:                            ;   in Loop: Header=BB289_722 Depth=2
	s_or_b32 exec_lo, exec_lo, s17
	v_dual_lshrrev_b32 v202, 8, v148 :: v_dual_lshrrev_b32 v203, 16, v148
	v_dual_lshrrev_b32 v200, 8, v143 :: v_dual_lshrrev_b32 v201, 16, v143
	;; [unrolled: 1-line block ×4, first 2 shown]
	s_wait_dscnt 0x0
	s_barrier_signal -1
	s_barrier_wait -1
	s_and_saveexec_b32 s17, s0
	s_cbranch_execz .LBB289_791
; %bb.790:                              ;   in Loop: Header=BB289_722 Depth=2
	ds_load_b32 v135, v66
	s_wait_dscnt 0x0
	v_sub_nc_u32_e32 v135, v135, v133
	ds_store_b32 v66, v135
.LBB289_791:                            ;   in Loop: Header=BB289_722 Depth=2
	s_or_b32 exec_lo, exec_lo, s17
	v_add_nc_u32_e32 v156, v62, v146
	v_add3_u32 v152, v151, v150, v63
	v_add3_u32 v151, v154, v153, v64
	v_add3_u32 v150, v158, v157, v65
	v_add3_u32 v149, v161, v160, v149
	v_add3_u32 v148, v145, v144, v159
	v_add3_u32 v146, v165, v164, v162
	v_add3_u32 v145, v169, v168, v163
	v_add3_u32 v144, v172, v171, v167
	v_add3_u32 v143, v141, v140, v170
	v_add3_u32 v141, v176, v175, v173
	v_add3_u32 v140, v180, v179, v174
	v_add3_u32 v139, v183, v182, v178
	v_add3_u32 v136, v186, v136, v181
	v_add3_u32 v135, v189, v188, v185
	v_add3_u32 v65, v193, v192, v187
	v_add3_u32 v64, v196, v195, v191
	v_cmp_lt_u32_e32 vcc_lo, v2, v137
	ds_store_b8 v156, v147 offset:512
	ds_store_b8 v152, v202 offset:512
	;; [unrolled: 1-line block ×17, first 2 shown]
	s_wait_dscnt 0x0
	s_barrier_signal -1
	s_barrier_wait -1
	s_and_saveexec_b32 s17, vcc_lo
	s_cbranch_execnz .LBB289_864
; %bb.792:                              ;   in Loop: Header=BB289_722 Depth=2
	s_or_b32 exec_lo, exec_lo, s17
	v_cmp_lt_u32_e64 s17, v67, v137
	s_and_saveexec_b32 s18, s17
	s_cbranch_execnz .LBB289_865
.LBB289_793:                            ;   in Loop: Header=BB289_722 Depth=2
	s_or_b32 exec_lo, exec_lo, s18
	v_cmp_lt_u32_e64 s18, v68, v137
	s_and_saveexec_b32 s19, s18
	s_cbranch_execnz .LBB289_866
.LBB289_794:                            ;   in Loop: Header=BB289_722 Depth=2
	s_or_b32 exec_lo, exec_lo, s19
	v_cmp_lt_u32_e64 s19, v69, v137
	s_and_saveexec_b32 s20, s19
	s_cbranch_execnz .LBB289_867
.LBB289_795:                            ;   in Loop: Header=BB289_722 Depth=2
	s_or_b32 exec_lo, exec_lo, s20
	v_cmp_lt_u32_e64 s20, v70, v137
	s_and_saveexec_b32 s21, s20
	s_cbranch_execnz .LBB289_868
.LBB289_796:                            ;   in Loop: Header=BB289_722 Depth=2
	s_or_b32 exec_lo, exec_lo, s21
	v_cmp_lt_u32_e64 s21, v71, v137
	s_and_saveexec_b32 s22, s21
	s_cbranch_execnz .LBB289_869
.LBB289_797:                            ;   in Loop: Header=BB289_722 Depth=2
	s_or_b32 exec_lo, exec_lo, s22
	v_cmp_lt_u32_e64 s22, v72, v137
	s_and_saveexec_b32 s23, s22
	s_cbranch_execnz .LBB289_870
.LBB289_798:                            ;   in Loop: Header=BB289_722 Depth=2
	s_or_b32 exec_lo, exec_lo, s23
	v_cmp_lt_u32_e64 s23, v73, v137
	s_and_saveexec_b32 s24, s23
	s_cbranch_execnz .LBB289_871
.LBB289_799:                            ;   in Loop: Header=BB289_722 Depth=2
	s_or_b32 exec_lo, exec_lo, s24
	v_cmp_lt_u32_e64 s24, v74, v137
	s_and_saveexec_b32 s25, s24
	s_cbranch_execnz .LBB289_872
.LBB289_800:                            ;   in Loop: Header=BB289_722 Depth=2
	s_or_b32 exec_lo, exec_lo, s25
	v_cmp_lt_u32_e64 s25, v75, v137
	s_and_saveexec_b32 s26, s25
	s_cbranch_execnz .LBB289_873
.LBB289_801:                            ;   in Loop: Header=BB289_722 Depth=2
	s_or_b32 exec_lo, exec_lo, s26
	v_cmp_lt_u32_e64 s26, v76, v137
	s_and_saveexec_b32 s27, s26
	s_cbranch_execnz .LBB289_874
.LBB289_802:                            ;   in Loop: Header=BB289_722 Depth=2
	s_or_b32 exec_lo, exec_lo, s27
	v_cmp_lt_u32_e64 s27, v77, v137
	s_and_saveexec_b32 s28, s27
	s_cbranch_execnz .LBB289_875
.LBB289_803:                            ;   in Loop: Header=BB289_722 Depth=2
	s_or_b32 exec_lo, exec_lo, s28
	v_cmp_lt_u32_e64 s28, v78, v137
	s_and_saveexec_b32 s29, s28
	s_cbranch_execnz .LBB289_876
.LBB289_804:                            ;   in Loop: Header=BB289_722 Depth=2
	s_or_b32 exec_lo, exec_lo, s29
	v_cmp_lt_u32_e64 s29, v79, v137
	s_and_saveexec_b32 s30, s29
	s_cbranch_execnz .LBB289_877
.LBB289_805:                            ;   in Loop: Header=BB289_722 Depth=2
	s_or_b32 exec_lo, exec_lo, s30
	v_cmp_lt_u32_e64 s30, v80, v137
	s_and_saveexec_b32 s31, s30
	s_cbranch_execnz .LBB289_878
.LBB289_806:                            ;   in Loop: Header=BB289_722 Depth=2
	s_or_b32 exec_lo, exec_lo, s31
	v_cmp_lt_u32_e64 s31, v81, v137
	s_and_saveexec_b32 s33, s31
	s_cbranch_execnz .LBB289_879
.LBB289_807:                            ;   in Loop: Header=BB289_722 Depth=2
	s_or_b32 exec_lo, exec_lo, s33
	v_cmp_lt_u32_e64 s33, v82, v137
	s_and_saveexec_b32 s61, s33
	s_cbranch_execz .LBB289_809
.LBB289_808:                            ;   in Loop: Header=BB289_722 Depth=2
	ds_load_u8 v62, v2 offset:4608
	s_wait_dscnt 0x0
	v_and_b32_e32 v63, 0xff, v62
	v_xor_b32_e32 v62, 0x7f, v62
	s_delay_alu instid0(VALU_DEP_2) | instskip(NEXT) | instid1(VALU_DEP_1)
	v_lshrrev_b32_e32 v63, s49, v63
	v_and_b32_e32 v63, s58, v63
	s_delay_alu instid0(VALU_DEP_1)
	v_lshlrev_b32_e32 v63, 2, v63
	ds_load_b32 v63, v63
	s_wait_dscnt 0x0
	v_add_nc_u32_e32 v63, v63, v82
	global_store_b8 v63, v62, s[38:39]
.LBB289_809:                            ;   in Loop: Header=BB289_722 Depth=2
	s_wait_xcnt 0x0
	s_or_b32 exec_lo, exec_lo, s61
	v_lshl_add_u64 v[62:63], s[34:35], 3, v[26:27]
	v_cmp_lt_u32_e64 s34, v97, v137
	s_and_saveexec_b32 s61, s34
	s_delay_alu instid0(SALU_CYCLE_1)
	s_xor_b32 s34, exec_lo, s61
	s_cbranch_execnz .LBB289_880
; %bb.810:                              ;   in Loop: Header=BB289_722 Depth=2
	s_or_b32 exec_lo, exec_lo, s34
	s_delay_alu instid0(SALU_CYCLE_1)
	s_mov_b32 s61, exec_lo
	v_cmpx_lt_u32_e64 v98, v137
	s_cbranch_execnz .LBB289_881
.LBB289_811:                            ;   in Loop: Header=BB289_722 Depth=2
	s_or_b32 exec_lo, exec_lo, s61
	s_delay_alu instid0(SALU_CYCLE_1)
	s_mov_b32 s61, exec_lo
	v_cmpx_lt_u32_e64 v99, v137
	s_cbranch_execnz .LBB289_882
.LBB289_812:                            ;   in Loop: Header=BB289_722 Depth=2
	s_or_b32 exec_lo, exec_lo, s61
	s_delay_alu instid0(SALU_CYCLE_1)
	s_mov_b32 s61, exec_lo
	v_cmpx_lt_u32_e64 v100, v137
	s_cbranch_execnz .LBB289_883
.LBB289_813:                            ;   in Loop: Header=BB289_722 Depth=2
	s_or_b32 exec_lo, exec_lo, s61
	s_delay_alu instid0(SALU_CYCLE_1)
	s_mov_b32 s61, exec_lo
	v_cmpx_lt_u32_e64 v101, v137
	s_cbranch_execnz .LBB289_884
.LBB289_814:                            ;   in Loop: Header=BB289_722 Depth=2
	s_or_b32 exec_lo, exec_lo, s61
	s_delay_alu instid0(SALU_CYCLE_1)
	s_mov_b32 s61, exec_lo
	v_cmpx_lt_u32_e64 v102, v137
	s_cbranch_execnz .LBB289_885
.LBB289_815:                            ;   in Loop: Header=BB289_722 Depth=2
	s_or_b32 exec_lo, exec_lo, s61
	s_delay_alu instid0(SALU_CYCLE_1)
	s_mov_b32 s61, exec_lo
	v_cmpx_lt_u32_e64 v103, v137
	s_cbranch_execnz .LBB289_886
.LBB289_816:                            ;   in Loop: Header=BB289_722 Depth=2
	s_or_b32 exec_lo, exec_lo, s61
	s_delay_alu instid0(SALU_CYCLE_1)
	s_mov_b32 s61, exec_lo
	v_cmpx_lt_u32_e64 v104, v137
	s_cbranch_execnz .LBB289_887
.LBB289_817:                            ;   in Loop: Header=BB289_722 Depth=2
	s_or_b32 exec_lo, exec_lo, s61
	s_delay_alu instid0(SALU_CYCLE_1)
	s_mov_b32 s61, exec_lo
	v_cmpx_lt_u32_e64 v105, v137
	s_cbranch_execnz .LBB289_888
.LBB289_818:                            ;   in Loop: Header=BB289_722 Depth=2
	s_or_b32 exec_lo, exec_lo, s61
	s_delay_alu instid0(SALU_CYCLE_1)
	s_mov_b32 s61, exec_lo
	v_cmpx_lt_u32_e64 v106, v137
	s_cbranch_execnz .LBB289_889
.LBB289_819:                            ;   in Loop: Header=BB289_722 Depth=2
	s_or_b32 exec_lo, exec_lo, s61
	s_delay_alu instid0(SALU_CYCLE_1)
	s_mov_b32 s61, exec_lo
	v_cmpx_lt_u32_e64 v107, v137
	s_cbranch_execnz .LBB289_890
.LBB289_820:                            ;   in Loop: Header=BB289_722 Depth=2
	s_or_b32 exec_lo, exec_lo, s61
	s_delay_alu instid0(SALU_CYCLE_1)
	s_mov_b32 s61, exec_lo
	v_cmpx_lt_u32_e64 v108, v137
	s_cbranch_execnz .LBB289_891
.LBB289_821:                            ;   in Loop: Header=BB289_722 Depth=2
	s_or_b32 exec_lo, exec_lo, s61
	s_delay_alu instid0(SALU_CYCLE_1)
	s_mov_b32 s61, exec_lo
	v_cmpx_lt_u32_e64 v109, v137
	s_cbranch_execnz .LBB289_892
.LBB289_822:                            ;   in Loop: Header=BB289_722 Depth=2
	s_or_b32 exec_lo, exec_lo, s61
	s_delay_alu instid0(SALU_CYCLE_1)
	s_mov_b32 s61, exec_lo
	v_cmpx_lt_u32_e64 v110, v137
	s_cbranch_execnz .LBB289_893
.LBB289_823:                            ;   in Loop: Header=BB289_722 Depth=2
	s_or_b32 exec_lo, exec_lo, s61
	s_delay_alu instid0(SALU_CYCLE_1)
	s_mov_b32 s61, exec_lo
	v_cmpx_lt_u32_e64 v111, v137
	s_cbranch_execnz .LBB289_894
.LBB289_824:                            ;   in Loop: Header=BB289_722 Depth=2
	s_or_b32 exec_lo, exec_lo, s61
	s_delay_alu instid0(SALU_CYCLE_1)
	s_mov_b32 s61, exec_lo
	v_cmpx_lt_u32_e64 v112, v137
	s_cbranch_execnz .LBB289_895
.LBB289_825:                            ;   in Loop: Header=BB289_722 Depth=2
	s_or_b32 exec_lo, exec_lo, s61
	s_delay_alu instid0(SALU_CYCLE_1)
	s_mov_b32 s61, exec_lo
	v_cmpx_lt_u32_e64 v113, v137
	s_cbranch_execnz .LBB289_896
.LBB289_826:                            ;   in Loop: Header=BB289_722 Depth=2
	s_or_b32 exec_lo, exec_lo, s61
	s_and_saveexec_b32 s34, vcc_lo
	s_cbranch_execnz .LBB289_897
.LBB289_827:                            ;   in Loop: Header=BB289_722 Depth=2
	s_or_b32 exec_lo, exec_lo, s34
	s_and_saveexec_b32 s34, s17
	s_cbranch_execnz .LBB289_898
.LBB289_828:                            ;   in Loop: Header=BB289_722 Depth=2
	s_or_b32 exec_lo, exec_lo, s34
	s_and_saveexec_b32 s34, s18
	s_cbranch_execnz .LBB289_899
.LBB289_829:                            ;   in Loop: Header=BB289_722 Depth=2
	s_or_b32 exec_lo, exec_lo, s34
	s_and_saveexec_b32 s34, s19
	s_cbranch_execnz .LBB289_900
.LBB289_830:                            ;   in Loop: Header=BB289_722 Depth=2
	s_or_b32 exec_lo, exec_lo, s34
	s_and_saveexec_b32 s34, s20
	s_cbranch_execnz .LBB289_901
.LBB289_831:                            ;   in Loop: Header=BB289_722 Depth=2
	s_or_b32 exec_lo, exec_lo, s34
	s_and_saveexec_b32 s34, s21
	s_cbranch_execnz .LBB289_902
.LBB289_832:                            ;   in Loop: Header=BB289_722 Depth=2
	s_or_b32 exec_lo, exec_lo, s34
	s_and_saveexec_b32 s34, s22
	s_cbranch_execnz .LBB289_903
.LBB289_833:                            ;   in Loop: Header=BB289_722 Depth=2
	s_or_b32 exec_lo, exec_lo, s34
	s_and_saveexec_b32 s34, s23
	s_cbranch_execnz .LBB289_904
.LBB289_834:                            ;   in Loop: Header=BB289_722 Depth=2
	s_or_b32 exec_lo, exec_lo, s34
	s_and_saveexec_b32 s34, s24
	s_cbranch_execnz .LBB289_905
.LBB289_835:                            ;   in Loop: Header=BB289_722 Depth=2
	s_or_b32 exec_lo, exec_lo, s34
	s_and_saveexec_b32 s34, s25
	s_cbranch_execnz .LBB289_906
.LBB289_836:                            ;   in Loop: Header=BB289_722 Depth=2
	s_or_b32 exec_lo, exec_lo, s34
	s_and_saveexec_b32 s34, s26
	s_cbranch_execnz .LBB289_907
.LBB289_837:                            ;   in Loop: Header=BB289_722 Depth=2
	s_or_b32 exec_lo, exec_lo, s34
	s_and_saveexec_b32 s34, s27
	s_cbranch_execnz .LBB289_908
.LBB289_838:                            ;   in Loop: Header=BB289_722 Depth=2
	s_or_b32 exec_lo, exec_lo, s34
	s_and_saveexec_b32 s34, s28
	s_cbranch_execnz .LBB289_909
.LBB289_839:                            ;   in Loop: Header=BB289_722 Depth=2
	s_or_b32 exec_lo, exec_lo, s34
	s_and_saveexec_b32 s34, s29
	s_cbranch_execnz .LBB289_910
.LBB289_840:                            ;   in Loop: Header=BB289_722 Depth=2
	s_or_b32 exec_lo, exec_lo, s34
	s_and_saveexec_b32 s34, s30
	s_cbranch_execnz .LBB289_911
.LBB289_841:                            ;   in Loop: Header=BB289_722 Depth=2
	s_or_b32 exec_lo, exec_lo, s34
	s_and_saveexec_b32 s34, s31
	s_cbranch_execnz .LBB289_912
.LBB289_842:                            ;   in Loop: Header=BB289_722 Depth=2
	s_or_b32 exec_lo, exec_lo, s34
	s_and_saveexec_b32 s34, s33
	s_cbranch_execz .LBB289_844
.LBB289_843:                            ;   in Loop: Header=BB289_722 Depth=2
	ds_load_u8 v62, v2 offset:4608
	s_wait_dscnt 0x0
	v_lshrrev_b32_e32 v62, s49, v62
	s_delay_alu instid0(VALU_DEP_1)
	v_and_b32_e32 v116, s58, v62
.LBB289_844:                            ;   in Loop: Header=BB289_722 Depth=2
	s_or_b32 exec_lo, exec_lo, s34
	v_lshlrev_b32_e32 v62, 3, v156
	v_lshlrev_b32_e32 v63, 3, v152
	s_wait_loadcnt 0x0
	s_wait_storecnt 0x0
	s_barrier_signal -1
	s_barrier_wait -1
	ds_store_b64 v62, v[60:61] offset:512
	ds_store_b64 v63, v[58:59] offset:512
	v_dual_lshlrev_b32 v62, 3, v151 :: v_dual_lshlrev_b32 v63, 3, v150
	v_dual_lshlrev_b32 v137, 3, v149 :: v_dual_lshlrev_b32 v138, 3, v148
	v_lshlrev_b32_e32 v142, 3, v146
	ds_store_b64 v62, v[56:57] offset:512
	ds_store_b64 v63, v[54:55] offset:512
	ds_store_b64 v137, v[52:53] offset:512
	ds_store_b64 v138, v[50:51] offset:512
	ds_store_b64 v142, v[48:49] offset:512
	v_dual_lshlrev_b32 v62, 3, v145 :: v_dual_lshlrev_b32 v63, 3, v144
	v_dual_lshlrev_b32 v137, 3, v143 :: v_dual_lshlrev_b32 v138, 3, v141
	v_lshlrev_b32_e32 v140, 3, v140
	ds_store_b64 v62, v[46:47] offset:512
	ds_store_b64 v63, v[44:45] offset:512
	ds_store_b64 v137, v[42:43] offset:512
	;; [unrolled: 8-line block ×3, first 2 shown]
	ds_store_b64 v65, v[30:31] offset:512
	ds_store_b64 v64, v[28:29] offset:512
	s_wait_dscnt 0x0
	s_barrier_signal -1
	s_barrier_wait -1
	s_and_saveexec_b32 s34, vcc_lo
	s_cbranch_execnz .LBB289_913
; %bb.845:                              ;   in Loop: Header=BB289_722 Depth=2
	s_or_b32 exec_lo, exec_lo, s34
	s_and_saveexec_b32 s34, s17
	s_cbranch_execnz .LBB289_914
.LBB289_846:                            ;   in Loop: Header=BB289_722 Depth=2
	s_or_b32 exec_lo, exec_lo, s34
	s_and_saveexec_b32 s17, s18
	s_cbranch_execnz .LBB289_915
.LBB289_847:                            ;   in Loop: Header=BB289_722 Depth=2
	s_or_b32 exec_lo, exec_lo, s17
	s_and_saveexec_b32 s17, s19
	s_cbranch_execnz .LBB289_916
.LBB289_848:                            ;   in Loop: Header=BB289_722 Depth=2
	s_or_b32 exec_lo, exec_lo, s17
	s_and_saveexec_b32 s17, s20
	s_cbranch_execnz .LBB289_917
.LBB289_849:                            ;   in Loop: Header=BB289_722 Depth=2
	s_or_b32 exec_lo, exec_lo, s17
	s_and_saveexec_b32 s17, s21
	s_cbranch_execnz .LBB289_918
.LBB289_850:                            ;   in Loop: Header=BB289_722 Depth=2
	s_or_b32 exec_lo, exec_lo, s17
	s_and_saveexec_b32 s17, s22
	s_cbranch_execnz .LBB289_919
.LBB289_851:                            ;   in Loop: Header=BB289_722 Depth=2
	s_or_b32 exec_lo, exec_lo, s17
	s_and_saveexec_b32 s17, s23
	s_cbranch_execnz .LBB289_920
.LBB289_852:                            ;   in Loop: Header=BB289_722 Depth=2
	s_or_b32 exec_lo, exec_lo, s17
	s_and_saveexec_b32 s17, s24
	s_cbranch_execnz .LBB289_921
.LBB289_853:                            ;   in Loop: Header=BB289_722 Depth=2
	s_or_b32 exec_lo, exec_lo, s17
	s_and_saveexec_b32 s17, s25
	s_cbranch_execnz .LBB289_922
.LBB289_854:                            ;   in Loop: Header=BB289_722 Depth=2
	s_or_b32 exec_lo, exec_lo, s17
	s_and_saveexec_b32 s17, s26
	s_cbranch_execnz .LBB289_923
.LBB289_855:                            ;   in Loop: Header=BB289_722 Depth=2
	s_or_b32 exec_lo, exec_lo, s17
	s_and_saveexec_b32 s17, s27
	s_cbranch_execnz .LBB289_924
.LBB289_856:                            ;   in Loop: Header=BB289_722 Depth=2
	s_or_b32 exec_lo, exec_lo, s17
	s_and_saveexec_b32 s17, s28
	s_cbranch_execnz .LBB289_925
.LBB289_857:                            ;   in Loop: Header=BB289_722 Depth=2
	s_or_b32 exec_lo, exec_lo, s17
	s_and_saveexec_b32 s17, s29
	s_cbranch_execnz .LBB289_926
.LBB289_858:                            ;   in Loop: Header=BB289_722 Depth=2
	s_or_b32 exec_lo, exec_lo, s17
	s_and_saveexec_b32 s17, s30
	s_cbranch_execnz .LBB289_927
.LBB289_859:                            ;   in Loop: Header=BB289_722 Depth=2
	s_or_b32 exec_lo, exec_lo, s17
	s_and_saveexec_b32 s17, s31
	s_cbranch_execnz .LBB289_928
.LBB289_860:                            ;   in Loop: Header=BB289_722 Depth=2
	s_or_b32 exec_lo, exec_lo, s17
	s_and_saveexec_b32 s17, s33
	s_cbranch_execz .LBB289_862
.LBB289_861:                            ;   in Loop: Header=BB289_722 Depth=2
	v_dual_lshlrev_b32 v62, 2, v116 :: v_dual_add_nc_u32 v63, v2, v95
	ds_load_b32 v64, v62
	ds_load_b64 v[62:63], v63 offset:33280
	s_wait_dscnt 0x1
	v_add_nc_u32_e32 v64, v64, v82
	s_wait_dscnt 0x0
	global_store_b64 v64, v[62:63], s[44:45] scale_offset
.LBB289_862:                            ;   in Loop: Header=BB289_722 Depth=2
	s_wait_xcnt 0x0
	s_or_b32 exec_lo, exec_lo, s17
	s_wait_storecnt 0x0
	s_barrier_signal -1
	s_barrier_wait -1
	s_and_saveexec_b32 s17, s0
	s_cbranch_execz .LBB289_721
; %bb.863:                              ;   in Loop: Header=BB289_722 Depth=2
	ds_load_b32 v62, v66
	s_wait_dscnt 0x0
	v_add3_u32 v62, v133, v134, v62
	ds_store_b32 v66, v62
	s_branch .LBB289_721
.LBB289_864:                            ;   in Loop: Header=BB289_722 Depth=2
	ds_load_u8 v62, v2 offset:512
	s_wait_dscnt 0x0
	v_and_b32_e32 v63, 0xff, v62
	v_xor_b32_e32 v62, 0x7f, v62
	s_delay_alu instid0(VALU_DEP_2) | instskip(NEXT) | instid1(VALU_DEP_1)
	v_lshrrev_b32_e32 v63, s49, v63
	v_and_b32_e32 v63, s58, v63
	s_delay_alu instid0(VALU_DEP_1)
	v_lshlrev_b32_e32 v63, 2, v63
	ds_load_b32 v63, v63
	s_wait_dscnt 0x0
	v_add_nc_u32_e32 v63, v63, v2
	global_store_b8 v63, v62, s[38:39]
	s_wait_xcnt 0x0
	s_or_b32 exec_lo, exec_lo, s17
	v_cmp_lt_u32_e64 s17, v67, v137
	s_and_saveexec_b32 s18, s17
	s_cbranch_execz .LBB289_793
.LBB289_865:                            ;   in Loop: Header=BB289_722 Depth=2
	ds_load_u8 v62, v2 offset:768
	s_wait_dscnt 0x0
	v_and_b32_e32 v63, 0xff, v62
	v_xor_b32_e32 v62, 0x7f, v62
	s_delay_alu instid0(VALU_DEP_2) | instskip(NEXT) | instid1(VALU_DEP_1)
	v_lshrrev_b32_e32 v63, s49, v63
	v_and_b32_e32 v63, s58, v63
	s_delay_alu instid0(VALU_DEP_1)
	v_lshlrev_b32_e32 v63, 2, v63
	ds_load_b32 v63, v63
	s_wait_dscnt 0x0
	v_add_nc_u32_e32 v63, v63, v67
	global_store_b8 v63, v62, s[38:39]
	s_wait_xcnt 0x0
	s_or_b32 exec_lo, exec_lo, s18
	v_cmp_lt_u32_e64 s18, v68, v137
	s_and_saveexec_b32 s19, s18
	s_cbranch_execz .LBB289_794
.LBB289_866:                            ;   in Loop: Header=BB289_722 Depth=2
	ds_load_u8 v62, v2 offset:1024
	s_wait_dscnt 0x0
	v_and_b32_e32 v63, 0xff, v62
	v_xor_b32_e32 v62, 0x7f, v62
	s_delay_alu instid0(VALU_DEP_2) | instskip(NEXT) | instid1(VALU_DEP_1)
	v_lshrrev_b32_e32 v63, s49, v63
	v_and_b32_e32 v63, s58, v63
	s_delay_alu instid0(VALU_DEP_1)
	v_lshlrev_b32_e32 v63, 2, v63
	ds_load_b32 v63, v63
	s_wait_dscnt 0x0
	v_add_nc_u32_e32 v63, v63, v68
	global_store_b8 v63, v62, s[38:39]
	s_wait_xcnt 0x0
	s_or_b32 exec_lo, exec_lo, s19
	v_cmp_lt_u32_e64 s19, v69, v137
	s_and_saveexec_b32 s20, s19
	s_cbranch_execz .LBB289_795
.LBB289_867:                            ;   in Loop: Header=BB289_722 Depth=2
	ds_load_u8 v62, v2 offset:1280
	s_wait_dscnt 0x0
	v_and_b32_e32 v63, 0xff, v62
	v_xor_b32_e32 v62, 0x7f, v62
	s_delay_alu instid0(VALU_DEP_2) | instskip(NEXT) | instid1(VALU_DEP_1)
	v_lshrrev_b32_e32 v63, s49, v63
	v_and_b32_e32 v63, s58, v63
	s_delay_alu instid0(VALU_DEP_1)
	v_lshlrev_b32_e32 v63, 2, v63
	ds_load_b32 v63, v63
	s_wait_dscnt 0x0
	v_add_nc_u32_e32 v63, v63, v69
	global_store_b8 v63, v62, s[38:39]
	s_wait_xcnt 0x0
	s_or_b32 exec_lo, exec_lo, s20
	v_cmp_lt_u32_e64 s20, v70, v137
	s_and_saveexec_b32 s21, s20
	s_cbranch_execz .LBB289_796
.LBB289_868:                            ;   in Loop: Header=BB289_722 Depth=2
	ds_load_u8 v62, v2 offset:1536
	s_wait_dscnt 0x0
	v_and_b32_e32 v63, 0xff, v62
	v_xor_b32_e32 v62, 0x7f, v62
	s_delay_alu instid0(VALU_DEP_2) | instskip(NEXT) | instid1(VALU_DEP_1)
	v_lshrrev_b32_e32 v63, s49, v63
	v_and_b32_e32 v63, s58, v63
	s_delay_alu instid0(VALU_DEP_1)
	v_lshlrev_b32_e32 v63, 2, v63
	ds_load_b32 v63, v63
	s_wait_dscnt 0x0
	v_add_nc_u32_e32 v63, v63, v70
	global_store_b8 v63, v62, s[38:39]
	s_wait_xcnt 0x0
	s_or_b32 exec_lo, exec_lo, s21
	v_cmp_lt_u32_e64 s21, v71, v137
	s_and_saveexec_b32 s22, s21
	s_cbranch_execz .LBB289_797
.LBB289_869:                            ;   in Loop: Header=BB289_722 Depth=2
	ds_load_u8 v62, v2 offset:1792
	s_wait_dscnt 0x0
	v_and_b32_e32 v63, 0xff, v62
	v_xor_b32_e32 v62, 0x7f, v62
	s_delay_alu instid0(VALU_DEP_2) | instskip(NEXT) | instid1(VALU_DEP_1)
	v_lshrrev_b32_e32 v63, s49, v63
	v_and_b32_e32 v63, s58, v63
	s_delay_alu instid0(VALU_DEP_1)
	v_lshlrev_b32_e32 v63, 2, v63
	ds_load_b32 v63, v63
	s_wait_dscnt 0x0
	v_add_nc_u32_e32 v63, v63, v71
	global_store_b8 v63, v62, s[38:39]
	s_wait_xcnt 0x0
	s_or_b32 exec_lo, exec_lo, s22
	v_cmp_lt_u32_e64 s22, v72, v137
	s_and_saveexec_b32 s23, s22
	s_cbranch_execz .LBB289_798
.LBB289_870:                            ;   in Loop: Header=BB289_722 Depth=2
	ds_load_u8 v62, v2 offset:2048
	s_wait_dscnt 0x0
	v_and_b32_e32 v63, 0xff, v62
	v_xor_b32_e32 v62, 0x7f, v62
	s_delay_alu instid0(VALU_DEP_2) | instskip(NEXT) | instid1(VALU_DEP_1)
	v_lshrrev_b32_e32 v63, s49, v63
	v_and_b32_e32 v63, s58, v63
	s_delay_alu instid0(VALU_DEP_1)
	v_lshlrev_b32_e32 v63, 2, v63
	ds_load_b32 v63, v63
	s_wait_dscnt 0x0
	v_add_nc_u32_e32 v63, v63, v72
	global_store_b8 v63, v62, s[38:39]
	s_wait_xcnt 0x0
	s_or_b32 exec_lo, exec_lo, s23
	v_cmp_lt_u32_e64 s23, v73, v137
	s_and_saveexec_b32 s24, s23
	s_cbranch_execz .LBB289_799
.LBB289_871:                            ;   in Loop: Header=BB289_722 Depth=2
	ds_load_u8 v62, v2 offset:2304
	s_wait_dscnt 0x0
	v_and_b32_e32 v63, 0xff, v62
	v_xor_b32_e32 v62, 0x7f, v62
	s_delay_alu instid0(VALU_DEP_2) | instskip(NEXT) | instid1(VALU_DEP_1)
	v_lshrrev_b32_e32 v63, s49, v63
	v_and_b32_e32 v63, s58, v63
	s_delay_alu instid0(VALU_DEP_1)
	v_lshlrev_b32_e32 v63, 2, v63
	ds_load_b32 v63, v63
	s_wait_dscnt 0x0
	v_add_nc_u32_e32 v63, v63, v73
	global_store_b8 v63, v62, s[38:39]
	s_wait_xcnt 0x0
	s_or_b32 exec_lo, exec_lo, s24
	v_cmp_lt_u32_e64 s24, v74, v137
	s_and_saveexec_b32 s25, s24
	s_cbranch_execz .LBB289_800
.LBB289_872:                            ;   in Loop: Header=BB289_722 Depth=2
	ds_load_u8 v62, v2 offset:2560
	s_wait_dscnt 0x0
	v_and_b32_e32 v63, 0xff, v62
	v_xor_b32_e32 v62, 0x7f, v62
	s_delay_alu instid0(VALU_DEP_2) | instskip(NEXT) | instid1(VALU_DEP_1)
	v_lshrrev_b32_e32 v63, s49, v63
	v_and_b32_e32 v63, s58, v63
	s_delay_alu instid0(VALU_DEP_1)
	v_lshlrev_b32_e32 v63, 2, v63
	ds_load_b32 v63, v63
	s_wait_dscnt 0x0
	v_add_nc_u32_e32 v63, v63, v74
	global_store_b8 v63, v62, s[38:39]
	s_wait_xcnt 0x0
	s_or_b32 exec_lo, exec_lo, s25
	v_cmp_lt_u32_e64 s25, v75, v137
	s_and_saveexec_b32 s26, s25
	s_cbranch_execz .LBB289_801
.LBB289_873:                            ;   in Loop: Header=BB289_722 Depth=2
	ds_load_u8 v62, v2 offset:2816
	s_wait_dscnt 0x0
	v_and_b32_e32 v63, 0xff, v62
	v_xor_b32_e32 v62, 0x7f, v62
	s_delay_alu instid0(VALU_DEP_2) | instskip(NEXT) | instid1(VALU_DEP_1)
	v_lshrrev_b32_e32 v63, s49, v63
	v_and_b32_e32 v63, s58, v63
	s_delay_alu instid0(VALU_DEP_1)
	v_lshlrev_b32_e32 v63, 2, v63
	ds_load_b32 v63, v63
	s_wait_dscnt 0x0
	v_add_nc_u32_e32 v63, v63, v75
	global_store_b8 v63, v62, s[38:39]
	s_wait_xcnt 0x0
	s_or_b32 exec_lo, exec_lo, s26
	v_cmp_lt_u32_e64 s26, v76, v137
	s_and_saveexec_b32 s27, s26
	s_cbranch_execz .LBB289_802
.LBB289_874:                            ;   in Loop: Header=BB289_722 Depth=2
	ds_load_u8 v62, v2 offset:3072
	s_wait_dscnt 0x0
	v_and_b32_e32 v63, 0xff, v62
	v_xor_b32_e32 v62, 0x7f, v62
	s_delay_alu instid0(VALU_DEP_2) | instskip(NEXT) | instid1(VALU_DEP_1)
	v_lshrrev_b32_e32 v63, s49, v63
	v_and_b32_e32 v63, s58, v63
	s_delay_alu instid0(VALU_DEP_1)
	v_lshlrev_b32_e32 v63, 2, v63
	ds_load_b32 v63, v63
	s_wait_dscnt 0x0
	v_add_nc_u32_e32 v63, v63, v76
	global_store_b8 v63, v62, s[38:39]
	s_wait_xcnt 0x0
	s_or_b32 exec_lo, exec_lo, s27
	v_cmp_lt_u32_e64 s27, v77, v137
	s_and_saveexec_b32 s28, s27
	s_cbranch_execz .LBB289_803
.LBB289_875:                            ;   in Loop: Header=BB289_722 Depth=2
	ds_load_u8 v62, v2 offset:3328
	s_wait_dscnt 0x0
	v_and_b32_e32 v63, 0xff, v62
	v_xor_b32_e32 v62, 0x7f, v62
	s_delay_alu instid0(VALU_DEP_2) | instskip(NEXT) | instid1(VALU_DEP_1)
	v_lshrrev_b32_e32 v63, s49, v63
	v_and_b32_e32 v63, s58, v63
	s_delay_alu instid0(VALU_DEP_1)
	v_lshlrev_b32_e32 v63, 2, v63
	ds_load_b32 v63, v63
	s_wait_dscnt 0x0
	v_add_nc_u32_e32 v63, v63, v77
	global_store_b8 v63, v62, s[38:39]
	s_wait_xcnt 0x0
	s_or_b32 exec_lo, exec_lo, s28
	v_cmp_lt_u32_e64 s28, v78, v137
	s_and_saveexec_b32 s29, s28
	s_cbranch_execz .LBB289_804
.LBB289_876:                            ;   in Loop: Header=BB289_722 Depth=2
	ds_load_u8 v62, v2 offset:3584
	s_wait_dscnt 0x0
	v_and_b32_e32 v63, 0xff, v62
	v_xor_b32_e32 v62, 0x7f, v62
	s_delay_alu instid0(VALU_DEP_2) | instskip(NEXT) | instid1(VALU_DEP_1)
	v_lshrrev_b32_e32 v63, s49, v63
	v_and_b32_e32 v63, s58, v63
	s_delay_alu instid0(VALU_DEP_1)
	v_lshlrev_b32_e32 v63, 2, v63
	ds_load_b32 v63, v63
	s_wait_dscnt 0x0
	v_add_nc_u32_e32 v63, v63, v78
	global_store_b8 v63, v62, s[38:39]
	s_wait_xcnt 0x0
	s_or_b32 exec_lo, exec_lo, s29
	v_cmp_lt_u32_e64 s29, v79, v137
	s_and_saveexec_b32 s30, s29
	s_cbranch_execz .LBB289_805
.LBB289_877:                            ;   in Loop: Header=BB289_722 Depth=2
	ds_load_u8 v62, v2 offset:3840
	s_wait_dscnt 0x0
	v_and_b32_e32 v63, 0xff, v62
	v_xor_b32_e32 v62, 0x7f, v62
	s_delay_alu instid0(VALU_DEP_2) | instskip(NEXT) | instid1(VALU_DEP_1)
	v_lshrrev_b32_e32 v63, s49, v63
	v_and_b32_e32 v63, s58, v63
	s_delay_alu instid0(VALU_DEP_1)
	v_lshlrev_b32_e32 v63, 2, v63
	ds_load_b32 v63, v63
	s_wait_dscnt 0x0
	v_add_nc_u32_e32 v63, v63, v79
	global_store_b8 v63, v62, s[38:39]
	s_wait_xcnt 0x0
	s_or_b32 exec_lo, exec_lo, s30
	v_cmp_lt_u32_e64 s30, v80, v137
	s_and_saveexec_b32 s31, s30
	s_cbranch_execz .LBB289_806
.LBB289_878:                            ;   in Loop: Header=BB289_722 Depth=2
	ds_load_u8 v62, v2 offset:4096
	s_wait_dscnt 0x0
	v_and_b32_e32 v63, 0xff, v62
	v_xor_b32_e32 v62, 0x7f, v62
	s_delay_alu instid0(VALU_DEP_2) | instskip(NEXT) | instid1(VALU_DEP_1)
	v_lshrrev_b32_e32 v63, s49, v63
	v_and_b32_e32 v63, s58, v63
	s_delay_alu instid0(VALU_DEP_1)
	v_lshlrev_b32_e32 v63, 2, v63
	ds_load_b32 v63, v63
	s_wait_dscnt 0x0
	v_add_nc_u32_e32 v63, v63, v80
	global_store_b8 v63, v62, s[38:39]
	s_wait_xcnt 0x0
	s_or_b32 exec_lo, exec_lo, s31
	v_cmp_lt_u32_e64 s31, v81, v137
	s_and_saveexec_b32 s33, s31
	s_cbranch_execz .LBB289_807
.LBB289_879:                            ;   in Loop: Header=BB289_722 Depth=2
	ds_load_u8 v62, v2 offset:4352
	s_wait_dscnt 0x0
	v_and_b32_e32 v63, 0xff, v62
	v_xor_b32_e32 v62, 0x7f, v62
	s_delay_alu instid0(VALU_DEP_2) | instskip(NEXT) | instid1(VALU_DEP_1)
	v_lshrrev_b32_e32 v63, s49, v63
	v_and_b32_e32 v63, s58, v63
	s_delay_alu instid0(VALU_DEP_1)
	v_lshlrev_b32_e32 v63, 2, v63
	ds_load_b32 v63, v63
	s_wait_dscnt 0x0
	v_add_nc_u32_e32 v63, v63, v81
	global_store_b8 v63, v62, s[38:39]
	s_wait_xcnt 0x0
	s_or_b32 exec_lo, exec_lo, s33
	v_cmp_lt_u32_e64 s33, v82, v137
	s_and_saveexec_b32 s61, s33
	s_cbranch_execnz .LBB289_808
	s_branch .LBB289_809
.LBB289_880:                            ;   in Loop: Header=BB289_722 Depth=2
	global_load_b64 v[60:61], v[62:63], off
	s_wait_xcnt 0x0
	s_or_b32 exec_lo, exec_lo, s34
	s_delay_alu instid0(SALU_CYCLE_1)
	s_mov_b32 s61, exec_lo
	v_cmpx_lt_u32_e64 v98, v137
	s_cbranch_execz .LBB289_811
.LBB289_881:                            ;   in Loop: Header=BB289_722 Depth=2
	global_load_b64 v[58:59], v[62:63], off offset:256
	s_wait_xcnt 0x0
	s_or_b32 exec_lo, exec_lo, s61
	s_delay_alu instid0(SALU_CYCLE_1)
	s_mov_b32 s61, exec_lo
	v_cmpx_lt_u32_e64 v99, v137
	s_cbranch_execz .LBB289_812
.LBB289_882:                            ;   in Loop: Header=BB289_722 Depth=2
	global_load_b64 v[56:57], v[62:63], off offset:512
	s_wait_xcnt 0x0
	s_or_b32 exec_lo, exec_lo, s61
	s_delay_alu instid0(SALU_CYCLE_1)
	s_mov_b32 s61, exec_lo
	v_cmpx_lt_u32_e64 v100, v137
	s_cbranch_execz .LBB289_813
.LBB289_883:                            ;   in Loop: Header=BB289_722 Depth=2
	global_load_b64 v[54:55], v[62:63], off offset:768
	s_wait_xcnt 0x0
	s_or_b32 exec_lo, exec_lo, s61
	s_delay_alu instid0(SALU_CYCLE_1)
	s_mov_b32 s61, exec_lo
	v_cmpx_lt_u32_e64 v101, v137
	s_cbranch_execz .LBB289_814
.LBB289_884:                            ;   in Loop: Header=BB289_722 Depth=2
	global_load_b64 v[52:53], v[62:63], off offset:1024
	s_wait_xcnt 0x0
	s_or_b32 exec_lo, exec_lo, s61
	s_delay_alu instid0(SALU_CYCLE_1)
	s_mov_b32 s61, exec_lo
	v_cmpx_lt_u32_e64 v102, v137
	s_cbranch_execz .LBB289_815
.LBB289_885:                            ;   in Loop: Header=BB289_722 Depth=2
	global_load_b64 v[50:51], v[62:63], off offset:1280
	s_wait_xcnt 0x0
	s_or_b32 exec_lo, exec_lo, s61
	s_delay_alu instid0(SALU_CYCLE_1)
	s_mov_b32 s61, exec_lo
	v_cmpx_lt_u32_e64 v103, v137
	s_cbranch_execz .LBB289_816
.LBB289_886:                            ;   in Loop: Header=BB289_722 Depth=2
	global_load_b64 v[48:49], v[62:63], off offset:1536
	s_wait_xcnt 0x0
	s_or_b32 exec_lo, exec_lo, s61
	s_delay_alu instid0(SALU_CYCLE_1)
	s_mov_b32 s61, exec_lo
	v_cmpx_lt_u32_e64 v104, v137
	s_cbranch_execz .LBB289_817
.LBB289_887:                            ;   in Loop: Header=BB289_722 Depth=2
	global_load_b64 v[46:47], v[62:63], off offset:1792
	s_wait_xcnt 0x0
	s_or_b32 exec_lo, exec_lo, s61
	s_delay_alu instid0(SALU_CYCLE_1)
	s_mov_b32 s61, exec_lo
	v_cmpx_lt_u32_e64 v105, v137
	s_cbranch_execz .LBB289_818
.LBB289_888:                            ;   in Loop: Header=BB289_722 Depth=2
	global_load_b64 v[44:45], v[62:63], off offset:2048
	s_wait_xcnt 0x0
	s_or_b32 exec_lo, exec_lo, s61
	s_delay_alu instid0(SALU_CYCLE_1)
	s_mov_b32 s61, exec_lo
	v_cmpx_lt_u32_e64 v106, v137
	s_cbranch_execz .LBB289_819
.LBB289_889:                            ;   in Loop: Header=BB289_722 Depth=2
	global_load_b64 v[42:43], v[62:63], off offset:2304
	s_wait_xcnt 0x0
	s_or_b32 exec_lo, exec_lo, s61
	s_delay_alu instid0(SALU_CYCLE_1)
	s_mov_b32 s61, exec_lo
	v_cmpx_lt_u32_e64 v107, v137
	s_cbranch_execz .LBB289_820
.LBB289_890:                            ;   in Loop: Header=BB289_722 Depth=2
	global_load_b64 v[40:41], v[62:63], off offset:2560
	s_wait_xcnt 0x0
	s_or_b32 exec_lo, exec_lo, s61
	s_delay_alu instid0(SALU_CYCLE_1)
	s_mov_b32 s61, exec_lo
	v_cmpx_lt_u32_e64 v108, v137
	s_cbranch_execz .LBB289_821
.LBB289_891:                            ;   in Loop: Header=BB289_722 Depth=2
	global_load_b64 v[38:39], v[62:63], off offset:2816
	s_wait_xcnt 0x0
	s_or_b32 exec_lo, exec_lo, s61
	s_delay_alu instid0(SALU_CYCLE_1)
	s_mov_b32 s61, exec_lo
	v_cmpx_lt_u32_e64 v109, v137
	s_cbranch_execz .LBB289_822
.LBB289_892:                            ;   in Loop: Header=BB289_722 Depth=2
	global_load_b64 v[36:37], v[62:63], off offset:3072
	s_wait_xcnt 0x0
	s_or_b32 exec_lo, exec_lo, s61
	s_delay_alu instid0(SALU_CYCLE_1)
	s_mov_b32 s61, exec_lo
	v_cmpx_lt_u32_e64 v110, v137
	s_cbranch_execz .LBB289_823
.LBB289_893:                            ;   in Loop: Header=BB289_722 Depth=2
	global_load_b64 v[34:35], v[62:63], off offset:3328
	s_wait_xcnt 0x0
	s_or_b32 exec_lo, exec_lo, s61
	s_delay_alu instid0(SALU_CYCLE_1)
	s_mov_b32 s61, exec_lo
	v_cmpx_lt_u32_e64 v111, v137
	s_cbranch_execz .LBB289_824
.LBB289_894:                            ;   in Loop: Header=BB289_722 Depth=2
	global_load_b64 v[32:33], v[62:63], off offset:3584
	s_wait_xcnt 0x0
	s_or_b32 exec_lo, exec_lo, s61
	s_delay_alu instid0(SALU_CYCLE_1)
	s_mov_b32 s61, exec_lo
	v_cmpx_lt_u32_e64 v112, v137
	s_cbranch_execz .LBB289_825
.LBB289_895:                            ;   in Loop: Header=BB289_722 Depth=2
	global_load_b64 v[30:31], v[62:63], off offset:3840
	s_wait_xcnt 0x0
	s_or_b32 exec_lo, exec_lo, s61
	s_delay_alu instid0(SALU_CYCLE_1)
	s_mov_b32 s61, exec_lo
	v_cmpx_lt_u32_e64 v113, v137
	s_cbranch_execz .LBB289_826
.LBB289_896:                            ;   in Loop: Header=BB289_722 Depth=2
	global_load_b64 v[28:29], v[62:63], off offset:4096
	s_wait_xcnt 0x0
	s_or_b32 exec_lo, exec_lo, s61
	s_and_saveexec_b32 s34, vcc_lo
	s_cbranch_execz .LBB289_827
.LBB289_897:                            ;   in Loop: Header=BB289_722 Depth=2
	ds_load_u8 v62, v2 offset:512
	s_wait_dscnt 0x0
	v_lshrrev_b32_e32 v62, s49, v62
	s_delay_alu instid0(VALU_DEP_1)
	v_and_b32_e32 v132, s58, v62
	s_or_b32 exec_lo, exec_lo, s34
	s_and_saveexec_b32 s34, s17
	s_cbranch_execz .LBB289_828
.LBB289_898:                            ;   in Loop: Header=BB289_722 Depth=2
	ds_load_u8 v62, v2 offset:768
	s_wait_dscnt 0x0
	v_lshrrev_b32_e32 v62, s49, v62
	s_delay_alu instid0(VALU_DEP_1)
	v_and_b32_e32 v131, s58, v62
	s_or_b32 exec_lo, exec_lo, s34
	s_and_saveexec_b32 s34, s18
	s_cbranch_execz .LBB289_829
.LBB289_899:                            ;   in Loop: Header=BB289_722 Depth=2
	ds_load_u8 v62, v2 offset:1024
	s_wait_dscnt 0x0
	v_lshrrev_b32_e32 v62, s49, v62
	s_delay_alu instid0(VALU_DEP_1)
	v_and_b32_e32 v130, s58, v62
	s_or_b32 exec_lo, exec_lo, s34
	s_and_saveexec_b32 s34, s19
	s_cbranch_execz .LBB289_830
.LBB289_900:                            ;   in Loop: Header=BB289_722 Depth=2
	ds_load_u8 v62, v2 offset:1280
	s_wait_dscnt 0x0
	v_lshrrev_b32_e32 v62, s49, v62
	s_delay_alu instid0(VALU_DEP_1)
	v_and_b32_e32 v129, s58, v62
	s_or_b32 exec_lo, exec_lo, s34
	s_and_saveexec_b32 s34, s20
	s_cbranch_execz .LBB289_831
.LBB289_901:                            ;   in Loop: Header=BB289_722 Depth=2
	ds_load_u8 v62, v2 offset:1536
	s_wait_dscnt 0x0
	v_lshrrev_b32_e32 v62, s49, v62
	s_delay_alu instid0(VALU_DEP_1)
	v_and_b32_e32 v128, s58, v62
	s_or_b32 exec_lo, exec_lo, s34
	s_and_saveexec_b32 s34, s21
	s_cbranch_execz .LBB289_832
.LBB289_902:                            ;   in Loop: Header=BB289_722 Depth=2
	ds_load_u8 v62, v2 offset:1792
	s_wait_dscnt 0x0
	v_lshrrev_b32_e32 v62, s49, v62
	s_delay_alu instid0(VALU_DEP_1)
	v_and_b32_e32 v127, s58, v62
	s_or_b32 exec_lo, exec_lo, s34
	s_and_saveexec_b32 s34, s22
	s_cbranch_execz .LBB289_833
.LBB289_903:                            ;   in Loop: Header=BB289_722 Depth=2
	ds_load_u8 v62, v2 offset:2048
	s_wait_dscnt 0x0
	v_lshrrev_b32_e32 v62, s49, v62
	s_delay_alu instid0(VALU_DEP_1)
	v_and_b32_e32 v126, s58, v62
	s_or_b32 exec_lo, exec_lo, s34
	s_and_saveexec_b32 s34, s23
	s_cbranch_execz .LBB289_834
.LBB289_904:                            ;   in Loop: Header=BB289_722 Depth=2
	ds_load_u8 v62, v2 offset:2304
	s_wait_dscnt 0x0
	v_lshrrev_b32_e32 v62, s49, v62
	s_delay_alu instid0(VALU_DEP_1)
	v_and_b32_e32 v125, s58, v62
	s_or_b32 exec_lo, exec_lo, s34
	s_and_saveexec_b32 s34, s24
	s_cbranch_execz .LBB289_835
.LBB289_905:                            ;   in Loop: Header=BB289_722 Depth=2
	ds_load_u8 v62, v2 offset:2560
	s_wait_dscnt 0x0
	v_lshrrev_b32_e32 v62, s49, v62
	s_delay_alu instid0(VALU_DEP_1)
	v_and_b32_e32 v124, s58, v62
	s_or_b32 exec_lo, exec_lo, s34
	s_and_saveexec_b32 s34, s25
	s_cbranch_execz .LBB289_836
.LBB289_906:                            ;   in Loop: Header=BB289_722 Depth=2
	ds_load_u8 v62, v2 offset:2816
	s_wait_dscnt 0x0
	v_lshrrev_b32_e32 v62, s49, v62
	s_delay_alu instid0(VALU_DEP_1)
	v_and_b32_e32 v123, s58, v62
	s_or_b32 exec_lo, exec_lo, s34
	s_and_saveexec_b32 s34, s26
	s_cbranch_execz .LBB289_837
.LBB289_907:                            ;   in Loop: Header=BB289_722 Depth=2
	ds_load_u8 v62, v2 offset:3072
	s_wait_dscnt 0x0
	v_lshrrev_b32_e32 v62, s49, v62
	s_delay_alu instid0(VALU_DEP_1)
	v_and_b32_e32 v122, s58, v62
	s_or_b32 exec_lo, exec_lo, s34
	s_and_saveexec_b32 s34, s27
	s_cbranch_execz .LBB289_838
.LBB289_908:                            ;   in Loop: Header=BB289_722 Depth=2
	ds_load_u8 v62, v2 offset:3328
	s_wait_dscnt 0x0
	v_lshrrev_b32_e32 v62, s49, v62
	s_delay_alu instid0(VALU_DEP_1)
	v_and_b32_e32 v121, s58, v62
	s_or_b32 exec_lo, exec_lo, s34
	s_and_saveexec_b32 s34, s28
	s_cbranch_execz .LBB289_839
.LBB289_909:                            ;   in Loop: Header=BB289_722 Depth=2
	ds_load_u8 v62, v2 offset:3584
	s_wait_dscnt 0x0
	v_lshrrev_b32_e32 v62, s49, v62
	s_delay_alu instid0(VALU_DEP_1)
	v_and_b32_e32 v120, s58, v62
	s_or_b32 exec_lo, exec_lo, s34
	s_and_saveexec_b32 s34, s29
	s_cbranch_execz .LBB289_840
.LBB289_910:                            ;   in Loop: Header=BB289_722 Depth=2
	ds_load_u8 v62, v2 offset:3840
	s_wait_dscnt 0x0
	v_lshrrev_b32_e32 v62, s49, v62
	s_delay_alu instid0(VALU_DEP_1)
	v_and_b32_e32 v119, s58, v62
	s_or_b32 exec_lo, exec_lo, s34
	s_and_saveexec_b32 s34, s30
	s_cbranch_execz .LBB289_841
.LBB289_911:                            ;   in Loop: Header=BB289_722 Depth=2
	ds_load_u8 v62, v2 offset:4096
	s_wait_dscnt 0x0
	v_lshrrev_b32_e32 v62, s49, v62
	s_delay_alu instid0(VALU_DEP_1)
	v_and_b32_e32 v118, s58, v62
	s_or_b32 exec_lo, exec_lo, s34
	s_and_saveexec_b32 s34, s31
	s_cbranch_execz .LBB289_842
.LBB289_912:                            ;   in Loop: Header=BB289_722 Depth=2
	ds_load_u8 v62, v2 offset:4352
	s_wait_dscnt 0x0
	v_lshrrev_b32_e32 v62, s49, v62
	s_delay_alu instid0(VALU_DEP_1)
	v_and_b32_e32 v117, s58, v62
	s_or_b32 exec_lo, exec_lo, s34
	s_and_saveexec_b32 s34, s33
	s_cbranch_execnz .LBB289_843
	s_branch .LBB289_844
.LBB289_913:                            ;   in Loop: Header=BB289_722 Depth=2
	v_dual_lshlrev_b32 v62, 2, v132 :: v_dual_add_nc_u32 v63, v2, v95
	ds_load_b32 v64, v62
	ds_load_b64 v[62:63], v63 offset:512
	s_wait_dscnt 0x1
	v_add_nc_u32_e32 v64, v64, v2
	s_wait_dscnt 0x0
	global_store_b64 v64, v[62:63], s[44:45] scale_offset
	s_wait_xcnt 0x0
	s_or_b32 exec_lo, exec_lo, s34
	s_and_saveexec_b32 s34, s17
	s_cbranch_execz .LBB289_846
.LBB289_914:                            ;   in Loop: Header=BB289_722 Depth=2
	v_lshlrev_b32_e32 v62, 2, v131
	v_add_nc_u32_e32 v63, v2, v95
	ds_load_b32 v64, v62
	ds_load_b64 v[62:63], v63 offset:2560
	s_wait_dscnt 0x1
	v_add_nc_u32_e32 v64, v64, v67
	s_wait_dscnt 0x0
	global_store_b64 v64, v[62:63], s[44:45] scale_offset
	s_wait_xcnt 0x0
	s_or_b32 exec_lo, exec_lo, s34
	s_and_saveexec_b32 s17, s18
	s_cbranch_execz .LBB289_847
.LBB289_915:                            ;   in Loop: Header=BB289_722 Depth=2
	v_dual_lshlrev_b32 v62, 2, v130 :: v_dual_add_nc_u32 v63, v2, v95
	ds_load_b32 v64, v62
	ds_load_b64 v[62:63], v63 offset:4608
	s_wait_dscnt 0x1
	v_add_nc_u32_e32 v64, v64, v68
	s_wait_dscnt 0x0
	global_store_b64 v64, v[62:63], s[44:45] scale_offset
	s_wait_xcnt 0x0
	s_or_b32 exec_lo, exec_lo, s17
	s_and_saveexec_b32 s17, s19
	s_cbranch_execz .LBB289_848
.LBB289_916:                            ;   in Loop: Header=BB289_722 Depth=2
	v_dual_lshlrev_b32 v62, 2, v129 :: v_dual_add_nc_u32 v63, v2, v95
	ds_load_b32 v64, v62
	ds_load_b64 v[62:63], v63 offset:6656
	s_wait_dscnt 0x1
	v_add_nc_u32_e32 v64, v64, v69
	s_wait_dscnt 0x0
	global_store_b64 v64, v[62:63], s[44:45] scale_offset
	s_wait_xcnt 0x0
	s_or_b32 exec_lo, exec_lo, s17
	s_and_saveexec_b32 s17, s20
	s_cbranch_execz .LBB289_849
.LBB289_917:                            ;   in Loop: Header=BB289_722 Depth=2
	v_dual_lshlrev_b32 v62, 2, v128 :: v_dual_add_nc_u32 v63, v2, v95
	ds_load_b32 v64, v62
	ds_load_b64 v[62:63], v63 offset:8704
	s_wait_dscnt 0x1
	v_add_nc_u32_e32 v64, v64, v70
	s_wait_dscnt 0x0
	global_store_b64 v64, v[62:63], s[44:45] scale_offset
	s_wait_xcnt 0x0
	s_or_b32 exec_lo, exec_lo, s17
	s_and_saveexec_b32 s17, s21
	s_cbranch_execz .LBB289_850
.LBB289_918:                            ;   in Loop: Header=BB289_722 Depth=2
	v_lshlrev_b32_e32 v62, 2, v127
	v_add_nc_u32_e32 v63, v2, v95
	ds_load_b32 v64, v62
	ds_load_b64 v[62:63], v63 offset:10752
	s_wait_dscnt 0x1
	v_add_nc_u32_e32 v64, v64, v71
	s_wait_dscnt 0x0
	global_store_b64 v64, v[62:63], s[44:45] scale_offset
	s_wait_xcnt 0x0
	s_or_b32 exec_lo, exec_lo, s17
	s_and_saveexec_b32 s17, s22
	s_cbranch_execz .LBB289_851
.LBB289_919:                            ;   in Loop: Header=BB289_722 Depth=2
	v_dual_lshlrev_b32 v62, 2, v126 :: v_dual_add_nc_u32 v63, v2, v95
	ds_load_b32 v64, v62
	ds_load_b64 v[62:63], v63 offset:12800
	s_wait_dscnt 0x1
	v_add_nc_u32_e32 v64, v64, v72
	s_wait_dscnt 0x0
	global_store_b64 v64, v[62:63], s[44:45] scale_offset
	s_wait_xcnt 0x0
	s_or_b32 exec_lo, exec_lo, s17
	s_and_saveexec_b32 s17, s23
	s_cbranch_execz .LBB289_852
.LBB289_920:                            ;   in Loop: Header=BB289_722 Depth=2
	v_dual_lshlrev_b32 v62, 2, v125 :: v_dual_add_nc_u32 v63, v2, v95
	ds_load_b32 v64, v62
	ds_load_b64 v[62:63], v63 offset:14848
	s_wait_dscnt 0x1
	v_add_nc_u32_e32 v64, v64, v73
	s_wait_dscnt 0x0
	global_store_b64 v64, v[62:63], s[44:45] scale_offset
	s_wait_xcnt 0x0
	s_or_b32 exec_lo, exec_lo, s17
	s_and_saveexec_b32 s17, s24
	s_cbranch_execz .LBB289_853
.LBB289_921:                            ;   in Loop: Header=BB289_722 Depth=2
	v_dual_lshlrev_b32 v62, 2, v124 :: v_dual_add_nc_u32 v63, v2, v95
	ds_load_b32 v64, v62
	ds_load_b64 v[62:63], v63 offset:16896
	s_wait_dscnt 0x1
	v_add_nc_u32_e32 v64, v64, v74
	s_wait_dscnt 0x0
	global_store_b64 v64, v[62:63], s[44:45] scale_offset
	s_wait_xcnt 0x0
	s_or_b32 exec_lo, exec_lo, s17
	s_and_saveexec_b32 s17, s25
	s_cbranch_execz .LBB289_854
.LBB289_922:                            ;   in Loop: Header=BB289_722 Depth=2
	v_lshlrev_b32_e32 v62, 2, v123
	v_add_nc_u32_e32 v63, v2, v95
	ds_load_b32 v64, v62
	ds_load_b64 v[62:63], v63 offset:18944
	s_wait_dscnt 0x1
	v_add_nc_u32_e32 v64, v64, v75
	s_wait_dscnt 0x0
	global_store_b64 v64, v[62:63], s[44:45] scale_offset
	s_wait_xcnt 0x0
	s_or_b32 exec_lo, exec_lo, s17
	s_and_saveexec_b32 s17, s26
	s_cbranch_execz .LBB289_855
.LBB289_923:                            ;   in Loop: Header=BB289_722 Depth=2
	v_dual_lshlrev_b32 v62, 2, v122 :: v_dual_add_nc_u32 v63, v2, v95
	ds_load_b32 v64, v62
	ds_load_b64 v[62:63], v63 offset:20992
	s_wait_dscnt 0x1
	v_add_nc_u32_e32 v64, v64, v76
	s_wait_dscnt 0x0
	global_store_b64 v64, v[62:63], s[44:45] scale_offset
	s_wait_xcnt 0x0
	s_or_b32 exec_lo, exec_lo, s17
	s_and_saveexec_b32 s17, s27
	s_cbranch_execz .LBB289_856
.LBB289_924:                            ;   in Loop: Header=BB289_722 Depth=2
	v_dual_lshlrev_b32 v62, 2, v121 :: v_dual_add_nc_u32 v63, v2, v95
	ds_load_b32 v64, v62
	ds_load_b64 v[62:63], v63 offset:23040
	s_wait_dscnt 0x1
	v_add_nc_u32_e32 v64, v64, v77
	s_wait_dscnt 0x0
	global_store_b64 v64, v[62:63], s[44:45] scale_offset
	s_wait_xcnt 0x0
	s_or_b32 exec_lo, exec_lo, s17
	s_and_saveexec_b32 s17, s28
	s_cbranch_execz .LBB289_857
.LBB289_925:                            ;   in Loop: Header=BB289_722 Depth=2
	v_dual_lshlrev_b32 v62, 2, v120 :: v_dual_add_nc_u32 v63, v2, v95
	ds_load_b32 v64, v62
	ds_load_b64 v[62:63], v63 offset:25088
	s_wait_dscnt 0x1
	v_add_nc_u32_e32 v64, v64, v78
	s_wait_dscnt 0x0
	global_store_b64 v64, v[62:63], s[44:45] scale_offset
	s_wait_xcnt 0x0
	s_or_b32 exec_lo, exec_lo, s17
	s_and_saveexec_b32 s17, s29
	s_cbranch_execz .LBB289_858
.LBB289_926:                            ;   in Loop: Header=BB289_722 Depth=2
	v_lshlrev_b32_e32 v62, 2, v119
	v_add_nc_u32_e32 v63, v2, v95
	ds_load_b32 v64, v62
	ds_load_b64 v[62:63], v63 offset:27136
	s_wait_dscnt 0x1
	v_add_nc_u32_e32 v64, v64, v79
	s_wait_dscnt 0x0
	global_store_b64 v64, v[62:63], s[44:45] scale_offset
	s_wait_xcnt 0x0
	s_or_b32 exec_lo, exec_lo, s17
	s_and_saveexec_b32 s17, s30
	s_cbranch_execz .LBB289_859
.LBB289_927:                            ;   in Loop: Header=BB289_722 Depth=2
	v_dual_lshlrev_b32 v62, 2, v118 :: v_dual_add_nc_u32 v63, v2, v95
	ds_load_b32 v64, v62
	ds_load_b64 v[62:63], v63 offset:29184
	s_wait_dscnt 0x1
	v_add_nc_u32_e32 v64, v64, v80
	s_wait_dscnt 0x0
	global_store_b64 v64, v[62:63], s[44:45] scale_offset
	s_wait_xcnt 0x0
	s_or_b32 exec_lo, exec_lo, s17
	s_and_saveexec_b32 s17, s31
	s_cbranch_execz .LBB289_860
.LBB289_928:                            ;   in Loop: Header=BB289_722 Depth=2
	v_dual_lshlrev_b32 v62, 2, v117 :: v_dual_add_nc_u32 v63, v2, v95
	ds_load_b32 v64, v62
	ds_load_b64 v[62:63], v63 offset:31232
	s_wait_dscnt 0x1
	v_add_nc_u32_e32 v64, v64, v81
	s_wait_dscnt 0x0
	global_store_b64 v64, v[62:63], s[44:45] scale_offset
	s_wait_xcnt 0x0
	s_or_b32 exec_lo, exec_lo, s17
	s_and_saveexec_b32 s17, s33
	s_cbranch_execnz .LBB289_861
	s_branch .LBB289_862
.LBB289_929:                            ;   in Loop: Header=BB289_722 Depth=2
	global_load_u8 v147, v[62:63], off
	v_dual_mov_b32 v115, 0x80 :: v_dual_mov_b32 v150, 0x80
	v_dual_mov_b32 v148, 0x80 :: v_dual_mov_b32 v151, 0x80
	;; [unrolled: 1-line block ×8, first 2 shown]
	s_wait_xcnt 0x0
	s_or_b32 exec_lo, exec_lo, s17
	s_delay_alu instid0(SALU_CYCLE_1)
	s_mov_b32 s17, exec_lo
	v_cmpx_gt_u32_e64 s59, v98
	s_cbranch_execz .LBB289_727
.LBB289_930:                            ;   in Loop: Header=BB289_722 Depth=2
	global_load_u8 v150, v[62:63], off offset:32
	s_wait_xcnt 0x0
	s_or_b32 exec_lo, exec_lo, s17
	s_delay_alu instid0(SALU_CYCLE_1)
	s_mov_b32 s17, exec_lo
	v_cmpx_gt_u32_e64 s59, v99
	s_cbranch_execz .LBB289_728
.LBB289_931:                            ;   in Loop: Header=BB289_722 Depth=2
	global_load_u8 v148, v[62:63], off offset:64
	s_wait_xcnt 0x0
	s_or_b32 exec_lo, exec_lo, s17
	s_delay_alu instid0(SALU_CYCLE_1)
	s_mov_b32 s17, exec_lo
	v_cmpx_gt_u32_e64 s59, v100
	s_cbranch_execz .LBB289_729
.LBB289_932:                            ;   in Loop: Header=BB289_722 Depth=2
	global_load_u8 v151, v[62:63], off offset:96
	s_wait_xcnt 0x0
	s_or_b32 exec_lo, exec_lo, s17
	s_delay_alu instid0(SALU_CYCLE_1)
	s_mov_b32 s17, exec_lo
	v_cmpx_gt_u32_e64 s59, v101
	s_cbranch_execz .LBB289_730
.LBB289_933:                            ;   in Loop: Header=BB289_722 Depth=2
	global_load_u8 v142, v[62:63], off offset:128
	s_wait_xcnt 0x0
	s_or_b32 exec_lo, exec_lo, s17
	s_delay_alu instid0(SALU_CYCLE_1)
	s_mov_b32 s17, exec_lo
	v_cmpx_gt_u32_e64 s59, v102
	s_cbranch_execz .LBB289_731
.LBB289_934:                            ;   in Loop: Header=BB289_722 Depth=2
	global_load_u8 v145, v[62:63], off offset:160
	s_wait_xcnt 0x0
	s_or_b32 exec_lo, exec_lo, s17
	s_delay_alu instid0(SALU_CYCLE_1)
	s_mov_b32 s17, exec_lo
	v_cmpx_gt_u32_e64 s59, v103
	s_cbranch_execz .LBB289_732
.LBB289_935:                            ;   in Loop: Header=BB289_722 Depth=2
	global_load_u8 v143, v[62:63], off offset:192
	s_wait_xcnt 0x0
	s_or_b32 exec_lo, exec_lo, s17
	s_delay_alu instid0(SALU_CYCLE_1)
	s_mov_b32 s17, exec_lo
	v_cmpx_gt_u32_e64 s59, v104
	s_cbranch_execz .LBB289_733
.LBB289_936:                            ;   in Loop: Header=BB289_722 Depth=2
	global_load_u8 v144, v[62:63], off offset:224
	s_wait_xcnt 0x0
	s_or_b32 exec_lo, exec_lo, s17
	s_delay_alu instid0(SALU_CYCLE_1)
	s_mov_b32 s17, exec_lo
	v_cmpx_gt_u32_e64 s59, v105
	s_cbranch_execz .LBB289_734
.LBB289_937:                            ;   in Loop: Header=BB289_722 Depth=2
	global_load_u8 v138, v[62:63], off offset:256
	s_wait_xcnt 0x0
	s_or_b32 exec_lo, exec_lo, s17
	s_delay_alu instid0(SALU_CYCLE_1)
	s_mov_b32 s17, exec_lo
	v_cmpx_gt_u32_e64 s59, v106
	s_cbranch_execz .LBB289_735
.LBB289_938:                            ;   in Loop: Header=BB289_722 Depth=2
	global_load_u8 v141, v[62:63], off offset:288
	s_wait_xcnt 0x0
	s_or_b32 exec_lo, exec_lo, s17
	s_delay_alu instid0(SALU_CYCLE_1)
	s_mov_b32 s17, exec_lo
	v_cmpx_gt_u32_e64 s59, v107
	s_cbranch_execz .LBB289_736
.LBB289_939:                            ;   in Loop: Header=BB289_722 Depth=2
	global_load_u8 v139, v[62:63], off offset:320
	s_wait_xcnt 0x0
	s_or_b32 exec_lo, exec_lo, s17
	s_delay_alu instid0(SALU_CYCLE_1)
	s_mov_b32 s17, exec_lo
	v_cmpx_gt_u32_e64 s59, v108
	s_cbranch_execz .LBB289_737
.LBB289_940:                            ;   in Loop: Header=BB289_722 Depth=2
	global_load_u8 v140, v[62:63], off offset:352
	s_wait_xcnt 0x0
	s_or_b32 exec_lo, exec_lo, s17
	s_delay_alu instid0(SALU_CYCLE_1)
	s_mov_b32 s17, exec_lo
	v_cmpx_gt_u32_e64 s59, v109
	s_cbranch_execz .LBB289_738
.LBB289_941:                            ;   in Loop: Header=BB289_722 Depth=2
	global_load_u8 v64, v[62:63], off offset:384
	s_wait_xcnt 0x0
	s_or_b32 exec_lo, exec_lo, s17
	s_delay_alu instid0(SALU_CYCLE_1)
	s_mov_b32 s17, exec_lo
	v_cmpx_gt_u32_e64 s59, v110
	s_cbranch_execz .LBB289_739
.LBB289_942:                            ;   in Loop: Header=BB289_722 Depth=2
	global_load_u8 v136, v[62:63], off offset:416
	s_wait_xcnt 0x0
	s_or_b32 exec_lo, exec_lo, s17
	s_delay_alu instid0(SALU_CYCLE_1)
	s_mov_b32 s17, exec_lo
	v_cmpx_gt_u32_e64 s59, v111
	s_cbranch_execz .LBB289_740
.LBB289_943:                            ;   in Loop: Header=BB289_722 Depth=2
	global_load_u8 v65, v[62:63], off offset:448
	s_wait_xcnt 0x0
	s_or_b32 exec_lo, exec_lo, s17
	s_delay_alu instid0(SALU_CYCLE_1)
	s_mov_b32 s17, exec_lo
	v_cmpx_gt_u32_e64 s59, v112
	s_cbranch_execnz .LBB289_741
	s_branch .LBB289_742
.LBB289_944:                            ;   in Loop: Header=BB289_12 Depth=1
	s_wait_dscnt 0x0
	s_barrier_signal -1
	s_mov_b32 s8, 0
	s_barrier_wait -1
.LBB289_945:                            ;   in Loop: Header=BB289_12 Depth=1
	s_and_b32 vcc_lo, exec_lo, s8
	s_cbranch_vccz .LBB289_11
; %bb.946:                              ;   in Loop: Header=BB289_12 Depth=1
	v_dual_mov_b32 v39, 0 :: v_dual_mov_b32 v42, 0
	v_dual_mov_b32 v41, 0 :: v_dual_mov_b32 v40, 0
	;; [unrolled: 1-line block ×8, first 2 shown]
	v_mov_b32_e32 v26, 0
	s_mov_b32 s8, s57
	s_mov_b32 s34, s55
	s_barrier_signal -1
	s_barrier_wait -1
	s_branch .LBB289_948
.LBB289_947:                            ;   in Loop: Header=BB289_948 Depth=2
	s_or_b32 exec_lo, exec_lo, s10
	s_addk_co_i32 s8, 0xef00
	s_cmp_ge_u32 s9, s54
	s_mov_b32 s34, s9
	s_cbranch_scc1 .LBB289_1020
.LBB289_948:                            ;   Parent Loop BB289_12 Depth=1
                                        ; =>  This Inner Loop Header: Depth=2
	s_add_co_i32 s9, s34, 0x1100
	s_mov_b32 s10, -1
	s_cmp_gt_u32 s9, s54
                                        ; implicit-def: $vgpr24
                                        ; implicit-def: $vgpr25
                                        ; implicit-def: $vgpr43
                                        ; implicit-def: $vgpr44
                                        ; implicit-def: $vgpr45
                                        ; implicit-def: $vgpr46
                                        ; implicit-def: $vgpr47
                                        ; implicit-def: $vgpr48
                                        ; implicit-def: $vgpr49
                                        ; implicit-def: $vgpr50
                                        ; implicit-def: $vgpr51
                                        ; implicit-def: $vgpr52
                                        ; implicit-def: $vgpr53
                                        ; implicit-def: $vgpr54
                                        ; implicit-def: $vgpr55
                                        ; implicit-def: $vgpr56
                                        ; implicit-def: $vgpr57
	s_cbranch_scc1 .LBB289_950
; %bb.949:                              ;   in Loop: Header=BB289_948 Depth=2
	v_add_nc_u64_e32 v[58:59], s[34:35], v[18:19]
	s_mov_b32 s10, 0
	s_clause 0x10
	global_load_u8 v57, v[58:59], off offset:4096
	global_load_u8 v56, v[58:59], off offset:3840
	;; [unrolled: 1-line block ×16, first 2 shown]
	global_load_u8 v24, v[58:59], off
.LBB289_950:                            ;   in Loop: Header=BB289_948 Depth=2
	s_and_not1_b32 vcc_lo, exec_lo, s10
	s_movk_i32 s10, 0x1100
	s_cbranch_vccnz .LBB289_970
; %bb.951:                              ;   in Loop: Header=BB289_948 Depth=2
	s_add_nc_u64 s[10:11], s[36:37], s[34:35]
	s_wait_loadcnt 0x0
	v_add_nc_u64_e32 v[24:25], s[10:11], v[2:3]
	s_mov_b32 s10, exec_lo
	s_wait_xcnt 0x0
	v_cmpx_gt_u32_e64 s8, v2
	s_cbranch_execnz .LBB289_1004
; %bb.952:                              ;   in Loop: Header=BB289_948 Depth=2
	s_or_b32 exec_lo, exec_lo, s10
	s_delay_alu instid0(SALU_CYCLE_1)
	s_mov_b32 s10, exec_lo
	v_cmpx_gt_u32_e64 s8, v67
	s_cbranch_execnz .LBB289_1005
.LBB289_953:                            ;   in Loop: Header=BB289_948 Depth=2
	s_or_b32 exec_lo, exec_lo, s10
	s_delay_alu instid0(SALU_CYCLE_1)
	s_mov_b32 s10, exec_lo
	v_cmpx_gt_u32_e64 s8, v68
	s_cbranch_execnz .LBB289_1006
.LBB289_954:                            ;   in Loop: Header=BB289_948 Depth=2
	s_or_b32 exec_lo, exec_lo, s10
	s_delay_alu instid0(SALU_CYCLE_1)
	s_mov_b32 s10, exec_lo
	v_cmpx_gt_u32_e64 s8, v69
	s_cbranch_execnz .LBB289_1007
.LBB289_955:                            ;   in Loop: Header=BB289_948 Depth=2
	s_or_b32 exec_lo, exec_lo, s10
	s_delay_alu instid0(SALU_CYCLE_1)
	s_mov_b32 s10, exec_lo
	v_cmpx_gt_u32_e64 s8, v70
	s_cbranch_execnz .LBB289_1008
.LBB289_956:                            ;   in Loop: Header=BB289_948 Depth=2
	s_or_b32 exec_lo, exec_lo, s10
	s_delay_alu instid0(SALU_CYCLE_1)
	s_mov_b32 s10, exec_lo
	v_cmpx_gt_u32_e64 s8, v71
	s_cbranch_execnz .LBB289_1009
.LBB289_957:                            ;   in Loop: Header=BB289_948 Depth=2
	s_or_b32 exec_lo, exec_lo, s10
	s_delay_alu instid0(SALU_CYCLE_1)
	s_mov_b32 s10, exec_lo
	v_cmpx_gt_u32_e64 s8, v72
	s_cbranch_execnz .LBB289_1010
.LBB289_958:                            ;   in Loop: Header=BB289_948 Depth=2
	s_or_b32 exec_lo, exec_lo, s10
	s_delay_alu instid0(SALU_CYCLE_1)
	s_mov_b32 s10, exec_lo
	v_cmpx_gt_u32_e64 s8, v73
	s_cbranch_execnz .LBB289_1011
.LBB289_959:                            ;   in Loop: Header=BB289_948 Depth=2
	s_or_b32 exec_lo, exec_lo, s10
	s_delay_alu instid0(SALU_CYCLE_1)
	s_mov_b32 s10, exec_lo
	v_cmpx_gt_u32_e64 s8, v74
	s_cbranch_execnz .LBB289_1012
.LBB289_960:                            ;   in Loop: Header=BB289_948 Depth=2
	s_or_b32 exec_lo, exec_lo, s10
	s_delay_alu instid0(SALU_CYCLE_1)
	s_mov_b32 s10, exec_lo
	v_cmpx_gt_u32_e64 s8, v75
	s_cbranch_execnz .LBB289_1013
.LBB289_961:                            ;   in Loop: Header=BB289_948 Depth=2
	s_or_b32 exec_lo, exec_lo, s10
	s_delay_alu instid0(SALU_CYCLE_1)
	s_mov_b32 s10, exec_lo
	v_cmpx_gt_u32_e64 s8, v76
	s_cbranch_execnz .LBB289_1014
.LBB289_962:                            ;   in Loop: Header=BB289_948 Depth=2
	s_or_b32 exec_lo, exec_lo, s10
	s_delay_alu instid0(SALU_CYCLE_1)
	s_mov_b32 s10, exec_lo
	v_cmpx_gt_u32_e64 s8, v77
	s_cbranch_execnz .LBB289_1015
.LBB289_963:                            ;   in Loop: Header=BB289_948 Depth=2
	s_or_b32 exec_lo, exec_lo, s10
	s_delay_alu instid0(SALU_CYCLE_1)
	s_mov_b32 s10, exec_lo
	v_cmpx_gt_u32_e64 s8, v78
	s_cbranch_execnz .LBB289_1016
.LBB289_964:                            ;   in Loop: Header=BB289_948 Depth=2
	s_or_b32 exec_lo, exec_lo, s10
	s_delay_alu instid0(SALU_CYCLE_1)
	s_mov_b32 s10, exec_lo
	v_cmpx_gt_u32_e64 s8, v79
	s_cbranch_execnz .LBB289_1017
.LBB289_965:                            ;   in Loop: Header=BB289_948 Depth=2
	s_or_b32 exec_lo, exec_lo, s10
	s_delay_alu instid0(SALU_CYCLE_1)
	s_mov_b32 s10, exec_lo
	v_cmpx_gt_u32_e64 s8, v80
	s_cbranch_execnz .LBB289_1018
.LBB289_966:                            ;   in Loop: Header=BB289_948 Depth=2
	s_or_b32 exec_lo, exec_lo, s10
	s_delay_alu instid0(SALU_CYCLE_1)
	s_mov_b32 s10, exec_lo
	v_cmpx_gt_u32_e64 s8, v81
	s_cbranch_execnz .LBB289_1019
.LBB289_967:                            ;   in Loop: Header=BB289_948 Depth=2
	s_or_b32 exec_lo, exec_lo, s10
	s_delay_alu instid0(SALU_CYCLE_1)
	s_mov_b32 s10, exec_lo
	v_cmpx_gt_u32_e64 s8, v82
	s_cbranch_execz .LBB289_969
.LBB289_968:                            ;   in Loop: Header=BB289_948 Depth=2
	global_load_u8 v26, v[24:25], off offset:4096
.LBB289_969:                            ;   in Loop: Header=BB289_948 Depth=2
	s_wait_xcnt 0x0
	s_or_b32 exec_lo, exec_lo, s10
	s_wait_loadcnt 0x0
	v_dual_mov_b32 v24, v39 :: v_dual_mov_b32 v25, v42
	v_dual_mov_b32 v43, v41 :: v_dual_mov_b32 v44, v40
	;; [unrolled: 1-line block ×8, first 2 shown]
	v_mov_b32_e32 v57, v26
	s_mov_b32 s10, s8
.LBB289_970:                            ;   in Loop: Header=BB289_948 Depth=2
	s_wait_loadcnt 0xf
	s_delay_alu instid0(VALU_DEP_1)
	v_dual_mov_b32 v26, v57 :: v_dual_mov_b32 v27, v56
	s_wait_loadcnt 0xd
	v_dual_mov_b32 v28, v55 :: v_dual_mov_b32 v29, v54
	s_wait_loadcnt 0xb
	;; [unrolled: 2-line block ×8, first 2 shown]
	v_mov_b32_e32 v39, v24
	s_mov_b32 s11, exec_lo
	s_wait_xcnt 0x0
	v_cmpx_gt_u32_e64 s10, v2
	s_cbranch_execnz .LBB289_987
; %bb.971:                              ;   in Loop: Header=BB289_948 Depth=2
	s_or_b32 exec_lo, exec_lo, s11
	s_delay_alu instid0(SALU_CYCLE_1)
	s_mov_b32 s11, exec_lo
	v_cmpx_gt_u32_e64 s10, v67
	s_cbranch_execnz .LBB289_988
.LBB289_972:                            ;   in Loop: Header=BB289_948 Depth=2
	s_or_b32 exec_lo, exec_lo, s11
	s_delay_alu instid0(SALU_CYCLE_1)
	s_mov_b32 s11, exec_lo
	v_cmpx_gt_u32_e64 s10, v68
	s_cbranch_execnz .LBB289_989
.LBB289_973:                            ;   in Loop: Header=BB289_948 Depth=2
	s_or_b32 exec_lo, exec_lo, s11
	s_delay_alu instid0(SALU_CYCLE_1)
	s_mov_b32 s11, exec_lo
	v_cmpx_gt_u32_e64 s10, v69
	s_cbranch_execnz .LBB289_990
.LBB289_974:                            ;   in Loop: Header=BB289_948 Depth=2
	s_or_b32 exec_lo, exec_lo, s11
	s_delay_alu instid0(SALU_CYCLE_1)
	s_mov_b32 s11, exec_lo
	v_cmpx_gt_u32_e64 s10, v70
	s_cbranch_execnz .LBB289_991
.LBB289_975:                            ;   in Loop: Header=BB289_948 Depth=2
	s_or_b32 exec_lo, exec_lo, s11
	s_delay_alu instid0(SALU_CYCLE_1)
	s_mov_b32 s11, exec_lo
	v_cmpx_gt_u32_e64 s10, v71
	s_cbranch_execnz .LBB289_992
.LBB289_976:                            ;   in Loop: Header=BB289_948 Depth=2
	s_or_b32 exec_lo, exec_lo, s11
	s_delay_alu instid0(SALU_CYCLE_1)
	s_mov_b32 s11, exec_lo
	v_cmpx_gt_u32_e64 s10, v72
	s_cbranch_execnz .LBB289_993
.LBB289_977:                            ;   in Loop: Header=BB289_948 Depth=2
	s_or_b32 exec_lo, exec_lo, s11
	s_delay_alu instid0(SALU_CYCLE_1)
	s_mov_b32 s11, exec_lo
	v_cmpx_gt_u32_e64 s10, v73
	s_cbranch_execnz .LBB289_994
.LBB289_978:                            ;   in Loop: Header=BB289_948 Depth=2
	s_or_b32 exec_lo, exec_lo, s11
	s_delay_alu instid0(SALU_CYCLE_1)
	s_mov_b32 s11, exec_lo
	v_cmpx_gt_u32_e64 s10, v74
	s_cbranch_execnz .LBB289_995
.LBB289_979:                            ;   in Loop: Header=BB289_948 Depth=2
	s_or_b32 exec_lo, exec_lo, s11
	s_delay_alu instid0(SALU_CYCLE_1)
	s_mov_b32 s11, exec_lo
	v_cmpx_gt_u32_e64 s10, v75
	s_cbranch_execnz .LBB289_996
.LBB289_980:                            ;   in Loop: Header=BB289_948 Depth=2
	s_or_b32 exec_lo, exec_lo, s11
	s_delay_alu instid0(SALU_CYCLE_1)
	s_mov_b32 s11, exec_lo
	v_cmpx_gt_u32_e64 s10, v76
	s_cbranch_execnz .LBB289_997
.LBB289_981:                            ;   in Loop: Header=BB289_948 Depth=2
	s_or_b32 exec_lo, exec_lo, s11
	s_delay_alu instid0(SALU_CYCLE_1)
	s_mov_b32 s11, exec_lo
	v_cmpx_gt_u32_e64 s10, v77
	s_cbranch_execnz .LBB289_998
.LBB289_982:                            ;   in Loop: Header=BB289_948 Depth=2
	s_or_b32 exec_lo, exec_lo, s11
	s_delay_alu instid0(SALU_CYCLE_1)
	s_mov_b32 s11, exec_lo
	v_cmpx_gt_u32_e64 s10, v78
	s_cbranch_execnz .LBB289_999
.LBB289_983:                            ;   in Loop: Header=BB289_948 Depth=2
	s_or_b32 exec_lo, exec_lo, s11
	s_delay_alu instid0(SALU_CYCLE_1)
	s_mov_b32 s11, exec_lo
	v_cmpx_gt_u32_e64 s10, v79
	s_cbranch_execnz .LBB289_1000
.LBB289_984:                            ;   in Loop: Header=BB289_948 Depth=2
	s_or_b32 exec_lo, exec_lo, s11
	s_delay_alu instid0(SALU_CYCLE_1)
	s_mov_b32 s11, exec_lo
	v_cmpx_gt_u32_e64 s10, v80
	s_cbranch_execnz .LBB289_1001
.LBB289_985:                            ;   in Loop: Header=BB289_948 Depth=2
	s_or_b32 exec_lo, exec_lo, s11
	s_delay_alu instid0(SALU_CYCLE_1)
	s_mov_b32 s11, exec_lo
	v_cmpx_gt_u32_e64 s10, v81
	s_cbranch_execnz .LBB289_1002
.LBB289_986:                            ;   in Loop: Header=BB289_948 Depth=2
	s_or_b32 exec_lo, exec_lo, s11
	v_cmp_gt_u32_e32 vcc_lo, s10, v82
	s_and_saveexec_b32 s10, vcc_lo
	s_cbranch_execz .LBB289_947
	s_branch .LBB289_1003
.LBB289_987:                            ;   in Loop: Header=BB289_948 Depth=2
	v_xor_b32_e32 v24, 0x7f, v39
	s_delay_alu instid0(VALU_DEP_1) | instskip(NEXT) | instid1(VALU_DEP_1)
	v_and_b32_e32 v24, 0xff, v24
	v_lshrrev_b32_e32 v24, s49, v24
	s_delay_alu instid0(VALU_DEP_1) | instskip(NEXT) | instid1(VALU_DEP_1)
	v_and_b32_e32 v24, s58, v24
	v_lshl_or_b32 v24, v24, 4, v84
	ds_add_u32 v24, v7
	s_or_b32 exec_lo, exec_lo, s11
	s_delay_alu instid0(SALU_CYCLE_1)
	s_mov_b32 s11, exec_lo
	v_cmpx_gt_u32_e64 s10, v67
	s_cbranch_execz .LBB289_972
.LBB289_988:                            ;   in Loop: Header=BB289_948 Depth=2
	v_xor_b32_e32 v24, 0x7f, v42
	s_delay_alu instid0(VALU_DEP_1) | instskip(NEXT) | instid1(VALU_DEP_1)
	v_and_b32_e32 v24, 0xff, v24
	v_lshrrev_b32_e32 v24, s49, v24
	s_delay_alu instid0(VALU_DEP_1) | instskip(NEXT) | instid1(VALU_DEP_1)
	v_and_b32_e32 v24, s58, v24
	v_lshl_or_b32 v24, v24, 4, v84
	ds_add_u32 v24, v7
	s_or_b32 exec_lo, exec_lo, s11
	s_delay_alu instid0(SALU_CYCLE_1)
	s_mov_b32 s11, exec_lo
	v_cmpx_gt_u32_e64 s10, v68
	s_cbranch_execz .LBB289_973
.LBB289_989:                            ;   in Loop: Header=BB289_948 Depth=2
	v_xor_b32_e32 v24, 0x7f, v41
	s_delay_alu instid0(VALU_DEP_1) | instskip(NEXT) | instid1(VALU_DEP_1)
	v_and_b32_e32 v24, 0xff, v24
	v_lshrrev_b32_e32 v24, s49, v24
	s_delay_alu instid0(VALU_DEP_1) | instskip(NEXT) | instid1(VALU_DEP_1)
	v_and_b32_e32 v24, s58, v24
	v_lshl_or_b32 v24, v24, 4, v84
	ds_add_u32 v24, v7
	s_or_b32 exec_lo, exec_lo, s11
	s_delay_alu instid0(SALU_CYCLE_1)
	s_mov_b32 s11, exec_lo
	v_cmpx_gt_u32_e64 s10, v69
	s_cbranch_execz .LBB289_974
.LBB289_990:                            ;   in Loop: Header=BB289_948 Depth=2
	v_xor_b32_e32 v24, 0x7f, v40
	s_delay_alu instid0(VALU_DEP_1) | instskip(NEXT) | instid1(VALU_DEP_1)
	v_and_b32_e32 v24, 0xff, v24
	v_lshrrev_b32_e32 v24, s49, v24
	s_delay_alu instid0(VALU_DEP_1) | instskip(NEXT) | instid1(VALU_DEP_1)
	v_and_b32_e32 v24, s58, v24
	v_lshl_or_b32 v24, v24, 4, v84
	ds_add_u32 v24, v7
	s_or_b32 exec_lo, exec_lo, s11
	s_delay_alu instid0(SALU_CYCLE_1)
	s_mov_b32 s11, exec_lo
	v_cmpx_gt_u32_e64 s10, v70
	s_cbranch_execz .LBB289_975
.LBB289_991:                            ;   in Loop: Header=BB289_948 Depth=2
	v_xor_b32_e32 v24, 0x7f, v38
	s_delay_alu instid0(VALU_DEP_1) | instskip(NEXT) | instid1(VALU_DEP_1)
	v_and_b32_e32 v24, 0xff, v24
	v_lshrrev_b32_e32 v24, s49, v24
	s_delay_alu instid0(VALU_DEP_1) | instskip(NEXT) | instid1(VALU_DEP_1)
	v_and_b32_e32 v24, s58, v24
	v_lshl_or_b32 v24, v24, 4, v84
	ds_add_u32 v24, v7
	s_or_b32 exec_lo, exec_lo, s11
	s_delay_alu instid0(SALU_CYCLE_1)
	s_mov_b32 s11, exec_lo
	v_cmpx_gt_u32_e64 s10, v71
	s_cbranch_execz .LBB289_976
.LBB289_992:                            ;   in Loop: Header=BB289_948 Depth=2
	v_xor_b32_e32 v24, 0x7f, v37
	s_delay_alu instid0(VALU_DEP_1) | instskip(NEXT) | instid1(VALU_DEP_1)
	v_and_b32_e32 v24, 0xff, v24
	v_lshrrev_b32_e32 v24, s49, v24
	s_delay_alu instid0(VALU_DEP_1) | instskip(NEXT) | instid1(VALU_DEP_1)
	v_and_b32_e32 v24, s58, v24
	v_lshl_or_b32 v24, v24, 4, v84
	ds_add_u32 v24, v7
	s_or_b32 exec_lo, exec_lo, s11
	s_delay_alu instid0(SALU_CYCLE_1)
	s_mov_b32 s11, exec_lo
	v_cmpx_gt_u32_e64 s10, v72
	s_cbranch_execz .LBB289_977
.LBB289_993:                            ;   in Loop: Header=BB289_948 Depth=2
	v_xor_b32_e32 v24, 0x7f, v36
	s_delay_alu instid0(VALU_DEP_1) | instskip(NEXT) | instid1(VALU_DEP_1)
	v_and_b32_e32 v24, 0xff, v24
	v_lshrrev_b32_e32 v24, s49, v24
	s_delay_alu instid0(VALU_DEP_1) | instskip(NEXT) | instid1(VALU_DEP_1)
	v_and_b32_e32 v24, s58, v24
	v_lshl_or_b32 v24, v24, 4, v84
	ds_add_u32 v24, v7
	s_or_b32 exec_lo, exec_lo, s11
	s_delay_alu instid0(SALU_CYCLE_1)
	s_mov_b32 s11, exec_lo
	v_cmpx_gt_u32_e64 s10, v73
	s_cbranch_execz .LBB289_978
.LBB289_994:                            ;   in Loop: Header=BB289_948 Depth=2
	v_xor_b32_e32 v24, 0x7f, v35
	s_delay_alu instid0(VALU_DEP_1) | instskip(NEXT) | instid1(VALU_DEP_1)
	v_and_b32_e32 v24, 0xff, v24
	v_lshrrev_b32_e32 v24, s49, v24
	s_delay_alu instid0(VALU_DEP_1) | instskip(NEXT) | instid1(VALU_DEP_1)
	v_and_b32_e32 v24, s58, v24
	v_lshl_or_b32 v24, v24, 4, v84
	ds_add_u32 v24, v7
	s_or_b32 exec_lo, exec_lo, s11
	s_delay_alu instid0(SALU_CYCLE_1)
	s_mov_b32 s11, exec_lo
	v_cmpx_gt_u32_e64 s10, v74
	s_cbranch_execz .LBB289_979
.LBB289_995:                            ;   in Loop: Header=BB289_948 Depth=2
	v_xor_b32_e32 v24, 0x7f, v34
	s_delay_alu instid0(VALU_DEP_1) | instskip(NEXT) | instid1(VALU_DEP_1)
	v_and_b32_e32 v24, 0xff, v24
	v_lshrrev_b32_e32 v24, s49, v24
	s_delay_alu instid0(VALU_DEP_1) | instskip(NEXT) | instid1(VALU_DEP_1)
	v_and_b32_e32 v24, s58, v24
	v_lshl_or_b32 v24, v24, 4, v84
	ds_add_u32 v24, v7
	s_or_b32 exec_lo, exec_lo, s11
	s_delay_alu instid0(SALU_CYCLE_1)
	s_mov_b32 s11, exec_lo
	v_cmpx_gt_u32_e64 s10, v75
	s_cbranch_execz .LBB289_980
.LBB289_996:                            ;   in Loop: Header=BB289_948 Depth=2
	v_xor_b32_e32 v24, 0x7f, v33
	s_delay_alu instid0(VALU_DEP_1) | instskip(NEXT) | instid1(VALU_DEP_1)
	v_and_b32_e32 v24, 0xff, v24
	v_lshrrev_b32_e32 v24, s49, v24
	s_delay_alu instid0(VALU_DEP_1) | instskip(NEXT) | instid1(VALU_DEP_1)
	v_and_b32_e32 v24, s58, v24
	v_lshl_or_b32 v24, v24, 4, v84
	ds_add_u32 v24, v7
	s_or_b32 exec_lo, exec_lo, s11
	s_delay_alu instid0(SALU_CYCLE_1)
	s_mov_b32 s11, exec_lo
	v_cmpx_gt_u32_e64 s10, v76
	s_cbranch_execz .LBB289_981
.LBB289_997:                            ;   in Loop: Header=BB289_948 Depth=2
	v_xor_b32_e32 v24, 0x7f, v32
	s_delay_alu instid0(VALU_DEP_1) | instskip(NEXT) | instid1(VALU_DEP_1)
	v_and_b32_e32 v24, 0xff, v24
	v_lshrrev_b32_e32 v24, s49, v24
	s_delay_alu instid0(VALU_DEP_1) | instskip(NEXT) | instid1(VALU_DEP_1)
	v_and_b32_e32 v24, s58, v24
	v_lshl_or_b32 v24, v24, 4, v84
	ds_add_u32 v24, v7
	s_or_b32 exec_lo, exec_lo, s11
	s_delay_alu instid0(SALU_CYCLE_1)
	s_mov_b32 s11, exec_lo
	v_cmpx_gt_u32_e64 s10, v77
	s_cbranch_execz .LBB289_982
.LBB289_998:                            ;   in Loop: Header=BB289_948 Depth=2
	v_xor_b32_e32 v24, 0x7f, v31
	s_delay_alu instid0(VALU_DEP_1) | instskip(NEXT) | instid1(VALU_DEP_1)
	v_and_b32_e32 v24, 0xff, v24
	v_lshrrev_b32_e32 v24, s49, v24
	s_delay_alu instid0(VALU_DEP_1) | instskip(NEXT) | instid1(VALU_DEP_1)
	v_and_b32_e32 v24, s58, v24
	v_lshl_or_b32 v24, v24, 4, v84
	ds_add_u32 v24, v7
	s_or_b32 exec_lo, exec_lo, s11
	s_delay_alu instid0(SALU_CYCLE_1)
	s_mov_b32 s11, exec_lo
	v_cmpx_gt_u32_e64 s10, v78
	s_cbranch_execz .LBB289_983
.LBB289_999:                            ;   in Loop: Header=BB289_948 Depth=2
	v_xor_b32_e32 v24, 0x7f, v30
	s_delay_alu instid0(VALU_DEP_1) | instskip(NEXT) | instid1(VALU_DEP_1)
	v_and_b32_e32 v24, 0xff, v24
	v_lshrrev_b32_e32 v24, s49, v24
	s_delay_alu instid0(VALU_DEP_1) | instskip(NEXT) | instid1(VALU_DEP_1)
	v_and_b32_e32 v24, s58, v24
	v_lshl_or_b32 v24, v24, 4, v84
	ds_add_u32 v24, v7
	s_or_b32 exec_lo, exec_lo, s11
	s_delay_alu instid0(SALU_CYCLE_1)
	s_mov_b32 s11, exec_lo
	v_cmpx_gt_u32_e64 s10, v79
	s_cbranch_execz .LBB289_984
.LBB289_1000:                           ;   in Loop: Header=BB289_948 Depth=2
	v_xor_b32_e32 v24, 0x7f, v29
	s_delay_alu instid0(VALU_DEP_1) | instskip(NEXT) | instid1(VALU_DEP_1)
	v_and_b32_e32 v24, 0xff, v24
	v_lshrrev_b32_e32 v24, s49, v24
	s_delay_alu instid0(VALU_DEP_1) | instskip(NEXT) | instid1(VALU_DEP_1)
	v_and_b32_e32 v24, s58, v24
	v_lshl_or_b32 v24, v24, 4, v84
	ds_add_u32 v24, v7
	s_or_b32 exec_lo, exec_lo, s11
	s_delay_alu instid0(SALU_CYCLE_1)
	s_mov_b32 s11, exec_lo
	v_cmpx_gt_u32_e64 s10, v80
	s_cbranch_execz .LBB289_985
.LBB289_1001:                           ;   in Loop: Header=BB289_948 Depth=2
	v_xor_b32_e32 v24, 0x7f, v28
	s_delay_alu instid0(VALU_DEP_1) | instskip(NEXT) | instid1(VALU_DEP_1)
	v_and_b32_e32 v24, 0xff, v24
	v_lshrrev_b32_e32 v24, s49, v24
	s_delay_alu instid0(VALU_DEP_1) | instskip(NEXT) | instid1(VALU_DEP_1)
	v_and_b32_e32 v24, s58, v24
	v_lshl_or_b32 v24, v24, 4, v84
	ds_add_u32 v24, v7
	s_or_b32 exec_lo, exec_lo, s11
	s_delay_alu instid0(SALU_CYCLE_1)
	s_mov_b32 s11, exec_lo
	v_cmpx_gt_u32_e64 s10, v81
	s_cbranch_execz .LBB289_986
.LBB289_1002:                           ;   in Loop: Header=BB289_948 Depth=2
	v_xor_b32_e32 v24, 0x7f, v27
	s_delay_alu instid0(VALU_DEP_1) | instskip(NEXT) | instid1(VALU_DEP_1)
	v_and_b32_e32 v24, 0xff, v24
	v_lshrrev_b32_e32 v24, s49, v24
	s_delay_alu instid0(VALU_DEP_1) | instskip(NEXT) | instid1(VALU_DEP_1)
	v_and_b32_e32 v24, s58, v24
	v_lshl_or_b32 v24, v24, 4, v84
	ds_add_u32 v24, v7
	s_or_b32 exec_lo, exec_lo, s11
	v_cmp_gt_u32_e32 vcc_lo, s10, v82
	s_and_saveexec_b32 s10, vcc_lo
	s_cbranch_execz .LBB289_947
.LBB289_1003:                           ;   in Loop: Header=BB289_948 Depth=2
	v_xor_b32_e32 v24, 0x7f, v26
	s_delay_alu instid0(VALU_DEP_1) | instskip(NEXT) | instid1(VALU_DEP_1)
	v_and_b32_e32 v24, 0xff, v24
	v_lshrrev_b32_e32 v24, s49, v24
	s_delay_alu instid0(VALU_DEP_1) | instskip(NEXT) | instid1(VALU_DEP_1)
	v_and_b32_e32 v24, s58, v24
	v_lshl_or_b32 v24, v24, 4, v84
	ds_add_u32 v24, v7
	s_branch .LBB289_947
.LBB289_1004:                           ;   in Loop: Header=BB289_948 Depth=2
	global_load_u8 v39, v[24:25], off
	s_wait_xcnt 0x0
	s_or_b32 exec_lo, exec_lo, s10
	s_delay_alu instid0(SALU_CYCLE_1)
	s_mov_b32 s10, exec_lo
	v_cmpx_gt_u32_e64 s8, v67
	s_cbranch_execz .LBB289_953
.LBB289_1005:                           ;   in Loop: Header=BB289_948 Depth=2
	global_load_u8 v42, v[24:25], off offset:256
	s_wait_xcnt 0x0
	s_or_b32 exec_lo, exec_lo, s10
	s_delay_alu instid0(SALU_CYCLE_1)
	s_mov_b32 s10, exec_lo
	v_cmpx_gt_u32_e64 s8, v68
	s_cbranch_execz .LBB289_954
.LBB289_1006:                           ;   in Loop: Header=BB289_948 Depth=2
	global_load_u8 v41, v[24:25], off offset:512
	s_wait_xcnt 0x0
	s_or_b32 exec_lo, exec_lo, s10
	s_delay_alu instid0(SALU_CYCLE_1)
	s_mov_b32 s10, exec_lo
	v_cmpx_gt_u32_e64 s8, v69
	s_cbranch_execz .LBB289_955
.LBB289_1007:                           ;   in Loop: Header=BB289_948 Depth=2
	global_load_u8 v40, v[24:25], off offset:768
	s_wait_xcnt 0x0
	s_or_b32 exec_lo, exec_lo, s10
	s_delay_alu instid0(SALU_CYCLE_1)
	s_mov_b32 s10, exec_lo
	v_cmpx_gt_u32_e64 s8, v70
	s_cbranch_execz .LBB289_956
.LBB289_1008:                           ;   in Loop: Header=BB289_948 Depth=2
	global_load_u8 v38, v[24:25], off offset:1024
	s_wait_xcnt 0x0
	s_or_b32 exec_lo, exec_lo, s10
	s_delay_alu instid0(SALU_CYCLE_1)
	s_mov_b32 s10, exec_lo
	v_cmpx_gt_u32_e64 s8, v71
	s_cbranch_execz .LBB289_957
.LBB289_1009:                           ;   in Loop: Header=BB289_948 Depth=2
	global_load_u8 v37, v[24:25], off offset:1280
	s_wait_xcnt 0x0
	s_or_b32 exec_lo, exec_lo, s10
	s_delay_alu instid0(SALU_CYCLE_1)
	s_mov_b32 s10, exec_lo
	v_cmpx_gt_u32_e64 s8, v72
	s_cbranch_execz .LBB289_958
.LBB289_1010:                           ;   in Loop: Header=BB289_948 Depth=2
	global_load_u8 v36, v[24:25], off offset:1536
	s_wait_xcnt 0x0
	s_or_b32 exec_lo, exec_lo, s10
	s_delay_alu instid0(SALU_CYCLE_1)
	s_mov_b32 s10, exec_lo
	v_cmpx_gt_u32_e64 s8, v73
	s_cbranch_execz .LBB289_959
.LBB289_1011:                           ;   in Loop: Header=BB289_948 Depth=2
	global_load_u8 v35, v[24:25], off offset:1792
	s_wait_xcnt 0x0
	s_or_b32 exec_lo, exec_lo, s10
	s_delay_alu instid0(SALU_CYCLE_1)
	s_mov_b32 s10, exec_lo
	v_cmpx_gt_u32_e64 s8, v74
	s_cbranch_execz .LBB289_960
.LBB289_1012:                           ;   in Loop: Header=BB289_948 Depth=2
	global_load_u8 v34, v[24:25], off offset:2048
	s_wait_xcnt 0x0
	s_or_b32 exec_lo, exec_lo, s10
	s_delay_alu instid0(SALU_CYCLE_1)
	s_mov_b32 s10, exec_lo
	v_cmpx_gt_u32_e64 s8, v75
	s_cbranch_execz .LBB289_961
.LBB289_1013:                           ;   in Loop: Header=BB289_948 Depth=2
	global_load_u8 v33, v[24:25], off offset:2304
	s_wait_xcnt 0x0
	s_or_b32 exec_lo, exec_lo, s10
	s_delay_alu instid0(SALU_CYCLE_1)
	s_mov_b32 s10, exec_lo
	v_cmpx_gt_u32_e64 s8, v76
	s_cbranch_execz .LBB289_962
.LBB289_1014:                           ;   in Loop: Header=BB289_948 Depth=2
	global_load_u8 v32, v[24:25], off offset:2560
	s_wait_xcnt 0x0
	s_or_b32 exec_lo, exec_lo, s10
	s_delay_alu instid0(SALU_CYCLE_1)
	s_mov_b32 s10, exec_lo
	v_cmpx_gt_u32_e64 s8, v77
	s_cbranch_execz .LBB289_963
.LBB289_1015:                           ;   in Loop: Header=BB289_948 Depth=2
	global_load_u8 v31, v[24:25], off offset:2816
	s_wait_xcnt 0x0
	s_or_b32 exec_lo, exec_lo, s10
	s_delay_alu instid0(SALU_CYCLE_1)
	s_mov_b32 s10, exec_lo
	v_cmpx_gt_u32_e64 s8, v78
	s_cbranch_execz .LBB289_964
.LBB289_1016:                           ;   in Loop: Header=BB289_948 Depth=2
	global_load_u8 v30, v[24:25], off offset:3072
	s_wait_xcnt 0x0
	s_or_b32 exec_lo, exec_lo, s10
	s_delay_alu instid0(SALU_CYCLE_1)
	s_mov_b32 s10, exec_lo
	v_cmpx_gt_u32_e64 s8, v79
	s_cbranch_execz .LBB289_965
.LBB289_1017:                           ;   in Loop: Header=BB289_948 Depth=2
	global_load_u8 v29, v[24:25], off offset:3328
	s_wait_xcnt 0x0
	s_or_b32 exec_lo, exec_lo, s10
	s_delay_alu instid0(SALU_CYCLE_1)
	s_mov_b32 s10, exec_lo
	v_cmpx_gt_u32_e64 s8, v80
	s_cbranch_execz .LBB289_966
.LBB289_1018:                           ;   in Loop: Header=BB289_948 Depth=2
	global_load_u8 v28, v[24:25], off offset:3584
	s_wait_xcnt 0x0
	s_or_b32 exec_lo, exec_lo, s10
	s_delay_alu instid0(SALU_CYCLE_1)
	s_mov_b32 s10, exec_lo
	v_cmpx_gt_u32_e64 s8, v81
	s_cbranch_execz .LBB289_967
.LBB289_1019:                           ;   in Loop: Header=BB289_948 Depth=2
	global_load_u8 v27, v[24:25], off offset:3840
	s_wait_xcnt 0x0
	s_or_b32 exec_lo, exec_lo, s10
	s_delay_alu instid0(SALU_CYCLE_1)
	s_mov_b32 s10, exec_lo
	v_cmpx_gt_u32_e64 s8, v82
	s_cbranch_execnz .LBB289_968
	s_branch .LBB289_969
.LBB289_1020:                           ;   in Loop: Header=BB289_12 Depth=1
	v_mov_b32_e32 v24, 0
	s_wait_dscnt 0x0
	s_barrier_signal -1
	s_barrier_wait -1
	s_and_saveexec_b32 s8, s0
	s_cbranch_execz .LBB289_1022
; %bb.1021:                             ;   in Loop: Header=BB289_12 Depth=1
	ds_load_2addr_b64 v[24:27], v85 offset1:1
	s_wait_dscnt 0x0
	v_add_nc_u32_e32 v24, v25, v24
	s_delay_alu instid0(VALU_DEP_1)
	v_add3_u32 v24, v24, v26, v27
.LBB289_1022:                           ;   in Loop: Header=BB289_12 Depth=1
	s_or_b32 exec_lo, exec_lo, s8
	v_and_b32_e32 v25, 15, v0
	s_delay_alu instid0(VALU_DEP_2) | instskip(SKIP_1) | instid1(VALU_DEP_3)
	v_mov_b32_dpp v26, v24 row_shr:1 row_mask:0xf bank_mask:0xf
	v_and_b32_e32 v27, 16, v0
	v_cmp_eq_u32_e64 s8, 0, v25
	v_cmp_lt_u32_e64 s9, 1, v25
	s_delay_alu instid0(VALU_DEP_3) | instskip(NEXT) | instid1(VALU_DEP_3)
	v_cmp_eq_u32_e64 s12, 0, v27
	v_cndmask_b32_e64 v26, v26, 0, s8
	s_delay_alu instid0(VALU_DEP_1) | instskip(NEXT) | instid1(VALU_DEP_1)
	v_add_nc_u32_e32 v24, v26, v24
	v_mov_b32_dpp v26, v24 row_shr:2 row_mask:0xf bank_mask:0xf
	s_delay_alu instid0(VALU_DEP_1) | instskip(SKIP_2) | instid1(VALU_DEP_3)
	v_cndmask_b32_e64 v26, 0, v26, s9
	v_cmp_lt_u32_e64 s11, 7, v25
	v_cmp_lt_u32_e64 s10, 3, v25
	v_add_nc_u32_e32 v24, v24, v26
	s_delay_alu instid0(VALU_DEP_1) | instskip(NEXT) | instid1(VALU_DEP_1)
	v_mov_b32_dpp v26, v24 row_shr:4 row_mask:0xf bank_mask:0xf
	v_cndmask_b32_e64 v26, 0, v26, s10
	s_delay_alu instid0(VALU_DEP_1) | instskip(NEXT) | instid1(VALU_DEP_1)
	v_add_nc_u32_e32 v24, v24, v26
	v_mov_b32_dpp v26, v24 row_shr:8 row_mask:0xf bank_mask:0xf
	s_delay_alu instid0(VALU_DEP_1) | instskip(SKIP_1) | instid1(VALU_DEP_2)
	v_cndmask_b32_e64 v25, 0, v26, s11
	v_bfe_i32 v26, v0, 4, 1
	v_add_nc_u32_e32 v24, v24, v25
	ds_swizzle_b32 v25, v24 offset:swizzle(BROADCAST,32,15)
	s_wait_dscnt 0x0
	v_and_b32_e32 v25, v26, v25
	s_delay_alu instid0(VALU_DEP_1)
	v_add_nc_u32_e32 v24, v24, v25
	s_and_saveexec_b32 s13, s1
; %bb.1023:                             ;   in Loop: Header=BB289_12 Depth=1
	ds_store_b32 v86, v24
; %bb.1024:                             ;   in Loop: Header=BB289_12 Depth=1
	s_or_b32 exec_lo, exec_lo, s13
	s_wait_dscnt 0x0
	s_barrier_signal -1
	s_barrier_wait -1
	s_and_saveexec_b32 s13, s4
	s_cbranch_execz .LBB289_1026
; %bb.1025:                             ;   in Loop: Header=BB289_12 Depth=1
	ds_load_b32 v25, v87
	s_wait_dscnt 0x0
	v_mov_b32_dpp v27, v25 row_shr:1 row_mask:0xf bank_mask:0xf
	v_and_b32_e32 v26, 3, v0
	s_delay_alu instid0(VALU_DEP_1) | instskip(NEXT) | instid1(VALU_DEP_3)
	v_cmp_ne_u32_e32 vcc_lo, 0, v26
	v_cndmask_b32_e32 v27, 0, v27, vcc_lo
	v_cmp_lt_u32_e32 vcc_lo, 1, v26
	s_delay_alu instid0(VALU_DEP_2) | instskip(NEXT) | instid1(VALU_DEP_1)
	v_add_nc_u32_e32 v25, v27, v25
	v_mov_b32_dpp v27, v25 row_shr:2 row_mask:0xf bank_mask:0xf
	s_delay_alu instid0(VALU_DEP_1) | instskip(NEXT) | instid1(VALU_DEP_1)
	v_cndmask_b32_e32 v26, 0, v27, vcc_lo
	v_add_nc_u32_e32 v25, v25, v26
	ds_store_b32 v87, v25
.LBB289_1026:                           ;   in Loop: Header=BB289_12 Depth=1
	s_or_b32 exec_lo, exec_lo, s13
	v_mov_b32_e32 v25, 0
	s_wait_dscnt 0x0
	s_barrier_signal -1
	s_barrier_wait -1
	s_and_saveexec_b32 s13, s5
; %bb.1027:                             ;   in Loop: Header=BB289_12 Depth=1
	ds_load_b32 v25, v88
; %bb.1028:                             ;   in Loop: Header=BB289_12 Depth=1
	s_or_b32 exec_lo, exec_lo, s13
	v_sub_co_u32 v26, s13, v0, 1
	s_wait_dscnt 0x0
	s_barrier_signal -1
	s_barrier_wait -1
	s_delay_alu instid0(VALU_DEP_1) | instskip(SKIP_1) | instid1(VALU_DEP_1)
	v_cmp_gt_i32_e32 vcc_lo, 0, v26
	v_cndmask_b32_e32 v26, v26, v0, vcc_lo
	v_dual_add_nc_u32 v24, v25, v24 :: v_dual_lshlrev_b32 v96, 2, v26
	ds_bpermute_b32 v24, v96, v24
	s_and_saveexec_b32 s14, s0
	s_cbranch_execz .LBB289_1030
; %bb.1029:                             ;   in Loop: Header=BB289_12 Depth=1
	s_wait_dscnt 0x0
	v_cndmask_b32_e64 v24, v24, v25, s13
	s_delay_alu instid0(VALU_DEP_1)
	v_add_nc_u32_e32 v24, s55, v24
	ds_store_b32 v66, v24
.LBB289_1030:                           ;   in Loop: Header=BB289_12 Depth=1
	s_or_b32 exec_lo, exec_lo, s14
	s_load_b64 s[14:15], s[52:53], 0x0
	v_dual_lshlrev_b32 v26, 3, v0 :: v_dual_bitop2_b32 v28, 7, v0 bitop3:0x40
	v_dual_mov_b32 v27, v1 :: v_dual_bitop2_b32 v97, v0, v6 bitop3:0x54
	s_wait_dscnt 0x0
	v_add_nc_u64_e32 v[24:25], v[22:23], v[0:1]
	v_mov_b32_e32 v115, 0
	s_mov_b32 s59, s57
	v_add_nc_u64_e32 v[26:27], v[20:21], v[26:27]
	v_dual_add_nc_u32 v98, 32, v97 :: v_dual_add_nc_u32 v99, 64, v97
	v_add_nc_u32_e32 v100, 0x60, v97
	v_add_nc_u32_e32 v101, 0x80, v97
	;; [unrolled: 1-line block ×9, first 2 shown]
	s_wait_kmcnt 0x0
	s_cmp_lt_u32 s51, s14
	v_add_nc_u32_e32 v109, 0x180, v97
	s_cselect_b32 s34, 12, 18
	s_cmp_lt_u32 s42, s15
	s_mov_b32 s15, s35
	s_cselect_b32 s14, 14, 20
	v_add_nc_u32_e32 v110, 0x1a0, v97
	s_add_nc_u64 s[14:15], s[52:53], s[14:15]
	v_add_nc_u32_e32 v111, 0x1c0, v97
	s_load_u16 s16, s[14:15], 0x0
	s_wait_xcnt 0x0
	s_add_nc_u64 s[14:15], s[52:53], s[34:35]
	v_add_nc_u32_e32 v112, 0x1e0, v97
	s_load_u16 s17, s[14:15], 0x0
	s_wait_xcnt 0x0
	v_cmp_eq_u32_e64 s14, 0, v28
	v_cmp_lt_u32_e64 s15, 1, v28
	v_add_nc_u32_e32 v113, 0x200, v97
	s_mov_b32 s34, s55
                                        ; implicit-def: $vgpr30_vgpr31
                                        ; implicit-def: $vgpr32_vgpr33
                                        ; implicit-def: $vgpr34_vgpr35
                                        ; implicit-def: $vgpr36_vgpr37
                                        ; implicit-def: $vgpr38_vgpr39
                                        ; implicit-def: $vgpr40_vgpr41
                                        ; implicit-def: $vgpr42_vgpr43
                                        ; implicit-def: $vgpr44_vgpr45
                                        ; implicit-def: $vgpr46_vgpr47
                                        ; implicit-def: $vgpr48_vgpr49
                                        ; implicit-def: $vgpr50_vgpr51
                                        ; implicit-def: $vgpr52_vgpr53
                                        ; implicit-def: $vgpr54_vgpr55
                                        ; implicit-def: $vgpr56_vgpr57
                                        ; implicit-def: $vgpr58_vgpr59
                                        ; implicit-def: $vgpr60_vgpr61
                                        ; implicit-def: $vgpr116
                                        ; implicit-def: $vgpr117
                                        ; implicit-def: $vgpr118
                                        ; implicit-def: $vgpr119
                                        ; implicit-def: $vgpr120
                                        ; implicit-def: $vgpr121
                                        ; implicit-def: $vgpr122
                                        ; implicit-def: $vgpr123
                                        ; implicit-def: $vgpr124
                                        ; implicit-def: $vgpr125
                                        ; implicit-def: $vgpr126
                                        ; implicit-def: $vgpr127
                                        ; implicit-def: $vgpr128
                                        ; implicit-def: $vgpr129
                                        ; implicit-def: $vgpr130
                                        ; implicit-def: $vgpr131
                                        ; implicit-def: $vgpr132
                                        ; implicit-def: $vgpr133
                                        ; implicit-def: $vgpr134
	s_wait_kmcnt 0x0
	v_mad_u32_u24 v29, v89, s16, v91
	v_cmp_lt_u32_e64 s16, 3, v28
	s_delay_alu instid0(VALU_DEP_2) | instskip(NEXT) | instid1(VALU_DEP_1)
	v_mad_u32 v28, v29, s17, v2
	v_lshrrev_b32_e32 v28, 3, v28
	s_delay_alu instid0(VALU_DEP_1)
	v_and_b32_e32 v114, 0x1ffffffc, v28
                                        ; implicit-def: $vgpr28_vgpr29
	s_branch .LBB289_1032
.LBB289_1031:                           ;   in Loop: Header=BB289_1032 Depth=2
	s_or_b32 exec_lo, exec_lo, s17
	s_addk_co_i32 s59, 0xef00
	s_cmp_lt_u32 s60, s54
	s_mov_b32 s34, s60
	s_cbranch_scc0 .LBB289_10
.LBB289_1032:                           ;   Parent Loop BB289_12 Depth=1
                                        ; =>  This Inner Loop Header: Depth=2
	s_add_co_i32 s60, s34, 0x1100
	s_delay_alu instid0(SALU_CYCLE_1)
	s_cmp_gt_u32 s60, s54
	s_cbranch_scc1 .LBB289_1034
; %bb.1033:                             ;   in Loop: Header=BB289_1032 Depth=2
	v_add_nc_u64_e32 v[62:63], s[34:35], v[24:25]
	s_mov_b32 s17, -1
	s_clause 0xf
	global_load_u8 v135, v[62:63], off offset:480
	global_load_u8 v65, v[62:63], off offset:448
	global_load_u8 v136, v[62:63], off offset:416
	global_load_u8 v64, v[62:63], off offset:384
	global_load_u8 v140, v[62:63], off offset:352
	global_load_u8 v139, v[62:63], off offset:320
	global_load_u8 v141, v[62:63], off offset:288
	global_load_u8 v138, v[62:63], off offset:256
	global_load_u8 v144, v[62:63], off offset:224
	global_load_u8 v143, v[62:63], off offset:192
	global_load_u8 v145, v[62:63], off offset:160
	global_load_u8 v142, v[62:63], off offset:128
	global_load_u8 v151, v[62:63], off offset:96
	global_load_u8 v148, v[62:63], off offset:64
	global_load_u8 v150, v[62:63], off offset:32
	global_load_u8 v147, v[62:63], off
	s_movk_i32 s18, 0x1100
	s_cbranch_execz .LBB289_1035
	s_branch .LBB289_1053
.LBB289_1034:                           ;   in Loop: Header=BB289_1032 Depth=2
	s_mov_b32 s17, 0
                                        ; implicit-def: $vgpr147
                                        ; implicit-def: $vgpr150
                                        ; implicit-def: $vgpr148
                                        ; implicit-def: $vgpr151
                                        ; implicit-def: $vgpr142
                                        ; implicit-def: $vgpr145
                                        ; implicit-def: $vgpr143
                                        ; implicit-def: $vgpr144
                                        ; implicit-def: $vgpr138
                                        ; implicit-def: $vgpr141
                                        ; implicit-def: $vgpr139
                                        ; implicit-def: $vgpr140
                                        ; implicit-def: $vgpr64
                                        ; implicit-def: $vgpr136
                                        ; implicit-def: $vgpr65
                                        ; implicit-def: $vgpr135
                                        ; implicit-def: $vgpr115
	s_movk_i32 s18, 0x1100
.LBB289_1035:                           ;   in Loop: Header=BB289_1032 Depth=2
	s_wait_xcnt 0x0
	v_add_nc_u64_e32 v[62:63], s[34:35], v[24:25]
	s_wait_loadcnt 0x1
	v_dual_mov_b32 v115, 0x80 :: v_dual_mov_b32 v150, 0x80
	s_wait_loadcnt 0x0
	v_dual_mov_b32 v147, 0x80 :: v_dual_mov_b32 v148, 0x80
	v_dual_mov_b32 v151, 0x80 :: v_dual_mov_b32 v142, 0x80
	;; [unrolled: 1-line block ×7, first 2 shown]
	v_mov_b32_e32 v135, 0x80
	s_mov_b32 s17, exec_lo
	v_cmpx_gt_u32_e64 s59, v97
	s_cbranch_execnz .LBB289_1239
; %bb.1036:                             ;   in Loop: Header=BB289_1032 Depth=2
	s_or_b32 exec_lo, exec_lo, s17
	s_delay_alu instid0(SALU_CYCLE_1)
	s_mov_b32 s17, exec_lo
	v_cmpx_gt_u32_e64 s59, v98
	s_cbranch_execnz .LBB289_1240
.LBB289_1037:                           ;   in Loop: Header=BB289_1032 Depth=2
	s_or_b32 exec_lo, exec_lo, s17
	s_delay_alu instid0(SALU_CYCLE_1)
	s_mov_b32 s17, exec_lo
	v_cmpx_gt_u32_e64 s59, v99
	s_cbranch_execnz .LBB289_1241
.LBB289_1038:                           ;   in Loop: Header=BB289_1032 Depth=2
	s_or_b32 exec_lo, exec_lo, s17
	s_delay_alu instid0(SALU_CYCLE_1)
	s_mov_b32 s17, exec_lo
	v_cmpx_gt_u32_e64 s59, v100
	s_cbranch_execnz .LBB289_1242
.LBB289_1039:                           ;   in Loop: Header=BB289_1032 Depth=2
	s_or_b32 exec_lo, exec_lo, s17
	s_delay_alu instid0(SALU_CYCLE_1)
	s_mov_b32 s17, exec_lo
	v_cmpx_gt_u32_e64 s59, v101
	s_cbranch_execnz .LBB289_1243
.LBB289_1040:                           ;   in Loop: Header=BB289_1032 Depth=2
	s_or_b32 exec_lo, exec_lo, s17
	s_delay_alu instid0(SALU_CYCLE_1)
	s_mov_b32 s17, exec_lo
	v_cmpx_gt_u32_e64 s59, v102
	s_cbranch_execnz .LBB289_1244
.LBB289_1041:                           ;   in Loop: Header=BB289_1032 Depth=2
	s_or_b32 exec_lo, exec_lo, s17
	s_delay_alu instid0(SALU_CYCLE_1)
	s_mov_b32 s17, exec_lo
	v_cmpx_gt_u32_e64 s59, v103
	s_cbranch_execnz .LBB289_1245
.LBB289_1042:                           ;   in Loop: Header=BB289_1032 Depth=2
	s_or_b32 exec_lo, exec_lo, s17
	s_delay_alu instid0(SALU_CYCLE_1)
	s_mov_b32 s17, exec_lo
	v_cmpx_gt_u32_e64 s59, v104
	s_cbranch_execnz .LBB289_1246
.LBB289_1043:                           ;   in Loop: Header=BB289_1032 Depth=2
	s_or_b32 exec_lo, exec_lo, s17
	s_delay_alu instid0(SALU_CYCLE_1)
	s_mov_b32 s17, exec_lo
	v_cmpx_gt_u32_e64 s59, v105
	s_cbranch_execnz .LBB289_1247
.LBB289_1044:                           ;   in Loop: Header=BB289_1032 Depth=2
	s_or_b32 exec_lo, exec_lo, s17
	s_delay_alu instid0(SALU_CYCLE_1)
	s_mov_b32 s17, exec_lo
	v_cmpx_gt_u32_e64 s59, v106
	s_cbranch_execnz .LBB289_1248
.LBB289_1045:                           ;   in Loop: Header=BB289_1032 Depth=2
	s_or_b32 exec_lo, exec_lo, s17
	s_delay_alu instid0(SALU_CYCLE_1)
	s_mov_b32 s17, exec_lo
	v_cmpx_gt_u32_e64 s59, v107
	s_cbranch_execnz .LBB289_1249
.LBB289_1046:                           ;   in Loop: Header=BB289_1032 Depth=2
	s_or_b32 exec_lo, exec_lo, s17
	s_delay_alu instid0(SALU_CYCLE_1)
	s_mov_b32 s17, exec_lo
	v_cmpx_gt_u32_e64 s59, v108
	s_cbranch_execnz .LBB289_1250
.LBB289_1047:                           ;   in Loop: Header=BB289_1032 Depth=2
	s_or_b32 exec_lo, exec_lo, s17
	s_delay_alu instid0(SALU_CYCLE_1)
	s_mov_b32 s17, exec_lo
	v_cmpx_gt_u32_e64 s59, v109
	s_cbranch_execnz .LBB289_1251
.LBB289_1048:                           ;   in Loop: Header=BB289_1032 Depth=2
	s_or_b32 exec_lo, exec_lo, s17
	s_delay_alu instid0(SALU_CYCLE_1)
	s_mov_b32 s17, exec_lo
	v_cmpx_gt_u32_e64 s59, v110
	s_cbranch_execnz .LBB289_1252
.LBB289_1049:                           ;   in Loop: Header=BB289_1032 Depth=2
	s_or_b32 exec_lo, exec_lo, s17
	s_delay_alu instid0(SALU_CYCLE_1)
	s_mov_b32 s17, exec_lo
	v_cmpx_gt_u32_e64 s59, v111
	s_cbranch_execnz .LBB289_1253
.LBB289_1050:                           ;   in Loop: Header=BB289_1032 Depth=2
	s_or_b32 exec_lo, exec_lo, s17
	s_delay_alu instid0(SALU_CYCLE_1)
	s_mov_b32 s17, exec_lo
	v_cmpx_gt_u32_e64 s59, v112
	s_cbranch_execz .LBB289_1052
.LBB289_1051:                           ;   in Loop: Header=BB289_1032 Depth=2
	global_load_u8 v135, v[62:63], off offset:480
.LBB289_1052:                           ;   in Loop: Header=BB289_1032 Depth=2
	s_wait_xcnt 0x0
	s_or_b32 exec_lo, exec_lo, s17
	v_cmp_gt_u32_e64 s17, s59, v113
	s_sub_co_i32 s18, s54, s34
.LBB289_1053:                           ;   in Loop: Header=BB289_1032 Depth=2
	v_mov_b32_e32 v137, s59
	s_wait_xcnt 0x0
	s_and_saveexec_b32 s19, s17
	s_cbranch_execz .LBB289_1055
; %bb.1054:                             ;   in Loop: Header=BB289_1032 Depth=2
	v_add_nc_u64_e32 v[62:63], s[34:35], v[24:25]
	v_mov_b32_e32 v137, s18
	global_load_u8 v115, v[62:63], off offset:512
.LBB289_1055:                           ;   in Loop: Header=BB289_1032 Depth=2
	s_wait_xcnt 0x0
	s_or_b32 exec_lo, exec_lo, s19
	s_wait_loadcnt 0x0
	v_bitop3_b16 v62, v147, s43, 0x7f bitop3:0x48
	ds_store_2addr_b32 v90, v1, v1 offset0:136 offset1:137
	ds_store_2addr_b32 v90, v1, v1 offset0:138 offset1:139
	ds_store_b32 v90, v1 offset:560
	s_wait_dscnt 0x0
	s_barrier_signal -1
	s_barrier_wait -1
	v_and_b32_e32 v62, 0xffff, v62
	; wave barrier
	s_delay_alu instid0(VALU_DEP_1) | instskip(NEXT) | instid1(VALU_DEP_1)
	v_lshrrev_b32_e32 v62, s49, v62
	v_and_b32_e32 v149, s58, v62
	s_delay_alu instid0(VALU_DEP_1) | instskip(SKIP_1) | instid1(VALU_DEP_1)
	v_lshlrev_b32_e32 v146, 30, v149
	v_bitop3_b32 v63, v62, 1, s58 bitop3:0x80
	v_add_co_u32 v62, s17, v63, -1
	s_delay_alu instid0(VALU_DEP_1) | instskip(NEXT) | instid1(VALU_DEP_4)
	v_cndmask_b32_e64 v63, 0, 1, s17
	v_cmp_gt_i32_e64 s17, 0, v146
	s_delay_alu instid0(VALU_DEP_2) | instskip(SKIP_2) | instid1(VALU_DEP_2)
	v_cmp_ne_u32_e32 vcc_lo, 0, v63
	v_not_b32_e32 v63, v146
	v_bitop3_b32 v62, vcc_lo, exec_lo, v62 bitop3:0x48
	v_dual_ashrrev_i32 v63, 31, v63 :: v_dual_lshlrev_b32 v152, 29, v149
	v_dual_lshlrev_b32 v153, 28, v149 :: v_dual_lshlrev_b32 v154, 27, v149
	v_lshlrev_b32_e32 v155, 26, v149
	s_delay_alu instid0(VALU_DEP_3)
	v_not_b32_e32 v146, v152
	v_lshlrev_b32_e32 v156, 25, v149
	v_cmp_gt_i32_e64 s18, 0, v152
	v_cmp_gt_i32_e64 s19, 0, v153
	v_not_b32_e32 v152, v153
	v_not_b32_e32 v153, v154
	v_ashrrev_i32_e32 v146, 31, v146
	v_cmp_gt_i32_e64 s20, 0, v154
	v_cmp_gt_i32_e64 s21, 0, v155
	v_not_b32_e32 v154, v155
	v_not_b32_e32 v155, v156
	v_dual_ashrrev_i32 v152, 31, v152 :: v_dual_ashrrev_i32 v153, 31, v153
	s_delay_alu instid0(VALU_DEP_3) | instskip(NEXT) | instid1(VALU_DEP_3)
	v_dual_ashrrev_i32 v154, 31, v154 :: v_dual_bitop2_b32 v63, s17, v63 bitop3:0x14
	v_dual_ashrrev_i32 v155, 31, v155 :: v_dual_bitop2_b32 v146, s18, v146 bitop3:0x14
	v_cmp_gt_i32_e64 s22, 0, v156
	s_delay_alu instid0(VALU_DEP_4) | instskip(SKIP_1) | instid1(VALU_DEP_4)
	v_xor_b32_e32 v152, s19, v152
	v_xor_b32_e32 v153, s20, v153
	v_bitop3_b32 v62, v62, v146, v63 bitop3:0x80
	v_xor_b32_e32 v63, s21, v154
	v_xor_b32_e32 v146, s22, v155
	s_delay_alu instid0(VALU_DEP_3) | instskip(NEXT) | instid1(VALU_DEP_1)
	v_bitop3_b32 v62, v62, v153, v152 bitop3:0x80
	v_bitop3_b32 v62, v62, v146, v63 bitop3:0x80
	v_mul_u32_u24_e32 v63, 36, v149
	s_delay_alu instid0(VALU_DEP_2) | instskip(SKIP_1) | instid1(VALU_DEP_3)
	v_mbcnt_lo_u32_b32 v146, v62, 0
	v_cmp_ne_u32_e64 s17, 0, v62
	v_add_nc_u32_e32 v149, v114, v63
	s_delay_alu instid0(VALU_DEP_3) | instskip(SKIP_1) | instid1(SALU_CYCLE_1)
	v_cmp_eq_u32_e32 vcc_lo, 0, v146
	s_and_b32 s18, s17, vcc_lo
	s_and_saveexec_b32 s17, s18
; %bb.1056:                             ;   in Loop: Header=BB289_1032 Depth=2
	v_bcnt_u32_b32 v62, v62, 0
	ds_store_b32 v149, v62 offset:544
; %bb.1057:                             ;   in Loop: Header=BB289_1032 Depth=2
	s_or_b32 exec_lo, exec_lo, s17
	v_xor_b32_e32 v62, 0x7f, v150
	v_xor_b32_e32 v63, 0x7f, v151
	;; [unrolled: 1-line block ×4, first 2 shown]
	s_delay_alu instid0(VALU_DEP_4) | instskip(NEXT) | instid1(VALU_DEP_4)
	v_lshlrev_b16 v62, 8, v62
	v_lshlrev_b16 v63, 8, v63
	; wave barrier
	s_delay_alu instid0(VALU_DEP_2) | instskip(NEXT) | instid1(VALU_DEP_2)
	v_bitop3_b16 v147, v147, v62, 0xff bitop3:0xec
	v_bitop3_b16 v62, v148, v63, 0xff bitop3:0xec
	s_delay_alu instid0(VALU_DEP_2) | instskip(NEXT) | instid1(VALU_DEP_2)
	v_and_b32_e32 v63, 0xffff, v147
	v_lshlrev_b32_e32 v62, 16, v62
	s_delay_alu instid0(VALU_DEP_1) | instskip(NEXT) | instid1(VALU_DEP_1)
	v_or_b32_e32 v148, v63, v62
	v_bfe_u32 v62, v148, 8, 8
	s_delay_alu instid0(VALU_DEP_1) | instskip(NEXT) | instid1(VALU_DEP_1)
	v_lshrrev_b32_e32 v62, s49, v62
	v_bitop3_b32 v63, v62, 1, s58 bitop3:0x80
	v_and_b32_e32 v152, s58, v62
	s_delay_alu instid0(VALU_DEP_2) | instskip(NEXT) | instid1(VALU_DEP_1)
	v_add_co_u32 v62, s17, v63, -1
	v_cndmask_b32_e64 v63, 0, 1, s17
	s_delay_alu instid0(VALU_DEP_3) | instskip(NEXT) | instid1(VALU_DEP_2)
	v_lshlrev_b32_e32 v150, 30, v152
	v_cmp_ne_u32_e32 vcc_lo, 0, v63
	s_delay_alu instid0(VALU_DEP_2) | instskip(SKIP_2) | instid1(VALU_DEP_3)
	v_not_b32_e32 v63, v150
	v_cmp_gt_i32_e64 s17, 0, v150
	v_bitop3_b32 v62, vcc_lo, exec_lo, v62 bitop3:0x48
	v_dual_ashrrev_i32 v63, 31, v63 :: v_dual_lshlrev_b32 v151, 29, v152
	v_dual_lshlrev_b32 v153, 28, v152 :: v_dual_lshlrev_b32 v154, 27, v152
	v_lshlrev_b32_e32 v155, 26, v152
	s_delay_alu instid0(VALU_DEP_3)
	v_not_b32_e32 v150, v151
	v_lshlrev_b32_e32 v156, 25, v152
	v_cmp_gt_i32_e64 s18, 0, v151
	v_cmp_gt_i32_e64 s19, 0, v153
	v_not_b32_e32 v151, v153
	v_ashrrev_i32_e32 v150, 31, v150
	v_cmp_gt_i32_e64 s20, 0, v154
	v_not_b32_e32 v153, v154
	v_cmp_gt_i32_e64 s21, 0, v155
	v_not_b32_e32 v154, v155
	v_not_b32_e32 v155, v156
	v_xor_b32_e32 v63, s17, v63
	v_dual_ashrrev_i32 v151, 31, v151 :: v_dual_bitop2_b32 v150, s18, v150 bitop3:0x14
	s_delay_alu instid0(VALU_DEP_4) | instskip(NEXT) | instid1(VALU_DEP_4)
	v_dual_ashrrev_i32 v153, 31, v153 :: v_dual_ashrrev_i32 v154, 31, v154
	v_ashrrev_i32_e32 v155, 31, v155
	s_delay_alu instid0(VALU_DEP_3)
	v_bitop3_b32 v62, v62, v150, v63 bitop3:0x80
	v_mad_u32_u24 v63, v152, 36, v114
	v_cmp_gt_i32_e64 s22, 0, v156
	v_xor_b32_e32 v151, s19, v151
	v_xor_b32_e32 v154, s21, v154
	ds_load_b32 v150, v63 offset:544
	v_mul_u32_u24_e32 v63, 36, v152
	v_xor_b32_e32 v153, s20, v153
	v_xor_b32_e32 v155, s22, v155
	; wave barrier
	s_delay_alu instid0(VALU_DEP_3) | instskip(NEXT) | instid1(VALU_DEP_3)
	v_add_nc_u32_e32 v152, v114, v63
	v_bitop3_b32 v62, v62, v153, v151 bitop3:0x80
	s_delay_alu instid0(VALU_DEP_1) | instskip(NEXT) | instid1(VALU_DEP_1)
	v_bitop3_b32 v62, v62, v155, v154 bitop3:0x80
	v_mbcnt_lo_u32_b32 v151, v62, 0
	v_cmp_ne_u32_e64 s17, 0, v62
	s_delay_alu instid0(VALU_DEP_2) | instskip(SKIP_1) | instid1(SALU_CYCLE_1)
	v_cmp_eq_u32_e32 vcc_lo, 0, v151
	s_and_b32 s18, s17, vcc_lo
	s_and_saveexec_b32 s17, s18
	s_cbranch_execz .LBB289_1059
; %bb.1058:                             ;   in Loop: Header=BB289_1032 Depth=2
	s_wait_dscnt 0x0
	v_bcnt_u32_b32 v62, v62, v150
	ds_store_b32 v152, v62 offset:544
.LBB289_1059:                           ;   in Loop: Header=BB289_1032 Depth=2
	s_or_b32 exec_lo, exec_lo, s17
	v_bfe_u32 v62, v148, 16, 8
	; wave barrier
	s_delay_alu instid0(VALU_DEP_1) | instskip(NEXT) | instid1(VALU_DEP_1)
	v_lshrrev_b32_e32 v62, s49, v62
	v_and_b32_e32 v155, s58, v62
	s_delay_alu instid0(VALU_DEP_1) | instskip(SKIP_1) | instid1(VALU_DEP_1)
	v_lshlrev_b32_e32 v153, 30, v155
	v_bitop3_b32 v63, v62, 1, s58 bitop3:0x80
	v_add_co_u32 v62, s17, v63, -1
	s_delay_alu instid0(VALU_DEP_1) | instskip(NEXT) | instid1(VALU_DEP_4)
	v_cndmask_b32_e64 v63, 0, 1, s17
	v_cmp_gt_i32_e64 s17, 0, v153
	s_delay_alu instid0(VALU_DEP_2) | instskip(SKIP_2) | instid1(VALU_DEP_2)
	v_cmp_ne_u32_e32 vcc_lo, 0, v63
	v_not_b32_e32 v63, v153
	v_bitop3_b32 v62, vcc_lo, exec_lo, v62 bitop3:0x48
	v_ashrrev_i32_e32 v63, 31, v63
	v_dual_lshlrev_b32 v154, 29, v155 :: v_dual_lshlrev_b32 v156, 28, v155
	v_dual_lshlrev_b32 v157, 27, v155 :: v_dual_lshlrev_b32 v158, 26, v155
	s_delay_alu instid0(VALU_DEP_2)
	v_not_b32_e32 v153, v154
	v_lshlrev_b32_e32 v159, 25, v155
	v_cmp_gt_i32_e64 s18, 0, v154
	v_cmp_gt_i32_e64 s19, 0, v156
	v_not_b32_e32 v154, v156
	v_not_b32_e32 v156, v157
	v_ashrrev_i32_e32 v153, 31, v153
	v_cmp_gt_i32_e64 s20, 0, v157
	v_cmp_gt_i32_e64 s21, 0, v158
	v_not_b32_e32 v157, v158
	v_dual_ashrrev_i32 v154, 31, v154 :: v_dual_ashrrev_i32 v156, 31, v156
	v_xor_b32_e32 v63, s17, v63
	v_not_b32_e32 v158, v159
	v_xor_b32_e32 v153, s18, v153
	s_delay_alu instid0(VALU_DEP_4) | instskip(SKIP_2) | instid1(VALU_DEP_4)
	v_dual_ashrrev_i32 v157, 31, v157 :: v_dual_bitop2_b32 v154, s19, v154 bitop3:0x14
	v_xor_b32_e32 v156, s20, v156
	v_cmp_gt_i32_e32 vcc_lo, 0, v159
	v_bitop3_b32 v62, v62, v153, v63 bitop3:0x80
	v_ashrrev_i32_e32 v63, 31, v158
	v_mad_u32_u24 v153, v155, 36, v114
	v_xor_b32_e32 v157, s21, v157
	s_delay_alu instid0(VALU_DEP_4) | instskip(NEXT) | instid1(VALU_DEP_4)
	v_bitop3_b32 v62, v62, v156, v154 bitop3:0x80
	v_xor_b32_e32 v63, vcc_lo, v63
	ds_load_b32 v153, v153 offset:544
	; wave barrier
	v_bitop3_b32 v62, v62, v63, v157 bitop3:0x80
	v_mul_u32_u24_e32 v63, 36, v155
	s_delay_alu instid0(VALU_DEP_2) | instskip(SKIP_1) | instid1(VALU_DEP_3)
	v_mbcnt_lo_u32_b32 v154, v62, 0
	v_cmp_ne_u32_e64 s17, 0, v62
	v_add_nc_u32_e32 v156, v114, v63
	s_delay_alu instid0(VALU_DEP_3) | instskip(SKIP_1) | instid1(SALU_CYCLE_1)
	v_cmp_eq_u32_e32 vcc_lo, 0, v154
	s_and_b32 s18, s17, vcc_lo
	s_and_saveexec_b32 s17, s18
	s_cbranch_execz .LBB289_1061
; %bb.1060:                             ;   in Loop: Header=BB289_1032 Depth=2
	s_wait_dscnt 0x0
	v_bcnt_u32_b32 v62, v62, v153
	ds_store_b32 v156, v62 offset:544
.LBB289_1061:                           ;   in Loop: Header=BB289_1032 Depth=2
	s_or_b32 exec_lo, exec_lo, s17
	v_lshrrev_b32_e32 v155, 24, v148
	; wave barrier
	s_delay_alu instid0(VALU_DEP_1) | instskip(NEXT) | instid1(VALU_DEP_1)
	v_lshrrev_b32_e32 v62, s49, v155
	v_bitop3_b32 v63, v62, 1, s58 bitop3:0x80
	v_and_b32_e32 v159, s58, v62
	s_delay_alu instid0(VALU_DEP_2) | instskip(NEXT) | instid1(VALU_DEP_1)
	v_add_co_u32 v62, s17, v63, -1
	v_cndmask_b32_e64 v63, 0, 1, s17
	s_delay_alu instid0(VALU_DEP_3) | instskip(SKIP_1) | instid1(VALU_DEP_3)
	v_dual_lshlrev_b32 v157, 30, v159 :: v_dual_lshlrev_b32 v158, 29, v159
	v_dual_lshlrev_b32 v160, 28, v159 :: v_dual_lshlrev_b32 v161, 27, v159
	v_cmp_ne_u32_e32 vcc_lo, 0, v63
	s_delay_alu instid0(VALU_DEP_3)
	v_cmp_gt_i32_e64 s17, 0, v157
	v_not_b32_e32 v63, v157
	v_not_b32_e32 v157, v158
	v_dual_lshlrev_b32 v162, 26, v159 :: v_dual_lshlrev_b32 v163, 25, v159
	v_cmp_gt_i32_e64 s18, 0, v158
	v_cmp_gt_i32_e64 s19, 0, v160
	v_not_b32_e32 v158, v160
	v_not_b32_e32 v160, v161
	v_dual_ashrrev_i32 v63, 31, v63 :: v_dual_ashrrev_i32 v157, 31, v157
	v_cmp_gt_i32_e64 s20, 0, v161
	v_cmp_gt_i32_e64 s21, 0, v162
	v_not_b32_e32 v161, v162
	v_bitop3_b32 v62, vcc_lo, exec_lo, v62 bitop3:0x48
	v_dual_ashrrev_i32 v158, 31, v158 :: v_dual_ashrrev_i32 v160, 31, v160
	v_xor_b32_e32 v63, s17, v63
	v_not_b32_e32 v162, v163
	v_xor_b32_e32 v157, s18, v157
	s_delay_alu instid0(VALU_DEP_4) | instskip(SKIP_2) | instid1(VALU_DEP_4)
	v_dual_ashrrev_i32 v161, 31, v161 :: v_dual_bitop2_b32 v158, s19, v158 bitop3:0x14
	v_xor_b32_e32 v160, s20, v160
	v_cmp_gt_i32_e32 vcc_lo, 0, v163
	v_bitop3_b32 v62, v62, v157, v63 bitop3:0x80
	v_ashrrev_i32_e32 v63, 31, v162
	v_mad_u32_u24 v157, v159, 36, v114
	v_xor_b32_e32 v161, s21, v161
	s_delay_alu instid0(VALU_DEP_4) | instskip(NEXT) | instid1(VALU_DEP_4)
	v_bitop3_b32 v62, v62, v160, v158 bitop3:0x80
	v_xor_b32_e32 v63, vcc_lo, v63
	ds_load_b32 v157, v157 offset:544
	; wave barrier
	v_bitop3_b32 v62, v62, v63, v161 bitop3:0x80
	v_mul_u32_u24_e32 v63, 36, v159
	s_delay_alu instid0(VALU_DEP_2) | instskip(SKIP_1) | instid1(VALU_DEP_3)
	v_mbcnt_lo_u32_b32 v158, v62, 0
	v_cmp_ne_u32_e64 s17, 0, v62
	v_add_nc_u32_e32 v159, v114, v63
	s_delay_alu instid0(VALU_DEP_3) | instskip(SKIP_1) | instid1(SALU_CYCLE_1)
	v_cmp_eq_u32_e32 vcc_lo, 0, v158
	s_and_b32 s18, s17, vcc_lo
	s_and_saveexec_b32 s17, s18
	s_cbranch_execz .LBB289_1063
; %bb.1062:                             ;   in Loop: Header=BB289_1032 Depth=2
	s_wait_dscnt 0x0
	v_bcnt_u32_b32 v62, v62, v157
	ds_store_b32 v159, v62 offset:544
.LBB289_1063:                           ;   in Loop: Header=BB289_1032 Depth=2
	s_or_b32 exec_lo, exec_lo, s17
	v_bitop3_b16 v62, v142, s43, 0x7f bitop3:0x48
	; wave barrier
	s_delay_alu instid0(VALU_DEP_1) | instskip(NEXT) | instid1(VALU_DEP_1)
	v_and_b32_e32 v62, 0xffff, v62
	v_lshrrev_b32_e32 v62, s49, v62
	s_delay_alu instid0(VALU_DEP_1) | instskip(SKIP_1) | instid1(VALU_DEP_2)
	v_bitop3_b32 v63, v62, 1, s58 bitop3:0x80
	v_and_b32_e32 v162, s58, v62
	v_add_co_u32 v62, s17, v63, -1
	s_delay_alu instid0(VALU_DEP_1) | instskip(NEXT) | instid1(VALU_DEP_3)
	v_cndmask_b32_e64 v63, 0, 1, s17
	v_dual_lshlrev_b32 v160, 30, v162 :: v_dual_lshlrev_b32 v161, 29, v162
	s_delay_alu instid0(VALU_DEP_2) | instskip(NEXT) | instid1(VALU_DEP_2)
	v_cmp_ne_u32_e32 vcc_lo, 0, v63
	v_cmp_gt_i32_e64 s17, 0, v160
	v_not_b32_e32 v63, v160
	s_delay_alu instid0(VALU_DEP_4) | instskip(SKIP_2) | instid1(VALU_DEP_3)
	v_not_b32_e32 v160, v161
	v_cmp_gt_i32_e64 s18, 0, v161
	v_bitop3_b32 v62, vcc_lo, exec_lo, v62 bitop3:0x48
	v_dual_ashrrev_i32 v63, 31, v63 :: v_dual_ashrrev_i32 v160, 31, v160
	v_dual_lshlrev_b32 v163, 28, v162 :: v_dual_lshlrev_b32 v164, 27, v162
	v_dual_lshlrev_b32 v165, 26, v162 :: v_dual_lshlrev_b32 v166, 25, v162
	s_delay_alu instid0(VALU_DEP_2) | instskip(SKIP_1) | instid1(VALU_DEP_4)
	v_cmp_gt_i32_e64 s19, 0, v163
	v_not_b32_e32 v161, v163
	v_cmp_gt_i32_e64 s20, 0, v164
	v_not_b32_e32 v163, v164
	;; [unrolled: 2-line block ×3, first 2 shown]
	v_not_b32_e32 v165, v166
	v_xor_b32_e32 v63, s17, v63
	v_dual_ashrrev_i32 v161, 31, v161 :: v_dual_bitop2_b32 v160, s18, v160 bitop3:0x14
	s_delay_alu instid0(VALU_DEP_4) | instskip(NEXT) | instid1(VALU_DEP_4)
	v_dual_ashrrev_i32 v163, 31, v163 :: v_dual_ashrrev_i32 v164, 31, v164
	v_ashrrev_i32_e32 v165, 31, v165
	s_delay_alu instid0(VALU_DEP_3)
	v_bitop3_b32 v62, v62, v160, v63 bitop3:0x80
	v_mad_u32_u24 v63, v162, 36, v114
	v_cmp_gt_i32_e64 s22, 0, v166
	v_xor_b32_e32 v163, s20, v163
	v_xor_b32_e32 v164, s21, v164
	ds_load_b32 v160, v63 offset:544
	v_mul_u32_u24_e32 v63, 36, v162
	v_xor_b32_e32 v161, s19, v161
	v_xor_b32_e32 v165, s22, v165
	; wave barrier
	s_delay_alu instid0(VALU_DEP_3) | instskip(NEXT) | instid1(VALU_DEP_3)
	v_add_nc_u32_e32 v162, v114, v63
	v_bitop3_b32 v62, v62, v163, v161 bitop3:0x80
	s_delay_alu instid0(VALU_DEP_1) | instskip(NEXT) | instid1(VALU_DEP_1)
	v_bitop3_b32 v62, v62, v165, v164 bitop3:0x80
	v_mbcnt_lo_u32_b32 v161, v62, 0
	v_cmp_ne_u32_e64 s17, 0, v62
	s_delay_alu instid0(VALU_DEP_2) | instskip(SKIP_1) | instid1(SALU_CYCLE_1)
	v_cmp_eq_u32_e32 vcc_lo, 0, v161
	s_and_b32 s18, s17, vcc_lo
	s_and_saveexec_b32 s17, s18
	s_cbranch_execz .LBB289_1065
; %bb.1064:                             ;   in Loop: Header=BB289_1032 Depth=2
	s_wait_dscnt 0x0
	v_bcnt_u32_b32 v62, v62, v160
	ds_store_b32 v162, v62 offset:544
.LBB289_1065:                           ;   in Loop: Header=BB289_1032 Depth=2
	s_or_b32 exec_lo, exec_lo, s17
	v_xor_b32_e32 v62, 0x7f, v145
	v_xor_b32_e32 v63, 0x7f, v144
	;; [unrolled: 1-line block ×4, first 2 shown]
	s_delay_alu instid0(VALU_DEP_4) | instskip(NEXT) | instid1(VALU_DEP_4)
	v_lshlrev_b16 v62, 8, v62
	v_lshlrev_b16 v63, 8, v63
	; wave barrier
	s_delay_alu instid0(VALU_DEP_2) | instskip(NEXT) | instid1(VALU_DEP_2)
	v_bitop3_b16 v142, v142, v62, 0xff bitop3:0xec
	v_bitop3_b16 v62, v143, v63, 0xff bitop3:0xec
	s_delay_alu instid0(VALU_DEP_2) | instskip(NEXT) | instid1(VALU_DEP_2)
	v_and_b32_e32 v63, 0xffff, v142
	v_lshlrev_b32_e32 v62, 16, v62
	s_delay_alu instid0(VALU_DEP_1) | instskip(NEXT) | instid1(VALU_DEP_1)
	v_or_b32_e32 v143, v63, v62
	v_bfe_u32 v62, v143, 8, 8
	s_delay_alu instid0(VALU_DEP_1) | instskip(NEXT) | instid1(VALU_DEP_1)
	v_lshrrev_b32_e32 v62, s49, v62
	v_bitop3_b32 v63, v62, 1, s58 bitop3:0x80
	v_and_b32_e32 v163, s58, v62
	s_delay_alu instid0(VALU_DEP_2) | instskip(NEXT) | instid1(VALU_DEP_1)
	v_add_co_u32 v62, s17, v63, -1
	v_cndmask_b32_e64 v63, 0, 1, s17
	s_delay_alu instid0(VALU_DEP_3) | instskip(NEXT) | instid1(VALU_DEP_2)
	v_lshlrev_b32_e32 v144, 30, v163
	v_cmp_ne_u32_e32 vcc_lo, 0, v63
	s_delay_alu instid0(VALU_DEP_2) | instskip(SKIP_2) | instid1(VALU_DEP_3)
	v_not_b32_e32 v63, v144
	v_cmp_gt_i32_e64 s17, 0, v144
	v_bitop3_b32 v62, vcc_lo, exec_lo, v62 bitop3:0x48
	v_ashrrev_i32_e32 v63, 31, v63
	v_dual_lshlrev_b32 v145, 29, v163 :: v_dual_lshlrev_b32 v164, 28, v163
	v_dual_lshlrev_b32 v165, 27, v163 :: v_dual_lshlrev_b32 v166, 26, v163
	s_delay_alu instid0(VALU_DEP_2)
	v_not_b32_e32 v144, v145
	v_lshlrev_b32_e32 v167, 25, v163
	v_cmp_gt_i32_e64 s18, 0, v145
	v_cmp_gt_i32_e64 s19, 0, v164
	v_not_b32_e32 v145, v164
	v_ashrrev_i32_e32 v144, 31, v144
	v_cmp_gt_i32_e64 s20, 0, v165
	v_not_b32_e32 v164, v165
	v_cmp_gt_i32_e64 s21, 0, v166
	v_not_b32_e32 v165, v166
	v_not_b32_e32 v166, v167
	v_xor_b32_e32 v63, s17, v63
	v_dual_ashrrev_i32 v145, 31, v145 :: v_dual_bitop2_b32 v144, s18, v144 bitop3:0x14
	s_delay_alu instid0(VALU_DEP_4) | instskip(NEXT) | instid1(VALU_DEP_4)
	v_dual_ashrrev_i32 v164, 31, v164 :: v_dual_ashrrev_i32 v165, 31, v165
	v_ashrrev_i32_e32 v166, 31, v166
	s_delay_alu instid0(VALU_DEP_3)
	v_bitop3_b32 v62, v62, v144, v63 bitop3:0x80
	v_mad_u32_u24 v63, v163, 36, v114
	v_cmp_gt_i32_e64 s22, 0, v167
	v_xor_b32_e32 v164, s20, v164
	v_xor_b32_e32 v165, s21, v165
	ds_load_b32 v144, v63 offset:544
	v_mul_u32_u24_e32 v63, 36, v163
	v_xor_b32_e32 v145, s19, v145
	v_xor_b32_e32 v166, s22, v166
	; wave barrier
	s_delay_alu instid0(VALU_DEP_3) | instskip(NEXT) | instid1(VALU_DEP_3)
	v_add_nc_u32_e32 v163, v114, v63
	v_bitop3_b32 v62, v62, v164, v145 bitop3:0x80
	s_delay_alu instid0(VALU_DEP_1) | instskip(NEXT) | instid1(VALU_DEP_1)
	v_bitop3_b32 v62, v62, v166, v165 bitop3:0x80
	v_mbcnt_lo_u32_b32 v145, v62, 0
	v_cmp_ne_u32_e64 s17, 0, v62
	s_delay_alu instid0(VALU_DEP_2) | instskip(SKIP_1) | instid1(SALU_CYCLE_1)
	v_cmp_eq_u32_e32 vcc_lo, 0, v145
	s_and_b32 s18, s17, vcc_lo
	s_and_saveexec_b32 s17, s18
	s_cbranch_execz .LBB289_1067
; %bb.1066:                             ;   in Loop: Header=BB289_1032 Depth=2
	s_wait_dscnt 0x0
	v_bcnt_u32_b32 v62, v62, v144
	ds_store_b32 v163, v62 offset:544
.LBB289_1067:                           ;   in Loop: Header=BB289_1032 Depth=2
	s_or_b32 exec_lo, exec_lo, s17
	v_bfe_u32 v62, v143, 16, 8
	; wave barrier
	s_delay_alu instid0(VALU_DEP_1) | instskip(NEXT) | instid1(VALU_DEP_1)
	v_lshrrev_b32_e32 v62, s49, v62
	v_bitop3_b32 v63, v62, 1, s58 bitop3:0x80
	v_and_b32_e32 v166, s58, v62
	s_delay_alu instid0(VALU_DEP_2) | instskip(NEXT) | instid1(VALU_DEP_1)
	v_add_co_u32 v62, s17, v63, -1
	v_cndmask_b32_e64 v63, 0, 1, s17
	s_delay_alu instid0(VALU_DEP_3) | instskip(NEXT) | instid1(VALU_DEP_2)
	v_dual_lshlrev_b32 v164, 30, v166 :: v_dual_lshlrev_b32 v165, 29, v166
	v_cmp_ne_u32_e32 vcc_lo, 0, v63
	s_delay_alu instid0(VALU_DEP_2) | instskip(SKIP_1) | instid1(VALU_DEP_4)
	v_cmp_gt_i32_e64 s17, 0, v164
	v_not_b32_e32 v63, v164
	v_not_b32_e32 v164, v165
	v_cmp_gt_i32_e64 s18, 0, v165
	v_bitop3_b32 v62, vcc_lo, exec_lo, v62 bitop3:0x48
	s_delay_alu instid0(VALU_DEP_3) | instskip(SKIP_2) | instid1(VALU_DEP_2)
	v_dual_ashrrev_i32 v63, 31, v63 :: v_dual_ashrrev_i32 v164, 31, v164
	v_dual_lshlrev_b32 v167, 28, v166 :: v_dual_lshlrev_b32 v168, 27, v166
	v_dual_lshlrev_b32 v169, 26, v166 :: v_dual_lshlrev_b32 v170, 25, v166
	v_cmp_gt_i32_e64 s19, 0, v167
	v_not_b32_e32 v165, v167
	s_delay_alu instid0(VALU_DEP_4) | instskip(SKIP_3) | instid1(VALU_DEP_4)
	v_not_b32_e32 v167, v168
	v_cmp_gt_i32_e64 s20, 0, v168
	v_cmp_gt_i32_e64 s21, 0, v169
	v_not_b32_e32 v168, v169
	v_dual_ashrrev_i32 v165, 31, v165 :: v_dual_ashrrev_i32 v167, 31, v167
	v_xor_b32_e32 v63, s17, v63
	v_not_b32_e32 v169, v170
	v_xor_b32_e32 v164, s18, v164
	s_delay_alu instid0(VALU_DEP_4) | instskip(SKIP_2) | instid1(VALU_DEP_4)
	v_dual_ashrrev_i32 v168, 31, v168 :: v_dual_bitop2_b32 v165, s19, v165 bitop3:0x14
	v_xor_b32_e32 v167, s20, v167
	v_cmp_gt_i32_e32 vcc_lo, 0, v170
	v_bitop3_b32 v62, v62, v164, v63 bitop3:0x80
	v_ashrrev_i32_e32 v63, 31, v169
	v_mad_u32_u24 v164, v166, 36, v114
	v_xor_b32_e32 v168, s21, v168
	s_delay_alu instid0(VALU_DEP_4) | instskip(NEXT) | instid1(VALU_DEP_4)
	v_bitop3_b32 v62, v62, v167, v165 bitop3:0x80
	v_xor_b32_e32 v63, vcc_lo, v63
	ds_load_b32 v164, v164 offset:544
	; wave barrier
	v_bitop3_b32 v62, v62, v63, v168 bitop3:0x80
	v_mul_u32_u24_e32 v63, 36, v166
	s_delay_alu instid0(VALU_DEP_2) | instskip(SKIP_1) | instid1(VALU_DEP_3)
	v_mbcnt_lo_u32_b32 v165, v62, 0
	v_cmp_ne_u32_e64 s17, 0, v62
	v_add_nc_u32_e32 v167, v114, v63
	s_delay_alu instid0(VALU_DEP_3) | instskip(SKIP_1) | instid1(SALU_CYCLE_1)
	v_cmp_eq_u32_e32 vcc_lo, 0, v165
	s_and_b32 s18, s17, vcc_lo
	s_and_saveexec_b32 s17, s18
	s_cbranch_execz .LBB289_1069
; %bb.1068:                             ;   in Loop: Header=BB289_1032 Depth=2
	s_wait_dscnt 0x0
	v_bcnt_u32_b32 v62, v62, v164
	ds_store_b32 v167, v62 offset:544
.LBB289_1069:                           ;   in Loop: Header=BB289_1032 Depth=2
	s_or_b32 exec_lo, exec_lo, s17
	v_lshrrev_b32_e32 v166, 24, v143
	; wave barrier
	s_delay_alu instid0(VALU_DEP_1) | instskip(NEXT) | instid1(VALU_DEP_1)
	v_lshrrev_b32_e32 v62, s49, v166
	v_bitop3_b32 v63, v62, 1, s58 bitop3:0x80
	v_and_b32_e32 v170, s58, v62
	s_delay_alu instid0(VALU_DEP_2) | instskip(NEXT) | instid1(VALU_DEP_1)
	v_add_co_u32 v62, s17, v63, -1
	v_cndmask_b32_e64 v63, 0, 1, s17
	s_delay_alu instid0(VALU_DEP_3) | instskip(SKIP_1) | instid1(VALU_DEP_3)
	v_dual_lshlrev_b32 v168, 30, v170 :: v_dual_lshlrev_b32 v169, 29, v170
	v_dual_lshlrev_b32 v171, 28, v170 :: v_dual_lshlrev_b32 v172, 27, v170
	v_cmp_ne_u32_e32 vcc_lo, 0, v63
	s_delay_alu instid0(VALU_DEP_3)
	v_cmp_gt_i32_e64 s17, 0, v168
	v_not_b32_e32 v63, v168
	v_not_b32_e32 v168, v169
	v_dual_lshlrev_b32 v173, 26, v170 :: v_dual_lshlrev_b32 v174, 25, v170
	v_cmp_gt_i32_e64 s18, 0, v169
	v_cmp_gt_i32_e64 s19, 0, v171
	v_not_b32_e32 v169, v171
	v_not_b32_e32 v171, v172
	v_dual_ashrrev_i32 v63, 31, v63 :: v_dual_ashrrev_i32 v168, 31, v168
	v_cmp_gt_i32_e64 s20, 0, v172
	v_cmp_gt_i32_e64 s21, 0, v173
	v_not_b32_e32 v172, v173
	v_bitop3_b32 v62, vcc_lo, exec_lo, v62 bitop3:0x48
	v_dual_ashrrev_i32 v169, 31, v169 :: v_dual_ashrrev_i32 v171, 31, v171
	v_xor_b32_e32 v168, s18, v168
	s_delay_alu instid0(VALU_DEP_4) | instskip(SKIP_1) | instid1(VALU_DEP_4)
	v_dual_ashrrev_i32 v172, 31, v172 :: v_dual_bitop2_b32 v63, s17, v63 bitop3:0x14
	v_not_b32_e32 v173, v174
	v_xor_b32_e32 v169, s19, v169
	v_xor_b32_e32 v171, s20, v171
	s_delay_alu instid0(VALU_DEP_4)
	v_bitop3_b32 v62, v62, v168, v63 bitop3:0x80
	v_cmp_gt_i32_e32 vcc_lo, 0, v174
	v_ashrrev_i32_e32 v63, 31, v173
	v_mad_u32_u24 v168, v170, 36, v114
	v_xor_b32_e32 v172, s21, v172
	v_bitop3_b32 v62, v62, v171, v169 bitop3:0x80
	s_delay_alu instid0(VALU_DEP_4) | instskip(SKIP_3) | instid1(VALU_DEP_2)
	v_xor_b32_e32 v63, vcc_lo, v63
	ds_load_b32 v168, v168 offset:544
	; wave barrier
	v_bitop3_b32 v62, v62, v63, v172 bitop3:0x80
	v_mul_u32_u24_e32 v63, 36, v170
	v_mbcnt_lo_u32_b32 v169, v62, 0
	v_cmp_ne_u32_e64 s17, 0, v62
	s_delay_alu instid0(VALU_DEP_3) | instskip(NEXT) | instid1(VALU_DEP_3)
	v_add_nc_u32_e32 v170, v114, v63
	v_cmp_eq_u32_e32 vcc_lo, 0, v169
	s_and_b32 s18, s17, vcc_lo
	s_delay_alu instid0(SALU_CYCLE_1)
	s_and_saveexec_b32 s17, s18
	s_cbranch_execz .LBB289_1071
; %bb.1070:                             ;   in Loop: Header=BB289_1032 Depth=2
	s_wait_dscnt 0x0
	v_bcnt_u32_b32 v62, v62, v168
	ds_store_b32 v170, v62 offset:544
.LBB289_1071:                           ;   in Loop: Header=BB289_1032 Depth=2
	s_or_b32 exec_lo, exec_lo, s17
	v_bitop3_b16 v62, v138, s43, 0x7f bitop3:0x48
	; wave barrier
	s_delay_alu instid0(VALU_DEP_1) | instskip(NEXT) | instid1(VALU_DEP_1)
	v_and_b32_e32 v62, 0xffff, v62
	v_lshrrev_b32_e32 v62, s49, v62
	s_delay_alu instid0(VALU_DEP_1) | instskip(NEXT) | instid1(VALU_DEP_1)
	v_and_b32_e32 v173, s58, v62
	v_lshlrev_b32_e32 v171, 30, v173
	v_bitop3_b32 v63, v62, 1, s58 bitop3:0x80
	s_delay_alu instid0(VALU_DEP_1) | instskip(NEXT) | instid1(VALU_DEP_1)
	v_add_co_u32 v62, s17, v63, -1
	v_cndmask_b32_e64 v63, 0, 1, s17
	s_delay_alu instid0(VALU_DEP_4) | instskip(NEXT) | instid1(VALU_DEP_2)
	v_cmp_gt_i32_e64 s17, 0, v171
	v_cmp_ne_u32_e32 vcc_lo, 0, v63
	v_not_b32_e32 v63, v171
	v_bitop3_b32 v62, vcc_lo, exec_lo, v62 bitop3:0x48
	s_delay_alu instid0(VALU_DEP_2) | instskip(SKIP_2) | instid1(VALU_DEP_3)
	v_dual_ashrrev_i32 v63, 31, v63 :: v_dual_lshlrev_b32 v172, 29, v173
	v_dual_lshlrev_b32 v174, 28, v173 :: v_dual_lshlrev_b32 v175, 27, v173
	v_lshlrev_b32_e32 v176, 26, v173
	v_not_b32_e32 v171, v172
	v_lshlrev_b32_e32 v177, 25, v173
	v_cmp_gt_i32_e64 s18, 0, v172
	v_cmp_gt_i32_e64 s19, 0, v174
	v_not_b32_e32 v172, v174
	v_ashrrev_i32_e32 v171, 31, v171
	v_cmp_gt_i32_e64 s20, 0, v175
	v_not_b32_e32 v174, v175
	v_cmp_gt_i32_e64 s21, 0, v176
	v_not_b32_e32 v175, v176
	v_not_b32_e32 v176, v177
	v_xor_b32_e32 v63, s17, v63
	v_dual_ashrrev_i32 v172, 31, v172 :: v_dual_bitop2_b32 v171, s18, v171 bitop3:0x14
	s_delay_alu instid0(VALU_DEP_3) | instskip(SKIP_1) | instid1(VALU_DEP_3)
	v_dual_ashrrev_i32 v174, 31, v174 :: v_dual_ashrrev_i32 v176, 31, v176
	v_cmp_gt_i32_e64 s22, 0, v177
	v_bitop3_b32 v62, v62, v171, v63 bitop3:0x80
	v_mad_u32_u24 v63, v173, 36, v114
	v_dual_ashrrev_i32 v175, 31, v175 :: v_dual_bitop2_b32 v172, s19, v172 bitop3:0x14
	s_delay_alu instid0(VALU_DEP_4) | instskip(SKIP_4) | instid1(VALU_DEP_3)
	v_xor_b32_e32 v176, s22, v176
	ds_load_b32 v171, v63 offset:544
	v_mul_u32_u24_e32 v63, 36, v173
	v_xor_b32_e32 v174, s20, v174
	v_xor_b32_e32 v175, s21, v175
	; wave barrier
	v_add_nc_u32_e32 v173, v114, v63
	s_delay_alu instid0(VALU_DEP_3) | instskip(NEXT) | instid1(VALU_DEP_1)
	v_bitop3_b32 v62, v62, v174, v172 bitop3:0x80
	v_bitop3_b32 v62, v62, v176, v175 bitop3:0x80
	s_delay_alu instid0(VALU_DEP_1) | instskip(SKIP_1) | instid1(VALU_DEP_2)
	v_mbcnt_lo_u32_b32 v172, v62, 0
	v_cmp_ne_u32_e64 s17, 0, v62
	v_cmp_eq_u32_e32 vcc_lo, 0, v172
	s_and_b32 s18, s17, vcc_lo
	s_delay_alu instid0(SALU_CYCLE_1)
	s_and_saveexec_b32 s17, s18
	s_cbranch_execz .LBB289_1073
; %bb.1072:                             ;   in Loop: Header=BB289_1032 Depth=2
	s_wait_dscnt 0x0
	v_bcnt_u32_b32 v62, v62, v171
	ds_store_b32 v173, v62 offset:544
.LBB289_1073:                           ;   in Loop: Header=BB289_1032 Depth=2
	s_or_b32 exec_lo, exec_lo, s17
	v_xor_b32_e32 v62, 0x7f, v141
	v_xor_b32_e32 v63, 0x7f, v140
	;; [unrolled: 1-line block ×4, first 2 shown]
	s_delay_alu instid0(VALU_DEP_4) | instskip(NEXT) | instid1(VALU_DEP_4)
	v_lshlrev_b16 v62, 8, v62
	v_lshlrev_b16 v63, 8, v63
	; wave barrier
	s_delay_alu instid0(VALU_DEP_2) | instskip(NEXT) | instid1(VALU_DEP_2)
	v_bitop3_b16 v138, v138, v62, 0xff bitop3:0xec
	v_bitop3_b16 v62, v139, v63, 0xff bitop3:0xec
	s_delay_alu instid0(VALU_DEP_2) | instskip(NEXT) | instid1(VALU_DEP_2)
	v_and_b32_e32 v63, 0xffff, v138
	v_lshlrev_b32_e32 v62, 16, v62
	s_delay_alu instid0(VALU_DEP_1) | instskip(NEXT) | instid1(VALU_DEP_1)
	v_or_b32_e32 v139, v63, v62
	v_bfe_u32 v62, v139, 8, 8
	s_delay_alu instid0(VALU_DEP_1) | instskip(NEXT) | instid1(VALU_DEP_1)
	v_lshrrev_b32_e32 v62, s49, v62
	v_bitop3_b32 v63, v62, 1, s58 bitop3:0x80
	v_and_b32_e32 v174, s58, v62
	s_delay_alu instid0(VALU_DEP_2) | instskip(NEXT) | instid1(VALU_DEP_1)
	v_add_co_u32 v62, s17, v63, -1
	v_cndmask_b32_e64 v63, 0, 1, s17
	s_delay_alu instid0(VALU_DEP_3) | instskip(NEXT) | instid1(VALU_DEP_2)
	v_dual_lshlrev_b32 v140, 30, v174 :: v_dual_lshlrev_b32 v141, 29, v174
	v_cmp_ne_u32_e32 vcc_lo, 0, v63
	s_delay_alu instid0(VALU_DEP_2) | instskip(SKIP_1) | instid1(VALU_DEP_4)
	v_cmp_gt_i32_e64 s17, 0, v140
	v_not_b32_e32 v63, v140
	v_not_b32_e32 v140, v141
	v_cmp_gt_i32_e64 s18, 0, v141
	v_bitop3_b32 v62, vcc_lo, exec_lo, v62 bitop3:0x48
	s_delay_alu instid0(VALU_DEP_3) | instskip(SKIP_2) | instid1(VALU_DEP_2)
	v_dual_ashrrev_i32 v63, 31, v63 :: v_dual_ashrrev_i32 v140, 31, v140
	v_dual_lshlrev_b32 v175, 28, v174 :: v_dual_lshlrev_b32 v176, 27, v174
	v_dual_lshlrev_b32 v177, 26, v174 :: v_dual_lshlrev_b32 v178, 25, v174
	v_cmp_gt_i32_e64 s19, 0, v175
	v_not_b32_e32 v141, v175
	s_delay_alu instid0(VALU_DEP_4)
	v_cmp_gt_i32_e64 s20, 0, v176
	v_not_b32_e32 v175, v176
	v_cmp_gt_i32_e64 s21, 0, v177
	v_not_b32_e32 v176, v177
	v_not_b32_e32 v177, v178
	v_xor_b32_e32 v63, s17, v63
	v_dual_ashrrev_i32 v141, 31, v141 :: v_dual_bitop2_b32 v140, s18, v140 bitop3:0x14
	s_delay_alu instid0(VALU_DEP_4) | instskip(NEXT) | instid1(VALU_DEP_4)
	v_dual_ashrrev_i32 v175, 31, v175 :: v_dual_ashrrev_i32 v176, 31, v176
	v_ashrrev_i32_e32 v177, 31, v177
	s_delay_alu instid0(VALU_DEP_3)
	v_bitop3_b32 v62, v62, v140, v63 bitop3:0x80
	v_mad_u32_u24 v63, v174, 36, v114
	v_cmp_gt_i32_e64 s22, 0, v178
	v_xor_b32_e32 v175, s20, v175
	v_xor_b32_e32 v176, s21, v176
	ds_load_b32 v140, v63 offset:544
	v_mul_u32_u24_e32 v63, 36, v174
	v_xor_b32_e32 v141, s19, v141
	v_xor_b32_e32 v177, s22, v177
	; wave barrier
	s_delay_alu instid0(VALU_DEP_3) | instskip(NEXT) | instid1(VALU_DEP_3)
	v_add_nc_u32_e32 v174, v114, v63
	v_bitop3_b32 v62, v62, v175, v141 bitop3:0x80
	s_delay_alu instid0(VALU_DEP_1) | instskip(NEXT) | instid1(VALU_DEP_1)
	v_bitop3_b32 v62, v62, v177, v176 bitop3:0x80
	v_mbcnt_lo_u32_b32 v141, v62, 0
	v_cmp_ne_u32_e64 s17, 0, v62
	s_delay_alu instid0(VALU_DEP_2) | instskip(SKIP_1) | instid1(SALU_CYCLE_1)
	v_cmp_eq_u32_e32 vcc_lo, 0, v141
	s_and_b32 s18, s17, vcc_lo
	s_and_saveexec_b32 s17, s18
	s_cbranch_execz .LBB289_1075
; %bb.1074:                             ;   in Loop: Header=BB289_1032 Depth=2
	s_wait_dscnt 0x0
	v_bcnt_u32_b32 v62, v62, v140
	ds_store_b32 v174, v62 offset:544
.LBB289_1075:                           ;   in Loop: Header=BB289_1032 Depth=2
	s_or_b32 exec_lo, exec_lo, s17
	v_bfe_u32 v62, v139, 16, 8
	; wave barrier
	s_delay_alu instid0(VALU_DEP_1) | instskip(NEXT) | instid1(VALU_DEP_1)
	v_lshrrev_b32_e32 v62, s49, v62
	v_and_b32_e32 v177, s58, v62
	s_delay_alu instid0(VALU_DEP_1) | instskip(SKIP_1) | instid1(VALU_DEP_1)
	v_lshlrev_b32_e32 v175, 30, v177
	v_bitop3_b32 v63, v62, 1, s58 bitop3:0x80
	v_add_co_u32 v62, s17, v63, -1
	s_delay_alu instid0(VALU_DEP_1) | instskip(NEXT) | instid1(VALU_DEP_4)
	v_cndmask_b32_e64 v63, 0, 1, s17
	v_cmp_gt_i32_e64 s17, 0, v175
	s_delay_alu instid0(VALU_DEP_2) | instskip(SKIP_2) | instid1(VALU_DEP_2)
	v_cmp_ne_u32_e32 vcc_lo, 0, v63
	v_not_b32_e32 v63, v175
	v_bitop3_b32 v62, vcc_lo, exec_lo, v62 bitop3:0x48
	v_dual_ashrrev_i32 v63, 31, v63 :: v_dual_lshlrev_b32 v176, 29, v177
	v_dual_lshlrev_b32 v178, 28, v177 :: v_dual_lshlrev_b32 v179, 27, v177
	s_delay_alu instid0(VALU_DEP_2) | instskip(NEXT) | instid1(VALU_DEP_3)
	v_dual_lshlrev_b32 v180, 26, v177 :: v_dual_bitop2_b32 v63, s17, v63 bitop3:0x14
	v_not_b32_e32 v175, v176
	v_lshlrev_b32_e32 v181, 25, v177
	v_cmp_gt_i32_e64 s18, 0, v176
	v_cmp_gt_i32_e64 s19, 0, v178
	v_not_b32_e32 v176, v178
	v_not_b32_e32 v178, v179
	v_ashrrev_i32_e32 v175, 31, v175
	v_cmp_gt_i32_e64 s20, 0, v179
	v_cmp_gt_i32_e64 s21, 0, v180
	v_not_b32_e32 v179, v180
	v_dual_ashrrev_i32 v176, 31, v176 :: v_dual_ashrrev_i32 v178, 31, v178
	v_not_b32_e32 v180, v181
	v_xor_b32_e32 v175, s18, v175
	s_delay_alu instid0(VALU_DEP_3) | instskip(NEXT) | instid1(VALU_DEP_4)
	v_dual_ashrrev_i32 v179, 31, v179 :: v_dual_bitop2_b32 v176, s19, v176 bitop3:0x14
	v_xor_b32_e32 v178, s20, v178
	v_cmp_gt_i32_e32 vcc_lo, 0, v181
	s_delay_alu instid0(VALU_DEP_4) | instskip(SKIP_3) | instid1(VALU_DEP_4)
	v_bitop3_b32 v62, v62, v175, v63 bitop3:0x80
	v_ashrrev_i32_e32 v63, 31, v180
	v_mad_u32_u24 v175, v177, 36, v114
	v_xor_b32_e32 v179, s21, v179
	v_bitop3_b32 v62, v62, v178, v176 bitop3:0x80
	s_delay_alu instid0(VALU_DEP_4) | instskip(SKIP_3) | instid1(VALU_DEP_2)
	v_xor_b32_e32 v63, vcc_lo, v63
	ds_load_b32 v175, v175 offset:544
	; wave barrier
	v_bitop3_b32 v62, v62, v63, v179 bitop3:0x80
	v_mul_u32_u24_e32 v63, 36, v177
	v_mbcnt_lo_u32_b32 v176, v62, 0
	v_cmp_ne_u32_e64 s17, 0, v62
	s_delay_alu instid0(VALU_DEP_3) | instskip(NEXT) | instid1(VALU_DEP_3)
	v_add_nc_u32_e32 v178, v114, v63
	v_cmp_eq_u32_e32 vcc_lo, 0, v176
	s_and_b32 s18, s17, vcc_lo
	s_delay_alu instid0(SALU_CYCLE_1)
	s_and_saveexec_b32 s17, s18
	s_cbranch_execz .LBB289_1077
; %bb.1076:                             ;   in Loop: Header=BB289_1032 Depth=2
	s_wait_dscnt 0x0
	v_bcnt_u32_b32 v62, v62, v175
	ds_store_b32 v178, v62 offset:544
.LBB289_1077:                           ;   in Loop: Header=BB289_1032 Depth=2
	s_or_b32 exec_lo, exec_lo, s17
	v_lshrrev_b32_e32 v177, 24, v139
	; wave barrier
	s_delay_alu instid0(VALU_DEP_1) | instskip(NEXT) | instid1(VALU_DEP_1)
	v_lshrrev_b32_e32 v62, s49, v177
	v_bitop3_b32 v63, v62, 1, s58 bitop3:0x80
	v_and_b32_e32 v181, s58, v62
	s_delay_alu instid0(VALU_DEP_2) | instskip(NEXT) | instid1(VALU_DEP_1)
	v_add_co_u32 v62, s17, v63, -1
	v_cndmask_b32_e64 v63, 0, 1, s17
	s_delay_alu instid0(VALU_DEP_3) | instskip(SKIP_1) | instid1(VALU_DEP_3)
	v_dual_lshlrev_b32 v179, 30, v181 :: v_dual_lshlrev_b32 v180, 29, v181
	v_dual_lshlrev_b32 v182, 28, v181 :: v_dual_lshlrev_b32 v183, 27, v181
	v_cmp_ne_u32_e32 vcc_lo, 0, v63
	s_delay_alu instid0(VALU_DEP_3)
	v_cmp_gt_i32_e64 s17, 0, v179
	v_not_b32_e32 v63, v179
	v_not_b32_e32 v179, v180
	v_dual_lshlrev_b32 v184, 26, v181 :: v_dual_lshlrev_b32 v185, 25, v181
	v_cmp_gt_i32_e64 s18, 0, v180
	v_cmp_gt_i32_e64 s19, 0, v182
	v_not_b32_e32 v180, v182
	v_not_b32_e32 v182, v183
	v_ashrrev_i32_e32 v63, 31, v63
	v_ashrrev_i32_e32 v179, 31, v179
	v_cmp_gt_i32_e64 s20, 0, v183
	v_cmp_gt_i32_e64 s21, 0, v184
	v_not_b32_e32 v183, v184
	v_bitop3_b32 v62, vcc_lo, exec_lo, v62 bitop3:0x48
	v_dual_ashrrev_i32 v180, 31, v180 :: v_dual_ashrrev_i32 v182, 31, v182
	v_xor_b32_e32 v63, s17, v63
	v_not_b32_e32 v184, v185
	v_xor_b32_e32 v179, s18, v179
	s_delay_alu instid0(VALU_DEP_4) | instskip(SKIP_2) | instid1(VALU_DEP_4)
	v_dual_ashrrev_i32 v183, 31, v183 :: v_dual_bitop2_b32 v180, s19, v180 bitop3:0x14
	v_xor_b32_e32 v182, s20, v182
	v_cmp_gt_i32_e32 vcc_lo, 0, v185
	v_bitop3_b32 v62, v62, v179, v63 bitop3:0x80
	v_ashrrev_i32_e32 v63, 31, v184
	v_mad_u32_u24 v179, v181, 36, v114
	v_xor_b32_e32 v183, s21, v183
	s_delay_alu instid0(VALU_DEP_4) | instskip(NEXT) | instid1(VALU_DEP_4)
	v_bitop3_b32 v62, v62, v182, v180 bitop3:0x80
	v_xor_b32_e32 v63, vcc_lo, v63
	ds_load_b32 v179, v179 offset:544
	; wave barrier
	v_bitop3_b32 v62, v62, v63, v183 bitop3:0x80
	v_mul_u32_u24_e32 v63, 36, v181
	s_delay_alu instid0(VALU_DEP_2) | instskip(SKIP_1) | instid1(VALU_DEP_3)
	v_mbcnt_lo_u32_b32 v180, v62, 0
	v_cmp_ne_u32_e64 s17, 0, v62
	v_add_nc_u32_e32 v181, v114, v63
	s_delay_alu instid0(VALU_DEP_3) | instskip(SKIP_1) | instid1(SALU_CYCLE_1)
	v_cmp_eq_u32_e32 vcc_lo, 0, v180
	s_and_b32 s18, s17, vcc_lo
	s_and_saveexec_b32 s17, s18
	s_cbranch_execz .LBB289_1079
; %bb.1078:                             ;   in Loop: Header=BB289_1032 Depth=2
	s_wait_dscnt 0x0
	v_bcnt_u32_b32 v62, v62, v179
	ds_store_b32 v181, v62 offset:544
.LBB289_1079:                           ;   in Loop: Header=BB289_1032 Depth=2
	s_or_b32 exec_lo, exec_lo, s17
	v_bitop3_b16 v62, v64, s43, 0x7f bitop3:0x48
	; wave barrier
	s_delay_alu instid0(VALU_DEP_1) | instskip(NEXT) | instid1(VALU_DEP_1)
	v_and_b32_e32 v62, 0xffff, v62
	v_lshrrev_b32_e32 v62, s49, v62
	s_delay_alu instid0(VALU_DEP_1) | instskip(NEXT) | instid1(VALU_DEP_1)
	v_and_b32_e32 v184, s58, v62
	v_lshlrev_b32_e32 v182, 30, v184
	v_bitop3_b32 v63, v62, 1, s58 bitop3:0x80
	s_delay_alu instid0(VALU_DEP_1) | instskip(NEXT) | instid1(VALU_DEP_1)
	v_add_co_u32 v62, s17, v63, -1
	v_cndmask_b32_e64 v63, 0, 1, s17
	s_delay_alu instid0(VALU_DEP_4) | instskip(NEXT) | instid1(VALU_DEP_2)
	v_cmp_gt_i32_e64 s17, 0, v182
	v_cmp_ne_u32_e32 vcc_lo, 0, v63
	v_not_b32_e32 v63, v182
	v_bitop3_b32 v62, vcc_lo, exec_lo, v62 bitop3:0x48
	s_delay_alu instid0(VALU_DEP_2) | instskip(SKIP_2) | instid1(VALU_DEP_3)
	v_dual_ashrrev_i32 v63, 31, v63 :: v_dual_lshlrev_b32 v183, 29, v184
	v_dual_lshlrev_b32 v185, 28, v184 :: v_dual_lshlrev_b32 v186, 27, v184
	v_lshlrev_b32_e32 v187, 26, v184
	v_not_b32_e32 v182, v183
	v_lshlrev_b32_e32 v188, 25, v184
	v_cmp_gt_i32_e64 s18, 0, v183
	v_cmp_gt_i32_e64 s19, 0, v185
	v_not_b32_e32 v183, v185
	v_not_b32_e32 v185, v186
	v_ashrrev_i32_e32 v182, 31, v182
	v_cmp_gt_i32_e64 s20, 0, v186
	v_cmp_gt_i32_e64 s21, 0, v187
	v_not_b32_e32 v186, v187
	v_not_b32_e32 v187, v188
	v_dual_ashrrev_i32 v183, 31, v183 :: v_dual_ashrrev_i32 v185, 31, v185
	s_delay_alu instid0(VALU_DEP_3) | instskip(NEXT) | instid1(VALU_DEP_3)
	v_dual_ashrrev_i32 v186, 31, v186 :: v_dual_bitop2_b32 v63, s17, v63 bitop3:0x14
	v_dual_ashrrev_i32 v187, 31, v187 :: v_dual_bitop2_b32 v182, s18, v182 bitop3:0x14
	v_cmp_gt_i32_e64 s22, 0, v188
	s_delay_alu instid0(VALU_DEP_4) | instskip(SKIP_1) | instid1(VALU_DEP_4)
	v_xor_b32_e32 v183, s19, v183
	v_xor_b32_e32 v185, s20, v185
	v_bitop3_b32 v62, v62, v182, v63 bitop3:0x80
	v_mad_u32_u24 v63, v184, 36, v114
	v_xor_b32_e32 v187, s22, v187
	s_delay_alu instid0(VALU_DEP_3) | instskip(SKIP_3) | instid1(VALU_DEP_2)
	v_bitop3_b32 v62, v62, v185, v183 bitop3:0x80
	ds_load_b32 v182, v63 offset:544
	v_mul_u32_u24_e32 v63, 36, v184
	v_xor_b32_e32 v186, s21, v186
	; wave barrier
	v_add_nc_u32_e32 v185, v114, v63
	s_delay_alu instid0(VALU_DEP_2) | instskip(NEXT) | instid1(VALU_DEP_1)
	v_bitop3_b32 v62, v62, v187, v186 bitop3:0x80
	v_mbcnt_lo_u32_b32 v183, v62, 0
	v_cmp_ne_u32_e64 s17, 0, v62
	s_delay_alu instid0(VALU_DEP_2) | instskip(SKIP_1) | instid1(SALU_CYCLE_1)
	v_cmp_eq_u32_e32 vcc_lo, 0, v183
	s_and_b32 s18, s17, vcc_lo
	s_and_saveexec_b32 s17, s18
	s_cbranch_execz .LBB289_1081
; %bb.1080:                             ;   in Loop: Header=BB289_1032 Depth=2
	s_wait_dscnt 0x0
	v_bcnt_u32_b32 v62, v62, v182
	ds_store_b32 v185, v62 offset:544
.LBB289_1081:                           ;   in Loop: Header=BB289_1032 Depth=2
	s_or_b32 exec_lo, exec_lo, s17
	v_xor_b32_e32 v62, 0x7f, v136
	v_xor_b32_e32 v63, 0x7f, v135
	;; [unrolled: 1-line block ×4, first 2 shown]
	s_delay_alu instid0(VALU_DEP_4) | instskip(NEXT) | instid1(VALU_DEP_4)
	v_lshlrev_b16 v62, 8, v62
	v_lshlrev_b16 v63, 8, v63
	; wave barrier
	s_delay_alu instid0(VALU_DEP_2) | instskip(NEXT) | instid1(VALU_DEP_2)
	v_bitop3_b16 v184, v64, v62, 0xff bitop3:0xec
	v_bitop3_b16 v62, v65, v63, 0xff bitop3:0xec
	s_delay_alu instid0(VALU_DEP_2) | instskip(NEXT) | instid1(VALU_DEP_2)
	v_and_b32_e32 v63, 0xffff, v184
	v_lshlrev_b32_e32 v62, 16, v62
	s_delay_alu instid0(VALU_DEP_1) | instskip(NEXT) | instid1(VALU_DEP_1)
	v_or_b32_e32 v135, v63, v62
	v_bfe_u32 v62, v135, 8, 8
	s_delay_alu instid0(VALU_DEP_1) | instskip(NEXT) | instid1(VALU_DEP_1)
	v_lshrrev_b32_e32 v62, s49, v62
	v_bitop3_b32 v63, v62, 1, s58 bitop3:0x80
	v_and_b32_e32 v64, s58, v62
	s_delay_alu instid0(VALU_DEP_2) | instskip(NEXT) | instid1(VALU_DEP_1)
	v_add_co_u32 v62, s17, v63, -1
	v_cndmask_b32_e64 v63, 0, 1, s17
	s_delay_alu instid0(VALU_DEP_3) | instskip(NEXT) | instid1(VALU_DEP_2)
	v_lshlrev_b32_e32 v65, 30, v64
	v_cmp_ne_u32_e32 vcc_lo, 0, v63
	s_delay_alu instid0(VALU_DEP_2) | instskip(SKIP_2) | instid1(VALU_DEP_3)
	v_not_b32_e32 v63, v65
	v_cmp_gt_i32_e64 s17, 0, v65
	v_bitop3_b32 v62, vcc_lo, exec_lo, v62 bitop3:0x48
	v_dual_ashrrev_i32 v63, 31, v63 :: v_dual_lshlrev_b32 v136, 29, v64
	v_dual_lshlrev_b32 v186, 28, v64 :: v_dual_lshlrev_b32 v187, 27, v64
	v_lshlrev_b32_e32 v188, 26, v64
	s_delay_alu instid0(VALU_DEP_3)
	v_not_b32_e32 v65, v136
	v_lshlrev_b32_e32 v189, 25, v64
	v_cmp_gt_i32_e64 s18, 0, v136
	v_cmp_gt_i32_e64 s19, 0, v186
	v_not_b32_e32 v136, v186
	v_not_b32_e32 v186, v187
	v_ashrrev_i32_e32 v65, 31, v65
	v_cmp_gt_i32_e64 s20, 0, v187
	v_cmp_gt_i32_e64 s21, 0, v188
	v_not_b32_e32 v187, v188
	v_not_b32_e32 v188, v189
	v_dual_ashrrev_i32 v136, 31, v136 :: v_dual_ashrrev_i32 v186, 31, v186
	v_xor_b32_e32 v63, s17, v63
	s_delay_alu instid0(VALU_DEP_4)
	v_dual_ashrrev_i32 v187, 31, v187 :: v_dual_bitop2_b32 v65, s18, v65 bitop3:0x14
	v_cmp_gt_i32_e64 s22, 0, v189
	v_ashrrev_i32_e32 v188, 31, v188
	v_xor_b32_e32 v136, s19, v136
	v_xor_b32_e32 v186, s20, v186
	v_bitop3_b32 v62, v62, v65, v63 bitop3:0x80
	v_mad_u32_u24 v63, v64, 36, v114
	v_xor_b32_e32 v65, s21, v187
	v_xor_b32_e32 v187, s22, v188
	s_delay_alu instid0(VALU_DEP_4) | instskip(SKIP_3) | instid1(VALU_DEP_2)
	v_bitop3_b32 v62, v62, v186, v136 bitop3:0x80
	ds_load_b32 v136, v63 offset:544
	v_mul_u32_u24_e32 v63, 36, v64
	; wave barrier
	v_bitop3_b32 v62, v62, v187, v65 bitop3:0x80
	v_add_nc_u32_e32 v187, v114, v63
	s_delay_alu instid0(VALU_DEP_2) | instskip(SKIP_1) | instid1(VALU_DEP_2)
	v_mbcnt_lo_u32_b32 v186, v62, 0
	v_cmp_ne_u32_e64 s17, 0, v62
	v_cmp_eq_u32_e32 vcc_lo, 0, v186
	s_and_b32 s18, s17, vcc_lo
	s_delay_alu instid0(SALU_CYCLE_1)
	s_and_saveexec_b32 s17, s18
	s_cbranch_execz .LBB289_1083
; %bb.1082:                             ;   in Loop: Header=BB289_1032 Depth=2
	s_wait_dscnt 0x0
	v_bcnt_u32_b32 v62, v62, v136
	ds_store_b32 v187, v62 offset:544
.LBB289_1083:                           ;   in Loop: Header=BB289_1032 Depth=2
	s_or_b32 exec_lo, exec_lo, s17
	v_bfe_u32 v62, v135, 16, 8
	; wave barrier
	s_delay_alu instid0(VALU_DEP_1) | instskip(NEXT) | instid1(VALU_DEP_1)
	v_lshrrev_b32_e32 v62, s49, v62
	v_and_b32_e32 v64, s58, v62
	s_delay_alu instid0(VALU_DEP_1) | instskip(SKIP_1) | instid1(VALU_DEP_1)
	v_lshlrev_b32_e32 v65, 30, v64
	v_bitop3_b32 v63, v62, 1, s58 bitop3:0x80
	v_add_co_u32 v62, s17, v63, -1
	s_delay_alu instid0(VALU_DEP_1) | instskip(NEXT) | instid1(VALU_DEP_4)
	v_cndmask_b32_e64 v63, 0, 1, s17
	v_cmp_gt_i32_e64 s17, 0, v65
	s_delay_alu instid0(VALU_DEP_2) | instskip(SKIP_2) | instid1(VALU_DEP_2)
	v_cmp_ne_u32_e32 vcc_lo, 0, v63
	v_not_b32_e32 v63, v65
	v_bitop3_b32 v62, vcc_lo, exec_lo, v62 bitop3:0x48
	v_dual_ashrrev_i32 v63, 31, v63 :: v_dual_lshlrev_b32 v188, 29, v64
	v_dual_lshlrev_b32 v189, 28, v64 :: v_dual_lshlrev_b32 v190, 27, v64
	v_lshlrev_b32_e32 v191, 26, v64
	s_delay_alu instid0(VALU_DEP_3)
	v_not_b32_e32 v65, v188
	v_lshlrev_b32_e32 v192, 25, v64
	v_cmp_gt_i32_e64 s18, 0, v188
	v_cmp_gt_i32_e64 s19, 0, v189
	v_not_b32_e32 v188, v189
	v_not_b32_e32 v189, v190
	v_ashrrev_i32_e32 v65, 31, v65
	v_cmp_gt_i32_e64 s20, 0, v190
	v_cmp_gt_i32_e64 s21, 0, v191
	v_not_b32_e32 v190, v191
	v_dual_ashrrev_i32 v188, 31, v188 :: v_dual_ashrrev_i32 v189, 31, v189
	v_xor_b32_e32 v63, s17, v63
	v_not_b32_e32 v191, v192
	s_delay_alu instid0(VALU_DEP_4) | instskip(NEXT) | instid1(VALU_DEP_4)
	v_dual_ashrrev_i32 v190, 31, v190 :: v_dual_bitop2_b32 v65, s18, v65 bitop3:0x14
	v_xor_b32_e32 v188, s19, v188
	v_xor_b32_e32 v189, s20, v189
	v_cmp_gt_i32_e32 vcc_lo, 0, v192
	s_delay_alu instid0(VALU_DEP_4) | instskip(SKIP_3) | instid1(VALU_DEP_4)
	v_bitop3_b32 v62, v62, v65, v63 bitop3:0x80
	v_ashrrev_i32_e32 v63, 31, v191
	v_mad_u32_u24 v65, v64, 36, v114
	v_xor_b32_e32 v190, s21, v190
	v_bitop3_b32 v62, v62, v189, v188 bitop3:0x80
	s_delay_alu instid0(VALU_DEP_4) | instskip(SKIP_3) | instid1(VALU_DEP_2)
	v_xor_b32_e32 v63, vcc_lo, v63
	ds_load_b32 v188, v65 offset:544
	; wave barrier
	v_bitop3_b32 v62, v62, v63, v190 bitop3:0x80
	v_mul_u32_u24_e32 v63, 36, v64
	v_mbcnt_lo_u32_b32 v189, v62, 0
	v_cmp_ne_u32_e64 s17, 0, v62
	s_delay_alu instid0(VALU_DEP_3) | instskip(NEXT) | instid1(VALU_DEP_3)
	v_add_nc_u32_e32 v191, v114, v63
	v_cmp_eq_u32_e32 vcc_lo, 0, v189
	s_and_b32 s18, s17, vcc_lo
	s_delay_alu instid0(SALU_CYCLE_1)
	s_and_saveexec_b32 s17, s18
	s_cbranch_execz .LBB289_1085
; %bb.1084:                             ;   in Loop: Header=BB289_1032 Depth=2
	s_wait_dscnt 0x0
	v_bcnt_u32_b32 v62, v62, v188
	ds_store_b32 v191, v62 offset:544
.LBB289_1085:                           ;   in Loop: Header=BB289_1032 Depth=2
	s_or_b32 exec_lo, exec_lo, s17
	v_lshrrev_b32_e32 v190, 24, v135
	; wave barrier
	s_delay_alu instid0(VALU_DEP_1) | instskip(NEXT) | instid1(VALU_DEP_1)
	v_lshrrev_b32_e32 v62, s49, v190
	v_and_b32_e32 v64, s58, v62
	s_delay_alu instid0(VALU_DEP_1) | instskip(SKIP_3) | instid1(VALU_DEP_3)
	v_lshlrev_b32_e32 v65, 30, v64
	v_bitop3_b32 v63, v62, 1, s58 bitop3:0x80
	v_dual_lshlrev_b32 v192, 29, v64 :: v_dual_lshlrev_b32 v193, 28, v64
	v_dual_lshlrev_b32 v194, 27, v64 :: v_dual_lshlrev_b32 v195, 26, v64
	v_add_co_u32 v62, s17, v63, -1
	s_delay_alu instid0(VALU_DEP_1)
	v_cndmask_b32_e64 v63, 0, 1, s17
	v_cmp_gt_i32_e64 s17, 0, v65
	v_cmp_gt_i32_e64 s18, 0, v192
	;; [unrolled: 1-line block ×4, first 2 shown]
	v_cmp_ne_u32_e32 vcc_lo, 0, v63
	v_not_b32_e32 v63, v65
	v_not_b32_e32 v65, v192
	v_lshlrev_b32_e32 v196, 25, v64
	v_not_b32_e32 v192, v193
	v_not_b32_e32 v193, v194
	s_delay_alu instid0(VALU_DEP_4)
	v_dual_ashrrev_i32 v63, 31, v63 :: v_dual_ashrrev_i32 v65, 31, v65
	v_cmp_gt_i32_e64 s21, 0, v195
	v_not_b32_e32 v194, v195
	v_bitop3_b32 v62, vcc_lo, exec_lo, v62 bitop3:0x48
	v_dual_ashrrev_i32 v192, 31, v192 :: v_dual_ashrrev_i32 v193, 31, v193
	v_xor_b32_e32 v63, s17, v63
	s_delay_alu instid0(VALU_DEP_4) | instskip(SKIP_1) | instid1(VALU_DEP_4)
	v_dual_ashrrev_i32 v194, 31, v194 :: v_dual_bitop2_b32 v65, s18, v65 bitop3:0x14
	v_not_b32_e32 v195, v196
	v_xor_b32_e32 v192, s19, v192
	v_xor_b32_e32 v193, s20, v193
	s_delay_alu instid0(VALU_DEP_4)
	v_bitop3_b32 v62, v62, v65, v63 bitop3:0x80
	v_cmp_gt_i32_e32 vcc_lo, 0, v196
	v_ashrrev_i32_e32 v63, 31, v195
	v_mad_u32_u24 v65, v64, 36, v114
	v_xor_b32_e32 v194, s21, v194
	v_bitop3_b32 v62, v62, v193, v192 bitop3:0x80
	s_delay_alu instid0(VALU_DEP_4) | instskip(SKIP_3) | instid1(VALU_DEP_2)
	v_xor_b32_e32 v63, vcc_lo, v63
	ds_load_b32 v192, v65 offset:544
	; wave barrier
	v_bitop3_b32 v62, v62, v63, v194 bitop3:0x80
	v_mul_u32_u24_e32 v63, 36, v64
	v_mbcnt_lo_u32_b32 v193, v62, 0
	v_cmp_ne_u32_e64 s17, 0, v62
	s_delay_alu instid0(VALU_DEP_3) | instskip(NEXT) | instid1(VALU_DEP_3)
	v_add_nc_u32_e32 v194, v114, v63
	v_cmp_eq_u32_e32 vcc_lo, 0, v193
	s_and_b32 s18, s17, vcc_lo
	s_delay_alu instid0(SALU_CYCLE_1)
	s_and_saveexec_b32 s17, s18
	s_cbranch_execz .LBB289_1087
; %bb.1086:                             ;   in Loop: Header=BB289_1032 Depth=2
	s_wait_dscnt 0x0
	v_bcnt_u32_b32 v62, v62, v192
	ds_store_b32 v194, v62 offset:544
.LBB289_1087:                           ;   in Loop: Header=BB289_1032 Depth=2
	s_or_b32 exec_lo, exec_lo, s17
	v_xor_b32_e32 v115, 0x7f, v115
	; wave barrier
	s_delay_alu instid0(VALU_DEP_1) | instskip(NEXT) | instid1(VALU_DEP_1)
	v_and_b32_e32 v62, 0xff, v115
	v_lshrrev_b32_e32 v62, s49, v62
	s_delay_alu instid0(VALU_DEP_1) | instskip(NEXT) | instid1(VALU_DEP_1)
	v_and_b32_e32 v64, s58, v62
	v_lshlrev_b32_e32 v65, 30, v64
	v_bitop3_b32 v63, v62, 1, s58 bitop3:0x80
	s_delay_alu instid0(VALU_DEP_1) | instskip(NEXT) | instid1(VALU_DEP_1)
	v_add_co_u32 v62, s17, v63, -1
	v_cndmask_b32_e64 v63, 0, 1, s17
	s_delay_alu instid0(VALU_DEP_4) | instskip(NEXT) | instid1(VALU_DEP_2)
	v_cmp_gt_i32_e64 s17, 0, v65
	v_cmp_ne_u32_e32 vcc_lo, 0, v63
	v_not_b32_e32 v63, v65
	v_bitop3_b32 v62, vcc_lo, exec_lo, v62 bitop3:0x48
	s_delay_alu instid0(VALU_DEP_2) | instskip(SKIP_2) | instid1(VALU_DEP_3)
	v_dual_ashrrev_i32 v63, 31, v63 :: v_dual_lshlrev_b32 v195, 29, v64
	v_dual_lshlrev_b32 v196, 28, v64 :: v_dual_lshlrev_b32 v197, 27, v64
	v_lshlrev_b32_e32 v198, 26, v64
	v_not_b32_e32 v65, v195
	v_lshlrev_b32_e32 v199, 25, v64
	v_cmp_gt_i32_e64 s18, 0, v195
	v_cmp_gt_i32_e64 s19, 0, v196
	v_not_b32_e32 v195, v196
	v_not_b32_e32 v196, v197
	v_ashrrev_i32_e32 v65, 31, v65
	v_cmp_gt_i32_e64 s20, 0, v197
	v_cmp_gt_i32_e64 s21, 0, v198
	v_not_b32_e32 v197, v198
	v_not_b32_e32 v198, v199
	v_dual_ashrrev_i32 v195, 31, v195 :: v_dual_ashrrev_i32 v196, 31, v196
	s_delay_alu instid0(VALU_DEP_3) | instskip(NEXT) | instid1(VALU_DEP_3)
	v_dual_ashrrev_i32 v197, 31, v197 :: v_dual_bitop2_b32 v63, s17, v63 bitop3:0x14
	v_dual_ashrrev_i32 v198, 31, v198 :: v_dual_bitop2_b32 v65, s18, v65 bitop3:0x14
	v_cmp_gt_i32_e64 s22, 0, v199
	s_delay_alu instid0(VALU_DEP_4) | instskip(SKIP_1) | instid1(VALU_DEP_4)
	v_xor_b32_e32 v195, s19, v195
	v_xor_b32_e32 v196, s20, v196
	v_bitop3_b32 v62, v62, v65, v63 bitop3:0x80
	v_mad_u32_u24 v63, v64, 36, v114
	v_xor_b32_e32 v65, s21, v197
	v_xor_b32_e32 v197, s22, v198
	s_delay_alu instid0(VALU_DEP_4) | instskip(SKIP_3) | instid1(VALU_DEP_2)
	v_bitop3_b32 v62, v62, v196, v195 bitop3:0x80
	ds_load_b32 v195, v63 offset:544
	v_mul_u32_u24_e32 v63, 36, v64
	; wave barrier
	v_bitop3_b32 v62, v62, v197, v65 bitop3:0x80
	v_add_nc_u32_e32 v197, v114, v63
	s_delay_alu instid0(VALU_DEP_2) | instskip(SKIP_1) | instid1(VALU_DEP_2)
	v_mbcnt_lo_u32_b32 v196, v62, 0
	v_cmp_ne_u32_e64 s17, 0, v62
	v_cmp_eq_u32_e32 vcc_lo, 0, v196
	s_and_b32 s18, s17, vcc_lo
	s_delay_alu instid0(SALU_CYCLE_1)
	s_and_saveexec_b32 s17, s18
	s_cbranch_execz .LBB289_1089
; %bb.1088:                             ;   in Loop: Header=BB289_1032 Depth=2
	s_wait_dscnt 0x0
	v_bcnt_u32_b32 v62, v62, v195
	ds_store_b32 v197, v62 offset:544
.LBB289_1089:                           ;   in Loop: Header=BB289_1032 Depth=2
	s_or_b32 exec_lo, exec_lo, s17
	; wave barrier
	s_wait_dscnt 0x0
	s_barrier_signal -1
	s_barrier_wait -1
	ds_load_2addr_b32 v[64:65], v90 offset0:136 offset1:137
	ds_load_2addr_b32 v[62:63], v90 offset0:138 offset1:139
	ds_load_b32 v198, v90 offset:560
	s_wait_dscnt 0x1
	v_add3_u32 v199, v65, v64, v62
	s_wait_dscnt 0x0
	s_delay_alu instid0(VALU_DEP_1) | instskip(NEXT) | instid1(VALU_DEP_1)
	v_add3_u32 v198, v199, v63, v198
	v_mov_b32_dpp v199, v198 row_shr:1 row_mask:0xf bank_mask:0xf
	s_delay_alu instid0(VALU_DEP_1) | instskip(NEXT) | instid1(VALU_DEP_1)
	v_cndmask_b32_e64 v199, v199, 0, s8
	v_add_nc_u32_e32 v198, v199, v198
	s_delay_alu instid0(VALU_DEP_1) | instskip(NEXT) | instid1(VALU_DEP_1)
	v_mov_b32_dpp v199, v198 row_shr:2 row_mask:0xf bank_mask:0xf
	v_cndmask_b32_e64 v199, 0, v199, s9
	s_delay_alu instid0(VALU_DEP_1) | instskip(NEXT) | instid1(VALU_DEP_1)
	v_add_nc_u32_e32 v198, v198, v199
	v_mov_b32_dpp v199, v198 row_shr:4 row_mask:0xf bank_mask:0xf
	s_delay_alu instid0(VALU_DEP_1) | instskip(NEXT) | instid1(VALU_DEP_1)
	v_cndmask_b32_e64 v199, 0, v199, s10
	v_add_nc_u32_e32 v198, v198, v199
	s_delay_alu instid0(VALU_DEP_1) | instskip(NEXT) | instid1(VALU_DEP_1)
	v_mov_b32_dpp v199, v198 row_shr:8 row_mask:0xf bank_mask:0xf
	v_cndmask_b32_e64 v199, 0, v199, s11
	s_delay_alu instid0(VALU_DEP_1) | instskip(SKIP_3) | instid1(VALU_DEP_1)
	v_add_nc_u32_e32 v198, v198, v199
	ds_swizzle_b32 v199, v198 offset:swizzle(BROADCAST,32,15)
	s_wait_dscnt 0x0
	v_cndmask_b32_e64 v199, v199, 0, s12
	v_add_nc_u32_e32 v198, v198, v199
	s_and_saveexec_b32 s17, s2
; %bb.1090:                             ;   in Loop: Header=BB289_1032 Depth=2
	ds_store_b32 v83, v198 offset:512
; %bb.1091:                             ;   in Loop: Header=BB289_1032 Depth=2
	s_or_b32 exec_lo, exec_lo, s17
	s_wait_dscnt 0x0
	s_barrier_signal -1
	s_barrier_wait -1
	s_and_saveexec_b32 s17, s3
	s_cbranch_execz .LBB289_1093
; %bb.1092:                             ;   in Loop: Header=BB289_1032 Depth=2
	ds_load_b32 v199, v92 offset:512
	s_wait_dscnt 0x0
	v_mov_b32_dpp v200, v199 row_shr:1 row_mask:0xf bank_mask:0xf
	s_delay_alu instid0(VALU_DEP_1) | instskip(NEXT) | instid1(VALU_DEP_1)
	v_cndmask_b32_e64 v200, v200, 0, s14
	v_add_nc_u32_e32 v199, v200, v199
	s_delay_alu instid0(VALU_DEP_1) | instskip(NEXT) | instid1(VALU_DEP_1)
	v_mov_b32_dpp v200, v199 row_shr:2 row_mask:0xf bank_mask:0xf
	v_cndmask_b32_e64 v200, 0, v200, s15
	s_delay_alu instid0(VALU_DEP_1) | instskip(NEXT) | instid1(VALU_DEP_1)
	v_add_nc_u32_e32 v199, v199, v200
	v_mov_b32_dpp v200, v199 row_shr:4 row_mask:0xf bank_mask:0xf
	s_delay_alu instid0(VALU_DEP_1) | instskip(NEXT) | instid1(VALU_DEP_1)
	v_cndmask_b32_e64 v200, 0, v200, s16
	v_add_nc_u32_e32 v199, v199, v200
	ds_store_b32 v92, v199 offset:512
.LBB289_1093:                           ;   in Loop: Header=BB289_1032 Depth=2
	s_or_b32 exec_lo, exec_lo, s17
	v_mov_b32_e32 v199, 0
	s_wait_dscnt 0x0
	s_barrier_signal -1
	s_barrier_wait -1
	s_and_saveexec_b32 s17, s5
; %bb.1094:                             ;   in Loop: Header=BB289_1032 Depth=2
	ds_load_b32 v199, v83 offset:508
; %bb.1095:                             ;   in Loop: Header=BB289_1032 Depth=2
	s_or_b32 exec_lo, exec_lo, s17
	s_wait_dscnt 0x0
	v_add_nc_u32_e32 v198, v199, v198
	ds_bpermute_b32 v198, v96, v198
	s_wait_dscnt 0x0
	v_cndmask_b32_e64 v198, v198, v199, s13
	s_delay_alu instid0(VALU_DEP_1) | instskip(NEXT) | instid1(VALU_DEP_1)
	v_cndmask_b32_e64 v198, v198, 0, s6
	v_add_nc_u32_e32 v64, v198, v64
	s_delay_alu instid0(VALU_DEP_1) | instskip(NEXT) | instid1(VALU_DEP_1)
	v_add_nc_u32_e32 v65, v64, v65
	v_add_nc_u32_e32 v62, v65, v62
	s_delay_alu instid0(VALU_DEP_1)
	v_add_nc_u32_e32 v63, v62, v63
	ds_store_2addr_b32 v90, v198, v64 offset0:136 offset1:137
	ds_store_2addr_b32 v90, v65, v62 offset0:138 offset1:139
	ds_store_b32 v90, v63 offset:560
	s_wait_dscnt 0x0
	s_barrier_signal -1
	s_barrier_wait -1
	ds_load_b32 v62, v149 offset:544
	ds_load_b32 v63, v152 offset:544
	;; [unrolled: 1-line block ×17, first 2 shown]
	s_and_saveexec_b32 s17, s0
	s_cbranch_execz .LBB289_1099
; %bb.1096:                             ;   in Loop: Header=BB289_1032 Depth=2
	v_dual_mov_b32 v134, 0x1100 :: v_dual_add_nc_u32 v133, v92, v94
	ds_load_b32 v133, v133 offset:544
	s_and_saveexec_b32 s18, s7
; %bb.1097:                             ;   in Loop: Header=BB289_1032 Depth=2
	ds_load_b32 v134, v93 offset:544
; %bb.1098:                             ;   in Loop: Header=BB289_1032 Depth=2
	s_or_b32 exec_lo, exec_lo, s18
	s_wait_dscnt 0x0
	v_sub_nc_u32_e32 v134, v134, v133
.LBB289_1099:                           ;   in Loop: Header=BB289_1032 Depth=2
	s_or_b32 exec_lo, exec_lo, s17
	v_dual_lshrrev_b32 v202, 8, v148 :: v_dual_lshrrev_b32 v203, 16, v148
	v_dual_lshrrev_b32 v200, 8, v143 :: v_dual_lshrrev_b32 v201, 16, v143
	;; [unrolled: 1-line block ×4, first 2 shown]
	s_wait_dscnt 0x0
	s_barrier_signal -1
	s_barrier_wait -1
	s_and_saveexec_b32 s17, s0
	s_cbranch_execz .LBB289_1101
; %bb.1100:                             ;   in Loop: Header=BB289_1032 Depth=2
	ds_load_b32 v135, v66
	s_wait_dscnt 0x0
	v_sub_nc_u32_e32 v135, v135, v133
	ds_store_b32 v66, v135
.LBB289_1101:                           ;   in Loop: Header=BB289_1032 Depth=2
	s_or_b32 exec_lo, exec_lo, s17
	v_add_nc_u32_e32 v156, v62, v146
	v_add3_u32 v152, v151, v150, v63
	v_add3_u32 v151, v154, v153, v64
	;; [unrolled: 1-line block ×16, first 2 shown]
	v_cmp_lt_u32_e32 vcc_lo, v2, v137
	ds_store_b8 v156, v147 offset:512
	ds_store_b8 v152, v202 offset:512
	;; [unrolled: 1-line block ×17, first 2 shown]
	s_wait_dscnt 0x0
	s_barrier_signal -1
	s_barrier_wait -1
	s_and_saveexec_b32 s17, vcc_lo
	s_cbranch_execnz .LBB289_1174
; %bb.1102:                             ;   in Loop: Header=BB289_1032 Depth=2
	s_or_b32 exec_lo, exec_lo, s17
	v_cmp_lt_u32_e64 s17, v67, v137
	s_and_saveexec_b32 s18, s17
	s_cbranch_execnz .LBB289_1175
.LBB289_1103:                           ;   in Loop: Header=BB289_1032 Depth=2
	s_or_b32 exec_lo, exec_lo, s18
	v_cmp_lt_u32_e64 s18, v68, v137
	s_and_saveexec_b32 s19, s18
	s_cbranch_execnz .LBB289_1176
.LBB289_1104:                           ;   in Loop: Header=BB289_1032 Depth=2
	s_or_b32 exec_lo, exec_lo, s19
	v_cmp_lt_u32_e64 s19, v69, v137
	s_and_saveexec_b32 s20, s19
	s_cbranch_execnz .LBB289_1177
.LBB289_1105:                           ;   in Loop: Header=BB289_1032 Depth=2
	s_or_b32 exec_lo, exec_lo, s20
	v_cmp_lt_u32_e64 s20, v70, v137
	s_and_saveexec_b32 s21, s20
	s_cbranch_execnz .LBB289_1178
.LBB289_1106:                           ;   in Loop: Header=BB289_1032 Depth=2
	s_or_b32 exec_lo, exec_lo, s21
	v_cmp_lt_u32_e64 s21, v71, v137
	s_and_saveexec_b32 s22, s21
	s_cbranch_execnz .LBB289_1179
.LBB289_1107:                           ;   in Loop: Header=BB289_1032 Depth=2
	s_or_b32 exec_lo, exec_lo, s22
	v_cmp_lt_u32_e64 s22, v72, v137
	s_and_saveexec_b32 s23, s22
	s_cbranch_execnz .LBB289_1180
.LBB289_1108:                           ;   in Loop: Header=BB289_1032 Depth=2
	s_or_b32 exec_lo, exec_lo, s23
	v_cmp_lt_u32_e64 s23, v73, v137
	s_and_saveexec_b32 s24, s23
	s_cbranch_execnz .LBB289_1181
.LBB289_1109:                           ;   in Loop: Header=BB289_1032 Depth=2
	s_or_b32 exec_lo, exec_lo, s24
	v_cmp_lt_u32_e64 s24, v74, v137
	s_and_saveexec_b32 s25, s24
	s_cbranch_execnz .LBB289_1182
.LBB289_1110:                           ;   in Loop: Header=BB289_1032 Depth=2
	s_or_b32 exec_lo, exec_lo, s25
	v_cmp_lt_u32_e64 s25, v75, v137
	s_and_saveexec_b32 s26, s25
	s_cbranch_execnz .LBB289_1183
.LBB289_1111:                           ;   in Loop: Header=BB289_1032 Depth=2
	s_or_b32 exec_lo, exec_lo, s26
	v_cmp_lt_u32_e64 s26, v76, v137
	s_and_saveexec_b32 s27, s26
	s_cbranch_execnz .LBB289_1184
.LBB289_1112:                           ;   in Loop: Header=BB289_1032 Depth=2
	s_or_b32 exec_lo, exec_lo, s27
	v_cmp_lt_u32_e64 s27, v77, v137
	s_and_saveexec_b32 s28, s27
	s_cbranch_execnz .LBB289_1185
.LBB289_1113:                           ;   in Loop: Header=BB289_1032 Depth=2
	s_or_b32 exec_lo, exec_lo, s28
	v_cmp_lt_u32_e64 s28, v78, v137
	s_and_saveexec_b32 s29, s28
	s_cbranch_execnz .LBB289_1186
.LBB289_1114:                           ;   in Loop: Header=BB289_1032 Depth=2
	s_or_b32 exec_lo, exec_lo, s29
	v_cmp_lt_u32_e64 s29, v79, v137
	s_and_saveexec_b32 s30, s29
	s_cbranch_execnz .LBB289_1187
.LBB289_1115:                           ;   in Loop: Header=BB289_1032 Depth=2
	s_or_b32 exec_lo, exec_lo, s30
	v_cmp_lt_u32_e64 s30, v80, v137
	s_and_saveexec_b32 s31, s30
	s_cbranch_execnz .LBB289_1188
.LBB289_1116:                           ;   in Loop: Header=BB289_1032 Depth=2
	s_or_b32 exec_lo, exec_lo, s31
	v_cmp_lt_u32_e64 s31, v81, v137
	s_and_saveexec_b32 s33, s31
	s_cbranch_execnz .LBB289_1189
.LBB289_1117:                           ;   in Loop: Header=BB289_1032 Depth=2
	s_or_b32 exec_lo, exec_lo, s33
	v_cmp_lt_u32_e64 s33, v82, v137
	s_and_saveexec_b32 s61, s33
	s_cbranch_execz .LBB289_1119
.LBB289_1118:                           ;   in Loop: Header=BB289_1032 Depth=2
	ds_load_u8 v62, v2 offset:4608
	s_wait_dscnt 0x0
	v_and_b32_e32 v63, 0xff, v62
	v_xor_b32_e32 v62, 0x7f, v62
	s_delay_alu instid0(VALU_DEP_2) | instskip(NEXT) | instid1(VALU_DEP_1)
	v_lshrrev_b32_e32 v63, s49, v63
	v_and_b32_e32 v63, s58, v63
	s_delay_alu instid0(VALU_DEP_1)
	v_lshlrev_b32_e32 v63, 2, v63
	ds_load_b32 v63, v63
	s_wait_dscnt 0x0
	v_add_nc_u32_e32 v63, v63, v82
	global_store_b8 v63, v62, s[40:41]
.LBB289_1119:                           ;   in Loop: Header=BB289_1032 Depth=2
	s_wait_xcnt 0x0
	s_or_b32 exec_lo, exec_lo, s61
	v_lshl_add_u64 v[62:63], s[34:35], 3, v[26:27]
	v_cmp_lt_u32_e64 s34, v97, v137
	s_and_saveexec_b32 s61, s34
	s_delay_alu instid0(SALU_CYCLE_1)
	s_xor_b32 s34, exec_lo, s61
	s_cbranch_execnz .LBB289_1190
; %bb.1120:                             ;   in Loop: Header=BB289_1032 Depth=2
	s_or_b32 exec_lo, exec_lo, s34
	s_delay_alu instid0(SALU_CYCLE_1)
	s_mov_b32 s61, exec_lo
	v_cmpx_lt_u32_e64 v98, v137
	s_cbranch_execnz .LBB289_1191
.LBB289_1121:                           ;   in Loop: Header=BB289_1032 Depth=2
	s_or_b32 exec_lo, exec_lo, s61
	s_delay_alu instid0(SALU_CYCLE_1)
	s_mov_b32 s61, exec_lo
	v_cmpx_lt_u32_e64 v99, v137
	s_cbranch_execnz .LBB289_1192
.LBB289_1122:                           ;   in Loop: Header=BB289_1032 Depth=2
	s_or_b32 exec_lo, exec_lo, s61
	s_delay_alu instid0(SALU_CYCLE_1)
	s_mov_b32 s61, exec_lo
	v_cmpx_lt_u32_e64 v100, v137
	s_cbranch_execnz .LBB289_1193
.LBB289_1123:                           ;   in Loop: Header=BB289_1032 Depth=2
	s_or_b32 exec_lo, exec_lo, s61
	s_delay_alu instid0(SALU_CYCLE_1)
	s_mov_b32 s61, exec_lo
	v_cmpx_lt_u32_e64 v101, v137
	s_cbranch_execnz .LBB289_1194
.LBB289_1124:                           ;   in Loop: Header=BB289_1032 Depth=2
	s_or_b32 exec_lo, exec_lo, s61
	s_delay_alu instid0(SALU_CYCLE_1)
	s_mov_b32 s61, exec_lo
	v_cmpx_lt_u32_e64 v102, v137
	s_cbranch_execnz .LBB289_1195
.LBB289_1125:                           ;   in Loop: Header=BB289_1032 Depth=2
	s_or_b32 exec_lo, exec_lo, s61
	s_delay_alu instid0(SALU_CYCLE_1)
	s_mov_b32 s61, exec_lo
	v_cmpx_lt_u32_e64 v103, v137
	s_cbranch_execnz .LBB289_1196
.LBB289_1126:                           ;   in Loop: Header=BB289_1032 Depth=2
	s_or_b32 exec_lo, exec_lo, s61
	s_delay_alu instid0(SALU_CYCLE_1)
	s_mov_b32 s61, exec_lo
	v_cmpx_lt_u32_e64 v104, v137
	s_cbranch_execnz .LBB289_1197
.LBB289_1127:                           ;   in Loop: Header=BB289_1032 Depth=2
	s_or_b32 exec_lo, exec_lo, s61
	s_delay_alu instid0(SALU_CYCLE_1)
	s_mov_b32 s61, exec_lo
	v_cmpx_lt_u32_e64 v105, v137
	s_cbranch_execnz .LBB289_1198
.LBB289_1128:                           ;   in Loop: Header=BB289_1032 Depth=2
	s_or_b32 exec_lo, exec_lo, s61
	s_delay_alu instid0(SALU_CYCLE_1)
	s_mov_b32 s61, exec_lo
	v_cmpx_lt_u32_e64 v106, v137
	s_cbranch_execnz .LBB289_1199
.LBB289_1129:                           ;   in Loop: Header=BB289_1032 Depth=2
	s_or_b32 exec_lo, exec_lo, s61
	s_delay_alu instid0(SALU_CYCLE_1)
	s_mov_b32 s61, exec_lo
	v_cmpx_lt_u32_e64 v107, v137
	s_cbranch_execnz .LBB289_1200
.LBB289_1130:                           ;   in Loop: Header=BB289_1032 Depth=2
	s_or_b32 exec_lo, exec_lo, s61
	s_delay_alu instid0(SALU_CYCLE_1)
	s_mov_b32 s61, exec_lo
	v_cmpx_lt_u32_e64 v108, v137
	s_cbranch_execnz .LBB289_1201
.LBB289_1131:                           ;   in Loop: Header=BB289_1032 Depth=2
	s_or_b32 exec_lo, exec_lo, s61
	s_delay_alu instid0(SALU_CYCLE_1)
	s_mov_b32 s61, exec_lo
	v_cmpx_lt_u32_e64 v109, v137
	s_cbranch_execnz .LBB289_1202
.LBB289_1132:                           ;   in Loop: Header=BB289_1032 Depth=2
	s_or_b32 exec_lo, exec_lo, s61
	s_delay_alu instid0(SALU_CYCLE_1)
	s_mov_b32 s61, exec_lo
	v_cmpx_lt_u32_e64 v110, v137
	s_cbranch_execnz .LBB289_1203
.LBB289_1133:                           ;   in Loop: Header=BB289_1032 Depth=2
	s_or_b32 exec_lo, exec_lo, s61
	s_delay_alu instid0(SALU_CYCLE_1)
	s_mov_b32 s61, exec_lo
	v_cmpx_lt_u32_e64 v111, v137
	s_cbranch_execnz .LBB289_1204
.LBB289_1134:                           ;   in Loop: Header=BB289_1032 Depth=2
	s_or_b32 exec_lo, exec_lo, s61
	s_delay_alu instid0(SALU_CYCLE_1)
	s_mov_b32 s61, exec_lo
	v_cmpx_lt_u32_e64 v112, v137
	s_cbranch_execnz .LBB289_1205
.LBB289_1135:                           ;   in Loop: Header=BB289_1032 Depth=2
	s_or_b32 exec_lo, exec_lo, s61
	s_delay_alu instid0(SALU_CYCLE_1)
	s_mov_b32 s61, exec_lo
	v_cmpx_lt_u32_e64 v113, v137
	s_cbranch_execnz .LBB289_1206
.LBB289_1136:                           ;   in Loop: Header=BB289_1032 Depth=2
	s_or_b32 exec_lo, exec_lo, s61
	s_and_saveexec_b32 s34, vcc_lo
	s_cbranch_execnz .LBB289_1207
.LBB289_1137:                           ;   in Loop: Header=BB289_1032 Depth=2
	s_or_b32 exec_lo, exec_lo, s34
	s_and_saveexec_b32 s34, s17
	s_cbranch_execnz .LBB289_1208
.LBB289_1138:                           ;   in Loop: Header=BB289_1032 Depth=2
	s_or_b32 exec_lo, exec_lo, s34
	s_and_saveexec_b32 s34, s18
	s_cbranch_execnz .LBB289_1209
.LBB289_1139:                           ;   in Loop: Header=BB289_1032 Depth=2
	s_or_b32 exec_lo, exec_lo, s34
	s_and_saveexec_b32 s34, s19
	s_cbranch_execnz .LBB289_1210
.LBB289_1140:                           ;   in Loop: Header=BB289_1032 Depth=2
	s_or_b32 exec_lo, exec_lo, s34
	s_and_saveexec_b32 s34, s20
	s_cbranch_execnz .LBB289_1211
.LBB289_1141:                           ;   in Loop: Header=BB289_1032 Depth=2
	s_or_b32 exec_lo, exec_lo, s34
	s_and_saveexec_b32 s34, s21
	s_cbranch_execnz .LBB289_1212
.LBB289_1142:                           ;   in Loop: Header=BB289_1032 Depth=2
	s_or_b32 exec_lo, exec_lo, s34
	s_and_saveexec_b32 s34, s22
	s_cbranch_execnz .LBB289_1213
.LBB289_1143:                           ;   in Loop: Header=BB289_1032 Depth=2
	s_or_b32 exec_lo, exec_lo, s34
	s_and_saveexec_b32 s34, s23
	s_cbranch_execnz .LBB289_1214
.LBB289_1144:                           ;   in Loop: Header=BB289_1032 Depth=2
	s_or_b32 exec_lo, exec_lo, s34
	s_and_saveexec_b32 s34, s24
	s_cbranch_execnz .LBB289_1215
.LBB289_1145:                           ;   in Loop: Header=BB289_1032 Depth=2
	s_or_b32 exec_lo, exec_lo, s34
	s_and_saveexec_b32 s34, s25
	s_cbranch_execnz .LBB289_1216
.LBB289_1146:                           ;   in Loop: Header=BB289_1032 Depth=2
	s_or_b32 exec_lo, exec_lo, s34
	s_and_saveexec_b32 s34, s26
	s_cbranch_execnz .LBB289_1217
.LBB289_1147:                           ;   in Loop: Header=BB289_1032 Depth=2
	s_or_b32 exec_lo, exec_lo, s34
	s_and_saveexec_b32 s34, s27
	s_cbranch_execnz .LBB289_1218
.LBB289_1148:                           ;   in Loop: Header=BB289_1032 Depth=2
	s_or_b32 exec_lo, exec_lo, s34
	s_and_saveexec_b32 s34, s28
	s_cbranch_execnz .LBB289_1219
.LBB289_1149:                           ;   in Loop: Header=BB289_1032 Depth=2
	s_or_b32 exec_lo, exec_lo, s34
	s_and_saveexec_b32 s34, s29
	s_cbranch_execnz .LBB289_1220
.LBB289_1150:                           ;   in Loop: Header=BB289_1032 Depth=2
	s_or_b32 exec_lo, exec_lo, s34
	s_and_saveexec_b32 s34, s30
	s_cbranch_execnz .LBB289_1221
.LBB289_1151:                           ;   in Loop: Header=BB289_1032 Depth=2
	s_or_b32 exec_lo, exec_lo, s34
	s_and_saveexec_b32 s34, s31
	s_cbranch_execnz .LBB289_1222
.LBB289_1152:                           ;   in Loop: Header=BB289_1032 Depth=2
	s_or_b32 exec_lo, exec_lo, s34
	s_and_saveexec_b32 s34, s33
	s_cbranch_execz .LBB289_1154
.LBB289_1153:                           ;   in Loop: Header=BB289_1032 Depth=2
	ds_load_u8 v62, v2 offset:4608
	s_wait_dscnt 0x0
	v_lshrrev_b32_e32 v62, s49, v62
	s_delay_alu instid0(VALU_DEP_1)
	v_and_b32_e32 v116, s58, v62
.LBB289_1154:                           ;   in Loop: Header=BB289_1032 Depth=2
	s_or_b32 exec_lo, exec_lo, s34
	v_lshlrev_b32_e32 v62, 3, v156
	v_lshlrev_b32_e32 v63, 3, v152
	s_wait_loadcnt 0x0
	s_wait_storecnt 0x0
	s_barrier_signal -1
	s_barrier_wait -1
	ds_store_b64 v62, v[60:61] offset:512
	ds_store_b64 v63, v[58:59] offset:512
	v_dual_lshlrev_b32 v62, 3, v151 :: v_dual_lshlrev_b32 v63, 3, v150
	v_dual_lshlrev_b32 v137, 3, v149 :: v_dual_lshlrev_b32 v138, 3, v148
	v_lshlrev_b32_e32 v142, 3, v146
	ds_store_b64 v62, v[56:57] offset:512
	ds_store_b64 v63, v[54:55] offset:512
	ds_store_b64 v137, v[52:53] offset:512
	ds_store_b64 v138, v[50:51] offset:512
	ds_store_b64 v142, v[48:49] offset:512
	v_dual_lshlrev_b32 v62, 3, v145 :: v_dual_lshlrev_b32 v63, 3, v144
	v_dual_lshlrev_b32 v137, 3, v143 :: v_dual_lshlrev_b32 v138, 3, v141
	v_lshlrev_b32_e32 v140, 3, v140
	ds_store_b64 v62, v[46:47] offset:512
	ds_store_b64 v63, v[44:45] offset:512
	ds_store_b64 v137, v[42:43] offset:512
	;; [unrolled: 8-line block ×3, first 2 shown]
	ds_store_b64 v65, v[30:31] offset:512
	ds_store_b64 v64, v[28:29] offset:512
	v_add_nc_u32_e32 v62, v2, v95
	s_wait_dscnt 0x0
	s_barrier_signal -1
	s_barrier_wait -1
	s_and_saveexec_b32 s34, vcc_lo
	s_cbranch_execnz .LBB289_1223
; %bb.1155:                             ;   in Loop: Header=BB289_1032 Depth=2
	s_or_b32 exec_lo, exec_lo, s34
	s_and_saveexec_b32 s34, s17
	s_cbranch_execnz .LBB289_1224
.LBB289_1156:                           ;   in Loop: Header=BB289_1032 Depth=2
	s_or_b32 exec_lo, exec_lo, s34
	s_and_saveexec_b32 s17, s18
	s_cbranch_execnz .LBB289_1225
.LBB289_1157:                           ;   in Loop: Header=BB289_1032 Depth=2
	s_or_b32 exec_lo, exec_lo, s17
	s_and_saveexec_b32 s17, s19
	s_cbranch_execnz .LBB289_1226
.LBB289_1158:                           ;   in Loop: Header=BB289_1032 Depth=2
	s_or_b32 exec_lo, exec_lo, s17
	s_and_saveexec_b32 s17, s20
	s_cbranch_execnz .LBB289_1227
.LBB289_1159:                           ;   in Loop: Header=BB289_1032 Depth=2
	s_or_b32 exec_lo, exec_lo, s17
	s_and_saveexec_b32 s17, s21
	s_cbranch_execnz .LBB289_1228
.LBB289_1160:                           ;   in Loop: Header=BB289_1032 Depth=2
	s_or_b32 exec_lo, exec_lo, s17
	s_and_saveexec_b32 s17, s22
	s_cbranch_execnz .LBB289_1229
.LBB289_1161:                           ;   in Loop: Header=BB289_1032 Depth=2
	s_or_b32 exec_lo, exec_lo, s17
	s_and_saveexec_b32 s17, s23
	s_cbranch_execnz .LBB289_1230
.LBB289_1162:                           ;   in Loop: Header=BB289_1032 Depth=2
	s_or_b32 exec_lo, exec_lo, s17
	s_and_saveexec_b32 s17, s24
	s_cbranch_execnz .LBB289_1231
.LBB289_1163:                           ;   in Loop: Header=BB289_1032 Depth=2
	s_or_b32 exec_lo, exec_lo, s17
	s_and_saveexec_b32 s17, s25
	s_cbranch_execnz .LBB289_1232
.LBB289_1164:                           ;   in Loop: Header=BB289_1032 Depth=2
	s_or_b32 exec_lo, exec_lo, s17
	s_and_saveexec_b32 s17, s26
	s_cbranch_execnz .LBB289_1233
.LBB289_1165:                           ;   in Loop: Header=BB289_1032 Depth=2
	s_or_b32 exec_lo, exec_lo, s17
	s_and_saveexec_b32 s17, s27
	s_cbranch_execnz .LBB289_1234
.LBB289_1166:                           ;   in Loop: Header=BB289_1032 Depth=2
	s_or_b32 exec_lo, exec_lo, s17
	s_and_saveexec_b32 s17, s28
	s_cbranch_execnz .LBB289_1235
.LBB289_1167:                           ;   in Loop: Header=BB289_1032 Depth=2
	s_or_b32 exec_lo, exec_lo, s17
	s_and_saveexec_b32 s17, s29
	s_cbranch_execnz .LBB289_1236
.LBB289_1168:                           ;   in Loop: Header=BB289_1032 Depth=2
	s_or_b32 exec_lo, exec_lo, s17
	s_and_saveexec_b32 s17, s30
	s_cbranch_execnz .LBB289_1237
.LBB289_1169:                           ;   in Loop: Header=BB289_1032 Depth=2
	s_or_b32 exec_lo, exec_lo, s17
	s_and_saveexec_b32 s17, s31
	s_cbranch_execnz .LBB289_1238
.LBB289_1170:                           ;   in Loop: Header=BB289_1032 Depth=2
	s_or_b32 exec_lo, exec_lo, s17
	s_and_saveexec_b32 s17, s33
	s_cbranch_execz .LBB289_1172
.LBB289_1171:                           ;   in Loop: Header=BB289_1032 Depth=2
	v_lshlrev_b32_e32 v63, 2, v116
	ds_load_b32 v64, v63
	ds_load_b64 v[62:63], v62 offset:33280
	s_wait_dscnt 0x1
	v_add_nc_u32_e32 v64, v64, v82
	s_wait_dscnt 0x0
	global_store_b64 v64, v[62:63], s[46:47] scale_offset
.LBB289_1172:                           ;   in Loop: Header=BB289_1032 Depth=2
	s_wait_xcnt 0x0
	s_or_b32 exec_lo, exec_lo, s17
	s_wait_storecnt 0x0
	s_barrier_signal -1
	s_barrier_wait -1
	s_and_saveexec_b32 s17, s0
	s_cbranch_execz .LBB289_1031
; %bb.1173:                             ;   in Loop: Header=BB289_1032 Depth=2
	ds_load_b32 v62, v66
	s_wait_dscnt 0x0
	v_add3_u32 v62, v133, v134, v62
	ds_store_b32 v66, v62
	s_branch .LBB289_1031
.LBB289_1174:                           ;   in Loop: Header=BB289_1032 Depth=2
	ds_load_u8 v62, v2 offset:512
	s_wait_dscnt 0x0
	v_and_b32_e32 v63, 0xff, v62
	v_xor_b32_e32 v62, 0x7f, v62
	s_delay_alu instid0(VALU_DEP_2) | instskip(NEXT) | instid1(VALU_DEP_1)
	v_lshrrev_b32_e32 v63, s49, v63
	v_and_b32_e32 v63, s58, v63
	s_delay_alu instid0(VALU_DEP_1)
	v_lshlrev_b32_e32 v63, 2, v63
	ds_load_b32 v63, v63
	s_wait_dscnt 0x0
	v_add_nc_u32_e32 v63, v63, v2
	global_store_b8 v63, v62, s[40:41]
	s_wait_xcnt 0x0
	s_or_b32 exec_lo, exec_lo, s17
	v_cmp_lt_u32_e64 s17, v67, v137
	s_and_saveexec_b32 s18, s17
	s_cbranch_execz .LBB289_1103
.LBB289_1175:                           ;   in Loop: Header=BB289_1032 Depth=2
	ds_load_u8 v62, v2 offset:768
	s_wait_dscnt 0x0
	v_and_b32_e32 v63, 0xff, v62
	v_xor_b32_e32 v62, 0x7f, v62
	s_delay_alu instid0(VALU_DEP_2) | instskip(NEXT) | instid1(VALU_DEP_1)
	v_lshrrev_b32_e32 v63, s49, v63
	v_and_b32_e32 v63, s58, v63
	s_delay_alu instid0(VALU_DEP_1)
	v_lshlrev_b32_e32 v63, 2, v63
	ds_load_b32 v63, v63
	s_wait_dscnt 0x0
	v_add_nc_u32_e32 v63, v63, v67
	global_store_b8 v63, v62, s[40:41]
	s_wait_xcnt 0x0
	s_or_b32 exec_lo, exec_lo, s18
	v_cmp_lt_u32_e64 s18, v68, v137
	s_and_saveexec_b32 s19, s18
	s_cbranch_execz .LBB289_1104
.LBB289_1176:                           ;   in Loop: Header=BB289_1032 Depth=2
	ds_load_u8 v62, v2 offset:1024
	s_wait_dscnt 0x0
	v_and_b32_e32 v63, 0xff, v62
	v_xor_b32_e32 v62, 0x7f, v62
	s_delay_alu instid0(VALU_DEP_2) | instskip(NEXT) | instid1(VALU_DEP_1)
	v_lshrrev_b32_e32 v63, s49, v63
	v_and_b32_e32 v63, s58, v63
	s_delay_alu instid0(VALU_DEP_1)
	v_lshlrev_b32_e32 v63, 2, v63
	ds_load_b32 v63, v63
	s_wait_dscnt 0x0
	v_add_nc_u32_e32 v63, v63, v68
	global_store_b8 v63, v62, s[40:41]
	s_wait_xcnt 0x0
	s_or_b32 exec_lo, exec_lo, s19
	v_cmp_lt_u32_e64 s19, v69, v137
	s_and_saveexec_b32 s20, s19
	s_cbranch_execz .LBB289_1105
.LBB289_1177:                           ;   in Loop: Header=BB289_1032 Depth=2
	ds_load_u8 v62, v2 offset:1280
	s_wait_dscnt 0x0
	v_and_b32_e32 v63, 0xff, v62
	v_xor_b32_e32 v62, 0x7f, v62
	s_delay_alu instid0(VALU_DEP_2) | instskip(NEXT) | instid1(VALU_DEP_1)
	v_lshrrev_b32_e32 v63, s49, v63
	v_and_b32_e32 v63, s58, v63
	s_delay_alu instid0(VALU_DEP_1)
	v_lshlrev_b32_e32 v63, 2, v63
	ds_load_b32 v63, v63
	s_wait_dscnt 0x0
	v_add_nc_u32_e32 v63, v63, v69
	global_store_b8 v63, v62, s[40:41]
	s_wait_xcnt 0x0
	s_or_b32 exec_lo, exec_lo, s20
	v_cmp_lt_u32_e64 s20, v70, v137
	s_and_saveexec_b32 s21, s20
	s_cbranch_execz .LBB289_1106
.LBB289_1178:                           ;   in Loop: Header=BB289_1032 Depth=2
	ds_load_u8 v62, v2 offset:1536
	s_wait_dscnt 0x0
	v_and_b32_e32 v63, 0xff, v62
	v_xor_b32_e32 v62, 0x7f, v62
	s_delay_alu instid0(VALU_DEP_2) | instskip(NEXT) | instid1(VALU_DEP_1)
	v_lshrrev_b32_e32 v63, s49, v63
	v_and_b32_e32 v63, s58, v63
	s_delay_alu instid0(VALU_DEP_1)
	v_lshlrev_b32_e32 v63, 2, v63
	ds_load_b32 v63, v63
	s_wait_dscnt 0x0
	v_add_nc_u32_e32 v63, v63, v70
	global_store_b8 v63, v62, s[40:41]
	s_wait_xcnt 0x0
	s_or_b32 exec_lo, exec_lo, s21
	v_cmp_lt_u32_e64 s21, v71, v137
	s_and_saveexec_b32 s22, s21
	s_cbranch_execz .LBB289_1107
.LBB289_1179:                           ;   in Loop: Header=BB289_1032 Depth=2
	ds_load_u8 v62, v2 offset:1792
	s_wait_dscnt 0x0
	v_and_b32_e32 v63, 0xff, v62
	v_xor_b32_e32 v62, 0x7f, v62
	s_delay_alu instid0(VALU_DEP_2) | instskip(NEXT) | instid1(VALU_DEP_1)
	v_lshrrev_b32_e32 v63, s49, v63
	v_and_b32_e32 v63, s58, v63
	s_delay_alu instid0(VALU_DEP_1)
	v_lshlrev_b32_e32 v63, 2, v63
	ds_load_b32 v63, v63
	s_wait_dscnt 0x0
	v_add_nc_u32_e32 v63, v63, v71
	global_store_b8 v63, v62, s[40:41]
	s_wait_xcnt 0x0
	s_or_b32 exec_lo, exec_lo, s22
	v_cmp_lt_u32_e64 s22, v72, v137
	s_and_saveexec_b32 s23, s22
	s_cbranch_execz .LBB289_1108
.LBB289_1180:                           ;   in Loop: Header=BB289_1032 Depth=2
	ds_load_u8 v62, v2 offset:2048
	s_wait_dscnt 0x0
	v_and_b32_e32 v63, 0xff, v62
	v_xor_b32_e32 v62, 0x7f, v62
	s_delay_alu instid0(VALU_DEP_2) | instskip(NEXT) | instid1(VALU_DEP_1)
	v_lshrrev_b32_e32 v63, s49, v63
	v_and_b32_e32 v63, s58, v63
	s_delay_alu instid0(VALU_DEP_1)
	v_lshlrev_b32_e32 v63, 2, v63
	ds_load_b32 v63, v63
	s_wait_dscnt 0x0
	v_add_nc_u32_e32 v63, v63, v72
	global_store_b8 v63, v62, s[40:41]
	s_wait_xcnt 0x0
	s_or_b32 exec_lo, exec_lo, s23
	v_cmp_lt_u32_e64 s23, v73, v137
	s_and_saveexec_b32 s24, s23
	s_cbranch_execz .LBB289_1109
.LBB289_1181:                           ;   in Loop: Header=BB289_1032 Depth=2
	ds_load_u8 v62, v2 offset:2304
	s_wait_dscnt 0x0
	v_and_b32_e32 v63, 0xff, v62
	v_xor_b32_e32 v62, 0x7f, v62
	s_delay_alu instid0(VALU_DEP_2) | instskip(NEXT) | instid1(VALU_DEP_1)
	v_lshrrev_b32_e32 v63, s49, v63
	v_and_b32_e32 v63, s58, v63
	s_delay_alu instid0(VALU_DEP_1)
	v_lshlrev_b32_e32 v63, 2, v63
	ds_load_b32 v63, v63
	s_wait_dscnt 0x0
	v_add_nc_u32_e32 v63, v63, v73
	global_store_b8 v63, v62, s[40:41]
	s_wait_xcnt 0x0
	s_or_b32 exec_lo, exec_lo, s24
	v_cmp_lt_u32_e64 s24, v74, v137
	s_and_saveexec_b32 s25, s24
	s_cbranch_execz .LBB289_1110
.LBB289_1182:                           ;   in Loop: Header=BB289_1032 Depth=2
	ds_load_u8 v62, v2 offset:2560
	s_wait_dscnt 0x0
	v_and_b32_e32 v63, 0xff, v62
	v_xor_b32_e32 v62, 0x7f, v62
	s_delay_alu instid0(VALU_DEP_2) | instskip(NEXT) | instid1(VALU_DEP_1)
	v_lshrrev_b32_e32 v63, s49, v63
	v_and_b32_e32 v63, s58, v63
	s_delay_alu instid0(VALU_DEP_1)
	v_lshlrev_b32_e32 v63, 2, v63
	ds_load_b32 v63, v63
	s_wait_dscnt 0x0
	v_add_nc_u32_e32 v63, v63, v74
	global_store_b8 v63, v62, s[40:41]
	s_wait_xcnt 0x0
	s_or_b32 exec_lo, exec_lo, s25
	v_cmp_lt_u32_e64 s25, v75, v137
	s_and_saveexec_b32 s26, s25
	s_cbranch_execz .LBB289_1111
.LBB289_1183:                           ;   in Loop: Header=BB289_1032 Depth=2
	ds_load_u8 v62, v2 offset:2816
	s_wait_dscnt 0x0
	v_and_b32_e32 v63, 0xff, v62
	v_xor_b32_e32 v62, 0x7f, v62
	s_delay_alu instid0(VALU_DEP_2) | instskip(NEXT) | instid1(VALU_DEP_1)
	v_lshrrev_b32_e32 v63, s49, v63
	v_and_b32_e32 v63, s58, v63
	s_delay_alu instid0(VALU_DEP_1)
	v_lshlrev_b32_e32 v63, 2, v63
	ds_load_b32 v63, v63
	s_wait_dscnt 0x0
	v_add_nc_u32_e32 v63, v63, v75
	global_store_b8 v63, v62, s[40:41]
	s_wait_xcnt 0x0
	s_or_b32 exec_lo, exec_lo, s26
	v_cmp_lt_u32_e64 s26, v76, v137
	s_and_saveexec_b32 s27, s26
	s_cbranch_execz .LBB289_1112
.LBB289_1184:                           ;   in Loop: Header=BB289_1032 Depth=2
	ds_load_u8 v62, v2 offset:3072
	s_wait_dscnt 0x0
	v_and_b32_e32 v63, 0xff, v62
	v_xor_b32_e32 v62, 0x7f, v62
	s_delay_alu instid0(VALU_DEP_2) | instskip(NEXT) | instid1(VALU_DEP_1)
	v_lshrrev_b32_e32 v63, s49, v63
	v_and_b32_e32 v63, s58, v63
	s_delay_alu instid0(VALU_DEP_1)
	v_lshlrev_b32_e32 v63, 2, v63
	ds_load_b32 v63, v63
	s_wait_dscnt 0x0
	v_add_nc_u32_e32 v63, v63, v76
	global_store_b8 v63, v62, s[40:41]
	s_wait_xcnt 0x0
	s_or_b32 exec_lo, exec_lo, s27
	v_cmp_lt_u32_e64 s27, v77, v137
	s_and_saveexec_b32 s28, s27
	s_cbranch_execz .LBB289_1113
.LBB289_1185:                           ;   in Loop: Header=BB289_1032 Depth=2
	ds_load_u8 v62, v2 offset:3328
	s_wait_dscnt 0x0
	v_and_b32_e32 v63, 0xff, v62
	v_xor_b32_e32 v62, 0x7f, v62
	s_delay_alu instid0(VALU_DEP_2) | instskip(NEXT) | instid1(VALU_DEP_1)
	v_lshrrev_b32_e32 v63, s49, v63
	v_and_b32_e32 v63, s58, v63
	s_delay_alu instid0(VALU_DEP_1)
	v_lshlrev_b32_e32 v63, 2, v63
	ds_load_b32 v63, v63
	s_wait_dscnt 0x0
	v_add_nc_u32_e32 v63, v63, v77
	global_store_b8 v63, v62, s[40:41]
	s_wait_xcnt 0x0
	s_or_b32 exec_lo, exec_lo, s28
	v_cmp_lt_u32_e64 s28, v78, v137
	s_and_saveexec_b32 s29, s28
	s_cbranch_execz .LBB289_1114
.LBB289_1186:                           ;   in Loop: Header=BB289_1032 Depth=2
	ds_load_u8 v62, v2 offset:3584
	s_wait_dscnt 0x0
	v_and_b32_e32 v63, 0xff, v62
	v_xor_b32_e32 v62, 0x7f, v62
	s_delay_alu instid0(VALU_DEP_2) | instskip(NEXT) | instid1(VALU_DEP_1)
	v_lshrrev_b32_e32 v63, s49, v63
	v_and_b32_e32 v63, s58, v63
	s_delay_alu instid0(VALU_DEP_1)
	v_lshlrev_b32_e32 v63, 2, v63
	ds_load_b32 v63, v63
	s_wait_dscnt 0x0
	v_add_nc_u32_e32 v63, v63, v78
	global_store_b8 v63, v62, s[40:41]
	s_wait_xcnt 0x0
	s_or_b32 exec_lo, exec_lo, s29
	v_cmp_lt_u32_e64 s29, v79, v137
	s_and_saveexec_b32 s30, s29
	s_cbranch_execz .LBB289_1115
.LBB289_1187:                           ;   in Loop: Header=BB289_1032 Depth=2
	ds_load_u8 v62, v2 offset:3840
	s_wait_dscnt 0x0
	v_and_b32_e32 v63, 0xff, v62
	v_xor_b32_e32 v62, 0x7f, v62
	s_delay_alu instid0(VALU_DEP_2) | instskip(NEXT) | instid1(VALU_DEP_1)
	v_lshrrev_b32_e32 v63, s49, v63
	v_and_b32_e32 v63, s58, v63
	s_delay_alu instid0(VALU_DEP_1)
	v_lshlrev_b32_e32 v63, 2, v63
	ds_load_b32 v63, v63
	s_wait_dscnt 0x0
	v_add_nc_u32_e32 v63, v63, v79
	global_store_b8 v63, v62, s[40:41]
	s_wait_xcnt 0x0
	s_or_b32 exec_lo, exec_lo, s30
	v_cmp_lt_u32_e64 s30, v80, v137
	s_and_saveexec_b32 s31, s30
	s_cbranch_execz .LBB289_1116
.LBB289_1188:                           ;   in Loop: Header=BB289_1032 Depth=2
	ds_load_u8 v62, v2 offset:4096
	s_wait_dscnt 0x0
	v_and_b32_e32 v63, 0xff, v62
	v_xor_b32_e32 v62, 0x7f, v62
	s_delay_alu instid0(VALU_DEP_2) | instskip(NEXT) | instid1(VALU_DEP_1)
	v_lshrrev_b32_e32 v63, s49, v63
	v_and_b32_e32 v63, s58, v63
	s_delay_alu instid0(VALU_DEP_1)
	v_lshlrev_b32_e32 v63, 2, v63
	ds_load_b32 v63, v63
	s_wait_dscnt 0x0
	v_add_nc_u32_e32 v63, v63, v80
	global_store_b8 v63, v62, s[40:41]
	s_wait_xcnt 0x0
	s_or_b32 exec_lo, exec_lo, s31
	v_cmp_lt_u32_e64 s31, v81, v137
	s_and_saveexec_b32 s33, s31
	s_cbranch_execz .LBB289_1117
.LBB289_1189:                           ;   in Loop: Header=BB289_1032 Depth=2
	ds_load_u8 v62, v2 offset:4352
	s_wait_dscnt 0x0
	v_and_b32_e32 v63, 0xff, v62
	v_xor_b32_e32 v62, 0x7f, v62
	s_delay_alu instid0(VALU_DEP_2) | instskip(NEXT) | instid1(VALU_DEP_1)
	v_lshrrev_b32_e32 v63, s49, v63
	v_and_b32_e32 v63, s58, v63
	s_delay_alu instid0(VALU_DEP_1)
	v_lshlrev_b32_e32 v63, 2, v63
	ds_load_b32 v63, v63
	s_wait_dscnt 0x0
	v_add_nc_u32_e32 v63, v63, v81
	global_store_b8 v63, v62, s[40:41]
	s_wait_xcnt 0x0
	s_or_b32 exec_lo, exec_lo, s33
	v_cmp_lt_u32_e64 s33, v82, v137
	s_and_saveexec_b32 s61, s33
	s_cbranch_execnz .LBB289_1118
	s_branch .LBB289_1119
.LBB289_1190:                           ;   in Loop: Header=BB289_1032 Depth=2
	global_load_b64 v[60:61], v[62:63], off
	s_wait_xcnt 0x0
	s_or_b32 exec_lo, exec_lo, s34
	s_delay_alu instid0(SALU_CYCLE_1)
	s_mov_b32 s61, exec_lo
	v_cmpx_lt_u32_e64 v98, v137
	s_cbranch_execz .LBB289_1121
.LBB289_1191:                           ;   in Loop: Header=BB289_1032 Depth=2
	global_load_b64 v[58:59], v[62:63], off offset:256
	s_wait_xcnt 0x0
	s_or_b32 exec_lo, exec_lo, s61
	s_delay_alu instid0(SALU_CYCLE_1)
	s_mov_b32 s61, exec_lo
	v_cmpx_lt_u32_e64 v99, v137
	s_cbranch_execz .LBB289_1122
.LBB289_1192:                           ;   in Loop: Header=BB289_1032 Depth=2
	global_load_b64 v[56:57], v[62:63], off offset:512
	s_wait_xcnt 0x0
	s_or_b32 exec_lo, exec_lo, s61
	s_delay_alu instid0(SALU_CYCLE_1)
	s_mov_b32 s61, exec_lo
	v_cmpx_lt_u32_e64 v100, v137
	s_cbranch_execz .LBB289_1123
.LBB289_1193:                           ;   in Loop: Header=BB289_1032 Depth=2
	global_load_b64 v[54:55], v[62:63], off offset:768
	s_wait_xcnt 0x0
	s_or_b32 exec_lo, exec_lo, s61
	s_delay_alu instid0(SALU_CYCLE_1)
	s_mov_b32 s61, exec_lo
	v_cmpx_lt_u32_e64 v101, v137
	s_cbranch_execz .LBB289_1124
.LBB289_1194:                           ;   in Loop: Header=BB289_1032 Depth=2
	global_load_b64 v[52:53], v[62:63], off offset:1024
	s_wait_xcnt 0x0
	s_or_b32 exec_lo, exec_lo, s61
	s_delay_alu instid0(SALU_CYCLE_1)
	s_mov_b32 s61, exec_lo
	v_cmpx_lt_u32_e64 v102, v137
	s_cbranch_execz .LBB289_1125
.LBB289_1195:                           ;   in Loop: Header=BB289_1032 Depth=2
	global_load_b64 v[50:51], v[62:63], off offset:1280
	s_wait_xcnt 0x0
	s_or_b32 exec_lo, exec_lo, s61
	s_delay_alu instid0(SALU_CYCLE_1)
	s_mov_b32 s61, exec_lo
	v_cmpx_lt_u32_e64 v103, v137
	s_cbranch_execz .LBB289_1126
.LBB289_1196:                           ;   in Loop: Header=BB289_1032 Depth=2
	global_load_b64 v[48:49], v[62:63], off offset:1536
	s_wait_xcnt 0x0
	s_or_b32 exec_lo, exec_lo, s61
	s_delay_alu instid0(SALU_CYCLE_1)
	s_mov_b32 s61, exec_lo
	v_cmpx_lt_u32_e64 v104, v137
	s_cbranch_execz .LBB289_1127
.LBB289_1197:                           ;   in Loop: Header=BB289_1032 Depth=2
	global_load_b64 v[46:47], v[62:63], off offset:1792
	s_wait_xcnt 0x0
	s_or_b32 exec_lo, exec_lo, s61
	s_delay_alu instid0(SALU_CYCLE_1)
	s_mov_b32 s61, exec_lo
	v_cmpx_lt_u32_e64 v105, v137
	s_cbranch_execz .LBB289_1128
.LBB289_1198:                           ;   in Loop: Header=BB289_1032 Depth=2
	global_load_b64 v[44:45], v[62:63], off offset:2048
	s_wait_xcnt 0x0
	s_or_b32 exec_lo, exec_lo, s61
	s_delay_alu instid0(SALU_CYCLE_1)
	s_mov_b32 s61, exec_lo
	v_cmpx_lt_u32_e64 v106, v137
	s_cbranch_execz .LBB289_1129
.LBB289_1199:                           ;   in Loop: Header=BB289_1032 Depth=2
	global_load_b64 v[42:43], v[62:63], off offset:2304
	s_wait_xcnt 0x0
	s_or_b32 exec_lo, exec_lo, s61
	s_delay_alu instid0(SALU_CYCLE_1)
	s_mov_b32 s61, exec_lo
	v_cmpx_lt_u32_e64 v107, v137
	s_cbranch_execz .LBB289_1130
.LBB289_1200:                           ;   in Loop: Header=BB289_1032 Depth=2
	global_load_b64 v[40:41], v[62:63], off offset:2560
	s_wait_xcnt 0x0
	s_or_b32 exec_lo, exec_lo, s61
	s_delay_alu instid0(SALU_CYCLE_1)
	s_mov_b32 s61, exec_lo
	v_cmpx_lt_u32_e64 v108, v137
	s_cbranch_execz .LBB289_1131
.LBB289_1201:                           ;   in Loop: Header=BB289_1032 Depth=2
	global_load_b64 v[38:39], v[62:63], off offset:2816
	s_wait_xcnt 0x0
	s_or_b32 exec_lo, exec_lo, s61
	s_delay_alu instid0(SALU_CYCLE_1)
	s_mov_b32 s61, exec_lo
	v_cmpx_lt_u32_e64 v109, v137
	s_cbranch_execz .LBB289_1132
.LBB289_1202:                           ;   in Loop: Header=BB289_1032 Depth=2
	global_load_b64 v[36:37], v[62:63], off offset:3072
	s_wait_xcnt 0x0
	s_or_b32 exec_lo, exec_lo, s61
	s_delay_alu instid0(SALU_CYCLE_1)
	s_mov_b32 s61, exec_lo
	v_cmpx_lt_u32_e64 v110, v137
	s_cbranch_execz .LBB289_1133
.LBB289_1203:                           ;   in Loop: Header=BB289_1032 Depth=2
	global_load_b64 v[34:35], v[62:63], off offset:3328
	s_wait_xcnt 0x0
	s_or_b32 exec_lo, exec_lo, s61
	s_delay_alu instid0(SALU_CYCLE_1)
	s_mov_b32 s61, exec_lo
	v_cmpx_lt_u32_e64 v111, v137
	s_cbranch_execz .LBB289_1134
.LBB289_1204:                           ;   in Loop: Header=BB289_1032 Depth=2
	global_load_b64 v[32:33], v[62:63], off offset:3584
	s_wait_xcnt 0x0
	s_or_b32 exec_lo, exec_lo, s61
	s_delay_alu instid0(SALU_CYCLE_1)
	s_mov_b32 s61, exec_lo
	v_cmpx_lt_u32_e64 v112, v137
	s_cbranch_execz .LBB289_1135
.LBB289_1205:                           ;   in Loop: Header=BB289_1032 Depth=2
	global_load_b64 v[30:31], v[62:63], off offset:3840
	s_wait_xcnt 0x0
	s_or_b32 exec_lo, exec_lo, s61
	s_delay_alu instid0(SALU_CYCLE_1)
	s_mov_b32 s61, exec_lo
	v_cmpx_lt_u32_e64 v113, v137
	s_cbranch_execz .LBB289_1136
.LBB289_1206:                           ;   in Loop: Header=BB289_1032 Depth=2
	global_load_b64 v[28:29], v[62:63], off offset:4096
	s_wait_xcnt 0x0
	s_or_b32 exec_lo, exec_lo, s61
	s_and_saveexec_b32 s34, vcc_lo
	s_cbranch_execz .LBB289_1137
.LBB289_1207:                           ;   in Loop: Header=BB289_1032 Depth=2
	ds_load_u8 v62, v2 offset:512
	s_wait_dscnt 0x0
	v_lshrrev_b32_e32 v62, s49, v62
	s_delay_alu instid0(VALU_DEP_1)
	v_and_b32_e32 v132, s58, v62
	s_or_b32 exec_lo, exec_lo, s34
	s_and_saveexec_b32 s34, s17
	s_cbranch_execz .LBB289_1138
.LBB289_1208:                           ;   in Loop: Header=BB289_1032 Depth=2
	ds_load_u8 v62, v2 offset:768
	s_wait_dscnt 0x0
	v_lshrrev_b32_e32 v62, s49, v62
	s_delay_alu instid0(VALU_DEP_1)
	v_and_b32_e32 v131, s58, v62
	s_or_b32 exec_lo, exec_lo, s34
	s_and_saveexec_b32 s34, s18
	s_cbranch_execz .LBB289_1139
.LBB289_1209:                           ;   in Loop: Header=BB289_1032 Depth=2
	ds_load_u8 v62, v2 offset:1024
	s_wait_dscnt 0x0
	v_lshrrev_b32_e32 v62, s49, v62
	s_delay_alu instid0(VALU_DEP_1)
	v_and_b32_e32 v130, s58, v62
	s_or_b32 exec_lo, exec_lo, s34
	s_and_saveexec_b32 s34, s19
	s_cbranch_execz .LBB289_1140
.LBB289_1210:                           ;   in Loop: Header=BB289_1032 Depth=2
	ds_load_u8 v62, v2 offset:1280
	s_wait_dscnt 0x0
	v_lshrrev_b32_e32 v62, s49, v62
	s_delay_alu instid0(VALU_DEP_1)
	v_and_b32_e32 v129, s58, v62
	s_or_b32 exec_lo, exec_lo, s34
	s_and_saveexec_b32 s34, s20
	s_cbranch_execz .LBB289_1141
.LBB289_1211:                           ;   in Loop: Header=BB289_1032 Depth=2
	ds_load_u8 v62, v2 offset:1536
	s_wait_dscnt 0x0
	v_lshrrev_b32_e32 v62, s49, v62
	s_delay_alu instid0(VALU_DEP_1)
	v_and_b32_e32 v128, s58, v62
	s_or_b32 exec_lo, exec_lo, s34
	s_and_saveexec_b32 s34, s21
	s_cbranch_execz .LBB289_1142
.LBB289_1212:                           ;   in Loop: Header=BB289_1032 Depth=2
	ds_load_u8 v62, v2 offset:1792
	s_wait_dscnt 0x0
	v_lshrrev_b32_e32 v62, s49, v62
	s_delay_alu instid0(VALU_DEP_1)
	v_and_b32_e32 v127, s58, v62
	s_or_b32 exec_lo, exec_lo, s34
	s_and_saveexec_b32 s34, s22
	s_cbranch_execz .LBB289_1143
.LBB289_1213:                           ;   in Loop: Header=BB289_1032 Depth=2
	ds_load_u8 v62, v2 offset:2048
	s_wait_dscnt 0x0
	v_lshrrev_b32_e32 v62, s49, v62
	s_delay_alu instid0(VALU_DEP_1)
	v_and_b32_e32 v126, s58, v62
	s_or_b32 exec_lo, exec_lo, s34
	s_and_saveexec_b32 s34, s23
	s_cbranch_execz .LBB289_1144
.LBB289_1214:                           ;   in Loop: Header=BB289_1032 Depth=2
	ds_load_u8 v62, v2 offset:2304
	s_wait_dscnt 0x0
	v_lshrrev_b32_e32 v62, s49, v62
	s_delay_alu instid0(VALU_DEP_1)
	v_and_b32_e32 v125, s58, v62
	s_or_b32 exec_lo, exec_lo, s34
	s_and_saveexec_b32 s34, s24
	s_cbranch_execz .LBB289_1145
.LBB289_1215:                           ;   in Loop: Header=BB289_1032 Depth=2
	ds_load_u8 v62, v2 offset:2560
	s_wait_dscnt 0x0
	v_lshrrev_b32_e32 v62, s49, v62
	s_delay_alu instid0(VALU_DEP_1)
	v_and_b32_e32 v124, s58, v62
	s_or_b32 exec_lo, exec_lo, s34
	s_and_saveexec_b32 s34, s25
	s_cbranch_execz .LBB289_1146
.LBB289_1216:                           ;   in Loop: Header=BB289_1032 Depth=2
	ds_load_u8 v62, v2 offset:2816
	s_wait_dscnt 0x0
	v_lshrrev_b32_e32 v62, s49, v62
	s_delay_alu instid0(VALU_DEP_1)
	v_and_b32_e32 v123, s58, v62
	s_or_b32 exec_lo, exec_lo, s34
	s_and_saveexec_b32 s34, s26
	s_cbranch_execz .LBB289_1147
.LBB289_1217:                           ;   in Loop: Header=BB289_1032 Depth=2
	ds_load_u8 v62, v2 offset:3072
	s_wait_dscnt 0x0
	v_lshrrev_b32_e32 v62, s49, v62
	s_delay_alu instid0(VALU_DEP_1)
	v_and_b32_e32 v122, s58, v62
	s_or_b32 exec_lo, exec_lo, s34
	s_and_saveexec_b32 s34, s27
	s_cbranch_execz .LBB289_1148
.LBB289_1218:                           ;   in Loop: Header=BB289_1032 Depth=2
	ds_load_u8 v62, v2 offset:3328
	s_wait_dscnt 0x0
	v_lshrrev_b32_e32 v62, s49, v62
	s_delay_alu instid0(VALU_DEP_1)
	v_and_b32_e32 v121, s58, v62
	s_or_b32 exec_lo, exec_lo, s34
	s_and_saveexec_b32 s34, s28
	s_cbranch_execz .LBB289_1149
.LBB289_1219:                           ;   in Loop: Header=BB289_1032 Depth=2
	ds_load_u8 v62, v2 offset:3584
	s_wait_dscnt 0x0
	v_lshrrev_b32_e32 v62, s49, v62
	s_delay_alu instid0(VALU_DEP_1)
	v_and_b32_e32 v120, s58, v62
	s_or_b32 exec_lo, exec_lo, s34
	s_and_saveexec_b32 s34, s29
	s_cbranch_execz .LBB289_1150
.LBB289_1220:                           ;   in Loop: Header=BB289_1032 Depth=2
	ds_load_u8 v62, v2 offset:3840
	s_wait_dscnt 0x0
	v_lshrrev_b32_e32 v62, s49, v62
	s_delay_alu instid0(VALU_DEP_1)
	v_and_b32_e32 v119, s58, v62
	s_or_b32 exec_lo, exec_lo, s34
	s_and_saveexec_b32 s34, s30
	s_cbranch_execz .LBB289_1151
.LBB289_1221:                           ;   in Loop: Header=BB289_1032 Depth=2
	ds_load_u8 v62, v2 offset:4096
	s_wait_dscnt 0x0
	v_lshrrev_b32_e32 v62, s49, v62
	s_delay_alu instid0(VALU_DEP_1)
	v_and_b32_e32 v118, s58, v62
	s_or_b32 exec_lo, exec_lo, s34
	s_and_saveexec_b32 s34, s31
	s_cbranch_execz .LBB289_1152
.LBB289_1222:                           ;   in Loop: Header=BB289_1032 Depth=2
	ds_load_u8 v62, v2 offset:4352
	s_wait_dscnt 0x0
	v_lshrrev_b32_e32 v62, s49, v62
	s_delay_alu instid0(VALU_DEP_1)
	v_and_b32_e32 v117, s58, v62
	s_or_b32 exec_lo, exec_lo, s34
	s_and_saveexec_b32 s34, s33
	s_cbranch_execnz .LBB289_1153
	s_branch .LBB289_1154
.LBB289_1223:                           ;   in Loop: Header=BB289_1032 Depth=2
	v_lshlrev_b32_e32 v63, 2, v132
	ds_load_b32 v63, v63
	ds_load_b64 v[64:65], v62 offset:512
	s_wait_dscnt 0x1
	v_add_nc_u32_e32 v63, v63, v2
	s_wait_dscnt 0x0
	global_store_b64 v63, v[64:65], s[46:47] scale_offset
	s_wait_xcnt 0x0
	s_or_b32 exec_lo, exec_lo, s34
	s_and_saveexec_b32 s34, s17
	s_cbranch_execz .LBB289_1156
.LBB289_1224:                           ;   in Loop: Header=BB289_1032 Depth=2
	v_lshlrev_b32_e32 v63, 2, v131
	ds_load_b32 v63, v63
	ds_load_b64 v[64:65], v62 offset:2560
	s_wait_dscnt 0x1
	v_add_nc_u32_e32 v63, v63, v67
	s_wait_dscnt 0x0
	global_store_b64 v63, v[64:65], s[46:47] scale_offset
	s_wait_xcnt 0x0
	s_or_b32 exec_lo, exec_lo, s34
	s_and_saveexec_b32 s17, s18
	s_cbranch_execz .LBB289_1157
.LBB289_1225:                           ;   in Loop: Header=BB289_1032 Depth=2
	v_lshlrev_b32_e32 v63, 2, v130
	ds_load_b32 v63, v63
	ds_load_b64 v[64:65], v62 offset:4608
	s_wait_dscnt 0x1
	v_add_nc_u32_e32 v63, v63, v68
	s_wait_dscnt 0x0
	global_store_b64 v63, v[64:65], s[46:47] scale_offset
	s_wait_xcnt 0x0
	s_or_b32 exec_lo, exec_lo, s17
	s_and_saveexec_b32 s17, s19
	s_cbranch_execz .LBB289_1158
.LBB289_1226:                           ;   in Loop: Header=BB289_1032 Depth=2
	v_lshlrev_b32_e32 v63, 2, v129
	ds_load_b32 v63, v63
	ds_load_b64 v[64:65], v62 offset:6656
	s_wait_dscnt 0x1
	v_add_nc_u32_e32 v63, v63, v69
	s_wait_dscnt 0x0
	global_store_b64 v63, v[64:65], s[46:47] scale_offset
	s_wait_xcnt 0x0
	s_or_b32 exec_lo, exec_lo, s17
	s_and_saveexec_b32 s17, s20
	s_cbranch_execz .LBB289_1159
.LBB289_1227:                           ;   in Loop: Header=BB289_1032 Depth=2
	v_lshlrev_b32_e32 v63, 2, v128
	ds_load_b32 v63, v63
	ds_load_b64 v[64:65], v62 offset:8704
	s_wait_dscnt 0x1
	v_add_nc_u32_e32 v63, v63, v70
	s_wait_dscnt 0x0
	global_store_b64 v63, v[64:65], s[46:47] scale_offset
	s_wait_xcnt 0x0
	s_or_b32 exec_lo, exec_lo, s17
	s_and_saveexec_b32 s17, s21
	s_cbranch_execz .LBB289_1160
.LBB289_1228:                           ;   in Loop: Header=BB289_1032 Depth=2
	v_lshlrev_b32_e32 v63, 2, v127
	ds_load_b32 v63, v63
	ds_load_b64 v[64:65], v62 offset:10752
	s_wait_dscnt 0x1
	v_add_nc_u32_e32 v63, v63, v71
	s_wait_dscnt 0x0
	global_store_b64 v63, v[64:65], s[46:47] scale_offset
	s_wait_xcnt 0x0
	s_or_b32 exec_lo, exec_lo, s17
	s_and_saveexec_b32 s17, s22
	s_cbranch_execz .LBB289_1161
.LBB289_1229:                           ;   in Loop: Header=BB289_1032 Depth=2
	v_lshlrev_b32_e32 v63, 2, v126
	ds_load_b32 v63, v63
	ds_load_b64 v[64:65], v62 offset:12800
	s_wait_dscnt 0x1
	v_add_nc_u32_e32 v63, v63, v72
	s_wait_dscnt 0x0
	global_store_b64 v63, v[64:65], s[46:47] scale_offset
	s_wait_xcnt 0x0
	s_or_b32 exec_lo, exec_lo, s17
	s_and_saveexec_b32 s17, s23
	s_cbranch_execz .LBB289_1162
.LBB289_1230:                           ;   in Loop: Header=BB289_1032 Depth=2
	v_lshlrev_b32_e32 v63, 2, v125
	ds_load_b32 v63, v63
	ds_load_b64 v[64:65], v62 offset:14848
	s_wait_dscnt 0x1
	v_add_nc_u32_e32 v63, v63, v73
	s_wait_dscnt 0x0
	global_store_b64 v63, v[64:65], s[46:47] scale_offset
	s_wait_xcnt 0x0
	s_or_b32 exec_lo, exec_lo, s17
	s_and_saveexec_b32 s17, s24
	s_cbranch_execz .LBB289_1163
.LBB289_1231:                           ;   in Loop: Header=BB289_1032 Depth=2
	v_lshlrev_b32_e32 v63, 2, v124
	ds_load_b32 v63, v63
	ds_load_b64 v[64:65], v62 offset:16896
	s_wait_dscnt 0x1
	v_add_nc_u32_e32 v63, v63, v74
	s_wait_dscnt 0x0
	global_store_b64 v63, v[64:65], s[46:47] scale_offset
	s_wait_xcnt 0x0
	s_or_b32 exec_lo, exec_lo, s17
	s_and_saveexec_b32 s17, s25
	s_cbranch_execz .LBB289_1164
.LBB289_1232:                           ;   in Loop: Header=BB289_1032 Depth=2
	v_lshlrev_b32_e32 v63, 2, v123
	ds_load_b32 v63, v63
	ds_load_b64 v[64:65], v62 offset:18944
	s_wait_dscnt 0x1
	v_add_nc_u32_e32 v63, v63, v75
	s_wait_dscnt 0x0
	global_store_b64 v63, v[64:65], s[46:47] scale_offset
	s_wait_xcnt 0x0
	s_or_b32 exec_lo, exec_lo, s17
	s_and_saveexec_b32 s17, s26
	s_cbranch_execz .LBB289_1165
.LBB289_1233:                           ;   in Loop: Header=BB289_1032 Depth=2
	v_lshlrev_b32_e32 v63, 2, v122
	ds_load_b32 v63, v63
	ds_load_b64 v[64:65], v62 offset:20992
	s_wait_dscnt 0x1
	v_add_nc_u32_e32 v63, v63, v76
	s_wait_dscnt 0x0
	global_store_b64 v63, v[64:65], s[46:47] scale_offset
	s_wait_xcnt 0x0
	s_or_b32 exec_lo, exec_lo, s17
	s_and_saveexec_b32 s17, s27
	s_cbranch_execz .LBB289_1166
.LBB289_1234:                           ;   in Loop: Header=BB289_1032 Depth=2
	v_lshlrev_b32_e32 v63, 2, v121
	ds_load_b32 v63, v63
	ds_load_b64 v[64:65], v62 offset:23040
	s_wait_dscnt 0x1
	v_add_nc_u32_e32 v63, v63, v77
	s_wait_dscnt 0x0
	global_store_b64 v63, v[64:65], s[46:47] scale_offset
	s_wait_xcnt 0x0
	s_or_b32 exec_lo, exec_lo, s17
	s_and_saveexec_b32 s17, s28
	s_cbranch_execz .LBB289_1167
.LBB289_1235:                           ;   in Loop: Header=BB289_1032 Depth=2
	v_lshlrev_b32_e32 v63, 2, v120
	ds_load_b32 v63, v63
	ds_load_b64 v[64:65], v62 offset:25088
	s_wait_dscnt 0x1
	v_add_nc_u32_e32 v63, v63, v78
	s_wait_dscnt 0x0
	global_store_b64 v63, v[64:65], s[46:47] scale_offset
	s_wait_xcnt 0x0
	s_or_b32 exec_lo, exec_lo, s17
	s_and_saveexec_b32 s17, s29
	s_cbranch_execz .LBB289_1168
.LBB289_1236:                           ;   in Loop: Header=BB289_1032 Depth=2
	v_lshlrev_b32_e32 v63, 2, v119
	ds_load_b32 v63, v63
	ds_load_b64 v[64:65], v62 offset:27136
	s_wait_dscnt 0x1
	v_add_nc_u32_e32 v63, v63, v79
	s_wait_dscnt 0x0
	global_store_b64 v63, v[64:65], s[46:47] scale_offset
	s_wait_xcnt 0x0
	s_or_b32 exec_lo, exec_lo, s17
	s_and_saveexec_b32 s17, s30
	s_cbranch_execz .LBB289_1169
.LBB289_1237:                           ;   in Loop: Header=BB289_1032 Depth=2
	v_lshlrev_b32_e32 v63, 2, v118
	ds_load_b32 v63, v63
	ds_load_b64 v[64:65], v62 offset:29184
	s_wait_dscnt 0x1
	v_add_nc_u32_e32 v63, v63, v80
	s_wait_dscnt 0x0
	global_store_b64 v63, v[64:65], s[46:47] scale_offset
	s_wait_xcnt 0x0
	s_or_b32 exec_lo, exec_lo, s17
	s_and_saveexec_b32 s17, s31
	s_cbranch_execz .LBB289_1170
.LBB289_1238:                           ;   in Loop: Header=BB289_1032 Depth=2
	v_lshlrev_b32_e32 v63, 2, v117
	ds_load_b32 v63, v63
	ds_load_b64 v[64:65], v62 offset:31232
	s_wait_dscnt 0x1
	v_add_nc_u32_e32 v63, v63, v81
	s_wait_dscnt 0x0
	global_store_b64 v63, v[64:65], s[46:47] scale_offset
	s_wait_xcnt 0x0
	s_or_b32 exec_lo, exec_lo, s17
	s_and_saveexec_b32 s17, s33
	s_cbranch_execnz .LBB289_1171
	s_branch .LBB289_1172
.LBB289_1239:                           ;   in Loop: Header=BB289_1032 Depth=2
	global_load_u8 v147, v[62:63], off
	v_dual_mov_b32 v115, 0x80 :: v_dual_mov_b32 v150, 0x80
	v_dual_mov_b32 v148, 0x80 :: v_dual_mov_b32 v151, 0x80
	;; [unrolled: 1-line block ×8, first 2 shown]
	s_wait_xcnt 0x0
	s_or_b32 exec_lo, exec_lo, s17
	s_delay_alu instid0(SALU_CYCLE_1)
	s_mov_b32 s17, exec_lo
	v_cmpx_gt_u32_e64 s59, v98
	s_cbranch_execz .LBB289_1037
.LBB289_1240:                           ;   in Loop: Header=BB289_1032 Depth=2
	global_load_u8 v150, v[62:63], off offset:32
	s_wait_xcnt 0x0
	s_or_b32 exec_lo, exec_lo, s17
	s_delay_alu instid0(SALU_CYCLE_1)
	s_mov_b32 s17, exec_lo
	v_cmpx_gt_u32_e64 s59, v99
	s_cbranch_execz .LBB289_1038
.LBB289_1241:                           ;   in Loop: Header=BB289_1032 Depth=2
	global_load_u8 v148, v[62:63], off offset:64
	s_wait_xcnt 0x0
	s_or_b32 exec_lo, exec_lo, s17
	s_delay_alu instid0(SALU_CYCLE_1)
	s_mov_b32 s17, exec_lo
	v_cmpx_gt_u32_e64 s59, v100
	s_cbranch_execz .LBB289_1039
.LBB289_1242:                           ;   in Loop: Header=BB289_1032 Depth=2
	global_load_u8 v151, v[62:63], off offset:96
	s_wait_xcnt 0x0
	s_or_b32 exec_lo, exec_lo, s17
	s_delay_alu instid0(SALU_CYCLE_1)
	s_mov_b32 s17, exec_lo
	v_cmpx_gt_u32_e64 s59, v101
	s_cbranch_execz .LBB289_1040
.LBB289_1243:                           ;   in Loop: Header=BB289_1032 Depth=2
	global_load_u8 v142, v[62:63], off offset:128
	s_wait_xcnt 0x0
	s_or_b32 exec_lo, exec_lo, s17
	s_delay_alu instid0(SALU_CYCLE_1)
	s_mov_b32 s17, exec_lo
	v_cmpx_gt_u32_e64 s59, v102
	s_cbranch_execz .LBB289_1041
.LBB289_1244:                           ;   in Loop: Header=BB289_1032 Depth=2
	global_load_u8 v145, v[62:63], off offset:160
	s_wait_xcnt 0x0
	s_or_b32 exec_lo, exec_lo, s17
	s_delay_alu instid0(SALU_CYCLE_1)
	s_mov_b32 s17, exec_lo
	v_cmpx_gt_u32_e64 s59, v103
	s_cbranch_execz .LBB289_1042
.LBB289_1245:                           ;   in Loop: Header=BB289_1032 Depth=2
	global_load_u8 v143, v[62:63], off offset:192
	s_wait_xcnt 0x0
	s_or_b32 exec_lo, exec_lo, s17
	s_delay_alu instid0(SALU_CYCLE_1)
	s_mov_b32 s17, exec_lo
	v_cmpx_gt_u32_e64 s59, v104
	s_cbranch_execz .LBB289_1043
.LBB289_1246:                           ;   in Loop: Header=BB289_1032 Depth=2
	global_load_u8 v144, v[62:63], off offset:224
	s_wait_xcnt 0x0
	s_or_b32 exec_lo, exec_lo, s17
	s_delay_alu instid0(SALU_CYCLE_1)
	s_mov_b32 s17, exec_lo
	v_cmpx_gt_u32_e64 s59, v105
	s_cbranch_execz .LBB289_1044
.LBB289_1247:                           ;   in Loop: Header=BB289_1032 Depth=2
	global_load_u8 v138, v[62:63], off offset:256
	s_wait_xcnt 0x0
	s_or_b32 exec_lo, exec_lo, s17
	s_delay_alu instid0(SALU_CYCLE_1)
	s_mov_b32 s17, exec_lo
	v_cmpx_gt_u32_e64 s59, v106
	s_cbranch_execz .LBB289_1045
.LBB289_1248:                           ;   in Loop: Header=BB289_1032 Depth=2
	global_load_u8 v141, v[62:63], off offset:288
	s_wait_xcnt 0x0
	s_or_b32 exec_lo, exec_lo, s17
	s_delay_alu instid0(SALU_CYCLE_1)
	s_mov_b32 s17, exec_lo
	v_cmpx_gt_u32_e64 s59, v107
	s_cbranch_execz .LBB289_1046
.LBB289_1249:                           ;   in Loop: Header=BB289_1032 Depth=2
	global_load_u8 v139, v[62:63], off offset:320
	s_wait_xcnt 0x0
	s_or_b32 exec_lo, exec_lo, s17
	s_delay_alu instid0(SALU_CYCLE_1)
	s_mov_b32 s17, exec_lo
	v_cmpx_gt_u32_e64 s59, v108
	s_cbranch_execz .LBB289_1047
.LBB289_1250:                           ;   in Loop: Header=BB289_1032 Depth=2
	global_load_u8 v140, v[62:63], off offset:352
	s_wait_xcnt 0x0
	s_or_b32 exec_lo, exec_lo, s17
	s_delay_alu instid0(SALU_CYCLE_1)
	s_mov_b32 s17, exec_lo
	v_cmpx_gt_u32_e64 s59, v109
	s_cbranch_execz .LBB289_1048
.LBB289_1251:                           ;   in Loop: Header=BB289_1032 Depth=2
	global_load_u8 v64, v[62:63], off offset:384
	s_wait_xcnt 0x0
	s_or_b32 exec_lo, exec_lo, s17
	s_delay_alu instid0(SALU_CYCLE_1)
	s_mov_b32 s17, exec_lo
	v_cmpx_gt_u32_e64 s59, v110
	s_cbranch_execz .LBB289_1049
.LBB289_1252:                           ;   in Loop: Header=BB289_1032 Depth=2
	global_load_u8 v136, v[62:63], off offset:416
	s_wait_xcnt 0x0
	s_or_b32 exec_lo, exec_lo, s17
	s_delay_alu instid0(SALU_CYCLE_1)
	s_mov_b32 s17, exec_lo
	v_cmpx_gt_u32_e64 s59, v111
	s_cbranch_execz .LBB289_1050
.LBB289_1253:                           ;   in Loop: Header=BB289_1032 Depth=2
	global_load_u8 v65, v[62:63], off offset:448
	s_wait_xcnt 0x0
	s_or_b32 exec_lo, exec_lo, s17
	s_delay_alu instid0(SALU_CYCLE_1)
	s_mov_b32 s17, exec_lo
	v_cmpx_gt_u32_e64 s59, v112
	s_cbranch_execnz .LBB289_1051
	s_branch .LBB289_1052
.LBB289_1254:
	s_endpgm
	.section	.rodata,"a",@progbits
	.p2align	6, 0x0
	.amdhsa_kernel _ZN7rocprim17ROCPRIM_400000_NS6detail17trampoline_kernelINS0_14default_configENS1_36segmented_radix_sort_config_selectorIalEEZNS1_25segmented_radix_sort_implIS3_Lb1EPKaPaPKlPlN2at6native12_GLOBAL__N_18offset_tEEE10hipError_tPvRmT1_PNSt15iterator_traitsISK_E10value_typeET2_T3_PNSL_ISQ_E10value_typeET4_jRbjT5_SW_jjP12ihipStream_tbEUlT_E_NS1_11comp_targetILNS1_3genE0ELNS1_11target_archE4294967295ELNS1_3gpuE0ELNS1_3repE0EEENS1_30default_config_static_selectorELNS0_4arch9wavefront6targetE0EEEvSK_
		.amdhsa_group_segment_fixed_size 35344
		.amdhsa_private_segment_fixed_size 0
		.amdhsa_kernarg_size 352
		.amdhsa_user_sgpr_count 4
		.amdhsa_user_sgpr_dispatch_ptr 0
		.amdhsa_user_sgpr_queue_ptr 1
		.amdhsa_user_sgpr_kernarg_segment_ptr 1
		.amdhsa_user_sgpr_dispatch_id 0
		.amdhsa_user_sgpr_kernarg_preload_length 0
		.amdhsa_user_sgpr_kernarg_preload_offset 0
		.amdhsa_user_sgpr_private_segment_size 0
		.amdhsa_wavefront_size32 1
		.amdhsa_uses_dynamic_stack 0
		.amdhsa_enable_private_segment 0
		.amdhsa_system_sgpr_workgroup_id_x 1
		.amdhsa_system_sgpr_workgroup_id_y 1
		.amdhsa_system_sgpr_workgroup_id_z 0
		.amdhsa_system_sgpr_workgroup_info 0
		.amdhsa_system_vgpr_workitem_id 2
		.amdhsa_next_free_vgpr 315
		.amdhsa_next_free_sgpr 62
		.amdhsa_named_barrier_count 0
		.amdhsa_reserve_vcc 1
		.amdhsa_float_round_mode_32 0
		.amdhsa_float_round_mode_16_64 0
		.amdhsa_float_denorm_mode_32 3
		.amdhsa_float_denorm_mode_16_64 3
		.amdhsa_fp16_overflow 0
		.amdhsa_memory_ordered 1
		.amdhsa_forward_progress 1
		.amdhsa_inst_pref_size 255
		.amdhsa_round_robin_scheduling 0
		.amdhsa_exception_fp_ieee_invalid_op 0
		.amdhsa_exception_fp_denorm_src 0
		.amdhsa_exception_fp_ieee_div_zero 0
		.amdhsa_exception_fp_ieee_overflow 0
		.amdhsa_exception_fp_ieee_underflow 0
		.amdhsa_exception_fp_ieee_inexact 0
		.amdhsa_exception_int_div_zero 0
	.end_amdhsa_kernel
	.section	.text._ZN7rocprim17ROCPRIM_400000_NS6detail17trampoline_kernelINS0_14default_configENS1_36segmented_radix_sort_config_selectorIalEEZNS1_25segmented_radix_sort_implIS3_Lb1EPKaPaPKlPlN2at6native12_GLOBAL__N_18offset_tEEE10hipError_tPvRmT1_PNSt15iterator_traitsISK_E10value_typeET2_T3_PNSL_ISQ_E10value_typeET4_jRbjT5_SW_jjP12ihipStream_tbEUlT_E_NS1_11comp_targetILNS1_3genE0ELNS1_11target_archE4294967295ELNS1_3gpuE0ELNS1_3repE0EEENS1_30default_config_static_selectorELNS0_4arch9wavefront6targetE0EEEvSK_,"axG",@progbits,_ZN7rocprim17ROCPRIM_400000_NS6detail17trampoline_kernelINS0_14default_configENS1_36segmented_radix_sort_config_selectorIalEEZNS1_25segmented_radix_sort_implIS3_Lb1EPKaPaPKlPlN2at6native12_GLOBAL__N_18offset_tEEE10hipError_tPvRmT1_PNSt15iterator_traitsISK_E10value_typeET2_T3_PNSL_ISQ_E10value_typeET4_jRbjT5_SW_jjP12ihipStream_tbEUlT_E_NS1_11comp_targetILNS1_3genE0ELNS1_11target_archE4294967295ELNS1_3gpuE0ELNS1_3repE0EEENS1_30default_config_static_selectorELNS0_4arch9wavefront6targetE0EEEvSK_,comdat
.Lfunc_end289:
	.size	_ZN7rocprim17ROCPRIM_400000_NS6detail17trampoline_kernelINS0_14default_configENS1_36segmented_radix_sort_config_selectorIalEEZNS1_25segmented_radix_sort_implIS3_Lb1EPKaPaPKlPlN2at6native12_GLOBAL__N_18offset_tEEE10hipError_tPvRmT1_PNSt15iterator_traitsISK_E10value_typeET2_T3_PNSL_ISQ_E10value_typeET4_jRbjT5_SW_jjP12ihipStream_tbEUlT_E_NS1_11comp_targetILNS1_3genE0ELNS1_11target_archE4294967295ELNS1_3gpuE0ELNS1_3repE0EEENS1_30default_config_static_selectorELNS0_4arch9wavefront6targetE0EEEvSK_, .Lfunc_end289-_ZN7rocprim17ROCPRIM_400000_NS6detail17trampoline_kernelINS0_14default_configENS1_36segmented_radix_sort_config_selectorIalEEZNS1_25segmented_radix_sort_implIS3_Lb1EPKaPaPKlPlN2at6native12_GLOBAL__N_18offset_tEEE10hipError_tPvRmT1_PNSt15iterator_traitsISK_E10value_typeET2_T3_PNSL_ISQ_E10value_typeET4_jRbjT5_SW_jjP12ihipStream_tbEUlT_E_NS1_11comp_targetILNS1_3genE0ELNS1_11target_archE4294967295ELNS1_3gpuE0ELNS1_3repE0EEENS1_30default_config_static_selectorELNS0_4arch9wavefront6targetE0EEEvSK_
                                        ; -- End function
	.set _ZN7rocprim17ROCPRIM_400000_NS6detail17trampoline_kernelINS0_14default_configENS1_36segmented_radix_sort_config_selectorIalEEZNS1_25segmented_radix_sort_implIS3_Lb1EPKaPaPKlPlN2at6native12_GLOBAL__N_18offset_tEEE10hipError_tPvRmT1_PNSt15iterator_traitsISK_E10value_typeET2_T3_PNSL_ISQ_E10value_typeET4_jRbjT5_SW_jjP12ihipStream_tbEUlT_E_NS1_11comp_targetILNS1_3genE0ELNS1_11target_archE4294967295ELNS1_3gpuE0ELNS1_3repE0EEENS1_30default_config_static_selectorELNS0_4arch9wavefront6targetE0EEEvSK_.num_vgpr, max(204, .L_ZN7rocprim17ROCPRIM_400000_NS6detail40segmented_radix_sort_single_block_helperIalLj256ELj17ELb1EE4sortIPKaPaPKlPlEEbT_T0_T1_T2_jjjjRNS3_12storage_typeE.num_vgpr)
	.set _ZN7rocprim17ROCPRIM_400000_NS6detail17trampoline_kernelINS0_14default_configENS1_36segmented_radix_sort_config_selectorIalEEZNS1_25segmented_radix_sort_implIS3_Lb1EPKaPaPKlPlN2at6native12_GLOBAL__N_18offset_tEEE10hipError_tPvRmT1_PNSt15iterator_traitsISK_E10value_typeET2_T3_PNSL_ISQ_E10value_typeET4_jRbjT5_SW_jjP12ihipStream_tbEUlT_E_NS1_11comp_targetILNS1_3genE0ELNS1_11target_archE4294967295ELNS1_3gpuE0ELNS1_3repE0EEENS1_30default_config_static_selectorELNS0_4arch9wavefront6targetE0EEEvSK_.num_agpr, max(0, .L_ZN7rocprim17ROCPRIM_400000_NS6detail40segmented_radix_sort_single_block_helperIalLj256ELj17ELb1EE4sortIPKaPaPKlPlEEbT_T0_T1_T2_jjjjRNS3_12storage_typeE.num_agpr)
	.set _ZN7rocprim17ROCPRIM_400000_NS6detail17trampoline_kernelINS0_14default_configENS1_36segmented_radix_sort_config_selectorIalEEZNS1_25segmented_radix_sort_implIS3_Lb1EPKaPaPKlPlN2at6native12_GLOBAL__N_18offset_tEEE10hipError_tPvRmT1_PNSt15iterator_traitsISK_E10value_typeET2_T3_PNSL_ISQ_E10value_typeET4_jRbjT5_SW_jjP12ihipStream_tbEUlT_E_NS1_11comp_targetILNS1_3genE0ELNS1_11target_archE4294967295ELNS1_3gpuE0ELNS1_3repE0EEENS1_30default_config_static_selectorELNS0_4arch9wavefront6targetE0EEEvSK_.numbered_sgpr, max(62, .L_ZN7rocprim17ROCPRIM_400000_NS6detail40segmented_radix_sort_single_block_helperIalLj256ELj17ELb1EE4sortIPKaPaPKlPlEEbT_T0_T1_T2_jjjjRNS3_12storage_typeE.numbered_sgpr)
	.set _ZN7rocprim17ROCPRIM_400000_NS6detail17trampoline_kernelINS0_14default_configENS1_36segmented_radix_sort_config_selectorIalEEZNS1_25segmented_radix_sort_implIS3_Lb1EPKaPaPKlPlN2at6native12_GLOBAL__N_18offset_tEEE10hipError_tPvRmT1_PNSt15iterator_traitsISK_E10value_typeET2_T3_PNSL_ISQ_E10value_typeET4_jRbjT5_SW_jjP12ihipStream_tbEUlT_E_NS1_11comp_targetILNS1_3genE0ELNS1_11target_archE4294967295ELNS1_3gpuE0ELNS1_3repE0EEENS1_30default_config_static_selectorELNS0_4arch9wavefront6targetE0EEEvSK_.num_named_barrier, max(0, .L_ZN7rocprim17ROCPRIM_400000_NS6detail40segmented_radix_sort_single_block_helperIalLj256ELj17ELb1EE4sortIPKaPaPKlPlEEbT_T0_T1_T2_jjjjRNS3_12storage_typeE.num_named_barrier)
	.set _ZN7rocprim17ROCPRIM_400000_NS6detail17trampoline_kernelINS0_14default_configENS1_36segmented_radix_sort_config_selectorIalEEZNS1_25segmented_radix_sort_implIS3_Lb1EPKaPaPKlPlN2at6native12_GLOBAL__N_18offset_tEEE10hipError_tPvRmT1_PNSt15iterator_traitsISK_E10value_typeET2_T3_PNSL_ISQ_E10value_typeET4_jRbjT5_SW_jjP12ihipStream_tbEUlT_E_NS1_11comp_targetILNS1_3genE0ELNS1_11target_archE4294967295ELNS1_3gpuE0ELNS1_3repE0EEENS1_30default_config_static_selectorELNS0_4arch9wavefront6targetE0EEEvSK_.private_seg_size, 0+max(.L_ZN7rocprim17ROCPRIM_400000_NS6detail40segmented_radix_sort_single_block_helperIalLj256ELj17ELb1EE4sortIPKaPaPKlPlEEbT_T0_T1_T2_jjjjRNS3_12storage_typeE.private_seg_size)
	.set _ZN7rocprim17ROCPRIM_400000_NS6detail17trampoline_kernelINS0_14default_configENS1_36segmented_radix_sort_config_selectorIalEEZNS1_25segmented_radix_sort_implIS3_Lb1EPKaPaPKlPlN2at6native12_GLOBAL__N_18offset_tEEE10hipError_tPvRmT1_PNSt15iterator_traitsISK_E10value_typeET2_T3_PNSL_ISQ_E10value_typeET4_jRbjT5_SW_jjP12ihipStream_tbEUlT_E_NS1_11comp_targetILNS1_3genE0ELNS1_11target_archE4294967295ELNS1_3gpuE0ELNS1_3repE0EEENS1_30default_config_static_selectorELNS0_4arch9wavefront6targetE0EEEvSK_.uses_vcc, or(1, .L_ZN7rocprim17ROCPRIM_400000_NS6detail40segmented_radix_sort_single_block_helperIalLj256ELj17ELb1EE4sortIPKaPaPKlPlEEbT_T0_T1_T2_jjjjRNS3_12storage_typeE.uses_vcc)
	.set _ZN7rocprim17ROCPRIM_400000_NS6detail17trampoline_kernelINS0_14default_configENS1_36segmented_radix_sort_config_selectorIalEEZNS1_25segmented_radix_sort_implIS3_Lb1EPKaPaPKlPlN2at6native12_GLOBAL__N_18offset_tEEE10hipError_tPvRmT1_PNSt15iterator_traitsISK_E10value_typeET2_T3_PNSL_ISQ_E10value_typeET4_jRbjT5_SW_jjP12ihipStream_tbEUlT_E_NS1_11comp_targetILNS1_3genE0ELNS1_11target_archE4294967295ELNS1_3gpuE0ELNS1_3repE0EEENS1_30default_config_static_selectorELNS0_4arch9wavefront6targetE0EEEvSK_.uses_flat_scratch, or(0, .L_ZN7rocprim17ROCPRIM_400000_NS6detail40segmented_radix_sort_single_block_helperIalLj256ELj17ELb1EE4sortIPKaPaPKlPlEEbT_T0_T1_T2_jjjjRNS3_12storage_typeE.uses_flat_scratch)
	.set _ZN7rocprim17ROCPRIM_400000_NS6detail17trampoline_kernelINS0_14default_configENS1_36segmented_radix_sort_config_selectorIalEEZNS1_25segmented_radix_sort_implIS3_Lb1EPKaPaPKlPlN2at6native12_GLOBAL__N_18offset_tEEE10hipError_tPvRmT1_PNSt15iterator_traitsISK_E10value_typeET2_T3_PNSL_ISQ_E10value_typeET4_jRbjT5_SW_jjP12ihipStream_tbEUlT_E_NS1_11comp_targetILNS1_3genE0ELNS1_11target_archE4294967295ELNS1_3gpuE0ELNS1_3repE0EEENS1_30default_config_static_selectorELNS0_4arch9wavefront6targetE0EEEvSK_.has_dyn_sized_stack, or(0, .L_ZN7rocprim17ROCPRIM_400000_NS6detail40segmented_radix_sort_single_block_helperIalLj256ELj17ELb1EE4sortIPKaPaPKlPlEEbT_T0_T1_T2_jjjjRNS3_12storage_typeE.has_dyn_sized_stack)
	.set _ZN7rocprim17ROCPRIM_400000_NS6detail17trampoline_kernelINS0_14default_configENS1_36segmented_radix_sort_config_selectorIalEEZNS1_25segmented_radix_sort_implIS3_Lb1EPKaPaPKlPlN2at6native12_GLOBAL__N_18offset_tEEE10hipError_tPvRmT1_PNSt15iterator_traitsISK_E10value_typeET2_T3_PNSL_ISQ_E10value_typeET4_jRbjT5_SW_jjP12ihipStream_tbEUlT_E_NS1_11comp_targetILNS1_3genE0ELNS1_11target_archE4294967295ELNS1_3gpuE0ELNS1_3repE0EEENS1_30default_config_static_selectorELNS0_4arch9wavefront6targetE0EEEvSK_.has_recursion, or(0, .L_ZN7rocprim17ROCPRIM_400000_NS6detail40segmented_radix_sort_single_block_helperIalLj256ELj17ELb1EE4sortIPKaPaPKlPlEEbT_T0_T1_T2_jjjjRNS3_12storage_typeE.has_recursion)
	.set _ZN7rocprim17ROCPRIM_400000_NS6detail17trampoline_kernelINS0_14default_configENS1_36segmented_radix_sort_config_selectorIalEEZNS1_25segmented_radix_sort_implIS3_Lb1EPKaPaPKlPlN2at6native12_GLOBAL__N_18offset_tEEE10hipError_tPvRmT1_PNSt15iterator_traitsISK_E10value_typeET2_T3_PNSL_ISQ_E10value_typeET4_jRbjT5_SW_jjP12ihipStream_tbEUlT_E_NS1_11comp_targetILNS1_3genE0ELNS1_11target_archE4294967295ELNS1_3gpuE0ELNS1_3repE0EEENS1_30default_config_static_selectorELNS0_4arch9wavefront6targetE0EEEvSK_.has_indirect_call, or(0, .L_ZN7rocprim17ROCPRIM_400000_NS6detail40segmented_radix_sort_single_block_helperIalLj256ELj17ELb1EE4sortIPKaPaPKlPlEEbT_T0_T1_T2_jjjjRNS3_12storage_typeE.has_indirect_call)
	.section	.AMDGPU.csdata,"",@progbits
; Kernel info:
; codeLenInByte = 75668
; TotalNumSgprs: 64
; NumVgprs: 315
; ScratchSize: 0
; MemoryBound: 0
; FloatMode: 240
; IeeeMode: 1
; LDSByteSize: 35344 bytes/workgroup (compile time only)
; SGPRBlocks: 0
; VGPRBlocks: 19
; NumSGPRsForWavesPerEU: 64
; NumVGPRsForWavesPerEU: 315
; NamedBarCnt: 0
; Occupancy: 3
; WaveLimiterHint : 1
; COMPUTE_PGM_RSRC2:SCRATCH_EN: 0
; COMPUTE_PGM_RSRC2:USER_SGPR: 4
; COMPUTE_PGM_RSRC2:TRAP_HANDLER: 0
; COMPUTE_PGM_RSRC2:TGID_X_EN: 1
; COMPUTE_PGM_RSRC2:TGID_Y_EN: 1
; COMPUTE_PGM_RSRC2:TGID_Z_EN: 0
; COMPUTE_PGM_RSRC2:TIDIG_COMP_CNT: 2
	.section	.text._ZN7rocprim17ROCPRIM_400000_NS6detail17trampoline_kernelINS0_14default_configENS1_36segmented_radix_sort_config_selectorIalEEZNS1_25segmented_radix_sort_implIS3_Lb1EPKaPaPKlPlN2at6native12_GLOBAL__N_18offset_tEEE10hipError_tPvRmT1_PNSt15iterator_traitsISK_E10value_typeET2_T3_PNSL_ISQ_E10value_typeET4_jRbjT5_SW_jjP12ihipStream_tbEUlT_E_NS1_11comp_targetILNS1_3genE5ELNS1_11target_archE942ELNS1_3gpuE9ELNS1_3repE0EEENS1_30default_config_static_selectorELNS0_4arch9wavefront6targetE0EEEvSK_,"axG",@progbits,_ZN7rocprim17ROCPRIM_400000_NS6detail17trampoline_kernelINS0_14default_configENS1_36segmented_radix_sort_config_selectorIalEEZNS1_25segmented_radix_sort_implIS3_Lb1EPKaPaPKlPlN2at6native12_GLOBAL__N_18offset_tEEE10hipError_tPvRmT1_PNSt15iterator_traitsISK_E10value_typeET2_T3_PNSL_ISQ_E10value_typeET4_jRbjT5_SW_jjP12ihipStream_tbEUlT_E_NS1_11comp_targetILNS1_3genE5ELNS1_11target_archE942ELNS1_3gpuE9ELNS1_3repE0EEENS1_30default_config_static_selectorELNS0_4arch9wavefront6targetE0EEEvSK_,comdat
	.globl	_ZN7rocprim17ROCPRIM_400000_NS6detail17trampoline_kernelINS0_14default_configENS1_36segmented_radix_sort_config_selectorIalEEZNS1_25segmented_radix_sort_implIS3_Lb1EPKaPaPKlPlN2at6native12_GLOBAL__N_18offset_tEEE10hipError_tPvRmT1_PNSt15iterator_traitsISK_E10value_typeET2_T3_PNSL_ISQ_E10value_typeET4_jRbjT5_SW_jjP12ihipStream_tbEUlT_E_NS1_11comp_targetILNS1_3genE5ELNS1_11target_archE942ELNS1_3gpuE9ELNS1_3repE0EEENS1_30default_config_static_selectorELNS0_4arch9wavefront6targetE0EEEvSK_ ; -- Begin function _ZN7rocprim17ROCPRIM_400000_NS6detail17trampoline_kernelINS0_14default_configENS1_36segmented_radix_sort_config_selectorIalEEZNS1_25segmented_radix_sort_implIS3_Lb1EPKaPaPKlPlN2at6native12_GLOBAL__N_18offset_tEEE10hipError_tPvRmT1_PNSt15iterator_traitsISK_E10value_typeET2_T3_PNSL_ISQ_E10value_typeET4_jRbjT5_SW_jjP12ihipStream_tbEUlT_E_NS1_11comp_targetILNS1_3genE5ELNS1_11target_archE942ELNS1_3gpuE9ELNS1_3repE0EEENS1_30default_config_static_selectorELNS0_4arch9wavefront6targetE0EEEvSK_
	.p2align	8
	.type	_ZN7rocprim17ROCPRIM_400000_NS6detail17trampoline_kernelINS0_14default_configENS1_36segmented_radix_sort_config_selectorIalEEZNS1_25segmented_radix_sort_implIS3_Lb1EPKaPaPKlPlN2at6native12_GLOBAL__N_18offset_tEEE10hipError_tPvRmT1_PNSt15iterator_traitsISK_E10value_typeET2_T3_PNSL_ISQ_E10value_typeET4_jRbjT5_SW_jjP12ihipStream_tbEUlT_E_NS1_11comp_targetILNS1_3genE5ELNS1_11target_archE942ELNS1_3gpuE9ELNS1_3repE0EEENS1_30default_config_static_selectorELNS0_4arch9wavefront6targetE0EEEvSK_,@function
_ZN7rocprim17ROCPRIM_400000_NS6detail17trampoline_kernelINS0_14default_configENS1_36segmented_radix_sort_config_selectorIalEEZNS1_25segmented_radix_sort_implIS3_Lb1EPKaPaPKlPlN2at6native12_GLOBAL__N_18offset_tEEE10hipError_tPvRmT1_PNSt15iterator_traitsISK_E10value_typeET2_T3_PNSL_ISQ_E10value_typeET4_jRbjT5_SW_jjP12ihipStream_tbEUlT_E_NS1_11comp_targetILNS1_3genE5ELNS1_11target_archE942ELNS1_3gpuE9ELNS1_3repE0EEENS1_30default_config_static_selectorELNS0_4arch9wavefront6targetE0EEEvSK_: ; @_ZN7rocprim17ROCPRIM_400000_NS6detail17trampoline_kernelINS0_14default_configENS1_36segmented_radix_sort_config_selectorIalEEZNS1_25segmented_radix_sort_implIS3_Lb1EPKaPaPKlPlN2at6native12_GLOBAL__N_18offset_tEEE10hipError_tPvRmT1_PNSt15iterator_traitsISK_E10value_typeET2_T3_PNSL_ISQ_E10value_typeET4_jRbjT5_SW_jjP12ihipStream_tbEUlT_E_NS1_11comp_targetILNS1_3genE5ELNS1_11target_archE942ELNS1_3gpuE9ELNS1_3repE0EEENS1_30default_config_static_selectorELNS0_4arch9wavefront6targetE0EEEvSK_
; %bb.0:
	.section	.rodata,"a",@progbits
	.p2align	6, 0x0
	.amdhsa_kernel _ZN7rocprim17ROCPRIM_400000_NS6detail17trampoline_kernelINS0_14default_configENS1_36segmented_radix_sort_config_selectorIalEEZNS1_25segmented_radix_sort_implIS3_Lb1EPKaPaPKlPlN2at6native12_GLOBAL__N_18offset_tEEE10hipError_tPvRmT1_PNSt15iterator_traitsISK_E10value_typeET2_T3_PNSL_ISQ_E10value_typeET4_jRbjT5_SW_jjP12ihipStream_tbEUlT_E_NS1_11comp_targetILNS1_3genE5ELNS1_11target_archE942ELNS1_3gpuE9ELNS1_3repE0EEENS1_30default_config_static_selectorELNS0_4arch9wavefront6targetE0EEEvSK_
		.amdhsa_group_segment_fixed_size 0
		.amdhsa_private_segment_fixed_size 0
		.amdhsa_kernarg_size 96
		.amdhsa_user_sgpr_count 2
		.amdhsa_user_sgpr_dispatch_ptr 0
		.amdhsa_user_sgpr_queue_ptr 0
		.amdhsa_user_sgpr_kernarg_segment_ptr 1
		.amdhsa_user_sgpr_dispatch_id 0
		.amdhsa_user_sgpr_kernarg_preload_length 0
		.amdhsa_user_sgpr_kernarg_preload_offset 0
		.amdhsa_user_sgpr_private_segment_size 0
		.amdhsa_wavefront_size32 1
		.amdhsa_uses_dynamic_stack 0
		.amdhsa_enable_private_segment 0
		.amdhsa_system_sgpr_workgroup_id_x 1
		.amdhsa_system_sgpr_workgroup_id_y 0
		.amdhsa_system_sgpr_workgroup_id_z 0
		.amdhsa_system_sgpr_workgroup_info 0
		.amdhsa_system_vgpr_workitem_id 0
		.amdhsa_next_free_vgpr 1
		.amdhsa_next_free_sgpr 1
		.amdhsa_named_barrier_count 0
		.amdhsa_reserve_vcc 0
		.amdhsa_float_round_mode_32 0
		.amdhsa_float_round_mode_16_64 0
		.amdhsa_float_denorm_mode_32 3
		.amdhsa_float_denorm_mode_16_64 3
		.amdhsa_fp16_overflow 0
		.amdhsa_memory_ordered 1
		.amdhsa_forward_progress 1
		.amdhsa_inst_pref_size 0
		.amdhsa_round_robin_scheduling 0
		.amdhsa_exception_fp_ieee_invalid_op 0
		.amdhsa_exception_fp_denorm_src 0
		.amdhsa_exception_fp_ieee_div_zero 0
		.amdhsa_exception_fp_ieee_overflow 0
		.amdhsa_exception_fp_ieee_underflow 0
		.amdhsa_exception_fp_ieee_inexact 0
		.amdhsa_exception_int_div_zero 0
	.end_amdhsa_kernel
	.section	.text._ZN7rocprim17ROCPRIM_400000_NS6detail17trampoline_kernelINS0_14default_configENS1_36segmented_radix_sort_config_selectorIalEEZNS1_25segmented_radix_sort_implIS3_Lb1EPKaPaPKlPlN2at6native12_GLOBAL__N_18offset_tEEE10hipError_tPvRmT1_PNSt15iterator_traitsISK_E10value_typeET2_T3_PNSL_ISQ_E10value_typeET4_jRbjT5_SW_jjP12ihipStream_tbEUlT_E_NS1_11comp_targetILNS1_3genE5ELNS1_11target_archE942ELNS1_3gpuE9ELNS1_3repE0EEENS1_30default_config_static_selectorELNS0_4arch9wavefront6targetE0EEEvSK_,"axG",@progbits,_ZN7rocprim17ROCPRIM_400000_NS6detail17trampoline_kernelINS0_14default_configENS1_36segmented_radix_sort_config_selectorIalEEZNS1_25segmented_radix_sort_implIS3_Lb1EPKaPaPKlPlN2at6native12_GLOBAL__N_18offset_tEEE10hipError_tPvRmT1_PNSt15iterator_traitsISK_E10value_typeET2_T3_PNSL_ISQ_E10value_typeET4_jRbjT5_SW_jjP12ihipStream_tbEUlT_E_NS1_11comp_targetILNS1_3genE5ELNS1_11target_archE942ELNS1_3gpuE9ELNS1_3repE0EEENS1_30default_config_static_selectorELNS0_4arch9wavefront6targetE0EEEvSK_,comdat
.Lfunc_end290:
	.size	_ZN7rocprim17ROCPRIM_400000_NS6detail17trampoline_kernelINS0_14default_configENS1_36segmented_radix_sort_config_selectorIalEEZNS1_25segmented_radix_sort_implIS3_Lb1EPKaPaPKlPlN2at6native12_GLOBAL__N_18offset_tEEE10hipError_tPvRmT1_PNSt15iterator_traitsISK_E10value_typeET2_T3_PNSL_ISQ_E10value_typeET4_jRbjT5_SW_jjP12ihipStream_tbEUlT_E_NS1_11comp_targetILNS1_3genE5ELNS1_11target_archE942ELNS1_3gpuE9ELNS1_3repE0EEENS1_30default_config_static_selectorELNS0_4arch9wavefront6targetE0EEEvSK_, .Lfunc_end290-_ZN7rocprim17ROCPRIM_400000_NS6detail17trampoline_kernelINS0_14default_configENS1_36segmented_radix_sort_config_selectorIalEEZNS1_25segmented_radix_sort_implIS3_Lb1EPKaPaPKlPlN2at6native12_GLOBAL__N_18offset_tEEE10hipError_tPvRmT1_PNSt15iterator_traitsISK_E10value_typeET2_T3_PNSL_ISQ_E10value_typeET4_jRbjT5_SW_jjP12ihipStream_tbEUlT_E_NS1_11comp_targetILNS1_3genE5ELNS1_11target_archE942ELNS1_3gpuE9ELNS1_3repE0EEENS1_30default_config_static_selectorELNS0_4arch9wavefront6targetE0EEEvSK_
                                        ; -- End function
	.set _ZN7rocprim17ROCPRIM_400000_NS6detail17trampoline_kernelINS0_14default_configENS1_36segmented_radix_sort_config_selectorIalEEZNS1_25segmented_radix_sort_implIS3_Lb1EPKaPaPKlPlN2at6native12_GLOBAL__N_18offset_tEEE10hipError_tPvRmT1_PNSt15iterator_traitsISK_E10value_typeET2_T3_PNSL_ISQ_E10value_typeET4_jRbjT5_SW_jjP12ihipStream_tbEUlT_E_NS1_11comp_targetILNS1_3genE5ELNS1_11target_archE942ELNS1_3gpuE9ELNS1_3repE0EEENS1_30default_config_static_selectorELNS0_4arch9wavefront6targetE0EEEvSK_.num_vgpr, 0
	.set _ZN7rocprim17ROCPRIM_400000_NS6detail17trampoline_kernelINS0_14default_configENS1_36segmented_radix_sort_config_selectorIalEEZNS1_25segmented_radix_sort_implIS3_Lb1EPKaPaPKlPlN2at6native12_GLOBAL__N_18offset_tEEE10hipError_tPvRmT1_PNSt15iterator_traitsISK_E10value_typeET2_T3_PNSL_ISQ_E10value_typeET4_jRbjT5_SW_jjP12ihipStream_tbEUlT_E_NS1_11comp_targetILNS1_3genE5ELNS1_11target_archE942ELNS1_3gpuE9ELNS1_3repE0EEENS1_30default_config_static_selectorELNS0_4arch9wavefront6targetE0EEEvSK_.num_agpr, 0
	.set _ZN7rocprim17ROCPRIM_400000_NS6detail17trampoline_kernelINS0_14default_configENS1_36segmented_radix_sort_config_selectorIalEEZNS1_25segmented_radix_sort_implIS3_Lb1EPKaPaPKlPlN2at6native12_GLOBAL__N_18offset_tEEE10hipError_tPvRmT1_PNSt15iterator_traitsISK_E10value_typeET2_T3_PNSL_ISQ_E10value_typeET4_jRbjT5_SW_jjP12ihipStream_tbEUlT_E_NS1_11comp_targetILNS1_3genE5ELNS1_11target_archE942ELNS1_3gpuE9ELNS1_3repE0EEENS1_30default_config_static_selectorELNS0_4arch9wavefront6targetE0EEEvSK_.numbered_sgpr, 0
	.set _ZN7rocprim17ROCPRIM_400000_NS6detail17trampoline_kernelINS0_14default_configENS1_36segmented_radix_sort_config_selectorIalEEZNS1_25segmented_radix_sort_implIS3_Lb1EPKaPaPKlPlN2at6native12_GLOBAL__N_18offset_tEEE10hipError_tPvRmT1_PNSt15iterator_traitsISK_E10value_typeET2_T3_PNSL_ISQ_E10value_typeET4_jRbjT5_SW_jjP12ihipStream_tbEUlT_E_NS1_11comp_targetILNS1_3genE5ELNS1_11target_archE942ELNS1_3gpuE9ELNS1_3repE0EEENS1_30default_config_static_selectorELNS0_4arch9wavefront6targetE0EEEvSK_.num_named_barrier, 0
	.set _ZN7rocprim17ROCPRIM_400000_NS6detail17trampoline_kernelINS0_14default_configENS1_36segmented_radix_sort_config_selectorIalEEZNS1_25segmented_radix_sort_implIS3_Lb1EPKaPaPKlPlN2at6native12_GLOBAL__N_18offset_tEEE10hipError_tPvRmT1_PNSt15iterator_traitsISK_E10value_typeET2_T3_PNSL_ISQ_E10value_typeET4_jRbjT5_SW_jjP12ihipStream_tbEUlT_E_NS1_11comp_targetILNS1_3genE5ELNS1_11target_archE942ELNS1_3gpuE9ELNS1_3repE0EEENS1_30default_config_static_selectorELNS0_4arch9wavefront6targetE0EEEvSK_.private_seg_size, 0
	.set _ZN7rocprim17ROCPRIM_400000_NS6detail17trampoline_kernelINS0_14default_configENS1_36segmented_radix_sort_config_selectorIalEEZNS1_25segmented_radix_sort_implIS3_Lb1EPKaPaPKlPlN2at6native12_GLOBAL__N_18offset_tEEE10hipError_tPvRmT1_PNSt15iterator_traitsISK_E10value_typeET2_T3_PNSL_ISQ_E10value_typeET4_jRbjT5_SW_jjP12ihipStream_tbEUlT_E_NS1_11comp_targetILNS1_3genE5ELNS1_11target_archE942ELNS1_3gpuE9ELNS1_3repE0EEENS1_30default_config_static_selectorELNS0_4arch9wavefront6targetE0EEEvSK_.uses_vcc, 0
	.set _ZN7rocprim17ROCPRIM_400000_NS6detail17trampoline_kernelINS0_14default_configENS1_36segmented_radix_sort_config_selectorIalEEZNS1_25segmented_radix_sort_implIS3_Lb1EPKaPaPKlPlN2at6native12_GLOBAL__N_18offset_tEEE10hipError_tPvRmT1_PNSt15iterator_traitsISK_E10value_typeET2_T3_PNSL_ISQ_E10value_typeET4_jRbjT5_SW_jjP12ihipStream_tbEUlT_E_NS1_11comp_targetILNS1_3genE5ELNS1_11target_archE942ELNS1_3gpuE9ELNS1_3repE0EEENS1_30default_config_static_selectorELNS0_4arch9wavefront6targetE0EEEvSK_.uses_flat_scratch, 0
	.set _ZN7rocprim17ROCPRIM_400000_NS6detail17trampoline_kernelINS0_14default_configENS1_36segmented_radix_sort_config_selectorIalEEZNS1_25segmented_radix_sort_implIS3_Lb1EPKaPaPKlPlN2at6native12_GLOBAL__N_18offset_tEEE10hipError_tPvRmT1_PNSt15iterator_traitsISK_E10value_typeET2_T3_PNSL_ISQ_E10value_typeET4_jRbjT5_SW_jjP12ihipStream_tbEUlT_E_NS1_11comp_targetILNS1_3genE5ELNS1_11target_archE942ELNS1_3gpuE9ELNS1_3repE0EEENS1_30default_config_static_selectorELNS0_4arch9wavefront6targetE0EEEvSK_.has_dyn_sized_stack, 0
	.set _ZN7rocprim17ROCPRIM_400000_NS6detail17trampoline_kernelINS0_14default_configENS1_36segmented_radix_sort_config_selectorIalEEZNS1_25segmented_radix_sort_implIS3_Lb1EPKaPaPKlPlN2at6native12_GLOBAL__N_18offset_tEEE10hipError_tPvRmT1_PNSt15iterator_traitsISK_E10value_typeET2_T3_PNSL_ISQ_E10value_typeET4_jRbjT5_SW_jjP12ihipStream_tbEUlT_E_NS1_11comp_targetILNS1_3genE5ELNS1_11target_archE942ELNS1_3gpuE9ELNS1_3repE0EEENS1_30default_config_static_selectorELNS0_4arch9wavefront6targetE0EEEvSK_.has_recursion, 0
	.set _ZN7rocprim17ROCPRIM_400000_NS6detail17trampoline_kernelINS0_14default_configENS1_36segmented_radix_sort_config_selectorIalEEZNS1_25segmented_radix_sort_implIS3_Lb1EPKaPaPKlPlN2at6native12_GLOBAL__N_18offset_tEEE10hipError_tPvRmT1_PNSt15iterator_traitsISK_E10value_typeET2_T3_PNSL_ISQ_E10value_typeET4_jRbjT5_SW_jjP12ihipStream_tbEUlT_E_NS1_11comp_targetILNS1_3genE5ELNS1_11target_archE942ELNS1_3gpuE9ELNS1_3repE0EEENS1_30default_config_static_selectorELNS0_4arch9wavefront6targetE0EEEvSK_.has_indirect_call, 0
	.section	.AMDGPU.csdata,"",@progbits
; Kernel info:
; codeLenInByte = 0
; TotalNumSgprs: 0
; NumVgprs: 0
; ScratchSize: 0
; MemoryBound: 0
; FloatMode: 240
; IeeeMode: 1
; LDSByteSize: 0 bytes/workgroup (compile time only)
; SGPRBlocks: 0
; VGPRBlocks: 0
; NumSGPRsForWavesPerEU: 1
; NumVGPRsForWavesPerEU: 1
; NamedBarCnt: 0
; Occupancy: 16
; WaveLimiterHint : 0
; COMPUTE_PGM_RSRC2:SCRATCH_EN: 0
; COMPUTE_PGM_RSRC2:USER_SGPR: 2
; COMPUTE_PGM_RSRC2:TRAP_HANDLER: 0
; COMPUTE_PGM_RSRC2:TGID_X_EN: 1
; COMPUTE_PGM_RSRC2:TGID_Y_EN: 0
; COMPUTE_PGM_RSRC2:TGID_Z_EN: 0
; COMPUTE_PGM_RSRC2:TIDIG_COMP_CNT: 0
	.section	.text._ZN7rocprim17ROCPRIM_400000_NS6detail17trampoline_kernelINS0_14default_configENS1_36segmented_radix_sort_config_selectorIalEEZNS1_25segmented_radix_sort_implIS3_Lb1EPKaPaPKlPlN2at6native12_GLOBAL__N_18offset_tEEE10hipError_tPvRmT1_PNSt15iterator_traitsISK_E10value_typeET2_T3_PNSL_ISQ_E10value_typeET4_jRbjT5_SW_jjP12ihipStream_tbEUlT_E_NS1_11comp_targetILNS1_3genE4ELNS1_11target_archE910ELNS1_3gpuE8ELNS1_3repE0EEENS1_30default_config_static_selectorELNS0_4arch9wavefront6targetE0EEEvSK_,"axG",@progbits,_ZN7rocprim17ROCPRIM_400000_NS6detail17trampoline_kernelINS0_14default_configENS1_36segmented_radix_sort_config_selectorIalEEZNS1_25segmented_radix_sort_implIS3_Lb1EPKaPaPKlPlN2at6native12_GLOBAL__N_18offset_tEEE10hipError_tPvRmT1_PNSt15iterator_traitsISK_E10value_typeET2_T3_PNSL_ISQ_E10value_typeET4_jRbjT5_SW_jjP12ihipStream_tbEUlT_E_NS1_11comp_targetILNS1_3genE4ELNS1_11target_archE910ELNS1_3gpuE8ELNS1_3repE0EEENS1_30default_config_static_selectorELNS0_4arch9wavefront6targetE0EEEvSK_,comdat
	.globl	_ZN7rocprim17ROCPRIM_400000_NS6detail17trampoline_kernelINS0_14default_configENS1_36segmented_radix_sort_config_selectorIalEEZNS1_25segmented_radix_sort_implIS3_Lb1EPKaPaPKlPlN2at6native12_GLOBAL__N_18offset_tEEE10hipError_tPvRmT1_PNSt15iterator_traitsISK_E10value_typeET2_T3_PNSL_ISQ_E10value_typeET4_jRbjT5_SW_jjP12ihipStream_tbEUlT_E_NS1_11comp_targetILNS1_3genE4ELNS1_11target_archE910ELNS1_3gpuE8ELNS1_3repE0EEENS1_30default_config_static_selectorELNS0_4arch9wavefront6targetE0EEEvSK_ ; -- Begin function _ZN7rocprim17ROCPRIM_400000_NS6detail17trampoline_kernelINS0_14default_configENS1_36segmented_radix_sort_config_selectorIalEEZNS1_25segmented_radix_sort_implIS3_Lb1EPKaPaPKlPlN2at6native12_GLOBAL__N_18offset_tEEE10hipError_tPvRmT1_PNSt15iterator_traitsISK_E10value_typeET2_T3_PNSL_ISQ_E10value_typeET4_jRbjT5_SW_jjP12ihipStream_tbEUlT_E_NS1_11comp_targetILNS1_3genE4ELNS1_11target_archE910ELNS1_3gpuE8ELNS1_3repE0EEENS1_30default_config_static_selectorELNS0_4arch9wavefront6targetE0EEEvSK_
	.p2align	8
	.type	_ZN7rocprim17ROCPRIM_400000_NS6detail17trampoline_kernelINS0_14default_configENS1_36segmented_radix_sort_config_selectorIalEEZNS1_25segmented_radix_sort_implIS3_Lb1EPKaPaPKlPlN2at6native12_GLOBAL__N_18offset_tEEE10hipError_tPvRmT1_PNSt15iterator_traitsISK_E10value_typeET2_T3_PNSL_ISQ_E10value_typeET4_jRbjT5_SW_jjP12ihipStream_tbEUlT_E_NS1_11comp_targetILNS1_3genE4ELNS1_11target_archE910ELNS1_3gpuE8ELNS1_3repE0EEENS1_30default_config_static_selectorELNS0_4arch9wavefront6targetE0EEEvSK_,@function
_ZN7rocprim17ROCPRIM_400000_NS6detail17trampoline_kernelINS0_14default_configENS1_36segmented_radix_sort_config_selectorIalEEZNS1_25segmented_radix_sort_implIS3_Lb1EPKaPaPKlPlN2at6native12_GLOBAL__N_18offset_tEEE10hipError_tPvRmT1_PNSt15iterator_traitsISK_E10value_typeET2_T3_PNSL_ISQ_E10value_typeET4_jRbjT5_SW_jjP12ihipStream_tbEUlT_E_NS1_11comp_targetILNS1_3genE4ELNS1_11target_archE910ELNS1_3gpuE8ELNS1_3repE0EEENS1_30default_config_static_selectorELNS0_4arch9wavefront6targetE0EEEvSK_: ; @_ZN7rocprim17ROCPRIM_400000_NS6detail17trampoline_kernelINS0_14default_configENS1_36segmented_radix_sort_config_selectorIalEEZNS1_25segmented_radix_sort_implIS3_Lb1EPKaPaPKlPlN2at6native12_GLOBAL__N_18offset_tEEE10hipError_tPvRmT1_PNSt15iterator_traitsISK_E10value_typeET2_T3_PNSL_ISQ_E10value_typeET4_jRbjT5_SW_jjP12ihipStream_tbEUlT_E_NS1_11comp_targetILNS1_3genE4ELNS1_11target_archE910ELNS1_3gpuE8ELNS1_3repE0EEENS1_30default_config_static_selectorELNS0_4arch9wavefront6targetE0EEEvSK_
; %bb.0:
	.section	.rodata,"a",@progbits
	.p2align	6, 0x0
	.amdhsa_kernel _ZN7rocprim17ROCPRIM_400000_NS6detail17trampoline_kernelINS0_14default_configENS1_36segmented_radix_sort_config_selectorIalEEZNS1_25segmented_radix_sort_implIS3_Lb1EPKaPaPKlPlN2at6native12_GLOBAL__N_18offset_tEEE10hipError_tPvRmT1_PNSt15iterator_traitsISK_E10value_typeET2_T3_PNSL_ISQ_E10value_typeET4_jRbjT5_SW_jjP12ihipStream_tbEUlT_E_NS1_11comp_targetILNS1_3genE4ELNS1_11target_archE910ELNS1_3gpuE8ELNS1_3repE0EEENS1_30default_config_static_selectorELNS0_4arch9wavefront6targetE0EEEvSK_
		.amdhsa_group_segment_fixed_size 0
		.amdhsa_private_segment_fixed_size 0
		.amdhsa_kernarg_size 96
		.amdhsa_user_sgpr_count 2
		.amdhsa_user_sgpr_dispatch_ptr 0
		.amdhsa_user_sgpr_queue_ptr 0
		.amdhsa_user_sgpr_kernarg_segment_ptr 1
		.amdhsa_user_sgpr_dispatch_id 0
		.amdhsa_user_sgpr_kernarg_preload_length 0
		.amdhsa_user_sgpr_kernarg_preload_offset 0
		.amdhsa_user_sgpr_private_segment_size 0
		.amdhsa_wavefront_size32 1
		.amdhsa_uses_dynamic_stack 0
		.amdhsa_enable_private_segment 0
		.amdhsa_system_sgpr_workgroup_id_x 1
		.amdhsa_system_sgpr_workgroup_id_y 0
		.amdhsa_system_sgpr_workgroup_id_z 0
		.amdhsa_system_sgpr_workgroup_info 0
		.amdhsa_system_vgpr_workitem_id 0
		.amdhsa_next_free_vgpr 1
		.amdhsa_next_free_sgpr 1
		.amdhsa_named_barrier_count 0
		.amdhsa_reserve_vcc 0
		.amdhsa_float_round_mode_32 0
		.amdhsa_float_round_mode_16_64 0
		.amdhsa_float_denorm_mode_32 3
		.amdhsa_float_denorm_mode_16_64 3
		.amdhsa_fp16_overflow 0
		.amdhsa_memory_ordered 1
		.amdhsa_forward_progress 1
		.amdhsa_inst_pref_size 0
		.amdhsa_round_robin_scheduling 0
		.amdhsa_exception_fp_ieee_invalid_op 0
		.amdhsa_exception_fp_denorm_src 0
		.amdhsa_exception_fp_ieee_div_zero 0
		.amdhsa_exception_fp_ieee_overflow 0
		.amdhsa_exception_fp_ieee_underflow 0
		.amdhsa_exception_fp_ieee_inexact 0
		.amdhsa_exception_int_div_zero 0
	.end_amdhsa_kernel
	.section	.text._ZN7rocprim17ROCPRIM_400000_NS6detail17trampoline_kernelINS0_14default_configENS1_36segmented_radix_sort_config_selectorIalEEZNS1_25segmented_radix_sort_implIS3_Lb1EPKaPaPKlPlN2at6native12_GLOBAL__N_18offset_tEEE10hipError_tPvRmT1_PNSt15iterator_traitsISK_E10value_typeET2_T3_PNSL_ISQ_E10value_typeET4_jRbjT5_SW_jjP12ihipStream_tbEUlT_E_NS1_11comp_targetILNS1_3genE4ELNS1_11target_archE910ELNS1_3gpuE8ELNS1_3repE0EEENS1_30default_config_static_selectorELNS0_4arch9wavefront6targetE0EEEvSK_,"axG",@progbits,_ZN7rocprim17ROCPRIM_400000_NS6detail17trampoline_kernelINS0_14default_configENS1_36segmented_radix_sort_config_selectorIalEEZNS1_25segmented_radix_sort_implIS3_Lb1EPKaPaPKlPlN2at6native12_GLOBAL__N_18offset_tEEE10hipError_tPvRmT1_PNSt15iterator_traitsISK_E10value_typeET2_T3_PNSL_ISQ_E10value_typeET4_jRbjT5_SW_jjP12ihipStream_tbEUlT_E_NS1_11comp_targetILNS1_3genE4ELNS1_11target_archE910ELNS1_3gpuE8ELNS1_3repE0EEENS1_30default_config_static_selectorELNS0_4arch9wavefront6targetE0EEEvSK_,comdat
.Lfunc_end291:
	.size	_ZN7rocprim17ROCPRIM_400000_NS6detail17trampoline_kernelINS0_14default_configENS1_36segmented_radix_sort_config_selectorIalEEZNS1_25segmented_radix_sort_implIS3_Lb1EPKaPaPKlPlN2at6native12_GLOBAL__N_18offset_tEEE10hipError_tPvRmT1_PNSt15iterator_traitsISK_E10value_typeET2_T3_PNSL_ISQ_E10value_typeET4_jRbjT5_SW_jjP12ihipStream_tbEUlT_E_NS1_11comp_targetILNS1_3genE4ELNS1_11target_archE910ELNS1_3gpuE8ELNS1_3repE0EEENS1_30default_config_static_selectorELNS0_4arch9wavefront6targetE0EEEvSK_, .Lfunc_end291-_ZN7rocprim17ROCPRIM_400000_NS6detail17trampoline_kernelINS0_14default_configENS1_36segmented_radix_sort_config_selectorIalEEZNS1_25segmented_radix_sort_implIS3_Lb1EPKaPaPKlPlN2at6native12_GLOBAL__N_18offset_tEEE10hipError_tPvRmT1_PNSt15iterator_traitsISK_E10value_typeET2_T3_PNSL_ISQ_E10value_typeET4_jRbjT5_SW_jjP12ihipStream_tbEUlT_E_NS1_11comp_targetILNS1_3genE4ELNS1_11target_archE910ELNS1_3gpuE8ELNS1_3repE0EEENS1_30default_config_static_selectorELNS0_4arch9wavefront6targetE0EEEvSK_
                                        ; -- End function
	.set _ZN7rocprim17ROCPRIM_400000_NS6detail17trampoline_kernelINS0_14default_configENS1_36segmented_radix_sort_config_selectorIalEEZNS1_25segmented_radix_sort_implIS3_Lb1EPKaPaPKlPlN2at6native12_GLOBAL__N_18offset_tEEE10hipError_tPvRmT1_PNSt15iterator_traitsISK_E10value_typeET2_T3_PNSL_ISQ_E10value_typeET4_jRbjT5_SW_jjP12ihipStream_tbEUlT_E_NS1_11comp_targetILNS1_3genE4ELNS1_11target_archE910ELNS1_3gpuE8ELNS1_3repE0EEENS1_30default_config_static_selectorELNS0_4arch9wavefront6targetE0EEEvSK_.num_vgpr, 0
	.set _ZN7rocprim17ROCPRIM_400000_NS6detail17trampoline_kernelINS0_14default_configENS1_36segmented_radix_sort_config_selectorIalEEZNS1_25segmented_radix_sort_implIS3_Lb1EPKaPaPKlPlN2at6native12_GLOBAL__N_18offset_tEEE10hipError_tPvRmT1_PNSt15iterator_traitsISK_E10value_typeET2_T3_PNSL_ISQ_E10value_typeET4_jRbjT5_SW_jjP12ihipStream_tbEUlT_E_NS1_11comp_targetILNS1_3genE4ELNS1_11target_archE910ELNS1_3gpuE8ELNS1_3repE0EEENS1_30default_config_static_selectorELNS0_4arch9wavefront6targetE0EEEvSK_.num_agpr, 0
	.set _ZN7rocprim17ROCPRIM_400000_NS6detail17trampoline_kernelINS0_14default_configENS1_36segmented_radix_sort_config_selectorIalEEZNS1_25segmented_radix_sort_implIS3_Lb1EPKaPaPKlPlN2at6native12_GLOBAL__N_18offset_tEEE10hipError_tPvRmT1_PNSt15iterator_traitsISK_E10value_typeET2_T3_PNSL_ISQ_E10value_typeET4_jRbjT5_SW_jjP12ihipStream_tbEUlT_E_NS1_11comp_targetILNS1_3genE4ELNS1_11target_archE910ELNS1_3gpuE8ELNS1_3repE0EEENS1_30default_config_static_selectorELNS0_4arch9wavefront6targetE0EEEvSK_.numbered_sgpr, 0
	.set _ZN7rocprim17ROCPRIM_400000_NS6detail17trampoline_kernelINS0_14default_configENS1_36segmented_radix_sort_config_selectorIalEEZNS1_25segmented_radix_sort_implIS3_Lb1EPKaPaPKlPlN2at6native12_GLOBAL__N_18offset_tEEE10hipError_tPvRmT1_PNSt15iterator_traitsISK_E10value_typeET2_T3_PNSL_ISQ_E10value_typeET4_jRbjT5_SW_jjP12ihipStream_tbEUlT_E_NS1_11comp_targetILNS1_3genE4ELNS1_11target_archE910ELNS1_3gpuE8ELNS1_3repE0EEENS1_30default_config_static_selectorELNS0_4arch9wavefront6targetE0EEEvSK_.num_named_barrier, 0
	.set _ZN7rocprim17ROCPRIM_400000_NS6detail17trampoline_kernelINS0_14default_configENS1_36segmented_radix_sort_config_selectorIalEEZNS1_25segmented_radix_sort_implIS3_Lb1EPKaPaPKlPlN2at6native12_GLOBAL__N_18offset_tEEE10hipError_tPvRmT1_PNSt15iterator_traitsISK_E10value_typeET2_T3_PNSL_ISQ_E10value_typeET4_jRbjT5_SW_jjP12ihipStream_tbEUlT_E_NS1_11comp_targetILNS1_3genE4ELNS1_11target_archE910ELNS1_3gpuE8ELNS1_3repE0EEENS1_30default_config_static_selectorELNS0_4arch9wavefront6targetE0EEEvSK_.private_seg_size, 0
	.set _ZN7rocprim17ROCPRIM_400000_NS6detail17trampoline_kernelINS0_14default_configENS1_36segmented_radix_sort_config_selectorIalEEZNS1_25segmented_radix_sort_implIS3_Lb1EPKaPaPKlPlN2at6native12_GLOBAL__N_18offset_tEEE10hipError_tPvRmT1_PNSt15iterator_traitsISK_E10value_typeET2_T3_PNSL_ISQ_E10value_typeET4_jRbjT5_SW_jjP12ihipStream_tbEUlT_E_NS1_11comp_targetILNS1_3genE4ELNS1_11target_archE910ELNS1_3gpuE8ELNS1_3repE0EEENS1_30default_config_static_selectorELNS0_4arch9wavefront6targetE0EEEvSK_.uses_vcc, 0
	.set _ZN7rocprim17ROCPRIM_400000_NS6detail17trampoline_kernelINS0_14default_configENS1_36segmented_radix_sort_config_selectorIalEEZNS1_25segmented_radix_sort_implIS3_Lb1EPKaPaPKlPlN2at6native12_GLOBAL__N_18offset_tEEE10hipError_tPvRmT1_PNSt15iterator_traitsISK_E10value_typeET2_T3_PNSL_ISQ_E10value_typeET4_jRbjT5_SW_jjP12ihipStream_tbEUlT_E_NS1_11comp_targetILNS1_3genE4ELNS1_11target_archE910ELNS1_3gpuE8ELNS1_3repE0EEENS1_30default_config_static_selectorELNS0_4arch9wavefront6targetE0EEEvSK_.uses_flat_scratch, 0
	.set _ZN7rocprim17ROCPRIM_400000_NS6detail17trampoline_kernelINS0_14default_configENS1_36segmented_radix_sort_config_selectorIalEEZNS1_25segmented_radix_sort_implIS3_Lb1EPKaPaPKlPlN2at6native12_GLOBAL__N_18offset_tEEE10hipError_tPvRmT1_PNSt15iterator_traitsISK_E10value_typeET2_T3_PNSL_ISQ_E10value_typeET4_jRbjT5_SW_jjP12ihipStream_tbEUlT_E_NS1_11comp_targetILNS1_3genE4ELNS1_11target_archE910ELNS1_3gpuE8ELNS1_3repE0EEENS1_30default_config_static_selectorELNS0_4arch9wavefront6targetE0EEEvSK_.has_dyn_sized_stack, 0
	.set _ZN7rocprim17ROCPRIM_400000_NS6detail17trampoline_kernelINS0_14default_configENS1_36segmented_radix_sort_config_selectorIalEEZNS1_25segmented_radix_sort_implIS3_Lb1EPKaPaPKlPlN2at6native12_GLOBAL__N_18offset_tEEE10hipError_tPvRmT1_PNSt15iterator_traitsISK_E10value_typeET2_T3_PNSL_ISQ_E10value_typeET4_jRbjT5_SW_jjP12ihipStream_tbEUlT_E_NS1_11comp_targetILNS1_3genE4ELNS1_11target_archE910ELNS1_3gpuE8ELNS1_3repE0EEENS1_30default_config_static_selectorELNS0_4arch9wavefront6targetE0EEEvSK_.has_recursion, 0
	.set _ZN7rocprim17ROCPRIM_400000_NS6detail17trampoline_kernelINS0_14default_configENS1_36segmented_radix_sort_config_selectorIalEEZNS1_25segmented_radix_sort_implIS3_Lb1EPKaPaPKlPlN2at6native12_GLOBAL__N_18offset_tEEE10hipError_tPvRmT1_PNSt15iterator_traitsISK_E10value_typeET2_T3_PNSL_ISQ_E10value_typeET4_jRbjT5_SW_jjP12ihipStream_tbEUlT_E_NS1_11comp_targetILNS1_3genE4ELNS1_11target_archE910ELNS1_3gpuE8ELNS1_3repE0EEENS1_30default_config_static_selectorELNS0_4arch9wavefront6targetE0EEEvSK_.has_indirect_call, 0
	.section	.AMDGPU.csdata,"",@progbits
; Kernel info:
; codeLenInByte = 0
; TotalNumSgprs: 0
; NumVgprs: 0
; ScratchSize: 0
; MemoryBound: 0
; FloatMode: 240
; IeeeMode: 1
; LDSByteSize: 0 bytes/workgroup (compile time only)
; SGPRBlocks: 0
; VGPRBlocks: 0
; NumSGPRsForWavesPerEU: 1
; NumVGPRsForWavesPerEU: 1
; NamedBarCnt: 0
; Occupancy: 16
; WaveLimiterHint : 0
; COMPUTE_PGM_RSRC2:SCRATCH_EN: 0
; COMPUTE_PGM_RSRC2:USER_SGPR: 2
; COMPUTE_PGM_RSRC2:TRAP_HANDLER: 0
; COMPUTE_PGM_RSRC2:TGID_X_EN: 1
; COMPUTE_PGM_RSRC2:TGID_Y_EN: 0
; COMPUTE_PGM_RSRC2:TGID_Z_EN: 0
; COMPUTE_PGM_RSRC2:TIDIG_COMP_CNT: 0
	.section	.text._ZN7rocprim17ROCPRIM_400000_NS6detail17trampoline_kernelINS0_14default_configENS1_36segmented_radix_sort_config_selectorIalEEZNS1_25segmented_radix_sort_implIS3_Lb1EPKaPaPKlPlN2at6native12_GLOBAL__N_18offset_tEEE10hipError_tPvRmT1_PNSt15iterator_traitsISK_E10value_typeET2_T3_PNSL_ISQ_E10value_typeET4_jRbjT5_SW_jjP12ihipStream_tbEUlT_E_NS1_11comp_targetILNS1_3genE3ELNS1_11target_archE908ELNS1_3gpuE7ELNS1_3repE0EEENS1_30default_config_static_selectorELNS0_4arch9wavefront6targetE0EEEvSK_,"axG",@progbits,_ZN7rocprim17ROCPRIM_400000_NS6detail17trampoline_kernelINS0_14default_configENS1_36segmented_radix_sort_config_selectorIalEEZNS1_25segmented_radix_sort_implIS3_Lb1EPKaPaPKlPlN2at6native12_GLOBAL__N_18offset_tEEE10hipError_tPvRmT1_PNSt15iterator_traitsISK_E10value_typeET2_T3_PNSL_ISQ_E10value_typeET4_jRbjT5_SW_jjP12ihipStream_tbEUlT_E_NS1_11comp_targetILNS1_3genE3ELNS1_11target_archE908ELNS1_3gpuE7ELNS1_3repE0EEENS1_30default_config_static_selectorELNS0_4arch9wavefront6targetE0EEEvSK_,comdat
	.globl	_ZN7rocprim17ROCPRIM_400000_NS6detail17trampoline_kernelINS0_14default_configENS1_36segmented_radix_sort_config_selectorIalEEZNS1_25segmented_radix_sort_implIS3_Lb1EPKaPaPKlPlN2at6native12_GLOBAL__N_18offset_tEEE10hipError_tPvRmT1_PNSt15iterator_traitsISK_E10value_typeET2_T3_PNSL_ISQ_E10value_typeET4_jRbjT5_SW_jjP12ihipStream_tbEUlT_E_NS1_11comp_targetILNS1_3genE3ELNS1_11target_archE908ELNS1_3gpuE7ELNS1_3repE0EEENS1_30default_config_static_selectorELNS0_4arch9wavefront6targetE0EEEvSK_ ; -- Begin function _ZN7rocprim17ROCPRIM_400000_NS6detail17trampoline_kernelINS0_14default_configENS1_36segmented_radix_sort_config_selectorIalEEZNS1_25segmented_radix_sort_implIS3_Lb1EPKaPaPKlPlN2at6native12_GLOBAL__N_18offset_tEEE10hipError_tPvRmT1_PNSt15iterator_traitsISK_E10value_typeET2_T3_PNSL_ISQ_E10value_typeET4_jRbjT5_SW_jjP12ihipStream_tbEUlT_E_NS1_11comp_targetILNS1_3genE3ELNS1_11target_archE908ELNS1_3gpuE7ELNS1_3repE0EEENS1_30default_config_static_selectorELNS0_4arch9wavefront6targetE0EEEvSK_
	.p2align	8
	.type	_ZN7rocprim17ROCPRIM_400000_NS6detail17trampoline_kernelINS0_14default_configENS1_36segmented_radix_sort_config_selectorIalEEZNS1_25segmented_radix_sort_implIS3_Lb1EPKaPaPKlPlN2at6native12_GLOBAL__N_18offset_tEEE10hipError_tPvRmT1_PNSt15iterator_traitsISK_E10value_typeET2_T3_PNSL_ISQ_E10value_typeET4_jRbjT5_SW_jjP12ihipStream_tbEUlT_E_NS1_11comp_targetILNS1_3genE3ELNS1_11target_archE908ELNS1_3gpuE7ELNS1_3repE0EEENS1_30default_config_static_selectorELNS0_4arch9wavefront6targetE0EEEvSK_,@function
_ZN7rocprim17ROCPRIM_400000_NS6detail17trampoline_kernelINS0_14default_configENS1_36segmented_radix_sort_config_selectorIalEEZNS1_25segmented_radix_sort_implIS3_Lb1EPKaPaPKlPlN2at6native12_GLOBAL__N_18offset_tEEE10hipError_tPvRmT1_PNSt15iterator_traitsISK_E10value_typeET2_T3_PNSL_ISQ_E10value_typeET4_jRbjT5_SW_jjP12ihipStream_tbEUlT_E_NS1_11comp_targetILNS1_3genE3ELNS1_11target_archE908ELNS1_3gpuE7ELNS1_3repE0EEENS1_30default_config_static_selectorELNS0_4arch9wavefront6targetE0EEEvSK_: ; @_ZN7rocprim17ROCPRIM_400000_NS6detail17trampoline_kernelINS0_14default_configENS1_36segmented_radix_sort_config_selectorIalEEZNS1_25segmented_radix_sort_implIS3_Lb1EPKaPaPKlPlN2at6native12_GLOBAL__N_18offset_tEEE10hipError_tPvRmT1_PNSt15iterator_traitsISK_E10value_typeET2_T3_PNSL_ISQ_E10value_typeET4_jRbjT5_SW_jjP12ihipStream_tbEUlT_E_NS1_11comp_targetILNS1_3genE3ELNS1_11target_archE908ELNS1_3gpuE7ELNS1_3repE0EEENS1_30default_config_static_selectorELNS0_4arch9wavefront6targetE0EEEvSK_
; %bb.0:
	.section	.rodata,"a",@progbits
	.p2align	6, 0x0
	.amdhsa_kernel _ZN7rocprim17ROCPRIM_400000_NS6detail17trampoline_kernelINS0_14default_configENS1_36segmented_radix_sort_config_selectorIalEEZNS1_25segmented_radix_sort_implIS3_Lb1EPKaPaPKlPlN2at6native12_GLOBAL__N_18offset_tEEE10hipError_tPvRmT1_PNSt15iterator_traitsISK_E10value_typeET2_T3_PNSL_ISQ_E10value_typeET4_jRbjT5_SW_jjP12ihipStream_tbEUlT_E_NS1_11comp_targetILNS1_3genE3ELNS1_11target_archE908ELNS1_3gpuE7ELNS1_3repE0EEENS1_30default_config_static_selectorELNS0_4arch9wavefront6targetE0EEEvSK_
		.amdhsa_group_segment_fixed_size 0
		.amdhsa_private_segment_fixed_size 0
		.amdhsa_kernarg_size 96
		.amdhsa_user_sgpr_count 2
		.amdhsa_user_sgpr_dispatch_ptr 0
		.amdhsa_user_sgpr_queue_ptr 0
		.amdhsa_user_sgpr_kernarg_segment_ptr 1
		.amdhsa_user_sgpr_dispatch_id 0
		.amdhsa_user_sgpr_kernarg_preload_length 0
		.amdhsa_user_sgpr_kernarg_preload_offset 0
		.amdhsa_user_sgpr_private_segment_size 0
		.amdhsa_wavefront_size32 1
		.amdhsa_uses_dynamic_stack 0
		.amdhsa_enable_private_segment 0
		.amdhsa_system_sgpr_workgroup_id_x 1
		.amdhsa_system_sgpr_workgroup_id_y 0
		.amdhsa_system_sgpr_workgroup_id_z 0
		.amdhsa_system_sgpr_workgroup_info 0
		.amdhsa_system_vgpr_workitem_id 0
		.amdhsa_next_free_vgpr 1
		.amdhsa_next_free_sgpr 1
		.amdhsa_named_barrier_count 0
		.amdhsa_reserve_vcc 0
		.amdhsa_float_round_mode_32 0
		.amdhsa_float_round_mode_16_64 0
		.amdhsa_float_denorm_mode_32 3
		.amdhsa_float_denorm_mode_16_64 3
		.amdhsa_fp16_overflow 0
		.amdhsa_memory_ordered 1
		.amdhsa_forward_progress 1
		.amdhsa_inst_pref_size 0
		.amdhsa_round_robin_scheduling 0
		.amdhsa_exception_fp_ieee_invalid_op 0
		.amdhsa_exception_fp_denorm_src 0
		.amdhsa_exception_fp_ieee_div_zero 0
		.amdhsa_exception_fp_ieee_overflow 0
		.amdhsa_exception_fp_ieee_underflow 0
		.amdhsa_exception_fp_ieee_inexact 0
		.amdhsa_exception_int_div_zero 0
	.end_amdhsa_kernel
	.section	.text._ZN7rocprim17ROCPRIM_400000_NS6detail17trampoline_kernelINS0_14default_configENS1_36segmented_radix_sort_config_selectorIalEEZNS1_25segmented_radix_sort_implIS3_Lb1EPKaPaPKlPlN2at6native12_GLOBAL__N_18offset_tEEE10hipError_tPvRmT1_PNSt15iterator_traitsISK_E10value_typeET2_T3_PNSL_ISQ_E10value_typeET4_jRbjT5_SW_jjP12ihipStream_tbEUlT_E_NS1_11comp_targetILNS1_3genE3ELNS1_11target_archE908ELNS1_3gpuE7ELNS1_3repE0EEENS1_30default_config_static_selectorELNS0_4arch9wavefront6targetE0EEEvSK_,"axG",@progbits,_ZN7rocprim17ROCPRIM_400000_NS6detail17trampoline_kernelINS0_14default_configENS1_36segmented_radix_sort_config_selectorIalEEZNS1_25segmented_radix_sort_implIS3_Lb1EPKaPaPKlPlN2at6native12_GLOBAL__N_18offset_tEEE10hipError_tPvRmT1_PNSt15iterator_traitsISK_E10value_typeET2_T3_PNSL_ISQ_E10value_typeET4_jRbjT5_SW_jjP12ihipStream_tbEUlT_E_NS1_11comp_targetILNS1_3genE3ELNS1_11target_archE908ELNS1_3gpuE7ELNS1_3repE0EEENS1_30default_config_static_selectorELNS0_4arch9wavefront6targetE0EEEvSK_,comdat
.Lfunc_end292:
	.size	_ZN7rocprim17ROCPRIM_400000_NS6detail17trampoline_kernelINS0_14default_configENS1_36segmented_radix_sort_config_selectorIalEEZNS1_25segmented_radix_sort_implIS3_Lb1EPKaPaPKlPlN2at6native12_GLOBAL__N_18offset_tEEE10hipError_tPvRmT1_PNSt15iterator_traitsISK_E10value_typeET2_T3_PNSL_ISQ_E10value_typeET4_jRbjT5_SW_jjP12ihipStream_tbEUlT_E_NS1_11comp_targetILNS1_3genE3ELNS1_11target_archE908ELNS1_3gpuE7ELNS1_3repE0EEENS1_30default_config_static_selectorELNS0_4arch9wavefront6targetE0EEEvSK_, .Lfunc_end292-_ZN7rocprim17ROCPRIM_400000_NS6detail17trampoline_kernelINS0_14default_configENS1_36segmented_radix_sort_config_selectorIalEEZNS1_25segmented_radix_sort_implIS3_Lb1EPKaPaPKlPlN2at6native12_GLOBAL__N_18offset_tEEE10hipError_tPvRmT1_PNSt15iterator_traitsISK_E10value_typeET2_T3_PNSL_ISQ_E10value_typeET4_jRbjT5_SW_jjP12ihipStream_tbEUlT_E_NS1_11comp_targetILNS1_3genE3ELNS1_11target_archE908ELNS1_3gpuE7ELNS1_3repE0EEENS1_30default_config_static_selectorELNS0_4arch9wavefront6targetE0EEEvSK_
                                        ; -- End function
	.set _ZN7rocprim17ROCPRIM_400000_NS6detail17trampoline_kernelINS0_14default_configENS1_36segmented_radix_sort_config_selectorIalEEZNS1_25segmented_radix_sort_implIS3_Lb1EPKaPaPKlPlN2at6native12_GLOBAL__N_18offset_tEEE10hipError_tPvRmT1_PNSt15iterator_traitsISK_E10value_typeET2_T3_PNSL_ISQ_E10value_typeET4_jRbjT5_SW_jjP12ihipStream_tbEUlT_E_NS1_11comp_targetILNS1_3genE3ELNS1_11target_archE908ELNS1_3gpuE7ELNS1_3repE0EEENS1_30default_config_static_selectorELNS0_4arch9wavefront6targetE0EEEvSK_.num_vgpr, 0
	.set _ZN7rocprim17ROCPRIM_400000_NS6detail17trampoline_kernelINS0_14default_configENS1_36segmented_radix_sort_config_selectorIalEEZNS1_25segmented_radix_sort_implIS3_Lb1EPKaPaPKlPlN2at6native12_GLOBAL__N_18offset_tEEE10hipError_tPvRmT1_PNSt15iterator_traitsISK_E10value_typeET2_T3_PNSL_ISQ_E10value_typeET4_jRbjT5_SW_jjP12ihipStream_tbEUlT_E_NS1_11comp_targetILNS1_3genE3ELNS1_11target_archE908ELNS1_3gpuE7ELNS1_3repE0EEENS1_30default_config_static_selectorELNS0_4arch9wavefront6targetE0EEEvSK_.num_agpr, 0
	.set _ZN7rocprim17ROCPRIM_400000_NS6detail17trampoline_kernelINS0_14default_configENS1_36segmented_radix_sort_config_selectorIalEEZNS1_25segmented_radix_sort_implIS3_Lb1EPKaPaPKlPlN2at6native12_GLOBAL__N_18offset_tEEE10hipError_tPvRmT1_PNSt15iterator_traitsISK_E10value_typeET2_T3_PNSL_ISQ_E10value_typeET4_jRbjT5_SW_jjP12ihipStream_tbEUlT_E_NS1_11comp_targetILNS1_3genE3ELNS1_11target_archE908ELNS1_3gpuE7ELNS1_3repE0EEENS1_30default_config_static_selectorELNS0_4arch9wavefront6targetE0EEEvSK_.numbered_sgpr, 0
	.set _ZN7rocprim17ROCPRIM_400000_NS6detail17trampoline_kernelINS0_14default_configENS1_36segmented_radix_sort_config_selectorIalEEZNS1_25segmented_radix_sort_implIS3_Lb1EPKaPaPKlPlN2at6native12_GLOBAL__N_18offset_tEEE10hipError_tPvRmT1_PNSt15iterator_traitsISK_E10value_typeET2_T3_PNSL_ISQ_E10value_typeET4_jRbjT5_SW_jjP12ihipStream_tbEUlT_E_NS1_11comp_targetILNS1_3genE3ELNS1_11target_archE908ELNS1_3gpuE7ELNS1_3repE0EEENS1_30default_config_static_selectorELNS0_4arch9wavefront6targetE0EEEvSK_.num_named_barrier, 0
	.set _ZN7rocprim17ROCPRIM_400000_NS6detail17trampoline_kernelINS0_14default_configENS1_36segmented_radix_sort_config_selectorIalEEZNS1_25segmented_radix_sort_implIS3_Lb1EPKaPaPKlPlN2at6native12_GLOBAL__N_18offset_tEEE10hipError_tPvRmT1_PNSt15iterator_traitsISK_E10value_typeET2_T3_PNSL_ISQ_E10value_typeET4_jRbjT5_SW_jjP12ihipStream_tbEUlT_E_NS1_11comp_targetILNS1_3genE3ELNS1_11target_archE908ELNS1_3gpuE7ELNS1_3repE0EEENS1_30default_config_static_selectorELNS0_4arch9wavefront6targetE0EEEvSK_.private_seg_size, 0
	.set _ZN7rocprim17ROCPRIM_400000_NS6detail17trampoline_kernelINS0_14default_configENS1_36segmented_radix_sort_config_selectorIalEEZNS1_25segmented_radix_sort_implIS3_Lb1EPKaPaPKlPlN2at6native12_GLOBAL__N_18offset_tEEE10hipError_tPvRmT1_PNSt15iterator_traitsISK_E10value_typeET2_T3_PNSL_ISQ_E10value_typeET4_jRbjT5_SW_jjP12ihipStream_tbEUlT_E_NS1_11comp_targetILNS1_3genE3ELNS1_11target_archE908ELNS1_3gpuE7ELNS1_3repE0EEENS1_30default_config_static_selectorELNS0_4arch9wavefront6targetE0EEEvSK_.uses_vcc, 0
	.set _ZN7rocprim17ROCPRIM_400000_NS6detail17trampoline_kernelINS0_14default_configENS1_36segmented_radix_sort_config_selectorIalEEZNS1_25segmented_radix_sort_implIS3_Lb1EPKaPaPKlPlN2at6native12_GLOBAL__N_18offset_tEEE10hipError_tPvRmT1_PNSt15iterator_traitsISK_E10value_typeET2_T3_PNSL_ISQ_E10value_typeET4_jRbjT5_SW_jjP12ihipStream_tbEUlT_E_NS1_11comp_targetILNS1_3genE3ELNS1_11target_archE908ELNS1_3gpuE7ELNS1_3repE0EEENS1_30default_config_static_selectorELNS0_4arch9wavefront6targetE0EEEvSK_.uses_flat_scratch, 0
	.set _ZN7rocprim17ROCPRIM_400000_NS6detail17trampoline_kernelINS0_14default_configENS1_36segmented_radix_sort_config_selectorIalEEZNS1_25segmented_radix_sort_implIS3_Lb1EPKaPaPKlPlN2at6native12_GLOBAL__N_18offset_tEEE10hipError_tPvRmT1_PNSt15iterator_traitsISK_E10value_typeET2_T3_PNSL_ISQ_E10value_typeET4_jRbjT5_SW_jjP12ihipStream_tbEUlT_E_NS1_11comp_targetILNS1_3genE3ELNS1_11target_archE908ELNS1_3gpuE7ELNS1_3repE0EEENS1_30default_config_static_selectorELNS0_4arch9wavefront6targetE0EEEvSK_.has_dyn_sized_stack, 0
	.set _ZN7rocprim17ROCPRIM_400000_NS6detail17trampoline_kernelINS0_14default_configENS1_36segmented_radix_sort_config_selectorIalEEZNS1_25segmented_radix_sort_implIS3_Lb1EPKaPaPKlPlN2at6native12_GLOBAL__N_18offset_tEEE10hipError_tPvRmT1_PNSt15iterator_traitsISK_E10value_typeET2_T3_PNSL_ISQ_E10value_typeET4_jRbjT5_SW_jjP12ihipStream_tbEUlT_E_NS1_11comp_targetILNS1_3genE3ELNS1_11target_archE908ELNS1_3gpuE7ELNS1_3repE0EEENS1_30default_config_static_selectorELNS0_4arch9wavefront6targetE0EEEvSK_.has_recursion, 0
	.set _ZN7rocprim17ROCPRIM_400000_NS6detail17trampoline_kernelINS0_14default_configENS1_36segmented_radix_sort_config_selectorIalEEZNS1_25segmented_radix_sort_implIS3_Lb1EPKaPaPKlPlN2at6native12_GLOBAL__N_18offset_tEEE10hipError_tPvRmT1_PNSt15iterator_traitsISK_E10value_typeET2_T3_PNSL_ISQ_E10value_typeET4_jRbjT5_SW_jjP12ihipStream_tbEUlT_E_NS1_11comp_targetILNS1_3genE3ELNS1_11target_archE908ELNS1_3gpuE7ELNS1_3repE0EEENS1_30default_config_static_selectorELNS0_4arch9wavefront6targetE0EEEvSK_.has_indirect_call, 0
	.section	.AMDGPU.csdata,"",@progbits
; Kernel info:
; codeLenInByte = 0
; TotalNumSgprs: 0
; NumVgprs: 0
; ScratchSize: 0
; MemoryBound: 0
; FloatMode: 240
; IeeeMode: 1
; LDSByteSize: 0 bytes/workgroup (compile time only)
; SGPRBlocks: 0
; VGPRBlocks: 0
; NumSGPRsForWavesPerEU: 1
; NumVGPRsForWavesPerEU: 1
; NamedBarCnt: 0
; Occupancy: 16
; WaveLimiterHint : 0
; COMPUTE_PGM_RSRC2:SCRATCH_EN: 0
; COMPUTE_PGM_RSRC2:USER_SGPR: 2
; COMPUTE_PGM_RSRC2:TRAP_HANDLER: 0
; COMPUTE_PGM_RSRC2:TGID_X_EN: 1
; COMPUTE_PGM_RSRC2:TGID_Y_EN: 0
; COMPUTE_PGM_RSRC2:TGID_Z_EN: 0
; COMPUTE_PGM_RSRC2:TIDIG_COMP_CNT: 0
	.section	.text._ZN7rocprim17ROCPRIM_400000_NS6detail17trampoline_kernelINS0_14default_configENS1_36segmented_radix_sort_config_selectorIalEEZNS1_25segmented_radix_sort_implIS3_Lb1EPKaPaPKlPlN2at6native12_GLOBAL__N_18offset_tEEE10hipError_tPvRmT1_PNSt15iterator_traitsISK_E10value_typeET2_T3_PNSL_ISQ_E10value_typeET4_jRbjT5_SW_jjP12ihipStream_tbEUlT_E_NS1_11comp_targetILNS1_3genE2ELNS1_11target_archE906ELNS1_3gpuE6ELNS1_3repE0EEENS1_30default_config_static_selectorELNS0_4arch9wavefront6targetE0EEEvSK_,"axG",@progbits,_ZN7rocprim17ROCPRIM_400000_NS6detail17trampoline_kernelINS0_14default_configENS1_36segmented_radix_sort_config_selectorIalEEZNS1_25segmented_radix_sort_implIS3_Lb1EPKaPaPKlPlN2at6native12_GLOBAL__N_18offset_tEEE10hipError_tPvRmT1_PNSt15iterator_traitsISK_E10value_typeET2_T3_PNSL_ISQ_E10value_typeET4_jRbjT5_SW_jjP12ihipStream_tbEUlT_E_NS1_11comp_targetILNS1_3genE2ELNS1_11target_archE906ELNS1_3gpuE6ELNS1_3repE0EEENS1_30default_config_static_selectorELNS0_4arch9wavefront6targetE0EEEvSK_,comdat
	.globl	_ZN7rocprim17ROCPRIM_400000_NS6detail17trampoline_kernelINS0_14default_configENS1_36segmented_radix_sort_config_selectorIalEEZNS1_25segmented_radix_sort_implIS3_Lb1EPKaPaPKlPlN2at6native12_GLOBAL__N_18offset_tEEE10hipError_tPvRmT1_PNSt15iterator_traitsISK_E10value_typeET2_T3_PNSL_ISQ_E10value_typeET4_jRbjT5_SW_jjP12ihipStream_tbEUlT_E_NS1_11comp_targetILNS1_3genE2ELNS1_11target_archE906ELNS1_3gpuE6ELNS1_3repE0EEENS1_30default_config_static_selectorELNS0_4arch9wavefront6targetE0EEEvSK_ ; -- Begin function _ZN7rocprim17ROCPRIM_400000_NS6detail17trampoline_kernelINS0_14default_configENS1_36segmented_radix_sort_config_selectorIalEEZNS1_25segmented_radix_sort_implIS3_Lb1EPKaPaPKlPlN2at6native12_GLOBAL__N_18offset_tEEE10hipError_tPvRmT1_PNSt15iterator_traitsISK_E10value_typeET2_T3_PNSL_ISQ_E10value_typeET4_jRbjT5_SW_jjP12ihipStream_tbEUlT_E_NS1_11comp_targetILNS1_3genE2ELNS1_11target_archE906ELNS1_3gpuE6ELNS1_3repE0EEENS1_30default_config_static_selectorELNS0_4arch9wavefront6targetE0EEEvSK_
	.p2align	8
	.type	_ZN7rocprim17ROCPRIM_400000_NS6detail17trampoline_kernelINS0_14default_configENS1_36segmented_radix_sort_config_selectorIalEEZNS1_25segmented_radix_sort_implIS3_Lb1EPKaPaPKlPlN2at6native12_GLOBAL__N_18offset_tEEE10hipError_tPvRmT1_PNSt15iterator_traitsISK_E10value_typeET2_T3_PNSL_ISQ_E10value_typeET4_jRbjT5_SW_jjP12ihipStream_tbEUlT_E_NS1_11comp_targetILNS1_3genE2ELNS1_11target_archE906ELNS1_3gpuE6ELNS1_3repE0EEENS1_30default_config_static_selectorELNS0_4arch9wavefront6targetE0EEEvSK_,@function
_ZN7rocprim17ROCPRIM_400000_NS6detail17trampoline_kernelINS0_14default_configENS1_36segmented_radix_sort_config_selectorIalEEZNS1_25segmented_radix_sort_implIS3_Lb1EPKaPaPKlPlN2at6native12_GLOBAL__N_18offset_tEEE10hipError_tPvRmT1_PNSt15iterator_traitsISK_E10value_typeET2_T3_PNSL_ISQ_E10value_typeET4_jRbjT5_SW_jjP12ihipStream_tbEUlT_E_NS1_11comp_targetILNS1_3genE2ELNS1_11target_archE906ELNS1_3gpuE6ELNS1_3repE0EEENS1_30default_config_static_selectorELNS0_4arch9wavefront6targetE0EEEvSK_: ; @_ZN7rocprim17ROCPRIM_400000_NS6detail17trampoline_kernelINS0_14default_configENS1_36segmented_radix_sort_config_selectorIalEEZNS1_25segmented_radix_sort_implIS3_Lb1EPKaPaPKlPlN2at6native12_GLOBAL__N_18offset_tEEE10hipError_tPvRmT1_PNSt15iterator_traitsISK_E10value_typeET2_T3_PNSL_ISQ_E10value_typeET4_jRbjT5_SW_jjP12ihipStream_tbEUlT_E_NS1_11comp_targetILNS1_3genE2ELNS1_11target_archE906ELNS1_3gpuE6ELNS1_3repE0EEENS1_30default_config_static_selectorELNS0_4arch9wavefront6targetE0EEEvSK_
; %bb.0:
	.section	.rodata,"a",@progbits
	.p2align	6, 0x0
	.amdhsa_kernel _ZN7rocprim17ROCPRIM_400000_NS6detail17trampoline_kernelINS0_14default_configENS1_36segmented_radix_sort_config_selectorIalEEZNS1_25segmented_radix_sort_implIS3_Lb1EPKaPaPKlPlN2at6native12_GLOBAL__N_18offset_tEEE10hipError_tPvRmT1_PNSt15iterator_traitsISK_E10value_typeET2_T3_PNSL_ISQ_E10value_typeET4_jRbjT5_SW_jjP12ihipStream_tbEUlT_E_NS1_11comp_targetILNS1_3genE2ELNS1_11target_archE906ELNS1_3gpuE6ELNS1_3repE0EEENS1_30default_config_static_selectorELNS0_4arch9wavefront6targetE0EEEvSK_
		.amdhsa_group_segment_fixed_size 0
		.amdhsa_private_segment_fixed_size 0
		.amdhsa_kernarg_size 96
		.amdhsa_user_sgpr_count 2
		.amdhsa_user_sgpr_dispatch_ptr 0
		.amdhsa_user_sgpr_queue_ptr 0
		.amdhsa_user_sgpr_kernarg_segment_ptr 1
		.amdhsa_user_sgpr_dispatch_id 0
		.amdhsa_user_sgpr_kernarg_preload_length 0
		.amdhsa_user_sgpr_kernarg_preload_offset 0
		.amdhsa_user_sgpr_private_segment_size 0
		.amdhsa_wavefront_size32 1
		.amdhsa_uses_dynamic_stack 0
		.amdhsa_enable_private_segment 0
		.amdhsa_system_sgpr_workgroup_id_x 1
		.amdhsa_system_sgpr_workgroup_id_y 0
		.amdhsa_system_sgpr_workgroup_id_z 0
		.amdhsa_system_sgpr_workgroup_info 0
		.amdhsa_system_vgpr_workitem_id 0
		.amdhsa_next_free_vgpr 1
		.amdhsa_next_free_sgpr 1
		.amdhsa_named_barrier_count 0
		.amdhsa_reserve_vcc 0
		.amdhsa_float_round_mode_32 0
		.amdhsa_float_round_mode_16_64 0
		.amdhsa_float_denorm_mode_32 3
		.amdhsa_float_denorm_mode_16_64 3
		.amdhsa_fp16_overflow 0
		.amdhsa_memory_ordered 1
		.amdhsa_forward_progress 1
		.amdhsa_inst_pref_size 0
		.amdhsa_round_robin_scheduling 0
		.amdhsa_exception_fp_ieee_invalid_op 0
		.amdhsa_exception_fp_denorm_src 0
		.amdhsa_exception_fp_ieee_div_zero 0
		.amdhsa_exception_fp_ieee_overflow 0
		.amdhsa_exception_fp_ieee_underflow 0
		.amdhsa_exception_fp_ieee_inexact 0
		.amdhsa_exception_int_div_zero 0
	.end_amdhsa_kernel
	.section	.text._ZN7rocprim17ROCPRIM_400000_NS6detail17trampoline_kernelINS0_14default_configENS1_36segmented_radix_sort_config_selectorIalEEZNS1_25segmented_radix_sort_implIS3_Lb1EPKaPaPKlPlN2at6native12_GLOBAL__N_18offset_tEEE10hipError_tPvRmT1_PNSt15iterator_traitsISK_E10value_typeET2_T3_PNSL_ISQ_E10value_typeET4_jRbjT5_SW_jjP12ihipStream_tbEUlT_E_NS1_11comp_targetILNS1_3genE2ELNS1_11target_archE906ELNS1_3gpuE6ELNS1_3repE0EEENS1_30default_config_static_selectorELNS0_4arch9wavefront6targetE0EEEvSK_,"axG",@progbits,_ZN7rocprim17ROCPRIM_400000_NS6detail17trampoline_kernelINS0_14default_configENS1_36segmented_radix_sort_config_selectorIalEEZNS1_25segmented_radix_sort_implIS3_Lb1EPKaPaPKlPlN2at6native12_GLOBAL__N_18offset_tEEE10hipError_tPvRmT1_PNSt15iterator_traitsISK_E10value_typeET2_T3_PNSL_ISQ_E10value_typeET4_jRbjT5_SW_jjP12ihipStream_tbEUlT_E_NS1_11comp_targetILNS1_3genE2ELNS1_11target_archE906ELNS1_3gpuE6ELNS1_3repE0EEENS1_30default_config_static_selectorELNS0_4arch9wavefront6targetE0EEEvSK_,comdat
.Lfunc_end293:
	.size	_ZN7rocprim17ROCPRIM_400000_NS6detail17trampoline_kernelINS0_14default_configENS1_36segmented_radix_sort_config_selectorIalEEZNS1_25segmented_radix_sort_implIS3_Lb1EPKaPaPKlPlN2at6native12_GLOBAL__N_18offset_tEEE10hipError_tPvRmT1_PNSt15iterator_traitsISK_E10value_typeET2_T3_PNSL_ISQ_E10value_typeET4_jRbjT5_SW_jjP12ihipStream_tbEUlT_E_NS1_11comp_targetILNS1_3genE2ELNS1_11target_archE906ELNS1_3gpuE6ELNS1_3repE0EEENS1_30default_config_static_selectorELNS0_4arch9wavefront6targetE0EEEvSK_, .Lfunc_end293-_ZN7rocprim17ROCPRIM_400000_NS6detail17trampoline_kernelINS0_14default_configENS1_36segmented_radix_sort_config_selectorIalEEZNS1_25segmented_radix_sort_implIS3_Lb1EPKaPaPKlPlN2at6native12_GLOBAL__N_18offset_tEEE10hipError_tPvRmT1_PNSt15iterator_traitsISK_E10value_typeET2_T3_PNSL_ISQ_E10value_typeET4_jRbjT5_SW_jjP12ihipStream_tbEUlT_E_NS1_11comp_targetILNS1_3genE2ELNS1_11target_archE906ELNS1_3gpuE6ELNS1_3repE0EEENS1_30default_config_static_selectorELNS0_4arch9wavefront6targetE0EEEvSK_
                                        ; -- End function
	.set _ZN7rocprim17ROCPRIM_400000_NS6detail17trampoline_kernelINS0_14default_configENS1_36segmented_radix_sort_config_selectorIalEEZNS1_25segmented_radix_sort_implIS3_Lb1EPKaPaPKlPlN2at6native12_GLOBAL__N_18offset_tEEE10hipError_tPvRmT1_PNSt15iterator_traitsISK_E10value_typeET2_T3_PNSL_ISQ_E10value_typeET4_jRbjT5_SW_jjP12ihipStream_tbEUlT_E_NS1_11comp_targetILNS1_3genE2ELNS1_11target_archE906ELNS1_3gpuE6ELNS1_3repE0EEENS1_30default_config_static_selectorELNS0_4arch9wavefront6targetE0EEEvSK_.num_vgpr, 0
	.set _ZN7rocprim17ROCPRIM_400000_NS6detail17trampoline_kernelINS0_14default_configENS1_36segmented_radix_sort_config_selectorIalEEZNS1_25segmented_radix_sort_implIS3_Lb1EPKaPaPKlPlN2at6native12_GLOBAL__N_18offset_tEEE10hipError_tPvRmT1_PNSt15iterator_traitsISK_E10value_typeET2_T3_PNSL_ISQ_E10value_typeET4_jRbjT5_SW_jjP12ihipStream_tbEUlT_E_NS1_11comp_targetILNS1_3genE2ELNS1_11target_archE906ELNS1_3gpuE6ELNS1_3repE0EEENS1_30default_config_static_selectorELNS0_4arch9wavefront6targetE0EEEvSK_.num_agpr, 0
	.set _ZN7rocprim17ROCPRIM_400000_NS6detail17trampoline_kernelINS0_14default_configENS1_36segmented_radix_sort_config_selectorIalEEZNS1_25segmented_radix_sort_implIS3_Lb1EPKaPaPKlPlN2at6native12_GLOBAL__N_18offset_tEEE10hipError_tPvRmT1_PNSt15iterator_traitsISK_E10value_typeET2_T3_PNSL_ISQ_E10value_typeET4_jRbjT5_SW_jjP12ihipStream_tbEUlT_E_NS1_11comp_targetILNS1_3genE2ELNS1_11target_archE906ELNS1_3gpuE6ELNS1_3repE0EEENS1_30default_config_static_selectorELNS0_4arch9wavefront6targetE0EEEvSK_.numbered_sgpr, 0
	.set _ZN7rocprim17ROCPRIM_400000_NS6detail17trampoline_kernelINS0_14default_configENS1_36segmented_radix_sort_config_selectorIalEEZNS1_25segmented_radix_sort_implIS3_Lb1EPKaPaPKlPlN2at6native12_GLOBAL__N_18offset_tEEE10hipError_tPvRmT1_PNSt15iterator_traitsISK_E10value_typeET2_T3_PNSL_ISQ_E10value_typeET4_jRbjT5_SW_jjP12ihipStream_tbEUlT_E_NS1_11comp_targetILNS1_3genE2ELNS1_11target_archE906ELNS1_3gpuE6ELNS1_3repE0EEENS1_30default_config_static_selectorELNS0_4arch9wavefront6targetE0EEEvSK_.num_named_barrier, 0
	.set _ZN7rocprim17ROCPRIM_400000_NS6detail17trampoline_kernelINS0_14default_configENS1_36segmented_radix_sort_config_selectorIalEEZNS1_25segmented_radix_sort_implIS3_Lb1EPKaPaPKlPlN2at6native12_GLOBAL__N_18offset_tEEE10hipError_tPvRmT1_PNSt15iterator_traitsISK_E10value_typeET2_T3_PNSL_ISQ_E10value_typeET4_jRbjT5_SW_jjP12ihipStream_tbEUlT_E_NS1_11comp_targetILNS1_3genE2ELNS1_11target_archE906ELNS1_3gpuE6ELNS1_3repE0EEENS1_30default_config_static_selectorELNS0_4arch9wavefront6targetE0EEEvSK_.private_seg_size, 0
	.set _ZN7rocprim17ROCPRIM_400000_NS6detail17trampoline_kernelINS0_14default_configENS1_36segmented_radix_sort_config_selectorIalEEZNS1_25segmented_radix_sort_implIS3_Lb1EPKaPaPKlPlN2at6native12_GLOBAL__N_18offset_tEEE10hipError_tPvRmT1_PNSt15iterator_traitsISK_E10value_typeET2_T3_PNSL_ISQ_E10value_typeET4_jRbjT5_SW_jjP12ihipStream_tbEUlT_E_NS1_11comp_targetILNS1_3genE2ELNS1_11target_archE906ELNS1_3gpuE6ELNS1_3repE0EEENS1_30default_config_static_selectorELNS0_4arch9wavefront6targetE0EEEvSK_.uses_vcc, 0
	.set _ZN7rocprim17ROCPRIM_400000_NS6detail17trampoline_kernelINS0_14default_configENS1_36segmented_radix_sort_config_selectorIalEEZNS1_25segmented_radix_sort_implIS3_Lb1EPKaPaPKlPlN2at6native12_GLOBAL__N_18offset_tEEE10hipError_tPvRmT1_PNSt15iterator_traitsISK_E10value_typeET2_T3_PNSL_ISQ_E10value_typeET4_jRbjT5_SW_jjP12ihipStream_tbEUlT_E_NS1_11comp_targetILNS1_3genE2ELNS1_11target_archE906ELNS1_3gpuE6ELNS1_3repE0EEENS1_30default_config_static_selectorELNS0_4arch9wavefront6targetE0EEEvSK_.uses_flat_scratch, 0
	.set _ZN7rocprim17ROCPRIM_400000_NS6detail17trampoline_kernelINS0_14default_configENS1_36segmented_radix_sort_config_selectorIalEEZNS1_25segmented_radix_sort_implIS3_Lb1EPKaPaPKlPlN2at6native12_GLOBAL__N_18offset_tEEE10hipError_tPvRmT1_PNSt15iterator_traitsISK_E10value_typeET2_T3_PNSL_ISQ_E10value_typeET4_jRbjT5_SW_jjP12ihipStream_tbEUlT_E_NS1_11comp_targetILNS1_3genE2ELNS1_11target_archE906ELNS1_3gpuE6ELNS1_3repE0EEENS1_30default_config_static_selectorELNS0_4arch9wavefront6targetE0EEEvSK_.has_dyn_sized_stack, 0
	.set _ZN7rocprim17ROCPRIM_400000_NS6detail17trampoline_kernelINS0_14default_configENS1_36segmented_radix_sort_config_selectorIalEEZNS1_25segmented_radix_sort_implIS3_Lb1EPKaPaPKlPlN2at6native12_GLOBAL__N_18offset_tEEE10hipError_tPvRmT1_PNSt15iterator_traitsISK_E10value_typeET2_T3_PNSL_ISQ_E10value_typeET4_jRbjT5_SW_jjP12ihipStream_tbEUlT_E_NS1_11comp_targetILNS1_3genE2ELNS1_11target_archE906ELNS1_3gpuE6ELNS1_3repE0EEENS1_30default_config_static_selectorELNS0_4arch9wavefront6targetE0EEEvSK_.has_recursion, 0
	.set _ZN7rocprim17ROCPRIM_400000_NS6detail17trampoline_kernelINS0_14default_configENS1_36segmented_radix_sort_config_selectorIalEEZNS1_25segmented_radix_sort_implIS3_Lb1EPKaPaPKlPlN2at6native12_GLOBAL__N_18offset_tEEE10hipError_tPvRmT1_PNSt15iterator_traitsISK_E10value_typeET2_T3_PNSL_ISQ_E10value_typeET4_jRbjT5_SW_jjP12ihipStream_tbEUlT_E_NS1_11comp_targetILNS1_3genE2ELNS1_11target_archE906ELNS1_3gpuE6ELNS1_3repE0EEENS1_30default_config_static_selectorELNS0_4arch9wavefront6targetE0EEEvSK_.has_indirect_call, 0
	.section	.AMDGPU.csdata,"",@progbits
; Kernel info:
; codeLenInByte = 0
; TotalNumSgprs: 0
; NumVgprs: 0
; ScratchSize: 0
; MemoryBound: 0
; FloatMode: 240
; IeeeMode: 1
; LDSByteSize: 0 bytes/workgroup (compile time only)
; SGPRBlocks: 0
; VGPRBlocks: 0
; NumSGPRsForWavesPerEU: 1
; NumVGPRsForWavesPerEU: 1
; NamedBarCnt: 0
; Occupancy: 16
; WaveLimiterHint : 0
; COMPUTE_PGM_RSRC2:SCRATCH_EN: 0
; COMPUTE_PGM_RSRC2:USER_SGPR: 2
; COMPUTE_PGM_RSRC2:TRAP_HANDLER: 0
; COMPUTE_PGM_RSRC2:TGID_X_EN: 1
; COMPUTE_PGM_RSRC2:TGID_Y_EN: 0
; COMPUTE_PGM_RSRC2:TGID_Z_EN: 0
; COMPUTE_PGM_RSRC2:TIDIG_COMP_CNT: 0
	.section	.text._ZN7rocprim17ROCPRIM_400000_NS6detail17trampoline_kernelINS0_14default_configENS1_36segmented_radix_sort_config_selectorIalEEZNS1_25segmented_radix_sort_implIS3_Lb1EPKaPaPKlPlN2at6native12_GLOBAL__N_18offset_tEEE10hipError_tPvRmT1_PNSt15iterator_traitsISK_E10value_typeET2_T3_PNSL_ISQ_E10value_typeET4_jRbjT5_SW_jjP12ihipStream_tbEUlT_E_NS1_11comp_targetILNS1_3genE10ELNS1_11target_archE1201ELNS1_3gpuE5ELNS1_3repE0EEENS1_30default_config_static_selectorELNS0_4arch9wavefront6targetE0EEEvSK_,"axG",@progbits,_ZN7rocprim17ROCPRIM_400000_NS6detail17trampoline_kernelINS0_14default_configENS1_36segmented_radix_sort_config_selectorIalEEZNS1_25segmented_radix_sort_implIS3_Lb1EPKaPaPKlPlN2at6native12_GLOBAL__N_18offset_tEEE10hipError_tPvRmT1_PNSt15iterator_traitsISK_E10value_typeET2_T3_PNSL_ISQ_E10value_typeET4_jRbjT5_SW_jjP12ihipStream_tbEUlT_E_NS1_11comp_targetILNS1_3genE10ELNS1_11target_archE1201ELNS1_3gpuE5ELNS1_3repE0EEENS1_30default_config_static_selectorELNS0_4arch9wavefront6targetE0EEEvSK_,comdat
	.globl	_ZN7rocprim17ROCPRIM_400000_NS6detail17trampoline_kernelINS0_14default_configENS1_36segmented_radix_sort_config_selectorIalEEZNS1_25segmented_radix_sort_implIS3_Lb1EPKaPaPKlPlN2at6native12_GLOBAL__N_18offset_tEEE10hipError_tPvRmT1_PNSt15iterator_traitsISK_E10value_typeET2_T3_PNSL_ISQ_E10value_typeET4_jRbjT5_SW_jjP12ihipStream_tbEUlT_E_NS1_11comp_targetILNS1_3genE10ELNS1_11target_archE1201ELNS1_3gpuE5ELNS1_3repE0EEENS1_30default_config_static_selectorELNS0_4arch9wavefront6targetE0EEEvSK_ ; -- Begin function _ZN7rocprim17ROCPRIM_400000_NS6detail17trampoline_kernelINS0_14default_configENS1_36segmented_radix_sort_config_selectorIalEEZNS1_25segmented_radix_sort_implIS3_Lb1EPKaPaPKlPlN2at6native12_GLOBAL__N_18offset_tEEE10hipError_tPvRmT1_PNSt15iterator_traitsISK_E10value_typeET2_T3_PNSL_ISQ_E10value_typeET4_jRbjT5_SW_jjP12ihipStream_tbEUlT_E_NS1_11comp_targetILNS1_3genE10ELNS1_11target_archE1201ELNS1_3gpuE5ELNS1_3repE0EEENS1_30default_config_static_selectorELNS0_4arch9wavefront6targetE0EEEvSK_
	.p2align	8
	.type	_ZN7rocprim17ROCPRIM_400000_NS6detail17trampoline_kernelINS0_14default_configENS1_36segmented_radix_sort_config_selectorIalEEZNS1_25segmented_radix_sort_implIS3_Lb1EPKaPaPKlPlN2at6native12_GLOBAL__N_18offset_tEEE10hipError_tPvRmT1_PNSt15iterator_traitsISK_E10value_typeET2_T3_PNSL_ISQ_E10value_typeET4_jRbjT5_SW_jjP12ihipStream_tbEUlT_E_NS1_11comp_targetILNS1_3genE10ELNS1_11target_archE1201ELNS1_3gpuE5ELNS1_3repE0EEENS1_30default_config_static_selectorELNS0_4arch9wavefront6targetE0EEEvSK_,@function
_ZN7rocprim17ROCPRIM_400000_NS6detail17trampoline_kernelINS0_14default_configENS1_36segmented_radix_sort_config_selectorIalEEZNS1_25segmented_radix_sort_implIS3_Lb1EPKaPaPKlPlN2at6native12_GLOBAL__N_18offset_tEEE10hipError_tPvRmT1_PNSt15iterator_traitsISK_E10value_typeET2_T3_PNSL_ISQ_E10value_typeET4_jRbjT5_SW_jjP12ihipStream_tbEUlT_E_NS1_11comp_targetILNS1_3genE10ELNS1_11target_archE1201ELNS1_3gpuE5ELNS1_3repE0EEENS1_30default_config_static_selectorELNS0_4arch9wavefront6targetE0EEEvSK_: ; @_ZN7rocprim17ROCPRIM_400000_NS6detail17trampoline_kernelINS0_14default_configENS1_36segmented_radix_sort_config_selectorIalEEZNS1_25segmented_radix_sort_implIS3_Lb1EPKaPaPKlPlN2at6native12_GLOBAL__N_18offset_tEEE10hipError_tPvRmT1_PNSt15iterator_traitsISK_E10value_typeET2_T3_PNSL_ISQ_E10value_typeET4_jRbjT5_SW_jjP12ihipStream_tbEUlT_E_NS1_11comp_targetILNS1_3genE10ELNS1_11target_archE1201ELNS1_3gpuE5ELNS1_3repE0EEENS1_30default_config_static_selectorELNS0_4arch9wavefront6targetE0EEEvSK_
; %bb.0:
	.section	.rodata,"a",@progbits
	.p2align	6, 0x0
	.amdhsa_kernel _ZN7rocprim17ROCPRIM_400000_NS6detail17trampoline_kernelINS0_14default_configENS1_36segmented_radix_sort_config_selectorIalEEZNS1_25segmented_radix_sort_implIS3_Lb1EPKaPaPKlPlN2at6native12_GLOBAL__N_18offset_tEEE10hipError_tPvRmT1_PNSt15iterator_traitsISK_E10value_typeET2_T3_PNSL_ISQ_E10value_typeET4_jRbjT5_SW_jjP12ihipStream_tbEUlT_E_NS1_11comp_targetILNS1_3genE10ELNS1_11target_archE1201ELNS1_3gpuE5ELNS1_3repE0EEENS1_30default_config_static_selectorELNS0_4arch9wavefront6targetE0EEEvSK_
		.amdhsa_group_segment_fixed_size 0
		.amdhsa_private_segment_fixed_size 0
		.amdhsa_kernarg_size 96
		.amdhsa_user_sgpr_count 2
		.amdhsa_user_sgpr_dispatch_ptr 0
		.amdhsa_user_sgpr_queue_ptr 0
		.amdhsa_user_sgpr_kernarg_segment_ptr 1
		.amdhsa_user_sgpr_dispatch_id 0
		.amdhsa_user_sgpr_kernarg_preload_length 0
		.amdhsa_user_sgpr_kernarg_preload_offset 0
		.amdhsa_user_sgpr_private_segment_size 0
		.amdhsa_wavefront_size32 1
		.amdhsa_uses_dynamic_stack 0
		.amdhsa_enable_private_segment 0
		.amdhsa_system_sgpr_workgroup_id_x 1
		.amdhsa_system_sgpr_workgroup_id_y 0
		.amdhsa_system_sgpr_workgroup_id_z 0
		.amdhsa_system_sgpr_workgroup_info 0
		.amdhsa_system_vgpr_workitem_id 0
		.amdhsa_next_free_vgpr 1
		.amdhsa_next_free_sgpr 1
		.amdhsa_named_barrier_count 0
		.amdhsa_reserve_vcc 0
		.amdhsa_float_round_mode_32 0
		.amdhsa_float_round_mode_16_64 0
		.amdhsa_float_denorm_mode_32 3
		.amdhsa_float_denorm_mode_16_64 3
		.amdhsa_fp16_overflow 0
		.amdhsa_memory_ordered 1
		.amdhsa_forward_progress 1
		.amdhsa_inst_pref_size 0
		.amdhsa_round_robin_scheduling 0
		.amdhsa_exception_fp_ieee_invalid_op 0
		.amdhsa_exception_fp_denorm_src 0
		.amdhsa_exception_fp_ieee_div_zero 0
		.amdhsa_exception_fp_ieee_overflow 0
		.amdhsa_exception_fp_ieee_underflow 0
		.amdhsa_exception_fp_ieee_inexact 0
		.amdhsa_exception_int_div_zero 0
	.end_amdhsa_kernel
	.section	.text._ZN7rocprim17ROCPRIM_400000_NS6detail17trampoline_kernelINS0_14default_configENS1_36segmented_radix_sort_config_selectorIalEEZNS1_25segmented_radix_sort_implIS3_Lb1EPKaPaPKlPlN2at6native12_GLOBAL__N_18offset_tEEE10hipError_tPvRmT1_PNSt15iterator_traitsISK_E10value_typeET2_T3_PNSL_ISQ_E10value_typeET4_jRbjT5_SW_jjP12ihipStream_tbEUlT_E_NS1_11comp_targetILNS1_3genE10ELNS1_11target_archE1201ELNS1_3gpuE5ELNS1_3repE0EEENS1_30default_config_static_selectorELNS0_4arch9wavefront6targetE0EEEvSK_,"axG",@progbits,_ZN7rocprim17ROCPRIM_400000_NS6detail17trampoline_kernelINS0_14default_configENS1_36segmented_radix_sort_config_selectorIalEEZNS1_25segmented_radix_sort_implIS3_Lb1EPKaPaPKlPlN2at6native12_GLOBAL__N_18offset_tEEE10hipError_tPvRmT1_PNSt15iterator_traitsISK_E10value_typeET2_T3_PNSL_ISQ_E10value_typeET4_jRbjT5_SW_jjP12ihipStream_tbEUlT_E_NS1_11comp_targetILNS1_3genE10ELNS1_11target_archE1201ELNS1_3gpuE5ELNS1_3repE0EEENS1_30default_config_static_selectorELNS0_4arch9wavefront6targetE0EEEvSK_,comdat
.Lfunc_end294:
	.size	_ZN7rocprim17ROCPRIM_400000_NS6detail17trampoline_kernelINS0_14default_configENS1_36segmented_radix_sort_config_selectorIalEEZNS1_25segmented_radix_sort_implIS3_Lb1EPKaPaPKlPlN2at6native12_GLOBAL__N_18offset_tEEE10hipError_tPvRmT1_PNSt15iterator_traitsISK_E10value_typeET2_T3_PNSL_ISQ_E10value_typeET4_jRbjT5_SW_jjP12ihipStream_tbEUlT_E_NS1_11comp_targetILNS1_3genE10ELNS1_11target_archE1201ELNS1_3gpuE5ELNS1_3repE0EEENS1_30default_config_static_selectorELNS0_4arch9wavefront6targetE0EEEvSK_, .Lfunc_end294-_ZN7rocprim17ROCPRIM_400000_NS6detail17trampoline_kernelINS0_14default_configENS1_36segmented_radix_sort_config_selectorIalEEZNS1_25segmented_radix_sort_implIS3_Lb1EPKaPaPKlPlN2at6native12_GLOBAL__N_18offset_tEEE10hipError_tPvRmT1_PNSt15iterator_traitsISK_E10value_typeET2_T3_PNSL_ISQ_E10value_typeET4_jRbjT5_SW_jjP12ihipStream_tbEUlT_E_NS1_11comp_targetILNS1_3genE10ELNS1_11target_archE1201ELNS1_3gpuE5ELNS1_3repE0EEENS1_30default_config_static_selectorELNS0_4arch9wavefront6targetE0EEEvSK_
                                        ; -- End function
	.set _ZN7rocprim17ROCPRIM_400000_NS6detail17trampoline_kernelINS0_14default_configENS1_36segmented_radix_sort_config_selectorIalEEZNS1_25segmented_radix_sort_implIS3_Lb1EPKaPaPKlPlN2at6native12_GLOBAL__N_18offset_tEEE10hipError_tPvRmT1_PNSt15iterator_traitsISK_E10value_typeET2_T3_PNSL_ISQ_E10value_typeET4_jRbjT5_SW_jjP12ihipStream_tbEUlT_E_NS1_11comp_targetILNS1_3genE10ELNS1_11target_archE1201ELNS1_3gpuE5ELNS1_3repE0EEENS1_30default_config_static_selectorELNS0_4arch9wavefront6targetE0EEEvSK_.num_vgpr, 0
	.set _ZN7rocprim17ROCPRIM_400000_NS6detail17trampoline_kernelINS0_14default_configENS1_36segmented_radix_sort_config_selectorIalEEZNS1_25segmented_radix_sort_implIS3_Lb1EPKaPaPKlPlN2at6native12_GLOBAL__N_18offset_tEEE10hipError_tPvRmT1_PNSt15iterator_traitsISK_E10value_typeET2_T3_PNSL_ISQ_E10value_typeET4_jRbjT5_SW_jjP12ihipStream_tbEUlT_E_NS1_11comp_targetILNS1_3genE10ELNS1_11target_archE1201ELNS1_3gpuE5ELNS1_3repE0EEENS1_30default_config_static_selectorELNS0_4arch9wavefront6targetE0EEEvSK_.num_agpr, 0
	.set _ZN7rocprim17ROCPRIM_400000_NS6detail17trampoline_kernelINS0_14default_configENS1_36segmented_radix_sort_config_selectorIalEEZNS1_25segmented_radix_sort_implIS3_Lb1EPKaPaPKlPlN2at6native12_GLOBAL__N_18offset_tEEE10hipError_tPvRmT1_PNSt15iterator_traitsISK_E10value_typeET2_T3_PNSL_ISQ_E10value_typeET4_jRbjT5_SW_jjP12ihipStream_tbEUlT_E_NS1_11comp_targetILNS1_3genE10ELNS1_11target_archE1201ELNS1_3gpuE5ELNS1_3repE0EEENS1_30default_config_static_selectorELNS0_4arch9wavefront6targetE0EEEvSK_.numbered_sgpr, 0
	.set _ZN7rocprim17ROCPRIM_400000_NS6detail17trampoline_kernelINS0_14default_configENS1_36segmented_radix_sort_config_selectorIalEEZNS1_25segmented_radix_sort_implIS3_Lb1EPKaPaPKlPlN2at6native12_GLOBAL__N_18offset_tEEE10hipError_tPvRmT1_PNSt15iterator_traitsISK_E10value_typeET2_T3_PNSL_ISQ_E10value_typeET4_jRbjT5_SW_jjP12ihipStream_tbEUlT_E_NS1_11comp_targetILNS1_3genE10ELNS1_11target_archE1201ELNS1_3gpuE5ELNS1_3repE0EEENS1_30default_config_static_selectorELNS0_4arch9wavefront6targetE0EEEvSK_.num_named_barrier, 0
	.set _ZN7rocprim17ROCPRIM_400000_NS6detail17trampoline_kernelINS0_14default_configENS1_36segmented_radix_sort_config_selectorIalEEZNS1_25segmented_radix_sort_implIS3_Lb1EPKaPaPKlPlN2at6native12_GLOBAL__N_18offset_tEEE10hipError_tPvRmT1_PNSt15iterator_traitsISK_E10value_typeET2_T3_PNSL_ISQ_E10value_typeET4_jRbjT5_SW_jjP12ihipStream_tbEUlT_E_NS1_11comp_targetILNS1_3genE10ELNS1_11target_archE1201ELNS1_3gpuE5ELNS1_3repE0EEENS1_30default_config_static_selectorELNS0_4arch9wavefront6targetE0EEEvSK_.private_seg_size, 0
	.set _ZN7rocprim17ROCPRIM_400000_NS6detail17trampoline_kernelINS0_14default_configENS1_36segmented_radix_sort_config_selectorIalEEZNS1_25segmented_radix_sort_implIS3_Lb1EPKaPaPKlPlN2at6native12_GLOBAL__N_18offset_tEEE10hipError_tPvRmT1_PNSt15iterator_traitsISK_E10value_typeET2_T3_PNSL_ISQ_E10value_typeET4_jRbjT5_SW_jjP12ihipStream_tbEUlT_E_NS1_11comp_targetILNS1_3genE10ELNS1_11target_archE1201ELNS1_3gpuE5ELNS1_3repE0EEENS1_30default_config_static_selectorELNS0_4arch9wavefront6targetE0EEEvSK_.uses_vcc, 0
	.set _ZN7rocprim17ROCPRIM_400000_NS6detail17trampoline_kernelINS0_14default_configENS1_36segmented_radix_sort_config_selectorIalEEZNS1_25segmented_radix_sort_implIS3_Lb1EPKaPaPKlPlN2at6native12_GLOBAL__N_18offset_tEEE10hipError_tPvRmT1_PNSt15iterator_traitsISK_E10value_typeET2_T3_PNSL_ISQ_E10value_typeET4_jRbjT5_SW_jjP12ihipStream_tbEUlT_E_NS1_11comp_targetILNS1_3genE10ELNS1_11target_archE1201ELNS1_3gpuE5ELNS1_3repE0EEENS1_30default_config_static_selectorELNS0_4arch9wavefront6targetE0EEEvSK_.uses_flat_scratch, 0
	.set _ZN7rocprim17ROCPRIM_400000_NS6detail17trampoline_kernelINS0_14default_configENS1_36segmented_radix_sort_config_selectorIalEEZNS1_25segmented_radix_sort_implIS3_Lb1EPKaPaPKlPlN2at6native12_GLOBAL__N_18offset_tEEE10hipError_tPvRmT1_PNSt15iterator_traitsISK_E10value_typeET2_T3_PNSL_ISQ_E10value_typeET4_jRbjT5_SW_jjP12ihipStream_tbEUlT_E_NS1_11comp_targetILNS1_3genE10ELNS1_11target_archE1201ELNS1_3gpuE5ELNS1_3repE0EEENS1_30default_config_static_selectorELNS0_4arch9wavefront6targetE0EEEvSK_.has_dyn_sized_stack, 0
	.set _ZN7rocprim17ROCPRIM_400000_NS6detail17trampoline_kernelINS0_14default_configENS1_36segmented_radix_sort_config_selectorIalEEZNS1_25segmented_radix_sort_implIS3_Lb1EPKaPaPKlPlN2at6native12_GLOBAL__N_18offset_tEEE10hipError_tPvRmT1_PNSt15iterator_traitsISK_E10value_typeET2_T3_PNSL_ISQ_E10value_typeET4_jRbjT5_SW_jjP12ihipStream_tbEUlT_E_NS1_11comp_targetILNS1_3genE10ELNS1_11target_archE1201ELNS1_3gpuE5ELNS1_3repE0EEENS1_30default_config_static_selectorELNS0_4arch9wavefront6targetE0EEEvSK_.has_recursion, 0
	.set _ZN7rocprim17ROCPRIM_400000_NS6detail17trampoline_kernelINS0_14default_configENS1_36segmented_radix_sort_config_selectorIalEEZNS1_25segmented_radix_sort_implIS3_Lb1EPKaPaPKlPlN2at6native12_GLOBAL__N_18offset_tEEE10hipError_tPvRmT1_PNSt15iterator_traitsISK_E10value_typeET2_T3_PNSL_ISQ_E10value_typeET4_jRbjT5_SW_jjP12ihipStream_tbEUlT_E_NS1_11comp_targetILNS1_3genE10ELNS1_11target_archE1201ELNS1_3gpuE5ELNS1_3repE0EEENS1_30default_config_static_selectorELNS0_4arch9wavefront6targetE0EEEvSK_.has_indirect_call, 0
	.section	.AMDGPU.csdata,"",@progbits
; Kernel info:
; codeLenInByte = 0
; TotalNumSgprs: 0
; NumVgprs: 0
; ScratchSize: 0
; MemoryBound: 0
; FloatMode: 240
; IeeeMode: 1
; LDSByteSize: 0 bytes/workgroup (compile time only)
; SGPRBlocks: 0
; VGPRBlocks: 0
; NumSGPRsForWavesPerEU: 1
; NumVGPRsForWavesPerEU: 1
; NamedBarCnt: 0
; Occupancy: 16
; WaveLimiterHint : 0
; COMPUTE_PGM_RSRC2:SCRATCH_EN: 0
; COMPUTE_PGM_RSRC2:USER_SGPR: 2
; COMPUTE_PGM_RSRC2:TRAP_HANDLER: 0
; COMPUTE_PGM_RSRC2:TGID_X_EN: 1
; COMPUTE_PGM_RSRC2:TGID_Y_EN: 0
; COMPUTE_PGM_RSRC2:TGID_Z_EN: 0
; COMPUTE_PGM_RSRC2:TIDIG_COMP_CNT: 0
	.section	.text._ZN7rocprim17ROCPRIM_400000_NS6detail17trampoline_kernelINS0_14default_configENS1_36segmented_radix_sort_config_selectorIalEEZNS1_25segmented_radix_sort_implIS3_Lb1EPKaPaPKlPlN2at6native12_GLOBAL__N_18offset_tEEE10hipError_tPvRmT1_PNSt15iterator_traitsISK_E10value_typeET2_T3_PNSL_ISQ_E10value_typeET4_jRbjT5_SW_jjP12ihipStream_tbEUlT_E_NS1_11comp_targetILNS1_3genE10ELNS1_11target_archE1200ELNS1_3gpuE4ELNS1_3repE0EEENS1_30default_config_static_selectorELNS0_4arch9wavefront6targetE0EEEvSK_,"axG",@progbits,_ZN7rocprim17ROCPRIM_400000_NS6detail17trampoline_kernelINS0_14default_configENS1_36segmented_radix_sort_config_selectorIalEEZNS1_25segmented_radix_sort_implIS3_Lb1EPKaPaPKlPlN2at6native12_GLOBAL__N_18offset_tEEE10hipError_tPvRmT1_PNSt15iterator_traitsISK_E10value_typeET2_T3_PNSL_ISQ_E10value_typeET4_jRbjT5_SW_jjP12ihipStream_tbEUlT_E_NS1_11comp_targetILNS1_3genE10ELNS1_11target_archE1200ELNS1_3gpuE4ELNS1_3repE0EEENS1_30default_config_static_selectorELNS0_4arch9wavefront6targetE0EEEvSK_,comdat
	.globl	_ZN7rocprim17ROCPRIM_400000_NS6detail17trampoline_kernelINS0_14default_configENS1_36segmented_radix_sort_config_selectorIalEEZNS1_25segmented_radix_sort_implIS3_Lb1EPKaPaPKlPlN2at6native12_GLOBAL__N_18offset_tEEE10hipError_tPvRmT1_PNSt15iterator_traitsISK_E10value_typeET2_T3_PNSL_ISQ_E10value_typeET4_jRbjT5_SW_jjP12ihipStream_tbEUlT_E_NS1_11comp_targetILNS1_3genE10ELNS1_11target_archE1200ELNS1_3gpuE4ELNS1_3repE0EEENS1_30default_config_static_selectorELNS0_4arch9wavefront6targetE0EEEvSK_ ; -- Begin function _ZN7rocprim17ROCPRIM_400000_NS6detail17trampoline_kernelINS0_14default_configENS1_36segmented_radix_sort_config_selectorIalEEZNS1_25segmented_radix_sort_implIS3_Lb1EPKaPaPKlPlN2at6native12_GLOBAL__N_18offset_tEEE10hipError_tPvRmT1_PNSt15iterator_traitsISK_E10value_typeET2_T3_PNSL_ISQ_E10value_typeET4_jRbjT5_SW_jjP12ihipStream_tbEUlT_E_NS1_11comp_targetILNS1_3genE10ELNS1_11target_archE1200ELNS1_3gpuE4ELNS1_3repE0EEENS1_30default_config_static_selectorELNS0_4arch9wavefront6targetE0EEEvSK_
	.p2align	8
	.type	_ZN7rocprim17ROCPRIM_400000_NS6detail17trampoline_kernelINS0_14default_configENS1_36segmented_radix_sort_config_selectorIalEEZNS1_25segmented_radix_sort_implIS3_Lb1EPKaPaPKlPlN2at6native12_GLOBAL__N_18offset_tEEE10hipError_tPvRmT1_PNSt15iterator_traitsISK_E10value_typeET2_T3_PNSL_ISQ_E10value_typeET4_jRbjT5_SW_jjP12ihipStream_tbEUlT_E_NS1_11comp_targetILNS1_3genE10ELNS1_11target_archE1200ELNS1_3gpuE4ELNS1_3repE0EEENS1_30default_config_static_selectorELNS0_4arch9wavefront6targetE0EEEvSK_,@function
_ZN7rocprim17ROCPRIM_400000_NS6detail17trampoline_kernelINS0_14default_configENS1_36segmented_radix_sort_config_selectorIalEEZNS1_25segmented_radix_sort_implIS3_Lb1EPKaPaPKlPlN2at6native12_GLOBAL__N_18offset_tEEE10hipError_tPvRmT1_PNSt15iterator_traitsISK_E10value_typeET2_T3_PNSL_ISQ_E10value_typeET4_jRbjT5_SW_jjP12ihipStream_tbEUlT_E_NS1_11comp_targetILNS1_3genE10ELNS1_11target_archE1200ELNS1_3gpuE4ELNS1_3repE0EEENS1_30default_config_static_selectorELNS0_4arch9wavefront6targetE0EEEvSK_: ; @_ZN7rocprim17ROCPRIM_400000_NS6detail17trampoline_kernelINS0_14default_configENS1_36segmented_radix_sort_config_selectorIalEEZNS1_25segmented_radix_sort_implIS3_Lb1EPKaPaPKlPlN2at6native12_GLOBAL__N_18offset_tEEE10hipError_tPvRmT1_PNSt15iterator_traitsISK_E10value_typeET2_T3_PNSL_ISQ_E10value_typeET4_jRbjT5_SW_jjP12ihipStream_tbEUlT_E_NS1_11comp_targetILNS1_3genE10ELNS1_11target_archE1200ELNS1_3gpuE4ELNS1_3repE0EEENS1_30default_config_static_selectorELNS0_4arch9wavefront6targetE0EEEvSK_
; %bb.0:
	.section	.rodata,"a",@progbits
	.p2align	6, 0x0
	.amdhsa_kernel _ZN7rocprim17ROCPRIM_400000_NS6detail17trampoline_kernelINS0_14default_configENS1_36segmented_radix_sort_config_selectorIalEEZNS1_25segmented_radix_sort_implIS3_Lb1EPKaPaPKlPlN2at6native12_GLOBAL__N_18offset_tEEE10hipError_tPvRmT1_PNSt15iterator_traitsISK_E10value_typeET2_T3_PNSL_ISQ_E10value_typeET4_jRbjT5_SW_jjP12ihipStream_tbEUlT_E_NS1_11comp_targetILNS1_3genE10ELNS1_11target_archE1200ELNS1_3gpuE4ELNS1_3repE0EEENS1_30default_config_static_selectorELNS0_4arch9wavefront6targetE0EEEvSK_
		.amdhsa_group_segment_fixed_size 0
		.amdhsa_private_segment_fixed_size 0
		.amdhsa_kernarg_size 96
		.amdhsa_user_sgpr_count 2
		.amdhsa_user_sgpr_dispatch_ptr 0
		.amdhsa_user_sgpr_queue_ptr 0
		.amdhsa_user_sgpr_kernarg_segment_ptr 1
		.amdhsa_user_sgpr_dispatch_id 0
		.amdhsa_user_sgpr_kernarg_preload_length 0
		.amdhsa_user_sgpr_kernarg_preload_offset 0
		.amdhsa_user_sgpr_private_segment_size 0
		.amdhsa_wavefront_size32 1
		.amdhsa_uses_dynamic_stack 0
		.amdhsa_enable_private_segment 0
		.amdhsa_system_sgpr_workgroup_id_x 1
		.amdhsa_system_sgpr_workgroup_id_y 0
		.amdhsa_system_sgpr_workgroup_id_z 0
		.amdhsa_system_sgpr_workgroup_info 0
		.amdhsa_system_vgpr_workitem_id 0
		.amdhsa_next_free_vgpr 1
		.amdhsa_next_free_sgpr 1
		.amdhsa_named_barrier_count 0
		.amdhsa_reserve_vcc 0
		.amdhsa_float_round_mode_32 0
		.amdhsa_float_round_mode_16_64 0
		.amdhsa_float_denorm_mode_32 3
		.amdhsa_float_denorm_mode_16_64 3
		.amdhsa_fp16_overflow 0
		.amdhsa_memory_ordered 1
		.amdhsa_forward_progress 1
		.amdhsa_inst_pref_size 0
		.amdhsa_round_robin_scheduling 0
		.amdhsa_exception_fp_ieee_invalid_op 0
		.amdhsa_exception_fp_denorm_src 0
		.amdhsa_exception_fp_ieee_div_zero 0
		.amdhsa_exception_fp_ieee_overflow 0
		.amdhsa_exception_fp_ieee_underflow 0
		.amdhsa_exception_fp_ieee_inexact 0
		.amdhsa_exception_int_div_zero 0
	.end_amdhsa_kernel
	.section	.text._ZN7rocprim17ROCPRIM_400000_NS6detail17trampoline_kernelINS0_14default_configENS1_36segmented_radix_sort_config_selectorIalEEZNS1_25segmented_radix_sort_implIS3_Lb1EPKaPaPKlPlN2at6native12_GLOBAL__N_18offset_tEEE10hipError_tPvRmT1_PNSt15iterator_traitsISK_E10value_typeET2_T3_PNSL_ISQ_E10value_typeET4_jRbjT5_SW_jjP12ihipStream_tbEUlT_E_NS1_11comp_targetILNS1_3genE10ELNS1_11target_archE1200ELNS1_3gpuE4ELNS1_3repE0EEENS1_30default_config_static_selectorELNS0_4arch9wavefront6targetE0EEEvSK_,"axG",@progbits,_ZN7rocprim17ROCPRIM_400000_NS6detail17trampoline_kernelINS0_14default_configENS1_36segmented_radix_sort_config_selectorIalEEZNS1_25segmented_radix_sort_implIS3_Lb1EPKaPaPKlPlN2at6native12_GLOBAL__N_18offset_tEEE10hipError_tPvRmT1_PNSt15iterator_traitsISK_E10value_typeET2_T3_PNSL_ISQ_E10value_typeET4_jRbjT5_SW_jjP12ihipStream_tbEUlT_E_NS1_11comp_targetILNS1_3genE10ELNS1_11target_archE1200ELNS1_3gpuE4ELNS1_3repE0EEENS1_30default_config_static_selectorELNS0_4arch9wavefront6targetE0EEEvSK_,comdat
.Lfunc_end295:
	.size	_ZN7rocprim17ROCPRIM_400000_NS6detail17trampoline_kernelINS0_14default_configENS1_36segmented_radix_sort_config_selectorIalEEZNS1_25segmented_radix_sort_implIS3_Lb1EPKaPaPKlPlN2at6native12_GLOBAL__N_18offset_tEEE10hipError_tPvRmT1_PNSt15iterator_traitsISK_E10value_typeET2_T3_PNSL_ISQ_E10value_typeET4_jRbjT5_SW_jjP12ihipStream_tbEUlT_E_NS1_11comp_targetILNS1_3genE10ELNS1_11target_archE1200ELNS1_3gpuE4ELNS1_3repE0EEENS1_30default_config_static_selectorELNS0_4arch9wavefront6targetE0EEEvSK_, .Lfunc_end295-_ZN7rocprim17ROCPRIM_400000_NS6detail17trampoline_kernelINS0_14default_configENS1_36segmented_radix_sort_config_selectorIalEEZNS1_25segmented_radix_sort_implIS3_Lb1EPKaPaPKlPlN2at6native12_GLOBAL__N_18offset_tEEE10hipError_tPvRmT1_PNSt15iterator_traitsISK_E10value_typeET2_T3_PNSL_ISQ_E10value_typeET4_jRbjT5_SW_jjP12ihipStream_tbEUlT_E_NS1_11comp_targetILNS1_3genE10ELNS1_11target_archE1200ELNS1_3gpuE4ELNS1_3repE0EEENS1_30default_config_static_selectorELNS0_4arch9wavefront6targetE0EEEvSK_
                                        ; -- End function
	.set _ZN7rocprim17ROCPRIM_400000_NS6detail17trampoline_kernelINS0_14default_configENS1_36segmented_radix_sort_config_selectorIalEEZNS1_25segmented_radix_sort_implIS3_Lb1EPKaPaPKlPlN2at6native12_GLOBAL__N_18offset_tEEE10hipError_tPvRmT1_PNSt15iterator_traitsISK_E10value_typeET2_T3_PNSL_ISQ_E10value_typeET4_jRbjT5_SW_jjP12ihipStream_tbEUlT_E_NS1_11comp_targetILNS1_3genE10ELNS1_11target_archE1200ELNS1_3gpuE4ELNS1_3repE0EEENS1_30default_config_static_selectorELNS0_4arch9wavefront6targetE0EEEvSK_.num_vgpr, 0
	.set _ZN7rocprim17ROCPRIM_400000_NS6detail17trampoline_kernelINS0_14default_configENS1_36segmented_radix_sort_config_selectorIalEEZNS1_25segmented_radix_sort_implIS3_Lb1EPKaPaPKlPlN2at6native12_GLOBAL__N_18offset_tEEE10hipError_tPvRmT1_PNSt15iterator_traitsISK_E10value_typeET2_T3_PNSL_ISQ_E10value_typeET4_jRbjT5_SW_jjP12ihipStream_tbEUlT_E_NS1_11comp_targetILNS1_3genE10ELNS1_11target_archE1200ELNS1_3gpuE4ELNS1_3repE0EEENS1_30default_config_static_selectorELNS0_4arch9wavefront6targetE0EEEvSK_.num_agpr, 0
	.set _ZN7rocprim17ROCPRIM_400000_NS6detail17trampoline_kernelINS0_14default_configENS1_36segmented_radix_sort_config_selectorIalEEZNS1_25segmented_radix_sort_implIS3_Lb1EPKaPaPKlPlN2at6native12_GLOBAL__N_18offset_tEEE10hipError_tPvRmT1_PNSt15iterator_traitsISK_E10value_typeET2_T3_PNSL_ISQ_E10value_typeET4_jRbjT5_SW_jjP12ihipStream_tbEUlT_E_NS1_11comp_targetILNS1_3genE10ELNS1_11target_archE1200ELNS1_3gpuE4ELNS1_3repE0EEENS1_30default_config_static_selectorELNS0_4arch9wavefront6targetE0EEEvSK_.numbered_sgpr, 0
	.set _ZN7rocprim17ROCPRIM_400000_NS6detail17trampoline_kernelINS0_14default_configENS1_36segmented_radix_sort_config_selectorIalEEZNS1_25segmented_radix_sort_implIS3_Lb1EPKaPaPKlPlN2at6native12_GLOBAL__N_18offset_tEEE10hipError_tPvRmT1_PNSt15iterator_traitsISK_E10value_typeET2_T3_PNSL_ISQ_E10value_typeET4_jRbjT5_SW_jjP12ihipStream_tbEUlT_E_NS1_11comp_targetILNS1_3genE10ELNS1_11target_archE1200ELNS1_3gpuE4ELNS1_3repE0EEENS1_30default_config_static_selectorELNS0_4arch9wavefront6targetE0EEEvSK_.num_named_barrier, 0
	.set _ZN7rocprim17ROCPRIM_400000_NS6detail17trampoline_kernelINS0_14default_configENS1_36segmented_radix_sort_config_selectorIalEEZNS1_25segmented_radix_sort_implIS3_Lb1EPKaPaPKlPlN2at6native12_GLOBAL__N_18offset_tEEE10hipError_tPvRmT1_PNSt15iterator_traitsISK_E10value_typeET2_T3_PNSL_ISQ_E10value_typeET4_jRbjT5_SW_jjP12ihipStream_tbEUlT_E_NS1_11comp_targetILNS1_3genE10ELNS1_11target_archE1200ELNS1_3gpuE4ELNS1_3repE0EEENS1_30default_config_static_selectorELNS0_4arch9wavefront6targetE0EEEvSK_.private_seg_size, 0
	.set _ZN7rocprim17ROCPRIM_400000_NS6detail17trampoline_kernelINS0_14default_configENS1_36segmented_radix_sort_config_selectorIalEEZNS1_25segmented_radix_sort_implIS3_Lb1EPKaPaPKlPlN2at6native12_GLOBAL__N_18offset_tEEE10hipError_tPvRmT1_PNSt15iterator_traitsISK_E10value_typeET2_T3_PNSL_ISQ_E10value_typeET4_jRbjT5_SW_jjP12ihipStream_tbEUlT_E_NS1_11comp_targetILNS1_3genE10ELNS1_11target_archE1200ELNS1_3gpuE4ELNS1_3repE0EEENS1_30default_config_static_selectorELNS0_4arch9wavefront6targetE0EEEvSK_.uses_vcc, 0
	.set _ZN7rocprim17ROCPRIM_400000_NS6detail17trampoline_kernelINS0_14default_configENS1_36segmented_radix_sort_config_selectorIalEEZNS1_25segmented_radix_sort_implIS3_Lb1EPKaPaPKlPlN2at6native12_GLOBAL__N_18offset_tEEE10hipError_tPvRmT1_PNSt15iterator_traitsISK_E10value_typeET2_T3_PNSL_ISQ_E10value_typeET4_jRbjT5_SW_jjP12ihipStream_tbEUlT_E_NS1_11comp_targetILNS1_3genE10ELNS1_11target_archE1200ELNS1_3gpuE4ELNS1_3repE0EEENS1_30default_config_static_selectorELNS0_4arch9wavefront6targetE0EEEvSK_.uses_flat_scratch, 0
	.set _ZN7rocprim17ROCPRIM_400000_NS6detail17trampoline_kernelINS0_14default_configENS1_36segmented_radix_sort_config_selectorIalEEZNS1_25segmented_radix_sort_implIS3_Lb1EPKaPaPKlPlN2at6native12_GLOBAL__N_18offset_tEEE10hipError_tPvRmT1_PNSt15iterator_traitsISK_E10value_typeET2_T3_PNSL_ISQ_E10value_typeET4_jRbjT5_SW_jjP12ihipStream_tbEUlT_E_NS1_11comp_targetILNS1_3genE10ELNS1_11target_archE1200ELNS1_3gpuE4ELNS1_3repE0EEENS1_30default_config_static_selectorELNS0_4arch9wavefront6targetE0EEEvSK_.has_dyn_sized_stack, 0
	.set _ZN7rocprim17ROCPRIM_400000_NS6detail17trampoline_kernelINS0_14default_configENS1_36segmented_radix_sort_config_selectorIalEEZNS1_25segmented_radix_sort_implIS3_Lb1EPKaPaPKlPlN2at6native12_GLOBAL__N_18offset_tEEE10hipError_tPvRmT1_PNSt15iterator_traitsISK_E10value_typeET2_T3_PNSL_ISQ_E10value_typeET4_jRbjT5_SW_jjP12ihipStream_tbEUlT_E_NS1_11comp_targetILNS1_3genE10ELNS1_11target_archE1200ELNS1_3gpuE4ELNS1_3repE0EEENS1_30default_config_static_selectorELNS0_4arch9wavefront6targetE0EEEvSK_.has_recursion, 0
	.set _ZN7rocprim17ROCPRIM_400000_NS6detail17trampoline_kernelINS0_14default_configENS1_36segmented_radix_sort_config_selectorIalEEZNS1_25segmented_radix_sort_implIS3_Lb1EPKaPaPKlPlN2at6native12_GLOBAL__N_18offset_tEEE10hipError_tPvRmT1_PNSt15iterator_traitsISK_E10value_typeET2_T3_PNSL_ISQ_E10value_typeET4_jRbjT5_SW_jjP12ihipStream_tbEUlT_E_NS1_11comp_targetILNS1_3genE10ELNS1_11target_archE1200ELNS1_3gpuE4ELNS1_3repE0EEENS1_30default_config_static_selectorELNS0_4arch9wavefront6targetE0EEEvSK_.has_indirect_call, 0
	.section	.AMDGPU.csdata,"",@progbits
; Kernel info:
; codeLenInByte = 0
; TotalNumSgprs: 0
; NumVgprs: 0
; ScratchSize: 0
; MemoryBound: 0
; FloatMode: 240
; IeeeMode: 1
; LDSByteSize: 0 bytes/workgroup (compile time only)
; SGPRBlocks: 0
; VGPRBlocks: 0
; NumSGPRsForWavesPerEU: 1
; NumVGPRsForWavesPerEU: 1
; NamedBarCnt: 0
; Occupancy: 16
; WaveLimiterHint : 0
; COMPUTE_PGM_RSRC2:SCRATCH_EN: 0
; COMPUTE_PGM_RSRC2:USER_SGPR: 2
; COMPUTE_PGM_RSRC2:TRAP_HANDLER: 0
; COMPUTE_PGM_RSRC2:TGID_X_EN: 1
; COMPUTE_PGM_RSRC2:TGID_Y_EN: 0
; COMPUTE_PGM_RSRC2:TGID_Z_EN: 0
; COMPUTE_PGM_RSRC2:TIDIG_COMP_CNT: 0
	.section	.text._ZN7rocprim17ROCPRIM_400000_NS6detail17trampoline_kernelINS0_14default_configENS1_36segmented_radix_sort_config_selectorIalEEZNS1_25segmented_radix_sort_implIS3_Lb1EPKaPaPKlPlN2at6native12_GLOBAL__N_18offset_tEEE10hipError_tPvRmT1_PNSt15iterator_traitsISK_E10value_typeET2_T3_PNSL_ISQ_E10value_typeET4_jRbjT5_SW_jjP12ihipStream_tbEUlT_E_NS1_11comp_targetILNS1_3genE9ELNS1_11target_archE1100ELNS1_3gpuE3ELNS1_3repE0EEENS1_30default_config_static_selectorELNS0_4arch9wavefront6targetE0EEEvSK_,"axG",@progbits,_ZN7rocprim17ROCPRIM_400000_NS6detail17trampoline_kernelINS0_14default_configENS1_36segmented_radix_sort_config_selectorIalEEZNS1_25segmented_radix_sort_implIS3_Lb1EPKaPaPKlPlN2at6native12_GLOBAL__N_18offset_tEEE10hipError_tPvRmT1_PNSt15iterator_traitsISK_E10value_typeET2_T3_PNSL_ISQ_E10value_typeET4_jRbjT5_SW_jjP12ihipStream_tbEUlT_E_NS1_11comp_targetILNS1_3genE9ELNS1_11target_archE1100ELNS1_3gpuE3ELNS1_3repE0EEENS1_30default_config_static_selectorELNS0_4arch9wavefront6targetE0EEEvSK_,comdat
	.globl	_ZN7rocprim17ROCPRIM_400000_NS6detail17trampoline_kernelINS0_14default_configENS1_36segmented_radix_sort_config_selectorIalEEZNS1_25segmented_radix_sort_implIS3_Lb1EPKaPaPKlPlN2at6native12_GLOBAL__N_18offset_tEEE10hipError_tPvRmT1_PNSt15iterator_traitsISK_E10value_typeET2_T3_PNSL_ISQ_E10value_typeET4_jRbjT5_SW_jjP12ihipStream_tbEUlT_E_NS1_11comp_targetILNS1_3genE9ELNS1_11target_archE1100ELNS1_3gpuE3ELNS1_3repE0EEENS1_30default_config_static_selectorELNS0_4arch9wavefront6targetE0EEEvSK_ ; -- Begin function _ZN7rocprim17ROCPRIM_400000_NS6detail17trampoline_kernelINS0_14default_configENS1_36segmented_radix_sort_config_selectorIalEEZNS1_25segmented_radix_sort_implIS3_Lb1EPKaPaPKlPlN2at6native12_GLOBAL__N_18offset_tEEE10hipError_tPvRmT1_PNSt15iterator_traitsISK_E10value_typeET2_T3_PNSL_ISQ_E10value_typeET4_jRbjT5_SW_jjP12ihipStream_tbEUlT_E_NS1_11comp_targetILNS1_3genE9ELNS1_11target_archE1100ELNS1_3gpuE3ELNS1_3repE0EEENS1_30default_config_static_selectorELNS0_4arch9wavefront6targetE0EEEvSK_
	.p2align	8
	.type	_ZN7rocprim17ROCPRIM_400000_NS6detail17trampoline_kernelINS0_14default_configENS1_36segmented_radix_sort_config_selectorIalEEZNS1_25segmented_radix_sort_implIS3_Lb1EPKaPaPKlPlN2at6native12_GLOBAL__N_18offset_tEEE10hipError_tPvRmT1_PNSt15iterator_traitsISK_E10value_typeET2_T3_PNSL_ISQ_E10value_typeET4_jRbjT5_SW_jjP12ihipStream_tbEUlT_E_NS1_11comp_targetILNS1_3genE9ELNS1_11target_archE1100ELNS1_3gpuE3ELNS1_3repE0EEENS1_30default_config_static_selectorELNS0_4arch9wavefront6targetE0EEEvSK_,@function
_ZN7rocprim17ROCPRIM_400000_NS6detail17trampoline_kernelINS0_14default_configENS1_36segmented_radix_sort_config_selectorIalEEZNS1_25segmented_radix_sort_implIS3_Lb1EPKaPaPKlPlN2at6native12_GLOBAL__N_18offset_tEEE10hipError_tPvRmT1_PNSt15iterator_traitsISK_E10value_typeET2_T3_PNSL_ISQ_E10value_typeET4_jRbjT5_SW_jjP12ihipStream_tbEUlT_E_NS1_11comp_targetILNS1_3genE9ELNS1_11target_archE1100ELNS1_3gpuE3ELNS1_3repE0EEENS1_30default_config_static_selectorELNS0_4arch9wavefront6targetE0EEEvSK_: ; @_ZN7rocprim17ROCPRIM_400000_NS6detail17trampoline_kernelINS0_14default_configENS1_36segmented_radix_sort_config_selectorIalEEZNS1_25segmented_radix_sort_implIS3_Lb1EPKaPaPKlPlN2at6native12_GLOBAL__N_18offset_tEEE10hipError_tPvRmT1_PNSt15iterator_traitsISK_E10value_typeET2_T3_PNSL_ISQ_E10value_typeET4_jRbjT5_SW_jjP12ihipStream_tbEUlT_E_NS1_11comp_targetILNS1_3genE9ELNS1_11target_archE1100ELNS1_3gpuE3ELNS1_3repE0EEENS1_30default_config_static_selectorELNS0_4arch9wavefront6targetE0EEEvSK_
; %bb.0:
	.section	.rodata,"a",@progbits
	.p2align	6, 0x0
	.amdhsa_kernel _ZN7rocprim17ROCPRIM_400000_NS6detail17trampoline_kernelINS0_14default_configENS1_36segmented_radix_sort_config_selectorIalEEZNS1_25segmented_radix_sort_implIS3_Lb1EPKaPaPKlPlN2at6native12_GLOBAL__N_18offset_tEEE10hipError_tPvRmT1_PNSt15iterator_traitsISK_E10value_typeET2_T3_PNSL_ISQ_E10value_typeET4_jRbjT5_SW_jjP12ihipStream_tbEUlT_E_NS1_11comp_targetILNS1_3genE9ELNS1_11target_archE1100ELNS1_3gpuE3ELNS1_3repE0EEENS1_30default_config_static_selectorELNS0_4arch9wavefront6targetE0EEEvSK_
		.amdhsa_group_segment_fixed_size 0
		.amdhsa_private_segment_fixed_size 0
		.amdhsa_kernarg_size 96
		.amdhsa_user_sgpr_count 2
		.amdhsa_user_sgpr_dispatch_ptr 0
		.amdhsa_user_sgpr_queue_ptr 0
		.amdhsa_user_sgpr_kernarg_segment_ptr 1
		.amdhsa_user_sgpr_dispatch_id 0
		.amdhsa_user_sgpr_kernarg_preload_length 0
		.amdhsa_user_sgpr_kernarg_preload_offset 0
		.amdhsa_user_sgpr_private_segment_size 0
		.amdhsa_wavefront_size32 1
		.amdhsa_uses_dynamic_stack 0
		.amdhsa_enable_private_segment 0
		.amdhsa_system_sgpr_workgroup_id_x 1
		.amdhsa_system_sgpr_workgroup_id_y 0
		.amdhsa_system_sgpr_workgroup_id_z 0
		.amdhsa_system_sgpr_workgroup_info 0
		.amdhsa_system_vgpr_workitem_id 0
		.amdhsa_next_free_vgpr 1
		.amdhsa_next_free_sgpr 1
		.amdhsa_named_barrier_count 0
		.amdhsa_reserve_vcc 0
		.amdhsa_float_round_mode_32 0
		.amdhsa_float_round_mode_16_64 0
		.amdhsa_float_denorm_mode_32 3
		.amdhsa_float_denorm_mode_16_64 3
		.amdhsa_fp16_overflow 0
		.amdhsa_memory_ordered 1
		.amdhsa_forward_progress 1
		.amdhsa_inst_pref_size 0
		.amdhsa_round_robin_scheduling 0
		.amdhsa_exception_fp_ieee_invalid_op 0
		.amdhsa_exception_fp_denorm_src 0
		.amdhsa_exception_fp_ieee_div_zero 0
		.amdhsa_exception_fp_ieee_overflow 0
		.amdhsa_exception_fp_ieee_underflow 0
		.amdhsa_exception_fp_ieee_inexact 0
		.amdhsa_exception_int_div_zero 0
	.end_amdhsa_kernel
	.section	.text._ZN7rocprim17ROCPRIM_400000_NS6detail17trampoline_kernelINS0_14default_configENS1_36segmented_radix_sort_config_selectorIalEEZNS1_25segmented_radix_sort_implIS3_Lb1EPKaPaPKlPlN2at6native12_GLOBAL__N_18offset_tEEE10hipError_tPvRmT1_PNSt15iterator_traitsISK_E10value_typeET2_T3_PNSL_ISQ_E10value_typeET4_jRbjT5_SW_jjP12ihipStream_tbEUlT_E_NS1_11comp_targetILNS1_3genE9ELNS1_11target_archE1100ELNS1_3gpuE3ELNS1_3repE0EEENS1_30default_config_static_selectorELNS0_4arch9wavefront6targetE0EEEvSK_,"axG",@progbits,_ZN7rocprim17ROCPRIM_400000_NS6detail17trampoline_kernelINS0_14default_configENS1_36segmented_radix_sort_config_selectorIalEEZNS1_25segmented_radix_sort_implIS3_Lb1EPKaPaPKlPlN2at6native12_GLOBAL__N_18offset_tEEE10hipError_tPvRmT1_PNSt15iterator_traitsISK_E10value_typeET2_T3_PNSL_ISQ_E10value_typeET4_jRbjT5_SW_jjP12ihipStream_tbEUlT_E_NS1_11comp_targetILNS1_3genE9ELNS1_11target_archE1100ELNS1_3gpuE3ELNS1_3repE0EEENS1_30default_config_static_selectorELNS0_4arch9wavefront6targetE0EEEvSK_,comdat
.Lfunc_end296:
	.size	_ZN7rocprim17ROCPRIM_400000_NS6detail17trampoline_kernelINS0_14default_configENS1_36segmented_radix_sort_config_selectorIalEEZNS1_25segmented_radix_sort_implIS3_Lb1EPKaPaPKlPlN2at6native12_GLOBAL__N_18offset_tEEE10hipError_tPvRmT1_PNSt15iterator_traitsISK_E10value_typeET2_T3_PNSL_ISQ_E10value_typeET4_jRbjT5_SW_jjP12ihipStream_tbEUlT_E_NS1_11comp_targetILNS1_3genE9ELNS1_11target_archE1100ELNS1_3gpuE3ELNS1_3repE0EEENS1_30default_config_static_selectorELNS0_4arch9wavefront6targetE0EEEvSK_, .Lfunc_end296-_ZN7rocprim17ROCPRIM_400000_NS6detail17trampoline_kernelINS0_14default_configENS1_36segmented_radix_sort_config_selectorIalEEZNS1_25segmented_radix_sort_implIS3_Lb1EPKaPaPKlPlN2at6native12_GLOBAL__N_18offset_tEEE10hipError_tPvRmT1_PNSt15iterator_traitsISK_E10value_typeET2_T3_PNSL_ISQ_E10value_typeET4_jRbjT5_SW_jjP12ihipStream_tbEUlT_E_NS1_11comp_targetILNS1_3genE9ELNS1_11target_archE1100ELNS1_3gpuE3ELNS1_3repE0EEENS1_30default_config_static_selectorELNS0_4arch9wavefront6targetE0EEEvSK_
                                        ; -- End function
	.set _ZN7rocprim17ROCPRIM_400000_NS6detail17trampoline_kernelINS0_14default_configENS1_36segmented_radix_sort_config_selectorIalEEZNS1_25segmented_radix_sort_implIS3_Lb1EPKaPaPKlPlN2at6native12_GLOBAL__N_18offset_tEEE10hipError_tPvRmT1_PNSt15iterator_traitsISK_E10value_typeET2_T3_PNSL_ISQ_E10value_typeET4_jRbjT5_SW_jjP12ihipStream_tbEUlT_E_NS1_11comp_targetILNS1_3genE9ELNS1_11target_archE1100ELNS1_3gpuE3ELNS1_3repE0EEENS1_30default_config_static_selectorELNS0_4arch9wavefront6targetE0EEEvSK_.num_vgpr, 0
	.set _ZN7rocprim17ROCPRIM_400000_NS6detail17trampoline_kernelINS0_14default_configENS1_36segmented_radix_sort_config_selectorIalEEZNS1_25segmented_radix_sort_implIS3_Lb1EPKaPaPKlPlN2at6native12_GLOBAL__N_18offset_tEEE10hipError_tPvRmT1_PNSt15iterator_traitsISK_E10value_typeET2_T3_PNSL_ISQ_E10value_typeET4_jRbjT5_SW_jjP12ihipStream_tbEUlT_E_NS1_11comp_targetILNS1_3genE9ELNS1_11target_archE1100ELNS1_3gpuE3ELNS1_3repE0EEENS1_30default_config_static_selectorELNS0_4arch9wavefront6targetE0EEEvSK_.num_agpr, 0
	.set _ZN7rocprim17ROCPRIM_400000_NS6detail17trampoline_kernelINS0_14default_configENS1_36segmented_radix_sort_config_selectorIalEEZNS1_25segmented_radix_sort_implIS3_Lb1EPKaPaPKlPlN2at6native12_GLOBAL__N_18offset_tEEE10hipError_tPvRmT1_PNSt15iterator_traitsISK_E10value_typeET2_T3_PNSL_ISQ_E10value_typeET4_jRbjT5_SW_jjP12ihipStream_tbEUlT_E_NS1_11comp_targetILNS1_3genE9ELNS1_11target_archE1100ELNS1_3gpuE3ELNS1_3repE0EEENS1_30default_config_static_selectorELNS0_4arch9wavefront6targetE0EEEvSK_.numbered_sgpr, 0
	.set _ZN7rocprim17ROCPRIM_400000_NS6detail17trampoline_kernelINS0_14default_configENS1_36segmented_radix_sort_config_selectorIalEEZNS1_25segmented_radix_sort_implIS3_Lb1EPKaPaPKlPlN2at6native12_GLOBAL__N_18offset_tEEE10hipError_tPvRmT1_PNSt15iterator_traitsISK_E10value_typeET2_T3_PNSL_ISQ_E10value_typeET4_jRbjT5_SW_jjP12ihipStream_tbEUlT_E_NS1_11comp_targetILNS1_3genE9ELNS1_11target_archE1100ELNS1_3gpuE3ELNS1_3repE0EEENS1_30default_config_static_selectorELNS0_4arch9wavefront6targetE0EEEvSK_.num_named_barrier, 0
	.set _ZN7rocprim17ROCPRIM_400000_NS6detail17trampoline_kernelINS0_14default_configENS1_36segmented_radix_sort_config_selectorIalEEZNS1_25segmented_radix_sort_implIS3_Lb1EPKaPaPKlPlN2at6native12_GLOBAL__N_18offset_tEEE10hipError_tPvRmT1_PNSt15iterator_traitsISK_E10value_typeET2_T3_PNSL_ISQ_E10value_typeET4_jRbjT5_SW_jjP12ihipStream_tbEUlT_E_NS1_11comp_targetILNS1_3genE9ELNS1_11target_archE1100ELNS1_3gpuE3ELNS1_3repE0EEENS1_30default_config_static_selectorELNS0_4arch9wavefront6targetE0EEEvSK_.private_seg_size, 0
	.set _ZN7rocprim17ROCPRIM_400000_NS6detail17trampoline_kernelINS0_14default_configENS1_36segmented_radix_sort_config_selectorIalEEZNS1_25segmented_radix_sort_implIS3_Lb1EPKaPaPKlPlN2at6native12_GLOBAL__N_18offset_tEEE10hipError_tPvRmT1_PNSt15iterator_traitsISK_E10value_typeET2_T3_PNSL_ISQ_E10value_typeET4_jRbjT5_SW_jjP12ihipStream_tbEUlT_E_NS1_11comp_targetILNS1_3genE9ELNS1_11target_archE1100ELNS1_3gpuE3ELNS1_3repE0EEENS1_30default_config_static_selectorELNS0_4arch9wavefront6targetE0EEEvSK_.uses_vcc, 0
	.set _ZN7rocprim17ROCPRIM_400000_NS6detail17trampoline_kernelINS0_14default_configENS1_36segmented_radix_sort_config_selectorIalEEZNS1_25segmented_radix_sort_implIS3_Lb1EPKaPaPKlPlN2at6native12_GLOBAL__N_18offset_tEEE10hipError_tPvRmT1_PNSt15iterator_traitsISK_E10value_typeET2_T3_PNSL_ISQ_E10value_typeET4_jRbjT5_SW_jjP12ihipStream_tbEUlT_E_NS1_11comp_targetILNS1_3genE9ELNS1_11target_archE1100ELNS1_3gpuE3ELNS1_3repE0EEENS1_30default_config_static_selectorELNS0_4arch9wavefront6targetE0EEEvSK_.uses_flat_scratch, 0
	.set _ZN7rocprim17ROCPRIM_400000_NS6detail17trampoline_kernelINS0_14default_configENS1_36segmented_radix_sort_config_selectorIalEEZNS1_25segmented_radix_sort_implIS3_Lb1EPKaPaPKlPlN2at6native12_GLOBAL__N_18offset_tEEE10hipError_tPvRmT1_PNSt15iterator_traitsISK_E10value_typeET2_T3_PNSL_ISQ_E10value_typeET4_jRbjT5_SW_jjP12ihipStream_tbEUlT_E_NS1_11comp_targetILNS1_3genE9ELNS1_11target_archE1100ELNS1_3gpuE3ELNS1_3repE0EEENS1_30default_config_static_selectorELNS0_4arch9wavefront6targetE0EEEvSK_.has_dyn_sized_stack, 0
	.set _ZN7rocprim17ROCPRIM_400000_NS6detail17trampoline_kernelINS0_14default_configENS1_36segmented_radix_sort_config_selectorIalEEZNS1_25segmented_radix_sort_implIS3_Lb1EPKaPaPKlPlN2at6native12_GLOBAL__N_18offset_tEEE10hipError_tPvRmT1_PNSt15iterator_traitsISK_E10value_typeET2_T3_PNSL_ISQ_E10value_typeET4_jRbjT5_SW_jjP12ihipStream_tbEUlT_E_NS1_11comp_targetILNS1_3genE9ELNS1_11target_archE1100ELNS1_3gpuE3ELNS1_3repE0EEENS1_30default_config_static_selectorELNS0_4arch9wavefront6targetE0EEEvSK_.has_recursion, 0
	.set _ZN7rocprim17ROCPRIM_400000_NS6detail17trampoline_kernelINS0_14default_configENS1_36segmented_radix_sort_config_selectorIalEEZNS1_25segmented_radix_sort_implIS3_Lb1EPKaPaPKlPlN2at6native12_GLOBAL__N_18offset_tEEE10hipError_tPvRmT1_PNSt15iterator_traitsISK_E10value_typeET2_T3_PNSL_ISQ_E10value_typeET4_jRbjT5_SW_jjP12ihipStream_tbEUlT_E_NS1_11comp_targetILNS1_3genE9ELNS1_11target_archE1100ELNS1_3gpuE3ELNS1_3repE0EEENS1_30default_config_static_selectorELNS0_4arch9wavefront6targetE0EEEvSK_.has_indirect_call, 0
	.section	.AMDGPU.csdata,"",@progbits
; Kernel info:
; codeLenInByte = 0
; TotalNumSgprs: 0
; NumVgprs: 0
; ScratchSize: 0
; MemoryBound: 0
; FloatMode: 240
; IeeeMode: 1
; LDSByteSize: 0 bytes/workgroup (compile time only)
; SGPRBlocks: 0
; VGPRBlocks: 0
; NumSGPRsForWavesPerEU: 1
; NumVGPRsForWavesPerEU: 1
; NamedBarCnt: 0
; Occupancy: 16
; WaveLimiterHint : 0
; COMPUTE_PGM_RSRC2:SCRATCH_EN: 0
; COMPUTE_PGM_RSRC2:USER_SGPR: 2
; COMPUTE_PGM_RSRC2:TRAP_HANDLER: 0
; COMPUTE_PGM_RSRC2:TGID_X_EN: 1
; COMPUTE_PGM_RSRC2:TGID_Y_EN: 0
; COMPUTE_PGM_RSRC2:TGID_Z_EN: 0
; COMPUTE_PGM_RSRC2:TIDIG_COMP_CNT: 0
	.section	.text._ZN7rocprim17ROCPRIM_400000_NS6detail17trampoline_kernelINS0_14default_configENS1_36segmented_radix_sort_config_selectorIalEEZNS1_25segmented_radix_sort_implIS3_Lb1EPKaPaPKlPlN2at6native12_GLOBAL__N_18offset_tEEE10hipError_tPvRmT1_PNSt15iterator_traitsISK_E10value_typeET2_T3_PNSL_ISQ_E10value_typeET4_jRbjT5_SW_jjP12ihipStream_tbEUlT_E_NS1_11comp_targetILNS1_3genE8ELNS1_11target_archE1030ELNS1_3gpuE2ELNS1_3repE0EEENS1_30default_config_static_selectorELNS0_4arch9wavefront6targetE0EEEvSK_,"axG",@progbits,_ZN7rocprim17ROCPRIM_400000_NS6detail17trampoline_kernelINS0_14default_configENS1_36segmented_radix_sort_config_selectorIalEEZNS1_25segmented_radix_sort_implIS3_Lb1EPKaPaPKlPlN2at6native12_GLOBAL__N_18offset_tEEE10hipError_tPvRmT1_PNSt15iterator_traitsISK_E10value_typeET2_T3_PNSL_ISQ_E10value_typeET4_jRbjT5_SW_jjP12ihipStream_tbEUlT_E_NS1_11comp_targetILNS1_3genE8ELNS1_11target_archE1030ELNS1_3gpuE2ELNS1_3repE0EEENS1_30default_config_static_selectorELNS0_4arch9wavefront6targetE0EEEvSK_,comdat
	.globl	_ZN7rocprim17ROCPRIM_400000_NS6detail17trampoline_kernelINS0_14default_configENS1_36segmented_radix_sort_config_selectorIalEEZNS1_25segmented_radix_sort_implIS3_Lb1EPKaPaPKlPlN2at6native12_GLOBAL__N_18offset_tEEE10hipError_tPvRmT1_PNSt15iterator_traitsISK_E10value_typeET2_T3_PNSL_ISQ_E10value_typeET4_jRbjT5_SW_jjP12ihipStream_tbEUlT_E_NS1_11comp_targetILNS1_3genE8ELNS1_11target_archE1030ELNS1_3gpuE2ELNS1_3repE0EEENS1_30default_config_static_selectorELNS0_4arch9wavefront6targetE0EEEvSK_ ; -- Begin function _ZN7rocprim17ROCPRIM_400000_NS6detail17trampoline_kernelINS0_14default_configENS1_36segmented_radix_sort_config_selectorIalEEZNS1_25segmented_radix_sort_implIS3_Lb1EPKaPaPKlPlN2at6native12_GLOBAL__N_18offset_tEEE10hipError_tPvRmT1_PNSt15iterator_traitsISK_E10value_typeET2_T3_PNSL_ISQ_E10value_typeET4_jRbjT5_SW_jjP12ihipStream_tbEUlT_E_NS1_11comp_targetILNS1_3genE8ELNS1_11target_archE1030ELNS1_3gpuE2ELNS1_3repE0EEENS1_30default_config_static_selectorELNS0_4arch9wavefront6targetE0EEEvSK_
	.p2align	8
	.type	_ZN7rocprim17ROCPRIM_400000_NS6detail17trampoline_kernelINS0_14default_configENS1_36segmented_radix_sort_config_selectorIalEEZNS1_25segmented_radix_sort_implIS3_Lb1EPKaPaPKlPlN2at6native12_GLOBAL__N_18offset_tEEE10hipError_tPvRmT1_PNSt15iterator_traitsISK_E10value_typeET2_T3_PNSL_ISQ_E10value_typeET4_jRbjT5_SW_jjP12ihipStream_tbEUlT_E_NS1_11comp_targetILNS1_3genE8ELNS1_11target_archE1030ELNS1_3gpuE2ELNS1_3repE0EEENS1_30default_config_static_selectorELNS0_4arch9wavefront6targetE0EEEvSK_,@function
_ZN7rocprim17ROCPRIM_400000_NS6detail17trampoline_kernelINS0_14default_configENS1_36segmented_radix_sort_config_selectorIalEEZNS1_25segmented_radix_sort_implIS3_Lb1EPKaPaPKlPlN2at6native12_GLOBAL__N_18offset_tEEE10hipError_tPvRmT1_PNSt15iterator_traitsISK_E10value_typeET2_T3_PNSL_ISQ_E10value_typeET4_jRbjT5_SW_jjP12ihipStream_tbEUlT_E_NS1_11comp_targetILNS1_3genE8ELNS1_11target_archE1030ELNS1_3gpuE2ELNS1_3repE0EEENS1_30default_config_static_selectorELNS0_4arch9wavefront6targetE0EEEvSK_: ; @_ZN7rocprim17ROCPRIM_400000_NS6detail17trampoline_kernelINS0_14default_configENS1_36segmented_radix_sort_config_selectorIalEEZNS1_25segmented_radix_sort_implIS3_Lb1EPKaPaPKlPlN2at6native12_GLOBAL__N_18offset_tEEE10hipError_tPvRmT1_PNSt15iterator_traitsISK_E10value_typeET2_T3_PNSL_ISQ_E10value_typeET4_jRbjT5_SW_jjP12ihipStream_tbEUlT_E_NS1_11comp_targetILNS1_3genE8ELNS1_11target_archE1030ELNS1_3gpuE2ELNS1_3repE0EEENS1_30default_config_static_selectorELNS0_4arch9wavefront6targetE0EEEvSK_
; %bb.0:
	.section	.rodata,"a",@progbits
	.p2align	6, 0x0
	.amdhsa_kernel _ZN7rocprim17ROCPRIM_400000_NS6detail17trampoline_kernelINS0_14default_configENS1_36segmented_radix_sort_config_selectorIalEEZNS1_25segmented_radix_sort_implIS3_Lb1EPKaPaPKlPlN2at6native12_GLOBAL__N_18offset_tEEE10hipError_tPvRmT1_PNSt15iterator_traitsISK_E10value_typeET2_T3_PNSL_ISQ_E10value_typeET4_jRbjT5_SW_jjP12ihipStream_tbEUlT_E_NS1_11comp_targetILNS1_3genE8ELNS1_11target_archE1030ELNS1_3gpuE2ELNS1_3repE0EEENS1_30default_config_static_selectorELNS0_4arch9wavefront6targetE0EEEvSK_
		.amdhsa_group_segment_fixed_size 0
		.amdhsa_private_segment_fixed_size 0
		.amdhsa_kernarg_size 96
		.amdhsa_user_sgpr_count 2
		.amdhsa_user_sgpr_dispatch_ptr 0
		.amdhsa_user_sgpr_queue_ptr 0
		.amdhsa_user_sgpr_kernarg_segment_ptr 1
		.amdhsa_user_sgpr_dispatch_id 0
		.amdhsa_user_sgpr_kernarg_preload_length 0
		.amdhsa_user_sgpr_kernarg_preload_offset 0
		.amdhsa_user_sgpr_private_segment_size 0
		.amdhsa_wavefront_size32 1
		.amdhsa_uses_dynamic_stack 0
		.amdhsa_enable_private_segment 0
		.amdhsa_system_sgpr_workgroup_id_x 1
		.amdhsa_system_sgpr_workgroup_id_y 0
		.amdhsa_system_sgpr_workgroup_id_z 0
		.amdhsa_system_sgpr_workgroup_info 0
		.amdhsa_system_vgpr_workitem_id 0
		.amdhsa_next_free_vgpr 1
		.amdhsa_next_free_sgpr 1
		.amdhsa_named_barrier_count 0
		.amdhsa_reserve_vcc 0
		.amdhsa_float_round_mode_32 0
		.amdhsa_float_round_mode_16_64 0
		.amdhsa_float_denorm_mode_32 3
		.amdhsa_float_denorm_mode_16_64 3
		.amdhsa_fp16_overflow 0
		.amdhsa_memory_ordered 1
		.amdhsa_forward_progress 1
		.amdhsa_inst_pref_size 0
		.amdhsa_round_robin_scheduling 0
		.amdhsa_exception_fp_ieee_invalid_op 0
		.amdhsa_exception_fp_denorm_src 0
		.amdhsa_exception_fp_ieee_div_zero 0
		.amdhsa_exception_fp_ieee_overflow 0
		.amdhsa_exception_fp_ieee_underflow 0
		.amdhsa_exception_fp_ieee_inexact 0
		.amdhsa_exception_int_div_zero 0
	.end_amdhsa_kernel
	.section	.text._ZN7rocprim17ROCPRIM_400000_NS6detail17trampoline_kernelINS0_14default_configENS1_36segmented_radix_sort_config_selectorIalEEZNS1_25segmented_radix_sort_implIS3_Lb1EPKaPaPKlPlN2at6native12_GLOBAL__N_18offset_tEEE10hipError_tPvRmT1_PNSt15iterator_traitsISK_E10value_typeET2_T3_PNSL_ISQ_E10value_typeET4_jRbjT5_SW_jjP12ihipStream_tbEUlT_E_NS1_11comp_targetILNS1_3genE8ELNS1_11target_archE1030ELNS1_3gpuE2ELNS1_3repE0EEENS1_30default_config_static_selectorELNS0_4arch9wavefront6targetE0EEEvSK_,"axG",@progbits,_ZN7rocprim17ROCPRIM_400000_NS6detail17trampoline_kernelINS0_14default_configENS1_36segmented_radix_sort_config_selectorIalEEZNS1_25segmented_radix_sort_implIS3_Lb1EPKaPaPKlPlN2at6native12_GLOBAL__N_18offset_tEEE10hipError_tPvRmT1_PNSt15iterator_traitsISK_E10value_typeET2_T3_PNSL_ISQ_E10value_typeET4_jRbjT5_SW_jjP12ihipStream_tbEUlT_E_NS1_11comp_targetILNS1_3genE8ELNS1_11target_archE1030ELNS1_3gpuE2ELNS1_3repE0EEENS1_30default_config_static_selectorELNS0_4arch9wavefront6targetE0EEEvSK_,comdat
.Lfunc_end297:
	.size	_ZN7rocprim17ROCPRIM_400000_NS6detail17trampoline_kernelINS0_14default_configENS1_36segmented_radix_sort_config_selectorIalEEZNS1_25segmented_radix_sort_implIS3_Lb1EPKaPaPKlPlN2at6native12_GLOBAL__N_18offset_tEEE10hipError_tPvRmT1_PNSt15iterator_traitsISK_E10value_typeET2_T3_PNSL_ISQ_E10value_typeET4_jRbjT5_SW_jjP12ihipStream_tbEUlT_E_NS1_11comp_targetILNS1_3genE8ELNS1_11target_archE1030ELNS1_3gpuE2ELNS1_3repE0EEENS1_30default_config_static_selectorELNS0_4arch9wavefront6targetE0EEEvSK_, .Lfunc_end297-_ZN7rocprim17ROCPRIM_400000_NS6detail17trampoline_kernelINS0_14default_configENS1_36segmented_radix_sort_config_selectorIalEEZNS1_25segmented_radix_sort_implIS3_Lb1EPKaPaPKlPlN2at6native12_GLOBAL__N_18offset_tEEE10hipError_tPvRmT1_PNSt15iterator_traitsISK_E10value_typeET2_T3_PNSL_ISQ_E10value_typeET4_jRbjT5_SW_jjP12ihipStream_tbEUlT_E_NS1_11comp_targetILNS1_3genE8ELNS1_11target_archE1030ELNS1_3gpuE2ELNS1_3repE0EEENS1_30default_config_static_selectorELNS0_4arch9wavefront6targetE0EEEvSK_
                                        ; -- End function
	.set _ZN7rocprim17ROCPRIM_400000_NS6detail17trampoline_kernelINS0_14default_configENS1_36segmented_radix_sort_config_selectorIalEEZNS1_25segmented_radix_sort_implIS3_Lb1EPKaPaPKlPlN2at6native12_GLOBAL__N_18offset_tEEE10hipError_tPvRmT1_PNSt15iterator_traitsISK_E10value_typeET2_T3_PNSL_ISQ_E10value_typeET4_jRbjT5_SW_jjP12ihipStream_tbEUlT_E_NS1_11comp_targetILNS1_3genE8ELNS1_11target_archE1030ELNS1_3gpuE2ELNS1_3repE0EEENS1_30default_config_static_selectorELNS0_4arch9wavefront6targetE0EEEvSK_.num_vgpr, 0
	.set _ZN7rocprim17ROCPRIM_400000_NS6detail17trampoline_kernelINS0_14default_configENS1_36segmented_radix_sort_config_selectorIalEEZNS1_25segmented_radix_sort_implIS3_Lb1EPKaPaPKlPlN2at6native12_GLOBAL__N_18offset_tEEE10hipError_tPvRmT1_PNSt15iterator_traitsISK_E10value_typeET2_T3_PNSL_ISQ_E10value_typeET4_jRbjT5_SW_jjP12ihipStream_tbEUlT_E_NS1_11comp_targetILNS1_3genE8ELNS1_11target_archE1030ELNS1_3gpuE2ELNS1_3repE0EEENS1_30default_config_static_selectorELNS0_4arch9wavefront6targetE0EEEvSK_.num_agpr, 0
	.set _ZN7rocprim17ROCPRIM_400000_NS6detail17trampoline_kernelINS0_14default_configENS1_36segmented_radix_sort_config_selectorIalEEZNS1_25segmented_radix_sort_implIS3_Lb1EPKaPaPKlPlN2at6native12_GLOBAL__N_18offset_tEEE10hipError_tPvRmT1_PNSt15iterator_traitsISK_E10value_typeET2_T3_PNSL_ISQ_E10value_typeET4_jRbjT5_SW_jjP12ihipStream_tbEUlT_E_NS1_11comp_targetILNS1_3genE8ELNS1_11target_archE1030ELNS1_3gpuE2ELNS1_3repE0EEENS1_30default_config_static_selectorELNS0_4arch9wavefront6targetE0EEEvSK_.numbered_sgpr, 0
	.set _ZN7rocprim17ROCPRIM_400000_NS6detail17trampoline_kernelINS0_14default_configENS1_36segmented_radix_sort_config_selectorIalEEZNS1_25segmented_radix_sort_implIS3_Lb1EPKaPaPKlPlN2at6native12_GLOBAL__N_18offset_tEEE10hipError_tPvRmT1_PNSt15iterator_traitsISK_E10value_typeET2_T3_PNSL_ISQ_E10value_typeET4_jRbjT5_SW_jjP12ihipStream_tbEUlT_E_NS1_11comp_targetILNS1_3genE8ELNS1_11target_archE1030ELNS1_3gpuE2ELNS1_3repE0EEENS1_30default_config_static_selectorELNS0_4arch9wavefront6targetE0EEEvSK_.num_named_barrier, 0
	.set _ZN7rocprim17ROCPRIM_400000_NS6detail17trampoline_kernelINS0_14default_configENS1_36segmented_radix_sort_config_selectorIalEEZNS1_25segmented_radix_sort_implIS3_Lb1EPKaPaPKlPlN2at6native12_GLOBAL__N_18offset_tEEE10hipError_tPvRmT1_PNSt15iterator_traitsISK_E10value_typeET2_T3_PNSL_ISQ_E10value_typeET4_jRbjT5_SW_jjP12ihipStream_tbEUlT_E_NS1_11comp_targetILNS1_3genE8ELNS1_11target_archE1030ELNS1_3gpuE2ELNS1_3repE0EEENS1_30default_config_static_selectorELNS0_4arch9wavefront6targetE0EEEvSK_.private_seg_size, 0
	.set _ZN7rocprim17ROCPRIM_400000_NS6detail17trampoline_kernelINS0_14default_configENS1_36segmented_radix_sort_config_selectorIalEEZNS1_25segmented_radix_sort_implIS3_Lb1EPKaPaPKlPlN2at6native12_GLOBAL__N_18offset_tEEE10hipError_tPvRmT1_PNSt15iterator_traitsISK_E10value_typeET2_T3_PNSL_ISQ_E10value_typeET4_jRbjT5_SW_jjP12ihipStream_tbEUlT_E_NS1_11comp_targetILNS1_3genE8ELNS1_11target_archE1030ELNS1_3gpuE2ELNS1_3repE0EEENS1_30default_config_static_selectorELNS0_4arch9wavefront6targetE0EEEvSK_.uses_vcc, 0
	.set _ZN7rocprim17ROCPRIM_400000_NS6detail17trampoline_kernelINS0_14default_configENS1_36segmented_radix_sort_config_selectorIalEEZNS1_25segmented_radix_sort_implIS3_Lb1EPKaPaPKlPlN2at6native12_GLOBAL__N_18offset_tEEE10hipError_tPvRmT1_PNSt15iterator_traitsISK_E10value_typeET2_T3_PNSL_ISQ_E10value_typeET4_jRbjT5_SW_jjP12ihipStream_tbEUlT_E_NS1_11comp_targetILNS1_3genE8ELNS1_11target_archE1030ELNS1_3gpuE2ELNS1_3repE0EEENS1_30default_config_static_selectorELNS0_4arch9wavefront6targetE0EEEvSK_.uses_flat_scratch, 0
	.set _ZN7rocprim17ROCPRIM_400000_NS6detail17trampoline_kernelINS0_14default_configENS1_36segmented_radix_sort_config_selectorIalEEZNS1_25segmented_radix_sort_implIS3_Lb1EPKaPaPKlPlN2at6native12_GLOBAL__N_18offset_tEEE10hipError_tPvRmT1_PNSt15iterator_traitsISK_E10value_typeET2_T3_PNSL_ISQ_E10value_typeET4_jRbjT5_SW_jjP12ihipStream_tbEUlT_E_NS1_11comp_targetILNS1_3genE8ELNS1_11target_archE1030ELNS1_3gpuE2ELNS1_3repE0EEENS1_30default_config_static_selectorELNS0_4arch9wavefront6targetE0EEEvSK_.has_dyn_sized_stack, 0
	.set _ZN7rocprim17ROCPRIM_400000_NS6detail17trampoline_kernelINS0_14default_configENS1_36segmented_radix_sort_config_selectorIalEEZNS1_25segmented_radix_sort_implIS3_Lb1EPKaPaPKlPlN2at6native12_GLOBAL__N_18offset_tEEE10hipError_tPvRmT1_PNSt15iterator_traitsISK_E10value_typeET2_T3_PNSL_ISQ_E10value_typeET4_jRbjT5_SW_jjP12ihipStream_tbEUlT_E_NS1_11comp_targetILNS1_3genE8ELNS1_11target_archE1030ELNS1_3gpuE2ELNS1_3repE0EEENS1_30default_config_static_selectorELNS0_4arch9wavefront6targetE0EEEvSK_.has_recursion, 0
	.set _ZN7rocprim17ROCPRIM_400000_NS6detail17trampoline_kernelINS0_14default_configENS1_36segmented_radix_sort_config_selectorIalEEZNS1_25segmented_radix_sort_implIS3_Lb1EPKaPaPKlPlN2at6native12_GLOBAL__N_18offset_tEEE10hipError_tPvRmT1_PNSt15iterator_traitsISK_E10value_typeET2_T3_PNSL_ISQ_E10value_typeET4_jRbjT5_SW_jjP12ihipStream_tbEUlT_E_NS1_11comp_targetILNS1_3genE8ELNS1_11target_archE1030ELNS1_3gpuE2ELNS1_3repE0EEENS1_30default_config_static_selectorELNS0_4arch9wavefront6targetE0EEEvSK_.has_indirect_call, 0
	.section	.AMDGPU.csdata,"",@progbits
; Kernel info:
; codeLenInByte = 0
; TotalNumSgprs: 0
; NumVgprs: 0
; ScratchSize: 0
; MemoryBound: 0
; FloatMode: 240
; IeeeMode: 1
; LDSByteSize: 0 bytes/workgroup (compile time only)
; SGPRBlocks: 0
; VGPRBlocks: 0
; NumSGPRsForWavesPerEU: 1
; NumVGPRsForWavesPerEU: 1
; NamedBarCnt: 0
; Occupancy: 16
; WaveLimiterHint : 0
; COMPUTE_PGM_RSRC2:SCRATCH_EN: 0
; COMPUTE_PGM_RSRC2:USER_SGPR: 2
; COMPUTE_PGM_RSRC2:TRAP_HANDLER: 0
; COMPUTE_PGM_RSRC2:TGID_X_EN: 1
; COMPUTE_PGM_RSRC2:TGID_Y_EN: 0
; COMPUTE_PGM_RSRC2:TGID_Z_EN: 0
; COMPUTE_PGM_RSRC2:TIDIG_COMP_CNT: 0
	.text
	.p2align	2                               ; -- Begin function _ZN7rocprim17ROCPRIM_400000_NS6detail26segmented_warp_sort_helperINS1_20WarpSortHelperConfigILj32ELj4ELj256EEEalLi256ELb1EvE4sortIPKaPaPKlPlEEvT_T0_T1_T2_jjjjRNS5_12storage_typeE
	.type	_ZN7rocprim17ROCPRIM_400000_NS6detail26segmented_warp_sort_helperINS1_20WarpSortHelperConfigILj32ELj4ELj256EEEalLi256ELb1EvE4sortIPKaPaPKlPlEEvT_T0_T1_T2_jjjjRNS5_12storage_typeE,@function
_ZN7rocprim17ROCPRIM_400000_NS6detail26segmented_warp_sort_helperINS1_20WarpSortHelperConfigILj32ELj4ELj256EEEalLi256ELb1EvE4sortIPKaPaPKlPlEEvT_T0_T1_T2_jjjjRNS5_12storage_typeE: ; @_ZN7rocprim17ROCPRIM_400000_NS6detail26segmented_warp_sort_helperINS1_20WarpSortHelperConfigILj32ELj4ELj256EEEalLi256ELb1EvE4sortIPKaPaPKlPlEEvT_T0_T1_T2_jjjjRNS5_12storage_typeE
; %bb.0:
	s_wait_loadcnt_dscnt 0x0
	s_wait_kmcnt 0x0
	v_dual_mov_b32 v14, v9 :: v_dual_mov_b32 v9, 0
	v_mbcnt_lo_u32_b32 v15, -1, 0
	v_dual_mov_b32 v34, 0x80 :: v_dual_mov_b32 v35, 0x80
	s_delay_alu instid0(VALU_DEP_3) | instskip(NEXT) | instid1(VALU_DEP_4)
	v_dual_mov_b32 v33, 0x80 :: v_dual_sub_nc_u32 v16, v14, v8
	v_add_nc_u64_e32 v[18:19], v[0:1], v[8:9]
	s_delay_alu instid0(VALU_DEP_4) | instskip(SKIP_1) | instid1(VALU_DEP_2)
	v_dual_mov_b32 v1, v9 :: v_dual_lshlrev_b32 v0, 2, v15
	v_mov_b32_e32 v32, 0x80
	v_cmp_lt_u32_e32 vcc_lo, v0, v16
	s_delay_alu instid0(VALU_DEP_3)
	v_add_nc_u64_e32 v[14:15], v[18:19], v[0:1]
	s_and_saveexec_b32 s0, vcc_lo
	s_cbranch_execz .LBB298_2
; %bb.1:
	flat_load_u8 v32, v[14:15]
	v_dual_mov_b32 v34, 0x80 :: v_dual_mov_b32 v33, 0x80
	v_mov_b32_e32 v35, 0x80
.LBB298_2:
	s_wait_xcnt 0x0
	s_or_b32 exec_lo, exec_lo, s0
	v_or_b32_e32 v17, 1, v0
	s_delay_alu instid0(VALU_DEP_1)
	v_cmp_lt_u32_e64 s0, v17, v16
	s_and_saveexec_b32 s1, s0
	s_cbranch_execz .LBB298_4
; %bb.3:
	flat_load_u8 v33, v[14:15] offset:1
.LBB298_4:
	s_wait_xcnt 0x0
	s_or_b32 exec_lo, exec_lo, s1
	v_or_b32_e32 v17, 2, v0
	s_delay_alu instid0(VALU_DEP_1)
	v_cmp_lt_u32_e64 s1, v17, v16
	s_and_saveexec_b32 s2, s1
	s_cbranch_execz .LBB298_6
; %bb.5:
	flat_load_u8 v35, v[14:15] offset:2
.LBB298_6:
	;; [unrolled: 10-line block ×3, first 2 shown]
	s_wait_xcnt 0x0
	s_or_b32 exec_lo, exec_lo, s3
	v_lshl_add_u64 v[14:15], v[8:9], 3, v[4:5]
	v_dual_mov_b32 v5, 0 :: v_dual_lshlrev_b32 v4, 3, v0
	; wave barrier
	s_delay_alu instid0(VALU_DEP_1)
	v_add_nc_u64_e32 v[22:23], v[14:15], v[4:5]
                                        ; implicit-def: $vgpr14_vgpr15
	s_and_saveexec_b32 s3, vcc_lo
	s_cbranch_execnz .LBB298_147
; %bb.9:
	s_or_b32 exec_lo, exec_lo, s3
                                        ; implicit-def: $vgpr16_vgpr17
	s_and_saveexec_b32 s3, s0
	s_cbranch_execnz .LBB298_148
.LBB298_10:
	s_or_b32 exec_lo, exec_lo, s3
                                        ; implicit-def: $vgpr20_vgpr21
	s_and_saveexec_b32 s3, s1
	s_cbranch_execnz .LBB298_149
.LBB298_11:
	s_or_b32 exec_lo, exec_lo, s3
                                        ; implicit-def: $vgpr18_vgpr19
	s_and_saveexec_b32 s3, s2
	s_cbranch_execz .LBB298_13
.LBB298_12:
	flat_load_b64 v[18:19], v[22:23] offset:24
.LBB298_13:
	s_wait_xcnt 0x0
	s_or_b32 exec_lo, exec_lo, s3
	v_cmp_ne_u32_e64 s3, 0, v10
	v_cmp_ne_u32_e64 s4, 8, v11
	v_bfe_u32 v22, v31, 10, 10
	v_bfe_u32 v23, v31, 20, 10
	v_and_b32_e32 v5, 0x3ff, v31
	s_mov_b32 s5, 0
	s_or_b32 s3, s3, s4
	s_getreg_b32 s11, hwreg(HW_REG_IB_STS2, 6, 4)
	; wave barrier
	s_and_saveexec_b32 s4, s3
	s_delay_alu instid0(SALU_CYCLE_1)
	s_xor_b32 s12, exec_lo, s4
	s_cbranch_execz .LBB298_75
; %bb.14:
	s_load_b64 s[6:7], s[8:9], 0x0
	s_bfe_u32 s4, ttmp6, 0x4000c
	s_bfe_u32 s13, ttmp6, 0x40010
	s_and_b32 s10, ttmp7, 0xffff
	s_add_co_i32 s4, s4, 1
	s_add_co_i32 s13, s13, 1
	s_and_b32 s3, ttmp6, 15
	s_bfe_u32 s14, ttmp6, 0x40004
	s_mul_i32 s4, ttmp9, s4
	s_mul_i32 s13, s10, s13
	s_add_co_i32 s3, s3, s4
	s_add_co_i32 s14, s14, s13
	s_cmp_eq_u32 s11, 0
	v_lshlrev_b32_e64 v11, v11, -1
	s_cselect_b32 s3, ttmp9, s3
	s_cselect_b32 s10, s10, s14
	v_lshlrev_b32_e64 v10, v10, -1
	s_wait_kmcnt 0x0
	s_cmp_lt_u32 s3, s6
	s_cselect_b32 s4, 12, 18
	s_cmp_lt_u32 s10, s7
	s_mov_b32 s7, s5
	s_cselect_b32 s6, 14, 20
	s_add_nc_u64 s[4:5], s[8:9], s[4:5]
	s_add_nc_u64 s[6:7], s[8:9], s[6:7]
	s_clause 0x1
	s_load_u16 s4, s[4:5], 0x0
	s_nop 0
	s_load_u16 s3, s[6:7], 0x0
	s_wait_xcnt 0x0
	s_mov_b32 s6, exec_lo
	s_wait_kmcnt 0x0
	v_mad_u32_u24 v22, v23, s3, v22
	s_delay_alu instid0(VALU_DEP_1) | instskip(NEXT) | instid1(VALU_DEP_1)
	v_mul_lo_u32 v22, v22, s4
	v_add_lshl_u32 v24, v22, v5, 2
	v_xor_b32_e32 v5, v11, v10
	s_delay_alu instid0(VALU_DEP_2)
	v_cmpx_gt_u32_e32 0x400, v24
	s_cbranch_execz .LBB298_24
; %bb.15:
	s_wait_loadcnt_dscnt 0x0
	v_perm_b32 v10, v35, v34, 0xc0c0004
	v_perm_b32 v11, v33, v32, 0xc0c0004
	v_and_b32_e32 v22, v33, v5
	v_perm_b32 v25, v32, v33, 0xc0c0004
	s_mov_b32 s5, exec_lo
	v_lshlrev_b32_e32 v10, 16, v10
	s_delay_alu instid0(VALU_DEP_3) | instskip(NEXT) | instid1(VALU_DEP_2)
	v_bfe_i32 v22, v22, 0, 8
	v_or_b32_e32 v11, v11, v10
	v_or_b32_e32 v10, v25, v10
	v_and_b32_e32 v23, v32, v5
	s_delay_alu instid0(VALU_DEP_1) | instskip(NEXT) | instid1(VALU_DEP_1)
	v_bfe_i32 v23, v23, 0, 8
	v_cmp_gt_i16_e64 s3, v22, v23
	s_delay_alu instid0(VALU_DEP_1) | instskip(NEXT) | instid1(VALU_DEP_1)
	v_cndmask_b32_e64 v25, v10, v11, s3
	v_dual_lshrrev_b32 v22, 24, v25 :: v_dual_lshrrev_b32 v26, 16, v25
	v_lshrrev_b32_e32 v27, 8, v25
	s_delay_alu instid0(VALU_DEP_2) | instskip(NEXT) | instid1(VALU_DEP_3)
	v_dual_mov_b32 v28, v22 :: v_dual_bitop2_b32 v10, v22, v5 bitop3:0x40
	v_and_b32_e32 v11, v26, v5
	s_delay_alu instid0(VALU_DEP_2) | instskip(NEXT) | instid1(VALU_DEP_2)
	v_bfe_i32 v23, v10, 0, 8
	v_bfe_i32 v30, v11, 0, 8
	v_mov_b64_e32 v[10:11], v[20:21]
	s_delay_alu instid0(VALU_DEP_2)
	v_cmpx_gt_i16_e64 v23, v30
; %bb.16:
	v_mov_b64_e32 v[10:11], v[18:19]
	v_mov_b64_e32 v[18:19], v[20:21]
	v_dual_mov_b32 v28, v26 :: v_dual_mov_b32 v26, v22
	v_mov_b32_e32 v30, v23
; %bb.17:
	s_or_b32 exec_lo, exec_lo, s5
	v_dual_cndmask_b32 v23, v17, v15, s3 :: v_dual_bitop2_b32 v20, v27, v5 bitop3:0x40
	v_cndmask_b32_e64 v22, v16, v14, s3
	s_delay_alu instid0(VALU_DEP_2) | instskip(NEXT) | instid1(VALU_DEP_2)
	v_bfe_i32 v29, v20, 0, 8
	v_mov_b64_e32 v[20:21], v[22:23]
	s_delay_alu instid0(VALU_DEP_2) | instskip(SKIP_1) | instid1(SALU_CYCLE_1)
	v_cmp_gt_i16_e64 s4, v30, v29
	s_and_saveexec_b32 s5, s4
	s_xor_b32 s4, exec_lo, s5
; %bb.18:
	v_dual_mov_b32 v30, v27 :: v_dual_bitop2_b32 v29, v26, v5 bitop3:0x40
	v_mov_b64_e32 v[20:21], v[10:11]
	v_mov_b64_e32 v[10:11], v[22:23]
	s_delay_alu instid0(VALU_DEP_3)
	v_dual_mov_b32 v27, v26 :: v_dual_mov_b32 v26, v30
; %bb.19:
	s_or_b32 exec_lo, exec_lo, s4
	s_delay_alu instid0(VALU_DEP_1) | instskip(SKIP_1) | instid1(VALU_DEP_3)
	v_perm_b32 v22, v26, v28, 0xc0c0004
	v_and_b32_e32 v26, v25, v5
	v_perm_b32 v23, v27, v25, 0xc0c0004
	v_perm_b32 v25, v25, v27, 0xc0c0004
	v_bfe_i32 v27, v29, 0, 8
	v_lshlrev_b32_e32 v22, 16, v22
	v_bfe_i32 v26, v26, 0, 8
	s_mov_b32 s7, exec_lo
	s_delay_alu instid0(VALU_DEP_2) | instskip(SKIP_1) | instid1(VALU_DEP_3)
	v_or_b32_e32 v23, v23, v22
	v_or_b32_e32 v22, v25, v22
	v_cmp_gt_i16_e64 s4, v27, v26
	s_delay_alu instid0(VALU_DEP_1) | instskip(NEXT) | instid1(VALU_DEP_1)
	v_cndmask_b32_e64 v32, v22, v23, s4
	v_lshrrev_b32_e32 v35, 16, v32
	s_delay_alu instid0(VALU_DEP_1) | instskip(SKIP_1) | instid1(VALU_DEP_2)
	v_dual_lshrrev_b32 v26, 24, v32 :: v_dual_bitop2_b32 v23, v35, v5 bitop3:0x40
	v_lshrrev_b32_e32 v33, 8, v32
	v_bfe_i32 v25, v23, 0, 8
	s_delay_alu instid0(VALU_DEP_3) | instskip(NEXT) | instid1(VALU_DEP_1)
	v_dual_mov_b32 v34, v26 :: v_dual_bitop2_b32 v22, v26, v5 bitop3:0x40
	v_bfe_i32 v27, v22, 0, 8
	v_mov_b64_e32 v[22:23], v[10:11]
	s_delay_alu instid0(VALU_DEP_2)
	v_cmpx_gt_i16_e64 v27, v25
; %bb.20:
	v_mov_b64_e32 v[22:23], v[18:19]
	v_mov_b64_e32 v[18:19], v[10:11]
	v_dual_mov_b32 v34, v35 :: v_dual_mov_b32 v35, v26
	v_mov_b32_e32 v25, v27
; %bb.21:
	s_or_b32 exec_lo, exec_lo, s7
	v_dual_cndmask_b32 v16, v14, v16, s3 :: v_dual_bitop2_b32 v10, v33, v5 bitop3:0x40
	v_cndmask_b32_e64 v11, v15, v17, s3
	s_delay_alu instid0(VALU_DEP_2) | instskip(NEXT) | instid1(VALU_DEP_2)
	v_bfe_i32 v10, v10, 0, 8
	v_dual_cndmask_b32 v14, v16, v20, s4 :: v_dual_cndmask_b32 v15, v11, v21, s4
	v_dual_cndmask_b32 v17, v21, v11, s4 :: v_dual_cndmask_b32 v16, v20, v16, s4
	v_mov_b64_e32 v[20:21], v[22:23]
	s_mov_b32 s4, exec_lo
	v_cmpx_gt_i16_e64 v25, v10
; %bb.22:
	v_mov_b32_e32 v10, v33
	v_swap_b32 v33, v35
	v_mov_b64_e32 v[20:21], v[16:17]
	v_mov_b64_e32 v[16:17], v[22:23]
; %bb.23:
	s_or_b32 exec_lo, exec_lo, s4
.LBB298_24:
	s_delay_alu instid0(SALU_CYCLE_1)
	s_or_b32 exec_lo, exec_lo, s6
	v_and_b32_e32 v26, 0xffffff80, v24
	v_dual_mov_b32 v27, 0 :: v_dual_bitop2_b32 v10, 4, v0 bitop3:0x54
	s_wait_loadcnt_dscnt 0x0
	v_perm_b32 v25, v32, v33, 0xc0c0004
	v_perm_b32 v29, v35, v34, 0xc0c0004
	v_sub_nc_u32_e64 v36, 0x400, v26 clamp
	v_add_nc_u64_e32 v[12:13], v[12:13], v[26:27]
	s_mov_b32 s4, exec_lo
	s_delay_alu instid0(VALU_DEP_3) | instskip(NEXT) | instid1(VALU_DEP_3)
	v_lshl_or_b32 v25, v29, 16, v25
	v_min_u32_e32 v24, v36, v10
	s_delay_alu instid0(VALU_DEP_3) | instskip(SKIP_1) | instid1(VALU_DEP_3)
	v_mad_nc_u64_u32 v[10:11], v26, 7, v[12:13]
	v_dual_mov_b32 v26, v0 :: v_dual_bitop2_b32 v11, 4, v0 bitop3:0x40
	v_add_min_u32_e64 v39, v24, 4, v36
	s_delay_alu instid0(VALU_DEP_2) | instskip(SKIP_1) | instid1(VALU_DEP_4)
	v_add_nc_u64_e32 v[22:23], v[12:13], v[26:27]
	v_and_b32_e32 v26, 0x78, v0
	v_min_u32_e32 v48, v36, v11
	s_delay_alu instid0(VALU_DEP_4) | instskip(SKIP_1) | instid1(VALU_DEP_4)
	v_sub_nc_u32_e32 v23, v39, v24
	v_lshl_add_u32 v11, v0, 3, v10
	v_sub_nc_u32_e32 v28, v24, v26
	ds_store_2addr_b64 v11, v[14:15], v[16:17] offset0:128 offset1:129
	ds_store_b64 v11, v[20:21] offset:1040
	ds_store_b32 v22, v25
	ds_store_b64 v11, v[18:19] offset:1048
	v_sub_nc_u32_e64 v49, v48, v23 clamp
	v_min_u32_e32 v23, v48, v28
	; wave barrier
	s_delay_alu instid0(VALU_DEP_1)
	v_cmpx_lt_u32_e64 v49, v23
	s_cbranch_execz .LBB298_28
; %bb.25:
	v_mov_b32_e32 v25, v27
	v_add_nc_u64_e32 v[28:29], v[12:13], v[26:27]
	s_mov_b32 s5, 0
	s_delay_alu instid0(VALU_DEP_2)
	v_add_nc_u64_e32 v[30:31], v[12:13], v[24:25]
.LBB298_26:                             ; =>This Inner Loop Header: Depth=1
	v_add_nc_u32_e32 v25, v23, v49
	s_delay_alu instid0(VALU_DEP_1) | instskip(NEXT) | instid1(VALU_DEP_1)
	v_lshrrev_b32_e32 v25, 1, v25
	v_not_b32_e32 v27, v25
	v_dual_add_nc_u32 v29, v28, v25 :: v_dual_add_nc_u32 v31, 1, v25
	s_delay_alu instid0(VALU_DEP_2)
	v_add3_u32 v27, v48, v27, v30
	ds_load_u8 v29, v29
	ds_load_u8 v27, v27
	s_wait_dscnt 0x1
	v_and_b32_e32 v29, v29, v5
	s_wait_dscnt 0x0
	v_and_b32_e32 v27, v27, v5
	s_delay_alu instid0(VALU_DEP_2) | instskip(NEXT) | instid1(VALU_DEP_2)
	v_bfe_i32 v29, v29, 0, 8
	v_bfe_i32 v27, v27, 0, 8
	s_delay_alu instid0(VALU_DEP_1) | instskip(NEXT) | instid1(VALU_DEP_1)
	v_cmp_gt_i16_e64 s3, v27, v29
	v_cndmask_b32_e64 v23, v23, v25, s3
	v_cndmask_b32_e64 v49, v31, v49, s3
	s_delay_alu instid0(VALU_DEP_1) | instskip(SKIP_1) | instid1(SALU_CYCLE_1)
	v_cmp_ge_u32_e64 s3, v49, v23
	s_or_b32 s5, s3, s5
	s_and_not1_b32 exec_lo, exec_lo, s5
	s_cbranch_execnz .LBB298_26
; %bb.27:
	s_or_b32 exec_lo, exec_lo, s5
.LBB298_28:
	s_delay_alu instid0(SALU_CYCLE_1) | instskip(SKIP_4) | instid1(VALU_DEP_4)
	s_or_b32 exec_lo, exec_lo, s4
	v_dual_add_nc_u32 v25, v24, v48 :: v_dual_add_nc_u32 v28, v49, v26
	v_add_nc_u32_e32 v38, 0x400, v11
	v_add_nc_u32_e32 v37, 0x408, v11
	v_add_nc_u32_e32 v23, 0x410, v11
	v_sub_nc_u32_e32 v27, v25, v49
	v_cmp_le_u32_e64 s3, v28, v24
	v_add_nc_u32_e32 v11, 0x418, v11
	s_delay_alu instid0(VALU_DEP_3) | instskip(SKIP_1) | instid1(SALU_CYCLE_1)
	v_cmp_le_u32_e64 s4, v27, v39
	s_or_b32 s3, s3, s4
	s_and_saveexec_b32 s13, s3
	s_cbranch_execz .LBB298_34
; %bb.29:
	v_cmp_lt_u32_e64 s3, v28, v24
                                        ; implicit-def: $vgpr25
	s_and_saveexec_b32 s4, s3
; %bb.30:
	v_add_nc_u32_e32 v14, v12, v28
	ds_load_u8 v25, v14
; %bb.31:
	s_or_b32 exec_lo, exec_lo, s4
	v_cmp_ge_u32_e64 s4, v27, v39
	s_mov_b32 s6, exec_lo
                                        ; implicit-def: $vgpr26
	v_cmpx_lt_u32_e64 v27, v39
; %bb.32:
	v_add_nc_u32_e32 v14, v12, v27
	ds_load_u8 v26, v14
; %bb.33:
	s_or_b32 exec_lo, exec_lo, s6
	s_wait_dscnt 0x0
	v_and_b32_e32 v14, v26, v5
	v_and_b32_e32 v15, v25, v5
	s_delay_alu instid0(VALU_DEP_2) | instskip(NEXT) | instid1(VALU_DEP_2)
	v_bfe_i32 v14, v14, 0, 8
	v_bfe_i32 v15, v15, 0, 8
	s_delay_alu instid0(VALU_DEP_1) | instskip(SKIP_1) | instid1(SALU_CYCLE_1)
	v_cmp_le_i16_e64 s5, v14, v15
	s_and_b32 s3, s3, s5
	s_or_b32 s3, s4, s3
	s_delay_alu instid0(SALU_CYCLE_1) | instskip(SKIP_1) | instid1(VALU_DEP_2)
	v_cndmask_b32_e64 v14, v27, v28, s3
	v_dual_cndmask_b32 v15, v39, v24, s3 :: v_dual_cndmask_b32 v32, v26, v25, s3
	v_add_nc_u32_e32 v16, 1, v14
	v_lshl_add_u32 v14, v14, 3, v10
	s_delay_alu instid0(VALU_DEP_2) | instskip(NEXT) | instid1(VALU_DEP_1)
	v_add_min_u32_e64 v15, v15, -1, v16
	v_add_nc_u32_e32 v15, v12, v15
	v_cndmask_b32_e64 v18, v28, v16, s3
	v_cndmask_b32_e64 v16, v16, v27, s3
	ds_load_u8 v15, v15
	v_cmp_lt_u32_e64 s4, v18, v24
	v_cmp_ge_u32_e64 s6, v16, v39
	s_wait_dscnt 0x0
	v_dual_cndmask_b32 v29, v15, v26, s3 :: v_dual_cndmask_b32 v30, v25, v15, s3
	s_delay_alu instid0(VALU_DEP_1) | instskip(NEXT) | instid1(VALU_DEP_2)
	v_and_b32_e32 v15, v29, v5
	v_and_b32_e32 v17, v30, v5
	s_delay_alu instid0(VALU_DEP_2) | instskip(NEXT) | instid1(VALU_DEP_2)
	v_bfe_i32 v15, v15, 0, 8
	v_bfe_i32 v17, v17, 0, 8
	s_delay_alu instid0(VALU_DEP_1) | instskip(SKIP_1) | instid1(SALU_CYCLE_1)
	v_cmp_le_i16_e64 s5, v15, v17
	s_and_b32 s4, s4, s5
	s_or_b32 s4, s6, s4
	s_delay_alu instid0(SALU_CYCLE_1) | instskip(NEXT) | instid1(VALU_DEP_1)
	v_dual_cndmask_b32 v15, v16, v18, s4 :: v_dual_cndmask_b32 v17, v39, v24, s4
	v_add_nc_u32_e32 v19, 1, v15
	s_delay_alu instid0(VALU_DEP_1) | instskip(NEXT) | instid1(VALU_DEP_1)
	v_add_min_u32_e64 v17, v17, -1, v19
	v_dual_add_nc_u32 v17, v12, v17 :: v_dual_cndmask_b32 v18, v18, v19, s4
	v_cndmask_b32_e64 v16, v19, v16, s4
	ds_load_u8 v17, v17
	v_cmp_lt_u32_e64 s5, v18, v24
	v_cmp_ge_u32_e64 s7, v16, v39
	s_wait_dscnt 0x0
	v_cndmask_b32_e64 v27, v17, v29, s4
	v_cndmask_b32_e64 v28, v30, v17, s4
	s_delay_alu instid0(VALU_DEP_2) | instskip(NEXT) | instid1(VALU_DEP_2)
	v_and_b32_e32 v17, v27, v5
	v_and_b32_e32 v20, v28, v5
	s_delay_alu instid0(VALU_DEP_2) | instskip(NEXT) | instid1(VALU_DEP_2)
	v_bfe_i32 v17, v17, 0, 8
	v_bfe_i32 v20, v20, 0, 8
	s_delay_alu instid0(VALU_DEP_1) | instskip(SKIP_1) | instid1(SALU_CYCLE_1)
	v_cmp_le_i16_e64 s6, v17, v20
	s_and_b32 s5, s5, s6
	s_or_b32 s5, s7, s5
	s_delay_alu instid0(SALU_CYCLE_1) | instskip(SKIP_1) | instid1(VALU_DEP_1)
	v_dual_cndmask_b32 v33, v29, v30, s4 :: v_dual_cndmask_b32 v35, v27, v28, s5
	v_dual_cndmask_b32 v17, v16, v18, s5 :: v_dual_cndmask_b32 v19, v39, v24, s5
	v_add_nc_u32_e32 v20, 1, v17
	s_delay_alu instid0(VALU_DEP_1) | instskip(NEXT) | instid1(VALU_DEP_1)
	v_add_min_u32_e64 v19, v19, -1, v20
	v_add_nc_u32_e32 v19, v12, v19
	ds_load_u8 v19, v19
	s_wait_dscnt 0x0
	v_cndmask_b32_e64 v31, v19, v27, s5
	v_dual_cndmask_b32 v34, v28, v19, s5 :: v_dual_cndmask_b32 v18, v18, v20, s5
	s_delay_alu instid0(VALU_DEP_2) | instskip(NEXT) | instid1(VALU_DEP_2)
	v_dual_cndmask_b32 v16, v20, v16, s5 :: v_dual_bitop2_b32 v19, v31, v5 bitop3:0x40
	v_and_b32_e32 v21, v34, v5
	s_delay_alu instid0(VALU_DEP_3) | instskip(NEXT) | instid1(VALU_DEP_3)
	v_cmp_lt_u32_e64 s6, v18, v24
	v_cmp_ge_u32_e64 s10, v16, v39
	s_delay_alu instid0(VALU_DEP_4) | instskip(NEXT) | instid1(VALU_DEP_4)
	v_bfe_i32 v19, v19, 0, 8
	v_bfe_i32 v21, v21, 0, 8
	s_delay_alu instid0(VALU_DEP_1) | instskip(SKIP_2) | instid1(SALU_CYCLE_1)
	v_cmp_le_i16_e64 s7, v19, v21
	v_lshl_add_u32 v19, v17, 3, v10
	s_and_b32 s6, s6, s7
	s_or_b32 s6, s10, s6
	s_delay_alu instid0(SALU_CYCLE_1) | instskip(SKIP_2) | instid1(VALU_DEP_3)
	v_cndmask_b32_e64 v16, v16, v18, s6
	v_lshl_add_u32 v18, v15, 3, v10
	v_cndmask_b32_e64 v34, v31, v34, s6
	v_lshl_add_u32 v24, v16, 3, v10
	ds_load_b64 v[14:15], v14 offset:1024
	ds_load_b64 v[16:17], v18 offset:1024
	;; [unrolled: 1-line block ×4, first 2 shown]
.LBB298_34:
	s_or_b32 exec_lo, exec_lo, s13
	v_and_b32_e32 v26, 0x70, v0
	s_mov_b32 s4, exec_lo
	; wave barrier
	ds_store_b8 v22, v32
	s_wait_dscnt 0x4
	ds_store_b64 v38, v[14:15]
	v_or_b32_e32 v24, 8, v26
	ds_store_b8 v22, v33 offset:1
	s_wait_dscnt 0x5
	ds_store_b64 v37, v[16:17]
	ds_store_b8 v22, v35 offset:2
	s_wait_dscnt 0x6
	ds_store_b64 v23, v[20:21]
	;; [unrolled: 3-line block ×3, first 2 shown]
	; wave barrier
	v_min_u32_e32 v24, v36, v24
	s_delay_alu instid0(VALU_DEP_1) | instskip(SKIP_1) | instid1(VALU_DEP_2)
	v_dual_sub_nc_u32 v27, v24, v26 :: v_dual_bitop2_b32 v25, 12, v0 bitop3:0x40
	v_add_min_u32_e64 v50, v24, 8, v36
	v_min_u32_e32 v51, v36, v25
	s_delay_alu instid0(VALU_DEP_2) | instskip(NEXT) | instid1(VALU_DEP_2)
	v_sub_nc_u32_e32 v25, v50, v24
	v_min_u32_e32 v39, v51, v27
	s_delay_alu instid0(VALU_DEP_2) | instskip(NEXT) | instid1(VALU_DEP_1)
	v_sub_nc_u32_e64 v52, v51, v25 clamp
	v_cmpx_lt_u32_e64 v52, v39
	s_cbranch_execz .LBB298_38
; %bb.35:
	v_mov_b32_e32 v27, 0
	s_mov_b32 s5, 0
	s_delay_alu instid0(VALU_DEP_1) | instskip(SKIP_1) | instid1(VALU_DEP_2)
	v_mov_b32_e32 v25, v27
	v_add_nc_u64_e32 v[28:29], v[12:13], v[26:27]
	v_add_nc_u64_e32 v[30:31], v[12:13], v[24:25]
.LBB298_36:                             ; =>This Inner Loop Header: Depth=1
	v_add_nc_u32_e32 v25, v39, v52
	s_delay_alu instid0(VALU_DEP_1) | instskip(NEXT) | instid1(VALU_DEP_1)
	v_lshrrev_b32_e32 v25, 1, v25
	v_not_b32_e32 v27, v25
	v_dual_add_nc_u32 v29, v28, v25 :: v_dual_add_nc_u32 v31, 1, v25
	s_delay_alu instid0(VALU_DEP_2)
	v_add3_u32 v27, v51, v27, v30
	ds_load_u8 v29, v29
	ds_load_u8 v27, v27
	s_wait_dscnt 0x1
	v_and_b32_e32 v29, v29, v5
	s_wait_dscnt 0x0
	v_and_b32_e32 v27, v27, v5
	s_delay_alu instid0(VALU_DEP_2) | instskip(NEXT) | instid1(VALU_DEP_2)
	v_bfe_i32 v29, v29, 0, 8
	v_bfe_i32 v27, v27, 0, 8
	s_delay_alu instid0(VALU_DEP_1) | instskip(NEXT) | instid1(VALU_DEP_1)
	v_cmp_gt_i16_e64 s3, v27, v29
	v_cndmask_b32_e64 v52, v31, v52, s3
	v_cndmask_b32_e64 v39, v39, v25, s3
	s_delay_alu instid0(VALU_DEP_1) | instskip(SKIP_1) | instid1(SALU_CYCLE_1)
	v_cmp_ge_u32_e64 s3, v52, v39
	s_or_b32 s5, s3, s5
	s_and_not1_b32 exec_lo, exec_lo, s5
	s_cbranch_execnz .LBB298_36
; %bb.37:
	s_or_b32 exec_lo, exec_lo, s5
.LBB298_38:
	s_delay_alu instid0(SALU_CYCLE_1) | instskip(SKIP_3) | instid1(VALU_DEP_3)
	s_or_b32 exec_lo, exec_lo, s4
	v_dual_add_nc_u32 v39, 3, v22 :: v_dual_add_nc_u32 v25, v24, v51
	v_add_nc_u32_e32 v28, v52, v26
	v_dual_add_nc_u32 v49, 1, v22 :: v_dual_add_nc_u32 v48, 2, v22
	v_sub_nc_u32_e32 v27, v25, v52
	s_delay_alu instid0(VALU_DEP_3) | instskip(NEXT) | instid1(VALU_DEP_2)
	v_cmp_le_u32_e64 s3, v28, v24
	v_cmp_le_u32_e64 s4, v27, v50
	s_or_b32 s3, s3, s4
	s_delay_alu instid0(SALU_CYCLE_1)
	s_and_saveexec_b32 s13, s3
	s_cbranch_execz .LBB298_44
; %bb.39:
	v_cmp_lt_u32_e64 s3, v28, v24
                                        ; implicit-def: $vgpr25
	s_and_saveexec_b32 s4, s3
; %bb.40:
	v_add_nc_u32_e32 v14, v12, v28
	ds_load_u8 v25, v14
; %bb.41:
	s_or_b32 exec_lo, exec_lo, s4
	v_cmp_ge_u32_e64 s4, v27, v50
	s_mov_b32 s6, exec_lo
                                        ; implicit-def: $vgpr26
	v_cmpx_lt_u32_e64 v27, v50
; %bb.42:
	v_add_nc_u32_e32 v14, v12, v27
	ds_load_u8 v26, v14
; %bb.43:
	s_or_b32 exec_lo, exec_lo, s6
	s_wait_dscnt 0x0
	v_and_b32_e32 v14, v26, v5
	v_and_b32_e32 v15, v25, v5
	s_delay_alu instid0(VALU_DEP_2) | instskip(NEXT) | instid1(VALU_DEP_2)
	v_bfe_i32 v14, v14, 0, 8
	v_bfe_i32 v15, v15, 0, 8
	s_delay_alu instid0(VALU_DEP_1) | instskip(SKIP_1) | instid1(SALU_CYCLE_1)
	v_cmp_le_i16_e64 s5, v14, v15
	s_and_b32 s3, s3, s5
	s_or_b32 s3, s4, s3
	s_delay_alu instid0(SALU_CYCLE_1) | instskip(SKIP_1) | instid1(VALU_DEP_2)
	v_cndmask_b32_e64 v14, v27, v28, s3
	v_cndmask_b32_e64 v15, v50, v24, s3
	v_dual_cndmask_b32 v32, v26, v25, s3 :: v_dual_add_nc_u32 v16, 1, v14
	v_lshl_add_u32 v14, v14, 3, v10
	s_delay_alu instid0(VALU_DEP_2) | instskip(SKIP_2) | instid1(VALU_DEP_3)
	v_add_min_u32_e64 v15, v15, -1, v16
	v_cndmask_b32_e64 v18, v28, v16, s3
	v_cndmask_b32_e64 v16, v16, v27, s3
	v_add_nc_u32_e32 v15, v12, v15
	s_delay_alu instid0(VALU_DEP_3) | instskip(NEXT) | instid1(VALU_DEP_3)
	v_cmp_lt_u32_e64 s4, v18, v24
	v_cmp_ge_u32_e64 s6, v16, v50
	ds_load_u8 v15, v15
	s_wait_dscnt 0x0
	v_dual_cndmask_b32 v29, v15, v26, s3 :: v_dual_cndmask_b32 v30, v25, v15, s3
	s_delay_alu instid0(VALU_DEP_1) | instskip(NEXT) | instid1(VALU_DEP_2)
	v_and_b32_e32 v15, v29, v5
	v_and_b32_e32 v17, v30, v5
	s_delay_alu instid0(VALU_DEP_2) | instskip(NEXT) | instid1(VALU_DEP_2)
	v_bfe_i32 v15, v15, 0, 8
	v_bfe_i32 v17, v17, 0, 8
	s_delay_alu instid0(VALU_DEP_1) | instskip(SKIP_1) | instid1(SALU_CYCLE_1)
	v_cmp_le_i16_e64 s5, v15, v17
	s_and_b32 s4, s4, s5
	s_or_b32 s4, s6, s4
	s_delay_alu instid0(SALU_CYCLE_1) | instskip(NEXT) | instid1(VALU_DEP_1)
	v_dual_cndmask_b32 v15, v16, v18, s4 :: v_dual_cndmask_b32 v17, v50, v24, s4
	v_add_nc_u32_e32 v19, 1, v15
	s_delay_alu instid0(VALU_DEP_1) | instskip(NEXT) | instid1(VALU_DEP_1)
	v_add_min_u32_e64 v17, v17, -1, v19
	v_dual_add_nc_u32 v17, v12, v17 :: v_dual_cndmask_b32 v18, v18, v19, s4
	v_cndmask_b32_e64 v16, v19, v16, s4
	ds_load_u8 v17, v17
	v_cmp_lt_u32_e64 s5, v18, v24
	v_cmp_ge_u32_e64 s7, v16, v50
	s_wait_dscnt 0x0
	v_cndmask_b32_e64 v27, v17, v29, s4
	v_cndmask_b32_e64 v28, v30, v17, s4
	s_delay_alu instid0(VALU_DEP_2) | instskip(NEXT) | instid1(VALU_DEP_2)
	v_and_b32_e32 v17, v27, v5
	v_and_b32_e32 v20, v28, v5
	s_delay_alu instid0(VALU_DEP_2) | instskip(NEXT) | instid1(VALU_DEP_2)
	v_bfe_i32 v17, v17, 0, 8
	v_bfe_i32 v20, v20, 0, 8
	s_delay_alu instid0(VALU_DEP_1) | instskip(SKIP_1) | instid1(SALU_CYCLE_1)
	v_cmp_le_i16_e64 s6, v17, v20
	s_and_b32 s5, s5, s6
	s_or_b32 s5, s7, s5
	s_delay_alu instid0(SALU_CYCLE_1) | instskip(SKIP_1) | instid1(VALU_DEP_1)
	v_dual_cndmask_b32 v33, v29, v30, s4 :: v_dual_cndmask_b32 v35, v27, v28, s5
	v_dual_cndmask_b32 v17, v16, v18, s5 :: v_dual_cndmask_b32 v19, v50, v24, s5
	v_add_nc_u32_e32 v20, 1, v17
	s_delay_alu instid0(VALU_DEP_1) | instskip(NEXT) | instid1(VALU_DEP_1)
	v_add_min_u32_e64 v19, v19, -1, v20
	v_dual_add_nc_u32 v19, v12, v19 :: v_dual_cndmask_b32 v18, v18, v20, s5
	v_cndmask_b32_e64 v16, v20, v16, s5
	ds_load_u8 v19, v19
	v_cmp_lt_u32_e64 s6, v18, v24
	v_cmp_ge_u32_e64 s10, v16, v50
	s_wait_dscnt 0x0
	v_cndmask_b32_e64 v31, v19, v27, s5
	s_delay_alu instid0(VALU_DEP_1) | instskip(NEXT) | instid1(VALU_DEP_1)
	v_dual_cndmask_b32 v34, v28, v19, s5 :: v_dual_bitop2_b32 v19, v31, v5 bitop3:0x40
	v_and_b32_e32 v21, v34, v5
	s_delay_alu instid0(VALU_DEP_2) | instskip(NEXT) | instid1(VALU_DEP_2)
	v_bfe_i32 v19, v19, 0, 8
	v_bfe_i32 v21, v21, 0, 8
	s_delay_alu instid0(VALU_DEP_1) | instskip(SKIP_2) | instid1(SALU_CYCLE_1)
	v_cmp_le_i16_e64 s7, v19, v21
	v_lshl_add_u32 v19, v17, 3, v10
	s_and_b32 s6, s6, s7
	s_or_b32 s6, s10, s6
	s_delay_alu instid0(SALU_CYCLE_1) | instskip(SKIP_2) | instid1(VALU_DEP_3)
	v_cndmask_b32_e64 v16, v16, v18, s6
	v_lshl_add_u32 v18, v15, 3, v10
	v_cndmask_b32_e64 v34, v31, v34, s6
	v_lshl_add_u32 v24, v16, 3, v10
	ds_load_b64 v[14:15], v14 offset:1024
	ds_load_b64 v[16:17], v18 offset:1024
	;; [unrolled: 1-line block ×4, first 2 shown]
.LBB298_44:
	s_or_b32 exec_lo, exec_lo, s13
	v_and_b32_e32 v26, 0x60, v0
	s_mov_b32 s4, exec_lo
	; wave barrier
	ds_store_b8 v22, v32
	s_wait_dscnt 0x4
	ds_store_b64 v38, v[14:15]
	v_or_b32_e32 v24, 16, v26
	ds_store_b8 v49, v33
	s_wait_dscnt 0x5
	ds_store_b64 v37, v[16:17]
	ds_store_b8 v48, v35
	s_wait_dscnt 0x6
	ds_store_b64 v23, v[20:21]
	;; [unrolled: 3-line block ×3, first 2 shown]
	; wave barrier
	v_min_u32_e32 v24, v36, v24
	s_delay_alu instid0(VALU_DEP_1) | instskip(SKIP_1) | instid1(VALU_DEP_2)
	v_dual_sub_nc_u32 v27, v24, v26 :: v_dual_bitop2_b32 v25, 28, v0 bitop3:0x40
	v_add_min_u32_e64 v50, v24, 16, v36
	v_min_u32_e32 v51, v36, v25
	s_delay_alu instid0(VALU_DEP_2) | instskip(NEXT) | instid1(VALU_DEP_2)
	v_sub_nc_u32_e32 v25, v50, v24
	v_min_u32_e32 v53, v51, v27
	s_delay_alu instid0(VALU_DEP_2) | instskip(NEXT) | instid1(VALU_DEP_1)
	v_sub_nc_u32_e64 v52, v51, v25 clamp
	v_cmpx_lt_u32_e64 v52, v53
	s_cbranch_execz .LBB298_48
; %bb.45:
	v_mov_b32_e32 v27, 0
	s_mov_b32 s5, 0
	s_delay_alu instid0(VALU_DEP_1) | instskip(SKIP_1) | instid1(VALU_DEP_2)
	v_mov_b32_e32 v25, v27
	v_add_nc_u64_e32 v[28:29], v[12:13], v[26:27]
	v_add_nc_u64_e32 v[30:31], v[12:13], v[24:25]
.LBB298_46:                             ; =>This Inner Loop Header: Depth=1
	v_add_nc_u32_e32 v25, v53, v52
	s_delay_alu instid0(VALU_DEP_1) | instskip(NEXT) | instid1(VALU_DEP_1)
	v_lshrrev_b32_e32 v25, 1, v25
	v_not_b32_e32 v27, v25
	v_dual_add_nc_u32 v29, v28, v25 :: v_dual_add_nc_u32 v31, 1, v25
	s_delay_alu instid0(VALU_DEP_2)
	v_add3_u32 v27, v51, v27, v30
	ds_load_u8 v29, v29
	ds_load_u8 v27, v27
	s_wait_dscnt 0x1
	v_and_b32_e32 v29, v29, v5
	s_wait_dscnt 0x0
	v_and_b32_e32 v27, v27, v5
	s_delay_alu instid0(VALU_DEP_2) | instskip(NEXT) | instid1(VALU_DEP_2)
	v_bfe_i32 v29, v29, 0, 8
	v_bfe_i32 v27, v27, 0, 8
	s_delay_alu instid0(VALU_DEP_1) | instskip(NEXT) | instid1(VALU_DEP_1)
	v_cmp_gt_i16_e64 s3, v27, v29
	v_dual_cndmask_b32 v52, v31, v52, s3 :: v_dual_cndmask_b32 v53, v53, v25, s3
	s_delay_alu instid0(VALU_DEP_1) | instskip(SKIP_1) | instid1(SALU_CYCLE_1)
	v_cmp_ge_u32_e64 s3, v52, v53
	s_or_b32 s5, s3, s5
	s_and_not1_b32 exec_lo, exec_lo, s5
	s_cbranch_execnz .LBB298_46
; %bb.47:
	s_or_b32 exec_lo, exec_lo, s5
.LBB298_48:
	s_delay_alu instid0(SALU_CYCLE_1) | instskip(SKIP_1) | instid1(VALU_DEP_1)
	s_or_b32 exec_lo, exec_lo, s4
	v_add_nc_u32_e32 v25, v24, v51
	v_dual_add_nc_u32 v28, v52, v26 :: v_dual_sub_nc_u32 v27, v25, v52
	s_delay_alu instid0(VALU_DEP_1) | instskip(NEXT) | instid1(VALU_DEP_2)
	v_cmp_le_u32_e64 s3, v28, v24
	v_cmp_le_u32_e64 s4, v27, v50
	s_or_b32 s3, s3, s4
	s_delay_alu instid0(SALU_CYCLE_1)
	s_and_saveexec_b32 s13, s3
	s_cbranch_execz .LBB298_54
; %bb.49:
	v_cmp_lt_u32_e64 s3, v28, v24
                                        ; implicit-def: $vgpr25
	s_and_saveexec_b32 s4, s3
; %bb.50:
	v_add_nc_u32_e32 v14, v12, v28
	ds_load_u8 v25, v14
; %bb.51:
	s_or_b32 exec_lo, exec_lo, s4
	v_cmp_ge_u32_e64 s4, v27, v50
	s_mov_b32 s6, exec_lo
                                        ; implicit-def: $vgpr26
	v_cmpx_lt_u32_e64 v27, v50
; %bb.52:
	v_add_nc_u32_e32 v14, v12, v27
	ds_load_u8 v26, v14
; %bb.53:
	s_or_b32 exec_lo, exec_lo, s6
	s_wait_dscnt 0x0
	v_and_b32_e32 v14, v26, v5
	v_and_b32_e32 v15, v25, v5
	s_delay_alu instid0(VALU_DEP_2) | instskip(NEXT) | instid1(VALU_DEP_2)
	v_bfe_i32 v14, v14, 0, 8
	v_bfe_i32 v15, v15, 0, 8
	s_delay_alu instid0(VALU_DEP_1) | instskip(SKIP_1) | instid1(SALU_CYCLE_1)
	v_cmp_le_i16_e64 s5, v14, v15
	s_and_b32 s3, s3, s5
	s_or_b32 s3, s4, s3
	s_delay_alu instid0(SALU_CYCLE_1) | instskip(SKIP_1) | instid1(VALU_DEP_2)
	v_cndmask_b32_e64 v14, v27, v28, s3
	v_cndmask_b32_e64 v15, v50, v24, s3
	v_dual_cndmask_b32 v32, v26, v25, s3 :: v_dual_add_nc_u32 v16, 1, v14
	v_lshl_add_u32 v14, v14, 3, v10
	s_delay_alu instid0(VALU_DEP_2) | instskip(SKIP_2) | instid1(VALU_DEP_3)
	v_add_min_u32_e64 v15, v15, -1, v16
	v_cndmask_b32_e64 v18, v28, v16, s3
	v_cndmask_b32_e64 v16, v16, v27, s3
	v_add_nc_u32_e32 v15, v12, v15
	s_delay_alu instid0(VALU_DEP_3) | instskip(NEXT) | instid1(VALU_DEP_3)
	v_cmp_lt_u32_e64 s4, v18, v24
	v_cmp_ge_u32_e64 s6, v16, v50
	ds_load_u8 v15, v15
	s_wait_dscnt 0x0
	v_dual_cndmask_b32 v29, v15, v26, s3 :: v_dual_cndmask_b32 v30, v25, v15, s3
	s_delay_alu instid0(VALU_DEP_1) | instskip(NEXT) | instid1(VALU_DEP_2)
	v_and_b32_e32 v15, v29, v5
	v_and_b32_e32 v17, v30, v5
	s_delay_alu instid0(VALU_DEP_2) | instskip(NEXT) | instid1(VALU_DEP_2)
	v_bfe_i32 v15, v15, 0, 8
	v_bfe_i32 v17, v17, 0, 8
	s_delay_alu instid0(VALU_DEP_1) | instskip(SKIP_1) | instid1(SALU_CYCLE_1)
	v_cmp_le_i16_e64 s5, v15, v17
	s_and_b32 s4, s4, s5
	s_or_b32 s4, s6, s4
	s_delay_alu instid0(SALU_CYCLE_1) | instskip(NEXT) | instid1(VALU_DEP_1)
	v_dual_cndmask_b32 v15, v16, v18, s4 :: v_dual_cndmask_b32 v17, v50, v24, s4
	v_add_nc_u32_e32 v19, 1, v15
	s_delay_alu instid0(VALU_DEP_1) | instskip(NEXT) | instid1(VALU_DEP_1)
	v_add_min_u32_e64 v17, v17, -1, v19
	v_dual_add_nc_u32 v17, v12, v17 :: v_dual_cndmask_b32 v18, v18, v19, s4
	v_cndmask_b32_e64 v16, v19, v16, s4
	ds_load_u8 v17, v17
	v_cmp_lt_u32_e64 s5, v18, v24
	v_cmp_ge_u32_e64 s7, v16, v50
	s_wait_dscnt 0x0
	v_cndmask_b32_e64 v27, v17, v29, s4
	v_cndmask_b32_e64 v28, v30, v17, s4
	s_delay_alu instid0(VALU_DEP_2) | instskip(NEXT) | instid1(VALU_DEP_2)
	v_and_b32_e32 v17, v27, v5
	v_and_b32_e32 v20, v28, v5
	s_delay_alu instid0(VALU_DEP_2) | instskip(NEXT) | instid1(VALU_DEP_2)
	v_bfe_i32 v17, v17, 0, 8
	v_bfe_i32 v20, v20, 0, 8
	s_delay_alu instid0(VALU_DEP_1) | instskip(SKIP_1) | instid1(SALU_CYCLE_1)
	v_cmp_le_i16_e64 s6, v17, v20
	s_and_b32 s5, s5, s6
	s_or_b32 s5, s7, s5
	s_delay_alu instid0(SALU_CYCLE_1) | instskip(SKIP_1) | instid1(VALU_DEP_1)
	v_dual_cndmask_b32 v33, v29, v30, s4 :: v_dual_cndmask_b32 v35, v27, v28, s5
	v_dual_cndmask_b32 v17, v16, v18, s5 :: v_dual_cndmask_b32 v19, v50, v24, s5
	v_add_nc_u32_e32 v20, 1, v17
	s_delay_alu instid0(VALU_DEP_1) | instskip(NEXT) | instid1(VALU_DEP_1)
	v_add_min_u32_e64 v19, v19, -1, v20
	v_dual_add_nc_u32 v19, v12, v19 :: v_dual_cndmask_b32 v18, v18, v20, s5
	v_cndmask_b32_e64 v16, v20, v16, s5
	ds_load_u8 v19, v19
	v_cmp_lt_u32_e64 s6, v18, v24
	v_cmp_ge_u32_e64 s10, v16, v50
	s_wait_dscnt 0x0
	v_cndmask_b32_e64 v31, v19, v27, s5
	s_delay_alu instid0(VALU_DEP_1) | instskip(NEXT) | instid1(VALU_DEP_1)
	v_dual_cndmask_b32 v34, v28, v19, s5 :: v_dual_bitop2_b32 v19, v31, v5 bitop3:0x40
	v_and_b32_e32 v21, v34, v5
	s_delay_alu instid0(VALU_DEP_2) | instskip(NEXT) | instid1(VALU_DEP_2)
	v_bfe_i32 v19, v19, 0, 8
	v_bfe_i32 v21, v21, 0, 8
	s_delay_alu instid0(VALU_DEP_1) | instskip(SKIP_2) | instid1(SALU_CYCLE_1)
	v_cmp_le_i16_e64 s7, v19, v21
	v_lshl_add_u32 v19, v17, 3, v10
	s_and_b32 s6, s6, s7
	s_or_b32 s6, s10, s6
	s_delay_alu instid0(SALU_CYCLE_1) | instskip(SKIP_2) | instid1(VALU_DEP_3)
	v_cndmask_b32_e64 v16, v16, v18, s6
	v_lshl_add_u32 v18, v15, 3, v10
	v_cndmask_b32_e64 v34, v31, v34, s6
	v_lshl_add_u32 v24, v16, 3, v10
	ds_load_b64 v[14:15], v14 offset:1024
	ds_load_b64 v[16:17], v18 offset:1024
	;; [unrolled: 1-line block ×4, first 2 shown]
.LBB298_54:
	s_or_b32 exec_lo, exec_lo, s13
	v_and_b32_e32 v26, 64, v0
	s_mov_b32 s4, exec_lo
	; wave barrier
	ds_store_b8 v22, v32
	s_wait_dscnt 0x4
	ds_store_b64 v38, v[14:15]
	v_or_b32_e32 v24, 32, v26
	ds_store_b8 v49, v33
	s_wait_dscnt 0x5
	ds_store_b64 v37, v[16:17]
	ds_store_b8 v48, v35
	s_wait_dscnt 0x6
	ds_store_b64 v23, v[20:21]
	;; [unrolled: 3-line block ×3, first 2 shown]
	; wave barrier
	v_min_u32_e32 v24, v36, v24
	s_delay_alu instid0(VALU_DEP_1) | instskip(SKIP_1) | instid1(VALU_DEP_2)
	v_dual_sub_nc_u32 v27, v24, v26 :: v_dual_bitop2_b32 v25, 60, v0 bitop3:0x40
	v_add_min_u32_e64 v50, v24, 32, v36
	v_min_u32_e32 v51, v36, v25
	s_delay_alu instid0(VALU_DEP_2) | instskip(NEXT) | instid1(VALU_DEP_2)
	v_sub_nc_u32_e32 v25, v50, v24
	v_min_u32_e32 v53, v51, v27
	s_delay_alu instid0(VALU_DEP_2) | instskip(NEXT) | instid1(VALU_DEP_1)
	v_sub_nc_u32_e64 v52, v51, v25 clamp
	v_cmpx_lt_u32_e64 v52, v53
	s_cbranch_execz .LBB298_58
; %bb.55:
	v_mov_b32_e32 v27, 0
	s_mov_b32 s5, 0
	s_delay_alu instid0(VALU_DEP_1) | instskip(SKIP_1) | instid1(VALU_DEP_2)
	v_mov_b32_e32 v25, v27
	v_add_nc_u64_e32 v[28:29], v[12:13], v[26:27]
	v_add_nc_u64_e32 v[30:31], v[12:13], v[24:25]
.LBB298_56:                             ; =>This Inner Loop Header: Depth=1
	v_add_nc_u32_e32 v25, v53, v52
	s_delay_alu instid0(VALU_DEP_1) | instskip(NEXT) | instid1(VALU_DEP_1)
	v_lshrrev_b32_e32 v25, 1, v25
	v_not_b32_e32 v27, v25
	v_dual_add_nc_u32 v29, v28, v25 :: v_dual_add_nc_u32 v31, 1, v25
	s_delay_alu instid0(VALU_DEP_2)
	v_add3_u32 v27, v51, v27, v30
	ds_load_u8 v29, v29
	ds_load_u8 v27, v27
	s_wait_dscnt 0x1
	v_and_b32_e32 v29, v29, v5
	s_wait_dscnt 0x0
	v_and_b32_e32 v27, v27, v5
	s_delay_alu instid0(VALU_DEP_2) | instskip(NEXT) | instid1(VALU_DEP_2)
	v_bfe_i32 v29, v29, 0, 8
	v_bfe_i32 v27, v27, 0, 8
	s_delay_alu instid0(VALU_DEP_1) | instskip(NEXT) | instid1(VALU_DEP_1)
	v_cmp_gt_i16_e64 s3, v27, v29
	v_dual_cndmask_b32 v52, v31, v52, s3 :: v_dual_cndmask_b32 v53, v53, v25, s3
	s_delay_alu instid0(VALU_DEP_1) | instskip(SKIP_1) | instid1(SALU_CYCLE_1)
	v_cmp_ge_u32_e64 s3, v52, v53
	s_or_b32 s5, s3, s5
	s_and_not1_b32 exec_lo, exec_lo, s5
	s_cbranch_execnz .LBB298_56
; %bb.57:
	s_or_b32 exec_lo, exec_lo, s5
.LBB298_58:
	s_delay_alu instid0(SALU_CYCLE_1) | instskip(SKIP_1) | instid1(VALU_DEP_1)
	s_or_b32 exec_lo, exec_lo, s4
	v_add_nc_u32_e32 v25, v24, v51
	v_dual_add_nc_u32 v28, v52, v26 :: v_dual_sub_nc_u32 v27, v25, v52
	s_delay_alu instid0(VALU_DEP_1) | instskip(NEXT) | instid1(VALU_DEP_2)
	v_cmp_le_u32_e64 s3, v28, v24
	v_cmp_le_u32_e64 s4, v27, v50
	s_or_b32 s3, s3, s4
	s_delay_alu instid0(SALU_CYCLE_1)
	s_and_saveexec_b32 s13, s3
	s_cbranch_execz .LBB298_64
; %bb.59:
	v_cmp_lt_u32_e64 s3, v28, v24
                                        ; implicit-def: $vgpr25
	s_and_saveexec_b32 s4, s3
; %bb.60:
	v_add_nc_u32_e32 v14, v12, v28
	ds_load_u8 v25, v14
; %bb.61:
	s_or_b32 exec_lo, exec_lo, s4
	v_cmp_ge_u32_e64 s4, v27, v50
	s_mov_b32 s6, exec_lo
                                        ; implicit-def: $vgpr26
	v_cmpx_lt_u32_e64 v27, v50
; %bb.62:
	v_add_nc_u32_e32 v14, v12, v27
	ds_load_u8 v26, v14
; %bb.63:
	s_or_b32 exec_lo, exec_lo, s6
	s_wait_dscnt 0x0
	v_and_b32_e32 v14, v26, v5
	v_and_b32_e32 v15, v25, v5
	s_delay_alu instid0(VALU_DEP_2) | instskip(NEXT) | instid1(VALU_DEP_2)
	v_bfe_i32 v14, v14, 0, 8
	v_bfe_i32 v15, v15, 0, 8
	s_delay_alu instid0(VALU_DEP_1) | instskip(SKIP_1) | instid1(SALU_CYCLE_1)
	v_cmp_le_i16_e64 s5, v14, v15
	s_and_b32 s3, s3, s5
	s_or_b32 s3, s4, s3
	s_delay_alu instid0(SALU_CYCLE_1) | instskip(SKIP_1) | instid1(VALU_DEP_2)
	v_cndmask_b32_e64 v14, v27, v28, s3
	v_cndmask_b32_e64 v15, v50, v24, s3
	v_dual_cndmask_b32 v32, v26, v25, s3 :: v_dual_add_nc_u32 v16, 1, v14
	v_lshl_add_u32 v14, v14, 3, v10
	s_delay_alu instid0(VALU_DEP_2) | instskip(SKIP_2) | instid1(VALU_DEP_3)
	v_add_min_u32_e64 v15, v15, -1, v16
	v_cndmask_b32_e64 v18, v28, v16, s3
	v_cndmask_b32_e64 v16, v16, v27, s3
	v_add_nc_u32_e32 v15, v12, v15
	s_delay_alu instid0(VALU_DEP_3) | instskip(NEXT) | instid1(VALU_DEP_3)
	v_cmp_lt_u32_e64 s4, v18, v24
	v_cmp_ge_u32_e64 s6, v16, v50
	ds_load_u8 v15, v15
	s_wait_dscnt 0x0
	v_dual_cndmask_b32 v29, v15, v26, s3 :: v_dual_cndmask_b32 v30, v25, v15, s3
	s_delay_alu instid0(VALU_DEP_1) | instskip(NEXT) | instid1(VALU_DEP_2)
	v_and_b32_e32 v15, v29, v5
	v_and_b32_e32 v17, v30, v5
	s_delay_alu instid0(VALU_DEP_2) | instskip(NEXT) | instid1(VALU_DEP_2)
	v_bfe_i32 v15, v15, 0, 8
	v_bfe_i32 v17, v17, 0, 8
	s_delay_alu instid0(VALU_DEP_1) | instskip(SKIP_1) | instid1(SALU_CYCLE_1)
	v_cmp_le_i16_e64 s5, v15, v17
	s_and_b32 s4, s4, s5
	s_or_b32 s4, s6, s4
	s_delay_alu instid0(SALU_CYCLE_1) | instskip(NEXT) | instid1(VALU_DEP_1)
	v_dual_cndmask_b32 v15, v16, v18, s4 :: v_dual_cndmask_b32 v17, v50, v24, s4
	v_add_nc_u32_e32 v19, 1, v15
	s_delay_alu instid0(VALU_DEP_1) | instskip(NEXT) | instid1(VALU_DEP_1)
	v_add_min_u32_e64 v17, v17, -1, v19
	v_dual_add_nc_u32 v17, v12, v17 :: v_dual_cndmask_b32 v18, v18, v19, s4
	v_cndmask_b32_e64 v16, v19, v16, s4
	ds_load_u8 v17, v17
	v_cmp_lt_u32_e64 s5, v18, v24
	v_cmp_ge_u32_e64 s7, v16, v50
	s_wait_dscnt 0x0
	v_cndmask_b32_e64 v27, v17, v29, s4
	v_cndmask_b32_e64 v28, v30, v17, s4
	s_delay_alu instid0(VALU_DEP_2) | instskip(NEXT) | instid1(VALU_DEP_2)
	v_and_b32_e32 v17, v27, v5
	v_and_b32_e32 v20, v28, v5
	s_delay_alu instid0(VALU_DEP_2) | instskip(NEXT) | instid1(VALU_DEP_2)
	v_bfe_i32 v17, v17, 0, 8
	v_bfe_i32 v20, v20, 0, 8
	s_delay_alu instid0(VALU_DEP_1) | instskip(SKIP_1) | instid1(SALU_CYCLE_1)
	v_cmp_le_i16_e64 s6, v17, v20
	s_and_b32 s5, s5, s6
	s_or_b32 s5, s7, s5
	s_delay_alu instid0(SALU_CYCLE_1) | instskip(SKIP_1) | instid1(VALU_DEP_1)
	v_dual_cndmask_b32 v33, v29, v30, s4 :: v_dual_cndmask_b32 v35, v27, v28, s5
	v_dual_cndmask_b32 v17, v16, v18, s5 :: v_dual_cndmask_b32 v19, v50, v24, s5
	v_add_nc_u32_e32 v20, 1, v17
	s_delay_alu instid0(VALU_DEP_1) | instskip(NEXT) | instid1(VALU_DEP_1)
	v_add_min_u32_e64 v19, v19, -1, v20
	v_dual_add_nc_u32 v19, v12, v19 :: v_dual_cndmask_b32 v18, v18, v20, s5
	v_cndmask_b32_e64 v16, v20, v16, s5
	ds_load_u8 v19, v19
	v_cmp_lt_u32_e64 s6, v18, v24
	v_cmp_ge_u32_e64 s10, v16, v50
	s_wait_dscnt 0x0
	v_cndmask_b32_e64 v31, v19, v27, s5
	s_delay_alu instid0(VALU_DEP_1) | instskip(NEXT) | instid1(VALU_DEP_1)
	v_dual_cndmask_b32 v34, v28, v19, s5 :: v_dual_bitop2_b32 v19, v31, v5 bitop3:0x40
	v_and_b32_e32 v21, v34, v5
	s_delay_alu instid0(VALU_DEP_2) | instskip(NEXT) | instid1(VALU_DEP_2)
	v_bfe_i32 v19, v19, 0, 8
	v_bfe_i32 v21, v21, 0, 8
	s_delay_alu instid0(VALU_DEP_1) | instskip(SKIP_2) | instid1(SALU_CYCLE_1)
	v_cmp_le_i16_e64 s7, v19, v21
	v_lshl_add_u32 v19, v17, 3, v10
	s_and_b32 s6, s6, s7
	s_or_b32 s6, s10, s6
	s_delay_alu instid0(SALU_CYCLE_1) | instskip(SKIP_2) | instid1(VALU_DEP_3)
	v_cndmask_b32_e64 v16, v16, v18, s6
	v_lshl_add_u32 v18, v15, 3, v10
	v_cndmask_b32_e64 v34, v31, v34, s6
	v_lshl_add_u32 v24, v16, 3, v10
	ds_load_b64 v[14:15], v14 offset:1024
	ds_load_b64 v[16:17], v18 offset:1024
	;; [unrolled: 1-line block ×4, first 2 shown]
.LBB298_64:
	s_or_b32 exec_lo, exec_lo, s13
	v_min_u32_e32 v24, 64, v36
	v_min_u32_e32 v28, v36, v0
	s_mov_b32 s4, exec_lo
	; wave barrier
	s_delay_alu instid0(VALU_DEP_2) | instskip(NEXT) | instid1(VALU_DEP_2)
	v_add_min_u32_e64 v26, v24, 64, v36
	v_min_u32_e32 v29, v28, v24
	ds_store_b8 v22, v32
	s_wait_dscnt 0x4
	ds_store_b64 v38, v[14:15]
	ds_store_b8 v49, v33
	s_wait_dscnt 0x5
	ds_store_b64 v37, v[16:17]
	;; [unrolled: 3-line block ×4, first 2 shown]
	v_sub_nc_u32_e32 v25, v26, v24
	; wave barrier
	s_delay_alu instid0(VALU_DEP_1) | instskip(NEXT) | instid1(VALU_DEP_1)
	v_sub_nc_u32_e64 v27, v28, v25 clamp
	v_cmpx_lt_u32_e64 v27, v29
	s_cbranch_execz .LBB298_68
; %bb.65:
	v_mov_b32_e32 v25, 0
	s_mov_b32 s5, 0
	s_delay_alu instid0(VALU_DEP_1)
	v_add_nc_u64_e32 v[22:23], v[12:13], v[24:25]
.LBB298_66:                             ; =>This Inner Loop Header: Depth=1
	v_add_nc_u32_e32 v11, v29, v27
	s_delay_alu instid0(VALU_DEP_1) | instskip(NEXT) | instid1(VALU_DEP_1)
	v_lshrrev_b32_e32 v11, 1, v11
	v_not_b32_e32 v13, v11
	v_add_nc_u32_e32 v23, v12, v11
	s_delay_alu instid0(VALU_DEP_2)
	v_add3_u32 v13, v28, v13, v22
	ds_load_u8 v23, v23
	ds_load_u8 v13, v13
	s_wait_dscnt 0x1
	v_and_b32_e32 v23, v23, v5
	s_wait_dscnt 0x0
	v_dual_add_nc_u32 v25, 1, v11 :: v_dual_bitop2_b32 v13, v13, v5 bitop3:0x40
	s_delay_alu instid0(VALU_DEP_2) | instskip(NEXT) | instid1(VALU_DEP_2)
	v_bfe_i32 v23, v23, 0, 8
	v_bfe_i32 v13, v13, 0, 8
	s_delay_alu instid0(VALU_DEP_1) | instskip(NEXT) | instid1(VALU_DEP_1)
	v_cmp_gt_i16_e64 s3, v13, v23
	v_cndmask_b32_e64 v29, v29, v11, s3
	v_cndmask_b32_e64 v27, v25, v27, s3
	s_delay_alu instid0(VALU_DEP_1) | instskip(SKIP_1) | instid1(SALU_CYCLE_1)
	v_cmp_ge_u32_e64 s3, v27, v29
	s_or_b32 s5, s3, s5
	s_and_not1_b32 exec_lo, exec_lo, s5
	s_cbranch_execnz .LBB298_66
; %bb.67:
	s_or_b32 exec_lo, exec_lo, s5
.LBB298_68:
	s_delay_alu instid0(SALU_CYCLE_1) | instskip(SKIP_2) | instid1(VALU_DEP_2)
	s_or_b32 exec_lo, exec_lo, s4
	v_add_nc_u32_e32 v11, v24, v28
	v_cmp_le_u32_e64 s3, v27, v24
	v_sub_nc_u32_e32 v22, v11, v27
	s_delay_alu instid0(VALU_DEP_1) | instskip(SKIP_1) | instid1(SALU_CYCLE_1)
	v_cmp_le_u32_e64 s4, v22, v26
	s_or_b32 s3, s3, s4
	s_and_saveexec_b32 s13, s3
	s_cbranch_execz .LBB298_74
; %bb.69:
	v_cmp_lt_u32_e64 s3, v27, v24
                                        ; implicit-def: $vgpr11
	s_and_saveexec_b32 s4, s3
; %bb.70:
	v_add_nc_u32_e32 v11, v12, v27
	ds_load_u8 v11, v11
; %bb.71:
	s_or_b32 exec_lo, exec_lo, s4
	v_cmp_ge_u32_e64 s4, v22, v26
	s_mov_b32 s6, exec_lo
                                        ; implicit-def: $vgpr13
	v_cmpx_lt_u32_e64 v22, v26
; %bb.72:
	v_add_nc_u32_e32 v13, v12, v22
	ds_load_u8 v13, v13
; %bb.73:
	s_or_b32 exec_lo, exec_lo, s6
	s_wait_dscnt 0x0
	v_and_b32_e32 v14, v13, v5
	v_and_b32_e32 v15, v11, v5
	s_delay_alu instid0(VALU_DEP_2) | instskip(NEXT) | instid1(VALU_DEP_2)
	v_bfe_i32 v14, v14, 0, 8
	v_bfe_i32 v15, v15, 0, 8
	s_delay_alu instid0(VALU_DEP_1) | instskip(SKIP_1) | instid1(SALU_CYCLE_1)
	v_cmp_le_i16_e64 s5, v14, v15
	s_and_b32 s3, s3, s5
	s_or_b32 s3, s4, s3
	s_delay_alu instid0(SALU_CYCLE_1) | instskip(SKIP_1) | instid1(VALU_DEP_2)
	v_cndmask_b32_e64 v14, v22, v27, s3
	v_dual_cndmask_b32 v15, v26, v24, s3 :: v_dual_cndmask_b32 v32, v13, v11, s3
	v_add_nc_u32_e32 v16, 1, v14
	v_lshl_add_u32 v14, v14, 3, v10
	s_delay_alu instid0(VALU_DEP_2) | instskip(NEXT) | instid1(VALU_DEP_1)
	v_add_min_u32_e64 v15, v15, -1, v16
	v_dual_add_nc_u32 v15, v12, v15 :: v_dual_cndmask_b32 v18, v27, v16, s3
	v_cndmask_b32_e64 v16, v16, v22, s3
	ds_load_u8 v15, v15
	v_cmp_lt_u32_e64 s4, v18, v24
	v_cmp_ge_u32_e64 s6, v16, v26
	s_wait_dscnt 0x0
	v_cndmask_b32_e64 v23, v15, v13, s3
	v_cndmask_b32_e64 v25, v11, v15, s3
	s_delay_alu instid0(VALU_DEP_2) | instskip(NEXT) | instid1(VALU_DEP_2)
	v_and_b32_e32 v15, v23, v5
	v_and_b32_e32 v17, v25, v5
	s_delay_alu instid0(VALU_DEP_2) | instskip(NEXT) | instid1(VALU_DEP_2)
	v_bfe_i32 v15, v15, 0, 8
	v_bfe_i32 v17, v17, 0, 8
	s_delay_alu instid0(VALU_DEP_1) | instskip(SKIP_1) | instid1(SALU_CYCLE_1)
	v_cmp_le_i16_e64 s5, v15, v17
	s_and_b32 s4, s4, s5
	s_or_b32 s4, s6, s4
	s_delay_alu instid0(SALU_CYCLE_1) | instskip(NEXT) | instid1(VALU_DEP_1)
	v_dual_cndmask_b32 v15, v16, v18, s4 :: v_dual_cndmask_b32 v17, v26, v24, s4
	v_dual_cndmask_b32 v33, v23, v25, s4 :: v_dual_add_nc_u32 v19, 1, v15
	s_delay_alu instid0(VALU_DEP_1) | instskip(NEXT) | instid1(VALU_DEP_1)
	v_add_min_u32_e64 v17, v17, -1, v19
	v_dual_cndmask_b32 v16, v19, v16, s4 :: v_dual_add_nc_u32 v17, v12, v17
	v_cndmask_b32_e64 v18, v18, v19, s4
	s_delay_alu instid0(VALU_DEP_2) | instskip(SKIP_4) | instid1(VALU_DEP_1)
	v_cmp_ge_u32_e64 s7, v16, v26
	ds_load_u8 v17, v17
	v_cmp_lt_u32_e64 s5, v18, v24
	s_wait_dscnt 0x0
	v_cndmask_b32_e64 v27, v25, v17, s4
	v_dual_cndmask_b32 v22, v17, v23, s4 :: v_dual_bitop2_b32 v20, v27, v5 bitop3:0x40
	s_delay_alu instid0(VALU_DEP_1) | instskip(NEXT) | instid1(VALU_DEP_2)
	v_and_b32_e32 v17, v22, v5
	v_bfe_i32 v20, v20, 0, 8
	s_delay_alu instid0(VALU_DEP_2) | instskip(NEXT) | instid1(VALU_DEP_1)
	v_bfe_i32 v17, v17, 0, 8
	v_cmp_le_i16_e64 s6, v17, v20
	s_and_b32 s5, s5, s6
	s_delay_alu instid0(SALU_CYCLE_1) | instskip(NEXT) | instid1(SALU_CYCLE_1)
	s_or_b32 s5, s7, s5
	v_dual_cndmask_b32 v17, v16, v18, s5 :: v_dual_cndmask_b32 v19, v26, v24, s5
	s_delay_alu instid0(VALU_DEP_1) | instskip(NEXT) | instid1(VALU_DEP_1)
	v_dual_cndmask_b32 v35, v22, v27, s5 :: v_dual_add_nc_u32 v20, 1, v17
	v_add_min_u32_e64 v19, v19, -1, v20
	s_delay_alu instid0(VALU_DEP_1)
	v_dual_add_nc_u32 v12, v12, v19 :: v_dual_cndmask_b32 v18, v18, v20, s5
	v_cndmask_b32_e64 v16, v20, v16, s5
	ds_load_u8 v12, v12
	v_cmp_lt_u32_e64 s6, v18, v24
	v_cmp_ge_u32_e64 s10, v16, v26
	s_wait_dscnt 0x0
	v_dual_cndmask_b32 v28, v12, v22, s5 :: v_dual_cndmask_b32 v12, v27, v12, s5
	s_delay_alu instid0(VALU_DEP_1) | instskip(NEXT) | instid1(VALU_DEP_2)
	v_and_b32_e32 v19, v28, v5
	v_and_b32_e32 v5, v12, v5
	s_delay_alu instid0(VALU_DEP_2) | instskip(NEXT) | instid1(VALU_DEP_2)
	v_bfe_i32 v19, v19, 0, 8
	v_bfe_i32 v5, v5, 0, 8
	s_delay_alu instid0(VALU_DEP_1) | instskip(SKIP_1) | instid1(SALU_CYCLE_1)
	v_cmp_le_i16_e64 s7, v19, v5
	s_and_b32 s6, s6, s7
	s_or_b32 s6, s10, s6
	s_delay_alu instid0(SALU_CYCLE_1) | instskip(SKIP_3) | instid1(VALU_DEP_4)
	v_cndmask_b32_e64 v5, v16, v18, s6
	v_lshl_add_u32 v16, v15, 3, v10
	v_lshl_add_u32 v18, v17, 3, v10
	v_cndmask_b32_e64 v34, v28, v12, s6
	v_lshl_add_u32 v5, v5, 3, v10
	ds_load_b64 v[14:15], v14 offset:1024
	ds_load_b64 v[16:17], v16 offset:1024
	;; [unrolled: 1-line block ×4, first 2 shown]
.LBB298_74:
	s_or_b32 exec_lo, exec_lo, s13
	; wave barrier
	s_wait_storecnt_dscnt 0x0
	s_barrier_signal -1
	s_barrier_wait -1
                                        ; implicit-def: $vgpr12_vgpr13
                                        ; implicit-def: $vgpr22
                                        ; implicit-def: $vgpr23
                                        ; implicit-def: $vgpr5
.LBB298_75:
	s_and_not1_saveexec_b32 s10, s12
	s_cbranch_execz .LBB298_137
; %bb.76:
	s_load_b64 s[4:5], s[8:9], 0x0
	s_bfe_u32 s6, ttmp6, 0x4000c
	s_bfe_u32 s12, ttmp6, 0x40010
	s_and_b32 s7, ttmp7, 0xffff
	s_add_co_i32 s6, s6, 1
	s_add_co_i32 s12, s12, 1
	s_and_b32 s3, ttmp6, 15
	s_bfe_u32 s13, ttmp6, 0x40004
	s_mul_i32 s6, ttmp9, s6
	s_mul_i32 s12, s7, s12
	s_add_co_i32 s3, s3, s6
	s_add_co_i32 s13, s13, s12
	s_cmp_eq_u32 s11, 0
	s_cselect_b32 s3, ttmp9, s3
	s_cselect_b32 s6, s7, s13
	s_wait_kmcnt 0x0
	s_cmp_lt_u32 s3, s4
	s_cselect_b32 s4, 12, 18
	s_cmp_lt_u32 s6, s5
	s_mov_b32 s5, 0
	s_cselect_b32 s6, 14, 20
	s_mov_b32 s7, s5
	s_add_nc_u64 s[4:5], s[8:9], s[4:5]
	s_add_nc_u64 s[6:7], s[8:9], s[6:7]
	s_clause 0x1
	s_load_u16 s4, s[4:5], 0x0
	s_nop 0
	s_load_u16 s3, s[6:7], 0x0
	s_wait_xcnt 0x0
	s_mov_b32 s6, exec_lo
	s_wait_kmcnt 0x0
	v_mad_u32_u24 v10, v23, s3, v22
	s_delay_alu instid0(VALU_DEP_1) | instskip(NEXT) | instid1(VALU_DEP_1)
	v_mul_lo_u32 v10, v10, s4
	v_add_lshl_u32 v5, v10, v5, 2
	s_delay_alu instid0(VALU_DEP_1)
	v_cmpx_gt_u32_e32 0x400, v5
	s_cbranch_execz .LBB298_86
; %bb.77:
	s_wait_loadcnt_dscnt 0x0
	v_perm_b32 v10, v35, v34, 0xc0c0004
	v_perm_b32 v11, v33, v32, 0xc0c0004
	;; [unrolled: 1-line block ×3, first 2 shown]
	v_bfe_i32 v23, v32, 0, 8
	v_bfe_i32 v24, v33, 0, 8
	v_lshlrev_b32_e32 v10, 16, v10
	s_mov_b32 s5, exec_lo
	s_delay_alu instid0(VALU_DEP_2) | instskip(NEXT) | instid1(VALU_DEP_2)
	v_cmp_gt_i16_e64 s3, v24, v23
	v_or_b32_e32 v11, v11, v10
	v_or_b32_e32 v10, v22, v10
	s_delay_alu instid0(VALU_DEP_1) | instskip(SKIP_1) | instid1(VALU_DEP_2)
	v_cndmask_b32_e64 v24, v10, v11, s3
	v_mov_b64_e32 v[10:11], v[20:21]
	v_dual_lshrrev_b32 v25, 24, v24 :: v_dual_lshrrev_b32 v27, 16, v24
	v_lshrrev_b32_e32 v26, 8, v24
	s_delay_alu instid0(VALU_DEP_2) | instskip(NEXT) | instid1(VALU_DEP_3)
	v_bfe_i32 v22, v25, 0, 8
	v_bfe_i32 v28, v27, 0, 8
	s_delay_alu instid0(VALU_DEP_1)
	v_cmpx_gt_i16_e64 v22, v28
; %bb.78:
	v_dual_mov_b32 v23, v27 :: v_dual_mov_b32 v28, v22
	v_mov_b64_e32 v[10:11], v[18:19]
	v_mov_b64_e32 v[18:19], v[20:21]
	v_swap_b32 v27, v25
; %bb.79:
	s_or_b32 exec_lo, exec_lo, s5
	v_dual_cndmask_b32 v23, v17, v15, s3 :: v_dual_cndmask_b32 v22, v16, v14, s3
	v_bfe_i32 v29, v26, 0, 8
	s_delay_alu instid0(VALU_DEP_2) | instskip(NEXT) | instid1(VALU_DEP_2)
	v_mov_b64_e32 v[20:21], v[22:23]
	v_cmp_gt_i16_e64 s4, v28, v29
	s_and_saveexec_b32 s5, s4
	s_delay_alu instid0(SALU_CYCLE_1)
	s_xor_b32 s4, exec_lo, s5
; %bb.80:
	v_mov_b64_e32 v[20:21], v[10:11]
	v_mov_b64_e32 v[10:11], v[22:23]
	v_dual_mov_b32 v27, v26 :: v_dual_mov_b32 v26, v28
	v_mov_b32_e32 v29, v28
; %bb.81:
	s_or_b32 exec_lo, exec_lo, s4
	s_delay_alu instid0(VALU_DEP_2) | instskip(NEXT) | instid1(VALU_DEP_2)
	v_perm_b32 v22, v27, v25, 0xc0c0004
	v_perm_b32 v23, v29, v24, 0xc0c0004
	;; [unrolled: 1-line block ×3, first 2 shown]
	v_bfe_i32 v24, v24, 0, 8
	s_mov_b32 s7, exec_lo
	v_lshlrev_b32_e32 v22, 16, v22
	s_delay_alu instid0(VALU_DEP_2) | instskip(NEXT) | instid1(VALU_DEP_2)
	v_cmp_gt_i16_e64 s4, v29, v24
	v_or_b32_e32 v23, v23, v22
	v_or_b32_e32 v22, v25, v22
	s_delay_alu instid0(VALU_DEP_1) | instskip(SKIP_1) | instid1(VALU_DEP_2)
	v_cndmask_b32_e64 v32, v22, v23, s4
	v_mov_b64_e32 v[22:23], v[10:11]
	v_dual_lshrrev_b32 v34, 24, v32 :: v_dual_lshrrev_b32 v35, 16, v32
	v_lshrrev_b32_e32 v33, 8, v32
	s_delay_alu instid0(VALU_DEP_2) | instskip(NEXT) | instid1(VALU_DEP_3)
	v_bfe_i32 v25, v34, 0, 8
	v_bfe_i32 v24, v35, 0, 8
	s_delay_alu instid0(VALU_DEP_1)
	v_cmpx_gt_i16_e64 v25, v24
; %bb.82:
	v_mov_b32_e32 v24, v35
	v_mov_b64_e32 v[22:23], v[18:19]
	v_mov_b64_e32 v[18:19], v[10:11]
	v_swap_b32 v35, v34
	v_mov_b32_e32 v24, v25
; %bb.83:
	s_or_b32 exec_lo, exec_lo, s7
	v_dual_cndmask_b32 v10, v15, v17, s3 :: v_dual_cndmask_b32 v11, v14, v16, s3
	v_bfe_i32 v25, v33, 0, 8
	s_delay_alu instid0(VALU_DEP_2)
	v_dual_cndmask_b32 v15, v10, v21, s4 :: v_dual_cndmask_b32 v14, v11, v20, s4
	v_dual_cndmask_b32 v17, v21, v10, s4 :: v_dual_cndmask_b32 v16, v20, v11, s4
	v_mov_b64_e32 v[20:21], v[22:23]
	s_mov_b32 s4, exec_lo
	v_cmpx_gt_i16_e64 v24, v25
; %bb.84:
	s_delay_alu instid0(VALU_DEP_3)
	v_mov_b64_e32 v[20:21], v[16:17]
	v_mov_b64_e32 v[16:17], v[22:23]
	v_dual_mov_b32 v35, v33 :: v_dual_mov_b32 v33, v24
; %bb.85:
	s_or_b32 exec_lo, exec_lo, s4
.LBB298_86:
	s_delay_alu instid0(SALU_CYCLE_1)
	s_or_b32 exec_lo, exec_lo, s6
	v_and_b32_e32 v26, 0xffffff80, v5
	v_dual_mov_b32 v27, 0 :: v_dual_bitop2_b32 v10, 4, v0 bitop3:0x54
	s_wait_loadcnt_dscnt 0x0
	v_perm_b32 v25, v32, v33, 0xc0c0004
	v_perm_b32 v29, v35, v34, 0xc0c0004
	v_sub_nc_u32_e64 v5, 0x400, v26 clamp
	v_add_nc_u64_e32 v[12:13], v[12:13], v[26:27]
	s_mov_b32 s4, exec_lo
	s_delay_alu instid0(VALU_DEP_3) | instskip(NEXT) | instid1(VALU_DEP_3)
	v_lshl_or_b32 v25, v29, 16, v25
	v_min_u32_e32 v24, v5, v10
	s_delay_alu instid0(VALU_DEP_3) | instskip(SKIP_1) | instid1(VALU_DEP_3)
	v_mad_nc_u64_u32 v[10:11], v26, 7, v[12:13]
	v_dual_mov_b32 v26, v0 :: v_dual_bitop2_b32 v11, 4, v0 bitop3:0x40
	v_add_min_u32_e64 v38, v24, 4, v5
	s_delay_alu instid0(VALU_DEP_2) | instskip(SKIP_1) | instid1(VALU_DEP_4)
	v_add_nc_u64_e32 v[22:23], v[12:13], v[26:27]
	v_and_b32_e32 v26, 0x78, v0
	v_min_u32_e32 v39, v5, v11
	s_delay_alu instid0(VALU_DEP_4) | instskip(SKIP_1) | instid1(VALU_DEP_4)
	v_sub_nc_u32_e32 v23, v38, v24
	v_lshl_add_u32 v11, v0, 3, v10
	v_sub_nc_u32_e32 v28, v24, v26
	ds_store_2addr_b64 v11, v[14:15], v[16:17] offset0:128 offset1:129
	ds_store_b64 v11, v[20:21] offset:1040
	ds_store_b32 v22, v25
	ds_store_b64 v11, v[18:19] offset:1048
	v_sub_nc_u32_e64 v48, v39, v23 clamp
	v_min_u32_e32 v23, v39, v28
	; wave barrier
	s_delay_alu instid0(VALU_DEP_1)
	v_cmpx_lt_u32_e64 v48, v23
	s_cbranch_execz .LBB298_90
; %bb.87:
	v_mov_b32_e32 v25, v27
	v_add_nc_u64_e32 v[28:29], v[12:13], v[26:27]
	s_mov_b32 s5, 0
	s_delay_alu instid0(VALU_DEP_2)
	v_add_nc_u64_e32 v[30:31], v[12:13], v[24:25]
.LBB298_88:                             ; =>This Inner Loop Header: Depth=1
	v_add_nc_u32_e32 v25, v23, v48
	s_delay_alu instid0(VALU_DEP_1) | instskip(NEXT) | instid1(VALU_DEP_1)
	v_lshrrev_b32_e32 v25, 1, v25
	v_not_b32_e32 v27, v25
	v_dual_add_nc_u32 v29, v28, v25 :: v_dual_add_nc_u32 v31, 1, v25
	s_delay_alu instid0(VALU_DEP_2) | instskip(SKIP_4) | instid1(VALU_DEP_1)
	v_add3_u32 v27, v39, v27, v30
	ds_load_i8 v29, v29
	ds_load_i8 v27, v27
	s_wait_dscnt 0x0
	v_cmp_gt_i16_e64 s3, v27, v29
	v_cndmask_b32_e64 v48, v31, v48, s3
	v_cndmask_b32_e64 v23, v23, v25, s3
	s_delay_alu instid0(VALU_DEP_1) | instskip(SKIP_1) | instid1(SALU_CYCLE_1)
	v_cmp_ge_u32_e64 s3, v48, v23
	s_or_b32 s5, s3, s5
	s_and_not1_b32 exec_lo, exec_lo, s5
	s_cbranch_execnz .LBB298_88
; %bb.89:
	s_or_b32 exec_lo, exec_lo, s5
.LBB298_90:
	s_delay_alu instid0(SALU_CYCLE_1)
	s_or_b32 exec_lo, exec_lo, s4
	v_add_nc_u32_e32 v25, v24, v39
	v_add_nc_u32_e32 v28, v48, v26
	;; [unrolled: 1-line block ×5, first 2 shown]
	v_sub_nc_u32_e32 v27, v25, v48
	v_cmp_le_u32_e64 s3, v28, v24
	v_add_nc_u32_e32 v11, 0x418, v11
	s_delay_alu instid0(VALU_DEP_3) | instskip(SKIP_1) | instid1(SALU_CYCLE_1)
	v_cmp_le_u32_e64 s4, v27, v38
	s_or_b32 s3, s3, s4
	s_and_saveexec_b32 s9, s3
	s_cbranch_execz .LBB298_96
; %bb.91:
	v_cmp_lt_u32_e64 s3, v28, v24
                                        ; implicit-def: $vgpr25
	s_and_saveexec_b32 s4, s3
; %bb.92:
	v_add_nc_u32_e32 v14, v12, v28
	ds_load_u8 v25, v14
; %bb.93:
	s_or_b32 exec_lo, exec_lo, s4
	v_cmp_ge_u32_e64 s4, v27, v38
	s_mov_b32 s6, exec_lo
                                        ; implicit-def: $vgpr26
	v_cmpx_lt_u32_e64 v27, v38
; %bb.94:
	v_add_nc_u32_e32 v14, v12, v27
	ds_load_u8 v26, v14
; %bb.95:
	s_or_b32 exec_lo, exec_lo, s6
	s_wait_dscnt 0x0
	v_bfe_i32 v14, v25, 0, 8
	v_bfe_i32 v15, v26, 0, 8
	s_delay_alu instid0(VALU_DEP_1) | instskip(SKIP_1) | instid1(SALU_CYCLE_1)
	v_cmp_le_i16_e64 s5, v15, v14
	s_and_b32 s3, s3, s5
	s_or_b32 s3, s4, s3
	s_delay_alu instid0(SALU_CYCLE_1) | instskip(SKIP_1) | instid1(VALU_DEP_2)
	v_cndmask_b32_e64 v14, v27, v28, s3
	v_cndmask_b32_e64 v15, v38, v24, s3
	v_dual_cndmask_b32 v32, v26, v25, s3 :: v_dual_add_nc_u32 v16, 1, v14
	s_delay_alu instid0(VALU_DEP_1) | instskip(NEXT) | instid1(VALU_DEP_1)
	v_add_min_u32_e64 v15, v15, -1, v16
	v_add_nc_u32_e32 v15, v12, v15
	v_lshl_add_u32 v14, v14, 3, v10
	ds_load_u8 v15, v15
	s_wait_dscnt 0x0
	v_dual_cndmask_b32 v29, v15, v26, s3 :: v_dual_cndmask_b32 v30, v25, v15, s3
	v_cndmask_b32_e64 v15, v28, v16, s3
	v_cndmask_b32_e64 v16, v16, v27, s3
	s_delay_alu instid0(VALU_DEP_3) | instskip(NEXT) | instid1(VALU_DEP_4)
	v_bfe_i32 v17, v29, 0, 8
	v_bfe_i32 v18, v30, 0, 8
	s_delay_alu instid0(VALU_DEP_4) | instskip(NEXT) | instid1(VALU_DEP_4)
	v_cmp_lt_u32_e64 s4, v15, v24
	v_cmp_ge_u32_e64 s6, v16, v38
	s_delay_alu instid0(VALU_DEP_3) | instskip(SKIP_1) | instid1(SALU_CYCLE_1)
	v_cmp_le_i16_e64 s5, v17, v18
	s_and_b32 s4, s4, s5
	s_or_b32 s4, s6, s4
	s_delay_alu instid0(SALU_CYCLE_1) | instskip(NEXT) | instid1(VALU_DEP_1)
	v_dual_cndmask_b32 v18, v38, v24, s4 :: v_dual_cndmask_b32 v17, v16, v15, s4
	v_add_nc_u32_e32 v19, 1, v17
	s_delay_alu instid0(VALU_DEP_1) | instskip(SKIP_1) | instid1(VALU_DEP_2)
	v_add_min_u32_e64 v18, v18, -1, v19
	v_cndmask_b32_e64 v15, v15, v19, s4
	v_dual_cndmask_b32 v16, v19, v16, s4 :: v_dual_add_nc_u32 v18, v12, v18
	s_delay_alu instid0(VALU_DEP_2) | instskip(NEXT) | instid1(VALU_DEP_2)
	v_cmp_lt_u32_e64 s5, v15, v24
	v_cmp_ge_u32_e64 s7, v16, v38
	ds_load_u8 v18, v18
	s_wait_dscnt 0x0
	v_cndmask_b32_e64 v27, v18, v29, s4
	v_cndmask_b32_e64 v28, v30, v18, s4
	s_delay_alu instid0(VALU_DEP_2) | instskip(NEXT) | instid1(VALU_DEP_2)
	v_bfe_i32 v18, v27, 0, 8
	v_bfe_i32 v20, v28, 0, 8
	s_delay_alu instid0(VALU_DEP_1) | instskip(SKIP_1) | instid1(SALU_CYCLE_1)
	v_cmp_le_i16_e64 s6, v18, v20
	s_and_b32 s5, s5, s6
	s_or_b32 s5, s7, s5
	s_delay_alu instid0(SALU_CYCLE_1) | instskip(SKIP_1) | instid1(VALU_DEP_1)
	v_dual_cndmask_b32 v33, v29, v30, s4 :: v_dual_cndmask_b32 v35, v27, v28, s5
	v_dual_cndmask_b32 v18, v16, v15, s5 :: v_dual_cndmask_b32 v19, v38, v24, s5
	v_add_nc_u32_e32 v20, 1, v18
	v_lshl_add_u32 v18, v18, 3, v10
	s_delay_alu instid0(VALU_DEP_2) | instskip(NEXT) | instid1(VALU_DEP_1)
	v_add_min_u32_e64 v19, v19, -1, v20
	v_dual_add_nc_u32 v19, v12, v19 :: v_dual_cndmask_b32 v15, v15, v20, s5
	v_cndmask_b32_e64 v16, v20, v16, s5
	ds_load_u8 v19, v19
	v_cmp_lt_u32_e64 s6, v15, v24
	v_cmp_ge_u32_e64 s8, v16, v38
	s_wait_dscnt 0x0
	v_cndmask_b32_e64 v31, v19, v27, s5
	v_cndmask_b32_e64 v34, v28, v19, s5
	s_delay_alu instid0(VALU_DEP_2) | instskip(NEXT) | instid1(VALU_DEP_2)
	v_bfe_i32 v19, v31, 0, 8
	v_bfe_i32 v21, v34, 0, 8
	s_delay_alu instid0(VALU_DEP_1) | instskip(SKIP_1) | instid1(SALU_CYCLE_1)
	v_cmp_le_i16_e64 s7, v19, v21
	s_and_b32 s6, s6, s7
	s_or_b32 s6, s8, s6
	s_delay_alu instid0(SALU_CYCLE_1) | instskip(SKIP_2) | instid1(VALU_DEP_3)
	v_cndmask_b32_e64 v15, v16, v15, s6
	v_lshl_add_u32 v16, v17, 3, v10
	v_cndmask_b32_e64 v34, v31, v34, s6
	v_lshl_add_u32 v19, v15, 3, v10
	ds_load_b64 v[14:15], v14 offset:1024
	ds_load_b64 v[16:17], v16 offset:1024
	;; [unrolled: 1-line block ×4, first 2 shown]
.LBB298_96:
	s_or_b32 exec_lo, exec_lo, s9
	v_and_b32_e32 v26, 0x70, v0
	s_mov_b32 s4, exec_lo
	; wave barrier
	ds_store_b8 v22, v32
	s_wait_dscnt 0x4
	ds_store_b64 v37, v[14:15]
	v_or_b32_e32 v24, 8, v26
	ds_store_b8 v22, v33 offset:1
	s_wait_dscnt 0x5
	ds_store_b64 v36, v[16:17]
	ds_store_b8 v22, v35 offset:2
	s_wait_dscnt 0x6
	ds_store_b64 v23, v[20:21]
	;; [unrolled: 3-line block ×3, first 2 shown]
	; wave barrier
	v_min_u32_e32 v24, v5, v24
	s_delay_alu instid0(VALU_DEP_1) | instskip(SKIP_1) | instid1(VALU_DEP_2)
	v_dual_sub_nc_u32 v27, v24, v26 :: v_dual_bitop2_b32 v25, 12, v0 bitop3:0x40
	v_add_min_u32_e64 v49, v24, 8, v5
	v_min_u32_e32 v50, v5, v25
	s_delay_alu instid0(VALU_DEP_2) | instskip(NEXT) | instid1(VALU_DEP_2)
	v_sub_nc_u32_e32 v25, v49, v24
	v_min_u32_e32 v38, v50, v27
	s_delay_alu instid0(VALU_DEP_2) | instskip(NEXT) | instid1(VALU_DEP_1)
	v_sub_nc_u32_e64 v51, v50, v25 clamp
	v_cmpx_lt_u32_e64 v51, v38
	s_cbranch_execz .LBB298_100
; %bb.97:
	v_mov_b32_e32 v27, 0
	s_mov_b32 s5, 0
	s_delay_alu instid0(VALU_DEP_1) | instskip(SKIP_1) | instid1(VALU_DEP_2)
	v_mov_b32_e32 v25, v27
	v_add_nc_u64_e32 v[28:29], v[12:13], v[26:27]
	v_add_nc_u64_e32 v[30:31], v[12:13], v[24:25]
.LBB298_98:                             ; =>This Inner Loop Header: Depth=1
	v_add_nc_u32_e32 v25, v38, v51
	s_delay_alu instid0(VALU_DEP_1) | instskip(NEXT) | instid1(VALU_DEP_1)
	v_lshrrev_b32_e32 v25, 1, v25
	v_not_b32_e32 v27, v25
	v_dual_add_nc_u32 v29, v28, v25 :: v_dual_add_nc_u32 v31, 1, v25
	s_delay_alu instid0(VALU_DEP_2) | instskip(SKIP_4) | instid1(VALU_DEP_1)
	v_add3_u32 v27, v50, v27, v30
	ds_load_i8 v29, v29
	ds_load_i8 v27, v27
	s_wait_dscnt 0x0
	v_cmp_gt_i16_e64 s3, v27, v29
	v_dual_cndmask_b32 v38, v38, v25, s3 :: v_dual_cndmask_b32 v51, v31, v51, s3
	s_delay_alu instid0(VALU_DEP_1) | instskip(SKIP_1) | instid1(SALU_CYCLE_1)
	v_cmp_ge_u32_e64 s3, v51, v38
	s_or_b32 s5, s3, s5
	s_and_not1_b32 exec_lo, exec_lo, s5
	s_cbranch_execnz .LBB298_98
; %bb.99:
	s_or_b32 exec_lo, exec_lo, s5
.LBB298_100:
	s_delay_alu instid0(SALU_CYCLE_1) | instskip(SKIP_4) | instid1(VALU_DEP_4)
	s_or_b32 exec_lo, exec_lo, s4
	v_add_nc_u32_e32 v25, v24, v50
	v_add_nc_u32_e32 v38, 3, v22
	;; [unrolled: 1-line block ×3, first 2 shown]
	v_dual_add_nc_u32 v48, 1, v22 :: v_dual_add_nc_u32 v39, 2, v22
	v_sub_nc_u32_e32 v27, v25, v51
	s_delay_alu instid0(VALU_DEP_3) | instskip(NEXT) | instid1(VALU_DEP_2)
	v_cmp_le_u32_e64 s3, v28, v24
	v_cmp_le_u32_e64 s4, v27, v49
	s_or_b32 s3, s3, s4
	s_delay_alu instid0(SALU_CYCLE_1)
	s_and_saveexec_b32 s9, s3
	s_cbranch_execz .LBB298_106
; %bb.101:
	v_cmp_lt_u32_e64 s3, v28, v24
                                        ; implicit-def: $vgpr25
	s_and_saveexec_b32 s4, s3
; %bb.102:
	v_add_nc_u32_e32 v14, v12, v28
	ds_load_u8 v25, v14
; %bb.103:
	s_or_b32 exec_lo, exec_lo, s4
	v_cmp_ge_u32_e64 s4, v27, v49
	s_mov_b32 s6, exec_lo
                                        ; implicit-def: $vgpr26
	v_cmpx_lt_u32_e64 v27, v49
; %bb.104:
	v_add_nc_u32_e32 v14, v12, v27
	ds_load_u8 v26, v14
; %bb.105:
	s_or_b32 exec_lo, exec_lo, s6
	s_wait_dscnt 0x0
	v_bfe_i32 v14, v25, 0, 8
	v_bfe_i32 v15, v26, 0, 8
	s_delay_alu instid0(VALU_DEP_1) | instskip(SKIP_1) | instid1(SALU_CYCLE_1)
	v_cmp_le_i16_e64 s5, v15, v14
	s_and_b32 s3, s3, s5
	s_or_b32 s3, s4, s3
	s_delay_alu instid0(SALU_CYCLE_1) | instskip(SKIP_1) | instid1(VALU_DEP_2)
	v_cndmask_b32_e64 v14, v27, v28, s3
	v_dual_cndmask_b32 v15, v49, v24, s3 :: v_dual_cndmask_b32 v32, v26, v25, s3
	v_add_nc_u32_e32 v16, 1, v14
	s_delay_alu instid0(VALU_DEP_1) | instskip(NEXT) | instid1(VALU_DEP_1)
	v_add_min_u32_e64 v15, v15, -1, v16
	v_add_nc_u32_e32 v15, v12, v15
	v_lshl_add_u32 v14, v14, 3, v10
	ds_load_u8 v15, v15
	s_wait_dscnt 0x0
	v_dual_cndmask_b32 v29, v15, v26, s3 :: v_dual_cndmask_b32 v30, v25, v15, s3
	v_cndmask_b32_e64 v15, v28, v16, s3
	v_cndmask_b32_e64 v16, v16, v27, s3
	s_delay_alu instid0(VALU_DEP_3) | instskip(NEXT) | instid1(VALU_DEP_4)
	v_bfe_i32 v17, v29, 0, 8
	v_bfe_i32 v18, v30, 0, 8
	s_delay_alu instid0(VALU_DEP_4) | instskip(NEXT) | instid1(VALU_DEP_4)
	v_cmp_lt_u32_e64 s4, v15, v24
	v_cmp_ge_u32_e64 s6, v16, v49
	s_delay_alu instid0(VALU_DEP_3) | instskip(SKIP_1) | instid1(SALU_CYCLE_1)
	v_cmp_le_i16_e64 s5, v17, v18
	s_and_b32 s4, s4, s5
	s_or_b32 s4, s6, s4
	s_delay_alu instid0(SALU_CYCLE_1) | instskip(NEXT) | instid1(VALU_DEP_1)
	v_dual_cndmask_b32 v18, v49, v24, s4 :: v_dual_cndmask_b32 v17, v16, v15, s4
	v_add_nc_u32_e32 v19, 1, v17
	s_delay_alu instid0(VALU_DEP_1) | instskip(SKIP_1) | instid1(VALU_DEP_2)
	v_add_min_u32_e64 v18, v18, -1, v19
	v_cndmask_b32_e64 v15, v15, v19, s4
	v_dual_cndmask_b32 v16, v19, v16, s4 :: v_dual_add_nc_u32 v18, v12, v18
	s_delay_alu instid0(VALU_DEP_2) | instskip(NEXT) | instid1(VALU_DEP_2)
	v_cmp_lt_u32_e64 s5, v15, v24
	v_cmp_ge_u32_e64 s7, v16, v49
	ds_load_u8 v18, v18
	s_wait_dscnt 0x0
	v_cndmask_b32_e64 v27, v18, v29, s4
	v_cndmask_b32_e64 v28, v30, v18, s4
	s_delay_alu instid0(VALU_DEP_2) | instskip(NEXT) | instid1(VALU_DEP_2)
	v_bfe_i32 v18, v27, 0, 8
	v_bfe_i32 v20, v28, 0, 8
	s_delay_alu instid0(VALU_DEP_1) | instskip(SKIP_1) | instid1(SALU_CYCLE_1)
	v_cmp_le_i16_e64 s6, v18, v20
	s_and_b32 s5, s5, s6
	s_or_b32 s5, s7, s5
	s_delay_alu instid0(SALU_CYCLE_1) | instskip(SKIP_1) | instid1(VALU_DEP_1)
	v_dual_cndmask_b32 v33, v29, v30, s4 :: v_dual_cndmask_b32 v35, v27, v28, s5
	v_dual_cndmask_b32 v18, v16, v15, s5 :: v_dual_cndmask_b32 v19, v49, v24, s5
	v_add_nc_u32_e32 v20, 1, v18
	v_lshl_add_u32 v18, v18, 3, v10
	s_delay_alu instid0(VALU_DEP_2) | instskip(NEXT) | instid1(VALU_DEP_1)
	v_add_min_u32_e64 v19, v19, -1, v20
	v_dual_add_nc_u32 v19, v12, v19 :: v_dual_cndmask_b32 v15, v15, v20, s5
	v_cndmask_b32_e64 v16, v20, v16, s5
	ds_load_u8 v19, v19
	v_cmp_lt_u32_e64 s6, v15, v24
	v_cmp_ge_u32_e64 s8, v16, v49
	s_wait_dscnt 0x0
	v_cndmask_b32_e64 v31, v19, v27, s5
	v_cndmask_b32_e64 v34, v28, v19, s5
	s_delay_alu instid0(VALU_DEP_2) | instskip(NEXT) | instid1(VALU_DEP_2)
	v_bfe_i32 v19, v31, 0, 8
	v_bfe_i32 v21, v34, 0, 8
	s_delay_alu instid0(VALU_DEP_1) | instskip(SKIP_1) | instid1(SALU_CYCLE_1)
	v_cmp_le_i16_e64 s7, v19, v21
	s_and_b32 s6, s6, s7
	s_or_b32 s6, s8, s6
	s_delay_alu instid0(SALU_CYCLE_1) | instskip(SKIP_2) | instid1(VALU_DEP_3)
	v_cndmask_b32_e64 v15, v16, v15, s6
	v_lshl_add_u32 v16, v17, 3, v10
	v_cndmask_b32_e64 v34, v31, v34, s6
	v_lshl_add_u32 v19, v15, 3, v10
	ds_load_b64 v[14:15], v14 offset:1024
	ds_load_b64 v[16:17], v16 offset:1024
	;; [unrolled: 1-line block ×4, first 2 shown]
.LBB298_106:
	s_or_b32 exec_lo, exec_lo, s9
	v_and_b32_e32 v26, 0x60, v0
	s_mov_b32 s4, exec_lo
	; wave barrier
	ds_store_b8 v22, v32
	s_wait_dscnt 0x4
	ds_store_b64 v37, v[14:15]
	v_or_b32_e32 v24, 16, v26
	ds_store_b8 v48, v33
	s_wait_dscnt 0x5
	ds_store_b64 v36, v[16:17]
	ds_store_b8 v39, v35
	s_wait_dscnt 0x6
	ds_store_b64 v23, v[20:21]
	;; [unrolled: 3-line block ×3, first 2 shown]
	; wave barrier
	v_min_u32_e32 v24, v5, v24
	s_delay_alu instid0(VALU_DEP_1) | instskip(SKIP_1) | instid1(VALU_DEP_2)
	v_dual_sub_nc_u32 v27, v24, v26 :: v_dual_bitop2_b32 v25, 28, v0 bitop3:0x40
	v_add_min_u32_e64 v49, v24, 16, v5
	v_min_u32_e32 v50, v5, v25
	s_delay_alu instid0(VALU_DEP_2) | instskip(NEXT) | instid1(VALU_DEP_2)
	v_sub_nc_u32_e32 v25, v49, v24
	v_min_u32_e32 v52, v50, v27
	s_delay_alu instid0(VALU_DEP_2) | instskip(NEXT) | instid1(VALU_DEP_1)
	v_sub_nc_u32_e64 v51, v50, v25 clamp
	v_cmpx_lt_u32_e64 v51, v52
	s_cbranch_execz .LBB298_110
; %bb.107:
	v_mov_b32_e32 v27, 0
	s_mov_b32 s5, 0
	s_delay_alu instid0(VALU_DEP_1) | instskip(SKIP_1) | instid1(VALU_DEP_2)
	v_mov_b32_e32 v25, v27
	v_add_nc_u64_e32 v[28:29], v[12:13], v[26:27]
	v_add_nc_u64_e32 v[30:31], v[12:13], v[24:25]
.LBB298_108:                            ; =>This Inner Loop Header: Depth=1
	v_add_nc_u32_e32 v25, v52, v51
	s_delay_alu instid0(VALU_DEP_1) | instskip(NEXT) | instid1(VALU_DEP_1)
	v_lshrrev_b32_e32 v25, 1, v25
	v_not_b32_e32 v27, v25
	v_dual_add_nc_u32 v29, v28, v25 :: v_dual_add_nc_u32 v31, 1, v25
	s_delay_alu instid0(VALU_DEP_2) | instskip(SKIP_4) | instid1(VALU_DEP_1)
	v_add3_u32 v27, v50, v27, v30
	ds_load_i8 v29, v29
	ds_load_i8 v27, v27
	s_wait_dscnt 0x0
	v_cmp_gt_i16_e64 s3, v27, v29
	v_dual_cndmask_b32 v52, v52, v25, s3 :: v_dual_cndmask_b32 v51, v31, v51, s3
	s_delay_alu instid0(VALU_DEP_1) | instskip(SKIP_1) | instid1(SALU_CYCLE_1)
	v_cmp_ge_u32_e64 s3, v51, v52
	s_or_b32 s5, s3, s5
	s_and_not1_b32 exec_lo, exec_lo, s5
	s_cbranch_execnz .LBB298_108
; %bb.109:
	s_or_b32 exec_lo, exec_lo, s5
.LBB298_110:
	s_delay_alu instid0(SALU_CYCLE_1) | instskip(SKIP_1) | instid1(VALU_DEP_1)
	s_or_b32 exec_lo, exec_lo, s4
	v_add_nc_u32_e32 v25, v24, v50
	v_dual_add_nc_u32 v28, v51, v26 :: v_dual_sub_nc_u32 v27, v25, v51
	s_delay_alu instid0(VALU_DEP_1) | instskip(NEXT) | instid1(VALU_DEP_2)
	v_cmp_le_u32_e64 s3, v28, v24
	v_cmp_le_u32_e64 s4, v27, v49
	s_or_b32 s3, s3, s4
	s_delay_alu instid0(SALU_CYCLE_1)
	s_and_saveexec_b32 s9, s3
	s_cbranch_execz .LBB298_116
; %bb.111:
	v_cmp_lt_u32_e64 s3, v28, v24
                                        ; implicit-def: $vgpr25
	s_and_saveexec_b32 s4, s3
; %bb.112:
	v_add_nc_u32_e32 v14, v12, v28
	ds_load_u8 v25, v14
; %bb.113:
	s_or_b32 exec_lo, exec_lo, s4
	v_cmp_ge_u32_e64 s4, v27, v49
	s_mov_b32 s6, exec_lo
                                        ; implicit-def: $vgpr26
	v_cmpx_lt_u32_e64 v27, v49
; %bb.114:
	v_add_nc_u32_e32 v14, v12, v27
	ds_load_u8 v26, v14
; %bb.115:
	s_or_b32 exec_lo, exec_lo, s6
	s_wait_dscnt 0x0
	v_bfe_i32 v14, v25, 0, 8
	v_bfe_i32 v15, v26, 0, 8
	s_delay_alu instid0(VALU_DEP_1) | instskip(SKIP_1) | instid1(SALU_CYCLE_1)
	v_cmp_le_i16_e64 s5, v15, v14
	s_and_b32 s3, s3, s5
	s_or_b32 s3, s4, s3
	s_delay_alu instid0(SALU_CYCLE_1) | instskip(SKIP_1) | instid1(VALU_DEP_2)
	v_cndmask_b32_e64 v14, v27, v28, s3
	v_dual_cndmask_b32 v15, v49, v24, s3 :: v_dual_cndmask_b32 v32, v26, v25, s3
	v_add_nc_u32_e32 v16, 1, v14
	s_delay_alu instid0(VALU_DEP_1) | instskip(NEXT) | instid1(VALU_DEP_1)
	v_add_min_u32_e64 v15, v15, -1, v16
	v_add_nc_u32_e32 v15, v12, v15
	v_lshl_add_u32 v14, v14, 3, v10
	ds_load_u8 v15, v15
	s_wait_dscnt 0x0
	v_dual_cndmask_b32 v29, v15, v26, s3 :: v_dual_cndmask_b32 v30, v25, v15, s3
	v_cndmask_b32_e64 v15, v28, v16, s3
	v_cndmask_b32_e64 v16, v16, v27, s3
	s_delay_alu instid0(VALU_DEP_3) | instskip(NEXT) | instid1(VALU_DEP_4)
	v_bfe_i32 v17, v29, 0, 8
	v_bfe_i32 v18, v30, 0, 8
	s_delay_alu instid0(VALU_DEP_4) | instskip(NEXT) | instid1(VALU_DEP_4)
	v_cmp_lt_u32_e64 s4, v15, v24
	v_cmp_ge_u32_e64 s6, v16, v49
	s_delay_alu instid0(VALU_DEP_3) | instskip(SKIP_1) | instid1(SALU_CYCLE_1)
	v_cmp_le_i16_e64 s5, v17, v18
	s_and_b32 s4, s4, s5
	s_or_b32 s4, s6, s4
	s_delay_alu instid0(SALU_CYCLE_1) | instskip(NEXT) | instid1(VALU_DEP_1)
	v_dual_cndmask_b32 v18, v49, v24, s4 :: v_dual_cndmask_b32 v17, v16, v15, s4
	v_add_nc_u32_e32 v19, 1, v17
	s_delay_alu instid0(VALU_DEP_1) | instskip(SKIP_1) | instid1(VALU_DEP_2)
	v_add_min_u32_e64 v18, v18, -1, v19
	v_cndmask_b32_e64 v15, v15, v19, s4
	v_dual_cndmask_b32 v16, v19, v16, s4 :: v_dual_add_nc_u32 v18, v12, v18
	s_delay_alu instid0(VALU_DEP_2) | instskip(NEXT) | instid1(VALU_DEP_2)
	v_cmp_lt_u32_e64 s5, v15, v24
	v_cmp_ge_u32_e64 s7, v16, v49
	ds_load_u8 v18, v18
	s_wait_dscnt 0x0
	v_cndmask_b32_e64 v27, v18, v29, s4
	v_cndmask_b32_e64 v28, v30, v18, s4
	s_delay_alu instid0(VALU_DEP_2) | instskip(NEXT) | instid1(VALU_DEP_2)
	v_bfe_i32 v18, v27, 0, 8
	v_bfe_i32 v20, v28, 0, 8
	s_delay_alu instid0(VALU_DEP_1) | instskip(SKIP_1) | instid1(SALU_CYCLE_1)
	v_cmp_le_i16_e64 s6, v18, v20
	s_and_b32 s5, s5, s6
	s_or_b32 s5, s7, s5
	s_delay_alu instid0(SALU_CYCLE_1) | instskip(SKIP_1) | instid1(VALU_DEP_1)
	v_dual_cndmask_b32 v33, v29, v30, s4 :: v_dual_cndmask_b32 v35, v27, v28, s5
	v_dual_cndmask_b32 v18, v16, v15, s5 :: v_dual_cndmask_b32 v19, v49, v24, s5
	v_add_nc_u32_e32 v20, 1, v18
	v_lshl_add_u32 v18, v18, 3, v10
	s_delay_alu instid0(VALU_DEP_2) | instskip(NEXT) | instid1(VALU_DEP_1)
	v_add_min_u32_e64 v19, v19, -1, v20
	v_dual_add_nc_u32 v19, v12, v19 :: v_dual_cndmask_b32 v15, v15, v20, s5
	v_cndmask_b32_e64 v16, v20, v16, s5
	ds_load_u8 v19, v19
	v_cmp_lt_u32_e64 s6, v15, v24
	v_cmp_ge_u32_e64 s8, v16, v49
	s_wait_dscnt 0x0
	v_cndmask_b32_e64 v31, v19, v27, s5
	v_cndmask_b32_e64 v34, v28, v19, s5
	s_delay_alu instid0(VALU_DEP_2) | instskip(NEXT) | instid1(VALU_DEP_2)
	v_bfe_i32 v19, v31, 0, 8
	v_bfe_i32 v21, v34, 0, 8
	s_delay_alu instid0(VALU_DEP_1) | instskip(SKIP_1) | instid1(SALU_CYCLE_1)
	v_cmp_le_i16_e64 s7, v19, v21
	s_and_b32 s6, s6, s7
	s_or_b32 s6, s8, s6
	s_delay_alu instid0(SALU_CYCLE_1) | instskip(SKIP_2) | instid1(VALU_DEP_3)
	v_cndmask_b32_e64 v15, v16, v15, s6
	v_lshl_add_u32 v16, v17, 3, v10
	v_cndmask_b32_e64 v34, v31, v34, s6
	v_lshl_add_u32 v19, v15, 3, v10
	ds_load_b64 v[14:15], v14 offset:1024
	ds_load_b64 v[16:17], v16 offset:1024
	;; [unrolled: 1-line block ×4, first 2 shown]
.LBB298_116:
	s_or_b32 exec_lo, exec_lo, s9
	v_and_b32_e32 v26, 64, v0
	s_mov_b32 s4, exec_lo
	; wave barrier
	ds_store_b8 v22, v32
	s_wait_dscnt 0x4
	ds_store_b64 v37, v[14:15]
	v_or_b32_e32 v24, 32, v26
	ds_store_b8 v48, v33
	s_wait_dscnt 0x5
	ds_store_b64 v36, v[16:17]
	ds_store_b8 v39, v35
	s_wait_dscnt 0x6
	ds_store_b64 v23, v[20:21]
	;; [unrolled: 3-line block ×3, first 2 shown]
	; wave barrier
	v_min_u32_e32 v24, v5, v24
	s_delay_alu instid0(VALU_DEP_1) | instskip(SKIP_1) | instid1(VALU_DEP_2)
	v_dual_sub_nc_u32 v27, v24, v26 :: v_dual_bitop2_b32 v25, 60, v0 bitop3:0x40
	v_add_min_u32_e64 v49, v24, 32, v5
	v_min_u32_e32 v50, v5, v25
	s_delay_alu instid0(VALU_DEP_2) | instskip(NEXT) | instid1(VALU_DEP_2)
	v_sub_nc_u32_e32 v25, v49, v24
	v_min_u32_e32 v52, v50, v27
	s_delay_alu instid0(VALU_DEP_2) | instskip(NEXT) | instid1(VALU_DEP_1)
	v_sub_nc_u32_e64 v51, v50, v25 clamp
	v_cmpx_lt_u32_e64 v51, v52
	s_cbranch_execz .LBB298_120
; %bb.117:
	v_mov_b32_e32 v27, 0
	s_mov_b32 s5, 0
	s_delay_alu instid0(VALU_DEP_1) | instskip(SKIP_1) | instid1(VALU_DEP_2)
	v_mov_b32_e32 v25, v27
	v_add_nc_u64_e32 v[28:29], v[12:13], v[26:27]
	v_add_nc_u64_e32 v[30:31], v[12:13], v[24:25]
.LBB298_118:                            ; =>This Inner Loop Header: Depth=1
	v_add_nc_u32_e32 v25, v52, v51
	s_delay_alu instid0(VALU_DEP_1) | instskip(NEXT) | instid1(VALU_DEP_1)
	v_lshrrev_b32_e32 v25, 1, v25
	v_not_b32_e32 v27, v25
	v_dual_add_nc_u32 v29, v28, v25 :: v_dual_add_nc_u32 v31, 1, v25
	s_delay_alu instid0(VALU_DEP_2) | instskip(SKIP_4) | instid1(VALU_DEP_1)
	v_add3_u32 v27, v50, v27, v30
	ds_load_i8 v29, v29
	ds_load_i8 v27, v27
	s_wait_dscnt 0x0
	v_cmp_gt_i16_e64 s3, v27, v29
	v_dual_cndmask_b32 v52, v52, v25, s3 :: v_dual_cndmask_b32 v51, v31, v51, s3
	s_delay_alu instid0(VALU_DEP_1) | instskip(SKIP_1) | instid1(SALU_CYCLE_1)
	v_cmp_ge_u32_e64 s3, v51, v52
	s_or_b32 s5, s3, s5
	s_and_not1_b32 exec_lo, exec_lo, s5
	s_cbranch_execnz .LBB298_118
; %bb.119:
	s_or_b32 exec_lo, exec_lo, s5
.LBB298_120:
	s_delay_alu instid0(SALU_CYCLE_1) | instskip(SKIP_1) | instid1(VALU_DEP_1)
	s_or_b32 exec_lo, exec_lo, s4
	v_add_nc_u32_e32 v25, v24, v50
	v_dual_add_nc_u32 v28, v51, v26 :: v_dual_sub_nc_u32 v27, v25, v51
	s_delay_alu instid0(VALU_DEP_1) | instskip(NEXT) | instid1(VALU_DEP_2)
	v_cmp_le_u32_e64 s3, v28, v24
	v_cmp_le_u32_e64 s4, v27, v49
	s_or_b32 s3, s3, s4
	s_delay_alu instid0(SALU_CYCLE_1)
	s_and_saveexec_b32 s9, s3
	s_cbranch_execz .LBB298_126
; %bb.121:
	v_cmp_lt_u32_e64 s3, v28, v24
                                        ; implicit-def: $vgpr25
	s_and_saveexec_b32 s4, s3
; %bb.122:
	v_add_nc_u32_e32 v14, v12, v28
	ds_load_u8 v25, v14
; %bb.123:
	s_or_b32 exec_lo, exec_lo, s4
	v_cmp_ge_u32_e64 s4, v27, v49
	s_mov_b32 s6, exec_lo
                                        ; implicit-def: $vgpr26
	v_cmpx_lt_u32_e64 v27, v49
; %bb.124:
	v_add_nc_u32_e32 v14, v12, v27
	ds_load_u8 v26, v14
; %bb.125:
	s_or_b32 exec_lo, exec_lo, s6
	s_wait_dscnt 0x0
	v_bfe_i32 v14, v25, 0, 8
	v_bfe_i32 v15, v26, 0, 8
	s_delay_alu instid0(VALU_DEP_1) | instskip(SKIP_1) | instid1(SALU_CYCLE_1)
	v_cmp_le_i16_e64 s5, v15, v14
	s_and_b32 s3, s3, s5
	s_or_b32 s3, s4, s3
	s_delay_alu instid0(SALU_CYCLE_1) | instskip(SKIP_1) | instid1(VALU_DEP_2)
	v_cndmask_b32_e64 v14, v27, v28, s3
	v_dual_cndmask_b32 v15, v49, v24, s3 :: v_dual_cndmask_b32 v32, v26, v25, s3
	v_add_nc_u32_e32 v16, 1, v14
	s_delay_alu instid0(VALU_DEP_1) | instskip(NEXT) | instid1(VALU_DEP_1)
	v_add_min_u32_e64 v15, v15, -1, v16
	v_add_nc_u32_e32 v15, v12, v15
	v_lshl_add_u32 v14, v14, 3, v10
	ds_load_u8 v15, v15
	s_wait_dscnt 0x0
	v_dual_cndmask_b32 v29, v15, v26, s3 :: v_dual_cndmask_b32 v30, v25, v15, s3
	v_cndmask_b32_e64 v15, v28, v16, s3
	v_cndmask_b32_e64 v16, v16, v27, s3
	s_delay_alu instid0(VALU_DEP_3) | instskip(NEXT) | instid1(VALU_DEP_4)
	v_bfe_i32 v17, v29, 0, 8
	v_bfe_i32 v18, v30, 0, 8
	s_delay_alu instid0(VALU_DEP_4) | instskip(NEXT) | instid1(VALU_DEP_4)
	v_cmp_lt_u32_e64 s4, v15, v24
	v_cmp_ge_u32_e64 s6, v16, v49
	s_delay_alu instid0(VALU_DEP_3) | instskip(SKIP_1) | instid1(SALU_CYCLE_1)
	v_cmp_le_i16_e64 s5, v17, v18
	s_and_b32 s4, s4, s5
	s_or_b32 s4, s6, s4
	s_delay_alu instid0(SALU_CYCLE_1) | instskip(NEXT) | instid1(VALU_DEP_1)
	v_dual_cndmask_b32 v18, v49, v24, s4 :: v_dual_cndmask_b32 v17, v16, v15, s4
	v_add_nc_u32_e32 v19, 1, v17
	s_delay_alu instid0(VALU_DEP_1) | instskip(SKIP_1) | instid1(VALU_DEP_2)
	v_add_min_u32_e64 v18, v18, -1, v19
	v_cndmask_b32_e64 v15, v15, v19, s4
	v_dual_cndmask_b32 v16, v19, v16, s4 :: v_dual_add_nc_u32 v18, v12, v18
	s_delay_alu instid0(VALU_DEP_2) | instskip(NEXT) | instid1(VALU_DEP_2)
	v_cmp_lt_u32_e64 s5, v15, v24
	v_cmp_ge_u32_e64 s7, v16, v49
	ds_load_u8 v18, v18
	s_wait_dscnt 0x0
	v_cndmask_b32_e64 v27, v18, v29, s4
	v_cndmask_b32_e64 v28, v30, v18, s4
	s_delay_alu instid0(VALU_DEP_2) | instskip(NEXT) | instid1(VALU_DEP_2)
	v_bfe_i32 v18, v27, 0, 8
	v_bfe_i32 v20, v28, 0, 8
	s_delay_alu instid0(VALU_DEP_1) | instskip(SKIP_1) | instid1(SALU_CYCLE_1)
	v_cmp_le_i16_e64 s6, v18, v20
	s_and_b32 s5, s5, s6
	s_or_b32 s5, s7, s5
	s_delay_alu instid0(SALU_CYCLE_1) | instskip(SKIP_1) | instid1(VALU_DEP_1)
	v_dual_cndmask_b32 v33, v29, v30, s4 :: v_dual_cndmask_b32 v35, v27, v28, s5
	v_dual_cndmask_b32 v18, v16, v15, s5 :: v_dual_cndmask_b32 v19, v49, v24, s5
	v_add_nc_u32_e32 v20, 1, v18
	v_lshl_add_u32 v18, v18, 3, v10
	s_delay_alu instid0(VALU_DEP_2) | instskip(NEXT) | instid1(VALU_DEP_1)
	v_add_min_u32_e64 v19, v19, -1, v20
	v_dual_add_nc_u32 v19, v12, v19 :: v_dual_cndmask_b32 v15, v15, v20, s5
	v_cndmask_b32_e64 v16, v20, v16, s5
	ds_load_u8 v19, v19
	v_cmp_lt_u32_e64 s6, v15, v24
	v_cmp_ge_u32_e64 s8, v16, v49
	s_wait_dscnt 0x0
	v_cndmask_b32_e64 v31, v19, v27, s5
	v_cndmask_b32_e64 v34, v28, v19, s5
	s_delay_alu instid0(VALU_DEP_2) | instskip(NEXT) | instid1(VALU_DEP_2)
	v_bfe_i32 v19, v31, 0, 8
	v_bfe_i32 v21, v34, 0, 8
	s_delay_alu instid0(VALU_DEP_1) | instskip(SKIP_1) | instid1(SALU_CYCLE_1)
	v_cmp_le_i16_e64 s7, v19, v21
	s_and_b32 s6, s6, s7
	s_or_b32 s6, s8, s6
	s_delay_alu instid0(SALU_CYCLE_1) | instskip(SKIP_2) | instid1(VALU_DEP_3)
	v_cndmask_b32_e64 v15, v16, v15, s6
	v_lshl_add_u32 v16, v17, 3, v10
	v_cndmask_b32_e64 v34, v31, v34, s6
	v_lshl_add_u32 v19, v15, 3, v10
	ds_load_b64 v[14:15], v14 offset:1024
	ds_load_b64 v[16:17], v16 offset:1024
	;; [unrolled: 1-line block ×4, first 2 shown]
.LBB298_126:
	s_or_b32 exec_lo, exec_lo, s9
	v_min_u32_e32 v24, 64, v5
	v_min_u32_e32 v27, v5, v0
	s_mov_b32 s4, exec_lo
	; wave barrier
	s_delay_alu instid0(VALU_DEP_2) | instskip(NEXT) | instid1(VALU_DEP_2)
	v_add_min_u32_e64 v26, v24, 64, v5
	v_min_u32_e32 v28, v27, v24
	ds_store_b8 v22, v32
	s_wait_dscnt 0x4
	ds_store_b64 v37, v[14:15]
	ds_store_b8 v48, v33
	s_wait_dscnt 0x5
	ds_store_b64 v36, v[16:17]
	;; [unrolled: 3-line block ×4, first 2 shown]
	v_sub_nc_u32_e32 v5, v26, v24
	; wave barrier
	s_delay_alu instid0(VALU_DEP_1) | instskip(NEXT) | instid1(VALU_DEP_1)
	v_sub_nc_u32_e64 v5, v27, v5 clamp
	v_cmpx_lt_u32_e64 v5, v28
	s_cbranch_execz .LBB298_130
; %bb.127:
	v_mov_b32_e32 v25, 0
	s_mov_b32 s5, 0
	s_delay_alu instid0(VALU_DEP_1)
	v_add_nc_u64_e32 v[22:23], v[12:13], v[24:25]
.LBB298_128:                            ; =>This Inner Loop Header: Depth=1
	v_add_nc_u32_e32 v11, v28, v5
	s_delay_alu instid0(VALU_DEP_1) | instskip(NEXT) | instid1(VALU_DEP_1)
	v_lshrrev_b32_e32 v11, 1, v11
	v_not_b32_e32 v13, v11
	v_dual_add_nc_u32 v23, v12, v11 :: v_dual_add_nc_u32 v25, 1, v11
	s_delay_alu instid0(VALU_DEP_2) | instskip(SKIP_4) | instid1(VALU_DEP_1)
	v_add3_u32 v13, v27, v13, v22
	ds_load_i8 v23, v23
	ds_load_i8 v13, v13
	s_wait_dscnt 0x0
	v_cmp_gt_i16_e64 s3, v13, v23
	v_dual_cndmask_b32 v28, v28, v11, s3 :: v_dual_cndmask_b32 v5, v25, v5, s3
	s_delay_alu instid0(VALU_DEP_1) | instskip(SKIP_1) | instid1(SALU_CYCLE_1)
	v_cmp_ge_u32_e64 s3, v5, v28
	s_or_b32 s5, s3, s5
	s_and_not1_b32 exec_lo, exec_lo, s5
	s_cbranch_execnz .LBB298_128
; %bb.129:
	s_or_b32 exec_lo, exec_lo, s5
.LBB298_130:
	s_delay_alu instid0(SALU_CYCLE_1) | instskip(SKIP_2) | instid1(VALU_DEP_2)
	s_or_b32 exec_lo, exec_lo, s4
	v_add_nc_u32_e32 v11, v24, v27
	v_cmp_le_u32_e64 s3, v5, v24
	v_sub_nc_u32_e32 v22, v11, v5
	s_delay_alu instid0(VALU_DEP_1) | instskip(SKIP_1) | instid1(SALU_CYCLE_1)
	v_cmp_le_u32_e64 s4, v22, v26
	s_or_b32 s3, s3, s4
	s_and_saveexec_b32 s9, s3
	s_cbranch_execz .LBB298_136
; %bb.131:
	v_cmp_lt_u32_e64 s3, v5, v24
                                        ; implicit-def: $vgpr11
	s_and_saveexec_b32 s4, s3
; %bb.132:
	v_add_nc_u32_e32 v11, v12, v5
	ds_load_u8 v11, v11
; %bb.133:
	s_or_b32 exec_lo, exec_lo, s4
	v_cmp_ge_u32_e64 s4, v22, v26
	s_mov_b32 s6, exec_lo
                                        ; implicit-def: $vgpr13
	v_cmpx_lt_u32_e64 v22, v26
; %bb.134:
	v_add_nc_u32_e32 v13, v12, v22
	ds_load_u8 v13, v13
; %bb.135:
	s_or_b32 exec_lo, exec_lo, s6
	s_wait_dscnt 0x0
	v_bfe_i32 v14, v11, 0, 8
	v_bfe_i32 v15, v13, 0, 8
	s_delay_alu instid0(VALU_DEP_1) | instskip(SKIP_1) | instid1(SALU_CYCLE_1)
	v_cmp_le_i16_e64 s5, v15, v14
	s_and_b32 s3, s3, s5
	s_or_b32 s3, s4, s3
	s_delay_alu instid0(SALU_CYCLE_1) | instskip(SKIP_1) | instid1(VALU_DEP_2)
	v_cndmask_b32_e64 v14, v22, v5, s3
	v_dual_cndmask_b32 v15, v26, v24, s3 :: v_dual_cndmask_b32 v32, v13, v11, s3
	v_add_nc_u32_e32 v16, 1, v14
	s_delay_alu instid0(VALU_DEP_1) | instskip(SKIP_1) | instid1(VALU_DEP_2)
	v_add_min_u32_e64 v15, v15, -1, v16
	v_dual_cndmask_b32 v5, v5, v16, s3 :: v_dual_cndmask_b32 v16, v16, v22, s3
	v_add_nc_u32_e32 v15, v12, v15
	s_delay_alu instid0(VALU_DEP_2) | instskip(NEXT) | instid1(VALU_DEP_3)
	v_cmp_lt_u32_e64 s4, v5, v24
	v_cmp_ge_u32_e64 s6, v16, v26
	v_lshl_add_u32 v14, v14, 3, v10
	ds_load_u8 v15, v15
	s_wait_dscnt 0x0
	v_cndmask_b32_e64 v23, v15, v13, s3
	v_cndmask_b32_e64 v25, v11, v15, s3
	s_delay_alu instid0(VALU_DEP_2) | instskip(NEXT) | instid1(VALU_DEP_2)
	v_bfe_i32 v15, v23, 0, 8
	v_bfe_i32 v17, v25, 0, 8
	s_delay_alu instid0(VALU_DEP_1) | instskip(SKIP_1) | instid1(SALU_CYCLE_1)
	v_cmp_le_i16_e64 s5, v15, v17
	s_and_b32 s4, s4, s5
	s_or_b32 s4, s6, s4
	s_delay_alu instid0(SALU_CYCLE_1) | instskip(NEXT) | instid1(VALU_DEP_1)
	v_dual_cndmask_b32 v15, v16, v5, s4 :: v_dual_cndmask_b32 v17, v26, v24, s4
	v_add_nc_u32_e32 v18, 1, v15
	s_delay_alu instid0(VALU_DEP_1) | instskip(NEXT) | instid1(VALU_DEP_1)
	v_add_min_u32_e64 v17, v17, -1, v18
	v_dual_add_nc_u32 v17, v12, v17 :: v_dual_cndmask_b32 v5, v5, v18, s4
	v_cndmask_b32_e64 v16, v18, v16, s4
	ds_load_u8 v17, v17
	v_cmp_lt_u32_e64 s5, v5, v24
	v_cmp_ge_u32_e64 s7, v16, v26
	s_wait_dscnt 0x0
	v_cndmask_b32_e64 v22, v17, v23, s4
	v_cndmask_b32_e64 v27, v25, v17, s4
	s_delay_alu instid0(VALU_DEP_2) | instskip(NEXT) | instid1(VALU_DEP_2)
	v_bfe_i32 v17, v22, 0, 8
	v_bfe_i32 v19, v27, 0, 8
	s_delay_alu instid0(VALU_DEP_1) | instskip(SKIP_1) | instid1(SALU_CYCLE_1)
	v_cmp_le_i16_e64 s6, v17, v19
	s_and_b32 s5, s5, s6
	s_or_b32 s5, s7, s5
	s_delay_alu instid0(SALU_CYCLE_1) | instskip(SKIP_1) | instid1(VALU_DEP_2)
	v_dual_cndmask_b32 v18, v26, v24, s5 :: v_dual_cndmask_b32 v17, v16, v5, s5
	v_dual_cndmask_b32 v33, v23, v25, s4 :: v_dual_cndmask_b32 v35, v22, v27, s5
	v_add_nc_u32_e32 v19, 1, v17
	s_delay_alu instid0(VALU_DEP_1) | instskip(SKIP_1) | instid1(VALU_DEP_2)
	v_add_min_u32_e64 v18, v18, -1, v19
	v_dual_cndmask_b32 v5, v5, v19, s5 :: v_dual_cndmask_b32 v16, v19, v16, s5
	v_add_nc_u32_e32 v12, v12, v18
	s_delay_alu instid0(VALU_DEP_2) | instskip(NEXT) | instid1(VALU_DEP_3)
	v_cmp_lt_u32_e64 s6, v5, v24
	v_cmp_ge_u32_e64 s8, v16, v26
	ds_load_u8 v12, v12
	s_wait_dscnt 0x0
	v_dual_cndmask_b32 v28, v12, v22, s5 :: v_dual_cndmask_b32 v12, v27, v12, s5
	s_delay_alu instid0(VALU_DEP_1) | instskip(NEXT) | instid1(VALU_DEP_2)
	v_bfe_i32 v18, v28, 0, 8
	v_bfe_i32 v20, v12, 0, 8
	s_delay_alu instid0(VALU_DEP_1) | instskip(SKIP_2) | instid1(SALU_CYCLE_1)
	v_cmp_le_i16_e64 s7, v18, v20
	v_lshl_add_u32 v18, v17, 3, v10
	s_and_b32 s6, s6, s7
	s_or_b32 s6, s8, s6
	s_delay_alu instid0(SALU_CYCLE_1) | instskip(SKIP_2) | instid1(VALU_DEP_3)
	v_cndmask_b32_e64 v5, v16, v5, s6
	v_lshl_add_u32 v16, v15, 3, v10
	v_cndmask_b32_e64 v34, v28, v12, s6
	v_lshl_add_u32 v5, v5, 3, v10
	ds_load_b64 v[14:15], v14 offset:1024
	ds_load_b64 v[16:17], v16 offset:1024
	;; [unrolled: 1-line block ×4, first 2 shown]
.LBB298_136:
	s_or_b32 exec_lo, exec_lo, s9
	; wave barrier
	s_wait_storecnt_dscnt 0x0
	s_barrier_signal -1
	s_barrier_wait -1
.LBB298_137:
	s_or_b32 exec_lo, exec_lo, s10
	v_add_nc_u64_e32 v[2:3], v[2:3], v[8:9]
	s_wait_storecnt 0x0
	; wave barrier
	s_wait_loadcnt_dscnt 0x0
	s_delay_alu instid0(VALU_DEP_1)
	v_add_nc_u64_e32 v[0:1], v[2:3], v[0:1]
	s_and_saveexec_b32 s3, vcc_lo
	s_cbranch_execnz .LBB298_150
; %bb.138:
	s_or_b32 exec_lo, exec_lo, s3
	s_and_saveexec_b32 s3, s0
	s_cbranch_execnz .LBB298_151
.LBB298_139:
	s_or_b32 exec_lo, exec_lo, s3
	s_and_saveexec_b32 s3, s1
	s_cbranch_execnz .LBB298_152
.LBB298_140:
	s_or_b32 exec_lo, exec_lo, s3
	s_and_saveexec_b32 s3, s2
	s_cbranch_execz .LBB298_142
.LBB298_141:
	flat_store_b8 v[0:1], v34 offset:3
.LBB298_142:
	s_wait_xcnt 0x0
	s_or_b32 exec_lo, exec_lo, s3
	v_lshl_add_u64 v[0:1], v[8:9], 3, v[6:7]
	v_mov_b32_e32 v5, 0
	; wave barrier
	s_delay_alu instid0(VALU_DEP_1)
	v_add_nc_u64_e32 v[0:1], v[0:1], v[4:5]
	s_and_saveexec_b32 s3, vcc_lo
	s_cbranch_execnz .LBB298_153
; %bb.143:
	s_or_b32 exec_lo, exec_lo, s3
	s_and_saveexec_b32 s3, s0
	s_cbranch_execnz .LBB298_154
.LBB298_144:
	s_or_b32 exec_lo, exec_lo, s3
	s_and_saveexec_b32 s0, s1
	s_cbranch_execnz .LBB298_155
.LBB298_145:
	s_or_b32 exec_lo, exec_lo, s0
	s_and_saveexec_b32 s0, s2
	s_cbranch_execnz .LBB298_156
.LBB298_146:
	s_or_b32 exec_lo, exec_lo, s0
	s_wait_dscnt 0x0
	s_set_pc_i64 s[30:31]
.LBB298_147:
	flat_load_b64 v[14:15], v[22:23]
	s_wait_xcnt 0x0
	s_or_b32 exec_lo, exec_lo, s3
                                        ; implicit-def: $vgpr16_vgpr17
	s_and_saveexec_b32 s3, s0
	s_cbranch_execz .LBB298_10
.LBB298_148:
	flat_load_b64 v[16:17], v[22:23] offset:8
	s_wait_xcnt 0x0
	s_or_b32 exec_lo, exec_lo, s3
                                        ; implicit-def: $vgpr20_vgpr21
	s_and_saveexec_b32 s3, s1
	s_cbranch_execz .LBB298_11
.LBB298_149:
	flat_load_b64 v[20:21], v[22:23] offset:16
	s_wait_xcnt 0x0
	s_or_b32 exec_lo, exec_lo, s3
                                        ; implicit-def: $vgpr18_vgpr19
	s_and_saveexec_b32 s3, s2
	s_cbranch_execnz .LBB298_12
	s_branch .LBB298_13
.LBB298_150:
	flat_store_b8 v[0:1], v32
	s_wait_xcnt 0x0
	s_or_b32 exec_lo, exec_lo, s3
	s_and_saveexec_b32 s3, s0
	s_cbranch_execz .LBB298_139
.LBB298_151:
	flat_store_b8 v[0:1], v33 offset:1
	s_wait_xcnt 0x0
	s_or_b32 exec_lo, exec_lo, s3
	s_and_saveexec_b32 s3, s1
	s_cbranch_execz .LBB298_140
.LBB298_152:
	flat_store_b8 v[0:1], v35 offset:2
	s_wait_xcnt 0x0
	s_or_b32 exec_lo, exec_lo, s3
	s_and_saveexec_b32 s3, s2
	s_cbranch_execnz .LBB298_141
	s_branch .LBB298_142
.LBB298_153:
	flat_store_b64 v[0:1], v[14:15]
	s_wait_xcnt 0x0
	s_or_b32 exec_lo, exec_lo, s3
	s_and_saveexec_b32 s3, s0
	s_cbranch_execz .LBB298_144
.LBB298_154:
	flat_store_b64 v[0:1], v[16:17] offset:8
	s_wait_xcnt 0x0
	s_or_b32 exec_lo, exec_lo, s3
	s_and_saveexec_b32 s0, s1
	s_cbranch_execz .LBB298_145
.LBB298_155:
	flat_store_b64 v[0:1], v[20:21] offset:16
	s_wait_xcnt 0x0
	s_or_b32 exec_lo, exec_lo, s0
	s_and_saveexec_b32 s0, s2
	s_cbranch_execz .LBB298_146
.LBB298_156:
	flat_store_b64 v[0:1], v[18:19] offset:24
	s_wait_xcnt 0x0
	s_or_b32 exec_lo, exec_lo, s0
	s_wait_dscnt 0x0
	s_set_pc_i64 s[30:31]
.Lfunc_end298:
	.size	_ZN7rocprim17ROCPRIM_400000_NS6detail26segmented_warp_sort_helperINS1_20WarpSortHelperConfigILj32ELj4ELj256EEEalLi256ELb1EvE4sortIPKaPaPKlPlEEvT_T0_T1_T2_jjjjRNS5_12storage_typeE, .Lfunc_end298-_ZN7rocprim17ROCPRIM_400000_NS6detail26segmented_warp_sort_helperINS1_20WarpSortHelperConfigILj32ELj4ELj256EEEalLi256ELb1EvE4sortIPKaPaPKlPlEEvT_T0_T1_T2_jjjjRNS5_12storage_typeE
                                        ; -- End function
	.set .L_ZN7rocprim17ROCPRIM_400000_NS6detail26segmented_warp_sort_helperINS1_20WarpSortHelperConfigILj32ELj4ELj256EEEalLi256ELb1EvE4sortIPKaPaPKlPlEEvT_T0_T1_T2_jjjjRNS5_12storage_typeE.num_vgpr, 54
	.set .L_ZN7rocprim17ROCPRIM_400000_NS6detail26segmented_warp_sort_helperINS1_20WarpSortHelperConfigILj32ELj4ELj256EEEalLi256ELb1EvE4sortIPKaPaPKlPlEEvT_T0_T1_T2_jjjjRNS5_12storage_typeE.num_agpr, 0
	.set .L_ZN7rocprim17ROCPRIM_400000_NS6detail26segmented_warp_sort_helperINS1_20WarpSortHelperConfigILj32ELj4ELj256EEEalLi256ELb1EvE4sortIPKaPaPKlPlEEvT_T0_T1_T2_jjjjRNS5_12storage_typeE.numbered_sgpr, 32
	.set .L_ZN7rocprim17ROCPRIM_400000_NS6detail26segmented_warp_sort_helperINS1_20WarpSortHelperConfigILj32ELj4ELj256EEEalLi256ELb1EvE4sortIPKaPaPKlPlEEvT_T0_T1_T2_jjjjRNS5_12storage_typeE.num_named_barrier, 0
	.set .L_ZN7rocprim17ROCPRIM_400000_NS6detail26segmented_warp_sort_helperINS1_20WarpSortHelperConfigILj32ELj4ELj256EEEalLi256ELb1EvE4sortIPKaPaPKlPlEEvT_T0_T1_T2_jjjjRNS5_12storage_typeE.private_seg_size, 0
	.set .L_ZN7rocprim17ROCPRIM_400000_NS6detail26segmented_warp_sort_helperINS1_20WarpSortHelperConfigILj32ELj4ELj256EEEalLi256ELb1EvE4sortIPKaPaPKlPlEEvT_T0_T1_T2_jjjjRNS5_12storage_typeE.uses_vcc, 1
	.set .L_ZN7rocprim17ROCPRIM_400000_NS6detail26segmented_warp_sort_helperINS1_20WarpSortHelperConfigILj32ELj4ELj256EEEalLi256ELb1EvE4sortIPKaPaPKlPlEEvT_T0_T1_T2_jjjjRNS5_12storage_typeE.uses_flat_scratch, 0
	.set .L_ZN7rocprim17ROCPRIM_400000_NS6detail26segmented_warp_sort_helperINS1_20WarpSortHelperConfigILj32ELj4ELj256EEEalLi256ELb1EvE4sortIPKaPaPKlPlEEvT_T0_T1_T2_jjjjRNS5_12storage_typeE.has_dyn_sized_stack, 0
	.set .L_ZN7rocprim17ROCPRIM_400000_NS6detail26segmented_warp_sort_helperINS1_20WarpSortHelperConfigILj32ELj4ELj256EEEalLi256ELb1EvE4sortIPKaPaPKlPlEEvT_T0_T1_T2_jjjjRNS5_12storage_typeE.has_recursion, 0
	.set .L_ZN7rocprim17ROCPRIM_400000_NS6detail26segmented_warp_sort_helperINS1_20WarpSortHelperConfigILj32ELj4ELj256EEEalLi256ELb1EvE4sortIPKaPaPKlPlEEvT_T0_T1_T2_jjjjRNS5_12storage_typeE.has_indirect_call, 0
	.section	.AMDGPU.csdata,"",@progbits
; Function info:
; codeLenInByte = 12716
; TotalNumSgprs: 34
; NumVgprs: 54
; ScratchSize: 0
; MemoryBound: 0
	.section	.text._ZN7rocprim17ROCPRIM_400000_NS6detail17trampoline_kernelINS0_14default_configENS1_36segmented_radix_sort_config_selectorIalEEZNS1_25segmented_radix_sort_implIS3_Lb1EPKaPaPKlPlN2at6native12_GLOBAL__N_18offset_tEEE10hipError_tPvRmT1_PNSt15iterator_traitsISK_E10value_typeET2_T3_PNSL_ISQ_E10value_typeET4_jRbjT5_SW_jjP12ihipStream_tbEUlT_E0_NS1_11comp_targetILNS1_3genE0ELNS1_11target_archE4294967295ELNS1_3gpuE0ELNS1_3repE0EEENS1_60segmented_radix_sort_warp_sort_medium_config_static_selectorELNS0_4arch9wavefront6targetE0EEEvSK_,"axG",@progbits,_ZN7rocprim17ROCPRIM_400000_NS6detail17trampoline_kernelINS0_14default_configENS1_36segmented_radix_sort_config_selectorIalEEZNS1_25segmented_radix_sort_implIS3_Lb1EPKaPaPKlPlN2at6native12_GLOBAL__N_18offset_tEEE10hipError_tPvRmT1_PNSt15iterator_traitsISK_E10value_typeET2_T3_PNSL_ISQ_E10value_typeET4_jRbjT5_SW_jjP12ihipStream_tbEUlT_E0_NS1_11comp_targetILNS1_3genE0ELNS1_11target_archE4294967295ELNS1_3gpuE0ELNS1_3repE0EEENS1_60segmented_radix_sort_warp_sort_medium_config_static_selectorELNS0_4arch9wavefront6targetE0EEEvSK_,comdat
	.globl	_ZN7rocprim17ROCPRIM_400000_NS6detail17trampoline_kernelINS0_14default_configENS1_36segmented_radix_sort_config_selectorIalEEZNS1_25segmented_radix_sort_implIS3_Lb1EPKaPaPKlPlN2at6native12_GLOBAL__N_18offset_tEEE10hipError_tPvRmT1_PNSt15iterator_traitsISK_E10value_typeET2_T3_PNSL_ISQ_E10value_typeET4_jRbjT5_SW_jjP12ihipStream_tbEUlT_E0_NS1_11comp_targetILNS1_3genE0ELNS1_11target_archE4294967295ELNS1_3gpuE0ELNS1_3repE0EEENS1_60segmented_radix_sort_warp_sort_medium_config_static_selectorELNS0_4arch9wavefront6targetE0EEEvSK_ ; -- Begin function _ZN7rocprim17ROCPRIM_400000_NS6detail17trampoline_kernelINS0_14default_configENS1_36segmented_radix_sort_config_selectorIalEEZNS1_25segmented_radix_sort_implIS3_Lb1EPKaPaPKlPlN2at6native12_GLOBAL__N_18offset_tEEE10hipError_tPvRmT1_PNSt15iterator_traitsISK_E10value_typeET2_T3_PNSL_ISQ_E10value_typeET4_jRbjT5_SW_jjP12ihipStream_tbEUlT_E0_NS1_11comp_targetILNS1_3genE0ELNS1_11target_archE4294967295ELNS1_3gpuE0ELNS1_3repE0EEENS1_60segmented_radix_sort_warp_sort_medium_config_static_selectorELNS0_4arch9wavefront6targetE0EEEvSK_
	.p2align	8
	.type	_ZN7rocprim17ROCPRIM_400000_NS6detail17trampoline_kernelINS0_14default_configENS1_36segmented_radix_sort_config_selectorIalEEZNS1_25segmented_radix_sort_implIS3_Lb1EPKaPaPKlPlN2at6native12_GLOBAL__N_18offset_tEEE10hipError_tPvRmT1_PNSt15iterator_traitsISK_E10value_typeET2_T3_PNSL_ISQ_E10value_typeET4_jRbjT5_SW_jjP12ihipStream_tbEUlT_E0_NS1_11comp_targetILNS1_3genE0ELNS1_11target_archE4294967295ELNS1_3gpuE0ELNS1_3repE0EEENS1_60segmented_radix_sort_warp_sort_medium_config_static_selectorELNS0_4arch9wavefront6targetE0EEEvSK_,@function
_ZN7rocprim17ROCPRIM_400000_NS6detail17trampoline_kernelINS0_14default_configENS1_36segmented_radix_sort_config_selectorIalEEZNS1_25segmented_radix_sort_implIS3_Lb1EPKaPaPKlPlN2at6native12_GLOBAL__N_18offset_tEEE10hipError_tPvRmT1_PNSt15iterator_traitsISK_E10value_typeET2_T3_PNSL_ISQ_E10value_typeET4_jRbjT5_SW_jjP12ihipStream_tbEUlT_E0_NS1_11comp_targetILNS1_3genE0ELNS1_11target_archE4294967295ELNS1_3gpuE0ELNS1_3repE0EEENS1_60segmented_radix_sort_warp_sort_medium_config_static_selectorELNS0_4arch9wavefront6targetE0EEEvSK_: ; @_ZN7rocprim17ROCPRIM_400000_NS6detail17trampoline_kernelINS0_14default_configENS1_36segmented_radix_sort_config_selectorIalEEZNS1_25segmented_radix_sort_implIS3_Lb1EPKaPaPKlPlN2at6native12_GLOBAL__N_18offset_tEEE10hipError_tPvRmT1_PNSt15iterator_traitsISK_E10value_typeET2_T3_PNSL_ISQ_E10value_typeET4_jRbjT5_SW_jjP12ihipStream_tbEUlT_E0_NS1_11comp_targetILNS1_3genE0ELNS1_11target_archE4294967295ELNS1_3gpuE0ELNS1_3repE0EEENS1_60segmented_radix_sort_warp_sort_medium_config_static_selectorELNS0_4arch9wavefront6targetE0EEEvSK_
; %bb.0:
	s_load_b32 s4, s[2:3], 0x64
	v_bfe_u32 v1, v0, 10, 10
	v_bfe_u32 v2, v0, 20, 10
	v_and_b32_e32 v3, 0x3ff, v0
	s_and_b32 s6, ttmp6, 15
	s_getreg_b32 s7, hwreg(HW_REG_IB_STS2, 6, 4)
	s_mov_b32 s32, 0
	s_wait_kmcnt 0x0
	s_lshr_b32 s5, s4, 16
	s_and_b32 s4, s4, 0xffff
	v_mad_u32_u24 v1, v2, s5, v1
	s_bfe_u32 s5, ttmp6, 0x4000c
	s_delay_alu instid0(SALU_CYCLE_1) | instskip(NEXT) | instid1(SALU_CYCLE_1)
	s_add_co_i32 s5, s5, 1
	s_mul_i32 s5, ttmp9, s5
	s_delay_alu instid0(VALU_DEP_1) | instskip(SKIP_4) | instid1(VALU_DEP_1)
	v_mad_u32 v1, v1, s4, v3
	s_load_b32 s4, s[2:3], 0x34
	s_add_co_i32 s6, s6, s5
	s_cmp_eq_u32 s7, 0
	s_cselect_b32 s5, ttmp9, s6
	v_lshrrev_b32_e32 v1, 5, v1
	s_delay_alu instid0(VALU_DEP_1) | instskip(SKIP_1) | instid1(VALU_DEP_1)
	v_lshl_add_u32 v1, s5, 3, v1
	s_wait_kmcnt 0x0
	v_cmp_gt_u32_e32 vcc_lo, s4, v1
	s_and_saveexec_b32 s4, vcc_lo
	s_cbranch_execz .LBB299_6
; %bb.1:
	s_clause 0x1
	s_load_b64 s[8:9], s[2:3], 0x38
	s_load_b128 s[4:7], s[2:3], 0x40
	s_wait_kmcnt 0x0
	global_load_b32 v1, v1, s[8:9] scale_offset
	s_wait_loadcnt 0x0
	v_dual_add_nc_u32 v2, s5, v1 :: v_dual_add_nc_u32 v1, s7, v1
	s_delay_alu instid0(VALU_DEP_1) | instskip(NEXT) | instid1(VALU_DEP_2)
	v_mul_lo_u32 v8, v2, s4
	v_mul_lo_u32 v40, v1, s6
	s_delay_alu instid0(VALU_DEP_1)
	v_cmp_gt_u32_e32 vcc_lo, v40, v8
	s_and_b32 exec_lo, exec_lo, vcc_lo
	s_cbranch_execz .LBB299_6
; %bb.2:
	s_clause 0x3
	s_load_b32 s4, s[2:3], 0x30
	s_load_b128 s[36:39], s[2:3], 0x20
	s_load_b256 s[20:27], s[2:3], 0x0
	s_load_b64 s[18:19], s[2:3], 0x50
	s_add_nc_u64 s[16:17], s[2:3], 0x58
	s_get_pc_i64 s[28:29]
	s_add_nc_u64 s[28:29], s[28:29], _ZN7rocprim17ROCPRIM_400000_NS6detail26segmented_warp_sort_helperINS1_20WarpSortHelperConfigILj32ELj4ELj256EEEalLi256ELb1EvE4sortIPKaPaPKlPlEEvT_T0_T1_T2_jjjjRNS5_12storage_typeE@rel64+4
	s_wait_kmcnt 0x0
	s_bitcmp0_b32 s4, 0
	s_mov_b32 s4, -1
	s_cbranch_scc0 .LBB299_4
; %bb.3:
	s_mov_b64 s[2:3], src_shared_base
	v_dual_mov_b32 v31, v0 :: v_dual_mov_b32 v41, v0
	v_dual_mov_b32 v0, s20 :: v_dual_mov_b32 v1, s21
	;; [unrolled: 1-line block ×7, first 2 shown]
	v_mov_b32_e32 v13, s3
	s_mov_b64 s[6:7], s[0:1]
	s_mov_b64 s[8:9], s[16:17]
	;; [unrolled: 1-line block ×3, first 2 shown]
	s_swap_pc_i64 s[30:31], s[28:29]
	v_mov_b32_e32 v0, v41
	s_mov_b64 s[0:1], s[22:23]
	s_mov_b32 s4, 0
.LBB299_4:
	s_delay_alu instid0(SALU_CYCLE_1)
	s_and_not1_b32 vcc_lo, exec_lo, s4
	s_cbranch_vccnz .LBB299_6
; %bb.5:
	s_mov_b64 s[2:3], src_shared_base
	v_dual_mov_b32 v31, v0 :: v_dual_mov_b32 v0, s20
	v_dual_mov_b32 v1, s21 :: v_dual_mov_b32 v2, s24
	;; [unrolled: 1-line block ×7, first 2 shown]
	s_mov_b64 s[6:7], s[0:1]
	s_mov_b64 s[8:9], s[16:17]
	s_swap_pc_i64 s[30:31], s[28:29]
.LBB299_6:
	s_endpgm
	.section	.rodata,"a",@progbits
	.p2align	6, 0x0
	.amdhsa_kernel _ZN7rocprim17ROCPRIM_400000_NS6detail17trampoline_kernelINS0_14default_configENS1_36segmented_radix_sort_config_selectorIalEEZNS1_25segmented_radix_sort_implIS3_Lb1EPKaPaPKlPlN2at6native12_GLOBAL__N_18offset_tEEE10hipError_tPvRmT1_PNSt15iterator_traitsISK_E10value_typeET2_T3_PNSL_ISQ_E10value_typeET4_jRbjT5_SW_jjP12ihipStream_tbEUlT_E0_NS1_11comp_targetILNS1_3genE0ELNS1_11target_archE4294967295ELNS1_3gpuE0ELNS1_3repE0EEENS1_60segmented_radix_sort_warp_sort_medium_config_static_selectorELNS0_4arch9wavefront6targetE0EEEvSK_
		.amdhsa_group_segment_fixed_size 9216
		.amdhsa_private_segment_fixed_size 0
		.amdhsa_kernarg_size 344
		.amdhsa_user_sgpr_count 4
		.amdhsa_user_sgpr_dispatch_ptr 0
		.amdhsa_user_sgpr_queue_ptr 1
		.amdhsa_user_sgpr_kernarg_segment_ptr 1
		.amdhsa_user_sgpr_dispatch_id 0
		.amdhsa_user_sgpr_kernarg_preload_length 0
		.amdhsa_user_sgpr_kernarg_preload_offset 0
		.amdhsa_user_sgpr_private_segment_size 0
		.amdhsa_wavefront_size32 1
		.amdhsa_uses_dynamic_stack 0
		.amdhsa_enable_private_segment 0
		.amdhsa_system_sgpr_workgroup_id_x 1
		.amdhsa_system_sgpr_workgroup_id_y 1
		.amdhsa_system_sgpr_workgroup_id_z 0
		.amdhsa_system_sgpr_workgroup_info 0
		.amdhsa_system_vgpr_workitem_id 2
		.amdhsa_next_free_vgpr 54
		.amdhsa_next_free_sgpr 40
		.amdhsa_named_barrier_count 0
		.amdhsa_reserve_vcc 1
		.amdhsa_float_round_mode_32 0
		.amdhsa_float_round_mode_16_64 0
		.amdhsa_float_denorm_mode_32 3
		.amdhsa_float_denorm_mode_16_64 3
		.amdhsa_fp16_overflow 0
		.amdhsa_memory_ordered 1
		.amdhsa_forward_progress 1
		.amdhsa_inst_pref_size 4
		.amdhsa_round_robin_scheduling 0
		.amdhsa_exception_fp_ieee_invalid_op 0
		.amdhsa_exception_fp_denorm_src 0
		.amdhsa_exception_fp_ieee_div_zero 0
		.amdhsa_exception_fp_ieee_overflow 0
		.amdhsa_exception_fp_ieee_underflow 0
		.amdhsa_exception_fp_ieee_inexact 0
		.amdhsa_exception_int_div_zero 0
	.end_amdhsa_kernel
	.section	.text._ZN7rocprim17ROCPRIM_400000_NS6detail17trampoline_kernelINS0_14default_configENS1_36segmented_radix_sort_config_selectorIalEEZNS1_25segmented_radix_sort_implIS3_Lb1EPKaPaPKlPlN2at6native12_GLOBAL__N_18offset_tEEE10hipError_tPvRmT1_PNSt15iterator_traitsISK_E10value_typeET2_T3_PNSL_ISQ_E10value_typeET4_jRbjT5_SW_jjP12ihipStream_tbEUlT_E0_NS1_11comp_targetILNS1_3genE0ELNS1_11target_archE4294967295ELNS1_3gpuE0ELNS1_3repE0EEENS1_60segmented_radix_sort_warp_sort_medium_config_static_selectorELNS0_4arch9wavefront6targetE0EEEvSK_,"axG",@progbits,_ZN7rocprim17ROCPRIM_400000_NS6detail17trampoline_kernelINS0_14default_configENS1_36segmented_radix_sort_config_selectorIalEEZNS1_25segmented_radix_sort_implIS3_Lb1EPKaPaPKlPlN2at6native12_GLOBAL__N_18offset_tEEE10hipError_tPvRmT1_PNSt15iterator_traitsISK_E10value_typeET2_T3_PNSL_ISQ_E10value_typeET4_jRbjT5_SW_jjP12ihipStream_tbEUlT_E0_NS1_11comp_targetILNS1_3genE0ELNS1_11target_archE4294967295ELNS1_3gpuE0ELNS1_3repE0EEENS1_60segmented_radix_sort_warp_sort_medium_config_static_selectorELNS0_4arch9wavefront6targetE0EEEvSK_,comdat
.Lfunc_end299:
	.size	_ZN7rocprim17ROCPRIM_400000_NS6detail17trampoline_kernelINS0_14default_configENS1_36segmented_radix_sort_config_selectorIalEEZNS1_25segmented_radix_sort_implIS3_Lb1EPKaPaPKlPlN2at6native12_GLOBAL__N_18offset_tEEE10hipError_tPvRmT1_PNSt15iterator_traitsISK_E10value_typeET2_T3_PNSL_ISQ_E10value_typeET4_jRbjT5_SW_jjP12ihipStream_tbEUlT_E0_NS1_11comp_targetILNS1_3genE0ELNS1_11target_archE4294967295ELNS1_3gpuE0ELNS1_3repE0EEENS1_60segmented_radix_sort_warp_sort_medium_config_static_selectorELNS0_4arch9wavefront6targetE0EEEvSK_, .Lfunc_end299-_ZN7rocprim17ROCPRIM_400000_NS6detail17trampoline_kernelINS0_14default_configENS1_36segmented_radix_sort_config_selectorIalEEZNS1_25segmented_radix_sort_implIS3_Lb1EPKaPaPKlPlN2at6native12_GLOBAL__N_18offset_tEEE10hipError_tPvRmT1_PNSt15iterator_traitsISK_E10value_typeET2_T3_PNSL_ISQ_E10value_typeET4_jRbjT5_SW_jjP12ihipStream_tbEUlT_E0_NS1_11comp_targetILNS1_3genE0ELNS1_11target_archE4294967295ELNS1_3gpuE0ELNS1_3repE0EEENS1_60segmented_radix_sort_warp_sort_medium_config_static_selectorELNS0_4arch9wavefront6targetE0EEEvSK_
                                        ; -- End function
	.set _ZN7rocprim17ROCPRIM_400000_NS6detail17trampoline_kernelINS0_14default_configENS1_36segmented_radix_sort_config_selectorIalEEZNS1_25segmented_radix_sort_implIS3_Lb1EPKaPaPKlPlN2at6native12_GLOBAL__N_18offset_tEEE10hipError_tPvRmT1_PNSt15iterator_traitsISK_E10value_typeET2_T3_PNSL_ISQ_E10value_typeET4_jRbjT5_SW_jjP12ihipStream_tbEUlT_E0_NS1_11comp_targetILNS1_3genE0ELNS1_11target_archE4294967295ELNS1_3gpuE0ELNS1_3repE0EEENS1_60segmented_radix_sort_warp_sort_medium_config_static_selectorELNS0_4arch9wavefront6targetE0EEEvSK_.num_vgpr, max(42, .L_ZN7rocprim17ROCPRIM_400000_NS6detail26segmented_warp_sort_helperINS1_20WarpSortHelperConfigILj32ELj4ELj256EEEalLi256ELb1EvE4sortIPKaPaPKlPlEEvT_T0_T1_T2_jjjjRNS5_12storage_typeE.num_vgpr)
	.set _ZN7rocprim17ROCPRIM_400000_NS6detail17trampoline_kernelINS0_14default_configENS1_36segmented_radix_sort_config_selectorIalEEZNS1_25segmented_radix_sort_implIS3_Lb1EPKaPaPKlPlN2at6native12_GLOBAL__N_18offset_tEEE10hipError_tPvRmT1_PNSt15iterator_traitsISK_E10value_typeET2_T3_PNSL_ISQ_E10value_typeET4_jRbjT5_SW_jjP12ihipStream_tbEUlT_E0_NS1_11comp_targetILNS1_3genE0ELNS1_11target_archE4294967295ELNS1_3gpuE0ELNS1_3repE0EEENS1_60segmented_radix_sort_warp_sort_medium_config_static_selectorELNS0_4arch9wavefront6targetE0EEEvSK_.num_agpr, max(0, .L_ZN7rocprim17ROCPRIM_400000_NS6detail26segmented_warp_sort_helperINS1_20WarpSortHelperConfigILj32ELj4ELj256EEEalLi256ELb1EvE4sortIPKaPaPKlPlEEvT_T0_T1_T2_jjjjRNS5_12storage_typeE.num_agpr)
	.set _ZN7rocprim17ROCPRIM_400000_NS6detail17trampoline_kernelINS0_14default_configENS1_36segmented_radix_sort_config_selectorIalEEZNS1_25segmented_radix_sort_implIS3_Lb1EPKaPaPKlPlN2at6native12_GLOBAL__N_18offset_tEEE10hipError_tPvRmT1_PNSt15iterator_traitsISK_E10value_typeET2_T3_PNSL_ISQ_E10value_typeET4_jRbjT5_SW_jjP12ihipStream_tbEUlT_E0_NS1_11comp_targetILNS1_3genE0ELNS1_11target_archE4294967295ELNS1_3gpuE0ELNS1_3repE0EEENS1_60segmented_radix_sort_warp_sort_medium_config_static_selectorELNS0_4arch9wavefront6targetE0EEEvSK_.numbered_sgpr, max(40, .L_ZN7rocprim17ROCPRIM_400000_NS6detail26segmented_warp_sort_helperINS1_20WarpSortHelperConfigILj32ELj4ELj256EEEalLi256ELb1EvE4sortIPKaPaPKlPlEEvT_T0_T1_T2_jjjjRNS5_12storage_typeE.numbered_sgpr)
	.set _ZN7rocprim17ROCPRIM_400000_NS6detail17trampoline_kernelINS0_14default_configENS1_36segmented_radix_sort_config_selectorIalEEZNS1_25segmented_radix_sort_implIS3_Lb1EPKaPaPKlPlN2at6native12_GLOBAL__N_18offset_tEEE10hipError_tPvRmT1_PNSt15iterator_traitsISK_E10value_typeET2_T3_PNSL_ISQ_E10value_typeET4_jRbjT5_SW_jjP12ihipStream_tbEUlT_E0_NS1_11comp_targetILNS1_3genE0ELNS1_11target_archE4294967295ELNS1_3gpuE0ELNS1_3repE0EEENS1_60segmented_radix_sort_warp_sort_medium_config_static_selectorELNS0_4arch9wavefront6targetE0EEEvSK_.num_named_barrier, max(0, .L_ZN7rocprim17ROCPRIM_400000_NS6detail26segmented_warp_sort_helperINS1_20WarpSortHelperConfigILj32ELj4ELj256EEEalLi256ELb1EvE4sortIPKaPaPKlPlEEvT_T0_T1_T2_jjjjRNS5_12storage_typeE.num_named_barrier)
	.set _ZN7rocprim17ROCPRIM_400000_NS6detail17trampoline_kernelINS0_14default_configENS1_36segmented_radix_sort_config_selectorIalEEZNS1_25segmented_radix_sort_implIS3_Lb1EPKaPaPKlPlN2at6native12_GLOBAL__N_18offset_tEEE10hipError_tPvRmT1_PNSt15iterator_traitsISK_E10value_typeET2_T3_PNSL_ISQ_E10value_typeET4_jRbjT5_SW_jjP12ihipStream_tbEUlT_E0_NS1_11comp_targetILNS1_3genE0ELNS1_11target_archE4294967295ELNS1_3gpuE0ELNS1_3repE0EEENS1_60segmented_radix_sort_warp_sort_medium_config_static_selectorELNS0_4arch9wavefront6targetE0EEEvSK_.private_seg_size, 0+max(.L_ZN7rocprim17ROCPRIM_400000_NS6detail26segmented_warp_sort_helperINS1_20WarpSortHelperConfigILj32ELj4ELj256EEEalLi256ELb1EvE4sortIPKaPaPKlPlEEvT_T0_T1_T2_jjjjRNS5_12storage_typeE.private_seg_size)
	.set _ZN7rocprim17ROCPRIM_400000_NS6detail17trampoline_kernelINS0_14default_configENS1_36segmented_radix_sort_config_selectorIalEEZNS1_25segmented_radix_sort_implIS3_Lb1EPKaPaPKlPlN2at6native12_GLOBAL__N_18offset_tEEE10hipError_tPvRmT1_PNSt15iterator_traitsISK_E10value_typeET2_T3_PNSL_ISQ_E10value_typeET4_jRbjT5_SW_jjP12ihipStream_tbEUlT_E0_NS1_11comp_targetILNS1_3genE0ELNS1_11target_archE4294967295ELNS1_3gpuE0ELNS1_3repE0EEENS1_60segmented_radix_sort_warp_sort_medium_config_static_selectorELNS0_4arch9wavefront6targetE0EEEvSK_.uses_vcc, or(1, .L_ZN7rocprim17ROCPRIM_400000_NS6detail26segmented_warp_sort_helperINS1_20WarpSortHelperConfigILj32ELj4ELj256EEEalLi256ELb1EvE4sortIPKaPaPKlPlEEvT_T0_T1_T2_jjjjRNS5_12storage_typeE.uses_vcc)
	.set _ZN7rocprim17ROCPRIM_400000_NS6detail17trampoline_kernelINS0_14default_configENS1_36segmented_radix_sort_config_selectorIalEEZNS1_25segmented_radix_sort_implIS3_Lb1EPKaPaPKlPlN2at6native12_GLOBAL__N_18offset_tEEE10hipError_tPvRmT1_PNSt15iterator_traitsISK_E10value_typeET2_T3_PNSL_ISQ_E10value_typeET4_jRbjT5_SW_jjP12ihipStream_tbEUlT_E0_NS1_11comp_targetILNS1_3genE0ELNS1_11target_archE4294967295ELNS1_3gpuE0ELNS1_3repE0EEENS1_60segmented_radix_sort_warp_sort_medium_config_static_selectorELNS0_4arch9wavefront6targetE0EEEvSK_.uses_flat_scratch, or(0, .L_ZN7rocprim17ROCPRIM_400000_NS6detail26segmented_warp_sort_helperINS1_20WarpSortHelperConfigILj32ELj4ELj256EEEalLi256ELb1EvE4sortIPKaPaPKlPlEEvT_T0_T1_T2_jjjjRNS5_12storage_typeE.uses_flat_scratch)
	.set _ZN7rocprim17ROCPRIM_400000_NS6detail17trampoline_kernelINS0_14default_configENS1_36segmented_radix_sort_config_selectorIalEEZNS1_25segmented_radix_sort_implIS3_Lb1EPKaPaPKlPlN2at6native12_GLOBAL__N_18offset_tEEE10hipError_tPvRmT1_PNSt15iterator_traitsISK_E10value_typeET2_T3_PNSL_ISQ_E10value_typeET4_jRbjT5_SW_jjP12ihipStream_tbEUlT_E0_NS1_11comp_targetILNS1_3genE0ELNS1_11target_archE4294967295ELNS1_3gpuE0ELNS1_3repE0EEENS1_60segmented_radix_sort_warp_sort_medium_config_static_selectorELNS0_4arch9wavefront6targetE0EEEvSK_.has_dyn_sized_stack, or(0, .L_ZN7rocprim17ROCPRIM_400000_NS6detail26segmented_warp_sort_helperINS1_20WarpSortHelperConfigILj32ELj4ELj256EEEalLi256ELb1EvE4sortIPKaPaPKlPlEEvT_T0_T1_T2_jjjjRNS5_12storage_typeE.has_dyn_sized_stack)
	.set _ZN7rocprim17ROCPRIM_400000_NS6detail17trampoline_kernelINS0_14default_configENS1_36segmented_radix_sort_config_selectorIalEEZNS1_25segmented_radix_sort_implIS3_Lb1EPKaPaPKlPlN2at6native12_GLOBAL__N_18offset_tEEE10hipError_tPvRmT1_PNSt15iterator_traitsISK_E10value_typeET2_T3_PNSL_ISQ_E10value_typeET4_jRbjT5_SW_jjP12ihipStream_tbEUlT_E0_NS1_11comp_targetILNS1_3genE0ELNS1_11target_archE4294967295ELNS1_3gpuE0ELNS1_3repE0EEENS1_60segmented_radix_sort_warp_sort_medium_config_static_selectorELNS0_4arch9wavefront6targetE0EEEvSK_.has_recursion, or(0, .L_ZN7rocprim17ROCPRIM_400000_NS6detail26segmented_warp_sort_helperINS1_20WarpSortHelperConfigILj32ELj4ELj256EEEalLi256ELb1EvE4sortIPKaPaPKlPlEEvT_T0_T1_T2_jjjjRNS5_12storage_typeE.has_recursion)
	.set _ZN7rocprim17ROCPRIM_400000_NS6detail17trampoline_kernelINS0_14default_configENS1_36segmented_radix_sort_config_selectorIalEEZNS1_25segmented_radix_sort_implIS3_Lb1EPKaPaPKlPlN2at6native12_GLOBAL__N_18offset_tEEE10hipError_tPvRmT1_PNSt15iterator_traitsISK_E10value_typeET2_T3_PNSL_ISQ_E10value_typeET4_jRbjT5_SW_jjP12ihipStream_tbEUlT_E0_NS1_11comp_targetILNS1_3genE0ELNS1_11target_archE4294967295ELNS1_3gpuE0ELNS1_3repE0EEENS1_60segmented_radix_sort_warp_sort_medium_config_static_selectorELNS0_4arch9wavefront6targetE0EEEvSK_.has_indirect_call, or(0, .L_ZN7rocprim17ROCPRIM_400000_NS6detail26segmented_warp_sort_helperINS1_20WarpSortHelperConfigILj32ELj4ELj256EEEalLi256ELb1EvE4sortIPKaPaPKlPlEEvT_T0_T1_T2_jjjjRNS5_12storage_typeE.has_indirect_call)
	.section	.AMDGPU.csdata,"",@progbits
; Kernel info:
; codeLenInByte = 504
; TotalNumSgprs: 42
; NumVgprs: 54
; ScratchSize: 0
; MemoryBound: 0
; FloatMode: 240
; IeeeMode: 1
; LDSByteSize: 9216 bytes/workgroup (compile time only)
; SGPRBlocks: 0
; VGPRBlocks: 3
; NumSGPRsForWavesPerEU: 42
; NumVGPRsForWavesPerEU: 54
; NamedBarCnt: 0
; Occupancy: 16
; WaveLimiterHint : 0
; COMPUTE_PGM_RSRC2:SCRATCH_EN: 0
; COMPUTE_PGM_RSRC2:USER_SGPR: 4
; COMPUTE_PGM_RSRC2:TRAP_HANDLER: 0
; COMPUTE_PGM_RSRC2:TGID_X_EN: 1
; COMPUTE_PGM_RSRC2:TGID_Y_EN: 1
; COMPUTE_PGM_RSRC2:TGID_Z_EN: 0
; COMPUTE_PGM_RSRC2:TIDIG_COMP_CNT: 2
	.section	.text._ZN7rocprim17ROCPRIM_400000_NS6detail17trampoline_kernelINS0_14default_configENS1_36segmented_radix_sort_config_selectorIalEEZNS1_25segmented_radix_sort_implIS3_Lb1EPKaPaPKlPlN2at6native12_GLOBAL__N_18offset_tEEE10hipError_tPvRmT1_PNSt15iterator_traitsISK_E10value_typeET2_T3_PNSL_ISQ_E10value_typeET4_jRbjT5_SW_jjP12ihipStream_tbEUlT_E0_NS1_11comp_targetILNS1_3genE5ELNS1_11target_archE942ELNS1_3gpuE9ELNS1_3repE0EEENS1_60segmented_radix_sort_warp_sort_medium_config_static_selectorELNS0_4arch9wavefront6targetE0EEEvSK_,"axG",@progbits,_ZN7rocprim17ROCPRIM_400000_NS6detail17trampoline_kernelINS0_14default_configENS1_36segmented_radix_sort_config_selectorIalEEZNS1_25segmented_radix_sort_implIS3_Lb1EPKaPaPKlPlN2at6native12_GLOBAL__N_18offset_tEEE10hipError_tPvRmT1_PNSt15iterator_traitsISK_E10value_typeET2_T3_PNSL_ISQ_E10value_typeET4_jRbjT5_SW_jjP12ihipStream_tbEUlT_E0_NS1_11comp_targetILNS1_3genE5ELNS1_11target_archE942ELNS1_3gpuE9ELNS1_3repE0EEENS1_60segmented_radix_sort_warp_sort_medium_config_static_selectorELNS0_4arch9wavefront6targetE0EEEvSK_,comdat
	.globl	_ZN7rocprim17ROCPRIM_400000_NS6detail17trampoline_kernelINS0_14default_configENS1_36segmented_radix_sort_config_selectorIalEEZNS1_25segmented_radix_sort_implIS3_Lb1EPKaPaPKlPlN2at6native12_GLOBAL__N_18offset_tEEE10hipError_tPvRmT1_PNSt15iterator_traitsISK_E10value_typeET2_T3_PNSL_ISQ_E10value_typeET4_jRbjT5_SW_jjP12ihipStream_tbEUlT_E0_NS1_11comp_targetILNS1_3genE5ELNS1_11target_archE942ELNS1_3gpuE9ELNS1_3repE0EEENS1_60segmented_radix_sort_warp_sort_medium_config_static_selectorELNS0_4arch9wavefront6targetE0EEEvSK_ ; -- Begin function _ZN7rocprim17ROCPRIM_400000_NS6detail17trampoline_kernelINS0_14default_configENS1_36segmented_radix_sort_config_selectorIalEEZNS1_25segmented_radix_sort_implIS3_Lb1EPKaPaPKlPlN2at6native12_GLOBAL__N_18offset_tEEE10hipError_tPvRmT1_PNSt15iterator_traitsISK_E10value_typeET2_T3_PNSL_ISQ_E10value_typeET4_jRbjT5_SW_jjP12ihipStream_tbEUlT_E0_NS1_11comp_targetILNS1_3genE5ELNS1_11target_archE942ELNS1_3gpuE9ELNS1_3repE0EEENS1_60segmented_radix_sort_warp_sort_medium_config_static_selectorELNS0_4arch9wavefront6targetE0EEEvSK_
	.p2align	8
	.type	_ZN7rocprim17ROCPRIM_400000_NS6detail17trampoline_kernelINS0_14default_configENS1_36segmented_radix_sort_config_selectorIalEEZNS1_25segmented_radix_sort_implIS3_Lb1EPKaPaPKlPlN2at6native12_GLOBAL__N_18offset_tEEE10hipError_tPvRmT1_PNSt15iterator_traitsISK_E10value_typeET2_T3_PNSL_ISQ_E10value_typeET4_jRbjT5_SW_jjP12ihipStream_tbEUlT_E0_NS1_11comp_targetILNS1_3genE5ELNS1_11target_archE942ELNS1_3gpuE9ELNS1_3repE0EEENS1_60segmented_radix_sort_warp_sort_medium_config_static_selectorELNS0_4arch9wavefront6targetE0EEEvSK_,@function
_ZN7rocprim17ROCPRIM_400000_NS6detail17trampoline_kernelINS0_14default_configENS1_36segmented_radix_sort_config_selectorIalEEZNS1_25segmented_radix_sort_implIS3_Lb1EPKaPaPKlPlN2at6native12_GLOBAL__N_18offset_tEEE10hipError_tPvRmT1_PNSt15iterator_traitsISK_E10value_typeET2_T3_PNSL_ISQ_E10value_typeET4_jRbjT5_SW_jjP12ihipStream_tbEUlT_E0_NS1_11comp_targetILNS1_3genE5ELNS1_11target_archE942ELNS1_3gpuE9ELNS1_3repE0EEENS1_60segmented_radix_sort_warp_sort_medium_config_static_selectorELNS0_4arch9wavefront6targetE0EEEvSK_: ; @_ZN7rocprim17ROCPRIM_400000_NS6detail17trampoline_kernelINS0_14default_configENS1_36segmented_radix_sort_config_selectorIalEEZNS1_25segmented_radix_sort_implIS3_Lb1EPKaPaPKlPlN2at6native12_GLOBAL__N_18offset_tEEE10hipError_tPvRmT1_PNSt15iterator_traitsISK_E10value_typeET2_T3_PNSL_ISQ_E10value_typeET4_jRbjT5_SW_jjP12ihipStream_tbEUlT_E0_NS1_11comp_targetILNS1_3genE5ELNS1_11target_archE942ELNS1_3gpuE9ELNS1_3repE0EEENS1_60segmented_radix_sort_warp_sort_medium_config_static_selectorELNS0_4arch9wavefront6targetE0EEEvSK_
; %bb.0:
	.section	.rodata,"a",@progbits
	.p2align	6, 0x0
	.amdhsa_kernel _ZN7rocprim17ROCPRIM_400000_NS6detail17trampoline_kernelINS0_14default_configENS1_36segmented_radix_sort_config_selectorIalEEZNS1_25segmented_radix_sort_implIS3_Lb1EPKaPaPKlPlN2at6native12_GLOBAL__N_18offset_tEEE10hipError_tPvRmT1_PNSt15iterator_traitsISK_E10value_typeET2_T3_PNSL_ISQ_E10value_typeET4_jRbjT5_SW_jjP12ihipStream_tbEUlT_E0_NS1_11comp_targetILNS1_3genE5ELNS1_11target_archE942ELNS1_3gpuE9ELNS1_3repE0EEENS1_60segmented_radix_sort_warp_sort_medium_config_static_selectorELNS0_4arch9wavefront6targetE0EEEvSK_
		.amdhsa_group_segment_fixed_size 0
		.amdhsa_private_segment_fixed_size 0
		.amdhsa_kernarg_size 88
		.amdhsa_user_sgpr_count 2
		.amdhsa_user_sgpr_dispatch_ptr 0
		.amdhsa_user_sgpr_queue_ptr 0
		.amdhsa_user_sgpr_kernarg_segment_ptr 1
		.amdhsa_user_sgpr_dispatch_id 0
		.amdhsa_user_sgpr_kernarg_preload_length 0
		.amdhsa_user_sgpr_kernarg_preload_offset 0
		.amdhsa_user_sgpr_private_segment_size 0
		.amdhsa_wavefront_size32 1
		.amdhsa_uses_dynamic_stack 0
		.amdhsa_enable_private_segment 0
		.amdhsa_system_sgpr_workgroup_id_x 1
		.amdhsa_system_sgpr_workgroup_id_y 0
		.amdhsa_system_sgpr_workgroup_id_z 0
		.amdhsa_system_sgpr_workgroup_info 0
		.amdhsa_system_vgpr_workitem_id 0
		.amdhsa_next_free_vgpr 1
		.amdhsa_next_free_sgpr 1
		.amdhsa_named_barrier_count 0
		.amdhsa_reserve_vcc 0
		.amdhsa_float_round_mode_32 0
		.amdhsa_float_round_mode_16_64 0
		.amdhsa_float_denorm_mode_32 3
		.amdhsa_float_denorm_mode_16_64 3
		.amdhsa_fp16_overflow 0
		.amdhsa_memory_ordered 1
		.amdhsa_forward_progress 1
		.amdhsa_inst_pref_size 0
		.amdhsa_round_robin_scheduling 0
		.amdhsa_exception_fp_ieee_invalid_op 0
		.amdhsa_exception_fp_denorm_src 0
		.amdhsa_exception_fp_ieee_div_zero 0
		.amdhsa_exception_fp_ieee_overflow 0
		.amdhsa_exception_fp_ieee_underflow 0
		.amdhsa_exception_fp_ieee_inexact 0
		.amdhsa_exception_int_div_zero 0
	.end_amdhsa_kernel
	.section	.text._ZN7rocprim17ROCPRIM_400000_NS6detail17trampoline_kernelINS0_14default_configENS1_36segmented_radix_sort_config_selectorIalEEZNS1_25segmented_radix_sort_implIS3_Lb1EPKaPaPKlPlN2at6native12_GLOBAL__N_18offset_tEEE10hipError_tPvRmT1_PNSt15iterator_traitsISK_E10value_typeET2_T3_PNSL_ISQ_E10value_typeET4_jRbjT5_SW_jjP12ihipStream_tbEUlT_E0_NS1_11comp_targetILNS1_3genE5ELNS1_11target_archE942ELNS1_3gpuE9ELNS1_3repE0EEENS1_60segmented_radix_sort_warp_sort_medium_config_static_selectorELNS0_4arch9wavefront6targetE0EEEvSK_,"axG",@progbits,_ZN7rocprim17ROCPRIM_400000_NS6detail17trampoline_kernelINS0_14default_configENS1_36segmented_radix_sort_config_selectorIalEEZNS1_25segmented_radix_sort_implIS3_Lb1EPKaPaPKlPlN2at6native12_GLOBAL__N_18offset_tEEE10hipError_tPvRmT1_PNSt15iterator_traitsISK_E10value_typeET2_T3_PNSL_ISQ_E10value_typeET4_jRbjT5_SW_jjP12ihipStream_tbEUlT_E0_NS1_11comp_targetILNS1_3genE5ELNS1_11target_archE942ELNS1_3gpuE9ELNS1_3repE0EEENS1_60segmented_radix_sort_warp_sort_medium_config_static_selectorELNS0_4arch9wavefront6targetE0EEEvSK_,comdat
.Lfunc_end300:
	.size	_ZN7rocprim17ROCPRIM_400000_NS6detail17trampoline_kernelINS0_14default_configENS1_36segmented_radix_sort_config_selectorIalEEZNS1_25segmented_radix_sort_implIS3_Lb1EPKaPaPKlPlN2at6native12_GLOBAL__N_18offset_tEEE10hipError_tPvRmT1_PNSt15iterator_traitsISK_E10value_typeET2_T3_PNSL_ISQ_E10value_typeET4_jRbjT5_SW_jjP12ihipStream_tbEUlT_E0_NS1_11comp_targetILNS1_3genE5ELNS1_11target_archE942ELNS1_3gpuE9ELNS1_3repE0EEENS1_60segmented_radix_sort_warp_sort_medium_config_static_selectorELNS0_4arch9wavefront6targetE0EEEvSK_, .Lfunc_end300-_ZN7rocprim17ROCPRIM_400000_NS6detail17trampoline_kernelINS0_14default_configENS1_36segmented_radix_sort_config_selectorIalEEZNS1_25segmented_radix_sort_implIS3_Lb1EPKaPaPKlPlN2at6native12_GLOBAL__N_18offset_tEEE10hipError_tPvRmT1_PNSt15iterator_traitsISK_E10value_typeET2_T3_PNSL_ISQ_E10value_typeET4_jRbjT5_SW_jjP12ihipStream_tbEUlT_E0_NS1_11comp_targetILNS1_3genE5ELNS1_11target_archE942ELNS1_3gpuE9ELNS1_3repE0EEENS1_60segmented_radix_sort_warp_sort_medium_config_static_selectorELNS0_4arch9wavefront6targetE0EEEvSK_
                                        ; -- End function
	.set _ZN7rocprim17ROCPRIM_400000_NS6detail17trampoline_kernelINS0_14default_configENS1_36segmented_radix_sort_config_selectorIalEEZNS1_25segmented_radix_sort_implIS3_Lb1EPKaPaPKlPlN2at6native12_GLOBAL__N_18offset_tEEE10hipError_tPvRmT1_PNSt15iterator_traitsISK_E10value_typeET2_T3_PNSL_ISQ_E10value_typeET4_jRbjT5_SW_jjP12ihipStream_tbEUlT_E0_NS1_11comp_targetILNS1_3genE5ELNS1_11target_archE942ELNS1_3gpuE9ELNS1_3repE0EEENS1_60segmented_radix_sort_warp_sort_medium_config_static_selectorELNS0_4arch9wavefront6targetE0EEEvSK_.num_vgpr, 0
	.set _ZN7rocprim17ROCPRIM_400000_NS6detail17trampoline_kernelINS0_14default_configENS1_36segmented_radix_sort_config_selectorIalEEZNS1_25segmented_radix_sort_implIS3_Lb1EPKaPaPKlPlN2at6native12_GLOBAL__N_18offset_tEEE10hipError_tPvRmT1_PNSt15iterator_traitsISK_E10value_typeET2_T3_PNSL_ISQ_E10value_typeET4_jRbjT5_SW_jjP12ihipStream_tbEUlT_E0_NS1_11comp_targetILNS1_3genE5ELNS1_11target_archE942ELNS1_3gpuE9ELNS1_3repE0EEENS1_60segmented_radix_sort_warp_sort_medium_config_static_selectorELNS0_4arch9wavefront6targetE0EEEvSK_.num_agpr, 0
	.set _ZN7rocprim17ROCPRIM_400000_NS6detail17trampoline_kernelINS0_14default_configENS1_36segmented_radix_sort_config_selectorIalEEZNS1_25segmented_radix_sort_implIS3_Lb1EPKaPaPKlPlN2at6native12_GLOBAL__N_18offset_tEEE10hipError_tPvRmT1_PNSt15iterator_traitsISK_E10value_typeET2_T3_PNSL_ISQ_E10value_typeET4_jRbjT5_SW_jjP12ihipStream_tbEUlT_E0_NS1_11comp_targetILNS1_3genE5ELNS1_11target_archE942ELNS1_3gpuE9ELNS1_3repE0EEENS1_60segmented_radix_sort_warp_sort_medium_config_static_selectorELNS0_4arch9wavefront6targetE0EEEvSK_.numbered_sgpr, 0
	.set _ZN7rocprim17ROCPRIM_400000_NS6detail17trampoline_kernelINS0_14default_configENS1_36segmented_radix_sort_config_selectorIalEEZNS1_25segmented_radix_sort_implIS3_Lb1EPKaPaPKlPlN2at6native12_GLOBAL__N_18offset_tEEE10hipError_tPvRmT1_PNSt15iterator_traitsISK_E10value_typeET2_T3_PNSL_ISQ_E10value_typeET4_jRbjT5_SW_jjP12ihipStream_tbEUlT_E0_NS1_11comp_targetILNS1_3genE5ELNS1_11target_archE942ELNS1_3gpuE9ELNS1_3repE0EEENS1_60segmented_radix_sort_warp_sort_medium_config_static_selectorELNS0_4arch9wavefront6targetE0EEEvSK_.num_named_barrier, 0
	.set _ZN7rocprim17ROCPRIM_400000_NS6detail17trampoline_kernelINS0_14default_configENS1_36segmented_radix_sort_config_selectorIalEEZNS1_25segmented_radix_sort_implIS3_Lb1EPKaPaPKlPlN2at6native12_GLOBAL__N_18offset_tEEE10hipError_tPvRmT1_PNSt15iterator_traitsISK_E10value_typeET2_T3_PNSL_ISQ_E10value_typeET4_jRbjT5_SW_jjP12ihipStream_tbEUlT_E0_NS1_11comp_targetILNS1_3genE5ELNS1_11target_archE942ELNS1_3gpuE9ELNS1_3repE0EEENS1_60segmented_radix_sort_warp_sort_medium_config_static_selectorELNS0_4arch9wavefront6targetE0EEEvSK_.private_seg_size, 0
	.set _ZN7rocprim17ROCPRIM_400000_NS6detail17trampoline_kernelINS0_14default_configENS1_36segmented_radix_sort_config_selectorIalEEZNS1_25segmented_radix_sort_implIS3_Lb1EPKaPaPKlPlN2at6native12_GLOBAL__N_18offset_tEEE10hipError_tPvRmT1_PNSt15iterator_traitsISK_E10value_typeET2_T3_PNSL_ISQ_E10value_typeET4_jRbjT5_SW_jjP12ihipStream_tbEUlT_E0_NS1_11comp_targetILNS1_3genE5ELNS1_11target_archE942ELNS1_3gpuE9ELNS1_3repE0EEENS1_60segmented_radix_sort_warp_sort_medium_config_static_selectorELNS0_4arch9wavefront6targetE0EEEvSK_.uses_vcc, 0
	.set _ZN7rocprim17ROCPRIM_400000_NS6detail17trampoline_kernelINS0_14default_configENS1_36segmented_radix_sort_config_selectorIalEEZNS1_25segmented_radix_sort_implIS3_Lb1EPKaPaPKlPlN2at6native12_GLOBAL__N_18offset_tEEE10hipError_tPvRmT1_PNSt15iterator_traitsISK_E10value_typeET2_T3_PNSL_ISQ_E10value_typeET4_jRbjT5_SW_jjP12ihipStream_tbEUlT_E0_NS1_11comp_targetILNS1_3genE5ELNS1_11target_archE942ELNS1_3gpuE9ELNS1_3repE0EEENS1_60segmented_radix_sort_warp_sort_medium_config_static_selectorELNS0_4arch9wavefront6targetE0EEEvSK_.uses_flat_scratch, 0
	.set _ZN7rocprim17ROCPRIM_400000_NS6detail17trampoline_kernelINS0_14default_configENS1_36segmented_radix_sort_config_selectorIalEEZNS1_25segmented_radix_sort_implIS3_Lb1EPKaPaPKlPlN2at6native12_GLOBAL__N_18offset_tEEE10hipError_tPvRmT1_PNSt15iterator_traitsISK_E10value_typeET2_T3_PNSL_ISQ_E10value_typeET4_jRbjT5_SW_jjP12ihipStream_tbEUlT_E0_NS1_11comp_targetILNS1_3genE5ELNS1_11target_archE942ELNS1_3gpuE9ELNS1_3repE0EEENS1_60segmented_radix_sort_warp_sort_medium_config_static_selectorELNS0_4arch9wavefront6targetE0EEEvSK_.has_dyn_sized_stack, 0
	.set _ZN7rocprim17ROCPRIM_400000_NS6detail17trampoline_kernelINS0_14default_configENS1_36segmented_radix_sort_config_selectorIalEEZNS1_25segmented_radix_sort_implIS3_Lb1EPKaPaPKlPlN2at6native12_GLOBAL__N_18offset_tEEE10hipError_tPvRmT1_PNSt15iterator_traitsISK_E10value_typeET2_T3_PNSL_ISQ_E10value_typeET4_jRbjT5_SW_jjP12ihipStream_tbEUlT_E0_NS1_11comp_targetILNS1_3genE5ELNS1_11target_archE942ELNS1_3gpuE9ELNS1_3repE0EEENS1_60segmented_radix_sort_warp_sort_medium_config_static_selectorELNS0_4arch9wavefront6targetE0EEEvSK_.has_recursion, 0
	.set _ZN7rocprim17ROCPRIM_400000_NS6detail17trampoline_kernelINS0_14default_configENS1_36segmented_radix_sort_config_selectorIalEEZNS1_25segmented_radix_sort_implIS3_Lb1EPKaPaPKlPlN2at6native12_GLOBAL__N_18offset_tEEE10hipError_tPvRmT1_PNSt15iterator_traitsISK_E10value_typeET2_T3_PNSL_ISQ_E10value_typeET4_jRbjT5_SW_jjP12ihipStream_tbEUlT_E0_NS1_11comp_targetILNS1_3genE5ELNS1_11target_archE942ELNS1_3gpuE9ELNS1_3repE0EEENS1_60segmented_radix_sort_warp_sort_medium_config_static_selectorELNS0_4arch9wavefront6targetE0EEEvSK_.has_indirect_call, 0
	.section	.AMDGPU.csdata,"",@progbits
; Kernel info:
; codeLenInByte = 0
; TotalNumSgprs: 0
; NumVgprs: 0
; ScratchSize: 0
; MemoryBound: 0
; FloatMode: 240
; IeeeMode: 1
; LDSByteSize: 0 bytes/workgroup (compile time only)
; SGPRBlocks: 0
; VGPRBlocks: 0
; NumSGPRsForWavesPerEU: 1
; NumVGPRsForWavesPerEU: 1
; NamedBarCnt: 0
; Occupancy: 16
; WaveLimiterHint : 0
; COMPUTE_PGM_RSRC2:SCRATCH_EN: 0
; COMPUTE_PGM_RSRC2:USER_SGPR: 2
; COMPUTE_PGM_RSRC2:TRAP_HANDLER: 0
; COMPUTE_PGM_RSRC2:TGID_X_EN: 1
; COMPUTE_PGM_RSRC2:TGID_Y_EN: 0
; COMPUTE_PGM_RSRC2:TGID_Z_EN: 0
; COMPUTE_PGM_RSRC2:TIDIG_COMP_CNT: 0
	.section	.text._ZN7rocprim17ROCPRIM_400000_NS6detail17trampoline_kernelINS0_14default_configENS1_36segmented_radix_sort_config_selectorIalEEZNS1_25segmented_radix_sort_implIS3_Lb1EPKaPaPKlPlN2at6native12_GLOBAL__N_18offset_tEEE10hipError_tPvRmT1_PNSt15iterator_traitsISK_E10value_typeET2_T3_PNSL_ISQ_E10value_typeET4_jRbjT5_SW_jjP12ihipStream_tbEUlT_E0_NS1_11comp_targetILNS1_3genE4ELNS1_11target_archE910ELNS1_3gpuE8ELNS1_3repE0EEENS1_60segmented_radix_sort_warp_sort_medium_config_static_selectorELNS0_4arch9wavefront6targetE0EEEvSK_,"axG",@progbits,_ZN7rocprim17ROCPRIM_400000_NS6detail17trampoline_kernelINS0_14default_configENS1_36segmented_radix_sort_config_selectorIalEEZNS1_25segmented_radix_sort_implIS3_Lb1EPKaPaPKlPlN2at6native12_GLOBAL__N_18offset_tEEE10hipError_tPvRmT1_PNSt15iterator_traitsISK_E10value_typeET2_T3_PNSL_ISQ_E10value_typeET4_jRbjT5_SW_jjP12ihipStream_tbEUlT_E0_NS1_11comp_targetILNS1_3genE4ELNS1_11target_archE910ELNS1_3gpuE8ELNS1_3repE0EEENS1_60segmented_radix_sort_warp_sort_medium_config_static_selectorELNS0_4arch9wavefront6targetE0EEEvSK_,comdat
	.globl	_ZN7rocprim17ROCPRIM_400000_NS6detail17trampoline_kernelINS0_14default_configENS1_36segmented_radix_sort_config_selectorIalEEZNS1_25segmented_radix_sort_implIS3_Lb1EPKaPaPKlPlN2at6native12_GLOBAL__N_18offset_tEEE10hipError_tPvRmT1_PNSt15iterator_traitsISK_E10value_typeET2_T3_PNSL_ISQ_E10value_typeET4_jRbjT5_SW_jjP12ihipStream_tbEUlT_E0_NS1_11comp_targetILNS1_3genE4ELNS1_11target_archE910ELNS1_3gpuE8ELNS1_3repE0EEENS1_60segmented_radix_sort_warp_sort_medium_config_static_selectorELNS0_4arch9wavefront6targetE0EEEvSK_ ; -- Begin function _ZN7rocprim17ROCPRIM_400000_NS6detail17trampoline_kernelINS0_14default_configENS1_36segmented_radix_sort_config_selectorIalEEZNS1_25segmented_radix_sort_implIS3_Lb1EPKaPaPKlPlN2at6native12_GLOBAL__N_18offset_tEEE10hipError_tPvRmT1_PNSt15iterator_traitsISK_E10value_typeET2_T3_PNSL_ISQ_E10value_typeET4_jRbjT5_SW_jjP12ihipStream_tbEUlT_E0_NS1_11comp_targetILNS1_3genE4ELNS1_11target_archE910ELNS1_3gpuE8ELNS1_3repE0EEENS1_60segmented_radix_sort_warp_sort_medium_config_static_selectorELNS0_4arch9wavefront6targetE0EEEvSK_
	.p2align	8
	.type	_ZN7rocprim17ROCPRIM_400000_NS6detail17trampoline_kernelINS0_14default_configENS1_36segmented_radix_sort_config_selectorIalEEZNS1_25segmented_radix_sort_implIS3_Lb1EPKaPaPKlPlN2at6native12_GLOBAL__N_18offset_tEEE10hipError_tPvRmT1_PNSt15iterator_traitsISK_E10value_typeET2_T3_PNSL_ISQ_E10value_typeET4_jRbjT5_SW_jjP12ihipStream_tbEUlT_E0_NS1_11comp_targetILNS1_3genE4ELNS1_11target_archE910ELNS1_3gpuE8ELNS1_3repE0EEENS1_60segmented_radix_sort_warp_sort_medium_config_static_selectorELNS0_4arch9wavefront6targetE0EEEvSK_,@function
_ZN7rocprim17ROCPRIM_400000_NS6detail17trampoline_kernelINS0_14default_configENS1_36segmented_radix_sort_config_selectorIalEEZNS1_25segmented_radix_sort_implIS3_Lb1EPKaPaPKlPlN2at6native12_GLOBAL__N_18offset_tEEE10hipError_tPvRmT1_PNSt15iterator_traitsISK_E10value_typeET2_T3_PNSL_ISQ_E10value_typeET4_jRbjT5_SW_jjP12ihipStream_tbEUlT_E0_NS1_11comp_targetILNS1_3genE4ELNS1_11target_archE910ELNS1_3gpuE8ELNS1_3repE0EEENS1_60segmented_radix_sort_warp_sort_medium_config_static_selectorELNS0_4arch9wavefront6targetE0EEEvSK_: ; @_ZN7rocprim17ROCPRIM_400000_NS6detail17trampoline_kernelINS0_14default_configENS1_36segmented_radix_sort_config_selectorIalEEZNS1_25segmented_radix_sort_implIS3_Lb1EPKaPaPKlPlN2at6native12_GLOBAL__N_18offset_tEEE10hipError_tPvRmT1_PNSt15iterator_traitsISK_E10value_typeET2_T3_PNSL_ISQ_E10value_typeET4_jRbjT5_SW_jjP12ihipStream_tbEUlT_E0_NS1_11comp_targetILNS1_3genE4ELNS1_11target_archE910ELNS1_3gpuE8ELNS1_3repE0EEENS1_60segmented_radix_sort_warp_sort_medium_config_static_selectorELNS0_4arch9wavefront6targetE0EEEvSK_
; %bb.0:
	.section	.rodata,"a",@progbits
	.p2align	6, 0x0
	.amdhsa_kernel _ZN7rocprim17ROCPRIM_400000_NS6detail17trampoline_kernelINS0_14default_configENS1_36segmented_radix_sort_config_selectorIalEEZNS1_25segmented_radix_sort_implIS3_Lb1EPKaPaPKlPlN2at6native12_GLOBAL__N_18offset_tEEE10hipError_tPvRmT1_PNSt15iterator_traitsISK_E10value_typeET2_T3_PNSL_ISQ_E10value_typeET4_jRbjT5_SW_jjP12ihipStream_tbEUlT_E0_NS1_11comp_targetILNS1_3genE4ELNS1_11target_archE910ELNS1_3gpuE8ELNS1_3repE0EEENS1_60segmented_radix_sort_warp_sort_medium_config_static_selectorELNS0_4arch9wavefront6targetE0EEEvSK_
		.amdhsa_group_segment_fixed_size 0
		.amdhsa_private_segment_fixed_size 0
		.amdhsa_kernarg_size 88
		.amdhsa_user_sgpr_count 2
		.amdhsa_user_sgpr_dispatch_ptr 0
		.amdhsa_user_sgpr_queue_ptr 0
		.amdhsa_user_sgpr_kernarg_segment_ptr 1
		.amdhsa_user_sgpr_dispatch_id 0
		.amdhsa_user_sgpr_kernarg_preload_length 0
		.amdhsa_user_sgpr_kernarg_preload_offset 0
		.amdhsa_user_sgpr_private_segment_size 0
		.amdhsa_wavefront_size32 1
		.amdhsa_uses_dynamic_stack 0
		.amdhsa_enable_private_segment 0
		.amdhsa_system_sgpr_workgroup_id_x 1
		.amdhsa_system_sgpr_workgroup_id_y 0
		.amdhsa_system_sgpr_workgroup_id_z 0
		.amdhsa_system_sgpr_workgroup_info 0
		.amdhsa_system_vgpr_workitem_id 0
		.amdhsa_next_free_vgpr 1
		.amdhsa_next_free_sgpr 1
		.amdhsa_named_barrier_count 0
		.amdhsa_reserve_vcc 0
		.amdhsa_float_round_mode_32 0
		.amdhsa_float_round_mode_16_64 0
		.amdhsa_float_denorm_mode_32 3
		.amdhsa_float_denorm_mode_16_64 3
		.amdhsa_fp16_overflow 0
		.amdhsa_memory_ordered 1
		.amdhsa_forward_progress 1
		.amdhsa_inst_pref_size 0
		.amdhsa_round_robin_scheduling 0
		.amdhsa_exception_fp_ieee_invalid_op 0
		.amdhsa_exception_fp_denorm_src 0
		.amdhsa_exception_fp_ieee_div_zero 0
		.amdhsa_exception_fp_ieee_overflow 0
		.amdhsa_exception_fp_ieee_underflow 0
		.amdhsa_exception_fp_ieee_inexact 0
		.amdhsa_exception_int_div_zero 0
	.end_amdhsa_kernel
	.section	.text._ZN7rocprim17ROCPRIM_400000_NS6detail17trampoline_kernelINS0_14default_configENS1_36segmented_radix_sort_config_selectorIalEEZNS1_25segmented_radix_sort_implIS3_Lb1EPKaPaPKlPlN2at6native12_GLOBAL__N_18offset_tEEE10hipError_tPvRmT1_PNSt15iterator_traitsISK_E10value_typeET2_T3_PNSL_ISQ_E10value_typeET4_jRbjT5_SW_jjP12ihipStream_tbEUlT_E0_NS1_11comp_targetILNS1_3genE4ELNS1_11target_archE910ELNS1_3gpuE8ELNS1_3repE0EEENS1_60segmented_radix_sort_warp_sort_medium_config_static_selectorELNS0_4arch9wavefront6targetE0EEEvSK_,"axG",@progbits,_ZN7rocprim17ROCPRIM_400000_NS6detail17trampoline_kernelINS0_14default_configENS1_36segmented_radix_sort_config_selectorIalEEZNS1_25segmented_radix_sort_implIS3_Lb1EPKaPaPKlPlN2at6native12_GLOBAL__N_18offset_tEEE10hipError_tPvRmT1_PNSt15iterator_traitsISK_E10value_typeET2_T3_PNSL_ISQ_E10value_typeET4_jRbjT5_SW_jjP12ihipStream_tbEUlT_E0_NS1_11comp_targetILNS1_3genE4ELNS1_11target_archE910ELNS1_3gpuE8ELNS1_3repE0EEENS1_60segmented_radix_sort_warp_sort_medium_config_static_selectorELNS0_4arch9wavefront6targetE0EEEvSK_,comdat
.Lfunc_end301:
	.size	_ZN7rocprim17ROCPRIM_400000_NS6detail17trampoline_kernelINS0_14default_configENS1_36segmented_radix_sort_config_selectorIalEEZNS1_25segmented_radix_sort_implIS3_Lb1EPKaPaPKlPlN2at6native12_GLOBAL__N_18offset_tEEE10hipError_tPvRmT1_PNSt15iterator_traitsISK_E10value_typeET2_T3_PNSL_ISQ_E10value_typeET4_jRbjT5_SW_jjP12ihipStream_tbEUlT_E0_NS1_11comp_targetILNS1_3genE4ELNS1_11target_archE910ELNS1_3gpuE8ELNS1_3repE0EEENS1_60segmented_radix_sort_warp_sort_medium_config_static_selectorELNS0_4arch9wavefront6targetE0EEEvSK_, .Lfunc_end301-_ZN7rocprim17ROCPRIM_400000_NS6detail17trampoline_kernelINS0_14default_configENS1_36segmented_radix_sort_config_selectorIalEEZNS1_25segmented_radix_sort_implIS3_Lb1EPKaPaPKlPlN2at6native12_GLOBAL__N_18offset_tEEE10hipError_tPvRmT1_PNSt15iterator_traitsISK_E10value_typeET2_T3_PNSL_ISQ_E10value_typeET4_jRbjT5_SW_jjP12ihipStream_tbEUlT_E0_NS1_11comp_targetILNS1_3genE4ELNS1_11target_archE910ELNS1_3gpuE8ELNS1_3repE0EEENS1_60segmented_radix_sort_warp_sort_medium_config_static_selectorELNS0_4arch9wavefront6targetE0EEEvSK_
                                        ; -- End function
	.set _ZN7rocprim17ROCPRIM_400000_NS6detail17trampoline_kernelINS0_14default_configENS1_36segmented_radix_sort_config_selectorIalEEZNS1_25segmented_radix_sort_implIS3_Lb1EPKaPaPKlPlN2at6native12_GLOBAL__N_18offset_tEEE10hipError_tPvRmT1_PNSt15iterator_traitsISK_E10value_typeET2_T3_PNSL_ISQ_E10value_typeET4_jRbjT5_SW_jjP12ihipStream_tbEUlT_E0_NS1_11comp_targetILNS1_3genE4ELNS1_11target_archE910ELNS1_3gpuE8ELNS1_3repE0EEENS1_60segmented_radix_sort_warp_sort_medium_config_static_selectorELNS0_4arch9wavefront6targetE0EEEvSK_.num_vgpr, 0
	.set _ZN7rocprim17ROCPRIM_400000_NS6detail17trampoline_kernelINS0_14default_configENS1_36segmented_radix_sort_config_selectorIalEEZNS1_25segmented_radix_sort_implIS3_Lb1EPKaPaPKlPlN2at6native12_GLOBAL__N_18offset_tEEE10hipError_tPvRmT1_PNSt15iterator_traitsISK_E10value_typeET2_T3_PNSL_ISQ_E10value_typeET4_jRbjT5_SW_jjP12ihipStream_tbEUlT_E0_NS1_11comp_targetILNS1_3genE4ELNS1_11target_archE910ELNS1_3gpuE8ELNS1_3repE0EEENS1_60segmented_radix_sort_warp_sort_medium_config_static_selectorELNS0_4arch9wavefront6targetE0EEEvSK_.num_agpr, 0
	.set _ZN7rocprim17ROCPRIM_400000_NS6detail17trampoline_kernelINS0_14default_configENS1_36segmented_radix_sort_config_selectorIalEEZNS1_25segmented_radix_sort_implIS3_Lb1EPKaPaPKlPlN2at6native12_GLOBAL__N_18offset_tEEE10hipError_tPvRmT1_PNSt15iterator_traitsISK_E10value_typeET2_T3_PNSL_ISQ_E10value_typeET4_jRbjT5_SW_jjP12ihipStream_tbEUlT_E0_NS1_11comp_targetILNS1_3genE4ELNS1_11target_archE910ELNS1_3gpuE8ELNS1_3repE0EEENS1_60segmented_radix_sort_warp_sort_medium_config_static_selectorELNS0_4arch9wavefront6targetE0EEEvSK_.numbered_sgpr, 0
	.set _ZN7rocprim17ROCPRIM_400000_NS6detail17trampoline_kernelINS0_14default_configENS1_36segmented_radix_sort_config_selectorIalEEZNS1_25segmented_radix_sort_implIS3_Lb1EPKaPaPKlPlN2at6native12_GLOBAL__N_18offset_tEEE10hipError_tPvRmT1_PNSt15iterator_traitsISK_E10value_typeET2_T3_PNSL_ISQ_E10value_typeET4_jRbjT5_SW_jjP12ihipStream_tbEUlT_E0_NS1_11comp_targetILNS1_3genE4ELNS1_11target_archE910ELNS1_3gpuE8ELNS1_3repE0EEENS1_60segmented_radix_sort_warp_sort_medium_config_static_selectorELNS0_4arch9wavefront6targetE0EEEvSK_.num_named_barrier, 0
	.set _ZN7rocprim17ROCPRIM_400000_NS6detail17trampoline_kernelINS0_14default_configENS1_36segmented_radix_sort_config_selectorIalEEZNS1_25segmented_radix_sort_implIS3_Lb1EPKaPaPKlPlN2at6native12_GLOBAL__N_18offset_tEEE10hipError_tPvRmT1_PNSt15iterator_traitsISK_E10value_typeET2_T3_PNSL_ISQ_E10value_typeET4_jRbjT5_SW_jjP12ihipStream_tbEUlT_E0_NS1_11comp_targetILNS1_3genE4ELNS1_11target_archE910ELNS1_3gpuE8ELNS1_3repE0EEENS1_60segmented_radix_sort_warp_sort_medium_config_static_selectorELNS0_4arch9wavefront6targetE0EEEvSK_.private_seg_size, 0
	.set _ZN7rocprim17ROCPRIM_400000_NS6detail17trampoline_kernelINS0_14default_configENS1_36segmented_radix_sort_config_selectorIalEEZNS1_25segmented_radix_sort_implIS3_Lb1EPKaPaPKlPlN2at6native12_GLOBAL__N_18offset_tEEE10hipError_tPvRmT1_PNSt15iterator_traitsISK_E10value_typeET2_T3_PNSL_ISQ_E10value_typeET4_jRbjT5_SW_jjP12ihipStream_tbEUlT_E0_NS1_11comp_targetILNS1_3genE4ELNS1_11target_archE910ELNS1_3gpuE8ELNS1_3repE0EEENS1_60segmented_radix_sort_warp_sort_medium_config_static_selectorELNS0_4arch9wavefront6targetE0EEEvSK_.uses_vcc, 0
	.set _ZN7rocprim17ROCPRIM_400000_NS6detail17trampoline_kernelINS0_14default_configENS1_36segmented_radix_sort_config_selectorIalEEZNS1_25segmented_radix_sort_implIS3_Lb1EPKaPaPKlPlN2at6native12_GLOBAL__N_18offset_tEEE10hipError_tPvRmT1_PNSt15iterator_traitsISK_E10value_typeET2_T3_PNSL_ISQ_E10value_typeET4_jRbjT5_SW_jjP12ihipStream_tbEUlT_E0_NS1_11comp_targetILNS1_3genE4ELNS1_11target_archE910ELNS1_3gpuE8ELNS1_3repE0EEENS1_60segmented_radix_sort_warp_sort_medium_config_static_selectorELNS0_4arch9wavefront6targetE0EEEvSK_.uses_flat_scratch, 0
	.set _ZN7rocprim17ROCPRIM_400000_NS6detail17trampoline_kernelINS0_14default_configENS1_36segmented_radix_sort_config_selectorIalEEZNS1_25segmented_radix_sort_implIS3_Lb1EPKaPaPKlPlN2at6native12_GLOBAL__N_18offset_tEEE10hipError_tPvRmT1_PNSt15iterator_traitsISK_E10value_typeET2_T3_PNSL_ISQ_E10value_typeET4_jRbjT5_SW_jjP12ihipStream_tbEUlT_E0_NS1_11comp_targetILNS1_3genE4ELNS1_11target_archE910ELNS1_3gpuE8ELNS1_3repE0EEENS1_60segmented_radix_sort_warp_sort_medium_config_static_selectorELNS0_4arch9wavefront6targetE0EEEvSK_.has_dyn_sized_stack, 0
	.set _ZN7rocprim17ROCPRIM_400000_NS6detail17trampoline_kernelINS0_14default_configENS1_36segmented_radix_sort_config_selectorIalEEZNS1_25segmented_radix_sort_implIS3_Lb1EPKaPaPKlPlN2at6native12_GLOBAL__N_18offset_tEEE10hipError_tPvRmT1_PNSt15iterator_traitsISK_E10value_typeET2_T3_PNSL_ISQ_E10value_typeET4_jRbjT5_SW_jjP12ihipStream_tbEUlT_E0_NS1_11comp_targetILNS1_3genE4ELNS1_11target_archE910ELNS1_3gpuE8ELNS1_3repE0EEENS1_60segmented_radix_sort_warp_sort_medium_config_static_selectorELNS0_4arch9wavefront6targetE0EEEvSK_.has_recursion, 0
	.set _ZN7rocprim17ROCPRIM_400000_NS6detail17trampoline_kernelINS0_14default_configENS1_36segmented_radix_sort_config_selectorIalEEZNS1_25segmented_radix_sort_implIS3_Lb1EPKaPaPKlPlN2at6native12_GLOBAL__N_18offset_tEEE10hipError_tPvRmT1_PNSt15iterator_traitsISK_E10value_typeET2_T3_PNSL_ISQ_E10value_typeET4_jRbjT5_SW_jjP12ihipStream_tbEUlT_E0_NS1_11comp_targetILNS1_3genE4ELNS1_11target_archE910ELNS1_3gpuE8ELNS1_3repE0EEENS1_60segmented_radix_sort_warp_sort_medium_config_static_selectorELNS0_4arch9wavefront6targetE0EEEvSK_.has_indirect_call, 0
	.section	.AMDGPU.csdata,"",@progbits
; Kernel info:
; codeLenInByte = 0
; TotalNumSgprs: 0
; NumVgprs: 0
; ScratchSize: 0
; MemoryBound: 0
; FloatMode: 240
; IeeeMode: 1
; LDSByteSize: 0 bytes/workgroup (compile time only)
; SGPRBlocks: 0
; VGPRBlocks: 0
; NumSGPRsForWavesPerEU: 1
; NumVGPRsForWavesPerEU: 1
; NamedBarCnt: 0
; Occupancy: 16
; WaveLimiterHint : 0
; COMPUTE_PGM_RSRC2:SCRATCH_EN: 0
; COMPUTE_PGM_RSRC2:USER_SGPR: 2
; COMPUTE_PGM_RSRC2:TRAP_HANDLER: 0
; COMPUTE_PGM_RSRC2:TGID_X_EN: 1
; COMPUTE_PGM_RSRC2:TGID_Y_EN: 0
; COMPUTE_PGM_RSRC2:TGID_Z_EN: 0
; COMPUTE_PGM_RSRC2:TIDIG_COMP_CNT: 0
	.section	.text._ZN7rocprim17ROCPRIM_400000_NS6detail17trampoline_kernelINS0_14default_configENS1_36segmented_radix_sort_config_selectorIalEEZNS1_25segmented_radix_sort_implIS3_Lb1EPKaPaPKlPlN2at6native12_GLOBAL__N_18offset_tEEE10hipError_tPvRmT1_PNSt15iterator_traitsISK_E10value_typeET2_T3_PNSL_ISQ_E10value_typeET4_jRbjT5_SW_jjP12ihipStream_tbEUlT_E0_NS1_11comp_targetILNS1_3genE3ELNS1_11target_archE908ELNS1_3gpuE7ELNS1_3repE0EEENS1_60segmented_radix_sort_warp_sort_medium_config_static_selectorELNS0_4arch9wavefront6targetE0EEEvSK_,"axG",@progbits,_ZN7rocprim17ROCPRIM_400000_NS6detail17trampoline_kernelINS0_14default_configENS1_36segmented_radix_sort_config_selectorIalEEZNS1_25segmented_radix_sort_implIS3_Lb1EPKaPaPKlPlN2at6native12_GLOBAL__N_18offset_tEEE10hipError_tPvRmT1_PNSt15iterator_traitsISK_E10value_typeET2_T3_PNSL_ISQ_E10value_typeET4_jRbjT5_SW_jjP12ihipStream_tbEUlT_E0_NS1_11comp_targetILNS1_3genE3ELNS1_11target_archE908ELNS1_3gpuE7ELNS1_3repE0EEENS1_60segmented_radix_sort_warp_sort_medium_config_static_selectorELNS0_4arch9wavefront6targetE0EEEvSK_,comdat
	.globl	_ZN7rocprim17ROCPRIM_400000_NS6detail17trampoline_kernelINS0_14default_configENS1_36segmented_radix_sort_config_selectorIalEEZNS1_25segmented_radix_sort_implIS3_Lb1EPKaPaPKlPlN2at6native12_GLOBAL__N_18offset_tEEE10hipError_tPvRmT1_PNSt15iterator_traitsISK_E10value_typeET2_T3_PNSL_ISQ_E10value_typeET4_jRbjT5_SW_jjP12ihipStream_tbEUlT_E0_NS1_11comp_targetILNS1_3genE3ELNS1_11target_archE908ELNS1_3gpuE7ELNS1_3repE0EEENS1_60segmented_radix_sort_warp_sort_medium_config_static_selectorELNS0_4arch9wavefront6targetE0EEEvSK_ ; -- Begin function _ZN7rocprim17ROCPRIM_400000_NS6detail17trampoline_kernelINS0_14default_configENS1_36segmented_radix_sort_config_selectorIalEEZNS1_25segmented_radix_sort_implIS3_Lb1EPKaPaPKlPlN2at6native12_GLOBAL__N_18offset_tEEE10hipError_tPvRmT1_PNSt15iterator_traitsISK_E10value_typeET2_T3_PNSL_ISQ_E10value_typeET4_jRbjT5_SW_jjP12ihipStream_tbEUlT_E0_NS1_11comp_targetILNS1_3genE3ELNS1_11target_archE908ELNS1_3gpuE7ELNS1_3repE0EEENS1_60segmented_radix_sort_warp_sort_medium_config_static_selectorELNS0_4arch9wavefront6targetE0EEEvSK_
	.p2align	8
	.type	_ZN7rocprim17ROCPRIM_400000_NS6detail17trampoline_kernelINS0_14default_configENS1_36segmented_radix_sort_config_selectorIalEEZNS1_25segmented_radix_sort_implIS3_Lb1EPKaPaPKlPlN2at6native12_GLOBAL__N_18offset_tEEE10hipError_tPvRmT1_PNSt15iterator_traitsISK_E10value_typeET2_T3_PNSL_ISQ_E10value_typeET4_jRbjT5_SW_jjP12ihipStream_tbEUlT_E0_NS1_11comp_targetILNS1_3genE3ELNS1_11target_archE908ELNS1_3gpuE7ELNS1_3repE0EEENS1_60segmented_radix_sort_warp_sort_medium_config_static_selectorELNS0_4arch9wavefront6targetE0EEEvSK_,@function
_ZN7rocprim17ROCPRIM_400000_NS6detail17trampoline_kernelINS0_14default_configENS1_36segmented_radix_sort_config_selectorIalEEZNS1_25segmented_radix_sort_implIS3_Lb1EPKaPaPKlPlN2at6native12_GLOBAL__N_18offset_tEEE10hipError_tPvRmT1_PNSt15iterator_traitsISK_E10value_typeET2_T3_PNSL_ISQ_E10value_typeET4_jRbjT5_SW_jjP12ihipStream_tbEUlT_E0_NS1_11comp_targetILNS1_3genE3ELNS1_11target_archE908ELNS1_3gpuE7ELNS1_3repE0EEENS1_60segmented_radix_sort_warp_sort_medium_config_static_selectorELNS0_4arch9wavefront6targetE0EEEvSK_: ; @_ZN7rocprim17ROCPRIM_400000_NS6detail17trampoline_kernelINS0_14default_configENS1_36segmented_radix_sort_config_selectorIalEEZNS1_25segmented_radix_sort_implIS3_Lb1EPKaPaPKlPlN2at6native12_GLOBAL__N_18offset_tEEE10hipError_tPvRmT1_PNSt15iterator_traitsISK_E10value_typeET2_T3_PNSL_ISQ_E10value_typeET4_jRbjT5_SW_jjP12ihipStream_tbEUlT_E0_NS1_11comp_targetILNS1_3genE3ELNS1_11target_archE908ELNS1_3gpuE7ELNS1_3repE0EEENS1_60segmented_radix_sort_warp_sort_medium_config_static_selectorELNS0_4arch9wavefront6targetE0EEEvSK_
; %bb.0:
	.section	.rodata,"a",@progbits
	.p2align	6, 0x0
	.amdhsa_kernel _ZN7rocprim17ROCPRIM_400000_NS6detail17trampoline_kernelINS0_14default_configENS1_36segmented_radix_sort_config_selectorIalEEZNS1_25segmented_radix_sort_implIS3_Lb1EPKaPaPKlPlN2at6native12_GLOBAL__N_18offset_tEEE10hipError_tPvRmT1_PNSt15iterator_traitsISK_E10value_typeET2_T3_PNSL_ISQ_E10value_typeET4_jRbjT5_SW_jjP12ihipStream_tbEUlT_E0_NS1_11comp_targetILNS1_3genE3ELNS1_11target_archE908ELNS1_3gpuE7ELNS1_3repE0EEENS1_60segmented_radix_sort_warp_sort_medium_config_static_selectorELNS0_4arch9wavefront6targetE0EEEvSK_
		.amdhsa_group_segment_fixed_size 0
		.amdhsa_private_segment_fixed_size 0
		.amdhsa_kernarg_size 88
		.amdhsa_user_sgpr_count 2
		.amdhsa_user_sgpr_dispatch_ptr 0
		.amdhsa_user_sgpr_queue_ptr 0
		.amdhsa_user_sgpr_kernarg_segment_ptr 1
		.amdhsa_user_sgpr_dispatch_id 0
		.amdhsa_user_sgpr_kernarg_preload_length 0
		.amdhsa_user_sgpr_kernarg_preload_offset 0
		.amdhsa_user_sgpr_private_segment_size 0
		.amdhsa_wavefront_size32 1
		.amdhsa_uses_dynamic_stack 0
		.amdhsa_enable_private_segment 0
		.amdhsa_system_sgpr_workgroup_id_x 1
		.amdhsa_system_sgpr_workgroup_id_y 0
		.amdhsa_system_sgpr_workgroup_id_z 0
		.amdhsa_system_sgpr_workgroup_info 0
		.amdhsa_system_vgpr_workitem_id 0
		.amdhsa_next_free_vgpr 1
		.amdhsa_next_free_sgpr 1
		.amdhsa_named_barrier_count 0
		.amdhsa_reserve_vcc 0
		.amdhsa_float_round_mode_32 0
		.amdhsa_float_round_mode_16_64 0
		.amdhsa_float_denorm_mode_32 3
		.amdhsa_float_denorm_mode_16_64 3
		.amdhsa_fp16_overflow 0
		.amdhsa_memory_ordered 1
		.amdhsa_forward_progress 1
		.amdhsa_inst_pref_size 0
		.amdhsa_round_robin_scheduling 0
		.amdhsa_exception_fp_ieee_invalid_op 0
		.amdhsa_exception_fp_denorm_src 0
		.amdhsa_exception_fp_ieee_div_zero 0
		.amdhsa_exception_fp_ieee_overflow 0
		.amdhsa_exception_fp_ieee_underflow 0
		.amdhsa_exception_fp_ieee_inexact 0
		.amdhsa_exception_int_div_zero 0
	.end_amdhsa_kernel
	.section	.text._ZN7rocprim17ROCPRIM_400000_NS6detail17trampoline_kernelINS0_14default_configENS1_36segmented_radix_sort_config_selectorIalEEZNS1_25segmented_radix_sort_implIS3_Lb1EPKaPaPKlPlN2at6native12_GLOBAL__N_18offset_tEEE10hipError_tPvRmT1_PNSt15iterator_traitsISK_E10value_typeET2_T3_PNSL_ISQ_E10value_typeET4_jRbjT5_SW_jjP12ihipStream_tbEUlT_E0_NS1_11comp_targetILNS1_3genE3ELNS1_11target_archE908ELNS1_3gpuE7ELNS1_3repE0EEENS1_60segmented_radix_sort_warp_sort_medium_config_static_selectorELNS0_4arch9wavefront6targetE0EEEvSK_,"axG",@progbits,_ZN7rocprim17ROCPRIM_400000_NS6detail17trampoline_kernelINS0_14default_configENS1_36segmented_radix_sort_config_selectorIalEEZNS1_25segmented_radix_sort_implIS3_Lb1EPKaPaPKlPlN2at6native12_GLOBAL__N_18offset_tEEE10hipError_tPvRmT1_PNSt15iterator_traitsISK_E10value_typeET2_T3_PNSL_ISQ_E10value_typeET4_jRbjT5_SW_jjP12ihipStream_tbEUlT_E0_NS1_11comp_targetILNS1_3genE3ELNS1_11target_archE908ELNS1_3gpuE7ELNS1_3repE0EEENS1_60segmented_radix_sort_warp_sort_medium_config_static_selectorELNS0_4arch9wavefront6targetE0EEEvSK_,comdat
.Lfunc_end302:
	.size	_ZN7rocprim17ROCPRIM_400000_NS6detail17trampoline_kernelINS0_14default_configENS1_36segmented_radix_sort_config_selectorIalEEZNS1_25segmented_radix_sort_implIS3_Lb1EPKaPaPKlPlN2at6native12_GLOBAL__N_18offset_tEEE10hipError_tPvRmT1_PNSt15iterator_traitsISK_E10value_typeET2_T3_PNSL_ISQ_E10value_typeET4_jRbjT5_SW_jjP12ihipStream_tbEUlT_E0_NS1_11comp_targetILNS1_3genE3ELNS1_11target_archE908ELNS1_3gpuE7ELNS1_3repE0EEENS1_60segmented_radix_sort_warp_sort_medium_config_static_selectorELNS0_4arch9wavefront6targetE0EEEvSK_, .Lfunc_end302-_ZN7rocprim17ROCPRIM_400000_NS6detail17trampoline_kernelINS0_14default_configENS1_36segmented_radix_sort_config_selectorIalEEZNS1_25segmented_radix_sort_implIS3_Lb1EPKaPaPKlPlN2at6native12_GLOBAL__N_18offset_tEEE10hipError_tPvRmT1_PNSt15iterator_traitsISK_E10value_typeET2_T3_PNSL_ISQ_E10value_typeET4_jRbjT5_SW_jjP12ihipStream_tbEUlT_E0_NS1_11comp_targetILNS1_3genE3ELNS1_11target_archE908ELNS1_3gpuE7ELNS1_3repE0EEENS1_60segmented_radix_sort_warp_sort_medium_config_static_selectorELNS0_4arch9wavefront6targetE0EEEvSK_
                                        ; -- End function
	.set _ZN7rocprim17ROCPRIM_400000_NS6detail17trampoline_kernelINS0_14default_configENS1_36segmented_radix_sort_config_selectorIalEEZNS1_25segmented_radix_sort_implIS3_Lb1EPKaPaPKlPlN2at6native12_GLOBAL__N_18offset_tEEE10hipError_tPvRmT1_PNSt15iterator_traitsISK_E10value_typeET2_T3_PNSL_ISQ_E10value_typeET4_jRbjT5_SW_jjP12ihipStream_tbEUlT_E0_NS1_11comp_targetILNS1_3genE3ELNS1_11target_archE908ELNS1_3gpuE7ELNS1_3repE0EEENS1_60segmented_radix_sort_warp_sort_medium_config_static_selectorELNS0_4arch9wavefront6targetE0EEEvSK_.num_vgpr, 0
	.set _ZN7rocprim17ROCPRIM_400000_NS6detail17trampoline_kernelINS0_14default_configENS1_36segmented_radix_sort_config_selectorIalEEZNS1_25segmented_radix_sort_implIS3_Lb1EPKaPaPKlPlN2at6native12_GLOBAL__N_18offset_tEEE10hipError_tPvRmT1_PNSt15iterator_traitsISK_E10value_typeET2_T3_PNSL_ISQ_E10value_typeET4_jRbjT5_SW_jjP12ihipStream_tbEUlT_E0_NS1_11comp_targetILNS1_3genE3ELNS1_11target_archE908ELNS1_3gpuE7ELNS1_3repE0EEENS1_60segmented_radix_sort_warp_sort_medium_config_static_selectorELNS0_4arch9wavefront6targetE0EEEvSK_.num_agpr, 0
	.set _ZN7rocprim17ROCPRIM_400000_NS6detail17trampoline_kernelINS0_14default_configENS1_36segmented_radix_sort_config_selectorIalEEZNS1_25segmented_radix_sort_implIS3_Lb1EPKaPaPKlPlN2at6native12_GLOBAL__N_18offset_tEEE10hipError_tPvRmT1_PNSt15iterator_traitsISK_E10value_typeET2_T3_PNSL_ISQ_E10value_typeET4_jRbjT5_SW_jjP12ihipStream_tbEUlT_E0_NS1_11comp_targetILNS1_3genE3ELNS1_11target_archE908ELNS1_3gpuE7ELNS1_3repE0EEENS1_60segmented_radix_sort_warp_sort_medium_config_static_selectorELNS0_4arch9wavefront6targetE0EEEvSK_.numbered_sgpr, 0
	.set _ZN7rocprim17ROCPRIM_400000_NS6detail17trampoline_kernelINS0_14default_configENS1_36segmented_radix_sort_config_selectorIalEEZNS1_25segmented_radix_sort_implIS3_Lb1EPKaPaPKlPlN2at6native12_GLOBAL__N_18offset_tEEE10hipError_tPvRmT1_PNSt15iterator_traitsISK_E10value_typeET2_T3_PNSL_ISQ_E10value_typeET4_jRbjT5_SW_jjP12ihipStream_tbEUlT_E0_NS1_11comp_targetILNS1_3genE3ELNS1_11target_archE908ELNS1_3gpuE7ELNS1_3repE0EEENS1_60segmented_radix_sort_warp_sort_medium_config_static_selectorELNS0_4arch9wavefront6targetE0EEEvSK_.num_named_barrier, 0
	.set _ZN7rocprim17ROCPRIM_400000_NS6detail17trampoline_kernelINS0_14default_configENS1_36segmented_radix_sort_config_selectorIalEEZNS1_25segmented_radix_sort_implIS3_Lb1EPKaPaPKlPlN2at6native12_GLOBAL__N_18offset_tEEE10hipError_tPvRmT1_PNSt15iterator_traitsISK_E10value_typeET2_T3_PNSL_ISQ_E10value_typeET4_jRbjT5_SW_jjP12ihipStream_tbEUlT_E0_NS1_11comp_targetILNS1_3genE3ELNS1_11target_archE908ELNS1_3gpuE7ELNS1_3repE0EEENS1_60segmented_radix_sort_warp_sort_medium_config_static_selectorELNS0_4arch9wavefront6targetE0EEEvSK_.private_seg_size, 0
	.set _ZN7rocprim17ROCPRIM_400000_NS6detail17trampoline_kernelINS0_14default_configENS1_36segmented_radix_sort_config_selectorIalEEZNS1_25segmented_radix_sort_implIS3_Lb1EPKaPaPKlPlN2at6native12_GLOBAL__N_18offset_tEEE10hipError_tPvRmT1_PNSt15iterator_traitsISK_E10value_typeET2_T3_PNSL_ISQ_E10value_typeET4_jRbjT5_SW_jjP12ihipStream_tbEUlT_E0_NS1_11comp_targetILNS1_3genE3ELNS1_11target_archE908ELNS1_3gpuE7ELNS1_3repE0EEENS1_60segmented_radix_sort_warp_sort_medium_config_static_selectorELNS0_4arch9wavefront6targetE0EEEvSK_.uses_vcc, 0
	.set _ZN7rocprim17ROCPRIM_400000_NS6detail17trampoline_kernelINS0_14default_configENS1_36segmented_radix_sort_config_selectorIalEEZNS1_25segmented_radix_sort_implIS3_Lb1EPKaPaPKlPlN2at6native12_GLOBAL__N_18offset_tEEE10hipError_tPvRmT1_PNSt15iterator_traitsISK_E10value_typeET2_T3_PNSL_ISQ_E10value_typeET4_jRbjT5_SW_jjP12ihipStream_tbEUlT_E0_NS1_11comp_targetILNS1_3genE3ELNS1_11target_archE908ELNS1_3gpuE7ELNS1_3repE0EEENS1_60segmented_radix_sort_warp_sort_medium_config_static_selectorELNS0_4arch9wavefront6targetE0EEEvSK_.uses_flat_scratch, 0
	.set _ZN7rocprim17ROCPRIM_400000_NS6detail17trampoline_kernelINS0_14default_configENS1_36segmented_radix_sort_config_selectorIalEEZNS1_25segmented_radix_sort_implIS3_Lb1EPKaPaPKlPlN2at6native12_GLOBAL__N_18offset_tEEE10hipError_tPvRmT1_PNSt15iterator_traitsISK_E10value_typeET2_T3_PNSL_ISQ_E10value_typeET4_jRbjT5_SW_jjP12ihipStream_tbEUlT_E0_NS1_11comp_targetILNS1_3genE3ELNS1_11target_archE908ELNS1_3gpuE7ELNS1_3repE0EEENS1_60segmented_radix_sort_warp_sort_medium_config_static_selectorELNS0_4arch9wavefront6targetE0EEEvSK_.has_dyn_sized_stack, 0
	.set _ZN7rocprim17ROCPRIM_400000_NS6detail17trampoline_kernelINS0_14default_configENS1_36segmented_radix_sort_config_selectorIalEEZNS1_25segmented_radix_sort_implIS3_Lb1EPKaPaPKlPlN2at6native12_GLOBAL__N_18offset_tEEE10hipError_tPvRmT1_PNSt15iterator_traitsISK_E10value_typeET2_T3_PNSL_ISQ_E10value_typeET4_jRbjT5_SW_jjP12ihipStream_tbEUlT_E0_NS1_11comp_targetILNS1_3genE3ELNS1_11target_archE908ELNS1_3gpuE7ELNS1_3repE0EEENS1_60segmented_radix_sort_warp_sort_medium_config_static_selectorELNS0_4arch9wavefront6targetE0EEEvSK_.has_recursion, 0
	.set _ZN7rocprim17ROCPRIM_400000_NS6detail17trampoline_kernelINS0_14default_configENS1_36segmented_radix_sort_config_selectorIalEEZNS1_25segmented_radix_sort_implIS3_Lb1EPKaPaPKlPlN2at6native12_GLOBAL__N_18offset_tEEE10hipError_tPvRmT1_PNSt15iterator_traitsISK_E10value_typeET2_T3_PNSL_ISQ_E10value_typeET4_jRbjT5_SW_jjP12ihipStream_tbEUlT_E0_NS1_11comp_targetILNS1_3genE3ELNS1_11target_archE908ELNS1_3gpuE7ELNS1_3repE0EEENS1_60segmented_radix_sort_warp_sort_medium_config_static_selectorELNS0_4arch9wavefront6targetE0EEEvSK_.has_indirect_call, 0
	.section	.AMDGPU.csdata,"",@progbits
; Kernel info:
; codeLenInByte = 0
; TotalNumSgprs: 0
; NumVgprs: 0
; ScratchSize: 0
; MemoryBound: 0
; FloatMode: 240
; IeeeMode: 1
; LDSByteSize: 0 bytes/workgroup (compile time only)
; SGPRBlocks: 0
; VGPRBlocks: 0
; NumSGPRsForWavesPerEU: 1
; NumVGPRsForWavesPerEU: 1
; NamedBarCnt: 0
; Occupancy: 16
; WaveLimiterHint : 0
; COMPUTE_PGM_RSRC2:SCRATCH_EN: 0
; COMPUTE_PGM_RSRC2:USER_SGPR: 2
; COMPUTE_PGM_RSRC2:TRAP_HANDLER: 0
; COMPUTE_PGM_RSRC2:TGID_X_EN: 1
; COMPUTE_PGM_RSRC2:TGID_Y_EN: 0
; COMPUTE_PGM_RSRC2:TGID_Z_EN: 0
; COMPUTE_PGM_RSRC2:TIDIG_COMP_CNT: 0
	.section	.text._ZN7rocprim17ROCPRIM_400000_NS6detail17trampoline_kernelINS0_14default_configENS1_36segmented_radix_sort_config_selectorIalEEZNS1_25segmented_radix_sort_implIS3_Lb1EPKaPaPKlPlN2at6native12_GLOBAL__N_18offset_tEEE10hipError_tPvRmT1_PNSt15iterator_traitsISK_E10value_typeET2_T3_PNSL_ISQ_E10value_typeET4_jRbjT5_SW_jjP12ihipStream_tbEUlT_E0_NS1_11comp_targetILNS1_3genE2ELNS1_11target_archE906ELNS1_3gpuE6ELNS1_3repE0EEENS1_60segmented_radix_sort_warp_sort_medium_config_static_selectorELNS0_4arch9wavefront6targetE0EEEvSK_,"axG",@progbits,_ZN7rocprim17ROCPRIM_400000_NS6detail17trampoline_kernelINS0_14default_configENS1_36segmented_radix_sort_config_selectorIalEEZNS1_25segmented_radix_sort_implIS3_Lb1EPKaPaPKlPlN2at6native12_GLOBAL__N_18offset_tEEE10hipError_tPvRmT1_PNSt15iterator_traitsISK_E10value_typeET2_T3_PNSL_ISQ_E10value_typeET4_jRbjT5_SW_jjP12ihipStream_tbEUlT_E0_NS1_11comp_targetILNS1_3genE2ELNS1_11target_archE906ELNS1_3gpuE6ELNS1_3repE0EEENS1_60segmented_radix_sort_warp_sort_medium_config_static_selectorELNS0_4arch9wavefront6targetE0EEEvSK_,comdat
	.globl	_ZN7rocprim17ROCPRIM_400000_NS6detail17trampoline_kernelINS0_14default_configENS1_36segmented_radix_sort_config_selectorIalEEZNS1_25segmented_radix_sort_implIS3_Lb1EPKaPaPKlPlN2at6native12_GLOBAL__N_18offset_tEEE10hipError_tPvRmT1_PNSt15iterator_traitsISK_E10value_typeET2_T3_PNSL_ISQ_E10value_typeET4_jRbjT5_SW_jjP12ihipStream_tbEUlT_E0_NS1_11comp_targetILNS1_3genE2ELNS1_11target_archE906ELNS1_3gpuE6ELNS1_3repE0EEENS1_60segmented_radix_sort_warp_sort_medium_config_static_selectorELNS0_4arch9wavefront6targetE0EEEvSK_ ; -- Begin function _ZN7rocprim17ROCPRIM_400000_NS6detail17trampoline_kernelINS0_14default_configENS1_36segmented_radix_sort_config_selectorIalEEZNS1_25segmented_radix_sort_implIS3_Lb1EPKaPaPKlPlN2at6native12_GLOBAL__N_18offset_tEEE10hipError_tPvRmT1_PNSt15iterator_traitsISK_E10value_typeET2_T3_PNSL_ISQ_E10value_typeET4_jRbjT5_SW_jjP12ihipStream_tbEUlT_E0_NS1_11comp_targetILNS1_3genE2ELNS1_11target_archE906ELNS1_3gpuE6ELNS1_3repE0EEENS1_60segmented_radix_sort_warp_sort_medium_config_static_selectorELNS0_4arch9wavefront6targetE0EEEvSK_
	.p2align	8
	.type	_ZN7rocprim17ROCPRIM_400000_NS6detail17trampoline_kernelINS0_14default_configENS1_36segmented_radix_sort_config_selectorIalEEZNS1_25segmented_radix_sort_implIS3_Lb1EPKaPaPKlPlN2at6native12_GLOBAL__N_18offset_tEEE10hipError_tPvRmT1_PNSt15iterator_traitsISK_E10value_typeET2_T3_PNSL_ISQ_E10value_typeET4_jRbjT5_SW_jjP12ihipStream_tbEUlT_E0_NS1_11comp_targetILNS1_3genE2ELNS1_11target_archE906ELNS1_3gpuE6ELNS1_3repE0EEENS1_60segmented_radix_sort_warp_sort_medium_config_static_selectorELNS0_4arch9wavefront6targetE0EEEvSK_,@function
_ZN7rocprim17ROCPRIM_400000_NS6detail17trampoline_kernelINS0_14default_configENS1_36segmented_radix_sort_config_selectorIalEEZNS1_25segmented_radix_sort_implIS3_Lb1EPKaPaPKlPlN2at6native12_GLOBAL__N_18offset_tEEE10hipError_tPvRmT1_PNSt15iterator_traitsISK_E10value_typeET2_T3_PNSL_ISQ_E10value_typeET4_jRbjT5_SW_jjP12ihipStream_tbEUlT_E0_NS1_11comp_targetILNS1_3genE2ELNS1_11target_archE906ELNS1_3gpuE6ELNS1_3repE0EEENS1_60segmented_radix_sort_warp_sort_medium_config_static_selectorELNS0_4arch9wavefront6targetE0EEEvSK_: ; @_ZN7rocprim17ROCPRIM_400000_NS6detail17trampoline_kernelINS0_14default_configENS1_36segmented_radix_sort_config_selectorIalEEZNS1_25segmented_radix_sort_implIS3_Lb1EPKaPaPKlPlN2at6native12_GLOBAL__N_18offset_tEEE10hipError_tPvRmT1_PNSt15iterator_traitsISK_E10value_typeET2_T3_PNSL_ISQ_E10value_typeET4_jRbjT5_SW_jjP12ihipStream_tbEUlT_E0_NS1_11comp_targetILNS1_3genE2ELNS1_11target_archE906ELNS1_3gpuE6ELNS1_3repE0EEENS1_60segmented_radix_sort_warp_sort_medium_config_static_selectorELNS0_4arch9wavefront6targetE0EEEvSK_
; %bb.0:
	.section	.rodata,"a",@progbits
	.p2align	6, 0x0
	.amdhsa_kernel _ZN7rocprim17ROCPRIM_400000_NS6detail17trampoline_kernelINS0_14default_configENS1_36segmented_radix_sort_config_selectorIalEEZNS1_25segmented_radix_sort_implIS3_Lb1EPKaPaPKlPlN2at6native12_GLOBAL__N_18offset_tEEE10hipError_tPvRmT1_PNSt15iterator_traitsISK_E10value_typeET2_T3_PNSL_ISQ_E10value_typeET4_jRbjT5_SW_jjP12ihipStream_tbEUlT_E0_NS1_11comp_targetILNS1_3genE2ELNS1_11target_archE906ELNS1_3gpuE6ELNS1_3repE0EEENS1_60segmented_radix_sort_warp_sort_medium_config_static_selectorELNS0_4arch9wavefront6targetE0EEEvSK_
		.amdhsa_group_segment_fixed_size 0
		.amdhsa_private_segment_fixed_size 0
		.amdhsa_kernarg_size 88
		.amdhsa_user_sgpr_count 2
		.amdhsa_user_sgpr_dispatch_ptr 0
		.amdhsa_user_sgpr_queue_ptr 0
		.amdhsa_user_sgpr_kernarg_segment_ptr 1
		.amdhsa_user_sgpr_dispatch_id 0
		.amdhsa_user_sgpr_kernarg_preload_length 0
		.amdhsa_user_sgpr_kernarg_preload_offset 0
		.amdhsa_user_sgpr_private_segment_size 0
		.amdhsa_wavefront_size32 1
		.amdhsa_uses_dynamic_stack 0
		.amdhsa_enable_private_segment 0
		.amdhsa_system_sgpr_workgroup_id_x 1
		.amdhsa_system_sgpr_workgroup_id_y 0
		.amdhsa_system_sgpr_workgroup_id_z 0
		.amdhsa_system_sgpr_workgroup_info 0
		.amdhsa_system_vgpr_workitem_id 0
		.amdhsa_next_free_vgpr 1
		.amdhsa_next_free_sgpr 1
		.amdhsa_named_barrier_count 0
		.amdhsa_reserve_vcc 0
		.amdhsa_float_round_mode_32 0
		.amdhsa_float_round_mode_16_64 0
		.amdhsa_float_denorm_mode_32 3
		.amdhsa_float_denorm_mode_16_64 3
		.amdhsa_fp16_overflow 0
		.amdhsa_memory_ordered 1
		.amdhsa_forward_progress 1
		.amdhsa_inst_pref_size 0
		.amdhsa_round_robin_scheduling 0
		.amdhsa_exception_fp_ieee_invalid_op 0
		.amdhsa_exception_fp_denorm_src 0
		.amdhsa_exception_fp_ieee_div_zero 0
		.amdhsa_exception_fp_ieee_overflow 0
		.amdhsa_exception_fp_ieee_underflow 0
		.amdhsa_exception_fp_ieee_inexact 0
		.amdhsa_exception_int_div_zero 0
	.end_amdhsa_kernel
	.section	.text._ZN7rocprim17ROCPRIM_400000_NS6detail17trampoline_kernelINS0_14default_configENS1_36segmented_radix_sort_config_selectorIalEEZNS1_25segmented_radix_sort_implIS3_Lb1EPKaPaPKlPlN2at6native12_GLOBAL__N_18offset_tEEE10hipError_tPvRmT1_PNSt15iterator_traitsISK_E10value_typeET2_T3_PNSL_ISQ_E10value_typeET4_jRbjT5_SW_jjP12ihipStream_tbEUlT_E0_NS1_11comp_targetILNS1_3genE2ELNS1_11target_archE906ELNS1_3gpuE6ELNS1_3repE0EEENS1_60segmented_radix_sort_warp_sort_medium_config_static_selectorELNS0_4arch9wavefront6targetE0EEEvSK_,"axG",@progbits,_ZN7rocprim17ROCPRIM_400000_NS6detail17trampoline_kernelINS0_14default_configENS1_36segmented_radix_sort_config_selectorIalEEZNS1_25segmented_radix_sort_implIS3_Lb1EPKaPaPKlPlN2at6native12_GLOBAL__N_18offset_tEEE10hipError_tPvRmT1_PNSt15iterator_traitsISK_E10value_typeET2_T3_PNSL_ISQ_E10value_typeET4_jRbjT5_SW_jjP12ihipStream_tbEUlT_E0_NS1_11comp_targetILNS1_3genE2ELNS1_11target_archE906ELNS1_3gpuE6ELNS1_3repE0EEENS1_60segmented_radix_sort_warp_sort_medium_config_static_selectorELNS0_4arch9wavefront6targetE0EEEvSK_,comdat
.Lfunc_end303:
	.size	_ZN7rocprim17ROCPRIM_400000_NS6detail17trampoline_kernelINS0_14default_configENS1_36segmented_radix_sort_config_selectorIalEEZNS1_25segmented_radix_sort_implIS3_Lb1EPKaPaPKlPlN2at6native12_GLOBAL__N_18offset_tEEE10hipError_tPvRmT1_PNSt15iterator_traitsISK_E10value_typeET2_T3_PNSL_ISQ_E10value_typeET4_jRbjT5_SW_jjP12ihipStream_tbEUlT_E0_NS1_11comp_targetILNS1_3genE2ELNS1_11target_archE906ELNS1_3gpuE6ELNS1_3repE0EEENS1_60segmented_radix_sort_warp_sort_medium_config_static_selectorELNS0_4arch9wavefront6targetE0EEEvSK_, .Lfunc_end303-_ZN7rocprim17ROCPRIM_400000_NS6detail17trampoline_kernelINS0_14default_configENS1_36segmented_radix_sort_config_selectorIalEEZNS1_25segmented_radix_sort_implIS3_Lb1EPKaPaPKlPlN2at6native12_GLOBAL__N_18offset_tEEE10hipError_tPvRmT1_PNSt15iterator_traitsISK_E10value_typeET2_T3_PNSL_ISQ_E10value_typeET4_jRbjT5_SW_jjP12ihipStream_tbEUlT_E0_NS1_11comp_targetILNS1_3genE2ELNS1_11target_archE906ELNS1_3gpuE6ELNS1_3repE0EEENS1_60segmented_radix_sort_warp_sort_medium_config_static_selectorELNS0_4arch9wavefront6targetE0EEEvSK_
                                        ; -- End function
	.set _ZN7rocprim17ROCPRIM_400000_NS6detail17trampoline_kernelINS0_14default_configENS1_36segmented_radix_sort_config_selectorIalEEZNS1_25segmented_radix_sort_implIS3_Lb1EPKaPaPKlPlN2at6native12_GLOBAL__N_18offset_tEEE10hipError_tPvRmT1_PNSt15iterator_traitsISK_E10value_typeET2_T3_PNSL_ISQ_E10value_typeET4_jRbjT5_SW_jjP12ihipStream_tbEUlT_E0_NS1_11comp_targetILNS1_3genE2ELNS1_11target_archE906ELNS1_3gpuE6ELNS1_3repE0EEENS1_60segmented_radix_sort_warp_sort_medium_config_static_selectorELNS0_4arch9wavefront6targetE0EEEvSK_.num_vgpr, 0
	.set _ZN7rocprim17ROCPRIM_400000_NS6detail17trampoline_kernelINS0_14default_configENS1_36segmented_radix_sort_config_selectorIalEEZNS1_25segmented_radix_sort_implIS3_Lb1EPKaPaPKlPlN2at6native12_GLOBAL__N_18offset_tEEE10hipError_tPvRmT1_PNSt15iterator_traitsISK_E10value_typeET2_T3_PNSL_ISQ_E10value_typeET4_jRbjT5_SW_jjP12ihipStream_tbEUlT_E0_NS1_11comp_targetILNS1_3genE2ELNS1_11target_archE906ELNS1_3gpuE6ELNS1_3repE0EEENS1_60segmented_radix_sort_warp_sort_medium_config_static_selectorELNS0_4arch9wavefront6targetE0EEEvSK_.num_agpr, 0
	.set _ZN7rocprim17ROCPRIM_400000_NS6detail17trampoline_kernelINS0_14default_configENS1_36segmented_radix_sort_config_selectorIalEEZNS1_25segmented_radix_sort_implIS3_Lb1EPKaPaPKlPlN2at6native12_GLOBAL__N_18offset_tEEE10hipError_tPvRmT1_PNSt15iterator_traitsISK_E10value_typeET2_T3_PNSL_ISQ_E10value_typeET4_jRbjT5_SW_jjP12ihipStream_tbEUlT_E0_NS1_11comp_targetILNS1_3genE2ELNS1_11target_archE906ELNS1_3gpuE6ELNS1_3repE0EEENS1_60segmented_radix_sort_warp_sort_medium_config_static_selectorELNS0_4arch9wavefront6targetE0EEEvSK_.numbered_sgpr, 0
	.set _ZN7rocprim17ROCPRIM_400000_NS6detail17trampoline_kernelINS0_14default_configENS1_36segmented_radix_sort_config_selectorIalEEZNS1_25segmented_radix_sort_implIS3_Lb1EPKaPaPKlPlN2at6native12_GLOBAL__N_18offset_tEEE10hipError_tPvRmT1_PNSt15iterator_traitsISK_E10value_typeET2_T3_PNSL_ISQ_E10value_typeET4_jRbjT5_SW_jjP12ihipStream_tbEUlT_E0_NS1_11comp_targetILNS1_3genE2ELNS1_11target_archE906ELNS1_3gpuE6ELNS1_3repE0EEENS1_60segmented_radix_sort_warp_sort_medium_config_static_selectorELNS0_4arch9wavefront6targetE0EEEvSK_.num_named_barrier, 0
	.set _ZN7rocprim17ROCPRIM_400000_NS6detail17trampoline_kernelINS0_14default_configENS1_36segmented_radix_sort_config_selectorIalEEZNS1_25segmented_radix_sort_implIS3_Lb1EPKaPaPKlPlN2at6native12_GLOBAL__N_18offset_tEEE10hipError_tPvRmT1_PNSt15iterator_traitsISK_E10value_typeET2_T3_PNSL_ISQ_E10value_typeET4_jRbjT5_SW_jjP12ihipStream_tbEUlT_E0_NS1_11comp_targetILNS1_3genE2ELNS1_11target_archE906ELNS1_3gpuE6ELNS1_3repE0EEENS1_60segmented_radix_sort_warp_sort_medium_config_static_selectorELNS0_4arch9wavefront6targetE0EEEvSK_.private_seg_size, 0
	.set _ZN7rocprim17ROCPRIM_400000_NS6detail17trampoline_kernelINS0_14default_configENS1_36segmented_radix_sort_config_selectorIalEEZNS1_25segmented_radix_sort_implIS3_Lb1EPKaPaPKlPlN2at6native12_GLOBAL__N_18offset_tEEE10hipError_tPvRmT1_PNSt15iterator_traitsISK_E10value_typeET2_T3_PNSL_ISQ_E10value_typeET4_jRbjT5_SW_jjP12ihipStream_tbEUlT_E0_NS1_11comp_targetILNS1_3genE2ELNS1_11target_archE906ELNS1_3gpuE6ELNS1_3repE0EEENS1_60segmented_radix_sort_warp_sort_medium_config_static_selectorELNS0_4arch9wavefront6targetE0EEEvSK_.uses_vcc, 0
	.set _ZN7rocprim17ROCPRIM_400000_NS6detail17trampoline_kernelINS0_14default_configENS1_36segmented_radix_sort_config_selectorIalEEZNS1_25segmented_radix_sort_implIS3_Lb1EPKaPaPKlPlN2at6native12_GLOBAL__N_18offset_tEEE10hipError_tPvRmT1_PNSt15iterator_traitsISK_E10value_typeET2_T3_PNSL_ISQ_E10value_typeET4_jRbjT5_SW_jjP12ihipStream_tbEUlT_E0_NS1_11comp_targetILNS1_3genE2ELNS1_11target_archE906ELNS1_3gpuE6ELNS1_3repE0EEENS1_60segmented_radix_sort_warp_sort_medium_config_static_selectorELNS0_4arch9wavefront6targetE0EEEvSK_.uses_flat_scratch, 0
	.set _ZN7rocprim17ROCPRIM_400000_NS6detail17trampoline_kernelINS0_14default_configENS1_36segmented_radix_sort_config_selectorIalEEZNS1_25segmented_radix_sort_implIS3_Lb1EPKaPaPKlPlN2at6native12_GLOBAL__N_18offset_tEEE10hipError_tPvRmT1_PNSt15iterator_traitsISK_E10value_typeET2_T3_PNSL_ISQ_E10value_typeET4_jRbjT5_SW_jjP12ihipStream_tbEUlT_E0_NS1_11comp_targetILNS1_3genE2ELNS1_11target_archE906ELNS1_3gpuE6ELNS1_3repE0EEENS1_60segmented_radix_sort_warp_sort_medium_config_static_selectorELNS0_4arch9wavefront6targetE0EEEvSK_.has_dyn_sized_stack, 0
	.set _ZN7rocprim17ROCPRIM_400000_NS6detail17trampoline_kernelINS0_14default_configENS1_36segmented_radix_sort_config_selectorIalEEZNS1_25segmented_radix_sort_implIS3_Lb1EPKaPaPKlPlN2at6native12_GLOBAL__N_18offset_tEEE10hipError_tPvRmT1_PNSt15iterator_traitsISK_E10value_typeET2_T3_PNSL_ISQ_E10value_typeET4_jRbjT5_SW_jjP12ihipStream_tbEUlT_E0_NS1_11comp_targetILNS1_3genE2ELNS1_11target_archE906ELNS1_3gpuE6ELNS1_3repE0EEENS1_60segmented_radix_sort_warp_sort_medium_config_static_selectorELNS0_4arch9wavefront6targetE0EEEvSK_.has_recursion, 0
	.set _ZN7rocprim17ROCPRIM_400000_NS6detail17trampoline_kernelINS0_14default_configENS1_36segmented_radix_sort_config_selectorIalEEZNS1_25segmented_radix_sort_implIS3_Lb1EPKaPaPKlPlN2at6native12_GLOBAL__N_18offset_tEEE10hipError_tPvRmT1_PNSt15iterator_traitsISK_E10value_typeET2_T3_PNSL_ISQ_E10value_typeET4_jRbjT5_SW_jjP12ihipStream_tbEUlT_E0_NS1_11comp_targetILNS1_3genE2ELNS1_11target_archE906ELNS1_3gpuE6ELNS1_3repE0EEENS1_60segmented_radix_sort_warp_sort_medium_config_static_selectorELNS0_4arch9wavefront6targetE0EEEvSK_.has_indirect_call, 0
	.section	.AMDGPU.csdata,"",@progbits
; Kernel info:
; codeLenInByte = 0
; TotalNumSgprs: 0
; NumVgprs: 0
; ScratchSize: 0
; MemoryBound: 0
; FloatMode: 240
; IeeeMode: 1
; LDSByteSize: 0 bytes/workgroup (compile time only)
; SGPRBlocks: 0
; VGPRBlocks: 0
; NumSGPRsForWavesPerEU: 1
; NumVGPRsForWavesPerEU: 1
; NamedBarCnt: 0
; Occupancy: 16
; WaveLimiterHint : 0
; COMPUTE_PGM_RSRC2:SCRATCH_EN: 0
; COMPUTE_PGM_RSRC2:USER_SGPR: 2
; COMPUTE_PGM_RSRC2:TRAP_HANDLER: 0
; COMPUTE_PGM_RSRC2:TGID_X_EN: 1
; COMPUTE_PGM_RSRC2:TGID_Y_EN: 0
; COMPUTE_PGM_RSRC2:TGID_Z_EN: 0
; COMPUTE_PGM_RSRC2:TIDIG_COMP_CNT: 0
	.section	.text._ZN7rocprim17ROCPRIM_400000_NS6detail17trampoline_kernelINS0_14default_configENS1_36segmented_radix_sort_config_selectorIalEEZNS1_25segmented_radix_sort_implIS3_Lb1EPKaPaPKlPlN2at6native12_GLOBAL__N_18offset_tEEE10hipError_tPvRmT1_PNSt15iterator_traitsISK_E10value_typeET2_T3_PNSL_ISQ_E10value_typeET4_jRbjT5_SW_jjP12ihipStream_tbEUlT_E0_NS1_11comp_targetILNS1_3genE10ELNS1_11target_archE1201ELNS1_3gpuE5ELNS1_3repE0EEENS1_60segmented_radix_sort_warp_sort_medium_config_static_selectorELNS0_4arch9wavefront6targetE0EEEvSK_,"axG",@progbits,_ZN7rocprim17ROCPRIM_400000_NS6detail17trampoline_kernelINS0_14default_configENS1_36segmented_radix_sort_config_selectorIalEEZNS1_25segmented_radix_sort_implIS3_Lb1EPKaPaPKlPlN2at6native12_GLOBAL__N_18offset_tEEE10hipError_tPvRmT1_PNSt15iterator_traitsISK_E10value_typeET2_T3_PNSL_ISQ_E10value_typeET4_jRbjT5_SW_jjP12ihipStream_tbEUlT_E0_NS1_11comp_targetILNS1_3genE10ELNS1_11target_archE1201ELNS1_3gpuE5ELNS1_3repE0EEENS1_60segmented_radix_sort_warp_sort_medium_config_static_selectorELNS0_4arch9wavefront6targetE0EEEvSK_,comdat
	.globl	_ZN7rocprim17ROCPRIM_400000_NS6detail17trampoline_kernelINS0_14default_configENS1_36segmented_radix_sort_config_selectorIalEEZNS1_25segmented_radix_sort_implIS3_Lb1EPKaPaPKlPlN2at6native12_GLOBAL__N_18offset_tEEE10hipError_tPvRmT1_PNSt15iterator_traitsISK_E10value_typeET2_T3_PNSL_ISQ_E10value_typeET4_jRbjT5_SW_jjP12ihipStream_tbEUlT_E0_NS1_11comp_targetILNS1_3genE10ELNS1_11target_archE1201ELNS1_3gpuE5ELNS1_3repE0EEENS1_60segmented_radix_sort_warp_sort_medium_config_static_selectorELNS0_4arch9wavefront6targetE0EEEvSK_ ; -- Begin function _ZN7rocprim17ROCPRIM_400000_NS6detail17trampoline_kernelINS0_14default_configENS1_36segmented_radix_sort_config_selectorIalEEZNS1_25segmented_radix_sort_implIS3_Lb1EPKaPaPKlPlN2at6native12_GLOBAL__N_18offset_tEEE10hipError_tPvRmT1_PNSt15iterator_traitsISK_E10value_typeET2_T3_PNSL_ISQ_E10value_typeET4_jRbjT5_SW_jjP12ihipStream_tbEUlT_E0_NS1_11comp_targetILNS1_3genE10ELNS1_11target_archE1201ELNS1_3gpuE5ELNS1_3repE0EEENS1_60segmented_radix_sort_warp_sort_medium_config_static_selectorELNS0_4arch9wavefront6targetE0EEEvSK_
	.p2align	8
	.type	_ZN7rocprim17ROCPRIM_400000_NS6detail17trampoline_kernelINS0_14default_configENS1_36segmented_radix_sort_config_selectorIalEEZNS1_25segmented_radix_sort_implIS3_Lb1EPKaPaPKlPlN2at6native12_GLOBAL__N_18offset_tEEE10hipError_tPvRmT1_PNSt15iterator_traitsISK_E10value_typeET2_T3_PNSL_ISQ_E10value_typeET4_jRbjT5_SW_jjP12ihipStream_tbEUlT_E0_NS1_11comp_targetILNS1_3genE10ELNS1_11target_archE1201ELNS1_3gpuE5ELNS1_3repE0EEENS1_60segmented_radix_sort_warp_sort_medium_config_static_selectorELNS0_4arch9wavefront6targetE0EEEvSK_,@function
_ZN7rocprim17ROCPRIM_400000_NS6detail17trampoline_kernelINS0_14default_configENS1_36segmented_radix_sort_config_selectorIalEEZNS1_25segmented_radix_sort_implIS3_Lb1EPKaPaPKlPlN2at6native12_GLOBAL__N_18offset_tEEE10hipError_tPvRmT1_PNSt15iterator_traitsISK_E10value_typeET2_T3_PNSL_ISQ_E10value_typeET4_jRbjT5_SW_jjP12ihipStream_tbEUlT_E0_NS1_11comp_targetILNS1_3genE10ELNS1_11target_archE1201ELNS1_3gpuE5ELNS1_3repE0EEENS1_60segmented_radix_sort_warp_sort_medium_config_static_selectorELNS0_4arch9wavefront6targetE0EEEvSK_: ; @_ZN7rocprim17ROCPRIM_400000_NS6detail17trampoline_kernelINS0_14default_configENS1_36segmented_radix_sort_config_selectorIalEEZNS1_25segmented_radix_sort_implIS3_Lb1EPKaPaPKlPlN2at6native12_GLOBAL__N_18offset_tEEE10hipError_tPvRmT1_PNSt15iterator_traitsISK_E10value_typeET2_T3_PNSL_ISQ_E10value_typeET4_jRbjT5_SW_jjP12ihipStream_tbEUlT_E0_NS1_11comp_targetILNS1_3genE10ELNS1_11target_archE1201ELNS1_3gpuE5ELNS1_3repE0EEENS1_60segmented_radix_sort_warp_sort_medium_config_static_selectorELNS0_4arch9wavefront6targetE0EEEvSK_
; %bb.0:
	.section	.rodata,"a",@progbits
	.p2align	6, 0x0
	.amdhsa_kernel _ZN7rocprim17ROCPRIM_400000_NS6detail17trampoline_kernelINS0_14default_configENS1_36segmented_radix_sort_config_selectorIalEEZNS1_25segmented_radix_sort_implIS3_Lb1EPKaPaPKlPlN2at6native12_GLOBAL__N_18offset_tEEE10hipError_tPvRmT1_PNSt15iterator_traitsISK_E10value_typeET2_T3_PNSL_ISQ_E10value_typeET4_jRbjT5_SW_jjP12ihipStream_tbEUlT_E0_NS1_11comp_targetILNS1_3genE10ELNS1_11target_archE1201ELNS1_3gpuE5ELNS1_3repE0EEENS1_60segmented_radix_sort_warp_sort_medium_config_static_selectorELNS0_4arch9wavefront6targetE0EEEvSK_
		.amdhsa_group_segment_fixed_size 0
		.amdhsa_private_segment_fixed_size 0
		.amdhsa_kernarg_size 88
		.amdhsa_user_sgpr_count 2
		.amdhsa_user_sgpr_dispatch_ptr 0
		.amdhsa_user_sgpr_queue_ptr 0
		.amdhsa_user_sgpr_kernarg_segment_ptr 1
		.amdhsa_user_sgpr_dispatch_id 0
		.amdhsa_user_sgpr_kernarg_preload_length 0
		.amdhsa_user_sgpr_kernarg_preload_offset 0
		.amdhsa_user_sgpr_private_segment_size 0
		.amdhsa_wavefront_size32 1
		.amdhsa_uses_dynamic_stack 0
		.amdhsa_enable_private_segment 0
		.amdhsa_system_sgpr_workgroup_id_x 1
		.amdhsa_system_sgpr_workgroup_id_y 0
		.amdhsa_system_sgpr_workgroup_id_z 0
		.amdhsa_system_sgpr_workgroup_info 0
		.amdhsa_system_vgpr_workitem_id 0
		.amdhsa_next_free_vgpr 1
		.amdhsa_next_free_sgpr 1
		.amdhsa_named_barrier_count 0
		.amdhsa_reserve_vcc 0
		.amdhsa_float_round_mode_32 0
		.amdhsa_float_round_mode_16_64 0
		.amdhsa_float_denorm_mode_32 3
		.amdhsa_float_denorm_mode_16_64 3
		.amdhsa_fp16_overflow 0
		.amdhsa_memory_ordered 1
		.amdhsa_forward_progress 1
		.amdhsa_inst_pref_size 0
		.amdhsa_round_robin_scheduling 0
		.amdhsa_exception_fp_ieee_invalid_op 0
		.amdhsa_exception_fp_denorm_src 0
		.amdhsa_exception_fp_ieee_div_zero 0
		.amdhsa_exception_fp_ieee_overflow 0
		.amdhsa_exception_fp_ieee_underflow 0
		.amdhsa_exception_fp_ieee_inexact 0
		.amdhsa_exception_int_div_zero 0
	.end_amdhsa_kernel
	.section	.text._ZN7rocprim17ROCPRIM_400000_NS6detail17trampoline_kernelINS0_14default_configENS1_36segmented_radix_sort_config_selectorIalEEZNS1_25segmented_radix_sort_implIS3_Lb1EPKaPaPKlPlN2at6native12_GLOBAL__N_18offset_tEEE10hipError_tPvRmT1_PNSt15iterator_traitsISK_E10value_typeET2_T3_PNSL_ISQ_E10value_typeET4_jRbjT5_SW_jjP12ihipStream_tbEUlT_E0_NS1_11comp_targetILNS1_3genE10ELNS1_11target_archE1201ELNS1_3gpuE5ELNS1_3repE0EEENS1_60segmented_radix_sort_warp_sort_medium_config_static_selectorELNS0_4arch9wavefront6targetE0EEEvSK_,"axG",@progbits,_ZN7rocprim17ROCPRIM_400000_NS6detail17trampoline_kernelINS0_14default_configENS1_36segmented_radix_sort_config_selectorIalEEZNS1_25segmented_radix_sort_implIS3_Lb1EPKaPaPKlPlN2at6native12_GLOBAL__N_18offset_tEEE10hipError_tPvRmT1_PNSt15iterator_traitsISK_E10value_typeET2_T3_PNSL_ISQ_E10value_typeET4_jRbjT5_SW_jjP12ihipStream_tbEUlT_E0_NS1_11comp_targetILNS1_3genE10ELNS1_11target_archE1201ELNS1_3gpuE5ELNS1_3repE0EEENS1_60segmented_radix_sort_warp_sort_medium_config_static_selectorELNS0_4arch9wavefront6targetE0EEEvSK_,comdat
.Lfunc_end304:
	.size	_ZN7rocprim17ROCPRIM_400000_NS6detail17trampoline_kernelINS0_14default_configENS1_36segmented_radix_sort_config_selectorIalEEZNS1_25segmented_radix_sort_implIS3_Lb1EPKaPaPKlPlN2at6native12_GLOBAL__N_18offset_tEEE10hipError_tPvRmT1_PNSt15iterator_traitsISK_E10value_typeET2_T3_PNSL_ISQ_E10value_typeET4_jRbjT5_SW_jjP12ihipStream_tbEUlT_E0_NS1_11comp_targetILNS1_3genE10ELNS1_11target_archE1201ELNS1_3gpuE5ELNS1_3repE0EEENS1_60segmented_radix_sort_warp_sort_medium_config_static_selectorELNS0_4arch9wavefront6targetE0EEEvSK_, .Lfunc_end304-_ZN7rocprim17ROCPRIM_400000_NS6detail17trampoline_kernelINS0_14default_configENS1_36segmented_radix_sort_config_selectorIalEEZNS1_25segmented_radix_sort_implIS3_Lb1EPKaPaPKlPlN2at6native12_GLOBAL__N_18offset_tEEE10hipError_tPvRmT1_PNSt15iterator_traitsISK_E10value_typeET2_T3_PNSL_ISQ_E10value_typeET4_jRbjT5_SW_jjP12ihipStream_tbEUlT_E0_NS1_11comp_targetILNS1_3genE10ELNS1_11target_archE1201ELNS1_3gpuE5ELNS1_3repE0EEENS1_60segmented_radix_sort_warp_sort_medium_config_static_selectorELNS0_4arch9wavefront6targetE0EEEvSK_
                                        ; -- End function
	.set _ZN7rocprim17ROCPRIM_400000_NS6detail17trampoline_kernelINS0_14default_configENS1_36segmented_radix_sort_config_selectorIalEEZNS1_25segmented_radix_sort_implIS3_Lb1EPKaPaPKlPlN2at6native12_GLOBAL__N_18offset_tEEE10hipError_tPvRmT1_PNSt15iterator_traitsISK_E10value_typeET2_T3_PNSL_ISQ_E10value_typeET4_jRbjT5_SW_jjP12ihipStream_tbEUlT_E0_NS1_11comp_targetILNS1_3genE10ELNS1_11target_archE1201ELNS1_3gpuE5ELNS1_3repE0EEENS1_60segmented_radix_sort_warp_sort_medium_config_static_selectorELNS0_4arch9wavefront6targetE0EEEvSK_.num_vgpr, 0
	.set _ZN7rocprim17ROCPRIM_400000_NS6detail17trampoline_kernelINS0_14default_configENS1_36segmented_radix_sort_config_selectorIalEEZNS1_25segmented_radix_sort_implIS3_Lb1EPKaPaPKlPlN2at6native12_GLOBAL__N_18offset_tEEE10hipError_tPvRmT1_PNSt15iterator_traitsISK_E10value_typeET2_T3_PNSL_ISQ_E10value_typeET4_jRbjT5_SW_jjP12ihipStream_tbEUlT_E0_NS1_11comp_targetILNS1_3genE10ELNS1_11target_archE1201ELNS1_3gpuE5ELNS1_3repE0EEENS1_60segmented_radix_sort_warp_sort_medium_config_static_selectorELNS0_4arch9wavefront6targetE0EEEvSK_.num_agpr, 0
	.set _ZN7rocprim17ROCPRIM_400000_NS6detail17trampoline_kernelINS0_14default_configENS1_36segmented_radix_sort_config_selectorIalEEZNS1_25segmented_radix_sort_implIS3_Lb1EPKaPaPKlPlN2at6native12_GLOBAL__N_18offset_tEEE10hipError_tPvRmT1_PNSt15iterator_traitsISK_E10value_typeET2_T3_PNSL_ISQ_E10value_typeET4_jRbjT5_SW_jjP12ihipStream_tbEUlT_E0_NS1_11comp_targetILNS1_3genE10ELNS1_11target_archE1201ELNS1_3gpuE5ELNS1_3repE0EEENS1_60segmented_radix_sort_warp_sort_medium_config_static_selectorELNS0_4arch9wavefront6targetE0EEEvSK_.numbered_sgpr, 0
	.set _ZN7rocprim17ROCPRIM_400000_NS6detail17trampoline_kernelINS0_14default_configENS1_36segmented_radix_sort_config_selectorIalEEZNS1_25segmented_radix_sort_implIS3_Lb1EPKaPaPKlPlN2at6native12_GLOBAL__N_18offset_tEEE10hipError_tPvRmT1_PNSt15iterator_traitsISK_E10value_typeET2_T3_PNSL_ISQ_E10value_typeET4_jRbjT5_SW_jjP12ihipStream_tbEUlT_E0_NS1_11comp_targetILNS1_3genE10ELNS1_11target_archE1201ELNS1_3gpuE5ELNS1_3repE0EEENS1_60segmented_radix_sort_warp_sort_medium_config_static_selectorELNS0_4arch9wavefront6targetE0EEEvSK_.num_named_barrier, 0
	.set _ZN7rocprim17ROCPRIM_400000_NS6detail17trampoline_kernelINS0_14default_configENS1_36segmented_radix_sort_config_selectorIalEEZNS1_25segmented_radix_sort_implIS3_Lb1EPKaPaPKlPlN2at6native12_GLOBAL__N_18offset_tEEE10hipError_tPvRmT1_PNSt15iterator_traitsISK_E10value_typeET2_T3_PNSL_ISQ_E10value_typeET4_jRbjT5_SW_jjP12ihipStream_tbEUlT_E0_NS1_11comp_targetILNS1_3genE10ELNS1_11target_archE1201ELNS1_3gpuE5ELNS1_3repE0EEENS1_60segmented_radix_sort_warp_sort_medium_config_static_selectorELNS0_4arch9wavefront6targetE0EEEvSK_.private_seg_size, 0
	.set _ZN7rocprim17ROCPRIM_400000_NS6detail17trampoline_kernelINS0_14default_configENS1_36segmented_radix_sort_config_selectorIalEEZNS1_25segmented_radix_sort_implIS3_Lb1EPKaPaPKlPlN2at6native12_GLOBAL__N_18offset_tEEE10hipError_tPvRmT1_PNSt15iterator_traitsISK_E10value_typeET2_T3_PNSL_ISQ_E10value_typeET4_jRbjT5_SW_jjP12ihipStream_tbEUlT_E0_NS1_11comp_targetILNS1_3genE10ELNS1_11target_archE1201ELNS1_3gpuE5ELNS1_3repE0EEENS1_60segmented_radix_sort_warp_sort_medium_config_static_selectorELNS0_4arch9wavefront6targetE0EEEvSK_.uses_vcc, 0
	.set _ZN7rocprim17ROCPRIM_400000_NS6detail17trampoline_kernelINS0_14default_configENS1_36segmented_radix_sort_config_selectorIalEEZNS1_25segmented_radix_sort_implIS3_Lb1EPKaPaPKlPlN2at6native12_GLOBAL__N_18offset_tEEE10hipError_tPvRmT1_PNSt15iterator_traitsISK_E10value_typeET2_T3_PNSL_ISQ_E10value_typeET4_jRbjT5_SW_jjP12ihipStream_tbEUlT_E0_NS1_11comp_targetILNS1_3genE10ELNS1_11target_archE1201ELNS1_3gpuE5ELNS1_3repE0EEENS1_60segmented_radix_sort_warp_sort_medium_config_static_selectorELNS0_4arch9wavefront6targetE0EEEvSK_.uses_flat_scratch, 0
	.set _ZN7rocprim17ROCPRIM_400000_NS6detail17trampoline_kernelINS0_14default_configENS1_36segmented_radix_sort_config_selectorIalEEZNS1_25segmented_radix_sort_implIS3_Lb1EPKaPaPKlPlN2at6native12_GLOBAL__N_18offset_tEEE10hipError_tPvRmT1_PNSt15iterator_traitsISK_E10value_typeET2_T3_PNSL_ISQ_E10value_typeET4_jRbjT5_SW_jjP12ihipStream_tbEUlT_E0_NS1_11comp_targetILNS1_3genE10ELNS1_11target_archE1201ELNS1_3gpuE5ELNS1_3repE0EEENS1_60segmented_radix_sort_warp_sort_medium_config_static_selectorELNS0_4arch9wavefront6targetE0EEEvSK_.has_dyn_sized_stack, 0
	.set _ZN7rocprim17ROCPRIM_400000_NS6detail17trampoline_kernelINS0_14default_configENS1_36segmented_radix_sort_config_selectorIalEEZNS1_25segmented_radix_sort_implIS3_Lb1EPKaPaPKlPlN2at6native12_GLOBAL__N_18offset_tEEE10hipError_tPvRmT1_PNSt15iterator_traitsISK_E10value_typeET2_T3_PNSL_ISQ_E10value_typeET4_jRbjT5_SW_jjP12ihipStream_tbEUlT_E0_NS1_11comp_targetILNS1_3genE10ELNS1_11target_archE1201ELNS1_3gpuE5ELNS1_3repE0EEENS1_60segmented_radix_sort_warp_sort_medium_config_static_selectorELNS0_4arch9wavefront6targetE0EEEvSK_.has_recursion, 0
	.set _ZN7rocprim17ROCPRIM_400000_NS6detail17trampoline_kernelINS0_14default_configENS1_36segmented_radix_sort_config_selectorIalEEZNS1_25segmented_radix_sort_implIS3_Lb1EPKaPaPKlPlN2at6native12_GLOBAL__N_18offset_tEEE10hipError_tPvRmT1_PNSt15iterator_traitsISK_E10value_typeET2_T3_PNSL_ISQ_E10value_typeET4_jRbjT5_SW_jjP12ihipStream_tbEUlT_E0_NS1_11comp_targetILNS1_3genE10ELNS1_11target_archE1201ELNS1_3gpuE5ELNS1_3repE0EEENS1_60segmented_radix_sort_warp_sort_medium_config_static_selectorELNS0_4arch9wavefront6targetE0EEEvSK_.has_indirect_call, 0
	.section	.AMDGPU.csdata,"",@progbits
; Kernel info:
; codeLenInByte = 0
; TotalNumSgprs: 0
; NumVgprs: 0
; ScratchSize: 0
; MemoryBound: 0
; FloatMode: 240
; IeeeMode: 1
; LDSByteSize: 0 bytes/workgroup (compile time only)
; SGPRBlocks: 0
; VGPRBlocks: 0
; NumSGPRsForWavesPerEU: 1
; NumVGPRsForWavesPerEU: 1
; NamedBarCnt: 0
; Occupancy: 16
; WaveLimiterHint : 0
; COMPUTE_PGM_RSRC2:SCRATCH_EN: 0
; COMPUTE_PGM_RSRC2:USER_SGPR: 2
; COMPUTE_PGM_RSRC2:TRAP_HANDLER: 0
; COMPUTE_PGM_RSRC2:TGID_X_EN: 1
; COMPUTE_PGM_RSRC2:TGID_Y_EN: 0
; COMPUTE_PGM_RSRC2:TGID_Z_EN: 0
; COMPUTE_PGM_RSRC2:TIDIG_COMP_CNT: 0
	.section	.text._ZN7rocprim17ROCPRIM_400000_NS6detail17trampoline_kernelINS0_14default_configENS1_36segmented_radix_sort_config_selectorIalEEZNS1_25segmented_radix_sort_implIS3_Lb1EPKaPaPKlPlN2at6native12_GLOBAL__N_18offset_tEEE10hipError_tPvRmT1_PNSt15iterator_traitsISK_E10value_typeET2_T3_PNSL_ISQ_E10value_typeET4_jRbjT5_SW_jjP12ihipStream_tbEUlT_E0_NS1_11comp_targetILNS1_3genE10ELNS1_11target_archE1200ELNS1_3gpuE4ELNS1_3repE0EEENS1_60segmented_radix_sort_warp_sort_medium_config_static_selectorELNS0_4arch9wavefront6targetE0EEEvSK_,"axG",@progbits,_ZN7rocprim17ROCPRIM_400000_NS6detail17trampoline_kernelINS0_14default_configENS1_36segmented_radix_sort_config_selectorIalEEZNS1_25segmented_radix_sort_implIS3_Lb1EPKaPaPKlPlN2at6native12_GLOBAL__N_18offset_tEEE10hipError_tPvRmT1_PNSt15iterator_traitsISK_E10value_typeET2_T3_PNSL_ISQ_E10value_typeET4_jRbjT5_SW_jjP12ihipStream_tbEUlT_E0_NS1_11comp_targetILNS1_3genE10ELNS1_11target_archE1200ELNS1_3gpuE4ELNS1_3repE0EEENS1_60segmented_radix_sort_warp_sort_medium_config_static_selectorELNS0_4arch9wavefront6targetE0EEEvSK_,comdat
	.globl	_ZN7rocprim17ROCPRIM_400000_NS6detail17trampoline_kernelINS0_14default_configENS1_36segmented_radix_sort_config_selectorIalEEZNS1_25segmented_radix_sort_implIS3_Lb1EPKaPaPKlPlN2at6native12_GLOBAL__N_18offset_tEEE10hipError_tPvRmT1_PNSt15iterator_traitsISK_E10value_typeET2_T3_PNSL_ISQ_E10value_typeET4_jRbjT5_SW_jjP12ihipStream_tbEUlT_E0_NS1_11comp_targetILNS1_3genE10ELNS1_11target_archE1200ELNS1_3gpuE4ELNS1_3repE0EEENS1_60segmented_radix_sort_warp_sort_medium_config_static_selectorELNS0_4arch9wavefront6targetE0EEEvSK_ ; -- Begin function _ZN7rocprim17ROCPRIM_400000_NS6detail17trampoline_kernelINS0_14default_configENS1_36segmented_radix_sort_config_selectorIalEEZNS1_25segmented_radix_sort_implIS3_Lb1EPKaPaPKlPlN2at6native12_GLOBAL__N_18offset_tEEE10hipError_tPvRmT1_PNSt15iterator_traitsISK_E10value_typeET2_T3_PNSL_ISQ_E10value_typeET4_jRbjT5_SW_jjP12ihipStream_tbEUlT_E0_NS1_11comp_targetILNS1_3genE10ELNS1_11target_archE1200ELNS1_3gpuE4ELNS1_3repE0EEENS1_60segmented_radix_sort_warp_sort_medium_config_static_selectorELNS0_4arch9wavefront6targetE0EEEvSK_
	.p2align	8
	.type	_ZN7rocprim17ROCPRIM_400000_NS6detail17trampoline_kernelINS0_14default_configENS1_36segmented_radix_sort_config_selectorIalEEZNS1_25segmented_radix_sort_implIS3_Lb1EPKaPaPKlPlN2at6native12_GLOBAL__N_18offset_tEEE10hipError_tPvRmT1_PNSt15iterator_traitsISK_E10value_typeET2_T3_PNSL_ISQ_E10value_typeET4_jRbjT5_SW_jjP12ihipStream_tbEUlT_E0_NS1_11comp_targetILNS1_3genE10ELNS1_11target_archE1200ELNS1_3gpuE4ELNS1_3repE0EEENS1_60segmented_radix_sort_warp_sort_medium_config_static_selectorELNS0_4arch9wavefront6targetE0EEEvSK_,@function
_ZN7rocprim17ROCPRIM_400000_NS6detail17trampoline_kernelINS0_14default_configENS1_36segmented_radix_sort_config_selectorIalEEZNS1_25segmented_radix_sort_implIS3_Lb1EPKaPaPKlPlN2at6native12_GLOBAL__N_18offset_tEEE10hipError_tPvRmT1_PNSt15iterator_traitsISK_E10value_typeET2_T3_PNSL_ISQ_E10value_typeET4_jRbjT5_SW_jjP12ihipStream_tbEUlT_E0_NS1_11comp_targetILNS1_3genE10ELNS1_11target_archE1200ELNS1_3gpuE4ELNS1_3repE0EEENS1_60segmented_radix_sort_warp_sort_medium_config_static_selectorELNS0_4arch9wavefront6targetE0EEEvSK_: ; @_ZN7rocprim17ROCPRIM_400000_NS6detail17trampoline_kernelINS0_14default_configENS1_36segmented_radix_sort_config_selectorIalEEZNS1_25segmented_radix_sort_implIS3_Lb1EPKaPaPKlPlN2at6native12_GLOBAL__N_18offset_tEEE10hipError_tPvRmT1_PNSt15iterator_traitsISK_E10value_typeET2_T3_PNSL_ISQ_E10value_typeET4_jRbjT5_SW_jjP12ihipStream_tbEUlT_E0_NS1_11comp_targetILNS1_3genE10ELNS1_11target_archE1200ELNS1_3gpuE4ELNS1_3repE0EEENS1_60segmented_radix_sort_warp_sort_medium_config_static_selectorELNS0_4arch9wavefront6targetE0EEEvSK_
; %bb.0:
	.section	.rodata,"a",@progbits
	.p2align	6, 0x0
	.amdhsa_kernel _ZN7rocprim17ROCPRIM_400000_NS6detail17trampoline_kernelINS0_14default_configENS1_36segmented_radix_sort_config_selectorIalEEZNS1_25segmented_radix_sort_implIS3_Lb1EPKaPaPKlPlN2at6native12_GLOBAL__N_18offset_tEEE10hipError_tPvRmT1_PNSt15iterator_traitsISK_E10value_typeET2_T3_PNSL_ISQ_E10value_typeET4_jRbjT5_SW_jjP12ihipStream_tbEUlT_E0_NS1_11comp_targetILNS1_3genE10ELNS1_11target_archE1200ELNS1_3gpuE4ELNS1_3repE0EEENS1_60segmented_radix_sort_warp_sort_medium_config_static_selectorELNS0_4arch9wavefront6targetE0EEEvSK_
		.amdhsa_group_segment_fixed_size 0
		.amdhsa_private_segment_fixed_size 0
		.amdhsa_kernarg_size 88
		.amdhsa_user_sgpr_count 2
		.amdhsa_user_sgpr_dispatch_ptr 0
		.amdhsa_user_sgpr_queue_ptr 0
		.amdhsa_user_sgpr_kernarg_segment_ptr 1
		.amdhsa_user_sgpr_dispatch_id 0
		.amdhsa_user_sgpr_kernarg_preload_length 0
		.amdhsa_user_sgpr_kernarg_preload_offset 0
		.amdhsa_user_sgpr_private_segment_size 0
		.amdhsa_wavefront_size32 1
		.amdhsa_uses_dynamic_stack 0
		.amdhsa_enable_private_segment 0
		.amdhsa_system_sgpr_workgroup_id_x 1
		.amdhsa_system_sgpr_workgroup_id_y 0
		.amdhsa_system_sgpr_workgroup_id_z 0
		.amdhsa_system_sgpr_workgroup_info 0
		.amdhsa_system_vgpr_workitem_id 0
		.amdhsa_next_free_vgpr 1
		.amdhsa_next_free_sgpr 1
		.amdhsa_named_barrier_count 0
		.amdhsa_reserve_vcc 0
		.amdhsa_float_round_mode_32 0
		.amdhsa_float_round_mode_16_64 0
		.amdhsa_float_denorm_mode_32 3
		.amdhsa_float_denorm_mode_16_64 3
		.amdhsa_fp16_overflow 0
		.amdhsa_memory_ordered 1
		.amdhsa_forward_progress 1
		.amdhsa_inst_pref_size 0
		.amdhsa_round_robin_scheduling 0
		.amdhsa_exception_fp_ieee_invalid_op 0
		.amdhsa_exception_fp_denorm_src 0
		.amdhsa_exception_fp_ieee_div_zero 0
		.amdhsa_exception_fp_ieee_overflow 0
		.amdhsa_exception_fp_ieee_underflow 0
		.amdhsa_exception_fp_ieee_inexact 0
		.amdhsa_exception_int_div_zero 0
	.end_amdhsa_kernel
	.section	.text._ZN7rocprim17ROCPRIM_400000_NS6detail17trampoline_kernelINS0_14default_configENS1_36segmented_radix_sort_config_selectorIalEEZNS1_25segmented_radix_sort_implIS3_Lb1EPKaPaPKlPlN2at6native12_GLOBAL__N_18offset_tEEE10hipError_tPvRmT1_PNSt15iterator_traitsISK_E10value_typeET2_T3_PNSL_ISQ_E10value_typeET4_jRbjT5_SW_jjP12ihipStream_tbEUlT_E0_NS1_11comp_targetILNS1_3genE10ELNS1_11target_archE1200ELNS1_3gpuE4ELNS1_3repE0EEENS1_60segmented_radix_sort_warp_sort_medium_config_static_selectorELNS0_4arch9wavefront6targetE0EEEvSK_,"axG",@progbits,_ZN7rocprim17ROCPRIM_400000_NS6detail17trampoline_kernelINS0_14default_configENS1_36segmented_radix_sort_config_selectorIalEEZNS1_25segmented_radix_sort_implIS3_Lb1EPKaPaPKlPlN2at6native12_GLOBAL__N_18offset_tEEE10hipError_tPvRmT1_PNSt15iterator_traitsISK_E10value_typeET2_T3_PNSL_ISQ_E10value_typeET4_jRbjT5_SW_jjP12ihipStream_tbEUlT_E0_NS1_11comp_targetILNS1_3genE10ELNS1_11target_archE1200ELNS1_3gpuE4ELNS1_3repE0EEENS1_60segmented_radix_sort_warp_sort_medium_config_static_selectorELNS0_4arch9wavefront6targetE0EEEvSK_,comdat
.Lfunc_end305:
	.size	_ZN7rocprim17ROCPRIM_400000_NS6detail17trampoline_kernelINS0_14default_configENS1_36segmented_radix_sort_config_selectorIalEEZNS1_25segmented_radix_sort_implIS3_Lb1EPKaPaPKlPlN2at6native12_GLOBAL__N_18offset_tEEE10hipError_tPvRmT1_PNSt15iterator_traitsISK_E10value_typeET2_T3_PNSL_ISQ_E10value_typeET4_jRbjT5_SW_jjP12ihipStream_tbEUlT_E0_NS1_11comp_targetILNS1_3genE10ELNS1_11target_archE1200ELNS1_3gpuE4ELNS1_3repE0EEENS1_60segmented_radix_sort_warp_sort_medium_config_static_selectorELNS0_4arch9wavefront6targetE0EEEvSK_, .Lfunc_end305-_ZN7rocprim17ROCPRIM_400000_NS6detail17trampoline_kernelINS0_14default_configENS1_36segmented_radix_sort_config_selectorIalEEZNS1_25segmented_radix_sort_implIS3_Lb1EPKaPaPKlPlN2at6native12_GLOBAL__N_18offset_tEEE10hipError_tPvRmT1_PNSt15iterator_traitsISK_E10value_typeET2_T3_PNSL_ISQ_E10value_typeET4_jRbjT5_SW_jjP12ihipStream_tbEUlT_E0_NS1_11comp_targetILNS1_3genE10ELNS1_11target_archE1200ELNS1_3gpuE4ELNS1_3repE0EEENS1_60segmented_radix_sort_warp_sort_medium_config_static_selectorELNS0_4arch9wavefront6targetE0EEEvSK_
                                        ; -- End function
	.set _ZN7rocprim17ROCPRIM_400000_NS6detail17trampoline_kernelINS0_14default_configENS1_36segmented_radix_sort_config_selectorIalEEZNS1_25segmented_radix_sort_implIS3_Lb1EPKaPaPKlPlN2at6native12_GLOBAL__N_18offset_tEEE10hipError_tPvRmT1_PNSt15iterator_traitsISK_E10value_typeET2_T3_PNSL_ISQ_E10value_typeET4_jRbjT5_SW_jjP12ihipStream_tbEUlT_E0_NS1_11comp_targetILNS1_3genE10ELNS1_11target_archE1200ELNS1_3gpuE4ELNS1_3repE0EEENS1_60segmented_radix_sort_warp_sort_medium_config_static_selectorELNS0_4arch9wavefront6targetE0EEEvSK_.num_vgpr, 0
	.set _ZN7rocprim17ROCPRIM_400000_NS6detail17trampoline_kernelINS0_14default_configENS1_36segmented_radix_sort_config_selectorIalEEZNS1_25segmented_radix_sort_implIS3_Lb1EPKaPaPKlPlN2at6native12_GLOBAL__N_18offset_tEEE10hipError_tPvRmT1_PNSt15iterator_traitsISK_E10value_typeET2_T3_PNSL_ISQ_E10value_typeET4_jRbjT5_SW_jjP12ihipStream_tbEUlT_E0_NS1_11comp_targetILNS1_3genE10ELNS1_11target_archE1200ELNS1_3gpuE4ELNS1_3repE0EEENS1_60segmented_radix_sort_warp_sort_medium_config_static_selectorELNS0_4arch9wavefront6targetE0EEEvSK_.num_agpr, 0
	.set _ZN7rocprim17ROCPRIM_400000_NS6detail17trampoline_kernelINS0_14default_configENS1_36segmented_radix_sort_config_selectorIalEEZNS1_25segmented_radix_sort_implIS3_Lb1EPKaPaPKlPlN2at6native12_GLOBAL__N_18offset_tEEE10hipError_tPvRmT1_PNSt15iterator_traitsISK_E10value_typeET2_T3_PNSL_ISQ_E10value_typeET4_jRbjT5_SW_jjP12ihipStream_tbEUlT_E0_NS1_11comp_targetILNS1_3genE10ELNS1_11target_archE1200ELNS1_3gpuE4ELNS1_3repE0EEENS1_60segmented_radix_sort_warp_sort_medium_config_static_selectorELNS0_4arch9wavefront6targetE0EEEvSK_.numbered_sgpr, 0
	.set _ZN7rocprim17ROCPRIM_400000_NS6detail17trampoline_kernelINS0_14default_configENS1_36segmented_radix_sort_config_selectorIalEEZNS1_25segmented_radix_sort_implIS3_Lb1EPKaPaPKlPlN2at6native12_GLOBAL__N_18offset_tEEE10hipError_tPvRmT1_PNSt15iterator_traitsISK_E10value_typeET2_T3_PNSL_ISQ_E10value_typeET4_jRbjT5_SW_jjP12ihipStream_tbEUlT_E0_NS1_11comp_targetILNS1_3genE10ELNS1_11target_archE1200ELNS1_3gpuE4ELNS1_3repE0EEENS1_60segmented_radix_sort_warp_sort_medium_config_static_selectorELNS0_4arch9wavefront6targetE0EEEvSK_.num_named_barrier, 0
	.set _ZN7rocprim17ROCPRIM_400000_NS6detail17trampoline_kernelINS0_14default_configENS1_36segmented_radix_sort_config_selectorIalEEZNS1_25segmented_radix_sort_implIS3_Lb1EPKaPaPKlPlN2at6native12_GLOBAL__N_18offset_tEEE10hipError_tPvRmT1_PNSt15iterator_traitsISK_E10value_typeET2_T3_PNSL_ISQ_E10value_typeET4_jRbjT5_SW_jjP12ihipStream_tbEUlT_E0_NS1_11comp_targetILNS1_3genE10ELNS1_11target_archE1200ELNS1_3gpuE4ELNS1_3repE0EEENS1_60segmented_radix_sort_warp_sort_medium_config_static_selectorELNS0_4arch9wavefront6targetE0EEEvSK_.private_seg_size, 0
	.set _ZN7rocprim17ROCPRIM_400000_NS6detail17trampoline_kernelINS0_14default_configENS1_36segmented_radix_sort_config_selectorIalEEZNS1_25segmented_radix_sort_implIS3_Lb1EPKaPaPKlPlN2at6native12_GLOBAL__N_18offset_tEEE10hipError_tPvRmT1_PNSt15iterator_traitsISK_E10value_typeET2_T3_PNSL_ISQ_E10value_typeET4_jRbjT5_SW_jjP12ihipStream_tbEUlT_E0_NS1_11comp_targetILNS1_3genE10ELNS1_11target_archE1200ELNS1_3gpuE4ELNS1_3repE0EEENS1_60segmented_radix_sort_warp_sort_medium_config_static_selectorELNS0_4arch9wavefront6targetE0EEEvSK_.uses_vcc, 0
	.set _ZN7rocprim17ROCPRIM_400000_NS6detail17trampoline_kernelINS0_14default_configENS1_36segmented_radix_sort_config_selectorIalEEZNS1_25segmented_radix_sort_implIS3_Lb1EPKaPaPKlPlN2at6native12_GLOBAL__N_18offset_tEEE10hipError_tPvRmT1_PNSt15iterator_traitsISK_E10value_typeET2_T3_PNSL_ISQ_E10value_typeET4_jRbjT5_SW_jjP12ihipStream_tbEUlT_E0_NS1_11comp_targetILNS1_3genE10ELNS1_11target_archE1200ELNS1_3gpuE4ELNS1_3repE0EEENS1_60segmented_radix_sort_warp_sort_medium_config_static_selectorELNS0_4arch9wavefront6targetE0EEEvSK_.uses_flat_scratch, 0
	.set _ZN7rocprim17ROCPRIM_400000_NS6detail17trampoline_kernelINS0_14default_configENS1_36segmented_radix_sort_config_selectorIalEEZNS1_25segmented_radix_sort_implIS3_Lb1EPKaPaPKlPlN2at6native12_GLOBAL__N_18offset_tEEE10hipError_tPvRmT1_PNSt15iterator_traitsISK_E10value_typeET2_T3_PNSL_ISQ_E10value_typeET4_jRbjT5_SW_jjP12ihipStream_tbEUlT_E0_NS1_11comp_targetILNS1_3genE10ELNS1_11target_archE1200ELNS1_3gpuE4ELNS1_3repE0EEENS1_60segmented_radix_sort_warp_sort_medium_config_static_selectorELNS0_4arch9wavefront6targetE0EEEvSK_.has_dyn_sized_stack, 0
	.set _ZN7rocprim17ROCPRIM_400000_NS6detail17trampoline_kernelINS0_14default_configENS1_36segmented_radix_sort_config_selectorIalEEZNS1_25segmented_radix_sort_implIS3_Lb1EPKaPaPKlPlN2at6native12_GLOBAL__N_18offset_tEEE10hipError_tPvRmT1_PNSt15iterator_traitsISK_E10value_typeET2_T3_PNSL_ISQ_E10value_typeET4_jRbjT5_SW_jjP12ihipStream_tbEUlT_E0_NS1_11comp_targetILNS1_3genE10ELNS1_11target_archE1200ELNS1_3gpuE4ELNS1_3repE0EEENS1_60segmented_radix_sort_warp_sort_medium_config_static_selectorELNS0_4arch9wavefront6targetE0EEEvSK_.has_recursion, 0
	.set _ZN7rocprim17ROCPRIM_400000_NS6detail17trampoline_kernelINS0_14default_configENS1_36segmented_radix_sort_config_selectorIalEEZNS1_25segmented_radix_sort_implIS3_Lb1EPKaPaPKlPlN2at6native12_GLOBAL__N_18offset_tEEE10hipError_tPvRmT1_PNSt15iterator_traitsISK_E10value_typeET2_T3_PNSL_ISQ_E10value_typeET4_jRbjT5_SW_jjP12ihipStream_tbEUlT_E0_NS1_11comp_targetILNS1_3genE10ELNS1_11target_archE1200ELNS1_3gpuE4ELNS1_3repE0EEENS1_60segmented_radix_sort_warp_sort_medium_config_static_selectorELNS0_4arch9wavefront6targetE0EEEvSK_.has_indirect_call, 0
	.section	.AMDGPU.csdata,"",@progbits
; Kernel info:
; codeLenInByte = 0
; TotalNumSgprs: 0
; NumVgprs: 0
; ScratchSize: 0
; MemoryBound: 0
; FloatMode: 240
; IeeeMode: 1
; LDSByteSize: 0 bytes/workgroup (compile time only)
; SGPRBlocks: 0
; VGPRBlocks: 0
; NumSGPRsForWavesPerEU: 1
; NumVGPRsForWavesPerEU: 1
; NamedBarCnt: 0
; Occupancy: 16
; WaveLimiterHint : 0
; COMPUTE_PGM_RSRC2:SCRATCH_EN: 0
; COMPUTE_PGM_RSRC2:USER_SGPR: 2
; COMPUTE_PGM_RSRC2:TRAP_HANDLER: 0
; COMPUTE_PGM_RSRC2:TGID_X_EN: 1
; COMPUTE_PGM_RSRC2:TGID_Y_EN: 0
; COMPUTE_PGM_RSRC2:TGID_Z_EN: 0
; COMPUTE_PGM_RSRC2:TIDIG_COMP_CNT: 0
	.section	.text._ZN7rocprim17ROCPRIM_400000_NS6detail17trampoline_kernelINS0_14default_configENS1_36segmented_radix_sort_config_selectorIalEEZNS1_25segmented_radix_sort_implIS3_Lb1EPKaPaPKlPlN2at6native12_GLOBAL__N_18offset_tEEE10hipError_tPvRmT1_PNSt15iterator_traitsISK_E10value_typeET2_T3_PNSL_ISQ_E10value_typeET4_jRbjT5_SW_jjP12ihipStream_tbEUlT_E0_NS1_11comp_targetILNS1_3genE9ELNS1_11target_archE1100ELNS1_3gpuE3ELNS1_3repE0EEENS1_60segmented_radix_sort_warp_sort_medium_config_static_selectorELNS0_4arch9wavefront6targetE0EEEvSK_,"axG",@progbits,_ZN7rocprim17ROCPRIM_400000_NS6detail17trampoline_kernelINS0_14default_configENS1_36segmented_radix_sort_config_selectorIalEEZNS1_25segmented_radix_sort_implIS3_Lb1EPKaPaPKlPlN2at6native12_GLOBAL__N_18offset_tEEE10hipError_tPvRmT1_PNSt15iterator_traitsISK_E10value_typeET2_T3_PNSL_ISQ_E10value_typeET4_jRbjT5_SW_jjP12ihipStream_tbEUlT_E0_NS1_11comp_targetILNS1_3genE9ELNS1_11target_archE1100ELNS1_3gpuE3ELNS1_3repE0EEENS1_60segmented_radix_sort_warp_sort_medium_config_static_selectorELNS0_4arch9wavefront6targetE0EEEvSK_,comdat
	.globl	_ZN7rocprim17ROCPRIM_400000_NS6detail17trampoline_kernelINS0_14default_configENS1_36segmented_radix_sort_config_selectorIalEEZNS1_25segmented_radix_sort_implIS3_Lb1EPKaPaPKlPlN2at6native12_GLOBAL__N_18offset_tEEE10hipError_tPvRmT1_PNSt15iterator_traitsISK_E10value_typeET2_T3_PNSL_ISQ_E10value_typeET4_jRbjT5_SW_jjP12ihipStream_tbEUlT_E0_NS1_11comp_targetILNS1_3genE9ELNS1_11target_archE1100ELNS1_3gpuE3ELNS1_3repE0EEENS1_60segmented_radix_sort_warp_sort_medium_config_static_selectorELNS0_4arch9wavefront6targetE0EEEvSK_ ; -- Begin function _ZN7rocprim17ROCPRIM_400000_NS6detail17trampoline_kernelINS0_14default_configENS1_36segmented_radix_sort_config_selectorIalEEZNS1_25segmented_radix_sort_implIS3_Lb1EPKaPaPKlPlN2at6native12_GLOBAL__N_18offset_tEEE10hipError_tPvRmT1_PNSt15iterator_traitsISK_E10value_typeET2_T3_PNSL_ISQ_E10value_typeET4_jRbjT5_SW_jjP12ihipStream_tbEUlT_E0_NS1_11comp_targetILNS1_3genE9ELNS1_11target_archE1100ELNS1_3gpuE3ELNS1_3repE0EEENS1_60segmented_radix_sort_warp_sort_medium_config_static_selectorELNS0_4arch9wavefront6targetE0EEEvSK_
	.p2align	8
	.type	_ZN7rocprim17ROCPRIM_400000_NS6detail17trampoline_kernelINS0_14default_configENS1_36segmented_radix_sort_config_selectorIalEEZNS1_25segmented_radix_sort_implIS3_Lb1EPKaPaPKlPlN2at6native12_GLOBAL__N_18offset_tEEE10hipError_tPvRmT1_PNSt15iterator_traitsISK_E10value_typeET2_T3_PNSL_ISQ_E10value_typeET4_jRbjT5_SW_jjP12ihipStream_tbEUlT_E0_NS1_11comp_targetILNS1_3genE9ELNS1_11target_archE1100ELNS1_3gpuE3ELNS1_3repE0EEENS1_60segmented_radix_sort_warp_sort_medium_config_static_selectorELNS0_4arch9wavefront6targetE0EEEvSK_,@function
_ZN7rocprim17ROCPRIM_400000_NS6detail17trampoline_kernelINS0_14default_configENS1_36segmented_radix_sort_config_selectorIalEEZNS1_25segmented_radix_sort_implIS3_Lb1EPKaPaPKlPlN2at6native12_GLOBAL__N_18offset_tEEE10hipError_tPvRmT1_PNSt15iterator_traitsISK_E10value_typeET2_T3_PNSL_ISQ_E10value_typeET4_jRbjT5_SW_jjP12ihipStream_tbEUlT_E0_NS1_11comp_targetILNS1_3genE9ELNS1_11target_archE1100ELNS1_3gpuE3ELNS1_3repE0EEENS1_60segmented_radix_sort_warp_sort_medium_config_static_selectorELNS0_4arch9wavefront6targetE0EEEvSK_: ; @_ZN7rocprim17ROCPRIM_400000_NS6detail17trampoline_kernelINS0_14default_configENS1_36segmented_radix_sort_config_selectorIalEEZNS1_25segmented_radix_sort_implIS3_Lb1EPKaPaPKlPlN2at6native12_GLOBAL__N_18offset_tEEE10hipError_tPvRmT1_PNSt15iterator_traitsISK_E10value_typeET2_T3_PNSL_ISQ_E10value_typeET4_jRbjT5_SW_jjP12ihipStream_tbEUlT_E0_NS1_11comp_targetILNS1_3genE9ELNS1_11target_archE1100ELNS1_3gpuE3ELNS1_3repE0EEENS1_60segmented_radix_sort_warp_sort_medium_config_static_selectorELNS0_4arch9wavefront6targetE0EEEvSK_
; %bb.0:
	.section	.rodata,"a",@progbits
	.p2align	6, 0x0
	.amdhsa_kernel _ZN7rocprim17ROCPRIM_400000_NS6detail17trampoline_kernelINS0_14default_configENS1_36segmented_radix_sort_config_selectorIalEEZNS1_25segmented_radix_sort_implIS3_Lb1EPKaPaPKlPlN2at6native12_GLOBAL__N_18offset_tEEE10hipError_tPvRmT1_PNSt15iterator_traitsISK_E10value_typeET2_T3_PNSL_ISQ_E10value_typeET4_jRbjT5_SW_jjP12ihipStream_tbEUlT_E0_NS1_11comp_targetILNS1_3genE9ELNS1_11target_archE1100ELNS1_3gpuE3ELNS1_3repE0EEENS1_60segmented_radix_sort_warp_sort_medium_config_static_selectorELNS0_4arch9wavefront6targetE0EEEvSK_
		.amdhsa_group_segment_fixed_size 0
		.amdhsa_private_segment_fixed_size 0
		.amdhsa_kernarg_size 88
		.amdhsa_user_sgpr_count 2
		.amdhsa_user_sgpr_dispatch_ptr 0
		.amdhsa_user_sgpr_queue_ptr 0
		.amdhsa_user_sgpr_kernarg_segment_ptr 1
		.amdhsa_user_sgpr_dispatch_id 0
		.amdhsa_user_sgpr_kernarg_preload_length 0
		.amdhsa_user_sgpr_kernarg_preload_offset 0
		.amdhsa_user_sgpr_private_segment_size 0
		.amdhsa_wavefront_size32 1
		.amdhsa_uses_dynamic_stack 0
		.amdhsa_enable_private_segment 0
		.amdhsa_system_sgpr_workgroup_id_x 1
		.amdhsa_system_sgpr_workgroup_id_y 0
		.amdhsa_system_sgpr_workgroup_id_z 0
		.amdhsa_system_sgpr_workgroup_info 0
		.amdhsa_system_vgpr_workitem_id 0
		.amdhsa_next_free_vgpr 1
		.amdhsa_next_free_sgpr 1
		.amdhsa_named_barrier_count 0
		.amdhsa_reserve_vcc 0
		.amdhsa_float_round_mode_32 0
		.amdhsa_float_round_mode_16_64 0
		.amdhsa_float_denorm_mode_32 3
		.amdhsa_float_denorm_mode_16_64 3
		.amdhsa_fp16_overflow 0
		.amdhsa_memory_ordered 1
		.amdhsa_forward_progress 1
		.amdhsa_inst_pref_size 0
		.amdhsa_round_robin_scheduling 0
		.amdhsa_exception_fp_ieee_invalid_op 0
		.amdhsa_exception_fp_denorm_src 0
		.amdhsa_exception_fp_ieee_div_zero 0
		.amdhsa_exception_fp_ieee_overflow 0
		.amdhsa_exception_fp_ieee_underflow 0
		.amdhsa_exception_fp_ieee_inexact 0
		.amdhsa_exception_int_div_zero 0
	.end_amdhsa_kernel
	.section	.text._ZN7rocprim17ROCPRIM_400000_NS6detail17trampoline_kernelINS0_14default_configENS1_36segmented_radix_sort_config_selectorIalEEZNS1_25segmented_radix_sort_implIS3_Lb1EPKaPaPKlPlN2at6native12_GLOBAL__N_18offset_tEEE10hipError_tPvRmT1_PNSt15iterator_traitsISK_E10value_typeET2_T3_PNSL_ISQ_E10value_typeET4_jRbjT5_SW_jjP12ihipStream_tbEUlT_E0_NS1_11comp_targetILNS1_3genE9ELNS1_11target_archE1100ELNS1_3gpuE3ELNS1_3repE0EEENS1_60segmented_radix_sort_warp_sort_medium_config_static_selectorELNS0_4arch9wavefront6targetE0EEEvSK_,"axG",@progbits,_ZN7rocprim17ROCPRIM_400000_NS6detail17trampoline_kernelINS0_14default_configENS1_36segmented_radix_sort_config_selectorIalEEZNS1_25segmented_radix_sort_implIS3_Lb1EPKaPaPKlPlN2at6native12_GLOBAL__N_18offset_tEEE10hipError_tPvRmT1_PNSt15iterator_traitsISK_E10value_typeET2_T3_PNSL_ISQ_E10value_typeET4_jRbjT5_SW_jjP12ihipStream_tbEUlT_E0_NS1_11comp_targetILNS1_3genE9ELNS1_11target_archE1100ELNS1_3gpuE3ELNS1_3repE0EEENS1_60segmented_radix_sort_warp_sort_medium_config_static_selectorELNS0_4arch9wavefront6targetE0EEEvSK_,comdat
.Lfunc_end306:
	.size	_ZN7rocprim17ROCPRIM_400000_NS6detail17trampoline_kernelINS0_14default_configENS1_36segmented_radix_sort_config_selectorIalEEZNS1_25segmented_radix_sort_implIS3_Lb1EPKaPaPKlPlN2at6native12_GLOBAL__N_18offset_tEEE10hipError_tPvRmT1_PNSt15iterator_traitsISK_E10value_typeET2_T3_PNSL_ISQ_E10value_typeET4_jRbjT5_SW_jjP12ihipStream_tbEUlT_E0_NS1_11comp_targetILNS1_3genE9ELNS1_11target_archE1100ELNS1_3gpuE3ELNS1_3repE0EEENS1_60segmented_radix_sort_warp_sort_medium_config_static_selectorELNS0_4arch9wavefront6targetE0EEEvSK_, .Lfunc_end306-_ZN7rocprim17ROCPRIM_400000_NS6detail17trampoline_kernelINS0_14default_configENS1_36segmented_radix_sort_config_selectorIalEEZNS1_25segmented_radix_sort_implIS3_Lb1EPKaPaPKlPlN2at6native12_GLOBAL__N_18offset_tEEE10hipError_tPvRmT1_PNSt15iterator_traitsISK_E10value_typeET2_T3_PNSL_ISQ_E10value_typeET4_jRbjT5_SW_jjP12ihipStream_tbEUlT_E0_NS1_11comp_targetILNS1_3genE9ELNS1_11target_archE1100ELNS1_3gpuE3ELNS1_3repE0EEENS1_60segmented_radix_sort_warp_sort_medium_config_static_selectorELNS0_4arch9wavefront6targetE0EEEvSK_
                                        ; -- End function
	.set _ZN7rocprim17ROCPRIM_400000_NS6detail17trampoline_kernelINS0_14default_configENS1_36segmented_radix_sort_config_selectorIalEEZNS1_25segmented_radix_sort_implIS3_Lb1EPKaPaPKlPlN2at6native12_GLOBAL__N_18offset_tEEE10hipError_tPvRmT1_PNSt15iterator_traitsISK_E10value_typeET2_T3_PNSL_ISQ_E10value_typeET4_jRbjT5_SW_jjP12ihipStream_tbEUlT_E0_NS1_11comp_targetILNS1_3genE9ELNS1_11target_archE1100ELNS1_3gpuE3ELNS1_3repE0EEENS1_60segmented_radix_sort_warp_sort_medium_config_static_selectorELNS0_4arch9wavefront6targetE0EEEvSK_.num_vgpr, 0
	.set _ZN7rocprim17ROCPRIM_400000_NS6detail17trampoline_kernelINS0_14default_configENS1_36segmented_radix_sort_config_selectorIalEEZNS1_25segmented_radix_sort_implIS3_Lb1EPKaPaPKlPlN2at6native12_GLOBAL__N_18offset_tEEE10hipError_tPvRmT1_PNSt15iterator_traitsISK_E10value_typeET2_T3_PNSL_ISQ_E10value_typeET4_jRbjT5_SW_jjP12ihipStream_tbEUlT_E0_NS1_11comp_targetILNS1_3genE9ELNS1_11target_archE1100ELNS1_3gpuE3ELNS1_3repE0EEENS1_60segmented_radix_sort_warp_sort_medium_config_static_selectorELNS0_4arch9wavefront6targetE0EEEvSK_.num_agpr, 0
	.set _ZN7rocprim17ROCPRIM_400000_NS6detail17trampoline_kernelINS0_14default_configENS1_36segmented_radix_sort_config_selectorIalEEZNS1_25segmented_radix_sort_implIS3_Lb1EPKaPaPKlPlN2at6native12_GLOBAL__N_18offset_tEEE10hipError_tPvRmT1_PNSt15iterator_traitsISK_E10value_typeET2_T3_PNSL_ISQ_E10value_typeET4_jRbjT5_SW_jjP12ihipStream_tbEUlT_E0_NS1_11comp_targetILNS1_3genE9ELNS1_11target_archE1100ELNS1_3gpuE3ELNS1_3repE0EEENS1_60segmented_radix_sort_warp_sort_medium_config_static_selectorELNS0_4arch9wavefront6targetE0EEEvSK_.numbered_sgpr, 0
	.set _ZN7rocprim17ROCPRIM_400000_NS6detail17trampoline_kernelINS0_14default_configENS1_36segmented_radix_sort_config_selectorIalEEZNS1_25segmented_radix_sort_implIS3_Lb1EPKaPaPKlPlN2at6native12_GLOBAL__N_18offset_tEEE10hipError_tPvRmT1_PNSt15iterator_traitsISK_E10value_typeET2_T3_PNSL_ISQ_E10value_typeET4_jRbjT5_SW_jjP12ihipStream_tbEUlT_E0_NS1_11comp_targetILNS1_3genE9ELNS1_11target_archE1100ELNS1_3gpuE3ELNS1_3repE0EEENS1_60segmented_radix_sort_warp_sort_medium_config_static_selectorELNS0_4arch9wavefront6targetE0EEEvSK_.num_named_barrier, 0
	.set _ZN7rocprim17ROCPRIM_400000_NS6detail17trampoline_kernelINS0_14default_configENS1_36segmented_radix_sort_config_selectorIalEEZNS1_25segmented_radix_sort_implIS3_Lb1EPKaPaPKlPlN2at6native12_GLOBAL__N_18offset_tEEE10hipError_tPvRmT1_PNSt15iterator_traitsISK_E10value_typeET2_T3_PNSL_ISQ_E10value_typeET4_jRbjT5_SW_jjP12ihipStream_tbEUlT_E0_NS1_11comp_targetILNS1_3genE9ELNS1_11target_archE1100ELNS1_3gpuE3ELNS1_3repE0EEENS1_60segmented_radix_sort_warp_sort_medium_config_static_selectorELNS0_4arch9wavefront6targetE0EEEvSK_.private_seg_size, 0
	.set _ZN7rocprim17ROCPRIM_400000_NS6detail17trampoline_kernelINS0_14default_configENS1_36segmented_radix_sort_config_selectorIalEEZNS1_25segmented_radix_sort_implIS3_Lb1EPKaPaPKlPlN2at6native12_GLOBAL__N_18offset_tEEE10hipError_tPvRmT1_PNSt15iterator_traitsISK_E10value_typeET2_T3_PNSL_ISQ_E10value_typeET4_jRbjT5_SW_jjP12ihipStream_tbEUlT_E0_NS1_11comp_targetILNS1_3genE9ELNS1_11target_archE1100ELNS1_3gpuE3ELNS1_3repE0EEENS1_60segmented_radix_sort_warp_sort_medium_config_static_selectorELNS0_4arch9wavefront6targetE0EEEvSK_.uses_vcc, 0
	.set _ZN7rocprim17ROCPRIM_400000_NS6detail17trampoline_kernelINS0_14default_configENS1_36segmented_radix_sort_config_selectorIalEEZNS1_25segmented_radix_sort_implIS3_Lb1EPKaPaPKlPlN2at6native12_GLOBAL__N_18offset_tEEE10hipError_tPvRmT1_PNSt15iterator_traitsISK_E10value_typeET2_T3_PNSL_ISQ_E10value_typeET4_jRbjT5_SW_jjP12ihipStream_tbEUlT_E0_NS1_11comp_targetILNS1_3genE9ELNS1_11target_archE1100ELNS1_3gpuE3ELNS1_3repE0EEENS1_60segmented_radix_sort_warp_sort_medium_config_static_selectorELNS0_4arch9wavefront6targetE0EEEvSK_.uses_flat_scratch, 0
	.set _ZN7rocprim17ROCPRIM_400000_NS6detail17trampoline_kernelINS0_14default_configENS1_36segmented_radix_sort_config_selectorIalEEZNS1_25segmented_radix_sort_implIS3_Lb1EPKaPaPKlPlN2at6native12_GLOBAL__N_18offset_tEEE10hipError_tPvRmT1_PNSt15iterator_traitsISK_E10value_typeET2_T3_PNSL_ISQ_E10value_typeET4_jRbjT5_SW_jjP12ihipStream_tbEUlT_E0_NS1_11comp_targetILNS1_3genE9ELNS1_11target_archE1100ELNS1_3gpuE3ELNS1_3repE0EEENS1_60segmented_radix_sort_warp_sort_medium_config_static_selectorELNS0_4arch9wavefront6targetE0EEEvSK_.has_dyn_sized_stack, 0
	.set _ZN7rocprim17ROCPRIM_400000_NS6detail17trampoline_kernelINS0_14default_configENS1_36segmented_radix_sort_config_selectorIalEEZNS1_25segmented_radix_sort_implIS3_Lb1EPKaPaPKlPlN2at6native12_GLOBAL__N_18offset_tEEE10hipError_tPvRmT1_PNSt15iterator_traitsISK_E10value_typeET2_T3_PNSL_ISQ_E10value_typeET4_jRbjT5_SW_jjP12ihipStream_tbEUlT_E0_NS1_11comp_targetILNS1_3genE9ELNS1_11target_archE1100ELNS1_3gpuE3ELNS1_3repE0EEENS1_60segmented_radix_sort_warp_sort_medium_config_static_selectorELNS0_4arch9wavefront6targetE0EEEvSK_.has_recursion, 0
	.set _ZN7rocprim17ROCPRIM_400000_NS6detail17trampoline_kernelINS0_14default_configENS1_36segmented_radix_sort_config_selectorIalEEZNS1_25segmented_radix_sort_implIS3_Lb1EPKaPaPKlPlN2at6native12_GLOBAL__N_18offset_tEEE10hipError_tPvRmT1_PNSt15iterator_traitsISK_E10value_typeET2_T3_PNSL_ISQ_E10value_typeET4_jRbjT5_SW_jjP12ihipStream_tbEUlT_E0_NS1_11comp_targetILNS1_3genE9ELNS1_11target_archE1100ELNS1_3gpuE3ELNS1_3repE0EEENS1_60segmented_radix_sort_warp_sort_medium_config_static_selectorELNS0_4arch9wavefront6targetE0EEEvSK_.has_indirect_call, 0
	.section	.AMDGPU.csdata,"",@progbits
; Kernel info:
; codeLenInByte = 0
; TotalNumSgprs: 0
; NumVgprs: 0
; ScratchSize: 0
; MemoryBound: 0
; FloatMode: 240
; IeeeMode: 1
; LDSByteSize: 0 bytes/workgroup (compile time only)
; SGPRBlocks: 0
; VGPRBlocks: 0
; NumSGPRsForWavesPerEU: 1
; NumVGPRsForWavesPerEU: 1
; NamedBarCnt: 0
; Occupancy: 16
; WaveLimiterHint : 0
; COMPUTE_PGM_RSRC2:SCRATCH_EN: 0
; COMPUTE_PGM_RSRC2:USER_SGPR: 2
; COMPUTE_PGM_RSRC2:TRAP_HANDLER: 0
; COMPUTE_PGM_RSRC2:TGID_X_EN: 1
; COMPUTE_PGM_RSRC2:TGID_Y_EN: 0
; COMPUTE_PGM_RSRC2:TGID_Z_EN: 0
; COMPUTE_PGM_RSRC2:TIDIG_COMP_CNT: 0
	.section	.text._ZN7rocprim17ROCPRIM_400000_NS6detail17trampoline_kernelINS0_14default_configENS1_36segmented_radix_sort_config_selectorIalEEZNS1_25segmented_radix_sort_implIS3_Lb1EPKaPaPKlPlN2at6native12_GLOBAL__N_18offset_tEEE10hipError_tPvRmT1_PNSt15iterator_traitsISK_E10value_typeET2_T3_PNSL_ISQ_E10value_typeET4_jRbjT5_SW_jjP12ihipStream_tbEUlT_E0_NS1_11comp_targetILNS1_3genE8ELNS1_11target_archE1030ELNS1_3gpuE2ELNS1_3repE0EEENS1_60segmented_radix_sort_warp_sort_medium_config_static_selectorELNS0_4arch9wavefront6targetE0EEEvSK_,"axG",@progbits,_ZN7rocprim17ROCPRIM_400000_NS6detail17trampoline_kernelINS0_14default_configENS1_36segmented_radix_sort_config_selectorIalEEZNS1_25segmented_radix_sort_implIS3_Lb1EPKaPaPKlPlN2at6native12_GLOBAL__N_18offset_tEEE10hipError_tPvRmT1_PNSt15iterator_traitsISK_E10value_typeET2_T3_PNSL_ISQ_E10value_typeET4_jRbjT5_SW_jjP12ihipStream_tbEUlT_E0_NS1_11comp_targetILNS1_3genE8ELNS1_11target_archE1030ELNS1_3gpuE2ELNS1_3repE0EEENS1_60segmented_radix_sort_warp_sort_medium_config_static_selectorELNS0_4arch9wavefront6targetE0EEEvSK_,comdat
	.globl	_ZN7rocprim17ROCPRIM_400000_NS6detail17trampoline_kernelINS0_14default_configENS1_36segmented_radix_sort_config_selectorIalEEZNS1_25segmented_radix_sort_implIS3_Lb1EPKaPaPKlPlN2at6native12_GLOBAL__N_18offset_tEEE10hipError_tPvRmT1_PNSt15iterator_traitsISK_E10value_typeET2_T3_PNSL_ISQ_E10value_typeET4_jRbjT5_SW_jjP12ihipStream_tbEUlT_E0_NS1_11comp_targetILNS1_3genE8ELNS1_11target_archE1030ELNS1_3gpuE2ELNS1_3repE0EEENS1_60segmented_radix_sort_warp_sort_medium_config_static_selectorELNS0_4arch9wavefront6targetE0EEEvSK_ ; -- Begin function _ZN7rocprim17ROCPRIM_400000_NS6detail17trampoline_kernelINS0_14default_configENS1_36segmented_radix_sort_config_selectorIalEEZNS1_25segmented_radix_sort_implIS3_Lb1EPKaPaPKlPlN2at6native12_GLOBAL__N_18offset_tEEE10hipError_tPvRmT1_PNSt15iterator_traitsISK_E10value_typeET2_T3_PNSL_ISQ_E10value_typeET4_jRbjT5_SW_jjP12ihipStream_tbEUlT_E0_NS1_11comp_targetILNS1_3genE8ELNS1_11target_archE1030ELNS1_3gpuE2ELNS1_3repE0EEENS1_60segmented_radix_sort_warp_sort_medium_config_static_selectorELNS0_4arch9wavefront6targetE0EEEvSK_
	.p2align	8
	.type	_ZN7rocprim17ROCPRIM_400000_NS6detail17trampoline_kernelINS0_14default_configENS1_36segmented_radix_sort_config_selectorIalEEZNS1_25segmented_radix_sort_implIS3_Lb1EPKaPaPKlPlN2at6native12_GLOBAL__N_18offset_tEEE10hipError_tPvRmT1_PNSt15iterator_traitsISK_E10value_typeET2_T3_PNSL_ISQ_E10value_typeET4_jRbjT5_SW_jjP12ihipStream_tbEUlT_E0_NS1_11comp_targetILNS1_3genE8ELNS1_11target_archE1030ELNS1_3gpuE2ELNS1_3repE0EEENS1_60segmented_radix_sort_warp_sort_medium_config_static_selectorELNS0_4arch9wavefront6targetE0EEEvSK_,@function
_ZN7rocprim17ROCPRIM_400000_NS6detail17trampoline_kernelINS0_14default_configENS1_36segmented_radix_sort_config_selectorIalEEZNS1_25segmented_radix_sort_implIS3_Lb1EPKaPaPKlPlN2at6native12_GLOBAL__N_18offset_tEEE10hipError_tPvRmT1_PNSt15iterator_traitsISK_E10value_typeET2_T3_PNSL_ISQ_E10value_typeET4_jRbjT5_SW_jjP12ihipStream_tbEUlT_E0_NS1_11comp_targetILNS1_3genE8ELNS1_11target_archE1030ELNS1_3gpuE2ELNS1_3repE0EEENS1_60segmented_radix_sort_warp_sort_medium_config_static_selectorELNS0_4arch9wavefront6targetE0EEEvSK_: ; @_ZN7rocprim17ROCPRIM_400000_NS6detail17trampoline_kernelINS0_14default_configENS1_36segmented_radix_sort_config_selectorIalEEZNS1_25segmented_radix_sort_implIS3_Lb1EPKaPaPKlPlN2at6native12_GLOBAL__N_18offset_tEEE10hipError_tPvRmT1_PNSt15iterator_traitsISK_E10value_typeET2_T3_PNSL_ISQ_E10value_typeET4_jRbjT5_SW_jjP12ihipStream_tbEUlT_E0_NS1_11comp_targetILNS1_3genE8ELNS1_11target_archE1030ELNS1_3gpuE2ELNS1_3repE0EEENS1_60segmented_radix_sort_warp_sort_medium_config_static_selectorELNS0_4arch9wavefront6targetE0EEEvSK_
; %bb.0:
	.section	.rodata,"a",@progbits
	.p2align	6, 0x0
	.amdhsa_kernel _ZN7rocprim17ROCPRIM_400000_NS6detail17trampoline_kernelINS0_14default_configENS1_36segmented_radix_sort_config_selectorIalEEZNS1_25segmented_radix_sort_implIS3_Lb1EPKaPaPKlPlN2at6native12_GLOBAL__N_18offset_tEEE10hipError_tPvRmT1_PNSt15iterator_traitsISK_E10value_typeET2_T3_PNSL_ISQ_E10value_typeET4_jRbjT5_SW_jjP12ihipStream_tbEUlT_E0_NS1_11comp_targetILNS1_3genE8ELNS1_11target_archE1030ELNS1_3gpuE2ELNS1_3repE0EEENS1_60segmented_radix_sort_warp_sort_medium_config_static_selectorELNS0_4arch9wavefront6targetE0EEEvSK_
		.amdhsa_group_segment_fixed_size 0
		.amdhsa_private_segment_fixed_size 0
		.amdhsa_kernarg_size 88
		.amdhsa_user_sgpr_count 2
		.amdhsa_user_sgpr_dispatch_ptr 0
		.amdhsa_user_sgpr_queue_ptr 0
		.amdhsa_user_sgpr_kernarg_segment_ptr 1
		.amdhsa_user_sgpr_dispatch_id 0
		.amdhsa_user_sgpr_kernarg_preload_length 0
		.amdhsa_user_sgpr_kernarg_preload_offset 0
		.amdhsa_user_sgpr_private_segment_size 0
		.amdhsa_wavefront_size32 1
		.amdhsa_uses_dynamic_stack 0
		.amdhsa_enable_private_segment 0
		.amdhsa_system_sgpr_workgroup_id_x 1
		.amdhsa_system_sgpr_workgroup_id_y 0
		.amdhsa_system_sgpr_workgroup_id_z 0
		.amdhsa_system_sgpr_workgroup_info 0
		.amdhsa_system_vgpr_workitem_id 0
		.amdhsa_next_free_vgpr 1
		.amdhsa_next_free_sgpr 1
		.amdhsa_named_barrier_count 0
		.amdhsa_reserve_vcc 0
		.amdhsa_float_round_mode_32 0
		.amdhsa_float_round_mode_16_64 0
		.amdhsa_float_denorm_mode_32 3
		.amdhsa_float_denorm_mode_16_64 3
		.amdhsa_fp16_overflow 0
		.amdhsa_memory_ordered 1
		.amdhsa_forward_progress 1
		.amdhsa_inst_pref_size 0
		.amdhsa_round_robin_scheduling 0
		.amdhsa_exception_fp_ieee_invalid_op 0
		.amdhsa_exception_fp_denorm_src 0
		.amdhsa_exception_fp_ieee_div_zero 0
		.amdhsa_exception_fp_ieee_overflow 0
		.amdhsa_exception_fp_ieee_underflow 0
		.amdhsa_exception_fp_ieee_inexact 0
		.amdhsa_exception_int_div_zero 0
	.end_amdhsa_kernel
	.section	.text._ZN7rocprim17ROCPRIM_400000_NS6detail17trampoline_kernelINS0_14default_configENS1_36segmented_radix_sort_config_selectorIalEEZNS1_25segmented_radix_sort_implIS3_Lb1EPKaPaPKlPlN2at6native12_GLOBAL__N_18offset_tEEE10hipError_tPvRmT1_PNSt15iterator_traitsISK_E10value_typeET2_T3_PNSL_ISQ_E10value_typeET4_jRbjT5_SW_jjP12ihipStream_tbEUlT_E0_NS1_11comp_targetILNS1_3genE8ELNS1_11target_archE1030ELNS1_3gpuE2ELNS1_3repE0EEENS1_60segmented_radix_sort_warp_sort_medium_config_static_selectorELNS0_4arch9wavefront6targetE0EEEvSK_,"axG",@progbits,_ZN7rocprim17ROCPRIM_400000_NS6detail17trampoline_kernelINS0_14default_configENS1_36segmented_radix_sort_config_selectorIalEEZNS1_25segmented_radix_sort_implIS3_Lb1EPKaPaPKlPlN2at6native12_GLOBAL__N_18offset_tEEE10hipError_tPvRmT1_PNSt15iterator_traitsISK_E10value_typeET2_T3_PNSL_ISQ_E10value_typeET4_jRbjT5_SW_jjP12ihipStream_tbEUlT_E0_NS1_11comp_targetILNS1_3genE8ELNS1_11target_archE1030ELNS1_3gpuE2ELNS1_3repE0EEENS1_60segmented_radix_sort_warp_sort_medium_config_static_selectorELNS0_4arch9wavefront6targetE0EEEvSK_,comdat
.Lfunc_end307:
	.size	_ZN7rocprim17ROCPRIM_400000_NS6detail17trampoline_kernelINS0_14default_configENS1_36segmented_radix_sort_config_selectorIalEEZNS1_25segmented_radix_sort_implIS3_Lb1EPKaPaPKlPlN2at6native12_GLOBAL__N_18offset_tEEE10hipError_tPvRmT1_PNSt15iterator_traitsISK_E10value_typeET2_T3_PNSL_ISQ_E10value_typeET4_jRbjT5_SW_jjP12ihipStream_tbEUlT_E0_NS1_11comp_targetILNS1_3genE8ELNS1_11target_archE1030ELNS1_3gpuE2ELNS1_3repE0EEENS1_60segmented_radix_sort_warp_sort_medium_config_static_selectorELNS0_4arch9wavefront6targetE0EEEvSK_, .Lfunc_end307-_ZN7rocprim17ROCPRIM_400000_NS6detail17trampoline_kernelINS0_14default_configENS1_36segmented_radix_sort_config_selectorIalEEZNS1_25segmented_radix_sort_implIS3_Lb1EPKaPaPKlPlN2at6native12_GLOBAL__N_18offset_tEEE10hipError_tPvRmT1_PNSt15iterator_traitsISK_E10value_typeET2_T3_PNSL_ISQ_E10value_typeET4_jRbjT5_SW_jjP12ihipStream_tbEUlT_E0_NS1_11comp_targetILNS1_3genE8ELNS1_11target_archE1030ELNS1_3gpuE2ELNS1_3repE0EEENS1_60segmented_radix_sort_warp_sort_medium_config_static_selectorELNS0_4arch9wavefront6targetE0EEEvSK_
                                        ; -- End function
	.set _ZN7rocprim17ROCPRIM_400000_NS6detail17trampoline_kernelINS0_14default_configENS1_36segmented_radix_sort_config_selectorIalEEZNS1_25segmented_radix_sort_implIS3_Lb1EPKaPaPKlPlN2at6native12_GLOBAL__N_18offset_tEEE10hipError_tPvRmT1_PNSt15iterator_traitsISK_E10value_typeET2_T3_PNSL_ISQ_E10value_typeET4_jRbjT5_SW_jjP12ihipStream_tbEUlT_E0_NS1_11comp_targetILNS1_3genE8ELNS1_11target_archE1030ELNS1_3gpuE2ELNS1_3repE0EEENS1_60segmented_radix_sort_warp_sort_medium_config_static_selectorELNS0_4arch9wavefront6targetE0EEEvSK_.num_vgpr, 0
	.set _ZN7rocprim17ROCPRIM_400000_NS6detail17trampoline_kernelINS0_14default_configENS1_36segmented_radix_sort_config_selectorIalEEZNS1_25segmented_radix_sort_implIS3_Lb1EPKaPaPKlPlN2at6native12_GLOBAL__N_18offset_tEEE10hipError_tPvRmT1_PNSt15iterator_traitsISK_E10value_typeET2_T3_PNSL_ISQ_E10value_typeET4_jRbjT5_SW_jjP12ihipStream_tbEUlT_E0_NS1_11comp_targetILNS1_3genE8ELNS1_11target_archE1030ELNS1_3gpuE2ELNS1_3repE0EEENS1_60segmented_radix_sort_warp_sort_medium_config_static_selectorELNS0_4arch9wavefront6targetE0EEEvSK_.num_agpr, 0
	.set _ZN7rocprim17ROCPRIM_400000_NS6detail17trampoline_kernelINS0_14default_configENS1_36segmented_radix_sort_config_selectorIalEEZNS1_25segmented_radix_sort_implIS3_Lb1EPKaPaPKlPlN2at6native12_GLOBAL__N_18offset_tEEE10hipError_tPvRmT1_PNSt15iterator_traitsISK_E10value_typeET2_T3_PNSL_ISQ_E10value_typeET4_jRbjT5_SW_jjP12ihipStream_tbEUlT_E0_NS1_11comp_targetILNS1_3genE8ELNS1_11target_archE1030ELNS1_3gpuE2ELNS1_3repE0EEENS1_60segmented_radix_sort_warp_sort_medium_config_static_selectorELNS0_4arch9wavefront6targetE0EEEvSK_.numbered_sgpr, 0
	.set _ZN7rocprim17ROCPRIM_400000_NS6detail17trampoline_kernelINS0_14default_configENS1_36segmented_radix_sort_config_selectorIalEEZNS1_25segmented_radix_sort_implIS3_Lb1EPKaPaPKlPlN2at6native12_GLOBAL__N_18offset_tEEE10hipError_tPvRmT1_PNSt15iterator_traitsISK_E10value_typeET2_T3_PNSL_ISQ_E10value_typeET4_jRbjT5_SW_jjP12ihipStream_tbEUlT_E0_NS1_11comp_targetILNS1_3genE8ELNS1_11target_archE1030ELNS1_3gpuE2ELNS1_3repE0EEENS1_60segmented_radix_sort_warp_sort_medium_config_static_selectorELNS0_4arch9wavefront6targetE0EEEvSK_.num_named_barrier, 0
	.set _ZN7rocprim17ROCPRIM_400000_NS6detail17trampoline_kernelINS0_14default_configENS1_36segmented_radix_sort_config_selectorIalEEZNS1_25segmented_radix_sort_implIS3_Lb1EPKaPaPKlPlN2at6native12_GLOBAL__N_18offset_tEEE10hipError_tPvRmT1_PNSt15iterator_traitsISK_E10value_typeET2_T3_PNSL_ISQ_E10value_typeET4_jRbjT5_SW_jjP12ihipStream_tbEUlT_E0_NS1_11comp_targetILNS1_3genE8ELNS1_11target_archE1030ELNS1_3gpuE2ELNS1_3repE0EEENS1_60segmented_radix_sort_warp_sort_medium_config_static_selectorELNS0_4arch9wavefront6targetE0EEEvSK_.private_seg_size, 0
	.set _ZN7rocprim17ROCPRIM_400000_NS6detail17trampoline_kernelINS0_14default_configENS1_36segmented_radix_sort_config_selectorIalEEZNS1_25segmented_radix_sort_implIS3_Lb1EPKaPaPKlPlN2at6native12_GLOBAL__N_18offset_tEEE10hipError_tPvRmT1_PNSt15iterator_traitsISK_E10value_typeET2_T3_PNSL_ISQ_E10value_typeET4_jRbjT5_SW_jjP12ihipStream_tbEUlT_E0_NS1_11comp_targetILNS1_3genE8ELNS1_11target_archE1030ELNS1_3gpuE2ELNS1_3repE0EEENS1_60segmented_radix_sort_warp_sort_medium_config_static_selectorELNS0_4arch9wavefront6targetE0EEEvSK_.uses_vcc, 0
	.set _ZN7rocprim17ROCPRIM_400000_NS6detail17trampoline_kernelINS0_14default_configENS1_36segmented_radix_sort_config_selectorIalEEZNS1_25segmented_radix_sort_implIS3_Lb1EPKaPaPKlPlN2at6native12_GLOBAL__N_18offset_tEEE10hipError_tPvRmT1_PNSt15iterator_traitsISK_E10value_typeET2_T3_PNSL_ISQ_E10value_typeET4_jRbjT5_SW_jjP12ihipStream_tbEUlT_E0_NS1_11comp_targetILNS1_3genE8ELNS1_11target_archE1030ELNS1_3gpuE2ELNS1_3repE0EEENS1_60segmented_radix_sort_warp_sort_medium_config_static_selectorELNS0_4arch9wavefront6targetE0EEEvSK_.uses_flat_scratch, 0
	.set _ZN7rocprim17ROCPRIM_400000_NS6detail17trampoline_kernelINS0_14default_configENS1_36segmented_radix_sort_config_selectorIalEEZNS1_25segmented_radix_sort_implIS3_Lb1EPKaPaPKlPlN2at6native12_GLOBAL__N_18offset_tEEE10hipError_tPvRmT1_PNSt15iterator_traitsISK_E10value_typeET2_T3_PNSL_ISQ_E10value_typeET4_jRbjT5_SW_jjP12ihipStream_tbEUlT_E0_NS1_11comp_targetILNS1_3genE8ELNS1_11target_archE1030ELNS1_3gpuE2ELNS1_3repE0EEENS1_60segmented_radix_sort_warp_sort_medium_config_static_selectorELNS0_4arch9wavefront6targetE0EEEvSK_.has_dyn_sized_stack, 0
	.set _ZN7rocprim17ROCPRIM_400000_NS6detail17trampoline_kernelINS0_14default_configENS1_36segmented_radix_sort_config_selectorIalEEZNS1_25segmented_radix_sort_implIS3_Lb1EPKaPaPKlPlN2at6native12_GLOBAL__N_18offset_tEEE10hipError_tPvRmT1_PNSt15iterator_traitsISK_E10value_typeET2_T3_PNSL_ISQ_E10value_typeET4_jRbjT5_SW_jjP12ihipStream_tbEUlT_E0_NS1_11comp_targetILNS1_3genE8ELNS1_11target_archE1030ELNS1_3gpuE2ELNS1_3repE0EEENS1_60segmented_radix_sort_warp_sort_medium_config_static_selectorELNS0_4arch9wavefront6targetE0EEEvSK_.has_recursion, 0
	.set _ZN7rocprim17ROCPRIM_400000_NS6detail17trampoline_kernelINS0_14default_configENS1_36segmented_radix_sort_config_selectorIalEEZNS1_25segmented_radix_sort_implIS3_Lb1EPKaPaPKlPlN2at6native12_GLOBAL__N_18offset_tEEE10hipError_tPvRmT1_PNSt15iterator_traitsISK_E10value_typeET2_T3_PNSL_ISQ_E10value_typeET4_jRbjT5_SW_jjP12ihipStream_tbEUlT_E0_NS1_11comp_targetILNS1_3genE8ELNS1_11target_archE1030ELNS1_3gpuE2ELNS1_3repE0EEENS1_60segmented_radix_sort_warp_sort_medium_config_static_selectorELNS0_4arch9wavefront6targetE0EEEvSK_.has_indirect_call, 0
	.section	.AMDGPU.csdata,"",@progbits
; Kernel info:
; codeLenInByte = 0
; TotalNumSgprs: 0
; NumVgprs: 0
; ScratchSize: 0
; MemoryBound: 0
; FloatMode: 240
; IeeeMode: 1
; LDSByteSize: 0 bytes/workgroup (compile time only)
; SGPRBlocks: 0
; VGPRBlocks: 0
; NumSGPRsForWavesPerEU: 1
; NumVGPRsForWavesPerEU: 1
; NamedBarCnt: 0
; Occupancy: 16
; WaveLimiterHint : 0
; COMPUTE_PGM_RSRC2:SCRATCH_EN: 0
; COMPUTE_PGM_RSRC2:USER_SGPR: 2
; COMPUTE_PGM_RSRC2:TRAP_HANDLER: 0
; COMPUTE_PGM_RSRC2:TGID_X_EN: 1
; COMPUTE_PGM_RSRC2:TGID_Y_EN: 0
; COMPUTE_PGM_RSRC2:TGID_Z_EN: 0
; COMPUTE_PGM_RSRC2:TIDIG_COMP_CNT: 0
	.section	.text._ZN7rocprim17ROCPRIM_400000_NS6detail17trampoline_kernelINS0_14default_configENS1_36segmented_radix_sort_config_selectorIalEEZNS1_25segmented_radix_sort_implIS3_Lb1EPKaPaPKlPlN2at6native12_GLOBAL__N_18offset_tEEE10hipError_tPvRmT1_PNSt15iterator_traitsISK_E10value_typeET2_T3_PNSL_ISQ_E10value_typeET4_jRbjT5_SW_jjP12ihipStream_tbEUlT_E1_NS1_11comp_targetILNS1_3genE0ELNS1_11target_archE4294967295ELNS1_3gpuE0ELNS1_3repE0EEENS1_59segmented_radix_sort_warp_sort_small_config_static_selectorELNS0_4arch9wavefront6targetE0EEEvSK_,"axG",@progbits,_ZN7rocprim17ROCPRIM_400000_NS6detail17trampoline_kernelINS0_14default_configENS1_36segmented_radix_sort_config_selectorIalEEZNS1_25segmented_radix_sort_implIS3_Lb1EPKaPaPKlPlN2at6native12_GLOBAL__N_18offset_tEEE10hipError_tPvRmT1_PNSt15iterator_traitsISK_E10value_typeET2_T3_PNSL_ISQ_E10value_typeET4_jRbjT5_SW_jjP12ihipStream_tbEUlT_E1_NS1_11comp_targetILNS1_3genE0ELNS1_11target_archE4294967295ELNS1_3gpuE0ELNS1_3repE0EEENS1_59segmented_radix_sort_warp_sort_small_config_static_selectorELNS0_4arch9wavefront6targetE0EEEvSK_,comdat
	.globl	_ZN7rocprim17ROCPRIM_400000_NS6detail17trampoline_kernelINS0_14default_configENS1_36segmented_radix_sort_config_selectorIalEEZNS1_25segmented_radix_sort_implIS3_Lb1EPKaPaPKlPlN2at6native12_GLOBAL__N_18offset_tEEE10hipError_tPvRmT1_PNSt15iterator_traitsISK_E10value_typeET2_T3_PNSL_ISQ_E10value_typeET4_jRbjT5_SW_jjP12ihipStream_tbEUlT_E1_NS1_11comp_targetILNS1_3genE0ELNS1_11target_archE4294967295ELNS1_3gpuE0ELNS1_3repE0EEENS1_59segmented_radix_sort_warp_sort_small_config_static_selectorELNS0_4arch9wavefront6targetE0EEEvSK_ ; -- Begin function _ZN7rocprim17ROCPRIM_400000_NS6detail17trampoline_kernelINS0_14default_configENS1_36segmented_radix_sort_config_selectorIalEEZNS1_25segmented_radix_sort_implIS3_Lb1EPKaPaPKlPlN2at6native12_GLOBAL__N_18offset_tEEE10hipError_tPvRmT1_PNSt15iterator_traitsISK_E10value_typeET2_T3_PNSL_ISQ_E10value_typeET4_jRbjT5_SW_jjP12ihipStream_tbEUlT_E1_NS1_11comp_targetILNS1_3genE0ELNS1_11target_archE4294967295ELNS1_3gpuE0ELNS1_3repE0EEENS1_59segmented_radix_sort_warp_sort_small_config_static_selectorELNS0_4arch9wavefront6targetE0EEEvSK_
	.p2align	8
	.type	_ZN7rocprim17ROCPRIM_400000_NS6detail17trampoline_kernelINS0_14default_configENS1_36segmented_radix_sort_config_selectorIalEEZNS1_25segmented_radix_sort_implIS3_Lb1EPKaPaPKlPlN2at6native12_GLOBAL__N_18offset_tEEE10hipError_tPvRmT1_PNSt15iterator_traitsISK_E10value_typeET2_T3_PNSL_ISQ_E10value_typeET4_jRbjT5_SW_jjP12ihipStream_tbEUlT_E1_NS1_11comp_targetILNS1_3genE0ELNS1_11target_archE4294967295ELNS1_3gpuE0ELNS1_3repE0EEENS1_59segmented_radix_sort_warp_sort_small_config_static_selectorELNS0_4arch9wavefront6targetE0EEEvSK_,@function
_ZN7rocprim17ROCPRIM_400000_NS6detail17trampoline_kernelINS0_14default_configENS1_36segmented_radix_sort_config_selectorIalEEZNS1_25segmented_radix_sort_implIS3_Lb1EPKaPaPKlPlN2at6native12_GLOBAL__N_18offset_tEEE10hipError_tPvRmT1_PNSt15iterator_traitsISK_E10value_typeET2_T3_PNSL_ISQ_E10value_typeET4_jRbjT5_SW_jjP12ihipStream_tbEUlT_E1_NS1_11comp_targetILNS1_3genE0ELNS1_11target_archE4294967295ELNS1_3gpuE0ELNS1_3repE0EEENS1_59segmented_radix_sort_warp_sort_small_config_static_selectorELNS0_4arch9wavefront6targetE0EEEvSK_: ; @_ZN7rocprim17ROCPRIM_400000_NS6detail17trampoline_kernelINS0_14default_configENS1_36segmented_radix_sort_config_selectorIalEEZNS1_25segmented_radix_sort_implIS3_Lb1EPKaPaPKlPlN2at6native12_GLOBAL__N_18offset_tEEE10hipError_tPvRmT1_PNSt15iterator_traitsISK_E10value_typeET2_T3_PNSL_ISQ_E10value_typeET4_jRbjT5_SW_jjP12ihipStream_tbEUlT_E1_NS1_11comp_targetILNS1_3genE0ELNS1_11target_archE4294967295ELNS1_3gpuE0ELNS1_3repE0EEENS1_59segmented_radix_sort_warp_sort_small_config_static_selectorELNS0_4arch9wavefront6targetE0EEEvSK_
; %bb.0:
	s_load_b32 s4, s[2:3], 0x64
	v_bfe_u32 v1, v0, 10, 10
	v_bfe_u32 v2, v0, 20, 10
	v_and_b32_e32 v3, 0x3ff, v0
	s_and_b32 s6, ttmp6, 15
	s_getreg_b32 s7, hwreg(HW_REG_IB_STS2, 6, 4)
	s_mov_b32 s32, 0
	s_wait_kmcnt 0x0
	s_lshr_b32 s5, s4, 16
	s_and_b32 s4, s4, 0xffff
	v_mad_u32_u24 v1, v2, s5, v1
	s_bfe_u32 s5, ttmp6, 0x4000c
	s_delay_alu instid0(SALU_CYCLE_1) | instskip(NEXT) | instid1(SALU_CYCLE_1)
	s_add_co_i32 s5, s5, 1
	s_mul_i32 s5, ttmp9, s5
	s_delay_alu instid0(VALU_DEP_1) | instskip(SKIP_4) | instid1(VALU_DEP_1)
	v_mad_u32 v1, v1, s4, v3
	s_load_b32 s4, s[2:3], 0x34
	s_add_co_i32 s6, s6, s5
	s_cmp_eq_u32 s7, 0
	s_cselect_b32 s5, ttmp9, s6
	v_lshrrev_b32_e32 v1, 5, v1
	s_delay_alu instid0(VALU_DEP_1) | instskip(SKIP_1) | instid1(VALU_DEP_1)
	v_lshl_add_u32 v2, s5, 3, v1
	s_wait_kmcnt 0x0
	v_cmp_gt_u32_e32 vcc_lo, s4, v2
	s_and_saveexec_b32 s4, vcc_lo
	s_cbranch_execz .LBB308_6
; %bb.1:
	s_clause 0x1
	s_load_b64 s[8:9], s[2:3], 0x38
	s_load_b128 s[4:7], s[2:3], 0x40
	v_mov_b32_e32 v3, 0
	s_delay_alu instid0(VALU_DEP_1) | instskip(SKIP_1) | instid1(VALU_DEP_1)
	v_lshlrev_b64_e32 v[2:3], 2, v[2:3]
	s_wait_kmcnt 0x0
	v_sub_nc_u64_e32 v[2:3], s[8:9], v[2:3]
	global_load_b32 v1, v[2:3], off offset:-4
	s_wait_loadcnt 0x0
	v_dual_add_nc_u32 v2, s5, v1 :: v_dual_add_nc_u32 v1, s7, v1
	s_delay_alu instid0(VALU_DEP_1) | instskip(NEXT) | instid1(VALU_DEP_2)
	v_mul_lo_u32 v8, v2, s4
	v_mul_lo_u32 v40, v1, s6
	s_delay_alu instid0(VALU_DEP_1)
	v_cmp_gt_u32_e32 vcc_lo, v40, v8
	s_and_b32 exec_lo, exec_lo, vcc_lo
	s_cbranch_execz .LBB308_6
; %bb.2:
	s_clause 0x3
	s_load_b32 s4, s[2:3], 0x30
	s_load_b128 s[36:39], s[2:3], 0x20
	s_load_b256 s[20:27], s[2:3], 0x0
	s_load_b64 s[18:19], s[2:3], 0x50
	s_add_nc_u64 s[16:17], s[2:3], 0x58
	s_get_pc_i64 s[28:29]
	s_add_nc_u64 s[28:29], s[28:29], _ZN7rocprim17ROCPRIM_400000_NS6detail26segmented_warp_sort_helperINS1_20WarpSortHelperConfigILj32ELj4ELj256EEEalLi256ELb1EvE4sortIPKaPaPKlPlEEvT_T0_T1_T2_jjjjRNS5_12storage_typeE@rel64+4
	s_wait_kmcnt 0x0
	s_bitcmp0_b32 s4, 0
	s_mov_b32 s4, -1
	s_cbranch_scc0 .LBB308_4
; %bb.3:
	s_mov_b64 s[2:3], src_shared_base
	v_dual_mov_b32 v31, v0 :: v_dual_mov_b32 v41, v0
	v_dual_mov_b32 v0, s20 :: v_dual_mov_b32 v1, s21
	;; [unrolled: 1-line block ×7, first 2 shown]
	v_mov_b32_e32 v13, s3
	s_mov_b64 s[6:7], s[0:1]
	s_mov_b64 s[8:9], s[16:17]
	;; [unrolled: 1-line block ×3, first 2 shown]
	s_swap_pc_i64 s[30:31], s[28:29]
	v_mov_b32_e32 v0, v41
	s_mov_b64 s[0:1], s[22:23]
	s_mov_b32 s4, 0
.LBB308_4:
	s_delay_alu instid0(SALU_CYCLE_1)
	s_and_not1_b32 vcc_lo, exec_lo, s4
	s_cbranch_vccnz .LBB308_6
; %bb.5:
	s_mov_b64 s[2:3], src_shared_base
	v_dual_mov_b32 v31, v0 :: v_dual_mov_b32 v0, s20
	v_dual_mov_b32 v1, s21 :: v_dual_mov_b32 v2, s24
	;; [unrolled: 1-line block ×7, first 2 shown]
	s_mov_b64 s[6:7], s[0:1]
	s_mov_b64 s[8:9], s[16:17]
	s_swap_pc_i64 s[30:31], s[28:29]
.LBB308_6:
	s_endpgm
	.section	.rodata,"a",@progbits
	.p2align	6, 0x0
	.amdhsa_kernel _ZN7rocprim17ROCPRIM_400000_NS6detail17trampoline_kernelINS0_14default_configENS1_36segmented_radix_sort_config_selectorIalEEZNS1_25segmented_radix_sort_implIS3_Lb1EPKaPaPKlPlN2at6native12_GLOBAL__N_18offset_tEEE10hipError_tPvRmT1_PNSt15iterator_traitsISK_E10value_typeET2_T3_PNSL_ISQ_E10value_typeET4_jRbjT5_SW_jjP12ihipStream_tbEUlT_E1_NS1_11comp_targetILNS1_3genE0ELNS1_11target_archE4294967295ELNS1_3gpuE0ELNS1_3repE0EEENS1_59segmented_radix_sort_warp_sort_small_config_static_selectorELNS0_4arch9wavefront6targetE0EEEvSK_
		.amdhsa_group_segment_fixed_size 9216
		.amdhsa_private_segment_fixed_size 0
		.amdhsa_kernarg_size 344
		.amdhsa_user_sgpr_count 4
		.amdhsa_user_sgpr_dispatch_ptr 0
		.amdhsa_user_sgpr_queue_ptr 1
		.amdhsa_user_sgpr_kernarg_segment_ptr 1
		.amdhsa_user_sgpr_dispatch_id 0
		.amdhsa_user_sgpr_kernarg_preload_length 0
		.amdhsa_user_sgpr_kernarg_preload_offset 0
		.amdhsa_user_sgpr_private_segment_size 0
		.amdhsa_wavefront_size32 1
		.amdhsa_uses_dynamic_stack 0
		.amdhsa_enable_private_segment 0
		.amdhsa_system_sgpr_workgroup_id_x 1
		.amdhsa_system_sgpr_workgroup_id_y 1
		.amdhsa_system_sgpr_workgroup_id_z 0
		.amdhsa_system_sgpr_workgroup_info 0
		.amdhsa_system_vgpr_workitem_id 2
		.amdhsa_next_free_vgpr 54
		.amdhsa_next_free_sgpr 40
		.amdhsa_named_barrier_count 0
		.amdhsa_reserve_vcc 1
		.amdhsa_float_round_mode_32 0
		.amdhsa_float_round_mode_16_64 0
		.amdhsa_float_denorm_mode_32 3
		.amdhsa_float_denorm_mode_16_64 3
		.amdhsa_fp16_overflow 0
		.amdhsa_memory_ordered 1
		.amdhsa_forward_progress 1
		.amdhsa_inst_pref_size 5
		.amdhsa_round_robin_scheduling 0
		.amdhsa_exception_fp_ieee_invalid_op 0
		.amdhsa_exception_fp_denorm_src 0
		.amdhsa_exception_fp_ieee_div_zero 0
		.amdhsa_exception_fp_ieee_overflow 0
		.amdhsa_exception_fp_ieee_underflow 0
		.amdhsa_exception_fp_ieee_inexact 0
		.amdhsa_exception_int_div_zero 0
	.end_amdhsa_kernel
	.section	.text._ZN7rocprim17ROCPRIM_400000_NS6detail17trampoline_kernelINS0_14default_configENS1_36segmented_radix_sort_config_selectorIalEEZNS1_25segmented_radix_sort_implIS3_Lb1EPKaPaPKlPlN2at6native12_GLOBAL__N_18offset_tEEE10hipError_tPvRmT1_PNSt15iterator_traitsISK_E10value_typeET2_T3_PNSL_ISQ_E10value_typeET4_jRbjT5_SW_jjP12ihipStream_tbEUlT_E1_NS1_11comp_targetILNS1_3genE0ELNS1_11target_archE4294967295ELNS1_3gpuE0ELNS1_3repE0EEENS1_59segmented_radix_sort_warp_sort_small_config_static_selectorELNS0_4arch9wavefront6targetE0EEEvSK_,"axG",@progbits,_ZN7rocprim17ROCPRIM_400000_NS6detail17trampoline_kernelINS0_14default_configENS1_36segmented_radix_sort_config_selectorIalEEZNS1_25segmented_radix_sort_implIS3_Lb1EPKaPaPKlPlN2at6native12_GLOBAL__N_18offset_tEEE10hipError_tPvRmT1_PNSt15iterator_traitsISK_E10value_typeET2_T3_PNSL_ISQ_E10value_typeET4_jRbjT5_SW_jjP12ihipStream_tbEUlT_E1_NS1_11comp_targetILNS1_3genE0ELNS1_11target_archE4294967295ELNS1_3gpuE0ELNS1_3repE0EEENS1_59segmented_radix_sort_warp_sort_small_config_static_selectorELNS0_4arch9wavefront6targetE0EEEvSK_,comdat
.Lfunc_end308:
	.size	_ZN7rocprim17ROCPRIM_400000_NS6detail17trampoline_kernelINS0_14default_configENS1_36segmented_radix_sort_config_selectorIalEEZNS1_25segmented_radix_sort_implIS3_Lb1EPKaPaPKlPlN2at6native12_GLOBAL__N_18offset_tEEE10hipError_tPvRmT1_PNSt15iterator_traitsISK_E10value_typeET2_T3_PNSL_ISQ_E10value_typeET4_jRbjT5_SW_jjP12ihipStream_tbEUlT_E1_NS1_11comp_targetILNS1_3genE0ELNS1_11target_archE4294967295ELNS1_3gpuE0ELNS1_3repE0EEENS1_59segmented_radix_sort_warp_sort_small_config_static_selectorELNS0_4arch9wavefront6targetE0EEEvSK_, .Lfunc_end308-_ZN7rocprim17ROCPRIM_400000_NS6detail17trampoline_kernelINS0_14default_configENS1_36segmented_radix_sort_config_selectorIalEEZNS1_25segmented_radix_sort_implIS3_Lb1EPKaPaPKlPlN2at6native12_GLOBAL__N_18offset_tEEE10hipError_tPvRmT1_PNSt15iterator_traitsISK_E10value_typeET2_T3_PNSL_ISQ_E10value_typeET4_jRbjT5_SW_jjP12ihipStream_tbEUlT_E1_NS1_11comp_targetILNS1_3genE0ELNS1_11target_archE4294967295ELNS1_3gpuE0ELNS1_3repE0EEENS1_59segmented_radix_sort_warp_sort_small_config_static_selectorELNS0_4arch9wavefront6targetE0EEEvSK_
                                        ; -- End function
	.set _ZN7rocprim17ROCPRIM_400000_NS6detail17trampoline_kernelINS0_14default_configENS1_36segmented_radix_sort_config_selectorIalEEZNS1_25segmented_radix_sort_implIS3_Lb1EPKaPaPKlPlN2at6native12_GLOBAL__N_18offset_tEEE10hipError_tPvRmT1_PNSt15iterator_traitsISK_E10value_typeET2_T3_PNSL_ISQ_E10value_typeET4_jRbjT5_SW_jjP12ihipStream_tbEUlT_E1_NS1_11comp_targetILNS1_3genE0ELNS1_11target_archE4294967295ELNS1_3gpuE0ELNS1_3repE0EEENS1_59segmented_radix_sort_warp_sort_small_config_static_selectorELNS0_4arch9wavefront6targetE0EEEvSK_.num_vgpr, max(42, .L_ZN7rocprim17ROCPRIM_400000_NS6detail26segmented_warp_sort_helperINS1_20WarpSortHelperConfigILj32ELj4ELj256EEEalLi256ELb1EvE4sortIPKaPaPKlPlEEvT_T0_T1_T2_jjjjRNS5_12storage_typeE.num_vgpr)
	.set _ZN7rocprim17ROCPRIM_400000_NS6detail17trampoline_kernelINS0_14default_configENS1_36segmented_radix_sort_config_selectorIalEEZNS1_25segmented_radix_sort_implIS3_Lb1EPKaPaPKlPlN2at6native12_GLOBAL__N_18offset_tEEE10hipError_tPvRmT1_PNSt15iterator_traitsISK_E10value_typeET2_T3_PNSL_ISQ_E10value_typeET4_jRbjT5_SW_jjP12ihipStream_tbEUlT_E1_NS1_11comp_targetILNS1_3genE0ELNS1_11target_archE4294967295ELNS1_3gpuE0ELNS1_3repE0EEENS1_59segmented_radix_sort_warp_sort_small_config_static_selectorELNS0_4arch9wavefront6targetE0EEEvSK_.num_agpr, max(0, .L_ZN7rocprim17ROCPRIM_400000_NS6detail26segmented_warp_sort_helperINS1_20WarpSortHelperConfigILj32ELj4ELj256EEEalLi256ELb1EvE4sortIPKaPaPKlPlEEvT_T0_T1_T2_jjjjRNS5_12storage_typeE.num_agpr)
	.set _ZN7rocprim17ROCPRIM_400000_NS6detail17trampoline_kernelINS0_14default_configENS1_36segmented_radix_sort_config_selectorIalEEZNS1_25segmented_radix_sort_implIS3_Lb1EPKaPaPKlPlN2at6native12_GLOBAL__N_18offset_tEEE10hipError_tPvRmT1_PNSt15iterator_traitsISK_E10value_typeET2_T3_PNSL_ISQ_E10value_typeET4_jRbjT5_SW_jjP12ihipStream_tbEUlT_E1_NS1_11comp_targetILNS1_3genE0ELNS1_11target_archE4294967295ELNS1_3gpuE0ELNS1_3repE0EEENS1_59segmented_radix_sort_warp_sort_small_config_static_selectorELNS0_4arch9wavefront6targetE0EEEvSK_.numbered_sgpr, max(40, .L_ZN7rocprim17ROCPRIM_400000_NS6detail26segmented_warp_sort_helperINS1_20WarpSortHelperConfigILj32ELj4ELj256EEEalLi256ELb1EvE4sortIPKaPaPKlPlEEvT_T0_T1_T2_jjjjRNS5_12storage_typeE.numbered_sgpr)
	.set _ZN7rocprim17ROCPRIM_400000_NS6detail17trampoline_kernelINS0_14default_configENS1_36segmented_radix_sort_config_selectorIalEEZNS1_25segmented_radix_sort_implIS3_Lb1EPKaPaPKlPlN2at6native12_GLOBAL__N_18offset_tEEE10hipError_tPvRmT1_PNSt15iterator_traitsISK_E10value_typeET2_T3_PNSL_ISQ_E10value_typeET4_jRbjT5_SW_jjP12ihipStream_tbEUlT_E1_NS1_11comp_targetILNS1_3genE0ELNS1_11target_archE4294967295ELNS1_3gpuE0ELNS1_3repE0EEENS1_59segmented_radix_sort_warp_sort_small_config_static_selectorELNS0_4arch9wavefront6targetE0EEEvSK_.num_named_barrier, max(0, .L_ZN7rocprim17ROCPRIM_400000_NS6detail26segmented_warp_sort_helperINS1_20WarpSortHelperConfigILj32ELj4ELj256EEEalLi256ELb1EvE4sortIPKaPaPKlPlEEvT_T0_T1_T2_jjjjRNS5_12storage_typeE.num_named_barrier)
	.set _ZN7rocprim17ROCPRIM_400000_NS6detail17trampoline_kernelINS0_14default_configENS1_36segmented_radix_sort_config_selectorIalEEZNS1_25segmented_radix_sort_implIS3_Lb1EPKaPaPKlPlN2at6native12_GLOBAL__N_18offset_tEEE10hipError_tPvRmT1_PNSt15iterator_traitsISK_E10value_typeET2_T3_PNSL_ISQ_E10value_typeET4_jRbjT5_SW_jjP12ihipStream_tbEUlT_E1_NS1_11comp_targetILNS1_3genE0ELNS1_11target_archE4294967295ELNS1_3gpuE0ELNS1_3repE0EEENS1_59segmented_radix_sort_warp_sort_small_config_static_selectorELNS0_4arch9wavefront6targetE0EEEvSK_.private_seg_size, 0+max(.L_ZN7rocprim17ROCPRIM_400000_NS6detail26segmented_warp_sort_helperINS1_20WarpSortHelperConfigILj32ELj4ELj256EEEalLi256ELb1EvE4sortIPKaPaPKlPlEEvT_T0_T1_T2_jjjjRNS5_12storage_typeE.private_seg_size)
	.set _ZN7rocprim17ROCPRIM_400000_NS6detail17trampoline_kernelINS0_14default_configENS1_36segmented_radix_sort_config_selectorIalEEZNS1_25segmented_radix_sort_implIS3_Lb1EPKaPaPKlPlN2at6native12_GLOBAL__N_18offset_tEEE10hipError_tPvRmT1_PNSt15iterator_traitsISK_E10value_typeET2_T3_PNSL_ISQ_E10value_typeET4_jRbjT5_SW_jjP12ihipStream_tbEUlT_E1_NS1_11comp_targetILNS1_3genE0ELNS1_11target_archE4294967295ELNS1_3gpuE0ELNS1_3repE0EEENS1_59segmented_radix_sort_warp_sort_small_config_static_selectorELNS0_4arch9wavefront6targetE0EEEvSK_.uses_vcc, or(1, .L_ZN7rocprim17ROCPRIM_400000_NS6detail26segmented_warp_sort_helperINS1_20WarpSortHelperConfigILj32ELj4ELj256EEEalLi256ELb1EvE4sortIPKaPaPKlPlEEvT_T0_T1_T2_jjjjRNS5_12storage_typeE.uses_vcc)
	.set _ZN7rocprim17ROCPRIM_400000_NS6detail17trampoline_kernelINS0_14default_configENS1_36segmented_radix_sort_config_selectorIalEEZNS1_25segmented_radix_sort_implIS3_Lb1EPKaPaPKlPlN2at6native12_GLOBAL__N_18offset_tEEE10hipError_tPvRmT1_PNSt15iterator_traitsISK_E10value_typeET2_T3_PNSL_ISQ_E10value_typeET4_jRbjT5_SW_jjP12ihipStream_tbEUlT_E1_NS1_11comp_targetILNS1_3genE0ELNS1_11target_archE4294967295ELNS1_3gpuE0ELNS1_3repE0EEENS1_59segmented_radix_sort_warp_sort_small_config_static_selectorELNS0_4arch9wavefront6targetE0EEEvSK_.uses_flat_scratch, or(0, .L_ZN7rocprim17ROCPRIM_400000_NS6detail26segmented_warp_sort_helperINS1_20WarpSortHelperConfigILj32ELj4ELj256EEEalLi256ELb1EvE4sortIPKaPaPKlPlEEvT_T0_T1_T2_jjjjRNS5_12storage_typeE.uses_flat_scratch)
	.set _ZN7rocprim17ROCPRIM_400000_NS6detail17trampoline_kernelINS0_14default_configENS1_36segmented_radix_sort_config_selectorIalEEZNS1_25segmented_radix_sort_implIS3_Lb1EPKaPaPKlPlN2at6native12_GLOBAL__N_18offset_tEEE10hipError_tPvRmT1_PNSt15iterator_traitsISK_E10value_typeET2_T3_PNSL_ISQ_E10value_typeET4_jRbjT5_SW_jjP12ihipStream_tbEUlT_E1_NS1_11comp_targetILNS1_3genE0ELNS1_11target_archE4294967295ELNS1_3gpuE0ELNS1_3repE0EEENS1_59segmented_radix_sort_warp_sort_small_config_static_selectorELNS0_4arch9wavefront6targetE0EEEvSK_.has_dyn_sized_stack, or(0, .L_ZN7rocprim17ROCPRIM_400000_NS6detail26segmented_warp_sort_helperINS1_20WarpSortHelperConfigILj32ELj4ELj256EEEalLi256ELb1EvE4sortIPKaPaPKlPlEEvT_T0_T1_T2_jjjjRNS5_12storage_typeE.has_dyn_sized_stack)
	.set _ZN7rocprim17ROCPRIM_400000_NS6detail17trampoline_kernelINS0_14default_configENS1_36segmented_radix_sort_config_selectorIalEEZNS1_25segmented_radix_sort_implIS3_Lb1EPKaPaPKlPlN2at6native12_GLOBAL__N_18offset_tEEE10hipError_tPvRmT1_PNSt15iterator_traitsISK_E10value_typeET2_T3_PNSL_ISQ_E10value_typeET4_jRbjT5_SW_jjP12ihipStream_tbEUlT_E1_NS1_11comp_targetILNS1_3genE0ELNS1_11target_archE4294967295ELNS1_3gpuE0ELNS1_3repE0EEENS1_59segmented_radix_sort_warp_sort_small_config_static_selectorELNS0_4arch9wavefront6targetE0EEEvSK_.has_recursion, or(0, .L_ZN7rocprim17ROCPRIM_400000_NS6detail26segmented_warp_sort_helperINS1_20WarpSortHelperConfigILj32ELj4ELj256EEEalLi256ELb1EvE4sortIPKaPaPKlPlEEvT_T0_T1_T2_jjjjRNS5_12storage_typeE.has_recursion)
	.set _ZN7rocprim17ROCPRIM_400000_NS6detail17trampoline_kernelINS0_14default_configENS1_36segmented_radix_sort_config_selectorIalEEZNS1_25segmented_radix_sort_implIS3_Lb1EPKaPaPKlPlN2at6native12_GLOBAL__N_18offset_tEEE10hipError_tPvRmT1_PNSt15iterator_traitsISK_E10value_typeET2_T3_PNSL_ISQ_E10value_typeET4_jRbjT5_SW_jjP12ihipStream_tbEUlT_E1_NS1_11comp_targetILNS1_3genE0ELNS1_11target_archE4294967295ELNS1_3gpuE0ELNS1_3repE0EEENS1_59segmented_radix_sort_warp_sort_small_config_static_selectorELNS0_4arch9wavefront6targetE0EEEvSK_.has_indirect_call, or(0, .L_ZN7rocprim17ROCPRIM_400000_NS6detail26segmented_warp_sort_helperINS1_20WarpSortHelperConfigILj32ELj4ELj256EEEalLi256ELb1EvE4sortIPKaPaPKlPlEEvT_T0_T1_T2_jjjjRNS5_12storage_typeE.has_indirect_call)
	.section	.AMDGPU.csdata,"",@progbits
; Kernel info:
; codeLenInByte = 520
; TotalNumSgprs: 42
; NumVgprs: 54
; ScratchSize: 0
; MemoryBound: 0
; FloatMode: 240
; IeeeMode: 1
; LDSByteSize: 9216 bytes/workgroup (compile time only)
; SGPRBlocks: 0
; VGPRBlocks: 3
; NumSGPRsForWavesPerEU: 42
; NumVGPRsForWavesPerEU: 54
; NamedBarCnt: 0
; Occupancy: 16
; WaveLimiterHint : 0
; COMPUTE_PGM_RSRC2:SCRATCH_EN: 0
; COMPUTE_PGM_RSRC2:USER_SGPR: 4
; COMPUTE_PGM_RSRC2:TRAP_HANDLER: 0
; COMPUTE_PGM_RSRC2:TGID_X_EN: 1
; COMPUTE_PGM_RSRC2:TGID_Y_EN: 1
; COMPUTE_PGM_RSRC2:TGID_Z_EN: 0
; COMPUTE_PGM_RSRC2:TIDIG_COMP_CNT: 2
	.section	.text._ZN7rocprim17ROCPRIM_400000_NS6detail17trampoline_kernelINS0_14default_configENS1_36segmented_radix_sort_config_selectorIalEEZNS1_25segmented_radix_sort_implIS3_Lb1EPKaPaPKlPlN2at6native12_GLOBAL__N_18offset_tEEE10hipError_tPvRmT1_PNSt15iterator_traitsISK_E10value_typeET2_T3_PNSL_ISQ_E10value_typeET4_jRbjT5_SW_jjP12ihipStream_tbEUlT_E1_NS1_11comp_targetILNS1_3genE5ELNS1_11target_archE942ELNS1_3gpuE9ELNS1_3repE0EEENS1_59segmented_radix_sort_warp_sort_small_config_static_selectorELNS0_4arch9wavefront6targetE0EEEvSK_,"axG",@progbits,_ZN7rocprim17ROCPRIM_400000_NS6detail17trampoline_kernelINS0_14default_configENS1_36segmented_radix_sort_config_selectorIalEEZNS1_25segmented_radix_sort_implIS3_Lb1EPKaPaPKlPlN2at6native12_GLOBAL__N_18offset_tEEE10hipError_tPvRmT1_PNSt15iterator_traitsISK_E10value_typeET2_T3_PNSL_ISQ_E10value_typeET4_jRbjT5_SW_jjP12ihipStream_tbEUlT_E1_NS1_11comp_targetILNS1_3genE5ELNS1_11target_archE942ELNS1_3gpuE9ELNS1_3repE0EEENS1_59segmented_radix_sort_warp_sort_small_config_static_selectorELNS0_4arch9wavefront6targetE0EEEvSK_,comdat
	.globl	_ZN7rocprim17ROCPRIM_400000_NS6detail17trampoline_kernelINS0_14default_configENS1_36segmented_radix_sort_config_selectorIalEEZNS1_25segmented_radix_sort_implIS3_Lb1EPKaPaPKlPlN2at6native12_GLOBAL__N_18offset_tEEE10hipError_tPvRmT1_PNSt15iterator_traitsISK_E10value_typeET2_T3_PNSL_ISQ_E10value_typeET4_jRbjT5_SW_jjP12ihipStream_tbEUlT_E1_NS1_11comp_targetILNS1_3genE5ELNS1_11target_archE942ELNS1_3gpuE9ELNS1_3repE0EEENS1_59segmented_radix_sort_warp_sort_small_config_static_selectorELNS0_4arch9wavefront6targetE0EEEvSK_ ; -- Begin function _ZN7rocprim17ROCPRIM_400000_NS6detail17trampoline_kernelINS0_14default_configENS1_36segmented_radix_sort_config_selectorIalEEZNS1_25segmented_radix_sort_implIS3_Lb1EPKaPaPKlPlN2at6native12_GLOBAL__N_18offset_tEEE10hipError_tPvRmT1_PNSt15iterator_traitsISK_E10value_typeET2_T3_PNSL_ISQ_E10value_typeET4_jRbjT5_SW_jjP12ihipStream_tbEUlT_E1_NS1_11comp_targetILNS1_3genE5ELNS1_11target_archE942ELNS1_3gpuE9ELNS1_3repE0EEENS1_59segmented_radix_sort_warp_sort_small_config_static_selectorELNS0_4arch9wavefront6targetE0EEEvSK_
	.p2align	8
	.type	_ZN7rocprim17ROCPRIM_400000_NS6detail17trampoline_kernelINS0_14default_configENS1_36segmented_radix_sort_config_selectorIalEEZNS1_25segmented_radix_sort_implIS3_Lb1EPKaPaPKlPlN2at6native12_GLOBAL__N_18offset_tEEE10hipError_tPvRmT1_PNSt15iterator_traitsISK_E10value_typeET2_T3_PNSL_ISQ_E10value_typeET4_jRbjT5_SW_jjP12ihipStream_tbEUlT_E1_NS1_11comp_targetILNS1_3genE5ELNS1_11target_archE942ELNS1_3gpuE9ELNS1_3repE0EEENS1_59segmented_radix_sort_warp_sort_small_config_static_selectorELNS0_4arch9wavefront6targetE0EEEvSK_,@function
_ZN7rocprim17ROCPRIM_400000_NS6detail17trampoline_kernelINS0_14default_configENS1_36segmented_radix_sort_config_selectorIalEEZNS1_25segmented_radix_sort_implIS3_Lb1EPKaPaPKlPlN2at6native12_GLOBAL__N_18offset_tEEE10hipError_tPvRmT1_PNSt15iterator_traitsISK_E10value_typeET2_T3_PNSL_ISQ_E10value_typeET4_jRbjT5_SW_jjP12ihipStream_tbEUlT_E1_NS1_11comp_targetILNS1_3genE5ELNS1_11target_archE942ELNS1_3gpuE9ELNS1_3repE0EEENS1_59segmented_radix_sort_warp_sort_small_config_static_selectorELNS0_4arch9wavefront6targetE0EEEvSK_: ; @_ZN7rocprim17ROCPRIM_400000_NS6detail17trampoline_kernelINS0_14default_configENS1_36segmented_radix_sort_config_selectorIalEEZNS1_25segmented_radix_sort_implIS3_Lb1EPKaPaPKlPlN2at6native12_GLOBAL__N_18offset_tEEE10hipError_tPvRmT1_PNSt15iterator_traitsISK_E10value_typeET2_T3_PNSL_ISQ_E10value_typeET4_jRbjT5_SW_jjP12ihipStream_tbEUlT_E1_NS1_11comp_targetILNS1_3genE5ELNS1_11target_archE942ELNS1_3gpuE9ELNS1_3repE0EEENS1_59segmented_radix_sort_warp_sort_small_config_static_selectorELNS0_4arch9wavefront6targetE0EEEvSK_
; %bb.0:
	.section	.rodata,"a",@progbits
	.p2align	6, 0x0
	.amdhsa_kernel _ZN7rocprim17ROCPRIM_400000_NS6detail17trampoline_kernelINS0_14default_configENS1_36segmented_radix_sort_config_selectorIalEEZNS1_25segmented_radix_sort_implIS3_Lb1EPKaPaPKlPlN2at6native12_GLOBAL__N_18offset_tEEE10hipError_tPvRmT1_PNSt15iterator_traitsISK_E10value_typeET2_T3_PNSL_ISQ_E10value_typeET4_jRbjT5_SW_jjP12ihipStream_tbEUlT_E1_NS1_11comp_targetILNS1_3genE5ELNS1_11target_archE942ELNS1_3gpuE9ELNS1_3repE0EEENS1_59segmented_radix_sort_warp_sort_small_config_static_selectorELNS0_4arch9wavefront6targetE0EEEvSK_
		.amdhsa_group_segment_fixed_size 0
		.amdhsa_private_segment_fixed_size 0
		.amdhsa_kernarg_size 88
		.amdhsa_user_sgpr_count 2
		.amdhsa_user_sgpr_dispatch_ptr 0
		.amdhsa_user_sgpr_queue_ptr 0
		.amdhsa_user_sgpr_kernarg_segment_ptr 1
		.amdhsa_user_sgpr_dispatch_id 0
		.amdhsa_user_sgpr_kernarg_preload_length 0
		.amdhsa_user_sgpr_kernarg_preload_offset 0
		.amdhsa_user_sgpr_private_segment_size 0
		.amdhsa_wavefront_size32 1
		.amdhsa_uses_dynamic_stack 0
		.amdhsa_enable_private_segment 0
		.amdhsa_system_sgpr_workgroup_id_x 1
		.amdhsa_system_sgpr_workgroup_id_y 0
		.amdhsa_system_sgpr_workgroup_id_z 0
		.amdhsa_system_sgpr_workgroup_info 0
		.amdhsa_system_vgpr_workitem_id 0
		.amdhsa_next_free_vgpr 1
		.amdhsa_next_free_sgpr 1
		.amdhsa_named_barrier_count 0
		.amdhsa_reserve_vcc 0
		.amdhsa_float_round_mode_32 0
		.amdhsa_float_round_mode_16_64 0
		.amdhsa_float_denorm_mode_32 3
		.amdhsa_float_denorm_mode_16_64 3
		.amdhsa_fp16_overflow 0
		.amdhsa_memory_ordered 1
		.amdhsa_forward_progress 1
		.amdhsa_inst_pref_size 0
		.amdhsa_round_robin_scheduling 0
		.amdhsa_exception_fp_ieee_invalid_op 0
		.amdhsa_exception_fp_denorm_src 0
		.amdhsa_exception_fp_ieee_div_zero 0
		.amdhsa_exception_fp_ieee_overflow 0
		.amdhsa_exception_fp_ieee_underflow 0
		.amdhsa_exception_fp_ieee_inexact 0
		.amdhsa_exception_int_div_zero 0
	.end_amdhsa_kernel
	.section	.text._ZN7rocprim17ROCPRIM_400000_NS6detail17trampoline_kernelINS0_14default_configENS1_36segmented_radix_sort_config_selectorIalEEZNS1_25segmented_radix_sort_implIS3_Lb1EPKaPaPKlPlN2at6native12_GLOBAL__N_18offset_tEEE10hipError_tPvRmT1_PNSt15iterator_traitsISK_E10value_typeET2_T3_PNSL_ISQ_E10value_typeET4_jRbjT5_SW_jjP12ihipStream_tbEUlT_E1_NS1_11comp_targetILNS1_3genE5ELNS1_11target_archE942ELNS1_3gpuE9ELNS1_3repE0EEENS1_59segmented_radix_sort_warp_sort_small_config_static_selectorELNS0_4arch9wavefront6targetE0EEEvSK_,"axG",@progbits,_ZN7rocprim17ROCPRIM_400000_NS6detail17trampoline_kernelINS0_14default_configENS1_36segmented_radix_sort_config_selectorIalEEZNS1_25segmented_radix_sort_implIS3_Lb1EPKaPaPKlPlN2at6native12_GLOBAL__N_18offset_tEEE10hipError_tPvRmT1_PNSt15iterator_traitsISK_E10value_typeET2_T3_PNSL_ISQ_E10value_typeET4_jRbjT5_SW_jjP12ihipStream_tbEUlT_E1_NS1_11comp_targetILNS1_3genE5ELNS1_11target_archE942ELNS1_3gpuE9ELNS1_3repE0EEENS1_59segmented_radix_sort_warp_sort_small_config_static_selectorELNS0_4arch9wavefront6targetE0EEEvSK_,comdat
.Lfunc_end309:
	.size	_ZN7rocprim17ROCPRIM_400000_NS6detail17trampoline_kernelINS0_14default_configENS1_36segmented_radix_sort_config_selectorIalEEZNS1_25segmented_radix_sort_implIS3_Lb1EPKaPaPKlPlN2at6native12_GLOBAL__N_18offset_tEEE10hipError_tPvRmT1_PNSt15iterator_traitsISK_E10value_typeET2_T3_PNSL_ISQ_E10value_typeET4_jRbjT5_SW_jjP12ihipStream_tbEUlT_E1_NS1_11comp_targetILNS1_3genE5ELNS1_11target_archE942ELNS1_3gpuE9ELNS1_3repE0EEENS1_59segmented_radix_sort_warp_sort_small_config_static_selectorELNS0_4arch9wavefront6targetE0EEEvSK_, .Lfunc_end309-_ZN7rocprim17ROCPRIM_400000_NS6detail17trampoline_kernelINS0_14default_configENS1_36segmented_radix_sort_config_selectorIalEEZNS1_25segmented_radix_sort_implIS3_Lb1EPKaPaPKlPlN2at6native12_GLOBAL__N_18offset_tEEE10hipError_tPvRmT1_PNSt15iterator_traitsISK_E10value_typeET2_T3_PNSL_ISQ_E10value_typeET4_jRbjT5_SW_jjP12ihipStream_tbEUlT_E1_NS1_11comp_targetILNS1_3genE5ELNS1_11target_archE942ELNS1_3gpuE9ELNS1_3repE0EEENS1_59segmented_radix_sort_warp_sort_small_config_static_selectorELNS0_4arch9wavefront6targetE0EEEvSK_
                                        ; -- End function
	.set _ZN7rocprim17ROCPRIM_400000_NS6detail17trampoline_kernelINS0_14default_configENS1_36segmented_radix_sort_config_selectorIalEEZNS1_25segmented_radix_sort_implIS3_Lb1EPKaPaPKlPlN2at6native12_GLOBAL__N_18offset_tEEE10hipError_tPvRmT1_PNSt15iterator_traitsISK_E10value_typeET2_T3_PNSL_ISQ_E10value_typeET4_jRbjT5_SW_jjP12ihipStream_tbEUlT_E1_NS1_11comp_targetILNS1_3genE5ELNS1_11target_archE942ELNS1_3gpuE9ELNS1_3repE0EEENS1_59segmented_radix_sort_warp_sort_small_config_static_selectorELNS0_4arch9wavefront6targetE0EEEvSK_.num_vgpr, 0
	.set _ZN7rocprim17ROCPRIM_400000_NS6detail17trampoline_kernelINS0_14default_configENS1_36segmented_radix_sort_config_selectorIalEEZNS1_25segmented_radix_sort_implIS3_Lb1EPKaPaPKlPlN2at6native12_GLOBAL__N_18offset_tEEE10hipError_tPvRmT1_PNSt15iterator_traitsISK_E10value_typeET2_T3_PNSL_ISQ_E10value_typeET4_jRbjT5_SW_jjP12ihipStream_tbEUlT_E1_NS1_11comp_targetILNS1_3genE5ELNS1_11target_archE942ELNS1_3gpuE9ELNS1_3repE0EEENS1_59segmented_radix_sort_warp_sort_small_config_static_selectorELNS0_4arch9wavefront6targetE0EEEvSK_.num_agpr, 0
	.set _ZN7rocprim17ROCPRIM_400000_NS6detail17trampoline_kernelINS0_14default_configENS1_36segmented_radix_sort_config_selectorIalEEZNS1_25segmented_radix_sort_implIS3_Lb1EPKaPaPKlPlN2at6native12_GLOBAL__N_18offset_tEEE10hipError_tPvRmT1_PNSt15iterator_traitsISK_E10value_typeET2_T3_PNSL_ISQ_E10value_typeET4_jRbjT5_SW_jjP12ihipStream_tbEUlT_E1_NS1_11comp_targetILNS1_3genE5ELNS1_11target_archE942ELNS1_3gpuE9ELNS1_3repE0EEENS1_59segmented_radix_sort_warp_sort_small_config_static_selectorELNS0_4arch9wavefront6targetE0EEEvSK_.numbered_sgpr, 0
	.set _ZN7rocprim17ROCPRIM_400000_NS6detail17trampoline_kernelINS0_14default_configENS1_36segmented_radix_sort_config_selectorIalEEZNS1_25segmented_radix_sort_implIS3_Lb1EPKaPaPKlPlN2at6native12_GLOBAL__N_18offset_tEEE10hipError_tPvRmT1_PNSt15iterator_traitsISK_E10value_typeET2_T3_PNSL_ISQ_E10value_typeET4_jRbjT5_SW_jjP12ihipStream_tbEUlT_E1_NS1_11comp_targetILNS1_3genE5ELNS1_11target_archE942ELNS1_3gpuE9ELNS1_3repE0EEENS1_59segmented_radix_sort_warp_sort_small_config_static_selectorELNS0_4arch9wavefront6targetE0EEEvSK_.num_named_barrier, 0
	.set _ZN7rocprim17ROCPRIM_400000_NS6detail17trampoline_kernelINS0_14default_configENS1_36segmented_radix_sort_config_selectorIalEEZNS1_25segmented_radix_sort_implIS3_Lb1EPKaPaPKlPlN2at6native12_GLOBAL__N_18offset_tEEE10hipError_tPvRmT1_PNSt15iterator_traitsISK_E10value_typeET2_T3_PNSL_ISQ_E10value_typeET4_jRbjT5_SW_jjP12ihipStream_tbEUlT_E1_NS1_11comp_targetILNS1_3genE5ELNS1_11target_archE942ELNS1_3gpuE9ELNS1_3repE0EEENS1_59segmented_radix_sort_warp_sort_small_config_static_selectorELNS0_4arch9wavefront6targetE0EEEvSK_.private_seg_size, 0
	.set _ZN7rocprim17ROCPRIM_400000_NS6detail17trampoline_kernelINS0_14default_configENS1_36segmented_radix_sort_config_selectorIalEEZNS1_25segmented_radix_sort_implIS3_Lb1EPKaPaPKlPlN2at6native12_GLOBAL__N_18offset_tEEE10hipError_tPvRmT1_PNSt15iterator_traitsISK_E10value_typeET2_T3_PNSL_ISQ_E10value_typeET4_jRbjT5_SW_jjP12ihipStream_tbEUlT_E1_NS1_11comp_targetILNS1_3genE5ELNS1_11target_archE942ELNS1_3gpuE9ELNS1_3repE0EEENS1_59segmented_radix_sort_warp_sort_small_config_static_selectorELNS0_4arch9wavefront6targetE0EEEvSK_.uses_vcc, 0
	.set _ZN7rocprim17ROCPRIM_400000_NS6detail17trampoline_kernelINS0_14default_configENS1_36segmented_radix_sort_config_selectorIalEEZNS1_25segmented_radix_sort_implIS3_Lb1EPKaPaPKlPlN2at6native12_GLOBAL__N_18offset_tEEE10hipError_tPvRmT1_PNSt15iterator_traitsISK_E10value_typeET2_T3_PNSL_ISQ_E10value_typeET4_jRbjT5_SW_jjP12ihipStream_tbEUlT_E1_NS1_11comp_targetILNS1_3genE5ELNS1_11target_archE942ELNS1_3gpuE9ELNS1_3repE0EEENS1_59segmented_radix_sort_warp_sort_small_config_static_selectorELNS0_4arch9wavefront6targetE0EEEvSK_.uses_flat_scratch, 0
	.set _ZN7rocprim17ROCPRIM_400000_NS6detail17trampoline_kernelINS0_14default_configENS1_36segmented_radix_sort_config_selectorIalEEZNS1_25segmented_radix_sort_implIS3_Lb1EPKaPaPKlPlN2at6native12_GLOBAL__N_18offset_tEEE10hipError_tPvRmT1_PNSt15iterator_traitsISK_E10value_typeET2_T3_PNSL_ISQ_E10value_typeET4_jRbjT5_SW_jjP12ihipStream_tbEUlT_E1_NS1_11comp_targetILNS1_3genE5ELNS1_11target_archE942ELNS1_3gpuE9ELNS1_3repE0EEENS1_59segmented_radix_sort_warp_sort_small_config_static_selectorELNS0_4arch9wavefront6targetE0EEEvSK_.has_dyn_sized_stack, 0
	.set _ZN7rocprim17ROCPRIM_400000_NS6detail17trampoline_kernelINS0_14default_configENS1_36segmented_radix_sort_config_selectorIalEEZNS1_25segmented_radix_sort_implIS3_Lb1EPKaPaPKlPlN2at6native12_GLOBAL__N_18offset_tEEE10hipError_tPvRmT1_PNSt15iterator_traitsISK_E10value_typeET2_T3_PNSL_ISQ_E10value_typeET4_jRbjT5_SW_jjP12ihipStream_tbEUlT_E1_NS1_11comp_targetILNS1_3genE5ELNS1_11target_archE942ELNS1_3gpuE9ELNS1_3repE0EEENS1_59segmented_radix_sort_warp_sort_small_config_static_selectorELNS0_4arch9wavefront6targetE0EEEvSK_.has_recursion, 0
	.set _ZN7rocprim17ROCPRIM_400000_NS6detail17trampoline_kernelINS0_14default_configENS1_36segmented_radix_sort_config_selectorIalEEZNS1_25segmented_radix_sort_implIS3_Lb1EPKaPaPKlPlN2at6native12_GLOBAL__N_18offset_tEEE10hipError_tPvRmT1_PNSt15iterator_traitsISK_E10value_typeET2_T3_PNSL_ISQ_E10value_typeET4_jRbjT5_SW_jjP12ihipStream_tbEUlT_E1_NS1_11comp_targetILNS1_3genE5ELNS1_11target_archE942ELNS1_3gpuE9ELNS1_3repE0EEENS1_59segmented_radix_sort_warp_sort_small_config_static_selectorELNS0_4arch9wavefront6targetE0EEEvSK_.has_indirect_call, 0
	.section	.AMDGPU.csdata,"",@progbits
; Kernel info:
; codeLenInByte = 0
; TotalNumSgprs: 0
; NumVgprs: 0
; ScratchSize: 0
; MemoryBound: 0
; FloatMode: 240
; IeeeMode: 1
; LDSByteSize: 0 bytes/workgroup (compile time only)
; SGPRBlocks: 0
; VGPRBlocks: 0
; NumSGPRsForWavesPerEU: 1
; NumVGPRsForWavesPerEU: 1
; NamedBarCnt: 0
; Occupancy: 16
; WaveLimiterHint : 0
; COMPUTE_PGM_RSRC2:SCRATCH_EN: 0
; COMPUTE_PGM_RSRC2:USER_SGPR: 2
; COMPUTE_PGM_RSRC2:TRAP_HANDLER: 0
; COMPUTE_PGM_RSRC2:TGID_X_EN: 1
; COMPUTE_PGM_RSRC2:TGID_Y_EN: 0
; COMPUTE_PGM_RSRC2:TGID_Z_EN: 0
; COMPUTE_PGM_RSRC2:TIDIG_COMP_CNT: 0
	.section	.text._ZN7rocprim17ROCPRIM_400000_NS6detail17trampoline_kernelINS0_14default_configENS1_36segmented_radix_sort_config_selectorIalEEZNS1_25segmented_radix_sort_implIS3_Lb1EPKaPaPKlPlN2at6native12_GLOBAL__N_18offset_tEEE10hipError_tPvRmT1_PNSt15iterator_traitsISK_E10value_typeET2_T3_PNSL_ISQ_E10value_typeET4_jRbjT5_SW_jjP12ihipStream_tbEUlT_E1_NS1_11comp_targetILNS1_3genE4ELNS1_11target_archE910ELNS1_3gpuE8ELNS1_3repE0EEENS1_59segmented_radix_sort_warp_sort_small_config_static_selectorELNS0_4arch9wavefront6targetE0EEEvSK_,"axG",@progbits,_ZN7rocprim17ROCPRIM_400000_NS6detail17trampoline_kernelINS0_14default_configENS1_36segmented_radix_sort_config_selectorIalEEZNS1_25segmented_radix_sort_implIS3_Lb1EPKaPaPKlPlN2at6native12_GLOBAL__N_18offset_tEEE10hipError_tPvRmT1_PNSt15iterator_traitsISK_E10value_typeET2_T3_PNSL_ISQ_E10value_typeET4_jRbjT5_SW_jjP12ihipStream_tbEUlT_E1_NS1_11comp_targetILNS1_3genE4ELNS1_11target_archE910ELNS1_3gpuE8ELNS1_3repE0EEENS1_59segmented_radix_sort_warp_sort_small_config_static_selectorELNS0_4arch9wavefront6targetE0EEEvSK_,comdat
	.globl	_ZN7rocprim17ROCPRIM_400000_NS6detail17trampoline_kernelINS0_14default_configENS1_36segmented_radix_sort_config_selectorIalEEZNS1_25segmented_radix_sort_implIS3_Lb1EPKaPaPKlPlN2at6native12_GLOBAL__N_18offset_tEEE10hipError_tPvRmT1_PNSt15iterator_traitsISK_E10value_typeET2_T3_PNSL_ISQ_E10value_typeET4_jRbjT5_SW_jjP12ihipStream_tbEUlT_E1_NS1_11comp_targetILNS1_3genE4ELNS1_11target_archE910ELNS1_3gpuE8ELNS1_3repE0EEENS1_59segmented_radix_sort_warp_sort_small_config_static_selectorELNS0_4arch9wavefront6targetE0EEEvSK_ ; -- Begin function _ZN7rocprim17ROCPRIM_400000_NS6detail17trampoline_kernelINS0_14default_configENS1_36segmented_radix_sort_config_selectorIalEEZNS1_25segmented_radix_sort_implIS3_Lb1EPKaPaPKlPlN2at6native12_GLOBAL__N_18offset_tEEE10hipError_tPvRmT1_PNSt15iterator_traitsISK_E10value_typeET2_T3_PNSL_ISQ_E10value_typeET4_jRbjT5_SW_jjP12ihipStream_tbEUlT_E1_NS1_11comp_targetILNS1_3genE4ELNS1_11target_archE910ELNS1_3gpuE8ELNS1_3repE0EEENS1_59segmented_radix_sort_warp_sort_small_config_static_selectorELNS0_4arch9wavefront6targetE0EEEvSK_
	.p2align	8
	.type	_ZN7rocprim17ROCPRIM_400000_NS6detail17trampoline_kernelINS0_14default_configENS1_36segmented_radix_sort_config_selectorIalEEZNS1_25segmented_radix_sort_implIS3_Lb1EPKaPaPKlPlN2at6native12_GLOBAL__N_18offset_tEEE10hipError_tPvRmT1_PNSt15iterator_traitsISK_E10value_typeET2_T3_PNSL_ISQ_E10value_typeET4_jRbjT5_SW_jjP12ihipStream_tbEUlT_E1_NS1_11comp_targetILNS1_3genE4ELNS1_11target_archE910ELNS1_3gpuE8ELNS1_3repE0EEENS1_59segmented_radix_sort_warp_sort_small_config_static_selectorELNS0_4arch9wavefront6targetE0EEEvSK_,@function
_ZN7rocprim17ROCPRIM_400000_NS6detail17trampoline_kernelINS0_14default_configENS1_36segmented_radix_sort_config_selectorIalEEZNS1_25segmented_radix_sort_implIS3_Lb1EPKaPaPKlPlN2at6native12_GLOBAL__N_18offset_tEEE10hipError_tPvRmT1_PNSt15iterator_traitsISK_E10value_typeET2_T3_PNSL_ISQ_E10value_typeET4_jRbjT5_SW_jjP12ihipStream_tbEUlT_E1_NS1_11comp_targetILNS1_3genE4ELNS1_11target_archE910ELNS1_3gpuE8ELNS1_3repE0EEENS1_59segmented_radix_sort_warp_sort_small_config_static_selectorELNS0_4arch9wavefront6targetE0EEEvSK_: ; @_ZN7rocprim17ROCPRIM_400000_NS6detail17trampoline_kernelINS0_14default_configENS1_36segmented_radix_sort_config_selectorIalEEZNS1_25segmented_radix_sort_implIS3_Lb1EPKaPaPKlPlN2at6native12_GLOBAL__N_18offset_tEEE10hipError_tPvRmT1_PNSt15iterator_traitsISK_E10value_typeET2_T3_PNSL_ISQ_E10value_typeET4_jRbjT5_SW_jjP12ihipStream_tbEUlT_E1_NS1_11comp_targetILNS1_3genE4ELNS1_11target_archE910ELNS1_3gpuE8ELNS1_3repE0EEENS1_59segmented_radix_sort_warp_sort_small_config_static_selectorELNS0_4arch9wavefront6targetE0EEEvSK_
; %bb.0:
	.section	.rodata,"a",@progbits
	.p2align	6, 0x0
	.amdhsa_kernel _ZN7rocprim17ROCPRIM_400000_NS6detail17trampoline_kernelINS0_14default_configENS1_36segmented_radix_sort_config_selectorIalEEZNS1_25segmented_radix_sort_implIS3_Lb1EPKaPaPKlPlN2at6native12_GLOBAL__N_18offset_tEEE10hipError_tPvRmT1_PNSt15iterator_traitsISK_E10value_typeET2_T3_PNSL_ISQ_E10value_typeET4_jRbjT5_SW_jjP12ihipStream_tbEUlT_E1_NS1_11comp_targetILNS1_3genE4ELNS1_11target_archE910ELNS1_3gpuE8ELNS1_3repE0EEENS1_59segmented_radix_sort_warp_sort_small_config_static_selectorELNS0_4arch9wavefront6targetE0EEEvSK_
		.amdhsa_group_segment_fixed_size 0
		.amdhsa_private_segment_fixed_size 0
		.amdhsa_kernarg_size 88
		.amdhsa_user_sgpr_count 2
		.amdhsa_user_sgpr_dispatch_ptr 0
		.amdhsa_user_sgpr_queue_ptr 0
		.amdhsa_user_sgpr_kernarg_segment_ptr 1
		.amdhsa_user_sgpr_dispatch_id 0
		.amdhsa_user_sgpr_kernarg_preload_length 0
		.amdhsa_user_sgpr_kernarg_preload_offset 0
		.amdhsa_user_sgpr_private_segment_size 0
		.amdhsa_wavefront_size32 1
		.amdhsa_uses_dynamic_stack 0
		.amdhsa_enable_private_segment 0
		.amdhsa_system_sgpr_workgroup_id_x 1
		.amdhsa_system_sgpr_workgroup_id_y 0
		.amdhsa_system_sgpr_workgroup_id_z 0
		.amdhsa_system_sgpr_workgroup_info 0
		.amdhsa_system_vgpr_workitem_id 0
		.amdhsa_next_free_vgpr 1
		.amdhsa_next_free_sgpr 1
		.amdhsa_named_barrier_count 0
		.amdhsa_reserve_vcc 0
		.amdhsa_float_round_mode_32 0
		.amdhsa_float_round_mode_16_64 0
		.amdhsa_float_denorm_mode_32 3
		.amdhsa_float_denorm_mode_16_64 3
		.amdhsa_fp16_overflow 0
		.amdhsa_memory_ordered 1
		.amdhsa_forward_progress 1
		.amdhsa_inst_pref_size 0
		.amdhsa_round_robin_scheduling 0
		.amdhsa_exception_fp_ieee_invalid_op 0
		.amdhsa_exception_fp_denorm_src 0
		.amdhsa_exception_fp_ieee_div_zero 0
		.amdhsa_exception_fp_ieee_overflow 0
		.amdhsa_exception_fp_ieee_underflow 0
		.amdhsa_exception_fp_ieee_inexact 0
		.amdhsa_exception_int_div_zero 0
	.end_amdhsa_kernel
	.section	.text._ZN7rocprim17ROCPRIM_400000_NS6detail17trampoline_kernelINS0_14default_configENS1_36segmented_radix_sort_config_selectorIalEEZNS1_25segmented_radix_sort_implIS3_Lb1EPKaPaPKlPlN2at6native12_GLOBAL__N_18offset_tEEE10hipError_tPvRmT1_PNSt15iterator_traitsISK_E10value_typeET2_T3_PNSL_ISQ_E10value_typeET4_jRbjT5_SW_jjP12ihipStream_tbEUlT_E1_NS1_11comp_targetILNS1_3genE4ELNS1_11target_archE910ELNS1_3gpuE8ELNS1_3repE0EEENS1_59segmented_radix_sort_warp_sort_small_config_static_selectorELNS0_4arch9wavefront6targetE0EEEvSK_,"axG",@progbits,_ZN7rocprim17ROCPRIM_400000_NS6detail17trampoline_kernelINS0_14default_configENS1_36segmented_radix_sort_config_selectorIalEEZNS1_25segmented_radix_sort_implIS3_Lb1EPKaPaPKlPlN2at6native12_GLOBAL__N_18offset_tEEE10hipError_tPvRmT1_PNSt15iterator_traitsISK_E10value_typeET2_T3_PNSL_ISQ_E10value_typeET4_jRbjT5_SW_jjP12ihipStream_tbEUlT_E1_NS1_11comp_targetILNS1_3genE4ELNS1_11target_archE910ELNS1_3gpuE8ELNS1_3repE0EEENS1_59segmented_radix_sort_warp_sort_small_config_static_selectorELNS0_4arch9wavefront6targetE0EEEvSK_,comdat
.Lfunc_end310:
	.size	_ZN7rocprim17ROCPRIM_400000_NS6detail17trampoline_kernelINS0_14default_configENS1_36segmented_radix_sort_config_selectorIalEEZNS1_25segmented_radix_sort_implIS3_Lb1EPKaPaPKlPlN2at6native12_GLOBAL__N_18offset_tEEE10hipError_tPvRmT1_PNSt15iterator_traitsISK_E10value_typeET2_T3_PNSL_ISQ_E10value_typeET4_jRbjT5_SW_jjP12ihipStream_tbEUlT_E1_NS1_11comp_targetILNS1_3genE4ELNS1_11target_archE910ELNS1_3gpuE8ELNS1_3repE0EEENS1_59segmented_radix_sort_warp_sort_small_config_static_selectorELNS0_4arch9wavefront6targetE0EEEvSK_, .Lfunc_end310-_ZN7rocprim17ROCPRIM_400000_NS6detail17trampoline_kernelINS0_14default_configENS1_36segmented_radix_sort_config_selectorIalEEZNS1_25segmented_radix_sort_implIS3_Lb1EPKaPaPKlPlN2at6native12_GLOBAL__N_18offset_tEEE10hipError_tPvRmT1_PNSt15iterator_traitsISK_E10value_typeET2_T3_PNSL_ISQ_E10value_typeET4_jRbjT5_SW_jjP12ihipStream_tbEUlT_E1_NS1_11comp_targetILNS1_3genE4ELNS1_11target_archE910ELNS1_3gpuE8ELNS1_3repE0EEENS1_59segmented_radix_sort_warp_sort_small_config_static_selectorELNS0_4arch9wavefront6targetE0EEEvSK_
                                        ; -- End function
	.set _ZN7rocprim17ROCPRIM_400000_NS6detail17trampoline_kernelINS0_14default_configENS1_36segmented_radix_sort_config_selectorIalEEZNS1_25segmented_radix_sort_implIS3_Lb1EPKaPaPKlPlN2at6native12_GLOBAL__N_18offset_tEEE10hipError_tPvRmT1_PNSt15iterator_traitsISK_E10value_typeET2_T3_PNSL_ISQ_E10value_typeET4_jRbjT5_SW_jjP12ihipStream_tbEUlT_E1_NS1_11comp_targetILNS1_3genE4ELNS1_11target_archE910ELNS1_3gpuE8ELNS1_3repE0EEENS1_59segmented_radix_sort_warp_sort_small_config_static_selectorELNS0_4arch9wavefront6targetE0EEEvSK_.num_vgpr, 0
	.set _ZN7rocprim17ROCPRIM_400000_NS6detail17trampoline_kernelINS0_14default_configENS1_36segmented_radix_sort_config_selectorIalEEZNS1_25segmented_radix_sort_implIS3_Lb1EPKaPaPKlPlN2at6native12_GLOBAL__N_18offset_tEEE10hipError_tPvRmT1_PNSt15iterator_traitsISK_E10value_typeET2_T3_PNSL_ISQ_E10value_typeET4_jRbjT5_SW_jjP12ihipStream_tbEUlT_E1_NS1_11comp_targetILNS1_3genE4ELNS1_11target_archE910ELNS1_3gpuE8ELNS1_3repE0EEENS1_59segmented_radix_sort_warp_sort_small_config_static_selectorELNS0_4arch9wavefront6targetE0EEEvSK_.num_agpr, 0
	.set _ZN7rocprim17ROCPRIM_400000_NS6detail17trampoline_kernelINS0_14default_configENS1_36segmented_radix_sort_config_selectorIalEEZNS1_25segmented_radix_sort_implIS3_Lb1EPKaPaPKlPlN2at6native12_GLOBAL__N_18offset_tEEE10hipError_tPvRmT1_PNSt15iterator_traitsISK_E10value_typeET2_T3_PNSL_ISQ_E10value_typeET4_jRbjT5_SW_jjP12ihipStream_tbEUlT_E1_NS1_11comp_targetILNS1_3genE4ELNS1_11target_archE910ELNS1_3gpuE8ELNS1_3repE0EEENS1_59segmented_radix_sort_warp_sort_small_config_static_selectorELNS0_4arch9wavefront6targetE0EEEvSK_.numbered_sgpr, 0
	.set _ZN7rocprim17ROCPRIM_400000_NS6detail17trampoline_kernelINS0_14default_configENS1_36segmented_radix_sort_config_selectorIalEEZNS1_25segmented_radix_sort_implIS3_Lb1EPKaPaPKlPlN2at6native12_GLOBAL__N_18offset_tEEE10hipError_tPvRmT1_PNSt15iterator_traitsISK_E10value_typeET2_T3_PNSL_ISQ_E10value_typeET4_jRbjT5_SW_jjP12ihipStream_tbEUlT_E1_NS1_11comp_targetILNS1_3genE4ELNS1_11target_archE910ELNS1_3gpuE8ELNS1_3repE0EEENS1_59segmented_radix_sort_warp_sort_small_config_static_selectorELNS0_4arch9wavefront6targetE0EEEvSK_.num_named_barrier, 0
	.set _ZN7rocprim17ROCPRIM_400000_NS6detail17trampoline_kernelINS0_14default_configENS1_36segmented_radix_sort_config_selectorIalEEZNS1_25segmented_radix_sort_implIS3_Lb1EPKaPaPKlPlN2at6native12_GLOBAL__N_18offset_tEEE10hipError_tPvRmT1_PNSt15iterator_traitsISK_E10value_typeET2_T3_PNSL_ISQ_E10value_typeET4_jRbjT5_SW_jjP12ihipStream_tbEUlT_E1_NS1_11comp_targetILNS1_3genE4ELNS1_11target_archE910ELNS1_3gpuE8ELNS1_3repE0EEENS1_59segmented_radix_sort_warp_sort_small_config_static_selectorELNS0_4arch9wavefront6targetE0EEEvSK_.private_seg_size, 0
	.set _ZN7rocprim17ROCPRIM_400000_NS6detail17trampoline_kernelINS0_14default_configENS1_36segmented_radix_sort_config_selectorIalEEZNS1_25segmented_radix_sort_implIS3_Lb1EPKaPaPKlPlN2at6native12_GLOBAL__N_18offset_tEEE10hipError_tPvRmT1_PNSt15iterator_traitsISK_E10value_typeET2_T3_PNSL_ISQ_E10value_typeET4_jRbjT5_SW_jjP12ihipStream_tbEUlT_E1_NS1_11comp_targetILNS1_3genE4ELNS1_11target_archE910ELNS1_3gpuE8ELNS1_3repE0EEENS1_59segmented_radix_sort_warp_sort_small_config_static_selectorELNS0_4arch9wavefront6targetE0EEEvSK_.uses_vcc, 0
	.set _ZN7rocprim17ROCPRIM_400000_NS6detail17trampoline_kernelINS0_14default_configENS1_36segmented_radix_sort_config_selectorIalEEZNS1_25segmented_radix_sort_implIS3_Lb1EPKaPaPKlPlN2at6native12_GLOBAL__N_18offset_tEEE10hipError_tPvRmT1_PNSt15iterator_traitsISK_E10value_typeET2_T3_PNSL_ISQ_E10value_typeET4_jRbjT5_SW_jjP12ihipStream_tbEUlT_E1_NS1_11comp_targetILNS1_3genE4ELNS1_11target_archE910ELNS1_3gpuE8ELNS1_3repE0EEENS1_59segmented_radix_sort_warp_sort_small_config_static_selectorELNS0_4arch9wavefront6targetE0EEEvSK_.uses_flat_scratch, 0
	.set _ZN7rocprim17ROCPRIM_400000_NS6detail17trampoline_kernelINS0_14default_configENS1_36segmented_radix_sort_config_selectorIalEEZNS1_25segmented_radix_sort_implIS3_Lb1EPKaPaPKlPlN2at6native12_GLOBAL__N_18offset_tEEE10hipError_tPvRmT1_PNSt15iterator_traitsISK_E10value_typeET2_T3_PNSL_ISQ_E10value_typeET4_jRbjT5_SW_jjP12ihipStream_tbEUlT_E1_NS1_11comp_targetILNS1_3genE4ELNS1_11target_archE910ELNS1_3gpuE8ELNS1_3repE0EEENS1_59segmented_radix_sort_warp_sort_small_config_static_selectorELNS0_4arch9wavefront6targetE0EEEvSK_.has_dyn_sized_stack, 0
	.set _ZN7rocprim17ROCPRIM_400000_NS6detail17trampoline_kernelINS0_14default_configENS1_36segmented_radix_sort_config_selectorIalEEZNS1_25segmented_radix_sort_implIS3_Lb1EPKaPaPKlPlN2at6native12_GLOBAL__N_18offset_tEEE10hipError_tPvRmT1_PNSt15iterator_traitsISK_E10value_typeET2_T3_PNSL_ISQ_E10value_typeET4_jRbjT5_SW_jjP12ihipStream_tbEUlT_E1_NS1_11comp_targetILNS1_3genE4ELNS1_11target_archE910ELNS1_3gpuE8ELNS1_3repE0EEENS1_59segmented_radix_sort_warp_sort_small_config_static_selectorELNS0_4arch9wavefront6targetE0EEEvSK_.has_recursion, 0
	.set _ZN7rocprim17ROCPRIM_400000_NS6detail17trampoline_kernelINS0_14default_configENS1_36segmented_radix_sort_config_selectorIalEEZNS1_25segmented_radix_sort_implIS3_Lb1EPKaPaPKlPlN2at6native12_GLOBAL__N_18offset_tEEE10hipError_tPvRmT1_PNSt15iterator_traitsISK_E10value_typeET2_T3_PNSL_ISQ_E10value_typeET4_jRbjT5_SW_jjP12ihipStream_tbEUlT_E1_NS1_11comp_targetILNS1_3genE4ELNS1_11target_archE910ELNS1_3gpuE8ELNS1_3repE0EEENS1_59segmented_radix_sort_warp_sort_small_config_static_selectorELNS0_4arch9wavefront6targetE0EEEvSK_.has_indirect_call, 0
	.section	.AMDGPU.csdata,"",@progbits
; Kernel info:
; codeLenInByte = 0
; TotalNumSgprs: 0
; NumVgprs: 0
; ScratchSize: 0
; MemoryBound: 0
; FloatMode: 240
; IeeeMode: 1
; LDSByteSize: 0 bytes/workgroup (compile time only)
; SGPRBlocks: 0
; VGPRBlocks: 0
; NumSGPRsForWavesPerEU: 1
; NumVGPRsForWavesPerEU: 1
; NamedBarCnt: 0
; Occupancy: 16
; WaveLimiterHint : 0
; COMPUTE_PGM_RSRC2:SCRATCH_EN: 0
; COMPUTE_PGM_RSRC2:USER_SGPR: 2
; COMPUTE_PGM_RSRC2:TRAP_HANDLER: 0
; COMPUTE_PGM_RSRC2:TGID_X_EN: 1
; COMPUTE_PGM_RSRC2:TGID_Y_EN: 0
; COMPUTE_PGM_RSRC2:TGID_Z_EN: 0
; COMPUTE_PGM_RSRC2:TIDIG_COMP_CNT: 0
	.section	.text._ZN7rocprim17ROCPRIM_400000_NS6detail17trampoline_kernelINS0_14default_configENS1_36segmented_radix_sort_config_selectorIalEEZNS1_25segmented_radix_sort_implIS3_Lb1EPKaPaPKlPlN2at6native12_GLOBAL__N_18offset_tEEE10hipError_tPvRmT1_PNSt15iterator_traitsISK_E10value_typeET2_T3_PNSL_ISQ_E10value_typeET4_jRbjT5_SW_jjP12ihipStream_tbEUlT_E1_NS1_11comp_targetILNS1_3genE3ELNS1_11target_archE908ELNS1_3gpuE7ELNS1_3repE0EEENS1_59segmented_radix_sort_warp_sort_small_config_static_selectorELNS0_4arch9wavefront6targetE0EEEvSK_,"axG",@progbits,_ZN7rocprim17ROCPRIM_400000_NS6detail17trampoline_kernelINS0_14default_configENS1_36segmented_radix_sort_config_selectorIalEEZNS1_25segmented_radix_sort_implIS3_Lb1EPKaPaPKlPlN2at6native12_GLOBAL__N_18offset_tEEE10hipError_tPvRmT1_PNSt15iterator_traitsISK_E10value_typeET2_T3_PNSL_ISQ_E10value_typeET4_jRbjT5_SW_jjP12ihipStream_tbEUlT_E1_NS1_11comp_targetILNS1_3genE3ELNS1_11target_archE908ELNS1_3gpuE7ELNS1_3repE0EEENS1_59segmented_radix_sort_warp_sort_small_config_static_selectorELNS0_4arch9wavefront6targetE0EEEvSK_,comdat
	.globl	_ZN7rocprim17ROCPRIM_400000_NS6detail17trampoline_kernelINS0_14default_configENS1_36segmented_radix_sort_config_selectorIalEEZNS1_25segmented_radix_sort_implIS3_Lb1EPKaPaPKlPlN2at6native12_GLOBAL__N_18offset_tEEE10hipError_tPvRmT1_PNSt15iterator_traitsISK_E10value_typeET2_T3_PNSL_ISQ_E10value_typeET4_jRbjT5_SW_jjP12ihipStream_tbEUlT_E1_NS1_11comp_targetILNS1_3genE3ELNS1_11target_archE908ELNS1_3gpuE7ELNS1_3repE0EEENS1_59segmented_radix_sort_warp_sort_small_config_static_selectorELNS0_4arch9wavefront6targetE0EEEvSK_ ; -- Begin function _ZN7rocprim17ROCPRIM_400000_NS6detail17trampoline_kernelINS0_14default_configENS1_36segmented_radix_sort_config_selectorIalEEZNS1_25segmented_radix_sort_implIS3_Lb1EPKaPaPKlPlN2at6native12_GLOBAL__N_18offset_tEEE10hipError_tPvRmT1_PNSt15iterator_traitsISK_E10value_typeET2_T3_PNSL_ISQ_E10value_typeET4_jRbjT5_SW_jjP12ihipStream_tbEUlT_E1_NS1_11comp_targetILNS1_3genE3ELNS1_11target_archE908ELNS1_3gpuE7ELNS1_3repE0EEENS1_59segmented_radix_sort_warp_sort_small_config_static_selectorELNS0_4arch9wavefront6targetE0EEEvSK_
	.p2align	8
	.type	_ZN7rocprim17ROCPRIM_400000_NS6detail17trampoline_kernelINS0_14default_configENS1_36segmented_radix_sort_config_selectorIalEEZNS1_25segmented_radix_sort_implIS3_Lb1EPKaPaPKlPlN2at6native12_GLOBAL__N_18offset_tEEE10hipError_tPvRmT1_PNSt15iterator_traitsISK_E10value_typeET2_T3_PNSL_ISQ_E10value_typeET4_jRbjT5_SW_jjP12ihipStream_tbEUlT_E1_NS1_11comp_targetILNS1_3genE3ELNS1_11target_archE908ELNS1_3gpuE7ELNS1_3repE0EEENS1_59segmented_radix_sort_warp_sort_small_config_static_selectorELNS0_4arch9wavefront6targetE0EEEvSK_,@function
_ZN7rocprim17ROCPRIM_400000_NS6detail17trampoline_kernelINS0_14default_configENS1_36segmented_radix_sort_config_selectorIalEEZNS1_25segmented_radix_sort_implIS3_Lb1EPKaPaPKlPlN2at6native12_GLOBAL__N_18offset_tEEE10hipError_tPvRmT1_PNSt15iterator_traitsISK_E10value_typeET2_T3_PNSL_ISQ_E10value_typeET4_jRbjT5_SW_jjP12ihipStream_tbEUlT_E1_NS1_11comp_targetILNS1_3genE3ELNS1_11target_archE908ELNS1_3gpuE7ELNS1_3repE0EEENS1_59segmented_radix_sort_warp_sort_small_config_static_selectorELNS0_4arch9wavefront6targetE0EEEvSK_: ; @_ZN7rocprim17ROCPRIM_400000_NS6detail17trampoline_kernelINS0_14default_configENS1_36segmented_radix_sort_config_selectorIalEEZNS1_25segmented_radix_sort_implIS3_Lb1EPKaPaPKlPlN2at6native12_GLOBAL__N_18offset_tEEE10hipError_tPvRmT1_PNSt15iterator_traitsISK_E10value_typeET2_T3_PNSL_ISQ_E10value_typeET4_jRbjT5_SW_jjP12ihipStream_tbEUlT_E1_NS1_11comp_targetILNS1_3genE3ELNS1_11target_archE908ELNS1_3gpuE7ELNS1_3repE0EEENS1_59segmented_radix_sort_warp_sort_small_config_static_selectorELNS0_4arch9wavefront6targetE0EEEvSK_
; %bb.0:
	.section	.rodata,"a",@progbits
	.p2align	6, 0x0
	.amdhsa_kernel _ZN7rocprim17ROCPRIM_400000_NS6detail17trampoline_kernelINS0_14default_configENS1_36segmented_radix_sort_config_selectorIalEEZNS1_25segmented_radix_sort_implIS3_Lb1EPKaPaPKlPlN2at6native12_GLOBAL__N_18offset_tEEE10hipError_tPvRmT1_PNSt15iterator_traitsISK_E10value_typeET2_T3_PNSL_ISQ_E10value_typeET4_jRbjT5_SW_jjP12ihipStream_tbEUlT_E1_NS1_11comp_targetILNS1_3genE3ELNS1_11target_archE908ELNS1_3gpuE7ELNS1_3repE0EEENS1_59segmented_radix_sort_warp_sort_small_config_static_selectorELNS0_4arch9wavefront6targetE0EEEvSK_
		.amdhsa_group_segment_fixed_size 0
		.amdhsa_private_segment_fixed_size 0
		.amdhsa_kernarg_size 88
		.amdhsa_user_sgpr_count 2
		.amdhsa_user_sgpr_dispatch_ptr 0
		.amdhsa_user_sgpr_queue_ptr 0
		.amdhsa_user_sgpr_kernarg_segment_ptr 1
		.amdhsa_user_sgpr_dispatch_id 0
		.amdhsa_user_sgpr_kernarg_preload_length 0
		.amdhsa_user_sgpr_kernarg_preload_offset 0
		.amdhsa_user_sgpr_private_segment_size 0
		.amdhsa_wavefront_size32 1
		.amdhsa_uses_dynamic_stack 0
		.amdhsa_enable_private_segment 0
		.amdhsa_system_sgpr_workgroup_id_x 1
		.amdhsa_system_sgpr_workgroup_id_y 0
		.amdhsa_system_sgpr_workgroup_id_z 0
		.amdhsa_system_sgpr_workgroup_info 0
		.amdhsa_system_vgpr_workitem_id 0
		.amdhsa_next_free_vgpr 1
		.amdhsa_next_free_sgpr 1
		.amdhsa_named_barrier_count 0
		.amdhsa_reserve_vcc 0
		.amdhsa_float_round_mode_32 0
		.amdhsa_float_round_mode_16_64 0
		.amdhsa_float_denorm_mode_32 3
		.amdhsa_float_denorm_mode_16_64 3
		.amdhsa_fp16_overflow 0
		.amdhsa_memory_ordered 1
		.amdhsa_forward_progress 1
		.amdhsa_inst_pref_size 0
		.amdhsa_round_robin_scheduling 0
		.amdhsa_exception_fp_ieee_invalid_op 0
		.amdhsa_exception_fp_denorm_src 0
		.amdhsa_exception_fp_ieee_div_zero 0
		.amdhsa_exception_fp_ieee_overflow 0
		.amdhsa_exception_fp_ieee_underflow 0
		.amdhsa_exception_fp_ieee_inexact 0
		.amdhsa_exception_int_div_zero 0
	.end_amdhsa_kernel
	.section	.text._ZN7rocprim17ROCPRIM_400000_NS6detail17trampoline_kernelINS0_14default_configENS1_36segmented_radix_sort_config_selectorIalEEZNS1_25segmented_radix_sort_implIS3_Lb1EPKaPaPKlPlN2at6native12_GLOBAL__N_18offset_tEEE10hipError_tPvRmT1_PNSt15iterator_traitsISK_E10value_typeET2_T3_PNSL_ISQ_E10value_typeET4_jRbjT5_SW_jjP12ihipStream_tbEUlT_E1_NS1_11comp_targetILNS1_3genE3ELNS1_11target_archE908ELNS1_3gpuE7ELNS1_3repE0EEENS1_59segmented_radix_sort_warp_sort_small_config_static_selectorELNS0_4arch9wavefront6targetE0EEEvSK_,"axG",@progbits,_ZN7rocprim17ROCPRIM_400000_NS6detail17trampoline_kernelINS0_14default_configENS1_36segmented_radix_sort_config_selectorIalEEZNS1_25segmented_radix_sort_implIS3_Lb1EPKaPaPKlPlN2at6native12_GLOBAL__N_18offset_tEEE10hipError_tPvRmT1_PNSt15iterator_traitsISK_E10value_typeET2_T3_PNSL_ISQ_E10value_typeET4_jRbjT5_SW_jjP12ihipStream_tbEUlT_E1_NS1_11comp_targetILNS1_3genE3ELNS1_11target_archE908ELNS1_3gpuE7ELNS1_3repE0EEENS1_59segmented_radix_sort_warp_sort_small_config_static_selectorELNS0_4arch9wavefront6targetE0EEEvSK_,comdat
.Lfunc_end311:
	.size	_ZN7rocprim17ROCPRIM_400000_NS6detail17trampoline_kernelINS0_14default_configENS1_36segmented_radix_sort_config_selectorIalEEZNS1_25segmented_radix_sort_implIS3_Lb1EPKaPaPKlPlN2at6native12_GLOBAL__N_18offset_tEEE10hipError_tPvRmT1_PNSt15iterator_traitsISK_E10value_typeET2_T3_PNSL_ISQ_E10value_typeET4_jRbjT5_SW_jjP12ihipStream_tbEUlT_E1_NS1_11comp_targetILNS1_3genE3ELNS1_11target_archE908ELNS1_3gpuE7ELNS1_3repE0EEENS1_59segmented_radix_sort_warp_sort_small_config_static_selectorELNS0_4arch9wavefront6targetE0EEEvSK_, .Lfunc_end311-_ZN7rocprim17ROCPRIM_400000_NS6detail17trampoline_kernelINS0_14default_configENS1_36segmented_radix_sort_config_selectorIalEEZNS1_25segmented_radix_sort_implIS3_Lb1EPKaPaPKlPlN2at6native12_GLOBAL__N_18offset_tEEE10hipError_tPvRmT1_PNSt15iterator_traitsISK_E10value_typeET2_T3_PNSL_ISQ_E10value_typeET4_jRbjT5_SW_jjP12ihipStream_tbEUlT_E1_NS1_11comp_targetILNS1_3genE3ELNS1_11target_archE908ELNS1_3gpuE7ELNS1_3repE0EEENS1_59segmented_radix_sort_warp_sort_small_config_static_selectorELNS0_4arch9wavefront6targetE0EEEvSK_
                                        ; -- End function
	.set _ZN7rocprim17ROCPRIM_400000_NS6detail17trampoline_kernelINS0_14default_configENS1_36segmented_radix_sort_config_selectorIalEEZNS1_25segmented_radix_sort_implIS3_Lb1EPKaPaPKlPlN2at6native12_GLOBAL__N_18offset_tEEE10hipError_tPvRmT1_PNSt15iterator_traitsISK_E10value_typeET2_T3_PNSL_ISQ_E10value_typeET4_jRbjT5_SW_jjP12ihipStream_tbEUlT_E1_NS1_11comp_targetILNS1_3genE3ELNS1_11target_archE908ELNS1_3gpuE7ELNS1_3repE0EEENS1_59segmented_radix_sort_warp_sort_small_config_static_selectorELNS0_4arch9wavefront6targetE0EEEvSK_.num_vgpr, 0
	.set _ZN7rocprim17ROCPRIM_400000_NS6detail17trampoline_kernelINS0_14default_configENS1_36segmented_radix_sort_config_selectorIalEEZNS1_25segmented_radix_sort_implIS3_Lb1EPKaPaPKlPlN2at6native12_GLOBAL__N_18offset_tEEE10hipError_tPvRmT1_PNSt15iterator_traitsISK_E10value_typeET2_T3_PNSL_ISQ_E10value_typeET4_jRbjT5_SW_jjP12ihipStream_tbEUlT_E1_NS1_11comp_targetILNS1_3genE3ELNS1_11target_archE908ELNS1_3gpuE7ELNS1_3repE0EEENS1_59segmented_radix_sort_warp_sort_small_config_static_selectorELNS0_4arch9wavefront6targetE0EEEvSK_.num_agpr, 0
	.set _ZN7rocprim17ROCPRIM_400000_NS6detail17trampoline_kernelINS0_14default_configENS1_36segmented_radix_sort_config_selectorIalEEZNS1_25segmented_radix_sort_implIS3_Lb1EPKaPaPKlPlN2at6native12_GLOBAL__N_18offset_tEEE10hipError_tPvRmT1_PNSt15iterator_traitsISK_E10value_typeET2_T3_PNSL_ISQ_E10value_typeET4_jRbjT5_SW_jjP12ihipStream_tbEUlT_E1_NS1_11comp_targetILNS1_3genE3ELNS1_11target_archE908ELNS1_3gpuE7ELNS1_3repE0EEENS1_59segmented_radix_sort_warp_sort_small_config_static_selectorELNS0_4arch9wavefront6targetE0EEEvSK_.numbered_sgpr, 0
	.set _ZN7rocprim17ROCPRIM_400000_NS6detail17trampoline_kernelINS0_14default_configENS1_36segmented_radix_sort_config_selectorIalEEZNS1_25segmented_radix_sort_implIS3_Lb1EPKaPaPKlPlN2at6native12_GLOBAL__N_18offset_tEEE10hipError_tPvRmT1_PNSt15iterator_traitsISK_E10value_typeET2_T3_PNSL_ISQ_E10value_typeET4_jRbjT5_SW_jjP12ihipStream_tbEUlT_E1_NS1_11comp_targetILNS1_3genE3ELNS1_11target_archE908ELNS1_3gpuE7ELNS1_3repE0EEENS1_59segmented_radix_sort_warp_sort_small_config_static_selectorELNS0_4arch9wavefront6targetE0EEEvSK_.num_named_barrier, 0
	.set _ZN7rocprim17ROCPRIM_400000_NS6detail17trampoline_kernelINS0_14default_configENS1_36segmented_radix_sort_config_selectorIalEEZNS1_25segmented_radix_sort_implIS3_Lb1EPKaPaPKlPlN2at6native12_GLOBAL__N_18offset_tEEE10hipError_tPvRmT1_PNSt15iterator_traitsISK_E10value_typeET2_T3_PNSL_ISQ_E10value_typeET4_jRbjT5_SW_jjP12ihipStream_tbEUlT_E1_NS1_11comp_targetILNS1_3genE3ELNS1_11target_archE908ELNS1_3gpuE7ELNS1_3repE0EEENS1_59segmented_radix_sort_warp_sort_small_config_static_selectorELNS0_4arch9wavefront6targetE0EEEvSK_.private_seg_size, 0
	.set _ZN7rocprim17ROCPRIM_400000_NS6detail17trampoline_kernelINS0_14default_configENS1_36segmented_radix_sort_config_selectorIalEEZNS1_25segmented_radix_sort_implIS3_Lb1EPKaPaPKlPlN2at6native12_GLOBAL__N_18offset_tEEE10hipError_tPvRmT1_PNSt15iterator_traitsISK_E10value_typeET2_T3_PNSL_ISQ_E10value_typeET4_jRbjT5_SW_jjP12ihipStream_tbEUlT_E1_NS1_11comp_targetILNS1_3genE3ELNS1_11target_archE908ELNS1_3gpuE7ELNS1_3repE0EEENS1_59segmented_radix_sort_warp_sort_small_config_static_selectorELNS0_4arch9wavefront6targetE0EEEvSK_.uses_vcc, 0
	.set _ZN7rocprim17ROCPRIM_400000_NS6detail17trampoline_kernelINS0_14default_configENS1_36segmented_radix_sort_config_selectorIalEEZNS1_25segmented_radix_sort_implIS3_Lb1EPKaPaPKlPlN2at6native12_GLOBAL__N_18offset_tEEE10hipError_tPvRmT1_PNSt15iterator_traitsISK_E10value_typeET2_T3_PNSL_ISQ_E10value_typeET4_jRbjT5_SW_jjP12ihipStream_tbEUlT_E1_NS1_11comp_targetILNS1_3genE3ELNS1_11target_archE908ELNS1_3gpuE7ELNS1_3repE0EEENS1_59segmented_radix_sort_warp_sort_small_config_static_selectorELNS0_4arch9wavefront6targetE0EEEvSK_.uses_flat_scratch, 0
	.set _ZN7rocprim17ROCPRIM_400000_NS6detail17trampoline_kernelINS0_14default_configENS1_36segmented_radix_sort_config_selectorIalEEZNS1_25segmented_radix_sort_implIS3_Lb1EPKaPaPKlPlN2at6native12_GLOBAL__N_18offset_tEEE10hipError_tPvRmT1_PNSt15iterator_traitsISK_E10value_typeET2_T3_PNSL_ISQ_E10value_typeET4_jRbjT5_SW_jjP12ihipStream_tbEUlT_E1_NS1_11comp_targetILNS1_3genE3ELNS1_11target_archE908ELNS1_3gpuE7ELNS1_3repE0EEENS1_59segmented_radix_sort_warp_sort_small_config_static_selectorELNS0_4arch9wavefront6targetE0EEEvSK_.has_dyn_sized_stack, 0
	.set _ZN7rocprim17ROCPRIM_400000_NS6detail17trampoline_kernelINS0_14default_configENS1_36segmented_radix_sort_config_selectorIalEEZNS1_25segmented_radix_sort_implIS3_Lb1EPKaPaPKlPlN2at6native12_GLOBAL__N_18offset_tEEE10hipError_tPvRmT1_PNSt15iterator_traitsISK_E10value_typeET2_T3_PNSL_ISQ_E10value_typeET4_jRbjT5_SW_jjP12ihipStream_tbEUlT_E1_NS1_11comp_targetILNS1_3genE3ELNS1_11target_archE908ELNS1_3gpuE7ELNS1_3repE0EEENS1_59segmented_radix_sort_warp_sort_small_config_static_selectorELNS0_4arch9wavefront6targetE0EEEvSK_.has_recursion, 0
	.set _ZN7rocprim17ROCPRIM_400000_NS6detail17trampoline_kernelINS0_14default_configENS1_36segmented_radix_sort_config_selectorIalEEZNS1_25segmented_radix_sort_implIS3_Lb1EPKaPaPKlPlN2at6native12_GLOBAL__N_18offset_tEEE10hipError_tPvRmT1_PNSt15iterator_traitsISK_E10value_typeET2_T3_PNSL_ISQ_E10value_typeET4_jRbjT5_SW_jjP12ihipStream_tbEUlT_E1_NS1_11comp_targetILNS1_3genE3ELNS1_11target_archE908ELNS1_3gpuE7ELNS1_3repE0EEENS1_59segmented_radix_sort_warp_sort_small_config_static_selectorELNS0_4arch9wavefront6targetE0EEEvSK_.has_indirect_call, 0
	.section	.AMDGPU.csdata,"",@progbits
; Kernel info:
; codeLenInByte = 0
; TotalNumSgprs: 0
; NumVgprs: 0
; ScratchSize: 0
; MemoryBound: 0
; FloatMode: 240
; IeeeMode: 1
; LDSByteSize: 0 bytes/workgroup (compile time only)
; SGPRBlocks: 0
; VGPRBlocks: 0
; NumSGPRsForWavesPerEU: 1
; NumVGPRsForWavesPerEU: 1
; NamedBarCnt: 0
; Occupancy: 16
; WaveLimiterHint : 0
; COMPUTE_PGM_RSRC2:SCRATCH_EN: 0
; COMPUTE_PGM_RSRC2:USER_SGPR: 2
; COMPUTE_PGM_RSRC2:TRAP_HANDLER: 0
; COMPUTE_PGM_RSRC2:TGID_X_EN: 1
; COMPUTE_PGM_RSRC2:TGID_Y_EN: 0
; COMPUTE_PGM_RSRC2:TGID_Z_EN: 0
; COMPUTE_PGM_RSRC2:TIDIG_COMP_CNT: 0
	.section	.text._ZN7rocprim17ROCPRIM_400000_NS6detail17trampoline_kernelINS0_14default_configENS1_36segmented_radix_sort_config_selectorIalEEZNS1_25segmented_radix_sort_implIS3_Lb1EPKaPaPKlPlN2at6native12_GLOBAL__N_18offset_tEEE10hipError_tPvRmT1_PNSt15iterator_traitsISK_E10value_typeET2_T3_PNSL_ISQ_E10value_typeET4_jRbjT5_SW_jjP12ihipStream_tbEUlT_E1_NS1_11comp_targetILNS1_3genE2ELNS1_11target_archE906ELNS1_3gpuE6ELNS1_3repE0EEENS1_59segmented_radix_sort_warp_sort_small_config_static_selectorELNS0_4arch9wavefront6targetE0EEEvSK_,"axG",@progbits,_ZN7rocprim17ROCPRIM_400000_NS6detail17trampoline_kernelINS0_14default_configENS1_36segmented_radix_sort_config_selectorIalEEZNS1_25segmented_radix_sort_implIS3_Lb1EPKaPaPKlPlN2at6native12_GLOBAL__N_18offset_tEEE10hipError_tPvRmT1_PNSt15iterator_traitsISK_E10value_typeET2_T3_PNSL_ISQ_E10value_typeET4_jRbjT5_SW_jjP12ihipStream_tbEUlT_E1_NS1_11comp_targetILNS1_3genE2ELNS1_11target_archE906ELNS1_3gpuE6ELNS1_3repE0EEENS1_59segmented_radix_sort_warp_sort_small_config_static_selectorELNS0_4arch9wavefront6targetE0EEEvSK_,comdat
	.globl	_ZN7rocprim17ROCPRIM_400000_NS6detail17trampoline_kernelINS0_14default_configENS1_36segmented_radix_sort_config_selectorIalEEZNS1_25segmented_radix_sort_implIS3_Lb1EPKaPaPKlPlN2at6native12_GLOBAL__N_18offset_tEEE10hipError_tPvRmT1_PNSt15iterator_traitsISK_E10value_typeET2_T3_PNSL_ISQ_E10value_typeET4_jRbjT5_SW_jjP12ihipStream_tbEUlT_E1_NS1_11comp_targetILNS1_3genE2ELNS1_11target_archE906ELNS1_3gpuE6ELNS1_3repE0EEENS1_59segmented_radix_sort_warp_sort_small_config_static_selectorELNS0_4arch9wavefront6targetE0EEEvSK_ ; -- Begin function _ZN7rocprim17ROCPRIM_400000_NS6detail17trampoline_kernelINS0_14default_configENS1_36segmented_radix_sort_config_selectorIalEEZNS1_25segmented_radix_sort_implIS3_Lb1EPKaPaPKlPlN2at6native12_GLOBAL__N_18offset_tEEE10hipError_tPvRmT1_PNSt15iterator_traitsISK_E10value_typeET2_T3_PNSL_ISQ_E10value_typeET4_jRbjT5_SW_jjP12ihipStream_tbEUlT_E1_NS1_11comp_targetILNS1_3genE2ELNS1_11target_archE906ELNS1_3gpuE6ELNS1_3repE0EEENS1_59segmented_radix_sort_warp_sort_small_config_static_selectorELNS0_4arch9wavefront6targetE0EEEvSK_
	.p2align	8
	.type	_ZN7rocprim17ROCPRIM_400000_NS6detail17trampoline_kernelINS0_14default_configENS1_36segmented_radix_sort_config_selectorIalEEZNS1_25segmented_radix_sort_implIS3_Lb1EPKaPaPKlPlN2at6native12_GLOBAL__N_18offset_tEEE10hipError_tPvRmT1_PNSt15iterator_traitsISK_E10value_typeET2_T3_PNSL_ISQ_E10value_typeET4_jRbjT5_SW_jjP12ihipStream_tbEUlT_E1_NS1_11comp_targetILNS1_3genE2ELNS1_11target_archE906ELNS1_3gpuE6ELNS1_3repE0EEENS1_59segmented_radix_sort_warp_sort_small_config_static_selectorELNS0_4arch9wavefront6targetE0EEEvSK_,@function
_ZN7rocprim17ROCPRIM_400000_NS6detail17trampoline_kernelINS0_14default_configENS1_36segmented_radix_sort_config_selectorIalEEZNS1_25segmented_radix_sort_implIS3_Lb1EPKaPaPKlPlN2at6native12_GLOBAL__N_18offset_tEEE10hipError_tPvRmT1_PNSt15iterator_traitsISK_E10value_typeET2_T3_PNSL_ISQ_E10value_typeET4_jRbjT5_SW_jjP12ihipStream_tbEUlT_E1_NS1_11comp_targetILNS1_3genE2ELNS1_11target_archE906ELNS1_3gpuE6ELNS1_3repE0EEENS1_59segmented_radix_sort_warp_sort_small_config_static_selectorELNS0_4arch9wavefront6targetE0EEEvSK_: ; @_ZN7rocprim17ROCPRIM_400000_NS6detail17trampoline_kernelINS0_14default_configENS1_36segmented_radix_sort_config_selectorIalEEZNS1_25segmented_radix_sort_implIS3_Lb1EPKaPaPKlPlN2at6native12_GLOBAL__N_18offset_tEEE10hipError_tPvRmT1_PNSt15iterator_traitsISK_E10value_typeET2_T3_PNSL_ISQ_E10value_typeET4_jRbjT5_SW_jjP12ihipStream_tbEUlT_E1_NS1_11comp_targetILNS1_3genE2ELNS1_11target_archE906ELNS1_3gpuE6ELNS1_3repE0EEENS1_59segmented_radix_sort_warp_sort_small_config_static_selectorELNS0_4arch9wavefront6targetE0EEEvSK_
; %bb.0:
	.section	.rodata,"a",@progbits
	.p2align	6, 0x0
	.amdhsa_kernel _ZN7rocprim17ROCPRIM_400000_NS6detail17trampoline_kernelINS0_14default_configENS1_36segmented_radix_sort_config_selectorIalEEZNS1_25segmented_radix_sort_implIS3_Lb1EPKaPaPKlPlN2at6native12_GLOBAL__N_18offset_tEEE10hipError_tPvRmT1_PNSt15iterator_traitsISK_E10value_typeET2_T3_PNSL_ISQ_E10value_typeET4_jRbjT5_SW_jjP12ihipStream_tbEUlT_E1_NS1_11comp_targetILNS1_3genE2ELNS1_11target_archE906ELNS1_3gpuE6ELNS1_3repE0EEENS1_59segmented_radix_sort_warp_sort_small_config_static_selectorELNS0_4arch9wavefront6targetE0EEEvSK_
		.amdhsa_group_segment_fixed_size 0
		.amdhsa_private_segment_fixed_size 0
		.amdhsa_kernarg_size 88
		.amdhsa_user_sgpr_count 2
		.amdhsa_user_sgpr_dispatch_ptr 0
		.amdhsa_user_sgpr_queue_ptr 0
		.amdhsa_user_sgpr_kernarg_segment_ptr 1
		.amdhsa_user_sgpr_dispatch_id 0
		.amdhsa_user_sgpr_kernarg_preload_length 0
		.amdhsa_user_sgpr_kernarg_preload_offset 0
		.amdhsa_user_sgpr_private_segment_size 0
		.amdhsa_wavefront_size32 1
		.amdhsa_uses_dynamic_stack 0
		.amdhsa_enable_private_segment 0
		.amdhsa_system_sgpr_workgroup_id_x 1
		.amdhsa_system_sgpr_workgroup_id_y 0
		.amdhsa_system_sgpr_workgroup_id_z 0
		.amdhsa_system_sgpr_workgroup_info 0
		.amdhsa_system_vgpr_workitem_id 0
		.amdhsa_next_free_vgpr 1
		.amdhsa_next_free_sgpr 1
		.amdhsa_named_barrier_count 0
		.amdhsa_reserve_vcc 0
		.amdhsa_float_round_mode_32 0
		.amdhsa_float_round_mode_16_64 0
		.amdhsa_float_denorm_mode_32 3
		.amdhsa_float_denorm_mode_16_64 3
		.amdhsa_fp16_overflow 0
		.amdhsa_memory_ordered 1
		.amdhsa_forward_progress 1
		.amdhsa_inst_pref_size 0
		.amdhsa_round_robin_scheduling 0
		.amdhsa_exception_fp_ieee_invalid_op 0
		.amdhsa_exception_fp_denorm_src 0
		.amdhsa_exception_fp_ieee_div_zero 0
		.amdhsa_exception_fp_ieee_overflow 0
		.amdhsa_exception_fp_ieee_underflow 0
		.amdhsa_exception_fp_ieee_inexact 0
		.amdhsa_exception_int_div_zero 0
	.end_amdhsa_kernel
	.section	.text._ZN7rocprim17ROCPRIM_400000_NS6detail17trampoline_kernelINS0_14default_configENS1_36segmented_radix_sort_config_selectorIalEEZNS1_25segmented_radix_sort_implIS3_Lb1EPKaPaPKlPlN2at6native12_GLOBAL__N_18offset_tEEE10hipError_tPvRmT1_PNSt15iterator_traitsISK_E10value_typeET2_T3_PNSL_ISQ_E10value_typeET4_jRbjT5_SW_jjP12ihipStream_tbEUlT_E1_NS1_11comp_targetILNS1_3genE2ELNS1_11target_archE906ELNS1_3gpuE6ELNS1_3repE0EEENS1_59segmented_radix_sort_warp_sort_small_config_static_selectorELNS0_4arch9wavefront6targetE0EEEvSK_,"axG",@progbits,_ZN7rocprim17ROCPRIM_400000_NS6detail17trampoline_kernelINS0_14default_configENS1_36segmented_radix_sort_config_selectorIalEEZNS1_25segmented_radix_sort_implIS3_Lb1EPKaPaPKlPlN2at6native12_GLOBAL__N_18offset_tEEE10hipError_tPvRmT1_PNSt15iterator_traitsISK_E10value_typeET2_T3_PNSL_ISQ_E10value_typeET4_jRbjT5_SW_jjP12ihipStream_tbEUlT_E1_NS1_11comp_targetILNS1_3genE2ELNS1_11target_archE906ELNS1_3gpuE6ELNS1_3repE0EEENS1_59segmented_radix_sort_warp_sort_small_config_static_selectorELNS0_4arch9wavefront6targetE0EEEvSK_,comdat
.Lfunc_end312:
	.size	_ZN7rocprim17ROCPRIM_400000_NS6detail17trampoline_kernelINS0_14default_configENS1_36segmented_radix_sort_config_selectorIalEEZNS1_25segmented_radix_sort_implIS3_Lb1EPKaPaPKlPlN2at6native12_GLOBAL__N_18offset_tEEE10hipError_tPvRmT1_PNSt15iterator_traitsISK_E10value_typeET2_T3_PNSL_ISQ_E10value_typeET4_jRbjT5_SW_jjP12ihipStream_tbEUlT_E1_NS1_11comp_targetILNS1_3genE2ELNS1_11target_archE906ELNS1_3gpuE6ELNS1_3repE0EEENS1_59segmented_radix_sort_warp_sort_small_config_static_selectorELNS0_4arch9wavefront6targetE0EEEvSK_, .Lfunc_end312-_ZN7rocprim17ROCPRIM_400000_NS6detail17trampoline_kernelINS0_14default_configENS1_36segmented_radix_sort_config_selectorIalEEZNS1_25segmented_radix_sort_implIS3_Lb1EPKaPaPKlPlN2at6native12_GLOBAL__N_18offset_tEEE10hipError_tPvRmT1_PNSt15iterator_traitsISK_E10value_typeET2_T3_PNSL_ISQ_E10value_typeET4_jRbjT5_SW_jjP12ihipStream_tbEUlT_E1_NS1_11comp_targetILNS1_3genE2ELNS1_11target_archE906ELNS1_3gpuE6ELNS1_3repE0EEENS1_59segmented_radix_sort_warp_sort_small_config_static_selectorELNS0_4arch9wavefront6targetE0EEEvSK_
                                        ; -- End function
	.set _ZN7rocprim17ROCPRIM_400000_NS6detail17trampoline_kernelINS0_14default_configENS1_36segmented_radix_sort_config_selectorIalEEZNS1_25segmented_radix_sort_implIS3_Lb1EPKaPaPKlPlN2at6native12_GLOBAL__N_18offset_tEEE10hipError_tPvRmT1_PNSt15iterator_traitsISK_E10value_typeET2_T3_PNSL_ISQ_E10value_typeET4_jRbjT5_SW_jjP12ihipStream_tbEUlT_E1_NS1_11comp_targetILNS1_3genE2ELNS1_11target_archE906ELNS1_3gpuE6ELNS1_3repE0EEENS1_59segmented_radix_sort_warp_sort_small_config_static_selectorELNS0_4arch9wavefront6targetE0EEEvSK_.num_vgpr, 0
	.set _ZN7rocprim17ROCPRIM_400000_NS6detail17trampoline_kernelINS0_14default_configENS1_36segmented_radix_sort_config_selectorIalEEZNS1_25segmented_radix_sort_implIS3_Lb1EPKaPaPKlPlN2at6native12_GLOBAL__N_18offset_tEEE10hipError_tPvRmT1_PNSt15iterator_traitsISK_E10value_typeET2_T3_PNSL_ISQ_E10value_typeET4_jRbjT5_SW_jjP12ihipStream_tbEUlT_E1_NS1_11comp_targetILNS1_3genE2ELNS1_11target_archE906ELNS1_3gpuE6ELNS1_3repE0EEENS1_59segmented_radix_sort_warp_sort_small_config_static_selectorELNS0_4arch9wavefront6targetE0EEEvSK_.num_agpr, 0
	.set _ZN7rocprim17ROCPRIM_400000_NS6detail17trampoline_kernelINS0_14default_configENS1_36segmented_radix_sort_config_selectorIalEEZNS1_25segmented_radix_sort_implIS3_Lb1EPKaPaPKlPlN2at6native12_GLOBAL__N_18offset_tEEE10hipError_tPvRmT1_PNSt15iterator_traitsISK_E10value_typeET2_T3_PNSL_ISQ_E10value_typeET4_jRbjT5_SW_jjP12ihipStream_tbEUlT_E1_NS1_11comp_targetILNS1_3genE2ELNS1_11target_archE906ELNS1_3gpuE6ELNS1_3repE0EEENS1_59segmented_radix_sort_warp_sort_small_config_static_selectorELNS0_4arch9wavefront6targetE0EEEvSK_.numbered_sgpr, 0
	.set _ZN7rocprim17ROCPRIM_400000_NS6detail17trampoline_kernelINS0_14default_configENS1_36segmented_radix_sort_config_selectorIalEEZNS1_25segmented_radix_sort_implIS3_Lb1EPKaPaPKlPlN2at6native12_GLOBAL__N_18offset_tEEE10hipError_tPvRmT1_PNSt15iterator_traitsISK_E10value_typeET2_T3_PNSL_ISQ_E10value_typeET4_jRbjT5_SW_jjP12ihipStream_tbEUlT_E1_NS1_11comp_targetILNS1_3genE2ELNS1_11target_archE906ELNS1_3gpuE6ELNS1_3repE0EEENS1_59segmented_radix_sort_warp_sort_small_config_static_selectorELNS0_4arch9wavefront6targetE0EEEvSK_.num_named_barrier, 0
	.set _ZN7rocprim17ROCPRIM_400000_NS6detail17trampoline_kernelINS0_14default_configENS1_36segmented_radix_sort_config_selectorIalEEZNS1_25segmented_radix_sort_implIS3_Lb1EPKaPaPKlPlN2at6native12_GLOBAL__N_18offset_tEEE10hipError_tPvRmT1_PNSt15iterator_traitsISK_E10value_typeET2_T3_PNSL_ISQ_E10value_typeET4_jRbjT5_SW_jjP12ihipStream_tbEUlT_E1_NS1_11comp_targetILNS1_3genE2ELNS1_11target_archE906ELNS1_3gpuE6ELNS1_3repE0EEENS1_59segmented_radix_sort_warp_sort_small_config_static_selectorELNS0_4arch9wavefront6targetE0EEEvSK_.private_seg_size, 0
	.set _ZN7rocprim17ROCPRIM_400000_NS6detail17trampoline_kernelINS0_14default_configENS1_36segmented_radix_sort_config_selectorIalEEZNS1_25segmented_radix_sort_implIS3_Lb1EPKaPaPKlPlN2at6native12_GLOBAL__N_18offset_tEEE10hipError_tPvRmT1_PNSt15iterator_traitsISK_E10value_typeET2_T3_PNSL_ISQ_E10value_typeET4_jRbjT5_SW_jjP12ihipStream_tbEUlT_E1_NS1_11comp_targetILNS1_3genE2ELNS1_11target_archE906ELNS1_3gpuE6ELNS1_3repE0EEENS1_59segmented_radix_sort_warp_sort_small_config_static_selectorELNS0_4arch9wavefront6targetE0EEEvSK_.uses_vcc, 0
	.set _ZN7rocprim17ROCPRIM_400000_NS6detail17trampoline_kernelINS0_14default_configENS1_36segmented_radix_sort_config_selectorIalEEZNS1_25segmented_radix_sort_implIS3_Lb1EPKaPaPKlPlN2at6native12_GLOBAL__N_18offset_tEEE10hipError_tPvRmT1_PNSt15iterator_traitsISK_E10value_typeET2_T3_PNSL_ISQ_E10value_typeET4_jRbjT5_SW_jjP12ihipStream_tbEUlT_E1_NS1_11comp_targetILNS1_3genE2ELNS1_11target_archE906ELNS1_3gpuE6ELNS1_3repE0EEENS1_59segmented_radix_sort_warp_sort_small_config_static_selectorELNS0_4arch9wavefront6targetE0EEEvSK_.uses_flat_scratch, 0
	.set _ZN7rocprim17ROCPRIM_400000_NS6detail17trampoline_kernelINS0_14default_configENS1_36segmented_radix_sort_config_selectorIalEEZNS1_25segmented_radix_sort_implIS3_Lb1EPKaPaPKlPlN2at6native12_GLOBAL__N_18offset_tEEE10hipError_tPvRmT1_PNSt15iterator_traitsISK_E10value_typeET2_T3_PNSL_ISQ_E10value_typeET4_jRbjT5_SW_jjP12ihipStream_tbEUlT_E1_NS1_11comp_targetILNS1_3genE2ELNS1_11target_archE906ELNS1_3gpuE6ELNS1_3repE0EEENS1_59segmented_radix_sort_warp_sort_small_config_static_selectorELNS0_4arch9wavefront6targetE0EEEvSK_.has_dyn_sized_stack, 0
	.set _ZN7rocprim17ROCPRIM_400000_NS6detail17trampoline_kernelINS0_14default_configENS1_36segmented_radix_sort_config_selectorIalEEZNS1_25segmented_radix_sort_implIS3_Lb1EPKaPaPKlPlN2at6native12_GLOBAL__N_18offset_tEEE10hipError_tPvRmT1_PNSt15iterator_traitsISK_E10value_typeET2_T3_PNSL_ISQ_E10value_typeET4_jRbjT5_SW_jjP12ihipStream_tbEUlT_E1_NS1_11comp_targetILNS1_3genE2ELNS1_11target_archE906ELNS1_3gpuE6ELNS1_3repE0EEENS1_59segmented_radix_sort_warp_sort_small_config_static_selectorELNS0_4arch9wavefront6targetE0EEEvSK_.has_recursion, 0
	.set _ZN7rocprim17ROCPRIM_400000_NS6detail17trampoline_kernelINS0_14default_configENS1_36segmented_radix_sort_config_selectorIalEEZNS1_25segmented_radix_sort_implIS3_Lb1EPKaPaPKlPlN2at6native12_GLOBAL__N_18offset_tEEE10hipError_tPvRmT1_PNSt15iterator_traitsISK_E10value_typeET2_T3_PNSL_ISQ_E10value_typeET4_jRbjT5_SW_jjP12ihipStream_tbEUlT_E1_NS1_11comp_targetILNS1_3genE2ELNS1_11target_archE906ELNS1_3gpuE6ELNS1_3repE0EEENS1_59segmented_radix_sort_warp_sort_small_config_static_selectorELNS0_4arch9wavefront6targetE0EEEvSK_.has_indirect_call, 0
	.section	.AMDGPU.csdata,"",@progbits
; Kernel info:
; codeLenInByte = 0
; TotalNumSgprs: 0
; NumVgprs: 0
; ScratchSize: 0
; MemoryBound: 0
; FloatMode: 240
; IeeeMode: 1
; LDSByteSize: 0 bytes/workgroup (compile time only)
; SGPRBlocks: 0
; VGPRBlocks: 0
; NumSGPRsForWavesPerEU: 1
; NumVGPRsForWavesPerEU: 1
; NamedBarCnt: 0
; Occupancy: 16
; WaveLimiterHint : 0
; COMPUTE_PGM_RSRC2:SCRATCH_EN: 0
; COMPUTE_PGM_RSRC2:USER_SGPR: 2
; COMPUTE_PGM_RSRC2:TRAP_HANDLER: 0
; COMPUTE_PGM_RSRC2:TGID_X_EN: 1
; COMPUTE_PGM_RSRC2:TGID_Y_EN: 0
; COMPUTE_PGM_RSRC2:TGID_Z_EN: 0
; COMPUTE_PGM_RSRC2:TIDIG_COMP_CNT: 0
	.section	.text._ZN7rocprim17ROCPRIM_400000_NS6detail17trampoline_kernelINS0_14default_configENS1_36segmented_radix_sort_config_selectorIalEEZNS1_25segmented_radix_sort_implIS3_Lb1EPKaPaPKlPlN2at6native12_GLOBAL__N_18offset_tEEE10hipError_tPvRmT1_PNSt15iterator_traitsISK_E10value_typeET2_T3_PNSL_ISQ_E10value_typeET4_jRbjT5_SW_jjP12ihipStream_tbEUlT_E1_NS1_11comp_targetILNS1_3genE10ELNS1_11target_archE1201ELNS1_3gpuE5ELNS1_3repE0EEENS1_59segmented_radix_sort_warp_sort_small_config_static_selectorELNS0_4arch9wavefront6targetE0EEEvSK_,"axG",@progbits,_ZN7rocprim17ROCPRIM_400000_NS6detail17trampoline_kernelINS0_14default_configENS1_36segmented_radix_sort_config_selectorIalEEZNS1_25segmented_radix_sort_implIS3_Lb1EPKaPaPKlPlN2at6native12_GLOBAL__N_18offset_tEEE10hipError_tPvRmT1_PNSt15iterator_traitsISK_E10value_typeET2_T3_PNSL_ISQ_E10value_typeET4_jRbjT5_SW_jjP12ihipStream_tbEUlT_E1_NS1_11comp_targetILNS1_3genE10ELNS1_11target_archE1201ELNS1_3gpuE5ELNS1_3repE0EEENS1_59segmented_radix_sort_warp_sort_small_config_static_selectorELNS0_4arch9wavefront6targetE0EEEvSK_,comdat
	.globl	_ZN7rocprim17ROCPRIM_400000_NS6detail17trampoline_kernelINS0_14default_configENS1_36segmented_radix_sort_config_selectorIalEEZNS1_25segmented_radix_sort_implIS3_Lb1EPKaPaPKlPlN2at6native12_GLOBAL__N_18offset_tEEE10hipError_tPvRmT1_PNSt15iterator_traitsISK_E10value_typeET2_T3_PNSL_ISQ_E10value_typeET4_jRbjT5_SW_jjP12ihipStream_tbEUlT_E1_NS1_11comp_targetILNS1_3genE10ELNS1_11target_archE1201ELNS1_3gpuE5ELNS1_3repE0EEENS1_59segmented_radix_sort_warp_sort_small_config_static_selectorELNS0_4arch9wavefront6targetE0EEEvSK_ ; -- Begin function _ZN7rocprim17ROCPRIM_400000_NS6detail17trampoline_kernelINS0_14default_configENS1_36segmented_radix_sort_config_selectorIalEEZNS1_25segmented_radix_sort_implIS3_Lb1EPKaPaPKlPlN2at6native12_GLOBAL__N_18offset_tEEE10hipError_tPvRmT1_PNSt15iterator_traitsISK_E10value_typeET2_T3_PNSL_ISQ_E10value_typeET4_jRbjT5_SW_jjP12ihipStream_tbEUlT_E1_NS1_11comp_targetILNS1_3genE10ELNS1_11target_archE1201ELNS1_3gpuE5ELNS1_3repE0EEENS1_59segmented_radix_sort_warp_sort_small_config_static_selectorELNS0_4arch9wavefront6targetE0EEEvSK_
	.p2align	8
	.type	_ZN7rocprim17ROCPRIM_400000_NS6detail17trampoline_kernelINS0_14default_configENS1_36segmented_radix_sort_config_selectorIalEEZNS1_25segmented_radix_sort_implIS3_Lb1EPKaPaPKlPlN2at6native12_GLOBAL__N_18offset_tEEE10hipError_tPvRmT1_PNSt15iterator_traitsISK_E10value_typeET2_T3_PNSL_ISQ_E10value_typeET4_jRbjT5_SW_jjP12ihipStream_tbEUlT_E1_NS1_11comp_targetILNS1_3genE10ELNS1_11target_archE1201ELNS1_3gpuE5ELNS1_3repE0EEENS1_59segmented_radix_sort_warp_sort_small_config_static_selectorELNS0_4arch9wavefront6targetE0EEEvSK_,@function
_ZN7rocprim17ROCPRIM_400000_NS6detail17trampoline_kernelINS0_14default_configENS1_36segmented_radix_sort_config_selectorIalEEZNS1_25segmented_radix_sort_implIS3_Lb1EPKaPaPKlPlN2at6native12_GLOBAL__N_18offset_tEEE10hipError_tPvRmT1_PNSt15iterator_traitsISK_E10value_typeET2_T3_PNSL_ISQ_E10value_typeET4_jRbjT5_SW_jjP12ihipStream_tbEUlT_E1_NS1_11comp_targetILNS1_3genE10ELNS1_11target_archE1201ELNS1_3gpuE5ELNS1_3repE0EEENS1_59segmented_radix_sort_warp_sort_small_config_static_selectorELNS0_4arch9wavefront6targetE0EEEvSK_: ; @_ZN7rocprim17ROCPRIM_400000_NS6detail17trampoline_kernelINS0_14default_configENS1_36segmented_radix_sort_config_selectorIalEEZNS1_25segmented_radix_sort_implIS3_Lb1EPKaPaPKlPlN2at6native12_GLOBAL__N_18offset_tEEE10hipError_tPvRmT1_PNSt15iterator_traitsISK_E10value_typeET2_T3_PNSL_ISQ_E10value_typeET4_jRbjT5_SW_jjP12ihipStream_tbEUlT_E1_NS1_11comp_targetILNS1_3genE10ELNS1_11target_archE1201ELNS1_3gpuE5ELNS1_3repE0EEENS1_59segmented_radix_sort_warp_sort_small_config_static_selectorELNS0_4arch9wavefront6targetE0EEEvSK_
; %bb.0:
	.section	.rodata,"a",@progbits
	.p2align	6, 0x0
	.amdhsa_kernel _ZN7rocprim17ROCPRIM_400000_NS6detail17trampoline_kernelINS0_14default_configENS1_36segmented_radix_sort_config_selectorIalEEZNS1_25segmented_radix_sort_implIS3_Lb1EPKaPaPKlPlN2at6native12_GLOBAL__N_18offset_tEEE10hipError_tPvRmT1_PNSt15iterator_traitsISK_E10value_typeET2_T3_PNSL_ISQ_E10value_typeET4_jRbjT5_SW_jjP12ihipStream_tbEUlT_E1_NS1_11comp_targetILNS1_3genE10ELNS1_11target_archE1201ELNS1_3gpuE5ELNS1_3repE0EEENS1_59segmented_radix_sort_warp_sort_small_config_static_selectorELNS0_4arch9wavefront6targetE0EEEvSK_
		.amdhsa_group_segment_fixed_size 0
		.amdhsa_private_segment_fixed_size 0
		.amdhsa_kernarg_size 88
		.amdhsa_user_sgpr_count 2
		.amdhsa_user_sgpr_dispatch_ptr 0
		.amdhsa_user_sgpr_queue_ptr 0
		.amdhsa_user_sgpr_kernarg_segment_ptr 1
		.amdhsa_user_sgpr_dispatch_id 0
		.amdhsa_user_sgpr_kernarg_preload_length 0
		.amdhsa_user_sgpr_kernarg_preload_offset 0
		.amdhsa_user_sgpr_private_segment_size 0
		.amdhsa_wavefront_size32 1
		.amdhsa_uses_dynamic_stack 0
		.amdhsa_enable_private_segment 0
		.amdhsa_system_sgpr_workgroup_id_x 1
		.amdhsa_system_sgpr_workgroup_id_y 0
		.amdhsa_system_sgpr_workgroup_id_z 0
		.amdhsa_system_sgpr_workgroup_info 0
		.amdhsa_system_vgpr_workitem_id 0
		.amdhsa_next_free_vgpr 1
		.amdhsa_next_free_sgpr 1
		.amdhsa_named_barrier_count 0
		.amdhsa_reserve_vcc 0
		.amdhsa_float_round_mode_32 0
		.amdhsa_float_round_mode_16_64 0
		.amdhsa_float_denorm_mode_32 3
		.amdhsa_float_denorm_mode_16_64 3
		.amdhsa_fp16_overflow 0
		.amdhsa_memory_ordered 1
		.amdhsa_forward_progress 1
		.amdhsa_inst_pref_size 0
		.amdhsa_round_robin_scheduling 0
		.amdhsa_exception_fp_ieee_invalid_op 0
		.amdhsa_exception_fp_denorm_src 0
		.amdhsa_exception_fp_ieee_div_zero 0
		.amdhsa_exception_fp_ieee_overflow 0
		.amdhsa_exception_fp_ieee_underflow 0
		.amdhsa_exception_fp_ieee_inexact 0
		.amdhsa_exception_int_div_zero 0
	.end_amdhsa_kernel
	.section	.text._ZN7rocprim17ROCPRIM_400000_NS6detail17trampoline_kernelINS0_14default_configENS1_36segmented_radix_sort_config_selectorIalEEZNS1_25segmented_radix_sort_implIS3_Lb1EPKaPaPKlPlN2at6native12_GLOBAL__N_18offset_tEEE10hipError_tPvRmT1_PNSt15iterator_traitsISK_E10value_typeET2_T3_PNSL_ISQ_E10value_typeET4_jRbjT5_SW_jjP12ihipStream_tbEUlT_E1_NS1_11comp_targetILNS1_3genE10ELNS1_11target_archE1201ELNS1_3gpuE5ELNS1_3repE0EEENS1_59segmented_radix_sort_warp_sort_small_config_static_selectorELNS0_4arch9wavefront6targetE0EEEvSK_,"axG",@progbits,_ZN7rocprim17ROCPRIM_400000_NS6detail17trampoline_kernelINS0_14default_configENS1_36segmented_radix_sort_config_selectorIalEEZNS1_25segmented_radix_sort_implIS3_Lb1EPKaPaPKlPlN2at6native12_GLOBAL__N_18offset_tEEE10hipError_tPvRmT1_PNSt15iterator_traitsISK_E10value_typeET2_T3_PNSL_ISQ_E10value_typeET4_jRbjT5_SW_jjP12ihipStream_tbEUlT_E1_NS1_11comp_targetILNS1_3genE10ELNS1_11target_archE1201ELNS1_3gpuE5ELNS1_3repE0EEENS1_59segmented_radix_sort_warp_sort_small_config_static_selectorELNS0_4arch9wavefront6targetE0EEEvSK_,comdat
.Lfunc_end313:
	.size	_ZN7rocprim17ROCPRIM_400000_NS6detail17trampoline_kernelINS0_14default_configENS1_36segmented_radix_sort_config_selectorIalEEZNS1_25segmented_radix_sort_implIS3_Lb1EPKaPaPKlPlN2at6native12_GLOBAL__N_18offset_tEEE10hipError_tPvRmT1_PNSt15iterator_traitsISK_E10value_typeET2_T3_PNSL_ISQ_E10value_typeET4_jRbjT5_SW_jjP12ihipStream_tbEUlT_E1_NS1_11comp_targetILNS1_3genE10ELNS1_11target_archE1201ELNS1_3gpuE5ELNS1_3repE0EEENS1_59segmented_radix_sort_warp_sort_small_config_static_selectorELNS0_4arch9wavefront6targetE0EEEvSK_, .Lfunc_end313-_ZN7rocprim17ROCPRIM_400000_NS6detail17trampoline_kernelINS0_14default_configENS1_36segmented_radix_sort_config_selectorIalEEZNS1_25segmented_radix_sort_implIS3_Lb1EPKaPaPKlPlN2at6native12_GLOBAL__N_18offset_tEEE10hipError_tPvRmT1_PNSt15iterator_traitsISK_E10value_typeET2_T3_PNSL_ISQ_E10value_typeET4_jRbjT5_SW_jjP12ihipStream_tbEUlT_E1_NS1_11comp_targetILNS1_3genE10ELNS1_11target_archE1201ELNS1_3gpuE5ELNS1_3repE0EEENS1_59segmented_radix_sort_warp_sort_small_config_static_selectorELNS0_4arch9wavefront6targetE0EEEvSK_
                                        ; -- End function
	.set _ZN7rocprim17ROCPRIM_400000_NS6detail17trampoline_kernelINS0_14default_configENS1_36segmented_radix_sort_config_selectorIalEEZNS1_25segmented_radix_sort_implIS3_Lb1EPKaPaPKlPlN2at6native12_GLOBAL__N_18offset_tEEE10hipError_tPvRmT1_PNSt15iterator_traitsISK_E10value_typeET2_T3_PNSL_ISQ_E10value_typeET4_jRbjT5_SW_jjP12ihipStream_tbEUlT_E1_NS1_11comp_targetILNS1_3genE10ELNS1_11target_archE1201ELNS1_3gpuE5ELNS1_3repE0EEENS1_59segmented_radix_sort_warp_sort_small_config_static_selectorELNS0_4arch9wavefront6targetE0EEEvSK_.num_vgpr, 0
	.set _ZN7rocprim17ROCPRIM_400000_NS6detail17trampoline_kernelINS0_14default_configENS1_36segmented_radix_sort_config_selectorIalEEZNS1_25segmented_radix_sort_implIS3_Lb1EPKaPaPKlPlN2at6native12_GLOBAL__N_18offset_tEEE10hipError_tPvRmT1_PNSt15iterator_traitsISK_E10value_typeET2_T3_PNSL_ISQ_E10value_typeET4_jRbjT5_SW_jjP12ihipStream_tbEUlT_E1_NS1_11comp_targetILNS1_3genE10ELNS1_11target_archE1201ELNS1_3gpuE5ELNS1_3repE0EEENS1_59segmented_radix_sort_warp_sort_small_config_static_selectorELNS0_4arch9wavefront6targetE0EEEvSK_.num_agpr, 0
	.set _ZN7rocprim17ROCPRIM_400000_NS6detail17trampoline_kernelINS0_14default_configENS1_36segmented_radix_sort_config_selectorIalEEZNS1_25segmented_radix_sort_implIS3_Lb1EPKaPaPKlPlN2at6native12_GLOBAL__N_18offset_tEEE10hipError_tPvRmT1_PNSt15iterator_traitsISK_E10value_typeET2_T3_PNSL_ISQ_E10value_typeET4_jRbjT5_SW_jjP12ihipStream_tbEUlT_E1_NS1_11comp_targetILNS1_3genE10ELNS1_11target_archE1201ELNS1_3gpuE5ELNS1_3repE0EEENS1_59segmented_radix_sort_warp_sort_small_config_static_selectorELNS0_4arch9wavefront6targetE0EEEvSK_.numbered_sgpr, 0
	.set _ZN7rocprim17ROCPRIM_400000_NS6detail17trampoline_kernelINS0_14default_configENS1_36segmented_radix_sort_config_selectorIalEEZNS1_25segmented_radix_sort_implIS3_Lb1EPKaPaPKlPlN2at6native12_GLOBAL__N_18offset_tEEE10hipError_tPvRmT1_PNSt15iterator_traitsISK_E10value_typeET2_T3_PNSL_ISQ_E10value_typeET4_jRbjT5_SW_jjP12ihipStream_tbEUlT_E1_NS1_11comp_targetILNS1_3genE10ELNS1_11target_archE1201ELNS1_3gpuE5ELNS1_3repE0EEENS1_59segmented_radix_sort_warp_sort_small_config_static_selectorELNS0_4arch9wavefront6targetE0EEEvSK_.num_named_barrier, 0
	.set _ZN7rocprim17ROCPRIM_400000_NS6detail17trampoline_kernelINS0_14default_configENS1_36segmented_radix_sort_config_selectorIalEEZNS1_25segmented_radix_sort_implIS3_Lb1EPKaPaPKlPlN2at6native12_GLOBAL__N_18offset_tEEE10hipError_tPvRmT1_PNSt15iterator_traitsISK_E10value_typeET2_T3_PNSL_ISQ_E10value_typeET4_jRbjT5_SW_jjP12ihipStream_tbEUlT_E1_NS1_11comp_targetILNS1_3genE10ELNS1_11target_archE1201ELNS1_3gpuE5ELNS1_3repE0EEENS1_59segmented_radix_sort_warp_sort_small_config_static_selectorELNS0_4arch9wavefront6targetE0EEEvSK_.private_seg_size, 0
	.set _ZN7rocprim17ROCPRIM_400000_NS6detail17trampoline_kernelINS0_14default_configENS1_36segmented_radix_sort_config_selectorIalEEZNS1_25segmented_radix_sort_implIS3_Lb1EPKaPaPKlPlN2at6native12_GLOBAL__N_18offset_tEEE10hipError_tPvRmT1_PNSt15iterator_traitsISK_E10value_typeET2_T3_PNSL_ISQ_E10value_typeET4_jRbjT5_SW_jjP12ihipStream_tbEUlT_E1_NS1_11comp_targetILNS1_3genE10ELNS1_11target_archE1201ELNS1_3gpuE5ELNS1_3repE0EEENS1_59segmented_radix_sort_warp_sort_small_config_static_selectorELNS0_4arch9wavefront6targetE0EEEvSK_.uses_vcc, 0
	.set _ZN7rocprim17ROCPRIM_400000_NS6detail17trampoline_kernelINS0_14default_configENS1_36segmented_radix_sort_config_selectorIalEEZNS1_25segmented_radix_sort_implIS3_Lb1EPKaPaPKlPlN2at6native12_GLOBAL__N_18offset_tEEE10hipError_tPvRmT1_PNSt15iterator_traitsISK_E10value_typeET2_T3_PNSL_ISQ_E10value_typeET4_jRbjT5_SW_jjP12ihipStream_tbEUlT_E1_NS1_11comp_targetILNS1_3genE10ELNS1_11target_archE1201ELNS1_3gpuE5ELNS1_3repE0EEENS1_59segmented_radix_sort_warp_sort_small_config_static_selectorELNS0_4arch9wavefront6targetE0EEEvSK_.uses_flat_scratch, 0
	.set _ZN7rocprim17ROCPRIM_400000_NS6detail17trampoline_kernelINS0_14default_configENS1_36segmented_radix_sort_config_selectorIalEEZNS1_25segmented_radix_sort_implIS3_Lb1EPKaPaPKlPlN2at6native12_GLOBAL__N_18offset_tEEE10hipError_tPvRmT1_PNSt15iterator_traitsISK_E10value_typeET2_T3_PNSL_ISQ_E10value_typeET4_jRbjT5_SW_jjP12ihipStream_tbEUlT_E1_NS1_11comp_targetILNS1_3genE10ELNS1_11target_archE1201ELNS1_3gpuE5ELNS1_3repE0EEENS1_59segmented_radix_sort_warp_sort_small_config_static_selectorELNS0_4arch9wavefront6targetE0EEEvSK_.has_dyn_sized_stack, 0
	.set _ZN7rocprim17ROCPRIM_400000_NS6detail17trampoline_kernelINS0_14default_configENS1_36segmented_radix_sort_config_selectorIalEEZNS1_25segmented_radix_sort_implIS3_Lb1EPKaPaPKlPlN2at6native12_GLOBAL__N_18offset_tEEE10hipError_tPvRmT1_PNSt15iterator_traitsISK_E10value_typeET2_T3_PNSL_ISQ_E10value_typeET4_jRbjT5_SW_jjP12ihipStream_tbEUlT_E1_NS1_11comp_targetILNS1_3genE10ELNS1_11target_archE1201ELNS1_3gpuE5ELNS1_3repE0EEENS1_59segmented_radix_sort_warp_sort_small_config_static_selectorELNS0_4arch9wavefront6targetE0EEEvSK_.has_recursion, 0
	.set _ZN7rocprim17ROCPRIM_400000_NS6detail17trampoline_kernelINS0_14default_configENS1_36segmented_radix_sort_config_selectorIalEEZNS1_25segmented_radix_sort_implIS3_Lb1EPKaPaPKlPlN2at6native12_GLOBAL__N_18offset_tEEE10hipError_tPvRmT1_PNSt15iterator_traitsISK_E10value_typeET2_T3_PNSL_ISQ_E10value_typeET4_jRbjT5_SW_jjP12ihipStream_tbEUlT_E1_NS1_11comp_targetILNS1_3genE10ELNS1_11target_archE1201ELNS1_3gpuE5ELNS1_3repE0EEENS1_59segmented_radix_sort_warp_sort_small_config_static_selectorELNS0_4arch9wavefront6targetE0EEEvSK_.has_indirect_call, 0
	.section	.AMDGPU.csdata,"",@progbits
; Kernel info:
; codeLenInByte = 0
; TotalNumSgprs: 0
; NumVgprs: 0
; ScratchSize: 0
; MemoryBound: 0
; FloatMode: 240
; IeeeMode: 1
; LDSByteSize: 0 bytes/workgroup (compile time only)
; SGPRBlocks: 0
; VGPRBlocks: 0
; NumSGPRsForWavesPerEU: 1
; NumVGPRsForWavesPerEU: 1
; NamedBarCnt: 0
; Occupancy: 16
; WaveLimiterHint : 0
; COMPUTE_PGM_RSRC2:SCRATCH_EN: 0
; COMPUTE_PGM_RSRC2:USER_SGPR: 2
; COMPUTE_PGM_RSRC2:TRAP_HANDLER: 0
; COMPUTE_PGM_RSRC2:TGID_X_EN: 1
; COMPUTE_PGM_RSRC2:TGID_Y_EN: 0
; COMPUTE_PGM_RSRC2:TGID_Z_EN: 0
; COMPUTE_PGM_RSRC2:TIDIG_COMP_CNT: 0
	.section	.text._ZN7rocprim17ROCPRIM_400000_NS6detail17trampoline_kernelINS0_14default_configENS1_36segmented_radix_sort_config_selectorIalEEZNS1_25segmented_radix_sort_implIS3_Lb1EPKaPaPKlPlN2at6native12_GLOBAL__N_18offset_tEEE10hipError_tPvRmT1_PNSt15iterator_traitsISK_E10value_typeET2_T3_PNSL_ISQ_E10value_typeET4_jRbjT5_SW_jjP12ihipStream_tbEUlT_E1_NS1_11comp_targetILNS1_3genE10ELNS1_11target_archE1200ELNS1_3gpuE4ELNS1_3repE0EEENS1_59segmented_radix_sort_warp_sort_small_config_static_selectorELNS0_4arch9wavefront6targetE0EEEvSK_,"axG",@progbits,_ZN7rocprim17ROCPRIM_400000_NS6detail17trampoline_kernelINS0_14default_configENS1_36segmented_radix_sort_config_selectorIalEEZNS1_25segmented_radix_sort_implIS3_Lb1EPKaPaPKlPlN2at6native12_GLOBAL__N_18offset_tEEE10hipError_tPvRmT1_PNSt15iterator_traitsISK_E10value_typeET2_T3_PNSL_ISQ_E10value_typeET4_jRbjT5_SW_jjP12ihipStream_tbEUlT_E1_NS1_11comp_targetILNS1_3genE10ELNS1_11target_archE1200ELNS1_3gpuE4ELNS1_3repE0EEENS1_59segmented_radix_sort_warp_sort_small_config_static_selectorELNS0_4arch9wavefront6targetE0EEEvSK_,comdat
	.globl	_ZN7rocprim17ROCPRIM_400000_NS6detail17trampoline_kernelINS0_14default_configENS1_36segmented_radix_sort_config_selectorIalEEZNS1_25segmented_radix_sort_implIS3_Lb1EPKaPaPKlPlN2at6native12_GLOBAL__N_18offset_tEEE10hipError_tPvRmT1_PNSt15iterator_traitsISK_E10value_typeET2_T3_PNSL_ISQ_E10value_typeET4_jRbjT5_SW_jjP12ihipStream_tbEUlT_E1_NS1_11comp_targetILNS1_3genE10ELNS1_11target_archE1200ELNS1_3gpuE4ELNS1_3repE0EEENS1_59segmented_radix_sort_warp_sort_small_config_static_selectorELNS0_4arch9wavefront6targetE0EEEvSK_ ; -- Begin function _ZN7rocprim17ROCPRIM_400000_NS6detail17trampoline_kernelINS0_14default_configENS1_36segmented_radix_sort_config_selectorIalEEZNS1_25segmented_radix_sort_implIS3_Lb1EPKaPaPKlPlN2at6native12_GLOBAL__N_18offset_tEEE10hipError_tPvRmT1_PNSt15iterator_traitsISK_E10value_typeET2_T3_PNSL_ISQ_E10value_typeET4_jRbjT5_SW_jjP12ihipStream_tbEUlT_E1_NS1_11comp_targetILNS1_3genE10ELNS1_11target_archE1200ELNS1_3gpuE4ELNS1_3repE0EEENS1_59segmented_radix_sort_warp_sort_small_config_static_selectorELNS0_4arch9wavefront6targetE0EEEvSK_
	.p2align	8
	.type	_ZN7rocprim17ROCPRIM_400000_NS6detail17trampoline_kernelINS0_14default_configENS1_36segmented_radix_sort_config_selectorIalEEZNS1_25segmented_radix_sort_implIS3_Lb1EPKaPaPKlPlN2at6native12_GLOBAL__N_18offset_tEEE10hipError_tPvRmT1_PNSt15iterator_traitsISK_E10value_typeET2_T3_PNSL_ISQ_E10value_typeET4_jRbjT5_SW_jjP12ihipStream_tbEUlT_E1_NS1_11comp_targetILNS1_3genE10ELNS1_11target_archE1200ELNS1_3gpuE4ELNS1_3repE0EEENS1_59segmented_radix_sort_warp_sort_small_config_static_selectorELNS0_4arch9wavefront6targetE0EEEvSK_,@function
_ZN7rocprim17ROCPRIM_400000_NS6detail17trampoline_kernelINS0_14default_configENS1_36segmented_radix_sort_config_selectorIalEEZNS1_25segmented_radix_sort_implIS3_Lb1EPKaPaPKlPlN2at6native12_GLOBAL__N_18offset_tEEE10hipError_tPvRmT1_PNSt15iterator_traitsISK_E10value_typeET2_T3_PNSL_ISQ_E10value_typeET4_jRbjT5_SW_jjP12ihipStream_tbEUlT_E1_NS1_11comp_targetILNS1_3genE10ELNS1_11target_archE1200ELNS1_3gpuE4ELNS1_3repE0EEENS1_59segmented_radix_sort_warp_sort_small_config_static_selectorELNS0_4arch9wavefront6targetE0EEEvSK_: ; @_ZN7rocprim17ROCPRIM_400000_NS6detail17trampoline_kernelINS0_14default_configENS1_36segmented_radix_sort_config_selectorIalEEZNS1_25segmented_radix_sort_implIS3_Lb1EPKaPaPKlPlN2at6native12_GLOBAL__N_18offset_tEEE10hipError_tPvRmT1_PNSt15iterator_traitsISK_E10value_typeET2_T3_PNSL_ISQ_E10value_typeET4_jRbjT5_SW_jjP12ihipStream_tbEUlT_E1_NS1_11comp_targetILNS1_3genE10ELNS1_11target_archE1200ELNS1_3gpuE4ELNS1_3repE0EEENS1_59segmented_radix_sort_warp_sort_small_config_static_selectorELNS0_4arch9wavefront6targetE0EEEvSK_
; %bb.0:
	.section	.rodata,"a",@progbits
	.p2align	6, 0x0
	.amdhsa_kernel _ZN7rocprim17ROCPRIM_400000_NS6detail17trampoline_kernelINS0_14default_configENS1_36segmented_radix_sort_config_selectorIalEEZNS1_25segmented_radix_sort_implIS3_Lb1EPKaPaPKlPlN2at6native12_GLOBAL__N_18offset_tEEE10hipError_tPvRmT1_PNSt15iterator_traitsISK_E10value_typeET2_T3_PNSL_ISQ_E10value_typeET4_jRbjT5_SW_jjP12ihipStream_tbEUlT_E1_NS1_11comp_targetILNS1_3genE10ELNS1_11target_archE1200ELNS1_3gpuE4ELNS1_3repE0EEENS1_59segmented_radix_sort_warp_sort_small_config_static_selectorELNS0_4arch9wavefront6targetE0EEEvSK_
		.amdhsa_group_segment_fixed_size 0
		.amdhsa_private_segment_fixed_size 0
		.amdhsa_kernarg_size 88
		.amdhsa_user_sgpr_count 2
		.amdhsa_user_sgpr_dispatch_ptr 0
		.amdhsa_user_sgpr_queue_ptr 0
		.amdhsa_user_sgpr_kernarg_segment_ptr 1
		.amdhsa_user_sgpr_dispatch_id 0
		.amdhsa_user_sgpr_kernarg_preload_length 0
		.amdhsa_user_sgpr_kernarg_preload_offset 0
		.amdhsa_user_sgpr_private_segment_size 0
		.amdhsa_wavefront_size32 1
		.amdhsa_uses_dynamic_stack 0
		.amdhsa_enable_private_segment 0
		.amdhsa_system_sgpr_workgroup_id_x 1
		.amdhsa_system_sgpr_workgroup_id_y 0
		.amdhsa_system_sgpr_workgroup_id_z 0
		.amdhsa_system_sgpr_workgroup_info 0
		.amdhsa_system_vgpr_workitem_id 0
		.amdhsa_next_free_vgpr 1
		.amdhsa_next_free_sgpr 1
		.amdhsa_named_barrier_count 0
		.amdhsa_reserve_vcc 0
		.amdhsa_float_round_mode_32 0
		.amdhsa_float_round_mode_16_64 0
		.amdhsa_float_denorm_mode_32 3
		.amdhsa_float_denorm_mode_16_64 3
		.amdhsa_fp16_overflow 0
		.amdhsa_memory_ordered 1
		.amdhsa_forward_progress 1
		.amdhsa_inst_pref_size 0
		.amdhsa_round_robin_scheduling 0
		.amdhsa_exception_fp_ieee_invalid_op 0
		.amdhsa_exception_fp_denorm_src 0
		.amdhsa_exception_fp_ieee_div_zero 0
		.amdhsa_exception_fp_ieee_overflow 0
		.amdhsa_exception_fp_ieee_underflow 0
		.amdhsa_exception_fp_ieee_inexact 0
		.amdhsa_exception_int_div_zero 0
	.end_amdhsa_kernel
	.section	.text._ZN7rocprim17ROCPRIM_400000_NS6detail17trampoline_kernelINS0_14default_configENS1_36segmented_radix_sort_config_selectorIalEEZNS1_25segmented_radix_sort_implIS3_Lb1EPKaPaPKlPlN2at6native12_GLOBAL__N_18offset_tEEE10hipError_tPvRmT1_PNSt15iterator_traitsISK_E10value_typeET2_T3_PNSL_ISQ_E10value_typeET4_jRbjT5_SW_jjP12ihipStream_tbEUlT_E1_NS1_11comp_targetILNS1_3genE10ELNS1_11target_archE1200ELNS1_3gpuE4ELNS1_3repE0EEENS1_59segmented_radix_sort_warp_sort_small_config_static_selectorELNS0_4arch9wavefront6targetE0EEEvSK_,"axG",@progbits,_ZN7rocprim17ROCPRIM_400000_NS6detail17trampoline_kernelINS0_14default_configENS1_36segmented_radix_sort_config_selectorIalEEZNS1_25segmented_radix_sort_implIS3_Lb1EPKaPaPKlPlN2at6native12_GLOBAL__N_18offset_tEEE10hipError_tPvRmT1_PNSt15iterator_traitsISK_E10value_typeET2_T3_PNSL_ISQ_E10value_typeET4_jRbjT5_SW_jjP12ihipStream_tbEUlT_E1_NS1_11comp_targetILNS1_3genE10ELNS1_11target_archE1200ELNS1_3gpuE4ELNS1_3repE0EEENS1_59segmented_radix_sort_warp_sort_small_config_static_selectorELNS0_4arch9wavefront6targetE0EEEvSK_,comdat
.Lfunc_end314:
	.size	_ZN7rocprim17ROCPRIM_400000_NS6detail17trampoline_kernelINS0_14default_configENS1_36segmented_radix_sort_config_selectorIalEEZNS1_25segmented_radix_sort_implIS3_Lb1EPKaPaPKlPlN2at6native12_GLOBAL__N_18offset_tEEE10hipError_tPvRmT1_PNSt15iterator_traitsISK_E10value_typeET2_T3_PNSL_ISQ_E10value_typeET4_jRbjT5_SW_jjP12ihipStream_tbEUlT_E1_NS1_11comp_targetILNS1_3genE10ELNS1_11target_archE1200ELNS1_3gpuE4ELNS1_3repE0EEENS1_59segmented_radix_sort_warp_sort_small_config_static_selectorELNS0_4arch9wavefront6targetE0EEEvSK_, .Lfunc_end314-_ZN7rocprim17ROCPRIM_400000_NS6detail17trampoline_kernelINS0_14default_configENS1_36segmented_radix_sort_config_selectorIalEEZNS1_25segmented_radix_sort_implIS3_Lb1EPKaPaPKlPlN2at6native12_GLOBAL__N_18offset_tEEE10hipError_tPvRmT1_PNSt15iterator_traitsISK_E10value_typeET2_T3_PNSL_ISQ_E10value_typeET4_jRbjT5_SW_jjP12ihipStream_tbEUlT_E1_NS1_11comp_targetILNS1_3genE10ELNS1_11target_archE1200ELNS1_3gpuE4ELNS1_3repE0EEENS1_59segmented_radix_sort_warp_sort_small_config_static_selectorELNS0_4arch9wavefront6targetE0EEEvSK_
                                        ; -- End function
	.set _ZN7rocprim17ROCPRIM_400000_NS6detail17trampoline_kernelINS0_14default_configENS1_36segmented_radix_sort_config_selectorIalEEZNS1_25segmented_radix_sort_implIS3_Lb1EPKaPaPKlPlN2at6native12_GLOBAL__N_18offset_tEEE10hipError_tPvRmT1_PNSt15iterator_traitsISK_E10value_typeET2_T3_PNSL_ISQ_E10value_typeET4_jRbjT5_SW_jjP12ihipStream_tbEUlT_E1_NS1_11comp_targetILNS1_3genE10ELNS1_11target_archE1200ELNS1_3gpuE4ELNS1_3repE0EEENS1_59segmented_radix_sort_warp_sort_small_config_static_selectorELNS0_4arch9wavefront6targetE0EEEvSK_.num_vgpr, 0
	.set _ZN7rocprim17ROCPRIM_400000_NS6detail17trampoline_kernelINS0_14default_configENS1_36segmented_radix_sort_config_selectorIalEEZNS1_25segmented_radix_sort_implIS3_Lb1EPKaPaPKlPlN2at6native12_GLOBAL__N_18offset_tEEE10hipError_tPvRmT1_PNSt15iterator_traitsISK_E10value_typeET2_T3_PNSL_ISQ_E10value_typeET4_jRbjT5_SW_jjP12ihipStream_tbEUlT_E1_NS1_11comp_targetILNS1_3genE10ELNS1_11target_archE1200ELNS1_3gpuE4ELNS1_3repE0EEENS1_59segmented_radix_sort_warp_sort_small_config_static_selectorELNS0_4arch9wavefront6targetE0EEEvSK_.num_agpr, 0
	.set _ZN7rocprim17ROCPRIM_400000_NS6detail17trampoline_kernelINS0_14default_configENS1_36segmented_radix_sort_config_selectorIalEEZNS1_25segmented_radix_sort_implIS3_Lb1EPKaPaPKlPlN2at6native12_GLOBAL__N_18offset_tEEE10hipError_tPvRmT1_PNSt15iterator_traitsISK_E10value_typeET2_T3_PNSL_ISQ_E10value_typeET4_jRbjT5_SW_jjP12ihipStream_tbEUlT_E1_NS1_11comp_targetILNS1_3genE10ELNS1_11target_archE1200ELNS1_3gpuE4ELNS1_3repE0EEENS1_59segmented_radix_sort_warp_sort_small_config_static_selectorELNS0_4arch9wavefront6targetE0EEEvSK_.numbered_sgpr, 0
	.set _ZN7rocprim17ROCPRIM_400000_NS6detail17trampoline_kernelINS0_14default_configENS1_36segmented_radix_sort_config_selectorIalEEZNS1_25segmented_radix_sort_implIS3_Lb1EPKaPaPKlPlN2at6native12_GLOBAL__N_18offset_tEEE10hipError_tPvRmT1_PNSt15iterator_traitsISK_E10value_typeET2_T3_PNSL_ISQ_E10value_typeET4_jRbjT5_SW_jjP12ihipStream_tbEUlT_E1_NS1_11comp_targetILNS1_3genE10ELNS1_11target_archE1200ELNS1_3gpuE4ELNS1_3repE0EEENS1_59segmented_radix_sort_warp_sort_small_config_static_selectorELNS0_4arch9wavefront6targetE0EEEvSK_.num_named_barrier, 0
	.set _ZN7rocprim17ROCPRIM_400000_NS6detail17trampoline_kernelINS0_14default_configENS1_36segmented_radix_sort_config_selectorIalEEZNS1_25segmented_radix_sort_implIS3_Lb1EPKaPaPKlPlN2at6native12_GLOBAL__N_18offset_tEEE10hipError_tPvRmT1_PNSt15iterator_traitsISK_E10value_typeET2_T3_PNSL_ISQ_E10value_typeET4_jRbjT5_SW_jjP12ihipStream_tbEUlT_E1_NS1_11comp_targetILNS1_3genE10ELNS1_11target_archE1200ELNS1_3gpuE4ELNS1_3repE0EEENS1_59segmented_radix_sort_warp_sort_small_config_static_selectorELNS0_4arch9wavefront6targetE0EEEvSK_.private_seg_size, 0
	.set _ZN7rocprim17ROCPRIM_400000_NS6detail17trampoline_kernelINS0_14default_configENS1_36segmented_radix_sort_config_selectorIalEEZNS1_25segmented_radix_sort_implIS3_Lb1EPKaPaPKlPlN2at6native12_GLOBAL__N_18offset_tEEE10hipError_tPvRmT1_PNSt15iterator_traitsISK_E10value_typeET2_T3_PNSL_ISQ_E10value_typeET4_jRbjT5_SW_jjP12ihipStream_tbEUlT_E1_NS1_11comp_targetILNS1_3genE10ELNS1_11target_archE1200ELNS1_3gpuE4ELNS1_3repE0EEENS1_59segmented_radix_sort_warp_sort_small_config_static_selectorELNS0_4arch9wavefront6targetE0EEEvSK_.uses_vcc, 0
	.set _ZN7rocprim17ROCPRIM_400000_NS6detail17trampoline_kernelINS0_14default_configENS1_36segmented_radix_sort_config_selectorIalEEZNS1_25segmented_radix_sort_implIS3_Lb1EPKaPaPKlPlN2at6native12_GLOBAL__N_18offset_tEEE10hipError_tPvRmT1_PNSt15iterator_traitsISK_E10value_typeET2_T3_PNSL_ISQ_E10value_typeET4_jRbjT5_SW_jjP12ihipStream_tbEUlT_E1_NS1_11comp_targetILNS1_3genE10ELNS1_11target_archE1200ELNS1_3gpuE4ELNS1_3repE0EEENS1_59segmented_radix_sort_warp_sort_small_config_static_selectorELNS0_4arch9wavefront6targetE0EEEvSK_.uses_flat_scratch, 0
	.set _ZN7rocprim17ROCPRIM_400000_NS6detail17trampoline_kernelINS0_14default_configENS1_36segmented_radix_sort_config_selectorIalEEZNS1_25segmented_radix_sort_implIS3_Lb1EPKaPaPKlPlN2at6native12_GLOBAL__N_18offset_tEEE10hipError_tPvRmT1_PNSt15iterator_traitsISK_E10value_typeET2_T3_PNSL_ISQ_E10value_typeET4_jRbjT5_SW_jjP12ihipStream_tbEUlT_E1_NS1_11comp_targetILNS1_3genE10ELNS1_11target_archE1200ELNS1_3gpuE4ELNS1_3repE0EEENS1_59segmented_radix_sort_warp_sort_small_config_static_selectorELNS0_4arch9wavefront6targetE0EEEvSK_.has_dyn_sized_stack, 0
	.set _ZN7rocprim17ROCPRIM_400000_NS6detail17trampoline_kernelINS0_14default_configENS1_36segmented_radix_sort_config_selectorIalEEZNS1_25segmented_radix_sort_implIS3_Lb1EPKaPaPKlPlN2at6native12_GLOBAL__N_18offset_tEEE10hipError_tPvRmT1_PNSt15iterator_traitsISK_E10value_typeET2_T3_PNSL_ISQ_E10value_typeET4_jRbjT5_SW_jjP12ihipStream_tbEUlT_E1_NS1_11comp_targetILNS1_3genE10ELNS1_11target_archE1200ELNS1_3gpuE4ELNS1_3repE0EEENS1_59segmented_radix_sort_warp_sort_small_config_static_selectorELNS0_4arch9wavefront6targetE0EEEvSK_.has_recursion, 0
	.set _ZN7rocprim17ROCPRIM_400000_NS6detail17trampoline_kernelINS0_14default_configENS1_36segmented_radix_sort_config_selectorIalEEZNS1_25segmented_radix_sort_implIS3_Lb1EPKaPaPKlPlN2at6native12_GLOBAL__N_18offset_tEEE10hipError_tPvRmT1_PNSt15iterator_traitsISK_E10value_typeET2_T3_PNSL_ISQ_E10value_typeET4_jRbjT5_SW_jjP12ihipStream_tbEUlT_E1_NS1_11comp_targetILNS1_3genE10ELNS1_11target_archE1200ELNS1_3gpuE4ELNS1_3repE0EEENS1_59segmented_radix_sort_warp_sort_small_config_static_selectorELNS0_4arch9wavefront6targetE0EEEvSK_.has_indirect_call, 0
	.section	.AMDGPU.csdata,"",@progbits
; Kernel info:
; codeLenInByte = 0
; TotalNumSgprs: 0
; NumVgprs: 0
; ScratchSize: 0
; MemoryBound: 0
; FloatMode: 240
; IeeeMode: 1
; LDSByteSize: 0 bytes/workgroup (compile time only)
; SGPRBlocks: 0
; VGPRBlocks: 0
; NumSGPRsForWavesPerEU: 1
; NumVGPRsForWavesPerEU: 1
; NamedBarCnt: 0
; Occupancy: 16
; WaveLimiterHint : 0
; COMPUTE_PGM_RSRC2:SCRATCH_EN: 0
; COMPUTE_PGM_RSRC2:USER_SGPR: 2
; COMPUTE_PGM_RSRC2:TRAP_HANDLER: 0
; COMPUTE_PGM_RSRC2:TGID_X_EN: 1
; COMPUTE_PGM_RSRC2:TGID_Y_EN: 0
; COMPUTE_PGM_RSRC2:TGID_Z_EN: 0
; COMPUTE_PGM_RSRC2:TIDIG_COMP_CNT: 0
	.section	.text._ZN7rocprim17ROCPRIM_400000_NS6detail17trampoline_kernelINS0_14default_configENS1_36segmented_radix_sort_config_selectorIalEEZNS1_25segmented_radix_sort_implIS3_Lb1EPKaPaPKlPlN2at6native12_GLOBAL__N_18offset_tEEE10hipError_tPvRmT1_PNSt15iterator_traitsISK_E10value_typeET2_T3_PNSL_ISQ_E10value_typeET4_jRbjT5_SW_jjP12ihipStream_tbEUlT_E1_NS1_11comp_targetILNS1_3genE9ELNS1_11target_archE1100ELNS1_3gpuE3ELNS1_3repE0EEENS1_59segmented_radix_sort_warp_sort_small_config_static_selectorELNS0_4arch9wavefront6targetE0EEEvSK_,"axG",@progbits,_ZN7rocprim17ROCPRIM_400000_NS6detail17trampoline_kernelINS0_14default_configENS1_36segmented_radix_sort_config_selectorIalEEZNS1_25segmented_radix_sort_implIS3_Lb1EPKaPaPKlPlN2at6native12_GLOBAL__N_18offset_tEEE10hipError_tPvRmT1_PNSt15iterator_traitsISK_E10value_typeET2_T3_PNSL_ISQ_E10value_typeET4_jRbjT5_SW_jjP12ihipStream_tbEUlT_E1_NS1_11comp_targetILNS1_3genE9ELNS1_11target_archE1100ELNS1_3gpuE3ELNS1_3repE0EEENS1_59segmented_radix_sort_warp_sort_small_config_static_selectorELNS0_4arch9wavefront6targetE0EEEvSK_,comdat
	.globl	_ZN7rocprim17ROCPRIM_400000_NS6detail17trampoline_kernelINS0_14default_configENS1_36segmented_radix_sort_config_selectorIalEEZNS1_25segmented_radix_sort_implIS3_Lb1EPKaPaPKlPlN2at6native12_GLOBAL__N_18offset_tEEE10hipError_tPvRmT1_PNSt15iterator_traitsISK_E10value_typeET2_T3_PNSL_ISQ_E10value_typeET4_jRbjT5_SW_jjP12ihipStream_tbEUlT_E1_NS1_11comp_targetILNS1_3genE9ELNS1_11target_archE1100ELNS1_3gpuE3ELNS1_3repE0EEENS1_59segmented_radix_sort_warp_sort_small_config_static_selectorELNS0_4arch9wavefront6targetE0EEEvSK_ ; -- Begin function _ZN7rocprim17ROCPRIM_400000_NS6detail17trampoline_kernelINS0_14default_configENS1_36segmented_radix_sort_config_selectorIalEEZNS1_25segmented_radix_sort_implIS3_Lb1EPKaPaPKlPlN2at6native12_GLOBAL__N_18offset_tEEE10hipError_tPvRmT1_PNSt15iterator_traitsISK_E10value_typeET2_T3_PNSL_ISQ_E10value_typeET4_jRbjT5_SW_jjP12ihipStream_tbEUlT_E1_NS1_11comp_targetILNS1_3genE9ELNS1_11target_archE1100ELNS1_3gpuE3ELNS1_3repE0EEENS1_59segmented_radix_sort_warp_sort_small_config_static_selectorELNS0_4arch9wavefront6targetE0EEEvSK_
	.p2align	8
	.type	_ZN7rocprim17ROCPRIM_400000_NS6detail17trampoline_kernelINS0_14default_configENS1_36segmented_radix_sort_config_selectorIalEEZNS1_25segmented_radix_sort_implIS3_Lb1EPKaPaPKlPlN2at6native12_GLOBAL__N_18offset_tEEE10hipError_tPvRmT1_PNSt15iterator_traitsISK_E10value_typeET2_T3_PNSL_ISQ_E10value_typeET4_jRbjT5_SW_jjP12ihipStream_tbEUlT_E1_NS1_11comp_targetILNS1_3genE9ELNS1_11target_archE1100ELNS1_3gpuE3ELNS1_3repE0EEENS1_59segmented_radix_sort_warp_sort_small_config_static_selectorELNS0_4arch9wavefront6targetE0EEEvSK_,@function
_ZN7rocprim17ROCPRIM_400000_NS6detail17trampoline_kernelINS0_14default_configENS1_36segmented_radix_sort_config_selectorIalEEZNS1_25segmented_radix_sort_implIS3_Lb1EPKaPaPKlPlN2at6native12_GLOBAL__N_18offset_tEEE10hipError_tPvRmT1_PNSt15iterator_traitsISK_E10value_typeET2_T3_PNSL_ISQ_E10value_typeET4_jRbjT5_SW_jjP12ihipStream_tbEUlT_E1_NS1_11comp_targetILNS1_3genE9ELNS1_11target_archE1100ELNS1_3gpuE3ELNS1_3repE0EEENS1_59segmented_radix_sort_warp_sort_small_config_static_selectorELNS0_4arch9wavefront6targetE0EEEvSK_: ; @_ZN7rocprim17ROCPRIM_400000_NS6detail17trampoline_kernelINS0_14default_configENS1_36segmented_radix_sort_config_selectorIalEEZNS1_25segmented_radix_sort_implIS3_Lb1EPKaPaPKlPlN2at6native12_GLOBAL__N_18offset_tEEE10hipError_tPvRmT1_PNSt15iterator_traitsISK_E10value_typeET2_T3_PNSL_ISQ_E10value_typeET4_jRbjT5_SW_jjP12ihipStream_tbEUlT_E1_NS1_11comp_targetILNS1_3genE9ELNS1_11target_archE1100ELNS1_3gpuE3ELNS1_3repE0EEENS1_59segmented_radix_sort_warp_sort_small_config_static_selectorELNS0_4arch9wavefront6targetE0EEEvSK_
; %bb.0:
	.section	.rodata,"a",@progbits
	.p2align	6, 0x0
	.amdhsa_kernel _ZN7rocprim17ROCPRIM_400000_NS6detail17trampoline_kernelINS0_14default_configENS1_36segmented_radix_sort_config_selectorIalEEZNS1_25segmented_radix_sort_implIS3_Lb1EPKaPaPKlPlN2at6native12_GLOBAL__N_18offset_tEEE10hipError_tPvRmT1_PNSt15iterator_traitsISK_E10value_typeET2_T3_PNSL_ISQ_E10value_typeET4_jRbjT5_SW_jjP12ihipStream_tbEUlT_E1_NS1_11comp_targetILNS1_3genE9ELNS1_11target_archE1100ELNS1_3gpuE3ELNS1_3repE0EEENS1_59segmented_radix_sort_warp_sort_small_config_static_selectorELNS0_4arch9wavefront6targetE0EEEvSK_
		.amdhsa_group_segment_fixed_size 0
		.amdhsa_private_segment_fixed_size 0
		.amdhsa_kernarg_size 88
		.amdhsa_user_sgpr_count 2
		.amdhsa_user_sgpr_dispatch_ptr 0
		.amdhsa_user_sgpr_queue_ptr 0
		.amdhsa_user_sgpr_kernarg_segment_ptr 1
		.amdhsa_user_sgpr_dispatch_id 0
		.amdhsa_user_sgpr_kernarg_preload_length 0
		.amdhsa_user_sgpr_kernarg_preload_offset 0
		.amdhsa_user_sgpr_private_segment_size 0
		.amdhsa_wavefront_size32 1
		.amdhsa_uses_dynamic_stack 0
		.amdhsa_enable_private_segment 0
		.amdhsa_system_sgpr_workgroup_id_x 1
		.amdhsa_system_sgpr_workgroup_id_y 0
		.amdhsa_system_sgpr_workgroup_id_z 0
		.amdhsa_system_sgpr_workgroup_info 0
		.amdhsa_system_vgpr_workitem_id 0
		.amdhsa_next_free_vgpr 1
		.amdhsa_next_free_sgpr 1
		.amdhsa_named_barrier_count 0
		.amdhsa_reserve_vcc 0
		.amdhsa_float_round_mode_32 0
		.amdhsa_float_round_mode_16_64 0
		.amdhsa_float_denorm_mode_32 3
		.amdhsa_float_denorm_mode_16_64 3
		.amdhsa_fp16_overflow 0
		.amdhsa_memory_ordered 1
		.amdhsa_forward_progress 1
		.amdhsa_inst_pref_size 0
		.amdhsa_round_robin_scheduling 0
		.amdhsa_exception_fp_ieee_invalid_op 0
		.amdhsa_exception_fp_denorm_src 0
		.amdhsa_exception_fp_ieee_div_zero 0
		.amdhsa_exception_fp_ieee_overflow 0
		.amdhsa_exception_fp_ieee_underflow 0
		.amdhsa_exception_fp_ieee_inexact 0
		.amdhsa_exception_int_div_zero 0
	.end_amdhsa_kernel
	.section	.text._ZN7rocprim17ROCPRIM_400000_NS6detail17trampoline_kernelINS0_14default_configENS1_36segmented_radix_sort_config_selectorIalEEZNS1_25segmented_radix_sort_implIS3_Lb1EPKaPaPKlPlN2at6native12_GLOBAL__N_18offset_tEEE10hipError_tPvRmT1_PNSt15iterator_traitsISK_E10value_typeET2_T3_PNSL_ISQ_E10value_typeET4_jRbjT5_SW_jjP12ihipStream_tbEUlT_E1_NS1_11comp_targetILNS1_3genE9ELNS1_11target_archE1100ELNS1_3gpuE3ELNS1_3repE0EEENS1_59segmented_radix_sort_warp_sort_small_config_static_selectorELNS0_4arch9wavefront6targetE0EEEvSK_,"axG",@progbits,_ZN7rocprim17ROCPRIM_400000_NS6detail17trampoline_kernelINS0_14default_configENS1_36segmented_radix_sort_config_selectorIalEEZNS1_25segmented_radix_sort_implIS3_Lb1EPKaPaPKlPlN2at6native12_GLOBAL__N_18offset_tEEE10hipError_tPvRmT1_PNSt15iterator_traitsISK_E10value_typeET2_T3_PNSL_ISQ_E10value_typeET4_jRbjT5_SW_jjP12ihipStream_tbEUlT_E1_NS1_11comp_targetILNS1_3genE9ELNS1_11target_archE1100ELNS1_3gpuE3ELNS1_3repE0EEENS1_59segmented_radix_sort_warp_sort_small_config_static_selectorELNS0_4arch9wavefront6targetE0EEEvSK_,comdat
.Lfunc_end315:
	.size	_ZN7rocprim17ROCPRIM_400000_NS6detail17trampoline_kernelINS0_14default_configENS1_36segmented_radix_sort_config_selectorIalEEZNS1_25segmented_radix_sort_implIS3_Lb1EPKaPaPKlPlN2at6native12_GLOBAL__N_18offset_tEEE10hipError_tPvRmT1_PNSt15iterator_traitsISK_E10value_typeET2_T3_PNSL_ISQ_E10value_typeET4_jRbjT5_SW_jjP12ihipStream_tbEUlT_E1_NS1_11comp_targetILNS1_3genE9ELNS1_11target_archE1100ELNS1_3gpuE3ELNS1_3repE0EEENS1_59segmented_radix_sort_warp_sort_small_config_static_selectorELNS0_4arch9wavefront6targetE0EEEvSK_, .Lfunc_end315-_ZN7rocprim17ROCPRIM_400000_NS6detail17trampoline_kernelINS0_14default_configENS1_36segmented_radix_sort_config_selectorIalEEZNS1_25segmented_radix_sort_implIS3_Lb1EPKaPaPKlPlN2at6native12_GLOBAL__N_18offset_tEEE10hipError_tPvRmT1_PNSt15iterator_traitsISK_E10value_typeET2_T3_PNSL_ISQ_E10value_typeET4_jRbjT5_SW_jjP12ihipStream_tbEUlT_E1_NS1_11comp_targetILNS1_3genE9ELNS1_11target_archE1100ELNS1_3gpuE3ELNS1_3repE0EEENS1_59segmented_radix_sort_warp_sort_small_config_static_selectorELNS0_4arch9wavefront6targetE0EEEvSK_
                                        ; -- End function
	.set _ZN7rocprim17ROCPRIM_400000_NS6detail17trampoline_kernelINS0_14default_configENS1_36segmented_radix_sort_config_selectorIalEEZNS1_25segmented_radix_sort_implIS3_Lb1EPKaPaPKlPlN2at6native12_GLOBAL__N_18offset_tEEE10hipError_tPvRmT1_PNSt15iterator_traitsISK_E10value_typeET2_T3_PNSL_ISQ_E10value_typeET4_jRbjT5_SW_jjP12ihipStream_tbEUlT_E1_NS1_11comp_targetILNS1_3genE9ELNS1_11target_archE1100ELNS1_3gpuE3ELNS1_3repE0EEENS1_59segmented_radix_sort_warp_sort_small_config_static_selectorELNS0_4arch9wavefront6targetE0EEEvSK_.num_vgpr, 0
	.set _ZN7rocprim17ROCPRIM_400000_NS6detail17trampoline_kernelINS0_14default_configENS1_36segmented_radix_sort_config_selectorIalEEZNS1_25segmented_radix_sort_implIS3_Lb1EPKaPaPKlPlN2at6native12_GLOBAL__N_18offset_tEEE10hipError_tPvRmT1_PNSt15iterator_traitsISK_E10value_typeET2_T3_PNSL_ISQ_E10value_typeET4_jRbjT5_SW_jjP12ihipStream_tbEUlT_E1_NS1_11comp_targetILNS1_3genE9ELNS1_11target_archE1100ELNS1_3gpuE3ELNS1_3repE0EEENS1_59segmented_radix_sort_warp_sort_small_config_static_selectorELNS0_4arch9wavefront6targetE0EEEvSK_.num_agpr, 0
	.set _ZN7rocprim17ROCPRIM_400000_NS6detail17trampoline_kernelINS0_14default_configENS1_36segmented_radix_sort_config_selectorIalEEZNS1_25segmented_radix_sort_implIS3_Lb1EPKaPaPKlPlN2at6native12_GLOBAL__N_18offset_tEEE10hipError_tPvRmT1_PNSt15iterator_traitsISK_E10value_typeET2_T3_PNSL_ISQ_E10value_typeET4_jRbjT5_SW_jjP12ihipStream_tbEUlT_E1_NS1_11comp_targetILNS1_3genE9ELNS1_11target_archE1100ELNS1_3gpuE3ELNS1_3repE0EEENS1_59segmented_radix_sort_warp_sort_small_config_static_selectorELNS0_4arch9wavefront6targetE0EEEvSK_.numbered_sgpr, 0
	.set _ZN7rocprim17ROCPRIM_400000_NS6detail17trampoline_kernelINS0_14default_configENS1_36segmented_radix_sort_config_selectorIalEEZNS1_25segmented_radix_sort_implIS3_Lb1EPKaPaPKlPlN2at6native12_GLOBAL__N_18offset_tEEE10hipError_tPvRmT1_PNSt15iterator_traitsISK_E10value_typeET2_T3_PNSL_ISQ_E10value_typeET4_jRbjT5_SW_jjP12ihipStream_tbEUlT_E1_NS1_11comp_targetILNS1_3genE9ELNS1_11target_archE1100ELNS1_3gpuE3ELNS1_3repE0EEENS1_59segmented_radix_sort_warp_sort_small_config_static_selectorELNS0_4arch9wavefront6targetE0EEEvSK_.num_named_barrier, 0
	.set _ZN7rocprim17ROCPRIM_400000_NS6detail17trampoline_kernelINS0_14default_configENS1_36segmented_radix_sort_config_selectorIalEEZNS1_25segmented_radix_sort_implIS3_Lb1EPKaPaPKlPlN2at6native12_GLOBAL__N_18offset_tEEE10hipError_tPvRmT1_PNSt15iterator_traitsISK_E10value_typeET2_T3_PNSL_ISQ_E10value_typeET4_jRbjT5_SW_jjP12ihipStream_tbEUlT_E1_NS1_11comp_targetILNS1_3genE9ELNS1_11target_archE1100ELNS1_3gpuE3ELNS1_3repE0EEENS1_59segmented_radix_sort_warp_sort_small_config_static_selectorELNS0_4arch9wavefront6targetE0EEEvSK_.private_seg_size, 0
	.set _ZN7rocprim17ROCPRIM_400000_NS6detail17trampoline_kernelINS0_14default_configENS1_36segmented_radix_sort_config_selectorIalEEZNS1_25segmented_radix_sort_implIS3_Lb1EPKaPaPKlPlN2at6native12_GLOBAL__N_18offset_tEEE10hipError_tPvRmT1_PNSt15iterator_traitsISK_E10value_typeET2_T3_PNSL_ISQ_E10value_typeET4_jRbjT5_SW_jjP12ihipStream_tbEUlT_E1_NS1_11comp_targetILNS1_3genE9ELNS1_11target_archE1100ELNS1_3gpuE3ELNS1_3repE0EEENS1_59segmented_radix_sort_warp_sort_small_config_static_selectorELNS0_4arch9wavefront6targetE0EEEvSK_.uses_vcc, 0
	.set _ZN7rocprim17ROCPRIM_400000_NS6detail17trampoline_kernelINS0_14default_configENS1_36segmented_radix_sort_config_selectorIalEEZNS1_25segmented_radix_sort_implIS3_Lb1EPKaPaPKlPlN2at6native12_GLOBAL__N_18offset_tEEE10hipError_tPvRmT1_PNSt15iterator_traitsISK_E10value_typeET2_T3_PNSL_ISQ_E10value_typeET4_jRbjT5_SW_jjP12ihipStream_tbEUlT_E1_NS1_11comp_targetILNS1_3genE9ELNS1_11target_archE1100ELNS1_3gpuE3ELNS1_3repE0EEENS1_59segmented_radix_sort_warp_sort_small_config_static_selectorELNS0_4arch9wavefront6targetE0EEEvSK_.uses_flat_scratch, 0
	.set _ZN7rocprim17ROCPRIM_400000_NS6detail17trampoline_kernelINS0_14default_configENS1_36segmented_radix_sort_config_selectorIalEEZNS1_25segmented_radix_sort_implIS3_Lb1EPKaPaPKlPlN2at6native12_GLOBAL__N_18offset_tEEE10hipError_tPvRmT1_PNSt15iterator_traitsISK_E10value_typeET2_T3_PNSL_ISQ_E10value_typeET4_jRbjT5_SW_jjP12ihipStream_tbEUlT_E1_NS1_11comp_targetILNS1_3genE9ELNS1_11target_archE1100ELNS1_3gpuE3ELNS1_3repE0EEENS1_59segmented_radix_sort_warp_sort_small_config_static_selectorELNS0_4arch9wavefront6targetE0EEEvSK_.has_dyn_sized_stack, 0
	.set _ZN7rocprim17ROCPRIM_400000_NS6detail17trampoline_kernelINS0_14default_configENS1_36segmented_radix_sort_config_selectorIalEEZNS1_25segmented_radix_sort_implIS3_Lb1EPKaPaPKlPlN2at6native12_GLOBAL__N_18offset_tEEE10hipError_tPvRmT1_PNSt15iterator_traitsISK_E10value_typeET2_T3_PNSL_ISQ_E10value_typeET4_jRbjT5_SW_jjP12ihipStream_tbEUlT_E1_NS1_11comp_targetILNS1_3genE9ELNS1_11target_archE1100ELNS1_3gpuE3ELNS1_3repE0EEENS1_59segmented_radix_sort_warp_sort_small_config_static_selectorELNS0_4arch9wavefront6targetE0EEEvSK_.has_recursion, 0
	.set _ZN7rocprim17ROCPRIM_400000_NS6detail17trampoline_kernelINS0_14default_configENS1_36segmented_radix_sort_config_selectorIalEEZNS1_25segmented_radix_sort_implIS3_Lb1EPKaPaPKlPlN2at6native12_GLOBAL__N_18offset_tEEE10hipError_tPvRmT1_PNSt15iterator_traitsISK_E10value_typeET2_T3_PNSL_ISQ_E10value_typeET4_jRbjT5_SW_jjP12ihipStream_tbEUlT_E1_NS1_11comp_targetILNS1_3genE9ELNS1_11target_archE1100ELNS1_3gpuE3ELNS1_3repE0EEENS1_59segmented_radix_sort_warp_sort_small_config_static_selectorELNS0_4arch9wavefront6targetE0EEEvSK_.has_indirect_call, 0
	.section	.AMDGPU.csdata,"",@progbits
; Kernel info:
; codeLenInByte = 0
; TotalNumSgprs: 0
; NumVgprs: 0
; ScratchSize: 0
; MemoryBound: 0
; FloatMode: 240
; IeeeMode: 1
; LDSByteSize: 0 bytes/workgroup (compile time only)
; SGPRBlocks: 0
; VGPRBlocks: 0
; NumSGPRsForWavesPerEU: 1
; NumVGPRsForWavesPerEU: 1
; NamedBarCnt: 0
; Occupancy: 16
; WaveLimiterHint : 0
; COMPUTE_PGM_RSRC2:SCRATCH_EN: 0
; COMPUTE_PGM_RSRC2:USER_SGPR: 2
; COMPUTE_PGM_RSRC2:TRAP_HANDLER: 0
; COMPUTE_PGM_RSRC2:TGID_X_EN: 1
; COMPUTE_PGM_RSRC2:TGID_Y_EN: 0
; COMPUTE_PGM_RSRC2:TGID_Z_EN: 0
; COMPUTE_PGM_RSRC2:TIDIG_COMP_CNT: 0
	.section	.text._ZN7rocprim17ROCPRIM_400000_NS6detail17trampoline_kernelINS0_14default_configENS1_36segmented_radix_sort_config_selectorIalEEZNS1_25segmented_radix_sort_implIS3_Lb1EPKaPaPKlPlN2at6native12_GLOBAL__N_18offset_tEEE10hipError_tPvRmT1_PNSt15iterator_traitsISK_E10value_typeET2_T3_PNSL_ISQ_E10value_typeET4_jRbjT5_SW_jjP12ihipStream_tbEUlT_E1_NS1_11comp_targetILNS1_3genE8ELNS1_11target_archE1030ELNS1_3gpuE2ELNS1_3repE0EEENS1_59segmented_radix_sort_warp_sort_small_config_static_selectorELNS0_4arch9wavefront6targetE0EEEvSK_,"axG",@progbits,_ZN7rocprim17ROCPRIM_400000_NS6detail17trampoline_kernelINS0_14default_configENS1_36segmented_radix_sort_config_selectorIalEEZNS1_25segmented_radix_sort_implIS3_Lb1EPKaPaPKlPlN2at6native12_GLOBAL__N_18offset_tEEE10hipError_tPvRmT1_PNSt15iterator_traitsISK_E10value_typeET2_T3_PNSL_ISQ_E10value_typeET4_jRbjT5_SW_jjP12ihipStream_tbEUlT_E1_NS1_11comp_targetILNS1_3genE8ELNS1_11target_archE1030ELNS1_3gpuE2ELNS1_3repE0EEENS1_59segmented_radix_sort_warp_sort_small_config_static_selectorELNS0_4arch9wavefront6targetE0EEEvSK_,comdat
	.globl	_ZN7rocprim17ROCPRIM_400000_NS6detail17trampoline_kernelINS0_14default_configENS1_36segmented_radix_sort_config_selectorIalEEZNS1_25segmented_radix_sort_implIS3_Lb1EPKaPaPKlPlN2at6native12_GLOBAL__N_18offset_tEEE10hipError_tPvRmT1_PNSt15iterator_traitsISK_E10value_typeET2_T3_PNSL_ISQ_E10value_typeET4_jRbjT5_SW_jjP12ihipStream_tbEUlT_E1_NS1_11comp_targetILNS1_3genE8ELNS1_11target_archE1030ELNS1_3gpuE2ELNS1_3repE0EEENS1_59segmented_radix_sort_warp_sort_small_config_static_selectorELNS0_4arch9wavefront6targetE0EEEvSK_ ; -- Begin function _ZN7rocprim17ROCPRIM_400000_NS6detail17trampoline_kernelINS0_14default_configENS1_36segmented_radix_sort_config_selectorIalEEZNS1_25segmented_radix_sort_implIS3_Lb1EPKaPaPKlPlN2at6native12_GLOBAL__N_18offset_tEEE10hipError_tPvRmT1_PNSt15iterator_traitsISK_E10value_typeET2_T3_PNSL_ISQ_E10value_typeET4_jRbjT5_SW_jjP12ihipStream_tbEUlT_E1_NS1_11comp_targetILNS1_3genE8ELNS1_11target_archE1030ELNS1_3gpuE2ELNS1_3repE0EEENS1_59segmented_radix_sort_warp_sort_small_config_static_selectorELNS0_4arch9wavefront6targetE0EEEvSK_
	.p2align	8
	.type	_ZN7rocprim17ROCPRIM_400000_NS6detail17trampoline_kernelINS0_14default_configENS1_36segmented_radix_sort_config_selectorIalEEZNS1_25segmented_radix_sort_implIS3_Lb1EPKaPaPKlPlN2at6native12_GLOBAL__N_18offset_tEEE10hipError_tPvRmT1_PNSt15iterator_traitsISK_E10value_typeET2_T3_PNSL_ISQ_E10value_typeET4_jRbjT5_SW_jjP12ihipStream_tbEUlT_E1_NS1_11comp_targetILNS1_3genE8ELNS1_11target_archE1030ELNS1_3gpuE2ELNS1_3repE0EEENS1_59segmented_radix_sort_warp_sort_small_config_static_selectorELNS0_4arch9wavefront6targetE0EEEvSK_,@function
_ZN7rocprim17ROCPRIM_400000_NS6detail17trampoline_kernelINS0_14default_configENS1_36segmented_radix_sort_config_selectorIalEEZNS1_25segmented_radix_sort_implIS3_Lb1EPKaPaPKlPlN2at6native12_GLOBAL__N_18offset_tEEE10hipError_tPvRmT1_PNSt15iterator_traitsISK_E10value_typeET2_T3_PNSL_ISQ_E10value_typeET4_jRbjT5_SW_jjP12ihipStream_tbEUlT_E1_NS1_11comp_targetILNS1_3genE8ELNS1_11target_archE1030ELNS1_3gpuE2ELNS1_3repE0EEENS1_59segmented_radix_sort_warp_sort_small_config_static_selectorELNS0_4arch9wavefront6targetE0EEEvSK_: ; @_ZN7rocprim17ROCPRIM_400000_NS6detail17trampoline_kernelINS0_14default_configENS1_36segmented_radix_sort_config_selectorIalEEZNS1_25segmented_radix_sort_implIS3_Lb1EPKaPaPKlPlN2at6native12_GLOBAL__N_18offset_tEEE10hipError_tPvRmT1_PNSt15iterator_traitsISK_E10value_typeET2_T3_PNSL_ISQ_E10value_typeET4_jRbjT5_SW_jjP12ihipStream_tbEUlT_E1_NS1_11comp_targetILNS1_3genE8ELNS1_11target_archE1030ELNS1_3gpuE2ELNS1_3repE0EEENS1_59segmented_radix_sort_warp_sort_small_config_static_selectorELNS0_4arch9wavefront6targetE0EEEvSK_
; %bb.0:
	.section	.rodata,"a",@progbits
	.p2align	6, 0x0
	.amdhsa_kernel _ZN7rocprim17ROCPRIM_400000_NS6detail17trampoline_kernelINS0_14default_configENS1_36segmented_radix_sort_config_selectorIalEEZNS1_25segmented_radix_sort_implIS3_Lb1EPKaPaPKlPlN2at6native12_GLOBAL__N_18offset_tEEE10hipError_tPvRmT1_PNSt15iterator_traitsISK_E10value_typeET2_T3_PNSL_ISQ_E10value_typeET4_jRbjT5_SW_jjP12ihipStream_tbEUlT_E1_NS1_11comp_targetILNS1_3genE8ELNS1_11target_archE1030ELNS1_3gpuE2ELNS1_3repE0EEENS1_59segmented_radix_sort_warp_sort_small_config_static_selectorELNS0_4arch9wavefront6targetE0EEEvSK_
		.amdhsa_group_segment_fixed_size 0
		.amdhsa_private_segment_fixed_size 0
		.amdhsa_kernarg_size 88
		.amdhsa_user_sgpr_count 2
		.amdhsa_user_sgpr_dispatch_ptr 0
		.amdhsa_user_sgpr_queue_ptr 0
		.amdhsa_user_sgpr_kernarg_segment_ptr 1
		.amdhsa_user_sgpr_dispatch_id 0
		.amdhsa_user_sgpr_kernarg_preload_length 0
		.amdhsa_user_sgpr_kernarg_preload_offset 0
		.amdhsa_user_sgpr_private_segment_size 0
		.amdhsa_wavefront_size32 1
		.amdhsa_uses_dynamic_stack 0
		.amdhsa_enable_private_segment 0
		.amdhsa_system_sgpr_workgroup_id_x 1
		.amdhsa_system_sgpr_workgroup_id_y 0
		.amdhsa_system_sgpr_workgroup_id_z 0
		.amdhsa_system_sgpr_workgroup_info 0
		.amdhsa_system_vgpr_workitem_id 0
		.amdhsa_next_free_vgpr 1
		.amdhsa_next_free_sgpr 1
		.amdhsa_named_barrier_count 0
		.amdhsa_reserve_vcc 0
		.amdhsa_float_round_mode_32 0
		.amdhsa_float_round_mode_16_64 0
		.amdhsa_float_denorm_mode_32 3
		.amdhsa_float_denorm_mode_16_64 3
		.amdhsa_fp16_overflow 0
		.amdhsa_memory_ordered 1
		.amdhsa_forward_progress 1
		.amdhsa_inst_pref_size 0
		.amdhsa_round_robin_scheduling 0
		.amdhsa_exception_fp_ieee_invalid_op 0
		.amdhsa_exception_fp_denorm_src 0
		.amdhsa_exception_fp_ieee_div_zero 0
		.amdhsa_exception_fp_ieee_overflow 0
		.amdhsa_exception_fp_ieee_underflow 0
		.amdhsa_exception_fp_ieee_inexact 0
		.amdhsa_exception_int_div_zero 0
	.end_amdhsa_kernel
	.section	.text._ZN7rocprim17ROCPRIM_400000_NS6detail17trampoline_kernelINS0_14default_configENS1_36segmented_radix_sort_config_selectorIalEEZNS1_25segmented_radix_sort_implIS3_Lb1EPKaPaPKlPlN2at6native12_GLOBAL__N_18offset_tEEE10hipError_tPvRmT1_PNSt15iterator_traitsISK_E10value_typeET2_T3_PNSL_ISQ_E10value_typeET4_jRbjT5_SW_jjP12ihipStream_tbEUlT_E1_NS1_11comp_targetILNS1_3genE8ELNS1_11target_archE1030ELNS1_3gpuE2ELNS1_3repE0EEENS1_59segmented_radix_sort_warp_sort_small_config_static_selectorELNS0_4arch9wavefront6targetE0EEEvSK_,"axG",@progbits,_ZN7rocprim17ROCPRIM_400000_NS6detail17trampoline_kernelINS0_14default_configENS1_36segmented_radix_sort_config_selectorIalEEZNS1_25segmented_radix_sort_implIS3_Lb1EPKaPaPKlPlN2at6native12_GLOBAL__N_18offset_tEEE10hipError_tPvRmT1_PNSt15iterator_traitsISK_E10value_typeET2_T3_PNSL_ISQ_E10value_typeET4_jRbjT5_SW_jjP12ihipStream_tbEUlT_E1_NS1_11comp_targetILNS1_3genE8ELNS1_11target_archE1030ELNS1_3gpuE2ELNS1_3repE0EEENS1_59segmented_radix_sort_warp_sort_small_config_static_selectorELNS0_4arch9wavefront6targetE0EEEvSK_,comdat
.Lfunc_end316:
	.size	_ZN7rocprim17ROCPRIM_400000_NS6detail17trampoline_kernelINS0_14default_configENS1_36segmented_radix_sort_config_selectorIalEEZNS1_25segmented_radix_sort_implIS3_Lb1EPKaPaPKlPlN2at6native12_GLOBAL__N_18offset_tEEE10hipError_tPvRmT1_PNSt15iterator_traitsISK_E10value_typeET2_T3_PNSL_ISQ_E10value_typeET4_jRbjT5_SW_jjP12ihipStream_tbEUlT_E1_NS1_11comp_targetILNS1_3genE8ELNS1_11target_archE1030ELNS1_3gpuE2ELNS1_3repE0EEENS1_59segmented_radix_sort_warp_sort_small_config_static_selectorELNS0_4arch9wavefront6targetE0EEEvSK_, .Lfunc_end316-_ZN7rocprim17ROCPRIM_400000_NS6detail17trampoline_kernelINS0_14default_configENS1_36segmented_radix_sort_config_selectorIalEEZNS1_25segmented_radix_sort_implIS3_Lb1EPKaPaPKlPlN2at6native12_GLOBAL__N_18offset_tEEE10hipError_tPvRmT1_PNSt15iterator_traitsISK_E10value_typeET2_T3_PNSL_ISQ_E10value_typeET4_jRbjT5_SW_jjP12ihipStream_tbEUlT_E1_NS1_11comp_targetILNS1_3genE8ELNS1_11target_archE1030ELNS1_3gpuE2ELNS1_3repE0EEENS1_59segmented_radix_sort_warp_sort_small_config_static_selectorELNS0_4arch9wavefront6targetE0EEEvSK_
                                        ; -- End function
	.set _ZN7rocprim17ROCPRIM_400000_NS6detail17trampoline_kernelINS0_14default_configENS1_36segmented_radix_sort_config_selectorIalEEZNS1_25segmented_radix_sort_implIS3_Lb1EPKaPaPKlPlN2at6native12_GLOBAL__N_18offset_tEEE10hipError_tPvRmT1_PNSt15iterator_traitsISK_E10value_typeET2_T3_PNSL_ISQ_E10value_typeET4_jRbjT5_SW_jjP12ihipStream_tbEUlT_E1_NS1_11comp_targetILNS1_3genE8ELNS1_11target_archE1030ELNS1_3gpuE2ELNS1_3repE0EEENS1_59segmented_radix_sort_warp_sort_small_config_static_selectorELNS0_4arch9wavefront6targetE0EEEvSK_.num_vgpr, 0
	.set _ZN7rocprim17ROCPRIM_400000_NS6detail17trampoline_kernelINS0_14default_configENS1_36segmented_radix_sort_config_selectorIalEEZNS1_25segmented_radix_sort_implIS3_Lb1EPKaPaPKlPlN2at6native12_GLOBAL__N_18offset_tEEE10hipError_tPvRmT1_PNSt15iterator_traitsISK_E10value_typeET2_T3_PNSL_ISQ_E10value_typeET4_jRbjT5_SW_jjP12ihipStream_tbEUlT_E1_NS1_11comp_targetILNS1_3genE8ELNS1_11target_archE1030ELNS1_3gpuE2ELNS1_3repE0EEENS1_59segmented_radix_sort_warp_sort_small_config_static_selectorELNS0_4arch9wavefront6targetE0EEEvSK_.num_agpr, 0
	.set _ZN7rocprim17ROCPRIM_400000_NS6detail17trampoline_kernelINS0_14default_configENS1_36segmented_radix_sort_config_selectorIalEEZNS1_25segmented_radix_sort_implIS3_Lb1EPKaPaPKlPlN2at6native12_GLOBAL__N_18offset_tEEE10hipError_tPvRmT1_PNSt15iterator_traitsISK_E10value_typeET2_T3_PNSL_ISQ_E10value_typeET4_jRbjT5_SW_jjP12ihipStream_tbEUlT_E1_NS1_11comp_targetILNS1_3genE8ELNS1_11target_archE1030ELNS1_3gpuE2ELNS1_3repE0EEENS1_59segmented_radix_sort_warp_sort_small_config_static_selectorELNS0_4arch9wavefront6targetE0EEEvSK_.numbered_sgpr, 0
	.set _ZN7rocprim17ROCPRIM_400000_NS6detail17trampoline_kernelINS0_14default_configENS1_36segmented_radix_sort_config_selectorIalEEZNS1_25segmented_radix_sort_implIS3_Lb1EPKaPaPKlPlN2at6native12_GLOBAL__N_18offset_tEEE10hipError_tPvRmT1_PNSt15iterator_traitsISK_E10value_typeET2_T3_PNSL_ISQ_E10value_typeET4_jRbjT5_SW_jjP12ihipStream_tbEUlT_E1_NS1_11comp_targetILNS1_3genE8ELNS1_11target_archE1030ELNS1_3gpuE2ELNS1_3repE0EEENS1_59segmented_radix_sort_warp_sort_small_config_static_selectorELNS0_4arch9wavefront6targetE0EEEvSK_.num_named_barrier, 0
	.set _ZN7rocprim17ROCPRIM_400000_NS6detail17trampoline_kernelINS0_14default_configENS1_36segmented_radix_sort_config_selectorIalEEZNS1_25segmented_radix_sort_implIS3_Lb1EPKaPaPKlPlN2at6native12_GLOBAL__N_18offset_tEEE10hipError_tPvRmT1_PNSt15iterator_traitsISK_E10value_typeET2_T3_PNSL_ISQ_E10value_typeET4_jRbjT5_SW_jjP12ihipStream_tbEUlT_E1_NS1_11comp_targetILNS1_3genE8ELNS1_11target_archE1030ELNS1_3gpuE2ELNS1_3repE0EEENS1_59segmented_radix_sort_warp_sort_small_config_static_selectorELNS0_4arch9wavefront6targetE0EEEvSK_.private_seg_size, 0
	.set _ZN7rocprim17ROCPRIM_400000_NS6detail17trampoline_kernelINS0_14default_configENS1_36segmented_radix_sort_config_selectorIalEEZNS1_25segmented_radix_sort_implIS3_Lb1EPKaPaPKlPlN2at6native12_GLOBAL__N_18offset_tEEE10hipError_tPvRmT1_PNSt15iterator_traitsISK_E10value_typeET2_T3_PNSL_ISQ_E10value_typeET4_jRbjT5_SW_jjP12ihipStream_tbEUlT_E1_NS1_11comp_targetILNS1_3genE8ELNS1_11target_archE1030ELNS1_3gpuE2ELNS1_3repE0EEENS1_59segmented_radix_sort_warp_sort_small_config_static_selectorELNS0_4arch9wavefront6targetE0EEEvSK_.uses_vcc, 0
	.set _ZN7rocprim17ROCPRIM_400000_NS6detail17trampoline_kernelINS0_14default_configENS1_36segmented_radix_sort_config_selectorIalEEZNS1_25segmented_radix_sort_implIS3_Lb1EPKaPaPKlPlN2at6native12_GLOBAL__N_18offset_tEEE10hipError_tPvRmT1_PNSt15iterator_traitsISK_E10value_typeET2_T3_PNSL_ISQ_E10value_typeET4_jRbjT5_SW_jjP12ihipStream_tbEUlT_E1_NS1_11comp_targetILNS1_3genE8ELNS1_11target_archE1030ELNS1_3gpuE2ELNS1_3repE0EEENS1_59segmented_radix_sort_warp_sort_small_config_static_selectorELNS0_4arch9wavefront6targetE0EEEvSK_.uses_flat_scratch, 0
	.set _ZN7rocprim17ROCPRIM_400000_NS6detail17trampoline_kernelINS0_14default_configENS1_36segmented_radix_sort_config_selectorIalEEZNS1_25segmented_radix_sort_implIS3_Lb1EPKaPaPKlPlN2at6native12_GLOBAL__N_18offset_tEEE10hipError_tPvRmT1_PNSt15iterator_traitsISK_E10value_typeET2_T3_PNSL_ISQ_E10value_typeET4_jRbjT5_SW_jjP12ihipStream_tbEUlT_E1_NS1_11comp_targetILNS1_3genE8ELNS1_11target_archE1030ELNS1_3gpuE2ELNS1_3repE0EEENS1_59segmented_radix_sort_warp_sort_small_config_static_selectorELNS0_4arch9wavefront6targetE0EEEvSK_.has_dyn_sized_stack, 0
	.set _ZN7rocprim17ROCPRIM_400000_NS6detail17trampoline_kernelINS0_14default_configENS1_36segmented_radix_sort_config_selectorIalEEZNS1_25segmented_radix_sort_implIS3_Lb1EPKaPaPKlPlN2at6native12_GLOBAL__N_18offset_tEEE10hipError_tPvRmT1_PNSt15iterator_traitsISK_E10value_typeET2_T3_PNSL_ISQ_E10value_typeET4_jRbjT5_SW_jjP12ihipStream_tbEUlT_E1_NS1_11comp_targetILNS1_3genE8ELNS1_11target_archE1030ELNS1_3gpuE2ELNS1_3repE0EEENS1_59segmented_radix_sort_warp_sort_small_config_static_selectorELNS0_4arch9wavefront6targetE0EEEvSK_.has_recursion, 0
	.set _ZN7rocprim17ROCPRIM_400000_NS6detail17trampoline_kernelINS0_14default_configENS1_36segmented_radix_sort_config_selectorIalEEZNS1_25segmented_radix_sort_implIS3_Lb1EPKaPaPKlPlN2at6native12_GLOBAL__N_18offset_tEEE10hipError_tPvRmT1_PNSt15iterator_traitsISK_E10value_typeET2_T3_PNSL_ISQ_E10value_typeET4_jRbjT5_SW_jjP12ihipStream_tbEUlT_E1_NS1_11comp_targetILNS1_3genE8ELNS1_11target_archE1030ELNS1_3gpuE2ELNS1_3repE0EEENS1_59segmented_radix_sort_warp_sort_small_config_static_selectorELNS0_4arch9wavefront6targetE0EEEvSK_.has_indirect_call, 0
	.section	.AMDGPU.csdata,"",@progbits
; Kernel info:
; codeLenInByte = 0
; TotalNumSgprs: 0
; NumVgprs: 0
; ScratchSize: 0
; MemoryBound: 0
; FloatMode: 240
; IeeeMode: 1
; LDSByteSize: 0 bytes/workgroup (compile time only)
; SGPRBlocks: 0
; VGPRBlocks: 0
; NumSGPRsForWavesPerEU: 1
; NumVGPRsForWavesPerEU: 1
; NamedBarCnt: 0
; Occupancy: 16
; WaveLimiterHint : 0
; COMPUTE_PGM_RSRC2:SCRATCH_EN: 0
; COMPUTE_PGM_RSRC2:USER_SGPR: 2
; COMPUTE_PGM_RSRC2:TRAP_HANDLER: 0
; COMPUTE_PGM_RSRC2:TGID_X_EN: 1
; COMPUTE_PGM_RSRC2:TGID_Y_EN: 0
; COMPUTE_PGM_RSRC2:TGID_Z_EN: 0
; COMPUTE_PGM_RSRC2:TIDIG_COMP_CNT: 0
	.section	.text._ZN7rocprim17ROCPRIM_400000_NS6detail17trampoline_kernelINS0_14default_configENS1_36segmented_radix_sort_config_selectorIalEEZNS1_25segmented_radix_sort_implIS3_Lb1EPKaPaPKlPlN2at6native12_GLOBAL__N_18offset_tEEE10hipError_tPvRmT1_PNSt15iterator_traitsISK_E10value_typeET2_T3_PNSL_ISQ_E10value_typeET4_jRbjT5_SW_jjP12ihipStream_tbEUlT_E2_NS1_11comp_targetILNS1_3genE0ELNS1_11target_archE4294967295ELNS1_3gpuE0ELNS1_3repE0EEENS1_30default_config_static_selectorELNS0_4arch9wavefront6targetE0EEEvSK_,"axG",@progbits,_ZN7rocprim17ROCPRIM_400000_NS6detail17trampoline_kernelINS0_14default_configENS1_36segmented_radix_sort_config_selectorIalEEZNS1_25segmented_radix_sort_implIS3_Lb1EPKaPaPKlPlN2at6native12_GLOBAL__N_18offset_tEEE10hipError_tPvRmT1_PNSt15iterator_traitsISK_E10value_typeET2_T3_PNSL_ISQ_E10value_typeET4_jRbjT5_SW_jjP12ihipStream_tbEUlT_E2_NS1_11comp_targetILNS1_3genE0ELNS1_11target_archE4294967295ELNS1_3gpuE0ELNS1_3repE0EEENS1_30default_config_static_selectorELNS0_4arch9wavefront6targetE0EEEvSK_,comdat
	.globl	_ZN7rocprim17ROCPRIM_400000_NS6detail17trampoline_kernelINS0_14default_configENS1_36segmented_radix_sort_config_selectorIalEEZNS1_25segmented_radix_sort_implIS3_Lb1EPKaPaPKlPlN2at6native12_GLOBAL__N_18offset_tEEE10hipError_tPvRmT1_PNSt15iterator_traitsISK_E10value_typeET2_T3_PNSL_ISQ_E10value_typeET4_jRbjT5_SW_jjP12ihipStream_tbEUlT_E2_NS1_11comp_targetILNS1_3genE0ELNS1_11target_archE4294967295ELNS1_3gpuE0ELNS1_3repE0EEENS1_30default_config_static_selectorELNS0_4arch9wavefront6targetE0EEEvSK_ ; -- Begin function _ZN7rocprim17ROCPRIM_400000_NS6detail17trampoline_kernelINS0_14default_configENS1_36segmented_radix_sort_config_selectorIalEEZNS1_25segmented_radix_sort_implIS3_Lb1EPKaPaPKlPlN2at6native12_GLOBAL__N_18offset_tEEE10hipError_tPvRmT1_PNSt15iterator_traitsISK_E10value_typeET2_T3_PNSL_ISQ_E10value_typeET4_jRbjT5_SW_jjP12ihipStream_tbEUlT_E2_NS1_11comp_targetILNS1_3genE0ELNS1_11target_archE4294967295ELNS1_3gpuE0ELNS1_3repE0EEENS1_30default_config_static_selectorELNS0_4arch9wavefront6targetE0EEEvSK_
	.p2align	8
	.type	_ZN7rocprim17ROCPRIM_400000_NS6detail17trampoline_kernelINS0_14default_configENS1_36segmented_radix_sort_config_selectorIalEEZNS1_25segmented_radix_sort_implIS3_Lb1EPKaPaPKlPlN2at6native12_GLOBAL__N_18offset_tEEE10hipError_tPvRmT1_PNSt15iterator_traitsISK_E10value_typeET2_T3_PNSL_ISQ_E10value_typeET4_jRbjT5_SW_jjP12ihipStream_tbEUlT_E2_NS1_11comp_targetILNS1_3genE0ELNS1_11target_archE4294967295ELNS1_3gpuE0ELNS1_3repE0EEENS1_30default_config_static_selectorELNS0_4arch9wavefront6targetE0EEEvSK_,@function
_ZN7rocprim17ROCPRIM_400000_NS6detail17trampoline_kernelINS0_14default_configENS1_36segmented_radix_sort_config_selectorIalEEZNS1_25segmented_radix_sort_implIS3_Lb1EPKaPaPKlPlN2at6native12_GLOBAL__N_18offset_tEEE10hipError_tPvRmT1_PNSt15iterator_traitsISK_E10value_typeET2_T3_PNSL_ISQ_E10value_typeET4_jRbjT5_SW_jjP12ihipStream_tbEUlT_E2_NS1_11comp_targetILNS1_3genE0ELNS1_11target_archE4294967295ELNS1_3gpuE0ELNS1_3repE0EEENS1_30default_config_static_selectorELNS0_4arch9wavefront6targetE0EEEvSK_: ; @_ZN7rocprim17ROCPRIM_400000_NS6detail17trampoline_kernelINS0_14default_configENS1_36segmented_radix_sort_config_selectorIalEEZNS1_25segmented_radix_sort_implIS3_Lb1EPKaPaPKlPlN2at6native12_GLOBAL__N_18offset_tEEE10hipError_tPvRmT1_PNSt15iterator_traitsISK_E10value_typeET2_T3_PNSL_ISQ_E10value_typeET4_jRbjT5_SW_jjP12ihipStream_tbEUlT_E2_NS1_11comp_targetILNS1_3genE0ELNS1_11target_archE4294967295ELNS1_3gpuE0ELNS1_3repE0EEENS1_30default_config_static_selectorELNS0_4arch9wavefront6targetE0EEEvSK_
; %bb.0:
	s_load_b128 s[4:7], s[2:3], 0x34
	s_bfe_u32 s8, ttmp6, 0x4000c
	s_and_b32 s9, ttmp6, 15
	s_add_co_i32 s8, s8, 1
	s_getreg_b32 s27, hwreg(HW_REG_IB_STS2, 6, 4)
	s_mul_i32 s8, ttmp9, s8
	s_mov_b32 s32, 0
	s_add_co_i32 s9, s9, s8
	s_cmp_eq_u32 s27, 0
	s_cselect_b32 s51, ttmp9, s9
	s_wait_kmcnt 0x0
	s_add_co_i32 s54, s7, s51
	s_add_co_i32 s55, s5, s51
	s_mul_i32 s54, s54, s6
	s_mul_i32 s55, s55, s4
	s_delay_alu instid0(SALU_CYCLE_1)
	s_cmp_le_u32 s54, s55
	s_cbranch_scc1 .LBB317_1262
; %bb.1:
	s_clause 0x3
	s_load_b32 s4, s[2:3], 0x30
	s_load_b128 s[44:47], s[2:3], 0x20
	s_load_b96 s[48:50], s[2:3], 0x44
	s_load_b256 s[36:43], s[2:3], 0x0
	s_wait_kmcnt 0x0
	s_bitcmp1_b32 s4, 0
	s_mov_b32 s4, -1
	s_cselect_b32 s56, -1, 0
	s_sub_co_i32 s57, s54, s55
	s_delay_alu instid0(SALU_CYCLE_1)
	s_cmp_lt_u32 s57, 0x1101
	s_cbranch_scc0 .LBB317_15
; %bb.2:
	s_cmp_lt_u32 s57, 0x81
	s_cbranch_scc0 .LBB317_9
; %bb.3:
	s_load_b32 s4, s[2:3], 0x5c
	v_bfe_u32 v1, v0, 10, 10
	v_bfe_u32 v2, v0, 20, 10
	s_mov_b32 s15, exec_lo
	s_wait_kmcnt 0x0
	s_lshr_b32 s5, s4, 16
	s_and_b32 s4, s4, 0xffff
	v_mad_u32_u24 v1, v2, s5, v1
	v_and_b32_e32 v2, 0x3ff, v0
	s_delay_alu instid0(VALU_DEP_1) | instskip(NEXT) | instid1(VALU_DEP_1)
	v_mad_u32 v1, v1, s4, v2
	v_cmpx_gt_u32_e32 32, v1
	s_cbranch_execz .LBB317_8
; %bb.4:
	v_cndmask_b32_e64 v1, 0, 1, s56
	s_and_b32 s4, s48, 1
	s_get_pc_i64 s[16:17]
	s_add_nc_u64 s[16:17], s[16:17], _ZN7rocprim17ROCPRIM_400000_NS6detail26segmented_warp_sort_helperINS1_20WarpSortHelperConfigILj32ELj4ELj256EEEalLi256ELb1EvE4sortIPKaPaPKlPlEEvT_T0_T1_T2_jjjjRNS5_12storage_typeE@rel64+4
	s_delay_alu instid0(VALU_DEP_1)
	v_cmp_ne_u32_e32 vcc_lo, s4, v1
	s_mov_b32 s4, -1
	s_cbranch_vccnz .LBB317_6
; %bb.5:
	s_mov_b64 s[4:5], src_shared_base
	v_dual_mov_b32 v31, v0 :: v_dual_mov_b32 v40, v0
	v_dual_mov_b32 v0, s36 :: v_dual_mov_b32 v1, s37
	v_dual_mov_b32 v2, s40 :: v_dual_mov_b32 v3, s41
	v_dual_mov_b32 v4, s42 :: v_dual_mov_b32 v5, s43
	v_dual_mov_b32 v6, s46 :: v_dual_mov_b32 v7, s47
	v_dual_mov_b32 v8, s55 :: v_dual_mov_b32 v9, s54
	v_dual_mov_b32 v10, s49 :: v_dual_mov_b32 v11, s50
	v_dual_mov_b32 v12, 0 :: v_dual_mov_b32 v13, s5
	s_add_nc_u64 s[8:9], s[2:3], 0x50
	s_mov_b64 s[6:7], s[0:1]
	s_mov_b64 s[18:19], s[2:3]
	;; [unrolled: 1-line block ×3, first 2 shown]
	s_swap_pc_i64 s[30:31], s[16:17]
	v_mov_b32_e32 v0, v40
	s_mov_b64 s[0:1], s[20:21]
	s_mov_b64 s[2:3], s[18:19]
	s_mov_b32 s4, 0
.LBB317_6:
	s_delay_alu instid0(SALU_CYCLE_1)
	s_and_not1_b32 vcc_lo, exec_lo, s4
	s_cbranch_vccnz .LBB317_8
; %bb.7:
	s_mov_b64 s[4:5], src_shared_base
	v_dual_mov_b32 v31, v0 :: v_dual_mov_b32 v40, v0
	v_dual_mov_b32 v0, s36 :: v_dual_mov_b32 v1, s37
	;; [unrolled: 1-line block ×8, first 2 shown]
	s_add_nc_u64 s[8:9], s[2:3], 0x50
	s_mov_b64 s[6:7], s[0:1]
	s_mov_b64 s[18:19], s[2:3]
	;; [unrolled: 1-line block ×3, first 2 shown]
	s_swap_pc_i64 s[30:31], s[16:17]
	v_mov_b32_e32 v0, v40
	s_mov_b64 s[0:1], s[20:21]
	s_mov_b64 s[2:3], s[18:19]
.LBB317_8:
	s_or_b32 exec_lo, exec_lo, s15
	s_mov_b32 s4, 0
.LBB317_9:
	s_delay_alu instid0(SALU_CYCLE_1)
	s_and_not1_b32 vcc_lo, exec_lo, s4
	s_cbranch_vccnz .LBB317_14
; %bb.10:
	v_cndmask_b32_e64 v1, 0, 1, s56
	s_and_b32 s4, s48, 1
	s_get_pc_i64 s[28:29]
	s_add_nc_u64 s[28:29], s[28:29], _ZN7rocprim17ROCPRIM_400000_NS6detail40segmented_radix_sort_single_block_helperIalLj256ELj17ELb1EE4sortIPKaPaPKlPlEEbT_T0_T1_T2_jjjjRNS3_12storage_typeE@rel64+4
	s_delay_alu instid0(VALU_DEP_1)
	v_cmp_ne_u32_e32 vcc_lo, s4, v1
	s_mov_b32 s4, -1
	s_cbranch_vccnz .LBB317_12
; %bb.11:
	s_mov_b64 s[4:5], src_shared_base
	v_dual_mov_b32 v31, v0 :: v_dual_mov_b32 v40, v0
	v_dual_mov_b32 v0, s36 :: v_dual_mov_b32 v1, s37
	;; [unrolled: 1-line block ×8, first 2 shown]
	s_add_nc_u64 s[8:9], s[2:3], 0x50
	s_mov_b64 s[6:7], s[0:1]
	s_mov_b64 s[34:35], s[2:3]
	;; [unrolled: 1-line block ×3, first 2 shown]
	s_swap_pc_i64 s[30:31], s[28:29]
	v_mov_b32_e32 v0, v40
	s_mov_b64 s[0:1], s[52:53]
	s_mov_b64 s[2:3], s[34:35]
	s_mov_b32 s4, 0
.LBB317_12:
	s_delay_alu instid0(SALU_CYCLE_1)
	s_and_not1_b32 vcc_lo, exec_lo, s4
	s_cbranch_vccnz .LBB317_14
; %bb.13:
	s_mov_b64 s[4:5], src_shared_base
	v_dual_mov_b32 v31, v0 :: v_dual_mov_b32 v40, v0
	v_dual_mov_b32 v0, s36 :: v_dual_mov_b32 v1, s37
	;; [unrolled: 1-line block ×8, first 2 shown]
	s_add_nc_u64 s[8:9], s[2:3], 0x50
	s_mov_b64 s[6:7], s[0:1]
	s_mov_b64 s[34:35], s[2:3]
	s_swap_pc_i64 s[30:31], s[28:29]
	v_mov_b32_e32 v0, v40
	s_mov_b64 s[2:3], s[34:35]
.LBB317_14:
	s_mov_b32 s4, 0
.LBB317_15:
	s_delay_alu instid0(SALU_CYCLE_1)
	s_and_not1_b32 vcc_lo, exec_lo, s4
	s_cbranch_vccnz .LBB317_1262
; %bb.16:
	s_cmp_ge_u32 s49, s50
	s_cbranch_scc1 .LBB317_1262
; %bb.17:
	v_dual_mov_b32 v1, 0 :: v_dual_bitop2_b32 v6, 3, v0 bitop3:0x40
	v_and_b32_e32 v2, 0x3ff, v0
	v_and_b32_e32 v8, 0xe0, v0
	s_bfe_u32 s6, ttmp6, 0x40010
	s_delay_alu instid0(VALU_DEP_3)
	v_mov_b32_e32 v3, v1
	v_bfe_u32 v89, v0, 20, 10
	v_lshlrev_b32_e32 v66, 2, v2
	v_min_u32_e32 v7, 0x60, v8
	v_dual_lshrrev_b32 v9, 3, v0 :: v_dual_lshlrev_b32 v84, 2, v6
	v_mul_u32_u24_e32 v6, 17, v8
	s_delay_alu instid0(VALU_DEP_4) | instskip(NEXT) | instid1(VALU_DEP_4)
	v_mad_u32_u24 v85, v2, 12, v66
	v_or_b32_e32 v7, 31, v7
	s_delay_alu instid0(VALU_DEP_4) | instskip(SKIP_1) | instid1(VALU_DEP_4)
	v_and_b32_e32 v83, 28, v9
	v_dual_lshlrev_b32 v9, 4, v2 :: v_dual_bitop2_b32 v8, 31, v8 bitop3:0x54
	v_add_nc_u32_e32 v90, v85, v66
	s_delay_alu instid0(VALU_DEP_4) | instskip(NEXT) | instid1(VALU_DEP_4)
	v_cmp_eq_u32_e64 s1, v2, v7
	v_dual_mov_b32 v7, v1 :: v_dual_add_nc_u32 v88, 0x89fc, v83
	s_add_nc_u64 s[52:53], s[2:3], 0x50
	v_bfe_u32 v91, v0, 10, 10
	v_cmp_eq_u32_e64 s2, v2, v8
	v_dual_add_nc_u32 v8, 1, v2 :: v_dual_sub_nc_u32 v92, v90, v9
	v_lshlrev_b32_e32 v0, 3, v6
	s_add_co_i32 s6, s6, 1
	s_bfe_u32 s7, ttmp6, 0x40004
	s_mul_i32 s6, ttmp7, s6
	v_add_nc_u64_e32 v[4:5], s[40:41], v[2:3]
	s_add_co_i32 s8, s7, s6
	v_mul_u32_u24_e32 v93, 36, v8
	v_cmp_ne_u32_e64 s7, 0x80, v8
	v_add_nc_u64_e32 v[8:9], s[46:47], v[0:1]
	v_add_nc_u64_e32 v[10:11], s[40:41], v[6:7]
	;; [unrolled: 1-line block ×8, first 2 shown]
	v_or_b32_e32 v67, 0x100, v2
	v_or_b32_e32 v68, 0x200, v2
	;; [unrolled: 1-line block ×16, first 2 shown]
	v_cmp_gt_u32_e64 s0, 0x80, v2
	v_or_b32_e32 v86, 0x8a00, v83
	v_cmp_gt_u32_e64 s4, 4, v2
	v_add_nc_u32_e32 v87, 0x8a00, v66
	v_cmp_lt_u32_e64 s5, 31, v2
	v_cmp_gt_u32_e64 s3, 8, v2
	v_cmp_eq_u32_e64 s6, 0, v2
	v_dual_mov_b32 v7, 1 :: v_dual_lshlrev_b32 v94, 5, v2
	v_mul_u32_u24_e32 v95, 7, v2
	v_mbcnt_lo_u32_b32 v0, -1, 0
	s_cmp_eq_u32 s27, 0
	s_mov_b32 s35, 0
	s_cselect_b32 s42, ttmp7, s8
	s_movk_i32 s43, 0xff
	s_mov_b32 s48, s49
	s_branch .LBB317_20
.LBB317_18:                             ;   in Loop: Header=BB317_20 Depth=1
	s_wait_dscnt 0x0
	s_barrier_signal -1
	s_barrier_wait -1
.LBB317_19:                             ;   in Loop: Header=BB317_20 Depth=1
	s_add_co_i32 s48, s48, 7
	s_delay_alu instid0(SALU_CYCLE_1)
	s_cmp_ge_u32 s48, s50
	s_cbranch_scc1 .LBB317_1262
.LBB317_20:                             ; =>This Loop Header: Depth=1
                                        ;     Child Loop BB317_24 Depth 2
                                        ;     Child Loop BB317_108 Depth 2
                                        ;     Child Loop BB317_334 Depth 2
                                        ;     Child Loop BB317_418 Depth 2
                                        ;     Child Loop BB317_646 Depth 2
                                        ;     Child Loop BB317_730 Depth 2
                                        ;     Child Loop BB317_956 Depth 2
                                        ;     Child Loop BB317_1040 Depth 2
	s_sub_co_i32 s8, s50, s48
	s_xor_b32 s56, s56, -1
	s_min_u32 s8, s8, 7
	ds_store_2addr_stride64_b32 v66, v1, v1 offset1:4
	s_lshl_b32 s8, -1, s8
	s_wait_storecnt_dscnt 0x0
	s_not_b32 s58, s8
	s_cmp_lg_u32 s48, s49
	s_mov_b32 s8, -1
	s_cbranch_scc0 .LBB317_642
; %bb.21:                               ;   in Loop: Header=BB317_20 Depth=1
	s_and_b32 vcc_lo, exec_lo, s56
	s_cbranch_vccz .LBB317_331
; %bb.22:                               ;   in Loop: Header=BB317_20 Depth=1
	v_dual_mov_b32 v39, 0 :: v_dual_mov_b32 v42, 0
	v_dual_mov_b32 v41, 0 :: v_dual_mov_b32 v40, 0
	v_dual_mov_b32 v38, 0 :: v_dual_mov_b32 v37, 0
	v_dual_mov_b32 v36, 0 :: v_dual_mov_b32 v35, 0
	v_dual_mov_b32 v34, 0 :: v_dual_mov_b32 v33, 0
	v_dual_mov_b32 v32, 0 :: v_dual_mov_b32 v31, 0
	v_dual_mov_b32 v30, 0 :: v_dual_mov_b32 v29, 0
	v_dual_mov_b32 v28, 0 :: v_dual_mov_b32 v27, 0
	v_mov_b32_e32 v26, 0
	s_mov_b32 s8, s57
	s_mov_b32 s34, s55
	s_barrier_signal -1
	s_barrier_wait -1
	s_branch .LBB317_24
.LBB317_23:                             ;   in Loop: Header=BB317_24 Depth=2
	s_or_b32 exec_lo, exec_lo, s10
	s_addk_co_i32 s8, 0xef00
	s_cmp_ge_u32 s9, s54
	s_mov_b32 s34, s9
	s_cbranch_scc1 .LBB317_96
.LBB317_24:                             ;   Parent Loop BB317_20 Depth=1
                                        ; =>  This Inner Loop Header: Depth=2
	s_add_co_i32 s9, s34, 0x1100
	s_mov_b32 s10, -1
	s_cmp_gt_u32 s9, s54
                                        ; implicit-def: $vgpr24
                                        ; implicit-def: $vgpr25
                                        ; implicit-def: $vgpr43
                                        ; implicit-def: $vgpr44
                                        ; implicit-def: $vgpr45
                                        ; implicit-def: $vgpr46
                                        ; implicit-def: $vgpr47
                                        ; implicit-def: $vgpr48
                                        ; implicit-def: $vgpr49
                                        ; implicit-def: $vgpr50
                                        ; implicit-def: $vgpr51
                                        ; implicit-def: $vgpr52
                                        ; implicit-def: $vgpr53
                                        ; implicit-def: $vgpr54
                                        ; implicit-def: $vgpr55
                                        ; implicit-def: $vgpr56
                                        ; implicit-def: $vgpr57
	s_cbranch_scc1 .LBB317_26
; %bb.25:                               ;   in Loop: Header=BB317_24 Depth=2
	v_add_nc_u64_e32 v[58:59], s[34:35], v[4:5]
	s_mov_b32 s10, 0
	s_clause 0x10
	global_load_u8 v57, v[58:59], off offset:4096
	global_load_u8 v56, v[58:59], off offset:3840
	;; [unrolled: 1-line block ×16, first 2 shown]
	global_load_u8 v24, v[58:59], off
.LBB317_26:                             ;   in Loop: Header=BB317_24 Depth=2
	s_and_not1_b32 vcc_lo, exec_lo, s10
	s_movk_i32 s10, 0x1100
	s_cbranch_vccnz .LBB317_46
; %bb.27:                               ;   in Loop: Header=BB317_24 Depth=2
	s_add_nc_u64 s[10:11], s[40:41], s[34:35]
	s_wait_loadcnt 0x0
	v_add_nc_u64_e32 v[24:25], s[10:11], v[2:3]
	s_mov_b32 s10, exec_lo
	s_wait_xcnt 0x0
	v_cmpx_gt_u32_e64 s8, v2
	s_cbranch_execnz .LBB317_80
; %bb.28:                               ;   in Loop: Header=BB317_24 Depth=2
	s_or_b32 exec_lo, exec_lo, s10
	s_delay_alu instid0(SALU_CYCLE_1)
	s_mov_b32 s10, exec_lo
	v_cmpx_gt_u32_e64 s8, v67
	s_cbranch_execnz .LBB317_81
.LBB317_29:                             ;   in Loop: Header=BB317_24 Depth=2
	s_or_b32 exec_lo, exec_lo, s10
	s_delay_alu instid0(SALU_CYCLE_1)
	s_mov_b32 s10, exec_lo
	v_cmpx_gt_u32_e64 s8, v68
	s_cbranch_execnz .LBB317_82
.LBB317_30:                             ;   in Loop: Header=BB317_24 Depth=2
	s_or_b32 exec_lo, exec_lo, s10
	s_delay_alu instid0(SALU_CYCLE_1)
	s_mov_b32 s10, exec_lo
	v_cmpx_gt_u32_e64 s8, v69
	s_cbranch_execnz .LBB317_83
.LBB317_31:                             ;   in Loop: Header=BB317_24 Depth=2
	s_or_b32 exec_lo, exec_lo, s10
	s_delay_alu instid0(SALU_CYCLE_1)
	s_mov_b32 s10, exec_lo
	v_cmpx_gt_u32_e64 s8, v70
	s_cbranch_execnz .LBB317_84
.LBB317_32:                             ;   in Loop: Header=BB317_24 Depth=2
	s_or_b32 exec_lo, exec_lo, s10
	s_delay_alu instid0(SALU_CYCLE_1)
	s_mov_b32 s10, exec_lo
	v_cmpx_gt_u32_e64 s8, v71
	s_cbranch_execnz .LBB317_85
.LBB317_33:                             ;   in Loop: Header=BB317_24 Depth=2
	s_or_b32 exec_lo, exec_lo, s10
	s_delay_alu instid0(SALU_CYCLE_1)
	s_mov_b32 s10, exec_lo
	v_cmpx_gt_u32_e64 s8, v72
	s_cbranch_execnz .LBB317_86
.LBB317_34:                             ;   in Loop: Header=BB317_24 Depth=2
	s_or_b32 exec_lo, exec_lo, s10
	s_delay_alu instid0(SALU_CYCLE_1)
	s_mov_b32 s10, exec_lo
	v_cmpx_gt_u32_e64 s8, v73
	s_cbranch_execnz .LBB317_87
.LBB317_35:                             ;   in Loop: Header=BB317_24 Depth=2
	s_or_b32 exec_lo, exec_lo, s10
	s_delay_alu instid0(SALU_CYCLE_1)
	s_mov_b32 s10, exec_lo
	v_cmpx_gt_u32_e64 s8, v74
	s_cbranch_execnz .LBB317_88
.LBB317_36:                             ;   in Loop: Header=BB317_24 Depth=2
	s_or_b32 exec_lo, exec_lo, s10
	s_delay_alu instid0(SALU_CYCLE_1)
	s_mov_b32 s10, exec_lo
	v_cmpx_gt_u32_e64 s8, v75
	s_cbranch_execnz .LBB317_89
.LBB317_37:                             ;   in Loop: Header=BB317_24 Depth=2
	s_or_b32 exec_lo, exec_lo, s10
	s_delay_alu instid0(SALU_CYCLE_1)
	s_mov_b32 s10, exec_lo
	v_cmpx_gt_u32_e64 s8, v76
	s_cbranch_execnz .LBB317_90
.LBB317_38:                             ;   in Loop: Header=BB317_24 Depth=2
	s_or_b32 exec_lo, exec_lo, s10
	s_delay_alu instid0(SALU_CYCLE_1)
	s_mov_b32 s10, exec_lo
	v_cmpx_gt_u32_e64 s8, v77
	s_cbranch_execnz .LBB317_91
.LBB317_39:                             ;   in Loop: Header=BB317_24 Depth=2
	s_or_b32 exec_lo, exec_lo, s10
	s_delay_alu instid0(SALU_CYCLE_1)
	s_mov_b32 s10, exec_lo
	v_cmpx_gt_u32_e64 s8, v78
	s_cbranch_execnz .LBB317_92
.LBB317_40:                             ;   in Loop: Header=BB317_24 Depth=2
	s_or_b32 exec_lo, exec_lo, s10
	s_delay_alu instid0(SALU_CYCLE_1)
	s_mov_b32 s10, exec_lo
	v_cmpx_gt_u32_e64 s8, v79
	s_cbranch_execnz .LBB317_93
.LBB317_41:                             ;   in Loop: Header=BB317_24 Depth=2
	s_or_b32 exec_lo, exec_lo, s10
	s_delay_alu instid0(SALU_CYCLE_1)
	s_mov_b32 s10, exec_lo
	v_cmpx_gt_u32_e64 s8, v80
	s_cbranch_execnz .LBB317_94
.LBB317_42:                             ;   in Loop: Header=BB317_24 Depth=2
	s_or_b32 exec_lo, exec_lo, s10
	s_delay_alu instid0(SALU_CYCLE_1)
	s_mov_b32 s10, exec_lo
	v_cmpx_gt_u32_e64 s8, v81
	s_cbranch_execnz .LBB317_95
.LBB317_43:                             ;   in Loop: Header=BB317_24 Depth=2
	s_or_b32 exec_lo, exec_lo, s10
	s_delay_alu instid0(SALU_CYCLE_1)
	s_mov_b32 s10, exec_lo
	v_cmpx_gt_u32_e64 s8, v82
	s_cbranch_execz .LBB317_45
.LBB317_44:                             ;   in Loop: Header=BB317_24 Depth=2
	global_load_u8 v26, v[24:25], off offset:4096
.LBB317_45:                             ;   in Loop: Header=BB317_24 Depth=2
	s_wait_xcnt 0x0
	s_or_b32 exec_lo, exec_lo, s10
	s_wait_loadcnt 0x0
	v_dual_mov_b32 v24, v39 :: v_dual_mov_b32 v25, v42
	v_dual_mov_b32 v43, v41 :: v_dual_mov_b32 v44, v40
	;; [unrolled: 1-line block ×8, first 2 shown]
	v_mov_b32_e32 v57, v26
	s_mov_b32 s10, s8
.LBB317_46:                             ;   in Loop: Header=BB317_24 Depth=2
	s_wait_loadcnt 0xf
	s_delay_alu instid0(VALU_DEP_1)
	v_dual_mov_b32 v26, v57 :: v_dual_mov_b32 v27, v56
	s_wait_loadcnt 0xd
	v_dual_mov_b32 v28, v55 :: v_dual_mov_b32 v29, v54
	s_wait_loadcnt 0xb
	;; [unrolled: 2-line block ×8, first 2 shown]
	v_mov_b32_e32 v39, v24
	s_mov_b32 s11, exec_lo
	s_wait_xcnt 0x0
	v_cmpx_gt_u32_e64 s10, v2
	s_cbranch_execnz .LBB317_63
; %bb.47:                               ;   in Loop: Header=BB317_24 Depth=2
	s_or_b32 exec_lo, exec_lo, s11
	s_delay_alu instid0(SALU_CYCLE_1)
	s_mov_b32 s11, exec_lo
	v_cmpx_gt_u32_e64 s10, v67
	s_cbranch_execnz .LBB317_64
.LBB317_48:                             ;   in Loop: Header=BB317_24 Depth=2
	s_or_b32 exec_lo, exec_lo, s11
	s_delay_alu instid0(SALU_CYCLE_1)
	s_mov_b32 s11, exec_lo
	v_cmpx_gt_u32_e64 s10, v68
	s_cbranch_execnz .LBB317_65
.LBB317_49:                             ;   in Loop: Header=BB317_24 Depth=2
	s_or_b32 exec_lo, exec_lo, s11
	s_delay_alu instid0(SALU_CYCLE_1)
	s_mov_b32 s11, exec_lo
	v_cmpx_gt_u32_e64 s10, v69
	s_cbranch_execnz .LBB317_66
.LBB317_50:                             ;   in Loop: Header=BB317_24 Depth=2
	s_or_b32 exec_lo, exec_lo, s11
	s_delay_alu instid0(SALU_CYCLE_1)
	s_mov_b32 s11, exec_lo
	v_cmpx_gt_u32_e64 s10, v70
	s_cbranch_execnz .LBB317_67
.LBB317_51:                             ;   in Loop: Header=BB317_24 Depth=2
	s_or_b32 exec_lo, exec_lo, s11
	s_delay_alu instid0(SALU_CYCLE_1)
	s_mov_b32 s11, exec_lo
	v_cmpx_gt_u32_e64 s10, v71
	s_cbranch_execnz .LBB317_68
.LBB317_52:                             ;   in Loop: Header=BB317_24 Depth=2
	s_or_b32 exec_lo, exec_lo, s11
	s_delay_alu instid0(SALU_CYCLE_1)
	s_mov_b32 s11, exec_lo
	v_cmpx_gt_u32_e64 s10, v72
	s_cbranch_execnz .LBB317_69
.LBB317_53:                             ;   in Loop: Header=BB317_24 Depth=2
	s_or_b32 exec_lo, exec_lo, s11
	s_delay_alu instid0(SALU_CYCLE_1)
	s_mov_b32 s11, exec_lo
	v_cmpx_gt_u32_e64 s10, v73
	s_cbranch_execnz .LBB317_70
.LBB317_54:                             ;   in Loop: Header=BB317_24 Depth=2
	s_or_b32 exec_lo, exec_lo, s11
	s_delay_alu instid0(SALU_CYCLE_1)
	s_mov_b32 s11, exec_lo
	v_cmpx_gt_u32_e64 s10, v74
	s_cbranch_execnz .LBB317_71
.LBB317_55:                             ;   in Loop: Header=BB317_24 Depth=2
	s_or_b32 exec_lo, exec_lo, s11
	s_delay_alu instid0(SALU_CYCLE_1)
	s_mov_b32 s11, exec_lo
	v_cmpx_gt_u32_e64 s10, v75
	s_cbranch_execnz .LBB317_72
.LBB317_56:                             ;   in Loop: Header=BB317_24 Depth=2
	s_or_b32 exec_lo, exec_lo, s11
	s_delay_alu instid0(SALU_CYCLE_1)
	s_mov_b32 s11, exec_lo
	v_cmpx_gt_u32_e64 s10, v76
	s_cbranch_execnz .LBB317_73
.LBB317_57:                             ;   in Loop: Header=BB317_24 Depth=2
	s_or_b32 exec_lo, exec_lo, s11
	s_delay_alu instid0(SALU_CYCLE_1)
	s_mov_b32 s11, exec_lo
	v_cmpx_gt_u32_e64 s10, v77
	s_cbranch_execnz .LBB317_74
.LBB317_58:                             ;   in Loop: Header=BB317_24 Depth=2
	s_or_b32 exec_lo, exec_lo, s11
	s_delay_alu instid0(SALU_CYCLE_1)
	s_mov_b32 s11, exec_lo
	v_cmpx_gt_u32_e64 s10, v78
	s_cbranch_execnz .LBB317_75
.LBB317_59:                             ;   in Loop: Header=BB317_24 Depth=2
	s_or_b32 exec_lo, exec_lo, s11
	s_delay_alu instid0(SALU_CYCLE_1)
	s_mov_b32 s11, exec_lo
	v_cmpx_gt_u32_e64 s10, v79
	s_cbranch_execnz .LBB317_76
.LBB317_60:                             ;   in Loop: Header=BB317_24 Depth=2
	s_or_b32 exec_lo, exec_lo, s11
	s_delay_alu instid0(SALU_CYCLE_1)
	s_mov_b32 s11, exec_lo
	v_cmpx_gt_u32_e64 s10, v80
	s_cbranch_execnz .LBB317_77
.LBB317_61:                             ;   in Loop: Header=BB317_24 Depth=2
	s_or_b32 exec_lo, exec_lo, s11
	s_delay_alu instid0(SALU_CYCLE_1)
	s_mov_b32 s11, exec_lo
	v_cmpx_gt_u32_e64 s10, v81
	s_cbranch_execnz .LBB317_78
.LBB317_62:                             ;   in Loop: Header=BB317_24 Depth=2
	s_or_b32 exec_lo, exec_lo, s11
	v_cmp_gt_u32_e32 vcc_lo, s10, v82
	s_and_saveexec_b32 s10, vcc_lo
	s_cbranch_execz .LBB317_23
	s_branch .LBB317_79
.LBB317_63:                             ;   in Loop: Header=BB317_24 Depth=2
	v_xor_b32_e32 v24, 0x7f, v39
	s_delay_alu instid0(VALU_DEP_1) | instskip(NEXT) | instid1(VALU_DEP_1)
	v_and_b32_e32 v24, 0xff, v24
	v_lshrrev_b32_e32 v24, s48, v24
	s_delay_alu instid0(VALU_DEP_1) | instskip(NEXT) | instid1(VALU_DEP_1)
	v_and_b32_e32 v24, s58, v24
	v_lshl_or_b32 v24, v24, 4, v84
	ds_add_u32 v24, v7
	s_or_b32 exec_lo, exec_lo, s11
	s_delay_alu instid0(SALU_CYCLE_1)
	s_mov_b32 s11, exec_lo
	v_cmpx_gt_u32_e64 s10, v67
	s_cbranch_execz .LBB317_48
.LBB317_64:                             ;   in Loop: Header=BB317_24 Depth=2
	v_xor_b32_e32 v24, 0x7f, v42
	s_delay_alu instid0(VALU_DEP_1) | instskip(NEXT) | instid1(VALU_DEP_1)
	v_and_b32_e32 v24, 0xff, v24
	v_lshrrev_b32_e32 v24, s48, v24
	s_delay_alu instid0(VALU_DEP_1) | instskip(NEXT) | instid1(VALU_DEP_1)
	v_and_b32_e32 v24, s58, v24
	v_lshl_or_b32 v24, v24, 4, v84
	ds_add_u32 v24, v7
	s_or_b32 exec_lo, exec_lo, s11
	s_delay_alu instid0(SALU_CYCLE_1)
	s_mov_b32 s11, exec_lo
	v_cmpx_gt_u32_e64 s10, v68
	s_cbranch_execz .LBB317_49
.LBB317_65:                             ;   in Loop: Header=BB317_24 Depth=2
	v_xor_b32_e32 v24, 0x7f, v41
	s_delay_alu instid0(VALU_DEP_1) | instskip(NEXT) | instid1(VALU_DEP_1)
	v_and_b32_e32 v24, 0xff, v24
	v_lshrrev_b32_e32 v24, s48, v24
	s_delay_alu instid0(VALU_DEP_1) | instskip(NEXT) | instid1(VALU_DEP_1)
	v_and_b32_e32 v24, s58, v24
	v_lshl_or_b32 v24, v24, 4, v84
	ds_add_u32 v24, v7
	s_or_b32 exec_lo, exec_lo, s11
	s_delay_alu instid0(SALU_CYCLE_1)
	s_mov_b32 s11, exec_lo
	v_cmpx_gt_u32_e64 s10, v69
	s_cbranch_execz .LBB317_50
.LBB317_66:                             ;   in Loop: Header=BB317_24 Depth=2
	v_xor_b32_e32 v24, 0x7f, v40
	s_delay_alu instid0(VALU_DEP_1) | instskip(NEXT) | instid1(VALU_DEP_1)
	v_and_b32_e32 v24, 0xff, v24
	v_lshrrev_b32_e32 v24, s48, v24
	s_delay_alu instid0(VALU_DEP_1) | instskip(NEXT) | instid1(VALU_DEP_1)
	v_and_b32_e32 v24, s58, v24
	v_lshl_or_b32 v24, v24, 4, v84
	ds_add_u32 v24, v7
	s_or_b32 exec_lo, exec_lo, s11
	s_delay_alu instid0(SALU_CYCLE_1)
	s_mov_b32 s11, exec_lo
	v_cmpx_gt_u32_e64 s10, v70
	s_cbranch_execz .LBB317_51
.LBB317_67:                             ;   in Loop: Header=BB317_24 Depth=2
	v_xor_b32_e32 v24, 0x7f, v38
	s_delay_alu instid0(VALU_DEP_1) | instskip(NEXT) | instid1(VALU_DEP_1)
	v_and_b32_e32 v24, 0xff, v24
	v_lshrrev_b32_e32 v24, s48, v24
	s_delay_alu instid0(VALU_DEP_1) | instskip(NEXT) | instid1(VALU_DEP_1)
	v_and_b32_e32 v24, s58, v24
	v_lshl_or_b32 v24, v24, 4, v84
	ds_add_u32 v24, v7
	s_or_b32 exec_lo, exec_lo, s11
	s_delay_alu instid0(SALU_CYCLE_1)
	s_mov_b32 s11, exec_lo
	v_cmpx_gt_u32_e64 s10, v71
	s_cbranch_execz .LBB317_52
.LBB317_68:                             ;   in Loop: Header=BB317_24 Depth=2
	v_xor_b32_e32 v24, 0x7f, v37
	s_delay_alu instid0(VALU_DEP_1) | instskip(NEXT) | instid1(VALU_DEP_1)
	v_and_b32_e32 v24, 0xff, v24
	v_lshrrev_b32_e32 v24, s48, v24
	s_delay_alu instid0(VALU_DEP_1) | instskip(NEXT) | instid1(VALU_DEP_1)
	v_and_b32_e32 v24, s58, v24
	v_lshl_or_b32 v24, v24, 4, v84
	ds_add_u32 v24, v7
	s_or_b32 exec_lo, exec_lo, s11
	s_delay_alu instid0(SALU_CYCLE_1)
	s_mov_b32 s11, exec_lo
	v_cmpx_gt_u32_e64 s10, v72
	s_cbranch_execz .LBB317_53
.LBB317_69:                             ;   in Loop: Header=BB317_24 Depth=2
	v_xor_b32_e32 v24, 0x7f, v36
	s_delay_alu instid0(VALU_DEP_1) | instskip(NEXT) | instid1(VALU_DEP_1)
	v_and_b32_e32 v24, 0xff, v24
	v_lshrrev_b32_e32 v24, s48, v24
	s_delay_alu instid0(VALU_DEP_1) | instskip(NEXT) | instid1(VALU_DEP_1)
	v_and_b32_e32 v24, s58, v24
	v_lshl_or_b32 v24, v24, 4, v84
	ds_add_u32 v24, v7
	s_or_b32 exec_lo, exec_lo, s11
	s_delay_alu instid0(SALU_CYCLE_1)
	s_mov_b32 s11, exec_lo
	v_cmpx_gt_u32_e64 s10, v73
	s_cbranch_execz .LBB317_54
.LBB317_70:                             ;   in Loop: Header=BB317_24 Depth=2
	v_xor_b32_e32 v24, 0x7f, v35
	s_delay_alu instid0(VALU_DEP_1) | instskip(NEXT) | instid1(VALU_DEP_1)
	v_and_b32_e32 v24, 0xff, v24
	v_lshrrev_b32_e32 v24, s48, v24
	s_delay_alu instid0(VALU_DEP_1) | instskip(NEXT) | instid1(VALU_DEP_1)
	v_and_b32_e32 v24, s58, v24
	v_lshl_or_b32 v24, v24, 4, v84
	ds_add_u32 v24, v7
	s_or_b32 exec_lo, exec_lo, s11
	s_delay_alu instid0(SALU_CYCLE_1)
	s_mov_b32 s11, exec_lo
	v_cmpx_gt_u32_e64 s10, v74
	s_cbranch_execz .LBB317_55
.LBB317_71:                             ;   in Loop: Header=BB317_24 Depth=2
	v_xor_b32_e32 v24, 0x7f, v34
	s_delay_alu instid0(VALU_DEP_1) | instskip(NEXT) | instid1(VALU_DEP_1)
	v_and_b32_e32 v24, 0xff, v24
	v_lshrrev_b32_e32 v24, s48, v24
	s_delay_alu instid0(VALU_DEP_1) | instskip(NEXT) | instid1(VALU_DEP_1)
	v_and_b32_e32 v24, s58, v24
	v_lshl_or_b32 v24, v24, 4, v84
	ds_add_u32 v24, v7
	s_or_b32 exec_lo, exec_lo, s11
	s_delay_alu instid0(SALU_CYCLE_1)
	s_mov_b32 s11, exec_lo
	v_cmpx_gt_u32_e64 s10, v75
	s_cbranch_execz .LBB317_56
.LBB317_72:                             ;   in Loop: Header=BB317_24 Depth=2
	v_xor_b32_e32 v24, 0x7f, v33
	s_delay_alu instid0(VALU_DEP_1) | instskip(NEXT) | instid1(VALU_DEP_1)
	v_and_b32_e32 v24, 0xff, v24
	v_lshrrev_b32_e32 v24, s48, v24
	s_delay_alu instid0(VALU_DEP_1) | instskip(NEXT) | instid1(VALU_DEP_1)
	v_and_b32_e32 v24, s58, v24
	v_lshl_or_b32 v24, v24, 4, v84
	ds_add_u32 v24, v7
	s_or_b32 exec_lo, exec_lo, s11
	s_delay_alu instid0(SALU_CYCLE_1)
	s_mov_b32 s11, exec_lo
	v_cmpx_gt_u32_e64 s10, v76
	s_cbranch_execz .LBB317_57
.LBB317_73:                             ;   in Loop: Header=BB317_24 Depth=2
	v_xor_b32_e32 v24, 0x7f, v32
	s_delay_alu instid0(VALU_DEP_1) | instskip(NEXT) | instid1(VALU_DEP_1)
	v_and_b32_e32 v24, 0xff, v24
	v_lshrrev_b32_e32 v24, s48, v24
	s_delay_alu instid0(VALU_DEP_1) | instskip(NEXT) | instid1(VALU_DEP_1)
	v_and_b32_e32 v24, s58, v24
	v_lshl_or_b32 v24, v24, 4, v84
	ds_add_u32 v24, v7
	s_or_b32 exec_lo, exec_lo, s11
	s_delay_alu instid0(SALU_CYCLE_1)
	s_mov_b32 s11, exec_lo
	v_cmpx_gt_u32_e64 s10, v77
	s_cbranch_execz .LBB317_58
.LBB317_74:                             ;   in Loop: Header=BB317_24 Depth=2
	v_xor_b32_e32 v24, 0x7f, v31
	s_delay_alu instid0(VALU_DEP_1) | instskip(NEXT) | instid1(VALU_DEP_1)
	v_and_b32_e32 v24, 0xff, v24
	v_lshrrev_b32_e32 v24, s48, v24
	s_delay_alu instid0(VALU_DEP_1) | instskip(NEXT) | instid1(VALU_DEP_1)
	v_and_b32_e32 v24, s58, v24
	v_lshl_or_b32 v24, v24, 4, v84
	ds_add_u32 v24, v7
	s_or_b32 exec_lo, exec_lo, s11
	s_delay_alu instid0(SALU_CYCLE_1)
	s_mov_b32 s11, exec_lo
	v_cmpx_gt_u32_e64 s10, v78
	s_cbranch_execz .LBB317_59
.LBB317_75:                             ;   in Loop: Header=BB317_24 Depth=2
	v_xor_b32_e32 v24, 0x7f, v30
	s_delay_alu instid0(VALU_DEP_1) | instskip(NEXT) | instid1(VALU_DEP_1)
	v_and_b32_e32 v24, 0xff, v24
	v_lshrrev_b32_e32 v24, s48, v24
	s_delay_alu instid0(VALU_DEP_1) | instskip(NEXT) | instid1(VALU_DEP_1)
	v_and_b32_e32 v24, s58, v24
	v_lshl_or_b32 v24, v24, 4, v84
	ds_add_u32 v24, v7
	s_or_b32 exec_lo, exec_lo, s11
	s_delay_alu instid0(SALU_CYCLE_1)
	s_mov_b32 s11, exec_lo
	v_cmpx_gt_u32_e64 s10, v79
	s_cbranch_execz .LBB317_60
.LBB317_76:                             ;   in Loop: Header=BB317_24 Depth=2
	v_xor_b32_e32 v24, 0x7f, v29
	s_delay_alu instid0(VALU_DEP_1) | instskip(NEXT) | instid1(VALU_DEP_1)
	v_and_b32_e32 v24, 0xff, v24
	v_lshrrev_b32_e32 v24, s48, v24
	s_delay_alu instid0(VALU_DEP_1) | instskip(NEXT) | instid1(VALU_DEP_1)
	v_and_b32_e32 v24, s58, v24
	v_lshl_or_b32 v24, v24, 4, v84
	ds_add_u32 v24, v7
	s_or_b32 exec_lo, exec_lo, s11
	s_delay_alu instid0(SALU_CYCLE_1)
	s_mov_b32 s11, exec_lo
	v_cmpx_gt_u32_e64 s10, v80
	s_cbranch_execz .LBB317_61
.LBB317_77:                             ;   in Loop: Header=BB317_24 Depth=2
	v_xor_b32_e32 v24, 0x7f, v28
	s_delay_alu instid0(VALU_DEP_1) | instskip(NEXT) | instid1(VALU_DEP_1)
	v_and_b32_e32 v24, 0xff, v24
	v_lshrrev_b32_e32 v24, s48, v24
	s_delay_alu instid0(VALU_DEP_1) | instskip(NEXT) | instid1(VALU_DEP_1)
	v_and_b32_e32 v24, s58, v24
	v_lshl_or_b32 v24, v24, 4, v84
	ds_add_u32 v24, v7
	s_or_b32 exec_lo, exec_lo, s11
	s_delay_alu instid0(SALU_CYCLE_1)
	s_mov_b32 s11, exec_lo
	v_cmpx_gt_u32_e64 s10, v81
	s_cbranch_execz .LBB317_62
.LBB317_78:                             ;   in Loop: Header=BB317_24 Depth=2
	v_xor_b32_e32 v24, 0x7f, v27
	s_delay_alu instid0(VALU_DEP_1) | instskip(NEXT) | instid1(VALU_DEP_1)
	v_and_b32_e32 v24, 0xff, v24
	v_lshrrev_b32_e32 v24, s48, v24
	s_delay_alu instid0(VALU_DEP_1) | instskip(NEXT) | instid1(VALU_DEP_1)
	v_and_b32_e32 v24, s58, v24
	v_lshl_or_b32 v24, v24, 4, v84
	ds_add_u32 v24, v7
	s_or_b32 exec_lo, exec_lo, s11
	v_cmp_gt_u32_e32 vcc_lo, s10, v82
	s_and_saveexec_b32 s10, vcc_lo
	s_cbranch_execz .LBB317_23
.LBB317_79:                             ;   in Loop: Header=BB317_24 Depth=2
	v_xor_b32_e32 v24, 0x7f, v26
	s_delay_alu instid0(VALU_DEP_1) | instskip(NEXT) | instid1(VALU_DEP_1)
	v_and_b32_e32 v24, 0xff, v24
	v_lshrrev_b32_e32 v24, s48, v24
	s_delay_alu instid0(VALU_DEP_1) | instskip(NEXT) | instid1(VALU_DEP_1)
	v_and_b32_e32 v24, s58, v24
	v_lshl_or_b32 v24, v24, 4, v84
	ds_add_u32 v24, v7
	s_branch .LBB317_23
.LBB317_80:                             ;   in Loop: Header=BB317_24 Depth=2
	global_load_u8 v39, v[24:25], off
	s_wait_xcnt 0x0
	s_or_b32 exec_lo, exec_lo, s10
	s_delay_alu instid0(SALU_CYCLE_1)
	s_mov_b32 s10, exec_lo
	v_cmpx_gt_u32_e64 s8, v67
	s_cbranch_execz .LBB317_29
.LBB317_81:                             ;   in Loop: Header=BB317_24 Depth=2
	global_load_u8 v42, v[24:25], off offset:256
	s_wait_xcnt 0x0
	s_or_b32 exec_lo, exec_lo, s10
	s_delay_alu instid0(SALU_CYCLE_1)
	s_mov_b32 s10, exec_lo
	v_cmpx_gt_u32_e64 s8, v68
	s_cbranch_execz .LBB317_30
.LBB317_82:                             ;   in Loop: Header=BB317_24 Depth=2
	global_load_u8 v41, v[24:25], off offset:512
	s_wait_xcnt 0x0
	s_or_b32 exec_lo, exec_lo, s10
	s_delay_alu instid0(SALU_CYCLE_1)
	s_mov_b32 s10, exec_lo
	v_cmpx_gt_u32_e64 s8, v69
	s_cbranch_execz .LBB317_31
.LBB317_83:                             ;   in Loop: Header=BB317_24 Depth=2
	global_load_u8 v40, v[24:25], off offset:768
	s_wait_xcnt 0x0
	s_or_b32 exec_lo, exec_lo, s10
	s_delay_alu instid0(SALU_CYCLE_1)
	s_mov_b32 s10, exec_lo
	v_cmpx_gt_u32_e64 s8, v70
	s_cbranch_execz .LBB317_32
.LBB317_84:                             ;   in Loop: Header=BB317_24 Depth=2
	global_load_u8 v38, v[24:25], off offset:1024
	s_wait_xcnt 0x0
	s_or_b32 exec_lo, exec_lo, s10
	s_delay_alu instid0(SALU_CYCLE_1)
	s_mov_b32 s10, exec_lo
	v_cmpx_gt_u32_e64 s8, v71
	s_cbranch_execz .LBB317_33
.LBB317_85:                             ;   in Loop: Header=BB317_24 Depth=2
	global_load_u8 v37, v[24:25], off offset:1280
	s_wait_xcnt 0x0
	s_or_b32 exec_lo, exec_lo, s10
	s_delay_alu instid0(SALU_CYCLE_1)
	s_mov_b32 s10, exec_lo
	v_cmpx_gt_u32_e64 s8, v72
	s_cbranch_execz .LBB317_34
.LBB317_86:                             ;   in Loop: Header=BB317_24 Depth=2
	global_load_u8 v36, v[24:25], off offset:1536
	s_wait_xcnt 0x0
	s_or_b32 exec_lo, exec_lo, s10
	s_delay_alu instid0(SALU_CYCLE_1)
	s_mov_b32 s10, exec_lo
	v_cmpx_gt_u32_e64 s8, v73
	s_cbranch_execz .LBB317_35
.LBB317_87:                             ;   in Loop: Header=BB317_24 Depth=2
	global_load_u8 v35, v[24:25], off offset:1792
	s_wait_xcnt 0x0
	s_or_b32 exec_lo, exec_lo, s10
	s_delay_alu instid0(SALU_CYCLE_1)
	s_mov_b32 s10, exec_lo
	v_cmpx_gt_u32_e64 s8, v74
	s_cbranch_execz .LBB317_36
.LBB317_88:                             ;   in Loop: Header=BB317_24 Depth=2
	global_load_u8 v34, v[24:25], off offset:2048
	s_wait_xcnt 0x0
	s_or_b32 exec_lo, exec_lo, s10
	s_delay_alu instid0(SALU_CYCLE_1)
	s_mov_b32 s10, exec_lo
	v_cmpx_gt_u32_e64 s8, v75
	s_cbranch_execz .LBB317_37
.LBB317_89:                             ;   in Loop: Header=BB317_24 Depth=2
	global_load_u8 v33, v[24:25], off offset:2304
	s_wait_xcnt 0x0
	s_or_b32 exec_lo, exec_lo, s10
	s_delay_alu instid0(SALU_CYCLE_1)
	s_mov_b32 s10, exec_lo
	v_cmpx_gt_u32_e64 s8, v76
	s_cbranch_execz .LBB317_38
.LBB317_90:                             ;   in Loop: Header=BB317_24 Depth=2
	global_load_u8 v32, v[24:25], off offset:2560
	s_wait_xcnt 0x0
	s_or_b32 exec_lo, exec_lo, s10
	s_delay_alu instid0(SALU_CYCLE_1)
	s_mov_b32 s10, exec_lo
	v_cmpx_gt_u32_e64 s8, v77
	s_cbranch_execz .LBB317_39
.LBB317_91:                             ;   in Loop: Header=BB317_24 Depth=2
	global_load_u8 v31, v[24:25], off offset:2816
	s_wait_xcnt 0x0
	s_or_b32 exec_lo, exec_lo, s10
	s_delay_alu instid0(SALU_CYCLE_1)
	s_mov_b32 s10, exec_lo
	v_cmpx_gt_u32_e64 s8, v78
	s_cbranch_execz .LBB317_40
.LBB317_92:                             ;   in Loop: Header=BB317_24 Depth=2
	global_load_u8 v30, v[24:25], off offset:3072
	s_wait_xcnt 0x0
	s_or_b32 exec_lo, exec_lo, s10
	s_delay_alu instid0(SALU_CYCLE_1)
	s_mov_b32 s10, exec_lo
	v_cmpx_gt_u32_e64 s8, v79
	s_cbranch_execz .LBB317_41
.LBB317_93:                             ;   in Loop: Header=BB317_24 Depth=2
	global_load_u8 v29, v[24:25], off offset:3328
	s_wait_xcnt 0x0
	s_or_b32 exec_lo, exec_lo, s10
	s_delay_alu instid0(SALU_CYCLE_1)
	s_mov_b32 s10, exec_lo
	v_cmpx_gt_u32_e64 s8, v80
	s_cbranch_execz .LBB317_42
.LBB317_94:                             ;   in Loop: Header=BB317_24 Depth=2
	global_load_u8 v28, v[24:25], off offset:3584
	s_wait_xcnt 0x0
	s_or_b32 exec_lo, exec_lo, s10
	s_delay_alu instid0(SALU_CYCLE_1)
	s_mov_b32 s10, exec_lo
	v_cmpx_gt_u32_e64 s8, v81
	s_cbranch_execz .LBB317_43
.LBB317_95:                             ;   in Loop: Header=BB317_24 Depth=2
	global_load_u8 v27, v[24:25], off offset:3840
	s_wait_xcnt 0x0
	s_or_b32 exec_lo, exec_lo, s10
	s_delay_alu instid0(SALU_CYCLE_1)
	s_mov_b32 s10, exec_lo
	v_cmpx_gt_u32_e64 s8, v82
	s_cbranch_execnz .LBB317_44
	s_branch .LBB317_45
.LBB317_96:                             ;   in Loop: Header=BB317_20 Depth=1
	v_mov_b32_e32 v24, 0
	s_wait_dscnt 0x0
	s_barrier_signal -1
	s_barrier_wait -1
	s_and_saveexec_b32 s8, s0
	s_cbranch_execz .LBB317_98
; %bb.97:                               ;   in Loop: Header=BB317_20 Depth=1
	ds_load_2addr_b64 v[24:27], v85 offset1:1
	s_wait_dscnt 0x0
	v_add_nc_u32_e32 v24, v25, v24
	s_delay_alu instid0(VALU_DEP_1)
	v_add3_u32 v24, v24, v26, v27
.LBB317_98:                             ;   in Loop: Header=BB317_20 Depth=1
	s_or_b32 exec_lo, exec_lo, s8
	v_and_b32_e32 v25, 15, v0
	s_delay_alu instid0(VALU_DEP_2) | instskip(SKIP_1) | instid1(VALU_DEP_3)
	v_mov_b32_dpp v26, v24 row_shr:1 row_mask:0xf bank_mask:0xf
	v_and_b32_e32 v27, 16, v0
	v_cmp_eq_u32_e64 s8, 0, v25
	v_cmp_lt_u32_e64 s9, 1, v25
	s_delay_alu instid0(VALU_DEP_3) | instskip(NEXT) | instid1(VALU_DEP_3)
	v_cmp_eq_u32_e64 s12, 0, v27
	v_cndmask_b32_e64 v26, v26, 0, s8
	s_delay_alu instid0(VALU_DEP_1) | instskip(NEXT) | instid1(VALU_DEP_1)
	v_add_nc_u32_e32 v24, v26, v24
	v_mov_b32_dpp v26, v24 row_shr:2 row_mask:0xf bank_mask:0xf
	s_delay_alu instid0(VALU_DEP_1) | instskip(SKIP_2) | instid1(VALU_DEP_3)
	v_cndmask_b32_e64 v26, 0, v26, s9
	v_cmp_lt_u32_e64 s11, 7, v25
	v_cmp_lt_u32_e64 s10, 3, v25
	v_add_nc_u32_e32 v24, v24, v26
	s_delay_alu instid0(VALU_DEP_1) | instskip(NEXT) | instid1(VALU_DEP_1)
	v_mov_b32_dpp v26, v24 row_shr:4 row_mask:0xf bank_mask:0xf
	v_cndmask_b32_e64 v26, 0, v26, s10
	s_delay_alu instid0(VALU_DEP_1) | instskip(NEXT) | instid1(VALU_DEP_1)
	v_add_nc_u32_e32 v24, v24, v26
	v_mov_b32_dpp v26, v24 row_shr:8 row_mask:0xf bank_mask:0xf
	s_delay_alu instid0(VALU_DEP_1) | instskip(SKIP_1) | instid1(VALU_DEP_2)
	v_cndmask_b32_e64 v25, 0, v26, s11
	v_bfe_i32 v26, v0, 4, 1
	v_add_nc_u32_e32 v24, v24, v25
	ds_swizzle_b32 v25, v24 offset:swizzle(BROADCAST,32,15)
	s_wait_dscnt 0x0
	v_and_b32_e32 v25, v26, v25
	s_delay_alu instid0(VALU_DEP_1)
	v_add_nc_u32_e32 v24, v24, v25
	s_and_saveexec_b32 s13, s1
; %bb.99:                               ;   in Loop: Header=BB317_20 Depth=1
	ds_store_b32 v86, v24
; %bb.100:                              ;   in Loop: Header=BB317_20 Depth=1
	s_or_b32 exec_lo, exec_lo, s13
	s_wait_dscnt 0x0
	s_barrier_signal -1
	s_barrier_wait -1
	s_and_saveexec_b32 s13, s4
	s_cbranch_execz .LBB317_102
; %bb.101:                              ;   in Loop: Header=BB317_20 Depth=1
	ds_load_b32 v25, v87
	s_wait_dscnt 0x0
	v_mov_b32_dpp v27, v25 row_shr:1 row_mask:0xf bank_mask:0xf
	v_and_b32_e32 v26, 3, v0
	s_delay_alu instid0(VALU_DEP_1) | instskip(NEXT) | instid1(VALU_DEP_3)
	v_cmp_ne_u32_e32 vcc_lo, 0, v26
	v_cndmask_b32_e32 v27, 0, v27, vcc_lo
	v_cmp_lt_u32_e32 vcc_lo, 1, v26
	s_delay_alu instid0(VALU_DEP_2) | instskip(NEXT) | instid1(VALU_DEP_1)
	v_add_nc_u32_e32 v25, v27, v25
	v_mov_b32_dpp v27, v25 row_shr:2 row_mask:0xf bank_mask:0xf
	s_delay_alu instid0(VALU_DEP_1) | instskip(NEXT) | instid1(VALU_DEP_1)
	v_cndmask_b32_e32 v26, 0, v27, vcc_lo
	v_add_nc_u32_e32 v25, v25, v26
	ds_store_b32 v87, v25
.LBB317_102:                            ;   in Loop: Header=BB317_20 Depth=1
	s_or_b32 exec_lo, exec_lo, s13
	v_mov_b32_e32 v25, 0
	s_wait_dscnt 0x0
	s_barrier_signal -1
	s_barrier_wait -1
	s_and_saveexec_b32 s13, s5
; %bb.103:                              ;   in Loop: Header=BB317_20 Depth=1
	ds_load_b32 v25, v88
; %bb.104:                              ;   in Loop: Header=BB317_20 Depth=1
	s_or_b32 exec_lo, exec_lo, s13
	v_sub_co_u32 v26, s13, v0, 1
	s_wait_dscnt 0x0
	s_barrier_signal -1
	s_barrier_wait -1
	s_delay_alu instid0(VALU_DEP_1) | instskip(SKIP_1) | instid1(VALU_DEP_1)
	v_cmp_gt_i32_e32 vcc_lo, 0, v26
	v_cndmask_b32_e32 v26, v26, v0, vcc_lo
	v_dual_add_nc_u32 v24, v25, v24 :: v_dual_lshlrev_b32 v96, 2, v26
	ds_bpermute_b32 v24, v96, v24
	s_and_saveexec_b32 s14, s0
	s_cbranch_execz .LBB317_106
; %bb.105:                              ;   in Loop: Header=BB317_20 Depth=1
	s_wait_dscnt 0x0
	v_cndmask_b32_e64 v24, v24, v25, s13
	s_delay_alu instid0(VALU_DEP_1)
	v_add_nc_u32_e32 v24, s55, v24
	ds_store_b32 v66, v24
.LBB317_106:                            ;   in Loop: Header=BB317_20 Depth=1
	s_or_b32 exec_lo, exec_lo, s14
	s_clause 0x1
	s_load_b32 s14, s[52:53], 0x4
	s_load_b32 s17, s[52:53], 0xc
	v_dual_lshlrev_b32 v26, 3, v0 :: v_dual_bitop2_b32 v28, 7, v0 bitop3:0x40
	v_dual_mov_b32 v27, v1 :: v_dual_bitop2_b32 v97, v0, v6 bitop3:0x54
	s_wait_dscnt 0x0
	v_add_nc_u64_e32 v[24:25], v[10:11], v[0:1]
	s_delay_alu instid0(VALU_DEP_3)
	v_cmp_lt_u32_e64 s16, 3, v28
	v_mov_b32_e32 v115, 0
	v_add_nc_u64_e32 v[26:27], v[8:9], v[26:27]
	v_dual_add_nc_u32 v98, 32, v97 :: v_dual_add_nc_u32 v99, 64, v97
	v_add_nc_u32_e32 v100, 0x60, v97
	v_add_nc_u32_e32 v101, 0x80, v97
	;; [unrolled: 1-line block ×8, first 2 shown]
	s_wait_kmcnt 0x0
	s_cmp_lt_u32 s42, s14
	v_add_nc_u32_e32 v108, 0x160, v97
	s_cselect_b32 s34, 14, 20
	s_and_b32 s17, s17, 0xffff
	s_add_nc_u64 s[14:15], s[52:53], s[34:35]
	v_add_nc_u32_e32 v109, 0x180, v97
	s_load_u16 s18, s[14:15], 0x0
	s_wait_xcnt 0x0
	v_cmp_eq_u32_e64 s14, 0, v28
	v_cmp_lt_u32_e64 s15, 1, v28
	v_add_nc_u32_e32 v110, 0x1a0, v97
	v_add_nc_u32_e32 v111, 0x1c0, v97
	;; [unrolled: 1-line block ×4, first 2 shown]
	s_mov_b32 s59, s57
	s_mov_b32 s34, s55
                                        ; implicit-def: $vgpr30_vgpr31
                                        ; implicit-def: $vgpr32_vgpr33
                                        ; implicit-def: $vgpr34_vgpr35
                                        ; implicit-def: $vgpr36_vgpr37
                                        ; implicit-def: $vgpr38_vgpr39
                                        ; implicit-def: $vgpr40_vgpr41
                                        ; implicit-def: $vgpr42_vgpr43
                                        ; implicit-def: $vgpr44_vgpr45
                                        ; implicit-def: $vgpr46_vgpr47
                                        ; implicit-def: $vgpr48_vgpr49
                                        ; implicit-def: $vgpr50_vgpr51
                                        ; implicit-def: $vgpr52_vgpr53
                                        ; implicit-def: $vgpr54_vgpr55
                                        ; implicit-def: $vgpr56_vgpr57
                                        ; implicit-def: $vgpr58_vgpr59
                                        ; implicit-def: $vgpr60_vgpr61
                                        ; implicit-def: $vgpr116
                                        ; implicit-def: $vgpr117
                                        ; implicit-def: $vgpr118
                                        ; implicit-def: $vgpr119
                                        ; implicit-def: $vgpr120
                                        ; implicit-def: $vgpr121
                                        ; implicit-def: $vgpr122
                                        ; implicit-def: $vgpr123
                                        ; implicit-def: $vgpr124
                                        ; implicit-def: $vgpr125
                                        ; implicit-def: $vgpr126
                                        ; implicit-def: $vgpr127
                                        ; implicit-def: $vgpr128
                                        ; implicit-def: $vgpr129
                                        ; implicit-def: $vgpr130
                                        ; implicit-def: $vgpr131
                                        ; implicit-def: $vgpr132
                                        ; implicit-def: $vgpr133
                                        ; implicit-def: $vgpr134
	s_wait_kmcnt 0x0
	v_mad_u32_u24 v28, v89, s18, v91
	s_delay_alu instid0(VALU_DEP_1) | instskip(NEXT) | instid1(VALU_DEP_1)
	v_mad_u32 v28, v28, s17, v2
	v_lshrrev_b32_e32 v28, 3, v28
	s_delay_alu instid0(VALU_DEP_1)
	v_and_b32_e32 v114, 0x1ffffffc, v28
                                        ; implicit-def: $vgpr28_vgpr29
	s_branch .LBB317_108
.LBB317_107:                            ;   in Loop: Header=BB317_108 Depth=2
	s_or_b32 exec_lo, exec_lo, s17
	s_addk_co_i32 s59, 0xef00
	s_cmp_lt_u32 s60, s54
	s_mov_b32 s34, s60
	s_cbranch_scc0 .LBB317_330
.LBB317_108:                            ;   Parent Loop BB317_20 Depth=1
                                        ; =>  This Inner Loop Header: Depth=2
	s_add_co_i32 s60, s34, 0x1100
	s_delay_alu instid0(SALU_CYCLE_1)
	s_cmp_gt_u32 s60, s54
	s_cbranch_scc1 .LBB317_110
; %bb.109:                              ;   in Loop: Header=BB317_108 Depth=2
	v_add_nc_u64_e32 v[62:63], s[34:35], v[24:25]
	s_mov_b32 s17, -1
	s_clause 0xf
	global_load_u8 v135, v[62:63], off offset:480
	global_load_u8 v65, v[62:63], off offset:448
	;; [unrolled: 1-line block ×15, first 2 shown]
	global_load_u8 v147, v[62:63], off
	s_movk_i32 s18, 0x1100
	s_cbranch_execz .LBB317_111
	s_branch .LBB317_129
.LBB317_110:                            ;   in Loop: Header=BB317_108 Depth=2
	s_mov_b32 s17, 0
                                        ; implicit-def: $vgpr147
                                        ; implicit-def: $vgpr150
                                        ; implicit-def: $vgpr148
                                        ; implicit-def: $vgpr151
                                        ; implicit-def: $vgpr142
                                        ; implicit-def: $vgpr145
                                        ; implicit-def: $vgpr143
                                        ; implicit-def: $vgpr144
                                        ; implicit-def: $vgpr138
                                        ; implicit-def: $vgpr141
                                        ; implicit-def: $vgpr139
                                        ; implicit-def: $vgpr140
                                        ; implicit-def: $vgpr64
                                        ; implicit-def: $vgpr136
                                        ; implicit-def: $vgpr65
                                        ; implicit-def: $vgpr135
                                        ; implicit-def: $vgpr115
	s_movk_i32 s18, 0x1100
.LBB317_111:                            ;   in Loop: Header=BB317_108 Depth=2
	s_wait_xcnt 0x0
	v_add_nc_u64_e32 v[62:63], s[34:35], v[24:25]
	s_wait_loadcnt 0x1
	v_dual_mov_b32 v115, 0x80 :: v_dual_mov_b32 v150, 0x80
	s_wait_loadcnt 0x0
	v_dual_mov_b32 v147, 0x80 :: v_dual_mov_b32 v148, 0x80
	v_dual_mov_b32 v151, 0x80 :: v_dual_mov_b32 v142, 0x80
	;; [unrolled: 1-line block ×7, first 2 shown]
	v_mov_b32_e32 v135, 0x80
	s_mov_b32 s17, exec_lo
	v_cmpx_gt_u32_e64 s59, v97
	s_cbranch_execnz .LBB317_315
; %bb.112:                              ;   in Loop: Header=BB317_108 Depth=2
	s_or_b32 exec_lo, exec_lo, s17
	s_delay_alu instid0(SALU_CYCLE_1)
	s_mov_b32 s17, exec_lo
	v_cmpx_gt_u32_e64 s59, v98
	s_cbranch_execnz .LBB317_316
.LBB317_113:                            ;   in Loop: Header=BB317_108 Depth=2
	s_or_b32 exec_lo, exec_lo, s17
	s_delay_alu instid0(SALU_CYCLE_1)
	s_mov_b32 s17, exec_lo
	v_cmpx_gt_u32_e64 s59, v99
	s_cbranch_execnz .LBB317_317
.LBB317_114:                            ;   in Loop: Header=BB317_108 Depth=2
	s_or_b32 exec_lo, exec_lo, s17
	s_delay_alu instid0(SALU_CYCLE_1)
	s_mov_b32 s17, exec_lo
	v_cmpx_gt_u32_e64 s59, v100
	s_cbranch_execnz .LBB317_318
.LBB317_115:                            ;   in Loop: Header=BB317_108 Depth=2
	s_or_b32 exec_lo, exec_lo, s17
	s_delay_alu instid0(SALU_CYCLE_1)
	s_mov_b32 s17, exec_lo
	v_cmpx_gt_u32_e64 s59, v101
	s_cbranch_execnz .LBB317_319
.LBB317_116:                            ;   in Loop: Header=BB317_108 Depth=2
	s_or_b32 exec_lo, exec_lo, s17
	s_delay_alu instid0(SALU_CYCLE_1)
	s_mov_b32 s17, exec_lo
	v_cmpx_gt_u32_e64 s59, v102
	s_cbranch_execnz .LBB317_320
.LBB317_117:                            ;   in Loop: Header=BB317_108 Depth=2
	s_or_b32 exec_lo, exec_lo, s17
	s_delay_alu instid0(SALU_CYCLE_1)
	s_mov_b32 s17, exec_lo
	v_cmpx_gt_u32_e64 s59, v103
	s_cbranch_execnz .LBB317_321
.LBB317_118:                            ;   in Loop: Header=BB317_108 Depth=2
	s_or_b32 exec_lo, exec_lo, s17
	s_delay_alu instid0(SALU_CYCLE_1)
	s_mov_b32 s17, exec_lo
	v_cmpx_gt_u32_e64 s59, v104
	s_cbranch_execnz .LBB317_322
.LBB317_119:                            ;   in Loop: Header=BB317_108 Depth=2
	s_or_b32 exec_lo, exec_lo, s17
	s_delay_alu instid0(SALU_CYCLE_1)
	s_mov_b32 s17, exec_lo
	v_cmpx_gt_u32_e64 s59, v105
	s_cbranch_execnz .LBB317_323
.LBB317_120:                            ;   in Loop: Header=BB317_108 Depth=2
	s_or_b32 exec_lo, exec_lo, s17
	s_delay_alu instid0(SALU_CYCLE_1)
	s_mov_b32 s17, exec_lo
	v_cmpx_gt_u32_e64 s59, v106
	s_cbranch_execnz .LBB317_324
.LBB317_121:                            ;   in Loop: Header=BB317_108 Depth=2
	s_or_b32 exec_lo, exec_lo, s17
	s_delay_alu instid0(SALU_CYCLE_1)
	s_mov_b32 s17, exec_lo
	v_cmpx_gt_u32_e64 s59, v107
	s_cbranch_execnz .LBB317_325
.LBB317_122:                            ;   in Loop: Header=BB317_108 Depth=2
	s_or_b32 exec_lo, exec_lo, s17
	s_delay_alu instid0(SALU_CYCLE_1)
	s_mov_b32 s17, exec_lo
	v_cmpx_gt_u32_e64 s59, v108
	s_cbranch_execnz .LBB317_326
.LBB317_123:                            ;   in Loop: Header=BB317_108 Depth=2
	s_or_b32 exec_lo, exec_lo, s17
	s_delay_alu instid0(SALU_CYCLE_1)
	s_mov_b32 s17, exec_lo
	v_cmpx_gt_u32_e64 s59, v109
	s_cbranch_execnz .LBB317_327
.LBB317_124:                            ;   in Loop: Header=BB317_108 Depth=2
	s_or_b32 exec_lo, exec_lo, s17
	s_delay_alu instid0(SALU_CYCLE_1)
	s_mov_b32 s17, exec_lo
	v_cmpx_gt_u32_e64 s59, v110
	s_cbranch_execnz .LBB317_328
.LBB317_125:                            ;   in Loop: Header=BB317_108 Depth=2
	s_or_b32 exec_lo, exec_lo, s17
	s_delay_alu instid0(SALU_CYCLE_1)
	s_mov_b32 s17, exec_lo
	v_cmpx_gt_u32_e64 s59, v111
	s_cbranch_execnz .LBB317_329
.LBB317_126:                            ;   in Loop: Header=BB317_108 Depth=2
	s_or_b32 exec_lo, exec_lo, s17
	s_delay_alu instid0(SALU_CYCLE_1)
	s_mov_b32 s17, exec_lo
	v_cmpx_gt_u32_e64 s59, v112
	s_cbranch_execz .LBB317_128
.LBB317_127:                            ;   in Loop: Header=BB317_108 Depth=2
	global_load_u8 v135, v[62:63], off offset:480
.LBB317_128:                            ;   in Loop: Header=BB317_108 Depth=2
	s_wait_xcnt 0x0
	s_or_b32 exec_lo, exec_lo, s17
	v_cmp_gt_u32_e64 s17, s59, v113
	s_sub_co_i32 s18, s54, s34
.LBB317_129:                            ;   in Loop: Header=BB317_108 Depth=2
	v_mov_b32_e32 v137, s59
	s_wait_xcnt 0x0
	s_and_saveexec_b32 s19, s17
	s_cbranch_execz .LBB317_131
; %bb.130:                              ;   in Loop: Header=BB317_108 Depth=2
	v_add_nc_u64_e32 v[62:63], s[34:35], v[24:25]
	v_mov_b32_e32 v137, s18
	global_load_u8 v115, v[62:63], off offset:512
.LBB317_131:                            ;   in Loop: Header=BB317_108 Depth=2
	s_wait_xcnt 0x0
	s_or_b32 exec_lo, exec_lo, s19
	s_wait_loadcnt 0x0
	v_bitop3_b16 v62, v147, s43, 0x7f bitop3:0x48
	ds_store_2addr_b32 v90, v1, v1 offset0:136 offset1:137
	ds_store_2addr_b32 v90, v1, v1 offset0:138 offset1:139
	ds_store_b32 v90, v1 offset:560
	s_wait_dscnt 0x0
	s_barrier_signal -1
	s_barrier_wait -1
	v_and_b32_e32 v62, 0xffff, v62
	; wave barrier
	s_delay_alu instid0(VALU_DEP_1) | instskip(NEXT) | instid1(VALU_DEP_1)
	v_lshrrev_b32_e32 v62, s48, v62
	v_and_b32_e32 v149, s58, v62
	s_delay_alu instid0(VALU_DEP_1) | instskip(SKIP_1) | instid1(VALU_DEP_1)
	v_lshlrev_b32_e32 v146, 30, v149
	v_bitop3_b32 v63, v62, 1, s58 bitop3:0x80
	v_add_co_u32 v62, s17, v63, -1
	s_delay_alu instid0(VALU_DEP_1) | instskip(NEXT) | instid1(VALU_DEP_4)
	v_cndmask_b32_e64 v63, 0, 1, s17
	v_cmp_gt_i32_e64 s17, 0, v146
	s_delay_alu instid0(VALU_DEP_2) | instskip(SKIP_2) | instid1(VALU_DEP_2)
	v_cmp_ne_u32_e32 vcc_lo, 0, v63
	v_not_b32_e32 v63, v146
	v_bitop3_b32 v62, vcc_lo, exec_lo, v62 bitop3:0x48
	v_dual_ashrrev_i32 v63, 31, v63 :: v_dual_lshlrev_b32 v152, 29, v149
	v_dual_lshlrev_b32 v153, 28, v149 :: v_dual_lshlrev_b32 v154, 27, v149
	v_lshlrev_b32_e32 v155, 26, v149
	s_delay_alu instid0(VALU_DEP_3)
	v_not_b32_e32 v146, v152
	v_lshlrev_b32_e32 v156, 25, v149
	v_cmp_gt_i32_e64 s18, 0, v152
	v_cmp_gt_i32_e64 s19, 0, v153
	v_not_b32_e32 v152, v153
	v_not_b32_e32 v153, v154
	v_ashrrev_i32_e32 v146, 31, v146
	v_cmp_gt_i32_e64 s20, 0, v154
	v_cmp_gt_i32_e64 s21, 0, v155
	v_not_b32_e32 v154, v155
	v_not_b32_e32 v155, v156
	v_dual_ashrrev_i32 v152, 31, v152 :: v_dual_ashrrev_i32 v153, 31, v153
	s_delay_alu instid0(VALU_DEP_3) | instskip(NEXT) | instid1(VALU_DEP_3)
	v_dual_ashrrev_i32 v154, 31, v154 :: v_dual_bitop2_b32 v63, s17, v63 bitop3:0x14
	v_dual_ashrrev_i32 v155, 31, v155 :: v_dual_bitop2_b32 v146, s18, v146 bitop3:0x14
	v_cmp_gt_i32_e64 s22, 0, v156
	s_delay_alu instid0(VALU_DEP_4) | instskip(SKIP_1) | instid1(VALU_DEP_4)
	v_xor_b32_e32 v152, s19, v152
	v_xor_b32_e32 v153, s20, v153
	v_bitop3_b32 v62, v62, v146, v63 bitop3:0x80
	v_xor_b32_e32 v63, s21, v154
	v_xor_b32_e32 v146, s22, v155
	s_delay_alu instid0(VALU_DEP_3) | instskip(NEXT) | instid1(VALU_DEP_1)
	v_bitop3_b32 v62, v62, v153, v152 bitop3:0x80
	v_bitop3_b32 v62, v62, v146, v63 bitop3:0x80
	v_mul_u32_u24_e32 v63, 36, v149
	s_delay_alu instid0(VALU_DEP_2) | instskip(SKIP_1) | instid1(VALU_DEP_3)
	v_mbcnt_lo_u32_b32 v146, v62, 0
	v_cmp_ne_u32_e64 s17, 0, v62
	v_add_nc_u32_e32 v149, v114, v63
	s_delay_alu instid0(VALU_DEP_3) | instskip(SKIP_1) | instid1(SALU_CYCLE_1)
	v_cmp_eq_u32_e32 vcc_lo, 0, v146
	s_and_b32 s18, s17, vcc_lo
	s_and_saveexec_b32 s17, s18
; %bb.132:                              ;   in Loop: Header=BB317_108 Depth=2
	v_bcnt_u32_b32 v62, v62, 0
	ds_store_b32 v149, v62 offset:544
; %bb.133:                              ;   in Loop: Header=BB317_108 Depth=2
	s_or_b32 exec_lo, exec_lo, s17
	v_xor_b32_e32 v62, 0x7f, v150
	v_xor_b32_e32 v63, 0x7f, v151
	;; [unrolled: 1-line block ×4, first 2 shown]
	s_delay_alu instid0(VALU_DEP_4) | instskip(NEXT) | instid1(VALU_DEP_4)
	v_lshlrev_b16 v62, 8, v62
	v_lshlrev_b16 v63, 8, v63
	; wave barrier
	s_delay_alu instid0(VALU_DEP_2) | instskip(NEXT) | instid1(VALU_DEP_2)
	v_bitop3_b16 v147, v147, v62, 0xff bitop3:0xec
	v_bitop3_b16 v62, v148, v63, 0xff bitop3:0xec
	s_delay_alu instid0(VALU_DEP_2) | instskip(NEXT) | instid1(VALU_DEP_2)
	v_and_b32_e32 v63, 0xffff, v147
	v_lshlrev_b32_e32 v62, 16, v62
	s_delay_alu instid0(VALU_DEP_1) | instskip(NEXT) | instid1(VALU_DEP_1)
	v_or_b32_e32 v148, v63, v62
	v_bfe_u32 v62, v148, 8, 8
	s_delay_alu instid0(VALU_DEP_1) | instskip(NEXT) | instid1(VALU_DEP_1)
	v_lshrrev_b32_e32 v62, s48, v62
	v_bitop3_b32 v63, v62, 1, s58 bitop3:0x80
	v_and_b32_e32 v152, s58, v62
	s_delay_alu instid0(VALU_DEP_2) | instskip(NEXT) | instid1(VALU_DEP_1)
	v_add_co_u32 v62, s17, v63, -1
	v_cndmask_b32_e64 v63, 0, 1, s17
	s_delay_alu instid0(VALU_DEP_3) | instskip(NEXT) | instid1(VALU_DEP_2)
	v_lshlrev_b32_e32 v150, 30, v152
	v_cmp_ne_u32_e32 vcc_lo, 0, v63
	s_delay_alu instid0(VALU_DEP_2) | instskip(SKIP_2) | instid1(VALU_DEP_3)
	v_not_b32_e32 v63, v150
	v_cmp_gt_i32_e64 s17, 0, v150
	v_bitop3_b32 v62, vcc_lo, exec_lo, v62 bitop3:0x48
	v_dual_ashrrev_i32 v63, 31, v63 :: v_dual_lshlrev_b32 v151, 29, v152
	v_dual_lshlrev_b32 v153, 28, v152 :: v_dual_lshlrev_b32 v154, 27, v152
	v_lshlrev_b32_e32 v155, 26, v152
	s_delay_alu instid0(VALU_DEP_3)
	v_not_b32_e32 v150, v151
	v_lshlrev_b32_e32 v156, 25, v152
	v_cmp_gt_i32_e64 s18, 0, v151
	v_cmp_gt_i32_e64 s19, 0, v153
	v_not_b32_e32 v151, v153
	v_ashrrev_i32_e32 v150, 31, v150
	v_cmp_gt_i32_e64 s20, 0, v154
	v_not_b32_e32 v153, v154
	v_cmp_gt_i32_e64 s21, 0, v155
	v_not_b32_e32 v154, v155
	v_not_b32_e32 v155, v156
	v_xor_b32_e32 v63, s17, v63
	v_dual_ashrrev_i32 v151, 31, v151 :: v_dual_bitop2_b32 v150, s18, v150 bitop3:0x14
	s_delay_alu instid0(VALU_DEP_4) | instskip(NEXT) | instid1(VALU_DEP_4)
	v_dual_ashrrev_i32 v153, 31, v153 :: v_dual_ashrrev_i32 v154, 31, v154
	v_ashrrev_i32_e32 v155, 31, v155
	s_delay_alu instid0(VALU_DEP_3)
	v_bitop3_b32 v62, v62, v150, v63 bitop3:0x80
	v_mad_u32_u24 v63, v152, 36, v114
	v_cmp_gt_i32_e64 s22, 0, v156
	v_xor_b32_e32 v151, s19, v151
	v_xor_b32_e32 v154, s21, v154
	ds_load_b32 v150, v63 offset:544
	v_mul_u32_u24_e32 v63, 36, v152
	v_xor_b32_e32 v153, s20, v153
	v_xor_b32_e32 v155, s22, v155
	; wave barrier
	s_delay_alu instid0(VALU_DEP_3) | instskip(NEXT) | instid1(VALU_DEP_3)
	v_add_nc_u32_e32 v152, v114, v63
	v_bitop3_b32 v62, v62, v153, v151 bitop3:0x80
	s_delay_alu instid0(VALU_DEP_1) | instskip(NEXT) | instid1(VALU_DEP_1)
	v_bitop3_b32 v62, v62, v155, v154 bitop3:0x80
	v_mbcnt_lo_u32_b32 v151, v62, 0
	v_cmp_ne_u32_e64 s17, 0, v62
	s_delay_alu instid0(VALU_DEP_2) | instskip(SKIP_1) | instid1(SALU_CYCLE_1)
	v_cmp_eq_u32_e32 vcc_lo, 0, v151
	s_and_b32 s18, s17, vcc_lo
	s_and_saveexec_b32 s17, s18
	s_cbranch_execz .LBB317_135
; %bb.134:                              ;   in Loop: Header=BB317_108 Depth=2
	s_wait_dscnt 0x0
	v_bcnt_u32_b32 v62, v62, v150
	ds_store_b32 v152, v62 offset:544
.LBB317_135:                            ;   in Loop: Header=BB317_108 Depth=2
	s_or_b32 exec_lo, exec_lo, s17
	v_bfe_u32 v62, v148, 16, 8
	; wave barrier
	s_delay_alu instid0(VALU_DEP_1) | instskip(NEXT) | instid1(VALU_DEP_1)
	v_lshrrev_b32_e32 v62, s48, v62
	v_and_b32_e32 v155, s58, v62
	s_delay_alu instid0(VALU_DEP_1) | instskip(SKIP_1) | instid1(VALU_DEP_1)
	v_lshlrev_b32_e32 v153, 30, v155
	v_bitop3_b32 v63, v62, 1, s58 bitop3:0x80
	v_add_co_u32 v62, s17, v63, -1
	s_delay_alu instid0(VALU_DEP_1) | instskip(NEXT) | instid1(VALU_DEP_4)
	v_cndmask_b32_e64 v63, 0, 1, s17
	v_cmp_gt_i32_e64 s17, 0, v153
	s_delay_alu instid0(VALU_DEP_2) | instskip(SKIP_2) | instid1(VALU_DEP_2)
	v_cmp_ne_u32_e32 vcc_lo, 0, v63
	v_not_b32_e32 v63, v153
	v_bitop3_b32 v62, vcc_lo, exec_lo, v62 bitop3:0x48
	v_ashrrev_i32_e32 v63, 31, v63
	v_dual_lshlrev_b32 v154, 29, v155 :: v_dual_lshlrev_b32 v156, 28, v155
	v_dual_lshlrev_b32 v157, 27, v155 :: v_dual_lshlrev_b32 v158, 26, v155
	s_delay_alu instid0(VALU_DEP_2)
	v_not_b32_e32 v153, v154
	v_lshlrev_b32_e32 v159, 25, v155
	v_cmp_gt_i32_e64 s18, 0, v154
	v_cmp_gt_i32_e64 s19, 0, v156
	v_not_b32_e32 v154, v156
	v_not_b32_e32 v156, v157
	v_ashrrev_i32_e32 v153, 31, v153
	v_cmp_gt_i32_e64 s20, 0, v157
	v_cmp_gt_i32_e64 s21, 0, v158
	v_not_b32_e32 v157, v158
	v_dual_ashrrev_i32 v154, 31, v154 :: v_dual_ashrrev_i32 v156, 31, v156
	v_xor_b32_e32 v63, s17, v63
	v_not_b32_e32 v158, v159
	v_xor_b32_e32 v153, s18, v153
	s_delay_alu instid0(VALU_DEP_4) | instskip(SKIP_2) | instid1(VALU_DEP_4)
	v_dual_ashrrev_i32 v157, 31, v157 :: v_dual_bitop2_b32 v154, s19, v154 bitop3:0x14
	v_xor_b32_e32 v156, s20, v156
	v_cmp_gt_i32_e32 vcc_lo, 0, v159
	v_bitop3_b32 v62, v62, v153, v63 bitop3:0x80
	v_ashrrev_i32_e32 v63, 31, v158
	v_mad_u32_u24 v153, v155, 36, v114
	v_xor_b32_e32 v157, s21, v157
	s_delay_alu instid0(VALU_DEP_4) | instskip(NEXT) | instid1(VALU_DEP_4)
	v_bitop3_b32 v62, v62, v156, v154 bitop3:0x80
	v_xor_b32_e32 v63, vcc_lo, v63
	ds_load_b32 v153, v153 offset:544
	; wave barrier
	v_bitop3_b32 v62, v62, v63, v157 bitop3:0x80
	v_mul_u32_u24_e32 v63, 36, v155
	s_delay_alu instid0(VALU_DEP_2) | instskip(SKIP_1) | instid1(VALU_DEP_3)
	v_mbcnt_lo_u32_b32 v154, v62, 0
	v_cmp_ne_u32_e64 s17, 0, v62
	v_add_nc_u32_e32 v156, v114, v63
	s_delay_alu instid0(VALU_DEP_3) | instskip(SKIP_1) | instid1(SALU_CYCLE_1)
	v_cmp_eq_u32_e32 vcc_lo, 0, v154
	s_and_b32 s18, s17, vcc_lo
	s_and_saveexec_b32 s17, s18
	s_cbranch_execz .LBB317_137
; %bb.136:                              ;   in Loop: Header=BB317_108 Depth=2
	s_wait_dscnt 0x0
	v_bcnt_u32_b32 v62, v62, v153
	ds_store_b32 v156, v62 offset:544
.LBB317_137:                            ;   in Loop: Header=BB317_108 Depth=2
	s_or_b32 exec_lo, exec_lo, s17
	v_lshrrev_b32_e32 v155, 24, v148
	; wave barrier
	s_delay_alu instid0(VALU_DEP_1) | instskip(NEXT) | instid1(VALU_DEP_1)
	v_lshrrev_b32_e32 v62, s48, v155
	v_bitop3_b32 v63, v62, 1, s58 bitop3:0x80
	v_and_b32_e32 v159, s58, v62
	s_delay_alu instid0(VALU_DEP_2) | instskip(NEXT) | instid1(VALU_DEP_1)
	v_add_co_u32 v62, s17, v63, -1
	v_cndmask_b32_e64 v63, 0, 1, s17
	s_delay_alu instid0(VALU_DEP_3) | instskip(SKIP_1) | instid1(VALU_DEP_3)
	v_dual_lshlrev_b32 v157, 30, v159 :: v_dual_lshlrev_b32 v158, 29, v159
	v_dual_lshlrev_b32 v160, 28, v159 :: v_dual_lshlrev_b32 v161, 27, v159
	v_cmp_ne_u32_e32 vcc_lo, 0, v63
	s_delay_alu instid0(VALU_DEP_3)
	v_cmp_gt_i32_e64 s17, 0, v157
	v_not_b32_e32 v63, v157
	v_not_b32_e32 v157, v158
	v_dual_lshlrev_b32 v162, 26, v159 :: v_dual_lshlrev_b32 v163, 25, v159
	v_cmp_gt_i32_e64 s18, 0, v158
	v_cmp_gt_i32_e64 s19, 0, v160
	v_not_b32_e32 v158, v160
	v_not_b32_e32 v160, v161
	v_dual_ashrrev_i32 v63, 31, v63 :: v_dual_ashrrev_i32 v157, 31, v157
	v_cmp_gt_i32_e64 s20, 0, v161
	v_cmp_gt_i32_e64 s21, 0, v162
	v_not_b32_e32 v161, v162
	v_bitop3_b32 v62, vcc_lo, exec_lo, v62 bitop3:0x48
	v_dual_ashrrev_i32 v158, 31, v158 :: v_dual_ashrrev_i32 v160, 31, v160
	v_xor_b32_e32 v63, s17, v63
	v_not_b32_e32 v162, v163
	v_xor_b32_e32 v157, s18, v157
	s_delay_alu instid0(VALU_DEP_4) | instskip(SKIP_2) | instid1(VALU_DEP_4)
	v_dual_ashrrev_i32 v161, 31, v161 :: v_dual_bitop2_b32 v158, s19, v158 bitop3:0x14
	v_xor_b32_e32 v160, s20, v160
	v_cmp_gt_i32_e32 vcc_lo, 0, v163
	v_bitop3_b32 v62, v62, v157, v63 bitop3:0x80
	v_ashrrev_i32_e32 v63, 31, v162
	v_mad_u32_u24 v157, v159, 36, v114
	v_xor_b32_e32 v161, s21, v161
	s_delay_alu instid0(VALU_DEP_4) | instskip(NEXT) | instid1(VALU_DEP_4)
	v_bitop3_b32 v62, v62, v160, v158 bitop3:0x80
	v_xor_b32_e32 v63, vcc_lo, v63
	ds_load_b32 v157, v157 offset:544
	; wave barrier
	v_bitop3_b32 v62, v62, v63, v161 bitop3:0x80
	v_mul_u32_u24_e32 v63, 36, v159
	s_delay_alu instid0(VALU_DEP_2) | instskip(SKIP_1) | instid1(VALU_DEP_3)
	v_mbcnt_lo_u32_b32 v158, v62, 0
	v_cmp_ne_u32_e64 s17, 0, v62
	v_add_nc_u32_e32 v159, v114, v63
	s_delay_alu instid0(VALU_DEP_3) | instskip(SKIP_1) | instid1(SALU_CYCLE_1)
	v_cmp_eq_u32_e32 vcc_lo, 0, v158
	s_and_b32 s18, s17, vcc_lo
	s_and_saveexec_b32 s17, s18
	s_cbranch_execz .LBB317_139
; %bb.138:                              ;   in Loop: Header=BB317_108 Depth=2
	s_wait_dscnt 0x0
	v_bcnt_u32_b32 v62, v62, v157
	ds_store_b32 v159, v62 offset:544
.LBB317_139:                            ;   in Loop: Header=BB317_108 Depth=2
	s_or_b32 exec_lo, exec_lo, s17
	v_bitop3_b16 v62, v142, s43, 0x7f bitop3:0x48
	; wave barrier
	s_delay_alu instid0(VALU_DEP_1) | instskip(NEXT) | instid1(VALU_DEP_1)
	v_and_b32_e32 v62, 0xffff, v62
	v_lshrrev_b32_e32 v62, s48, v62
	s_delay_alu instid0(VALU_DEP_1) | instskip(SKIP_1) | instid1(VALU_DEP_2)
	v_bitop3_b32 v63, v62, 1, s58 bitop3:0x80
	v_and_b32_e32 v162, s58, v62
	v_add_co_u32 v62, s17, v63, -1
	s_delay_alu instid0(VALU_DEP_1) | instskip(NEXT) | instid1(VALU_DEP_3)
	v_cndmask_b32_e64 v63, 0, 1, s17
	v_dual_lshlrev_b32 v160, 30, v162 :: v_dual_lshlrev_b32 v161, 29, v162
	s_delay_alu instid0(VALU_DEP_2) | instskip(NEXT) | instid1(VALU_DEP_2)
	v_cmp_ne_u32_e32 vcc_lo, 0, v63
	v_cmp_gt_i32_e64 s17, 0, v160
	v_not_b32_e32 v63, v160
	s_delay_alu instid0(VALU_DEP_4) | instskip(SKIP_2) | instid1(VALU_DEP_3)
	v_not_b32_e32 v160, v161
	v_cmp_gt_i32_e64 s18, 0, v161
	v_bitop3_b32 v62, vcc_lo, exec_lo, v62 bitop3:0x48
	v_dual_ashrrev_i32 v63, 31, v63 :: v_dual_ashrrev_i32 v160, 31, v160
	v_dual_lshlrev_b32 v163, 28, v162 :: v_dual_lshlrev_b32 v164, 27, v162
	v_dual_lshlrev_b32 v165, 26, v162 :: v_dual_lshlrev_b32 v166, 25, v162
	s_delay_alu instid0(VALU_DEP_2) | instskip(SKIP_1) | instid1(VALU_DEP_4)
	v_cmp_gt_i32_e64 s19, 0, v163
	v_not_b32_e32 v161, v163
	v_cmp_gt_i32_e64 s20, 0, v164
	v_not_b32_e32 v163, v164
	;; [unrolled: 2-line block ×3, first 2 shown]
	v_not_b32_e32 v165, v166
	v_xor_b32_e32 v63, s17, v63
	v_dual_ashrrev_i32 v161, 31, v161 :: v_dual_bitop2_b32 v160, s18, v160 bitop3:0x14
	s_delay_alu instid0(VALU_DEP_4) | instskip(NEXT) | instid1(VALU_DEP_4)
	v_dual_ashrrev_i32 v163, 31, v163 :: v_dual_ashrrev_i32 v164, 31, v164
	v_ashrrev_i32_e32 v165, 31, v165
	s_delay_alu instid0(VALU_DEP_3)
	v_bitop3_b32 v62, v62, v160, v63 bitop3:0x80
	v_mad_u32_u24 v63, v162, 36, v114
	v_cmp_gt_i32_e64 s22, 0, v166
	v_xor_b32_e32 v163, s20, v163
	v_xor_b32_e32 v164, s21, v164
	ds_load_b32 v160, v63 offset:544
	v_mul_u32_u24_e32 v63, 36, v162
	v_xor_b32_e32 v161, s19, v161
	v_xor_b32_e32 v165, s22, v165
	; wave barrier
	s_delay_alu instid0(VALU_DEP_3) | instskip(NEXT) | instid1(VALU_DEP_3)
	v_add_nc_u32_e32 v162, v114, v63
	v_bitop3_b32 v62, v62, v163, v161 bitop3:0x80
	s_delay_alu instid0(VALU_DEP_1) | instskip(NEXT) | instid1(VALU_DEP_1)
	v_bitop3_b32 v62, v62, v165, v164 bitop3:0x80
	v_mbcnt_lo_u32_b32 v161, v62, 0
	v_cmp_ne_u32_e64 s17, 0, v62
	s_delay_alu instid0(VALU_DEP_2) | instskip(SKIP_1) | instid1(SALU_CYCLE_1)
	v_cmp_eq_u32_e32 vcc_lo, 0, v161
	s_and_b32 s18, s17, vcc_lo
	s_and_saveexec_b32 s17, s18
	s_cbranch_execz .LBB317_141
; %bb.140:                              ;   in Loop: Header=BB317_108 Depth=2
	s_wait_dscnt 0x0
	v_bcnt_u32_b32 v62, v62, v160
	ds_store_b32 v162, v62 offset:544
.LBB317_141:                            ;   in Loop: Header=BB317_108 Depth=2
	s_or_b32 exec_lo, exec_lo, s17
	v_xor_b32_e32 v62, 0x7f, v145
	v_xor_b32_e32 v63, 0x7f, v144
	;; [unrolled: 1-line block ×4, first 2 shown]
	s_delay_alu instid0(VALU_DEP_4) | instskip(NEXT) | instid1(VALU_DEP_4)
	v_lshlrev_b16 v62, 8, v62
	v_lshlrev_b16 v63, 8, v63
	; wave barrier
	s_delay_alu instid0(VALU_DEP_2) | instskip(NEXT) | instid1(VALU_DEP_2)
	v_bitop3_b16 v142, v142, v62, 0xff bitop3:0xec
	v_bitop3_b16 v62, v143, v63, 0xff bitop3:0xec
	s_delay_alu instid0(VALU_DEP_2) | instskip(NEXT) | instid1(VALU_DEP_2)
	v_and_b32_e32 v63, 0xffff, v142
	v_lshlrev_b32_e32 v62, 16, v62
	s_delay_alu instid0(VALU_DEP_1) | instskip(NEXT) | instid1(VALU_DEP_1)
	v_or_b32_e32 v143, v63, v62
	v_bfe_u32 v62, v143, 8, 8
	s_delay_alu instid0(VALU_DEP_1) | instskip(NEXT) | instid1(VALU_DEP_1)
	v_lshrrev_b32_e32 v62, s48, v62
	v_bitop3_b32 v63, v62, 1, s58 bitop3:0x80
	v_and_b32_e32 v163, s58, v62
	s_delay_alu instid0(VALU_DEP_2) | instskip(NEXT) | instid1(VALU_DEP_1)
	v_add_co_u32 v62, s17, v63, -1
	v_cndmask_b32_e64 v63, 0, 1, s17
	s_delay_alu instid0(VALU_DEP_3) | instskip(NEXT) | instid1(VALU_DEP_2)
	v_lshlrev_b32_e32 v144, 30, v163
	v_cmp_ne_u32_e32 vcc_lo, 0, v63
	s_delay_alu instid0(VALU_DEP_2) | instskip(SKIP_2) | instid1(VALU_DEP_3)
	v_not_b32_e32 v63, v144
	v_cmp_gt_i32_e64 s17, 0, v144
	v_bitop3_b32 v62, vcc_lo, exec_lo, v62 bitop3:0x48
	v_ashrrev_i32_e32 v63, 31, v63
	v_dual_lshlrev_b32 v145, 29, v163 :: v_dual_lshlrev_b32 v164, 28, v163
	v_dual_lshlrev_b32 v165, 27, v163 :: v_dual_lshlrev_b32 v166, 26, v163
	s_delay_alu instid0(VALU_DEP_2)
	v_not_b32_e32 v144, v145
	v_lshlrev_b32_e32 v167, 25, v163
	v_cmp_gt_i32_e64 s18, 0, v145
	v_cmp_gt_i32_e64 s19, 0, v164
	v_not_b32_e32 v145, v164
	v_ashrrev_i32_e32 v144, 31, v144
	v_cmp_gt_i32_e64 s20, 0, v165
	v_not_b32_e32 v164, v165
	v_cmp_gt_i32_e64 s21, 0, v166
	v_not_b32_e32 v165, v166
	v_not_b32_e32 v166, v167
	v_xor_b32_e32 v63, s17, v63
	v_dual_ashrrev_i32 v145, 31, v145 :: v_dual_bitop2_b32 v144, s18, v144 bitop3:0x14
	s_delay_alu instid0(VALU_DEP_4) | instskip(NEXT) | instid1(VALU_DEP_4)
	v_dual_ashrrev_i32 v164, 31, v164 :: v_dual_ashrrev_i32 v165, 31, v165
	v_ashrrev_i32_e32 v166, 31, v166
	s_delay_alu instid0(VALU_DEP_3)
	v_bitop3_b32 v62, v62, v144, v63 bitop3:0x80
	v_mad_u32_u24 v63, v163, 36, v114
	v_cmp_gt_i32_e64 s22, 0, v167
	v_xor_b32_e32 v164, s20, v164
	v_xor_b32_e32 v165, s21, v165
	ds_load_b32 v144, v63 offset:544
	v_mul_u32_u24_e32 v63, 36, v163
	v_xor_b32_e32 v145, s19, v145
	v_xor_b32_e32 v166, s22, v166
	; wave barrier
	s_delay_alu instid0(VALU_DEP_3) | instskip(NEXT) | instid1(VALU_DEP_3)
	v_add_nc_u32_e32 v163, v114, v63
	v_bitop3_b32 v62, v62, v164, v145 bitop3:0x80
	s_delay_alu instid0(VALU_DEP_1) | instskip(NEXT) | instid1(VALU_DEP_1)
	v_bitop3_b32 v62, v62, v166, v165 bitop3:0x80
	v_mbcnt_lo_u32_b32 v145, v62, 0
	v_cmp_ne_u32_e64 s17, 0, v62
	s_delay_alu instid0(VALU_DEP_2) | instskip(SKIP_1) | instid1(SALU_CYCLE_1)
	v_cmp_eq_u32_e32 vcc_lo, 0, v145
	s_and_b32 s18, s17, vcc_lo
	s_and_saveexec_b32 s17, s18
	s_cbranch_execz .LBB317_143
; %bb.142:                              ;   in Loop: Header=BB317_108 Depth=2
	s_wait_dscnt 0x0
	v_bcnt_u32_b32 v62, v62, v144
	ds_store_b32 v163, v62 offset:544
.LBB317_143:                            ;   in Loop: Header=BB317_108 Depth=2
	s_or_b32 exec_lo, exec_lo, s17
	v_bfe_u32 v62, v143, 16, 8
	; wave barrier
	s_delay_alu instid0(VALU_DEP_1) | instskip(NEXT) | instid1(VALU_DEP_1)
	v_lshrrev_b32_e32 v62, s48, v62
	v_bitop3_b32 v63, v62, 1, s58 bitop3:0x80
	v_and_b32_e32 v166, s58, v62
	s_delay_alu instid0(VALU_DEP_2) | instskip(NEXT) | instid1(VALU_DEP_1)
	v_add_co_u32 v62, s17, v63, -1
	v_cndmask_b32_e64 v63, 0, 1, s17
	s_delay_alu instid0(VALU_DEP_3) | instskip(NEXT) | instid1(VALU_DEP_2)
	v_dual_lshlrev_b32 v164, 30, v166 :: v_dual_lshlrev_b32 v165, 29, v166
	v_cmp_ne_u32_e32 vcc_lo, 0, v63
	s_delay_alu instid0(VALU_DEP_2) | instskip(SKIP_1) | instid1(VALU_DEP_4)
	v_cmp_gt_i32_e64 s17, 0, v164
	v_not_b32_e32 v63, v164
	v_not_b32_e32 v164, v165
	v_cmp_gt_i32_e64 s18, 0, v165
	v_bitop3_b32 v62, vcc_lo, exec_lo, v62 bitop3:0x48
	s_delay_alu instid0(VALU_DEP_3) | instskip(SKIP_2) | instid1(VALU_DEP_2)
	v_dual_ashrrev_i32 v63, 31, v63 :: v_dual_ashrrev_i32 v164, 31, v164
	v_dual_lshlrev_b32 v167, 28, v166 :: v_dual_lshlrev_b32 v168, 27, v166
	v_dual_lshlrev_b32 v169, 26, v166 :: v_dual_lshlrev_b32 v170, 25, v166
	v_cmp_gt_i32_e64 s19, 0, v167
	v_not_b32_e32 v165, v167
	s_delay_alu instid0(VALU_DEP_4) | instskip(SKIP_3) | instid1(VALU_DEP_4)
	v_not_b32_e32 v167, v168
	v_cmp_gt_i32_e64 s20, 0, v168
	v_cmp_gt_i32_e64 s21, 0, v169
	v_not_b32_e32 v168, v169
	v_dual_ashrrev_i32 v165, 31, v165 :: v_dual_ashrrev_i32 v167, 31, v167
	v_xor_b32_e32 v63, s17, v63
	v_not_b32_e32 v169, v170
	v_xor_b32_e32 v164, s18, v164
	s_delay_alu instid0(VALU_DEP_4) | instskip(SKIP_2) | instid1(VALU_DEP_4)
	v_dual_ashrrev_i32 v168, 31, v168 :: v_dual_bitop2_b32 v165, s19, v165 bitop3:0x14
	v_xor_b32_e32 v167, s20, v167
	v_cmp_gt_i32_e32 vcc_lo, 0, v170
	v_bitop3_b32 v62, v62, v164, v63 bitop3:0x80
	v_ashrrev_i32_e32 v63, 31, v169
	v_mad_u32_u24 v164, v166, 36, v114
	v_xor_b32_e32 v168, s21, v168
	s_delay_alu instid0(VALU_DEP_4) | instskip(NEXT) | instid1(VALU_DEP_4)
	v_bitop3_b32 v62, v62, v167, v165 bitop3:0x80
	v_xor_b32_e32 v63, vcc_lo, v63
	ds_load_b32 v164, v164 offset:544
	; wave barrier
	v_bitop3_b32 v62, v62, v63, v168 bitop3:0x80
	v_mul_u32_u24_e32 v63, 36, v166
	s_delay_alu instid0(VALU_DEP_2) | instskip(SKIP_1) | instid1(VALU_DEP_3)
	v_mbcnt_lo_u32_b32 v165, v62, 0
	v_cmp_ne_u32_e64 s17, 0, v62
	v_add_nc_u32_e32 v167, v114, v63
	s_delay_alu instid0(VALU_DEP_3) | instskip(SKIP_1) | instid1(SALU_CYCLE_1)
	v_cmp_eq_u32_e32 vcc_lo, 0, v165
	s_and_b32 s18, s17, vcc_lo
	s_and_saveexec_b32 s17, s18
	s_cbranch_execz .LBB317_145
; %bb.144:                              ;   in Loop: Header=BB317_108 Depth=2
	s_wait_dscnt 0x0
	v_bcnt_u32_b32 v62, v62, v164
	ds_store_b32 v167, v62 offset:544
.LBB317_145:                            ;   in Loop: Header=BB317_108 Depth=2
	s_or_b32 exec_lo, exec_lo, s17
	v_lshrrev_b32_e32 v166, 24, v143
	; wave barrier
	s_delay_alu instid0(VALU_DEP_1) | instskip(NEXT) | instid1(VALU_DEP_1)
	v_lshrrev_b32_e32 v62, s48, v166
	v_bitop3_b32 v63, v62, 1, s58 bitop3:0x80
	v_and_b32_e32 v170, s58, v62
	s_delay_alu instid0(VALU_DEP_2) | instskip(NEXT) | instid1(VALU_DEP_1)
	v_add_co_u32 v62, s17, v63, -1
	v_cndmask_b32_e64 v63, 0, 1, s17
	s_delay_alu instid0(VALU_DEP_3) | instskip(SKIP_1) | instid1(VALU_DEP_3)
	v_dual_lshlrev_b32 v168, 30, v170 :: v_dual_lshlrev_b32 v169, 29, v170
	v_dual_lshlrev_b32 v171, 28, v170 :: v_dual_lshlrev_b32 v172, 27, v170
	v_cmp_ne_u32_e32 vcc_lo, 0, v63
	s_delay_alu instid0(VALU_DEP_3)
	v_cmp_gt_i32_e64 s17, 0, v168
	v_not_b32_e32 v63, v168
	v_not_b32_e32 v168, v169
	v_dual_lshlrev_b32 v173, 26, v170 :: v_dual_lshlrev_b32 v174, 25, v170
	v_cmp_gt_i32_e64 s18, 0, v169
	v_cmp_gt_i32_e64 s19, 0, v171
	v_not_b32_e32 v169, v171
	v_not_b32_e32 v171, v172
	v_dual_ashrrev_i32 v63, 31, v63 :: v_dual_ashrrev_i32 v168, 31, v168
	v_cmp_gt_i32_e64 s20, 0, v172
	v_cmp_gt_i32_e64 s21, 0, v173
	v_not_b32_e32 v172, v173
	v_bitop3_b32 v62, vcc_lo, exec_lo, v62 bitop3:0x48
	v_dual_ashrrev_i32 v169, 31, v169 :: v_dual_ashrrev_i32 v171, 31, v171
	v_xor_b32_e32 v168, s18, v168
	s_delay_alu instid0(VALU_DEP_4) | instskip(SKIP_1) | instid1(VALU_DEP_4)
	v_dual_ashrrev_i32 v172, 31, v172 :: v_dual_bitop2_b32 v63, s17, v63 bitop3:0x14
	v_not_b32_e32 v173, v174
	v_xor_b32_e32 v169, s19, v169
	v_xor_b32_e32 v171, s20, v171
	s_delay_alu instid0(VALU_DEP_4)
	v_bitop3_b32 v62, v62, v168, v63 bitop3:0x80
	v_cmp_gt_i32_e32 vcc_lo, 0, v174
	v_ashrrev_i32_e32 v63, 31, v173
	v_mad_u32_u24 v168, v170, 36, v114
	v_xor_b32_e32 v172, s21, v172
	v_bitop3_b32 v62, v62, v171, v169 bitop3:0x80
	s_delay_alu instid0(VALU_DEP_4) | instskip(SKIP_3) | instid1(VALU_DEP_2)
	v_xor_b32_e32 v63, vcc_lo, v63
	ds_load_b32 v168, v168 offset:544
	; wave barrier
	v_bitop3_b32 v62, v62, v63, v172 bitop3:0x80
	v_mul_u32_u24_e32 v63, 36, v170
	v_mbcnt_lo_u32_b32 v169, v62, 0
	v_cmp_ne_u32_e64 s17, 0, v62
	s_delay_alu instid0(VALU_DEP_3) | instskip(NEXT) | instid1(VALU_DEP_3)
	v_add_nc_u32_e32 v170, v114, v63
	v_cmp_eq_u32_e32 vcc_lo, 0, v169
	s_and_b32 s18, s17, vcc_lo
	s_delay_alu instid0(SALU_CYCLE_1)
	s_and_saveexec_b32 s17, s18
	s_cbranch_execz .LBB317_147
; %bb.146:                              ;   in Loop: Header=BB317_108 Depth=2
	s_wait_dscnt 0x0
	v_bcnt_u32_b32 v62, v62, v168
	ds_store_b32 v170, v62 offset:544
.LBB317_147:                            ;   in Loop: Header=BB317_108 Depth=2
	s_or_b32 exec_lo, exec_lo, s17
	v_bitop3_b16 v62, v138, s43, 0x7f bitop3:0x48
	; wave barrier
	s_delay_alu instid0(VALU_DEP_1) | instskip(NEXT) | instid1(VALU_DEP_1)
	v_and_b32_e32 v62, 0xffff, v62
	v_lshrrev_b32_e32 v62, s48, v62
	s_delay_alu instid0(VALU_DEP_1) | instskip(NEXT) | instid1(VALU_DEP_1)
	v_and_b32_e32 v173, s58, v62
	v_lshlrev_b32_e32 v171, 30, v173
	v_bitop3_b32 v63, v62, 1, s58 bitop3:0x80
	s_delay_alu instid0(VALU_DEP_1) | instskip(NEXT) | instid1(VALU_DEP_1)
	v_add_co_u32 v62, s17, v63, -1
	v_cndmask_b32_e64 v63, 0, 1, s17
	s_delay_alu instid0(VALU_DEP_4) | instskip(NEXT) | instid1(VALU_DEP_2)
	v_cmp_gt_i32_e64 s17, 0, v171
	v_cmp_ne_u32_e32 vcc_lo, 0, v63
	v_not_b32_e32 v63, v171
	v_bitop3_b32 v62, vcc_lo, exec_lo, v62 bitop3:0x48
	s_delay_alu instid0(VALU_DEP_2) | instskip(SKIP_2) | instid1(VALU_DEP_3)
	v_dual_ashrrev_i32 v63, 31, v63 :: v_dual_lshlrev_b32 v172, 29, v173
	v_dual_lshlrev_b32 v174, 28, v173 :: v_dual_lshlrev_b32 v175, 27, v173
	v_lshlrev_b32_e32 v176, 26, v173
	v_not_b32_e32 v171, v172
	v_lshlrev_b32_e32 v177, 25, v173
	v_cmp_gt_i32_e64 s18, 0, v172
	v_cmp_gt_i32_e64 s19, 0, v174
	v_not_b32_e32 v172, v174
	v_ashrrev_i32_e32 v171, 31, v171
	v_cmp_gt_i32_e64 s20, 0, v175
	v_not_b32_e32 v174, v175
	v_cmp_gt_i32_e64 s21, 0, v176
	v_not_b32_e32 v175, v176
	v_not_b32_e32 v176, v177
	v_xor_b32_e32 v63, s17, v63
	v_dual_ashrrev_i32 v172, 31, v172 :: v_dual_bitop2_b32 v171, s18, v171 bitop3:0x14
	s_delay_alu instid0(VALU_DEP_3) | instskip(SKIP_1) | instid1(VALU_DEP_3)
	v_dual_ashrrev_i32 v174, 31, v174 :: v_dual_ashrrev_i32 v176, 31, v176
	v_cmp_gt_i32_e64 s22, 0, v177
	v_bitop3_b32 v62, v62, v171, v63 bitop3:0x80
	v_mad_u32_u24 v63, v173, 36, v114
	v_dual_ashrrev_i32 v175, 31, v175 :: v_dual_bitop2_b32 v172, s19, v172 bitop3:0x14
	s_delay_alu instid0(VALU_DEP_4) | instskip(SKIP_4) | instid1(VALU_DEP_3)
	v_xor_b32_e32 v176, s22, v176
	ds_load_b32 v171, v63 offset:544
	v_mul_u32_u24_e32 v63, 36, v173
	v_xor_b32_e32 v174, s20, v174
	v_xor_b32_e32 v175, s21, v175
	; wave barrier
	v_add_nc_u32_e32 v173, v114, v63
	s_delay_alu instid0(VALU_DEP_3) | instskip(NEXT) | instid1(VALU_DEP_1)
	v_bitop3_b32 v62, v62, v174, v172 bitop3:0x80
	v_bitop3_b32 v62, v62, v176, v175 bitop3:0x80
	s_delay_alu instid0(VALU_DEP_1) | instskip(SKIP_1) | instid1(VALU_DEP_2)
	v_mbcnt_lo_u32_b32 v172, v62, 0
	v_cmp_ne_u32_e64 s17, 0, v62
	v_cmp_eq_u32_e32 vcc_lo, 0, v172
	s_and_b32 s18, s17, vcc_lo
	s_delay_alu instid0(SALU_CYCLE_1)
	s_and_saveexec_b32 s17, s18
	s_cbranch_execz .LBB317_149
; %bb.148:                              ;   in Loop: Header=BB317_108 Depth=2
	s_wait_dscnt 0x0
	v_bcnt_u32_b32 v62, v62, v171
	ds_store_b32 v173, v62 offset:544
.LBB317_149:                            ;   in Loop: Header=BB317_108 Depth=2
	s_or_b32 exec_lo, exec_lo, s17
	v_xor_b32_e32 v62, 0x7f, v141
	v_xor_b32_e32 v63, 0x7f, v140
	;; [unrolled: 1-line block ×4, first 2 shown]
	s_delay_alu instid0(VALU_DEP_4) | instskip(NEXT) | instid1(VALU_DEP_4)
	v_lshlrev_b16 v62, 8, v62
	v_lshlrev_b16 v63, 8, v63
	; wave barrier
	s_delay_alu instid0(VALU_DEP_2) | instskip(NEXT) | instid1(VALU_DEP_2)
	v_bitop3_b16 v138, v138, v62, 0xff bitop3:0xec
	v_bitop3_b16 v62, v139, v63, 0xff bitop3:0xec
	s_delay_alu instid0(VALU_DEP_2) | instskip(NEXT) | instid1(VALU_DEP_2)
	v_and_b32_e32 v63, 0xffff, v138
	v_lshlrev_b32_e32 v62, 16, v62
	s_delay_alu instid0(VALU_DEP_1) | instskip(NEXT) | instid1(VALU_DEP_1)
	v_or_b32_e32 v139, v63, v62
	v_bfe_u32 v62, v139, 8, 8
	s_delay_alu instid0(VALU_DEP_1) | instskip(NEXT) | instid1(VALU_DEP_1)
	v_lshrrev_b32_e32 v62, s48, v62
	v_bitop3_b32 v63, v62, 1, s58 bitop3:0x80
	v_and_b32_e32 v174, s58, v62
	s_delay_alu instid0(VALU_DEP_2) | instskip(NEXT) | instid1(VALU_DEP_1)
	v_add_co_u32 v62, s17, v63, -1
	v_cndmask_b32_e64 v63, 0, 1, s17
	s_delay_alu instid0(VALU_DEP_3) | instskip(NEXT) | instid1(VALU_DEP_2)
	v_dual_lshlrev_b32 v140, 30, v174 :: v_dual_lshlrev_b32 v141, 29, v174
	v_cmp_ne_u32_e32 vcc_lo, 0, v63
	s_delay_alu instid0(VALU_DEP_2) | instskip(SKIP_1) | instid1(VALU_DEP_4)
	v_cmp_gt_i32_e64 s17, 0, v140
	v_not_b32_e32 v63, v140
	v_not_b32_e32 v140, v141
	v_cmp_gt_i32_e64 s18, 0, v141
	v_bitop3_b32 v62, vcc_lo, exec_lo, v62 bitop3:0x48
	s_delay_alu instid0(VALU_DEP_3) | instskip(SKIP_2) | instid1(VALU_DEP_2)
	v_dual_ashrrev_i32 v63, 31, v63 :: v_dual_ashrrev_i32 v140, 31, v140
	v_dual_lshlrev_b32 v175, 28, v174 :: v_dual_lshlrev_b32 v176, 27, v174
	v_dual_lshlrev_b32 v177, 26, v174 :: v_dual_lshlrev_b32 v178, 25, v174
	v_cmp_gt_i32_e64 s19, 0, v175
	v_not_b32_e32 v141, v175
	s_delay_alu instid0(VALU_DEP_4)
	v_cmp_gt_i32_e64 s20, 0, v176
	v_not_b32_e32 v175, v176
	v_cmp_gt_i32_e64 s21, 0, v177
	v_not_b32_e32 v176, v177
	v_not_b32_e32 v177, v178
	v_xor_b32_e32 v63, s17, v63
	v_dual_ashrrev_i32 v141, 31, v141 :: v_dual_bitop2_b32 v140, s18, v140 bitop3:0x14
	s_delay_alu instid0(VALU_DEP_4) | instskip(NEXT) | instid1(VALU_DEP_4)
	v_dual_ashrrev_i32 v175, 31, v175 :: v_dual_ashrrev_i32 v176, 31, v176
	v_ashrrev_i32_e32 v177, 31, v177
	s_delay_alu instid0(VALU_DEP_3)
	v_bitop3_b32 v62, v62, v140, v63 bitop3:0x80
	v_mad_u32_u24 v63, v174, 36, v114
	v_cmp_gt_i32_e64 s22, 0, v178
	v_xor_b32_e32 v175, s20, v175
	v_xor_b32_e32 v176, s21, v176
	ds_load_b32 v140, v63 offset:544
	v_mul_u32_u24_e32 v63, 36, v174
	v_xor_b32_e32 v141, s19, v141
	v_xor_b32_e32 v177, s22, v177
	; wave barrier
	s_delay_alu instid0(VALU_DEP_3) | instskip(NEXT) | instid1(VALU_DEP_3)
	v_add_nc_u32_e32 v174, v114, v63
	v_bitop3_b32 v62, v62, v175, v141 bitop3:0x80
	s_delay_alu instid0(VALU_DEP_1) | instskip(NEXT) | instid1(VALU_DEP_1)
	v_bitop3_b32 v62, v62, v177, v176 bitop3:0x80
	v_mbcnt_lo_u32_b32 v141, v62, 0
	v_cmp_ne_u32_e64 s17, 0, v62
	s_delay_alu instid0(VALU_DEP_2) | instskip(SKIP_1) | instid1(SALU_CYCLE_1)
	v_cmp_eq_u32_e32 vcc_lo, 0, v141
	s_and_b32 s18, s17, vcc_lo
	s_and_saveexec_b32 s17, s18
	s_cbranch_execz .LBB317_151
; %bb.150:                              ;   in Loop: Header=BB317_108 Depth=2
	s_wait_dscnt 0x0
	v_bcnt_u32_b32 v62, v62, v140
	ds_store_b32 v174, v62 offset:544
.LBB317_151:                            ;   in Loop: Header=BB317_108 Depth=2
	s_or_b32 exec_lo, exec_lo, s17
	v_bfe_u32 v62, v139, 16, 8
	; wave barrier
	s_delay_alu instid0(VALU_DEP_1) | instskip(NEXT) | instid1(VALU_DEP_1)
	v_lshrrev_b32_e32 v62, s48, v62
	v_and_b32_e32 v177, s58, v62
	s_delay_alu instid0(VALU_DEP_1) | instskip(SKIP_1) | instid1(VALU_DEP_1)
	v_lshlrev_b32_e32 v175, 30, v177
	v_bitop3_b32 v63, v62, 1, s58 bitop3:0x80
	v_add_co_u32 v62, s17, v63, -1
	s_delay_alu instid0(VALU_DEP_1) | instskip(NEXT) | instid1(VALU_DEP_4)
	v_cndmask_b32_e64 v63, 0, 1, s17
	v_cmp_gt_i32_e64 s17, 0, v175
	s_delay_alu instid0(VALU_DEP_2) | instskip(SKIP_2) | instid1(VALU_DEP_2)
	v_cmp_ne_u32_e32 vcc_lo, 0, v63
	v_not_b32_e32 v63, v175
	v_bitop3_b32 v62, vcc_lo, exec_lo, v62 bitop3:0x48
	v_dual_ashrrev_i32 v63, 31, v63 :: v_dual_lshlrev_b32 v176, 29, v177
	v_dual_lshlrev_b32 v178, 28, v177 :: v_dual_lshlrev_b32 v179, 27, v177
	s_delay_alu instid0(VALU_DEP_2) | instskip(NEXT) | instid1(VALU_DEP_3)
	v_dual_lshlrev_b32 v180, 26, v177 :: v_dual_bitop2_b32 v63, s17, v63 bitop3:0x14
	v_not_b32_e32 v175, v176
	v_lshlrev_b32_e32 v181, 25, v177
	v_cmp_gt_i32_e64 s18, 0, v176
	v_cmp_gt_i32_e64 s19, 0, v178
	v_not_b32_e32 v176, v178
	v_not_b32_e32 v178, v179
	v_ashrrev_i32_e32 v175, 31, v175
	v_cmp_gt_i32_e64 s20, 0, v179
	v_cmp_gt_i32_e64 s21, 0, v180
	v_not_b32_e32 v179, v180
	v_dual_ashrrev_i32 v176, 31, v176 :: v_dual_ashrrev_i32 v178, 31, v178
	v_not_b32_e32 v180, v181
	v_xor_b32_e32 v175, s18, v175
	s_delay_alu instid0(VALU_DEP_3) | instskip(NEXT) | instid1(VALU_DEP_4)
	v_dual_ashrrev_i32 v179, 31, v179 :: v_dual_bitop2_b32 v176, s19, v176 bitop3:0x14
	v_xor_b32_e32 v178, s20, v178
	v_cmp_gt_i32_e32 vcc_lo, 0, v181
	s_delay_alu instid0(VALU_DEP_4) | instskip(SKIP_3) | instid1(VALU_DEP_4)
	v_bitop3_b32 v62, v62, v175, v63 bitop3:0x80
	v_ashrrev_i32_e32 v63, 31, v180
	v_mad_u32_u24 v175, v177, 36, v114
	v_xor_b32_e32 v179, s21, v179
	v_bitop3_b32 v62, v62, v178, v176 bitop3:0x80
	s_delay_alu instid0(VALU_DEP_4) | instskip(SKIP_3) | instid1(VALU_DEP_2)
	v_xor_b32_e32 v63, vcc_lo, v63
	ds_load_b32 v175, v175 offset:544
	; wave barrier
	v_bitop3_b32 v62, v62, v63, v179 bitop3:0x80
	v_mul_u32_u24_e32 v63, 36, v177
	v_mbcnt_lo_u32_b32 v176, v62, 0
	v_cmp_ne_u32_e64 s17, 0, v62
	s_delay_alu instid0(VALU_DEP_3) | instskip(NEXT) | instid1(VALU_DEP_3)
	v_add_nc_u32_e32 v178, v114, v63
	v_cmp_eq_u32_e32 vcc_lo, 0, v176
	s_and_b32 s18, s17, vcc_lo
	s_delay_alu instid0(SALU_CYCLE_1)
	s_and_saveexec_b32 s17, s18
	s_cbranch_execz .LBB317_153
; %bb.152:                              ;   in Loop: Header=BB317_108 Depth=2
	s_wait_dscnt 0x0
	v_bcnt_u32_b32 v62, v62, v175
	ds_store_b32 v178, v62 offset:544
.LBB317_153:                            ;   in Loop: Header=BB317_108 Depth=2
	s_or_b32 exec_lo, exec_lo, s17
	v_lshrrev_b32_e32 v177, 24, v139
	; wave barrier
	s_delay_alu instid0(VALU_DEP_1) | instskip(NEXT) | instid1(VALU_DEP_1)
	v_lshrrev_b32_e32 v62, s48, v177
	v_bitop3_b32 v63, v62, 1, s58 bitop3:0x80
	v_and_b32_e32 v181, s58, v62
	s_delay_alu instid0(VALU_DEP_2) | instskip(NEXT) | instid1(VALU_DEP_1)
	v_add_co_u32 v62, s17, v63, -1
	v_cndmask_b32_e64 v63, 0, 1, s17
	s_delay_alu instid0(VALU_DEP_3) | instskip(SKIP_1) | instid1(VALU_DEP_3)
	v_dual_lshlrev_b32 v179, 30, v181 :: v_dual_lshlrev_b32 v180, 29, v181
	v_dual_lshlrev_b32 v182, 28, v181 :: v_dual_lshlrev_b32 v183, 27, v181
	v_cmp_ne_u32_e32 vcc_lo, 0, v63
	s_delay_alu instid0(VALU_DEP_3)
	v_cmp_gt_i32_e64 s17, 0, v179
	v_not_b32_e32 v63, v179
	v_not_b32_e32 v179, v180
	v_dual_lshlrev_b32 v184, 26, v181 :: v_dual_lshlrev_b32 v185, 25, v181
	v_cmp_gt_i32_e64 s18, 0, v180
	v_cmp_gt_i32_e64 s19, 0, v182
	v_not_b32_e32 v180, v182
	v_not_b32_e32 v182, v183
	v_ashrrev_i32_e32 v63, 31, v63
	v_ashrrev_i32_e32 v179, 31, v179
	v_cmp_gt_i32_e64 s20, 0, v183
	v_cmp_gt_i32_e64 s21, 0, v184
	v_not_b32_e32 v183, v184
	v_bitop3_b32 v62, vcc_lo, exec_lo, v62 bitop3:0x48
	v_dual_ashrrev_i32 v180, 31, v180 :: v_dual_ashrrev_i32 v182, 31, v182
	v_xor_b32_e32 v63, s17, v63
	v_not_b32_e32 v184, v185
	v_xor_b32_e32 v179, s18, v179
	s_delay_alu instid0(VALU_DEP_4) | instskip(SKIP_2) | instid1(VALU_DEP_4)
	v_dual_ashrrev_i32 v183, 31, v183 :: v_dual_bitop2_b32 v180, s19, v180 bitop3:0x14
	v_xor_b32_e32 v182, s20, v182
	v_cmp_gt_i32_e32 vcc_lo, 0, v185
	v_bitop3_b32 v62, v62, v179, v63 bitop3:0x80
	v_ashrrev_i32_e32 v63, 31, v184
	v_mad_u32_u24 v179, v181, 36, v114
	v_xor_b32_e32 v183, s21, v183
	s_delay_alu instid0(VALU_DEP_4) | instskip(NEXT) | instid1(VALU_DEP_4)
	v_bitop3_b32 v62, v62, v182, v180 bitop3:0x80
	v_xor_b32_e32 v63, vcc_lo, v63
	ds_load_b32 v179, v179 offset:544
	; wave barrier
	v_bitop3_b32 v62, v62, v63, v183 bitop3:0x80
	v_mul_u32_u24_e32 v63, 36, v181
	s_delay_alu instid0(VALU_DEP_2) | instskip(SKIP_1) | instid1(VALU_DEP_3)
	v_mbcnt_lo_u32_b32 v180, v62, 0
	v_cmp_ne_u32_e64 s17, 0, v62
	v_add_nc_u32_e32 v181, v114, v63
	s_delay_alu instid0(VALU_DEP_3) | instskip(SKIP_1) | instid1(SALU_CYCLE_1)
	v_cmp_eq_u32_e32 vcc_lo, 0, v180
	s_and_b32 s18, s17, vcc_lo
	s_and_saveexec_b32 s17, s18
	s_cbranch_execz .LBB317_155
; %bb.154:                              ;   in Loop: Header=BB317_108 Depth=2
	s_wait_dscnt 0x0
	v_bcnt_u32_b32 v62, v62, v179
	ds_store_b32 v181, v62 offset:544
.LBB317_155:                            ;   in Loop: Header=BB317_108 Depth=2
	s_or_b32 exec_lo, exec_lo, s17
	v_bitop3_b16 v62, v64, s43, 0x7f bitop3:0x48
	; wave barrier
	s_delay_alu instid0(VALU_DEP_1) | instskip(NEXT) | instid1(VALU_DEP_1)
	v_and_b32_e32 v62, 0xffff, v62
	v_lshrrev_b32_e32 v62, s48, v62
	s_delay_alu instid0(VALU_DEP_1) | instskip(NEXT) | instid1(VALU_DEP_1)
	v_and_b32_e32 v184, s58, v62
	v_lshlrev_b32_e32 v182, 30, v184
	v_bitop3_b32 v63, v62, 1, s58 bitop3:0x80
	s_delay_alu instid0(VALU_DEP_1) | instskip(NEXT) | instid1(VALU_DEP_1)
	v_add_co_u32 v62, s17, v63, -1
	v_cndmask_b32_e64 v63, 0, 1, s17
	s_delay_alu instid0(VALU_DEP_4) | instskip(NEXT) | instid1(VALU_DEP_2)
	v_cmp_gt_i32_e64 s17, 0, v182
	v_cmp_ne_u32_e32 vcc_lo, 0, v63
	v_not_b32_e32 v63, v182
	v_bitop3_b32 v62, vcc_lo, exec_lo, v62 bitop3:0x48
	s_delay_alu instid0(VALU_DEP_2) | instskip(SKIP_2) | instid1(VALU_DEP_3)
	v_dual_ashrrev_i32 v63, 31, v63 :: v_dual_lshlrev_b32 v183, 29, v184
	v_dual_lshlrev_b32 v185, 28, v184 :: v_dual_lshlrev_b32 v186, 27, v184
	v_lshlrev_b32_e32 v187, 26, v184
	v_not_b32_e32 v182, v183
	v_lshlrev_b32_e32 v188, 25, v184
	v_cmp_gt_i32_e64 s18, 0, v183
	v_cmp_gt_i32_e64 s19, 0, v185
	v_not_b32_e32 v183, v185
	v_not_b32_e32 v185, v186
	v_ashrrev_i32_e32 v182, 31, v182
	v_cmp_gt_i32_e64 s20, 0, v186
	v_cmp_gt_i32_e64 s21, 0, v187
	v_not_b32_e32 v186, v187
	v_not_b32_e32 v187, v188
	v_dual_ashrrev_i32 v183, 31, v183 :: v_dual_ashrrev_i32 v185, 31, v185
	s_delay_alu instid0(VALU_DEP_3) | instskip(NEXT) | instid1(VALU_DEP_3)
	v_dual_ashrrev_i32 v186, 31, v186 :: v_dual_bitop2_b32 v63, s17, v63 bitop3:0x14
	v_dual_ashrrev_i32 v187, 31, v187 :: v_dual_bitop2_b32 v182, s18, v182 bitop3:0x14
	v_cmp_gt_i32_e64 s22, 0, v188
	s_delay_alu instid0(VALU_DEP_4) | instskip(SKIP_1) | instid1(VALU_DEP_4)
	v_xor_b32_e32 v183, s19, v183
	v_xor_b32_e32 v185, s20, v185
	v_bitop3_b32 v62, v62, v182, v63 bitop3:0x80
	v_mad_u32_u24 v63, v184, 36, v114
	v_xor_b32_e32 v187, s22, v187
	s_delay_alu instid0(VALU_DEP_3) | instskip(SKIP_3) | instid1(VALU_DEP_2)
	v_bitop3_b32 v62, v62, v185, v183 bitop3:0x80
	ds_load_b32 v182, v63 offset:544
	v_mul_u32_u24_e32 v63, 36, v184
	v_xor_b32_e32 v186, s21, v186
	; wave barrier
	v_add_nc_u32_e32 v185, v114, v63
	s_delay_alu instid0(VALU_DEP_2) | instskip(NEXT) | instid1(VALU_DEP_1)
	v_bitop3_b32 v62, v62, v187, v186 bitop3:0x80
	v_mbcnt_lo_u32_b32 v183, v62, 0
	v_cmp_ne_u32_e64 s17, 0, v62
	s_delay_alu instid0(VALU_DEP_2) | instskip(SKIP_1) | instid1(SALU_CYCLE_1)
	v_cmp_eq_u32_e32 vcc_lo, 0, v183
	s_and_b32 s18, s17, vcc_lo
	s_and_saveexec_b32 s17, s18
	s_cbranch_execz .LBB317_157
; %bb.156:                              ;   in Loop: Header=BB317_108 Depth=2
	s_wait_dscnt 0x0
	v_bcnt_u32_b32 v62, v62, v182
	ds_store_b32 v185, v62 offset:544
.LBB317_157:                            ;   in Loop: Header=BB317_108 Depth=2
	s_or_b32 exec_lo, exec_lo, s17
	v_xor_b32_e32 v62, 0x7f, v136
	v_xor_b32_e32 v63, 0x7f, v135
	;; [unrolled: 1-line block ×4, first 2 shown]
	s_delay_alu instid0(VALU_DEP_4) | instskip(NEXT) | instid1(VALU_DEP_4)
	v_lshlrev_b16 v62, 8, v62
	v_lshlrev_b16 v63, 8, v63
	; wave barrier
	s_delay_alu instid0(VALU_DEP_2) | instskip(NEXT) | instid1(VALU_DEP_2)
	v_bitop3_b16 v184, v64, v62, 0xff bitop3:0xec
	v_bitop3_b16 v62, v65, v63, 0xff bitop3:0xec
	s_delay_alu instid0(VALU_DEP_2) | instskip(NEXT) | instid1(VALU_DEP_2)
	v_and_b32_e32 v63, 0xffff, v184
	v_lshlrev_b32_e32 v62, 16, v62
	s_delay_alu instid0(VALU_DEP_1) | instskip(NEXT) | instid1(VALU_DEP_1)
	v_or_b32_e32 v135, v63, v62
	v_bfe_u32 v62, v135, 8, 8
	s_delay_alu instid0(VALU_DEP_1) | instskip(NEXT) | instid1(VALU_DEP_1)
	v_lshrrev_b32_e32 v62, s48, v62
	v_bitop3_b32 v63, v62, 1, s58 bitop3:0x80
	v_and_b32_e32 v64, s58, v62
	s_delay_alu instid0(VALU_DEP_2) | instskip(NEXT) | instid1(VALU_DEP_1)
	v_add_co_u32 v62, s17, v63, -1
	v_cndmask_b32_e64 v63, 0, 1, s17
	s_delay_alu instid0(VALU_DEP_3) | instskip(NEXT) | instid1(VALU_DEP_2)
	v_lshlrev_b32_e32 v65, 30, v64
	v_cmp_ne_u32_e32 vcc_lo, 0, v63
	s_delay_alu instid0(VALU_DEP_2) | instskip(SKIP_2) | instid1(VALU_DEP_3)
	v_not_b32_e32 v63, v65
	v_cmp_gt_i32_e64 s17, 0, v65
	v_bitop3_b32 v62, vcc_lo, exec_lo, v62 bitop3:0x48
	v_dual_ashrrev_i32 v63, 31, v63 :: v_dual_lshlrev_b32 v136, 29, v64
	v_dual_lshlrev_b32 v186, 28, v64 :: v_dual_lshlrev_b32 v187, 27, v64
	v_lshlrev_b32_e32 v188, 26, v64
	s_delay_alu instid0(VALU_DEP_3)
	v_not_b32_e32 v65, v136
	v_lshlrev_b32_e32 v189, 25, v64
	v_cmp_gt_i32_e64 s18, 0, v136
	v_cmp_gt_i32_e64 s19, 0, v186
	v_not_b32_e32 v136, v186
	v_not_b32_e32 v186, v187
	v_ashrrev_i32_e32 v65, 31, v65
	v_cmp_gt_i32_e64 s20, 0, v187
	v_cmp_gt_i32_e64 s21, 0, v188
	v_not_b32_e32 v187, v188
	v_not_b32_e32 v188, v189
	v_dual_ashrrev_i32 v136, 31, v136 :: v_dual_ashrrev_i32 v186, 31, v186
	v_xor_b32_e32 v63, s17, v63
	s_delay_alu instid0(VALU_DEP_4)
	v_dual_ashrrev_i32 v187, 31, v187 :: v_dual_bitop2_b32 v65, s18, v65 bitop3:0x14
	v_cmp_gt_i32_e64 s22, 0, v189
	v_ashrrev_i32_e32 v188, 31, v188
	v_xor_b32_e32 v136, s19, v136
	v_xor_b32_e32 v186, s20, v186
	v_bitop3_b32 v62, v62, v65, v63 bitop3:0x80
	v_mad_u32_u24 v63, v64, 36, v114
	v_xor_b32_e32 v65, s21, v187
	v_xor_b32_e32 v187, s22, v188
	s_delay_alu instid0(VALU_DEP_4) | instskip(SKIP_3) | instid1(VALU_DEP_2)
	v_bitop3_b32 v62, v62, v186, v136 bitop3:0x80
	ds_load_b32 v136, v63 offset:544
	v_mul_u32_u24_e32 v63, 36, v64
	; wave barrier
	v_bitop3_b32 v62, v62, v187, v65 bitop3:0x80
	v_add_nc_u32_e32 v187, v114, v63
	s_delay_alu instid0(VALU_DEP_2) | instskip(SKIP_1) | instid1(VALU_DEP_2)
	v_mbcnt_lo_u32_b32 v186, v62, 0
	v_cmp_ne_u32_e64 s17, 0, v62
	v_cmp_eq_u32_e32 vcc_lo, 0, v186
	s_and_b32 s18, s17, vcc_lo
	s_delay_alu instid0(SALU_CYCLE_1)
	s_and_saveexec_b32 s17, s18
	s_cbranch_execz .LBB317_159
; %bb.158:                              ;   in Loop: Header=BB317_108 Depth=2
	s_wait_dscnt 0x0
	v_bcnt_u32_b32 v62, v62, v136
	ds_store_b32 v187, v62 offset:544
.LBB317_159:                            ;   in Loop: Header=BB317_108 Depth=2
	s_or_b32 exec_lo, exec_lo, s17
	v_bfe_u32 v62, v135, 16, 8
	; wave barrier
	s_delay_alu instid0(VALU_DEP_1) | instskip(NEXT) | instid1(VALU_DEP_1)
	v_lshrrev_b32_e32 v62, s48, v62
	v_and_b32_e32 v64, s58, v62
	s_delay_alu instid0(VALU_DEP_1) | instskip(SKIP_1) | instid1(VALU_DEP_1)
	v_lshlrev_b32_e32 v65, 30, v64
	v_bitop3_b32 v63, v62, 1, s58 bitop3:0x80
	v_add_co_u32 v62, s17, v63, -1
	s_delay_alu instid0(VALU_DEP_1) | instskip(NEXT) | instid1(VALU_DEP_4)
	v_cndmask_b32_e64 v63, 0, 1, s17
	v_cmp_gt_i32_e64 s17, 0, v65
	s_delay_alu instid0(VALU_DEP_2) | instskip(SKIP_2) | instid1(VALU_DEP_2)
	v_cmp_ne_u32_e32 vcc_lo, 0, v63
	v_not_b32_e32 v63, v65
	v_bitop3_b32 v62, vcc_lo, exec_lo, v62 bitop3:0x48
	v_dual_ashrrev_i32 v63, 31, v63 :: v_dual_lshlrev_b32 v188, 29, v64
	v_dual_lshlrev_b32 v189, 28, v64 :: v_dual_lshlrev_b32 v190, 27, v64
	v_lshlrev_b32_e32 v191, 26, v64
	s_delay_alu instid0(VALU_DEP_3)
	v_not_b32_e32 v65, v188
	v_lshlrev_b32_e32 v192, 25, v64
	v_cmp_gt_i32_e64 s18, 0, v188
	v_cmp_gt_i32_e64 s19, 0, v189
	v_not_b32_e32 v188, v189
	v_not_b32_e32 v189, v190
	v_ashrrev_i32_e32 v65, 31, v65
	v_cmp_gt_i32_e64 s20, 0, v190
	v_cmp_gt_i32_e64 s21, 0, v191
	v_not_b32_e32 v190, v191
	v_dual_ashrrev_i32 v188, 31, v188 :: v_dual_ashrrev_i32 v189, 31, v189
	v_xor_b32_e32 v63, s17, v63
	v_not_b32_e32 v191, v192
	s_delay_alu instid0(VALU_DEP_4) | instskip(NEXT) | instid1(VALU_DEP_4)
	v_dual_ashrrev_i32 v190, 31, v190 :: v_dual_bitop2_b32 v65, s18, v65 bitop3:0x14
	v_xor_b32_e32 v188, s19, v188
	v_xor_b32_e32 v189, s20, v189
	v_cmp_gt_i32_e32 vcc_lo, 0, v192
	s_delay_alu instid0(VALU_DEP_4) | instskip(SKIP_3) | instid1(VALU_DEP_4)
	v_bitop3_b32 v62, v62, v65, v63 bitop3:0x80
	v_ashrrev_i32_e32 v63, 31, v191
	v_mad_u32_u24 v65, v64, 36, v114
	v_xor_b32_e32 v190, s21, v190
	v_bitop3_b32 v62, v62, v189, v188 bitop3:0x80
	s_delay_alu instid0(VALU_DEP_4) | instskip(SKIP_3) | instid1(VALU_DEP_2)
	v_xor_b32_e32 v63, vcc_lo, v63
	ds_load_b32 v188, v65 offset:544
	; wave barrier
	v_bitop3_b32 v62, v62, v63, v190 bitop3:0x80
	v_mul_u32_u24_e32 v63, 36, v64
	v_mbcnt_lo_u32_b32 v189, v62, 0
	v_cmp_ne_u32_e64 s17, 0, v62
	s_delay_alu instid0(VALU_DEP_3) | instskip(NEXT) | instid1(VALU_DEP_3)
	v_add_nc_u32_e32 v191, v114, v63
	v_cmp_eq_u32_e32 vcc_lo, 0, v189
	s_and_b32 s18, s17, vcc_lo
	s_delay_alu instid0(SALU_CYCLE_1)
	s_and_saveexec_b32 s17, s18
	s_cbranch_execz .LBB317_161
; %bb.160:                              ;   in Loop: Header=BB317_108 Depth=2
	s_wait_dscnt 0x0
	v_bcnt_u32_b32 v62, v62, v188
	ds_store_b32 v191, v62 offset:544
.LBB317_161:                            ;   in Loop: Header=BB317_108 Depth=2
	s_or_b32 exec_lo, exec_lo, s17
	v_lshrrev_b32_e32 v190, 24, v135
	; wave barrier
	s_delay_alu instid0(VALU_DEP_1) | instskip(NEXT) | instid1(VALU_DEP_1)
	v_lshrrev_b32_e32 v62, s48, v190
	v_and_b32_e32 v64, s58, v62
	s_delay_alu instid0(VALU_DEP_1) | instskip(SKIP_3) | instid1(VALU_DEP_3)
	v_lshlrev_b32_e32 v65, 30, v64
	v_bitop3_b32 v63, v62, 1, s58 bitop3:0x80
	v_dual_lshlrev_b32 v192, 29, v64 :: v_dual_lshlrev_b32 v193, 28, v64
	v_dual_lshlrev_b32 v194, 27, v64 :: v_dual_lshlrev_b32 v195, 26, v64
	v_add_co_u32 v62, s17, v63, -1
	s_delay_alu instid0(VALU_DEP_1)
	v_cndmask_b32_e64 v63, 0, 1, s17
	v_cmp_gt_i32_e64 s17, 0, v65
	v_cmp_gt_i32_e64 s18, 0, v192
	;; [unrolled: 1-line block ×4, first 2 shown]
	v_cmp_ne_u32_e32 vcc_lo, 0, v63
	v_not_b32_e32 v63, v65
	v_not_b32_e32 v65, v192
	v_lshlrev_b32_e32 v196, 25, v64
	v_not_b32_e32 v192, v193
	v_not_b32_e32 v193, v194
	s_delay_alu instid0(VALU_DEP_4)
	v_dual_ashrrev_i32 v63, 31, v63 :: v_dual_ashrrev_i32 v65, 31, v65
	v_cmp_gt_i32_e64 s21, 0, v195
	v_not_b32_e32 v194, v195
	v_bitop3_b32 v62, vcc_lo, exec_lo, v62 bitop3:0x48
	v_dual_ashrrev_i32 v192, 31, v192 :: v_dual_ashrrev_i32 v193, 31, v193
	v_xor_b32_e32 v63, s17, v63
	s_delay_alu instid0(VALU_DEP_4) | instskip(SKIP_1) | instid1(VALU_DEP_4)
	v_dual_ashrrev_i32 v194, 31, v194 :: v_dual_bitop2_b32 v65, s18, v65 bitop3:0x14
	v_not_b32_e32 v195, v196
	v_xor_b32_e32 v192, s19, v192
	v_xor_b32_e32 v193, s20, v193
	s_delay_alu instid0(VALU_DEP_4)
	v_bitop3_b32 v62, v62, v65, v63 bitop3:0x80
	v_cmp_gt_i32_e32 vcc_lo, 0, v196
	v_ashrrev_i32_e32 v63, 31, v195
	v_mad_u32_u24 v65, v64, 36, v114
	v_xor_b32_e32 v194, s21, v194
	v_bitop3_b32 v62, v62, v193, v192 bitop3:0x80
	s_delay_alu instid0(VALU_DEP_4) | instskip(SKIP_3) | instid1(VALU_DEP_2)
	v_xor_b32_e32 v63, vcc_lo, v63
	ds_load_b32 v192, v65 offset:544
	; wave barrier
	v_bitop3_b32 v62, v62, v63, v194 bitop3:0x80
	v_mul_u32_u24_e32 v63, 36, v64
	v_mbcnt_lo_u32_b32 v193, v62, 0
	v_cmp_ne_u32_e64 s17, 0, v62
	s_delay_alu instid0(VALU_DEP_3) | instskip(NEXT) | instid1(VALU_DEP_3)
	v_add_nc_u32_e32 v194, v114, v63
	v_cmp_eq_u32_e32 vcc_lo, 0, v193
	s_and_b32 s18, s17, vcc_lo
	s_delay_alu instid0(SALU_CYCLE_1)
	s_and_saveexec_b32 s17, s18
	s_cbranch_execz .LBB317_163
; %bb.162:                              ;   in Loop: Header=BB317_108 Depth=2
	s_wait_dscnt 0x0
	v_bcnt_u32_b32 v62, v62, v192
	ds_store_b32 v194, v62 offset:544
.LBB317_163:                            ;   in Loop: Header=BB317_108 Depth=2
	s_or_b32 exec_lo, exec_lo, s17
	v_xor_b32_e32 v115, 0x7f, v115
	; wave barrier
	s_delay_alu instid0(VALU_DEP_1) | instskip(NEXT) | instid1(VALU_DEP_1)
	v_and_b32_e32 v62, 0xff, v115
	v_lshrrev_b32_e32 v62, s48, v62
	s_delay_alu instid0(VALU_DEP_1) | instskip(NEXT) | instid1(VALU_DEP_1)
	v_and_b32_e32 v64, s58, v62
	v_lshlrev_b32_e32 v65, 30, v64
	v_bitop3_b32 v63, v62, 1, s58 bitop3:0x80
	s_delay_alu instid0(VALU_DEP_1) | instskip(NEXT) | instid1(VALU_DEP_1)
	v_add_co_u32 v62, s17, v63, -1
	v_cndmask_b32_e64 v63, 0, 1, s17
	s_delay_alu instid0(VALU_DEP_4) | instskip(NEXT) | instid1(VALU_DEP_2)
	v_cmp_gt_i32_e64 s17, 0, v65
	v_cmp_ne_u32_e32 vcc_lo, 0, v63
	v_not_b32_e32 v63, v65
	v_bitop3_b32 v62, vcc_lo, exec_lo, v62 bitop3:0x48
	s_delay_alu instid0(VALU_DEP_2) | instskip(SKIP_2) | instid1(VALU_DEP_3)
	v_dual_ashrrev_i32 v63, 31, v63 :: v_dual_lshlrev_b32 v195, 29, v64
	v_dual_lshlrev_b32 v196, 28, v64 :: v_dual_lshlrev_b32 v197, 27, v64
	v_lshlrev_b32_e32 v198, 26, v64
	v_not_b32_e32 v65, v195
	v_lshlrev_b32_e32 v199, 25, v64
	v_cmp_gt_i32_e64 s18, 0, v195
	v_cmp_gt_i32_e64 s19, 0, v196
	v_not_b32_e32 v195, v196
	v_not_b32_e32 v196, v197
	v_ashrrev_i32_e32 v65, 31, v65
	v_cmp_gt_i32_e64 s20, 0, v197
	v_cmp_gt_i32_e64 s21, 0, v198
	v_not_b32_e32 v197, v198
	v_not_b32_e32 v198, v199
	v_dual_ashrrev_i32 v195, 31, v195 :: v_dual_ashrrev_i32 v196, 31, v196
	s_delay_alu instid0(VALU_DEP_3) | instskip(NEXT) | instid1(VALU_DEP_3)
	v_dual_ashrrev_i32 v197, 31, v197 :: v_dual_bitop2_b32 v63, s17, v63 bitop3:0x14
	v_dual_ashrrev_i32 v198, 31, v198 :: v_dual_bitop2_b32 v65, s18, v65 bitop3:0x14
	v_cmp_gt_i32_e64 s22, 0, v199
	s_delay_alu instid0(VALU_DEP_4) | instskip(SKIP_1) | instid1(VALU_DEP_4)
	v_xor_b32_e32 v195, s19, v195
	v_xor_b32_e32 v196, s20, v196
	v_bitop3_b32 v62, v62, v65, v63 bitop3:0x80
	v_mad_u32_u24 v63, v64, 36, v114
	v_xor_b32_e32 v65, s21, v197
	v_xor_b32_e32 v197, s22, v198
	s_delay_alu instid0(VALU_DEP_4) | instskip(SKIP_3) | instid1(VALU_DEP_2)
	v_bitop3_b32 v62, v62, v196, v195 bitop3:0x80
	ds_load_b32 v195, v63 offset:544
	v_mul_u32_u24_e32 v63, 36, v64
	; wave barrier
	v_bitop3_b32 v62, v62, v197, v65 bitop3:0x80
	v_add_nc_u32_e32 v197, v114, v63
	s_delay_alu instid0(VALU_DEP_2) | instskip(SKIP_1) | instid1(VALU_DEP_2)
	v_mbcnt_lo_u32_b32 v196, v62, 0
	v_cmp_ne_u32_e64 s17, 0, v62
	v_cmp_eq_u32_e32 vcc_lo, 0, v196
	s_and_b32 s18, s17, vcc_lo
	s_delay_alu instid0(SALU_CYCLE_1)
	s_and_saveexec_b32 s17, s18
	s_cbranch_execz .LBB317_165
; %bb.164:                              ;   in Loop: Header=BB317_108 Depth=2
	s_wait_dscnt 0x0
	v_bcnt_u32_b32 v62, v62, v195
	ds_store_b32 v197, v62 offset:544
.LBB317_165:                            ;   in Loop: Header=BB317_108 Depth=2
	s_or_b32 exec_lo, exec_lo, s17
	; wave barrier
	s_wait_dscnt 0x0
	s_barrier_signal -1
	s_barrier_wait -1
	ds_load_2addr_b32 v[64:65], v90 offset0:136 offset1:137
	ds_load_2addr_b32 v[62:63], v90 offset0:138 offset1:139
	ds_load_b32 v198, v90 offset:560
	s_wait_dscnt 0x1
	v_add3_u32 v199, v65, v64, v62
	s_wait_dscnt 0x0
	s_delay_alu instid0(VALU_DEP_1) | instskip(NEXT) | instid1(VALU_DEP_1)
	v_add3_u32 v198, v199, v63, v198
	v_mov_b32_dpp v199, v198 row_shr:1 row_mask:0xf bank_mask:0xf
	s_delay_alu instid0(VALU_DEP_1) | instskip(NEXT) | instid1(VALU_DEP_1)
	v_cndmask_b32_e64 v199, v199, 0, s8
	v_add_nc_u32_e32 v198, v199, v198
	s_delay_alu instid0(VALU_DEP_1) | instskip(NEXT) | instid1(VALU_DEP_1)
	v_mov_b32_dpp v199, v198 row_shr:2 row_mask:0xf bank_mask:0xf
	v_cndmask_b32_e64 v199, 0, v199, s9
	s_delay_alu instid0(VALU_DEP_1) | instskip(NEXT) | instid1(VALU_DEP_1)
	v_add_nc_u32_e32 v198, v198, v199
	v_mov_b32_dpp v199, v198 row_shr:4 row_mask:0xf bank_mask:0xf
	s_delay_alu instid0(VALU_DEP_1) | instskip(NEXT) | instid1(VALU_DEP_1)
	v_cndmask_b32_e64 v199, 0, v199, s10
	v_add_nc_u32_e32 v198, v198, v199
	s_delay_alu instid0(VALU_DEP_1) | instskip(NEXT) | instid1(VALU_DEP_1)
	v_mov_b32_dpp v199, v198 row_shr:8 row_mask:0xf bank_mask:0xf
	v_cndmask_b32_e64 v199, 0, v199, s11
	s_delay_alu instid0(VALU_DEP_1) | instskip(SKIP_3) | instid1(VALU_DEP_1)
	v_add_nc_u32_e32 v198, v198, v199
	ds_swizzle_b32 v199, v198 offset:swizzle(BROADCAST,32,15)
	s_wait_dscnt 0x0
	v_cndmask_b32_e64 v199, v199, 0, s12
	v_add_nc_u32_e32 v198, v198, v199
	s_and_saveexec_b32 s17, s2
; %bb.166:                              ;   in Loop: Header=BB317_108 Depth=2
	ds_store_b32 v83, v198 offset:512
; %bb.167:                              ;   in Loop: Header=BB317_108 Depth=2
	s_or_b32 exec_lo, exec_lo, s17
	s_wait_dscnt 0x0
	s_barrier_signal -1
	s_barrier_wait -1
	s_and_saveexec_b32 s17, s3
	s_cbranch_execz .LBB317_169
; %bb.168:                              ;   in Loop: Header=BB317_108 Depth=2
	ds_load_b32 v199, v92 offset:512
	s_wait_dscnt 0x0
	v_mov_b32_dpp v200, v199 row_shr:1 row_mask:0xf bank_mask:0xf
	s_delay_alu instid0(VALU_DEP_1) | instskip(NEXT) | instid1(VALU_DEP_1)
	v_cndmask_b32_e64 v200, v200, 0, s14
	v_add_nc_u32_e32 v199, v200, v199
	s_delay_alu instid0(VALU_DEP_1) | instskip(NEXT) | instid1(VALU_DEP_1)
	v_mov_b32_dpp v200, v199 row_shr:2 row_mask:0xf bank_mask:0xf
	v_cndmask_b32_e64 v200, 0, v200, s15
	s_delay_alu instid0(VALU_DEP_1) | instskip(NEXT) | instid1(VALU_DEP_1)
	v_add_nc_u32_e32 v199, v199, v200
	v_mov_b32_dpp v200, v199 row_shr:4 row_mask:0xf bank_mask:0xf
	s_delay_alu instid0(VALU_DEP_1) | instskip(NEXT) | instid1(VALU_DEP_1)
	v_cndmask_b32_e64 v200, 0, v200, s16
	v_add_nc_u32_e32 v199, v199, v200
	ds_store_b32 v92, v199 offset:512
.LBB317_169:                            ;   in Loop: Header=BB317_108 Depth=2
	s_or_b32 exec_lo, exec_lo, s17
	v_mov_b32_e32 v199, 0
	s_wait_dscnt 0x0
	s_barrier_signal -1
	s_barrier_wait -1
	s_and_saveexec_b32 s17, s5
; %bb.170:                              ;   in Loop: Header=BB317_108 Depth=2
	ds_load_b32 v199, v83 offset:508
; %bb.171:                              ;   in Loop: Header=BB317_108 Depth=2
	s_or_b32 exec_lo, exec_lo, s17
	s_wait_dscnt 0x0
	v_add_nc_u32_e32 v198, v199, v198
	ds_bpermute_b32 v198, v96, v198
	s_wait_dscnt 0x0
	v_cndmask_b32_e64 v198, v198, v199, s13
	s_delay_alu instid0(VALU_DEP_1) | instskip(NEXT) | instid1(VALU_DEP_1)
	v_cndmask_b32_e64 v198, v198, 0, s6
	v_add_nc_u32_e32 v64, v198, v64
	s_delay_alu instid0(VALU_DEP_1) | instskip(NEXT) | instid1(VALU_DEP_1)
	v_add_nc_u32_e32 v65, v64, v65
	v_add_nc_u32_e32 v62, v65, v62
	s_delay_alu instid0(VALU_DEP_1)
	v_add_nc_u32_e32 v63, v62, v63
	ds_store_2addr_b32 v90, v198, v64 offset0:136 offset1:137
	ds_store_2addr_b32 v90, v65, v62 offset0:138 offset1:139
	ds_store_b32 v90, v63 offset:560
	s_wait_dscnt 0x0
	s_barrier_signal -1
	s_barrier_wait -1
	ds_load_b32 v62, v149 offset:544
	ds_load_b32 v63, v152 offset:544
	;; [unrolled: 1-line block ×17, first 2 shown]
	s_and_saveexec_b32 s17, s0
	s_cbranch_execz .LBB317_175
; %bb.172:                              ;   in Loop: Header=BB317_108 Depth=2
	v_dual_mov_b32 v134, 0x1100 :: v_dual_add_nc_u32 v133, v92, v94
	ds_load_b32 v133, v133 offset:544
	s_and_saveexec_b32 s18, s7
; %bb.173:                              ;   in Loop: Header=BB317_108 Depth=2
	ds_load_b32 v134, v93 offset:544
; %bb.174:                              ;   in Loop: Header=BB317_108 Depth=2
	s_or_b32 exec_lo, exec_lo, s18
	s_wait_dscnt 0x0
	v_sub_nc_u32_e32 v134, v134, v133
.LBB317_175:                            ;   in Loop: Header=BB317_108 Depth=2
	s_or_b32 exec_lo, exec_lo, s17
	v_dual_lshrrev_b32 v202, 8, v148 :: v_dual_lshrrev_b32 v203, 16, v148
	v_dual_lshrrev_b32 v200, 8, v143 :: v_dual_lshrrev_b32 v201, 16, v143
	;; [unrolled: 1-line block ×4, first 2 shown]
	s_wait_dscnt 0x0
	s_barrier_signal -1
	s_barrier_wait -1
	s_and_saveexec_b32 s17, s0
	s_cbranch_execz .LBB317_177
; %bb.176:                              ;   in Loop: Header=BB317_108 Depth=2
	ds_load_b32 v135, v66
	s_wait_dscnt 0x0
	v_sub_nc_u32_e32 v135, v135, v133
	ds_store_b32 v66, v135
.LBB317_177:                            ;   in Loop: Header=BB317_108 Depth=2
	s_or_b32 exec_lo, exec_lo, s17
	v_add_nc_u32_e32 v156, v62, v146
	v_add3_u32 v152, v151, v150, v63
	v_add3_u32 v151, v154, v153, v64
	;; [unrolled: 1-line block ×16, first 2 shown]
	v_cmp_lt_u32_e32 vcc_lo, v2, v137
	ds_store_b8 v156, v147 offset:512
	ds_store_b8 v152, v202 offset:512
	;; [unrolled: 1-line block ×17, first 2 shown]
	s_wait_dscnt 0x0
	s_barrier_signal -1
	s_barrier_wait -1
	s_and_saveexec_b32 s17, vcc_lo
	s_cbranch_execnz .LBB317_250
; %bb.178:                              ;   in Loop: Header=BB317_108 Depth=2
	s_or_b32 exec_lo, exec_lo, s17
	v_cmp_lt_u32_e64 s17, v67, v137
	s_and_saveexec_b32 s18, s17
	s_cbranch_execnz .LBB317_251
.LBB317_179:                            ;   in Loop: Header=BB317_108 Depth=2
	s_or_b32 exec_lo, exec_lo, s18
	v_cmp_lt_u32_e64 s18, v68, v137
	s_and_saveexec_b32 s19, s18
	s_cbranch_execnz .LBB317_252
.LBB317_180:                            ;   in Loop: Header=BB317_108 Depth=2
	s_or_b32 exec_lo, exec_lo, s19
	v_cmp_lt_u32_e64 s19, v69, v137
	s_and_saveexec_b32 s20, s19
	s_cbranch_execnz .LBB317_253
.LBB317_181:                            ;   in Loop: Header=BB317_108 Depth=2
	s_or_b32 exec_lo, exec_lo, s20
	v_cmp_lt_u32_e64 s20, v70, v137
	s_and_saveexec_b32 s21, s20
	s_cbranch_execnz .LBB317_254
.LBB317_182:                            ;   in Loop: Header=BB317_108 Depth=2
	s_or_b32 exec_lo, exec_lo, s21
	v_cmp_lt_u32_e64 s21, v71, v137
	s_and_saveexec_b32 s22, s21
	s_cbranch_execnz .LBB317_255
.LBB317_183:                            ;   in Loop: Header=BB317_108 Depth=2
	s_or_b32 exec_lo, exec_lo, s22
	v_cmp_lt_u32_e64 s22, v72, v137
	s_and_saveexec_b32 s23, s22
	s_cbranch_execnz .LBB317_256
.LBB317_184:                            ;   in Loop: Header=BB317_108 Depth=2
	s_or_b32 exec_lo, exec_lo, s23
	v_cmp_lt_u32_e64 s23, v73, v137
	s_and_saveexec_b32 s24, s23
	s_cbranch_execnz .LBB317_257
.LBB317_185:                            ;   in Loop: Header=BB317_108 Depth=2
	s_or_b32 exec_lo, exec_lo, s24
	v_cmp_lt_u32_e64 s24, v74, v137
	s_and_saveexec_b32 s25, s24
	s_cbranch_execnz .LBB317_258
.LBB317_186:                            ;   in Loop: Header=BB317_108 Depth=2
	s_or_b32 exec_lo, exec_lo, s25
	v_cmp_lt_u32_e64 s25, v75, v137
	s_and_saveexec_b32 s26, s25
	s_cbranch_execnz .LBB317_259
.LBB317_187:                            ;   in Loop: Header=BB317_108 Depth=2
	s_or_b32 exec_lo, exec_lo, s26
	v_cmp_lt_u32_e64 s26, v76, v137
	s_and_saveexec_b32 s27, s26
	s_cbranch_execnz .LBB317_260
.LBB317_188:                            ;   in Loop: Header=BB317_108 Depth=2
	s_or_b32 exec_lo, exec_lo, s27
	v_cmp_lt_u32_e64 s27, v77, v137
	s_and_saveexec_b32 s28, s27
	s_cbranch_execnz .LBB317_261
.LBB317_189:                            ;   in Loop: Header=BB317_108 Depth=2
	s_or_b32 exec_lo, exec_lo, s28
	v_cmp_lt_u32_e64 s28, v78, v137
	s_and_saveexec_b32 s29, s28
	s_cbranch_execnz .LBB317_262
.LBB317_190:                            ;   in Loop: Header=BB317_108 Depth=2
	s_or_b32 exec_lo, exec_lo, s29
	v_cmp_lt_u32_e64 s29, v79, v137
	s_and_saveexec_b32 s30, s29
	s_cbranch_execnz .LBB317_263
.LBB317_191:                            ;   in Loop: Header=BB317_108 Depth=2
	s_or_b32 exec_lo, exec_lo, s30
	v_cmp_lt_u32_e64 s30, v80, v137
	s_and_saveexec_b32 s31, s30
	s_cbranch_execnz .LBB317_264
.LBB317_192:                            ;   in Loop: Header=BB317_108 Depth=2
	s_or_b32 exec_lo, exec_lo, s31
	v_cmp_lt_u32_e64 s31, v81, v137
	s_and_saveexec_b32 s33, s31
	s_cbranch_execnz .LBB317_265
.LBB317_193:                            ;   in Loop: Header=BB317_108 Depth=2
	s_or_b32 exec_lo, exec_lo, s33
	v_cmp_lt_u32_e64 s33, v82, v137
	s_and_saveexec_b32 s61, s33
	s_cbranch_execz .LBB317_195
.LBB317_194:                            ;   in Loop: Header=BB317_108 Depth=2
	ds_load_u8 v62, v2 offset:4608
	s_wait_dscnt 0x0
	v_and_b32_e32 v63, 0xff, v62
	v_xor_b32_e32 v62, 0x7f, v62
	s_delay_alu instid0(VALU_DEP_2) | instskip(NEXT) | instid1(VALU_DEP_1)
	v_lshrrev_b32_e32 v63, s48, v63
	v_and_b32_e32 v63, s58, v63
	s_delay_alu instid0(VALU_DEP_1)
	v_lshlrev_b32_e32 v63, 2, v63
	ds_load_b32 v63, v63
	s_wait_dscnt 0x0
	v_add_nc_u32_e32 v63, v63, v82
	global_store_b8 v63, v62, s[38:39]
.LBB317_195:                            ;   in Loop: Header=BB317_108 Depth=2
	s_wait_xcnt 0x0
	s_or_b32 exec_lo, exec_lo, s61
	v_lshl_add_u64 v[62:63], s[34:35], 3, v[26:27]
	v_cmp_lt_u32_e64 s34, v97, v137
	s_and_saveexec_b32 s61, s34
	s_delay_alu instid0(SALU_CYCLE_1)
	s_xor_b32 s34, exec_lo, s61
	s_cbranch_execnz .LBB317_266
; %bb.196:                              ;   in Loop: Header=BB317_108 Depth=2
	s_or_b32 exec_lo, exec_lo, s34
	s_delay_alu instid0(SALU_CYCLE_1)
	s_mov_b32 s61, exec_lo
	v_cmpx_lt_u32_e64 v98, v137
	s_cbranch_execnz .LBB317_267
.LBB317_197:                            ;   in Loop: Header=BB317_108 Depth=2
	s_or_b32 exec_lo, exec_lo, s61
	s_delay_alu instid0(SALU_CYCLE_1)
	s_mov_b32 s61, exec_lo
	v_cmpx_lt_u32_e64 v99, v137
	s_cbranch_execnz .LBB317_268
.LBB317_198:                            ;   in Loop: Header=BB317_108 Depth=2
	s_or_b32 exec_lo, exec_lo, s61
	s_delay_alu instid0(SALU_CYCLE_1)
	s_mov_b32 s61, exec_lo
	v_cmpx_lt_u32_e64 v100, v137
	s_cbranch_execnz .LBB317_269
.LBB317_199:                            ;   in Loop: Header=BB317_108 Depth=2
	s_or_b32 exec_lo, exec_lo, s61
	s_delay_alu instid0(SALU_CYCLE_1)
	s_mov_b32 s61, exec_lo
	v_cmpx_lt_u32_e64 v101, v137
	s_cbranch_execnz .LBB317_270
.LBB317_200:                            ;   in Loop: Header=BB317_108 Depth=2
	s_or_b32 exec_lo, exec_lo, s61
	s_delay_alu instid0(SALU_CYCLE_1)
	s_mov_b32 s61, exec_lo
	v_cmpx_lt_u32_e64 v102, v137
	s_cbranch_execnz .LBB317_271
.LBB317_201:                            ;   in Loop: Header=BB317_108 Depth=2
	s_or_b32 exec_lo, exec_lo, s61
	s_delay_alu instid0(SALU_CYCLE_1)
	s_mov_b32 s61, exec_lo
	v_cmpx_lt_u32_e64 v103, v137
	s_cbranch_execnz .LBB317_272
.LBB317_202:                            ;   in Loop: Header=BB317_108 Depth=2
	s_or_b32 exec_lo, exec_lo, s61
	s_delay_alu instid0(SALU_CYCLE_1)
	s_mov_b32 s61, exec_lo
	v_cmpx_lt_u32_e64 v104, v137
	s_cbranch_execnz .LBB317_273
.LBB317_203:                            ;   in Loop: Header=BB317_108 Depth=2
	s_or_b32 exec_lo, exec_lo, s61
	s_delay_alu instid0(SALU_CYCLE_1)
	s_mov_b32 s61, exec_lo
	v_cmpx_lt_u32_e64 v105, v137
	s_cbranch_execnz .LBB317_274
.LBB317_204:                            ;   in Loop: Header=BB317_108 Depth=2
	s_or_b32 exec_lo, exec_lo, s61
	s_delay_alu instid0(SALU_CYCLE_1)
	s_mov_b32 s61, exec_lo
	v_cmpx_lt_u32_e64 v106, v137
	s_cbranch_execnz .LBB317_275
.LBB317_205:                            ;   in Loop: Header=BB317_108 Depth=2
	s_or_b32 exec_lo, exec_lo, s61
	s_delay_alu instid0(SALU_CYCLE_1)
	s_mov_b32 s61, exec_lo
	v_cmpx_lt_u32_e64 v107, v137
	s_cbranch_execnz .LBB317_276
.LBB317_206:                            ;   in Loop: Header=BB317_108 Depth=2
	s_or_b32 exec_lo, exec_lo, s61
	s_delay_alu instid0(SALU_CYCLE_1)
	s_mov_b32 s61, exec_lo
	v_cmpx_lt_u32_e64 v108, v137
	s_cbranch_execnz .LBB317_277
.LBB317_207:                            ;   in Loop: Header=BB317_108 Depth=2
	s_or_b32 exec_lo, exec_lo, s61
	s_delay_alu instid0(SALU_CYCLE_1)
	s_mov_b32 s61, exec_lo
	v_cmpx_lt_u32_e64 v109, v137
	s_cbranch_execnz .LBB317_278
.LBB317_208:                            ;   in Loop: Header=BB317_108 Depth=2
	s_or_b32 exec_lo, exec_lo, s61
	s_delay_alu instid0(SALU_CYCLE_1)
	s_mov_b32 s61, exec_lo
	v_cmpx_lt_u32_e64 v110, v137
	s_cbranch_execnz .LBB317_279
.LBB317_209:                            ;   in Loop: Header=BB317_108 Depth=2
	s_or_b32 exec_lo, exec_lo, s61
	s_delay_alu instid0(SALU_CYCLE_1)
	s_mov_b32 s61, exec_lo
	v_cmpx_lt_u32_e64 v111, v137
	s_cbranch_execnz .LBB317_280
.LBB317_210:                            ;   in Loop: Header=BB317_108 Depth=2
	s_or_b32 exec_lo, exec_lo, s61
	s_delay_alu instid0(SALU_CYCLE_1)
	s_mov_b32 s61, exec_lo
	v_cmpx_lt_u32_e64 v112, v137
	s_cbranch_execnz .LBB317_281
.LBB317_211:                            ;   in Loop: Header=BB317_108 Depth=2
	s_or_b32 exec_lo, exec_lo, s61
	s_delay_alu instid0(SALU_CYCLE_1)
	s_mov_b32 s61, exec_lo
	v_cmpx_lt_u32_e64 v113, v137
	s_cbranch_execnz .LBB317_282
.LBB317_212:                            ;   in Loop: Header=BB317_108 Depth=2
	s_or_b32 exec_lo, exec_lo, s61
	s_and_saveexec_b32 s34, vcc_lo
	s_cbranch_execnz .LBB317_283
.LBB317_213:                            ;   in Loop: Header=BB317_108 Depth=2
	s_or_b32 exec_lo, exec_lo, s34
	s_and_saveexec_b32 s34, s17
	s_cbranch_execnz .LBB317_284
.LBB317_214:                            ;   in Loop: Header=BB317_108 Depth=2
	s_or_b32 exec_lo, exec_lo, s34
	s_and_saveexec_b32 s34, s18
	s_cbranch_execnz .LBB317_285
.LBB317_215:                            ;   in Loop: Header=BB317_108 Depth=2
	s_or_b32 exec_lo, exec_lo, s34
	s_and_saveexec_b32 s34, s19
	s_cbranch_execnz .LBB317_286
.LBB317_216:                            ;   in Loop: Header=BB317_108 Depth=2
	s_or_b32 exec_lo, exec_lo, s34
	s_and_saveexec_b32 s34, s20
	s_cbranch_execnz .LBB317_287
.LBB317_217:                            ;   in Loop: Header=BB317_108 Depth=2
	s_or_b32 exec_lo, exec_lo, s34
	s_and_saveexec_b32 s34, s21
	s_cbranch_execnz .LBB317_288
.LBB317_218:                            ;   in Loop: Header=BB317_108 Depth=2
	s_or_b32 exec_lo, exec_lo, s34
	s_and_saveexec_b32 s34, s22
	s_cbranch_execnz .LBB317_289
.LBB317_219:                            ;   in Loop: Header=BB317_108 Depth=2
	s_or_b32 exec_lo, exec_lo, s34
	s_and_saveexec_b32 s34, s23
	s_cbranch_execnz .LBB317_290
.LBB317_220:                            ;   in Loop: Header=BB317_108 Depth=2
	s_or_b32 exec_lo, exec_lo, s34
	s_and_saveexec_b32 s34, s24
	s_cbranch_execnz .LBB317_291
.LBB317_221:                            ;   in Loop: Header=BB317_108 Depth=2
	s_or_b32 exec_lo, exec_lo, s34
	s_and_saveexec_b32 s34, s25
	s_cbranch_execnz .LBB317_292
.LBB317_222:                            ;   in Loop: Header=BB317_108 Depth=2
	s_or_b32 exec_lo, exec_lo, s34
	s_and_saveexec_b32 s34, s26
	s_cbranch_execnz .LBB317_293
.LBB317_223:                            ;   in Loop: Header=BB317_108 Depth=2
	s_or_b32 exec_lo, exec_lo, s34
	s_and_saveexec_b32 s34, s27
	s_cbranch_execnz .LBB317_294
.LBB317_224:                            ;   in Loop: Header=BB317_108 Depth=2
	s_or_b32 exec_lo, exec_lo, s34
	s_and_saveexec_b32 s34, s28
	s_cbranch_execnz .LBB317_295
.LBB317_225:                            ;   in Loop: Header=BB317_108 Depth=2
	s_or_b32 exec_lo, exec_lo, s34
	s_and_saveexec_b32 s34, s29
	s_cbranch_execnz .LBB317_296
.LBB317_226:                            ;   in Loop: Header=BB317_108 Depth=2
	s_or_b32 exec_lo, exec_lo, s34
	s_and_saveexec_b32 s34, s30
	s_cbranch_execnz .LBB317_297
.LBB317_227:                            ;   in Loop: Header=BB317_108 Depth=2
	s_or_b32 exec_lo, exec_lo, s34
	s_and_saveexec_b32 s34, s31
	s_cbranch_execnz .LBB317_298
.LBB317_228:                            ;   in Loop: Header=BB317_108 Depth=2
	s_or_b32 exec_lo, exec_lo, s34
	s_and_saveexec_b32 s34, s33
	s_cbranch_execz .LBB317_230
.LBB317_229:                            ;   in Loop: Header=BB317_108 Depth=2
	ds_load_u8 v62, v2 offset:4608
	s_wait_dscnt 0x0
	v_lshrrev_b32_e32 v62, s48, v62
	s_delay_alu instid0(VALU_DEP_1)
	v_and_b32_e32 v116, s58, v62
.LBB317_230:                            ;   in Loop: Header=BB317_108 Depth=2
	s_or_b32 exec_lo, exec_lo, s34
	v_lshlrev_b32_e32 v62, 3, v156
	v_lshlrev_b32_e32 v63, 3, v152
	s_wait_loadcnt 0x0
	s_wait_storecnt 0x0
	s_barrier_signal -1
	s_barrier_wait -1
	ds_store_b64 v62, v[60:61] offset:512
	ds_store_b64 v63, v[58:59] offset:512
	v_dual_lshlrev_b32 v62, 3, v151 :: v_dual_lshlrev_b32 v63, 3, v150
	v_dual_lshlrev_b32 v137, 3, v149 :: v_dual_lshlrev_b32 v138, 3, v148
	v_lshlrev_b32_e32 v142, 3, v146
	ds_store_b64 v62, v[56:57] offset:512
	ds_store_b64 v63, v[54:55] offset:512
	ds_store_b64 v137, v[52:53] offset:512
	ds_store_b64 v138, v[50:51] offset:512
	ds_store_b64 v142, v[48:49] offset:512
	v_dual_lshlrev_b32 v62, 3, v145 :: v_dual_lshlrev_b32 v63, 3, v144
	v_dual_lshlrev_b32 v137, 3, v143 :: v_dual_lshlrev_b32 v138, 3, v141
	v_lshlrev_b32_e32 v140, 3, v140
	ds_store_b64 v62, v[46:47] offset:512
	ds_store_b64 v63, v[44:45] offset:512
	ds_store_b64 v137, v[42:43] offset:512
	;; [unrolled: 8-line block ×3, first 2 shown]
	ds_store_b64 v65, v[30:31] offset:512
	ds_store_b64 v64, v[28:29] offset:512
	s_wait_dscnt 0x0
	s_barrier_signal -1
	s_barrier_wait -1
	s_and_saveexec_b32 s34, vcc_lo
	s_cbranch_execnz .LBB317_299
; %bb.231:                              ;   in Loop: Header=BB317_108 Depth=2
	s_or_b32 exec_lo, exec_lo, s34
	s_and_saveexec_b32 s34, s17
	s_cbranch_execnz .LBB317_300
.LBB317_232:                            ;   in Loop: Header=BB317_108 Depth=2
	s_or_b32 exec_lo, exec_lo, s34
	s_and_saveexec_b32 s17, s18
	s_cbranch_execnz .LBB317_301
.LBB317_233:                            ;   in Loop: Header=BB317_108 Depth=2
	s_or_b32 exec_lo, exec_lo, s17
	s_and_saveexec_b32 s17, s19
	s_cbranch_execnz .LBB317_302
.LBB317_234:                            ;   in Loop: Header=BB317_108 Depth=2
	s_or_b32 exec_lo, exec_lo, s17
	s_and_saveexec_b32 s17, s20
	s_cbranch_execnz .LBB317_303
.LBB317_235:                            ;   in Loop: Header=BB317_108 Depth=2
	s_or_b32 exec_lo, exec_lo, s17
	s_and_saveexec_b32 s17, s21
	s_cbranch_execnz .LBB317_304
.LBB317_236:                            ;   in Loop: Header=BB317_108 Depth=2
	s_or_b32 exec_lo, exec_lo, s17
	s_and_saveexec_b32 s17, s22
	s_cbranch_execnz .LBB317_305
.LBB317_237:                            ;   in Loop: Header=BB317_108 Depth=2
	s_or_b32 exec_lo, exec_lo, s17
	s_and_saveexec_b32 s17, s23
	s_cbranch_execnz .LBB317_306
.LBB317_238:                            ;   in Loop: Header=BB317_108 Depth=2
	s_or_b32 exec_lo, exec_lo, s17
	s_and_saveexec_b32 s17, s24
	s_cbranch_execnz .LBB317_307
.LBB317_239:                            ;   in Loop: Header=BB317_108 Depth=2
	s_or_b32 exec_lo, exec_lo, s17
	s_and_saveexec_b32 s17, s25
	s_cbranch_execnz .LBB317_308
.LBB317_240:                            ;   in Loop: Header=BB317_108 Depth=2
	s_or_b32 exec_lo, exec_lo, s17
	s_and_saveexec_b32 s17, s26
	s_cbranch_execnz .LBB317_309
.LBB317_241:                            ;   in Loop: Header=BB317_108 Depth=2
	s_or_b32 exec_lo, exec_lo, s17
	s_and_saveexec_b32 s17, s27
	s_cbranch_execnz .LBB317_310
.LBB317_242:                            ;   in Loop: Header=BB317_108 Depth=2
	s_or_b32 exec_lo, exec_lo, s17
	s_and_saveexec_b32 s17, s28
	s_cbranch_execnz .LBB317_311
.LBB317_243:                            ;   in Loop: Header=BB317_108 Depth=2
	s_or_b32 exec_lo, exec_lo, s17
	s_and_saveexec_b32 s17, s29
	s_cbranch_execnz .LBB317_312
.LBB317_244:                            ;   in Loop: Header=BB317_108 Depth=2
	s_or_b32 exec_lo, exec_lo, s17
	s_and_saveexec_b32 s17, s30
	s_cbranch_execnz .LBB317_313
.LBB317_245:                            ;   in Loop: Header=BB317_108 Depth=2
	s_or_b32 exec_lo, exec_lo, s17
	s_and_saveexec_b32 s17, s31
	s_cbranch_execnz .LBB317_314
.LBB317_246:                            ;   in Loop: Header=BB317_108 Depth=2
	s_or_b32 exec_lo, exec_lo, s17
	s_and_saveexec_b32 s17, s33
	s_cbranch_execz .LBB317_248
.LBB317_247:                            ;   in Loop: Header=BB317_108 Depth=2
	v_dual_lshlrev_b32 v62, 2, v116 :: v_dual_add_nc_u32 v63, v2, v95
	ds_load_b32 v64, v62
	ds_load_b64 v[62:63], v63 offset:33280
	s_wait_dscnt 0x1
	v_add_nc_u32_e32 v64, v64, v82
	s_wait_dscnt 0x0
	global_store_b64 v64, v[62:63], s[44:45] scale_offset
.LBB317_248:                            ;   in Loop: Header=BB317_108 Depth=2
	s_wait_xcnt 0x0
	s_or_b32 exec_lo, exec_lo, s17
	s_wait_storecnt 0x0
	s_barrier_signal -1
	s_barrier_wait -1
	s_and_saveexec_b32 s17, s0
	s_cbranch_execz .LBB317_107
; %bb.249:                              ;   in Loop: Header=BB317_108 Depth=2
	ds_load_b32 v62, v66
	s_wait_dscnt 0x0
	v_add3_u32 v62, v133, v134, v62
	ds_store_b32 v66, v62
	s_branch .LBB317_107
.LBB317_250:                            ;   in Loop: Header=BB317_108 Depth=2
	ds_load_u8 v62, v2 offset:512
	s_wait_dscnt 0x0
	v_and_b32_e32 v63, 0xff, v62
	v_xor_b32_e32 v62, 0x7f, v62
	s_delay_alu instid0(VALU_DEP_2) | instskip(NEXT) | instid1(VALU_DEP_1)
	v_lshrrev_b32_e32 v63, s48, v63
	v_and_b32_e32 v63, s58, v63
	s_delay_alu instid0(VALU_DEP_1)
	v_lshlrev_b32_e32 v63, 2, v63
	ds_load_b32 v63, v63
	s_wait_dscnt 0x0
	v_add_nc_u32_e32 v63, v63, v2
	global_store_b8 v63, v62, s[38:39]
	s_wait_xcnt 0x0
	s_or_b32 exec_lo, exec_lo, s17
	v_cmp_lt_u32_e64 s17, v67, v137
	s_and_saveexec_b32 s18, s17
	s_cbranch_execz .LBB317_179
.LBB317_251:                            ;   in Loop: Header=BB317_108 Depth=2
	ds_load_u8 v62, v2 offset:768
	s_wait_dscnt 0x0
	v_and_b32_e32 v63, 0xff, v62
	v_xor_b32_e32 v62, 0x7f, v62
	s_delay_alu instid0(VALU_DEP_2) | instskip(NEXT) | instid1(VALU_DEP_1)
	v_lshrrev_b32_e32 v63, s48, v63
	v_and_b32_e32 v63, s58, v63
	s_delay_alu instid0(VALU_DEP_1)
	v_lshlrev_b32_e32 v63, 2, v63
	ds_load_b32 v63, v63
	s_wait_dscnt 0x0
	v_add_nc_u32_e32 v63, v63, v67
	global_store_b8 v63, v62, s[38:39]
	s_wait_xcnt 0x0
	s_or_b32 exec_lo, exec_lo, s18
	v_cmp_lt_u32_e64 s18, v68, v137
	s_and_saveexec_b32 s19, s18
	s_cbranch_execz .LBB317_180
.LBB317_252:                            ;   in Loop: Header=BB317_108 Depth=2
	ds_load_u8 v62, v2 offset:1024
	s_wait_dscnt 0x0
	v_and_b32_e32 v63, 0xff, v62
	v_xor_b32_e32 v62, 0x7f, v62
	s_delay_alu instid0(VALU_DEP_2) | instskip(NEXT) | instid1(VALU_DEP_1)
	v_lshrrev_b32_e32 v63, s48, v63
	v_and_b32_e32 v63, s58, v63
	s_delay_alu instid0(VALU_DEP_1)
	v_lshlrev_b32_e32 v63, 2, v63
	ds_load_b32 v63, v63
	s_wait_dscnt 0x0
	v_add_nc_u32_e32 v63, v63, v68
	global_store_b8 v63, v62, s[38:39]
	s_wait_xcnt 0x0
	s_or_b32 exec_lo, exec_lo, s19
	v_cmp_lt_u32_e64 s19, v69, v137
	s_and_saveexec_b32 s20, s19
	s_cbranch_execz .LBB317_181
.LBB317_253:                            ;   in Loop: Header=BB317_108 Depth=2
	ds_load_u8 v62, v2 offset:1280
	s_wait_dscnt 0x0
	v_and_b32_e32 v63, 0xff, v62
	v_xor_b32_e32 v62, 0x7f, v62
	s_delay_alu instid0(VALU_DEP_2) | instskip(NEXT) | instid1(VALU_DEP_1)
	v_lshrrev_b32_e32 v63, s48, v63
	v_and_b32_e32 v63, s58, v63
	s_delay_alu instid0(VALU_DEP_1)
	v_lshlrev_b32_e32 v63, 2, v63
	ds_load_b32 v63, v63
	s_wait_dscnt 0x0
	v_add_nc_u32_e32 v63, v63, v69
	global_store_b8 v63, v62, s[38:39]
	s_wait_xcnt 0x0
	s_or_b32 exec_lo, exec_lo, s20
	v_cmp_lt_u32_e64 s20, v70, v137
	s_and_saveexec_b32 s21, s20
	s_cbranch_execz .LBB317_182
.LBB317_254:                            ;   in Loop: Header=BB317_108 Depth=2
	ds_load_u8 v62, v2 offset:1536
	s_wait_dscnt 0x0
	v_and_b32_e32 v63, 0xff, v62
	v_xor_b32_e32 v62, 0x7f, v62
	s_delay_alu instid0(VALU_DEP_2) | instskip(NEXT) | instid1(VALU_DEP_1)
	v_lshrrev_b32_e32 v63, s48, v63
	v_and_b32_e32 v63, s58, v63
	s_delay_alu instid0(VALU_DEP_1)
	v_lshlrev_b32_e32 v63, 2, v63
	ds_load_b32 v63, v63
	s_wait_dscnt 0x0
	v_add_nc_u32_e32 v63, v63, v70
	global_store_b8 v63, v62, s[38:39]
	s_wait_xcnt 0x0
	s_or_b32 exec_lo, exec_lo, s21
	v_cmp_lt_u32_e64 s21, v71, v137
	s_and_saveexec_b32 s22, s21
	s_cbranch_execz .LBB317_183
.LBB317_255:                            ;   in Loop: Header=BB317_108 Depth=2
	ds_load_u8 v62, v2 offset:1792
	s_wait_dscnt 0x0
	v_and_b32_e32 v63, 0xff, v62
	v_xor_b32_e32 v62, 0x7f, v62
	s_delay_alu instid0(VALU_DEP_2) | instskip(NEXT) | instid1(VALU_DEP_1)
	v_lshrrev_b32_e32 v63, s48, v63
	v_and_b32_e32 v63, s58, v63
	s_delay_alu instid0(VALU_DEP_1)
	v_lshlrev_b32_e32 v63, 2, v63
	ds_load_b32 v63, v63
	s_wait_dscnt 0x0
	v_add_nc_u32_e32 v63, v63, v71
	global_store_b8 v63, v62, s[38:39]
	s_wait_xcnt 0x0
	s_or_b32 exec_lo, exec_lo, s22
	v_cmp_lt_u32_e64 s22, v72, v137
	s_and_saveexec_b32 s23, s22
	s_cbranch_execz .LBB317_184
.LBB317_256:                            ;   in Loop: Header=BB317_108 Depth=2
	ds_load_u8 v62, v2 offset:2048
	s_wait_dscnt 0x0
	v_and_b32_e32 v63, 0xff, v62
	v_xor_b32_e32 v62, 0x7f, v62
	s_delay_alu instid0(VALU_DEP_2) | instskip(NEXT) | instid1(VALU_DEP_1)
	v_lshrrev_b32_e32 v63, s48, v63
	v_and_b32_e32 v63, s58, v63
	s_delay_alu instid0(VALU_DEP_1)
	v_lshlrev_b32_e32 v63, 2, v63
	ds_load_b32 v63, v63
	s_wait_dscnt 0x0
	v_add_nc_u32_e32 v63, v63, v72
	global_store_b8 v63, v62, s[38:39]
	s_wait_xcnt 0x0
	s_or_b32 exec_lo, exec_lo, s23
	v_cmp_lt_u32_e64 s23, v73, v137
	s_and_saveexec_b32 s24, s23
	s_cbranch_execz .LBB317_185
.LBB317_257:                            ;   in Loop: Header=BB317_108 Depth=2
	ds_load_u8 v62, v2 offset:2304
	s_wait_dscnt 0x0
	v_and_b32_e32 v63, 0xff, v62
	v_xor_b32_e32 v62, 0x7f, v62
	s_delay_alu instid0(VALU_DEP_2) | instskip(NEXT) | instid1(VALU_DEP_1)
	v_lshrrev_b32_e32 v63, s48, v63
	v_and_b32_e32 v63, s58, v63
	s_delay_alu instid0(VALU_DEP_1)
	v_lshlrev_b32_e32 v63, 2, v63
	ds_load_b32 v63, v63
	s_wait_dscnt 0x0
	v_add_nc_u32_e32 v63, v63, v73
	global_store_b8 v63, v62, s[38:39]
	s_wait_xcnt 0x0
	s_or_b32 exec_lo, exec_lo, s24
	v_cmp_lt_u32_e64 s24, v74, v137
	s_and_saveexec_b32 s25, s24
	s_cbranch_execz .LBB317_186
.LBB317_258:                            ;   in Loop: Header=BB317_108 Depth=2
	ds_load_u8 v62, v2 offset:2560
	s_wait_dscnt 0x0
	v_and_b32_e32 v63, 0xff, v62
	v_xor_b32_e32 v62, 0x7f, v62
	s_delay_alu instid0(VALU_DEP_2) | instskip(NEXT) | instid1(VALU_DEP_1)
	v_lshrrev_b32_e32 v63, s48, v63
	v_and_b32_e32 v63, s58, v63
	s_delay_alu instid0(VALU_DEP_1)
	v_lshlrev_b32_e32 v63, 2, v63
	ds_load_b32 v63, v63
	s_wait_dscnt 0x0
	v_add_nc_u32_e32 v63, v63, v74
	global_store_b8 v63, v62, s[38:39]
	s_wait_xcnt 0x0
	s_or_b32 exec_lo, exec_lo, s25
	v_cmp_lt_u32_e64 s25, v75, v137
	s_and_saveexec_b32 s26, s25
	s_cbranch_execz .LBB317_187
.LBB317_259:                            ;   in Loop: Header=BB317_108 Depth=2
	ds_load_u8 v62, v2 offset:2816
	s_wait_dscnt 0x0
	v_and_b32_e32 v63, 0xff, v62
	v_xor_b32_e32 v62, 0x7f, v62
	s_delay_alu instid0(VALU_DEP_2) | instskip(NEXT) | instid1(VALU_DEP_1)
	v_lshrrev_b32_e32 v63, s48, v63
	v_and_b32_e32 v63, s58, v63
	s_delay_alu instid0(VALU_DEP_1)
	v_lshlrev_b32_e32 v63, 2, v63
	ds_load_b32 v63, v63
	s_wait_dscnt 0x0
	v_add_nc_u32_e32 v63, v63, v75
	global_store_b8 v63, v62, s[38:39]
	s_wait_xcnt 0x0
	s_or_b32 exec_lo, exec_lo, s26
	v_cmp_lt_u32_e64 s26, v76, v137
	s_and_saveexec_b32 s27, s26
	s_cbranch_execz .LBB317_188
.LBB317_260:                            ;   in Loop: Header=BB317_108 Depth=2
	ds_load_u8 v62, v2 offset:3072
	s_wait_dscnt 0x0
	v_and_b32_e32 v63, 0xff, v62
	v_xor_b32_e32 v62, 0x7f, v62
	s_delay_alu instid0(VALU_DEP_2) | instskip(NEXT) | instid1(VALU_DEP_1)
	v_lshrrev_b32_e32 v63, s48, v63
	v_and_b32_e32 v63, s58, v63
	s_delay_alu instid0(VALU_DEP_1)
	v_lshlrev_b32_e32 v63, 2, v63
	ds_load_b32 v63, v63
	s_wait_dscnt 0x0
	v_add_nc_u32_e32 v63, v63, v76
	global_store_b8 v63, v62, s[38:39]
	s_wait_xcnt 0x0
	s_or_b32 exec_lo, exec_lo, s27
	v_cmp_lt_u32_e64 s27, v77, v137
	s_and_saveexec_b32 s28, s27
	s_cbranch_execz .LBB317_189
.LBB317_261:                            ;   in Loop: Header=BB317_108 Depth=2
	ds_load_u8 v62, v2 offset:3328
	s_wait_dscnt 0x0
	v_and_b32_e32 v63, 0xff, v62
	v_xor_b32_e32 v62, 0x7f, v62
	s_delay_alu instid0(VALU_DEP_2) | instskip(NEXT) | instid1(VALU_DEP_1)
	v_lshrrev_b32_e32 v63, s48, v63
	v_and_b32_e32 v63, s58, v63
	s_delay_alu instid0(VALU_DEP_1)
	v_lshlrev_b32_e32 v63, 2, v63
	ds_load_b32 v63, v63
	s_wait_dscnt 0x0
	v_add_nc_u32_e32 v63, v63, v77
	global_store_b8 v63, v62, s[38:39]
	s_wait_xcnt 0x0
	s_or_b32 exec_lo, exec_lo, s28
	v_cmp_lt_u32_e64 s28, v78, v137
	s_and_saveexec_b32 s29, s28
	s_cbranch_execz .LBB317_190
.LBB317_262:                            ;   in Loop: Header=BB317_108 Depth=2
	ds_load_u8 v62, v2 offset:3584
	s_wait_dscnt 0x0
	v_and_b32_e32 v63, 0xff, v62
	v_xor_b32_e32 v62, 0x7f, v62
	s_delay_alu instid0(VALU_DEP_2) | instskip(NEXT) | instid1(VALU_DEP_1)
	v_lshrrev_b32_e32 v63, s48, v63
	v_and_b32_e32 v63, s58, v63
	s_delay_alu instid0(VALU_DEP_1)
	v_lshlrev_b32_e32 v63, 2, v63
	ds_load_b32 v63, v63
	s_wait_dscnt 0x0
	v_add_nc_u32_e32 v63, v63, v78
	global_store_b8 v63, v62, s[38:39]
	s_wait_xcnt 0x0
	s_or_b32 exec_lo, exec_lo, s29
	v_cmp_lt_u32_e64 s29, v79, v137
	s_and_saveexec_b32 s30, s29
	s_cbranch_execz .LBB317_191
.LBB317_263:                            ;   in Loop: Header=BB317_108 Depth=2
	ds_load_u8 v62, v2 offset:3840
	s_wait_dscnt 0x0
	v_and_b32_e32 v63, 0xff, v62
	v_xor_b32_e32 v62, 0x7f, v62
	s_delay_alu instid0(VALU_DEP_2) | instskip(NEXT) | instid1(VALU_DEP_1)
	v_lshrrev_b32_e32 v63, s48, v63
	v_and_b32_e32 v63, s58, v63
	s_delay_alu instid0(VALU_DEP_1)
	v_lshlrev_b32_e32 v63, 2, v63
	ds_load_b32 v63, v63
	s_wait_dscnt 0x0
	v_add_nc_u32_e32 v63, v63, v79
	global_store_b8 v63, v62, s[38:39]
	s_wait_xcnt 0x0
	s_or_b32 exec_lo, exec_lo, s30
	v_cmp_lt_u32_e64 s30, v80, v137
	s_and_saveexec_b32 s31, s30
	s_cbranch_execz .LBB317_192
.LBB317_264:                            ;   in Loop: Header=BB317_108 Depth=2
	ds_load_u8 v62, v2 offset:4096
	s_wait_dscnt 0x0
	v_and_b32_e32 v63, 0xff, v62
	v_xor_b32_e32 v62, 0x7f, v62
	s_delay_alu instid0(VALU_DEP_2) | instskip(NEXT) | instid1(VALU_DEP_1)
	v_lshrrev_b32_e32 v63, s48, v63
	v_and_b32_e32 v63, s58, v63
	s_delay_alu instid0(VALU_DEP_1)
	v_lshlrev_b32_e32 v63, 2, v63
	ds_load_b32 v63, v63
	s_wait_dscnt 0x0
	v_add_nc_u32_e32 v63, v63, v80
	global_store_b8 v63, v62, s[38:39]
	s_wait_xcnt 0x0
	s_or_b32 exec_lo, exec_lo, s31
	v_cmp_lt_u32_e64 s31, v81, v137
	s_and_saveexec_b32 s33, s31
	s_cbranch_execz .LBB317_193
.LBB317_265:                            ;   in Loop: Header=BB317_108 Depth=2
	ds_load_u8 v62, v2 offset:4352
	s_wait_dscnt 0x0
	v_and_b32_e32 v63, 0xff, v62
	v_xor_b32_e32 v62, 0x7f, v62
	s_delay_alu instid0(VALU_DEP_2) | instskip(NEXT) | instid1(VALU_DEP_1)
	v_lshrrev_b32_e32 v63, s48, v63
	v_and_b32_e32 v63, s58, v63
	s_delay_alu instid0(VALU_DEP_1)
	v_lshlrev_b32_e32 v63, 2, v63
	ds_load_b32 v63, v63
	s_wait_dscnt 0x0
	v_add_nc_u32_e32 v63, v63, v81
	global_store_b8 v63, v62, s[38:39]
	s_wait_xcnt 0x0
	s_or_b32 exec_lo, exec_lo, s33
	v_cmp_lt_u32_e64 s33, v82, v137
	s_and_saveexec_b32 s61, s33
	s_cbranch_execnz .LBB317_194
	s_branch .LBB317_195
.LBB317_266:                            ;   in Loop: Header=BB317_108 Depth=2
	global_load_b64 v[60:61], v[62:63], off
	s_wait_xcnt 0x0
	s_or_b32 exec_lo, exec_lo, s34
	s_delay_alu instid0(SALU_CYCLE_1)
	s_mov_b32 s61, exec_lo
	v_cmpx_lt_u32_e64 v98, v137
	s_cbranch_execz .LBB317_197
.LBB317_267:                            ;   in Loop: Header=BB317_108 Depth=2
	global_load_b64 v[58:59], v[62:63], off offset:256
	s_wait_xcnt 0x0
	s_or_b32 exec_lo, exec_lo, s61
	s_delay_alu instid0(SALU_CYCLE_1)
	s_mov_b32 s61, exec_lo
	v_cmpx_lt_u32_e64 v99, v137
	s_cbranch_execz .LBB317_198
.LBB317_268:                            ;   in Loop: Header=BB317_108 Depth=2
	global_load_b64 v[56:57], v[62:63], off offset:512
	s_wait_xcnt 0x0
	s_or_b32 exec_lo, exec_lo, s61
	s_delay_alu instid0(SALU_CYCLE_1)
	s_mov_b32 s61, exec_lo
	v_cmpx_lt_u32_e64 v100, v137
	s_cbranch_execz .LBB317_199
.LBB317_269:                            ;   in Loop: Header=BB317_108 Depth=2
	global_load_b64 v[54:55], v[62:63], off offset:768
	s_wait_xcnt 0x0
	s_or_b32 exec_lo, exec_lo, s61
	s_delay_alu instid0(SALU_CYCLE_1)
	s_mov_b32 s61, exec_lo
	v_cmpx_lt_u32_e64 v101, v137
	s_cbranch_execz .LBB317_200
.LBB317_270:                            ;   in Loop: Header=BB317_108 Depth=2
	global_load_b64 v[52:53], v[62:63], off offset:1024
	s_wait_xcnt 0x0
	s_or_b32 exec_lo, exec_lo, s61
	s_delay_alu instid0(SALU_CYCLE_1)
	s_mov_b32 s61, exec_lo
	v_cmpx_lt_u32_e64 v102, v137
	s_cbranch_execz .LBB317_201
.LBB317_271:                            ;   in Loop: Header=BB317_108 Depth=2
	global_load_b64 v[50:51], v[62:63], off offset:1280
	s_wait_xcnt 0x0
	s_or_b32 exec_lo, exec_lo, s61
	s_delay_alu instid0(SALU_CYCLE_1)
	s_mov_b32 s61, exec_lo
	v_cmpx_lt_u32_e64 v103, v137
	s_cbranch_execz .LBB317_202
.LBB317_272:                            ;   in Loop: Header=BB317_108 Depth=2
	global_load_b64 v[48:49], v[62:63], off offset:1536
	s_wait_xcnt 0x0
	s_or_b32 exec_lo, exec_lo, s61
	s_delay_alu instid0(SALU_CYCLE_1)
	s_mov_b32 s61, exec_lo
	v_cmpx_lt_u32_e64 v104, v137
	s_cbranch_execz .LBB317_203
.LBB317_273:                            ;   in Loop: Header=BB317_108 Depth=2
	global_load_b64 v[46:47], v[62:63], off offset:1792
	s_wait_xcnt 0x0
	s_or_b32 exec_lo, exec_lo, s61
	s_delay_alu instid0(SALU_CYCLE_1)
	s_mov_b32 s61, exec_lo
	v_cmpx_lt_u32_e64 v105, v137
	s_cbranch_execz .LBB317_204
.LBB317_274:                            ;   in Loop: Header=BB317_108 Depth=2
	global_load_b64 v[44:45], v[62:63], off offset:2048
	s_wait_xcnt 0x0
	s_or_b32 exec_lo, exec_lo, s61
	s_delay_alu instid0(SALU_CYCLE_1)
	s_mov_b32 s61, exec_lo
	v_cmpx_lt_u32_e64 v106, v137
	s_cbranch_execz .LBB317_205
.LBB317_275:                            ;   in Loop: Header=BB317_108 Depth=2
	global_load_b64 v[42:43], v[62:63], off offset:2304
	s_wait_xcnt 0x0
	s_or_b32 exec_lo, exec_lo, s61
	s_delay_alu instid0(SALU_CYCLE_1)
	s_mov_b32 s61, exec_lo
	v_cmpx_lt_u32_e64 v107, v137
	s_cbranch_execz .LBB317_206
.LBB317_276:                            ;   in Loop: Header=BB317_108 Depth=2
	global_load_b64 v[40:41], v[62:63], off offset:2560
	s_wait_xcnt 0x0
	s_or_b32 exec_lo, exec_lo, s61
	s_delay_alu instid0(SALU_CYCLE_1)
	s_mov_b32 s61, exec_lo
	v_cmpx_lt_u32_e64 v108, v137
	s_cbranch_execz .LBB317_207
.LBB317_277:                            ;   in Loop: Header=BB317_108 Depth=2
	global_load_b64 v[38:39], v[62:63], off offset:2816
	s_wait_xcnt 0x0
	s_or_b32 exec_lo, exec_lo, s61
	s_delay_alu instid0(SALU_CYCLE_1)
	s_mov_b32 s61, exec_lo
	v_cmpx_lt_u32_e64 v109, v137
	s_cbranch_execz .LBB317_208
.LBB317_278:                            ;   in Loop: Header=BB317_108 Depth=2
	global_load_b64 v[36:37], v[62:63], off offset:3072
	s_wait_xcnt 0x0
	s_or_b32 exec_lo, exec_lo, s61
	s_delay_alu instid0(SALU_CYCLE_1)
	s_mov_b32 s61, exec_lo
	v_cmpx_lt_u32_e64 v110, v137
	s_cbranch_execz .LBB317_209
.LBB317_279:                            ;   in Loop: Header=BB317_108 Depth=2
	global_load_b64 v[34:35], v[62:63], off offset:3328
	s_wait_xcnt 0x0
	s_or_b32 exec_lo, exec_lo, s61
	s_delay_alu instid0(SALU_CYCLE_1)
	s_mov_b32 s61, exec_lo
	v_cmpx_lt_u32_e64 v111, v137
	s_cbranch_execz .LBB317_210
.LBB317_280:                            ;   in Loop: Header=BB317_108 Depth=2
	global_load_b64 v[32:33], v[62:63], off offset:3584
	s_wait_xcnt 0x0
	s_or_b32 exec_lo, exec_lo, s61
	s_delay_alu instid0(SALU_CYCLE_1)
	s_mov_b32 s61, exec_lo
	v_cmpx_lt_u32_e64 v112, v137
	s_cbranch_execz .LBB317_211
.LBB317_281:                            ;   in Loop: Header=BB317_108 Depth=2
	global_load_b64 v[30:31], v[62:63], off offset:3840
	s_wait_xcnt 0x0
	s_or_b32 exec_lo, exec_lo, s61
	s_delay_alu instid0(SALU_CYCLE_1)
	s_mov_b32 s61, exec_lo
	v_cmpx_lt_u32_e64 v113, v137
	s_cbranch_execz .LBB317_212
.LBB317_282:                            ;   in Loop: Header=BB317_108 Depth=2
	global_load_b64 v[28:29], v[62:63], off offset:4096
	s_wait_xcnt 0x0
	s_or_b32 exec_lo, exec_lo, s61
	s_and_saveexec_b32 s34, vcc_lo
	s_cbranch_execz .LBB317_213
.LBB317_283:                            ;   in Loop: Header=BB317_108 Depth=2
	ds_load_u8 v62, v2 offset:512
	s_wait_dscnt 0x0
	v_lshrrev_b32_e32 v62, s48, v62
	s_delay_alu instid0(VALU_DEP_1)
	v_and_b32_e32 v132, s58, v62
	s_or_b32 exec_lo, exec_lo, s34
	s_and_saveexec_b32 s34, s17
	s_cbranch_execz .LBB317_214
.LBB317_284:                            ;   in Loop: Header=BB317_108 Depth=2
	ds_load_u8 v62, v2 offset:768
	s_wait_dscnt 0x0
	v_lshrrev_b32_e32 v62, s48, v62
	s_delay_alu instid0(VALU_DEP_1)
	v_and_b32_e32 v131, s58, v62
	s_or_b32 exec_lo, exec_lo, s34
	s_and_saveexec_b32 s34, s18
	s_cbranch_execz .LBB317_215
.LBB317_285:                            ;   in Loop: Header=BB317_108 Depth=2
	ds_load_u8 v62, v2 offset:1024
	s_wait_dscnt 0x0
	v_lshrrev_b32_e32 v62, s48, v62
	s_delay_alu instid0(VALU_DEP_1)
	v_and_b32_e32 v130, s58, v62
	s_or_b32 exec_lo, exec_lo, s34
	s_and_saveexec_b32 s34, s19
	s_cbranch_execz .LBB317_216
.LBB317_286:                            ;   in Loop: Header=BB317_108 Depth=2
	ds_load_u8 v62, v2 offset:1280
	s_wait_dscnt 0x0
	v_lshrrev_b32_e32 v62, s48, v62
	s_delay_alu instid0(VALU_DEP_1)
	v_and_b32_e32 v129, s58, v62
	s_or_b32 exec_lo, exec_lo, s34
	s_and_saveexec_b32 s34, s20
	s_cbranch_execz .LBB317_217
.LBB317_287:                            ;   in Loop: Header=BB317_108 Depth=2
	ds_load_u8 v62, v2 offset:1536
	s_wait_dscnt 0x0
	v_lshrrev_b32_e32 v62, s48, v62
	s_delay_alu instid0(VALU_DEP_1)
	v_and_b32_e32 v128, s58, v62
	s_or_b32 exec_lo, exec_lo, s34
	s_and_saveexec_b32 s34, s21
	s_cbranch_execz .LBB317_218
.LBB317_288:                            ;   in Loop: Header=BB317_108 Depth=2
	ds_load_u8 v62, v2 offset:1792
	s_wait_dscnt 0x0
	v_lshrrev_b32_e32 v62, s48, v62
	s_delay_alu instid0(VALU_DEP_1)
	v_and_b32_e32 v127, s58, v62
	s_or_b32 exec_lo, exec_lo, s34
	s_and_saveexec_b32 s34, s22
	s_cbranch_execz .LBB317_219
.LBB317_289:                            ;   in Loop: Header=BB317_108 Depth=2
	ds_load_u8 v62, v2 offset:2048
	s_wait_dscnt 0x0
	v_lshrrev_b32_e32 v62, s48, v62
	s_delay_alu instid0(VALU_DEP_1)
	v_and_b32_e32 v126, s58, v62
	s_or_b32 exec_lo, exec_lo, s34
	s_and_saveexec_b32 s34, s23
	s_cbranch_execz .LBB317_220
.LBB317_290:                            ;   in Loop: Header=BB317_108 Depth=2
	ds_load_u8 v62, v2 offset:2304
	s_wait_dscnt 0x0
	v_lshrrev_b32_e32 v62, s48, v62
	s_delay_alu instid0(VALU_DEP_1)
	v_and_b32_e32 v125, s58, v62
	s_or_b32 exec_lo, exec_lo, s34
	s_and_saveexec_b32 s34, s24
	s_cbranch_execz .LBB317_221
.LBB317_291:                            ;   in Loop: Header=BB317_108 Depth=2
	ds_load_u8 v62, v2 offset:2560
	s_wait_dscnt 0x0
	v_lshrrev_b32_e32 v62, s48, v62
	s_delay_alu instid0(VALU_DEP_1)
	v_and_b32_e32 v124, s58, v62
	s_or_b32 exec_lo, exec_lo, s34
	s_and_saveexec_b32 s34, s25
	s_cbranch_execz .LBB317_222
.LBB317_292:                            ;   in Loop: Header=BB317_108 Depth=2
	ds_load_u8 v62, v2 offset:2816
	s_wait_dscnt 0x0
	v_lshrrev_b32_e32 v62, s48, v62
	s_delay_alu instid0(VALU_DEP_1)
	v_and_b32_e32 v123, s58, v62
	s_or_b32 exec_lo, exec_lo, s34
	s_and_saveexec_b32 s34, s26
	s_cbranch_execz .LBB317_223
.LBB317_293:                            ;   in Loop: Header=BB317_108 Depth=2
	ds_load_u8 v62, v2 offset:3072
	s_wait_dscnt 0x0
	v_lshrrev_b32_e32 v62, s48, v62
	s_delay_alu instid0(VALU_DEP_1)
	v_and_b32_e32 v122, s58, v62
	s_or_b32 exec_lo, exec_lo, s34
	s_and_saveexec_b32 s34, s27
	s_cbranch_execz .LBB317_224
.LBB317_294:                            ;   in Loop: Header=BB317_108 Depth=2
	ds_load_u8 v62, v2 offset:3328
	s_wait_dscnt 0x0
	v_lshrrev_b32_e32 v62, s48, v62
	s_delay_alu instid0(VALU_DEP_1)
	v_and_b32_e32 v121, s58, v62
	s_or_b32 exec_lo, exec_lo, s34
	s_and_saveexec_b32 s34, s28
	s_cbranch_execz .LBB317_225
.LBB317_295:                            ;   in Loop: Header=BB317_108 Depth=2
	ds_load_u8 v62, v2 offset:3584
	s_wait_dscnt 0x0
	v_lshrrev_b32_e32 v62, s48, v62
	s_delay_alu instid0(VALU_DEP_1)
	v_and_b32_e32 v120, s58, v62
	s_or_b32 exec_lo, exec_lo, s34
	s_and_saveexec_b32 s34, s29
	s_cbranch_execz .LBB317_226
.LBB317_296:                            ;   in Loop: Header=BB317_108 Depth=2
	ds_load_u8 v62, v2 offset:3840
	s_wait_dscnt 0x0
	v_lshrrev_b32_e32 v62, s48, v62
	s_delay_alu instid0(VALU_DEP_1)
	v_and_b32_e32 v119, s58, v62
	s_or_b32 exec_lo, exec_lo, s34
	s_and_saveexec_b32 s34, s30
	s_cbranch_execz .LBB317_227
.LBB317_297:                            ;   in Loop: Header=BB317_108 Depth=2
	ds_load_u8 v62, v2 offset:4096
	s_wait_dscnt 0x0
	v_lshrrev_b32_e32 v62, s48, v62
	s_delay_alu instid0(VALU_DEP_1)
	v_and_b32_e32 v118, s58, v62
	s_or_b32 exec_lo, exec_lo, s34
	s_and_saveexec_b32 s34, s31
	s_cbranch_execz .LBB317_228
.LBB317_298:                            ;   in Loop: Header=BB317_108 Depth=2
	ds_load_u8 v62, v2 offset:4352
	s_wait_dscnt 0x0
	v_lshrrev_b32_e32 v62, s48, v62
	s_delay_alu instid0(VALU_DEP_1)
	v_and_b32_e32 v117, s58, v62
	s_or_b32 exec_lo, exec_lo, s34
	s_and_saveexec_b32 s34, s33
	s_cbranch_execnz .LBB317_229
	s_branch .LBB317_230
.LBB317_299:                            ;   in Loop: Header=BB317_108 Depth=2
	v_dual_lshlrev_b32 v62, 2, v132 :: v_dual_add_nc_u32 v63, v2, v95
	ds_load_b32 v64, v62
	ds_load_b64 v[62:63], v63 offset:512
	s_wait_dscnt 0x1
	v_add_nc_u32_e32 v64, v64, v2
	s_wait_dscnt 0x0
	global_store_b64 v64, v[62:63], s[44:45] scale_offset
	s_wait_xcnt 0x0
	s_or_b32 exec_lo, exec_lo, s34
	s_and_saveexec_b32 s34, s17
	s_cbranch_execz .LBB317_232
.LBB317_300:                            ;   in Loop: Header=BB317_108 Depth=2
	v_lshlrev_b32_e32 v62, 2, v131
	v_add_nc_u32_e32 v63, v2, v95
	ds_load_b32 v64, v62
	ds_load_b64 v[62:63], v63 offset:2560
	s_wait_dscnt 0x1
	v_add_nc_u32_e32 v64, v64, v67
	s_wait_dscnt 0x0
	global_store_b64 v64, v[62:63], s[44:45] scale_offset
	s_wait_xcnt 0x0
	s_or_b32 exec_lo, exec_lo, s34
	s_and_saveexec_b32 s17, s18
	s_cbranch_execz .LBB317_233
.LBB317_301:                            ;   in Loop: Header=BB317_108 Depth=2
	v_dual_lshlrev_b32 v62, 2, v130 :: v_dual_add_nc_u32 v63, v2, v95
	ds_load_b32 v64, v62
	ds_load_b64 v[62:63], v63 offset:4608
	s_wait_dscnt 0x1
	v_add_nc_u32_e32 v64, v64, v68
	s_wait_dscnt 0x0
	global_store_b64 v64, v[62:63], s[44:45] scale_offset
	s_wait_xcnt 0x0
	s_or_b32 exec_lo, exec_lo, s17
	s_and_saveexec_b32 s17, s19
	s_cbranch_execz .LBB317_234
.LBB317_302:                            ;   in Loop: Header=BB317_108 Depth=2
	v_dual_lshlrev_b32 v62, 2, v129 :: v_dual_add_nc_u32 v63, v2, v95
	ds_load_b32 v64, v62
	ds_load_b64 v[62:63], v63 offset:6656
	s_wait_dscnt 0x1
	v_add_nc_u32_e32 v64, v64, v69
	s_wait_dscnt 0x0
	global_store_b64 v64, v[62:63], s[44:45] scale_offset
	s_wait_xcnt 0x0
	s_or_b32 exec_lo, exec_lo, s17
	s_and_saveexec_b32 s17, s20
	s_cbranch_execz .LBB317_235
.LBB317_303:                            ;   in Loop: Header=BB317_108 Depth=2
	v_dual_lshlrev_b32 v62, 2, v128 :: v_dual_add_nc_u32 v63, v2, v95
	ds_load_b32 v64, v62
	ds_load_b64 v[62:63], v63 offset:8704
	s_wait_dscnt 0x1
	v_add_nc_u32_e32 v64, v64, v70
	s_wait_dscnt 0x0
	global_store_b64 v64, v[62:63], s[44:45] scale_offset
	s_wait_xcnt 0x0
	s_or_b32 exec_lo, exec_lo, s17
	s_and_saveexec_b32 s17, s21
	s_cbranch_execz .LBB317_236
.LBB317_304:                            ;   in Loop: Header=BB317_108 Depth=2
	v_lshlrev_b32_e32 v62, 2, v127
	v_add_nc_u32_e32 v63, v2, v95
	ds_load_b32 v64, v62
	ds_load_b64 v[62:63], v63 offset:10752
	s_wait_dscnt 0x1
	v_add_nc_u32_e32 v64, v64, v71
	s_wait_dscnt 0x0
	global_store_b64 v64, v[62:63], s[44:45] scale_offset
	s_wait_xcnt 0x0
	s_or_b32 exec_lo, exec_lo, s17
	s_and_saveexec_b32 s17, s22
	s_cbranch_execz .LBB317_237
.LBB317_305:                            ;   in Loop: Header=BB317_108 Depth=2
	v_dual_lshlrev_b32 v62, 2, v126 :: v_dual_add_nc_u32 v63, v2, v95
	ds_load_b32 v64, v62
	ds_load_b64 v[62:63], v63 offset:12800
	s_wait_dscnt 0x1
	v_add_nc_u32_e32 v64, v64, v72
	s_wait_dscnt 0x0
	global_store_b64 v64, v[62:63], s[44:45] scale_offset
	s_wait_xcnt 0x0
	s_or_b32 exec_lo, exec_lo, s17
	s_and_saveexec_b32 s17, s23
	s_cbranch_execz .LBB317_238
.LBB317_306:                            ;   in Loop: Header=BB317_108 Depth=2
	v_dual_lshlrev_b32 v62, 2, v125 :: v_dual_add_nc_u32 v63, v2, v95
	ds_load_b32 v64, v62
	ds_load_b64 v[62:63], v63 offset:14848
	s_wait_dscnt 0x1
	v_add_nc_u32_e32 v64, v64, v73
	s_wait_dscnt 0x0
	global_store_b64 v64, v[62:63], s[44:45] scale_offset
	s_wait_xcnt 0x0
	s_or_b32 exec_lo, exec_lo, s17
	s_and_saveexec_b32 s17, s24
	s_cbranch_execz .LBB317_239
.LBB317_307:                            ;   in Loop: Header=BB317_108 Depth=2
	v_dual_lshlrev_b32 v62, 2, v124 :: v_dual_add_nc_u32 v63, v2, v95
	ds_load_b32 v64, v62
	ds_load_b64 v[62:63], v63 offset:16896
	s_wait_dscnt 0x1
	v_add_nc_u32_e32 v64, v64, v74
	s_wait_dscnt 0x0
	global_store_b64 v64, v[62:63], s[44:45] scale_offset
	s_wait_xcnt 0x0
	s_or_b32 exec_lo, exec_lo, s17
	s_and_saveexec_b32 s17, s25
	s_cbranch_execz .LBB317_240
.LBB317_308:                            ;   in Loop: Header=BB317_108 Depth=2
	v_lshlrev_b32_e32 v62, 2, v123
	v_add_nc_u32_e32 v63, v2, v95
	ds_load_b32 v64, v62
	ds_load_b64 v[62:63], v63 offset:18944
	s_wait_dscnt 0x1
	v_add_nc_u32_e32 v64, v64, v75
	s_wait_dscnt 0x0
	global_store_b64 v64, v[62:63], s[44:45] scale_offset
	s_wait_xcnt 0x0
	s_or_b32 exec_lo, exec_lo, s17
	s_and_saveexec_b32 s17, s26
	s_cbranch_execz .LBB317_241
.LBB317_309:                            ;   in Loop: Header=BB317_108 Depth=2
	v_dual_lshlrev_b32 v62, 2, v122 :: v_dual_add_nc_u32 v63, v2, v95
	ds_load_b32 v64, v62
	ds_load_b64 v[62:63], v63 offset:20992
	s_wait_dscnt 0x1
	v_add_nc_u32_e32 v64, v64, v76
	s_wait_dscnt 0x0
	global_store_b64 v64, v[62:63], s[44:45] scale_offset
	s_wait_xcnt 0x0
	s_or_b32 exec_lo, exec_lo, s17
	s_and_saveexec_b32 s17, s27
	s_cbranch_execz .LBB317_242
.LBB317_310:                            ;   in Loop: Header=BB317_108 Depth=2
	v_dual_lshlrev_b32 v62, 2, v121 :: v_dual_add_nc_u32 v63, v2, v95
	ds_load_b32 v64, v62
	ds_load_b64 v[62:63], v63 offset:23040
	s_wait_dscnt 0x1
	v_add_nc_u32_e32 v64, v64, v77
	s_wait_dscnt 0x0
	global_store_b64 v64, v[62:63], s[44:45] scale_offset
	s_wait_xcnt 0x0
	s_or_b32 exec_lo, exec_lo, s17
	s_and_saveexec_b32 s17, s28
	s_cbranch_execz .LBB317_243
.LBB317_311:                            ;   in Loop: Header=BB317_108 Depth=2
	v_dual_lshlrev_b32 v62, 2, v120 :: v_dual_add_nc_u32 v63, v2, v95
	ds_load_b32 v64, v62
	ds_load_b64 v[62:63], v63 offset:25088
	s_wait_dscnt 0x1
	v_add_nc_u32_e32 v64, v64, v78
	s_wait_dscnt 0x0
	global_store_b64 v64, v[62:63], s[44:45] scale_offset
	s_wait_xcnt 0x0
	s_or_b32 exec_lo, exec_lo, s17
	s_and_saveexec_b32 s17, s29
	s_cbranch_execz .LBB317_244
.LBB317_312:                            ;   in Loop: Header=BB317_108 Depth=2
	v_lshlrev_b32_e32 v62, 2, v119
	v_add_nc_u32_e32 v63, v2, v95
	ds_load_b32 v64, v62
	ds_load_b64 v[62:63], v63 offset:27136
	s_wait_dscnt 0x1
	v_add_nc_u32_e32 v64, v64, v79
	s_wait_dscnt 0x0
	global_store_b64 v64, v[62:63], s[44:45] scale_offset
	s_wait_xcnt 0x0
	s_or_b32 exec_lo, exec_lo, s17
	s_and_saveexec_b32 s17, s30
	s_cbranch_execz .LBB317_245
.LBB317_313:                            ;   in Loop: Header=BB317_108 Depth=2
	v_dual_lshlrev_b32 v62, 2, v118 :: v_dual_add_nc_u32 v63, v2, v95
	ds_load_b32 v64, v62
	ds_load_b64 v[62:63], v63 offset:29184
	s_wait_dscnt 0x1
	v_add_nc_u32_e32 v64, v64, v80
	s_wait_dscnt 0x0
	global_store_b64 v64, v[62:63], s[44:45] scale_offset
	s_wait_xcnt 0x0
	s_or_b32 exec_lo, exec_lo, s17
	s_and_saveexec_b32 s17, s31
	s_cbranch_execz .LBB317_246
.LBB317_314:                            ;   in Loop: Header=BB317_108 Depth=2
	v_dual_lshlrev_b32 v62, 2, v117 :: v_dual_add_nc_u32 v63, v2, v95
	ds_load_b32 v64, v62
	ds_load_b64 v[62:63], v63 offset:31232
	s_wait_dscnt 0x1
	v_add_nc_u32_e32 v64, v64, v81
	s_wait_dscnt 0x0
	global_store_b64 v64, v[62:63], s[44:45] scale_offset
	s_wait_xcnt 0x0
	s_or_b32 exec_lo, exec_lo, s17
	s_and_saveexec_b32 s17, s33
	s_cbranch_execnz .LBB317_247
	s_branch .LBB317_248
.LBB317_315:                            ;   in Loop: Header=BB317_108 Depth=2
	global_load_u8 v147, v[62:63], off
	v_dual_mov_b32 v115, 0x80 :: v_dual_mov_b32 v150, 0x80
	v_dual_mov_b32 v148, 0x80 :: v_dual_mov_b32 v151, 0x80
	;; [unrolled: 1-line block ×8, first 2 shown]
	s_wait_xcnt 0x0
	s_or_b32 exec_lo, exec_lo, s17
	s_delay_alu instid0(SALU_CYCLE_1)
	s_mov_b32 s17, exec_lo
	v_cmpx_gt_u32_e64 s59, v98
	s_cbranch_execz .LBB317_113
.LBB317_316:                            ;   in Loop: Header=BB317_108 Depth=2
	global_load_u8 v150, v[62:63], off offset:32
	s_wait_xcnt 0x0
	s_or_b32 exec_lo, exec_lo, s17
	s_delay_alu instid0(SALU_CYCLE_1)
	s_mov_b32 s17, exec_lo
	v_cmpx_gt_u32_e64 s59, v99
	s_cbranch_execz .LBB317_114
.LBB317_317:                            ;   in Loop: Header=BB317_108 Depth=2
	global_load_u8 v148, v[62:63], off offset:64
	s_wait_xcnt 0x0
	s_or_b32 exec_lo, exec_lo, s17
	s_delay_alu instid0(SALU_CYCLE_1)
	s_mov_b32 s17, exec_lo
	v_cmpx_gt_u32_e64 s59, v100
	s_cbranch_execz .LBB317_115
.LBB317_318:                            ;   in Loop: Header=BB317_108 Depth=2
	global_load_u8 v151, v[62:63], off offset:96
	s_wait_xcnt 0x0
	s_or_b32 exec_lo, exec_lo, s17
	s_delay_alu instid0(SALU_CYCLE_1)
	s_mov_b32 s17, exec_lo
	v_cmpx_gt_u32_e64 s59, v101
	s_cbranch_execz .LBB317_116
.LBB317_319:                            ;   in Loop: Header=BB317_108 Depth=2
	global_load_u8 v142, v[62:63], off offset:128
	s_wait_xcnt 0x0
	s_or_b32 exec_lo, exec_lo, s17
	s_delay_alu instid0(SALU_CYCLE_1)
	s_mov_b32 s17, exec_lo
	v_cmpx_gt_u32_e64 s59, v102
	s_cbranch_execz .LBB317_117
.LBB317_320:                            ;   in Loop: Header=BB317_108 Depth=2
	global_load_u8 v145, v[62:63], off offset:160
	s_wait_xcnt 0x0
	s_or_b32 exec_lo, exec_lo, s17
	s_delay_alu instid0(SALU_CYCLE_1)
	s_mov_b32 s17, exec_lo
	v_cmpx_gt_u32_e64 s59, v103
	s_cbranch_execz .LBB317_118
.LBB317_321:                            ;   in Loop: Header=BB317_108 Depth=2
	global_load_u8 v143, v[62:63], off offset:192
	s_wait_xcnt 0x0
	s_or_b32 exec_lo, exec_lo, s17
	s_delay_alu instid0(SALU_CYCLE_1)
	s_mov_b32 s17, exec_lo
	v_cmpx_gt_u32_e64 s59, v104
	s_cbranch_execz .LBB317_119
.LBB317_322:                            ;   in Loop: Header=BB317_108 Depth=2
	global_load_u8 v144, v[62:63], off offset:224
	s_wait_xcnt 0x0
	s_or_b32 exec_lo, exec_lo, s17
	s_delay_alu instid0(SALU_CYCLE_1)
	s_mov_b32 s17, exec_lo
	v_cmpx_gt_u32_e64 s59, v105
	s_cbranch_execz .LBB317_120
.LBB317_323:                            ;   in Loop: Header=BB317_108 Depth=2
	global_load_u8 v138, v[62:63], off offset:256
	s_wait_xcnt 0x0
	s_or_b32 exec_lo, exec_lo, s17
	s_delay_alu instid0(SALU_CYCLE_1)
	s_mov_b32 s17, exec_lo
	v_cmpx_gt_u32_e64 s59, v106
	s_cbranch_execz .LBB317_121
.LBB317_324:                            ;   in Loop: Header=BB317_108 Depth=2
	global_load_u8 v141, v[62:63], off offset:288
	s_wait_xcnt 0x0
	s_or_b32 exec_lo, exec_lo, s17
	s_delay_alu instid0(SALU_CYCLE_1)
	s_mov_b32 s17, exec_lo
	v_cmpx_gt_u32_e64 s59, v107
	s_cbranch_execz .LBB317_122
.LBB317_325:                            ;   in Loop: Header=BB317_108 Depth=2
	global_load_u8 v139, v[62:63], off offset:320
	s_wait_xcnt 0x0
	s_or_b32 exec_lo, exec_lo, s17
	s_delay_alu instid0(SALU_CYCLE_1)
	s_mov_b32 s17, exec_lo
	v_cmpx_gt_u32_e64 s59, v108
	s_cbranch_execz .LBB317_123
.LBB317_326:                            ;   in Loop: Header=BB317_108 Depth=2
	global_load_u8 v140, v[62:63], off offset:352
	s_wait_xcnt 0x0
	s_or_b32 exec_lo, exec_lo, s17
	s_delay_alu instid0(SALU_CYCLE_1)
	s_mov_b32 s17, exec_lo
	v_cmpx_gt_u32_e64 s59, v109
	s_cbranch_execz .LBB317_124
.LBB317_327:                            ;   in Loop: Header=BB317_108 Depth=2
	global_load_u8 v64, v[62:63], off offset:384
	s_wait_xcnt 0x0
	s_or_b32 exec_lo, exec_lo, s17
	s_delay_alu instid0(SALU_CYCLE_1)
	s_mov_b32 s17, exec_lo
	v_cmpx_gt_u32_e64 s59, v110
	s_cbranch_execz .LBB317_125
.LBB317_328:                            ;   in Loop: Header=BB317_108 Depth=2
	global_load_u8 v136, v[62:63], off offset:416
	s_wait_xcnt 0x0
	s_or_b32 exec_lo, exec_lo, s17
	s_delay_alu instid0(SALU_CYCLE_1)
	s_mov_b32 s17, exec_lo
	v_cmpx_gt_u32_e64 s59, v111
	s_cbranch_execz .LBB317_126
.LBB317_329:                            ;   in Loop: Header=BB317_108 Depth=2
	global_load_u8 v65, v[62:63], off offset:448
	s_wait_xcnt 0x0
	s_or_b32 exec_lo, exec_lo, s17
	s_delay_alu instid0(SALU_CYCLE_1)
	s_mov_b32 s17, exec_lo
	v_cmpx_gt_u32_e64 s59, v112
	s_cbranch_execnz .LBB317_127
	s_branch .LBB317_128
.LBB317_330:                            ;   in Loop: Header=BB317_20 Depth=1
	s_wait_dscnt 0x0
	s_barrier_signal -1
	s_mov_b32 s8, 0
	s_barrier_wait -1
.LBB317_331:                            ;   in Loop: Header=BB317_20 Depth=1
	s_and_b32 vcc_lo, exec_lo, s8
	s_cbranch_vccz .LBB317_641
; %bb.332:                              ;   in Loop: Header=BB317_20 Depth=1
	v_dual_mov_b32 v39, 0 :: v_dual_mov_b32 v42, 0
	v_dual_mov_b32 v41, 0 :: v_dual_mov_b32 v40, 0
	;; [unrolled: 1-line block ×8, first 2 shown]
	v_mov_b32_e32 v26, 0
	s_mov_b32 s8, s57
	s_mov_b32 s34, s55
	s_barrier_signal -1
	s_barrier_wait -1
	s_branch .LBB317_334
.LBB317_333:                            ;   in Loop: Header=BB317_334 Depth=2
	s_or_b32 exec_lo, exec_lo, s10
	s_addk_co_i32 s8, 0xef00
	s_cmp_ge_u32 s9, s54
	s_mov_b32 s34, s9
	s_cbranch_scc1 .LBB317_406
.LBB317_334:                            ;   Parent Loop BB317_20 Depth=1
                                        ; =>  This Inner Loop Header: Depth=2
	s_add_co_i32 s9, s34, 0x1100
	s_mov_b32 s10, -1
	s_cmp_gt_u32 s9, s54
                                        ; implicit-def: $vgpr24
                                        ; implicit-def: $vgpr25
                                        ; implicit-def: $vgpr43
                                        ; implicit-def: $vgpr44
                                        ; implicit-def: $vgpr45
                                        ; implicit-def: $vgpr46
                                        ; implicit-def: $vgpr47
                                        ; implicit-def: $vgpr48
                                        ; implicit-def: $vgpr49
                                        ; implicit-def: $vgpr50
                                        ; implicit-def: $vgpr51
                                        ; implicit-def: $vgpr52
                                        ; implicit-def: $vgpr53
                                        ; implicit-def: $vgpr54
                                        ; implicit-def: $vgpr55
                                        ; implicit-def: $vgpr56
                                        ; implicit-def: $vgpr57
	s_cbranch_scc1 .LBB317_336
; %bb.335:                              ;   in Loop: Header=BB317_334 Depth=2
	v_add_nc_u64_e32 v[58:59], s[34:35], v[12:13]
	s_mov_b32 s10, 0
	s_clause 0x10
	global_load_u8 v57, v[58:59], off offset:4096
	global_load_u8 v56, v[58:59], off offset:3840
	;; [unrolled: 1-line block ×16, first 2 shown]
	global_load_u8 v24, v[58:59], off
.LBB317_336:                            ;   in Loop: Header=BB317_334 Depth=2
	s_and_not1_b32 vcc_lo, exec_lo, s10
	s_movk_i32 s10, 0x1100
	s_cbranch_vccnz .LBB317_356
; %bb.337:                              ;   in Loop: Header=BB317_334 Depth=2
	s_add_nc_u64 s[10:11], s[38:39], s[34:35]
	s_wait_loadcnt 0x0
	v_add_nc_u64_e32 v[24:25], s[10:11], v[2:3]
	s_mov_b32 s10, exec_lo
	s_wait_xcnt 0x0
	v_cmpx_gt_u32_e64 s8, v2
	s_cbranch_execnz .LBB317_390
; %bb.338:                              ;   in Loop: Header=BB317_334 Depth=2
	s_or_b32 exec_lo, exec_lo, s10
	s_delay_alu instid0(SALU_CYCLE_1)
	s_mov_b32 s10, exec_lo
	v_cmpx_gt_u32_e64 s8, v67
	s_cbranch_execnz .LBB317_391
.LBB317_339:                            ;   in Loop: Header=BB317_334 Depth=2
	s_or_b32 exec_lo, exec_lo, s10
	s_delay_alu instid0(SALU_CYCLE_1)
	s_mov_b32 s10, exec_lo
	v_cmpx_gt_u32_e64 s8, v68
	s_cbranch_execnz .LBB317_392
.LBB317_340:                            ;   in Loop: Header=BB317_334 Depth=2
	s_or_b32 exec_lo, exec_lo, s10
	s_delay_alu instid0(SALU_CYCLE_1)
	s_mov_b32 s10, exec_lo
	v_cmpx_gt_u32_e64 s8, v69
	s_cbranch_execnz .LBB317_393
.LBB317_341:                            ;   in Loop: Header=BB317_334 Depth=2
	s_or_b32 exec_lo, exec_lo, s10
	s_delay_alu instid0(SALU_CYCLE_1)
	s_mov_b32 s10, exec_lo
	v_cmpx_gt_u32_e64 s8, v70
	s_cbranch_execnz .LBB317_394
.LBB317_342:                            ;   in Loop: Header=BB317_334 Depth=2
	s_or_b32 exec_lo, exec_lo, s10
	s_delay_alu instid0(SALU_CYCLE_1)
	s_mov_b32 s10, exec_lo
	v_cmpx_gt_u32_e64 s8, v71
	s_cbranch_execnz .LBB317_395
.LBB317_343:                            ;   in Loop: Header=BB317_334 Depth=2
	s_or_b32 exec_lo, exec_lo, s10
	s_delay_alu instid0(SALU_CYCLE_1)
	s_mov_b32 s10, exec_lo
	v_cmpx_gt_u32_e64 s8, v72
	s_cbranch_execnz .LBB317_396
.LBB317_344:                            ;   in Loop: Header=BB317_334 Depth=2
	s_or_b32 exec_lo, exec_lo, s10
	s_delay_alu instid0(SALU_CYCLE_1)
	s_mov_b32 s10, exec_lo
	v_cmpx_gt_u32_e64 s8, v73
	s_cbranch_execnz .LBB317_397
.LBB317_345:                            ;   in Loop: Header=BB317_334 Depth=2
	s_or_b32 exec_lo, exec_lo, s10
	s_delay_alu instid0(SALU_CYCLE_1)
	s_mov_b32 s10, exec_lo
	v_cmpx_gt_u32_e64 s8, v74
	s_cbranch_execnz .LBB317_398
.LBB317_346:                            ;   in Loop: Header=BB317_334 Depth=2
	s_or_b32 exec_lo, exec_lo, s10
	s_delay_alu instid0(SALU_CYCLE_1)
	s_mov_b32 s10, exec_lo
	v_cmpx_gt_u32_e64 s8, v75
	s_cbranch_execnz .LBB317_399
.LBB317_347:                            ;   in Loop: Header=BB317_334 Depth=2
	s_or_b32 exec_lo, exec_lo, s10
	s_delay_alu instid0(SALU_CYCLE_1)
	s_mov_b32 s10, exec_lo
	v_cmpx_gt_u32_e64 s8, v76
	s_cbranch_execnz .LBB317_400
.LBB317_348:                            ;   in Loop: Header=BB317_334 Depth=2
	s_or_b32 exec_lo, exec_lo, s10
	s_delay_alu instid0(SALU_CYCLE_1)
	s_mov_b32 s10, exec_lo
	v_cmpx_gt_u32_e64 s8, v77
	s_cbranch_execnz .LBB317_401
.LBB317_349:                            ;   in Loop: Header=BB317_334 Depth=2
	s_or_b32 exec_lo, exec_lo, s10
	s_delay_alu instid0(SALU_CYCLE_1)
	s_mov_b32 s10, exec_lo
	v_cmpx_gt_u32_e64 s8, v78
	s_cbranch_execnz .LBB317_402
.LBB317_350:                            ;   in Loop: Header=BB317_334 Depth=2
	s_or_b32 exec_lo, exec_lo, s10
	s_delay_alu instid0(SALU_CYCLE_1)
	s_mov_b32 s10, exec_lo
	v_cmpx_gt_u32_e64 s8, v79
	s_cbranch_execnz .LBB317_403
.LBB317_351:                            ;   in Loop: Header=BB317_334 Depth=2
	s_or_b32 exec_lo, exec_lo, s10
	s_delay_alu instid0(SALU_CYCLE_1)
	s_mov_b32 s10, exec_lo
	v_cmpx_gt_u32_e64 s8, v80
	s_cbranch_execnz .LBB317_404
.LBB317_352:                            ;   in Loop: Header=BB317_334 Depth=2
	s_or_b32 exec_lo, exec_lo, s10
	s_delay_alu instid0(SALU_CYCLE_1)
	s_mov_b32 s10, exec_lo
	v_cmpx_gt_u32_e64 s8, v81
	s_cbranch_execnz .LBB317_405
.LBB317_353:                            ;   in Loop: Header=BB317_334 Depth=2
	s_or_b32 exec_lo, exec_lo, s10
	s_delay_alu instid0(SALU_CYCLE_1)
	s_mov_b32 s10, exec_lo
	v_cmpx_gt_u32_e64 s8, v82
	s_cbranch_execz .LBB317_355
.LBB317_354:                            ;   in Loop: Header=BB317_334 Depth=2
	global_load_u8 v26, v[24:25], off offset:4096
.LBB317_355:                            ;   in Loop: Header=BB317_334 Depth=2
	s_wait_xcnt 0x0
	s_or_b32 exec_lo, exec_lo, s10
	s_wait_loadcnt 0x0
	v_dual_mov_b32 v24, v39 :: v_dual_mov_b32 v25, v42
	v_dual_mov_b32 v43, v41 :: v_dual_mov_b32 v44, v40
	;; [unrolled: 1-line block ×8, first 2 shown]
	v_mov_b32_e32 v57, v26
	s_mov_b32 s10, s8
.LBB317_356:                            ;   in Loop: Header=BB317_334 Depth=2
	s_wait_loadcnt 0xf
	s_delay_alu instid0(VALU_DEP_1)
	v_dual_mov_b32 v26, v57 :: v_dual_mov_b32 v27, v56
	s_wait_loadcnt 0xd
	v_dual_mov_b32 v28, v55 :: v_dual_mov_b32 v29, v54
	s_wait_loadcnt 0xb
	;; [unrolled: 2-line block ×8, first 2 shown]
	v_mov_b32_e32 v39, v24
	s_mov_b32 s11, exec_lo
	s_wait_xcnt 0x0
	v_cmpx_gt_u32_e64 s10, v2
	s_cbranch_execnz .LBB317_373
; %bb.357:                              ;   in Loop: Header=BB317_334 Depth=2
	s_or_b32 exec_lo, exec_lo, s11
	s_delay_alu instid0(SALU_CYCLE_1)
	s_mov_b32 s11, exec_lo
	v_cmpx_gt_u32_e64 s10, v67
	s_cbranch_execnz .LBB317_374
.LBB317_358:                            ;   in Loop: Header=BB317_334 Depth=2
	s_or_b32 exec_lo, exec_lo, s11
	s_delay_alu instid0(SALU_CYCLE_1)
	s_mov_b32 s11, exec_lo
	v_cmpx_gt_u32_e64 s10, v68
	s_cbranch_execnz .LBB317_375
.LBB317_359:                            ;   in Loop: Header=BB317_334 Depth=2
	s_or_b32 exec_lo, exec_lo, s11
	s_delay_alu instid0(SALU_CYCLE_1)
	s_mov_b32 s11, exec_lo
	v_cmpx_gt_u32_e64 s10, v69
	s_cbranch_execnz .LBB317_376
.LBB317_360:                            ;   in Loop: Header=BB317_334 Depth=2
	s_or_b32 exec_lo, exec_lo, s11
	s_delay_alu instid0(SALU_CYCLE_1)
	s_mov_b32 s11, exec_lo
	v_cmpx_gt_u32_e64 s10, v70
	s_cbranch_execnz .LBB317_377
.LBB317_361:                            ;   in Loop: Header=BB317_334 Depth=2
	s_or_b32 exec_lo, exec_lo, s11
	s_delay_alu instid0(SALU_CYCLE_1)
	s_mov_b32 s11, exec_lo
	v_cmpx_gt_u32_e64 s10, v71
	s_cbranch_execnz .LBB317_378
.LBB317_362:                            ;   in Loop: Header=BB317_334 Depth=2
	s_or_b32 exec_lo, exec_lo, s11
	s_delay_alu instid0(SALU_CYCLE_1)
	s_mov_b32 s11, exec_lo
	v_cmpx_gt_u32_e64 s10, v72
	s_cbranch_execnz .LBB317_379
.LBB317_363:                            ;   in Loop: Header=BB317_334 Depth=2
	s_or_b32 exec_lo, exec_lo, s11
	s_delay_alu instid0(SALU_CYCLE_1)
	s_mov_b32 s11, exec_lo
	v_cmpx_gt_u32_e64 s10, v73
	s_cbranch_execnz .LBB317_380
.LBB317_364:                            ;   in Loop: Header=BB317_334 Depth=2
	s_or_b32 exec_lo, exec_lo, s11
	s_delay_alu instid0(SALU_CYCLE_1)
	s_mov_b32 s11, exec_lo
	v_cmpx_gt_u32_e64 s10, v74
	s_cbranch_execnz .LBB317_381
.LBB317_365:                            ;   in Loop: Header=BB317_334 Depth=2
	s_or_b32 exec_lo, exec_lo, s11
	s_delay_alu instid0(SALU_CYCLE_1)
	s_mov_b32 s11, exec_lo
	v_cmpx_gt_u32_e64 s10, v75
	s_cbranch_execnz .LBB317_382
.LBB317_366:                            ;   in Loop: Header=BB317_334 Depth=2
	s_or_b32 exec_lo, exec_lo, s11
	s_delay_alu instid0(SALU_CYCLE_1)
	s_mov_b32 s11, exec_lo
	v_cmpx_gt_u32_e64 s10, v76
	s_cbranch_execnz .LBB317_383
.LBB317_367:                            ;   in Loop: Header=BB317_334 Depth=2
	s_or_b32 exec_lo, exec_lo, s11
	s_delay_alu instid0(SALU_CYCLE_1)
	s_mov_b32 s11, exec_lo
	v_cmpx_gt_u32_e64 s10, v77
	s_cbranch_execnz .LBB317_384
.LBB317_368:                            ;   in Loop: Header=BB317_334 Depth=2
	s_or_b32 exec_lo, exec_lo, s11
	s_delay_alu instid0(SALU_CYCLE_1)
	s_mov_b32 s11, exec_lo
	v_cmpx_gt_u32_e64 s10, v78
	s_cbranch_execnz .LBB317_385
.LBB317_369:                            ;   in Loop: Header=BB317_334 Depth=2
	s_or_b32 exec_lo, exec_lo, s11
	s_delay_alu instid0(SALU_CYCLE_1)
	s_mov_b32 s11, exec_lo
	v_cmpx_gt_u32_e64 s10, v79
	s_cbranch_execnz .LBB317_386
.LBB317_370:                            ;   in Loop: Header=BB317_334 Depth=2
	s_or_b32 exec_lo, exec_lo, s11
	s_delay_alu instid0(SALU_CYCLE_1)
	s_mov_b32 s11, exec_lo
	v_cmpx_gt_u32_e64 s10, v80
	s_cbranch_execnz .LBB317_387
.LBB317_371:                            ;   in Loop: Header=BB317_334 Depth=2
	s_or_b32 exec_lo, exec_lo, s11
	s_delay_alu instid0(SALU_CYCLE_1)
	s_mov_b32 s11, exec_lo
	v_cmpx_gt_u32_e64 s10, v81
	s_cbranch_execnz .LBB317_388
.LBB317_372:                            ;   in Loop: Header=BB317_334 Depth=2
	s_or_b32 exec_lo, exec_lo, s11
	v_cmp_gt_u32_e32 vcc_lo, s10, v82
	s_and_saveexec_b32 s10, vcc_lo
	s_cbranch_execz .LBB317_333
	s_branch .LBB317_389
.LBB317_373:                            ;   in Loop: Header=BB317_334 Depth=2
	v_xor_b32_e32 v24, 0x7f, v39
	s_delay_alu instid0(VALU_DEP_1) | instskip(NEXT) | instid1(VALU_DEP_1)
	v_and_b32_e32 v24, 0xff, v24
	v_lshrrev_b32_e32 v24, s48, v24
	s_delay_alu instid0(VALU_DEP_1) | instskip(NEXT) | instid1(VALU_DEP_1)
	v_and_b32_e32 v24, s58, v24
	v_lshl_or_b32 v24, v24, 4, v84
	ds_add_u32 v24, v7
	s_or_b32 exec_lo, exec_lo, s11
	s_delay_alu instid0(SALU_CYCLE_1)
	s_mov_b32 s11, exec_lo
	v_cmpx_gt_u32_e64 s10, v67
	s_cbranch_execz .LBB317_358
.LBB317_374:                            ;   in Loop: Header=BB317_334 Depth=2
	v_xor_b32_e32 v24, 0x7f, v42
	s_delay_alu instid0(VALU_DEP_1) | instskip(NEXT) | instid1(VALU_DEP_1)
	v_and_b32_e32 v24, 0xff, v24
	v_lshrrev_b32_e32 v24, s48, v24
	s_delay_alu instid0(VALU_DEP_1) | instskip(NEXT) | instid1(VALU_DEP_1)
	v_and_b32_e32 v24, s58, v24
	v_lshl_or_b32 v24, v24, 4, v84
	ds_add_u32 v24, v7
	s_or_b32 exec_lo, exec_lo, s11
	s_delay_alu instid0(SALU_CYCLE_1)
	s_mov_b32 s11, exec_lo
	v_cmpx_gt_u32_e64 s10, v68
	s_cbranch_execz .LBB317_359
.LBB317_375:                            ;   in Loop: Header=BB317_334 Depth=2
	v_xor_b32_e32 v24, 0x7f, v41
	s_delay_alu instid0(VALU_DEP_1) | instskip(NEXT) | instid1(VALU_DEP_1)
	v_and_b32_e32 v24, 0xff, v24
	v_lshrrev_b32_e32 v24, s48, v24
	s_delay_alu instid0(VALU_DEP_1) | instskip(NEXT) | instid1(VALU_DEP_1)
	v_and_b32_e32 v24, s58, v24
	v_lshl_or_b32 v24, v24, 4, v84
	ds_add_u32 v24, v7
	s_or_b32 exec_lo, exec_lo, s11
	s_delay_alu instid0(SALU_CYCLE_1)
	s_mov_b32 s11, exec_lo
	v_cmpx_gt_u32_e64 s10, v69
	s_cbranch_execz .LBB317_360
.LBB317_376:                            ;   in Loop: Header=BB317_334 Depth=2
	v_xor_b32_e32 v24, 0x7f, v40
	s_delay_alu instid0(VALU_DEP_1) | instskip(NEXT) | instid1(VALU_DEP_1)
	v_and_b32_e32 v24, 0xff, v24
	v_lshrrev_b32_e32 v24, s48, v24
	s_delay_alu instid0(VALU_DEP_1) | instskip(NEXT) | instid1(VALU_DEP_1)
	v_and_b32_e32 v24, s58, v24
	v_lshl_or_b32 v24, v24, 4, v84
	ds_add_u32 v24, v7
	s_or_b32 exec_lo, exec_lo, s11
	s_delay_alu instid0(SALU_CYCLE_1)
	s_mov_b32 s11, exec_lo
	v_cmpx_gt_u32_e64 s10, v70
	s_cbranch_execz .LBB317_361
.LBB317_377:                            ;   in Loop: Header=BB317_334 Depth=2
	v_xor_b32_e32 v24, 0x7f, v38
	s_delay_alu instid0(VALU_DEP_1) | instskip(NEXT) | instid1(VALU_DEP_1)
	v_and_b32_e32 v24, 0xff, v24
	v_lshrrev_b32_e32 v24, s48, v24
	s_delay_alu instid0(VALU_DEP_1) | instskip(NEXT) | instid1(VALU_DEP_1)
	v_and_b32_e32 v24, s58, v24
	v_lshl_or_b32 v24, v24, 4, v84
	ds_add_u32 v24, v7
	s_or_b32 exec_lo, exec_lo, s11
	s_delay_alu instid0(SALU_CYCLE_1)
	s_mov_b32 s11, exec_lo
	v_cmpx_gt_u32_e64 s10, v71
	s_cbranch_execz .LBB317_362
.LBB317_378:                            ;   in Loop: Header=BB317_334 Depth=2
	v_xor_b32_e32 v24, 0x7f, v37
	s_delay_alu instid0(VALU_DEP_1) | instskip(NEXT) | instid1(VALU_DEP_1)
	v_and_b32_e32 v24, 0xff, v24
	v_lshrrev_b32_e32 v24, s48, v24
	s_delay_alu instid0(VALU_DEP_1) | instskip(NEXT) | instid1(VALU_DEP_1)
	v_and_b32_e32 v24, s58, v24
	v_lshl_or_b32 v24, v24, 4, v84
	ds_add_u32 v24, v7
	s_or_b32 exec_lo, exec_lo, s11
	s_delay_alu instid0(SALU_CYCLE_1)
	s_mov_b32 s11, exec_lo
	v_cmpx_gt_u32_e64 s10, v72
	s_cbranch_execz .LBB317_363
.LBB317_379:                            ;   in Loop: Header=BB317_334 Depth=2
	v_xor_b32_e32 v24, 0x7f, v36
	s_delay_alu instid0(VALU_DEP_1) | instskip(NEXT) | instid1(VALU_DEP_1)
	v_and_b32_e32 v24, 0xff, v24
	v_lshrrev_b32_e32 v24, s48, v24
	s_delay_alu instid0(VALU_DEP_1) | instskip(NEXT) | instid1(VALU_DEP_1)
	v_and_b32_e32 v24, s58, v24
	v_lshl_or_b32 v24, v24, 4, v84
	ds_add_u32 v24, v7
	s_or_b32 exec_lo, exec_lo, s11
	s_delay_alu instid0(SALU_CYCLE_1)
	s_mov_b32 s11, exec_lo
	v_cmpx_gt_u32_e64 s10, v73
	s_cbranch_execz .LBB317_364
.LBB317_380:                            ;   in Loop: Header=BB317_334 Depth=2
	v_xor_b32_e32 v24, 0x7f, v35
	s_delay_alu instid0(VALU_DEP_1) | instskip(NEXT) | instid1(VALU_DEP_1)
	v_and_b32_e32 v24, 0xff, v24
	v_lshrrev_b32_e32 v24, s48, v24
	s_delay_alu instid0(VALU_DEP_1) | instskip(NEXT) | instid1(VALU_DEP_1)
	v_and_b32_e32 v24, s58, v24
	v_lshl_or_b32 v24, v24, 4, v84
	ds_add_u32 v24, v7
	s_or_b32 exec_lo, exec_lo, s11
	s_delay_alu instid0(SALU_CYCLE_1)
	s_mov_b32 s11, exec_lo
	v_cmpx_gt_u32_e64 s10, v74
	s_cbranch_execz .LBB317_365
.LBB317_381:                            ;   in Loop: Header=BB317_334 Depth=2
	v_xor_b32_e32 v24, 0x7f, v34
	s_delay_alu instid0(VALU_DEP_1) | instskip(NEXT) | instid1(VALU_DEP_1)
	v_and_b32_e32 v24, 0xff, v24
	v_lshrrev_b32_e32 v24, s48, v24
	s_delay_alu instid0(VALU_DEP_1) | instskip(NEXT) | instid1(VALU_DEP_1)
	v_and_b32_e32 v24, s58, v24
	v_lshl_or_b32 v24, v24, 4, v84
	ds_add_u32 v24, v7
	s_or_b32 exec_lo, exec_lo, s11
	s_delay_alu instid0(SALU_CYCLE_1)
	s_mov_b32 s11, exec_lo
	v_cmpx_gt_u32_e64 s10, v75
	s_cbranch_execz .LBB317_366
.LBB317_382:                            ;   in Loop: Header=BB317_334 Depth=2
	v_xor_b32_e32 v24, 0x7f, v33
	s_delay_alu instid0(VALU_DEP_1) | instskip(NEXT) | instid1(VALU_DEP_1)
	v_and_b32_e32 v24, 0xff, v24
	v_lshrrev_b32_e32 v24, s48, v24
	s_delay_alu instid0(VALU_DEP_1) | instskip(NEXT) | instid1(VALU_DEP_1)
	v_and_b32_e32 v24, s58, v24
	v_lshl_or_b32 v24, v24, 4, v84
	ds_add_u32 v24, v7
	s_or_b32 exec_lo, exec_lo, s11
	s_delay_alu instid0(SALU_CYCLE_1)
	s_mov_b32 s11, exec_lo
	v_cmpx_gt_u32_e64 s10, v76
	s_cbranch_execz .LBB317_367
.LBB317_383:                            ;   in Loop: Header=BB317_334 Depth=2
	v_xor_b32_e32 v24, 0x7f, v32
	s_delay_alu instid0(VALU_DEP_1) | instskip(NEXT) | instid1(VALU_DEP_1)
	v_and_b32_e32 v24, 0xff, v24
	v_lshrrev_b32_e32 v24, s48, v24
	s_delay_alu instid0(VALU_DEP_1) | instskip(NEXT) | instid1(VALU_DEP_1)
	v_and_b32_e32 v24, s58, v24
	v_lshl_or_b32 v24, v24, 4, v84
	ds_add_u32 v24, v7
	s_or_b32 exec_lo, exec_lo, s11
	s_delay_alu instid0(SALU_CYCLE_1)
	s_mov_b32 s11, exec_lo
	v_cmpx_gt_u32_e64 s10, v77
	s_cbranch_execz .LBB317_368
.LBB317_384:                            ;   in Loop: Header=BB317_334 Depth=2
	v_xor_b32_e32 v24, 0x7f, v31
	s_delay_alu instid0(VALU_DEP_1) | instskip(NEXT) | instid1(VALU_DEP_1)
	v_and_b32_e32 v24, 0xff, v24
	v_lshrrev_b32_e32 v24, s48, v24
	s_delay_alu instid0(VALU_DEP_1) | instskip(NEXT) | instid1(VALU_DEP_1)
	v_and_b32_e32 v24, s58, v24
	v_lshl_or_b32 v24, v24, 4, v84
	ds_add_u32 v24, v7
	s_or_b32 exec_lo, exec_lo, s11
	s_delay_alu instid0(SALU_CYCLE_1)
	s_mov_b32 s11, exec_lo
	v_cmpx_gt_u32_e64 s10, v78
	s_cbranch_execz .LBB317_369
.LBB317_385:                            ;   in Loop: Header=BB317_334 Depth=2
	v_xor_b32_e32 v24, 0x7f, v30
	s_delay_alu instid0(VALU_DEP_1) | instskip(NEXT) | instid1(VALU_DEP_1)
	v_and_b32_e32 v24, 0xff, v24
	v_lshrrev_b32_e32 v24, s48, v24
	s_delay_alu instid0(VALU_DEP_1) | instskip(NEXT) | instid1(VALU_DEP_1)
	v_and_b32_e32 v24, s58, v24
	v_lshl_or_b32 v24, v24, 4, v84
	ds_add_u32 v24, v7
	s_or_b32 exec_lo, exec_lo, s11
	s_delay_alu instid0(SALU_CYCLE_1)
	s_mov_b32 s11, exec_lo
	v_cmpx_gt_u32_e64 s10, v79
	s_cbranch_execz .LBB317_370
.LBB317_386:                            ;   in Loop: Header=BB317_334 Depth=2
	v_xor_b32_e32 v24, 0x7f, v29
	s_delay_alu instid0(VALU_DEP_1) | instskip(NEXT) | instid1(VALU_DEP_1)
	v_and_b32_e32 v24, 0xff, v24
	v_lshrrev_b32_e32 v24, s48, v24
	s_delay_alu instid0(VALU_DEP_1) | instskip(NEXT) | instid1(VALU_DEP_1)
	v_and_b32_e32 v24, s58, v24
	v_lshl_or_b32 v24, v24, 4, v84
	ds_add_u32 v24, v7
	s_or_b32 exec_lo, exec_lo, s11
	s_delay_alu instid0(SALU_CYCLE_1)
	s_mov_b32 s11, exec_lo
	v_cmpx_gt_u32_e64 s10, v80
	s_cbranch_execz .LBB317_371
.LBB317_387:                            ;   in Loop: Header=BB317_334 Depth=2
	v_xor_b32_e32 v24, 0x7f, v28
	s_delay_alu instid0(VALU_DEP_1) | instskip(NEXT) | instid1(VALU_DEP_1)
	v_and_b32_e32 v24, 0xff, v24
	v_lshrrev_b32_e32 v24, s48, v24
	s_delay_alu instid0(VALU_DEP_1) | instskip(NEXT) | instid1(VALU_DEP_1)
	v_and_b32_e32 v24, s58, v24
	v_lshl_or_b32 v24, v24, 4, v84
	ds_add_u32 v24, v7
	s_or_b32 exec_lo, exec_lo, s11
	s_delay_alu instid0(SALU_CYCLE_1)
	s_mov_b32 s11, exec_lo
	v_cmpx_gt_u32_e64 s10, v81
	s_cbranch_execz .LBB317_372
.LBB317_388:                            ;   in Loop: Header=BB317_334 Depth=2
	v_xor_b32_e32 v24, 0x7f, v27
	s_delay_alu instid0(VALU_DEP_1) | instskip(NEXT) | instid1(VALU_DEP_1)
	v_and_b32_e32 v24, 0xff, v24
	v_lshrrev_b32_e32 v24, s48, v24
	s_delay_alu instid0(VALU_DEP_1) | instskip(NEXT) | instid1(VALU_DEP_1)
	v_and_b32_e32 v24, s58, v24
	v_lshl_or_b32 v24, v24, 4, v84
	ds_add_u32 v24, v7
	s_or_b32 exec_lo, exec_lo, s11
	v_cmp_gt_u32_e32 vcc_lo, s10, v82
	s_and_saveexec_b32 s10, vcc_lo
	s_cbranch_execz .LBB317_333
.LBB317_389:                            ;   in Loop: Header=BB317_334 Depth=2
	v_xor_b32_e32 v24, 0x7f, v26
	s_delay_alu instid0(VALU_DEP_1) | instskip(NEXT) | instid1(VALU_DEP_1)
	v_and_b32_e32 v24, 0xff, v24
	v_lshrrev_b32_e32 v24, s48, v24
	s_delay_alu instid0(VALU_DEP_1) | instskip(NEXT) | instid1(VALU_DEP_1)
	v_and_b32_e32 v24, s58, v24
	v_lshl_or_b32 v24, v24, 4, v84
	ds_add_u32 v24, v7
	s_branch .LBB317_333
.LBB317_390:                            ;   in Loop: Header=BB317_334 Depth=2
	global_load_u8 v39, v[24:25], off
	s_wait_xcnt 0x0
	s_or_b32 exec_lo, exec_lo, s10
	s_delay_alu instid0(SALU_CYCLE_1)
	s_mov_b32 s10, exec_lo
	v_cmpx_gt_u32_e64 s8, v67
	s_cbranch_execz .LBB317_339
.LBB317_391:                            ;   in Loop: Header=BB317_334 Depth=2
	global_load_u8 v42, v[24:25], off offset:256
	s_wait_xcnt 0x0
	s_or_b32 exec_lo, exec_lo, s10
	s_delay_alu instid0(SALU_CYCLE_1)
	s_mov_b32 s10, exec_lo
	v_cmpx_gt_u32_e64 s8, v68
	s_cbranch_execz .LBB317_340
.LBB317_392:                            ;   in Loop: Header=BB317_334 Depth=2
	global_load_u8 v41, v[24:25], off offset:512
	s_wait_xcnt 0x0
	s_or_b32 exec_lo, exec_lo, s10
	s_delay_alu instid0(SALU_CYCLE_1)
	s_mov_b32 s10, exec_lo
	v_cmpx_gt_u32_e64 s8, v69
	s_cbranch_execz .LBB317_341
.LBB317_393:                            ;   in Loop: Header=BB317_334 Depth=2
	global_load_u8 v40, v[24:25], off offset:768
	s_wait_xcnt 0x0
	s_or_b32 exec_lo, exec_lo, s10
	s_delay_alu instid0(SALU_CYCLE_1)
	s_mov_b32 s10, exec_lo
	v_cmpx_gt_u32_e64 s8, v70
	s_cbranch_execz .LBB317_342
.LBB317_394:                            ;   in Loop: Header=BB317_334 Depth=2
	global_load_u8 v38, v[24:25], off offset:1024
	s_wait_xcnt 0x0
	s_or_b32 exec_lo, exec_lo, s10
	s_delay_alu instid0(SALU_CYCLE_1)
	s_mov_b32 s10, exec_lo
	v_cmpx_gt_u32_e64 s8, v71
	s_cbranch_execz .LBB317_343
.LBB317_395:                            ;   in Loop: Header=BB317_334 Depth=2
	global_load_u8 v37, v[24:25], off offset:1280
	s_wait_xcnt 0x0
	s_or_b32 exec_lo, exec_lo, s10
	s_delay_alu instid0(SALU_CYCLE_1)
	s_mov_b32 s10, exec_lo
	v_cmpx_gt_u32_e64 s8, v72
	s_cbranch_execz .LBB317_344
.LBB317_396:                            ;   in Loop: Header=BB317_334 Depth=2
	global_load_u8 v36, v[24:25], off offset:1536
	s_wait_xcnt 0x0
	s_or_b32 exec_lo, exec_lo, s10
	s_delay_alu instid0(SALU_CYCLE_1)
	s_mov_b32 s10, exec_lo
	v_cmpx_gt_u32_e64 s8, v73
	s_cbranch_execz .LBB317_345
.LBB317_397:                            ;   in Loop: Header=BB317_334 Depth=2
	global_load_u8 v35, v[24:25], off offset:1792
	s_wait_xcnt 0x0
	s_or_b32 exec_lo, exec_lo, s10
	s_delay_alu instid0(SALU_CYCLE_1)
	s_mov_b32 s10, exec_lo
	v_cmpx_gt_u32_e64 s8, v74
	s_cbranch_execz .LBB317_346
.LBB317_398:                            ;   in Loop: Header=BB317_334 Depth=2
	global_load_u8 v34, v[24:25], off offset:2048
	s_wait_xcnt 0x0
	s_or_b32 exec_lo, exec_lo, s10
	s_delay_alu instid0(SALU_CYCLE_1)
	s_mov_b32 s10, exec_lo
	v_cmpx_gt_u32_e64 s8, v75
	s_cbranch_execz .LBB317_347
.LBB317_399:                            ;   in Loop: Header=BB317_334 Depth=2
	global_load_u8 v33, v[24:25], off offset:2304
	s_wait_xcnt 0x0
	s_or_b32 exec_lo, exec_lo, s10
	s_delay_alu instid0(SALU_CYCLE_1)
	s_mov_b32 s10, exec_lo
	v_cmpx_gt_u32_e64 s8, v76
	s_cbranch_execz .LBB317_348
.LBB317_400:                            ;   in Loop: Header=BB317_334 Depth=2
	global_load_u8 v32, v[24:25], off offset:2560
	s_wait_xcnt 0x0
	s_or_b32 exec_lo, exec_lo, s10
	s_delay_alu instid0(SALU_CYCLE_1)
	s_mov_b32 s10, exec_lo
	v_cmpx_gt_u32_e64 s8, v77
	s_cbranch_execz .LBB317_349
.LBB317_401:                            ;   in Loop: Header=BB317_334 Depth=2
	global_load_u8 v31, v[24:25], off offset:2816
	s_wait_xcnt 0x0
	s_or_b32 exec_lo, exec_lo, s10
	s_delay_alu instid0(SALU_CYCLE_1)
	s_mov_b32 s10, exec_lo
	v_cmpx_gt_u32_e64 s8, v78
	s_cbranch_execz .LBB317_350
.LBB317_402:                            ;   in Loop: Header=BB317_334 Depth=2
	global_load_u8 v30, v[24:25], off offset:3072
	s_wait_xcnt 0x0
	s_or_b32 exec_lo, exec_lo, s10
	s_delay_alu instid0(SALU_CYCLE_1)
	s_mov_b32 s10, exec_lo
	v_cmpx_gt_u32_e64 s8, v79
	s_cbranch_execz .LBB317_351
.LBB317_403:                            ;   in Loop: Header=BB317_334 Depth=2
	global_load_u8 v29, v[24:25], off offset:3328
	s_wait_xcnt 0x0
	s_or_b32 exec_lo, exec_lo, s10
	s_delay_alu instid0(SALU_CYCLE_1)
	s_mov_b32 s10, exec_lo
	v_cmpx_gt_u32_e64 s8, v80
	s_cbranch_execz .LBB317_352
.LBB317_404:                            ;   in Loop: Header=BB317_334 Depth=2
	global_load_u8 v28, v[24:25], off offset:3584
	s_wait_xcnt 0x0
	s_or_b32 exec_lo, exec_lo, s10
	s_delay_alu instid0(SALU_CYCLE_1)
	s_mov_b32 s10, exec_lo
	v_cmpx_gt_u32_e64 s8, v81
	s_cbranch_execz .LBB317_353
.LBB317_405:                            ;   in Loop: Header=BB317_334 Depth=2
	global_load_u8 v27, v[24:25], off offset:3840
	s_wait_xcnt 0x0
	s_or_b32 exec_lo, exec_lo, s10
	s_delay_alu instid0(SALU_CYCLE_1)
	s_mov_b32 s10, exec_lo
	v_cmpx_gt_u32_e64 s8, v82
	s_cbranch_execnz .LBB317_354
	s_branch .LBB317_355
.LBB317_406:                            ;   in Loop: Header=BB317_20 Depth=1
	v_mov_b32_e32 v24, 0
	s_wait_dscnt 0x0
	s_barrier_signal -1
	s_barrier_wait -1
	s_and_saveexec_b32 s8, s0
	s_cbranch_execz .LBB317_408
; %bb.407:                              ;   in Loop: Header=BB317_20 Depth=1
	ds_load_2addr_b64 v[24:27], v85 offset1:1
	s_wait_dscnt 0x0
	v_add_nc_u32_e32 v24, v25, v24
	s_delay_alu instid0(VALU_DEP_1)
	v_add3_u32 v24, v24, v26, v27
.LBB317_408:                            ;   in Loop: Header=BB317_20 Depth=1
	s_or_b32 exec_lo, exec_lo, s8
	v_and_b32_e32 v25, 15, v0
	s_delay_alu instid0(VALU_DEP_2) | instskip(SKIP_1) | instid1(VALU_DEP_3)
	v_mov_b32_dpp v26, v24 row_shr:1 row_mask:0xf bank_mask:0xf
	v_and_b32_e32 v27, 16, v0
	v_cmp_eq_u32_e64 s8, 0, v25
	v_cmp_lt_u32_e64 s9, 1, v25
	s_delay_alu instid0(VALU_DEP_3) | instskip(NEXT) | instid1(VALU_DEP_3)
	v_cmp_eq_u32_e64 s12, 0, v27
	v_cndmask_b32_e64 v26, v26, 0, s8
	s_delay_alu instid0(VALU_DEP_1) | instskip(NEXT) | instid1(VALU_DEP_1)
	v_add_nc_u32_e32 v24, v26, v24
	v_mov_b32_dpp v26, v24 row_shr:2 row_mask:0xf bank_mask:0xf
	s_delay_alu instid0(VALU_DEP_1) | instskip(SKIP_2) | instid1(VALU_DEP_3)
	v_cndmask_b32_e64 v26, 0, v26, s9
	v_cmp_lt_u32_e64 s11, 7, v25
	v_cmp_lt_u32_e64 s10, 3, v25
	v_add_nc_u32_e32 v24, v24, v26
	s_delay_alu instid0(VALU_DEP_1) | instskip(NEXT) | instid1(VALU_DEP_1)
	v_mov_b32_dpp v26, v24 row_shr:4 row_mask:0xf bank_mask:0xf
	v_cndmask_b32_e64 v26, 0, v26, s10
	s_delay_alu instid0(VALU_DEP_1) | instskip(NEXT) | instid1(VALU_DEP_1)
	v_add_nc_u32_e32 v24, v24, v26
	v_mov_b32_dpp v26, v24 row_shr:8 row_mask:0xf bank_mask:0xf
	s_delay_alu instid0(VALU_DEP_1) | instskip(SKIP_1) | instid1(VALU_DEP_2)
	v_cndmask_b32_e64 v25, 0, v26, s11
	v_bfe_i32 v26, v0, 4, 1
	v_add_nc_u32_e32 v24, v24, v25
	ds_swizzle_b32 v25, v24 offset:swizzle(BROADCAST,32,15)
	s_wait_dscnt 0x0
	v_and_b32_e32 v25, v26, v25
	s_delay_alu instid0(VALU_DEP_1)
	v_add_nc_u32_e32 v24, v24, v25
	s_and_saveexec_b32 s13, s1
; %bb.409:                              ;   in Loop: Header=BB317_20 Depth=1
	ds_store_b32 v86, v24
; %bb.410:                              ;   in Loop: Header=BB317_20 Depth=1
	s_or_b32 exec_lo, exec_lo, s13
	s_wait_dscnt 0x0
	s_barrier_signal -1
	s_barrier_wait -1
	s_and_saveexec_b32 s13, s4
	s_cbranch_execz .LBB317_412
; %bb.411:                              ;   in Loop: Header=BB317_20 Depth=1
	ds_load_b32 v25, v87
	s_wait_dscnt 0x0
	v_mov_b32_dpp v27, v25 row_shr:1 row_mask:0xf bank_mask:0xf
	v_and_b32_e32 v26, 3, v0
	s_delay_alu instid0(VALU_DEP_1) | instskip(NEXT) | instid1(VALU_DEP_3)
	v_cmp_ne_u32_e32 vcc_lo, 0, v26
	v_cndmask_b32_e32 v27, 0, v27, vcc_lo
	v_cmp_lt_u32_e32 vcc_lo, 1, v26
	s_delay_alu instid0(VALU_DEP_2) | instskip(NEXT) | instid1(VALU_DEP_1)
	v_add_nc_u32_e32 v25, v27, v25
	v_mov_b32_dpp v27, v25 row_shr:2 row_mask:0xf bank_mask:0xf
	s_delay_alu instid0(VALU_DEP_1) | instskip(NEXT) | instid1(VALU_DEP_1)
	v_cndmask_b32_e32 v26, 0, v27, vcc_lo
	v_add_nc_u32_e32 v25, v25, v26
	ds_store_b32 v87, v25
.LBB317_412:                            ;   in Loop: Header=BB317_20 Depth=1
	s_or_b32 exec_lo, exec_lo, s13
	v_mov_b32_e32 v25, 0
	s_wait_dscnt 0x0
	s_barrier_signal -1
	s_barrier_wait -1
	s_and_saveexec_b32 s13, s5
; %bb.413:                              ;   in Loop: Header=BB317_20 Depth=1
	ds_load_b32 v25, v88
; %bb.414:                              ;   in Loop: Header=BB317_20 Depth=1
	s_or_b32 exec_lo, exec_lo, s13
	v_sub_co_u32 v26, s13, v0, 1
	s_wait_dscnt 0x0
	s_barrier_signal -1
	s_barrier_wait -1
	s_delay_alu instid0(VALU_DEP_1) | instskip(SKIP_1) | instid1(VALU_DEP_1)
	v_cmp_gt_i32_e32 vcc_lo, 0, v26
	v_cndmask_b32_e32 v26, v26, v0, vcc_lo
	v_dual_add_nc_u32 v24, v25, v24 :: v_dual_lshlrev_b32 v96, 2, v26
	ds_bpermute_b32 v24, v96, v24
	s_and_saveexec_b32 s14, s0
	s_cbranch_execz .LBB317_416
; %bb.415:                              ;   in Loop: Header=BB317_20 Depth=1
	s_wait_dscnt 0x0
	v_cndmask_b32_e64 v24, v24, v25, s13
	s_delay_alu instid0(VALU_DEP_1)
	v_add_nc_u32_e32 v24, s55, v24
	ds_store_b32 v66, v24
.LBB317_416:                            ;   in Loop: Header=BB317_20 Depth=1
	s_or_b32 exec_lo, exec_lo, s14
	s_load_b64 s[14:15], s[52:53], 0x0
	v_dual_lshlrev_b32 v26, 3, v0 :: v_dual_bitop2_b32 v28, 7, v0 bitop3:0x40
	v_dual_mov_b32 v27, v1 :: v_dual_bitop2_b32 v97, v0, v6 bitop3:0x54
	s_wait_dscnt 0x0
	v_add_nc_u64_e32 v[24:25], v[16:17], v[0:1]
	v_mov_b32_e32 v115, 0
	s_mov_b32 s59, s57
	v_add_nc_u64_e32 v[26:27], v[14:15], v[26:27]
	v_dual_add_nc_u32 v98, 32, v97 :: v_dual_add_nc_u32 v99, 64, v97
	v_add_nc_u32_e32 v100, 0x60, v97
	v_add_nc_u32_e32 v101, 0x80, v97
	;; [unrolled: 1-line block ×9, first 2 shown]
	s_wait_kmcnt 0x0
	s_cmp_lt_u32 s51, s14
	v_add_nc_u32_e32 v109, 0x180, v97
	s_cselect_b32 s34, 12, 18
	s_cmp_lt_u32 s42, s15
	s_mov_b32 s15, s35
	s_cselect_b32 s14, 14, 20
	v_add_nc_u32_e32 v110, 0x1a0, v97
	s_add_nc_u64 s[14:15], s[52:53], s[14:15]
	v_add_nc_u32_e32 v111, 0x1c0, v97
	s_load_u16 s16, s[14:15], 0x0
	s_wait_xcnt 0x0
	s_add_nc_u64 s[14:15], s[52:53], s[34:35]
	v_add_nc_u32_e32 v112, 0x1e0, v97
	s_load_u16 s17, s[14:15], 0x0
	s_wait_xcnt 0x0
	v_cmp_eq_u32_e64 s14, 0, v28
	v_cmp_lt_u32_e64 s15, 1, v28
	v_add_nc_u32_e32 v113, 0x200, v97
	s_mov_b32 s34, s55
                                        ; implicit-def: $vgpr30_vgpr31
                                        ; implicit-def: $vgpr32_vgpr33
                                        ; implicit-def: $vgpr34_vgpr35
                                        ; implicit-def: $vgpr36_vgpr37
                                        ; implicit-def: $vgpr38_vgpr39
                                        ; implicit-def: $vgpr40_vgpr41
                                        ; implicit-def: $vgpr42_vgpr43
                                        ; implicit-def: $vgpr44_vgpr45
                                        ; implicit-def: $vgpr46_vgpr47
                                        ; implicit-def: $vgpr48_vgpr49
                                        ; implicit-def: $vgpr50_vgpr51
                                        ; implicit-def: $vgpr52_vgpr53
                                        ; implicit-def: $vgpr54_vgpr55
                                        ; implicit-def: $vgpr56_vgpr57
                                        ; implicit-def: $vgpr58_vgpr59
                                        ; implicit-def: $vgpr60_vgpr61
                                        ; implicit-def: $vgpr116
                                        ; implicit-def: $vgpr117
                                        ; implicit-def: $vgpr118
                                        ; implicit-def: $vgpr119
                                        ; implicit-def: $vgpr120
                                        ; implicit-def: $vgpr121
                                        ; implicit-def: $vgpr122
                                        ; implicit-def: $vgpr123
                                        ; implicit-def: $vgpr124
                                        ; implicit-def: $vgpr125
                                        ; implicit-def: $vgpr126
                                        ; implicit-def: $vgpr127
                                        ; implicit-def: $vgpr128
                                        ; implicit-def: $vgpr129
                                        ; implicit-def: $vgpr130
                                        ; implicit-def: $vgpr131
                                        ; implicit-def: $vgpr132
                                        ; implicit-def: $vgpr133
                                        ; implicit-def: $vgpr134
	s_wait_kmcnt 0x0
	v_mad_u32_u24 v29, v89, s16, v91
	v_cmp_lt_u32_e64 s16, 3, v28
	s_delay_alu instid0(VALU_DEP_2) | instskip(NEXT) | instid1(VALU_DEP_1)
	v_mad_u32 v28, v29, s17, v2
	v_lshrrev_b32_e32 v28, 3, v28
	s_delay_alu instid0(VALU_DEP_1)
	v_and_b32_e32 v114, 0x1ffffffc, v28
                                        ; implicit-def: $vgpr28_vgpr29
	s_branch .LBB317_418
.LBB317_417:                            ;   in Loop: Header=BB317_418 Depth=2
	s_or_b32 exec_lo, exec_lo, s17
	s_addk_co_i32 s59, 0xef00
	s_cmp_lt_u32 s60, s54
	s_mov_b32 s34, s60
	s_cbranch_scc0 .LBB317_640
.LBB317_418:                            ;   Parent Loop BB317_20 Depth=1
                                        ; =>  This Inner Loop Header: Depth=2
	s_add_co_i32 s60, s34, 0x1100
	s_delay_alu instid0(SALU_CYCLE_1)
	s_cmp_gt_u32 s60, s54
	s_cbranch_scc1 .LBB317_420
; %bb.419:                              ;   in Loop: Header=BB317_418 Depth=2
	v_add_nc_u64_e32 v[62:63], s[34:35], v[24:25]
	s_mov_b32 s17, -1
	s_clause 0xf
	global_load_u8 v135, v[62:63], off offset:480
	global_load_u8 v65, v[62:63], off offset:448
	;; [unrolled: 1-line block ×15, first 2 shown]
	global_load_u8 v147, v[62:63], off
	s_movk_i32 s18, 0x1100
	s_cbranch_execz .LBB317_421
	s_branch .LBB317_439
.LBB317_420:                            ;   in Loop: Header=BB317_418 Depth=2
	s_mov_b32 s17, 0
                                        ; implicit-def: $vgpr147
                                        ; implicit-def: $vgpr150
                                        ; implicit-def: $vgpr148
                                        ; implicit-def: $vgpr151
                                        ; implicit-def: $vgpr142
                                        ; implicit-def: $vgpr145
                                        ; implicit-def: $vgpr143
                                        ; implicit-def: $vgpr144
                                        ; implicit-def: $vgpr138
                                        ; implicit-def: $vgpr141
                                        ; implicit-def: $vgpr139
                                        ; implicit-def: $vgpr140
                                        ; implicit-def: $vgpr64
                                        ; implicit-def: $vgpr136
                                        ; implicit-def: $vgpr65
                                        ; implicit-def: $vgpr135
                                        ; implicit-def: $vgpr115
	s_movk_i32 s18, 0x1100
.LBB317_421:                            ;   in Loop: Header=BB317_418 Depth=2
	s_wait_xcnt 0x0
	v_add_nc_u64_e32 v[62:63], s[34:35], v[24:25]
	s_wait_loadcnt 0x1
	v_dual_mov_b32 v115, 0x80 :: v_dual_mov_b32 v150, 0x80
	s_wait_loadcnt 0x0
	v_dual_mov_b32 v147, 0x80 :: v_dual_mov_b32 v148, 0x80
	v_dual_mov_b32 v151, 0x80 :: v_dual_mov_b32 v142, 0x80
	;; [unrolled: 1-line block ×7, first 2 shown]
	v_mov_b32_e32 v135, 0x80
	s_mov_b32 s17, exec_lo
	v_cmpx_gt_u32_e64 s59, v97
	s_cbranch_execnz .LBB317_625
; %bb.422:                              ;   in Loop: Header=BB317_418 Depth=2
	s_or_b32 exec_lo, exec_lo, s17
	s_delay_alu instid0(SALU_CYCLE_1)
	s_mov_b32 s17, exec_lo
	v_cmpx_gt_u32_e64 s59, v98
	s_cbranch_execnz .LBB317_626
.LBB317_423:                            ;   in Loop: Header=BB317_418 Depth=2
	s_or_b32 exec_lo, exec_lo, s17
	s_delay_alu instid0(SALU_CYCLE_1)
	s_mov_b32 s17, exec_lo
	v_cmpx_gt_u32_e64 s59, v99
	s_cbranch_execnz .LBB317_627
.LBB317_424:                            ;   in Loop: Header=BB317_418 Depth=2
	s_or_b32 exec_lo, exec_lo, s17
	s_delay_alu instid0(SALU_CYCLE_1)
	s_mov_b32 s17, exec_lo
	v_cmpx_gt_u32_e64 s59, v100
	s_cbranch_execnz .LBB317_628
.LBB317_425:                            ;   in Loop: Header=BB317_418 Depth=2
	s_or_b32 exec_lo, exec_lo, s17
	s_delay_alu instid0(SALU_CYCLE_1)
	s_mov_b32 s17, exec_lo
	v_cmpx_gt_u32_e64 s59, v101
	s_cbranch_execnz .LBB317_629
.LBB317_426:                            ;   in Loop: Header=BB317_418 Depth=2
	s_or_b32 exec_lo, exec_lo, s17
	s_delay_alu instid0(SALU_CYCLE_1)
	s_mov_b32 s17, exec_lo
	v_cmpx_gt_u32_e64 s59, v102
	s_cbranch_execnz .LBB317_630
.LBB317_427:                            ;   in Loop: Header=BB317_418 Depth=2
	s_or_b32 exec_lo, exec_lo, s17
	s_delay_alu instid0(SALU_CYCLE_1)
	s_mov_b32 s17, exec_lo
	v_cmpx_gt_u32_e64 s59, v103
	s_cbranch_execnz .LBB317_631
.LBB317_428:                            ;   in Loop: Header=BB317_418 Depth=2
	s_or_b32 exec_lo, exec_lo, s17
	s_delay_alu instid0(SALU_CYCLE_1)
	s_mov_b32 s17, exec_lo
	v_cmpx_gt_u32_e64 s59, v104
	s_cbranch_execnz .LBB317_632
.LBB317_429:                            ;   in Loop: Header=BB317_418 Depth=2
	s_or_b32 exec_lo, exec_lo, s17
	s_delay_alu instid0(SALU_CYCLE_1)
	s_mov_b32 s17, exec_lo
	v_cmpx_gt_u32_e64 s59, v105
	s_cbranch_execnz .LBB317_633
.LBB317_430:                            ;   in Loop: Header=BB317_418 Depth=2
	s_or_b32 exec_lo, exec_lo, s17
	s_delay_alu instid0(SALU_CYCLE_1)
	s_mov_b32 s17, exec_lo
	v_cmpx_gt_u32_e64 s59, v106
	s_cbranch_execnz .LBB317_634
.LBB317_431:                            ;   in Loop: Header=BB317_418 Depth=2
	s_or_b32 exec_lo, exec_lo, s17
	s_delay_alu instid0(SALU_CYCLE_1)
	s_mov_b32 s17, exec_lo
	v_cmpx_gt_u32_e64 s59, v107
	s_cbranch_execnz .LBB317_635
.LBB317_432:                            ;   in Loop: Header=BB317_418 Depth=2
	s_or_b32 exec_lo, exec_lo, s17
	s_delay_alu instid0(SALU_CYCLE_1)
	s_mov_b32 s17, exec_lo
	v_cmpx_gt_u32_e64 s59, v108
	s_cbranch_execnz .LBB317_636
.LBB317_433:                            ;   in Loop: Header=BB317_418 Depth=2
	s_or_b32 exec_lo, exec_lo, s17
	s_delay_alu instid0(SALU_CYCLE_1)
	s_mov_b32 s17, exec_lo
	v_cmpx_gt_u32_e64 s59, v109
	s_cbranch_execnz .LBB317_637
.LBB317_434:                            ;   in Loop: Header=BB317_418 Depth=2
	s_or_b32 exec_lo, exec_lo, s17
	s_delay_alu instid0(SALU_CYCLE_1)
	s_mov_b32 s17, exec_lo
	v_cmpx_gt_u32_e64 s59, v110
	s_cbranch_execnz .LBB317_638
.LBB317_435:                            ;   in Loop: Header=BB317_418 Depth=2
	s_or_b32 exec_lo, exec_lo, s17
	s_delay_alu instid0(SALU_CYCLE_1)
	s_mov_b32 s17, exec_lo
	v_cmpx_gt_u32_e64 s59, v111
	s_cbranch_execnz .LBB317_639
.LBB317_436:                            ;   in Loop: Header=BB317_418 Depth=2
	s_or_b32 exec_lo, exec_lo, s17
	s_delay_alu instid0(SALU_CYCLE_1)
	s_mov_b32 s17, exec_lo
	v_cmpx_gt_u32_e64 s59, v112
	s_cbranch_execz .LBB317_438
.LBB317_437:                            ;   in Loop: Header=BB317_418 Depth=2
	global_load_u8 v135, v[62:63], off offset:480
.LBB317_438:                            ;   in Loop: Header=BB317_418 Depth=2
	s_wait_xcnt 0x0
	s_or_b32 exec_lo, exec_lo, s17
	v_cmp_gt_u32_e64 s17, s59, v113
	s_sub_co_i32 s18, s54, s34
.LBB317_439:                            ;   in Loop: Header=BB317_418 Depth=2
	v_mov_b32_e32 v137, s59
	s_wait_xcnt 0x0
	s_and_saveexec_b32 s19, s17
	s_cbranch_execz .LBB317_441
; %bb.440:                              ;   in Loop: Header=BB317_418 Depth=2
	v_add_nc_u64_e32 v[62:63], s[34:35], v[24:25]
	v_mov_b32_e32 v137, s18
	global_load_u8 v115, v[62:63], off offset:512
.LBB317_441:                            ;   in Loop: Header=BB317_418 Depth=2
	s_wait_xcnt 0x0
	s_or_b32 exec_lo, exec_lo, s19
	s_wait_loadcnt 0x0
	v_bitop3_b16 v62, v147, s43, 0x7f bitop3:0x48
	ds_store_2addr_b32 v90, v1, v1 offset0:136 offset1:137
	ds_store_2addr_b32 v90, v1, v1 offset0:138 offset1:139
	ds_store_b32 v90, v1 offset:560
	s_wait_dscnt 0x0
	s_barrier_signal -1
	s_barrier_wait -1
	v_and_b32_e32 v62, 0xffff, v62
	; wave barrier
	s_delay_alu instid0(VALU_DEP_1) | instskip(NEXT) | instid1(VALU_DEP_1)
	v_lshrrev_b32_e32 v62, s48, v62
	v_and_b32_e32 v149, s58, v62
	s_delay_alu instid0(VALU_DEP_1) | instskip(SKIP_1) | instid1(VALU_DEP_1)
	v_lshlrev_b32_e32 v146, 30, v149
	v_bitop3_b32 v63, v62, 1, s58 bitop3:0x80
	v_add_co_u32 v62, s17, v63, -1
	s_delay_alu instid0(VALU_DEP_1) | instskip(NEXT) | instid1(VALU_DEP_4)
	v_cndmask_b32_e64 v63, 0, 1, s17
	v_cmp_gt_i32_e64 s17, 0, v146
	s_delay_alu instid0(VALU_DEP_2) | instskip(SKIP_2) | instid1(VALU_DEP_2)
	v_cmp_ne_u32_e32 vcc_lo, 0, v63
	v_not_b32_e32 v63, v146
	v_bitop3_b32 v62, vcc_lo, exec_lo, v62 bitop3:0x48
	v_dual_ashrrev_i32 v63, 31, v63 :: v_dual_lshlrev_b32 v152, 29, v149
	v_dual_lshlrev_b32 v153, 28, v149 :: v_dual_lshlrev_b32 v154, 27, v149
	v_lshlrev_b32_e32 v155, 26, v149
	s_delay_alu instid0(VALU_DEP_3)
	v_not_b32_e32 v146, v152
	v_lshlrev_b32_e32 v156, 25, v149
	v_cmp_gt_i32_e64 s18, 0, v152
	v_cmp_gt_i32_e64 s19, 0, v153
	v_not_b32_e32 v152, v153
	v_not_b32_e32 v153, v154
	v_ashrrev_i32_e32 v146, 31, v146
	v_cmp_gt_i32_e64 s20, 0, v154
	v_cmp_gt_i32_e64 s21, 0, v155
	v_not_b32_e32 v154, v155
	v_not_b32_e32 v155, v156
	v_dual_ashrrev_i32 v152, 31, v152 :: v_dual_ashrrev_i32 v153, 31, v153
	s_delay_alu instid0(VALU_DEP_3) | instskip(NEXT) | instid1(VALU_DEP_3)
	v_dual_ashrrev_i32 v154, 31, v154 :: v_dual_bitop2_b32 v63, s17, v63 bitop3:0x14
	v_dual_ashrrev_i32 v155, 31, v155 :: v_dual_bitop2_b32 v146, s18, v146 bitop3:0x14
	v_cmp_gt_i32_e64 s22, 0, v156
	s_delay_alu instid0(VALU_DEP_4) | instskip(SKIP_1) | instid1(VALU_DEP_4)
	v_xor_b32_e32 v152, s19, v152
	v_xor_b32_e32 v153, s20, v153
	v_bitop3_b32 v62, v62, v146, v63 bitop3:0x80
	v_xor_b32_e32 v63, s21, v154
	v_xor_b32_e32 v146, s22, v155
	s_delay_alu instid0(VALU_DEP_3) | instskip(NEXT) | instid1(VALU_DEP_1)
	v_bitop3_b32 v62, v62, v153, v152 bitop3:0x80
	v_bitop3_b32 v62, v62, v146, v63 bitop3:0x80
	v_mul_u32_u24_e32 v63, 36, v149
	s_delay_alu instid0(VALU_DEP_2) | instskip(SKIP_1) | instid1(VALU_DEP_3)
	v_mbcnt_lo_u32_b32 v146, v62, 0
	v_cmp_ne_u32_e64 s17, 0, v62
	v_add_nc_u32_e32 v149, v114, v63
	s_delay_alu instid0(VALU_DEP_3) | instskip(SKIP_1) | instid1(SALU_CYCLE_1)
	v_cmp_eq_u32_e32 vcc_lo, 0, v146
	s_and_b32 s18, s17, vcc_lo
	s_and_saveexec_b32 s17, s18
; %bb.442:                              ;   in Loop: Header=BB317_418 Depth=2
	v_bcnt_u32_b32 v62, v62, 0
	ds_store_b32 v149, v62 offset:544
; %bb.443:                              ;   in Loop: Header=BB317_418 Depth=2
	s_or_b32 exec_lo, exec_lo, s17
	v_xor_b32_e32 v62, 0x7f, v150
	v_xor_b32_e32 v63, 0x7f, v151
	;; [unrolled: 1-line block ×4, first 2 shown]
	s_delay_alu instid0(VALU_DEP_4) | instskip(NEXT) | instid1(VALU_DEP_4)
	v_lshlrev_b16 v62, 8, v62
	v_lshlrev_b16 v63, 8, v63
	; wave barrier
	s_delay_alu instid0(VALU_DEP_2) | instskip(NEXT) | instid1(VALU_DEP_2)
	v_bitop3_b16 v147, v147, v62, 0xff bitop3:0xec
	v_bitop3_b16 v62, v148, v63, 0xff bitop3:0xec
	s_delay_alu instid0(VALU_DEP_2) | instskip(NEXT) | instid1(VALU_DEP_2)
	v_and_b32_e32 v63, 0xffff, v147
	v_lshlrev_b32_e32 v62, 16, v62
	s_delay_alu instid0(VALU_DEP_1) | instskip(NEXT) | instid1(VALU_DEP_1)
	v_or_b32_e32 v148, v63, v62
	v_bfe_u32 v62, v148, 8, 8
	s_delay_alu instid0(VALU_DEP_1) | instskip(NEXT) | instid1(VALU_DEP_1)
	v_lshrrev_b32_e32 v62, s48, v62
	v_bitop3_b32 v63, v62, 1, s58 bitop3:0x80
	v_and_b32_e32 v152, s58, v62
	s_delay_alu instid0(VALU_DEP_2) | instskip(NEXT) | instid1(VALU_DEP_1)
	v_add_co_u32 v62, s17, v63, -1
	v_cndmask_b32_e64 v63, 0, 1, s17
	s_delay_alu instid0(VALU_DEP_3) | instskip(NEXT) | instid1(VALU_DEP_2)
	v_lshlrev_b32_e32 v150, 30, v152
	v_cmp_ne_u32_e32 vcc_lo, 0, v63
	s_delay_alu instid0(VALU_DEP_2) | instskip(SKIP_2) | instid1(VALU_DEP_3)
	v_not_b32_e32 v63, v150
	v_cmp_gt_i32_e64 s17, 0, v150
	v_bitop3_b32 v62, vcc_lo, exec_lo, v62 bitop3:0x48
	v_dual_ashrrev_i32 v63, 31, v63 :: v_dual_lshlrev_b32 v151, 29, v152
	v_dual_lshlrev_b32 v153, 28, v152 :: v_dual_lshlrev_b32 v154, 27, v152
	v_lshlrev_b32_e32 v155, 26, v152
	s_delay_alu instid0(VALU_DEP_3)
	v_not_b32_e32 v150, v151
	v_lshlrev_b32_e32 v156, 25, v152
	v_cmp_gt_i32_e64 s18, 0, v151
	v_cmp_gt_i32_e64 s19, 0, v153
	v_not_b32_e32 v151, v153
	v_ashrrev_i32_e32 v150, 31, v150
	v_cmp_gt_i32_e64 s20, 0, v154
	v_not_b32_e32 v153, v154
	v_cmp_gt_i32_e64 s21, 0, v155
	v_not_b32_e32 v154, v155
	v_not_b32_e32 v155, v156
	v_xor_b32_e32 v63, s17, v63
	v_dual_ashrrev_i32 v151, 31, v151 :: v_dual_bitop2_b32 v150, s18, v150 bitop3:0x14
	s_delay_alu instid0(VALU_DEP_4) | instskip(NEXT) | instid1(VALU_DEP_4)
	v_dual_ashrrev_i32 v153, 31, v153 :: v_dual_ashrrev_i32 v154, 31, v154
	v_ashrrev_i32_e32 v155, 31, v155
	s_delay_alu instid0(VALU_DEP_3)
	v_bitop3_b32 v62, v62, v150, v63 bitop3:0x80
	v_mad_u32_u24 v63, v152, 36, v114
	v_cmp_gt_i32_e64 s22, 0, v156
	v_xor_b32_e32 v151, s19, v151
	v_xor_b32_e32 v154, s21, v154
	ds_load_b32 v150, v63 offset:544
	v_mul_u32_u24_e32 v63, 36, v152
	v_xor_b32_e32 v153, s20, v153
	v_xor_b32_e32 v155, s22, v155
	; wave barrier
	s_delay_alu instid0(VALU_DEP_3) | instskip(NEXT) | instid1(VALU_DEP_3)
	v_add_nc_u32_e32 v152, v114, v63
	v_bitop3_b32 v62, v62, v153, v151 bitop3:0x80
	s_delay_alu instid0(VALU_DEP_1) | instskip(NEXT) | instid1(VALU_DEP_1)
	v_bitop3_b32 v62, v62, v155, v154 bitop3:0x80
	v_mbcnt_lo_u32_b32 v151, v62, 0
	v_cmp_ne_u32_e64 s17, 0, v62
	s_delay_alu instid0(VALU_DEP_2) | instskip(SKIP_1) | instid1(SALU_CYCLE_1)
	v_cmp_eq_u32_e32 vcc_lo, 0, v151
	s_and_b32 s18, s17, vcc_lo
	s_and_saveexec_b32 s17, s18
	s_cbranch_execz .LBB317_445
; %bb.444:                              ;   in Loop: Header=BB317_418 Depth=2
	s_wait_dscnt 0x0
	v_bcnt_u32_b32 v62, v62, v150
	ds_store_b32 v152, v62 offset:544
.LBB317_445:                            ;   in Loop: Header=BB317_418 Depth=2
	s_or_b32 exec_lo, exec_lo, s17
	v_bfe_u32 v62, v148, 16, 8
	; wave barrier
	s_delay_alu instid0(VALU_DEP_1) | instskip(NEXT) | instid1(VALU_DEP_1)
	v_lshrrev_b32_e32 v62, s48, v62
	v_and_b32_e32 v155, s58, v62
	s_delay_alu instid0(VALU_DEP_1) | instskip(SKIP_1) | instid1(VALU_DEP_1)
	v_lshlrev_b32_e32 v153, 30, v155
	v_bitop3_b32 v63, v62, 1, s58 bitop3:0x80
	v_add_co_u32 v62, s17, v63, -1
	s_delay_alu instid0(VALU_DEP_1) | instskip(NEXT) | instid1(VALU_DEP_4)
	v_cndmask_b32_e64 v63, 0, 1, s17
	v_cmp_gt_i32_e64 s17, 0, v153
	s_delay_alu instid0(VALU_DEP_2) | instskip(SKIP_2) | instid1(VALU_DEP_2)
	v_cmp_ne_u32_e32 vcc_lo, 0, v63
	v_not_b32_e32 v63, v153
	v_bitop3_b32 v62, vcc_lo, exec_lo, v62 bitop3:0x48
	v_ashrrev_i32_e32 v63, 31, v63
	v_dual_lshlrev_b32 v154, 29, v155 :: v_dual_lshlrev_b32 v156, 28, v155
	v_dual_lshlrev_b32 v157, 27, v155 :: v_dual_lshlrev_b32 v158, 26, v155
	s_delay_alu instid0(VALU_DEP_2)
	v_not_b32_e32 v153, v154
	v_lshlrev_b32_e32 v159, 25, v155
	v_cmp_gt_i32_e64 s18, 0, v154
	v_cmp_gt_i32_e64 s19, 0, v156
	v_not_b32_e32 v154, v156
	v_not_b32_e32 v156, v157
	v_ashrrev_i32_e32 v153, 31, v153
	v_cmp_gt_i32_e64 s20, 0, v157
	v_cmp_gt_i32_e64 s21, 0, v158
	v_not_b32_e32 v157, v158
	v_dual_ashrrev_i32 v154, 31, v154 :: v_dual_ashrrev_i32 v156, 31, v156
	v_xor_b32_e32 v63, s17, v63
	v_not_b32_e32 v158, v159
	v_xor_b32_e32 v153, s18, v153
	s_delay_alu instid0(VALU_DEP_4) | instskip(SKIP_2) | instid1(VALU_DEP_4)
	v_dual_ashrrev_i32 v157, 31, v157 :: v_dual_bitop2_b32 v154, s19, v154 bitop3:0x14
	v_xor_b32_e32 v156, s20, v156
	v_cmp_gt_i32_e32 vcc_lo, 0, v159
	v_bitop3_b32 v62, v62, v153, v63 bitop3:0x80
	v_ashrrev_i32_e32 v63, 31, v158
	v_mad_u32_u24 v153, v155, 36, v114
	v_xor_b32_e32 v157, s21, v157
	s_delay_alu instid0(VALU_DEP_4) | instskip(NEXT) | instid1(VALU_DEP_4)
	v_bitop3_b32 v62, v62, v156, v154 bitop3:0x80
	v_xor_b32_e32 v63, vcc_lo, v63
	ds_load_b32 v153, v153 offset:544
	; wave barrier
	v_bitop3_b32 v62, v62, v63, v157 bitop3:0x80
	v_mul_u32_u24_e32 v63, 36, v155
	s_delay_alu instid0(VALU_DEP_2) | instskip(SKIP_1) | instid1(VALU_DEP_3)
	v_mbcnt_lo_u32_b32 v154, v62, 0
	v_cmp_ne_u32_e64 s17, 0, v62
	v_add_nc_u32_e32 v156, v114, v63
	s_delay_alu instid0(VALU_DEP_3) | instskip(SKIP_1) | instid1(SALU_CYCLE_1)
	v_cmp_eq_u32_e32 vcc_lo, 0, v154
	s_and_b32 s18, s17, vcc_lo
	s_and_saveexec_b32 s17, s18
	s_cbranch_execz .LBB317_447
; %bb.446:                              ;   in Loop: Header=BB317_418 Depth=2
	s_wait_dscnt 0x0
	v_bcnt_u32_b32 v62, v62, v153
	ds_store_b32 v156, v62 offset:544
.LBB317_447:                            ;   in Loop: Header=BB317_418 Depth=2
	s_or_b32 exec_lo, exec_lo, s17
	v_lshrrev_b32_e32 v155, 24, v148
	; wave barrier
	s_delay_alu instid0(VALU_DEP_1) | instskip(NEXT) | instid1(VALU_DEP_1)
	v_lshrrev_b32_e32 v62, s48, v155
	v_bitop3_b32 v63, v62, 1, s58 bitop3:0x80
	v_and_b32_e32 v159, s58, v62
	s_delay_alu instid0(VALU_DEP_2) | instskip(NEXT) | instid1(VALU_DEP_1)
	v_add_co_u32 v62, s17, v63, -1
	v_cndmask_b32_e64 v63, 0, 1, s17
	s_delay_alu instid0(VALU_DEP_3) | instskip(SKIP_1) | instid1(VALU_DEP_3)
	v_dual_lshlrev_b32 v157, 30, v159 :: v_dual_lshlrev_b32 v158, 29, v159
	v_dual_lshlrev_b32 v160, 28, v159 :: v_dual_lshlrev_b32 v161, 27, v159
	v_cmp_ne_u32_e32 vcc_lo, 0, v63
	s_delay_alu instid0(VALU_DEP_3)
	v_cmp_gt_i32_e64 s17, 0, v157
	v_not_b32_e32 v63, v157
	v_not_b32_e32 v157, v158
	v_dual_lshlrev_b32 v162, 26, v159 :: v_dual_lshlrev_b32 v163, 25, v159
	v_cmp_gt_i32_e64 s18, 0, v158
	v_cmp_gt_i32_e64 s19, 0, v160
	v_not_b32_e32 v158, v160
	v_not_b32_e32 v160, v161
	v_dual_ashrrev_i32 v63, 31, v63 :: v_dual_ashrrev_i32 v157, 31, v157
	v_cmp_gt_i32_e64 s20, 0, v161
	v_cmp_gt_i32_e64 s21, 0, v162
	v_not_b32_e32 v161, v162
	v_bitop3_b32 v62, vcc_lo, exec_lo, v62 bitop3:0x48
	v_dual_ashrrev_i32 v158, 31, v158 :: v_dual_ashrrev_i32 v160, 31, v160
	v_xor_b32_e32 v63, s17, v63
	v_not_b32_e32 v162, v163
	v_xor_b32_e32 v157, s18, v157
	s_delay_alu instid0(VALU_DEP_4) | instskip(SKIP_2) | instid1(VALU_DEP_4)
	v_dual_ashrrev_i32 v161, 31, v161 :: v_dual_bitop2_b32 v158, s19, v158 bitop3:0x14
	v_xor_b32_e32 v160, s20, v160
	v_cmp_gt_i32_e32 vcc_lo, 0, v163
	v_bitop3_b32 v62, v62, v157, v63 bitop3:0x80
	v_ashrrev_i32_e32 v63, 31, v162
	v_mad_u32_u24 v157, v159, 36, v114
	v_xor_b32_e32 v161, s21, v161
	s_delay_alu instid0(VALU_DEP_4) | instskip(NEXT) | instid1(VALU_DEP_4)
	v_bitop3_b32 v62, v62, v160, v158 bitop3:0x80
	v_xor_b32_e32 v63, vcc_lo, v63
	ds_load_b32 v157, v157 offset:544
	; wave barrier
	v_bitop3_b32 v62, v62, v63, v161 bitop3:0x80
	v_mul_u32_u24_e32 v63, 36, v159
	s_delay_alu instid0(VALU_DEP_2) | instskip(SKIP_1) | instid1(VALU_DEP_3)
	v_mbcnt_lo_u32_b32 v158, v62, 0
	v_cmp_ne_u32_e64 s17, 0, v62
	v_add_nc_u32_e32 v159, v114, v63
	s_delay_alu instid0(VALU_DEP_3) | instskip(SKIP_1) | instid1(SALU_CYCLE_1)
	v_cmp_eq_u32_e32 vcc_lo, 0, v158
	s_and_b32 s18, s17, vcc_lo
	s_and_saveexec_b32 s17, s18
	s_cbranch_execz .LBB317_449
; %bb.448:                              ;   in Loop: Header=BB317_418 Depth=2
	s_wait_dscnt 0x0
	v_bcnt_u32_b32 v62, v62, v157
	ds_store_b32 v159, v62 offset:544
.LBB317_449:                            ;   in Loop: Header=BB317_418 Depth=2
	s_or_b32 exec_lo, exec_lo, s17
	v_bitop3_b16 v62, v142, s43, 0x7f bitop3:0x48
	; wave barrier
	s_delay_alu instid0(VALU_DEP_1) | instskip(NEXT) | instid1(VALU_DEP_1)
	v_and_b32_e32 v62, 0xffff, v62
	v_lshrrev_b32_e32 v62, s48, v62
	s_delay_alu instid0(VALU_DEP_1) | instskip(SKIP_1) | instid1(VALU_DEP_2)
	v_bitop3_b32 v63, v62, 1, s58 bitop3:0x80
	v_and_b32_e32 v162, s58, v62
	v_add_co_u32 v62, s17, v63, -1
	s_delay_alu instid0(VALU_DEP_1) | instskip(NEXT) | instid1(VALU_DEP_3)
	v_cndmask_b32_e64 v63, 0, 1, s17
	v_dual_lshlrev_b32 v160, 30, v162 :: v_dual_lshlrev_b32 v161, 29, v162
	s_delay_alu instid0(VALU_DEP_2) | instskip(NEXT) | instid1(VALU_DEP_2)
	v_cmp_ne_u32_e32 vcc_lo, 0, v63
	v_cmp_gt_i32_e64 s17, 0, v160
	v_not_b32_e32 v63, v160
	s_delay_alu instid0(VALU_DEP_4) | instskip(SKIP_2) | instid1(VALU_DEP_3)
	v_not_b32_e32 v160, v161
	v_cmp_gt_i32_e64 s18, 0, v161
	v_bitop3_b32 v62, vcc_lo, exec_lo, v62 bitop3:0x48
	v_dual_ashrrev_i32 v63, 31, v63 :: v_dual_ashrrev_i32 v160, 31, v160
	v_dual_lshlrev_b32 v163, 28, v162 :: v_dual_lshlrev_b32 v164, 27, v162
	v_dual_lshlrev_b32 v165, 26, v162 :: v_dual_lshlrev_b32 v166, 25, v162
	s_delay_alu instid0(VALU_DEP_2) | instskip(SKIP_1) | instid1(VALU_DEP_4)
	v_cmp_gt_i32_e64 s19, 0, v163
	v_not_b32_e32 v161, v163
	v_cmp_gt_i32_e64 s20, 0, v164
	v_not_b32_e32 v163, v164
	;; [unrolled: 2-line block ×3, first 2 shown]
	v_not_b32_e32 v165, v166
	v_xor_b32_e32 v63, s17, v63
	v_dual_ashrrev_i32 v161, 31, v161 :: v_dual_bitop2_b32 v160, s18, v160 bitop3:0x14
	s_delay_alu instid0(VALU_DEP_4) | instskip(NEXT) | instid1(VALU_DEP_4)
	v_dual_ashrrev_i32 v163, 31, v163 :: v_dual_ashrrev_i32 v164, 31, v164
	v_ashrrev_i32_e32 v165, 31, v165
	s_delay_alu instid0(VALU_DEP_3)
	v_bitop3_b32 v62, v62, v160, v63 bitop3:0x80
	v_mad_u32_u24 v63, v162, 36, v114
	v_cmp_gt_i32_e64 s22, 0, v166
	v_xor_b32_e32 v163, s20, v163
	v_xor_b32_e32 v164, s21, v164
	ds_load_b32 v160, v63 offset:544
	v_mul_u32_u24_e32 v63, 36, v162
	v_xor_b32_e32 v161, s19, v161
	v_xor_b32_e32 v165, s22, v165
	; wave barrier
	s_delay_alu instid0(VALU_DEP_3) | instskip(NEXT) | instid1(VALU_DEP_3)
	v_add_nc_u32_e32 v162, v114, v63
	v_bitop3_b32 v62, v62, v163, v161 bitop3:0x80
	s_delay_alu instid0(VALU_DEP_1) | instskip(NEXT) | instid1(VALU_DEP_1)
	v_bitop3_b32 v62, v62, v165, v164 bitop3:0x80
	v_mbcnt_lo_u32_b32 v161, v62, 0
	v_cmp_ne_u32_e64 s17, 0, v62
	s_delay_alu instid0(VALU_DEP_2) | instskip(SKIP_1) | instid1(SALU_CYCLE_1)
	v_cmp_eq_u32_e32 vcc_lo, 0, v161
	s_and_b32 s18, s17, vcc_lo
	s_and_saveexec_b32 s17, s18
	s_cbranch_execz .LBB317_451
; %bb.450:                              ;   in Loop: Header=BB317_418 Depth=2
	s_wait_dscnt 0x0
	v_bcnt_u32_b32 v62, v62, v160
	ds_store_b32 v162, v62 offset:544
.LBB317_451:                            ;   in Loop: Header=BB317_418 Depth=2
	s_or_b32 exec_lo, exec_lo, s17
	v_xor_b32_e32 v62, 0x7f, v145
	v_xor_b32_e32 v63, 0x7f, v144
	;; [unrolled: 1-line block ×4, first 2 shown]
	s_delay_alu instid0(VALU_DEP_4) | instskip(NEXT) | instid1(VALU_DEP_4)
	v_lshlrev_b16 v62, 8, v62
	v_lshlrev_b16 v63, 8, v63
	; wave barrier
	s_delay_alu instid0(VALU_DEP_2) | instskip(NEXT) | instid1(VALU_DEP_2)
	v_bitop3_b16 v142, v142, v62, 0xff bitop3:0xec
	v_bitop3_b16 v62, v143, v63, 0xff bitop3:0xec
	s_delay_alu instid0(VALU_DEP_2) | instskip(NEXT) | instid1(VALU_DEP_2)
	v_and_b32_e32 v63, 0xffff, v142
	v_lshlrev_b32_e32 v62, 16, v62
	s_delay_alu instid0(VALU_DEP_1) | instskip(NEXT) | instid1(VALU_DEP_1)
	v_or_b32_e32 v143, v63, v62
	v_bfe_u32 v62, v143, 8, 8
	s_delay_alu instid0(VALU_DEP_1) | instskip(NEXT) | instid1(VALU_DEP_1)
	v_lshrrev_b32_e32 v62, s48, v62
	v_bitop3_b32 v63, v62, 1, s58 bitop3:0x80
	v_and_b32_e32 v163, s58, v62
	s_delay_alu instid0(VALU_DEP_2) | instskip(NEXT) | instid1(VALU_DEP_1)
	v_add_co_u32 v62, s17, v63, -1
	v_cndmask_b32_e64 v63, 0, 1, s17
	s_delay_alu instid0(VALU_DEP_3) | instskip(NEXT) | instid1(VALU_DEP_2)
	v_lshlrev_b32_e32 v144, 30, v163
	v_cmp_ne_u32_e32 vcc_lo, 0, v63
	s_delay_alu instid0(VALU_DEP_2) | instskip(SKIP_2) | instid1(VALU_DEP_3)
	v_not_b32_e32 v63, v144
	v_cmp_gt_i32_e64 s17, 0, v144
	v_bitop3_b32 v62, vcc_lo, exec_lo, v62 bitop3:0x48
	v_ashrrev_i32_e32 v63, 31, v63
	v_dual_lshlrev_b32 v145, 29, v163 :: v_dual_lshlrev_b32 v164, 28, v163
	v_dual_lshlrev_b32 v165, 27, v163 :: v_dual_lshlrev_b32 v166, 26, v163
	s_delay_alu instid0(VALU_DEP_2)
	v_not_b32_e32 v144, v145
	v_lshlrev_b32_e32 v167, 25, v163
	v_cmp_gt_i32_e64 s18, 0, v145
	v_cmp_gt_i32_e64 s19, 0, v164
	v_not_b32_e32 v145, v164
	v_ashrrev_i32_e32 v144, 31, v144
	v_cmp_gt_i32_e64 s20, 0, v165
	v_not_b32_e32 v164, v165
	v_cmp_gt_i32_e64 s21, 0, v166
	v_not_b32_e32 v165, v166
	v_not_b32_e32 v166, v167
	v_xor_b32_e32 v63, s17, v63
	v_dual_ashrrev_i32 v145, 31, v145 :: v_dual_bitop2_b32 v144, s18, v144 bitop3:0x14
	s_delay_alu instid0(VALU_DEP_4) | instskip(NEXT) | instid1(VALU_DEP_4)
	v_dual_ashrrev_i32 v164, 31, v164 :: v_dual_ashrrev_i32 v165, 31, v165
	v_ashrrev_i32_e32 v166, 31, v166
	s_delay_alu instid0(VALU_DEP_3)
	v_bitop3_b32 v62, v62, v144, v63 bitop3:0x80
	v_mad_u32_u24 v63, v163, 36, v114
	v_cmp_gt_i32_e64 s22, 0, v167
	v_xor_b32_e32 v164, s20, v164
	v_xor_b32_e32 v165, s21, v165
	ds_load_b32 v144, v63 offset:544
	v_mul_u32_u24_e32 v63, 36, v163
	v_xor_b32_e32 v145, s19, v145
	v_xor_b32_e32 v166, s22, v166
	; wave barrier
	s_delay_alu instid0(VALU_DEP_3) | instskip(NEXT) | instid1(VALU_DEP_3)
	v_add_nc_u32_e32 v163, v114, v63
	v_bitop3_b32 v62, v62, v164, v145 bitop3:0x80
	s_delay_alu instid0(VALU_DEP_1) | instskip(NEXT) | instid1(VALU_DEP_1)
	v_bitop3_b32 v62, v62, v166, v165 bitop3:0x80
	v_mbcnt_lo_u32_b32 v145, v62, 0
	v_cmp_ne_u32_e64 s17, 0, v62
	s_delay_alu instid0(VALU_DEP_2) | instskip(SKIP_1) | instid1(SALU_CYCLE_1)
	v_cmp_eq_u32_e32 vcc_lo, 0, v145
	s_and_b32 s18, s17, vcc_lo
	s_and_saveexec_b32 s17, s18
	s_cbranch_execz .LBB317_453
; %bb.452:                              ;   in Loop: Header=BB317_418 Depth=2
	s_wait_dscnt 0x0
	v_bcnt_u32_b32 v62, v62, v144
	ds_store_b32 v163, v62 offset:544
.LBB317_453:                            ;   in Loop: Header=BB317_418 Depth=2
	s_or_b32 exec_lo, exec_lo, s17
	v_bfe_u32 v62, v143, 16, 8
	; wave barrier
	s_delay_alu instid0(VALU_DEP_1) | instskip(NEXT) | instid1(VALU_DEP_1)
	v_lshrrev_b32_e32 v62, s48, v62
	v_bitop3_b32 v63, v62, 1, s58 bitop3:0x80
	v_and_b32_e32 v166, s58, v62
	s_delay_alu instid0(VALU_DEP_2) | instskip(NEXT) | instid1(VALU_DEP_1)
	v_add_co_u32 v62, s17, v63, -1
	v_cndmask_b32_e64 v63, 0, 1, s17
	s_delay_alu instid0(VALU_DEP_3) | instskip(NEXT) | instid1(VALU_DEP_2)
	v_dual_lshlrev_b32 v164, 30, v166 :: v_dual_lshlrev_b32 v165, 29, v166
	v_cmp_ne_u32_e32 vcc_lo, 0, v63
	s_delay_alu instid0(VALU_DEP_2) | instskip(SKIP_1) | instid1(VALU_DEP_4)
	v_cmp_gt_i32_e64 s17, 0, v164
	v_not_b32_e32 v63, v164
	v_not_b32_e32 v164, v165
	v_cmp_gt_i32_e64 s18, 0, v165
	v_bitop3_b32 v62, vcc_lo, exec_lo, v62 bitop3:0x48
	s_delay_alu instid0(VALU_DEP_3) | instskip(SKIP_2) | instid1(VALU_DEP_2)
	v_dual_ashrrev_i32 v63, 31, v63 :: v_dual_ashrrev_i32 v164, 31, v164
	v_dual_lshlrev_b32 v167, 28, v166 :: v_dual_lshlrev_b32 v168, 27, v166
	v_dual_lshlrev_b32 v169, 26, v166 :: v_dual_lshlrev_b32 v170, 25, v166
	v_cmp_gt_i32_e64 s19, 0, v167
	v_not_b32_e32 v165, v167
	s_delay_alu instid0(VALU_DEP_4) | instskip(SKIP_3) | instid1(VALU_DEP_4)
	v_not_b32_e32 v167, v168
	v_cmp_gt_i32_e64 s20, 0, v168
	v_cmp_gt_i32_e64 s21, 0, v169
	v_not_b32_e32 v168, v169
	v_dual_ashrrev_i32 v165, 31, v165 :: v_dual_ashrrev_i32 v167, 31, v167
	v_xor_b32_e32 v63, s17, v63
	v_not_b32_e32 v169, v170
	v_xor_b32_e32 v164, s18, v164
	s_delay_alu instid0(VALU_DEP_4) | instskip(SKIP_2) | instid1(VALU_DEP_4)
	v_dual_ashrrev_i32 v168, 31, v168 :: v_dual_bitop2_b32 v165, s19, v165 bitop3:0x14
	v_xor_b32_e32 v167, s20, v167
	v_cmp_gt_i32_e32 vcc_lo, 0, v170
	v_bitop3_b32 v62, v62, v164, v63 bitop3:0x80
	v_ashrrev_i32_e32 v63, 31, v169
	v_mad_u32_u24 v164, v166, 36, v114
	v_xor_b32_e32 v168, s21, v168
	s_delay_alu instid0(VALU_DEP_4) | instskip(NEXT) | instid1(VALU_DEP_4)
	v_bitop3_b32 v62, v62, v167, v165 bitop3:0x80
	v_xor_b32_e32 v63, vcc_lo, v63
	ds_load_b32 v164, v164 offset:544
	; wave barrier
	v_bitop3_b32 v62, v62, v63, v168 bitop3:0x80
	v_mul_u32_u24_e32 v63, 36, v166
	s_delay_alu instid0(VALU_DEP_2) | instskip(SKIP_1) | instid1(VALU_DEP_3)
	v_mbcnt_lo_u32_b32 v165, v62, 0
	v_cmp_ne_u32_e64 s17, 0, v62
	v_add_nc_u32_e32 v167, v114, v63
	s_delay_alu instid0(VALU_DEP_3) | instskip(SKIP_1) | instid1(SALU_CYCLE_1)
	v_cmp_eq_u32_e32 vcc_lo, 0, v165
	s_and_b32 s18, s17, vcc_lo
	s_and_saveexec_b32 s17, s18
	s_cbranch_execz .LBB317_455
; %bb.454:                              ;   in Loop: Header=BB317_418 Depth=2
	s_wait_dscnt 0x0
	v_bcnt_u32_b32 v62, v62, v164
	ds_store_b32 v167, v62 offset:544
.LBB317_455:                            ;   in Loop: Header=BB317_418 Depth=2
	s_or_b32 exec_lo, exec_lo, s17
	v_lshrrev_b32_e32 v166, 24, v143
	; wave barrier
	s_delay_alu instid0(VALU_DEP_1) | instskip(NEXT) | instid1(VALU_DEP_1)
	v_lshrrev_b32_e32 v62, s48, v166
	v_bitop3_b32 v63, v62, 1, s58 bitop3:0x80
	v_and_b32_e32 v170, s58, v62
	s_delay_alu instid0(VALU_DEP_2) | instskip(NEXT) | instid1(VALU_DEP_1)
	v_add_co_u32 v62, s17, v63, -1
	v_cndmask_b32_e64 v63, 0, 1, s17
	s_delay_alu instid0(VALU_DEP_3) | instskip(SKIP_1) | instid1(VALU_DEP_3)
	v_dual_lshlrev_b32 v168, 30, v170 :: v_dual_lshlrev_b32 v169, 29, v170
	v_dual_lshlrev_b32 v171, 28, v170 :: v_dual_lshlrev_b32 v172, 27, v170
	v_cmp_ne_u32_e32 vcc_lo, 0, v63
	s_delay_alu instid0(VALU_DEP_3)
	v_cmp_gt_i32_e64 s17, 0, v168
	v_not_b32_e32 v63, v168
	v_not_b32_e32 v168, v169
	v_dual_lshlrev_b32 v173, 26, v170 :: v_dual_lshlrev_b32 v174, 25, v170
	v_cmp_gt_i32_e64 s18, 0, v169
	v_cmp_gt_i32_e64 s19, 0, v171
	v_not_b32_e32 v169, v171
	v_not_b32_e32 v171, v172
	v_dual_ashrrev_i32 v63, 31, v63 :: v_dual_ashrrev_i32 v168, 31, v168
	v_cmp_gt_i32_e64 s20, 0, v172
	v_cmp_gt_i32_e64 s21, 0, v173
	v_not_b32_e32 v172, v173
	v_bitop3_b32 v62, vcc_lo, exec_lo, v62 bitop3:0x48
	v_dual_ashrrev_i32 v169, 31, v169 :: v_dual_ashrrev_i32 v171, 31, v171
	v_xor_b32_e32 v168, s18, v168
	s_delay_alu instid0(VALU_DEP_4) | instskip(SKIP_1) | instid1(VALU_DEP_4)
	v_dual_ashrrev_i32 v172, 31, v172 :: v_dual_bitop2_b32 v63, s17, v63 bitop3:0x14
	v_not_b32_e32 v173, v174
	v_xor_b32_e32 v169, s19, v169
	v_xor_b32_e32 v171, s20, v171
	s_delay_alu instid0(VALU_DEP_4)
	v_bitop3_b32 v62, v62, v168, v63 bitop3:0x80
	v_cmp_gt_i32_e32 vcc_lo, 0, v174
	v_ashrrev_i32_e32 v63, 31, v173
	v_mad_u32_u24 v168, v170, 36, v114
	v_xor_b32_e32 v172, s21, v172
	v_bitop3_b32 v62, v62, v171, v169 bitop3:0x80
	s_delay_alu instid0(VALU_DEP_4) | instskip(SKIP_3) | instid1(VALU_DEP_2)
	v_xor_b32_e32 v63, vcc_lo, v63
	ds_load_b32 v168, v168 offset:544
	; wave barrier
	v_bitop3_b32 v62, v62, v63, v172 bitop3:0x80
	v_mul_u32_u24_e32 v63, 36, v170
	v_mbcnt_lo_u32_b32 v169, v62, 0
	v_cmp_ne_u32_e64 s17, 0, v62
	s_delay_alu instid0(VALU_DEP_3) | instskip(NEXT) | instid1(VALU_DEP_3)
	v_add_nc_u32_e32 v170, v114, v63
	v_cmp_eq_u32_e32 vcc_lo, 0, v169
	s_and_b32 s18, s17, vcc_lo
	s_delay_alu instid0(SALU_CYCLE_1)
	s_and_saveexec_b32 s17, s18
	s_cbranch_execz .LBB317_457
; %bb.456:                              ;   in Loop: Header=BB317_418 Depth=2
	s_wait_dscnt 0x0
	v_bcnt_u32_b32 v62, v62, v168
	ds_store_b32 v170, v62 offset:544
.LBB317_457:                            ;   in Loop: Header=BB317_418 Depth=2
	s_or_b32 exec_lo, exec_lo, s17
	v_bitop3_b16 v62, v138, s43, 0x7f bitop3:0x48
	; wave barrier
	s_delay_alu instid0(VALU_DEP_1) | instskip(NEXT) | instid1(VALU_DEP_1)
	v_and_b32_e32 v62, 0xffff, v62
	v_lshrrev_b32_e32 v62, s48, v62
	s_delay_alu instid0(VALU_DEP_1) | instskip(NEXT) | instid1(VALU_DEP_1)
	v_and_b32_e32 v173, s58, v62
	v_lshlrev_b32_e32 v171, 30, v173
	v_bitop3_b32 v63, v62, 1, s58 bitop3:0x80
	s_delay_alu instid0(VALU_DEP_1) | instskip(NEXT) | instid1(VALU_DEP_1)
	v_add_co_u32 v62, s17, v63, -1
	v_cndmask_b32_e64 v63, 0, 1, s17
	s_delay_alu instid0(VALU_DEP_4) | instskip(NEXT) | instid1(VALU_DEP_2)
	v_cmp_gt_i32_e64 s17, 0, v171
	v_cmp_ne_u32_e32 vcc_lo, 0, v63
	v_not_b32_e32 v63, v171
	v_bitop3_b32 v62, vcc_lo, exec_lo, v62 bitop3:0x48
	s_delay_alu instid0(VALU_DEP_2) | instskip(SKIP_2) | instid1(VALU_DEP_3)
	v_dual_ashrrev_i32 v63, 31, v63 :: v_dual_lshlrev_b32 v172, 29, v173
	v_dual_lshlrev_b32 v174, 28, v173 :: v_dual_lshlrev_b32 v175, 27, v173
	v_lshlrev_b32_e32 v176, 26, v173
	v_not_b32_e32 v171, v172
	v_lshlrev_b32_e32 v177, 25, v173
	v_cmp_gt_i32_e64 s18, 0, v172
	v_cmp_gt_i32_e64 s19, 0, v174
	v_not_b32_e32 v172, v174
	v_ashrrev_i32_e32 v171, 31, v171
	v_cmp_gt_i32_e64 s20, 0, v175
	v_not_b32_e32 v174, v175
	v_cmp_gt_i32_e64 s21, 0, v176
	v_not_b32_e32 v175, v176
	v_not_b32_e32 v176, v177
	v_xor_b32_e32 v63, s17, v63
	v_dual_ashrrev_i32 v172, 31, v172 :: v_dual_bitop2_b32 v171, s18, v171 bitop3:0x14
	s_delay_alu instid0(VALU_DEP_3) | instskip(SKIP_1) | instid1(VALU_DEP_3)
	v_dual_ashrrev_i32 v174, 31, v174 :: v_dual_ashrrev_i32 v176, 31, v176
	v_cmp_gt_i32_e64 s22, 0, v177
	v_bitop3_b32 v62, v62, v171, v63 bitop3:0x80
	v_mad_u32_u24 v63, v173, 36, v114
	v_dual_ashrrev_i32 v175, 31, v175 :: v_dual_bitop2_b32 v172, s19, v172 bitop3:0x14
	s_delay_alu instid0(VALU_DEP_4) | instskip(SKIP_4) | instid1(VALU_DEP_3)
	v_xor_b32_e32 v176, s22, v176
	ds_load_b32 v171, v63 offset:544
	v_mul_u32_u24_e32 v63, 36, v173
	v_xor_b32_e32 v174, s20, v174
	v_xor_b32_e32 v175, s21, v175
	; wave barrier
	v_add_nc_u32_e32 v173, v114, v63
	s_delay_alu instid0(VALU_DEP_3) | instskip(NEXT) | instid1(VALU_DEP_1)
	v_bitop3_b32 v62, v62, v174, v172 bitop3:0x80
	v_bitop3_b32 v62, v62, v176, v175 bitop3:0x80
	s_delay_alu instid0(VALU_DEP_1) | instskip(SKIP_1) | instid1(VALU_DEP_2)
	v_mbcnt_lo_u32_b32 v172, v62, 0
	v_cmp_ne_u32_e64 s17, 0, v62
	v_cmp_eq_u32_e32 vcc_lo, 0, v172
	s_and_b32 s18, s17, vcc_lo
	s_delay_alu instid0(SALU_CYCLE_1)
	s_and_saveexec_b32 s17, s18
	s_cbranch_execz .LBB317_459
; %bb.458:                              ;   in Loop: Header=BB317_418 Depth=2
	s_wait_dscnt 0x0
	v_bcnt_u32_b32 v62, v62, v171
	ds_store_b32 v173, v62 offset:544
.LBB317_459:                            ;   in Loop: Header=BB317_418 Depth=2
	s_or_b32 exec_lo, exec_lo, s17
	v_xor_b32_e32 v62, 0x7f, v141
	v_xor_b32_e32 v63, 0x7f, v140
	;; [unrolled: 1-line block ×4, first 2 shown]
	s_delay_alu instid0(VALU_DEP_4) | instskip(NEXT) | instid1(VALU_DEP_4)
	v_lshlrev_b16 v62, 8, v62
	v_lshlrev_b16 v63, 8, v63
	; wave barrier
	s_delay_alu instid0(VALU_DEP_2) | instskip(NEXT) | instid1(VALU_DEP_2)
	v_bitop3_b16 v138, v138, v62, 0xff bitop3:0xec
	v_bitop3_b16 v62, v139, v63, 0xff bitop3:0xec
	s_delay_alu instid0(VALU_DEP_2) | instskip(NEXT) | instid1(VALU_DEP_2)
	v_and_b32_e32 v63, 0xffff, v138
	v_lshlrev_b32_e32 v62, 16, v62
	s_delay_alu instid0(VALU_DEP_1) | instskip(NEXT) | instid1(VALU_DEP_1)
	v_or_b32_e32 v139, v63, v62
	v_bfe_u32 v62, v139, 8, 8
	s_delay_alu instid0(VALU_DEP_1) | instskip(NEXT) | instid1(VALU_DEP_1)
	v_lshrrev_b32_e32 v62, s48, v62
	v_bitop3_b32 v63, v62, 1, s58 bitop3:0x80
	v_and_b32_e32 v174, s58, v62
	s_delay_alu instid0(VALU_DEP_2) | instskip(NEXT) | instid1(VALU_DEP_1)
	v_add_co_u32 v62, s17, v63, -1
	v_cndmask_b32_e64 v63, 0, 1, s17
	s_delay_alu instid0(VALU_DEP_3) | instskip(NEXT) | instid1(VALU_DEP_2)
	v_dual_lshlrev_b32 v140, 30, v174 :: v_dual_lshlrev_b32 v141, 29, v174
	v_cmp_ne_u32_e32 vcc_lo, 0, v63
	s_delay_alu instid0(VALU_DEP_2) | instskip(SKIP_1) | instid1(VALU_DEP_4)
	v_cmp_gt_i32_e64 s17, 0, v140
	v_not_b32_e32 v63, v140
	v_not_b32_e32 v140, v141
	v_cmp_gt_i32_e64 s18, 0, v141
	v_bitop3_b32 v62, vcc_lo, exec_lo, v62 bitop3:0x48
	s_delay_alu instid0(VALU_DEP_3) | instskip(SKIP_2) | instid1(VALU_DEP_2)
	v_dual_ashrrev_i32 v63, 31, v63 :: v_dual_ashrrev_i32 v140, 31, v140
	v_dual_lshlrev_b32 v175, 28, v174 :: v_dual_lshlrev_b32 v176, 27, v174
	v_dual_lshlrev_b32 v177, 26, v174 :: v_dual_lshlrev_b32 v178, 25, v174
	v_cmp_gt_i32_e64 s19, 0, v175
	v_not_b32_e32 v141, v175
	s_delay_alu instid0(VALU_DEP_4)
	v_cmp_gt_i32_e64 s20, 0, v176
	v_not_b32_e32 v175, v176
	v_cmp_gt_i32_e64 s21, 0, v177
	v_not_b32_e32 v176, v177
	v_not_b32_e32 v177, v178
	v_xor_b32_e32 v63, s17, v63
	v_dual_ashrrev_i32 v141, 31, v141 :: v_dual_bitop2_b32 v140, s18, v140 bitop3:0x14
	s_delay_alu instid0(VALU_DEP_4) | instskip(NEXT) | instid1(VALU_DEP_4)
	v_dual_ashrrev_i32 v175, 31, v175 :: v_dual_ashrrev_i32 v176, 31, v176
	v_ashrrev_i32_e32 v177, 31, v177
	s_delay_alu instid0(VALU_DEP_3)
	v_bitop3_b32 v62, v62, v140, v63 bitop3:0x80
	v_mad_u32_u24 v63, v174, 36, v114
	v_cmp_gt_i32_e64 s22, 0, v178
	v_xor_b32_e32 v175, s20, v175
	v_xor_b32_e32 v176, s21, v176
	ds_load_b32 v140, v63 offset:544
	v_mul_u32_u24_e32 v63, 36, v174
	v_xor_b32_e32 v141, s19, v141
	v_xor_b32_e32 v177, s22, v177
	; wave barrier
	s_delay_alu instid0(VALU_DEP_3) | instskip(NEXT) | instid1(VALU_DEP_3)
	v_add_nc_u32_e32 v174, v114, v63
	v_bitop3_b32 v62, v62, v175, v141 bitop3:0x80
	s_delay_alu instid0(VALU_DEP_1) | instskip(NEXT) | instid1(VALU_DEP_1)
	v_bitop3_b32 v62, v62, v177, v176 bitop3:0x80
	v_mbcnt_lo_u32_b32 v141, v62, 0
	v_cmp_ne_u32_e64 s17, 0, v62
	s_delay_alu instid0(VALU_DEP_2) | instskip(SKIP_1) | instid1(SALU_CYCLE_1)
	v_cmp_eq_u32_e32 vcc_lo, 0, v141
	s_and_b32 s18, s17, vcc_lo
	s_and_saveexec_b32 s17, s18
	s_cbranch_execz .LBB317_461
; %bb.460:                              ;   in Loop: Header=BB317_418 Depth=2
	s_wait_dscnt 0x0
	v_bcnt_u32_b32 v62, v62, v140
	ds_store_b32 v174, v62 offset:544
.LBB317_461:                            ;   in Loop: Header=BB317_418 Depth=2
	s_or_b32 exec_lo, exec_lo, s17
	v_bfe_u32 v62, v139, 16, 8
	; wave barrier
	s_delay_alu instid0(VALU_DEP_1) | instskip(NEXT) | instid1(VALU_DEP_1)
	v_lshrrev_b32_e32 v62, s48, v62
	v_and_b32_e32 v177, s58, v62
	s_delay_alu instid0(VALU_DEP_1) | instskip(SKIP_1) | instid1(VALU_DEP_1)
	v_lshlrev_b32_e32 v175, 30, v177
	v_bitop3_b32 v63, v62, 1, s58 bitop3:0x80
	v_add_co_u32 v62, s17, v63, -1
	s_delay_alu instid0(VALU_DEP_1) | instskip(NEXT) | instid1(VALU_DEP_4)
	v_cndmask_b32_e64 v63, 0, 1, s17
	v_cmp_gt_i32_e64 s17, 0, v175
	s_delay_alu instid0(VALU_DEP_2) | instskip(SKIP_2) | instid1(VALU_DEP_2)
	v_cmp_ne_u32_e32 vcc_lo, 0, v63
	v_not_b32_e32 v63, v175
	v_bitop3_b32 v62, vcc_lo, exec_lo, v62 bitop3:0x48
	v_dual_ashrrev_i32 v63, 31, v63 :: v_dual_lshlrev_b32 v176, 29, v177
	v_dual_lshlrev_b32 v178, 28, v177 :: v_dual_lshlrev_b32 v179, 27, v177
	s_delay_alu instid0(VALU_DEP_2) | instskip(NEXT) | instid1(VALU_DEP_3)
	v_dual_lshlrev_b32 v180, 26, v177 :: v_dual_bitop2_b32 v63, s17, v63 bitop3:0x14
	v_not_b32_e32 v175, v176
	v_lshlrev_b32_e32 v181, 25, v177
	v_cmp_gt_i32_e64 s18, 0, v176
	v_cmp_gt_i32_e64 s19, 0, v178
	v_not_b32_e32 v176, v178
	v_not_b32_e32 v178, v179
	v_ashrrev_i32_e32 v175, 31, v175
	v_cmp_gt_i32_e64 s20, 0, v179
	v_cmp_gt_i32_e64 s21, 0, v180
	v_not_b32_e32 v179, v180
	v_dual_ashrrev_i32 v176, 31, v176 :: v_dual_ashrrev_i32 v178, 31, v178
	v_not_b32_e32 v180, v181
	v_xor_b32_e32 v175, s18, v175
	s_delay_alu instid0(VALU_DEP_3) | instskip(NEXT) | instid1(VALU_DEP_4)
	v_dual_ashrrev_i32 v179, 31, v179 :: v_dual_bitop2_b32 v176, s19, v176 bitop3:0x14
	v_xor_b32_e32 v178, s20, v178
	v_cmp_gt_i32_e32 vcc_lo, 0, v181
	s_delay_alu instid0(VALU_DEP_4) | instskip(SKIP_3) | instid1(VALU_DEP_4)
	v_bitop3_b32 v62, v62, v175, v63 bitop3:0x80
	v_ashrrev_i32_e32 v63, 31, v180
	v_mad_u32_u24 v175, v177, 36, v114
	v_xor_b32_e32 v179, s21, v179
	v_bitop3_b32 v62, v62, v178, v176 bitop3:0x80
	s_delay_alu instid0(VALU_DEP_4) | instskip(SKIP_3) | instid1(VALU_DEP_2)
	v_xor_b32_e32 v63, vcc_lo, v63
	ds_load_b32 v175, v175 offset:544
	; wave barrier
	v_bitop3_b32 v62, v62, v63, v179 bitop3:0x80
	v_mul_u32_u24_e32 v63, 36, v177
	v_mbcnt_lo_u32_b32 v176, v62, 0
	v_cmp_ne_u32_e64 s17, 0, v62
	s_delay_alu instid0(VALU_DEP_3) | instskip(NEXT) | instid1(VALU_DEP_3)
	v_add_nc_u32_e32 v178, v114, v63
	v_cmp_eq_u32_e32 vcc_lo, 0, v176
	s_and_b32 s18, s17, vcc_lo
	s_delay_alu instid0(SALU_CYCLE_1)
	s_and_saveexec_b32 s17, s18
	s_cbranch_execz .LBB317_463
; %bb.462:                              ;   in Loop: Header=BB317_418 Depth=2
	s_wait_dscnt 0x0
	v_bcnt_u32_b32 v62, v62, v175
	ds_store_b32 v178, v62 offset:544
.LBB317_463:                            ;   in Loop: Header=BB317_418 Depth=2
	s_or_b32 exec_lo, exec_lo, s17
	v_lshrrev_b32_e32 v177, 24, v139
	; wave barrier
	s_delay_alu instid0(VALU_DEP_1) | instskip(NEXT) | instid1(VALU_DEP_1)
	v_lshrrev_b32_e32 v62, s48, v177
	v_bitop3_b32 v63, v62, 1, s58 bitop3:0x80
	v_and_b32_e32 v181, s58, v62
	s_delay_alu instid0(VALU_DEP_2) | instskip(NEXT) | instid1(VALU_DEP_1)
	v_add_co_u32 v62, s17, v63, -1
	v_cndmask_b32_e64 v63, 0, 1, s17
	s_delay_alu instid0(VALU_DEP_3) | instskip(SKIP_1) | instid1(VALU_DEP_3)
	v_dual_lshlrev_b32 v179, 30, v181 :: v_dual_lshlrev_b32 v180, 29, v181
	v_dual_lshlrev_b32 v182, 28, v181 :: v_dual_lshlrev_b32 v183, 27, v181
	v_cmp_ne_u32_e32 vcc_lo, 0, v63
	s_delay_alu instid0(VALU_DEP_3)
	v_cmp_gt_i32_e64 s17, 0, v179
	v_not_b32_e32 v63, v179
	v_not_b32_e32 v179, v180
	v_dual_lshlrev_b32 v184, 26, v181 :: v_dual_lshlrev_b32 v185, 25, v181
	v_cmp_gt_i32_e64 s18, 0, v180
	v_cmp_gt_i32_e64 s19, 0, v182
	v_not_b32_e32 v180, v182
	v_not_b32_e32 v182, v183
	v_ashrrev_i32_e32 v63, 31, v63
	v_ashrrev_i32_e32 v179, 31, v179
	v_cmp_gt_i32_e64 s20, 0, v183
	v_cmp_gt_i32_e64 s21, 0, v184
	v_not_b32_e32 v183, v184
	v_bitop3_b32 v62, vcc_lo, exec_lo, v62 bitop3:0x48
	v_dual_ashrrev_i32 v180, 31, v180 :: v_dual_ashrrev_i32 v182, 31, v182
	v_xor_b32_e32 v63, s17, v63
	v_not_b32_e32 v184, v185
	v_xor_b32_e32 v179, s18, v179
	s_delay_alu instid0(VALU_DEP_4) | instskip(SKIP_2) | instid1(VALU_DEP_4)
	v_dual_ashrrev_i32 v183, 31, v183 :: v_dual_bitop2_b32 v180, s19, v180 bitop3:0x14
	v_xor_b32_e32 v182, s20, v182
	v_cmp_gt_i32_e32 vcc_lo, 0, v185
	v_bitop3_b32 v62, v62, v179, v63 bitop3:0x80
	v_ashrrev_i32_e32 v63, 31, v184
	v_mad_u32_u24 v179, v181, 36, v114
	v_xor_b32_e32 v183, s21, v183
	s_delay_alu instid0(VALU_DEP_4) | instskip(NEXT) | instid1(VALU_DEP_4)
	v_bitop3_b32 v62, v62, v182, v180 bitop3:0x80
	v_xor_b32_e32 v63, vcc_lo, v63
	ds_load_b32 v179, v179 offset:544
	; wave barrier
	v_bitop3_b32 v62, v62, v63, v183 bitop3:0x80
	v_mul_u32_u24_e32 v63, 36, v181
	s_delay_alu instid0(VALU_DEP_2) | instskip(SKIP_1) | instid1(VALU_DEP_3)
	v_mbcnt_lo_u32_b32 v180, v62, 0
	v_cmp_ne_u32_e64 s17, 0, v62
	v_add_nc_u32_e32 v181, v114, v63
	s_delay_alu instid0(VALU_DEP_3) | instskip(SKIP_1) | instid1(SALU_CYCLE_1)
	v_cmp_eq_u32_e32 vcc_lo, 0, v180
	s_and_b32 s18, s17, vcc_lo
	s_and_saveexec_b32 s17, s18
	s_cbranch_execz .LBB317_465
; %bb.464:                              ;   in Loop: Header=BB317_418 Depth=2
	s_wait_dscnt 0x0
	v_bcnt_u32_b32 v62, v62, v179
	ds_store_b32 v181, v62 offset:544
.LBB317_465:                            ;   in Loop: Header=BB317_418 Depth=2
	s_or_b32 exec_lo, exec_lo, s17
	v_bitop3_b16 v62, v64, s43, 0x7f bitop3:0x48
	; wave barrier
	s_delay_alu instid0(VALU_DEP_1) | instskip(NEXT) | instid1(VALU_DEP_1)
	v_and_b32_e32 v62, 0xffff, v62
	v_lshrrev_b32_e32 v62, s48, v62
	s_delay_alu instid0(VALU_DEP_1) | instskip(NEXT) | instid1(VALU_DEP_1)
	v_and_b32_e32 v184, s58, v62
	v_lshlrev_b32_e32 v182, 30, v184
	v_bitop3_b32 v63, v62, 1, s58 bitop3:0x80
	s_delay_alu instid0(VALU_DEP_1) | instskip(NEXT) | instid1(VALU_DEP_1)
	v_add_co_u32 v62, s17, v63, -1
	v_cndmask_b32_e64 v63, 0, 1, s17
	s_delay_alu instid0(VALU_DEP_4) | instskip(NEXT) | instid1(VALU_DEP_2)
	v_cmp_gt_i32_e64 s17, 0, v182
	v_cmp_ne_u32_e32 vcc_lo, 0, v63
	v_not_b32_e32 v63, v182
	v_bitop3_b32 v62, vcc_lo, exec_lo, v62 bitop3:0x48
	s_delay_alu instid0(VALU_DEP_2) | instskip(SKIP_2) | instid1(VALU_DEP_3)
	v_dual_ashrrev_i32 v63, 31, v63 :: v_dual_lshlrev_b32 v183, 29, v184
	v_dual_lshlrev_b32 v185, 28, v184 :: v_dual_lshlrev_b32 v186, 27, v184
	v_lshlrev_b32_e32 v187, 26, v184
	v_not_b32_e32 v182, v183
	v_lshlrev_b32_e32 v188, 25, v184
	v_cmp_gt_i32_e64 s18, 0, v183
	v_cmp_gt_i32_e64 s19, 0, v185
	v_not_b32_e32 v183, v185
	v_not_b32_e32 v185, v186
	v_ashrrev_i32_e32 v182, 31, v182
	v_cmp_gt_i32_e64 s20, 0, v186
	v_cmp_gt_i32_e64 s21, 0, v187
	v_not_b32_e32 v186, v187
	v_not_b32_e32 v187, v188
	v_dual_ashrrev_i32 v183, 31, v183 :: v_dual_ashrrev_i32 v185, 31, v185
	s_delay_alu instid0(VALU_DEP_3) | instskip(NEXT) | instid1(VALU_DEP_3)
	v_dual_ashrrev_i32 v186, 31, v186 :: v_dual_bitop2_b32 v63, s17, v63 bitop3:0x14
	v_dual_ashrrev_i32 v187, 31, v187 :: v_dual_bitop2_b32 v182, s18, v182 bitop3:0x14
	v_cmp_gt_i32_e64 s22, 0, v188
	s_delay_alu instid0(VALU_DEP_4) | instskip(SKIP_1) | instid1(VALU_DEP_4)
	v_xor_b32_e32 v183, s19, v183
	v_xor_b32_e32 v185, s20, v185
	v_bitop3_b32 v62, v62, v182, v63 bitop3:0x80
	v_mad_u32_u24 v63, v184, 36, v114
	v_xor_b32_e32 v187, s22, v187
	s_delay_alu instid0(VALU_DEP_3) | instskip(SKIP_3) | instid1(VALU_DEP_2)
	v_bitop3_b32 v62, v62, v185, v183 bitop3:0x80
	ds_load_b32 v182, v63 offset:544
	v_mul_u32_u24_e32 v63, 36, v184
	v_xor_b32_e32 v186, s21, v186
	; wave barrier
	v_add_nc_u32_e32 v185, v114, v63
	s_delay_alu instid0(VALU_DEP_2) | instskip(NEXT) | instid1(VALU_DEP_1)
	v_bitop3_b32 v62, v62, v187, v186 bitop3:0x80
	v_mbcnt_lo_u32_b32 v183, v62, 0
	v_cmp_ne_u32_e64 s17, 0, v62
	s_delay_alu instid0(VALU_DEP_2) | instskip(SKIP_1) | instid1(SALU_CYCLE_1)
	v_cmp_eq_u32_e32 vcc_lo, 0, v183
	s_and_b32 s18, s17, vcc_lo
	s_and_saveexec_b32 s17, s18
	s_cbranch_execz .LBB317_467
; %bb.466:                              ;   in Loop: Header=BB317_418 Depth=2
	s_wait_dscnt 0x0
	v_bcnt_u32_b32 v62, v62, v182
	ds_store_b32 v185, v62 offset:544
.LBB317_467:                            ;   in Loop: Header=BB317_418 Depth=2
	s_or_b32 exec_lo, exec_lo, s17
	v_xor_b32_e32 v62, 0x7f, v136
	v_xor_b32_e32 v63, 0x7f, v135
	;; [unrolled: 1-line block ×4, first 2 shown]
	s_delay_alu instid0(VALU_DEP_4) | instskip(NEXT) | instid1(VALU_DEP_4)
	v_lshlrev_b16 v62, 8, v62
	v_lshlrev_b16 v63, 8, v63
	; wave barrier
	s_delay_alu instid0(VALU_DEP_2) | instskip(NEXT) | instid1(VALU_DEP_2)
	v_bitop3_b16 v184, v64, v62, 0xff bitop3:0xec
	v_bitop3_b16 v62, v65, v63, 0xff bitop3:0xec
	s_delay_alu instid0(VALU_DEP_2) | instskip(NEXT) | instid1(VALU_DEP_2)
	v_and_b32_e32 v63, 0xffff, v184
	v_lshlrev_b32_e32 v62, 16, v62
	s_delay_alu instid0(VALU_DEP_1) | instskip(NEXT) | instid1(VALU_DEP_1)
	v_or_b32_e32 v135, v63, v62
	v_bfe_u32 v62, v135, 8, 8
	s_delay_alu instid0(VALU_DEP_1) | instskip(NEXT) | instid1(VALU_DEP_1)
	v_lshrrev_b32_e32 v62, s48, v62
	v_bitop3_b32 v63, v62, 1, s58 bitop3:0x80
	v_and_b32_e32 v64, s58, v62
	s_delay_alu instid0(VALU_DEP_2) | instskip(NEXT) | instid1(VALU_DEP_1)
	v_add_co_u32 v62, s17, v63, -1
	v_cndmask_b32_e64 v63, 0, 1, s17
	s_delay_alu instid0(VALU_DEP_3) | instskip(NEXT) | instid1(VALU_DEP_2)
	v_lshlrev_b32_e32 v65, 30, v64
	v_cmp_ne_u32_e32 vcc_lo, 0, v63
	s_delay_alu instid0(VALU_DEP_2) | instskip(SKIP_2) | instid1(VALU_DEP_3)
	v_not_b32_e32 v63, v65
	v_cmp_gt_i32_e64 s17, 0, v65
	v_bitop3_b32 v62, vcc_lo, exec_lo, v62 bitop3:0x48
	v_dual_ashrrev_i32 v63, 31, v63 :: v_dual_lshlrev_b32 v136, 29, v64
	v_dual_lshlrev_b32 v186, 28, v64 :: v_dual_lshlrev_b32 v187, 27, v64
	v_lshlrev_b32_e32 v188, 26, v64
	s_delay_alu instid0(VALU_DEP_3)
	v_not_b32_e32 v65, v136
	v_lshlrev_b32_e32 v189, 25, v64
	v_cmp_gt_i32_e64 s18, 0, v136
	v_cmp_gt_i32_e64 s19, 0, v186
	v_not_b32_e32 v136, v186
	v_not_b32_e32 v186, v187
	v_ashrrev_i32_e32 v65, 31, v65
	v_cmp_gt_i32_e64 s20, 0, v187
	v_cmp_gt_i32_e64 s21, 0, v188
	v_not_b32_e32 v187, v188
	v_not_b32_e32 v188, v189
	v_dual_ashrrev_i32 v136, 31, v136 :: v_dual_ashrrev_i32 v186, 31, v186
	v_xor_b32_e32 v63, s17, v63
	s_delay_alu instid0(VALU_DEP_4)
	v_dual_ashrrev_i32 v187, 31, v187 :: v_dual_bitop2_b32 v65, s18, v65 bitop3:0x14
	v_cmp_gt_i32_e64 s22, 0, v189
	v_ashrrev_i32_e32 v188, 31, v188
	v_xor_b32_e32 v136, s19, v136
	v_xor_b32_e32 v186, s20, v186
	v_bitop3_b32 v62, v62, v65, v63 bitop3:0x80
	v_mad_u32_u24 v63, v64, 36, v114
	v_xor_b32_e32 v65, s21, v187
	v_xor_b32_e32 v187, s22, v188
	s_delay_alu instid0(VALU_DEP_4) | instskip(SKIP_3) | instid1(VALU_DEP_2)
	v_bitop3_b32 v62, v62, v186, v136 bitop3:0x80
	ds_load_b32 v136, v63 offset:544
	v_mul_u32_u24_e32 v63, 36, v64
	; wave barrier
	v_bitop3_b32 v62, v62, v187, v65 bitop3:0x80
	v_add_nc_u32_e32 v187, v114, v63
	s_delay_alu instid0(VALU_DEP_2) | instskip(SKIP_1) | instid1(VALU_DEP_2)
	v_mbcnt_lo_u32_b32 v186, v62, 0
	v_cmp_ne_u32_e64 s17, 0, v62
	v_cmp_eq_u32_e32 vcc_lo, 0, v186
	s_and_b32 s18, s17, vcc_lo
	s_delay_alu instid0(SALU_CYCLE_1)
	s_and_saveexec_b32 s17, s18
	s_cbranch_execz .LBB317_469
; %bb.468:                              ;   in Loop: Header=BB317_418 Depth=2
	s_wait_dscnt 0x0
	v_bcnt_u32_b32 v62, v62, v136
	ds_store_b32 v187, v62 offset:544
.LBB317_469:                            ;   in Loop: Header=BB317_418 Depth=2
	s_or_b32 exec_lo, exec_lo, s17
	v_bfe_u32 v62, v135, 16, 8
	; wave barrier
	s_delay_alu instid0(VALU_DEP_1) | instskip(NEXT) | instid1(VALU_DEP_1)
	v_lshrrev_b32_e32 v62, s48, v62
	v_and_b32_e32 v64, s58, v62
	s_delay_alu instid0(VALU_DEP_1) | instskip(SKIP_1) | instid1(VALU_DEP_1)
	v_lshlrev_b32_e32 v65, 30, v64
	v_bitop3_b32 v63, v62, 1, s58 bitop3:0x80
	v_add_co_u32 v62, s17, v63, -1
	s_delay_alu instid0(VALU_DEP_1) | instskip(NEXT) | instid1(VALU_DEP_4)
	v_cndmask_b32_e64 v63, 0, 1, s17
	v_cmp_gt_i32_e64 s17, 0, v65
	s_delay_alu instid0(VALU_DEP_2) | instskip(SKIP_2) | instid1(VALU_DEP_2)
	v_cmp_ne_u32_e32 vcc_lo, 0, v63
	v_not_b32_e32 v63, v65
	v_bitop3_b32 v62, vcc_lo, exec_lo, v62 bitop3:0x48
	v_dual_ashrrev_i32 v63, 31, v63 :: v_dual_lshlrev_b32 v188, 29, v64
	v_dual_lshlrev_b32 v189, 28, v64 :: v_dual_lshlrev_b32 v190, 27, v64
	v_lshlrev_b32_e32 v191, 26, v64
	s_delay_alu instid0(VALU_DEP_3)
	v_not_b32_e32 v65, v188
	v_lshlrev_b32_e32 v192, 25, v64
	v_cmp_gt_i32_e64 s18, 0, v188
	v_cmp_gt_i32_e64 s19, 0, v189
	v_not_b32_e32 v188, v189
	v_not_b32_e32 v189, v190
	v_ashrrev_i32_e32 v65, 31, v65
	v_cmp_gt_i32_e64 s20, 0, v190
	v_cmp_gt_i32_e64 s21, 0, v191
	v_not_b32_e32 v190, v191
	v_dual_ashrrev_i32 v188, 31, v188 :: v_dual_ashrrev_i32 v189, 31, v189
	v_xor_b32_e32 v63, s17, v63
	v_not_b32_e32 v191, v192
	s_delay_alu instid0(VALU_DEP_4) | instskip(NEXT) | instid1(VALU_DEP_4)
	v_dual_ashrrev_i32 v190, 31, v190 :: v_dual_bitop2_b32 v65, s18, v65 bitop3:0x14
	v_xor_b32_e32 v188, s19, v188
	v_xor_b32_e32 v189, s20, v189
	v_cmp_gt_i32_e32 vcc_lo, 0, v192
	s_delay_alu instid0(VALU_DEP_4) | instskip(SKIP_3) | instid1(VALU_DEP_4)
	v_bitop3_b32 v62, v62, v65, v63 bitop3:0x80
	v_ashrrev_i32_e32 v63, 31, v191
	v_mad_u32_u24 v65, v64, 36, v114
	v_xor_b32_e32 v190, s21, v190
	v_bitop3_b32 v62, v62, v189, v188 bitop3:0x80
	s_delay_alu instid0(VALU_DEP_4) | instskip(SKIP_3) | instid1(VALU_DEP_2)
	v_xor_b32_e32 v63, vcc_lo, v63
	ds_load_b32 v188, v65 offset:544
	; wave barrier
	v_bitop3_b32 v62, v62, v63, v190 bitop3:0x80
	v_mul_u32_u24_e32 v63, 36, v64
	v_mbcnt_lo_u32_b32 v189, v62, 0
	v_cmp_ne_u32_e64 s17, 0, v62
	s_delay_alu instid0(VALU_DEP_3) | instskip(NEXT) | instid1(VALU_DEP_3)
	v_add_nc_u32_e32 v191, v114, v63
	v_cmp_eq_u32_e32 vcc_lo, 0, v189
	s_and_b32 s18, s17, vcc_lo
	s_delay_alu instid0(SALU_CYCLE_1)
	s_and_saveexec_b32 s17, s18
	s_cbranch_execz .LBB317_471
; %bb.470:                              ;   in Loop: Header=BB317_418 Depth=2
	s_wait_dscnt 0x0
	v_bcnt_u32_b32 v62, v62, v188
	ds_store_b32 v191, v62 offset:544
.LBB317_471:                            ;   in Loop: Header=BB317_418 Depth=2
	s_or_b32 exec_lo, exec_lo, s17
	v_lshrrev_b32_e32 v190, 24, v135
	; wave barrier
	s_delay_alu instid0(VALU_DEP_1) | instskip(NEXT) | instid1(VALU_DEP_1)
	v_lshrrev_b32_e32 v62, s48, v190
	v_and_b32_e32 v64, s58, v62
	s_delay_alu instid0(VALU_DEP_1) | instskip(SKIP_3) | instid1(VALU_DEP_3)
	v_lshlrev_b32_e32 v65, 30, v64
	v_bitop3_b32 v63, v62, 1, s58 bitop3:0x80
	v_dual_lshlrev_b32 v192, 29, v64 :: v_dual_lshlrev_b32 v193, 28, v64
	v_dual_lshlrev_b32 v194, 27, v64 :: v_dual_lshlrev_b32 v195, 26, v64
	v_add_co_u32 v62, s17, v63, -1
	s_delay_alu instid0(VALU_DEP_1)
	v_cndmask_b32_e64 v63, 0, 1, s17
	v_cmp_gt_i32_e64 s17, 0, v65
	v_cmp_gt_i32_e64 s18, 0, v192
	;; [unrolled: 1-line block ×4, first 2 shown]
	v_cmp_ne_u32_e32 vcc_lo, 0, v63
	v_not_b32_e32 v63, v65
	v_not_b32_e32 v65, v192
	v_lshlrev_b32_e32 v196, 25, v64
	v_not_b32_e32 v192, v193
	v_not_b32_e32 v193, v194
	s_delay_alu instid0(VALU_DEP_4)
	v_dual_ashrrev_i32 v63, 31, v63 :: v_dual_ashrrev_i32 v65, 31, v65
	v_cmp_gt_i32_e64 s21, 0, v195
	v_not_b32_e32 v194, v195
	v_bitop3_b32 v62, vcc_lo, exec_lo, v62 bitop3:0x48
	v_dual_ashrrev_i32 v192, 31, v192 :: v_dual_ashrrev_i32 v193, 31, v193
	v_xor_b32_e32 v63, s17, v63
	s_delay_alu instid0(VALU_DEP_4) | instskip(SKIP_1) | instid1(VALU_DEP_4)
	v_dual_ashrrev_i32 v194, 31, v194 :: v_dual_bitop2_b32 v65, s18, v65 bitop3:0x14
	v_not_b32_e32 v195, v196
	v_xor_b32_e32 v192, s19, v192
	v_xor_b32_e32 v193, s20, v193
	s_delay_alu instid0(VALU_DEP_4)
	v_bitop3_b32 v62, v62, v65, v63 bitop3:0x80
	v_cmp_gt_i32_e32 vcc_lo, 0, v196
	v_ashrrev_i32_e32 v63, 31, v195
	v_mad_u32_u24 v65, v64, 36, v114
	v_xor_b32_e32 v194, s21, v194
	v_bitop3_b32 v62, v62, v193, v192 bitop3:0x80
	s_delay_alu instid0(VALU_DEP_4) | instskip(SKIP_3) | instid1(VALU_DEP_2)
	v_xor_b32_e32 v63, vcc_lo, v63
	ds_load_b32 v192, v65 offset:544
	; wave barrier
	v_bitop3_b32 v62, v62, v63, v194 bitop3:0x80
	v_mul_u32_u24_e32 v63, 36, v64
	v_mbcnt_lo_u32_b32 v193, v62, 0
	v_cmp_ne_u32_e64 s17, 0, v62
	s_delay_alu instid0(VALU_DEP_3) | instskip(NEXT) | instid1(VALU_DEP_3)
	v_add_nc_u32_e32 v194, v114, v63
	v_cmp_eq_u32_e32 vcc_lo, 0, v193
	s_and_b32 s18, s17, vcc_lo
	s_delay_alu instid0(SALU_CYCLE_1)
	s_and_saveexec_b32 s17, s18
	s_cbranch_execz .LBB317_473
; %bb.472:                              ;   in Loop: Header=BB317_418 Depth=2
	s_wait_dscnt 0x0
	v_bcnt_u32_b32 v62, v62, v192
	ds_store_b32 v194, v62 offset:544
.LBB317_473:                            ;   in Loop: Header=BB317_418 Depth=2
	s_or_b32 exec_lo, exec_lo, s17
	v_xor_b32_e32 v115, 0x7f, v115
	; wave barrier
	s_delay_alu instid0(VALU_DEP_1) | instskip(NEXT) | instid1(VALU_DEP_1)
	v_and_b32_e32 v62, 0xff, v115
	v_lshrrev_b32_e32 v62, s48, v62
	s_delay_alu instid0(VALU_DEP_1) | instskip(NEXT) | instid1(VALU_DEP_1)
	v_and_b32_e32 v64, s58, v62
	v_lshlrev_b32_e32 v65, 30, v64
	v_bitop3_b32 v63, v62, 1, s58 bitop3:0x80
	s_delay_alu instid0(VALU_DEP_1) | instskip(NEXT) | instid1(VALU_DEP_1)
	v_add_co_u32 v62, s17, v63, -1
	v_cndmask_b32_e64 v63, 0, 1, s17
	s_delay_alu instid0(VALU_DEP_4) | instskip(NEXT) | instid1(VALU_DEP_2)
	v_cmp_gt_i32_e64 s17, 0, v65
	v_cmp_ne_u32_e32 vcc_lo, 0, v63
	v_not_b32_e32 v63, v65
	v_bitop3_b32 v62, vcc_lo, exec_lo, v62 bitop3:0x48
	s_delay_alu instid0(VALU_DEP_2) | instskip(SKIP_2) | instid1(VALU_DEP_3)
	v_dual_ashrrev_i32 v63, 31, v63 :: v_dual_lshlrev_b32 v195, 29, v64
	v_dual_lshlrev_b32 v196, 28, v64 :: v_dual_lshlrev_b32 v197, 27, v64
	v_lshlrev_b32_e32 v198, 26, v64
	v_not_b32_e32 v65, v195
	v_lshlrev_b32_e32 v199, 25, v64
	v_cmp_gt_i32_e64 s18, 0, v195
	v_cmp_gt_i32_e64 s19, 0, v196
	v_not_b32_e32 v195, v196
	v_not_b32_e32 v196, v197
	v_ashrrev_i32_e32 v65, 31, v65
	v_cmp_gt_i32_e64 s20, 0, v197
	v_cmp_gt_i32_e64 s21, 0, v198
	v_not_b32_e32 v197, v198
	v_not_b32_e32 v198, v199
	v_dual_ashrrev_i32 v195, 31, v195 :: v_dual_ashrrev_i32 v196, 31, v196
	s_delay_alu instid0(VALU_DEP_3) | instskip(NEXT) | instid1(VALU_DEP_3)
	v_dual_ashrrev_i32 v197, 31, v197 :: v_dual_bitop2_b32 v63, s17, v63 bitop3:0x14
	v_dual_ashrrev_i32 v198, 31, v198 :: v_dual_bitop2_b32 v65, s18, v65 bitop3:0x14
	v_cmp_gt_i32_e64 s22, 0, v199
	s_delay_alu instid0(VALU_DEP_4) | instskip(SKIP_1) | instid1(VALU_DEP_4)
	v_xor_b32_e32 v195, s19, v195
	v_xor_b32_e32 v196, s20, v196
	v_bitop3_b32 v62, v62, v65, v63 bitop3:0x80
	v_mad_u32_u24 v63, v64, 36, v114
	v_xor_b32_e32 v65, s21, v197
	v_xor_b32_e32 v197, s22, v198
	s_delay_alu instid0(VALU_DEP_4) | instskip(SKIP_3) | instid1(VALU_DEP_2)
	v_bitop3_b32 v62, v62, v196, v195 bitop3:0x80
	ds_load_b32 v195, v63 offset:544
	v_mul_u32_u24_e32 v63, 36, v64
	; wave barrier
	v_bitop3_b32 v62, v62, v197, v65 bitop3:0x80
	v_add_nc_u32_e32 v197, v114, v63
	s_delay_alu instid0(VALU_DEP_2) | instskip(SKIP_1) | instid1(VALU_DEP_2)
	v_mbcnt_lo_u32_b32 v196, v62, 0
	v_cmp_ne_u32_e64 s17, 0, v62
	v_cmp_eq_u32_e32 vcc_lo, 0, v196
	s_and_b32 s18, s17, vcc_lo
	s_delay_alu instid0(SALU_CYCLE_1)
	s_and_saveexec_b32 s17, s18
	s_cbranch_execz .LBB317_475
; %bb.474:                              ;   in Loop: Header=BB317_418 Depth=2
	s_wait_dscnt 0x0
	v_bcnt_u32_b32 v62, v62, v195
	ds_store_b32 v197, v62 offset:544
.LBB317_475:                            ;   in Loop: Header=BB317_418 Depth=2
	s_or_b32 exec_lo, exec_lo, s17
	; wave barrier
	s_wait_dscnt 0x0
	s_barrier_signal -1
	s_barrier_wait -1
	ds_load_2addr_b32 v[64:65], v90 offset0:136 offset1:137
	ds_load_2addr_b32 v[62:63], v90 offset0:138 offset1:139
	ds_load_b32 v198, v90 offset:560
	s_wait_dscnt 0x1
	v_add3_u32 v199, v65, v64, v62
	s_wait_dscnt 0x0
	s_delay_alu instid0(VALU_DEP_1) | instskip(NEXT) | instid1(VALU_DEP_1)
	v_add3_u32 v198, v199, v63, v198
	v_mov_b32_dpp v199, v198 row_shr:1 row_mask:0xf bank_mask:0xf
	s_delay_alu instid0(VALU_DEP_1) | instskip(NEXT) | instid1(VALU_DEP_1)
	v_cndmask_b32_e64 v199, v199, 0, s8
	v_add_nc_u32_e32 v198, v199, v198
	s_delay_alu instid0(VALU_DEP_1) | instskip(NEXT) | instid1(VALU_DEP_1)
	v_mov_b32_dpp v199, v198 row_shr:2 row_mask:0xf bank_mask:0xf
	v_cndmask_b32_e64 v199, 0, v199, s9
	s_delay_alu instid0(VALU_DEP_1) | instskip(NEXT) | instid1(VALU_DEP_1)
	v_add_nc_u32_e32 v198, v198, v199
	v_mov_b32_dpp v199, v198 row_shr:4 row_mask:0xf bank_mask:0xf
	s_delay_alu instid0(VALU_DEP_1) | instskip(NEXT) | instid1(VALU_DEP_1)
	v_cndmask_b32_e64 v199, 0, v199, s10
	v_add_nc_u32_e32 v198, v198, v199
	s_delay_alu instid0(VALU_DEP_1) | instskip(NEXT) | instid1(VALU_DEP_1)
	v_mov_b32_dpp v199, v198 row_shr:8 row_mask:0xf bank_mask:0xf
	v_cndmask_b32_e64 v199, 0, v199, s11
	s_delay_alu instid0(VALU_DEP_1) | instskip(SKIP_3) | instid1(VALU_DEP_1)
	v_add_nc_u32_e32 v198, v198, v199
	ds_swizzle_b32 v199, v198 offset:swizzle(BROADCAST,32,15)
	s_wait_dscnt 0x0
	v_cndmask_b32_e64 v199, v199, 0, s12
	v_add_nc_u32_e32 v198, v198, v199
	s_and_saveexec_b32 s17, s2
; %bb.476:                              ;   in Loop: Header=BB317_418 Depth=2
	ds_store_b32 v83, v198 offset:512
; %bb.477:                              ;   in Loop: Header=BB317_418 Depth=2
	s_or_b32 exec_lo, exec_lo, s17
	s_wait_dscnt 0x0
	s_barrier_signal -1
	s_barrier_wait -1
	s_and_saveexec_b32 s17, s3
	s_cbranch_execz .LBB317_479
; %bb.478:                              ;   in Loop: Header=BB317_418 Depth=2
	ds_load_b32 v199, v92 offset:512
	s_wait_dscnt 0x0
	v_mov_b32_dpp v200, v199 row_shr:1 row_mask:0xf bank_mask:0xf
	s_delay_alu instid0(VALU_DEP_1) | instskip(NEXT) | instid1(VALU_DEP_1)
	v_cndmask_b32_e64 v200, v200, 0, s14
	v_add_nc_u32_e32 v199, v200, v199
	s_delay_alu instid0(VALU_DEP_1) | instskip(NEXT) | instid1(VALU_DEP_1)
	v_mov_b32_dpp v200, v199 row_shr:2 row_mask:0xf bank_mask:0xf
	v_cndmask_b32_e64 v200, 0, v200, s15
	s_delay_alu instid0(VALU_DEP_1) | instskip(NEXT) | instid1(VALU_DEP_1)
	v_add_nc_u32_e32 v199, v199, v200
	v_mov_b32_dpp v200, v199 row_shr:4 row_mask:0xf bank_mask:0xf
	s_delay_alu instid0(VALU_DEP_1) | instskip(NEXT) | instid1(VALU_DEP_1)
	v_cndmask_b32_e64 v200, 0, v200, s16
	v_add_nc_u32_e32 v199, v199, v200
	ds_store_b32 v92, v199 offset:512
.LBB317_479:                            ;   in Loop: Header=BB317_418 Depth=2
	s_or_b32 exec_lo, exec_lo, s17
	v_mov_b32_e32 v199, 0
	s_wait_dscnt 0x0
	s_barrier_signal -1
	s_barrier_wait -1
	s_and_saveexec_b32 s17, s5
; %bb.480:                              ;   in Loop: Header=BB317_418 Depth=2
	ds_load_b32 v199, v83 offset:508
; %bb.481:                              ;   in Loop: Header=BB317_418 Depth=2
	s_or_b32 exec_lo, exec_lo, s17
	s_wait_dscnt 0x0
	v_add_nc_u32_e32 v198, v199, v198
	ds_bpermute_b32 v198, v96, v198
	s_wait_dscnt 0x0
	v_cndmask_b32_e64 v198, v198, v199, s13
	s_delay_alu instid0(VALU_DEP_1) | instskip(NEXT) | instid1(VALU_DEP_1)
	v_cndmask_b32_e64 v198, v198, 0, s6
	v_add_nc_u32_e32 v64, v198, v64
	s_delay_alu instid0(VALU_DEP_1) | instskip(NEXT) | instid1(VALU_DEP_1)
	v_add_nc_u32_e32 v65, v64, v65
	v_add_nc_u32_e32 v62, v65, v62
	s_delay_alu instid0(VALU_DEP_1)
	v_add_nc_u32_e32 v63, v62, v63
	ds_store_2addr_b32 v90, v198, v64 offset0:136 offset1:137
	ds_store_2addr_b32 v90, v65, v62 offset0:138 offset1:139
	ds_store_b32 v90, v63 offset:560
	s_wait_dscnt 0x0
	s_barrier_signal -1
	s_barrier_wait -1
	ds_load_b32 v62, v149 offset:544
	ds_load_b32 v63, v152 offset:544
	;; [unrolled: 1-line block ×17, first 2 shown]
	s_and_saveexec_b32 s17, s0
	s_cbranch_execz .LBB317_485
; %bb.482:                              ;   in Loop: Header=BB317_418 Depth=2
	v_dual_mov_b32 v134, 0x1100 :: v_dual_add_nc_u32 v133, v92, v94
	ds_load_b32 v133, v133 offset:544
	s_and_saveexec_b32 s18, s7
; %bb.483:                              ;   in Loop: Header=BB317_418 Depth=2
	ds_load_b32 v134, v93 offset:544
; %bb.484:                              ;   in Loop: Header=BB317_418 Depth=2
	s_or_b32 exec_lo, exec_lo, s18
	s_wait_dscnt 0x0
	v_sub_nc_u32_e32 v134, v134, v133
.LBB317_485:                            ;   in Loop: Header=BB317_418 Depth=2
	s_or_b32 exec_lo, exec_lo, s17
	v_dual_lshrrev_b32 v202, 8, v148 :: v_dual_lshrrev_b32 v203, 16, v148
	v_dual_lshrrev_b32 v200, 8, v143 :: v_dual_lshrrev_b32 v201, 16, v143
	;; [unrolled: 1-line block ×4, first 2 shown]
	s_wait_dscnt 0x0
	s_barrier_signal -1
	s_barrier_wait -1
	s_and_saveexec_b32 s17, s0
	s_cbranch_execz .LBB317_487
; %bb.486:                              ;   in Loop: Header=BB317_418 Depth=2
	ds_load_b32 v135, v66
	s_wait_dscnt 0x0
	v_sub_nc_u32_e32 v135, v135, v133
	ds_store_b32 v66, v135
.LBB317_487:                            ;   in Loop: Header=BB317_418 Depth=2
	s_or_b32 exec_lo, exec_lo, s17
	v_add_nc_u32_e32 v156, v62, v146
	v_add3_u32 v152, v151, v150, v63
	v_add3_u32 v151, v154, v153, v64
	v_add3_u32 v150, v158, v157, v65
	v_add3_u32 v149, v161, v160, v149
	v_add3_u32 v148, v145, v144, v159
	v_add3_u32 v146, v165, v164, v162
	v_add3_u32 v145, v169, v168, v163
	v_add3_u32 v144, v172, v171, v167
	v_add3_u32 v143, v141, v140, v170
	v_add3_u32 v141, v176, v175, v173
	v_add3_u32 v140, v180, v179, v174
	v_add3_u32 v139, v183, v182, v178
	v_add3_u32 v136, v186, v136, v181
	v_add3_u32 v135, v189, v188, v185
	v_add3_u32 v65, v193, v192, v187
	v_add3_u32 v64, v196, v195, v191
	v_cmp_lt_u32_e32 vcc_lo, v2, v137
	ds_store_b8 v156, v147 offset:512
	ds_store_b8 v152, v202 offset:512
	ds_store_b8 v151, v203 offset:512
	ds_store_b8 v150, v155 offset:512
	ds_store_b8 v149, v142 offset:512
	ds_store_b8 v148, v200 offset:512
	ds_store_b8 v146, v201 offset:512
	ds_store_b8 v145, v166 offset:512
	ds_store_b8 v144, v138 offset:512
	ds_store_b8 v143, v198 offset:512
	ds_store_b8 v141, v199 offset:512
	ds_store_b8 v140, v177 offset:512
	ds_store_b8 v139, v184 offset:512
	ds_store_b8 v136, v194 offset:512
	ds_store_b8 v135, v197 offset:512
	ds_store_b8 v65, v190 offset:512
	ds_store_b8 v64, v115 offset:512
	s_wait_dscnt 0x0
	s_barrier_signal -1
	s_barrier_wait -1
	s_and_saveexec_b32 s17, vcc_lo
	s_cbranch_execnz .LBB317_560
; %bb.488:                              ;   in Loop: Header=BB317_418 Depth=2
	s_or_b32 exec_lo, exec_lo, s17
	v_cmp_lt_u32_e64 s17, v67, v137
	s_and_saveexec_b32 s18, s17
	s_cbranch_execnz .LBB317_561
.LBB317_489:                            ;   in Loop: Header=BB317_418 Depth=2
	s_or_b32 exec_lo, exec_lo, s18
	v_cmp_lt_u32_e64 s18, v68, v137
	s_and_saveexec_b32 s19, s18
	s_cbranch_execnz .LBB317_562
.LBB317_490:                            ;   in Loop: Header=BB317_418 Depth=2
	s_or_b32 exec_lo, exec_lo, s19
	v_cmp_lt_u32_e64 s19, v69, v137
	s_and_saveexec_b32 s20, s19
	s_cbranch_execnz .LBB317_563
.LBB317_491:                            ;   in Loop: Header=BB317_418 Depth=2
	s_or_b32 exec_lo, exec_lo, s20
	v_cmp_lt_u32_e64 s20, v70, v137
	s_and_saveexec_b32 s21, s20
	s_cbranch_execnz .LBB317_564
.LBB317_492:                            ;   in Loop: Header=BB317_418 Depth=2
	s_or_b32 exec_lo, exec_lo, s21
	v_cmp_lt_u32_e64 s21, v71, v137
	s_and_saveexec_b32 s22, s21
	s_cbranch_execnz .LBB317_565
.LBB317_493:                            ;   in Loop: Header=BB317_418 Depth=2
	s_or_b32 exec_lo, exec_lo, s22
	v_cmp_lt_u32_e64 s22, v72, v137
	s_and_saveexec_b32 s23, s22
	s_cbranch_execnz .LBB317_566
.LBB317_494:                            ;   in Loop: Header=BB317_418 Depth=2
	s_or_b32 exec_lo, exec_lo, s23
	v_cmp_lt_u32_e64 s23, v73, v137
	s_and_saveexec_b32 s24, s23
	s_cbranch_execnz .LBB317_567
.LBB317_495:                            ;   in Loop: Header=BB317_418 Depth=2
	s_or_b32 exec_lo, exec_lo, s24
	v_cmp_lt_u32_e64 s24, v74, v137
	s_and_saveexec_b32 s25, s24
	s_cbranch_execnz .LBB317_568
.LBB317_496:                            ;   in Loop: Header=BB317_418 Depth=2
	s_or_b32 exec_lo, exec_lo, s25
	v_cmp_lt_u32_e64 s25, v75, v137
	s_and_saveexec_b32 s26, s25
	s_cbranch_execnz .LBB317_569
.LBB317_497:                            ;   in Loop: Header=BB317_418 Depth=2
	s_or_b32 exec_lo, exec_lo, s26
	v_cmp_lt_u32_e64 s26, v76, v137
	s_and_saveexec_b32 s27, s26
	s_cbranch_execnz .LBB317_570
.LBB317_498:                            ;   in Loop: Header=BB317_418 Depth=2
	s_or_b32 exec_lo, exec_lo, s27
	v_cmp_lt_u32_e64 s27, v77, v137
	s_and_saveexec_b32 s28, s27
	s_cbranch_execnz .LBB317_571
.LBB317_499:                            ;   in Loop: Header=BB317_418 Depth=2
	s_or_b32 exec_lo, exec_lo, s28
	v_cmp_lt_u32_e64 s28, v78, v137
	s_and_saveexec_b32 s29, s28
	s_cbranch_execnz .LBB317_572
.LBB317_500:                            ;   in Loop: Header=BB317_418 Depth=2
	s_or_b32 exec_lo, exec_lo, s29
	v_cmp_lt_u32_e64 s29, v79, v137
	s_and_saveexec_b32 s30, s29
	s_cbranch_execnz .LBB317_573
.LBB317_501:                            ;   in Loop: Header=BB317_418 Depth=2
	s_or_b32 exec_lo, exec_lo, s30
	v_cmp_lt_u32_e64 s30, v80, v137
	s_and_saveexec_b32 s31, s30
	s_cbranch_execnz .LBB317_574
.LBB317_502:                            ;   in Loop: Header=BB317_418 Depth=2
	s_or_b32 exec_lo, exec_lo, s31
	v_cmp_lt_u32_e64 s31, v81, v137
	s_and_saveexec_b32 s33, s31
	s_cbranch_execnz .LBB317_575
.LBB317_503:                            ;   in Loop: Header=BB317_418 Depth=2
	s_or_b32 exec_lo, exec_lo, s33
	v_cmp_lt_u32_e64 s33, v82, v137
	s_and_saveexec_b32 s61, s33
	s_cbranch_execz .LBB317_505
.LBB317_504:                            ;   in Loop: Header=BB317_418 Depth=2
	ds_load_u8 v62, v2 offset:4608
	s_wait_dscnt 0x0
	v_and_b32_e32 v63, 0xff, v62
	v_xor_b32_e32 v62, 0x7f, v62
	s_delay_alu instid0(VALU_DEP_2) | instskip(NEXT) | instid1(VALU_DEP_1)
	v_lshrrev_b32_e32 v63, s48, v63
	v_and_b32_e32 v63, s58, v63
	s_delay_alu instid0(VALU_DEP_1)
	v_lshlrev_b32_e32 v63, 2, v63
	ds_load_b32 v63, v63
	s_wait_dscnt 0x0
	v_add_nc_u32_e32 v63, v63, v82
	global_store_b8 v63, v62, s[40:41]
.LBB317_505:                            ;   in Loop: Header=BB317_418 Depth=2
	s_wait_xcnt 0x0
	s_or_b32 exec_lo, exec_lo, s61
	v_lshl_add_u64 v[62:63], s[34:35], 3, v[26:27]
	v_cmp_lt_u32_e64 s34, v97, v137
	s_and_saveexec_b32 s61, s34
	s_delay_alu instid0(SALU_CYCLE_1)
	s_xor_b32 s34, exec_lo, s61
	s_cbranch_execnz .LBB317_576
; %bb.506:                              ;   in Loop: Header=BB317_418 Depth=2
	s_or_b32 exec_lo, exec_lo, s34
	s_delay_alu instid0(SALU_CYCLE_1)
	s_mov_b32 s61, exec_lo
	v_cmpx_lt_u32_e64 v98, v137
	s_cbranch_execnz .LBB317_577
.LBB317_507:                            ;   in Loop: Header=BB317_418 Depth=2
	s_or_b32 exec_lo, exec_lo, s61
	s_delay_alu instid0(SALU_CYCLE_1)
	s_mov_b32 s61, exec_lo
	v_cmpx_lt_u32_e64 v99, v137
	s_cbranch_execnz .LBB317_578
.LBB317_508:                            ;   in Loop: Header=BB317_418 Depth=2
	s_or_b32 exec_lo, exec_lo, s61
	s_delay_alu instid0(SALU_CYCLE_1)
	s_mov_b32 s61, exec_lo
	v_cmpx_lt_u32_e64 v100, v137
	s_cbranch_execnz .LBB317_579
.LBB317_509:                            ;   in Loop: Header=BB317_418 Depth=2
	s_or_b32 exec_lo, exec_lo, s61
	s_delay_alu instid0(SALU_CYCLE_1)
	s_mov_b32 s61, exec_lo
	v_cmpx_lt_u32_e64 v101, v137
	s_cbranch_execnz .LBB317_580
.LBB317_510:                            ;   in Loop: Header=BB317_418 Depth=2
	s_or_b32 exec_lo, exec_lo, s61
	s_delay_alu instid0(SALU_CYCLE_1)
	s_mov_b32 s61, exec_lo
	v_cmpx_lt_u32_e64 v102, v137
	s_cbranch_execnz .LBB317_581
.LBB317_511:                            ;   in Loop: Header=BB317_418 Depth=2
	s_or_b32 exec_lo, exec_lo, s61
	s_delay_alu instid0(SALU_CYCLE_1)
	s_mov_b32 s61, exec_lo
	v_cmpx_lt_u32_e64 v103, v137
	s_cbranch_execnz .LBB317_582
.LBB317_512:                            ;   in Loop: Header=BB317_418 Depth=2
	s_or_b32 exec_lo, exec_lo, s61
	s_delay_alu instid0(SALU_CYCLE_1)
	s_mov_b32 s61, exec_lo
	v_cmpx_lt_u32_e64 v104, v137
	s_cbranch_execnz .LBB317_583
.LBB317_513:                            ;   in Loop: Header=BB317_418 Depth=2
	s_or_b32 exec_lo, exec_lo, s61
	s_delay_alu instid0(SALU_CYCLE_1)
	s_mov_b32 s61, exec_lo
	v_cmpx_lt_u32_e64 v105, v137
	s_cbranch_execnz .LBB317_584
.LBB317_514:                            ;   in Loop: Header=BB317_418 Depth=2
	s_or_b32 exec_lo, exec_lo, s61
	s_delay_alu instid0(SALU_CYCLE_1)
	s_mov_b32 s61, exec_lo
	v_cmpx_lt_u32_e64 v106, v137
	s_cbranch_execnz .LBB317_585
.LBB317_515:                            ;   in Loop: Header=BB317_418 Depth=2
	s_or_b32 exec_lo, exec_lo, s61
	s_delay_alu instid0(SALU_CYCLE_1)
	s_mov_b32 s61, exec_lo
	v_cmpx_lt_u32_e64 v107, v137
	s_cbranch_execnz .LBB317_586
.LBB317_516:                            ;   in Loop: Header=BB317_418 Depth=2
	s_or_b32 exec_lo, exec_lo, s61
	s_delay_alu instid0(SALU_CYCLE_1)
	s_mov_b32 s61, exec_lo
	v_cmpx_lt_u32_e64 v108, v137
	s_cbranch_execnz .LBB317_587
.LBB317_517:                            ;   in Loop: Header=BB317_418 Depth=2
	s_or_b32 exec_lo, exec_lo, s61
	s_delay_alu instid0(SALU_CYCLE_1)
	s_mov_b32 s61, exec_lo
	v_cmpx_lt_u32_e64 v109, v137
	s_cbranch_execnz .LBB317_588
.LBB317_518:                            ;   in Loop: Header=BB317_418 Depth=2
	s_or_b32 exec_lo, exec_lo, s61
	s_delay_alu instid0(SALU_CYCLE_1)
	s_mov_b32 s61, exec_lo
	v_cmpx_lt_u32_e64 v110, v137
	s_cbranch_execnz .LBB317_589
.LBB317_519:                            ;   in Loop: Header=BB317_418 Depth=2
	s_or_b32 exec_lo, exec_lo, s61
	s_delay_alu instid0(SALU_CYCLE_1)
	s_mov_b32 s61, exec_lo
	v_cmpx_lt_u32_e64 v111, v137
	s_cbranch_execnz .LBB317_590
.LBB317_520:                            ;   in Loop: Header=BB317_418 Depth=2
	s_or_b32 exec_lo, exec_lo, s61
	s_delay_alu instid0(SALU_CYCLE_1)
	s_mov_b32 s61, exec_lo
	v_cmpx_lt_u32_e64 v112, v137
	s_cbranch_execnz .LBB317_591
.LBB317_521:                            ;   in Loop: Header=BB317_418 Depth=2
	s_or_b32 exec_lo, exec_lo, s61
	s_delay_alu instid0(SALU_CYCLE_1)
	s_mov_b32 s61, exec_lo
	v_cmpx_lt_u32_e64 v113, v137
	s_cbranch_execnz .LBB317_592
.LBB317_522:                            ;   in Loop: Header=BB317_418 Depth=2
	s_or_b32 exec_lo, exec_lo, s61
	s_and_saveexec_b32 s34, vcc_lo
	s_cbranch_execnz .LBB317_593
.LBB317_523:                            ;   in Loop: Header=BB317_418 Depth=2
	s_or_b32 exec_lo, exec_lo, s34
	s_and_saveexec_b32 s34, s17
	s_cbranch_execnz .LBB317_594
.LBB317_524:                            ;   in Loop: Header=BB317_418 Depth=2
	s_or_b32 exec_lo, exec_lo, s34
	s_and_saveexec_b32 s34, s18
	s_cbranch_execnz .LBB317_595
.LBB317_525:                            ;   in Loop: Header=BB317_418 Depth=2
	s_or_b32 exec_lo, exec_lo, s34
	s_and_saveexec_b32 s34, s19
	s_cbranch_execnz .LBB317_596
.LBB317_526:                            ;   in Loop: Header=BB317_418 Depth=2
	s_or_b32 exec_lo, exec_lo, s34
	s_and_saveexec_b32 s34, s20
	s_cbranch_execnz .LBB317_597
.LBB317_527:                            ;   in Loop: Header=BB317_418 Depth=2
	s_or_b32 exec_lo, exec_lo, s34
	s_and_saveexec_b32 s34, s21
	s_cbranch_execnz .LBB317_598
.LBB317_528:                            ;   in Loop: Header=BB317_418 Depth=2
	s_or_b32 exec_lo, exec_lo, s34
	s_and_saveexec_b32 s34, s22
	s_cbranch_execnz .LBB317_599
.LBB317_529:                            ;   in Loop: Header=BB317_418 Depth=2
	s_or_b32 exec_lo, exec_lo, s34
	s_and_saveexec_b32 s34, s23
	s_cbranch_execnz .LBB317_600
.LBB317_530:                            ;   in Loop: Header=BB317_418 Depth=2
	s_or_b32 exec_lo, exec_lo, s34
	s_and_saveexec_b32 s34, s24
	s_cbranch_execnz .LBB317_601
.LBB317_531:                            ;   in Loop: Header=BB317_418 Depth=2
	s_or_b32 exec_lo, exec_lo, s34
	s_and_saveexec_b32 s34, s25
	s_cbranch_execnz .LBB317_602
.LBB317_532:                            ;   in Loop: Header=BB317_418 Depth=2
	s_or_b32 exec_lo, exec_lo, s34
	s_and_saveexec_b32 s34, s26
	s_cbranch_execnz .LBB317_603
.LBB317_533:                            ;   in Loop: Header=BB317_418 Depth=2
	s_or_b32 exec_lo, exec_lo, s34
	s_and_saveexec_b32 s34, s27
	s_cbranch_execnz .LBB317_604
.LBB317_534:                            ;   in Loop: Header=BB317_418 Depth=2
	s_or_b32 exec_lo, exec_lo, s34
	s_and_saveexec_b32 s34, s28
	s_cbranch_execnz .LBB317_605
.LBB317_535:                            ;   in Loop: Header=BB317_418 Depth=2
	s_or_b32 exec_lo, exec_lo, s34
	s_and_saveexec_b32 s34, s29
	s_cbranch_execnz .LBB317_606
.LBB317_536:                            ;   in Loop: Header=BB317_418 Depth=2
	s_or_b32 exec_lo, exec_lo, s34
	s_and_saveexec_b32 s34, s30
	s_cbranch_execnz .LBB317_607
.LBB317_537:                            ;   in Loop: Header=BB317_418 Depth=2
	s_or_b32 exec_lo, exec_lo, s34
	s_and_saveexec_b32 s34, s31
	s_cbranch_execnz .LBB317_608
.LBB317_538:                            ;   in Loop: Header=BB317_418 Depth=2
	s_or_b32 exec_lo, exec_lo, s34
	s_and_saveexec_b32 s34, s33
	s_cbranch_execz .LBB317_540
.LBB317_539:                            ;   in Loop: Header=BB317_418 Depth=2
	ds_load_u8 v62, v2 offset:4608
	s_wait_dscnt 0x0
	v_lshrrev_b32_e32 v62, s48, v62
	s_delay_alu instid0(VALU_DEP_1)
	v_and_b32_e32 v116, s58, v62
.LBB317_540:                            ;   in Loop: Header=BB317_418 Depth=2
	s_or_b32 exec_lo, exec_lo, s34
	v_lshlrev_b32_e32 v62, 3, v156
	v_lshlrev_b32_e32 v63, 3, v152
	s_wait_loadcnt 0x0
	s_wait_storecnt 0x0
	s_barrier_signal -1
	s_barrier_wait -1
	ds_store_b64 v62, v[60:61] offset:512
	ds_store_b64 v63, v[58:59] offset:512
	v_dual_lshlrev_b32 v62, 3, v151 :: v_dual_lshlrev_b32 v63, 3, v150
	v_dual_lshlrev_b32 v137, 3, v149 :: v_dual_lshlrev_b32 v138, 3, v148
	v_lshlrev_b32_e32 v142, 3, v146
	ds_store_b64 v62, v[56:57] offset:512
	ds_store_b64 v63, v[54:55] offset:512
	ds_store_b64 v137, v[52:53] offset:512
	ds_store_b64 v138, v[50:51] offset:512
	ds_store_b64 v142, v[48:49] offset:512
	v_dual_lshlrev_b32 v62, 3, v145 :: v_dual_lshlrev_b32 v63, 3, v144
	v_dual_lshlrev_b32 v137, 3, v143 :: v_dual_lshlrev_b32 v138, 3, v141
	v_lshlrev_b32_e32 v140, 3, v140
	ds_store_b64 v62, v[46:47] offset:512
	ds_store_b64 v63, v[44:45] offset:512
	ds_store_b64 v137, v[42:43] offset:512
	;; [unrolled: 8-line block ×3, first 2 shown]
	ds_store_b64 v65, v[30:31] offset:512
	ds_store_b64 v64, v[28:29] offset:512
	s_wait_dscnt 0x0
	s_barrier_signal -1
	s_barrier_wait -1
	s_and_saveexec_b32 s34, vcc_lo
	s_cbranch_execnz .LBB317_609
; %bb.541:                              ;   in Loop: Header=BB317_418 Depth=2
	s_or_b32 exec_lo, exec_lo, s34
	s_and_saveexec_b32 s34, s17
	s_cbranch_execnz .LBB317_610
.LBB317_542:                            ;   in Loop: Header=BB317_418 Depth=2
	s_or_b32 exec_lo, exec_lo, s34
	s_and_saveexec_b32 s17, s18
	s_cbranch_execnz .LBB317_611
.LBB317_543:                            ;   in Loop: Header=BB317_418 Depth=2
	s_or_b32 exec_lo, exec_lo, s17
	s_and_saveexec_b32 s17, s19
	s_cbranch_execnz .LBB317_612
.LBB317_544:                            ;   in Loop: Header=BB317_418 Depth=2
	s_or_b32 exec_lo, exec_lo, s17
	s_and_saveexec_b32 s17, s20
	s_cbranch_execnz .LBB317_613
.LBB317_545:                            ;   in Loop: Header=BB317_418 Depth=2
	s_or_b32 exec_lo, exec_lo, s17
	s_and_saveexec_b32 s17, s21
	s_cbranch_execnz .LBB317_614
.LBB317_546:                            ;   in Loop: Header=BB317_418 Depth=2
	s_or_b32 exec_lo, exec_lo, s17
	s_and_saveexec_b32 s17, s22
	s_cbranch_execnz .LBB317_615
.LBB317_547:                            ;   in Loop: Header=BB317_418 Depth=2
	s_or_b32 exec_lo, exec_lo, s17
	s_and_saveexec_b32 s17, s23
	s_cbranch_execnz .LBB317_616
.LBB317_548:                            ;   in Loop: Header=BB317_418 Depth=2
	s_or_b32 exec_lo, exec_lo, s17
	s_and_saveexec_b32 s17, s24
	s_cbranch_execnz .LBB317_617
.LBB317_549:                            ;   in Loop: Header=BB317_418 Depth=2
	s_or_b32 exec_lo, exec_lo, s17
	s_and_saveexec_b32 s17, s25
	s_cbranch_execnz .LBB317_618
.LBB317_550:                            ;   in Loop: Header=BB317_418 Depth=2
	s_or_b32 exec_lo, exec_lo, s17
	s_and_saveexec_b32 s17, s26
	s_cbranch_execnz .LBB317_619
.LBB317_551:                            ;   in Loop: Header=BB317_418 Depth=2
	s_or_b32 exec_lo, exec_lo, s17
	s_and_saveexec_b32 s17, s27
	s_cbranch_execnz .LBB317_620
.LBB317_552:                            ;   in Loop: Header=BB317_418 Depth=2
	s_or_b32 exec_lo, exec_lo, s17
	s_and_saveexec_b32 s17, s28
	s_cbranch_execnz .LBB317_621
.LBB317_553:                            ;   in Loop: Header=BB317_418 Depth=2
	s_or_b32 exec_lo, exec_lo, s17
	s_and_saveexec_b32 s17, s29
	s_cbranch_execnz .LBB317_622
.LBB317_554:                            ;   in Loop: Header=BB317_418 Depth=2
	s_or_b32 exec_lo, exec_lo, s17
	s_and_saveexec_b32 s17, s30
	s_cbranch_execnz .LBB317_623
.LBB317_555:                            ;   in Loop: Header=BB317_418 Depth=2
	s_or_b32 exec_lo, exec_lo, s17
	s_and_saveexec_b32 s17, s31
	s_cbranch_execnz .LBB317_624
.LBB317_556:                            ;   in Loop: Header=BB317_418 Depth=2
	s_or_b32 exec_lo, exec_lo, s17
	s_and_saveexec_b32 s17, s33
	s_cbranch_execz .LBB317_558
.LBB317_557:                            ;   in Loop: Header=BB317_418 Depth=2
	v_dual_lshlrev_b32 v62, 2, v116 :: v_dual_add_nc_u32 v63, v2, v95
	ds_load_b32 v64, v62
	ds_load_b64 v[62:63], v63 offset:33280
	s_wait_dscnt 0x1
	v_add_nc_u32_e32 v64, v64, v82
	s_wait_dscnt 0x0
	global_store_b64 v64, v[62:63], s[46:47] scale_offset
.LBB317_558:                            ;   in Loop: Header=BB317_418 Depth=2
	s_wait_xcnt 0x0
	s_or_b32 exec_lo, exec_lo, s17
	s_wait_storecnt 0x0
	s_barrier_signal -1
	s_barrier_wait -1
	s_and_saveexec_b32 s17, s0
	s_cbranch_execz .LBB317_417
; %bb.559:                              ;   in Loop: Header=BB317_418 Depth=2
	ds_load_b32 v62, v66
	s_wait_dscnt 0x0
	v_add3_u32 v62, v133, v134, v62
	ds_store_b32 v66, v62
	s_branch .LBB317_417
.LBB317_560:                            ;   in Loop: Header=BB317_418 Depth=2
	ds_load_u8 v62, v2 offset:512
	s_wait_dscnt 0x0
	v_and_b32_e32 v63, 0xff, v62
	v_xor_b32_e32 v62, 0x7f, v62
	s_delay_alu instid0(VALU_DEP_2) | instskip(NEXT) | instid1(VALU_DEP_1)
	v_lshrrev_b32_e32 v63, s48, v63
	v_and_b32_e32 v63, s58, v63
	s_delay_alu instid0(VALU_DEP_1)
	v_lshlrev_b32_e32 v63, 2, v63
	ds_load_b32 v63, v63
	s_wait_dscnt 0x0
	v_add_nc_u32_e32 v63, v63, v2
	global_store_b8 v63, v62, s[40:41]
	s_wait_xcnt 0x0
	s_or_b32 exec_lo, exec_lo, s17
	v_cmp_lt_u32_e64 s17, v67, v137
	s_and_saveexec_b32 s18, s17
	s_cbranch_execz .LBB317_489
.LBB317_561:                            ;   in Loop: Header=BB317_418 Depth=2
	ds_load_u8 v62, v2 offset:768
	s_wait_dscnt 0x0
	v_and_b32_e32 v63, 0xff, v62
	v_xor_b32_e32 v62, 0x7f, v62
	s_delay_alu instid0(VALU_DEP_2) | instskip(NEXT) | instid1(VALU_DEP_1)
	v_lshrrev_b32_e32 v63, s48, v63
	v_and_b32_e32 v63, s58, v63
	s_delay_alu instid0(VALU_DEP_1)
	v_lshlrev_b32_e32 v63, 2, v63
	ds_load_b32 v63, v63
	s_wait_dscnt 0x0
	v_add_nc_u32_e32 v63, v63, v67
	global_store_b8 v63, v62, s[40:41]
	s_wait_xcnt 0x0
	s_or_b32 exec_lo, exec_lo, s18
	v_cmp_lt_u32_e64 s18, v68, v137
	s_and_saveexec_b32 s19, s18
	s_cbranch_execz .LBB317_490
.LBB317_562:                            ;   in Loop: Header=BB317_418 Depth=2
	ds_load_u8 v62, v2 offset:1024
	s_wait_dscnt 0x0
	v_and_b32_e32 v63, 0xff, v62
	v_xor_b32_e32 v62, 0x7f, v62
	s_delay_alu instid0(VALU_DEP_2) | instskip(NEXT) | instid1(VALU_DEP_1)
	v_lshrrev_b32_e32 v63, s48, v63
	v_and_b32_e32 v63, s58, v63
	s_delay_alu instid0(VALU_DEP_1)
	v_lshlrev_b32_e32 v63, 2, v63
	ds_load_b32 v63, v63
	s_wait_dscnt 0x0
	v_add_nc_u32_e32 v63, v63, v68
	global_store_b8 v63, v62, s[40:41]
	s_wait_xcnt 0x0
	s_or_b32 exec_lo, exec_lo, s19
	v_cmp_lt_u32_e64 s19, v69, v137
	s_and_saveexec_b32 s20, s19
	s_cbranch_execz .LBB317_491
.LBB317_563:                            ;   in Loop: Header=BB317_418 Depth=2
	ds_load_u8 v62, v2 offset:1280
	s_wait_dscnt 0x0
	v_and_b32_e32 v63, 0xff, v62
	v_xor_b32_e32 v62, 0x7f, v62
	s_delay_alu instid0(VALU_DEP_2) | instskip(NEXT) | instid1(VALU_DEP_1)
	v_lshrrev_b32_e32 v63, s48, v63
	v_and_b32_e32 v63, s58, v63
	s_delay_alu instid0(VALU_DEP_1)
	v_lshlrev_b32_e32 v63, 2, v63
	ds_load_b32 v63, v63
	s_wait_dscnt 0x0
	v_add_nc_u32_e32 v63, v63, v69
	global_store_b8 v63, v62, s[40:41]
	s_wait_xcnt 0x0
	s_or_b32 exec_lo, exec_lo, s20
	v_cmp_lt_u32_e64 s20, v70, v137
	s_and_saveexec_b32 s21, s20
	s_cbranch_execz .LBB317_492
.LBB317_564:                            ;   in Loop: Header=BB317_418 Depth=2
	ds_load_u8 v62, v2 offset:1536
	s_wait_dscnt 0x0
	v_and_b32_e32 v63, 0xff, v62
	v_xor_b32_e32 v62, 0x7f, v62
	s_delay_alu instid0(VALU_DEP_2) | instskip(NEXT) | instid1(VALU_DEP_1)
	v_lshrrev_b32_e32 v63, s48, v63
	v_and_b32_e32 v63, s58, v63
	s_delay_alu instid0(VALU_DEP_1)
	v_lshlrev_b32_e32 v63, 2, v63
	ds_load_b32 v63, v63
	s_wait_dscnt 0x0
	v_add_nc_u32_e32 v63, v63, v70
	global_store_b8 v63, v62, s[40:41]
	s_wait_xcnt 0x0
	s_or_b32 exec_lo, exec_lo, s21
	v_cmp_lt_u32_e64 s21, v71, v137
	s_and_saveexec_b32 s22, s21
	s_cbranch_execz .LBB317_493
.LBB317_565:                            ;   in Loop: Header=BB317_418 Depth=2
	ds_load_u8 v62, v2 offset:1792
	s_wait_dscnt 0x0
	v_and_b32_e32 v63, 0xff, v62
	v_xor_b32_e32 v62, 0x7f, v62
	s_delay_alu instid0(VALU_DEP_2) | instskip(NEXT) | instid1(VALU_DEP_1)
	v_lshrrev_b32_e32 v63, s48, v63
	v_and_b32_e32 v63, s58, v63
	s_delay_alu instid0(VALU_DEP_1)
	v_lshlrev_b32_e32 v63, 2, v63
	ds_load_b32 v63, v63
	s_wait_dscnt 0x0
	v_add_nc_u32_e32 v63, v63, v71
	global_store_b8 v63, v62, s[40:41]
	s_wait_xcnt 0x0
	s_or_b32 exec_lo, exec_lo, s22
	v_cmp_lt_u32_e64 s22, v72, v137
	s_and_saveexec_b32 s23, s22
	s_cbranch_execz .LBB317_494
.LBB317_566:                            ;   in Loop: Header=BB317_418 Depth=2
	ds_load_u8 v62, v2 offset:2048
	s_wait_dscnt 0x0
	v_and_b32_e32 v63, 0xff, v62
	v_xor_b32_e32 v62, 0x7f, v62
	s_delay_alu instid0(VALU_DEP_2) | instskip(NEXT) | instid1(VALU_DEP_1)
	v_lshrrev_b32_e32 v63, s48, v63
	v_and_b32_e32 v63, s58, v63
	s_delay_alu instid0(VALU_DEP_1)
	v_lshlrev_b32_e32 v63, 2, v63
	ds_load_b32 v63, v63
	s_wait_dscnt 0x0
	v_add_nc_u32_e32 v63, v63, v72
	global_store_b8 v63, v62, s[40:41]
	s_wait_xcnt 0x0
	s_or_b32 exec_lo, exec_lo, s23
	v_cmp_lt_u32_e64 s23, v73, v137
	s_and_saveexec_b32 s24, s23
	s_cbranch_execz .LBB317_495
.LBB317_567:                            ;   in Loop: Header=BB317_418 Depth=2
	ds_load_u8 v62, v2 offset:2304
	s_wait_dscnt 0x0
	v_and_b32_e32 v63, 0xff, v62
	v_xor_b32_e32 v62, 0x7f, v62
	s_delay_alu instid0(VALU_DEP_2) | instskip(NEXT) | instid1(VALU_DEP_1)
	v_lshrrev_b32_e32 v63, s48, v63
	v_and_b32_e32 v63, s58, v63
	s_delay_alu instid0(VALU_DEP_1)
	v_lshlrev_b32_e32 v63, 2, v63
	ds_load_b32 v63, v63
	s_wait_dscnt 0x0
	v_add_nc_u32_e32 v63, v63, v73
	global_store_b8 v63, v62, s[40:41]
	s_wait_xcnt 0x0
	s_or_b32 exec_lo, exec_lo, s24
	v_cmp_lt_u32_e64 s24, v74, v137
	s_and_saveexec_b32 s25, s24
	s_cbranch_execz .LBB317_496
.LBB317_568:                            ;   in Loop: Header=BB317_418 Depth=2
	ds_load_u8 v62, v2 offset:2560
	s_wait_dscnt 0x0
	v_and_b32_e32 v63, 0xff, v62
	v_xor_b32_e32 v62, 0x7f, v62
	s_delay_alu instid0(VALU_DEP_2) | instskip(NEXT) | instid1(VALU_DEP_1)
	v_lshrrev_b32_e32 v63, s48, v63
	v_and_b32_e32 v63, s58, v63
	s_delay_alu instid0(VALU_DEP_1)
	v_lshlrev_b32_e32 v63, 2, v63
	ds_load_b32 v63, v63
	s_wait_dscnt 0x0
	v_add_nc_u32_e32 v63, v63, v74
	global_store_b8 v63, v62, s[40:41]
	s_wait_xcnt 0x0
	s_or_b32 exec_lo, exec_lo, s25
	v_cmp_lt_u32_e64 s25, v75, v137
	s_and_saveexec_b32 s26, s25
	s_cbranch_execz .LBB317_497
.LBB317_569:                            ;   in Loop: Header=BB317_418 Depth=2
	ds_load_u8 v62, v2 offset:2816
	s_wait_dscnt 0x0
	v_and_b32_e32 v63, 0xff, v62
	v_xor_b32_e32 v62, 0x7f, v62
	s_delay_alu instid0(VALU_DEP_2) | instskip(NEXT) | instid1(VALU_DEP_1)
	v_lshrrev_b32_e32 v63, s48, v63
	v_and_b32_e32 v63, s58, v63
	s_delay_alu instid0(VALU_DEP_1)
	v_lshlrev_b32_e32 v63, 2, v63
	ds_load_b32 v63, v63
	s_wait_dscnt 0x0
	v_add_nc_u32_e32 v63, v63, v75
	global_store_b8 v63, v62, s[40:41]
	s_wait_xcnt 0x0
	s_or_b32 exec_lo, exec_lo, s26
	v_cmp_lt_u32_e64 s26, v76, v137
	s_and_saveexec_b32 s27, s26
	s_cbranch_execz .LBB317_498
.LBB317_570:                            ;   in Loop: Header=BB317_418 Depth=2
	ds_load_u8 v62, v2 offset:3072
	s_wait_dscnt 0x0
	v_and_b32_e32 v63, 0xff, v62
	v_xor_b32_e32 v62, 0x7f, v62
	s_delay_alu instid0(VALU_DEP_2) | instskip(NEXT) | instid1(VALU_DEP_1)
	v_lshrrev_b32_e32 v63, s48, v63
	v_and_b32_e32 v63, s58, v63
	s_delay_alu instid0(VALU_DEP_1)
	v_lshlrev_b32_e32 v63, 2, v63
	ds_load_b32 v63, v63
	s_wait_dscnt 0x0
	v_add_nc_u32_e32 v63, v63, v76
	global_store_b8 v63, v62, s[40:41]
	s_wait_xcnt 0x0
	s_or_b32 exec_lo, exec_lo, s27
	v_cmp_lt_u32_e64 s27, v77, v137
	s_and_saveexec_b32 s28, s27
	s_cbranch_execz .LBB317_499
.LBB317_571:                            ;   in Loop: Header=BB317_418 Depth=2
	ds_load_u8 v62, v2 offset:3328
	s_wait_dscnt 0x0
	v_and_b32_e32 v63, 0xff, v62
	v_xor_b32_e32 v62, 0x7f, v62
	s_delay_alu instid0(VALU_DEP_2) | instskip(NEXT) | instid1(VALU_DEP_1)
	v_lshrrev_b32_e32 v63, s48, v63
	v_and_b32_e32 v63, s58, v63
	s_delay_alu instid0(VALU_DEP_1)
	v_lshlrev_b32_e32 v63, 2, v63
	ds_load_b32 v63, v63
	s_wait_dscnt 0x0
	v_add_nc_u32_e32 v63, v63, v77
	global_store_b8 v63, v62, s[40:41]
	s_wait_xcnt 0x0
	s_or_b32 exec_lo, exec_lo, s28
	v_cmp_lt_u32_e64 s28, v78, v137
	s_and_saveexec_b32 s29, s28
	s_cbranch_execz .LBB317_500
.LBB317_572:                            ;   in Loop: Header=BB317_418 Depth=2
	ds_load_u8 v62, v2 offset:3584
	s_wait_dscnt 0x0
	v_and_b32_e32 v63, 0xff, v62
	v_xor_b32_e32 v62, 0x7f, v62
	s_delay_alu instid0(VALU_DEP_2) | instskip(NEXT) | instid1(VALU_DEP_1)
	v_lshrrev_b32_e32 v63, s48, v63
	v_and_b32_e32 v63, s58, v63
	s_delay_alu instid0(VALU_DEP_1)
	v_lshlrev_b32_e32 v63, 2, v63
	ds_load_b32 v63, v63
	s_wait_dscnt 0x0
	v_add_nc_u32_e32 v63, v63, v78
	global_store_b8 v63, v62, s[40:41]
	s_wait_xcnt 0x0
	s_or_b32 exec_lo, exec_lo, s29
	v_cmp_lt_u32_e64 s29, v79, v137
	s_and_saveexec_b32 s30, s29
	s_cbranch_execz .LBB317_501
.LBB317_573:                            ;   in Loop: Header=BB317_418 Depth=2
	ds_load_u8 v62, v2 offset:3840
	s_wait_dscnt 0x0
	v_and_b32_e32 v63, 0xff, v62
	v_xor_b32_e32 v62, 0x7f, v62
	s_delay_alu instid0(VALU_DEP_2) | instskip(NEXT) | instid1(VALU_DEP_1)
	v_lshrrev_b32_e32 v63, s48, v63
	v_and_b32_e32 v63, s58, v63
	s_delay_alu instid0(VALU_DEP_1)
	v_lshlrev_b32_e32 v63, 2, v63
	ds_load_b32 v63, v63
	s_wait_dscnt 0x0
	v_add_nc_u32_e32 v63, v63, v79
	global_store_b8 v63, v62, s[40:41]
	s_wait_xcnt 0x0
	s_or_b32 exec_lo, exec_lo, s30
	v_cmp_lt_u32_e64 s30, v80, v137
	s_and_saveexec_b32 s31, s30
	s_cbranch_execz .LBB317_502
.LBB317_574:                            ;   in Loop: Header=BB317_418 Depth=2
	ds_load_u8 v62, v2 offset:4096
	s_wait_dscnt 0x0
	v_and_b32_e32 v63, 0xff, v62
	v_xor_b32_e32 v62, 0x7f, v62
	s_delay_alu instid0(VALU_DEP_2) | instskip(NEXT) | instid1(VALU_DEP_1)
	v_lshrrev_b32_e32 v63, s48, v63
	v_and_b32_e32 v63, s58, v63
	s_delay_alu instid0(VALU_DEP_1)
	v_lshlrev_b32_e32 v63, 2, v63
	ds_load_b32 v63, v63
	s_wait_dscnt 0x0
	v_add_nc_u32_e32 v63, v63, v80
	global_store_b8 v63, v62, s[40:41]
	s_wait_xcnt 0x0
	s_or_b32 exec_lo, exec_lo, s31
	v_cmp_lt_u32_e64 s31, v81, v137
	s_and_saveexec_b32 s33, s31
	s_cbranch_execz .LBB317_503
.LBB317_575:                            ;   in Loop: Header=BB317_418 Depth=2
	ds_load_u8 v62, v2 offset:4352
	s_wait_dscnt 0x0
	v_and_b32_e32 v63, 0xff, v62
	v_xor_b32_e32 v62, 0x7f, v62
	s_delay_alu instid0(VALU_DEP_2) | instskip(NEXT) | instid1(VALU_DEP_1)
	v_lshrrev_b32_e32 v63, s48, v63
	v_and_b32_e32 v63, s58, v63
	s_delay_alu instid0(VALU_DEP_1)
	v_lshlrev_b32_e32 v63, 2, v63
	ds_load_b32 v63, v63
	s_wait_dscnt 0x0
	v_add_nc_u32_e32 v63, v63, v81
	global_store_b8 v63, v62, s[40:41]
	s_wait_xcnt 0x0
	s_or_b32 exec_lo, exec_lo, s33
	v_cmp_lt_u32_e64 s33, v82, v137
	s_and_saveexec_b32 s61, s33
	s_cbranch_execnz .LBB317_504
	s_branch .LBB317_505
.LBB317_576:                            ;   in Loop: Header=BB317_418 Depth=2
	global_load_b64 v[60:61], v[62:63], off
	s_wait_xcnt 0x0
	s_or_b32 exec_lo, exec_lo, s34
	s_delay_alu instid0(SALU_CYCLE_1)
	s_mov_b32 s61, exec_lo
	v_cmpx_lt_u32_e64 v98, v137
	s_cbranch_execz .LBB317_507
.LBB317_577:                            ;   in Loop: Header=BB317_418 Depth=2
	global_load_b64 v[58:59], v[62:63], off offset:256
	s_wait_xcnt 0x0
	s_or_b32 exec_lo, exec_lo, s61
	s_delay_alu instid0(SALU_CYCLE_1)
	s_mov_b32 s61, exec_lo
	v_cmpx_lt_u32_e64 v99, v137
	s_cbranch_execz .LBB317_508
.LBB317_578:                            ;   in Loop: Header=BB317_418 Depth=2
	global_load_b64 v[56:57], v[62:63], off offset:512
	s_wait_xcnt 0x0
	s_or_b32 exec_lo, exec_lo, s61
	s_delay_alu instid0(SALU_CYCLE_1)
	s_mov_b32 s61, exec_lo
	v_cmpx_lt_u32_e64 v100, v137
	s_cbranch_execz .LBB317_509
.LBB317_579:                            ;   in Loop: Header=BB317_418 Depth=2
	global_load_b64 v[54:55], v[62:63], off offset:768
	s_wait_xcnt 0x0
	s_or_b32 exec_lo, exec_lo, s61
	s_delay_alu instid0(SALU_CYCLE_1)
	s_mov_b32 s61, exec_lo
	v_cmpx_lt_u32_e64 v101, v137
	s_cbranch_execz .LBB317_510
.LBB317_580:                            ;   in Loop: Header=BB317_418 Depth=2
	global_load_b64 v[52:53], v[62:63], off offset:1024
	s_wait_xcnt 0x0
	s_or_b32 exec_lo, exec_lo, s61
	s_delay_alu instid0(SALU_CYCLE_1)
	s_mov_b32 s61, exec_lo
	v_cmpx_lt_u32_e64 v102, v137
	s_cbranch_execz .LBB317_511
.LBB317_581:                            ;   in Loop: Header=BB317_418 Depth=2
	global_load_b64 v[50:51], v[62:63], off offset:1280
	s_wait_xcnt 0x0
	s_or_b32 exec_lo, exec_lo, s61
	s_delay_alu instid0(SALU_CYCLE_1)
	s_mov_b32 s61, exec_lo
	v_cmpx_lt_u32_e64 v103, v137
	s_cbranch_execz .LBB317_512
.LBB317_582:                            ;   in Loop: Header=BB317_418 Depth=2
	global_load_b64 v[48:49], v[62:63], off offset:1536
	s_wait_xcnt 0x0
	s_or_b32 exec_lo, exec_lo, s61
	s_delay_alu instid0(SALU_CYCLE_1)
	s_mov_b32 s61, exec_lo
	v_cmpx_lt_u32_e64 v104, v137
	s_cbranch_execz .LBB317_513
.LBB317_583:                            ;   in Loop: Header=BB317_418 Depth=2
	global_load_b64 v[46:47], v[62:63], off offset:1792
	s_wait_xcnt 0x0
	s_or_b32 exec_lo, exec_lo, s61
	s_delay_alu instid0(SALU_CYCLE_1)
	s_mov_b32 s61, exec_lo
	v_cmpx_lt_u32_e64 v105, v137
	s_cbranch_execz .LBB317_514
.LBB317_584:                            ;   in Loop: Header=BB317_418 Depth=2
	global_load_b64 v[44:45], v[62:63], off offset:2048
	s_wait_xcnt 0x0
	s_or_b32 exec_lo, exec_lo, s61
	s_delay_alu instid0(SALU_CYCLE_1)
	s_mov_b32 s61, exec_lo
	v_cmpx_lt_u32_e64 v106, v137
	s_cbranch_execz .LBB317_515
.LBB317_585:                            ;   in Loop: Header=BB317_418 Depth=2
	global_load_b64 v[42:43], v[62:63], off offset:2304
	s_wait_xcnt 0x0
	s_or_b32 exec_lo, exec_lo, s61
	s_delay_alu instid0(SALU_CYCLE_1)
	s_mov_b32 s61, exec_lo
	v_cmpx_lt_u32_e64 v107, v137
	s_cbranch_execz .LBB317_516
.LBB317_586:                            ;   in Loop: Header=BB317_418 Depth=2
	global_load_b64 v[40:41], v[62:63], off offset:2560
	s_wait_xcnt 0x0
	s_or_b32 exec_lo, exec_lo, s61
	s_delay_alu instid0(SALU_CYCLE_1)
	s_mov_b32 s61, exec_lo
	v_cmpx_lt_u32_e64 v108, v137
	s_cbranch_execz .LBB317_517
.LBB317_587:                            ;   in Loop: Header=BB317_418 Depth=2
	global_load_b64 v[38:39], v[62:63], off offset:2816
	s_wait_xcnt 0x0
	s_or_b32 exec_lo, exec_lo, s61
	s_delay_alu instid0(SALU_CYCLE_1)
	s_mov_b32 s61, exec_lo
	v_cmpx_lt_u32_e64 v109, v137
	s_cbranch_execz .LBB317_518
.LBB317_588:                            ;   in Loop: Header=BB317_418 Depth=2
	global_load_b64 v[36:37], v[62:63], off offset:3072
	s_wait_xcnt 0x0
	s_or_b32 exec_lo, exec_lo, s61
	s_delay_alu instid0(SALU_CYCLE_1)
	s_mov_b32 s61, exec_lo
	v_cmpx_lt_u32_e64 v110, v137
	s_cbranch_execz .LBB317_519
.LBB317_589:                            ;   in Loop: Header=BB317_418 Depth=2
	global_load_b64 v[34:35], v[62:63], off offset:3328
	s_wait_xcnt 0x0
	s_or_b32 exec_lo, exec_lo, s61
	s_delay_alu instid0(SALU_CYCLE_1)
	s_mov_b32 s61, exec_lo
	v_cmpx_lt_u32_e64 v111, v137
	s_cbranch_execz .LBB317_520
.LBB317_590:                            ;   in Loop: Header=BB317_418 Depth=2
	global_load_b64 v[32:33], v[62:63], off offset:3584
	s_wait_xcnt 0x0
	s_or_b32 exec_lo, exec_lo, s61
	s_delay_alu instid0(SALU_CYCLE_1)
	s_mov_b32 s61, exec_lo
	v_cmpx_lt_u32_e64 v112, v137
	s_cbranch_execz .LBB317_521
.LBB317_591:                            ;   in Loop: Header=BB317_418 Depth=2
	global_load_b64 v[30:31], v[62:63], off offset:3840
	s_wait_xcnt 0x0
	s_or_b32 exec_lo, exec_lo, s61
	s_delay_alu instid0(SALU_CYCLE_1)
	s_mov_b32 s61, exec_lo
	v_cmpx_lt_u32_e64 v113, v137
	s_cbranch_execz .LBB317_522
.LBB317_592:                            ;   in Loop: Header=BB317_418 Depth=2
	global_load_b64 v[28:29], v[62:63], off offset:4096
	s_wait_xcnt 0x0
	s_or_b32 exec_lo, exec_lo, s61
	s_and_saveexec_b32 s34, vcc_lo
	s_cbranch_execz .LBB317_523
.LBB317_593:                            ;   in Loop: Header=BB317_418 Depth=2
	ds_load_u8 v62, v2 offset:512
	s_wait_dscnt 0x0
	v_lshrrev_b32_e32 v62, s48, v62
	s_delay_alu instid0(VALU_DEP_1)
	v_and_b32_e32 v132, s58, v62
	s_or_b32 exec_lo, exec_lo, s34
	s_and_saveexec_b32 s34, s17
	s_cbranch_execz .LBB317_524
.LBB317_594:                            ;   in Loop: Header=BB317_418 Depth=2
	ds_load_u8 v62, v2 offset:768
	s_wait_dscnt 0x0
	v_lshrrev_b32_e32 v62, s48, v62
	s_delay_alu instid0(VALU_DEP_1)
	v_and_b32_e32 v131, s58, v62
	s_or_b32 exec_lo, exec_lo, s34
	s_and_saveexec_b32 s34, s18
	s_cbranch_execz .LBB317_525
.LBB317_595:                            ;   in Loop: Header=BB317_418 Depth=2
	ds_load_u8 v62, v2 offset:1024
	s_wait_dscnt 0x0
	v_lshrrev_b32_e32 v62, s48, v62
	s_delay_alu instid0(VALU_DEP_1)
	v_and_b32_e32 v130, s58, v62
	s_or_b32 exec_lo, exec_lo, s34
	s_and_saveexec_b32 s34, s19
	s_cbranch_execz .LBB317_526
.LBB317_596:                            ;   in Loop: Header=BB317_418 Depth=2
	ds_load_u8 v62, v2 offset:1280
	s_wait_dscnt 0x0
	v_lshrrev_b32_e32 v62, s48, v62
	s_delay_alu instid0(VALU_DEP_1)
	v_and_b32_e32 v129, s58, v62
	s_or_b32 exec_lo, exec_lo, s34
	s_and_saveexec_b32 s34, s20
	s_cbranch_execz .LBB317_527
.LBB317_597:                            ;   in Loop: Header=BB317_418 Depth=2
	ds_load_u8 v62, v2 offset:1536
	s_wait_dscnt 0x0
	v_lshrrev_b32_e32 v62, s48, v62
	s_delay_alu instid0(VALU_DEP_1)
	v_and_b32_e32 v128, s58, v62
	s_or_b32 exec_lo, exec_lo, s34
	s_and_saveexec_b32 s34, s21
	s_cbranch_execz .LBB317_528
.LBB317_598:                            ;   in Loop: Header=BB317_418 Depth=2
	ds_load_u8 v62, v2 offset:1792
	s_wait_dscnt 0x0
	v_lshrrev_b32_e32 v62, s48, v62
	s_delay_alu instid0(VALU_DEP_1)
	v_and_b32_e32 v127, s58, v62
	s_or_b32 exec_lo, exec_lo, s34
	s_and_saveexec_b32 s34, s22
	s_cbranch_execz .LBB317_529
.LBB317_599:                            ;   in Loop: Header=BB317_418 Depth=2
	ds_load_u8 v62, v2 offset:2048
	s_wait_dscnt 0x0
	v_lshrrev_b32_e32 v62, s48, v62
	s_delay_alu instid0(VALU_DEP_1)
	v_and_b32_e32 v126, s58, v62
	s_or_b32 exec_lo, exec_lo, s34
	s_and_saveexec_b32 s34, s23
	s_cbranch_execz .LBB317_530
.LBB317_600:                            ;   in Loop: Header=BB317_418 Depth=2
	ds_load_u8 v62, v2 offset:2304
	s_wait_dscnt 0x0
	v_lshrrev_b32_e32 v62, s48, v62
	s_delay_alu instid0(VALU_DEP_1)
	v_and_b32_e32 v125, s58, v62
	s_or_b32 exec_lo, exec_lo, s34
	s_and_saveexec_b32 s34, s24
	s_cbranch_execz .LBB317_531
.LBB317_601:                            ;   in Loop: Header=BB317_418 Depth=2
	ds_load_u8 v62, v2 offset:2560
	s_wait_dscnt 0x0
	v_lshrrev_b32_e32 v62, s48, v62
	s_delay_alu instid0(VALU_DEP_1)
	v_and_b32_e32 v124, s58, v62
	s_or_b32 exec_lo, exec_lo, s34
	s_and_saveexec_b32 s34, s25
	s_cbranch_execz .LBB317_532
.LBB317_602:                            ;   in Loop: Header=BB317_418 Depth=2
	ds_load_u8 v62, v2 offset:2816
	s_wait_dscnt 0x0
	v_lshrrev_b32_e32 v62, s48, v62
	s_delay_alu instid0(VALU_DEP_1)
	v_and_b32_e32 v123, s58, v62
	s_or_b32 exec_lo, exec_lo, s34
	s_and_saveexec_b32 s34, s26
	s_cbranch_execz .LBB317_533
.LBB317_603:                            ;   in Loop: Header=BB317_418 Depth=2
	ds_load_u8 v62, v2 offset:3072
	s_wait_dscnt 0x0
	v_lshrrev_b32_e32 v62, s48, v62
	s_delay_alu instid0(VALU_DEP_1)
	v_and_b32_e32 v122, s58, v62
	s_or_b32 exec_lo, exec_lo, s34
	s_and_saveexec_b32 s34, s27
	s_cbranch_execz .LBB317_534
.LBB317_604:                            ;   in Loop: Header=BB317_418 Depth=2
	ds_load_u8 v62, v2 offset:3328
	s_wait_dscnt 0x0
	v_lshrrev_b32_e32 v62, s48, v62
	s_delay_alu instid0(VALU_DEP_1)
	v_and_b32_e32 v121, s58, v62
	s_or_b32 exec_lo, exec_lo, s34
	s_and_saveexec_b32 s34, s28
	s_cbranch_execz .LBB317_535
.LBB317_605:                            ;   in Loop: Header=BB317_418 Depth=2
	ds_load_u8 v62, v2 offset:3584
	s_wait_dscnt 0x0
	v_lshrrev_b32_e32 v62, s48, v62
	s_delay_alu instid0(VALU_DEP_1)
	v_and_b32_e32 v120, s58, v62
	s_or_b32 exec_lo, exec_lo, s34
	s_and_saveexec_b32 s34, s29
	s_cbranch_execz .LBB317_536
.LBB317_606:                            ;   in Loop: Header=BB317_418 Depth=2
	ds_load_u8 v62, v2 offset:3840
	s_wait_dscnt 0x0
	v_lshrrev_b32_e32 v62, s48, v62
	s_delay_alu instid0(VALU_DEP_1)
	v_and_b32_e32 v119, s58, v62
	s_or_b32 exec_lo, exec_lo, s34
	s_and_saveexec_b32 s34, s30
	s_cbranch_execz .LBB317_537
.LBB317_607:                            ;   in Loop: Header=BB317_418 Depth=2
	ds_load_u8 v62, v2 offset:4096
	s_wait_dscnt 0x0
	v_lshrrev_b32_e32 v62, s48, v62
	s_delay_alu instid0(VALU_DEP_1)
	v_and_b32_e32 v118, s58, v62
	s_or_b32 exec_lo, exec_lo, s34
	s_and_saveexec_b32 s34, s31
	s_cbranch_execz .LBB317_538
.LBB317_608:                            ;   in Loop: Header=BB317_418 Depth=2
	ds_load_u8 v62, v2 offset:4352
	s_wait_dscnt 0x0
	v_lshrrev_b32_e32 v62, s48, v62
	s_delay_alu instid0(VALU_DEP_1)
	v_and_b32_e32 v117, s58, v62
	s_or_b32 exec_lo, exec_lo, s34
	s_and_saveexec_b32 s34, s33
	s_cbranch_execnz .LBB317_539
	s_branch .LBB317_540
.LBB317_609:                            ;   in Loop: Header=BB317_418 Depth=2
	v_dual_lshlrev_b32 v62, 2, v132 :: v_dual_add_nc_u32 v63, v2, v95
	ds_load_b32 v64, v62
	ds_load_b64 v[62:63], v63 offset:512
	s_wait_dscnt 0x1
	v_add_nc_u32_e32 v64, v64, v2
	s_wait_dscnt 0x0
	global_store_b64 v64, v[62:63], s[46:47] scale_offset
	s_wait_xcnt 0x0
	s_or_b32 exec_lo, exec_lo, s34
	s_and_saveexec_b32 s34, s17
	s_cbranch_execz .LBB317_542
.LBB317_610:                            ;   in Loop: Header=BB317_418 Depth=2
	v_lshlrev_b32_e32 v62, 2, v131
	v_add_nc_u32_e32 v63, v2, v95
	ds_load_b32 v64, v62
	ds_load_b64 v[62:63], v63 offset:2560
	s_wait_dscnt 0x1
	v_add_nc_u32_e32 v64, v64, v67
	s_wait_dscnt 0x0
	global_store_b64 v64, v[62:63], s[46:47] scale_offset
	s_wait_xcnt 0x0
	s_or_b32 exec_lo, exec_lo, s34
	s_and_saveexec_b32 s17, s18
	s_cbranch_execz .LBB317_543
.LBB317_611:                            ;   in Loop: Header=BB317_418 Depth=2
	v_dual_lshlrev_b32 v62, 2, v130 :: v_dual_add_nc_u32 v63, v2, v95
	ds_load_b32 v64, v62
	ds_load_b64 v[62:63], v63 offset:4608
	s_wait_dscnt 0x1
	v_add_nc_u32_e32 v64, v64, v68
	s_wait_dscnt 0x0
	global_store_b64 v64, v[62:63], s[46:47] scale_offset
	s_wait_xcnt 0x0
	s_or_b32 exec_lo, exec_lo, s17
	s_and_saveexec_b32 s17, s19
	s_cbranch_execz .LBB317_544
.LBB317_612:                            ;   in Loop: Header=BB317_418 Depth=2
	v_dual_lshlrev_b32 v62, 2, v129 :: v_dual_add_nc_u32 v63, v2, v95
	ds_load_b32 v64, v62
	ds_load_b64 v[62:63], v63 offset:6656
	s_wait_dscnt 0x1
	v_add_nc_u32_e32 v64, v64, v69
	s_wait_dscnt 0x0
	global_store_b64 v64, v[62:63], s[46:47] scale_offset
	s_wait_xcnt 0x0
	s_or_b32 exec_lo, exec_lo, s17
	s_and_saveexec_b32 s17, s20
	s_cbranch_execz .LBB317_545
.LBB317_613:                            ;   in Loop: Header=BB317_418 Depth=2
	v_dual_lshlrev_b32 v62, 2, v128 :: v_dual_add_nc_u32 v63, v2, v95
	ds_load_b32 v64, v62
	ds_load_b64 v[62:63], v63 offset:8704
	s_wait_dscnt 0x1
	v_add_nc_u32_e32 v64, v64, v70
	s_wait_dscnt 0x0
	global_store_b64 v64, v[62:63], s[46:47] scale_offset
	s_wait_xcnt 0x0
	s_or_b32 exec_lo, exec_lo, s17
	s_and_saveexec_b32 s17, s21
	s_cbranch_execz .LBB317_546
.LBB317_614:                            ;   in Loop: Header=BB317_418 Depth=2
	v_lshlrev_b32_e32 v62, 2, v127
	v_add_nc_u32_e32 v63, v2, v95
	ds_load_b32 v64, v62
	ds_load_b64 v[62:63], v63 offset:10752
	s_wait_dscnt 0x1
	v_add_nc_u32_e32 v64, v64, v71
	s_wait_dscnt 0x0
	global_store_b64 v64, v[62:63], s[46:47] scale_offset
	s_wait_xcnt 0x0
	s_or_b32 exec_lo, exec_lo, s17
	s_and_saveexec_b32 s17, s22
	s_cbranch_execz .LBB317_547
.LBB317_615:                            ;   in Loop: Header=BB317_418 Depth=2
	v_dual_lshlrev_b32 v62, 2, v126 :: v_dual_add_nc_u32 v63, v2, v95
	ds_load_b32 v64, v62
	ds_load_b64 v[62:63], v63 offset:12800
	s_wait_dscnt 0x1
	v_add_nc_u32_e32 v64, v64, v72
	s_wait_dscnt 0x0
	global_store_b64 v64, v[62:63], s[46:47] scale_offset
	s_wait_xcnt 0x0
	s_or_b32 exec_lo, exec_lo, s17
	s_and_saveexec_b32 s17, s23
	s_cbranch_execz .LBB317_548
.LBB317_616:                            ;   in Loop: Header=BB317_418 Depth=2
	v_dual_lshlrev_b32 v62, 2, v125 :: v_dual_add_nc_u32 v63, v2, v95
	ds_load_b32 v64, v62
	ds_load_b64 v[62:63], v63 offset:14848
	s_wait_dscnt 0x1
	v_add_nc_u32_e32 v64, v64, v73
	s_wait_dscnt 0x0
	global_store_b64 v64, v[62:63], s[46:47] scale_offset
	s_wait_xcnt 0x0
	s_or_b32 exec_lo, exec_lo, s17
	s_and_saveexec_b32 s17, s24
	s_cbranch_execz .LBB317_549
.LBB317_617:                            ;   in Loop: Header=BB317_418 Depth=2
	v_dual_lshlrev_b32 v62, 2, v124 :: v_dual_add_nc_u32 v63, v2, v95
	ds_load_b32 v64, v62
	ds_load_b64 v[62:63], v63 offset:16896
	s_wait_dscnt 0x1
	v_add_nc_u32_e32 v64, v64, v74
	s_wait_dscnt 0x0
	global_store_b64 v64, v[62:63], s[46:47] scale_offset
	s_wait_xcnt 0x0
	s_or_b32 exec_lo, exec_lo, s17
	s_and_saveexec_b32 s17, s25
	s_cbranch_execz .LBB317_550
.LBB317_618:                            ;   in Loop: Header=BB317_418 Depth=2
	v_lshlrev_b32_e32 v62, 2, v123
	v_add_nc_u32_e32 v63, v2, v95
	ds_load_b32 v64, v62
	ds_load_b64 v[62:63], v63 offset:18944
	s_wait_dscnt 0x1
	v_add_nc_u32_e32 v64, v64, v75
	s_wait_dscnt 0x0
	global_store_b64 v64, v[62:63], s[46:47] scale_offset
	s_wait_xcnt 0x0
	s_or_b32 exec_lo, exec_lo, s17
	s_and_saveexec_b32 s17, s26
	s_cbranch_execz .LBB317_551
.LBB317_619:                            ;   in Loop: Header=BB317_418 Depth=2
	v_dual_lshlrev_b32 v62, 2, v122 :: v_dual_add_nc_u32 v63, v2, v95
	ds_load_b32 v64, v62
	ds_load_b64 v[62:63], v63 offset:20992
	s_wait_dscnt 0x1
	v_add_nc_u32_e32 v64, v64, v76
	s_wait_dscnt 0x0
	global_store_b64 v64, v[62:63], s[46:47] scale_offset
	s_wait_xcnt 0x0
	s_or_b32 exec_lo, exec_lo, s17
	s_and_saveexec_b32 s17, s27
	s_cbranch_execz .LBB317_552
.LBB317_620:                            ;   in Loop: Header=BB317_418 Depth=2
	v_dual_lshlrev_b32 v62, 2, v121 :: v_dual_add_nc_u32 v63, v2, v95
	ds_load_b32 v64, v62
	ds_load_b64 v[62:63], v63 offset:23040
	s_wait_dscnt 0x1
	v_add_nc_u32_e32 v64, v64, v77
	s_wait_dscnt 0x0
	global_store_b64 v64, v[62:63], s[46:47] scale_offset
	s_wait_xcnt 0x0
	s_or_b32 exec_lo, exec_lo, s17
	s_and_saveexec_b32 s17, s28
	s_cbranch_execz .LBB317_553
.LBB317_621:                            ;   in Loop: Header=BB317_418 Depth=2
	v_dual_lshlrev_b32 v62, 2, v120 :: v_dual_add_nc_u32 v63, v2, v95
	ds_load_b32 v64, v62
	ds_load_b64 v[62:63], v63 offset:25088
	s_wait_dscnt 0x1
	v_add_nc_u32_e32 v64, v64, v78
	s_wait_dscnt 0x0
	global_store_b64 v64, v[62:63], s[46:47] scale_offset
	s_wait_xcnt 0x0
	s_or_b32 exec_lo, exec_lo, s17
	s_and_saveexec_b32 s17, s29
	s_cbranch_execz .LBB317_554
.LBB317_622:                            ;   in Loop: Header=BB317_418 Depth=2
	v_lshlrev_b32_e32 v62, 2, v119
	v_add_nc_u32_e32 v63, v2, v95
	ds_load_b32 v64, v62
	ds_load_b64 v[62:63], v63 offset:27136
	s_wait_dscnt 0x1
	v_add_nc_u32_e32 v64, v64, v79
	s_wait_dscnt 0x0
	global_store_b64 v64, v[62:63], s[46:47] scale_offset
	s_wait_xcnt 0x0
	s_or_b32 exec_lo, exec_lo, s17
	s_and_saveexec_b32 s17, s30
	s_cbranch_execz .LBB317_555
.LBB317_623:                            ;   in Loop: Header=BB317_418 Depth=2
	v_dual_lshlrev_b32 v62, 2, v118 :: v_dual_add_nc_u32 v63, v2, v95
	ds_load_b32 v64, v62
	ds_load_b64 v[62:63], v63 offset:29184
	s_wait_dscnt 0x1
	v_add_nc_u32_e32 v64, v64, v80
	s_wait_dscnt 0x0
	global_store_b64 v64, v[62:63], s[46:47] scale_offset
	s_wait_xcnt 0x0
	s_or_b32 exec_lo, exec_lo, s17
	s_and_saveexec_b32 s17, s31
	s_cbranch_execz .LBB317_556
.LBB317_624:                            ;   in Loop: Header=BB317_418 Depth=2
	v_dual_lshlrev_b32 v62, 2, v117 :: v_dual_add_nc_u32 v63, v2, v95
	ds_load_b32 v64, v62
	ds_load_b64 v[62:63], v63 offset:31232
	s_wait_dscnt 0x1
	v_add_nc_u32_e32 v64, v64, v81
	s_wait_dscnt 0x0
	global_store_b64 v64, v[62:63], s[46:47] scale_offset
	s_wait_xcnt 0x0
	s_or_b32 exec_lo, exec_lo, s17
	s_and_saveexec_b32 s17, s33
	s_cbranch_execnz .LBB317_557
	s_branch .LBB317_558
.LBB317_625:                            ;   in Loop: Header=BB317_418 Depth=2
	global_load_u8 v147, v[62:63], off
	v_dual_mov_b32 v115, 0x80 :: v_dual_mov_b32 v150, 0x80
	v_dual_mov_b32 v148, 0x80 :: v_dual_mov_b32 v151, 0x80
	;; [unrolled: 1-line block ×8, first 2 shown]
	s_wait_xcnt 0x0
	s_or_b32 exec_lo, exec_lo, s17
	s_delay_alu instid0(SALU_CYCLE_1)
	s_mov_b32 s17, exec_lo
	v_cmpx_gt_u32_e64 s59, v98
	s_cbranch_execz .LBB317_423
.LBB317_626:                            ;   in Loop: Header=BB317_418 Depth=2
	global_load_u8 v150, v[62:63], off offset:32
	s_wait_xcnt 0x0
	s_or_b32 exec_lo, exec_lo, s17
	s_delay_alu instid0(SALU_CYCLE_1)
	s_mov_b32 s17, exec_lo
	v_cmpx_gt_u32_e64 s59, v99
	s_cbranch_execz .LBB317_424
.LBB317_627:                            ;   in Loop: Header=BB317_418 Depth=2
	global_load_u8 v148, v[62:63], off offset:64
	s_wait_xcnt 0x0
	s_or_b32 exec_lo, exec_lo, s17
	s_delay_alu instid0(SALU_CYCLE_1)
	s_mov_b32 s17, exec_lo
	v_cmpx_gt_u32_e64 s59, v100
	s_cbranch_execz .LBB317_425
.LBB317_628:                            ;   in Loop: Header=BB317_418 Depth=2
	global_load_u8 v151, v[62:63], off offset:96
	s_wait_xcnt 0x0
	s_or_b32 exec_lo, exec_lo, s17
	s_delay_alu instid0(SALU_CYCLE_1)
	s_mov_b32 s17, exec_lo
	v_cmpx_gt_u32_e64 s59, v101
	s_cbranch_execz .LBB317_426
.LBB317_629:                            ;   in Loop: Header=BB317_418 Depth=2
	global_load_u8 v142, v[62:63], off offset:128
	s_wait_xcnt 0x0
	s_or_b32 exec_lo, exec_lo, s17
	s_delay_alu instid0(SALU_CYCLE_1)
	s_mov_b32 s17, exec_lo
	v_cmpx_gt_u32_e64 s59, v102
	s_cbranch_execz .LBB317_427
.LBB317_630:                            ;   in Loop: Header=BB317_418 Depth=2
	global_load_u8 v145, v[62:63], off offset:160
	s_wait_xcnt 0x0
	s_or_b32 exec_lo, exec_lo, s17
	s_delay_alu instid0(SALU_CYCLE_1)
	s_mov_b32 s17, exec_lo
	v_cmpx_gt_u32_e64 s59, v103
	s_cbranch_execz .LBB317_428
.LBB317_631:                            ;   in Loop: Header=BB317_418 Depth=2
	global_load_u8 v143, v[62:63], off offset:192
	s_wait_xcnt 0x0
	s_or_b32 exec_lo, exec_lo, s17
	s_delay_alu instid0(SALU_CYCLE_1)
	s_mov_b32 s17, exec_lo
	v_cmpx_gt_u32_e64 s59, v104
	s_cbranch_execz .LBB317_429
.LBB317_632:                            ;   in Loop: Header=BB317_418 Depth=2
	global_load_u8 v144, v[62:63], off offset:224
	s_wait_xcnt 0x0
	s_or_b32 exec_lo, exec_lo, s17
	s_delay_alu instid0(SALU_CYCLE_1)
	s_mov_b32 s17, exec_lo
	v_cmpx_gt_u32_e64 s59, v105
	s_cbranch_execz .LBB317_430
.LBB317_633:                            ;   in Loop: Header=BB317_418 Depth=2
	global_load_u8 v138, v[62:63], off offset:256
	s_wait_xcnt 0x0
	s_or_b32 exec_lo, exec_lo, s17
	s_delay_alu instid0(SALU_CYCLE_1)
	s_mov_b32 s17, exec_lo
	v_cmpx_gt_u32_e64 s59, v106
	s_cbranch_execz .LBB317_431
.LBB317_634:                            ;   in Loop: Header=BB317_418 Depth=2
	global_load_u8 v141, v[62:63], off offset:288
	s_wait_xcnt 0x0
	s_or_b32 exec_lo, exec_lo, s17
	s_delay_alu instid0(SALU_CYCLE_1)
	s_mov_b32 s17, exec_lo
	v_cmpx_gt_u32_e64 s59, v107
	s_cbranch_execz .LBB317_432
.LBB317_635:                            ;   in Loop: Header=BB317_418 Depth=2
	global_load_u8 v139, v[62:63], off offset:320
	s_wait_xcnt 0x0
	s_or_b32 exec_lo, exec_lo, s17
	s_delay_alu instid0(SALU_CYCLE_1)
	s_mov_b32 s17, exec_lo
	v_cmpx_gt_u32_e64 s59, v108
	s_cbranch_execz .LBB317_433
.LBB317_636:                            ;   in Loop: Header=BB317_418 Depth=2
	global_load_u8 v140, v[62:63], off offset:352
	s_wait_xcnt 0x0
	s_or_b32 exec_lo, exec_lo, s17
	s_delay_alu instid0(SALU_CYCLE_1)
	s_mov_b32 s17, exec_lo
	v_cmpx_gt_u32_e64 s59, v109
	s_cbranch_execz .LBB317_434
.LBB317_637:                            ;   in Loop: Header=BB317_418 Depth=2
	global_load_u8 v64, v[62:63], off offset:384
	s_wait_xcnt 0x0
	s_or_b32 exec_lo, exec_lo, s17
	s_delay_alu instid0(SALU_CYCLE_1)
	s_mov_b32 s17, exec_lo
	v_cmpx_gt_u32_e64 s59, v110
	s_cbranch_execz .LBB317_435
.LBB317_638:                            ;   in Loop: Header=BB317_418 Depth=2
	global_load_u8 v136, v[62:63], off offset:416
	s_wait_xcnt 0x0
	s_or_b32 exec_lo, exec_lo, s17
	s_delay_alu instid0(SALU_CYCLE_1)
	s_mov_b32 s17, exec_lo
	v_cmpx_gt_u32_e64 s59, v111
	s_cbranch_execz .LBB317_436
.LBB317_639:                            ;   in Loop: Header=BB317_418 Depth=2
	global_load_u8 v65, v[62:63], off offset:448
	s_wait_xcnt 0x0
	s_or_b32 exec_lo, exec_lo, s17
	s_delay_alu instid0(SALU_CYCLE_1)
	s_mov_b32 s17, exec_lo
	v_cmpx_gt_u32_e64 s59, v112
	s_cbranch_execnz .LBB317_437
	s_branch .LBB317_438
.LBB317_640:                            ;   in Loop: Header=BB317_20 Depth=1
	s_wait_dscnt 0x0
	s_barrier_signal -1
	s_barrier_wait -1
.LBB317_641:                            ;   in Loop: Header=BB317_20 Depth=1
	s_mov_b32 s8, 0
.LBB317_642:                            ;   in Loop: Header=BB317_20 Depth=1
	s_delay_alu instid0(SALU_CYCLE_1)
	s_and_not1_b32 vcc_lo, exec_lo, s8
	s_cbranch_vccnz .LBB317_19
; %bb.643:                              ;   in Loop: Header=BB317_20 Depth=1
	s_and_b32 vcc_lo, exec_lo, s56
	s_mov_b32 s8, -1
	s_cbranch_vccz .LBB317_953
; %bb.644:                              ;   in Loop: Header=BB317_20 Depth=1
	v_dual_mov_b32 v39, 0 :: v_dual_mov_b32 v42, 0
	v_dual_mov_b32 v41, 0 :: v_dual_mov_b32 v40, 0
	v_dual_mov_b32 v38, 0 :: v_dual_mov_b32 v37, 0
	v_dual_mov_b32 v36, 0 :: v_dual_mov_b32 v35, 0
	v_dual_mov_b32 v34, 0 :: v_dual_mov_b32 v33, 0
	v_dual_mov_b32 v32, 0 :: v_dual_mov_b32 v31, 0
	v_dual_mov_b32 v30, 0 :: v_dual_mov_b32 v29, 0
	v_dual_mov_b32 v28, 0 :: v_dual_mov_b32 v27, 0
	v_mov_b32_e32 v26, 0
	s_mov_b32 s8, s57
	s_mov_b32 s34, s55
	s_barrier_signal -1
	s_barrier_wait -1
	s_branch .LBB317_646
.LBB317_645:                            ;   in Loop: Header=BB317_646 Depth=2
	s_or_b32 exec_lo, exec_lo, s10
	s_addk_co_i32 s8, 0xef00
	s_cmp_ge_u32 s9, s54
	s_mov_b32 s34, s9
	s_cbranch_scc1 .LBB317_718
.LBB317_646:                            ;   Parent Loop BB317_20 Depth=1
                                        ; =>  This Inner Loop Header: Depth=2
	s_add_co_i32 s9, s34, 0x1100
	s_mov_b32 s10, -1
	s_cmp_gt_u32 s9, s54
                                        ; implicit-def: $vgpr24
                                        ; implicit-def: $vgpr25
                                        ; implicit-def: $vgpr43
                                        ; implicit-def: $vgpr44
                                        ; implicit-def: $vgpr45
                                        ; implicit-def: $vgpr46
                                        ; implicit-def: $vgpr47
                                        ; implicit-def: $vgpr48
                                        ; implicit-def: $vgpr49
                                        ; implicit-def: $vgpr50
                                        ; implicit-def: $vgpr51
                                        ; implicit-def: $vgpr52
                                        ; implicit-def: $vgpr53
                                        ; implicit-def: $vgpr54
                                        ; implicit-def: $vgpr55
                                        ; implicit-def: $vgpr56
                                        ; implicit-def: $vgpr57
	s_cbranch_scc1 .LBB317_648
; %bb.647:                              ;   in Loop: Header=BB317_646 Depth=2
	v_add_nc_u64_e32 v[58:59], s[34:35], v[18:19]
	s_mov_b32 s10, 0
	s_clause 0x10
	global_load_u8 v57, v[58:59], off offset:4096
	global_load_u8 v56, v[58:59], off offset:3840
	;; [unrolled: 1-line block ×16, first 2 shown]
	global_load_u8 v24, v[58:59], off
.LBB317_648:                            ;   in Loop: Header=BB317_646 Depth=2
	s_and_not1_b32 vcc_lo, exec_lo, s10
	s_movk_i32 s10, 0x1100
	s_cbranch_vccnz .LBB317_668
; %bb.649:                              ;   in Loop: Header=BB317_646 Depth=2
	s_add_nc_u64 s[10:11], s[36:37], s[34:35]
	s_wait_loadcnt 0x0
	v_add_nc_u64_e32 v[24:25], s[10:11], v[2:3]
	s_mov_b32 s10, exec_lo
	s_wait_xcnt 0x0
	v_cmpx_gt_u32_e64 s8, v2
	s_cbranch_execnz .LBB317_702
; %bb.650:                              ;   in Loop: Header=BB317_646 Depth=2
	s_or_b32 exec_lo, exec_lo, s10
	s_delay_alu instid0(SALU_CYCLE_1)
	s_mov_b32 s10, exec_lo
	v_cmpx_gt_u32_e64 s8, v67
	s_cbranch_execnz .LBB317_703
.LBB317_651:                            ;   in Loop: Header=BB317_646 Depth=2
	s_or_b32 exec_lo, exec_lo, s10
	s_delay_alu instid0(SALU_CYCLE_1)
	s_mov_b32 s10, exec_lo
	v_cmpx_gt_u32_e64 s8, v68
	s_cbranch_execnz .LBB317_704
.LBB317_652:                            ;   in Loop: Header=BB317_646 Depth=2
	s_or_b32 exec_lo, exec_lo, s10
	s_delay_alu instid0(SALU_CYCLE_1)
	s_mov_b32 s10, exec_lo
	v_cmpx_gt_u32_e64 s8, v69
	s_cbranch_execnz .LBB317_705
.LBB317_653:                            ;   in Loop: Header=BB317_646 Depth=2
	s_or_b32 exec_lo, exec_lo, s10
	s_delay_alu instid0(SALU_CYCLE_1)
	s_mov_b32 s10, exec_lo
	v_cmpx_gt_u32_e64 s8, v70
	s_cbranch_execnz .LBB317_706
.LBB317_654:                            ;   in Loop: Header=BB317_646 Depth=2
	s_or_b32 exec_lo, exec_lo, s10
	s_delay_alu instid0(SALU_CYCLE_1)
	s_mov_b32 s10, exec_lo
	v_cmpx_gt_u32_e64 s8, v71
	s_cbranch_execnz .LBB317_707
.LBB317_655:                            ;   in Loop: Header=BB317_646 Depth=2
	s_or_b32 exec_lo, exec_lo, s10
	s_delay_alu instid0(SALU_CYCLE_1)
	s_mov_b32 s10, exec_lo
	v_cmpx_gt_u32_e64 s8, v72
	s_cbranch_execnz .LBB317_708
.LBB317_656:                            ;   in Loop: Header=BB317_646 Depth=2
	s_or_b32 exec_lo, exec_lo, s10
	s_delay_alu instid0(SALU_CYCLE_1)
	s_mov_b32 s10, exec_lo
	v_cmpx_gt_u32_e64 s8, v73
	s_cbranch_execnz .LBB317_709
.LBB317_657:                            ;   in Loop: Header=BB317_646 Depth=2
	s_or_b32 exec_lo, exec_lo, s10
	s_delay_alu instid0(SALU_CYCLE_1)
	s_mov_b32 s10, exec_lo
	v_cmpx_gt_u32_e64 s8, v74
	s_cbranch_execnz .LBB317_710
.LBB317_658:                            ;   in Loop: Header=BB317_646 Depth=2
	s_or_b32 exec_lo, exec_lo, s10
	s_delay_alu instid0(SALU_CYCLE_1)
	s_mov_b32 s10, exec_lo
	v_cmpx_gt_u32_e64 s8, v75
	s_cbranch_execnz .LBB317_711
.LBB317_659:                            ;   in Loop: Header=BB317_646 Depth=2
	s_or_b32 exec_lo, exec_lo, s10
	s_delay_alu instid0(SALU_CYCLE_1)
	s_mov_b32 s10, exec_lo
	v_cmpx_gt_u32_e64 s8, v76
	s_cbranch_execnz .LBB317_712
.LBB317_660:                            ;   in Loop: Header=BB317_646 Depth=2
	s_or_b32 exec_lo, exec_lo, s10
	s_delay_alu instid0(SALU_CYCLE_1)
	s_mov_b32 s10, exec_lo
	v_cmpx_gt_u32_e64 s8, v77
	s_cbranch_execnz .LBB317_713
.LBB317_661:                            ;   in Loop: Header=BB317_646 Depth=2
	s_or_b32 exec_lo, exec_lo, s10
	s_delay_alu instid0(SALU_CYCLE_1)
	s_mov_b32 s10, exec_lo
	v_cmpx_gt_u32_e64 s8, v78
	s_cbranch_execnz .LBB317_714
.LBB317_662:                            ;   in Loop: Header=BB317_646 Depth=2
	s_or_b32 exec_lo, exec_lo, s10
	s_delay_alu instid0(SALU_CYCLE_1)
	s_mov_b32 s10, exec_lo
	v_cmpx_gt_u32_e64 s8, v79
	s_cbranch_execnz .LBB317_715
.LBB317_663:                            ;   in Loop: Header=BB317_646 Depth=2
	s_or_b32 exec_lo, exec_lo, s10
	s_delay_alu instid0(SALU_CYCLE_1)
	s_mov_b32 s10, exec_lo
	v_cmpx_gt_u32_e64 s8, v80
	s_cbranch_execnz .LBB317_716
.LBB317_664:                            ;   in Loop: Header=BB317_646 Depth=2
	s_or_b32 exec_lo, exec_lo, s10
	s_delay_alu instid0(SALU_CYCLE_1)
	s_mov_b32 s10, exec_lo
	v_cmpx_gt_u32_e64 s8, v81
	s_cbranch_execnz .LBB317_717
.LBB317_665:                            ;   in Loop: Header=BB317_646 Depth=2
	s_or_b32 exec_lo, exec_lo, s10
	s_delay_alu instid0(SALU_CYCLE_1)
	s_mov_b32 s10, exec_lo
	v_cmpx_gt_u32_e64 s8, v82
	s_cbranch_execz .LBB317_667
.LBB317_666:                            ;   in Loop: Header=BB317_646 Depth=2
	global_load_u8 v26, v[24:25], off offset:4096
.LBB317_667:                            ;   in Loop: Header=BB317_646 Depth=2
	s_wait_xcnt 0x0
	s_or_b32 exec_lo, exec_lo, s10
	s_wait_loadcnt 0x0
	v_dual_mov_b32 v24, v39 :: v_dual_mov_b32 v25, v42
	v_dual_mov_b32 v43, v41 :: v_dual_mov_b32 v44, v40
	;; [unrolled: 1-line block ×8, first 2 shown]
	v_mov_b32_e32 v57, v26
	s_mov_b32 s10, s8
.LBB317_668:                            ;   in Loop: Header=BB317_646 Depth=2
	s_wait_loadcnt 0xf
	s_delay_alu instid0(VALU_DEP_1)
	v_dual_mov_b32 v26, v57 :: v_dual_mov_b32 v27, v56
	s_wait_loadcnt 0xd
	v_dual_mov_b32 v28, v55 :: v_dual_mov_b32 v29, v54
	s_wait_loadcnt 0xb
	;; [unrolled: 2-line block ×8, first 2 shown]
	v_mov_b32_e32 v39, v24
	s_mov_b32 s11, exec_lo
	s_wait_xcnt 0x0
	v_cmpx_gt_u32_e64 s10, v2
	s_cbranch_execnz .LBB317_685
; %bb.669:                              ;   in Loop: Header=BB317_646 Depth=2
	s_or_b32 exec_lo, exec_lo, s11
	s_delay_alu instid0(SALU_CYCLE_1)
	s_mov_b32 s11, exec_lo
	v_cmpx_gt_u32_e64 s10, v67
	s_cbranch_execnz .LBB317_686
.LBB317_670:                            ;   in Loop: Header=BB317_646 Depth=2
	s_or_b32 exec_lo, exec_lo, s11
	s_delay_alu instid0(SALU_CYCLE_1)
	s_mov_b32 s11, exec_lo
	v_cmpx_gt_u32_e64 s10, v68
	s_cbranch_execnz .LBB317_687
.LBB317_671:                            ;   in Loop: Header=BB317_646 Depth=2
	s_or_b32 exec_lo, exec_lo, s11
	s_delay_alu instid0(SALU_CYCLE_1)
	s_mov_b32 s11, exec_lo
	v_cmpx_gt_u32_e64 s10, v69
	s_cbranch_execnz .LBB317_688
.LBB317_672:                            ;   in Loop: Header=BB317_646 Depth=2
	s_or_b32 exec_lo, exec_lo, s11
	s_delay_alu instid0(SALU_CYCLE_1)
	s_mov_b32 s11, exec_lo
	v_cmpx_gt_u32_e64 s10, v70
	s_cbranch_execnz .LBB317_689
.LBB317_673:                            ;   in Loop: Header=BB317_646 Depth=2
	s_or_b32 exec_lo, exec_lo, s11
	s_delay_alu instid0(SALU_CYCLE_1)
	s_mov_b32 s11, exec_lo
	v_cmpx_gt_u32_e64 s10, v71
	s_cbranch_execnz .LBB317_690
.LBB317_674:                            ;   in Loop: Header=BB317_646 Depth=2
	s_or_b32 exec_lo, exec_lo, s11
	s_delay_alu instid0(SALU_CYCLE_1)
	s_mov_b32 s11, exec_lo
	v_cmpx_gt_u32_e64 s10, v72
	s_cbranch_execnz .LBB317_691
.LBB317_675:                            ;   in Loop: Header=BB317_646 Depth=2
	s_or_b32 exec_lo, exec_lo, s11
	s_delay_alu instid0(SALU_CYCLE_1)
	s_mov_b32 s11, exec_lo
	v_cmpx_gt_u32_e64 s10, v73
	s_cbranch_execnz .LBB317_692
.LBB317_676:                            ;   in Loop: Header=BB317_646 Depth=2
	s_or_b32 exec_lo, exec_lo, s11
	s_delay_alu instid0(SALU_CYCLE_1)
	s_mov_b32 s11, exec_lo
	v_cmpx_gt_u32_e64 s10, v74
	s_cbranch_execnz .LBB317_693
.LBB317_677:                            ;   in Loop: Header=BB317_646 Depth=2
	s_or_b32 exec_lo, exec_lo, s11
	s_delay_alu instid0(SALU_CYCLE_1)
	s_mov_b32 s11, exec_lo
	v_cmpx_gt_u32_e64 s10, v75
	s_cbranch_execnz .LBB317_694
.LBB317_678:                            ;   in Loop: Header=BB317_646 Depth=2
	s_or_b32 exec_lo, exec_lo, s11
	s_delay_alu instid0(SALU_CYCLE_1)
	s_mov_b32 s11, exec_lo
	v_cmpx_gt_u32_e64 s10, v76
	s_cbranch_execnz .LBB317_695
.LBB317_679:                            ;   in Loop: Header=BB317_646 Depth=2
	s_or_b32 exec_lo, exec_lo, s11
	s_delay_alu instid0(SALU_CYCLE_1)
	s_mov_b32 s11, exec_lo
	v_cmpx_gt_u32_e64 s10, v77
	s_cbranch_execnz .LBB317_696
.LBB317_680:                            ;   in Loop: Header=BB317_646 Depth=2
	s_or_b32 exec_lo, exec_lo, s11
	s_delay_alu instid0(SALU_CYCLE_1)
	s_mov_b32 s11, exec_lo
	v_cmpx_gt_u32_e64 s10, v78
	s_cbranch_execnz .LBB317_697
.LBB317_681:                            ;   in Loop: Header=BB317_646 Depth=2
	s_or_b32 exec_lo, exec_lo, s11
	s_delay_alu instid0(SALU_CYCLE_1)
	s_mov_b32 s11, exec_lo
	v_cmpx_gt_u32_e64 s10, v79
	s_cbranch_execnz .LBB317_698
.LBB317_682:                            ;   in Loop: Header=BB317_646 Depth=2
	s_or_b32 exec_lo, exec_lo, s11
	s_delay_alu instid0(SALU_CYCLE_1)
	s_mov_b32 s11, exec_lo
	v_cmpx_gt_u32_e64 s10, v80
	s_cbranch_execnz .LBB317_699
.LBB317_683:                            ;   in Loop: Header=BB317_646 Depth=2
	s_or_b32 exec_lo, exec_lo, s11
	s_delay_alu instid0(SALU_CYCLE_1)
	s_mov_b32 s11, exec_lo
	v_cmpx_gt_u32_e64 s10, v81
	s_cbranch_execnz .LBB317_700
.LBB317_684:                            ;   in Loop: Header=BB317_646 Depth=2
	s_or_b32 exec_lo, exec_lo, s11
	v_cmp_gt_u32_e32 vcc_lo, s10, v82
	s_and_saveexec_b32 s10, vcc_lo
	s_cbranch_execz .LBB317_645
	s_branch .LBB317_701
.LBB317_685:                            ;   in Loop: Header=BB317_646 Depth=2
	v_xor_b32_e32 v24, 0x7f, v39
	s_delay_alu instid0(VALU_DEP_1) | instskip(NEXT) | instid1(VALU_DEP_1)
	v_and_b32_e32 v24, 0xff, v24
	v_lshrrev_b32_e32 v24, s49, v24
	s_delay_alu instid0(VALU_DEP_1) | instskip(NEXT) | instid1(VALU_DEP_1)
	v_and_b32_e32 v24, s58, v24
	v_lshl_or_b32 v24, v24, 4, v84
	ds_add_u32 v24, v7
	s_or_b32 exec_lo, exec_lo, s11
	s_delay_alu instid0(SALU_CYCLE_1)
	s_mov_b32 s11, exec_lo
	v_cmpx_gt_u32_e64 s10, v67
	s_cbranch_execz .LBB317_670
.LBB317_686:                            ;   in Loop: Header=BB317_646 Depth=2
	v_xor_b32_e32 v24, 0x7f, v42
	s_delay_alu instid0(VALU_DEP_1) | instskip(NEXT) | instid1(VALU_DEP_1)
	v_and_b32_e32 v24, 0xff, v24
	v_lshrrev_b32_e32 v24, s49, v24
	s_delay_alu instid0(VALU_DEP_1) | instskip(NEXT) | instid1(VALU_DEP_1)
	v_and_b32_e32 v24, s58, v24
	v_lshl_or_b32 v24, v24, 4, v84
	ds_add_u32 v24, v7
	s_or_b32 exec_lo, exec_lo, s11
	s_delay_alu instid0(SALU_CYCLE_1)
	s_mov_b32 s11, exec_lo
	v_cmpx_gt_u32_e64 s10, v68
	s_cbranch_execz .LBB317_671
.LBB317_687:                            ;   in Loop: Header=BB317_646 Depth=2
	v_xor_b32_e32 v24, 0x7f, v41
	s_delay_alu instid0(VALU_DEP_1) | instskip(NEXT) | instid1(VALU_DEP_1)
	v_and_b32_e32 v24, 0xff, v24
	v_lshrrev_b32_e32 v24, s49, v24
	s_delay_alu instid0(VALU_DEP_1) | instskip(NEXT) | instid1(VALU_DEP_1)
	v_and_b32_e32 v24, s58, v24
	v_lshl_or_b32 v24, v24, 4, v84
	ds_add_u32 v24, v7
	s_or_b32 exec_lo, exec_lo, s11
	s_delay_alu instid0(SALU_CYCLE_1)
	s_mov_b32 s11, exec_lo
	v_cmpx_gt_u32_e64 s10, v69
	s_cbranch_execz .LBB317_672
.LBB317_688:                            ;   in Loop: Header=BB317_646 Depth=2
	v_xor_b32_e32 v24, 0x7f, v40
	s_delay_alu instid0(VALU_DEP_1) | instskip(NEXT) | instid1(VALU_DEP_1)
	v_and_b32_e32 v24, 0xff, v24
	v_lshrrev_b32_e32 v24, s49, v24
	s_delay_alu instid0(VALU_DEP_1) | instskip(NEXT) | instid1(VALU_DEP_1)
	v_and_b32_e32 v24, s58, v24
	v_lshl_or_b32 v24, v24, 4, v84
	ds_add_u32 v24, v7
	s_or_b32 exec_lo, exec_lo, s11
	s_delay_alu instid0(SALU_CYCLE_1)
	s_mov_b32 s11, exec_lo
	v_cmpx_gt_u32_e64 s10, v70
	s_cbranch_execz .LBB317_673
.LBB317_689:                            ;   in Loop: Header=BB317_646 Depth=2
	v_xor_b32_e32 v24, 0x7f, v38
	s_delay_alu instid0(VALU_DEP_1) | instskip(NEXT) | instid1(VALU_DEP_1)
	v_and_b32_e32 v24, 0xff, v24
	v_lshrrev_b32_e32 v24, s49, v24
	s_delay_alu instid0(VALU_DEP_1) | instskip(NEXT) | instid1(VALU_DEP_1)
	v_and_b32_e32 v24, s58, v24
	v_lshl_or_b32 v24, v24, 4, v84
	ds_add_u32 v24, v7
	s_or_b32 exec_lo, exec_lo, s11
	s_delay_alu instid0(SALU_CYCLE_1)
	s_mov_b32 s11, exec_lo
	v_cmpx_gt_u32_e64 s10, v71
	s_cbranch_execz .LBB317_674
.LBB317_690:                            ;   in Loop: Header=BB317_646 Depth=2
	v_xor_b32_e32 v24, 0x7f, v37
	s_delay_alu instid0(VALU_DEP_1) | instskip(NEXT) | instid1(VALU_DEP_1)
	v_and_b32_e32 v24, 0xff, v24
	v_lshrrev_b32_e32 v24, s49, v24
	s_delay_alu instid0(VALU_DEP_1) | instskip(NEXT) | instid1(VALU_DEP_1)
	v_and_b32_e32 v24, s58, v24
	v_lshl_or_b32 v24, v24, 4, v84
	ds_add_u32 v24, v7
	s_or_b32 exec_lo, exec_lo, s11
	s_delay_alu instid0(SALU_CYCLE_1)
	s_mov_b32 s11, exec_lo
	v_cmpx_gt_u32_e64 s10, v72
	s_cbranch_execz .LBB317_675
.LBB317_691:                            ;   in Loop: Header=BB317_646 Depth=2
	v_xor_b32_e32 v24, 0x7f, v36
	s_delay_alu instid0(VALU_DEP_1) | instskip(NEXT) | instid1(VALU_DEP_1)
	v_and_b32_e32 v24, 0xff, v24
	v_lshrrev_b32_e32 v24, s49, v24
	s_delay_alu instid0(VALU_DEP_1) | instskip(NEXT) | instid1(VALU_DEP_1)
	v_and_b32_e32 v24, s58, v24
	v_lshl_or_b32 v24, v24, 4, v84
	ds_add_u32 v24, v7
	s_or_b32 exec_lo, exec_lo, s11
	s_delay_alu instid0(SALU_CYCLE_1)
	s_mov_b32 s11, exec_lo
	v_cmpx_gt_u32_e64 s10, v73
	s_cbranch_execz .LBB317_676
.LBB317_692:                            ;   in Loop: Header=BB317_646 Depth=2
	v_xor_b32_e32 v24, 0x7f, v35
	s_delay_alu instid0(VALU_DEP_1) | instskip(NEXT) | instid1(VALU_DEP_1)
	v_and_b32_e32 v24, 0xff, v24
	v_lshrrev_b32_e32 v24, s49, v24
	s_delay_alu instid0(VALU_DEP_1) | instskip(NEXT) | instid1(VALU_DEP_1)
	v_and_b32_e32 v24, s58, v24
	v_lshl_or_b32 v24, v24, 4, v84
	ds_add_u32 v24, v7
	s_or_b32 exec_lo, exec_lo, s11
	s_delay_alu instid0(SALU_CYCLE_1)
	s_mov_b32 s11, exec_lo
	v_cmpx_gt_u32_e64 s10, v74
	s_cbranch_execz .LBB317_677
.LBB317_693:                            ;   in Loop: Header=BB317_646 Depth=2
	v_xor_b32_e32 v24, 0x7f, v34
	s_delay_alu instid0(VALU_DEP_1) | instskip(NEXT) | instid1(VALU_DEP_1)
	v_and_b32_e32 v24, 0xff, v24
	v_lshrrev_b32_e32 v24, s49, v24
	s_delay_alu instid0(VALU_DEP_1) | instskip(NEXT) | instid1(VALU_DEP_1)
	v_and_b32_e32 v24, s58, v24
	v_lshl_or_b32 v24, v24, 4, v84
	ds_add_u32 v24, v7
	s_or_b32 exec_lo, exec_lo, s11
	s_delay_alu instid0(SALU_CYCLE_1)
	s_mov_b32 s11, exec_lo
	v_cmpx_gt_u32_e64 s10, v75
	s_cbranch_execz .LBB317_678
.LBB317_694:                            ;   in Loop: Header=BB317_646 Depth=2
	v_xor_b32_e32 v24, 0x7f, v33
	s_delay_alu instid0(VALU_DEP_1) | instskip(NEXT) | instid1(VALU_DEP_1)
	v_and_b32_e32 v24, 0xff, v24
	v_lshrrev_b32_e32 v24, s49, v24
	s_delay_alu instid0(VALU_DEP_1) | instskip(NEXT) | instid1(VALU_DEP_1)
	v_and_b32_e32 v24, s58, v24
	v_lshl_or_b32 v24, v24, 4, v84
	ds_add_u32 v24, v7
	s_or_b32 exec_lo, exec_lo, s11
	s_delay_alu instid0(SALU_CYCLE_1)
	s_mov_b32 s11, exec_lo
	v_cmpx_gt_u32_e64 s10, v76
	s_cbranch_execz .LBB317_679
.LBB317_695:                            ;   in Loop: Header=BB317_646 Depth=2
	v_xor_b32_e32 v24, 0x7f, v32
	s_delay_alu instid0(VALU_DEP_1) | instskip(NEXT) | instid1(VALU_DEP_1)
	v_and_b32_e32 v24, 0xff, v24
	v_lshrrev_b32_e32 v24, s49, v24
	s_delay_alu instid0(VALU_DEP_1) | instskip(NEXT) | instid1(VALU_DEP_1)
	v_and_b32_e32 v24, s58, v24
	v_lshl_or_b32 v24, v24, 4, v84
	ds_add_u32 v24, v7
	s_or_b32 exec_lo, exec_lo, s11
	s_delay_alu instid0(SALU_CYCLE_1)
	s_mov_b32 s11, exec_lo
	v_cmpx_gt_u32_e64 s10, v77
	s_cbranch_execz .LBB317_680
.LBB317_696:                            ;   in Loop: Header=BB317_646 Depth=2
	v_xor_b32_e32 v24, 0x7f, v31
	s_delay_alu instid0(VALU_DEP_1) | instskip(NEXT) | instid1(VALU_DEP_1)
	v_and_b32_e32 v24, 0xff, v24
	v_lshrrev_b32_e32 v24, s49, v24
	s_delay_alu instid0(VALU_DEP_1) | instskip(NEXT) | instid1(VALU_DEP_1)
	v_and_b32_e32 v24, s58, v24
	v_lshl_or_b32 v24, v24, 4, v84
	ds_add_u32 v24, v7
	s_or_b32 exec_lo, exec_lo, s11
	s_delay_alu instid0(SALU_CYCLE_1)
	s_mov_b32 s11, exec_lo
	v_cmpx_gt_u32_e64 s10, v78
	s_cbranch_execz .LBB317_681
.LBB317_697:                            ;   in Loop: Header=BB317_646 Depth=2
	v_xor_b32_e32 v24, 0x7f, v30
	s_delay_alu instid0(VALU_DEP_1) | instskip(NEXT) | instid1(VALU_DEP_1)
	v_and_b32_e32 v24, 0xff, v24
	v_lshrrev_b32_e32 v24, s49, v24
	s_delay_alu instid0(VALU_DEP_1) | instskip(NEXT) | instid1(VALU_DEP_1)
	v_and_b32_e32 v24, s58, v24
	v_lshl_or_b32 v24, v24, 4, v84
	ds_add_u32 v24, v7
	s_or_b32 exec_lo, exec_lo, s11
	s_delay_alu instid0(SALU_CYCLE_1)
	s_mov_b32 s11, exec_lo
	v_cmpx_gt_u32_e64 s10, v79
	s_cbranch_execz .LBB317_682
.LBB317_698:                            ;   in Loop: Header=BB317_646 Depth=2
	v_xor_b32_e32 v24, 0x7f, v29
	s_delay_alu instid0(VALU_DEP_1) | instskip(NEXT) | instid1(VALU_DEP_1)
	v_and_b32_e32 v24, 0xff, v24
	v_lshrrev_b32_e32 v24, s49, v24
	s_delay_alu instid0(VALU_DEP_1) | instskip(NEXT) | instid1(VALU_DEP_1)
	v_and_b32_e32 v24, s58, v24
	v_lshl_or_b32 v24, v24, 4, v84
	ds_add_u32 v24, v7
	s_or_b32 exec_lo, exec_lo, s11
	s_delay_alu instid0(SALU_CYCLE_1)
	s_mov_b32 s11, exec_lo
	v_cmpx_gt_u32_e64 s10, v80
	s_cbranch_execz .LBB317_683
.LBB317_699:                            ;   in Loop: Header=BB317_646 Depth=2
	v_xor_b32_e32 v24, 0x7f, v28
	s_delay_alu instid0(VALU_DEP_1) | instskip(NEXT) | instid1(VALU_DEP_1)
	v_and_b32_e32 v24, 0xff, v24
	v_lshrrev_b32_e32 v24, s49, v24
	s_delay_alu instid0(VALU_DEP_1) | instskip(NEXT) | instid1(VALU_DEP_1)
	v_and_b32_e32 v24, s58, v24
	v_lshl_or_b32 v24, v24, 4, v84
	ds_add_u32 v24, v7
	s_or_b32 exec_lo, exec_lo, s11
	s_delay_alu instid0(SALU_CYCLE_1)
	s_mov_b32 s11, exec_lo
	v_cmpx_gt_u32_e64 s10, v81
	s_cbranch_execz .LBB317_684
.LBB317_700:                            ;   in Loop: Header=BB317_646 Depth=2
	v_xor_b32_e32 v24, 0x7f, v27
	s_delay_alu instid0(VALU_DEP_1) | instskip(NEXT) | instid1(VALU_DEP_1)
	v_and_b32_e32 v24, 0xff, v24
	v_lshrrev_b32_e32 v24, s49, v24
	s_delay_alu instid0(VALU_DEP_1) | instskip(NEXT) | instid1(VALU_DEP_1)
	v_and_b32_e32 v24, s58, v24
	v_lshl_or_b32 v24, v24, 4, v84
	ds_add_u32 v24, v7
	s_or_b32 exec_lo, exec_lo, s11
	v_cmp_gt_u32_e32 vcc_lo, s10, v82
	s_and_saveexec_b32 s10, vcc_lo
	s_cbranch_execz .LBB317_645
.LBB317_701:                            ;   in Loop: Header=BB317_646 Depth=2
	v_xor_b32_e32 v24, 0x7f, v26
	s_delay_alu instid0(VALU_DEP_1) | instskip(NEXT) | instid1(VALU_DEP_1)
	v_and_b32_e32 v24, 0xff, v24
	v_lshrrev_b32_e32 v24, s49, v24
	s_delay_alu instid0(VALU_DEP_1) | instskip(NEXT) | instid1(VALU_DEP_1)
	v_and_b32_e32 v24, s58, v24
	v_lshl_or_b32 v24, v24, 4, v84
	ds_add_u32 v24, v7
	s_branch .LBB317_645
.LBB317_702:                            ;   in Loop: Header=BB317_646 Depth=2
	global_load_u8 v39, v[24:25], off
	s_wait_xcnt 0x0
	s_or_b32 exec_lo, exec_lo, s10
	s_delay_alu instid0(SALU_CYCLE_1)
	s_mov_b32 s10, exec_lo
	v_cmpx_gt_u32_e64 s8, v67
	s_cbranch_execz .LBB317_651
.LBB317_703:                            ;   in Loop: Header=BB317_646 Depth=2
	global_load_u8 v42, v[24:25], off offset:256
	s_wait_xcnt 0x0
	s_or_b32 exec_lo, exec_lo, s10
	s_delay_alu instid0(SALU_CYCLE_1)
	s_mov_b32 s10, exec_lo
	v_cmpx_gt_u32_e64 s8, v68
	s_cbranch_execz .LBB317_652
.LBB317_704:                            ;   in Loop: Header=BB317_646 Depth=2
	global_load_u8 v41, v[24:25], off offset:512
	s_wait_xcnt 0x0
	s_or_b32 exec_lo, exec_lo, s10
	s_delay_alu instid0(SALU_CYCLE_1)
	s_mov_b32 s10, exec_lo
	v_cmpx_gt_u32_e64 s8, v69
	s_cbranch_execz .LBB317_653
.LBB317_705:                            ;   in Loop: Header=BB317_646 Depth=2
	global_load_u8 v40, v[24:25], off offset:768
	s_wait_xcnt 0x0
	s_or_b32 exec_lo, exec_lo, s10
	s_delay_alu instid0(SALU_CYCLE_1)
	s_mov_b32 s10, exec_lo
	v_cmpx_gt_u32_e64 s8, v70
	s_cbranch_execz .LBB317_654
.LBB317_706:                            ;   in Loop: Header=BB317_646 Depth=2
	global_load_u8 v38, v[24:25], off offset:1024
	s_wait_xcnt 0x0
	s_or_b32 exec_lo, exec_lo, s10
	s_delay_alu instid0(SALU_CYCLE_1)
	s_mov_b32 s10, exec_lo
	v_cmpx_gt_u32_e64 s8, v71
	s_cbranch_execz .LBB317_655
.LBB317_707:                            ;   in Loop: Header=BB317_646 Depth=2
	global_load_u8 v37, v[24:25], off offset:1280
	s_wait_xcnt 0x0
	s_or_b32 exec_lo, exec_lo, s10
	s_delay_alu instid0(SALU_CYCLE_1)
	s_mov_b32 s10, exec_lo
	v_cmpx_gt_u32_e64 s8, v72
	s_cbranch_execz .LBB317_656
.LBB317_708:                            ;   in Loop: Header=BB317_646 Depth=2
	global_load_u8 v36, v[24:25], off offset:1536
	s_wait_xcnt 0x0
	s_or_b32 exec_lo, exec_lo, s10
	s_delay_alu instid0(SALU_CYCLE_1)
	s_mov_b32 s10, exec_lo
	v_cmpx_gt_u32_e64 s8, v73
	s_cbranch_execz .LBB317_657
.LBB317_709:                            ;   in Loop: Header=BB317_646 Depth=2
	global_load_u8 v35, v[24:25], off offset:1792
	s_wait_xcnt 0x0
	s_or_b32 exec_lo, exec_lo, s10
	s_delay_alu instid0(SALU_CYCLE_1)
	s_mov_b32 s10, exec_lo
	v_cmpx_gt_u32_e64 s8, v74
	s_cbranch_execz .LBB317_658
.LBB317_710:                            ;   in Loop: Header=BB317_646 Depth=2
	global_load_u8 v34, v[24:25], off offset:2048
	s_wait_xcnt 0x0
	s_or_b32 exec_lo, exec_lo, s10
	s_delay_alu instid0(SALU_CYCLE_1)
	s_mov_b32 s10, exec_lo
	v_cmpx_gt_u32_e64 s8, v75
	s_cbranch_execz .LBB317_659
.LBB317_711:                            ;   in Loop: Header=BB317_646 Depth=2
	global_load_u8 v33, v[24:25], off offset:2304
	s_wait_xcnt 0x0
	s_or_b32 exec_lo, exec_lo, s10
	s_delay_alu instid0(SALU_CYCLE_1)
	s_mov_b32 s10, exec_lo
	v_cmpx_gt_u32_e64 s8, v76
	s_cbranch_execz .LBB317_660
.LBB317_712:                            ;   in Loop: Header=BB317_646 Depth=2
	global_load_u8 v32, v[24:25], off offset:2560
	s_wait_xcnt 0x0
	s_or_b32 exec_lo, exec_lo, s10
	s_delay_alu instid0(SALU_CYCLE_1)
	s_mov_b32 s10, exec_lo
	v_cmpx_gt_u32_e64 s8, v77
	s_cbranch_execz .LBB317_661
.LBB317_713:                            ;   in Loop: Header=BB317_646 Depth=2
	global_load_u8 v31, v[24:25], off offset:2816
	s_wait_xcnt 0x0
	s_or_b32 exec_lo, exec_lo, s10
	s_delay_alu instid0(SALU_CYCLE_1)
	s_mov_b32 s10, exec_lo
	v_cmpx_gt_u32_e64 s8, v78
	s_cbranch_execz .LBB317_662
.LBB317_714:                            ;   in Loop: Header=BB317_646 Depth=2
	global_load_u8 v30, v[24:25], off offset:3072
	s_wait_xcnt 0x0
	s_or_b32 exec_lo, exec_lo, s10
	s_delay_alu instid0(SALU_CYCLE_1)
	s_mov_b32 s10, exec_lo
	v_cmpx_gt_u32_e64 s8, v79
	s_cbranch_execz .LBB317_663
.LBB317_715:                            ;   in Loop: Header=BB317_646 Depth=2
	global_load_u8 v29, v[24:25], off offset:3328
	s_wait_xcnt 0x0
	s_or_b32 exec_lo, exec_lo, s10
	s_delay_alu instid0(SALU_CYCLE_1)
	s_mov_b32 s10, exec_lo
	v_cmpx_gt_u32_e64 s8, v80
	s_cbranch_execz .LBB317_664
.LBB317_716:                            ;   in Loop: Header=BB317_646 Depth=2
	global_load_u8 v28, v[24:25], off offset:3584
	s_wait_xcnt 0x0
	s_or_b32 exec_lo, exec_lo, s10
	s_delay_alu instid0(SALU_CYCLE_1)
	s_mov_b32 s10, exec_lo
	v_cmpx_gt_u32_e64 s8, v81
	s_cbranch_execz .LBB317_665
.LBB317_717:                            ;   in Loop: Header=BB317_646 Depth=2
	global_load_u8 v27, v[24:25], off offset:3840
	s_wait_xcnt 0x0
	s_or_b32 exec_lo, exec_lo, s10
	s_delay_alu instid0(SALU_CYCLE_1)
	s_mov_b32 s10, exec_lo
	v_cmpx_gt_u32_e64 s8, v82
	s_cbranch_execnz .LBB317_666
	s_branch .LBB317_667
.LBB317_718:                            ;   in Loop: Header=BB317_20 Depth=1
	v_mov_b32_e32 v24, 0
	s_wait_dscnt 0x0
	s_barrier_signal -1
	s_barrier_wait -1
	s_and_saveexec_b32 s8, s0
	s_cbranch_execz .LBB317_720
; %bb.719:                              ;   in Loop: Header=BB317_20 Depth=1
	ds_load_2addr_b64 v[24:27], v85 offset1:1
	s_wait_dscnt 0x0
	v_add_nc_u32_e32 v24, v25, v24
	s_delay_alu instid0(VALU_DEP_1)
	v_add3_u32 v24, v24, v26, v27
.LBB317_720:                            ;   in Loop: Header=BB317_20 Depth=1
	s_or_b32 exec_lo, exec_lo, s8
	v_and_b32_e32 v25, 15, v0
	s_delay_alu instid0(VALU_DEP_2) | instskip(SKIP_1) | instid1(VALU_DEP_3)
	v_mov_b32_dpp v26, v24 row_shr:1 row_mask:0xf bank_mask:0xf
	v_and_b32_e32 v27, 16, v0
	v_cmp_eq_u32_e64 s8, 0, v25
	v_cmp_lt_u32_e64 s9, 1, v25
	s_delay_alu instid0(VALU_DEP_3) | instskip(NEXT) | instid1(VALU_DEP_3)
	v_cmp_eq_u32_e64 s12, 0, v27
	v_cndmask_b32_e64 v26, v26, 0, s8
	s_delay_alu instid0(VALU_DEP_1) | instskip(NEXT) | instid1(VALU_DEP_1)
	v_add_nc_u32_e32 v24, v26, v24
	v_mov_b32_dpp v26, v24 row_shr:2 row_mask:0xf bank_mask:0xf
	s_delay_alu instid0(VALU_DEP_1) | instskip(SKIP_2) | instid1(VALU_DEP_3)
	v_cndmask_b32_e64 v26, 0, v26, s9
	v_cmp_lt_u32_e64 s11, 7, v25
	v_cmp_lt_u32_e64 s10, 3, v25
	v_add_nc_u32_e32 v24, v24, v26
	s_delay_alu instid0(VALU_DEP_1) | instskip(NEXT) | instid1(VALU_DEP_1)
	v_mov_b32_dpp v26, v24 row_shr:4 row_mask:0xf bank_mask:0xf
	v_cndmask_b32_e64 v26, 0, v26, s10
	s_delay_alu instid0(VALU_DEP_1) | instskip(NEXT) | instid1(VALU_DEP_1)
	v_add_nc_u32_e32 v24, v24, v26
	v_mov_b32_dpp v26, v24 row_shr:8 row_mask:0xf bank_mask:0xf
	s_delay_alu instid0(VALU_DEP_1) | instskip(SKIP_1) | instid1(VALU_DEP_2)
	v_cndmask_b32_e64 v25, 0, v26, s11
	v_bfe_i32 v26, v0, 4, 1
	v_add_nc_u32_e32 v24, v24, v25
	ds_swizzle_b32 v25, v24 offset:swizzle(BROADCAST,32,15)
	s_wait_dscnt 0x0
	v_and_b32_e32 v25, v26, v25
	s_delay_alu instid0(VALU_DEP_1)
	v_add_nc_u32_e32 v24, v24, v25
	s_and_saveexec_b32 s13, s1
; %bb.721:                              ;   in Loop: Header=BB317_20 Depth=1
	ds_store_b32 v86, v24
; %bb.722:                              ;   in Loop: Header=BB317_20 Depth=1
	s_or_b32 exec_lo, exec_lo, s13
	s_wait_dscnt 0x0
	s_barrier_signal -1
	s_barrier_wait -1
	s_and_saveexec_b32 s13, s4
	s_cbranch_execz .LBB317_724
; %bb.723:                              ;   in Loop: Header=BB317_20 Depth=1
	ds_load_b32 v25, v87
	s_wait_dscnt 0x0
	v_mov_b32_dpp v27, v25 row_shr:1 row_mask:0xf bank_mask:0xf
	v_and_b32_e32 v26, 3, v0
	s_delay_alu instid0(VALU_DEP_1) | instskip(NEXT) | instid1(VALU_DEP_3)
	v_cmp_ne_u32_e32 vcc_lo, 0, v26
	v_cndmask_b32_e32 v27, 0, v27, vcc_lo
	v_cmp_lt_u32_e32 vcc_lo, 1, v26
	s_delay_alu instid0(VALU_DEP_2) | instskip(NEXT) | instid1(VALU_DEP_1)
	v_add_nc_u32_e32 v25, v27, v25
	v_mov_b32_dpp v27, v25 row_shr:2 row_mask:0xf bank_mask:0xf
	s_delay_alu instid0(VALU_DEP_1) | instskip(NEXT) | instid1(VALU_DEP_1)
	v_cndmask_b32_e32 v26, 0, v27, vcc_lo
	v_add_nc_u32_e32 v25, v25, v26
	ds_store_b32 v87, v25
.LBB317_724:                            ;   in Loop: Header=BB317_20 Depth=1
	s_or_b32 exec_lo, exec_lo, s13
	v_mov_b32_e32 v25, 0
	s_wait_dscnt 0x0
	s_barrier_signal -1
	s_barrier_wait -1
	s_and_saveexec_b32 s13, s5
; %bb.725:                              ;   in Loop: Header=BB317_20 Depth=1
	ds_load_b32 v25, v88
; %bb.726:                              ;   in Loop: Header=BB317_20 Depth=1
	s_or_b32 exec_lo, exec_lo, s13
	v_sub_co_u32 v26, s13, v0, 1
	s_wait_dscnt 0x0
	s_barrier_signal -1
	s_barrier_wait -1
	s_delay_alu instid0(VALU_DEP_1) | instskip(SKIP_1) | instid1(VALU_DEP_1)
	v_cmp_gt_i32_e32 vcc_lo, 0, v26
	v_cndmask_b32_e32 v26, v26, v0, vcc_lo
	v_dual_add_nc_u32 v24, v25, v24 :: v_dual_lshlrev_b32 v96, 2, v26
	ds_bpermute_b32 v24, v96, v24
	s_and_saveexec_b32 s14, s0
	s_cbranch_execz .LBB317_728
; %bb.727:                              ;   in Loop: Header=BB317_20 Depth=1
	s_wait_dscnt 0x0
	v_cndmask_b32_e64 v24, v24, v25, s13
	s_delay_alu instid0(VALU_DEP_1)
	v_add_nc_u32_e32 v24, s55, v24
	ds_store_b32 v66, v24
.LBB317_728:                            ;   in Loop: Header=BB317_20 Depth=1
	s_or_b32 exec_lo, exec_lo, s14
	s_load_b64 s[14:15], s[52:53], 0x0
	v_dual_lshlrev_b32 v26, 3, v0 :: v_dual_bitop2_b32 v28, 7, v0 bitop3:0x40
	v_dual_mov_b32 v27, v1 :: v_dual_bitop2_b32 v97, v0, v6 bitop3:0x54
	s_wait_dscnt 0x0
	v_add_nc_u64_e32 v[24:25], v[22:23], v[0:1]
	v_mov_b32_e32 v115, 0
	s_mov_b32 s59, s57
	v_add_nc_u64_e32 v[26:27], v[20:21], v[26:27]
	v_dual_add_nc_u32 v98, 32, v97 :: v_dual_add_nc_u32 v99, 64, v97
	v_add_nc_u32_e32 v100, 0x60, v97
	v_add_nc_u32_e32 v101, 0x80, v97
	v_add_nc_u32_e32 v102, 0xa0, v97
	v_add_nc_u32_e32 v103, 0xc0, v97
	v_add_nc_u32_e32 v104, 0xe0, v97
	v_add_nc_u32_e32 v105, 0x100, v97
	v_add_nc_u32_e32 v106, 0x120, v97
	v_add_nc_u32_e32 v107, 0x140, v97
	v_add_nc_u32_e32 v108, 0x160, v97
	s_wait_kmcnt 0x0
	s_cmp_lt_u32 s51, s14
	v_add_nc_u32_e32 v109, 0x180, v97
	s_cselect_b32 s34, 12, 18
	s_cmp_lt_u32 s42, s15
	s_mov_b32 s15, s35
	s_cselect_b32 s14, 14, 20
	v_add_nc_u32_e32 v110, 0x1a0, v97
	s_add_nc_u64 s[14:15], s[52:53], s[14:15]
	v_add_nc_u32_e32 v111, 0x1c0, v97
	s_load_u16 s16, s[14:15], 0x0
	s_wait_xcnt 0x0
	s_add_nc_u64 s[14:15], s[52:53], s[34:35]
	v_add_nc_u32_e32 v112, 0x1e0, v97
	s_load_u16 s17, s[14:15], 0x0
	s_wait_xcnt 0x0
	v_cmp_eq_u32_e64 s14, 0, v28
	v_cmp_lt_u32_e64 s15, 1, v28
	v_add_nc_u32_e32 v113, 0x200, v97
	s_mov_b32 s34, s55
                                        ; implicit-def: $vgpr30_vgpr31
                                        ; implicit-def: $vgpr32_vgpr33
                                        ; implicit-def: $vgpr34_vgpr35
                                        ; implicit-def: $vgpr36_vgpr37
                                        ; implicit-def: $vgpr38_vgpr39
                                        ; implicit-def: $vgpr40_vgpr41
                                        ; implicit-def: $vgpr42_vgpr43
                                        ; implicit-def: $vgpr44_vgpr45
                                        ; implicit-def: $vgpr46_vgpr47
                                        ; implicit-def: $vgpr48_vgpr49
                                        ; implicit-def: $vgpr50_vgpr51
                                        ; implicit-def: $vgpr52_vgpr53
                                        ; implicit-def: $vgpr54_vgpr55
                                        ; implicit-def: $vgpr56_vgpr57
                                        ; implicit-def: $vgpr58_vgpr59
                                        ; implicit-def: $vgpr60_vgpr61
                                        ; implicit-def: $vgpr116
                                        ; implicit-def: $vgpr117
                                        ; implicit-def: $vgpr118
                                        ; implicit-def: $vgpr119
                                        ; implicit-def: $vgpr120
                                        ; implicit-def: $vgpr121
                                        ; implicit-def: $vgpr122
                                        ; implicit-def: $vgpr123
                                        ; implicit-def: $vgpr124
                                        ; implicit-def: $vgpr125
                                        ; implicit-def: $vgpr126
                                        ; implicit-def: $vgpr127
                                        ; implicit-def: $vgpr128
                                        ; implicit-def: $vgpr129
                                        ; implicit-def: $vgpr130
                                        ; implicit-def: $vgpr131
                                        ; implicit-def: $vgpr132
                                        ; implicit-def: $vgpr133
                                        ; implicit-def: $vgpr134
	s_wait_kmcnt 0x0
	v_mad_u32_u24 v29, v89, s16, v91
	v_cmp_lt_u32_e64 s16, 3, v28
	s_delay_alu instid0(VALU_DEP_2) | instskip(NEXT) | instid1(VALU_DEP_1)
	v_mad_u32 v28, v29, s17, v2
	v_lshrrev_b32_e32 v28, 3, v28
	s_delay_alu instid0(VALU_DEP_1)
	v_and_b32_e32 v114, 0x1ffffffc, v28
                                        ; implicit-def: $vgpr28_vgpr29
	s_branch .LBB317_730
.LBB317_729:                            ;   in Loop: Header=BB317_730 Depth=2
	s_or_b32 exec_lo, exec_lo, s17
	s_addk_co_i32 s59, 0xef00
	s_cmp_lt_u32 s60, s54
	s_mov_b32 s34, s60
	s_cbranch_scc0 .LBB317_952
.LBB317_730:                            ;   Parent Loop BB317_20 Depth=1
                                        ; =>  This Inner Loop Header: Depth=2
	s_add_co_i32 s60, s34, 0x1100
	s_delay_alu instid0(SALU_CYCLE_1)
	s_cmp_gt_u32 s60, s54
	s_cbranch_scc1 .LBB317_732
; %bb.731:                              ;   in Loop: Header=BB317_730 Depth=2
	v_add_nc_u64_e32 v[62:63], s[34:35], v[24:25]
	s_mov_b32 s17, -1
	s_clause 0xf
	global_load_u8 v135, v[62:63], off offset:480
	global_load_u8 v65, v[62:63], off offset:448
	;; [unrolled: 1-line block ×15, first 2 shown]
	global_load_u8 v147, v[62:63], off
	s_movk_i32 s18, 0x1100
	s_cbranch_execz .LBB317_733
	s_branch .LBB317_751
.LBB317_732:                            ;   in Loop: Header=BB317_730 Depth=2
	s_mov_b32 s17, 0
                                        ; implicit-def: $vgpr147
                                        ; implicit-def: $vgpr150
                                        ; implicit-def: $vgpr148
                                        ; implicit-def: $vgpr151
                                        ; implicit-def: $vgpr142
                                        ; implicit-def: $vgpr145
                                        ; implicit-def: $vgpr143
                                        ; implicit-def: $vgpr144
                                        ; implicit-def: $vgpr138
                                        ; implicit-def: $vgpr141
                                        ; implicit-def: $vgpr139
                                        ; implicit-def: $vgpr140
                                        ; implicit-def: $vgpr64
                                        ; implicit-def: $vgpr136
                                        ; implicit-def: $vgpr65
                                        ; implicit-def: $vgpr135
                                        ; implicit-def: $vgpr115
	s_movk_i32 s18, 0x1100
.LBB317_733:                            ;   in Loop: Header=BB317_730 Depth=2
	s_wait_xcnt 0x0
	v_add_nc_u64_e32 v[62:63], s[34:35], v[24:25]
	s_wait_loadcnt 0x1
	v_dual_mov_b32 v115, 0x80 :: v_dual_mov_b32 v150, 0x80
	s_wait_loadcnt 0x0
	v_dual_mov_b32 v147, 0x80 :: v_dual_mov_b32 v148, 0x80
	v_dual_mov_b32 v151, 0x80 :: v_dual_mov_b32 v142, 0x80
	;; [unrolled: 1-line block ×7, first 2 shown]
	v_mov_b32_e32 v135, 0x80
	s_mov_b32 s17, exec_lo
	v_cmpx_gt_u32_e64 s59, v97
	s_cbranch_execnz .LBB317_937
; %bb.734:                              ;   in Loop: Header=BB317_730 Depth=2
	s_or_b32 exec_lo, exec_lo, s17
	s_delay_alu instid0(SALU_CYCLE_1)
	s_mov_b32 s17, exec_lo
	v_cmpx_gt_u32_e64 s59, v98
	s_cbranch_execnz .LBB317_938
.LBB317_735:                            ;   in Loop: Header=BB317_730 Depth=2
	s_or_b32 exec_lo, exec_lo, s17
	s_delay_alu instid0(SALU_CYCLE_1)
	s_mov_b32 s17, exec_lo
	v_cmpx_gt_u32_e64 s59, v99
	s_cbranch_execnz .LBB317_939
.LBB317_736:                            ;   in Loop: Header=BB317_730 Depth=2
	s_or_b32 exec_lo, exec_lo, s17
	s_delay_alu instid0(SALU_CYCLE_1)
	s_mov_b32 s17, exec_lo
	v_cmpx_gt_u32_e64 s59, v100
	s_cbranch_execnz .LBB317_940
.LBB317_737:                            ;   in Loop: Header=BB317_730 Depth=2
	s_or_b32 exec_lo, exec_lo, s17
	s_delay_alu instid0(SALU_CYCLE_1)
	s_mov_b32 s17, exec_lo
	v_cmpx_gt_u32_e64 s59, v101
	s_cbranch_execnz .LBB317_941
.LBB317_738:                            ;   in Loop: Header=BB317_730 Depth=2
	s_or_b32 exec_lo, exec_lo, s17
	s_delay_alu instid0(SALU_CYCLE_1)
	s_mov_b32 s17, exec_lo
	v_cmpx_gt_u32_e64 s59, v102
	s_cbranch_execnz .LBB317_942
.LBB317_739:                            ;   in Loop: Header=BB317_730 Depth=2
	s_or_b32 exec_lo, exec_lo, s17
	s_delay_alu instid0(SALU_CYCLE_1)
	s_mov_b32 s17, exec_lo
	v_cmpx_gt_u32_e64 s59, v103
	s_cbranch_execnz .LBB317_943
.LBB317_740:                            ;   in Loop: Header=BB317_730 Depth=2
	s_or_b32 exec_lo, exec_lo, s17
	s_delay_alu instid0(SALU_CYCLE_1)
	s_mov_b32 s17, exec_lo
	v_cmpx_gt_u32_e64 s59, v104
	s_cbranch_execnz .LBB317_944
.LBB317_741:                            ;   in Loop: Header=BB317_730 Depth=2
	s_or_b32 exec_lo, exec_lo, s17
	s_delay_alu instid0(SALU_CYCLE_1)
	s_mov_b32 s17, exec_lo
	v_cmpx_gt_u32_e64 s59, v105
	s_cbranch_execnz .LBB317_945
.LBB317_742:                            ;   in Loop: Header=BB317_730 Depth=2
	s_or_b32 exec_lo, exec_lo, s17
	s_delay_alu instid0(SALU_CYCLE_1)
	s_mov_b32 s17, exec_lo
	v_cmpx_gt_u32_e64 s59, v106
	s_cbranch_execnz .LBB317_946
.LBB317_743:                            ;   in Loop: Header=BB317_730 Depth=2
	s_or_b32 exec_lo, exec_lo, s17
	s_delay_alu instid0(SALU_CYCLE_1)
	s_mov_b32 s17, exec_lo
	v_cmpx_gt_u32_e64 s59, v107
	s_cbranch_execnz .LBB317_947
.LBB317_744:                            ;   in Loop: Header=BB317_730 Depth=2
	s_or_b32 exec_lo, exec_lo, s17
	s_delay_alu instid0(SALU_CYCLE_1)
	s_mov_b32 s17, exec_lo
	v_cmpx_gt_u32_e64 s59, v108
	s_cbranch_execnz .LBB317_948
.LBB317_745:                            ;   in Loop: Header=BB317_730 Depth=2
	s_or_b32 exec_lo, exec_lo, s17
	s_delay_alu instid0(SALU_CYCLE_1)
	s_mov_b32 s17, exec_lo
	v_cmpx_gt_u32_e64 s59, v109
	s_cbranch_execnz .LBB317_949
.LBB317_746:                            ;   in Loop: Header=BB317_730 Depth=2
	s_or_b32 exec_lo, exec_lo, s17
	s_delay_alu instid0(SALU_CYCLE_1)
	s_mov_b32 s17, exec_lo
	v_cmpx_gt_u32_e64 s59, v110
	s_cbranch_execnz .LBB317_950
.LBB317_747:                            ;   in Loop: Header=BB317_730 Depth=2
	s_or_b32 exec_lo, exec_lo, s17
	s_delay_alu instid0(SALU_CYCLE_1)
	s_mov_b32 s17, exec_lo
	v_cmpx_gt_u32_e64 s59, v111
	s_cbranch_execnz .LBB317_951
.LBB317_748:                            ;   in Loop: Header=BB317_730 Depth=2
	s_or_b32 exec_lo, exec_lo, s17
	s_delay_alu instid0(SALU_CYCLE_1)
	s_mov_b32 s17, exec_lo
	v_cmpx_gt_u32_e64 s59, v112
	s_cbranch_execz .LBB317_750
.LBB317_749:                            ;   in Loop: Header=BB317_730 Depth=2
	global_load_u8 v135, v[62:63], off offset:480
.LBB317_750:                            ;   in Loop: Header=BB317_730 Depth=2
	s_wait_xcnt 0x0
	s_or_b32 exec_lo, exec_lo, s17
	v_cmp_gt_u32_e64 s17, s59, v113
	s_sub_co_i32 s18, s54, s34
.LBB317_751:                            ;   in Loop: Header=BB317_730 Depth=2
	v_mov_b32_e32 v137, s59
	s_wait_xcnt 0x0
	s_and_saveexec_b32 s19, s17
	s_cbranch_execz .LBB317_753
; %bb.752:                              ;   in Loop: Header=BB317_730 Depth=2
	v_add_nc_u64_e32 v[62:63], s[34:35], v[24:25]
	v_mov_b32_e32 v137, s18
	global_load_u8 v115, v[62:63], off offset:512
.LBB317_753:                            ;   in Loop: Header=BB317_730 Depth=2
	s_wait_xcnt 0x0
	s_or_b32 exec_lo, exec_lo, s19
	s_wait_loadcnt 0x0
	v_bitop3_b16 v62, v147, s43, 0x7f bitop3:0x48
	ds_store_2addr_b32 v90, v1, v1 offset0:136 offset1:137
	ds_store_2addr_b32 v90, v1, v1 offset0:138 offset1:139
	ds_store_b32 v90, v1 offset:560
	s_wait_dscnt 0x0
	s_barrier_signal -1
	s_barrier_wait -1
	v_and_b32_e32 v62, 0xffff, v62
	; wave barrier
	s_delay_alu instid0(VALU_DEP_1) | instskip(NEXT) | instid1(VALU_DEP_1)
	v_lshrrev_b32_e32 v62, s49, v62
	v_and_b32_e32 v149, s58, v62
	s_delay_alu instid0(VALU_DEP_1) | instskip(SKIP_1) | instid1(VALU_DEP_1)
	v_lshlrev_b32_e32 v146, 30, v149
	v_bitop3_b32 v63, v62, 1, s58 bitop3:0x80
	v_add_co_u32 v62, s17, v63, -1
	s_delay_alu instid0(VALU_DEP_1) | instskip(NEXT) | instid1(VALU_DEP_4)
	v_cndmask_b32_e64 v63, 0, 1, s17
	v_cmp_gt_i32_e64 s17, 0, v146
	s_delay_alu instid0(VALU_DEP_2) | instskip(SKIP_2) | instid1(VALU_DEP_2)
	v_cmp_ne_u32_e32 vcc_lo, 0, v63
	v_not_b32_e32 v63, v146
	v_bitop3_b32 v62, vcc_lo, exec_lo, v62 bitop3:0x48
	v_dual_ashrrev_i32 v63, 31, v63 :: v_dual_lshlrev_b32 v152, 29, v149
	v_dual_lshlrev_b32 v153, 28, v149 :: v_dual_lshlrev_b32 v154, 27, v149
	v_lshlrev_b32_e32 v155, 26, v149
	s_delay_alu instid0(VALU_DEP_3)
	v_not_b32_e32 v146, v152
	v_lshlrev_b32_e32 v156, 25, v149
	v_cmp_gt_i32_e64 s18, 0, v152
	v_cmp_gt_i32_e64 s19, 0, v153
	v_not_b32_e32 v152, v153
	v_not_b32_e32 v153, v154
	v_ashrrev_i32_e32 v146, 31, v146
	v_cmp_gt_i32_e64 s20, 0, v154
	v_cmp_gt_i32_e64 s21, 0, v155
	v_not_b32_e32 v154, v155
	v_not_b32_e32 v155, v156
	v_dual_ashrrev_i32 v152, 31, v152 :: v_dual_ashrrev_i32 v153, 31, v153
	s_delay_alu instid0(VALU_DEP_3) | instskip(NEXT) | instid1(VALU_DEP_3)
	v_dual_ashrrev_i32 v154, 31, v154 :: v_dual_bitop2_b32 v63, s17, v63 bitop3:0x14
	v_dual_ashrrev_i32 v155, 31, v155 :: v_dual_bitop2_b32 v146, s18, v146 bitop3:0x14
	v_cmp_gt_i32_e64 s22, 0, v156
	s_delay_alu instid0(VALU_DEP_4) | instskip(SKIP_1) | instid1(VALU_DEP_4)
	v_xor_b32_e32 v152, s19, v152
	v_xor_b32_e32 v153, s20, v153
	v_bitop3_b32 v62, v62, v146, v63 bitop3:0x80
	v_xor_b32_e32 v63, s21, v154
	v_xor_b32_e32 v146, s22, v155
	s_delay_alu instid0(VALU_DEP_3) | instskip(NEXT) | instid1(VALU_DEP_1)
	v_bitop3_b32 v62, v62, v153, v152 bitop3:0x80
	v_bitop3_b32 v62, v62, v146, v63 bitop3:0x80
	v_mul_u32_u24_e32 v63, 36, v149
	s_delay_alu instid0(VALU_DEP_2) | instskip(SKIP_1) | instid1(VALU_DEP_3)
	v_mbcnt_lo_u32_b32 v146, v62, 0
	v_cmp_ne_u32_e64 s17, 0, v62
	v_add_nc_u32_e32 v149, v114, v63
	s_delay_alu instid0(VALU_DEP_3) | instskip(SKIP_1) | instid1(SALU_CYCLE_1)
	v_cmp_eq_u32_e32 vcc_lo, 0, v146
	s_and_b32 s18, s17, vcc_lo
	s_and_saveexec_b32 s17, s18
; %bb.754:                              ;   in Loop: Header=BB317_730 Depth=2
	v_bcnt_u32_b32 v62, v62, 0
	ds_store_b32 v149, v62 offset:544
; %bb.755:                              ;   in Loop: Header=BB317_730 Depth=2
	s_or_b32 exec_lo, exec_lo, s17
	v_xor_b32_e32 v62, 0x7f, v150
	v_xor_b32_e32 v63, 0x7f, v151
	;; [unrolled: 1-line block ×4, first 2 shown]
	s_delay_alu instid0(VALU_DEP_4) | instskip(NEXT) | instid1(VALU_DEP_4)
	v_lshlrev_b16 v62, 8, v62
	v_lshlrev_b16 v63, 8, v63
	; wave barrier
	s_delay_alu instid0(VALU_DEP_2) | instskip(NEXT) | instid1(VALU_DEP_2)
	v_bitop3_b16 v147, v147, v62, 0xff bitop3:0xec
	v_bitop3_b16 v62, v148, v63, 0xff bitop3:0xec
	s_delay_alu instid0(VALU_DEP_2) | instskip(NEXT) | instid1(VALU_DEP_2)
	v_and_b32_e32 v63, 0xffff, v147
	v_lshlrev_b32_e32 v62, 16, v62
	s_delay_alu instid0(VALU_DEP_1) | instskip(NEXT) | instid1(VALU_DEP_1)
	v_or_b32_e32 v148, v63, v62
	v_bfe_u32 v62, v148, 8, 8
	s_delay_alu instid0(VALU_DEP_1) | instskip(NEXT) | instid1(VALU_DEP_1)
	v_lshrrev_b32_e32 v62, s49, v62
	v_bitop3_b32 v63, v62, 1, s58 bitop3:0x80
	v_and_b32_e32 v152, s58, v62
	s_delay_alu instid0(VALU_DEP_2) | instskip(NEXT) | instid1(VALU_DEP_1)
	v_add_co_u32 v62, s17, v63, -1
	v_cndmask_b32_e64 v63, 0, 1, s17
	s_delay_alu instid0(VALU_DEP_3) | instskip(NEXT) | instid1(VALU_DEP_2)
	v_lshlrev_b32_e32 v150, 30, v152
	v_cmp_ne_u32_e32 vcc_lo, 0, v63
	s_delay_alu instid0(VALU_DEP_2) | instskip(SKIP_2) | instid1(VALU_DEP_3)
	v_not_b32_e32 v63, v150
	v_cmp_gt_i32_e64 s17, 0, v150
	v_bitop3_b32 v62, vcc_lo, exec_lo, v62 bitop3:0x48
	v_dual_ashrrev_i32 v63, 31, v63 :: v_dual_lshlrev_b32 v151, 29, v152
	v_dual_lshlrev_b32 v153, 28, v152 :: v_dual_lshlrev_b32 v154, 27, v152
	v_lshlrev_b32_e32 v155, 26, v152
	s_delay_alu instid0(VALU_DEP_3)
	v_not_b32_e32 v150, v151
	v_lshlrev_b32_e32 v156, 25, v152
	v_cmp_gt_i32_e64 s18, 0, v151
	v_cmp_gt_i32_e64 s19, 0, v153
	v_not_b32_e32 v151, v153
	v_ashrrev_i32_e32 v150, 31, v150
	v_cmp_gt_i32_e64 s20, 0, v154
	v_not_b32_e32 v153, v154
	v_cmp_gt_i32_e64 s21, 0, v155
	v_not_b32_e32 v154, v155
	v_not_b32_e32 v155, v156
	v_xor_b32_e32 v63, s17, v63
	v_dual_ashrrev_i32 v151, 31, v151 :: v_dual_bitop2_b32 v150, s18, v150 bitop3:0x14
	s_delay_alu instid0(VALU_DEP_4) | instskip(NEXT) | instid1(VALU_DEP_4)
	v_dual_ashrrev_i32 v153, 31, v153 :: v_dual_ashrrev_i32 v154, 31, v154
	v_ashrrev_i32_e32 v155, 31, v155
	s_delay_alu instid0(VALU_DEP_3)
	v_bitop3_b32 v62, v62, v150, v63 bitop3:0x80
	v_mad_u32_u24 v63, v152, 36, v114
	v_cmp_gt_i32_e64 s22, 0, v156
	v_xor_b32_e32 v151, s19, v151
	v_xor_b32_e32 v154, s21, v154
	ds_load_b32 v150, v63 offset:544
	v_mul_u32_u24_e32 v63, 36, v152
	v_xor_b32_e32 v153, s20, v153
	v_xor_b32_e32 v155, s22, v155
	; wave barrier
	s_delay_alu instid0(VALU_DEP_3) | instskip(NEXT) | instid1(VALU_DEP_3)
	v_add_nc_u32_e32 v152, v114, v63
	v_bitop3_b32 v62, v62, v153, v151 bitop3:0x80
	s_delay_alu instid0(VALU_DEP_1) | instskip(NEXT) | instid1(VALU_DEP_1)
	v_bitop3_b32 v62, v62, v155, v154 bitop3:0x80
	v_mbcnt_lo_u32_b32 v151, v62, 0
	v_cmp_ne_u32_e64 s17, 0, v62
	s_delay_alu instid0(VALU_DEP_2) | instskip(SKIP_1) | instid1(SALU_CYCLE_1)
	v_cmp_eq_u32_e32 vcc_lo, 0, v151
	s_and_b32 s18, s17, vcc_lo
	s_and_saveexec_b32 s17, s18
	s_cbranch_execz .LBB317_757
; %bb.756:                              ;   in Loop: Header=BB317_730 Depth=2
	s_wait_dscnt 0x0
	v_bcnt_u32_b32 v62, v62, v150
	ds_store_b32 v152, v62 offset:544
.LBB317_757:                            ;   in Loop: Header=BB317_730 Depth=2
	s_or_b32 exec_lo, exec_lo, s17
	v_bfe_u32 v62, v148, 16, 8
	; wave barrier
	s_delay_alu instid0(VALU_DEP_1) | instskip(NEXT) | instid1(VALU_DEP_1)
	v_lshrrev_b32_e32 v62, s49, v62
	v_and_b32_e32 v155, s58, v62
	s_delay_alu instid0(VALU_DEP_1) | instskip(SKIP_1) | instid1(VALU_DEP_1)
	v_lshlrev_b32_e32 v153, 30, v155
	v_bitop3_b32 v63, v62, 1, s58 bitop3:0x80
	v_add_co_u32 v62, s17, v63, -1
	s_delay_alu instid0(VALU_DEP_1) | instskip(NEXT) | instid1(VALU_DEP_4)
	v_cndmask_b32_e64 v63, 0, 1, s17
	v_cmp_gt_i32_e64 s17, 0, v153
	s_delay_alu instid0(VALU_DEP_2) | instskip(SKIP_2) | instid1(VALU_DEP_2)
	v_cmp_ne_u32_e32 vcc_lo, 0, v63
	v_not_b32_e32 v63, v153
	v_bitop3_b32 v62, vcc_lo, exec_lo, v62 bitop3:0x48
	v_ashrrev_i32_e32 v63, 31, v63
	v_dual_lshlrev_b32 v154, 29, v155 :: v_dual_lshlrev_b32 v156, 28, v155
	v_dual_lshlrev_b32 v157, 27, v155 :: v_dual_lshlrev_b32 v158, 26, v155
	s_delay_alu instid0(VALU_DEP_2)
	v_not_b32_e32 v153, v154
	v_lshlrev_b32_e32 v159, 25, v155
	v_cmp_gt_i32_e64 s18, 0, v154
	v_cmp_gt_i32_e64 s19, 0, v156
	v_not_b32_e32 v154, v156
	v_not_b32_e32 v156, v157
	v_ashrrev_i32_e32 v153, 31, v153
	v_cmp_gt_i32_e64 s20, 0, v157
	v_cmp_gt_i32_e64 s21, 0, v158
	v_not_b32_e32 v157, v158
	v_dual_ashrrev_i32 v154, 31, v154 :: v_dual_ashrrev_i32 v156, 31, v156
	v_xor_b32_e32 v63, s17, v63
	v_not_b32_e32 v158, v159
	v_xor_b32_e32 v153, s18, v153
	s_delay_alu instid0(VALU_DEP_4) | instskip(SKIP_2) | instid1(VALU_DEP_4)
	v_dual_ashrrev_i32 v157, 31, v157 :: v_dual_bitop2_b32 v154, s19, v154 bitop3:0x14
	v_xor_b32_e32 v156, s20, v156
	v_cmp_gt_i32_e32 vcc_lo, 0, v159
	v_bitop3_b32 v62, v62, v153, v63 bitop3:0x80
	v_ashrrev_i32_e32 v63, 31, v158
	v_mad_u32_u24 v153, v155, 36, v114
	v_xor_b32_e32 v157, s21, v157
	s_delay_alu instid0(VALU_DEP_4) | instskip(NEXT) | instid1(VALU_DEP_4)
	v_bitop3_b32 v62, v62, v156, v154 bitop3:0x80
	v_xor_b32_e32 v63, vcc_lo, v63
	ds_load_b32 v153, v153 offset:544
	; wave barrier
	v_bitop3_b32 v62, v62, v63, v157 bitop3:0x80
	v_mul_u32_u24_e32 v63, 36, v155
	s_delay_alu instid0(VALU_DEP_2) | instskip(SKIP_1) | instid1(VALU_DEP_3)
	v_mbcnt_lo_u32_b32 v154, v62, 0
	v_cmp_ne_u32_e64 s17, 0, v62
	v_add_nc_u32_e32 v156, v114, v63
	s_delay_alu instid0(VALU_DEP_3) | instskip(SKIP_1) | instid1(SALU_CYCLE_1)
	v_cmp_eq_u32_e32 vcc_lo, 0, v154
	s_and_b32 s18, s17, vcc_lo
	s_and_saveexec_b32 s17, s18
	s_cbranch_execz .LBB317_759
; %bb.758:                              ;   in Loop: Header=BB317_730 Depth=2
	s_wait_dscnt 0x0
	v_bcnt_u32_b32 v62, v62, v153
	ds_store_b32 v156, v62 offset:544
.LBB317_759:                            ;   in Loop: Header=BB317_730 Depth=2
	s_or_b32 exec_lo, exec_lo, s17
	v_lshrrev_b32_e32 v155, 24, v148
	; wave barrier
	s_delay_alu instid0(VALU_DEP_1) | instskip(NEXT) | instid1(VALU_DEP_1)
	v_lshrrev_b32_e32 v62, s49, v155
	v_bitop3_b32 v63, v62, 1, s58 bitop3:0x80
	v_and_b32_e32 v159, s58, v62
	s_delay_alu instid0(VALU_DEP_2) | instskip(NEXT) | instid1(VALU_DEP_1)
	v_add_co_u32 v62, s17, v63, -1
	v_cndmask_b32_e64 v63, 0, 1, s17
	s_delay_alu instid0(VALU_DEP_3) | instskip(SKIP_1) | instid1(VALU_DEP_3)
	v_dual_lshlrev_b32 v157, 30, v159 :: v_dual_lshlrev_b32 v158, 29, v159
	v_dual_lshlrev_b32 v160, 28, v159 :: v_dual_lshlrev_b32 v161, 27, v159
	v_cmp_ne_u32_e32 vcc_lo, 0, v63
	s_delay_alu instid0(VALU_DEP_3)
	v_cmp_gt_i32_e64 s17, 0, v157
	v_not_b32_e32 v63, v157
	v_not_b32_e32 v157, v158
	v_dual_lshlrev_b32 v162, 26, v159 :: v_dual_lshlrev_b32 v163, 25, v159
	v_cmp_gt_i32_e64 s18, 0, v158
	v_cmp_gt_i32_e64 s19, 0, v160
	v_not_b32_e32 v158, v160
	v_not_b32_e32 v160, v161
	v_dual_ashrrev_i32 v63, 31, v63 :: v_dual_ashrrev_i32 v157, 31, v157
	v_cmp_gt_i32_e64 s20, 0, v161
	v_cmp_gt_i32_e64 s21, 0, v162
	v_not_b32_e32 v161, v162
	v_bitop3_b32 v62, vcc_lo, exec_lo, v62 bitop3:0x48
	v_dual_ashrrev_i32 v158, 31, v158 :: v_dual_ashrrev_i32 v160, 31, v160
	v_xor_b32_e32 v63, s17, v63
	v_not_b32_e32 v162, v163
	v_xor_b32_e32 v157, s18, v157
	s_delay_alu instid0(VALU_DEP_4) | instskip(SKIP_2) | instid1(VALU_DEP_4)
	v_dual_ashrrev_i32 v161, 31, v161 :: v_dual_bitop2_b32 v158, s19, v158 bitop3:0x14
	v_xor_b32_e32 v160, s20, v160
	v_cmp_gt_i32_e32 vcc_lo, 0, v163
	v_bitop3_b32 v62, v62, v157, v63 bitop3:0x80
	v_ashrrev_i32_e32 v63, 31, v162
	v_mad_u32_u24 v157, v159, 36, v114
	v_xor_b32_e32 v161, s21, v161
	s_delay_alu instid0(VALU_DEP_4) | instskip(NEXT) | instid1(VALU_DEP_4)
	v_bitop3_b32 v62, v62, v160, v158 bitop3:0x80
	v_xor_b32_e32 v63, vcc_lo, v63
	ds_load_b32 v157, v157 offset:544
	; wave barrier
	v_bitop3_b32 v62, v62, v63, v161 bitop3:0x80
	v_mul_u32_u24_e32 v63, 36, v159
	s_delay_alu instid0(VALU_DEP_2) | instskip(SKIP_1) | instid1(VALU_DEP_3)
	v_mbcnt_lo_u32_b32 v158, v62, 0
	v_cmp_ne_u32_e64 s17, 0, v62
	v_add_nc_u32_e32 v159, v114, v63
	s_delay_alu instid0(VALU_DEP_3) | instskip(SKIP_1) | instid1(SALU_CYCLE_1)
	v_cmp_eq_u32_e32 vcc_lo, 0, v158
	s_and_b32 s18, s17, vcc_lo
	s_and_saveexec_b32 s17, s18
	s_cbranch_execz .LBB317_761
; %bb.760:                              ;   in Loop: Header=BB317_730 Depth=2
	s_wait_dscnt 0x0
	v_bcnt_u32_b32 v62, v62, v157
	ds_store_b32 v159, v62 offset:544
.LBB317_761:                            ;   in Loop: Header=BB317_730 Depth=2
	s_or_b32 exec_lo, exec_lo, s17
	v_bitop3_b16 v62, v142, s43, 0x7f bitop3:0x48
	; wave barrier
	s_delay_alu instid0(VALU_DEP_1) | instskip(NEXT) | instid1(VALU_DEP_1)
	v_and_b32_e32 v62, 0xffff, v62
	v_lshrrev_b32_e32 v62, s49, v62
	s_delay_alu instid0(VALU_DEP_1) | instskip(SKIP_1) | instid1(VALU_DEP_2)
	v_bitop3_b32 v63, v62, 1, s58 bitop3:0x80
	v_and_b32_e32 v162, s58, v62
	v_add_co_u32 v62, s17, v63, -1
	s_delay_alu instid0(VALU_DEP_1) | instskip(NEXT) | instid1(VALU_DEP_3)
	v_cndmask_b32_e64 v63, 0, 1, s17
	v_dual_lshlrev_b32 v160, 30, v162 :: v_dual_lshlrev_b32 v161, 29, v162
	s_delay_alu instid0(VALU_DEP_2) | instskip(NEXT) | instid1(VALU_DEP_2)
	v_cmp_ne_u32_e32 vcc_lo, 0, v63
	v_cmp_gt_i32_e64 s17, 0, v160
	v_not_b32_e32 v63, v160
	s_delay_alu instid0(VALU_DEP_4) | instskip(SKIP_2) | instid1(VALU_DEP_3)
	v_not_b32_e32 v160, v161
	v_cmp_gt_i32_e64 s18, 0, v161
	v_bitop3_b32 v62, vcc_lo, exec_lo, v62 bitop3:0x48
	v_dual_ashrrev_i32 v63, 31, v63 :: v_dual_ashrrev_i32 v160, 31, v160
	v_dual_lshlrev_b32 v163, 28, v162 :: v_dual_lshlrev_b32 v164, 27, v162
	v_dual_lshlrev_b32 v165, 26, v162 :: v_dual_lshlrev_b32 v166, 25, v162
	s_delay_alu instid0(VALU_DEP_2) | instskip(SKIP_1) | instid1(VALU_DEP_4)
	v_cmp_gt_i32_e64 s19, 0, v163
	v_not_b32_e32 v161, v163
	v_cmp_gt_i32_e64 s20, 0, v164
	v_not_b32_e32 v163, v164
	v_cmp_gt_i32_e64 s21, 0, v165
	v_not_b32_e32 v164, v165
	v_not_b32_e32 v165, v166
	v_xor_b32_e32 v63, s17, v63
	v_dual_ashrrev_i32 v161, 31, v161 :: v_dual_bitop2_b32 v160, s18, v160 bitop3:0x14
	s_delay_alu instid0(VALU_DEP_4) | instskip(NEXT) | instid1(VALU_DEP_4)
	v_dual_ashrrev_i32 v163, 31, v163 :: v_dual_ashrrev_i32 v164, 31, v164
	v_ashrrev_i32_e32 v165, 31, v165
	s_delay_alu instid0(VALU_DEP_3)
	v_bitop3_b32 v62, v62, v160, v63 bitop3:0x80
	v_mad_u32_u24 v63, v162, 36, v114
	v_cmp_gt_i32_e64 s22, 0, v166
	v_xor_b32_e32 v163, s20, v163
	v_xor_b32_e32 v164, s21, v164
	ds_load_b32 v160, v63 offset:544
	v_mul_u32_u24_e32 v63, 36, v162
	v_xor_b32_e32 v161, s19, v161
	v_xor_b32_e32 v165, s22, v165
	; wave barrier
	s_delay_alu instid0(VALU_DEP_3) | instskip(NEXT) | instid1(VALU_DEP_3)
	v_add_nc_u32_e32 v162, v114, v63
	v_bitop3_b32 v62, v62, v163, v161 bitop3:0x80
	s_delay_alu instid0(VALU_DEP_1) | instskip(NEXT) | instid1(VALU_DEP_1)
	v_bitop3_b32 v62, v62, v165, v164 bitop3:0x80
	v_mbcnt_lo_u32_b32 v161, v62, 0
	v_cmp_ne_u32_e64 s17, 0, v62
	s_delay_alu instid0(VALU_DEP_2) | instskip(SKIP_1) | instid1(SALU_CYCLE_1)
	v_cmp_eq_u32_e32 vcc_lo, 0, v161
	s_and_b32 s18, s17, vcc_lo
	s_and_saveexec_b32 s17, s18
	s_cbranch_execz .LBB317_763
; %bb.762:                              ;   in Loop: Header=BB317_730 Depth=2
	s_wait_dscnt 0x0
	v_bcnt_u32_b32 v62, v62, v160
	ds_store_b32 v162, v62 offset:544
.LBB317_763:                            ;   in Loop: Header=BB317_730 Depth=2
	s_or_b32 exec_lo, exec_lo, s17
	v_xor_b32_e32 v62, 0x7f, v145
	v_xor_b32_e32 v63, 0x7f, v144
	;; [unrolled: 1-line block ×4, first 2 shown]
	s_delay_alu instid0(VALU_DEP_4) | instskip(NEXT) | instid1(VALU_DEP_4)
	v_lshlrev_b16 v62, 8, v62
	v_lshlrev_b16 v63, 8, v63
	; wave barrier
	s_delay_alu instid0(VALU_DEP_2) | instskip(NEXT) | instid1(VALU_DEP_2)
	v_bitop3_b16 v142, v142, v62, 0xff bitop3:0xec
	v_bitop3_b16 v62, v143, v63, 0xff bitop3:0xec
	s_delay_alu instid0(VALU_DEP_2) | instskip(NEXT) | instid1(VALU_DEP_2)
	v_and_b32_e32 v63, 0xffff, v142
	v_lshlrev_b32_e32 v62, 16, v62
	s_delay_alu instid0(VALU_DEP_1) | instskip(NEXT) | instid1(VALU_DEP_1)
	v_or_b32_e32 v143, v63, v62
	v_bfe_u32 v62, v143, 8, 8
	s_delay_alu instid0(VALU_DEP_1) | instskip(NEXT) | instid1(VALU_DEP_1)
	v_lshrrev_b32_e32 v62, s49, v62
	v_bitop3_b32 v63, v62, 1, s58 bitop3:0x80
	v_and_b32_e32 v163, s58, v62
	s_delay_alu instid0(VALU_DEP_2) | instskip(NEXT) | instid1(VALU_DEP_1)
	v_add_co_u32 v62, s17, v63, -1
	v_cndmask_b32_e64 v63, 0, 1, s17
	s_delay_alu instid0(VALU_DEP_3) | instskip(NEXT) | instid1(VALU_DEP_2)
	v_lshlrev_b32_e32 v144, 30, v163
	v_cmp_ne_u32_e32 vcc_lo, 0, v63
	s_delay_alu instid0(VALU_DEP_2) | instskip(SKIP_2) | instid1(VALU_DEP_3)
	v_not_b32_e32 v63, v144
	v_cmp_gt_i32_e64 s17, 0, v144
	v_bitop3_b32 v62, vcc_lo, exec_lo, v62 bitop3:0x48
	v_ashrrev_i32_e32 v63, 31, v63
	v_dual_lshlrev_b32 v145, 29, v163 :: v_dual_lshlrev_b32 v164, 28, v163
	v_dual_lshlrev_b32 v165, 27, v163 :: v_dual_lshlrev_b32 v166, 26, v163
	s_delay_alu instid0(VALU_DEP_2)
	v_not_b32_e32 v144, v145
	v_lshlrev_b32_e32 v167, 25, v163
	v_cmp_gt_i32_e64 s18, 0, v145
	v_cmp_gt_i32_e64 s19, 0, v164
	v_not_b32_e32 v145, v164
	v_ashrrev_i32_e32 v144, 31, v144
	v_cmp_gt_i32_e64 s20, 0, v165
	v_not_b32_e32 v164, v165
	v_cmp_gt_i32_e64 s21, 0, v166
	v_not_b32_e32 v165, v166
	v_not_b32_e32 v166, v167
	v_xor_b32_e32 v63, s17, v63
	v_dual_ashrrev_i32 v145, 31, v145 :: v_dual_bitop2_b32 v144, s18, v144 bitop3:0x14
	s_delay_alu instid0(VALU_DEP_4) | instskip(NEXT) | instid1(VALU_DEP_4)
	v_dual_ashrrev_i32 v164, 31, v164 :: v_dual_ashrrev_i32 v165, 31, v165
	v_ashrrev_i32_e32 v166, 31, v166
	s_delay_alu instid0(VALU_DEP_3)
	v_bitop3_b32 v62, v62, v144, v63 bitop3:0x80
	v_mad_u32_u24 v63, v163, 36, v114
	v_cmp_gt_i32_e64 s22, 0, v167
	v_xor_b32_e32 v164, s20, v164
	v_xor_b32_e32 v165, s21, v165
	ds_load_b32 v144, v63 offset:544
	v_mul_u32_u24_e32 v63, 36, v163
	v_xor_b32_e32 v145, s19, v145
	v_xor_b32_e32 v166, s22, v166
	; wave barrier
	s_delay_alu instid0(VALU_DEP_3) | instskip(NEXT) | instid1(VALU_DEP_3)
	v_add_nc_u32_e32 v163, v114, v63
	v_bitop3_b32 v62, v62, v164, v145 bitop3:0x80
	s_delay_alu instid0(VALU_DEP_1) | instskip(NEXT) | instid1(VALU_DEP_1)
	v_bitop3_b32 v62, v62, v166, v165 bitop3:0x80
	v_mbcnt_lo_u32_b32 v145, v62, 0
	v_cmp_ne_u32_e64 s17, 0, v62
	s_delay_alu instid0(VALU_DEP_2) | instskip(SKIP_1) | instid1(SALU_CYCLE_1)
	v_cmp_eq_u32_e32 vcc_lo, 0, v145
	s_and_b32 s18, s17, vcc_lo
	s_and_saveexec_b32 s17, s18
	s_cbranch_execz .LBB317_765
; %bb.764:                              ;   in Loop: Header=BB317_730 Depth=2
	s_wait_dscnt 0x0
	v_bcnt_u32_b32 v62, v62, v144
	ds_store_b32 v163, v62 offset:544
.LBB317_765:                            ;   in Loop: Header=BB317_730 Depth=2
	s_or_b32 exec_lo, exec_lo, s17
	v_bfe_u32 v62, v143, 16, 8
	; wave barrier
	s_delay_alu instid0(VALU_DEP_1) | instskip(NEXT) | instid1(VALU_DEP_1)
	v_lshrrev_b32_e32 v62, s49, v62
	v_bitop3_b32 v63, v62, 1, s58 bitop3:0x80
	v_and_b32_e32 v166, s58, v62
	s_delay_alu instid0(VALU_DEP_2) | instskip(NEXT) | instid1(VALU_DEP_1)
	v_add_co_u32 v62, s17, v63, -1
	v_cndmask_b32_e64 v63, 0, 1, s17
	s_delay_alu instid0(VALU_DEP_3) | instskip(NEXT) | instid1(VALU_DEP_2)
	v_dual_lshlrev_b32 v164, 30, v166 :: v_dual_lshlrev_b32 v165, 29, v166
	v_cmp_ne_u32_e32 vcc_lo, 0, v63
	s_delay_alu instid0(VALU_DEP_2) | instskip(SKIP_1) | instid1(VALU_DEP_4)
	v_cmp_gt_i32_e64 s17, 0, v164
	v_not_b32_e32 v63, v164
	v_not_b32_e32 v164, v165
	v_cmp_gt_i32_e64 s18, 0, v165
	v_bitop3_b32 v62, vcc_lo, exec_lo, v62 bitop3:0x48
	s_delay_alu instid0(VALU_DEP_3) | instskip(SKIP_2) | instid1(VALU_DEP_2)
	v_dual_ashrrev_i32 v63, 31, v63 :: v_dual_ashrrev_i32 v164, 31, v164
	v_dual_lshlrev_b32 v167, 28, v166 :: v_dual_lshlrev_b32 v168, 27, v166
	v_dual_lshlrev_b32 v169, 26, v166 :: v_dual_lshlrev_b32 v170, 25, v166
	v_cmp_gt_i32_e64 s19, 0, v167
	v_not_b32_e32 v165, v167
	s_delay_alu instid0(VALU_DEP_4) | instskip(SKIP_3) | instid1(VALU_DEP_4)
	v_not_b32_e32 v167, v168
	v_cmp_gt_i32_e64 s20, 0, v168
	v_cmp_gt_i32_e64 s21, 0, v169
	v_not_b32_e32 v168, v169
	v_dual_ashrrev_i32 v165, 31, v165 :: v_dual_ashrrev_i32 v167, 31, v167
	v_xor_b32_e32 v63, s17, v63
	v_not_b32_e32 v169, v170
	v_xor_b32_e32 v164, s18, v164
	s_delay_alu instid0(VALU_DEP_4) | instskip(SKIP_2) | instid1(VALU_DEP_4)
	v_dual_ashrrev_i32 v168, 31, v168 :: v_dual_bitop2_b32 v165, s19, v165 bitop3:0x14
	v_xor_b32_e32 v167, s20, v167
	v_cmp_gt_i32_e32 vcc_lo, 0, v170
	v_bitop3_b32 v62, v62, v164, v63 bitop3:0x80
	v_ashrrev_i32_e32 v63, 31, v169
	v_mad_u32_u24 v164, v166, 36, v114
	v_xor_b32_e32 v168, s21, v168
	s_delay_alu instid0(VALU_DEP_4) | instskip(NEXT) | instid1(VALU_DEP_4)
	v_bitop3_b32 v62, v62, v167, v165 bitop3:0x80
	v_xor_b32_e32 v63, vcc_lo, v63
	ds_load_b32 v164, v164 offset:544
	; wave barrier
	v_bitop3_b32 v62, v62, v63, v168 bitop3:0x80
	v_mul_u32_u24_e32 v63, 36, v166
	s_delay_alu instid0(VALU_DEP_2) | instskip(SKIP_1) | instid1(VALU_DEP_3)
	v_mbcnt_lo_u32_b32 v165, v62, 0
	v_cmp_ne_u32_e64 s17, 0, v62
	v_add_nc_u32_e32 v167, v114, v63
	s_delay_alu instid0(VALU_DEP_3) | instskip(SKIP_1) | instid1(SALU_CYCLE_1)
	v_cmp_eq_u32_e32 vcc_lo, 0, v165
	s_and_b32 s18, s17, vcc_lo
	s_and_saveexec_b32 s17, s18
	s_cbranch_execz .LBB317_767
; %bb.766:                              ;   in Loop: Header=BB317_730 Depth=2
	s_wait_dscnt 0x0
	v_bcnt_u32_b32 v62, v62, v164
	ds_store_b32 v167, v62 offset:544
.LBB317_767:                            ;   in Loop: Header=BB317_730 Depth=2
	s_or_b32 exec_lo, exec_lo, s17
	v_lshrrev_b32_e32 v166, 24, v143
	; wave barrier
	s_delay_alu instid0(VALU_DEP_1) | instskip(NEXT) | instid1(VALU_DEP_1)
	v_lshrrev_b32_e32 v62, s49, v166
	v_bitop3_b32 v63, v62, 1, s58 bitop3:0x80
	v_and_b32_e32 v170, s58, v62
	s_delay_alu instid0(VALU_DEP_2) | instskip(NEXT) | instid1(VALU_DEP_1)
	v_add_co_u32 v62, s17, v63, -1
	v_cndmask_b32_e64 v63, 0, 1, s17
	s_delay_alu instid0(VALU_DEP_3) | instskip(SKIP_1) | instid1(VALU_DEP_3)
	v_dual_lshlrev_b32 v168, 30, v170 :: v_dual_lshlrev_b32 v169, 29, v170
	v_dual_lshlrev_b32 v171, 28, v170 :: v_dual_lshlrev_b32 v172, 27, v170
	v_cmp_ne_u32_e32 vcc_lo, 0, v63
	s_delay_alu instid0(VALU_DEP_3)
	v_cmp_gt_i32_e64 s17, 0, v168
	v_not_b32_e32 v63, v168
	v_not_b32_e32 v168, v169
	v_dual_lshlrev_b32 v173, 26, v170 :: v_dual_lshlrev_b32 v174, 25, v170
	v_cmp_gt_i32_e64 s18, 0, v169
	v_cmp_gt_i32_e64 s19, 0, v171
	v_not_b32_e32 v169, v171
	v_not_b32_e32 v171, v172
	v_dual_ashrrev_i32 v63, 31, v63 :: v_dual_ashrrev_i32 v168, 31, v168
	v_cmp_gt_i32_e64 s20, 0, v172
	v_cmp_gt_i32_e64 s21, 0, v173
	v_not_b32_e32 v172, v173
	v_bitop3_b32 v62, vcc_lo, exec_lo, v62 bitop3:0x48
	v_dual_ashrrev_i32 v169, 31, v169 :: v_dual_ashrrev_i32 v171, 31, v171
	v_xor_b32_e32 v168, s18, v168
	s_delay_alu instid0(VALU_DEP_4) | instskip(SKIP_1) | instid1(VALU_DEP_4)
	v_dual_ashrrev_i32 v172, 31, v172 :: v_dual_bitop2_b32 v63, s17, v63 bitop3:0x14
	v_not_b32_e32 v173, v174
	v_xor_b32_e32 v169, s19, v169
	v_xor_b32_e32 v171, s20, v171
	s_delay_alu instid0(VALU_DEP_4)
	v_bitop3_b32 v62, v62, v168, v63 bitop3:0x80
	v_cmp_gt_i32_e32 vcc_lo, 0, v174
	v_ashrrev_i32_e32 v63, 31, v173
	v_mad_u32_u24 v168, v170, 36, v114
	v_xor_b32_e32 v172, s21, v172
	v_bitop3_b32 v62, v62, v171, v169 bitop3:0x80
	s_delay_alu instid0(VALU_DEP_4) | instskip(SKIP_3) | instid1(VALU_DEP_2)
	v_xor_b32_e32 v63, vcc_lo, v63
	ds_load_b32 v168, v168 offset:544
	; wave barrier
	v_bitop3_b32 v62, v62, v63, v172 bitop3:0x80
	v_mul_u32_u24_e32 v63, 36, v170
	v_mbcnt_lo_u32_b32 v169, v62, 0
	v_cmp_ne_u32_e64 s17, 0, v62
	s_delay_alu instid0(VALU_DEP_3) | instskip(NEXT) | instid1(VALU_DEP_3)
	v_add_nc_u32_e32 v170, v114, v63
	v_cmp_eq_u32_e32 vcc_lo, 0, v169
	s_and_b32 s18, s17, vcc_lo
	s_delay_alu instid0(SALU_CYCLE_1)
	s_and_saveexec_b32 s17, s18
	s_cbranch_execz .LBB317_769
; %bb.768:                              ;   in Loop: Header=BB317_730 Depth=2
	s_wait_dscnt 0x0
	v_bcnt_u32_b32 v62, v62, v168
	ds_store_b32 v170, v62 offset:544
.LBB317_769:                            ;   in Loop: Header=BB317_730 Depth=2
	s_or_b32 exec_lo, exec_lo, s17
	v_bitop3_b16 v62, v138, s43, 0x7f bitop3:0x48
	; wave barrier
	s_delay_alu instid0(VALU_DEP_1) | instskip(NEXT) | instid1(VALU_DEP_1)
	v_and_b32_e32 v62, 0xffff, v62
	v_lshrrev_b32_e32 v62, s49, v62
	s_delay_alu instid0(VALU_DEP_1) | instskip(NEXT) | instid1(VALU_DEP_1)
	v_and_b32_e32 v173, s58, v62
	v_lshlrev_b32_e32 v171, 30, v173
	v_bitop3_b32 v63, v62, 1, s58 bitop3:0x80
	s_delay_alu instid0(VALU_DEP_1) | instskip(NEXT) | instid1(VALU_DEP_1)
	v_add_co_u32 v62, s17, v63, -1
	v_cndmask_b32_e64 v63, 0, 1, s17
	s_delay_alu instid0(VALU_DEP_4) | instskip(NEXT) | instid1(VALU_DEP_2)
	v_cmp_gt_i32_e64 s17, 0, v171
	v_cmp_ne_u32_e32 vcc_lo, 0, v63
	v_not_b32_e32 v63, v171
	v_bitop3_b32 v62, vcc_lo, exec_lo, v62 bitop3:0x48
	s_delay_alu instid0(VALU_DEP_2) | instskip(SKIP_2) | instid1(VALU_DEP_3)
	v_dual_ashrrev_i32 v63, 31, v63 :: v_dual_lshlrev_b32 v172, 29, v173
	v_dual_lshlrev_b32 v174, 28, v173 :: v_dual_lshlrev_b32 v175, 27, v173
	v_lshlrev_b32_e32 v176, 26, v173
	v_not_b32_e32 v171, v172
	v_lshlrev_b32_e32 v177, 25, v173
	v_cmp_gt_i32_e64 s18, 0, v172
	v_cmp_gt_i32_e64 s19, 0, v174
	v_not_b32_e32 v172, v174
	v_ashrrev_i32_e32 v171, 31, v171
	v_cmp_gt_i32_e64 s20, 0, v175
	v_not_b32_e32 v174, v175
	v_cmp_gt_i32_e64 s21, 0, v176
	v_not_b32_e32 v175, v176
	v_not_b32_e32 v176, v177
	v_xor_b32_e32 v63, s17, v63
	v_dual_ashrrev_i32 v172, 31, v172 :: v_dual_bitop2_b32 v171, s18, v171 bitop3:0x14
	s_delay_alu instid0(VALU_DEP_3) | instskip(SKIP_1) | instid1(VALU_DEP_3)
	v_dual_ashrrev_i32 v174, 31, v174 :: v_dual_ashrrev_i32 v176, 31, v176
	v_cmp_gt_i32_e64 s22, 0, v177
	v_bitop3_b32 v62, v62, v171, v63 bitop3:0x80
	v_mad_u32_u24 v63, v173, 36, v114
	v_dual_ashrrev_i32 v175, 31, v175 :: v_dual_bitop2_b32 v172, s19, v172 bitop3:0x14
	s_delay_alu instid0(VALU_DEP_4) | instskip(SKIP_4) | instid1(VALU_DEP_3)
	v_xor_b32_e32 v176, s22, v176
	ds_load_b32 v171, v63 offset:544
	v_mul_u32_u24_e32 v63, 36, v173
	v_xor_b32_e32 v174, s20, v174
	v_xor_b32_e32 v175, s21, v175
	; wave barrier
	v_add_nc_u32_e32 v173, v114, v63
	s_delay_alu instid0(VALU_DEP_3) | instskip(NEXT) | instid1(VALU_DEP_1)
	v_bitop3_b32 v62, v62, v174, v172 bitop3:0x80
	v_bitop3_b32 v62, v62, v176, v175 bitop3:0x80
	s_delay_alu instid0(VALU_DEP_1) | instskip(SKIP_1) | instid1(VALU_DEP_2)
	v_mbcnt_lo_u32_b32 v172, v62, 0
	v_cmp_ne_u32_e64 s17, 0, v62
	v_cmp_eq_u32_e32 vcc_lo, 0, v172
	s_and_b32 s18, s17, vcc_lo
	s_delay_alu instid0(SALU_CYCLE_1)
	s_and_saveexec_b32 s17, s18
	s_cbranch_execz .LBB317_771
; %bb.770:                              ;   in Loop: Header=BB317_730 Depth=2
	s_wait_dscnt 0x0
	v_bcnt_u32_b32 v62, v62, v171
	ds_store_b32 v173, v62 offset:544
.LBB317_771:                            ;   in Loop: Header=BB317_730 Depth=2
	s_or_b32 exec_lo, exec_lo, s17
	v_xor_b32_e32 v62, 0x7f, v141
	v_xor_b32_e32 v63, 0x7f, v140
	;; [unrolled: 1-line block ×4, first 2 shown]
	s_delay_alu instid0(VALU_DEP_4) | instskip(NEXT) | instid1(VALU_DEP_4)
	v_lshlrev_b16 v62, 8, v62
	v_lshlrev_b16 v63, 8, v63
	; wave barrier
	s_delay_alu instid0(VALU_DEP_2) | instskip(NEXT) | instid1(VALU_DEP_2)
	v_bitop3_b16 v138, v138, v62, 0xff bitop3:0xec
	v_bitop3_b16 v62, v139, v63, 0xff bitop3:0xec
	s_delay_alu instid0(VALU_DEP_2) | instskip(NEXT) | instid1(VALU_DEP_2)
	v_and_b32_e32 v63, 0xffff, v138
	v_lshlrev_b32_e32 v62, 16, v62
	s_delay_alu instid0(VALU_DEP_1) | instskip(NEXT) | instid1(VALU_DEP_1)
	v_or_b32_e32 v139, v63, v62
	v_bfe_u32 v62, v139, 8, 8
	s_delay_alu instid0(VALU_DEP_1) | instskip(NEXT) | instid1(VALU_DEP_1)
	v_lshrrev_b32_e32 v62, s49, v62
	v_bitop3_b32 v63, v62, 1, s58 bitop3:0x80
	v_and_b32_e32 v174, s58, v62
	s_delay_alu instid0(VALU_DEP_2) | instskip(NEXT) | instid1(VALU_DEP_1)
	v_add_co_u32 v62, s17, v63, -1
	v_cndmask_b32_e64 v63, 0, 1, s17
	s_delay_alu instid0(VALU_DEP_3) | instskip(NEXT) | instid1(VALU_DEP_2)
	v_dual_lshlrev_b32 v140, 30, v174 :: v_dual_lshlrev_b32 v141, 29, v174
	v_cmp_ne_u32_e32 vcc_lo, 0, v63
	s_delay_alu instid0(VALU_DEP_2) | instskip(SKIP_1) | instid1(VALU_DEP_4)
	v_cmp_gt_i32_e64 s17, 0, v140
	v_not_b32_e32 v63, v140
	v_not_b32_e32 v140, v141
	v_cmp_gt_i32_e64 s18, 0, v141
	v_bitop3_b32 v62, vcc_lo, exec_lo, v62 bitop3:0x48
	s_delay_alu instid0(VALU_DEP_3) | instskip(SKIP_2) | instid1(VALU_DEP_2)
	v_dual_ashrrev_i32 v63, 31, v63 :: v_dual_ashrrev_i32 v140, 31, v140
	v_dual_lshlrev_b32 v175, 28, v174 :: v_dual_lshlrev_b32 v176, 27, v174
	v_dual_lshlrev_b32 v177, 26, v174 :: v_dual_lshlrev_b32 v178, 25, v174
	v_cmp_gt_i32_e64 s19, 0, v175
	v_not_b32_e32 v141, v175
	s_delay_alu instid0(VALU_DEP_4)
	v_cmp_gt_i32_e64 s20, 0, v176
	v_not_b32_e32 v175, v176
	v_cmp_gt_i32_e64 s21, 0, v177
	v_not_b32_e32 v176, v177
	v_not_b32_e32 v177, v178
	v_xor_b32_e32 v63, s17, v63
	v_dual_ashrrev_i32 v141, 31, v141 :: v_dual_bitop2_b32 v140, s18, v140 bitop3:0x14
	s_delay_alu instid0(VALU_DEP_4) | instskip(NEXT) | instid1(VALU_DEP_4)
	v_dual_ashrrev_i32 v175, 31, v175 :: v_dual_ashrrev_i32 v176, 31, v176
	v_ashrrev_i32_e32 v177, 31, v177
	s_delay_alu instid0(VALU_DEP_3)
	v_bitop3_b32 v62, v62, v140, v63 bitop3:0x80
	v_mad_u32_u24 v63, v174, 36, v114
	v_cmp_gt_i32_e64 s22, 0, v178
	v_xor_b32_e32 v175, s20, v175
	v_xor_b32_e32 v176, s21, v176
	ds_load_b32 v140, v63 offset:544
	v_mul_u32_u24_e32 v63, 36, v174
	v_xor_b32_e32 v141, s19, v141
	v_xor_b32_e32 v177, s22, v177
	; wave barrier
	s_delay_alu instid0(VALU_DEP_3) | instskip(NEXT) | instid1(VALU_DEP_3)
	v_add_nc_u32_e32 v174, v114, v63
	v_bitop3_b32 v62, v62, v175, v141 bitop3:0x80
	s_delay_alu instid0(VALU_DEP_1) | instskip(NEXT) | instid1(VALU_DEP_1)
	v_bitop3_b32 v62, v62, v177, v176 bitop3:0x80
	v_mbcnt_lo_u32_b32 v141, v62, 0
	v_cmp_ne_u32_e64 s17, 0, v62
	s_delay_alu instid0(VALU_DEP_2) | instskip(SKIP_1) | instid1(SALU_CYCLE_1)
	v_cmp_eq_u32_e32 vcc_lo, 0, v141
	s_and_b32 s18, s17, vcc_lo
	s_and_saveexec_b32 s17, s18
	s_cbranch_execz .LBB317_773
; %bb.772:                              ;   in Loop: Header=BB317_730 Depth=2
	s_wait_dscnt 0x0
	v_bcnt_u32_b32 v62, v62, v140
	ds_store_b32 v174, v62 offset:544
.LBB317_773:                            ;   in Loop: Header=BB317_730 Depth=2
	s_or_b32 exec_lo, exec_lo, s17
	v_bfe_u32 v62, v139, 16, 8
	; wave barrier
	s_delay_alu instid0(VALU_DEP_1) | instskip(NEXT) | instid1(VALU_DEP_1)
	v_lshrrev_b32_e32 v62, s49, v62
	v_and_b32_e32 v177, s58, v62
	s_delay_alu instid0(VALU_DEP_1) | instskip(SKIP_1) | instid1(VALU_DEP_1)
	v_lshlrev_b32_e32 v175, 30, v177
	v_bitop3_b32 v63, v62, 1, s58 bitop3:0x80
	v_add_co_u32 v62, s17, v63, -1
	s_delay_alu instid0(VALU_DEP_1) | instskip(NEXT) | instid1(VALU_DEP_4)
	v_cndmask_b32_e64 v63, 0, 1, s17
	v_cmp_gt_i32_e64 s17, 0, v175
	s_delay_alu instid0(VALU_DEP_2) | instskip(SKIP_2) | instid1(VALU_DEP_2)
	v_cmp_ne_u32_e32 vcc_lo, 0, v63
	v_not_b32_e32 v63, v175
	v_bitop3_b32 v62, vcc_lo, exec_lo, v62 bitop3:0x48
	v_dual_ashrrev_i32 v63, 31, v63 :: v_dual_lshlrev_b32 v176, 29, v177
	v_dual_lshlrev_b32 v178, 28, v177 :: v_dual_lshlrev_b32 v179, 27, v177
	s_delay_alu instid0(VALU_DEP_2) | instskip(NEXT) | instid1(VALU_DEP_3)
	v_dual_lshlrev_b32 v180, 26, v177 :: v_dual_bitop2_b32 v63, s17, v63 bitop3:0x14
	v_not_b32_e32 v175, v176
	v_lshlrev_b32_e32 v181, 25, v177
	v_cmp_gt_i32_e64 s18, 0, v176
	v_cmp_gt_i32_e64 s19, 0, v178
	v_not_b32_e32 v176, v178
	v_not_b32_e32 v178, v179
	v_ashrrev_i32_e32 v175, 31, v175
	v_cmp_gt_i32_e64 s20, 0, v179
	v_cmp_gt_i32_e64 s21, 0, v180
	v_not_b32_e32 v179, v180
	v_dual_ashrrev_i32 v176, 31, v176 :: v_dual_ashrrev_i32 v178, 31, v178
	v_not_b32_e32 v180, v181
	v_xor_b32_e32 v175, s18, v175
	s_delay_alu instid0(VALU_DEP_3) | instskip(NEXT) | instid1(VALU_DEP_4)
	v_dual_ashrrev_i32 v179, 31, v179 :: v_dual_bitop2_b32 v176, s19, v176 bitop3:0x14
	v_xor_b32_e32 v178, s20, v178
	v_cmp_gt_i32_e32 vcc_lo, 0, v181
	s_delay_alu instid0(VALU_DEP_4) | instskip(SKIP_3) | instid1(VALU_DEP_4)
	v_bitop3_b32 v62, v62, v175, v63 bitop3:0x80
	v_ashrrev_i32_e32 v63, 31, v180
	v_mad_u32_u24 v175, v177, 36, v114
	v_xor_b32_e32 v179, s21, v179
	v_bitop3_b32 v62, v62, v178, v176 bitop3:0x80
	s_delay_alu instid0(VALU_DEP_4) | instskip(SKIP_3) | instid1(VALU_DEP_2)
	v_xor_b32_e32 v63, vcc_lo, v63
	ds_load_b32 v175, v175 offset:544
	; wave barrier
	v_bitop3_b32 v62, v62, v63, v179 bitop3:0x80
	v_mul_u32_u24_e32 v63, 36, v177
	v_mbcnt_lo_u32_b32 v176, v62, 0
	v_cmp_ne_u32_e64 s17, 0, v62
	s_delay_alu instid0(VALU_DEP_3) | instskip(NEXT) | instid1(VALU_DEP_3)
	v_add_nc_u32_e32 v178, v114, v63
	v_cmp_eq_u32_e32 vcc_lo, 0, v176
	s_and_b32 s18, s17, vcc_lo
	s_delay_alu instid0(SALU_CYCLE_1)
	s_and_saveexec_b32 s17, s18
	s_cbranch_execz .LBB317_775
; %bb.774:                              ;   in Loop: Header=BB317_730 Depth=2
	s_wait_dscnt 0x0
	v_bcnt_u32_b32 v62, v62, v175
	ds_store_b32 v178, v62 offset:544
.LBB317_775:                            ;   in Loop: Header=BB317_730 Depth=2
	s_or_b32 exec_lo, exec_lo, s17
	v_lshrrev_b32_e32 v177, 24, v139
	; wave barrier
	s_delay_alu instid0(VALU_DEP_1) | instskip(NEXT) | instid1(VALU_DEP_1)
	v_lshrrev_b32_e32 v62, s49, v177
	v_bitop3_b32 v63, v62, 1, s58 bitop3:0x80
	v_and_b32_e32 v181, s58, v62
	s_delay_alu instid0(VALU_DEP_2) | instskip(NEXT) | instid1(VALU_DEP_1)
	v_add_co_u32 v62, s17, v63, -1
	v_cndmask_b32_e64 v63, 0, 1, s17
	s_delay_alu instid0(VALU_DEP_3) | instskip(SKIP_1) | instid1(VALU_DEP_3)
	v_dual_lshlrev_b32 v179, 30, v181 :: v_dual_lshlrev_b32 v180, 29, v181
	v_dual_lshlrev_b32 v182, 28, v181 :: v_dual_lshlrev_b32 v183, 27, v181
	v_cmp_ne_u32_e32 vcc_lo, 0, v63
	s_delay_alu instid0(VALU_DEP_3)
	v_cmp_gt_i32_e64 s17, 0, v179
	v_not_b32_e32 v63, v179
	v_not_b32_e32 v179, v180
	v_dual_lshlrev_b32 v184, 26, v181 :: v_dual_lshlrev_b32 v185, 25, v181
	v_cmp_gt_i32_e64 s18, 0, v180
	v_cmp_gt_i32_e64 s19, 0, v182
	v_not_b32_e32 v180, v182
	v_not_b32_e32 v182, v183
	v_ashrrev_i32_e32 v63, 31, v63
	v_ashrrev_i32_e32 v179, 31, v179
	v_cmp_gt_i32_e64 s20, 0, v183
	v_cmp_gt_i32_e64 s21, 0, v184
	v_not_b32_e32 v183, v184
	v_bitop3_b32 v62, vcc_lo, exec_lo, v62 bitop3:0x48
	v_dual_ashrrev_i32 v180, 31, v180 :: v_dual_ashrrev_i32 v182, 31, v182
	v_xor_b32_e32 v63, s17, v63
	v_not_b32_e32 v184, v185
	v_xor_b32_e32 v179, s18, v179
	s_delay_alu instid0(VALU_DEP_4) | instskip(SKIP_2) | instid1(VALU_DEP_4)
	v_dual_ashrrev_i32 v183, 31, v183 :: v_dual_bitop2_b32 v180, s19, v180 bitop3:0x14
	v_xor_b32_e32 v182, s20, v182
	v_cmp_gt_i32_e32 vcc_lo, 0, v185
	v_bitop3_b32 v62, v62, v179, v63 bitop3:0x80
	v_ashrrev_i32_e32 v63, 31, v184
	v_mad_u32_u24 v179, v181, 36, v114
	v_xor_b32_e32 v183, s21, v183
	s_delay_alu instid0(VALU_DEP_4) | instskip(NEXT) | instid1(VALU_DEP_4)
	v_bitop3_b32 v62, v62, v182, v180 bitop3:0x80
	v_xor_b32_e32 v63, vcc_lo, v63
	ds_load_b32 v179, v179 offset:544
	; wave barrier
	v_bitop3_b32 v62, v62, v63, v183 bitop3:0x80
	v_mul_u32_u24_e32 v63, 36, v181
	s_delay_alu instid0(VALU_DEP_2) | instskip(SKIP_1) | instid1(VALU_DEP_3)
	v_mbcnt_lo_u32_b32 v180, v62, 0
	v_cmp_ne_u32_e64 s17, 0, v62
	v_add_nc_u32_e32 v181, v114, v63
	s_delay_alu instid0(VALU_DEP_3) | instskip(SKIP_1) | instid1(SALU_CYCLE_1)
	v_cmp_eq_u32_e32 vcc_lo, 0, v180
	s_and_b32 s18, s17, vcc_lo
	s_and_saveexec_b32 s17, s18
	s_cbranch_execz .LBB317_777
; %bb.776:                              ;   in Loop: Header=BB317_730 Depth=2
	s_wait_dscnt 0x0
	v_bcnt_u32_b32 v62, v62, v179
	ds_store_b32 v181, v62 offset:544
.LBB317_777:                            ;   in Loop: Header=BB317_730 Depth=2
	s_or_b32 exec_lo, exec_lo, s17
	v_bitop3_b16 v62, v64, s43, 0x7f bitop3:0x48
	; wave barrier
	s_delay_alu instid0(VALU_DEP_1) | instskip(NEXT) | instid1(VALU_DEP_1)
	v_and_b32_e32 v62, 0xffff, v62
	v_lshrrev_b32_e32 v62, s49, v62
	s_delay_alu instid0(VALU_DEP_1) | instskip(NEXT) | instid1(VALU_DEP_1)
	v_and_b32_e32 v184, s58, v62
	v_lshlrev_b32_e32 v182, 30, v184
	v_bitop3_b32 v63, v62, 1, s58 bitop3:0x80
	s_delay_alu instid0(VALU_DEP_1) | instskip(NEXT) | instid1(VALU_DEP_1)
	v_add_co_u32 v62, s17, v63, -1
	v_cndmask_b32_e64 v63, 0, 1, s17
	s_delay_alu instid0(VALU_DEP_4) | instskip(NEXT) | instid1(VALU_DEP_2)
	v_cmp_gt_i32_e64 s17, 0, v182
	v_cmp_ne_u32_e32 vcc_lo, 0, v63
	v_not_b32_e32 v63, v182
	v_bitop3_b32 v62, vcc_lo, exec_lo, v62 bitop3:0x48
	s_delay_alu instid0(VALU_DEP_2) | instskip(SKIP_2) | instid1(VALU_DEP_3)
	v_dual_ashrrev_i32 v63, 31, v63 :: v_dual_lshlrev_b32 v183, 29, v184
	v_dual_lshlrev_b32 v185, 28, v184 :: v_dual_lshlrev_b32 v186, 27, v184
	v_lshlrev_b32_e32 v187, 26, v184
	v_not_b32_e32 v182, v183
	v_lshlrev_b32_e32 v188, 25, v184
	v_cmp_gt_i32_e64 s18, 0, v183
	v_cmp_gt_i32_e64 s19, 0, v185
	v_not_b32_e32 v183, v185
	v_not_b32_e32 v185, v186
	v_ashrrev_i32_e32 v182, 31, v182
	v_cmp_gt_i32_e64 s20, 0, v186
	v_cmp_gt_i32_e64 s21, 0, v187
	v_not_b32_e32 v186, v187
	v_not_b32_e32 v187, v188
	v_dual_ashrrev_i32 v183, 31, v183 :: v_dual_ashrrev_i32 v185, 31, v185
	s_delay_alu instid0(VALU_DEP_3) | instskip(NEXT) | instid1(VALU_DEP_3)
	v_dual_ashrrev_i32 v186, 31, v186 :: v_dual_bitop2_b32 v63, s17, v63 bitop3:0x14
	v_dual_ashrrev_i32 v187, 31, v187 :: v_dual_bitop2_b32 v182, s18, v182 bitop3:0x14
	v_cmp_gt_i32_e64 s22, 0, v188
	s_delay_alu instid0(VALU_DEP_4) | instskip(SKIP_1) | instid1(VALU_DEP_4)
	v_xor_b32_e32 v183, s19, v183
	v_xor_b32_e32 v185, s20, v185
	v_bitop3_b32 v62, v62, v182, v63 bitop3:0x80
	v_mad_u32_u24 v63, v184, 36, v114
	v_xor_b32_e32 v187, s22, v187
	s_delay_alu instid0(VALU_DEP_3) | instskip(SKIP_3) | instid1(VALU_DEP_2)
	v_bitop3_b32 v62, v62, v185, v183 bitop3:0x80
	ds_load_b32 v182, v63 offset:544
	v_mul_u32_u24_e32 v63, 36, v184
	v_xor_b32_e32 v186, s21, v186
	; wave barrier
	v_add_nc_u32_e32 v185, v114, v63
	s_delay_alu instid0(VALU_DEP_2) | instskip(NEXT) | instid1(VALU_DEP_1)
	v_bitop3_b32 v62, v62, v187, v186 bitop3:0x80
	v_mbcnt_lo_u32_b32 v183, v62, 0
	v_cmp_ne_u32_e64 s17, 0, v62
	s_delay_alu instid0(VALU_DEP_2) | instskip(SKIP_1) | instid1(SALU_CYCLE_1)
	v_cmp_eq_u32_e32 vcc_lo, 0, v183
	s_and_b32 s18, s17, vcc_lo
	s_and_saveexec_b32 s17, s18
	s_cbranch_execz .LBB317_779
; %bb.778:                              ;   in Loop: Header=BB317_730 Depth=2
	s_wait_dscnt 0x0
	v_bcnt_u32_b32 v62, v62, v182
	ds_store_b32 v185, v62 offset:544
.LBB317_779:                            ;   in Loop: Header=BB317_730 Depth=2
	s_or_b32 exec_lo, exec_lo, s17
	v_xor_b32_e32 v62, 0x7f, v136
	v_xor_b32_e32 v63, 0x7f, v135
	;; [unrolled: 1-line block ×4, first 2 shown]
	s_delay_alu instid0(VALU_DEP_4) | instskip(NEXT) | instid1(VALU_DEP_4)
	v_lshlrev_b16 v62, 8, v62
	v_lshlrev_b16 v63, 8, v63
	; wave barrier
	s_delay_alu instid0(VALU_DEP_2) | instskip(NEXT) | instid1(VALU_DEP_2)
	v_bitop3_b16 v184, v64, v62, 0xff bitop3:0xec
	v_bitop3_b16 v62, v65, v63, 0xff bitop3:0xec
	s_delay_alu instid0(VALU_DEP_2) | instskip(NEXT) | instid1(VALU_DEP_2)
	v_and_b32_e32 v63, 0xffff, v184
	v_lshlrev_b32_e32 v62, 16, v62
	s_delay_alu instid0(VALU_DEP_1) | instskip(NEXT) | instid1(VALU_DEP_1)
	v_or_b32_e32 v135, v63, v62
	v_bfe_u32 v62, v135, 8, 8
	s_delay_alu instid0(VALU_DEP_1) | instskip(NEXT) | instid1(VALU_DEP_1)
	v_lshrrev_b32_e32 v62, s49, v62
	v_bitop3_b32 v63, v62, 1, s58 bitop3:0x80
	v_and_b32_e32 v64, s58, v62
	s_delay_alu instid0(VALU_DEP_2) | instskip(NEXT) | instid1(VALU_DEP_1)
	v_add_co_u32 v62, s17, v63, -1
	v_cndmask_b32_e64 v63, 0, 1, s17
	s_delay_alu instid0(VALU_DEP_3) | instskip(NEXT) | instid1(VALU_DEP_2)
	v_lshlrev_b32_e32 v65, 30, v64
	v_cmp_ne_u32_e32 vcc_lo, 0, v63
	s_delay_alu instid0(VALU_DEP_2) | instskip(SKIP_2) | instid1(VALU_DEP_3)
	v_not_b32_e32 v63, v65
	v_cmp_gt_i32_e64 s17, 0, v65
	v_bitop3_b32 v62, vcc_lo, exec_lo, v62 bitop3:0x48
	v_dual_ashrrev_i32 v63, 31, v63 :: v_dual_lshlrev_b32 v136, 29, v64
	v_dual_lshlrev_b32 v186, 28, v64 :: v_dual_lshlrev_b32 v187, 27, v64
	v_lshlrev_b32_e32 v188, 26, v64
	s_delay_alu instid0(VALU_DEP_3)
	v_not_b32_e32 v65, v136
	v_lshlrev_b32_e32 v189, 25, v64
	v_cmp_gt_i32_e64 s18, 0, v136
	v_cmp_gt_i32_e64 s19, 0, v186
	v_not_b32_e32 v136, v186
	v_not_b32_e32 v186, v187
	v_ashrrev_i32_e32 v65, 31, v65
	v_cmp_gt_i32_e64 s20, 0, v187
	v_cmp_gt_i32_e64 s21, 0, v188
	v_not_b32_e32 v187, v188
	v_not_b32_e32 v188, v189
	v_dual_ashrrev_i32 v136, 31, v136 :: v_dual_ashrrev_i32 v186, 31, v186
	v_xor_b32_e32 v63, s17, v63
	s_delay_alu instid0(VALU_DEP_4)
	v_dual_ashrrev_i32 v187, 31, v187 :: v_dual_bitop2_b32 v65, s18, v65 bitop3:0x14
	v_cmp_gt_i32_e64 s22, 0, v189
	v_ashrrev_i32_e32 v188, 31, v188
	v_xor_b32_e32 v136, s19, v136
	v_xor_b32_e32 v186, s20, v186
	v_bitop3_b32 v62, v62, v65, v63 bitop3:0x80
	v_mad_u32_u24 v63, v64, 36, v114
	v_xor_b32_e32 v65, s21, v187
	v_xor_b32_e32 v187, s22, v188
	s_delay_alu instid0(VALU_DEP_4) | instskip(SKIP_3) | instid1(VALU_DEP_2)
	v_bitop3_b32 v62, v62, v186, v136 bitop3:0x80
	ds_load_b32 v136, v63 offset:544
	v_mul_u32_u24_e32 v63, 36, v64
	; wave barrier
	v_bitop3_b32 v62, v62, v187, v65 bitop3:0x80
	v_add_nc_u32_e32 v187, v114, v63
	s_delay_alu instid0(VALU_DEP_2) | instskip(SKIP_1) | instid1(VALU_DEP_2)
	v_mbcnt_lo_u32_b32 v186, v62, 0
	v_cmp_ne_u32_e64 s17, 0, v62
	v_cmp_eq_u32_e32 vcc_lo, 0, v186
	s_and_b32 s18, s17, vcc_lo
	s_delay_alu instid0(SALU_CYCLE_1)
	s_and_saveexec_b32 s17, s18
	s_cbranch_execz .LBB317_781
; %bb.780:                              ;   in Loop: Header=BB317_730 Depth=2
	s_wait_dscnt 0x0
	v_bcnt_u32_b32 v62, v62, v136
	ds_store_b32 v187, v62 offset:544
.LBB317_781:                            ;   in Loop: Header=BB317_730 Depth=2
	s_or_b32 exec_lo, exec_lo, s17
	v_bfe_u32 v62, v135, 16, 8
	; wave barrier
	s_delay_alu instid0(VALU_DEP_1) | instskip(NEXT) | instid1(VALU_DEP_1)
	v_lshrrev_b32_e32 v62, s49, v62
	v_and_b32_e32 v64, s58, v62
	s_delay_alu instid0(VALU_DEP_1) | instskip(SKIP_1) | instid1(VALU_DEP_1)
	v_lshlrev_b32_e32 v65, 30, v64
	v_bitop3_b32 v63, v62, 1, s58 bitop3:0x80
	v_add_co_u32 v62, s17, v63, -1
	s_delay_alu instid0(VALU_DEP_1) | instskip(NEXT) | instid1(VALU_DEP_4)
	v_cndmask_b32_e64 v63, 0, 1, s17
	v_cmp_gt_i32_e64 s17, 0, v65
	s_delay_alu instid0(VALU_DEP_2) | instskip(SKIP_2) | instid1(VALU_DEP_2)
	v_cmp_ne_u32_e32 vcc_lo, 0, v63
	v_not_b32_e32 v63, v65
	v_bitop3_b32 v62, vcc_lo, exec_lo, v62 bitop3:0x48
	v_dual_ashrrev_i32 v63, 31, v63 :: v_dual_lshlrev_b32 v188, 29, v64
	v_dual_lshlrev_b32 v189, 28, v64 :: v_dual_lshlrev_b32 v190, 27, v64
	v_lshlrev_b32_e32 v191, 26, v64
	s_delay_alu instid0(VALU_DEP_3)
	v_not_b32_e32 v65, v188
	v_lshlrev_b32_e32 v192, 25, v64
	v_cmp_gt_i32_e64 s18, 0, v188
	v_cmp_gt_i32_e64 s19, 0, v189
	v_not_b32_e32 v188, v189
	v_not_b32_e32 v189, v190
	v_ashrrev_i32_e32 v65, 31, v65
	v_cmp_gt_i32_e64 s20, 0, v190
	v_cmp_gt_i32_e64 s21, 0, v191
	v_not_b32_e32 v190, v191
	v_dual_ashrrev_i32 v188, 31, v188 :: v_dual_ashrrev_i32 v189, 31, v189
	v_xor_b32_e32 v63, s17, v63
	v_not_b32_e32 v191, v192
	s_delay_alu instid0(VALU_DEP_4) | instskip(NEXT) | instid1(VALU_DEP_4)
	v_dual_ashrrev_i32 v190, 31, v190 :: v_dual_bitop2_b32 v65, s18, v65 bitop3:0x14
	v_xor_b32_e32 v188, s19, v188
	v_xor_b32_e32 v189, s20, v189
	v_cmp_gt_i32_e32 vcc_lo, 0, v192
	s_delay_alu instid0(VALU_DEP_4) | instskip(SKIP_3) | instid1(VALU_DEP_4)
	v_bitop3_b32 v62, v62, v65, v63 bitop3:0x80
	v_ashrrev_i32_e32 v63, 31, v191
	v_mad_u32_u24 v65, v64, 36, v114
	v_xor_b32_e32 v190, s21, v190
	v_bitop3_b32 v62, v62, v189, v188 bitop3:0x80
	s_delay_alu instid0(VALU_DEP_4) | instskip(SKIP_3) | instid1(VALU_DEP_2)
	v_xor_b32_e32 v63, vcc_lo, v63
	ds_load_b32 v188, v65 offset:544
	; wave barrier
	v_bitop3_b32 v62, v62, v63, v190 bitop3:0x80
	v_mul_u32_u24_e32 v63, 36, v64
	v_mbcnt_lo_u32_b32 v189, v62, 0
	v_cmp_ne_u32_e64 s17, 0, v62
	s_delay_alu instid0(VALU_DEP_3) | instskip(NEXT) | instid1(VALU_DEP_3)
	v_add_nc_u32_e32 v191, v114, v63
	v_cmp_eq_u32_e32 vcc_lo, 0, v189
	s_and_b32 s18, s17, vcc_lo
	s_delay_alu instid0(SALU_CYCLE_1)
	s_and_saveexec_b32 s17, s18
	s_cbranch_execz .LBB317_783
; %bb.782:                              ;   in Loop: Header=BB317_730 Depth=2
	s_wait_dscnt 0x0
	v_bcnt_u32_b32 v62, v62, v188
	ds_store_b32 v191, v62 offset:544
.LBB317_783:                            ;   in Loop: Header=BB317_730 Depth=2
	s_or_b32 exec_lo, exec_lo, s17
	v_lshrrev_b32_e32 v190, 24, v135
	; wave barrier
	s_delay_alu instid0(VALU_DEP_1) | instskip(NEXT) | instid1(VALU_DEP_1)
	v_lshrrev_b32_e32 v62, s49, v190
	v_and_b32_e32 v64, s58, v62
	s_delay_alu instid0(VALU_DEP_1) | instskip(SKIP_3) | instid1(VALU_DEP_3)
	v_lshlrev_b32_e32 v65, 30, v64
	v_bitop3_b32 v63, v62, 1, s58 bitop3:0x80
	v_dual_lshlrev_b32 v192, 29, v64 :: v_dual_lshlrev_b32 v193, 28, v64
	v_dual_lshlrev_b32 v194, 27, v64 :: v_dual_lshlrev_b32 v195, 26, v64
	v_add_co_u32 v62, s17, v63, -1
	s_delay_alu instid0(VALU_DEP_1)
	v_cndmask_b32_e64 v63, 0, 1, s17
	v_cmp_gt_i32_e64 s17, 0, v65
	v_cmp_gt_i32_e64 s18, 0, v192
	;; [unrolled: 1-line block ×4, first 2 shown]
	v_cmp_ne_u32_e32 vcc_lo, 0, v63
	v_not_b32_e32 v63, v65
	v_not_b32_e32 v65, v192
	v_lshlrev_b32_e32 v196, 25, v64
	v_not_b32_e32 v192, v193
	v_not_b32_e32 v193, v194
	s_delay_alu instid0(VALU_DEP_4)
	v_dual_ashrrev_i32 v63, 31, v63 :: v_dual_ashrrev_i32 v65, 31, v65
	v_cmp_gt_i32_e64 s21, 0, v195
	v_not_b32_e32 v194, v195
	v_bitop3_b32 v62, vcc_lo, exec_lo, v62 bitop3:0x48
	v_dual_ashrrev_i32 v192, 31, v192 :: v_dual_ashrrev_i32 v193, 31, v193
	v_xor_b32_e32 v63, s17, v63
	s_delay_alu instid0(VALU_DEP_4) | instskip(SKIP_1) | instid1(VALU_DEP_4)
	v_dual_ashrrev_i32 v194, 31, v194 :: v_dual_bitop2_b32 v65, s18, v65 bitop3:0x14
	v_not_b32_e32 v195, v196
	v_xor_b32_e32 v192, s19, v192
	v_xor_b32_e32 v193, s20, v193
	s_delay_alu instid0(VALU_DEP_4)
	v_bitop3_b32 v62, v62, v65, v63 bitop3:0x80
	v_cmp_gt_i32_e32 vcc_lo, 0, v196
	v_ashrrev_i32_e32 v63, 31, v195
	v_mad_u32_u24 v65, v64, 36, v114
	v_xor_b32_e32 v194, s21, v194
	v_bitop3_b32 v62, v62, v193, v192 bitop3:0x80
	s_delay_alu instid0(VALU_DEP_4) | instskip(SKIP_3) | instid1(VALU_DEP_2)
	v_xor_b32_e32 v63, vcc_lo, v63
	ds_load_b32 v192, v65 offset:544
	; wave barrier
	v_bitop3_b32 v62, v62, v63, v194 bitop3:0x80
	v_mul_u32_u24_e32 v63, 36, v64
	v_mbcnt_lo_u32_b32 v193, v62, 0
	v_cmp_ne_u32_e64 s17, 0, v62
	s_delay_alu instid0(VALU_DEP_3) | instskip(NEXT) | instid1(VALU_DEP_3)
	v_add_nc_u32_e32 v194, v114, v63
	v_cmp_eq_u32_e32 vcc_lo, 0, v193
	s_and_b32 s18, s17, vcc_lo
	s_delay_alu instid0(SALU_CYCLE_1)
	s_and_saveexec_b32 s17, s18
	s_cbranch_execz .LBB317_785
; %bb.784:                              ;   in Loop: Header=BB317_730 Depth=2
	s_wait_dscnt 0x0
	v_bcnt_u32_b32 v62, v62, v192
	ds_store_b32 v194, v62 offset:544
.LBB317_785:                            ;   in Loop: Header=BB317_730 Depth=2
	s_or_b32 exec_lo, exec_lo, s17
	v_xor_b32_e32 v115, 0x7f, v115
	; wave barrier
	s_delay_alu instid0(VALU_DEP_1) | instskip(NEXT) | instid1(VALU_DEP_1)
	v_and_b32_e32 v62, 0xff, v115
	v_lshrrev_b32_e32 v62, s49, v62
	s_delay_alu instid0(VALU_DEP_1) | instskip(NEXT) | instid1(VALU_DEP_1)
	v_and_b32_e32 v64, s58, v62
	v_lshlrev_b32_e32 v65, 30, v64
	v_bitop3_b32 v63, v62, 1, s58 bitop3:0x80
	s_delay_alu instid0(VALU_DEP_1) | instskip(NEXT) | instid1(VALU_DEP_1)
	v_add_co_u32 v62, s17, v63, -1
	v_cndmask_b32_e64 v63, 0, 1, s17
	s_delay_alu instid0(VALU_DEP_4) | instskip(NEXT) | instid1(VALU_DEP_2)
	v_cmp_gt_i32_e64 s17, 0, v65
	v_cmp_ne_u32_e32 vcc_lo, 0, v63
	v_not_b32_e32 v63, v65
	v_bitop3_b32 v62, vcc_lo, exec_lo, v62 bitop3:0x48
	s_delay_alu instid0(VALU_DEP_2) | instskip(SKIP_2) | instid1(VALU_DEP_3)
	v_dual_ashrrev_i32 v63, 31, v63 :: v_dual_lshlrev_b32 v195, 29, v64
	v_dual_lshlrev_b32 v196, 28, v64 :: v_dual_lshlrev_b32 v197, 27, v64
	v_lshlrev_b32_e32 v198, 26, v64
	v_not_b32_e32 v65, v195
	v_lshlrev_b32_e32 v199, 25, v64
	v_cmp_gt_i32_e64 s18, 0, v195
	v_cmp_gt_i32_e64 s19, 0, v196
	v_not_b32_e32 v195, v196
	v_not_b32_e32 v196, v197
	v_ashrrev_i32_e32 v65, 31, v65
	v_cmp_gt_i32_e64 s20, 0, v197
	v_cmp_gt_i32_e64 s21, 0, v198
	v_not_b32_e32 v197, v198
	v_not_b32_e32 v198, v199
	v_dual_ashrrev_i32 v195, 31, v195 :: v_dual_ashrrev_i32 v196, 31, v196
	s_delay_alu instid0(VALU_DEP_3) | instskip(NEXT) | instid1(VALU_DEP_3)
	v_dual_ashrrev_i32 v197, 31, v197 :: v_dual_bitop2_b32 v63, s17, v63 bitop3:0x14
	v_dual_ashrrev_i32 v198, 31, v198 :: v_dual_bitop2_b32 v65, s18, v65 bitop3:0x14
	v_cmp_gt_i32_e64 s22, 0, v199
	s_delay_alu instid0(VALU_DEP_4) | instskip(SKIP_1) | instid1(VALU_DEP_4)
	v_xor_b32_e32 v195, s19, v195
	v_xor_b32_e32 v196, s20, v196
	v_bitop3_b32 v62, v62, v65, v63 bitop3:0x80
	v_mad_u32_u24 v63, v64, 36, v114
	v_xor_b32_e32 v65, s21, v197
	v_xor_b32_e32 v197, s22, v198
	s_delay_alu instid0(VALU_DEP_4) | instskip(SKIP_3) | instid1(VALU_DEP_2)
	v_bitop3_b32 v62, v62, v196, v195 bitop3:0x80
	ds_load_b32 v195, v63 offset:544
	v_mul_u32_u24_e32 v63, 36, v64
	; wave barrier
	v_bitop3_b32 v62, v62, v197, v65 bitop3:0x80
	v_add_nc_u32_e32 v197, v114, v63
	s_delay_alu instid0(VALU_DEP_2) | instskip(SKIP_1) | instid1(VALU_DEP_2)
	v_mbcnt_lo_u32_b32 v196, v62, 0
	v_cmp_ne_u32_e64 s17, 0, v62
	v_cmp_eq_u32_e32 vcc_lo, 0, v196
	s_and_b32 s18, s17, vcc_lo
	s_delay_alu instid0(SALU_CYCLE_1)
	s_and_saveexec_b32 s17, s18
	s_cbranch_execz .LBB317_787
; %bb.786:                              ;   in Loop: Header=BB317_730 Depth=2
	s_wait_dscnt 0x0
	v_bcnt_u32_b32 v62, v62, v195
	ds_store_b32 v197, v62 offset:544
.LBB317_787:                            ;   in Loop: Header=BB317_730 Depth=2
	s_or_b32 exec_lo, exec_lo, s17
	; wave barrier
	s_wait_dscnt 0x0
	s_barrier_signal -1
	s_barrier_wait -1
	ds_load_2addr_b32 v[64:65], v90 offset0:136 offset1:137
	ds_load_2addr_b32 v[62:63], v90 offset0:138 offset1:139
	ds_load_b32 v198, v90 offset:560
	s_wait_dscnt 0x1
	v_add3_u32 v199, v65, v64, v62
	s_wait_dscnt 0x0
	s_delay_alu instid0(VALU_DEP_1) | instskip(NEXT) | instid1(VALU_DEP_1)
	v_add3_u32 v198, v199, v63, v198
	v_mov_b32_dpp v199, v198 row_shr:1 row_mask:0xf bank_mask:0xf
	s_delay_alu instid0(VALU_DEP_1) | instskip(NEXT) | instid1(VALU_DEP_1)
	v_cndmask_b32_e64 v199, v199, 0, s8
	v_add_nc_u32_e32 v198, v199, v198
	s_delay_alu instid0(VALU_DEP_1) | instskip(NEXT) | instid1(VALU_DEP_1)
	v_mov_b32_dpp v199, v198 row_shr:2 row_mask:0xf bank_mask:0xf
	v_cndmask_b32_e64 v199, 0, v199, s9
	s_delay_alu instid0(VALU_DEP_1) | instskip(NEXT) | instid1(VALU_DEP_1)
	v_add_nc_u32_e32 v198, v198, v199
	v_mov_b32_dpp v199, v198 row_shr:4 row_mask:0xf bank_mask:0xf
	s_delay_alu instid0(VALU_DEP_1) | instskip(NEXT) | instid1(VALU_DEP_1)
	v_cndmask_b32_e64 v199, 0, v199, s10
	v_add_nc_u32_e32 v198, v198, v199
	s_delay_alu instid0(VALU_DEP_1) | instskip(NEXT) | instid1(VALU_DEP_1)
	v_mov_b32_dpp v199, v198 row_shr:8 row_mask:0xf bank_mask:0xf
	v_cndmask_b32_e64 v199, 0, v199, s11
	s_delay_alu instid0(VALU_DEP_1) | instskip(SKIP_3) | instid1(VALU_DEP_1)
	v_add_nc_u32_e32 v198, v198, v199
	ds_swizzle_b32 v199, v198 offset:swizzle(BROADCAST,32,15)
	s_wait_dscnt 0x0
	v_cndmask_b32_e64 v199, v199, 0, s12
	v_add_nc_u32_e32 v198, v198, v199
	s_and_saveexec_b32 s17, s2
; %bb.788:                              ;   in Loop: Header=BB317_730 Depth=2
	ds_store_b32 v83, v198 offset:512
; %bb.789:                              ;   in Loop: Header=BB317_730 Depth=2
	s_or_b32 exec_lo, exec_lo, s17
	s_wait_dscnt 0x0
	s_barrier_signal -1
	s_barrier_wait -1
	s_and_saveexec_b32 s17, s3
	s_cbranch_execz .LBB317_791
; %bb.790:                              ;   in Loop: Header=BB317_730 Depth=2
	ds_load_b32 v199, v92 offset:512
	s_wait_dscnt 0x0
	v_mov_b32_dpp v200, v199 row_shr:1 row_mask:0xf bank_mask:0xf
	s_delay_alu instid0(VALU_DEP_1) | instskip(NEXT) | instid1(VALU_DEP_1)
	v_cndmask_b32_e64 v200, v200, 0, s14
	v_add_nc_u32_e32 v199, v200, v199
	s_delay_alu instid0(VALU_DEP_1) | instskip(NEXT) | instid1(VALU_DEP_1)
	v_mov_b32_dpp v200, v199 row_shr:2 row_mask:0xf bank_mask:0xf
	v_cndmask_b32_e64 v200, 0, v200, s15
	s_delay_alu instid0(VALU_DEP_1) | instskip(NEXT) | instid1(VALU_DEP_1)
	v_add_nc_u32_e32 v199, v199, v200
	v_mov_b32_dpp v200, v199 row_shr:4 row_mask:0xf bank_mask:0xf
	s_delay_alu instid0(VALU_DEP_1) | instskip(NEXT) | instid1(VALU_DEP_1)
	v_cndmask_b32_e64 v200, 0, v200, s16
	v_add_nc_u32_e32 v199, v199, v200
	ds_store_b32 v92, v199 offset:512
.LBB317_791:                            ;   in Loop: Header=BB317_730 Depth=2
	s_or_b32 exec_lo, exec_lo, s17
	v_mov_b32_e32 v199, 0
	s_wait_dscnt 0x0
	s_barrier_signal -1
	s_barrier_wait -1
	s_and_saveexec_b32 s17, s5
; %bb.792:                              ;   in Loop: Header=BB317_730 Depth=2
	ds_load_b32 v199, v83 offset:508
; %bb.793:                              ;   in Loop: Header=BB317_730 Depth=2
	s_or_b32 exec_lo, exec_lo, s17
	s_wait_dscnt 0x0
	v_add_nc_u32_e32 v198, v199, v198
	ds_bpermute_b32 v198, v96, v198
	s_wait_dscnt 0x0
	v_cndmask_b32_e64 v198, v198, v199, s13
	s_delay_alu instid0(VALU_DEP_1) | instskip(NEXT) | instid1(VALU_DEP_1)
	v_cndmask_b32_e64 v198, v198, 0, s6
	v_add_nc_u32_e32 v64, v198, v64
	s_delay_alu instid0(VALU_DEP_1) | instskip(NEXT) | instid1(VALU_DEP_1)
	v_add_nc_u32_e32 v65, v64, v65
	v_add_nc_u32_e32 v62, v65, v62
	s_delay_alu instid0(VALU_DEP_1)
	v_add_nc_u32_e32 v63, v62, v63
	ds_store_2addr_b32 v90, v198, v64 offset0:136 offset1:137
	ds_store_2addr_b32 v90, v65, v62 offset0:138 offset1:139
	ds_store_b32 v90, v63 offset:560
	s_wait_dscnt 0x0
	s_barrier_signal -1
	s_barrier_wait -1
	ds_load_b32 v62, v149 offset:544
	ds_load_b32 v63, v152 offset:544
	;; [unrolled: 1-line block ×17, first 2 shown]
	s_and_saveexec_b32 s17, s0
	s_cbranch_execz .LBB317_797
; %bb.794:                              ;   in Loop: Header=BB317_730 Depth=2
	v_dual_mov_b32 v134, 0x1100 :: v_dual_add_nc_u32 v133, v92, v94
	ds_load_b32 v133, v133 offset:544
	s_and_saveexec_b32 s18, s7
; %bb.795:                              ;   in Loop: Header=BB317_730 Depth=2
	ds_load_b32 v134, v93 offset:544
; %bb.796:                              ;   in Loop: Header=BB317_730 Depth=2
	s_or_b32 exec_lo, exec_lo, s18
	s_wait_dscnt 0x0
	v_sub_nc_u32_e32 v134, v134, v133
.LBB317_797:                            ;   in Loop: Header=BB317_730 Depth=2
	s_or_b32 exec_lo, exec_lo, s17
	v_dual_lshrrev_b32 v202, 8, v148 :: v_dual_lshrrev_b32 v203, 16, v148
	v_dual_lshrrev_b32 v200, 8, v143 :: v_dual_lshrrev_b32 v201, 16, v143
	;; [unrolled: 1-line block ×4, first 2 shown]
	s_wait_dscnt 0x0
	s_barrier_signal -1
	s_barrier_wait -1
	s_and_saveexec_b32 s17, s0
	s_cbranch_execz .LBB317_799
; %bb.798:                              ;   in Loop: Header=BB317_730 Depth=2
	ds_load_b32 v135, v66
	s_wait_dscnt 0x0
	v_sub_nc_u32_e32 v135, v135, v133
	ds_store_b32 v66, v135
.LBB317_799:                            ;   in Loop: Header=BB317_730 Depth=2
	s_or_b32 exec_lo, exec_lo, s17
	v_add_nc_u32_e32 v156, v62, v146
	v_add3_u32 v152, v151, v150, v63
	v_add3_u32 v151, v154, v153, v64
	;; [unrolled: 1-line block ×16, first 2 shown]
	v_cmp_lt_u32_e32 vcc_lo, v2, v137
	ds_store_b8 v156, v147 offset:512
	ds_store_b8 v152, v202 offset:512
	;; [unrolled: 1-line block ×17, first 2 shown]
	s_wait_dscnt 0x0
	s_barrier_signal -1
	s_barrier_wait -1
	s_and_saveexec_b32 s17, vcc_lo
	s_cbranch_execnz .LBB317_872
; %bb.800:                              ;   in Loop: Header=BB317_730 Depth=2
	s_or_b32 exec_lo, exec_lo, s17
	v_cmp_lt_u32_e64 s17, v67, v137
	s_and_saveexec_b32 s18, s17
	s_cbranch_execnz .LBB317_873
.LBB317_801:                            ;   in Loop: Header=BB317_730 Depth=2
	s_or_b32 exec_lo, exec_lo, s18
	v_cmp_lt_u32_e64 s18, v68, v137
	s_and_saveexec_b32 s19, s18
	s_cbranch_execnz .LBB317_874
.LBB317_802:                            ;   in Loop: Header=BB317_730 Depth=2
	s_or_b32 exec_lo, exec_lo, s19
	v_cmp_lt_u32_e64 s19, v69, v137
	s_and_saveexec_b32 s20, s19
	s_cbranch_execnz .LBB317_875
.LBB317_803:                            ;   in Loop: Header=BB317_730 Depth=2
	s_or_b32 exec_lo, exec_lo, s20
	v_cmp_lt_u32_e64 s20, v70, v137
	s_and_saveexec_b32 s21, s20
	s_cbranch_execnz .LBB317_876
.LBB317_804:                            ;   in Loop: Header=BB317_730 Depth=2
	s_or_b32 exec_lo, exec_lo, s21
	v_cmp_lt_u32_e64 s21, v71, v137
	s_and_saveexec_b32 s22, s21
	s_cbranch_execnz .LBB317_877
.LBB317_805:                            ;   in Loop: Header=BB317_730 Depth=2
	s_or_b32 exec_lo, exec_lo, s22
	v_cmp_lt_u32_e64 s22, v72, v137
	s_and_saveexec_b32 s23, s22
	s_cbranch_execnz .LBB317_878
.LBB317_806:                            ;   in Loop: Header=BB317_730 Depth=2
	s_or_b32 exec_lo, exec_lo, s23
	v_cmp_lt_u32_e64 s23, v73, v137
	s_and_saveexec_b32 s24, s23
	s_cbranch_execnz .LBB317_879
.LBB317_807:                            ;   in Loop: Header=BB317_730 Depth=2
	s_or_b32 exec_lo, exec_lo, s24
	v_cmp_lt_u32_e64 s24, v74, v137
	s_and_saveexec_b32 s25, s24
	s_cbranch_execnz .LBB317_880
.LBB317_808:                            ;   in Loop: Header=BB317_730 Depth=2
	s_or_b32 exec_lo, exec_lo, s25
	v_cmp_lt_u32_e64 s25, v75, v137
	s_and_saveexec_b32 s26, s25
	s_cbranch_execnz .LBB317_881
.LBB317_809:                            ;   in Loop: Header=BB317_730 Depth=2
	s_or_b32 exec_lo, exec_lo, s26
	v_cmp_lt_u32_e64 s26, v76, v137
	s_and_saveexec_b32 s27, s26
	s_cbranch_execnz .LBB317_882
.LBB317_810:                            ;   in Loop: Header=BB317_730 Depth=2
	s_or_b32 exec_lo, exec_lo, s27
	v_cmp_lt_u32_e64 s27, v77, v137
	s_and_saveexec_b32 s28, s27
	s_cbranch_execnz .LBB317_883
.LBB317_811:                            ;   in Loop: Header=BB317_730 Depth=2
	s_or_b32 exec_lo, exec_lo, s28
	v_cmp_lt_u32_e64 s28, v78, v137
	s_and_saveexec_b32 s29, s28
	s_cbranch_execnz .LBB317_884
.LBB317_812:                            ;   in Loop: Header=BB317_730 Depth=2
	s_or_b32 exec_lo, exec_lo, s29
	v_cmp_lt_u32_e64 s29, v79, v137
	s_and_saveexec_b32 s30, s29
	s_cbranch_execnz .LBB317_885
.LBB317_813:                            ;   in Loop: Header=BB317_730 Depth=2
	s_or_b32 exec_lo, exec_lo, s30
	v_cmp_lt_u32_e64 s30, v80, v137
	s_and_saveexec_b32 s31, s30
	s_cbranch_execnz .LBB317_886
.LBB317_814:                            ;   in Loop: Header=BB317_730 Depth=2
	s_or_b32 exec_lo, exec_lo, s31
	v_cmp_lt_u32_e64 s31, v81, v137
	s_and_saveexec_b32 s33, s31
	s_cbranch_execnz .LBB317_887
.LBB317_815:                            ;   in Loop: Header=BB317_730 Depth=2
	s_or_b32 exec_lo, exec_lo, s33
	v_cmp_lt_u32_e64 s33, v82, v137
	s_and_saveexec_b32 s61, s33
	s_cbranch_execz .LBB317_817
.LBB317_816:                            ;   in Loop: Header=BB317_730 Depth=2
	ds_load_u8 v62, v2 offset:4608
	s_wait_dscnt 0x0
	v_and_b32_e32 v63, 0xff, v62
	v_xor_b32_e32 v62, 0x7f, v62
	s_delay_alu instid0(VALU_DEP_2) | instskip(NEXT) | instid1(VALU_DEP_1)
	v_lshrrev_b32_e32 v63, s49, v63
	v_and_b32_e32 v63, s58, v63
	s_delay_alu instid0(VALU_DEP_1)
	v_lshlrev_b32_e32 v63, 2, v63
	ds_load_b32 v63, v63
	s_wait_dscnt 0x0
	v_add_nc_u32_e32 v63, v63, v82
	global_store_b8 v63, v62, s[38:39]
.LBB317_817:                            ;   in Loop: Header=BB317_730 Depth=2
	s_wait_xcnt 0x0
	s_or_b32 exec_lo, exec_lo, s61
	v_lshl_add_u64 v[62:63], s[34:35], 3, v[26:27]
	v_cmp_lt_u32_e64 s34, v97, v137
	s_and_saveexec_b32 s61, s34
	s_delay_alu instid0(SALU_CYCLE_1)
	s_xor_b32 s34, exec_lo, s61
	s_cbranch_execnz .LBB317_888
; %bb.818:                              ;   in Loop: Header=BB317_730 Depth=2
	s_or_b32 exec_lo, exec_lo, s34
	s_delay_alu instid0(SALU_CYCLE_1)
	s_mov_b32 s61, exec_lo
	v_cmpx_lt_u32_e64 v98, v137
	s_cbranch_execnz .LBB317_889
.LBB317_819:                            ;   in Loop: Header=BB317_730 Depth=2
	s_or_b32 exec_lo, exec_lo, s61
	s_delay_alu instid0(SALU_CYCLE_1)
	s_mov_b32 s61, exec_lo
	v_cmpx_lt_u32_e64 v99, v137
	s_cbranch_execnz .LBB317_890
.LBB317_820:                            ;   in Loop: Header=BB317_730 Depth=2
	s_or_b32 exec_lo, exec_lo, s61
	s_delay_alu instid0(SALU_CYCLE_1)
	s_mov_b32 s61, exec_lo
	v_cmpx_lt_u32_e64 v100, v137
	s_cbranch_execnz .LBB317_891
.LBB317_821:                            ;   in Loop: Header=BB317_730 Depth=2
	s_or_b32 exec_lo, exec_lo, s61
	s_delay_alu instid0(SALU_CYCLE_1)
	s_mov_b32 s61, exec_lo
	v_cmpx_lt_u32_e64 v101, v137
	s_cbranch_execnz .LBB317_892
.LBB317_822:                            ;   in Loop: Header=BB317_730 Depth=2
	s_or_b32 exec_lo, exec_lo, s61
	s_delay_alu instid0(SALU_CYCLE_1)
	s_mov_b32 s61, exec_lo
	v_cmpx_lt_u32_e64 v102, v137
	s_cbranch_execnz .LBB317_893
.LBB317_823:                            ;   in Loop: Header=BB317_730 Depth=2
	s_or_b32 exec_lo, exec_lo, s61
	s_delay_alu instid0(SALU_CYCLE_1)
	s_mov_b32 s61, exec_lo
	v_cmpx_lt_u32_e64 v103, v137
	s_cbranch_execnz .LBB317_894
.LBB317_824:                            ;   in Loop: Header=BB317_730 Depth=2
	s_or_b32 exec_lo, exec_lo, s61
	s_delay_alu instid0(SALU_CYCLE_1)
	s_mov_b32 s61, exec_lo
	v_cmpx_lt_u32_e64 v104, v137
	s_cbranch_execnz .LBB317_895
.LBB317_825:                            ;   in Loop: Header=BB317_730 Depth=2
	s_or_b32 exec_lo, exec_lo, s61
	s_delay_alu instid0(SALU_CYCLE_1)
	s_mov_b32 s61, exec_lo
	v_cmpx_lt_u32_e64 v105, v137
	s_cbranch_execnz .LBB317_896
.LBB317_826:                            ;   in Loop: Header=BB317_730 Depth=2
	s_or_b32 exec_lo, exec_lo, s61
	s_delay_alu instid0(SALU_CYCLE_1)
	s_mov_b32 s61, exec_lo
	v_cmpx_lt_u32_e64 v106, v137
	s_cbranch_execnz .LBB317_897
.LBB317_827:                            ;   in Loop: Header=BB317_730 Depth=2
	s_or_b32 exec_lo, exec_lo, s61
	s_delay_alu instid0(SALU_CYCLE_1)
	s_mov_b32 s61, exec_lo
	v_cmpx_lt_u32_e64 v107, v137
	s_cbranch_execnz .LBB317_898
.LBB317_828:                            ;   in Loop: Header=BB317_730 Depth=2
	s_or_b32 exec_lo, exec_lo, s61
	s_delay_alu instid0(SALU_CYCLE_1)
	s_mov_b32 s61, exec_lo
	v_cmpx_lt_u32_e64 v108, v137
	s_cbranch_execnz .LBB317_899
.LBB317_829:                            ;   in Loop: Header=BB317_730 Depth=2
	s_or_b32 exec_lo, exec_lo, s61
	s_delay_alu instid0(SALU_CYCLE_1)
	s_mov_b32 s61, exec_lo
	v_cmpx_lt_u32_e64 v109, v137
	s_cbranch_execnz .LBB317_900
.LBB317_830:                            ;   in Loop: Header=BB317_730 Depth=2
	s_or_b32 exec_lo, exec_lo, s61
	s_delay_alu instid0(SALU_CYCLE_1)
	s_mov_b32 s61, exec_lo
	v_cmpx_lt_u32_e64 v110, v137
	s_cbranch_execnz .LBB317_901
.LBB317_831:                            ;   in Loop: Header=BB317_730 Depth=2
	s_or_b32 exec_lo, exec_lo, s61
	s_delay_alu instid0(SALU_CYCLE_1)
	s_mov_b32 s61, exec_lo
	v_cmpx_lt_u32_e64 v111, v137
	s_cbranch_execnz .LBB317_902
.LBB317_832:                            ;   in Loop: Header=BB317_730 Depth=2
	s_or_b32 exec_lo, exec_lo, s61
	s_delay_alu instid0(SALU_CYCLE_1)
	s_mov_b32 s61, exec_lo
	v_cmpx_lt_u32_e64 v112, v137
	s_cbranch_execnz .LBB317_903
.LBB317_833:                            ;   in Loop: Header=BB317_730 Depth=2
	s_or_b32 exec_lo, exec_lo, s61
	s_delay_alu instid0(SALU_CYCLE_1)
	s_mov_b32 s61, exec_lo
	v_cmpx_lt_u32_e64 v113, v137
	s_cbranch_execnz .LBB317_904
.LBB317_834:                            ;   in Loop: Header=BB317_730 Depth=2
	s_or_b32 exec_lo, exec_lo, s61
	s_and_saveexec_b32 s34, vcc_lo
	s_cbranch_execnz .LBB317_905
.LBB317_835:                            ;   in Loop: Header=BB317_730 Depth=2
	s_or_b32 exec_lo, exec_lo, s34
	s_and_saveexec_b32 s34, s17
	s_cbranch_execnz .LBB317_906
.LBB317_836:                            ;   in Loop: Header=BB317_730 Depth=2
	s_or_b32 exec_lo, exec_lo, s34
	s_and_saveexec_b32 s34, s18
	s_cbranch_execnz .LBB317_907
.LBB317_837:                            ;   in Loop: Header=BB317_730 Depth=2
	s_or_b32 exec_lo, exec_lo, s34
	s_and_saveexec_b32 s34, s19
	s_cbranch_execnz .LBB317_908
.LBB317_838:                            ;   in Loop: Header=BB317_730 Depth=2
	s_or_b32 exec_lo, exec_lo, s34
	s_and_saveexec_b32 s34, s20
	s_cbranch_execnz .LBB317_909
.LBB317_839:                            ;   in Loop: Header=BB317_730 Depth=2
	s_or_b32 exec_lo, exec_lo, s34
	s_and_saveexec_b32 s34, s21
	s_cbranch_execnz .LBB317_910
.LBB317_840:                            ;   in Loop: Header=BB317_730 Depth=2
	s_or_b32 exec_lo, exec_lo, s34
	s_and_saveexec_b32 s34, s22
	s_cbranch_execnz .LBB317_911
.LBB317_841:                            ;   in Loop: Header=BB317_730 Depth=2
	s_or_b32 exec_lo, exec_lo, s34
	s_and_saveexec_b32 s34, s23
	s_cbranch_execnz .LBB317_912
.LBB317_842:                            ;   in Loop: Header=BB317_730 Depth=2
	s_or_b32 exec_lo, exec_lo, s34
	s_and_saveexec_b32 s34, s24
	s_cbranch_execnz .LBB317_913
.LBB317_843:                            ;   in Loop: Header=BB317_730 Depth=2
	s_or_b32 exec_lo, exec_lo, s34
	s_and_saveexec_b32 s34, s25
	s_cbranch_execnz .LBB317_914
.LBB317_844:                            ;   in Loop: Header=BB317_730 Depth=2
	s_or_b32 exec_lo, exec_lo, s34
	s_and_saveexec_b32 s34, s26
	s_cbranch_execnz .LBB317_915
.LBB317_845:                            ;   in Loop: Header=BB317_730 Depth=2
	s_or_b32 exec_lo, exec_lo, s34
	s_and_saveexec_b32 s34, s27
	s_cbranch_execnz .LBB317_916
.LBB317_846:                            ;   in Loop: Header=BB317_730 Depth=2
	s_or_b32 exec_lo, exec_lo, s34
	s_and_saveexec_b32 s34, s28
	s_cbranch_execnz .LBB317_917
.LBB317_847:                            ;   in Loop: Header=BB317_730 Depth=2
	s_or_b32 exec_lo, exec_lo, s34
	s_and_saveexec_b32 s34, s29
	s_cbranch_execnz .LBB317_918
.LBB317_848:                            ;   in Loop: Header=BB317_730 Depth=2
	s_or_b32 exec_lo, exec_lo, s34
	s_and_saveexec_b32 s34, s30
	s_cbranch_execnz .LBB317_919
.LBB317_849:                            ;   in Loop: Header=BB317_730 Depth=2
	s_or_b32 exec_lo, exec_lo, s34
	s_and_saveexec_b32 s34, s31
	s_cbranch_execnz .LBB317_920
.LBB317_850:                            ;   in Loop: Header=BB317_730 Depth=2
	s_or_b32 exec_lo, exec_lo, s34
	s_and_saveexec_b32 s34, s33
	s_cbranch_execz .LBB317_852
.LBB317_851:                            ;   in Loop: Header=BB317_730 Depth=2
	ds_load_u8 v62, v2 offset:4608
	s_wait_dscnt 0x0
	v_lshrrev_b32_e32 v62, s49, v62
	s_delay_alu instid0(VALU_DEP_1)
	v_and_b32_e32 v116, s58, v62
.LBB317_852:                            ;   in Loop: Header=BB317_730 Depth=2
	s_or_b32 exec_lo, exec_lo, s34
	v_lshlrev_b32_e32 v62, 3, v156
	v_lshlrev_b32_e32 v63, 3, v152
	s_wait_loadcnt 0x0
	s_wait_storecnt 0x0
	s_barrier_signal -1
	s_barrier_wait -1
	ds_store_b64 v62, v[60:61] offset:512
	ds_store_b64 v63, v[58:59] offset:512
	v_dual_lshlrev_b32 v62, 3, v151 :: v_dual_lshlrev_b32 v63, 3, v150
	v_dual_lshlrev_b32 v137, 3, v149 :: v_dual_lshlrev_b32 v138, 3, v148
	v_lshlrev_b32_e32 v142, 3, v146
	ds_store_b64 v62, v[56:57] offset:512
	ds_store_b64 v63, v[54:55] offset:512
	ds_store_b64 v137, v[52:53] offset:512
	ds_store_b64 v138, v[50:51] offset:512
	ds_store_b64 v142, v[48:49] offset:512
	v_dual_lshlrev_b32 v62, 3, v145 :: v_dual_lshlrev_b32 v63, 3, v144
	v_dual_lshlrev_b32 v137, 3, v143 :: v_dual_lshlrev_b32 v138, 3, v141
	v_lshlrev_b32_e32 v140, 3, v140
	ds_store_b64 v62, v[46:47] offset:512
	ds_store_b64 v63, v[44:45] offset:512
	ds_store_b64 v137, v[42:43] offset:512
	;; [unrolled: 8-line block ×3, first 2 shown]
	ds_store_b64 v65, v[30:31] offset:512
	ds_store_b64 v64, v[28:29] offset:512
	s_wait_dscnt 0x0
	s_barrier_signal -1
	s_barrier_wait -1
	s_and_saveexec_b32 s34, vcc_lo
	s_cbranch_execnz .LBB317_921
; %bb.853:                              ;   in Loop: Header=BB317_730 Depth=2
	s_or_b32 exec_lo, exec_lo, s34
	s_and_saveexec_b32 s34, s17
	s_cbranch_execnz .LBB317_922
.LBB317_854:                            ;   in Loop: Header=BB317_730 Depth=2
	s_or_b32 exec_lo, exec_lo, s34
	s_and_saveexec_b32 s17, s18
	s_cbranch_execnz .LBB317_923
.LBB317_855:                            ;   in Loop: Header=BB317_730 Depth=2
	s_or_b32 exec_lo, exec_lo, s17
	s_and_saveexec_b32 s17, s19
	s_cbranch_execnz .LBB317_924
.LBB317_856:                            ;   in Loop: Header=BB317_730 Depth=2
	s_or_b32 exec_lo, exec_lo, s17
	s_and_saveexec_b32 s17, s20
	s_cbranch_execnz .LBB317_925
.LBB317_857:                            ;   in Loop: Header=BB317_730 Depth=2
	s_or_b32 exec_lo, exec_lo, s17
	s_and_saveexec_b32 s17, s21
	s_cbranch_execnz .LBB317_926
.LBB317_858:                            ;   in Loop: Header=BB317_730 Depth=2
	s_or_b32 exec_lo, exec_lo, s17
	s_and_saveexec_b32 s17, s22
	s_cbranch_execnz .LBB317_927
.LBB317_859:                            ;   in Loop: Header=BB317_730 Depth=2
	s_or_b32 exec_lo, exec_lo, s17
	s_and_saveexec_b32 s17, s23
	s_cbranch_execnz .LBB317_928
.LBB317_860:                            ;   in Loop: Header=BB317_730 Depth=2
	s_or_b32 exec_lo, exec_lo, s17
	s_and_saveexec_b32 s17, s24
	s_cbranch_execnz .LBB317_929
.LBB317_861:                            ;   in Loop: Header=BB317_730 Depth=2
	s_or_b32 exec_lo, exec_lo, s17
	s_and_saveexec_b32 s17, s25
	s_cbranch_execnz .LBB317_930
.LBB317_862:                            ;   in Loop: Header=BB317_730 Depth=2
	s_or_b32 exec_lo, exec_lo, s17
	s_and_saveexec_b32 s17, s26
	s_cbranch_execnz .LBB317_931
.LBB317_863:                            ;   in Loop: Header=BB317_730 Depth=2
	s_or_b32 exec_lo, exec_lo, s17
	s_and_saveexec_b32 s17, s27
	s_cbranch_execnz .LBB317_932
.LBB317_864:                            ;   in Loop: Header=BB317_730 Depth=2
	s_or_b32 exec_lo, exec_lo, s17
	s_and_saveexec_b32 s17, s28
	s_cbranch_execnz .LBB317_933
.LBB317_865:                            ;   in Loop: Header=BB317_730 Depth=2
	s_or_b32 exec_lo, exec_lo, s17
	s_and_saveexec_b32 s17, s29
	s_cbranch_execnz .LBB317_934
.LBB317_866:                            ;   in Loop: Header=BB317_730 Depth=2
	s_or_b32 exec_lo, exec_lo, s17
	s_and_saveexec_b32 s17, s30
	s_cbranch_execnz .LBB317_935
.LBB317_867:                            ;   in Loop: Header=BB317_730 Depth=2
	s_or_b32 exec_lo, exec_lo, s17
	s_and_saveexec_b32 s17, s31
	s_cbranch_execnz .LBB317_936
.LBB317_868:                            ;   in Loop: Header=BB317_730 Depth=2
	s_or_b32 exec_lo, exec_lo, s17
	s_and_saveexec_b32 s17, s33
	s_cbranch_execz .LBB317_870
.LBB317_869:                            ;   in Loop: Header=BB317_730 Depth=2
	v_dual_lshlrev_b32 v62, 2, v116 :: v_dual_add_nc_u32 v63, v2, v95
	ds_load_b32 v64, v62
	ds_load_b64 v[62:63], v63 offset:33280
	s_wait_dscnt 0x1
	v_add_nc_u32_e32 v64, v64, v82
	s_wait_dscnt 0x0
	global_store_b64 v64, v[62:63], s[44:45] scale_offset
.LBB317_870:                            ;   in Loop: Header=BB317_730 Depth=2
	s_wait_xcnt 0x0
	s_or_b32 exec_lo, exec_lo, s17
	s_wait_storecnt 0x0
	s_barrier_signal -1
	s_barrier_wait -1
	s_and_saveexec_b32 s17, s0
	s_cbranch_execz .LBB317_729
; %bb.871:                              ;   in Loop: Header=BB317_730 Depth=2
	ds_load_b32 v62, v66
	s_wait_dscnt 0x0
	v_add3_u32 v62, v133, v134, v62
	ds_store_b32 v66, v62
	s_branch .LBB317_729
.LBB317_872:                            ;   in Loop: Header=BB317_730 Depth=2
	ds_load_u8 v62, v2 offset:512
	s_wait_dscnt 0x0
	v_and_b32_e32 v63, 0xff, v62
	v_xor_b32_e32 v62, 0x7f, v62
	s_delay_alu instid0(VALU_DEP_2) | instskip(NEXT) | instid1(VALU_DEP_1)
	v_lshrrev_b32_e32 v63, s49, v63
	v_and_b32_e32 v63, s58, v63
	s_delay_alu instid0(VALU_DEP_1)
	v_lshlrev_b32_e32 v63, 2, v63
	ds_load_b32 v63, v63
	s_wait_dscnt 0x0
	v_add_nc_u32_e32 v63, v63, v2
	global_store_b8 v63, v62, s[38:39]
	s_wait_xcnt 0x0
	s_or_b32 exec_lo, exec_lo, s17
	v_cmp_lt_u32_e64 s17, v67, v137
	s_and_saveexec_b32 s18, s17
	s_cbranch_execz .LBB317_801
.LBB317_873:                            ;   in Loop: Header=BB317_730 Depth=2
	ds_load_u8 v62, v2 offset:768
	s_wait_dscnt 0x0
	v_and_b32_e32 v63, 0xff, v62
	v_xor_b32_e32 v62, 0x7f, v62
	s_delay_alu instid0(VALU_DEP_2) | instskip(NEXT) | instid1(VALU_DEP_1)
	v_lshrrev_b32_e32 v63, s49, v63
	v_and_b32_e32 v63, s58, v63
	s_delay_alu instid0(VALU_DEP_1)
	v_lshlrev_b32_e32 v63, 2, v63
	ds_load_b32 v63, v63
	s_wait_dscnt 0x0
	v_add_nc_u32_e32 v63, v63, v67
	global_store_b8 v63, v62, s[38:39]
	s_wait_xcnt 0x0
	s_or_b32 exec_lo, exec_lo, s18
	v_cmp_lt_u32_e64 s18, v68, v137
	s_and_saveexec_b32 s19, s18
	s_cbranch_execz .LBB317_802
.LBB317_874:                            ;   in Loop: Header=BB317_730 Depth=2
	ds_load_u8 v62, v2 offset:1024
	s_wait_dscnt 0x0
	v_and_b32_e32 v63, 0xff, v62
	v_xor_b32_e32 v62, 0x7f, v62
	s_delay_alu instid0(VALU_DEP_2) | instskip(NEXT) | instid1(VALU_DEP_1)
	v_lshrrev_b32_e32 v63, s49, v63
	v_and_b32_e32 v63, s58, v63
	s_delay_alu instid0(VALU_DEP_1)
	v_lshlrev_b32_e32 v63, 2, v63
	ds_load_b32 v63, v63
	s_wait_dscnt 0x0
	v_add_nc_u32_e32 v63, v63, v68
	global_store_b8 v63, v62, s[38:39]
	s_wait_xcnt 0x0
	s_or_b32 exec_lo, exec_lo, s19
	v_cmp_lt_u32_e64 s19, v69, v137
	s_and_saveexec_b32 s20, s19
	s_cbranch_execz .LBB317_803
.LBB317_875:                            ;   in Loop: Header=BB317_730 Depth=2
	ds_load_u8 v62, v2 offset:1280
	s_wait_dscnt 0x0
	v_and_b32_e32 v63, 0xff, v62
	v_xor_b32_e32 v62, 0x7f, v62
	s_delay_alu instid0(VALU_DEP_2) | instskip(NEXT) | instid1(VALU_DEP_1)
	v_lshrrev_b32_e32 v63, s49, v63
	v_and_b32_e32 v63, s58, v63
	s_delay_alu instid0(VALU_DEP_1)
	v_lshlrev_b32_e32 v63, 2, v63
	ds_load_b32 v63, v63
	s_wait_dscnt 0x0
	v_add_nc_u32_e32 v63, v63, v69
	global_store_b8 v63, v62, s[38:39]
	s_wait_xcnt 0x0
	s_or_b32 exec_lo, exec_lo, s20
	v_cmp_lt_u32_e64 s20, v70, v137
	s_and_saveexec_b32 s21, s20
	s_cbranch_execz .LBB317_804
.LBB317_876:                            ;   in Loop: Header=BB317_730 Depth=2
	ds_load_u8 v62, v2 offset:1536
	s_wait_dscnt 0x0
	v_and_b32_e32 v63, 0xff, v62
	v_xor_b32_e32 v62, 0x7f, v62
	s_delay_alu instid0(VALU_DEP_2) | instskip(NEXT) | instid1(VALU_DEP_1)
	v_lshrrev_b32_e32 v63, s49, v63
	v_and_b32_e32 v63, s58, v63
	s_delay_alu instid0(VALU_DEP_1)
	v_lshlrev_b32_e32 v63, 2, v63
	ds_load_b32 v63, v63
	s_wait_dscnt 0x0
	v_add_nc_u32_e32 v63, v63, v70
	global_store_b8 v63, v62, s[38:39]
	s_wait_xcnt 0x0
	s_or_b32 exec_lo, exec_lo, s21
	v_cmp_lt_u32_e64 s21, v71, v137
	s_and_saveexec_b32 s22, s21
	s_cbranch_execz .LBB317_805
.LBB317_877:                            ;   in Loop: Header=BB317_730 Depth=2
	ds_load_u8 v62, v2 offset:1792
	s_wait_dscnt 0x0
	v_and_b32_e32 v63, 0xff, v62
	v_xor_b32_e32 v62, 0x7f, v62
	s_delay_alu instid0(VALU_DEP_2) | instskip(NEXT) | instid1(VALU_DEP_1)
	v_lshrrev_b32_e32 v63, s49, v63
	v_and_b32_e32 v63, s58, v63
	s_delay_alu instid0(VALU_DEP_1)
	v_lshlrev_b32_e32 v63, 2, v63
	ds_load_b32 v63, v63
	s_wait_dscnt 0x0
	v_add_nc_u32_e32 v63, v63, v71
	global_store_b8 v63, v62, s[38:39]
	s_wait_xcnt 0x0
	s_or_b32 exec_lo, exec_lo, s22
	v_cmp_lt_u32_e64 s22, v72, v137
	s_and_saveexec_b32 s23, s22
	s_cbranch_execz .LBB317_806
.LBB317_878:                            ;   in Loop: Header=BB317_730 Depth=2
	ds_load_u8 v62, v2 offset:2048
	s_wait_dscnt 0x0
	v_and_b32_e32 v63, 0xff, v62
	v_xor_b32_e32 v62, 0x7f, v62
	s_delay_alu instid0(VALU_DEP_2) | instskip(NEXT) | instid1(VALU_DEP_1)
	v_lshrrev_b32_e32 v63, s49, v63
	v_and_b32_e32 v63, s58, v63
	s_delay_alu instid0(VALU_DEP_1)
	v_lshlrev_b32_e32 v63, 2, v63
	ds_load_b32 v63, v63
	s_wait_dscnt 0x0
	v_add_nc_u32_e32 v63, v63, v72
	global_store_b8 v63, v62, s[38:39]
	s_wait_xcnt 0x0
	s_or_b32 exec_lo, exec_lo, s23
	v_cmp_lt_u32_e64 s23, v73, v137
	s_and_saveexec_b32 s24, s23
	s_cbranch_execz .LBB317_807
.LBB317_879:                            ;   in Loop: Header=BB317_730 Depth=2
	ds_load_u8 v62, v2 offset:2304
	s_wait_dscnt 0x0
	v_and_b32_e32 v63, 0xff, v62
	v_xor_b32_e32 v62, 0x7f, v62
	s_delay_alu instid0(VALU_DEP_2) | instskip(NEXT) | instid1(VALU_DEP_1)
	v_lshrrev_b32_e32 v63, s49, v63
	v_and_b32_e32 v63, s58, v63
	s_delay_alu instid0(VALU_DEP_1)
	v_lshlrev_b32_e32 v63, 2, v63
	ds_load_b32 v63, v63
	s_wait_dscnt 0x0
	v_add_nc_u32_e32 v63, v63, v73
	global_store_b8 v63, v62, s[38:39]
	s_wait_xcnt 0x0
	s_or_b32 exec_lo, exec_lo, s24
	v_cmp_lt_u32_e64 s24, v74, v137
	s_and_saveexec_b32 s25, s24
	s_cbranch_execz .LBB317_808
.LBB317_880:                            ;   in Loop: Header=BB317_730 Depth=2
	ds_load_u8 v62, v2 offset:2560
	s_wait_dscnt 0x0
	v_and_b32_e32 v63, 0xff, v62
	v_xor_b32_e32 v62, 0x7f, v62
	s_delay_alu instid0(VALU_DEP_2) | instskip(NEXT) | instid1(VALU_DEP_1)
	v_lshrrev_b32_e32 v63, s49, v63
	v_and_b32_e32 v63, s58, v63
	s_delay_alu instid0(VALU_DEP_1)
	v_lshlrev_b32_e32 v63, 2, v63
	ds_load_b32 v63, v63
	s_wait_dscnt 0x0
	v_add_nc_u32_e32 v63, v63, v74
	global_store_b8 v63, v62, s[38:39]
	s_wait_xcnt 0x0
	s_or_b32 exec_lo, exec_lo, s25
	v_cmp_lt_u32_e64 s25, v75, v137
	s_and_saveexec_b32 s26, s25
	s_cbranch_execz .LBB317_809
.LBB317_881:                            ;   in Loop: Header=BB317_730 Depth=2
	ds_load_u8 v62, v2 offset:2816
	s_wait_dscnt 0x0
	v_and_b32_e32 v63, 0xff, v62
	v_xor_b32_e32 v62, 0x7f, v62
	s_delay_alu instid0(VALU_DEP_2) | instskip(NEXT) | instid1(VALU_DEP_1)
	v_lshrrev_b32_e32 v63, s49, v63
	v_and_b32_e32 v63, s58, v63
	s_delay_alu instid0(VALU_DEP_1)
	v_lshlrev_b32_e32 v63, 2, v63
	ds_load_b32 v63, v63
	s_wait_dscnt 0x0
	v_add_nc_u32_e32 v63, v63, v75
	global_store_b8 v63, v62, s[38:39]
	s_wait_xcnt 0x0
	s_or_b32 exec_lo, exec_lo, s26
	v_cmp_lt_u32_e64 s26, v76, v137
	s_and_saveexec_b32 s27, s26
	s_cbranch_execz .LBB317_810
.LBB317_882:                            ;   in Loop: Header=BB317_730 Depth=2
	ds_load_u8 v62, v2 offset:3072
	s_wait_dscnt 0x0
	v_and_b32_e32 v63, 0xff, v62
	v_xor_b32_e32 v62, 0x7f, v62
	s_delay_alu instid0(VALU_DEP_2) | instskip(NEXT) | instid1(VALU_DEP_1)
	v_lshrrev_b32_e32 v63, s49, v63
	v_and_b32_e32 v63, s58, v63
	s_delay_alu instid0(VALU_DEP_1)
	v_lshlrev_b32_e32 v63, 2, v63
	ds_load_b32 v63, v63
	s_wait_dscnt 0x0
	v_add_nc_u32_e32 v63, v63, v76
	global_store_b8 v63, v62, s[38:39]
	s_wait_xcnt 0x0
	s_or_b32 exec_lo, exec_lo, s27
	v_cmp_lt_u32_e64 s27, v77, v137
	s_and_saveexec_b32 s28, s27
	s_cbranch_execz .LBB317_811
.LBB317_883:                            ;   in Loop: Header=BB317_730 Depth=2
	ds_load_u8 v62, v2 offset:3328
	s_wait_dscnt 0x0
	v_and_b32_e32 v63, 0xff, v62
	v_xor_b32_e32 v62, 0x7f, v62
	s_delay_alu instid0(VALU_DEP_2) | instskip(NEXT) | instid1(VALU_DEP_1)
	v_lshrrev_b32_e32 v63, s49, v63
	v_and_b32_e32 v63, s58, v63
	s_delay_alu instid0(VALU_DEP_1)
	v_lshlrev_b32_e32 v63, 2, v63
	ds_load_b32 v63, v63
	s_wait_dscnt 0x0
	v_add_nc_u32_e32 v63, v63, v77
	global_store_b8 v63, v62, s[38:39]
	s_wait_xcnt 0x0
	s_or_b32 exec_lo, exec_lo, s28
	v_cmp_lt_u32_e64 s28, v78, v137
	s_and_saveexec_b32 s29, s28
	s_cbranch_execz .LBB317_812
.LBB317_884:                            ;   in Loop: Header=BB317_730 Depth=2
	ds_load_u8 v62, v2 offset:3584
	s_wait_dscnt 0x0
	v_and_b32_e32 v63, 0xff, v62
	v_xor_b32_e32 v62, 0x7f, v62
	s_delay_alu instid0(VALU_DEP_2) | instskip(NEXT) | instid1(VALU_DEP_1)
	v_lshrrev_b32_e32 v63, s49, v63
	v_and_b32_e32 v63, s58, v63
	s_delay_alu instid0(VALU_DEP_1)
	v_lshlrev_b32_e32 v63, 2, v63
	ds_load_b32 v63, v63
	s_wait_dscnt 0x0
	v_add_nc_u32_e32 v63, v63, v78
	global_store_b8 v63, v62, s[38:39]
	s_wait_xcnt 0x0
	s_or_b32 exec_lo, exec_lo, s29
	v_cmp_lt_u32_e64 s29, v79, v137
	s_and_saveexec_b32 s30, s29
	s_cbranch_execz .LBB317_813
.LBB317_885:                            ;   in Loop: Header=BB317_730 Depth=2
	ds_load_u8 v62, v2 offset:3840
	s_wait_dscnt 0x0
	v_and_b32_e32 v63, 0xff, v62
	v_xor_b32_e32 v62, 0x7f, v62
	s_delay_alu instid0(VALU_DEP_2) | instskip(NEXT) | instid1(VALU_DEP_1)
	v_lshrrev_b32_e32 v63, s49, v63
	v_and_b32_e32 v63, s58, v63
	s_delay_alu instid0(VALU_DEP_1)
	v_lshlrev_b32_e32 v63, 2, v63
	ds_load_b32 v63, v63
	s_wait_dscnt 0x0
	v_add_nc_u32_e32 v63, v63, v79
	global_store_b8 v63, v62, s[38:39]
	s_wait_xcnt 0x0
	s_or_b32 exec_lo, exec_lo, s30
	v_cmp_lt_u32_e64 s30, v80, v137
	s_and_saveexec_b32 s31, s30
	s_cbranch_execz .LBB317_814
.LBB317_886:                            ;   in Loop: Header=BB317_730 Depth=2
	ds_load_u8 v62, v2 offset:4096
	s_wait_dscnt 0x0
	v_and_b32_e32 v63, 0xff, v62
	v_xor_b32_e32 v62, 0x7f, v62
	s_delay_alu instid0(VALU_DEP_2) | instskip(NEXT) | instid1(VALU_DEP_1)
	v_lshrrev_b32_e32 v63, s49, v63
	v_and_b32_e32 v63, s58, v63
	s_delay_alu instid0(VALU_DEP_1)
	v_lshlrev_b32_e32 v63, 2, v63
	ds_load_b32 v63, v63
	s_wait_dscnt 0x0
	v_add_nc_u32_e32 v63, v63, v80
	global_store_b8 v63, v62, s[38:39]
	s_wait_xcnt 0x0
	s_or_b32 exec_lo, exec_lo, s31
	v_cmp_lt_u32_e64 s31, v81, v137
	s_and_saveexec_b32 s33, s31
	s_cbranch_execz .LBB317_815
.LBB317_887:                            ;   in Loop: Header=BB317_730 Depth=2
	ds_load_u8 v62, v2 offset:4352
	s_wait_dscnt 0x0
	v_and_b32_e32 v63, 0xff, v62
	v_xor_b32_e32 v62, 0x7f, v62
	s_delay_alu instid0(VALU_DEP_2) | instskip(NEXT) | instid1(VALU_DEP_1)
	v_lshrrev_b32_e32 v63, s49, v63
	v_and_b32_e32 v63, s58, v63
	s_delay_alu instid0(VALU_DEP_1)
	v_lshlrev_b32_e32 v63, 2, v63
	ds_load_b32 v63, v63
	s_wait_dscnt 0x0
	v_add_nc_u32_e32 v63, v63, v81
	global_store_b8 v63, v62, s[38:39]
	s_wait_xcnt 0x0
	s_or_b32 exec_lo, exec_lo, s33
	v_cmp_lt_u32_e64 s33, v82, v137
	s_and_saveexec_b32 s61, s33
	s_cbranch_execnz .LBB317_816
	s_branch .LBB317_817
.LBB317_888:                            ;   in Loop: Header=BB317_730 Depth=2
	global_load_b64 v[60:61], v[62:63], off
	s_wait_xcnt 0x0
	s_or_b32 exec_lo, exec_lo, s34
	s_delay_alu instid0(SALU_CYCLE_1)
	s_mov_b32 s61, exec_lo
	v_cmpx_lt_u32_e64 v98, v137
	s_cbranch_execz .LBB317_819
.LBB317_889:                            ;   in Loop: Header=BB317_730 Depth=2
	global_load_b64 v[58:59], v[62:63], off offset:256
	s_wait_xcnt 0x0
	s_or_b32 exec_lo, exec_lo, s61
	s_delay_alu instid0(SALU_CYCLE_1)
	s_mov_b32 s61, exec_lo
	v_cmpx_lt_u32_e64 v99, v137
	s_cbranch_execz .LBB317_820
.LBB317_890:                            ;   in Loop: Header=BB317_730 Depth=2
	global_load_b64 v[56:57], v[62:63], off offset:512
	s_wait_xcnt 0x0
	s_or_b32 exec_lo, exec_lo, s61
	s_delay_alu instid0(SALU_CYCLE_1)
	s_mov_b32 s61, exec_lo
	v_cmpx_lt_u32_e64 v100, v137
	s_cbranch_execz .LBB317_821
.LBB317_891:                            ;   in Loop: Header=BB317_730 Depth=2
	global_load_b64 v[54:55], v[62:63], off offset:768
	s_wait_xcnt 0x0
	s_or_b32 exec_lo, exec_lo, s61
	s_delay_alu instid0(SALU_CYCLE_1)
	s_mov_b32 s61, exec_lo
	v_cmpx_lt_u32_e64 v101, v137
	s_cbranch_execz .LBB317_822
.LBB317_892:                            ;   in Loop: Header=BB317_730 Depth=2
	global_load_b64 v[52:53], v[62:63], off offset:1024
	s_wait_xcnt 0x0
	s_or_b32 exec_lo, exec_lo, s61
	s_delay_alu instid0(SALU_CYCLE_1)
	s_mov_b32 s61, exec_lo
	v_cmpx_lt_u32_e64 v102, v137
	s_cbranch_execz .LBB317_823
.LBB317_893:                            ;   in Loop: Header=BB317_730 Depth=2
	global_load_b64 v[50:51], v[62:63], off offset:1280
	s_wait_xcnt 0x0
	s_or_b32 exec_lo, exec_lo, s61
	s_delay_alu instid0(SALU_CYCLE_1)
	s_mov_b32 s61, exec_lo
	v_cmpx_lt_u32_e64 v103, v137
	s_cbranch_execz .LBB317_824
.LBB317_894:                            ;   in Loop: Header=BB317_730 Depth=2
	global_load_b64 v[48:49], v[62:63], off offset:1536
	s_wait_xcnt 0x0
	s_or_b32 exec_lo, exec_lo, s61
	s_delay_alu instid0(SALU_CYCLE_1)
	s_mov_b32 s61, exec_lo
	v_cmpx_lt_u32_e64 v104, v137
	s_cbranch_execz .LBB317_825
.LBB317_895:                            ;   in Loop: Header=BB317_730 Depth=2
	global_load_b64 v[46:47], v[62:63], off offset:1792
	s_wait_xcnt 0x0
	s_or_b32 exec_lo, exec_lo, s61
	s_delay_alu instid0(SALU_CYCLE_1)
	s_mov_b32 s61, exec_lo
	v_cmpx_lt_u32_e64 v105, v137
	s_cbranch_execz .LBB317_826
.LBB317_896:                            ;   in Loop: Header=BB317_730 Depth=2
	global_load_b64 v[44:45], v[62:63], off offset:2048
	s_wait_xcnt 0x0
	s_or_b32 exec_lo, exec_lo, s61
	s_delay_alu instid0(SALU_CYCLE_1)
	s_mov_b32 s61, exec_lo
	v_cmpx_lt_u32_e64 v106, v137
	s_cbranch_execz .LBB317_827
.LBB317_897:                            ;   in Loop: Header=BB317_730 Depth=2
	global_load_b64 v[42:43], v[62:63], off offset:2304
	s_wait_xcnt 0x0
	s_or_b32 exec_lo, exec_lo, s61
	s_delay_alu instid0(SALU_CYCLE_1)
	s_mov_b32 s61, exec_lo
	v_cmpx_lt_u32_e64 v107, v137
	s_cbranch_execz .LBB317_828
.LBB317_898:                            ;   in Loop: Header=BB317_730 Depth=2
	global_load_b64 v[40:41], v[62:63], off offset:2560
	s_wait_xcnt 0x0
	s_or_b32 exec_lo, exec_lo, s61
	s_delay_alu instid0(SALU_CYCLE_1)
	s_mov_b32 s61, exec_lo
	v_cmpx_lt_u32_e64 v108, v137
	s_cbranch_execz .LBB317_829
.LBB317_899:                            ;   in Loop: Header=BB317_730 Depth=2
	global_load_b64 v[38:39], v[62:63], off offset:2816
	s_wait_xcnt 0x0
	s_or_b32 exec_lo, exec_lo, s61
	s_delay_alu instid0(SALU_CYCLE_1)
	s_mov_b32 s61, exec_lo
	v_cmpx_lt_u32_e64 v109, v137
	s_cbranch_execz .LBB317_830
.LBB317_900:                            ;   in Loop: Header=BB317_730 Depth=2
	global_load_b64 v[36:37], v[62:63], off offset:3072
	s_wait_xcnt 0x0
	s_or_b32 exec_lo, exec_lo, s61
	s_delay_alu instid0(SALU_CYCLE_1)
	s_mov_b32 s61, exec_lo
	v_cmpx_lt_u32_e64 v110, v137
	s_cbranch_execz .LBB317_831
.LBB317_901:                            ;   in Loop: Header=BB317_730 Depth=2
	global_load_b64 v[34:35], v[62:63], off offset:3328
	s_wait_xcnt 0x0
	s_or_b32 exec_lo, exec_lo, s61
	s_delay_alu instid0(SALU_CYCLE_1)
	s_mov_b32 s61, exec_lo
	v_cmpx_lt_u32_e64 v111, v137
	s_cbranch_execz .LBB317_832
.LBB317_902:                            ;   in Loop: Header=BB317_730 Depth=2
	global_load_b64 v[32:33], v[62:63], off offset:3584
	s_wait_xcnt 0x0
	s_or_b32 exec_lo, exec_lo, s61
	s_delay_alu instid0(SALU_CYCLE_1)
	s_mov_b32 s61, exec_lo
	v_cmpx_lt_u32_e64 v112, v137
	s_cbranch_execz .LBB317_833
.LBB317_903:                            ;   in Loop: Header=BB317_730 Depth=2
	global_load_b64 v[30:31], v[62:63], off offset:3840
	s_wait_xcnt 0x0
	s_or_b32 exec_lo, exec_lo, s61
	s_delay_alu instid0(SALU_CYCLE_1)
	s_mov_b32 s61, exec_lo
	v_cmpx_lt_u32_e64 v113, v137
	s_cbranch_execz .LBB317_834
.LBB317_904:                            ;   in Loop: Header=BB317_730 Depth=2
	global_load_b64 v[28:29], v[62:63], off offset:4096
	s_wait_xcnt 0x0
	s_or_b32 exec_lo, exec_lo, s61
	s_and_saveexec_b32 s34, vcc_lo
	s_cbranch_execz .LBB317_835
.LBB317_905:                            ;   in Loop: Header=BB317_730 Depth=2
	ds_load_u8 v62, v2 offset:512
	s_wait_dscnt 0x0
	v_lshrrev_b32_e32 v62, s49, v62
	s_delay_alu instid0(VALU_DEP_1)
	v_and_b32_e32 v132, s58, v62
	s_or_b32 exec_lo, exec_lo, s34
	s_and_saveexec_b32 s34, s17
	s_cbranch_execz .LBB317_836
.LBB317_906:                            ;   in Loop: Header=BB317_730 Depth=2
	ds_load_u8 v62, v2 offset:768
	s_wait_dscnt 0x0
	v_lshrrev_b32_e32 v62, s49, v62
	s_delay_alu instid0(VALU_DEP_1)
	v_and_b32_e32 v131, s58, v62
	s_or_b32 exec_lo, exec_lo, s34
	s_and_saveexec_b32 s34, s18
	s_cbranch_execz .LBB317_837
.LBB317_907:                            ;   in Loop: Header=BB317_730 Depth=2
	ds_load_u8 v62, v2 offset:1024
	s_wait_dscnt 0x0
	v_lshrrev_b32_e32 v62, s49, v62
	s_delay_alu instid0(VALU_DEP_1)
	v_and_b32_e32 v130, s58, v62
	s_or_b32 exec_lo, exec_lo, s34
	s_and_saveexec_b32 s34, s19
	s_cbranch_execz .LBB317_838
.LBB317_908:                            ;   in Loop: Header=BB317_730 Depth=2
	ds_load_u8 v62, v2 offset:1280
	s_wait_dscnt 0x0
	v_lshrrev_b32_e32 v62, s49, v62
	s_delay_alu instid0(VALU_DEP_1)
	v_and_b32_e32 v129, s58, v62
	s_or_b32 exec_lo, exec_lo, s34
	s_and_saveexec_b32 s34, s20
	s_cbranch_execz .LBB317_839
.LBB317_909:                            ;   in Loop: Header=BB317_730 Depth=2
	ds_load_u8 v62, v2 offset:1536
	s_wait_dscnt 0x0
	v_lshrrev_b32_e32 v62, s49, v62
	s_delay_alu instid0(VALU_DEP_1)
	v_and_b32_e32 v128, s58, v62
	s_or_b32 exec_lo, exec_lo, s34
	s_and_saveexec_b32 s34, s21
	s_cbranch_execz .LBB317_840
.LBB317_910:                            ;   in Loop: Header=BB317_730 Depth=2
	ds_load_u8 v62, v2 offset:1792
	s_wait_dscnt 0x0
	v_lshrrev_b32_e32 v62, s49, v62
	s_delay_alu instid0(VALU_DEP_1)
	v_and_b32_e32 v127, s58, v62
	s_or_b32 exec_lo, exec_lo, s34
	s_and_saveexec_b32 s34, s22
	s_cbranch_execz .LBB317_841
.LBB317_911:                            ;   in Loop: Header=BB317_730 Depth=2
	ds_load_u8 v62, v2 offset:2048
	s_wait_dscnt 0x0
	v_lshrrev_b32_e32 v62, s49, v62
	s_delay_alu instid0(VALU_DEP_1)
	v_and_b32_e32 v126, s58, v62
	s_or_b32 exec_lo, exec_lo, s34
	s_and_saveexec_b32 s34, s23
	s_cbranch_execz .LBB317_842
.LBB317_912:                            ;   in Loop: Header=BB317_730 Depth=2
	ds_load_u8 v62, v2 offset:2304
	s_wait_dscnt 0x0
	v_lshrrev_b32_e32 v62, s49, v62
	s_delay_alu instid0(VALU_DEP_1)
	v_and_b32_e32 v125, s58, v62
	s_or_b32 exec_lo, exec_lo, s34
	s_and_saveexec_b32 s34, s24
	s_cbranch_execz .LBB317_843
.LBB317_913:                            ;   in Loop: Header=BB317_730 Depth=2
	ds_load_u8 v62, v2 offset:2560
	s_wait_dscnt 0x0
	v_lshrrev_b32_e32 v62, s49, v62
	s_delay_alu instid0(VALU_DEP_1)
	v_and_b32_e32 v124, s58, v62
	s_or_b32 exec_lo, exec_lo, s34
	s_and_saveexec_b32 s34, s25
	s_cbranch_execz .LBB317_844
.LBB317_914:                            ;   in Loop: Header=BB317_730 Depth=2
	ds_load_u8 v62, v2 offset:2816
	s_wait_dscnt 0x0
	v_lshrrev_b32_e32 v62, s49, v62
	s_delay_alu instid0(VALU_DEP_1)
	v_and_b32_e32 v123, s58, v62
	s_or_b32 exec_lo, exec_lo, s34
	s_and_saveexec_b32 s34, s26
	s_cbranch_execz .LBB317_845
.LBB317_915:                            ;   in Loop: Header=BB317_730 Depth=2
	ds_load_u8 v62, v2 offset:3072
	s_wait_dscnt 0x0
	v_lshrrev_b32_e32 v62, s49, v62
	s_delay_alu instid0(VALU_DEP_1)
	v_and_b32_e32 v122, s58, v62
	s_or_b32 exec_lo, exec_lo, s34
	s_and_saveexec_b32 s34, s27
	s_cbranch_execz .LBB317_846
.LBB317_916:                            ;   in Loop: Header=BB317_730 Depth=2
	ds_load_u8 v62, v2 offset:3328
	s_wait_dscnt 0x0
	v_lshrrev_b32_e32 v62, s49, v62
	s_delay_alu instid0(VALU_DEP_1)
	v_and_b32_e32 v121, s58, v62
	s_or_b32 exec_lo, exec_lo, s34
	s_and_saveexec_b32 s34, s28
	s_cbranch_execz .LBB317_847
.LBB317_917:                            ;   in Loop: Header=BB317_730 Depth=2
	ds_load_u8 v62, v2 offset:3584
	s_wait_dscnt 0x0
	v_lshrrev_b32_e32 v62, s49, v62
	s_delay_alu instid0(VALU_DEP_1)
	v_and_b32_e32 v120, s58, v62
	s_or_b32 exec_lo, exec_lo, s34
	s_and_saveexec_b32 s34, s29
	s_cbranch_execz .LBB317_848
.LBB317_918:                            ;   in Loop: Header=BB317_730 Depth=2
	ds_load_u8 v62, v2 offset:3840
	s_wait_dscnt 0x0
	v_lshrrev_b32_e32 v62, s49, v62
	s_delay_alu instid0(VALU_DEP_1)
	v_and_b32_e32 v119, s58, v62
	s_or_b32 exec_lo, exec_lo, s34
	s_and_saveexec_b32 s34, s30
	s_cbranch_execz .LBB317_849
.LBB317_919:                            ;   in Loop: Header=BB317_730 Depth=2
	ds_load_u8 v62, v2 offset:4096
	s_wait_dscnt 0x0
	v_lshrrev_b32_e32 v62, s49, v62
	s_delay_alu instid0(VALU_DEP_1)
	v_and_b32_e32 v118, s58, v62
	s_or_b32 exec_lo, exec_lo, s34
	s_and_saveexec_b32 s34, s31
	s_cbranch_execz .LBB317_850
.LBB317_920:                            ;   in Loop: Header=BB317_730 Depth=2
	ds_load_u8 v62, v2 offset:4352
	s_wait_dscnt 0x0
	v_lshrrev_b32_e32 v62, s49, v62
	s_delay_alu instid0(VALU_DEP_1)
	v_and_b32_e32 v117, s58, v62
	s_or_b32 exec_lo, exec_lo, s34
	s_and_saveexec_b32 s34, s33
	s_cbranch_execnz .LBB317_851
	s_branch .LBB317_852
.LBB317_921:                            ;   in Loop: Header=BB317_730 Depth=2
	v_dual_lshlrev_b32 v62, 2, v132 :: v_dual_add_nc_u32 v63, v2, v95
	ds_load_b32 v64, v62
	ds_load_b64 v[62:63], v63 offset:512
	s_wait_dscnt 0x1
	v_add_nc_u32_e32 v64, v64, v2
	s_wait_dscnt 0x0
	global_store_b64 v64, v[62:63], s[44:45] scale_offset
	s_wait_xcnt 0x0
	s_or_b32 exec_lo, exec_lo, s34
	s_and_saveexec_b32 s34, s17
	s_cbranch_execz .LBB317_854
.LBB317_922:                            ;   in Loop: Header=BB317_730 Depth=2
	v_lshlrev_b32_e32 v62, 2, v131
	v_add_nc_u32_e32 v63, v2, v95
	ds_load_b32 v64, v62
	ds_load_b64 v[62:63], v63 offset:2560
	s_wait_dscnt 0x1
	v_add_nc_u32_e32 v64, v64, v67
	s_wait_dscnt 0x0
	global_store_b64 v64, v[62:63], s[44:45] scale_offset
	s_wait_xcnt 0x0
	s_or_b32 exec_lo, exec_lo, s34
	s_and_saveexec_b32 s17, s18
	s_cbranch_execz .LBB317_855
.LBB317_923:                            ;   in Loop: Header=BB317_730 Depth=2
	v_dual_lshlrev_b32 v62, 2, v130 :: v_dual_add_nc_u32 v63, v2, v95
	ds_load_b32 v64, v62
	ds_load_b64 v[62:63], v63 offset:4608
	s_wait_dscnt 0x1
	v_add_nc_u32_e32 v64, v64, v68
	s_wait_dscnt 0x0
	global_store_b64 v64, v[62:63], s[44:45] scale_offset
	s_wait_xcnt 0x0
	s_or_b32 exec_lo, exec_lo, s17
	s_and_saveexec_b32 s17, s19
	s_cbranch_execz .LBB317_856
.LBB317_924:                            ;   in Loop: Header=BB317_730 Depth=2
	v_dual_lshlrev_b32 v62, 2, v129 :: v_dual_add_nc_u32 v63, v2, v95
	ds_load_b32 v64, v62
	ds_load_b64 v[62:63], v63 offset:6656
	s_wait_dscnt 0x1
	v_add_nc_u32_e32 v64, v64, v69
	s_wait_dscnt 0x0
	global_store_b64 v64, v[62:63], s[44:45] scale_offset
	s_wait_xcnt 0x0
	s_or_b32 exec_lo, exec_lo, s17
	s_and_saveexec_b32 s17, s20
	s_cbranch_execz .LBB317_857
.LBB317_925:                            ;   in Loop: Header=BB317_730 Depth=2
	v_dual_lshlrev_b32 v62, 2, v128 :: v_dual_add_nc_u32 v63, v2, v95
	ds_load_b32 v64, v62
	ds_load_b64 v[62:63], v63 offset:8704
	s_wait_dscnt 0x1
	v_add_nc_u32_e32 v64, v64, v70
	s_wait_dscnt 0x0
	global_store_b64 v64, v[62:63], s[44:45] scale_offset
	s_wait_xcnt 0x0
	s_or_b32 exec_lo, exec_lo, s17
	s_and_saveexec_b32 s17, s21
	s_cbranch_execz .LBB317_858
.LBB317_926:                            ;   in Loop: Header=BB317_730 Depth=2
	v_lshlrev_b32_e32 v62, 2, v127
	v_add_nc_u32_e32 v63, v2, v95
	ds_load_b32 v64, v62
	ds_load_b64 v[62:63], v63 offset:10752
	s_wait_dscnt 0x1
	v_add_nc_u32_e32 v64, v64, v71
	s_wait_dscnt 0x0
	global_store_b64 v64, v[62:63], s[44:45] scale_offset
	s_wait_xcnt 0x0
	s_or_b32 exec_lo, exec_lo, s17
	s_and_saveexec_b32 s17, s22
	s_cbranch_execz .LBB317_859
.LBB317_927:                            ;   in Loop: Header=BB317_730 Depth=2
	v_dual_lshlrev_b32 v62, 2, v126 :: v_dual_add_nc_u32 v63, v2, v95
	ds_load_b32 v64, v62
	ds_load_b64 v[62:63], v63 offset:12800
	s_wait_dscnt 0x1
	v_add_nc_u32_e32 v64, v64, v72
	s_wait_dscnt 0x0
	global_store_b64 v64, v[62:63], s[44:45] scale_offset
	s_wait_xcnt 0x0
	s_or_b32 exec_lo, exec_lo, s17
	s_and_saveexec_b32 s17, s23
	s_cbranch_execz .LBB317_860
.LBB317_928:                            ;   in Loop: Header=BB317_730 Depth=2
	v_dual_lshlrev_b32 v62, 2, v125 :: v_dual_add_nc_u32 v63, v2, v95
	ds_load_b32 v64, v62
	ds_load_b64 v[62:63], v63 offset:14848
	s_wait_dscnt 0x1
	v_add_nc_u32_e32 v64, v64, v73
	s_wait_dscnt 0x0
	global_store_b64 v64, v[62:63], s[44:45] scale_offset
	s_wait_xcnt 0x0
	s_or_b32 exec_lo, exec_lo, s17
	s_and_saveexec_b32 s17, s24
	s_cbranch_execz .LBB317_861
.LBB317_929:                            ;   in Loop: Header=BB317_730 Depth=2
	v_dual_lshlrev_b32 v62, 2, v124 :: v_dual_add_nc_u32 v63, v2, v95
	ds_load_b32 v64, v62
	ds_load_b64 v[62:63], v63 offset:16896
	s_wait_dscnt 0x1
	v_add_nc_u32_e32 v64, v64, v74
	s_wait_dscnt 0x0
	global_store_b64 v64, v[62:63], s[44:45] scale_offset
	s_wait_xcnt 0x0
	s_or_b32 exec_lo, exec_lo, s17
	s_and_saveexec_b32 s17, s25
	s_cbranch_execz .LBB317_862
.LBB317_930:                            ;   in Loop: Header=BB317_730 Depth=2
	v_lshlrev_b32_e32 v62, 2, v123
	v_add_nc_u32_e32 v63, v2, v95
	ds_load_b32 v64, v62
	ds_load_b64 v[62:63], v63 offset:18944
	s_wait_dscnt 0x1
	v_add_nc_u32_e32 v64, v64, v75
	s_wait_dscnt 0x0
	global_store_b64 v64, v[62:63], s[44:45] scale_offset
	s_wait_xcnt 0x0
	s_or_b32 exec_lo, exec_lo, s17
	s_and_saveexec_b32 s17, s26
	s_cbranch_execz .LBB317_863
.LBB317_931:                            ;   in Loop: Header=BB317_730 Depth=2
	v_dual_lshlrev_b32 v62, 2, v122 :: v_dual_add_nc_u32 v63, v2, v95
	ds_load_b32 v64, v62
	ds_load_b64 v[62:63], v63 offset:20992
	s_wait_dscnt 0x1
	v_add_nc_u32_e32 v64, v64, v76
	s_wait_dscnt 0x0
	global_store_b64 v64, v[62:63], s[44:45] scale_offset
	s_wait_xcnt 0x0
	s_or_b32 exec_lo, exec_lo, s17
	s_and_saveexec_b32 s17, s27
	s_cbranch_execz .LBB317_864
.LBB317_932:                            ;   in Loop: Header=BB317_730 Depth=2
	v_dual_lshlrev_b32 v62, 2, v121 :: v_dual_add_nc_u32 v63, v2, v95
	ds_load_b32 v64, v62
	ds_load_b64 v[62:63], v63 offset:23040
	s_wait_dscnt 0x1
	v_add_nc_u32_e32 v64, v64, v77
	s_wait_dscnt 0x0
	global_store_b64 v64, v[62:63], s[44:45] scale_offset
	s_wait_xcnt 0x0
	s_or_b32 exec_lo, exec_lo, s17
	s_and_saveexec_b32 s17, s28
	s_cbranch_execz .LBB317_865
.LBB317_933:                            ;   in Loop: Header=BB317_730 Depth=2
	v_dual_lshlrev_b32 v62, 2, v120 :: v_dual_add_nc_u32 v63, v2, v95
	ds_load_b32 v64, v62
	ds_load_b64 v[62:63], v63 offset:25088
	s_wait_dscnt 0x1
	v_add_nc_u32_e32 v64, v64, v78
	s_wait_dscnt 0x0
	global_store_b64 v64, v[62:63], s[44:45] scale_offset
	s_wait_xcnt 0x0
	s_or_b32 exec_lo, exec_lo, s17
	s_and_saveexec_b32 s17, s29
	s_cbranch_execz .LBB317_866
.LBB317_934:                            ;   in Loop: Header=BB317_730 Depth=2
	v_lshlrev_b32_e32 v62, 2, v119
	v_add_nc_u32_e32 v63, v2, v95
	ds_load_b32 v64, v62
	ds_load_b64 v[62:63], v63 offset:27136
	s_wait_dscnt 0x1
	v_add_nc_u32_e32 v64, v64, v79
	s_wait_dscnt 0x0
	global_store_b64 v64, v[62:63], s[44:45] scale_offset
	s_wait_xcnt 0x0
	s_or_b32 exec_lo, exec_lo, s17
	s_and_saveexec_b32 s17, s30
	s_cbranch_execz .LBB317_867
.LBB317_935:                            ;   in Loop: Header=BB317_730 Depth=2
	v_dual_lshlrev_b32 v62, 2, v118 :: v_dual_add_nc_u32 v63, v2, v95
	ds_load_b32 v64, v62
	ds_load_b64 v[62:63], v63 offset:29184
	s_wait_dscnt 0x1
	v_add_nc_u32_e32 v64, v64, v80
	s_wait_dscnt 0x0
	global_store_b64 v64, v[62:63], s[44:45] scale_offset
	s_wait_xcnt 0x0
	s_or_b32 exec_lo, exec_lo, s17
	s_and_saveexec_b32 s17, s31
	s_cbranch_execz .LBB317_868
.LBB317_936:                            ;   in Loop: Header=BB317_730 Depth=2
	v_dual_lshlrev_b32 v62, 2, v117 :: v_dual_add_nc_u32 v63, v2, v95
	ds_load_b32 v64, v62
	ds_load_b64 v[62:63], v63 offset:31232
	s_wait_dscnt 0x1
	v_add_nc_u32_e32 v64, v64, v81
	s_wait_dscnt 0x0
	global_store_b64 v64, v[62:63], s[44:45] scale_offset
	s_wait_xcnt 0x0
	s_or_b32 exec_lo, exec_lo, s17
	s_and_saveexec_b32 s17, s33
	s_cbranch_execnz .LBB317_869
	s_branch .LBB317_870
.LBB317_937:                            ;   in Loop: Header=BB317_730 Depth=2
	global_load_u8 v147, v[62:63], off
	v_dual_mov_b32 v115, 0x80 :: v_dual_mov_b32 v150, 0x80
	v_dual_mov_b32 v148, 0x80 :: v_dual_mov_b32 v151, 0x80
	;; [unrolled: 1-line block ×8, first 2 shown]
	s_wait_xcnt 0x0
	s_or_b32 exec_lo, exec_lo, s17
	s_delay_alu instid0(SALU_CYCLE_1)
	s_mov_b32 s17, exec_lo
	v_cmpx_gt_u32_e64 s59, v98
	s_cbranch_execz .LBB317_735
.LBB317_938:                            ;   in Loop: Header=BB317_730 Depth=2
	global_load_u8 v150, v[62:63], off offset:32
	s_wait_xcnt 0x0
	s_or_b32 exec_lo, exec_lo, s17
	s_delay_alu instid0(SALU_CYCLE_1)
	s_mov_b32 s17, exec_lo
	v_cmpx_gt_u32_e64 s59, v99
	s_cbranch_execz .LBB317_736
.LBB317_939:                            ;   in Loop: Header=BB317_730 Depth=2
	global_load_u8 v148, v[62:63], off offset:64
	s_wait_xcnt 0x0
	s_or_b32 exec_lo, exec_lo, s17
	s_delay_alu instid0(SALU_CYCLE_1)
	s_mov_b32 s17, exec_lo
	v_cmpx_gt_u32_e64 s59, v100
	s_cbranch_execz .LBB317_737
.LBB317_940:                            ;   in Loop: Header=BB317_730 Depth=2
	global_load_u8 v151, v[62:63], off offset:96
	s_wait_xcnt 0x0
	s_or_b32 exec_lo, exec_lo, s17
	s_delay_alu instid0(SALU_CYCLE_1)
	s_mov_b32 s17, exec_lo
	v_cmpx_gt_u32_e64 s59, v101
	s_cbranch_execz .LBB317_738
.LBB317_941:                            ;   in Loop: Header=BB317_730 Depth=2
	global_load_u8 v142, v[62:63], off offset:128
	s_wait_xcnt 0x0
	s_or_b32 exec_lo, exec_lo, s17
	s_delay_alu instid0(SALU_CYCLE_1)
	s_mov_b32 s17, exec_lo
	v_cmpx_gt_u32_e64 s59, v102
	s_cbranch_execz .LBB317_739
.LBB317_942:                            ;   in Loop: Header=BB317_730 Depth=2
	global_load_u8 v145, v[62:63], off offset:160
	s_wait_xcnt 0x0
	s_or_b32 exec_lo, exec_lo, s17
	s_delay_alu instid0(SALU_CYCLE_1)
	s_mov_b32 s17, exec_lo
	v_cmpx_gt_u32_e64 s59, v103
	s_cbranch_execz .LBB317_740
.LBB317_943:                            ;   in Loop: Header=BB317_730 Depth=2
	global_load_u8 v143, v[62:63], off offset:192
	s_wait_xcnt 0x0
	s_or_b32 exec_lo, exec_lo, s17
	s_delay_alu instid0(SALU_CYCLE_1)
	s_mov_b32 s17, exec_lo
	v_cmpx_gt_u32_e64 s59, v104
	s_cbranch_execz .LBB317_741
.LBB317_944:                            ;   in Loop: Header=BB317_730 Depth=2
	global_load_u8 v144, v[62:63], off offset:224
	s_wait_xcnt 0x0
	s_or_b32 exec_lo, exec_lo, s17
	s_delay_alu instid0(SALU_CYCLE_1)
	s_mov_b32 s17, exec_lo
	v_cmpx_gt_u32_e64 s59, v105
	s_cbranch_execz .LBB317_742
.LBB317_945:                            ;   in Loop: Header=BB317_730 Depth=2
	global_load_u8 v138, v[62:63], off offset:256
	s_wait_xcnt 0x0
	s_or_b32 exec_lo, exec_lo, s17
	s_delay_alu instid0(SALU_CYCLE_1)
	s_mov_b32 s17, exec_lo
	v_cmpx_gt_u32_e64 s59, v106
	s_cbranch_execz .LBB317_743
.LBB317_946:                            ;   in Loop: Header=BB317_730 Depth=2
	global_load_u8 v141, v[62:63], off offset:288
	s_wait_xcnt 0x0
	s_or_b32 exec_lo, exec_lo, s17
	s_delay_alu instid0(SALU_CYCLE_1)
	s_mov_b32 s17, exec_lo
	v_cmpx_gt_u32_e64 s59, v107
	s_cbranch_execz .LBB317_744
.LBB317_947:                            ;   in Loop: Header=BB317_730 Depth=2
	global_load_u8 v139, v[62:63], off offset:320
	s_wait_xcnt 0x0
	s_or_b32 exec_lo, exec_lo, s17
	s_delay_alu instid0(SALU_CYCLE_1)
	s_mov_b32 s17, exec_lo
	v_cmpx_gt_u32_e64 s59, v108
	s_cbranch_execz .LBB317_745
.LBB317_948:                            ;   in Loop: Header=BB317_730 Depth=2
	global_load_u8 v140, v[62:63], off offset:352
	s_wait_xcnt 0x0
	s_or_b32 exec_lo, exec_lo, s17
	s_delay_alu instid0(SALU_CYCLE_1)
	s_mov_b32 s17, exec_lo
	v_cmpx_gt_u32_e64 s59, v109
	s_cbranch_execz .LBB317_746
.LBB317_949:                            ;   in Loop: Header=BB317_730 Depth=2
	global_load_u8 v64, v[62:63], off offset:384
	s_wait_xcnt 0x0
	s_or_b32 exec_lo, exec_lo, s17
	s_delay_alu instid0(SALU_CYCLE_1)
	s_mov_b32 s17, exec_lo
	v_cmpx_gt_u32_e64 s59, v110
	s_cbranch_execz .LBB317_747
.LBB317_950:                            ;   in Loop: Header=BB317_730 Depth=2
	global_load_u8 v136, v[62:63], off offset:416
	s_wait_xcnt 0x0
	s_or_b32 exec_lo, exec_lo, s17
	s_delay_alu instid0(SALU_CYCLE_1)
	s_mov_b32 s17, exec_lo
	v_cmpx_gt_u32_e64 s59, v111
	s_cbranch_execz .LBB317_748
.LBB317_951:                            ;   in Loop: Header=BB317_730 Depth=2
	global_load_u8 v65, v[62:63], off offset:448
	s_wait_xcnt 0x0
	s_or_b32 exec_lo, exec_lo, s17
	s_delay_alu instid0(SALU_CYCLE_1)
	s_mov_b32 s17, exec_lo
	v_cmpx_gt_u32_e64 s59, v112
	s_cbranch_execnz .LBB317_749
	s_branch .LBB317_750
.LBB317_952:                            ;   in Loop: Header=BB317_20 Depth=1
	s_wait_dscnt 0x0
	s_barrier_signal -1
	s_mov_b32 s8, 0
	s_barrier_wait -1
.LBB317_953:                            ;   in Loop: Header=BB317_20 Depth=1
	s_and_b32 vcc_lo, exec_lo, s8
	s_cbranch_vccz .LBB317_19
; %bb.954:                              ;   in Loop: Header=BB317_20 Depth=1
	v_dual_mov_b32 v39, 0 :: v_dual_mov_b32 v42, 0
	v_dual_mov_b32 v41, 0 :: v_dual_mov_b32 v40, 0
	;; [unrolled: 1-line block ×8, first 2 shown]
	v_mov_b32_e32 v26, 0
	s_mov_b32 s8, s57
	s_mov_b32 s34, s55
	s_barrier_signal -1
	s_barrier_wait -1
	s_branch .LBB317_956
.LBB317_955:                            ;   in Loop: Header=BB317_956 Depth=2
	s_or_b32 exec_lo, exec_lo, s10
	s_addk_co_i32 s8, 0xef00
	s_cmp_ge_u32 s9, s54
	s_mov_b32 s34, s9
	s_cbranch_scc1 .LBB317_1028
.LBB317_956:                            ;   Parent Loop BB317_20 Depth=1
                                        ; =>  This Inner Loop Header: Depth=2
	s_add_co_i32 s9, s34, 0x1100
	s_mov_b32 s10, -1
	s_cmp_gt_u32 s9, s54
                                        ; implicit-def: $vgpr24
                                        ; implicit-def: $vgpr25
                                        ; implicit-def: $vgpr43
                                        ; implicit-def: $vgpr44
                                        ; implicit-def: $vgpr45
                                        ; implicit-def: $vgpr46
                                        ; implicit-def: $vgpr47
                                        ; implicit-def: $vgpr48
                                        ; implicit-def: $vgpr49
                                        ; implicit-def: $vgpr50
                                        ; implicit-def: $vgpr51
                                        ; implicit-def: $vgpr52
                                        ; implicit-def: $vgpr53
                                        ; implicit-def: $vgpr54
                                        ; implicit-def: $vgpr55
                                        ; implicit-def: $vgpr56
                                        ; implicit-def: $vgpr57
	s_cbranch_scc1 .LBB317_958
; %bb.957:                              ;   in Loop: Header=BB317_956 Depth=2
	v_add_nc_u64_e32 v[58:59], s[34:35], v[18:19]
	s_mov_b32 s10, 0
	s_clause 0x10
	global_load_u8 v57, v[58:59], off offset:4096
	global_load_u8 v56, v[58:59], off offset:3840
	;; [unrolled: 1-line block ×16, first 2 shown]
	global_load_u8 v24, v[58:59], off
.LBB317_958:                            ;   in Loop: Header=BB317_956 Depth=2
	s_and_not1_b32 vcc_lo, exec_lo, s10
	s_movk_i32 s10, 0x1100
	s_cbranch_vccnz .LBB317_978
; %bb.959:                              ;   in Loop: Header=BB317_956 Depth=2
	s_add_nc_u64 s[10:11], s[36:37], s[34:35]
	s_wait_loadcnt 0x0
	v_add_nc_u64_e32 v[24:25], s[10:11], v[2:3]
	s_mov_b32 s10, exec_lo
	s_wait_xcnt 0x0
	v_cmpx_gt_u32_e64 s8, v2
	s_cbranch_execnz .LBB317_1012
; %bb.960:                              ;   in Loop: Header=BB317_956 Depth=2
	s_or_b32 exec_lo, exec_lo, s10
	s_delay_alu instid0(SALU_CYCLE_1)
	s_mov_b32 s10, exec_lo
	v_cmpx_gt_u32_e64 s8, v67
	s_cbranch_execnz .LBB317_1013
.LBB317_961:                            ;   in Loop: Header=BB317_956 Depth=2
	s_or_b32 exec_lo, exec_lo, s10
	s_delay_alu instid0(SALU_CYCLE_1)
	s_mov_b32 s10, exec_lo
	v_cmpx_gt_u32_e64 s8, v68
	s_cbranch_execnz .LBB317_1014
.LBB317_962:                            ;   in Loop: Header=BB317_956 Depth=2
	s_or_b32 exec_lo, exec_lo, s10
	s_delay_alu instid0(SALU_CYCLE_1)
	s_mov_b32 s10, exec_lo
	v_cmpx_gt_u32_e64 s8, v69
	s_cbranch_execnz .LBB317_1015
.LBB317_963:                            ;   in Loop: Header=BB317_956 Depth=2
	s_or_b32 exec_lo, exec_lo, s10
	s_delay_alu instid0(SALU_CYCLE_1)
	s_mov_b32 s10, exec_lo
	v_cmpx_gt_u32_e64 s8, v70
	s_cbranch_execnz .LBB317_1016
.LBB317_964:                            ;   in Loop: Header=BB317_956 Depth=2
	s_or_b32 exec_lo, exec_lo, s10
	s_delay_alu instid0(SALU_CYCLE_1)
	s_mov_b32 s10, exec_lo
	v_cmpx_gt_u32_e64 s8, v71
	s_cbranch_execnz .LBB317_1017
.LBB317_965:                            ;   in Loop: Header=BB317_956 Depth=2
	s_or_b32 exec_lo, exec_lo, s10
	s_delay_alu instid0(SALU_CYCLE_1)
	s_mov_b32 s10, exec_lo
	v_cmpx_gt_u32_e64 s8, v72
	s_cbranch_execnz .LBB317_1018
.LBB317_966:                            ;   in Loop: Header=BB317_956 Depth=2
	s_or_b32 exec_lo, exec_lo, s10
	s_delay_alu instid0(SALU_CYCLE_1)
	s_mov_b32 s10, exec_lo
	v_cmpx_gt_u32_e64 s8, v73
	s_cbranch_execnz .LBB317_1019
.LBB317_967:                            ;   in Loop: Header=BB317_956 Depth=2
	s_or_b32 exec_lo, exec_lo, s10
	s_delay_alu instid0(SALU_CYCLE_1)
	s_mov_b32 s10, exec_lo
	v_cmpx_gt_u32_e64 s8, v74
	s_cbranch_execnz .LBB317_1020
.LBB317_968:                            ;   in Loop: Header=BB317_956 Depth=2
	s_or_b32 exec_lo, exec_lo, s10
	s_delay_alu instid0(SALU_CYCLE_1)
	s_mov_b32 s10, exec_lo
	v_cmpx_gt_u32_e64 s8, v75
	s_cbranch_execnz .LBB317_1021
.LBB317_969:                            ;   in Loop: Header=BB317_956 Depth=2
	s_or_b32 exec_lo, exec_lo, s10
	s_delay_alu instid0(SALU_CYCLE_1)
	s_mov_b32 s10, exec_lo
	v_cmpx_gt_u32_e64 s8, v76
	s_cbranch_execnz .LBB317_1022
.LBB317_970:                            ;   in Loop: Header=BB317_956 Depth=2
	s_or_b32 exec_lo, exec_lo, s10
	s_delay_alu instid0(SALU_CYCLE_1)
	s_mov_b32 s10, exec_lo
	v_cmpx_gt_u32_e64 s8, v77
	s_cbranch_execnz .LBB317_1023
.LBB317_971:                            ;   in Loop: Header=BB317_956 Depth=2
	s_or_b32 exec_lo, exec_lo, s10
	s_delay_alu instid0(SALU_CYCLE_1)
	s_mov_b32 s10, exec_lo
	v_cmpx_gt_u32_e64 s8, v78
	s_cbranch_execnz .LBB317_1024
.LBB317_972:                            ;   in Loop: Header=BB317_956 Depth=2
	s_or_b32 exec_lo, exec_lo, s10
	s_delay_alu instid0(SALU_CYCLE_1)
	s_mov_b32 s10, exec_lo
	v_cmpx_gt_u32_e64 s8, v79
	s_cbranch_execnz .LBB317_1025
.LBB317_973:                            ;   in Loop: Header=BB317_956 Depth=2
	s_or_b32 exec_lo, exec_lo, s10
	s_delay_alu instid0(SALU_CYCLE_1)
	s_mov_b32 s10, exec_lo
	v_cmpx_gt_u32_e64 s8, v80
	s_cbranch_execnz .LBB317_1026
.LBB317_974:                            ;   in Loop: Header=BB317_956 Depth=2
	s_or_b32 exec_lo, exec_lo, s10
	s_delay_alu instid0(SALU_CYCLE_1)
	s_mov_b32 s10, exec_lo
	v_cmpx_gt_u32_e64 s8, v81
	s_cbranch_execnz .LBB317_1027
.LBB317_975:                            ;   in Loop: Header=BB317_956 Depth=2
	s_or_b32 exec_lo, exec_lo, s10
	s_delay_alu instid0(SALU_CYCLE_1)
	s_mov_b32 s10, exec_lo
	v_cmpx_gt_u32_e64 s8, v82
	s_cbranch_execz .LBB317_977
.LBB317_976:                            ;   in Loop: Header=BB317_956 Depth=2
	global_load_u8 v26, v[24:25], off offset:4096
.LBB317_977:                            ;   in Loop: Header=BB317_956 Depth=2
	s_wait_xcnt 0x0
	s_or_b32 exec_lo, exec_lo, s10
	s_wait_loadcnt 0x0
	v_dual_mov_b32 v24, v39 :: v_dual_mov_b32 v25, v42
	v_dual_mov_b32 v43, v41 :: v_dual_mov_b32 v44, v40
	;; [unrolled: 1-line block ×8, first 2 shown]
	v_mov_b32_e32 v57, v26
	s_mov_b32 s10, s8
.LBB317_978:                            ;   in Loop: Header=BB317_956 Depth=2
	s_wait_loadcnt 0xf
	s_delay_alu instid0(VALU_DEP_1)
	v_dual_mov_b32 v26, v57 :: v_dual_mov_b32 v27, v56
	s_wait_loadcnt 0xd
	v_dual_mov_b32 v28, v55 :: v_dual_mov_b32 v29, v54
	s_wait_loadcnt 0xb
	;; [unrolled: 2-line block ×8, first 2 shown]
	v_mov_b32_e32 v39, v24
	s_mov_b32 s11, exec_lo
	s_wait_xcnt 0x0
	v_cmpx_gt_u32_e64 s10, v2
	s_cbranch_execnz .LBB317_995
; %bb.979:                              ;   in Loop: Header=BB317_956 Depth=2
	s_or_b32 exec_lo, exec_lo, s11
	s_delay_alu instid0(SALU_CYCLE_1)
	s_mov_b32 s11, exec_lo
	v_cmpx_gt_u32_e64 s10, v67
	s_cbranch_execnz .LBB317_996
.LBB317_980:                            ;   in Loop: Header=BB317_956 Depth=2
	s_or_b32 exec_lo, exec_lo, s11
	s_delay_alu instid0(SALU_CYCLE_1)
	s_mov_b32 s11, exec_lo
	v_cmpx_gt_u32_e64 s10, v68
	s_cbranch_execnz .LBB317_997
.LBB317_981:                            ;   in Loop: Header=BB317_956 Depth=2
	s_or_b32 exec_lo, exec_lo, s11
	s_delay_alu instid0(SALU_CYCLE_1)
	s_mov_b32 s11, exec_lo
	v_cmpx_gt_u32_e64 s10, v69
	s_cbranch_execnz .LBB317_998
.LBB317_982:                            ;   in Loop: Header=BB317_956 Depth=2
	s_or_b32 exec_lo, exec_lo, s11
	s_delay_alu instid0(SALU_CYCLE_1)
	s_mov_b32 s11, exec_lo
	v_cmpx_gt_u32_e64 s10, v70
	s_cbranch_execnz .LBB317_999
.LBB317_983:                            ;   in Loop: Header=BB317_956 Depth=2
	s_or_b32 exec_lo, exec_lo, s11
	s_delay_alu instid0(SALU_CYCLE_1)
	s_mov_b32 s11, exec_lo
	v_cmpx_gt_u32_e64 s10, v71
	s_cbranch_execnz .LBB317_1000
.LBB317_984:                            ;   in Loop: Header=BB317_956 Depth=2
	s_or_b32 exec_lo, exec_lo, s11
	s_delay_alu instid0(SALU_CYCLE_1)
	s_mov_b32 s11, exec_lo
	v_cmpx_gt_u32_e64 s10, v72
	s_cbranch_execnz .LBB317_1001
.LBB317_985:                            ;   in Loop: Header=BB317_956 Depth=2
	s_or_b32 exec_lo, exec_lo, s11
	s_delay_alu instid0(SALU_CYCLE_1)
	s_mov_b32 s11, exec_lo
	v_cmpx_gt_u32_e64 s10, v73
	s_cbranch_execnz .LBB317_1002
.LBB317_986:                            ;   in Loop: Header=BB317_956 Depth=2
	s_or_b32 exec_lo, exec_lo, s11
	s_delay_alu instid0(SALU_CYCLE_1)
	s_mov_b32 s11, exec_lo
	v_cmpx_gt_u32_e64 s10, v74
	s_cbranch_execnz .LBB317_1003
.LBB317_987:                            ;   in Loop: Header=BB317_956 Depth=2
	s_or_b32 exec_lo, exec_lo, s11
	s_delay_alu instid0(SALU_CYCLE_1)
	s_mov_b32 s11, exec_lo
	v_cmpx_gt_u32_e64 s10, v75
	s_cbranch_execnz .LBB317_1004
.LBB317_988:                            ;   in Loop: Header=BB317_956 Depth=2
	s_or_b32 exec_lo, exec_lo, s11
	s_delay_alu instid0(SALU_CYCLE_1)
	s_mov_b32 s11, exec_lo
	v_cmpx_gt_u32_e64 s10, v76
	s_cbranch_execnz .LBB317_1005
.LBB317_989:                            ;   in Loop: Header=BB317_956 Depth=2
	s_or_b32 exec_lo, exec_lo, s11
	s_delay_alu instid0(SALU_CYCLE_1)
	s_mov_b32 s11, exec_lo
	v_cmpx_gt_u32_e64 s10, v77
	s_cbranch_execnz .LBB317_1006
.LBB317_990:                            ;   in Loop: Header=BB317_956 Depth=2
	s_or_b32 exec_lo, exec_lo, s11
	s_delay_alu instid0(SALU_CYCLE_1)
	s_mov_b32 s11, exec_lo
	v_cmpx_gt_u32_e64 s10, v78
	s_cbranch_execnz .LBB317_1007
.LBB317_991:                            ;   in Loop: Header=BB317_956 Depth=2
	s_or_b32 exec_lo, exec_lo, s11
	s_delay_alu instid0(SALU_CYCLE_1)
	s_mov_b32 s11, exec_lo
	v_cmpx_gt_u32_e64 s10, v79
	s_cbranch_execnz .LBB317_1008
.LBB317_992:                            ;   in Loop: Header=BB317_956 Depth=2
	s_or_b32 exec_lo, exec_lo, s11
	s_delay_alu instid0(SALU_CYCLE_1)
	s_mov_b32 s11, exec_lo
	v_cmpx_gt_u32_e64 s10, v80
	s_cbranch_execnz .LBB317_1009
.LBB317_993:                            ;   in Loop: Header=BB317_956 Depth=2
	s_or_b32 exec_lo, exec_lo, s11
	s_delay_alu instid0(SALU_CYCLE_1)
	s_mov_b32 s11, exec_lo
	v_cmpx_gt_u32_e64 s10, v81
	s_cbranch_execnz .LBB317_1010
.LBB317_994:                            ;   in Loop: Header=BB317_956 Depth=2
	s_or_b32 exec_lo, exec_lo, s11
	v_cmp_gt_u32_e32 vcc_lo, s10, v82
	s_and_saveexec_b32 s10, vcc_lo
	s_cbranch_execz .LBB317_955
	s_branch .LBB317_1011
.LBB317_995:                            ;   in Loop: Header=BB317_956 Depth=2
	v_xor_b32_e32 v24, 0x7f, v39
	s_delay_alu instid0(VALU_DEP_1) | instskip(NEXT) | instid1(VALU_DEP_1)
	v_and_b32_e32 v24, 0xff, v24
	v_lshrrev_b32_e32 v24, s49, v24
	s_delay_alu instid0(VALU_DEP_1) | instskip(NEXT) | instid1(VALU_DEP_1)
	v_and_b32_e32 v24, s58, v24
	v_lshl_or_b32 v24, v24, 4, v84
	ds_add_u32 v24, v7
	s_or_b32 exec_lo, exec_lo, s11
	s_delay_alu instid0(SALU_CYCLE_1)
	s_mov_b32 s11, exec_lo
	v_cmpx_gt_u32_e64 s10, v67
	s_cbranch_execz .LBB317_980
.LBB317_996:                            ;   in Loop: Header=BB317_956 Depth=2
	v_xor_b32_e32 v24, 0x7f, v42
	s_delay_alu instid0(VALU_DEP_1) | instskip(NEXT) | instid1(VALU_DEP_1)
	v_and_b32_e32 v24, 0xff, v24
	v_lshrrev_b32_e32 v24, s49, v24
	s_delay_alu instid0(VALU_DEP_1) | instskip(NEXT) | instid1(VALU_DEP_1)
	v_and_b32_e32 v24, s58, v24
	v_lshl_or_b32 v24, v24, 4, v84
	ds_add_u32 v24, v7
	s_or_b32 exec_lo, exec_lo, s11
	s_delay_alu instid0(SALU_CYCLE_1)
	s_mov_b32 s11, exec_lo
	v_cmpx_gt_u32_e64 s10, v68
	s_cbranch_execz .LBB317_981
.LBB317_997:                            ;   in Loop: Header=BB317_956 Depth=2
	v_xor_b32_e32 v24, 0x7f, v41
	s_delay_alu instid0(VALU_DEP_1) | instskip(NEXT) | instid1(VALU_DEP_1)
	v_and_b32_e32 v24, 0xff, v24
	v_lshrrev_b32_e32 v24, s49, v24
	s_delay_alu instid0(VALU_DEP_1) | instskip(NEXT) | instid1(VALU_DEP_1)
	v_and_b32_e32 v24, s58, v24
	v_lshl_or_b32 v24, v24, 4, v84
	ds_add_u32 v24, v7
	s_or_b32 exec_lo, exec_lo, s11
	s_delay_alu instid0(SALU_CYCLE_1)
	s_mov_b32 s11, exec_lo
	v_cmpx_gt_u32_e64 s10, v69
	s_cbranch_execz .LBB317_982
.LBB317_998:                            ;   in Loop: Header=BB317_956 Depth=2
	v_xor_b32_e32 v24, 0x7f, v40
	s_delay_alu instid0(VALU_DEP_1) | instskip(NEXT) | instid1(VALU_DEP_1)
	v_and_b32_e32 v24, 0xff, v24
	v_lshrrev_b32_e32 v24, s49, v24
	s_delay_alu instid0(VALU_DEP_1) | instskip(NEXT) | instid1(VALU_DEP_1)
	v_and_b32_e32 v24, s58, v24
	v_lshl_or_b32 v24, v24, 4, v84
	ds_add_u32 v24, v7
	s_or_b32 exec_lo, exec_lo, s11
	s_delay_alu instid0(SALU_CYCLE_1)
	s_mov_b32 s11, exec_lo
	v_cmpx_gt_u32_e64 s10, v70
	s_cbranch_execz .LBB317_983
.LBB317_999:                            ;   in Loop: Header=BB317_956 Depth=2
	v_xor_b32_e32 v24, 0x7f, v38
	s_delay_alu instid0(VALU_DEP_1) | instskip(NEXT) | instid1(VALU_DEP_1)
	v_and_b32_e32 v24, 0xff, v24
	v_lshrrev_b32_e32 v24, s49, v24
	s_delay_alu instid0(VALU_DEP_1) | instskip(NEXT) | instid1(VALU_DEP_1)
	v_and_b32_e32 v24, s58, v24
	v_lshl_or_b32 v24, v24, 4, v84
	ds_add_u32 v24, v7
	s_or_b32 exec_lo, exec_lo, s11
	s_delay_alu instid0(SALU_CYCLE_1)
	s_mov_b32 s11, exec_lo
	v_cmpx_gt_u32_e64 s10, v71
	s_cbranch_execz .LBB317_984
.LBB317_1000:                           ;   in Loop: Header=BB317_956 Depth=2
	v_xor_b32_e32 v24, 0x7f, v37
	s_delay_alu instid0(VALU_DEP_1) | instskip(NEXT) | instid1(VALU_DEP_1)
	v_and_b32_e32 v24, 0xff, v24
	v_lshrrev_b32_e32 v24, s49, v24
	s_delay_alu instid0(VALU_DEP_1) | instskip(NEXT) | instid1(VALU_DEP_1)
	v_and_b32_e32 v24, s58, v24
	v_lshl_or_b32 v24, v24, 4, v84
	ds_add_u32 v24, v7
	s_or_b32 exec_lo, exec_lo, s11
	s_delay_alu instid0(SALU_CYCLE_1)
	s_mov_b32 s11, exec_lo
	v_cmpx_gt_u32_e64 s10, v72
	s_cbranch_execz .LBB317_985
.LBB317_1001:                           ;   in Loop: Header=BB317_956 Depth=2
	v_xor_b32_e32 v24, 0x7f, v36
	s_delay_alu instid0(VALU_DEP_1) | instskip(NEXT) | instid1(VALU_DEP_1)
	v_and_b32_e32 v24, 0xff, v24
	v_lshrrev_b32_e32 v24, s49, v24
	s_delay_alu instid0(VALU_DEP_1) | instskip(NEXT) | instid1(VALU_DEP_1)
	v_and_b32_e32 v24, s58, v24
	v_lshl_or_b32 v24, v24, 4, v84
	ds_add_u32 v24, v7
	s_or_b32 exec_lo, exec_lo, s11
	s_delay_alu instid0(SALU_CYCLE_1)
	s_mov_b32 s11, exec_lo
	v_cmpx_gt_u32_e64 s10, v73
	s_cbranch_execz .LBB317_986
.LBB317_1002:                           ;   in Loop: Header=BB317_956 Depth=2
	v_xor_b32_e32 v24, 0x7f, v35
	s_delay_alu instid0(VALU_DEP_1) | instskip(NEXT) | instid1(VALU_DEP_1)
	v_and_b32_e32 v24, 0xff, v24
	v_lshrrev_b32_e32 v24, s49, v24
	s_delay_alu instid0(VALU_DEP_1) | instskip(NEXT) | instid1(VALU_DEP_1)
	v_and_b32_e32 v24, s58, v24
	v_lshl_or_b32 v24, v24, 4, v84
	ds_add_u32 v24, v7
	s_or_b32 exec_lo, exec_lo, s11
	s_delay_alu instid0(SALU_CYCLE_1)
	s_mov_b32 s11, exec_lo
	v_cmpx_gt_u32_e64 s10, v74
	s_cbranch_execz .LBB317_987
.LBB317_1003:                           ;   in Loop: Header=BB317_956 Depth=2
	v_xor_b32_e32 v24, 0x7f, v34
	s_delay_alu instid0(VALU_DEP_1) | instskip(NEXT) | instid1(VALU_DEP_1)
	v_and_b32_e32 v24, 0xff, v24
	v_lshrrev_b32_e32 v24, s49, v24
	s_delay_alu instid0(VALU_DEP_1) | instskip(NEXT) | instid1(VALU_DEP_1)
	v_and_b32_e32 v24, s58, v24
	v_lshl_or_b32 v24, v24, 4, v84
	ds_add_u32 v24, v7
	s_or_b32 exec_lo, exec_lo, s11
	s_delay_alu instid0(SALU_CYCLE_1)
	s_mov_b32 s11, exec_lo
	v_cmpx_gt_u32_e64 s10, v75
	s_cbranch_execz .LBB317_988
.LBB317_1004:                           ;   in Loop: Header=BB317_956 Depth=2
	v_xor_b32_e32 v24, 0x7f, v33
	s_delay_alu instid0(VALU_DEP_1) | instskip(NEXT) | instid1(VALU_DEP_1)
	v_and_b32_e32 v24, 0xff, v24
	v_lshrrev_b32_e32 v24, s49, v24
	s_delay_alu instid0(VALU_DEP_1) | instskip(NEXT) | instid1(VALU_DEP_1)
	v_and_b32_e32 v24, s58, v24
	v_lshl_or_b32 v24, v24, 4, v84
	ds_add_u32 v24, v7
	s_or_b32 exec_lo, exec_lo, s11
	s_delay_alu instid0(SALU_CYCLE_1)
	s_mov_b32 s11, exec_lo
	v_cmpx_gt_u32_e64 s10, v76
	s_cbranch_execz .LBB317_989
.LBB317_1005:                           ;   in Loop: Header=BB317_956 Depth=2
	v_xor_b32_e32 v24, 0x7f, v32
	s_delay_alu instid0(VALU_DEP_1) | instskip(NEXT) | instid1(VALU_DEP_1)
	v_and_b32_e32 v24, 0xff, v24
	v_lshrrev_b32_e32 v24, s49, v24
	s_delay_alu instid0(VALU_DEP_1) | instskip(NEXT) | instid1(VALU_DEP_1)
	v_and_b32_e32 v24, s58, v24
	v_lshl_or_b32 v24, v24, 4, v84
	ds_add_u32 v24, v7
	s_or_b32 exec_lo, exec_lo, s11
	s_delay_alu instid0(SALU_CYCLE_1)
	s_mov_b32 s11, exec_lo
	v_cmpx_gt_u32_e64 s10, v77
	s_cbranch_execz .LBB317_990
.LBB317_1006:                           ;   in Loop: Header=BB317_956 Depth=2
	v_xor_b32_e32 v24, 0x7f, v31
	s_delay_alu instid0(VALU_DEP_1) | instskip(NEXT) | instid1(VALU_DEP_1)
	v_and_b32_e32 v24, 0xff, v24
	v_lshrrev_b32_e32 v24, s49, v24
	s_delay_alu instid0(VALU_DEP_1) | instskip(NEXT) | instid1(VALU_DEP_1)
	v_and_b32_e32 v24, s58, v24
	v_lshl_or_b32 v24, v24, 4, v84
	ds_add_u32 v24, v7
	s_or_b32 exec_lo, exec_lo, s11
	s_delay_alu instid0(SALU_CYCLE_1)
	s_mov_b32 s11, exec_lo
	v_cmpx_gt_u32_e64 s10, v78
	s_cbranch_execz .LBB317_991
.LBB317_1007:                           ;   in Loop: Header=BB317_956 Depth=2
	v_xor_b32_e32 v24, 0x7f, v30
	s_delay_alu instid0(VALU_DEP_1) | instskip(NEXT) | instid1(VALU_DEP_1)
	v_and_b32_e32 v24, 0xff, v24
	v_lshrrev_b32_e32 v24, s49, v24
	s_delay_alu instid0(VALU_DEP_1) | instskip(NEXT) | instid1(VALU_DEP_1)
	v_and_b32_e32 v24, s58, v24
	v_lshl_or_b32 v24, v24, 4, v84
	ds_add_u32 v24, v7
	s_or_b32 exec_lo, exec_lo, s11
	s_delay_alu instid0(SALU_CYCLE_1)
	s_mov_b32 s11, exec_lo
	v_cmpx_gt_u32_e64 s10, v79
	s_cbranch_execz .LBB317_992
.LBB317_1008:                           ;   in Loop: Header=BB317_956 Depth=2
	v_xor_b32_e32 v24, 0x7f, v29
	s_delay_alu instid0(VALU_DEP_1) | instskip(NEXT) | instid1(VALU_DEP_1)
	v_and_b32_e32 v24, 0xff, v24
	v_lshrrev_b32_e32 v24, s49, v24
	s_delay_alu instid0(VALU_DEP_1) | instskip(NEXT) | instid1(VALU_DEP_1)
	v_and_b32_e32 v24, s58, v24
	v_lshl_or_b32 v24, v24, 4, v84
	ds_add_u32 v24, v7
	s_or_b32 exec_lo, exec_lo, s11
	s_delay_alu instid0(SALU_CYCLE_1)
	s_mov_b32 s11, exec_lo
	v_cmpx_gt_u32_e64 s10, v80
	s_cbranch_execz .LBB317_993
.LBB317_1009:                           ;   in Loop: Header=BB317_956 Depth=2
	v_xor_b32_e32 v24, 0x7f, v28
	s_delay_alu instid0(VALU_DEP_1) | instskip(NEXT) | instid1(VALU_DEP_1)
	v_and_b32_e32 v24, 0xff, v24
	v_lshrrev_b32_e32 v24, s49, v24
	s_delay_alu instid0(VALU_DEP_1) | instskip(NEXT) | instid1(VALU_DEP_1)
	v_and_b32_e32 v24, s58, v24
	v_lshl_or_b32 v24, v24, 4, v84
	ds_add_u32 v24, v7
	s_or_b32 exec_lo, exec_lo, s11
	s_delay_alu instid0(SALU_CYCLE_1)
	s_mov_b32 s11, exec_lo
	v_cmpx_gt_u32_e64 s10, v81
	s_cbranch_execz .LBB317_994
.LBB317_1010:                           ;   in Loop: Header=BB317_956 Depth=2
	v_xor_b32_e32 v24, 0x7f, v27
	s_delay_alu instid0(VALU_DEP_1) | instskip(NEXT) | instid1(VALU_DEP_1)
	v_and_b32_e32 v24, 0xff, v24
	v_lshrrev_b32_e32 v24, s49, v24
	s_delay_alu instid0(VALU_DEP_1) | instskip(NEXT) | instid1(VALU_DEP_1)
	v_and_b32_e32 v24, s58, v24
	v_lshl_or_b32 v24, v24, 4, v84
	ds_add_u32 v24, v7
	s_or_b32 exec_lo, exec_lo, s11
	v_cmp_gt_u32_e32 vcc_lo, s10, v82
	s_and_saveexec_b32 s10, vcc_lo
	s_cbranch_execz .LBB317_955
.LBB317_1011:                           ;   in Loop: Header=BB317_956 Depth=2
	v_xor_b32_e32 v24, 0x7f, v26
	s_delay_alu instid0(VALU_DEP_1) | instskip(NEXT) | instid1(VALU_DEP_1)
	v_and_b32_e32 v24, 0xff, v24
	v_lshrrev_b32_e32 v24, s49, v24
	s_delay_alu instid0(VALU_DEP_1) | instskip(NEXT) | instid1(VALU_DEP_1)
	v_and_b32_e32 v24, s58, v24
	v_lshl_or_b32 v24, v24, 4, v84
	ds_add_u32 v24, v7
	s_branch .LBB317_955
.LBB317_1012:                           ;   in Loop: Header=BB317_956 Depth=2
	global_load_u8 v39, v[24:25], off
	s_wait_xcnt 0x0
	s_or_b32 exec_lo, exec_lo, s10
	s_delay_alu instid0(SALU_CYCLE_1)
	s_mov_b32 s10, exec_lo
	v_cmpx_gt_u32_e64 s8, v67
	s_cbranch_execz .LBB317_961
.LBB317_1013:                           ;   in Loop: Header=BB317_956 Depth=2
	global_load_u8 v42, v[24:25], off offset:256
	s_wait_xcnt 0x0
	s_or_b32 exec_lo, exec_lo, s10
	s_delay_alu instid0(SALU_CYCLE_1)
	s_mov_b32 s10, exec_lo
	v_cmpx_gt_u32_e64 s8, v68
	s_cbranch_execz .LBB317_962
.LBB317_1014:                           ;   in Loop: Header=BB317_956 Depth=2
	global_load_u8 v41, v[24:25], off offset:512
	s_wait_xcnt 0x0
	s_or_b32 exec_lo, exec_lo, s10
	s_delay_alu instid0(SALU_CYCLE_1)
	s_mov_b32 s10, exec_lo
	v_cmpx_gt_u32_e64 s8, v69
	s_cbranch_execz .LBB317_963
.LBB317_1015:                           ;   in Loop: Header=BB317_956 Depth=2
	global_load_u8 v40, v[24:25], off offset:768
	s_wait_xcnt 0x0
	s_or_b32 exec_lo, exec_lo, s10
	s_delay_alu instid0(SALU_CYCLE_1)
	s_mov_b32 s10, exec_lo
	v_cmpx_gt_u32_e64 s8, v70
	s_cbranch_execz .LBB317_964
.LBB317_1016:                           ;   in Loop: Header=BB317_956 Depth=2
	global_load_u8 v38, v[24:25], off offset:1024
	s_wait_xcnt 0x0
	s_or_b32 exec_lo, exec_lo, s10
	s_delay_alu instid0(SALU_CYCLE_1)
	s_mov_b32 s10, exec_lo
	v_cmpx_gt_u32_e64 s8, v71
	s_cbranch_execz .LBB317_965
.LBB317_1017:                           ;   in Loop: Header=BB317_956 Depth=2
	global_load_u8 v37, v[24:25], off offset:1280
	s_wait_xcnt 0x0
	s_or_b32 exec_lo, exec_lo, s10
	s_delay_alu instid0(SALU_CYCLE_1)
	s_mov_b32 s10, exec_lo
	v_cmpx_gt_u32_e64 s8, v72
	s_cbranch_execz .LBB317_966
.LBB317_1018:                           ;   in Loop: Header=BB317_956 Depth=2
	global_load_u8 v36, v[24:25], off offset:1536
	s_wait_xcnt 0x0
	s_or_b32 exec_lo, exec_lo, s10
	s_delay_alu instid0(SALU_CYCLE_1)
	s_mov_b32 s10, exec_lo
	v_cmpx_gt_u32_e64 s8, v73
	s_cbranch_execz .LBB317_967
.LBB317_1019:                           ;   in Loop: Header=BB317_956 Depth=2
	global_load_u8 v35, v[24:25], off offset:1792
	s_wait_xcnt 0x0
	s_or_b32 exec_lo, exec_lo, s10
	s_delay_alu instid0(SALU_CYCLE_1)
	s_mov_b32 s10, exec_lo
	v_cmpx_gt_u32_e64 s8, v74
	s_cbranch_execz .LBB317_968
.LBB317_1020:                           ;   in Loop: Header=BB317_956 Depth=2
	global_load_u8 v34, v[24:25], off offset:2048
	s_wait_xcnt 0x0
	s_or_b32 exec_lo, exec_lo, s10
	s_delay_alu instid0(SALU_CYCLE_1)
	s_mov_b32 s10, exec_lo
	v_cmpx_gt_u32_e64 s8, v75
	s_cbranch_execz .LBB317_969
.LBB317_1021:                           ;   in Loop: Header=BB317_956 Depth=2
	global_load_u8 v33, v[24:25], off offset:2304
	s_wait_xcnt 0x0
	s_or_b32 exec_lo, exec_lo, s10
	s_delay_alu instid0(SALU_CYCLE_1)
	s_mov_b32 s10, exec_lo
	v_cmpx_gt_u32_e64 s8, v76
	s_cbranch_execz .LBB317_970
.LBB317_1022:                           ;   in Loop: Header=BB317_956 Depth=2
	global_load_u8 v32, v[24:25], off offset:2560
	s_wait_xcnt 0x0
	s_or_b32 exec_lo, exec_lo, s10
	s_delay_alu instid0(SALU_CYCLE_1)
	s_mov_b32 s10, exec_lo
	v_cmpx_gt_u32_e64 s8, v77
	s_cbranch_execz .LBB317_971
.LBB317_1023:                           ;   in Loop: Header=BB317_956 Depth=2
	global_load_u8 v31, v[24:25], off offset:2816
	s_wait_xcnt 0x0
	s_or_b32 exec_lo, exec_lo, s10
	s_delay_alu instid0(SALU_CYCLE_1)
	s_mov_b32 s10, exec_lo
	v_cmpx_gt_u32_e64 s8, v78
	s_cbranch_execz .LBB317_972
.LBB317_1024:                           ;   in Loop: Header=BB317_956 Depth=2
	global_load_u8 v30, v[24:25], off offset:3072
	s_wait_xcnt 0x0
	s_or_b32 exec_lo, exec_lo, s10
	s_delay_alu instid0(SALU_CYCLE_1)
	s_mov_b32 s10, exec_lo
	v_cmpx_gt_u32_e64 s8, v79
	s_cbranch_execz .LBB317_973
.LBB317_1025:                           ;   in Loop: Header=BB317_956 Depth=2
	global_load_u8 v29, v[24:25], off offset:3328
	s_wait_xcnt 0x0
	s_or_b32 exec_lo, exec_lo, s10
	s_delay_alu instid0(SALU_CYCLE_1)
	s_mov_b32 s10, exec_lo
	v_cmpx_gt_u32_e64 s8, v80
	s_cbranch_execz .LBB317_974
.LBB317_1026:                           ;   in Loop: Header=BB317_956 Depth=2
	global_load_u8 v28, v[24:25], off offset:3584
	s_wait_xcnt 0x0
	s_or_b32 exec_lo, exec_lo, s10
	s_delay_alu instid0(SALU_CYCLE_1)
	s_mov_b32 s10, exec_lo
	v_cmpx_gt_u32_e64 s8, v81
	s_cbranch_execz .LBB317_975
.LBB317_1027:                           ;   in Loop: Header=BB317_956 Depth=2
	global_load_u8 v27, v[24:25], off offset:3840
	s_wait_xcnt 0x0
	s_or_b32 exec_lo, exec_lo, s10
	s_delay_alu instid0(SALU_CYCLE_1)
	s_mov_b32 s10, exec_lo
	v_cmpx_gt_u32_e64 s8, v82
	s_cbranch_execnz .LBB317_976
	s_branch .LBB317_977
.LBB317_1028:                           ;   in Loop: Header=BB317_20 Depth=1
	v_mov_b32_e32 v24, 0
	s_wait_dscnt 0x0
	s_barrier_signal -1
	s_barrier_wait -1
	s_and_saveexec_b32 s8, s0
	s_cbranch_execz .LBB317_1030
; %bb.1029:                             ;   in Loop: Header=BB317_20 Depth=1
	ds_load_2addr_b64 v[24:27], v85 offset1:1
	s_wait_dscnt 0x0
	v_add_nc_u32_e32 v24, v25, v24
	s_delay_alu instid0(VALU_DEP_1)
	v_add3_u32 v24, v24, v26, v27
.LBB317_1030:                           ;   in Loop: Header=BB317_20 Depth=1
	s_or_b32 exec_lo, exec_lo, s8
	v_and_b32_e32 v25, 15, v0
	s_delay_alu instid0(VALU_DEP_2) | instskip(SKIP_1) | instid1(VALU_DEP_3)
	v_mov_b32_dpp v26, v24 row_shr:1 row_mask:0xf bank_mask:0xf
	v_and_b32_e32 v27, 16, v0
	v_cmp_eq_u32_e64 s8, 0, v25
	v_cmp_lt_u32_e64 s9, 1, v25
	s_delay_alu instid0(VALU_DEP_3) | instskip(NEXT) | instid1(VALU_DEP_3)
	v_cmp_eq_u32_e64 s12, 0, v27
	v_cndmask_b32_e64 v26, v26, 0, s8
	s_delay_alu instid0(VALU_DEP_1) | instskip(NEXT) | instid1(VALU_DEP_1)
	v_add_nc_u32_e32 v24, v26, v24
	v_mov_b32_dpp v26, v24 row_shr:2 row_mask:0xf bank_mask:0xf
	s_delay_alu instid0(VALU_DEP_1) | instskip(SKIP_2) | instid1(VALU_DEP_3)
	v_cndmask_b32_e64 v26, 0, v26, s9
	v_cmp_lt_u32_e64 s11, 7, v25
	v_cmp_lt_u32_e64 s10, 3, v25
	v_add_nc_u32_e32 v24, v24, v26
	s_delay_alu instid0(VALU_DEP_1) | instskip(NEXT) | instid1(VALU_DEP_1)
	v_mov_b32_dpp v26, v24 row_shr:4 row_mask:0xf bank_mask:0xf
	v_cndmask_b32_e64 v26, 0, v26, s10
	s_delay_alu instid0(VALU_DEP_1) | instskip(NEXT) | instid1(VALU_DEP_1)
	v_add_nc_u32_e32 v24, v24, v26
	v_mov_b32_dpp v26, v24 row_shr:8 row_mask:0xf bank_mask:0xf
	s_delay_alu instid0(VALU_DEP_1) | instskip(SKIP_1) | instid1(VALU_DEP_2)
	v_cndmask_b32_e64 v25, 0, v26, s11
	v_bfe_i32 v26, v0, 4, 1
	v_add_nc_u32_e32 v24, v24, v25
	ds_swizzle_b32 v25, v24 offset:swizzle(BROADCAST,32,15)
	s_wait_dscnt 0x0
	v_and_b32_e32 v25, v26, v25
	s_delay_alu instid0(VALU_DEP_1)
	v_add_nc_u32_e32 v24, v24, v25
	s_and_saveexec_b32 s13, s1
; %bb.1031:                             ;   in Loop: Header=BB317_20 Depth=1
	ds_store_b32 v86, v24
; %bb.1032:                             ;   in Loop: Header=BB317_20 Depth=1
	s_or_b32 exec_lo, exec_lo, s13
	s_wait_dscnt 0x0
	s_barrier_signal -1
	s_barrier_wait -1
	s_and_saveexec_b32 s13, s4
	s_cbranch_execz .LBB317_1034
; %bb.1033:                             ;   in Loop: Header=BB317_20 Depth=1
	ds_load_b32 v25, v87
	s_wait_dscnt 0x0
	v_mov_b32_dpp v27, v25 row_shr:1 row_mask:0xf bank_mask:0xf
	v_and_b32_e32 v26, 3, v0
	s_delay_alu instid0(VALU_DEP_1) | instskip(NEXT) | instid1(VALU_DEP_3)
	v_cmp_ne_u32_e32 vcc_lo, 0, v26
	v_cndmask_b32_e32 v27, 0, v27, vcc_lo
	v_cmp_lt_u32_e32 vcc_lo, 1, v26
	s_delay_alu instid0(VALU_DEP_2) | instskip(NEXT) | instid1(VALU_DEP_1)
	v_add_nc_u32_e32 v25, v27, v25
	v_mov_b32_dpp v27, v25 row_shr:2 row_mask:0xf bank_mask:0xf
	s_delay_alu instid0(VALU_DEP_1) | instskip(NEXT) | instid1(VALU_DEP_1)
	v_cndmask_b32_e32 v26, 0, v27, vcc_lo
	v_add_nc_u32_e32 v25, v25, v26
	ds_store_b32 v87, v25
.LBB317_1034:                           ;   in Loop: Header=BB317_20 Depth=1
	s_or_b32 exec_lo, exec_lo, s13
	v_mov_b32_e32 v25, 0
	s_wait_dscnt 0x0
	s_barrier_signal -1
	s_barrier_wait -1
	s_and_saveexec_b32 s13, s5
; %bb.1035:                             ;   in Loop: Header=BB317_20 Depth=1
	ds_load_b32 v25, v88
; %bb.1036:                             ;   in Loop: Header=BB317_20 Depth=1
	s_or_b32 exec_lo, exec_lo, s13
	v_sub_co_u32 v26, s13, v0, 1
	s_wait_dscnt 0x0
	s_barrier_signal -1
	s_barrier_wait -1
	s_delay_alu instid0(VALU_DEP_1) | instskip(SKIP_1) | instid1(VALU_DEP_1)
	v_cmp_gt_i32_e32 vcc_lo, 0, v26
	v_cndmask_b32_e32 v26, v26, v0, vcc_lo
	v_dual_add_nc_u32 v24, v25, v24 :: v_dual_lshlrev_b32 v96, 2, v26
	ds_bpermute_b32 v24, v96, v24
	s_and_saveexec_b32 s14, s0
	s_cbranch_execz .LBB317_1038
; %bb.1037:                             ;   in Loop: Header=BB317_20 Depth=1
	s_wait_dscnt 0x0
	v_cndmask_b32_e64 v24, v24, v25, s13
	s_delay_alu instid0(VALU_DEP_1)
	v_add_nc_u32_e32 v24, s55, v24
	ds_store_b32 v66, v24
.LBB317_1038:                           ;   in Loop: Header=BB317_20 Depth=1
	s_or_b32 exec_lo, exec_lo, s14
	s_load_b64 s[14:15], s[52:53], 0x0
	v_dual_lshlrev_b32 v26, 3, v0 :: v_dual_bitop2_b32 v28, 7, v0 bitop3:0x40
	v_dual_mov_b32 v27, v1 :: v_dual_bitop2_b32 v97, v0, v6 bitop3:0x54
	s_wait_dscnt 0x0
	v_add_nc_u64_e32 v[24:25], v[22:23], v[0:1]
	v_mov_b32_e32 v115, 0
	s_mov_b32 s59, s57
	v_add_nc_u64_e32 v[26:27], v[20:21], v[26:27]
	v_dual_add_nc_u32 v98, 32, v97 :: v_dual_add_nc_u32 v99, 64, v97
	v_add_nc_u32_e32 v100, 0x60, v97
	v_add_nc_u32_e32 v101, 0x80, v97
	;; [unrolled: 1-line block ×9, first 2 shown]
	s_wait_kmcnt 0x0
	s_cmp_lt_u32 s51, s14
	v_add_nc_u32_e32 v109, 0x180, v97
	s_cselect_b32 s34, 12, 18
	s_cmp_lt_u32 s42, s15
	s_mov_b32 s15, s35
	s_cselect_b32 s14, 14, 20
	v_add_nc_u32_e32 v110, 0x1a0, v97
	s_add_nc_u64 s[14:15], s[52:53], s[14:15]
	v_add_nc_u32_e32 v111, 0x1c0, v97
	s_load_u16 s16, s[14:15], 0x0
	s_wait_xcnt 0x0
	s_add_nc_u64 s[14:15], s[52:53], s[34:35]
	v_add_nc_u32_e32 v112, 0x1e0, v97
	s_load_u16 s17, s[14:15], 0x0
	s_wait_xcnt 0x0
	v_cmp_eq_u32_e64 s14, 0, v28
	v_cmp_lt_u32_e64 s15, 1, v28
	v_add_nc_u32_e32 v113, 0x200, v97
	s_mov_b32 s34, s55
                                        ; implicit-def: $vgpr30_vgpr31
                                        ; implicit-def: $vgpr32_vgpr33
                                        ; implicit-def: $vgpr34_vgpr35
                                        ; implicit-def: $vgpr36_vgpr37
                                        ; implicit-def: $vgpr38_vgpr39
                                        ; implicit-def: $vgpr40_vgpr41
                                        ; implicit-def: $vgpr42_vgpr43
                                        ; implicit-def: $vgpr44_vgpr45
                                        ; implicit-def: $vgpr46_vgpr47
                                        ; implicit-def: $vgpr48_vgpr49
                                        ; implicit-def: $vgpr50_vgpr51
                                        ; implicit-def: $vgpr52_vgpr53
                                        ; implicit-def: $vgpr54_vgpr55
                                        ; implicit-def: $vgpr56_vgpr57
                                        ; implicit-def: $vgpr58_vgpr59
                                        ; implicit-def: $vgpr60_vgpr61
                                        ; implicit-def: $vgpr116
                                        ; implicit-def: $vgpr117
                                        ; implicit-def: $vgpr118
                                        ; implicit-def: $vgpr119
                                        ; implicit-def: $vgpr120
                                        ; implicit-def: $vgpr121
                                        ; implicit-def: $vgpr122
                                        ; implicit-def: $vgpr123
                                        ; implicit-def: $vgpr124
                                        ; implicit-def: $vgpr125
                                        ; implicit-def: $vgpr126
                                        ; implicit-def: $vgpr127
                                        ; implicit-def: $vgpr128
                                        ; implicit-def: $vgpr129
                                        ; implicit-def: $vgpr130
                                        ; implicit-def: $vgpr131
                                        ; implicit-def: $vgpr132
                                        ; implicit-def: $vgpr133
                                        ; implicit-def: $vgpr134
	s_wait_kmcnt 0x0
	v_mad_u32_u24 v29, v89, s16, v91
	v_cmp_lt_u32_e64 s16, 3, v28
	s_delay_alu instid0(VALU_DEP_2) | instskip(NEXT) | instid1(VALU_DEP_1)
	v_mad_u32 v28, v29, s17, v2
	v_lshrrev_b32_e32 v28, 3, v28
	s_delay_alu instid0(VALU_DEP_1)
	v_and_b32_e32 v114, 0x1ffffffc, v28
                                        ; implicit-def: $vgpr28_vgpr29
	s_branch .LBB317_1040
.LBB317_1039:                           ;   in Loop: Header=BB317_1040 Depth=2
	s_or_b32 exec_lo, exec_lo, s17
	s_addk_co_i32 s59, 0xef00
	s_cmp_lt_u32 s60, s54
	s_mov_b32 s34, s60
	s_cbranch_scc0 .LBB317_18
.LBB317_1040:                           ;   Parent Loop BB317_20 Depth=1
                                        ; =>  This Inner Loop Header: Depth=2
	s_add_co_i32 s60, s34, 0x1100
	s_delay_alu instid0(SALU_CYCLE_1)
	s_cmp_gt_u32 s60, s54
	s_cbranch_scc1 .LBB317_1042
; %bb.1041:                             ;   in Loop: Header=BB317_1040 Depth=2
	v_add_nc_u64_e32 v[62:63], s[34:35], v[24:25]
	s_mov_b32 s17, -1
	s_clause 0xf
	global_load_u8 v135, v[62:63], off offset:480
	global_load_u8 v65, v[62:63], off offset:448
	;; [unrolled: 1-line block ×15, first 2 shown]
	global_load_u8 v147, v[62:63], off
	s_movk_i32 s18, 0x1100
	s_cbranch_execz .LBB317_1043
	s_branch .LBB317_1061
.LBB317_1042:                           ;   in Loop: Header=BB317_1040 Depth=2
	s_mov_b32 s17, 0
                                        ; implicit-def: $vgpr147
                                        ; implicit-def: $vgpr150
                                        ; implicit-def: $vgpr148
                                        ; implicit-def: $vgpr151
                                        ; implicit-def: $vgpr142
                                        ; implicit-def: $vgpr145
                                        ; implicit-def: $vgpr143
                                        ; implicit-def: $vgpr144
                                        ; implicit-def: $vgpr138
                                        ; implicit-def: $vgpr141
                                        ; implicit-def: $vgpr139
                                        ; implicit-def: $vgpr140
                                        ; implicit-def: $vgpr64
                                        ; implicit-def: $vgpr136
                                        ; implicit-def: $vgpr65
                                        ; implicit-def: $vgpr135
                                        ; implicit-def: $vgpr115
	s_movk_i32 s18, 0x1100
.LBB317_1043:                           ;   in Loop: Header=BB317_1040 Depth=2
	s_wait_xcnt 0x0
	v_add_nc_u64_e32 v[62:63], s[34:35], v[24:25]
	s_wait_loadcnt 0x1
	v_dual_mov_b32 v115, 0x80 :: v_dual_mov_b32 v150, 0x80
	s_wait_loadcnt 0x0
	v_dual_mov_b32 v147, 0x80 :: v_dual_mov_b32 v148, 0x80
	v_dual_mov_b32 v151, 0x80 :: v_dual_mov_b32 v142, 0x80
	;; [unrolled: 1-line block ×7, first 2 shown]
	v_mov_b32_e32 v135, 0x80
	s_mov_b32 s17, exec_lo
	v_cmpx_gt_u32_e64 s59, v97
	s_cbranch_execnz .LBB317_1247
; %bb.1044:                             ;   in Loop: Header=BB317_1040 Depth=2
	s_or_b32 exec_lo, exec_lo, s17
	s_delay_alu instid0(SALU_CYCLE_1)
	s_mov_b32 s17, exec_lo
	v_cmpx_gt_u32_e64 s59, v98
	s_cbranch_execnz .LBB317_1248
.LBB317_1045:                           ;   in Loop: Header=BB317_1040 Depth=2
	s_or_b32 exec_lo, exec_lo, s17
	s_delay_alu instid0(SALU_CYCLE_1)
	s_mov_b32 s17, exec_lo
	v_cmpx_gt_u32_e64 s59, v99
	s_cbranch_execnz .LBB317_1249
.LBB317_1046:                           ;   in Loop: Header=BB317_1040 Depth=2
	s_or_b32 exec_lo, exec_lo, s17
	s_delay_alu instid0(SALU_CYCLE_1)
	s_mov_b32 s17, exec_lo
	v_cmpx_gt_u32_e64 s59, v100
	s_cbranch_execnz .LBB317_1250
.LBB317_1047:                           ;   in Loop: Header=BB317_1040 Depth=2
	s_or_b32 exec_lo, exec_lo, s17
	s_delay_alu instid0(SALU_CYCLE_1)
	s_mov_b32 s17, exec_lo
	v_cmpx_gt_u32_e64 s59, v101
	s_cbranch_execnz .LBB317_1251
.LBB317_1048:                           ;   in Loop: Header=BB317_1040 Depth=2
	s_or_b32 exec_lo, exec_lo, s17
	s_delay_alu instid0(SALU_CYCLE_1)
	s_mov_b32 s17, exec_lo
	v_cmpx_gt_u32_e64 s59, v102
	s_cbranch_execnz .LBB317_1252
.LBB317_1049:                           ;   in Loop: Header=BB317_1040 Depth=2
	s_or_b32 exec_lo, exec_lo, s17
	s_delay_alu instid0(SALU_CYCLE_1)
	s_mov_b32 s17, exec_lo
	v_cmpx_gt_u32_e64 s59, v103
	s_cbranch_execnz .LBB317_1253
.LBB317_1050:                           ;   in Loop: Header=BB317_1040 Depth=2
	s_or_b32 exec_lo, exec_lo, s17
	s_delay_alu instid0(SALU_CYCLE_1)
	s_mov_b32 s17, exec_lo
	v_cmpx_gt_u32_e64 s59, v104
	s_cbranch_execnz .LBB317_1254
.LBB317_1051:                           ;   in Loop: Header=BB317_1040 Depth=2
	s_or_b32 exec_lo, exec_lo, s17
	s_delay_alu instid0(SALU_CYCLE_1)
	s_mov_b32 s17, exec_lo
	v_cmpx_gt_u32_e64 s59, v105
	s_cbranch_execnz .LBB317_1255
.LBB317_1052:                           ;   in Loop: Header=BB317_1040 Depth=2
	s_or_b32 exec_lo, exec_lo, s17
	s_delay_alu instid0(SALU_CYCLE_1)
	s_mov_b32 s17, exec_lo
	v_cmpx_gt_u32_e64 s59, v106
	s_cbranch_execnz .LBB317_1256
.LBB317_1053:                           ;   in Loop: Header=BB317_1040 Depth=2
	s_or_b32 exec_lo, exec_lo, s17
	s_delay_alu instid0(SALU_CYCLE_1)
	s_mov_b32 s17, exec_lo
	v_cmpx_gt_u32_e64 s59, v107
	s_cbranch_execnz .LBB317_1257
.LBB317_1054:                           ;   in Loop: Header=BB317_1040 Depth=2
	s_or_b32 exec_lo, exec_lo, s17
	s_delay_alu instid0(SALU_CYCLE_1)
	s_mov_b32 s17, exec_lo
	v_cmpx_gt_u32_e64 s59, v108
	s_cbranch_execnz .LBB317_1258
.LBB317_1055:                           ;   in Loop: Header=BB317_1040 Depth=2
	s_or_b32 exec_lo, exec_lo, s17
	s_delay_alu instid0(SALU_CYCLE_1)
	s_mov_b32 s17, exec_lo
	v_cmpx_gt_u32_e64 s59, v109
	s_cbranch_execnz .LBB317_1259
.LBB317_1056:                           ;   in Loop: Header=BB317_1040 Depth=2
	s_or_b32 exec_lo, exec_lo, s17
	s_delay_alu instid0(SALU_CYCLE_1)
	s_mov_b32 s17, exec_lo
	v_cmpx_gt_u32_e64 s59, v110
	s_cbranch_execnz .LBB317_1260
.LBB317_1057:                           ;   in Loop: Header=BB317_1040 Depth=2
	s_or_b32 exec_lo, exec_lo, s17
	s_delay_alu instid0(SALU_CYCLE_1)
	s_mov_b32 s17, exec_lo
	v_cmpx_gt_u32_e64 s59, v111
	s_cbranch_execnz .LBB317_1261
.LBB317_1058:                           ;   in Loop: Header=BB317_1040 Depth=2
	s_or_b32 exec_lo, exec_lo, s17
	s_delay_alu instid0(SALU_CYCLE_1)
	s_mov_b32 s17, exec_lo
	v_cmpx_gt_u32_e64 s59, v112
	s_cbranch_execz .LBB317_1060
.LBB317_1059:                           ;   in Loop: Header=BB317_1040 Depth=2
	global_load_u8 v135, v[62:63], off offset:480
.LBB317_1060:                           ;   in Loop: Header=BB317_1040 Depth=2
	s_wait_xcnt 0x0
	s_or_b32 exec_lo, exec_lo, s17
	v_cmp_gt_u32_e64 s17, s59, v113
	s_sub_co_i32 s18, s54, s34
.LBB317_1061:                           ;   in Loop: Header=BB317_1040 Depth=2
	v_mov_b32_e32 v137, s59
	s_wait_xcnt 0x0
	s_and_saveexec_b32 s19, s17
	s_cbranch_execz .LBB317_1063
; %bb.1062:                             ;   in Loop: Header=BB317_1040 Depth=2
	v_add_nc_u64_e32 v[62:63], s[34:35], v[24:25]
	v_mov_b32_e32 v137, s18
	global_load_u8 v115, v[62:63], off offset:512
.LBB317_1063:                           ;   in Loop: Header=BB317_1040 Depth=2
	s_wait_xcnt 0x0
	s_or_b32 exec_lo, exec_lo, s19
	s_wait_loadcnt 0x0
	v_bitop3_b16 v62, v147, s43, 0x7f bitop3:0x48
	ds_store_2addr_b32 v90, v1, v1 offset0:136 offset1:137
	ds_store_2addr_b32 v90, v1, v1 offset0:138 offset1:139
	ds_store_b32 v90, v1 offset:560
	s_wait_dscnt 0x0
	s_barrier_signal -1
	s_barrier_wait -1
	v_and_b32_e32 v62, 0xffff, v62
	; wave barrier
	s_delay_alu instid0(VALU_DEP_1) | instskip(NEXT) | instid1(VALU_DEP_1)
	v_lshrrev_b32_e32 v62, s49, v62
	v_and_b32_e32 v149, s58, v62
	s_delay_alu instid0(VALU_DEP_1) | instskip(SKIP_1) | instid1(VALU_DEP_1)
	v_lshlrev_b32_e32 v146, 30, v149
	v_bitop3_b32 v63, v62, 1, s58 bitop3:0x80
	v_add_co_u32 v62, s17, v63, -1
	s_delay_alu instid0(VALU_DEP_1) | instskip(NEXT) | instid1(VALU_DEP_4)
	v_cndmask_b32_e64 v63, 0, 1, s17
	v_cmp_gt_i32_e64 s17, 0, v146
	s_delay_alu instid0(VALU_DEP_2) | instskip(SKIP_2) | instid1(VALU_DEP_2)
	v_cmp_ne_u32_e32 vcc_lo, 0, v63
	v_not_b32_e32 v63, v146
	v_bitop3_b32 v62, vcc_lo, exec_lo, v62 bitop3:0x48
	v_dual_ashrrev_i32 v63, 31, v63 :: v_dual_lshlrev_b32 v152, 29, v149
	v_dual_lshlrev_b32 v153, 28, v149 :: v_dual_lshlrev_b32 v154, 27, v149
	v_lshlrev_b32_e32 v155, 26, v149
	s_delay_alu instid0(VALU_DEP_3)
	v_not_b32_e32 v146, v152
	v_lshlrev_b32_e32 v156, 25, v149
	v_cmp_gt_i32_e64 s18, 0, v152
	v_cmp_gt_i32_e64 s19, 0, v153
	v_not_b32_e32 v152, v153
	v_not_b32_e32 v153, v154
	v_ashrrev_i32_e32 v146, 31, v146
	v_cmp_gt_i32_e64 s20, 0, v154
	v_cmp_gt_i32_e64 s21, 0, v155
	v_not_b32_e32 v154, v155
	v_not_b32_e32 v155, v156
	v_dual_ashrrev_i32 v152, 31, v152 :: v_dual_ashrrev_i32 v153, 31, v153
	s_delay_alu instid0(VALU_DEP_3) | instskip(NEXT) | instid1(VALU_DEP_3)
	v_dual_ashrrev_i32 v154, 31, v154 :: v_dual_bitop2_b32 v63, s17, v63 bitop3:0x14
	v_dual_ashrrev_i32 v155, 31, v155 :: v_dual_bitop2_b32 v146, s18, v146 bitop3:0x14
	v_cmp_gt_i32_e64 s22, 0, v156
	s_delay_alu instid0(VALU_DEP_4) | instskip(SKIP_1) | instid1(VALU_DEP_4)
	v_xor_b32_e32 v152, s19, v152
	v_xor_b32_e32 v153, s20, v153
	v_bitop3_b32 v62, v62, v146, v63 bitop3:0x80
	v_xor_b32_e32 v63, s21, v154
	v_xor_b32_e32 v146, s22, v155
	s_delay_alu instid0(VALU_DEP_3) | instskip(NEXT) | instid1(VALU_DEP_1)
	v_bitop3_b32 v62, v62, v153, v152 bitop3:0x80
	v_bitop3_b32 v62, v62, v146, v63 bitop3:0x80
	v_mul_u32_u24_e32 v63, 36, v149
	s_delay_alu instid0(VALU_DEP_2) | instskip(SKIP_1) | instid1(VALU_DEP_3)
	v_mbcnt_lo_u32_b32 v146, v62, 0
	v_cmp_ne_u32_e64 s17, 0, v62
	v_add_nc_u32_e32 v149, v114, v63
	s_delay_alu instid0(VALU_DEP_3) | instskip(SKIP_1) | instid1(SALU_CYCLE_1)
	v_cmp_eq_u32_e32 vcc_lo, 0, v146
	s_and_b32 s18, s17, vcc_lo
	s_and_saveexec_b32 s17, s18
; %bb.1064:                             ;   in Loop: Header=BB317_1040 Depth=2
	v_bcnt_u32_b32 v62, v62, 0
	ds_store_b32 v149, v62 offset:544
; %bb.1065:                             ;   in Loop: Header=BB317_1040 Depth=2
	s_or_b32 exec_lo, exec_lo, s17
	v_xor_b32_e32 v62, 0x7f, v150
	v_xor_b32_e32 v63, 0x7f, v151
	;; [unrolled: 1-line block ×4, first 2 shown]
	s_delay_alu instid0(VALU_DEP_4) | instskip(NEXT) | instid1(VALU_DEP_4)
	v_lshlrev_b16 v62, 8, v62
	v_lshlrev_b16 v63, 8, v63
	; wave barrier
	s_delay_alu instid0(VALU_DEP_2) | instskip(NEXT) | instid1(VALU_DEP_2)
	v_bitop3_b16 v147, v147, v62, 0xff bitop3:0xec
	v_bitop3_b16 v62, v148, v63, 0xff bitop3:0xec
	s_delay_alu instid0(VALU_DEP_2) | instskip(NEXT) | instid1(VALU_DEP_2)
	v_and_b32_e32 v63, 0xffff, v147
	v_lshlrev_b32_e32 v62, 16, v62
	s_delay_alu instid0(VALU_DEP_1) | instskip(NEXT) | instid1(VALU_DEP_1)
	v_or_b32_e32 v148, v63, v62
	v_bfe_u32 v62, v148, 8, 8
	s_delay_alu instid0(VALU_DEP_1) | instskip(NEXT) | instid1(VALU_DEP_1)
	v_lshrrev_b32_e32 v62, s49, v62
	v_bitop3_b32 v63, v62, 1, s58 bitop3:0x80
	v_and_b32_e32 v152, s58, v62
	s_delay_alu instid0(VALU_DEP_2) | instskip(NEXT) | instid1(VALU_DEP_1)
	v_add_co_u32 v62, s17, v63, -1
	v_cndmask_b32_e64 v63, 0, 1, s17
	s_delay_alu instid0(VALU_DEP_3) | instskip(NEXT) | instid1(VALU_DEP_2)
	v_lshlrev_b32_e32 v150, 30, v152
	v_cmp_ne_u32_e32 vcc_lo, 0, v63
	s_delay_alu instid0(VALU_DEP_2) | instskip(SKIP_2) | instid1(VALU_DEP_3)
	v_not_b32_e32 v63, v150
	v_cmp_gt_i32_e64 s17, 0, v150
	v_bitop3_b32 v62, vcc_lo, exec_lo, v62 bitop3:0x48
	v_dual_ashrrev_i32 v63, 31, v63 :: v_dual_lshlrev_b32 v151, 29, v152
	v_dual_lshlrev_b32 v153, 28, v152 :: v_dual_lshlrev_b32 v154, 27, v152
	v_lshlrev_b32_e32 v155, 26, v152
	s_delay_alu instid0(VALU_DEP_3)
	v_not_b32_e32 v150, v151
	v_lshlrev_b32_e32 v156, 25, v152
	v_cmp_gt_i32_e64 s18, 0, v151
	v_cmp_gt_i32_e64 s19, 0, v153
	v_not_b32_e32 v151, v153
	v_ashrrev_i32_e32 v150, 31, v150
	v_cmp_gt_i32_e64 s20, 0, v154
	v_not_b32_e32 v153, v154
	v_cmp_gt_i32_e64 s21, 0, v155
	v_not_b32_e32 v154, v155
	v_not_b32_e32 v155, v156
	v_xor_b32_e32 v63, s17, v63
	v_dual_ashrrev_i32 v151, 31, v151 :: v_dual_bitop2_b32 v150, s18, v150 bitop3:0x14
	s_delay_alu instid0(VALU_DEP_4) | instskip(NEXT) | instid1(VALU_DEP_4)
	v_dual_ashrrev_i32 v153, 31, v153 :: v_dual_ashrrev_i32 v154, 31, v154
	v_ashrrev_i32_e32 v155, 31, v155
	s_delay_alu instid0(VALU_DEP_3)
	v_bitop3_b32 v62, v62, v150, v63 bitop3:0x80
	v_mad_u32_u24 v63, v152, 36, v114
	v_cmp_gt_i32_e64 s22, 0, v156
	v_xor_b32_e32 v151, s19, v151
	v_xor_b32_e32 v154, s21, v154
	ds_load_b32 v150, v63 offset:544
	v_mul_u32_u24_e32 v63, 36, v152
	v_xor_b32_e32 v153, s20, v153
	v_xor_b32_e32 v155, s22, v155
	; wave barrier
	s_delay_alu instid0(VALU_DEP_3) | instskip(NEXT) | instid1(VALU_DEP_3)
	v_add_nc_u32_e32 v152, v114, v63
	v_bitop3_b32 v62, v62, v153, v151 bitop3:0x80
	s_delay_alu instid0(VALU_DEP_1) | instskip(NEXT) | instid1(VALU_DEP_1)
	v_bitop3_b32 v62, v62, v155, v154 bitop3:0x80
	v_mbcnt_lo_u32_b32 v151, v62, 0
	v_cmp_ne_u32_e64 s17, 0, v62
	s_delay_alu instid0(VALU_DEP_2) | instskip(SKIP_1) | instid1(SALU_CYCLE_1)
	v_cmp_eq_u32_e32 vcc_lo, 0, v151
	s_and_b32 s18, s17, vcc_lo
	s_and_saveexec_b32 s17, s18
	s_cbranch_execz .LBB317_1067
; %bb.1066:                             ;   in Loop: Header=BB317_1040 Depth=2
	s_wait_dscnt 0x0
	v_bcnt_u32_b32 v62, v62, v150
	ds_store_b32 v152, v62 offset:544
.LBB317_1067:                           ;   in Loop: Header=BB317_1040 Depth=2
	s_or_b32 exec_lo, exec_lo, s17
	v_bfe_u32 v62, v148, 16, 8
	; wave barrier
	s_delay_alu instid0(VALU_DEP_1) | instskip(NEXT) | instid1(VALU_DEP_1)
	v_lshrrev_b32_e32 v62, s49, v62
	v_and_b32_e32 v155, s58, v62
	s_delay_alu instid0(VALU_DEP_1) | instskip(SKIP_1) | instid1(VALU_DEP_1)
	v_lshlrev_b32_e32 v153, 30, v155
	v_bitop3_b32 v63, v62, 1, s58 bitop3:0x80
	v_add_co_u32 v62, s17, v63, -1
	s_delay_alu instid0(VALU_DEP_1) | instskip(NEXT) | instid1(VALU_DEP_4)
	v_cndmask_b32_e64 v63, 0, 1, s17
	v_cmp_gt_i32_e64 s17, 0, v153
	s_delay_alu instid0(VALU_DEP_2) | instskip(SKIP_2) | instid1(VALU_DEP_2)
	v_cmp_ne_u32_e32 vcc_lo, 0, v63
	v_not_b32_e32 v63, v153
	v_bitop3_b32 v62, vcc_lo, exec_lo, v62 bitop3:0x48
	v_ashrrev_i32_e32 v63, 31, v63
	v_dual_lshlrev_b32 v154, 29, v155 :: v_dual_lshlrev_b32 v156, 28, v155
	v_dual_lshlrev_b32 v157, 27, v155 :: v_dual_lshlrev_b32 v158, 26, v155
	s_delay_alu instid0(VALU_DEP_2)
	v_not_b32_e32 v153, v154
	v_lshlrev_b32_e32 v159, 25, v155
	v_cmp_gt_i32_e64 s18, 0, v154
	v_cmp_gt_i32_e64 s19, 0, v156
	v_not_b32_e32 v154, v156
	v_not_b32_e32 v156, v157
	v_ashrrev_i32_e32 v153, 31, v153
	v_cmp_gt_i32_e64 s20, 0, v157
	v_cmp_gt_i32_e64 s21, 0, v158
	v_not_b32_e32 v157, v158
	v_dual_ashrrev_i32 v154, 31, v154 :: v_dual_ashrrev_i32 v156, 31, v156
	v_xor_b32_e32 v63, s17, v63
	v_not_b32_e32 v158, v159
	v_xor_b32_e32 v153, s18, v153
	s_delay_alu instid0(VALU_DEP_4) | instskip(SKIP_2) | instid1(VALU_DEP_4)
	v_dual_ashrrev_i32 v157, 31, v157 :: v_dual_bitop2_b32 v154, s19, v154 bitop3:0x14
	v_xor_b32_e32 v156, s20, v156
	v_cmp_gt_i32_e32 vcc_lo, 0, v159
	v_bitop3_b32 v62, v62, v153, v63 bitop3:0x80
	v_ashrrev_i32_e32 v63, 31, v158
	v_mad_u32_u24 v153, v155, 36, v114
	v_xor_b32_e32 v157, s21, v157
	s_delay_alu instid0(VALU_DEP_4) | instskip(NEXT) | instid1(VALU_DEP_4)
	v_bitop3_b32 v62, v62, v156, v154 bitop3:0x80
	v_xor_b32_e32 v63, vcc_lo, v63
	ds_load_b32 v153, v153 offset:544
	; wave barrier
	v_bitop3_b32 v62, v62, v63, v157 bitop3:0x80
	v_mul_u32_u24_e32 v63, 36, v155
	s_delay_alu instid0(VALU_DEP_2) | instskip(SKIP_1) | instid1(VALU_DEP_3)
	v_mbcnt_lo_u32_b32 v154, v62, 0
	v_cmp_ne_u32_e64 s17, 0, v62
	v_add_nc_u32_e32 v156, v114, v63
	s_delay_alu instid0(VALU_DEP_3) | instskip(SKIP_1) | instid1(SALU_CYCLE_1)
	v_cmp_eq_u32_e32 vcc_lo, 0, v154
	s_and_b32 s18, s17, vcc_lo
	s_and_saveexec_b32 s17, s18
	s_cbranch_execz .LBB317_1069
; %bb.1068:                             ;   in Loop: Header=BB317_1040 Depth=2
	s_wait_dscnt 0x0
	v_bcnt_u32_b32 v62, v62, v153
	ds_store_b32 v156, v62 offset:544
.LBB317_1069:                           ;   in Loop: Header=BB317_1040 Depth=2
	s_or_b32 exec_lo, exec_lo, s17
	v_lshrrev_b32_e32 v155, 24, v148
	; wave barrier
	s_delay_alu instid0(VALU_DEP_1) | instskip(NEXT) | instid1(VALU_DEP_1)
	v_lshrrev_b32_e32 v62, s49, v155
	v_bitop3_b32 v63, v62, 1, s58 bitop3:0x80
	v_and_b32_e32 v159, s58, v62
	s_delay_alu instid0(VALU_DEP_2) | instskip(NEXT) | instid1(VALU_DEP_1)
	v_add_co_u32 v62, s17, v63, -1
	v_cndmask_b32_e64 v63, 0, 1, s17
	s_delay_alu instid0(VALU_DEP_3) | instskip(SKIP_1) | instid1(VALU_DEP_3)
	v_dual_lshlrev_b32 v157, 30, v159 :: v_dual_lshlrev_b32 v158, 29, v159
	v_dual_lshlrev_b32 v160, 28, v159 :: v_dual_lshlrev_b32 v161, 27, v159
	v_cmp_ne_u32_e32 vcc_lo, 0, v63
	s_delay_alu instid0(VALU_DEP_3)
	v_cmp_gt_i32_e64 s17, 0, v157
	v_not_b32_e32 v63, v157
	v_not_b32_e32 v157, v158
	v_dual_lshlrev_b32 v162, 26, v159 :: v_dual_lshlrev_b32 v163, 25, v159
	v_cmp_gt_i32_e64 s18, 0, v158
	v_cmp_gt_i32_e64 s19, 0, v160
	v_not_b32_e32 v158, v160
	v_not_b32_e32 v160, v161
	v_dual_ashrrev_i32 v63, 31, v63 :: v_dual_ashrrev_i32 v157, 31, v157
	v_cmp_gt_i32_e64 s20, 0, v161
	v_cmp_gt_i32_e64 s21, 0, v162
	v_not_b32_e32 v161, v162
	v_bitop3_b32 v62, vcc_lo, exec_lo, v62 bitop3:0x48
	v_dual_ashrrev_i32 v158, 31, v158 :: v_dual_ashrrev_i32 v160, 31, v160
	v_xor_b32_e32 v63, s17, v63
	v_not_b32_e32 v162, v163
	v_xor_b32_e32 v157, s18, v157
	s_delay_alu instid0(VALU_DEP_4) | instskip(SKIP_2) | instid1(VALU_DEP_4)
	v_dual_ashrrev_i32 v161, 31, v161 :: v_dual_bitop2_b32 v158, s19, v158 bitop3:0x14
	v_xor_b32_e32 v160, s20, v160
	v_cmp_gt_i32_e32 vcc_lo, 0, v163
	v_bitop3_b32 v62, v62, v157, v63 bitop3:0x80
	v_ashrrev_i32_e32 v63, 31, v162
	v_mad_u32_u24 v157, v159, 36, v114
	v_xor_b32_e32 v161, s21, v161
	s_delay_alu instid0(VALU_DEP_4) | instskip(NEXT) | instid1(VALU_DEP_4)
	v_bitop3_b32 v62, v62, v160, v158 bitop3:0x80
	v_xor_b32_e32 v63, vcc_lo, v63
	ds_load_b32 v157, v157 offset:544
	; wave barrier
	v_bitop3_b32 v62, v62, v63, v161 bitop3:0x80
	v_mul_u32_u24_e32 v63, 36, v159
	s_delay_alu instid0(VALU_DEP_2) | instskip(SKIP_1) | instid1(VALU_DEP_3)
	v_mbcnt_lo_u32_b32 v158, v62, 0
	v_cmp_ne_u32_e64 s17, 0, v62
	v_add_nc_u32_e32 v159, v114, v63
	s_delay_alu instid0(VALU_DEP_3) | instskip(SKIP_1) | instid1(SALU_CYCLE_1)
	v_cmp_eq_u32_e32 vcc_lo, 0, v158
	s_and_b32 s18, s17, vcc_lo
	s_and_saveexec_b32 s17, s18
	s_cbranch_execz .LBB317_1071
; %bb.1070:                             ;   in Loop: Header=BB317_1040 Depth=2
	s_wait_dscnt 0x0
	v_bcnt_u32_b32 v62, v62, v157
	ds_store_b32 v159, v62 offset:544
.LBB317_1071:                           ;   in Loop: Header=BB317_1040 Depth=2
	s_or_b32 exec_lo, exec_lo, s17
	v_bitop3_b16 v62, v142, s43, 0x7f bitop3:0x48
	; wave barrier
	s_delay_alu instid0(VALU_DEP_1) | instskip(NEXT) | instid1(VALU_DEP_1)
	v_and_b32_e32 v62, 0xffff, v62
	v_lshrrev_b32_e32 v62, s49, v62
	s_delay_alu instid0(VALU_DEP_1) | instskip(SKIP_1) | instid1(VALU_DEP_2)
	v_bitop3_b32 v63, v62, 1, s58 bitop3:0x80
	v_and_b32_e32 v162, s58, v62
	v_add_co_u32 v62, s17, v63, -1
	s_delay_alu instid0(VALU_DEP_1) | instskip(NEXT) | instid1(VALU_DEP_3)
	v_cndmask_b32_e64 v63, 0, 1, s17
	v_dual_lshlrev_b32 v160, 30, v162 :: v_dual_lshlrev_b32 v161, 29, v162
	s_delay_alu instid0(VALU_DEP_2) | instskip(NEXT) | instid1(VALU_DEP_2)
	v_cmp_ne_u32_e32 vcc_lo, 0, v63
	v_cmp_gt_i32_e64 s17, 0, v160
	v_not_b32_e32 v63, v160
	s_delay_alu instid0(VALU_DEP_4) | instskip(SKIP_2) | instid1(VALU_DEP_3)
	v_not_b32_e32 v160, v161
	v_cmp_gt_i32_e64 s18, 0, v161
	v_bitop3_b32 v62, vcc_lo, exec_lo, v62 bitop3:0x48
	v_dual_ashrrev_i32 v63, 31, v63 :: v_dual_ashrrev_i32 v160, 31, v160
	v_dual_lshlrev_b32 v163, 28, v162 :: v_dual_lshlrev_b32 v164, 27, v162
	v_dual_lshlrev_b32 v165, 26, v162 :: v_dual_lshlrev_b32 v166, 25, v162
	s_delay_alu instid0(VALU_DEP_2) | instskip(SKIP_1) | instid1(VALU_DEP_4)
	v_cmp_gt_i32_e64 s19, 0, v163
	v_not_b32_e32 v161, v163
	v_cmp_gt_i32_e64 s20, 0, v164
	v_not_b32_e32 v163, v164
	;; [unrolled: 2-line block ×3, first 2 shown]
	v_not_b32_e32 v165, v166
	v_xor_b32_e32 v63, s17, v63
	v_dual_ashrrev_i32 v161, 31, v161 :: v_dual_bitop2_b32 v160, s18, v160 bitop3:0x14
	s_delay_alu instid0(VALU_DEP_4) | instskip(NEXT) | instid1(VALU_DEP_4)
	v_dual_ashrrev_i32 v163, 31, v163 :: v_dual_ashrrev_i32 v164, 31, v164
	v_ashrrev_i32_e32 v165, 31, v165
	s_delay_alu instid0(VALU_DEP_3)
	v_bitop3_b32 v62, v62, v160, v63 bitop3:0x80
	v_mad_u32_u24 v63, v162, 36, v114
	v_cmp_gt_i32_e64 s22, 0, v166
	v_xor_b32_e32 v163, s20, v163
	v_xor_b32_e32 v164, s21, v164
	ds_load_b32 v160, v63 offset:544
	v_mul_u32_u24_e32 v63, 36, v162
	v_xor_b32_e32 v161, s19, v161
	v_xor_b32_e32 v165, s22, v165
	; wave barrier
	s_delay_alu instid0(VALU_DEP_3) | instskip(NEXT) | instid1(VALU_DEP_3)
	v_add_nc_u32_e32 v162, v114, v63
	v_bitop3_b32 v62, v62, v163, v161 bitop3:0x80
	s_delay_alu instid0(VALU_DEP_1) | instskip(NEXT) | instid1(VALU_DEP_1)
	v_bitop3_b32 v62, v62, v165, v164 bitop3:0x80
	v_mbcnt_lo_u32_b32 v161, v62, 0
	v_cmp_ne_u32_e64 s17, 0, v62
	s_delay_alu instid0(VALU_DEP_2) | instskip(SKIP_1) | instid1(SALU_CYCLE_1)
	v_cmp_eq_u32_e32 vcc_lo, 0, v161
	s_and_b32 s18, s17, vcc_lo
	s_and_saveexec_b32 s17, s18
	s_cbranch_execz .LBB317_1073
; %bb.1072:                             ;   in Loop: Header=BB317_1040 Depth=2
	s_wait_dscnt 0x0
	v_bcnt_u32_b32 v62, v62, v160
	ds_store_b32 v162, v62 offset:544
.LBB317_1073:                           ;   in Loop: Header=BB317_1040 Depth=2
	s_or_b32 exec_lo, exec_lo, s17
	v_xor_b32_e32 v62, 0x7f, v145
	v_xor_b32_e32 v63, 0x7f, v144
	;; [unrolled: 1-line block ×4, first 2 shown]
	s_delay_alu instid0(VALU_DEP_4) | instskip(NEXT) | instid1(VALU_DEP_4)
	v_lshlrev_b16 v62, 8, v62
	v_lshlrev_b16 v63, 8, v63
	; wave barrier
	s_delay_alu instid0(VALU_DEP_2) | instskip(NEXT) | instid1(VALU_DEP_2)
	v_bitop3_b16 v142, v142, v62, 0xff bitop3:0xec
	v_bitop3_b16 v62, v143, v63, 0xff bitop3:0xec
	s_delay_alu instid0(VALU_DEP_2) | instskip(NEXT) | instid1(VALU_DEP_2)
	v_and_b32_e32 v63, 0xffff, v142
	v_lshlrev_b32_e32 v62, 16, v62
	s_delay_alu instid0(VALU_DEP_1) | instskip(NEXT) | instid1(VALU_DEP_1)
	v_or_b32_e32 v143, v63, v62
	v_bfe_u32 v62, v143, 8, 8
	s_delay_alu instid0(VALU_DEP_1) | instskip(NEXT) | instid1(VALU_DEP_1)
	v_lshrrev_b32_e32 v62, s49, v62
	v_bitop3_b32 v63, v62, 1, s58 bitop3:0x80
	v_and_b32_e32 v163, s58, v62
	s_delay_alu instid0(VALU_DEP_2) | instskip(NEXT) | instid1(VALU_DEP_1)
	v_add_co_u32 v62, s17, v63, -1
	v_cndmask_b32_e64 v63, 0, 1, s17
	s_delay_alu instid0(VALU_DEP_3) | instskip(NEXT) | instid1(VALU_DEP_2)
	v_lshlrev_b32_e32 v144, 30, v163
	v_cmp_ne_u32_e32 vcc_lo, 0, v63
	s_delay_alu instid0(VALU_DEP_2) | instskip(SKIP_2) | instid1(VALU_DEP_3)
	v_not_b32_e32 v63, v144
	v_cmp_gt_i32_e64 s17, 0, v144
	v_bitop3_b32 v62, vcc_lo, exec_lo, v62 bitop3:0x48
	v_ashrrev_i32_e32 v63, 31, v63
	v_dual_lshlrev_b32 v145, 29, v163 :: v_dual_lshlrev_b32 v164, 28, v163
	v_dual_lshlrev_b32 v165, 27, v163 :: v_dual_lshlrev_b32 v166, 26, v163
	s_delay_alu instid0(VALU_DEP_2)
	v_not_b32_e32 v144, v145
	v_lshlrev_b32_e32 v167, 25, v163
	v_cmp_gt_i32_e64 s18, 0, v145
	v_cmp_gt_i32_e64 s19, 0, v164
	v_not_b32_e32 v145, v164
	v_ashrrev_i32_e32 v144, 31, v144
	v_cmp_gt_i32_e64 s20, 0, v165
	v_not_b32_e32 v164, v165
	v_cmp_gt_i32_e64 s21, 0, v166
	v_not_b32_e32 v165, v166
	v_not_b32_e32 v166, v167
	v_xor_b32_e32 v63, s17, v63
	v_dual_ashrrev_i32 v145, 31, v145 :: v_dual_bitop2_b32 v144, s18, v144 bitop3:0x14
	s_delay_alu instid0(VALU_DEP_4) | instskip(NEXT) | instid1(VALU_DEP_4)
	v_dual_ashrrev_i32 v164, 31, v164 :: v_dual_ashrrev_i32 v165, 31, v165
	v_ashrrev_i32_e32 v166, 31, v166
	s_delay_alu instid0(VALU_DEP_3)
	v_bitop3_b32 v62, v62, v144, v63 bitop3:0x80
	v_mad_u32_u24 v63, v163, 36, v114
	v_cmp_gt_i32_e64 s22, 0, v167
	v_xor_b32_e32 v164, s20, v164
	v_xor_b32_e32 v165, s21, v165
	ds_load_b32 v144, v63 offset:544
	v_mul_u32_u24_e32 v63, 36, v163
	v_xor_b32_e32 v145, s19, v145
	v_xor_b32_e32 v166, s22, v166
	; wave barrier
	s_delay_alu instid0(VALU_DEP_3) | instskip(NEXT) | instid1(VALU_DEP_3)
	v_add_nc_u32_e32 v163, v114, v63
	v_bitop3_b32 v62, v62, v164, v145 bitop3:0x80
	s_delay_alu instid0(VALU_DEP_1) | instskip(NEXT) | instid1(VALU_DEP_1)
	v_bitop3_b32 v62, v62, v166, v165 bitop3:0x80
	v_mbcnt_lo_u32_b32 v145, v62, 0
	v_cmp_ne_u32_e64 s17, 0, v62
	s_delay_alu instid0(VALU_DEP_2) | instskip(SKIP_1) | instid1(SALU_CYCLE_1)
	v_cmp_eq_u32_e32 vcc_lo, 0, v145
	s_and_b32 s18, s17, vcc_lo
	s_and_saveexec_b32 s17, s18
	s_cbranch_execz .LBB317_1075
; %bb.1074:                             ;   in Loop: Header=BB317_1040 Depth=2
	s_wait_dscnt 0x0
	v_bcnt_u32_b32 v62, v62, v144
	ds_store_b32 v163, v62 offset:544
.LBB317_1075:                           ;   in Loop: Header=BB317_1040 Depth=2
	s_or_b32 exec_lo, exec_lo, s17
	v_bfe_u32 v62, v143, 16, 8
	; wave barrier
	s_delay_alu instid0(VALU_DEP_1) | instskip(NEXT) | instid1(VALU_DEP_1)
	v_lshrrev_b32_e32 v62, s49, v62
	v_bitop3_b32 v63, v62, 1, s58 bitop3:0x80
	v_and_b32_e32 v166, s58, v62
	s_delay_alu instid0(VALU_DEP_2) | instskip(NEXT) | instid1(VALU_DEP_1)
	v_add_co_u32 v62, s17, v63, -1
	v_cndmask_b32_e64 v63, 0, 1, s17
	s_delay_alu instid0(VALU_DEP_3) | instskip(NEXT) | instid1(VALU_DEP_2)
	v_dual_lshlrev_b32 v164, 30, v166 :: v_dual_lshlrev_b32 v165, 29, v166
	v_cmp_ne_u32_e32 vcc_lo, 0, v63
	s_delay_alu instid0(VALU_DEP_2) | instskip(SKIP_1) | instid1(VALU_DEP_4)
	v_cmp_gt_i32_e64 s17, 0, v164
	v_not_b32_e32 v63, v164
	v_not_b32_e32 v164, v165
	v_cmp_gt_i32_e64 s18, 0, v165
	v_bitop3_b32 v62, vcc_lo, exec_lo, v62 bitop3:0x48
	s_delay_alu instid0(VALU_DEP_3) | instskip(SKIP_2) | instid1(VALU_DEP_2)
	v_dual_ashrrev_i32 v63, 31, v63 :: v_dual_ashrrev_i32 v164, 31, v164
	v_dual_lshlrev_b32 v167, 28, v166 :: v_dual_lshlrev_b32 v168, 27, v166
	v_dual_lshlrev_b32 v169, 26, v166 :: v_dual_lshlrev_b32 v170, 25, v166
	v_cmp_gt_i32_e64 s19, 0, v167
	v_not_b32_e32 v165, v167
	s_delay_alu instid0(VALU_DEP_4) | instskip(SKIP_3) | instid1(VALU_DEP_4)
	v_not_b32_e32 v167, v168
	v_cmp_gt_i32_e64 s20, 0, v168
	v_cmp_gt_i32_e64 s21, 0, v169
	v_not_b32_e32 v168, v169
	v_dual_ashrrev_i32 v165, 31, v165 :: v_dual_ashrrev_i32 v167, 31, v167
	v_xor_b32_e32 v63, s17, v63
	v_not_b32_e32 v169, v170
	v_xor_b32_e32 v164, s18, v164
	s_delay_alu instid0(VALU_DEP_4) | instskip(SKIP_2) | instid1(VALU_DEP_4)
	v_dual_ashrrev_i32 v168, 31, v168 :: v_dual_bitop2_b32 v165, s19, v165 bitop3:0x14
	v_xor_b32_e32 v167, s20, v167
	v_cmp_gt_i32_e32 vcc_lo, 0, v170
	v_bitop3_b32 v62, v62, v164, v63 bitop3:0x80
	v_ashrrev_i32_e32 v63, 31, v169
	v_mad_u32_u24 v164, v166, 36, v114
	v_xor_b32_e32 v168, s21, v168
	s_delay_alu instid0(VALU_DEP_4) | instskip(NEXT) | instid1(VALU_DEP_4)
	v_bitop3_b32 v62, v62, v167, v165 bitop3:0x80
	v_xor_b32_e32 v63, vcc_lo, v63
	ds_load_b32 v164, v164 offset:544
	; wave barrier
	v_bitop3_b32 v62, v62, v63, v168 bitop3:0x80
	v_mul_u32_u24_e32 v63, 36, v166
	s_delay_alu instid0(VALU_DEP_2) | instskip(SKIP_1) | instid1(VALU_DEP_3)
	v_mbcnt_lo_u32_b32 v165, v62, 0
	v_cmp_ne_u32_e64 s17, 0, v62
	v_add_nc_u32_e32 v167, v114, v63
	s_delay_alu instid0(VALU_DEP_3) | instskip(SKIP_1) | instid1(SALU_CYCLE_1)
	v_cmp_eq_u32_e32 vcc_lo, 0, v165
	s_and_b32 s18, s17, vcc_lo
	s_and_saveexec_b32 s17, s18
	s_cbranch_execz .LBB317_1077
; %bb.1076:                             ;   in Loop: Header=BB317_1040 Depth=2
	s_wait_dscnt 0x0
	v_bcnt_u32_b32 v62, v62, v164
	ds_store_b32 v167, v62 offset:544
.LBB317_1077:                           ;   in Loop: Header=BB317_1040 Depth=2
	s_or_b32 exec_lo, exec_lo, s17
	v_lshrrev_b32_e32 v166, 24, v143
	; wave barrier
	s_delay_alu instid0(VALU_DEP_1) | instskip(NEXT) | instid1(VALU_DEP_1)
	v_lshrrev_b32_e32 v62, s49, v166
	v_bitop3_b32 v63, v62, 1, s58 bitop3:0x80
	v_and_b32_e32 v170, s58, v62
	s_delay_alu instid0(VALU_DEP_2) | instskip(NEXT) | instid1(VALU_DEP_1)
	v_add_co_u32 v62, s17, v63, -1
	v_cndmask_b32_e64 v63, 0, 1, s17
	s_delay_alu instid0(VALU_DEP_3) | instskip(SKIP_1) | instid1(VALU_DEP_3)
	v_dual_lshlrev_b32 v168, 30, v170 :: v_dual_lshlrev_b32 v169, 29, v170
	v_dual_lshlrev_b32 v171, 28, v170 :: v_dual_lshlrev_b32 v172, 27, v170
	v_cmp_ne_u32_e32 vcc_lo, 0, v63
	s_delay_alu instid0(VALU_DEP_3)
	v_cmp_gt_i32_e64 s17, 0, v168
	v_not_b32_e32 v63, v168
	v_not_b32_e32 v168, v169
	v_dual_lshlrev_b32 v173, 26, v170 :: v_dual_lshlrev_b32 v174, 25, v170
	v_cmp_gt_i32_e64 s18, 0, v169
	v_cmp_gt_i32_e64 s19, 0, v171
	v_not_b32_e32 v169, v171
	v_not_b32_e32 v171, v172
	v_dual_ashrrev_i32 v63, 31, v63 :: v_dual_ashrrev_i32 v168, 31, v168
	v_cmp_gt_i32_e64 s20, 0, v172
	v_cmp_gt_i32_e64 s21, 0, v173
	v_not_b32_e32 v172, v173
	v_bitop3_b32 v62, vcc_lo, exec_lo, v62 bitop3:0x48
	v_dual_ashrrev_i32 v169, 31, v169 :: v_dual_ashrrev_i32 v171, 31, v171
	v_xor_b32_e32 v168, s18, v168
	s_delay_alu instid0(VALU_DEP_4) | instskip(SKIP_1) | instid1(VALU_DEP_4)
	v_dual_ashrrev_i32 v172, 31, v172 :: v_dual_bitop2_b32 v63, s17, v63 bitop3:0x14
	v_not_b32_e32 v173, v174
	v_xor_b32_e32 v169, s19, v169
	v_xor_b32_e32 v171, s20, v171
	s_delay_alu instid0(VALU_DEP_4)
	v_bitop3_b32 v62, v62, v168, v63 bitop3:0x80
	v_cmp_gt_i32_e32 vcc_lo, 0, v174
	v_ashrrev_i32_e32 v63, 31, v173
	v_mad_u32_u24 v168, v170, 36, v114
	v_xor_b32_e32 v172, s21, v172
	v_bitop3_b32 v62, v62, v171, v169 bitop3:0x80
	s_delay_alu instid0(VALU_DEP_4) | instskip(SKIP_3) | instid1(VALU_DEP_2)
	v_xor_b32_e32 v63, vcc_lo, v63
	ds_load_b32 v168, v168 offset:544
	; wave barrier
	v_bitop3_b32 v62, v62, v63, v172 bitop3:0x80
	v_mul_u32_u24_e32 v63, 36, v170
	v_mbcnt_lo_u32_b32 v169, v62, 0
	v_cmp_ne_u32_e64 s17, 0, v62
	s_delay_alu instid0(VALU_DEP_3) | instskip(NEXT) | instid1(VALU_DEP_3)
	v_add_nc_u32_e32 v170, v114, v63
	v_cmp_eq_u32_e32 vcc_lo, 0, v169
	s_and_b32 s18, s17, vcc_lo
	s_delay_alu instid0(SALU_CYCLE_1)
	s_and_saveexec_b32 s17, s18
	s_cbranch_execz .LBB317_1079
; %bb.1078:                             ;   in Loop: Header=BB317_1040 Depth=2
	s_wait_dscnt 0x0
	v_bcnt_u32_b32 v62, v62, v168
	ds_store_b32 v170, v62 offset:544
.LBB317_1079:                           ;   in Loop: Header=BB317_1040 Depth=2
	s_or_b32 exec_lo, exec_lo, s17
	v_bitop3_b16 v62, v138, s43, 0x7f bitop3:0x48
	; wave barrier
	s_delay_alu instid0(VALU_DEP_1) | instskip(NEXT) | instid1(VALU_DEP_1)
	v_and_b32_e32 v62, 0xffff, v62
	v_lshrrev_b32_e32 v62, s49, v62
	s_delay_alu instid0(VALU_DEP_1) | instskip(NEXT) | instid1(VALU_DEP_1)
	v_and_b32_e32 v173, s58, v62
	v_lshlrev_b32_e32 v171, 30, v173
	v_bitop3_b32 v63, v62, 1, s58 bitop3:0x80
	s_delay_alu instid0(VALU_DEP_1) | instskip(NEXT) | instid1(VALU_DEP_1)
	v_add_co_u32 v62, s17, v63, -1
	v_cndmask_b32_e64 v63, 0, 1, s17
	s_delay_alu instid0(VALU_DEP_4) | instskip(NEXT) | instid1(VALU_DEP_2)
	v_cmp_gt_i32_e64 s17, 0, v171
	v_cmp_ne_u32_e32 vcc_lo, 0, v63
	v_not_b32_e32 v63, v171
	v_bitop3_b32 v62, vcc_lo, exec_lo, v62 bitop3:0x48
	s_delay_alu instid0(VALU_DEP_2) | instskip(SKIP_2) | instid1(VALU_DEP_3)
	v_dual_ashrrev_i32 v63, 31, v63 :: v_dual_lshlrev_b32 v172, 29, v173
	v_dual_lshlrev_b32 v174, 28, v173 :: v_dual_lshlrev_b32 v175, 27, v173
	v_lshlrev_b32_e32 v176, 26, v173
	v_not_b32_e32 v171, v172
	v_lshlrev_b32_e32 v177, 25, v173
	v_cmp_gt_i32_e64 s18, 0, v172
	v_cmp_gt_i32_e64 s19, 0, v174
	v_not_b32_e32 v172, v174
	v_ashrrev_i32_e32 v171, 31, v171
	v_cmp_gt_i32_e64 s20, 0, v175
	v_not_b32_e32 v174, v175
	v_cmp_gt_i32_e64 s21, 0, v176
	v_not_b32_e32 v175, v176
	v_not_b32_e32 v176, v177
	v_xor_b32_e32 v63, s17, v63
	v_dual_ashrrev_i32 v172, 31, v172 :: v_dual_bitop2_b32 v171, s18, v171 bitop3:0x14
	s_delay_alu instid0(VALU_DEP_3) | instskip(SKIP_1) | instid1(VALU_DEP_3)
	v_dual_ashrrev_i32 v174, 31, v174 :: v_dual_ashrrev_i32 v176, 31, v176
	v_cmp_gt_i32_e64 s22, 0, v177
	v_bitop3_b32 v62, v62, v171, v63 bitop3:0x80
	v_mad_u32_u24 v63, v173, 36, v114
	v_dual_ashrrev_i32 v175, 31, v175 :: v_dual_bitop2_b32 v172, s19, v172 bitop3:0x14
	s_delay_alu instid0(VALU_DEP_4) | instskip(SKIP_4) | instid1(VALU_DEP_3)
	v_xor_b32_e32 v176, s22, v176
	ds_load_b32 v171, v63 offset:544
	v_mul_u32_u24_e32 v63, 36, v173
	v_xor_b32_e32 v174, s20, v174
	v_xor_b32_e32 v175, s21, v175
	; wave barrier
	v_add_nc_u32_e32 v173, v114, v63
	s_delay_alu instid0(VALU_DEP_3) | instskip(NEXT) | instid1(VALU_DEP_1)
	v_bitop3_b32 v62, v62, v174, v172 bitop3:0x80
	v_bitop3_b32 v62, v62, v176, v175 bitop3:0x80
	s_delay_alu instid0(VALU_DEP_1) | instskip(SKIP_1) | instid1(VALU_DEP_2)
	v_mbcnt_lo_u32_b32 v172, v62, 0
	v_cmp_ne_u32_e64 s17, 0, v62
	v_cmp_eq_u32_e32 vcc_lo, 0, v172
	s_and_b32 s18, s17, vcc_lo
	s_delay_alu instid0(SALU_CYCLE_1)
	s_and_saveexec_b32 s17, s18
	s_cbranch_execz .LBB317_1081
; %bb.1080:                             ;   in Loop: Header=BB317_1040 Depth=2
	s_wait_dscnt 0x0
	v_bcnt_u32_b32 v62, v62, v171
	ds_store_b32 v173, v62 offset:544
.LBB317_1081:                           ;   in Loop: Header=BB317_1040 Depth=2
	s_or_b32 exec_lo, exec_lo, s17
	v_xor_b32_e32 v62, 0x7f, v141
	v_xor_b32_e32 v63, 0x7f, v140
	v_xor_b32_e32 v138, 0x7f, v138
	v_xor_b32_e32 v139, 0x7f, v139
	s_delay_alu instid0(VALU_DEP_4) | instskip(NEXT) | instid1(VALU_DEP_4)
	v_lshlrev_b16 v62, 8, v62
	v_lshlrev_b16 v63, 8, v63
	; wave barrier
	s_delay_alu instid0(VALU_DEP_2) | instskip(NEXT) | instid1(VALU_DEP_2)
	v_bitop3_b16 v138, v138, v62, 0xff bitop3:0xec
	v_bitop3_b16 v62, v139, v63, 0xff bitop3:0xec
	s_delay_alu instid0(VALU_DEP_2) | instskip(NEXT) | instid1(VALU_DEP_2)
	v_and_b32_e32 v63, 0xffff, v138
	v_lshlrev_b32_e32 v62, 16, v62
	s_delay_alu instid0(VALU_DEP_1) | instskip(NEXT) | instid1(VALU_DEP_1)
	v_or_b32_e32 v139, v63, v62
	v_bfe_u32 v62, v139, 8, 8
	s_delay_alu instid0(VALU_DEP_1) | instskip(NEXT) | instid1(VALU_DEP_1)
	v_lshrrev_b32_e32 v62, s49, v62
	v_bitop3_b32 v63, v62, 1, s58 bitop3:0x80
	v_and_b32_e32 v174, s58, v62
	s_delay_alu instid0(VALU_DEP_2) | instskip(NEXT) | instid1(VALU_DEP_1)
	v_add_co_u32 v62, s17, v63, -1
	v_cndmask_b32_e64 v63, 0, 1, s17
	s_delay_alu instid0(VALU_DEP_3) | instskip(NEXT) | instid1(VALU_DEP_2)
	v_dual_lshlrev_b32 v140, 30, v174 :: v_dual_lshlrev_b32 v141, 29, v174
	v_cmp_ne_u32_e32 vcc_lo, 0, v63
	s_delay_alu instid0(VALU_DEP_2) | instskip(SKIP_1) | instid1(VALU_DEP_4)
	v_cmp_gt_i32_e64 s17, 0, v140
	v_not_b32_e32 v63, v140
	v_not_b32_e32 v140, v141
	v_cmp_gt_i32_e64 s18, 0, v141
	v_bitop3_b32 v62, vcc_lo, exec_lo, v62 bitop3:0x48
	s_delay_alu instid0(VALU_DEP_3) | instskip(SKIP_2) | instid1(VALU_DEP_2)
	v_dual_ashrrev_i32 v63, 31, v63 :: v_dual_ashrrev_i32 v140, 31, v140
	v_dual_lshlrev_b32 v175, 28, v174 :: v_dual_lshlrev_b32 v176, 27, v174
	v_dual_lshlrev_b32 v177, 26, v174 :: v_dual_lshlrev_b32 v178, 25, v174
	v_cmp_gt_i32_e64 s19, 0, v175
	v_not_b32_e32 v141, v175
	s_delay_alu instid0(VALU_DEP_4)
	v_cmp_gt_i32_e64 s20, 0, v176
	v_not_b32_e32 v175, v176
	v_cmp_gt_i32_e64 s21, 0, v177
	v_not_b32_e32 v176, v177
	v_not_b32_e32 v177, v178
	v_xor_b32_e32 v63, s17, v63
	v_dual_ashrrev_i32 v141, 31, v141 :: v_dual_bitop2_b32 v140, s18, v140 bitop3:0x14
	s_delay_alu instid0(VALU_DEP_4) | instskip(NEXT) | instid1(VALU_DEP_4)
	v_dual_ashrrev_i32 v175, 31, v175 :: v_dual_ashrrev_i32 v176, 31, v176
	v_ashrrev_i32_e32 v177, 31, v177
	s_delay_alu instid0(VALU_DEP_3)
	v_bitop3_b32 v62, v62, v140, v63 bitop3:0x80
	v_mad_u32_u24 v63, v174, 36, v114
	v_cmp_gt_i32_e64 s22, 0, v178
	v_xor_b32_e32 v175, s20, v175
	v_xor_b32_e32 v176, s21, v176
	ds_load_b32 v140, v63 offset:544
	v_mul_u32_u24_e32 v63, 36, v174
	v_xor_b32_e32 v141, s19, v141
	v_xor_b32_e32 v177, s22, v177
	; wave barrier
	s_delay_alu instid0(VALU_DEP_3) | instskip(NEXT) | instid1(VALU_DEP_3)
	v_add_nc_u32_e32 v174, v114, v63
	v_bitop3_b32 v62, v62, v175, v141 bitop3:0x80
	s_delay_alu instid0(VALU_DEP_1) | instskip(NEXT) | instid1(VALU_DEP_1)
	v_bitop3_b32 v62, v62, v177, v176 bitop3:0x80
	v_mbcnt_lo_u32_b32 v141, v62, 0
	v_cmp_ne_u32_e64 s17, 0, v62
	s_delay_alu instid0(VALU_DEP_2) | instskip(SKIP_1) | instid1(SALU_CYCLE_1)
	v_cmp_eq_u32_e32 vcc_lo, 0, v141
	s_and_b32 s18, s17, vcc_lo
	s_and_saveexec_b32 s17, s18
	s_cbranch_execz .LBB317_1083
; %bb.1082:                             ;   in Loop: Header=BB317_1040 Depth=2
	s_wait_dscnt 0x0
	v_bcnt_u32_b32 v62, v62, v140
	ds_store_b32 v174, v62 offset:544
.LBB317_1083:                           ;   in Loop: Header=BB317_1040 Depth=2
	s_or_b32 exec_lo, exec_lo, s17
	v_bfe_u32 v62, v139, 16, 8
	; wave barrier
	s_delay_alu instid0(VALU_DEP_1) | instskip(NEXT) | instid1(VALU_DEP_1)
	v_lshrrev_b32_e32 v62, s49, v62
	v_and_b32_e32 v177, s58, v62
	s_delay_alu instid0(VALU_DEP_1) | instskip(SKIP_1) | instid1(VALU_DEP_1)
	v_lshlrev_b32_e32 v175, 30, v177
	v_bitop3_b32 v63, v62, 1, s58 bitop3:0x80
	v_add_co_u32 v62, s17, v63, -1
	s_delay_alu instid0(VALU_DEP_1) | instskip(NEXT) | instid1(VALU_DEP_4)
	v_cndmask_b32_e64 v63, 0, 1, s17
	v_cmp_gt_i32_e64 s17, 0, v175
	s_delay_alu instid0(VALU_DEP_2) | instskip(SKIP_2) | instid1(VALU_DEP_2)
	v_cmp_ne_u32_e32 vcc_lo, 0, v63
	v_not_b32_e32 v63, v175
	v_bitop3_b32 v62, vcc_lo, exec_lo, v62 bitop3:0x48
	v_dual_ashrrev_i32 v63, 31, v63 :: v_dual_lshlrev_b32 v176, 29, v177
	v_dual_lshlrev_b32 v178, 28, v177 :: v_dual_lshlrev_b32 v179, 27, v177
	s_delay_alu instid0(VALU_DEP_2) | instskip(NEXT) | instid1(VALU_DEP_3)
	v_dual_lshlrev_b32 v180, 26, v177 :: v_dual_bitop2_b32 v63, s17, v63 bitop3:0x14
	v_not_b32_e32 v175, v176
	v_lshlrev_b32_e32 v181, 25, v177
	v_cmp_gt_i32_e64 s18, 0, v176
	v_cmp_gt_i32_e64 s19, 0, v178
	v_not_b32_e32 v176, v178
	v_not_b32_e32 v178, v179
	v_ashrrev_i32_e32 v175, 31, v175
	v_cmp_gt_i32_e64 s20, 0, v179
	v_cmp_gt_i32_e64 s21, 0, v180
	v_not_b32_e32 v179, v180
	v_dual_ashrrev_i32 v176, 31, v176 :: v_dual_ashrrev_i32 v178, 31, v178
	v_not_b32_e32 v180, v181
	v_xor_b32_e32 v175, s18, v175
	s_delay_alu instid0(VALU_DEP_3) | instskip(NEXT) | instid1(VALU_DEP_4)
	v_dual_ashrrev_i32 v179, 31, v179 :: v_dual_bitop2_b32 v176, s19, v176 bitop3:0x14
	v_xor_b32_e32 v178, s20, v178
	v_cmp_gt_i32_e32 vcc_lo, 0, v181
	s_delay_alu instid0(VALU_DEP_4) | instskip(SKIP_3) | instid1(VALU_DEP_4)
	v_bitop3_b32 v62, v62, v175, v63 bitop3:0x80
	v_ashrrev_i32_e32 v63, 31, v180
	v_mad_u32_u24 v175, v177, 36, v114
	v_xor_b32_e32 v179, s21, v179
	v_bitop3_b32 v62, v62, v178, v176 bitop3:0x80
	s_delay_alu instid0(VALU_DEP_4) | instskip(SKIP_3) | instid1(VALU_DEP_2)
	v_xor_b32_e32 v63, vcc_lo, v63
	ds_load_b32 v175, v175 offset:544
	; wave barrier
	v_bitop3_b32 v62, v62, v63, v179 bitop3:0x80
	v_mul_u32_u24_e32 v63, 36, v177
	v_mbcnt_lo_u32_b32 v176, v62, 0
	v_cmp_ne_u32_e64 s17, 0, v62
	s_delay_alu instid0(VALU_DEP_3) | instskip(NEXT) | instid1(VALU_DEP_3)
	v_add_nc_u32_e32 v178, v114, v63
	v_cmp_eq_u32_e32 vcc_lo, 0, v176
	s_and_b32 s18, s17, vcc_lo
	s_delay_alu instid0(SALU_CYCLE_1)
	s_and_saveexec_b32 s17, s18
	s_cbranch_execz .LBB317_1085
; %bb.1084:                             ;   in Loop: Header=BB317_1040 Depth=2
	s_wait_dscnt 0x0
	v_bcnt_u32_b32 v62, v62, v175
	ds_store_b32 v178, v62 offset:544
.LBB317_1085:                           ;   in Loop: Header=BB317_1040 Depth=2
	s_or_b32 exec_lo, exec_lo, s17
	v_lshrrev_b32_e32 v177, 24, v139
	; wave barrier
	s_delay_alu instid0(VALU_DEP_1) | instskip(NEXT) | instid1(VALU_DEP_1)
	v_lshrrev_b32_e32 v62, s49, v177
	v_bitop3_b32 v63, v62, 1, s58 bitop3:0x80
	v_and_b32_e32 v181, s58, v62
	s_delay_alu instid0(VALU_DEP_2) | instskip(NEXT) | instid1(VALU_DEP_1)
	v_add_co_u32 v62, s17, v63, -1
	v_cndmask_b32_e64 v63, 0, 1, s17
	s_delay_alu instid0(VALU_DEP_3) | instskip(SKIP_1) | instid1(VALU_DEP_3)
	v_dual_lshlrev_b32 v179, 30, v181 :: v_dual_lshlrev_b32 v180, 29, v181
	v_dual_lshlrev_b32 v182, 28, v181 :: v_dual_lshlrev_b32 v183, 27, v181
	v_cmp_ne_u32_e32 vcc_lo, 0, v63
	s_delay_alu instid0(VALU_DEP_3)
	v_cmp_gt_i32_e64 s17, 0, v179
	v_not_b32_e32 v63, v179
	v_not_b32_e32 v179, v180
	v_dual_lshlrev_b32 v184, 26, v181 :: v_dual_lshlrev_b32 v185, 25, v181
	v_cmp_gt_i32_e64 s18, 0, v180
	v_cmp_gt_i32_e64 s19, 0, v182
	v_not_b32_e32 v180, v182
	v_not_b32_e32 v182, v183
	v_ashrrev_i32_e32 v63, 31, v63
	v_ashrrev_i32_e32 v179, 31, v179
	v_cmp_gt_i32_e64 s20, 0, v183
	v_cmp_gt_i32_e64 s21, 0, v184
	v_not_b32_e32 v183, v184
	v_bitop3_b32 v62, vcc_lo, exec_lo, v62 bitop3:0x48
	v_dual_ashrrev_i32 v180, 31, v180 :: v_dual_ashrrev_i32 v182, 31, v182
	v_xor_b32_e32 v63, s17, v63
	v_not_b32_e32 v184, v185
	v_xor_b32_e32 v179, s18, v179
	s_delay_alu instid0(VALU_DEP_4) | instskip(SKIP_2) | instid1(VALU_DEP_4)
	v_dual_ashrrev_i32 v183, 31, v183 :: v_dual_bitop2_b32 v180, s19, v180 bitop3:0x14
	v_xor_b32_e32 v182, s20, v182
	v_cmp_gt_i32_e32 vcc_lo, 0, v185
	v_bitop3_b32 v62, v62, v179, v63 bitop3:0x80
	v_ashrrev_i32_e32 v63, 31, v184
	v_mad_u32_u24 v179, v181, 36, v114
	v_xor_b32_e32 v183, s21, v183
	s_delay_alu instid0(VALU_DEP_4) | instskip(NEXT) | instid1(VALU_DEP_4)
	v_bitop3_b32 v62, v62, v182, v180 bitop3:0x80
	v_xor_b32_e32 v63, vcc_lo, v63
	ds_load_b32 v179, v179 offset:544
	; wave barrier
	v_bitop3_b32 v62, v62, v63, v183 bitop3:0x80
	v_mul_u32_u24_e32 v63, 36, v181
	s_delay_alu instid0(VALU_DEP_2) | instskip(SKIP_1) | instid1(VALU_DEP_3)
	v_mbcnt_lo_u32_b32 v180, v62, 0
	v_cmp_ne_u32_e64 s17, 0, v62
	v_add_nc_u32_e32 v181, v114, v63
	s_delay_alu instid0(VALU_DEP_3) | instskip(SKIP_1) | instid1(SALU_CYCLE_1)
	v_cmp_eq_u32_e32 vcc_lo, 0, v180
	s_and_b32 s18, s17, vcc_lo
	s_and_saveexec_b32 s17, s18
	s_cbranch_execz .LBB317_1087
; %bb.1086:                             ;   in Loop: Header=BB317_1040 Depth=2
	s_wait_dscnt 0x0
	v_bcnt_u32_b32 v62, v62, v179
	ds_store_b32 v181, v62 offset:544
.LBB317_1087:                           ;   in Loop: Header=BB317_1040 Depth=2
	s_or_b32 exec_lo, exec_lo, s17
	v_bitop3_b16 v62, v64, s43, 0x7f bitop3:0x48
	; wave barrier
	s_delay_alu instid0(VALU_DEP_1) | instskip(NEXT) | instid1(VALU_DEP_1)
	v_and_b32_e32 v62, 0xffff, v62
	v_lshrrev_b32_e32 v62, s49, v62
	s_delay_alu instid0(VALU_DEP_1) | instskip(NEXT) | instid1(VALU_DEP_1)
	v_and_b32_e32 v184, s58, v62
	v_lshlrev_b32_e32 v182, 30, v184
	v_bitop3_b32 v63, v62, 1, s58 bitop3:0x80
	s_delay_alu instid0(VALU_DEP_1) | instskip(NEXT) | instid1(VALU_DEP_1)
	v_add_co_u32 v62, s17, v63, -1
	v_cndmask_b32_e64 v63, 0, 1, s17
	s_delay_alu instid0(VALU_DEP_4) | instskip(NEXT) | instid1(VALU_DEP_2)
	v_cmp_gt_i32_e64 s17, 0, v182
	v_cmp_ne_u32_e32 vcc_lo, 0, v63
	v_not_b32_e32 v63, v182
	v_bitop3_b32 v62, vcc_lo, exec_lo, v62 bitop3:0x48
	s_delay_alu instid0(VALU_DEP_2) | instskip(SKIP_2) | instid1(VALU_DEP_3)
	v_dual_ashrrev_i32 v63, 31, v63 :: v_dual_lshlrev_b32 v183, 29, v184
	v_dual_lshlrev_b32 v185, 28, v184 :: v_dual_lshlrev_b32 v186, 27, v184
	v_lshlrev_b32_e32 v187, 26, v184
	v_not_b32_e32 v182, v183
	v_lshlrev_b32_e32 v188, 25, v184
	v_cmp_gt_i32_e64 s18, 0, v183
	v_cmp_gt_i32_e64 s19, 0, v185
	v_not_b32_e32 v183, v185
	v_not_b32_e32 v185, v186
	v_ashrrev_i32_e32 v182, 31, v182
	v_cmp_gt_i32_e64 s20, 0, v186
	v_cmp_gt_i32_e64 s21, 0, v187
	v_not_b32_e32 v186, v187
	v_not_b32_e32 v187, v188
	v_dual_ashrrev_i32 v183, 31, v183 :: v_dual_ashrrev_i32 v185, 31, v185
	s_delay_alu instid0(VALU_DEP_3) | instskip(NEXT) | instid1(VALU_DEP_3)
	v_dual_ashrrev_i32 v186, 31, v186 :: v_dual_bitop2_b32 v63, s17, v63 bitop3:0x14
	v_dual_ashrrev_i32 v187, 31, v187 :: v_dual_bitop2_b32 v182, s18, v182 bitop3:0x14
	v_cmp_gt_i32_e64 s22, 0, v188
	s_delay_alu instid0(VALU_DEP_4) | instskip(SKIP_1) | instid1(VALU_DEP_4)
	v_xor_b32_e32 v183, s19, v183
	v_xor_b32_e32 v185, s20, v185
	v_bitop3_b32 v62, v62, v182, v63 bitop3:0x80
	v_mad_u32_u24 v63, v184, 36, v114
	v_xor_b32_e32 v187, s22, v187
	s_delay_alu instid0(VALU_DEP_3) | instskip(SKIP_3) | instid1(VALU_DEP_2)
	v_bitop3_b32 v62, v62, v185, v183 bitop3:0x80
	ds_load_b32 v182, v63 offset:544
	v_mul_u32_u24_e32 v63, 36, v184
	v_xor_b32_e32 v186, s21, v186
	; wave barrier
	v_add_nc_u32_e32 v185, v114, v63
	s_delay_alu instid0(VALU_DEP_2) | instskip(NEXT) | instid1(VALU_DEP_1)
	v_bitop3_b32 v62, v62, v187, v186 bitop3:0x80
	v_mbcnt_lo_u32_b32 v183, v62, 0
	v_cmp_ne_u32_e64 s17, 0, v62
	s_delay_alu instid0(VALU_DEP_2) | instskip(SKIP_1) | instid1(SALU_CYCLE_1)
	v_cmp_eq_u32_e32 vcc_lo, 0, v183
	s_and_b32 s18, s17, vcc_lo
	s_and_saveexec_b32 s17, s18
	s_cbranch_execz .LBB317_1089
; %bb.1088:                             ;   in Loop: Header=BB317_1040 Depth=2
	s_wait_dscnt 0x0
	v_bcnt_u32_b32 v62, v62, v182
	ds_store_b32 v185, v62 offset:544
.LBB317_1089:                           ;   in Loop: Header=BB317_1040 Depth=2
	s_or_b32 exec_lo, exec_lo, s17
	v_xor_b32_e32 v62, 0x7f, v136
	v_xor_b32_e32 v63, 0x7f, v135
	;; [unrolled: 1-line block ×4, first 2 shown]
	s_delay_alu instid0(VALU_DEP_4) | instskip(NEXT) | instid1(VALU_DEP_4)
	v_lshlrev_b16 v62, 8, v62
	v_lshlrev_b16 v63, 8, v63
	; wave barrier
	s_delay_alu instid0(VALU_DEP_2) | instskip(NEXT) | instid1(VALU_DEP_2)
	v_bitop3_b16 v184, v64, v62, 0xff bitop3:0xec
	v_bitop3_b16 v62, v65, v63, 0xff bitop3:0xec
	s_delay_alu instid0(VALU_DEP_2) | instskip(NEXT) | instid1(VALU_DEP_2)
	v_and_b32_e32 v63, 0xffff, v184
	v_lshlrev_b32_e32 v62, 16, v62
	s_delay_alu instid0(VALU_DEP_1) | instskip(NEXT) | instid1(VALU_DEP_1)
	v_or_b32_e32 v135, v63, v62
	v_bfe_u32 v62, v135, 8, 8
	s_delay_alu instid0(VALU_DEP_1) | instskip(NEXT) | instid1(VALU_DEP_1)
	v_lshrrev_b32_e32 v62, s49, v62
	v_bitop3_b32 v63, v62, 1, s58 bitop3:0x80
	v_and_b32_e32 v64, s58, v62
	s_delay_alu instid0(VALU_DEP_2) | instskip(NEXT) | instid1(VALU_DEP_1)
	v_add_co_u32 v62, s17, v63, -1
	v_cndmask_b32_e64 v63, 0, 1, s17
	s_delay_alu instid0(VALU_DEP_3) | instskip(NEXT) | instid1(VALU_DEP_2)
	v_lshlrev_b32_e32 v65, 30, v64
	v_cmp_ne_u32_e32 vcc_lo, 0, v63
	s_delay_alu instid0(VALU_DEP_2) | instskip(SKIP_2) | instid1(VALU_DEP_3)
	v_not_b32_e32 v63, v65
	v_cmp_gt_i32_e64 s17, 0, v65
	v_bitop3_b32 v62, vcc_lo, exec_lo, v62 bitop3:0x48
	v_dual_ashrrev_i32 v63, 31, v63 :: v_dual_lshlrev_b32 v136, 29, v64
	v_dual_lshlrev_b32 v186, 28, v64 :: v_dual_lshlrev_b32 v187, 27, v64
	v_lshlrev_b32_e32 v188, 26, v64
	s_delay_alu instid0(VALU_DEP_3)
	v_not_b32_e32 v65, v136
	v_lshlrev_b32_e32 v189, 25, v64
	v_cmp_gt_i32_e64 s18, 0, v136
	v_cmp_gt_i32_e64 s19, 0, v186
	v_not_b32_e32 v136, v186
	v_not_b32_e32 v186, v187
	v_ashrrev_i32_e32 v65, 31, v65
	v_cmp_gt_i32_e64 s20, 0, v187
	v_cmp_gt_i32_e64 s21, 0, v188
	v_not_b32_e32 v187, v188
	v_not_b32_e32 v188, v189
	v_dual_ashrrev_i32 v136, 31, v136 :: v_dual_ashrrev_i32 v186, 31, v186
	v_xor_b32_e32 v63, s17, v63
	s_delay_alu instid0(VALU_DEP_4)
	v_dual_ashrrev_i32 v187, 31, v187 :: v_dual_bitop2_b32 v65, s18, v65 bitop3:0x14
	v_cmp_gt_i32_e64 s22, 0, v189
	v_ashrrev_i32_e32 v188, 31, v188
	v_xor_b32_e32 v136, s19, v136
	v_xor_b32_e32 v186, s20, v186
	v_bitop3_b32 v62, v62, v65, v63 bitop3:0x80
	v_mad_u32_u24 v63, v64, 36, v114
	v_xor_b32_e32 v65, s21, v187
	v_xor_b32_e32 v187, s22, v188
	s_delay_alu instid0(VALU_DEP_4) | instskip(SKIP_3) | instid1(VALU_DEP_2)
	v_bitop3_b32 v62, v62, v186, v136 bitop3:0x80
	ds_load_b32 v136, v63 offset:544
	v_mul_u32_u24_e32 v63, 36, v64
	; wave barrier
	v_bitop3_b32 v62, v62, v187, v65 bitop3:0x80
	v_add_nc_u32_e32 v187, v114, v63
	s_delay_alu instid0(VALU_DEP_2) | instskip(SKIP_1) | instid1(VALU_DEP_2)
	v_mbcnt_lo_u32_b32 v186, v62, 0
	v_cmp_ne_u32_e64 s17, 0, v62
	v_cmp_eq_u32_e32 vcc_lo, 0, v186
	s_and_b32 s18, s17, vcc_lo
	s_delay_alu instid0(SALU_CYCLE_1)
	s_and_saveexec_b32 s17, s18
	s_cbranch_execz .LBB317_1091
; %bb.1090:                             ;   in Loop: Header=BB317_1040 Depth=2
	s_wait_dscnt 0x0
	v_bcnt_u32_b32 v62, v62, v136
	ds_store_b32 v187, v62 offset:544
.LBB317_1091:                           ;   in Loop: Header=BB317_1040 Depth=2
	s_or_b32 exec_lo, exec_lo, s17
	v_bfe_u32 v62, v135, 16, 8
	; wave barrier
	s_delay_alu instid0(VALU_DEP_1) | instskip(NEXT) | instid1(VALU_DEP_1)
	v_lshrrev_b32_e32 v62, s49, v62
	v_and_b32_e32 v64, s58, v62
	s_delay_alu instid0(VALU_DEP_1) | instskip(SKIP_1) | instid1(VALU_DEP_1)
	v_lshlrev_b32_e32 v65, 30, v64
	v_bitop3_b32 v63, v62, 1, s58 bitop3:0x80
	v_add_co_u32 v62, s17, v63, -1
	s_delay_alu instid0(VALU_DEP_1) | instskip(NEXT) | instid1(VALU_DEP_4)
	v_cndmask_b32_e64 v63, 0, 1, s17
	v_cmp_gt_i32_e64 s17, 0, v65
	s_delay_alu instid0(VALU_DEP_2) | instskip(SKIP_2) | instid1(VALU_DEP_2)
	v_cmp_ne_u32_e32 vcc_lo, 0, v63
	v_not_b32_e32 v63, v65
	v_bitop3_b32 v62, vcc_lo, exec_lo, v62 bitop3:0x48
	v_dual_ashrrev_i32 v63, 31, v63 :: v_dual_lshlrev_b32 v188, 29, v64
	v_dual_lshlrev_b32 v189, 28, v64 :: v_dual_lshlrev_b32 v190, 27, v64
	v_lshlrev_b32_e32 v191, 26, v64
	s_delay_alu instid0(VALU_DEP_3)
	v_not_b32_e32 v65, v188
	v_lshlrev_b32_e32 v192, 25, v64
	v_cmp_gt_i32_e64 s18, 0, v188
	v_cmp_gt_i32_e64 s19, 0, v189
	v_not_b32_e32 v188, v189
	v_not_b32_e32 v189, v190
	v_ashrrev_i32_e32 v65, 31, v65
	v_cmp_gt_i32_e64 s20, 0, v190
	v_cmp_gt_i32_e64 s21, 0, v191
	v_not_b32_e32 v190, v191
	v_dual_ashrrev_i32 v188, 31, v188 :: v_dual_ashrrev_i32 v189, 31, v189
	v_xor_b32_e32 v63, s17, v63
	v_not_b32_e32 v191, v192
	s_delay_alu instid0(VALU_DEP_4) | instskip(NEXT) | instid1(VALU_DEP_4)
	v_dual_ashrrev_i32 v190, 31, v190 :: v_dual_bitop2_b32 v65, s18, v65 bitop3:0x14
	v_xor_b32_e32 v188, s19, v188
	v_xor_b32_e32 v189, s20, v189
	v_cmp_gt_i32_e32 vcc_lo, 0, v192
	s_delay_alu instid0(VALU_DEP_4) | instskip(SKIP_3) | instid1(VALU_DEP_4)
	v_bitop3_b32 v62, v62, v65, v63 bitop3:0x80
	v_ashrrev_i32_e32 v63, 31, v191
	v_mad_u32_u24 v65, v64, 36, v114
	v_xor_b32_e32 v190, s21, v190
	v_bitop3_b32 v62, v62, v189, v188 bitop3:0x80
	s_delay_alu instid0(VALU_DEP_4) | instskip(SKIP_3) | instid1(VALU_DEP_2)
	v_xor_b32_e32 v63, vcc_lo, v63
	ds_load_b32 v188, v65 offset:544
	; wave barrier
	v_bitop3_b32 v62, v62, v63, v190 bitop3:0x80
	v_mul_u32_u24_e32 v63, 36, v64
	v_mbcnt_lo_u32_b32 v189, v62, 0
	v_cmp_ne_u32_e64 s17, 0, v62
	s_delay_alu instid0(VALU_DEP_3) | instskip(NEXT) | instid1(VALU_DEP_3)
	v_add_nc_u32_e32 v191, v114, v63
	v_cmp_eq_u32_e32 vcc_lo, 0, v189
	s_and_b32 s18, s17, vcc_lo
	s_delay_alu instid0(SALU_CYCLE_1)
	s_and_saveexec_b32 s17, s18
	s_cbranch_execz .LBB317_1093
; %bb.1092:                             ;   in Loop: Header=BB317_1040 Depth=2
	s_wait_dscnt 0x0
	v_bcnt_u32_b32 v62, v62, v188
	ds_store_b32 v191, v62 offset:544
.LBB317_1093:                           ;   in Loop: Header=BB317_1040 Depth=2
	s_or_b32 exec_lo, exec_lo, s17
	v_lshrrev_b32_e32 v190, 24, v135
	; wave barrier
	s_delay_alu instid0(VALU_DEP_1) | instskip(NEXT) | instid1(VALU_DEP_1)
	v_lshrrev_b32_e32 v62, s49, v190
	v_and_b32_e32 v64, s58, v62
	s_delay_alu instid0(VALU_DEP_1) | instskip(SKIP_3) | instid1(VALU_DEP_3)
	v_lshlrev_b32_e32 v65, 30, v64
	v_bitop3_b32 v63, v62, 1, s58 bitop3:0x80
	v_dual_lshlrev_b32 v192, 29, v64 :: v_dual_lshlrev_b32 v193, 28, v64
	v_dual_lshlrev_b32 v194, 27, v64 :: v_dual_lshlrev_b32 v195, 26, v64
	v_add_co_u32 v62, s17, v63, -1
	s_delay_alu instid0(VALU_DEP_1)
	v_cndmask_b32_e64 v63, 0, 1, s17
	v_cmp_gt_i32_e64 s17, 0, v65
	v_cmp_gt_i32_e64 s18, 0, v192
	;; [unrolled: 1-line block ×4, first 2 shown]
	v_cmp_ne_u32_e32 vcc_lo, 0, v63
	v_not_b32_e32 v63, v65
	v_not_b32_e32 v65, v192
	v_lshlrev_b32_e32 v196, 25, v64
	v_not_b32_e32 v192, v193
	v_not_b32_e32 v193, v194
	s_delay_alu instid0(VALU_DEP_4)
	v_dual_ashrrev_i32 v63, 31, v63 :: v_dual_ashrrev_i32 v65, 31, v65
	v_cmp_gt_i32_e64 s21, 0, v195
	v_not_b32_e32 v194, v195
	v_bitop3_b32 v62, vcc_lo, exec_lo, v62 bitop3:0x48
	v_dual_ashrrev_i32 v192, 31, v192 :: v_dual_ashrrev_i32 v193, 31, v193
	v_xor_b32_e32 v63, s17, v63
	s_delay_alu instid0(VALU_DEP_4) | instskip(SKIP_1) | instid1(VALU_DEP_4)
	v_dual_ashrrev_i32 v194, 31, v194 :: v_dual_bitop2_b32 v65, s18, v65 bitop3:0x14
	v_not_b32_e32 v195, v196
	v_xor_b32_e32 v192, s19, v192
	v_xor_b32_e32 v193, s20, v193
	s_delay_alu instid0(VALU_DEP_4)
	v_bitop3_b32 v62, v62, v65, v63 bitop3:0x80
	v_cmp_gt_i32_e32 vcc_lo, 0, v196
	v_ashrrev_i32_e32 v63, 31, v195
	v_mad_u32_u24 v65, v64, 36, v114
	v_xor_b32_e32 v194, s21, v194
	v_bitop3_b32 v62, v62, v193, v192 bitop3:0x80
	s_delay_alu instid0(VALU_DEP_4) | instskip(SKIP_3) | instid1(VALU_DEP_2)
	v_xor_b32_e32 v63, vcc_lo, v63
	ds_load_b32 v192, v65 offset:544
	; wave barrier
	v_bitop3_b32 v62, v62, v63, v194 bitop3:0x80
	v_mul_u32_u24_e32 v63, 36, v64
	v_mbcnt_lo_u32_b32 v193, v62, 0
	v_cmp_ne_u32_e64 s17, 0, v62
	s_delay_alu instid0(VALU_DEP_3) | instskip(NEXT) | instid1(VALU_DEP_3)
	v_add_nc_u32_e32 v194, v114, v63
	v_cmp_eq_u32_e32 vcc_lo, 0, v193
	s_and_b32 s18, s17, vcc_lo
	s_delay_alu instid0(SALU_CYCLE_1)
	s_and_saveexec_b32 s17, s18
	s_cbranch_execz .LBB317_1095
; %bb.1094:                             ;   in Loop: Header=BB317_1040 Depth=2
	s_wait_dscnt 0x0
	v_bcnt_u32_b32 v62, v62, v192
	ds_store_b32 v194, v62 offset:544
.LBB317_1095:                           ;   in Loop: Header=BB317_1040 Depth=2
	s_or_b32 exec_lo, exec_lo, s17
	v_xor_b32_e32 v115, 0x7f, v115
	; wave barrier
	s_delay_alu instid0(VALU_DEP_1) | instskip(NEXT) | instid1(VALU_DEP_1)
	v_and_b32_e32 v62, 0xff, v115
	v_lshrrev_b32_e32 v62, s49, v62
	s_delay_alu instid0(VALU_DEP_1) | instskip(NEXT) | instid1(VALU_DEP_1)
	v_and_b32_e32 v64, s58, v62
	v_lshlrev_b32_e32 v65, 30, v64
	v_bitop3_b32 v63, v62, 1, s58 bitop3:0x80
	s_delay_alu instid0(VALU_DEP_1) | instskip(NEXT) | instid1(VALU_DEP_1)
	v_add_co_u32 v62, s17, v63, -1
	v_cndmask_b32_e64 v63, 0, 1, s17
	s_delay_alu instid0(VALU_DEP_4) | instskip(NEXT) | instid1(VALU_DEP_2)
	v_cmp_gt_i32_e64 s17, 0, v65
	v_cmp_ne_u32_e32 vcc_lo, 0, v63
	v_not_b32_e32 v63, v65
	v_bitop3_b32 v62, vcc_lo, exec_lo, v62 bitop3:0x48
	s_delay_alu instid0(VALU_DEP_2) | instskip(SKIP_2) | instid1(VALU_DEP_3)
	v_dual_ashrrev_i32 v63, 31, v63 :: v_dual_lshlrev_b32 v195, 29, v64
	v_dual_lshlrev_b32 v196, 28, v64 :: v_dual_lshlrev_b32 v197, 27, v64
	v_lshlrev_b32_e32 v198, 26, v64
	v_not_b32_e32 v65, v195
	v_lshlrev_b32_e32 v199, 25, v64
	v_cmp_gt_i32_e64 s18, 0, v195
	v_cmp_gt_i32_e64 s19, 0, v196
	v_not_b32_e32 v195, v196
	v_not_b32_e32 v196, v197
	v_ashrrev_i32_e32 v65, 31, v65
	v_cmp_gt_i32_e64 s20, 0, v197
	v_cmp_gt_i32_e64 s21, 0, v198
	v_not_b32_e32 v197, v198
	v_not_b32_e32 v198, v199
	v_dual_ashrrev_i32 v195, 31, v195 :: v_dual_ashrrev_i32 v196, 31, v196
	s_delay_alu instid0(VALU_DEP_3) | instskip(NEXT) | instid1(VALU_DEP_3)
	v_dual_ashrrev_i32 v197, 31, v197 :: v_dual_bitop2_b32 v63, s17, v63 bitop3:0x14
	v_dual_ashrrev_i32 v198, 31, v198 :: v_dual_bitop2_b32 v65, s18, v65 bitop3:0x14
	v_cmp_gt_i32_e64 s22, 0, v199
	s_delay_alu instid0(VALU_DEP_4) | instskip(SKIP_1) | instid1(VALU_DEP_4)
	v_xor_b32_e32 v195, s19, v195
	v_xor_b32_e32 v196, s20, v196
	v_bitop3_b32 v62, v62, v65, v63 bitop3:0x80
	v_mad_u32_u24 v63, v64, 36, v114
	v_xor_b32_e32 v65, s21, v197
	v_xor_b32_e32 v197, s22, v198
	s_delay_alu instid0(VALU_DEP_4) | instskip(SKIP_3) | instid1(VALU_DEP_2)
	v_bitop3_b32 v62, v62, v196, v195 bitop3:0x80
	ds_load_b32 v195, v63 offset:544
	v_mul_u32_u24_e32 v63, 36, v64
	; wave barrier
	v_bitop3_b32 v62, v62, v197, v65 bitop3:0x80
	v_add_nc_u32_e32 v197, v114, v63
	s_delay_alu instid0(VALU_DEP_2) | instskip(SKIP_1) | instid1(VALU_DEP_2)
	v_mbcnt_lo_u32_b32 v196, v62, 0
	v_cmp_ne_u32_e64 s17, 0, v62
	v_cmp_eq_u32_e32 vcc_lo, 0, v196
	s_and_b32 s18, s17, vcc_lo
	s_delay_alu instid0(SALU_CYCLE_1)
	s_and_saveexec_b32 s17, s18
	s_cbranch_execz .LBB317_1097
; %bb.1096:                             ;   in Loop: Header=BB317_1040 Depth=2
	s_wait_dscnt 0x0
	v_bcnt_u32_b32 v62, v62, v195
	ds_store_b32 v197, v62 offset:544
.LBB317_1097:                           ;   in Loop: Header=BB317_1040 Depth=2
	s_or_b32 exec_lo, exec_lo, s17
	; wave barrier
	s_wait_dscnt 0x0
	s_barrier_signal -1
	s_barrier_wait -1
	ds_load_2addr_b32 v[64:65], v90 offset0:136 offset1:137
	ds_load_2addr_b32 v[62:63], v90 offset0:138 offset1:139
	ds_load_b32 v198, v90 offset:560
	s_wait_dscnt 0x1
	v_add3_u32 v199, v65, v64, v62
	s_wait_dscnt 0x0
	s_delay_alu instid0(VALU_DEP_1) | instskip(NEXT) | instid1(VALU_DEP_1)
	v_add3_u32 v198, v199, v63, v198
	v_mov_b32_dpp v199, v198 row_shr:1 row_mask:0xf bank_mask:0xf
	s_delay_alu instid0(VALU_DEP_1) | instskip(NEXT) | instid1(VALU_DEP_1)
	v_cndmask_b32_e64 v199, v199, 0, s8
	v_add_nc_u32_e32 v198, v199, v198
	s_delay_alu instid0(VALU_DEP_1) | instskip(NEXT) | instid1(VALU_DEP_1)
	v_mov_b32_dpp v199, v198 row_shr:2 row_mask:0xf bank_mask:0xf
	v_cndmask_b32_e64 v199, 0, v199, s9
	s_delay_alu instid0(VALU_DEP_1) | instskip(NEXT) | instid1(VALU_DEP_1)
	v_add_nc_u32_e32 v198, v198, v199
	v_mov_b32_dpp v199, v198 row_shr:4 row_mask:0xf bank_mask:0xf
	s_delay_alu instid0(VALU_DEP_1) | instskip(NEXT) | instid1(VALU_DEP_1)
	v_cndmask_b32_e64 v199, 0, v199, s10
	v_add_nc_u32_e32 v198, v198, v199
	s_delay_alu instid0(VALU_DEP_1) | instskip(NEXT) | instid1(VALU_DEP_1)
	v_mov_b32_dpp v199, v198 row_shr:8 row_mask:0xf bank_mask:0xf
	v_cndmask_b32_e64 v199, 0, v199, s11
	s_delay_alu instid0(VALU_DEP_1) | instskip(SKIP_3) | instid1(VALU_DEP_1)
	v_add_nc_u32_e32 v198, v198, v199
	ds_swizzle_b32 v199, v198 offset:swizzle(BROADCAST,32,15)
	s_wait_dscnt 0x0
	v_cndmask_b32_e64 v199, v199, 0, s12
	v_add_nc_u32_e32 v198, v198, v199
	s_and_saveexec_b32 s17, s2
; %bb.1098:                             ;   in Loop: Header=BB317_1040 Depth=2
	ds_store_b32 v83, v198 offset:512
; %bb.1099:                             ;   in Loop: Header=BB317_1040 Depth=2
	s_or_b32 exec_lo, exec_lo, s17
	s_wait_dscnt 0x0
	s_barrier_signal -1
	s_barrier_wait -1
	s_and_saveexec_b32 s17, s3
	s_cbranch_execz .LBB317_1101
; %bb.1100:                             ;   in Loop: Header=BB317_1040 Depth=2
	ds_load_b32 v199, v92 offset:512
	s_wait_dscnt 0x0
	v_mov_b32_dpp v200, v199 row_shr:1 row_mask:0xf bank_mask:0xf
	s_delay_alu instid0(VALU_DEP_1) | instskip(NEXT) | instid1(VALU_DEP_1)
	v_cndmask_b32_e64 v200, v200, 0, s14
	v_add_nc_u32_e32 v199, v200, v199
	s_delay_alu instid0(VALU_DEP_1) | instskip(NEXT) | instid1(VALU_DEP_1)
	v_mov_b32_dpp v200, v199 row_shr:2 row_mask:0xf bank_mask:0xf
	v_cndmask_b32_e64 v200, 0, v200, s15
	s_delay_alu instid0(VALU_DEP_1) | instskip(NEXT) | instid1(VALU_DEP_1)
	v_add_nc_u32_e32 v199, v199, v200
	v_mov_b32_dpp v200, v199 row_shr:4 row_mask:0xf bank_mask:0xf
	s_delay_alu instid0(VALU_DEP_1) | instskip(NEXT) | instid1(VALU_DEP_1)
	v_cndmask_b32_e64 v200, 0, v200, s16
	v_add_nc_u32_e32 v199, v199, v200
	ds_store_b32 v92, v199 offset:512
.LBB317_1101:                           ;   in Loop: Header=BB317_1040 Depth=2
	s_or_b32 exec_lo, exec_lo, s17
	v_mov_b32_e32 v199, 0
	s_wait_dscnt 0x0
	s_barrier_signal -1
	s_barrier_wait -1
	s_and_saveexec_b32 s17, s5
; %bb.1102:                             ;   in Loop: Header=BB317_1040 Depth=2
	ds_load_b32 v199, v83 offset:508
; %bb.1103:                             ;   in Loop: Header=BB317_1040 Depth=2
	s_or_b32 exec_lo, exec_lo, s17
	s_wait_dscnt 0x0
	v_add_nc_u32_e32 v198, v199, v198
	ds_bpermute_b32 v198, v96, v198
	s_wait_dscnt 0x0
	v_cndmask_b32_e64 v198, v198, v199, s13
	s_delay_alu instid0(VALU_DEP_1) | instskip(NEXT) | instid1(VALU_DEP_1)
	v_cndmask_b32_e64 v198, v198, 0, s6
	v_add_nc_u32_e32 v64, v198, v64
	s_delay_alu instid0(VALU_DEP_1) | instskip(NEXT) | instid1(VALU_DEP_1)
	v_add_nc_u32_e32 v65, v64, v65
	v_add_nc_u32_e32 v62, v65, v62
	s_delay_alu instid0(VALU_DEP_1)
	v_add_nc_u32_e32 v63, v62, v63
	ds_store_2addr_b32 v90, v198, v64 offset0:136 offset1:137
	ds_store_2addr_b32 v90, v65, v62 offset0:138 offset1:139
	ds_store_b32 v90, v63 offset:560
	s_wait_dscnt 0x0
	s_barrier_signal -1
	s_barrier_wait -1
	ds_load_b32 v62, v149 offset:544
	ds_load_b32 v63, v152 offset:544
	;; [unrolled: 1-line block ×17, first 2 shown]
	s_and_saveexec_b32 s17, s0
	s_cbranch_execz .LBB317_1107
; %bb.1104:                             ;   in Loop: Header=BB317_1040 Depth=2
	v_dual_mov_b32 v134, 0x1100 :: v_dual_add_nc_u32 v133, v92, v94
	ds_load_b32 v133, v133 offset:544
	s_and_saveexec_b32 s18, s7
; %bb.1105:                             ;   in Loop: Header=BB317_1040 Depth=2
	ds_load_b32 v134, v93 offset:544
; %bb.1106:                             ;   in Loop: Header=BB317_1040 Depth=2
	s_or_b32 exec_lo, exec_lo, s18
	s_wait_dscnt 0x0
	v_sub_nc_u32_e32 v134, v134, v133
.LBB317_1107:                           ;   in Loop: Header=BB317_1040 Depth=2
	s_or_b32 exec_lo, exec_lo, s17
	v_dual_lshrrev_b32 v202, 8, v148 :: v_dual_lshrrev_b32 v203, 16, v148
	v_dual_lshrrev_b32 v200, 8, v143 :: v_dual_lshrrev_b32 v201, 16, v143
	;; [unrolled: 1-line block ×4, first 2 shown]
	s_wait_dscnt 0x0
	s_barrier_signal -1
	s_barrier_wait -1
	s_and_saveexec_b32 s17, s0
	s_cbranch_execz .LBB317_1109
; %bb.1108:                             ;   in Loop: Header=BB317_1040 Depth=2
	ds_load_b32 v135, v66
	s_wait_dscnt 0x0
	v_sub_nc_u32_e32 v135, v135, v133
	ds_store_b32 v66, v135
.LBB317_1109:                           ;   in Loop: Header=BB317_1040 Depth=2
	s_or_b32 exec_lo, exec_lo, s17
	v_add_nc_u32_e32 v156, v62, v146
	v_add3_u32 v152, v151, v150, v63
	v_add3_u32 v151, v154, v153, v64
	;; [unrolled: 1-line block ×16, first 2 shown]
	v_cmp_lt_u32_e32 vcc_lo, v2, v137
	ds_store_b8 v156, v147 offset:512
	ds_store_b8 v152, v202 offset:512
	;; [unrolled: 1-line block ×17, first 2 shown]
	s_wait_dscnt 0x0
	s_barrier_signal -1
	s_barrier_wait -1
	s_and_saveexec_b32 s17, vcc_lo
	s_cbranch_execnz .LBB317_1182
; %bb.1110:                             ;   in Loop: Header=BB317_1040 Depth=2
	s_or_b32 exec_lo, exec_lo, s17
	v_cmp_lt_u32_e64 s17, v67, v137
	s_and_saveexec_b32 s18, s17
	s_cbranch_execnz .LBB317_1183
.LBB317_1111:                           ;   in Loop: Header=BB317_1040 Depth=2
	s_or_b32 exec_lo, exec_lo, s18
	v_cmp_lt_u32_e64 s18, v68, v137
	s_and_saveexec_b32 s19, s18
	s_cbranch_execnz .LBB317_1184
.LBB317_1112:                           ;   in Loop: Header=BB317_1040 Depth=2
	s_or_b32 exec_lo, exec_lo, s19
	v_cmp_lt_u32_e64 s19, v69, v137
	s_and_saveexec_b32 s20, s19
	s_cbranch_execnz .LBB317_1185
.LBB317_1113:                           ;   in Loop: Header=BB317_1040 Depth=2
	s_or_b32 exec_lo, exec_lo, s20
	v_cmp_lt_u32_e64 s20, v70, v137
	s_and_saveexec_b32 s21, s20
	s_cbranch_execnz .LBB317_1186
.LBB317_1114:                           ;   in Loop: Header=BB317_1040 Depth=2
	s_or_b32 exec_lo, exec_lo, s21
	v_cmp_lt_u32_e64 s21, v71, v137
	s_and_saveexec_b32 s22, s21
	s_cbranch_execnz .LBB317_1187
.LBB317_1115:                           ;   in Loop: Header=BB317_1040 Depth=2
	s_or_b32 exec_lo, exec_lo, s22
	v_cmp_lt_u32_e64 s22, v72, v137
	s_and_saveexec_b32 s23, s22
	s_cbranch_execnz .LBB317_1188
.LBB317_1116:                           ;   in Loop: Header=BB317_1040 Depth=2
	s_or_b32 exec_lo, exec_lo, s23
	v_cmp_lt_u32_e64 s23, v73, v137
	s_and_saveexec_b32 s24, s23
	s_cbranch_execnz .LBB317_1189
.LBB317_1117:                           ;   in Loop: Header=BB317_1040 Depth=2
	s_or_b32 exec_lo, exec_lo, s24
	v_cmp_lt_u32_e64 s24, v74, v137
	s_and_saveexec_b32 s25, s24
	s_cbranch_execnz .LBB317_1190
.LBB317_1118:                           ;   in Loop: Header=BB317_1040 Depth=2
	s_or_b32 exec_lo, exec_lo, s25
	v_cmp_lt_u32_e64 s25, v75, v137
	s_and_saveexec_b32 s26, s25
	s_cbranch_execnz .LBB317_1191
.LBB317_1119:                           ;   in Loop: Header=BB317_1040 Depth=2
	s_or_b32 exec_lo, exec_lo, s26
	v_cmp_lt_u32_e64 s26, v76, v137
	s_and_saveexec_b32 s27, s26
	s_cbranch_execnz .LBB317_1192
.LBB317_1120:                           ;   in Loop: Header=BB317_1040 Depth=2
	s_or_b32 exec_lo, exec_lo, s27
	v_cmp_lt_u32_e64 s27, v77, v137
	s_and_saveexec_b32 s28, s27
	s_cbranch_execnz .LBB317_1193
.LBB317_1121:                           ;   in Loop: Header=BB317_1040 Depth=2
	s_or_b32 exec_lo, exec_lo, s28
	v_cmp_lt_u32_e64 s28, v78, v137
	s_and_saveexec_b32 s29, s28
	s_cbranch_execnz .LBB317_1194
.LBB317_1122:                           ;   in Loop: Header=BB317_1040 Depth=2
	s_or_b32 exec_lo, exec_lo, s29
	v_cmp_lt_u32_e64 s29, v79, v137
	s_and_saveexec_b32 s30, s29
	s_cbranch_execnz .LBB317_1195
.LBB317_1123:                           ;   in Loop: Header=BB317_1040 Depth=2
	s_or_b32 exec_lo, exec_lo, s30
	v_cmp_lt_u32_e64 s30, v80, v137
	s_and_saveexec_b32 s31, s30
	s_cbranch_execnz .LBB317_1196
.LBB317_1124:                           ;   in Loop: Header=BB317_1040 Depth=2
	s_or_b32 exec_lo, exec_lo, s31
	v_cmp_lt_u32_e64 s31, v81, v137
	s_and_saveexec_b32 s33, s31
	s_cbranch_execnz .LBB317_1197
.LBB317_1125:                           ;   in Loop: Header=BB317_1040 Depth=2
	s_or_b32 exec_lo, exec_lo, s33
	v_cmp_lt_u32_e64 s33, v82, v137
	s_and_saveexec_b32 s61, s33
	s_cbranch_execz .LBB317_1127
.LBB317_1126:                           ;   in Loop: Header=BB317_1040 Depth=2
	ds_load_u8 v62, v2 offset:4608
	s_wait_dscnt 0x0
	v_and_b32_e32 v63, 0xff, v62
	v_xor_b32_e32 v62, 0x7f, v62
	s_delay_alu instid0(VALU_DEP_2) | instskip(NEXT) | instid1(VALU_DEP_1)
	v_lshrrev_b32_e32 v63, s49, v63
	v_and_b32_e32 v63, s58, v63
	s_delay_alu instid0(VALU_DEP_1)
	v_lshlrev_b32_e32 v63, 2, v63
	ds_load_b32 v63, v63
	s_wait_dscnt 0x0
	v_add_nc_u32_e32 v63, v63, v82
	global_store_b8 v63, v62, s[40:41]
.LBB317_1127:                           ;   in Loop: Header=BB317_1040 Depth=2
	s_wait_xcnt 0x0
	s_or_b32 exec_lo, exec_lo, s61
	v_lshl_add_u64 v[62:63], s[34:35], 3, v[26:27]
	v_cmp_lt_u32_e64 s34, v97, v137
	s_and_saveexec_b32 s61, s34
	s_delay_alu instid0(SALU_CYCLE_1)
	s_xor_b32 s34, exec_lo, s61
	s_cbranch_execnz .LBB317_1198
; %bb.1128:                             ;   in Loop: Header=BB317_1040 Depth=2
	s_or_b32 exec_lo, exec_lo, s34
	s_delay_alu instid0(SALU_CYCLE_1)
	s_mov_b32 s61, exec_lo
	v_cmpx_lt_u32_e64 v98, v137
	s_cbranch_execnz .LBB317_1199
.LBB317_1129:                           ;   in Loop: Header=BB317_1040 Depth=2
	s_or_b32 exec_lo, exec_lo, s61
	s_delay_alu instid0(SALU_CYCLE_1)
	s_mov_b32 s61, exec_lo
	v_cmpx_lt_u32_e64 v99, v137
	s_cbranch_execnz .LBB317_1200
.LBB317_1130:                           ;   in Loop: Header=BB317_1040 Depth=2
	s_or_b32 exec_lo, exec_lo, s61
	s_delay_alu instid0(SALU_CYCLE_1)
	s_mov_b32 s61, exec_lo
	v_cmpx_lt_u32_e64 v100, v137
	s_cbranch_execnz .LBB317_1201
.LBB317_1131:                           ;   in Loop: Header=BB317_1040 Depth=2
	s_or_b32 exec_lo, exec_lo, s61
	s_delay_alu instid0(SALU_CYCLE_1)
	s_mov_b32 s61, exec_lo
	v_cmpx_lt_u32_e64 v101, v137
	s_cbranch_execnz .LBB317_1202
.LBB317_1132:                           ;   in Loop: Header=BB317_1040 Depth=2
	s_or_b32 exec_lo, exec_lo, s61
	s_delay_alu instid0(SALU_CYCLE_1)
	s_mov_b32 s61, exec_lo
	v_cmpx_lt_u32_e64 v102, v137
	s_cbranch_execnz .LBB317_1203
.LBB317_1133:                           ;   in Loop: Header=BB317_1040 Depth=2
	s_or_b32 exec_lo, exec_lo, s61
	s_delay_alu instid0(SALU_CYCLE_1)
	s_mov_b32 s61, exec_lo
	v_cmpx_lt_u32_e64 v103, v137
	s_cbranch_execnz .LBB317_1204
.LBB317_1134:                           ;   in Loop: Header=BB317_1040 Depth=2
	s_or_b32 exec_lo, exec_lo, s61
	s_delay_alu instid0(SALU_CYCLE_1)
	s_mov_b32 s61, exec_lo
	v_cmpx_lt_u32_e64 v104, v137
	s_cbranch_execnz .LBB317_1205
.LBB317_1135:                           ;   in Loop: Header=BB317_1040 Depth=2
	s_or_b32 exec_lo, exec_lo, s61
	s_delay_alu instid0(SALU_CYCLE_1)
	s_mov_b32 s61, exec_lo
	v_cmpx_lt_u32_e64 v105, v137
	s_cbranch_execnz .LBB317_1206
.LBB317_1136:                           ;   in Loop: Header=BB317_1040 Depth=2
	s_or_b32 exec_lo, exec_lo, s61
	s_delay_alu instid0(SALU_CYCLE_1)
	s_mov_b32 s61, exec_lo
	v_cmpx_lt_u32_e64 v106, v137
	s_cbranch_execnz .LBB317_1207
.LBB317_1137:                           ;   in Loop: Header=BB317_1040 Depth=2
	s_or_b32 exec_lo, exec_lo, s61
	s_delay_alu instid0(SALU_CYCLE_1)
	s_mov_b32 s61, exec_lo
	v_cmpx_lt_u32_e64 v107, v137
	s_cbranch_execnz .LBB317_1208
.LBB317_1138:                           ;   in Loop: Header=BB317_1040 Depth=2
	s_or_b32 exec_lo, exec_lo, s61
	s_delay_alu instid0(SALU_CYCLE_1)
	s_mov_b32 s61, exec_lo
	v_cmpx_lt_u32_e64 v108, v137
	s_cbranch_execnz .LBB317_1209
.LBB317_1139:                           ;   in Loop: Header=BB317_1040 Depth=2
	s_or_b32 exec_lo, exec_lo, s61
	s_delay_alu instid0(SALU_CYCLE_1)
	s_mov_b32 s61, exec_lo
	v_cmpx_lt_u32_e64 v109, v137
	s_cbranch_execnz .LBB317_1210
.LBB317_1140:                           ;   in Loop: Header=BB317_1040 Depth=2
	s_or_b32 exec_lo, exec_lo, s61
	s_delay_alu instid0(SALU_CYCLE_1)
	s_mov_b32 s61, exec_lo
	v_cmpx_lt_u32_e64 v110, v137
	s_cbranch_execnz .LBB317_1211
.LBB317_1141:                           ;   in Loop: Header=BB317_1040 Depth=2
	s_or_b32 exec_lo, exec_lo, s61
	s_delay_alu instid0(SALU_CYCLE_1)
	s_mov_b32 s61, exec_lo
	v_cmpx_lt_u32_e64 v111, v137
	s_cbranch_execnz .LBB317_1212
.LBB317_1142:                           ;   in Loop: Header=BB317_1040 Depth=2
	s_or_b32 exec_lo, exec_lo, s61
	s_delay_alu instid0(SALU_CYCLE_1)
	s_mov_b32 s61, exec_lo
	v_cmpx_lt_u32_e64 v112, v137
	s_cbranch_execnz .LBB317_1213
.LBB317_1143:                           ;   in Loop: Header=BB317_1040 Depth=2
	s_or_b32 exec_lo, exec_lo, s61
	s_delay_alu instid0(SALU_CYCLE_1)
	s_mov_b32 s61, exec_lo
	v_cmpx_lt_u32_e64 v113, v137
	s_cbranch_execnz .LBB317_1214
.LBB317_1144:                           ;   in Loop: Header=BB317_1040 Depth=2
	s_or_b32 exec_lo, exec_lo, s61
	s_and_saveexec_b32 s34, vcc_lo
	s_cbranch_execnz .LBB317_1215
.LBB317_1145:                           ;   in Loop: Header=BB317_1040 Depth=2
	s_or_b32 exec_lo, exec_lo, s34
	s_and_saveexec_b32 s34, s17
	s_cbranch_execnz .LBB317_1216
.LBB317_1146:                           ;   in Loop: Header=BB317_1040 Depth=2
	s_or_b32 exec_lo, exec_lo, s34
	s_and_saveexec_b32 s34, s18
	s_cbranch_execnz .LBB317_1217
.LBB317_1147:                           ;   in Loop: Header=BB317_1040 Depth=2
	s_or_b32 exec_lo, exec_lo, s34
	s_and_saveexec_b32 s34, s19
	s_cbranch_execnz .LBB317_1218
.LBB317_1148:                           ;   in Loop: Header=BB317_1040 Depth=2
	s_or_b32 exec_lo, exec_lo, s34
	s_and_saveexec_b32 s34, s20
	s_cbranch_execnz .LBB317_1219
.LBB317_1149:                           ;   in Loop: Header=BB317_1040 Depth=2
	s_or_b32 exec_lo, exec_lo, s34
	s_and_saveexec_b32 s34, s21
	s_cbranch_execnz .LBB317_1220
.LBB317_1150:                           ;   in Loop: Header=BB317_1040 Depth=2
	s_or_b32 exec_lo, exec_lo, s34
	s_and_saveexec_b32 s34, s22
	s_cbranch_execnz .LBB317_1221
.LBB317_1151:                           ;   in Loop: Header=BB317_1040 Depth=2
	s_or_b32 exec_lo, exec_lo, s34
	s_and_saveexec_b32 s34, s23
	s_cbranch_execnz .LBB317_1222
.LBB317_1152:                           ;   in Loop: Header=BB317_1040 Depth=2
	s_or_b32 exec_lo, exec_lo, s34
	s_and_saveexec_b32 s34, s24
	s_cbranch_execnz .LBB317_1223
.LBB317_1153:                           ;   in Loop: Header=BB317_1040 Depth=2
	s_or_b32 exec_lo, exec_lo, s34
	s_and_saveexec_b32 s34, s25
	s_cbranch_execnz .LBB317_1224
.LBB317_1154:                           ;   in Loop: Header=BB317_1040 Depth=2
	s_or_b32 exec_lo, exec_lo, s34
	s_and_saveexec_b32 s34, s26
	s_cbranch_execnz .LBB317_1225
.LBB317_1155:                           ;   in Loop: Header=BB317_1040 Depth=2
	s_or_b32 exec_lo, exec_lo, s34
	s_and_saveexec_b32 s34, s27
	s_cbranch_execnz .LBB317_1226
.LBB317_1156:                           ;   in Loop: Header=BB317_1040 Depth=2
	s_or_b32 exec_lo, exec_lo, s34
	s_and_saveexec_b32 s34, s28
	s_cbranch_execnz .LBB317_1227
.LBB317_1157:                           ;   in Loop: Header=BB317_1040 Depth=2
	s_or_b32 exec_lo, exec_lo, s34
	s_and_saveexec_b32 s34, s29
	s_cbranch_execnz .LBB317_1228
.LBB317_1158:                           ;   in Loop: Header=BB317_1040 Depth=2
	s_or_b32 exec_lo, exec_lo, s34
	s_and_saveexec_b32 s34, s30
	s_cbranch_execnz .LBB317_1229
.LBB317_1159:                           ;   in Loop: Header=BB317_1040 Depth=2
	s_or_b32 exec_lo, exec_lo, s34
	s_and_saveexec_b32 s34, s31
	s_cbranch_execnz .LBB317_1230
.LBB317_1160:                           ;   in Loop: Header=BB317_1040 Depth=2
	s_or_b32 exec_lo, exec_lo, s34
	s_and_saveexec_b32 s34, s33
	s_cbranch_execz .LBB317_1162
.LBB317_1161:                           ;   in Loop: Header=BB317_1040 Depth=2
	ds_load_u8 v62, v2 offset:4608
	s_wait_dscnt 0x0
	v_lshrrev_b32_e32 v62, s49, v62
	s_delay_alu instid0(VALU_DEP_1)
	v_and_b32_e32 v116, s58, v62
.LBB317_1162:                           ;   in Loop: Header=BB317_1040 Depth=2
	s_or_b32 exec_lo, exec_lo, s34
	v_lshlrev_b32_e32 v62, 3, v156
	v_lshlrev_b32_e32 v63, 3, v152
	s_wait_loadcnt 0x0
	s_wait_storecnt 0x0
	s_barrier_signal -1
	s_barrier_wait -1
	ds_store_b64 v62, v[60:61] offset:512
	ds_store_b64 v63, v[58:59] offset:512
	v_dual_lshlrev_b32 v62, 3, v151 :: v_dual_lshlrev_b32 v63, 3, v150
	v_dual_lshlrev_b32 v137, 3, v149 :: v_dual_lshlrev_b32 v138, 3, v148
	v_lshlrev_b32_e32 v142, 3, v146
	ds_store_b64 v62, v[56:57] offset:512
	ds_store_b64 v63, v[54:55] offset:512
	ds_store_b64 v137, v[52:53] offset:512
	ds_store_b64 v138, v[50:51] offset:512
	ds_store_b64 v142, v[48:49] offset:512
	v_dual_lshlrev_b32 v62, 3, v145 :: v_dual_lshlrev_b32 v63, 3, v144
	v_dual_lshlrev_b32 v137, 3, v143 :: v_dual_lshlrev_b32 v138, 3, v141
	v_lshlrev_b32_e32 v140, 3, v140
	ds_store_b64 v62, v[46:47] offset:512
	ds_store_b64 v63, v[44:45] offset:512
	ds_store_b64 v137, v[42:43] offset:512
	;; [unrolled: 8-line block ×3, first 2 shown]
	ds_store_b64 v65, v[30:31] offset:512
	ds_store_b64 v64, v[28:29] offset:512
	v_add_nc_u32_e32 v62, v2, v95
	s_wait_dscnt 0x0
	s_barrier_signal -1
	s_barrier_wait -1
	s_and_saveexec_b32 s34, vcc_lo
	s_cbranch_execnz .LBB317_1231
; %bb.1163:                             ;   in Loop: Header=BB317_1040 Depth=2
	s_or_b32 exec_lo, exec_lo, s34
	s_and_saveexec_b32 s34, s17
	s_cbranch_execnz .LBB317_1232
.LBB317_1164:                           ;   in Loop: Header=BB317_1040 Depth=2
	s_or_b32 exec_lo, exec_lo, s34
	s_and_saveexec_b32 s17, s18
	s_cbranch_execnz .LBB317_1233
.LBB317_1165:                           ;   in Loop: Header=BB317_1040 Depth=2
	s_or_b32 exec_lo, exec_lo, s17
	s_and_saveexec_b32 s17, s19
	s_cbranch_execnz .LBB317_1234
.LBB317_1166:                           ;   in Loop: Header=BB317_1040 Depth=2
	s_or_b32 exec_lo, exec_lo, s17
	s_and_saveexec_b32 s17, s20
	s_cbranch_execnz .LBB317_1235
.LBB317_1167:                           ;   in Loop: Header=BB317_1040 Depth=2
	s_or_b32 exec_lo, exec_lo, s17
	s_and_saveexec_b32 s17, s21
	s_cbranch_execnz .LBB317_1236
.LBB317_1168:                           ;   in Loop: Header=BB317_1040 Depth=2
	s_or_b32 exec_lo, exec_lo, s17
	s_and_saveexec_b32 s17, s22
	s_cbranch_execnz .LBB317_1237
.LBB317_1169:                           ;   in Loop: Header=BB317_1040 Depth=2
	s_or_b32 exec_lo, exec_lo, s17
	s_and_saveexec_b32 s17, s23
	s_cbranch_execnz .LBB317_1238
.LBB317_1170:                           ;   in Loop: Header=BB317_1040 Depth=2
	s_or_b32 exec_lo, exec_lo, s17
	s_and_saveexec_b32 s17, s24
	s_cbranch_execnz .LBB317_1239
.LBB317_1171:                           ;   in Loop: Header=BB317_1040 Depth=2
	s_or_b32 exec_lo, exec_lo, s17
	s_and_saveexec_b32 s17, s25
	s_cbranch_execnz .LBB317_1240
.LBB317_1172:                           ;   in Loop: Header=BB317_1040 Depth=2
	s_or_b32 exec_lo, exec_lo, s17
	s_and_saveexec_b32 s17, s26
	s_cbranch_execnz .LBB317_1241
.LBB317_1173:                           ;   in Loop: Header=BB317_1040 Depth=2
	s_or_b32 exec_lo, exec_lo, s17
	s_and_saveexec_b32 s17, s27
	s_cbranch_execnz .LBB317_1242
.LBB317_1174:                           ;   in Loop: Header=BB317_1040 Depth=2
	s_or_b32 exec_lo, exec_lo, s17
	s_and_saveexec_b32 s17, s28
	s_cbranch_execnz .LBB317_1243
.LBB317_1175:                           ;   in Loop: Header=BB317_1040 Depth=2
	s_or_b32 exec_lo, exec_lo, s17
	s_and_saveexec_b32 s17, s29
	s_cbranch_execnz .LBB317_1244
.LBB317_1176:                           ;   in Loop: Header=BB317_1040 Depth=2
	s_or_b32 exec_lo, exec_lo, s17
	s_and_saveexec_b32 s17, s30
	s_cbranch_execnz .LBB317_1245
.LBB317_1177:                           ;   in Loop: Header=BB317_1040 Depth=2
	s_or_b32 exec_lo, exec_lo, s17
	s_and_saveexec_b32 s17, s31
	s_cbranch_execnz .LBB317_1246
.LBB317_1178:                           ;   in Loop: Header=BB317_1040 Depth=2
	s_or_b32 exec_lo, exec_lo, s17
	s_and_saveexec_b32 s17, s33
	s_cbranch_execz .LBB317_1180
.LBB317_1179:                           ;   in Loop: Header=BB317_1040 Depth=2
	v_lshlrev_b32_e32 v63, 2, v116
	ds_load_b32 v64, v63
	ds_load_b64 v[62:63], v62 offset:33280
	s_wait_dscnt 0x1
	v_add_nc_u32_e32 v64, v64, v82
	s_wait_dscnt 0x0
	global_store_b64 v64, v[62:63], s[46:47] scale_offset
.LBB317_1180:                           ;   in Loop: Header=BB317_1040 Depth=2
	s_wait_xcnt 0x0
	s_or_b32 exec_lo, exec_lo, s17
	s_wait_storecnt 0x0
	s_barrier_signal -1
	s_barrier_wait -1
	s_and_saveexec_b32 s17, s0
	s_cbranch_execz .LBB317_1039
; %bb.1181:                             ;   in Loop: Header=BB317_1040 Depth=2
	ds_load_b32 v62, v66
	s_wait_dscnt 0x0
	v_add3_u32 v62, v133, v134, v62
	ds_store_b32 v66, v62
	s_branch .LBB317_1039
.LBB317_1182:                           ;   in Loop: Header=BB317_1040 Depth=2
	ds_load_u8 v62, v2 offset:512
	s_wait_dscnt 0x0
	v_and_b32_e32 v63, 0xff, v62
	v_xor_b32_e32 v62, 0x7f, v62
	s_delay_alu instid0(VALU_DEP_2) | instskip(NEXT) | instid1(VALU_DEP_1)
	v_lshrrev_b32_e32 v63, s49, v63
	v_and_b32_e32 v63, s58, v63
	s_delay_alu instid0(VALU_DEP_1)
	v_lshlrev_b32_e32 v63, 2, v63
	ds_load_b32 v63, v63
	s_wait_dscnt 0x0
	v_add_nc_u32_e32 v63, v63, v2
	global_store_b8 v63, v62, s[40:41]
	s_wait_xcnt 0x0
	s_or_b32 exec_lo, exec_lo, s17
	v_cmp_lt_u32_e64 s17, v67, v137
	s_and_saveexec_b32 s18, s17
	s_cbranch_execz .LBB317_1111
.LBB317_1183:                           ;   in Loop: Header=BB317_1040 Depth=2
	ds_load_u8 v62, v2 offset:768
	s_wait_dscnt 0x0
	v_and_b32_e32 v63, 0xff, v62
	v_xor_b32_e32 v62, 0x7f, v62
	s_delay_alu instid0(VALU_DEP_2) | instskip(NEXT) | instid1(VALU_DEP_1)
	v_lshrrev_b32_e32 v63, s49, v63
	v_and_b32_e32 v63, s58, v63
	s_delay_alu instid0(VALU_DEP_1)
	v_lshlrev_b32_e32 v63, 2, v63
	ds_load_b32 v63, v63
	s_wait_dscnt 0x0
	v_add_nc_u32_e32 v63, v63, v67
	global_store_b8 v63, v62, s[40:41]
	s_wait_xcnt 0x0
	s_or_b32 exec_lo, exec_lo, s18
	v_cmp_lt_u32_e64 s18, v68, v137
	s_and_saveexec_b32 s19, s18
	s_cbranch_execz .LBB317_1112
.LBB317_1184:                           ;   in Loop: Header=BB317_1040 Depth=2
	ds_load_u8 v62, v2 offset:1024
	s_wait_dscnt 0x0
	v_and_b32_e32 v63, 0xff, v62
	v_xor_b32_e32 v62, 0x7f, v62
	s_delay_alu instid0(VALU_DEP_2) | instskip(NEXT) | instid1(VALU_DEP_1)
	v_lshrrev_b32_e32 v63, s49, v63
	v_and_b32_e32 v63, s58, v63
	s_delay_alu instid0(VALU_DEP_1)
	v_lshlrev_b32_e32 v63, 2, v63
	ds_load_b32 v63, v63
	s_wait_dscnt 0x0
	v_add_nc_u32_e32 v63, v63, v68
	global_store_b8 v63, v62, s[40:41]
	s_wait_xcnt 0x0
	s_or_b32 exec_lo, exec_lo, s19
	v_cmp_lt_u32_e64 s19, v69, v137
	s_and_saveexec_b32 s20, s19
	s_cbranch_execz .LBB317_1113
.LBB317_1185:                           ;   in Loop: Header=BB317_1040 Depth=2
	ds_load_u8 v62, v2 offset:1280
	s_wait_dscnt 0x0
	v_and_b32_e32 v63, 0xff, v62
	v_xor_b32_e32 v62, 0x7f, v62
	s_delay_alu instid0(VALU_DEP_2) | instskip(NEXT) | instid1(VALU_DEP_1)
	v_lshrrev_b32_e32 v63, s49, v63
	v_and_b32_e32 v63, s58, v63
	s_delay_alu instid0(VALU_DEP_1)
	v_lshlrev_b32_e32 v63, 2, v63
	ds_load_b32 v63, v63
	s_wait_dscnt 0x0
	v_add_nc_u32_e32 v63, v63, v69
	global_store_b8 v63, v62, s[40:41]
	s_wait_xcnt 0x0
	s_or_b32 exec_lo, exec_lo, s20
	v_cmp_lt_u32_e64 s20, v70, v137
	s_and_saveexec_b32 s21, s20
	s_cbranch_execz .LBB317_1114
.LBB317_1186:                           ;   in Loop: Header=BB317_1040 Depth=2
	ds_load_u8 v62, v2 offset:1536
	s_wait_dscnt 0x0
	v_and_b32_e32 v63, 0xff, v62
	v_xor_b32_e32 v62, 0x7f, v62
	s_delay_alu instid0(VALU_DEP_2) | instskip(NEXT) | instid1(VALU_DEP_1)
	v_lshrrev_b32_e32 v63, s49, v63
	v_and_b32_e32 v63, s58, v63
	s_delay_alu instid0(VALU_DEP_1)
	v_lshlrev_b32_e32 v63, 2, v63
	ds_load_b32 v63, v63
	s_wait_dscnt 0x0
	v_add_nc_u32_e32 v63, v63, v70
	global_store_b8 v63, v62, s[40:41]
	s_wait_xcnt 0x0
	s_or_b32 exec_lo, exec_lo, s21
	v_cmp_lt_u32_e64 s21, v71, v137
	s_and_saveexec_b32 s22, s21
	s_cbranch_execz .LBB317_1115
.LBB317_1187:                           ;   in Loop: Header=BB317_1040 Depth=2
	ds_load_u8 v62, v2 offset:1792
	s_wait_dscnt 0x0
	v_and_b32_e32 v63, 0xff, v62
	v_xor_b32_e32 v62, 0x7f, v62
	s_delay_alu instid0(VALU_DEP_2) | instskip(NEXT) | instid1(VALU_DEP_1)
	v_lshrrev_b32_e32 v63, s49, v63
	v_and_b32_e32 v63, s58, v63
	s_delay_alu instid0(VALU_DEP_1)
	v_lshlrev_b32_e32 v63, 2, v63
	ds_load_b32 v63, v63
	s_wait_dscnt 0x0
	v_add_nc_u32_e32 v63, v63, v71
	global_store_b8 v63, v62, s[40:41]
	s_wait_xcnt 0x0
	s_or_b32 exec_lo, exec_lo, s22
	v_cmp_lt_u32_e64 s22, v72, v137
	s_and_saveexec_b32 s23, s22
	s_cbranch_execz .LBB317_1116
.LBB317_1188:                           ;   in Loop: Header=BB317_1040 Depth=2
	ds_load_u8 v62, v2 offset:2048
	s_wait_dscnt 0x0
	v_and_b32_e32 v63, 0xff, v62
	v_xor_b32_e32 v62, 0x7f, v62
	s_delay_alu instid0(VALU_DEP_2) | instskip(NEXT) | instid1(VALU_DEP_1)
	v_lshrrev_b32_e32 v63, s49, v63
	v_and_b32_e32 v63, s58, v63
	s_delay_alu instid0(VALU_DEP_1)
	v_lshlrev_b32_e32 v63, 2, v63
	ds_load_b32 v63, v63
	s_wait_dscnt 0x0
	v_add_nc_u32_e32 v63, v63, v72
	global_store_b8 v63, v62, s[40:41]
	s_wait_xcnt 0x0
	s_or_b32 exec_lo, exec_lo, s23
	v_cmp_lt_u32_e64 s23, v73, v137
	s_and_saveexec_b32 s24, s23
	s_cbranch_execz .LBB317_1117
.LBB317_1189:                           ;   in Loop: Header=BB317_1040 Depth=2
	ds_load_u8 v62, v2 offset:2304
	s_wait_dscnt 0x0
	v_and_b32_e32 v63, 0xff, v62
	v_xor_b32_e32 v62, 0x7f, v62
	s_delay_alu instid0(VALU_DEP_2) | instskip(NEXT) | instid1(VALU_DEP_1)
	v_lshrrev_b32_e32 v63, s49, v63
	v_and_b32_e32 v63, s58, v63
	s_delay_alu instid0(VALU_DEP_1)
	v_lshlrev_b32_e32 v63, 2, v63
	ds_load_b32 v63, v63
	s_wait_dscnt 0x0
	v_add_nc_u32_e32 v63, v63, v73
	global_store_b8 v63, v62, s[40:41]
	s_wait_xcnt 0x0
	s_or_b32 exec_lo, exec_lo, s24
	v_cmp_lt_u32_e64 s24, v74, v137
	s_and_saveexec_b32 s25, s24
	s_cbranch_execz .LBB317_1118
.LBB317_1190:                           ;   in Loop: Header=BB317_1040 Depth=2
	ds_load_u8 v62, v2 offset:2560
	s_wait_dscnt 0x0
	v_and_b32_e32 v63, 0xff, v62
	v_xor_b32_e32 v62, 0x7f, v62
	s_delay_alu instid0(VALU_DEP_2) | instskip(NEXT) | instid1(VALU_DEP_1)
	v_lshrrev_b32_e32 v63, s49, v63
	v_and_b32_e32 v63, s58, v63
	s_delay_alu instid0(VALU_DEP_1)
	v_lshlrev_b32_e32 v63, 2, v63
	ds_load_b32 v63, v63
	s_wait_dscnt 0x0
	v_add_nc_u32_e32 v63, v63, v74
	global_store_b8 v63, v62, s[40:41]
	s_wait_xcnt 0x0
	s_or_b32 exec_lo, exec_lo, s25
	v_cmp_lt_u32_e64 s25, v75, v137
	s_and_saveexec_b32 s26, s25
	s_cbranch_execz .LBB317_1119
.LBB317_1191:                           ;   in Loop: Header=BB317_1040 Depth=2
	ds_load_u8 v62, v2 offset:2816
	s_wait_dscnt 0x0
	v_and_b32_e32 v63, 0xff, v62
	v_xor_b32_e32 v62, 0x7f, v62
	s_delay_alu instid0(VALU_DEP_2) | instskip(NEXT) | instid1(VALU_DEP_1)
	v_lshrrev_b32_e32 v63, s49, v63
	v_and_b32_e32 v63, s58, v63
	s_delay_alu instid0(VALU_DEP_1)
	v_lshlrev_b32_e32 v63, 2, v63
	ds_load_b32 v63, v63
	s_wait_dscnt 0x0
	v_add_nc_u32_e32 v63, v63, v75
	global_store_b8 v63, v62, s[40:41]
	s_wait_xcnt 0x0
	s_or_b32 exec_lo, exec_lo, s26
	v_cmp_lt_u32_e64 s26, v76, v137
	s_and_saveexec_b32 s27, s26
	s_cbranch_execz .LBB317_1120
.LBB317_1192:                           ;   in Loop: Header=BB317_1040 Depth=2
	ds_load_u8 v62, v2 offset:3072
	s_wait_dscnt 0x0
	v_and_b32_e32 v63, 0xff, v62
	v_xor_b32_e32 v62, 0x7f, v62
	s_delay_alu instid0(VALU_DEP_2) | instskip(NEXT) | instid1(VALU_DEP_1)
	v_lshrrev_b32_e32 v63, s49, v63
	v_and_b32_e32 v63, s58, v63
	s_delay_alu instid0(VALU_DEP_1)
	v_lshlrev_b32_e32 v63, 2, v63
	ds_load_b32 v63, v63
	s_wait_dscnt 0x0
	v_add_nc_u32_e32 v63, v63, v76
	global_store_b8 v63, v62, s[40:41]
	s_wait_xcnt 0x0
	s_or_b32 exec_lo, exec_lo, s27
	v_cmp_lt_u32_e64 s27, v77, v137
	s_and_saveexec_b32 s28, s27
	s_cbranch_execz .LBB317_1121
.LBB317_1193:                           ;   in Loop: Header=BB317_1040 Depth=2
	ds_load_u8 v62, v2 offset:3328
	s_wait_dscnt 0x0
	v_and_b32_e32 v63, 0xff, v62
	v_xor_b32_e32 v62, 0x7f, v62
	s_delay_alu instid0(VALU_DEP_2) | instskip(NEXT) | instid1(VALU_DEP_1)
	v_lshrrev_b32_e32 v63, s49, v63
	v_and_b32_e32 v63, s58, v63
	s_delay_alu instid0(VALU_DEP_1)
	v_lshlrev_b32_e32 v63, 2, v63
	ds_load_b32 v63, v63
	s_wait_dscnt 0x0
	v_add_nc_u32_e32 v63, v63, v77
	global_store_b8 v63, v62, s[40:41]
	s_wait_xcnt 0x0
	s_or_b32 exec_lo, exec_lo, s28
	v_cmp_lt_u32_e64 s28, v78, v137
	s_and_saveexec_b32 s29, s28
	s_cbranch_execz .LBB317_1122
.LBB317_1194:                           ;   in Loop: Header=BB317_1040 Depth=2
	ds_load_u8 v62, v2 offset:3584
	s_wait_dscnt 0x0
	v_and_b32_e32 v63, 0xff, v62
	v_xor_b32_e32 v62, 0x7f, v62
	s_delay_alu instid0(VALU_DEP_2) | instskip(NEXT) | instid1(VALU_DEP_1)
	v_lshrrev_b32_e32 v63, s49, v63
	v_and_b32_e32 v63, s58, v63
	s_delay_alu instid0(VALU_DEP_1)
	v_lshlrev_b32_e32 v63, 2, v63
	ds_load_b32 v63, v63
	s_wait_dscnt 0x0
	v_add_nc_u32_e32 v63, v63, v78
	global_store_b8 v63, v62, s[40:41]
	s_wait_xcnt 0x0
	s_or_b32 exec_lo, exec_lo, s29
	v_cmp_lt_u32_e64 s29, v79, v137
	s_and_saveexec_b32 s30, s29
	s_cbranch_execz .LBB317_1123
.LBB317_1195:                           ;   in Loop: Header=BB317_1040 Depth=2
	ds_load_u8 v62, v2 offset:3840
	s_wait_dscnt 0x0
	v_and_b32_e32 v63, 0xff, v62
	v_xor_b32_e32 v62, 0x7f, v62
	s_delay_alu instid0(VALU_DEP_2) | instskip(NEXT) | instid1(VALU_DEP_1)
	v_lshrrev_b32_e32 v63, s49, v63
	v_and_b32_e32 v63, s58, v63
	s_delay_alu instid0(VALU_DEP_1)
	v_lshlrev_b32_e32 v63, 2, v63
	ds_load_b32 v63, v63
	s_wait_dscnt 0x0
	v_add_nc_u32_e32 v63, v63, v79
	global_store_b8 v63, v62, s[40:41]
	s_wait_xcnt 0x0
	s_or_b32 exec_lo, exec_lo, s30
	v_cmp_lt_u32_e64 s30, v80, v137
	s_and_saveexec_b32 s31, s30
	s_cbranch_execz .LBB317_1124
.LBB317_1196:                           ;   in Loop: Header=BB317_1040 Depth=2
	ds_load_u8 v62, v2 offset:4096
	s_wait_dscnt 0x0
	v_and_b32_e32 v63, 0xff, v62
	v_xor_b32_e32 v62, 0x7f, v62
	s_delay_alu instid0(VALU_DEP_2) | instskip(NEXT) | instid1(VALU_DEP_1)
	v_lshrrev_b32_e32 v63, s49, v63
	v_and_b32_e32 v63, s58, v63
	s_delay_alu instid0(VALU_DEP_1)
	v_lshlrev_b32_e32 v63, 2, v63
	ds_load_b32 v63, v63
	s_wait_dscnt 0x0
	v_add_nc_u32_e32 v63, v63, v80
	global_store_b8 v63, v62, s[40:41]
	s_wait_xcnt 0x0
	s_or_b32 exec_lo, exec_lo, s31
	v_cmp_lt_u32_e64 s31, v81, v137
	s_and_saveexec_b32 s33, s31
	s_cbranch_execz .LBB317_1125
.LBB317_1197:                           ;   in Loop: Header=BB317_1040 Depth=2
	ds_load_u8 v62, v2 offset:4352
	s_wait_dscnt 0x0
	v_and_b32_e32 v63, 0xff, v62
	v_xor_b32_e32 v62, 0x7f, v62
	s_delay_alu instid0(VALU_DEP_2) | instskip(NEXT) | instid1(VALU_DEP_1)
	v_lshrrev_b32_e32 v63, s49, v63
	v_and_b32_e32 v63, s58, v63
	s_delay_alu instid0(VALU_DEP_1)
	v_lshlrev_b32_e32 v63, 2, v63
	ds_load_b32 v63, v63
	s_wait_dscnt 0x0
	v_add_nc_u32_e32 v63, v63, v81
	global_store_b8 v63, v62, s[40:41]
	s_wait_xcnt 0x0
	s_or_b32 exec_lo, exec_lo, s33
	v_cmp_lt_u32_e64 s33, v82, v137
	s_and_saveexec_b32 s61, s33
	s_cbranch_execnz .LBB317_1126
	s_branch .LBB317_1127
.LBB317_1198:                           ;   in Loop: Header=BB317_1040 Depth=2
	global_load_b64 v[60:61], v[62:63], off
	s_wait_xcnt 0x0
	s_or_b32 exec_lo, exec_lo, s34
	s_delay_alu instid0(SALU_CYCLE_1)
	s_mov_b32 s61, exec_lo
	v_cmpx_lt_u32_e64 v98, v137
	s_cbranch_execz .LBB317_1129
.LBB317_1199:                           ;   in Loop: Header=BB317_1040 Depth=2
	global_load_b64 v[58:59], v[62:63], off offset:256
	s_wait_xcnt 0x0
	s_or_b32 exec_lo, exec_lo, s61
	s_delay_alu instid0(SALU_CYCLE_1)
	s_mov_b32 s61, exec_lo
	v_cmpx_lt_u32_e64 v99, v137
	s_cbranch_execz .LBB317_1130
.LBB317_1200:                           ;   in Loop: Header=BB317_1040 Depth=2
	global_load_b64 v[56:57], v[62:63], off offset:512
	s_wait_xcnt 0x0
	s_or_b32 exec_lo, exec_lo, s61
	s_delay_alu instid0(SALU_CYCLE_1)
	s_mov_b32 s61, exec_lo
	v_cmpx_lt_u32_e64 v100, v137
	s_cbranch_execz .LBB317_1131
.LBB317_1201:                           ;   in Loop: Header=BB317_1040 Depth=2
	global_load_b64 v[54:55], v[62:63], off offset:768
	s_wait_xcnt 0x0
	s_or_b32 exec_lo, exec_lo, s61
	s_delay_alu instid0(SALU_CYCLE_1)
	s_mov_b32 s61, exec_lo
	v_cmpx_lt_u32_e64 v101, v137
	s_cbranch_execz .LBB317_1132
.LBB317_1202:                           ;   in Loop: Header=BB317_1040 Depth=2
	global_load_b64 v[52:53], v[62:63], off offset:1024
	s_wait_xcnt 0x0
	s_or_b32 exec_lo, exec_lo, s61
	s_delay_alu instid0(SALU_CYCLE_1)
	s_mov_b32 s61, exec_lo
	v_cmpx_lt_u32_e64 v102, v137
	s_cbranch_execz .LBB317_1133
.LBB317_1203:                           ;   in Loop: Header=BB317_1040 Depth=2
	global_load_b64 v[50:51], v[62:63], off offset:1280
	s_wait_xcnt 0x0
	s_or_b32 exec_lo, exec_lo, s61
	s_delay_alu instid0(SALU_CYCLE_1)
	s_mov_b32 s61, exec_lo
	v_cmpx_lt_u32_e64 v103, v137
	s_cbranch_execz .LBB317_1134
.LBB317_1204:                           ;   in Loop: Header=BB317_1040 Depth=2
	global_load_b64 v[48:49], v[62:63], off offset:1536
	s_wait_xcnt 0x0
	s_or_b32 exec_lo, exec_lo, s61
	s_delay_alu instid0(SALU_CYCLE_1)
	s_mov_b32 s61, exec_lo
	v_cmpx_lt_u32_e64 v104, v137
	s_cbranch_execz .LBB317_1135
.LBB317_1205:                           ;   in Loop: Header=BB317_1040 Depth=2
	global_load_b64 v[46:47], v[62:63], off offset:1792
	s_wait_xcnt 0x0
	s_or_b32 exec_lo, exec_lo, s61
	s_delay_alu instid0(SALU_CYCLE_1)
	s_mov_b32 s61, exec_lo
	v_cmpx_lt_u32_e64 v105, v137
	s_cbranch_execz .LBB317_1136
.LBB317_1206:                           ;   in Loop: Header=BB317_1040 Depth=2
	global_load_b64 v[44:45], v[62:63], off offset:2048
	s_wait_xcnt 0x0
	s_or_b32 exec_lo, exec_lo, s61
	s_delay_alu instid0(SALU_CYCLE_1)
	s_mov_b32 s61, exec_lo
	v_cmpx_lt_u32_e64 v106, v137
	s_cbranch_execz .LBB317_1137
.LBB317_1207:                           ;   in Loop: Header=BB317_1040 Depth=2
	global_load_b64 v[42:43], v[62:63], off offset:2304
	s_wait_xcnt 0x0
	s_or_b32 exec_lo, exec_lo, s61
	s_delay_alu instid0(SALU_CYCLE_1)
	s_mov_b32 s61, exec_lo
	v_cmpx_lt_u32_e64 v107, v137
	s_cbranch_execz .LBB317_1138
.LBB317_1208:                           ;   in Loop: Header=BB317_1040 Depth=2
	global_load_b64 v[40:41], v[62:63], off offset:2560
	s_wait_xcnt 0x0
	s_or_b32 exec_lo, exec_lo, s61
	s_delay_alu instid0(SALU_CYCLE_1)
	s_mov_b32 s61, exec_lo
	v_cmpx_lt_u32_e64 v108, v137
	s_cbranch_execz .LBB317_1139
.LBB317_1209:                           ;   in Loop: Header=BB317_1040 Depth=2
	global_load_b64 v[38:39], v[62:63], off offset:2816
	s_wait_xcnt 0x0
	s_or_b32 exec_lo, exec_lo, s61
	s_delay_alu instid0(SALU_CYCLE_1)
	s_mov_b32 s61, exec_lo
	v_cmpx_lt_u32_e64 v109, v137
	s_cbranch_execz .LBB317_1140
.LBB317_1210:                           ;   in Loop: Header=BB317_1040 Depth=2
	global_load_b64 v[36:37], v[62:63], off offset:3072
	s_wait_xcnt 0x0
	s_or_b32 exec_lo, exec_lo, s61
	s_delay_alu instid0(SALU_CYCLE_1)
	s_mov_b32 s61, exec_lo
	v_cmpx_lt_u32_e64 v110, v137
	s_cbranch_execz .LBB317_1141
.LBB317_1211:                           ;   in Loop: Header=BB317_1040 Depth=2
	global_load_b64 v[34:35], v[62:63], off offset:3328
	s_wait_xcnt 0x0
	s_or_b32 exec_lo, exec_lo, s61
	s_delay_alu instid0(SALU_CYCLE_1)
	s_mov_b32 s61, exec_lo
	v_cmpx_lt_u32_e64 v111, v137
	s_cbranch_execz .LBB317_1142
.LBB317_1212:                           ;   in Loop: Header=BB317_1040 Depth=2
	global_load_b64 v[32:33], v[62:63], off offset:3584
	s_wait_xcnt 0x0
	s_or_b32 exec_lo, exec_lo, s61
	s_delay_alu instid0(SALU_CYCLE_1)
	s_mov_b32 s61, exec_lo
	v_cmpx_lt_u32_e64 v112, v137
	s_cbranch_execz .LBB317_1143
.LBB317_1213:                           ;   in Loop: Header=BB317_1040 Depth=2
	global_load_b64 v[30:31], v[62:63], off offset:3840
	s_wait_xcnt 0x0
	s_or_b32 exec_lo, exec_lo, s61
	s_delay_alu instid0(SALU_CYCLE_1)
	s_mov_b32 s61, exec_lo
	v_cmpx_lt_u32_e64 v113, v137
	s_cbranch_execz .LBB317_1144
.LBB317_1214:                           ;   in Loop: Header=BB317_1040 Depth=2
	global_load_b64 v[28:29], v[62:63], off offset:4096
	s_wait_xcnt 0x0
	s_or_b32 exec_lo, exec_lo, s61
	s_and_saveexec_b32 s34, vcc_lo
	s_cbranch_execz .LBB317_1145
.LBB317_1215:                           ;   in Loop: Header=BB317_1040 Depth=2
	ds_load_u8 v62, v2 offset:512
	s_wait_dscnt 0x0
	v_lshrrev_b32_e32 v62, s49, v62
	s_delay_alu instid0(VALU_DEP_1)
	v_and_b32_e32 v132, s58, v62
	s_or_b32 exec_lo, exec_lo, s34
	s_and_saveexec_b32 s34, s17
	s_cbranch_execz .LBB317_1146
.LBB317_1216:                           ;   in Loop: Header=BB317_1040 Depth=2
	ds_load_u8 v62, v2 offset:768
	s_wait_dscnt 0x0
	v_lshrrev_b32_e32 v62, s49, v62
	s_delay_alu instid0(VALU_DEP_1)
	v_and_b32_e32 v131, s58, v62
	s_or_b32 exec_lo, exec_lo, s34
	s_and_saveexec_b32 s34, s18
	s_cbranch_execz .LBB317_1147
.LBB317_1217:                           ;   in Loop: Header=BB317_1040 Depth=2
	ds_load_u8 v62, v2 offset:1024
	s_wait_dscnt 0x0
	v_lshrrev_b32_e32 v62, s49, v62
	s_delay_alu instid0(VALU_DEP_1)
	v_and_b32_e32 v130, s58, v62
	s_or_b32 exec_lo, exec_lo, s34
	s_and_saveexec_b32 s34, s19
	s_cbranch_execz .LBB317_1148
.LBB317_1218:                           ;   in Loop: Header=BB317_1040 Depth=2
	ds_load_u8 v62, v2 offset:1280
	s_wait_dscnt 0x0
	v_lshrrev_b32_e32 v62, s49, v62
	s_delay_alu instid0(VALU_DEP_1)
	v_and_b32_e32 v129, s58, v62
	s_or_b32 exec_lo, exec_lo, s34
	s_and_saveexec_b32 s34, s20
	s_cbranch_execz .LBB317_1149
.LBB317_1219:                           ;   in Loop: Header=BB317_1040 Depth=2
	ds_load_u8 v62, v2 offset:1536
	s_wait_dscnt 0x0
	v_lshrrev_b32_e32 v62, s49, v62
	s_delay_alu instid0(VALU_DEP_1)
	v_and_b32_e32 v128, s58, v62
	s_or_b32 exec_lo, exec_lo, s34
	s_and_saveexec_b32 s34, s21
	s_cbranch_execz .LBB317_1150
.LBB317_1220:                           ;   in Loop: Header=BB317_1040 Depth=2
	ds_load_u8 v62, v2 offset:1792
	s_wait_dscnt 0x0
	v_lshrrev_b32_e32 v62, s49, v62
	s_delay_alu instid0(VALU_DEP_1)
	v_and_b32_e32 v127, s58, v62
	s_or_b32 exec_lo, exec_lo, s34
	s_and_saveexec_b32 s34, s22
	s_cbranch_execz .LBB317_1151
.LBB317_1221:                           ;   in Loop: Header=BB317_1040 Depth=2
	ds_load_u8 v62, v2 offset:2048
	s_wait_dscnt 0x0
	v_lshrrev_b32_e32 v62, s49, v62
	s_delay_alu instid0(VALU_DEP_1)
	v_and_b32_e32 v126, s58, v62
	s_or_b32 exec_lo, exec_lo, s34
	s_and_saveexec_b32 s34, s23
	s_cbranch_execz .LBB317_1152
.LBB317_1222:                           ;   in Loop: Header=BB317_1040 Depth=2
	ds_load_u8 v62, v2 offset:2304
	s_wait_dscnt 0x0
	v_lshrrev_b32_e32 v62, s49, v62
	s_delay_alu instid0(VALU_DEP_1)
	v_and_b32_e32 v125, s58, v62
	s_or_b32 exec_lo, exec_lo, s34
	s_and_saveexec_b32 s34, s24
	s_cbranch_execz .LBB317_1153
.LBB317_1223:                           ;   in Loop: Header=BB317_1040 Depth=2
	ds_load_u8 v62, v2 offset:2560
	s_wait_dscnt 0x0
	v_lshrrev_b32_e32 v62, s49, v62
	s_delay_alu instid0(VALU_DEP_1)
	v_and_b32_e32 v124, s58, v62
	s_or_b32 exec_lo, exec_lo, s34
	s_and_saveexec_b32 s34, s25
	s_cbranch_execz .LBB317_1154
.LBB317_1224:                           ;   in Loop: Header=BB317_1040 Depth=2
	ds_load_u8 v62, v2 offset:2816
	s_wait_dscnt 0x0
	v_lshrrev_b32_e32 v62, s49, v62
	s_delay_alu instid0(VALU_DEP_1)
	v_and_b32_e32 v123, s58, v62
	s_or_b32 exec_lo, exec_lo, s34
	s_and_saveexec_b32 s34, s26
	s_cbranch_execz .LBB317_1155
.LBB317_1225:                           ;   in Loop: Header=BB317_1040 Depth=2
	ds_load_u8 v62, v2 offset:3072
	s_wait_dscnt 0x0
	v_lshrrev_b32_e32 v62, s49, v62
	s_delay_alu instid0(VALU_DEP_1)
	v_and_b32_e32 v122, s58, v62
	s_or_b32 exec_lo, exec_lo, s34
	s_and_saveexec_b32 s34, s27
	s_cbranch_execz .LBB317_1156
.LBB317_1226:                           ;   in Loop: Header=BB317_1040 Depth=2
	ds_load_u8 v62, v2 offset:3328
	s_wait_dscnt 0x0
	v_lshrrev_b32_e32 v62, s49, v62
	s_delay_alu instid0(VALU_DEP_1)
	v_and_b32_e32 v121, s58, v62
	s_or_b32 exec_lo, exec_lo, s34
	s_and_saveexec_b32 s34, s28
	s_cbranch_execz .LBB317_1157
.LBB317_1227:                           ;   in Loop: Header=BB317_1040 Depth=2
	ds_load_u8 v62, v2 offset:3584
	s_wait_dscnt 0x0
	v_lshrrev_b32_e32 v62, s49, v62
	s_delay_alu instid0(VALU_DEP_1)
	v_and_b32_e32 v120, s58, v62
	s_or_b32 exec_lo, exec_lo, s34
	s_and_saveexec_b32 s34, s29
	s_cbranch_execz .LBB317_1158
.LBB317_1228:                           ;   in Loop: Header=BB317_1040 Depth=2
	ds_load_u8 v62, v2 offset:3840
	s_wait_dscnt 0x0
	v_lshrrev_b32_e32 v62, s49, v62
	s_delay_alu instid0(VALU_DEP_1)
	v_and_b32_e32 v119, s58, v62
	s_or_b32 exec_lo, exec_lo, s34
	s_and_saveexec_b32 s34, s30
	s_cbranch_execz .LBB317_1159
.LBB317_1229:                           ;   in Loop: Header=BB317_1040 Depth=2
	ds_load_u8 v62, v2 offset:4096
	s_wait_dscnt 0x0
	v_lshrrev_b32_e32 v62, s49, v62
	s_delay_alu instid0(VALU_DEP_1)
	v_and_b32_e32 v118, s58, v62
	s_or_b32 exec_lo, exec_lo, s34
	s_and_saveexec_b32 s34, s31
	s_cbranch_execz .LBB317_1160
.LBB317_1230:                           ;   in Loop: Header=BB317_1040 Depth=2
	ds_load_u8 v62, v2 offset:4352
	s_wait_dscnt 0x0
	v_lshrrev_b32_e32 v62, s49, v62
	s_delay_alu instid0(VALU_DEP_1)
	v_and_b32_e32 v117, s58, v62
	s_or_b32 exec_lo, exec_lo, s34
	s_and_saveexec_b32 s34, s33
	s_cbranch_execnz .LBB317_1161
	s_branch .LBB317_1162
.LBB317_1231:                           ;   in Loop: Header=BB317_1040 Depth=2
	v_lshlrev_b32_e32 v63, 2, v132
	ds_load_b32 v63, v63
	ds_load_b64 v[64:65], v62 offset:512
	s_wait_dscnt 0x1
	v_add_nc_u32_e32 v63, v63, v2
	s_wait_dscnt 0x0
	global_store_b64 v63, v[64:65], s[46:47] scale_offset
	s_wait_xcnt 0x0
	s_or_b32 exec_lo, exec_lo, s34
	s_and_saveexec_b32 s34, s17
	s_cbranch_execz .LBB317_1164
.LBB317_1232:                           ;   in Loop: Header=BB317_1040 Depth=2
	v_lshlrev_b32_e32 v63, 2, v131
	ds_load_b32 v63, v63
	ds_load_b64 v[64:65], v62 offset:2560
	s_wait_dscnt 0x1
	v_add_nc_u32_e32 v63, v63, v67
	s_wait_dscnt 0x0
	global_store_b64 v63, v[64:65], s[46:47] scale_offset
	s_wait_xcnt 0x0
	s_or_b32 exec_lo, exec_lo, s34
	s_and_saveexec_b32 s17, s18
	s_cbranch_execz .LBB317_1165
.LBB317_1233:                           ;   in Loop: Header=BB317_1040 Depth=2
	v_lshlrev_b32_e32 v63, 2, v130
	ds_load_b32 v63, v63
	ds_load_b64 v[64:65], v62 offset:4608
	s_wait_dscnt 0x1
	v_add_nc_u32_e32 v63, v63, v68
	s_wait_dscnt 0x0
	global_store_b64 v63, v[64:65], s[46:47] scale_offset
	s_wait_xcnt 0x0
	s_or_b32 exec_lo, exec_lo, s17
	s_and_saveexec_b32 s17, s19
	s_cbranch_execz .LBB317_1166
.LBB317_1234:                           ;   in Loop: Header=BB317_1040 Depth=2
	v_lshlrev_b32_e32 v63, 2, v129
	ds_load_b32 v63, v63
	ds_load_b64 v[64:65], v62 offset:6656
	s_wait_dscnt 0x1
	v_add_nc_u32_e32 v63, v63, v69
	s_wait_dscnt 0x0
	global_store_b64 v63, v[64:65], s[46:47] scale_offset
	s_wait_xcnt 0x0
	s_or_b32 exec_lo, exec_lo, s17
	s_and_saveexec_b32 s17, s20
	s_cbranch_execz .LBB317_1167
.LBB317_1235:                           ;   in Loop: Header=BB317_1040 Depth=2
	v_lshlrev_b32_e32 v63, 2, v128
	ds_load_b32 v63, v63
	ds_load_b64 v[64:65], v62 offset:8704
	s_wait_dscnt 0x1
	v_add_nc_u32_e32 v63, v63, v70
	s_wait_dscnt 0x0
	global_store_b64 v63, v[64:65], s[46:47] scale_offset
	s_wait_xcnt 0x0
	s_or_b32 exec_lo, exec_lo, s17
	s_and_saveexec_b32 s17, s21
	s_cbranch_execz .LBB317_1168
.LBB317_1236:                           ;   in Loop: Header=BB317_1040 Depth=2
	v_lshlrev_b32_e32 v63, 2, v127
	ds_load_b32 v63, v63
	ds_load_b64 v[64:65], v62 offset:10752
	s_wait_dscnt 0x1
	v_add_nc_u32_e32 v63, v63, v71
	s_wait_dscnt 0x0
	global_store_b64 v63, v[64:65], s[46:47] scale_offset
	s_wait_xcnt 0x0
	s_or_b32 exec_lo, exec_lo, s17
	s_and_saveexec_b32 s17, s22
	s_cbranch_execz .LBB317_1169
.LBB317_1237:                           ;   in Loop: Header=BB317_1040 Depth=2
	v_lshlrev_b32_e32 v63, 2, v126
	ds_load_b32 v63, v63
	ds_load_b64 v[64:65], v62 offset:12800
	s_wait_dscnt 0x1
	v_add_nc_u32_e32 v63, v63, v72
	s_wait_dscnt 0x0
	global_store_b64 v63, v[64:65], s[46:47] scale_offset
	s_wait_xcnt 0x0
	s_or_b32 exec_lo, exec_lo, s17
	s_and_saveexec_b32 s17, s23
	s_cbranch_execz .LBB317_1170
.LBB317_1238:                           ;   in Loop: Header=BB317_1040 Depth=2
	v_lshlrev_b32_e32 v63, 2, v125
	ds_load_b32 v63, v63
	ds_load_b64 v[64:65], v62 offset:14848
	s_wait_dscnt 0x1
	v_add_nc_u32_e32 v63, v63, v73
	s_wait_dscnt 0x0
	global_store_b64 v63, v[64:65], s[46:47] scale_offset
	s_wait_xcnt 0x0
	s_or_b32 exec_lo, exec_lo, s17
	s_and_saveexec_b32 s17, s24
	s_cbranch_execz .LBB317_1171
.LBB317_1239:                           ;   in Loop: Header=BB317_1040 Depth=2
	v_lshlrev_b32_e32 v63, 2, v124
	ds_load_b32 v63, v63
	ds_load_b64 v[64:65], v62 offset:16896
	s_wait_dscnt 0x1
	v_add_nc_u32_e32 v63, v63, v74
	s_wait_dscnt 0x0
	global_store_b64 v63, v[64:65], s[46:47] scale_offset
	s_wait_xcnt 0x0
	s_or_b32 exec_lo, exec_lo, s17
	s_and_saveexec_b32 s17, s25
	s_cbranch_execz .LBB317_1172
.LBB317_1240:                           ;   in Loop: Header=BB317_1040 Depth=2
	v_lshlrev_b32_e32 v63, 2, v123
	ds_load_b32 v63, v63
	ds_load_b64 v[64:65], v62 offset:18944
	s_wait_dscnt 0x1
	v_add_nc_u32_e32 v63, v63, v75
	s_wait_dscnt 0x0
	global_store_b64 v63, v[64:65], s[46:47] scale_offset
	s_wait_xcnt 0x0
	s_or_b32 exec_lo, exec_lo, s17
	s_and_saveexec_b32 s17, s26
	s_cbranch_execz .LBB317_1173
.LBB317_1241:                           ;   in Loop: Header=BB317_1040 Depth=2
	v_lshlrev_b32_e32 v63, 2, v122
	ds_load_b32 v63, v63
	ds_load_b64 v[64:65], v62 offset:20992
	s_wait_dscnt 0x1
	v_add_nc_u32_e32 v63, v63, v76
	s_wait_dscnt 0x0
	global_store_b64 v63, v[64:65], s[46:47] scale_offset
	s_wait_xcnt 0x0
	s_or_b32 exec_lo, exec_lo, s17
	s_and_saveexec_b32 s17, s27
	s_cbranch_execz .LBB317_1174
.LBB317_1242:                           ;   in Loop: Header=BB317_1040 Depth=2
	v_lshlrev_b32_e32 v63, 2, v121
	ds_load_b32 v63, v63
	ds_load_b64 v[64:65], v62 offset:23040
	s_wait_dscnt 0x1
	v_add_nc_u32_e32 v63, v63, v77
	s_wait_dscnt 0x0
	global_store_b64 v63, v[64:65], s[46:47] scale_offset
	s_wait_xcnt 0x0
	s_or_b32 exec_lo, exec_lo, s17
	s_and_saveexec_b32 s17, s28
	s_cbranch_execz .LBB317_1175
.LBB317_1243:                           ;   in Loop: Header=BB317_1040 Depth=2
	v_lshlrev_b32_e32 v63, 2, v120
	ds_load_b32 v63, v63
	ds_load_b64 v[64:65], v62 offset:25088
	s_wait_dscnt 0x1
	v_add_nc_u32_e32 v63, v63, v78
	s_wait_dscnt 0x0
	global_store_b64 v63, v[64:65], s[46:47] scale_offset
	s_wait_xcnt 0x0
	s_or_b32 exec_lo, exec_lo, s17
	s_and_saveexec_b32 s17, s29
	s_cbranch_execz .LBB317_1176
.LBB317_1244:                           ;   in Loop: Header=BB317_1040 Depth=2
	v_lshlrev_b32_e32 v63, 2, v119
	ds_load_b32 v63, v63
	ds_load_b64 v[64:65], v62 offset:27136
	s_wait_dscnt 0x1
	v_add_nc_u32_e32 v63, v63, v79
	s_wait_dscnt 0x0
	global_store_b64 v63, v[64:65], s[46:47] scale_offset
	s_wait_xcnt 0x0
	s_or_b32 exec_lo, exec_lo, s17
	s_and_saveexec_b32 s17, s30
	s_cbranch_execz .LBB317_1177
.LBB317_1245:                           ;   in Loop: Header=BB317_1040 Depth=2
	v_lshlrev_b32_e32 v63, 2, v118
	ds_load_b32 v63, v63
	ds_load_b64 v[64:65], v62 offset:29184
	s_wait_dscnt 0x1
	v_add_nc_u32_e32 v63, v63, v80
	s_wait_dscnt 0x0
	global_store_b64 v63, v[64:65], s[46:47] scale_offset
	s_wait_xcnt 0x0
	s_or_b32 exec_lo, exec_lo, s17
	s_and_saveexec_b32 s17, s31
	s_cbranch_execz .LBB317_1178
.LBB317_1246:                           ;   in Loop: Header=BB317_1040 Depth=2
	v_lshlrev_b32_e32 v63, 2, v117
	ds_load_b32 v63, v63
	ds_load_b64 v[64:65], v62 offset:31232
	s_wait_dscnt 0x1
	v_add_nc_u32_e32 v63, v63, v81
	s_wait_dscnt 0x0
	global_store_b64 v63, v[64:65], s[46:47] scale_offset
	s_wait_xcnt 0x0
	s_or_b32 exec_lo, exec_lo, s17
	s_and_saveexec_b32 s17, s33
	s_cbranch_execnz .LBB317_1179
	s_branch .LBB317_1180
.LBB317_1247:                           ;   in Loop: Header=BB317_1040 Depth=2
	global_load_u8 v147, v[62:63], off
	v_dual_mov_b32 v115, 0x80 :: v_dual_mov_b32 v150, 0x80
	v_dual_mov_b32 v148, 0x80 :: v_dual_mov_b32 v151, 0x80
	;; [unrolled: 1-line block ×8, first 2 shown]
	s_wait_xcnt 0x0
	s_or_b32 exec_lo, exec_lo, s17
	s_delay_alu instid0(SALU_CYCLE_1)
	s_mov_b32 s17, exec_lo
	v_cmpx_gt_u32_e64 s59, v98
	s_cbranch_execz .LBB317_1045
.LBB317_1248:                           ;   in Loop: Header=BB317_1040 Depth=2
	global_load_u8 v150, v[62:63], off offset:32
	s_wait_xcnt 0x0
	s_or_b32 exec_lo, exec_lo, s17
	s_delay_alu instid0(SALU_CYCLE_1)
	s_mov_b32 s17, exec_lo
	v_cmpx_gt_u32_e64 s59, v99
	s_cbranch_execz .LBB317_1046
.LBB317_1249:                           ;   in Loop: Header=BB317_1040 Depth=2
	global_load_u8 v148, v[62:63], off offset:64
	s_wait_xcnt 0x0
	s_or_b32 exec_lo, exec_lo, s17
	s_delay_alu instid0(SALU_CYCLE_1)
	s_mov_b32 s17, exec_lo
	v_cmpx_gt_u32_e64 s59, v100
	s_cbranch_execz .LBB317_1047
.LBB317_1250:                           ;   in Loop: Header=BB317_1040 Depth=2
	global_load_u8 v151, v[62:63], off offset:96
	s_wait_xcnt 0x0
	s_or_b32 exec_lo, exec_lo, s17
	s_delay_alu instid0(SALU_CYCLE_1)
	s_mov_b32 s17, exec_lo
	v_cmpx_gt_u32_e64 s59, v101
	s_cbranch_execz .LBB317_1048
.LBB317_1251:                           ;   in Loop: Header=BB317_1040 Depth=2
	global_load_u8 v142, v[62:63], off offset:128
	s_wait_xcnt 0x0
	s_or_b32 exec_lo, exec_lo, s17
	s_delay_alu instid0(SALU_CYCLE_1)
	s_mov_b32 s17, exec_lo
	v_cmpx_gt_u32_e64 s59, v102
	s_cbranch_execz .LBB317_1049
.LBB317_1252:                           ;   in Loop: Header=BB317_1040 Depth=2
	global_load_u8 v145, v[62:63], off offset:160
	s_wait_xcnt 0x0
	s_or_b32 exec_lo, exec_lo, s17
	s_delay_alu instid0(SALU_CYCLE_1)
	s_mov_b32 s17, exec_lo
	v_cmpx_gt_u32_e64 s59, v103
	s_cbranch_execz .LBB317_1050
.LBB317_1253:                           ;   in Loop: Header=BB317_1040 Depth=2
	global_load_u8 v143, v[62:63], off offset:192
	s_wait_xcnt 0x0
	s_or_b32 exec_lo, exec_lo, s17
	s_delay_alu instid0(SALU_CYCLE_1)
	s_mov_b32 s17, exec_lo
	v_cmpx_gt_u32_e64 s59, v104
	s_cbranch_execz .LBB317_1051
.LBB317_1254:                           ;   in Loop: Header=BB317_1040 Depth=2
	global_load_u8 v144, v[62:63], off offset:224
	s_wait_xcnt 0x0
	s_or_b32 exec_lo, exec_lo, s17
	s_delay_alu instid0(SALU_CYCLE_1)
	s_mov_b32 s17, exec_lo
	v_cmpx_gt_u32_e64 s59, v105
	s_cbranch_execz .LBB317_1052
.LBB317_1255:                           ;   in Loop: Header=BB317_1040 Depth=2
	global_load_u8 v138, v[62:63], off offset:256
	s_wait_xcnt 0x0
	s_or_b32 exec_lo, exec_lo, s17
	s_delay_alu instid0(SALU_CYCLE_1)
	s_mov_b32 s17, exec_lo
	v_cmpx_gt_u32_e64 s59, v106
	s_cbranch_execz .LBB317_1053
.LBB317_1256:                           ;   in Loop: Header=BB317_1040 Depth=2
	global_load_u8 v141, v[62:63], off offset:288
	s_wait_xcnt 0x0
	s_or_b32 exec_lo, exec_lo, s17
	s_delay_alu instid0(SALU_CYCLE_1)
	s_mov_b32 s17, exec_lo
	v_cmpx_gt_u32_e64 s59, v107
	s_cbranch_execz .LBB317_1054
.LBB317_1257:                           ;   in Loop: Header=BB317_1040 Depth=2
	global_load_u8 v139, v[62:63], off offset:320
	s_wait_xcnt 0x0
	s_or_b32 exec_lo, exec_lo, s17
	s_delay_alu instid0(SALU_CYCLE_1)
	s_mov_b32 s17, exec_lo
	v_cmpx_gt_u32_e64 s59, v108
	s_cbranch_execz .LBB317_1055
.LBB317_1258:                           ;   in Loop: Header=BB317_1040 Depth=2
	global_load_u8 v140, v[62:63], off offset:352
	s_wait_xcnt 0x0
	s_or_b32 exec_lo, exec_lo, s17
	s_delay_alu instid0(SALU_CYCLE_1)
	s_mov_b32 s17, exec_lo
	v_cmpx_gt_u32_e64 s59, v109
	s_cbranch_execz .LBB317_1056
.LBB317_1259:                           ;   in Loop: Header=BB317_1040 Depth=2
	global_load_u8 v64, v[62:63], off offset:384
	s_wait_xcnt 0x0
	s_or_b32 exec_lo, exec_lo, s17
	s_delay_alu instid0(SALU_CYCLE_1)
	s_mov_b32 s17, exec_lo
	v_cmpx_gt_u32_e64 s59, v110
	s_cbranch_execz .LBB317_1057
.LBB317_1260:                           ;   in Loop: Header=BB317_1040 Depth=2
	global_load_u8 v136, v[62:63], off offset:416
	s_wait_xcnt 0x0
	s_or_b32 exec_lo, exec_lo, s17
	s_delay_alu instid0(SALU_CYCLE_1)
	s_mov_b32 s17, exec_lo
	v_cmpx_gt_u32_e64 s59, v111
	s_cbranch_execz .LBB317_1058
.LBB317_1261:                           ;   in Loop: Header=BB317_1040 Depth=2
	global_load_u8 v65, v[62:63], off offset:448
	s_wait_xcnt 0x0
	s_or_b32 exec_lo, exec_lo, s17
	s_delay_alu instid0(SALU_CYCLE_1)
	s_mov_b32 s17, exec_lo
	v_cmpx_gt_u32_e64 s59, v112
	s_cbranch_execnz .LBB317_1059
	s_branch .LBB317_1060
.LBB317_1262:
	s_endpgm
	.section	.rodata,"a",@progbits
	.p2align	6, 0x0
	.amdhsa_kernel _ZN7rocprim17ROCPRIM_400000_NS6detail17trampoline_kernelINS0_14default_configENS1_36segmented_radix_sort_config_selectorIalEEZNS1_25segmented_radix_sort_implIS3_Lb1EPKaPaPKlPlN2at6native12_GLOBAL__N_18offset_tEEE10hipError_tPvRmT1_PNSt15iterator_traitsISK_E10value_typeET2_T3_PNSL_ISQ_E10value_typeET4_jRbjT5_SW_jjP12ihipStream_tbEUlT_E2_NS1_11comp_targetILNS1_3genE0ELNS1_11target_archE4294967295ELNS1_3gpuE0ELNS1_3repE0EEENS1_30default_config_static_selectorELNS0_4arch9wavefront6targetE0EEEvSK_
		.amdhsa_group_segment_fixed_size 35344
		.amdhsa_private_segment_fixed_size 0
		.amdhsa_kernarg_size 336
		.amdhsa_user_sgpr_count 4
		.amdhsa_user_sgpr_dispatch_ptr 0
		.amdhsa_user_sgpr_queue_ptr 1
		.amdhsa_user_sgpr_kernarg_segment_ptr 1
		.amdhsa_user_sgpr_dispatch_id 0
		.amdhsa_user_sgpr_kernarg_preload_length 0
		.amdhsa_user_sgpr_kernarg_preload_offset 0
		.amdhsa_user_sgpr_private_segment_size 0
		.amdhsa_wavefront_size32 1
		.amdhsa_uses_dynamic_stack 0
		.amdhsa_enable_private_segment 0
		.amdhsa_system_sgpr_workgroup_id_x 1
		.amdhsa_system_sgpr_workgroup_id_y 1
		.amdhsa_system_sgpr_workgroup_id_z 0
		.amdhsa_system_sgpr_workgroup_info 0
		.amdhsa_system_vgpr_workitem_id 2
		.amdhsa_next_free_vgpr 315
		.amdhsa_next_free_sgpr 62
		.amdhsa_named_barrier_count 0
		.amdhsa_reserve_vcc 1
		.amdhsa_float_round_mode_32 0
		.amdhsa_float_round_mode_16_64 0
		.amdhsa_float_denorm_mode_32 3
		.amdhsa_float_denorm_mode_16_64 3
		.amdhsa_fp16_overflow 0
		.amdhsa_memory_ordered 1
		.amdhsa_forward_progress 1
		.amdhsa_inst_pref_size 255
		.amdhsa_round_robin_scheduling 0
		.amdhsa_exception_fp_ieee_invalid_op 0
		.amdhsa_exception_fp_denorm_src 0
		.amdhsa_exception_fp_ieee_div_zero 0
		.amdhsa_exception_fp_ieee_overflow 0
		.amdhsa_exception_fp_ieee_underflow 0
		.amdhsa_exception_fp_ieee_inexact 0
		.amdhsa_exception_int_div_zero 0
	.end_amdhsa_kernel
	.section	.text._ZN7rocprim17ROCPRIM_400000_NS6detail17trampoline_kernelINS0_14default_configENS1_36segmented_radix_sort_config_selectorIalEEZNS1_25segmented_radix_sort_implIS3_Lb1EPKaPaPKlPlN2at6native12_GLOBAL__N_18offset_tEEE10hipError_tPvRmT1_PNSt15iterator_traitsISK_E10value_typeET2_T3_PNSL_ISQ_E10value_typeET4_jRbjT5_SW_jjP12ihipStream_tbEUlT_E2_NS1_11comp_targetILNS1_3genE0ELNS1_11target_archE4294967295ELNS1_3gpuE0ELNS1_3repE0EEENS1_30default_config_static_selectorELNS0_4arch9wavefront6targetE0EEEvSK_,"axG",@progbits,_ZN7rocprim17ROCPRIM_400000_NS6detail17trampoline_kernelINS0_14default_configENS1_36segmented_radix_sort_config_selectorIalEEZNS1_25segmented_radix_sort_implIS3_Lb1EPKaPaPKlPlN2at6native12_GLOBAL__N_18offset_tEEE10hipError_tPvRmT1_PNSt15iterator_traitsISK_E10value_typeET2_T3_PNSL_ISQ_E10value_typeET4_jRbjT5_SW_jjP12ihipStream_tbEUlT_E2_NS1_11comp_targetILNS1_3genE0ELNS1_11target_archE4294967295ELNS1_3gpuE0ELNS1_3repE0EEENS1_30default_config_static_selectorELNS0_4arch9wavefront6targetE0EEEvSK_,comdat
.Lfunc_end317:
	.size	_ZN7rocprim17ROCPRIM_400000_NS6detail17trampoline_kernelINS0_14default_configENS1_36segmented_radix_sort_config_selectorIalEEZNS1_25segmented_radix_sort_implIS3_Lb1EPKaPaPKlPlN2at6native12_GLOBAL__N_18offset_tEEE10hipError_tPvRmT1_PNSt15iterator_traitsISK_E10value_typeET2_T3_PNSL_ISQ_E10value_typeET4_jRbjT5_SW_jjP12ihipStream_tbEUlT_E2_NS1_11comp_targetILNS1_3genE0ELNS1_11target_archE4294967295ELNS1_3gpuE0ELNS1_3repE0EEENS1_30default_config_static_selectorELNS0_4arch9wavefront6targetE0EEEvSK_, .Lfunc_end317-_ZN7rocprim17ROCPRIM_400000_NS6detail17trampoline_kernelINS0_14default_configENS1_36segmented_radix_sort_config_selectorIalEEZNS1_25segmented_radix_sort_implIS3_Lb1EPKaPaPKlPlN2at6native12_GLOBAL__N_18offset_tEEE10hipError_tPvRmT1_PNSt15iterator_traitsISK_E10value_typeET2_T3_PNSL_ISQ_E10value_typeET4_jRbjT5_SW_jjP12ihipStream_tbEUlT_E2_NS1_11comp_targetILNS1_3genE0ELNS1_11target_archE4294967295ELNS1_3gpuE0ELNS1_3repE0EEENS1_30default_config_static_selectorELNS0_4arch9wavefront6targetE0EEEvSK_
                                        ; -- End function
	.set _ZN7rocprim17ROCPRIM_400000_NS6detail17trampoline_kernelINS0_14default_configENS1_36segmented_radix_sort_config_selectorIalEEZNS1_25segmented_radix_sort_implIS3_Lb1EPKaPaPKlPlN2at6native12_GLOBAL__N_18offset_tEEE10hipError_tPvRmT1_PNSt15iterator_traitsISK_E10value_typeET2_T3_PNSL_ISQ_E10value_typeET4_jRbjT5_SW_jjP12ihipStream_tbEUlT_E2_NS1_11comp_targetILNS1_3genE0ELNS1_11target_archE4294967295ELNS1_3gpuE0ELNS1_3repE0EEENS1_30default_config_static_selectorELNS0_4arch9wavefront6targetE0EEEvSK_.num_vgpr, max(204, .L_ZN7rocprim17ROCPRIM_400000_NS6detail26segmented_warp_sort_helperINS1_20WarpSortHelperConfigILj32ELj4ELj256EEEalLi256ELb1EvE4sortIPKaPaPKlPlEEvT_T0_T1_T2_jjjjRNS5_12storage_typeE.num_vgpr, .L_ZN7rocprim17ROCPRIM_400000_NS6detail40segmented_radix_sort_single_block_helperIalLj256ELj17ELb1EE4sortIPKaPaPKlPlEEbT_T0_T1_T2_jjjjRNS3_12storage_typeE.num_vgpr)
	.set _ZN7rocprim17ROCPRIM_400000_NS6detail17trampoline_kernelINS0_14default_configENS1_36segmented_radix_sort_config_selectorIalEEZNS1_25segmented_radix_sort_implIS3_Lb1EPKaPaPKlPlN2at6native12_GLOBAL__N_18offset_tEEE10hipError_tPvRmT1_PNSt15iterator_traitsISK_E10value_typeET2_T3_PNSL_ISQ_E10value_typeET4_jRbjT5_SW_jjP12ihipStream_tbEUlT_E2_NS1_11comp_targetILNS1_3genE0ELNS1_11target_archE4294967295ELNS1_3gpuE0ELNS1_3repE0EEENS1_30default_config_static_selectorELNS0_4arch9wavefront6targetE0EEEvSK_.num_agpr, max(0, .L_ZN7rocprim17ROCPRIM_400000_NS6detail26segmented_warp_sort_helperINS1_20WarpSortHelperConfigILj32ELj4ELj256EEEalLi256ELb1EvE4sortIPKaPaPKlPlEEvT_T0_T1_T2_jjjjRNS5_12storage_typeE.num_agpr, .L_ZN7rocprim17ROCPRIM_400000_NS6detail40segmented_radix_sort_single_block_helperIalLj256ELj17ELb1EE4sortIPKaPaPKlPlEEbT_T0_T1_T2_jjjjRNS3_12storage_typeE.num_agpr)
	.set _ZN7rocprim17ROCPRIM_400000_NS6detail17trampoline_kernelINS0_14default_configENS1_36segmented_radix_sort_config_selectorIalEEZNS1_25segmented_radix_sort_implIS3_Lb1EPKaPaPKlPlN2at6native12_GLOBAL__N_18offset_tEEE10hipError_tPvRmT1_PNSt15iterator_traitsISK_E10value_typeET2_T3_PNSL_ISQ_E10value_typeET4_jRbjT5_SW_jjP12ihipStream_tbEUlT_E2_NS1_11comp_targetILNS1_3genE0ELNS1_11target_archE4294967295ELNS1_3gpuE0ELNS1_3repE0EEENS1_30default_config_static_selectorELNS0_4arch9wavefront6targetE0EEEvSK_.numbered_sgpr, max(62, .L_ZN7rocprim17ROCPRIM_400000_NS6detail26segmented_warp_sort_helperINS1_20WarpSortHelperConfigILj32ELj4ELj256EEEalLi256ELb1EvE4sortIPKaPaPKlPlEEvT_T0_T1_T2_jjjjRNS5_12storage_typeE.numbered_sgpr, .L_ZN7rocprim17ROCPRIM_400000_NS6detail40segmented_radix_sort_single_block_helperIalLj256ELj17ELb1EE4sortIPKaPaPKlPlEEbT_T0_T1_T2_jjjjRNS3_12storage_typeE.numbered_sgpr)
	.set _ZN7rocprim17ROCPRIM_400000_NS6detail17trampoline_kernelINS0_14default_configENS1_36segmented_radix_sort_config_selectorIalEEZNS1_25segmented_radix_sort_implIS3_Lb1EPKaPaPKlPlN2at6native12_GLOBAL__N_18offset_tEEE10hipError_tPvRmT1_PNSt15iterator_traitsISK_E10value_typeET2_T3_PNSL_ISQ_E10value_typeET4_jRbjT5_SW_jjP12ihipStream_tbEUlT_E2_NS1_11comp_targetILNS1_3genE0ELNS1_11target_archE4294967295ELNS1_3gpuE0ELNS1_3repE0EEENS1_30default_config_static_selectorELNS0_4arch9wavefront6targetE0EEEvSK_.num_named_barrier, max(0, .L_ZN7rocprim17ROCPRIM_400000_NS6detail26segmented_warp_sort_helperINS1_20WarpSortHelperConfigILj32ELj4ELj256EEEalLi256ELb1EvE4sortIPKaPaPKlPlEEvT_T0_T1_T2_jjjjRNS5_12storage_typeE.num_named_barrier, .L_ZN7rocprim17ROCPRIM_400000_NS6detail40segmented_radix_sort_single_block_helperIalLj256ELj17ELb1EE4sortIPKaPaPKlPlEEbT_T0_T1_T2_jjjjRNS3_12storage_typeE.num_named_barrier)
	.set _ZN7rocprim17ROCPRIM_400000_NS6detail17trampoline_kernelINS0_14default_configENS1_36segmented_radix_sort_config_selectorIalEEZNS1_25segmented_radix_sort_implIS3_Lb1EPKaPaPKlPlN2at6native12_GLOBAL__N_18offset_tEEE10hipError_tPvRmT1_PNSt15iterator_traitsISK_E10value_typeET2_T3_PNSL_ISQ_E10value_typeET4_jRbjT5_SW_jjP12ihipStream_tbEUlT_E2_NS1_11comp_targetILNS1_3genE0ELNS1_11target_archE4294967295ELNS1_3gpuE0ELNS1_3repE0EEENS1_30default_config_static_selectorELNS0_4arch9wavefront6targetE0EEEvSK_.private_seg_size, 0+max(.L_ZN7rocprim17ROCPRIM_400000_NS6detail26segmented_warp_sort_helperINS1_20WarpSortHelperConfigILj32ELj4ELj256EEEalLi256ELb1EvE4sortIPKaPaPKlPlEEvT_T0_T1_T2_jjjjRNS5_12storage_typeE.private_seg_size, .L_ZN7rocprim17ROCPRIM_400000_NS6detail40segmented_radix_sort_single_block_helperIalLj256ELj17ELb1EE4sortIPKaPaPKlPlEEbT_T0_T1_T2_jjjjRNS3_12storage_typeE.private_seg_size)
	.set _ZN7rocprim17ROCPRIM_400000_NS6detail17trampoline_kernelINS0_14default_configENS1_36segmented_radix_sort_config_selectorIalEEZNS1_25segmented_radix_sort_implIS3_Lb1EPKaPaPKlPlN2at6native12_GLOBAL__N_18offset_tEEE10hipError_tPvRmT1_PNSt15iterator_traitsISK_E10value_typeET2_T3_PNSL_ISQ_E10value_typeET4_jRbjT5_SW_jjP12ihipStream_tbEUlT_E2_NS1_11comp_targetILNS1_3genE0ELNS1_11target_archE4294967295ELNS1_3gpuE0ELNS1_3repE0EEENS1_30default_config_static_selectorELNS0_4arch9wavefront6targetE0EEEvSK_.uses_vcc, or(1, .L_ZN7rocprim17ROCPRIM_400000_NS6detail26segmented_warp_sort_helperINS1_20WarpSortHelperConfigILj32ELj4ELj256EEEalLi256ELb1EvE4sortIPKaPaPKlPlEEvT_T0_T1_T2_jjjjRNS5_12storage_typeE.uses_vcc, .L_ZN7rocprim17ROCPRIM_400000_NS6detail40segmented_radix_sort_single_block_helperIalLj256ELj17ELb1EE4sortIPKaPaPKlPlEEbT_T0_T1_T2_jjjjRNS3_12storage_typeE.uses_vcc)
	.set _ZN7rocprim17ROCPRIM_400000_NS6detail17trampoline_kernelINS0_14default_configENS1_36segmented_radix_sort_config_selectorIalEEZNS1_25segmented_radix_sort_implIS3_Lb1EPKaPaPKlPlN2at6native12_GLOBAL__N_18offset_tEEE10hipError_tPvRmT1_PNSt15iterator_traitsISK_E10value_typeET2_T3_PNSL_ISQ_E10value_typeET4_jRbjT5_SW_jjP12ihipStream_tbEUlT_E2_NS1_11comp_targetILNS1_3genE0ELNS1_11target_archE4294967295ELNS1_3gpuE0ELNS1_3repE0EEENS1_30default_config_static_selectorELNS0_4arch9wavefront6targetE0EEEvSK_.uses_flat_scratch, or(0, .L_ZN7rocprim17ROCPRIM_400000_NS6detail26segmented_warp_sort_helperINS1_20WarpSortHelperConfigILj32ELj4ELj256EEEalLi256ELb1EvE4sortIPKaPaPKlPlEEvT_T0_T1_T2_jjjjRNS5_12storage_typeE.uses_flat_scratch, .L_ZN7rocprim17ROCPRIM_400000_NS6detail40segmented_radix_sort_single_block_helperIalLj256ELj17ELb1EE4sortIPKaPaPKlPlEEbT_T0_T1_T2_jjjjRNS3_12storage_typeE.uses_flat_scratch)
	.set _ZN7rocprim17ROCPRIM_400000_NS6detail17trampoline_kernelINS0_14default_configENS1_36segmented_radix_sort_config_selectorIalEEZNS1_25segmented_radix_sort_implIS3_Lb1EPKaPaPKlPlN2at6native12_GLOBAL__N_18offset_tEEE10hipError_tPvRmT1_PNSt15iterator_traitsISK_E10value_typeET2_T3_PNSL_ISQ_E10value_typeET4_jRbjT5_SW_jjP12ihipStream_tbEUlT_E2_NS1_11comp_targetILNS1_3genE0ELNS1_11target_archE4294967295ELNS1_3gpuE0ELNS1_3repE0EEENS1_30default_config_static_selectorELNS0_4arch9wavefront6targetE0EEEvSK_.has_dyn_sized_stack, or(0, .L_ZN7rocprim17ROCPRIM_400000_NS6detail26segmented_warp_sort_helperINS1_20WarpSortHelperConfigILj32ELj4ELj256EEEalLi256ELb1EvE4sortIPKaPaPKlPlEEvT_T0_T1_T2_jjjjRNS5_12storage_typeE.has_dyn_sized_stack, .L_ZN7rocprim17ROCPRIM_400000_NS6detail40segmented_radix_sort_single_block_helperIalLj256ELj17ELb1EE4sortIPKaPaPKlPlEEbT_T0_T1_T2_jjjjRNS3_12storage_typeE.has_dyn_sized_stack)
	.set _ZN7rocprim17ROCPRIM_400000_NS6detail17trampoline_kernelINS0_14default_configENS1_36segmented_radix_sort_config_selectorIalEEZNS1_25segmented_radix_sort_implIS3_Lb1EPKaPaPKlPlN2at6native12_GLOBAL__N_18offset_tEEE10hipError_tPvRmT1_PNSt15iterator_traitsISK_E10value_typeET2_T3_PNSL_ISQ_E10value_typeET4_jRbjT5_SW_jjP12ihipStream_tbEUlT_E2_NS1_11comp_targetILNS1_3genE0ELNS1_11target_archE4294967295ELNS1_3gpuE0ELNS1_3repE0EEENS1_30default_config_static_selectorELNS0_4arch9wavefront6targetE0EEEvSK_.has_recursion, or(0, .L_ZN7rocprim17ROCPRIM_400000_NS6detail26segmented_warp_sort_helperINS1_20WarpSortHelperConfigILj32ELj4ELj256EEEalLi256ELb1EvE4sortIPKaPaPKlPlEEvT_T0_T1_T2_jjjjRNS5_12storage_typeE.has_recursion, .L_ZN7rocprim17ROCPRIM_400000_NS6detail40segmented_radix_sort_single_block_helperIalLj256ELj17ELb1EE4sortIPKaPaPKlPlEEbT_T0_T1_T2_jjjjRNS3_12storage_typeE.has_recursion)
	.set _ZN7rocprim17ROCPRIM_400000_NS6detail17trampoline_kernelINS0_14default_configENS1_36segmented_radix_sort_config_selectorIalEEZNS1_25segmented_radix_sort_implIS3_Lb1EPKaPaPKlPlN2at6native12_GLOBAL__N_18offset_tEEE10hipError_tPvRmT1_PNSt15iterator_traitsISK_E10value_typeET2_T3_PNSL_ISQ_E10value_typeET4_jRbjT5_SW_jjP12ihipStream_tbEUlT_E2_NS1_11comp_targetILNS1_3genE0ELNS1_11target_archE4294967295ELNS1_3gpuE0ELNS1_3repE0EEENS1_30default_config_static_selectorELNS0_4arch9wavefront6targetE0EEEvSK_.has_indirect_call, or(0, .L_ZN7rocprim17ROCPRIM_400000_NS6detail26segmented_warp_sort_helperINS1_20WarpSortHelperConfigILj32ELj4ELj256EEEalLi256ELb1EvE4sortIPKaPaPKlPlEEvT_T0_T1_T2_jjjjRNS5_12storage_typeE.has_indirect_call, .L_ZN7rocprim17ROCPRIM_400000_NS6detail40segmented_radix_sort_single_block_helperIalLj256ELj17ELb1EE4sortIPKaPaPKlPlEEbT_T0_T1_T2_jjjjRNS3_12storage_typeE.has_indirect_call)
	.section	.AMDGPU.csdata,"",@progbits
; Kernel info:
; codeLenInByte = 76028
; TotalNumSgprs: 64
; NumVgprs: 315
; ScratchSize: 0
; MemoryBound: 0
; FloatMode: 240
; IeeeMode: 1
; LDSByteSize: 35344 bytes/workgroup (compile time only)
; SGPRBlocks: 0
; VGPRBlocks: 19
; NumSGPRsForWavesPerEU: 64
; NumVGPRsForWavesPerEU: 315
; NamedBarCnt: 0
; Occupancy: 3
; WaveLimiterHint : 1
; COMPUTE_PGM_RSRC2:SCRATCH_EN: 0
; COMPUTE_PGM_RSRC2:USER_SGPR: 4
; COMPUTE_PGM_RSRC2:TRAP_HANDLER: 0
; COMPUTE_PGM_RSRC2:TGID_X_EN: 1
; COMPUTE_PGM_RSRC2:TGID_Y_EN: 1
; COMPUTE_PGM_RSRC2:TGID_Z_EN: 0
; COMPUTE_PGM_RSRC2:TIDIG_COMP_CNT: 2
	.section	.text._ZN7rocprim17ROCPRIM_400000_NS6detail17trampoline_kernelINS0_14default_configENS1_36segmented_radix_sort_config_selectorIalEEZNS1_25segmented_radix_sort_implIS3_Lb1EPKaPaPKlPlN2at6native12_GLOBAL__N_18offset_tEEE10hipError_tPvRmT1_PNSt15iterator_traitsISK_E10value_typeET2_T3_PNSL_ISQ_E10value_typeET4_jRbjT5_SW_jjP12ihipStream_tbEUlT_E2_NS1_11comp_targetILNS1_3genE5ELNS1_11target_archE942ELNS1_3gpuE9ELNS1_3repE0EEENS1_30default_config_static_selectorELNS0_4arch9wavefront6targetE0EEEvSK_,"axG",@progbits,_ZN7rocprim17ROCPRIM_400000_NS6detail17trampoline_kernelINS0_14default_configENS1_36segmented_radix_sort_config_selectorIalEEZNS1_25segmented_radix_sort_implIS3_Lb1EPKaPaPKlPlN2at6native12_GLOBAL__N_18offset_tEEE10hipError_tPvRmT1_PNSt15iterator_traitsISK_E10value_typeET2_T3_PNSL_ISQ_E10value_typeET4_jRbjT5_SW_jjP12ihipStream_tbEUlT_E2_NS1_11comp_targetILNS1_3genE5ELNS1_11target_archE942ELNS1_3gpuE9ELNS1_3repE0EEENS1_30default_config_static_selectorELNS0_4arch9wavefront6targetE0EEEvSK_,comdat
	.globl	_ZN7rocprim17ROCPRIM_400000_NS6detail17trampoline_kernelINS0_14default_configENS1_36segmented_radix_sort_config_selectorIalEEZNS1_25segmented_radix_sort_implIS3_Lb1EPKaPaPKlPlN2at6native12_GLOBAL__N_18offset_tEEE10hipError_tPvRmT1_PNSt15iterator_traitsISK_E10value_typeET2_T3_PNSL_ISQ_E10value_typeET4_jRbjT5_SW_jjP12ihipStream_tbEUlT_E2_NS1_11comp_targetILNS1_3genE5ELNS1_11target_archE942ELNS1_3gpuE9ELNS1_3repE0EEENS1_30default_config_static_selectorELNS0_4arch9wavefront6targetE0EEEvSK_ ; -- Begin function _ZN7rocprim17ROCPRIM_400000_NS6detail17trampoline_kernelINS0_14default_configENS1_36segmented_radix_sort_config_selectorIalEEZNS1_25segmented_radix_sort_implIS3_Lb1EPKaPaPKlPlN2at6native12_GLOBAL__N_18offset_tEEE10hipError_tPvRmT1_PNSt15iterator_traitsISK_E10value_typeET2_T3_PNSL_ISQ_E10value_typeET4_jRbjT5_SW_jjP12ihipStream_tbEUlT_E2_NS1_11comp_targetILNS1_3genE5ELNS1_11target_archE942ELNS1_3gpuE9ELNS1_3repE0EEENS1_30default_config_static_selectorELNS0_4arch9wavefront6targetE0EEEvSK_
	.p2align	8
	.type	_ZN7rocprim17ROCPRIM_400000_NS6detail17trampoline_kernelINS0_14default_configENS1_36segmented_radix_sort_config_selectorIalEEZNS1_25segmented_radix_sort_implIS3_Lb1EPKaPaPKlPlN2at6native12_GLOBAL__N_18offset_tEEE10hipError_tPvRmT1_PNSt15iterator_traitsISK_E10value_typeET2_T3_PNSL_ISQ_E10value_typeET4_jRbjT5_SW_jjP12ihipStream_tbEUlT_E2_NS1_11comp_targetILNS1_3genE5ELNS1_11target_archE942ELNS1_3gpuE9ELNS1_3repE0EEENS1_30default_config_static_selectorELNS0_4arch9wavefront6targetE0EEEvSK_,@function
_ZN7rocprim17ROCPRIM_400000_NS6detail17trampoline_kernelINS0_14default_configENS1_36segmented_radix_sort_config_selectorIalEEZNS1_25segmented_radix_sort_implIS3_Lb1EPKaPaPKlPlN2at6native12_GLOBAL__N_18offset_tEEE10hipError_tPvRmT1_PNSt15iterator_traitsISK_E10value_typeET2_T3_PNSL_ISQ_E10value_typeET4_jRbjT5_SW_jjP12ihipStream_tbEUlT_E2_NS1_11comp_targetILNS1_3genE5ELNS1_11target_archE942ELNS1_3gpuE9ELNS1_3repE0EEENS1_30default_config_static_selectorELNS0_4arch9wavefront6targetE0EEEvSK_: ; @_ZN7rocprim17ROCPRIM_400000_NS6detail17trampoline_kernelINS0_14default_configENS1_36segmented_radix_sort_config_selectorIalEEZNS1_25segmented_radix_sort_implIS3_Lb1EPKaPaPKlPlN2at6native12_GLOBAL__N_18offset_tEEE10hipError_tPvRmT1_PNSt15iterator_traitsISK_E10value_typeET2_T3_PNSL_ISQ_E10value_typeET4_jRbjT5_SW_jjP12ihipStream_tbEUlT_E2_NS1_11comp_targetILNS1_3genE5ELNS1_11target_archE942ELNS1_3gpuE9ELNS1_3repE0EEENS1_30default_config_static_selectorELNS0_4arch9wavefront6targetE0EEEvSK_
; %bb.0:
	.section	.rodata,"a",@progbits
	.p2align	6, 0x0
	.amdhsa_kernel _ZN7rocprim17ROCPRIM_400000_NS6detail17trampoline_kernelINS0_14default_configENS1_36segmented_radix_sort_config_selectorIalEEZNS1_25segmented_radix_sort_implIS3_Lb1EPKaPaPKlPlN2at6native12_GLOBAL__N_18offset_tEEE10hipError_tPvRmT1_PNSt15iterator_traitsISK_E10value_typeET2_T3_PNSL_ISQ_E10value_typeET4_jRbjT5_SW_jjP12ihipStream_tbEUlT_E2_NS1_11comp_targetILNS1_3genE5ELNS1_11target_archE942ELNS1_3gpuE9ELNS1_3repE0EEENS1_30default_config_static_selectorELNS0_4arch9wavefront6targetE0EEEvSK_
		.amdhsa_group_segment_fixed_size 0
		.amdhsa_private_segment_fixed_size 0
		.amdhsa_kernarg_size 80
		.amdhsa_user_sgpr_count 2
		.amdhsa_user_sgpr_dispatch_ptr 0
		.amdhsa_user_sgpr_queue_ptr 0
		.amdhsa_user_sgpr_kernarg_segment_ptr 1
		.amdhsa_user_sgpr_dispatch_id 0
		.amdhsa_user_sgpr_kernarg_preload_length 0
		.amdhsa_user_sgpr_kernarg_preload_offset 0
		.amdhsa_user_sgpr_private_segment_size 0
		.amdhsa_wavefront_size32 1
		.amdhsa_uses_dynamic_stack 0
		.amdhsa_enable_private_segment 0
		.amdhsa_system_sgpr_workgroup_id_x 1
		.amdhsa_system_sgpr_workgroup_id_y 0
		.amdhsa_system_sgpr_workgroup_id_z 0
		.amdhsa_system_sgpr_workgroup_info 0
		.amdhsa_system_vgpr_workitem_id 0
		.amdhsa_next_free_vgpr 1
		.amdhsa_next_free_sgpr 1
		.amdhsa_named_barrier_count 0
		.amdhsa_reserve_vcc 0
		.amdhsa_float_round_mode_32 0
		.amdhsa_float_round_mode_16_64 0
		.amdhsa_float_denorm_mode_32 3
		.amdhsa_float_denorm_mode_16_64 3
		.amdhsa_fp16_overflow 0
		.amdhsa_memory_ordered 1
		.amdhsa_forward_progress 1
		.amdhsa_inst_pref_size 0
		.amdhsa_round_robin_scheduling 0
		.amdhsa_exception_fp_ieee_invalid_op 0
		.amdhsa_exception_fp_denorm_src 0
		.amdhsa_exception_fp_ieee_div_zero 0
		.amdhsa_exception_fp_ieee_overflow 0
		.amdhsa_exception_fp_ieee_underflow 0
		.amdhsa_exception_fp_ieee_inexact 0
		.amdhsa_exception_int_div_zero 0
	.end_amdhsa_kernel
	.section	.text._ZN7rocprim17ROCPRIM_400000_NS6detail17trampoline_kernelINS0_14default_configENS1_36segmented_radix_sort_config_selectorIalEEZNS1_25segmented_radix_sort_implIS3_Lb1EPKaPaPKlPlN2at6native12_GLOBAL__N_18offset_tEEE10hipError_tPvRmT1_PNSt15iterator_traitsISK_E10value_typeET2_T3_PNSL_ISQ_E10value_typeET4_jRbjT5_SW_jjP12ihipStream_tbEUlT_E2_NS1_11comp_targetILNS1_3genE5ELNS1_11target_archE942ELNS1_3gpuE9ELNS1_3repE0EEENS1_30default_config_static_selectorELNS0_4arch9wavefront6targetE0EEEvSK_,"axG",@progbits,_ZN7rocprim17ROCPRIM_400000_NS6detail17trampoline_kernelINS0_14default_configENS1_36segmented_radix_sort_config_selectorIalEEZNS1_25segmented_radix_sort_implIS3_Lb1EPKaPaPKlPlN2at6native12_GLOBAL__N_18offset_tEEE10hipError_tPvRmT1_PNSt15iterator_traitsISK_E10value_typeET2_T3_PNSL_ISQ_E10value_typeET4_jRbjT5_SW_jjP12ihipStream_tbEUlT_E2_NS1_11comp_targetILNS1_3genE5ELNS1_11target_archE942ELNS1_3gpuE9ELNS1_3repE0EEENS1_30default_config_static_selectorELNS0_4arch9wavefront6targetE0EEEvSK_,comdat
.Lfunc_end318:
	.size	_ZN7rocprim17ROCPRIM_400000_NS6detail17trampoline_kernelINS0_14default_configENS1_36segmented_radix_sort_config_selectorIalEEZNS1_25segmented_radix_sort_implIS3_Lb1EPKaPaPKlPlN2at6native12_GLOBAL__N_18offset_tEEE10hipError_tPvRmT1_PNSt15iterator_traitsISK_E10value_typeET2_T3_PNSL_ISQ_E10value_typeET4_jRbjT5_SW_jjP12ihipStream_tbEUlT_E2_NS1_11comp_targetILNS1_3genE5ELNS1_11target_archE942ELNS1_3gpuE9ELNS1_3repE0EEENS1_30default_config_static_selectorELNS0_4arch9wavefront6targetE0EEEvSK_, .Lfunc_end318-_ZN7rocprim17ROCPRIM_400000_NS6detail17trampoline_kernelINS0_14default_configENS1_36segmented_radix_sort_config_selectorIalEEZNS1_25segmented_radix_sort_implIS3_Lb1EPKaPaPKlPlN2at6native12_GLOBAL__N_18offset_tEEE10hipError_tPvRmT1_PNSt15iterator_traitsISK_E10value_typeET2_T3_PNSL_ISQ_E10value_typeET4_jRbjT5_SW_jjP12ihipStream_tbEUlT_E2_NS1_11comp_targetILNS1_3genE5ELNS1_11target_archE942ELNS1_3gpuE9ELNS1_3repE0EEENS1_30default_config_static_selectorELNS0_4arch9wavefront6targetE0EEEvSK_
                                        ; -- End function
	.set _ZN7rocprim17ROCPRIM_400000_NS6detail17trampoline_kernelINS0_14default_configENS1_36segmented_radix_sort_config_selectorIalEEZNS1_25segmented_radix_sort_implIS3_Lb1EPKaPaPKlPlN2at6native12_GLOBAL__N_18offset_tEEE10hipError_tPvRmT1_PNSt15iterator_traitsISK_E10value_typeET2_T3_PNSL_ISQ_E10value_typeET4_jRbjT5_SW_jjP12ihipStream_tbEUlT_E2_NS1_11comp_targetILNS1_3genE5ELNS1_11target_archE942ELNS1_3gpuE9ELNS1_3repE0EEENS1_30default_config_static_selectorELNS0_4arch9wavefront6targetE0EEEvSK_.num_vgpr, 0
	.set _ZN7rocprim17ROCPRIM_400000_NS6detail17trampoline_kernelINS0_14default_configENS1_36segmented_radix_sort_config_selectorIalEEZNS1_25segmented_radix_sort_implIS3_Lb1EPKaPaPKlPlN2at6native12_GLOBAL__N_18offset_tEEE10hipError_tPvRmT1_PNSt15iterator_traitsISK_E10value_typeET2_T3_PNSL_ISQ_E10value_typeET4_jRbjT5_SW_jjP12ihipStream_tbEUlT_E2_NS1_11comp_targetILNS1_3genE5ELNS1_11target_archE942ELNS1_3gpuE9ELNS1_3repE0EEENS1_30default_config_static_selectorELNS0_4arch9wavefront6targetE0EEEvSK_.num_agpr, 0
	.set _ZN7rocprim17ROCPRIM_400000_NS6detail17trampoline_kernelINS0_14default_configENS1_36segmented_radix_sort_config_selectorIalEEZNS1_25segmented_radix_sort_implIS3_Lb1EPKaPaPKlPlN2at6native12_GLOBAL__N_18offset_tEEE10hipError_tPvRmT1_PNSt15iterator_traitsISK_E10value_typeET2_T3_PNSL_ISQ_E10value_typeET4_jRbjT5_SW_jjP12ihipStream_tbEUlT_E2_NS1_11comp_targetILNS1_3genE5ELNS1_11target_archE942ELNS1_3gpuE9ELNS1_3repE0EEENS1_30default_config_static_selectorELNS0_4arch9wavefront6targetE0EEEvSK_.numbered_sgpr, 0
	.set _ZN7rocprim17ROCPRIM_400000_NS6detail17trampoline_kernelINS0_14default_configENS1_36segmented_radix_sort_config_selectorIalEEZNS1_25segmented_radix_sort_implIS3_Lb1EPKaPaPKlPlN2at6native12_GLOBAL__N_18offset_tEEE10hipError_tPvRmT1_PNSt15iterator_traitsISK_E10value_typeET2_T3_PNSL_ISQ_E10value_typeET4_jRbjT5_SW_jjP12ihipStream_tbEUlT_E2_NS1_11comp_targetILNS1_3genE5ELNS1_11target_archE942ELNS1_3gpuE9ELNS1_3repE0EEENS1_30default_config_static_selectorELNS0_4arch9wavefront6targetE0EEEvSK_.num_named_barrier, 0
	.set _ZN7rocprim17ROCPRIM_400000_NS6detail17trampoline_kernelINS0_14default_configENS1_36segmented_radix_sort_config_selectorIalEEZNS1_25segmented_radix_sort_implIS3_Lb1EPKaPaPKlPlN2at6native12_GLOBAL__N_18offset_tEEE10hipError_tPvRmT1_PNSt15iterator_traitsISK_E10value_typeET2_T3_PNSL_ISQ_E10value_typeET4_jRbjT5_SW_jjP12ihipStream_tbEUlT_E2_NS1_11comp_targetILNS1_3genE5ELNS1_11target_archE942ELNS1_3gpuE9ELNS1_3repE0EEENS1_30default_config_static_selectorELNS0_4arch9wavefront6targetE0EEEvSK_.private_seg_size, 0
	.set _ZN7rocprim17ROCPRIM_400000_NS6detail17trampoline_kernelINS0_14default_configENS1_36segmented_radix_sort_config_selectorIalEEZNS1_25segmented_radix_sort_implIS3_Lb1EPKaPaPKlPlN2at6native12_GLOBAL__N_18offset_tEEE10hipError_tPvRmT1_PNSt15iterator_traitsISK_E10value_typeET2_T3_PNSL_ISQ_E10value_typeET4_jRbjT5_SW_jjP12ihipStream_tbEUlT_E2_NS1_11comp_targetILNS1_3genE5ELNS1_11target_archE942ELNS1_3gpuE9ELNS1_3repE0EEENS1_30default_config_static_selectorELNS0_4arch9wavefront6targetE0EEEvSK_.uses_vcc, 0
	.set _ZN7rocprim17ROCPRIM_400000_NS6detail17trampoline_kernelINS0_14default_configENS1_36segmented_radix_sort_config_selectorIalEEZNS1_25segmented_radix_sort_implIS3_Lb1EPKaPaPKlPlN2at6native12_GLOBAL__N_18offset_tEEE10hipError_tPvRmT1_PNSt15iterator_traitsISK_E10value_typeET2_T3_PNSL_ISQ_E10value_typeET4_jRbjT5_SW_jjP12ihipStream_tbEUlT_E2_NS1_11comp_targetILNS1_3genE5ELNS1_11target_archE942ELNS1_3gpuE9ELNS1_3repE0EEENS1_30default_config_static_selectorELNS0_4arch9wavefront6targetE0EEEvSK_.uses_flat_scratch, 0
	.set _ZN7rocprim17ROCPRIM_400000_NS6detail17trampoline_kernelINS0_14default_configENS1_36segmented_radix_sort_config_selectorIalEEZNS1_25segmented_radix_sort_implIS3_Lb1EPKaPaPKlPlN2at6native12_GLOBAL__N_18offset_tEEE10hipError_tPvRmT1_PNSt15iterator_traitsISK_E10value_typeET2_T3_PNSL_ISQ_E10value_typeET4_jRbjT5_SW_jjP12ihipStream_tbEUlT_E2_NS1_11comp_targetILNS1_3genE5ELNS1_11target_archE942ELNS1_3gpuE9ELNS1_3repE0EEENS1_30default_config_static_selectorELNS0_4arch9wavefront6targetE0EEEvSK_.has_dyn_sized_stack, 0
	.set _ZN7rocprim17ROCPRIM_400000_NS6detail17trampoline_kernelINS0_14default_configENS1_36segmented_radix_sort_config_selectorIalEEZNS1_25segmented_radix_sort_implIS3_Lb1EPKaPaPKlPlN2at6native12_GLOBAL__N_18offset_tEEE10hipError_tPvRmT1_PNSt15iterator_traitsISK_E10value_typeET2_T3_PNSL_ISQ_E10value_typeET4_jRbjT5_SW_jjP12ihipStream_tbEUlT_E2_NS1_11comp_targetILNS1_3genE5ELNS1_11target_archE942ELNS1_3gpuE9ELNS1_3repE0EEENS1_30default_config_static_selectorELNS0_4arch9wavefront6targetE0EEEvSK_.has_recursion, 0
	.set _ZN7rocprim17ROCPRIM_400000_NS6detail17trampoline_kernelINS0_14default_configENS1_36segmented_radix_sort_config_selectorIalEEZNS1_25segmented_radix_sort_implIS3_Lb1EPKaPaPKlPlN2at6native12_GLOBAL__N_18offset_tEEE10hipError_tPvRmT1_PNSt15iterator_traitsISK_E10value_typeET2_T3_PNSL_ISQ_E10value_typeET4_jRbjT5_SW_jjP12ihipStream_tbEUlT_E2_NS1_11comp_targetILNS1_3genE5ELNS1_11target_archE942ELNS1_3gpuE9ELNS1_3repE0EEENS1_30default_config_static_selectorELNS0_4arch9wavefront6targetE0EEEvSK_.has_indirect_call, 0
	.section	.AMDGPU.csdata,"",@progbits
; Kernel info:
; codeLenInByte = 0
; TotalNumSgprs: 0
; NumVgprs: 0
; ScratchSize: 0
; MemoryBound: 0
; FloatMode: 240
; IeeeMode: 1
; LDSByteSize: 0 bytes/workgroup (compile time only)
; SGPRBlocks: 0
; VGPRBlocks: 0
; NumSGPRsForWavesPerEU: 1
; NumVGPRsForWavesPerEU: 1
; NamedBarCnt: 0
; Occupancy: 16
; WaveLimiterHint : 0
; COMPUTE_PGM_RSRC2:SCRATCH_EN: 0
; COMPUTE_PGM_RSRC2:USER_SGPR: 2
; COMPUTE_PGM_RSRC2:TRAP_HANDLER: 0
; COMPUTE_PGM_RSRC2:TGID_X_EN: 1
; COMPUTE_PGM_RSRC2:TGID_Y_EN: 0
; COMPUTE_PGM_RSRC2:TGID_Z_EN: 0
; COMPUTE_PGM_RSRC2:TIDIG_COMP_CNT: 0
	.section	.text._ZN7rocprim17ROCPRIM_400000_NS6detail17trampoline_kernelINS0_14default_configENS1_36segmented_radix_sort_config_selectorIalEEZNS1_25segmented_radix_sort_implIS3_Lb1EPKaPaPKlPlN2at6native12_GLOBAL__N_18offset_tEEE10hipError_tPvRmT1_PNSt15iterator_traitsISK_E10value_typeET2_T3_PNSL_ISQ_E10value_typeET4_jRbjT5_SW_jjP12ihipStream_tbEUlT_E2_NS1_11comp_targetILNS1_3genE4ELNS1_11target_archE910ELNS1_3gpuE8ELNS1_3repE0EEENS1_30default_config_static_selectorELNS0_4arch9wavefront6targetE0EEEvSK_,"axG",@progbits,_ZN7rocprim17ROCPRIM_400000_NS6detail17trampoline_kernelINS0_14default_configENS1_36segmented_radix_sort_config_selectorIalEEZNS1_25segmented_radix_sort_implIS3_Lb1EPKaPaPKlPlN2at6native12_GLOBAL__N_18offset_tEEE10hipError_tPvRmT1_PNSt15iterator_traitsISK_E10value_typeET2_T3_PNSL_ISQ_E10value_typeET4_jRbjT5_SW_jjP12ihipStream_tbEUlT_E2_NS1_11comp_targetILNS1_3genE4ELNS1_11target_archE910ELNS1_3gpuE8ELNS1_3repE0EEENS1_30default_config_static_selectorELNS0_4arch9wavefront6targetE0EEEvSK_,comdat
	.globl	_ZN7rocprim17ROCPRIM_400000_NS6detail17trampoline_kernelINS0_14default_configENS1_36segmented_radix_sort_config_selectorIalEEZNS1_25segmented_radix_sort_implIS3_Lb1EPKaPaPKlPlN2at6native12_GLOBAL__N_18offset_tEEE10hipError_tPvRmT1_PNSt15iterator_traitsISK_E10value_typeET2_T3_PNSL_ISQ_E10value_typeET4_jRbjT5_SW_jjP12ihipStream_tbEUlT_E2_NS1_11comp_targetILNS1_3genE4ELNS1_11target_archE910ELNS1_3gpuE8ELNS1_3repE0EEENS1_30default_config_static_selectorELNS0_4arch9wavefront6targetE0EEEvSK_ ; -- Begin function _ZN7rocprim17ROCPRIM_400000_NS6detail17trampoline_kernelINS0_14default_configENS1_36segmented_radix_sort_config_selectorIalEEZNS1_25segmented_radix_sort_implIS3_Lb1EPKaPaPKlPlN2at6native12_GLOBAL__N_18offset_tEEE10hipError_tPvRmT1_PNSt15iterator_traitsISK_E10value_typeET2_T3_PNSL_ISQ_E10value_typeET4_jRbjT5_SW_jjP12ihipStream_tbEUlT_E2_NS1_11comp_targetILNS1_3genE4ELNS1_11target_archE910ELNS1_3gpuE8ELNS1_3repE0EEENS1_30default_config_static_selectorELNS0_4arch9wavefront6targetE0EEEvSK_
	.p2align	8
	.type	_ZN7rocprim17ROCPRIM_400000_NS6detail17trampoline_kernelINS0_14default_configENS1_36segmented_radix_sort_config_selectorIalEEZNS1_25segmented_radix_sort_implIS3_Lb1EPKaPaPKlPlN2at6native12_GLOBAL__N_18offset_tEEE10hipError_tPvRmT1_PNSt15iterator_traitsISK_E10value_typeET2_T3_PNSL_ISQ_E10value_typeET4_jRbjT5_SW_jjP12ihipStream_tbEUlT_E2_NS1_11comp_targetILNS1_3genE4ELNS1_11target_archE910ELNS1_3gpuE8ELNS1_3repE0EEENS1_30default_config_static_selectorELNS0_4arch9wavefront6targetE0EEEvSK_,@function
_ZN7rocprim17ROCPRIM_400000_NS6detail17trampoline_kernelINS0_14default_configENS1_36segmented_radix_sort_config_selectorIalEEZNS1_25segmented_radix_sort_implIS3_Lb1EPKaPaPKlPlN2at6native12_GLOBAL__N_18offset_tEEE10hipError_tPvRmT1_PNSt15iterator_traitsISK_E10value_typeET2_T3_PNSL_ISQ_E10value_typeET4_jRbjT5_SW_jjP12ihipStream_tbEUlT_E2_NS1_11comp_targetILNS1_3genE4ELNS1_11target_archE910ELNS1_3gpuE8ELNS1_3repE0EEENS1_30default_config_static_selectorELNS0_4arch9wavefront6targetE0EEEvSK_: ; @_ZN7rocprim17ROCPRIM_400000_NS6detail17trampoline_kernelINS0_14default_configENS1_36segmented_radix_sort_config_selectorIalEEZNS1_25segmented_radix_sort_implIS3_Lb1EPKaPaPKlPlN2at6native12_GLOBAL__N_18offset_tEEE10hipError_tPvRmT1_PNSt15iterator_traitsISK_E10value_typeET2_T3_PNSL_ISQ_E10value_typeET4_jRbjT5_SW_jjP12ihipStream_tbEUlT_E2_NS1_11comp_targetILNS1_3genE4ELNS1_11target_archE910ELNS1_3gpuE8ELNS1_3repE0EEENS1_30default_config_static_selectorELNS0_4arch9wavefront6targetE0EEEvSK_
; %bb.0:
	.section	.rodata,"a",@progbits
	.p2align	6, 0x0
	.amdhsa_kernel _ZN7rocprim17ROCPRIM_400000_NS6detail17trampoline_kernelINS0_14default_configENS1_36segmented_radix_sort_config_selectorIalEEZNS1_25segmented_radix_sort_implIS3_Lb1EPKaPaPKlPlN2at6native12_GLOBAL__N_18offset_tEEE10hipError_tPvRmT1_PNSt15iterator_traitsISK_E10value_typeET2_T3_PNSL_ISQ_E10value_typeET4_jRbjT5_SW_jjP12ihipStream_tbEUlT_E2_NS1_11comp_targetILNS1_3genE4ELNS1_11target_archE910ELNS1_3gpuE8ELNS1_3repE0EEENS1_30default_config_static_selectorELNS0_4arch9wavefront6targetE0EEEvSK_
		.amdhsa_group_segment_fixed_size 0
		.amdhsa_private_segment_fixed_size 0
		.amdhsa_kernarg_size 80
		.amdhsa_user_sgpr_count 2
		.amdhsa_user_sgpr_dispatch_ptr 0
		.amdhsa_user_sgpr_queue_ptr 0
		.amdhsa_user_sgpr_kernarg_segment_ptr 1
		.amdhsa_user_sgpr_dispatch_id 0
		.amdhsa_user_sgpr_kernarg_preload_length 0
		.amdhsa_user_sgpr_kernarg_preload_offset 0
		.amdhsa_user_sgpr_private_segment_size 0
		.amdhsa_wavefront_size32 1
		.amdhsa_uses_dynamic_stack 0
		.amdhsa_enable_private_segment 0
		.amdhsa_system_sgpr_workgroup_id_x 1
		.amdhsa_system_sgpr_workgroup_id_y 0
		.amdhsa_system_sgpr_workgroup_id_z 0
		.amdhsa_system_sgpr_workgroup_info 0
		.amdhsa_system_vgpr_workitem_id 0
		.amdhsa_next_free_vgpr 1
		.amdhsa_next_free_sgpr 1
		.amdhsa_named_barrier_count 0
		.amdhsa_reserve_vcc 0
		.amdhsa_float_round_mode_32 0
		.amdhsa_float_round_mode_16_64 0
		.amdhsa_float_denorm_mode_32 3
		.amdhsa_float_denorm_mode_16_64 3
		.amdhsa_fp16_overflow 0
		.amdhsa_memory_ordered 1
		.amdhsa_forward_progress 1
		.amdhsa_inst_pref_size 0
		.amdhsa_round_robin_scheduling 0
		.amdhsa_exception_fp_ieee_invalid_op 0
		.amdhsa_exception_fp_denorm_src 0
		.amdhsa_exception_fp_ieee_div_zero 0
		.amdhsa_exception_fp_ieee_overflow 0
		.amdhsa_exception_fp_ieee_underflow 0
		.amdhsa_exception_fp_ieee_inexact 0
		.amdhsa_exception_int_div_zero 0
	.end_amdhsa_kernel
	.section	.text._ZN7rocprim17ROCPRIM_400000_NS6detail17trampoline_kernelINS0_14default_configENS1_36segmented_radix_sort_config_selectorIalEEZNS1_25segmented_radix_sort_implIS3_Lb1EPKaPaPKlPlN2at6native12_GLOBAL__N_18offset_tEEE10hipError_tPvRmT1_PNSt15iterator_traitsISK_E10value_typeET2_T3_PNSL_ISQ_E10value_typeET4_jRbjT5_SW_jjP12ihipStream_tbEUlT_E2_NS1_11comp_targetILNS1_3genE4ELNS1_11target_archE910ELNS1_3gpuE8ELNS1_3repE0EEENS1_30default_config_static_selectorELNS0_4arch9wavefront6targetE0EEEvSK_,"axG",@progbits,_ZN7rocprim17ROCPRIM_400000_NS6detail17trampoline_kernelINS0_14default_configENS1_36segmented_radix_sort_config_selectorIalEEZNS1_25segmented_radix_sort_implIS3_Lb1EPKaPaPKlPlN2at6native12_GLOBAL__N_18offset_tEEE10hipError_tPvRmT1_PNSt15iterator_traitsISK_E10value_typeET2_T3_PNSL_ISQ_E10value_typeET4_jRbjT5_SW_jjP12ihipStream_tbEUlT_E2_NS1_11comp_targetILNS1_3genE4ELNS1_11target_archE910ELNS1_3gpuE8ELNS1_3repE0EEENS1_30default_config_static_selectorELNS0_4arch9wavefront6targetE0EEEvSK_,comdat
.Lfunc_end319:
	.size	_ZN7rocprim17ROCPRIM_400000_NS6detail17trampoline_kernelINS0_14default_configENS1_36segmented_radix_sort_config_selectorIalEEZNS1_25segmented_radix_sort_implIS3_Lb1EPKaPaPKlPlN2at6native12_GLOBAL__N_18offset_tEEE10hipError_tPvRmT1_PNSt15iterator_traitsISK_E10value_typeET2_T3_PNSL_ISQ_E10value_typeET4_jRbjT5_SW_jjP12ihipStream_tbEUlT_E2_NS1_11comp_targetILNS1_3genE4ELNS1_11target_archE910ELNS1_3gpuE8ELNS1_3repE0EEENS1_30default_config_static_selectorELNS0_4arch9wavefront6targetE0EEEvSK_, .Lfunc_end319-_ZN7rocprim17ROCPRIM_400000_NS6detail17trampoline_kernelINS0_14default_configENS1_36segmented_radix_sort_config_selectorIalEEZNS1_25segmented_radix_sort_implIS3_Lb1EPKaPaPKlPlN2at6native12_GLOBAL__N_18offset_tEEE10hipError_tPvRmT1_PNSt15iterator_traitsISK_E10value_typeET2_T3_PNSL_ISQ_E10value_typeET4_jRbjT5_SW_jjP12ihipStream_tbEUlT_E2_NS1_11comp_targetILNS1_3genE4ELNS1_11target_archE910ELNS1_3gpuE8ELNS1_3repE0EEENS1_30default_config_static_selectorELNS0_4arch9wavefront6targetE0EEEvSK_
                                        ; -- End function
	.set _ZN7rocprim17ROCPRIM_400000_NS6detail17trampoline_kernelINS0_14default_configENS1_36segmented_radix_sort_config_selectorIalEEZNS1_25segmented_radix_sort_implIS3_Lb1EPKaPaPKlPlN2at6native12_GLOBAL__N_18offset_tEEE10hipError_tPvRmT1_PNSt15iterator_traitsISK_E10value_typeET2_T3_PNSL_ISQ_E10value_typeET4_jRbjT5_SW_jjP12ihipStream_tbEUlT_E2_NS1_11comp_targetILNS1_3genE4ELNS1_11target_archE910ELNS1_3gpuE8ELNS1_3repE0EEENS1_30default_config_static_selectorELNS0_4arch9wavefront6targetE0EEEvSK_.num_vgpr, 0
	.set _ZN7rocprim17ROCPRIM_400000_NS6detail17trampoline_kernelINS0_14default_configENS1_36segmented_radix_sort_config_selectorIalEEZNS1_25segmented_radix_sort_implIS3_Lb1EPKaPaPKlPlN2at6native12_GLOBAL__N_18offset_tEEE10hipError_tPvRmT1_PNSt15iterator_traitsISK_E10value_typeET2_T3_PNSL_ISQ_E10value_typeET4_jRbjT5_SW_jjP12ihipStream_tbEUlT_E2_NS1_11comp_targetILNS1_3genE4ELNS1_11target_archE910ELNS1_3gpuE8ELNS1_3repE0EEENS1_30default_config_static_selectorELNS0_4arch9wavefront6targetE0EEEvSK_.num_agpr, 0
	.set _ZN7rocprim17ROCPRIM_400000_NS6detail17trampoline_kernelINS0_14default_configENS1_36segmented_radix_sort_config_selectorIalEEZNS1_25segmented_radix_sort_implIS3_Lb1EPKaPaPKlPlN2at6native12_GLOBAL__N_18offset_tEEE10hipError_tPvRmT1_PNSt15iterator_traitsISK_E10value_typeET2_T3_PNSL_ISQ_E10value_typeET4_jRbjT5_SW_jjP12ihipStream_tbEUlT_E2_NS1_11comp_targetILNS1_3genE4ELNS1_11target_archE910ELNS1_3gpuE8ELNS1_3repE0EEENS1_30default_config_static_selectorELNS0_4arch9wavefront6targetE0EEEvSK_.numbered_sgpr, 0
	.set _ZN7rocprim17ROCPRIM_400000_NS6detail17trampoline_kernelINS0_14default_configENS1_36segmented_radix_sort_config_selectorIalEEZNS1_25segmented_radix_sort_implIS3_Lb1EPKaPaPKlPlN2at6native12_GLOBAL__N_18offset_tEEE10hipError_tPvRmT1_PNSt15iterator_traitsISK_E10value_typeET2_T3_PNSL_ISQ_E10value_typeET4_jRbjT5_SW_jjP12ihipStream_tbEUlT_E2_NS1_11comp_targetILNS1_3genE4ELNS1_11target_archE910ELNS1_3gpuE8ELNS1_3repE0EEENS1_30default_config_static_selectorELNS0_4arch9wavefront6targetE0EEEvSK_.num_named_barrier, 0
	.set _ZN7rocprim17ROCPRIM_400000_NS6detail17trampoline_kernelINS0_14default_configENS1_36segmented_radix_sort_config_selectorIalEEZNS1_25segmented_radix_sort_implIS3_Lb1EPKaPaPKlPlN2at6native12_GLOBAL__N_18offset_tEEE10hipError_tPvRmT1_PNSt15iterator_traitsISK_E10value_typeET2_T3_PNSL_ISQ_E10value_typeET4_jRbjT5_SW_jjP12ihipStream_tbEUlT_E2_NS1_11comp_targetILNS1_3genE4ELNS1_11target_archE910ELNS1_3gpuE8ELNS1_3repE0EEENS1_30default_config_static_selectorELNS0_4arch9wavefront6targetE0EEEvSK_.private_seg_size, 0
	.set _ZN7rocprim17ROCPRIM_400000_NS6detail17trampoline_kernelINS0_14default_configENS1_36segmented_radix_sort_config_selectorIalEEZNS1_25segmented_radix_sort_implIS3_Lb1EPKaPaPKlPlN2at6native12_GLOBAL__N_18offset_tEEE10hipError_tPvRmT1_PNSt15iterator_traitsISK_E10value_typeET2_T3_PNSL_ISQ_E10value_typeET4_jRbjT5_SW_jjP12ihipStream_tbEUlT_E2_NS1_11comp_targetILNS1_3genE4ELNS1_11target_archE910ELNS1_3gpuE8ELNS1_3repE0EEENS1_30default_config_static_selectorELNS0_4arch9wavefront6targetE0EEEvSK_.uses_vcc, 0
	.set _ZN7rocprim17ROCPRIM_400000_NS6detail17trampoline_kernelINS0_14default_configENS1_36segmented_radix_sort_config_selectorIalEEZNS1_25segmented_radix_sort_implIS3_Lb1EPKaPaPKlPlN2at6native12_GLOBAL__N_18offset_tEEE10hipError_tPvRmT1_PNSt15iterator_traitsISK_E10value_typeET2_T3_PNSL_ISQ_E10value_typeET4_jRbjT5_SW_jjP12ihipStream_tbEUlT_E2_NS1_11comp_targetILNS1_3genE4ELNS1_11target_archE910ELNS1_3gpuE8ELNS1_3repE0EEENS1_30default_config_static_selectorELNS0_4arch9wavefront6targetE0EEEvSK_.uses_flat_scratch, 0
	.set _ZN7rocprim17ROCPRIM_400000_NS6detail17trampoline_kernelINS0_14default_configENS1_36segmented_radix_sort_config_selectorIalEEZNS1_25segmented_radix_sort_implIS3_Lb1EPKaPaPKlPlN2at6native12_GLOBAL__N_18offset_tEEE10hipError_tPvRmT1_PNSt15iterator_traitsISK_E10value_typeET2_T3_PNSL_ISQ_E10value_typeET4_jRbjT5_SW_jjP12ihipStream_tbEUlT_E2_NS1_11comp_targetILNS1_3genE4ELNS1_11target_archE910ELNS1_3gpuE8ELNS1_3repE0EEENS1_30default_config_static_selectorELNS0_4arch9wavefront6targetE0EEEvSK_.has_dyn_sized_stack, 0
	.set _ZN7rocprim17ROCPRIM_400000_NS6detail17trampoline_kernelINS0_14default_configENS1_36segmented_radix_sort_config_selectorIalEEZNS1_25segmented_radix_sort_implIS3_Lb1EPKaPaPKlPlN2at6native12_GLOBAL__N_18offset_tEEE10hipError_tPvRmT1_PNSt15iterator_traitsISK_E10value_typeET2_T3_PNSL_ISQ_E10value_typeET4_jRbjT5_SW_jjP12ihipStream_tbEUlT_E2_NS1_11comp_targetILNS1_3genE4ELNS1_11target_archE910ELNS1_3gpuE8ELNS1_3repE0EEENS1_30default_config_static_selectorELNS0_4arch9wavefront6targetE0EEEvSK_.has_recursion, 0
	.set _ZN7rocprim17ROCPRIM_400000_NS6detail17trampoline_kernelINS0_14default_configENS1_36segmented_radix_sort_config_selectorIalEEZNS1_25segmented_radix_sort_implIS3_Lb1EPKaPaPKlPlN2at6native12_GLOBAL__N_18offset_tEEE10hipError_tPvRmT1_PNSt15iterator_traitsISK_E10value_typeET2_T3_PNSL_ISQ_E10value_typeET4_jRbjT5_SW_jjP12ihipStream_tbEUlT_E2_NS1_11comp_targetILNS1_3genE4ELNS1_11target_archE910ELNS1_3gpuE8ELNS1_3repE0EEENS1_30default_config_static_selectorELNS0_4arch9wavefront6targetE0EEEvSK_.has_indirect_call, 0
	.section	.AMDGPU.csdata,"",@progbits
; Kernel info:
; codeLenInByte = 0
; TotalNumSgprs: 0
; NumVgprs: 0
; ScratchSize: 0
; MemoryBound: 0
; FloatMode: 240
; IeeeMode: 1
; LDSByteSize: 0 bytes/workgroup (compile time only)
; SGPRBlocks: 0
; VGPRBlocks: 0
; NumSGPRsForWavesPerEU: 1
; NumVGPRsForWavesPerEU: 1
; NamedBarCnt: 0
; Occupancy: 16
; WaveLimiterHint : 0
; COMPUTE_PGM_RSRC2:SCRATCH_EN: 0
; COMPUTE_PGM_RSRC2:USER_SGPR: 2
; COMPUTE_PGM_RSRC2:TRAP_HANDLER: 0
; COMPUTE_PGM_RSRC2:TGID_X_EN: 1
; COMPUTE_PGM_RSRC2:TGID_Y_EN: 0
; COMPUTE_PGM_RSRC2:TGID_Z_EN: 0
; COMPUTE_PGM_RSRC2:TIDIG_COMP_CNT: 0
	.section	.text._ZN7rocprim17ROCPRIM_400000_NS6detail17trampoline_kernelINS0_14default_configENS1_36segmented_radix_sort_config_selectorIalEEZNS1_25segmented_radix_sort_implIS3_Lb1EPKaPaPKlPlN2at6native12_GLOBAL__N_18offset_tEEE10hipError_tPvRmT1_PNSt15iterator_traitsISK_E10value_typeET2_T3_PNSL_ISQ_E10value_typeET4_jRbjT5_SW_jjP12ihipStream_tbEUlT_E2_NS1_11comp_targetILNS1_3genE3ELNS1_11target_archE908ELNS1_3gpuE7ELNS1_3repE0EEENS1_30default_config_static_selectorELNS0_4arch9wavefront6targetE0EEEvSK_,"axG",@progbits,_ZN7rocprim17ROCPRIM_400000_NS6detail17trampoline_kernelINS0_14default_configENS1_36segmented_radix_sort_config_selectorIalEEZNS1_25segmented_radix_sort_implIS3_Lb1EPKaPaPKlPlN2at6native12_GLOBAL__N_18offset_tEEE10hipError_tPvRmT1_PNSt15iterator_traitsISK_E10value_typeET2_T3_PNSL_ISQ_E10value_typeET4_jRbjT5_SW_jjP12ihipStream_tbEUlT_E2_NS1_11comp_targetILNS1_3genE3ELNS1_11target_archE908ELNS1_3gpuE7ELNS1_3repE0EEENS1_30default_config_static_selectorELNS0_4arch9wavefront6targetE0EEEvSK_,comdat
	.globl	_ZN7rocprim17ROCPRIM_400000_NS6detail17trampoline_kernelINS0_14default_configENS1_36segmented_radix_sort_config_selectorIalEEZNS1_25segmented_radix_sort_implIS3_Lb1EPKaPaPKlPlN2at6native12_GLOBAL__N_18offset_tEEE10hipError_tPvRmT1_PNSt15iterator_traitsISK_E10value_typeET2_T3_PNSL_ISQ_E10value_typeET4_jRbjT5_SW_jjP12ihipStream_tbEUlT_E2_NS1_11comp_targetILNS1_3genE3ELNS1_11target_archE908ELNS1_3gpuE7ELNS1_3repE0EEENS1_30default_config_static_selectorELNS0_4arch9wavefront6targetE0EEEvSK_ ; -- Begin function _ZN7rocprim17ROCPRIM_400000_NS6detail17trampoline_kernelINS0_14default_configENS1_36segmented_radix_sort_config_selectorIalEEZNS1_25segmented_radix_sort_implIS3_Lb1EPKaPaPKlPlN2at6native12_GLOBAL__N_18offset_tEEE10hipError_tPvRmT1_PNSt15iterator_traitsISK_E10value_typeET2_T3_PNSL_ISQ_E10value_typeET4_jRbjT5_SW_jjP12ihipStream_tbEUlT_E2_NS1_11comp_targetILNS1_3genE3ELNS1_11target_archE908ELNS1_3gpuE7ELNS1_3repE0EEENS1_30default_config_static_selectorELNS0_4arch9wavefront6targetE0EEEvSK_
	.p2align	8
	.type	_ZN7rocprim17ROCPRIM_400000_NS6detail17trampoline_kernelINS0_14default_configENS1_36segmented_radix_sort_config_selectorIalEEZNS1_25segmented_radix_sort_implIS3_Lb1EPKaPaPKlPlN2at6native12_GLOBAL__N_18offset_tEEE10hipError_tPvRmT1_PNSt15iterator_traitsISK_E10value_typeET2_T3_PNSL_ISQ_E10value_typeET4_jRbjT5_SW_jjP12ihipStream_tbEUlT_E2_NS1_11comp_targetILNS1_3genE3ELNS1_11target_archE908ELNS1_3gpuE7ELNS1_3repE0EEENS1_30default_config_static_selectorELNS0_4arch9wavefront6targetE0EEEvSK_,@function
_ZN7rocprim17ROCPRIM_400000_NS6detail17trampoline_kernelINS0_14default_configENS1_36segmented_radix_sort_config_selectorIalEEZNS1_25segmented_radix_sort_implIS3_Lb1EPKaPaPKlPlN2at6native12_GLOBAL__N_18offset_tEEE10hipError_tPvRmT1_PNSt15iterator_traitsISK_E10value_typeET2_T3_PNSL_ISQ_E10value_typeET4_jRbjT5_SW_jjP12ihipStream_tbEUlT_E2_NS1_11comp_targetILNS1_3genE3ELNS1_11target_archE908ELNS1_3gpuE7ELNS1_3repE0EEENS1_30default_config_static_selectorELNS0_4arch9wavefront6targetE0EEEvSK_: ; @_ZN7rocprim17ROCPRIM_400000_NS6detail17trampoline_kernelINS0_14default_configENS1_36segmented_radix_sort_config_selectorIalEEZNS1_25segmented_radix_sort_implIS3_Lb1EPKaPaPKlPlN2at6native12_GLOBAL__N_18offset_tEEE10hipError_tPvRmT1_PNSt15iterator_traitsISK_E10value_typeET2_T3_PNSL_ISQ_E10value_typeET4_jRbjT5_SW_jjP12ihipStream_tbEUlT_E2_NS1_11comp_targetILNS1_3genE3ELNS1_11target_archE908ELNS1_3gpuE7ELNS1_3repE0EEENS1_30default_config_static_selectorELNS0_4arch9wavefront6targetE0EEEvSK_
; %bb.0:
	.section	.rodata,"a",@progbits
	.p2align	6, 0x0
	.amdhsa_kernel _ZN7rocprim17ROCPRIM_400000_NS6detail17trampoline_kernelINS0_14default_configENS1_36segmented_radix_sort_config_selectorIalEEZNS1_25segmented_radix_sort_implIS3_Lb1EPKaPaPKlPlN2at6native12_GLOBAL__N_18offset_tEEE10hipError_tPvRmT1_PNSt15iterator_traitsISK_E10value_typeET2_T3_PNSL_ISQ_E10value_typeET4_jRbjT5_SW_jjP12ihipStream_tbEUlT_E2_NS1_11comp_targetILNS1_3genE3ELNS1_11target_archE908ELNS1_3gpuE7ELNS1_3repE0EEENS1_30default_config_static_selectorELNS0_4arch9wavefront6targetE0EEEvSK_
		.amdhsa_group_segment_fixed_size 0
		.amdhsa_private_segment_fixed_size 0
		.amdhsa_kernarg_size 80
		.amdhsa_user_sgpr_count 2
		.amdhsa_user_sgpr_dispatch_ptr 0
		.amdhsa_user_sgpr_queue_ptr 0
		.amdhsa_user_sgpr_kernarg_segment_ptr 1
		.amdhsa_user_sgpr_dispatch_id 0
		.amdhsa_user_sgpr_kernarg_preload_length 0
		.amdhsa_user_sgpr_kernarg_preload_offset 0
		.amdhsa_user_sgpr_private_segment_size 0
		.amdhsa_wavefront_size32 1
		.amdhsa_uses_dynamic_stack 0
		.amdhsa_enable_private_segment 0
		.amdhsa_system_sgpr_workgroup_id_x 1
		.amdhsa_system_sgpr_workgroup_id_y 0
		.amdhsa_system_sgpr_workgroup_id_z 0
		.amdhsa_system_sgpr_workgroup_info 0
		.amdhsa_system_vgpr_workitem_id 0
		.amdhsa_next_free_vgpr 1
		.amdhsa_next_free_sgpr 1
		.amdhsa_named_barrier_count 0
		.amdhsa_reserve_vcc 0
		.amdhsa_float_round_mode_32 0
		.amdhsa_float_round_mode_16_64 0
		.amdhsa_float_denorm_mode_32 3
		.amdhsa_float_denorm_mode_16_64 3
		.amdhsa_fp16_overflow 0
		.amdhsa_memory_ordered 1
		.amdhsa_forward_progress 1
		.amdhsa_inst_pref_size 0
		.amdhsa_round_robin_scheduling 0
		.amdhsa_exception_fp_ieee_invalid_op 0
		.amdhsa_exception_fp_denorm_src 0
		.amdhsa_exception_fp_ieee_div_zero 0
		.amdhsa_exception_fp_ieee_overflow 0
		.amdhsa_exception_fp_ieee_underflow 0
		.amdhsa_exception_fp_ieee_inexact 0
		.amdhsa_exception_int_div_zero 0
	.end_amdhsa_kernel
	.section	.text._ZN7rocprim17ROCPRIM_400000_NS6detail17trampoline_kernelINS0_14default_configENS1_36segmented_radix_sort_config_selectorIalEEZNS1_25segmented_radix_sort_implIS3_Lb1EPKaPaPKlPlN2at6native12_GLOBAL__N_18offset_tEEE10hipError_tPvRmT1_PNSt15iterator_traitsISK_E10value_typeET2_T3_PNSL_ISQ_E10value_typeET4_jRbjT5_SW_jjP12ihipStream_tbEUlT_E2_NS1_11comp_targetILNS1_3genE3ELNS1_11target_archE908ELNS1_3gpuE7ELNS1_3repE0EEENS1_30default_config_static_selectorELNS0_4arch9wavefront6targetE0EEEvSK_,"axG",@progbits,_ZN7rocprim17ROCPRIM_400000_NS6detail17trampoline_kernelINS0_14default_configENS1_36segmented_radix_sort_config_selectorIalEEZNS1_25segmented_radix_sort_implIS3_Lb1EPKaPaPKlPlN2at6native12_GLOBAL__N_18offset_tEEE10hipError_tPvRmT1_PNSt15iterator_traitsISK_E10value_typeET2_T3_PNSL_ISQ_E10value_typeET4_jRbjT5_SW_jjP12ihipStream_tbEUlT_E2_NS1_11comp_targetILNS1_3genE3ELNS1_11target_archE908ELNS1_3gpuE7ELNS1_3repE0EEENS1_30default_config_static_selectorELNS0_4arch9wavefront6targetE0EEEvSK_,comdat
.Lfunc_end320:
	.size	_ZN7rocprim17ROCPRIM_400000_NS6detail17trampoline_kernelINS0_14default_configENS1_36segmented_radix_sort_config_selectorIalEEZNS1_25segmented_radix_sort_implIS3_Lb1EPKaPaPKlPlN2at6native12_GLOBAL__N_18offset_tEEE10hipError_tPvRmT1_PNSt15iterator_traitsISK_E10value_typeET2_T3_PNSL_ISQ_E10value_typeET4_jRbjT5_SW_jjP12ihipStream_tbEUlT_E2_NS1_11comp_targetILNS1_3genE3ELNS1_11target_archE908ELNS1_3gpuE7ELNS1_3repE0EEENS1_30default_config_static_selectorELNS0_4arch9wavefront6targetE0EEEvSK_, .Lfunc_end320-_ZN7rocprim17ROCPRIM_400000_NS6detail17trampoline_kernelINS0_14default_configENS1_36segmented_radix_sort_config_selectorIalEEZNS1_25segmented_radix_sort_implIS3_Lb1EPKaPaPKlPlN2at6native12_GLOBAL__N_18offset_tEEE10hipError_tPvRmT1_PNSt15iterator_traitsISK_E10value_typeET2_T3_PNSL_ISQ_E10value_typeET4_jRbjT5_SW_jjP12ihipStream_tbEUlT_E2_NS1_11comp_targetILNS1_3genE3ELNS1_11target_archE908ELNS1_3gpuE7ELNS1_3repE0EEENS1_30default_config_static_selectorELNS0_4arch9wavefront6targetE0EEEvSK_
                                        ; -- End function
	.set _ZN7rocprim17ROCPRIM_400000_NS6detail17trampoline_kernelINS0_14default_configENS1_36segmented_radix_sort_config_selectorIalEEZNS1_25segmented_radix_sort_implIS3_Lb1EPKaPaPKlPlN2at6native12_GLOBAL__N_18offset_tEEE10hipError_tPvRmT1_PNSt15iterator_traitsISK_E10value_typeET2_T3_PNSL_ISQ_E10value_typeET4_jRbjT5_SW_jjP12ihipStream_tbEUlT_E2_NS1_11comp_targetILNS1_3genE3ELNS1_11target_archE908ELNS1_3gpuE7ELNS1_3repE0EEENS1_30default_config_static_selectorELNS0_4arch9wavefront6targetE0EEEvSK_.num_vgpr, 0
	.set _ZN7rocprim17ROCPRIM_400000_NS6detail17trampoline_kernelINS0_14default_configENS1_36segmented_radix_sort_config_selectorIalEEZNS1_25segmented_radix_sort_implIS3_Lb1EPKaPaPKlPlN2at6native12_GLOBAL__N_18offset_tEEE10hipError_tPvRmT1_PNSt15iterator_traitsISK_E10value_typeET2_T3_PNSL_ISQ_E10value_typeET4_jRbjT5_SW_jjP12ihipStream_tbEUlT_E2_NS1_11comp_targetILNS1_3genE3ELNS1_11target_archE908ELNS1_3gpuE7ELNS1_3repE0EEENS1_30default_config_static_selectorELNS0_4arch9wavefront6targetE0EEEvSK_.num_agpr, 0
	.set _ZN7rocprim17ROCPRIM_400000_NS6detail17trampoline_kernelINS0_14default_configENS1_36segmented_radix_sort_config_selectorIalEEZNS1_25segmented_radix_sort_implIS3_Lb1EPKaPaPKlPlN2at6native12_GLOBAL__N_18offset_tEEE10hipError_tPvRmT1_PNSt15iterator_traitsISK_E10value_typeET2_T3_PNSL_ISQ_E10value_typeET4_jRbjT5_SW_jjP12ihipStream_tbEUlT_E2_NS1_11comp_targetILNS1_3genE3ELNS1_11target_archE908ELNS1_3gpuE7ELNS1_3repE0EEENS1_30default_config_static_selectorELNS0_4arch9wavefront6targetE0EEEvSK_.numbered_sgpr, 0
	.set _ZN7rocprim17ROCPRIM_400000_NS6detail17trampoline_kernelINS0_14default_configENS1_36segmented_radix_sort_config_selectorIalEEZNS1_25segmented_radix_sort_implIS3_Lb1EPKaPaPKlPlN2at6native12_GLOBAL__N_18offset_tEEE10hipError_tPvRmT1_PNSt15iterator_traitsISK_E10value_typeET2_T3_PNSL_ISQ_E10value_typeET4_jRbjT5_SW_jjP12ihipStream_tbEUlT_E2_NS1_11comp_targetILNS1_3genE3ELNS1_11target_archE908ELNS1_3gpuE7ELNS1_3repE0EEENS1_30default_config_static_selectorELNS0_4arch9wavefront6targetE0EEEvSK_.num_named_barrier, 0
	.set _ZN7rocprim17ROCPRIM_400000_NS6detail17trampoline_kernelINS0_14default_configENS1_36segmented_radix_sort_config_selectorIalEEZNS1_25segmented_radix_sort_implIS3_Lb1EPKaPaPKlPlN2at6native12_GLOBAL__N_18offset_tEEE10hipError_tPvRmT1_PNSt15iterator_traitsISK_E10value_typeET2_T3_PNSL_ISQ_E10value_typeET4_jRbjT5_SW_jjP12ihipStream_tbEUlT_E2_NS1_11comp_targetILNS1_3genE3ELNS1_11target_archE908ELNS1_3gpuE7ELNS1_3repE0EEENS1_30default_config_static_selectorELNS0_4arch9wavefront6targetE0EEEvSK_.private_seg_size, 0
	.set _ZN7rocprim17ROCPRIM_400000_NS6detail17trampoline_kernelINS0_14default_configENS1_36segmented_radix_sort_config_selectorIalEEZNS1_25segmented_radix_sort_implIS3_Lb1EPKaPaPKlPlN2at6native12_GLOBAL__N_18offset_tEEE10hipError_tPvRmT1_PNSt15iterator_traitsISK_E10value_typeET2_T3_PNSL_ISQ_E10value_typeET4_jRbjT5_SW_jjP12ihipStream_tbEUlT_E2_NS1_11comp_targetILNS1_3genE3ELNS1_11target_archE908ELNS1_3gpuE7ELNS1_3repE0EEENS1_30default_config_static_selectorELNS0_4arch9wavefront6targetE0EEEvSK_.uses_vcc, 0
	.set _ZN7rocprim17ROCPRIM_400000_NS6detail17trampoline_kernelINS0_14default_configENS1_36segmented_radix_sort_config_selectorIalEEZNS1_25segmented_radix_sort_implIS3_Lb1EPKaPaPKlPlN2at6native12_GLOBAL__N_18offset_tEEE10hipError_tPvRmT1_PNSt15iterator_traitsISK_E10value_typeET2_T3_PNSL_ISQ_E10value_typeET4_jRbjT5_SW_jjP12ihipStream_tbEUlT_E2_NS1_11comp_targetILNS1_3genE3ELNS1_11target_archE908ELNS1_3gpuE7ELNS1_3repE0EEENS1_30default_config_static_selectorELNS0_4arch9wavefront6targetE0EEEvSK_.uses_flat_scratch, 0
	.set _ZN7rocprim17ROCPRIM_400000_NS6detail17trampoline_kernelINS0_14default_configENS1_36segmented_radix_sort_config_selectorIalEEZNS1_25segmented_radix_sort_implIS3_Lb1EPKaPaPKlPlN2at6native12_GLOBAL__N_18offset_tEEE10hipError_tPvRmT1_PNSt15iterator_traitsISK_E10value_typeET2_T3_PNSL_ISQ_E10value_typeET4_jRbjT5_SW_jjP12ihipStream_tbEUlT_E2_NS1_11comp_targetILNS1_3genE3ELNS1_11target_archE908ELNS1_3gpuE7ELNS1_3repE0EEENS1_30default_config_static_selectorELNS0_4arch9wavefront6targetE0EEEvSK_.has_dyn_sized_stack, 0
	.set _ZN7rocprim17ROCPRIM_400000_NS6detail17trampoline_kernelINS0_14default_configENS1_36segmented_radix_sort_config_selectorIalEEZNS1_25segmented_radix_sort_implIS3_Lb1EPKaPaPKlPlN2at6native12_GLOBAL__N_18offset_tEEE10hipError_tPvRmT1_PNSt15iterator_traitsISK_E10value_typeET2_T3_PNSL_ISQ_E10value_typeET4_jRbjT5_SW_jjP12ihipStream_tbEUlT_E2_NS1_11comp_targetILNS1_3genE3ELNS1_11target_archE908ELNS1_3gpuE7ELNS1_3repE0EEENS1_30default_config_static_selectorELNS0_4arch9wavefront6targetE0EEEvSK_.has_recursion, 0
	.set _ZN7rocprim17ROCPRIM_400000_NS6detail17trampoline_kernelINS0_14default_configENS1_36segmented_radix_sort_config_selectorIalEEZNS1_25segmented_radix_sort_implIS3_Lb1EPKaPaPKlPlN2at6native12_GLOBAL__N_18offset_tEEE10hipError_tPvRmT1_PNSt15iterator_traitsISK_E10value_typeET2_T3_PNSL_ISQ_E10value_typeET4_jRbjT5_SW_jjP12ihipStream_tbEUlT_E2_NS1_11comp_targetILNS1_3genE3ELNS1_11target_archE908ELNS1_3gpuE7ELNS1_3repE0EEENS1_30default_config_static_selectorELNS0_4arch9wavefront6targetE0EEEvSK_.has_indirect_call, 0
	.section	.AMDGPU.csdata,"",@progbits
; Kernel info:
; codeLenInByte = 0
; TotalNumSgprs: 0
; NumVgprs: 0
; ScratchSize: 0
; MemoryBound: 0
; FloatMode: 240
; IeeeMode: 1
; LDSByteSize: 0 bytes/workgroup (compile time only)
; SGPRBlocks: 0
; VGPRBlocks: 0
; NumSGPRsForWavesPerEU: 1
; NumVGPRsForWavesPerEU: 1
; NamedBarCnt: 0
; Occupancy: 16
; WaveLimiterHint : 0
; COMPUTE_PGM_RSRC2:SCRATCH_EN: 0
; COMPUTE_PGM_RSRC2:USER_SGPR: 2
; COMPUTE_PGM_RSRC2:TRAP_HANDLER: 0
; COMPUTE_PGM_RSRC2:TGID_X_EN: 1
; COMPUTE_PGM_RSRC2:TGID_Y_EN: 0
; COMPUTE_PGM_RSRC2:TGID_Z_EN: 0
; COMPUTE_PGM_RSRC2:TIDIG_COMP_CNT: 0
	.section	.text._ZN7rocprim17ROCPRIM_400000_NS6detail17trampoline_kernelINS0_14default_configENS1_36segmented_radix_sort_config_selectorIalEEZNS1_25segmented_radix_sort_implIS3_Lb1EPKaPaPKlPlN2at6native12_GLOBAL__N_18offset_tEEE10hipError_tPvRmT1_PNSt15iterator_traitsISK_E10value_typeET2_T3_PNSL_ISQ_E10value_typeET4_jRbjT5_SW_jjP12ihipStream_tbEUlT_E2_NS1_11comp_targetILNS1_3genE2ELNS1_11target_archE906ELNS1_3gpuE6ELNS1_3repE0EEENS1_30default_config_static_selectorELNS0_4arch9wavefront6targetE0EEEvSK_,"axG",@progbits,_ZN7rocprim17ROCPRIM_400000_NS6detail17trampoline_kernelINS0_14default_configENS1_36segmented_radix_sort_config_selectorIalEEZNS1_25segmented_radix_sort_implIS3_Lb1EPKaPaPKlPlN2at6native12_GLOBAL__N_18offset_tEEE10hipError_tPvRmT1_PNSt15iterator_traitsISK_E10value_typeET2_T3_PNSL_ISQ_E10value_typeET4_jRbjT5_SW_jjP12ihipStream_tbEUlT_E2_NS1_11comp_targetILNS1_3genE2ELNS1_11target_archE906ELNS1_3gpuE6ELNS1_3repE0EEENS1_30default_config_static_selectorELNS0_4arch9wavefront6targetE0EEEvSK_,comdat
	.globl	_ZN7rocprim17ROCPRIM_400000_NS6detail17trampoline_kernelINS0_14default_configENS1_36segmented_radix_sort_config_selectorIalEEZNS1_25segmented_radix_sort_implIS3_Lb1EPKaPaPKlPlN2at6native12_GLOBAL__N_18offset_tEEE10hipError_tPvRmT1_PNSt15iterator_traitsISK_E10value_typeET2_T3_PNSL_ISQ_E10value_typeET4_jRbjT5_SW_jjP12ihipStream_tbEUlT_E2_NS1_11comp_targetILNS1_3genE2ELNS1_11target_archE906ELNS1_3gpuE6ELNS1_3repE0EEENS1_30default_config_static_selectorELNS0_4arch9wavefront6targetE0EEEvSK_ ; -- Begin function _ZN7rocprim17ROCPRIM_400000_NS6detail17trampoline_kernelINS0_14default_configENS1_36segmented_radix_sort_config_selectorIalEEZNS1_25segmented_radix_sort_implIS3_Lb1EPKaPaPKlPlN2at6native12_GLOBAL__N_18offset_tEEE10hipError_tPvRmT1_PNSt15iterator_traitsISK_E10value_typeET2_T3_PNSL_ISQ_E10value_typeET4_jRbjT5_SW_jjP12ihipStream_tbEUlT_E2_NS1_11comp_targetILNS1_3genE2ELNS1_11target_archE906ELNS1_3gpuE6ELNS1_3repE0EEENS1_30default_config_static_selectorELNS0_4arch9wavefront6targetE0EEEvSK_
	.p2align	8
	.type	_ZN7rocprim17ROCPRIM_400000_NS6detail17trampoline_kernelINS0_14default_configENS1_36segmented_radix_sort_config_selectorIalEEZNS1_25segmented_radix_sort_implIS3_Lb1EPKaPaPKlPlN2at6native12_GLOBAL__N_18offset_tEEE10hipError_tPvRmT1_PNSt15iterator_traitsISK_E10value_typeET2_T3_PNSL_ISQ_E10value_typeET4_jRbjT5_SW_jjP12ihipStream_tbEUlT_E2_NS1_11comp_targetILNS1_3genE2ELNS1_11target_archE906ELNS1_3gpuE6ELNS1_3repE0EEENS1_30default_config_static_selectorELNS0_4arch9wavefront6targetE0EEEvSK_,@function
_ZN7rocprim17ROCPRIM_400000_NS6detail17trampoline_kernelINS0_14default_configENS1_36segmented_radix_sort_config_selectorIalEEZNS1_25segmented_radix_sort_implIS3_Lb1EPKaPaPKlPlN2at6native12_GLOBAL__N_18offset_tEEE10hipError_tPvRmT1_PNSt15iterator_traitsISK_E10value_typeET2_T3_PNSL_ISQ_E10value_typeET4_jRbjT5_SW_jjP12ihipStream_tbEUlT_E2_NS1_11comp_targetILNS1_3genE2ELNS1_11target_archE906ELNS1_3gpuE6ELNS1_3repE0EEENS1_30default_config_static_selectorELNS0_4arch9wavefront6targetE0EEEvSK_: ; @_ZN7rocprim17ROCPRIM_400000_NS6detail17trampoline_kernelINS0_14default_configENS1_36segmented_radix_sort_config_selectorIalEEZNS1_25segmented_radix_sort_implIS3_Lb1EPKaPaPKlPlN2at6native12_GLOBAL__N_18offset_tEEE10hipError_tPvRmT1_PNSt15iterator_traitsISK_E10value_typeET2_T3_PNSL_ISQ_E10value_typeET4_jRbjT5_SW_jjP12ihipStream_tbEUlT_E2_NS1_11comp_targetILNS1_3genE2ELNS1_11target_archE906ELNS1_3gpuE6ELNS1_3repE0EEENS1_30default_config_static_selectorELNS0_4arch9wavefront6targetE0EEEvSK_
; %bb.0:
	.section	.rodata,"a",@progbits
	.p2align	6, 0x0
	.amdhsa_kernel _ZN7rocprim17ROCPRIM_400000_NS6detail17trampoline_kernelINS0_14default_configENS1_36segmented_radix_sort_config_selectorIalEEZNS1_25segmented_radix_sort_implIS3_Lb1EPKaPaPKlPlN2at6native12_GLOBAL__N_18offset_tEEE10hipError_tPvRmT1_PNSt15iterator_traitsISK_E10value_typeET2_T3_PNSL_ISQ_E10value_typeET4_jRbjT5_SW_jjP12ihipStream_tbEUlT_E2_NS1_11comp_targetILNS1_3genE2ELNS1_11target_archE906ELNS1_3gpuE6ELNS1_3repE0EEENS1_30default_config_static_selectorELNS0_4arch9wavefront6targetE0EEEvSK_
		.amdhsa_group_segment_fixed_size 0
		.amdhsa_private_segment_fixed_size 0
		.amdhsa_kernarg_size 80
		.amdhsa_user_sgpr_count 2
		.amdhsa_user_sgpr_dispatch_ptr 0
		.amdhsa_user_sgpr_queue_ptr 0
		.amdhsa_user_sgpr_kernarg_segment_ptr 1
		.amdhsa_user_sgpr_dispatch_id 0
		.amdhsa_user_sgpr_kernarg_preload_length 0
		.amdhsa_user_sgpr_kernarg_preload_offset 0
		.amdhsa_user_sgpr_private_segment_size 0
		.amdhsa_wavefront_size32 1
		.amdhsa_uses_dynamic_stack 0
		.amdhsa_enable_private_segment 0
		.amdhsa_system_sgpr_workgroup_id_x 1
		.amdhsa_system_sgpr_workgroup_id_y 0
		.amdhsa_system_sgpr_workgroup_id_z 0
		.amdhsa_system_sgpr_workgroup_info 0
		.amdhsa_system_vgpr_workitem_id 0
		.amdhsa_next_free_vgpr 1
		.amdhsa_next_free_sgpr 1
		.amdhsa_named_barrier_count 0
		.amdhsa_reserve_vcc 0
		.amdhsa_float_round_mode_32 0
		.amdhsa_float_round_mode_16_64 0
		.amdhsa_float_denorm_mode_32 3
		.amdhsa_float_denorm_mode_16_64 3
		.amdhsa_fp16_overflow 0
		.amdhsa_memory_ordered 1
		.amdhsa_forward_progress 1
		.amdhsa_inst_pref_size 0
		.amdhsa_round_robin_scheduling 0
		.amdhsa_exception_fp_ieee_invalid_op 0
		.amdhsa_exception_fp_denorm_src 0
		.amdhsa_exception_fp_ieee_div_zero 0
		.amdhsa_exception_fp_ieee_overflow 0
		.amdhsa_exception_fp_ieee_underflow 0
		.amdhsa_exception_fp_ieee_inexact 0
		.amdhsa_exception_int_div_zero 0
	.end_amdhsa_kernel
	.section	.text._ZN7rocprim17ROCPRIM_400000_NS6detail17trampoline_kernelINS0_14default_configENS1_36segmented_radix_sort_config_selectorIalEEZNS1_25segmented_radix_sort_implIS3_Lb1EPKaPaPKlPlN2at6native12_GLOBAL__N_18offset_tEEE10hipError_tPvRmT1_PNSt15iterator_traitsISK_E10value_typeET2_T3_PNSL_ISQ_E10value_typeET4_jRbjT5_SW_jjP12ihipStream_tbEUlT_E2_NS1_11comp_targetILNS1_3genE2ELNS1_11target_archE906ELNS1_3gpuE6ELNS1_3repE0EEENS1_30default_config_static_selectorELNS0_4arch9wavefront6targetE0EEEvSK_,"axG",@progbits,_ZN7rocprim17ROCPRIM_400000_NS6detail17trampoline_kernelINS0_14default_configENS1_36segmented_radix_sort_config_selectorIalEEZNS1_25segmented_radix_sort_implIS3_Lb1EPKaPaPKlPlN2at6native12_GLOBAL__N_18offset_tEEE10hipError_tPvRmT1_PNSt15iterator_traitsISK_E10value_typeET2_T3_PNSL_ISQ_E10value_typeET4_jRbjT5_SW_jjP12ihipStream_tbEUlT_E2_NS1_11comp_targetILNS1_3genE2ELNS1_11target_archE906ELNS1_3gpuE6ELNS1_3repE0EEENS1_30default_config_static_selectorELNS0_4arch9wavefront6targetE0EEEvSK_,comdat
.Lfunc_end321:
	.size	_ZN7rocprim17ROCPRIM_400000_NS6detail17trampoline_kernelINS0_14default_configENS1_36segmented_radix_sort_config_selectorIalEEZNS1_25segmented_radix_sort_implIS3_Lb1EPKaPaPKlPlN2at6native12_GLOBAL__N_18offset_tEEE10hipError_tPvRmT1_PNSt15iterator_traitsISK_E10value_typeET2_T3_PNSL_ISQ_E10value_typeET4_jRbjT5_SW_jjP12ihipStream_tbEUlT_E2_NS1_11comp_targetILNS1_3genE2ELNS1_11target_archE906ELNS1_3gpuE6ELNS1_3repE0EEENS1_30default_config_static_selectorELNS0_4arch9wavefront6targetE0EEEvSK_, .Lfunc_end321-_ZN7rocprim17ROCPRIM_400000_NS6detail17trampoline_kernelINS0_14default_configENS1_36segmented_radix_sort_config_selectorIalEEZNS1_25segmented_radix_sort_implIS3_Lb1EPKaPaPKlPlN2at6native12_GLOBAL__N_18offset_tEEE10hipError_tPvRmT1_PNSt15iterator_traitsISK_E10value_typeET2_T3_PNSL_ISQ_E10value_typeET4_jRbjT5_SW_jjP12ihipStream_tbEUlT_E2_NS1_11comp_targetILNS1_3genE2ELNS1_11target_archE906ELNS1_3gpuE6ELNS1_3repE0EEENS1_30default_config_static_selectorELNS0_4arch9wavefront6targetE0EEEvSK_
                                        ; -- End function
	.set _ZN7rocprim17ROCPRIM_400000_NS6detail17trampoline_kernelINS0_14default_configENS1_36segmented_radix_sort_config_selectorIalEEZNS1_25segmented_radix_sort_implIS3_Lb1EPKaPaPKlPlN2at6native12_GLOBAL__N_18offset_tEEE10hipError_tPvRmT1_PNSt15iterator_traitsISK_E10value_typeET2_T3_PNSL_ISQ_E10value_typeET4_jRbjT5_SW_jjP12ihipStream_tbEUlT_E2_NS1_11comp_targetILNS1_3genE2ELNS1_11target_archE906ELNS1_3gpuE6ELNS1_3repE0EEENS1_30default_config_static_selectorELNS0_4arch9wavefront6targetE0EEEvSK_.num_vgpr, 0
	.set _ZN7rocprim17ROCPRIM_400000_NS6detail17trampoline_kernelINS0_14default_configENS1_36segmented_radix_sort_config_selectorIalEEZNS1_25segmented_radix_sort_implIS3_Lb1EPKaPaPKlPlN2at6native12_GLOBAL__N_18offset_tEEE10hipError_tPvRmT1_PNSt15iterator_traitsISK_E10value_typeET2_T3_PNSL_ISQ_E10value_typeET4_jRbjT5_SW_jjP12ihipStream_tbEUlT_E2_NS1_11comp_targetILNS1_3genE2ELNS1_11target_archE906ELNS1_3gpuE6ELNS1_3repE0EEENS1_30default_config_static_selectorELNS0_4arch9wavefront6targetE0EEEvSK_.num_agpr, 0
	.set _ZN7rocprim17ROCPRIM_400000_NS6detail17trampoline_kernelINS0_14default_configENS1_36segmented_radix_sort_config_selectorIalEEZNS1_25segmented_radix_sort_implIS3_Lb1EPKaPaPKlPlN2at6native12_GLOBAL__N_18offset_tEEE10hipError_tPvRmT1_PNSt15iterator_traitsISK_E10value_typeET2_T3_PNSL_ISQ_E10value_typeET4_jRbjT5_SW_jjP12ihipStream_tbEUlT_E2_NS1_11comp_targetILNS1_3genE2ELNS1_11target_archE906ELNS1_3gpuE6ELNS1_3repE0EEENS1_30default_config_static_selectorELNS0_4arch9wavefront6targetE0EEEvSK_.numbered_sgpr, 0
	.set _ZN7rocprim17ROCPRIM_400000_NS6detail17trampoline_kernelINS0_14default_configENS1_36segmented_radix_sort_config_selectorIalEEZNS1_25segmented_radix_sort_implIS3_Lb1EPKaPaPKlPlN2at6native12_GLOBAL__N_18offset_tEEE10hipError_tPvRmT1_PNSt15iterator_traitsISK_E10value_typeET2_T3_PNSL_ISQ_E10value_typeET4_jRbjT5_SW_jjP12ihipStream_tbEUlT_E2_NS1_11comp_targetILNS1_3genE2ELNS1_11target_archE906ELNS1_3gpuE6ELNS1_3repE0EEENS1_30default_config_static_selectorELNS0_4arch9wavefront6targetE0EEEvSK_.num_named_barrier, 0
	.set _ZN7rocprim17ROCPRIM_400000_NS6detail17trampoline_kernelINS0_14default_configENS1_36segmented_radix_sort_config_selectorIalEEZNS1_25segmented_radix_sort_implIS3_Lb1EPKaPaPKlPlN2at6native12_GLOBAL__N_18offset_tEEE10hipError_tPvRmT1_PNSt15iterator_traitsISK_E10value_typeET2_T3_PNSL_ISQ_E10value_typeET4_jRbjT5_SW_jjP12ihipStream_tbEUlT_E2_NS1_11comp_targetILNS1_3genE2ELNS1_11target_archE906ELNS1_3gpuE6ELNS1_3repE0EEENS1_30default_config_static_selectorELNS0_4arch9wavefront6targetE0EEEvSK_.private_seg_size, 0
	.set _ZN7rocprim17ROCPRIM_400000_NS6detail17trampoline_kernelINS0_14default_configENS1_36segmented_radix_sort_config_selectorIalEEZNS1_25segmented_radix_sort_implIS3_Lb1EPKaPaPKlPlN2at6native12_GLOBAL__N_18offset_tEEE10hipError_tPvRmT1_PNSt15iterator_traitsISK_E10value_typeET2_T3_PNSL_ISQ_E10value_typeET4_jRbjT5_SW_jjP12ihipStream_tbEUlT_E2_NS1_11comp_targetILNS1_3genE2ELNS1_11target_archE906ELNS1_3gpuE6ELNS1_3repE0EEENS1_30default_config_static_selectorELNS0_4arch9wavefront6targetE0EEEvSK_.uses_vcc, 0
	.set _ZN7rocprim17ROCPRIM_400000_NS6detail17trampoline_kernelINS0_14default_configENS1_36segmented_radix_sort_config_selectorIalEEZNS1_25segmented_radix_sort_implIS3_Lb1EPKaPaPKlPlN2at6native12_GLOBAL__N_18offset_tEEE10hipError_tPvRmT1_PNSt15iterator_traitsISK_E10value_typeET2_T3_PNSL_ISQ_E10value_typeET4_jRbjT5_SW_jjP12ihipStream_tbEUlT_E2_NS1_11comp_targetILNS1_3genE2ELNS1_11target_archE906ELNS1_3gpuE6ELNS1_3repE0EEENS1_30default_config_static_selectorELNS0_4arch9wavefront6targetE0EEEvSK_.uses_flat_scratch, 0
	.set _ZN7rocprim17ROCPRIM_400000_NS6detail17trampoline_kernelINS0_14default_configENS1_36segmented_radix_sort_config_selectorIalEEZNS1_25segmented_radix_sort_implIS3_Lb1EPKaPaPKlPlN2at6native12_GLOBAL__N_18offset_tEEE10hipError_tPvRmT1_PNSt15iterator_traitsISK_E10value_typeET2_T3_PNSL_ISQ_E10value_typeET4_jRbjT5_SW_jjP12ihipStream_tbEUlT_E2_NS1_11comp_targetILNS1_3genE2ELNS1_11target_archE906ELNS1_3gpuE6ELNS1_3repE0EEENS1_30default_config_static_selectorELNS0_4arch9wavefront6targetE0EEEvSK_.has_dyn_sized_stack, 0
	.set _ZN7rocprim17ROCPRIM_400000_NS6detail17trampoline_kernelINS0_14default_configENS1_36segmented_radix_sort_config_selectorIalEEZNS1_25segmented_radix_sort_implIS3_Lb1EPKaPaPKlPlN2at6native12_GLOBAL__N_18offset_tEEE10hipError_tPvRmT1_PNSt15iterator_traitsISK_E10value_typeET2_T3_PNSL_ISQ_E10value_typeET4_jRbjT5_SW_jjP12ihipStream_tbEUlT_E2_NS1_11comp_targetILNS1_3genE2ELNS1_11target_archE906ELNS1_3gpuE6ELNS1_3repE0EEENS1_30default_config_static_selectorELNS0_4arch9wavefront6targetE0EEEvSK_.has_recursion, 0
	.set _ZN7rocprim17ROCPRIM_400000_NS6detail17trampoline_kernelINS0_14default_configENS1_36segmented_radix_sort_config_selectorIalEEZNS1_25segmented_radix_sort_implIS3_Lb1EPKaPaPKlPlN2at6native12_GLOBAL__N_18offset_tEEE10hipError_tPvRmT1_PNSt15iterator_traitsISK_E10value_typeET2_T3_PNSL_ISQ_E10value_typeET4_jRbjT5_SW_jjP12ihipStream_tbEUlT_E2_NS1_11comp_targetILNS1_3genE2ELNS1_11target_archE906ELNS1_3gpuE6ELNS1_3repE0EEENS1_30default_config_static_selectorELNS0_4arch9wavefront6targetE0EEEvSK_.has_indirect_call, 0
	.section	.AMDGPU.csdata,"",@progbits
; Kernel info:
; codeLenInByte = 0
; TotalNumSgprs: 0
; NumVgprs: 0
; ScratchSize: 0
; MemoryBound: 0
; FloatMode: 240
; IeeeMode: 1
; LDSByteSize: 0 bytes/workgroup (compile time only)
; SGPRBlocks: 0
; VGPRBlocks: 0
; NumSGPRsForWavesPerEU: 1
; NumVGPRsForWavesPerEU: 1
; NamedBarCnt: 0
; Occupancy: 16
; WaveLimiterHint : 0
; COMPUTE_PGM_RSRC2:SCRATCH_EN: 0
; COMPUTE_PGM_RSRC2:USER_SGPR: 2
; COMPUTE_PGM_RSRC2:TRAP_HANDLER: 0
; COMPUTE_PGM_RSRC2:TGID_X_EN: 1
; COMPUTE_PGM_RSRC2:TGID_Y_EN: 0
; COMPUTE_PGM_RSRC2:TGID_Z_EN: 0
; COMPUTE_PGM_RSRC2:TIDIG_COMP_CNT: 0
	.section	.text._ZN7rocprim17ROCPRIM_400000_NS6detail17trampoline_kernelINS0_14default_configENS1_36segmented_radix_sort_config_selectorIalEEZNS1_25segmented_radix_sort_implIS3_Lb1EPKaPaPKlPlN2at6native12_GLOBAL__N_18offset_tEEE10hipError_tPvRmT1_PNSt15iterator_traitsISK_E10value_typeET2_T3_PNSL_ISQ_E10value_typeET4_jRbjT5_SW_jjP12ihipStream_tbEUlT_E2_NS1_11comp_targetILNS1_3genE10ELNS1_11target_archE1201ELNS1_3gpuE5ELNS1_3repE0EEENS1_30default_config_static_selectorELNS0_4arch9wavefront6targetE0EEEvSK_,"axG",@progbits,_ZN7rocprim17ROCPRIM_400000_NS6detail17trampoline_kernelINS0_14default_configENS1_36segmented_radix_sort_config_selectorIalEEZNS1_25segmented_radix_sort_implIS3_Lb1EPKaPaPKlPlN2at6native12_GLOBAL__N_18offset_tEEE10hipError_tPvRmT1_PNSt15iterator_traitsISK_E10value_typeET2_T3_PNSL_ISQ_E10value_typeET4_jRbjT5_SW_jjP12ihipStream_tbEUlT_E2_NS1_11comp_targetILNS1_3genE10ELNS1_11target_archE1201ELNS1_3gpuE5ELNS1_3repE0EEENS1_30default_config_static_selectorELNS0_4arch9wavefront6targetE0EEEvSK_,comdat
	.globl	_ZN7rocprim17ROCPRIM_400000_NS6detail17trampoline_kernelINS0_14default_configENS1_36segmented_radix_sort_config_selectorIalEEZNS1_25segmented_radix_sort_implIS3_Lb1EPKaPaPKlPlN2at6native12_GLOBAL__N_18offset_tEEE10hipError_tPvRmT1_PNSt15iterator_traitsISK_E10value_typeET2_T3_PNSL_ISQ_E10value_typeET4_jRbjT5_SW_jjP12ihipStream_tbEUlT_E2_NS1_11comp_targetILNS1_3genE10ELNS1_11target_archE1201ELNS1_3gpuE5ELNS1_3repE0EEENS1_30default_config_static_selectorELNS0_4arch9wavefront6targetE0EEEvSK_ ; -- Begin function _ZN7rocprim17ROCPRIM_400000_NS6detail17trampoline_kernelINS0_14default_configENS1_36segmented_radix_sort_config_selectorIalEEZNS1_25segmented_radix_sort_implIS3_Lb1EPKaPaPKlPlN2at6native12_GLOBAL__N_18offset_tEEE10hipError_tPvRmT1_PNSt15iterator_traitsISK_E10value_typeET2_T3_PNSL_ISQ_E10value_typeET4_jRbjT5_SW_jjP12ihipStream_tbEUlT_E2_NS1_11comp_targetILNS1_3genE10ELNS1_11target_archE1201ELNS1_3gpuE5ELNS1_3repE0EEENS1_30default_config_static_selectorELNS0_4arch9wavefront6targetE0EEEvSK_
	.p2align	8
	.type	_ZN7rocprim17ROCPRIM_400000_NS6detail17trampoline_kernelINS0_14default_configENS1_36segmented_radix_sort_config_selectorIalEEZNS1_25segmented_radix_sort_implIS3_Lb1EPKaPaPKlPlN2at6native12_GLOBAL__N_18offset_tEEE10hipError_tPvRmT1_PNSt15iterator_traitsISK_E10value_typeET2_T3_PNSL_ISQ_E10value_typeET4_jRbjT5_SW_jjP12ihipStream_tbEUlT_E2_NS1_11comp_targetILNS1_3genE10ELNS1_11target_archE1201ELNS1_3gpuE5ELNS1_3repE0EEENS1_30default_config_static_selectorELNS0_4arch9wavefront6targetE0EEEvSK_,@function
_ZN7rocprim17ROCPRIM_400000_NS6detail17trampoline_kernelINS0_14default_configENS1_36segmented_radix_sort_config_selectorIalEEZNS1_25segmented_radix_sort_implIS3_Lb1EPKaPaPKlPlN2at6native12_GLOBAL__N_18offset_tEEE10hipError_tPvRmT1_PNSt15iterator_traitsISK_E10value_typeET2_T3_PNSL_ISQ_E10value_typeET4_jRbjT5_SW_jjP12ihipStream_tbEUlT_E2_NS1_11comp_targetILNS1_3genE10ELNS1_11target_archE1201ELNS1_3gpuE5ELNS1_3repE0EEENS1_30default_config_static_selectorELNS0_4arch9wavefront6targetE0EEEvSK_: ; @_ZN7rocprim17ROCPRIM_400000_NS6detail17trampoline_kernelINS0_14default_configENS1_36segmented_radix_sort_config_selectorIalEEZNS1_25segmented_radix_sort_implIS3_Lb1EPKaPaPKlPlN2at6native12_GLOBAL__N_18offset_tEEE10hipError_tPvRmT1_PNSt15iterator_traitsISK_E10value_typeET2_T3_PNSL_ISQ_E10value_typeET4_jRbjT5_SW_jjP12ihipStream_tbEUlT_E2_NS1_11comp_targetILNS1_3genE10ELNS1_11target_archE1201ELNS1_3gpuE5ELNS1_3repE0EEENS1_30default_config_static_selectorELNS0_4arch9wavefront6targetE0EEEvSK_
; %bb.0:
	.section	.rodata,"a",@progbits
	.p2align	6, 0x0
	.amdhsa_kernel _ZN7rocprim17ROCPRIM_400000_NS6detail17trampoline_kernelINS0_14default_configENS1_36segmented_radix_sort_config_selectorIalEEZNS1_25segmented_radix_sort_implIS3_Lb1EPKaPaPKlPlN2at6native12_GLOBAL__N_18offset_tEEE10hipError_tPvRmT1_PNSt15iterator_traitsISK_E10value_typeET2_T3_PNSL_ISQ_E10value_typeET4_jRbjT5_SW_jjP12ihipStream_tbEUlT_E2_NS1_11comp_targetILNS1_3genE10ELNS1_11target_archE1201ELNS1_3gpuE5ELNS1_3repE0EEENS1_30default_config_static_selectorELNS0_4arch9wavefront6targetE0EEEvSK_
		.amdhsa_group_segment_fixed_size 0
		.amdhsa_private_segment_fixed_size 0
		.amdhsa_kernarg_size 80
		.amdhsa_user_sgpr_count 2
		.amdhsa_user_sgpr_dispatch_ptr 0
		.amdhsa_user_sgpr_queue_ptr 0
		.amdhsa_user_sgpr_kernarg_segment_ptr 1
		.amdhsa_user_sgpr_dispatch_id 0
		.amdhsa_user_sgpr_kernarg_preload_length 0
		.amdhsa_user_sgpr_kernarg_preload_offset 0
		.amdhsa_user_sgpr_private_segment_size 0
		.amdhsa_wavefront_size32 1
		.amdhsa_uses_dynamic_stack 0
		.amdhsa_enable_private_segment 0
		.amdhsa_system_sgpr_workgroup_id_x 1
		.amdhsa_system_sgpr_workgroup_id_y 0
		.amdhsa_system_sgpr_workgroup_id_z 0
		.amdhsa_system_sgpr_workgroup_info 0
		.amdhsa_system_vgpr_workitem_id 0
		.amdhsa_next_free_vgpr 1
		.amdhsa_next_free_sgpr 1
		.amdhsa_named_barrier_count 0
		.amdhsa_reserve_vcc 0
		.amdhsa_float_round_mode_32 0
		.amdhsa_float_round_mode_16_64 0
		.amdhsa_float_denorm_mode_32 3
		.amdhsa_float_denorm_mode_16_64 3
		.amdhsa_fp16_overflow 0
		.amdhsa_memory_ordered 1
		.amdhsa_forward_progress 1
		.amdhsa_inst_pref_size 0
		.amdhsa_round_robin_scheduling 0
		.amdhsa_exception_fp_ieee_invalid_op 0
		.amdhsa_exception_fp_denorm_src 0
		.amdhsa_exception_fp_ieee_div_zero 0
		.amdhsa_exception_fp_ieee_overflow 0
		.amdhsa_exception_fp_ieee_underflow 0
		.amdhsa_exception_fp_ieee_inexact 0
		.amdhsa_exception_int_div_zero 0
	.end_amdhsa_kernel
	.section	.text._ZN7rocprim17ROCPRIM_400000_NS6detail17trampoline_kernelINS0_14default_configENS1_36segmented_radix_sort_config_selectorIalEEZNS1_25segmented_radix_sort_implIS3_Lb1EPKaPaPKlPlN2at6native12_GLOBAL__N_18offset_tEEE10hipError_tPvRmT1_PNSt15iterator_traitsISK_E10value_typeET2_T3_PNSL_ISQ_E10value_typeET4_jRbjT5_SW_jjP12ihipStream_tbEUlT_E2_NS1_11comp_targetILNS1_3genE10ELNS1_11target_archE1201ELNS1_3gpuE5ELNS1_3repE0EEENS1_30default_config_static_selectorELNS0_4arch9wavefront6targetE0EEEvSK_,"axG",@progbits,_ZN7rocprim17ROCPRIM_400000_NS6detail17trampoline_kernelINS0_14default_configENS1_36segmented_radix_sort_config_selectorIalEEZNS1_25segmented_radix_sort_implIS3_Lb1EPKaPaPKlPlN2at6native12_GLOBAL__N_18offset_tEEE10hipError_tPvRmT1_PNSt15iterator_traitsISK_E10value_typeET2_T3_PNSL_ISQ_E10value_typeET4_jRbjT5_SW_jjP12ihipStream_tbEUlT_E2_NS1_11comp_targetILNS1_3genE10ELNS1_11target_archE1201ELNS1_3gpuE5ELNS1_3repE0EEENS1_30default_config_static_selectorELNS0_4arch9wavefront6targetE0EEEvSK_,comdat
.Lfunc_end322:
	.size	_ZN7rocprim17ROCPRIM_400000_NS6detail17trampoline_kernelINS0_14default_configENS1_36segmented_radix_sort_config_selectorIalEEZNS1_25segmented_radix_sort_implIS3_Lb1EPKaPaPKlPlN2at6native12_GLOBAL__N_18offset_tEEE10hipError_tPvRmT1_PNSt15iterator_traitsISK_E10value_typeET2_T3_PNSL_ISQ_E10value_typeET4_jRbjT5_SW_jjP12ihipStream_tbEUlT_E2_NS1_11comp_targetILNS1_3genE10ELNS1_11target_archE1201ELNS1_3gpuE5ELNS1_3repE0EEENS1_30default_config_static_selectorELNS0_4arch9wavefront6targetE0EEEvSK_, .Lfunc_end322-_ZN7rocprim17ROCPRIM_400000_NS6detail17trampoline_kernelINS0_14default_configENS1_36segmented_radix_sort_config_selectorIalEEZNS1_25segmented_radix_sort_implIS3_Lb1EPKaPaPKlPlN2at6native12_GLOBAL__N_18offset_tEEE10hipError_tPvRmT1_PNSt15iterator_traitsISK_E10value_typeET2_T3_PNSL_ISQ_E10value_typeET4_jRbjT5_SW_jjP12ihipStream_tbEUlT_E2_NS1_11comp_targetILNS1_3genE10ELNS1_11target_archE1201ELNS1_3gpuE5ELNS1_3repE0EEENS1_30default_config_static_selectorELNS0_4arch9wavefront6targetE0EEEvSK_
                                        ; -- End function
	.set _ZN7rocprim17ROCPRIM_400000_NS6detail17trampoline_kernelINS0_14default_configENS1_36segmented_radix_sort_config_selectorIalEEZNS1_25segmented_radix_sort_implIS3_Lb1EPKaPaPKlPlN2at6native12_GLOBAL__N_18offset_tEEE10hipError_tPvRmT1_PNSt15iterator_traitsISK_E10value_typeET2_T3_PNSL_ISQ_E10value_typeET4_jRbjT5_SW_jjP12ihipStream_tbEUlT_E2_NS1_11comp_targetILNS1_3genE10ELNS1_11target_archE1201ELNS1_3gpuE5ELNS1_3repE0EEENS1_30default_config_static_selectorELNS0_4arch9wavefront6targetE0EEEvSK_.num_vgpr, 0
	.set _ZN7rocprim17ROCPRIM_400000_NS6detail17trampoline_kernelINS0_14default_configENS1_36segmented_radix_sort_config_selectorIalEEZNS1_25segmented_radix_sort_implIS3_Lb1EPKaPaPKlPlN2at6native12_GLOBAL__N_18offset_tEEE10hipError_tPvRmT1_PNSt15iterator_traitsISK_E10value_typeET2_T3_PNSL_ISQ_E10value_typeET4_jRbjT5_SW_jjP12ihipStream_tbEUlT_E2_NS1_11comp_targetILNS1_3genE10ELNS1_11target_archE1201ELNS1_3gpuE5ELNS1_3repE0EEENS1_30default_config_static_selectorELNS0_4arch9wavefront6targetE0EEEvSK_.num_agpr, 0
	.set _ZN7rocprim17ROCPRIM_400000_NS6detail17trampoline_kernelINS0_14default_configENS1_36segmented_radix_sort_config_selectorIalEEZNS1_25segmented_radix_sort_implIS3_Lb1EPKaPaPKlPlN2at6native12_GLOBAL__N_18offset_tEEE10hipError_tPvRmT1_PNSt15iterator_traitsISK_E10value_typeET2_T3_PNSL_ISQ_E10value_typeET4_jRbjT5_SW_jjP12ihipStream_tbEUlT_E2_NS1_11comp_targetILNS1_3genE10ELNS1_11target_archE1201ELNS1_3gpuE5ELNS1_3repE0EEENS1_30default_config_static_selectorELNS0_4arch9wavefront6targetE0EEEvSK_.numbered_sgpr, 0
	.set _ZN7rocprim17ROCPRIM_400000_NS6detail17trampoline_kernelINS0_14default_configENS1_36segmented_radix_sort_config_selectorIalEEZNS1_25segmented_radix_sort_implIS3_Lb1EPKaPaPKlPlN2at6native12_GLOBAL__N_18offset_tEEE10hipError_tPvRmT1_PNSt15iterator_traitsISK_E10value_typeET2_T3_PNSL_ISQ_E10value_typeET4_jRbjT5_SW_jjP12ihipStream_tbEUlT_E2_NS1_11comp_targetILNS1_3genE10ELNS1_11target_archE1201ELNS1_3gpuE5ELNS1_3repE0EEENS1_30default_config_static_selectorELNS0_4arch9wavefront6targetE0EEEvSK_.num_named_barrier, 0
	.set _ZN7rocprim17ROCPRIM_400000_NS6detail17trampoline_kernelINS0_14default_configENS1_36segmented_radix_sort_config_selectorIalEEZNS1_25segmented_radix_sort_implIS3_Lb1EPKaPaPKlPlN2at6native12_GLOBAL__N_18offset_tEEE10hipError_tPvRmT1_PNSt15iterator_traitsISK_E10value_typeET2_T3_PNSL_ISQ_E10value_typeET4_jRbjT5_SW_jjP12ihipStream_tbEUlT_E2_NS1_11comp_targetILNS1_3genE10ELNS1_11target_archE1201ELNS1_3gpuE5ELNS1_3repE0EEENS1_30default_config_static_selectorELNS0_4arch9wavefront6targetE0EEEvSK_.private_seg_size, 0
	.set _ZN7rocprim17ROCPRIM_400000_NS6detail17trampoline_kernelINS0_14default_configENS1_36segmented_radix_sort_config_selectorIalEEZNS1_25segmented_radix_sort_implIS3_Lb1EPKaPaPKlPlN2at6native12_GLOBAL__N_18offset_tEEE10hipError_tPvRmT1_PNSt15iterator_traitsISK_E10value_typeET2_T3_PNSL_ISQ_E10value_typeET4_jRbjT5_SW_jjP12ihipStream_tbEUlT_E2_NS1_11comp_targetILNS1_3genE10ELNS1_11target_archE1201ELNS1_3gpuE5ELNS1_3repE0EEENS1_30default_config_static_selectorELNS0_4arch9wavefront6targetE0EEEvSK_.uses_vcc, 0
	.set _ZN7rocprim17ROCPRIM_400000_NS6detail17trampoline_kernelINS0_14default_configENS1_36segmented_radix_sort_config_selectorIalEEZNS1_25segmented_radix_sort_implIS3_Lb1EPKaPaPKlPlN2at6native12_GLOBAL__N_18offset_tEEE10hipError_tPvRmT1_PNSt15iterator_traitsISK_E10value_typeET2_T3_PNSL_ISQ_E10value_typeET4_jRbjT5_SW_jjP12ihipStream_tbEUlT_E2_NS1_11comp_targetILNS1_3genE10ELNS1_11target_archE1201ELNS1_3gpuE5ELNS1_3repE0EEENS1_30default_config_static_selectorELNS0_4arch9wavefront6targetE0EEEvSK_.uses_flat_scratch, 0
	.set _ZN7rocprim17ROCPRIM_400000_NS6detail17trampoline_kernelINS0_14default_configENS1_36segmented_radix_sort_config_selectorIalEEZNS1_25segmented_radix_sort_implIS3_Lb1EPKaPaPKlPlN2at6native12_GLOBAL__N_18offset_tEEE10hipError_tPvRmT1_PNSt15iterator_traitsISK_E10value_typeET2_T3_PNSL_ISQ_E10value_typeET4_jRbjT5_SW_jjP12ihipStream_tbEUlT_E2_NS1_11comp_targetILNS1_3genE10ELNS1_11target_archE1201ELNS1_3gpuE5ELNS1_3repE0EEENS1_30default_config_static_selectorELNS0_4arch9wavefront6targetE0EEEvSK_.has_dyn_sized_stack, 0
	.set _ZN7rocprim17ROCPRIM_400000_NS6detail17trampoline_kernelINS0_14default_configENS1_36segmented_radix_sort_config_selectorIalEEZNS1_25segmented_radix_sort_implIS3_Lb1EPKaPaPKlPlN2at6native12_GLOBAL__N_18offset_tEEE10hipError_tPvRmT1_PNSt15iterator_traitsISK_E10value_typeET2_T3_PNSL_ISQ_E10value_typeET4_jRbjT5_SW_jjP12ihipStream_tbEUlT_E2_NS1_11comp_targetILNS1_3genE10ELNS1_11target_archE1201ELNS1_3gpuE5ELNS1_3repE0EEENS1_30default_config_static_selectorELNS0_4arch9wavefront6targetE0EEEvSK_.has_recursion, 0
	.set _ZN7rocprim17ROCPRIM_400000_NS6detail17trampoline_kernelINS0_14default_configENS1_36segmented_radix_sort_config_selectorIalEEZNS1_25segmented_radix_sort_implIS3_Lb1EPKaPaPKlPlN2at6native12_GLOBAL__N_18offset_tEEE10hipError_tPvRmT1_PNSt15iterator_traitsISK_E10value_typeET2_T3_PNSL_ISQ_E10value_typeET4_jRbjT5_SW_jjP12ihipStream_tbEUlT_E2_NS1_11comp_targetILNS1_3genE10ELNS1_11target_archE1201ELNS1_3gpuE5ELNS1_3repE0EEENS1_30default_config_static_selectorELNS0_4arch9wavefront6targetE0EEEvSK_.has_indirect_call, 0
	.section	.AMDGPU.csdata,"",@progbits
; Kernel info:
; codeLenInByte = 0
; TotalNumSgprs: 0
; NumVgprs: 0
; ScratchSize: 0
; MemoryBound: 0
; FloatMode: 240
; IeeeMode: 1
; LDSByteSize: 0 bytes/workgroup (compile time only)
; SGPRBlocks: 0
; VGPRBlocks: 0
; NumSGPRsForWavesPerEU: 1
; NumVGPRsForWavesPerEU: 1
; NamedBarCnt: 0
; Occupancy: 16
; WaveLimiterHint : 0
; COMPUTE_PGM_RSRC2:SCRATCH_EN: 0
; COMPUTE_PGM_RSRC2:USER_SGPR: 2
; COMPUTE_PGM_RSRC2:TRAP_HANDLER: 0
; COMPUTE_PGM_RSRC2:TGID_X_EN: 1
; COMPUTE_PGM_RSRC2:TGID_Y_EN: 0
; COMPUTE_PGM_RSRC2:TGID_Z_EN: 0
; COMPUTE_PGM_RSRC2:TIDIG_COMP_CNT: 0
	.section	.text._ZN7rocprim17ROCPRIM_400000_NS6detail17trampoline_kernelINS0_14default_configENS1_36segmented_radix_sort_config_selectorIalEEZNS1_25segmented_radix_sort_implIS3_Lb1EPKaPaPKlPlN2at6native12_GLOBAL__N_18offset_tEEE10hipError_tPvRmT1_PNSt15iterator_traitsISK_E10value_typeET2_T3_PNSL_ISQ_E10value_typeET4_jRbjT5_SW_jjP12ihipStream_tbEUlT_E2_NS1_11comp_targetILNS1_3genE10ELNS1_11target_archE1200ELNS1_3gpuE4ELNS1_3repE0EEENS1_30default_config_static_selectorELNS0_4arch9wavefront6targetE0EEEvSK_,"axG",@progbits,_ZN7rocprim17ROCPRIM_400000_NS6detail17trampoline_kernelINS0_14default_configENS1_36segmented_radix_sort_config_selectorIalEEZNS1_25segmented_radix_sort_implIS3_Lb1EPKaPaPKlPlN2at6native12_GLOBAL__N_18offset_tEEE10hipError_tPvRmT1_PNSt15iterator_traitsISK_E10value_typeET2_T3_PNSL_ISQ_E10value_typeET4_jRbjT5_SW_jjP12ihipStream_tbEUlT_E2_NS1_11comp_targetILNS1_3genE10ELNS1_11target_archE1200ELNS1_3gpuE4ELNS1_3repE0EEENS1_30default_config_static_selectorELNS0_4arch9wavefront6targetE0EEEvSK_,comdat
	.globl	_ZN7rocprim17ROCPRIM_400000_NS6detail17trampoline_kernelINS0_14default_configENS1_36segmented_radix_sort_config_selectorIalEEZNS1_25segmented_radix_sort_implIS3_Lb1EPKaPaPKlPlN2at6native12_GLOBAL__N_18offset_tEEE10hipError_tPvRmT1_PNSt15iterator_traitsISK_E10value_typeET2_T3_PNSL_ISQ_E10value_typeET4_jRbjT5_SW_jjP12ihipStream_tbEUlT_E2_NS1_11comp_targetILNS1_3genE10ELNS1_11target_archE1200ELNS1_3gpuE4ELNS1_3repE0EEENS1_30default_config_static_selectorELNS0_4arch9wavefront6targetE0EEEvSK_ ; -- Begin function _ZN7rocprim17ROCPRIM_400000_NS6detail17trampoline_kernelINS0_14default_configENS1_36segmented_radix_sort_config_selectorIalEEZNS1_25segmented_radix_sort_implIS3_Lb1EPKaPaPKlPlN2at6native12_GLOBAL__N_18offset_tEEE10hipError_tPvRmT1_PNSt15iterator_traitsISK_E10value_typeET2_T3_PNSL_ISQ_E10value_typeET4_jRbjT5_SW_jjP12ihipStream_tbEUlT_E2_NS1_11comp_targetILNS1_3genE10ELNS1_11target_archE1200ELNS1_3gpuE4ELNS1_3repE0EEENS1_30default_config_static_selectorELNS0_4arch9wavefront6targetE0EEEvSK_
	.p2align	8
	.type	_ZN7rocprim17ROCPRIM_400000_NS6detail17trampoline_kernelINS0_14default_configENS1_36segmented_radix_sort_config_selectorIalEEZNS1_25segmented_radix_sort_implIS3_Lb1EPKaPaPKlPlN2at6native12_GLOBAL__N_18offset_tEEE10hipError_tPvRmT1_PNSt15iterator_traitsISK_E10value_typeET2_T3_PNSL_ISQ_E10value_typeET4_jRbjT5_SW_jjP12ihipStream_tbEUlT_E2_NS1_11comp_targetILNS1_3genE10ELNS1_11target_archE1200ELNS1_3gpuE4ELNS1_3repE0EEENS1_30default_config_static_selectorELNS0_4arch9wavefront6targetE0EEEvSK_,@function
_ZN7rocprim17ROCPRIM_400000_NS6detail17trampoline_kernelINS0_14default_configENS1_36segmented_radix_sort_config_selectorIalEEZNS1_25segmented_radix_sort_implIS3_Lb1EPKaPaPKlPlN2at6native12_GLOBAL__N_18offset_tEEE10hipError_tPvRmT1_PNSt15iterator_traitsISK_E10value_typeET2_T3_PNSL_ISQ_E10value_typeET4_jRbjT5_SW_jjP12ihipStream_tbEUlT_E2_NS1_11comp_targetILNS1_3genE10ELNS1_11target_archE1200ELNS1_3gpuE4ELNS1_3repE0EEENS1_30default_config_static_selectorELNS0_4arch9wavefront6targetE0EEEvSK_: ; @_ZN7rocprim17ROCPRIM_400000_NS6detail17trampoline_kernelINS0_14default_configENS1_36segmented_radix_sort_config_selectorIalEEZNS1_25segmented_radix_sort_implIS3_Lb1EPKaPaPKlPlN2at6native12_GLOBAL__N_18offset_tEEE10hipError_tPvRmT1_PNSt15iterator_traitsISK_E10value_typeET2_T3_PNSL_ISQ_E10value_typeET4_jRbjT5_SW_jjP12ihipStream_tbEUlT_E2_NS1_11comp_targetILNS1_3genE10ELNS1_11target_archE1200ELNS1_3gpuE4ELNS1_3repE0EEENS1_30default_config_static_selectorELNS0_4arch9wavefront6targetE0EEEvSK_
; %bb.0:
	.section	.rodata,"a",@progbits
	.p2align	6, 0x0
	.amdhsa_kernel _ZN7rocprim17ROCPRIM_400000_NS6detail17trampoline_kernelINS0_14default_configENS1_36segmented_radix_sort_config_selectorIalEEZNS1_25segmented_radix_sort_implIS3_Lb1EPKaPaPKlPlN2at6native12_GLOBAL__N_18offset_tEEE10hipError_tPvRmT1_PNSt15iterator_traitsISK_E10value_typeET2_T3_PNSL_ISQ_E10value_typeET4_jRbjT5_SW_jjP12ihipStream_tbEUlT_E2_NS1_11comp_targetILNS1_3genE10ELNS1_11target_archE1200ELNS1_3gpuE4ELNS1_3repE0EEENS1_30default_config_static_selectorELNS0_4arch9wavefront6targetE0EEEvSK_
		.amdhsa_group_segment_fixed_size 0
		.amdhsa_private_segment_fixed_size 0
		.amdhsa_kernarg_size 80
		.amdhsa_user_sgpr_count 2
		.amdhsa_user_sgpr_dispatch_ptr 0
		.amdhsa_user_sgpr_queue_ptr 0
		.amdhsa_user_sgpr_kernarg_segment_ptr 1
		.amdhsa_user_sgpr_dispatch_id 0
		.amdhsa_user_sgpr_kernarg_preload_length 0
		.amdhsa_user_sgpr_kernarg_preload_offset 0
		.amdhsa_user_sgpr_private_segment_size 0
		.amdhsa_wavefront_size32 1
		.amdhsa_uses_dynamic_stack 0
		.amdhsa_enable_private_segment 0
		.amdhsa_system_sgpr_workgroup_id_x 1
		.amdhsa_system_sgpr_workgroup_id_y 0
		.amdhsa_system_sgpr_workgroup_id_z 0
		.amdhsa_system_sgpr_workgroup_info 0
		.amdhsa_system_vgpr_workitem_id 0
		.amdhsa_next_free_vgpr 1
		.amdhsa_next_free_sgpr 1
		.amdhsa_named_barrier_count 0
		.amdhsa_reserve_vcc 0
		.amdhsa_float_round_mode_32 0
		.amdhsa_float_round_mode_16_64 0
		.amdhsa_float_denorm_mode_32 3
		.amdhsa_float_denorm_mode_16_64 3
		.amdhsa_fp16_overflow 0
		.amdhsa_memory_ordered 1
		.amdhsa_forward_progress 1
		.amdhsa_inst_pref_size 0
		.amdhsa_round_robin_scheduling 0
		.amdhsa_exception_fp_ieee_invalid_op 0
		.amdhsa_exception_fp_denorm_src 0
		.amdhsa_exception_fp_ieee_div_zero 0
		.amdhsa_exception_fp_ieee_overflow 0
		.amdhsa_exception_fp_ieee_underflow 0
		.amdhsa_exception_fp_ieee_inexact 0
		.amdhsa_exception_int_div_zero 0
	.end_amdhsa_kernel
	.section	.text._ZN7rocprim17ROCPRIM_400000_NS6detail17trampoline_kernelINS0_14default_configENS1_36segmented_radix_sort_config_selectorIalEEZNS1_25segmented_radix_sort_implIS3_Lb1EPKaPaPKlPlN2at6native12_GLOBAL__N_18offset_tEEE10hipError_tPvRmT1_PNSt15iterator_traitsISK_E10value_typeET2_T3_PNSL_ISQ_E10value_typeET4_jRbjT5_SW_jjP12ihipStream_tbEUlT_E2_NS1_11comp_targetILNS1_3genE10ELNS1_11target_archE1200ELNS1_3gpuE4ELNS1_3repE0EEENS1_30default_config_static_selectorELNS0_4arch9wavefront6targetE0EEEvSK_,"axG",@progbits,_ZN7rocprim17ROCPRIM_400000_NS6detail17trampoline_kernelINS0_14default_configENS1_36segmented_radix_sort_config_selectorIalEEZNS1_25segmented_radix_sort_implIS3_Lb1EPKaPaPKlPlN2at6native12_GLOBAL__N_18offset_tEEE10hipError_tPvRmT1_PNSt15iterator_traitsISK_E10value_typeET2_T3_PNSL_ISQ_E10value_typeET4_jRbjT5_SW_jjP12ihipStream_tbEUlT_E2_NS1_11comp_targetILNS1_3genE10ELNS1_11target_archE1200ELNS1_3gpuE4ELNS1_3repE0EEENS1_30default_config_static_selectorELNS0_4arch9wavefront6targetE0EEEvSK_,comdat
.Lfunc_end323:
	.size	_ZN7rocprim17ROCPRIM_400000_NS6detail17trampoline_kernelINS0_14default_configENS1_36segmented_radix_sort_config_selectorIalEEZNS1_25segmented_radix_sort_implIS3_Lb1EPKaPaPKlPlN2at6native12_GLOBAL__N_18offset_tEEE10hipError_tPvRmT1_PNSt15iterator_traitsISK_E10value_typeET2_T3_PNSL_ISQ_E10value_typeET4_jRbjT5_SW_jjP12ihipStream_tbEUlT_E2_NS1_11comp_targetILNS1_3genE10ELNS1_11target_archE1200ELNS1_3gpuE4ELNS1_3repE0EEENS1_30default_config_static_selectorELNS0_4arch9wavefront6targetE0EEEvSK_, .Lfunc_end323-_ZN7rocprim17ROCPRIM_400000_NS6detail17trampoline_kernelINS0_14default_configENS1_36segmented_radix_sort_config_selectorIalEEZNS1_25segmented_radix_sort_implIS3_Lb1EPKaPaPKlPlN2at6native12_GLOBAL__N_18offset_tEEE10hipError_tPvRmT1_PNSt15iterator_traitsISK_E10value_typeET2_T3_PNSL_ISQ_E10value_typeET4_jRbjT5_SW_jjP12ihipStream_tbEUlT_E2_NS1_11comp_targetILNS1_3genE10ELNS1_11target_archE1200ELNS1_3gpuE4ELNS1_3repE0EEENS1_30default_config_static_selectorELNS0_4arch9wavefront6targetE0EEEvSK_
                                        ; -- End function
	.set _ZN7rocprim17ROCPRIM_400000_NS6detail17trampoline_kernelINS0_14default_configENS1_36segmented_radix_sort_config_selectorIalEEZNS1_25segmented_radix_sort_implIS3_Lb1EPKaPaPKlPlN2at6native12_GLOBAL__N_18offset_tEEE10hipError_tPvRmT1_PNSt15iterator_traitsISK_E10value_typeET2_T3_PNSL_ISQ_E10value_typeET4_jRbjT5_SW_jjP12ihipStream_tbEUlT_E2_NS1_11comp_targetILNS1_3genE10ELNS1_11target_archE1200ELNS1_3gpuE4ELNS1_3repE0EEENS1_30default_config_static_selectorELNS0_4arch9wavefront6targetE0EEEvSK_.num_vgpr, 0
	.set _ZN7rocprim17ROCPRIM_400000_NS6detail17trampoline_kernelINS0_14default_configENS1_36segmented_radix_sort_config_selectorIalEEZNS1_25segmented_radix_sort_implIS3_Lb1EPKaPaPKlPlN2at6native12_GLOBAL__N_18offset_tEEE10hipError_tPvRmT1_PNSt15iterator_traitsISK_E10value_typeET2_T3_PNSL_ISQ_E10value_typeET4_jRbjT5_SW_jjP12ihipStream_tbEUlT_E2_NS1_11comp_targetILNS1_3genE10ELNS1_11target_archE1200ELNS1_3gpuE4ELNS1_3repE0EEENS1_30default_config_static_selectorELNS0_4arch9wavefront6targetE0EEEvSK_.num_agpr, 0
	.set _ZN7rocprim17ROCPRIM_400000_NS6detail17trampoline_kernelINS0_14default_configENS1_36segmented_radix_sort_config_selectorIalEEZNS1_25segmented_radix_sort_implIS3_Lb1EPKaPaPKlPlN2at6native12_GLOBAL__N_18offset_tEEE10hipError_tPvRmT1_PNSt15iterator_traitsISK_E10value_typeET2_T3_PNSL_ISQ_E10value_typeET4_jRbjT5_SW_jjP12ihipStream_tbEUlT_E2_NS1_11comp_targetILNS1_3genE10ELNS1_11target_archE1200ELNS1_3gpuE4ELNS1_3repE0EEENS1_30default_config_static_selectorELNS0_4arch9wavefront6targetE0EEEvSK_.numbered_sgpr, 0
	.set _ZN7rocprim17ROCPRIM_400000_NS6detail17trampoline_kernelINS0_14default_configENS1_36segmented_radix_sort_config_selectorIalEEZNS1_25segmented_radix_sort_implIS3_Lb1EPKaPaPKlPlN2at6native12_GLOBAL__N_18offset_tEEE10hipError_tPvRmT1_PNSt15iterator_traitsISK_E10value_typeET2_T3_PNSL_ISQ_E10value_typeET4_jRbjT5_SW_jjP12ihipStream_tbEUlT_E2_NS1_11comp_targetILNS1_3genE10ELNS1_11target_archE1200ELNS1_3gpuE4ELNS1_3repE0EEENS1_30default_config_static_selectorELNS0_4arch9wavefront6targetE0EEEvSK_.num_named_barrier, 0
	.set _ZN7rocprim17ROCPRIM_400000_NS6detail17trampoline_kernelINS0_14default_configENS1_36segmented_radix_sort_config_selectorIalEEZNS1_25segmented_radix_sort_implIS3_Lb1EPKaPaPKlPlN2at6native12_GLOBAL__N_18offset_tEEE10hipError_tPvRmT1_PNSt15iterator_traitsISK_E10value_typeET2_T3_PNSL_ISQ_E10value_typeET4_jRbjT5_SW_jjP12ihipStream_tbEUlT_E2_NS1_11comp_targetILNS1_3genE10ELNS1_11target_archE1200ELNS1_3gpuE4ELNS1_3repE0EEENS1_30default_config_static_selectorELNS0_4arch9wavefront6targetE0EEEvSK_.private_seg_size, 0
	.set _ZN7rocprim17ROCPRIM_400000_NS6detail17trampoline_kernelINS0_14default_configENS1_36segmented_radix_sort_config_selectorIalEEZNS1_25segmented_radix_sort_implIS3_Lb1EPKaPaPKlPlN2at6native12_GLOBAL__N_18offset_tEEE10hipError_tPvRmT1_PNSt15iterator_traitsISK_E10value_typeET2_T3_PNSL_ISQ_E10value_typeET4_jRbjT5_SW_jjP12ihipStream_tbEUlT_E2_NS1_11comp_targetILNS1_3genE10ELNS1_11target_archE1200ELNS1_3gpuE4ELNS1_3repE0EEENS1_30default_config_static_selectorELNS0_4arch9wavefront6targetE0EEEvSK_.uses_vcc, 0
	.set _ZN7rocprim17ROCPRIM_400000_NS6detail17trampoline_kernelINS0_14default_configENS1_36segmented_radix_sort_config_selectorIalEEZNS1_25segmented_radix_sort_implIS3_Lb1EPKaPaPKlPlN2at6native12_GLOBAL__N_18offset_tEEE10hipError_tPvRmT1_PNSt15iterator_traitsISK_E10value_typeET2_T3_PNSL_ISQ_E10value_typeET4_jRbjT5_SW_jjP12ihipStream_tbEUlT_E2_NS1_11comp_targetILNS1_3genE10ELNS1_11target_archE1200ELNS1_3gpuE4ELNS1_3repE0EEENS1_30default_config_static_selectorELNS0_4arch9wavefront6targetE0EEEvSK_.uses_flat_scratch, 0
	.set _ZN7rocprim17ROCPRIM_400000_NS6detail17trampoline_kernelINS0_14default_configENS1_36segmented_radix_sort_config_selectorIalEEZNS1_25segmented_radix_sort_implIS3_Lb1EPKaPaPKlPlN2at6native12_GLOBAL__N_18offset_tEEE10hipError_tPvRmT1_PNSt15iterator_traitsISK_E10value_typeET2_T3_PNSL_ISQ_E10value_typeET4_jRbjT5_SW_jjP12ihipStream_tbEUlT_E2_NS1_11comp_targetILNS1_3genE10ELNS1_11target_archE1200ELNS1_3gpuE4ELNS1_3repE0EEENS1_30default_config_static_selectorELNS0_4arch9wavefront6targetE0EEEvSK_.has_dyn_sized_stack, 0
	.set _ZN7rocprim17ROCPRIM_400000_NS6detail17trampoline_kernelINS0_14default_configENS1_36segmented_radix_sort_config_selectorIalEEZNS1_25segmented_radix_sort_implIS3_Lb1EPKaPaPKlPlN2at6native12_GLOBAL__N_18offset_tEEE10hipError_tPvRmT1_PNSt15iterator_traitsISK_E10value_typeET2_T3_PNSL_ISQ_E10value_typeET4_jRbjT5_SW_jjP12ihipStream_tbEUlT_E2_NS1_11comp_targetILNS1_3genE10ELNS1_11target_archE1200ELNS1_3gpuE4ELNS1_3repE0EEENS1_30default_config_static_selectorELNS0_4arch9wavefront6targetE0EEEvSK_.has_recursion, 0
	.set _ZN7rocprim17ROCPRIM_400000_NS6detail17trampoline_kernelINS0_14default_configENS1_36segmented_radix_sort_config_selectorIalEEZNS1_25segmented_radix_sort_implIS3_Lb1EPKaPaPKlPlN2at6native12_GLOBAL__N_18offset_tEEE10hipError_tPvRmT1_PNSt15iterator_traitsISK_E10value_typeET2_T3_PNSL_ISQ_E10value_typeET4_jRbjT5_SW_jjP12ihipStream_tbEUlT_E2_NS1_11comp_targetILNS1_3genE10ELNS1_11target_archE1200ELNS1_3gpuE4ELNS1_3repE0EEENS1_30default_config_static_selectorELNS0_4arch9wavefront6targetE0EEEvSK_.has_indirect_call, 0
	.section	.AMDGPU.csdata,"",@progbits
; Kernel info:
; codeLenInByte = 0
; TotalNumSgprs: 0
; NumVgprs: 0
; ScratchSize: 0
; MemoryBound: 0
; FloatMode: 240
; IeeeMode: 1
; LDSByteSize: 0 bytes/workgroup (compile time only)
; SGPRBlocks: 0
; VGPRBlocks: 0
; NumSGPRsForWavesPerEU: 1
; NumVGPRsForWavesPerEU: 1
; NamedBarCnt: 0
; Occupancy: 16
; WaveLimiterHint : 0
; COMPUTE_PGM_RSRC2:SCRATCH_EN: 0
; COMPUTE_PGM_RSRC2:USER_SGPR: 2
; COMPUTE_PGM_RSRC2:TRAP_HANDLER: 0
; COMPUTE_PGM_RSRC2:TGID_X_EN: 1
; COMPUTE_PGM_RSRC2:TGID_Y_EN: 0
; COMPUTE_PGM_RSRC2:TGID_Z_EN: 0
; COMPUTE_PGM_RSRC2:TIDIG_COMP_CNT: 0
	.section	.text._ZN7rocprim17ROCPRIM_400000_NS6detail17trampoline_kernelINS0_14default_configENS1_36segmented_radix_sort_config_selectorIalEEZNS1_25segmented_radix_sort_implIS3_Lb1EPKaPaPKlPlN2at6native12_GLOBAL__N_18offset_tEEE10hipError_tPvRmT1_PNSt15iterator_traitsISK_E10value_typeET2_T3_PNSL_ISQ_E10value_typeET4_jRbjT5_SW_jjP12ihipStream_tbEUlT_E2_NS1_11comp_targetILNS1_3genE9ELNS1_11target_archE1100ELNS1_3gpuE3ELNS1_3repE0EEENS1_30default_config_static_selectorELNS0_4arch9wavefront6targetE0EEEvSK_,"axG",@progbits,_ZN7rocprim17ROCPRIM_400000_NS6detail17trampoline_kernelINS0_14default_configENS1_36segmented_radix_sort_config_selectorIalEEZNS1_25segmented_radix_sort_implIS3_Lb1EPKaPaPKlPlN2at6native12_GLOBAL__N_18offset_tEEE10hipError_tPvRmT1_PNSt15iterator_traitsISK_E10value_typeET2_T3_PNSL_ISQ_E10value_typeET4_jRbjT5_SW_jjP12ihipStream_tbEUlT_E2_NS1_11comp_targetILNS1_3genE9ELNS1_11target_archE1100ELNS1_3gpuE3ELNS1_3repE0EEENS1_30default_config_static_selectorELNS0_4arch9wavefront6targetE0EEEvSK_,comdat
	.globl	_ZN7rocprim17ROCPRIM_400000_NS6detail17trampoline_kernelINS0_14default_configENS1_36segmented_radix_sort_config_selectorIalEEZNS1_25segmented_radix_sort_implIS3_Lb1EPKaPaPKlPlN2at6native12_GLOBAL__N_18offset_tEEE10hipError_tPvRmT1_PNSt15iterator_traitsISK_E10value_typeET2_T3_PNSL_ISQ_E10value_typeET4_jRbjT5_SW_jjP12ihipStream_tbEUlT_E2_NS1_11comp_targetILNS1_3genE9ELNS1_11target_archE1100ELNS1_3gpuE3ELNS1_3repE0EEENS1_30default_config_static_selectorELNS0_4arch9wavefront6targetE0EEEvSK_ ; -- Begin function _ZN7rocprim17ROCPRIM_400000_NS6detail17trampoline_kernelINS0_14default_configENS1_36segmented_radix_sort_config_selectorIalEEZNS1_25segmented_radix_sort_implIS3_Lb1EPKaPaPKlPlN2at6native12_GLOBAL__N_18offset_tEEE10hipError_tPvRmT1_PNSt15iterator_traitsISK_E10value_typeET2_T3_PNSL_ISQ_E10value_typeET4_jRbjT5_SW_jjP12ihipStream_tbEUlT_E2_NS1_11comp_targetILNS1_3genE9ELNS1_11target_archE1100ELNS1_3gpuE3ELNS1_3repE0EEENS1_30default_config_static_selectorELNS0_4arch9wavefront6targetE0EEEvSK_
	.p2align	8
	.type	_ZN7rocprim17ROCPRIM_400000_NS6detail17trampoline_kernelINS0_14default_configENS1_36segmented_radix_sort_config_selectorIalEEZNS1_25segmented_radix_sort_implIS3_Lb1EPKaPaPKlPlN2at6native12_GLOBAL__N_18offset_tEEE10hipError_tPvRmT1_PNSt15iterator_traitsISK_E10value_typeET2_T3_PNSL_ISQ_E10value_typeET4_jRbjT5_SW_jjP12ihipStream_tbEUlT_E2_NS1_11comp_targetILNS1_3genE9ELNS1_11target_archE1100ELNS1_3gpuE3ELNS1_3repE0EEENS1_30default_config_static_selectorELNS0_4arch9wavefront6targetE0EEEvSK_,@function
_ZN7rocprim17ROCPRIM_400000_NS6detail17trampoline_kernelINS0_14default_configENS1_36segmented_radix_sort_config_selectorIalEEZNS1_25segmented_radix_sort_implIS3_Lb1EPKaPaPKlPlN2at6native12_GLOBAL__N_18offset_tEEE10hipError_tPvRmT1_PNSt15iterator_traitsISK_E10value_typeET2_T3_PNSL_ISQ_E10value_typeET4_jRbjT5_SW_jjP12ihipStream_tbEUlT_E2_NS1_11comp_targetILNS1_3genE9ELNS1_11target_archE1100ELNS1_3gpuE3ELNS1_3repE0EEENS1_30default_config_static_selectorELNS0_4arch9wavefront6targetE0EEEvSK_: ; @_ZN7rocprim17ROCPRIM_400000_NS6detail17trampoline_kernelINS0_14default_configENS1_36segmented_radix_sort_config_selectorIalEEZNS1_25segmented_radix_sort_implIS3_Lb1EPKaPaPKlPlN2at6native12_GLOBAL__N_18offset_tEEE10hipError_tPvRmT1_PNSt15iterator_traitsISK_E10value_typeET2_T3_PNSL_ISQ_E10value_typeET4_jRbjT5_SW_jjP12ihipStream_tbEUlT_E2_NS1_11comp_targetILNS1_3genE9ELNS1_11target_archE1100ELNS1_3gpuE3ELNS1_3repE0EEENS1_30default_config_static_selectorELNS0_4arch9wavefront6targetE0EEEvSK_
; %bb.0:
	.section	.rodata,"a",@progbits
	.p2align	6, 0x0
	.amdhsa_kernel _ZN7rocprim17ROCPRIM_400000_NS6detail17trampoline_kernelINS0_14default_configENS1_36segmented_radix_sort_config_selectorIalEEZNS1_25segmented_radix_sort_implIS3_Lb1EPKaPaPKlPlN2at6native12_GLOBAL__N_18offset_tEEE10hipError_tPvRmT1_PNSt15iterator_traitsISK_E10value_typeET2_T3_PNSL_ISQ_E10value_typeET4_jRbjT5_SW_jjP12ihipStream_tbEUlT_E2_NS1_11comp_targetILNS1_3genE9ELNS1_11target_archE1100ELNS1_3gpuE3ELNS1_3repE0EEENS1_30default_config_static_selectorELNS0_4arch9wavefront6targetE0EEEvSK_
		.amdhsa_group_segment_fixed_size 0
		.amdhsa_private_segment_fixed_size 0
		.amdhsa_kernarg_size 80
		.amdhsa_user_sgpr_count 2
		.amdhsa_user_sgpr_dispatch_ptr 0
		.amdhsa_user_sgpr_queue_ptr 0
		.amdhsa_user_sgpr_kernarg_segment_ptr 1
		.amdhsa_user_sgpr_dispatch_id 0
		.amdhsa_user_sgpr_kernarg_preload_length 0
		.amdhsa_user_sgpr_kernarg_preload_offset 0
		.amdhsa_user_sgpr_private_segment_size 0
		.amdhsa_wavefront_size32 1
		.amdhsa_uses_dynamic_stack 0
		.amdhsa_enable_private_segment 0
		.amdhsa_system_sgpr_workgroup_id_x 1
		.amdhsa_system_sgpr_workgroup_id_y 0
		.amdhsa_system_sgpr_workgroup_id_z 0
		.amdhsa_system_sgpr_workgroup_info 0
		.amdhsa_system_vgpr_workitem_id 0
		.amdhsa_next_free_vgpr 1
		.amdhsa_next_free_sgpr 1
		.amdhsa_named_barrier_count 0
		.amdhsa_reserve_vcc 0
		.amdhsa_float_round_mode_32 0
		.amdhsa_float_round_mode_16_64 0
		.amdhsa_float_denorm_mode_32 3
		.amdhsa_float_denorm_mode_16_64 3
		.amdhsa_fp16_overflow 0
		.amdhsa_memory_ordered 1
		.amdhsa_forward_progress 1
		.amdhsa_inst_pref_size 0
		.amdhsa_round_robin_scheduling 0
		.amdhsa_exception_fp_ieee_invalid_op 0
		.amdhsa_exception_fp_denorm_src 0
		.amdhsa_exception_fp_ieee_div_zero 0
		.amdhsa_exception_fp_ieee_overflow 0
		.amdhsa_exception_fp_ieee_underflow 0
		.amdhsa_exception_fp_ieee_inexact 0
		.amdhsa_exception_int_div_zero 0
	.end_amdhsa_kernel
	.section	.text._ZN7rocprim17ROCPRIM_400000_NS6detail17trampoline_kernelINS0_14default_configENS1_36segmented_radix_sort_config_selectorIalEEZNS1_25segmented_radix_sort_implIS3_Lb1EPKaPaPKlPlN2at6native12_GLOBAL__N_18offset_tEEE10hipError_tPvRmT1_PNSt15iterator_traitsISK_E10value_typeET2_T3_PNSL_ISQ_E10value_typeET4_jRbjT5_SW_jjP12ihipStream_tbEUlT_E2_NS1_11comp_targetILNS1_3genE9ELNS1_11target_archE1100ELNS1_3gpuE3ELNS1_3repE0EEENS1_30default_config_static_selectorELNS0_4arch9wavefront6targetE0EEEvSK_,"axG",@progbits,_ZN7rocprim17ROCPRIM_400000_NS6detail17trampoline_kernelINS0_14default_configENS1_36segmented_radix_sort_config_selectorIalEEZNS1_25segmented_radix_sort_implIS3_Lb1EPKaPaPKlPlN2at6native12_GLOBAL__N_18offset_tEEE10hipError_tPvRmT1_PNSt15iterator_traitsISK_E10value_typeET2_T3_PNSL_ISQ_E10value_typeET4_jRbjT5_SW_jjP12ihipStream_tbEUlT_E2_NS1_11comp_targetILNS1_3genE9ELNS1_11target_archE1100ELNS1_3gpuE3ELNS1_3repE0EEENS1_30default_config_static_selectorELNS0_4arch9wavefront6targetE0EEEvSK_,comdat
.Lfunc_end324:
	.size	_ZN7rocprim17ROCPRIM_400000_NS6detail17trampoline_kernelINS0_14default_configENS1_36segmented_radix_sort_config_selectorIalEEZNS1_25segmented_radix_sort_implIS3_Lb1EPKaPaPKlPlN2at6native12_GLOBAL__N_18offset_tEEE10hipError_tPvRmT1_PNSt15iterator_traitsISK_E10value_typeET2_T3_PNSL_ISQ_E10value_typeET4_jRbjT5_SW_jjP12ihipStream_tbEUlT_E2_NS1_11comp_targetILNS1_3genE9ELNS1_11target_archE1100ELNS1_3gpuE3ELNS1_3repE0EEENS1_30default_config_static_selectorELNS0_4arch9wavefront6targetE0EEEvSK_, .Lfunc_end324-_ZN7rocprim17ROCPRIM_400000_NS6detail17trampoline_kernelINS0_14default_configENS1_36segmented_radix_sort_config_selectorIalEEZNS1_25segmented_radix_sort_implIS3_Lb1EPKaPaPKlPlN2at6native12_GLOBAL__N_18offset_tEEE10hipError_tPvRmT1_PNSt15iterator_traitsISK_E10value_typeET2_T3_PNSL_ISQ_E10value_typeET4_jRbjT5_SW_jjP12ihipStream_tbEUlT_E2_NS1_11comp_targetILNS1_3genE9ELNS1_11target_archE1100ELNS1_3gpuE3ELNS1_3repE0EEENS1_30default_config_static_selectorELNS0_4arch9wavefront6targetE0EEEvSK_
                                        ; -- End function
	.set _ZN7rocprim17ROCPRIM_400000_NS6detail17trampoline_kernelINS0_14default_configENS1_36segmented_radix_sort_config_selectorIalEEZNS1_25segmented_radix_sort_implIS3_Lb1EPKaPaPKlPlN2at6native12_GLOBAL__N_18offset_tEEE10hipError_tPvRmT1_PNSt15iterator_traitsISK_E10value_typeET2_T3_PNSL_ISQ_E10value_typeET4_jRbjT5_SW_jjP12ihipStream_tbEUlT_E2_NS1_11comp_targetILNS1_3genE9ELNS1_11target_archE1100ELNS1_3gpuE3ELNS1_3repE0EEENS1_30default_config_static_selectorELNS0_4arch9wavefront6targetE0EEEvSK_.num_vgpr, 0
	.set _ZN7rocprim17ROCPRIM_400000_NS6detail17trampoline_kernelINS0_14default_configENS1_36segmented_radix_sort_config_selectorIalEEZNS1_25segmented_radix_sort_implIS3_Lb1EPKaPaPKlPlN2at6native12_GLOBAL__N_18offset_tEEE10hipError_tPvRmT1_PNSt15iterator_traitsISK_E10value_typeET2_T3_PNSL_ISQ_E10value_typeET4_jRbjT5_SW_jjP12ihipStream_tbEUlT_E2_NS1_11comp_targetILNS1_3genE9ELNS1_11target_archE1100ELNS1_3gpuE3ELNS1_3repE0EEENS1_30default_config_static_selectorELNS0_4arch9wavefront6targetE0EEEvSK_.num_agpr, 0
	.set _ZN7rocprim17ROCPRIM_400000_NS6detail17trampoline_kernelINS0_14default_configENS1_36segmented_radix_sort_config_selectorIalEEZNS1_25segmented_radix_sort_implIS3_Lb1EPKaPaPKlPlN2at6native12_GLOBAL__N_18offset_tEEE10hipError_tPvRmT1_PNSt15iterator_traitsISK_E10value_typeET2_T3_PNSL_ISQ_E10value_typeET4_jRbjT5_SW_jjP12ihipStream_tbEUlT_E2_NS1_11comp_targetILNS1_3genE9ELNS1_11target_archE1100ELNS1_3gpuE3ELNS1_3repE0EEENS1_30default_config_static_selectorELNS0_4arch9wavefront6targetE0EEEvSK_.numbered_sgpr, 0
	.set _ZN7rocprim17ROCPRIM_400000_NS6detail17trampoline_kernelINS0_14default_configENS1_36segmented_radix_sort_config_selectorIalEEZNS1_25segmented_radix_sort_implIS3_Lb1EPKaPaPKlPlN2at6native12_GLOBAL__N_18offset_tEEE10hipError_tPvRmT1_PNSt15iterator_traitsISK_E10value_typeET2_T3_PNSL_ISQ_E10value_typeET4_jRbjT5_SW_jjP12ihipStream_tbEUlT_E2_NS1_11comp_targetILNS1_3genE9ELNS1_11target_archE1100ELNS1_3gpuE3ELNS1_3repE0EEENS1_30default_config_static_selectorELNS0_4arch9wavefront6targetE0EEEvSK_.num_named_barrier, 0
	.set _ZN7rocprim17ROCPRIM_400000_NS6detail17trampoline_kernelINS0_14default_configENS1_36segmented_radix_sort_config_selectorIalEEZNS1_25segmented_radix_sort_implIS3_Lb1EPKaPaPKlPlN2at6native12_GLOBAL__N_18offset_tEEE10hipError_tPvRmT1_PNSt15iterator_traitsISK_E10value_typeET2_T3_PNSL_ISQ_E10value_typeET4_jRbjT5_SW_jjP12ihipStream_tbEUlT_E2_NS1_11comp_targetILNS1_3genE9ELNS1_11target_archE1100ELNS1_3gpuE3ELNS1_3repE0EEENS1_30default_config_static_selectorELNS0_4arch9wavefront6targetE0EEEvSK_.private_seg_size, 0
	.set _ZN7rocprim17ROCPRIM_400000_NS6detail17trampoline_kernelINS0_14default_configENS1_36segmented_radix_sort_config_selectorIalEEZNS1_25segmented_radix_sort_implIS3_Lb1EPKaPaPKlPlN2at6native12_GLOBAL__N_18offset_tEEE10hipError_tPvRmT1_PNSt15iterator_traitsISK_E10value_typeET2_T3_PNSL_ISQ_E10value_typeET4_jRbjT5_SW_jjP12ihipStream_tbEUlT_E2_NS1_11comp_targetILNS1_3genE9ELNS1_11target_archE1100ELNS1_3gpuE3ELNS1_3repE0EEENS1_30default_config_static_selectorELNS0_4arch9wavefront6targetE0EEEvSK_.uses_vcc, 0
	.set _ZN7rocprim17ROCPRIM_400000_NS6detail17trampoline_kernelINS0_14default_configENS1_36segmented_radix_sort_config_selectorIalEEZNS1_25segmented_radix_sort_implIS3_Lb1EPKaPaPKlPlN2at6native12_GLOBAL__N_18offset_tEEE10hipError_tPvRmT1_PNSt15iterator_traitsISK_E10value_typeET2_T3_PNSL_ISQ_E10value_typeET4_jRbjT5_SW_jjP12ihipStream_tbEUlT_E2_NS1_11comp_targetILNS1_3genE9ELNS1_11target_archE1100ELNS1_3gpuE3ELNS1_3repE0EEENS1_30default_config_static_selectorELNS0_4arch9wavefront6targetE0EEEvSK_.uses_flat_scratch, 0
	.set _ZN7rocprim17ROCPRIM_400000_NS6detail17trampoline_kernelINS0_14default_configENS1_36segmented_radix_sort_config_selectorIalEEZNS1_25segmented_radix_sort_implIS3_Lb1EPKaPaPKlPlN2at6native12_GLOBAL__N_18offset_tEEE10hipError_tPvRmT1_PNSt15iterator_traitsISK_E10value_typeET2_T3_PNSL_ISQ_E10value_typeET4_jRbjT5_SW_jjP12ihipStream_tbEUlT_E2_NS1_11comp_targetILNS1_3genE9ELNS1_11target_archE1100ELNS1_3gpuE3ELNS1_3repE0EEENS1_30default_config_static_selectorELNS0_4arch9wavefront6targetE0EEEvSK_.has_dyn_sized_stack, 0
	.set _ZN7rocprim17ROCPRIM_400000_NS6detail17trampoline_kernelINS0_14default_configENS1_36segmented_radix_sort_config_selectorIalEEZNS1_25segmented_radix_sort_implIS3_Lb1EPKaPaPKlPlN2at6native12_GLOBAL__N_18offset_tEEE10hipError_tPvRmT1_PNSt15iterator_traitsISK_E10value_typeET2_T3_PNSL_ISQ_E10value_typeET4_jRbjT5_SW_jjP12ihipStream_tbEUlT_E2_NS1_11comp_targetILNS1_3genE9ELNS1_11target_archE1100ELNS1_3gpuE3ELNS1_3repE0EEENS1_30default_config_static_selectorELNS0_4arch9wavefront6targetE0EEEvSK_.has_recursion, 0
	.set _ZN7rocprim17ROCPRIM_400000_NS6detail17trampoline_kernelINS0_14default_configENS1_36segmented_radix_sort_config_selectorIalEEZNS1_25segmented_radix_sort_implIS3_Lb1EPKaPaPKlPlN2at6native12_GLOBAL__N_18offset_tEEE10hipError_tPvRmT1_PNSt15iterator_traitsISK_E10value_typeET2_T3_PNSL_ISQ_E10value_typeET4_jRbjT5_SW_jjP12ihipStream_tbEUlT_E2_NS1_11comp_targetILNS1_3genE9ELNS1_11target_archE1100ELNS1_3gpuE3ELNS1_3repE0EEENS1_30default_config_static_selectorELNS0_4arch9wavefront6targetE0EEEvSK_.has_indirect_call, 0
	.section	.AMDGPU.csdata,"",@progbits
; Kernel info:
; codeLenInByte = 0
; TotalNumSgprs: 0
; NumVgprs: 0
; ScratchSize: 0
; MemoryBound: 0
; FloatMode: 240
; IeeeMode: 1
; LDSByteSize: 0 bytes/workgroup (compile time only)
; SGPRBlocks: 0
; VGPRBlocks: 0
; NumSGPRsForWavesPerEU: 1
; NumVGPRsForWavesPerEU: 1
; NamedBarCnt: 0
; Occupancy: 16
; WaveLimiterHint : 0
; COMPUTE_PGM_RSRC2:SCRATCH_EN: 0
; COMPUTE_PGM_RSRC2:USER_SGPR: 2
; COMPUTE_PGM_RSRC2:TRAP_HANDLER: 0
; COMPUTE_PGM_RSRC2:TGID_X_EN: 1
; COMPUTE_PGM_RSRC2:TGID_Y_EN: 0
; COMPUTE_PGM_RSRC2:TGID_Z_EN: 0
; COMPUTE_PGM_RSRC2:TIDIG_COMP_CNT: 0
	.section	.text._ZN7rocprim17ROCPRIM_400000_NS6detail17trampoline_kernelINS0_14default_configENS1_36segmented_radix_sort_config_selectorIalEEZNS1_25segmented_radix_sort_implIS3_Lb1EPKaPaPKlPlN2at6native12_GLOBAL__N_18offset_tEEE10hipError_tPvRmT1_PNSt15iterator_traitsISK_E10value_typeET2_T3_PNSL_ISQ_E10value_typeET4_jRbjT5_SW_jjP12ihipStream_tbEUlT_E2_NS1_11comp_targetILNS1_3genE8ELNS1_11target_archE1030ELNS1_3gpuE2ELNS1_3repE0EEENS1_30default_config_static_selectorELNS0_4arch9wavefront6targetE0EEEvSK_,"axG",@progbits,_ZN7rocprim17ROCPRIM_400000_NS6detail17trampoline_kernelINS0_14default_configENS1_36segmented_radix_sort_config_selectorIalEEZNS1_25segmented_radix_sort_implIS3_Lb1EPKaPaPKlPlN2at6native12_GLOBAL__N_18offset_tEEE10hipError_tPvRmT1_PNSt15iterator_traitsISK_E10value_typeET2_T3_PNSL_ISQ_E10value_typeET4_jRbjT5_SW_jjP12ihipStream_tbEUlT_E2_NS1_11comp_targetILNS1_3genE8ELNS1_11target_archE1030ELNS1_3gpuE2ELNS1_3repE0EEENS1_30default_config_static_selectorELNS0_4arch9wavefront6targetE0EEEvSK_,comdat
	.globl	_ZN7rocprim17ROCPRIM_400000_NS6detail17trampoline_kernelINS0_14default_configENS1_36segmented_radix_sort_config_selectorIalEEZNS1_25segmented_radix_sort_implIS3_Lb1EPKaPaPKlPlN2at6native12_GLOBAL__N_18offset_tEEE10hipError_tPvRmT1_PNSt15iterator_traitsISK_E10value_typeET2_T3_PNSL_ISQ_E10value_typeET4_jRbjT5_SW_jjP12ihipStream_tbEUlT_E2_NS1_11comp_targetILNS1_3genE8ELNS1_11target_archE1030ELNS1_3gpuE2ELNS1_3repE0EEENS1_30default_config_static_selectorELNS0_4arch9wavefront6targetE0EEEvSK_ ; -- Begin function _ZN7rocprim17ROCPRIM_400000_NS6detail17trampoline_kernelINS0_14default_configENS1_36segmented_radix_sort_config_selectorIalEEZNS1_25segmented_radix_sort_implIS3_Lb1EPKaPaPKlPlN2at6native12_GLOBAL__N_18offset_tEEE10hipError_tPvRmT1_PNSt15iterator_traitsISK_E10value_typeET2_T3_PNSL_ISQ_E10value_typeET4_jRbjT5_SW_jjP12ihipStream_tbEUlT_E2_NS1_11comp_targetILNS1_3genE8ELNS1_11target_archE1030ELNS1_3gpuE2ELNS1_3repE0EEENS1_30default_config_static_selectorELNS0_4arch9wavefront6targetE0EEEvSK_
	.p2align	8
	.type	_ZN7rocprim17ROCPRIM_400000_NS6detail17trampoline_kernelINS0_14default_configENS1_36segmented_radix_sort_config_selectorIalEEZNS1_25segmented_radix_sort_implIS3_Lb1EPKaPaPKlPlN2at6native12_GLOBAL__N_18offset_tEEE10hipError_tPvRmT1_PNSt15iterator_traitsISK_E10value_typeET2_T3_PNSL_ISQ_E10value_typeET4_jRbjT5_SW_jjP12ihipStream_tbEUlT_E2_NS1_11comp_targetILNS1_3genE8ELNS1_11target_archE1030ELNS1_3gpuE2ELNS1_3repE0EEENS1_30default_config_static_selectorELNS0_4arch9wavefront6targetE0EEEvSK_,@function
_ZN7rocprim17ROCPRIM_400000_NS6detail17trampoline_kernelINS0_14default_configENS1_36segmented_radix_sort_config_selectorIalEEZNS1_25segmented_radix_sort_implIS3_Lb1EPKaPaPKlPlN2at6native12_GLOBAL__N_18offset_tEEE10hipError_tPvRmT1_PNSt15iterator_traitsISK_E10value_typeET2_T3_PNSL_ISQ_E10value_typeET4_jRbjT5_SW_jjP12ihipStream_tbEUlT_E2_NS1_11comp_targetILNS1_3genE8ELNS1_11target_archE1030ELNS1_3gpuE2ELNS1_3repE0EEENS1_30default_config_static_selectorELNS0_4arch9wavefront6targetE0EEEvSK_: ; @_ZN7rocprim17ROCPRIM_400000_NS6detail17trampoline_kernelINS0_14default_configENS1_36segmented_radix_sort_config_selectorIalEEZNS1_25segmented_radix_sort_implIS3_Lb1EPKaPaPKlPlN2at6native12_GLOBAL__N_18offset_tEEE10hipError_tPvRmT1_PNSt15iterator_traitsISK_E10value_typeET2_T3_PNSL_ISQ_E10value_typeET4_jRbjT5_SW_jjP12ihipStream_tbEUlT_E2_NS1_11comp_targetILNS1_3genE8ELNS1_11target_archE1030ELNS1_3gpuE2ELNS1_3repE0EEENS1_30default_config_static_selectorELNS0_4arch9wavefront6targetE0EEEvSK_
; %bb.0:
	.section	.rodata,"a",@progbits
	.p2align	6, 0x0
	.amdhsa_kernel _ZN7rocprim17ROCPRIM_400000_NS6detail17trampoline_kernelINS0_14default_configENS1_36segmented_radix_sort_config_selectorIalEEZNS1_25segmented_radix_sort_implIS3_Lb1EPKaPaPKlPlN2at6native12_GLOBAL__N_18offset_tEEE10hipError_tPvRmT1_PNSt15iterator_traitsISK_E10value_typeET2_T3_PNSL_ISQ_E10value_typeET4_jRbjT5_SW_jjP12ihipStream_tbEUlT_E2_NS1_11comp_targetILNS1_3genE8ELNS1_11target_archE1030ELNS1_3gpuE2ELNS1_3repE0EEENS1_30default_config_static_selectorELNS0_4arch9wavefront6targetE0EEEvSK_
		.amdhsa_group_segment_fixed_size 0
		.amdhsa_private_segment_fixed_size 0
		.amdhsa_kernarg_size 80
		.amdhsa_user_sgpr_count 2
		.amdhsa_user_sgpr_dispatch_ptr 0
		.amdhsa_user_sgpr_queue_ptr 0
		.amdhsa_user_sgpr_kernarg_segment_ptr 1
		.amdhsa_user_sgpr_dispatch_id 0
		.amdhsa_user_sgpr_kernarg_preload_length 0
		.amdhsa_user_sgpr_kernarg_preload_offset 0
		.amdhsa_user_sgpr_private_segment_size 0
		.amdhsa_wavefront_size32 1
		.amdhsa_uses_dynamic_stack 0
		.amdhsa_enable_private_segment 0
		.amdhsa_system_sgpr_workgroup_id_x 1
		.amdhsa_system_sgpr_workgroup_id_y 0
		.amdhsa_system_sgpr_workgroup_id_z 0
		.amdhsa_system_sgpr_workgroup_info 0
		.amdhsa_system_vgpr_workitem_id 0
		.amdhsa_next_free_vgpr 1
		.amdhsa_next_free_sgpr 1
		.amdhsa_named_barrier_count 0
		.amdhsa_reserve_vcc 0
		.amdhsa_float_round_mode_32 0
		.amdhsa_float_round_mode_16_64 0
		.amdhsa_float_denorm_mode_32 3
		.amdhsa_float_denorm_mode_16_64 3
		.amdhsa_fp16_overflow 0
		.amdhsa_memory_ordered 1
		.amdhsa_forward_progress 1
		.amdhsa_inst_pref_size 0
		.amdhsa_round_robin_scheduling 0
		.amdhsa_exception_fp_ieee_invalid_op 0
		.amdhsa_exception_fp_denorm_src 0
		.amdhsa_exception_fp_ieee_div_zero 0
		.amdhsa_exception_fp_ieee_overflow 0
		.amdhsa_exception_fp_ieee_underflow 0
		.amdhsa_exception_fp_ieee_inexact 0
		.amdhsa_exception_int_div_zero 0
	.end_amdhsa_kernel
	.section	.text._ZN7rocprim17ROCPRIM_400000_NS6detail17trampoline_kernelINS0_14default_configENS1_36segmented_radix_sort_config_selectorIalEEZNS1_25segmented_radix_sort_implIS3_Lb1EPKaPaPKlPlN2at6native12_GLOBAL__N_18offset_tEEE10hipError_tPvRmT1_PNSt15iterator_traitsISK_E10value_typeET2_T3_PNSL_ISQ_E10value_typeET4_jRbjT5_SW_jjP12ihipStream_tbEUlT_E2_NS1_11comp_targetILNS1_3genE8ELNS1_11target_archE1030ELNS1_3gpuE2ELNS1_3repE0EEENS1_30default_config_static_selectorELNS0_4arch9wavefront6targetE0EEEvSK_,"axG",@progbits,_ZN7rocprim17ROCPRIM_400000_NS6detail17trampoline_kernelINS0_14default_configENS1_36segmented_radix_sort_config_selectorIalEEZNS1_25segmented_radix_sort_implIS3_Lb1EPKaPaPKlPlN2at6native12_GLOBAL__N_18offset_tEEE10hipError_tPvRmT1_PNSt15iterator_traitsISK_E10value_typeET2_T3_PNSL_ISQ_E10value_typeET4_jRbjT5_SW_jjP12ihipStream_tbEUlT_E2_NS1_11comp_targetILNS1_3genE8ELNS1_11target_archE1030ELNS1_3gpuE2ELNS1_3repE0EEENS1_30default_config_static_selectorELNS0_4arch9wavefront6targetE0EEEvSK_,comdat
.Lfunc_end325:
	.size	_ZN7rocprim17ROCPRIM_400000_NS6detail17trampoline_kernelINS0_14default_configENS1_36segmented_radix_sort_config_selectorIalEEZNS1_25segmented_radix_sort_implIS3_Lb1EPKaPaPKlPlN2at6native12_GLOBAL__N_18offset_tEEE10hipError_tPvRmT1_PNSt15iterator_traitsISK_E10value_typeET2_T3_PNSL_ISQ_E10value_typeET4_jRbjT5_SW_jjP12ihipStream_tbEUlT_E2_NS1_11comp_targetILNS1_3genE8ELNS1_11target_archE1030ELNS1_3gpuE2ELNS1_3repE0EEENS1_30default_config_static_selectorELNS0_4arch9wavefront6targetE0EEEvSK_, .Lfunc_end325-_ZN7rocprim17ROCPRIM_400000_NS6detail17trampoline_kernelINS0_14default_configENS1_36segmented_radix_sort_config_selectorIalEEZNS1_25segmented_radix_sort_implIS3_Lb1EPKaPaPKlPlN2at6native12_GLOBAL__N_18offset_tEEE10hipError_tPvRmT1_PNSt15iterator_traitsISK_E10value_typeET2_T3_PNSL_ISQ_E10value_typeET4_jRbjT5_SW_jjP12ihipStream_tbEUlT_E2_NS1_11comp_targetILNS1_3genE8ELNS1_11target_archE1030ELNS1_3gpuE2ELNS1_3repE0EEENS1_30default_config_static_selectorELNS0_4arch9wavefront6targetE0EEEvSK_
                                        ; -- End function
	.set _ZN7rocprim17ROCPRIM_400000_NS6detail17trampoline_kernelINS0_14default_configENS1_36segmented_radix_sort_config_selectorIalEEZNS1_25segmented_radix_sort_implIS3_Lb1EPKaPaPKlPlN2at6native12_GLOBAL__N_18offset_tEEE10hipError_tPvRmT1_PNSt15iterator_traitsISK_E10value_typeET2_T3_PNSL_ISQ_E10value_typeET4_jRbjT5_SW_jjP12ihipStream_tbEUlT_E2_NS1_11comp_targetILNS1_3genE8ELNS1_11target_archE1030ELNS1_3gpuE2ELNS1_3repE0EEENS1_30default_config_static_selectorELNS0_4arch9wavefront6targetE0EEEvSK_.num_vgpr, 0
	.set _ZN7rocprim17ROCPRIM_400000_NS6detail17trampoline_kernelINS0_14default_configENS1_36segmented_radix_sort_config_selectorIalEEZNS1_25segmented_radix_sort_implIS3_Lb1EPKaPaPKlPlN2at6native12_GLOBAL__N_18offset_tEEE10hipError_tPvRmT1_PNSt15iterator_traitsISK_E10value_typeET2_T3_PNSL_ISQ_E10value_typeET4_jRbjT5_SW_jjP12ihipStream_tbEUlT_E2_NS1_11comp_targetILNS1_3genE8ELNS1_11target_archE1030ELNS1_3gpuE2ELNS1_3repE0EEENS1_30default_config_static_selectorELNS0_4arch9wavefront6targetE0EEEvSK_.num_agpr, 0
	.set _ZN7rocprim17ROCPRIM_400000_NS6detail17trampoline_kernelINS0_14default_configENS1_36segmented_radix_sort_config_selectorIalEEZNS1_25segmented_radix_sort_implIS3_Lb1EPKaPaPKlPlN2at6native12_GLOBAL__N_18offset_tEEE10hipError_tPvRmT1_PNSt15iterator_traitsISK_E10value_typeET2_T3_PNSL_ISQ_E10value_typeET4_jRbjT5_SW_jjP12ihipStream_tbEUlT_E2_NS1_11comp_targetILNS1_3genE8ELNS1_11target_archE1030ELNS1_3gpuE2ELNS1_3repE0EEENS1_30default_config_static_selectorELNS0_4arch9wavefront6targetE0EEEvSK_.numbered_sgpr, 0
	.set _ZN7rocprim17ROCPRIM_400000_NS6detail17trampoline_kernelINS0_14default_configENS1_36segmented_radix_sort_config_selectorIalEEZNS1_25segmented_radix_sort_implIS3_Lb1EPKaPaPKlPlN2at6native12_GLOBAL__N_18offset_tEEE10hipError_tPvRmT1_PNSt15iterator_traitsISK_E10value_typeET2_T3_PNSL_ISQ_E10value_typeET4_jRbjT5_SW_jjP12ihipStream_tbEUlT_E2_NS1_11comp_targetILNS1_3genE8ELNS1_11target_archE1030ELNS1_3gpuE2ELNS1_3repE0EEENS1_30default_config_static_selectorELNS0_4arch9wavefront6targetE0EEEvSK_.num_named_barrier, 0
	.set _ZN7rocprim17ROCPRIM_400000_NS6detail17trampoline_kernelINS0_14default_configENS1_36segmented_radix_sort_config_selectorIalEEZNS1_25segmented_radix_sort_implIS3_Lb1EPKaPaPKlPlN2at6native12_GLOBAL__N_18offset_tEEE10hipError_tPvRmT1_PNSt15iterator_traitsISK_E10value_typeET2_T3_PNSL_ISQ_E10value_typeET4_jRbjT5_SW_jjP12ihipStream_tbEUlT_E2_NS1_11comp_targetILNS1_3genE8ELNS1_11target_archE1030ELNS1_3gpuE2ELNS1_3repE0EEENS1_30default_config_static_selectorELNS0_4arch9wavefront6targetE0EEEvSK_.private_seg_size, 0
	.set _ZN7rocprim17ROCPRIM_400000_NS6detail17trampoline_kernelINS0_14default_configENS1_36segmented_radix_sort_config_selectorIalEEZNS1_25segmented_radix_sort_implIS3_Lb1EPKaPaPKlPlN2at6native12_GLOBAL__N_18offset_tEEE10hipError_tPvRmT1_PNSt15iterator_traitsISK_E10value_typeET2_T3_PNSL_ISQ_E10value_typeET4_jRbjT5_SW_jjP12ihipStream_tbEUlT_E2_NS1_11comp_targetILNS1_3genE8ELNS1_11target_archE1030ELNS1_3gpuE2ELNS1_3repE0EEENS1_30default_config_static_selectorELNS0_4arch9wavefront6targetE0EEEvSK_.uses_vcc, 0
	.set _ZN7rocprim17ROCPRIM_400000_NS6detail17trampoline_kernelINS0_14default_configENS1_36segmented_radix_sort_config_selectorIalEEZNS1_25segmented_radix_sort_implIS3_Lb1EPKaPaPKlPlN2at6native12_GLOBAL__N_18offset_tEEE10hipError_tPvRmT1_PNSt15iterator_traitsISK_E10value_typeET2_T3_PNSL_ISQ_E10value_typeET4_jRbjT5_SW_jjP12ihipStream_tbEUlT_E2_NS1_11comp_targetILNS1_3genE8ELNS1_11target_archE1030ELNS1_3gpuE2ELNS1_3repE0EEENS1_30default_config_static_selectorELNS0_4arch9wavefront6targetE0EEEvSK_.uses_flat_scratch, 0
	.set _ZN7rocprim17ROCPRIM_400000_NS6detail17trampoline_kernelINS0_14default_configENS1_36segmented_radix_sort_config_selectorIalEEZNS1_25segmented_radix_sort_implIS3_Lb1EPKaPaPKlPlN2at6native12_GLOBAL__N_18offset_tEEE10hipError_tPvRmT1_PNSt15iterator_traitsISK_E10value_typeET2_T3_PNSL_ISQ_E10value_typeET4_jRbjT5_SW_jjP12ihipStream_tbEUlT_E2_NS1_11comp_targetILNS1_3genE8ELNS1_11target_archE1030ELNS1_3gpuE2ELNS1_3repE0EEENS1_30default_config_static_selectorELNS0_4arch9wavefront6targetE0EEEvSK_.has_dyn_sized_stack, 0
	.set _ZN7rocprim17ROCPRIM_400000_NS6detail17trampoline_kernelINS0_14default_configENS1_36segmented_radix_sort_config_selectorIalEEZNS1_25segmented_radix_sort_implIS3_Lb1EPKaPaPKlPlN2at6native12_GLOBAL__N_18offset_tEEE10hipError_tPvRmT1_PNSt15iterator_traitsISK_E10value_typeET2_T3_PNSL_ISQ_E10value_typeET4_jRbjT5_SW_jjP12ihipStream_tbEUlT_E2_NS1_11comp_targetILNS1_3genE8ELNS1_11target_archE1030ELNS1_3gpuE2ELNS1_3repE0EEENS1_30default_config_static_selectorELNS0_4arch9wavefront6targetE0EEEvSK_.has_recursion, 0
	.set _ZN7rocprim17ROCPRIM_400000_NS6detail17trampoline_kernelINS0_14default_configENS1_36segmented_radix_sort_config_selectorIalEEZNS1_25segmented_radix_sort_implIS3_Lb1EPKaPaPKlPlN2at6native12_GLOBAL__N_18offset_tEEE10hipError_tPvRmT1_PNSt15iterator_traitsISK_E10value_typeET2_T3_PNSL_ISQ_E10value_typeET4_jRbjT5_SW_jjP12ihipStream_tbEUlT_E2_NS1_11comp_targetILNS1_3genE8ELNS1_11target_archE1030ELNS1_3gpuE2ELNS1_3repE0EEENS1_30default_config_static_selectorELNS0_4arch9wavefront6targetE0EEEvSK_.has_indirect_call, 0
	.section	.AMDGPU.csdata,"",@progbits
; Kernel info:
; codeLenInByte = 0
; TotalNumSgprs: 0
; NumVgprs: 0
; ScratchSize: 0
; MemoryBound: 0
; FloatMode: 240
; IeeeMode: 1
; LDSByteSize: 0 bytes/workgroup (compile time only)
; SGPRBlocks: 0
; VGPRBlocks: 0
; NumSGPRsForWavesPerEU: 1
; NumVGPRsForWavesPerEU: 1
; NamedBarCnt: 0
; Occupancy: 16
; WaveLimiterHint : 0
; COMPUTE_PGM_RSRC2:SCRATCH_EN: 0
; COMPUTE_PGM_RSRC2:USER_SGPR: 2
; COMPUTE_PGM_RSRC2:TRAP_HANDLER: 0
; COMPUTE_PGM_RSRC2:TGID_X_EN: 1
; COMPUTE_PGM_RSRC2:TGID_Y_EN: 0
; COMPUTE_PGM_RSRC2:TGID_Z_EN: 0
; COMPUTE_PGM_RSRC2:TIDIG_COMP_CNT: 0
	.section	.text._ZN7rocprim17ROCPRIM_400000_NS6detail17trampoline_kernelINS0_13select_configILj256ELj13ELNS0_17block_load_methodE3ELS4_3ELS4_3ELNS0_20block_scan_algorithmE0ELj4294967295EEENS1_25partition_config_selectorILNS1_17partition_subalgoE4EjNS0_10empty_typeEbEEZZNS1_14partition_implILS8_4ELb0ES6_15HIP_vector_typeIjLj2EENS0_17counting_iteratorIjlEEPS9_SG_NS0_5tupleIJPjSI_NS0_16reverse_iteratorISI_EEEEENSH_IJSG_SG_SG_EEES9_SI_JZNS1_25segmented_radix_sort_implINS0_14default_configELb0EPKaPaPKlPlN2at6native12_GLOBAL__N_18offset_tEEE10hipError_tPvRmT1_PNSt15iterator_traitsIS12_E10value_typeET2_T3_PNS13_IS18_E10value_typeET4_jRbjT5_S1E_jjP12ihipStream_tbEUljE_ZNSN_ISO_Lb0ESQ_SR_ST_SU_SY_EESZ_S10_S11_S12_S16_S17_S18_S1B_S1C_jS1D_jS1E_S1E_jjS1G_bEUljE0_EEESZ_S10_S11_S18_S1C_S1E_T6_T7_T9_mT8_S1G_bDpT10_ENKUlT_T0_E_clISt17integral_constantIbLb0EES1U_EEDaS1P_S1Q_EUlS1P_E_NS1_11comp_targetILNS1_3genE0ELNS1_11target_archE4294967295ELNS1_3gpuE0ELNS1_3repE0EEENS1_30default_config_static_selectorELNS0_4arch9wavefront6targetE0EEEvS12_,"axG",@progbits,_ZN7rocprim17ROCPRIM_400000_NS6detail17trampoline_kernelINS0_13select_configILj256ELj13ELNS0_17block_load_methodE3ELS4_3ELS4_3ELNS0_20block_scan_algorithmE0ELj4294967295EEENS1_25partition_config_selectorILNS1_17partition_subalgoE4EjNS0_10empty_typeEbEEZZNS1_14partition_implILS8_4ELb0ES6_15HIP_vector_typeIjLj2EENS0_17counting_iteratorIjlEEPS9_SG_NS0_5tupleIJPjSI_NS0_16reverse_iteratorISI_EEEEENSH_IJSG_SG_SG_EEES9_SI_JZNS1_25segmented_radix_sort_implINS0_14default_configELb0EPKaPaPKlPlN2at6native12_GLOBAL__N_18offset_tEEE10hipError_tPvRmT1_PNSt15iterator_traitsIS12_E10value_typeET2_T3_PNS13_IS18_E10value_typeET4_jRbjT5_S1E_jjP12ihipStream_tbEUljE_ZNSN_ISO_Lb0ESQ_SR_ST_SU_SY_EESZ_S10_S11_S12_S16_S17_S18_S1B_S1C_jS1D_jS1E_S1E_jjS1G_bEUljE0_EEESZ_S10_S11_S18_S1C_S1E_T6_T7_T9_mT8_S1G_bDpT10_ENKUlT_T0_E_clISt17integral_constantIbLb0EES1U_EEDaS1P_S1Q_EUlS1P_E_NS1_11comp_targetILNS1_3genE0ELNS1_11target_archE4294967295ELNS1_3gpuE0ELNS1_3repE0EEENS1_30default_config_static_selectorELNS0_4arch9wavefront6targetE0EEEvS12_,comdat
	.globl	_ZN7rocprim17ROCPRIM_400000_NS6detail17trampoline_kernelINS0_13select_configILj256ELj13ELNS0_17block_load_methodE3ELS4_3ELS4_3ELNS0_20block_scan_algorithmE0ELj4294967295EEENS1_25partition_config_selectorILNS1_17partition_subalgoE4EjNS0_10empty_typeEbEEZZNS1_14partition_implILS8_4ELb0ES6_15HIP_vector_typeIjLj2EENS0_17counting_iteratorIjlEEPS9_SG_NS0_5tupleIJPjSI_NS0_16reverse_iteratorISI_EEEEENSH_IJSG_SG_SG_EEES9_SI_JZNS1_25segmented_radix_sort_implINS0_14default_configELb0EPKaPaPKlPlN2at6native12_GLOBAL__N_18offset_tEEE10hipError_tPvRmT1_PNSt15iterator_traitsIS12_E10value_typeET2_T3_PNS13_IS18_E10value_typeET4_jRbjT5_S1E_jjP12ihipStream_tbEUljE_ZNSN_ISO_Lb0ESQ_SR_ST_SU_SY_EESZ_S10_S11_S12_S16_S17_S18_S1B_S1C_jS1D_jS1E_S1E_jjS1G_bEUljE0_EEESZ_S10_S11_S18_S1C_S1E_T6_T7_T9_mT8_S1G_bDpT10_ENKUlT_T0_E_clISt17integral_constantIbLb0EES1U_EEDaS1P_S1Q_EUlS1P_E_NS1_11comp_targetILNS1_3genE0ELNS1_11target_archE4294967295ELNS1_3gpuE0ELNS1_3repE0EEENS1_30default_config_static_selectorELNS0_4arch9wavefront6targetE0EEEvS12_ ; -- Begin function _ZN7rocprim17ROCPRIM_400000_NS6detail17trampoline_kernelINS0_13select_configILj256ELj13ELNS0_17block_load_methodE3ELS4_3ELS4_3ELNS0_20block_scan_algorithmE0ELj4294967295EEENS1_25partition_config_selectorILNS1_17partition_subalgoE4EjNS0_10empty_typeEbEEZZNS1_14partition_implILS8_4ELb0ES6_15HIP_vector_typeIjLj2EENS0_17counting_iteratorIjlEEPS9_SG_NS0_5tupleIJPjSI_NS0_16reverse_iteratorISI_EEEEENSH_IJSG_SG_SG_EEES9_SI_JZNS1_25segmented_radix_sort_implINS0_14default_configELb0EPKaPaPKlPlN2at6native12_GLOBAL__N_18offset_tEEE10hipError_tPvRmT1_PNSt15iterator_traitsIS12_E10value_typeET2_T3_PNS13_IS18_E10value_typeET4_jRbjT5_S1E_jjP12ihipStream_tbEUljE_ZNSN_ISO_Lb0ESQ_SR_ST_SU_SY_EESZ_S10_S11_S12_S16_S17_S18_S1B_S1C_jS1D_jS1E_S1E_jjS1G_bEUljE0_EEESZ_S10_S11_S18_S1C_S1E_T6_T7_T9_mT8_S1G_bDpT10_ENKUlT_T0_E_clISt17integral_constantIbLb0EES1U_EEDaS1P_S1Q_EUlS1P_E_NS1_11comp_targetILNS1_3genE0ELNS1_11target_archE4294967295ELNS1_3gpuE0ELNS1_3repE0EEENS1_30default_config_static_selectorELNS0_4arch9wavefront6targetE0EEEvS12_
	.p2align	8
	.type	_ZN7rocprim17ROCPRIM_400000_NS6detail17trampoline_kernelINS0_13select_configILj256ELj13ELNS0_17block_load_methodE3ELS4_3ELS4_3ELNS0_20block_scan_algorithmE0ELj4294967295EEENS1_25partition_config_selectorILNS1_17partition_subalgoE4EjNS0_10empty_typeEbEEZZNS1_14partition_implILS8_4ELb0ES6_15HIP_vector_typeIjLj2EENS0_17counting_iteratorIjlEEPS9_SG_NS0_5tupleIJPjSI_NS0_16reverse_iteratorISI_EEEEENSH_IJSG_SG_SG_EEES9_SI_JZNS1_25segmented_radix_sort_implINS0_14default_configELb0EPKaPaPKlPlN2at6native12_GLOBAL__N_18offset_tEEE10hipError_tPvRmT1_PNSt15iterator_traitsIS12_E10value_typeET2_T3_PNS13_IS18_E10value_typeET4_jRbjT5_S1E_jjP12ihipStream_tbEUljE_ZNSN_ISO_Lb0ESQ_SR_ST_SU_SY_EESZ_S10_S11_S12_S16_S17_S18_S1B_S1C_jS1D_jS1E_S1E_jjS1G_bEUljE0_EEESZ_S10_S11_S18_S1C_S1E_T6_T7_T9_mT8_S1G_bDpT10_ENKUlT_T0_E_clISt17integral_constantIbLb0EES1U_EEDaS1P_S1Q_EUlS1P_E_NS1_11comp_targetILNS1_3genE0ELNS1_11target_archE4294967295ELNS1_3gpuE0ELNS1_3repE0EEENS1_30default_config_static_selectorELNS0_4arch9wavefront6targetE0EEEvS12_,@function
_ZN7rocprim17ROCPRIM_400000_NS6detail17trampoline_kernelINS0_13select_configILj256ELj13ELNS0_17block_load_methodE3ELS4_3ELS4_3ELNS0_20block_scan_algorithmE0ELj4294967295EEENS1_25partition_config_selectorILNS1_17partition_subalgoE4EjNS0_10empty_typeEbEEZZNS1_14partition_implILS8_4ELb0ES6_15HIP_vector_typeIjLj2EENS0_17counting_iteratorIjlEEPS9_SG_NS0_5tupleIJPjSI_NS0_16reverse_iteratorISI_EEEEENSH_IJSG_SG_SG_EEES9_SI_JZNS1_25segmented_radix_sort_implINS0_14default_configELb0EPKaPaPKlPlN2at6native12_GLOBAL__N_18offset_tEEE10hipError_tPvRmT1_PNSt15iterator_traitsIS12_E10value_typeET2_T3_PNS13_IS18_E10value_typeET4_jRbjT5_S1E_jjP12ihipStream_tbEUljE_ZNSN_ISO_Lb0ESQ_SR_ST_SU_SY_EESZ_S10_S11_S12_S16_S17_S18_S1B_S1C_jS1D_jS1E_S1E_jjS1G_bEUljE0_EEESZ_S10_S11_S18_S1C_S1E_T6_T7_T9_mT8_S1G_bDpT10_ENKUlT_T0_E_clISt17integral_constantIbLb0EES1U_EEDaS1P_S1Q_EUlS1P_E_NS1_11comp_targetILNS1_3genE0ELNS1_11target_archE4294967295ELNS1_3gpuE0ELNS1_3repE0EEENS1_30default_config_static_selectorELNS0_4arch9wavefront6targetE0EEEvS12_: ; @_ZN7rocprim17ROCPRIM_400000_NS6detail17trampoline_kernelINS0_13select_configILj256ELj13ELNS0_17block_load_methodE3ELS4_3ELS4_3ELNS0_20block_scan_algorithmE0ELj4294967295EEENS1_25partition_config_selectorILNS1_17partition_subalgoE4EjNS0_10empty_typeEbEEZZNS1_14partition_implILS8_4ELb0ES6_15HIP_vector_typeIjLj2EENS0_17counting_iteratorIjlEEPS9_SG_NS0_5tupleIJPjSI_NS0_16reverse_iteratorISI_EEEEENSH_IJSG_SG_SG_EEES9_SI_JZNS1_25segmented_radix_sort_implINS0_14default_configELb0EPKaPaPKlPlN2at6native12_GLOBAL__N_18offset_tEEE10hipError_tPvRmT1_PNSt15iterator_traitsIS12_E10value_typeET2_T3_PNS13_IS18_E10value_typeET4_jRbjT5_S1E_jjP12ihipStream_tbEUljE_ZNSN_ISO_Lb0ESQ_SR_ST_SU_SY_EESZ_S10_S11_S12_S16_S17_S18_S1B_S1C_jS1D_jS1E_S1E_jjS1G_bEUljE0_EEESZ_S10_S11_S18_S1C_S1E_T6_T7_T9_mT8_S1G_bDpT10_ENKUlT_T0_E_clISt17integral_constantIbLb0EES1U_EEDaS1P_S1Q_EUlS1P_E_NS1_11comp_targetILNS1_3genE0ELNS1_11target_archE4294967295ELNS1_3gpuE0ELNS1_3repE0EEENS1_30default_config_static_selectorELNS0_4arch9wavefront6targetE0EEEvS12_
; %bb.0:
	s_clause 0x4
	s_load_b128 s[24:27], s[0:1], 0x58
	s_load_b32 s4, s[0:1], 0x80
	s_load_b64 s[34:35], s[0:1], 0x10
	s_load_b64 s[2:3], s[0:1], 0x68
	s_load_b32 s8, s[0:1], 0x8
	s_bfe_u32 s5, ttmp6, 0x4000c
	s_and_b32 s6, ttmp6, 15
	s_add_co_i32 s5, s5, 1
	s_getreg_b32 s7, hwreg(HW_REG_IB_STS2, 6, 4)
	s_mul_i32 s5, ttmp9, s5
	s_load_b64 s[42:43], s[0:1], 0xa8
	s_add_co_i32 s6, s6, s5
	s_cmp_eq_u32 s7, 0
	s_load_b256 s[16:23], s[0:1], 0x88
	s_cselect_b32 s33, ttmp9, s6
	s_mov_b32 s5, 0
	s_mul_i32 s40, s33, 0xd00
	s_wait_kmcnt 0x0
	s_add_co_i32 s9, s4, -1
	s_mulk_i32 s4, 0xd00
	s_load_b128 s[28:31], s[26:27], 0x0
	s_cmp_eq_u32 s33, s9
	s_add_nc_u64 s[6:7], s[34:35], s[4:5]
	s_cselect_b32 s15, -1, 0
	s_cmp_lg_u32 s33, s9
	v_cmp_gt_u64_e64 s3, s[2:3], s[6:7]
	s_cselect_b32 s5, -1, 0
	s_add_co_i32 s6, s8, s40
	s_delay_alu instid0(SALU_CYCLE_1) | instskip(NEXT) | instid1(SALU_CYCLE_1)
	s_add_co_i32 s6, s6, s34
	v_add_nc_u32_e32 v1, s6, v0
	s_or_b32 s3, s5, s3
	s_mov_b32 s5, -1
	s_and_b32 vcc_lo, exec_lo, s3
	s_delay_alu instid0(VALU_DEP_1)
	v_add_nc_u32_e32 v2, 0x100, v1
	v_add_nc_u32_e32 v3, 0x200, v1
	v_add_nc_u32_e32 v4, 0x300, v1
	v_add_nc_u32_e32 v5, 0x400, v1
	v_add_nc_u32_e32 v6, 0x500, v1
	v_add_nc_u32_e32 v7, 0x600, v1
	v_add_nc_u32_e32 v8, 0x700, v1
	v_add_nc_u32_e32 v9, 0x800, v1
	v_add_nc_u32_e32 v10, 0x900, v1
	v_add_nc_u32_e32 v11, 0xa00, v1
	v_add_nc_u32_e32 v12, 0xb00, v1
	v_add_nc_u32_e32 v13, 0xc00, v1
	s_cbranch_vccz .LBB326_2
; %bb.1:
	v_lshlrev_b32_e32 v14, 2, v0
	s_mov_b32 s5, 0
	ds_store_2addr_stride64_b32 v14, v1, v2 offset1:4
	ds_store_2addr_stride64_b32 v14, v3, v4 offset0:8 offset1:12
	ds_store_2addr_stride64_b32 v14, v5, v6 offset0:16 offset1:20
	;; [unrolled: 1-line block ×5, first 2 shown]
	ds_store_b32 v14, v13 offset:12288
	s_wait_dscnt 0x0
	s_barrier_signal -1
	s_barrier_wait -1
.LBB326_2:
	s_and_not1_b32 vcc_lo, exec_lo, s5
	s_add_co_i32 s4, s4, s34
	s_cbranch_vccnz .LBB326_4
; %bb.3:
	v_lshlrev_b32_e32 v14, 2, v0
	ds_store_2addr_stride64_b32 v14, v1, v2 offset1:4
	ds_store_2addr_stride64_b32 v14, v3, v4 offset0:8 offset1:12
	ds_store_2addr_stride64_b32 v14, v5, v6 offset0:16 offset1:20
	;; [unrolled: 1-line block ×5, first 2 shown]
	ds_store_b32 v14, v13 offset:12288
	s_wait_dscnt 0x0
	s_barrier_signal -1
	s_barrier_wait -1
.LBB326_4:
	v_mul_u32_u24_e32 v30, 13, v0
	s_load_b128 s[36:39], s[0:1], 0x28
	s_wait_xcnt 0x0
	s_load_b64 s[26:27], s[0:1], 0x38
	v_cndmask_b32_e64 v29, 0, 1, s3
	s_sub_co_i32 s41, s2, s4
	v_lshlrev_b32_e32 v1, 2, v30
	s_and_not1_b32 vcc_lo, exec_lo, s3
	ds_load_b32 v28, v1 offset:48
	ds_load_2addr_b32 v[10:11], v1 offset0:10 offset1:11
	ds_load_2addr_b32 v[12:13], v1 offset0:8 offset1:9
	;; [unrolled: 1-line block ×4, first 2 shown]
	ds_load_2addr_b32 v[20:21], v1 offset1:1
	ds_load_2addr_b32 v[18:19], v1 offset0:2 offset1:3
	s_wait_dscnt 0x0
	s_barrier_signal -1
	s_barrier_wait -1
	s_cbranch_vccnz .LBB326_32
; %bb.5:
	v_dual_add_nc_u32 v1, s17, v20 :: v_dual_add_nc_u32 v2, s19, v20
	s_mov_b32 s45, 0
	s_mov_b32 s44, 0
	s_mov_b32 s3, exec_lo
	s_delay_alu instid0(VALU_DEP_1) | instskip(SKIP_1) | instid1(VALU_DEP_1)
	v_mul_lo_u32 v1, v1, s16
	v_mul_lo_u32 v2, v2, s18
	v_sub_nc_u32_e32 v1, v1, v2
	s_delay_alu instid0(VALU_DEP_1)
	v_cmp_lt_u32_e32 vcc_lo, s20, v1
	v_cmpx_ge_u32_e64 s20, v1
	s_cbranch_execz .LBB326_7
; %bb.6:
	v_dual_add_nc_u32 v1, s22, v20 :: v_dual_add_nc_u32 v2, s42, v20
	s_delay_alu instid0(VALU_DEP_1) | instskip(NEXT) | instid1(VALU_DEP_2)
	v_mul_lo_u32 v1, v1, s21
	v_mul_lo_u32 v2, v2, s23
	s_delay_alu instid0(VALU_DEP_1) | instskip(NEXT) | instid1(VALU_DEP_1)
	v_sub_nc_u32_e32 v1, v1, v2
	v_cmp_lt_u32_e64 s2, s43, v1
	s_and_b32 s44, s2, exec_lo
.LBB326_7:
	s_or_b32 exec_lo, exec_lo, s3
	v_dual_add_nc_u32 v1, s17, v21 :: v_dual_add_nc_u32 v2, s19, v21
	s_mov_b32 s4, exec_lo
	s_delay_alu instid0(VALU_DEP_1) | instskip(NEXT) | instid1(VALU_DEP_2)
	v_mul_lo_u32 v1, v1, s16
	v_mul_lo_u32 v2, v2, s18
	s_delay_alu instid0(VALU_DEP_1) | instskip(NEXT) | instid1(VALU_DEP_1)
	v_sub_nc_u32_e32 v1, v1, v2
	v_cmp_lt_u32_e64 s2, s20, v1
	v_cmpx_ge_u32_e64 s20, v1
	s_cbranch_execz .LBB326_9
; %bb.8:
	v_dual_add_nc_u32 v1, s22, v21 :: v_dual_add_nc_u32 v2, s42, v21
	s_delay_alu instid0(VALU_DEP_1) | instskip(NEXT) | instid1(VALU_DEP_2)
	v_mul_lo_u32 v1, v1, s21
	v_mul_lo_u32 v2, v2, s23
	s_delay_alu instid0(VALU_DEP_1) | instskip(NEXT) | instid1(VALU_DEP_1)
	v_sub_nc_u32_e32 v1, v1, v2
	v_cmp_lt_u32_e64 s3, s43, v1
	s_and_b32 s45, s3, exec_lo
.LBB326_9:
	s_or_b32 exec_lo, exec_lo, s4
	v_dual_add_nc_u32 v1, s17, v18 :: v_dual_add_nc_u32 v2, s19, v18
	s_mov_b32 s47, 0
	s_mov_b32 s46, 0
	s_mov_b32 s5, exec_lo
	s_delay_alu instid0(VALU_DEP_1) | instskip(SKIP_1) | instid1(VALU_DEP_1)
	v_mul_lo_u32 v1, v1, s16
	v_mul_lo_u32 v2, v2, s18
	v_sub_nc_u32_e32 v1, v1, v2
	s_delay_alu instid0(VALU_DEP_1)
	v_cmp_lt_u32_e64 s3, s20, v1
	v_cmpx_ge_u32_e64 s20, v1
	s_cbranch_execz .LBB326_11
; %bb.10:
	v_dual_add_nc_u32 v1, s22, v18 :: v_dual_add_nc_u32 v2, s42, v18
	s_delay_alu instid0(VALU_DEP_1) | instskip(NEXT) | instid1(VALU_DEP_2)
	v_mul_lo_u32 v1, v1, s21
	v_mul_lo_u32 v2, v2, s23
	s_delay_alu instid0(VALU_DEP_1) | instskip(NEXT) | instid1(VALU_DEP_1)
	v_sub_nc_u32_e32 v1, v1, v2
	v_cmp_lt_u32_e64 s4, s43, v1
	s_and_b32 s46, s4, exec_lo
.LBB326_11:
	s_or_b32 exec_lo, exec_lo, s5
	v_dual_add_nc_u32 v1, s17, v19 :: v_dual_add_nc_u32 v2, s19, v19
	s_mov_b32 s6, exec_lo
	s_delay_alu instid0(VALU_DEP_1) | instskip(NEXT) | instid1(VALU_DEP_2)
	v_mul_lo_u32 v1, v1, s16
	v_mul_lo_u32 v2, v2, s18
	s_delay_alu instid0(VALU_DEP_1) | instskip(NEXT) | instid1(VALU_DEP_1)
	v_sub_nc_u32_e32 v1, v1, v2
	v_cmp_lt_u32_e64 s4, s20, v1
	v_cmpx_ge_u32_e64 s20, v1
	s_cbranch_execz .LBB326_13
; %bb.12:
	v_dual_add_nc_u32 v1, s22, v19 :: v_dual_add_nc_u32 v2, s42, v19
	s_delay_alu instid0(VALU_DEP_1) | instskip(NEXT) | instid1(VALU_DEP_2)
	v_mul_lo_u32 v1, v1, s21
	v_mul_lo_u32 v2, v2, s23
	s_delay_alu instid0(VALU_DEP_1) | instskip(NEXT) | instid1(VALU_DEP_1)
	v_sub_nc_u32_e32 v1, v1, v2
	v_cmp_lt_u32_e64 s5, s43, v1
	s_and_b32 s47, s5, exec_lo
.LBB326_13:
	s_or_b32 exec_lo, exec_lo, s6
	v_dual_add_nc_u32 v1, s17, v16 :: v_dual_add_nc_u32 v2, s19, v16
	s_mov_b32 s49, 0
	s_mov_b32 s48, 0
	s_mov_b32 s7, exec_lo
	s_delay_alu instid0(VALU_DEP_1) | instskip(SKIP_1) | instid1(VALU_DEP_1)
	v_mul_lo_u32 v1, v1, s16
	v_mul_lo_u32 v2, v2, s18
	v_sub_nc_u32_e32 v1, v1, v2
	s_delay_alu instid0(VALU_DEP_1)
	v_cmp_lt_u32_e64 s5, s20, v1
	;; [unrolled: 44-line block ×6, first 2 shown]
	v_cmpx_ge_u32_e64 s20, v1
	s_cbranch_execz .LBB326_31
; %bb.30:
	v_dual_add_nc_u32 v1, s22, v28 :: v_dual_add_nc_u32 v2, s42, v28
	s_delay_alu instid0(VALU_DEP_1) | instskip(NEXT) | instid1(VALU_DEP_2)
	v_mul_lo_u32 v1, v1, s21
	v_mul_lo_u32 v2, v2, s23
	s_delay_alu instid0(VALU_DEP_1) | instskip(NEXT) | instid1(VALU_DEP_1)
	v_sub_nc_u32_e32 v1, v1, v2
	v_cmp_lt_u32_e64 s14, s43, v1
	s_and_b32 s57, s14, exec_lo
.LBB326_31:
	s_or_b32 exec_lo, exec_lo, s58
	v_cndmask_b32_e64 v2, 0, 1, s2
	v_cndmask_b32_e64 v4, 0, 1, s4
	v_cndmask_b32_e64 v1, 0, 1, vcc_lo
	v_cndmask_b32_e64 v3, 0, 1, s3
	v_cndmask_b32_e64 v6, 0, 1, s6
	v_lshlrev_b16 v2, 8, v2
	v_lshlrev_b16 v4, 8, v4
	v_cndmask_b32_e64 v8, 0, 1, s8
	v_cndmask_b32_e64 v22, 0, 1, s10
	;; [unrolled: 1-line block ×3, first 2 shown]
	v_or_b32_e32 v1, v1, v2
	v_or_b32_e32 v2, v3, v4
	v_cndmask_b32_e64 v4, 0, 1, s46
	v_cndmask_b32_e64 v5, 0, 1, s5
	;; [unrolled: 1-line block ×4, first 2 shown]
	v_lshlrev_b32_e32 v2, 16, v2
	v_and_b32_e32 v1, 0xffff, v1
	v_cndmask_b32_e64 v33, 0, 1, s50
	v_cndmask_b32_e64 v36, 0, 1, s48
	;; [unrolled: 1-line block ×4, first 2 shown]
	v_or_b32_e32 v31, v1, v2
	v_lshlrev_b16 v1, 8, v6
	v_lshlrev_b16 v2, 8, v8
	;; [unrolled: 1-line block ×5, first 2 shown]
	v_cndmask_b32_e64 v7, 0, 1, s7
	v_cndmask_b32_e64 v24, 0, 1, s56
	;; [unrolled: 1-line block ×6, first 2 shown]
	v_lshlrev_b16 v22, 8, v39
	v_or_b32_e32 v4, v37, v4
	v_or_b32_e32 v1, v5, v1
	;; [unrolled: 1-line block ×4, first 2 shown]
	v_lshlrev_b16 v8, 8, v36
	v_lshlrev_b16 v9, 8, v33
	v_cndmask_b32_e64 v26, 0, 1, s54
	v_cndmask_b32_e64 v32, 0, 1, s51
	v_lshlrev_b16 v23, 8, v24
	v_or_b32_e32 v3, v3, v8
	v_or_b32_e32 v8, v35, v9
	;; [unrolled: 1-line block ×4, first 2 shown]
	v_lshlrev_b16 v22, 8, v27
	v_and_b32_e32 v5, 0xffff, v5
	v_lshlrev_b32_e32 v4, 16, v4
	v_and_b32_e32 v1, 0xffff, v1
	v_and_b32_e32 v7, 0xffff, v7
	v_or_b32_e32 v9, v32, v22
	v_or_b32_e32 v22, v26, v23
	v_and_b32_e32 v3, 0xffff, v3
	v_dual_lshlrev_b32 v8, 16, v8 :: v_dual_lshlrev_b32 v2, 16, v2
	s_delay_alu instid0(VALU_DEP_4) | instskip(NEXT) | instid1(VALU_DEP_4)
	v_and_b32_e32 v9, 0xffff, v9
	v_lshlrev_b32_e32 v22, 16, v22
	v_lshlrev_b32_e32 v6, 16, v6
	v_cndmask_b32_e64 v34, 0, 1, s55
	v_cndmask_b32_e64 v38, 0, 1, s57
	v_or_b32_e32 v33, v1, v2
	v_or_b32_e32 v37, v7, v4
	;; [unrolled: 1-line block ×5, first 2 shown]
	s_load_b64 s[4:5], s[0:1], 0x78
	s_and_b32 vcc_lo, exec_lo, s52
	s_add_co_i32 s6, s41, 0xd00
	s_cbranch_vccnz .LBB326_33
	s_branch .LBB326_110
.LBB326_32:
                                        ; implicit-def: $vgpr38
                                        ; implicit-def: $vgpr34
                                        ; implicit-def: $vgpr35
                                        ; implicit-def: $vgpr32
                                        ; implicit-def: $vgpr37
                                        ; implicit-def: $vgpr36
                                        ; implicit-def: $vgpr33
                                        ; implicit-def: $vgpr31
	s_load_b64 s[4:5], s[0:1], 0x78
	s_add_co_i32 s6, s41, 0xd00
	s_cbranch_execz .LBB326_110
.LBB326_33:
	v_dual_mov_b32 v2, 0 :: v_dual_mov_b32 v1, 0
	s_wait_xcnt 0x0
	s_mov_b32 s1, exec_lo
	v_cmpx_gt_u32_e64 s6, v30
	s_cbranch_execz .LBB326_37
; %bb.34:
	v_dual_add_nc_u32 v1, s17, v20 :: v_dual_add_nc_u32 v2, s19, v20
	s_mov_b32 s3, 0
	s_mov_b32 s2, exec_lo
	s_delay_alu instid0(VALU_DEP_1) | instskip(NEXT) | instid1(VALU_DEP_2)
	v_mul_lo_u32 v1, v1, s16
	v_mul_lo_u32 v2, v2, s18
	s_delay_alu instid0(VALU_DEP_1) | instskip(NEXT) | instid1(VALU_DEP_1)
	v_sub_nc_u32_e32 v1, v1, v2
	v_cmp_lt_u32_e32 vcc_lo, s20, v1
	v_cmpx_ge_u32_e64 s20, v1
	s_cbranch_execz .LBB326_36
; %bb.35:
	v_dual_add_nc_u32 v1, s22, v20 :: v_dual_add_nc_u32 v2, s42, v20
	s_delay_alu instid0(VALU_DEP_1) | instskip(NEXT) | instid1(VALU_DEP_2)
	v_mul_lo_u32 v1, v1, s21
	v_mul_lo_u32 v2, v2, s23
	s_delay_alu instid0(VALU_DEP_1) | instskip(NEXT) | instid1(VALU_DEP_1)
	v_sub_nc_u32_e32 v1, v1, v2
	v_cmp_lt_u32_e64 s0, s43, v1
	s_and_b32 s3, s0, exec_lo
.LBB326_36:
	s_or_b32 exec_lo, exec_lo, s2
	v_cndmask_b32_e64 v2, 0, 1, s3
	v_cndmask_b32_e64 v1, 0, 1, vcc_lo
.LBB326_37:
	s_or_b32 exec_lo, exec_lo, s1
	s_delay_alu instid0(VALU_DEP_2) | instskip(SKIP_2) | instid1(VALU_DEP_3)
	v_lshlrev_b16 v2, 8, v2
	v_add_nc_u32_e32 v3, 1, v30
	v_lshlrev_b16 v9, 8, 0
                                        ; implicit-def: $vgpr5
                                        ; implicit-def: $vgpr7
                                        ; implicit-def: $vgpr4
                                        ; implicit-def: $vgpr8
	v_and_b32_e32 v6, 0xffff, v2
	s_delay_alu instid0(VALU_DEP_3) | instskip(NEXT) | instid1(VALU_DEP_2)
	v_cmp_le_u32_e32 vcc_lo, s6, v3
                                        ; implicit-def: $vgpr3
                                        ; implicit-def: $vgpr2
	v_lshrrev_b32_e32 v22, 8, v6
	s_and_saveexec_b32 s0, vcc_lo
	s_delay_alu instid0(SALU_CYCLE_1)
	s_xor_b32 s0, exec_lo, s0
	s_cbranch_execz .LBB326_39
; %bb.38:
	s_delay_alu instid0(VALU_DEP_1) | instskip(SKIP_3) | instid1(VALU_DEP_4)
	v_lshlrev_b16 v2, 8, v22
	v_bitop3_b16 v3, 0, v9, 0xff bitop3:0xec
	v_and_b32_e32 v8, 0xff, v1
                                        ; implicit-def: $vgpr1
                                        ; implicit-def: $vgpr9
                                        ; implicit-def: $vgpr22
	v_mov_b32_e32 v5, 0
	v_bitop3_b16 v6, v6, v2, 0xff bitop3:0xec
	v_mov_b32_e32 v2, 0
	v_and_b32_e32 v4, 0xffff, v3
	v_and_b32_e32 v3, 0xffff, v3
	s_delay_alu instid0(VALU_DEP_4)
	v_and_b32_e32 v7, 0xffff, v6
                                        ; implicit-def: $vgpr6
.LBB326_39:
	s_and_not1_saveexec_b32 s1, s0
	s_cbranch_execz .LBB326_43
; %bb.40:
	v_dual_add_nc_u32 v2, s17, v21 :: v_dual_add_nc_u32 v3, s19, v21
	s_mov_b32 s2, 0
	s_mov_b32 s3, exec_lo
	s_delay_alu instid0(VALU_DEP_1) | instskip(NEXT) | instid1(VALU_DEP_2)
	v_mul_lo_u32 v2, v2, s16
	v_mul_lo_u32 v3, v3, s18
	s_delay_alu instid0(VALU_DEP_1) | instskip(NEXT) | instid1(VALU_DEP_1)
	v_sub_nc_u32_e32 v2, v2, v3
	v_cmp_lt_u32_e32 vcc_lo, s20, v2
	v_cmpx_ge_u32_e64 s20, v2
	s_cbranch_execz .LBB326_42
; %bb.41:
	v_dual_add_nc_u32 v2, s22, v21 :: v_dual_add_nc_u32 v3, s42, v21
	s_delay_alu instid0(VALU_DEP_1) | instskip(NEXT) | instid1(VALU_DEP_2)
	v_mul_lo_u32 v2, v2, s21
	v_mul_lo_u32 v3, v3, s23
	s_delay_alu instid0(VALU_DEP_1) | instskip(NEXT) | instid1(VALU_DEP_1)
	v_sub_nc_u32_e32 v2, v2, v3
	v_cmp_lt_u32_e64 s0, s43, v2
	s_and_b32 s2, s0, exec_lo
.LBB326_42:
	s_or_b32 exec_lo, exec_lo, s3
	v_cndmask_b32_e64 v2, 0, 1, vcc_lo
	v_lshlrev_b16 v3, 8, v22
	v_cndmask_b32_e64 v7, 0, 1, s2
	v_mov_b32_e32 v5, 0
	s_delay_alu instid0(VALU_DEP_4) | instskip(NEXT) | instid1(VALU_DEP_4)
	v_lshlrev_b16 v2, 8, v2
	v_bitop3_b16 v3, v6, v3, 0xff bitop3:0xec
	v_bitop3_b16 v6, 0, v9, 0xff bitop3:0xec
	s_delay_alu instid0(VALU_DEP_3) | instskip(NEXT) | instid1(VALU_DEP_3)
	v_bitop3_b16 v1, v1, v2, 0xff bitop3:0xec
	v_and_b32_e32 v3, 0xffff, v3
	v_mov_b32_e32 v2, 0
	s_delay_alu instid0(VALU_DEP_4) | instskip(NEXT) | instid1(VALU_DEP_4)
	v_and_b32_e32 v4, 0xffff, v6
	v_and_b32_e32 v8, 0xffff, v1
	s_delay_alu instid0(VALU_DEP_4)
	v_lshl_or_b32 v7, v7, 16, v3
	v_and_b32_e32 v3, 0xffff, v6
.LBB326_43:
	s_or_b32 exec_lo, exec_lo, s1
	s_delay_alu instid0(VALU_DEP_3) | instskip(NEXT) | instid1(VALU_DEP_1)
	v_dual_add_nc_u32 v1, 2, v30 :: v_dual_lshrrev_b32 v9, 8, v8
                                        ; implicit-def: $vgpr6
	v_cmp_le_u32_e32 vcc_lo, s6, v1
                                        ; implicit-def: $vgpr1
	s_and_saveexec_b32 s0, vcc_lo
	s_delay_alu instid0(SALU_CYCLE_1)
	s_xor_b32 s0, exec_lo, s0
	s_cbranch_execz .LBB326_45
; %bb.44:
	v_lshlrev_b16 v1, 8, v9
	v_and_b32_e32 v9, 0xff0000, v7
	v_perm_b32 v4, v4, v4, 0x3060504
	s_delay_alu instid0(VALU_DEP_3) | instskip(NEXT) | instid1(VALU_DEP_1)
	v_bitop3_b16 v1, v8, v1, 0xff bitop3:0xec
	v_and_b32_e32 v1, 0xffff, v1
	s_delay_alu instid0(VALU_DEP_1)
	v_and_or_b32 v6, 0xff000000, v8, v1
	v_perm_b32 v1, v7, v9, 0x3020504
                                        ; implicit-def: $vgpr9
                                        ; implicit-def: $vgpr8
                                        ; implicit-def: $vgpr7
.LBB326_45:
	s_and_not1_saveexec_b32 s1, s0
	s_cbranch_execz .LBB326_49
; %bb.46:
	v_dual_add_nc_u32 v1, s17, v18 :: v_dual_add_nc_u32 v6, s19, v18
	s_mov_b32 s2, 0
	s_mov_b32 s3, exec_lo
	s_delay_alu instid0(VALU_DEP_1) | instskip(NEXT) | instid1(VALU_DEP_2)
	v_mul_lo_u32 v1, v1, s16
	v_mul_lo_u32 v6, v6, s18
	s_delay_alu instid0(VALU_DEP_1) | instskip(NEXT) | instid1(VALU_DEP_1)
	v_sub_nc_u32_e32 v1, v1, v6
	v_cmp_lt_u32_e32 vcc_lo, s20, v1
	v_cmpx_ge_u32_e64 s20, v1
	s_cbranch_execz .LBB326_48
; %bb.47:
	v_dual_add_nc_u32 v1, s22, v18 :: v_dual_add_nc_u32 v6, s42, v18
	s_delay_alu instid0(VALU_DEP_1) | instskip(NEXT) | instid1(VALU_DEP_2)
	v_mul_lo_u32 v1, v1, s21
	v_mul_lo_u32 v6, v6, s23
	s_delay_alu instid0(VALU_DEP_1) | instskip(NEXT) | instid1(VALU_DEP_1)
	v_sub_nc_u32_e32 v1, v1, v6
	v_cmp_lt_u32_e64 s0, s43, v1
	s_and_b32 s2, s0, exec_lo
.LBB326_48:
	s_or_b32 exec_lo, exec_lo, s3
	v_dual_lshrrev_b32 v1, 24, v8 :: v_dual_lshrrev_b32 v23, 8, v7
	v_cndmask_b32_e64 v6, 0, 1, s2
	v_cndmask_b32_e64 v22, 0, 1, vcc_lo
	v_lshlrev_b16 v9, 8, v9
	s_delay_alu instid0(VALU_DEP_4)
	v_lshlrev_b16 v1, 8, v1
	v_lshrrev_b32_e32 v24, 16, v7
	v_lshlrev_b16 v6, 8, v6
	v_lshlrev_b16 v23, 8, v23
	v_bitop3_b16 v8, v8, v9, 0xff bitop3:0xec
	v_or_b32_e32 v1, v22, v1
	s_delay_alu instid0(VALU_DEP_4) | instskip(NEXT) | instid1(VALU_DEP_4)
	v_bitop3_b16 v6, v24, v6, 0xff bitop3:0xec
	v_bitop3_b16 v7, v7, v23, 0xff bitop3:0xec
	s_delay_alu instid0(VALU_DEP_4) | instskip(NEXT) | instid1(VALU_DEP_3)
	v_and_b32_e32 v8, 0xffff, v8
	v_dual_lshlrev_b32 v1, 16, v1 :: v_dual_lshlrev_b32 v9, 16, v6
	s_delay_alu instid0(VALU_DEP_3) | instskip(NEXT) | instid1(VALU_DEP_2)
	v_and_b32_e32 v7, 0xffff, v7
	v_or_b32_e32 v6, v8, v1
	s_delay_alu instid0(VALU_DEP_2)
	v_or_b32_e32 v1, v7, v9
.LBB326_49:
	s_or_b32 exec_lo, exec_lo, s1
	v_dual_add_nc_u32 v8, 3, v30 :: v_dual_lshrrev_b32 v9, 24, v5
	v_lshrrev_b32_e32 v7, 16, v5
                                        ; implicit-def: $vgpr31
	s_delay_alu instid0(VALU_DEP_2) | instskip(SKIP_2) | instid1(SALU_CYCLE_1)
	v_cmp_le_u32_e32 vcc_lo, s6, v8
	v_lshrrev_b32_e32 v8, 8, v5
                                        ; implicit-def: $vgpr5
	s_and_saveexec_b32 s0, vcc_lo
	s_xor_b32 s0, exec_lo, s0
	s_cbranch_execz .LBB326_51
; %bb.50:
	v_lshlrev_b16 v5, 8, v9
	v_lshlrev_b16 v8, 8, v8
	v_perm_b32 v4, v4, v4, 0x3060504
	v_perm_b32 v3, v3, v3, 0x3060504
                                        ; implicit-def: $vgpr9
	s_delay_alu instid0(VALU_DEP_4) | instskip(SKIP_2) | instid1(VALU_DEP_3)
	v_bitop3_b16 v5, v7, v5, 0xff bitop3:0xec
	v_and_b32_e32 v7, 0xff0000, v6
	v_and_b32_e32 v8, 0xffff, v8
	v_lshlrev_b32_e32 v5, 16, v5
	s_delay_alu instid0(VALU_DEP_3) | instskip(NEXT) | instid1(VALU_DEP_2)
	v_perm_b32 v31, v6, v7, 0x3020504
                                        ; implicit-def: $vgpr6
                                        ; implicit-def: $vgpr7
	v_or_b32_e32 v5, v8, v5
                                        ; implicit-def: $vgpr8
.LBB326_51:
	s_and_not1_saveexec_b32 s1, s0
	s_cbranch_execz .LBB326_55
; %bb.52:
	v_dual_add_nc_u32 v5, s17, v19 :: v_dual_add_nc_u32 v22, s19, v19
	s_mov_b32 s2, 0
	s_mov_b32 s3, exec_lo
	s_delay_alu instid0(VALU_DEP_1) | instskip(NEXT) | instid1(VALU_DEP_2)
	v_mul_lo_u32 v5, v5, s16
	v_mul_lo_u32 v22, v22, s18
	s_delay_alu instid0(VALU_DEP_1) | instskip(NEXT) | instid1(VALU_DEP_1)
	v_sub_nc_u32_e32 v5, v5, v22
	v_cmp_lt_u32_e32 vcc_lo, s20, v5
	v_cmpx_ge_u32_e64 s20, v5
	s_cbranch_execz .LBB326_54
; %bb.53:
	v_dual_add_nc_u32 v5, s22, v19 :: v_dual_add_nc_u32 v22, s42, v19
	s_delay_alu instid0(VALU_DEP_1) | instskip(NEXT) | instid1(VALU_DEP_2)
	v_mul_lo_u32 v5, v5, s21
	v_mul_lo_u32 v22, v22, s23
	s_delay_alu instid0(VALU_DEP_1) | instskip(NEXT) | instid1(VALU_DEP_1)
	v_sub_nc_u32_e32 v5, v5, v22
	v_cmp_lt_u32_e64 s0, s43, v5
	s_and_b32 s2, s0, exec_lo
.LBB326_54:
	s_or_b32 exec_lo, exec_lo, s3
	v_cndmask_b32_e64 v5, 0, 1, vcc_lo
	v_dual_lshrrev_b32 v22, 8, v6 :: v_dual_lshrrev_b32 v24, 16, v6
	v_cndmask_b32_e64 v23, 0, 1, s2
	v_lshlrev_b16 v9, 8, v9
	s_delay_alu instid0(VALU_DEP_4) | instskip(NEXT) | instid1(VALU_DEP_4)
	v_lshlrev_b16 v5, 8, v5
	v_lshlrev_b16 v22, 8, v22
	;; [unrolled: 1-line block ×3, first 2 shown]
	s_delay_alu instid0(VALU_DEP_4) | instskip(NEXT) | instid1(VALU_DEP_4)
	v_bitop3_b16 v7, v7, v9, 0xff bitop3:0xec
	v_bitop3_b16 v5, v24, v5, 0xff bitop3:0xec
	s_delay_alu instid0(VALU_DEP_4) | instskip(NEXT) | instid1(VALU_DEP_3)
	v_bitop3_b16 v6, v6, v22, 0xff bitop3:0xec
	v_dual_lshlrev_b32 v7, 16, v7 :: v_dual_bitop2_b32 v8, v23, v8 bitop3:0x54
	s_delay_alu instid0(VALU_DEP_3) | instskip(NEXT) | instid1(VALU_DEP_3)
	v_lshlrev_b32_e32 v5, 16, v5
	v_and_b32_e32 v6, 0xffff, v6
	s_delay_alu instid0(VALU_DEP_3) | instskip(NEXT) | instid1(VALU_DEP_2)
	v_and_b32_e32 v8, 0xffff, v8
	v_or_b32_e32 v31, v6, v5
	s_delay_alu instid0(VALU_DEP_2)
	v_or_b32_e32 v5, v8, v7
.LBB326_55:
	s_or_b32 exec_lo, exec_lo, s1
	v_dual_add_nc_u32 v6, 4, v30 :: v_dual_lshrrev_b32 v22, 8, v4
	v_dual_lshrrev_b32 v7, 16, v4 :: v_dual_lshrrev_b32 v23, 24, v4
	s_delay_alu instid0(VALU_DEP_3) | instskip(NEXT) | instid1(VALU_DEP_3)
	v_dual_lshrrev_b32 v9, 24, v5 :: v_dual_lshrrev_b32 v8, 16, v5
	v_cmp_le_u32_e32 vcc_lo, s6, v6
                                        ; implicit-def: $vgpr4
                                        ; implicit-def: $vgpr6
	s_and_saveexec_b32 s0, vcc_lo
	s_delay_alu instid0(SALU_CYCLE_1)
	s_xor_b32 s0, exec_lo, s0
	s_cbranch_execz .LBB326_57
; %bb.56:
	v_lshlrev_b16 v4, 8, v23
	v_lshlrev_b16 v6, 8, v22
	;; [unrolled: 1-line block ×3, first 2 shown]
	v_perm_b32 v3, v3, v3, 0x3060504
                                        ; implicit-def: $vgpr22
                                        ; implicit-def: $vgpr23
	s_delay_alu instid0(VALU_DEP_4) | instskip(NEXT) | instid1(VALU_DEP_4)
	v_bitop3_b16 v4, v7, v4, 0xff bitop3:0xec
	v_and_b32_e32 v6, 0xffff, v6
	s_delay_alu instid0(VALU_DEP_4) | instskip(NEXT) | instid1(VALU_DEP_3)
	v_bitop3_b16 v7, v8, v9, 0xff bitop3:0xec
                                        ; implicit-def: $vgpr9
	v_lshlrev_b32_e32 v8, 16, v4
	s_delay_alu instid0(VALU_DEP_2) | instskip(NEXT) | instid1(VALU_DEP_2)
	v_perm_b32 v4, v7, v5, 0x5040c00
                                        ; implicit-def: $vgpr5
                                        ; implicit-def: $vgpr7
	v_or_b32_e32 v6, v6, v8
                                        ; implicit-def: $vgpr8
.LBB326_57:
	s_and_not1_saveexec_b32 s1, s0
	s_cbranch_execz .LBB326_61
; %bb.58:
	v_dual_add_nc_u32 v4, s17, v16 :: v_dual_add_nc_u32 v6, s19, v16
	s_mov_b32 s2, 0
	s_mov_b32 s3, exec_lo
	s_delay_alu instid0(VALU_DEP_1) | instskip(NEXT) | instid1(VALU_DEP_2)
	v_mul_lo_u32 v4, v4, s16
	v_mul_lo_u32 v6, v6, s18
	s_delay_alu instid0(VALU_DEP_1) | instskip(NEXT) | instid1(VALU_DEP_1)
	v_sub_nc_u32_e32 v4, v4, v6
	v_cmp_lt_u32_e32 vcc_lo, s20, v4
	v_cmpx_ge_u32_e64 s20, v4
	s_cbranch_execz .LBB326_60
; %bb.59:
	v_dual_add_nc_u32 v4, s22, v16 :: v_dual_add_nc_u32 v6, s42, v16
	s_delay_alu instid0(VALU_DEP_1) | instskip(NEXT) | instid1(VALU_DEP_2)
	v_mul_lo_u32 v4, v4, s21
	v_mul_lo_u32 v6, v6, s23
	s_delay_alu instid0(VALU_DEP_1) | instskip(NEXT) | instid1(VALU_DEP_1)
	v_sub_nc_u32_e32 v4, v4, v6
	v_cmp_lt_u32_e64 s0, s43, v4
	s_and_b32 s2, s0, exec_lo
.LBB326_60:
	s_or_b32 exec_lo, exec_lo, s3
	v_cndmask_b32_e64 v4, 0, 1, s2
	v_cndmask_b32_e64 v6, 0, 1, vcc_lo
	v_lshlrev_b16 v23, 8, v23
	v_lshlrev_b16 v22, 8, v22
	;; [unrolled: 1-line block ×4, first 2 shown]
	s_delay_alu instid0(VALU_DEP_4) | instskip(NEXT) | instid1(VALU_DEP_4)
	v_bitop3_b16 v7, v7, v23, 0xff bitop3:0xec
	v_or_b32_e32 v6, v6, v22
	s_delay_alu instid0(VALU_DEP_4) | instskip(NEXT) | instid1(VALU_DEP_4)
	v_bitop3_b16 v8, v8, v9, 0xff bitop3:0xec
	v_bitop3_b16 v4, v5, v4, 0xff bitop3:0xec
	s_delay_alu instid0(VALU_DEP_4) | instskip(NEXT) | instid1(VALU_DEP_4)
	v_lshlrev_b32_e32 v5, 16, v7
	v_and_b32_e32 v6, 0xffff, v6
	s_delay_alu instid0(VALU_DEP_4) | instskip(NEXT) | instid1(VALU_DEP_4)
	v_lshlrev_b32_e32 v7, 16, v8
	v_and_b32_e32 v4, 0xffff, v4
	s_delay_alu instid0(VALU_DEP_3) | instskip(NEXT) | instid1(VALU_DEP_2)
	v_or_b32_e32 v6, v6, v5
	v_or_b32_e32 v4, v4, v7
.LBB326_61:
	s_or_b32 exec_lo, exec_lo, s1
	s_delay_alu instid0(VALU_DEP_1) | instskip(NEXT) | instid1(VALU_DEP_2)
	v_dual_add_nc_u32 v5, 5, v30 :: v_dual_lshrrev_b32 v22, 8, v4
	v_dual_lshrrev_b32 v8, 16, v6 :: v_dual_lshrrev_b32 v9, 24, v6
                                        ; implicit-def: $vgpr7
	s_delay_alu instid0(VALU_DEP_2) | instskip(SKIP_1) | instid1(SALU_CYCLE_1)
	v_cmp_le_u32_e32 vcc_lo, s6, v5
                                        ; implicit-def: $vgpr5
	s_and_saveexec_b32 s0, vcc_lo
	s_xor_b32 s0, exec_lo, s0
	s_cbranch_execz .LBB326_63
; %bb.62:
	v_lshlrev_b16 v5, 8, v22
	v_lshlrev_b16 v7, 8, v9
	v_perm_b32 v3, v3, v3, 0x3060504
                                        ; implicit-def: $vgpr9
                                        ; implicit-def: $vgpr22
	s_delay_alu instid0(VALU_DEP_3) | instskip(NEXT) | instid1(VALU_DEP_3)
	v_bitop3_b16 v5, v4, v5, 0xff bitop3:0xec
	v_bitop3_b16 v7, v8, v7, 0xff bitop3:0xec
                                        ; implicit-def: $vgpr8
	s_delay_alu instid0(VALU_DEP_2) | instskip(NEXT) | instid1(VALU_DEP_2)
	v_and_b32_e32 v5, 0xffff, v5
	v_perm_b32 v7, v7, v6, 0x5040c00
                                        ; implicit-def: $vgpr6
	s_delay_alu instid0(VALU_DEP_2)
	v_and_or_b32 v5, 0xff000000, v4, v5
                                        ; implicit-def: $vgpr4
.LBB326_63:
	s_and_not1_saveexec_b32 s1, s0
	s_cbranch_execz .LBB326_67
; %bb.64:
	v_dual_add_nc_u32 v5, s17, v17 :: v_dual_add_nc_u32 v7, s19, v17
	s_mov_b32 s2, 0
	s_mov_b32 s3, exec_lo
	s_delay_alu instid0(VALU_DEP_1) | instskip(NEXT) | instid1(VALU_DEP_2)
	v_mul_lo_u32 v5, v5, s16
	v_mul_lo_u32 v7, v7, s18
	s_delay_alu instid0(VALU_DEP_1) | instskip(NEXT) | instid1(VALU_DEP_1)
	v_sub_nc_u32_e32 v5, v5, v7
	v_cmp_lt_u32_e32 vcc_lo, s20, v5
	v_cmpx_ge_u32_e64 s20, v5
	s_cbranch_execz .LBB326_66
; %bb.65:
	v_dual_add_nc_u32 v5, s22, v17 :: v_dual_add_nc_u32 v7, s42, v17
	s_delay_alu instid0(VALU_DEP_1) | instskip(NEXT) | instid1(VALU_DEP_2)
	v_mul_lo_u32 v5, v5, s21
	v_mul_lo_u32 v7, v7, s23
	s_delay_alu instid0(VALU_DEP_1) | instskip(NEXT) | instid1(VALU_DEP_1)
	v_sub_nc_u32_e32 v5, v5, v7
	v_cmp_lt_u32_e64 s0, s43, v5
	s_and_b32 s2, s0, exec_lo
.LBB326_66:
	s_or_b32 exec_lo, exec_lo, s3
	v_cndmask_b32_e64 v5, 0, 1, vcc_lo
	v_lshrrev_b32_e32 v7, 24, v4
	v_cndmask_b32_e64 v23, 0, 1, s2
	v_lshlrev_b16 v9, 8, v9
	v_lshlrev_b16 v22, 8, v22
	;; [unrolled: 1-line block ×4, first 2 shown]
	s_delay_alu instid0(VALU_DEP_4) | instskip(NEXT) | instid1(VALU_DEP_4)
	v_bitop3_b16 v8, v8, v9, 0xff bitop3:0xec
	v_bitop3_b16 v4, v4, v22, 0xff bitop3:0xec
	s_delay_alu instid0(VALU_DEP_4) | instskip(NEXT) | instid1(VALU_DEP_3)
	v_bitop3_b16 v5, v6, v5, 0xff bitop3:0xec
	v_dual_lshlrev_b32 v7, 16, v8 :: v_dual_bitop2_b32 v6, v23, v7 bitop3:0x54
	s_delay_alu instid0(VALU_DEP_3) | instskip(NEXT) | instid1(VALU_DEP_3)
	v_and_b32_e32 v4, 0xffff, v4
	v_and_b32_e32 v5, 0xffff, v5
	s_delay_alu instid0(VALU_DEP_1) | instskip(NEXT) | instid1(VALU_DEP_1)
	v_dual_lshlrev_b32 v6, 16, v6 :: v_dual_bitop2_b32 v7, v5, v7 bitop3:0x54
	v_or_b32_e32 v5, v4, v6
.LBB326_67:
	s_or_b32 exec_lo, exec_lo, s1
	s_delay_alu instid0(VALU_DEP_2) | instskip(NEXT) | instid1(VALU_DEP_1)
	v_dual_add_nc_u32 v4, 6, v30 :: v_dual_lshrrev_b32 v6, 8, v7
                                        ; implicit-def: $vgpr32
	v_cmp_le_u32_e32 vcc_lo, s6, v4
                                        ; implicit-def: $vgpr4
	s_and_saveexec_b32 s0, vcc_lo
	s_delay_alu instid0(SALU_CYCLE_1)
	s_xor_b32 s0, exec_lo, s0
	s_cbranch_execz .LBB326_69
; %bb.68:
	v_lshlrev_b16 v4, 8, v6
	v_and_b32_e32 v6, 0xff0000, v5
	v_perm_b32 v3, v3, v3, 0x3060504
	s_delay_alu instid0(VALU_DEP_3) | instskip(NEXT) | instid1(VALU_DEP_3)
	v_bitop3_b16 v4, v7, v4, 0xff bitop3:0xec
	v_perm_b32 v32, v5, v6, 0x3020504
                                        ; implicit-def: $vgpr6
                                        ; implicit-def: $vgpr5
	s_delay_alu instid0(VALU_DEP_2) | instskip(NEXT) | instid1(VALU_DEP_1)
	v_and_b32_e32 v4, 0xffff, v4
	v_and_or_b32 v4, 0xff000000, v7, v4
                                        ; implicit-def: $vgpr7
.LBB326_69:
	s_and_not1_saveexec_b32 s1, s0
	s_cbranch_execz .LBB326_73
; %bb.70:
	v_dual_add_nc_u32 v4, s17, v14 :: v_dual_add_nc_u32 v8, s19, v14
	s_mov_b32 s2, 0
	s_mov_b32 s3, exec_lo
	s_delay_alu instid0(VALU_DEP_1) | instskip(NEXT) | instid1(VALU_DEP_2)
	v_mul_lo_u32 v4, v4, s16
	v_mul_lo_u32 v8, v8, s18
	s_delay_alu instid0(VALU_DEP_1) | instskip(NEXT) | instid1(VALU_DEP_1)
	v_sub_nc_u32_e32 v4, v4, v8
	v_cmp_lt_u32_e32 vcc_lo, s20, v4
	v_cmpx_ge_u32_e64 s20, v4
	s_cbranch_execz .LBB326_72
; %bb.71:
	v_dual_add_nc_u32 v4, s22, v14 :: v_dual_add_nc_u32 v8, s42, v14
	s_delay_alu instid0(VALU_DEP_1) | instskip(NEXT) | instid1(VALU_DEP_2)
	v_mul_lo_u32 v4, v4, s21
	v_mul_lo_u32 v8, v8, s23
	s_delay_alu instid0(VALU_DEP_1) | instskip(NEXT) | instid1(VALU_DEP_1)
	v_sub_nc_u32_e32 v4, v4, v8
	v_cmp_lt_u32_e64 s0, s43, v4
	s_and_b32 s2, s0, exec_lo
.LBB326_72:
	s_or_b32 exec_lo, exec_lo, s3
	v_dual_lshrrev_b32 v4, 24, v7 :: v_dual_lshrrev_b32 v22, 8, v5
	v_cndmask_b32_e64 v8, 0, 1, s2
	v_cndmask_b32_e64 v9, 0, 1, vcc_lo
	v_lshlrev_b16 v6, 8, v6
	s_delay_alu instid0(VALU_DEP_4)
	v_lshlrev_b16 v4, 8, v4
	v_lshrrev_b32_e32 v23, 16, v5
	v_lshlrev_b16 v8, 8, v8
	v_lshlrev_b16 v22, 8, v22
	v_bitop3_b16 v6, v7, v6, 0xff bitop3:0xec
	v_or_b32_e32 v4, v9, v4
	s_delay_alu instid0(VALU_DEP_4) | instskip(NEXT) | instid1(VALU_DEP_4)
	v_bitop3_b16 v7, v23, v8, 0xff bitop3:0xec
	v_bitop3_b16 v5, v5, v22, 0xff bitop3:0xec
	s_delay_alu instid0(VALU_DEP_4) | instskip(NEXT) | instid1(VALU_DEP_3)
	v_and_b32_e32 v6, 0xffff, v6
	v_dual_lshlrev_b32 v4, 16, v4 :: v_dual_lshlrev_b32 v7, 16, v7
	s_delay_alu instid0(VALU_DEP_3) | instskip(NEXT) | instid1(VALU_DEP_2)
	v_and_b32_e32 v5, 0xffff, v5
	v_or_b32_e32 v4, v6, v4
	s_delay_alu instid0(VALU_DEP_2)
	v_or_b32_e32 v32, v5, v7
.LBB326_73:
	s_or_b32 exec_lo, exec_lo, s1
	v_dual_add_nc_u32 v7, 7, v30 :: v_dual_lshrrev_b32 v5, 8, v3
	v_lshrrev_b32_e32 v6, 16, v3
                                        ; implicit-def: $vgpr33
	s_delay_alu instid0(VALU_DEP_2) | instskip(SKIP_2) | instid1(SALU_CYCLE_1)
	v_cmp_le_u32_e32 vcc_lo, s6, v7
	v_lshrrev_b32_e32 v7, 24, v3
                                        ; implicit-def: $vgpr3
	s_and_saveexec_b32 s0, vcc_lo
	s_xor_b32 s0, exec_lo, s0
	s_cbranch_execz .LBB326_75
; %bb.74:
	s_delay_alu instid0(VALU_DEP_1) | instskip(SKIP_1) | instid1(VALU_DEP_2)
	v_lshlrev_b16 v3, 8, v7
	v_lshlrev_b16 v5, 8, v5
                                        ; implicit-def: $vgpr7
	v_bitop3_b16 v3, v6, v3, 0xff bitop3:0xec
	v_and_b32_e32 v6, 0xff0000, v4
	s_delay_alu instid0(VALU_DEP_3) | instskip(NEXT) | instid1(VALU_DEP_3)
	v_and_b32_e32 v5, 0xffff, v5
	v_lshlrev_b32_e32 v3, 16, v3
	s_delay_alu instid0(VALU_DEP_3) | instskip(NEXT) | instid1(VALU_DEP_2)
	v_perm_b32 v33, v4, v6, 0x3020504
                                        ; implicit-def: $vgpr4
                                        ; implicit-def: $vgpr6
	v_or_b32_e32 v3, v5, v3
                                        ; implicit-def: $vgpr5
.LBB326_75:
	s_and_not1_saveexec_b32 s1, s0
	s_cbranch_execz .LBB326_79
; %bb.76:
	v_dual_add_nc_u32 v3, s17, v15 :: v_dual_add_nc_u32 v8, s19, v15
	s_mov_b32 s2, 0
	s_mov_b32 s3, exec_lo
	s_delay_alu instid0(VALU_DEP_1) | instskip(NEXT) | instid1(VALU_DEP_2)
	v_mul_lo_u32 v3, v3, s16
	v_mul_lo_u32 v8, v8, s18
	s_delay_alu instid0(VALU_DEP_1) | instskip(NEXT) | instid1(VALU_DEP_1)
	v_sub_nc_u32_e32 v3, v3, v8
	v_cmp_lt_u32_e32 vcc_lo, s20, v3
	v_cmpx_ge_u32_e64 s20, v3
	s_cbranch_execz .LBB326_78
; %bb.77:
	v_dual_add_nc_u32 v3, s22, v15 :: v_dual_add_nc_u32 v8, s42, v15
	s_delay_alu instid0(VALU_DEP_1) | instskip(NEXT) | instid1(VALU_DEP_2)
	v_mul_lo_u32 v3, v3, s21
	v_mul_lo_u32 v8, v8, s23
	s_delay_alu instid0(VALU_DEP_1) | instskip(NEXT) | instid1(VALU_DEP_1)
	v_sub_nc_u32_e32 v3, v3, v8
	v_cmp_lt_u32_e64 s0, s43, v3
	s_and_b32 s2, s0, exec_lo
.LBB326_78:
	s_or_b32 exec_lo, exec_lo, s3
	v_cndmask_b32_e64 v3, 0, 1, vcc_lo
	v_dual_lshrrev_b32 v8, 8, v4 :: v_dual_lshrrev_b32 v22, 16, v4
	v_cndmask_b32_e64 v9, 0, 1, s2
	v_lshlrev_b16 v7, 8, v7
	s_delay_alu instid0(VALU_DEP_4) | instskip(NEXT) | instid1(VALU_DEP_4)
	v_lshlrev_b16 v3, 8, v3
	v_lshlrev_b16 v8, 8, v8
	;; [unrolled: 1-line block ×3, first 2 shown]
	s_delay_alu instid0(VALU_DEP_4) | instskip(NEXT) | instid1(VALU_DEP_4)
	v_bitop3_b16 v6, v6, v7, 0xff bitop3:0xec
	v_bitop3_b16 v3, v22, v3, 0xff bitop3:0xec
	s_delay_alu instid0(VALU_DEP_4) | instskip(NEXT) | instid1(VALU_DEP_3)
	v_bitop3_b16 v4, v4, v8, 0xff bitop3:0xec
	v_dual_lshlrev_b32 v6, 16, v6 :: v_dual_bitop2_b32 v5, v9, v5 bitop3:0x54
	s_delay_alu instid0(VALU_DEP_3) | instskip(NEXT) | instid1(VALU_DEP_3)
	v_lshlrev_b32_e32 v3, 16, v3
	v_and_b32_e32 v4, 0xffff, v4
	s_delay_alu instid0(VALU_DEP_3) | instskip(NEXT) | instid1(VALU_DEP_2)
	v_and_b32_e32 v5, 0xffff, v5
	v_or_b32_e32 v33, v4, v3
	s_delay_alu instid0(VALU_DEP_2)
	v_or_b32_e32 v3, v5, v6
.LBB326_79:
	s_or_b32 exec_lo, exec_lo, s1
	s_delay_alu instid0(VALU_DEP_1) | instskip(SKIP_2) | instid1(VALU_DEP_3)
	v_dual_add_nc_u32 v4, 8, v30 :: v_dual_lshrrev_b32 v5, 16, v3
	v_dual_lshrrev_b32 v6, 24, v3 :: v_dual_lshrrev_b32 v9, 24, v2
	v_dual_lshrrev_b32 v7, 16, v2 :: v_dual_lshrrev_b32 v8, 8, v2
	v_cmp_le_u32_e32 vcc_lo, s6, v4
                                        ; implicit-def: $vgpr2
                                        ; implicit-def: $vgpr4
	s_and_saveexec_b32 s0, vcc_lo
	s_delay_alu instid0(SALU_CYCLE_1)
	s_xor_b32 s0, exec_lo, s0
	s_cbranch_execz .LBB326_81
; %bb.80:
	v_lshlrev_b16 v2, 8, v9
	v_lshlrev_b16 v4, 8, v8
	;; [unrolled: 1-line block ×3, first 2 shown]
	v_perm_b32 v1, v1, v1, 0x3060504
                                        ; implicit-def: $vgpr9
                                        ; implicit-def: $vgpr8
	s_delay_alu instid0(VALU_DEP_4) | instskip(NEXT) | instid1(VALU_DEP_4)
	v_bitop3_b16 v2, v7, v2, 0xff bitop3:0xec
	v_and_b32_e32 v4, 0xffff, v4
	s_delay_alu instid0(VALU_DEP_4) | instskip(NEXT) | instid1(VALU_DEP_3)
	v_bitop3_b16 v5, v5, v6, 0xff bitop3:0xec
                                        ; implicit-def: $vgpr6
                                        ; implicit-def: $vgpr7
	v_lshlrev_b32_e32 v2, 16, v2
	s_delay_alu instid0(VALU_DEP_1) | instskip(NEXT) | instid1(VALU_DEP_3)
	v_or_b32_e32 v4, v4, v2
	v_perm_b32 v2, v5, v3, 0x5040c00
                                        ; implicit-def: $vgpr3
                                        ; implicit-def: $vgpr5
.LBB326_81:
	s_and_not1_saveexec_b32 s1, s0
	s_cbranch_execz .LBB326_85
; %bb.82:
	v_dual_add_nc_u32 v2, s17, v12 :: v_dual_add_nc_u32 v4, s19, v12
	s_mov_b32 s2, 0
	s_mov_b32 s3, exec_lo
	s_delay_alu instid0(VALU_DEP_1) | instskip(NEXT) | instid1(VALU_DEP_2)
	v_mul_lo_u32 v2, v2, s16
	v_mul_lo_u32 v4, v4, s18
	s_delay_alu instid0(VALU_DEP_1) | instskip(NEXT) | instid1(VALU_DEP_1)
	v_sub_nc_u32_e32 v2, v2, v4
	v_cmp_lt_u32_e32 vcc_lo, s20, v2
	v_cmpx_ge_u32_e64 s20, v2
	s_cbranch_execz .LBB326_84
; %bb.83:
	v_dual_add_nc_u32 v2, s22, v12 :: v_dual_add_nc_u32 v4, s42, v12
	s_delay_alu instid0(VALU_DEP_1) | instskip(NEXT) | instid1(VALU_DEP_2)
	v_mul_lo_u32 v2, v2, s21
	v_mul_lo_u32 v4, v4, s23
	s_delay_alu instid0(VALU_DEP_1) | instskip(NEXT) | instid1(VALU_DEP_1)
	v_sub_nc_u32_e32 v2, v2, v4
	v_cmp_lt_u32_e64 s0, s43, v2
	s_and_b32 s2, s0, exec_lo
.LBB326_84:
	s_or_b32 exec_lo, exec_lo, s3
	v_cndmask_b32_e64 v2, 0, 1, s2
	v_cndmask_b32_e64 v4, 0, 1, vcc_lo
	v_lshlrev_b16 v9, 8, v9
	v_lshlrev_b16 v8, 8, v8
	v_lshlrev_b16 v6, 8, v6
	v_lshlrev_b16 v2, 8, v2
	s_delay_alu instid0(VALU_DEP_4) | instskip(NEXT) | instid1(VALU_DEP_4)
	v_bitop3_b16 v7, v7, v9, 0xff bitop3:0xec
	v_or_b32_e32 v4, v4, v8
	s_delay_alu instid0(VALU_DEP_4) | instskip(NEXT) | instid1(VALU_DEP_4)
	v_bitop3_b16 v5, v5, v6, 0xff bitop3:0xec
	v_bitop3_b16 v2, v3, v2, 0xff bitop3:0xec
	s_delay_alu instid0(VALU_DEP_4) | instskip(NEXT) | instid1(VALU_DEP_4)
	v_lshlrev_b32_e32 v3, 16, v7
	v_and_b32_e32 v4, 0xffff, v4
	s_delay_alu instid0(VALU_DEP_4) | instskip(NEXT) | instid1(VALU_DEP_4)
	v_lshlrev_b32_e32 v5, 16, v5
	v_and_b32_e32 v2, 0xffff, v2
	s_delay_alu instid0(VALU_DEP_3) | instskip(NEXT) | instid1(VALU_DEP_2)
	v_or_b32_e32 v4, v4, v3
	v_or_b32_e32 v2, v2, v5
.LBB326_85:
	s_or_b32 exec_lo, exec_lo, s1
	s_delay_alu instid0(VALU_DEP_2) | instskip(NEXT) | instid1(VALU_DEP_2)
	v_dual_add_nc_u32 v3, 9, v30 :: v_dual_lshrrev_b32 v8, 24, v4
	v_dual_lshrrev_b32 v7, 8, v2 :: v_dual_lshrrev_b32 v6, 16, v4
                                        ; implicit-def: $vgpr5
	s_delay_alu instid0(VALU_DEP_2) | instskip(SKIP_1) | instid1(SALU_CYCLE_1)
	v_cmp_le_u32_e32 vcc_lo, s6, v3
                                        ; implicit-def: $vgpr3
	s_and_saveexec_b32 s0, vcc_lo
	s_xor_b32 s0, exec_lo, s0
	s_cbranch_execz .LBB326_87
; %bb.86:
	v_lshlrev_b16 v3, 8, v7
	v_lshlrev_b16 v5, 8, v8
	v_perm_b32 v1, v1, v1, 0x3060504
                                        ; implicit-def: $vgpr7
                                        ; implicit-def: $vgpr8
	s_delay_alu instid0(VALU_DEP_3) | instskip(NEXT) | instid1(VALU_DEP_3)
	v_bitop3_b16 v3, v2, v3, 0xff bitop3:0xec
	v_bitop3_b16 v5, v6, v5, 0xff bitop3:0xec
                                        ; implicit-def: $vgpr6
	s_delay_alu instid0(VALU_DEP_2) | instskip(NEXT) | instid1(VALU_DEP_2)
	v_and_b32_e32 v3, 0xffff, v3
	v_perm_b32 v5, v5, v4, 0x5040c00
                                        ; implicit-def: $vgpr4
	s_delay_alu instid0(VALU_DEP_2)
	v_and_or_b32 v3, 0xff000000, v2, v3
                                        ; implicit-def: $vgpr2
.LBB326_87:
	s_and_not1_saveexec_b32 s1, s0
	s_cbranch_execz .LBB326_91
; %bb.88:
	v_dual_add_nc_u32 v3, s17, v13 :: v_dual_add_nc_u32 v5, s19, v13
	s_mov_b32 s2, 0
	s_mov_b32 s3, exec_lo
	s_delay_alu instid0(VALU_DEP_1) | instskip(NEXT) | instid1(VALU_DEP_2)
	v_mul_lo_u32 v3, v3, s16
	v_mul_lo_u32 v5, v5, s18
	s_delay_alu instid0(VALU_DEP_1) | instskip(NEXT) | instid1(VALU_DEP_1)
	v_sub_nc_u32_e32 v3, v3, v5
	v_cmp_lt_u32_e32 vcc_lo, s20, v3
	v_cmpx_ge_u32_e64 s20, v3
	s_cbranch_execz .LBB326_90
; %bb.89:
	v_dual_add_nc_u32 v3, s22, v13 :: v_dual_add_nc_u32 v5, s42, v13
	s_delay_alu instid0(VALU_DEP_1) | instskip(NEXT) | instid1(VALU_DEP_2)
	v_mul_lo_u32 v3, v3, s21
	v_mul_lo_u32 v5, v5, s23
	s_delay_alu instid0(VALU_DEP_1) | instskip(NEXT) | instid1(VALU_DEP_1)
	v_sub_nc_u32_e32 v3, v3, v5
	v_cmp_lt_u32_e64 s0, s43, v3
	s_and_b32 s2, s0, exec_lo
.LBB326_90:
	s_or_b32 exec_lo, exec_lo, s3
	v_cndmask_b32_e64 v3, 0, 1, vcc_lo
	v_lshrrev_b32_e32 v5, 24, v2
	v_cndmask_b32_e64 v9, 0, 1, s2
	v_lshlrev_b16 v8, 8, v8
	v_lshlrev_b16 v7, 8, v7
	v_lshlrev_b16 v3, 8, v3
	v_lshlrev_b16 v5, 8, v5
	s_delay_alu instid0(VALU_DEP_4) | instskip(NEXT) | instid1(VALU_DEP_4)
	v_bitop3_b16 v6, v6, v8, 0xff bitop3:0xec
	v_bitop3_b16 v2, v2, v7, 0xff bitop3:0xec
	s_delay_alu instid0(VALU_DEP_4) | instskip(NEXT) | instid1(VALU_DEP_3)
	v_bitop3_b16 v3, v4, v3, 0xff bitop3:0xec
	v_dual_lshlrev_b32 v5, 16, v6 :: v_dual_bitop2_b32 v4, v9, v5 bitop3:0x54
	s_delay_alu instid0(VALU_DEP_3) | instskip(NEXT) | instid1(VALU_DEP_3)
	v_and_b32_e32 v2, 0xffff, v2
	v_and_b32_e32 v3, 0xffff, v3
	s_delay_alu instid0(VALU_DEP_1) | instskip(NEXT) | instid1(VALU_DEP_1)
	v_dual_lshlrev_b32 v4, 16, v4 :: v_dual_bitop2_b32 v5, v3, v5 bitop3:0x54
	v_or_b32_e32 v3, v2, v4
.LBB326_91:
	s_or_b32 exec_lo, exec_lo, s1
	s_delay_alu instid0(VALU_DEP_2) | instskip(NEXT) | instid1(VALU_DEP_1)
	v_dual_add_nc_u32 v2, 10, v30 :: v_dual_lshrrev_b32 v4, 8, v5
                                        ; implicit-def: $vgpr35
	v_cmp_le_u32_e32 vcc_lo, s6, v2
                                        ; implicit-def: $vgpr2
	s_and_saveexec_b32 s0, vcc_lo
	s_delay_alu instid0(SALU_CYCLE_1)
	s_xor_b32 s0, exec_lo, s0
	s_cbranch_execz .LBB326_93
; %bb.92:
	v_lshlrev_b16 v2, 8, v4
	v_and_b32_e32 v4, 0xff0000, v3
	v_perm_b32 v1, v1, v1, 0x3060504
	s_delay_alu instid0(VALU_DEP_3) | instskip(NEXT) | instid1(VALU_DEP_3)
	v_bitop3_b16 v2, v5, v2, 0xff bitop3:0xec
	v_perm_b32 v35, v3, v4, 0x3020504
                                        ; implicit-def: $vgpr4
                                        ; implicit-def: $vgpr3
	s_delay_alu instid0(VALU_DEP_2) | instskip(NEXT) | instid1(VALU_DEP_1)
	v_and_b32_e32 v2, 0xffff, v2
	v_and_or_b32 v2, 0xff000000, v5, v2
                                        ; implicit-def: $vgpr5
.LBB326_93:
	s_and_not1_saveexec_b32 s1, s0
	s_cbranch_execz .LBB326_97
; %bb.94:
	v_dual_add_nc_u32 v2, s17, v10 :: v_dual_add_nc_u32 v6, s19, v10
	s_mov_b32 s2, 0
	s_mov_b32 s3, exec_lo
	s_delay_alu instid0(VALU_DEP_1) | instskip(NEXT) | instid1(VALU_DEP_2)
	v_mul_lo_u32 v2, v2, s16
	v_mul_lo_u32 v6, v6, s18
	s_delay_alu instid0(VALU_DEP_1) | instskip(NEXT) | instid1(VALU_DEP_1)
	v_sub_nc_u32_e32 v2, v2, v6
	v_cmp_lt_u32_e32 vcc_lo, s20, v2
	v_cmpx_ge_u32_e64 s20, v2
	s_cbranch_execz .LBB326_96
; %bb.95:
	v_dual_add_nc_u32 v2, s22, v10 :: v_dual_add_nc_u32 v6, s42, v10
	s_delay_alu instid0(VALU_DEP_1) | instskip(NEXT) | instid1(VALU_DEP_2)
	v_mul_lo_u32 v2, v2, s21
	v_mul_lo_u32 v6, v6, s23
	s_delay_alu instid0(VALU_DEP_1) | instskip(NEXT) | instid1(VALU_DEP_1)
	v_sub_nc_u32_e32 v2, v2, v6
	v_cmp_lt_u32_e64 s0, s43, v2
	s_and_b32 s2, s0, exec_lo
.LBB326_96:
	s_or_b32 exec_lo, exec_lo, s3
	v_dual_lshrrev_b32 v2, 24, v5 :: v_dual_lshrrev_b32 v8, 8, v3
	v_cndmask_b32_e64 v6, 0, 1, s2
	v_cndmask_b32_e64 v7, 0, 1, vcc_lo
	v_lshlrev_b16 v4, 8, v4
	s_delay_alu instid0(VALU_DEP_4)
	v_lshlrev_b16 v2, 8, v2
	v_lshrrev_b32_e32 v9, 16, v3
	v_lshlrev_b16 v6, 8, v6
	v_lshlrev_b16 v8, 8, v8
	v_bitop3_b16 v4, v5, v4, 0xff bitop3:0xec
	v_or_b32_e32 v2, v7, v2
	s_delay_alu instid0(VALU_DEP_4) | instskip(NEXT) | instid1(VALU_DEP_4)
	v_bitop3_b16 v5, v9, v6, 0xff bitop3:0xec
	v_bitop3_b16 v3, v3, v8, 0xff bitop3:0xec
	s_delay_alu instid0(VALU_DEP_4) | instskip(NEXT) | instid1(VALU_DEP_3)
	v_and_b32_e32 v4, 0xffff, v4
	v_dual_lshlrev_b32 v2, 16, v2 :: v_dual_lshlrev_b32 v5, 16, v5
	s_delay_alu instid0(VALU_DEP_3) | instskip(NEXT) | instid1(VALU_DEP_2)
	v_and_b32_e32 v3, 0xffff, v3
	v_or_b32_e32 v2, v4, v2
	s_delay_alu instid0(VALU_DEP_2)
	v_or_b32_e32 v35, v3, v5
.LBB326_97:
	s_or_b32 exec_lo, exec_lo, s1
	v_dual_mov_b32 v34, 0 :: v_dual_add_nc_u32 v3, 11, v30
	s_mov_b32 s0, exec_lo
                                        ; implicit-def: $vgpr36
	s_delay_alu instid0(VALU_DEP_1)
	v_cmpx_le_u32_e64 s6, v3
	s_xor_b32 s0, exec_lo, s0
; %bb.98:
	v_and_b32_e32 v3, 0xff0000, v2
	v_perm_b32 v1, v1, v1, 0x3060504
	s_delay_alu instid0(VALU_DEP_2)
	v_perm_b32 v36, v2, v3, 0x3020504
                                        ; implicit-def: $vgpr2
; %bb.99:
	s_and_not1_saveexec_b32 s1, s0
	s_cbranch_execz .LBB326_103
; %bb.100:
	v_dual_add_nc_u32 v3, s17, v11 :: v_dual_add_nc_u32 v4, s19, v11
	s_mov_b32 s2, 0
	s_mov_b32 s3, exec_lo
	s_delay_alu instid0(VALU_DEP_1) | instskip(NEXT) | instid1(VALU_DEP_2)
	v_mul_lo_u32 v3, v3, s16
	v_mul_lo_u32 v4, v4, s18
	s_delay_alu instid0(VALU_DEP_1) | instskip(NEXT) | instid1(VALU_DEP_1)
	v_sub_nc_u32_e32 v3, v3, v4
	v_cmp_lt_u32_e32 vcc_lo, s20, v3
	v_cmpx_ge_u32_e64 s20, v3
	s_cbranch_execz .LBB326_102
; %bb.101:
	v_dual_add_nc_u32 v3, s22, v11 :: v_dual_add_nc_u32 v4, s42, v11
	s_delay_alu instid0(VALU_DEP_1) | instskip(NEXT) | instid1(VALU_DEP_2)
	v_mul_lo_u32 v3, v3, s21
	v_mul_lo_u32 v4, v4, s23
	s_delay_alu instid0(VALU_DEP_1) | instskip(NEXT) | instid1(VALU_DEP_1)
	v_sub_nc_u32_e32 v3, v3, v4
	v_cmp_lt_u32_e64 s0, s43, v3
	s_and_b32 s2, s0, exec_lo
.LBB326_102:
	s_or_b32 exec_lo, exec_lo, s3
	v_cndmask_b32_e64 v3, 0, 1, vcc_lo
	v_dual_lshrrev_b32 v4, 8, v2 :: v_dual_lshrrev_b32 v5, 16, v2
	v_cndmask_b32_e64 v34, 0, 1, s2
	s_delay_alu instid0(VALU_DEP_3) | instskip(NEXT) | instid1(VALU_DEP_3)
	v_lshlrev_b16 v3, 8, v3
	v_lshlrev_b16 v4, 8, v4
	s_delay_alu instid0(VALU_DEP_2) | instskip(NEXT) | instid1(VALU_DEP_2)
	v_bitop3_b16 v3, v5, v3, 0xff bitop3:0xec
	v_bitop3_b16 v2, v2, v4, 0xff bitop3:0xec
	s_delay_alu instid0(VALU_DEP_2) | instskip(NEXT) | instid1(VALU_DEP_2)
	v_lshlrev_b32_e32 v3, 16, v3
	v_and_b32_e32 v2, 0xffff, v2
	s_delay_alu instid0(VALU_DEP_1)
	v_or_b32_e32 v36, v2, v3
.LBB326_103:
	s_or_b32 exec_lo, exec_lo, s1
	v_dual_add_nc_u32 v4, 12, v30 :: v_dual_lshrrev_b32 v2, 8, v1
	v_dual_lshrrev_b32 v3, 16, v1 :: v_dual_lshrrev_b32 v1, 24, v1
	s_mov_b32 s0, exec_lo
                                        ; implicit-def: $vgpr37
	s_delay_alu instid0(VALU_DEP_2)
	v_cmpx_le_u32_e64 s6, v4
	s_xor_b32 s0, exec_lo, s0
; %bb.104:
	s_delay_alu instid0(VALU_DEP_2) | instskip(SKIP_1) | instid1(VALU_DEP_2)
	v_lshlrev_b16 v1, 8, v1
	v_lshlrev_b16 v2, 8, v2
	v_bitop3_b16 v1, v3, v1, 0xff bitop3:0xec
	s_delay_alu instid0(VALU_DEP_2) | instskip(NEXT) | instid1(VALU_DEP_2)
	v_and_b32_e32 v2, 0xffff, v2
                                        ; implicit-def: $vgpr3
	v_lshlrev_b32_e32 v1, 16, v1
	s_delay_alu instid0(VALU_DEP_1)
	v_or_b32_e32 v37, v2, v1
                                        ; implicit-def: $vgpr1
                                        ; implicit-def: $vgpr2
; %bb.105:
	s_or_saveexec_b32 s1, s0
	v_mov_b32_e32 v38, 0
	s_xor_b32 exec_lo, exec_lo, s1
	s_cbranch_execz .LBB326_109
; %bb.106:
	v_dual_add_nc_u32 v4, s19, v28 :: v_dual_add_nc_u32 v5, s17, v28
	s_mov_b32 s2, 0
	s_mov_b32 s3, exec_lo
	s_delay_alu instid0(VALU_DEP_1) | instskip(NEXT) | instid1(VALU_DEP_2)
	v_mul_lo_u32 v4, v4, s18
	v_mul_lo_u32 v5, v5, s16
	s_delay_alu instid0(VALU_DEP_1) | instskip(NEXT) | instid1(VALU_DEP_1)
	v_sub_nc_u32_e32 v4, v5, v4
	v_cmp_lt_u32_e32 vcc_lo, s20, v4
	v_cmpx_ge_u32_e64 s20, v4
	s_cbranch_execz .LBB326_108
; %bb.107:
	v_dual_add_nc_u32 v4, s42, v28 :: v_dual_add_nc_u32 v5, s22, v28
	s_delay_alu instid0(VALU_DEP_1) | instskip(NEXT) | instid1(VALU_DEP_2)
	v_mul_lo_u32 v4, v4, s23
	v_mul_lo_u32 v5, v5, s21
	s_delay_alu instid0(VALU_DEP_1) | instskip(NEXT) | instid1(VALU_DEP_1)
	v_sub_nc_u32_e32 v4, v5, v4
	v_cmp_lt_u32_e64 s0, s43, v4
	s_and_b32 s2, s0, exec_lo
.LBB326_108:
	s_or_b32 exec_lo, exec_lo, s3
	v_cndmask_b32_e64 v4, 0, 1, vcc_lo
	v_lshlrev_b16 v1, 8, v1
	v_lshlrev_b16 v2, 8, v2
	v_cndmask_b32_e64 v38, 0, 1, s2
	s_delay_alu instid0(VALU_DEP_3) | instskip(NEXT) | instid1(VALU_DEP_1)
	v_bitop3_b16 v1, v3, v1, 0xff bitop3:0xec
	v_dual_lshlrev_b32 v1, 16, v1 :: v_dual_bitop2_b32 v2, v4, v2 bitop3:0x54
	s_delay_alu instid0(VALU_DEP_1) | instskip(NEXT) | instid1(VALU_DEP_1)
	v_and_b32_e32 v2, 0xffff, v2
	v_or_b32_e32 v37, v2, v1
.LBB326_109:
	s_or_b32 exec_lo, exec_lo, s1
.LBB326_110:
	v_and_b32_e32 v61, 0xff, v31
	s_delay_alu instid0(VALU_DEP_2)
	v_bfe_u32 v62, v37, 8, 8
	v_bfe_u32 v59, v31, 8, 8
	;; [unrolled: 1-line block ×4, first 2 shown]
	v_dual_lshrrev_b32 v44, 24, v37 :: v_dual_lshrrev_b32 v43, 24, v31
	v_and_b32_e32 v57, 0xff, v32
	v_and_b32_e32 v55, 0xff, v33
	v_bfe_u32 v56, v32, 8, 8
	v_add3_u32 v1, v59, v61, v58
	v_add3_u32 v2, v60, v62, v44
	v_bfe_u32 v53, v33, 8, 8
	v_bfe_u32 v54, v32, 16, 8
	;; [unrolled: 1-line block ×3, first 2 shown]
	v_dual_lshrrev_b32 v42, 24, v32 :: v_dual_lshrrev_b32 v41, 24, v33
	v_add3_u32 v1, v1, v43, v55
	v_add3_u32 v2, v2, v57, v56
	v_and_b32_e32 v52, 0xff, v35
	v_and_b32_e32 v48, 0xff, v36
	v_bfe_u32 v50, v35, 8, 8
	v_add3_u32 v1, v1, v53, v51
	v_add3_u32 v2, v2, v54, v42
	v_bfe_u32 v47, v36, 8, 8
	v_bfe_u32 v49, v35, 16, 8
	;; [unrolled: 1-line block ×3, first 2 shown]
	v_dual_lshrrev_b32 v40, 24, v35 :: v_dual_lshrrev_b32 v39, 24, v36
	v_add3_u32 v1, v1, v41, v48
	v_add3_u32 v2, v2, v52, v50
	v_mbcnt_lo_u32_b32 v63, -1, 0
	v_and_b32_e32 v45, 0xff, v34
	v_and_b32_e32 v3, 0xff, v37
	;; [unrolled: 1-line block ×3, first 2 shown]
	v_add3_u32 v1, v1, v47, v46
	v_add3_u32 v2, v2, v49, v40
	v_dual_lshrrev_b32 v64, 5, v0 :: v_dual_bitop2_b32 v65, 15, v63 bitop3:0x40
	v_and_b32_e32 v67, 16, v63
	s_delay_alu instid0(VALU_DEP_4) | instskip(NEXT) | instid1(VALU_DEP_4)
	v_add3_u32 v68, v1, v39, v3
	v_add3_u32 v69, v2, v45, v4
	s_wait_xcnt 0x0
	v_cmp_eq_u32_e64 s1, 0, v65
	v_cmp_lt_u32_e64 s0, 1, v65
	v_cmp_lt_u32_e64 s2, 3, v65
	v_or_b32_e32 v66, 31, v0
	s_cmp_lg_u32 s33, 0
	s_mov_b32 s3, -1
	v_cmp_lt_u32_e32 vcc_lo, 7, v65
	s_cbranch_scc0 .LBB326_131
; %bb.111:
	v_mov_b32_dpp v1, v69 row_shr:1 row_mask:0xf bank_mask:0xf
	v_mov_b32_dpp v2, v68 row_shr:1 row_mask:0xf bank_mask:0xf
	s_mov_b32 s3, exec_lo
	s_delay_alu instid0(VALU_DEP_1) | instskip(NEXT) | instid1(VALU_DEP_1)
	v_dual_add_nc_u32 v1, v1, v69 :: v_dual_add_nc_u32 v2, v2, v68
	v_dual_cndmask_b32 v1, v1, v69, s1 :: v_dual_cndmask_b32 v2, v2, v68, s1
	s_delay_alu instid0(VALU_DEP_1) | instskip(NEXT) | instid1(VALU_DEP_2)
	v_mov_b32_dpp v3, v1 row_shr:2 row_mask:0xf bank_mask:0xf
	v_mov_b32_dpp v4, v2 row_shr:2 row_mask:0xf bank_mask:0xf
	s_delay_alu instid0(VALU_DEP_1) | instskip(NEXT) | instid1(VALU_DEP_1)
	v_dual_add_nc_u32 v3, v1, v3 :: v_dual_add_nc_u32 v4, v2, v4
	v_dual_cndmask_b32 v1, v1, v3, s0 :: v_dual_cndmask_b32 v2, v2, v4, s0
	s_delay_alu instid0(VALU_DEP_1) | instskip(NEXT) | instid1(VALU_DEP_2)
	v_mov_b32_dpp v3, v1 row_shr:4 row_mask:0xf bank_mask:0xf
	v_mov_b32_dpp v4, v2 row_shr:4 row_mask:0xf bank_mask:0xf
	s_delay_alu instid0(VALU_DEP_1) | instskip(NEXT) | instid1(VALU_DEP_1)
	v_dual_add_nc_u32 v3, v1, v3 :: v_dual_add_nc_u32 v4, v2, v4
	v_dual_cndmask_b32 v1, v1, v3, s2 :: v_dual_cndmask_b32 v2, v2, v4, s2
	s_delay_alu instid0(VALU_DEP_1) | instskip(NEXT) | instid1(VALU_DEP_2)
	v_mov_b32_dpp v3, v1 row_shr:8 row_mask:0xf bank_mask:0xf
	v_mov_b32_dpp v4, v2 row_shr:8 row_mask:0xf bank_mask:0xf
	s_delay_alu instid0(VALU_DEP_1) | instskip(NEXT) | instid1(VALU_DEP_1)
	v_dual_add_nc_u32 v3, v1, v3 :: v_dual_add_nc_u32 v4, v2, v4
	v_dual_cndmask_b32 v1, v1, v3 :: v_dual_cndmask_b32 v2, v2, v4
	v_cmp_eq_u32_e32 vcc_lo, 0, v67
	ds_swizzle_b32 v3, v1 offset:swizzle(BROADCAST,32,15)
	ds_swizzle_b32 v4, v2 offset:swizzle(BROADCAST,32,15)
	s_wait_dscnt 0x0
	v_dual_add_nc_u32 v3, v1, v3 :: v_dual_add_nc_u32 v4, v2, v4
	v_cmpx_eq_u32_e64 v0, v66
; %bb.112:
	s_delay_alu instid0(VALU_DEP_2) | instskip(NEXT) | instid1(VALU_DEP_3)
	v_dual_lshlrev_b32 v5, 3, v64 :: v_dual_cndmask_b32 v7, v3, v1, vcc_lo
	v_cndmask_b32_e32 v6, v4, v2, vcc_lo
	ds_store_b64 v5, v[6:7]
; %bb.113:
	s_or_b32 exec_lo, exec_lo, s3
	s_delay_alu instid0(SALU_CYCLE_1)
	s_mov_b32 s3, exec_lo
	s_wait_dscnt 0x0
	s_barrier_signal -1
	s_barrier_wait -1
	v_cmpx_gt_u32_e32 8, v0
	s_cbranch_execz .LBB326_115
; %bb.114:
	v_dual_lshlrev_b32 v5, 3, v0 :: v_dual_bitop2_b32 v22, 7, v63 bitop3:0x40
	ds_load_b64 v[6:7], v5
	v_cmp_eq_u32_e64 s2, 0, v22
	s_wait_dscnt 0x0
	v_mov_b32_dpp v8, v6 row_shr:1 row_mask:0xf bank_mask:0xf
	v_mov_b32_dpp v9, v7 row_shr:1 row_mask:0xf bank_mask:0xf
	s_delay_alu instid0(VALU_DEP_1) | instskip(NEXT) | instid1(VALU_DEP_1)
	v_dual_add_nc_u32 v8, v8, v6 :: v_dual_add_nc_u32 v9, v9, v7
	v_dual_cndmask_b32 v6, v8, v6, s2 :: v_dual_cndmask_b32 v7, v9, v7, s2
	v_cmp_lt_u32_e64 s2, 1, v22
	s_delay_alu instid0(VALU_DEP_2) | instskip(NEXT) | instid1(VALU_DEP_3)
	v_mov_b32_dpp v8, v6 row_shr:2 row_mask:0xf bank_mask:0xf
	v_mov_b32_dpp v9, v7 row_shr:2 row_mask:0xf bank_mask:0xf
	s_delay_alu instid0(VALU_DEP_1) | instskip(NEXT) | instid1(VALU_DEP_1)
	v_dual_add_nc_u32 v8, v6, v8 :: v_dual_add_nc_u32 v9, v7, v9
	v_dual_cndmask_b32 v6, v6, v8, s2 :: v_dual_cndmask_b32 v7, v7, v9, s2
	v_cmp_lt_u32_e64 s2, 3, v22
	s_delay_alu instid0(VALU_DEP_2) | instskip(NEXT) | instid1(VALU_DEP_3)
	v_mov_b32_dpp v8, v6 row_shr:4 row_mask:0xf bank_mask:0xf
	v_mov_b32_dpp v9, v7 row_shr:4 row_mask:0xf bank_mask:0xf
	s_delay_alu instid0(VALU_DEP_1) | instskip(NEXT) | instid1(VALU_DEP_1)
	v_dual_cndmask_b32 v8, 0, v8, s2 :: v_dual_cndmask_b32 v9, 0, v9, s2
	v_dual_add_nc_u32 v6, v8, v6 :: v_dual_add_nc_u32 v7, v9, v7
	ds_store_b64 v5, v[6:7]
.LBB326_115:
	s_or_b32 exec_lo, exec_lo, s3
	v_dual_cndmask_b32 v1, v3, v1 :: v_dual_cndmask_b32 v2, v4, v2
	s_mov_b32 s3, exec_lo
	v_cmp_gt_u32_e32 vcc_lo, 32, v0
	s_wait_dscnt 0x0
	s_barrier_signal -1
	s_barrier_wait -1
                                        ; implicit-def: $vgpr22
	v_cmpx_lt_u32_e32 31, v0
	s_cbranch_execz .LBB326_117
; %bb.116:
	v_lshl_add_u32 v3, v64, 3, -8
	ds_load_b64 v[22:23], v3
	s_wait_dscnt 0x0
	v_dual_add_nc_u32 v1, v23, v1 :: v_dual_add_nc_u32 v2, v22, v2
.LBB326_117:
	s_or_b32 exec_lo, exec_lo, s3
	v_sub_co_u32 v3, s2, v63, 1
	s_delay_alu instid0(VALU_DEP_1) | instskip(NEXT) | instid1(VALU_DEP_1)
	v_cmp_gt_i32_e64 s3, 0, v3
	v_cndmask_b32_e64 v3, v3, v63, s3
	s_delay_alu instid0(VALU_DEP_1)
	v_lshlrev_b32_e32 v3, 2, v3
	ds_bpermute_b32 v70, v3, v2
	ds_bpermute_b32 v1, v3, v1
	s_and_saveexec_b32 s3, vcc_lo
	s_cbranch_execz .LBB326_136
; %bb.118:
	v_mov_b32_e32 v5, 0
	ds_load_b64 v[2:3], v5 offset:56
	s_and_saveexec_b32 s7, s2
	s_cbranch_execz .LBB326_120
; %bb.119:
	s_add_co_i32 s8, s33, 32
	s_mov_b32 s9, 0
	v_mov_b32_e32 v4, 1
	s_lshl_b64 s[8:9], s[8:9], 4
	s_wait_kmcnt 0x0
	s_add_nc_u64 s[8:9], s[4:5], s[8:9]
	s_delay_alu instid0(SALU_CYCLE_1)
	v_mov_b64_e32 v[6:7], s[8:9]
	s_wait_dscnt 0x0
	;;#ASMSTART
	global_store_b128 v[6:7], v[2:5] off scope:SCOPE_DEV	
s_wait_storecnt 0x0
	;;#ASMEND
.LBB326_120:
	s_or_b32 exec_lo, exec_lo, s7
	v_xad_u32 v24, v63, -1, s33
	s_mov_b32 s8, 0
	s_mov_b32 s7, exec_lo
	s_delay_alu instid0(VALU_DEP_1) | instskip(SKIP_1) | instid1(VALU_DEP_1)
	v_add_nc_u32_e32 v4, 32, v24
	s_wait_kmcnt 0x0
	v_lshl_add_u64 v[4:5], v[4:5], 4, s[4:5]
	;;#ASMSTART
	global_load_b128 v[6:9], v[4:5] off scope:SCOPE_DEV	
s_wait_loadcnt 0x0
	;;#ASMEND
	v_and_b32_e32 v9, 0xff, v8
	s_delay_alu instid0(VALU_DEP_1)
	v_cmpx_eq_u16_e32 0, v9
	s_cbranch_execz .LBB326_123
.LBB326_121:                            ; =>This Inner Loop Header: Depth=1
	;;#ASMSTART
	global_load_b128 v[6:9], v[4:5] off scope:SCOPE_DEV	
s_wait_loadcnt 0x0
	;;#ASMEND
	v_and_b32_e32 v9, 0xff, v8
	s_delay_alu instid0(VALU_DEP_1) | instskip(SKIP_1) | instid1(SALU_CYCLE_1)
	v_cmp_ne_u16_e32 vcc_lo, 0, v9
	s_or_b32 s8, vcc_lo, s8
	s_and_not1_b32 exec_lo, exec_lo, s8
	s_cbranch_execnz .LBB326_121
; %bb.122:
	s_or_b32 exec_lo, exec_lo, s8
.LBB326_123:
	s_delay_alu instid0(SALU_CYCLE_1)
	s_or_b32 exec_lo, exec_lo, s7
	v_cmp_ne_u32_e32 vcc_lo, 31, v63
	v_lshlrev_b32_e64 v72, v63, -1
	v_lshl_or_b32 v79, v63, 2, 64
	v_dual_add_nc_u32 v76, 4, v63 :: v_dual_add_nc_u32 v80, 16, v63
	v_add_co_ci_u32_e64 v4, null, 0, v63, vcc_lo
	s_delay_alu instid0(VALU_DEP_1)
	v_lshlrev_b32_e32 v71, 2, v4
	v_and_b32_e32 v4, 0xff, v8
	ds_bpermute_b32 v5, v71, v7
	v_cmp_eq_u16_e32 vcc_lo, 2, v4
	s_wait_dscnt 0x0
	v_add_nc_u32_e32 v5, v5, v7
	ds_bpermute_b32 v4, v71, v6
	v_and_b32_e32 v9, vcc_lo, v72
	v_cmp_gt_u32_e32 vcc_lo, 30, v63
	v_cndmask_b32_e64 v25, 0, 2, vcc_lo
	s_delay_alu instid0(VALU_DEP_1) | instskip(SKIP_3) | instid1(VALU_DEP_1)
	v_add_lshl_u32 v73, v25, v63, 2
	s_wait_dscnt 0x0
	v_add_nc_u32_e32 v4, v4, v6
	v_or_b32_e32 v9, 0x80000000, v9
	v_ctz_i32_b32_e32 v9, v9
	s_delay_alu instid0(VALU_DEP_1) | instskip(NEXT) | instid1(VALU_DEP_4)
	v_cmp_lt_u32_e32 vcc_lo, v63, v9
	v_dual_cndmask_b32 v5, v7, v5 :: v_dual_cndmask_b32 v4, v6, v4
	v_cmp_gt_u32_e32 vcc_lo, 28, v63
	ds_bpermute_b32 v6, v73, v5
	ds_bpermute_b32 v7, v73, v4
	v_add_nc_u32_e32 v74, 2, v63
	v_cndmask_b32_e64 v25, 0, 4, vcc_lo
	s_delay_alu instid0(VALU_DEP_1) | instskip(SKIP_4) | instid1(VALU_DEP_2)
	v_add_lshl_u32 v75, v25, v63, 2
	s_wait_dscnt 0x1
	v_add_nc_u32_e32 v6, v5, v6
	v_cmp_gt_u32_e32 vcc_lo, v74, v9
	s_wait_dscnt 0x0
	v_dual_add_nc_u32 v7, v4, v7 :: v_dual_cndmask_b32 v5, v6, v5, vcc_lo
	s_delay_alu instid0(VALU_DEP_1)
	v_cndmask_b32_e32 v4, v7, v4, vcc_lo
	v_cmp_gt_u32_e32 vcc_lo, 24, v63
	ds_bpermute_b32 v6, v75, v5
	ds_bpermute_b32 v7, v75, v4
	v_cndmask_b32_e64 v25, 0, 8, vcc_lo
	v_cmp_gt_u32_e32 vcc_lo, v76, v9
	s_delay_alu instid0(VALU_DEP_2) | instskip(SKIP_3) | instid1(VALU_DEP_1)
	v_add_lshl_u32 v77, v25, v63, 2
	s_wait_dscnt 0x1
	v_dual_mov_b32 v25, 0 :: v_dual_add_nc_u32 v6, v5, v6
	s_wait_dscnt 0x0
	v_dual_add_nc_u32 v7, v4, v7 :: v_dual_cndmask_b32 v5, v6, v5, vcc_lo
	s_delay_alu instid0(VALU_DEP_1) | instskip(SKIP_4) | instid1(VALU_DEP_1)
	v_cndmask_b32_e32 v4, v7, v4, vcc_lo
	ds_bpermute_b32 v6, v77, v5
	ds_bpermute_b32 v7, v77, v4
	s_wait_dscnt 0x1
	v_dual_add_nc_u32 v78, 8, v63 :: v_dual_add_nc_u32 v6, v5, v6
	v_cmp_gt_u32_e32 vcc_lo, v78, v9
	s_wait_dscnt 0x0
	s_delay_alu instid0(VALU_DEP_2) | instskip(NEXT) | instid1(VALU_DEP_1)
	v_dual_add_nc_u32 v7, v4, v7 :: v_dual_cndmask_b32 v5, v6, v5, vcc_lo
	v_cndmask_b32_e32 v4, v7, v4, vcc_lo
	v_cmp_le_u32_e32 vcc_lo, v80, v9
	ds_bpermute_b32 v7, v79, v5
	ds_bpermute_b32 v6, v79, v4
	s_wait_dscnt 0x0
	v_dual_cndmask_b32 v7, 0, v7 :: v_dual_cndmask_b32 v6, 0, v6
	s_delay_alu instid0(VALU_DEP_1)
	v_dual_add_nc_u32 v7, v7, v5 :: v_dual_add_nc_u32 v6, v6, v4
	s_branch .LBB326_127
.LBB326_124:                            ;   in Loop: Header=BB326_127 Depth=1
	s_or_b32 exec_lo, exec_lo, s8
.LBB326_125:                            ;   in Loop: Header=BB326_127 Depth=1
	s_delay_alu instid0(SALU_CYCLE_1)
	s_or_b32 exec_lo, exec_lo, s7
	ds_bpermute_b32 v9, v71, v6
	ds_bpermute_b32 v26, v71, v7
	v_and_b32_e32 v27, 0xff, v8
	v_subrev_nc_u32_e32 v24, 32, v24
	s_mov_b32 s7, 0
	s_delay_alu instid0(VALU_DEP_2) | instskip(SKIP_1) | instid1(VALU_DEP_1)
	v_cmp_eq_u16_e32 vcc_lo, 2, v27
	v_and_or_b32 v27, vcc_lo, v72, 0x80000000
	v_ctz_i32_b32_e32 v27, v27
	s_wait_dscnt 0x0
	v_dual_add_nc_u32 v9, v9, v6 :: v_dual_add_nc_u32 v26, v26, v7
	s_delay_alu instid0(VALU_DEP_2) | instskip(NEXT) | instid1(VALU_DEP_2)
	v_cmp_lt_u32_e32 vcc_lo, v63, v27
	v_dual_cndmask_b32 v7, v7, v26 :: v_dual_cndmask_b32 v6, v6, v9
	v_cmp_gt_u32_e32 vcc_lo, v74, v27
	ds_bpermute_b32 v26, v73, v7
	ds_bpermute_b32 v9, v73, v6
	s_wait_dscnt 0x0
	v_dual_add_nc_u32 v26, v7, v26 :: v_dual_add_nc_u32 v9, v6, v9
	s_delay_alu instid0(VALU_DEP_1)
	v_dual_cndmask_b32 v7, v26, v7 :: v_dual_cndmask_b32 v6, v9, v6
	v_cmp_gt_u32_e32 vcc_lo, v76, v27
	ds_bpermute_b32 v26, v75, v7
	ds_bpermute_b32 v9, v75, v6
	s_wait_dscnt 0x0
	v_dual_add_nc_u32 v26, v7, v26 :: v_dual_add_nc_u32 v9, v6, v9
	s_delay_alu instid0(VALU_DEP_1)
	;; [unrolled: 7-line block ×3, first 2 shown]
	v_dual_cndmask_b32 v7, v26, v7 :: v_dual_cndmask_b32 v6, v9, v6
	v_cmp_le_u32_e32 vcc_lo, v80, v27
	ds_bpermute_b32 v26, v79, v7
	ds_bpermute_b32 v9, v79, v6
	s_wait_dscnt 0x0
	v_dual_cndmask_b32 v26, 0, v26 :: v_dual_cndmask_b32 v9, 0, v9
	s_delay_alu instid0(VALU_DEP_1) | instskip(NEXT) | instid1(VALU_DEP_2)
	v_add3_u32 v7, v7, v5, v26
	v_add3_u32 v6, v6, v4, v9
.LBB326_126:                            ;   in Loop: Header=BB326_127 Depth=1
	s_and_b32 vcc_lo, exec_lo, s7
	s_cbranch_vccnz .LBB326_132
.LBB326_127:                            ; =>This Loop Header: Depth=1
                                        ;     Child Loop BB326_130 Depth 2
	v_and_b32_e32 v4, 0xff, v8
	s_mov_b32 s7, -1
                                        ; implicit-def: $vgpr8
	s_delay_alu instid0(VALU_DEP_1)
	v_cmp_ne_u16_e32 vcc_lo, 2, v4
	v_mov_b64_e32 v[4:5], v[6:7]
                                        ; implicit-def: $vgpr6_vgpr7
	s_cmp_lg_u32 vcc_lo, exec_lo
	s_cbranch_scc1 .LBB326_126
; %bb.128:                              ;   in Loop: Header=BB326_127 Depth=1
	v_lshl_add_u64 v[26:27], v[24:25], 4, s[4:5]
	;;#ASMSTART
	global_load_b128 v[6:9], v[26:27] off scope:SCOPE_DEV	
s_wait_loadcnt 0x0
	;;#ASMEND
	v_and_b32_e32 v9, 0xff, v8
	s_mov_b32 s7, exec_lo
	s_delay_alu instid0(VALU_DEP_1)
	v_cmpx_eq_u16_e32 0, v9
	s_cbranch_execz .LBB326_125
; %bb.129:                              ;   in Loop: Header=BB326_127 Depth=1
	s_mov_b32 s8, 0
.LBB326_130:                            ;   Parent Loop BB326_127 Depth=1
                                        ; =>  This Inner Loop Header: Depth=2
	;;#ASMSTART
	global_load_b128 v[6:9], v[26:27] off scope:SCOPE_DEV	
s_wait_loadcnt 0x0
	;;#ASMEND
	v_and_b32_e32 v9, 0xff, v8
	s_delay_alu instid0(VALU_DEP_1) | instskip(SKIP_1) | instid1(SALU_CYCLE_1)
	v_cmp_ne_u16_e32 vcc_lo, 0, v9
	s_or_b32 s8, vcc_lo, s8
	s_and_not1_b32 exec_lo, exec_lo, s8
	s_cbranch_execnz .LBB326_130
	s_branch .LBB326_124
.LBB326_131:
                                        ; implicit-def: $vgpr1
                                        ; implicit-def: $vgpr4
                                        ; implicit-def: $vgpr6
                                        ; implicit-def: $vgpr8
                                        ; implicit-def: $vgpr22
	s_and_b32 vcc_lo, exec_lo, s3
	s_cbranch_vccnz .LBB326_137
	s_branch .LBB326_146
.LBB326_132:
	s_and_saveexec_b32 s7, s2
	s_cbranch_execz .LBB326_134
; %bb.133:
	s_add_co_i32 s8, s33, 32
	s_mov_b32 s9, 0
	v_dual_mov_b32 v8, 2 :: v_dual_mov_b32 v9, 0
	s_lshl_b64 s[8:9], s[8:9], 4
	v_dual_add_nc_u32 v7, v5, v3 :: v_dual_add_nc_u32 v6, v4, v2
	s_add_nc_u64 s[8:9], s[4:5], s[8:9]
	s_delay_alu instid0(SALU_CYCLE_1)
	v_mov_b64_e32 v[24:25], s[8:9]
	;;#ASMSTART
	global_store_b128 v[24:25], v[6:9] off scope:SCOPE_DEV	
s_wait_storecnt 0x0
	;;#ASMEND
	ds_store_b128 v9, v[2:5] offset:13312
.LBB326_134:
	s_or_b32 exec_lo, exec_lo, s7
	v_cmp_eq_u32_e32 vcc_lo, 0, v0
	s_and_b32 exec_lo, exec_lo, vcc_lo
; %bb.135:
	v_mov_b32_e32 v2, 0
	ds_store_b64 v2, v[4:5] offset:56
.LBB326_136:
	s_or_b32 exec_lo, exec_lo, s3
	s_wait_dscnt 0x0
	v_dual_mov_b32 v2, 0 :: v_dual_cndmask_b32 v1, v1, v23, s2
	s_barrier_signal -1
	s_barrier_wait -1
	ds_load_b64 v[8:9], v2 offset:56
	s_wait_dscnt 0x0
	s_barrier_signal -1
	s_barrier_wait -1
	ds_load_b128 v[2:5], v2 offset:13312
	v_cndmask_b32_e64 v6, v70, v22, s2
	v_cmp_eq_u32_e32 vcc_lo, 0, v0
	s_delay_alu instid0(VALU_DEP_2) | instskip(SKIP_2) | instid1(VALU_DEP_2)
	v_dual_add_nc_u32 v1, v9, v1 :: v_dual_add_nc_u32 v7, v8, v6
	s_wait_dscnt 0x0
	v_mov_b32_e32 v6, v5
	v_dual_cndmask_b32 v1, v1, v9 :: v_dual_cndmask_b32 v22, v7, v8
	v_mov_b32_e32 v8, v3
	s_branch .LBB326_146
.LBB326_137:
	v_mov_b32_dpp v1, v68 row_shr:1 row_mask:0xf bank_mask:0xf
	v_mov_b32_dpp v2, v69 row_shr:1 row_mask:0xf bank_mask:0xf
	v_cmp_lt_u32_e32 vcc_lo, 3, v65
	s_delay_alu instid0(VALU_DEP_2) | instskip(NEXT) | instid1(VALU_DEP_1)
	v_dual_add_nc_u32 v1, v1, v68 :: v_dual_add_nc_u32 v2, v2, v69
	v_dual_cndmask_b32 v1, v1, v68, s1 :: v_dual_cndmask_b32 v2, v2, v69, s1
	s_mov_b32 s1, exec_lo
	s_delay_alu instid0(VALU_DEP_1) | instskip(NEXT) | instid1(VALU_DEP_2)
	v_mov_b32_dpp v3, v1 row_shr:2 row_mask:0xf bank_mask:0xf
	v_mov_b32_dpp v4, v2 row_shr:2 row_mask:0xf bank_mask:0xf
	s_delay_alu instid0(VALU_DEP_1) | instskip(NEXT) | instid1(VALU_DEP_1)
	v_dual_add_nc_u32 v3, v1, v3 :: v_dual_add_nc_u32 v4, v2, v4
	v_dual_cndmask_b32 v1, v1, v3, s0 :: v_dual_cndmask_b32 v2, v2, v4, s0
	s_delay_alu instid0(VALU_DEP_1) | instskip(NEXT) | instid1(VALU_DEP_2)
	v_mov_b32_dpp v3, v1 row_shr:4 row_mask:0xf bank_mask:0xf
	v_mov_b32_dpp v4, v2 row_shr:4 row_mask:0xf bank_mask:0xf
	s_delay_alu instid0(VALU_DEP_1) | instskip(NEXT) | instid1(VALU_DEP_1)
	v_dual_add_nc_u32 v3, v1, v3 :: v_dual_add_nc_u32 v4, v2, v4
	v_dual_cndmask_b32 v3, v1, v3 :: v_dual_cndmask_b32 v2, v2, v4
	v_cmp_lt_u32_e32 vcc_lo, 7, v65
	s_delay_alu instid0(VALU_DEP_2) | instskip(NEXT) | instid1(VALU_DEP_3)
	v_mov_b32_dpp v1, v3 row_shr:8 row_mask:0xf bank_mask:0xf
	v_mov_b32_dpp v4, v2 row_shr:8 row_mask:0xf bank_mask:0xf
	s_delay_alu instid0(VALU_DEP_1) | instskip(NEXT) | instid1(VALU_DEP_1)
	v_dual_add_nc_u32 v5, v3, v1 :: v_dual_add_nc_u32 v1, v2, v4
	v_cndmask_b32_e32 v1, v2, v1, vcc_lo
	s_delay_alu instid0(VALU_DEP_2)
	v_cndmask_b32_e32 v2, v3, v5, vcc_lo
	v_cmp_eq_u32_e32 vcc_lo, 0, v67
	ds_swizzle_b32 v4, v2 offset:swizzle(BROADCAST,32,15)
	s_wait_dscnt 0x0
	v_add_nc_u32_e32 v4, v2, v4
	ds_swizzle_b32 v3, v1 offset:swizzle(BROADCAST,32,15)
	s_wait_dscnt 0x0
	v_add_nc_u32_e32 v3, v1, v3
	v_cmpx_eq_u32_e64 v0, v66
; %bb.138:
	s_delay_alu instid0(VALU_DEP_2)
	v_dual_cndmask_b32 v6, v4, v2 :: v_dual_cndmask_b32 v7, v3, v1
	v_lshlrev_b32_e32 v5, 3, v64
	ds_store_b64 v5, v[6:7]
; %bb.139:
	s_or_b32 exec_lo, exec_lo, s1
	s_delay_alu instid0(SALU_CYCLE_1)
	s_mov_b32 s1, exec_lo
	s_wait_dscnt 0x0
	s_barrier_signal -1
	s_barrier_wait -1
	v_cmpx_gt_u32_e32 8, v0
	s_cbranch_execz .LBB326_141
; %bb.140:
	v_dual_lshlrev_b32 v5, 3, v0 :: v_dual_bitop2_b32 v22, 7, v63 bitop3:0x40
	ds_load_b64 v[6:7], v5
	v_cmp_eq_u32_e64 s0, 0, v22
	s_wait_dscnt 0x0
	v_mov_b32_dpp v8, v6 row_shr:1 row_mask:0xf bank_mask:0xf
	v_mov_b32_dpp v9, v7 row_shr:1 row_mask:0xf bank_mask:0xf
	s_delay_alu instid0(VALU_DEP_1) | instskip(NEXT) | instid1(VALU_DEP_1)
	v_dual_add_nc_u32 v8, v8, v6 :: v_dual_add_nc_u32 v9, v9, v7
	v_dual_cndmask_b32 v6, v8, v6, s0 :: v_dual_cndmask_b32 v7, v9, v7, s0
	v_cmp_lt_u32_e64 s0, 1, v22
	s_delay_alu instid0(VALU_DEP_2) | instskip(NEXT) | instid1(VALU_DEP_3)
	v_mov_b32_dpp v8, v6 row_shr:2 row_mask:0xf bank_mask:0xf
	v_mov_b32_dpp v9, v7 row_shr:2 row_mask:0xf bank_mask:0xf
	s_delay_alu instid0(VALU_DEP_1) | instskip(NEXT) | instid1(VALU_DEP_1)
	v_dual_add_nc_u32 v8, v6, v8 :: v_dual_add_nc_u32 v9, v7, v9
	v_dual_cndmask_b32 v6, v6, v8, s0 :: v_dual_cndmask_b32 v7, v7, v9, s0
	v_cmp_lt_u32_e64 s0, 3, v22
	s_delay_alu instid0(VALU_DEP_2) | instskip(NEXT) | instid1(VALU_DEP_3)
	v_mov_b32_dpp v8, v6 row_shr:4 row_mask:0xf bank_mask:0xf
	v_mov_b32_dpp v9, v7 row_shr:4 row_mask:0xf bank_mask:0xf
	s_delay_alu instid0(VALU_DEP_1) | instskip(NEXT) | instid1(VALU_DEP_1)
	v_dual_cndmask_b32 v8, 0, v8, s0 :: v_dual_cndmask_b32 v9, 0, v9, s0
	v_dual_add_nc_u32 v6, v8, v6 :: v_dual_add_nc_u32 v7, v9, v7
	ds_store_b64 v5, v[6:7]
.LBB326_141:
	s_or_b32 exec_lo, exec_lo, s1
	v_dual_mov_b32 v5, 0 :: v_dual_mov_b32 v6, 0
	v_mov_b32_e32 v7, 0
	s_mov_b32 s1, exec_lo
	s_wait_dscnt 0x0
	s_barrier_signal -1
	s_barrier_wait -1
	v_cmpx_lt_u32_e32 31, v0
; %bb.142:
	v_lshl_add_u32 v6, v64, 3, -8
	ds_load_b64 v[6:7], v6
; %bb.143:
	s_or_b32 exec_lo, exec_lo, s1
	v_sub_co_u32 v8, s0, v63, 1
	v_dual_cndmask_b32 v2, v4, v2 :: v_dual_cndmask_b32 v1, v3, v1
	v_cmp_eq_u32_e32 vcc_lo, 0, v0
	s_delay_alu instid0(VALU_DEP_3) | instskip(SKIP_1) | instid1(VALU_DEP_1)
	v_cmp_gt_i32_e64 s1, 0, v8
	s_wait_dscnt 0x0
	v_dual_add_nc_u32 v2, v6, v2 :: v_dual_cndmask_b32 v4, v8, v63, s1
	s_delay_alu instid0(VALU_DEP_1)
	v_dual_lshlrev_b32 v3, 2, v4 :: v_dual_add_nc_u32 v4, v7, v1
	ds_bpermute_b32 v1, v3, v2
	ds_bpermute_b32 v8, v3, v4
	ds_load_b64 v[2:3], v5 offset:56
	s_and_saveexec_b32 s1, vcc_lo
	s_cbranch_execz .LBB326_145
; %bb.144:
	s_wait_kmcnt 0x0
	s_add_nc_u64 s[2:3], s[4:5], 0x200
	v_dual_mov_b32 v4, 2 :: v_dual_mov_b32 v5, 0
	v_mov_b64_e32 v[22:23], s[2:3]
	s_wait_dscnt 0x0
	;;#ASMSTART
	global_store_b128 v[22:23], v[2:5] off scope:SCOPE_DEV	
s_wait_storecnt 0x0
	;;#ASMEND
.LBB326_145:
	s_or_b32 exec_lo, exec_lo, s1
	s_wait_dscnt 0x1
	v_dual_cndmask_b32 v5, v8, v7, s0 :: v_dual_cndmask_b32 v7, v1, v6, s0
	v_dual_mov_b32 v6, 0 :: v_dual_mov_b32 v4, 0
	s_wait_dscnt 0x0
	v_mov_b32_e32 v8, v3
	s_delay_alu instid0(VALU_DEP_3)
	v_cndmask_b32_e64 v1, v5, 0, vcc_lo
	v_cndmask_b32_e64 v22, v7, 0, vcc_lo
	s_barrier_signal -1
	s_barrier_wait -1
.LBB326_146:
	s_delay_alu instid0(VALU_DEP_1) | instskip(SKIP_1) | instid1(VALU_DEP_2)
	v_dual_add_nc_u32 v62, v1, v62 :: v_dual_add_nc_u32 v70, v22, v61
	v_dual_mov_b32 v5, 0 :: v_dual_lshrrev_b32 v68, 16, v37
	v_dual_lshrrev_b32 v3, 8, v37 :: v_dual_add_nc_u32 v71, v62, v60
	s_delay_alu instid0(VALU_DEP_3) | instskip(SKIP_1) | instid1(VALU_DEP_3)
	v_dual_add_nc_u32 v59, v70, v59 :: v_dual_lshlrev_b32 v60, 1, v2
	v_dual_sub_nc_u32 v72, v22, v4 :: v_dual_sub_nc_u32 v1, v1, v6
	v_dual_add_nc_u32 v73, v71, v44 :: v_dual_bitop2_b32 v74, 1, v31 bitop3:0x40
	s_delay_alu instid0(VALU_DEP_3) | instskip(NEXT) | instid1(VALU_DEP_3)
	v_dual_add_nc_u32 v58, v59, v58 :: v_dual_bitop2_b32 v75, 1, v3 bitop3:0x40
	v_dual_add_nc_u32 v1, v1, v2 :: v_dual_sub_nc_u32 v70, v70, v4
	s_delay_alu instid0(VALU_DEP_2)
	v_dual_add_nc_u32 v57, v73, v57 :: v_dual_add_nc_u32 v76, v58, v43
	v_mov_b32_e32 v61, v5
	s_wait_kmcnt 0x0
	v_add_nc_u64_e32 v[22:23], s[28:29], v[4:5]
	v_dual_mov_b32 v3, v5 :: v_dual_mov_b32 v7, v5
	v_dual_add_nc_u32 v55, v76, v55 :: v_dual_add_nc_u32 v56, v57, v56
	v_cmp_eq_u32_e32 vcc_lo, 1, v75
	v_dual_lshrrev_b32 v69, 8, v31 :: v_dual_lshrrev_b32 v67, 16, v31
	s_delay_alu instid0(VALU_DEP_3) | instskip(NEXT) | instid1(VALU_DEP_4)
	v_dual_add_nc_u32 v53, v55, v53 :: v_dual_mov_b32 v9, v5
	v_add_nc_u32_e32 v54, v56, v54
	v_add3_u32 v5, v60, v8, v30
	s_delay_alu instid0(VALU_DEP_3) | instskip(NEXT) | instid1(VALU_DEP_3)
	v_dual_sub_nc_u32 v62, v62, v6 :: v_dual_add_nc_u32 v51, v53, v51
	v_dual_add_nc_u32 v78, v72, v1 :: v_dual_add_nc_u32 v77, v54, v42
	s_delay_alu instid0(VALU_DEP_2) | instskip(NEXT) | instid1(VALU_DEP_2)
	v_dual_sub_nc_u32 v59, v59, v4 :: v_dual_add_nc_u32 v62, v62, v2
	v_dual_add_nc_u32 v79, v51, v41 :: v_dual_sub_nc_u32 v78, v5, v78
	s_delay_alu instid0(VALU_DEP_3) | instskip(SKIP_1) | instid1(VALU_DEP_3)
	v_add_nc_u32_e32 v52, v77, v52
	v_dual_sub_nc_u32 v73, v73, v6 :: v_dual_sub_nc_u32 v58, v58, v4
	v_add_nc_u32_e32 v48, v79, v48
	s_delay_alu instid0(VALU_DEP_4) | instskip(SKIP_2) | instid1(VALU_DEP_4)
	v_dual_sub_nc_u32 v71, v71, v6 :: v_dual_cndmask_b32 v1, v78, v1, vcc_lo
	v_cmp_eq_u32_e32 vcc_lo, 1, v74
	v_add_nc_u32_e32 v50, v52, v50
	v_dual_add_nc_u32 v80, v62, v70 :: v_dual_add_nc_u32 v47, v48, v47
	v_dual_lshrrev_b32 v66, 8, v32 :: v_dual_lshrrev_b32 v65, 16, v32
	v_dual_cndmask_b32 v1, v1, v72, vcc_lo :: v_dual_add_nc_u32 v71, v71, v2
	s_delay_alu instid0(VALU_DEP_3) | instskip(NEXT) | instid1(VALU_DEP_4)
	v_dual_add_nc_u32 v49, v50, v49 :: v_dual_add_nc_u32 v46, v47, v46
	v_sub_nc_u32_e32 v74, v5, v80
	s_delay_alu instid0(VALU_DEP_3) | instskip(NEXT) | instid1(VALU_DEP_3)
	v_dual_add_nc_u32 v75, v71, v59 :: v_dual_bitop2_b32 v68, 1, v68 bitop3:0x40
	v_dual_add_nc_u32 v72, v49, v40 :: v_dual_bitop2_b32 v69, 1, v69 bitop3:0x40
	s_delay_alu instid0(VALU_DEP_3) | instskip(NEXT) | instid1(VALU_DEP_3)
	v_add_nc_u32_e32 v74, 1, v74
	v_cmp_eq_u32_e32 vcc_lo, 1, v68
	s_delay_alu instid0(VALU_DEP_3) | instskip(SKIP_1) | instid1(VALU_DEP_4)
	v_dual_sub_nc_u32 v75, v5, v75 :: v_dual_add_nc_u32 v45, v72, v45
	v_dual_add_nc_u32 v68, v73, v2 :: v_dual_bitop2_b32 v44, 1, v44 bitop3:0x40
	v_cndmask_b32_e32 v62, v74, v62, vcc_lo
	v_cmp_eq_u32_e32 vcc_lo, 1, v69
	s_delay_alu instid0(VALU_DEP_3)
	v_dual_add_nc_u32 v73, 2, v75 :: v_dual_add_nc_u32 v69, v58, v68
	v_dual_lshlrev_b32 v1, 2, v1 :: v_dual_bitop2_b32 v67, 1, v67 bitop3:0x40
	v_add_nc_u32_e32 v78, v46, v39
	v_cndmask_b32_e32 v62, v62, v70, vcc_lo
	v_cmp_eq_u32_e32 vcc_lo, 1, v44
	v_dual_sub_nc_u32 v57, v57, v6 :: v_dual_bitop2_b32 v43, 1, v43 bitop3:0x40
	ds_store_b32 v1, v20
	v_dual_lshlrev_b32 v20, 2, v62 :: v_dual_cndmask_b32 v44, v73, v71, vcc_lo
	v_cmp_eq_u32_e32 vcc_lo, 1, v67
	v_sub_nc_u32_e32 v1, v5, v69
	v_dual_lshrrev_b32 v63, 16, v33 :: v_dual_lshrrev_b32 v64, 8, v33
	ds_store_b32 v20, v21
	v_dual_cndmask_b32 v44, v44, v59, vcc_lo :: v_dual_bitop2_b32 v32, 1, v32 bitop3:0x40
	v_dual_add_nc_u32 v1, 3, v1 :: v_dual_add_nc_u32 v57, v57, v2
	v_dual_sub_nc_u32 v54, v54, v6 :: v_dual_lshrrev_b32 v25, 16, v35
	v_lshrrev_b32_e32 v27, 8, v35
	s_delay_alu instid0(VALU_DEP_4)
	v_cmp_eq_u32_e32 vcc_lo, 1, v32
	v_sub_nc_u32_e32 v56, v56, v6
	v_sub_nc_u32_e32 v32, v76, v4
	v_dual_lshrrev_b32 v26, 8, v36 :: v_dual_lshrrev_b32 v24, 16, v36
	v_cndmask_b32_e32 v1, v1, v68, vcc_lo
	v_cmp_eq_u32_e32 vcc_lo, 1, v43
	v_dual_sub_nc_u32 v55, v55, v4 :: v_dual_add_nc_u32 v56, v56, v2
	v_dual_add_nc_u32 v43, v32, v57 :: v_dual_lshlrev_b32 v21, 2, v44
	s_delay_alu instid0(VALU_DEP_4) | instskip(NEXT) | instid1(VALU_DEP_2)
	v_dual_cndmask_b32 v1, v1, v58, vcc_lo :: v_dual_bitop2_b32 v58, 1, v65 bitop3:0x40
	v_dual_add_nc_u32 v20, v55, v56 :: v_dual_sub_nc_u32 v43, v5, v43
	s_delay_alu instid0(VALU_DEP_2) | instskip(NEXT) | instid1(VALU_DEP_2)
	v_dual_lshlrev_b32 v1, 2, v1 :: v_dual_bitop2_b32 v44, 1, v66 bitop3:0x40
	v_dual_sub_nc_u32 v20, v5, v20 :: v_dual_bitop2_b32 v33, 1, v33 bitop3:0x40
	s_delay_alu instid0(VALU_DEP_3) | instskip(NEXT) | instid1(VALU_DEP_3)
	v_add_nc_u32_e32 v43, 4, v43
	v_cmp_eq_u32_e32 vcc_lo, 1, v44
	v_dual_sub_nc_u32 v53, v53, v4 :: v_dual_add_nc_u32 v54, v54, v2
	s_delay_alu instid0(VALU_DEP_4)
	v_add_nc_u32_e32 v20, 5, v20
	ds_store_b32 v21, v18
	v_cndmask_b32_e32 v43, v43, v57, vcc_lo
	v_cmp_eq_u32_e32 vcc_lo, 1, v58
	v_and_b32_e32 v44, 1, v64
	ds_store_b32 v1, v19
	v_and_b32_e32 v21, 1, v63
	v_sub_nc_u64_e32 v[30:31], s[30:31], v[2:3]
	v_dual_cndmask_b32 v20, v20, v56, vcc_lo :: v_dual_add_nc_u32 v56, v53, v54
	v_cmp_eq_u32_e32 vcc_lo, 1, v33
	v_sub_nc_u32_e32 v33, v52, v6
	s_mov_b32 s41, 0
	s_delay_alu instid0(VALU_DEP_3)
	v_dual_sub_nc_u32 v18, v5, v56 :: v_dual_bitop2_b32 v27, 1, v27 bitop3:0x40
	v_cndmask_b32_e32 v32, v43, v32, vcc_lo
	v_cmp_eq_u32_e32 vcc_lo, 1, v44
	v_add_nc_u64_e32 v[30:31], v[30:31], v[6:7]
	s_add_nc_u64 s[0:1], s[34:35], s[40:41]
	v_dual_add_nc_u32 v18, 6, v18 :: v_dual_cndmask_b32 v20, v20, v55, vcc_lo
	v_dual_lshlrev_b32 v1, 2, v32 :: v_dual_sub_nc_u32 v32, v77, v6
	s_delay_alu instid0(VALU_DEP_2)
	v_dual_lshlrev_b32 v19, 2, v20 :: v_dual_bitop2_b32 v20, 1, v42 bitop3:0x40
	v_sub_nc_u32_e32 v42, v79, v4
	ds_store_b32 v1, v16
	ds_store_b32 v19, v17
	v_cmp_eq_u32_e32 vcc_lo, 1, v20
	v_dual_sub_nc_u32 v20, v51, v4 :: v_dual_add_nc_u32 v32, v32, v2
	v_dual_add_nc_u32 v33, v33, v2 :: v_dual_bitop2_b32 v19, 1, v35 bitop3:0x40
	v_cndmask_b32_e32 v18, v18, v54, vcc_lo
	v_cmp_eq_u32_e32 vcc_lo, 1, v21
	s_delay_alu instid0(VALU_DEP_4) | instskip(NEXT) | instid1(VALU_DEP_3)
	v_add_nc_u32_e32 v21, v20, v32
	v_dual_cndmask_b32 v18, v18, v53 :: v_dual_sub_nc_u32 v35, v48, v4
	v_add_nc_u32_e32 v1, v42, v33
	s_delay_alu instid0(VALU_DEP_3) | instskip(SKIP_1) | instid1(VALU_DEP_4)
	v_dual_sub_nc_u32 v17, v5, v21 :: v_dual_sub_nc_u32 v21, v50, v6
	v_cmp_eq_u32_e32 vcc_lo, 1, v19
	v_dual_lshlrev_b32 v16, 2, v18 :: v_dual_bitop2_b32 v18, 1, v41 bitop3:0x40
	s_delay_alu instid0(VALU_DEP_4) | instskip(NEXT) | instid1(VALU_DEP_4)
	v_sub_nc_u32_e32 v1, v5, v1
	v_dual_add_nc_u32 v17, 7, v17 :: v_dual_add_nc_u32 v21, v21, v2
	ds_store_b32 v16, v14
	v_dual_add_nc_u32 v1, 8, v1 :: v_dual_cndmask_b32 v17, v17, v32, vcc_lo
	v_cmp_eq_u32_e32 vcc_lo, 1, v27
	v_dual_add_nc_u32 v27, v35, v21 :: v_dual_bitop2_b32 v19, 1, v36 bitop3:0x40
	s_delay_alu instid0(VALU_DEP_3) | instskip(SKIP_1) | instid1(VALU_DEP_3)
	v_cndmask_b32_e32 v1, v1, v33, vcc_lo
	v_cmp_eq_u32_e32 vcc_lo, 1, v18
	v_dual_sub_nc_u32 v14, v5, v27 :: v_dual_bitop2_b32 v18, 1, v25 bitop3:0x40
	v_cndmask_b32_e32 v17, v17, v20, vcc_lo
	v_cmp_eq_u32_e32 vcc_lo, 1, v19
	v_dual_sub_nc_u32 v19, v47, v4 :: v_dual_cndmask_b32 v1, v1, v42, vcc_lo
	s_delay_alu instid0(VALU_DEP_4) | instskip(NEXT) | instid1(VALU_DEP_2)
	v_cmp_eq_u32_e32 vcc_lo, 1, v18
	v_lshlrev_b32_e32 v1, 2, v1
	v_dual_lshlrev_b32 v16, 2, v17 :: v_dual_sub_nc_u32 v17, v49, v6
	ds_store_b32 v16, v15
	v_add_nc_u32_e32 v17, v17, v2
	v_add_nc_u32_e32 v14, 9, v14
	ds_store_b32 v1, v12
	v_dual_sub_nc_u32 v16, v45, v6 :: v_dual_add_nc_u32 v15, v19, v17
	v_dual_cndmask_b32 v14, v14, v21, vcc_lo :: v_dual_bitop2_b32 v20, 1, v26 bitop3:0x40
	v_sub_nc_u32_e32 v12, v72, v6
	s_delay_alu instid0(VALU_DEP_3) | instskip(NEXT) | instid1(VALU_DEP_3)
	v_add_nc_u32_e32 v16, v16, v2
	v_cmp_eq_u32_e32 vcc_lo, 1, v20
	v_sub_nc_u32_e32 v20, v78, v4
	v_cndmask_b32_e32 v1, v14, v35, vcc_lo
	v_dual_sub_nc_u32 v14, v5, v15 :: v_dual_bitop2_b32 v15, 1, v40 bitop3:0x40
	v_dual_sub_nc_u32 v18, v46, v4 :: v_dual_add_nc_u32 v12, v12, v2
	s_delay_alu instid0(VALU_DEP_2) | instskip(NEXT) | instid1(VALU_DEP_3)
	v_dual_add_nc_u32 v14, 10, v14 :: v_dual_bitop2_b32 v4, 1, v24 bitop3:0x40
	v_cmp_eq_u32_e32 vcc_lo, 1, v15
	v_add_nc_u32_e32 v15, v20, v16
	s_delay_alu instid0(VALU_DEP_4) | instskip(NEXT) | instid1(VALU_DEP_4)
	v_dual_add_nc_u32 v21, v18, v12 :: v_dual_lshlrev_b32 v1, 2, v1
	v_cndmask_b32_e32 v14, v14, v17, vcc_lo
	v_cmp_eq_u32_e32 vcc_lo, 1, v4
	s_delay_alu instid0(VALU_DEP_3) | instskip(SKIP_4) | instid1(VALU_DEP_3)
	v_dual_sub_nc_u32 v17, v5, v21 :: v_dual_sub_nc_u32 v4, v5, v15
	ds_store_b32 v1, v13
	v_dual_cndmask_b32 v14, v14, v19, vcc_lo :: v_dual_bitop2_b32 v19, 1, v34 bitop3:0x40
	v_dual_add_nc_u32 v17, 11, v17 :: v_dual_bitop2_b32 v15, 1, v39 bitop3:0x40
	v_dual_add_nc_u32 v24, 12, v4 :: v_dual_bitop2_b32 v21, 1, v38 bitop3:0x40
	v_cmp_eq_u32_e32 vcc_lo, 1, v19
	v_add_nc_u64_e32 v[4:5], v[8:9], v[60:61]
	s_delay_alu instid0(VALU_DEP_4) | instskip(SKIP_2) | instid1(VALU_DEP_4)
	v_dual_lshlrev_b32 v14, 2, v14 :: v_dual_cndmask_b32 v12, v17, v12, vcc_lo
	v_and_b32_e32 v17, 1, v37
	v_cmp_eq_u32_e32 vcc_lo, 1, v21
	v_add_nc_u64_e32 v[4:5], v[4:5], v[30:31]
	ds_store_b32 v14, v10
	v_cndmask_b32_e32 v16, v24, v16, vcc_lo
	v_cmp_eq_u32_e32 vcc_lo, 1, v15
	v_add_nc_u64_e32 v[4:5], v[4:5], v[22:23]
	v_cndmask_b32_e32 v12, v12, v18, vcc_lo
	v_cmp_eq_u32_e32 vcc_lo, 1, v17
	v_cndmask_b32_e32 v15, v16, v20, vcc_lo
	v_cmp_ne_u32_e32 vcc_lo, 1, v29
	s_delay_alu instid0(VALU_DEP_2)
	v_dual_lshlrev_b32 v10, 2, v15 :: v_dual_lshlrev_b32 v1, 2, v12
	v_lshlrev_b64_e32 v[12:13], 2, v[30:31]
	v_lshlrev_b64_e32 v[14:15], 2, v[22:23]
	s_and_b32 vcc_lo, exec_lo, vcc_lo
	ds_store_b32 v1, v11
	ds_store_b32 v10, v28
	v_sub_nc_u64_e32 v[10:11], s[0:1], v[4:5]
	v_add_nc_u64_e32 v[4:5], s[38:39], v[12:13]
	v_add_nc_u64_e32 v[12:13], s[36:37], v[14:15]
	v_add_nc_u32_e32 v14, v2, v8
	s_mov_b32 s0, -1
	s_wait_dscnt 0x0
	s_barrier_signal -1
	s_barrier_wait -1
	s_cbranch_vccz .LBB326_150
; %bb.147:
	s_and_b32 vcc_lo, exec_lo, s0
	s_cbranch_vccnz .LBB326_255
.LBB326_148:
	v_cmp_eq_u32_e32 vcc_lo, 0, v0
	s_and_b32 s0, vcc_lo, s15
	s_delay_alu instid0(SALU_CYCLE_1)
	s_and_saveexec_b32 s1, s0
	s_cbranch_execnz .LBB326_373
.LBB326_149:
	s_sendmsg sendmsg(MSG_DEALLOC_VGPRS)
	s_endpgm
.LBB326_150:
	s_mov_b32 s0, exec_lo
	v_cmpx_ge_u32_e64 v0, v2
	s_xor_b32 s0, exec_lo, s0
	s_cbranch_execz .LBB326_156
; %bb.151:
	v_mov_b32_e32 v1, 0
	s_mov_b32 s1, exec_lo
	v_cmpx_ge_u32_e64 v0, v14
	s_xor_b32 s1, exec_lo, s1
	s_cbranch_execz .LBB326_153
; %bb.152:
	v_lshlrev_b32_e32 v15, 2, v0
	v_add_nc_u64_e32 v[16:17], v[10:11], v[0:1]
	ds_load_b32 v1, v15
	v_lshlrev_b64_e32 v[16:17], 2, v[16:17]
	s_delay_alu instid0(VALU_DEP_1)
	v_sub_nc_u64_e32 v[16:17], s[26:27], v[16:17]
	s_wait_dscnt 0x0
	global_store_b32 v[16:17], v1, off offset:-4
.LBB326_153:
	s_wait_xcnt 0x0
	s_and_not1_saveexec_b32 s1, s1
	s_cbranch_execz .LBB326_155
; %bb.154:
	v_lshlrev_b32_e32 v1, 2, v0
	v_readfirstlane_b32 s2, v4
	v_readfirstlane_b32 s3, v5
	ds_load_b32 v1, v1
	s_wait_dscnt 0x0
	global_store_b32 v0, v1, s[2:3] scale_offset
.LBB326_155:
	s_wait_xcnt 0x0
	s_or_b32 exec_lo, exec_lo, s1
.LBB326_156:
	s_and_not1_saveexec_b32 s0, s0
	s_cbranch_execz .LBB326_158
; %bb.157:
	v_lshlrev_b32_e32 v1, 2, v0
	v_readfirstlane_b32 s2, v12
	v_readfirstlane_b32 s3, v13
	ds_load_b32 v1, v1
	s_wait_dscnt 0x0
	global_store_b32 v0, v1, s[2:3] scale_offset
.LBB326_158:
	s_wait_xcnt 0x0
	s_or_b32 exec_lo, exec_lo, s0
	v_or_b32_e32 v1, 0x100, v0
	s_mov_b32 s0, exec_lo
	s_delay_alu instid0(VALU_DEP_1)
	v_cmpx_ge_u32_e64 v1, v2
	s_xor_b32 s0, exec_lo, s0
	s_cbranch_execz .LBB326_164
; %bb.159:
	s_mov_b32 s1, exec_lo
	v_cmpx_ge_u32_e64 v1, v14
	s_xor_b32 s1, exec_lo, s1
	s_cbranch_execz .LBB326_161
; %bb.160:
	v_dual_mov_b32 v1, 0 :: v_dual_lshlrev_b32 v15, 2, v0
	s_delay_alu instid0(VALU_DEP_1) | instskip(SKIP_2) | instid1(VALU_DEP_1)
	v_add_nc_u64_e32 v[16:17], v[10:11], v[0:1]
	ds_load_b32 v1, v15 offset:1024
	v_lshlrev_b64_e32 v[16:17], 2, v[16:17]
	v_sub_nc_u64_e32 v[16:17], s[26:27], v[16:17]
	s_wait_dscnt 0x0
	global_store_b32 v[16:17], v1, off offset:-1028
.LBB326_161:
	s_wait_xcnt 0x0
	s_and_not1_saveexec_b32 s1, s1
	s_cbranch_execz .LBB326_163
; %bb.162:
	v_lshlrev_b32_e32 v1, 2, v0
	v_readfirstlane_b32 s2, v4
	v_readfirstlane_b32 s3, v5
	ds_load_b32 v1, v1 offset:1024
	s_wait_dscnt 0x0
	global_store_b32 v0, v1, s[2:3] offset:1024 scale_offset
.LBB326_163:
	s_wait_xcnt 0x0
	s_or_b32 exec_lo, exec_lo, s1
.LBB326_164:
	s_and_not1_saveexec_b32 s0, s0
	s_cbranch_execz .LBB326_166
; %bb.165:
	v_lshlrev_b32_e32 v1, 2, v0
	v_readfirstlane_b32 s2, v12
	v_readfirstlane_b32 s3, v13
	ds_load_b32 v1, v1 offset:1024
	s_wait_dscnt 0x0
	global_store_b32 v0, v1, s[2:3] offset:1024 scale_offset
.LBB326_166:
	s_wait_xcnt 0x0
	s_or_b32 exec_lo, exec_lo, s0
	v_or_b32_e32 v1, 0x200, v0
	s_mov_b32 s0, exec_lo
	s_delay_alu instid0(VALU_DEP_1)
	v_cmpx_ge_u32_e64 v1, v2
	s_xor_b32 s0, exec_lo, s0
	s_cbranch_execz .LBB326_172
; %bb.167:
	s_mov_b32 s1, exec_lo
	v_cmpx_ge_u32_e64 v1, v14
	s_xor_b32 s1, exec_lo, s1
	s_cbranch_execz .LBB326_169
; %bb.168:
	v_dual_mov_b32 v1, 0 :: v_dual_lshlrev_b32 v15, 2, v0
	s_delay_alu instid0(VALU_DEP_1) | instskip(SKIP_2) | instid1(VALU_DEP_1)
	v_add_nc_u64_e32 v[16:17], v[10:11], v[0:1]
	ds_load_b32 v1, v15 offset:2048
	v_lshlrev_b64_e32 v[16:17], 2, v[16:17]
	v_sub_nc_u64_e32 v[16:17], s[26:27], v[16:17]
	s_wait_dscnt 0x0
	global_store_b32 v[16:17], v1, off offset:-2052
.LBB326_169:
	s_wait_xcnt 0x0
	s_and_not1_saveexec_b32 s1, s1
	s_cbranch_execz .LBB326_171
; %bb.170:
	v_lshlrev_b32_e32 v1, 2, v0
	v_readfirstlane_b32 s2, v4
	v_readfirstlane_b32 s3, v5
	ds_load_b32 v1, v1 offset:2048
	s_wait_dscnt 0x0
	global_store_b32 v0, v1, s[2:3] offset:2048 scale_offset
.LBB326_171:
	s_wait_xcnt 0x0
	s_or_b32 exec_lo, exec_lo, s1
.LBB326_172:
	s_and_not1_saveexec_b32 s0, s0
	s_cbranch_execz .LBB326_174
; %bb.173:
	v_lshlrev_b32_e32 v1, 2, v0
	v_readfirstlane_b32 s2, v12
	v_readfirstlane_b32 s3, v13
	ds_load_b32 v1, v1 offset:2048
	s_wait_dscnt 0x0
	global_store_b32 v0, v1, s[2:3] offset:2048 scale_offset
.LBB326_174:
	;; [unrolled: 47-line block ×12, first 2 shown]
	s_wait_xcnt 0x0
	s_or_b32 exec_lo, exec_lo, s0
	s_branch .LBB326_148
.LBB326_255:
	s_mov_b32 s0, exec_lo
	v_cmpx_gt_u32_e64 s6, v0
	s_cbranch_execz .LBB326_264
; %bb.256:
	s_mov_b32 s1, exec_lo
	v_cmpx_ge_u32_e64 v0, v2
	s_xor_b32 s1, exec_lo, s1
	s_cbranch_execz .LBB326_262
; %bb.257:
	v_mov_b32_e32 v1, 0
	s_mov_b32 s2, exec_lo
	v_cmpx_ge_u32_e64 v0, v14
	s_xor_b32 s2, exec_lo, s2
	s_cbranch_execz .LBB326_259
; %bb.258:
	v_lshlrev_b32_e32 v15, 2, v0
	v_add_nc_u64_e32 v[16:17], v[10:11], v[0:1]
	ds_load_b32 v1, v15
	v_lshlrev_b64_e32 v[16:17], 2, v[16:17]
	s_delay_alu instid0(VALU_DEP_1)
	v_sub_nc_u64_e32 v[16:17], s[26:27], v[16:17]
	s_wait_dscnt 0x0
	global_store_b32 v[16:17], v1, off offset:-4
.LBB326_259:
	s_wait_xcnt 0x0
	s_and_not1_saveexec_b32 s2, s2
	s_cbranch_execz .LBB326_261
; %bb.260:
	v_lshlrev_b32_e32 v1, 2, v0
	v_readfirstlane_b32 s4, v4
	v_readfirstlane_b32 s5, v5
	ds_load_b32 v1, v1
	s_wait_dscnt 0x0
	global_store_b32 v0, v1, s[4:5] scale_offset
.LBB326_261:
	s_wait_xcnt 0x0
	s_or_b32 exec_lo, exec_lo, s2
.LBB326_262:
	s_and_not1_saveexec_b32 s1, s1
	s_cbranch_execz .LBB326_264
; %bb.263:
	v_lshlrev_b32_e32 v1, 2, v0
	v_readfirstlane_b32 s2, v12
	v_readfirstlane_b32 s3, v13
	ds_load_b32 v1, v1
	s_wait_dscnt 0x0
	global_store_b32 v0, v1, s[2:3] scale_offset
.LBB326_264:
	s_wait_xcnt 0x0
	s_or_b32 exec_lo, exec_lo, s0
	v_or_b32_e32 v1, 0x100, v0
	s_mov_b32 s0, exec_lo
	s_delay_alu instid0(VALU_DEP_1)
	v_cmpx_gt_u32_e64 s6, v1
	s_cbranch_execz .LBB326_273
; %bb.265:
	s_mov_b32 s1, exec_lo
	v_cmpx_ge_u32_e64 v1, v2
	s_xor_b32 s1, exec_lo, s1
	s_cbranch_execz .LBB326_271
; %bb.266:
	s_mov_b32 s2, exec_lo
	v_cmpx_ge_u32_e64 v1, v14
	s_xor_b32 s2, exec_lo, s2
	s_cbranch_execz .LBB326_268
; %bb.267:
	v_dual_mov_b32 v1, 0 :: v_dual_lshlrev_b32 v15, 2, v0
	s_delay_alu instid0(VALU_DEP_1) | instskip(SKIP_2) | instid1(VALU_DEP_1)
	v_add_nc_u64_e32 v[16:17], v[10:11], v[0:1]
	ds_load_b32 v1, v15 offset:1024
	v_lshlrev_b64_e32 v[16:17], 2, v[16:17]
	v_sub_nc_u64_e32 v[16:17], s[26:27], v[16:17]
	s_wait_dscnt 0x0
	global_store_b32 v[16:17], v1, off offset:-1028
.LBB326_268:
	s_wait_xcnt 0x0
	s_and_not1_saveexec_b32 s2, s2
	s_cbranch_execz .LBB326_270
; %bb.269:
	v_lshlrev_b32_e32 v1, 2, v0
	v_readfirstlane_b32 s4, v4
	v_readfirstlane_b32 s5, v5
	ds_load_b32 v1, v1 offset:1024
	s_wait_dscnt 0x0
	global_store_b32 v0, v1, s[4:5] offset:1024 scale_offset
.LBB326_270:
	s_wait_xcnt 0x0
	s_or_b32 exec_lo, exec_lo, s2
.LBB326_271:
	s_and_not1_saveexec_b32 s1, s1
	s_cbranch_execz .LBB326_273
; %bb.272:
	v_lshlrev_b32_e32 v1, 2, v0
	v_readfirstlane_b32 s2, v12
	v_readfirstlane_b32 s3, v13
	ds_load_b32 v1, v1 offset:1024
	s_wait_dscnt 0x0
	global_store_b32 v0, v1, s[2:3] offset:1024 scale_offset
.LBB326_273:
	s_wait_xcnt 0x0
	s_or_b32 exec_lo, exec_lo, s0
	v_or_b32_e32 v1, 0x200, v0
	s_mov_b32 s0, exec_lo
	s_delay_alu instid0(VALU_DEP_1)
	v_cmpx_gt_u32_e64 s6, v1
	s_cbranch_execz .LBB326_282
; %bb.274:
	s_mov_b32 s1, exec_lo
	v_cmpx_ge_u32_e64 v1, v2
	s_xor_b32 s1, exec_lo, s1
	s_cbranch_execz .LBB326_280
; %bb.275:
	s_mov_b32 s2, exec_lo
	v_cmpx_ge_u32_e64 v1, v14
	s_xor_b32 s2, exec_lo, s2
	s_cbranch_execz .LBB326_277
; %bb.276:
	v_dual_mov_b32 v1, 0 :: v_dual_lshlrev_b32 v15, 2, v0
	s_delay_alu instid0(VALU_DEP_1) | instskip(SKIP_2) | instid1(VALU_DEP_1)
	v_add_nc_u64_e32 v[16:17], v[10:11], v[0:1]
	ds_load_b32 v1, v15 offset:2048
	v_lshlrev_b64_e32 v[16:17], 2, v[16:17]
	v_sub_nc_u64_e32 v[16:17], s[26:27], v[16:17]
	s_wait_dscnt 0x0
	global_store_b32 v[16:17], v1, off offset:-2052
.LBB326_277:
	s_wait_xcnt 0x0
	s_and_not1_saveexec_b32 s2, s2
	s_cbranch_execz .LBB326_279
; %bb.278:
	v_lshlrev_b32_e32 v1, 2, v0
	v_readfirstlane_b32 s4, v4
	v_readfirstlane_b32 s5, v5
	ds_load_b32 v1, v1 offset:2048
	s_wait_dscnt 0x0
	global_store_b32 v0, v1, s[4:5] offset:2048 scale_offset
.LBB326_279:
	s_wait_xcnt 0x0
	s_or_b32 exec_lo, exec_lo, s2
.LBB326_280:
	s_and_not1_saveexec_b32 s1, s1
	s_cbranch_execz .LBB326_282
; %bb.281:
	v_lshlrev_b32_e32 v1, 2, v0
	v_readfirstlane_b32 s2, v12
	v_readfirstlane_b32 s3, v13
	ds_load_b32 v1, v1 offset:2048
	s_wait_dscnt 0x0
	global_store_b32 v0, v1, s[2:3] offset:2048 scale_offset
.LBB326_282:
	;; [unrolled: 51-line block ×11, first 2 shown]
	s_wait_xcnt 0x0
	s_or_b32 exec_lo, exec_lo, s0
	v_or_b32_e32 v1, 0xc00, v0
	s_mov_b32 s0, exec_lo
	s_delay_alu instid0(VALU_DEP_1)
	v_cmpx_gt_u32_e64 s6, v1
	s_cbranch_execz .LBB326_372
; %bb.364:
	s_mov_b32 s1, exec_lo
	v_cmpx_ge_u32_e64 v1, v2
	s_xor_b32 s1, exec_lo, s1
	s_cbranch_execz .LBB326_370
; %bb.365:
	s_mov_b32 s2, exec_lo
	v_cmpx_ge_u32_e64 v1, v14
	s_xor_b32 s2, exec_lo, s2
	s_cbranch_execz .LBB326_367
; %bb.366:
	v_dual_mov_b32 v1, 0 :: v_dual_lshlrev_b32 v12, 2, v0
	s_delay_alu instid0(VALU_DEP_1) | instskip(SKIP_2) | instid1(VALU_DEP_1)
	v_add_nc_u64_e32 v[4:5], v[10:11], v[0:1]
	ds_load_b32 v1, v12 offset:12288
	v_lshlrev_b64_e32 v[4:5], 2, v[4:5]
	v_sub_nc_u64_e32 v[4:5], s[26:27], v[4:5]
	s_wait_dscnt 0x0
	global_store_b32 v[4:5], v1, off offset:-12292
                                        ; implicit-def: $vgpr4_vgpr5
.LBB326_367:
	s_wait_xcnt 0x0
	s_and_not1_saveexec_b32 s2, s2
	s_cbranch_execz .LBB326_369
; %bb.368:
	v_lshlrev_b32_e32 v1, 2, v0
	v_readfirstlane_b32 s4, v4
	v_readfirstlane_b32 s5, v5
	ds_load_b32 v1, v1 offset:12288
	s_wait_dscnt 0x0
	global_store_b32 v0, v1, s[4:5] offset:12288 scale_offset
.LBB326_369:
	s_wait_xcnt 0x0
	s_or_b32 exec_lo, exec_lo, s2
                                        ; implicit-def: $vgpr12_vgpr13
.LBB326_370:
	s_and_not1_saveexec_b32 s1, s1
	s_cbranch_execz .LBB326_372
; %bb.371:
	v_lshlrev_b32_e32 v1, 2, v0
	v_readfirstlane_b32 s2, v12
	v_readfirstlane_b32 s3, v13
	ds_load_b32 v1, v1 offset:12288
	s_wait_dscnt 0x0
	global_store_b32 v0, v1, s[2:3] offset:12288 scale_offset
.LBB326_372:
	s_wait_xcnt 0x0
	s_or_b32 exec_lo, exec_lo, s0
	v_cmp_eq_u32_e32 vcc_lo, 0, v0
	s_and_b32 s0, vcc_lo, s15
	s_delay_alu instid0(SALU_CYCLE_1)
	s_and_saveexec_b32 s1, s0
	s_cbranch_execz .LBB326_149
.LBB326_373:
	v_add_nc_u64_e32 v[0:1], s[30:31], v[8:9]
	v_add_nc_u64_e32 v[2:3], v[22:23], v[2:3]
	s_delay_alu instid0(VALU_DEP_2)
	v_add_nc_u64_e32 v[4:5], v[0:1], v[6:7]
	v_mov_b32_e32 v0, 0
	global_store_b128 v0, v[2:5], s[24:25]
	s_sendmsg sendmsg(MSG_DEALLOC_VGPRS)
	s_endpgm
	.section	.rodata,"a",@progbits
	.p2align	6, 0x0
	.amdhsa_kernel _ZN7rocprim17ROCPRIM_400000_NS6detail17trampoline_kernelINS0_13select_configILj256ELj13ELNS0_17block_load_methodE3ELS4_3ELS4_3ELNS0_20block_scan_algorithmE0ELj4294967295EEENS1_25partition_config_selectorILNS1_17partition_subalgoE4EjNS0_10empty_typeEbEEZZNS1_14partition_implILS8_4ELb0ES6_15HIP_vector_typeIjLj2EENS0_17counting_iteratorIjlEEPS9_SG_NS0_5tupleIJPjSI_NS0_16reverse_iteratorISI_EEEEENSH_IJSG_SG_SG_EEES9_SI_JZNS1_25segmented_radix_sort_implINS0_14default_configELb0EPKaPaPKlPlN2at6native12_GLOBAL__N_18offset_tEEE10hipError_tPvRmT1_PNSt15iterator_traitsIS12_E10value_typeET2_T3_PNS13_IS18_E10value_typeET4_jRbjT5_S1E_jjP12ihipStream_tbEUljE_ZNSN_ISO_Lb0ESQ_SR_ST_SU_SY_EESZ_S10_S11_S12_S16_S17_S18_S1B_S1C_jS1D_jS1E_S1E_jjS1G_bEUljE0_EEESZ_S10_S11_S18_S1C_S1E_T6_T7_T9_mT8_S1G_bDpT10_ENKUlT_T0_E_clISt17integral_constantIbLb0EES1U_EEDaS1P_S1Q_EUlS1P_E_NS1_11comp_targetILNS1_3genE0ELNS1_11target_archE4294967295ELNS1_3gpuE0ELNS1_3repE0EEENS1_30default_config_static_selectorELNS0_4arch9wavefront6targetE0EEEvS12_
		.amdhsa_group_segment_fixed_size 13328
		.amdhsa_private_segment_fixed_size 0
		.amdhsa_kernarg_size 176
		.amdhsa_user_sgpr_count 2
		.amdhsa_user_sgpr_dispatch_ptr 0
		.amdhsa_user_sgpr_queue_ptr 0
		.amdhsa_user_sgpr_kernarg_segment_ptr 1
		.amdhsa_user_sgpr_dispatch_id 0
		.amdhsa_user_sgpr_kernarg_preload_length 0
		.amdhsa_user_sgpr_kernarg_preload_offset 0
		.amdhsa_user_sgpr_private_segment_size 0
		.amdhsa_wavefront_size32 1
		.amdhsa_uses_dynamic_stack 0
		.amdhsa_enable_private_segment 0
		.amdhsa_system_sgpr_workgroup_id_x 1
		.amdhsa_system_sgpr_workgroup_id_y 0
		.amdhsa_system_sgpr_workgroup_id_z 0
		.amdhsa_system_sgpr_workgroup_info 0
		.amdhsa_system_vgpr_workitem_id 0
		.amdhsa_next_free_vgpr 81
		.amdhsa_next_free_sgpr 59
		.amdhsa_named_barrier_count 0
		.amdhsa_reserve_vcc 1
		.amdhsa_float_round_mode_32 0
		.amdhsa_float_round_mode_16_64 0
		.amdhsa_float_denorm_mode_32 3
		.amdhsa_float_denorm_mode_16_64 3
		.amdhsa_fp16_overflow 0
		.amdhsa_memory_ordered 1
		.amdhsa_forward_progress 1
		.amdhsa_inst_pref_size 139
		.amdhsa_round_robin_scheduling 0
		.amdhsa_exception_fp_ieee_invalid_op 0
		.amdhsa_exception_fp_denorm_src 0
		.amdhsa_exception_fp_ieee_div_zero 0
		.amdhsa_exception_fp_ieee_overflow 0
		.amdhsa_exception_fp_ieee_underflow 0
		.amdhsa_exception_fp_ieee_inexact 0
		.amdhsa_exception_int_div_zero 0
	.end_amdhsa_kernel
	.section	.text._ZN7rocprim17ROCPRIM_400000_NS6detail17trampoline_kernelINS0_13select_configILj256ELj13ELNS0_17block_load_methodE3ELS4_3ELS4_3ELNS0_20block_scan_algorithmE0ELj4294967295EEENS1_25partition_config_selectorILNS1_17partition_subalgoE4EjNS0_10empty_typeEbEEZZNS1_14partition_implILS8_4ELb0ES6_15HIP_vector_typeIjLj2EENS0_17counting_iteratorIjlEEPS9_SG_NS0_5tupleIJPjSI_NS0_16reverse_iteratorISI_EEEEENSH_IJSG_SG_SG_EEES9_SI_JZNS1_25segmented_radix_sort_implINS0_14default_configELb0EPKaPaPKlPlN2at6native12_GLOBAL__N_18offset_tEEE10hipError_tPvRmT1_PNSt15iterator_traitsIS12_E10value_typeET2_T3_PNS13_IS18_E10value_typeET4_jRbjT5_S1E_jjP12ihipStream_tbEUljE_ZNSN_ISO_Lb0ESQ_SR_ST_SU_SY_EESZ_S10_S11_S12_S16_S17_S18_S1B_S1C_jS1D_jS1E_S1E_jjS1G_bEUljE0_EEESZ_S10_S11_S18_S1C_S1E_T6_T7_T9_mT8_S1G_bDpT10_ENKUlT_T0_E_clISt17integral_constantIbLb0EES1U_EEDaS1P_S1Q_EUlS1P_E_NS1_11comp_targetILNS1_3genE0ELNS1_11target_archE4294967295ELNS1_3gpuE0ELNS1_3repE0EEENS1_30default_config_static_selectorELNS0_4arch9wavefront6targetE0EEEvS12_,"axG",@progbits,_ZN7rocprim17ROCPRIM_400000_NS6detail17trampoline_kernelINS0_13select_configILj256ELj13ELNS0_17block_load_methodE3ELS4_3ELS4_3ELNS0_20block_scan_algorithmE0ELj4294967295EEENS1_25partition_config_selectorILNS1_17partition_subalgoE4EjNS0_10empty_typeEbEEZZNS1_14partition_implILS8_4ELb0ES6_15HIP_vector_typeIjLj2EENS0_17counting_iteratorIjlEEPS9_SG_NS0_5tupleIJPjSI_NS0_16reverse_iteratorISI_EEEEENSH_IJSG_SG_SG_EEES9_SI_JZNS1_25segmented_radix_sort_implINS0_14default_configELb0EPKaPaPKlPlN2at6native12_GLOBAL__N_18offset_tEEE10hipError_tPvRmT1_PNSt15iterator_traitsIS12_E10value_typeET2_T3_PNS13_IS18_E10value_typeET4_jRbjT5_S1E_jjP12ihipStream_tbEUljE_ZNSN_ISO_Lb0ESQ_SR_ST_SU_SY_EESZ_S10_S11_S12_S16_S17_S18_S1B_S1C_jS1D_jS1E_S1E_jjS1G_bEUljE0_EEESZ_S10_S11_S18_S1C_S1E_T6_T7_T9_mT8_S1G_bDpT10_ENKUlT_T0_E_clISt17integral_constantIbLb0EES1U_EEDaS1P_S1Q_EUlS1P_E_NS1_11comp_targetILNS1_3genE0ELNS1_11target_archE4294967295ELNS1_3gpuE0ELNS1_3repE0EEENS1_30default_config_static_selectorELNS0_4arch9wavefront6targetE0EEEvS12_,comdat
.Lfunc_end326:
	.size	_ZN7rocprim17ROCPRIM_400000_NS6detail17trampoline_kernelINS0_13select_configILj256ELj13ELNS0_17block_load_methodE3ELS4_3ELS4_3ELNS0_20block_scan_algorithmE0ELj4294967295EEENS1_25partition_config_selectorILNS1_17partition_subalgoE4EjNS0_10empty_typeEbEEZZNS1_14partition_implILS8_4ELb0ES6_15HIP_vector_typeIjLj2EENS0_17counting_iteratorIjlEEPS9_SG_NS0_5tupleIJPjSI_NS0_16reverse_iteratorISI_EEEEENSH_IJSG_SG_SG_EEES9_SI_JZNS1_25segmented_radix_sort_implINS0_14default_configELb0EPKaPaPKlPlN2at6native12_GLOBAL__N_18offset_tEEE10hipError_tPvRmT1_PNSt15iterator_traitsIS12_E10value_typeET2_T3_PNS13_IS18_E10value_typeET4_jRbjT5_S1E_jjP12ihipStream_tbEUljE_ZNSN_ISO_Lb0ESQ_SR_ST_SU_SY_EESZ_S10_S11_S12_S16_S17_S18_S1B_S1C_jS1D_jS1E_S1E_jjS1G_bEUljE0_EEESZ_S10_S11_S18_S1C_S1E_T6_T7_T9_mT8_S1G_bDpT10_ENKUlT_T0_E_clISt17integral_constantIbLb0EES1U_EEDaS1P_S1Q_EUlS1P_E_NS1_11comp_targetILNS1_3genE0ELNS1_11target_archE4294967295ELNS1_3gpuE0ELNS1_3repE0EEENS1_30default_config_static_selectorELNS0_4arch9wavefront6targetE0EEEvS12_, .Lfunc_end326-_ZN7rocprim17ROCPRIM_400000_NS6detail17trampoline_kernelINS0_13select_configILj256ELj13ELNS0_17block_load_methodE3ELS4_3ELS4_3ELNS0_20block_scan_algorithmE0ELj4294967295EEENS1_25partition_config_selectorILNS1_17partition_subalgoE4EjNS0_10empty_typeEbEEZZNS1_14partition_implILS8_4ELb0ES6_15HIP_vector_typeIjLj2EENS0_17counting_iteratorIjlEEPS9_SG_NS0_5tupleIJPjSI_NS0_16reverse_iteratorISI_EEEEENSH_IJSG_SG_SG_EEES9_SI_JZNS1_25segmented_radix_sort_implINS0_14default_configELb0EPKaPaPKlPlN2at6native12_GLOBAL__N_18offset_tEEE10hipError_tPvRmT1_PNSt15iterator_traitsIS12_E10value_typeET2_T3_PNS13_IS18_E10value_typeET4_jRbjT5_S1E_jjP12ihipStream_tbEUljE_ZNSN_ISO_Lb0ESQ_SR_ST_SU_SY_EESZ_S10_S11_S12_S16_S17_S18_S1B_S1C_jS1D_jS1E_S1E_jjS1G_bEUljE0_EEESZ_S10_S11_S18_S1C_S1E_T6_T7_T9_mT8_S1G_bDpT10_ENKUlT_T0_E_clISt17integral_constantIbLb0EES1U_EEDaS1P_S1Q_EUlS1P_E_NS1_11comp_targetILNS1_3genE0ELNS1_11target_archE4294967295ELNS1_3gpuE0ELNS1_3repE0EEENS1_30default_config_static_selectorELNS0_4arch9wavefront6targetE0EEEvS12_
                                        ; -- End function
	.set _ZN7rocprim17ROCPRIM_400000_NS6detail17trampoline_kernelINS0_13select_configILj256ELj13ELNS0_17block_load_methodE3ELS4_3ELS4_3ELNS0_20block_scan_algorithmE0ELj4294967295EEENS1_25partition_config_selectorILNS1_17partition_subalgoE4EjNS0_10empty_typeEbEEZZNS1_14partition_implILS8_4ELb0ES6_15HIP_vector_typeIjLj2EENS0_17counting_iteratorIjlEEPS9_SG_NS0_5tupleIJPjSI_NS0_16reverse_iteratorISI_EEEEENSH_IJSG_SG_SG_EEES9_SI_JZNS1_25segmented_radix_sort_implINS0_14default_configELb0EPKaPaPKlPlN2at6native12_GLOBAL__N_18offset_tEEE10hipError_tPvRmT1_PNSt15iterator_traitsIS12_E10value_typeET2_T3_PNS13_IS18_E10value_typeET4_jRbjT5_S1E_jjP12ihipStream_tbEUljE_ZNSN_ISO_Lb0ESQ_SR_ST_SU_SY_EESZ_S10_S11_S12_S16_S17_S18_S1B_S1C_jS1D_jS1E_S1E_jjS1G_bEUljE0_EEESZ_S10_S11_S18_S1C_S1E_T6_T7_T9_mT8_S1G_bDpT10_ENKUlT_T0_E_clISt17integral_constantIbLb0EES1U_EEDaS1P_S1Q_EUlS1P_E_NS1_11comp_targetILNS1_3genE0ELNS1_11target_archE4294967295ELNS1_3gpuE0ELNS1_3repE0EEENS1_30default_config_static_selectorELNS0_4arch9wavefront6targetE0EEEvS12_.num_vgpr, 81
	.set _ZN7rocprim17ROCPRIM_400000_NS6detail17trampoline_kernelINS0_13select_configILj256ELj13ELNS0_17block_load_methodE3ELS4_3ELS4_3ELNS0_20block_scan_algorithmE0ELj4294967295EEENS1_25partition_config_selectorILNS1_17partition_subalgoE4EjNS0_10empty_typeEbEEZZNS1_14partition_implILS8_4ELb0ES6_15HIP_vector_typeIjLj2EENS0_17counting_iteratorIjlEEPS9_SG_NS0_5tupleIJPjSI_NS0_16reverse_iteratorISI_EEEEENSH_IJSG_SG_SG_EEES9_SI_JZNS1_25segmented_radix_sort_implINS0_14default_configELb0EPKaPaPKlPlN2at6native12_GLOBAL__N_18offset_tEEE10hipError_tPvRmT1_PNSt15iterator_traitsIS12_E10value_typeET2_T3_PNS13_IS18_E10value_typeET4_jRbjT5_S1E_jjP12ihipStream_tbEUljE_ZNSN_ISO_Lb0ESQ_SR_ST_SU_SY_EESZ_S10_S11_S12_S16_S17_S18_S1B_S1C_jS1D_jS1E_S1E_jjS1G_bEUljE0_EEESZ_S10_S11_S18_S1C_S1E_T6_T7_T9_mT8_S1G_bDpT10_ENKUlT_T0_E_clISt17integral_constantIbLb0EES1U_EEDaS1P_S1Q_EUlS1P_E_NS1_11comp_targetILNS1_3genE0ELNS1_11target_archE4294967295ELNS1_3gpuE0ELNS1_3repE0EEENS1_30default_config_static_selectorELNS0_4arch9wavefront6targetE0EEEvS12_.num_agpr, 0
	.set _ZN7rocprim17ROCPRIM_400000_NS6detail17trampoline_kernelINS0_13select_configILj256ELj13ELNS0_17block_load_methodE3ELS4_3ELS4_3ELNS0_20block_scan_algorithmE0ELj4294967295EEENS1_25partition_config_selectorILNS1_17partition_subalgoE4EjNS0_10empty_typeEbEEZZNS1_14partition_implILS8_4ELb0ES6_15HIP_vector_typeIjLj2EENS0_17counting_iteratorIjlEEPS9_SG_NS0_5tupleIJPjSI_NS0_16reverse_iteratorISI_EEEEENSH_IJSG_SG_SG_EEES9_SI_JZNS1_25segmented_radix_sort_implINS0_14default_configELb0EPKaPaPKlPlN2at6native12_GLOBAL__N_18offset_tEEE10hipError_tPvRmT1_PNSt15iterator_traitsIS12_E10value_typeET2_T3_PNS13_IS18_E10value_typeET4_jRbjT5_S1E_jjP12ihipStream_tbEUljE_ZNSN_ISO_Lb0ESQ_SR_ST_SU_SY_EESZ_S10_S11_S12_S16_S17_S18_S1B_S1C_jS1D_jS1E_S1E_jjS1G_bEUljE0_EEESZ_S10_S11_S18_S1C_S1E_T6_T7_T9_mT8_S1G_bDpT10_ENKUlT_T0_E_clISt17integral_constantIbLb0EES1U_EEDaS1P_S1Q_EUlS1P_E_NS1_11comp_targetILNS1_3genE0ELNS1_11target_archE4294967295ELNS1_3gpuE0ELNS1_3repE0EEENS1_30default_config_static_selectorELNS0_4arch9wavefront6targetE0EEEvS12_.numbered_sgpr, 59
	.set _ZN7rocprim17ROCPRIM_400000_NS6detail17trampoline_kernelINS0_13select_configILj256ELj13ELNS0_17block_load_methodE3ELS4_3ELS4_3ELNS0_20block_scan_algorithmE0ELj4294967295EEENS1_25partition_config_selectorILNS1_17partition_subalgoE4EjNS0_10empty_typeEbEEZZNS1_14partition_implILS8_4ELb0ES6_15HIP_vector_typeIjLj2EENS0_17counting_iteratorIjlEEPS9_SG_NS0_5tupleIJPjSI_NS0_16reverse_iteratorISI_EEEEENSH_IJSG_SG_SG_EEES9_SI_JZNS1_25segmented_radix_sort_implINS0_14default_configELb0EPKaPaPKlPlN2at6native12_GLOBAL__N_18offset_tEEE10hipError_tPvRmT1_PNSt15iterator_traitsIS12_E10value_typeET2_T3_PNS13_IS18_E10value_typeET4_jRbjT5_S1E_jjP12ihipStream_tbEUljE_ZNSN_ISO_Lb0ESQ_SR_ST_SU_SY_EESZ_S10_S11_S12_S16_S17_S18_S1B_S1C_jS1D_jS1E_S1E_jjS1G_bEUljE0_EEESZ_S10_S11_S18_S1C_S1E_T6_T7_T9_mT8_S1G_bDpT10_ENKUlT_T0_E_clISt17integral_constantIbLb0EES1U_EEDaS1P_S1Q_EUlS1P_E_NS1_11comp_targetILNS1_3genE0ELNS1_11target_archE4294967295ELNS1_3gpuE0ELNS1_3repE0EEENS1_30default_config_static_selectorELNS0_4arch9wavefront6targetE0EEEvS12_.num_named_barrier, 0
	.set _ZN7rocprim17ROCPRIM_400000_NS6detail17trampoline_kernelINS0_13select_configILj256ELj13ELNS0_17block_load_methodE3ELS4_3ELS4_3ELNS0_20block_scan_algorithmE0ELj4294967295EEENS1_25partition_config_selectorILNS1_17partition_subalgoE4EjNS0_10empty_typeEbEEZZNS1_14partition_implILS8_4ELb0ES6_15HIP_vector_typeIjLj2EENS0_17counting_iteratorIjlEEPS9_SG_NS0_5tupleIJPjSI_NS0_16reverse_iteratorISI_EEEEENSH_IJSG_SG_SG_EEES9_SI_JZNS1_25segmented_radix_sort_implINS0_14default_configELb0EPKaPaPKlPlN2at6native12_GLOBAL__N_18offset_tEEE10hipError_tPvRmT1_PNSt15iterator_traitsIS12_E10value_typeET2_T3_PNS13_IS18_E10value_typeET4_jRbjT5_S1E_jjP12ihipStream_tbEUljE_ZNSN_ISO_Lb0ESQ_SR_ST_SU_SY_EESZ_S10_S11_S12_S16_S17_S18_S1B_S1C_jS1D_jS1E_S1E_jjS1G_bEUljE0_EEESZ_S10_S11_S18_S1C_S1E_T6_T7_T9_mT8_S1G_bDpT10_ENKUlT_T0_E_clISt17integral_constantIbLb0EES1U_EEDaS1P_S1Q_EUlS1P_E_NS1_11comp_targetILNS1_3genE0ELNS1_11target_archE4294967295ELNS1_3gpuE0ELNS1_3repE0EEENS1_30default_config_static_selectorELNS0_4arch9wavefront6targetE0EEEvS12_.private_seg_size, 0
	.set _ZN7rocprim17ROCPRIM_400000_NS6detail17trampoline_kernelINS0_13select_configILj256ELj13ELNS0_17block_load_methodE3ELS4_3ELS4_3ELNS0_20block_scan_algorithmE0ELj4294967295EEENS1_25partition_config_selectorILNS1_17partition_subalgoE4EjNS0_10empty_typeEbEEZZNS1_14partition_implILS8_4ELb0ES6_15HIP_vector_typeIjLj2EENS0_17counting_iteratorIjlEEPS9_SG_NS0_5tupleIJPjSI_NS0_16reverse_iteratorISI_EEEEENSH_IJSG_SG_SG_EEES9_SI_JZNS1_25segmented_radix_sort_implINS0_14default_configELb0EPKaPaPKlPlN2at6native12_GLOBAL__N_18offset_tEEE10hipError_tPvRmT1_PNSt15iterator_traitsIS12_E10value_typeET2_T3_PNS13_IS18_E10value_typeET4_jRbjT5_S1E_jjP12ihipStream_tbEUljE_ZNSN_ISO_Lb0ESQ_SR_ST_SU_SY_EESZ_S10_S11_S12_S16_S17_S18_S1B_S1C_jS1D_jS1E_S1E_jjS1G_bEUljE0_EEESZ_S10_S11_S18_S1C_S1E_T6_T7_T9_mT8_S1G_bDpT10_ENKUlT_T0_E_clISt17integral_constantIbLb0EES1U_EEDaS1P_S1Q_EUlS1P_E_NS1_11comp_targetILNS1_3genE0ELNS1_11target_archE4294967295ELNS1_3gpuE0ELNS1_3repE0EEENS1_30default_config_static_selectorELNS0_4arch9wavefront6targetE0EEEvS12_.uses_vcc, 1
	.set _ZN7rocprim17ROCPRIM_400000_NS6detail17trampoline_kernelINS0_13select_configILj256ELj13ELNS0_17block_load_methodE3ELS4_3ELS4_3ELNS0_20block_scan_algorithmE0ELj4294967295EEENS1_25partition_config_selectorILNS1_17partition_subalgoE4EjNS0_10empty_typeEbEEZZNS1_14partition_implILS8_4ELb0ES6_15HIP_vector_typeIjLj2EENS0_17counting_iteratorIjlEEPS9_SG_NS0_5tupleIJPjSI_NS0_16reverse_iteratorISI_EEEEENSH_IJSG_SG_SG_EEES9_SI_JZNS1_25segmented_radix_sort_implINS0_14default_configELb0EPKaPaPKlPlN2at6native12_GLOBAL__N_18offset_tEEE10hipError_tPvRmT1_PNSt15iterator_traitsIS12_E10value_typeET2_T3_PNS13_IS18_E10value_typeET4_jRbjT5_S1E_jjP12ihipStream_tbEUljE_ZNSN_ISO_Lb0ESQ_SR_ST_SU_SY_EESZ_S10_S11_S12_S16_S17_S18_S1B_S1C_jS1D_jS1E_S1E_jjS1G_bEUljE0_EEESZ_S10_S11_S18_S1C_S1E_T6_T7_T9_mT8_S1G_bDpT10_ENKUlT_T0_E_clISt17integral_constantIbLb0EES1U_EEDaS1P_S1Q_EUlS1P_E_NS1_11comp_targetILNS1_3genE0ELNS1_11target_archE4294967295ELNS1_3gpuE0ELNS1_3repE0EEENS1_30default_config_static_selectorELNS0_4arch9wavefront6targetE0EEEvS12_.uses_flat_scratch, 0
	.set _ZN7rocprim17ROCPRIM_400000_NS6detail17trampoline_kernelINS0_13select_configILj256ELj13ELNS0_17block_load_methodE3ELS4_3ELS4_3ELNS0_20block_scan_algorithmE0ELj4294967295EEENS1_25partition_config_selectorILNS1_17partition_subalgoE4EjNS0_10empty_typeEbEEZZNS1_14partition_implILS8_4ELb0ES6_15HIP_vector_typeIjLj2EENS0_17counting_iteratorIjlEEPS9_SG_NS0_5tupleIJPjSI_NS0_16reverse_iteratorISI_EEEEENSH_IJSG_SG_SG_EEES9_SI_JZNS1_25segmented_radix_sort_implINS0_14default_configELb0EPKaPaPKlPlN2at6native12_GLOBAL__N_18offset_tEEE10hipError_tPvRmT1_PNSt15iterator_traitsIS12_E10value_typeET2_T3_PNS13_IS18_E10value_typeET4_jRbjT5_S1E_jjP12ihipStream_tbEUljE_ZNSN_ISO_Lb0ESQ_SR_ST_SU_SY_EESZ_S10_S11_S12_S16_S17_S18_S1B_S1C_jS1D_jS1E_S1E_jjS1G_bEUljE0_EEESZ_S10_S11_S18_S1C_S1E_T6_T7_T9_mT8_S1G_bDpT10_ENKUlT_T0_E_clISt17integral_constantIbLb0EES1U_EEDaS1P_S1Q_EUlS1P_E_NS1_11comp_targetILNS1_3genE0ELNS1_11target_archE4294967295ELNS1_3gpuE0ELNS1_3repE0EEENS1_30default_config_static_selectorELNS0_4arch9wavefront6targetE0EEEvS12_.has_dyn_sized_stack, 0
	.set _ZN7rocprim17ROCPRIM_400000_NS6detail17trampoline_kernelINS0_13select_configILj256ELj13ELNS0_17block_load_methodE3ELS4_3ELS4_3ELNS0_20block_scan_algorithmE0ELj4294967295EEENS1_25partition_config_selectorILNS1_17partition_subalgoE4EjNS0_10empty_typeEbEEZZNS1_14partition_implILS8_4ELb0ES6_15HIP_vector_typeIjLj2EENS0_17counting_iteratorIjlEEPS9_SG_NS0_5tupleIJPjSI_NS0_16reverse_iteratorISI_EEEEENSH_IJSG_SG_SG_EEES9_SI_JZNS1_25segmented_radix_sort_implINS0_14default_configELb0EPKaPaPKlPlN2at6native12_GLOBAL__N_18offset_tEEE10hipError_tPvRmT1_PNSt15iterator_traitsIS12_E10value_typeET2_T3_PNS13_IS18_E10value_typeET4_jRbjT5_S1E_jjP12ihipStream_tbEUljE_ZNSN_ISO_Lb0ESQ_SR_ST_SU_SY_EESZ_S10_S11_S12_S16_S17_S18_S1B_S1C_jS1D_jS1E_S1E_jjS1G_bEUljE0_EEESZ_S10_S11_S18_S1C_S1E_T6_T7_T9_mT8_S1G_bDpT10_ENKUlT_T0_E_clISt17integral_constantIbLb0EES1U_EEDaS1P_S1Q_EUlS1P_E_NS1_11comp_targetILNS1_3genE0ELNS1_11target_archE4294967295ELNS1_3gpuE0ELNS1_3repE0EEENS1_30default_config_static_selectorELNS0_4arch9wavefront6targetE0EEEvS12_.has_recursion, 0
	.set _ZN7rocprim17ROCPRIM_400000_NS6detail17trampoline_kernelINS0_13select_configILj256ELj13ELNS0_17block_load_methodE3ELS4_3ELS4_3ELNS0_20block_scan_algorithmE0ELj4294967295EEENS1_25partition_config_selectorILNS1_17partition_subalgoE4EjNS0_10empty_typeEbEEZZNS1_14partition_implILS8_4ELb0ES6_15HIP_vector_typeIjLj2EENS0_17counting_iteratorIjlEEPS9_SG_NS0_5tupleIJPjSI_NS0_16reverse_iteratorISI_EEEEENSH_IJSG_SG_SG_EEES9_SI_JZNS1_25segmented_radix_sort_implINS0_14default_configELb0EPKaPaPKlPlN2at6native12_GLOBAL__N_18offset_tEEE10hipError_tPvRmT1_PNSt15iterator_traitsIS12_E10value_typeET2_T3_PNS13_IS18_E10value_typeET4_jRbjT5_S1E_jjP12ihipStream_tbEUljE_ZNSN_ISO_Lb0ESQ_SR_ST_SU_SY_EESZ_S10_S11_S12_S16_S17_S18_S1B_S1C_jS1D_jS1E_S1E_jjS1G_bEUljE0_EEESZ_S10_S11_S18_S1C_S1E_T6_T7_T9_mT8_S1G_bDpT10_ENKUlT_T0_E_clISt17integral_constantIbLb0EES1U_EEDaS1P_S1Q_EUlS1P_E_NS1_11comp_targetILNS1_3genE0ELNS1_11target_archE4294967295ELNS1_3gpuE0ELNS1_3repE0EEENS1_30default_config_static_selectorELNS0_4arch9wavefront6targetE0EEEvS12_.has_indirect_call, 0
	.section	.AMDGPU.csdata,"",@progbits
; Kernel info:
; codeLenInByte = 17784
; TotalNumSgprs: 61
; NumVgprs: 81
; ScratchSize: 0
; MemoryBound: 0
; FloatMode: 240
; IeeeMode: 1
; LDSByteSize: 13328 bytes/workgroup (compile time only)
; SGPRBlocks: 0
; VGPRBlocks: 5
; NumSGPRsForWavesPerEU: 61
; NumVGPRsForWavesPerEU: 81
; NamedBarCnt: 0
; Occupancy: 10
; WaveLimiterHint : 1
; COMPUTE_PGM_RSRC2:SCRATCH_EN: 0
; COMPUTE_PGM_RSRC2:USER_SGPR: 2
; COMPUTE_PGM_RSRC2:TRAP_HANDLER: 0
; COMPUTE_PGM_RSRC2:TGID_X_EN: 1
; COMPUTE_PGM_RSRC2:TGID_Y_EN: 0
; COMPUTE_PGM_RSRC2:TGID_Z_EN: 0
; COMPUTE_PGM_RSRC2:TIDIG_COMP_CNT: 0
	.section	.text._ZN7rocprim17ROCPRIM_400000_NS6detail17trampoline_kernelINS0_13select_configILj256ELj13ELNS0_17block_load_methodE3ELS4_3ELS4_3ELNS0_20block_scan_algorithmE0ELj4294967295EEENS1_25partition_config_selectorILNS1_17partition_subalgoE4EjNS0_10empty_typeEbEEZZNS1_14partition_implILS8_4ELb0ES6_15HIP_vector_typeIjLj2EENS0_17counting_iteratorIjlEEPS9_SG_NS0_5tupleIJPjSI_NS0_16reverse_iteratorISI_EEEEENSH_IJSG_SG_SG_EEES9_SI_JZNS1_25segmented_radix_sort_implINS0_14default_configELb0EPKaPaPKlPlN2at6native12_GLOBAL__N_18offset_tEEE10hipError_tPvRmT1_PNSt15iterator_traitsIS12_E10value_typeET2_T3_PNS13_IS18_E10value_typeET4_jRbjT5_S1E_jjP12ihipStream_tbEUljE_ZNSN_ISO_Lb0ESQ_SR_ST_SU_SY_EESZ_S10_S11_S12_S16_S17_S18_S1B_S1C_jS1D_jS1E_S1E_jjS1G_bEUljE0_EEESZ_S10_S11_S18_S1C_S1E_T6_T7_T9_mT8_S1G_bDpT10_ENKUlT_T0_E_clISt17integral_constantIbLb0EES1U_EEDaS1P_S1Q_EUlS1P_E_NS1_11comp_targetILNS1_3genE5ELNS1_11target_archE942ELNS1_3gpuE9ELNS1_3repE0EEENS1_30default_config_static_selectorELNS0_4arch9wavefront6targetE0EEEvS12_,"axG",@progbits,_ZN7rocprim17ROCPRIM_400000_NS6detail17trampoline_kernelINS0_13select_configILj256ELj13ELNS0_17block_load_methodE3ELS4_3ELS4_3ELNS0_20block_scan_algorithmE0ELj4294967295EEENS1_25partition_config_selectorILNS1_17partition_subalgoE4EjNS0_10empty_typeEbEEZZNS1_14partition_implILS8_4ELb0ES6_15HIP_vector_typeIjLj2EENS0_17counting_iteratorIjlEEPS9_SG_NS0_5tupleIJPjSI_NS0_16reverse_iteratorISI_EEEEENSH_IJSG_SG_SG_EEES9_SI_JZNS1_25segmented_radix_sort_implINS0_14default_configELb0EPKaPaPKlPlN2at6native12_GLOBAL__N_18offset_tEEE10hipError_tPvRmT1_PNSt15iterator_traitsIS12_E10value_typeET2_T3_PNS13_IS18_E10value_typeET4_jRbjT5_S1E_jjP12ihipStream_tbEUljE_ZNSN_ISO_Lb0ESQ_SR_ST_SU_SY_EESZ_S10_S11_S12_S16_S17_S18_S1B_S1C_jS1D_jS1E_S1E_jjS1G_bEUljE0_EEESZ_S10_S11_S18_S1C_S1E_T6_T7_T9_mT8_S1G_bDpT10_ENKUlT_T0_E_clISt17integral_constantIbLb0EES1U_EEDaS1P_S1Q_EUlS1P_E_NS1_11comp_targetILNS1_3genE5ELNS1_11target_archE942ELNS1_3gpuE9ELNS1_3repE0EEENS1_30default_config_static_selectorELNS0_4arch9wavefront6targetE0EEEvS12_,comdat
	.globl	_ZN7rocprim17ROCPRIM_400000_NS6detail17trampoline_kernelINS0_13select_configILj256ELj13ELNS0_17block_load_methodE3ELS4_3ELS4_3ELNS0_20block_scan_algorithmE0ELj4294967295EEENS1_25partition_config_selectorILNS1_17partition_subalgoE4EjNS0_10empty_typeEbEEZZNS1_14partition_implILS8_4ELb0ES6_15HIP_vector_typeIjLj2EENS0_17counting_iteratorIjlEEPS9_SG_NS0_5tupleIJPjSI_NS0_16reverse_iteratorISI_EEEEENSH_IJSG_SG_SG_EEES9_SI_JZNS1_25segmented_radix_sort_implINS0_14default_configELb0EPKaPaPKlPlN2at6native12_GLOBAL__N_18offset_tEEE10hipError_tPvRmT1_PNSt15iterator_traitsIS12_E10value_typeET2_T3_PNS13_IS18_E10value_typeET4_jRbjT5_S1E_jjP12ihipStream_tbEUljE_ZNSN_ISO_Lb0ESQ_SR_ST_SU_SY_EESZ_S10_S11_S12_S16_S17_S18_S1B_S1C_jS1D_jS1E_S1E_jjS1G_bEUljE0_EEESZ_S10_S11_S18_S1C_S1E_T6_T7_T9_mT8_S1G_bDpT10_ENKUlT_T0_E_clISt17integral_constantIbLb0EES1U_EEDaS1P_S1Q_EUlS1P_E_NS1_11comp_targetILNS1_3genE5ELNS1_11target_archE942ELNS1_3gpuE9ELNS1_3repE0EEENS1_30default_config_static_selectorELNS0_4arch9wavefront6targetE0EEEvS12_ ; -- Begin function _ZN7rocprim17ROCPRIM_400000_NS6detail17trampoline_kernelINS0_13select_configILj256ELj13ELNS0_17block_load_methodE3ELS4_3ELS4_3ELNS0_20block_scan_algorithmE0ELj4294967295EEENS1_25partition_config_selectorILNS1_17partition_subalgoE4EjNS0_10empty_typeEbEEZZNS1_14partition_implILS8_4ELb0ES6_15HIP_vector_typeIjLj2EENS0_17counting_iteratorIjlEEPS9_SG_NS0_5tupleIJPjSI_NS0_16reverse_iteratorISI_EEEEENSH_IJSG_SG_SG_EEES9_SI_JZNS1_25segmented_radix_sort_implINS0_14default_configELb0EPKaPaPKlPlN2at6native12_GLOBAL__N_18offset_tEEE10hipError_tPvRmT1_PNSt15iterator_traitsIS12_E10value_typeET2_T3_PNS13_IS18_E10value_typeET4_jRbjT5_S1E_jjP12ihipStream_tbEUljE_ZNSN_ISO_Lb0ESQ_SR_ST_SU_SY_EESZ_S10_S11_S12_S16_S17_S18_S1B_S1C_jS1D_jS1E_S1E_jjS1G_bEUljE0_EEESZ_S10_S11_S18_S1C_S1E_T6_T7_T9_mT8_S1G_bDpT10_ENKUlT_T0_E_clISt17integral_constantIbLb0EES1U_EEDaS1P_S1Q_EUlS1P_E_NS1_11comp_targetILNS1_3genE5ELNS1_11target_archE942ELNS1_3gpuE9ELNS1_3repE0EEENS1_30default_config_static_selectorELNS0_4arch9wavefront6targetE0EEEvS12_
	.p2align	8
	.type	_ZN7rocprim17ROCPRIM_400000_NS6detail17trampoline_kernelINS0_13select_configILj256ELj13ELNS0_17block_load_methodE3ELS4_3ELS4_3ELNS0_20block_scan_algorithmE0ELj4294967295EEENS1_25partition_config_selectorILNS1_17partition_subalgoE4EjNS0_10empty_typeEbEEZZNS1_14partition_implILS8_4ELb0ES6_15HIP_vector_typeIjLj2EENS0_17counting_iteratorIjlEEPS9_SG_NS0_5tupleIJPjSI_NS0_16reverse_iteratorISI_EEEEENSH_IJSG_SG_SG_EEES9_SI_JZNS1_25segmented_radix_sort_implINS0_14default_configELb0EPKaPaPKlPlN2at6native12_GLOBAL__N_18offset_tEEE10hipError_tPvRmT1_PNSt15iterator_traitsIS12_E10value_typeET2_T3_PNS13_IS18_E10value_typeET4_jRbjT5_S1E_jjP12ihipStream_tbEUljE_ZNSN_ISO_Lb0ESQ_SR_ST_SU_SY_EESZ_S10_S11_S12_S16_S17_S18_S1B_S1C_jS1D_jS1E_S1E_jjS1G_bEUljE0_EEESZ_S10_S11_S18_S1C_S1E_T6_T7_T9_mT8_S1G_bDpT10_ENKUlT_T0_E_clISt17integral_constantIbLb0EES1U_EEDaS1P_S1Q_EUlS1P_E_NS1_11comp_targetILNS1_3genE5ELNS1_11target_archE942ELNS1_3gpuE9ELNS1_3repE0EEENS1_30default_config_static_selectorELNS0_4arch9wavefront6targetE0EEEvS12_,@function
_ZN7rocprim17ROCPRIM_400000_NS6detail17trampoline_kernelINS0_13select_configILj256ELj13ELNS0_17block_load_methodE3ELS4_3ELS4_3ELNS0_20block_scan_algorithmE0ELj4294967295EEENS1_25partition_config_selectorILNS1_17partition_subalgoE4EjNS0_10empty_typeEbEEZZNS1_14partition_implILS8_4ELb0ES6_15HIP_vector_typeIjLj2EENS0_17counting_iteratorIjlEEPS9_SG_NS0_5tupleIJPjSI_NS0_16reverse_iteratorISI_EEEEENSH_IJSG_SG_SG_EEES9_SI_JZNS1_25segmented_radix_sort_implINS0_14default_configELb0EPKaPaPKlPlN2at6native12_GLOBAL__N_18offset_tEEE10hipError_tPvRmT1_PNSt15iterator_traitsIS12_E10value_typeET2_T3_PNS13_IS18_E10value_typeET4_jRbjT5_S1E_jjP12ihipStream_tbEUljE_ZNSN_ISO_Lb0ESQ_SR_ST_SU_SY_EESZ_S10_S11_S12_S16_S17_S18_S1B_S1C_jS1D_jS1E_S1E_jjS1G_bEUljE0_EEESZ_S10_S11_S18_S1C_S1E_T6_T7_T9_mT8_S1G_bDpT10_ENKUlT_T0_E_clISt17integral_constantIbLb0EES1U_EEDaS1P_S1Q_EUlS1P_E_NS1_11comp_targetILNS1_3genE5ELNS1_11target_archE942ELNS1_3gpuE9ELNS1_3repE0EEENS1_30default_config_static_selectorELNS0_4arch9wavefront6targetE0EEEvS12_: ; @_ZN7rocprim17ROCPRIM_400000_NS6detail17trampoline_kernelINS0_13select_configILj256ELj13ELNS0_17block_load_methodE3ELS4_3ELS4_3ELNS0_20block_scan_algorithmE0ELj4294967295EEENS1_25partition_config_selectorILNS1_17partition_subalgoE4EjNS0_10empty_typeEbEEZZNS1_14partition_implILS8_4ELb0ES6_15HIP_vector_typeIjLj2EENS0_17counting_iteratorIjlEEPS9_SG_NS0_5tupleIJPjSI_NS0_16reverse_iteratorISI_EEEEENSH_IJSG_SG_SG_EEES9_SI_JZNS1_25segmented_radix_sort_implINS0_14default_configELb0EPKaPaPKlPlN2at6native12_GLOBAL__N_18offset_tEEE10hipError_tPvRmT1_PNSt15iterator_traitsIS12_E10value_typeET2_T3_PNS13_IS18_E10value_typeET4_jRbjT5_S1E_jjP12ihipStream_tbEUljE_ZNSN_ISO_Lb0ESQ_SR_ST_SU_SY_EESZ_S10_S11_S12_S16_S17_S18_S1B_S1C_jS1D_jS1E_S1E_jjS1G_bEUljE0_EEESZ_S10_S11_S18_S1C_S1E_T6_T7_T9_mT8_S1G_bDpT10_ENKUlT_T0_E_clISt17integral_constantIbLb0EES1U_EEDaS1P_S1Q_EUlS1P_E_NS1_11comp_targetILNS1_3genE5ELNS1_11target_archE942ELNS1_3gpuE9ELNS1_3repE0EEENS1_30default_config_static_selectorELNS0_4arch9wavefront6targetE0EEEvS12_
; %bb.0:
	.section	.rodata,"a",@progbits
	.p2align	6, 0x0
	.amdhsa_kernel _ZN7rocprim17ROCPRIM_400000_NS6detail17trampoline_kernelINS0_13select_configILj256ELj13ELNS0_17block_load_methodE3ELS4_3ELS4_3ELNS0_20block_scan_algorithmE0ELj4294967295EEENS1_25partition_config_selectorILNS1_17partition_subalgoE4EjNS0_10empty_typeEbEEZZNS1_14partition_implILS8_4ELb0ES6_15HIP_vector_typeIjLj2EENS0_17counting_iteratorIjlEEPS9_SG_NS0_5tupleIJPjSI_NS0_16reverse_iteratorISI_EEEEENSH_IJSG_SG_SG_EEES9_SI_JZNS1_25segmented_radix_sort_implINS0_14default_configELb0EPKaPaPKlPlN2at6native12_GLOBAL__N_18offset_tEEE10hipError_tPvRmT1_PNSt15iterator_traitsIS12_E10value_typeET2_T3_PNS13_IS18_E10value_typeET4_jRbjT5_S1E_jjP12ihipStream_tbEUljE_ZNSN_ISO_Lb0ESQ_SR_ST_SU_SY_EESZ_S10_S11_S12_S16_S17_S18_S1B_S1C_jS1D_jS1E_S1E_jjS1G_bEUljE0_EEESZ_S10_S11_S18_S1C_S1E_T6_T7_T9_mT8_S1G_bDpT10_ENKUlT_T0_E_clISt17integral_constantIbLb0EES1U_EEDaS1P_S1Q_EUlS1P_E_NS1_11comp_targetILNS1_3genE5ELNS1_11target_archE942ELNS1_3gpuE9ELNS1_3repE0EEENS1_30default_config_static_selectorELNS0_4arch9wavefront6targetE0EEEvS12_
		.amdhsa_group_segment_fixed_size 0
		.amdhsa_private_segment_fixed_size 0
		.amdhsa_kernarg_size 176
		.amdhsa_user_sgpr_count 2
		.amdhsa_user_sgpr_dispatch_ptr 0
		.amdhsa_user_sgpr_queue_ptr 0
		.amdhsa_user_sgpr_kernarg_segment_ptr 1
		.amdhsa_user_sgpr_dispatch_id 0
		.amdhsa_user_sgpr_kernarg_preload_length 0
		.amdhsa_user_sgpr_kernarg_preload_offset 0
		.amdhsa_user_sgpr_private_segment_size 0
		.amdhsa_wavefront_size32 1
		.amdhsa_uses_dynamic_stack 0
		.amdhsa_enable_private_segment 0
		.amdhsa_system_sgpr_workgroup_id_x 1
		.amdhsa_system_sgpr_workgroup_id_y 0
		.amdhsa_system_sgpr_workgroup_id_z 0
		.amdhsa_system_sgpr_workgroup_info 0
		.amdhsa_system_vgpr_workitem_id 0
		.amdhsa_next_free_vgpr 1
		.amdhsa_next_free_sgpr 1
		.amdhsa_named_barrier_count 0
		.amdhsa_reserve_vcc 0
		.amdhsa_float_round_mode_32 0
		.amdhsa_float_round_mode_16_64 0
		.amdhsa_float_denorm_mode_32 3
		.amdhsa_float_denorm_mode_16_64 3
		.amdhsa_fp16_overflow 0
		.amdhsa_memory_ordered 1
		.amdhsa_forward_progress 1
		.amdhsa_inst_pref_size 0
		.amdhsa_round_robin_scheduling 0
		.amdhsa_exception_fp_ieee_invalid_op 0
		.amdhsa_exception_fp_denorm_src 0
		.amdhsa_exception_fp_ieee_div_zero 0
		.amdhsa_exception_fp_ieee_overflow 0
		.amdhsa_exception_fp_ieee_underflow 0
		.amdhsa_exception_fp_ieee_inexact 0
		.amdhsa_exception_int_div_zero 0
	.end_amdhsa_kernel
	.section	.text._ZN7rocprim17ROCPRIM_400000_NS6detail17trampoline_kernelINS0_13select_configILj256ELj13ELNS0_17block_load_methodE3ELS4_3ELS4_3ELNS0_20block_scan_algorithmE0ELj4294967295EEENS1_25partition_config_selectorILNS1_17partition_subalgoE4EjNS0_10empty_typeEbEEZZNS1_14partition_implILS8_4ELb0ES6_15HIP_vector_typeIjLj2EENS0_17counting_iteratorIjlEEPS9_SG_NS0_5tupleIJPjSI_NS0_16reverse_iteratorISI_EEEEENSH_IJSG_SG_SG_EEES9_SI_JZNS1_25segmented_radix_sort_implINS0_14default_configELb0EPKaPaPKlPlN2at6native12_GLOBAL__N_18offset_tEEE10hipError_tPvRmT1_PNSt15iterator_traitsIS12_E10value_typeET2_T3_PNS13_IS18_E10value_typeET4_jRbjT5_S1E_jjP12ihipStream_tbEUljE_ZNSN_ISO_Lb0ESQ_SR_ST_SU_SY_EESZ_S10_S11_S12_S16_S17_S18_S1B_S1C_jS1D_jS1E_S1E_jjS1G_bEUljE0_EEESZ_S10_S11_S18_S1C_S1E_T6_T7_T9_mT8_S1G_bDpT10_ENKUlT_T0_E_clISt17integral_constantIbLb0EES1U_EEDaS1P_S1Q_EUlS1P_E_NS1_11comp_targetILNS1_3genE5ELNS1_11target_archE942ELNS1_3gpuE9ELNS1_3repE0EEENS1_30default_config_static_selectorELNS0_4arch9wavefront6targetE0EEEvS12_,"axG",@progbits,_ZN7rocprim17ROCPRIM_400000_NS6detail17trampoline_kernelINS0_13select_configILj256ELj13ELNS0_17block_load_methodE3ELS4_3ELS4_3ELNS0_20block_scan_algorithmE0ELj4294967295EEENS1_25partition_config_selectorILNS1_17partition_subalgoE4EjNS0_10empty_typeEbEEZZNS1_14partition_implILS8_4ELb0ES6_15HIP_vector_typeIjLj2EENS0_17counting_iteratorIjlEEPS9_SG_NS0_5tupleIJPjSI_NS0_16reverse_iteratorISI_EEEEENSH_IJSG_SG_SG_EEES9_SI_JZNS1_25segmented_radix_sort_implINS0_14default_configELb0EPKaPaPKlPlN2at6native12_GLOBAL__N_18offset_tEEE10hipError_tPvRmT1_PNSt15iterator_traitsIS12_E10value_typeET2_T3_PNS13_IS18_E10value_typeET4_jRbjT5_S1E_jjP12ihipStream_tbEUljE_ZNSN_ISO_Lb0ESQ_SR_ST_SU_SY_EESZ_S10_S11_S12_S16_S17_S18_S1B_S1C_jS1D_jS1E_S1E_jjS1G_bEUljE0_EEESZ_S10_S11_S18_S1C_S1E_T6_T7_T9_mT8_S1G_bDpT10_ENKUlT_T0_E_clISt17integral_constantIbLb0EES1U_EEDaS1P_S1Q_EUlS1P_E_NS1_11comp_targetILNS1_3genE5ELNS1_11target_archE942ELNS1_3gpuE9ELNS1_3repE0EEENS1_30default_config_static_selectorELNS0_4arch9wavefront6targetE0EEEvS12_,comdat
.Lfunc_end327:
	.size	_ZN7rocprim17ROCPRIM_400000_NS6detail17trampoline_kernelINS0_13select_configILj256ELj13ELNS0_17block_load_methodE3ELS4_3ELS4_3ELNS0_20block_scan_algorithmE0ELj4294967295EEENS1_25partition_config_selectorILNS1_17partition_subalgoE4EjNS0_10empty_typeEbEEZZNS1_14partition_implILS8_4ELb0ES6_15HIP_vector_typeIjLj2EENS0_17counting_iteratorIjlEEPS9_SG_NS0_5tupleIJPjSI_NS0_16reverse_iteratorISI_EEEEENSH_IJSG_SG_SG_EEES9_SI_JZNS1_25segmented_radix_sort_implINS0_14default_configELb0EPKaPaPKlPlN2at6native12_GLOBAL__N_18offset_tEEE10hipError_tPvRmT1_PNSt15iterator_traitsIS12_E10value_typeET2_T3_PNS13_IS18_E10value_typeET4_jRbjT5_S1E_jjP12ihipStream_tbEUljE_ZNSN_ISO_Lb0ESQ_SR_ST_SU_SY_EESZ_S10_S11_S12_S16_S17_S18_S1B_S1C_jS1D_jS1E_S1E_jjS1G_bEUljE0_EEESZ_S10_S11_S18_S1C_S1E_T6_T7_T9_mT8_S1G_bDpT10_ENKUlT_T0_E_clISt17integral_constantIbLb0EES1U_EEDaS1P_S1Q_EUlS1P_E_NS1_11comp_targetILNS1_3genE5ELNS1_11target_archE942ELNS1_3gpuE9ELNS1_3repE0EEENS1_30default_config_static_selectorELNS0_4arch9wavefront6targetE0EEEvS12_, .Lfunc_end327-_ZN7rocprim17ROCPRIM_400000_NS6detail17trampoline_kernelINS0_13select_configILj256ELj13ELNS0_17block_load_methodE3ELS4_3ELS4_3ELNS0_20block_scan_algorithmE0ELj4294967295EEENS1_25partition_config_selectorILNS1_17partition_subalgoE4EjNS0_10empty_typeEbEEZZNS1_14partition_implILS8_4ELb0ES6_15HIP_vector_typeIjLj2EENS0_17counting_iteratorIjlEEPS9_SG_NS0_5tupleIJPjSI_NS0_16reverse_iteratorISI_EEEEENSH_IJSG_SG_SG_EEES9_SI_JZNS1_25segmented_radix_sort_implINS0_14default_configELb0EPKaPaPKlPlN2at6native12_GLOBAL__N_18offset_tEEE10hipError_tPvRmT1_PNSt15iterator_traitsIS12_E10value_typeET2_T3_PNS13_IS18_E10value_typeET4_jRbjT5_S1E_jjP12ihipStream_tbEUljE_ZNSN_ISO_Lb0ESQ_SR_ST_SU_SY_EESZ_S10_S11_S12_S16_S17_S18_S1B_S1C_jS1D_jS1E_S1E_jjS1G_bEUljE0_EEESZ_S10_S11_S18_S1C_S1E_T6_T7_T9_mT8_S1G_bDpT10_ENKUlT_T0_E_clISt17integral_constantIbLb0EES1U_EEDaS1P_S1Q_EUlS1P_E_NS1_11comp_targetILNS1_3genE5ELNS1_11target_archE942ELNS1_3gpuE9ELNS1_3repE0EEENS1_30default_config_static_selectorELNS0_4arch9wavefront6targetE0EEEvS12_
                                        ; -- End function
	.set _ZN7rocprim17ROCPRIM_400000_NS6detail17trampoline_kernelINS0_13select_configILj256ELj13ELNS0_17block_load_methodE3ELS4_3ELS4_3ELNS0_20block_scan_algorithmE0ELj4294967295EEENS1_25partition_config_selectorILNS1_17partition_subalgoE4EjNS0_10empty_typeEbEEZZNS1_14partition_implILS8_4ELb0ES6_15HIP_vector_typeIjLj2EENS0_17counting_iteratorIjlEEPS9_SG_NS0_5tupleIJPjSI_NS0_16reverse_iteratorISI_EEEEENSH_IJSG_SG_SG_EEES9_SI_JZNS1_25segmented_radix_sort_implINS0_14default_configELb0EPKaPaPKlPlN2at6native12_GLOBAL__N_18offset_tEEE10hipError_tPvRmT1_PNSt15iterator_traitsIS12_E10value_typeET2_T3_PNS13_IS18_E10value_typeET4_jRbjT5_S1E_jjP12ihipStream_tbEUljE_ZNSN_ISO_Lb0ESQ_SR_ST_SU_SY_EESZ_S10_S11_S12_S16_S17_S18_S1B_S1C_jS1D_jS1E_S1E_jjS1G_bEUljE0_EEESZ_S10_S11_S18_S1C_S1E_T6_T7_T9_mT8_S1G_bDpT10_ENKUlT_T0_E_clISt17integral_constantIbLb0EES1U_EEDaS1P_S1Q_EUlS1P_E_NS1_11comp_targetILNS1_3genE5ELNS1_11target_archE942ELNS1_3gpuE9ELNS1_3repE0EEENS1_30default_config_static_selectorELNS0_4arch9wavefront6targetE0EEEvS12_.num_vgpr, 0
	.set _ZN7rocprim17ROCPRIM_400000_NS6detail17trampoline_kernelINS0_13select_configILj256ELj13ELNS0_17block_load_methodE3ELS4_3ELS4_3ELNS0_20block_scan_algorithmE0ELj4294967295EEENS1_25partition_config_selectorILNS1_17partition_subalgoE4EjNS0_10empty_typeEbEEZZNS1_14partition_implILS8_4ELb0ES6_15HIP_vector_typeIjLj2EENS0_17counting_iteratorIjlEEPS9_SG_NS0_5tupleIJPjSI_NS0_16reverse_iteratorISI_EEEEENSH_IJSG_SG_SG_EEES9_SI_JZNS1_25segmented_radix_sort_implINS0_14default_configELb0EPKaPaPKlPlN2at6native12_GLOBAL__N_18offset_tEEE10hipError_tPvRmT1_PNSt15iterator_traitsIS12_E10value_typeET2_T3_PNS13_IS18_E10value_typeET4_jRbjT5_S1E_jjP12ihipStream_tbEUljE_ZNSN_ISO_Lb0ESQ_SR_ST_SU_SY_EESZ_S10_S11_S12_S16_S17_S18_S1B_S1C_jS1D_jS1E_S1E_jjS1G_bEUljE0_EEESZ_S10_S11_S18_S1C_S1E_T6_T7_T9_mT8_S1G_bDpT10_ENKUlT_T0_E_clISt17integral_constantIbLb0EES1U_EEDaS1P_S1Q_EUlS1P_E_NS1_11comp_targetILNS1_3genE5ELNS1_11target_archE942ELNS1_3gpuE9ELNS1_3repE0EEENS1_30default_config_static_selectorELNS0_4arch9wavefront6targetE0EEEvS12_.num_agpr, 0
	.set _ZN7rocprim17ROCPRIM_400000_NS6detail17trampoline_kernelINS0_13select_configILj256ELj13ELNS0_17block_load_methodE3ELS4_3ELS4_3ELNS0_20block_scan_algorithmE0ELj4294967295EEENS1_25partition_config_selectorILNS1_17partition_subalgoE4EjNS0_10empty_typeEbEEZZNS1_14partition_implILS8_4ELb0ES6_15HIP_vector_typeIjLj2EENS0_17counting_iteratorIjlEEPS9_SG_NS0_5tupleIJPjSI_NS0_16reverse_iteratorISI_EEEEENSH_IJSG_SG_SG_EEES9_SI_JZNS1_25segmented_radix_sort_implINS0_14default_configELb0EPKaPaPKlPlN2at6native12_GLOBAL__N_18offset_tEEE10hipError_tPvRmT1_PNSt15iterator_traitsIS12_E10value_typeET2_T3_PNS13_IS18_E10value_typeET4_jRbjT5_S1E_jjP12ihipStream_tbEUljE_ZNSN_ISO_Lb0ESQ_SR_ST_SU_SY_EESZ_S10_S11_S12_S16_S17_S18_S1B_S1C_jS1D_jS1E_S1E_jjS1G_bEUljE0_EEESZ_S10_S11_S18_S1C_S1E_T6_T7_T9_mT8_S1G_bDpT10_ENKUlT_T0_E_clISt17integral_constantIbLb0EES1U_EEDaS1P_S1Q_EUlS1P_E_NS1_11comp_targetILNS1_3genE5ELNS1_11target_archE942ELNS1_3gpuE9ELNS1_3repE0EEENS1_30default_config_static_selectorELNS0_4arch9wavefront6targetE0EEEvS12_.numbered_sgpr, 0
	.set _ZN7rocprim17ROCPRIM_400000_NS6detail17trampoline_kernelINS0_13select_configILj256ELj13ELNS0_17block_load_methodE3ELS4_3ELS4_3ELNS0_20block_scan_algorithmE0ELj4294967295EEENS1_25partition_config_selectorILNS1_17partition_subalgoE4EjNS0_10empty_typeEbEEZZNS1_14partition_implILS8_4ELb0ES6_15HIP_vector_typeIjLj2EENS0_17counting_iteratorIjlEEPS9_SG_NS0_5tupleIJPjSI_NS0_16reverse_iteratorISI_EEEEENSH_IJSG_SG_SG_EEES9_SI_JZNS1_25segmented_radix_sort_implINS0_14default_configELb0EPKaPaPKlPlN2at6native12_GLOBAL__N_18offset_tEEE10hipError_tPvRmT1_PNSt15iterator_traitsIS12_E10value_typeET2_T3_PNS13_IS18_E10value_typeET4_jRbjT5_S1E_jjP12ihipStream_tbEUljE_ZNSN_ISO_Lb0ESQ_SR_ST_SU_SY_EESZ_S10_S11_S12_S16_S17_S18_S1B_S1C_jS1D_jS1E_S1E_jjS1G_bEUljE0_EEESZ_S10_S11_S18_S1C_S1E_T6_T7_T9_mT8_S1G_bDpT10_ENKUlT_T0_E_clISt17integral_constantIbLb0EES1U_EEDaS1P_S1Q_EUlS1P_E_NS1_11comp_targetILNS1_3genE5ELNS1_11target_archE942ELNS1_3gpuE9ELNS1_3repE0EEENS1_30default_config_static_selectorELNS0_4arch9wavefront6targetE0EEEvS12_.num_named_barrier, 0
	.set _ZN7rocprim17ROCPRIM_400000_NS6detail17trampoline_kernelINS0_13select_configILj256ELj13ELNS0_17block_load_methodE3ELS4_3ELS4_3ELNS0_20block_scan_algorithmE0ELj4294967295EEENS1_25partition_config_selectorILNS1_17partition_subalgoE4EjNS0_10empty_typeEbEEZZNS1_14partition_implILS8_4ELb0ES6_15HIP_vector_typeIjLj2EENS0_17counting_iteratorIjlEEPS9_SG_NS0_5tupleIJPjSI_NS0_16reverse_iteratorISI_EEEEENSH_IJSG_SG_SG_EEES9_SI_JZNS1_25segmented_radix_sort_implINS0_14default_configELb0EPKaPaPKlPlN2at6native12_GLOBAL__N_18offset_tEEE10hipError_tPvRmT1_PNSt15iterator_traitsIS12_E10value_typeET2_T3_PNS13_IS18_E10value_typeET4_jRbjT5_S1E_jjP12ihipStream_tbEUljE_ZNSN_ISO_Lb0ESQ_SR_ST_SU_SY_EESZ_S10_S11_S12_S16_S17_S18_S1B_S1C_jS1D_jS1E_S1E_jjS1G_bEUljE0_EEESZ_S10_S11_S18_S1C_S1E_T6_T7_T9_mT8_S1G_bDpT10_ENKUlT_T0_E_clISt17integral_constantIbLb0EES1U_EEDaS1P_S1Q_EUlS1P_E_NS1_11comp_targetILNS1_3genE5ELNS1_11target_archE942ELNS1_3gpuE9ELNS1_3repE0EEENS1_30default_config_static_selectorELNS0_4arch9wavefront6targetE0EEEvS12_.private_seg_size, 0
	.set _ZN7rocprim17ROCPRIM_400000_NS6detail17trampoline_kernelINS0_13select_configILj256ELj13ELNS0_17block_load_methodE3ELS4_3ELS4_3ELNS0_20block_scan_algorithmE0ELj4294967295EEENS1_25partition_config_selectorILNS1_17partition_subalgoE4EjNS0_10empty_typeEbEEZZNS1_14partition_implILS8_4ELb0ES6_15HIP_vector_typeIjLj2EENS0_17counting_iteratorIjlEEPS9_SG_NS0_5tupleIJPjSI_NS0_16reverse_iteratorISI_EEEEENSH_IJSG_SG_SG_EEES9_SI_JZNS1_25segmented_radix_sort_implINS0_14default_configELb0EPKaPaPKlPlN2at6native12_GLOBAL__N_18offset_tEEE10hipError_tPvRmT1_PNSt15iterator_traitsIS12_E10value_typeET2_T3_PNS13_IS18_E10value_typeET4_jRbjT5_S1E_jjP12ihipStream_tbEUljE_ZNSN_ISO_Lb0ESQ_SR_ST_SU_SY_EESZ_S10_S11_S12_S16_S17_S18_S1B_S1C_jS1D_jS1E_S1E_jjS1G_bEUljE0_EEESZ_S10_S11_S18_S1C_S1E_T6_T7_T9_mT8_S1G_bDpT10_ENKUlT_T0_E_clISt17integral_constantIbLb0EES1U_EEDaS1P_S1Q_EUlS1P_E_NS1_11comp_targetILNS1_3genE5ELNS1_11target_archE942ELNS1_3gpuE9ELNS1_3repE0EEENS1_30default_config_static_selectorELNS0_4arch9wavefront6targetE0EEEvS12_.uses_vcc, 0
	.set _ZN7rocprim17ROCPRIM_400000_NS6detail17trampoline_kernelINS0_13select_configILj256ELj13ELNS0_17block_load_methodE3ELS4_3ELS4_3ELNS0_20block_scan_algorithmE0ELj4294967295EEENS1_25partition_config_selectorILNS1_17partition_subalgoE4EjNS0_10empty_typeEbEEZZNS1_14partition_implILS8_4ELb0ES6_15HIP_vector_typeIjLj2EENS0_17counting_iteratorIjlEEPS9_SG_NS0_5tupleIJPjSI_NS0_16reverse_iteratorISI_EEEEENSH_IJSG_SG_SG_EEES9_SI_JZNS1_25segmented_radix_sort_implINS0_14default_configELb0EPKaPaPKlPlN2at6native12_GLOBAL__N_18offset_tEEE10hipError_tPvRmT1_PNSt15iterator_traitsIS12_E10value_typeET2_T3_PNS13_IS18_E10value_typeET4_jRbjT5_S1E_jjP12ihipStream_tbEUljE_ZNSN_ISO_Lb0ESQ_SR_ST_SU_SY_EESZ_S10_S11_S12_S16_S17_S18_S1B_S1C_jS1D_jS1E_S1E_jjS1G_bEUljE0_EEESZ_S10_S11_S18_S1C_S1E_T6_T7_T9_mT8_S1G_bDpT10_ENKUlT_T0_E_clISt17integral_constantIbLb0EES1U_EEDaS1P_S1Q_EUlS1P_E_NS1_11comp_targetILNS1_3genE5ELNS1_11target_archE942ELNS1_3gpuE9ELNS1_3repE0EEENS1_30default_config_static_selectorELNS0_4arch9wavefront6targetE0EEEvS12_.uses_flat_scratch, 0
	.set _ZN7rocprim17ROCPRIM_400000_NS6detail17trampoline_kernelINS0_13select_configILj256ELj13ELNS0_17block_load_methodE3ELS4_3ELS4_3ELNS0_20block_scan_algorithmE0ELj4294967295EEENS1_25partition_config_selectorILNS1_17partition_subalgoE4EjNS0_10empty_typeEbEEZZNS1_14partition_implILS8_4ELb0ES6_15HIP_vector_typeIjLj2EENS0_17counting_iteratorIjlEEPS9_SG_NS0_5tupleIJPjSI_NS0_16reverse_iteratorISI_EEEEENSH_IJSG_SG_SG_EEES9_SI_JZNS1_25segmented_radix_sort_implINS0_14default_configELb0EPKaPaPKlPlN2at6native12_GLOBAL__N_18offset_tEEE10hipError_tPvRmT1_PNSt15iterator_traitsIS12_E10value_typeET2_T3_PNS13_IS18_E10value_typeET4_jRbjT5_S1E_jjP12ihipStream_tbEUljE_ZNSN_ISO_Lb0ESQ_SR_ST_SU_SY_EESZ_S10_S11_S12_S16_S17_S18_S1B_S1C_jS1D_jS1E_S1E_jjS1G_bEUljE0_EEESZ_S10_S11_S18_S1C_S1E_T6_T7_T9_mT8_S1G_bDpT10_ENKUlT_T0_E_clISt17integral_constantIbLb0EES1U_EEDaS1P_S1Q_EUlS1P_E_NS1_11comp_targetILNS1_3genE5ELNS1_11target_archE942ELNS1_3gpuE9ELNS1_3repE0EEENS1_30default_config_static_selectorELNS0_4arch9wavefront6targetE0EEEvS12_.has_dyn_sized_stack, 0
	.set _ZN7rocprim17ROCPRIM_400000_NS6detail17trampoline_kernelINS0_13select_configILj256ELj13ELNS0_17block_load_methodE3ELS4_3ELS4_3ELNS0_20block_scan_algorithmE0ELj4294967295EEENS1_25partition_config_selectorILNS1_17partition_subalgoE4EjNS0_10empty_typeEbEEZZNS1_14partition_implILS8_4ELb0ES6_15HIP_vector_typeIjLj2EENS0_17counting_iteratorIjlEEPS9_SG_NS0_5tupleIJPjSI_NS0_16reverse_iteratorISI_EEEEENSH_IJSG_SG_SG_EEES9_SI_JZNS1_25segmented_radix_sort_implINS0_14default_configELb0EPKaPaPKlPlN2at6native12_GLOBAL__N_18offset_tEEE10hipError_tPvRmT1_PNSt15iterator_traitsIS12_E10value_typeET2_T3_PNS13_IS18_E10value_typeET4_jRbjT5_S1E_jjP12ihipStream_tbEUljE_ZNSN_ISO_Lb0ESQ_SR_ST_SU_SY_EESZ_S10_S11_S12_S16_S17_S18_S1B_S1C_jS1D_jS1E_S1E_jjS1G_bEUljE0_EEESZ_S10_S11_S18_S1C_S1E_T6_T7_T9_mT8_S1G_bDpT10_ENKUlT_T0_E_clISt17integral_constantIbLb0EES1U_EEDaS1P_S1Q_EUlS1P_E_NS1_11comp_targetILNS1_3genE5ELNS1_11target_archE942ELNS1_3gpuE9ELNS1_3repE0EEENS1_30default_config_static_selectorELNS0_4arch9wavefront6targetE0EEEvS12_.has_recursion, 0
	.set _ZN7rocprim17ROCPRIM_400000_NS6detail17trampoline_kernelINS0_13select_configILj256ELj13ELNS0_17block_load_methodE3ELS4_3ELS4_3ELNS0_20block_scan_algorithmE0ELj4294967295EEENS1_25partition_config_selectorILNS1_17partition_subalgoE4EjNS0_10empty_typeEbEEZZNS1_14partition_implILS8_4ELb0ES6_15HIP_vector_typeIjLj2EENS0_17counting_iteratorIjlEEPS9_SG_NS0_5tupleIJPjSI_NS0_16reverse_iteratorISI_EEEEENSH_IJSG_SG_SG_EEES9_SI_JZNS1_25segmented_radix_sort_implINS0_14default_configELb0EPKaPaPKlPlN2at6native12_GLOBAL__N_18offset_tEEE10hipError_tPvRmT1_PNSt15iterator_traitsIS12_E10value_typeET2_T3_PNS13_IS18_E10value_typeET4_jRbjT5_S1E_jjP12ihipStream_tbEUljE_ZNSN_ISO_Lb0ESQ_SR_ST_SU_SY_EESZ_S10_S11_S12_S16_S17_S18_S1B_S1C_jS1D_jS1E_S1E_jjS1G_bEUljE0_EEESZ_S10_S11_S18_S1C_S1E_T6_T7_T9_mT8_S1G_bDpT10_ENKUlT_T0_E_clISt17integral_constantIbLb0EES1U_EEDaS1P_S1Q_EUlS1P_E_NS1_11comp_targetILNS1_3genE5ELNS1_11target_archE942ELNS1_3gpuE9ELNS1_3repE0EEENS1_30default_config_static_selectorELNS0_4arch9wavefront6targetE0EEEvS12_.has_indirect_call, 0
	.section	.AMDGPU.csdata,"",@progbits
; Kernel info:
; codeLenInByte = 0
; TotalNumSgprs: 0
; NumVgprs: 0
; ScratchSize: 0
; MemoryBound: 0
; FloatMode: 240
; IeeeMode: 1
; LDSByteSize: 0 bytes/workgroup (compile time only)
; SGPRBlocks: 0
; VGPRBlocks: 0
; NumSGPRsForWavesPerEU: 1
; NumVGPRsForWavesPerEU: 1
; NamedBarCnt: 0
; Occupancy: 16
; WaveLimiterHint : 0
; COMPUTE_PGM_RSRC2:SCRATCH_EN: 0
; COMPUTE_PGM_RSRC2:USER_SGPR: 2
; COMPUTE_PGM_RSRC2:TRAP_HANDLER: 0
; COMPUTE_PGM_RSRC2:TGID_X_EN: 1
; COMPUTE_PGM_RSRC2:TGID_Y_EN: 0
; COMPUTE_PGM_RSRC2:TGID_Z_EN: 0
; COMPUTE_PGM_RSRC2:TIDIG_COMP_CNT: 0
	.section	.text._ZN7rocprim17ROCPRIM_400000_NS6detail17trampoline_kernelINS0_13select_configILj256ELj13ELNS0_17block_load_methodE3ELS4_3ELS4_3ELNS0_20block_scan_algorithmE0ELj4294967295EEENS1_25partition_config_selectorILNS1_17partition_subalgoE4EjNS0_10empty_typeEbEEZZNS1_14partition_implILS8_4ELb0ES6_15HIP_vector_typeIjLj2EENS0_17counting_iteratorIjlEEPS9_SG_NS0_5tupleIJPjSI_NS0_16reverse_iteratorISI_EEEEENSH_IJSG_SG_SG_EEES9_SI_JZNS1_25segmented_radix_sort_implINS0_14default_configELb0EPKaPaPKlPlN2at6native12_GLOBAL__N_18offset_tEEE10hipError_tPvRmT1_PNSt15iterator_traitsIS12_E10value_typeET2_T3_PNS13_IS18_E10value_typeET4_jRbjT5_S1E_jjP12ihipStream_tbEUljE_ZNSN_ISO_Lb0ESQ_SR_ST_SU_SY_EESZ_S10_S11_S12_S16_S17_S18_S1B_S1C_jS1D_jS1E_S1E_jjS1G_bEUljE0_EEESZ_S10_S11_S18_S1C_S1E_T6_T7_T9_mT8_S1G_bDpT10_ENKUlT_T0_E_clISt17integral_constantIbLb0EES1U_EEDaS1P_S1Q_EUlS1P_E_NS1_11comp_targetILNS1_3genE4ELNS1_11target_archE910ELNS1_3gpuE8ELNS1_3repE0EEENS1_30default_config_static_selectorELNS0_4arch9wavefront6targetE0EEEvS12_,"axG",@progbits,_ZN7rocprim17ROCPRIM_400000_NS6detail17trampoline_kernelINS0_13select_configILj256ELj13ELNS0_17block_load_methodE3ELS4_3ELS4_3ELNS0_20block_scan_algorithmE0ELj4294967295EEENS1_25partition_config_selectorILNS1_17partition_subalgoE4EjNS0_10empty_typeEbEEZZNS1_14partition_implILS8_4ELb0ES6_15HIP_vector_typeIjLj2EENS0_17counting_iteratorIjlEEPS9_SG_NS0_5tupleIJPjSI_NS0_16reverse_iteratorISI_EEEEENSH_IJSG_SG_SG_EEES9_SI_JZNS1_25segmented_radix_sort_implINS0_14default_configELb0EPKaPaPKlPlN2at6native12_GLOBAL__N_18offset_tEEE10hipError_tPvRmT1_PNSt15iterator_traitsIS12_E10value_typeET2_T3_PNS13_IS18_E10value_typeET4_jRbjT5_S1E_jjP12ihipStream_tbEUljE_ZNSN_ISO_Lb0ESQ_SR_ST_SU_SY_EESZ_S10_S11_S12_S16_S17_S18_S1B_S1C_jS1D_jS1E_S1E_jjS1G_bEUljE0_EEESZ_S10_S11_S18_S1C_S1E_T6_T7_T9_mT8_S1G_bDpT10_ENKUlT_T0_E_clISt17integral_constantIbLb0EES1U_EEDaS1P_S1Q_EUlS1P_E_NS1_11comp_targetILNS1_3genE4ELNS1_11target_archE910ELNS1_3gpuE8ELNS1_3repE0EEENS1_30default_config_static_selectorELNS0_4arch9wavefront6targetE0EEEvS12_,comdat
	.globl	_ZN7rocprim17ROCPRIM_400000_NS6detail17trampoline_kernelINS0_13select_configILj256ELj13ELNS0_17block_load_methodE3ELS4_3ELS4_3ELNS0_20block_scan_algorithmE0ELj4294967295EEENS1_25partition_config_selectorILNS1_17partition_subalgoE4EjNS0_10empty_typeEbEEZZNS1_14partition_implILS8_4ELb0ES6_15HIP_vector_typeIjLj2EENS0_17counting_iteratorIjlEEPS9_SG_NS0_5tupleIJPjSI_NS0_16reverse_iteratorISI_EEEEENSH_IJSG_SG_SG_EEES9_SI_JZNS1_25segmented_radix_sort_implINS0_14default_configELb0EPKaPaPKlPlN2at6native12_GLOBAL__N_18offset_tEEE10hipError_tPvRmT1_PNSt15iterator_traitsIS12_E10value_typeET2_T3_PNS13_IS18_E10value_typeET4_jRbjT5_S1E_jjP12ihipStream_tbEUljE_ZNSN_ISO_Lb0ESQ_SR_ST_SU_SY_EESZ_S10_S11_S12_S16_S17_S18_S1B_S1C_jS1D_jS1E_S1E_jjS1G_bEUljE0_EEESZ_S10_S11_S18_S1C_S1E_T6_T7_T9_mT8_S1G_bDpT10_ENKUlT_T0_E_clISt17integral_constantIbLb0EES1U_EEDaS1P_S1Q_EUlS1P_E_NS1_11comp_targetILNS1_3genE4ELNS1_11target_archE910ELNS1_3gpuE8ELNS1_3repE0EEENS1_30default_config_static_selectorELNS0_4arch9wavefront6targetE0EEEvS12_ ; -- Begin function _ZN7rocprim17ROCPRIM_400000_NS6detail17trampoline_kernelINS0_13select_configILj256ELj13ELNS0_17block_load_methodE3ELS4_3ELS4_3ELNS0_20block_scan_algorithmE0ELj4294967295EEENS1_25partition_config_selectorILNS1_17partition_subalgoE4EjNS0_10empty_typeEbEEZZNS1_14partition_implILS8_4ELb0ES6_15HIP_vector_typeIjLj2EENS0_17counting_iteratorIjlEEPS9_SG_NS0_5tupleIJPjSI_NS0_16reverse_iteratorISI_EEEEENSH_IJSG_SG_SG_EEES9_SI_JZNS1_25segmented_radix_sort_implINS0_14default_configELb0EPKaPaPKlPlN2at6native12_GLOBAL__N_18offset_tEEE10hipError_tPvRmT1_PNSt15iterator_traitsIS12_E10value_typeET2_T3_PNS13_IS18_E10value_typeET4_jRbjT5_S1E_jjP12ihipStream_tbEUljE_ZNSN_ISO_Lb0ESQ_SR_ST_SU_SY_EESZ_S10_S11_S12_S16_S17_S18_S1B_S1C_jS1D_jS1E_S1E_jjS1G_bEUljE0_EEESZ_S10_S11_S18_S1C_S1E_T6_T7_T9_mT8_S1G_bDpT10_ENKUlT_T0_E_clISt17integral_constantIbLb0EES1U_EEDaS1P_S1Q_EUlS1P_E_NS1_11comp_targetILNS1_3genE4ELNS1_11target_archE910ELNS1_3gpuE8ELNS1_3repE0EEENS1_30default_config_static_selectorELNS0_4arch9wavefront6targetE0EEEvS12_
	.p2align	8
	.type	_ZN7rocprim17ROCPRIM_400000_NS6detail17trampoline_kernelINS0_13select_configILj256ELj13ELNS0_17block_load_methodE3ELS4_3ELS4_3ELNS0_20block_scan_algorithmE0ELj4294967295EEENS1_25partition_config_selectorILNS1_17partition_subalgoE4EjNS0_10empty_typeEbEEZZNS1_14partition_implILS8_4ELb0ES6_15HIP_vector_typeIjLj2EENS0_17counting_iteratorIjlEEPS9_SG_NS0_5tupleIJPjSI_NS0_16reverse_iteratorISI_EEEEENSH_IJSG_SG_SG_EEES9_SI_JZNS1_25segmented_radix_sort_implINS0_14default_configELb0EPKaPaPKlPlN2at6native12_GLOBAL__N_18offset_tEEE10hipError_tPvRmT1_PNSt15iterator_traitsIS12_E10value_typeET2_T3_PNS13_IS18_E10value_typeET4_jRbjT5_S1E_jjP12ihipStream_tbEUljE_ZNSN_ISO_Lb0ESQ_SR_ST_SU_SY_EESZ_S10_S11_S12_S16_S17_S18_S1B_S1C_jS1D_jS1E_S1E_jjS1G_bEUljE0_EEESZ_S10_S11_S18_S1C_S1E_T6_T7_T9_mT8_S1G_bDpT10_ENKUlT_T0_E_clISt17integral_constantIbLb0EES1U_EEDaS1P_S1Q_EUlS1P_E_NS1_11comp_targetILNS1_3genE4ELNS1_11target_archE910ELNS1_3gpuE8ELNS1_3repE0EEENS1_30default_config_static_selectorELNS0_4arch9wavefront6targetE0EEEvS12_,@function
_ZN7rocprim17ROCPRIM_400000_NS6detail17trampoline_kernelINS0_13select_configILj256ELj13ELNS0_17block_load_methodE3ELS4_3ELS4_3ELNS0_20block_scan_algorithmE0ELj4294967295EEENS1_25partition_config_selectorILNS1_17partition_subalgoE4EjNS0_10empty_typeEbEEZZNS1_14partition_implILS8_4ELb0ES6_15HIP_vector_typeIjLj2EENS0_17counting_iteratorIjlEEPS9_SG_NS0_5tupleIJPjSI_NS0_16reverse_iteratorISI_EEEEENSH_IJSG_SG_SG_EEES9_SI_JZNS1_25segmented_radix_sort_implINS0_14default_configELb0EPKaPaPKlPlN2at6native12_GLOBAL__N_18offset_tEEE10hipError_tPvRmT1_PNSt15iterator_traitsIS12_E10value_typeET2_T3_PNS13_IS18_E10value_typeET4_jRbjT5_S1E_jjP12ihipStream_tbEUljE_ZNSN_ISO_Lb0ESQ_SR_ST_SU_SY_EESZ_S10_S11_S12_S16_S17_S18_S1B_S1C_jS1D_jS1E_S1E_jjS1G_bEUljE0_EEESZ_S10_S11_S18_S1C_S1E_T6_T7_T9_mT8_S1G_bDpT10_ENKUlT_T0_E_clISt17integral_constantIbLb0EES1U_EEDaS1P_S1Q_EUlS1P_E_NS1_11comp_targetILNS1_3genE4ELNS1_11target_archE910ELNS1_3gpuE8ELNS1_3repE0EEENS1_30default_config_static_selectorELNS0_4arch9wavefront6targetE0EEEvS12_: ; @_ZN7rocprim17ROCPRIM_400000_NS6detail17trampoline_kernelINS0_13select_configILj256ELj13ELNS0_17block_load_methodE3ELS4_3ELS4_3ELNS0_20block_scan_algorithmE0ELj4294967295EEENS1_25partition_config_selectorILNS1_17partition_subalgoE4EjNS0_10empty_typeEbEEZZNS1_14partition_implILS8_4ELb0ES6_15HIP_vector_typeIjLj2EENS0_17counting_iteratorIjlEEPS9_SG_NS0_5tupleIJPjSI_NS0_16reverse_iteratorISI_EEEEENSH_IJSG_SG_SG_EEES9_SI_JZNS1_25segmented_radix_sort_implINS0_14default_configELb0EPKaPaPKlPlN2at6native12_GLOBAL__N_18offset_tEEE10hipError_tPvRmT1_PNSt15iterator_traitsIS12_E10value_typeET2_T3_PNS13_IS18_E10value_typeET4_jRbjT5_S1E_jjP12ihipStream_tbEUljE_ZNSN_ISO_Lb0ESQ_SR_ST_SU_SY_EESZ_S10_S11_S12_S16_S17_S18_S1B_S1C_jS1D_jS1E_S1E_jjS1G_bEUljE0_EEESZ_S10_S11_S18_S1C_S1E_T6_T7_T9_mT8_S1G_bDpT10_ENKUlT_T0_E_clISt17integral_constantIbLb0EES1U_EEDaS1P_S1Q_EUlS1P_E_NS1_11comp_targetILNS1_3genE4ELNS1_11target_archE910ELNS1_3gpuE8ELNS1_3repE0EEENS1_30default_config_static_selectorELNS0_4arch9wavefront6targetE0EEEvS12_
; %bb.0:
	.section	.rodata,"a",@progbits
	.p2align	6, 0x0
	.amdhsa_kernel _ZN7rocprim17ROCPRIM_400000_NS6detail17trampoline_kernelINS0_13select_configILj256ELj13ELNS0_17block_load_methodE3ELS4_3ELS4_3ELNS0_20block_scan_algorithmE0ELj4294967295EEENS1_25partition_config_selectorILNS1_17partition_subalgoE4EjNS0_10empty_typeEbEEZZNS1_14partition_implILS8_4ELb0ES6_15HIP_vector_typeIjLj2EENS0_17counting_iteratorIjlEEPS9_SG_NS0_5tupleIJPjSI_NS0_16reverse_iteratorISI_EEEEENSH_IJSG_SG_SG_EEES9_SI_JZNS1_25segmented_radix_sort_implINS0_14default_configELb0EPKaPaPKlPlN2at6native12_GLOBAL__N_18offset_tEEE10hipError_tPvRmT1_PNSt15iterator_traitsIS12_E10value_typeET2_T3_PNS13_IS18_E10value_typeET4_jRbjT5_S1E_jjP12ihipStream_tbEUljE_ZNSN_ISO_Lb0ESQ_SR_ST_SU_SY_EESZ_S10_S11_S12_S16_S17_S18_S1B_S1C_jS1D_jS1E_S1E_jjS1G_bEUljE0_EEESZ_S10_S11_S18_S1C_S1E_T6_T7_T9_mT8_S1G_bDpT10_ENKUlT_T0_E_clISt17integral_constantIbLb0EES1U_EEDaS1P_S1Q_EUlS1P_E_NS1_11comp_targetILNS1_3genE4ELNS1_11target_archE910ELNS1_3gpuE8ELNS1_3repE0EEENS1_30default_config_static_selectorELNS0_4arch9wavefront6targetE0EEEvS12_
		.amdhsa_group_segment_fixed_size 0
		.amdhsa_private_segment_fixed_size 0
		.amdhsa_kernarg_size 176
		.amdhsa_user_sgpr_count 2
		.amdhsa_user_sgpr_dispatch_ptr 0
		.amdhsa_user_sgpr_queue_ptr 0
		.amdhsa_user_sgpr_kernarg_segment_ptr 1
		.amdhsa_user_sgpr_dispatch_id 0
		.amdhsa_user_sgpr_kernarg_preload_length 0
		.amdhsa_user_sgpr_kernarg_preload_offset 0
		.amdhsa_user_sgpr_private_segment_size 0
		.amdhsa_wavefront_size32 1
		.amdhsa_uses_dynamic_stack 0
		.amdhsa_enable_private_segment 0
		.amdhsa_system_sgpr_workgroup_id_x 1
		.amdhsa_system_sgpr_workgroup_id_y 0
		.amdhsa_system_sgpr_workgroup_id_z 0
		.amdhsa_system_sgpr_workgroup_info 0
		.amdhsa_system_vgpr_workitem_id 0
		.amdhsa_next_free_vgpr 1
		.amdhsa_next_free_sgpr 1
		.amdhsa_named_barrier_count 0
		.amdhsa_reserve_vcc 0
		.amdhsa_float_round_mode_32 0
		.amdhsa_float_round_mode_16_64 0
		.amdhsa_float_denorm_mode_32 3
		.amdhsa_float_denorm_mode_16_64 3
		.amdhsa_fp16_overflow 0
		.amdhsa_memory_ordered 1
		.amdhsa_forward_progress 1
		.amdhsa_inst_pref_size 0
		.amdhsa_round_robin_scheduling 0
		.amdhsa_exception_fp_ieee_invalid_op 0
		.amdhsa_exception_fp_denorm_src 0
		.amdhsa_exception_fp_ieee_div_zero 0
		.amdhsa_exception_fp_ieee_overflow 0
		.amdhsa_exception_fp_ieee_underflow 0
		.amdhsa_exception_fp_ieee_inexact 0
		.amdhsa_exception_int_div_zero 0
	.end_amdhsa_kernel
	.section	.text._ZN7rocprim17ROCPRIM_400000_NS6detail17trampoline_kernelINS0_13select_configILj256ELj13ELNS0_17block_load_methodE3ELS4_3ELS4_3ELNS0_20block_scan_algorithmE0ELj4294967295EEENS1_25partition_config_selectorILNS1_17partition_subalgoE4EjNS0_10empty_typeEbEEZZNS1_14partition_implILS8_4ELb0ES6_15HIP_vector_typeIjLj2EENS0_17counting_iteratorIjlEEPS9_SG_NS0_5tupleIJPjSI_NS0_16reverse_iteratorISI_EEEEENSH_IJSG_SG_SG_EEES9_SI_JZNS1_25segmented_radix_sort_implINS0_14default_configELb0EPKaPaPKlPlN2at6native12_GLOBAL__N_18offset_tEEE10hipError_tPvRmT1_PNSt15iterator_traitsIS12_E10value_typeET2_T3_PNS13_IS18_E10value_typeET4_jRbjT5_S1E_jjP12ihipStream_tbEUljE_ZNSN_ISO_Lb0ESQ_SR_ST_SU_SY_EESZ_S10_S11_S12_S16_S17_S18_S1B_S1C_jS1D_jS1E_S1E_jjS1G_bEUljE0_EEESZ_S10_S11_S18_S1C_S1E_T6_T7_T9_mT8_S1G_bDpT10_ENKUlT_T0_E_clISt17integral_constantIbLb0EES1U_EEDaS1P_S1Q_EUlS1P_E_NS1_11comp_targetILNS1_3genE4ELNS1_11target_archE910ELNS1_3gpuE8ELNS1_3repE0EEENS1_30default_config_static_selectorELNS0_4arch9wavefront6targetE0EEEvS12_,"axG",@progbits,_ZN7rocprim17ROCPRIM_400000_NS6detail17trampoline_kernelINS0_13select_configILj256ELj13ELNS0_17block_load_methodE3ELS4_3ELS4_3ELNS0_20block_scan_algorithmE0ELj4294967295EEENS1_25partition_config_selectorILNS1_17partition_subalgoE4EjNS0_10empty_typeEbEEZZNS1_14partition_implILS8_4ELb0ES6_15HIP_vector_typeIjLj2EENS0_17counting_iteratorIjlEEPS9_SG_NS0_5tupleIJPjSI_NS0_16reverse_iteratorISI_EEEEENSH_IJSG_SG_SG_EEES9_SI_JZNS1_25segmented_radix_sort_implINS0_14default_configELb0EPKaPaPKlPlN2at6native12_GLOBAL__N_18offset_tEEE10hipError_tPvRmT1_PNSt15iterator_traitsIS12_E10value_typeET2_T3_PNS13_IS18_E10value_typeET4_jRbjT5_S1E_jjP12ihipStream_tbEUljE_ZNSN_ISO_Lb0ESQ_SR_ST_SU_SY_EESZ_S10_S11_S12_S16_S17_S18_S1B_S1C_jS1D_jS1E_S1E_jjS1G_bEUljE0_EEESZ_S10_S11_S18_S1C_S1E_T6_T7_T9_mT8_S1G_bDpT10_ENKUlT_T0_E_clISt17integral_constantIbLb0EES1U_EEDaS1P_S1Q_EUlS1P_E_NS1_11comp_targetILNS1_3genE4ELNS1_11target_archE910ELNS1_3gpuE8ELNS1_3repE0EEENS1_30default_config_static_selectorELNS0_4arch9wavefront6targetE0EEEvS12_,comdat
.Lfunc_end328:
	.size	_ZN7rocprim17ROCPRIM_400000_NS6detail17trampoline_kernelINS0_13select_configILj256ELj13ELNS0_17block_load_methodE3ELS4_3ELS4_3ELNS0_20block_scan_algorithmE0ELj4294967295EEENS1_25partition_config_selectorILNS1_17partition_subalgoE4EjNS0_10empty_typeEbEEZZNS1_14partition_implILS8_4ELb0ES6_15HIP_vector_typeIjLj2EENS0_17counting_iteratorIjlEEPS9_SG_NS0_5tupleIJPjSI_NS0_16reverse_iteratorISI_EEEEENSH_IJSG_SG_SG_EEES9_SI_JZNS1_25segmented_radix_sort_implINS0_14default_configELb0EPKaPaPKlPlN2at6native12_GLOBAL__N_18offset_tEEE10hipError_tPvRmT1_PNSt15iterator_traitsIS12_E10value_typeET2_T3_PNS13_IS18_E10value_typeET4_jRbjT5_S1E_jjP12ihipStream_tbEUljE_ZNSN_ISO_Lb0ESQ_SR_ST_SU_SY_EESZ_S10_S11_S12_S16_S17_S18_S1B_S1C_jS1D_jS1E_S1E_jjS1G_bEUljE0_EEESZ_S10_S11_S18_S1C_S1E_T6_T7_T9_mT8_S1G_bDpT10_ENKUlT_T0_E_clISt17integral_constantIbLb0EES1U_EEDaS1P_S1Q_EUlS1P_E_NS1_11comp_targetILNS1_3genE4ELNS1_11target_archE910ELNS1_3gpuE8ELNS1_3repE0EEENS1_30default_config_static_selectorELNS0_4arch9wavefront6targetE0EEEvS12_, .Lfunc_end328-_ZN7rocprim17ROCPRIM_400000_NS6detail17trampoline_kernelINS0_13select_configILj256ELj13ELNS0_17block_load_methodE3ELS4_3ELS4_3ELNS0_20block_scan_algorithmE0ELj4294967295EEENS1_25partition_config_selectorILNS1_17partition_subalgoE4EjNS0_10empty_typeEbEEZZNS1_14partition_implILS8_4ELb0ES6_15HIP_vector_typeIjLj2EENS0_17counting_iteratorIjlEEPS9_SG_NS0_5tupleIJPjSI_NS0_16reverse_iteratorISI_EEEEENSH_IJSG_SG_SG_EEES9_SI_JZNS1_25segmented_radix_sort_implINS0_14default_configELb0EPKaPaPKlPlN2at6native12_GLOBAL__N_18offset_tEEE10hipError_tPvRmT1_PNSt15iterator_traitsIS12_E10value_typeET2_T3_PNS13_IS18_E10value_typeET4_jRbjT5_S1E_jjP12ihipStream_tbEUljE_ZNSN_ISO_Lb0ESQ_SR_ST_SU_SY_EESZ_S10_S11_S12_S16_S17_S18_S1B_S1C_jS1D_jS1E_S1E_jjS1G_bEUljE0_EEESZ_S10_S11_S18_S1C_S1E_T6_T7_T9_mT8_S1G_bDpT10_ENKUlT_T0_E_clISt17integral_constantIbLb0EES1U_EEDaS1P_S1Q_EUlS1P_E_NS1_11comp_targetILNS1_3genE4ELNS1_11target_archE910ELNS1_3gpuE8ELNS1_3repE0EEENS1_30default_config_static_selectorELNS0_4arch9wavefront6targetE0EEEvS12_
                                        ; -- End function
	.set _ZN7rocprim17ROCPRIM_400000_NS6detail17trampoline_kernelINS0_13select_configILj256ELj13ELNS0_17block_load_methodE3ELS4_3ELS4_3ELNS0_20block_scan_algorithmE0ELj4294967295EEENS1_25partition_config_selectorILNS1_17partition_subalgoE4EjNS0_10empty_typeEbEEZZNS1_14partition_implILS8_4ELb0ES6_15HIP_vector_typeIjLj2EENS0_17counting_iteratorIjlEEPS9_SG_NS0_5tupleIJPjSI_NS0_16reverse_iteratorISI_EEEEENSH_IJSG_SG_SG_EEES9_SI_JZNS1_25segmented_radix_sort_implINS0_14default_configELb0EPKaPaPKlPlN2at6native12_GLOBAL__N_18offset_tEEE10hipError_tPvRmT1_PNSt15iterator_traitsIS12_E10value_typeET2_T3_PNS13_IS18_E10value_typeET4_jRbjT5_S1E_jjP12ihipStream_tbEUljE_ZNSN_ISO_Lb0ESQ_SR_ST_SU_SY_EESZ_S10_S11_S12_S16_S17_S18_S1B_S1C_jS1D_jS1E_S1E_jjS1G_bEUljE0_EEESZ_S10_S11_S18_S1C_S1E_T6_T7_T9_mT8_S1G_bDpT10_ENKUlT_T0_E_clISt17integral_constantIbLb0EES1U_EEDaS1P_S1Q_EUlS1P_E_NS1_11comp_targetILNS1_3genE4ELNS1_11target_archE910ELNS1_3gpuE8ELNS1_3repE0EEENS1_30default_config_static_selectorELNS0_4arch9wavefront6targetE0EEEvS12_.num_vgpr, 0
	.set _ZN7rocprim17ROCPRIM_400000_NS6detail17trampoline_kernelINS0_13select_configILj256ELj13ELNS0_17block_load_methodE3ELS4_3ELS4_3ELNS0_20block_scan_algorithmE0ELj4294967295EEENS1_25partition_config_selectorILNS1_17partition_subalgoE4EjNS0_10empty_typeEbEEZZNS1_14partition_implILS8_4ELb0ES6_15HIP_vector_typeIjLj2EENS0_17counting_iteratorIjlEEPS9_SG_NS0_5tupleIJPjSI_NS0_16reverse_iteratorISI_EEEEENSH_IJSG_SG_SG_EEES9_SI_JZNS1_25segmented_radix_sort_implINS0_14default_configELb0EPKaPaPKlPlN2at6native12_GLOBAL__N_18offset_tEEE10hipError_tPvRmT1_PNSt15iterator_traitsIS12_E10value_typeET2_T3_PNS13_IS18_E10value_typeET4_jRbjT5_S1E_jjP12ihipStream_tbEUljE_ZNSN_ISO_Lb0ESQ_SR_ST_SU_SY_EESZ_S10_S11_S12_S16_S17_S18_S1B_S1C_jS1D_jS1E_S1E_jjS1G_bEUljE0_EEESZ_S10_S11_S18_S1C_S1E_T6_T7_T9_mT8_S1G_bDpT10_ENKUlT_T0_E_clISt17integral_constantIbLb0EES1U_EEDaS1P_S1Q_EUlS1P_E_NS1_11comp_targetILNS1_3genE4ELNS1_11target_archE910ELNS1_3gpuE8ELNS1_3repE0EEENS1_30default_config_static_selectorELNS0_4arch9wavefront6targetE0EEEvS12_.num_agpr, 0
	.set _ZN7rocprim17ROCPRIM_400000_NS6detail17trampoline_kernelINS0_13select_configILj256ELj13ELNS0_17block_load_methodE3ELS4_3ELS4_3ELNS0_20block_scan_algorithmE0ELj4294967295EEENS1_25partition_config_selectorILNS1_17partition_subalgoE4EjNS0_10empty_typeEbEEZZNS1_14partition_implILS8_4ELb0ES6_15HIP_vector_typeIjLj2EENS0_17counting_iteratorIjlEEPS9_SG_NS0_5tupleIJPjSI_NS0_16reverse_iteratorISI_EEEEENSH_IJSG_SG_SG_EEES9_SI_JZNS1_25segmented_radix_sort_implINS0_14default_configELb0EPKaPaPKlPlN2at6native12_GLOBAL__N_18offset_tEEE10hipError_tPvRmT1_PNSt15iterator_traitsIS12_E10value_typeET2_T3_PNS13_IS18_E10value_typeET4_jRbjT5_S1E_jjP12ihipStream_tbEUljE_ZNSN_ISO_Lb0ESQ_SR_ST_SU_SY_EESZ_S10_S11_S12_S16_S17_S18_S1B_S1C_jS1D_jS1E_S1E_jjS1G_bEUljE0_EEESZ_S10_S11_S18_S1C_S1E_T6_T7_T9_mT8_S1G_bDpT10_ENKUlT_T0_E_clISt17integral_constantIbLb0EES1U_EEDaS1P_S1Q_EUlS1P_E_NS1_11comp_targetILNS1_3genE4ELNS1_11target_archE910ELNS1_3gpuE8ELNS1_3repE0EEENS1_30default_config_static_selectorELNS0_4arch9wavefront6targetE0EEEvS12_.numbered_sgpr, 0
	.set _ZN7rocprim17ROCPRIM_400000_NS6detail17trampoline_kernelINS0_13select_configILj256ELj13ELNS0_17block_load_methodE3ELS4_3ELS4_3ELNS0_20block_scan_algorithmE0ELj4294967295EEENS1_25partition_config_selectorILNS1_17partition_subalgoE4EjNS0_10empty_typeEbEEZZNS1_14partition_implILS8_4ELb0ES6_15HIP_vector_typeIjLj2EENS0_17counting_iteratorIjlEEPS9_SG_NS0_5tupleIJPjSI_NS0_16reverse_iteratorISI_EEEEENSH_IJSG_SG_SG_EEES9_SI_JZNS1_25segmented_radix_sort_implINS0_14default_configELb0EPKaPaPKlPlN2at6native12_GLOBAL__N_18offset_tEEE10hipError_tPvRmT1_PNSt15iterator_traitsIS12_E10value_typeET2_T3_PNS13_IS18_E10value_typeET4_jRbjT5_S1E_jjP12ihipStream_tbEUljE_ZNSN_ISO_Lb0ESQ_SR_ST_SU_SY_EESZ_S10_S11_S12_S16_S17_S18_S1B_S1C_jS1D_jS1E_S1E_jjS1G_bEUljE0_EEESZ_S10_S11_S18_S1C_S1E_T6_T7_T9_mT8_S1G_bDpT10_ENKUlT_T0_E_clISt17integral_constantIbLb0EES1U_EEDaS1P_S1Q_EUlS1P_E_NS1_11comp_targetILNS1_3genE4ELNS1_11target_archE910ELNS1_3gpuE8ELNS1_3repE0EEENS1_30default_config_static_selectorELNS0_4arch9wavefront6targetE0EEEvS12_.num_named_barrier, 0
	.set _ZN7rocprim17ROCPRIM_400000_NS6detail17trampoline_kernelINS0_13select_configILj256ELj13ELNS0_17block_load_methodE3ELS4_3ELS4_3ELNS0_20block_scan_algorithmE0ELj4294967295EEENS1_25partition_config_selectorILNS1_17partition_subalgoE4EjNS0_10empty_typeEbEEZZNS1_14partition_implILS8_4ELb0ES6_15HIP_vector_typeIjLj2EENS0_17counting_iteratorIjlEEPS9_SG_NS0_5tupleIJPjSI_NS0_16reverse_iteratorISI_EEEEENSH_IJSG_SG_SG_EEES9_SI_JZNS1_25segmented_radix_sort_implINS0_14default_configELb0EPKaPaPKlPlN2at6native12_GLOBAL__N_18offset_tEEE10hipError_tPvRmT1_PNSt15iterator_traitsIS12_E10value_typeET2_T3_PNS13_IS18_E10value_typeET4_jRbjT5_S1E_jjP12ihipStream_tbEUljE_ZNSN_ISO_Lb0ESQ_SR_ST_SU_SY_EESZ_S10_S11_S12_S16_S17_S18_S1B_S1C_jS1D_jS1E_S1E_jjS1G_bEUljE0_EEESZ_S10_S11_S18_S1C_S1E_T6_T7_T9_mT8_S1G_bDpT10_ENKUlT_T0_E_clISt17integral_constantIbLb0EES1U_EEDaS1P_S1Q_EUlS1P_E_NS1_11comp_targetILNS1_3genE4ELNS1_11target_archE910ELNS1_3gpuE8ELNS1_3repE0EEENS1_30default_config_static_selectorELNS0_4arch9wavefront6targetE0EEEvS12_.private_seg_size, 0
	.set _ZN7rocprim17ROCPRIM_400000_NS6detail17trampoline_kernelINS0_13select_configILj256ELj13ELNS0_17block_load_methodE3ELS4_3ELS4_3ELNS0_20block_scan_algorithmE0ELj4294967295EEENS1_25partition_config_selectorILNS1_17partition_subalgoE4EjNS0_10empty_typeEbEEZZNS1_14partition_implILS8_4ELb0ES6_15HIP_vector_typeIjLj2EENS0_17counting_iteratorIjlEEPS9_SG_NS0_5tupleIJPjSI_NS0_16reverse_iteratorISI_EEEEENSH_IJSG_SG_SG_EEES9_SI_JZNS1_25segmented_radix_sort_implINS0_14default_configELb0EPKaPaPKlPlN2at6native12_GLOBAL__N_18offset_tEEE10hipError_tPvRmT1_PNSt15iterator_traitsIS12_E10value_typeET2_T3_PNS13_IS18_E10value_typeET4_jRbjT5_S1E_jjP12ihipStream_tbEUljE_ZNSN_ISO_Lb0ESQ_SR_ST_SU_SY_EESZ_S10_S11_S12_S16_S17_S18_S1B_S1C_jS1D_jS1E_S1E_jjS1G_bEUljE0_EEESZ_S10_S11_S18_S1C_S1E_T6_T7_T9_mT8_S1G_bDpT10_ENKUlT_T0_E_clISt17integral_constantIbLb0EES1U_EEDaS1P_S1Q_EUlS1P_E_NS1_11comp_targetILNS1_3genE4ELNS1_11target_archE910ELNS1_3gpuE8ELNS1_3repE0EEENS1_30default_config_static_selectorELNS0_4arch9wavefront6targetE0EEEvS12_.uses_vcc, 0
	.set _ZN7rocprim17ROCPRIM_400000_NS6detail17trampoline_kernelINS0_13select_configILj256ELj13ELNS0_17block_load_methodE3ELS4_3ELS4_3ELNS0_20block_scan_algorithmE0ELj4294967295EEENS1_25partition_config_selectorILNS1_17partition_subalgoE4EjNS0_10empty_typeEbEEZZNS1_14partition_implILS8_4ELb0ES6_15HIP_vector_typeIjLj2EENS0_17counting_iteratorIjlEEPS9_SG_NS0_5tupleIJPjSI_NS0_16reverse_iteratorISI_EEEEENSH_IJSG_SG_SG_EEES9_SI_JZNS1_25segmented_radix_sort_implINS0_14default_configELb0EPKaPaPKlPlN2at6native12_GLOBAL__N_18offset_tEEE10hipError_tPvRmT1_PNSt15iterator_traitsIS12_E10value_typeET2_T3_PNS13_IS18_E10value_typeET4_jRbjT5_S1E_jjP12ihipStream_tbEUljE_ZNSN_ISO_Lb0ESQ_SR_ST_SU_SY_EESZ_S10_S11_S12_S16_S17_S18_S1B_S1C_jS1D_jS1E_S1E_jjS1G_bEUljE0_EEESZ_S10_S11_S18_S1C_S1E_T6_T7_T9_mT8_S1G_bDpT10_ENKUlT_T0_E_clISt17integral_constantIbLb0EES1U_EEDaS1P_S1Q_EUlS1P_E_NS1_11comp_targetILNS1_3genE4ELNS1_11target_archE910ELNS1_3gpuE8ELNS1_3repE0EEENS1_30default_config_static_selectorELNS0_4arch9wavefront6targetE0EEEvS12_.uses_flat_scratch, 0
	.set _ZN7rocprim17ROCPRIM_400000_NS6detail17trampoline_kernelINS0_13select_configILj256ELj13ELNS0_17block_load_methodE3ELS4_3ELS4_3ELNS0_20block_scan_algorithmE0ELj4294967295EEENS1_25partition_config_selectorILNS1_17partition_subalgoE4EjNS0_10empty_typeEbEEZZNS1_14partition_implILS8_4ELb0ES6_15HIP_vector_typeIjLj2EENS0_17counting_iteratorIjlEEPS9_SG_NS0_5tupleIJPjSI_NS0_16reverse_iteratorISI_EEEEENSH_IJSG_SG_SG_EEES9_SI_JZNS1_25segmented_radix_sort_implINS0_14default_configELb0EPKaPaPKlPlN2at6native12_GLOBAL__N_18offset_tEEE10hipError_tPvRmT1_PNSt15iterator_traitsIS12_E10value_typeET2_T3_PNS13_IS18_E10value_typeET4_jRbjT5_S1E_jjP12ihipStream_tbEUljE_ZNSN_ISO_Lb0ESQ_SR_ST_SU_SY_EESZ_S10_S11_S12_S16_S17_S18_S1B_S1C_jS1D_jS1E_S1E_jjS1G_bEUljE0_EEESZ_S10_S11_S18_S1C_S1E_T6_T7_T9_mT8_S1G_bDpT10_ENKUlT_T0_E_clISt17integral_constantIbLb0EES1U_EEDaS1P_S1Q_EUlS1P_E_NS1_11comp_targetILNS1_3genE4ELNS1_11target_archE910ELNS1_3gpuE8ELNS1_3repE0EEENS1_30default_config_static_selectorELNS0_4arch9wavefront6targetE0EEEvS12_.has_dyn_sized_stack, 0
	.set _ZN7rocprim17ROCPRIM_400000_NS6detail17trampoline_kernelINS0_13select_configILj256ELj13ELNS0_17block_load_methodE3ELS4_3ELS4_3ELNS0_20block_scan_algorithmE0ELj4294967295EEENS1_25partition_config_selectorILNS1_17partition_subalgoE4EjNS0_10empty_typeEbEEZZNS1_14partition_implILS8_4ELb0ES6_15HIP_vector_typeIjLj2EENS0_17counting_iteratorIjlEEPS9_SG_NS0_5tupleIJPjSI_NS0_16reverse_iteratorISI_EEEEENSH_IJSG_SG_SG_EEES9_SI_JZNS1_25segmented_radix_sort_implINS0_14default_configELb0EPKaPaPKlPlN2at6native12_GLOBAL__N_18offset_tEEE10hipError_tPvRmT1_PNSt15iterator_traitsIS12_E10value_typeET2_T3_PNS13_IS18_E10value_typeET4_jRbjT5_S1E_jjP12ihipStream_tbEUljE_ZNSN_ISO_Lb0ESQ_SR_ST_SU_SY_EESZ_S10_S11_S12_S16_S17_S18_S1B_S1C_jS1D_jS1E_S1E_jjS1G_bEUljE0_EEESZ_S10_S11_S18_S1C_S1E_T6_T7_T9_mT8_S1G_bDpT10_ENKUlT_T0_E_clISt17integral_constantIbLb0EES1U_EEDaS1P_S1Q_EUlS1P_E_NS1_11comp_targetILNS1_3genE4ELNS1_11target_archE910ELNS1_3gpuE8ELNS1_3repE0EEENS1_30default_config_static_selectorELNS0_4arch9wavefront6targetE0EEEvS12_.has_recursion, 0
	.set _ZN7rocprim17ROCPRIM_400000_NS6detail17trampoline_kernelINS0_13select_configILj256ELj13ELNS0_17block_load_methodE3ELS4_3ELS4_3ELNS0_20block_scan_algorithmE0ELj4294967295EEENS1_25partition_config_selectorILNS1_17partition_subalgoE4EjNS0_10empty_typeEbEEZZNS1_14partition_implILS8_4ELb0ES6_15HIP_vector_typeIjLj2EENS0_17counting_iteratorIjlEEPS9_SG_NS0_5tupleIJPjSI_NS0_16reverse_iteratorISI_EEEEENSH_IJSG_SG_SG_EEES9_SI_JZNS1_25segmented_radix_sort_implINS0_14default_configELb0EPKaPaPKlPlN2at6native12_GLOBAL__N_18offset_tEEE10hipError_tPvRmT1_PNSt15iterator_traitsIS12_E10value_typeET2_T3_PNS13_IS18_E10value_typeET4_jRbjT5_S1E_jjP12ihipStream_tbEUljE_ZNSN_ISO_Lb0ESQ_SR_ST_SU_SY_EESZ_S10_S11_S12_S16_S17_S18_S1B_S1C_jS1D_jS1E_S1E_jjS1G_bEUljE0_EEESZ_S10_S11_S18_S1C_S1E_T6_T7_T9_mT8_S1G_bDpT10_ENKUlT_T0_E_clISt17integral_constantIbLb0EES1U_EEDaS1P_S1Q_EUlS1P_E_NS1_11comp_targetILNS1_3genE4ELNS1_11target_archE910ELNS1_3gpuE8ELNS1_3repE0EEENS1_30default_config_static_selectorELNS0_4arch9wavefront6targetE0EEEvS12_.has_indirect_call, 0
	.section	.AMDGPU.csdata,"",@progbits
; Kernel info:
; codeLenInByte = 0
; TotalNumSgprs: 0
; NumVgprs: 0
; ScratchSize: 0
; MemoryBound: 0
; FloatMode: 240
; IeeeMode: 1
; LDSByteSize: 0 bytes/workgroup (compile time only)
; SGPRBlocks: 0
; VGPRBlocks: 0
; NumSGPRsForWavesPerEU: 1
; NumVGPRsForWavesPerEU: 1
; NamedBarCnt: 0
; Occupancy: 16
; WaveLimiterHint : 0
; COMPUTE_PGM_RSRC2:SCRATCH_EN: 0
; COMPUTE_PGM_RSRC2:USER_SGPR: 2
; COMPUTE_PGM_RSRC2:TRAP_HANDLER: 0
; COMPUTE_PGM_RSRC2:TGID_X_EN: 1
; COMPUTE_PGM_RSRC2:TGID_Y_EN: 0
; COMPUTE_PGM_RSRC2:TGID_Z_EN: 0
; COMPUTE_PGM_RSRC2:TIDIG_COMP_CNT: 0
	.section	.text._ZN7rocprim17ROCPRIM_400000_NS6detail17trampoline_kernelINS0_13select_configILj256ELj13ELNS0_17block_load_methodE3ELS4_3ELS4_3ELNS0_20block_scan_algorithmE0ELj4294967295EEENS1_25partition_config_selectorILNS1_17partition_subalgoE4EjNS0_10empty_typeEbEEZZNS1_14partition_implILS8_4ELb0ES6_15HIP_vector_typeIjLj2EENS0_17counting_iteratorIjlEEPS9_SG_NS0_5tupleIJPjSI_NS0_16reverse_iteratorISI_EEEEENSH_IJSG_SG_SG_EEES9_SI_JZNS1_25segmented_radix_sort_implINS0_14default_configELb0EPKaPaPKlPlN2at6native12_GLOBAL__N_18offset_tEEE10hipError_tPvRmT1_PNSt15iterator_traitsIS12_E10value_typeET2_T3_PNS13_IS18_E10value_typeET4_jRbjT5_S1E_jjP12ihipStream_tbEUljE_ZNSN_ISO_Lb0ESQ_SR_ST_SU_SY_EESZ_S10_S11_S12_S16_S17_S18_S1B_S1C_jS1D_jS1E_S1E_jjS1G_bEUljE0_EEESZ_S10_S11_S18_S1C_S1E_T6_T7_T9_mT8_S1G_bDpT10_ENKUlT_T0_E_clISt17integral_constantIbLb0EES1U_EEDaS1P_S1Q_EUlS1P_E_NS1_11comp_targetILNS1_3genE3ELNS1_11target_archE908ELNS1_3gpuE7ELNS1_3repE0EEENS1_30default_config_static_selectorELNS0_4arch9wavefront6targetE0EEEvS12_,"axG",@progbits,_ZN7rocprim17ROCPRIM_400000_NS6detail17trampoline_kernelINS0_13select_configILj256ELj13ELNS0_17block_load_methodE3ELS4_3ELS4_3ELNS0_20block_scan_algorithmE0ELj4294967295EEENS1_25partition_config_selectorILNS1_17partition_subalgoE4EjNS0_10empty_typeEbEEZZNS1_14partition_implILS8_4ELb0ES6_15HIP_vector_typeIjLj2EENS0_17counting_iteratorIjlEEPS9_SG_NS0_5tupleIJPjSI_NS0_16reverse_iteratorISI_EEEEENSH_IJSG_SG_SG_EEES9_SI_JZNS1_25segmented_radix_sort_implINS0_14default_configELb0EPKaPaPKlPlN2at6native12_GLOBAL__N_18offset_tEEE10hipError_tPvRmT1_PNSt15iterator_traitsIS12_E10value_typeET2_T3_PNS13_IS18_E10value_typeET4_jRbjT5_S1E_jjP12ihipStream_tbEUljE_ZNSN_ISO_Lb0ESQ_SR_ST_SU_SY_EESZ_S10_S11_S12_S16_S17_S18_S1B_S1C_jS1D_jS1E_S1E_jjS1G_bEUljE0_EEESZ_S10_S11_S18_S1C_S1E_T6_T7_T9_mT8_S1G_bDpT10_ENKUlT_T0_E_clISt17integral_constantIbLb0EES1U_EEDaS1P_S1Q_EUlS1P_E_NS1_11comp_targetILNS1_3genE3ELNS1_11target_archE908ELNS1_3gpuE7ELNS1_3repE0EEENS1_30default_config_static_selectorELNS0_4arch9wavefront6targetE0EEEvS12_,comdat
	.globl	_ZN7rocprim17ROCPRIM_400000_NS6detail17trampoline_kernelINS0_13select_configILj256ELj13ELNS0_17block_load_methodE3ELS4_3ELS4_3ELNS0_20block_scan_algorithmE0ELj4294967295EEENS1_25partition_config_selectorILNS1_17partition_subalgoE4EjNS0_10empty_typeEbEEZZNS1_14partition_implILS8_4ELb0ES6_15HIP_vector_typeIjLj2EENS0_17counting_iteratorIjlEEPS9_SG_NS0_5tupleIJPjSI_NS0_16reverse_iteratorISI_EEEEENSH_IJSG_SG_SG_EEES9_SI_JZNS1_25segmented_radix_sort_implINS0_14default_configELb0EPKaPaPKlPlN2at6native12_GLOBAL__N_18offset_tEEE10hipError_tPvRmT1_PNSt15iterator_traitsIS12_E10value_typeET2_T3_PNS13_IS18_E10value_typeET4_jRbjT5_S1E_jjP12ihipStream_tbEUljE_ZNSN_ISO_Lb0ESQ_SR_ST_SU_SY_EESZ_S10_S11_S12_S16_S17_S18_S1B_S1C_jS1D_jS1E_S1E_jjS1G_bEUljE0_EEESZ_S10_S11_S18_S1C_S1E_T6_T7_T9_mT8_S1G_bDpT10_ENKUlT_T0_E_clISt17integral_constantIbLb0EES1U_EEDaS1P_S1Q_EUlS1P_E_NS1_11comp_targetILNS1_3genE3ELNS1_11target_archE908ELNS1_3gpuE7ELNS1_3repE0EEENS1_30default_config_static_selectorELNS0_4arch9wavefront6targetE0EEEvS12_ ; -- Begin function _ZN7rocprim17ROCPRIM_400000_NS6detail17trampoline_kernelINS0_13select_configILj256ELj13ELNS0_17block_load_methodE3ELS4_3ELS4_3ELNS0_20block_scan_algorithmE0ELj4294967295EEENS1_25partition_config_selectorILNS1_17partition_subalgoE4EjNS0_10empty_typeEbEEZZNS1_14partition_implILS8_4ELb0ES6_15HIP_vector_typeIjLj2EENS0_17counting_iteratorIjlEEPS9_SG_NS0_5tupleIJPjSI_NS0_16reverse_iteratorISI_EEEEENSH_IJSG_SG_SG_EEES9_SI_JZNS1_25segmented_radix_sort_implINS0_14default_configELb0EPKaPaPKlPlN2at6native12_GLOBAL__N_18offset_tEEE10hipError_tPvRmT1_PNSt15iterator_traitsIS12_E10value_typeET2_T3_PNS13_IS18_E10value_typeET4_jRbjT5_S1E_jjP12ihipStream_tbEUljE_ZNSN_ISO_Lb0ESQ_SR_ST_SU_SY_EESZ_S10_S11_S12_S16_S17_S18_S1B_S1C_jS1D_jS1E_S1E_jjS1G_bEUljE0_EEESZ_S10_S11_S18_S1C_S1E_T6_T7_T9_mT8_S1G_bDpT10_ENKUlT_T0_E_clISt17integral_constantIbLb0EES1U_EEDaS1P_S1Q_EUlS1P_E_NS1_11comp_targetILNS1_3genE3ELNS1_11target_archE908ELNS1_3gpuE7ELNS1_3repE0EEENS1_30default_config_static_selectorELNS0_4arch9wavefront6targetE0EEEvS12_
	.p2align	8
	.type	_ZN7rocprim17ROCPRIM_400000_NS6detail17trampoline_kernelINS0_13select_configILj256ELj13ELNS0_17block_load_methodE3ELS4_3ELS4_3ELNS0_20block_scan_algorithmE0ELj4294967295EEENS1_25partition_config_selectorILNS1_17partition_subalgoE4EjNS0_10empty_typeEbEEZZNS1_14partition_implILS8_4ELb0ES6_15HIP_vector_typeIjLj2EENS0_17counting_iteratorIjlEEPS9_SG_NS0_5tupleIJPjSI_NS0_16reverse_iteratorISI_EEEEENSH_IJSG_SG_SG_EEES9_SI_JZNS1_25segmented_radix_sort_implINS0_14default_configELb0EPKaPaPKlPlN2at6native12_GLOBAL__N_18offset_tEEE10hipError_tPvRmT1_PNSt15iterator_traitsIS12_E10value_typeET2_T3_PNS13_IS18_E10value_typeET4_jRbjT5_S1E_jjP12ihipStream_tbEUljE_ZNSN_ISO_Lb0ESQ_SR_ST_SU_SY_EESZ_S10_S11_S12_S16_S17_S18_S1B_S1C_jS1D_jS1E_S1E_jjS1G_bEUljE0_EEESZ_S10_S11_S18_S1C_S1E_T6_T7_T9_mT8_S1G_bDpT10_ENKUlT_T0_E_clISt17integral_constantIbLb0EES1U_EEDaS1P_S1Q_EUlS1P_E_NS1_11comp_targetILNS1_3genE3ELNS1_11target_archE908ELNS1_3gpuE7ELNS1_3repE0EEENS1_30default_config_static_selectorELNS0_4arch9wavefront6targetE0EEEvS12_,@function
_ZN7rocprim17ROCPRIM_400000_NS6detail17trampoline_kernelINS0_13select_configILj256ELj13ELNS0_17block_load_methodE3ELS4_3ELS4_3ELNS0_20block_scan_algorithmE0ELj4294967295EEENS1_25partition_config_selectorILNS1_17partition_subalgoE4EjNS0_10empty_typeEbEEZZNS1_14partition_implILS8_4ELb0ES6_15HIP_vector_typeIjLj2EENS0_17counting_iteratorIjlEEPS9_SG_NS0_5tupleIJPjSI_NS0_16reverse_iteratorISI_EEEEENSH_IJSG_SG_SG_EEES9_SI_JZNS1_25segmented_radix_sort_implINS0_14default_configELb0EPKaPaPKlPlN2at6native12_GLOBAL__N_18offset_tEEE10hipError_tPvRmT1_PNSt15iterator_traitsIS12_E10value_typeET2_T3_PNS13_IS18_E10value_typeET4_jRbjT5_S1E_jjP12ihipStream_tbEUljE_ZNSN_ISO_Lb0ESQ_SR_ST_SU_SY_EESZ_S10_S11_S12_S16_S17_S18_S1B_S1C_jS1D_jS1E_S1E_jjS1G_bEUljE0_EEESZ_S10_S11_S18_S1C_S1E_T6_T7_T9_mT8_S1G_bDpT10_ENKUlT_T0_E_clISt17integral_constantIbLb0EES1U_EEDaS1P_S1Q_EUlS1P_E_NS1_11comp_targetILNS1_3genE3ELNS1_11target_archE908ELNS1_3gpuE7ELNS1_3repE0EEENS1_30default_config_static_selectorELNS0_4arch9wavefront6targetE0EEEvS12_: ; @_ZN7rocprim17ROCPRIM_400000_NS6detail17trampoline_kernelINS0_13select_configILj256ELj13ELNS0_17block_load_methodE3ELS4_3ELS4_3ELNS0_20block_scan_algorithmE0ELj4294967295EEENS1_25partition_config_selectorILNS1_17partition_subalgoE4EjNS0_10empty_typeEbEEZZNS1_14partition_implILS8_4ELb0ES6_15HIP_vector_typeIjLj2EENS0_17counting_iteratorIjlEEPS9_SG_NS0_5tupleIJPjSI_NS0_16reverse_iteratorISI_EEEEENSH_IJSG_SG_SG_EEES9_SI_JZNS1_25segmented_radix_sort_implINS0_14default_configELb0EPKaPaPKlPlN2at6native12_GLOBAL__N_18offset_tEEE10hipError_tPvRmT1_PNSt15iterator_traitsIS12_E10value_typeET2_T3_PNS13_IS18_E10value_typeET4_jRbjT5_S1E_jjP12ihipStream_tbEUljE_ZNSN_ISO_Lb0ESQ_SR_ST_SU_SY_EESZ_S10_S11_S12_S16_S17_S18_S1B_S1C_jS1D_jS1E_S1E_jjS1G_bEUljE0_EEESZ_S10_S11_S18_S1C_S1E_T6_T7_T9_mT8_S1G_bDpT10_ENKUlT_T0_E_clISt17integral_constantIbLb0EES1U_EEDaS1P_S1Q_EUlS1P_E_NS1_11comp_targetILNS1_3genE3ELNS1_11target_archE908ELNS1_3gpuE7ELNS1_3repE0EEENS1_30default_config_static_selectorELNS0_4arch9wavefront6targetE0EEEvS12_
; %bb.0:
	.section	.rodata,"a",@progbits
	.p2align	6, 0x0
	.amdhsa_kernel _ZN7rocprim17ROCPRIM_400000_NS6detail17trampoline_kernelINS0_13select_configILj256ELj13ELNS0_17block_load_methodE3ELS4_3ELS4_3ELNS0_20block_scan_algorithmE0ELj4294967295EEENS1_25partition_config_selectorILNS1_17partition_subalgoE4EjNS0_10empty_typeEbEEZZNS1_14partition_implILS8_4ELb0ES6_15HIP_vector_typeIjLj2EENS0_17counting_iteratorIjlEEPS9_SG_NS0_5tupleIJPjSI_NS0_16reverse_iteratorISI_EEEEENSH_IJSG_SG_SG_EEES9_SI_JZNS1_25segmented_radix_sort_implINS0_14default_configELb0EPKaPaPKlPlN2at6native12_GLOBAL__N_18offset_tEEE10hipError_tPvRmT1_PNSt15iterator_traitsIS12_E10value_typeET2_T3_PNS13_IS18_E10value_typeET4_jRbjT5_S1E_jjP12ihipStream_tbEUljE_ZNSN_ISO_Lb0ESQ_SR_ST_SU_SY_EESZ_S10_S11_S12_S16_S17_S18_S1B_S1C_jS1D_jS1E_S1E_jjS1G_bEUljE0_EEESZ_S10_S11_S18_S1C_S1E_T6_T7_T9_mT8_S1G_bDpT10_ENKUlT_T0_E_clISt17integral_constantIbLb0EES1U_EEDaS1P_S1Q_EUlS1P_E_NS1_11comp_targetILNS1_3genE3ELNS1_11target_archE908ELNS1_3gpuE7ELNS1_3repE0EEENS1_30default_config_static_selectorELNS0_4arch9wavefront6targetE0EEEvS12_
		.amdhsa_group_segment_fixed_size 0
		.amdhsa_private_segment_fixed_size 0
		.amdhsa_kernarg_size 176
		.amdhsa_user_sgpr_count 2
		.amdhsa_user_sgpr_dispatch_ptr 0
		.amdhsa_user_sgpr_queue_ptr 0
		.amdhsa_user_sgpr_kernarg_segment_ptr 1
		.amdhsa_user_sgpr_dispatch_id 0
		.amdhsa_user_sgpr_kernarg_preload_length 0
		.amdhsa_user_sgpr_kernarg_preload_offset 0
		.amdhsa_user_sgpr_private_segment_size 0
		.amdhsa_wavefront_size32 1
		.amdhsa_uses_dynamic_stack 0
		.amdhsa_enable_private_segment 0
		.amdhsa_system_sgpr_workgroup_id_x 1
		.amdhsa_system_sgpr_workgroup_id_y 0
		.amdhsa_system_sgpr_workgroup_id_z 0
		.amdhsa_system_sgpr_workgroup_info 0
		.amdhsa_system_vgpr_workitem_id 0
		.amdhsa_next_free_vgpr 1
		.amdhsa_next_free_sgpr 1
		.amdhsa_named_barrier_count 0
		.amdhsa_reserve_vcc 0
		.amdhsa_float_round_mode_32 0
		.amdhsa_float_round_mode_16_64 0
		.amdhsa_float_denorm_mode_32 3
		.amdhsa_float_denorm_mode_16_64 3
		.amdhsa_fp16_overflow 0
		.amdhsa_memory_ordered 1
		.amdhsa_forward_progress 1
		.amdhsa_inst_pref_size 0
		.amdhsa_round_robin_scheduling 0
		.amdhsa_exception_fp_ieee_invalid_op 0
		.amdhsa_exception_fp_denorm_src 0
		.amdhsa_exception_fp_ieee_div_zero 0
		.amdhsa_exception_fp_ieee_overflow 0
		.amdhsa_exception_fp_ieee_underflow 0
		.amdhsa_exception_fp_ieee_inexact 0
		.amdhsa_exception_int_div_zero 0
	.end_amdhsa_kernel
	.section	.text._ZN7rocprim17ROCPRIM_400000_NS6detail17trampoline_kernelINS0_13select_configILj256ELj13ELNS0_17block_load_methodE3ELS4_3ELS4_3ELNS0_20block_scan_algorithmE0ELj4294967295EEENS1_25partition_config_selectorILNS1_17partition_subalgoE4EjNS0_10empty_typeEbEEZZNS1_14partition_implILS8_4ELb0ES6_15HIP_vector_typeIjLj2EENS0_17counting_iteratorIjlEEPS9_SG_NS0_5tupleIJPjSI_NS0_16reverse_iteratorISI_EEEEENSH_IJSG_SG_SG_EEES9_SI_JZNS1_25segmented_radix_sort_implINS0_14default_configELb0EPKaPaPKlPlN2at6native12_GLOBAL__N_18offset_tEEE10hipError_tPvRmT1_PNSt15iterator_traitsIS12_E10value_typeET2_T3_PNS13_IS18_E10value_typeET4_jRbjT5_S1E_jjP12ihipStream_tbEUljE_ZNSN_ISO_Lb0ESQ_SR_ST_SU_SY_EESZ_S10_S11_S12_S16_S17_S18_S1B_S1C_jS1D_jS1E_S1E_jjS1G_bEUljE0_EEESZ_S10_S11_S18_S1C_S1E_T6_T7_T9_mT8_S1G_bDpT10_ENKUlT_T0_E_clISt17integral_constantIbLb0EES1U_EEDaS1P_S1Q_EUlS1P_E_NS1_11comp_targetILNS1_3genE3ELNS1_11target_archE908ELNS1_3gpuE7ELNS1_3repE0EEENS1_30default_config_static_selectorELNS0_4arch9wavefront6targetE0EEEvS12_,"axG",@progbits,_ZN7rocprim17ROCPRIM_400000_NS6detail17trampoline_kernelINS0_13select_configILj256ELj13ELNS0_17block_load_methodE3ELS4_3ELS4_3ELNS0_20block_scan_algorithmE0ELj4294967295EEENS1_25partition_config_selectorILNS1_17partition_subalgoE4EjNS0_10empty_typeEbEEZZNS1_14partition_implILS8_4ELb0ES6_15HIP_vector_typeIjLj2EENS0_17counting_iteratorIjlEEPS9_SG_NS0_5tupleIJPjSI_NS0_16reverse_iteratorISI_EEEEENSH_IJSG_SG_SG_EEES9_SI_JZNS1_25segmented_radix_sort_implINS0_14default_configELb0EPKaPaPKlPlN2at6native12_GLOBAL__N_18offset_tEEE10hipError_tPvRmT1_PNSt15iterator_traitsIS12_E10value_typeET2_T3_PNS13_IS18_E10value_typeET4_jRbjT5_S1E_jjP12ihipStream_tbEUljE_ZNSN_ISO_Lb0ESQ_SR_ST_SU_SY_EESZ_S10_S11_S12_S16_S17_S18_S1B_S1C_jS1D_jS1E_S1E_jjS1G_bEUljE0_EEESZ_S10_S11_S18_S1C_S1E_T6_T7_T9_mT8_S1G_bDpT10_ENKUlT_T0_E_clISt17integral_constantIbLb0EES1U_EEDaS1P_S1Q_EUlS1P_E_NS1_11comp_targetILNS1_3genE3ELNS1_11target_archE908ELNS1_3gpuE7ELNS1_3repE0EEENS1_30default_config_static_selectorELNS0_4arch9wavefront6targetE0EEEvS12_,comdat
.Lfunc_end329:
	.size	_ZN7rocprim17ROCPRIM_400000_NS6detail17trampoline_kernelINS0_13select_configILj256ELj13ELNS0_17block_load_methodE3ELS4_3ELS4_3ELNS0_20block_scan_algorithmE0ELj4294967295EEENS1_25partition_config_selectorILNS1_17partition_subalgoE4EjNS0_10empty_typeEbEEZZNS1_14partition_implILS8_4ELb0ES6_15HIP_vector_typeIjLj2EENS0_17counting_iteratorIjlEEPS9_SG_NS0_5tupleIJPjSI_NS0_16reverse_iteratorISI_EEEEENSH_IJSG_SG_SG_EEES9_SI_JZNS1_25segmented_radix_sort_implINS0_14default_configELb0EPKaPaPKlPlN2at6native12_GLOBAL__N_18offset_tEEE10hipError_tPvRmT1_PNSt15iterator_traitsIS12_E10value_typeET2_T3_PNS13_IS18_E10value_typeET4_jRbjT5_S1E_jjP12ihipStream_tbEUljE_ZNSN_ISO_Lb0ESQ_SR_ST_SU_SY_EESZ_S10_S11_S12_S16_S17_S18_S1B_S1C_jS1D_jS1E_S1E_jjS1G_bEUljE0_EEESZ_S10_S11_S18_S1C_S1E_T6_T7_T9_mT8_S1G_bDpT10_ENKUlT_T0_E_clISt17integral_constantIbLb0EES1U_EEDaS1P_S1Q_EUlS1P_E_NS1_11comp_targetILNS1_3genE3ELNS1_11target_archE908ELNS1_3gpuE7ELNS1_3repE0EEENS1_30default_config_static_selectorELNS0_4arch9wavefront6targetE0EEEvS12_, .Lfunc_end329-_ZN7rocprim17ROCPRIM_400000_NS6detail17trampoline_kernelINS0_13select_configILj256ELj13ELNS0_17block_load_methodE3ELS4_3ELS4_3ELNS0_20block_scan_algorithmE0ELj4294967295EEENS1_25partition_config_selectorILNS1_17partition_subalgoE4EjNS0_10empty_typeEbEEZZNS1_14partition_implILS8_4ELb0ES6_15HIP_vector_typeIjLj2EENS0_17counting_iteratorIjlEEPS9_SG_NS0_5tupleIJPjSI_NS0_16reverse_iteratorISI_EEEEENSH_IJSG_SG_SG_EEES9_SI_JZNS1_25segmented_radix_sort_implINS0_14default_configELb0EPKaPaPKlPlN2at6native12_GLOBAL__N_18offset_tEEE10hipError_tPvRmT1_PNSt15iterator_traitsIS12_E10value_typeET2_T3_PNS13_IS18_E10value_typeET4_jRbjT5_S1E_jjP12ihipStream_tbEUljE_ZNSN_ISO_Lb0ESQ_SR_ST_SU_SY_EESZ_S10_S11_S12_S16_S17_S18_S1B_S1C_jS1D_jS1E_S1E_jjS1G_bEUljE0_EEESZ_S10_S11_S18_S1C_S1E_T6_T7_T9_mT8_S1G_bDpT10_ENKUlT_T0_E_clISt17integral_constantIbLb0EES1U_EEDaS1P_S1Q_EUlS1P_E_NS1_11comp_targetILNS1_3genE3ELNS1_11target_archE908ELNS1_3gpuE7ELNS1_3repE0EEENS1_30default_config_static_selectorELNS0_4arch9wavefront6targetE0EEEvS12_
                                        ; -- End function
	.set _ZN7rocprim17ROCPRIM_400000_NS6detail17trampoline_kernelINS0_13select_configILj256ELj13ELNS0_17block_load_methodE3ELS4_3ELS4_3ELNS0_20block_scan_algorithmE0ELj4294967295EEENS1_25partition_config_selectorILNS1_17partition_subalgoE4EjNS0_10empty_typeEbEEZZNS1_14partition_implILS8_4ELb0ES6_15HIP_vector_typeIjLj2EENS0_17counting_iteratorIjlEEPS9_SG_NS0_5tupleIJPjSI_NS0_16reverse_iteratorISI_EEEEENSH_IJSG_SG_SG_EEES9_SI_JZNS1_25segmented_radix_sort_implINS0_14default_configELb0EPKaPaPKlPlN2at6native12_GLOBAL__N_18offset_tEEE10hipError_tPvRmT1_PNSt15iterator_traitsIS12_E10value_typeET2_T3_PNS13_IS18_E10value_typeET4_jRbjT5_S1E_jjP12ihipStream_tbEUljE_ZNSN_ISO_Lb0ESQ_SR_ST_SU_SY_EESZ_S10_S11_S12_S16_S17_S18_S1B_S1C_jS1D_jS1E_S1E_jjS1G_bEUljE0_EEESZ_S10_S11_S18_S1C_S1E_T6_T7_T9_mT8_S1G_bDpT10_ENKUlT_T0_E_clISt17integral_constantIbLb0EES1U_EEDaS1P_S1Q_EUlS1P_E_NS1_11comp_targetILNS1_3genE3ELNS1_11target_archE908ELNS1_3gpuE7ELNS1_3repE0EEENS1_30default_config_static_selectorELNS0_4arch9wavefront6targetE0EEEvS12_.num_vgpr, 0
	.set _ZN7rocprim17ROCPRIM_400000_NS6detail17trampoline_kernelINS0_13select_configILj256ELj13ELNS0_17block_load_methodE3ELS4_3ELS4_3ELNS0_20block_scan_algorithmE0ELj4294967295EEENS1_25partition_config_selectorILNS1_17partition_subalgoE4EjNS0_10empty_typeEbEEZZNS1_14partition_implILS8_4ELb0ES6_15HIP_vector_typeIjLj2EENS0_17counting_iteratorIjlEEPS9_SG_NS0_5tupleIJPjSI_NS0_16reverse_iteratorISI_EEEEENSH_IJSG_SG_SG_EEES9_SI_JZNS1_25segmented_radix_sort_implINS0_14default_configELb0EPKaPaPKlPlN2at6native12_GLOBAL__N_18offset_tEEE10hipError_tPvRmT1_PNSt15iterator_traitsIS12_E10value_typeET2_T3_PNS13_IS18_E10value_typeET4_jRbjT5_S1E_jjP12ihipStream_tbEUljE_ZNSN_ISO_Lb0ESQ_SR_ST_SU_SY_EESZ_S10_S11_S12_S16_S17_S18_S1B_S1C_jS1D_jS1E_S1E_jjS1G_bEUljE0_EEESZ_S10_S11_S18_S1C_S1E_T6_T7_T9_mT8_S1G_bDpT10_ENKUlT_T0_E_clISt17integral_constantIbLb0EES1U_EEDaS1P_S1Q_EUlS1P_E_NS1_11comp_targetILNS1_3genE3ELNS1_11target_archE908ELNS1_3gpuE7ELNS1_3repE0EEENS1_30default_config_static_selectorELNS0_4arch9wavefront6targetE0EEEvS12_.num_agpr, 0
	.set _ZN7rocprim17ROCPRIM_400000_NS6detail17trampoline_kernelINS0_13select_configILj256ELj13ELNS0_17block_load_methodE3ELS4_3ELS4_3ELNS0_20block_scan_algorithmE0ELj4294967295EEENS1_25partition_config_selectorILNS1_17partition_subalgoE4EjNS0_10empty_typeEbEEZZNS1_14partition_implILS8_4ELb0ES6_15HIP_vector_typeIjLj2EENS0_17counting_iteratorIjlEEPS9_SG_NS0_5tupleIJPjSI_NS0_16reverse_iteratorISI_EEEEENSH_IJSG_SG_SG_EEES9_SI_JZNS1_25segmented_radix_sort_implINS0_14default_configELb0EPKaPaPKlPlN2at6native12_GLOBAL__N_18offset_tEEE10hipError_tPvRmT1_PNSt15iterator_traitsIS12_E10value_typeET2_T3_PNS13_IS18_E10value_typeET4_jRbjT5_S1E_jjP12ihipStream_tbEUljE_ZNSN_ISO_Lb0ESQ_SR_ST_SU_SY_EESZ_S10_S11_S12_S16_S17_S18_S1B_S1C_jS1D_jS1E_S1E_jjS1G_bEUljE0_EEESZ_S10_S11_S18_S1C_S1E_T6_T7_T9_mT8_S1G_bDpT10_ENKUlT_T0_E_clISt17integral_constantIbLb0EES1U_EEDaS1P_S1Q_EUlS1P_E_NS1_11comp_targetILNS1_3genE3ELNS1_11target_archE908ELNS1_3gpuE7ELNS1_3repE0EEENS1_30default_config_static_selectorELNS0_4arch9wavefront6targetE0EEEvS12_.numbered_sgpr, 0
	.set _ZN7rocprim17ROCPRIM_400000_NS6detail17trampoline_kernelINS0_13select_configILj256ELj13ELNS0_17block_load_methodE3ELS4_3ELS4_3ELNS0_20block_scan_algorithmE0ELj4294967295EEENS1_25partition_config_selectorILNS1_17partition_subalgoE4EjNS0_10empty_typeEbEEZZNS1_14partition_implILS8_4ELb0ES6_15HIP_vector_typeIjLj2EENS0_17counting_iteratorIjlEEPS9_SG_NS0_5tupleIJPjSI_NS0_16reverse_iteratorISI_EEEEENSH_IJSG_SG_SG_EEES9_SI_JZNS1_25segmented_radix_sort_implINS0_14default_configELb0EPKaPaPKlPlN2at6native12_GLOBAL__N_18offset_tEEE10hipError_tPvRmT1_PNSt15iterator_traitsIS12_E10value_typeET2_T3_PNS13_IS18_E10value_typeET4_jRbjT5_S1E_jjP12ihipStream_tbEUljE_ZNSN_ISO_Lb0ESQ_SR_ST_SU_SY_EESZ_S10_S11_S12_S16_S17_S18_S1B_S1C_jS1D_jS1E_S1E_jjS1G_bEUljE0_EEESZ_S10_S11_S18_S1C_S1E_T6_T7_T9_mT8_S1G_bDpT10_ENKUlT_T0_E_clISt17integral_constantIbLb0EES1U_EEDaS1P_S1Q_EUlS1P_E_NS1_11comp_targetILNS1_3genE3ELNS1_11target_archE908ELNS1_3gpuE7ELNS1_3repE0EEENS1_30default_config_static_selectorELNS0_4arch9wavefront6targetE0EEEvS12_.num_named_barrier, 0
	.set _ZN7rocprim17ROCPRIM_400000_NS6detail17trampoline_kernelINS0_13select_configILj256ELj13ELNS0_17block_load_methodE3ELS4_3ELS4_3ELNS0_20block_scan_algorithmE0ELj4294967295EEENS1_25partition_config_selectorILNS1_17partition_subalgoE4EjNS0_10empty_typeEbEEZZNS1_14partition_implILS8_4ELb0ES6_15HIP_vector_typeIjLj2EENS0_17counting_iteratorIjlEEPS9_SG_NS0_5tupleIJPjSI_NS0_16reverse_iteratorISI_EEEEENSH_IJSG_SG_SG_EEES9_SI_JZNS1_25segmented_radix_sort_implINS0_14default_configELb0EPKaPaPKlPlN2at6native12_GLOBAL__N_18offset_tEEE10hipError_tPvRmT1_PNSt15iterator_traitsIS12_E10value_typeET2_T3_PNS13_IS18_E10value_typeET4_jRbjT5_S1E_jjP12ihipStream_tbEUljE_ZNSN_ISO_Lb0ESQ_SR_ST_SU_SY_EESZ_S10_S11_S12_S16_S17_S18_S1B_S1C_jS1D_jS1E_S1E_jjS1G_bEUljE0_EEESZ_S10_S11_S18_S1C_S1E_T6_T7_T9_mT8_S1G_bDpT10_ENKUlT_T0_E_clISt17integral_constantIbLb0EES1U_EEDaS1P_S1Q_EUlS1P_E_NS1_11comp_targetILNS1_3genE3ELNS1_11target_archE908ELNS1_3gpuE7ELNS1_3repE0EEENS1_30default_config_static_selectorELNS0_4arch9wavefront6targetE0EEEvS12_.private_seg_size, 0
	.set _ZN7rocprim17ROCPRIM_400000_NS6detail17trampoline_kernelINS0_13select_configILj256ELj13ELNS0_17block_load_methodE3ELS4_3ELS4_3ELNS0_20block_scan_algorithmE0ELj4294967295EEENS1_25partition_config_selectorILNS1_17partition_subalgoE4EjNS0_10empty_typeEbEEZZNS1_14partition_implILS8_4ELb0ES6_15HIP_vector_typeIjLj2EENS0_17counting_iteratorIjlEEPS9_SG_NS0_5tupleIJPjSI_NS0_16reverse_iteratorISI_EEEEENSH_IJSG_SG_SG_EEES9_SI_JZNS1_25segmented_radix_sort_implINS0_14default_configELb0EPKaPaPKlPlN2at6native12_GLOBAL__N_18offset_tEEE10hipError_tPvRmT1_PNSt15iterator_traitsIS12_E10value_typeET2_T3_PNS13_IS18_E10value_typeET4_jRbjT5_S1E_jjP12ihipStream_tbEUljE_ZNSN_ISO_Lb0ESQ_SR_ST_SU_SY_EESZ_S10_S11_S12_S16_S17_S18_S1B_S1C_jS1D_jS1E_S1E_jjS1G_bEUljE0_EEESZ_S10_S11_S18_S1C_S1E_T6_T7_T9_mT8_S1G_bDpT10_ENKUlT_T0_E_clISt17integral_constantIbLb0EES1U_EEDaS1P_S1Q_EUlS1P_E_NS1_11comp_targetILNS1_3genE3ELNS1_11target_archE908ELNS1_3gpuE7ELNS1_3repE0EEENS1_30default_config_static_selectorELNS0_4arch9wavefront6targetE0EEEvS12_.uses_vcc, 0
	.set _ZN7rocprim17ROCPRIM_400000_NS6detail17trampoline_kernelINS0_13select_configILj256ELj13ELNS0_17block_load_methodE3ELS4_3ELS4_3ELNS0_20block_scan_algorithmE0ELj4294967295EEENS1_25partition_config_selectorILNS1_17partition_subalgoE4EjNS0_10empty_typeEbEEZZNS1_14partition_implILS8_4ELb0ES6_15HIP_vector_typeIjLj2EENS0_17counting_iteratorIjlEEPS9_SG_NS0_5tupleIJPjSI_NS0_16reverse_iteratorISI_EEEEENSH_IJSG_SG_SG_EEES9_SI_JZNS1_25segmented_radix_sort_implINS0_14default_configELb0EPKaPaPKlPlN2at6native12_GLOBAL__N_18offset_tEEE10hipError_tPvRmT1_PNSt15iterator_traitsIS12_E10value_typeET2_T3_PNS13_IS18_E10value_typeET4_jRbjT5_S1E_jjP12ihipStream_tbEUljE_ZNSN_ISO_Lb0ESQ_SR_ST_SU_SY_EESZ_S10_S11_S12_S16_S17_S18_S1B_S1C_jS1D_jS1E_S1E_jjS1G_bEUljE0_EEESZ_S10_S11_S18_S1C_S1E_T6_T7_T9_mT8_S1G_bDpT10_ENKUlT_T0_E_clISt17integral_constantIbLb0EES1U_EEDaS1P_S1Q_EUlS1P_E_NS1_11comp_targetILNS1_3genE3ELNS1_11target_archE908ELNS1_3gpuE7ELNS1_3repE0EEENS1_30default_config_static_selectorELNS0_4arch9wavefront6targetE0EEEvS12_.uses_flat_scratch, 0
	.set _ZN7rocprim17ROCPRIM_400000_NS6detail17trampoline_kernelINS0_13select_configILj256ELj13ELNS0_17block_load_methodE3ELS4_3ELS4_3ELNS0_20block_scan_algorithmE0ELj4294967295EEENS1_25partition_config_selectorILNS1_17partition_subalgoE4EjNS0_10empty_typeEbEEZZNS1_14partition_implILS8_4ELb0ES6_15HIP_vector_typeIjLj2EENS0_17counting_iteratorIjlEEPS9_SG_NS0_5tupleIJPjSI_NS0_16reverse_iteratorISI_EEEEENSH_IJSG_SG_SG_EEES9_SI_JZNS1_25segmented_radix_sort_implINS0_14default_configELb0EPKaPaPKlPlN2at6native12_GLOBAL__N_18offset_tEEE10hipError_tPvRmT1_PNSt15iterator_traitsIS12_E10value_typeET2_T3_PNS13_IS18_E10value_typeET4_jRbjT5_S1E_jjP12ihipStream_tbEUljE_ZNSN_ISO_Lb0ESQ_SR_ST_SU_SY_EESZ_S10_S11_S12_S16_S17_S18_S1B_S1C_jS1D_jS1E_S1E_jjS1G_bEUljE0_EEESZ_S10_S11_S18_S1C_S1E_T6_T7_T9_mT8_S1G_bDpT10_ENKUlT_T0_E_clISt17integral_constantIbLb0EES1U_EEDaS1P_S1Q_EUlS1P_E_NS1_11comp_targetILNS1_3genE3ELNS1_11target_archE908ELNS1_3gpuE7ELNS1_3repE0EEENS1_30default_config_static_selectorELNS0_4arch9wavefront6targetE0EEEvS12_.has_dyn_sized_stack, 0
	.set _ZN7rocprim17ROCPRIM_400000_NS6detail17trampoline_kernelINS0_13select_configILj256ELj13ELNS0_17block_load_methodE3ELS4_3ELS4_3ELNS0_20block_scan_algorithmE0ELj4294967295EEENS1_25partition_config_selectorILNS1_17partition_subalgoE4EjNS0_10empty_typeEbEEZZNS1_14partition_implILS8_4ELb0ES6_15HIP_vector_typeIjLj2EENS0_17counting_iteratorIjlEEPS9_SG_NS0_5tupleIJPjSI_NS0_16reverse_iteratorISI_EEEEENSH_IJSG_SG_SG_EEES9_SI_JZNS1_25segmented_radix_sort_implINS0_14default_configELb0EPKaPaPKlPlN2at6native12_GLOBAL__N_18offset_tEEE10hipError_tPvRmT1_PNSt15iterator_traitsIS12_E10value_typeET2_T3_PNS13_IS18_E10value_typeET4_jRbjT5_S1E_jjP12ihipStream_tbEUljE_ZNSN_ISO_Lb0ESQ_SR_ST_SU_SY_EESZ_S10_S11_S12_S16_S17_S18_S1B_S1C_jS1D_jS1E_S1E_jjS1G_bEUljE0_EEESZ_S10_S11_S18_S1C_S1E_T6_T7_T9_mT8_S1G_bDpT10_ENKUlT_T0_E_clISt17integral_constantIbLb0EES1U_EEDaS1P_S1Q_EUlS1P_E_NS1_11comp_targetILNS1_3genE3ELNS1_11target_archE908ELNS1_3gpuE7ELNS1_3repE0EEENS1_30default_config_static_selectorELNS0_4arch9wavefront6targetE0EEEvS12_.has_recursion, 0
	.set _ZN7rocprim17ROCPRIM_400000_NS6detail17trampoline_kernelINS0_13select_configILj256ELj13ELNS0_17block_load_methodE3ELS4_3ELS4_3ELNS0_20block_scan_algorithmE0ELj4294967295EEENS1_25partition_config_selectorILNS1_17partition_subalgoE4EjNS0_10empty_typeEbEEZZNS1_14partition_implILS8_4ELb0ES6_15HIP_vector_typeIjLj2EENS0_17counting_iteratorIjlEEPS9_SG_NS0_5tupleIJPjSI_NS0_16reverse_iteratorISI_EEEEENSH_IJSG_SG_SG_EEES9_SI_JZNS1_25segmented_radix_sort_implINS0_14default_configELb0EPKaPaPKlPlN2at6native12_GLOBAL__N_18offset_tEEE10hipError_tPvRmT1_PNSt15iterator_traitsIS12_E10value_typeET2_T3_PNS13_IS18_E10value_typeET4_jRbjT5_S1E_jjP12ihipStream_tbEUljE_ZNSN_ISO_Lb0ESQ_SR_ST_SU_SY_EESZ_S10_S11_S12_S16_S17_S18_S1B_S1C_jS1D_jS1E_S1E_jjS1G_bEUljE0_EEESZ_S10_S11_S18_S1C_S1E_T6_T7_T9_mT8_S1G_bDpT10_ENKUlT_T0_E_clISt17integral_constantIbLb0EES1U_EEDaS1P_S1Q_EUlS1P_E_NS1_11comp_targetILNS1_3genE3ELNS1_11target_archE908ELNS1_3gpuE7ELNS1_3repE0EEENS1_30default_config_static_selectorELNS0_4arch9wavefront6targetE0EEEvS12_.has_indirect_call, 0
	.section	.AMDGPU.csdata,"",@progbits
; Kernel info:
; codeLenInByte = 0
; TotalNumSgprs: 0
; NumVgprs: 0
; ScratchSize: 0
; MemoryBound: 0
; FloatMode: 240
; IeeeMode: 1
; LDSByteSize: 0 bytes/workgroup (compile time only)
; SGPRBlocks: 0
; VGPRBlocks: 0
; NumSGPRsForWavesPerEU: 1
; NumVGPRsForWavesPerEU: 1
; NamedBarCnt: 0
; Occupancy: 16
; WaveLimiterHint : 0
; COMPUTE_PGM_RSRC2:SCRATCH_EN: 0
; COMPUTE_PGM_RSRC2:USER_SGPR: 2
; COMPUTE_PGM_RSRC2:TRAP_HANDLER: 0
; COMPUTE_PGM_RSRC2:TGID_X_EN: 1
; COMPUTE_PGM_RSRC2:TGID_Y_EN: 0
; COMPUTE_PGM_RSRC2:TGID_Z_EN: 0
; COMPUTE_PGM_RSRC2:TIDIG_COMP_CNT: 0
	.section	.text._ZN7rocprim17ROCPRIM_400000_NS6detail17trampoline_kernelINS0_13select_configILj256ELj13ELNS0_17block_load_methodE3ELS4_3ELS4_3ELNS0_20block_scan_algorithmE0ELj4294967295EEENS1_25partition_config_selectorILNS1_17partition_subalgoE4EjNS0_10empty_typeEbEEZZNS1_14partition_implILS8_4ELb0ES6_15HIP_vector_typeIjLj2EENS0_17counting_iteratorIjlEEPS9_SG_NS0_5tupleIJPjSI_NS0_16reverse_iteratorISI_EEEEENSH_IJSG_SG_SG_EEES9_SI_JZNS1_25segmented_radix_sort_implINS0_14default_configELb0EPKaPaPKlPlN2at6native12_GLOBAL__N_18offset_tEEE10hipError_tPvRmT1_PNSt15iterator_traitsIS12_E10value_typeET2_T3_PNS13_IS18_E10value_typeET4_jRbjT5_S1E_jjP12ihipStream_tbEUljE_ZNSN_ISO_Lb0ESQ_SR_ST_SU_SY_EESZ_S10_S11_S12_S16_S17_S18_S1B_S1C_jS1D_jS1E_S1E_jjS1G_bEUljE0_EEESZ_S10_S11_S18_S1C_S1E_T6_T7_T9_mT8_S1G_bDpT10_ENKUlT_T0_E_clISt17integral_constantIbLb0EES1U_EEDaS1P_S1Q_EUlS1P_E_NS1_11comp_targetILNS1_3genE2ELNS1_11target_archE906ELNS1_3gpuE6ELNS1_3repE0EEENS1_30default_config_static_selectorELNS0_4arch9wavefront6targetE0EEEvS12_,"axG",@progbits,_ZN7rocprim17ROCPRIM_400000_NS6detail17trampoline_kernelINS0_13select_configILj256ELj13ELNS0_17block_load_methodE3ELS4_3ELS4_3ELNS0_20block_scan_algorithmE0ELj4294967295EEENS1_25partition_config_selectorILNS1_17partition_subalgoE4EjNS0_10empty_typeEbEEZZNS1_14partition_implILS8_4ELb0ES6_15HIP_vector_typeIjLj2EENS0_17counting_iteratorIjlEEPS9_SG_NS0_5tupleIJPjSI_NS0_16reverse_iteratorISI_EEEEENSH_IJSG_SG_SG_EEES9_SI_JZNS1_25segmented_radix_sort_implINS0_14default_configELb0EPKaPaPKlPlN2at6native12_GLOBAL__N_18offset_tEEE10hipError_tPvRmT1_PNSt15iterator_traitsIS12_E10value_typeET2_T3_PNS13_IS18_E10value_typeET4_jRbjT5_S1E_jjP12ihipStream_tbEUljE_ZNSN_ISO_Lb0ESQ_SR_ST_SU_SY_EESZ_S10_S11_S12_S16_S17_S18_S1B_S1C_jS1D_jS1E_S1E_jjS1G_bEUljE0_EEESZ_S10_S11_S18_S1C_S1E_T6_T7_T9_mT8_S1G_bDpT10_ENKUlT_T0_E_clISt17integral_constantIbLb0EES1U_EEDaS1P_S1Q_EUlS1P_E_NS1_11comp_targetILNS1_3genE2ELNS1_11target_archE906ELNS1_3gpuE6ELNS1_3repE0EEENS1_30default_config_static_selectorELNS0_4arch9wavefront6targetE0EEEvS12_,comdat
	.globl	_ZN7rocprim17ROCPRIM_400000_NS6detail17trampoline_kernelINS0_13select_configILj256ELj13ELNS0_17block_load_methodE3ELS4_3ELS4_3ELNS0_20block_scan_algorithmE0ELj4294967295EEENS1_25partition_config_selectorILNS1_17partition_subalgoE4EjNS0_10empty_typeEbEEZZNS1_14partition_implILS8_4ELb0ES6_15HIP_vector_typeIjLj2EENS0_17counting_iteratorIjlEEPS9_SG_NS0_5tupleIJPjSI_NS0_16reverse_iteratorISI_EEEEENSH_IJSG_SG_SG_EEES9_SI_JZNS1_25segmented_radix_sort_implINS0_14default_configELb0EPKaPaPKlPlN2at6native12_GLOBAL__N_18offset_tEEE10hipError_tPvRmT1_PNSt15iterator_traitsIS12_E10value_typeET2_T3_PNS13_IS18_E10value_typeET4_jRbjT5_S1E_jjP12ihipStream_tbEUljE_ZNSN_ISO_Lb0ESQ_SR_ST_SU_SY_EESZ_S10_S11_S12_S16_S17_S18_S1B_S1C_jS1D_jS1E_S1E_jjS1G_bEUljE0_EEESZ_S10_S11_S18_S1C_S1E_T6_T7_T9_mT8_S1G_bDpT10_ENKUlT_T0_E_clISt17integral_constantIbLb0EES1U_EEDaS1P_S1Q_EUlS1P_E_NS1_11comp_targetILNS1_3genE2ELNS1_11target_archE906ELNS1_3gpuE6ELNS1_3repE0EEENS1_30default_config_static_selectorELNS0_4arch9wavefront6targetE0EEEvS12_ ; -- Begin function _ZN7rocprim17ROCPRIM_400000_NS6detail17trampoline_kernelINS0_13select_configILj256ELj13ELNS0_17block_load_methodE3ELS4_3ELS4_3ELNS0_20block_scan_algorithmE0ELj4294967295EEENS1_25partition_config_selectorILNS1_17partition_subalgoE4EjNS0_10empty_typeEbEEZZNS1_14partition_implILS8_4ELb0ES6_15HIP_vector_typeIjLj2EENS0_17counting_iteratorIjlEEPS9_SG_NS0_5tupleIJPjSI_NS0_16reverse_iteratorISI_EEEEENSH_IJSG_SG_SG_EEES9_SI_JZNS1_25segmented_radix_sort_implINS0_14default_configELb0EPKaPaPKlPlN2at6native12_GLOBAL__N_18offset_tEEE10hipError_tPvRmT1_PNSt15iterator_traitsIS12_E10value_typeET2_T3_PNS13_IS18_E10value_typeET4_jRbjT5_S1E_jjP12ihipStream_tbEUljE_ZNSN_ISO_Lb0ESQ_SR_ST_SU_SY_EESZ_S10_S11_S12_S16_S17_S18_S1B_S1C_jS1D_jS1E_S1E_jjS1G_bEUljE0_EEESZ_S10_S11_S18_S1C_S1E_T6_T7_T9_mT8_S1G_bDpT10_ENKUlT_T0_E_clISt17integral_constantIbLb0EES1U_EEDaS1P_S1Q_EUlS1P_E_NS1_11comp_targetILNS1_3genE2ELNS1_11target_archE906ELNS1_3gpuE6ELNS1_3repE0EEENS1_30default_config_static_selectorELNS0_4arch9wavefront6targetE0EEEvS12_
	.p2align	8
	.type	_ZN7rocprim17ROCPRIM_400000_NS6detail17trampoline_kernelINS0_13select_configILj256ELj13ELNS0_17block_load_methodE3ELS4_3ELS4_3ELNS0_20block_scan_algorithmE0ELj4294967295EEENS1_25partition_config_selectorILNS1_17partition_subalgoE4EjNS0_10empty_typeEbEEZZNS1_14partition_implILS8_4ELb0ES6_15HIP_vector_typeIjLj2EENS0_17counting_iteratorIjlEEPS9_SG_NS0_5tupleIJPjSI_NS0_16reverse_iteratorISI_EEEEENSH_IJSG_SG_SG_EEES9_SI_JZNS1_25segmented_radix_sort_implINS0_14default_configELb0EPKaPaPKlPlN2at6native12_GLOBAL__N_18offset_tEEE10hipError_tPvRmT1_PNSt15iterator_traitsIS12_E10value_typeET2_T3_PNS13_IS18_E10value_typeET4_jRbjT5_S1E_jjP12ihipStream_tbEUljE_ZNSN_ISO_Lb0ESQ_SR_ST_SU_SY_EESZ_S10_S11_S12_S16_S17_S18_S1B_S1C_jS1D_jS1E_S1E_jjS1G_bEUljE0_EEESZ_S10_S11_S18_S1C_S1E_T6_T7_T9_mT8_S1G_bDpT10_ENKUlT_T0_E_clISt17integral_constantIbLb0EES1U_EEDaS1P_S1Q_EUlS1P_E_NS1_11comp_targetILNS1_3genE2ELNS1_11target_archE906ELNS1_3gpuE6ELNS1_3repE0EEENS1_30default_config_static_selectorELNS0_4arch9wavefront6targetE0EEEvS12_,@function
_ZN7rocprim17ROCPRIM_400000_NS6detail17trampoline_kernelINS0_13select_configILj256ELj13ELNS0_17block_load_methodE3ELS4_3ELS4_3ELNS0_20block_scan_algorithmE0ELj4294967295EEENS1_25partition_config_selectorILNS1_17partition_subalgoE4EjNS0_10empty_typeEbEEZZNS1_14partition_implILS8_4ELb0ES6_15HIP_vector_typeIjLj2EENS0_17counting_iteratorIjlEEPS9_SG_NS0_5tupleIJPjSI_NS0_16reverse_iteratorISI_EEEEENSH_IJSG_SG_SG_EEES9_SI_JZNS1_25segmented_radix_sort_implINS0_14default_configELb0EPKaPaPKlPlN2at6native12_GLOBAL__N_18offset_tEEE10hipError_tPvRmT1_PNSt15iterator_traitsIS12_E10value_typeET2_T3_PNS13_IS18_E10value_typeET4_jRbjT5_S1E_jjP12ihipStream_tbEUljE_ZNSN_ISO_Lb0ESQ_SR_ST_SU_SY_EESZ_S10_S11_S12_S16_S17_S18_S1B_S1C_jS1D_jS1E_S1E_jjS1G_bEUljE0_EEESZ_S10_S11_S18_S1C_S1E_T6_T7_T9_mT8_S1G_bDpT10_ENKUlT_T0_E_clISt17integral_constantIbLb0EES1U_EEDaS1P_S1Q_EUlS1P_E_NS1_11comp_targetILNS1_3genE2ELNS1_11target_archE906ELNS1_3gpuE6ELNS1_3repE0EEENS1_30default_config_static_selectorELNS0_4arch9wavefront6targetE0EEEvS12_: ; @_ZN7rocprim17ROCPRIM_400000_NS6detail17trampoline_kernelINS0_13select_configILj256ELj13ELNS0_17block_load_methodE3ELS4_3ELS4_3ELNS0_20block_scan_algorithmE0ELj4294967295EEENS1_25partition_config_selectorILNS1_17partition_subalgoE4EjNS0_10empty_typeEbEEZZNS1_14partition_implILS8_4ELb0ES6_15HIP_vector_typeIjLj2EENS0_17counting_iteratorIjlEEPS9_SG_NS0_5tupleIJPjSI_NS0_16reverse_iteratorISI_EEEEENSH_IJSG_SG_SG_EEES9_SI_JZNS1_25segmented_radix_sort_implINS0_14default_configELb0EPKaPaPKlPlN2at6native12_GLOBAL__N_18offset_tEEE10hipError_tPvRmT1_PNSt15iterator_traitsIS12_E10value_typeET2_T3_PNS13_IS18_E10value_typeET4_jRbjT5_S1E_jjP12ihipStream_tbEUljE_ZNSN_ISO_Lb0ESQ_SR_ST_SU_SY_EESZ_S10_S11_S12_S16_S17_S18_S1B_S1C_jS1D_jS1E_S1E_jjS1G_bEUljE0_EEESZ_S10_S11_S18_S1C_S1E_T6_T7_T9_mT8_S1G_bDpT10_ENKUlT_T0_E_clISt17integral_constantIbLb0EES1U_EEDaS1P_S1Q_EUlS1P_E_NS1_11comp_targetILNS1_3genE2ELNS1_11target_archE906ELNS1_3gpuE6ELNS1_3repE0EEENS1_30default_config_static_selectorELNS0_4arch9wavefront6targetE0EEEvS12_
; %bb.0:
	.section	.rodata,"a",@progbits
	.p2align	6, 0x0
	.amdhsa_kernel _ZN7rocprim17ROCPRIM_400000_NS6detail17trampoline_kernelINS0_13select_configILj256ELj13ELNS0_17block_load_methodE3ELS4_3ELS4_3ELNS0_20block_scan_algorithmE0ELj4294967295EEENS1_25partition_config_selectorILNS1_17partition_subalgoE4EjNS0_10empty_typeEbEEZZNS1_14partition_implILS8_4ELb0ES6_15HIP_vector_typeIjLj2EENS0_17counting_iteratorIjlEEPS9_SG_NS0_5tupleIJPjSI_NS0_16reverse_iteratorISI_EEEEENSH_IJSG_SG_SG_EEES9_SI_JZNS1_25segmented_radix_sort_implINS0_14default_configELb0EPKaPaPKlPlN2at6native12_GLOBAL__N_18offset_tEEE10hipError_tPvRmT1_PNSt15iterator_traitsIS12_E10value_typeET2_T3_PNS13_IS18_E10value_typeET4_jRbjT5_S1E_jjP12ihipStream_tbEUljE_ZNSN_ISO_Lb0ESQ_SR_ST_SU_SY_EESZ_S10_S11_S12_S16_S17_S18_S1B_S1C_jS1D_jS1E_S1E_jjS1G_bEUljE0_EEESZ_S10_S11_S18_S1C_S1E_T6_T7_T9_mT8_S1G_bDpT10_ENKUlT_T0_E_clISt17integral_constantIbLb0EES1U_EEDaS1P_S1Q_EUlS1P_E_NS1_11comp_targetILNS1_3genE2ELNS1_11target_archE906ELNS1_3gpuE6ELNS1_3repE0EEENS1_30default_config_static_selectorELNS0_4arch9wavefront6targetE0EEEvS12_
		.amdhsa_group_segment_fixed_size 0
		.amdhsa_private_segment_fixed_size 0
		.amdhsa_kernarg_size 176
		.amdhsa_user_sgpr_count 2
		.amdhsa_user_sgpr_dispatch_ptr 0
		.amdhsa_user_sgpr_queue_ptr 0
		.amdhsa_user_sgpr_kernarg_segment_ptr 1
		.amdhsa_user_sgpr_dispatch_id 0
		.amdhsa_user_sgpr_kernarg_preload_length 0
		.amdhsa_user_sgpr_kernarg_preload_offset 0
		.amdhsa_user_sgpr_private_segment_size 0
		.amdhsa_wavefront_size32 1
		.amdhsa_uses_dynamic_stack 0
		.amdhsa_enable_private_segment 0
		.amdhsa_system_sgpr_workgroup_id_x 1
		.amdhsa_system_sgpr_workgroup_id_y 0
		.amdhsa_system_sgpr_workgroup_id_z 0
		.amdhsa_system_sgpr_workgroup_info 0
		.amdhsa_system_vgpr_workitem_id 0
		.amdhsa_next_free_vgpr 1
		.amdhsa_next_free_sgpr 1
		.amdhsa_named_barrier_count 0
		.amdhsa_reserve_vcc 0
		.amdhsa_float_round_mode_32 0
		.amdhsa_float_round_mode_16_64 0
		.amdhsa_float_denorm_mode_32 3
		.amdhsa_float_denorm_mode_16_64 3
		.amdhsa_fp16_overflow 0
		.amdhsa_memory_ordered 1
		.amdhsa_forward_progress 1
		.amdhsa_inst_pref_size 0
		.amdhsa_round_robin_scheduling 0
		.amdhsa_exception_fp_ieee_invalid_op 0
		.amdhsa_exception_fp_denorm_src 0
		.amdhsa_exception_fp_ieee_div_zero 0
		.amdhsa_exception_fp_ieee_overflow 0
		.amdhsa_exception_fp_ieee_underflow 0
		.amdhsa_exception_fp_ieee_inexact 0
		.amdhsa_exception_int_div_zero 0
	.end_amdhsa_kernel
	.section	.text._ZN7rocprim17ROCPRIM_400000_NS6detail17trampoline_kernelINS0_13select_configILj256ELj13ELNS0_17block_load_methodE3ELS4_3ELS4_3ELNS0_20block_scan_algorithmE0ELj4294967295EEENS1_25partition_config_selectorILNS1_17partition_subalgoE4EjNS0_10empty_typeEbEEZZNS1_14partition_implILS8_4ELb0ES6_15HIP_vector_typeIjLj2EENS0_17counting_iteratorIjlEEPS9_SG_NS0_5tupleIJPjSI_NS0_16reverse_iteratorISI_EEEEENSH_IJSG_SG_SG_EEES9_SI_JZNS1_25segmented_radix_sort_implINS0_14default_configELb0EPKaPaPKlPlN2at6native12_GLOBAL__N_18offset_tEEE10hipError_tPvRmT1_PNSt15iterator_traitsIS12_E10value_typeET2_T3_PNS13_IS18_E10value_typeET4_jRbjT5_S1E_jjP12ihipStream_tbEUljE_ZNSN_ISO_Lb0ESQ_SR_ST_SU_SY_EESZ_S10_S11_S12_S16_S17_S18_S1B_S1C_jS1D_jS1E_S1E_jjS1G_bEUljE0_EEESZ_S10_S11_S18_S1C_S1E_T6_T7_T9_mT8_S1G_bDpT10_ENKUlT_T0_E_clISt17integral_constantIbLb0EES1U_EEDaS1P_S1Q_EUlS1P_E_NS1_11comp_targetILNS1_3genE2ELNS1_11target_archE906ELNS1_3gpuE6ELNS1_3repE0EEENS1_30default_config_static_selectorELNS0_4arch9wavefront6targetE0EEEvS12_,"axG",@progbits,_ZN7rocprim17ROCPRIM_400000_NS6detail17trampoline_kernelINS0_13select_configILj256ELj13ELNS0_17block_load_methodE3ELS4_3ELS4_3ELNS0_20block_scan_algorithmE0ELj4294967295EEENS1_25partition_config_selectorILNS1_17partition_subalgoE4EjNS0_10empty_typeEbEEZZNS1_14partition_implILS8_4ELb0ES6_15HIP_vector_typeIjLj2EENS0_17counting_iteratorIjlEEPS9_SG_NS0_5tupleIJPjSI_NS0_16reverse_iteratorISI_EEEEENSH_IJSG_SG_SG_EEES9_SI_JZNS1_25segmented_radix_sort_implINS0_14default_configELb0EPKaPaPKlPlN2at6native12_GLOBAL__N_18offset_tEEE10hipError_tPvRmT1_PNSt15iterator_traitsIS12_E10value_typeET2_T3_PNS13_IS18_E10value_typeET4_jRbjT5_S1E_jjP12ihipStream_tbEUljE_ZNSN_ISO_Lb0ESQ_SR_ST_SU_SY_EESZ_S10_S11_S12_S16_S17_S18_S1B_S1C_jS1D_jS1E_S1E_jjS1G_bEUljE0_EEESZ_S10_S11_S18_S1C_S1E_T6_T7_T9_mT8_S1G_bDpT10_ENKUlT_T0_E_clISt17integral_constantIbLb0EES1U_EEDaS1P_S1Q_EUlS1P_E_NS1_11comp_targetILNS1_3genE2ELNS1_11target_archE906ELNS1_3gpuE6ELNS1_3repE0EEENS1_30default_config_static_selectorELNS0_4arch9wavefront6targetE0EEEvS12_,comdat
.Lfunc_end330:
	.size	_ZN7rocprim17ROCPRIM_400000_NS6detail17trampoline_kernelINS0_13select_configILj256ELj13ELNS0_17block_load_methodE3ELS4_3ELS4_3ELNS0_20block_scan_algorithmE0ELj4294967295EEENS1_25partition_config_selectorILNS1_17partition_subalgoE4EjNS0_10empty_typeEbEEZZNS1_14partition_implILS8_4ELb0ES6_15HIP_vector_typeIjLj2EENS0_17counting_iteratorIjlEEPS9_SG_NS0_5tupleIJPjSI_NS0_16reverse_iteratorISI_EEEEENSH_IJSG_SG_SG_EEES9_SI_JZNS1_25segmented_radix_sort_implINS0_14default_configELb0EPKaPaPKlPlN2at6native12_GLOBAL__N_18offset_tEEE10hipError_tPvRmT1_PNSt15iterator_traitsIS12_E10value_typeET2_T3_PNS13_IS18_E10value_typeET4_jRbjT5_S1E_jjP12ihipStream_tbEUljE_ZNSN_ISO_Lb0ESQ_SR_ST_SU_SY_EESZ_S10_S11_S12_S16_S17_S18_S1B_S1C_jS1D_jS1E_S1E_jjS1G_bEUljE0_EEESZ_S10_S11_S18_S1C_S1E_T6_T7_T9_mT8_S1G_bDpT10_ENKUlT_T0_E_clISt17integral_constantIbLb0EES1U_EEDaS1P_S1Q_EUlS1P_E_NS1_11comp_targetILNS1_3genE2ELNS1_11target_archE906ELNS1_3gpuE6ELNS1_3repE0EEENS1_30default_config_static_selectorELNS0_4arch9wavefront6targetE0EEEvS12_, .Lfunc_end330-_ZN7rocprim17ROCPRIM_400000_NS6detail17trampoline_kernelINS0_13select_configILj256ELj13ELNS0_17block_load_methodE3ELS4_3ELS4_3ELNS0_20block_scan_algorithmE0ELj4294967295EEENS1_25partition_config_selectorILNS1_17partition_subalgoE4EjNS0_10empty_typeEbEEZZNS1_14partition_implILS8_4ELb0ES6_15HIP_vector_typeIjLj2EENS0_17counting_iteratorIjlEEPS9_SG_NS0_5tupleIJPjSI_NS0_16reverse_iteratorISI_EEEEENSH_IJSG_SG_SG_EEES9_SI_JZNS1_25segmented_radix_sort_implINS0_14default_configELb0EPKaPaPKlPlN2at6native12_GLOBAL__N_18offset_tEEE10hipError_tPvRmT1_PNSt15iterator_traitsIS12_E10value_typeET2_T3_PNS13_IS18_E10value_typeET4_jRbjT5_S1E_jjP12ihipStream_tbEUljE_ZNSN_ISO_Lb0ESQ_SR_ST_SU_SY_EESZ_S10_S11_S12_S16_S17_S18_S1B_S1C_jS1D_jS1E_S1E_jjS1G_bEUljE0_EEESZ_S10_S11_S18_S1C_S1E_T6_T7_T9_mT8_S1G_bDpT10_ENKUlT_T0_E_clISt17integral_constantIbLb0EES1U_EEDaS1P_S1Q_EUlS1P_E_NS1_11comp_targetILNS1_3genE2ELNS1_11target_archE906ELNS1_3gpuE6ELNS1_3repE0EEENS1_30default_config_static_selectorELNS0_4arch9wavefront6targetE0EEEvS12_
                                        ; -- End function
	.set _ZN7rocprim17ROCPRIM_400000_NS6detail17trampoline_kernelINS0_13select_configILj256ELj13ELNS0_17block_load_methodE3ELS4_3ELS4_3ELNS0_20block_scan_algorithmE0ELj4294967295EEENS1_25partition_config_selectorILNS1_17partition_subalgoE4EjNS0_10empty_typeEbEEZZNS1_14partition_implILS8_4ELb0ES6_15HIP_vector_typeIjLj2EENS0_17counting_iteratorIjlEEPS9_SG_NS0_5tupleIJPjSI_NS0_16reverse_iteratorISI_EEEEENSH_IJSG_SG_SG_EEES9_SI_JZNS1_25segmented_radix_sort_implINS0_14default_configELb0EPKaPaPKlPlN2at6native12_GLOBAL__N_18offset_tEEE10hipError_tPvRmT1_PNSt15iterator_traitsIS12_E10value_typeET2_T3_PNS13_IS18_E10value_typeET4_jRbjT5_S1E_jjP12ihipStream_tbEUljE_ZNSN_ISO_Lb0ESQ_SR_ST_SU_SY_EESZ_S10_S11_S12_S16_S17_S18_S1B_S1C_jS1D_jS1E_S1E_jjS1G_bEUljE0_EEESZ_S10_S11_S18_S1C_S1E_T6_T7_T9_mT8_S1G_bDpT10_ENKUlT_T0_E_clISt17integral_constantIbLb0EES1U_EEDaS1P_S1Q_EUlS1P_E_NS1_11comp_targetILNS1_3genE2ELNS1_11target_archE906ELNS1_3gpuE6ELNS1_3repE0EEENS1_30default_config_static_selectorELNS0_4arch9wavefront6targetE0EEEvS12_.num_vgpr, 0
	.set _ZN7rocprim17ROCPRIM_400000_NS6detail17trampoline_kernelINS0_13select_configILj256ELj13ELNS0_17block_load_methodE3ELS4_3ELS4_3ELNS0_20block_scan_algorithmE0ELj4294967295EEENS1_25partition_config_selectorILNS1_17partition_subalgoE4EjNS0_10empty_typeEbEEZZNS1_14partition_implILS8_4ELb0ES6_15HIP_vector_typeIjLj2EENS0_17counting_iteratorIjlEEPS9_SG_NS0_5tupleIJPjSI_NS0_16reverse_iteratorISI_EEEEENSH_IJSG_SG_SG_EEES9_SI_JZNS1_25segmented_radix_sort_implINS0_14default_configELb0EPKaPaPKlPlN2at6native12_GLOBAL__N_18offset_tEEE10hipError_tPvRmT1_PNSt15iterator_traitsIS12_E10value_typeET2_T3_PNS13_IS18_E10value_typeET4_jRbjT5_S1E_jjP12ihipStream_tbEUljE_ZNSN_ISO_Lb0ESQ_SR_ST_SU_SY_EESZ_S10_S11_S12_S16_S17_S18_S1B_S1C_jS1D_jS1E_S1E_jjS1G_bEUljE0_EEESZ_S10_S11_S18_S1C_S1E_T6_T7_T9_mT8_S1G_bDpT10_ENKUlT_T0_E_clISt17integral_constantIbLb0EES1U_EEDaS1P_S1Q_EUlS1P_E_NS1_11comp_targetILNS1_3genE2ELNS1_11target_archE906ELNS1_3gpuE6ELNS1_3repE0EEENS1_30default_config_static_selectorELNS0_4arch9wavefront6targetE0EEEvS12_.num_agpr, 0
	.set _ZN7rocprim17ROCPRIM_400000_NS6detail17trampoline_kernelINS0_13select_configILj256ELj13ELNS0_17block_load_methodE3ELS4_3ELS4_3ELNS0_20block_scan_algorithmE0ELj4294967295EEENS1_25partition_config_selectorILNS1_17partition_subalgoE4EjNS0_10empty_typeEbEEZZNS1_14partition_implILS8_4ELb0ES6_15HIP_vector_typeIjLj2EENS0_17counting_iteratorIjlEEPS9_SG_NS0_5tupleIJPjSI_NS0_16reverse_iteratorISI_EEEEENSH_IJSG_SG_SG_EEES9_SI_JZNS1_25segmented_radix_sort_implINS0_14default_configELb0EPKaPaPKlPlN2at6native12_GLOBAL__N_18offset_tEEE10hipError_tPvRmT1_PNSt15iterator_traitsIS12_E10value_typeET2_T3_PNS13_IS18_E10value_typeET4_jRbjT5_S1E_jjP12ihipStream_tbEUljE_ZNSN_ISO_Lb0ESQ_SR_ST_SU_SY_EESZ_S10_S11_S12_S16_S17_S18_S1B_S1C_jS1D_jS1E_S1E_jjS1G_bEUljE0_EEESZ_S10_S11_S18_S1C_S1E_T6_T7_T9_mT8_S1G_bDpT10_ENKUlT_T0_E_clISt17integral_constantIbLb0EES1U_EEDaS1P_S1Q_EUlS1P_E_NS1_11comp_targetILNS1_3genE2ELNS1_11target_archE906ELNS1_3gpuE6ELNS1_3repE0EEENS1_30default_config_static_selectorELNS0_4arch9wavefront6targetE0EEEvS12_.numbered_sgpr, 0
	.set _ZN7rocprim17ROCPRIM_400000_NS6detail17trampoline_kernelINS0_13select_configILj256ELj13ELNS0_17block_load_methodE3ELS4_3ELS4_3ELNS0_20block_scan_algorithmE0ELj4294967295EEENS1_25partition_config_selectorILNS1_17partition_subalgoE4EjNS0_10empty_typeEbEEZZNS1_14partition_implILS8_4ELb0ES6_15HIP_vector_typeIjLj2EENS0_17counting_iteratorIjlEEPS9_SG_NS0_5tupleIJPjSI_NS0_16reverse_iteratorISI_EEEEENSH_IJSG_SG_SG_EEES9_SI_JZNS1_25segmented_radix_sort_implINS0_14default_configELb0EPKaPaPKlPlN2at6native12_GLOBAL__N_18offset_tEEE10hipError_tPvRmT1_PNSt15iterator_traitsIS12_E10value_typeET2_T3_PNS13_IS18_E10value_typeET4_jRbjT5_S1E_jjP12ihipStream_tbEUljE_ZNSN_ISO_Lb0ESQ_SR_ST_SU_SY_EESZ_S10_S11_S12_S16_S17_S18_S1B_S1C_jS1D_jS1E_S1E_jjS1G_bEUljE0_EEESZ_S10_S11_S18_S1C_S1E_T6_T7_T9_mT8_S1G_bDpT10_ENKUlT_T0_E_clISt17integral_constantIbLb0EES1U_EEDaS1P_S1Q_EUlS1P_E_NS1_11comp_targetILNS1_3genE2ELNS1_11target_archE906ELNS1_3gpuE6ELNS1_3repE0EEENS1_30default_config_static_selectorELNS0_4arch9wavefront6targetE0EEEvS12_.num_named_barrier, 0
	.set _ZN7rocprim17ROCPRIM_400000_NS6detail17trampoline_kernelINS0_13select_configILj256ELj13ELNS0_17block_load_methodE3ELS4_3ELS4_3ELNS0_20block_scan_algorithmE0ELj4294967295EEENS1_25partition_config_selectorILNS1_17partition_subalgoE4EjNS0_10empty_typeEbEEZZNS1_14partition_implILS8_4ELb0ES6_15HIP_vector_typeIjLj2EENS0_17counting_iteratorIjlEEPS9_SG_NS0_5tupleIJPjSI_NS0_16reverse_iteratorISI_EEEEENSH_IJSG_SG_SG_EEES9_SI_JZNS1_25segmented_radix_sort_implINS0_14default_configELb0EPKaPaPKlPlN2at6native12_GLOBAL__N_18offset_tEEE10hipError_tPvRmT1_PNSt15iterator_traitsIS12_E10value_typeET2_T3_PNS13_IS18_E10value_typeET4_jRbjT5_S1E_jjP12ihipStream_tbEUljE_ZNSN_ISO_Lb0ESQ_SR_ST_SU_SY_EESZ_S10_S11_S12_S16_S17_S18_S1B_S1C_jS1D_jS1E_S1E_jjS1G_bEUljE0_EEESZ_S10_S11_S18_S1C_S1E_T6_T7_T9_mT8_S1G_bDpT10_ENKUlT_T0_E_clISt17integral_constantIbLb0EES1U_EEDaS1P_S1Q_EUlS1P_E_NS1_11comp_targetILNS1_3genE2ELNS1_11target_archE906ELNS1_3gpuE6ELNS1_3repE0EEENS1_30default_config_static_selectorELNS0_4arch9wavefront6targetE0EEEvS12_.private_seg_size, 0
	.set _ZN7rocprim17ROCPRIM_400000_NS6detail17trampoline_kernelINS0_13select_configILj256ELj13ELNS0_17block_load_methodE3ELS4_3ELS4_3ELNS0_20block_scan_algorithmE0ELj4294967295EEENS1_25partition_config_selectorILNS1_17partition_subalgoE4EjNS0_10empty_typeEbEEZZNS1_14partition_implILS8_4ELb0ES6_15HIP_vector_typeIjLj2EENS0_17counting_iteratorIjlEEPS9_SG_NS0_5tupleIJPjSI_NS0_16reverse_iteratorISI_EEEEENSH_IJSG_SG_SG_EEES9_SI_JZNS1_25segmented_radix_sort_implINS0_14default_configELb0EPKaPaPKlPlN2at6native12_GLOBAL__N_18offset_tEEE10hipError_tPvRmT1_PNSt15iterator_traitsIS12_E10value_typeET2_T3_PNS13_IS18_E10value_typeET4_jRbjT5_S1E_jjP12ihipStream_tbEUljE_ZNSN_ISO_Lb0ESQ_SR_ST_SU_SY_EESZ_S10_S11_S12_S16_S17_S18_S1B_S1C_jS1D_jS1E_S1E_jjS1G_bEUljE0_EEESZ_S10_S11_S18_S1C_S1E_T6_T7_T9_mT8_S1G_bDpT10_ENKUlT_T0_E_clISt17integral_constantIbLb0EES1U_EEDaS1P_S1Q_EUlS1P_E_NS1_11comp_targetILNS1_3genE2ELNS1_11target_archE906ELNS1_3gpuE6ELNS1_3repE0EEENS1_30default_config_static_selectorELNS0_4arch9wavefront6targetE0EEEvS12_.uses_vcc, 0
	.set _ZN7rocprim17ROCPRIM_400000_NS6detail17trampoline_kernelINS0_13select_configILj256ELj13ELNS0_17block_load_methodE3ELS4_3ELS4_3ELNS0_20block_scan_algorithmE0ELj4294967295EEENS1_25partition_config_selectorILNS1_17partition_subalgoE4EjNS0_10empty_typeEbEEZZNS1_14partition_implILS8_4ELb0ES6_15HIP_vector_typeIjLj2EENS0_17counting_iteratorIjlEEPS9_SG_NS0_5tupleIJPjSI_NS0_16reverse_iteratorISI_EEEEENSH_IJSG_SG_SG_EEES9_SI_JZNS1_25segmented_radix_sort_implINS0_14default_configELb0EPKaPaPKlPlN2at6native12_GLOBAL__N_18offset_tEEE10hipError_tPvRmT1_PNSt15iterator_traitsIS12_E10value_typeET2_T3_PNS13_IS18_E10value_typeET4_jRbjT5_S1E_jjP12ihipStream_tbEUljE_ZNSN_ISO_Lb0ESQ_SR_ST_SU_SY_EESZ_S10_S11_S12_S16_S17_S18_S1B_S1C_jS1D_jS1E_S1E_jjS1G_bEUljE0_EEESZ_S10_S11_S18_S1C_S1E_T6_T7_T9_mT8_S1G_bDpT10_ENKUlT_T0_E_clISt17integral_constantIbLb0EES1U_EEDaS1P_S1Q_EUlS1P_E_NS1_11comp_targetILNS1_3genE2ELNS1_11target_archE906ELNS1_3gpuE6ELNS1_3repE0EEENS1_30default_config_static_selectorELNS0_4arch9wavefront6targetE0EEEvS12_.uses_flat_scratch, 0
	.set _ZN7rocprim17ROCPRIM_400000_NS6detail17trampoline_kernelINS0_13select_configILj256ELj13ELNS0_17block_load_methodE3ELS4_3ELS4_3ELNS0_20block_scan_algorithmE0ELj4294967295EEENS1_25partition_config_selectorILNS1_17partition_subalgoE4EjNS0_10empty_typeEbEEZZNS1_14partition_implILS8_4ELb0ES6_15HIP_vector_typeIjLj2EENS0_17counting_iteratorIjlEEPS9_SG_NS0_5tupleIJPjSI_NS0_16reverse_iteratorISI_EEEEENSH_IJSG_SG_SG_EEES9_SI_JZNS1_25segmented_radix_sort_implINS0_14default_configELb0EPKaPaPKlPlN2at6native12_GLOBAL__N_18offset_tEEE10hipError_tPvRmT1_PNSt15iterator_traitsIS12_E10value_typeET2_T3_PNS13_IS18_E10value_typeET4_jRbjT5_S1E_jjP12ihipStream_tbEUljE_ZNSN_ISO_Lb0ESQ_SR_ST_SU_SY_EESZ_S10_S11_S12_S16_S17_S18_S1B_S1C_jS1D_jS1E_S1E_jjS1G_bEUljE0_EEESZ_S10_S11_S18_S1C_S1E_T6_T7_T9_mT8_S1G_bDpT10_ENKUlT_T0_E_clISt17integral_constantIbLb0EES1U_EEDaS1P_S1Q_EUlS1P_E_NS1_11comp_targetILNS1_3genE2ELNS1_11target_archE906ELNS1_3gpuE6ELNS1_3repE0EEENS1_30default_config_static_selectorELNS0_4arch9wavefront6targetE0EEEvS12_.has_dyn_sized_stack, 0
	.set _ZN7rocprim17ROCPRIM_400000_NS6detail17trampoline_kernelINS0_13select_configILj256ELj13ELNS0_17block_load_methodE3ELS4_3ELS4_3ELNS0_20block_scan_algorithmE0ELj4294967295EEENS1_25partition_config_selectorILNS1_17partition_subalgoE4EjNS0_10empty_typeEbEEZZNS1_14partition_implILS8_4ELb0ES6_15HIP_vector_typeIjLj2EENS0_17counting_iteratorIjlEEPS9_SG_NS0_5tupleIJPjSI_NS0_16reverse_iteratorISI_EEEEENSH_IJSG_SG_SG_EEES9_SI_JZNS1_25segmented_radix_sort_implINS0_14default_configELb0EPKaPaPKlPlN2at6native12_GLOBAL__N_18offset_tEEE10hipError_tPvRmT1_PNSt15iterator_traitsIS12_E10value_typeET2_T3_PNS13_IS18_E10value_typeET4_jRbjT5_S1E_jjP12ihipStream_tbEUljE_ZNSN_ISO_Lb0ESQ_SR_ST_SU_SY_EESZ_S10_S11_S12_S16_S17_S18_S1B_S1C_jS1D_jS1E_S1E_jjS1G_bEUljE0_EEESZ_S10_S11_S18_S1C_S1E_T6_T7_T9_mT8_S1G_bDpT10_ENKUlT_T0_E_clISt17integral_constantIbLb0EES1U_EEDaS1P_S1Q_EUlS1P_E_NS1_11comp_targetILNS1_3genE2ELNS1_11target_archE906ELNS1_3gpuE6ELNS1_3repE0EEENS1_30default_config_static_selectorELNS0_4arch9wavefront6targetE0EEEvS12_.has_recursion, 0
	.set _ZN7rocprim17ROCPRIM_400000_NS6detail17trampoline_kernelINS0_13select_configILj256ELj13ELNS0_17block_load_methodE3ELS4_3ELS4_3ELNS0_20block_scan_algorithmE0ELj4294967295EEENS1_25partition_config_selectorILNS1_17partition_subalgoE4EjNS0_10empty_typeEbEEZZNS1_14partition_implILS8_4ELb0ES6_15HIP_vector_typeIjLj2EENS0_17counting_iteratorIjlEEPS9_SG_NS0_5tupleIJPjSI_NS0_16reverse_iteratorISI_EEEEENSH_IJSG_SG_SG_EEES9_SI_JZNS1_25segmented_radix_sort_implINS0_14default_configELb0EPKaPaPKlPlN2at6native12_GLOBAL__N_18offset_tEEE10hipError_tPvRmT1_PNSt15iterator_traitsIS12_E10value_typeET2_T3_PNS13_IS18_E10value_typeET4_jRbjT5_S1E_jjP12ihipStream_tbEUljE_ZNSN_ISO_Lb0ESQ_SR_ST_SU_SY_EESZ_S10_S11_S12_S16_S17_S18_S1B_S1C_jS1D_jS1E_S1E_jjS1G_bEUljE0_EEESZ_S10_S11_S18_S1C_S1E_T6_T7_T9_mT8_S1G_bDpT10_ENKUlT_T0_E_clISt17integral_constantIbLb0EES1U_EEDaS1P_S1Q_EUlS1P_E_NS1_11comp_targetILNS1_3genE2ELNS1_11target_archE906ELNS1_3gpuE6ELNS1_3repE0EEENS1_30default_config_static_selectorELNS0_4arch9wavefront6targetE0EEEvS12_.has_indirect_call, 0
	.section	.AMDGPU.csdata,"",@progbits
; Kernel info:
; codeLenInByte = 0
; TotalNumSgprs: 0
; NumVgprs: 0
; ScratchSize: 0
; MemoryBound: 0
; FloatMode: 240
; IeeeMode: 1
; LDSByteSize: 0 bytes/workgroup (compile time only)
; SGPRBlocks: 0
; VGPRBlocks: 0
; NumSGPRsForWavesPerEU: 1
; NumVGPRsForWavesPerEU: 1
; NamedBarCnt: 0
; Occupancy: 16
; WaveLimiterHint : 0
; COMPUTE_PGM_RSRC2:SCRATCH_EN: 0
; COMPUTE_PGM_RSRC2:USER_SGPR: 2
; COMPUTE_PGM_RSRC2:TRAP_HANDLER: 0
; COMPUTE_PGM_RSRC2:TGID_X_EN: 1
; COMPUTE_PGM_RSRC2:TGID_Y_EN: 0
; COMPUTE_PGM_RSRC2:TGID_Z_EN: 0
; COMPUTE_PGM_RSRC2:TIDIG_COMP_CNT: 0
	.section	.text._ZN7rocprim17ROCPRIM_400000_NS6detail17trampoline_kernelINS0_13select_configILj256ELj13ELNS0_17block_load_methodE3ELS4_3ELS4_3ELNS0_20block_scan_algorithmE0ELj4294967295EEENS1_25partition_config_selectorILNS1_17partition_subalgoE4EjNS0_10empty_typeEbEEZZNS1_14partition_implILS8_4ELb0ES6_15HIP_vector_typeIjLj2EENS0_17counting_iteratorIjlEEPS9_SG_NS0_5tupleIJPjSI_NS0_16reverse_iteratorISI_EEEEENSH_IJSG_SG_SG_EEES9_SI_JZNS1_25segmented_radix_sort_implINS0_14default_configELb0EPKaPaPKlPlN2at6native12_GLOBAL__N_18offset_tEEE10hipError_tPvRmT1_PNSt15iterator_traitsIS12_E10value_typeET2_T3_PNS13_IS18_E10value_typeET4_jRbjT5_S1E_jjP12ihipStream_tbEUljE_ZNSN_ISO_Lb0ESQ_SR_ST_SU_SY_EESZ_S10_S11_S12_S16_S17_S18_S1B_S1C_jS1D_jS1E_S1E_jjS1G_bEUljE0_EEESZ_S10_S11_S18_S1C_S1E_T6_T7_T9_mT8_S1G_bDpT10_ENKUlT_T0_E_clISt17integral_constantIbLb0EES1U_EEDaS1P_S1Q_EUlS1P_E_NS1_11comp_targetILNS1_3genE10ELNS1_11target_archE1200ELNS1_3gpuE4ELNS1_3repE0EEENS1_30default_config_static_selectorELNS0_4arch9wavefront6targetE0EEEvS12_,"axG",@progbits,_ZN7rocprim17ROCPRIM_400000_NS6detail17trampoline_kernelINS0_13select_configILj256ELj13ELNS0_17block_load_methodE3ELS4_3ELS4_3ELNS0_20block_scan_algorithmE0ELj4294967295EEENS1_25partition_config_selectorILNS1_17partition_subalgoE4EjNS0_10empty_typeEbEEZZNS1_14partition_implILS8_4ELb0ES6_15HIP_vector_typeIjLj2EENS0_17counting_iteratorIjlEEPS9_SG_NS0_5tupleIJPjSI_NS0_16reverse_iteratorISI_EEEEENSH_IJSG_SG_SG_EEES9_SI_JZNS1_25segmented_radix_sort_implINS0_14default_configELb0EPKaPaPKlPlN2at6native12_GLOBAL__N_18offset_tEEE10hipError_tPvRmT1_PNSt15iterator_traitsIS12_E10value_typeET2_T3_PNS13_IS18_E10value_typeET4_jRbjT5_S1E_jjP12ihipStream_tbEUljE_ZNSN_ISO_Lb0ESQ_SR_ST_SU_SY_EESZ_S10_S11_S12_S16_S17_S18_S1B_S1C_jS1D_jS1E_S1E_jjS1G_bEUljE0_EEESZ_S10_S11_S18_S1C_S1E_T6_T7_T9_mT8_S1G_bDpT10_ENKUlT_T0_E_clISt17integral_constantIbLb0EES1U_EEDaS1P_S1Q_EUlS1P_E_NS1_11comp_targetILNS1_3genE10ELNS1_11target_archE1200ELNS1_3gpuE4ELNS1_3repE0EEENS1_30default_config_static_selectorELNS0_4arch9wavefront6targetE0EEEvS12_,comdat
	.globl	_ZN7rocprim17ROCPRIM_400000_NS6detail17trampoline_kernelINS0_13select_configILj256ELj13ELNS0_17block_load_methodE3ELS4_3ELS4_3ELNS0_20block_scan_algorithmE0ELj4294967295EEENS1_25partition_config_selectorILNS1_17partition_subalgoE4EjNS0_10empty_typeEbEEZZNS1_14partition_implILS8_4ELb0ES6_15HIP_vector_typeIjLj2EENS0_17counting_iteratorIjlEEPS9_SG_NS0_5tupleIJPjSI_NS0_16reverse_iteratorISI_EEEEENSH_IJSG_SG_SG_EEES9_SI_JZNS1_25segmented_radix_sort_implINS0_14default_configELb0EPKaPaPKlPlN2at6native12_GLOBAL__N_18offset_tEEE10hipError_tPvRmT1_PNSt15iterator_traitsIS12_E10value_typeET2_T3_PNS13_IS18_E10value_typeET4_jRbjT5_S1E_jjP12ihipStream_tbEUljE_ZNSN_ISO_Lb0ESQ_SR_ST_SU_SY_EESZ_S10_S11_S12_S16_S17_S18_S1B_S1C_jS1D_jS1E_S1E_jjS1G_bEUljE0_EEESZ_S10_S11_S18_S1C_S1E_T6_T7_T9_mT8_S1G_bDpT10_ENKUlT_T0_E_clISt17integral_constantIbLb0EES1U_EEDaS1P_S1Q_EUlS1P_E_NS1_11comp_targetILNS1_3genE10ELNS1_11target_archE1200ELNS1_3gpuE4ELNS1_3repE0EEENS1_30default_config_static_selectorELNS0_4arch9wavefront6targetE0EEEvS12_ ; -- Begin function _ZN7rocprim17ROCPRIM_400000_NS6detail17trampoline_kernelINS0_13select_configILj256ELj13ELNS0_17block_load_methodE3ELS4_3ELS4_3ELNS0_20block_scan_algorithmE0ELj4294967295EEENS1_25partition_config_selectorILNS1_17partition_subalgoE4EjNS0_10empty_typeEbEEZZNS1_14partition_implILS8_4ELb0ES6_15HIP_vector_typeIjLj2EENS0_17counting_iteratorIjlEEPS9_SG_NS0_5tupleIJPjSI_NS0_16reverse_iteratorISI_EEEEENSH_IJSG_SG_SG_EEES9_SI_JZNS1_25segmented_radix_sort_implINS0_14default_configELb0EPKaPaPKlPlN2at6native12_GLOBAL__N_18offset_tEEE10hipError_tPvRmT1_PNSt15iterator_traitsIS12_E10value_typeET2_T3_PNS13_IS18_E10value_typeET4_jRbjT5_S1E_jjP12ihipStream_tbEUljE_ZNSN_ISO_Lb0ESQ_SR_ST_SU_SY_EESZ_S10_S11_S12_S16_S17_S18_S1B_S1C_jS1D_jS1E_S1E_jjS1G_bEUljE0_EEESZ_S10_S11_S18_S1C_S1E_T6_T7_T9_mT8_S1G_bDpT10_ENKUlT_T0_E_clISt17integral_constantIbLb0EES1U_EEDaS1P_S1Q_EUlS1P_E_NS1_11comp_targetILNS1_3genE10ELNS1_11target_archE1200ELNS1_3gpuE4ELNS1_3repE0EEENS1_30default_config_static_selectorELNS0_4arch9wavefront6targetE0EEEvS12_
	.p2align	8
	.type	_ZN7rocprim17ROCPRIM_400000_NS6detail17trampoline_kernelINS0_13select_configILj256ELj13ELNS0_17block_load_methodE3ELS4_3ELS4_3ELNS0_20block_scan_algorithmE0ELj4294967295EEENS1_25partition_config_selectorILNS1_17partition_subalgoE4EjNS0_10empty_typeEbEEZZNS1_14partition_implILS8_4ELb0ES6_15HIP_vector_typeIjLj2EENS0_17counting_iteratorIjlEEPS9_SG_NS0_5tupleIJPjSI_NS0_16reverse_iteratorISI_EEEEENSH_IJSG_SG_SG_EEES9_SI_JZNS1_25segmented_radix_sort_implINS0_14default_configELb0EPKaPaPKlPlN2at6native12_GLOBAL__N_18offset_tEEE10hipError_tPvRmT1_PNSt15iterator_traitsIS12_E10value_typeET2_T3_PNS13_IS18_E10value_typeET4_jRbjT5_S1E_jjP12ihipStream_tbEUljE_ZNSN_ISO_Lb0ESQ_SR_ST_SU_SY_EESZ_S10_S11_S12_S16_S17_S18_S1B_S1C_jS1D_jS1E_S1E_jjS1G_bEUljE0_EEESZ_S10_S11_S18_S1C_S1E_T6_T7_T9_mT8_S1G_bDpT10_ENKUlT_T0_E_clISt17integral_constantIbLb0EES1U_EEDaS1P_S1Q_EUlS1P_E_NS1_11comp_targetILNS1_3genE10ELNS1_11target_archE1200ELNS1_3gpuE4ELNS1_3repE0EEENS1_30default_config_static_selectorELNS0_4arch9wavefront6targetE0EEEvS12_,@function
_ZN7rocprim17ROCPRIM_400000_NS6detail17trampoline_kernelINS0_13select_configILj256ELj13ELNS0_17block_load_methodE3ELS4_3ELS4_3ELNS0_20block_scan_algorithmE0ELj4294967295EEENS1_25partition_config_selectorILNS1_17partition_subalgoE4EjNS0_10empty_typeEbEEZZNS1_14partition_implILS8_4ELb0ES6_15HIP_vector_typeIjLj2EENS0_17counting_iteratorIjlEEPS9_SG_NS0_5tupleIJPjSI_NS0_16reverse_iteratorISI_EEEEENSH_IJSG_SG_SG_EEES9_SI_JZNS1_25segmented_radix_sort_implINS0_14default_configELb0EPKaPaPKlPlN2at6native12_GLOBAL__N_18offset_tEEE10hipError_tPvRmT1_PNSt15iterator_traitsIS12_E10value_typeET2_T3_PNS13_IS18_E10value_typeET4_jRbjT5_S1E_jjP12ihipStream_tbEUljE_ZNSN_ISO_Lb0ESQ_SR_ST_SU_SY_EESZ_S10_S11_S12_S16_S17_S18_S1B_S1C_jS1D_jS1E_S1E_jjS1G_bEUljE0_EEESZ_S10_S11_S18_S1C_S1E_T6_T7_T9_mT8_S1G_bDpT10_ENKUlT_T0_E_clISt17integral_constantIbLb0EES1U_EEDaS1P_S1Q_EUlS1P_E_NS1_11comp_targetILNS1_3genE10ELNS1_11target_archE1200ELNS1_3gpuE4ELNS1_3repE0EEENS1_30default_config_static_selectorELNS0_4arch9wavefront6targetE0EEEvS12_: ; @_ZN7rocprim17ROCPRIM_400000_NS6detail17trampoline_kernelINS0_13select_configILj256ELj13ELNS0_17block_load_methodE3ELS4_3ELS4_3ELNS0_20block_scan_algorithmE0ELj4294967295EEENS1_25partition_config_selectorILNS1_17partition_subalgoE4EjNS0_10empty_typeEbEEZZNS1_14partition_implILS8_4ELb0ES6_15HIP_vector_typeIjLj2EENS0_17counting_iteratorIjlEEPS9_SG_NS0_5tupleIJPjSI_NS0_16reverse_iteratorISI_EEEEENSH_IJSG_SG_SG_EEES9_SI_JZNS1_25segmented_radix_sort_implINS0_14default_configELb0EPKaPaPKlPlN2at6native12_GLOBAL__N_18offset_tEEE10hipError_tPvRmT1_PNSt15iterator_traitsIS12_E10value_typeET2_T3_PNS13_IS18_E10value_typeET4_jRbjT5_S1E_jjP12ihipStream_tbEUljE_ZNSN_ISO_Lb0ESQ_SR_ST_SU_SY_EESZ_S10_S11_S12_S16_S17_S18_S1B_S1C_jS1D_jS1E_S1E_jjS1G_bEUljE0_EEESZ_S10_S11_S18_S1C_S1E_T6_T7_T9_mT8_S1G_bDpT10_ENKUlT_T0_E_clISt17integral_constantIbLb0EES1U_EEDaS1P_S1Q_EUlS1P_E_NS1_11comp_targetILNS1_3genE10ELNS1_11target_archE1200ELNS1_3gpuE4ELNS1_3repE0EEENS1_30default_config_static_selectorELNS0_4arch9wavefront6targetE0EEEvS12_
; %bb.0:
	.section	.rodata,"a",@progbits
	.p2align	6, 0x0
	.amdhsa_kernel _ZN7rocprim17ROCPRIM_400000_NS6detail17trampoline_kernelINS0_13select_configILj256ELj13ELNS0_17block_load_methodE3ELS4_3ELS4_3ELNS0_20block_scan_algorithmE0ELj4294967295EEENS1_25partition_config_selectorILNS1_17partition_subalgoE4EjNS0_10empty_typeEbEEZZNS1_14partition_implILS8_4ELb0ES6_15HIP_vector_typeIjLj2EENS0_17counting_iteratorIjlEEPS9_SG_NS0_5tupleIJPjSI_NS0_16reverse_iteratorISI_EEEEENSH_IJSG_SG_SG_EEES9_SI_JZNS1_25segmented_radix_sort_implINS0_14default_configELb0EPKaPaPKlPlN2at6native12_GLOBAL__N_18offset_tEEE10hipError_tPvRmT1_PNSt15iterator_traitsIS12_E10value_typeET2_T3_PNS13_IS18_E10value_typeET4_jRbjT5_S1E_jjP12ihipStream_tbEUljE_ZNSN_ISO_Lb0ESQ_SR_ST_SU_SY_EESZ_S10_S11_S12_S16_S17_S18_S1B_S1C_jS1D_jS1E_S1E_jjS1G_bEUljE0_EEESZ_S10_S11_S18_S1C_S1E_T6_T7_T9_mT8_S1G_bDpT10_ENKUlT_T0_E_clISt17integral_constantIbLb0EES1U_EEDaS1P_S1Q_EUlS1P_E_NS1_11comp_targetILNS1_3genE10ELNS1_11target_archE1200ELNS1_3gpuE4ELNS1_3repE0EEENS1_30default_config_static_selectorELNS0_4arch9wavefront6targetE0EEEvS12_
		.amdhsa_group_segment_fixed_size 0
		.amdhsa_private_segment_fixed_size 0
		.amdhsa_kernarg_size 176
		.amdhsa_user_sgpr_count 2
		.amdhsa_user_sgpr_dispatch_ptr 0
		.amdhsa_user_sgpr_queue_ptr 0
		.amdhsa_user_sgpr_kernarg_segment_ptr 1
		.amdhsa_user_sgpr_dispatch_id 0
		.amdhsa_user_sgpr_kernarg_preload_length 0
		.amdhsa_user_sgpr_kernarg_preload_offset 0
		.amdhsa_user_sgpr_private_segment_size 0
		.amdhsa_wavefront_size32 1
		.amdhsa_uses_dynamic_stack 0
		.amdhsa_enable_private_segment 0
		.amdhsa_system_sgpr_workgroup_id_x 1
		.amdhsa_system_sgpr_workgroup_id_y 0
		.amdhsa_system_sgpr_workgroup_id_z 0
		.amdhsa_system_sgpr_workgroup_info 0
		.amdhsa_system_vgpr_workitem_id 0
		.amdhsa_next_free_vgpr 1
		.amdhsa_next_free_sgpr 1
		.amdhsa_named_barrier_count 0
		.amdhsa_reserve_vcc 0
		.amdhsa_float_round_mode_32 0
		.amdhsa_float_round_mode_16_64 0
		.amdhsa_float_denorm_mode_32 3
		.amdhsa_float_denorm_mode_16_64 3
		.amdhsa_fp16_overflow 0
		.amdhsa_memory_ordered 1
		.amdhsa_forward_progress 1
		.amdhsa_inst_pref_size 0
		.amdhsa_round_robin_scheduling 0
		.amdhsa_exception_fp_ieee_invalid_op 0
		.amdhsa_exception_fp_denorm_src 0
		.amdhsa_exception_fp_ieee_div_zero 0
		.amdhsa_exception_fp_ieee_overflow 0
		.amdhsa_exception_fp_ieee_underflow 0
		.amdhsa_exception_fp_ieee_inexact 0
		.amdhsa_exception_int_div_zero 0
	.end_amdhsa_kernel
	.section	.text._ZN7rocprim17ROCPRIM_400000_NS6detail17trampoline_kernelINS0_13select_configILj256ELj13ELNS0_17block_load_methodE3ELS4_3ELS4_3ELNS0_20block_scan_algorithmE0ELj4294967295EEENS1_25partition_config_selectorILNS1_17partition_subalgoE4EjNS0_10empty_typeEbEEZZNS1_14partition_implILS8_4ELb0ES6_15HIP_vector_typeIjLj2EENS0_17counting_iteratorIjlEEPS9_SG_NS0_5tupleIJPjSI_NS0_16reverse_iteratorISI_EEEEENSH_IJSG_SG_SG_EEES9_SI_JZNS1_25segmented_radix_sort_implINS0_14default_configELb0EPKaPaPKlPlN2at6native12_GLOBAL__N_18offset_tEEE10hipError_tPvRmT1_PNSt15iterator_traitsIS12_E10value_typeET2_T3_PNS13_IS18_E10value_typeET4_jRbjT5_S1E_jjP12ihipStream_tbEUljE_ZNSN_ISO_Lb0ESQ_SR_ST_SU_SY_EESZ_S10_S11_S12_S16_S17_S18_S1B_S1C_jS1D_jS1E_S1E_jjS1G_bEUljE0_EEESZ_S10_S11_S18_S1C_S1E_T6_T7_T9_mT8_S1G_bDpT10_ENKUlT_T0_E_clISt17integral_constantIbLb0EES1U_EEDaS1P_S1Q_EUlS1P_E_NS1_11comp_targetILNS1_3genE10ELNS1_11target_archE1200ELNS1_3gpuE4ELNS1_3repE0EEENS1_30default_config_static_selectorELNS0_4arch9wavefront6targetE0EEEvS12_,"axG",@progbits,_ZN7rocprim17ROCPRIM_400000_NS6detail17trampoline_kernelINS0_13select_configILj256ELj13ELNS0_17block_load_methodE3ELS4_3ELS4_3ELNS0_20block_scan_algorithmE0ELj4294967295EEENS1_25partition_config_selectorILNS1_17partition_subalgoE4EjNS0_10empty_typeEbEEZZNS1_14partition_implILS8_4ELb0ES6_15HIP_vector_typeIjLj2EENS0_17counting_iteratorIjlEEPS9_SG_NS0_5tupleIJPjSI_NS0_16reverse_iteratorISI_EEEEENSH_IJSG_SG_SG_EEES9_SI_JZNS1_25segmented_radix_sort_implINS0_14default_configELb0EPKaPaPKlPlN2at6native12_GLOBAL__N_18offset_tEEE10hipError_tPvRmT1_PNSt15iterator_traitsIS12_E10value_typeET2_T3_PNS13_IS18_E10value_typeET4_jRbjT5_S1E_jjP12ihipStream_tbEUljE_ZNSN_ISO_Lb0ESQ_SR_ST_SU_SY_EESZ_S10_S11_S12_S16_S17_S18_S1B_S1C_jS1D_jS1E_S1E_jjS1G_bEUljE0_EEESZ_S10_S11_S18_S1C_S1E_T6_T7_T9_mT8_S1G_bDpT10_ENKUlT_T0_E_clISt17integral_constantIbLb0EES1U_EEDaS1P_S1Q_EUlS1P_E_NS1_11comp_targetILNS1_3genE10ELNS1_11target_archE1200ELNS1_3gpuE4ELNS1_3repE0EEENS1_30default_config_static_selectorELNS0_4arch9wavefront6targetE0EEEvS12_,comdat
.Lfunc_end331:
	.size	_ZN7rocprim17ROCPRIM_400000_NS6detail17trampoline_kernelINS0_13select_configILj256ELj13ELNS0_17block_load_methodE3ELS4_3ELS4_3ELNS0_20block_scan_algorithmE0ELj4294967295EEENS1_25partition_config_selectorILNS1_17partition_subalgoE4EjNS0_10empty_typeEbEEZZNS1_14partition_implILS8_4ELb0ES6_15HIP_vector_typeIjLj2EENS0_17counting_iteratorIjlEEPS9_SG_NS0_5tupleIJPjSI_NS0_16reverse_iteratorISI_EEEEENSH_IJSG_SG_SG_EEES9_SI_JZNS1_25segmented_radix_sort_implINS0_14default_configELb0EPKaPaPKlPlN2at6native12_GLOBAL__N_18offset_tEEE10hipError_tPvRmT1_PNSt15iterator_traitsIS12_E10value_typeET2_T3_PNS13_IS18_E10value_typeET4_jRbjT5_S1E_jjP12ihipStream_tbEUljE_ZNSN_ISO_Lb0ESQ_SR_ST_SU_SY_EESZ_S10_S11_S12_S16_S17_S18_S1B_S1C_jS1D_jS1E_S1E_jjS1G_bEUljE0_EEESZ_S10_S11_S18_S1C_S1E_T6_T7_T9_mT8_S1G_bDpT10_ENKUlT_T0_E_clISt17integral_constantIbLb0EES1U_EEDaS1P_S1Q_EUlS1P_E_NS1_11comp_targetILNS1_3genE10ELNS1_11target_archE1200ELNS1_3gpuE4ELNS1_3repE0EEENS1_30default_config_static_selectorELNS0_4arch9wavefront6targetE0EEEvS12_, .Lfunc_end331-_ZN7rocprim17ROCPRIM_400000_NS6detail17trampoline_kernelINS0_13select_configILj256ELj13ELNS0_17block_load_methodE3ELS4_3ELS4_3ELNS0_20block_scan_algorithmE0ELj4294967295EEENS1_25partition_config_selectorILNS1_17partition_subalgoE4EjNS0_10empty_typeEbEEZZNS1_14partition_implILS8_4ELb0ES6_15HIP_vector_typeIjLj2EENS0_17counting_iteratorIjlEEPS9_SG_NS0_5tupleIJPjSI_NS0_16reverse_iteratorISI_EEEEENSH_IJSG_SG_SG_EEES9_SI_JZNS1_25segmented_radix_sort_implINS0_14default_configELb0EPKaPaPKlPlN2at6native12_GLOBAL__N_18offset_tEEE10hipError_tPvRmT1_PNSt15iterator_traitsIS12_E10value_typeET2_T3_PNS13_IS18_E10value_typeET4_jRbjT5_S1E_jjP12ihipStream_tbEUljE_ZNSN_ISO_Lb0ESQ_SR_ST_SU_SY_EESZ_S10_S11_S12_S16_S17_S18_S1B_S1C_jS1D_jS1E_S1E_jjS1G_bEUljE0_EEESZ_S10_S11_S18_S1C_S1E_T6_T7_T9_mT8_S1G_bDpT10_ENKUlT_T0_E_clISt17integral_constantIbLb0EES1U_EEDaS1P_S1Q_EUlS1P_E_NS1_11comp_targetILNS1_3genE10ELNS1_11target_archE1200ELNS1_3gpuE4ELNS1_3repE0EEENS1_30default_config_static_selectorELNS0_4arch9wavefront6targetE0EEEvS12_
                                        ; -- End function
	.set _ZN7rocprim17ROCPRIM_400000_NS6detail17trampoline_kernelINS0_13select_configILj256ELj13ELNS0_17block_load_methodE3ELS4_3ELS4_3ELNS0_20block_scan_algorithmE0ELj4294967295EEENS1_25partition_config_selectorILNS1_17partition_subalgoE4EjNS0_10empty_typeEbEEZZNS1_14partition_implILS8_4ELb0ES6_15HIP_vector_typeIjLj2EENS0_17counting_iteratorIjlEEPS9_SG_NS0_5tupleIJPjSI_NS0_16reverse_iteratorISI_EEEEENSH_IJSG_SG_SG_EEES9_SI_JZNS1_25segmented_radix_sort_implINS0_14default_configELb0EPKaPaPKlPlN2at6native12_GLOBAL__N_18offset_tEEE10hipError_tPvRmT1_PNSt15iterator_traitsIS12_E10value_typeET2_T3_PNS13_IS18_E10value_typeET4_jRbjT5_S1E_jjP12ihipStream_tbEUljE_ZNSN_ISO_Lb0ESQ_SR_ST_SU_SY_EESZ_S10_S11_S12_S16_S17_S18_S1B_S1C_jS1D_jS1E_S1E_jjS1G_bEUljE0_EEESZ_S10_S11_S18_S1C_S1E_T6_T7_T9_mT8_S1G_bDpT10_ENKUlT_T0_E_clISt17integral_constantIbLb0EES1U_EEDaS1P_S1Q_EUlS1P_E_NS1_11comp_targetILNS1_3genE10ELNS1_11target_archE1200ELNS1_3gpuE4ELNS1_3repE0EEENS1_30default_config_static_selectorELNS0_4arch9wavefront6targetE0EEEvS12_.num_vgpr, 0
	.set _ZN7rocprim17ROCPRIM_400000_NS6detail17trampoline_kernelINS0_13select_configILj256ELj13ELNS0_17block_load_methodE3ELS4_3ELS4_3ELNS0_20block_scan_algorithmE0ELj4294967295EEENS1_25partition_config_selectorILNS1_17partition_subalgoE4EjNS0_10empty_typeEbEEZZNS1_14partition_implILS8_4ELb0ES6_15HIP_vector_typeIjLj2EENS0_17counting_iteratorIjlEEPS9_SG_NS0_5tupleIJPjSI_NS0_16reverse_iteratorISI_EEEEENSH_IJSG_SG_SG_EEES9_SI_JZNS1_25segmented_radix_sort_implINS0_14default_configELb0EPKaPaPKlPlN2at6native12_GLOBAL__N_18offset_tEEE10hipError_tPvRmT1_PNSt15iterator_traitsIS12_E10value_typeET2_T3_PNS13_IS18_E10value_typeET4_jRbjT5_S1E_jjP12ihipStream_tbEUljE_ZNSN_ISO_Lb0ESQ_SR_ST_SU_SY_EESZ_S10_S11_S12_S16_S17_S18_S1B_S1C_jS1D_jS1E_S1E_jjS1G_bEUljE0_EEESZ_S10_S11_S18_S1C_S1E_T6_T7_T9_mT8_S1G_bDpT10_ENKUlT_T0_E_clISt17integral_constantIbLb0EES1U_EEDaS1P_S1Q_EUlS1P_E_NS1_11comp_targetILNS1_3genE10ELNS1_11target_archE1200ELNS1_3gpuE4ELNS1_3repE0EEENS1_30default_config_static_selectorELNS0_4arch9wavefront6targetE0EEEvS12_.num_agpr, 0
	.set _ZN7rocprim17ROCPRIM_400000_NS6detail17trampoline_kernelINS0_13select_configILj256ELj13ELNS0_17block_load_methodE3ELS4_3ELS4_3ELNS0_20block_scan_algorithmE0ELj4294967295EEENS1_25partition_config_selectorILNS1_17partition_subalgoE4EjNS0_10empty_typeEbEEZZNS1_14partition_implILS8_4ELb0ES6_15HIP_vector_typeIjLj2EENS0_17counting_iteratorIjlEEPS9_SG_NS0_5tupleIJPjSI_NS0_16reverse_iteratorISI_EEEEENSH_IJSG_SG_SG_EEES9_SI_JZNS1_25segmented_radix_sort_implINS0_14default_configELb0EPKaPaPKlPlN2at6native12_GLOBAL__N_18offset_tEEE10hipError_tPvRmT1_PNSt15iterator_traitsIS12_E10value_typeET2_T3_PNS13_IS18_E10value_typeET4_jRbjT5_S1E_jjP12ihipStream_tbEUljE_ZNSN_ISO_Lb0ESQ_SR_ST_SU_SY_EESZ_S10_S11_S12_S16_S17_S18_S1B_S1C_jS1D_jS1E_S1E_jjS1G_bEUljE0_EEESZ_S10_S11_S18_S1C_S1E_T6_T7_T9_mT8_S1G_bDpT10_ENKUlT_T0_E_clISt17integral_constantIbLb0EES1U_EEDaS1P_S1Q_EUlS1P_E_NS1_11comp_targetILNS1_3genE10ELNS1_11target_archE1200ELNS1_3gpuE4ELNS1_3repE0EEENS1_30default_config_static_selectorELNS0_4arch9wavefront6targetE0EEEvS12_.numbered_sgpr, 0
	.set _ZN7rocprim17ROCPRIM_400000_NS6detail17trampoline_kernelINS0_13select_configILj256ELj13ELNS0_17block_load_methodE3ELS4_3ELS4_3ELNS0_20block_scan_algorithmE0ELj4294967295EEENS1_25partition_config_selectorILNS1_17partition_subalgoE4EjNS0_10empty_typeEbEEZZNS1_14partition_implILS8_4ELb0ES6_15HIP_vector_typeIjLj2EENS0_17counting_iteratorIjlEEPS9_SG_NS0_5tupleIJPjSI_NS0_16reverse_iteratorISI_EEEEENSH_IJSG_SG_SG_EEES9_SI_JZNS1_25segmented_radix_sort_implINS0_14default_configELb0EPKaPaPKlPlN2at6native12_GLOBAL__N_18offset_tEEE10hipError_tPvRmT1_PNSt15iterator_traitsIS12_E10value_typeET2_T3_PNS13_IS18_E10value_typeET4_jRbjT5_S1E_jjP12ihipStream_tbEUljE_ZNSN_ISO_Lb0ESQ_SR_ST_SU_SY_EESZ_S10_S11_S12_S16_S17_S18_S1B_S1C_jS1D_jS1E_S1E_jjS1G_bEUljE0_EEESZ_S10_S11_S18_S1C_S1E_T6_T7_T9_mT8_S1G_bDpT10_ENKUlT_T0_E_clISt17integral_constantIbLb0EES1U_EEDaS1P_S1Q_EUlS1P_E_NS1_11comp_targetILNS1_3genE10ELNS1_11target_archE1200ELNS1_3gpuE4ELNS1_3repE0EEENS1_30default_config_static_selectorELNS0_4arch9wavefront6targetE0EEEvS12_.num_named_barrier, 0
	.set _ZN7rocprim17ROCPRIM_400000_NS6detail17trampoline_kernelINS0_13select_configILj256ELj13ELNS0_17block_load_methodE3ELS4_3ELS4_3ELNS0_20block_scan_algorithmE0ELj4294967295EEENS1_25partition_config_selectorILNS1_17partition_subalgoE4EjNS0_10empty_typeEbEEZZNS1_14partition_implILS8_4ELb0ES6_15HIP_vector_typeIjLj2EENS0_17counting_iteratorIjlEEPS9_SG_NS0_5tupleIJPjSI_NS0_16reverse_iteratorISI_EEEEENSH_IJSG_SG_SG_EEES9_SI_JZNS1_25segmented_radix_sort_implINS0_14default_configELb0EPKaPaPKlPlN2at6native12_GLOBAL__N_18offset_tEEE10hipError_tPvRmT1_PNSt15iterator_traitsIS12_E10value_typeET2_T3_PNS13_IS18_E10value_typeET4_jRbjT5_S1E_jjP12ihipStream_tbEUljE_ZNSN_ISO_Lb0ESQ_SR_ST_SU_SY_EESZ_S10_S11_S12_S16_S17_S18_S1B_S1C_jS1D_jS1E_S1E_jjS1G_bEUljE0_EEESZ_S10_S11_S18_S1C_S1E_T6_T7_T9_mT8_S1G_bDpT10_ENKUlT_T0_E_clISt17integral_constantIbLb0EES1U_EEDaS1P_S1Q_EUlS1P_E_NS1_11comp_targetILNS1_3genE10ELNS1_11target_archE1200ELNS1_3gpuE4ELNS1_3repE0EEENS1_30default_config_static_selectorELNS0_4arch9wavefront6targetE0EEEvS12_.private_seg_size, 0
	.set _ZN7rocprim17ROCPRIM_400000_NS6detail17trampoline_kernelINS0_13select_configILj256ELj13ELNS0_17block_load_methodE3ELS4_3ELS4_3ELNS0_20block_scan_algorithmE0ELj4294967295EEENS1_25partition_config_selectorILNS1_17partition_subalgoE4EjNS0_10empty_typeEbEEZZNS1_14partition_implILS8_4ELb0ES6_15HIP_vector_typeIjLj2EENS0_17counting_iteratorIjlEEPS9_SG_NS0_5tupleIJPjSI_NS0_16reverse_iteratorISI_EEEEENSH_IJSG_SG_SG_EEES9_SI_JZNS1_25segmented_radix_sort_implINS0_14default_configELb0EPKaPaPKlPlN2at6native12_GLOBAL__N_18offset_tEEE10hipError_tPvRmT1_PNSt15iterator_traitsIS12_E10value_typeET2_T3_PNS13_IS18_E10value_typeET4_jRbjT5_S1E_jjP12ihipStream_tbEUljE_ZNSN_ISO_Lb0ESQ_SR_ST_SU_SY_EESZ_S10_S11_S12_S16_S17_S18_S1B_S1C_jS1D_jS1E_S1E_jjS1G_bEUljE0_EEESZ_S10_S11_S18_S1C_S1E_T6_T7_T9_mT8_S1G_bDpT10_ENKUlT_T0_E_clISt17integral_constantIbLb0EES1U_EEDaS1P_S1Q_EUlS1P_E_NS1_11comp_targetILNS1_3genE10ELNS1_11target_archE1200ELNS1_3gpuE4ELNS1_3repE0EEENS1_30default_config_static_selectorELNS0_4arch9wavefront6targetE0EEEvS12_.uses_vcc, 0
	.set _ZN7rocprim17ROCPRIM_400000_NS6detail17trampoline_kernelINS0_13select_configILj256ELj13ELNS0_17block_load_methodE3ELS4_3ELS4_3ELNS0_20block_scan_algorithmE0ELj4294967295EEENS1_25partition_config_selectorILNS1_17partition_subalgoE4EjNS0_10empty_typeEbEEZZNS1_14partition_implILS8_4ELb0ES6_15HIP_vector_typeIjLj2EENS0_17counting_iteratorIjlEEPS9_SG_NS0_5tupleIJPjSI_NS0_16reverse_iteratorISI_EEEEENSH_IJSG_SG_SG_EEES9_SI_JZNS1_25segmented_radix_sort_implINS0_14default_configELb0EPKaPaPKlPlN2at6native12_GLOBAL__N_18offset_tEEE10hipError_tPvRmT1_PNSt15iterator_traitsIS12_E10value_typeET2_T3_PNS13_IS18_E10value_typeET4_jRbjT5_S1E_jjP12ihipStream_tbEUljE_ZNSN_ISO_Lb0ESQ_SR_ST_SU_SY_EESZ_S10_S11_S12_S16_S17_S18_S1B_S1C_jS1D_jS1E_S1E_jjS1G_bEUljE0_EEESZ_S10_S11_S18_S1C_S1E_T6_T7_T9_mT8_S1G_bDpT10_ENKUlT_T0_E_clISt17integral_constantIbLb0EES1U_EEDaS1P_S1Q_EUlS1P_E_NS1_11comp_targetILNS1_3genE10ELNS1_11target_archE1200ELNS1_3gpuE4ELNS1_3repE0EEENS1_30default_config_static_selectorELNS0_4arch9wavefront6targetE0EEEvS12_.uses_flat_scratch, 0
	.set _ZN7rocprim17ROCPRIM_400000_NS6detail17trampoline_kernelINS0_13select_configILj256ELj13ELNS0_17block_load_methodE3ELS4_3ELS4_3ELNS0_20block_scan_algorithmE0ELj4294967295EEENS1_25partition_config_selectorILNS1_17partition_subalgoE4EjNS0_10empty_typeEbEEZZNS1_14partition_implILS8_4ELb0ES6_15HIP_vector_typeIjLj2EENS0_17counting_iteratorIjlEEPS9_SG_NS0_5tupleIJPjSI_NS0_16reverse_iteratorISI_EEEEENSH_IJSG_SG_SG_EEES9_SI_JZNS1_25segmented_radix_sort_implINS0_14default_configELb0EPKaPaPKlPlN2at6native12_GLOBAL__N_18offset_tEEE10hipError_tPvRmT1_PNSt15iterator_traitsIS12_E10value_typeET2_T3_PNS13_IS18_E10value_typeET4_jRbjT5_S1E_jjP12ihipStream_tbEUljE_ZNSN_ISO_Lb0ESQ_SR_ST_SU_SY_EESZ_S10_S11_S12_S16_S17_S18_S1B_S1C_jS1D_jS1E_S1E_jjS1G_bEUljE0_EEESZ_S10_S11_S18_S1C_S1E_T6_T7_T9_mT8_S1G_bDpT10_ENKUlT_T0_E_clISt17integral_constantIbLb0EES1U_EEDaS1P_S1Q_EUlS1P_E_NS1_11comp_targetILNS1_3genE10ELNS1_11target_archE1200ELNS1_3gpuE4ELNS1_3repE0EEENS1_30default_config_static_selectorELNS0_4arch9wavefront6targetE0EEEvS12_.has_dyn_sized_stack, 0
	.set _ZN7rocprim17ROCPRIM_400000_NS6detail17trampoline_kernelINS0_13select_configILj256ELj13ELNS0_17block_load_methodE3ELS4_3ELS4_3ELNS0_20block_scan_algorithmE0ELj4294967295EEENS1_25partition_config_selectorILNS1_17partition_subalgoE4EjNS0_10empty_typeEbEEZZNS1_14partition_implILS8_4ELb0ES6_15HIP_vector_typeIjLj2EENS0_17counting_iteratorIjlEEPS9_SG_NS0_5tupleIJPjSI_NS0_16reverse_iteratorISI_EEEEENSH_IJSG_SG_SG_EEES9_SI_JZNS1_25segmented_radix_sort_implINS0_14default_configELb0EPKaPaPKlPlN2at6native12_GLOBAL__N_18offset_tEEE10hipError_tPvRmT1_PNSt15iterator_traitsIS12_E10value_typeET2_T3_PNS13_IS18_E10value_typeET4_jRbjT5_S1E_jjP12ihipStream_tbEUljE_ZNSN_ISO_Lb0ESQ_SR_ST_SU_SY_EESZ_S10_S11_S12_S16_S17_S18_S1B_S1C_jS1D_jS1E_S1E_jjS1G_bEUljE0_EEESZ_S10_S11_S18_S1C_S1E_T6_T7_T9_mT8_S1G_bDpT10_ENKUlT_T0_E_clISt17integral_constantIbLb0EES1U_EEDaS1P_S1Q_EUlS1P_E_NS1_11comp_targetILNS1_3genE10ELNS1_11target_archE1200ELNS1_3gpuE4ELNS1_3repE0EEENS1_30default_config_static_selectorELNS0_4arch9wavefront6targetE0EEEvS12_.has_recursion, 0
	.set _ZN7rocprim17ROCPRIM_400000_NS6detail17trampoline_kernelINS0_13select_configILj256ELj13ELNS0_17block_load_methodE3ELS4_3ELS4_3ELNS0_20block_scan_algorithmE0ELj4294967295EEENS1_25partition_config_selectorILNS1_17partition_subalgoE4EjNS0_10empty_typeEbEEZZNS1_14partition_implILS8_4ELb0ES6_15HIP_vector_typeIjLj2EENS0_17counting_iteratorIjlEEPS9_SG_NS0_5tupleIJPjSI_NS0_16reverse_iteratorISI_EEEEENSH_IJSG_SG_SG_EEES9_SI_JZNS1_25segmented_radix_sort_implINS0_14default_configELb0EPKaPaPKlPlN2at6native12_GLOBAL__N_18offset_tEEE10hipError_tPvRmT1_PNSt15iterator_traitsIS12_E10value_typeET2_T3_PNS13_IS18_E10value_typeET4_jRbjT5_S1E_jjP12ihipStream_tbEUljE_ZNSN_ISO_Lb0ESQ_SR_ST_SU_SY_EESZ_S10_S11_S12_S16_S17_S18_S1B_S1C_jS1D_jS1E_S1E_jjS1G_bEUljE0_EEESZ_S10_S11_S18_S1C_S1E_T6_T7_T9_mT8_S1G_bDpT10_ENKUlT_T0_E_clISt17integral_constantIbLb0EES1U_EEDaS1P_S1Q_EUlS1P_E_NS1_11comp_targetILNS1_3genE10ELNS1_11target_archE1200ELNS1_3gpuE4ELNS1_3repE0EEENS1_30default_config_static_selectorELNS0_4arch9wavefront6targetE0EEEvS12_.has_indirect_call, 0
	.section	.AMDGPU.csdata,"",@progbits
; Kernel info:
; codeLenInByte = 0
; TotalNumSgprs: 0
; NumVgprs: 0
; ScratchSize: 0
; MemoryBound: 0
; FloatMode: 240
; IeeeMode: 1
; LDSByteSize: 0 bytes/workgroup (compile time only)
; SGPRBlocks: 0
; VGPRBlocks: 0
; NumSGPRsForWavesPerEU: 1
; NumVGPRsForWavesPerEU: 1
; NamedBarCnt: 0
; Occupancy: 16
; WaveLimiterHint : 0
; COMPUTE_PGM_RSRC2:SCRATCH_EN: 0
; COMPUTE_PGM_RSRC2:USER_SGPR: 2
; COMPUTE_PGM_RSRC2:TRAP_HANDLER: 0
; COMPUTE_PGM_RSRC2:TGID_X_EN: 1
; COMPUTE_PGM_RSRC2:TGID_Y_EN: 0
; COMPUTE_PGM_RSRC2:TGID_Z_EN: 0
; COMPUTE_PGM_RSRC2:TIDIG_COMP_CNT: 0
	.section	.text._ZN7rocprim17ROCPRIM_400000_NS6detail17trampoline_kernelINS0_13select_configILj256ELj13ELNS0_17block_load_methodE3ELS4_3ELS4_3ELNS0_20block_scan_algorithmE0ELj4294967295EEENS1_25partition_config_selectorILNS1_17partition_subalgoE4EjNS0_10empty_typeEbEEZZNS1_14partition_implILS8_4ELb0ES6_15HIP_vector_typeIjLj2EENS0_17counting_iteratorIjlEEPS9_SG_NS0_5tupleIJPjSI_NS0_16reverse_iteratorISI_EEEEENSH_IJSG_SG_SG_EEES9_SI_JZNS1_25segmented_radix_sort_implINS0_14default_configELb0EPKaPaPKlPlN2at6native12_GLOBAL__N_18offset_tEEE10hipError_tPvRmT1_PNSt15iterator_traitsIS12_E10value_typeET2_T3_PNS13_IS18_E10value_typeET4_jRbjT5_S1E_jjP12ihipStream_tbEUljE_ZNSN_ISO_Lb0ESQ_SR_ST_SU_SY_EESZ_S10_S11_S12_S16_S17_S18_S1B_S1C_jS1D_jS1E_S1E_jjS1G_bEUljE0_EEESZ_S10_S11_S18_S1C_S1E_T6_T7_T9_mT8_S1G_bDpT10_ENKUlT_T0_E_clISt17integral_constantIbLb0EES1U_EEDaS1P_S1Q_EUlS1P_E_NS1_11comp_targetILNS1_3genE9ELNS1_11target_archE1100ELNS1_3gpuE3ELNS1_3repE0EEENS1_30default_config_static_selectorELNS0_4arch9wavefront6targetE0EEEvS12_,"axG",@progbits,_ZN7rocprim17ROCPRIM_400000_NS6detail17trampoline_kernelINS0_13select_configILj256ELj13ELNS0_17block_load_methodE3ELS4_3ELS4_3ELNS0_20block_scan_algorithmE0ELj4294967295EEENS1_25partition_config_selectorILNS1_17partition_subalgoE4EjNS0_10empty_typeEbEEZZNS1_14partition_implILS8_4ELb0ES6_15HIP_vector_typeIjLj2EENS0_17counting_iteratorIjlEEPS9_SG_NS0_5tupleIJPjSI_NS0_16reverse_iteratorISI_EEEEENSH_IJSG_SG_SG_EEES9_SI_JZNS1_25segmented_radix_sort_implINS0_14default_configELb0EPKaPaPKlPlN2at6native12_GLOBAL__N_18offset_tEEE10hipError_tPvRmT1_PNSt15iterator_traitsIS12_E10value_typeET2_T3_PNS13_IS18_E10value_typeET4_jRbjT5_S1E_jjP12ihipStream_tbEUljE_ZNSN_ISO_Lb0ESQ_SR_ST_SU_SY_EESZ_S10_S11_S12_S16_S17_S18_S1B_S1C_jS1D_jS1E_S1E_jjS1G_bEUljE0_EEESZ_S10_S11_S18_S1C_S1E_T6_T7_T9_mT8_S1G_bDpT10_ENKUlT_T0_E_clISt17integral_constantIbLb0EES1U_EEDaS1P_S1Q_EUlS1P_E_NS1_11comp_targetILNS1_3genE9ELNS1_11target_archE1100ELNS1_3gpuE3ELNS1_3repE0EEENS1_30default_config_static_selectorELNS0_4arch9wavefront6targetE0EEEvS12_,comdat
	.globl	_ZN7rocprim17ROCPRIM_400000_NS6detail17trampoline_kernelINS0_13select_configILj256ELj13ELNS0_17block_load_methodE3ELS4_3ELS4_3ELNS0_20block_scan_algorithmE0ELj4294967295EEENS1_25partition_config_selectorILNS1_17partition_subalgoE4EjNS0_10empty_typeEbEEZZNS1_14partition_implILS8_4ELb0ES6_15HIP_vector_typeIjLj2EENS0_17counting_iteratorIjlEEPS9_SG_NS0_5tupleIJPjSI_NS0_16reverse_iteratorISI_EEEEENSH_IJSG_SG_SG_EEES9_SI_JZNS1_25segmented_radix_sort_implINS0_14default_configELb0EPKaPaPKlPlN2at6native12_GLOBAL__N_18offset_tEEE10hipError_tPvRmT1_PNSt15iterator_traitsIS12_E10value_typeET2_T3_PNS13_IS18_E10value_typeET4_jRbjT5_S1E_jjP12ihipStream_tbEUljE_ZNSN_ISO_Lb0ESQ_SR_ST_SU_SY_EESZ_S10_S11_S12_S16_S17_S18_S1B_S1C_jS1D_jS1E_S1E_jjS1G_bEUljE0_EEESZ_S10_S11_S18_S1C_S1E_T6_T7_T9_mT8_S1G_bDpT10_ENKUlT_T0_E_clISt17integral_constantIbLb0EES1U_EEDaS1P_S1Q_EUlS1P_E_NS1_11comp_targetILNS1_3genE9ELNS1_11target_archE1100ELNS1_3gpuE3ELNS1_3repE0EEENS1_30default_config_static_selectorELNS0_4arch9wavefront6targetE0EEEvS12_ ; -- Begin function _ZN7rocprim17ROCPRIM_400000_NS6detail17trampoline_kernelINS0_13select_configILj256ELj13ELNS0_17block_load_methodE3ELS4_3ELS4_3ELNS0_20block_scan_algorithmE0ELj4294967295EEENS1_25partition_config_selectorILNS1_17partition_subalgoE4EjNS0_10empty_typeEbEEZZNS1_14partition_implILS8_4ELb0ES6_15HIP_vector_typeIjLj2EENS0_17counting_iteratorIjlEEPS9_SG_NS0_5tupleIJPjSI_NS0_16reverse_iteratorISI_EEEEENSH_IJSG_SG_SG_EEES9_SI_JZNS1_25segmented_radix_sort_implINS0_14default_configELb0EPKaPaPKlPlN2at6native12_GLOBAL__N_18offset_tEEE10hipError_tPvRmT1_PNSt15iterator_traitsIS12_E10value_typeET2_T3_PNS13_IS18_E10value_typeET4_jRbjT5_S1E_jjP12ihipStream_tbEUljE_ZNSN_ISO_Lb0ESQ_SR_ST_SU_SY_EESZ_S10_S11_S12_S16_S17_S18_S1B_S1C_jS1D_jS1E_S1E_jjS1G_bEUljE0_EEESZ_S10_S11_S18_S1C_S1E_T6_T7_T9_mT8_S1G_bDpT10_ENKUlT_T0_E_clISt17integral_constantIbLb0EES1U_EEDaS1P_S1Q_EUlS1P_E_NS1_11comp_targetILNS1_3genE9ELNS1_11target_archE1100ELNS1_3gpuE3ELNS1_3repE0EEENS1_30default_config_static_selectorELNS0_4arch9wavefront6targetE0EEEvS12_
	.p2align	8
	.type	_ZN7rocprim17ROCPRIM_400000_NS6detail17trampoline_kernelINS0_13select_configILj256ELj13ELNS0_17block_load_methodE3ELS4_3ELS4_3ELNS0_20block_scan_algorithmE0ELj4294967295EEENS1_25partition_config_selectorILNS1_17partition_subalgoE4EjNS0_10empty_typeEbEEZZNS1_14partition_implILS8_4ELb0ES6_15HIP_vector_typeIjLj2EENS0_17counting_iteratorIjlEEPS9_SG_NS0_5tupleIJPjSI_NS0_16reverse_iteratorISI_EEEEENSH_IJSG_SG_SG_EEES9_SI_JZNS1_25segmented_radix_sort_implINS0_14default_configELb0EPKaPaPKlPlN2at6native12_GLOBAL__N_18offset_tEEE10hipError_tPvRmT1_PNSt15iterator_traitsIS12_E10value_typeET2_T3_PNS13_IS18_E10value_typeET4_jRbjT5_S1E_jjP12ihipStream_tbEUljE_ZNSN_ISO_Lb0ESQ_SR_ST_SU_SY_EESZ_S10_S11_S12_S16_S17_S18_S1B_S1C_jS1D_jS1E_S1E_jjS1G_bEUljE0_EEESZ_S10_S11_S18_S1C_S1E_T6_T7_T9_mT8_S1G_bDpT10_ENKUlT_T0_E_clISt17integral_constantIbLb0EES1U_EEDaS1P_S1Q_EUlS1P_E_NS1_11comp_targetILNS1_3genE9ELNS1_11target_archE1100ELNS1_3gpuE3ELNS1_3repE0EEENS1_30default_config_static_selectorELNS0_4arch9wavefront6targetE0EEEvS12_,@function
_ZN7rocprim17ROCPRIM_400000_NS6detail17trampoline_kernelINS0_13select_configILj256ELj13ELNS0_17block_load_methodE3ELS4_3ELS4_3ELNS0_20block_scan_algorithmE0ELj4294967295EEENS1_25partition_config_selectorILNS1_17partition_subalgoE4EjNS0_10empty_typeEbEEZZNS1_14partition_implILS8_4ELb0ES6_15HIP_vector_typeIjLj2EENS0_17counting_iteratorIjlEEPS9_SG_NS0_5tupleIJPjSI_NS0_16reverse_iteratorISI_EEEEENSH_IJSG_SG_SG_EEES9_SI_JZNS1_25segmented_radix_sort_implINS0_14default_configELb0EPKaPaPKlPlN2at6native12_GLOBAL__N_18offset_tEEE10hipError_tPvRmT1_PNSt15iterator_traitsIS12_E10value_typeET2_T3_PNS13_IS18_E10value_typeET4_jRbjT5_S1E_jjP12ihipStream_tbEUljE_ZNSN_ISO_Lb0ESQ_SR_ST_SU_SY_EESZ_S10_S11_S12_S16_S17_S18_S1B_S1C_jS1D_jS1E_S1E_jjS1G_bEUljE0_EEESZ_S10_S11_S18_S1C_S1E_T6_T7_T9_mT8_S1G_bDpT10_ENKUlT_T0_E_clISt17integral_constantIbLb0EES1U_EEDaS1P_S1Q_EUlS1P_E_NS1_11comp_targetILNS1_3genE9ELNS1_11target_archE1100ELNS1_3gpuE3ELNS1_3repE0EEENS1_30default_config_static_selectorELNS0_4arch9wavefront6targetE0EEEvS12_: ; @_ZN7rocprim17ROCPRIM_400000_NS6detail17trampoline_kernelINS0_13select_configILj256ELj13ELNS0_17block_load_methodE3ELS4_3ELS4_3ELNS0_20block_scan_algorithmE0ELj4294967295EEENS1_25partition_config_selectorILNS1_17partition_subalgoE4EjNS0_10empty_typeEbEEZZNS1_14partition_implILS8_4ELb0ES6_15HIP_vector_typeIjLj2EENS0_17counting_iteratorIjlEEPS9_SG_NS0_5tupleIJPjSI_NS0_16reverse_iteratorISI_EEEEENSH_IJSG_SG_SG_EEES9_SI_JZNS1_25segmented_radix_sort_implINS0_14default_configELb0EPKaPaPKlPlN2at6native12_GLOBAL__N_18offset_tEEE10hipError_tPvRmT1_PNSt15iterator_traitsIS12_E10value_typeET2_T3_PNS13_IS18_E10value_typeET4_jRbjT5_S1E_jjP12ihipStream_tbEUljE_ZNSN_ISO_Lb0ESQ_SR_ST_SU_SY_EESZ_S10_S11_S12_S16_S17_S18_S1B_S1C_jS1D_jS1E_S1E_jjS1G_bEUljE0_EEESZ_S10_S11_S18_S1C_S1E_T6_T7_T9_mT8_S1G_bDpT10_ENKUlT_T0_E_clISt17integral_constantIbLb0EES1U_EEDaS1P_S1Q_EUlS1P_E_NS1_11comp_targetILNS1_3genE9ELNS1_11target_archE1100ELNS1_3gpuE3ELNS1_3repE0EEENS1_30default_config_static_selectorELNS0_4arch9wavefront6targetE0EEEvS12_
; %bb.0:
	.section	.rodata,"a",@progbits
	.p2align	6, 0x0
	.amdhsa_kernel _ZN7rocprim17ROCPRIM_400000_NS6detail17trampoline_kernelINS0_13select_configILj256ELj13ELNS0_17block_load_methodE3ELS4_3ELS4_3ELNS0_20block_scan_algorithmE0ELj4294967295EEENS1_25partition_config_selectorILNS1_17partition_subalgoE4EjNS0_10empty_typeEbEEZZNS1_14partition_implILS8_4ELb0ES6_15HIP_vector_typeIjLj2EENS0_17counting_iteratorIjlEEPS9_SG_NS0_5tupleIJPjSI_NS0_16reverse_iteratorISI_EEEEENSH_IJSG_SG_SG_EEES9_SI_JZNS1_25segmented_radix_sort_implINS0_14default_configELb0EPKaPaPKlPlN2at6native12_GLOBAL__N_18offset_tEEE10hipError_tPvRmT1_PNSt15iterator_traitsIS12_E10value_typeET2_T3_PNS13_IS18_E10value_typeET4_jRbjT5_S1E_jjP12ihipStream_tbEUljE_ZNSN_ISO_Lb0ESQ_SR_ST_SU_SY_EESZ_S10_S11_S12_S16_S17_S18_S1B_S1C_jS1D_jS1E_S1E_jjS1G_bEUljE0_EEESZ_S10_S11_S18_S1C_S1E_T6_T7_T9_mT8_S1G_bDpT10_ENKUlT_T0_E_clISt17integral_constantIbLb0EES1U_EEDaS1P_S1Q_EUlS1P_E_NS1_11comp_targetILNS1_3genE9ELNS1_11target_archE1100ELNS1_3gpuE3ELNS1_3repE0EEENS1_30default_config_static_selectorELNS0_4arch9wavefront6targetE0EEEvS12_
		.amdhsa_group_segment_fixed_size 0
		.amdhsa_private_segment_fixed_size 0
		.amdhsa_kernarg_size 176
		.amdhsa_user_sgpr_count 2
		.amdhsa_user_sgpr_dispatch_ptr 0
		.amdhsa_user_sgpr_queue_ptr 0
		.amdhsa_user_sgpr_kernarg_segment_ptr 1
		.amdhsa_user_sgpr_dispatch_id 0
		.amdhsa_user_sgpr_kernarg_preload_length 0
		.amdhsa_user_sgpr_kernarg_preload_offset 0
		.amdhsa_user_sgpr_private_segment_size 0
		.amdhsa_wavefront_size32 1
		.amdhsa_uses_dynamic_stack 0
		.amdhsa_enable_private_segment 0
		.amdhsa_system_sgpr_workgroup_id_x 1
		.amdhsa_system_sgpr_workgroup_id_y 0
		.amdhsa_system_sgpr_workgroup_id_z 0
		.amdhsa_system_sgpr_workgroup_info 0
		.amdhsa_system_vgpr_workitem_id 0
		.amdhsa_next_free_vgpr 1
		.amdhsa_next_free_sgpr 1
		.amdhsa_named_barrier_count 0
		.amdhsa_reserve_vcc 0
		.amdhsa_float_round_mode_32 0
		.amdhsa_float_round_mode_16_64 0
		.amdhsa_float_denorm_mode_32 3
		.amdhsa_float_denorm_mode_16_64 3
		.amdhsa_fp16_overflow 0
		.amdhsa_memory_ordered 1
		.amdhsa_forward_progress 1
		.amdhsa_inst_pref_size 0
		.amdhsa_round_robin_scheduling 0
		.amdhsa_exception_fp_ieee_invalid_op 0
		.amdhsa_exception_fp_denorm_src 0
		.amdhsa_exception_fp_ieee_div_zero 0
		.amdhsa_exception_fp_ieee_overflow 0
		.amdhsa_exception_fp_ieee_underflow 0
		.amdhsa_exception_fp_ieee_inexact 0
		.amdhsa_exception_int_div_zero 0
	.end_amdhsa_kernel
	.section	.text._ZN7rocprim17ROCPRIM_400000_NS6detail17trampoline_kernelINS0_13select_configILj256ELj13ELNS0_17block_load_methodE3ELS4_3ELS4_3ELNS0_20block_scan_algorithmE0ELj4294967295EEENS1_25partition_config_selectorILNS1_17partition_subalgoE4EjNS0_10empty_typeEbEEZZNS1_14partition_implILS8_4ELb0ES6_15HIP_vector_typeIjLj2EENS0_17counting_iteratorIjlEEPS9_SG_NS0_5tupleIJPjSI_NS0_16reverse_iteratorISI_EEEEENSH_IJSG_SG_SG_EEES9_SI_JZNS1_25segmented_radix_sort_implINS0_14default_configELb0EPKaPaPKlPlN2at6native12_GLOBAL__N_18offset_tEEE10hipError_tPvRmT1_PNSt15iterator_traitsIS12_E10value_typeET2_T3_PNS13_IS18_E10value_typeET4_jRbjT5_S1E_jjP12ihipStream_tbEUljE_ZNSN_ISO_Lb0ESQ_SR_ST_SU_SY_EESZ_S10_S11_S12_S16_S17_S18_S1B_S1C_jS1D_jS1E_S1E_jjS1G_bEUljE0_EEESZ_S10_S11_S18_S1C_S1E_T6_T7_T9_mT8_S1G_bDpT10_ENKUlT_T0_E_clISt17integral_constantIbLb0EES1U_EEDaS1P_S1Q_EUlS1P_E_NS1_11comp_targetILNS1_3genE9ELNS1_11target_archE1100ELNS1_3gpuE3ELNS1_3repE0EEENS1_30default_config_static_selectorELNS0_4arch9wavefront6targetE0EEEvS12_,"axG",@progbits,_ZN7rocprim17ROCPRIM_400000_NS6detail17trampoline_kernelINS0_13select_configILj256ELj13ELNS0_17block_load_methodE3ELS4_3ELS4_3ELNS0_20block_scan_algorithmE0ELj4294967295EEENS1_25partition_config_selectorILNS1_17partition_subalgoE4EjNS0_10empty_typeEbEEZZNS1_14partition_implILS8_4ELb0ES6_15HIP_vector_typeIjLj2EENS0_17counting_iteratorIjlEEPS9_SG_NS0_5tupleIJPjSI_NS0_16reverse_iteratorISI_EEEEENSH_IJSG_SG_SG_EEES9_SI_JZNS1_25segmented_radix_sort_implINS0_14default_configELb0EPKaPaPKlPlN2at6native12_GLOBAL__N_18offset_tEEE10hipError_tPvRmT1_PNSt15iterator_traitsIS12_E10value_typeET2_T3_PNS13_IS18_E10value_typeET4_jRbjT5_S1E_jjP12ihipStream_tbEUljE_ZNSN_ISO_Lb0ESQ_SR_ST_SU_SY_EESZ_S10_S11_S12_S16_S17_S18_S1B_S1C_jS1D_jS1E_S1E_jjS1G_bEUljE0_EEESZ_S10_S11_S18_S1C_S1E_T6_T7_T9_mT8_S1G_bDpT10_ENKUlT_T0_E_clISt17integral_constantIbLb0EES1U_EEDaS1P_S1Q_EUlS1P_E_NS1_11comp_targetILNS1_3genE9ELNS1_11target_archE1100ELNS1_3gpuE3ELNS1_3repE0EEENS1_30default_config_static_selectorELNS0_4arch9wavefront6targetE0EEEvS12_,comdat
.Lfunc_end332:
	.size	_ZN7rocprim17ROCPRIM_400000_NS6detail17trampoline_kernelINS0_13select_configILj256ELj13ELNS0_17block_load_methodE3ELS4_3ELS4_3ELNS0_20block_scan_algorithmE0ELj4294967295EEENS1_25partition_config_selectorILNS1_17partition_subalgoE4EjNS0_10empty_typeEbEEZZNS1_14partition_implILS8_4ELb0ES6_15HIP_vector_typeIjLj2EENS0_17counting_iteratorIjlEEPS9_SG_NS0_5tupleIJPjSI_NS0_16reverse_iteratorISI_EEEEENSH_IJSG_SG_SG_EEES9_SI_JZNS1_25segmented_radix_sort_implINS0_14default_configELb0EPKaPaPKlPlN2at6native12_GLOBAL__N_18offset_tEEE10hipError_tPvRmT1_PNSt15iterator_traitsIS12_E10value_typeET2_T3_PNS13_IS18_E10value_typeET4_jRbjT5_S1E_jjP12ihipStream_tbEUljE_ZNSN_ISO_Lb0ESQ_SR_ST_SU_SY_EESZ_S10_S11_S12_S16_S17_S18_S1B_S1C_jS1D_jS1E_S1E_jjS1G_bEUljE0_EEESZ_S10_S11_S18_S1C_S1E_T6_T7_T9_mT8_S1G_bDpT10_ENKUlT_T0_E_clISt17integral_constantIbLb0EES1U_EEDaS1P_S1Q_EUlS1P_E_NS1_11comp_targetILNS1_3genE9ELNS1_11target_archE1100ELNS1_3gpuE3ELNS1_3repE0EEENS1_30default_config_static_selectorELNS0_4arch9wavefront6targetE0EEEvS12_, .Lfunc_end332-_ZN7rocprim17ROCPRIM_400000_NS6detail17trampoline_kernelINS0_13select_configILj256ELj13ELNS0_17block_load_methodE3ELS4_3ELS4_3ELNS0_20block_scan_algorithmE0ELj4294967295EEENS1_25partition_config_selectorILNS1_17partition_subalgoE4EjNS0_10empty_typeEbEEZZNS1_14partition_implILS8_4ELb0ES6_15HIP_vector_typeIjLj2EENS0_17counting_iteratorIjlEEPS9_SG_NS0_5tupleIJPjSI_NS0_16reverse_iteratorISI_EEEEENSH_IJSG_SG_SG_EEES9_SI_JZNS1_25segmented_radix_sort_implINS0_14default_configELb0EPKaPaPKlPlN2at6native12_GLOBAL__N_18offset_tEEE10hipError_tPvRmT1_PNSt15iterator_traitsIS12_E10value_typeET2_T3_PNS13_IS18_E10value_typeET4_jRbjT5_S1E_jjP12ihipStream_tbEUljE_ZNSN_ISO_Lb0ESQ_SR_ST_SU_SY_EESZ_S10_S11_S12_S16_S17_S18_S1B_S1C_jS1D_jS1E_S1E_jjS1G_bEUljE0_EEESZ_S10_S11_S18_S1C_S1E_T6_T7_T9_mT8_S1G_bDpT10_ENKUlT_T0_E_clISt17integral_constantIbLb0EES1U_EEDaS1P_S1Q_EUlS1P_E_NS1_11comp_targetILNS1_3genE9ELNS1_11target_archE1100ELNS1_3gpuE3ELNS1_3repE0EEENS1_30default_config_static_selectorELNS0_4arch9wavefront6targetE0EEEvS12_
                                        ; -- End function
	.set _ZN7rocprim17ROCPRIM_400000_NS6detail17trampoline_kernelINS0_13select_configILj256ELj13ELNS0_17block_load_methodE3ELS4_3ELS4_3ELNS0_20block_scan_algorithmE0ELj4294967295EEENS1_25partition_config_selectorILNS1_17partition_subalgoE4EjNS0_10empty_typeEbEEZZNS1_14partition_implILS8_4ELb0ES6_15HIP_vector_typeIjLj2EENS0_17counting_iteratorIjlEEPS9_SG_NS0_5tupleIJPjSI_NS0_16reverse_iteratorISI_EEEEENSH_IJSG_SG_SG_EEES9_SI_JZNS1_25segmented_radix_sort_implINS0_14default_configELb0EPKaPaPKlPlN2at6native12_GLOBAL__N_18offset_tEEE10hipError_tPvRmT1_PNSt15iterator_traitsIS12_E10value_typeET2_T3_PNS13_IS18_E10value_typeET4_jRbjT5_S1E_jjP12ihipStream_tbEUljE_ZNSN_ISO_Lb0ESQ_SR_ST_SU_SY_EESZ_S10_S11_S12_S16_S17_S18_S1B_S1C_jS1D_jS1E_S1E_jjS1G_bEUljE0_EEESZ_S10_S11_S18_S1C_S1E_T6_T7_T9_mT8_S1G_bDpT10_ENKUlT_T0_E_clISt17integral_constantIbLb0EES1U_EEDaS1P_S1Q_EUlS1P_E_NS1_11comp_targetILNS1_3genE9ELNS1_11target_archE1100ELNS1_3gpuE3ELNS1_3repE0EEENS1_30default_config_static_selectorELNS0_4arch9wavefront6targetE0EEEvS12_.num_vgpr, 0
	.set _ZN7rocprim17ROCPRIM_400000_NS6detail17trampoline_kernelINS0_13select_configILj256ELj13ELNS0_17block_load_methodE3ELS4_3ELS4_3ELNS0_20block_scan_algorithmE0ELj4294967295EEENS1_25partition_config_selectorILNS1_17partition_subalgoE4EjNS0_10empty_typeEbEEZZNS1_14partition_implILS8_4ELb0ES6_15HIP_vector_typeIjLj2EENS0_17counting_iteratorIjlEEPS9_SG_NS0_5tupleIJPjSI_NS0_16reverse_iteratorISI_EEEEENSH_IJSG_SG_SG_EEES9_SI_JZNS1_25segmented_radix_sort_implINS0_14default_configELb0EPKaPaPKlPlN2at6native12_GLOBAL__N_18offset_tEEE10hipError_tPvRmT1_PNSt15iterator_traitsIS12_E10value_typeET2_T3_PNS13_IS18_E10value_typeET4_jRbjT5_S1E_jjP12ihipStream_tbEUljE_ZNSN_ISO_Lb0ESQ_SR_ST_SU_SY_EESZ_S10_S11_S12_S16_S17_S18_S1B_S1C_jS1D_jS1E_S1E_jjS1G_bEUljE0_EEESZ_S10_S11_S18_S1C_S1E_T6_T7_T9_mT8_S1G_bDpT10_ENKUlT_T0_E_clISt17integral_constantIbLb0EES1U_EEDaS1P_S1Q_EUlS1P_E_NS1_11comp_targetILNS1_3genE9ELNS1_11target_archE1100ELNS1_3gpuE3ELNS1_3repE0EEENS1_30default_config_static_selectorELNS0_4arch9wavefront6targetE0EEEvS12_.num_agpr, 0
	.set _ZN7rocprim17ROCPRIM_400000_NS6detail17trampoline_kernelINS0_13select_configILj256ELj13ELNS0_17block_load_methodE3ELS4_3ELS4_3ELNS0_20block_scan_algorithmE0ELj4294967295EEENS1_25partition_config_selectorILNS1_17partition_subalgoE4EjNS0_10empty_typeEbEEZZNS1_14partition_implILS8_4ELb0ES6_15HIP_vector_typeIjLj2EENS0_17counting_iteratorIjlEEPS9_SG_NS0_5tupleIJPjSI_NS0_16reverse_iteratorISI_EEEEENSH_IJSG_SG_SG_EEES9_SI_JZNS1_25segmented_radix_sort_implINS0_14default_configELb0EPKaPaPKlPlN2at6native12_GLOBAL__N_18offset_tEEE10hipError_tPvRmT1_PNSt15iterator_traitsIS12_E10value_typeET2_T3_PNS13_IS18_E10value_typeET4_jRbjT5_S1E_jjP12ihipStream_tbEUljE_ZNSN_ISO_Lb0ESQ_SR_ST_SU_SY_EESZ_S10_S11_S12_S16_S17_S18_S1B_S1C_jS1D_jS1E_S1E_jjS1G_bEUljE0_EEESZ_S10_S11_S18_S1C_S1E_T6_T7_T9_mT8_S1G_bDpT10_ENKUlT_T0_E_clISt17integral_constantIbLb0EES1U_EEDaS1P_S1Q_EUlS1P_E_NS1_11comp_targetILNS1_3genE9ELNS1_11target_archE1100ELNS1_3gpuE3ELNS1_3repE0EEENS1_30default_config_static_selectorELNS0_4arch9wavefront6targetE0EEEvS12_.numbered_sgpr, 0
	.set _ZN7rocprim17ROCPRIM_400000_NS6detail17trampoline_kernelINS0_13select_configILj256ELj13ELNS0_17block_load_methodE3ELS4_3ELS4_3ELNS0_20block_scan_algorithmE0ELj4294967295EEENS1_25partition_config_selectorILNS1_17partition_subalgoE4EjNS0_10empty_typeEbEEZZNS1_14partition_implILS8_4ELb0ES6_15HIP_vector_typeIjLj2EENS0_17counting_iteratorIjlEEPS9_SG_NS0_5tupleIJPjSI_NS0_16reverse_iteratorISI_EEEEENSH_IJSG_SG_SG_EEES9_SI_JZNS1_25segmented_radix_sort_implINS0_14default_configELb0EPKaPaPKlPlN2at6native12_GLOBAL__N_18offset_tEEE10hipError_tPvRmT1_PNSt15iterator_traitsIS12_E10value_typeET2_T3_PNS13_IS18_E10value_typeET4_jRbjT5_S1E_jjP12ihipStream_tbEUljE_ZNSN_ISO_Lb0ESQ_SR_ST_SU_SY_EESZ_S10_S11_S12_S16_S17_S18_S1B_S1C_jS1D_jS1E_S1E_jjS1G_bEUljE0_EEESZ_S10_S11_S18_S1C_S1E_T6_T7_T9_mT8_S1G_bDpT10_ENKUlT_T0_E_clISt17integral_constantIbLb0EES1U_EEDaS1P_S1Q_EUlS1P_E_NS1_11comp_targetILNS1_3genE9ELNS1_11target_archE1100ELNS1_3gpuE3ELNS1_3repE0EEENS1_30default_config_static_selectorELNS0_4arch9wavefront6targetE0EEEvS12_.num_named_barrier, 0
	.set _ZN7rocprim17ROCPRIM_400000_NS6detail17trampoline_kernelINS0_13select_configILj256ELj13ELNS0_17block_load_methodE3ELS4_3ELS4_3ELNS0_20block_scan_algorithmE0ELj4294967295EEENS1_25partition_config_selectorILNS1_17partition_subalgoE4EjNS0_10empty_typeEbEEZZNS1_14partition_implILS8_4ELb0ES6_15HIP_vector_typeIjLj2EENS0_17counting_iteratorIjlEEPS9_SG_NS0_5tupleIJPjSI_NS0_16reverse_iteratorISI_EEEEENSH_IJSG_SG_SG_EEES9_SI_JZNS1_25segmented_radix_sort_implINS0_14default_configELb0EPKaPaPKlPlN2at6native12_GLOBAL__N_18offset_tEEE10hipError_tPvRmT1_PNSt15iterator_traitsIS12_E10value_typeET2_T3_PNS13_IS18_E10value_typeET4_jRbjT5_S1E_jjP12ihipStream_tbEUljE_ZNSN_ISO_Lb0ESQ_SR_ST_SU_SY_EESZ_S10_S11_S12_S16_S17_S18_S1B_S1C_jS1D_jS1E_S1E_jjS1G_bEUljE0_EEESZ_S10_S11_S18_S1C_S1E_T6_T7_T9_mT8_S1G_bDpT10_ENKUlT_T0_E_clISt17integral_constantIbLb0EES1U_EEDaS1P_S1Q_EUlS1P_E_NS1_11comp_targetILNS1_3genE9ELNS1_11target_archE1100ELNS1_3gpuE3ELNS1_3repE0EEENS1_30default_config_static_selectorELNS0_4arch9wavefront6targetE0EEEvS12_.private_seg_size, 0
	.set _ZN7rocprim17ROCPRIM_400000_NS6detail17trampoline_kernelINS0_13select_configILj256ELj13ELNS0_17block_load_methodE3ELS4_3ELS4_3ELNS0_20block_scan_algorithmE0ELj4294967295EEENS1_25partition_config_selectorILNS1_17partition_subalgoE4EjNS0_10empty_typeEbEEZZNS1_14partition_implILS8_4ELb0ES6_15HIP_vector_typeIjLj2EENS0_17counting_iteratorIjlEEPS9_SG_NS0_5tupleIJPjSI_NS0_16reverse_iteratorISI_EEEEENSH_IJSG_SG_SG_EEES9_SI_JZNS1_25segmented_radix_sort_implINS0_14default_configELb0EPKaPaPKlPlN2at6native12_GLOBAL__N_18offset_tEEE10hipError_tPvRmT1_PNSt15iterator_traitsIS12_E10value_typeET2_T3_PNS13_IS18_E10value_typeET4_jRbjT5_S1E_jjP12ihipStream_tbEUljE_ZNSN_ISO_Lb0ESQ_SR_ST_SU_SY_EESZ_S10_S11_S12_S16_S17_S18_S1B_S1C_jS1D_jS1E_S1E_jjS1G_bEUljE0_EEESZ_S10_S11_S18_S1C_S1E_T6_T7_T9_mT8_S1G_bDpT10_ENKUlT_T0_E_clISt17integral_constantIbLb0EES1U_EEDaS1P_S1Q_EUlS1P_E_NS1_11comp_targetILNS1_3genE9ELNS1_11target_archE1100ELNS1_3gpuE3ELNS1_3repE0EEENS1_30default_config_static_selectorELNS0_4arch9wavefront6targetE0EEEvS12_.uses_vcc, 0
	.set _ZN7rocprim17ROCPRIM_400000_NS6detail17trampoline_kernelINS0_13select_configILj256ELj13ELNS0_17block_load_methodE3ELS4_3ELS4_3ELNS0_20block_scan_algorithmE0ELj4294967295EEENS1_25partition_config_selectorILNS1_17partition_subalgoE4EjNS0_10empty_typeEbEEZZNS1_14partition_implILS8_4ELb0ES6_15HIP_vector_typeIjLj2EENS0_17counting_iteratorIjlEEPS9_SG_NS0_5tupleIJPjSI_NS0_16reverse_iteratorISI_EEEEENSH_IJSG_SG_SG_EEES9_SI_JZNS1_25segmented_radix_sort_implINS0_14default_configELb0EPKaPaPKlPlN2at6native12_GLOBAL__N_18offset_tEEE10hipError_tPvRmT1_PNSt15iterator_traitsIS12_E10value_typeET2_T3_PNS13_IS18_E10value_typeET4_jRbjT5_S1E_jjP12ihipStream_tbEUljE_ZNSN_ISO_Lb0ESQ_SR_ST_SU_SY_EESZ_S10_S11_S12_S16_S17_S18_S1B_S1C_jS1D_jS1E_S1E_jjS1G_bEUljE0_EEESZ_S10_S11_S18_S1C_S1E_T6_T7_T9_mT8_S1G_bDpT10_ENKUlT_T0_E_clISt17integral_constantIbLb0EES1U_EEDaS1P_S1Q_EUlS1P_E_NS1_11comp_targetILNS1_3genE9ELNS1_11target_archE1100ELNS1_3gpuE3ELNS1_3repE0EEENS1_30default_config_static_selectorELNS0_4arch9wavefront6targetE0EEEvS12_.uses_flat_scratch, 0
	.set _ZN7rocprim17ROCPRIM_400000_NS6detail17trampoline_kernelINS0_13select_configILj256ELj13ELNS0_17block_load_methodE3ELS4_3ELS4_3ELNS0_20block_scan_algorithmE0ELj4294967295EEENS1_25partition_config_selectorILNS1_17partition_subalgoE4EjNS0_10empty_typeEbEEZZNS1_14partition_implILS8_4ELb0ES6_15HIP_vector_typeIjLj2EENS0_17counting_iteratorIjlEEPS9_SG_NS0_5tupleIJPjSI_NS0_16reverse_iteratorISI_EEEEENSH_IJSG_SG_SG_EEES9_SI_JZNS1_25segmented_radix_sort_implINS0_14default_configELb0EPKaPaPKlPlN2at6native12_GLOBAL__N_18offset_tEEE10hipError_tPvRmT1_PNSt15iterator_traitsIS12_E10value_typeET2_T3_PNS13_IS18_E10value_typeET4_jRbjT5_S1E_jjP12ihipStream_tbEUljE_ZNSN_ISO_Lb0ESQ_SR_ST_SU_SY_EESZ_S10_S11_S12_S16_S17_S18_S1B_S1C_jS1D_jS1E_S1E_jjS1G_bEUljE0_EEESZ_S10_S11_S18_S1C_S1E_T6_T7_T9_mT8_S1G_bDpT10_ENKUlT_T0_E_clISt17integral_constantIbLb0EES1U_EEDaS1P_S1Q_EUlS1P_E_NS1_11comp_targetILNS1_3genE9ELNS1_11target_archE1100ELNS1_3gpuE3ELNS1_3repE0EEENS1_30default_config_static_selectorELNS0_4arch9wavefront6targetE0EEEvS12_.has_dyn_sized_stack, 0
	.set _ZN7rocprim17ROCPRIM_400000_NS6detail17trampoline_kernelINS0_13select_configILj256ELj13ELNS0_17block_load_methodE3ELS4_3ELS4_3ELNS0_20block_scan_algorithmE0ELj4294967295EEENS1_25partition_config_selectorILNS1_17partition_subalgoE4EjNS0_10empty_typeEbEEZZNS1_14partition_implILS8_4ELb0ES6_15HIP_vector_typeIjLj2EENS0_17counting_iteratorIjlEEPS9_SG_NS0_5tupleIJPjSI_NS0_16reverse_iteratorISI_EEEEENSH_IJSG_SG_SG_EEES9_SI_JZNS1_25segmented_radix_sort_implINS0_14default_configELb0EPKaPaPKlPlN2at6native12_GLOBAL__N_18offset_tEEE10hipError_tPvRmT1_PNSt15iterator_traitsIS12_E10value_typeET2_T3_PNS13_IS18_E10value_typeET4_jRbjT5_S1E_jjP12ihipStream_tbEUljE_ZNSN_ISO_Lb0ESQ_SR_ST_SU_SY_EESZ_S10_S11_S12_S16_S17_S18_S1B_S1C_jS1D_jS1E_S1E_jjS1G_bEUljE0_EEESZ_S10_S11_S18_S1C_S1E_T6_T7_T9_mT8_S1G_bDpT10_ENKUlT_T0_E_clISt17integral_constantIbLb0EES1U_EEDaS1P_S1Q_EUlS1P_E_NS1_11comp_targetILNS1_3genE9ELNS1_11target_archE1100ELNS1_3gpuE3ELNS1_3repE0EEENS1_30default_config_static_selectorELNS0_4arch9wavefront6targetE0EEEvS12_.has_recursion, 0
	.set _ZN7rocprim17ROCPRIM_400000_NS6detail17trampoline_kernelINS0_13select_configILj256ELj13ELNS0_17block_load_methodE3ELS4_3ELS4_3ELNS0_20block_scan_algorithmE0ELj4294967295EEENS1_25partition_config_selectorILNS1_17partition_subalgoE4EjNS0_10empty_typeEbEEZZNS1_14partition_implILS8_4ELb0ES6_15HIP_vector_typeIjLj2EENS0_17counting_iteratorIjlEEPS9_SG_NS0_5tupleIJPjSI_NS0_16reverse_iteratorISI_EEEEENSH_IJSG_SG_SG_EEES9_SI_JZNS1_25segmented_radix_sort_implINS0_14default_configELb0EPKaPaPKlPlN2at6native12_GLOBAL__N_18offset_tEEE10hipError_tPvRmT1_PNSt15iterator_traitsIS12_E10value_typeET2_T3_PNS13_IS18_E10value_typeET4_jRbjT5_S1E_jjP12ihipStream_tbEUljE_ZNSN_ISO_Lb0ESQ_SR_ST_SU_SY_EESZ_S10_S11_S12_S16_S17_S18_S1B_S1C_jS1D_jS1E_S1E_jjS1G_bEUljE0_EEESZ_S10_S11_S18_S1C_S1E_T6_T7_T9_mT8_S1G_bDpT10_ENKUlT_T0_E_clISt17integral_constantIbLb0EES1U_EEDaS1P_S1Q_EUlS1P_E_NS1_11comp_targetILNS1_3genE9ELNS1_11target_archE1100ELNS1_3gpuE3ELNS1_3repE0EEENS1_30default_config_static_selectorELNS0_4arch9wavefront6targetE0EEEvS12_.has_indirect_call, 0
	.section	.AMDGPU.csdata,"",@progbits
; Kernel info:
; codeLenInByte = 0
; TotalNumSgprs: 0
; NumVgprs: 0
; ScratchSize: 0
; MemoryBound: 0
; FloatMode: 240
; IeeeMode: 1
; LDSByteSize: 0 bytes/workgroup (compile time only)
; SGPRBlocks: 0
; VGPRBlocks: 0
; NumSGPRsForWavesPerEU: 1
; NumVGPRsForWavesPerEU: 1
; NamedBarCnt: 0
; Occupancy: 16
; WaveLimiterHint : 0
; COMPUTE_PGM_RSRC2:SCRATCH_EN: 0
; COMPUTE_PGM_RSRC2:USER_SGPR: 2
; COMPUTE_PGM_RSRC2:TRAP_HANDLER: 0
; COMPUTE_PGM_RSRC2:TGID_X_EN: 1
; COMPUTE_PGM_RSRC2:TGID_Y_EN: 0
; COMPUTE_PGM_RSRC2:TGID_Z_EN: 0
; COMPUTE_PGM_RSRC2:TIDIG_COMP_CNT: 0
	.section	.text._ZN7rocprim17ROCPRIM_400000_NS6detail17trampoline_kernelINS0_13select_configILj256ELj13ELNS0_17block_load_methodE3ELS4_3ELS4_3ELNS0_20block_scan_algorithmE0ELj4294967295EEENS1_25partition_config_selectorILNS1_17partition_subalgoE4EjNS0_10empty_typeEbEEZZNS1_14partition_implILS8_4ELb0ES6_15HIP_vector_typeIjLj2EENS0_17counting_iteratorIjlEEPS9_SG_NS0_5tupleIJPjSI_NS0_16reverse_iteratorISI_EEEEENSH_IJSG_SG_SG_EEES9_SI_JZNS1_25segmented_radix_sort_implINS0_14default_configELb0EPKaPaPKlPlN2at6native12_GLOBAL__N_18offset_tEEE10hipError_tPvRmT1_PNSt15iterator_traitsIS12_E10value_typeET2_T3_PNS13_IS18_E10value_typeET4_jRbjT5_S1E_jjP12ihipStream_tbEUljE_ZNSN_ISO_Lb0ESQ_SR_ST_SU_SY_EESZ_S10_S11_S12_S16_S17_S18_S1B_S1C_jS1D_jS1E_S1E_jjS1G_bEUljE0_EEESZ_S10_S11_S18_S1C_S1E_T6_T7_T9_mT8_S1G_bDpT10_ENKUlT_T0_E_clISt17integral_constantIbLb0EES1U_EEDaS1P_S1Q_EUlS1P_E_NS1_11comp_targetILNS1_3genE8ELNS1_11target_archE1030ELNS1_3gpuE2ELNS1_3repE0EEENS1_30default_config_static_selectorELNS0_4arch9wavefront6targetE0EEEvS12_,"axG",@progbits,_ZN7rocprim17ROCPRIM_400000_NS6detail17trampoline_kernelINS0_13select_configILj256ELj13ELNS0_17block_load_methodE3ELS4_3ELS4_3ELNS0_20block_scan_algorithmE0ELj4294967295EEENS1_25partition_config_selectorILNS1_17partition_subalgoE4EjNS0_10empty_typeEbEEZZNS1_14partition_implILS8_4ELb0ES6_15HIP_vector_typeIjLj2EENS0_17counting_iteratorIjlEEPS9_SG_NS0_5tupleIJPjSI_NS0_16reverse_iteratorISI_EEEEENSH_IJSG_SG_SG_EEES9_SI_JZNS1_25segmented_radix_sort_implINS0_14default_configELb0EPKaPaPKlPlN2at6native12_GLOBAL__N_18offset_tEEE10hipError_tPvRmT1_PNSt15iterator_traitsIS12_E10value_typeET2_T3_PNS13_IS18_E10value_typeET4_jRbjT5_S1E_jjP12ihipStream_tbEUljE_ZNSN_ISO_Lb0ESQ_SR_ST_SU_SY_EESZ_S10_S11_S12_S16_S17_S18_S1B_S1C_jS1D_jS1E_S1E_jjS1G_bEUljE0_EEESZ_S10_S11_S18_S1C_S1E_T6_T7_T9_mT8_S1G_bDpT10_ENKUlT_T0_E_clISt17integral_constantIbLb0EES1U_EEDaS1P_S1Q_EUlS1P_E_NS1_11comp_targetILNS1_3genE8ELNS1_11target_archE1030ELNS1_3gpuE2ELNS1_3repE0EEENS1_30default_config_static_selectorELNS0_4arch9wavefront6targetE0EEEvS12_,comdat
	.globl	_ZN7rocprim17ROCPRIM_400000_NS6detail17trampoline_kernelINS0_13select_configILj256ELj13ELNS0_17block_load_methodE3ELS4_3ELS4_3ELNS0_20block_scan_algorithmE0ELj4294967295EEENS1_25partition_config_selectorILNS1_17partition_subalgoE4EjNS0_10empty_typeEbEEZZNS1_14partition_implILS8_4ELb0ES6_15HIP_vector_typeIjLj2EENS0_17counting_iteratorIjlEEPS9_SG_NS0_5tupleIJPjSI_NS0_16reverse_iteratorISI_EEEEENSH_IJSG_SG_SG_EEES9_SI_JZNS1_25segmented_radix_sort_implINS0_14default_configELb0EPKaPaPKlPlN2at6native12_GLOBAL__N_18offset_tEEE10hipError_tPvRmT1_PNSt15iterator_traitsIS12_E10value_typeET2_T3_PNS13_IS18_E10value_typeET4_jRbjT5_S1E_jjP12ihipStream_tbEUljE_ZNSN_ISO_Lb0ESQ_SR_ST_SU_SY_EESZ_S10_S11_S12_S16_S17_S18_S1B_S1C_jS1D_jS1E_S1E_jjS1G_bEUljE0_EEESZ_S10_S11_S18_S1C_S1E_T6_T7_T9_mT8_S1G_bDpT10_ENKUlT_T0_E_clISt17integral_constantIbLb0EES1U_EEDaS1P_S1Q_EUlS1P_E_NS1_11comp_targetILNS1_3genE8ELNS1_11target_archE1030ELNS1_3gpuE2ELNS1_3repE0EEENS1_30default_config_static_selectorELNS0_4arch9wavefront6targetE0EEEvS12_ ; -- Begin function _ZN7rocprim17ROCPRIM_400000_NS6detail17trampoline_kernelINS0_13select_configILj256ELj13ELNS0_17block_load_methodE3ELS4_3ELS4_3ELNS0_20block_scan_algorithmE0ELj4294967295EEENS1_25partition_config_selectorILNS1_17partition_subalgoE4EjNS0_10empty_typeEbEEZZNS1_14partition_implILS8_4ELb0ES6_15HIP_vector_typeIjLj2EENS0_17counting_iteratorIjlEEPS9_SG_NS0_5tupleIJPjSI_NS0_16reverse_iteratorISI_EEEEENSH_IJSG_SG_SG_EEES9_SI_JZNS1_25segmented_radix_sort_implINS0_14default_configELb0EPKaPaPKlPlN2at6native12_GLOBAL__N_18offset_tEEE10hipError_tPvRmT1_PNSt15iterator_traitsIS12_E10value_typeET2_T3_PNS13_IS18_E10value_typeET4_jRbjT5_S1E_jjP12ihipStream_tbEUljE_ZNSN_ISO_Lb0ESQ_SR_ST_SU_SY_EESZ_S10_S11_S12_S16_S17_S18_S1B_S1C_jS1D_jS1E_S1E_jjS1G_bEUljE0_EEESZ_S10_S11_S18_S1C_S1E_T6_T7_T9_mT8_S1G_bDpT10_ENKUlT_T0_E_clISt17integral_constantIbLb0EES1U_EEDaS1P_S1Q_EUlS1P_E_NS1_11comp_targetILNS1_3genE8ELNS1_11target_archE1030ELNS1_3gpuE2ELNS1_3repE0EEENS1_30default_config_static_selectorELNS0_4arch9wavefront6targetE0EEEvS12_
	.p2align	8
	.type	_ZN7rocprim17ROCPRIM_400000_NS6detail17trampoline_kernelINS0_13select_configILj256ELj13ELNS0_17block_load_methodE3ELS4_3ELS4_3ELNS0_20block_scan_algorithmE0ELj4294967295EEENS1_25partition_config_selectorILNS1_17partition_subalgoE4EjNS0_10empty_typeEbEEZZNS1_14partition_implILS8_4ELb0ES6_15HIP_vector_typeIjLj2EENS0_17counting_iteratorIjlEEPS9_SG_NS0_5tupleIJPjSI_NS0_16reverse_iteratorISI_EEEEENSH_IJSG_SG_SG_EEES9_SI_JZNS1_25segmented_radix_sort_implINS0_14default_configELb0EPKaPaPKlPlN2at6native12_GLOBAL__N_18offset_tEEE10hipError_tPvRmT1_PNSt15iterator_traitsIS12_E10value_typeET2_T3_PNS13_IS18_E10value_typeET4_jRbjT5_S1E_jjP12ihipStream_tbEUljE_ZNSN_ISO_Lb0ESQ_SR_ST_SU_SY_EESZ_S10_S11_S12_S16_S17_S18_S1B_S1C_jS1D_jS1E_S1E_jjS1G_bEUljE0_EEESZ_S10_S11_S18_S1C_S1E_T6_T7_T9_mT8_S1G_bDpT10_ENKUlT_T0_E_clISt17integral_constantIbLb0EES1U_EEDaS1P_S1Q_EUlS1P_E_NS1_11comp_targetILNS1_3genE8ELNS1_11target_archE1030ELNS1_3gpuE2ELNS1_3repE0EEENS1_30default_config_static_selectorELNS0_4arch9wavefront6targetE0EEEvS12_,@function
_ZN7rocprim17ROCPRIM_400000_NS6detail17trampoline_kernelINS0_13select_configILj256ELj13ELNS0_17block_load_methodE3ELS4_3ELS4_3ELNS0_20block_scan_algorithmE0ELj4294967295EEENS1_25partition_config_selectorILNS1_17partition_subalgoE4EjNS0_10empty_typeEbEEZZNS1_14partition_implILS8_4ELb0ES6_15HIP_vector_typeIjLj2EENS0_17counting_iteratorIjlEEPS9_SG_NS0_5tupleIJPjSI_NS0_16reverse_iteratorISI_EEEEENSH_IJSG_SG_SG_EEES9_SI_JZNS1_25segmented_radix_sort_implINS0_14default_configELb0EPKaPaPKlPlN2at6native12_GLOBAL__N_18offset_tEEE10hipError_tPvRmT1_PNSt15iterator_traitsIS12_E10value_typeET2_T3_PNS13_IS18_E10value_typeET4_jRbjT5_S1E_jjP12ihipStream_tbEUljE_ZNSN_ISO_Lb0ESQ_SR_ST_SU_SY_EESZ_S10_S11_S12_S16_S17_S18_S1B_S1C_jS1D_jS1E_S1E_jjS1G_bEUljE0_EEESZ_S10_S11_S18_S1C_S1E_T6_T7_T9_mT8_S1G_bDpT10_ENKUlT_T0_E_clISt17integral_constantIbLb0EES1U_EEDaS1P_S1Q_EUlS1P_E_NS1_11comp_targetILNS1_3genE8ELNS1_11target_archE1030ELNS1_3gpuE2ELNS1_3repE0EEENS1_30default_config_static_selectorELNS0_4arch9wavefront6targetE0EEEvS12_: ; @_ZN7rocprim17ROCPRIM_400000_NS6detail17trampoline_kernelINS0_13select_configILj256ELj13ELNS0_17block_load_methodE3ELS4_3ELS4_3ELNS0_20block_scan_algorithmE0ELj4294967295EEENS1_25partition_config_selectorILNS1_17partition_subalgoE4EjNS0_10empty_typeEbEEZZNS1_14partition_implILS8_4ELb0ES6_15HIP_vector_typeIjLj2EENS0_17counting_iteratorIjlEEPS9_SG_NS0_5tupleIJPjSI_NS0_16reverse_iteratorISI_EEEEENSH_IJSG_SG_SG_EEES9_SI_JZNS1_25segmented_radix_sort_implINS0_14default_configELb0EPKaPaPKlPlN2at6native12_GLOBAL__N_18offset_tEEE10hipError_tPvRmT1_PNSt15iterator_traitsIS12_E10value_typeET2_T3_PNS13_IS18_E10value_typeET4_jRbjT5_S1E_jjP12ihipStream_tbEUljE_ZNSN_ISO_Lb0ESQ_SR_ST_SU_SY_EESZ_S10_S11_S12_S16_S17_S18_S1B_S1C_jS1D_jS1E_S1E_jjS1G_bEUljE0_EEESZ_S10_S11_S18_S1C_S1E_T6_T7_T9_mT8_S1G_bDpT10_ENKUlT_T0_E_clISt17integral_constantIbLb0EES1U_EEDaS1P_S1Q_EUlS1P_E_NS1_11comp_targetILNS1_3genE8ELNS1_11target_archE1030ELNS1_3gpuE2ELNS1_3repE0EEENS1_30default_config_static_selectorELNS0_4arch9wavefront6targetE0EEEvS12_
; %bb.0:
	.section	.rodata,"a",@progbits
	.p2align	6, 0x0
	.amdhsa_kernel _ZN7rocprim17ROCPRIM_400000_NS6detail17trampoline_kernelINS0_13select_configILj256ELj13ELNS0_17block_load_methodE3ELS4_3ELS4_3ELNS0_20block_scan_algorithmE0ELj4294967295EEENS1_25partition_config_selectorILNS1_17partition_subalgoE4EjNS0_10empty_typeEbEEZZNS1_14partition_implILS8_4ELb0ES6_15HIP_vector_typeIjLj2EENS0_17counting_iteratorIjlEEPS9_SG_NS0_5tupleIJPjSI_NS0_16reverse_iteratorISI_EEEEENSH_IJSG_SG_SG_EEES9_SI_JZNS1_25segmented_radix_sort_implINS0_14default_configELb0EPKaPaPKlPlN2at6native12_GLOBAL__N_18offset_tEEE10hipError_tPvRmT1_PNSt15iterator_traitsIS12_E10value_typeET2_T3_PNS13_IS18_E10value_typeET4_jRbjT5_S1E_jjP12ihipStream_tbEUljE_ZNSN_ISO_Lb0ESQ_SR_ST_SU_SY_EESZ_S10_S11_S12_S16_S17_S18_S1B_S1C_jS1D_jS1E_S1E_jjS1G_bEUljE0_EEESZ_S10_S11_S18_S1C_S1E_T6_T7_T9_mT8_S1G_bDpT10_ENKUlT_T0_E_clISt17integral_constantIbLb0EES1U_EEDaS1P_S1Q_EUlS1P_E_NS1_11comp_targetILNS1_3genE8ELNS1_11target_archE1030ELNS1_3gpuE2ELNS1_3repE0EEENS1_30default_config_static_selectorELNS0_4arch9wavefront6targetE0EEEvS12_
		.amdhsa_group_segment_fixed_size 0
		.amdhsa_private_segment_fixed_size 0
		.amdhsa_kernarg_size 176
		.amdhsa_user_sgpr_count 2
		.amdhsa_user_sgpr_dispatch_ptr 0
		.amdhsa_user_sgpr_queue_ptr 0
		.amdhsa_user_sgpr_kernarg_segment_ptr 1
		.amdhsa_user_sgpr_dispatch_id 0
		.amdhsa_user_sgpr_kernarg_preload_length 0
		.amdhsa_user_sgpr_kernarg_preload_offset 0
		.amdhsa_user_sgpr_private_segment_size 0
		.amdhsa_wavefront_size32 1
		.amdhsa_uses_dynamic_stack 0
		.amdhsa_enable_private_segment 0
		.amdhsa_system_sgpr_workgroup_id_x 1
		.amdhsa_system_sgpr_workgroup_id_y 0
		.amdhsa_system_sgpr_workgroup_id_z 0
		.amdhsa_system_sgpr_workgroup_info 0
		.amdhsa_system_vgpr_workitem_id 0
		.amdhsa_next_free_vgpr 1
		.amdhsa_next_free_sgpr 1
		.amdhsa_named_barrier_count 0
		.amdhsa_reserve_vcc 0
		.amdhsa_float_round_mode_32 0
		.amdhsa_float_round_mode_16_64 0
		.amdhsa_float_denorm_mode_32 3
		.amdhsa_float_denorm_mode_16_64 3
		.amdhsa_fp16_overflow 0
		.amdhsa_memory_ordered 1
		.amdhsa_forward_progress 1
		.amdhsa_inst_pref_size 0
		.amdhsa_round_robin_scheduling 0
		.amdhsa_exception_fp_ieee_invalid_op 0
		.amdhsa_exception_fp_denorm_src 0
		.amdhsa_exception_fp_ieee_div_zero 0
		.amdhsa_exception_fp_ieee_overflow 0
		.amdhsa_exception_fp_ieee_underflow 0
		.amdhsa_exception_fp_ieee_inexact 0
		.amdhsa_exception_int_div_zero 0
	.end_amdhsa_kernel
	.section	.text._ZN7rocprim17ROCPRIM_400000_NS6detail17trampoline_kernelINS0_13select_configILj256ELj13ELNS0_17block_load_methodE3ELS4_3ELS4_3ELNS0_20block_scan_algorithmE0ELj4294967295EEENS1_25partition_config_selectorILNS1_17partition_subalgoE4EjNS0_10empty_typeEbEEZZNS1_14partition_implILS8_4ELb0ES6_15HIP_vector_typeIjLj2EENS0_17counting_iteratorIjlEEPS9_SG_NS0_5tupleIJPjSI_NS0_16reverse_iteratorISI_EEEEENSH_IJSG_SG_SG_EEES9_SI_JZNS1_25segmented_radix_sort_implINS0_14default_configELb0EPKaPaPKlPlN2at6native12_GLOBAL__N_18offset_tEEE10hipError_tPvRmT1_PNSt15iterator_traitsIS12_E10value_typeET2_T3_PNS13_IS18_E10value_typeET4_jRbjT5_S1E_jjP12ihipStream_tbEUljE_ZNSN_ISO_Lb0ESQ_SR_ST_SU_SY_EESZ_S10_S11_S12_S16_S17_S18_S1B_S1C_jS1D_jS1E_S1E_jjS1G_bEUljE0_EEESZ_S10_S11_S18_S1C_S1E_T6_T7_T9_mT8_S1G_bDpT10_ENKUlT_T0_E_clISt17integral_constantIbLb0EES1U_EEDaS1P_S1Q_EUlS1P_E_NS1_11comp_targetILNS1_3genE8ELNS1_11target_archE1030ELNS1_3gpuE2ELNS1_3repE0EEENS1_30default_config_static_selectorELNS0_4arch9wavefront6targetE0EEEvS12_,"axG",@progbits,_ZN7rocprim17ROCPRIM_400000_NS6detail17trampoline_kernelINS0_13select_configILj256ELj13ELNS0_17block_load_methodE3ELS4_3ELS4_3ELNS0_20block_scan_algorithmE0ELj4294967295EEENS1_25partition_config_selectorILNS1_17partition_subalgoE4EjNS0_10empty_typeEbEEZZNS1_14partition_implILS8_4ELb0ES6_15HIP_vector_typeIjLj2EENS0_17counting_iteratorIjlEEPS9_SG_NS0_5tupleIJPjSI_NS0_16reverse_iteratorISI_EEEEENSH_IJSG_SG_SG_EEES9_SI_JZNS1_25segmented_radix_sort_implINS0_14default_configELb0EPKaPaPKlPlN2at6native12_GLOBAL__N_18offset_tEEE10hipError_tPvRmT1_PNSt15iterator_traitsIS12_E10value_typeET2_T3_PNS13_IS18_E10value_typeET4_jRbjT5_S1E_jjP12ihipStream_tbEUljE_ZNSN_ISO_Lb0ESQ_SR_ST_SU_SY_EESZ_S10_S11_S12_S16_S17_S18_S1B_S1C_jS1D_jS1E_S1E_jjS1G_bEUljE0_EEESZ_S10_S11_S18_S1C_S1E_T6_T7_T9_mT8_S1G_bDpT10_ENKUlT_T0_E_clISt17integral_constantIbLb0EES1U_EEDaS1P_S1Q_EUlS1P_E_NS1_11comp_targetILNS1_3genE8ELNS1_11target_archE1030ELNS1_3gpuE2ELNS1_3repE0EEENS1_30default_config_static_selectorELNS0_4arch9wavefront6targetE0EEEvS12_,comdat
.Lfunc_end333:
	.size	_ZN7rocprim17ROCPRIM_400000_NS6detail17trampoline_kernelINS0_13select_configILj256ELj13ELNS0_17block_load_methodE3ELS4_3ELS4_3ELNS0_20block_scan_algorithmE0ELj4294967295EEENS1_25partition_config_selectorILNS1_17partition_subalgoE4EjNS0_10empty_typeEbEEZZNS1_14partition_implILS8_4ELb0ES6_15HIP_vector_typeIjLj2EENS0_17counting_iteratorIjlEEPS9_SG_NS0_5tupleIJPjSI_NS0_16reverse_iteratorISI_EEEEENSH_IJSG_SG_SG_EEES9_SI_JZNS1_25segmented_radix_sort_implINS0_14default_configELb0EPKaPaPKlPlN2at6native12_GLOBAL__N_18offset_tEEE10hipError_tPvRmT1_PNSt15iterator_traitsIS12_E10value_typeET2_T3_PNS13_IS18_E10value_typeET4_jRbjT5_S1E_jjP12ihipStream_tbEUljE_ZNSN_ISO_Lb0ESQ_SR_ST_SU_SY_EESZ_S10_S11_S12_S16_S17_S18_S1B_S1C_jS1D_jS1E_S1E_jjS1G_bEUljE0_EEESZ_S10_S11_S18_S1C_S1E_T6_T7_T9_mT8_S1G_bDpT10_ENKUlT_T0_E_clISt17integral_constantIbLb0EES1U_EEDaS1P_S1Q_EUlS1P_E_NS1_11comp_targetILNS1_3genE8ELNS1_11target_archE1030ELNS1_3gpuE2ELNS1_3repE0EEENS1_30default_config_static_selectorELNS0_4arch9wavefront6targetE0EEEvS12_, .Lfunc_end333-_ZN7rocprim17ROCPRIM_400000_NS6detail17trampoline_kernelINS0_13select_configILj256ELj13ELNS0_17block_load_methodE3ELS4_3ELS4_3ELNS0_20block_scan_algorithmE0ELj4294967295EEENS1_25partition_config_selectorILNS1_17partition_subalgoE4EjNS0_10empty_typeEbEEZZNS1_14partition_implILS8_4ELb0ES6_15HIP_vector_typeIjLj2EENS0_17counting_iteratorIjlEEPS9_SG_NS0_5tupleIJPjSI_NS0_16reverse_iteratorISI_EEEEENSH_IJSG_SG_SG_EEES9_SI_JZNS1_25segmented_radix_sort_implINS0_14default_configELb0EPKaPaPKlPlN2at6native12_GLOBAL__N_18offset_tEEE10hipError_tPvRmT1_PNSt15iterator_traitsIS12_E10value_typeET2_T3_PNS13_IS18_E10value_typeET4_jRbjT5_S1E_jjP12ihipStream_tbEUljE_ZNSN_ISO_Lb0ESQ_SR_ST_SU_SY_EESZ_S10_S11_S12_S16_S17_S18_S1B_S1C_jS1D_jS1E_S1E_jjS1G_bEUljE0_EEESZ_S10_S11_S18_S1C_S1E_T6_T7_T9_mT8_S1G_bDpT10_ENKUlT_T0_E_clISt17integral_constantIbLb0EES1U_EEDaS1P_S1Q_EUlS1P_E_NS1_11comp_targetILNS1_3genE8ELNS1_11target_archE1030ELNS1_3gpuE2ELNS1_3repE0EEENS1_30default_config_static_selectorELNS0_4arch9wavefront6targetE0EEEvS12_
                                        ; -- End function
	.set _ZN7rocprim17ROCPRIM_400000_NS6detail17trampoline_kernelINS0_13select_configILj256ELj13ELNS0_17block_load_methodE3ELS4_3ELS4_3ELNS0_20block_scan_algorithmE0ELj4294967295EEENS1_25partition_config_selectorILNS1_17partition_subalgoE4EjNS0_10empty_typeEbEEZZNS1_14partition_implILS8_4ELb0ES6_15HIP_vector_typeIjLj2EENS0_17counting_iteratorIjlEEPS9_SG_NS0_5tupleIJPjSI_NS0_16reverse_iteratorISI_EEEEENSH_IJSG_SG_SG_EEES9_SI_JZNS1_25segmented_radix_sort_implINS0_14default_configELb0EPKaPaPKlPlN2at6native12_GLOBAL__N_18offset_tEEE10hipError_tPvRmT1_PNSt15iterator_traitsIS12_E10value_typeET2_T3_PNS13_IS18_E10value_typeET4_jRbjT5_S1E_jjP12ihipStream_tbEUljE_ZNSN_ISO_Lb0ESQ_SR_ST_SU_SY_EESZ_S10_S11_S12_S16_S17_S18_S1B_S1C_jS1D_jS1E_S1E_jjS1G_bEUljE0_EEESZ_S10_S11_S18_S1C_S1E_T6_T7_T9_mT8_S1G_bDpT10_ENKUlT_T0_E_clISt17integral_constantIbLb0EES1U_EEDaS1P_S1Q_EUlS1P_E_NS1_11comp_targetILNS1_3genE8ELNS1_11target_archE1030ELNS1_3gpuE2ELNS1_3repE0EEENS1_30default_config_static_selectorELNS0_4arch9wavefront6targetE0EEEvS12_.num_vgpr, 0
	.set _ZN7rocprim17ROCPRIM_400000_NS6detail17trampoline_kernelINS0_13select_configILj256ELj13ELNS0_17block_load_methodE3ELS4_3ELS4_3ELNS0_20block_scan_algorithmE0ELj4294967295EEENS1_25partition_config_selectorILNS1_17partition_subalgoE4EjNS0_10empty_typeEbEEZZNS1_14partition_implILS8_4ELb0ES6_15HIP_vector_typeIjLj2EENS0_17counting_iteratorIjlEEPS9_SG_NS0_5tupleIJPjSI_NS0_16reverse_iteratorISI_EEEEENSH_IJSG_SG_SG_EEES9_SI_JZNS1_25segmented_radix_sort_implINS0_14default_configELb0EPKaPaPKlPlN2at6native12_GLOBAL__N_18offset_tEEE10hipError_tPvRmT1_PNSt15iterator_traitsIS12_E10value_typeET2_T3_PNS13_IS18_E10value_typeET4_jRbjT5_S1E_jjP12ihipStream_tbEUljE_ZNSN_ISO_Lb0ESQ_SR_ST_SU_SY_EESZ_S10_S11_S12_S16_S17_S18_S1B_S1C_jS1D_jS1E_S1E_jjS1G_bEUljE0_EEESZ_S10_S11_S18_S1C_S1E_T6_T7_T9_mT8_S1G_bDpT10_ENKUlT_T0_E_clISt17integral_constantIbLb0EES1U_EEDaS1P_S1Q_EUlS1P_E_NS1_11comp_targetILNS1_3genE8ELNS1_11target_archE1030ELNS1_3gpuE2ELNS1_3repE0EEENS1_30default_config_static_selectorELNS0_4arch9wavefront6targetE0EEEvS12_.num_agpr, 0
	.set _ZN7rocprim17ROCPRIM_400000_NS6detail17trampoline_kernelINS0_13select_configILj256ELj13ELNS0_17block_load_methodE3ELS4_3ELS4_3ELNS0_20block_scan_algorithmE0ELj4294967295EEENS1_25partition_config_selectorILNS1_17partition_subalgoE4EjNS0_10empty_typeEbEEZZNS1_14partition_implILS8_4ELb0ES6_15HIP_vector_typeIjLj2EENS0_17counting_iteratorIjlEEPS9_SG_NS0_5tupleIJPjSI_NS0_16reverse_iteratorISI_EEEEENSH_IJSG_SG_SG_EEES9_SI_JZNS1_25segmented_radix_sort_implINS0_14default_configELb0EPKaPaPKlPlN2at6native12_GLOBAL__N_18offset_tEEE10hipError_tPvRmT1_PNSt15iterator_traitsIS12_E10value_typeET2_T3_PNS13_IS18_E10value_typeET4_jRbjT5_S1E_jjP12ihipStream_tbEUljE_ZNSN_ISO_Lb0ESQ_SR_ST_SU_SY_EESZ_S10_S11_S12_S16_S17_S18_S1B_S1C_jS1D_jS1E_S1E_jjS1G_bEUljE0_EEESZ_S10_S11_S18_S1C_S1E_T6_T7_T9_mT8_S1G_bDpT10_ENKUlT_T0_E_clISt17integral_constantIbLb0EES1U_EEDaS1P_S1Q_EUlS1P_E_NS1_11comp_targetILNS1_3genE8ELNS1_11target_archE1030ELNS1_3gpuE2ELNS1_3repE0EEENS1_30default_config_static_selectorELNS0_4arch9wavefront6targetE0EEEvS12_.numbered_sgpr, 0
	.set _ZN7rocprim17ROCPRIM_400000_NS6detail17trampoline_kernelINS0_13select_configILj256ELj13ELNS0_17block_load_methodE3ELS4_3ELS4_3ELNS0_20block_scan_algorithmE0ELj4294967295EEENS1_25partition_config_selectorILNS1_17partition_subalgoE4EjNS0_10empty_typeEbEEZZNS1_14partition_implILS8_4ELb0ES6_15HIP_vector_typeIjLj2EENS0_17counting_iteratorIjlEEPS9_SG_NS0_5tupleIJPjSI_NS0_16reverse_iteratorISI_EEEEENSH_IJSG_SG_SG_EEES9_SI_JZNS1_25segmented_radix_sort_implINS0_14default_configELb0EPKaPaPKlPlN2at6native12_GLOBAL__N_18offset_tEEE10hipError_tPvRmT1_PNSt15iterator_traitsIS12_E10value_typeET2_T3_PNS13_IS18_E10value_typeET4_jRbjT5_S1E_jjP12ihipStream_tbEUljE_ZNSN_ISO_Lb0ESQ_SR_ST_SU_SY_EESZ_S10_S11_S12_S16_S17_S18_S1B_S1C_jS1D_jS1E_S1E_jjS1G_bEUljE0_EEESZ_S10_S11_S18_S1C_S1E_T6_T7_T9_mT8_S1G_bDpT10_ENKUlT_T0_E_clISt17integral_constantIbLb0EES1U_EEDaS1P_S1Q_EUlS1P_E_NS1_11comp_targetILNS1_3genE8ELNS1_11target_archE1030ELNS1_3gpuE2ELNS1_3repE0EEENS1_30default_config_static_selectorELNS0_4arch9wavefront6targetE0EEEvS12_.num_named_barrier, 0
	.set _ZN7rocprim17ROCPRIM_400000_NS6detail17trampoline_kernelINS0_13select_configILj256ELj13ELNS0_17block_load_methodE3ELS4_3ELS4_3ELNS0_20block_scan_algorithmE0ELj4294967295EEENS1_25partition_config_selectorILNS1_17partition_subalgoE4EjNS0_10empty_typeEbEEZZNS1_14partition_implILS8_4ELb0ES6_15HIP_vector_typeIjLj2EENS0_17counting_iteratorIjlEEPS9_SG_NS0_5tupleIJPjSI_NS0_16reverse_iteratorISI_EEEEENSH_IJSG_SG_SG_EEES9_SI_JZNS1_25segmented_radix_sort_implINS0_14default_configELb0EPKaPaPKlPlN2at6native12_GLOBAL__N_18offset_tEEE10hipError_tPvRmT1_PNSt15iterator_traitsIS12_E10value_typeET2_T3_PNS13_IS18_E10value_typeET4_jRbjT5_S1E_jjP12ihipStream_tbEUljE_ZNSN_ISO_Lb0ESQ_SR_ST_SU_SY_EESZ_S10_S11_S12_S16_S17_S18_S1B_S1C_jS1D_jS1E_S1E_jjS1G_bEUljE0_EEESZ_S10_S11_S18_S1C_S1E_T6_T7_T9_mT8_S1G_bDpT10_ENKUlT_T0_E_clISt17integral_constantIbLb0EES1U_EEDaS1P_S1Q_EUlS1P_E_NS1_11comp_targetILNS1_3genE8ELNS1_11target_archE1030ELNS1_3gpuE2ELNS1_3repE0EEENS1_30default_config_static_selectorELNS0_4arch9wavefront6targetE0EEEvS12_.private_seg_size, 0
	.set _ZN7rocprim17ROCPRIM_400000_NS6detail17trampoline_kernelINS0_13select_configILj256ELj13ELNS0_17block_load_methodE3ELS4_3ELS4_3ELNS0_20block_scan_algorithmE0ELj4294967295EEENS1_25partition_config_selectorILNS1_17partition_subalgoE4EjNS0_10empty_typeEbEEZZNS1_14partition_implILS8_4ELb0ES6_15HIP_vector_typeIjLj2EENS0_17counting_iteratorIjlEEPS9_SG_NS0_5tupleIJPjSI_NS0_16reverse_iteratorISI_EEEEENSH_IJSG_SG_SG_EEES9_SI_JZNS1_25segmented_radix_sort_implINS0_14default_configELb0EPKaPaPKlPlN2at6native12_GLOBAL__N_18offset_tEEE10hipError_tPvRmT1_PNSt15iterator_traitsIS12_E10value_typeET2_T3_PNS13_IS18_E10value_typeET4_jRbjT5_S1E_jjP12ihipStream_tbEUljE_ZNSN_ISO_Lb0ESQ_SR_ST_SU_SY_EESZ_S10_S11_S12_S16_S17_S18_S1B_S1C_jS1D_jS1E_S1E_jjS1G_bEUljE0_EEESZ_S10_S11_S18_S1C_S1E_T6_T7_T9_mT8_S1G_bDpT10_ENKUlT_T0_E_clISt17integral_constantIbLb0EES1U_EEDaS1P_S1Q_EUlS1P_E_NS1_11comp_targetILNS1_3genE8ELNS1_11target_archE1030ELNS1_3gpuE2ELNS1_3repE0EEENS1_30default_config_static_selectorELNS0_4arch9wavefront6targetE0EEEvS12_.uses_vcc, 0
	.set _ZN7rocprim17ROCPRIM_400000_NS6detail17trampoline_kernelINS0_13select_configILj256ELj13ELNS0_17block_load_methodE3ELS4_3ELS4_3ELNS0_20block_scan_algorithmE0ELj4294967295EEENS1_25partition_config_selectorILNS1_17partition_subalgoE4EjNS0_10empty_typeEbEEZZNS1_14partition_implILS8_4ELb0ES6_15HIP_vector_typeIjLj2EENS0_17counting_iteratorIjlEEPS9_SG_NS0_5tupleIJPjSI_NS0_16reverse_iteratorISI_EEEEENSH_IJSG_SG_SG_EEES9_SI_JZNS1_25segmented_radix_sort_implINS0_14default_configELb0EPKaPaPKlPlN2at6native12_GLOBAL__N_18offset_tEEE10hipError_tPvRmT1_PNSt15iterator_traitsIS12_E10value_typeET2_T3_PNS13_IS18_E10value_typeET4_jRbjT5_S1E_jjP12ihipStream_tbEUljE_ZNSN_ISO_Lb0ESQ_SR_ST_SU_SY_EESZ_S10_S11_S12_S16_S17_S18_S1B_S1C_jS1D_jS1E_S1E_jjS1G_bEUljE0_EEESZ_S10_S11_S18_S1C_S1E_T6_T7_T9_mT8_S1G_bDpT10_ENKUlT_T0_E_clISt17integral_constantIbLb0EES1U_EEDaS1P_S1Q_EUlS1P_E_NS1_11comp_targetILNS1_3genE8ELNS1_11target_archE1030ELNS1_3gpuE2ELNS1_3repE0EEENS1_30default_config_static_selectorELNS0_4arch9wavefront6targetE0EEEvS12_.uses_flat_scratch, 0
	.set _ZN7rocprim17ROCPRIM_400000_NS6detail17trampoline_kernelINS0_13select_configILj256ELj13ELNS0_17block_load_methodE3ELS4_3ELS4_3ELNS0_20block_scan_algorithmE0ELj4294967295EEENS1_25partition_config_selectorILNS1_17partition_subalgoE4EjNS0_10empty_typeEbEEZZNS1_14partition_implILS8_4ELb0ES6_15HIP_vector_typeIjLj2EENS0_17counting_iteratorIjlEEPS9_SG_NS0_5tupleIJPjSI_NS0_16reverse_iteratorISI_EEEEENSH_IJSG_SG_SG_EEES9_SI_JZNS1_25segmented_radix_sort_implINS0_14default_configELb0EPKaPaPKlPlN2at6native12_GLOBAL__N_18offset_tEEE10hipError_tPvRmT1_PNSt15iterator_traitsIS12_E10value_typeET2_T3_PNS13_IS18_E10value_typeET4_jRbjT5_S1E_jjP12ihipStream_tbEUljE_ZNSN_ISO_Lb0ESQ_SR_ST_SU_SY_EESZ_S10_S11_S12_S16_S17_S18_S1B_S1C_jS1D_jS1E_S1E_jjS1G_bEUljE0_EEESZ_S10_S11_S18_S1C_S1E_T6_T7_T9_mT8_S1G_bDpT10_ENKUlT_T0_E_clISt17integral_constantIbLb0EES1U_EEDaS1P_S1Q_EUlS1P_E_NS1_11comp_targetILNS1_3genE8ELNS1_11target_archE1030ELNS1_3gpuE2ELNS1_3repE0EEENS1_30default_config_static_selectorELNS0_4arch9wavefront6targetE0EEEvS12_.has_dyn_sized_stack, 0
	.set _ZN7rocprim17ROCPRIM_400000_NS6detail17trampoline_kernelINS0_13select_configILj256ELj13ELNS0_17block_load_methodE3ELS4_3ELS4_3ELNS0_20block_scan_algorithmE0ELj4294967295EEENS1_25partition_config_selectorILNS1_17partition_subalgoE4EjNS0_10empty_typeEbEEZZNS1_14partition_implILS8_4ELb0ES6_15HIP_vector_typeIjLj2EENS0_17counting_iteratorIjlEEPS9_SG_NS0_5tupleIJPjSI_NS0_16reverse_iteratorISI_EEEEENSH_IJSG_SG_SG_EEES9_SI_JZNS1_25segmented_radix_sort_implINS0_14default_configELb0EPKaPaPKlPlN2at6native12_GLOBAL__N_18offset_tEEE10hipError_tPvRmT1_PNSt15iterator_traitsIS12_E10value_typeET2_T3_PNS13_IS18_E10value_typeET4_jRbjT5_S1E_jjP12ihipStream_tbEUljE_ZNSN_ISO_Lb0ESQ_SR_ST_SU_SY_EESZ_S10_S11_S12_S16_S17_S18_S1B_S1C_jS1D_jS1E_S1E_jjS1G_bEUljE0_EEESZ_S10_S11_S18_S1C_S1E_T6_T7_T9_mT8_S1G_bDpT10_ENKUlT_T0_E_clISt17integral_constantIbLb0EES1U_EEDaS1P_S1Q_EUlS1P_E_NS1_11comp_targetILNS1_3genE8ELNS1_11target_archE1030ELNS1_3gpuE2ELNS1_3repE0EEENS1_30default_config_static_selectorELNS0_4arch9wavefront6targetE0EEEvS12_.has_recursion, 0
	.set _ZN7rocprim17ROCPRIM_400000_NS6detail17trampoline_kernelINS0_13select_configILj256ELj13ELNS0_17block_load_methodE3ELS4_3ELS4_3ELNS0_20block_scan_algorithmE0ELj4294967295EEENS1_25partition_config_selectorILNS1_17partition_subalgoE4EjNS0_10empty_typeEbEEZZNS1_14partition_implILS8_4ELb0ES6_15HIP_vector_typeIjLj2EENS0_17counting_iteratorIjlEEPS9_SG_NS0_5tupleIJPjSI_NS0_16reverse_iteratorISI_EEEEENSH_IJSG_SG_SG_EEES9_SI_JZNS1_25segmented_radix_sort_implINS0_14default_configELb0EPKaPaPKlPlN2at6native12_GLOBAL__N_18offset_tEEE10hipError_tPvRmT1_PNSt15iterator_traitsIS12_E10value_typeET2_T3_PNS13_IS18_E10value_typeET4_jRbjT5_S1E_jjP12ihipStream_tbEUljE_ZNSN_ISO_Lb0ESQ_SR_ST_SU_SY_EESZ_S10_S11_S12_S16_S17_S18_S1B_S1C_jS1D_jS1E_S1E_jjS1G_bEUljE0_EEESZ_S10_S11_S18_S1C_S1E_T6_T7_T9_mT8_S1G_bDpT10_ENKUlT_T0_E_clISt17integral_constantIbLb0EES1U_EEDaS1P_S1Q_EUlS1P_E_NS1_11comp_targetILNS1_3genE8ELNS1_11target_archE1030ELNS1_3gpuE2ELNS1_3repE0EEENS1_30default_config_static_selectorELNS0_4arch9wavefront6targetE0EEEvS12_.has_indirect_call, 0
	.section	.AMDGPU.csdata,"",@progbits
; Kernel info:
; codeLenInByte = 0
; TotalNumSgprs: 0
; NumVgprs: 0
; ScratchSize: 0
; MemoryBound: 0
; FloatMode: 240
; IeeeMode: 1
; LDSByteSize: 0 bytes/workgroup (compile time only)
; SGPRBlocks: 0
; VGPRBlocks: 0
; NumSGPRsForWavesPerEU: 1
; NumVGPRsForWavesPerEU: 1
; NamedBarCnt: 0
; Occupancy: 16
; WaveLimiterHint : 0
; COMPUTE_PGM_RSRC2:SCRATCH_EN: 0
; COMPUTE_PGM_RSRC2:USER_SGPR: 2
; COMPUTE_PGM_RSRC2:TRAP_HANDLER: 0
; COMPUTE_PGM_RSRC2:TGID_X_EN: 1
; COMPUTE_PGM_RSRC2:TGID_Y_EN: 0
; COMPUTE_PGM_RSRC2:TGID_Z_EN: 0
; COMPUTE_PGM_RSRC2:TIDIG_COMP_CNT: 0
	.section	.text._ZN7rocprim17ROCPRIM_400000_NS6detail17trampoline_kernelINS0_13select_configILj256ELj13ELNS0_17block_load_methodE3ELS4_3ELS4_3ELNS0_20block_scan_algorithmE0ELj4294967295EEENS1_25partition_config_selectorILNS1_17partition_subalgoE4EjNS0_10empty_typeEbEEZZNS1_14partition_implILS8_4ELb0ES6_15HIP_vector_typeIjLj2EENS0_17counting_iteratorIjlEEPS9_SG_NS0_5tupleIJPjSI_NS0_16reverse_iteratorISI_EEEEENSH_IJSG_SG_SG_EEES9_SI_JZNS1_25segmented_radix_sort_implINS0_14default_configELb0EPKaPaPKlPlN2at6native12_GLOBAL__N_18offset_tEEE10hipError_tPvRmT1_PNSt15iterator_traitsIS12_E10value_typeET2_T3_PNS13_IS18_E10value_typeET4_jRbjT5_S1E_jjP12ihipStream_tbEUljE_ZNSN_ISO_Lb0ESQ_SR_ST_SU_SY_EESZ_S10_S11_S12_S16_S17_S18_S1B_S1C_jS1D_jS1E_S1E_jjS1G_bEUljE0_EEESZ_S10_S11_S18_S1C_S1E_T6_T7_T9_mT8_S1G_bDpT10_ENKUlT_T0_E_clISt17integral_constantIbLb1EES1U_EEDaS1P_S1Q_EUlS1P_E_NS1_11comp_targetILNS1_3genE0ELNS1_11target_archE4294967295ELNS1_3gpuE0ELNS1_3repE0EEENS1_30default_config_static_selectorELNS0_4arch9wavefront6targetE0EEEvS12_,"axG",@progbits,_ZN7rocprim17ROCPRIM_400000_NS6detail17trampoline_kernelINS0_13select_configILj256ELj13ELNS0_17block_load_methodE3ELS4_3ELS4_3ELNS0_20block_scan_algorithmE0ELj4294967295EEENS1_25partition_config_selectorILNS1_17partition_subalgoE4EjNS0_10empty_typeEbEEZZNS1_14partition_implILS8_4ELb0ES6_15HIP_vector_typeIjLj2EENS0_17counting_iteratorIjlEEPS9_SG_NS0_5tupleIJPjSI_NS0_16reverse_iteratorISI_EEEEENSH_IJSG_SG_SG_EEES9_SI_JZNS1_25segmented_radix_sort_implINS0_14default_configELb0EPKaPaPKlPlN2at6native12_GLOBAL__N_18offset_tEEE10hipError_tPvRmT1_PNSt15iterator_traitsIS12_E10value_typeET2_T3_PNS13_IS18_E10value_typeET4_jRbjT5_S1E_jjP12ihipStream_tbEUljE_ZNSN_ISO_Lb0ESQ_SR_ST_SU_SY_EESZ_S10_S11_S12_S16_S17_S18_S1B_S1C_jS1D_jS1E_S1E_jjS1G_bEUljE0_EEESZ_S10_S11_S18_S1C_S1E_T6_T7_T9_mT8_S1G_bDpT10_ENKUlT_T0_E_clISt17integral_constantIbLb1EES1U_EEDaS1P_S1Q_EUlS1P_E_NS1_11comp_targetILNS1_3genE0ELNS1_11target_archE4294967295ELNS1_3gpuE0ELNS1_3repE0EEENS1_30default_config_static_selectorELNS0_4arch9wavefront6targetE0EEEvS12_,comdat
	.globl	_ZN7rocprim17ROCPRIM_400000_NS6detail17trampoline_kernelINS0_13select_configILj256ELj13ELNS0_17block_load_methodE3ELS4_3ELS4_3ELNS0_20block_scan_algorithmE0ELj4294967295EEENS1_25partition_config_selectorILNS1_17partition_subalgoE4EjNS0_10empty_typeEbEEZZNS1_14partition_implILS8_4ELb0ES6_15HIP_vector_typeIjLj2EENS0_17counting_iteratorIjlEEPS9_SG_NS0_5tupleIJPjSI_NS0_16reverse_iteratorISI_EEEEENSH_IJSG_SG_SG_EEES9_SI_JZNS1_25segmented_radix_sort_implINS0_14default_configELb0EPKaPaPKlPlN2at6native12_GLOBAL__N_18offset_tEEE10hipError_tPvRmT1_PNSt15iterator_traitsIS12_E10value_typeET2_T3_PNS13_IS18_E10value_typeET4_jRbjT5_S1E_jjP12ihipStream_tbEUljE_ZNSN_ISO_Lb0ESQ_SR_ST_SU_SY_EESZ_S10_S11_S12_S16_S17_S18_S1B_S1C_jS1D_jS1E_S1E_jjS1G_bEUljE0_EEESZ_S10_S11_S18_S1C_S1E_T6_T7_T9_mT8_S1G_bDpT10_ENKUlT_T0_E_clISt17integral_constantIbLb1EES1U_EEDaS1P_S1Q_EUlS1P_E_NS1_11comp_targetILNS1_3genE0ELNS1_11target_archE4294967295ELNS1_3gpuE0ELNS1_3repE0EEENS1_30default_config_static_selectorELNS0_4arch9wavefront6targetE0EEEvS12_ ; -- Begin function _ZN7rocprim17ROCPRIM_400000_NS6detail17trampoline_kernelINS0_13select_configILj256ELj13ELNS0_17block_load_methodE3ELS4_3ELS4_3ELNS0_20block_scan_algorithmE0ELj4294967295EEENS1_25partition_config_selectorILNS1_17partition_subalgoE4EjNS0_10empty_typeEbEEZZNS1_14partition_implILS8_4ELb0ES6_15HIP_vector_typeIjLj2EENS0_17counting_iteratorIjlEEPS9_SG_NS0_5tupleIJPjSI_NS0_16reverse_iteratorISI_EEEEENSH_IJSG_SG_SG_EEES9_SI_JZNS1_25segmented_radix_sort_implINS0_14default_configELb0EPKaPaPKlPlN2at6native12_GLOBAL__N_18offset_tEEE10hipError_tPvRmT1_PNSt15iterator_traitsIS12_E10value_typeET2_T3_PNS13_IS18_E10value_typeET4_jRbjT5_S1E_jjP12ihipStream_tbEUljE_ZNSN_ISO_Lb0ESQ_SR_ST_SU_SY_EESZ_S10_S11_S12_S16_S17_S18_S1B_S1C_jS1D_jS1E_S1E_jjS1G_bEUljE0_EEESZ_S10_S11_S18_S1C_S1E_T6_T7_T9_mT8_S1G_bDpT10_ENKUlT_T0_E_clISt17integral_constantIbLb1EES1U_EEDaS1P_S1Q_EUlS1P_E_NS1_11comp_targetILNS1_3genE0ELNS1_11target_archE4294967295ELNS1_3gpuE0ELNS1_3repE0EEENS1_30default_config_static_selectorELNS0_4arch9wavefront6targetE0EEEvS12_
	.p2align	8
	.type	_ZN7rocprim17ROCPRIM_400000_NS6detail17trampoline_kernelINS0_13select_configILj256ELj13ELNS0_17block_load_methodE3ELS4_3ELS4_3ELNS0_20block_scan_algorithmE0ELj4294967295EEENS1_25partition_config_selectorILNS1_17partition_subalgoE4EjNS0_10empty_typeEbEEZZNS1_14partition_implILS8_4ELb0ES6_15HIP_vector_typeIjLj2EENS0_17counting_iteratorIjlEEPS9_SG_NS0_5tupleIJPjSI_NS0_16reverse_iteratorISI_EEEEENSH_IJSG_SG_SG_EEES9_SI_JZNS1_25segmented_radix_sort_implINS0_14default_configELb0EPKaPaPKlPlN2at6native12_GLOBAL__N_18offset_tEEE10hipError_tPvRmT1_PNSt15iterator_traitsIS12_E10value_typeET2_T3_PNS13_IS18_E10value_typeET4_jRbjT5_S1E_jjP12ihipStream_tbEUljE_ZNSN_ISO_Lb0ESQ_SR_ST_SU_SY_EESZ_S10_S11_S12_S16_S17_S18_S1B_S1C_jS1D_jS1E_S1E_jjS1G_bEUljE0_EEESZ_S10_S11_S18_S1C_S1E_T6_T7_T9_mT8_S1G_bDpT10_ENKUlT_T0_E_clISt17integral_constantIbLb1EES1U_EEDaS1P_S1Q_EUlS1P_E_NS1_11comp_targetILNS1_3genE0ELNS1_11target_archE4294967295ELNS1_3gpuE0ELNS1_3repE0EEENS1_30default_config_static_selectorELNS0_4arch9wavefront6targetE0EEEvS12_,@function
_ZN7rocprim17ROCPRIM_400000_NS6detail17trampoline_kernelINS0_13select_configILj256ELj13ELNS0_17block_load_methodE3ELS4_3ELS4_3ELNS0_20block_scan_algorithmE0ELj4294967295EEENS1_25partition_config_selectorILNS1_17partition_subalgoE4EjNS0_10empty_typeEbEEZZNS1_14partition_implILS8_4ELb0ES6_15HIP_vector_typeIjLj2EENS0_17counting_iteratorIjlEEPS9_SG_NS0_5tupleIJPjSI_NS0_16reverse_iteratorISI_EEEEENSH_IJSG_SG_SG_EEES9_SI_JZNS1_25segmented_radix_sort_implINS0_14default_configELb0EPKaPaPKlPlN2at6native12_GLOBAL__N_18offset_tEEE10hipError_tPvRmT1_PNSt15iterator_traitsIS12_E10value_typeET2_T3_PNS13_IS18_E10value_typeET4_jRbjT5_S1E_jjP12ihipStream_tbEUljE_ZNSN_ISO_Lb0ESQ_SR_ST_SU_SY_EESZ_S10_S11_S12_S16_S17_S18_S1B_S1C_jS1D_jS1E_S1E_jjS1G_bEUljE0_EEESZ_S10_S11_S18_S1C_S1E_T6_T7_T9_mT8_S1G_bDpT10_ENKUlT_T0_E_clISt17integral_constantIbLb1EES1U_EEDaS1P_S1Q_EUlS1P_E_NS1_11comp_targetILNS1_3genE0ELNS1_11target_archE4294967295ELNS1_3gpuE0ELNS1_3repE0EEENS1_30default_config_static_selectorELNS0_4arch9wavefront6targetE0EEEvS12_: ; @_ZN7rocprim17ROCPRIM_400000_NS6detail17trampoline_kernelINS0_13select_configILj256ELj13ELNS0_17block_load_methodE3ELS4_3ELS4_3ELNS0_20block_scan_algorithmE0ELj4294967295EEENS1_25partition_config_selectorILNS1_17partition_subalgoE4EjNS0_10empty_typeEbEEZZNS1_14partition_implILS8_4ELb0ES6_15HIP_vector_typeIjLj2EENS0_17counting_iteratorIjlEEPS9_SG_NS0_5tupleIJPjSI_NS0_16reverse_iteratorISI_EEEEENSH_IJSG_SG_SG_EEES9_SI_JZNS1_25segmented_radix_sort_implINS0_14default_configELb0EPKaPaPKlPlN2at6native12_GLOBAL__N_18offset_tEEE10hipError_tPvRmT1_PNSt15iterator_traitsIS12_E10value_typeET2_T3_PNS13_IS18_E10value_typeET4_jRbjT5_S1E_jjP12ihipStream_tbEUljE_ZNSN_ISO_Lb0ESQ_SR_ST_SU_SY_EESZ_S10_S11_S12_S16_S17_S18_S1B_S1C_jS1D_jS1E_S1E_jjS1G_bEUljE0_EEESZ_S10_S11_S18_S1C_S1E_T6_T7_T9_mT8_S1G_bDpT10_ENKUlT_T0_E_clISt17integral_constantIbLb1EES1U_EEDaS1P_S1Q_EUlS1P_E_NS1_11comp_targetILNS1_3genE0ELNS1_11target_archE4294967295ELNS1_3gpuE0ELNS1_3repE0EEENS1_30default_config_static_selectorELNS0_4arch9wavefront6targetE0EEEvS12_
; %bb.0:
	s_endpgm
	.section	.rodata,"a",@progbits
	.p2align	6, 0x0
	.amdhsa_kernel _ZN7rocprim17ROCPRIM_400000_NS6detail17trampoline_kernelINS0_13select_configILj256ELj13ELNS0_17block_load_methodE3ELS4_3ELS4_3ELNS0_20block_scan_algorithmE0ELj4294967295EEENS1_25partition_config_selectorILNS1_17partition_subalgoE4EjNS0_10empty_typeEbEEZZNS1_14partition_implILS8_4ELb0ES6_15HIP_vector_typeIjLj2EENS0_17counting_iteratorIjlEEPS9_SG_NS0_5tupleIJPjSI_NS0_16reverse_iteratorISI_EEEEENSH_IJSG_SG_SG_EEES9_SI_JZNS1_25segmented_radix_sort_implINS0_14default_configELb0EPKaPaPKlPlN2at6native12_GLOBAL__N_18offset_tEEE10hipError_tPvRmT1_PNSt15iterator_traitsIS12_E10value_typeET2_T3_PNS13_IS18_E10value_typeET4_jRbjT5_S1E_jjP12ihipStream_tbEUljE_ZNSN_ISO_Lb0ESQ_SR_ST_SU_SY_EESZ_S10_S11_S12_S16_S17_S18_S1B_S1C_jS1D_jS1E_S1E_jjS1G_bEUljE0_EEESZ_S10_S11_S18_S1C_S1E_T6_T7_T9_mT8_S1G_bDpT10_ENKUlT_T0_E_clISt17integral_constantIbLb1EES1U_EEDaS1P_S1Q_EUlS1P_E_NS1_11comp_targetILNS1_3genE0ELNS1_11target_archE4294967295ELNS1_3gpuE0ELNS1_3repE0EEENS1_30default_config_static_selectorELNS0_4arch9wavefront6targetE0EEEvS12_
		.amdhsa_group_segment_fixed_size 0
		.amdhsa_private_segment_fixed_size 0
		.amdhsa_kernarg_size 184
		.amdhsa_user_sgpr_count 2
		.amdhsa_user_sgpr_dispatch_ptr 0
		.amdhsa_user_sgpr_queue_ptr 0
		.amdhsa_user_sgpr_kernarg_segment_ptr 1
		.amdhsa_user_sgpr_dispatch_id 0
		.amdhsa_user_sgpr_kernarg_preload_length 0
		.amdhsa_user_sgpr_kernarg_preload_offset 0
		.amdhsa_user_sgpr_private_segment_size 0
		.amdhsa_wavefront_size32 1
		.amdhsa_uses_dynamic_stack 0
		.amdhsa_enable_private_segment 0
		.amdhsa_system_sgpr_workgroup_id_x 1
		.amdhsa_system_sgpr_workgroup_id_y 0
		.amdhsa_system_sgpr_workgroup_id_z 0
		.amdhsa_system_sgpr_workgroup_info 0
		.amdhsa_system_vgpr_workitem_id 0
		.amdhsa_next_free_vgpr 1
		.amdhsa_next_free_sgpr 1
		.amdhsa_named_barrier_count 0
		.amdhsa_reserve_vcc 0
		.amdhsa_float_round_mode_32 0
		.amdhsa_float_round_mode_16_64 0
		.amdhsa_float_denorm_mode_32 3
		.amdhsa_float_denorm_mode_16_64 3
		.amdhsa_fp16_overflow 0
		.amdhsa_memory_ordered 1
		.amdhsa_forward_progress 1
		.amdhsa_inst_pref_size 1
		.amdhsa_round_robin_scheduling 0
		.amdhsa_exception_fp_ieee_invalid_op 0
		.amdhsa_exception_fp_denorm_src 0
		.amdhsa_exception_fp_ieee_div_zero 0
		.amdhsa_exception_fp_ieee_overflow 0
		.amdhsa_exception_fp_ieee_underflow 0
		.amdhsa_exception_fp_ieee_inexact 0
		.amdhsa_exception_int_div_zero 0
	.end_amdhsa_kernel
	.section	.text._ZN7rocprim17ROCPRIM_400000_NS6detail17trampoline_kernelINS0_13select_configILj256ELj13ELNS0_17block_load_methodE3ELS4_3ELS4_3ELNS0_20block_scan_algorithmE0ELj4294967295EEENS1_25partition_config_selectorILNS1_17partition_subalgoE4EjNS0_10empty_typeEbEEZZNS1_14partition_implILS8_4ELb0ES6_15HIP_vector_typeIjLj2EENS0_17counting_iteratorIjlEEPS9_SG_NS0_5tupleIJPjSI_NS0_16reverse_iteratorISI_EEEEENSH_IJSG_SG_SG_EEES9_SI_JZNS1_25segmented_radix_sort_implINS0_14default_configELb0EPKaPaPKlPlN2at6native12_GLOBAL__N_18offset_tEEE10hipError_tPvRmT1_PNSt15iterator_traitsIS12_E10value_typeET2_T3_PNS13_IS18_E10value_typeET4_jRbjT5_S1E_jjP12ihipStream_tbEUljE_ZNSN_ISO_Lb0ESQ_SR_ST_SU_SY_EESZ_S10_S11_S12_S16_S17_S18_S1B_S1C_jS1D_jS1E_S1E_jjS1G_bEUljE0_EEESZ_S10_S11_S18_S1C_S1E_T6_T7_T9_mT8_S1G_bDpT10_ENKUlT_T0_E_clISt17integral_constantIbLb1EES1U_EEDaS1P_S1Q_EUlS1P_E_NS1_11comp_targetILNS1_3genE0ELNS1_11target_archE4294967295ELNS1_3gpuE0ELNS1_3repE0EEENS1_30default_config_static_selectorELNS0_4arch9wavefront6targetE0EEEvS12_,"axG",@progbits,_ZN7rocprim17ROCPRIM_400000_NS6detail17trampoline_kernelINS0_13select_configILj256ELj13ELNS0_17block_load_methodE3ELS4_3ELS4_3ELNS0_20block_scan_algorithmE0ELj4294967295EEENS1_25partition_config_selectorILNS1_17partition_subalgoE4EjNS0_10empty_typeEbEEZZNS1_14partition_implILS8_4ELb0ES6_15HIP_vector_typeIjLj2EENS0_17counting_iteratorIjlEEPS9_SG_NS0_5tupleIJPjSI_NS0_16reverse_iteratorISI_EEEEENSH_IJSG_SG_SG_EEES9_SI_JZNS1_25segmented_radix_sort_implINS0_14default_configELb0EPKaPaPKlPlN2at6native12_GLOBAL__N_18offset_tEEE10hipError_tPvRmT1_PNSt15iterator_traitsIS12_E10value_typeET2_T3_PNS13_IS18_E10value_typeET4_jRbjT5_S1E_jjP12ihipStream_tbEUljE_ZNSN_ISO_Lb0ESQ_SR_ST_SU_SY_EESZ_S10_S11_S12_S16_S17_S18_S1B_S1C_jS1D_jS1E_S1E_jjS1G_bEUljE0_EEESZ_S10_S11_S18_S1C_S1E_T6_T7_T9_mT8_S1G_bDpT10_ENKUlT_T0_E_clISt17integral_constantIbLb1EES1U_EEDaS1P_S1Q_EUlS1P_E_NS1_11comp_targetILNS1_3genE0ELNS1_11target_archE4294967295ELNS1_3gpuE0ELNS1_3repE0EEENS1_30default_config_static_selectorELNS0_4arch9wavefront6targetE0EEEvS12_,comdat
.Lfunc_end334:
	.size	_ZN7rocprim17ROCPRIM_400000_NS6detail17trampoline_kernelINS0_13select_configILj256ELj13ELNS0_17block_load_methodE3ELS4_3ELS4_3ELNS0_20block_scan_algorithmE0ELj4294967295EEENS1_25partition_config_selectorILNS1_17partition_subalgoE4EjNS0_10empty_typeEbEEZZNS1_14partition_implILS8_4ELb0ES6_15HIP_vector_typeIjLj2EENS0_17counting_iteratorIjlEEPS9_SG_NS0_5tupleIJPjSI_NS0_16reverse_iteratorISI_EEEEENSH_IJSG_SG_SG_EEES9_SI_JZNS1_25segmented_radix_sort_implINS0_14default_configELb0EPKaPaPKlPlN2at6native12_GLOBAL__N_18offset_tEEE10hipError_tPvRmT1_PNSt15iterator_traitsIS12_E10value_typeET2_T3_PNS13_IS18_E10value_typeET4_jRbjT5_S1E_jjP12ihipStream_tbEUljE_ZNSN_ISO_Lb0ESQ_SR_ST_SU_SY_EESZ_S10_S11_S12_S16_S17_S18_S1B_S1C_jS1D_jS1E_S1E_jjS1G_bEUljE0_EEESZ_S10_S11_S18_S1C_S1E_T6_T7_T9_mT8_S1G_bDpT10_ENKUlT_T0_E_clISt17integral_constantIbLb1EES1U_EEDaS1P_S1Q_EUlS1P_E_NS1_11comp_targetILNS1_3genE0ELNS1_11target_archE4294967295ELNS1_3gpuE0ELNS1_3repE0EEENS1_30default_config_static_selectorELNS0_4arch9wavefront6targetE0EEEvS12_, .Lfunc_end334-_ZN7rocprim17ROCPRIM_400000_NS6detail17trampoline_kernelINS0_13select_configILj256ELj13ELNS0_17block_load_methodE3ELS4_3ELS4_3ELNS0_20block_scan_algorithmE0ELj4294967295EEENS1_25partition_config_selectorILNS1_17partition_subalgoE4EjNS0_10empty_typeEbEEZZNS1_14partition_implILS8_4ELb0ES6_15HIP_vector_typeIjLj2EENS0_17counting_iteratorIjlEEPS9_SG_NS0_5tupleIJPjSI_NS0_16reverse_iteratorISI_EEEEENSH_IJSG_SG_SG_EEES9_SI_JZNS1_25segmented_radix_sort_implINS0_14default_configELb0EPKaPaPKlPlN2at6native12_GLOBAL__N_18offset_tEEE10hipError_tPvRmT1_PNSt15iterator_traitsIS12_E10value_typeET2_T3_PNS13_IS18_E10value_typeET4_jRbjT5_S1E_jjP12ihipStream_tbEUljE_ZNSN_ISO_Lb0ESQ_SR_ST_SU_SY_EESZ_S10_S11_S12_S16_S17_S18_S1B_S1C_jS1D_jS1E_S1E_jjS1G_bEUljE0_EEESZ_S10_S11_S18_S1C_S1E_T6_T7_T9_mT8_S1G_bDpT10_ENKUlT_T0_E_clISt17integral_constantIbLb1EES1U_EEDaS1P_S1Q_EUlS1P_E_NS1_11comp_targetILNS1_3genE0ELNS1_11target_archE4294967295ELNS1_3gpuE0ELNS1_3repE0EEENS1_30default_config_static_selectorELNS0_4arch9wavefront6targetE0EEEvS12_
                                        ; -- End function
	.set _ZN7rocprim17ROCPRIM_400000_NS6detail17trampoline_kernelINS0_13select_configILj256ELj13ELNS0_17block_load_methodE3ELS4_3ELS4_3ELNS0_20block_scan_algorithmE0ELj4294967295EEENS1_25partition_config_selectorILNS1_17partition_subalgoE4EjNS0_10empty_typeEbEEZZNS1_14partition_implILS8_4ELb0ES6_15HIP_vector_typeIjLj2EENS0_17counting_iteratorIjlEEPS9_SG_NS0_5tupleIJPjSI_NS0_16reverse_iteratorISI_EEEEENSH_IJSG_SG_SG_EEES9_SI_JZNS1_25segmented_radix_sort_implINS0_14default_configELb0EPKaPaPKlPlN2at6native12_GLOBAL__N_18offset_tEEE10hipError_tPvRmT1_PNSt15iterator_traitsIS12_E10value_typeET2_T3_PNS13_IS18_E10value_typeET4_jRbjT5_S1E_jjP12ihipStream_tbEUljE_ZNSN_ISO_Lb0ESQ_SR_ST_SU_SY_EESZ_S10_S11_S12_S16_S17_S18_S1B_S1C_jS1D_jS1E_S1E_jjS1G_bEUljE0_EEESZ_S10_S11_S18_S1C_S1E_T6_T7_T9_mT8_S1G_bDpT10_ENKUlT_T0_E_clISt17integral_constantIbLb1EES1U_EEDaS1P_S1Q_EUlS1P_E_NS1_11comp_targetILNS1_3genE0ELNS1_11target_archE4294967295ELNS1_3gpuE0ELNS1_3repE0EEENS1_30default_config_static_selectorELNS0_4arch9wavefront6targetE0EEEvS12_.num_vgpr, 0
	.set _ZN7rocprim17ROCPRIM_400000_NS6detail17trampoline_kernelINS0_13select_configILj256ELj13ELNS0_17block_load_methodE3ELS4_3ELS4_3ELNS0_20block_scan_algorithmE0ELj4294967295EEENS1_25partition_config_selectorILNS1_17partition_subalgoE4EjNS0_10empty_typeEbEEZZNS1_14partition_implILS8_4ELb0ES6_15HIP_vector_typeIjLj2EENS0_17counting_iteratorIjlEEPS9_SG_NS0_5tupleIJPjSI_NS0_16reverse_iteratorISI_EEEEENSH_IJSG_SG_SG_EEES9_SI_JZNS1_25segmented_radix_sort_implINS0_14default_configELb0EPKaPaPKlPlN2at6native12_GLOBAL__N_18offset_tEEE10hipError_tPvRmT1_PNSt15iterator_traitsIS12_E10value_typeET2_T3_PNS13_IS18_E10value_typeET4_jRbjT5_S1E_jjP12ihipStream_tbEUljE_ZNSN_ISO_Lb0ESQ_SR_ST_SU_SY_EESZ_S10_S11_S12_S16_S17_S18_S1B_S1C_jS1D_jS1E_S1E_jjS1G_bEUljE0_EEESZ_S10_S11_S18_S1C_S1E_T6_T7_T9_mT8_S1G_bDpT10_ENKUlT_T0_E_clISt17integral_constantIbLb1EES1U_EEDaS1P_S1Q_EUlS1P_E_NS1_11comp_targetILNS1_3genE0ELNS1_11target_archE4294967295ELNS1_3gpuE0ELNS1_3repE0EEENS1_30default_config_static_selectorELNS0_4arch9wavefront6targetE0EEEvS12_.num_agpr, 0
	.set _ZN7rocprim17ROCPRIM_400000_NS6detail17trampoline_kernelINS0_13select_configILj256ELj13ELNS0_17block_load_methodE3ELS4_3ELS4_3ELNS0_20block_scan_algorithmE0ELj4294967295EEENS1_25partition_config_selectorILNS1_17partition_subalgoE4EjNS0_10empty_typeEbEEZZNS1_14partition_implILS8_4ELb0ES6_15HIP_vector_typeIjLj2EENS0_17counting_iteratorIjlEEPS9_SG_NS0_5tupleIJPjSI_NS0_16reverse_iteratorISI_EEEEENSH_IJSG_SG_SG_EEES9_SI_JZNS1_25segmented_radix_sort_implINS0_14default_configELb0EPKaPaPKlPlN2at6native12_GLOBAL__N_18offset_tEEE10hipError_tPvRmT1_PNSt15iterator_traitsIS12_E10value_typeET2_T3_PNS13_IS18_E10value_typeET4_jRbjT5_S1E_jjP12ihipStream_tbEUljE_ZNSN_ISO_Lb0ESQ_SR_ST_SU_SY_EESZ_S10_S11_S12_S16_S17_S18_S1B_S1C_jS1D_jS1E_S1E_jjS1G_bEUljE0_EEESZ_S10_S11_S18_S1C_S1E_T6_T7_T9_mT8_S1G_bDpT10_ENKUlT_T0_E_clISt17integral_constantIbLb1EES1U_EEDaS1P_S1Q_EUlS1P_E_NS1_11comp_targetILNS1_3genE0ELNS1_11target_archE4294967295ELNS1_3gpuE0ELNS1_3repE0EEENS1_30default_config_static_selectorELNS0_4arch9wavefront6targetE0EEEvS12_.numbered_sgpr, 0
	.set _ZN7rocprim17ROCPRIM_400000_NS6detail17trampoline_kernelINS0_13select_configILj256ELj13ELNS0_17block_load_methodE3ELS4_3ELS4_3ELNS0_20block_scan_algorithmE0ELj4294967295EEENS1_25partition_config_selectorILNS1_17partition_subalgoE4EjNS0_10empty_typeEbEEZZNS1_14partition_implILS8_4ELb0ES6_15HIP_vector_typeIjLj2EENS0_17counting_iteratorIjlEEPS9_SG_NS0_5tupleIJPjSI_NS0_16reverse_iteratorISI_EEEEENSH_IJSG_SG_SG_EEES9_SI_JZNS1_25segmented_radix_sort_implINS0_14default_configELb0EPKaPaPKlPlN2at6native12_GLOBAL__N_18offset_tEEE10hipError_tPvRmT1_PNSt15iterator_traitsIS12_E10value_typeET2_T3_PNS13_IS18_E10value_typeET4_jRbjT5_S1E_jjP12ihipStream_tbEUljE_ZNSN_ISO_Lb0ESQ_SR_ST_SU_SY_EESZ_S10_S11_S12_S16_S17_S18_S1B_S1C_jS1D_jS1E_S1E_jjS1G_bEUljE0_EEESZ_S10_S11_S18_S1C_S1E_T6_T7_T9_mT8_S1G_bDpT10_ENKUlT_T0_E_clISt17integral_constantIbLb1EES1U_EEDaS1P_S1Q_EUlS1P_E_NS1_11comp_targetILNS1_3genE0ELNS1_11target_archE4294967295ELNS1_3gpuE0ELNS1_3repE0EEENS1_30default_config_static_selectorELNS0_4arch9wavefront6targetE0EEEvS12_.num_named_barrier, 0
	.set _ZN7rocprim17ROCPRIM_400000_NS6detail17trampoline_kernelINS0_13select_configILj256ELj13ELNS0_17block_load_methodE3ELS4_3ELS4_3ELNS0_20block_scan_algorithmE0ELj4294967295EEENS1_25partition_config_selectorILNS1_17partition_subalgoE4EjNS0_10empty_typeEbEEZZNS1_14partition_implILS8_4ELb0ES6_15HIP_vector_typeIjLj2EENS0_17counting_iteratorIjlEEPS9_SG_NS0_5tupleIJPjSI_NS0_16reverse_iteratorISI_EEEEENSH_IJSG_SG_SG_EEES9_SI_JZNS1_25segmented_radix_sort_implINS0_14default_configELb0EPKaPaPKlPlN2at6native12_GLOBAL__N_18offset_tEEE10hipError_tPvRmT1_PNSt15iterator_traitsIS12_E10value_typeET2_T3_PNS13_IS18_E10value_typeET4_jRbjT5_S1E_jjP12ihipStream_tbEUljE_ZNSN_ISO_Lb0ESQ_SR_ST_SU_SY_EESZ_S10_S11_S12_S16_S17_S18_S1B_S1C_jS1D_jS1E_S1E_jjS1G_bEUljE0_EEESZ_S10_S11_S18_S1C_S1E_T6_T7_T9_mT8_S1G_bDpT10_ENKUlT_T0_E_clISt17integral_constantIbLb1EES1U_EEDaS1P_S1Q_EUlS1P_E_NS1_11comp_targetILNS1_3genE0ELNS1_11target_archE4294967295ELNS1_3gpuE0ELNS1_3repE0EEENS1_30default_config_static_selectorELNS0_4arch9wavefront6targetE0EEEvS12_.private_seg_size, 0
	.set _ZN7rocprim17ROCPRIM_400000_NS6detail17trampoline_kernelINS0_13select_configILj256ELj13ELNS0_17block_load_methodE3ELS4_3ELS4_3ELNS0_20block_scan_algorithmE0ELj4294967295EEENS1_25partition_config_selectorILNS1_17partition_subalgoE4EjNS0_10empty_typeEbEEZZNS1_14partition_implILS8_4ELb0ES6_15HIP_vector_typeIjLj2EENS0_17counting_iteratorIjlEEPS9_SG_NS0_5tupleIJPjSI_NS0_16reverse_iteratorISI_EEEEENSH_IJSG_SG_SG_EEES9_SI_JZNS1_25segmented_radix_sort_implINS0_14default_configELb0EPKaPaPKlPlN2at6native12_GLOBAL__N_18offset_tEEE10hipError_tPvRmT1_PNSt15iterator_traitsIS12_E10value_typeET2_T3_PNS13_IS18_E10value_typeET4_jRbjT5_S1E_jjP12ihipStream_tbEUljE_ZNSN_ISO_Lb0ESQ_SR_ST_SU_SY_EESZ_S10_S11_S12_S16_S17_S18_S1B_S1C_jS1D_jS1E_S1E_jjS1G_bEUljE0_EEESZ_S10_S11_S18_S1C_S1E_T6_T7_T9_mT8_S1G_bDpT10_ENKUlT_T0_E_clISt17integral_constantIbLb1EES1U_EEDaS1P_S1Q_EUlS1P_E_NS1_11comp_targetILNS1_3genE0ELNS1_11target_archE4294967295ELNS1_3gpuE0ELNS1_3repE0EEENS1_30default_config_static_selectorELNS0_4arch9wavefront6targetE0EEEvS12_.uses_vcc, 0
	.set _ZN7rocprim17ROCPRIM_400000_NS6detail17trampoline_kernelINS0_13select_configILj256ELj13ELNS0_17block_load_methodE3ELS4_3ELS4_3ELNS0_20block_scan_algorithmE0ELj4294967295EEENS1_25partition_config_selectorILNS1_17partition_subalgoE4EjNS0_10empty_typeEbEEZZNS1_14partition_implILS8_4ELb0ES6_15HIP_vector_typeIjLj2EENS0_17counting_iteratorIjlEEPS9_SG_NS0_5tupleIJPjSI_NS0_16reverse_iteratorISI_EEEEENSH_IJSG_SG_SG_EEES9_SI_JZNS1_25segmented_radix_sort_implINS0_14default_configELb0EPKaPaPKlPlN2at6native12_GLOBAL__N_18offset_tEEE10hipError_tPvRmT1_PNSt15iterator_traitsIS12_E10value_typeET2_T3_PNS13_IS18_E10value_typeET4_jRbjT5_S1E_jjP12ihipStream_tbEUljE_ZNSN_ISO_Lb0ESQ_SR_ST_SU_SY_EESZ_S10_S11_S12_S16_S17_S18_S1B_S1C_jS1D_jS1E_S1E_jjS1G_bEUljE0_EEESZ_S10_S11_S18_S1C_S1E_T6_T7_T9_mT8_S1G_bDpT10_ENKUlT_T0_E_clISt17integral_constantIbLb1EES1U_EEDaS1P_S1Q_EUlS1P_E_NS1_11comp_targetILNS1_3genE0ELNS1_11target_archE4294967295ELNS1_3gpuE0ELNS1_3repE0EEENS1_30default_config_static_selectorELNS0_4arch9wavefront6targetE0EEEvS12_.uses_flat_scratch, 0
	.set _ZN7rocprim17ROCPRIM_400000_NS6detail17trampoline_kernelINS0_13select_configILj256ELj13ELNS0_17block_load_methodE3ELS4_3ELS4_3ELNS0_20block_scan_algorithmE0ELj4294967295EEENS1_25partition_config_selectorILNS1_17partition_subalgoE4EjNS0_10empty_typeEbEEZZNS1_14partition_implILS8_4ELb0ES6_15HIP_vector_typeIjLj2EENS0_17counting_iteratorIjlEEPS9_SG_NS0_5tupleIJPjSI_NS0_16reverse_iteratorISI_EEEEENSH_IJSG_SG_SG_EEES9_SI_JZNS1_25segmented_radix_sort_implINS0_14default_configELb0EPKaPaPKlPlN2at6native12_GLOBAL__N_18offset_tEEE10hipError_tPvRmT1_PNSt15iterator_traitsIS12_E10value_typeET2_T3_PNS13_IS18_E10value_typeET4_jRbjT5_S1E_jjP12ihipStream_tbEUljE_ZNSN_ISO_Lb0ESQ_SR_ST_SU_SY_EESZ_S10_S11_S12_S16_S17_S18_S1B_S1C_jS1D_jS1E_S1E_jjS1G_bEUljE0_EEESZ_S10_S11_S18_S1C_S1E_T6_T7_T9_mT8_S1G_bDpT10_ENKUlT_T0_E_clISt17integral_constantIbLb1EES1U_EEDaS1P_S1Q_EUlS1P_E_NS1_11comp_targetILNS1_3genE0ELNS1_11target_archE4294967295ELNS1_3gpuE0ELNS1_3repE0EEENS1_30default_config_static_selectorELNS0_4arch9wavefront6targetE0EEEvS12_.has_dyn_sized_stack, 0
	.set _ZN7rocprim17ROCPRIM_400000_NS6detail17trampoline_kernelINS0_13select_configILj256ELj13ELNS0_17block_load_methodE3ELS4_3ELS4_3ELNS0_20block_scan_algorithmE0ELj4294967295EEENS1_25partition_config_selectorILNS1_17partition_subalgoE4EjNS0_10empty_typeEbEEZZNS1_14partition_implILS8_4ELb0ES6_15HIP_vector_typeIjLj2EENS0_17counting_iteratorIjlEEPS9_SG_NS0_5tupleIJPjSI_NS0_16reverse_iteratorISI_EEEEENSH_IJSG_SG_SG_EEES9_SI_JZNS1_25segmented_radix_sort_implINS0_14default_configELb0EPKaPaPKlPlN2at6native12_GLOBAL__N_18offset_tEEE10hipError_tPvRmT1_PNSt15iterator_traitsIS12_E10value_typeET2_T3_PNS13_IS18_E10value_typeET4_jRbjT5_S1E_jjP12ihipStream_tbEUljE_ZNSN_ISO_Lb0ESQ_SR_ST_SU_SY_EESZ_S10_S11_S12_S16_S17_S18_S1B_S1C_jS1D_jS1E_S1E_jjS1G_bEUljE0_EEESZ_S10_S11_S18_S1C_S1E_T6_T7_T9_mT8_S1G_bDpT10_ENKUlT_T0_E_clISt17integral_constantIbLb1EES1U_EEDaS1P_S1Q_EUlS1P_E_NS1_11comp_targetILNS1_3genE0ELNS1_11target_archE4294967295ELNS1_3gpuE0ELNS1_3repE0EEENS1_30default_config_static_selectorELNS0_4arch9wavefront6targetE0EEEvS12_.has_recursion, 0
	.set _ZN7rocprim17ROCPRIM_400000_NS6detail17trampoline_kernelINS0_13select_configILj256ELj13ELNS0_17block_load_methodE3ELS4_3ELS4_3ELNS0_20block_scan_algorithmE0ELj4294967295EEENS1_25partition_config_selectorILNS1_17partition_subalgoE4EjNS0_10empty_typeEbEEZZNS1_14partition_implILS8_4ELb0ES6_15HIP_vector_typeIjLj2EENS0_17counting_iteratorIjlEEPS9_SG_NS0_5tupleIJPjSI_NS0_16reverse_iteratorISI_EEEEENSH_IJSG_SG_SG_EEES9_SI_JZNS1_25segmented_radix_sort_implINS0_14default_configELb0EPKaPaPKlPlN2at6native12_GLOBAL__N_18offset_tEEE10hipError_tPvRmT1_PNSt15iterator_traitsIS12_E10value_typeET2_T3_PNS13_IS18_E10value_typeET4_jRbjT5_S1E_jjP12ihipStream_tbEUljE_ZNSN_ISO_Lb0ESQ_SR_ST_SU_SY_EESZ_S10_S11_S12_S16_S17_S18_S1B_S1C_jS1D_jS1E_S1E_jjS1G_bEUljE0_EEESZ_S10_S11_S18_S1C_S1E_T6_T7_T9_mT8_S1G_bDpT10_ENKUlT_T0_E_clISt17integral_constantIbLb1EES1U_EEDaS1P_S1Q_EUlS1P_E_NS1_11comp_targetILNS1_3genE0ELNS1_11target_archE4294967295ELNS1_3gpuE0ELNS1_3repE0EEENS1_30default_config_static_selectorELNS0_4arch9wavefront6targetE0EEEvS12_.has_indirect_call, 0
	.section	.AMDGPU.csdata,"",@progbits
; Kernel info:
; codeLenInByte = 4
; TotalNumSgprs: 0
; NumVgprs: 0
; ScratchSize: 0
; MemoryBound: 0
; FloatMode: 240
; IeeeMode: 1
; LDSByteSize: 0 bytes/workgroup (compile time only)
; SGPRBlocks: 0
; VGPRBlocks: 0
; NumSGPRsForWavesPerEU: 1
; NumVGPRsForWavesPerEU: 1
; NamedBarCnt: 0
; Occupancy: 16
; WaveLimiterHint : 0
; COMPUTE_PGM_RSRC2:SCRATCH_EN: 0
; COMPUTE_PGM_RSRC2:USER_SGPR: 2
; COMPUTE_PGM_RSRC2:TRAP_HANDLER: 0
; COMPUTE_PGM_RSRC2:TGID_X_EN: 1
; COMPUTE_PGM_RSRC2:TGID_Y_EN: 0
; COMPUTE_PGM_RSRC2:TGID_Z_EN: 0
; COMPUTE_PGM_RSRC2:TIDIG_COMP_CNT: 0
	.section	.text._ZN7rocprim17ROCPRIM_400000_NS6detail17trampoline_kernelINS0_13select_configILj256ELj13ELNS0_17block_load_methodE3ELS4_3ELS4_3ELNS0_20block_scan_algorithmE0ELj4294967295EEENS1_25partition_config_selectorILNS1_17partition_subalgoE4EjNS0_10empty_typeEbEEZZNS1_14partition_implILS8_4ELb0ES6_15HIP_vector_typeIjLj2EENS0_17counting_iteratorIjlEEPS9_SG_NS0_5tupleIJPjSI_NS0_16reverse_iteratorISI_EEEEENSH_IJSG_SG_SG_EEES9_SI_JZNS1_25segmented_radix_sort_implINS0_14default_configELb0EPKaPaPKlPlN2at6native12_GLOBAL__N_18offset_tEEE10hipError_tPvRmT1_PNSt15iterator_traitsIS12_E10value_typeET2_T3_PNS13_IS18_E10value_typeET4_jRbjT5_S1E_jjP12ihipStream_tbEUljE_ZNSN_ISO_Lb0ESQ_SR_ST_SU_SY_EESZ_S10_S11_S12_S16_S17_S18_S1B_S1C_jS1D_jS1E_S1E_jjS1G_bEUljE0_EEESZ_S10_S11_S18_S1C_S1E_T6_T7_T9_mT8_S1G_bDpT10_ENKUlT_T0_E_clISt17integral_constantIbLb1EES1U_EEDaS1P_S1Q_EUlS1P_E_NS1_11comp_targetILNS1_3genE5ELNS1_11target_archE942ELNS1_3gpuE9ELNS1_3repE0EEENS1_30default_config_static_selectorELNS0_4arch9wavefront6targetE0EEEvS12_,"axG",@progbits,_ZN7rocprim17ROCPRIM_400000_NS6detail17trampoline_kernelINS0_13select_configILj256ELj13ELNS0_17block_load_methodE3ELS4_3ELS4_3ELNS0_20block_scan_algorithmE0ELj4294967295EEENS1_25partition_config_selectorILNS1_17partition_subalgoE4EjNS0_10empty_typeEbEEZZNS1_14partition_implILS8_4ELb0ES6_15HIP_vector_typeIjLj2EENS0_17counting_iteratorIjlEEPS9_SG_NS0_5tupleIJPjSI_NS0_16reverse_iteratorISI_EEEEENSH_IJSG_SG_SG_EEES9_SI_JZNS1_25segmented_radix_sort_implINS0_14default_configELb0EPKaPaPKlPlN2at6native12_GLOBAL__N_18offset_tEEE10hipError_tPvRmT1_PNSt15iterator_traitsIS12_E10value_typeET2_T3_PNS13_IS18_E10value_typeET4_jRbjT5_S1E_jjP12ihipStream_tbEUljE_ZNSN_ISO_Lb0ESQ_SR_ST_SU_SY_EESZ_S10_S11_S12_S16_S17_S18_S1B_S1C_jS1D_jS1E_S1E_jjS1G_bEUljE0_EEESZ_S10_S11_S18_S1C_S1E_T6_T7_T9_mT8_S1G_bDpT10_ENKUlT_T0_E_clISt17integral_constantIbLb1EES1U_EEDaS1P_S1Q_EUlS1P_E_NS1_11comp_targetILNS1_3genE5ELNS1_11target_archE942ELNS1_3gpuE9ELNS1_3repE0EEENS1_30default_config_static_selectorELNS0_4arch9wavefront6targetE0EEEvS12_,comdat
	.globl	_ZN7rocprim17ROCPRIM_400000_NS6detail17trampoline_kernelINS0_13select_configILj256ELj13ELNS0_17block_load_methodE3ELS4_3ELS4_3ELNS0_20block_scan_algorithmE0ELj4294967295EEENS1_25partition_config_selectorILNS1_17partition_subalgoE4EjNS0_10empty_typeEbEEZZNS1_14partition_implILS8_4ELb0ES6_15HIP_vector_typeIjLj2EENS0_17counting_iteratorIjlEEPS9_SG_NS0_5tupleIJPjSI_NS0_16reverse_iteratorISI_EEEEENSH_IJSG_SG_SG_EEES9_SI_JZNS1_25segmented_radix_sort_implINS0_14default_configELb0EPKaPaPKlPlN2at6native12_GLOBAL__N_18offset_tEEE10hipError_tPvRmT1_PNSt15iterator_traitsIS12_E10value_typeET2_T3_PNS13_IS18_E10value_typeET4_jRbjT5_S1E_jjP12ihipStream_tbEUljE_ZNSN_ISO_Lb0ESQ_SR_ST_SU_SY_EESZ_S10_S11_S12_S16_S17_S18_S1B_S1C_jS1D_jS1E_S1E_jjS1G_bEUljE0_EEESZ_S10_S11_S18_S1C_S1E_T6_T7_T9_mT8_S1G_bDpT10_ENKUlT_T0_E_clISt17integral_constantIbLb1EES1U_EEDaS1P_S1Q_EUlS1P_E_NS1_11comp_targetILNS1_3genE5ELNS1_11target_archE942ELNS1_3gpuE9ELNS1_3repE0EEENS1_30default_config_static_selectorELNS0_4arch9wavefront6targetE0EEEvS12_ ; -- Begin function _ZN7rocprim17ROCPRIM_400000_NS6detail17trampoline_kernelINS0_13select_configILj256ELj13ELNS0_17block_load_methodE3ELS4_3ELS4_3ELNS0_20block_scan_algorithmE0ELj4294967295EEENS1_25partition_config_selectorILNS1_17partition_subalgoE4EjNS0_10empty_typeEbEEZZNS1_14partition_implILS8_4ELb0ES6_15HIP_vector_typeIjLj2EENS0_17counting_iteratorIjlEEPS9_SG_NS0_5tupleIJPjSI_NS0_16reverse_iteratorISI_EEEEENSH_IJSG_SG_SG_EEES9_SI_JZNS1_25segmented_radix_sort_implINS0_14default_configELb0EPKaPaPKlPlN2at6native12_GLOBAL__N_18offset_tEEE10hipError_tPvRmT1_PNSt15iterator_traitsIS12_E10value_typeET2_T3_PNS13_IS18_E10value_typeET4_jRbjT5_S1E_jjP12ihipStream_tbEUljE_ZNSN_ISO_Lb0ESQ_SR_ST_SU_SY_EESZ_S10_S11_S12_S16_S17_S18_S1B_S1C_jS1D_jS1E_S1E_jjS1G_bEUljE0_EEESZ_S10_S11_S18_S1C_S1E_T6_T7_T9_mT8_S1G_bDpT10_ENKUlT_T0_E_clISt17integral_constantIbLb1EES1U_EEDaS1P_S1Q_EUlS1P_E_NS1_11comp_targetILNS1_3genE5ELNS1_11target_archE942ELNS1_3gpuE9ELNS1_3repE0EEENS1_30default_config_static_selectorELNS0_4arch9wavefront6targetE0EEEvS12_
	.p2align	8
	.type	_ZN7rocprim17ROCPRIM_400000_NS6detail17trampoline_kernelINS0_13select_configILj256ELj13ELNS0_17block_load_methodE3ELS4_3ELS4_3ELNS0_20block_scan_algorithmE0ELj4294967295EEENS1_25partition_config_selectorILNS1_17partition_subalgoE4EjNS0_10empty_typeEbEEZZNS1_14partition_implILS8_4ELb0ES6_15HIP_vector_typeIjLj2EENS0_17counting_iteratorIjlEEPS9_SG_NS0_5tupleIJPjSI_NS0_16reverse_iteratorISI_EEEEENSH_IJSG_SG_SG_EEES9_SI_JZNS1_25segmented_radix_sort_implINS0_14default_configELb0EPKaPaPKlPlN2at6native12_GLOBAL__N_18offset_tEEE10hipError_tPvRmT1_PNSt15iterator_traitsIS12_E10value_typeET2_T3_PNS13_IS18_E10value_typeET4_jRbjT5_S1E_jjP12ihipStream_tbEUljE_ZNSN_ISO_Lb0ESQ_SR_ST_SU_SY_EESZ_S10_S11_S12_S16_S17_S18_S1B_S1C_jS1D_jS1E_S1E_jjS1G_bEUljE0_EEESZ_S10_S11_S18_S1C_S1E_T6_T7_T9_mT8_S1G_bDpT10_ENKUlT_T0_E_clISt17integral_constantIbLb1EES1U_EEDaS1P_S1Q_EUlS1P_E_NS1_11comp_targetILNS1_3genE5ELNS1_11target_archE942ELNS1_3gpuE9ELNS1_3repE0EEENS1_30default_config_static_selectorELNS0_4arch9wavefront6targetE0EEEvS12_,@function
_ZN7rocprim17ROCPRIM_400000_NS6detail17trampoline_kernelINS0_13select_configILj256ELj13ELNS0_17block_load_methodE3ELS4_3ELS4_3ELNS0_20block_scan_algorithmE0ELj4294967295EEENS1_25partition_config_selectorILNS1_17partition_subalgoE4EjNS0_10empty_typeEbEEZZNS1_14partition_implILS8_4ELb0ES6_15HIP_vector_typeIjLj2EENS0_17counting_iteratorIjlEEPS9_SG_NS0_5tupleIJPjSI_NS0_16reverse_iteratorISI_EEEEENSH_IJSG_SG_SG_EEES9_SI_JZNS1_25segmented_radix_sort_implINS0_14default_configELb0EPKaPaPKlPlN2at6native12_GLOBAL__N_18offset_tEEE10hipError_tPvRmT1_PNSt15iterator_traitsIS12_E10value_typeET2_T3_PNS13_IS18_E10value_typeET4_jRbjT5_S1E_jjP12ihipStream_tbEUljE_ZNSN_ISO_Lb0ESQ_SR_ST_SU_SY_EESZ_S10_S11_S12_S16_S17_S18_S1B_S1C_jS1D_jS1E_S1E_jjS1G_bEUljE0_EEESZ_S10_S11_S18_S1C_S1E_T6_T7_T9_mT8_S1G_bDpT10_ENKUlT_T0_E_clISt17integral_constantIbLb1EES1U_EEDaS1P_S1Q_EUlS1P_E_NS1_11comp_targetILNS1_3genE5ELNS1_11target_archE942ELNS1_3gpuE9ELNS1_3repE0EEENS1_30default_config_static_selectorELNS0_4arch9wavefront6targetE0EEEvS12_: ; @_ZN7rocprim17ROCPRIM_400000_NS6detail17trampoline_kernelINS0_13select_configILj256ELj13ELNS0_17block_load_methodE3ELS4_3ELS4_3ELNS0_20block_scan_algorithmE0ELj4294967295EEENS1_25partition_config_selectorILNS1_17partition_subalgoE4EjNS0_10empty_typeEbEEZZNS1_14partition_implILS8_4ELb0ES6_15HIP_vector_typeIjLj2EENS0_17counting_iteratorIjlEEPS9_SG_NS0_5tupleIJPjSI_NS0_16reverse_iteratorISI_EEEEENSH_IJSG_SG_SG_EEES9_SI_JZNS1_25segmented_radix_sort_implINS0_14default_configELb0EPKaPaPKlPlN2at6native12_GLOBAL__N_18offset_tEEE10hipError_tPvRmT1_PNSt15iterator_traitsIS12_E10value_typeET2_T3_PNS13_IS18_E10value_typeET4_jRbjT5_S1E_jjP12ihipStream_tbEUljE_ZNSN_ISO_Lb0ESQ_SR_ST_SU_SY_EESZ_S10_S11_S12_S16_S17_S18_S1B_S1C_jS1D_jS1E_S1E_jjS1G_bEUljE0_EEESZ_S10_S11_S18_S1C_S1E_T6_T7_T9_mT8_S1G_bDpT10_ENKUlT_T0_E_clISt17integral_constantIbLb1EES1U_EEDaS1P_S1Q_EUlS1P_E_NS1_11comp_targetILNS1_3genE5ELNS1_11target_archE942ELNS1_3gpuE9ELNS1_3repE0EEENS1_30default_config_static_selectorELNS0_4arch9wavefront6targetE0EEEvS12_
; %bb.0:
	.section	.rodata,"a",@progbits
	.p2align	6, 0x0
	.amdhsa_kernel _ZN7rocprim17ROCPRIM_400000_NS6detail17trampoline_kernelINS0_13select_configILj256ELj13ELNS0_17block_load_methodE3ELS4_3ELS4_3ELNS0_20block_scan_algorithmE0ELj4294967295EEENS1_25partition_config_selectorILNS1_17partition_subalgoE4EjNS0_10empty_typeEbEEZZNS1_14partition_implILS8_4ELb0ES6_15HIP_vector_typeIjLj2EENS0_17counting_iteratorIjlEEPS9_SG_NS0_5tupleIJPjSI_NS0_16reverse_iteratorISI_EEEEENSH_IJSG_SG_SG_EEES9_SI_JZNS1_25segmented_radix_sort_implINS0_14default_configELb0EPKaPaPKlPlN2at6native12_GLOBAL__N_18offset_tEEE10hipError_tPvRmT1_PNSt15iterator_traitsIS12_E10value_typeET2_T3_PNS13_IS18_E10value_typeET4_jRbjT5_S1E_jjP12ihipStream_tbEUljE_ZNSN_ISO_Lb0ESQ_SR_ST_SU_SY_EESZ_S10_S11_S12_S16_S17_S18_S1B_S1C_jS1D_jS1E_S1E_jjS1G_bEUljE0_EEESZ_S10_S11_S18_S1C_S1E_T6_T7_T9_mT8_S1G_bDpT10_ENKUlT_T0_E_clISt17integral_constantIbLb1EES1U_EEDaS1P_S1Q_EUlS1P_E_NS1_11comp_targetILNS1_3genE5ELNS1_11target_archE942ELNS1_3gpuE9ELNS1_3repE0EEENS1_30default_config_static_selectorELNS0_4arch9wavefront6targetE0EEEvS12_
		.amdhsa_group_segment_fixed_size 0
		.amdhsa_private_segment_fixed_size 0
		.amdhsa_kernarg_size 184
		.amdhsa_user_sgpr_count 2
		.amdhsa_user_sgpr_dispatch_ptr 0
		.amdhsa_user_sgpr_queue_ptr 0
		.amdhsa_user_sgpr_kernarg_segment_ptr 1
		.amdhsa_user_sgpr_dispatch_id 0
		.amdhsa_user_sgpr_kernarg_preload_length 0
		.amdhsa_user_sgpr_kernarg_preload_offset 0
		.amdhsa_user_sgpr_private_segment_size 0
		.amdhsa_wavefront_size32 1
		.amdhsa_uses_dynamic_stack 0
		.amdhsa_enable_private_segment 0
		.amdhsa_system_sgpr_workgroup_id_x 1
		.amdhsa_system_sgpr_workgroup_id_y 0
		.amdhsa_system_sgpr_workgroup_id_z 0
		.amdhsa_system_sgpr_workgroup_info 0
		.amdhsa_system_vgpr_workitem_id 0
		.amdhsa_next_free_vgpr 1
		.amdhsa_next_free_sgpr 1
		.amdhsa_named_barrier_count 0
		.amdhsa_reserve_vcc 0
		.amdhsa_float_round_mode_32 0
		.amdhsa_float_round_mode_16_64 0
		.amdhsa_float_denorm_mode_32 3
		.amdhsa_float_denorm_mode_16_64 3
		.amdhsa_fp16_overflow 0
		.amdhsa_memory_ordered 1
		.amdhsa_forward_progress 1
		.amdhsa_inst_pref_size 0
		.amdhsa_round_robin_scheduling 0
		.amdhsa_exception_fp_ieee_invalid_op 0
		.amdhsa_exception_fp_denorm_src 0
		.amdhsa_exception_fp_ieee_div_zero 0
		.amdhsa_exception_fp_ieee_overflow 0
		.amdhsa_exception_fp_ieee_underflow 0
		.amdhsa_exception_fp_ieee_inexact 0
		.amdhsa_exception_int_div_zero 0
	.end_amdhsa_kernel
	.section	.text._ZN7rocprim17ROCPRIM_400000_NS6detail17trampoline_kernelINS0_13select_configILj256ELj13ELNS0_17block_load_methodE3ELS4_3ELS4_3ELNS0_20block_scan_algorithmE0ELj4294967295EEENS1_25partition_config_selectorILNS1_17partition_subalgoE4EjNS0_10empty_typeEbEEZZNS1_14partition_implILS8_4ELb0ES6_15HIP_vector_typeIjLj2EENS0_17counting_iteratorIjlEEPS9_SG_NS0_5tupleIJPjSI_NS0_16reverse_iteratorISI_EEEEENSH_IJSG_SG_SG_EEES9_SI_JZNS1_25segmented_radix_sort_implINS0_14default_configELb0EPKaPaPKlPlN2at6native12_GLOBAL__N_18offset_tEEE10hipError_tPvRmT1_PNSt15iterator_traitsIS12_E10value_typeET2_T3_PNS13_IS18_E10value_typeET4_jRbjT5_S1E_jjP12ihipStream_tbEUljE_ZNSN_ISO_Lb0ESQ_SR_ST_SU_SY_EESZ_S10_S11_S12_S16_S17_S18_S1B_S1C_jS1D_jS1E_S1E_jjS1G_bEUljE0_EEESZ_S10_S11_S18_S1C_S1E_T6_T7_T9_mT8_S1G_bDpT10_ENKUlT_T0_E_clISt17integral_constantIbLb1EES1U_EEDaS1P_S1Q_EUlS1P_E_NS1_11comp_targetILNS1_3genE5ELNS1_11target_archE942ELNS1_3gpuE9ELNS1_3repE0EEENS1_30default_config_static_selectorELNS0_4arch9wavefront6targetE0EEEvS12_,"axG",@progbits,_ZN7rocprim17ROCPRIM_400000_NS6detail17trampoline_kernelINS0_13select_configILj256ELj13ELNS0_17block_load_methodE3ELS4_3ELS4_3ELNS0_20block_scan_algorithmE0ELj4294967295EEENS1_25partition_config_selectorILNS1_17partition_subalgoE4EjNS0_10empty_typeEbEEZZNS1_14partition_implILS8_4ELb0ES6_15HIP_vector_typeIjLj2EENS0_17counting_iteratorIjlEEPS9_SG_NS0_5tupleIJPjSI_NS0_16reverse_iteratorISI_EEEEENSH_IJSG_SG_SG_EEES9_SI_JZNS1_25segmented_radix_sort_implINS0_14default_configELb0EPKaPaPKlPlN2at6native12_GLOBAL__N_18offset_tEEE10hipError_tPvRmT1_PNSt15iterator_traitsIS12_E10value_typeET2_T3_PNS13_IS18_E10value_typeET4_jRbjT5_S1E_jjP12ihipStream_tbEUljE_ZNSN_ISO_Lb0ESQ_SR_ST_SU_SY_EESZ_S10_S11_S12_S16_S17_S18_S1B_S1C_jS1D_jS1E_S1E_jjS1G_bEUljE0_EEESZ_S10_S11_S18_S1C_S1E_T6_T7_T9_mT8_S1G_bDpT10_ENKUlT_T0_E_clISt17integral_constantIbLb1EES1U_EEDaS1P_S1Q_EUlS1P_E_NS1_11comp_targetILNS1_3genE5ELNS1_11target_archE942ELNS1_3gpuE9ELNS1_3repE0EEENS1_30default_config_static_selectorELNS0_4arch9wavefront6targetE0EEEvS12_,comdat
.Lfunc_end335:
	.size	_ZN7rocprim17ROCPRIM_400000_NS6detail17trampoline_kernelINS0_13select_configILj256ELj13ELNS0_17block_load_methodE3ELS4_3ELS4_3ELNS0_20block_scan_algorithmE0ELj4294967295EEENS1_25partition_config_selectorILNS1_17partition_subalgoE4EjNS0_10empty_typeEbEEZZNS1_14partition_implILS8_4ELb0ES6_15HIP_vector_typeIjLj2EENS0_17counting_iteratorIjlEEPS9_SG_NS0_5tupleIJPjSI_NS0_16reverse_iteratorISI_EEEEENSH_IJSG_SG_SG_EEES9_SI_JZNS1_25segmented_radix_sort_implINS0_14default_configELb0EPKaPaPKlPlN2at6native12_GLOBAL__N_18offset_tEEE10hipError_tPvRmT1_PNSt15iterator_traitsIS12_E10value_typeET2_T3_PNS13_IS18_E10value_typeET4_jRbjT5_S1E_jjP12ihipStream_tbEUljE_ZNSN_ISO_Lb0ESQ_SR_ST_SU_SY_EESZ_S10_S11_S12_S16_S17_S18_S1B_S1C_jS1D_jS1E_S1E_jjS1G_bEUljE0_EEESZ_S10_S11_S18_S1C_S1E_T6_T7_T9_mT8_S1G_bDpT10_ENKUlT_T0_E_clISt17integral_constantIbLb1EES1U_EEDaS1P_S1Q_EUlS1P_E_NS1_11comp_targetILNS1_3genE5ELNS1_11target_archE942ELNS1_3gpuE9ELNS1_3repE0EEENS1_30default_config_static_selectorELNS0_4arch9wavefront6targetE0EEEvS12_, .Lfunc_end335-_ZN7rocprim17ROCPRIM_400000_NS6detail17trampoline_kernelINS0_13select_configILj256ELj13ELNS0_17block_load_methodE3ELS4_3ELS4_3ELNS0_20block_scan_algorithmE0ELj4294967295EEENS1_25partition_config_selectorILNS1_17partition_subalgoE4EjNS0_10empty_typeEbEEZZNS1_14partition_implILS8_4ELb0ES6_15HIP_vector_typeIjLj2EENS0_17counting_iteratorIjlEEPS9_SG_NS0_5tupleIJPjSI_NS0_16reverse_iteratorISI_EEEEENSH_IJSG_SG_SG_EEES9_SI_JZNS1_25segmented_radix_sort_implINS0_14default_configELb0EPKaPaPKlPlN2at6native12_GLOBAL__N_18offset_tEEE10hipError_tPvRmT1_PNSt15iterator_traitsIS12_E10value_typeET2_T3_PNS13_IS18_E10value_typeET4_jRbjT5_S1E_jjP12ihipStream_tbEUljE_ZNSN_ISO_Lb0ESQ_SR_ST_SU_SY_EESZ_S10_S11_S12_S16_S17_S18_S1B_S1C_jS1D_jS1E_S1E_jjS1G_bEUljE0_EEESZ_S10_S11_S18_S1C_S1E_T6_T7_T9_mT8_S1G_bDpT10_ENKUlT_T0_E_clISt17integral_constantIbLb1EES1U_EEDaS1P_S1Q_EUlS1P_E_NS1_11comp_targetILNS1_3genE5ELNS1_11target_archE942ELNS1_3gpuE9ELNS1_3repE0EEENS1_30default_config_static_selectorELNS0_4arch9wavefront6targetE0EEEvS12_
                                        ; -- End function
	.set _ZN7rocprim17ROCPRIM_400000_NS6detail17trampoline_kernelINS0_13select_configILj256ELj13ELNS0_17block_load_methodE3ELS4_3ELS4_3ELNS0_20block_scan_algorithmE0ELj4294967295EEENS1_25partition_config_selectorILNS1_17partition_subalgoE4EjNS0_10empty_typeEbEEZZNS1_14partition_implILS8_4ELb0ES6_15HIP_vector_typeIjLj2EENS0_17counting_iteratorIjlEEPS9_SG_NS0_5tupleIJPjSI_NS0_16reverse_iteratorISI_EEEEENSH_IJSG_SG_SG_EEES9_SI_JZNS1_25segmented_radix_sort_implINS0_14default_configELb0EPKaPaPKlPlN2at6native12_GLOBAL__N_18offset_tEEE10hipError_tPvRmT1_PNSt15iterator_traitsIS12_E10value_typeET2_T3_PNS13_IS18_E10value_typeET4_jRbjT5_S1E_jjP12ihipStream_tbEUljE_ZNSN_ISO_Lb0ESQ_SR_ST_SU_SY_EESZ_S10_S11_S12_S16_S17_S18_S1B_S1C_jS1D_jS1E_S1E_jjS1G_bEUljE0_EEESZ_S10_S11_S18_S1C_S1E_T6_T7_T9_mT8_S1G_bDpT10_ENKUlT_T0_E_clISt17integral_constantIbLb1EES1U_EEDaS1P_S1Q_EUlS1P_E_NS1_11comp_targetILNS1_3genE5ELNS1_11target_archE942ELNS1_3gpuE9ELNS1_3repE0EEENS1_30default_config_static_selectorELNS0_4arch9wavefront6targetE0EEEvS12_.num_vgpr, 0
	.set _ZN7rocprim17ROCPRIM_400000_NS6detail17trampoline_kernelINS0_13select_configILj256ELj13ELNS0_17block_load_methodE3ELS4_3ELS4_3ELNS0_20block_scan_algorithmE0ELj4294967295EEENS1_25partition_config_selectorILNS1_17partition_subalgoE4EjNS0_10empty_typeEbEEZZNS1_14partition_implILS8_4ELb0ES6_15HIP_vector_typeIjLj2EENS0_17counting_iteratorIjlEEPS9_SG_NS0_5tupleIJPjSI_NS0_16reverse_iteratorISI_EEEEENSH_IJSG_SG_SG_EEES9_SI_JZNS1_25segmented_radix_sort_implINS0_14default_configELb0EPKaPaPKlPlN2at6native12_GLOBAL__N_18offset_tEEE10hipError_tPvRmT1_PNSt15iterator_traitsIS12_E10value_typeET2_T3_PNS13_IS18_E10value_typeET4_jRbjT5_S1E_jjP12ihipStream_tbEUljE_ZNSN_ISO_Lb0ESQ_SR_ST_SU_SY_EESZ_S10_S11_S12_S16_S17_S18_S1B_S1C_jS1D_jS1E_S1E_jjS1G_bEUljE0_EEESZ_S10_S11_S18_S1C_S1E_T6_T7_T9_mT8_S1G_bDpT10_ENKUlT_T0_E_clISt17integral_constantIbLb1EES1U_EEDaS1P_S1Q_EUlS1P_E_NS1_11comp_targetILNS1_3genE5ELNS1_11target_archE942ELNS1_3gpuE9ELNS1_3repE0EEENS1_30default_config_static_selectorELNS0_4arch9wavefront6targetE0EEEvS12_.num_agpr, 0
	.set _ZN7rocprim17ROCPRIM_400000_NS6detail17trampoline_kernelINS0_13select_configILj256ELj13ELNS0_17block_load_methodE3ELS4_3ELS4_3ELNS0_20block_scan_algorithmE0ELj4294967295EEENS1_25partition_config_selectorILNS1_17partition_subalgoE4EjNS0_10empty_typeEbEEZZNS1_14partition_implILS8_4ELb0ES6_15HIP_vector_typeIjLj2EENS0_17counting_iteratorIjlEEPS9_SG_NS0_5tupleIJPjSI_NS0_16reverse_iteratorISI_EEEEENSH_IJSG_SG_SG_EEES9_SI_JZNS1_25segmented_radix_sort_implINS0_14default_configELb0EPKaPaPKlPlN2at6native12_GLOBAL__N_18offset_tEEE10hipError_tPvRmT1_PNSt15iterator_traitsIS12_E10value_typeET2_T3_PNS13_IS18_E10value_typeET4_jRbjT5_S1E_jjP12ihipStream_tbEUljE_ZNSN_ISO_Lb0ESQ_SR_ST_SU_SY_EESZ_S10_S11_S12_S16_S17_S18_S1B_S1C_jS1D_jS1E_S1E_jjS1G_bEUljE0_EEESZ_S10_S11_S18_S1C_S1E_T6_T7_T9_mT8_S1G_bDpT10_ENKUlT_T0_E_clISt17integral_constantIbLb1EES1U_EEDaS1P_S1Q_EUlS1P_E_NS1_11comp_targetILNS1_3genE5ELNS1_11target_archE942ELNS1_3gpuE9ELNS1_3repE0EEENS1_30default_config_static_selectorELNS0_4arch9wavefront6targetE0EEEvS12_.numbered_sgpr, 0
	.set _ZN7rocprim17ROCPRIM_400000_NS6detail17trampoline_kernelINS0_13select_configILj256ELj13ELNS0_17block_load_methodE3ELS4_3ELS4_3ELNS0_20block_scan_algorithmE0ELj4294967295EEENS1_25partition_config_selectorILNS1_17partition_subalgoE4EjNS0_10empty_typeEbEEZZNS1_14partition_implILS8_4ELb0ES6_15HIP_vector_typeIjLj2EENS0_17counting_iteratorIjlEEPS9_SG_NS0_5tupleIJPjSI_NS0_16reverse_iteratorISI_EEEEENSH_IJSG_SG_SG_EEES9_SI_JZNS1_25segmented_radix_sort_implINS0_14default_configELb0EPKaPaPKlPlN2at6native12_GLOBAL__N_18offset_tEEE10hipError_tPvRmT1_PNSt15iterator_traitsIS12_E10value_typeET2_T3_PNS13_IS18_E10value_typeET4_jRbjT5_S1E_jjP12ihipStream_tbEUljE_ZNSN_ISO_Lb0ESQ_SR_ST_SU_SY_EESZ_S10_S11_S12_S16_S17_S18_S1B_S1C_jS1D_jS1E_S1E_jjS1G_bEUljE0_EEESZ_S10_S11_S18_S1C_S1E_T6_T7_T9_mT8_S1G_bDpT10_ENKUlT_T0_E_clISt17integral_constantIbLb1EES1U_EEDaS1P_S1Q_EUlS1P_E_NS1_11comp_targetILNS1_3genE5ELNS1_11target_archE942ELNS1_3gpuE9ELNS1_3repE0EEENS1_30default_config_static_selectorELNS0_4arch9wavefront6targetE0EEEvS12_.num_named_barrier, 0
	.set _ZN7rocprim17ROCPRIM_400000_NS6detail17trampoline_kernelINS0_13select_configILj256ELj13ELNS0_17block_load_methodE3ELS4_3ELS4_3ELNS0_20block_scan_algorithmE0ELj4294967295EEENS1_25partition_config_selectorILNS1_17partition_subalgoE4EjNS0_10empty_typeEbEEZZNS1_14partition_implILS8_4ELb0ES6_15HIP_vector_typeIjLj2EENS0_17counting_iteratorIjlEEPS9_SG_NS0_5tupleIJPjSI_NS0_16reverse_iteratorISI_EEEEENSH_IJSG_SG_SG_EEES9_SI_JZNS1_25segmented_radix_sort_implINS0_14default_configELb0EPKaPaPKlPlN2at6native12_GLOBAL__N_18offset_tEEE10hipError_tPvRmT1_PNSt15iterator_traitsIS12_E10value_typeET2_T3_PNS13_IS18_E10value_typeET4_jRbjT5_S1E_jjP12ihipStream_tbEUljE_ZNSN_ISO_Lb0ESQ_SR_ST_SU_SY_EESZ_S10_S11_S12_S16_S17_S18_S1B_S1C_jS1D_jS1E_S1E_jjS1G_bEUljE0_EEESZ_S10_S11_S18_S1C_S1E_T6_T7_T9_mT8_S1G_bDpT10_ENKUlT_T0_E_clISt17integral_constantIbLb1EES1U_EEDaS1P_S1Q_EUlS1P_E_NS1_11comp_targetILNS1_3genE5ELNS1_11target_archE942ELNS1_3gpuE9ELNS1_3repE0EEENS1_30default_config_static_selectorELNS0_4arch9wavefront6targetE0EEEvS12_.private_seg_size, 0
	.set _ZN7rocprim17ROCPRIM_400000_NS6detail17trampoline_kernelINS0_13select_configILj256ELj13ELNS0_17block_load_methodE3ELS4_3ELS4_3ELNS0_20block_scan_algorithmE0ELj4294967295EEENS1_25partition_config_selectorILNS1_17partition_subalgoE4EjNS0_10empty_typeEbEEZZNS1_14partition_implILS8_4ELb0ES6_15HIP_vector_typeIjLj2EENS0_17counting_iteratorIjlEEPS9_SG_NS0_5tupleIJPjSI_NS0_16reverse_iteratorISI_EEEEENSH_IJSG_SG_SG_EEES9_SI_JZNS1_25segmented_radix_sort_implINS0_14default_configELb0EPKaPaPKlPlN2at6native12_GLOBAL__N_18offset_tEEE10hipError_tPvRmT1_PNSt15iterator_traitsIS12_E10value_typeET2_T3_PNS13_IS18_E10value_typeET4_jRbjT5_S1E_jjP12ihipStream_tbEUljE_ZNSN_ISO_Lb0ESQ_SR_ST_SU_SY_EESZ_S10_S11_S12_S16_S17_S18_S1B_S1C_jS1D_jS1E_S1E_jjS1G_bEUljE0_EEESZ_S10_S11_S18_S1C_S1E_T6_T7_T9_mT8_S1G_bDpT10_ENKUlT_T0_E_clISt17integral_constantIbLb1EES1U_EEDaS1P_S1Q_EUlS1P_E_NS1_11comp_targetILNS1_3genE5ELNS1_11target_archE942ELNS1_3gpuE9ELNS1_3repE0EEENS1_30default_config_static_selectorELNS0_4arch9wavefront6targetE0EEEvS12_.uses_vcc, 0
	.set _ZN7rocprim17ROCPRIM_400000_NS6detail17trampoline_kernelINS0_13select_configILj256ELj13ELNS0_17block_load_methodE3ELS4_3ELS4_3ELNS0_20block_scan_algorithmE0ELj4294967295EEENS1_25partition_config_selectorILNS1_17partition_subalgoE4EjNS0_10empty_typeEbEEZZNS1_14partition_implILS8_4ELb0ES6_15HIP_vector_typeIjLj2EENS0_17counting_iteratorIjlEEPS9_SG_NS0_5tupleIJPjSI_NS0_16reverse_iteratorISI_EEEEENSH_IJSG_SG_SG_EEES9_SI_JZNS1_25segmented_radix_sort_implINS0_14default_configELb0EPKaPaPKlPlN2at6native12_GLOBAL__N_18offset_tEEE10hipError_tPvRmT1_PNSt15iterator_traitsIS12_E10value_typeET2_T3_PNS13_IS18_E10value_typeET4_jRbjT5_S1E_jjP12ihipStream_tbEUljE_ZNSN_ISO_Lb0ESQ_SR_ST_SU_SY_EESZ_S10_S11_S12_S16_S17_S18_S1B_S1C_jS1D_jS1E_S1E_jjS1G_bEUljE0_EEESZ_S10_S11_S18_S1C_S1E_T6_T7_T9_mT8_S1G_bDpT10_ENKUlT_T0_E_clISt17integral_constantIbLb1EES1U_EEDaS1P_S1Q_EUlS1P_E_NS1_11comp_targetILNS1_3genE5ELNS1_11target_archE942ELNS1_3gpuE9ELNS1_3repE0EEENS1_30default_config_static_selectorELNS0_4arch9wavefront6targetE0EEEvS12_.uses_flat_scratch, 0
	.set _ZN7rocprim17ROCPRIM_400000_NS6detail17trampoline_kernelINS0_13select_configILj256ELj13ELNS0_17block_load_methodE3ELS4_3ELS4_3ELNS0_20block_scan_algorithmE0ELj4294967295EEENS1_25partition_config_selectorILNS1_17partition_subalgoE4EjNS0_10empty_typeEbEEZZNS1_14partition_implILS8_4ELb0ES6_15HIP_vector_typeIjLj2EENS0_17counting_iteratorIjlEEPS9_SG_NS0_5tupleIJPjSI_NS0_16reverse_iteratorISI_EEEEENSH_IJSG_SG_SG_EEES9_SI_JZNS1_25segmented_radix_sort_implINS0_14default_configELb0EPKaPaPKlPlN2at6native12_GLOBAL__N_18offset_tEEE10hipError_tPvRmT1_PNSt15iterator_traitsIS12_E10value_typeET2_T3_PNS13_IS18_E10value_typeET4_jRbjT5_S1E_jjP12ihipStream_tbEUljE_ZNSN_ISO_Lb0ESQ_SR_ST_SU_SY_EESZ_S10_S11_S12_S16_S17_S18_S1B_S1C_jS1D_jS1E_S1E_jjS1G_bEUljE0_EEESZ_S10_S11_S18_S1C_S1E_T6_T7_T9_mT8_S1G_bDpT10_ENKUlT_T0_E_clISt17integral_constantIbLb1EES1U_EEDaS1P_S1Q_EUlS1P_E_NS1_11comp_targetILNS1_3genE5ELNS1_11target_archE942ELNS1_3gpuE9ELNS1_3repE0EEENS1_30default_config_static_selectorELNS0_4arch9wavefront6targetE0EEEvS12_.has_dyn_sized_stack, 0
	.set _ZN7rocprim17ROCPRIM_400000_NS6detail17trampoline_kernelINS0_13select_configILj256ELj13ELNS0_17block_load_methodE3ELS4_3ELS4_3ELNS0_20block_scan_algorithmE0ELj4294967295EEENS1_25partition_config_selectorILNS1_17partition_subalgoE4EjNS0_10empty_typeEbEEZZNS1_14partition_implILS8_4ELb0ES6_15HIP_vector_typeIjLj2EENS0_17counting_iteratorIjlEEPS9_SG_NS0_5tupleIJPjSI_NS0_16reverse_iteratorISI_EEEEENSH_IJSG_SG_SG_EEES9_SI_JZNS1_25segmented_radix_sort_implINS0_14default_configELb0EPKaPaPKlPlN2at6native12_GLOBAL__N_18offset_tEEE10hipError_tPvRmT1_PNSt15iterator_traitsIS12_E10value_typeET2_T3_PNS13_IS18_E10value_typeET4_jRbjT5_S1E_jjP12ihipStream_tbEUljE_ZNSN_ISO_Lb0ESQ_SR_ST_SU_SY_EESZ_S10_S11_S12_S16_S17_S18_S1B_S1C_jS1D_jS1E_S1E_jjS1G_bEUljE0_EEESZ_S10_S11_S18_S1C_S1E_T6_T7_T9_mT8_S1G_bDpT10_ENKUlT_T0_E_clISt17integral_constantIbLb1EES1U_EEDaS1P_S1Q_EUlS1P_E_NS1_11comp_targetILNS1_3genE5ELNS1_11target_archE942ELNS1_3gpuE9ELNS1_3repE0EEENS1_30default_config_static_selectorELNS0_4arch9wavefront6targetE0EEEvS12_.has_recursion, 0
	.set _ZN7rocprim17ROCPRIM_400000_NS6detail17trampoline_kernelINS0_13select_configILj256ELj13ELNS0_17block_load_methodE3ELS4_3ELS4_3ELNS0_20block_scan_algorithmE0ELj4294967295EEENS1_25partition_config_selectorILNS1_17partition_subalgoE4EjNS0_10empty_typeEbEEZZNS1_14partition_implILS8_4ELb0ES6_15HIP_vector_typeIjLj2EENS0_17counting_iteratorIjlEEPS9_SG_NS0_5tupleIJPjSI_NS0_16reverse_iteratorISI_EEEEENSH_IJSG_SG_SG_EEES9_SI_JZNS1_25segmented_radix_sort_implINS0_14default_configELb0EPKaPaPKlPlN2at6native12_GLOBAL__N_18offset_tEEE10hipError_tPvRmT1_PNSt15iterator_traitsIS12_E10value_typeET2_T3_PNS13_IS18_E10value_typeET4_jRbjT5_S1E_jjP12ihipStream_tbEUljE_ZNSN_ISO_Lb0ESQ_SR_ST_SU_SY_EESZ_S10_S11_S12_S16_S17_S18_S1B_S1C_jS1D_jS1E_S1E_jjS1G_bEUljE0_EEESZ_S10_S11_S18_S1C_S1E_T6_T7_T9_mT8_S1G_bDpT10_ENKUlT_T0_E_clISt17integral_constantIbLb1EES1U_EEDaS1P_S1Q_EUlS1P_E_NS1_11comp_targetILNS1_3genE5ELNS1_11target_archE942ELNS1_3gpuE9ELNS1_3repE0EEENS1_30default_config_static_selectorELNS0_4arch9wavefront6targetE0EEEvS12_.has_indirect_call, 0
	.section	.AMDGPU.csdata,"",@progbits
; Kernel info:
; codeLenInByte = 0
; TotalNumSgprs: 0
; NumVgprs: 0
; ScratchSize: 0
; MemoryBound: 0
; FloatMode: 240
; IeeeMode: 1
; LDSByteSize: 0 bytes/workgroup (compile time only)
; SGPRBlocks: 0
; VGPRBlocks: 0
; NumSGPRsForWavesPerEU: 1
; NumVGPRsForWavesPerEU: 1
; NamedBarCnt: 0
; Occupancy: 16
; WaveLimiterHint : 0
; COMPUTE_PGM_RSRC2:SCRATCH_EN: 0
; COMPUTE_PGM_RSRC2:USER_SGPR: 2
; COMPUTE_PGM_RSRC2:TRAP_HANDLER: 0
; COMPUTE_PGM_RSRC2:TGID_X_EN: 1
; COMPUTE_PGM_RSRC2:TGID_Y_EN: 0
; COMPUTE_PGM_RSRC2:TGID_Z_EN: 0
; COMPUTE_PGM_RSRC2:TIDIG_COMP_CNT: 0
	.section	.text._ZN7rocprim17ROCPRIM_400000_NS6detail17trampoline_kernelINS0_13select_configILj256ELj13ELNS0_17block_load_methodE3ELS4_3ELS4_3ELNS0_20block_scan_algorithmE0ELj4294967295EEENS1_25partition_config_selectorILNS1_17partition_subalgoE4EjNS0_10empty_typeEbEEZZNS1_14partition_implILS8_4ELb0ES6_15HIP_vector_typeIjLj2EENS0_17counting_iteratorIjlEEPS9_SG_NS0_5tupleIJPjSI_NS0_16reverse_iteratorISI_EEEEENSH_IJSG_SG_SG_EEES9_SI_JZNS1_25segmented_radix_sort_implINS0_14default_configELb0EPKaPaPKlPlN2at6native12_GLOBAL__N_18offset_tEEE10hipError_tPvRmT1_PNSt15iterator_traitsIS12_E10value_typeET2_T3_PNS13_IS18_E10value_typeET4_jRbjT5_S1E_jjP12ihipStream_tbEUljE_ZNSN_ISO_Lb0ESQ_SR_ST_SU_SY_EESZ_S10_S11_S12_S16_S17_S18_S1B_S1C_jS1D_jS1E_S1E_jjS1G_bEUljE0_EEESZ_S10_S11_S18_S1C_S1E_T6_T7_T9_mT8_S1G_bDpT10_ENKUlT_T0_E_clISt17integral_constantIbLb1EES1U_EEDaS1P_S1Q_EUlS1P_E_NS1_11comp_targetILNS1_3genE4ELNS1_11target_archE910ELNS1_3gpuE8ELNS1_3repE0EEENS1_30default_config_static_selectorELNS0_4arch9wavefront6targetE0EEEvS12_,"axG",@progbits,_ZN7rocprim17ROCPRIM_400000_NS6detail17trampoline_kernelINS0_13select_configILj256ELj13ELNS0_17block_load_methodE3ELS4_3ELS4_3ELNS0_20block_scan_algorithmE0ELj4294967295EEENS1_25partition_config_selectorILNS1_17partition_subalgoE4EjNS0_10empty_typeEbEEZZNS1_14partition_implILS8_4ELb0ES6_15HIP_vector_typeIjLj2EENS0_17counting_iteratorIjlEEPS9_SG_NS0_5tupleIJPjSI_NS0_16reverse_iteratorISI_EEEEENSH_IJSG_SG_SG_EEES9_SI_JZNS1_25segmented_radix_sort_implINS0_14default_configELb0EPKaPaPKlPlN2at6native12_GLOBAL__N_18offset_tEEE10hipError_tPvRmT1_PNSt15iterator_traitsIS12_E10value_typeET2_T3_PNS13_IS18_E10value_typeET4_jRbjT5_S1E_jjP12ihipStream_tbEUljE_ZNSN_ISO_Lb0ESQ_SR_ST_SU_SY_EESZ_S10_S11_S12_S16_S17_S18_S1B_S1C_jS1D_jS1E_S1E_jjS1G_bEUljE0_EEESZ_S10_S11_S18_S1C_S1E_T6_T7_T9_mT8_S1G_bDpT10_ENKUlT_T0_E_clISt17integral_constantIbLb1EES1U_EEDaS1P_S1Q_EUlS1P_E_NS1_11comp_targetILNS1_3genE4ELNS1_11target_archE910ELNS1_3gpuE8ELNS1_3repE0EEENS1_30default_config_static_selectorELNS0_4arch9wavefront6targetE0EEEvS12_,comdat
	.globl	_ZN7rocprim17ROCPRIM_400000_NS6detail17trampoline_kernelINS0_13select_configILj256ELj13ELNS0_17block_load_methodE3ELS4_3ELS4_3ELNS0_20block_scan_algorithmE0ELj4294967295EEENS1_25partition_config_selectorILNS1_17partition_subalgoE4EjNS0_10empty_typeEbEEZZNS1_14partition_implILS8_4ELb0ES6_15HIP_vector_typeIjLj2EENS0_17counting_iteratorIjlEEPS9_SG_NS0_5tupleIJPjSI_NS0_16reverse_iteratorISI_EEEEENSH_IJSG_SG_SG_EEES9_SI_JZNS1_25segmented_radix_sort_implINS0_14default_configELb0EPKaPaPKlPlN2at6native12_GLOBAL__N_18offset_tEEE10hipError_tPvRmT1_PNSt15iterator_traitsIS12_E10value_typeET2_T3_PNS13_IS18_E10value_typeET4_jRbjT5_S1E_jjP12ihipStream_tbEUljE_ZNSN_ISO_Lb0ESQ_SR_ST_SU_SY_EESZ_S10_S11_S12_S16_S17_S18_S1B_S1C_jS1D_jS1E_S1E_jjS1G_bEUljE0_EEESZ_S10_S11_S18_S1C_S1E_T6_T7_T9_mT8_S1G_bDpT10_ENKUlT_T0_E_clISt17integral_constantIbLb1EES1U_EEDaS1P_S1Q_EUlS1P_E_NS1_11comp_targetILNS1_3genE4ELNS1_11target_archE910ELNS1_3gpuE8ELNS1_3repE0EEENS1_30default_config_static_selectorELNS0_4arch9wavefront6targetE0EEEvS12_ ; -- Begin function _ZN7rocprim17ROCPRIM_400000_NS6detail17trampoline_kernelINS0_13select_configILj256ELj13ELNS0_17block_load_methodE3ELS4_3ELS4_3ELNS0_20block_scan_algorithmE0ELj4294967295EEENS1_25partition_config_selectorILNS1_17partition_subalgoE4EjNS0_10empty_typeEbEEZZNS1_14partition_implILS8_4ELb0ES6_15HIP_vector_typeIjLj2EENS0_17counting_iteratorIjlEEPS9_SG_NS0_5tupleIJPjSI_NS0_16reverse_iteratorISI_EEEEENSH_IJSG_SG_SG_EEES9_SI_JZNS1_25segmented_radix_sort_implINS0_14default_configELb0EPKaPaPKlPlN2at6native12_GLOBAL__N_18offset_tEEE10hipError_tPvRmT1_PNSt15iterator_traitsIS12_E10value_typeET2_T3_PNS13_IS18_E10value_typeET4_jRbjT5_S1E_jjP12ihipStream_tbEUljE_ZNSN_ISO_Lb0ESQ_SR_ST_SU_SY_EESZ_S10_S11_S12_S16_S17_S18_S1B_S1C_jS1D_jS1E_S1E_jjS1G_bEUljE0_EEESZ_S10_S11_S18_S1C_S1E_T6_T7_T9_mT8_S1G_bDpT10_ENKUlT_T0_E_clISt17integral_constantIbLb1EES1U_EEDaS1P_S1Q_EUlS1P_E_NS1_11comp_targetILNS1_3genE4ELNS1_11target_archE910ELNS1_3gpuE8ELNS1_3repE0EEENS1_30default_config_static_selectorELNS0_4arch9wavefront6targetE0EEEvS12_
	.p2align	8
	.type	_ZN7rocprim17ROCPRIM_400000_NS6detail17trampoline_kernelINS0_13select_configILj256ELj13ELNS0_17block_load_methodE3ELS4_3ELS4_3ELNS0_20block_scan_algorithmE0ELj4294967295EEENS1_25partition_config_selectorILNS1_17partition_subalgoE4EjNS0_10empty_typeEbEEZZNS1_14partition_implILS8_4ELb0ES6_15HIP_vector_typeIjLj2EENS0_17counting_iteratorIjlEEPS9_SG_NS0_5tupleIJPjSI_NS0_16reverse_iteratorISI_EEEEENSH_IJSG_SG_SG_EEES9_SI_JZNS1_25segmented_radix_sort_implINS0_14default_configELb0EPKaPaPKlPlN2at6native12_GLOBAL__N_18offset_tEEE10hipError_tPvRmT1_PNSt15iterator_traitsIS12_E10value_typeET2_T3_PNS13_IS18_E10value_typeET4_jRbjT5_S1E_jjP12ihipStream_tbEUljE_ZNSN_ISO_Lb0ESQ_SR_ST_SU_SY_EESZ_S10_S11_S12_S16_S17_S18_S1B_S1C_jS1D_jS1E_S1E_jjS1G_bEUljE0_EEESZ_S10_S11_S18_S1C_S1E_T6_T7_T9_mT8_S1G_bDpT10_ENKUlT_T0_E_clISt17integral_constantIbLb1EES1U_EEDaS1P_S1Q_EUlS1P_E_NS1_11comp_targetILNS1_3genE4ELNS1_11target_archE910ELNS1_3gpuE8ELNS1_3repE0EEENS1_30default_config_static_selectorELNS0_4arch9wavefront6targetE0EEEvS12_,@function
_ZN7rocprim17ROCPRIM_400000_NS6detail17trampoline_kernelINS0_13select_configILj256ELj13ELNS0_17block_load_methodE3ELS4_3ELS4_3ELNS0_20block_scan_algorithmE0ELj4294967295EEENS1_25partition_config_selectorILNS1_17partition_subalgoE4EjNS0_10empty_typeEbEEZZNS1_14partition_implILS8_4ELb0ES6_15HIP_vector_typeIjLj2EENS0_17counting_iteratorIjlEEPS9_SG_NS0_5tupleIJPjSI_NS0_16reverse_iteratorISI_EEEEENSH_IJSG_SG_SG_EEES9_SI_JZNS1_25segmented_radix_sort_implINS0_14default_configELb0EPKaPaPKlPlN2at6native12_GLOBAL__N_18offset_tEEE10hipError_tPvRmT1_PNSt15iterator_traitsIS12_E10value_typeET2_T3_PNS13_IS18_E10value_typeET4_jRbjT5_S1E_jjP12ihipStream_tbEUljE_ZNSN_ISO_Lb0ESQ_SR_ST_SU_SY_EESZ_S10_S11_S12_S16_S17_S18_S1B_S1C_jS1D_jS1E_S1E_jjS1G_bEUljE0_EEESZ_S10_S11_S18_S1C_S1E_T6_T7_T9_mT8_S1G_bDpT10_ENKUlT_T0_E_clISt17integral_constantIbLb1EES1U_EEDaS1P_S1Q_EUlS1P_E_NS1_11comp_targetILNS1_3genE4ELNS1_11target_archE910ELNS1_3gpuE8ELNS1_3repE0EEENS1_30default_config_static_selectorELNS0_4arch9wavefront6targetE0EEEvS12_: ; @_ZN7rocprim17ROCPRIM_400000_NS6detail17trampoline_kernelINS0_13select_configILj256ELj13ELNS0_17block_load_methodE3ELS4_3ELS4_3ELNS0_20block_scan_algorithmE0ELj4294967295EEENS1_25partition_config_selectorILNS1_17partition_subalgoE4EjNS0_10empty_typeEbEEZZNS1_14partition_implILS8_4ELb0ES6_15HIP_vector_typeIjLj2EENS0_17counting_iteratorIjlEEPS9_SG_NS0_5tupleIJPjSI_NS0_16reverse_iteratorISI_EEEEENSH_IJSG_SG_SG_EEES9_SI_JZNS1_25segmented_radix_sort_implINS0_14default_configELb0EPKaPaPKlPlN2at6native12_GLOBAL__N_18offset_tEEE10hipError_tPvRmT1_PNSt15iterator_traitsIS12_E10value_typeET2_T3_PNS13_IS18_E10value_typeET4_jRbjT5_S1E_jjP12ihipStream_tbEUljE_ZNSN_ISO_Lb0ESQ_SR_ST_SU_SY_EESZ_S10_S11_S12_S16_S17_S18_S1B_S1C_jS1D_jS1E_S1E_jjS1G_bEUljE0_EEESZ_S10_S11_S18_S1C_S1E_T6_T7_T9_mT8_S1G_bDpT10_ENKUlT_T0_E_clISt17integral_constantIbLb1EES1U_EEDaS1P_S1Q_EUlS1P_E_NS1_11comp_targetILNS1_3genE4ELNS1_11target_archE910ELNS1_3gpuE8ELNS1_3repE0EEENS1_30default_config_static_selectorELNS0_4arch9wavefront6targetE0EEEvS12_
; %bb.0:
	.section	.rodata,"a",@progbits
	.p2align	6, 0x0
	.amdhsa_kernel _ZN7rocprim17ROCPRIM_400000_NS6detail17trampoline_kernelINS0_13select_configILj256ELj13ELNS0_17block_load_methodE3ELS4_3ELS4_3ELNS0_20block_scan_algorithmE0ELj4294967295EEENS1_25partition_config_selectorILNS1_17partition_subalgoE4EjNS0_10empty_typeEbEEZZNS1_14partition_implILS8_4ELb0ES6_15HIP_vector_typeIjLj2EENS0_17counting_iteratorIjlEEPS9_SG_NS0_5tupleIJPjSI_NS0_16reverse_iteratorISI_EEEEENSH_IJSG_SG_SG_EEES9_SI_JZNS1_25segmented_radix_sort_implINS0_14default_configELb0EPKaPaPKlPlN2at6native12_GLOBAL__N_18offset_tEEE10hipError_tPvRmT1_PNSt15iterator_traitsIS12_E10value_typeET2_T3_PNS13_IS18_E10value_typeET4_jRbjT5_S1E_jjP12ihipStream_tbEUljE_ZNSN_ISO_Lb0ESQ_SR_ST_SU_SY_EESZ_S10_S11_S12_S16_S17_S18_S1B_S1C_jS1D_jS1E_S1E_jjS1G_bEUljE0_EEESZ_S10_S11_S18_S1C_S1E_T6_T7_T9_mT8_S1G_bDpT10_ENKUlT_T0_E_clISt17integral_constantIbLb1EES1U_EEDaS1P_S1Q_EUlS1P_E_NS1_11comp_targetILNS1_3genE4ELNS1_11target_archE910ELNS1_3gpuE8ELNS1_3repE0EEENS1_30default_config_static_selectorELNS0_4arch9wavefront6targetE0EEEvS12_
		.amdhsa_group_segment_fixed_size 0
		.amdhsa_private_segment_fixed_size 0
		.amdhsa_kernarg_size 184
		.amdhsa_user_sgpr_count 2
		.amdhsa_user_sgpr_dispatch_ptr 0
		.amdhsa_user_sgpr_queue_ptr 0
		.amdhsa_user_sgpr_kernarg_segment_ptr 1
		.amdhsa_user_sgpr_dispatch_id 0
		.amdhsa_user_sgpr_kernarg_preload_length 0
		.amdhsa_user_sgpr_kernarg_preload_offset 0
		.amdhsa_user_sgpr_private_segment_size 0
		.amdhsa_wavefront_size32 1
		.amdhsa_uses_dynamic_stack 0
		.amdhsa_enable_private_segment 0
		.amdhsa_system_sgpr_workgroup_id_x 1
		.amdhsa_system_sgpr_workgroup_id_y 0
		.amdhsa_system_sgpr_workgroup_id_z 0
		.amdhsa_system_sgpr_workgroup_info 0
		.amdhsa_system_vgpr_workitem_id 0
		.amdhsa_next_free_vgpr 1
		.amdhsa_next_free_sgpr 1
		.amdhsa_named_barrier_count 0
		.amdhsa_reserve_vcc 0
		.amdhsa_float_round_mode_32 0
		.amdhsa_float_round_mode_16_64 0
		.amdhsa_float_denorm_mode_32 3
		.amdhsa_float_denorm_mode_16_64 3
		.amdhsa_fp16_overflow 0
		.amdhsa_memory_ordered 1
		.amdhsa_forward_progress 1
		.amdhsa_inst_pref_size 0
		.amdhsa_round_robin_scheduling 0
		.amdhsa_exception_fp_ieee_invalid_op 0
		.amdhsa_exception_fp_denorm_src 0
		.amdhsa_exception_fp_ieee_div_zero 0
		.amdhsa_exception_fp_ieee_overflow 0
		.amdhsa_exception_fp_ieee_underflow 0
		.amdhsa_exception_fp_ieee_inexact 0
		.amdhsa_exception_int_div_zero 0
	.end_amdhsa_kernel
	.section	.text._ZN7rocprim17ROCPRIM_400000_NS6detail17trampoline_kernelINS0_13select_configILj256ELj13ELNS0_17block_load_methodE3ELS4_3ELS4_3ELNS0_20block_scan_algorithmE0ELj4294967295EEENS1_25partition_config_selectorILNS1_17partition_subalgoE4EjNS0_10empty_typeEbEEZZNS1_14partition_implILS8_4ELb0ES6_15HIP_vector_typeIjLj2EENS0_17counting_iteratorIjlEEPS9_SG_NS0_5tupleIJPjSI_NS0_16reverse_iteratorISI_EEEEENSH_IJSG_SG_SG_EEES9_SI_JZNS1_25segmented_radix_sort_implINS0_14default_configELb0EPKaPaPKlPlN2at6native12_GLOBAL__N_18offset_tEEE10hipError_tPvRmT1_PNSt15iterator_traitsIS12_E10value_typeET2_T3_PNS13_IS18_E10value_typeET4_jRbjT5_S1E_jjP12ihipStream_tbEUljE_ZNSN_ISO_Lb0ESQ_SR_ST_SU_SY_EESZ_S10_S11_S12_S16_S17_S18_S1B_S1C_jS1D_jS1E_S1E_jjS1G_bEUljE0_EEESZ_S10_S11_S18_S1C_S1E_T6_T7_T9_mT8_S1G_bDpT10_ENKUlT_T0_E_clISt17integral_constantIbLb1EES1U_EEDaS1P_S1Q_EUlS1P_E_NS1_11comp_targetILNS1_3genE4ELNS1_11target_archE910ELNS1_3gpuE8ELNS1_3repE0EEENS1_30default_config_static_selectorELNS0_4arch9wavefront6targetE0EEEvS12_,"axG",@progbits,_ZN7rocprim17ROCPRIM_400000_NS6detail17trampoline_kernelINS0_13select_configILj256ELj13ELNS0_17block_load_methodE3ELS4_3ELS4_3ELNS0_20block_scan_algorithmE0ELj4294967295EEENS1_25partition_config_selectorILNS1_17partition_subalgoE4EjNS0_10empty_typeEbEEZZNS1_14partition_implILS8_4ELb0ES6_15HIP_vector_typeIjLj2EENS0_17counting_iteratorIjlEEPS9_SG_NS0_5tupleIJPjSI_NS0_16reverse_iteratorISI_EEEEENSH_IJSG_SG_SG_EEES9_SI_JZNS1_25segmented_radix_sort_implINS0_14default_configELb0EPKaPaPKlPlN2at6native12_GLOBAL__N_18offset_tEEE10hipError_tPvRmT1_PNSt15iterator_traitsIS12_E10value_typeET2_T3_PNS13_IS18_E10value_typeET4_jRbjT5_S1E_jjP12ihipStream_tbEUljE_ZNSN_ISO_Lb0ESQ_SR_ST_SU_SY_EESZ_S10_S11_S12_S16_S17_S18_S1B_S1C_jS1D_jS1E_S1E_jjS1G_bEUljE0_EEESZ_S10_S11_S18_S1C_S1E_T6_T7_T9_mT8_S1G_bDpT10_ENKUlT_T0_E_clISt17integral_constantIbLb1EES1U_EEDaS1P_S1Q_EUlS1P_E_NS1_11comp_targetILNS1_3genE4ELNS1_11target_archE910ELNS1_3gpuE8ELNS1_3repE0EEENS1_30default_config_static_selectorELNS0_4arch9wavefront6targetE0EEEvS12_,comdat
.Lfunc_end336:
	.size	_ZN7rocprim17ROCPRIM_400000_NS6detail17trampoline_kernelINS0_13select_configILj256ELj13ELNS0_17block_load_methodE3ELS4_3ELS4_3ELNS0_20block_scan_algorithmE0ELj4294967295EEENS1_25partition_config_selectorILNS1_17partition_subalgoE4EjNS0_10empty_typeEbEEZZNS1_14partition_implILS8_4ELb0ES6_15HIP_vector_typeIjLj2EENS0_17counting_iteratorIjlEEPS9_SG_NS0_5tupleIJPjSI_NS0_16reverse_iteratorISI_EEEEENSH_IJSG_SG_SG_EEES9_SI_JZNS1_25segmented_radix_sort_implINS0_14default_configELb0EPKaPaPKlPlN2at6native12_GLOBAL__N_18offset_tEEE10hipError_tPvRmT1_PNSt15iterator_traitsIS12_E10value_typeET2_T3_PNS13_IS18_E10value_typeET4_jRbjT5_S1E_jjP12ihipStream_tbEUljE_ZNSN_ISO_Lb0ESQ_SR_ST_SU_SY_EESZ_S10_S11_S12_S16_S17_S18_S1B_S1C_jS1D_jS1E_S1E_jjS1G_bEUljE0_EEESZ_S10_S11_S18_S1C_S1E_T6_T7_T9_mT8_S1G_bDpT10_ENKUlT_T0_E_clISt17integral_constantIbLb1EES1U_EEDaS1P_S1Q_EUlS1P_E_NS1_11comp_targetILNS1_3genE4ELNS1_11target_archE910ELNS1_3gpuE8ELNS1_3repE0EEENS1_30default_config_static_selectorELNS0_4arch9wavefront6targetE0EEEvS12_, .Lfunc_end336-_ZN7rocprim17ROCPRIM_400000_NS6detail17trampoline_kernelINS0_13select_configILj256ELj13ELNS0_17block_load_methodE3ELS4_3ELS4_3ELNS0_20block_scan_algorithmE0ELj4294967295EEENS1_25partition_config_selectorILNS1_17partition_subalgoE4EjNS0_10empty_typeEbEEZZNS1_14partition_implILS8_4ELb0ES6_15HIP_vector_typeIjLj2EENS0_17counting_iteratorIjlEEPS9_SG_NS0_5tupleIJPjSI_NS0_16reverse_iteratorISI_EEEEENSH_IJSG_SG_SG_EEES9_SI_JZNS1_25segmented_radix_sort_implINS0_14default_configELb0EPKaPaPKlPlN2at6native12_GLOBAL__N_18offset_tEEE10hipError_tPvRmT1_PNSt15iterator_traitsIS12_E10value_typeET2_T3_PNS13_IS18_E10value_typeET4_jRbjT5_S1E_jjP12ihipStream_tbEUljE_ZNSN_ISO_Lb0ESQ_SR_ST_SU_SY_EESZ_S10_S11_S12_S16_S17_S18_S1B_S1C_jS1D_jS1E_S1E_jjS1G_bEUljE0_EEESZ_S10_S11_S18_S1C_S1E_T6_T7_T9_mT8_S1G_bDpT10_ENKUlT_T0_E_clISt17integral_constantIbLb1EES1U_EEDaS1P_S1Q_EUlS1P_E_NS1_11comp_targetILNS1_3genE4ELNS1_11target_archE910ELNS1_3gpuE8ELNS1_3repE0EEENS1_30default_config_static_selectorELNS0_4arch9wavefront6targetE0EEEvS12_
                                        ; -- End function
	.set _ZN7rocprim17ROCPRIM_400000_NS6detail17trampoline_kernelINS0_13select_configILj256ELj13ELNS0_17block_load_methodE3ELS4_3ELS4_3ELNS0_20block_scan_algorithmE0ELj4294967295EEENS1_25partition_config_selectorILNS1_17partition_subalgoE4EjNS0_10empty_typeEbEEZZNS1_14partition_implILS8_4ELb0ES6_15HIP_vector_typeIjLj2EENS0_17counting_iteratorIjlEEPS9_SG_NS0_5tupleIJPjSI_NS0_16reverse_iteratorISI_EEEEENSH_IJSG_SG_SG_EEES9_SI_JZNS1_25segmented_radix_sort_implINS0_14default_configELb0EPKaPaPKlPlN2at6native12_GLOBAL__N_18offset_tEEE10hipError_tPvRmT1_PNSt15iterator_traitsIS12_E10value_typeET2_T3_PNS13_IS18_E10value_typeET4_jRbjT5_S1E_jjP12ihipStream_tbEUljE_ZNSN_ISO_Lb0ESQ_SR_ST_SU_SY_EESZ_S10_S11_S12_S16_S17_S18_S1B_S1C_jS1D_jS1E_S1E_jjS1G_bEUljE0_EEESZ_S10_S11_S18_S1C_S1E_T6_T7_T9_mT8_S1G_bDpT10_ENKUlT_T0_E_clISt17integral_constantIbLb1EES1U_EEDaS1P_S1Q_EUlS1P_E_NS1_11comp_targetILNS1_3genE4ELNS1_11target_archE910ELNS1_3gpuE8ELNS1_3repE0EEENS1_30default_config_static_selectorELNS0_4arch9wavefront6targetE0EEEvS12_.num_vgpr, 0
	.set _ZN7rocprim17ROCPRIM_400000_NS6detail17trampoline_kernelINS0_13select_configILj256ELj13ELNS0_17block_load_methodE3ELS4_3ELS4_3ELNS0_20block_scan_algorithmE0ELj4294967295EEENS1_25partition_config_selectorILNS1_17partition_subalgoE4EjNS0_10empty_typeEbEEZZNS1_14partition_implILS8_4ELb0ES6_15HIP_vector_typeIjLj2EENS0_17counting_iteratorIjlEEPS9_SG_NS0_5tupleIJPjSI_NS0_16reverse_iteratorISI_EEEEENSH_IJSG_SG_SG_EEES9_SI_JZNS1_25segmented_radix_sort_implINS0_14default_configELb0EPKaPaPKlPlN2at6native12_GLOBAL__N_18offset_tEEE10hipError_tPvRmT1_PNSt15iterator_traitsIS12_E10value_typeET2_T3_PNS13_IS18_E10value_typeET4_jRbjT5_S1E_jjP12ihipStream_tbEUljE_ZNSN_ISO_Lb0ESQ_SR_ST_SU_SY_EESZ_S10_S11_S12_S16_S17_S18_S1B_S1C_jS1D_jS1E_S1E_jjS1G_bEUljE0_EEESZ_S10_S11_S18_S1C_S1E_T6_T7_T9_mT8_S1G_bDpT10_ENKUlT_T0_E_clISt17integral_constantIbLb1EES1U_EEDaS1P_S1Q_EUlS1P_E_NS1_11comp_targetILNS1_3genE4ELNS1_11target_archE910ELNS1_3gpuE8ELNS1_3repE0EEENS1_30default_config_static_selectorELNS0_4arch9wavefront6targetE0EEEvS12_.num_agpr, 0
	.set _ZN7rocprim17ROCPRIM_400000_NS6detail17trampoline_kernelINS0_13select_configILj256ELj13ELNS0_17block_load_methodE3ELS4_3ELS4_3ELNS0_20block_scan_algorithmE0ELj4294967295EEENS1_25partition_config_selectorILNS1_17partition_subalgoE4EjNS0_10empty_typeEbEEZZNS1_14partition_implILS8_4ELb0ES6_15HIP_vector_typeIjLj2EENS0_17counting_iteratorIjlEEPS9_SG_NS0_5tupleIJPjSI_NS0_16reverse_iteratorISI_EEEEENSH_IJSG_SG_SG_EEES9_SI_JZNS1_25segmented_radix_sort_implINS0_14default_configELb0EPKaPaPKlPlN2at6native12_GLOBAL__N_18offset_tEEE10hipError_tPvRmT1_PNSt15iterator_traitsIS12_E10value_typeET2_T3_PNS13_IS18_E10value_typeET4_jRbjT5_S1E_jjP12ihipStream_tbEUljE_ZNSN_ISO_Lb0ESQ_SR_ST_SU_SY_EESZ_S10_S11_S12_S16_S17_S18_S1B_S1C_jS1D_jS1E_S1E_jjS1G_bEUljE0_EEESZ_S10_S11_S18_S1C_S1E_T6_T7_T9_mT8_S1G_bDpT10_ENKUlT_T0_E_clISt17integral_constantIbLb1EES1U_EEDaS1P_S1Q_EUlS1P_E_NS1_11comp_targetILNS1_3genE4ELNS1_11target_archE910ELNS1_3gpuE8ELNS1_3repE0EEENS1_30default_config_static_selectorELNS0_4arch9wavefront6targetE0EEEvS12_.numbered_sgpr, 0
	.set _ZN7rocprim17ROCPRIM_400000_NS6detail17trampoline_kernelINS0_13select_configILj256ELj13ELNS0_17block_load_methodE3ELS4_3ELS4_3ELNS0_20block_scan_algorithmE0ELj4294967295EEENS1_25partition_config_selectorILNS1_17partition_subalgoE4EjNS0_10empty_typeEbEEZZNS1_14partition_implILS8_4ELb0ES6_15HIP_vector_typeIjLj2EENS0_17counting_iteratorIjlEEPS9_SG_NS0_5tupleIJPjSI_NS0_16reverse_iteratorISI_EEEEENSH_IJSG_SG_SG_EEES9_SI_JZNS1_25segmented_radix_sort_implINS0_14default_configELb0EPKaPaPKlPlN2at6native12_GLOBAL__N_18offset_tEEE10hipError_tPvRmT1_PNSt15iterator_traitsIS12_E10value_typeET2_T3_PNS13_IS18_E10value_typeET4_jRbjT5_S1E_jjP12ihipStream_tbEUljE_ZNSN_ISO_Lb0ESQ_SR_ST_SU_SY_EESZ_S10_S11_S12_S16_S17_S18_S1B_S1C_jS1D_jS1E_S1E_jjS1G_bEUljE0_EEESZ_S10_S11_S18_S1C_S1E_T6_T7_T9_mT8_S1G_bDpT10_ENKUlT_T0_E_clISt17integral_constantIbLb1EES1U_EEDaS1P_S1Q_EUlS1P_E_NS1_11comp_targetILNS1_3genE4ELNS1_11target_archE910ELNS1_3gpuE8ELNS1_3repE0EEENS1_30default_config_static_selectorELNS0_4arch9wavefront6targetE0EEEvS12_.num_named_barrier, 0
	.set _ZN7rocprim17ROCPRIM_400000_NS6detail17trampoline_kernelINS0_13select_configILj256ELj13ELNS0_17block_load_methodE3ELS4_3ELS4_3ELNS0_20block_scan_algorithmE0ELj4294967295EEENS1_25partition_config_selectorILNS1_17partition_subalgoE4EjNS0_10empty_typeEbEEZZNS1_14partition_implILS8_4ELb0ES6_15HIP_vector_typeIjLj2EENS0_17counting_iteratorIjlEEPS9_SG_NS0_5tupleIJPjSI_NS0_16reverse_iteratorISI_EEEEENSH_IJSG_SG_SG_EEES9_SI_JZNS1_25segmented_radix_sort_implINS0_14default_configELb0EPKaPaPKlPlN2at6native12_GLOBAL__N_18offset_tEEE10hipError_tPvRmT1_PNSt15iterator_traitsIS12_E10value_typeET2_T3_PNS13_IS18_E10value_typeET4_jRbjT5_S1E_jjP12ihipStream_tbEUljE_ZNSN_ISO_Lb0ESQ_SR_ST_SU_SY_EESZ_S10_S11_S12_S16_S17_S18_S1B_S1C_jS1D_jS1E_S1E_jjS1G_bEUljE0_EEESZ_S10_S11_S18_S1C_S1E_T6_T7_T9_mT8_S1G_bDpT10_ENKUlT_T0_E_clISt17integral_constantIbLb1EES1U_EEDaS1P_S1Q_EUlS1P_E_NS1_11comp_targetILNS1_3genE4ELNS1_11target_archE910ELNS1_3gpuE8ELNS1_3repE0EEENS1_30default_config_static_selectorELNS0_4arch9wavefront6targetE0EEEvS12_.private_seg_size, 0
	.set _ZN7rocprim17ROCPRIM_400000_NS6detail17trampoline_kernelINS0_13select_configILj256ELj13ELNS0_17block_load_methodE3ELS4_3ELS4_3ELNS0_20block_scan_algorithmE0ELj4294967295EEENS1_25partition_config_selectorILNS1_17partition_subalgoE4EjNS0_10empty_typeEbEEZZNS1_14partition_implILS8_4ELb0ES6_15HIP_vector_typeIjLj2EENS0_17counting_iteratorIjlEEPS9_SG_NS0_5tupleIJPjSI_NS0_16reverse_iteratorISI_EEEEENSH_IJSG_SG_SG_EEES9_SI_JZNS1_25segmented_radix_sort_implINS0_14default_configELb0EPKaPaPKlPlN2at6native12_GLOBAL__N_18offset_tEEE10hipError_tPvRmT1_PNSt15iterator_traitsIS12_E10value_typeET2_T3_PNS13_IS18_E10value_typeET4_jRbjT5_S1E_jjP12ihipStream_tbEUljE_ZNSN_ISO_Lb0ESQ_SR_ST_SU_SY_EESZ_S10_S11_S12_S16_S17_S18_S1B_S1C_jS1D_jS1E_S1E_jjS1G_bEUljE0_EEESZ_S10_S11_S18_S1C_S1E_T6_T7_T9_mT8_S1G_bDpT10_ENKUlT_T0_E_clISt17integral_constantIbLb1EES1U_EEDaS1P_S1Q_EUlS1P_E_NS1_11comp_targetILNS1_3genE4ELNS1_11target_archE910ELNS1_3gpuE8ELNS1_3repE0EEENS1_30default_config_static_selectorELNS0_4arch9wavefront6targetE0EEEvS12_.uses_vcc, 0
	.set _ZN7rocprim17ROCPRIM_400000_NS6detail17trampoline_kernelINS0_13select_configILj256ELj13ELNS0_17block_load_methodE3ELS4_3ELS4_3ELNS0_20block_scan_algorithmE0ELj4294967295EEENS1_25partition_config_selectorILNS1_17partition_subalgoE4EjNS0_10empty_typeEbEEZZNS1_14partition_implILS8_4ELb0ES6_15HIP_vector_typeIjLj2EENS0_17counting_iteratorIjlEEPS9_SG_NS0_5tupleIJPjSI_NS0_16reverse_iteratorISI_EEEEENSH_IJSG_SG_SG_EEES9_SI_JZNS1_25segmented_radix_sort_implINS0_14default_configELb0EPKaPaPKlPlN2at6native12_GLOBAL__N_18offset_tEEE10hipError_tPvRmT1_PNSt15iterator_traitsIS12_E10value_typeET2_T3_PNS13_IS18_E10value_typeET4_jRbjT5_S1E_jjP12ihipStream_tbEUljE_ZNSN_ISO_Lb0ESQ_SR_ST_SU_SY_EESZ_S10_S11_S12_S16_S17_S18_S1B_S1C_jS1D_jS1E_S1E_jjS1G_bEUljE0_EEESZ_S10_S11_S18_S1C_S1E_T6_T7_T9_mT8_S1G_bDpT10_ENKUlT_T0_E_clISt17integral_constantIbLb1EES1U_EEDaS1P_S1Q_EUlS1P_E_NS1_11comp_targetILNS1_3genE4ELNS1_11target_archE910ELNS1_3gpuE8ELNS1_3repE0EEENS1_30default_config_static_selectorELNS0_4arch9wavefront6targetE0EEEvS12_.uses_flat_scratch, 0
	.set _ZN7rocprim17ROCPRIM_400000_NS6detail17trampoline_kernelINS0_13select_configILj256ELj13ELNS0_17block_load_methodE3ELS4_3ELS4_3ELNS0_20block_scan_algorithmE0ELj4294967295EEENS1_25partition_config_selectorILNS1_17partition_subalgoE4EjNS0_10empty_typeEbEEZZNS1_14partition_implILS8_4ELb0ES6_15HIP_vector_typeIjLj2EENS0_17counting_iteratorIjlEEPS9_SG_NS0_5tupleIJPjSI_NS0_16reverse_iteratorISI_EEEEENSH_IJSG_SG_SG_EEES9_SI_JZNS1_25segmented_radix_sort_implINS0_14default_configELb0EPKaPaPKlPlN2at6native12_GLOBAL__N_18offset_tEEE10hipError_tPvRmT1_PNSt15iterator_traitsIS12_E10value_typeET2_T3_PNS13_IS18_E10value_typeET4_jRbjT5_S1E_jjP12ihipStream_tbEUljE_ZNSN_ISO_Lb0ESQ_SR_ST_SU_SY_EESZ_S10_S11_S12_S16_S17_S18_S1B_S1C_jS1D_jS1E_S1E_jjS1G_bEUljE0_EEESZ_S10_S11_S18_S1C_S1E_T6_T7_T9_mT8_S1G_bDpT10_ENKUlT_T0_E_clISt17integral_constantIbLb1EES1U_EEDaS1P_S1Q_EUlS1P_E_NS1_11comp_targetILNS1_3genE4ELNS1_11target_archE910ELNS1_3gpuE8ELNS1_3repE0EEENS1_30default_config_static_selectorELNS0_4arch9wavefront6targetE0EEEvS12_.has_dyn_sized_stack, 0
	.set _ZN7rocprim17ROCPRIM_400000_NS6detail17trampoline_kernelINS0_13select_configILj256ELj13ELNS0_17block_load_methodE3ELS4_3ELS4_3ELNS0_20block_scan_algorithmE0ELj4294967295EEENS1_25partition_config_selectorILNS1_17partition_subalgoE4EjNS0_10empty_typeEbEEZZNS1_14partition_implILS8_4ELb0ES6_15HIP_vector_typeIjLj2EENS0_17counting_iteratorIjlEEPS9_SG_NS0_5tupleIJPjSI_NS0_16reverse_iteratorISI_EEEEENSH_IJSG_SG_SG_EEES9_SI_JZNS1_25segmented_radix_sort_implINS0_14default_configELb0EPKaPaPKlPlN2at6native12_GLOBAL__N_18offset_tEEE10hipError_tPvRmT1_PNSt15iterator_traitsIS12_E10value_typeET2_T3_PNS13_IS18_E10value_typeET4_jRbjT5_S1E_jjP12ihipStream_tbEUljE_ZNSN_ISO_Lb0ESQ_SR_ST_SU_SY_EESZ_S10_S11_S12_S16_S17_S18_S1B_S1C_jS1D_jS1E_S1E_jjS1G_bEUljE0_EEESZ_S10_S11_S18_S1C_S1E_T6_T7_T9_mT8_S1G_bDpT10_ENKUlT_T0_E_clISt17integral_constantIbLb1EES1U_EEDaS1P_S1Q_EUlS1P_E_NS1_11comp_targetILNS1_3genE4ELNS1_11target_archE910ELNS1_3gpuE8ELNS1_3repE0EEENS1_30default_config_static_selectorELNS0_4arch9wavefront6targetE0EEEvS12_.has_recursion, 0
	.set _ZN7rocprim17ROCPRIM_400000_NS6detail17trampoline_kernelINS0_13select_configILj256ELj13ELNS0_17block_load_methodE3ELS4_3ELS4_3ELNS0_20block_scan_algorithmE0ELj4294967295EEENS1_25partition_config_selectorILNS1_17partition_subalgoE4EjNS0_10empty_typeEbEEZZNS1_14partition_implILS8_4ELb0ES6_15HIP_vector_typeIjLj2EENS0_17counting_iteratorIjlEEPS9_SG_NS0_5tupleIJPjSI_NS0_16reverse_iteratorISI_EEEEENSH_IJSG_SG_SG_EEES9_SI_JZNS1_25segmented_radix_sort_implINS0_14default_configELb0EPKaPaPKlPlN2at6native12_GLOBAL__N_18offset_tEEE10hipError_tPvRmT1_PNSt15iterator_traitsIS12_E10value_typeET2_T3_PNS13_IS18_E10value_typeET4_jRbjT5_S1E_jjP12ihipStream_tbEUljE_ZNSN_ISO_Lb0ESQ_SR_ST_SU_SY_EESZ_S10_S11_S12_S16_S17_S18_S1B_S1C_jS1D_jS1E_S1E_jjS1G_bEUljE0_EEESZ_S10_S11_S18_S1C_S1E_T6_T7_T9_mT8_S1G_bDpT10_ENKUlT_T0_E_clISt17integral_constantIbLb1EES1U_EEDaS1P_S1Q_EUlS1P_E_NS1_11comp_targetILNS1_3genE4ELNS1_11target_archE910ELNS1_3gpuE8ELNS1_3repE0EEENS1_30default_config_static_selectorELNS0_4arch9wavefront6targetE0EEEvS12_.has_indirect_call, 0
	.section	.AMDGPU.csdata,"",@progbits
; Kernel info:
; codeLenInByte = 0
; TotalNumSgprs: 0
; NumVgprs: 0
; ScratchSize: 0
; MemoryBound: 0
; FloatMode: 240
; IeeeMode: 1
; LDSByteSize: 0 bytes/workgroup (compile time only)
; SGPRBlocks: 0
; VGPRBlocks: 0
; NumSGPRsForWavesPerEU: 1
; NumVGPRsForWavesPerEU: 1
; NamedBarCnt: 0
; Occupancy: 16
; WaveLimiterHint : 0
; COMPUTE_PGM_RSRC2:SCRATCH_EN: 0
; COMPUTE_PGM_RSRC2:USER_SGPR: 2
; COMPUTE_PGM_RSRC2:TRAP_HANDLER: 0
; COMPUTE_PGM_RSRC2:TGID_X_EN: 1
; COMPUTE_PGM_RSRC2:TGID_Y_EN: 0
; COMPUTE_PGM_RSRC2:TGID_Z_EN: 0
; COMPUTE_PGM_RSRC2:TIDIG_COMP_CNT: 0
	.section	.text._ZN7rocprim17ROCPRIM_400000_NS6detail17trampoline_kernelINS0_13select_configILj256ELj13ELNS0_17block_load_methodE3ELS4_3ELS4_3ELNS0_20block_scan_algorithmE0ELj4294967295EEENS1_25partition_config_selectorILNS1_17partition_subalgoE4EjNS0_10empty_typeEbEEZZNS1_14partition_implILS8_4ELb0ES6_15HIP_vector_typeIjLj2EENS0_17counting_iteratorIjlEEPS9_SG_NS0_5tupleIJPjSI_NS0_16reverse_iteratorISI_EEEEENSH_IJSG_SG_SG_EEES9_SI_JZNS1_25segmented_radix_sort_implINS0_14default_configELb0EPKaPaPKlPlN2at6native12_GLOBAL__N_18offset_tEEE10hipError_tPvRmT1_PNSt15iterator_traitsIS12_E10value_typeET2_T3_PNS13_IS18_E10value_typeET4_jRbjT5_S1E_jjP12ihipStream_tbEUljE_ZNSN_ISO_Lb0ESQ_SR_ST_SU_SY_EESZ_S10_S11_S12_S16_S17_S18_S1B_S1C_jS1D_jS1E_S1E_jjS1G_bEUljE0_EEESZ_S10_S11_S18_S1C_S1E_T6_T7_T9_mT8_S1G_bDpT10_ENKUlT_T0_E_clISt17integral_constantIbLb1EES1U_EEDaS1P_S1Q_EUlS1P_E_NS1_11comp_targetILNS1_3genE3ELNS1_11target_archE908ELNS1_3gpuE7ELNS1_3repE0EEENS1_30default_config_static_selectorELNS0_4arch9wavefront6targetE0EEEvS12_,"axG",@progbits,_ZN7rocprim17ROCPRIM_400000_NS6detail17trampoline_kernelINS0_13select_configILj256ELj13ELNS0_17block_load_methodE3ELS4_3ELS4_3ELNS0_20block_scan_algorithmE0ELj4294967295EEENS1_25partition_config_selectorILNS1_17partition_subalgoE4EjNS0_10empty_typeEbEEZZNS1_14partition_implILS8_4ELb0ES6_15HIP_vector_typeIjLj2EENS0_17counting_iteratorIjlEEPS9_SG_NS0_5tupleIJPjSI_NS0_16reverse_iteratorISI_EEEEENSH_IJSG_SG_SG_EEES9_SI_JZNS1_25segmented_radix_sort_implINS0_14default_configELb0EPKaPaPKlPlN2at6native12_GLOBAL__N_18offset_tEEE10hipError_tPvRmT1_PNSt15iterator_traitsIS12_E10value_typeET2_T3_PNS13_IS18_E10value_typeET4_jRbjT5_S1E_jjP12ihipStream_tbEUljE_ZNSN_ISO_Lb0ESQ_SR_ST_SU_SY_EESZ_S10_S11_S12_S16_S17_S18_S1B_S1C_jS1D_jS1E_S1E_jjS1G_bEUljE0_EEESZ_S10_S11_S18_S1C_S1E_T6_T7_T9_mT8_S1G_bDpT10_ENKUlT_T0_E_clISt17integral_constantIbLb1EES1U_EEDaS1P_S1Q_EUlS1P_E_NS1_11comp_targetILNS1_3genE3ELNS1_11target_archE908ELNS1_3gpuE7ELNS1_3repE0EEENS1_30default_config_static_selectorELNS0_4arch9wavefront6targetE0EEEvS12_,comdat
	.globl	_ZN7rocprim17ROCPRIM_400000_NS6detail17trampoline_kernelINS0_13select_configILj256ELj13ELNS0_17block_load_methodE3ELS4_3ELS4_3ELNS0_20block_scan_algorithmE0ELj4294967295EEENS1_25partition_config_selectorILNS1_17partition_subalgoE4EjNS0_10empty_typeEbEEZZNS1_14partition_implILS8_4ELb0ES6_15HIP_vector_typeIjLj2EENS0_17counting_iteratorIjlEEPS9_SG_NS0_5tupleIJPjSI_NS0_16reverse_iteratorISI_EEEEENSH_IJSG_SG_SG_EEES9_SI_JZNS1_25segmented_radix_sort_implINS0_14default_configELb0EPKaPaPKlPlN2at6native12_GLOBAL__N_18offset_tEEE10hipError_tPvRmT1_PNSt15iterator_traitsIS12_E10value_typeET2_T3_PNS13_IS18_E10value_typeET4_jRbjT5_S1E_jjP12ihipStream_tbEUljE_ZNSN_ISO_Lb0ESQ_SR_ST_SU_SY_EESZ_S10_S11_S12_S16_S17_S18_S1B_S1C_jS1D_jS1E_S1E_jjS1G_bEUljE0_EEESZ_S10_S11_S18_S1C_S1E_T6_T7_T9_mT8_S1G_bDpT10_ENKUlT_T0_E_clISt17integral_constantIbLb1EES1U_EEDaS1P_S1Q_EUlS1P_E_NS1_11comp_targetILNS1_3genE3ELNS1_11target_archE908ELNS1_3gpuE7ELNS1_3repE0EEENS1_30default_config_static_selectorELNS0_4arch9wavefront6targetE0EEEvS12_ ; -- Begin function _ZN7rocprim17ROCPRIM_400000_NS6detail17trampoline_kernelINS0_13select_configILj256ELj13ELNS0_17block_load_methodE3ELS4_3ELS4_3ELNS0_20block_scan_algorithmE0ELj4294967295EEENS1_25partition_config_selectorILNS1_17partition_subalgoE4EjNS0_10empty_typeEbEEZZNS1_14partition_implILS8_4ELb0ES6_15HIP_vector_typeIjLj2EENS0_17counting_iteratorIjlEEPS9_SG_NS0_5tupleIJPjSI_NS0_16reverse_iteratorISI_EEEEENSH_IJSG_SG_SG_EEES9_SI_JZNS1_25segmented_radix_sort_implINS0_14default_configELb0EPKaPaPKlPlN2at6native12_GLOBAL__N_18offset_tEEE10hipError_tPvRmT1_PNSt15iterator_traitsIS12_E10value_typeET2_T3_PNS13_IS18_E10value_typeET4_jRbjT5_S1E_jjP12ihipStream_tbEUljE_ZNSN_ISO_Lb0ESQ_SR_ST_SU_SY_EESZ_S10_S11_S12_S16_S17_S18_S1B_S1C_jS1D_jS1E_S1E_jjS1G_bEUljE0_EEESZ_S10_S11_S18_S1C_S1E_T6_T7_T9_mT8_S1G_bDpT10_ENKUlT_T0_E_clISt17integral_constantIbLb1EES1U_EEDaS1P_S1Q_EUlS1P_E_NS1_11comp_targetILNS1_3genE3ELNS1_11target_archE908ELNS1_3gpuE7ELNS1_3repE0EEENS1_30default_config_static_selectorELNS0_4arch9wavefront6targetE0EEEvS12_
	.p2align	8
	.type	_ZN7rocprim17ROCPRIM_400000_NS6detail17trampoline_kernelINS0_13select_configILj256ELj13ELNS0_17block_load_methodE3ELS4_3ELS4_3ELNS0_20block_scan_algorithmE0ELj4294967295EEENS1_25partition_config_selectorILNS1_17partition_subalgoE4EjNS0_10empty_typeEbEEZZNS1_14partition_implILS8_4ELb0ES6_15HIP_vector_typeIjLj2EENS0_17counting_iteratorIjlEEPS9_SG_NS0_5tupleIJPjSI_NS0_16reverse_iteratorISI_EEEEENSH_IJSG_SG_SG_EEES9_SI_JZNS1_25segmented_radix_sort_implINS0_14default_configELb0EPKaPaPKlPlN2at6native12_GLOBAL__N_18offset_tEEE10hipError_tPvRmT1_PNSt15iterator_traitsIS12_E10value_typeET2_T3_PNS13_IS18_E10value_typeET4_jRbjT5_S1E_jjP12ihipStream_tbEUljE_ZNSN_ISO_Lb0ESQ_SR_ST_SU_SY_EESZ_S10_S11_S12_S16_S17_S18_S1B_S1C_jS1D_jS1E_S1E_jjS1G_bEUljE0_EEESZ_S10_S11_S18_S1C_S1E_T6_T7_T9_mT8_S1G_bDpT10_ENKUlT_T0_E_clISt17integral_constantIbLb1EES1U_EEDaS1P_S1Q_EUlS1P_E_NS1_11comp_targetILNS1_3genE3ELNS1_11target_archE908ELNS1_3gpuE7ELNS1_3repE0EEENS1_30default_config_static_selectorELNS0_4arch9wavefront6targetE0EEEvS12_,@function
_ZN7rocprim17ROCPRIM_400000_NS6detail17trampoline_kernelINS0_13select_configILj256ELj13ELNS0_17block_load_methodE3ELS4_3ELS4_3ELNS0_20block_scan_algorithmE0ELj4294967295EEENS1_25partition_config_selectorILNS1_17partition_subalgoE4EjNS0_10empty_typeEbEEZZNS1_14partition_implILS8_4ELb0ES6_15HIP_vector_typeIjLj2EENS0_17counting_iteratorIjlEEPS9_SG_NS0_5tupleIJPjSI_NS0_16reverse_iteratorISI_EEEEENSH_IJSG_SG_SG_EEES9_SI_JZNS1_25segmented_radix_sort_implINS0_14default_configELb0EPKaPaPKlPlN2at6native12_GLOBAL__N_18offset_tEEE10hipError_tPvRmT1_PNSt15iterator_traitsIS12_E10value_typeET2_T3_PNS13_IS18_E10value_typeET4_jRbjT5_S1E_jjP12ihipStream_tbEUljE_ZNSN_ISO_Lb0ESQ_SR_ST_SU_SY_EESZ_S10_S11_S12_S16_S17_S18_S1B_S1C_jS1D_jS1E_S1E_jjS1G_bEUljE0_EEESZ_S10_S11_S18_S1C_S1E_T6_T7_T9_mT8_S1G_bDpT10_ENKUlT_T0_E_clISt17integral_constantIbLb1EES1U_EEDaS1P_S1Q_EUlS1P_E_NS1_11comp_targetILNS1_3genE3ELNS1_11target_archE908ELNS1_3gpuE7ELNS1_3repE0EEENS1_30default_config_static_selectorELNS0_4arch9wavefront6targetE0EEEvS12_: ; @_ZN7rocprim17ROCPRIM_400000_NS6detail17trampoline_kernelINS0_13select_configILj256ELj13ELNS0_17block_load_methodE3ELS4_3ELS4_3ELNS0_20block_scan_algorithmE0ELj4294967295EEENS1_25partition_config_selectorILNS1_17partition_subalgoE4EjNS0_10empty_typeEbEEZZNS1_14partition_implILS8_4ELb0ES6_15HIP_vector_typeIjLj2EENS0_17counting_iteratorIjlEEPS9_SG_NS0_5tupleIJPjSI_NS0_16reverse_iteratorISI_EEEEENSH_IJSG_SG_SG_EEES9_SI_JZNS1_25segmented_radix_sort_implINS0_14default_configELb0EPKaPaPKlPlN2at6native12_GLOBAL__N_18offset_tEEE10hipError_tPvRmT1_PNSt15iterator_traitsIS12_E10value_typeET2_T3_PNS13_IS18_E10value_typeET4_jRbjT5_S1E_jjP12ihipStream_tbEUljE_ZNSN_ISO_Lb0ESQ_SR_ST_SU_SY_EESZ_S10_S11_S12_S16_S17_S18_S1B_S1C_jS1D_jS1E_S1E_jjS1G_bEUljE0_EEESZ_S10_S11_S18_S1C_S1E_T6_T7_T9_mT8_S1G_bDpT10_ENKUlT_T0_E_clISt17integral_constantIbLb1EES1U_EEDaS1P_S1Q_EUlS1P_E_NS1_11comp_targetILNS1_3genE3ELNS1_11target_archE908ELNS1_3gpuE7ELNS1_3repE0EEENS1_30default_config_static_selectorELNS0_4arch9wavefront6targetE0EEEvS12_
; %bb.0:
	.section	.rodata,"a",@progbits
	.p2align	6, 0x0
	.amdhsa_kernel _ZN7rocprim17ROCPRIM_400000_NS6detail17trampoline_kernelINS0_13select_configILj256ELj13ELNS0_17block_load_methodE3ELS4_3ELS4_3ELNS0_20block_scan_algorithmE0ELj4294967295EEENS1_25partition_config_selectorILNS1_17partition_subalgoE4EjNS0_10empty_typeEbEEZZNS1_14partition_implILS8_4ELb0ES6_15HIP_vector_typeIjLj2EENS0_17counting_iteratorIjlEEPS9_SG_NS0_5tupleIJPjSI_NS0_16reverse_iteratorISI_EEEEENSH_IJSG_SG_SG_EEES9_SI_JZNS1_25segmented_radix_sort_implINS0_14default_configELb0EPKaPaPKlPlN2at6native12_GLOBAL__N_18offset_tEEE10hipError_tPvRmT1_PNSt15iterator_traitsIS12_E10value_typeET2_T3_PNS13_IS18_E10value_typeET4_jRbjT5_S1E_jjP12ihipStream_tbEUljE_ZNSN_ISO_Lb0ESQ_SR_ST_SU_SY_EESZ_S10_S11_S12_S16_S17_S18_S1B_S1C_jS1D_jS1E_S1E_jjS1G_bEUljE0_EEESZ_S10_S11_S18_S1C_S1E_T6_T7_T9_mT8_S1G_bDpT10_ENKUlT_T0_E_clISt17integral_constantIbLb1EES1U_EEDaS1P_S1Q_EUlS1P_E_NS1_11comp_targetILNS1_3genE3ELNS1_11target_archE908ELNS1_3gpuE7ELNS1_3repE0EEENS1_30default_config_static_selectorELNS0_4arch9wavefront6targetE0EEEvS12_
		.amdhsa_group_segment_fixed_size 0
		.amdhsa_private_segment_fixed_size 0
		.amdhsa_kernarg_size 184
		.amdhsa_user_sgpr_count 2
		.amdhsa_user_sgpr_dispatch_ptr 0
		.amdhsa_user_sgpr_queue_ptr 0
		.amdhsa_user_sgpr_kernarg_segment_ptr 1
		.amdhsa_user_sgpr_dispatch_id 0
		.amdhsa_user_sgpr_kernarg_preload_length 0
		.amdhsa_user_sgpr_kernarg_preload_offset 0
		.amdhsa_user_sgpr_private_segment_size 0
		.amdhsa_wavefront_size32 1
		.amdhsa_uses_dynamic_stack 0
		.amdhsa_enable_private_segment 0
		.amdhsa_system_sgpr_workgroup_id_x 1
		.amdhsa_system_sgpr_workgroup_id_y 0
		.amdhsa_system_sgpr_workgroup_id_z 0
		.amdhsa_system_sgpr_workgroup_info 0
		.amdhsa_system_vgpr_workitem_id 0
		.amdhsa_next_free_vgpr 1
		.amdhsa_next_free_sgpr 1
		.amdhsa_named_barrier_count 0
		.amdhsa_reserve_vcc 0
		.amdhsa_float_round_mode_32 0
		.amdhsa_float_round_mode_16_64 0
		.amdhsa_float_denorm_mode_32 3
		.amdhsa_float_denorm_mode_16_64 3
		.amdhsa_fp16_overflow 0
		.amdhsa_memory_ordered 1
		.amdhsa_forward_progress 1
		.amdhsa_inst_pref_size 0
		.amdhsa_round_robin_scheduling 0
		.amdhsa_exception_fp_ieee_invalid_op 0
		.amdhsa_exception_fp_denorm_src 0
		.amdhsa_exception_fp_ieee_div_zero 0
		.amdhsa_exception_fp_ieee_overflow 0
		.amdhsa_exception_fp_ieee_underflow 0
		.amdhsa_exception_fp_ieee_inexact 0
		.amdhsa_exception_int_div_zero 0
	.end_amdhsa_kernel
	.section	.text._ZN7rocprim17ROCPRIM_400000_NS6detail17trampoline_kernelINS0_13select_configILj256ELj13ELNS0_17block_load_methodE3ELS4_3ELS4_3ELNS0_20block_scan_algorithmE0ELj4294967295EEENS1_25partition_config_selectorILNS1_17partition_subalgoE4EjNS0_10empty_typeEbEEZZNS1_14partition_implILS8_4ELb0ES6_15HIP_vector_typeIjLj2EENS0_17counting_iteratorIjlEEPS9_SG_NS0_5tupleIJPjSI_NS0_16reverse_iteratorISI_EEEEENSH_IJSG_SG_SG_EEES9_SI_JZNS1_25segmented_radix_sort_implINS0_14default_configELb0EPKaPaPKlPlN2at6native12_GLOBAL__N_18offset_tEEE10hipError_tPvRmT1_PNSt15iterator_traitsIS12_E10value_typeET2_T3_PNS13_IS18_E10value_typeET4_jRbjT5_S1E_jjP12ihipStream_tbEUljE_ZNSN_ISO_Lb0ESQ_SR_ST_SU_SY_EESZ_S10_S11_S12_S16_S17_S18_S1B_S1C_jS1D_jS1E_S1E_jjS1G_bEUljE0_EEESZ_S10_S11_S18_S1C_S1E_T6_T7_T9_mT8_S1G_bDpT10_ENKUlT_T0_E_clISt17integral_constantIbLb1EES1U_EEDaS1P_S1Q_EUlS1P_E_NS1_11comp_targetILNS1_3genE3ELNS1_11target_archE908ELNS1_3gpuE7ELNS1_3repE0EEENS1_30default_config_static_selectorELNS0_4arch9wavefront6targetE0EEEvS12_,"axG",@progbits,_ZN7rocprim17ROCPRIM_400000_NS6detail17trampoline_kernelINS0_13select_configILj256ELj13ELNS0_17block_load_methodE3ELS4_3ELS4_3ELNS0_20block_scan_algorithmE0ELj4294967295EEENS1_25partition_config_selectorILNS1_17partition_subalgoE4EjNS0_10empty_typeEbEEZZNS1_14partition_implILS8_4ELb0ES6_15HIP_vector_typeIjLj2EENS0_17counting_iteratorIjlEEPS9_SG_NS0_5tupleIJPjSI_NS0_16reverse_iteratorISI_EEEEENSH_IJSG_SG_SG_EEES9_SI_JZNS1_25segmented_radix_sort_implINS0_14default_configELb0EPKaPaPKlPlN2at6native12_GLOBAL__N_18offset_tEEE10hipError_tPvRmT1_PNSt15iterator_traitsIS12_E10value_typeET2_T3_PNS13_IS18_E10value_typeET4_jRbjT5_S1E_jjP12ihipStream_tbEUljE_ZNSN_ISO_Lb0ESQ_SR_ST_SU_SY_EESZ_S10_S11_S12_S16_S17_S18_S1B_S1C_jS1D_jS1E_S1E_jjS1G_bEUljE0_EEESZ_S10_S11_S18_S1C_S1E_T6_T7_T9_mT8_S1G_bDpT10_ENKUlT_T0_E_clISt17integral_constantIbLb1EES1U_EEDaS1P_S1Q_EUlS1P_E_NS1_11comp_targetILNS1_3genE3ELNS1_11target_archE908ELNS1_3gpuE7ELNS1_3repE0EEENS1_30default_config_static_selectorELNS0_4arch9wavefront6targetE0EEEvS12_,comdat
.Lfunc_end337:
	.size	_ZN7rocprim17ROCPRIM_400000_NS6detail17trampoline_kernelINS0_13select_configILj256ELj13ELNS0_17block_load_methodE3ELS4_3ELS4_3ELNS0_20block_scan_algorithmE0ELj4294967295EEENS1_25partition_config_selectorILNS1_17partition_subalgoE4EjNS0_10empty_typeEbEEZZNS1_14partition_implILS8_4ELb0ES6_15HIP_vector_typeIjLj2EENS0_17counting_iteratorIjlEEPS9_SG_NS0_5tupleIJPjSI_NS0_16reverse_iteratorISI_EEEEENSH_IJSG_SG_SG_EEES9_SI_JZNS1_25segmented_radix_sort_implINS0_14default_configELb0EPKaPaPKlPlN2at6native12_GLOBAL__N_18offset_tEEE10hipError_tPvRmT1_PNSt15iterator_traitsIS12_E10value_typeET2_T3_PNS13_IS18_E10value_typeET4_jRbjT5_S1E_jjP12ihipStream_tbEUljE_ZNSN_ISO_Lb0ESQ_SR_ST_SU_SY_EESZ_S10_S11_S12_S16_S17_S18_S1B_S1C_jS1D_jS1E_S1E_jjS1G_bEUljE0_EEESZ_S10_S11_S18_S1C_S1E_T6_T7_T9_mT8_S1G_bDpT10_ENKUlT_T0_E_clISt17integral_constantIbLb1EES1U_EEDaS1P_S1Q_EUlS1P_E_NS1_11comp_targetILNS1_3genE3ELNS1_11target_archE908ELNS1_3gpuE7ELNS1_3repE0EEENS1_30default_config_static_selectorELNS0_4arch9wavefront6targetE0EEEvS12_, .Lfunc_end337-_ZN7rocprim17ROCPRIM_400000_NS6detail17trampoline_kernelINS0_13select_configILj256ELj13ELNS0_17block_load_methodE3ELS4_3ELS4_3ELNS0_20block_scan_algorithmE0ELj4294967295EEENS1_25partition_config_selectorILNS1_17partition_subalgoE4EjNS0_10empty_typeEbEEZZNS1_14partition_implILS8_4ELb0ES6_15HIP_vector_typeIjLj2EENS0_17counting_iteratorIjlEEPS9_SG_NS0_5tupleIJPjSI_NS0_16reverse_iteratorISI_EEEEENSH_IJSG_SG_SG_EEES9_SI_JZNS1_25segmented_radix_sort_implINS0_14default_configELb0EPKaPaPKlPlN2at6native12_GLOBAL__N_18offset_tEEE10hipError_tPvRmT1_PNSt15iterator_traitsIS12_E10value_typeET2_T3_PNS13_IS18_E10value_typeET4_jRbjT5_S1E_jjP12ihipStream_tbEUljE_ZNSN_ISO_Lb0ESQ_SR_ST_SU_SY_EESZ_S10_S11_S12_S16_S17_S18_S1B_S1C_jS1D_jS1E_S1E_jjS1G_bEUljE0_EEESZ_S10_S11_S18_S1C_S1E_T6_T7_T9_mT8_S1G_bDpT10_ENKUlT_T0_E_clISt17integral_constantIbLb1EES1U_EEDaS1P_S1Q_EUlS1P_E_NS1_11comp_targetILNS1_3genE3ELNS1_11target_archE908ELNS1_3gpuE7ELNS1_3repE0EEENS1_30default_config_static_selectorELNS0_4arch9wavefront6targetE0EEEvS12_
                                        ; -- End function
	.set _ZN7rocprim17ROCPRIM_400000_NS6detail17trampoline_kernelINS0_13select_configILj256ELj13ELNS0_17block_load_methodE3ELS4_3ELS4_3ELNS0_20block_scan_algorithmE0ELj4294967295EEENS1_25partition_config_selectorILNS1_17partition_subalgoE4EjNS0_10empty_typeEbEEZZNS1_14partition_implILS8_4ELb0ES6_15HIP_vector_typeIjLj2EENS0_17counting_iteratorIjlEEPS9_SG_NS0_5tupleIJPjSI_NS0_16reverse_iteratorISI_EEEEENSH_IJSG_SG_SG_EEES9_SI_JZNS1_25segmented_radix_sort_implINS0_14default_configELb0EPKaPaPKlPlN2at6native12_GLOBAL__N_18offset_tEEE10hipError_tPvRmT1_PNSt15iterator_traitsIS12_E10value_typeET2_T3_PNS13_IS18_E10value_typeET4_jRbjT5_S1E_jjP12ihipStream_tbEUljE_ZNSN_ISO_Lb0ESQ_SR_ST_SU_SY_EESZ_S10_S11_S12_S16_S17_S18_S1B_S1C_jS1D_jS1E_S1E_jjS1G_bEUljE0_EEESZ_S10_S11_S18_S1C_S1E_T6_T7_T9_mT8_S1G_bDpT10_ENKUlT_T0_E_clISt17integral_constantIbLb1EES1U_EEDaS1P_S1Q_EUlS1P_E_NS1_11comp_targetILNS1_3genE3ELNS1_11target_archE908ELNS1_3gpuE7ELNS1_3repE0EEENS1_30default_config_static_selectorELNS0_4arch9wavefront6targetE0EEEvS12_.num_vgpr, 0
	.set _ZN7rocprim17ROCPRIM_400000_NS6detail17trampoline_kernelINS0_13select_configILj256ELj13ELNS0_17block_load_methodE3ELS4_3ELS4_3ELNS0_20block_scan_algorithmE0ELj4294967295EEENS1_25partition_config_selectorILNS1_17partition_subalgoE4EjNS0_10empty_typeEbEEZZNS1_14partition_implILS8_4ELb0ES6_15HIP_vector_typeIjLj2EENS0_17counting_iteratorIjlEEPS9_SG_NS0_5tupleIJPjSI_NS0_16reverse_iteratorISI_EEEEENSH_IJSG_SG_SG_EEES9_SI_JZNS1_25segmented_radix_sort_implINS0_14default_configELb0EPKaPaPKlPlN2at6native12_GLOBAL__N_18offset_tEEE10hipError_tPvRmT1_PNSt15iterator_traitsIS12_E10value_typeET2_T3_PNS13_IS18_E10value_typeET4_jRbjT5_S1E_jjP12ihipStream_tbEUljE_ZNSN_ISO_Lb0ESQ_SR_ST_SU_SY_EESZ_S10_S11_S12_S16_S17_S18_S1B_S1C_jS1D_jS1E_S1E_jjS1G_bEUljE0_EEESZ_S10_S11_S18_S1C_S1E_T6_T7_T9_mT8_S1G_bDpT10_ENKUlT_T0_E_clISt17integral_constantIbLb1EES1U_EEDaS1P_S1Q_EUlS1P_E_NS1_11comp_targetILNS1_3genE3ELNS1_11target_archE908ELNS1_3gpuE7ELNS1_3repE0EEENS1_30default_config_static_selectorELNS0_4arch9wavefront6targetE0EEEvS12_.num_agpr, 0
	.set _ZN7rocprim17ROCPRIM_400000_NS6detail17trampoline_kernelINS0_13select_configILj256ELj13ELNS0_17block_load_methodE3ELS4_3ELS4_3ELNS0_20block_scan_algorithmE0ELj4294967295EEENS1_25partition_config_selectorILNS1_17partition_subalgoE4EjNS0_10empty_typeEbEEZZNS1_14partition_implILS8_4ELb0ES6_15HIP_vector_typeIjLj2EENS0_17counting_iteratorIjlEEPS9_SG_NS0_5tupleIJPjSI_NS0_16reverse_iteratorISI_EEEEENSH_IJSG_SG_SG_EEES9_SI_JZNS1_25segmented_radix_sort_implINS0_14default_configELb0EPKaPaPKlPlN2at6native12_GLOBAL__N_18offset_tEEE10hipError_tPvRmT1_PNSt15iterator_traitsIS12_E10value_typeET2_T3_PNS13_IS18_E10value_typeET4_jRbjT5_S1E_jjP12ihipStream_tbEUljE_ZNSN_ISO_Lb0ESQ_SR_ST_SU_SY_EESZ_S10_S11_S12_S16_S17_S18_S1B_S1C_jS1D_jS1E_S1E_jjS1G_bEUljE0_EEESZ_S10_S11_S18_S1C_S1E_T6_T7_T9_mT8_S1G_bDpT10_ENKUlT_T0_E_clISt17integral_constantIbLb1EES1U_EEDaS1P_S1Q_EUlS1P_E_NS1_11comp_targetILNS1_3genE3ELNS1_11target_archE908ELNS1_3gpuE7ELNS1_3repE0EEENS1_30default_config_static_selectorELNS0_4arch9wavefront6targetE0EEEvS12_.numbered_sgpr, 0
	.set _ZN7rocprim17ROCPRIM_400000_NS6detail17trampoline_kernelINS0_13select_configILj256ELj13ELNS0_17block_load_methodE3ELS4_3ELS4_3ELNS0_20block_scan_algorithmE0ELj4294967295EEENS1_25partition_config_selectorILNS1_17partition_subalgoE4EjNS0_10empty_typeEbEEZZNS1_14partition_implILS8_4ELb0ES6_15HIP_vector_typeIjLj2EENS0_17counting_iteratorIjlEEPS9_SG_NS0_5tupleIJPjSI_NS0_16reverse_iteratorISI_EEEEENSH_IJSG_SG_SG_EEES9_SI_JZNS1_25segmented_radix_sort_implINS0_14default_configELb0EPKaPaPKlPlN2at6native12_GLOBAL__N_18offset_tEEE10hipError_tPvRmT1_PNSt15iterator_traitsIS12_E10value_typeET2_T3_PNS13_IS18_E10value_typeET4_jRbjT5_S1E_jjP12ihipStream_tbEUljE_ZNSN_ISO_Lb0ESQ_SR_ST_SU_SY_EESZ_S10_S11_S12_S16_S17_S18_S1B_S1C_jS1D_jS1E_S1E_jjS1G_bEUljE0_EEESZ_S10_S11_S18_S1C_S1E_T6_T7_T9_mT8_S1G_bDpT10_ENKUlT_T0_E_clISt17integral_constantIbLb1EES1U_EEDaS1P_S1Q_EUlS1P_E_NS1_11comp_targetILNS1_3genE3ELNS1_11target_archE908ELNS1_3gpuE7ELNS1_3repE0EEENS1_30default_config_static_selectorELNS0_4arch9wavefront6targetE0EEEvS12_.num_named_barrier, 0
	.set _ZN7rocprim17ROCPRIM_400000_NS6detail17trampoline_kernelINS0_13select_configILj256ELj13ELNS0_17block_load_methodE3ELS4_3ELS4_3ELNS0_20block_scan_algorithmE0ELj4294967295EEENS1_25partition_config_selectorILNS1_17partition_subalgoE4EjNS0_10empty_typeEbEEZZNS1_14partition_implILS8_4ELb0ES6_15HIP_vector_typeIjLj2EENS0_17counting_iteratorIjlEEPS9_SG_NS0_5tupleIJPjSI_NS0_16reverse_iteratorISI_EEEEENSH_IJSG_SG_SG_EEES9_SI_JZNS1_25segmented_radix_sort_implINS0_14default_configELb0EPKaPaPKlPlN2at6native12_GLOBAL__N_18offset_tEEE10hipError_tPvRmT1_PNSt15iterator_traitsIS12_E10value_typeET2_T3_PNS13_IS18_E10value_typeET4_jRbjT5_S1E_jjP12ihipStream_tbEUljE_ZNSN_ISO_Lb0ESQ_SR_ST_SU_SY_EESZ_S10_S11_S12_S16_S17_S18_S1B_S1C_jS1D_jS1E_S1E_jjS1G_bEUljE0_EEESZ_S10_S11_S18_S1C_S1E_T6_T7_T9_mT8_S1G_bDpT10_ENKUlT_T0_E_clISt17integral_constantIbLb1EES1U_EEDaS1P_S1Q_EUlS1P_E_NS1_11comp_targetILNS1_3genE3ELNS1_11target_archE908ELNS1_3gpuE7ELNS1_3repE0EEENS1_30default_config_static_selectorELNS0_4arch9wavefront6targetE0EEEvS12_.private_seg_size, 0
	.set _ZN7rocprim17ROCPRIM_400000_NS6detail17trampoline_kernelINS0_13select_configILj256ELj13ELNS0_17block_load_methodE3ELS4_3ELS4_3ELNS0_20block_scan_algorithmE0ELj4294967295EEENS1_25partition_config_selectorILNS1_17partition_subalgoE4EjNS0_10empty_typeEbEEZZNS1_14partition_implILS8_4ELb0ES6_15HIP_vector_typeIjLj2EENS0_17counting_iteratorIjlEEPS9_SG_NS0_5tupleIJPjSI_NS0_16reverse_iteratorISI_EEEEENSH_IJSG_SG_SG_EEES9_SI_JZNS1_25segmented_radix_sort_implINS0_14default_configELb0EPKaPaPKlPlN2at6native12_GLOBAL__N_18offset_tEEE10hipError_tPvRmT1_PNSt15iterator_traitsIS12_E10value_typeET2_T3_PNS13_IS18_E10value_typeET4_jRbjT5_S1E_jjP12ihipStream_tbEUljE_ZNSN_ISO_Lb0ESQ_SR_ST_SU_SY_EESZ_S10_S11_S12_S16_S17_S18_S1B_S1C_jS1D_jS1E_S1E_jjS1G_bEUljE0_EEESZ_S10_S11_S18_S1C_S1E_T6_T7_T9_mT8_S1G_bDpT10_ENKUlT_T0_E_clISt17integral_constantIbLb1EES1U_EEDaS1P_S1Q_EUlS1P_E_NS1_11comp_targetILNS1_3genE3ELNS1_11target_archE908ELNS1_3gpuE7ELNS1_3repE0EEENS1_30default_config_static_selectorELNS0_4arch9wavefront6targetE0EEEvS12_.uses_vcc, 0
	.set _ZN7rocprim17ROCPRIM_400000_NS6detail17trampoline_kernelINS0_13select_configILj256ELj13ELNS0_17block_load_methodE3ELS4_3ELS4_3ELNS0_20block_scan_algorithmE0ELj4294967295EEENS1_25partition_config_selectorILNS1_17partition_subalgoE4EjNS0_10empty_typeEbEEZZNS1_14partition_implILS8_4ELb0ES6_15HIP_vector_typeIjLj2EENS0_17counting_iteratorIjlEEPS9_SG_NS0_5tupleIJPjSI_NS0_16reverse_iteratorISI_EEEEENSH_IJSG_SG_SG_EEES9_SI_JZNS1_25segmented_radix_sort_implINS0_14default_configELb0EPKaPaPKlPlN2at6native12_GLOBAL__N_18offset_tEEE10hipError_tPvRmT1_PNSt15iterator_traitsIS12_E10value_typeET2_T3_PNS13_IS18_E10value_typeET4_jRbjT5_S1E_jjP12ihipStream_tbEUljE_ZNSN_ISO_Lb0ESQ_SR_ST_SU_SY_EESZ_S10_S11_S12_S16_S17_S18_S1B_S1C_jS1D_jS1E_S1E_jjS1G_bEUljE0_EEESZ_S10_S11_S18_S1C_S1E_T6_T7_T9_mT8_S1G_bDpT10_ENKUlT_T0_E_clISt17integral_constantIbLb1EES1U_EEDaS1P_S1Q_EUlS1P_E_NS1_11comp_targetILNS1_3genE3ELNS1_11target_archE908ELNS1_3gpuE7ELNS1_3repE0EEENS1_30default_config_static_selectorELNS0_4arch9wavefront6targetE0EEEvS12_.uses_flat_scratch, 0
	.set _ZN7rocprim17ROCPRIM_400000_NS6detail17trampoline_kernelINS0_13select_configILj256ELj13ELNS0_17block_load_methodE3ELS4_3ELS4_3ELNS0_20block_scan_algorithmE0ELj4294967295EEENS1_25partition_config_selectorILNS1_17partition_subalgoE4EjNS0_10empty_typeEbEEZZNS1_14partition_implILS8_4ELb0ES6_15HIP_vector_typeIjLj2EENS0_17counting_iteratorIjlEEPS9_SG_NS0_5tupleIJPjSI_NS0_16reverse_iteratorISI_EEEEENSH_IJSG_SG_SG_EEES9_SI_JZNS1_25segmented_radix_sort_implINS0_14default_configELb0EPKaPaPKlPlN2at6native12_GLOBAL__N_18offset_tEEE10hipError_tPvRmT1_PNSt15iterator_traitsIS12_E10value_typeET2_T3_PNS13_IS18_E10value_typeET4_jRbjT5_S1E_jjP12ihipStream_tbEUljE_ZNSN_ISO_Lb0ESQ_SR_ST_SU_SY_EESZ_S10_S11_S12_S16_S17_S18_S1B_S1C_jS1D_jS1E_S1E_jjS1G_bEUljE0_EEESZ_S10_S11_S18_S1C_S1E_T6_T7_T9_mT8_S1G_bDpT10_ENKUlT_T0_E_clISt17integral_constantIbLb1EES1U_EEDaS1P_S1Q_EUlS1P_E_NS1_11comp_targetILNS1_3genE3ELNS1_11target_archE908ELNS1_3gpuE7ELNS1_3repE0EEENS1_30default_config_static_selectorELNS0_4arch9wavefront6targetE0EEEvS12_.has_dyn_sized_stack, 0
	.set _ZN7rocprim17ROCPRIM_400000_NS6detail17trampoline_kernelINS0_13select_configILj256ELj13ELNS0_17block_load_methodE3ELS4_3ELS4_3ELNS0_20block_scan_algorithmE0ELj4294967295EEENS1_25partition_config_selectorILNS1_17partition_subalgoE4EjNS0_10empty_typeEbEEZZNS1_14partition_implILS8_4ELb0ES6_15HIP_vector_typeIjLj2EENS0_17counting_iteratorIjlEEPS9_SG_NS0_5tupleIJPjSI_NS0_16reverse_iteratorISI_EEEEENSH_IJSG_SG_SG_EEES9_SI_JZNS1_25segmented_radix_sort_implINS0_14default_configELb0EPKaPaPKlPlN2at6native12_GLOBAL__N_18offset_tEEE10hipError_tPvRmT1_PNSt15iterator_traitsIS12_E10value_typeET2_T3_PNS13_IS18_E10value_typeET4_jRbjT5_S1E_jjP12ihipStream_tbEUljE_ZNSN_ISO_Lb0ESQ_SR_ST_SU_SY_EESZ_S10_S11_S12_S16_S17_S18_S1B_S1C_jS1D_jS1E_S1E_jjS1G_bEUljE0_EEESZ_S10_S11_S18_S1C_S1E_T6_T7_T9_mT8_S1G_bDpT10_ENKUlT_T0_E_clISt17integral_constantIbLb1EES1U_EEDaS1P_S1Q_EUlS1P_E_NS1_11comp_targetILNS1_3genE3ELNS1_11target_archE908ELNS1_3gpuE7ELNS1_3repE0EEENS1_30default_config_static_selectorELNS0_4arch9wavefront6targetE0EEEvS12_.has_recursion, 0
	.set _ZN7rocprim17ROCPRIM_400000_NS6detail17trampoline_kernelINS0_13select_configILj256ELj13ELNS0_17block_load_methodE3ELS4_3ELS4_3ELNS0_20block_scan_algorithmE0ELj4294967295EEENS1_25partition_config_selectorILNS1_17partition_subalgoE4EjNS0_10empty_typeEbEEZZNS1_14partition_implILS8_4ELb0ES6_15HIP_vector_typeIjLj2EENS0_17counting_iteratorIjlEEPS9_SG_NS0_5tupleIJPjSI_NS0_16reverse_iteratorISI_EEEEENSH_IJSG_SG_SG_EEES9_SI_JZNS1_25segmented_radix_sort_implINS0_14default_configELb0EPKaPaPKlPlN2at6native12_GLOBAL__N_18offset_tEEE10hipError_tPvRmT1_PNSt15iterator_traitsIS12_E10value_typeET2_T3_PNS13_IS18_E10value_typeET4_jRbjT5_S1E_jjP12ihipStream_tbEUljE_ZNSN_ISO_Lb0ESQ_SR_ST_SU_SY_EESZ_S10_S11_S12_S16_S17_S18_S1B_S1C_jS1D_jS1E_S1E_jjS1G_bEUljE0_EEESZ_S10_S11_S18_S1C_S1E_T6_T7_T9_mT8_S1G_bDpT10_ENKUlT_T0_E_clISt17integral_constantIbLb1EES1U_EEDaS1P_S1Q_EUlS1P_E_NS1_11comp_targetILNS1_3genE3ELNS1_11target_archE908ELNS1_3gpuE7ELNS1_3repE0EEENS1_30default_config_static_selectorELNS0_4arch9wavefront6targetE0EEEvS12_.has_indirect_call, 0
	.section	.AMDGPU.csdata,"",@progbits
; Kernel info:
; codeLenInByte = 0
; TotalNumSgprs: 0
; NumVgprs: 0
; ScratchSize: 0
; MemoryBound: 0
; FloatMode: 240
; IeeeMode: 1
; LDSByteSize: 0 bytes/workgroup (compile time only)
; SGPRBlocks: 0
; VGPRBlocks: 0
; NumSGPRsForWavesPerEU: 1
; NumVGPRsForWavesPerEU: 1
; NamedBarCnt: 0
; Occupancy: 16
; WaveLimiterHint : 0
; COMPUTE_PGM_RSRC2:SCRATCH_EN: 0
; COMPUTE_PGM_RSRC2:USER_SGPR: 2
; COMPUTE_PGM_RSRC2:TRAP_HANDLER: 0
; COMPUTE_PGM_RSRC2:TGID_X_EN: 1
; COMPUTE_PGM_RSRC2:TGID_Y_EN: 0
; COMPUTE_PGM_RSRC2:TGID_Z_EN: 0
; COMPUTE_PGM_RSRC2:TIDIG_COMP_CNT: 0
	.section	.text._ZN7rocprim17ROCPRIM_400000_NS6detail17trampoline_kernelINS0_13select_configILj256ELj13ELNS0_17block_load_methodE3ELS4_3ELS4_3ELNS0_20block_scan_algorithmE0ELj4294967295EEENS1_25partition_config_selectorILNS1_17partition_subalgoE4EjNS0_10empty_typeEbEEZZNS1_14partition_implILS8_4ELb0ES6_15HIP_vector_typeIjLj2EENS0_17counting_iteratorIjlEEPS9_SG_NS0_5tupleIJPjSI_NS0_16reverse_iteratorISI_EEEEENSH_IJSG_SG_SG_EEES9_SI_JZNS1_25segmented_radix_sort_implINS0_14default_configELb0EPKaPaPKlPlN2at6native12_GLOBAL__N_18offset_tEEE10hipError_tPvRmT1_PNSt15iterator_traitsIS12_E10value_typeET2_T3_PNS13_IS18_E10value_typeET4_jRbjT5_S1E_jjP12ihipStream_tbEUljE_ZNSN_ISO_Lb0ESQ_SR_ST_SU_SY_EESZ_S10_S11_S12_S16_S17_S18_S1B_S1C_jS1D_jS1E_S1E_jjS1G_bEUljE0_EEESZ_S10_S11_S18_S1C_S1E_T6_T7_T9_mT8_S1G_bDpT10_ENKUlT_T0_E_clISt17integral_constantIbLb1EES1U_EEDaS1P_S1Q_EUlS1P_E_NS1_11comp_targetILNS1_3genE2ELNS1_11target_archE906ELNS1_3gpuE6ELNS1_3repE0EEENS1_30default_config_static_selectorELNS0_4arch9wavefront6targetE0EEEvS12_,"axG",@progbits,_ZN7rocprim17ROCPRIM_400000_NS6detail17trampoline_kernelINS0_13select_configILj256ELj13ELNS0_17block_load_methodE3ELS4_3ELS4_3ELNS0_20block_scan_algorithmE0ELj4294967295EEENS1_25partition_config_selectorILNS1_17partition_subalgoE4EjNS0_10empty_typeEbEEZZNS1_14partition_implILS8_4ELb0ES6_15HIP_vector_typeIjLj2EENS0_17counting_iteratorIjlEEPS9_SG_NS0_5tupleIJPjSI_NS0_16reverse_iteratorISI_EEEEENSH_IJSG_SG_SG_EEES9_SI_JZNS1_25segmented_radix_sort_implINS0_14default_configELb0EPKaPaPKlPlN2at6native12_GLOBAL__N_18offset_tEEE10hipError_tPvRmT1_PNSt15iterator_traitsIS12_E10value_typeET2_T3_PNS13_IS18_E10value_typeET4_jRbjT5_S1E_jjP12ihipStream_tbEUljE_ZNSN_ISO_Lb0ESQ_SR_ST_SU_SY_EESZ_S10_S11_S12_S16_S17_S18_S1B_S1C_jS1D_jS1E_S1E_jjS1G_bEUljE0_EEESZ_S10_S11_S18_S1C_S1E_T6_T7_T9_mT8_S1G_bDpT10_ENKUlT_T0_E_clISt17integral_constantIbLb1EES1U_EEDaS1P_S1Q_EUlS1P_E_NS1_11comp_targetILNS1_3genE2ELNS1_11target_archE906ELNS1_3gpuE6ELNS1_3repE0EEENS1_30default_config_static_selectorELNS0_4arch9wavefront6targetE0EEEvS12_,comdat
	.globl	_ZN7rocprim17ROCPRIM_400000_NS6detail17trampoline_kernelINS0_13select_configILj256ELj13ELNS0_17block_load_methodE3ELS4_3ELS4_3ELNS0_20block_scan_algorithmE0ELj4294967295EEENS1_25partition_config_selectorILNS1_17partition_subalgoE4EjNS0_10empty_typeEbEEZZNS1_14partition_implILS8_4ELb0ES6_15HIP_vector_typeIjLj2EENS0_17counting_iteratorIjlEEPS9_SG_NS0_5tupleIJPjSI_NS0_16reverse_iteratorISI_EEEEENSH_IJSG_SG_SG_EEES9_SI_JZNS1_25segmented_radix_sort_implINS0_14default_configELb0EPKaPaPKlPlN2at6native12_GLOBAL__N_18offset_tEEE10hipError_tPvRmT1_PNSt15iterator_traitsIS12_E10value_typeET2_T3_PNS13_IS18_E10value_typeET4_jRbjT5_S1E_jjP12ihipStream_tbEUljE_ZNSN_ISO_Lb0ESQ_SR_ST_SU_SY_EESZ_S10_S11_S12_S16_S17_S18_S1B_S1C_jS1D_jS1E_S1E_jjS1G_bEUljE0_EEESZ_S10_S11_S18_S1C_S1E_T6_T7_T9_mT8_S1G_bDpT10_ENKUlT_T0_E_clISt17integral_constantIbLb1EES1U_EEDaS1P_S1Q_EUlS1P_E_NS1_11comp_targetILNS1_3genE2ELNS1_11target_archE906ELNS1_3gpuE6ELNS1_3repE0EEENS1_30default_config_static_selectorELNS0_4arch9wavefront6targetE0EEEvS12_ ; -- Begin function _ZN7rocprim17ROCPRIM_400000_NS6detail17trampoline_kernelINS0_13select_configILj256ELj13ELNS0_17block_load_methodE3ELS4_3ELS4_3ELNS0_20block_scan_algorithmE0ELj4294967295EEENS1_25partition_config_selectorILNS1_17partition_subalgoE4EjNS0_10empty_typeEbEEZZNS1_14partition_implILS8_4ELb0ES6_15HIP_vector_typeIjLj2EENS0_17counting_iteratorIjlEEPS9_SG_NS0_5tupleIJPjSI_NS0_16reverse_iteratorISI_EEEEENSH_IJSG_SG_SG_EEES9_SI_JZNS1_25segmented_radix_sort_implINS0_14default_configELb0EPKaPaPKlPlN2at6native12_GLOBAL__N_18offset_tEEE10hipError_tPvRmT1_PNSt15iterator_traitsIS12_E10value_typeET2_T3_PNS13_IS18_E10value_typeET4_jRbjT5_S1E_jjP12ihipStream_tbEUljE_ZNSN_ISO_Lb0ESQ_SR_ST_SU_SY_EESZ_S10_S11_S12_S16_S17_S18_S1B_S1C_jS1D_jS1E_S1E_jjS1G_bEUljE0_EEESZ_S10_S11_S18_S1C_S1E_T6_T7_T9_mT8_S1G_bDpT10_ENKUlT_T0_E_clISt17integral_constantIbLb1EES1U_EEDaS1P_S1Q_EUlS1P_E_NS1_11comp_targetILNS1_3genE2ELNS1_11target_archE906ELNS1_3gpuE6ELNS1_3repE0EEENS1_30default_config_static_selectorELNS0_4arch9wavefront6targetE0EEEvS12_
	.p2align	8
	.type	_ZN7rocprim17ROCPRIM_400000_NS6detail17trampoline_kernelINS0_13select_configILj256ELj13ELNS0_17block_load_methodE3ELS4_3ELS4_3ELNS0_20block_scan_algorithmE0ELj4294967295EEENS1_25partition_config_selectorILNS1_17partition_subalgoE4EjNS0_10empty_typeEbEEZZNS1_14partition_implILS8_4ELb0ES6_15HIP_vector_typeIjLj2EENS0_17counting_iteratorIjlEEPS9_SG_NS0_5tupleIJPjSI_NS0_16reverse_iteratorISI_EEEEENSH_IJSG_SG_SG_EEES9_SI_JZNS1_25segmented_radix_sort_implINS0_14default_configELb0EPKaPaPKlPlN2at6native12_GLOBAL__N_18offset_tEEE10hipError_tPvRmT1_PNSt15iterator_traitsIS12_E10value_typeET2_T3_PNS13_IS18_E10value_typeET4_jRbjT5_S1E_jjP12ihipStream_tbEUljE_ZNSN_ISO_Lb0ESQ_SR_ST_SU_SY_EESZ_S10_S11_S12_S16_S17_S18_S1B_S1C_jS1D_jS1E_S1E_jjS1G_bEUljE0_EEESZ_S10_S11_S18_S1C_S1E_T6_T7_T9_mT8_S1G_bDpT10_ENKUlT_T0_E_clISt17integral_constantIbLb1EES1U_EEDaS1P_S1Q_EUlS1P_E_NS1_11comp_targetILNS1_3genE2ELNS1_11target_archE906ELNS1_3gpuE6ELNS1_3repE0EEENS1_30default_config_static_selectorELNS0_4arch9wavefront6targetE0EEEvS12_,@function
_ZN7rocprim17ROCPRIM_400000_NS6detail17trampoline_kernelINS0_13select_configILj256ELj13ELNS0_17block_load_methodE3ELS4_3ELS4_3ELNS0_20block_scan_algorithmE0ELj4294967295EEENS1_25partition_config_selectorILNS1_17partition_subalgoE4EjNS0_10empty_typeEbEEZZNS1_14partition_implILS8_4ELb0ES6_15HIP_vector_typeIjLj2EENS0_17counting_iteratorIjlEEPS9_SG_NS0_5tupleIJPjSI_NS0_16reverse_iteratorISI_EEEEENSH_IJSG_SG_SG_EEES9_SI_JZNS1_25segmented_radix_sort_implINS0_14default_configELb0EPKaPaPKlPlN2at6native12_GLOBAL__N_18offset_tEEE10hipError_tPvRmT1_PNSt15iterator_traitsIS12_E10value_typeET2_T3_PNS13_IS18_E10value_typeET4_jRbjT5_S1E_jjP12ihipStream_tbEUljE_ZNSN_ISO_Lb0ESQ_SR_ST_SU_SY_EESZ_S10_S11_S12_S16_S17_S18_S1B_S1C_jS1D_jS1E_S1E_jjS1G_bEUljE0_EEESZ_S10_S11_S18_S1C_S1E_T6_T7_T9_mT8_S1G_bDpT10_ENKUlT_T0_E_clISt17integral_constantIbLb1EES1U_EEDaS1P_S1Q_EUlS1P_E_NS1_11comp_targetILNS1_3genE2ELNS1_11target_archE906ELNS1_3gpuE6ELNS1_3repE0EEENS1_30default_config_static_selectorELNS0_4arch9wavefront6targetE0EEEvS12_: ; @_ZN7rocprim17ROCPRIM_400000_NS6detail17trampoline_kernelINS0_13select_configILj256ELj13ELNS0_17block_load_methodE3ELS4_3ELS4_3ELNS0_20block_scan_algorithmE0ELj4294967295EEENS1_25partition_config_selectorILNS1_17partition_subalgoE4EjNS0_10empty_typeEbEEZZNS1_14partition_implILS8_4ELb0ES6_15HIP_vector_typeIjLj2EENS0_17counting_iteratorIjlEEPS9_SG_NS0_5tupleIJPjSI_NS0_16reverse_iteratorISI_EEEEENSH_IJSG_SG_SG_EEES9_SI_JZNS1_25segmented_radix_sort_implINS0_14default_configELb0EPKaPaPKlPlN2at6native12_GLOBAL__N_18offset_tEEE10hipError_tPvRmT1_PNSt15iterator_traitsIS12_E10value_typeET2_T3_PNS13_IS18_E10value_typeET4_jRbjT5_S1E_jjP12ihipStream_tbEUljE_ZNSN_ISO_Lb0ESQ_SR_ST_SU_SY_EESZ_S10_S11_S12_S16_S17_S18_S1B_S1C_jS1D_jS1E_S1E_jjS1G_bEUljE0_EEESZ_S10_S11_S18_S1C_S1E_T6_T7_T9_mT8_S1G_bDpT10_ENKUlT_T0_E_clISt17integral_constantIbLb1EES1U_EEDaS1P_S1Q_EUlS1P_E_NS1_11comp_targetILNS1_3genE2ELNS1_11target_archE906ELNS1_3gpuE6ELNS1_3repE0EEENS1_30default_config_static_selectorELNS0_4arch9wavefront6targetE0EEEvS12_
; %bb.0:
	.section	.rodata,"a",@progbits
	.p2align	6, 0x0
	.amdhsa_kernel _ZN7rocprim17ROCPRIM_400000_NS6detail17trampoline_kernelINS0_13select_configILj256ELj13ELNS0_17block_load_methodE3ELS4_3ELS4_3ELNS0_20block_scan_algorithmE0ELj4294967295EEENS1_25partition_config_selectorILNS1_17partition_subalgoE4EjNS0_10empty_typeEbEEZZNS1_14partition_implILS8_4ELb0ES6_15HIP_vector_typeIjLj2EENS0_17counting_iteratorIjlEEPS9_SG_NS0_5tupleIJPjSI_NS0_16reverse_iteratorISI_EEEEENSH_IJSG_SG_SG_EEES9_SI_JZNS1_25segmented_radix_sort_implINS0_14default_configELb0EPKaPaPKlPlN2at6native12_GLOBAL__N_18offset_tEEE10hipError_tPvRmT1_PNSt15iterator_traitsIS12_E10value_typeET2_T3_PNS13_IS18_E10value_typeET4_jRbjT5_S1E_jjP12ihipStream_tbEUljE_ZNSN_ISO_Lb0ESQ_SR_ST_SU_SY_EESZ_S10_S11_S12_S16_S17_S18_S1B_S1C_jS1D_jS1E_S1E_jjS1G_bEUljE0_EEESZ_S10_S11_S18_S1C_S1E_T6_T7_T9_mT8_S1G_bDpT10_ENKUlT_T0_E_clISt17integral_constantIbLb1EES1U_EEDaS1P_S1Q_EUlS1P_E_NS1_11comp_targetILNS1_3genE2ELNS1_11target_archE906ELNS1_3gpuE6ELNS1_3repE0EEENS1_30default_config_static_selectorELNS0_4arch9wavefront6targetE0EEEvS12_
		.amdhsa_group_segment_fixed_size 0
		.amdhsa_private_segment_fixed_size 0
		.amdhsa_kernarg_size 184
		.amdhsa_user_sgpr_count 2
		.amdhsa_user_sgpr_dispatch_ptr 0
		.amdhsa_user_sgpr_queue_ptr 0
		.amdhsa_user_sgpr_kernarg_segment_ptr 1
		.amdhsa_user_sgpr_dispatch_id 0
		.amdhsa_user_sgpr_kernarg_preload_length 0
		.amdhsa_user_sgpr_kernarg_preload_offset 0
		.amdhsa_user_sgpr_private_segment_size 0
		.amdhsa_wavefront_size32 1
		.amdhsa_uses_dynamic_stack 0
		.amdhsa_enable_private_segment 0
		.amdhsa_system_sgpr_workgroup_id_x 1
		.amdhsa_system_sgpr_workgroup_id_y 0
		.amdhsa_system_sgpr_workgroup_id_z 0
		.amdhsa_system_sgpr_workgroup_info 0
		.amdhsa_system_vgpr_workitem_id 0
		.amdhsa_next_free_vgpr 1
		.amdhsa_next_free_sgpr 1
		.amdhsa_named_barrier_count 0
		.amdhsa_reserve_vcc 0
		.amdhsa_float_round_mode_32 0
		.amdhsa_float_round_mode_16_64 0
		.amdhsa_float_denorm_mode_32 3
		.amdhsa_float_denorm_mode_16_64 3
		.amdhsa_fp16_overflow 0
		.amdhsa_memory_ordered 1
		.amdhsa_forward_progress 1
		.amdhsa_inst_pref_size 0
		.amdhsa_round_robin_scheduling 0
		.amdhsa_exception_fp_ieee_invalid_op 0
		.amdhsa_exception_fp_denorm_src 0
		.amdhsa_exception_fp_ieee_div_zero 0
		.amdhsa_exception_fp_ieee_overflow 0
		.amdhsa_exception_fp_ieee_underflow 0
		.amdhsa_exception_fp_ieee_inexact 0
		.amdhsa_exception_int_div_zero 0
	.end_amdhsa_kernel
	.section	.text._ZN7rocprim17ROCPRIM_400000_NS6detail17trampoline_kernelINS0_13select_configILj256ELj13ELNS0_17block_load_methodE3ELS4_3ELS4_3ELNS0_20block_scan_algorithmE0ELj4294967295EEENS1_25partition_config_selectorILNS1_17partition_subalgoE4EjNS0_10empty_typeEbEEZZNS1_14partition_implILS8_4ELb0ES6_15HIP_vector_typeIjLj2EENS0_17counting_iteratorIjlEEPS9_SG_NS0_5tupleIJPjSI_NS0_16reverse_iteratorISI_EEEEENSH_IJSG_SG_SG_EEES9_SI_JZNS1_25segmented_radix_sort_implINS0_14default_configELb0EPKaPaPKlPlN2at6native12_GLOBAL__N_18offset_tEEE10hipError_tPvRmT1_PNSt15iterator_traitsIS12_E10value_typeET2_T3_PNS13_IS18_E10value_typeET4_jRbjT5_S1E_jjP12ihipStream_tbEUljE_ZNSN_ISO_Lb0ESQ_SR_ST_SU_SY_EESZ_S10_S11_S12_S16_S17_S18_S1B_S1C_jS1D_jS1E_S1E_jjS1G_bEUljE0_EEESZ_S10_S11_S18_S1C_S1E_T6_T7_T9_mT8_S1G_bDpT10_ENKUlT_T0_E_clISt17integral_constantIbLb1EES1U_EEDaS1P_S1Q_EUlS1P_E_NS1_11comp_targetILNS1_3genE2ELNS1_11target_archE906ELNS1_3gpuE6ELNS1_3repE0EEENS1_30default_config_static_selectorELNS0_4arch9wavefront6targetE0EEEvS12_,"axG",@progbits,_ZN7rocprim17ROCPRIM_400000_NS6detail17trampoline_kernelINS0_13select_configILj256ELj13ELNS0_17block_load_methodE3ELS4_3ELS4_3ELNS0_20block_scan_algorithmE0ELj4294967295EEENS1_25partition_config_selectorILNS1_17partition_subalgoE4EjNS0_10empty_typeEbEEZZNS1_14partition_implILS8_4ELb0ES6_15HIP_vector_typeIjLj2EENS0_17counting_iteratorIjlEEPS9_SG_NS0_5tupleIJPjSI_NS0_16reverse_iteratorISI_EEEEENSH_IJSG_SG_SG_EEES9_SI_JZNS1_25segmented_radix_sort_implINS0_14default_configELb0EPKaPaPKlPlN2at6native12_GLOBAL__N_18offset_tEEE10hipError_tPvRmT1_PNSt15iterator_traitsIS12_E10value_typeET2_T3_PNS13_IS18_E10value_typeET4_jRbjT5_S1E_jjP12ihipStream_tbEUljE_ZNSN_ISO_Lb0ESQ_SR_ST_SU_SY_EESZ_S10_S11_S12_S16_S17_S18_S1B_S1C_jS1D_jS1E_S1E_jjS1G_bEUljE0_EEESZ_S10_S11_S18_S1C_S1E_T6_T7_T9_mT8_S1G_bDpT10_ENKUlT_T0_E_clISt17integral_constantIbLb1EES1U_EEDaS1P_S1Q_EUlS1P_E_NS1_11comp_targetILNS1_3genE2ELNS1_11target_archE906ELNS1_3gpuE6ELNS1_3repE0EEENS1_30default_config_static_selectorELNS0_4arch9wavefront6targetE0EEEvS12_,comdat
.Lfunc_end338:
	.size	_ZN7rocprim17ROCPRIM_400000_NS6detail17trampoline_kernelINS0_13select_configILj256ELj13ELNS0_17block_load_methodE3ELS4_3ELS4_3ELNS0_20block_scan_algorithmE0ELj4294967295EEENS1_25partition_config_selectorILNS1_17partition_subalgoE4EjNS0_10empty_typeEbEEZZNS1_14partition_implILS8_4ELb0ES6_15HIP_vector_typeIjLj2EENS0_17counting_iteratorIjlEEPS9_SG_NS0_5tupleIJPjSI_NS0_16reverse_iteratorISI_EEEEENSH_IJSG_SG_SG_EEES9_SI_JZNS1_25segmented_radix_sort_implINS0_14default_configELb0EPKaPaPKlPlN2at6native12_GLOBAL__N_18offset_tEEE10hipError_tPvRmT1_PNSt15iterator_traitsIS12_E10value_typeET2_T3_PNS13_IS18_E10value_typeET4_jRbjT5_S1E_jjP12ihipStream_tbEUljE_ZNSN_ISO_Lb0ESQ_SR_ST_SU_SY_EESZ_S10_S11_S12_S16_S17_S18_S1B_S1C_jS1D_jS1E_S1E_jjS1G_bEUljE0_EEESZ_S10_S11_S18_S1C_S1E_T6_T7_T9_mT8_S1G_bDpT10_ENKUlT_T0_E_clISt17integral_constantIbLb1EES1U_EEDaS1P_S1Q_EUlS1P_E_NS1_11comp_targetILNS1_3genE2ELNS1_11target_archE906ELNS1_3gpuE6ELNS1_3repE0EEENS1_30default_config_static_selectorELNS0_4arch9wavefront6targetE0EEEvS12_, .Lfunc_end338-_ZN7rocprim17ROCPRIM_400000_NS6detail17trampoline_kernelINS0_13select_configILj256ELj13ELNS0_17block_load_methodE3ELS4_3ELS4_3ELNS0_20block_scan_algorithmE0ELj4294967295EEENS1_25partition_config_selectorILNS1_17partition_subalgoE4EjNS0_10empty_typeEbEEZZNS1_14partition_implILS8_4ELb0ES6_15HIP_vector_typeIjLj2EENS0_17counting_iteratorIjlEEPS9_SG_NS0_5tupleIJPjSI_NS0_16reverse_iteratorISI_EEEEENSH_IJSG_SG_SG_EEES9_SI_JZNS1_25segmented_radix_sort_implINS0_14default_configELb0EPKaPaPKlPlN2at6native12_GLOBAL__N_18offset_tEEE10hipError_tPvRmT1_PNSt15iterator_traitsIS12_E10value_typeET2_T3_PNS13_IS18_E10value_typeET4_jRbjT5_S1E_jjP12ihipStream_tbEUljE_ZNSN_ISO_Lb0ESQ_SR_ST_SU_SY_EESZ_S10_S11_S12_S16_S17_S18_S1B_S1C_jS1D_jS1E_S1E_jjS1G_bEUljE0_EEESZ_S10_S11_S18_S1C_S1E_T6_T7_T9_mT8_S1G_bDpT10_ENKUlT_T0_E_clISt17integral_constantIbLb1EES1U_EEDaS1P_S1Q_EUlS1P_E_NS1_11comp_targetILNS1_3genE2ELNS1_11target_archE906ELNS1_3gpuE6ELNS1_3repE0EEENS1_30default_config_static_selectorELNS0_4arch9wavefront6targetE0EEEvS12_
                                        ; -- End function
	.set _ZN7rocprim17ROCPRIM_400000_NS6detail17trampoline_kernelINS0_13select_configILj256ELj13ELNS0_17block_load_methodE3ELS4_3ELS4_3ELNS0_20block_scan_algorithmE0ELj4294967295EEENS1_25partition_config_selectorILNS1_17partition_subalgoE4EjNS0_10empty_typeEbEEZZNS1_14partition_implILS8_4ELb0ES6_15HIP_vector_typeIjLj2EENS0_17counting_iteratorIjlEEPS9_SG_NS0_5tupleIJPjSI_NS0_16reverse_iteratorISI_EEEEENSH_IJSG_SG_SG_EEES9_SI_JZNS1_25segmented_radix_sort_implINS0_14default_configELb0EPKaPaPKlPlN2at6native12_GLOBAL__N_18offset_tEEE10hipError_tPvRmT1_PNSt15iterator_traitsIS12_E10value_typeET2_T3_PNS13_IS18_E10value_typeET4_jRbjT5_S1E_jjP12ihipStream_tbEUljE_ZNSN_ISO_Lb0ESQ_SR_ST_SU_SY_EESZ_S10_S11_S12_S16_S17_S18_S1B_S1C_jS1D_jS1E_S1E_jjS1G_bEUljE0_EEESZ_S10_S11_S18_S1C_S1E_T6_T7_T9_mT8_S1G_bDpT10_ENKUlT_T0_E_clISt17integral_constantIbLb1EES1U_EEDaS1P_S1Q_EUlS1P_E_NS1_11comp_targetILNS1_3genE2ELNS1_11target_archE906ELNS1_3gpuE6ELNS1_3repE0EEENS1_30default_config_static_selectorELNS0_4arch9wavefront6targetE0EEEvS12_.num_vgpr, 0
	.set _ZN7rocprim17ROCPRIM_400000_NS6detail17trampoline_kernelINS0_13select_configILj256ELj13ELNS0_17block_load_methodE3ELS4_3ELS4_3ELNS0_20block_scan_algorithmE0ELj4294967295EEENS1_25partition_config_selectorILNS1_17partition_subalgoE4EjNS0_10empty_typeEbEEZZNS1_14partition_implILS8_4ELb0ES6_15HIP_vector_typeIjLj2EENS0_17counting_iteratorIjlEEPS9_SG_NS0_5tupleIJPjSI_NS0_16reverse_iteratorISI_EEEEENSH_IJSG_SG_SG_EEES9_SI_JZNS1_25segmented_radix_sort_implINS0_14default_configELb0EPKaPaPKlPlN2at6native12_GLOBAL__N_18offset_tEEE10hipError_tPvRmT1_PNSt15iterator_traitsIS12_E10value_typeET2_T3_PNS13_IS18_E10value_typeET4_jRbjT5_S1E_jjP12ihipStream_tbEUljE_ZNSN_ISO_Lb0ESQ_SR_ST_SU_SY_EESZ_S10_S11_S12_S16_S17_S18_S1B_S1C_jS1D_jS1E_S1E_jjS1G_bEUljE0_EEESZ_S10_S11_S18_S1C_S1E_T6_T7_T9_mT8_S1G_bDpT10_ENKUlT_T0_E_clISt17integral_constantIbLb1EES1U_EEDaS1P_S1Q_EUlS1P_E_NS1_11comp_targetILNS1_3genE2ELNS1_11target_archE906ELNS1_3gpuE6ELNS1_3repE0EEENS1_30default_config_static_selectorELNS0_4arch9wavefront6targetE0EEEvS12_.num_agpr, 0
	.set _ZN7rocprim17ROCPRIM_400000_NS6detail17trampoline_kernelINS0_13select_configILj256ELj13ELNS0_17block_load_methodE3ELS4_3ELS4_3ELNS0_20block_scan_algorithmE0ELj4294967295EEENS1_25partition_config_selectorILNS1_17partition_subalgoE4EjNS0_10empty_typeEbEEZZNS1_14partition_implILS8_4ELb0ES6_15HIP_vector_typeIjLj2EENS0_17counting_iteratorIjlEEPS9_SG_NS0_5tupleIJPjSI_NS0_16reverse_iteratorISI_EEEEENSH_IJSG_SG_SG_EEES9_SI_JZNS1_25segmented_radix_sort_implINS0_14default_configELb0EPKaPaPKlPlN2at6native12_GLOBAL__N_18offset_tEEE10hipError_tPvRmT1_PNSt15iterator_traitsIS12_E10value_typeET2_T3_PNS13_IS18_E10value_typeET4_jRbjT5_S1E_jjP12ihipStream_tbEUljE_ZNSN_ISO_Lb0ESQ_SR_ST_SU_SY_EESZ_S10_S11_S12_S16_S17_S18_S1B_S1C_jS1D_jS1E_S1E_jjS1G_bEUljE0_EEESZ_S10_S11_S18_S1C_S1E_T6_T7_T9_mT8_S1G_bDpT10_ENKUlT_T0_E_clISt17integral_constantIbLb1EES1U_EEDaS1P_S1Q_EUlS1P_E_NS1_11comp_targetILNS1_3genE2ELNS1_11target_archE906ELNS1_3gpuE6ELNS1_3repE0EEENS1_30default_config_static_selectorELNS0_4arch9wavefront6targetE0EEEvS12_.numbered_sgpr, 0
	.set _ZN7rocprim17ROCPRIM_400000_NS6detail17trampoline_kernelINS0_13select_configILj256ELj13ELNS0_17block_load_methodE3ELS4_3ELS4_3ELNS0_20block_scan_algorithmE0ELj4294967295EEENS1_25partition_config_selectorILNS1_17partition_subalgoE4EjNS0_10empty_typeEbEEZZNS1_14partition_implILS8_4ELb0ES6_15HIP_vector_typeIjLj2EENS0_17counting_iteratorIjlEEPS9_SG_NS0_5tupleIJPjSI_NS0_16reverse_iteratorISI_EEEEENSH_IJSG_SG_SG_EEES9_SI_JZNS1_25segmented_radix_sort_implINS0_14default_configELb0EPKaPaPKlPlN2at6native12_GLOBAL__N_18offset_tEEE10hipError_tPvRmT1_PNSt15iterator_traitsIS12_E10value_typeET2_T3_PNS13_IS18_E10value_typeET4_jRbjT5_S1E_jjP12ihipStream_tbEUljE_ZNSN_ISO_Lb0ESQ_SR_ST_SU_SY_EESZ_S10_S11_S12_S16_S17_S18_S1B_S1C_jS1D_jS1E_S1E_jjS1G_bEUljE0_EEESZ_S10_S11_S18_S1C_S1E_T6_T7_T9_mT8_S1G_bDpT10_ENKUlT_T0_E_clISt17integral_constantIbLb1EES1U_EEDaS1P_S1Q_EUlS1P_E_NS1_11comp_targetILNS1_3genE2ELNS1_11target_archE906ELNS1_3gpuE6ELNS1_3repE0EEENS1_30default_config_static_selectorELNS0_4arch9wavefront6targetE0EEEvS12_.num_named_barrier, 0
	.set _ZN7rocprim17ROCPRIM_400000_NS6detail17trampoline_kernelINS0_13select_configILj256ELj13ELNS0_17block_load_methodE3ELS4_3ELS4_3ELNS0_20block_scan_algorithmE0ELj4294967295EEENS1_25partition_config_selectorILNS1_17partition_subalgoE4EjNS0_10empty_typeEbEEZZNS1_14partition_implILS8_4ELb0ES6_15HIP_vector_typeIjLj2EENS0_17counting_iteratorIjlEEPS9_SG_NS0_5tupleIJPjSI_NS0_16reverse_iteratorISI_EEEEENSH_IJSG_SG_SG_EEES9_SI_JZNS1_25segmented_radix_sort_implINS0_14default_configELb0EPKaPaPKlPlN2at6native12_GLOBAL__N_18offset_tEEE10hipError_tPvRmT1_PNSt15iterator_traitsIS12_E10value_typeET2_T3_PNS13_IS18_E10value_typeET4_jRbjT5_S1E_jjP12ihipStream_tbEUljE_ZNSN_ISO_Lb0ESQ_SR_ST_SU_SY_EESZ_S10_S11_S12_S16_S17_S18_S1B_S1C_jS1D_jS1E_S1E_jjS1G_bEUljE0_EEESZ_S10_S11_S18_S1C_S1E_T6_T7_T9_mT8_S1G_bDpT10_ENKUlT_T0_E_clISt17integral_constantIbLb1EES1U_EEDaS1P_S1Q_EUlS1P_E_NS1_11comp_targetILNS1_3genE2ELNS1_11target_archE906ELNS1_3gpuE6ELNS1_3repE0EEENS1_30default_config_static_selectorELNS0_4arch9wavefront6targetE0EEEvS12_.private_seg_size, 0
	.set _ZN7rocprim17ROCPRIM_400000_NS6detail17trampoline_kernelINS0_13select_configILj256ELj13ELNS0_17block_load_methodE3ELS4_3ELS4_3ELNS0_20block_scan_algorithmE0ELj4294967295EEENS1_25partition_config_selectorILNS1_17partition_subalgoE4EjNS0_10empty_typeEbEEZZNS1_14partition_implILS8_4ELb0ES6_15HIP_vector_typeIjLj2EENS0_17counting_iteratorIjlEEPS9_SG_NS0_5tupleIJPjSI_NS0_16reverse_iteratorISI_EEEEENSH_IJSG_SG_SG_EEES9_SI_JZNS1_25segmented_radix_sort_implINS0_14default_configELb0EPKaPaPKlPlN2at6native12_GLOBAL__N_18offset_tEEE10hipError_tPvRmT1_PNSt15iterator_traitsIS12_E10value_typeET2_T3_PNS13_IS18_E10value_typeET4_jRbjT5_S1E_jjP12ihipStream_tbEUljE_ZNSN_ISO_Lb0ESQ_SR_ST_SU_SY_EESZ_S10_S11_S12_S16_S17_S18_S1B_S1C_jS1D_jS1E_S1E_jjS1G_bEUljE0_EEESZ_S10_S11_S18_S1C_S1E_T6_T7_T9_mT8_S1G_bDpT10_ENKUlT_T0_E_clISt17integral_constantIbLb1EES1U_EEDaS1P_S1Q_EUlS1P_E_NS1_11comp_targetILNS1_3genE2ELNS1_11target_archE906ELNS1_3gpuE6ELNS1_3repE0EEENS1_30default_config_static_selectorELNS0_4arch9wavefront6targetE0EEEvS12_.uses_vcc, 0
	.set _ZN7rocprim17ROCPRIM_400000_NS6detail17trampoline_kernelINS0_13select_configILj256ELj13ELNS0_17block_load_methodE3ELS4_3ELS4_3ELNS0_20block_scan_algorithmE0ELj4294967295EEENS1_25partition_config_selectorILNS1_17partition_subalgoE4EjNS0_10empty_typeEbEEZZNS1_14partition_implILS8_4ELb0ES6_15HIP_vector_typeIjLj2EENS0_17counting_iteratorIjlEEPS9_SG_NS0_5tupleIJPjSI_NS0_16reverse_iteratorISI_EEEEENSH_IJSG_SG_SG_EEES9_SI_JZNS1_25segmented_radix_sort_implINS0_14default_configELb0EPKaPaPKlPlN2at6native12_GLOBAL__N_18offset_tEEE10hipError_tPvRmT1_PNSt15iterator_traitsIS12_E10value_typeET2_T3_PNS13_IS18_E10value_typeET4_jRbjT5_S1E_jjP12ihipStream_tbEUljE_ZNSN_ISO_Lb0ESQ_SR_ST_SU_SY_EESZ_S10_S11_S12_S16_S17_S18_S1B_S1C_jS1D_jS1E_S1E_jjS1G_bEUljE0_EEESZ_S10_S11_S18_S1C_S1E_T6_T7_T9_mT8_S1G_bDpT10_ENKUlT_T0_E_clISt17integral_constantIbLb1EES1U_EEDaS1P_S1Q_EUlS1P_E_NS1_11comp_targetILNS1_3genE2ELNS1_11target_archE906ELNS1_3gpuE6ELNS1_3repE0EEENS1_30default_config_static_selectorELNS0_4arch9wavefront6targetE0EEEvS12_.uses_flat_scratch, 0
	.set _ZN7rocprim17ROCPRIM_400000_NS6detail17trampoline_kernelINS0_13select_configILj256ELj13ELNS0_17block_load_methodE3ELS4_3ELS4_3ELNS0_20block_scan_algorithmE0ELj4294967295EEENS1_25partition_config_selectorILNS1_17partition_subalgoE4EjNS0_10empty_typeEbEEZZNS1_14partition_implILS8_4ELb0ES6_15HIP_vector_typeIjLj2EENS0_17counting_iteratorIjlEEPS9_SG_NS0_5tupleIJPjSI_NS0_16reverse_iteratorISI_EEEEENSH_IJSG_SG_SG_EEES9_SI_JZNS1_25segmented_radix_sort_implINS0_14default_configELb0EPKaPaPKlPlN2at6native12_GLOBAL__N_18offset_tEEE10hipError_tPvRmT1_PNSt15iterator_traitsIS12_E10value_typeET2_T3_PNS13_IS18_E10value_typeET4_jRbjT5_S1E_jjP12ihipStream_tbEUljE_ZNSN_ISO_Lb0ESQ_SR_ST_SU_SY_EESZ_S10_S11_S12_S16_S17_S18_S1B_S1C_jS1D_jS1E_S1E_jjS1G_bEUljE0_EEESZ_S10_S11_S18_S1C_S1E_T6_T7_T9_mT8_S1G_bDpT10_ENKUlT_T0_E_clISt17integral_constantIbLb1EES1U_EEDaS1P_S1Q_EUlS1P_E_NS1_11comp_targetILNS1_3genE2ELNS1_11target_archE906ELNS1_3gpuE6ELNS1_3repE0EEENS1_30default_config_static_selectorELNS0_4arch9wavefront6targetE0EEEvS12_.has_dyn_sized_stack, 0
	.set _ZN7rocprim17ROCPRIM_400000_NS6detail17trampoline_kernelINS0_13select_configILj256ELj13ELNS0_17block_load_methodE3ELS4_3ELS4_3ELNS0_20block_scan_algorithmE0ELj4294967295EEENS1_25partition_config_selectorILNS1_17partition_subalgoE4EjNS0_10empty_typeEbEEZZNS1_14partition_implILS8_4ELb0ES6_15HIP_vector_typeIjLj2EENS0_17counting_iteratorIjlEEPS9_SG_NS0_5tupleIJPjSI_NS0_16reverse_iteratorISI_EEEEENSH_IJSG_SG_SG_EEES9_SI_JZNS1_25segmented_radix_sort_implINS0_14default_configELb0EPKaPaPKlPlN2at6native12_GLOBAL__N_18offset_tEEE10hipError_tPvRmT1_PNSt15iterator_traitsIS12_E10value_typeET2_T3_PNS13_IS18_E10value_typeET4_jRbjT5_S1E_jjP12ihipStream_tbEUljE_ZNSN_ISO_Lb0ESQ_SR_ST_SU_SY_EESZ_S10_S11_S12_S16_S17_S18_S1B_S1C_jS1D_jS1E_S1E_jjS1G_bEUljE0_EEESZ_S10_S11_S18_S1C_S1E_T6_T7_T9_mT8_S1G_bDpT10_ENKUlT_T0_E_clISt17integral_constantIbLb1EES1U_EEDaS1P_S1Q_EUlS1P_E_NS1_11comp_targetILNS1_3genE2ELNS1_11target_archE906ELNS1_3gpuE6ELNS1_3repE0EEENS1_30default_config_static_selectorELNS0_4arch9wavefront6targetE0EEEvS12_.has_recursion, 0
	.set _ZN7rocprim17ROCPRIM_400000_NS6detail17trampoline_kernelINS0_13select_configILj256ELj13ELNS0_17block_load_methodE3ELS4_3ELS4_3ELNS0_20block_scan_algorithmE0ELj4294967295EEENS1_25partition_config_selectorILNS1_17partition_subalgoE4EjNS0_10empty_typeEbEEZZNS1_14partition_implILS8_4ELb0ES6_15HIP_vector_typeIjLj2EENS0_17counting_iteratorIjlEEPS9_SG_NS0_5tupleIJPjSI_NS0_16reverse_iteratorISI_EEEEENSH_IJSG_SG_SG_EEES9_SI_JZNS1_25segmented_radix_sort_implINS0_14default_configELb0EPKaPaPKlPlN2at6native12_GLOBAL__N_18offset_tEEE10hipError_tPvRmT1_PNSt15iterator_traitsIS12_E10value_typeET2_T3_PNS13_IS18_E10value_typeET4_jRbjT5_S1E_jjP12ihipStream_tbEUljE_ZNSN_ISO_Lb0ESQ_SR_ST_SU_SY_EESZ_S10_S11_S12_S16_S17_S18_S1B_S1C_jS1D_jS1E_S1E_jjS1G_bEUljE0_EEESZ_S10_S11_S18_S1C_S1E_T6_T7_T9_mT8_S1G_bDpT10_ENKUlT_T0_E_clISt17integral_constantIbLb1EES1U_EEDaS1P_S1Q_EUlS1P_E_NS1_11comp_targetILNS1_3genE2ELNS1_11target_archE906ELNS1_3gpuE6ELNS1_3repE0EEENS1_30default_config_static_selectorELNS0_4arch9wavefront6targetE0EEEvS12_.has_indirect_call, 0
	.section	.AMDGPU.csdata,"",@progbits
; Kernel info:
; codeLenInByte = 0
; TotalNumSgprs: 0
; NumVgprs: 0
; ScratchSize: 0
; MemoryBound: 0
; FloatMode: 240
; IeeeMode: 1
; LDSByteSize: 0 bytes/workgroup (compile time only)
; SGPRBlocks: 0
; VGPRBlocks: 0
; NumSGPRsForWavesPerEU: 1
; NumVGPRsForWavesPerEU: 1
; NamedBarCnt: 0
; Occupancy: 16
; WaveLimiterHint : 0
; COMPUTE_PGM_RSRC2:SCRATCH_EN: 0
; COMPUTE_PGM_RSRC2:USER_SGPR: 2
; COMPUTE_PGM_RSRC2:TRAP_HANDLER: 0
; COMPUTE_PGM_RSRC2:TGID_X_EN: 1
; COMPUTE_PGM_RSRC2:TGID_Y_EN: 0
; COMPUTE_PGM_RSRC2:TGID_Z_EN: 0
; COMPUTE_PGM_RSRC2:TIDIG_COMP_CNT: 0
	.section	.text._ZN7rocprim17ROCPRIM_400000_NS6detail17trampoline_kernelINS0_13select_configILj256ELj13ELNS0_17block_load_methodE3ELS4_3ELS4_3ELNS0_20block_scan_algorithmE0ELj4294967295EEENS1_25partition_config_selectorILNS1_17partition_subalgoE4EjNS0_10empty_typeEbEEZZNS1_14partition_implILS8_4ELb0ES6_15HIP_vector_typeIjLj2EENS0_17counting_iteratorIjlEEPS9_SG_NS0_5tupleIJPjSI_NS0_16reverse_iteratorISI_EEEEENSH_IJSG_SG_SG_EEES9_SI_JZNS1_25segmented_radix_sort_implINS0_14default_configELb0EPKaPaPKlPlN2at6native12_GLOBAL__N_18offset_tEEE10hipError_tPvRmT1_PNSt15iterator_traitsIS12_E10value_typeET2_T3_PNS13_IS18_E10value_typeET4_jRbjT5_S1E_jjP12ihipStream_tbEUljE_ZNSN_ISO_Lb0ESQ_SR_ST_SU_SY_EESZ_S10_S11_S12_S16_S17_S18_S1B_S1C_jS1D_jS1E_S1E_jjS1G_bEUljE0_EEESZ_S10_S11_S18_S1C_S1E_T6_T7_T9_mT8_S1G_bDpT10_ENKUlT_T0_E_clISt17integral_constantIbLb1EES1U_EEDaS1P_S1Q_EUlS1P_E_NS1_11comp_targetILNS1_3genE10ELNS1_11target_archE1200ELNS1_3gpuE4ELNS1_3repE0EEENS1_30default_config_static_selectorELNS0_4arch9wavefront6targetE0EEEvS12_,"axG",@progbits,_ZN7rocprim17ROCPRIM_400000_NS6detail17trampoline_kernelINS0_13select_configILj256ELj13ELNS0_17block_load_methodE3ELS4_3ELS4_3ELNS0_20block_scan_algorithmE0ELj4294967295EEENS1_25partition_config_selectorILNS1_17partition_subalgoE4EjNS0_10empty_typeEbEEZZNS1_14partition_implILS8_4ELb0ES6_15HIP_vector_typeIjLj2EENS0_17counting_iteratorIjlEEPS9_SG_NS0_5tupleIJPjSI_NS0_16reverse_iteratorISI_EEEEENSH_IJSG_SG_SG_EEES9_SI_JZNS1_25segmented_radix_sort_implINS0_14default_configELb0EPKaPaPKlPlN2at6native12_GLOBAL__N_18offset_tEEE10hipError_tPvRmT1_PNSt15iterator_traitsIS12_E10value_typeET2_T3_PNS13_IS18_E10value_typeET4_jRbjT5_S1E_jjP12ihipStream_tbEUljE_ZNSN_ISO_Lb0ESQ_SR_ST_SU_SY_EESZ_S10_S11_S12_S16_S17_S18_S1B_S1C_jS1D_jS1E_S1E_jjS1G_bEUljE0_EEESZ_S10_S11_S18_S1C_S1E_T6_T7_T9_mT8_S1G_bDpT10_ENKUlT_T0_E_clISt17integral_constantIbLb1EES1U_EEDaS1P_S1Q_EUlS1P_E_NS1_11comp_targetILNS1_3genE10ELNS1_11target_archE1200ELNS1_3gpuE4ELNS1_3repE0EEENS1_30default_config_static_selectorELNS0_4arch9wavefront6targetE0EEEvS12_,comdat
	.globl	_ZN7rocprim17ROCPRIM_400000_NS6detail17trampoline_kernelINS0_13select_configILj256ELj13ELNS0_17block_load_methodE3ELS4_3ELS4_3ELNS0_20block_scan_algorithmE0ELj4294967295EEENS1_25partition_config_selectorILNS1_17partition_subalgoE4EjNS0_10empty_typeEbEEZZNS1_14partition_implILS8_4ELb0ES6_15HIP_vector_typeIjLj2EENS0_17counting_iteratorIjlEEPS9_SG_NS0_5tupleIJPjSI_NS0_16reverse_iteratorISI_EEEEENSH_IJSG_SG_SG_EEES9_SI_JZNS1_25segmented_radix_sort_implINS0_14default_configELb0EPKaPaPKlPlN2at6native12_GLOBAL__N_18offset_tEEE10hipError_tPvRmT1_PNSt15iterator_traitsIS12_E10value_typeET2_T3_PNS13_IS18_E10value_typeET4_jRbjT5_S1E_jjP12ihipStream_tbEUljE_ZNSN_ISO_Lb0ESQ_SR_ST_SU_SY_EESZ_S10_S11_S12_S16_S17_S18_S1B_S1C_jS1D_jS1E_S1E_jjS1G_bEUljE0_EEESZ_S10_S11_S18_S1C_S1E_T6_T7_T9_mT8_S1G_bDpT10_ENKUlT_T0_E_clISt17integral_constantIbLb1EES1U_EEDaS1P_S1Q_EUlS1P_E_NS1_11comp_targetILNS1_3genE10ELNS1_11target_archE1200ELNS1_3gpuE4ELNS1_3repE0EEENS1_30default_config_static_selectorELNS0_4arch9wavefront6targetE0EEEvS12_ ; -- Begin function _ZN7rocprim17ROCPRIM_400000_NS6detail17trampoline_kernelINS0_13select_configILj256ELj13ELNS0_17block_load_methodE3ELS4_3ELS4_3ELNS0_20block_scan_algorithmE0ELj4294967295EEENS1_25partition_config_selectorILNS1_17partition_subalgoE4EjNS0_10empty_typeEbEEZZNS1_14partition_implILS8_4ELb0ES6_15HIP_vector_typeIjLj2EENS0_17counting_iteratorIjlEEPS9_SG_NS0_5tupleIJPjSI_NS0_16reverse_iteratorISI_EEEEENSH_IJSG_SG_SG_EEES9_SI_JZNS1_25segmented_radix_sort_implINS0_14default_configELb0EPKaPaPKlPlN2at6native12_GLOBAL__N_18offset_tEEE10hipError_tPvRmT1_PNSt15iterator_traitsIS12_E10value_typeET2_T3_PNS13_IS18_E10value_typeET4_jRbjT5_S1E_jjP12ihipStream_tbEUljE_ZNSN_ISO_Lb0ESQ_SR_ST_SU_SY_EESZ_S10_S11_S12_S16_S17_S18_S1B_S1C_jS1D_jS1E_S1E_jjS1G_bEUljE0_EEESZ_S10_S11_S18_S1C_S1E_T6_T7_T9_mT8_S1G_bDpT10_ENKUlT_T0_E_clISt17integral_constantIbLb1EES1U_EEDaS1P_S1Q_EUlS1P_E_NS1_11comp_targetILNS1_3genE10ELNS1_11target_archE1200ELNS1_3gpuE4ELNS1_3repE0EEENS1_30default_config_static_selectorELNS0_4arch9wavefront6targetE0EEEvS12_
	.p2align	8
	.type	_ZN7rocprim17ROCPRIM_400000_NS6detail17trampoline_kernelINS0_13select_configILj256ELj13ELNS0_17block_load_methodE3ELS4_3ELS4_3ELNS0_20block_scan_algorithmE0ELj4294967295EEENS1_25partition_config_selectorILNS1_17partition_subalgoE4EjNS0_10empty_typeEbEEZZNS1_14partition_implILS8_4ELb0ES6_15HIP_vector_typeIjLj2EENS0_17counting_iteratorIjlEEPS9_SG_NS0_5tupleIJPjSI_NS0_16reverse_iteratorISI_EEEEENSH_IJSG_SG_SG_EEES9_SI_JZNS1_25segmented_radix_sort_implINS0_14default_configELb0EPKaPaPKlPlN2at6native12_GLOBAL__N_18offset_tEEE10hipError_tPvRmT1_PNSt15iterator_traitsIS12_E10value_typeET2_T3_PNS13_IS18_E10value_typeET4_jRbjT5_S1E_jjP12ihipStream_tbEUljE_ZNSN_ISO_Lb0ESQ_SR_ST_SU_SY_EESZ_S10_S11_S12_S16_S17_S18_S1B_S1C_jS1D_jS1E_S1E_jjS1G_bEUljE0_EEESZ_S10_S11_S18_S1C_S1E_T6_T7_T9_mT8_S1G_bDpT10_ENKUlT_T0_E_clISt17integral_constantIbLb1EES1U_EEDaS1P_S1Q_EUlS1P_E_NS1_11comp_targetILNS1_3genE10ELNS1_11target_archE1200ELNS1_3gpuE4ELNS1_3repE0EEENS1_30default_config_static_selectorELNS0_4arch9wavefront6targetE0EEEvS12_,@function
_ZN7rocprim17ROCPRIM_400000_NS6detail17trampoline_kernelINS0_13select_configILj256ELj13ELNS0_17block_load_methodE3ELS4_3ELS4_3ELNS0_20block_scan_algorithmE0ELj4294967295EEENS1_25partition_config_selectorILNS1_17partition_subalgoE4EjNS0_10empty_typeEbEEZZNS1_14partition_implILS8_4ELb0ES6_15HIP_vector_typeIjLj2EENS0_17counting_iteratorIjlEEPS9_SG_NS0_5tupleIJPjSI_NS0_16reverse_iteratorISI_EEEEENSH_IJSG_SG_SG_EEES9_SI_JZNS1_25segmented_radix_sort_implINS0_14default_configELb0EPKaPaPKlPlN2at6native12_GLOBAL__N_18offset_tEEE10hipError_tPvRmT1_PNSt15iterator_traitsIS12_E10value_typeET2_T3_PNS13_IS18_E10value_typeET4_jRbjT5_S1E_jjP12ihipStream_tbEUljE_ZNSN_ISO_Lb0ESQ_SR_ST_SU_SY_EESZ_S10_S11_S12_S16_S17_S18_S1B_S1C_jS1D_jS1E_S1E_jjS1G_bEUljE0_EEESZ_S10_S11_S18_S1C_S1E_T6_T7_T9_mT8_S1G_bDpT10_ENKUlT_T0_E_clISt17integral_constantIbLb1EES1U_EEDaS1P_S1Q_EUlS1P_E_NS1_11comp_targetILNS1_3genE10ELNS1_11target_archE1200ELNS1_3gpuE4ELNS1_3repE0EEENS1_30default_config_static_selectorELNS0_4arch9wavefront6targetE0EEEvS12_: ; @_ZN7rocprim17ROCPRIM_400000_NS6detail17trampoline_kernelINS0_13select_configILj256ELj13ELNS0_17block_load_methodE3ELS4_3ELS4_3ELNS0_20block_scan_algorithmE0ELj4294967295EEENS1_25partition_config_selectorILNS1_17partition_subalgoE4EjNS0_10empty_typeEbEEZZNS1_14partition_implILS8_4ELb0ES6_15HIP_vector_typeIjLj2EENS0_17counting_iteratorIjlEEPS9_SG_NS0_5tupleIJPjSI_NS0_16reverse_iteratorISI_EEEEENSH_IJSG_SG_SG_EEES9_SI_JZNS1_25segmented_radix_sort_implINS0_14default_configELb0EPKaPaPKlPlN2at6native12_GLOBAL__N_18offset_tEEE10hipError_tPvRmT1_PNSt15iterator_traitsIS12_E10value_typeET2_T3_PNS13_IS18_E10value_typeET4_jRbjT5_S1E_jjP12ihipStream_tbEUljE_ZNSN_ISO_Lb0ESQ_SR_ST_SU_SY_EESZ_S10_S11_S12_S16_S17_S18_S1B_S1C_jS1D_jS1E_S1E_jjS1G_bEUljE0_EEESZ_S10_S11_S18_S1C_S1E_T6_T7_T9_mT8_S1G_bDpT10_ENKUlT_T0_E_clISt17integral_constantIbLb1EES1U_EEDaS1P_S1Q_EUlS1P_E_NS1_11comp_targetILNS1_3genE10ELNS1_11target_archE1200ELNS1_3gpuE4ELNS1_3repE0EEENS1_30default_config_static_selectorELNS0_4arch9wavefront6targetE0EEEvS12_
; %bb.0:
	.section	.rodata,"a",@progbits
	.p2align	6, 0x0
	.amdhsa_kernel _ZN7rocprim17ROCPRIM_400000_NS6detail17trampoline_kernelINS0_13select_configILj256ELj13ELNS0_17block_load_methodE3ELS4_3ELS4_3ELNS0_20block_scan_algorithmE0ELj4294967295EEENS1_25partition_config_selectorILNS1_17partition_subalgoE4EjNS0_10empty_typeEbEEZZNS1_14partition_implILS8_4ELb0ES6_15HIP_vector_typeIjLj2EENS0_17counting_iteratorIjlEEPS9_SG_NS0_5tupleIJPjSI_NS0_16reverse_iteratorISI_EEEEENSH_IJSG_SG_SG_EEES9_SI_JZNS1_25segmented_radix_sort_implINS0_14default_configELb0EPKaPaPKlPlN2at6native12_GLOBAL__N_18offset_tEEE10hipError_tPvRmT1_PNSt15iterator_traitsIS12_E10value_typeET2_T3_PNS13_IS18_E10value_typeET4_jRbjT5_S1E_jjP12ihipStream_tbEUljE_ZNSN_ISO_Lb0ESQ_SR_ST_SU_SY_EESZ_S10_S11_S12_S16_S17_S18_S1B_S1C_jS1D_jS1E_S1E_jjS1G_bEUljE0_EEESZ_S10_S11_S18_S1C_S1E_T6_T7_T9_mT8_S1G_bDpT10_ENKUlT_T0_E_clISt17integral_constantIbLb1EES1U_EEDaS1P_S1Q_EUlS1P_E_NS1_11comp_targetILNS1_3genE10ELNS1_11target_archE1200ELNS1_3gpuE4ELNS1_3repE0EEENS1_30default_config_static_selectorELNS0_4arch9wavefront6targetE0EEEvS12_
		.amdhsa_group_segment_fixed_size 0
		.amdhsa_private_segment_fixed_size 0
		.amdhsa_kernarg_size 184
		.amdhsa_user_sgpr_count 2
		.amdhsa_user_sgpr_dispatch_ptr 0
		.amdhsa_user_sgpr_queue_ptr 0
		.amdhsa_user_sgpr_kernarg_segment_ptr 1
		.amdhsa_user_sgpr_dispatch_id 0
		.amdhsa_user_sgpr_kernarg_preload_length 0
		.amdhsa_user_sgpr_kernarg_preload_offset 0
		.amdhsa_user_sgpr_private_segment_size 0
		.amdhsa_wavefront_size32 1
		.amdhsa_uses_dynamic_stack 0
		.amdhsa_enable_private_segment 0
		.amdhsa_system_sgpr_workgroup_id_x 1
		.amdhsa_system_sgpr_workgroup_id_y 0
		.amdhsa_system_sgpr_workgroup_id_z 0
		.amdhsa_system_sgpr_workgroup_info 0
		.amdhsa_system_vgpr_workitem_id 0
		.amdhsa_next_free_vgpr 1
		.amdhsa_next_free_sgpr 1
		.amdhsa_named_barrier_count 0
		.amdhsa_reserve_vcc 0
		.amdhsa_float_round_mode_32 0
		.amdhsa_float_round_mode_16_64 0
		.amdhsa_float_denorm_mode_32 3
		.amdhsa_float_denorm_mode_16_64 3
		.amdhsa_fp16_overflow 0
		.amdhsa_memory_ordered 1
		.amdhsa_forward_progress 1
		.amdhsa_inst_pref_size 0
		.amdhsa_round_robin_scheduling 0
		.amdhsa_exception_fp_ieee_invalid_op 0
		.amdhsa_exception_fp_denorm_src 0
		.amdhsa_exception_fp_ieee_div_zero 0
		.amdhsa_exception_fp_ieee_overflow 0
		.amdhsa_exception_fp_ieee_underflow 0
		.amdhsa_exception_fp_ieee_inexact 0
		.amdhsa_exception_int_div_zero 0
	.end_amdhsa_kernel
	.section	.text._ZN7rocprim17ROCPRIM_400000_NS6detail17trampoline_kernelINS0_13select_configILj256ELj13ELNS0_17block_load_methodE3ELS4_3ELS4_3ELNS0_20block_scan_algorithmE0ELj4294967295EEENS1_25partition_config_selectorILNS1_17partition_subalgoE4EjNS0_10empty_typeEbEEZZNS1_14partition_implILS8_4ELb0ES6_15HIP_vector_typeIjLj2EENS0_17counting_iteratorIjlEEPS9_SG_NS0_5tupleIJPjSI_NS0_16reverse_iteratorISI_EEEEENSH_IJSG_SG_SG_EEES9_SI_JZNS1_25segmented_radix_sort_implINS0_14default_configELb0EPKaPaPKlPlN2at6native12_GLOBAL__N_18offset_tEEE10hipError_tPvRmT1_PNSt15iterator_traitsIS12_E10value_typeET2_T3_PNS13_IS18_E10value_typeET4_jRbjT5_S1E_jjP12ihipStream_tbEUljE_ZNSN_ISO_Lb0ESQ_SR_ST_SU_SY_EESZ_S10_S11_S12_S16_S17_S18_S1B_S1C_jS1D_jS1E_S1E_jjS1G_bEUljE0_EEESZ_S10_S11_S18_S1C_S1E_T6_T7_T9_mT8_S1G_bDpT10_ENKUlT_T0_E_clISt17integral_constantIbLb1EES1U_EEDaS1P_S1Q_EUlS1P_E_NS1_11comp_targetILNS1_3genE10ELNS1_11target_archE1200ELNS1_3gpuE4ELNS1_3repE0EEENS1_30default_config_static_selectorELNS0_4arch9wavefront6targetE0EEEvS12_,"axG",@progbits,_ZN7rocprim17ROCPRIM_400000_NS6detail17trampoline_kernelINS0_13select_configILj256ELj13ELNS0_17block_load_methodE3ELS4_3ELS4_3ELNS0_20block_scan_algorithmE0ELj4294967295EEENS1_25partition_config_selectorILNS1_17partition_subalgoE4EjNS0_10empty_typeEbEEZZNS1_14partition_implILS8_4ELb0ES6_15HIP_vector_typeIjLj2EENS0_17counting_iteratorIjlEEPS9_SG_NS0_5tupleIJPjSI_NS0_16reverse_iteratorISI_EEEEENSH_IJSG_SG_SG_EEES9_SI_JZNS1_25segmented_radix_sort_implINS0_14default_configELb0EPKaPaPKlPlN2at6native12_GLOBAL__N_18offset_tEEE10hipError_tPvRmT1_PNSt15iterator_traitsIS12_E10value_typeET2_T3_PNS13_IS18_E10value_typeET4_jRbjT5_S1E_jjP12ihipStream_tbEUljE_ZNSN_ISO_Lb0ESQ_SR_ST_SU_SY_EESZ_S10_S11_S12_S16_S17_S18_S1B_S1C_jS1D_jS1E_S1E_jjS1G_bEUljE0_EEESZ_S10_S11_S18_S1C_S1E_T6_T7_T9_mT8_S1G_bDpT10_ENKUlT_T0_E_clISt17integral_constantIbLb1EES1U_EEDaS1P_S1Q_EUlS1P_E_NS1_11comp_targetILNS1_3genE10ELNS1_11target_archE1200ELNS1_3gpuE4ELNS1_3repE0EEENS1_30default_config_static_selectorELNS0_4arch9wavefront6targetE0EEEvS12_,comdat
.Lfunc_end339:
	.size	_ZN7rocprim17ROCPRIM_400000_NS6detail17trampoline_kernelINS0_13select_configILj256ELj13ELNS0_17block_load_methodE3ELS4_3ELS4_3ELNS0_20block_scan_algorithmE0ELj4294967295EEENS1_25partition_config_selectorILNS1_17partition_subalgoE4EjNS0_10empty_typeEbEEZZNS1_14partition_implILS8_4ELb0ES6_15HIP_vector_typeIjLj2EENS0_17counting_iteratorIjlEEPS9_SG_NS0_5tupleIJPjSI_NS0_16reverse_iteratorISI_EEEEENSH_IJSG_SG_SG_EEES9_SI_JZNS1_25segmented_radix_sort_implINS0_14default_configELb0EPKaPaPKlPlN2at6native12_GLOBAL__N_18offset_tEEE10hipError_tPvRmT1_PNSt15iterator_traitsIS12_E10value_typeET2_T3_PNS13_IS18_E10value_typeET4_jRbjT5_S1E_jjP12ihipStream_tbEUljE_ZNSN_ISO_Lb0ESQ_SR_ST_SU_SY_EESZ_S10_S11_S12_S16_S17_S18_S1B_S1C_jS1D_jS1E_S1E_jjS1G_bEUljE0_EEESZ_S10_S11_S18_S1C_S1E_T6_T7_T9_mT8_S1G_bDpT10_ENKUlT_T0_E_clISt17integral_constantIbLb1EES1U_EEDaS1P_S1Q_EUlS1P_E_NS1_11comp_targetILNS1_3genE10ELNS1_11target_archE1200ELNS1_3gpuE4ELNS1_3repE0EEENS1_30default_config_static_selectorELNS0_4arch9wavefront6targetE0EEEvS12_, .Lfunc_end339-_ZN7rocprim17ROCPRIM_400000_NS6detail17trampoline_kernelINS0_13select_configILj256ELj13ELNS0_17block_load_methodE3ELS4_3ELS4_3ELNS0_20block_scan_algorithmE0ELj4294967295EEENS1_25partition_config_selectorILNS1_17partition_subalgoE4EjNS0_10empty_typeEbEEZZNS1_14partition_implILS8_4ELb0ES6_15HIP_vector_typeIjLj2EENS0_17counting_iteratorIjlEEPS9_SG_NS0_5tupleIJPjSI_NS0_16reverse_iteratorISI_EEEEENSH_IJSG_SG_SG_EEES9_SI_JZNS1_25segmented_radix_sort_implINS0_14default_configELb0EPKaPaPKlPlN2at6native12_GLOBAL__N_18offset_tEEE10hipError_tPvRmT1_PNSt15iterator_traitsIS12_E10value_typeET2_T3_PNS13_IS18_E10value_typeET4_jRbjT5_S1E_jjP12ihipStream_tbEUljE_ZNSN_ISO_Lb0ESQ_SR_ST_SU_SY_EESZ_S10_S11_S12_S16_S17_S18_S1B_S1C_jS1D_jS1E_S1E_jjS1G_bEUljE0_EEESZ_S10_S11_S18_S1C_S1E_T6_T7_T9_mT8_S1G_bDpT10_ENKUlT_T0_E_clISt17integral_constantIbLb1EES1U_EEDaS1P_S1Q_EUlS1P_E_NS1_11comp_targetILNS1_3genE10ELNS1_11target_archE1200ELNS1_3gpuE4ELNS1_3repE0EEENS1_30default_config_static_selectorELNS0_4arch9wavefront6targetE0EEEvS12_
                                        ; -- End function
	.set _ZN7rocprim17ROCPRIM_400000_NS6detail17trampoline_kernelINS0_13select_configILj256ELj13ELNS0_17block_load_methodE3ELS4_3ELS4_3ELNS0_20block_scan_algorithmE0ELj4294967295EEENS1_25partition_config_selectorILNS1_17partition_subalgoE4EjNS0_10empty_typeEbEEZZNS1_14partition_implILS8_4ELb0ES6_15HIP_vector_typeIjLj2EENS0_17counting_iteratorIjlEEPS9_SG_NS0_5tupleIJPjSI_NS0_16reverse_iteratorISI_EEEEENSH_IJSG_SG_SG_EEES9_SI_JZNS1_25segmented_radix_sort_implINS0_14default_configELb0EPKaPaPKlPlN2at6native12_GLOBAL__N_18offset_tEEE10hipError_tPvRmT1_PNSt15iterator_traitsIS12_E10value_typeET2_T3_PNS13_IS18_E10value_typeET4_jRbjT5_S1E_jjP12ihipStream_tbEUljE_ZNSN_ISO_Lb0ESQ_SR_ST_SU_SY_EESZ_S10_S11_S12_S16_S17_S18_S1B_S1C_jS1D_jS1E_S1E_jjS1G_bEUljE0_EEESZ_S10_S11_S18_S1C_S1E_T6_T7_T9_mT8_S1G_bDpT10_ENKUlT_T0_E_clISt17integral_constantIbLb1EES1U_EEDaS1P_S1Q_EUlS1P_E_NS1_11comp_targetILNS1_3genE10ELNS1_11target_archE1200ELNS1_3gpuE4ELNS1_3repE0EEENS1_30default_config_static_selectorELNS0_4arch9wavefront6targetE0EEEvS12_.num_vgpr, 0
	.set _ZN7rocprim17ROCPRIM_400000_NS6detail17trampoline_kernelINS0_13select_configILj256ELj13ELNS0_17block_load_methodE3ELS4_3ELS4_3ELNS0_20block_scan_algorithmE0ELj4294967295EEENS1_25partition_config_selectorILNS1_17partition_subalgoE4EjNS0_10empty_typeEbEEZZNS1_14partition_implILS8_4ELb0ES6_15HIP_vector_typeIjLj2EENS0_17counting_iteratorIjlEEPS9_SG_NS0_5tupleIJPjSI_NS0_16reverse_iteratorISI_EEEEENSH_IJSG_SG_SG_EEES9_SI_JZNS1_25segmented_radix_sort_implINS0_14default_configELb0EPKaPaPKlPlN2at6native12_GLOBAL__N_18offset_tEEE10hipError_tPvRmT1_PNSt15iterator_traitsIS12_E10value_typeET2_T3_PNS13_IS18_E10value_typeET4_jRbjT5_S1E_jjP12ihipStream_tbEUljE_ZNSN_ISO_Lb0ESQ_SR_ST_SU_SY_EESZ_S10_S11_S12_S16_S17_S18_S1B_S1C_jS1D_jS1E_S1E_jjS1G_bEUljE0_EEESZ_S10_S11_S18_S1C_S1E_T6_T7_T9_mT8_S1G_bDpT10_ENKUlT_T0_E_clISt17integral_constantIbLb1EES1U_EEDaS1P_S1Q_EUlS1P_E_NS1_11comp_targetILNS1_3genE10ELNS1_11target_archE1200ELNS1_3gpuE4ELNS1_3repE0EEENS1_30default_config_static_selectorELNS0_4arch9wavefront6targetE0EEEvS12_.num_agpr, 0
	.set _ZN7rocprim17ROCPRIM_400000_NS6detail17trampoline_kernelINS0_13select_configILj256ELj13ELNS0_17block_load_methodE3ELS4_3ELS4_3ELNS0_20block_scan_algorithmE0ELj4294967295EEENS1_25partition_config_selectorILNS1_17partition_subalgoE4EjNS0_10empty_typeEbEEZZNS1_14partition_implILS8_4ELb0ES6_15HIP_vector_typeIjLj2EENS0_17counting_iteratorIjlEEPS9_SG_NS0_5tupleIJPjSI_NS0_16reverse_iteratorISI_EEEEENSH_IJSG_SG_SG_EEES9_SI_JZNS1_25segmented_radix_sort_implINS0_14default_configELb0EPKaPaPKlPlN2at6native12_GLOBAL__N_18offset_tEEE10hipError_tPvRmT1_PNSt15iterator_traitsIS12_E10value_typeET2_T3_PNS13_IS18_E10value_typeET4_jRbjT5_S1E_jjP12ihipStream_tbEUljE_ZNSN_ISO_Lb0ESQ_SR_ST_SU_SY_EESZ_S10_S11_S12_S16_S17_S18_S1B_S1C_jS1D_jS1E_S1E_jjS1G_bEUljE0_EEESZ_S10_S11_S18_S1C_S1E_T6_T7_T9_mT8_S1G_bDpT10_ENKUlT_T0_E_clISt17integral_constantIbLb1EES1U_EEDaS1P_S1Q_EUlS1P_E_NS1_11comp_targetILNS1_3genE10ELNS1_11target_archE1200ELNS1_3gpuE4ELNS1_3repE0EEENS1_30default_config_static_selectorELNS0_4arch9wavefront6targetE0EEEvS12_.numbered_sgpr, 0
	.set _ZN7rocprim17ROCPRIM_400000_NS6detail17trampoline_kernelINS0_13select_configILj256ELj13ELNS0_17block_load_methodE3ELS4_3ELS4_3ELNS0_20block_scan_algorithmE0ELj4294967295EEENS1_25partition_config_selectorILNS1_17partition_subalgoE4EjNS0_10empty_typeEbEEZZNS1_14partition_implILS8_4ELb0ES6_15HIP_vector_typeIjLj2EENS0_17counting_iteratorIjlEEPS9_SG_NS0_5tupleIJPjSI_NS0_16reverse_iteratorISI_EEEEENSH_IJSG_SG_SG_EEES9_SI_JZNS1_25segmented_radix_sort_implINS0_14default_configELb0EPKaPaPKlPlN2at6native12_GLOBAL__N_18offset_tEEE10hipError_tPvRmT1_PNSt15iterator_traitsIS12_E10value_typeET2_T3_PNS13_IS18_E10value_typeET4_jRbjT5_S1E_jjP12ihipStream_tbEUljE_ZNSN_ISO_Lb0ESQ_SR_ST_SU_SY_EESZ_S10_S11_S12_S16_S17_S18_S1B_S1C_jS1D_jS1E_S1E_jjS1G_bEUljE0_EEESZ_S10_S11_S18_S1C_S1E_T6_T7_T9_mT8_S1G_bDpT10_ENKUlT_T0_E_clISt17integral_constantIbLb1EES1U_EEDaS1P_S1Q_EUlS1P_E_NS1_11comp_targetILNS1_3genE10ELNS1_11target_archE1200ELNS1_3gpuE4ELNS1_3repE0EEENS1_30default_config_static_selectorELNS0_4arch9wavefront6targetE0EEEvS12_.num_named_barrier, 0
	.set _ZN7rocprim17ROCPRIM_400000_NS6detail17trampoline_kernelINS0_13select_configILj256ELj13ELNS0_17block_load_methodE3ELS4_3ELS4_3ELNS0_20block_scan_algorithmE0ELj4294967295EEENS1_25partition_config_selectorILNS1_17partition_subalgoE4EjNS0_10empty_typeEbEEZZNS1_14partition_implILS8_4ELb0ES6_15HIP_vector_typeIjLj2EENS0_17counting_iteratorIjlEEPS9_SG_NS0_5tupleIJPjSI_NS0_16reverse_iteratorISI_EEEEENSH_IJSG_SG_SG_EEES9_SI_JZNS1_25segmented_radix_sort_implINS0_14default_configELb0EPKaPaPKlPlN2at6native12_GLOBAL__N_18offset_tEEE10hipError_tPvRmT1_PNSt15iterator_traitsIS12_E10value_typeET2_T3_PNS13_IS18_E10value_typeET4_jRbjT5_S1E_jjP12ihipStream_tbEUljE_ZNSN_ISO_Lb0ESQ_SR_ST_SU_SY_EESZ_S10_S11_S12_S16_S17_S18_S1B_S1C_jS1D_jS1E_S1E_jjS1G_bEUljE0_EEESZ_S10_S11_S18_S1C_S1E_T6_T7_T9_mT8_S1G_bDpT10_ENKUlT_T0_E_clISt17integral_constantIbLb1EES1U_EEDaS1P_S1Q_EUlS1P_E_NS1_11comp_targetILNS1_3genE10ELNS1_11target_archE1200ELNS1_3gpuE4ELNS1_3repE0EEENS1_30default_config_static_selectorELNS0_4arch9wavefront6targetE0EEEvS12_.private_seg_size, 0
	.set _ZN7rocprim17ROCPRIM_400000_NS6detail17trampoline_kernelINS0_13select_configILj256ELj13ELNS0_17block_load_methodE3ELS4_3ELS4_3ELNS0_20block_scan_algorithmE0ELj4294967295EEENS1_25partition_config_selectorILNS1_17partition_subalgoE4EjNS0_10empty_typeEbEEZZNS1_14partition_implILS8_4ELb0ES6_15HIP_vector_typeIjLj2EENS0_17counting_iteratorIjlEEPS9_SG_NS0_5tupleIJPjSI_NS0_16reverse_iteratorISI_EEEEENSH_IJSG_SG_SG_EEES9_SI_JZNS1_25segmented_radix_sort_implINS0_14default_configELb0EPKaPaPKlPlN2at6native12_GLOBAL__N_18offset_tEEE10hipError_tPvRmT1_PNSt15iterator_traitsIS12_E10value_typeET2_T3_PNS13_IS18_E10value_typeET4_jRbjT5_S1E_jjP12ihipStream_tbEUljE_ZNSN_ISO_Lb0ESQ_SR_ST_SU_SY_EESZ_S10_S11_S12_S16_S17_S18_S1B_S1C_jS1D_jS1E_S1E_jjS1G_bEUljE0_EEESZ_S10_S11_S18_S1C_S1E_T6_T7_T9_mT8_S1G_bDpT10_ENKUlT_T0_E_clISt17integral_constantIbLb1EES1U_EEDaS1P_S1Q_EUlS1P_E_NS1_11comp_targetILNS1_3genE10ELNS1_11target_archE1200ELNS1_3gpuE4ELNS1_3repE0EEENS1_30default_config_static_selectorELNS0_4arch9wavefront6targetE0EEEvS12_.uses_vcc, 0
	.set _ZN7rocprim17ROCPRIM_400000_NS6detail17trampoline_kernelINS0_13select_configILj256ELj13ELNS0_17block_load_methodE3ELS4_3ELS4_3ELNS0_20block_scan_algorithmE0ELj4294967295EEENS1_25partition_config_selectorILNS1_17partition_subalgoE4EjNS0_10empty_typeEbEEZZNS1_14partition_implILS8_4ELb0ES6_15HIP_vector_typeIjLj2EENS0_17counting_iteratorIjlEEPS9_SG_NS0_5tupleIJPjSI_NS0_16reverse_iteratorISI_EEEEENSH_IJSG_SG_SG_EEES9_SI_JZNS1_25segmented_radix_sort_implINS0_14default_configELb0EPKaPaPKlPlN2at6native12_GLOBAL__N_18offset_tEEE10hipError_tPvRmT1_PNSt15iterator_traitsIS12_E10value_typeET2_T3_PNS13_IS18_E10value_typeET4_jRbjT5_S1E_jjP12ihipStream_tbEUljE_ZNSN_ISO_Lb0ESQ_SR_ST_SU_SY_EESZ_S10_S11_S12_S16_S17_S18_S1B_S1C_jS1D_jS1E_S1E_jjS1G_bEUljE0_EEESZ_S10_S11_S18_S1C_S1E_T6_T7_T9_mT8_S1G_bDpT10_ENKUlT_T0_E_clISt17integral_constantIbLb1EES1U_EEDaS1P_S1Q_EUlS1P_E_NS1_11comp_targetILNS1_3genE10ELNS1_11target_archE1200ELNS1_3gpuE4ELNS1_3repE0EEENS1_30default_config_static_selectorELNS0_4arch9wavefront6targetE0EEEvS12_.uses_flat_scratch, 0
	.set _ZN7rocprim17ROCPRIM_400000_NS6detail17trampoline_kernelINS0_13select_configILj256ELj13ELNS0_17block_load_methodE3ELS4_3ELS4_3ELNS0_20block_scan_algorithmE0ELj4294967295EEENS1_25partition_config_selectorILNS1_17partition_subalgoE4EjNS0_10empty_typeEbEEZZNS1_14partition_implILS8_4ELb0ES6_15HIP_vector_typeIjLj2EENS0_17counting_iteratorIjlEEPS9_SG_NS0_5tupleIJPjSI_NS0_16reverse_iteratorISI_EEEEENSH_IJSG_SG_SG_EEES9_SI_JZNS1_25segmented_radix_sort_implINS0_14default_configELb0EPKaPaPKlPlN2at6native12_GLOBAL__N_18offset_tEEE10hipError_tPvRmT1_PNSt15iterator_traitsIS12_E10value_typeET2_T3_PNS13_IS18_E10value_typeET4_jRbjT5_S1E_jjP12ihipStream_tbEUljE_ZNSN_ISO_Lb0ESQ_SR_ST_SU_SY_EESZ_S10_S11_S12_S16_S17_S18_S1B_S1C_jS1D_jS1E_S1E_jjS1G_bEUljE0_EEESZ_S10_S11_S18_S1C_S1E_T6_T7_T9_mT8_S1G_bDpT10_ENKUlT_T0_E_clISt17integral_constantIbLb1EES1U_EEDaS1P_S1Q_EUlS1P_E_NS1_11comp_targetILNS1_3genE10ELNS1_11target_archE1200ELNS1_3gpuE4ELNS1_3repE0EEENS1_30default_config_static_selectorELNS0_4arch9wavefront6targetE0EEEvS12_.has_dyn_sized_stack, 0
	.set _ZN7rocprim17ROCPRIM_400000_NS6detail17trampoline_kernelINS0_13select_configILj256ELj13ELNS0_17block_load_methodE3ELS4_3ELS4_3ELNS0_20block_scan_algorithmE0ELj4294967295EEENS1_25partition_config_selectorILNS1_17partition_subalgoE4EjNS0_10empty_typeEbEEZZNS1_14partition_implILS8_4ELb0ES6_15HIP_vector_typeIjLj2EENS0_17counting_iteratorIjlEEPS9_SG_NS0_5tupleIJPjSI_NS0_16reverse_iteratorISI_EEEEENSH_IJSG_SG_SG_EEES9_SI_JZNS1_25segmented_radix_sort_implINS0_14default_configELb0EPKaPaPKlPlN2at6native12_GLOBAL__N_18offset_tEEE10hipError_tPvRmT1_PNSt15iterator_traitsIS12_E10value_typeET2_T3_PNS13_IS18_E10value_typeET4_jRbjT5_S1E_jjP12ihipStream_tbEUljE_ZNSN_ISO_Lb0ESQ_SR_ST_SU_SY_EESZ_S10_S11_S12_S16_S17_S18_S1B_S1C_jS1D_jS1E_S1E_jjS1G_bEUljE0_EEESZ_S10_S11_S18_S1C_S1E_T6_T7_T9_mT8_S1G_bDpT10_ENKUlT_T0_E_clISt17integral_constantIbLb1EES1U_EEDaS1P_S1Q_EUlS1P_E_NS1_11comp_targetILNS1_3genE10ELNS1_11target_archE1200ELNS1_3gpuE4ELNS1_3repE0EEENS1_30default_config_static_selectorELNS0_4arch9wavefront6targetE0EEEvS12_.has_recursion, 0
	.set _ZN7rocprim17ROCPRIM_400000_NS6detail17trampoline_kernelINS0_13select_configILj256ELj13ELNS0_17block_load_methodE3ELS4_3ELS4_3ELNS0_20block_scan_algorithmE0ELj4294967295EEENS1_25partition_config_selectorILNS1_17partition_subalgoE4EjNS0_10empty_typeEbEEZZNS1_14partition_implILS8_4ELb0ES6_15HIP_vector_typeIjLj2EENS0_17counting_iteratorIjlEEPS9_SG_NS0_5tupleIJPjSI_NS0_16reverse_iteratorISI_EEEEENSH_IJSG_SG_SG_EEES9_SI_JZNS1_25segmented_radix_sort_implINS0_14default_configELb0EPKaPaPKlPlN2at6native12_GLOBAL__N_18offset_tEEE10hipError_tPvRmT1_PNSt15iterator_traitsIS12_E10value_typeET2_T3_PNS13_IS18_E10value_typeET4_jRbjT5_S1E_jjP12ihipStream_tbEUljE_ZNSN_ISO_Lb0ESQ_SR_ST_SU_SY_EESZ_S10_S11_S12_S16_S17_S18_S1B_S1C_jS1D_jS1E_S1E_jjS1G_bEUljE0_EEESZ_S10_S11_S18_S1C_S1E_T6_T7_T9_mT8_S1G_bDpT10_ENKUlT_T0_E_clISt17integral_constantIbLb1EES1U_EEDaS1P_S1Q_EUlS1P_E_NS1_11comp_targetILNS1_3genE10ELNS1_11target_archE1200ELNS1_3gpuE4ELNS1_3repE0EEENS1_30default_config_static_selectorELNS0_4arch9wavefront6targetE0EEEvS12_.has_indirect_call, 0
	.section	.AMDGPU.csdata,"",@progbits
; Kernel info:
; codeLenInByte = 0
; TotalNumSgprs: 0
; NumVgprs: 0
; ScratchSize: 0
; MemoryBound: 0
; FloatMode: 240
; IeeeMode: 1
; LDSByteSize: 0 bytes/workgroup (compile time only)
; SGPRBlocks: 0
; VGPRBlocks: 0
; NumSGPRsForWavesPerEU: 1
; NumVGPRsForWavesPerEU: 1
; NamedBarCnt: 0
; Occupancy: 16
; WaveLimiterHint : 0
; COMPUTE_PGM_RSRC2:SCRATCH_EN: 0
; COMPUTE_PGM_RSRC2:USER_SGPR: 2
; COMPUTE_PGM_RSRC2:TRAP_HANDLER: 0
; COMPUTE_PGM_RSRC2:TGID_X_EN: 1
; COMPUTE_PGM_RSRC2:TGID_Y_EN: 0
; COMPUTE_PGM_RSRC2:TGID_Z_EN: 0
; COMPUTE_PGM_RSRC2:TIDIG_COMP_CNT: 0
	.section	.text._ZN7rocprim17ROCPRIM_400000_NS6detail17trampoline_kernelINS0_13select_configILj256ELj13ELNS0_17block_load_methodE3ELS4_3ELS4_3ELNS0_20block_scan_algorithmE0ELj4294967295EEENS1_25partition_config_selectorILNS1_17partition_subalgoE4EjNS0_10empty_typeEbEEZZNS1_14partition_implILS8_4ELb0ES6_15HIP_vector_typeIjLj2EENS0_17counting_iteratorIjlEEPS9_SG_NS0_5tupleIJPjSI_NS0_16reverse_iteratorISI_EEEEENSH_IJSG_SG_SG_EEES9_SI_JZNS1_25segmented_radix_sort_implINS0_14default_configELb0EPKaPaPKlPlN2at6native12_GLOBAL__N_18offset_tEEE10hipError_tPvRmT1_PNSt15iterator_traitsIS12_E10value_typeET2_T3_PNS13_IS18_E10value_typeET4_jRbjT5_S1E_jjP12ihipStream_tbEUljE_ZNSN_ISO_Lb0ESQ_SR_ST_SU_SY_EESZ_S10_S11_S12_S16_S17_S18_S1B_S1C_jS1D_jS1E_S1E_jjS1G_bEUljE0_EEESZ_S10_S11_S18_S1C_S1E_T6_T7_T9_mT8_S1G_bDpT10_ENKUlT_T0_E_clISt17integral_constantIbLb1EES1U_EEDaS1P_S1Q_EUlS1P_E_NS1_11comp_targetILNS1_3genE9ELNS1_11target_archE1100ELNS1_3gpuE3ELNS1_3repE0EEENS1_30default_config_static_selectorELNS0_4arch9wavefront6targetE0EEEvS12_,"axG",@progbits,_ZN7rocprim17ROCPRIM_400000_NS6detail17trampoline_kernelINS0_13select_configILj256ELj13ELNS0_17block_load_methodE3ELS4_3ELS4_3ELNS0_20block_scan_algorithmE0ELj4294967295EEENS1_25partition_config_selectorILNS1_17partition_subalgoE4EjNS0_10empty_typeEbEEZZNS1_14partition_implILS8_4ELb0ES6_15HIP_vector_typeIjLj2EENS0_17counting_iteratorIjlEEPS9_SG_NS0_5tupleIJPjSI_NS0_16reverse_iteratorISI_EEEEENSH_IJSG_SG_SG_EEES9_SI_JZNS1_25segmented_radix_sort_implINS0_14default_configELb0EPKaPaPKlPlN2at6native12_GLOBAL__N_18offset_tEEE10hipError_tPvRmT1_PNSt15iterator_traitsIS12_E10value_typeET2_T3_PNS13_IS18_E10value_typeET4_jRbjT5_S1E_jjP12ihipStream_tbEUljE_ZNSN_ISO_Lb0ESQ_SR_ST_SU_SY_EESZ_S10_S11_S12_S16_S17_S18_S1B_S1C_jS1D_jS1E_S1E_jjS1G_bEUljE0_EEESZ_S10_S11_S18_S1C_S1E_T6_T7_T9_mT8_S1G_bDpT10_ENKUlT_T0_E_clISt17integral_constantIbLb1EES1U_EEDaS1P_S1Q_EUlS1P_E_NS1_11comp_targetILNS1_3genE9ELNS1_11target_archE1100ELNS1_3gpuE3ELNS1_3repE0EEENS1_30default_config_static_selectorELNS0_4arch9wavefront6targetE0EEEvS12_,comdat
	.globl	_ZN7rocprim17ROCPRIM_400000_NS6detail17trampoline_kernelINS0_13select_configILj256ELj13ELNS0_17block_load_methodE3ELS4_3ELS4_3ELNS0_20block_scan_algorithmE0ELj4294967295EEENS1_25partition_config_selectorILNS1_17partition_subalgoE4EjNS0_10empty_typeEbEEZZNS1_14partition_implILS8_4ELb0ES6_15HIP_vector_typeIjLj2EENS0_17counting_iteratorIjlEEPS9_SG_NS0_5tupleIJPjSI_NS0_16reverse_iteratorISI_EEEEENSH_IJSG_SG_SG_EEES9_SI_JZNS1_25segmented_radix_sort_implINS0_14default_configELb0EPKaPaPKlPlN2at6native12_GLOBAL__N_18offset_tEEE10hipError_tPvRmT1_PNSt15iterator_traitsIS12_E10value_typeET2_T3_PNS13_IS18_E10value_typeET4_jRbjT5_S1E_jjP12ihipStream_tbEUljE_ZNSN_ISO_Lb0ESQ_SR_ST_SU_SY_EESZ_S10_S11_S12_S16_S17_S18_S1B_S1C_jS1D_jS1E_S1E_jjS1G_bEUljE0_EEESZ_S10_S11_S18_S1C_S1E_T6_T7_T9_mT8_S1G_bDpT10_ENKUlT_T0_E_clISt17integral_constantIbLb1EES1U_EEDaS1P_S1Q_EUlS1P_E_NS1_11comp_targetILNS1_3genE9ELNS1_11target_archE1100ELNS1_3gpuE3ELNS1_3repE0EEENS1_30default_config_static_selectorELNS0_4arch9wavefront6targetE0EEEvS12_ ; -- Begin function _ZN7rocprim17ROCPRIM_400000_NS6detail17trampoline_kernelINS0_13select_configILj256ELj13ELNS0_17block_load_methodE3ELS4_3ELS4_3ELNS0_20block_scan_algorithmE0ELj4294967295EEENS1_25partition_config_selectorILNS1_17partition_subalgoE4EjNS0_10empty_typeEbEEZZNS1_14partition_implILS8_4ELb0ES6_15HIP_vector_typeIjLj2EENS0_17counting_iteratorIjlEEPS9_SG_NS0_5tupleIJPjSI_NS0_16reverse_iteratorISI_EEEEENSH_IJSG_SG_SG_EEES9_SI_JZNS1_25segmented_radix_sort_implINS0_14default_configELb0EPKaPaPKlPlN2at6native12_GLOBAL__N_18offset_tEEE10hipError_tPvRmT1_PNSt15iterator_traitsIS12_E10value_typeET2_T3_PNS13_IS18_E10value_typeET4_jRbjT5_S1E_jjP12ihipStream_tbEUljE_ZNSN_ISO_Lb0ESQ_SR_ST_SU_SY_EESZ_S10_S11_S12_S16_S17_S18_S1B_S1C_jS1D_jS1E_S1E_jjS1G_bEUljE0_EEESZ_S10_S11_S18_S1C_S1E_T6_T7_T9_mT8_S1G_bDpT10_ENKUlT_T0_E_clISt17integral_constantIbLb1EES1U_EEDaS1P_S1Q_EUlS1P_E_NS1_11comp_targetILNS1_3genE9ELNS1_11target_archE1100ELNS1_3gpuE3ELNS1_3repE0EEENS1_30default_config_static_selectorELNS0_4arch9wavefront6targetE0EEEvS12_
	.p2align	8
	.type	_ZN7rocprim17ROCPRIM_400000_NS6detail17trampoline_kernelINS0_13select_configILj256ELj13ELNS0_17block_load_methodE3ELS4_3ELS4_3ELNS0_20block_scan_algorithmE0ELj4294967295EEENS1_25partition_config_selectorILNS1_17partition_subalgoE4EjNS0_10empty_typeEbEEZZNS1_14partition_implILS8_4ELb0ES6_15HIP_vector_typeIjLj2EENS0_17counting_iteratorIjlEEPS9_SG_NS0_5tupleIJPjSI_NS0_16reverse_iteratorISI_EEEEENSH_IJSG_SG_SG_EEES9_SI_JZNS1_25segmented_radix_sort_implINS0_14default_configELb0EPKaPaPKlPlN2at6native12_GLOBAL__N_18offset_tEEE10hipError_tPvRmT1_PNSt15iterator_traitsIS12_E10value_typeET2_T3_PNS13_IS18_E10value_typeET4_jRbjT5_S1E_jjP12ihipStream_tbEUljE_ZNSN_ISO_Lb0ESQ_SR_ST_SU_SY_EESZ_S10_S11_S12_S16_S17_S18_S1B_S1C_jS1D_jS1E_S1E_jjS1G_bEUljE0_EEESZ_S10_S11_S18_S1C_S1E_T6_T7_T9_mT8_S1G_bDpT10_ENKUlT_T0_E_clISt17integral_constantIbLb1EES1U_EEDaS1P_S1Q_EUlS1P_E_NS1_11comp_targetILNS1_3genE9ELNS1_11target_archE1100ELNS1_3gpuE3ELNS1_3repE0EEENS1_30default_config_static_selectorELNS0_4arch9wavefront6targetE0EEEvS12_,@function
_ZN7rocprim17ROCPRIM_400000_NS6detail17trampoline_kernelINS0_13select_configILj256ELj13ELNS0_17block_load_methodE3ELS4_3ELS4_3ELNS0_20block_scan_algorithmE0ELj4294967295EEENS1_25partition_config_selectorILNS1_17partition_subalgoE4EjNS0_10empty_typeEbEEZZNS1_14partition_implILS8_4ELb0ES6_15HIP_vector_typeIjLj2EENS0_17counting_iteratorIjlEEPS9_SG_NS0_5tupleIJPjSI_NS0_16reverse_iteratorISI_EEEEENSH_IJSG_SG_SG_EEES9_SI_JZNS1_25segmented_radix_sort_implINS0_14default_configELb0EPKaPaPKlPlN2at6native12_GLOBAL__N_18offset_tEEE10hipError_tPvRmT1_PNSt15iterator_traitsIS12_E10value_typeET2_T3_PNS13_IS18_E10value_typeET4_jRbjT5_S1E_jjP12ihipStream_tbEUljE_ZNSN_ISO_Lb0ESQ_SR_ST_SU_SY_EESZ_S10_S11_S12_S16_S17_S18_S1B_S1C_jS1D_jS1E_S1E_jjS1G_bEUljE0_EEESZ_S10_S11_S18_S1C_S1E_T6_T7_T9_mT8_S1G_bDpT10_ENKUlT_T0_E_clISt17integral_constantIbLb1EES1U_EEDaS1P_S1Q_EUlS1P_E_NS1_11comp_targetILNS1_3genE9ELNS1_11target_archE1100ELNS1_3gpuE3ELNS1_3repE0EEENS1_30default_config_static_selectorELNS0_4arch9wavefront6targetE0EEEvS12_: ; @_ZN7rocprim17ROCPRIM_400000_NS6detail17trampoline_kernelINS0_13select_configILj256ELj13ELNS0_17block_load_methodE3ELS4_3ELS4_3ELNS0_20block_scan_algorithmE0ELj4294967295EEENS1_25partition_config_selectorILNS1_17partition_subalgoE4EjNS0_10empty_typeEbEEZZNS1_14partition_implILS8_4ELb0ES6_15HIP_vector_typeIjLj2EENS0_17counting_iteratorIjlEEPS9_SG_NS0_5tupleIJPjSI_NS0_16reverse_iteratorISI_EEEEENSH_IJSG_SG_SG_EEES9_SI_JZNS1_25segmented_radix_sort_implINS0_14default_configELb0EPKaPaPKlPlN2at6native12_GLOBAL__N_18offset_tEEE10hipError_tPvRmT1_PNSt15iterator_traitsIS12_E10value_typeET2_T3_PNS13_IS18_E10value_typeET4_jRbjT5_S1E_jjP12ihipStream_tbEUljE_ZNSN_ISO_Lb0ESQ_SR_ST_SU_SY_EESZ_S10_S11_S12_S16_S17_S18_S1B_S1C_jS1D_jS1E_S1E_jjS1G_bEUljE0_EEESZ_S10_S11_S18_S1C_S1E_T6_T7_T9_mT8_S1G_bDpT10_ENKUlT_T0_E_clISt17integral_constantIbLb1EES1U_EEDaS1P_S1Q_EUlS1P_E_NS1_11comp_targetILNS1_3genE9ELNS1_11target_archE1100ELNS1_3gpuE3ELNS1_3repE0EEENS1_30default_config_static_selectorELNS0_4arch9wavefront6targetE0EEEvS12_
; %bb.0:
	.section	.rodata,"a",@progbits
	.p2align	6, 0x0
	.amdhsa_kernel _ZN7rocprim17ROCPRIM_400000_NS6detail17trampoline_kernelINS0_13select_configILj256ELj13ELNS0_17block_load_methodE3ELS4_3ELS4_3ELNS0_20block_scan_algorithmE0ELj4294967295EEENS1_25partition_config_selectorILNS1_17partition_subalgoE4EjNS0_10empty_typeEbEEZZNS1_14partition_implILS8_4ELb0ES6_15HIP_vector_typeIjLj2EENS0_17counting_iteratorIjlEEPS9_SG_NS0_5tupleIJPjSI_NS0_16reverse_iteratorISI_EEEEENSH_IJSG_SG_SG_EEES9_SI_JZNS1_25segmented_radix_sort_implINS0_14default_configELb0EPKaPaPKlPlN2at6native12_GLOBAL__N_18offset_tEEE10hipError_tPvRmT1_PNSt15iterator_traitsIS12_E10value_typeET2_T3_PNS13_IS18_E10value_typeET4_jRbjT5_S1E_jjP12ihipStream_tbEUljE_ZNSN_ISO_Lb0ESQ_SR_ST_SU_SY_EESZ_S10_S11_S12_S16_S17_S18_S1B_S1C_jS1D_jS1E_S1E_jjS1G_bEUljE0_EEESZ_S10_S11_S18_S1C_S1E_T6_T7_T9_mT8_S1G_bDpT10_ENKUlT_T0_E_clISt17integral_constantIbLb1EES1U_EEDaS1P_S1Q_EUlS1P_E_NS1_11comp_targetILNS1_3genE9ELNS1_11target_archE1100ELNS1_3gpuE3ELNS1_3repE0EEENS1_30default_config_static_selectorELNS0_4arch9wavefront6targetE0EEEvS12_
		.amdhsa_group_segment_fixed_size 0
		.amdhsa_private_segment_fixed_size 0
		.amdhsa_kernarg_size 184
		.amdhsa_user_sgpr_count 2
		.amdhsa_user_sgpr_dispatch_ptr 0
		.amdhsa_user_sgpr_queue_ptr 0
		.amdhsa_user_sgpr_kernarg_segment_ptr 1
		.amdhsa_user_sgpr_dispatch_id 0
		.amdhsa_user_sgpr_kernarg_preload_length 0
		.amdhsa_user_sgpr_kernarg_preload_offset 0
		.amdhsa_user_sgpr_private_segment_size 0
		.amdhsa_wavefront_size32 1
		.amdhsa_uses_dynamic_stack 0
		.amdhsa_enable_private_segment 0
		.amdhsa_system_sgpr_workgroup_id_x 1
		.amdhsa_system_sgpr_workgroup_id_y 0
		.amdhsa_system_sgpr_workgroup_id_z 0
		.amdhsa_system_sgpr_workgroup_info 0
		.amdhsa_system_vgpr_workitem_id 0
		.amdhsa_next_free_vgpr 1
		.amdhsa_next_free_sgpr 1
		.amdhsa_named_barrier_count 0
		.amdhsa_reserve_vcc 0
		.amdhsa_float_round_mode_32 0
		.amdhsa_float_round_mode_16_64 0
		.amdhsa_float_denorm_mode_32 3
		.amdhsa_float_denorm_mode_16_64 3
		.amdhsa_fp16_overflow 0
		.amdhsa_memory_ordered 1
		.amdhsa_forward_progress 1
		.amdhsa_inst_pref_size 0
		.amdhsa_round_robin_scheduling 0
		.amdhsa_exception_fp_ieee_invalid_op 0
		.amdhsa_exception_fp_denorm_src 0
		.amdhsa_exception_fp_ieee_div_zero 0
		.amdhsa_exception_fp_ieee_overflow 0
		.amdhsa_exception_fp_ieee_underflow 0
		.amdhsa_exception_fp_ieee_inexact 0
		.amdhsa_exception_int_div_zero 0
	.end_amdhsa_kernel
	.section	.text._ZN7rocprim17ROCPRIM_400000_NS6detail17trampoline_kernelINS0_13select_configILj256ELj13ELNS0_17block_load_methodE3ELS4_3ELS4_3ELNS0_20block_scan_algorithmE0ELj4294967295EEENS1_25partition_config_selectorILNS1_17partition_subalgoE4EjNS0_10empty_typeEbEEZZNS1_14partition_implILS8_4ELb0ES6_15HIP_vector_typeIjLj2EENS0_17counting_iteratorIjlEEPS9_SG_NS0_5tupleIJPjSI_NS0_16reverse_iteratorISI_EEEEENSH_IJSG_SG_SG_EEES9_SI_JZNS1_25segmented_radix_sort_implINS0_14default_configELb0EPKaPaPKlPlN2at6native12_GLOBAL__N_18offset_tEEE10hipError_tPvRmT1_PNSt15iterator_traitsIS12_E10value_typeET2_T3_PNS13_IS18_E10value_typeET4_jRbjT5_S1E_jjP12ihipStream_tbEUljE_ZNSN_ISO_Lb0ESQ_SR_ST_SU_SY_EESZ_S10_S11_S12_S16_S17_S18_S1B_S1C_jS1D_jS1E_S1E_jjS1G_bEUljE0_EEESZ_S10_S11_S18_S1C_S1E_T6_T7_T9_mT8_S1G_bDpT10_ENKUlT_T0_E_clISt17integral_constantIbLb1EES1U_EEDaS1P_S1Q_EUlS1P_E_NS1_11comp_targetILNS1_3genE9ELNS1_11target_archE1100ELNS1_3gpuE3ELNS1_3repE0EEENS1_30default_config_static_selectorELNS0_4arch9wavefront6targetE0EEEvS12_,"axG",@progbits,_ZN7rocprim17ROCPRIM_400000_NS6detail17trampoline_kernelINS0_13select_configILj256ELj13ELNS0_17block_load_methodE3ELS4_3ELS4_3ELNS0_20block_scan_algorithmE0ELj4294967295EEENS1_25partition_config_selectorILNS1_17partition_subalgoE4EjNS0_10empty_typeEbEEZZNS1_14partition_implILS8_4ELb0ES6_15HIP_vector_typeIjLj2EENS0_17counting_iteratorIjlEEPS9_SG_NS0_5tupleIJPjSI_NS0_16reverse_iteratorISI_EEEEENSH_IJSG_SG_SG_EEES9_SI_JZNS1_25segmented_radix_sort_implINS0_14default_configELb0EPKaPaPKlPlN2at6native12_GLOBAL__N_18offset_tEEE10hipError_tPvRmT1_PNSt15iterator_traitsIS12_E10value_typeET2_T3_PNS13_IS18_E10value_typeET4_jRbjT5_S1E_jjP12ihipStream_tbEUljE_ZNSN_ISO_Lb0ESQ_SR_ST_SU_SY_EESZ_S10_S11_S12_S16_S17_S18_S1B_S1C_jS1D_jS1E_S1E_jjS1G_bEUljE0_EEESZ_S10_S11_S18_S1C_S1E_T6_T7_T9_mT8_S1G_bDpT10_ENKUlT_T0_E_clISt17integral_constantIbLb1EES1U_EEDaS1P_S1Q_EUlS1P_E_NS1_11comp_targetILNS1_3genE9ELNS1_11target_archE1100ELNS1_3gpuE3ELNS1_3repE0EEENS1_30default_config_static_selectorELNS0_4arch9wavefront6targetE0EEEvS12_,comdat
.Lfunc_end340:
	.size	_ZN7rocprim17ROCPRIM_400000_NS6detail17trampoline_kernelINS0_13select_configILj256ELj13ELNS0_17block_load_methodE3ELS4_3ELS4_3ELNS0_20block_scan_algorithmE0ELj4294967295EEENS1_25partition_config_selectorILNS1_17partition_subalgoE4EjNS0_10empty_typeEbEEZZNS1_14partition_implILS8_4ELb0ES6_15HIP_vector_typeIjLj2EENS0_17counting_iteratorIjlEEPS9_SG_NS0_5tupleIJPjSI_NS0_16reverse_iteratorISI_EEEEENSH_IJSG_SG_SG_EEES9_SI_JZNS1_25segmented_radix_sort_implINS0_14default_configELb0EPKaPaPKlPlN2at6native12_GLOBAL__N_18offset_tEEE10hipError_tPvRmT1_PNSt15iterator_traitsIS12_E10value_typeET2_T3_PNS13_IS18_E10value_typeET4_jRbjT5_S1E_jjP12ihipStream_tbEUljE_ZNSN_ISO_Lb0ESQ_SR_ST_SU_SY_EESZ_S10_S11_S12_S16_S17_S18_S1B_S1C_jS1D_jS1E_S1E_jjS1G_bEUljE0_EEESZ_S10_S11_S18_S1C_S1E_T6_T7_T9_mT8_S1G_bDpT10_ENKUlT_T0_E_clISt17integral_constantIbLb1EES1U_EEDaS1P_S1Q_EUlS1P_E_NS1_11comp_targetILNS1_3genE9ELNS1_11target_archE1100ELNS1_3gpuE3ELNS1_3repE0EEENS1_30default_config_static_selectorELNS0_4arch9wavefront6targetE0EEEvS12_, .Lfunc_end340-_ZN7rocprim17ROCPRIM_400000_NS6detail17trampoline_kernelINS0_13select_configILj256ELj13ELNS0_17block_load_methodE3ELS4_3ELS4_3ELNS0_20block_scan_algorithmE0ELj4294967295EEENS1_25partition_config_selectorILNS1_17partition_subalgoE4EjNS0_10empty_typeEbEEZZNS1_14partition_implILS8_4ELb0ES6_15HIP_vector_typeIjLj2EENS0_17counting_iteratorIjlEEPS9_SG_NS0_5tupleIJPjSI_NS0_16reverse_iteratorISI_EEEEENSH_IJSG_SG_SG_EEES9_SI_JZNS1_25segmented_radix_sort_implINS0_14default_configELb0EPKaPaPKlPlN2at6native12_GLOBAL__N_18offset_tEEE10hipError_tPvRmT1_PNSt15iterator_traitsIS12_E10value_typeET2_T3_PNS13_IS18_E10value_typeET4_jRbjT5_S1E_jjP12ihipStream_tbEUljE_ZNSN_ISO_Lb0ESQ_SR_ST_SU_SY_EESZ_S10_S11_S12_S16_S17_S18_S1B_S1C_jS1D_jS1E_S1E_jjS1G_bEUljE0_EEESZ_S10_S11_S18_S1C_S1E_T6_T7_T9_mT8_S1G_bDpT10_ENKUlT_T0_E_clISt17integral_constantIbLb1EES1U_EEDaS1P_S1Q_EUlS1P_E_NS1_11comp_targetILNS1_3genE9ELNS1_11target_archE1100ELNS1_3gpuE3ELNS1_3repE0EEENS1_30default_config_static_selectorELNS0_4arch9wavefront6targetE0EEEvS12_
                                        ; -- End function
	.set _ZN7rocprim17ROCPRIM_400000_NS6detail17trampoline_kernelINS0_13select_configILj256ELj13ELNS0_17block_load_methodE3ELS4_3ELS4_3ELNS0_20block_scan_algorithmE0ELj4294967295EEENS1_25partition_config_selectorILNS1_17partition_subalgoE4EjNS0_10empty_typeEbEEZZNS1_14partition_implILS8_4ELb0ES6_15HIP_vector_typeIjLj2EENS0_17counting_iteratorIjlEEPS9_SG_NS0_5tupleIJPjSI_NS0_16reverse_iteratorISI_EEEEENSH_IJSG_SG_SG_EEES9_SI_JZNS1_25segmented_radix_sort_implINS0_14default_configELb0EPKaPaPKlPlN2at6native12_GLOBAL__N_18offset_tEEE10hipError_tPvRmT1_PNSt15iterator_traitsIS12_E10value_typeET2_T3_PNS13_IS18_E10value_typeET4_jRbjT5_S1E_jjP12ihipStream_tbEUljE_ZNSN_ISO_Lb0ESQ_SR_ST_SU_SY_EESZ_S10_S11_S12_S16_S17_S18_S1B_S1C_jS1D_jS1E_S1E_jjS1G_bEUljE0_EEESZ_S10_S11_S18_S1C_S1E_T6_T7_T9_mT8_S1G_bDpT10_ENKUlT_T0_E_clISt17integral_constantIbLb1EES1U_EEDaS1P_S1Q_EUlS1P_E_NS1_11comp_targetILNS1_3genE9ELNS1_11target_archE1100ELNS1_3gpuE3ELNS1_3repE0EEENS1_30default_config_static_selectorELNS0_4arch9wavefront6targetE0EEEvS12_.num_vgpr, 0
	.set _ZN7rocprim17ROCPRIM_400000_NS6detail17trampoline_kernelINS0_13select_configILj256ELj13ELNS0_17block_load_methodE3ELS4_3ELS4_3ELNS0_20block_scan_algorithmE0ELj4294967295EEENS1_25partition_config_selectorILNS1_17partition_subalgoE4EjNS0_10empty_typeEbEEZZNS1_14partition_implILS8_4ELb0ES6_15HIP_vector_typeIjLj2EENS0_17counting_iteratorIjlEEPS9_SG_NS0_5tupleIJPjSI_NS0_16reverse_iteratorISI_EEEEENSH_IJSG_SG_SG_EEES9_SI_JZNS1_25segmented_radix_sort_implINS0_14default_configELb0EPKaPaPKlPlN2at6native12_GLOBAL__N_18offset_tEEE10hipError_tPvRmT1_PNSt15iterator_traitsIS12_E10value_typeET2_T3_PNS13_IS18_E10value_typeET4_jRbjT5_S1E_jjP12ihipStream_tbEUljE_ZNSN_ISO_Lb0ESQ_SR_ST_SU_SY_EESZ_S10_S11_S12_S16_S17_S18_S1B_S1C_jS1D_jS1E_S1E_jjS1G_bEUljE0_EEESZ_S10_S11_S18_S1C_S1E_T6_T7_T9_mT8_S1G_bDpT10_ENKUlT_T0_E_clISt17integral_constantIbLb1EES1U_EEDaS1P_S1Q_EUlS1P_E_NS1_11comp_targetILNS1_3genE9ELNS1_11target_archE1100ELNS1_3gpuE3ELNS1_3repE0EEENS1_30default_config_static_selectorELNS0_4arch9wavefront6targetE0EEEvS12_.num_agpr, 0
	.set _ZN7rocprim17ROCPRIM_400000_NS6detail17trampoline_kernelINS0_13select_configILj256ELj13ELNS0_17block_load_methodE3ELS4_3ELS4_3ELNS0_20block_scan_algorithmE0ELj4294967295EEENS1_25partition_config_selectorILNS1_17partition_subalgoE4EjNS0_10empty_typeEbEEZZNS1_14partition_implILS8_4ELb0ES6_15HIP_vector_typeIjLj2EENS0_17counting_iteratorIjlEEPS9_SG_NS0_5tupleIJPjSI_NS0_16reverse_iteratorISI_EEEEENSH_IJSG_SG_SG_EEES9_SI_JZNS1_25segmented_radix_sort_implINS0_14default_configELb0EPKaPaPKlPlN2at6native12_GLOBAL__N_18offset_tEEE10hipError_tPvRmT1_PNSt15iterator_traitsIS12_E10value_typeET2_T3_PNS13_IS18_E10value_typeET4_jRbjT5_S1E_jjP12ihipStream_tbEUljE_ZNSN_ISO_Lb0ESQ_SR_ST_SU_SY_EESZ_S10_S11_S12_S16_S17_S18_S1B_S1C_jS1D_jS1E_S1E_jjS1G_bEUljE0_EEESZ_S10_S11_S18_S1C_S1E_T6_T7_T9_mT8_S1G_bDpT10_ENKUlT_T0_E_clISt17integral_constantIbLb1EES1U_EEDaS1P_S1Q_EUlS1P_E_NS1_11comp_targetILNS1_3genE9ELNS1_11target_archE1100ELNS1_3gpuE3ELNS1_3repE0EEENS1_30default_config_static_selectorELNS0_4arch9wavefront6targetE0EEEvS12_.numbered_sgpr, 0
	.set _ZN7rocprim17ROCPRIM_400000_NS6detail17trampoline_kernelINS0_13select_configILj256ELj13ELNS0_17block_load_methodE3ELS4_3ELS4_3ELNS0_20block_scan_algorithmE0ELj4294967295EEENS1_25partition_config_selectorILNS1_17partition_subalgoE4EjNS0_10empty_typeEbEEZZNS1_14partition_implILS8_4ELb0ES6_15HIP_vector_typeIjLj2EENS0_17counting_iteratorIjlEEPS9_SG_NS0_5tupleIJPjSI_NS0_16reverse_iteratorISI_EEEEENSH_IJSG_SG_SG_EEES9_SI_JZNS1_25segmented_radix_sort_implINS0_14default_configELb0EPKaPaPKlPlN2at6native12_GLOBAL__N_18offset_tEEE10hipError_tPvRmT1_PNSt15iterator_traitsIS12_E10value_typeET2_T3_PNS13_IS18_E10value_typeET4_jRbjT5_S1E_jjP12ihipStream_tbEUljE_ZNSN_ISO_Lb0ESQ_SR_ST_SU_SY_EESZ_S10_S11_S12_S16_S17_S18_S1B_S1C_jS1D_jS1E_S1E_jjS1G_bEUljE0_EEESZ_S10_S11_S18_S1C_S1E_T6_T7_T9_mT8_S1G_bDpT10_ENKUlT_T0_E_clISt17integral_constantIbLb1EES1U_EEDaS1P_S1Q_EUlS1P_E_NS1_11comp_targetILNS1_3genE9ELNS1_11target_archE1100ELNS1_3gpuE3ELNS1_3repE0EEENS1_30default_config_static_selectorELNS0_4arch9wavefront6targetE0EEEvS12_.num_named_barrier, 0
	.set _ZN7rocprim17ROCPRIM_400000_NS6detail17trampoline_kernelINS0_13select_configILj256ELj13ELNS0_17block_load_methodE3ELS4_3ELS4_3ELNS0_20block_scan_algorithmE0ELj4294967295EEENS1_25partition_config_selectorILNS1_17partition_subalgoE4EjNS0_10empty_typeEbEEZZNS1_14partition_implILS8_4ELb0ES6_15HIP_vector_typeIjLj2EENS0_17counting_iteratorIjlEEPS9_SG_NS0_5tupleIJPjSI_NS0_16reverse_iteratorISI_EEEEENSH_IJSG_SG_SG_EEES9_SI_JZNS1_25segmented_radix_sort_implINS0_14default_configELb0EPKaPaPKlPlN2at6native12_GLOBAL__N_18offset_tEEE10hipError_tPvRmT1_PNSt15iterator_traitsIS12_E10value_typeET2_T3_PNS13_IS18_E10value_typeET4_jRbjT5_S1E_jjP12ihipStream_tbEUljE_ZNSN_ISO_Lb0ESQ_SR_ST_SU_SY_EESZ_S10_S11_S12_S16_S17_S18_S1B_S1C_jS1D_jS1E_S1E_jjS1G_bEUljE0_EEESZ_S10_S11_S18_S1C_S1E_T6_T7_T9_mT8_S1G_bDpT10_ENKUlT_T0_E_clISt17integral_constantIbLb1EES1U_EEDaS1P_S1Q_EUlS1P_E_NS1_11comp_targetILNS1_3genE9ELNS1_11target_archE1100ELNS1_3gpuE3ELNS1_3repE0EEENS1_30default_config_static_selectorELNS0_4arch9wavefront6targetE0EEEvS12_.private_seg_size, 0
	.set _ZN7rocprim17ROCPRIM_400000_NS6detail17trampoline_kernelINS0_13select_configILj256ELj13ELNS0_17block_load_methodE3ELS4_3ELS4_3ELNS0_20block_scan_algorithmE0ELj4294967295EEENS1_25partition_config_selectorILNS1_17partition_subalgoE4EjNS0_10empty_typeEbEEZZNS1_14partition_implILS8_4ELb0ES6_15HIP_vector_typeIjLj2EENS0_17counting_iteratorIjlEEPS9_SG_NS0_5tupleIJPjSI_NS0_16reverse_iteratorISI_EEEEENSH_IJSG_SG_SG_EEES9_SI_JZNS1_25segmented_radix_sort_implINS0_14default_configELb0EPKaPaPKlPlN2at6native12_GLOBAL__N_18offset_tEEE10hipError_tPvRmT1_PNSt15iterator_traitsIS12_E10value_typeET2_T3_PNS13_IS18_E10value_typeET4_jRbjT5_S1E_jjP12ihipStream_tbEUljE_ZNSN_ISO_Lb0ESQ_SR_ST_SU_SY_EESZ_S10_S11_S12_S16_S17_S18_S1B_S1C_jS1D_jS1E_S1E_jjS1G_bEUljE0_EEESZ_S10_S11_S18_S1C_S1E_T6_T7_T9_mT8_S1G_bDpT10_ENKUlT_T0_E_clISt17integral_constantIbLb1EES1U_EEDaS1P_S1Q_EUlS1P_E_NS1_11comp_targetILNS1_3genE9ELNS1_11target_archE1100ELNS1_3gpuE3ELNS1_3repE0EEENS1_30default_config_static_selectorELNS0_4arch9wavefront6targetE0EEEvS12_.uses_vcc, 0
	.set _ZN7rocprim17ROCPRIM_400000_NS6detail17trampoline_kernelINS0_13select_configILj256ELj13ELNS0_17block_load_methodE3ELS4_3ELS4_3ELNS0_20block_scan_algorithmE0ELj4294967295EEENS1_25partition_config_selectorILNS1_17partition_subalgoE4EjNS0_10empty_typeEbEEZZNS1_14partition_implILS8_4ELb0ES6_15HIP_vector_typeIjLj2EENS0_17counting_iteratorIjlEEPS9_SG_NS0_5tupleIJPjSI_NS0_16reverse_iteratorISI_EEEEENSH_IJSG_SG_SG_EEES9_SI_JZNS1_25segmented_radix_sort_implINS0_14default_configELb0EPKaPaPKlPlN2at6native12_GLOBAL__N_18offset_tEEE10hipError_tPvRmT1_PNSt15iterator_traitsIS12_E10value_typeET2_T3_PNS13_IS18_E10value_typeET4_jRbjT5_S1E_jjP12ihipStream_tbEUljE_ZNSN_ISO_Lb0ESQ_SR_ST_SU_SY_EESZ_S10_S11_S12_S16_S17_S18_S1B_S1C_jS1D_jS1E_S1E_jjS1G_bEUljE0_EEESZ_S10_S11_S18_S1C_S1E_T6_T7_T9_mT8_S1G_bDpT10_ENKUlT_T0_E_clISt17integral_constantIbLb1EES1U_EEDaS1P_S1Q_EUlS1P_E_NS1_11comp_targetILNS1_3genE9ELNS1_11target_archE1100ELNS1_3gpuE3ELNS1_3repE0EEENS1_30default_config_static_selectorELNS0_4arch9wavefront6targetE0EEEvS12_.uses_flat_scratch, 0
	.set _ZN7rocprim17ROCPRIM_400000_NS6detail17trampoline_kernelINS0_13select_configILj256ELj13ELNS0_17block_load_methodE3ELS4_3ELS4_3ELNS0_20block_scan_algorithmE0ELj4294967295EEENS1_25partition_config_selectorILNS1_17partition_subalgoE4EjNS0_10empty_typeEbEEZZNS1_14partition_implILS8_4ELb0ES6_15HIP_vector_typeIjLj2EENS0_17counting_iteratorIjlEEPS9_SG_NS0_5tupleIJPjSI_NS0_16reverse_iteratorISI_EEEEENSH_IJSG_SG_SG_EEES9_SI_JZNS1_25segmented_radix_sort_implINS0_14default_configELb0EPKaPaPKlPlN2at6native12_GLOBAL__N_18offset_tEEE10hipError_tPvRmT1_PNSt15iterator_traitsIS12_E10value_typeET2_T3_PNS13_IS18_E10value_typeET4_jRbjT5_S1E_jjP12ihipStream_tbEUljE_ZNSN_ISO_Lb0ESQ_SR_ST_SU_SY_EESZ_S10_S11_S12_S16_S17_S18_S1B_S1C_jS1D_jS1E_S1E_jjS1G_bEUljE0_EEESZ_S10_S11_S18_S1C_S1E_T6_T7_T9_mT8_S1G_bDpT10_ENKUlT_T0_E_clISt17integral_constantIbLb1EES1U_EEDaS1P_S1Q_EUlS1P_E_NS1_11comp_targetILNS1_3genE9ELNS1_11target_archE1100ELNS1_3gpuE3ELNS1_3repE0EEENS1_30default_config_static_selectorELNS0_4arch9wavefront6targetE0EEEvS12_.has_dyn_sized_stack, 0
	.set _ZN7rocprim17ROCPRIM_400000_NS6detail17trampoline_kernelINS0_13select_configILj256ELj13ELNS0_17block_load_methodE3ELS4_3ELS4_3ELNS0_20block_scan_algorithmE0ELj4294967295EEENS1_25partition_config_selectorILNS1_17partition_subalgoE4EjNS0_10empty_typeEbEEZZNS1_14partition_implILS8_4ELb0ES6_15HIP_vector_typeIjLj2EENS0_17counting_iteratorIjlEEPS9_SG_NS0_5tupleIJPjSI_NS0_16reverse_iteratorISI_EEEEENSH_IJSG_SG_SG_EEES9_SI_JZNS1_25segmented_radix_sort_implINS0_14default_configELb0EPKaPaPKlPlN2at6native12_GLOBAL__N_18offset_tEEE10hipError_tPvRmT1_PNSt15iterator_traitsIS12_E10value_typeET2_T3_PNS13_IS18_E10value_typeET4_jRbjT5_S1E_jjP12ihipStream_tbEUljE_ZNSN_ISO_Lb0ESQ_SR_ST_SU_SY_EESZ_S10_S11_S12_S16_S17_S18_S1B_S1C_jS1D_jS1E_S1E_jjS1G_bEUljE0_EEESZ_S10_S11_S18_S1C_S1E_T6_T7_T9_mT8_S1G_bDpT10_ENKUlT_T0_E_clISt17integral_constantIbLb1EES1U_EEDaS1P_S1Q_EUlS1P_E_NS1_11comp_targetILNS1_3genE9ELNS1_11target_archE1100ELNS1_3gpuE3ELNS1_3repE0EEENS1_30default_config_static_selectorELNS0_4arch9wavefront6targetE0EEEvS12_.has_recursion, 0
	.set _ZN7rocprim17ROCPRIM_400000_NS6detail17trampoline_kernelINS0_13select_configILj256ELj13ELNS0_17block_load_methodE3ELS4_3ELS4_3ELNS0_20block_scan_algorithmE0ELj4294967295EEENS1_25partition_config_selectorILNS1_17partition_subalgoE4EjNS0_10empty_typeEbEEZZNS1_14partition_implILS8_4ELb0ES6_15HIP_vector_typeIjLj2EENS0_17counting_iteratorIjlEEPS9_SG_NS0_5tupleIJPjSI_NS0_16reverse_iteratorISI_EEEEENSH_IJSG_SG_SG_EEES9_SI_JZNS1_25segmented_radix_sort_implINS0_14default_configELb0EPKaPaPKlPlN2at6native12_GLOBAL__N_18offset_tEEE10hipError_tPvRmT1_PNSt15iterator_traitsIS12_E10value_typeET2_T3_PNS13_IS18_E10value_typeET4_jRbjT5_S1E_jjP12ihipStream_tbEUljE_ZNSN_ISO_Lb0ESQ_SR_ST_SU_SY_EESZ_S10_S11_S12_S16_S17_S18_S1B_S1C_jS1D_jS1E_S1E_jjS1G_bEUljE0_EEESZ_S10_S11_S18_S1C_S1E_T6_T7_T9_mT8_S1G_bDpT10_ENKUlT_T0_E_clISt17integral_constantIbLb1EES1U_EEDaS1P_S1Q_EUlS1P_E_NS1_11comp_targetILNS1_3genE9ELNS1_11target_archE1100ELNS1_3gpuE3ELNS1_3repE0EEENS1_30default_config_static_selectorELNS0_4arch9wavefront6targetE0EEEvS12_.has_indirect_call, 0
	.section	.AMDGPU.csdata,"",@progbits
; Kernel info:
; codeLenInByte = 0
; TotalNumSgprs: 0
; NumVgprs: 0
; ScratchSize: 0
; MemoryBound: 0
; FloatMode: 240
; IeeeMode: 1
; LDSByteSize: 0 bytes/workgroup (compile time only)
; SGPRBlocks: 0
; VGPRBlocks: 0
; NumSGPRsForWavesPerEU: 1
; NumVGPRsForWavesPerEU: 1
; NamedBarCnt: 0
; Occupancy: 16
; WaveLimiterHint : 0
; COMPUTE_PGM_RSRC2:SCRATCH_EN: 0
; COMPUTE_PGM_RSRC2:USER_SGPR: 2
; COMPUTE_PGM_RSRC2:TRAP_HANDLER: 0
; COMPUTE_PGM_RSRC2:TGID_X_EN: 1
; COMPUTE_PGM_RSRC2:TGID_Y_EN: 0
; COMPUTE_PGM_RSRC2:TGID_Z_EN: 0
; COMPUTE_PGM_RSRC2:TIDIG_COMP_CNT: 0
	.section	.text._ZN7rocprim17ROCPRIM_400000_NS6detail17trampoline_kernelINS0_13select_configILj256ELj13ELNS0_17block_load_methodE3ELS4_3ELS4_3ELNS0_20block_scan_algorithmE0ELj4294967295EEENS1_25partition_config_selectorILNS1_17partition_subalgoE4EjNS0_10empty_typeEbEEZZNS1_14partition_implILS8_4ELb0ES6_15HIP_vector_typeIjLj2EENS0_17counting_iteratorIjlEEPS9_SG_NS0_5tupleIJPjSI_NS0_16reverse_iteratorISI_EEEEENSH_IJSG_SG_SG_EEES9_SI_JZNS1_25segmented_radix_sort_implINS0_14default_configELb0EPKaPaPKlPlN2at6native12_GLOBAL__N_18offset_tEEE10hipError_tPvRmT1_PNSt15iterator_traitsIS12_E10value_typeET2_T3_PNS13_IS18_E10value_typeET4_jRbjT5_S1E_jjP12ihipStream_tbEUljE_ZNSN_ISO_Lb0ESQ_SR_ST_SU_SY_EESZ_S10_S11_S12_S16_S17_S18_S1B_S1C_jS1D_jS1E_S1E_jjS1G_bEUljE0_EEESZ_S10_S11_S18_S1C_S1E_T6_T7_T9_mT8_S1G_bDpT10_ENKUlT_T0_E_clISt17integral_constantIbLb1EES1U_EEDaS1P_S1Q_EUlS1P_E_NS1_11comp_targetILNS1_3genE8ELNS1_11target_archE1030ELNS1_3gpuE2ELNS1_3repE0EEENS1_30default_config_static_selectorELNS0_4arch9wavefront6targetE0EEEvS12_,"axG",@progbits,_ZN7rocprim17ROCPRIM_400000_NS6detail17trampoline_kernelINS0_13select_configILj256ELj13ELNS0_17block_load_methodE3ELS4_3ELS4_3ELNS0_20block_scan_algorithmE0ELj4294967295EEENS1_25partition_config_selectorILNS1_17partition_subalgoE4EjNS0_10empty_typeEbEEZZNS1_14partition_implILS8_4ELb0ES6_15HIP_vector_typeIjLj2EENS0_17counting_iteratorIjlEEPS9_SG_NS0_5tupleIJPjSI_NS0_16reverse_iteratorISI_EEEEENSH_IJSG_SG_SG_EEES9_SI_JZNS1_25segmented_radix_sort_implINS0_14default_configELb0EPKaPaPKlPlN2at6native12_GLOBAL__N_18offset_tEEE10hipError_tPvRmT1_PNSt15iterator_traitsIS12_E10value_typeET2_T3_PNS13_IS18_E10value_typeET4_jRbjT5_S1E_jjP12ihipStream_tbEUljE_ZNSN_ISO_Lb0ESQ_SR_ST_SU_SY_EESZ_S10_S11_S12_S16_S17_S18_S1B_S1C_jS1D_jS1E_S1E_jjS1G_bEUljE0_EEESZ_S10_S11_S18_S1C_S1E_T6_T7_T9_mT8_S1G_bDpT10_ENKUlT_T0_E_clISt17integral_constantIbLb1EES1U_EEDaS1P_S1Q_EUlS1P_E_NS1_11comp_targetILNS1_3genE8ELNS1_11target_archE1030ELNS1_3gpuE2ELNS1_3repE0EEENS1_30default_config_static_selectorELNS0_4arch9wavefront6targetE0EEEvS12_,comdat
	.globl	_ZN7rocprim17ROCPRIM_400000_NS6detail17trampoline_kernelINS0_13select_configILj256ELj13ELNS0_17block_load_methodE3ELS4_3ELS4_3ELNS0_20block_scan_algorithmE0ELj4294967295EEENS1_25partition_config_selectorILNS1_17partition_subalgoE4EjNS0_10empty_typeEbEEZZNS1_14partition_implILS8_4ELb0ES6_15HIP_vector_typeIjLj2EENS0_17counting_iteratorIjlEEPS9_SG_NS0_5tupleIJPjSI_NS0_16reverse_iteratorISI_EEEEENSH_IJSG_SG_SG_EEES9_SI_JZNS1_25segmented_radix_sort_implINS0_14default_configELb0EPKaPaPKlPlN2at6native12_GLOBAL__N_18offset_tEEE10hipError_tPvRmT1_PNSt15iterator_traitsIS12_E10value_typeET2_T3_PNS13_IS18_E10value_typeET4_jRbjT5_S1E_jjP12ihipStream_tbEUljE_ZNSN_ISO_Lb0ESQ_SR_ST_SU_SY_EESZ_S10_S11_S12_S16_S17_S18_S1B_S1C_jS1D_jS1E_S1E_jjS1G_bEUljE0_EEESZ_S10_S11_S18_S1C_S1E_T6_T7_T9_mT8_S1G_bDpT10_ENKUlT_T0_E_clISt17integral_constantIbLb1EES1U_EEDaS1P_S1Q_EUlS1P_E_NS1_11comp_targetILNS1_3genE8ELNS1_11target_archE1030ELNS1_3gpuE2ELNS1_3repE0EEENS1_30default_config_static_selectorELNS0_4arch9wavefront6targetE0EEEvS12_ ; -- Begin function _ZN7rocprim17ROCPRIM_400000_NS6detail17trampoline_kernelINS0_13select_configILj256ELj13ELNS0_17block_load_methodE3ELS4_3ELS4_3ELNS0_20block_scan_algorithmE0ELj4294967295EEENS1_25partition_config_selectorILNS1_17partition_subalgoE4EjNS0_10empty_typeEbEEZZNS1_14partition_implILS8_4ELb0ES6_15HIP_vector_typeIjLj2EENS0_17counting_iteratorIjlEEPS9_SG_NS0_5tupleIJPjSI_NS0_16reverse_iteratorISI_EEEEENSH_IJSG_SG_SG_EEES9_SI_JZNS1_25segmented_radix_sort_implINS0_14default_configELb0EPKaPaPKlPlN2at6native12_GLOBAL__N_18offset_tEEE10hipError_tPvRmT1_PNSt15iterator_traitsIS12_E10value_typeET2_T3_PNS13_IS18_E10value_typeET4_jRbjT5_S1E_jjP12ihipStream_tbEUljE_ZNSN_ISO_Lb0ESQ_SR_ST_SU_SY_EESZ_S10_S11_S12_S16_S17_S18_S1B_S1C_jS1D_jS1E_S1E_jjS1G_bEUljE0_EEESZ_S10_S11_S18_S1C_S1E_T6_T7_T9_mT8_S1G_bDpT10_ENKUlT_T0_E_clISt17integral_constantIbLb1EES1U_EEDaS1P_S1Q_EUlS1P_E_NS1_11comp_targetILNS1_3genE8ELNS1_11target_archE1030ELNS1_3gpuE2ELNS1_3repE0EEENS1_30default_config_static_selectorELNS0_4arch9wavefront6targetE0EEEvS12_
	.p2align	8
	.type	_ZN7rocprim17ROCPRIM_400000_NS6detail17trampoline_kernelINS0_13select_configILj256ELj13ELNS0_17block_load_methodE3ELS4_3ELS4_3ELNS0_20block_scan_algorithmE0ELj4294967295EEENS1_25partition_config_selectorILNS1_17partition_subalgoE4EjNS0_10empty_typeEbEEZZNS1_14partition_implILS8_4ELb0ES6_15HIP_vector_typeIjLj2EENS0_17counting_iteratorIjlEEPS9_SG_NS0_5tupleIJPjSI_NS0_16reverse_iteratorISI_EEEEENSH_IJSG_SG_SG_EEES9_SI_JZNS1_25segmented_radix_sort_implINS0_14default_configELb0EPKaPaPKlPlN2at6native12_GLOBAL__N_18offset_tEEE10hipError_tPvRmT1_PNSt15iterator_traitsIS12_E10value_typeET2_T3_PNS13_IS18_E10value_typeET4_jRbjT5_S1E_jjP12ihipStream_tbEUljE_ZNSN_ISO_Lb0ESQ_SR_ST_SU_SY_EESZ_S10_S11_S12_S16_S17_S18_S1B_S1C_jS1D_jS1E_S1E_jjS1G_bEUljE0_EEESZ_S10_S11_S18_S1C_S1E_T6_T7_T9_mT8_S1G_bDpT10_ENKUlT_T0_E_clISt17integral_constantIbLb1EES1U_EEDaS1P_S1Q_EUlS1P_E_NS1_11comp_targetILNS1_3genE8ELNS1_11target_archE1030ELNS1_3gpuE2ELNS1_3repE0EEENS1_30default_config_static_selectorELNS0_4arch9wavefront6targetE0EEEvS12_,@function
_ZN7rocprim17ROCPRIM_400000_NS6detail17trampoline_kernelINS0_13select_configILj256ELj13ELNS0_17block_load_methodE3ELS4_3ELS4_3ELNS0_20block_scan_algorithmE0ELj4294967295EEENS1_25partition_config_selectorILNS1_17partition_subalgoE4EjNS0_10empty_typeEbEEZZNS1_14partition_implILS8_4ELb0ES6_15HIP_vector_typeIjLj2EENS0_17counting_iteratorIjlEEPS9_SG_NS0_5tupleIJPjSI_NS0_16reverse_iteratorISI_EEEEENSH_IJSG_SG_SG_EEES9_SI_JZNS1_25segmented_radix_sort_implINS0_14default_configELb0EPKaPaPKlPlN2at6native12_GLOBAL__N_18offset_tEEE10hipError_tPvRmT1_PNSt15iterator_traitsIS12_E10value_typeET2_T3_PNS13_IS18_E10value_typeET4_jRbjT5_S1E_jjP12ihipStream_tbEUljE_ZNSN_ISO_Lb0ESQ_SR_ST_SU_SY_EESZ_S10_S11_S12_S16_S17_S18_S1B_S1C_jS1D_jS1E_S1E_jjS1G_bEUljE0_EEESZ_S10_S11_S18_S1C_S1E_T6_T7_T9_mT8_S1G_bDpT10_ENKUlT_T0_E_clISt17integral_constantIbLb1EES1U_EEDaS1P_S1Q_EUlS1P_E_NS1_11comp_targetILNS1_3genE8ELNS1_11target_archE1030ELNS1_3gpuE2ELNS1_3repE0EEENS1_30default_config_static_selectorELNS0_4arch9wavefront6targetE0EEEvS12_: ; @_ZN7rocprim17ROCPRIM_400000_NS6detail17trampoline_kernelINS0_13select_configILj256ELj13ELNS0_17block_load_methodE3ELS4_3ELS4_3ELNS0_20block_scan_algorithmE0ELj4294967295EEENS1_25partition_config_selectorILNS1_17partition_subalgoE4EjNS0_10empty_typeEbEEZZNS1_14partition_implILS8_4ELb0ES6_15HIP_vector_typeIjLj2EENS0_17counting_iteratorIjlEEPS9_SG_NS0_5tupleIJPjSI_NS0_16reverse_iteratorISI_EEEEENSH_IJSG_SG_SG_EEES9_SI_JZNS1_25segmented_radix_sort_implINS0_14default_configELb0EPKaPaPKlPlN2at6native12_GLOBAL__N_18offset_tEEE10hipError_tPvRmT1_PNSt15iterator_traitsIS12_E10value_typeET2_T3_PNS13_IS18_E10value_typeET4_jRbjT5_S1E_jjP12ihipStream_tbEUljE_ZNSN_ISO_Lb0ESQ_SR_ST_SU_SY_EESZ_S10_S11_S12_S16_S17_S18_S1B_S1C_jS1D_jS1E_S1E_jjS1G_bEUljE0_EEESZ_S10_S11_S18_S1C_S1E_T6_T7_T9_mT8_S1G_bDpT10_ENKUlT_T0_E_clISt17integral_constantIbLb1EES1U_EEDaS1P_S1Q_EUlS1P_E_NS1_11comp_targetILNS1_3genE8ELNS1_11target_archE1030ELNS1_3gpuE2ELNS1_3repE0EEENS1_30default_config_static_selectorELNS0_4arch9wavefront6targetE0EEEvS12_
; %bb.0:
	.section	.rodata,"a",@progbits
	.p2align	6, 0x0
	.amdhsa_kernel _ZN7rocprim17ROCPRIM_400000_NS6detail17trampoline_kernelINS0_13select_configILj256ELj13ELNS0_17block_load_methodE3ELS4_3ELS4_3ELNS0_20block_scan_algorithmE0ELj4294967295EEENS1_25partition_config_selectorILNS1_17partition_subalgoE4EjNS0_10empty_typeEbEEZZNS1_14partition_implILS8_4ELb0ES6_15HIP_vector_typeIjLj2EENS0_17counting_iteratorIjlEEPS9_SG_NS0_5tupleIJPjSI_NS0_16reverse_iteratorISI_EEEEENSH_IJSG_SG_SG_EEES9_SI_JZNS1_25segmented_radix_sort_implINS0_14default_configELb0EPKaPaPKlPlN2at6native12_GLOBAL__N_18offset_tEEE10hipError_tPvRmT1_PNSt15iterator_traitsIS12_E10value_typeET2_T3_PNS13_IS18_E10value_typeET4_jRbjT5_S1E_jjP12ihipStream_tbEUljE_ZNSN_ISO_Lb0ESQ_SR_ST_SU_SY_EESZ_S10_S11_S12_S16_S17_S18_S1B_S1C_jS1D_jS1E_S1E_jjS1G_bEUljE0_EEESZ_S10_S11_S18_S1C_S1E_T6_T7_T9_mT8_S1G_bDpT10_ENKUlT_T0_E_clISt17integral_constantIbLb1EES1U_EEDaS1P_S1Q_EUlS1P_E_NS1_11comp_targetILNS1_3genE8ELNS1_11target_archE1030ELNS1_3gpuE2ELNS1_3repE0EEENS1_30default_config_static_selectorELNS0_4arch9wavefront6targetE0EEEvS12_
		.amdhsa_group_segment_fixed_size 0
		.amdhsa_private_segment_fixed_size 0
		.amdhsa_kernarg_size 184
		.amdhsa_user_sgpr_count 2
		.amdhsa_user_sgpr_dispatch_ptr 0
		.amdhsa_user_sgpr_queue_ptr 0
		.amdhsa_user_sgpr_kernarg_segment_ptr 1
		.amdhsa_user_sgpr_dispatch_id 0
		.amdhsa_user_sgpr_kernarg_preload_length 0
		.amdhsa_user_sgpr_kernarg_preload_offset 0
		.amdhsa_user_sgpr_private_segment_size 0
		.amdhsa_wavefront_size32 1
		.amdhsa_uses_dynamic_stack 0
		.amdhsa_enable_private_segment 0
		.amdhsa_system_sgpr_workgroup_id_x 1
		.amdhsa_system_sgpr_workgroup_id_y 0
		.amdhsa_system_sgpr_workgroup_id_z 0
		.amdhsa_system_sgpr_workgroup_info 0
		.amdhsa_system_vgpr_workitem_id 0
		.amdhsa_next_free_vgpr 1
		.amdhsa_next_free_sgpr 1
		.amdhsa_named_barrier_count 0
		.amdhsa_reserve_vcc 0
		.amdhsa_float_round_mode_32 0
		.amdhsa_float_round_mode_16_64 0
		.amdhsa_float_denorm_mode_32 3
		.amdhsa_float_denorm_mode_16_64 3
		.amdhsa_fp16_overflow 0
		.amdhsa_memory_ordered 1
		.amdhsa_forward_progress 1
		.amdhsa_inst_pref_size 0
		.amdhsa_round_robin_scheduling 0
		.amdhsa_exception_fp_ieee_invalid_op 0
		.amdhsa_exception_fp_denorm_src 0
		.amdhsa_exception_fp_ieee_div_zero 0
		.amdhsa_exception_fp_ieee_overflow 0
		.amdhsa_exception_fp_ieee_underflow 0
		.amdhsa_exception_fp_ieee_inexact 0
		.amdhsa_exception_int_div_zero 0
	.end_amdhsa_kernel
	.section	.text._ZN7rocprim17ROCPRIM_400000_NS6detail17trampoline_kernelINS0_13select_configILj256ELj13ELNS0_17block_load_methodE3ELS4_3ELS4_3ELNS0_20block_scan_algorithmE0ELj4294967295EEENS1_25partition_config_selectorILNS1_17partition_subalgoE4EjNS0_10empty_typeEbEEZZNS1_14partition_implILS8_4ELb0ES6_15HIP_vector_typeIjLj2EENS0_17counting_iteratorIjlEEPS9_SG_NS0_5tupleIJPjSI_NS0_16reverse_iteratorISI_EEEEENSH_IJSG_SG_SG_EEES9_SI_JZNS1_25segmented_radix_sort_implINS0_14default_configELb0EPKaPaPKlPlN2at6native12_GLOBAL__N_18offset_tEEE10hipError_tPvRmT1_PNSt15iterator_traitsIS12_E10value_typeET2_T3_PNS13_IS18_E10value_typeET4_jRbjT5_S1E_jjP12ihipStream_tbEUljE_ZNSN_ISO_Lb0ESQ_SR_ST_SU_SY_EESZ_S10_S11_S12_S16_S17_S18_S1B_S1C_jS1D_jS1E_S1E_jjS1G_bEUljE0_EEESZ_S10_S11_S18_S1C_S1E_T6_T7_T9_mT8_S1G_bDpT10_ENKUlT_T0_E_clISt17integral_constantIbLb1EES1U_EEDaS1P_S1Q_EUlS1P_E_NS1_11comp_targetILNS1_3genE8ELNS1_11target_archE1030ELNS1_3gpuE2ELNS1_3repE0EEENS1_30default_config_static_selectorELNS0_4arch9wavefront6targetE0EEEvS12_,"axG",@progbits,_ZN7rocprim17ROCPRIM_400000_NS6detail17trampoline_kernelINS0_13select_configILj256ELj13ELNS0_17block_load_methodE3ELS4_3ELS4_3ELNS0_20block_scan_algorithmE0ELj4294967295EEENS1_25partition_config_selectorILNS1_17partition_subalgoE4EjNS0_10empty_typeEbEEZZNS1_14partition_implILS8_4ELb0ES6_15HIP_vector_typeIjLj2EENS0_17counting_iteratorIjlEEPS9_SG_NS0_5tupleIJPjSI_NS0_16reverse_iteratorISI_EEEEENSH_IJSG_SG_SG_EEES9_SI_JZNS1_25segmented_radix_sort_implINS0_14default_configELb0EPKaPaPKlPlN2at6native12_GLOBAL__N_18offset_tEEE10hipError_tPvRmT1_PNSt15iterator_traitsIS12_E10value_typeET2_T3_PNS13_IS18_E10value_typeET4_jRbjT5_S1E_jjP12ihipStream_tbEUljE_ZNSN_ISO_Lb0ESQ_SR_ST_SU_SY_EESZ_S10_S11_S12_S16_S17_S18_S1B_S1C_jS1D_jS1E_S1E_jjS1G_bEUljE0_EEESZ_S10_S11_S18_S1C_S1E_T6_T7_T9_mT8_S1G_bDpT10_ENKUlT_T0_E_clISt17integral_constantIbLb1EES1U_EEDaS1P_S1Q_EUlS1P_E_NS1_11comp_targetILNS1_3genE8ELNS1_11target_archE1030ELNS1_3gpuE2ELNS1_3repE0EEENS1_30default_config_static_selectorELNS0_4arch9wavefront6targetE0EEEvS12_,comdat
.Lfunc_end341:
	.size	_ZN7rocprim17ROCPRIM_400000_NS6detail17trampoline_kernelINS0_13select_configILj256ELj13ELNS0_17block_load_methodE3ELS4_3ELS4_3ELNS0_20block_scan_algorithmE0ELj4294967295EEENS1_25partition_config_selectorILNS1_17partition_subalgoE4EjNS0_10empty_typeEbEEZZNS1_14partition_implILS8_4ELb0ES6_15HIP_vector_typeIjLj2EENS0_17counting_iteratorIjlEEPS9_SG_NS0_5tupleIJPjSI_NS0_16reverse_iteratorISI_EEEEENSH_IJSG_SG_SG_EEES9_SI_JZNS1_25segmented_radix_sort_implINS0_14default_configELb0EPKaPaPKlPlN2at6native12_GLOBAL__N_18offset_tEEE10hipError_tPvRmT1_PNSt15iterator_traitsIS12_E10value_typeET2_T3_PNS13_IS18_E10value_typeET4_jRbjT5_S1E_jjP12ihipStream_tbEUljE_ZNSN_ISO_Lb0ESQ_SR_ST_SU_SY_EESZ_S10_S11_S12_S16_S17_S18_S1B_S1C_jS1D_jS1E_S1E_jjS1G_bEUljE0_EEESZ_S10_S11_S18_S1C_S1E_T6_T7_T9_mT8_S1G_bDpT10_ENKUlT_T0_E_clISt17integral_constantIbLb1EES1U_EEDaS1P_S1Q_EUlS1P_E_NS1_11comp_targetILNS1_3genE8ELNS1_11target_archE1030ELNS1_3gpuE2ELNS1_3repE0EEENS1_30default_config_static_selectorELNS0_4arch9wavefront6targetE0EEEvS12_, .Lfunc_end341-_ZN7rocprim17ROCPRIM_400000_NS6detail17trampoline_kernelINS0_13select_configILj256ELj13ELNS0_17block_load_methodE3ELS4_3ELS4_3ELNS0_20block_scan_algorithmE0ELj4294967295EEENS1_25partition_config_selectorILNS1_17partition_subalgoE4EjNS0_10empty_typeEbEEZZNS1_14partition_implILS8_4ELb0ES6_15HIP_vector_typeIjLj2EENS0_17counting_iteratorIjlEEPS9_SG_NS0_5tupleIJPjSI_NS0_16reverse_iteratorISI_EEEEENSH_IJSG_SG_SG_EEES9_SI_JZNS1_25segmented_radix_sort_implINS0_14default_configELb0EPKaPaPKlPlN2at6native12_GLOBAL__N_18offset_tEEE10hipError_tPvRmT1_PNSt15iterator_traitsIS12_E10value_typeET2_T3_PNS13_IS18_E10value_typeET4_jRbjT5_S1E_jjP12ihipStream_tbEUljE_ZNSN_ISO_Lb0ESQ_SR_ST_SU_SY_EESZ_S10_S11_S12_S16_S17_S18_S1B_S1C_jS1D_jS1E_S1E_jjS1G_bEUljE0_EEESZ_S10_S11_S18_S1C_S1E_T6_T7_T9_mT8_S1G_bDpT10_ENKUlT_T0_E_clISt17integral_constantIbLb1EES1U_EEDaS1P_S1Q_EUlS1P_E_NS1_11comp_targetILNS1_3genE8ELNS1_11target_archE1030ELNS1_3gpuE2ELNS1_3repE0EEENS1_30default_config_static_selectorELNS0_4arch9wavefront6targetE0EEEvS12_
                                        ; -- End function
	.set _ZN7rocprim17ROCPRIM_400000_NS6detail17trampoline_kernelINS0_13select_configILj256ELj13ELNS0_17block_load_methodE3ELS4_3ELS4_3ELNS0_20block_scan_algorithmE0ELj4294967295EEENS1_25partition_config_selectorILNS1_17partition_subalgoE4EjNS0_10empty_typeEbEEZZNS1_14partition_implILS8_4ELb0ES6_15HIP_vector_typeIjLj2EENS0_17counting_iteratorIjlEEPS9_SG_NS0_5tupleIJPjSI_NS0_16reverse_iteratorISI_EEEEENSH_IJSG_SG_SG_EEES9_SI_JZNS1_25segmented_radix_sort_implINS0_14default_configELb0EPKaPaPKlPlN2at6native12_GLOBAL__N_18offset_tEEE10hipError_tPvRmT1_PNSt15iterator_traitsIS12_E10value_typeET2_T3_PNS13_IS18_E10value_typeET4_jRbjT5_S1E_jjP12ihipStream_tbEUljE_ZNSN_ISO_Lb0ESQ_SR_ST_SU_SY_EESZ_S10_S11_S12_S16_S17_S18_S1B_S1C_jS1D_jS1E_S1E_jjS1G_bEUljE0_EEESZ_S10_S11_S18_S1C_S1E_T6_T7_T9_mT8_S1G_bDpT10_ENKUlT_T0_E_clISt17integral_constantIbLb1EES1U_EEDaS1P_S1Q_EUlS1P_E_NS1_11comp_targetILNS1_3genE8ELNS1_11target_archE1030ELNS1_3gpuE2ELNS1_3repE0EEENS1_30default_config_static_selectorELNS0_4arch9wavefront6targetE0EEEvS12_.num_vgpr, 0
	.set _ZN7rocprim17ROCPRIM_400000_NS6detail17trampoline_kernelINS0_13select_configILj256ELj13ELNS0_17block_load_methodE3ELS4_3ELS4_3ELNS0_20block_scan_algorithmE0ELj4294967295EEENS1_25partition_config_selectorILNS1_17partition_subalgoE4EjNS0_10empty_typeEbEEZZNS1_14partition_implILS8_4ELb0ES6_15HIP_vector_typeIjLj2EENS0_17counting_iteratorIjlEEPS9_SG_NS0_5tupleIJPjSI_NS0_16reverse_iteratorISI_EEEEENSH_IJSG_SG_SG_EEES9_SI_JZNS1_25segmented_radix_sort_implINS0_14default_configELb0EPKaPaPKlPlN2at6native12_GLOBAL__N_18offset_tEEE10hipError_tPvRmT1_PNSt15iterator_traitsIS12_E10value_typeET2_T3_PNS13_IS18_E10value_typeET4_jRbjT5_S1E_jjP12ihipStream_tbEUljE_ZNSN_ISO_Lb0ESQ_SR_ST_SU_SY_EESZ_S10_S11_S12_S16_S17_S18_S1B_S1C_jS1D_jS1E_S1E_jjS1G_bEUljE0_EEESZ_S10_S11_S18_S1C_S1E_T6_T7_T9_mT8_S1G_bDpT10_ENKUlT_T0_E_clISt17integral_constantIbLb1EES1U_EEDaS1P_S1Q_EUlS1P_E_NS1_11comp_targetILNS1_3genE8ELNS1_11target_archE1030ELNS1_3gpuE2ELNS1_3repE0EEENS1_30default_config_static_selectorELNS0_4arch9wavefront6targetE0EEEvS12_.num_agpr, 0
	.set _ZN7rocprim17ROCPRIM_400000_NS6detail17trampoline_kernelINS0_13select_configILj256ELj13ELNS0_17block_load_methodE3ELS4_3ELS4_3ELNS0_20block_scan_algorithmE0ELj4294967295EEENS1_25partition_config_selectorILNS1_17partition_subalgoE4EjNS0_10empty_typeEbEEZZNS1_14partition_implILS8_4ELb0ES6_15HIP_vector_typeIjLj2EENS0_17counting_iteratorIjlEEPS9_SG_NS0_5tupleIJPjSI_NS0_16reverse_iteratorISI_EEEEENSH_IJSG_SG_SG_EEES9_SI_JZNS1_25segmented_radix_sort_implINS0_14default_configELb0EPKaPaPKlPlN2at6native12_GLOBAL__N_18offset_tEEE10hipError_tPvRmT1_PNSt15iterator_traitsIS12_E10value_typeET2_T3_PNS13_IS18_E10value_typeET4_jRbjT5_S1E_jjP12ihipStream_tbEUljE_ZNSN_ISO_Lb0ESQ_SR_ST_SU_SY_EESZ_S10_S11_S12_S16_S17_S18_S1B_S1C_jS1D_jS1E_S1E_jjS1G_bEUljE0_EEESZ_S10_S11_S18_S1C_S1E_T6_T7_T9_mT8_S1G_bDpT10_ENKUlT_T0_E_clISt17integral_constantIbLb1EES1U_EEDaS1P_S1Q_EUlS1P_E_NS1_11comp_targetILNS1_3genE8ELNS1_11target_archE1030ELNS1_3gpuE2ELNS1_3repE0EEENS1_30default_config_static_selectorELNS0_4arch9wavefront6targetE0EEEvS12_.numbered_sgpr, 0
	.set _ZN7rocprim17ROCPRIM_400000_NS6detail17trampoline_kernelINS0_13select_configILj256ELj13ELNS0_17block_load_methodE3ELS4_3ELS4_3ELNS0_20block_scan_algorithmE0ELj4294967295EEENS1_25partition_config_selectorILNS1_17partition_subalgoE4EjNS0_10empty_typeEbEEZZNS1_14partition_implILS8_4ELb0ES6_15HIP_vector_typeIjLj2EENS0_17counting_iteratorIjlEEPS9_SG_NS0_5tupleIJPjSI_NS0_16reverse_iteratorISI_EEEEENSH_IJSG_SG_SG_EEES9_SI_JZNS1_25segmented_radix_sort_implINS0_14default_configELb0EPKaPaPKlPlN2at6native12_GLOBAL__N_18offset_tEEE10hipError_tPvRmT1_PNSt15iterator_traitsIS12_E10value_typeET2_T3_PNS13_IS18_E10value_typeET4_jRbjT5_S1E_jjP12ihipStream_tbEUljE_ZNSN_ISO_Lb0ESQ_SR_ST_SU_SY_EESZ_S10_S11_S12_S16_S17_S18_S1B_S1C_jS1D_jS1E_S1E_jjS1G_bEUljE0_EEESZ_S10_S11_S18_S1C_S1E_T6_T7_T9_mT8_S1G_bDpT10_ENKUlT_T0_E_clISt17integral_constantIbLb1EES1U_EEDaS1P_S1Q_EUlS1P_E_NS1_11comp_targetILNS1_3genE8ELNS1_11target_archE1030ELNS1_3gpuE2ELNS1_3repE0EEENS1_30default_config_static_selectorELNS0_4arch9wavefront6targetE0EEEvS12_.num_named_barrier, 0
	.set _ZN7rocprim17ROCPRIM_400000_NS6detail17trampoline_kernelINS0_13select_configILj256ELj13ELNS0_17block_load_methodE3ELS4_3ELS4_3ELNS0_20block_scan_algorithmE0ELj4294967295EEENS1_25partition_config_selectorILNS1_17partition_subalgoE4EjNS0_10empty_typeEbEEZZNS1_14partition_implILS8_4ELb0ES6_15HIP_vector_typeIjLj2EENS0_17counting_iteratorIjlEEPS9_SG_NS0_5tupleIJPjSI_NS0_16reverse_iteratorISI_EEEEENSH_IJSG_SG_SG_EEES9_SI_JZNS1_25segmented_radix_sort_implINS0_14default_configELb0EPKaPaPKlPlN2at6native12_GLOBAL__N_18offset_tEEE10hipError_tPvRmT1_PNSt15iterator_traitsIS12_E10value_typeET2_T3_PNS13_IS18_E10value_typeET4_jRbjT5_S1E_jjP12ihipStream_tbEUljE_ZNSN_ISO_Lb0ESQ_SR_ST_SU_SY_EESZ_S10_S11_S12_S16_S17_S18_S1B_S1C_jS1D_jS1E_S1E_jjS1G_bEUljE0_EEESZ_S10_S11_S18_S1C_S1E_T6_T7_T9_mT8_S1G_bDpT10_ENKUlT_T0_E_clISt17integral_constantIbLb1EES1U_EEDaS1P_S1Q_EUlS1P_E_NS1_11comp_targetILNS1_3genE8ELNS1_11target_archE1030ELNS1_3gpuE2ELNS1_3repE0EEENS1_30default_config_static_selectorELNS0_4arch9wavefront6targetE0EEEvS12_.private_seg_size, 0
	.set _ZN7rocprim17ROCPRIM_400000_NS6detail17trampoline_kernelINS0_13select_configILj256ELj13ELNS0_17block_load_methodE3ELS4_3ELS4_3ELNS0_20block_scan_algorithmE0ELj4294967295EEENS1_25partition_config_selectorILNS1_17partition_subalgoE4EjNS0_10empty_typeEbEEZZNS1_14partition_implILS8_4ELb0ES6_15HIP_vector_typeIjLj2EENS0_17counting_iteratorIjlEEPS9_SG_NS0_5tupleIJPjSI_NS0_16reverse_iteratorISI_EEEEENSH_IJSG_SG_SG_EEES9_SI_JZNS1_25segmented_radix_sort_implINS0_14default_configELb0EPKaPaPKlPlN2at6native12_GLOBAL__N_18offset_tEEE10hipError_tPvRmT1_PNSt15iterator_traitsIS12_E10value_typeET2_T3_PNS13_IS18_E10value_typeET4_jRbjT5_S1E_jjP12ihipStream_tbEUljE_ZNSN_ISO_Lb0ESQ_SR_ST_SU_SY_EESZ_S10_S11_S12_S16_S17_S18_S1B_S1C_jS1D_jS1E_S1E_jjS1G_bEUljE0_EEESZ_S10_S11_S18_S1C_S1E_T6_T7_T9_mT8_S1G_bDpT10_ENKUlT_T0_E_clISt17integral_constantIbLb1EES1U_EEDaS1P_S1Q_EUlS1P_E_NS1_11comp_targetILNS1_3genE8ELNS1_11target_archE1030ELNS1_3gpuE2ELNS1_3repE0EEENS1_30default_config_static_selectorELNS0_4arch9wavefront6targetE0EEEvS12_.uses_vcc, 0
	.set _ZN7rocprim17ROCPRIM_400000_NS6detail17trampoline_kernelINS0_13select_configILj256ELj13ELNS0_17block_load_methodE3ELS4_3ELS4_3ELNS0_20block_scan_algorithmE0ELj4294967295EEENS1_25partition_config_selectorILNS1_17partition_subalgoE4EjNS0_10empty_typeEbEEZZNS1_14partition_implILS8_4ELb0ES6_15HIP_vector_typeIjLj2EENS0_17counting_iteratorIjlEEPS9_SG_NS0_5tupleIJPjSI_NS0_16reverse_iteratorISI_EEEEENSH_IJSG_SG_SG_EEES9_SI_JZNS1_25segmented_radix_sort_implINS0_14default_configELb0EPKaPaPKlPlN2at6native12_GLOBAL__N_18offset_tEEE10hipError_tPvRmT1_PNSt15iterator_traitsIS12_E10value_typeET2_T3_PNS13_IS18_E10value_typeET4_jRbjT5_S1E_jjP12ihipStream_tbEUljE_ZNSN_ISO_Lb0ESQ_SR_ST_SU_SY_EESZ_S10_S11_S12_S16_S17_S18_S1B_S1C_jS1D_jS1E_S1E_jjS1G_bEUljE0_EEESZ_S10_S11_S18_S1C_S1E_T6_T7_T9_mT8_S1G_bDpT10_ENKUlT_T0_E_clISt17integral_constantIbLb1EES1U_EEDaS1P_S1Q_EUlS1P_E_NS1_11comp_targetILNS1_3genE8ELNS1_11target_archE1030ELNS1_3gpuE2ELNS1_3repE0EEENS1_30default_config_static_selectorELNS0_4arch9wavefront6targetE0EEEvS12_.uses_flat_scratch, 0
	.set _ZN7rocprim17ROCPRIM_400000_NS6detail17trampoline_kernelINS0_13select_configILj256ELj13ELNS0_17block_load_methodE3ELS4_3ELS4_3ELNS0_20block_scan_algorithmE0ELj4294967295EEENS1_25partition_config_selectorILNS1_17partition_subalgoE4EjNS0_10empty_typeEbEEZZNS1_14partition_implILS8_4ELb0ES6_15HIP_vector_typeIjLj2EENS0_17counting_iteratorIjlEEPS9_SG_NS0_5tupleIJPjSI_NS0_16reverse_iteratorISI_EEEEENSH_IJSG_SG_SG_EEES9_SI_JZNS1_25segmented_radix_sort_implINS0_14default_configELb0EPKaPaPKlPlN2at6native12_GLOBAL__N_18offset_tEEE10hipError_tPvRmT1_PNSt15iterator_traitsIS12_E10value_typeET2_T3_PNS13_IS18_E10value_typeET4_jRbjT5_S1E_jjP12ihipStream_tbEUljE_ZNSN_ISO_Lb0ESQ_SR_ST_SU_SY_EESZ_S10_S11_S12_S16_S17_S18_S1B_S1C_jS1D_jS1E_S1E_jjS1G_bEUljE0_EEESZ_S10_S11_S18_S1C_S1E_T6_T7_T9_mT8_S1G_bDpT10_ENKUlT_T0_E_clISt17integral_constantIbLb1EES1U_EEDaS1P_S1Q_EUlS1P_E_NS1_11comp_targetILNS1_3genE8ELNS1_11target_archE1030ELNS1_3gpuE2ELNS1_3repE0EEENS1_30default_config_static_selectorELNS0_4arch9wavefront6targetE0EEEvS12_.has_dyn_sized_stack, 0
	.set _ZN7rocprim17ROCPRIM_400000_NS6detail17trampoline_kernelINS0_13select_configILj256ELj13ELNS0_17block_load_methodE3ELS4_3ELS4_3ELNS0_20block_scan_algorithmE0ELj4294967295EEENS1_25partition_config_selectorILNS1_17partition_subalgoE4EjNS0_10empty_typeEbEEZZNS1_14partition_implILS8_4ELb0ES6_15HIP_vector_typeIjLj2EENS0_17counting_iteratorIjlEEPS9_SG_NS0_5tupleIJPjSI_NS0_16reverse_iteratorISI_EEEEENSH_IJSG_SG_SG_EEES9_SI_JZNS1_25segmented_radix_sort_implINS0_14default_configELb0EPKaPaPKlPlN2at6native12_GLOBAL__N_18offset_tEEE10hipError_tPvRmT1_PNSt15iterator_traitsIS12_E10value_typeET2_T3_PNS13_IS18_E10value_typeET4_jRbjT5_S1E_jjP12ihipStream_tbEUljE_ZNSN_ISO_Lb0ESQ_SR_ST_SU_SY_EESZ_S10_S11_S12_S16_S17_S18_S1B_S1C_jS1D_jS1E_S1E_jjS1G_bEUljE0_EEESZ_S10_S11_S18_S1C_S1E_T6_T7_T9_mT8_S1G_bDpT10_ENKUlT_T0_E_clISt17integral_constantIbLb1EES1U_EEDaS1P_S1Q_EUlS1P_E_NS1_11comp_targetILNS1_3genE8ELNS1_11target_archE1030ELNS1_3gpuE2ELNS1_3repE0EEENS1_30default_config_static_selectorELNS0_4arch9wavefront6targetE0EEEvS12_.has_recursion, 0
	.set _ZN7rocprim17ROCPRIM_400000_NS6detail17trampoline_kernelINS0_13select_configILj256ELj13ELNS0_17block_load_methodE3ELS4_3ELS4_3ELNS0_20block_scan_algorithmE0ELj4294967295EEENS1_25partition_config_selectorILNS1_17partition_subalgoE4EjNS0_10empty_typeEbEEZZNS1_14partition_implILS8_4ELb0ES6_15HIP_vector_typeIjLj2EENS0_17counting_iteratorIjlEEPS9_SG_NS0_5tupleIJPjSI_NS0_16reverse_iteratorISI_EEEEENSH_IJSG_SG_SG_EEES9_SI_JZNS1_25segmented_radix_sort_implINS0_14default_configELb0EPKaPaPKlPlN2at6native12_GLOBAL__N_18offset_tEEE10hipError_tPvRmT1_PNSt15iterator_traitsIS12_E10value_typeET2_T3_PNS13_IS18_E10value_typeET4_jRbjT5_S1E_jjP12ihipStream_tbEUljE_ZNSN_ISO_Lb0ESQ_SR_ST_SU_SY_EESZ_S10_S11_S12_S16_S17_S18_S1B_S1C_jS1D_jS1E_S1E_jjS1G_bEUljE0_EEESZ_S10_S11_S18_S1C_S1E_T6_T7_T9_mT8_S1G_bDpT10_ENKUlT_T0_E_clISt17integral_constantIbLb1EES1U_EEDaS1P_S1Q_EUlS1P_E_NS1_11comp_targetILNS1_3genE8ELNS1_11target_archE1030ELNS1_3gpuE2ELNS1_3repE0EEENS1_30default_config_static_selectorELNS0_4arch9wavefront6targetE0EEEvS12_.has_indirect_call, 0
	.section	.AMDGPU.csdata,"",@progbits
; Kernel info:
; codeLenInByte = 0
; TotalNumSgprs: 0
; NumVgprs: 0
; ScratchSize: 0
; MemoryBound: 0
; FloatMode: 240
; IeeeMode: 1
; LDSByteSize: 0 bytes/workgroup (compile time only)
; SGPRBlocks: 0
; VGPRBlocks: 0
; NumSGPRsForWavesPerEU: 1
; NumVGPRsForWavesPerEU: 1
; NamedBarCnt: 0
; Occupancy: 16
; WaveLimiterHint : 0
; COMPUTE_PGM_RSRC2:SCRATCH_EN: 0
; COMPUTE_PGM_RSRC2:USER_SGPR: 2
; COMPUTE_PGM_RSRC2:TRAP_HANDLER: 0
; COMPUTE_PGM_RSRC2:TGID_X_EN: 1
; COMPUTE_PGM_RSRC2:TGID_Y_EN: 0
; COMPUTE_PGM_RSRC2:TGID_Z_EN: 0
; COMPUTE_PGM_RSRC2:TIDIG_COMP_CNT: 0
	.section	.text._ZN7rocprim17ROCPRIM_400000_NS6detail17trampoline_kernelINS0_13select_configILj256ELj13ELNS0_17block_load_methodE3ELS4_3ELS4_3ELNS0_20block_scan_algorithmE0ELj4294967295EEENS1_25partition_config_selectorILNS1_17partition_subalgoE4EjNS0_10empty_typeEbEEZZNS1_14partition_implILS8_4ELb0ES6_15HIP_vector_typeIjLj2EENS0_17counting_iteratorIjlEEPS9_SG_NS0_5tupleIJPjSI_NS0_16reverse_iteratorISI_EEEEENSH_IJSG_SG_SG_EEES9_SI_JZNS1_25segmented_radix_sort_implINS0_14default_configELb0EPKaPaPKlPlN2at6native12_GLOBAL__N_18offset_tEEE10hipError_tPvRmT1_PNSt15iterator_traitsIS12_E10value_typeET2_T3_PNS13_IS18_E10value_typeET4_jRbjT5_S1E_jjP12ihipStream_tbEUljE_ZNSN_ISO_Lb0ESQ_SR_ST_SU_SY_EESZ_S10_S11_S12_S16_S17_S18_S1B_S1C_jS1D_jS1E_S1E_jjS1G_bEUljE0_EEESZ_S10_S11_S18_S1C_S1E_T6_T7_T9_mT8_S1G_bDpT10_ENKUlT_T0_E_clISt17integral_constantIbLb1EES1T_IbLb0EEEEDaS1P_S1Q_EUlS1P_E_NS1_11comp_targetILNS1_3genE0ELNS1_11target_archE4294967295ELNS1_3gpuE0ELNS1_3repE0EEENS1_30default_config_static_selectorELNS0_4arch9wavefront6targetE0EEEvS12_,"axG",@progbits,_ZN7rocprim17ROCPRIM_400000_NS6detail17trampoline_kernelINS0_13select_configILj256ELj13ELNS0_17block_load_methodE3ELS4_3ELS4_3ELNS0_20block_scan_algorithmE0ELj4294967295EEENS1_25partition_config_selectorILNS1_17partition_subalgoE4EjNS0_10empty_typeEbEEZZNS1_14partition_implILS8_4ELb0ES6_15HIP_vector_typeIjLj2EENS0_17counting_iteratorIjlEEPS9_SG_NS0_5tupleIJPjSI_NS0_16reverse_iteratorISI_EEEEENSH_IJSG_SG_SG_EEES9_SI_JZNS1_25segmented_radix_sort_implINS0_14default_configELb0EPKaPaPKlPlN2at6native12_GLOBAL__N_18offset_tEEE10hipError_tPvRmT1_PNSt15iterator_traitsIS12_E10value_typeET2_T3_PNS13_IS18_E10value_typeET4_jRbjT5_S1E_jjP12ihipStream_tbEUljE_ZNSN_ISO_Lb0ESQ_SR_ST_SU_SY_EESZ_S10_S11_S12_S16_S17_S18_S1B_S1C_jS1D_jS1E_S1E_jjS1G_bEUljE0_EEESZ_S10_S11_S18_S1C_S1E_T6_T7_T9_mT8_S1G_bDpT10_ENKUlT_T0_E_clISt17integral_constantIbLb1EES1T_IbLb0EEEEDaS1P_S1Q_EUlS1P_E_NS1_11comp_targetILNS1_3genE0ELNS1_11target_archE4294967295ELNS1_3gpuE0ELNS1_3repE0EEENS1_30default_config_static_selectorELNS0_4arch9wavefront6targetE0EEEvS12_,comdat
	.globl	_ZN7rocprim17ROCPRIM_400000_NS6detail17trampoline_kernelINS0_13select_configILj256ELj13ELNS0_17block_load_methodE3ELS4_3ELS4_3ELNS0_20block_scan_algorithmE0ELj4294967295EEENS1_25partition_config_selectorILNS1_17partition_subalgoE4EjNS0_10empty_typeEbEEZZNS1_14partition_implILS8_4ELb0ES6_15HIP_vector_typeIjLj2EENS0_17counting_iteratorIjlEEPS9_SG_NS0_5tupleIJPjSI_NS0_16reverse_iteratorISI_EEEEENSH_IJSG_SG_SG_EEES9_SI_JZNS1_25segmented_radix_sort_implINS0_14default_configELb0EPKaPaPKlPlN2at6native12_GLOBAL__N_18offset_tEEE10hipError_tPvRmT1_PNSt15iterator_traitsIS12_E10value_typeET2_T3_PNS13_IS18_E10value_typeET4_jRbjT5_S1E_jjP12ihipStream_tbEUljE_ZNSN_ISO_Lb0ESQ_SR_ST_SU_SY_EESZ_S10_S11_S12_S16_S17_S18_S1B_S1C_jS1D_jS1E_S1E_jjS1G_bEUljE0_EEESZ_S10_S11_S18_S1C_S1E_T6_T7_T9_mT8_S1G_bDpT10_ENKUlT_T0_E_clISt17integral_constantIbLb1EES1T_IbLb0EEEEDaS1P_S1Q_EUlS1P_E_NS1_11comp_targetILNS1_3genE0ELNS1_11target_archE4294967295ELNS1_3gpuE0ELNS1_3repE0EEENS1_30default_config_static_selectorELNS0_4arch9wavefront6targetE0EEEvS12_ ; -- Begin function _ZN7rocprim17ROCPRIM_400000_NS6detail17trampoline_kernelINS0_13select_configILj256ELj13ELNS0_17block_load_methodE3ELS4_3ELS4_3ELNS0_20block_scan_algorithmE0ELj4294967295EEENS1_25partition_config_selectorILNS1_17partition_subalgoE4EjNS0_10empty_typeEbEEZZNS1_14partition_implILS8_4ELb0ES6_15HIP_vector_typeIjLj2EENS0_17counting_iteratorIjlEEPS9_SG_NS0_5tupleIJPjSI_NS0_16reverse_iteratorISI_EEEEENSH_IJSG_SG_SG_EEES9_SI_JZNS1_25segmented_radix_sort_implINS0_14default_configELb0EPKaPaPKlPlN2at6native12_GLOBAL__N_18offset_tEEE10hipError_tPvRmT1_PNSt15iterator_traitsIS12_E10value_typeET2_T3_PNS13_IS18_E10value_typeET4_jRbjT5_S1E_jjP12ihipStream_tbEUljE_ZNSN_ISO_Lb0ESQ_SR_ST_SU_SY_EESZ_S10_S11_S12_S16_S17_S18_S1B_S1C_jS1D_jS1E_S1E_jjS1G_bEUljE0_EEESZ_S10_S11_S18_S1C_S1E_T6_T7_T9_mT8_S1G_bDpT10_ENKUlT_T0_E_clISt17integral_constantIbLb1EES1T_IbLb0EEEEDaS1P_S1Q_EUlS1P_E_NS1_11comp_targetILNS1_3genE0ELNS1_11target_archE4294967295ELNS1_3gpuE0ELNS1_3repE0EEENS1_30default_config_static_selectorELNS0_4arch9wavefront6targetE0EEEvS12_
	.p2align	8
	.type	_ZN7rocprim17ROCPRIM_400000_NS6detail17trampoline_kernelINS0_13select_configILj256ELj13ELNS0_17block_load_methodE3ELS4_3ELS4_3ELNS0_20block_scan_algorithmE0ELj4294967295EEENS1_25partition_config_selectorILNS1_17partition_subalgoE4EjNS0_10empty_typeEbEEZZNS1_14partition_implILS8_4ELb0ES6_15HIP_vector_typeIjLj2EENS0_17counting_iteratorIjlEEPS9_SG_NS0_5tupleIJPjSI_NS0_16reverse_iteratorISI_EEEEENSH_IJSG_SG_SG_EEES9_SI_JZNS1_25segmented_radix_sort_implINS0_14default_configELb0EPKaPaPKlPlN2at6native12_GLOBAL__N_18offset_tEEE10hipError_tPvRmT1_PNSt15iterator_traitsIS12_E10value_typeET2_T3_PNS13_IS18_E10value_typeET4_jRbjT5_S1E_jjP12ihipStream_tbEUljE_ZNSN_ISO_Lb0ESQ_SR_ST_SU_SY_EESZ_S10_S11_S12_S16_S17_S18_S1B_S1C_jS1D_jS1E_S1E_jjS1G_bEUljE0_EEESZ_S10_S11_S18_S1C_S1E_T6_T7_T9_mT8_S1G_bDpT10_ENKUlT_T0_E_clISt17integral_constantIbLb1EES1T_IbLb0EEEEDaS1P_S1Q_EUlS1P_E_NS1_11comp_targetILNS1_3genE0ELNS1_11target_archE4294967295ELNS1_3gpuE0ELNS1_3repE0EEENS1_30default_config_static_selectorELNS0_4arch9wavefront6targetE0EEEvS12_,@function
_ZN7rocprim17ROCPRIM_400000_NS6detail17trampoline_kernelINS0_13select_configILj256ELj13ELNS0_17block_load_methodE3ELS4_3ELS4_3ELNS0_20block_scan_algorithmE0ELj4294967295EEENS1_25partition_config_selectorILNS1_17partition_subalgoE4EjNS0_10empty_typeEbEEZZNS1_14partition_implILS8_4ELb0ES6_15HIP_vector_typeIjLj2EENS0_17counting_iteratorIjlEEPS9_SG_NS0_5tupleIJPjSI_NS0_16reverse_iteratorISI_EEEEENSH_IJSG_SG_SG_EEES9_SI_JZNS1_25segmented_radix_sort_implINS0_14default_configELb0EPKaPaPKlPlN2at6native12_GLOBAL__N_18offset_tEEE10hipError_tPvRmT1_PNSt15iterator_traitsIS12_E10value_typeET2_T3_PNS13_IS18_E10value_typeET4_jRbjT5_S1E_jjP12ihipStream_tbEUljE_ZNSN_ISO_Lb0ESQ_SR_ST_SU_SY_EESZ_S10_S11_S12_S16_S17_S18_S1B_S1C_jS1D_jS1E_S1E_jjS1G_bEUljE0_EEESZ_S10_S11_S18_S1C_S1E_T6_T7_T9_mT8_S1G_bDpT10_ENKUlT_T0_E_clISt17integral_constantIbLb1EES1T_IbLb0EEEEDaS1P_S1Q_EUlS1P_E_NS1_11comp_targetILNS1_3genE0ELNS1_11target_archE4294967295ELNS1_3gpuE0ELNS1_3repE0EEENS1_30default_config_static_selectorELNS0_4arch9wavefront6targetE0EEEvS12_: ; @_ZN7rocprim17ROCPRIM_400000_NS6detail17trampoline_kernelINS0_13select_configILj256ELj13ELNS0_17block_load_methodE3ELS4_3ELS4_3ELNS0_20block_scan_algorithmE0ELj4294967295EEENS1_25partition_config_selectorILNS1_17partition_subalgoE4EjNS0_10empty_typeEbEEZZNS1_14partition_implILS8_4ELb0ES6_15HIP_vector_typeIjLj2EENS0_17counting_iteratorIjlEEPS9_SG_NS0_5tupleIJPjSI_NS0_16reverse_iteratorISI_EEEEENSH_IJSG_SG_SG_EEES9_SI_JZNS1_25segmented_radix_sort_implINS0_14default_configELb0EPKaPaPKlPlN2at6native12_GLOBAL__N_18offset_tEEE10hipError_tPvRmT1_PNSt15iterator_traitsIS12_E10value_typeET2_T3_PNS13_IS18_E10value_typeET4_jRbjT5_S1E_jjP12ihipStream_tbEUljE_ZNSN_ISO_Lb0ESQ_SR_ST_SU_SY_EESZ_S10_S11_S12_S16_S17_S18_S1B_S1C_jS1D_jS1E_S1E_jjS1G_bEUljE0_EEESZ_S10_S11_S18_S1C_S1E_T6_T7_T9_mT8_S1G_bDpT10_ENKUlT_T0_E_clISt17integral_constantIbLb1EES1T_IbLb0EEEEDaS1P_S1Q_EUlS1P_E_NS1_11comp_targetILNS1_3genE0ELNS1_11target_archE4294967295ELNS1_3gpuE0ELNS1_3repE0EEENS1_30default_config_static_selectorELNS0_4arch9wavefront6targetE0EEEvS12_
; %bb.0:
	s_endpgm
	.section	.rodata,"a",@progbits
	.p2align	6, 0x0
	.amdhsa_kernel _ZN7rocprim17ROCPRIM_400000_NS6detail17trampoline_kernelINS0_13select_configILj256ELj13ELNS0_17block_load_methodE3ELS4_3ELS4_3ELNS0_20block_scan_algorithmE0ELj4294967295EEENS1_25partition_config_selectorILNS1_17partition_subalgoE4EjNS0_10empty_typeEbEEZZNS1_14partition_implILS8_4ELb0ES6_15HIP_vector_typeIjLj2EENS0_17counting_iteratorIjlEEPS9_SG_NS0_5tupleIJPjSI_NS0_16reverse_iteratorISI_EEEEENSH_IJSG_SG_SG_EEES9_SI_JZNS1_25segmented_radix_sort_implINS0_14default_configELb0EPKaPaPKlPlN2at6native12_GLOBAL__N_18offset_tEEE10hipError_tPvRmT1_PNSt15iterator_traitsIS12_E10value_typeET2_T3_PNS13_IS18_E10value_typeET4_jRbjT5_S1E_jjP12ihipStream_tbEUljE_ZNSN_ISO_Lb0ESQ_SR_ST_SU_SY_EESZ_S10_S11_S12_S16_S17_S18_S1B_S1C_jS1D_jS1E_S1E_jjS1G_bEUljE0_EEESZ_S10_S11_S18_S1C_S1E_T6_T7_T9_mT8_S1G_bDpT10_ENKUlT_T0_E_clISt17integral_constantIbLb1EES1T_IbLb0EEEEDaS1P_S1Q_EUlS1P_E_NS1_11comp_targetILNS1_3genE0ELNS1_11target_archE4294967295ELNS1_3gpuE0ELNS1_3repE0EEENS1_30default_config_static_selectorELNS0_4arch9wavefront6targetE0EEEvS12_
		.amdhsa_group_segment_fixed_size 0
		.amdhsa_private_segment_fixed_size 0
		.amdhsa_kernarg_size 176
		.amdhsa_user_sgpr_count 2
		.amdhsa_user_sgpr_dispatch_ptr 0
		.amdhsa_user_sgpr_queue_ptr 0
		.amdhsa_user_sgpr_kernarg_segment_ptr 1
		.amdhsa_user_sgpr_dispatch_id 0
		.amdhsa_user_sgpr_kernarg_preload_length 0
		.amdhsa_user_sgpr_kernarg_preload_offset 0
		.amdhsa_user_sgpr_private_segment_size 0
		.amdhsa_wavefront_size32 1
		.amdhsa_uses_dynamic_stack 0
		.amdhsa_enable_private_segment 0
		.amdhsa_system_sgpr_workgroup_id_x 1
		.amdhsa_system_sgpr_workgroup_id_y 0
		.amdhsa_system_sgpr_workgroup_id_z 0
		.amdhsa_system_sgpr_workgroup_info 0
		.amdhsa_system_vgpr_workitem_id 0
		.amdhsa_next_free_vgpr 1
		.amdhsa_next_free_sgpr 1
		.amdhsa_named_barrier_count 0
		.amdhsa_reserve_vcc 0
		.amdhsa_float_round_mode_32 0
		.amdhsa_float_round_mode_16_64 0
		.amdhsa_float_denorm_mode_32 3
		.amdhsa_float_denorm_mode_16_64 3
		.amdhsa_fp16_overflow 0
		.amdhsa_memory_ordered 1
		.amdhsa_forward_progress 1
		.amdhsa_inst_pref_size 1
		.amdhsa_round_robin_scheduling 0
		.amdhsa_exception_fp_ieee_invalid_op 0
		.amdhsa_exception_fp_denorm_src 0
		.amdhsa_exception_fp_ieee_div_zero 0
		.amdhsa_exception_fp_ieee_overflow 0
		.amdhsa_exception_fp_ieee_underflow 0
		.amdhsa_exception_fp_ieee_inexact 0
		.amdhsa_exception_int_div_zero 0
	.end_amdhsa_kernel
	.section	.text._ZN7rocprim17ROCPRIM_400000_NS6detail17trampoline_kernelINS0_13select_configILj256ELj13ELNS0_17block_load_methodE3ELS4_3ELS4_3ELNS0_20block_scan_algorithmE0ELj4294967295EEENS1_25partition_config_selectorILNS1_17partition_subalgoE4EjNS0_10empty_typeEbEEZZNS1_14partition_implILS8_4ELb0ES6_15HIP_vector_typeIjLj2EENS0_17counting_iteratorIjlEEPS9_SG_NS0_5tupleIJPjSI_NS0_16reverse_iteratorISI_EEEEENSH_IJSG_SG_SG_EEES9_SI_JZNS1_25segmented_radix_sort_implINS0_14default_configELb0EPKaPaPKlPlN2at6native12_GLOBAL__N_18offset_tEEE10hipError_tPvRmT1_PNSt15iterator_traitsIS12_E10value_typeET2_T3_PNS13_IS18_E10value_typeET4_jRbjT5_S1E_jjP12ihipStream_tbEUljE_ZNSN_ISO_Lb0ESQ_SR_ST_SU_SY_EESZ_S10_S11_S12_S16_S17_S18_S1B_S1C_jS1D_jS1E_S1E_jjS1G_bEUljE0_EEESZ_S10_S11_S18_S1C_S1E_T6_T7_T9_mT8_S1G_bDpT10_ENKUlT_T0_E_clISt17integral_constantIbLb1EES1T_IbLb0EEEEDaS1P_S1Q_EUlS1P_E_NS1_11comp_targetILNS1_3genE0ELNS1_11target_archE4294967295ELNS1_3gpuE0ELNS1_3repE0EEENS1_30default_config_static_selectorELNS0_4arch9wavefront6targetE0EEEvS12_,"axG",@progbits,_ZN7rocprim17ROCPRIM_400000_NS6detail17trampoline_kernelINS0_13select_configILj256ELj13ELNS0_17block_load_methodE3ELS4_3ELS4_3ELNS0_20block_scan_algorithmE0ELj4294967295EEENS1_25partition_config_selectorILNS1_17partition_subalgoE4EjNS0_10empty_typeEbEEZZNS1_14partition_implILS8_4ELb0ES6_15HIP_vector_typeIjLj2EENS0_17counting_iteratorIjlEEPS9_SG_NS0_5tupleIJPjSI_NS0_16reverse_iteratorISI_EEEEENSH_IJSG_SG_SG_EEES9_SI_JZNS1_25segmented_radix_sort_implINS0_14default_configELb0EPKaPaPKlPlN2at6native12_GLOBAL__N_18offset_tEEE10hipError_tPvRmT1_PNSt15iterator_traitsIS12_E10value_typeET2_T3_PNS13_IS18_E10value_typeET4_jRbjT5_S1E_jjP12ihipStream_tbEUljE_ZNSN_ISO_Lb0ESQ_SR_ST_SU_SY_EESZ_S10_S11_S12_S16_S17_S18_S1B_S1C_jS1D_jS1E_S1E_jjS1G_bEUljE0_EEESZ_S10_S11_S18_S1C_S1E_T6_T7_T9_mT8_S1G_bDpT10_ENKUlT_T0_E_clISt17integral_constantIbLb1EES1T_IbLb0EEEEDaS1P_S1Q_EUlS1P_E_NS1_11comp_targetILNS1_3genE0ELNS1_11target_archE4294967295ELNS1_3gpuE0ELNS1_3repE0EEENS1_30default_config_static_selectorELNS0_4arch9wavefront6targetE0EEEvS12_,comdat
.Lfunc_end342:
	.size	_ZN7rocprim17ROCPRIM_400000_NS6detail17trampoline_kernelINS0_13select_configILj256ELj13ELNS0_17block_load_methodE3ELS4_3ELS4_3ELNS0_20block_scan_algorithmE0ELj4294967295EEENS1_25partition_config_selectorILNS1_17partition_subalgoE4EjNS0_10empty_typeEbEEZZNS1_14partition_implILS8_4ELb0ES6_15HIP_vector_typeIjLj2EENS0_17counting_iteratorIjlEEPS9_SG_NS0_5tupleIJPjSI_NS0_16reverse_iteratorISI_EEEEENSH_IJSG_SG_SG_EEES9_SI_JZNS1_25segmented_radix_sort_implINS0_14default_configELb0EPKaPaPKlPlN2at6native12_GLOBAL__N_18offset_tEEE10hipError_tPvRmT1_PNSt15iterator_traitsIS12_E10value_typeET2_T3_PNS13_IS18_E10value_typeET4_jRbjT5_S1E_jjP12ihipStream_tbEUljE_ZNSN_ISO_Lb0ESQ_SR_ST_SU_SY_EESZ_S10_S11_S12_S16_S17_S18_S1B_S1C_jS1D_jS1E_S1E_jjS1G_bEUljE0_EEESZ_S10_S11_S18_S1C_S1E_T6_T7_T9_mT8_S1G_bDpT10_ENKUlT_T0_E_clISt17integral_constantIbLb1EES1T_IbLb0EEEEDaS1P_S1Q_EUlS1P_E_NS1_11comp_targetILNS1_3genE0ELNS1_11target_archE4294967295ELNS1_3gpuE0ELNS1_3repE0EEENS1_30default_config_static_selectorELNS0_4arch9wavefront6targetE0EEEvS12_, .Lfunc_end342-_ZN7rocprim17ROCPRIM_400000_NS6detail17trampoline_kernelINS0_13select_configILj256ELj13ELNS0_17block_load_methodE3ELS4_3ELS4_3ELNS0_20block_scan_algorithmE0ELj4294967295EEENS1_25partition_config_selectorILNS1_17partition_subalgoE4EjNS0_10empty_typeEbEEZZNS1_14partition_implILS8_4ELb0ES6_15HIP_vector_typeIjLj2EENS0_17counting_iteratorIjlEEPS9_SG_NS0_5tupleIJPjSI_NS0_16reverse_iteratorISI_EEEEENSH_IJSG_SG_SG_EEES9_SI_JZNS1_25segmented_radix_sort_implINS0_14default_configELb0EPKaPaPKlPlN2at6native12_GLOBAL__N_18offset_tEEE10hipError_tPvRmT1_PNSt15iterator_traitsIS12_E10value_typeET2_T3_PNS13_IS18_E10value_typeET4_jRbjT5_S1E_jjP12ihipStream_tbEUljE_ZNSN_ISO_Lb0ESQ_SR_ST_SU_SY_EESZ_S10_S11_S12_S16_S17_S18_S1B_S1C_jS1D_jS1E_S1E_jjS1G_bEUljE0_EEESZ_S10_S11_S18_S1C_S1E_T6_T7_T9_mT8_S1G_bDpT10_ENKUlT_T0_E_clISt17integral_constantIbLb1EES1T_IbLb0EEEEDaS1P_S1Q_EUlS1P_E_NS1_11comp_targetILNS1_3genE0ELNS1_11target_archE4294967295ELNS1_3gpuE0ELNS1_3repE0EEENS1_30default_config_static_selectorELNS0_4arch9wavefront6targetE0EEEvS12_
                                        ; -- End function
	.set _ZN7rocprim17ROCPRIM_400000_NS6detail17trampoline_kernelINS0_13select_configILj256ELj13ELNS0_17block_load_methodE3ELS4_3ELS4_3ELNS0_20block_scan_algorithmE0ELj4294967295EEENS1_25partition_config_selectorILNS1_17partition_subalgoE4EjNS0_10empty_typeEbEEZZNS1_14partition_implILS8_4ELb0ES6_15HIP_vector_typeIjLj2EENS0_17counting_iteratorIjlEEPS9_SG_NS0_5tupleIJPjSI_NS0_16reverse_iteratorISI_EEEEENSH_IJSG_SG_SG_EEES9_SI_JZNS1_25segmented_radix_sort_implINS0_14default_configELb0EPKaPaPKlPlN2at6native12_GLOBAL__N_18offset_tEEE10hipError_tPvRmT1_PNSt15iterator_traitsIS12_E10value_typeET2_T3_PNS13_IS18_E10value_typeET4_jRbjT5_S1E_jjP12ihipStream_tbEUljE_ZNSN_ISO_Lb0ESQ_SR_ST_SU_SY_EESZ_S10_S11_S12_S16_S17_S18_S1B_S1C_jS1D_jS1E_S1E_jjS1G_bEUljE0_EEESZ_S10_S11_S18_S1C_S1E_T6_T7_T9_mT8_S1G_bDpT10_ENKUlT_T0_E_clISt17integral_constantIbLb1EES1T_IbLb0EEEEDaS1P_S1Q_EUlS1P_E_NS1_11comp_targetILNS1_3genE0ELNS1_11target_archE4294967295ELNS1_3gpuE0ELNS1_3repE0EEENS1_30default_config_static_selectorELNS0_4arch9wavefront6targetE0EEEvS12_.num_vgpr, 0
	.set _ZN7rocprim17ROCPRIM_400000_NS6detail17trampoline_kernelINS0_13select_configILj256ELj13ELNS0_17block_load_methodE3ELS4_3ELS4_3ELNS0_20block_scan_algorithmE0ELj4294967295EEENS1_25partition_config_selectorILNS1_17partition_subalgoE4EjNS0_10empty_typeEbEEZZNS1_14partition_implILS8_4ELb0ES6_15HIP_vector_typeIjLj2EENS0_17counting_iteratorIjlEEPS9_SG_NS0_5tupleIJPjSI_NS0_16reverse_iteratorISI_EEEEENSH_IJSG_SG_SG_EEES9_SI_JZNS1_25segmented_radix_sort_implINS0_14default_configELb0EPKaPaPKlPlN2at6native12_GLOBAL__N_18offset_tEEE10hipError_tPvRmT1_PNSt15iterator_traitsIS12_E10value_typeET2_T3_PNS13_IS18_E10value_typeET4_jRbjT5_S1E_jjP12ihipStream_tbEUljE_ZNSN_ISO_Lb0ESQ_SR_ST_SU_SY_EESZ_S10_S11_S12_S16_S17_S18_S1B_S1C_jS1D_jS1E_S1E_jjS1G_bEUljE0_EEESZ_S10_S11_S18_S1C_S1E_T6_T7_T9_mT8_S1G_bDpT10_ENKUlT_T0_E_clISt17integral_constantIbLb1EES1T_IbLb0EEEEDaS1P_S1Q_EUlS1P_E_NS1_11comp_targetILNS1_3genE0ELNS1_11target_archE4294967295ELNS1_3gpuE0ELNS1_3repE0EEENS1_30default_config_static_selectorELNS0_4arch9wavefront6targetE0EEEvS12_.num_agpr, 0
	.set _ZN7rocprim17ROCPRIM_400000_NS6detail17trampoline_kernelINS0_13select_configILj256ELj13ELNS0_17block_load_methodE3ELS4_3ELS4_3ELNS0_20block_scan_algorithmE0ELj4294967295EEENS1_25partition_config_selectorILNS1_17partition_subalgoE4EjNS0_10empty_typeEbEEZZNS1_14partition_implILS8_4ELb0ES6_15HIP_vector_typeIjLj2EENS0_17counting_iteratorIjlEEPS9_SG_NS0_5tupleIJPjSI_NS0_16reverse_iteratorISI_EEEEENSH_IJSG_SG_SG_EEES9_SI_JZNS1_25segmented_radix_sort_implINS0_14default_configELb0EPKaPaPKlPlN2at6native12_GLOBAL__N_18offset_tEEE10hipError_tPvRmT1_PNSt15iterator_traitsIS12_E10value_typeET2_T3_PNS13_IS18_E10value_typeET4_jRbjT5_S1E_jjP12ihipStream_tbEUljE_ZNSN_ISO_Lb0ESQ_SR_ST_SU_SY_EESZ_S10_S11_S12_S16_S17_S18_S1B_S1C_jS1D_jS1E_S1E_jjS1G_bEUljE0_EEESZ_S10_S11_S18_S1C_S1E_T6_T7_T9_mT8_S1G_bDpT10_ENKUlT_T0_E_clISt17integral_constantIbLb1EES1T_IbLb0EEEEDaS1P_S1Q_EUlS1P_E_NS1_11comp_targetILNS1_3genE0ELNS1_11target_archE4294967295ELNS1_3gpuE0ELNS1_3repE0EEENS1_30default_config_static_selectorELNS0_4arch9wavefront6targetE0EEEvS12_.numbered_sgpr, 0
	.set _ZN7rocprim17ROCPRIM_400000_NS6detail17trampoline_kernelINS0_13select_configILj256ELj13ELNS0_17block_load_methodE3ELS4_3ELS4_3ELNS0_20block_scan_algorithmE0ELj4294967295EEENS1_25partition_config_selectorILNS1_17partition_subalgoE4EjNS0_10empty_typeEbEEZZNS1_14partition_implILS8_4ELb0ES6_15HIP_vector_typeIjLj2EENS0_17counting_iteratorIjlEEPS9_SG_NS0_5tupleIJPjSI_NS0_16reverse_iteratorISI_EEEEENSH_IJSG_SG_SG_EEES9_SI_JZNS1_25segmented_radix_sort_implINS0_14default_configELb0EPKaPaPKlPlN2at6native12_GLOBAL__N_18offset_tEEE10hipError_tPvRmT1_PNSt15iterator_traitsIS12_E10value_typeET2_T3_PNS13_IS18_E10value_typeET4_jRbjT5_S1E_jjP12ihipStream_tbEUljE_ZNSN_ISO_Lb0ESQ_SR_ST_SU_SY_EESZ_S10_S11_S12_S16_S17_S18_S1B_S1C_jS1D_jS1E_S1E_jjS1G_bEUljE0_EEESZ_S10_S11_S18_S1C_S1E_T6_T7_T9_mT8_S1G_bDpT10_ENKUlT_T0_E_clISt17integral_constantIbLb1EES1T_IbLb0EEEEDaS1P_S1Q_EUlS1P_E_NS1_11comp_targetILNS1_3genE0ELNS1_11target_archE4294967295ELNS1_3gpuE0ELNS1_3repE0EEENS1_30default_config_static_selectorELNS0_4arch9wavefront6targetE0EEEvS12_.num_named_barrier, 0
	.set _ZN7rocprim17ROCPRIM_400000_NS6detail17trampoline_kernelINS0_13select_configILj256ELj13ELNS0_17block_load_methodE3ELS4_3ELS4_3ELNS0_20block_scan_algorithmE0ELj4294967295EEENS1_25partition_config_selectorILNS1_17partition_subalgoE4EjNS0_10empty_typeEbEEZZNS1_14partition_implILS8_4ELb0ES6_15HIP_vector_typeIjLj2EENS0_17counting_iteratorIjlEEPS9_SG_NS0_5tupleIJPjSI_NS0_16reverse_iteratorISI_EEEEENSH_IJSG_SG_SG_EEES9_SI_JZNS1_25segmented_radix_sort_implINS0_14default_configELb0EPKaPaPKlPlN2at6native12_GLOBAL__N_18offset_tEEE10hipError_tPvRmT1_PNSt15iterator_traitsIS12_E10value_typeET2_T3_PNS13_IS18_E10value_typeET4_jRbjT5_S1E_jjP12ihipStream_tbEUljE_ZNSN_ISO_Lb0ESQ_SR_ST_SU_SY_EESZ_S10_S11_S12_S16_S17_S18_S1B_S1C_jS1D_jS1E_S1E_jjS1G_bEUljE0_EEESZ_S10_S11_S18_S1C_S1E_T6_T7_T9_mT8_S1G_bDpT10_ENKUlT_T0_E_clISt17integral_constantIbLb1EES1T_IbLb0EEEEDaS1P_S1Q_EUlS1P_E_NS1_11comp_targetILNS1_3genE0ELNS1_11target_archE4294967295ELNS1_3gpuE0ELNS1_3repE0EEENS1_30default_config_static_selectorELNS0_4arch9wavefront6targetE0EEEvS12_.private_seg_size, 0
	.set _ZN7rocprim17ROCPRIM_400000_NS6detail17trampoline_kernelINS0_13select_configILj256ELj13ELNS0_17block_load_methodE3ELS4_3ELS4_3ELNS0_20block_scan_algorithmE0ELj4294967295EEENS1_25partition_config_selectorILNS1_17partition_subalgoE4EjNS0_10empty_typeEbEEZZNS1_14partition_implILS8_4ELb0ES6_15HIP_vector_typeIjLj2EENS0_17counting_iteratorIjlEEPS9_SG_NS0_5tupleIJPjSI_NS0_16reverse_iteratorISI_EEEEENSH_IJSG_SG_SG_EEES9_SI_JZNS1_25segmented_radix_sort_implINS0_14default_configELb0EPKaPaPKlPlN2at6native12_GLOBAL__N_18offset_tEEE10hipError_tPvRmT1_PNSt15iterator_traitsIS12_E10value_typeET2_T3_PNS13_IS18_E10value_typeET4_jRbjT5_S1E_jjP12ihipStream_tbEUljE_ZNSN_ISO_Lb0ESQ_SR_ST_SU_SY_EESZ_S10_S11_S12_S16_S17_S18_S1B_S1C_jS1D_jS1E_S1E_jjS1G_bEUljE0_EEESZ_S10_S11_S18_S1C_S1E_T6_T7_T9_mT8_S1G_bDpT10_ENKUlT_T0_E_clISt17integral_constantIbLb1EES1T_IbLb0EEEEDaS1P_S1Q_EUlS1P_E_NS1_11comp_targetILNS1_3genE0ELNS1_11target_archE4294967295ELNS1_3gpuE0ELNS1_3repE0EEENS1_30default_config_static_selectorELNS0_4arch9wavefront6targetE0EEEvS12_.uses_vcc, 0
	.set _ZN7rocprim17ROCPRIM_400000_NS6detail17trampoline_kernelINS0_13select_configILj256ELj13ELNS0_17block_load_methodE3ELS4_3ELS4_3ELNS0_20block_scan_algorithmE0ELj4294967295EEENS1_25partition_config_selectorILNS1_17partition_subalgoE4EjNS0_10empty_typeEbEEZZNS1_14partition_implILS8_4ELb0ES6_15HIP_vector_typeIjLj2EENS0_17counting_iteratorIjlEEPS9_SG_NS0_5tupleIJPjSI_NS0_16reverse_iteratorISI_EEEEENSH_IJSG_SG_SG_EEES9_SI_JZNS1_25segmented_radix_sort_implINS0_14default_configELb0EPKaPaPKlPlN2at6native12_GLOBAL__N_18offset_tEEE10hipError_tPvRmT1_PNSt15iterator_traitsIS12_E10value_typeET2_T3_PNS13_IS18_E10value_typeET4_jRbjT5_S1E_jjP12ihipStream_tbEUljE_ZNSN_ISO_Lb0ESQ_SR_ST_SU_SY_EESZ_S10_S11_S12_S16_S17_S18_S1B_S1C_jS1D_jS1E_S1E_jjS1G_bEUljE0_EEESZ_S10_S11_S18_S1C_S1E_T6_T7_T9_mT8_S1G_bDpT10_ENKUlT_T0_E_clISt17integral_constantIbLb1EES1T_IbLb0EEEEDaS1P_S1Q_EUlS1P_E_NS1_11comp_targetILNS1_3genE0ELNS1_11target_archE4294967295ELNS1_3gpuE0ELNS1_3repE0EEENS1_30default_config_static_selectorELNS0_4arch9wavefront6targetE0EEEvS12_.uses_flat_scratch, 0
	.set _ZN7rocprim17ROCPRIM_400000_NS6detail17trampoline_kernelINS0_13select_configILj256ELj13ELNS0_17block_load_methodE3ELS4_3ELS4_3ELNS0_20block_scan_algorithmE0ELj4294967295EEENS1_25partition_config_selectorILNS1_17partition_subalgoE4EjNS0_10empty_typeEbEEZZNS1_14partition_implILS8_4ELb0ES6_15HIP_vector_typeIjLj2EENS0_17counting_iteratorIjlEEPS9_SG_NS0_5tupleIJPjSI_NS0_16reverse_iteratorISI_EEEEENSH_IJSG_SG_SG_EEES9_SI_JZNS1_25segmented_radix_sort_implINS0_14default_configELb0EPKaPaPKlPlN2at6native12_GLOBAL__N_18offset_tEEE10hipError_tPvRmT1_PNSt15iterator_traitsIS12_E10value_typeET2_T3_PNS13_IS18_E10value_typeET4_jRbjT5_S1E_jjP12ihipStream_tbEUljE_ZNSN_ISO_Lb0ESQ_SR_ST_SU_SY_EESZ_S10_S11_S12_S16_S17_S18_S1B_S1C_jS1D_jS1E_S1E_jjS1G_bEUljE0_EEESZ_S10_S11_S18_S1C_S1E_T6_T7_T9_mT8_S1G_bDpT10_ENKUlT_T0_E_clISt17integral_constantIbLb1EES1T_IbLb0EEEEDaS1P_S1Q_EUlS1P_E_NS1_11comp_targetILNS1_3genE0ELNS1_11target_archE4294967295ELNS1_3gpuE0ELNS1_3repE0EEENS1_30default_config_static_selectorELNS0_4arch9wavefront6targetE0EEEvS12_.has_dyn_sized_stack, 0
	.set _ZN7rocprim17ROCPRIM_400000_NS6detail17trampoline_kernelINS0_13select_configILj256ELj13ELNS0_17block_load_methodE3ELS4_3ELS4_3ELNS0_20block_scan_algorithmE0ELj4294967295EEENS1_25partition_config_selectorILNS1_17partition_subalgoE4EjNS0_10empty_typeEbEEZZNS1_14partition_implILS8_4ELb0ES6_15HIP_vector_typeIjLj2EENS0_17counting_iteratorIjlEEPS9_SG_NS0_5tupleIJPjSI_NS0_16reverse_iteratorISI_EEEEENSH_IJSG_SG_SG_EEES9_SI_JZNS1_25segmented_radix_sort_implINS0_14default_configELb0EPKaPaPKlPlN2at6native12_GLOBAL__N_18offset_tEEE10hipError_tPvRmT1_PNSt15iterator_traitsIS12_E10value_typeET2_T3_PNS13_IS18_E10value_typeET4_jRbjT5_S1E_jjP12ihipStream_tbEUljE_ZNSN_ISO_Lb0ESQ_SR_ST_SU_SY_EESZ_S10_S11_S12_S16_S17_S18_S1B_S1C_jS1D_jS1E_S1E_jjS1G_bEUljE0_EEESZ_S10_S11_S18_S1C_S1E_T6_T7_T9_mT8_S1G_bDpT10_ENKUlT_T0_E_clISt17integral_constantIbLb1EES1T_IbLb0EEEEDaS1P_S1Q_EUlS1P_E_NS1_11comp_targetILNS1_3genE0ELNS1_11target_archE4294967295ELNS1_3gpuE0ELNS1_3repE0EEENS1_30default_config_static_selectorELNS0_4arch9wavefront6targetE0EEEvS12_.has_recursion, 0
	.set _ZN7rocprim17ROCPRIM_400000_NS6detail17trampoline_kernelINS0_13select_configILj256ELj13ELNS0_17block_load_methodE3ELS4_3ELS4_3ELNS0_20block_scan_algorithmE0ELj4294967295EEENS1_25partition_config_selectorILNS1_17partition_subalgoE4EjNS0_10empty_typeEbEEZZNS1_14partition_implILS8_4ELb0ES6_15HIP_vector_typeIjLj2EENS0_17counting_iteratorIjlEEPS9_SG_NS0_5tupleIJPjSI_NS0_16reverse_iteratorISI_EEEEENSH_IJSG_SG_SG_EEES9_SI_JZNS1_25segmented_radix_sort_implINS0_14default_configELb0EPKaPaPKlPlN2at6native12_GLOBAL__N_18offset_tEEE10hipError_tPvRmT1_PNSt15iterator_traitsIS12_E10value_typeET2_T3_PNS13_IS18_E10value_typeET4_jRbjT5_S1E_jjP12ihipStream_tbEUljE_ZNSN_ISO_Lb0ESQ_SR_ST_SU_SY_EESZ_S10_S11_S12_S16_S17_S18_S1B_S1C_jS1D_jS1E_S1E_jjS1G_bEUljE0_EEESZ_S10_S11_S18_S1C_S1E_T6_T7_T9_mT8_S1G_bDpT10_ENKUlT_T0_E_clISt17integral_constantIbLb1EES1T_IbLb0EEEEDaS1P_S1Q_EUlS1P_E_NS1_11comp_targetILNS1_3genE0ELNS1_11target_archE4294967295ELNS1_3gpuE0ELNS1_3repE0EEENS1_30default_config_static_selectorELNS0_4arch9wavefront6targetE0EEEvS12_.has_indirect_call, 0
	.section	.AMDGPU.csdata,"",@progbits
; Kernel info:
; codeLenInByte = 4
; TotalNumSgprs: 0
; NumVgprs: 0
; ScratchSize: 0
; MemoryBound: 0
; FloatMode: 240
; IeeeMode: 1
; LDSByteSize: 0 bytes/workgroup (compile time only)
; SGPRBlocks: 0
; VGPRBlocks: 0
; NumSGPRsForWavesPerEU: 1
; NumVGPRsForWavesPerEU: 1
; NamedBarCnt: 0
; Occupancy: 16
; WaveLimiterHint : 0
; COMPUTE_PGM_RSRC2:SCRATCH_EN: 0
; COMPUTE_PGM_RSRC2:USER_SGPR: 2
; COMPUTE_PGM_RSRC2:TRAP_HANDLER: 0
; COMPUTE_PGM_RSRC2:TGID_X_EN: 1
; COMPUTE_PGM_RSRC2:TGID_Y_EN: 0
; COMPUTE_PGM_RSRC2:TGID_Z_EN: 0
; COMPUTE_PGM_RSRC2:TIDIG_COMP_CNT: 0
	.section	.text._ZN7rocprim17ROCPRIM_400000_NS6detail17trampoline_kernelINS0_13select_configILj256ELj13ELNS0_17block_load_methodE3ELS4_3ELS4_3ELNS0_20block_scan_algorithmE0ELj4294967295EEENS1_25partition_config_selectorILNS1_17partition_subalgoE4EjNS0_10empty_typeEbEEZZNS1_14partition_implILS8_4ELb0ES6_15HIP_vector_typeIjLj2EENS0_17counting_iteratorIjlEEPS9_SG_NS0_5tupleIJPjSI_NS0_16reverse_iteratorISI_EEEEENSH_IJSG_SG_SG_EEES9_SI_JZNS1_25segmented_radix_sort_implINS0_14default_configELb0EPKaPaPKlPlN2at6native12_GLOBAL__N_18offset_tEEE10hipError_tPvRmT1_PNSt15iterator_traitsIS12_E10value_typeET2_T3_PNS13_IS18_E10value_typeET4_jRbjT5_S1E_jjP12ihipStream_tbEUljE_ZNSN_ISO_Lb0ESQ_SR_ST_SU_SY_EESZ_S10_S11_S12_S16_S17_S18_S1B_S1C_jS1D_jS1E_S1E_jjS1G_bEUljE0_EEESZ_S10_S11_S18_S1C_S1E_T6_T7_T9_mT8_S1G_bDpT10_ENKUlT_T0_E_clISt17integral_constantIbLb1EES1T_IbLb0EEEEDaS1P_S1Q_EUlS1P_E_NS1_11comp_targetILNS1_3genE5ELNS1_11target_archE942ELNS1_3gpuE9ELNS1_3repE0EEENS1_30default_config_static_selectorELNS0_4arch9wavefront6targetE0EEEvS12_,"axG",@progbits,_ZN7rocprim17ROCPRIM_400000_NS6detail17trampoline_kernelINS0_13select_configILj256ELj13ELNS0_17block_load_methodE3ELS4_3ELS4_3ELNS0_20block_scan_algorithmE0ELj4294967295EEENS1_25partition_config_selectorILNS1_17partition_subalgoE4EjNS0_10empty_typeEbEEZZNS1_14partition_implILS8_4ELb0ES6_15HIP_vector_typeIjLj2EENS0_17counting_iteratorIjlEEPS9_SG_NS0_5tupleIJPjSI_NS0_16reverse_iteratorISI_EEEEENSH_IJSG_SG_SG_EEES9_SI_JZNS1_25segmented_radix_sort_implINS0_14default_configELb0EPKaPaPKlPlN2at6native12_GLOBAL__N_18offset_tEEE10hipError_tPvRmT1_PNSt15iterator_traitsIS12_E10value_typeET2_T3_PNS13_IS18_E10value_typeET4_jRbjT5_S1E_jjP12ihipStream_tbEUljE_ZNSN_ISO_Lb0ESQ_SR_ST_SU_SY_EESZ_S10_S11_S12_S16_S17_S18_S1B_S1C_jS1D_jS1E_S1E_jjS1G_bEUljE0_EEESZ_S10_S11_S18_S1C_S1E_T6_T7_T9_mT8_S1G_bDpT10_ENKUlT_T0_E_clISt17integral_constantIbLb1EES1T_IbLb0EEEEDaS1P_S1Q_EUlS1P_E_NS1_11comp_targetILNS1_3genE5ELNS1_11target_archE942ELNS1_3gpuE9ELNS1_3repE0EEENS1_30default_config_static_selectorELNS0_4arch9wavefront6targetE0EEEvS12_,comdat
	.globl	_ZN7rocprim17ROCPRIM_400000_NS6detail17trampoline_kernelINS0_13select_configILj256ELj13ELNS0_17block_load_methodE3ELS4_3ELS4_3ELNS0_20block_scan_algorithmE0ELj4294967295EEENS1_25partition_config_selectorILNS1_17partition_subalgoE4EjNS0_10empty_typeEbEEZZNS1_14partition_implILS8_4ELb0ES6_15HIP_vector_typeIjLj2EENS0_17counting_iteratorIjlEEPS9_SG_NS0_5tupleIJPjSI_NS0_16reverse_iteratorISI_EEEEENSH_IJSG_SG_SG_EEES9_SI_JZNS1_25segmented_radix_sort_implINS0_14default_configELb0EPKaPaPKlPlN2at6native12_GLOBAL__N_18offset_tEEE10hipError_tPvRmT1_PNSt15iterator_traitsIS12_E10value_typeET2_T3_PNS13_IS18_E10value_typeET4_jRbjT5_S1E_jjP12ihipStream_tbEUljE_ZNSN_ISO_Lb0ESQ_SR_ST_SU_SY_EESZ_S10_S11_S12_S16_S17_S18_S1B_S1C_jS1D_jS1E_S1E_jjS1G_bEUljE0_EEESZ_S10_S11_S18_S1C_S1E_T6_T7_T9_mT8_S1G_bDpT10_ENKUlT_T0_E_clISt17integral_constantIbLb1EES1T_IbLb0EEEEDaS1P_S1Q_EUlS1P_E_NS1_11comp_targetILNS1_3genE5ELNS1_11target_archE942ELNS1_3gpuE9ELNS1_3repE0EEENS1_30default_config_static_selectorELNS0_4arch9wavefront6targetE0EEEvS12_ ; -- Begin function _ZN7rocprim17ROCPRIM_400000_NS6detail17trampoline_kernelINS0_13select_configILj256ELj13ELNS0_17block_load_methodE3ELS4_3ELS4_3ELNS0_20block_scan_algorithmE0ELj4294967295EEENS1_25partition_config_selectorILNS1_17partition_subalgoE4EjNS0_10empty_typeEbEEZZNS1_14partition_implILS8_4ELb0ES6_15HIP_vector_typeIjLj2EENS0_17counting_iteratorIjlEEPS9_SG_NS0_5tupleIJPjSI_NS0_16reverse_iteratorISI_EEEEENSH_IJSG_SG_SG_EEES9_SI_JZNS1_25segmented_radix_sort_implINS0_14default_configELb0EPKaPaPKlPlN2at6native12_GLOBAL__N_18offset_tEEE10hipError_tPvRmT1_PNSt15iterator_traitsIS12_E10value_typeET2_T3_PNS13_IS18_E10value_typeET4_jRbjT5_S1E_jjP12ihipStream_tbEUljE_ZNSN_ISO_Lb0ESQ_SR_ST_SU_SY_EESZ_S10_S11_S12_S16_S17_S18_S1B_S1C_jS1D_jS1E_S1E_jjS1G_bEUljE0_EEESZ_S10_S11_S18_S1C_S1E_T6_T7_T9_mT8_S1G_bDpT10_ENKUlT_T0_E_clISt17integral_constantIbLb1EES1T_IbLb0EEEEDaS1P_S1Q_EUlS1P_E_NS1_11comp_targetILNS1_3genE5ELNS1_11target_archE942ELNS1_3gpuE9ELNS1_3repE0EEENS1_30default_config_static_selectorELNS0_4arch9wavefront6targetE0EEEvS12_
	.p2align	8
	.type	_ZN7rocprim17ROCPRIM_400000_NS6detail17trampoline_kernelINS0_13select_configILj256ELj13ELNS0_17block_load_methodE3ELS4_3ELS4_3ELNS0_20block_scan_algorithmE0ELj4294967295EEENS1_25partition_config_selectorILNS1_17partition_subalgoE4EjNS0_10empty_typeEbEEZZNS1_14partition_implILS8_4ELb0ES6_15HIP_vector_typeIjLj2EENS0_17counting_iteratorIjlEEPS9_SG_NS0_5tupleIJPjSI_NS0_16reverse_iteratorISI_EEEEENSH_IJSG_SG_SG_EEES9_SI_JZNS1_25segmented_radix_sort_implINS0_14default_configELb0EPKaPaPKlPlN2at6native12_GLOBAL__N_18offset_tEEE10hipError_tPvRmT1_PNSt15iterator_traitsIS12_E10value_typeET2_T3_PNS13_IS18_E10value_typeET4_jRbjT5_S1E_jjP12ihipStream_tbEUljE_ZNSN_ISO_Lb0ESQ_SR_ST_SU_SY_EESZ_S10_S11_S12_S16_S17_S18_S1B_S1C_jS1D_jS1E_S1E_jjS1G_bEUljE0_EEESZ_S10_S11_S18_S1C_S1E_T6_T7_T9_mT8_S1G_bDpT10_ENKUlT_T0_E_clISt17integral_constantIbLb1EES1T_IbLb0EEEEDaS1P_S1Q_EUlS1P_E_NS1_11comp_targetILNS1_3genE5ELNS1_11target_archE942ELNS1_3gpuE9ELNS1_3repE0EEENS1_30default_config_static_selectorELNS0_4arch9wavefront6targetE0EEEvS12_,@function
_ZN7rocprim17ROCPRIM_400000_NS6detail17trampoline_kernelINS0_13select_configILj256ELj13ELNS0_17block_load_methodE3ELS4_3ELS4_3ELNS0_20block_scan_algorithmE0ELj4294967295EEENS1_25partition_config_selectorILNS1_17partition_subalgoE4EjNS0_10empty_typeEbEEZZNS1_14partition_implILS8_4ELb0ES6_15HIP_vector_typeIjLj2EENS0_17counting_iteratorIjlEEPS9_SG_NS0_5tupleIJPjSI_NS0_16reverse_iteratorISI_EEEEENSH_IJSG_SG_SG_EEES9_SI_JZNS1_25segmented_radix_sort_implINS0_14default_configELb0EPKaPaPKlPlN2at6native12_GLOBAL__N_18offset_tEEE10hipError_tPvRmT1_PNSt15iterator_traitsIS12_E10value_typeET2_T3_PNS13_IS18_E10value_typeET4_jRbjT5_S1E_jjP12ihipStream_tbEUljE_ZNSN_ISO_Lb0ESQ_SR_ST_SU_SY_EESZ_S10_S11_S12_S16_S17_S18_S1B_S1C_jS1D_jS1E_S1E_jjS1G_bEUljE0_EEESZ_S10_S11_S18_S1C_S1E_T6_T7_T9_mT8_S1G_bDpT10_ENKUlT_T0_E_clISt17integral_constantIbLb1EES1T_IbLb0EEEEDaS1P_S1Q_EUlS1P_E_NS1_11comp_targetILNS1_3genE5ELNS1_11target_archE942ELNS1_3gpuE9ELNS1_3repE0EEENS1_30default_config_static_selectorELNS0_4arch9wavefront6targetE0EEEvS12_: ; @_ZN7rocprim17ROCPRIM_400000_NS6detail17trampoline_kernelINS0_13select_configILj256ELj13ELNS0_17block_load_methodE3ELS4_3ELS4_3ELNS0_20block_scan_algorithmE0ELj4294967295EEENS1_25partition_config_selectorILNS1_17partition_subalgoE4EjNS0_10empty_typeEbEEZZNS1_14partition_implILS8_4ELb0ES6_15HIP_vector_typeIjLj2EENS0_17counting_iteratorIjlEEPS9_SG_NS0_5tupleIJPjSI_NS0_16reverse_iteratorISI_EEEEENSH_IJSG_SG_SG_EEES9_SI_JZNS1_25segmented_radix_sort_implINS0_14default_configELb0EPKaPaPKlPlN2at6native12_GLOBAL__N_18offset_tEEE10hipError_tPvRmT1_PNSt15iterator_traitsIS12_E10value_typeET2_T3_PNS13_IS18_E10value_typeET4_jRbjT5_S1E_jjP12ihipStream_tbEUljE_ZNSN_ISO_Lb0ESQ_SR_ST_SU_SY_EESZ_S10_S11_S12_S16_S17_S18_S1B_S1C_jS1D_jS1E_S1E_jjS1G_bEUljE0_EEESZ_S10_S11_S18_S1C_S1E_T6_T7_T9_mT8_S1G_bDpT10_ENKUlT_T0_E_clISt17integral_constantIbLb1EES1T_IbLb0EEEEDaS1P_S1Q_EUlS1P_E_NS1_11comp_targetILNS1_3genE5ELNS1_11target_archE942ELNS1_3gpuE9ELNS1_3repE0EEENS1_30default_config_static_selectorELNS0_4arch9wavefront6targetE0EEEvS12_
; %bb.0:
	.section	.rodata,"a",@progbits
	.p2align	6, 0x0
	.amdhsa_kernel _ZN7rocprim17ROCPRIM_400000_NS6detail17trampoline_kernelINS0_13select_configILj256ELj13ELNS0_17block_load_methodE3ELS4_3ELS4_3ELNS0_20block_scan_algorithmE0ELj4294967295EEENS1_25partition_config_selectorILNS1_17partition_subalgoE4EjNS0_10empty_typeEbEEZZNS1_14partition_implILS8_4ELb0ES6_15HIP_vector_typeIjLj2EENS0_17counting_iteratorIjlEEPS9_SG_NS0_5tupleIJPjSI_NS0_16reverse_iteratorISI_EEEEENSH_IJSG_SG_SG_EEES9_SI_JZNS1_25segmented_radix_sort_implINS0_14default_configELb0EPKaPaPKlPlN2at6native12_GLOBAL__N_18offset_tEEE10hipError_tPvRmT1_PNSt15iterator_traitsIS12_E10value_typeET2_T3_PNS13_IS18_E10value_typeET4_jRbjT5_S1E_jjP12ihipStream_tbEUljE_ZNSN_ISO_Lb0ESQ_SR_ST_SU_SY_EESZ_S10_S11_S12_S16_S17_S18_S1B_S1C_jS1D_jS1E_S1E_jjS1G_bEUljE0_EEESZ_S10_S11_S18_S1C_S1E_T6_T7_T9_mT8_S1G_bDpT10_ENKUlT_T0_E_clISt17integral_constantIbLb1EES1T_IbLb0EEEEDaS1P_S1Q_EUlS1P_E_NS1_11comp_targetILNS1_3genE5ELNS1_11target_archE942ELNS1_3gpuE9ELNS1_3repE0EEENS1_30default_config_static_selectorELNS0_4arch9wavefront6targetE0EEEvS12_
		.amdhsa_group_segment_fixed_size 0
		.amdhsa_private_segment_fixed_size 0
		.amdhsa_kernarg_size 176
		.amdhsa_user_sgpr_count 2
		.amdhsa_user_sgpr_dispatch_ptr 0
		.amdhsa_user_sgpr_queue_ptr 0
		.amdhsa_user_sgpr_kernarg_segment_ptr 1
		.amdhsa_user_sgpr_dispatch_id 0
		.amdhsa_user_sgpr_kernarg_preload_length 0
		.amdhsa_user_sgpr_kernarg_preload_offset 0
		.amdhsa_user_sgpr_private_segment_size 0
		.amdhsa_wavefront_size32 1
		.amdhsa_uses_dynamic_stack 0
		.amdhsa_enable_private_segment 0
		.amdhsa_system_sgpr_workgroup_id_x 1
		.amdhsa_system_sgpr_workgroup_id_y 0
		.amdhsa_system_sgpr_workgroup_id_z 0
		.amdhsa_system_sgpr_workgroup_info 0
		.amdhsa_system_vgpr_workitem_id 0
		.amdhsa_next_free_vgpr 1
		.amdhsa_next_free_sgpr 1
		.amdhsa_named_barrier_count 0
		.amdhsa_reserve_vcc 0
		.amdhsa_float_round_mode_32 0
		.amdhsa_float_round_mode_16_64 0
		.amdhsa_float_denorm_mode_32 3
		.amdhsa_float_denorm_mode_16_64 3
		.amdhsa_fp16_overflow 0
		.amdhsa_memory_ordered 1
		.amdhsa_forward_progress 1
		.amdhsa_inst_pref_size 0
		.amdhsa_round_robin_scheduling 0
		.amdhsa_exception_fp_ieee_invalid_op 0
		.amdhsa_exception_fp_denorm_src 0
		.amdhsa_exception_fp_ieee_div_zero 0
		.amdhsa_exception_fp_ieee_overflow 0
		.amdhsa_exception_fp_ieee_underflow 0
		.amdhsa_exception_fp_ieee_inexact 0
		.amdhsa_exception_int_div_zero 0
	.end_amdhsa_kernel
	.section	.text._ZN7rocprim17ROCPRIM_400000_NS6detail17trampoline_kernelINS0_13select_configILj256ELj13ELNS0_17block_load_methodE3ELS4_3ELS4_3ELNS0_20block_scan_algorithmE0ELj4294967295EEENS1_25partition_config_selectorILNS1_17partition_subalgoE4EjNS0_10empty_typeEbEEZZNS1_14partition_implILS8_4ELb0ES6_15HIP_vector_typeIjLj2EENS0_17counting_iteratorIjlEEPS9_SG_NS0_5tupleIJPjSI_NS0_16reverse_iteratorISI_EEEEENSH_IJSG_SG_SG_EEES9_SI_JZNS1_25segmented_radix_sort_implINS0_14default_configELb0EPKaPaPKlPlN2at6native12_GLOBAL__N_18offset_tEEE10hipError_tPvRmT1_PNSt15iterator_traitsIS12_E10value_typeET2_T3_PNS13_IS18_E10value_typeET4_jRbjT5_S1E_jjP12ihipStream_tbEUljE_ZNSN_ISO_Lb0ESQ_SR_ST_SU_SY_EESZ_S10_S11_S12_S16_S17_S18_S1B_S1C_jS1D_jS1E_S1E_jjS1G_bEUljE0_EEESZ_S10_S11_S18_S1C_S1E_T6_T7_T9_mT8_S1G_bDpT10_ENKUlT_T0_E_clISt17integral_constantIbLb1EES1T_IbLb0EEEEDaS1P_S1Q_EUlS1P_E_NS1_11comp_targetILNS1_3genE5ELNS1_11target_archE942ELNS1_3gpuE9ELNS1_3repE0EEENS1_30default_config_static_selectorELNS0_4arch9wavefront6targetE0EEEvS12_,"axG",@progbits,_ZN7rocprim17ROCPRIM_400000_NS6detail17trampoline_kernelINS0_13select_configILj256ELj13ELNS0_17block_load_methodE3ELS4_3ELS4_3ELNS0_20block_scan_algorithmE0ELj4294967295EEENS1_25partition_config_selectorILNS1_17partition_subalgoE4EjNS0_10empty_typeEbEEZZNS1_14partition_implILS8_4ELb0ES6_15HIP_vector_typeIjLj2EENS0_17counting_iteratorIjlEEPS9_SG_NS0_5tupleIJPjSI_NS0_16reverse_iteratorISI_EEEEENSH_IJSG_SG_SG_EEES9_SI_JZNS1_25segmented_radix_sort_implINS0_14default_configELb0EPKaPaPKlPlN2at6native12_GLOBAL__N_18offset_tEEE10hipError_tPvRmT1_PNSt15iterator_traitsIS12_E10value_typeET2_T3_PNS13_IS18_E10value_typeET4_jRbjT5_S1E_jjP12ihipStream_tbEUljE_ZNSN_ISO_Lb0ESQ_SR_ST_SU_SY_EESZ_S10_S11_S12_S16_S17_S18_S1B_S1C_jS1D_jS1E_S1E_jjS1G_bEUljE0_EEESZ_S10_S11_S18_S1C_S1E_T6_T7_T9_mT8_S1G_bDpT10_ENKUlT_T0_E_clISt17integral_constantIbLb1EES1T_IbLb0EEEEDaS1P_S1Q_EUlS1P_E_NS1_11comp_targetILNS1_3genE5ELNS1_11target_archE942ELNS1_3gpuE9ELNS1_3repE0EEENS1_30default_config_static_selectorELNS0_4arch9wavefront6targetE0EEEvS12_,comdat
.Lfunc_end343:
	.size	_ZN7rocprim17ROCPRIM_400000_NS6detail17trampoline_kernelINS0_13select_configILj256ELj13ELNS0_17block_load_methodE3ELS4_3ELS4_3ELNS0_20block_scan_algorithmE0ELj4294967295EEENS1_25partition_config_selectorILNS1_17partition_subalgoE4EjNS0_10empty_typeEbEEZZNS1_14partition_implILS8_4ELb0ES6_15HIP_vector_typeIjLj2EENS0_17counting_iteratorIjlEEPS9_SG_NS0_5tupleIJPjSI_NS0_16reverse_iteratorISI_EEEEENSH_IJSG_SG_SG_EEES9_SI_JZNS1_25segmented_radix_sort_implINS0_14default_configELb0EPKaPaPKlPlN2at6native12_GLOBAL__N_18offset_tEEE10hipError_tPvRmT1_PNSt15iterator_traitsIS12_E10value_typeET2_T3_PNS13_IS18_E10value_typeET4_jRbjT5_S1E_jjP12ihipStream_tbEUljE_ZNSN_ISO_Lb0ESQ_SR_ST_SU_SY_EESZ_S10_S11_S12_S16_S17_S18_S1B_S1C_jS1D_jS1E_S1E_jjS1G_bEUljE0_EEESZ_S10_S11_S18_S1C_S1E_T6_T7_T9_mT8_S1G_bDpT10_ENKUlT_T0_E_clISt17integral_constantIbLb1EES1T_IbLb0EEEEDaS1P_S1Q_EUlS1P_E_NS1_11comp_targetILNS1_3genE5ELNS1_11target_archE942ELNS1_3gpuE9ELNS1_3repE0EEENS1_30default_config_static_selectorELNS0_4arch9wavefront6targetE0EEEvS12_, .Lfunc_end343-_ZN7rocprim17ROCPRIM_400000_NS6detail17trampoline_kernelINS0_13select_configILj256ELj13ELNS0_17block_load_methodE3ELS4_3ELS4_3ELNS0_20block_scan_algorithmE0ELj4294967295EEENS1_25partition_config_selectorILNS1_17partition_subalgoE4EjNS0_10empty_typeEbEEZZNS1_14partition_implILS8_4ELb0ES6_15HIP_vector_typeIjLj2EENS0_17counting_iteratorIjlEEPS9_SG_NS0_5tupleIJPjSI_NS0_16reverse_iteratorISI_EEEEENSH_IJSG_SG_SG_EEES9_SI_JZNS1_25segmented_radix_sort_implINS0_14default_configELb0EPKaPaPKlPlN2at6native12_GLOBAL__N_18offset_tEEE10hipError_tPvRmT1_PNSt15iterator_traitsIS12_E10value_typeET2_T3_PNS13_IS18_E10value_typeET4_jRbjT5_S1E_jjP12ihipStream_tbEUljE_ZNSN_ISO_Lb0ESQ_SR_ST_SU_SY_EESZ_S10_S11_S12_S16_S17_S18_S1B_S1C_jS1D_jS1E_S1E_jjS1G_bEUljE0_EEESZ_S10_S11_S18_S1C_S1E_T6_T7_T9_mT8_S1G_bDpT10_ENKUlT_T0_E_clISt17integral_constantIbLb1EES1T_IbLb0EEEEDaS1P_S1Q_EUlS1P_E_NS1_11comp_targetILNS1_3genE5ELNS1_11target_archE942ELNS1_3gpuE9ELNS1_3repE0EEENS1_30default_config_static_selectorELNS0_4arch9wavefront6targetE0EEEvS12_
                                        ; -- End function
	.set _ZN7rocprim17ROCPRIM_400000_NS6detail17trampoline_kernelINS0_13select_configILj256ELj13ELNS0_17block_load_methodE3ELS4_3ELS4_3ELNS0_20block_scan_algorithmE0ELj4294967295EEENS1_25partition_config_selectorILNS1_17partition_subalgoE4EjNS0_10empty_typeEbEEZZNS1_14partition_implILS8_4ELb0ES6_15HIP_vector_typeIjLj2EENS0_17counting_iteratorIjlEEPS9_SG_NS0_5tupleIJPjSI_NS0_16reverse_iteratorISI_EEEEENSH_IJSG_SG_SG_EEES9_SI_JZNS1_25segmented_radix_sort_implINS0_14default_configELb0EPKaPaPKlPlN2at6native12_GLOBAL__N_18offset_tEEE10hipError_tPvRmT1_PNSt15iterator_traitsIS12_E10value_typeET2_T3_PNS13_IS18_E10value_typeET4_jRbjT5_S1E_jjP12ihipStream_tbEUljE_ZNSN_ISO_Lb0ESQ_SR_ST_SU_SY_EESZ_S10_S11_S12_S16_S17_S18_S1B_S1C_jS1D_jS1E_S1E_jjS1G_bEUljE0_EEESZ_S10_S11_S18_S1C_S1E_T6_T7_T9_mT8_S1G_bDpT10_ENKUlT_T0_E_clISt17integral_constantIbLb1EES1T_IbLb0EEEEDaS1P_S1Q_EUlS1P_E_NS1_11comp_targetILNS1_3genE5ELNS1_11target_archE942ELNS1_3gpuE9ELNS1_3repE0EEENS1_30default_config_static_selectorELNS0_4arch9wavefront6targetE0EEEvS12_.num_vgpr, 0
	.set _ZN7rocprim17ROCPRIM_400000_NS6detail17trampoline_kernelINS0_13select_configILj256ELj13ELNS0_17block_load_methodE3ELS4_3ELS4_3ELNS0_20block_scan_algorithmE0ELj4294967295EEENS1_25partition_config_selectorILNS1_17partition_subalgoE4EjNS0_10empty_typeEbEEZZNS1_14partition_implILS8_4ELb0ES6_15HIP_vector_typeIjLj2EENS0_17counting_iteratorIjlEEPS9_SG_NS0_5tupleIJPjSI_NS0_16reverse_iteratorISI_EEEEENSH_IJSG_SG_SG_EEES9_SI_JZNS1_25segmented_radix_sort_implINS0_14default_configELb0EPKaPaPKlPlN2at6native12_GLOBAL__N_18offset_tEEE10hipError_tPvRmT1_PNSt15iterator_traitsIS12_E10value_typeET2_T3_PNS13_IS18_E10value_typeET4_jRbjT5_S1E_jjP12ihipStream_tbEUljE_ZNSN_ISO_Lb0ESQ_SR_ST_SU_SY_EESZ_S10_S11_S12_S16_S17_S18_S1B_S1C_jS1D_jS1E_S1E_jjS1G_bEUljE0_EEESZ_S10_S11_S18_S1C_S1E_T6_T7_T9_mT8_S1G_bDpT10_ENKUlT_T0_E_clISt17integral_constantIbLb1EES1T_IbLb0EEEEDaS1P_S1Q_EUlS1P_E_NS1_11comp_targetILNS1_3genE5ELNS1_11target_archE942ELNS1_3gpuE9ELNS1_3repE0EEENS1_30default_config_static_selectorELNS0_4arch9wavefront6targetE0EEEvS12_.num_agpr, 0
	.set _ZN7rocprim17ROCPRIM_400000_NS6detail17trampoline_kernelINS0_13select_configILj256ELj13ELNS0_17block_load_methodE3ELS4_3ELS4_3ELNS0_20block_scan_algorithmE0ELj4294967295EEENS1_25partition_config_selectorILNS1_17partition_subalgoE4EjNS0_10empty_typeEbEEZZNS1_14partition_implILS8_4ELb0ES6_15HIP_vector_typeIjLj2EENS0_17counting_iteratorIjlEEPS9_SG_NS0_5tupleIJPjSI_NS0_16reverse_iteratorISI_EEEEENSH_IJSG_SG_SG_EEES9_SI_JZNS1_25segmented_radix_sort_implINS0_14default_configELb0EPKaPaPKlPlN2at6native12_GLOBAL__N_18offset_tEEE10hipError_tPvRmT1_PNSt15iterator_traitsIS12_E10value_typeET2_T3_PNS13_IS18_E10value_typeET4_jRbjT5_S1E_jjP12ihipStream_tbEUljE_ZNSN_ISO_Lb0ESQ_SR_ST_SU_SY_EESZ_S10_S11_S12_S16_S17_S18_S1B_S1C_jS1D_jS1E_S1E_jjS1G_bEUljE0_EEESZ_S10_S11_S18_S1C_S1E_T6_T7_T9_mT8_S1G_bDpT10_ENKUlT_T0_E_clISt17integral_constantIbLb1EES1T_IbLb0EEEEDaS1P_S1Q_EUlS1P_E_NS1_11comp_targetILNS1_3genE5ELNS1_11target_archE942ELNS1_3gpuE9ELNS1_3repE0EEENS1_30default_config_static_selectorELNS0_4arch9wavefront6targetE0EEEvS12_.numbered_sgpr, 0
	.set _ZN7rocprim17ROCPRIM_400000_NS6detail17trampoline_kernelINS0_13select_configILj256ELj13ELNS0_17block_load_methodE3ELS4_3ELS4_3ELNS0_20block_scan_algorithmE0ELj4294967295EEENS1_25partition_config_selectorILNS1_17partition_subalgoE4EjNS0_10empty_typeEbEEZZNS1_14partition_implILS8_4ELb0ES6_15HIP_vector_typeIjLj2EENS0_17counting_iteratorIjlEEPS9_SG_NS0_5tupleIJPjSI_NS0_16reverse_iteratorISI_EEEEENSH_IJSG_SG_SG_EEES9_SI_JZNS1_25segmented_radix_sort_implINS0_14default_configELb0EPKaPaPKlPlN2at6native12_GLOBAL__N_18offset_tEEE10hipError_tPvRmT1_PNSt15iterator_traitsIS12_E10value_typeET2_T3_PNS13_IS18_E10value_typeET4_jRbjT5_S1E_jjP12ihipStream_tbEUljE_ZNSN_ISO_Lb0ESQ_SR_ST_SU_SY_EESZ_S10_S11_S12_S16_S17_S18_S1B_S1C_jS1D_jS1E_S1E_jjS1G_bEUljE0_EEESZ_S10_S11_S18_S1C_S1E_T6_T7_T9_mT8_S1G_bDpT10_ENKUlT_T0_E_clISt17integral_constantIbLb1EES1T_IbLb0EEEEDaS1P_S1Q_EUlS1P_E_NS1_11comp_targetILNS1_3genE5ELNS1_11target_archE942ELNS1_3gpuE9ELNS1_3repE0EEENS1_30default_config_static_selectorELNS0_4arch9wavefront6targetE0EEEvS12_.num_named_barrier, 0
	.set _ZN7rocprim17ROCPRIM_400000_NS6detail17trampoline_kernelINS0_13select_configILj256ELj13ELNS0_17block_load_methodE3ELS4_3ELS4_3ELNS0_20block_scan_algorithmE0ELj4294967295EEENS1_25partition_config_selectorILNS1_17partition_subalgoE4EjNS0_10empty_typeEbEEZZNS1_14partition_implILS8_4ELb0ES6_15HIP_vector_typeIjLj2EENS0_17counting_iteratorIjlEEPS9_SG_NS0_5tupleIJPjSI_NS0_16reverse_iteratorISI_EEEEENSH_IJSG_SG_SG_EEES9_SI_JZNS1_25segmented_radix_sort_implINS0_14default_configELb0EPKaPaPKlPlN2at6native12_GLOBAL__N_18offset_tEEE10hipError_tPvRmT1_PNSt15iterator_traitsIS12_E10value_typeET2_T3_PNS13_IS18_E10value_typeET4_jRbjT5_S1E_jjP12ihipStream_tbEUljE_ZNSN_ISO_Lb0ESQ_SR_ST_SU_SY_EESZ_S10_S11_S12_S16_S17_S18_S1B_S1C_jS1D_jS1E_S1E_jjS1G_bEUljE0_EEESZ_S10_S11_S18_S1C_S1E_T6_T7_T9_mT8_S1G_bDpT10_ENKUlT_T0_E_clISt17integral_constantIbLb1EES1T_IbLb0EEEEDaS1P_S1Q_EUlS1P_E_NS1_11comp_targetILNS1_3genE5ELNS1_11target_archE942ELNS1_3gpuE9ELNS1_3repE0EEENS1_30default_config_static_selectorELNS0_4arch9wavefront6targetE0EEEvS12_.private_seg_size, 0
	.set _ZN7rocprim17ROCPRIM_400000_NS6detail17trampoline_kernelINS0_13select_configILj256ELj13ELNS0_17block_load_methodE3ELS4_3ELS4_3ELNS0_20block_scan_algorithmE0ELj4294967295EEENS1_25partition_config_selectorILNS1_17partition_subalgoE4EjNS0_10empty_typeEbEEZZNS1_14partition_implILS8_4ELb0ES6_15HIP_vector_typeIjLj2EENS0_17counting_iteratorIjlEEPS9_SG_NS0_5tupleIJPjSI_NS0_16reverse_iteratorISI_EEEEENSH_IJSG_SG_SG_EEES9_SI_JZNS1_25segmented_radix_sort_implINS0_14default_configELb0EPKaPaPKlPlN2at6native12_GLOBAL__N_18offset_tEEE10hipError_tPvRmT1_PNSt15iterator_traitsIS12_E10value_typeET2_T3_PNS13_IS18_E10value_typeET4_jRbjT5_S1E_jjP12ihipStream_tbEUljE_ZNSN_ISO_Lb0ESQ_SR_ST_SU_SY_EESZ_S10_S11_S12_S16_S17_S18_S1B_S1C_jS1D_jS1E_S1E_jjS1G_bEUljE0_EEESZ_S10_S11_S18_S1C_S1E_T6_T7_T9_mT8_S1G_bDpT10_ENKUlT_T0_E_clISt17integral_constantIbLb1EES1T_IbLb0EEEEDaS1P_S1Q_EUlS1P_E_NS1_11comp_targetILNS1_3genE5ELNS1_11target_archE942ELNS1_3gpuE9ELNS1_3repE0EEENS1_30default_config_static_selectorELNS0_4arch9wavefront6targetE0EEEvS12_.uses_vcc, 0
	.set _ZN7rocprim17ROCPRIM_400000_NS6detail17trampoline_kernelINS0_13select_configILj256ELj13ELNS0_17block_load_methodE3ELS4_3ELS4_3ELNS0_20block_scan_algorithmE0ELj4294967295EEENS1_25partition_config_selectorILNS1_17partition_subalgoE4EjNS0_10empty_typeEbEEZZNS1_14partition_implILS8_4ELb0ES6_15HIP_vector_typeIjLj2EENS0_17counting_iteratorIjlEEPS9_SG_NS0_5tupleIJPjSI_NS0_16reverse_iteratorISI_EEEEENSH_IJSG_SG_SG_EEES9_SI_JZNS1_25segmented_radix_sort_implINS0_14default_configELb0EPKaPaPKlPlN2at6native12_GLOBAL__N_18offset_tEEE10hipError_tPvRmT1_PNSt15iterator_traitsIS12_E10value_typeET2_T3_PNS13_IS18_E10value_typeET4_jRbjT5_S1E_jjP12ihipStream_tbEUljE_ZNSN_ISO_Lb0ESQ_SR_ST_SU_SY_EESZ_S10_S11_S12_S16_S17_S18_S1B_S1C_jS1D_jS1E_S1E_jjS1G_bEUljE0_EEESZ_S10_S11_S18_S1C_S1E_T6_T7_T9_mT8_S1G_bDpT10_ENKUlT_T0_E_clISt17integral_constantIbLb1EES1T_IbLb0EEEEDaS1P_S1Q_EUlS1P_E_NS1_11comp_targetILNS1_3genE5ELNS1_11target_archE942ELNS1_3gpuE9ELNS1_3repE0EEENS1_30default_config_static_selectorELNS0_4arch9wavefront6targetE0EEEvS12_.uses_flat_scratch, 0
	.set _ZN7rocprim17ROCPRIM_400000_NS6detail17trampoline_kernelINS0_13select_configILj256ELj13ELNS0_17block_load_methodE3ELS4_3ELS4_3ELNS0_20block_scan_algorithmE0ELj4294967295EEENS1_25partition_config_selectorILNS1_17partition_subalgoE4EjNS0_10empty_typeEbEEZZNS1_14partition_implILS8_4ELb0ES6_15HIP_vector_typeIjLj2EENS0_17counting_iteratorIjlEEPS9_SG_NS0_5tupleIJPjSI_NS0_16reverse_iteratorISI_EEEEENSH_IJSG_SG_SG_EEES9_SI_JZNS1_25segmented_radix_sort_implINS0_14default_configELb0EPKaPaPKlPlN2at6native12_GLOBAL__N_18offset_tEEE10hipError_tPvRmT1_PNSt15iterator_traitsIS12_E10value_typeET2_T3_PNS13_IS18_E10value_typeET4_jRbjT5_S1E_jjP12ihipStream_tbEUljE_ZNSN_ISO_Lb0ESQ_SR_ST_SU_SY_EESZ_S10_S11_S12_S16_S17_S18_S1B_S1C_jS1D_jS1E_S1E_jjS1G_bEUljE0_EEESZ_S10_S11_S18_S1C_S1E_T6_T7_T9_mT8_S1G_bDpT10_ENKUlT_T0_E_clISt17integral_constantIbLb1EES1T_IbLb0EEEEDaS1P_S1Q_EUlS1P_E_NS1_11comp_targetILNS1_3genE5ELNS1_11target_archE942ELNS1_3gpuE9ELNS1_3repE0EEENS1_30default_config_static_selectorELNS0_4arch9wavefront6targetE0EEEvS12_.has_dyn_sized_stack, 0
	.set _ZN7rocprim17ROCPRIM_400000_NS6detail17trampoline_kernelINS0_13select_configILj256ELj13ELNS0_17block_load_methodE3ELS4_3ELS4_3ELNS0_20block_scan_algorithmE0ELj4294967295EEENS1_25partition_config_selectorILNS1_17partition_subalgoE4EjNS0_10empty_typeEbEEZZNS1_14partition_implILS8_4ELb0ES6_15HIP_vector_typeIjLj2EENS0_17counting_iteratorIjlEEPS9_SG_NS0_5tupleIJPjSI_NS0_16reverse_iteratorISI_EEEEENSH_IJSG_SG_SG_EEES9_SI_JZNS1_25segmented_radix_sort_implINS0_14default_configELb0EPKaPaPKlPlN2at6native12_GLOBAL__N_18offset_tEEE10hipError_tPvRmT1_PNSt15iterator_traitsIS12_E10value_typeET2_T3_PNS13_IS18_E10value_typeET4_jRbjT5_S1E_jjP12ihipStream_tbEUljE_ZNSN_ISO_Lb0ESQ_SR_ST_SU_SY_EESZ_S10_S11_S12_S16_S17_S18_S1B_S1C_jS1D_jS1E_S1E_jjS1G_bEUljE0_EEESZ_S10_S11_S18_S1C_S1E_T6_T7_T9_mT8_S1G_bDpT10_ENKUlT_T0_E_clISt17integral_constantIbLb1EES1T_IbLb0EEEEDaS1P_S1Q_EUlS1P_E_NS1_11comp_targetILNS1_3genE5ELNS1_11target_archE942ELNS1_3gpuE9ELNS1_3repE0EEENS1_30default_config_static_selectorELNS0_4arch9wavefront6targetE0EEEvS12_.has_recursion, 0
	.set _ZN7rocprim17ROCPRIM_400000_NS6detail17trampoline_kernelINS0_13select_configILj256ELj13ELNS0_17block_load_methodE3ELS4_3ELS4_3ELNS0_20block_scan_algorithmE0ELj4294967295EEENS1_25partition_config_selectorILNS1_17partition_subalgoE4EjNS0_10empty_typeEbEEZZNS1_14partition_implILS8_4ELb0ES6_15HIP_vector_typeIjLj2EENS0_17counting_iteratorIjlEEPS9_SG_NS0_5tupleIJPjSI_NS0_16reverse_iteratorISI_EEEEENSH_IJSG_SG_SG_EEES9_SI_JZNS1_25segmented_radix_sort_implINS0_14default_configELb0EPKaPaPKlPlN2at6native12_GLOBAL__N_18offset_tEEE10hipError_tPvRmT1_PNSt15iterator_traitsIS12_E10value_typeET2_T3_PNS13_IS18_E10value_typeET4_jRbjT5_S1E_jjP12ihipStream_tbEUljE_ZNSN_ISO_Lb0ESQ_SR_ST_SU_SY_EESZ_S10_S11_S12_S16_S17_S18_S1B_S1C_jS1D_jS1E_S1E_jjS1G_bEUljE0_EEESZ_S10_S11_S18_S1C_S1E_T6_T7_T9_mT8_S1G_bDpT10_ENKUlT_T0_E_clISt17integral_constantIbLb1EES1T_IbLb0EEEEDaS1P_S1Q_EUlS1P_E_NS1_11comp_targetILNS1_3genE5ELNS1_11target_archE942ELNS1_3gpuE9ELNS1_3repE0EEENS1_30default_config_static_selectorELNS0_4arch9wavefront6targetE0EEEvS12_.has_indirect_call, 0
	.section	.AMDGPU.csdata,"",@progbits
; Kernel info:
; codeLenInByte = 0
; TotalNumSgprs: 0
; NumVgprs: 0
; ScratchSize: 0
; MemoryBound: 0
; FloatMode: 240
; IeeeMode: 1
; LDSByteSize: 0 bytes/workgroup (compile time only)
; SGPRBlocks: 0
; VGPRBlocks: 0
; NumSGPRsForWavesPerEU: 1
; NumVGPRsForWavesPerEU: 1
; NamedBarCnt: 0
; Occupancy: 16
; WaveLimiterHint : 0
; COMPUTE_PGM_RSRC2:SCRATCH_EN: 0
; COMPUTE_PGM_RSRC2:USER_SGPR: 2
; COMPUTE_PGM_RSRC2:TRAP_HANDLER: 0
; COMPUTE_PGM_RSRC2:TGID_X_EN: 1
; COMPUTE_PGM_RSRC2:TGID_Y_EN: 0
; COMPUTE_PGM_RSRC2:TGID_Z_EN: 0
; COMPUTE_PGM_RSRC2:TIDIG_COMP_CNT: 0
	.section	.text._ZN7rocprim17ROCPRIM_400000_NS6detail17trampoline_kernelINS0_13select_configILj256ELj13ELNS0_17block_load_methodE3ELS4_3ELS4_3ELNS0_20block_scan_algorithmE0ELj4294967295EEENS1_25partition_config_selectorILNS1_17partition_subalgoE4EjNS0_10empty_typeEbEEZZNS1_14partition_implILS8_4ELb0ES6_15HIP_vector_typeIjLj2EENS0_17counting_iteratorIjlEEPS9_SG_NS0_5tupleIJPjSI_NS0_16reverse_iteratorISI_EEEEENSH_IJSG_SG_SG_EEES9_SI_JZNS1_25segmented_radix_sort_implINS0_14default_configELb0EPKaPaPKlPlN2at6native12_GLOBAL__N_18offset_tEEE10hipError_tPvRmT1_PNSt15iterator_traitsIS12_E10value_typeET2_T3_PNS13_IS18_E10value_typeET4_jRbjT5_S1E_jjP12ihipStream_tbEUljE_ZNSN_ISO_Lb0ESQ_SR_ST_SU_SY_EESZ_S10_S11_S12_S16_S17_S18_S1B_S1C_jS1D_jS1E_S1E_jjS1G_bEUljE0_EEESZ_S10_S11_S18_S1C_S1E_T6_T7_T9_mT8_S1G_bDpT10_ENKUlT_T0_E_clISt17integral_constantIbLb1EES1T_IbLb0EEEEDaS1P_S1Q_EUlS1P_E_NS1_11comp_targetILNS1_3genE4ELNS1_11target_archE910ELNS1_3gpuE8ELNS1_3repE0EEENS1_30default_config_static_selectorELNS0_4arch9wavefront6targetE0EEEvS12_,"axG",@progbits,_ZN7rocprim17ROCPRIM_400000_NS6detail17trampoline_kernelINS0_13select_configILj256ELj13ELNS0_17block_load_methodE3ELS4_3ELS4_3ELNS0_20block_scan_algorithmE0ELj4294967295EEENS1_25partition_config_selectorILNS1_17partition_subalgoE4EjNS0_10empty_typeEbEEZZNS1_14partition_implILS8_4ELb0ES6_15HIP_vector_typeIjLj2EENS0_17counting_iteratorIjlEEPS9_SG_NS0_5tupleIJPjSI_NS0_16reverse_iteratorISI_EEEEENSH_IJSG_SG_SG_EEES9_SI_JZNS1_25segmented_radix_sort_implINS0_14default_configELb0EPKaPaPKlPlN2at6native12_GLOBAL__N_18offset_tEEE10hipError_tPvRmT1_PNSt15iterator_traitsIS12_E10value_typeET2_T3_PNS13_IS18_E10value_typeET4_jRbjT5_S1E_jjP12ihipStream_tbEUljE_ZNSN_ISO_Lb0ESQ_SR_ST_SU_SY_EESZ_S10_S11_S12_S16_S17_S18_S1B_S1C_jS1D_jS1E_S1E_jjS1G_bEUljE0_EEESZ_S10_S11_S18_S1C_S1E_T6_T7_T9_mT8_S1G_bDpT10_ENKUlT_T0_E_clISt17integral_constantIbLb1EES1T_IbLb0EEEEDaS1P_S1Q_EUlS1P_E_NS1_11comp_targetILNS1_3genE4ELNS1_11target_archE910ELNS1_3gpuE8ELNS1_3repE0EEENS1_30default_config_static_selectorELNS0_4arch9wavefront6targetE0EEEvS12_,comdat
	.globl	_ZN7rocprim17ROCPRIM_400000_NS6detail17trampoline_kernelINS0_13select_configILj256ELj13ELNS0_17block_load_methodE3ELS4_3ELS4_3ELNS0_20block_scan_algorithmE0ELj4294967295EEENS1_25partition_config_selectorILNS1_17partition_subalgoE4EjNS0_10empty_typeEbEEZZNS1_14partition_implILS8_4ELb0ES6_15HIP_vector_typeIjLj2EENS0_17counting_iteratorIjlEEPS9_SG_NS0_5tupleIJPjSI_NS0_16reverse_iteratorISI_EEEEENSH_IJSG_SG_SG_EEES9_SI_JZNS1_25segmented_radix_sort_implINS0_14default_configELb0EPKaPaPKlPlN2at6native12_GLOBAL__N_18offset_tEEE10hipError_tPvRmT1_PNSt15iterator_traitsIS12_E10value_typeET2_T3_PNS13_IS18_E10value_typeET4_jRbjT5_S1E_jjP12ihipStream_tbEUljE_ZNSN_ISO_Lb0ESQ_SR_ST_SU_SY_EESZ_S10_S11_S12_S16_S17_S18_S1B_S1C_jS1D_jS1E_S1E_jjS1G_bEUljE0_EEESZ_S10_S11_S18_S1C_S1E_T6_T7_T9_mT8_S1G_bDpT10_ENKUlT_T0_E_clISt17integral_constantIbLb1EES1T_IbLb0EEEEDaS1P_S1Q_EUlS1P_E_NS1_11comp_targetILNS1_3genE4ELNS1_11target_archE910ELNS1_3gpuE8ELNS1_3repE0EEENS1_30default_config_static_selectorELNS0_4arch9wavefront6targetE0EEEvS12_ ; -- Begin function _ZN7rocprim17ROCPRIM_400000_NS6detail17trampoline_kernelINS0_13select_configILj256ELj13ELNS0_17block_load_methodE3ELS4_3ELS4_3ELNS0_20block_scan_algorithmE0ELj4294967295EEENS1_25partition_config_selectorILNS1_17partition_subalgoE4EjNS0_10empty_typeEbEEZZNS1_14partition_implILS8_4ELb0ES6_15HIP_vector_typeIjLj2EENS0_17counting_iteratorIjlEEPS9_SG_NS0_5tupleIJPjSI_NS0_16reverse_iteratorISI_EEEEENSH_IJSG_SG_SG_EEES9_SI_JZNS1_25segmented_radix_sort_implINS0_14default_configELb0EPKaPaPKlPlN2at6native12_GLOBAL__N_18offset_tEEE10hipError_tPvRmT1_PNSt15iterator_traitsIS12_E10value_typeET2_T3_PNS13_IS18_E10value_typeET4_jRbjT5_S1E_jjP12ihipStream_tbEUljE_ZNSN_ISO_Lb0ESQ_SR_ST_SU_SY_EESZ_S10_S11_S12_S16_S17_S18_S1B_S1C_jS1D_jS1E_S1E_jjS1G_bEUljE0_EEESZ_S10_S11_S18_S1C_S1E_T6_T7_T9_mT8_S1G_bDpT10_ENKUlT_T0_E_clISt17integral_constantIbLb1EES1T_IbLb0EEEEDaS1P_S1Q_EUlS1P_E_NS1_11comp_targetILNS1_3genE4ELNS1_11target_archE910ELNS1_3gpuE8ELNS1_3repE0EEENS1_30default_config_static_selectorELNS0_4arch9wavefront6targetE0EEEvS12_
	.p2align	8
	.type	_ZN7rocprim17ROCPRIM_400000_NS6detail17trampoline_kernelINS0_13select_configILj256ELj13ELNS0_17block_load_methodE3ELS4_3ELS4_3ELNS0_20block_scan_algorithmE0ELj4294967295EEENS1_25partition_config_selectorILNS1_17partition_subalgoE4EjNS0_10empty_typeEbEEZZNS1_14partition_implILS8_4ELb0ES6_15HIP_vector_typeIjLj2EENS0_17counting_iteratorIjlEEPS9_SG_NS0_5tupleIJPjSI_NS0_16reverse_iteratorISI_EEEEENSH_IJSG_SG_SG_EEES9_SI_JZNS1_25segmented_radix_sort_implINS0_14default_configELb0EPKaPaPKlPlN2at6native12_GLOBAL__N_18offset_tEEE10hipError_tPvRmT1_PNSt15iterator_traitsIS12_E10value_typeET2_T3_PNS13_IS18_E10value_typeET4_jRbjT5_S1E_jjP12ihipStream_tbEUljE_ZNSN_ISO_Lb0ESQ_SR_ST_SU_SY_EESZ_S10_S11_S12_S16_S17_S18_S1B_S1C_jS1D_jS1E_S1E_jjS1G_bEUljE0_EEESZ_S10_S11_S18_S1C_S1E_T6_T7_T9_mT8_S1G_bDpT10_ENKUlT_T0_E_clISt17integral_constantIbLb1EES1T_IbLb0EEEEDaS1P_S1Q_EUlS1P_E_NS1_11comp_targetILNS1_3genE4ELNS1_11target_archE910ELNS1_3gpuE8ELNS1_3repE0EEENS1_30default_config_static_selectorELNS0_4arch9wavefront6targetE0EEEvS12_,@function
_ZN7rocprim17ROCPRIM_400000_NS6detail17trampoline_kernelINS0_13select_configILj256ELj13ELNS0_17block_load_methodE3ELS4_3ELS4_3ELNS0_20block_scan_algorithmE0ELj4294967295EEENS1_25partition_config_selectorILNS1_17partition_subalgoE4EjNS0_10empty_typeEbEEZZNS1_14partition_implILS8_4ELb0ES6_15HIP_vector_typeIjLj2EENS0_17counting_iteratorIjlEEPS9_SG_NS0_5tupleIJPjSI_NS0_16reverse_iteratorISI_EEEEENSH_IJSG_SG_SG_EEES9_SI_JZNS1_25segmented_radix_sort_implINS0_14default_configELb0EPKaPaPKlPlN2at6native12_GLOBAL__N_18offset_tEEE10hipError_tPvRmT1_PNSt15iterator_traitsIS12_E10value_typeET2_T3_PNS13_IS18_E10value_typeET4_jRbjT5_S1E_jjP12ihipStream_tbEUljE_ZNSN_ISO_Lb0ESQ_SR_ST_SU_SY_EESZ_S10_S11_S12_S16_S17_S18_S1B_S1C_jS1D_jS1E_S1E_jjS1G_bEUljE0_EEESZ_S10_S11_S18_S1C_S1E_T6_T7_T9_mT8_S1G_bDpT10_ENKUlT_T0_E_clISt17integral_constantIbLb1EES1T_IbLb0EEEEDaS1P_S1Q_EUlS1P_E_NS1_11comp_targetILNS1_3genE4ELNS1_11target_archE910ELNS1_3gpuE8ELNS1_3repE0EEENS1_30default_config_static_selectorELNS0_4arch9wavefront6targetE0EEEvS12_: ; @_ZN7rocprim17ROCPRIM_400000_NS6detail17trampoline_kernelINS0_13select_configILj256ELj13ELNS0_17block_load_methodE3ELS4_3ELS4_3ELNS0_20block_scan_algorithmE0ELj4294967295EEENS1_25partition_config_selectorILNS1_17partition_subalgoE4EjNS0_10empty_typeEbEEZZNS1_14partition_implILS8_4ELb0ES6_15HIP_vector_typeIjLj2EENS0_17counting_iteratorIjlEEPS9_SG_NS0_5tupleIJPjSI_NS0_16reverse_iteratorISI_EEEEENSH_IJSG_SG_SG_EEES9_SI_JZNS1_25segmented_radix_sort_implINS0_14default_configELb0EPKaPaPKlPlN2at6native12_GLOBAL__N_18offset_tEEE10hipError_tPvRmT1_PNSt15iterator_traitsIS12_E10value_typeET2_T3_PNS13_IS18_E10value_typeET4_jRbjT5_S1E_jjP12ihipStream_tbEUljE_ZNSN_ISO_Lb0ESQ_SR_ST_SU_SY_EESZ_S10_S11_S12_S16_S17_S18_S1B_S1C_jS1D_jS1E_S1E_jjS1G_bEUljE0_EEESZ_S10_S11_S18_S1C_S1E_T6_T7_T9_mT8_S1G_bDpT10_ENKUlT_T0_E_clISt17integral_constantIbLb1EES1T_IbLb0EEEEDaS1P_S1Q_EUlS1P_E_NS1_11comp_targetILNS1_3genE4ELNS1_11target_archE910ELNS1_3gpuE8ELNS1_3repE0EEENS1_30default_config_static_selectorELNS0_4arch9wavefront6targetE0EEEvS12_
; %bb.0:
	.section	.rodata,"a",@progbits
	.p2align	6, 0x0
	.amdhsa_kernel _ZN7rocprim17ROCPRIM_400000_NS6detail17trampoline_kernelINS0_13select_configILj256ELj13ELNS0_17block_load_methodE3ELS4_3ELS4_3ELNS0_20block_scan_algorithmE0ELj4294967295EEENS1_25partition_config_selectorILNS1_17partition_subalgoE4EjNS0_10empty_typeEbEEZZNS1_14partition_implILS8_4ELb0ES6_15HIP_vector_typeIjLj2EENS0_17counting_iteratorIjlEEPS9_SG_NS0_5tupleIJPjSI_NS0_16reverse_iteratorISI_EEEEENSH_IJSG_SG_SG_EEES9_SI_JZNS1_25segmented_radix_sort_implINS0_14default_configELb0EPKaPaPKlPlN2at6native12_GLOBAL__N_18offset_tEEE10hipError_tPvRmT1_PNSt15iterator_traitsIS12_E10value_typeET2_T3_PNS13_IS18_E10value_typeET4_jRbjT5_S1E_jjP12ihipStream_tbEUljE_ZNSN_ISO_Lb0ESQ_SR_ST_SU_SY_EESZ_S10_S11_S12_S16_S17_S18_S1B_S1C_jS1D_jS1E_S1E_jjS1G_bEUljE0_EEESZ_S10_S11_S18_S1C_S1E_T6_T7_T9_mT8_S1G_bDpT10_ENKUlT_T0_E_clISt17integral_constantIbLb1EES1T_IbLb0EEEEDaS1P_S1Q_EUlS1P_E_NS1_11comp_targetILNS1_3genE4ELNS1_11target_archE910ELNS1_3gpuE8ELNS1_3repE0EEENS1_30default_config_static_selectorELNS0_4arch9wavefront6targetE0EEEvS12_
		.amdhsa_group_segment_fixed_size 0
		.amdhsa_private_segment_fixed_size 0
		.amdhsa_kernarg_size 176
		.amdhsa_user_sgpr_count 2
		.amdhsa_user_sgpr_dispatch_ptr 0
		.amdhsa_user_sgpr_queue_ptr 0
		.amdhsa_user_sgpr_kernarg_segment_ptr 1
		.amdhsa_user_sgpr_dispatch_id 0
		.amdhsa_user_sgpr_kernarg_preload_length 0
		.amdhsa_user_sgpr_kernarg_preload_offset 0
		.amdhsa_user_sgpr_private_segment_size 0
		.amdhsa_wavefront_size32 1
		.amdhsa_uses_dynamic_stack 0
		.amdhsa_enable_private_segment 0
		.amdhsa_system_sgpr_workgroup_id_x 1
		.amdhsa_system_sgpr_workgroup_id_y 0
		.amdhsa_system_sgpr_workgroup_id_z 0
		.amdhsa_system_sgpr_workgroup_info 0
		.amdhsa_system_vgpr_workitem_id 0
		.amdhsa_next_free_vgpr 1
		.amdhsa_next_free_sgpr 1
		.amdhsa_named_barrier_count 0
		.amdhsa_reserve_vcc 0
		.amdhsa_float_round_mode_32 0
		.amdhsa_float_round_mode_16_64 0
		.amdhsa_float_denorm_mode_32 3
		.amdhsa_float_denorm_mode_16_64 3
		.amdhsa_fp16_overflow 0
		.amdhsa_memory_ordered 1
		.amdhsa_forward_progress 1
		.amdhsa_inst_pref_size 0
		.amdhsa_round_robin_scheduling 0
		.amdhsa_exception_fp_ieee_invalid_op 0
		.amdhsa_exception_fp_denorm_src 0
		.amdhsa_exception_fp_ieee_div_zero 0
		.amdhsa_exception_fp_ieee_overflow 0
		.amdhsa_exception_fp_ieee_underflow 0
		.amdhsa_exception_fp_ieee_inexact 0
		.amdhsa_exception_int_div_zero 0
	.end_amdhsa_kernel
	.section	.text._ZN7rocprim17ROCPRIM_400000_NS6detail17trampoline_kernelINS0_13select_configILj256ELj13ELNS0_17block_load_methodE3ELS4_3ELS4_3ELNS0_20block_scan_algorithmE0ELj4294967295EEENS1_25partition_config_selectorILNS1_17partition_subalgoE4EjNS0_10empty_typeEbEEZZNS1_14partition_implILS8_4ELb0ES6_15HIP_vector_typeIjLj2EENS0_17counting_iteratorIjlEEPS9_SG_NS0_5tupleIJPjSI_NS0_16reverse_iteratorISI_EEEEENSH_IJSG_SG_SG_EEES9_SI_JZNS1_25segmented_radix_sort_implINS0_14default_configELb0EPKaPaPKlPlN2at6native12_GLOBAL__N_18offset_tEEE10hipError_tPvRmT1_PNSt15iterator_traitsIS12_E10value_typeET2_T3_PNS13_IS18_E10value_typeET4_jRbjT5_S1E_jjP12ihipStream_tbEUljE_ZNSN_ISO_Lb0ESQ_SR_ST_SU_SY_EESZ_S10_S11_S12_S16_S17_S18_S1B_S1C_jS1D_jS1E_S1E_jjS1G_bEUljE0_EEESZ_S10_S11_S18_S1C_S1E_T6_T7_T9_mT8_S1G_bDpT10_ENKUlT_T0_E_clISt17integral_constantIbLb1EES1T_IbLb0EEEEDaS1P_S1Q_EUlS1P_E_NS1_11comp_targetILNS1_3genE4ELNS1_11target_archE910ELNS1_3gpuE8ELNS1_3repE0EEENS1_30default_config_static_selectorELNS0_4arch9wavefront6targetE0EEEvS12_,"axG",@progbits,_ZN7rocprim17ROCPRIM_400000_NS6detail17trampoline_kernelINS0_13select_configILj256ELj13ELNS0_17block_load_methodE3ELS4_3ELS4_3ELNS0_20block_scan_algorithmE0ELj4294967295EEENS1_25partition_config_selectorILNS1_17partition_subalgoE4EjNS0_10empty_typeEbEEZZNS1_14partition_implILS8_4ELb0ES6_15HIP_vector_typeIjLj2EENS0_17counting_iteratorIjlEEPS9_SG_NS0_5tupleIJPjSI_NS0_16reverse_iteratorISI_EEEEENSH_IJSG_SG_SG_EEES9_SI_JZNS1_25segmented_radix_sort_implINS0_14default_configELb0EPKaPaPKlPlN2at6native12_GLOBAL__N_18offset_tEEE10hipError_tPvRmT1_PNSt15iterator_traitsIS12_E10value_typeET2_T3_PNS13_IS18_E10value_typeET4_jRbjT5_S1E_jjP12ihipStream_tbEUljE_ZNSN_ISO_Lb0ESQ_SR_ST_SU_SY_EESZ_S10_S11_S12_S16_S17_S18_S1B_S1C_jS1D_jS1E_S1E_jjS1G_bEUljE0_EEESZ_S10_S11_S18_S1C_S1E_T6_T7_T9_mT8_S1G_bDpT10_ENKUlT_T0_E_clISt17integral_constantIbLb1EES1T_IbLb0EEEEDaS1P_S1Q_EUlS1P_E_NS1_11comp_targetILNS1_3genE4ELNS1_11target_archE910ELNS1_3gpuE8ELNS1_3repE0EEENS1_30default_config_static_selectorELNS0_4arch9wavefront6targetE0EEEvS12_,comdat
.Lfunc_end344:
	.size	_ZN7rocprim17ROCPRIM_400000_NS6detail17trampoline_kernelINS0_13select_configILj256ELj13ELNS0_17block_load_methodE3ELS4_3ELS4_3ELNS0_20block_scan_algorithmE0ELj4294967295EEENS1_25partition_config_selectorILNS1_17partition_subalgoE4EjNS0_10empty_typeEbEEZZNS1_14partition_implILS8_4ELb0ES6_15HIP_vector_typeIjLj2EENS0_17counting_iteratorIjlEEPS9_SG_NS0_5tupleIJPjSI_NS0_16reverse_iteratorISI_EEEEENSH_IJSG_SG_SG_EEES9_SI_JZNS1_25segmented_radix_sort_implINS0_14default_configELb0EPKaPaPKlPlN2at6native12_GLOBAL__N_18offset_tEEE10hipError_tPvRmT1_PNSt15iterator_traitsIS12_E10value_typeET2_T3_PNS13_IS18_E10value_typeET4_jRbjT5_S1E_jjP12ihipStream_tbEUljE_ZNSN_ISO_Lb0ESQ_SR_ST_SU_SY_EESZ_S10_S11_S12_S16_S17_S18_S1B_S1C_jS1D_jS1E_S1E_jjS1G_bEUljE0_EEESZ_S10_S11_S18_S1C_S1E_T6_T7_T9_mT8_S1G_bDpT10_ENKUlT_T0_E_clISt17integral_constantIbLb1EES1T_IbLb0EEEEDaS1P_S1Q_EUlS1P_E_NS1_11comp_targetILNS1_3genE4ELNS1_11target_archE910ELNS1_3gpuE8ELNS1_3repE0EEENS1_30default_config_static_selectorELNS0_4arch9wavefront6targetE0EEEvS12_, .Lfunc_end344-_ZN7rocprim17ROCPRIM_400000_NS6detail17trampoline_kernelINS0_13select_configILj256ELj13ELNS0_17block_load_methodE3ELS4_3ELS4_3ELNS0_20block_scan_algorithmE0ELj4294967295EEENS1_25partition_config_selectorILNS1_17partition_subalgoE4EjNS0_10empty_typeEbEEZZNS1_14partition_implILS8_4ELb0ES6_15HIP_vector_typeIjLj2EENS0_17counting_iteratorIjlEEPS9_SG_NS0_5tupleIJPjSI_NS0_16reverse_iteratorISI_EEEEENSH_IJSG_SG_SG_EEES9_SI_JZNS1_25segmented_radix_sort_implINS0_14default_configELb0EPKaPaPKlPlN2at6native12_GLOBAL__N_18offset_tEEE10hipError_tPvRmT1_PNSt15iterator_traitsIS12_E10value_typeET2_T3_PNS13_IS18_E10value_typeET4_jRbjT5_S1E_jjP12ihipStream_tbEUljE_ZNSN_ISO_Lb0ESQ_SR_ST_SU_SY_EESZ_S10_S11_S12_S16_S17_S18_S1B_S1C_jS1D_jS1E_S1E_jjS1G_bEUljE0_EEESZ_S10_S11_S18_S1C_S1E_T6_T7_T9_mT8_S1G_bDpT10_ENKUlT_T0_E_clISt17integral_constantIbLb1EES1T_IbLb0EEEEDaS1P_S1Q_EUlS1P_E_NS1_11comp_targetILNS1_3genE4ELNS1_11target_archE910ELNS1_3gpuE8ELNS1_3repE0EEENS1_30default_config_static_selectorELNS0_4arch9wavefront6targetE0EEEvS12_
                                        ; -- End function
	.set _ZN7rocprim17ROCPRIM_400000_NS6detail17trampoline_kernelINS0_13select_configILj256ELj13ELNS0_17block_load_methodE3ELS4_3ELS4_3ELNS0_20block_scan_algorithmE0ELj4294967295EEENS1_25partition_config_selectorILNS1_17partition_subalgoE4EjNS0_10empty_typeEbEEZZNS1_14partition_implILS8_4ELb0ES6_15HIP_vector_typeIjLj2EENS0_17counting_iteratorIjlEEPS9_SG_NS0_5tupleIJPjSI_NS0_16reverse_iteratorISI_EEEEENSH_IJSG_SG_SG_EEES9_SI_JZNS1_25segmented_radix_sort_implINS0_14default_configELb0EPKaPaPKlPlN2at6native12_GLOBAL__N_18offset_tEEE10hipError_tPvRmT1_PNSt15iterator_traitsIS12_E10value_typeET2_T3_PNS13_IS18_E10value_typeET4_jRbjT5_S1E_jjP12ihipStream_tbEUljE_ZNSN_ISO_Lb0ESQ_SR_ST_SU_SY_EESZ_S10_S11_S12_S16_S17_S18_S1B_S1C_jS1D_jS1E_S1E_jjS1G_bEUljE0_EEESZ_S10_S11_S18_S1C_S1E_T6_T7_T9_mT8_S1G_bDpT10_ENKUlT_T0_E_clISt17integral_constantIbLb1EES1T_IbLb0EEEEDaS1P_S1Q_EUlS1P_E_NS1_11comp_targetILNS1_3genE4ELNS1_11target_archE910ELNS1_3gpuE8ELNS1_3repE0EEENS1_30default_config_static_selectorELNS0_4arch9wavefront6targetE0EEEvS12_.num_vgpr, 0
	.set _ZN7rocprim17ROCPRIM_400000_NS6detail17trampoline_kernelINS0_13select_configILj256ELj13ELNS0_17block_load_methodE3ELS4_3ELS4_3ELNS0_20block_scan_algorithmE0ELj4294967295EEENS1_25partition_config_selectorILNS1_17partition_subalgoE4EjNS0_10empty_typeEbEEZZNS1_14partition_implILS8_4ELb0ES6_15HIP_vector_typeIjLj2EENS0_17counting_iteratorIjlEEPS9_SG_NS0_5tupleIJPjSI_NS0_16reverse_iteratorISI_EEEEENSH_IJSG_SG_SG_EEES9_SI_JZNS1_25segmented_radix_sort_implINS0_14default_configELb0EPKaPaPKlPlN2at6native12_GLOBAL__N_18offset_tEEE10hipError_tPvRmT1_PNSt15iterator_traitsIS12_E10value_typeET2_T3_PNS13_IS18_E10value_typeET4_jRbjT5_S1E_jjP12ihipStream_tbEUljE_ZNSN_ISO_Lb0ESQ_SR_ST_SU_SY_EESZ_S10_S11_S12_S16_S17_S18_S1B_S1C_jS1D_jS1E_S1E_jjS1G_bEUljE0_EEESZ_S10_S11_S18_S1C_S1E_T6_T7_T9_mT8_S1G_bDpT10_ENKUlT_T0_E_clISt17integral_constantIbLb1EES1T_IbLb0EEEEDaS1P_S1Q_EUlS1P_E_NS1_11comp_targetILNS1_3genE4ELNS1_11target_archE910ELNS1_3gpuE8ELNS1_3repE0EEENS1_30default_config_static_selectorELNS0_4arch9wavefront6targetE0EEEvS12_.num_agpr, 0
	.set _ZN7rocprim17ROCPRIM_400000_NS6detail17trampoline_kernelINS0_13select_configILj256ELj13ELNS0_17block_load_methodE3ELS4_3ELS4_3ELNS0_20block_scan_algorithmE0ELj4294967295EEENS1_25partition_config_selectorILNS1_17partition_subalgoE4EjNS0_10empty_typeEbEEZZNS1_14partition_implILS8_4ELb0ES6_15HIP_vector_typeIjLj2EENS0_17counting_iteratorIjlEEPS9_SG_NS0_5tupleIJPjSI_NS0_16reverse_iteratorISI_EEEEENSH_IJSG_SG_SG_EEES9_SI_JZNS1_25segmented_radix_sort_implINS0_14default_configELb0EPKaPaPKlPlN2at6native12_GLOBAL__N_18offset_tEEE10hipError_tPvRmT1_PNSt15iterator_traitsIS12_E10value_typeET2_T3_PNS13_IS18_E10value_typeET4_jRbjT5_S1E_jjP12ihipStream_tbEUljE_ZNSN_ISO_Lb0ESQ_SR_ST_SU_SY_EESZ_S10_S11_S12_S16_S17_S18_S1B_S1C_jS1D_jS1E_S1E_jjS1G_bEUljE0_EEESZ_S10_S11_S18_S1C_S1E_T6_T7_T9_mT8_S1G_bDpT10_ENKUlT_T0_E_clISt17integral_constantIbLb1EES1T_IbLb0EEEEDaS1P_S1Q_EUlS1P_E_NS1_11comp_targetILNS1_3genE4ELNS1_11target_archE910ELNS1_3gpuE8ELNS1_3repE0EEENS1_30default_config_static_selectorELNS0_4arch9wavefront6targetE0EEEvS12_.numbered_sgpr, 0
	.set _ZN7rocprim17ROCPRIM_400000_NS6detail17trampoline_kernelINS0_13select_configILj256ELj13ELNS0_17block_load_methodE3ELS4_3ELS4_3ELNS0_20block_scan_algorithmE0ELj4294967295EEENS1_25partition_config_selectorILNS1_17partition_subalgoE4EjNS0_10empty_typeEbEEZZNS1_14partition_implILS8_4ELb0ES6_15HIP_vector_typeIjLj2EENS0_17counting_iteratorIjlEEPS9_SG_NS0_5tupleIJPjSI_NS0_16reverse_iteratorISI_EEEEENSH_IJSG_SG_SG_EEES9_SI_JZNS1_25segmented_radix_sort_implINS0_14default_configELb0EPKaPaPKlPlN2at6native12_GLOBAL__N_18offset_tEEE10hipError_tPvRmT1_PNSt15iterator_traitsIS12_E10value_typeET2_T3_PNS13_IS18_E10value_typeET4_jRbjT5_S1E_jjP12ihipStream_tbEUljE_ZNSN_ISO_Lb0ESQ_SR_ST_SU_SY_EESZ_S10_S11_S12_S16_S17_S18_S1B_S1C_jS1D_jS1E_S1E_jjS1G_bEUljE0_EEESZ_S10_S11_S18_S1C_S1E_T6_T7_T9_mT8_S1G_bDpT10_ENKUlT_T0_E_clISt17integral_constantIbLb1EES1T_IbLb0EEEEDaS1P_S1Q_EUlS1P_E_NS1_11comp_targetILNS1_3genE4ELNS1_11target_archE910ELNS1_3gpuE8ELNS1_3repE0EEENS1_30default_config_static_selectorELNS0_4arch9wavefront6targetE0EEEvS12_.num_named_barrier, 0
	.set _ZN7rocprim17ROCPRIM_400000_NS6detail17trampoline_kernelINS0_13select_configILj256ELj13ELNS0_17block_load_methodE3ELS4_3ELS4_3ELNS0_20block_scan_algorithmE0ELj4294967295EEENS1_25partition_config_selectorILNS1_17partition_subalgoE4EjNS0_10empty_typeEbEEZZNS1_14partition_implILS8_4ELb0ES6_15HIP_vector_typeIjLj2EENS0_17counting_iteratorIjlEEPS9_SG_NS0_5tupleIJPjSI_NS0_16reverse_iteratorISI_EEEEENSH_IJSG_SG_SG_EEES9_SI_JZNS1_25segmented_radix_sort_implINS0_14default_configELb0EPKaPaPKlPlN2at6native12_GLOBAL__N_18offset_tEEE10hipError_tPvRmT1_PNSt15iterator_traitsIS12_E10value_typeET2_T3_PNS13_IS18_E10value_typeET4_jRbjT5_S1E_jjP12ihipStream_tbEUljE_ZNSN_ISO_Lb0ESQ_SR_ST_SU_SY_EESZ_S10_S11_S12_S16_S17_S18_S1B_S1C_jS1D_jS1E_S1E_jjS1G_bEUljE0_EEESZ_S10_S11_S18_S1C_S1E_T6_T7_T9_mT8_S1G_bDpT10_ENKUlT_T0_E_clISt17integral_constantIbLb1EES1T_IbLb0EEEEDaS1P_S1Q_EUlS1P_E_NS1_11comp_targetILNS1_3genE4ELNS1_11target_archE910ELNS1_3gpuE8ELNS1_3repE0EEENS1_30default_config_static_selectorELNS0_4arch9wavefront6targetE0EEEvS12_.private_seg_size, 0
	.set _ZN7rocprim17ROCPRIM_400000_NS6detail17trampoline_kernelINS0_13select_configILj256ELj13ELNS0_17block_load_methodE3ELS4_3ELS4_3ELNS0_20block_scan_algorithmE0ELj4294967295EEENS1_25partition_config_selectorILNS1_17partition_subalgoE4EjNS0_10empty_typeEbEEZZNS1_14partition_implILS8_4ELb0ES6_15HIP_vector_typeIjLj2EENS0_17counting_iteratorIjlEEPS9_SG_NS0_5tupleIJPjSI_NS0_16reverse_iteratorISI_EEEEENSH_IJSG_SG_SG_EEES9_SI_JZNS1_25segmented_radix_sort_implINS0_14default_configELb0EPKaPaPKlPlN2at6native12_GLOBAL__N_18offset_tEEE10hipError_tPvRmT1_PNSt15iterator_traitsIS12_E10value_typeET2_T3_PNS13_IS18_E10value_typeET4_jRbjT5_S1E_jjP12ihipStream_tbEUljE_ZNSN_ISO_Lb0ESQ_SR_ST_SU_SY_EESZ_S10_S11_S12_S16_S17_S18_S1B_S1C_jS1D_jS1E_S1E_jjS1G_bEUljE0_EEESZ_S10_S11_S18_S1C_S1E_T6_T7_T9_mT8_S1G_bDpT10_ENKUlT_T0_E_clISt17integral_constantIbLb1EES1T_IbLb0EEEEDaS1P_S1Q_EUlS1P_E_NS1_11comp_targetILNS1_3genE4ELNS1_11target_archE910ELNS1_3gpuE8ELNS1_3repE0EEENS1_30default_config_static_selectorELNS0_4arch9wavefront6targetE0EEEvS12_.uses_vcc, 0
	.set _ZN7rocprim17ROCPRIM_400000_NS6detail17trampoline_kernelINS0_13select_configILj256ELj13ELNS0_17block_load_methodE3ELS4_3ELS4_3ELNS0_20block_scan_algorithmE0ELj4294967295EEENS1_25partition_config_selectorILNS1_17partition_subalgoE4EjNS0_10empty_typeEbEEZZNS1_14partition_implILS8_4ELb0ES6_15HIP_vector_typeIjLj2EENS0_17counting_iteratorIjlEEPS9_SG_NS0_5tupleIJPjSI_NS0_16reverse_iteratorISI_EEEEENSH_IJSG_SG_SG_EEES9_SI_JZNS1_25segmented_radix_sort_implINS0_14default_configELb0EPKaPaPKlPlN2at6native12_GLOBAL__N_18offset_tEEE10hipError_tPvRmT1_PNSt15iterator_traitsIS12_E10value_typeET2_T3_PNS13_IS18_E10value_typeET4_jRbjT5_S1E_jjP12ihipStream_tbEUljE_ZNSN_ISO_Lb0ESQ_SR_ST_SU_SY_EESZ_S10_S11_S12_S16_S17_S18_S1B_S1C_jS1D_jS1E_S1E_jjS1G_bEUljE0_EEESZ_S10_S11_S18_S1C_S1E_T6_T7_T9_mT8_S1G_bDpT10_ENKUlT_T0_E_clISt17integral_constantIbLb1EES1T_IbLb0EEEEDaS1P_S1Q_EUlS1P_E_NS1_11comp_targetILNS1_3genE4ELNS1_11target_archE910ELNS1_3gpuE8ELNS1_3repE0EEENS1_30default_config_static_selectorELNS0_4arch9wavefront6targetE0EEEvS12_.uses_flat_scratch, 0
	.set _ZN7rocprim17ROCPRIM_400000_NS6detail17trampoline_kernelINS0_13select_configILj256ELj13ELNS0_17block_load_methodE3ELS4_3ELS4_3ELNS0_20block_scan_algorithmE0ELj4294967295EEENS1_25partition_config_selectorILNS1_17partition_subalgoE4EjNS0_10empty_typeEbEEZZNS1_14partition_implILS8_4ELb0ES6_15HIP_vector_typeIjLj2EENS0_17counting_iteratorIjlEEPS9_SG_NS0_5tupleIJPjSI_NS0_16reverse_iteratorISI_EEEEENSH_IJSG_SG_SG_EEES9_SI_JZNS1_25segmented_radix_sort_implINS0_14default_configELb0EPKaPaPKlPlN2at6native12_GLOBAL__N_18offset_tEEE10hipError_tPvRmT1_PNSt15iterator_traitsIS12_E10value_typeET2_T3_PNS13_IS18_E10value_typeET4_jRbjT5_S1E_jjP12ihipStream_tbEUljE_ZNSN_ISO_Lb0ESQ_SR_ST_SU_SY_EESZ_S10_S11_S12_S16_S17_S18_S1B_S1C_jS1D_jS1E_S1E_jjS1G_bEUljE0_EEESZ_S10_S11_S18_S1C_S1E_T6_T7_T9_mT8_S1G_bDpT10_ENKUlT_T0_E_clISt17integral_constantIbLb1EES1T_IbLb0EEEEDaS1P_S1Q_EUlS1P_E_NS1_11comp_targetILNS1_3genE4ELNS1_11target_archE910ELNS1_3gpuE8ELNS1_3repE0EEENS1_30default_config_static_selectorELNS0_4arch9wavefront6targetE0EEEvS12_.has_dyn_sized_stack, 0
	.set _ZN7rocprim17ROCPRIM_400000_NS6detail17trampoline_kernelINS0_13select_configILj256ELj13ELNS0_17block_load_methodE3ELS4_3ELS4_3ELNS0_20block_scan_algorithmE0ELj4294967295EEENS1_25partition_config_selectorILNS1_17partition_subalgoE4EjNS0_10empty_typeEbEEZZNS1_14partition_implILS8_4ELb0ES6_15HIP_vector_typeIjLj2EENS0_17counting_iteratorIjlEEPS9_SG_NS0_5tupleIJPjSI_NS0_16reverse_iteratorISI_EEEEENSH_IJSG_SG_SG_EEES9_SI_JZNS1_25segmented_radix_sort_implINS0_14default_configELb0EPKaPaPKlPlN2at6native12_GLOBAL__N_18offset_tEEE10hipError_tPvRmT1_PNSt15iterator_traitsIS12_E10value_typeET2_T3_PNS13_IS18_E10value_typeET4_jRbjT5_S1E_jjP12ihipStream_tbEUljE_ZNSN_ISO_Lb0ESQ_SR_ST_SU_SY_EESZ_S10_S11_S12_S16_S17_S18_S1B_S1C_jS1D_jS1E_S1E_jjS1G_bEUljE0_EEESZ_S10_S11_S18_S1C_S1E_T6_T7_T9_mT8_S1G_bDpT10_ENKUlT_T0_E_clISt17integral_constantIbLb1EES1T_IbLb0EEEEDaS1P_S1Q_EUlS1P_E_NS1_11comp_targetILNS1_3genE4ELNS1_11target_archE910ELNS1_3gpuE8ELNS1_3repE0EEENS1_30default_config_static_selectorELNS0_4arch9wavefront6targetE0EEEvS12_.has_recursion, 0
	.set _ZN7rocprim17ROCPRIM_400000_NS6detail17trampoline_kernelINS0_13select_configILj256ELj13ELNS0_17block_load_methodE3ELS4_3ELS4_3ELNS0_20block_scan_algorithmE0ELj4294967295EEENS1_25partition_config_selectorILNS1_17partition_subalgoE4EjNS0_10empty_typeEbEEZZNS1_14partition_implILS8_4ELb0ES6_15HIP_vector_typeIjLj2EENS0_17counting_iteratorIjlEEPS9_SG_NS0_5tupleIJPjSI_NS0_16reverse_iteratorISI_EEEEENSH_IJSG_SG_SG_EEES9_SI_JZNS1_25segmented_radix_sort_implINS0_14default_configELb0EPKaPaPKlPlN2at6native12_GLOBAL__N_18offset_tEEE10hipError_tPvRmT1_PNSt15iterator_traitsIS12_E10value_typeET2_T3_PNS13_IS18_E10value_typeET4_jRbjT5_S1E_jjP12ihipStream_tbEUljE_ZNSN_ISO_Lb0ESQ_SR_ST_SU_SY_EESZ_S10_S11_S12_S16_S17_S18_S1B_S1C_jS1D_jS1E_S1E_jjS1G_bEUljE0_EEESZ_S10_S11_S18_S1C_S1E_T6_T7_T9_mT8_S1G_bDpT10_ENKUlT_T0_E_clISt17integral_constantIbLb1EES1T_IbLb0EEEEDaS1P_S1Q_EUlS1P_E_NS1_11comp_targetILNS1_3genE4ELNS1_11target_archE910ELNS1_3gpuE8ELNS1_3repE0EEENS1_30default_config_static_selectorELNS0_4arch9wavefront6targetE0EEEvS12_.has_indirect_call, 0
	.section	.AMDGPU.csdata,"",@progbits
; Kernel info:
; codeLenInByte = 0
; TotalNumSgprs: 0
; NumVgprs: 0
; ScratchSize: 0
; MemoryBound: 0
; FloatMode: 240
; IeeeMode: 1
; LDSByteSize: 0 bytes/workgroup (compile time only)
; SGPRBlocks: 0
; VGPRBlocks: 0
; NumSGPRsForWavesPerEU: 1
; NumVGPRsForWavesPerEU: 1
; NamedBarCnt: 0
; Occupancy: 16
; WaveLimiterHint : 0
; COMPUTE_PGM_RSRC2:SCRATCH_EN: 0
; COMPUTE_PGM_RSRC2:USER_SGPR: 2
; COMPUTE_PGM_RSRC2:TRAP_HANDLER: 0
; COMPUTE_PGM_RSRC2:TGID_X_EN: 1
; COMPUTE_PGM_RSRC2:TGID_Y_EN: 0
; COMPUTE_PGM_RSRC2:TGID_Z_EN: 0
; COMPUTE_PGM_RSRC2:TIDIG_COMP_CNT: 0
	.section	.text._ZN7rocprim17ROCPRIM_400000_NS6detail17trampoline_kernelINS0_13select_configILj256ELj13ELNS0_17block_load_methodE3ELS4_3ELS4_3ELNS0_20block_scan_algorithmE0ELj4294967295EEENS1_25partition_config_selectorILNS1_17partition_subalgoE4EjNS0_10empty_typeEbEEZZNS1_14partition_implILS8_4ELb0ES6_15HIP_vector_typeIjLj2EENS0_17counting_iteratorIjlEEPS9_SG_NS0_5tupleIJPjSI_NS0_16reverse_iteratorISI_EEEEENSH_IJSG_SG_SG_EEES9_SI_JZNS1_25segmented_radix_sort_implINS0_14default_configELb0EPKaPaPKlPlN2at6native12_GLOBAL__N_18offset_tEEE10hipError_tPvRmT1_PNSt15iterator_traitsIS12_E10value_typeET2_T3_PNS13_IS18_E10value_typeET4_jRbjT5_S1E_jjP12ihipStream_tbEUljE_ZNSN_ISO_Lb0ESQ_SR_ST_SU_SY_EESZ_S10_S11_S12_S16_S17_S18_S1B_S1C_jS1D_jS1E_S1E_jjS1G_bEUljE0_EEESZ_S10_S11_S18_S1C_S1E_T6_T7_T9_mT8_S1G_bDpT10_ENKUlT_T0_E_clISt17integral_constantIbLb1EES1T_IbLb0EEEEDaS1P_S1Q_EUlS1P_E_NS1_11comp_targetILNS1_3genE3ELNS1_11target_archE908ELNS1_3gpuE7ELNS1_3repE0EEENS1_30default_config_static_selectorELNS0_4arch9wavefront6targetE0EEEvS12_,"axG",@progbits,_ZN7rocprim17ROCPRIM_400000_NS6detail17trampoline_kernelINS0_13select_configILj256ELj13ELNS0_17block_load_methodE3ELS4_3ELS4_3ELNS0_20block_scan_algorithmE0ELj4294967295EEENS1_25partition_config_selectorILNS1_17partition_subalgoE4EjNS0_10empty_typeEbEEZZNS1_14partition_implILS8_4ELb0ES6_15HIP_vector_typeIjLj2EENS0_17counting_iteratorIjlEEPS9_SG_NS0_5tupleIJPjSI_NS0_16reverse_iteratorISI_EEEEENSH_IJSG_SG_SG_EEES9_SI_JZNS1_25segmented_radix_sort_implINS0_14default_configELb0EPKaPaPKlPlN2at6native12_GLOBAL__N_18offset_tEEE10hipError_tPvRmT1_PNSt15iterator_traitsIS12_E10value_typeET2_T3_PNS13_IS18_E10value_typeET4_jRbjT5_S1E_jjP12ihipStream_tbEUljE_ZNSN_ISO_Lb0ESQ_SR_ST_SU_SY_EESZ_S10_S11_S12_S16_S17_S18_S1B_S1C_jS1D_jS1E_S1E_jjS1G_bEUljE0_EEESZ_S10_S11_S18_S1C_S1E_T6_T7_T9_mT8_S1G_bDpT10_ENKUlT_T0_E_clISt17integral_constantIbLb1EES1T_IbLb0EEEEDaS1P_S1Q_EUlS1P_E_NS1_11comp_targetILNS1_3genE3ELNS1_11target_archE908ELNS1_3gpuE7ELNS1_3repE0EEENS1_30default_config_static_selectorELNS0_4arch9wavefront6targetE0EEEvS12_,comdat
	.globl	_ZN7rocprim17ROCPRIM_400000_NS6detail17trampoline_kernelINS0_13select_configILj256ELj13ELNS0_17block_load_methodE3ELS4_3ELS4_3ELNS0_20block_scan_algorithmE0ELj4294967295EEENS1_25partition_config_selectorILNS1_17partition_subalgoE4EjNS0_10empty_typeEbEEZZNS1_14partition_implILS8_4ELb0ES6_15HIP_vector_typeIjLj2EENS0_17counting_iteratorIjlEEPS9_SG_NS0_5tupleIJPjSI_NS0_16reverse_iteratorISI_EEEEENSH_IJSG_SG_SG_EEES9_SI_JZNS1_25segmented_radix_sort_implINS0_14default_configELb0EPKaPaPKlPlN2at6native12_GLOBAL__N_18offset_tEEE10hipError_tPvRmT1_PNSt15iterator_traitsIS12_E10value_typeET2_T3_PNS13_IS18_E10value_typeET4_jRbjT5_S1E_jjP12ihipStream_tbEUljE_ZNSN_ISO_Lb0ESQ_SR_ST_SU_SY_EESZ_S10_S11_S12_S16_S17_S18_S1B_S1C_jS1D_jS1E_S1E_jjS1G_bEUljE0_EEESZ_S10_S11_S18_S1C_S1E_T6_T7_T9_mT8_S1G_bDpT10_ENKUlT_T0_E_clISt17integral_constantIbLb1EES1T_IbLb0EEEEDaS1P_S1Q_EUlS1P_E_NS1_11comp_targetILNS1_3genE3ELNS1_11target_archE908ELNS1_3gpuE7ELNS1_3repE0EEENS1_30default_config_static_selectorELNS0_4arch9wavefront6targetE0EEEvS12_ ; -- Begin function _ZN7rocprim17ROCPRIM_400000_NS6detail17trampoline_kernelINS0_13select_configILj256ELj13ELNS0_17block_load_methodE3ELS4_3ELS4_3ELNS0_20block_scan_algorithmE0ELj4294967295EEENS1_25partition_config_selectorILNS1_17partition_subalgoE4EjNS0_10empty_typeEbEEZZNS1_14partition_implILS8_4ELb0ES6_15HIP_vector_typeIjLj2EENS0_17counting_iteratorIjlEEPS9_SG_NS0_5tupleIJPjSI_NS0_16reverse_iteratorISI_EEEEENSH_IJSG_SG_SG_EEES9_SI_JZNS1_25segmented_radix_sort_implINS0_14default_configELb0EPKaPaPKlPlN2at6native12_GLOBAL__N_18offset_tEEE10hipError_tPvRmT1_PNSt15iterator_traitsIS12_E10value_typeET2_T3_PNS13_IS18_E10value_typeET4_jRbjT5_S1E_jjP12ihipStream_tbEUljE_ZNSN_ISO_Lb0ESQ_SR_ST_SU_SY_EESZ_S10_S11_S12_S16_S17_S18_S1B_S1C_jS1D_jS1E_S1E_jjS1G_bEUljE0_EEESZ_S10_S11_S18_S1C_S1E_T6_T7_T9_mT8_S1G_bDpT10_ENKUlT_T0_E_clISt17integral_constantIbLb1EES1T_IbLb0EEEEDaS1P_S1Q_EUlS1P_E_NS1_11comp_targetILNS1_3genE3ELNS1_11target_archE908ELNS1_3gpuE7ELNS1_3repE0EEENS1_30default_config_static_selectorELNS0_4arch9wavefront6targetE0EEEvS12_
	.p2align	8
	.type	_ZN7rocprim17ROCPRIM_400000_NS6detail17trampoline_kernelINS0_13select_configILj256ELj13ELNS0_17block_load_methodE3ELS4_3ELS4_3ELNS0_20block_scan_algorithmE0ELj4294967295EEENS1_25partition_config_selectorILNS1_17partition_subalgoE4EjNS0_10empty_typeEbEEZZNS1_14partition_implILS8_4ELb0ES6_15HIP_vector_typeIjLj2EENS0_17counting_iteratorIjlEEPS9_SG_NS0_5tupleIJPjSI_NS0_16reverse_iteratorISI_EEEEENSH_IJSG_SG_SG_EEES9_SI_JZNS1_25segmented_radix_sort_implINS0_14default_configELb0EPKaPaPKlPlN2at6native12_GLOBAL__N_18offset_tEEE10hipError_tPvRmT1_PNSt15iterator_traitsIS12_E10value_typeET2_T3_PNS13_IS18_E10value_typeET4_jRbjT5_S1E_jjP12ihipStream_tbEUljE_ZNSN_ISO_Lb0ESQ_SR_ST_SU_SY_EESZ_S10_S11_S12_S16_S17_S18_S1B_S1C_jS1D_jS1E_S1E_jjS1G_bEUljE0_EEESZ_S10_S11_S18_S1C_S1E_T6_T7_T9_mT8_S1G_bDpT10_ENKUlT_T0_E_clISt17integral_constantIbLb1EES1T_IbLb0EEEEDaS1P_S1Q_EUlS1P_E_NS1_11comp_targetILNS1_3genE3ELNS1_11target_archE908ELNS1_3gpuE7ELNS1_3repE0EEENS1_30default_config_static_selectorELNS0_4arch9wavefront6targetE0EEEvS12_,@function
_ZN7rocprim17ROCPRIM_400000_NS6detail17trampoline_kernelINS0_13select_configILj256ELj13ELNS0_17block_load_methodE3ELS4_3ELS4_3ELNS0_20block_scan_algorithmE0ELj4294967295EEENS1_25partition_config_selectorILNS1_17partition_subalgoE4EjNS0_10empty_typeEbEEZZNS1_14partition_implILS8_4ELb0ES6_15HIP_vector_typeIjLj2EENS0_17counting_iteratorIjlEEPS9_SG_NS0_5tupleIJPjSI_NS0_16reverse_iteratorISI_EEEEENSH_IJSG_SG_SG_EEES9_SI_JZNS1_25segmented_radix_sort_implINS0_14default_configELb0EPKaPaPKlPlN2at6native12_GLOBAL__N_18offset_tEEE10hipError_tPvRmT1_PNSt15iterator_traitsIS12_E10value_typeET2_T3_PNS13_IS18_E10value_typeET4_jRbjT5_S1E_jjP12ihipStream_tbEUljE_ZNSN_ISO_Lb0ESQ_SR_ST_SU_SY_EESZ_S10_S11_S12_S16_S17_S18_S1B_S1C_jS1D_jS1E_S1E_jjS1G_bEUljE0_EEESZ_S10_S11_S18_S1C_S1E_T6_T7_T9_mT8_S1G_bDpT10_ENKUlT_T0_E_clISt17integral_constantIbLb1EES1T_IbLb0EEEEDaS1P_S1Q_EUlS1P_E_NS1_11comp_targetILNS1_3genE3ELNS1_11target_archE908ELNS1_3gpuE7ELNS1_3repE0EEENS1_30default_config_static_selectorELNS0_4arch9wavefront6targetE0EEEvS12_: ; @_ZN7rocprim17ROCPRIM_400000_NS6detail17trampoline_kernelINS0_13select_configILj256ELj13ELNS0_17block_load_methodE3ELS4_3ELS4_3ELNS0_20block_scan_algorithmE0ELj4294967295EEENS1_25partition_config_selectorILNS1_17partition_subalgoE4EjNS0_10empty_typeEbEEZZNS1_14partition_implILS8_4ELb0ES6_15HIP_vector_typeIjLj2EENS0_17counting_iteratorIjlEEPS9_SG_NS0_5tupleIJPjSI_NS0_16reverse_iteratorISI_EEEEENSH_IJSG_SG_SG_EEES9_SI_JZNS1_25segmented_radix_sort_implINS0_14default_configELb0EPKaPaPKlPlN2at6native12_GLOBAL__N_18offset_tEEE10hipError_tPvRmT1_PNSt15iterator_traitsIS12_E10value_typeET2_T3_PNS13_IS18_E10value_typeET4_jRbjT5_S1E_jjP12ihipStream_tbEUljE_ZNSN_ISO_Lb0ESQ_SR_ST_SU_SY_EESZ_S10_S11_S12_S16_S17_S18_S1B_S1C_jS1D_jS1E_S1E_jjS1G_bEUljE0_EEESZ_S10_S11_S18_S1C_S1E_T6_T7_T9_mT8_S1G_bDpT10_ENKUlT_T0_E_clISt17integral_constantIbLb1EES1T_IbLb0EEEEDaS1P_S1Q_EUlS1P_E_NS1_11comp_targetILNS1_3genE3ELNS1_11target_archE908ELNS1_3gpuE7ELNS1_3repE0EEENS1_30default_config_static_selectorELNS0_4arch9wavefront6targetE0EEEvS12_
; %bb.0:
	.section	.rodata,"a",@progbits
	.p2align	6, 0x0
	.amdhsa_kernel _ZN7rocprim17ROCPRIM_400000_NS6detail17trampoline_kernelINS0_13select_configILj256ELj13ELNS0_17block_load_methodE3ELS4_3ELS4_3ELNS0_20block_scan_algorithmE0ELj4294967295EEENS1_25partition_config_selectorILNS1_17partition_subalgoE4EjNS0_10empty_typeEbEEZZNS1_14partition_implILS8_4ELb0ES6_15HIP_vector_typeIjLj2EENS0_17counting_iteratorIjlEEPS9_SG_NS0_5tupleIJPjSI_NS0_16reverse_iteratorISI_EEEEENSH_IJSG_SG_SG_EEES9_SI_JZNS1_25segmented_radix_sort_implINS0_14default_configELb0EPKaPaPKlPlN2at6native12_GLOBAL__N_18offset_tEEE10hipError_tPvRmT1_PNSt15iterator_traitsIS12_E10value_typeET2_T3_PNS13_IS18_E10value_typeET4_jRbjT5_S1E_jjP12ihipStream_tbEUljE_ZNSN_ISO_Lb0ESQ_SR_ST_SU_SY_EESZ_S10_S11_S12_S16_S17_S18_S1B_S1C_jS1D_jS1E_S1E_jjS1G_bEUljE0_EEESZ_S10_S11_S18_S1C_S1E_T6_T7_T9_mT8_S1G_bDpT10_ENKUlT_T0_E_clISt17integral_constantIbLb1EES1T_IbLb0EEEEDaS1P_S1Q_EUlS1P_E_NS1_11comp_targetILNS1_3genE3ELNS1_11target_archE908ELNS1_3gpuE7ELNS1_3repE0EEENS1_30default_config_static_selectorELNS0_4arch9wavefront6targetE0EEEvS12_
		.amdhsa_group_segment_fixed_size 0
		.amdhsa_private_segment_fixed_size 0
		.amdhsa_kernarg_size 176
		.amdhsa_user_sgpr_count 2
		.amdhsa_user_sgpr_dispatch_ptr 0
		.amdhsa_user_sgpr_queue_ptr 0
		.amdhsa_user_sgpr_kernarg_segment_ptr 1
		.amdhsa_user_sgpr_dispatch_id 0
		.amdhsa_user_sgpr_kernarg_preload_length 0
		.amdhsa_user_sgpr_kernarg_preload_offset 0
		.amdhsa_user_sgpr_private_segment_size 0
		.amdhsa_wavefront_size32 1
		.amdhsa_uses_dynamic_stack 0
		.amdhsa_enable_private_segment 0
		.amdhsa_system_sgpr_workgroup_id_x 1
		.amdhsa_system_sgpr_workgroup_id_y 0
		.amdhsa_system_sgpr_workgroup_id_z 0
		.amdhsa_system_sgpr_workgroup_info 0
		.amdhsa_system_vgpr_workitem_id 0
		.amdhsa_next_free_vgpr 1
		.amdhsa_next_free_sgpr 1
		.amdhsa_named_barrier_count 0
		.amdhsa_reserve_vcc 0
		.amdhsa_float_round_mode_32 0
		.amdhsa_float_round_mode_16_64 0
		.amdhsa_float_denorm_mode_32 3
		.amdhsa_float_denorm_mode_16_64 3
		.amdhsa_fp16_overflow 0
		.amdhsa_memory_ordered 1
		.amdhsa_forward_progress 1
		.amdhsa_inst_pref_size 0
		.amdhsa_round_robin_scheduling 0
		.amdhsa_exception_fp_ieee_invalid_op 0
		.amdhsa_exception_fp_denorm_src 0
		.amdhsa_exception_fp_ieee_div_zero 0
		.amdhsa_exception_fp_ieee_overflow 0
		.amdhsa_exception_fp_ieee_underflow 0
		.amdhsa_exception_fp_ieee_inexact 0
		.amdhsa_exception_int_div_zero 0
	.end_amdhsa_kernel
	.section	.text._ZN7rocprim17ROCPRIM_400000_NS6detail17trampoline_kernelINS0_13select_configILj256ELj13ELNS0_17block_load_methodE3ELS4_3ELS4_3ELNS0_20block_scan_algorithmE0ELj4294967295EEENS1_25partition_config_selectorILNS1_17partition_subalgoE4EjNS0_10empty_typeEbEEZZNS1_14partition_implILS8_4ELb0ES6_15HIP_vector_typeIjLj2EENS0_17counting_iteratorIjlEEPS9_SG_NS0_5tupleIJPjSI_NS0_16reverse_iteratorISI_EEEEENSH_IJSG_SG_SG_EEES9_SI_JZNS1_25segmented_radix_sort_implINS0_14default_configELb0EPKaPaPKlPlN2at6native12_GLOBAL__N_18offset_tEEE10hipError_tPvRmT1_PNSt15iterator_traitsIS12_E10value_typeET2_T3_PNS13_IS18_E10value_typeET4_jRbjT5_S1E_jjP12ihipStream_tbEUljE_ZNSN_ISO_Lb0ESQ_SR_ST_SU_SY_EESZ_S10_S11_S12_S16_S17_S18_S1B_S1C_jS1D_jS1E_S1E_jjS1G_bEUljE0_EEESZ_S10_S11_S18_S1C_S1E_T6_T7_T9_mT8_S1G_bDpT10_ENKUlT_T0_E_clISt17integral_constantIbLb1EES1T_IbLb0EEEEDaS1P_S1Q_EUlS1P_E_NS1_11comp_targetILNS1_3genE3ELNS1_11target_archE908ELNS1_3gpuE7ELNS1_3repE0EEENS1_30default_config_static_selectorELNS0_4arch9wavefront6targetE0EEEvS12_,"axG",@progbits,_ZN7rocprim17ROCPRIM_400000_NS6detail17trampoline_kernelINS0_13select_configILj256ELj13ELNS0_17block_load_methodE3ELS4_3ELS4_3ELNS0_20block_scan_algorithmE0ELj4294967295EEENS1_25partition_config_selectorILNS1_17partition_subalgoE4EjNS0_10empty_typeEbEEZZNS1_14partition_implILS8_4ELb0ES6_15HIP_vector_typeIjLj2EENS0_17counting_iteratorIjlEEPS9_SG_NS0_5tupleIJPjSI_NS0_16reverse_iteratorISI_EEEEENSH_IJSG_SG_SG_EEES9_SI_JZNS1_25segmented_radix_sort_implINS0_14default_configELb0EPKaPaPKlPlN2at6native12_GLOBAL__N_18offset_tEEE10hipError_tPvRmT1_PNSt15iterator_traitsIS12_E10value_typeET2_T3_PNS13_IS18_E10value_typeET4_jRbjT5_S1E_jjP12ihipStream_tbEUljE_ZNSN_ISO_Lb0ESQ_SR_ST_SU_SY_EESZ_S10_S11_S12_S16_S17_S18_S1B_S1C_jS1D_jS1E_S1E_jjS1G_bEUljE0_EEESZ_S10_S11_S18_S1C_S1E_T6_T7_T9_mT8_S1G_bDpT10_ENKUlT_T0_E_clISt17integral_constantIbLb1EES1T_IbLb0EEEEDaS1P_S1Q_EUlS1P_E_NS1_11comp_targetILNS1_3genE3ELNS1_11target_archE908ELNS1_3gpuE7ELNS1_3repE0EEENS1_30default_config_static_selectorELNS0_4arch9wavefront6targetE0EEEvS12_,comdat
.Lfunc_end345:
	.size	_ZN7rocprim17ROCPRIM_400000_NS6detail17trampoline_kernelINS0_13select_configILj256ELj13ELNS0_17block_load_methodE3ELS4_3ELS4_3ELNS0_20block_scan_algorithmE0ELj4294967295EEENS1_25partition_config_selectorILNS1_17partition_subalgoE4EjNS0_10empty_typeEbEEZZNS1_14partition_implILS8_4ELb0ES6_15HIP_vector_typeIjLj2EENS0_17counting_iteratorIjlEEPS9_SG_NS0_5tupleIJPjSI_NS0_16reverse_iteratorISI_EEEEENSH_IJSG_SG_SG_EEES9_SI_JZNS1_25segmented_radix_sort_implINS0_14default_configELb0EPKaPaPKlPlN2at6native12_GLOBAL__N_18offset_tEEE10hipError_tPvRmT1_PNSt15iterator_traitsIS12_E10value_typeET2_T3_PNS13_IS18_E10value_typeET4_jRbjT5_S1E_jjP12ihipStream_tbEUljE_ZNSN_ISO_Lb0ESQ_SR_ST_SU_SY_EESZ_S10_S11_S12_S16_S17_S18_S1B_S1C_jS1D_jS1E_S1E_jjS1G_bEUljE0_EEESZ_S10_S11_S18_S1C_S1E_T6_T7_T9_mT8_S1G_bDpT10_ENKUlT_T0_E_clISt17integral_constantIbLb1EES1T_IbLb0EEEEDaS1P_S1Q_EUlS1P_E_NS1_11comp_targetILNS1_3genE3ELNS1_11target_archE908ELNS1_3gpuE7ELNS1_3repE0EEENS1_30default_config_static_selectorELNS0_4arch9wavefront6targetE0EEEvS12_, .Lfunc_end345-_ZN7rocprim17ROCPRIM_400000_NS6detail17trampoline_kernelINS0_13select_configILj256ELj13ELNS0_17block_load_methodE3ELS4_3ELS4_3ELNS0_20block_scan_algorithmE0ELj4294967295EEENS1_25partition_config_selectorILNS1_17partition_subalgoE4EjNS0_10empty_typeEbEEZZNS1_14partition_implILS8_4ELb0ES6_15HIP_vector_typeIjLj2EENS0_17counting_iteratorIjlEEPS9_SG_NS0_5tupleIJPjSI_NS0_16reverse_iteratorISI_EEEEENSH_IJSG_SG_SG_EEES9_SI_JZNS1_25segmented_radix_sort_implINS0_14default_configELb0EPKaPaPKlPlN2at6native12_GLOBAL__N_18offset_tEEE10hipError_tPvRmT1_PNSt15iterator_traitsIS12_E10value_typeET2_T3_PNS13_IS18_E10value_typeET4_jRbjT5_S1E_jjP12ihipStream_tbEUljE_ZNSN_ISO_Lb0ESQ_SR_ST_SU_SY_EESZ_S10_S11_S12_S16_S17_S18_S1B_S1C_jS1D_jS1E_S1E_jjS1G_bEUljE0_EEESZ_S10_S11_S18_S1C_S1E_T6_T7_T9_mT8_S1G_bDpT10_ENKUlT_T0_E_clISt17integral_constantIbLb1EES1T_IbLb0EEEEDaS1P_S1Q_EUlS1P_E_NS1_11comp_targetILNS1_3genE3ELNS1_11target_archE908ELNS1_3gpuE7ELNS1_3repE0EEENS1_30default_config_static_selectorELNS0_4arch9wavefront6targetE0EEEvS12_
                                        ; -- End function
	.set _ZN7rocprim17ROCPRIM_400000_NS6detail17trampoline_kernelINS0_13select_configILj256ELj13ELNS0_17block_load_methodE3ELS4_3ELS4_3ELNS0_20block_scan_algorithmE0ELj4294967295EEENS1_25partition_config_selectorILNS1_17partition_subalgoE4EjNS0_10empty_typeEbEEZZNS1_14partition_implILS8_4ELb0ES6_15HIP_vector_typeIjLj2EENS0_17counting_iteratorIjlEEPS9_SG_NS0_5tupleIJPjSI_NS0_16reverse_iteratorISI_EEEEENSH_IJSG_SG_SG_EEES9_SI_JZNS1_25segmented_radix_sort_implINS0_14default_configELb0EPKaPaPKlPlN2at6native12_GLOBAL__N_18offset_tEEE10hipError_tPvRmT1_PNSt15iterator_traitsIS12_E10value_typeET2_T3_PNS13_IS18_E10value_typeET4_jRbjT5_S1E_jjP12ihipStream_tbEUljE_ZNSN_ISO_Lb0ESQ_SR_ST_SU_SY_EESZ_S10_S11_S12_S16_S17_S18_S1B_S1C_jS1D_jS1E_S1E_jjS1G_bEUljE0_EEESZ_S10_S11_S18_S1C_S1E_T6_T7_T9_mT8_S1G_bDpT10_ENKUlT_T0_E_clISt17integral_constantIbLb1EES1T_IbLb0EEEEDaS1P_S1Q_EUlS1P_E_NS1_11comp_targetILNS1_3genE3ELNS1_11target_archE908ELNS1_3gpuE7ELNS1_3repE0EEENS1_30default_config_static_selectorELNS0_4arch9wavefront6targetE0EEEvS12_.num_vgpr, 0
	.set _ZN7rocprim17ROCPRIM_400000_NS6detail17trampoline_kernelINS0_13select_configILj256ELj13ELNS0_17block_load_methodE3ELS4_3ELS4_3ELNS0_20block_scan_algorithmE0ELj4294967295EEENS1_25partition_config_selectorILNS1_17partition_subalgoE4EjNS0_10empty_typeEbEEZZNS1_14partition_implILS8_4ELb0ES6_15HIP_vector_typeIjLj2EENS0_17counting_iteratorIjlEEPS9_SG_NS0_5tupleIJPjSI_NS0_16reverse_iteratorISI_EEEEENSH_IJSG_SG_SG_EEES9_SI_JZNS1_25segmented_radix_sort_implINS0_14default_configELb0EPKaPaPKlPlN2at6native12_GLOBAL__N_18offset_tEEE10hipError_tPvRmT1_PNSt15iterator_traitsIS12_E10value_typeET2_T3_PNS13_IS18_E10value_typeET4_jRbjT5_S1E_jjP12ihipStream_tbEUljE_ZNSN_ISO_Lb0ESQ_SR_ST_SU_SY_EESZ_S10_S11_S12_S16_S17_S18_S1B_S1C_jS1D_jS1E_S1E_jjS1G_bEUljE0_EEESZ_S10_S11_S18_S1C_S1E_T6_T7_T9_mT8_S1G_bDpT10_ENKUlT_T0_E_clISt17integral_constantIbLb1EES1T_IbLb0EEEEDaS1P_S1Q_EUlS1P_E_NS1_11comp_targetILNS1_3genE3ELNS1_11target_archE908ELNS1_3gpuE7ELNS1_3repE0EEENS1_30default_config_static_selectorELNS0_4arch9wavefront6targetE0EEEvS12_.num_agpr, 0
	.set _ZN7rocprim17ROCPRIM_400000_NS6detail17trampoline_kernelINS0_13select_configILj256ELj13ELNS0_17block_load_methodE3ELS4_3ELS4_3ELNS0_20block_scan_algorithmE0ELj4294967295EEENS1_25partition_config_selectorILNS1_17partition_subalgoE4EjNS0_10empty_typeEbEEZZNS1_14partition_implILS8_4ELb0ES6_15HIP_vector_typeIjLj2EENS0_17counting_iteratorIjlEEPS9_SG_NS0_5tupleIJPjSI_NS0_16reverse_iteratorISI_EEEEENSH_IJSG_SG_SG_EEES9_SI_JZNS1_25segmented_radix_sort_implINS0_14default_configELb0EPKaPaPKlPlN2at6native12_GLOBAL__N_18offset_tEEE10hipError_tPvRmT1_PNSt15iterator_traitsIS12_E10value_typeET2_T3_PNS13_IS18_E10value_typeET4_jRbjT5_S1E_jjP12ihipStream_tbEUljE_ZNSN_ISO_Lb0ESQ_SR_ST_SU_SY_EESZ_S10_S11_S12_S16_S17_S18_S1B_S1C_jS1D_jS1E_S1E_jjS1G_bEUljE0_EEESZ_S10_S11_S18_S1C_S1E_T6_T7_T9_mT8_S1G_bDpT10_ENKUlT_T0_E_clISt17integral_constantIbLb1EES1T_IbLb0EEEEDaS1P_S1Q_EUlS1P_E_NS1_11comp_targetILNS1_3genE3ELNS1_11target_archE908ELNS1_3gpuE7ELNS1_3repE0EEENS1_30default_config_static_selectorELNS0_4arch9wavefront6targetE0EEEvS12_.numbered_sgpr, 0
	.set _ZN7rocprim17ROCPRIM_400000_NS6detail17trampoline_kernelINS0_13select_configILj256ELj13ELNS0_17block_load_methodE3ELS4_3ELS4_3ELNS0_20block_scan_algorithmE0ELj4294967295EEENS1_25partition_config_selectorILNS1_17partition_subalgoE4EjNS0_10empty_typeEbEEZZNS1_14partition_implILS8_4ELb0ES6_15HIP_vector_typeIjLj2EENS0_17counting_iteratorIjlEEPS9_SG_NS0_5tupleIJPjSI_NS0_16reverse_iteratorISI_EEEEENSH_IJSG_SG_SG_EEES9_SI_JZNS1_25segmented_radix_sort_implINS0_14default_configELb0EPKaPaPKlPlN2at6native12_GLOBAL__N_18offset_tEEE10hipError_tPvRmT1_PNSt15iterator_traitsIS12_E10value_typeET2_T3_PNS13_IS18_E10value_typeET4_jRbjT5_S1E_jjP12ihipStream_tbEUljE_ZNSN_ISO_Lb0ESQ_SR_ST_SU_SY_EESZ_S10_S11_S12_S16_S17_S18_S1B_S1C_jS1D_jS1E_S1E_jjS1G_bEUljE0_EEESZ_S10_S11_S18_S1C_S1E_T6_T7_T9_mT8_S1G_bDpT10_ENKUlT_T0_E_clISt17integral_constantIbLb1EES1T_IbLb0EEEEDaS1P_S1Q_EUlS1P_E_NS1_11comp_targetILNS1_3genE3ELNS1_11target_archE908ELNS1_3gpuE7ELNS1_3repE0EEENS1_30default_config_static_selectorELNS0_4arch9wavefront6targetE0EEEvS12_.num_named_barrier, 0
	.set _ZN7rocprim17ROCPRIM_400000_NS6detail17trampoline_kernelINS0_13select_configILj256ELj13ELNS0_17block_load_methodE3ELS4_3ELS4_3ELNS0_20block_scan_algorithmE0ELj4294967295EEENS1_25partition_config_selectorILNS1_17partition_subalgoE4EjNS0_10empty_typeEbEEZZNS1_14partition_implILS8_4ELb0ES6_15HIP_vector_typeIjLj2EENS0_17counting_iteratorIjlEEPS9_SG_NS0_5tupleIJPjSI_NS0_16reverse_iteratorISI_EEEEENSH_IJSG_SG_SG_EEES9_SI_JZNS1_25segmented_radix_sort_implINS0_14default_configELb0EPKaPaPKlPlN2at6native12_GLOBAL__N_18offset_tEEE10hipError_tPvRmT1_PNSt15iterator_traitsIS12_E10value_typeET2_T3_PNS13_IS18_E10value_typeET4_jRbjT5_S1E_jjP12ihipStream_tbEUljE_ZNSN_ISO_Lb0ESQ_SR_ST_SU_SY_EESZ_S10_S11_S12_S16_S17_S18_S1B_S1C_jS1D_jS1E_S1E_jjS1G_bEUljE0_EEESZ_S10_S11_S18_S1C_S1E_T6_T7_T9_mT8_S1G_bDpT10_ENKUlT_T0_E_clISt17integral_constantIbLb1EES1T_IbLb0EEEEDaS1P_S1Q_EUlS1P_E_NS1_11comp_targetILNS1_3genE3ELNS1_11target_archE908ELNS1_3gpuE7ELNS1_3repE0EEENS1_30default_config_static_selectorELNS0_4arch9wavefront6targetE0EEEvS12_.private_seg_size, 0
	.set _ZN7rocprim17ROCPRIM_400000_NS6detail17trampoline_kernelINS0_13select_configILj256ELj13ELNS0_17block_load_methodE3ELS4_3ELS4_3ELNS0_20block_scan_algorithmE0ELj4294967295EEENS1_25partition_config_selectorILNS1_17partition_subalgoE4EjNS0_10empty_typeEbEEZZNS1_14partition_implILS8_4ELb0ES6_15HIP_vector_typeIjLj2EENS0_17counting_iteratorIjlEEPS9_SG_NS0_5tupleIJPjSI_NS0_16reverse_iteratorISI_EEEEENSH_IJSG_SG_SG_EEES9_SI_JZNS1_25segmented_radix_sort_implINS0_14default_configELb0EPKaPaPKlPlN2at6native12_GLOBAL__N_18offset_tEEE10hipError_tPvRmT1_PNSt15iterator_traitsIS12_E10value_typeET2_T3_PNS13_IS18_E10value_typeET4_jRbjT5_S1E_jjP12ihipStream_tbEUljE_ZNSN_ISO_Lb0ESQ_SR_ST_SU_SY_EESZ_S10_S11_S12_S16_S17_S18_S1B_S1C_jS1D_jS1E_S1E_jjS1G_bEUljE0_EEESZ_S10_S11_S18_S1C_S1E_T6_T7_T9_mT8_S1G_bDpT10_ENKUlT_T0_E_clISt17integral_constantIbLb1EES1T_IbLb0EEEEDaS1P_S1Q_EUlS1P_E_NS1_11comp_targetILNS1_3genE3ELNS1_11target_archE908ELNS1_3gpuE7ELNS1_3repE0EEENS1_30default_config_static_selectorELNS0_4arch9wavefront6targetE0EEEvS12_.uses_vcc, 0
	.set _ZN7rocprim17ROCPRIM_400000_NS6detail17trampoline_kernelINS0_13select_configILj256ELj13ELNS0_17block_load_methodE3ELS4_3ELS4_3ELNS0_20block_scan_algorithmE0ELj4294967295EEENS1_25partition_config_selectorILNS1_17partition_subalgoE4EjNS0_10empty_typeEbEEZZNS1_14partition_implILS8_4ELb0ES6_15HIP_vector_typeIjLj2EENS0_17counting_iteratorIjlEEPS9_SG_NS0_5tupleIJPjSI_NS0_16reverse_iteratorISI_EEEEENSH_IJSG_SG_SG_EEES9_SI_JZNS1_25segmented_radix_sort_implINS0_14default_configELb0EPKaPaPKlPlN2at6native12_GLOBAL__N_18offset_tEEE10hipError_tPvRmT1_PNSt15iterator_traitsIS12_E10value_typeET2_T3_PNS13_IS18_E10value_typeET4_jRbjT5_S1E_jjP12ihipStream_tbEUljE_ZNSN_ISO_Lb0ESQ_SR_ST_SU_SY_EESZ_S10_S11_S12_S16_S17_S18_S1B_S1C_jS1D_jS1E_S1E_jjS1G_bEUljE0_EEESZ_S10_S11_S18_S1C_S1E_T6_T7_T9_mT8_S1G_bDpT10_ENKUlT_T0_E_clISt17integral_constantIbLb1EES1T_IbLb0EEEEDaS1P_S1Q_EUlS1P_E_NS1_11comp_targetILNS1_3genE3ELNS1_11target_archE908ELNS1_3gpuE7ELNS1_3repE0EEENS1_30default_config_static_selectorELNS0_4arch9wavefront6targetE0EEEvS12_.uses_flat_scratch, 0
	.set _ZN7rocprim17ROCPRIM_400000_NS6detail17trampoline_kernelINS0_13select_configILj256ELj13ELNS0_17block_load_methodE3ELS4_3ELS4_3ELNS0_20block_scan_algorithmE0ELj4294967295EEENS1_25partition_config_selectorILNS1_17partition_subalgoE4EjNS0_10empty_typeEbEEZZNS1_14partition_implILS8_4ELb0ES6_15HIP_vector_typeIjLj2EENS0_17counting_iteratorIjlEEPS9_SG_NS0_5tupleIJPjSI_NS0_16reverse_iteratorISI_EEEEENSH_IJSG_SG_SG_EEES9_SI_JZNS1_25segmented_radix_sort_implINS0_14default_configELb0EPKaPaPKlPlN2at6native12_GLOBAL__N_18offset_tEEE10hipError_tPvRmT1_PNSt15iterator_traitsIS12_E10value_typeET2_T3_PNS13_IS18_E10value_typeET4_jRbjT5_S1E_jjP12ihipStream_tbEUljE_ZNSN_ISO_Lb0ESQ_SR_ST_SU_SY_EESZ_S10_S11_S12_S16_S17_S18_S1B_S1C_jS1D_jS1E_S1E_jjS1G_bEUljE0_EEESZ_S10_S11_S18_S1C_S1E_T6_T7_T9_mT8_S1G_bDpT10_ENKUlT_T0_E_clISt17integral_constantIbLb1EES1T_IbLb0EEEEDaS1P_S1Q_EUlS1P_E_NS1_11comp_targetILNS1_3genE3ELNS1_11target_archE908ELNS1_3gpuE7ELNS1_3repE0EEENS1_30default_config_static_selectorELNS0_4arch9wavefront6targetE0EEEvS12_.has_dyn_sized_stack, 0
	.set _ZN7rocprim17ROCPRIM_400000_NS6detail17trampoline_kernelINS0_13select_configILj256ELj13ELNS0_17block_load_methodE3ELS4_3ELS4_3ELNS0_20block_scan_algorithmE0ELj4294967295EEENS1_25partition_config_selectorILNS1_17partition_subalgoE4EjNS0_10empty_typeEbEEZZNS1_14partition_implILS8_4ELb0ES6_15HIP_vector_typeIjLj2EENS0_17counting_iteratorIjlEEPS9_SG_NS0_5tupleIJPjSI_NS0_16reverse_iteratorISI_EEEEENSH_IJSG_SG_SG_EEES9_SI_JZNS1_25segmented_radix_sort_implINS0_14default_configELb0EPKaPaPKlPlN2at6native12_GLOBAL__N_18offset_tEEE10hipError_tPvRmT1_PNSt15iterator_traitsIS12_E10value_typeET2_T3_PNS13_IS18_E10value_typeET4_jRbjT5_S1E_jjP12ihipStream_tbEUljE_ZNSN_ISO_Lb0ESQ_SR_ST_SU_SY_EESZ_S10_S11_S12_S16_S17_S18_S1B_S1C_jS1D_jS1E_S1E_jjS1G_bEUljE0_EEESZ_S10_S11_S18_S1C_S1E_T6_T7_T9_mT8_S1G_bDpT10_ENKUlT_T0_E_clISt17integral_constantIbLb1EES1T_IbLb0EEEEDaS1P_S1Q_EUlS1P_E_NS1_11comp_targetILNS1_3genE3ELNS1_11target_archE908ELNS1_3gpuE7ELNS1_3repE0EEENS1_30default_config_static_selectorELNS0_4arch9wavefront6targetE0EEEvS12_.has_recursion, 0
	.set _ZN7rocprim17ROCPRIM_400000_NS6detail17trampoline_kernelINS0_13select_configILj256ELj13ELNS0_17block_load_methodE3ELS4_3ELS4_3ELNS0_20block_scan_algorithmE0ELj4294967295EEENS1_25partition_config_selectorILNS1_17partition_subalgoE4EjNS0_10empty_typeEbEEZZNS1_14partition_implILS8_4ELb0ES6_15HIP_vector_typeIjLj2EENS0_17counting_iteratorIjlEEPS9_SG_NS0_5tupleIJPjSI_NS0_16reverse_iteratorISI_EEEEENSH_IJSG_SG_SG_EEES9_SI_JZNS1_25segmented_radix_sort_implINS0_14default_configELb0EPKaPaPKlPlN2at6native12_GLOBAL__N_18offset_tEEE10hipError_tPvRmT1_PNSt15iterator_traitsIS12_E10value_typeET2_T3_PNS13_IS18_E10value_typeET4_jRbjT5_S1E_jjP12ihipStream_tbEUljE_ZNSN_ISO_Lb0ESQ_SR_ST_SU_SY_EESZ_S10_S11_S12_S16_S17_S18_S1B_S1C_jS1D_jS1E_S1E_jjS1G_bEUljE0_EEESZ_S10_S11_S18_S1C_S1E_T6_T7_T9_mT8_S1G_bDpT10_ENKUlT_T0_E_clISt17integral_constantIbLb1EES1T_IbLb0EEEEDaS1P_S1Q_EUlS1P_E_NS1_11comp_targetILNS1_3genE3ELNS1_11target_archE908ELNS1_3gpuE7ELNS1_3repE0EEENS1_30default_config_static_selectorELNS0_4arch9wavefront6targetE0EEEvS12_.has_indirect_call, 0
	.section	.AMDGPU.csdata,"",@progbits
; Kernel info:
; codeLenInByte = 0
; TotalNumSgprs: 0
; NumVgprs: 0
; ScratchSize: 0
; MemoryBound: 0
; FloatMode: 240
; IeeeMode: 1
; LDSByteSize: 0 bytes/workgroup (compile time only)
; SGPRBlocks: 0
; VGPRBlocks: 0
; NumSGPRsForWavesPerEU: 1
; NumVGPRsForWavesPerEU: 1
; NamedBarCnt: 0
; Occupancy: 16
; WaveLimiterHint : 0
; COMPUTE_PGM_RSRC2:SCRATCH_EN: 0
; COMPUTE_PGM_RSRC2:USER_SGPR: 2
; COMPUTE_PGM_RSRC2:TRAP_HANDLER: 0
; COMPUTE_PGM_RSRC2:TGID_X_EN: 1
; COMPUTE_PGM_RSRC2:TGID_Y_EN: 0
; COMPUTE_PGM_RSRC2:TGID_Z_EN: 0
; COMPUTE_PGM_RSRC2:TIDIG_COMP_CNT: 0
	.section	.text._ZN7rocprim17ROCPRIM_400000_NS6detail17trampoline_kernelINS0_13select_configILj256ELj13ELNS0_17block_load_methodE3ELS4_3ELS4_3ELNS0_20block_scan_algorithmE0ELj4294967295EEENS1_25partition_config_selectorILNS1_17partition_subalgoE4EjNS0_10empty_typeEbEEZZNS1_14partition_implILS8_4ELb0ES6_15HIP_vector_typeIjLj2EENS0_17counting_iteratorIjlEEPS9_SG_NS0_5tupleIJPjSI_NS0_16reverse_iteratorISI_EEEEENSH_IJSG_SG_SG_EEES9_SI_JZNS1_25segmented_radix_sort_implINS0_14default_configELb0EPKaPaPKlPlN2at6native12_GLOBAL__N_18offset_tEEE10hipError_tPvRmT1_PNSt15iterator_traitsIS12_E10value_typeET2_T3_PNS13_IS18_E10value_typeET4_jRbjT5_S1E_jjP12ihipStream_tbEUljE_ZNSN_ISO_Lb0ESQ_SR_ST_SU_SY_EESZ_S10_S11_S12_S16_S17_S18_S1B_S1C_jS1D_jS1E_S1E_jjS1G_bEUljE0_EEESZ_S10_S11_S18_S1C_S1E_T6_T7_T9_mT8_S1G_bDpT10_ENKUlT_T0_E_clISt17integral_constantIbLb1EES1T_IbLb0EEEEDaS1P_S1Q_EUlS1P_E_NS1_11comp_targetILNS1_3genE2ELNS1_11target_archE906ELNS1_3gpuE6ELNS1_3repE0EEENS1_30default_config_static_selectorELNS0_4arch9wavefront6targetE0EEEvS12_,"axG",@progbits,_ZN7rocprim17ROCPRIM_400000_NS6detail17trampoline_kernelINS0_13select_configILj256ELj13ELNS0_17block_load_methodE3ELS4_3ELS4_3ELNS0_20block_scan_algorithmE0ELj4294967295EEENS1_25partition_config_selectorILNS1_17partition_subalgoE4EjNS0_10empty_typeEbEEZZNS1_14partition_implILS8_4ELb0ES6_15HIP_vector_typeIjLj2EENS0_17counting_iteratorIjlEEPS9_SG_NS0_5tupleIJPjSI_NS0_16reverse_iteratorISI_EEEEENSH_IJSG_SG_SG_EEES9_SI_JZNS1_25segmented_radix_sort_implINS0_14default_configELb0EPKaPaPKlPlN2at6native12_GLOBAL__N_18offset_tEEE10hipError_tPvRmT1_PNSt15iterator_traitsIS12_E10value_typeET2_T3_PNS13_IS18_E10value_typeET4_jRbjT5_S1E_jjP12ihipStream_tbEUljE_ZNSN_ISO_Lb0ESQ_SR_ST_SU_SY_EESZ_S10_S11_S12_S16_S17_S18_S1B_S1C_jS1D_jS1E_S1E_jjS1G_bEUljE0_EEESZ_S10_S11_S18_S1C_S1E_T6_T7_T9_mT8_S1G_bDpT10_ENKUlT_T0_E_clISt17integral_constantIbLb1EES1T_IbLb0EEEEDaS1P_S1Q_EUlS1P_E_NS1_11comp_targetILNS1_3genE2ELNS1_11target_archE906ELNS1_3gpuE6ELNS1_3repE0EEENS1_30default_config_static_selectorELNS0_4arch9wavefront6targetE0EEEvS12_,comdat
	.globl	_ZN7rocprim17ROCPRIM_400000_NS6detail17trampoline_kernelINS0_13select_configILj256ELj13ELNS0_17block_load_methodE3ELS4_3ELS4_3ELNS0_20block_scan_algorithmE0ELj4294967295EEENS1_25partition_config_selectorILNS1_17partition_subalgoE4EjNS0_10empty_typeEbEEZZNS1_14partition_implILS8_4ELb0ES6_15HIP_vector_typeIjLj2EENS0_17counting_iteratorIjlEEPS9_SG_NS0_5tupleIJPjSI_NS0_16reverse_iteratorISI_EEEEENSH_IJSG_SG_SG_EEES9_SI_JZNS1_25segmented_radix_sort_implINS0_14default_configELb0EPKaPaPKlPlN2at6native12_GLOBAL__N_18offset_tEEE10hipError_tPvRmT1_PNSt15iterator_traitsIS12_E10value_typeET2_T3_PNS13_IS18_E10value_typeET4_jRbjT5_S1E_jjP12ihipStream_tbEUljE_ZNSN_ISO_Lb0ESQ_SR_ST_SU_SY_EESZ_S10_S11_S12_S16_S17_S18_S1B_S1C_jS1D_jS1E_S1E_jjS1G_bEUljE0_EEESZ_S10_S11_S18_S1C_S1E_T6_T7_T9_mT8_S1G_bDpT10_ENKUlT_T0_E_clISt17integral_constantIbLb1EES1T_IbLb0EEEEDaS1P_S1Q_EUlS1P_E_NS1_11comp_targetILNS1_3genE2ELNS1_11target_archE906ELNS1_3gpuE6ELNS1_3repE0EEENS1_30default_config_static_selectorELNS0_4arch9wavefront6targetE0EEEvS12_ ; -- Begin function _ZN7rocprim17ROCPRIM_400000_NS6detail17trampoline_kernelINS0_13select_configILj256ELj13ELNS0_17block_load_methodE3ELS4_3ELS4_3ELNS0_20block_scan_algorithmE0ELj4294967295EEENS1_25partition_config_selectorILNS1_17partition_subalgoE4EjNS0_10empty_typeEbEEZZNS1_14partition_implILS8_4ELb0ES6_15HIP_vector_typeIjLj2EENS0_17counting_iteratorIjlEEPS9_SG_NS0_5tupleIJPjSI_NS0_16reverse_iteratorISI_EEEEENSH_IJSG_SG_SG_EEES9_SI_JZNS1_25segmented_radix_sort_implINS0_14default_configELb0EPKaPaPKlPlN2at6native12_GLOBAL__N_18offset_tEEE10hipError_tPvRmT1_PNSt15iterator_traitsIS12_E10value_typeET2_T3_PNS13_IS18_E10value_typeET4_jRbjT5_S1E_jjP12ihipStream_tbEUljE_ZNSN_ISO_Lb0ESQ_SR_ST_SU_SY_EESZ_S10_S11_S12_S16_S17_S18_S1B_S1C_jS1D_jS1E_S1E_jjS1G_bEUljE0_EEESZ_S10_S11_S18_S1C_S1E_T6_T7_T9_mT8_S1G_bDpT10_ENKUlT_T0_E_clISt17integral_constantIbLb1EES1T_IbLb0EEEEDaS1P_S1Q_EUlS1P_E_NS1_11comp_targetILNS1_3genE2ELNS1_11target_archE906ELNS1_3gpuE6ELNS1_3repE0EEENS1_30default_config_static_selectorELNS0_4arch9wavefront6targetE0EEEvS12_
	.p2align	8
	.type	_ZN7rocprim17ROCPRIM_400000_NS6detail17trampoline_kernelINS0_13select_configILj256ELj13ELNS0_17block_load_methodE3ELS4_3ELS4_3ELNS0_20block_scan_algorithmE0ELj4294967295EEENS1_25partition_config_selectorILNS1_17partition_subalgoE4EjNS0_10empty_typeEbEEZZNS1_14partition_implILS8_4ELb0ES6_15HIP_vector_typeIjLj2EENS0_17counting_iteratorIjlEEPS9_SG_NS0_5tupleIJPjSI_NS0_16reverse_iteratorISI_EEEEENSH_IJSG_SG_SG_EEES9_SI_JZNS1_25segmented_radix_sort_implINS0_14default_configELb0EPKaPaPKlPlN2at6native12_GLOBAL__N_18offset_tEEE10hipError_tPvRmT1_PNSt15iterator_traitsIS12_E10value_typeET2_T3_PNS13_IS18_E10value_typeET4_jRbjT5_S1E_jjP12ihipStream_tbEUljE_ZNSN_ISO_Lb0ESQ_SR_ST_SU_SY_EESZ_S10_S11_S12_S16_S17_S18_S1B_S1C_jS1D_jS1E_S1E_jjS1G_bEUljE0_EEESZ_S10_S11_S18_S1C_S1E_T6_T7_T9_mT8_S1G_bDpT10_ENKUlT_T0_E_clISt17integral_constantIbLb1EES1T_IbLb0EEEEDaS1P_S1Q_EUlS1P_E_NS1_11comp_targetILNS1_3genE2ELNS1_11target_archE906ELNS1_3gpuE6ELNS1_3repE0EEENS1_30default_config_static_selectorELNS0_4arch9wavefront6targetE0EEEvS12_,@function
_ZN7rocprim17ROCPRIM_400000_NS6detail17trampoline_kernelINS0_13select_configILj256ELj13ELNS0_17block_load_methodE3ELS4_3ELS4_3ELNS0_20block_scan_algorithmE0ELj4294967295EEENS1_25partition_config_selectorILNS1_17partition_subalgoE4EjNS0_10empty_typeEbEEZZNS1_14partition_implILS8_4ELb0ES6_15HIP_vector_typeIjLj2EENS0_17counting_iteratorIjlEEPS9_SG_NS0_5tupleIJPjSI_NS0_16reverse_iteratorISI_EEEEENSH_IJSG_SG_SG_EEES9_SI_JZNS1_25segmented_radix_sort_implINS0_14default_configELb0EPKaPaPKlPlN2at6native12_GLOBAL__N_18offset_tEEE10hipError_tPvRmT1_PNSt15iterator_traitsIS12_E10value_typeET2_T3_PNS13_IS18_E10value_typeET4_jRbjT5_S1E_jjP12ihipStream_tbEUljE_ZNSN_ISO_Lb0ESQ_SR_ST_SU_SY_EESZ_S10_S11_S12_S16_S17_S18_S1B_S1C_jS1D_jS1E_S1E_jjS1G_bEUljE0_EEESZ_S10_S11_S18_S1C_S1E_T6_T7_T9_mT8_S1G_bDpT10_ENKUlT_T0_E_clISt17integral_constantIbLb1EES1T_IbLb0EEEEDaS1P_S1Q_EUlS1P_E_NS1_11comp_targetILNS1_3genE2ELNS1_11target_archE906ELNS1_3gpuE6ELNS1_3repE0EEENS1_30default_config_static_selectorELNS0_4arch9wavefront6targetE0EEEvS12_: ; @_ZN7rocprim17ROCPRIM_400000_NS6detail17trampoline_kernelINS0_13select_configILj256ELj13ELNS0_17block_load_methodE3ELS4_3ELS4_3ELNS0_20block_scan_algorithmE0ELj4294967295EEENS1_25partition_config_selectorILNS1_17partition_subalgoE4EjNS0_10empty_typeEbEEZZNS1_14partition_implILS8_4ELb0ES6_15HIP_vector_typeIjLj2EENS0_17counting_iteratorIjlEEPS9_SG_NS0_5tupleIJPjSI_NS0_16reverse_iteratorISI_EEEEENSH_IJSG_SG_SG_EEES9_SI_JZNS1_25segmented_radix_sort_implINS0_14default_configELb0EPKaPaPKlPlN2at6native12_GLOBAL__N_18offset_tEEE10hipError_tPvRmT1_PNSt15iterator_traitsIS12_E10value_typeET2_T3_PNS13_IS18_E10value_typeET4_jRbjT5_S1E_jjP12ihipStream_tbEUljE_ZNSN_ISO_Lb0ESQ_SR_ST_SU_SY_EESZ_S10_S11_S12_S16_S17_S18_S1B_S1C_jS1D_jS1E_S1E_jjS1G_bEUljE0_EEESZ_S10_S11_S18_S1C_S1E_T6_T7_T9_mT8_S1G_bDpT10_ENKUlT_T0_E_clISt17integral_constantIbLb1EES1T_IbLb0EEEEDaS1P_S1Q_EUlS1P_E_NS1_11comp_targetILNS1_3genE2ELNS1_11target_archE906ELNS1_3gpuE6ELNS1_3repE0EEENS1_30default_config_static_selectorELNS0_4arch9wavefront6targetE0EEEvS12_
; %bb.0:
	.section	.rodata,"a",@progbits
	.p2align	6, 0x0
	.amdhsa_kernel _ZN7rocprim17ROCPRIM_400000_NS6detail17trampoline_kernelINS0_13select_configILj256ELj13ELNS0_17block_load_methodE3ELS4_3ELS4_3ELNS0_20block_scan_algorithmE0ELj4294967295EEENS1_25partition_config_selectorILNS1_17partition_subalgoE4EjNS0_10empty_typeEbEEZZNS1_14partition_implILS8_4ELb0ES6_15HIP_vector_typeIjLj2EENS0_17counting_iteratorIjlEEPS9_SG_NS0_5tupleIJPjSI_NS0_16reverse_iteratorISI_EEEEENSH_IJSG_SG_SG_EEES9_SI_JZNS1_25segmented_radix_sort_implINS0_14default_configELb0EPKaPaPKlPlN2at6native12_GLOBAL__N_18offset_tEEE10hipError_tPvRmT1_PNSt15iterator_traitsIS12_E10value_typeET2_T3_PNS13_IS18_E10value_typeET4_jRbjT5_S1E_jjP12ihipStream_tbEUljE_ZNSN_ISO_Lb0ESQ_SR_ST_SU_SY_EESZ_S10_S11_S12_S16_S17_S18_S1B_S1C_jS1D_jS1E_S1E_jjS1G_bEUljE0_EEESZ_S10_S11_S18_S1C_S1E_T6_T7_T9_mT8_S1G_bDpT10_ENKUlT_T0_E_clISt17integral_constantIbLb1EES1T_IbLb0EEEEDaS1P_S1Q_EUlS1P_E_NS1_11comp_targetILNS1_3genE2ELNS1_11target_archE906ELNS1_3gpuE6ELNS1_3repE0EEENS1_30default_config_static_selectorELNS0_4arch9wavefront6targetE0EEEvS12_
		.amdhsa_group_segment_fixed_size 0
		.amdhsa_private_segment_fixed_size 0
		.amdhsa_kernarg_size 176
		.amdhsa_user_sgpr_count 2
		.amdhsa_user_sgpr_dispatch_ptr 0
		.amdhsa_user_sgpr_queue_ptr 0
		.amdhsa_user_sgpr_kernarg_segment_ptr 1
		.amdhsa_user_sgpr_dispatch_id 0
		.amdhsa_user_sgpr_kernarg_preload_length 0
		.amdhsa_user_sgpr_kernarg_preload_offset 0
		.amdhsa_user_sgpr_private_segment_size 0
		.amdhsa_wavefront_size32 1
		.amdhsa_uses_dynamic_stack 0
		.amdhsa_enable_private_segment 0
		.amdhsa_system_sgpr_workgroup_id_x 1
		.amdhsa_system_sgpr_workgroup_id_y 0
		.amdhsa_system_sgpr_workgroup_id_z 0
		.amdhsa_system_sgpr_workgroup_info 0
		.amdhsa_system_vgpr_workitem_id 0
		.amdhsa_next_free_vgpr 1
		.amdhsa_next_free_sgpr 1
		.amdhsa_named_barrier_count 0
		.amdhsa_reserve_vcc 0
		.amdhsa_float_round_mode_32 0
		.amdhsa_float_round_mode_16_64 0
		.amdhsa_float_denorm_mode_32 3
		.amdhsa_float_denorm_mode_16_64 3
		.amdhsa_fp16_overflow 0
		.amdhsa_memory_ordered 1
		.amdhsa_forward_progress 1
		.amdhsa_inst_pref_size 0
		.amdhsa_round_robin_scheduling 0
		.amdhsa_exception_fp_ieee_invalid_op 0
		.amdhsa_exception_fp_denorm_src 0
		.amdhsa_exception_fp_ieee_div_zero 0
		.amdhsa_exception_fp_ieee_overflow 0
		.amdhsa_exception_fp_ieee_underflow 0
		.amdhsa_exception_fp_ieee_inexact 0
		.amdhsa_exception_int_div_zero 0
	.end_amdhsa_kernel
	.section	.text._ZN7rocprim17ROCPRIM_400000_NS6detail17trampoline_kernelINS0_13select_configILj256ELj13ELNS0_17block_load_methodE3ELS4_3ELS4_3ELNS0_20block_scan_algorithmE0ELj4294967295EEENS1_25partition_config_selectorILNS1_17partition_subalgoE4EjNS0_10empty_typeEbEEZZNS1_14partition_implILS8_4ELb0ES6_15HIP_vector_typeIjLj2EENS0_17counting_iteratorIjlEEPS9_SG_NS0_5tupleIJPjSI_NS0_16reverse_iteratorISI_EEEEENSH_IJSG_SG_SG_EEES9_SI_JZNS1_25segmented_radix_sort_implINS0_14default_configELb0EPKaPaPKlPlN2at6native12_GLOBAL__N_18offset_tEEE10hipError_tPvRmT1_PNSt15iterator_traitsIS12_E10value_typeET2_T3_PNS13_IS18_E10value_typeET4_jRbjT5_S1E_jjP12ihipStream_tbEUljE_ZNSN_ISO_Lb0ESQ_SR_ST_SU_SY_EESZ_S10_S11_S12_S16_S17_S18_S1B_S1C_jS1D_jS1E_S1E_jjS1G_bEUljE0_EEESZ_S10_S11_S18_S1C_S1E_T6_T7_T9_mT8_S1G_bDpT10_ENKUlT_T0_E_clISt17integral_constantIbLb1EES1T_IbLb0EEEEDaS1P_S1Q_EUlS1P_E_NS1_11comp_targetILNS1_3genE2ELNS1_11target_archE906ELNS1_3gpuE6ELNS1_3repE0EEENS1_30default_config_static_selectorELNS0_4arch9wavefront6targetE0EEEvS12_,"axG",@progbits,_ZN7rocprim17ROCPRIM_400000_NS6detail17trampoline_kernelINS0_13select_configILj256ELj13ELNS0_17block_load_methodE3ELS4_3ELS4_3ELNS0_20block_scan_algorithmE0ELj4294967295EEENS1_25partition_config_selectorILNS1_17partition_subalgoE4EjNS0_10empty_typeEbEEZZNS1_14partition_implILS8_4ELb0ES6_15HIP_vector_typeIjLj2EENS0_17counting_iteratorIjlEEPS9_SG_NS0_5tupleIJPjSI_NS0_16reverse_iteratorISI_EEEEENSH_IJSG_SG_SG_EEES9_SI_JZNS1_25segmented_radix_sort_implINS0_14default_configELb0EPKaPaPKlPlN2at6native12_GLOBAL__N_18offset_tEEE10hipError_tPvRmT1_PNSt15iterator_traitsIS12_E10value_typeET2_T3_PNS13_IS18_E10value_typeET4_jRbjT5_S1E_jjP12ihipStream_tbEUljE_ZNSN_ISO_Lb0ESQ_SR_ST_SU_SY_EESZ_S10_S11_S12_S16_S17_S18_S1B_S1C_jS1D_jS1E_S1E_jjS1G_bEUljE0_EEESZ_S10_S11_S18_S1C_S1E_T6_T7_T9_mT8_S1G_bDpT10_ENKUlT_T0_E_clISt17integral_constantIbLb1EES1T_IbLb0EEEEDaS1P_S1Q_EUlS1P_E_NS1_11comp_targetILNS1_3genE2ELNS1_11target_archE906ELNS1_3gpuE6ELNS1_3repE0EEENS1_30default_config_static_selectorELNS0_4arch9wavefront6targetE0EEEvS12_,comdat
.Lfunc_end346:
	.size	_ZN7rocprim17ROCPRIM_400000_NS6detail17trampoline_kernelINS0_13select_configILj256ELj13ELNS0_17block_load_methodE3ELS4_3ELS4_3ELNS0_20block_scan_algorithmE0ELj4294967295EEENS1_25partition_config_selectorILNS1_17partition_subalgoE4EjNS0_10empty_typeEbEEZZNS1_14partition_implILS8_4ELb0ES6_15HIP_vector_typeIjLj2EENS0_17counting_iteratorIjlEEPS9_SG_NS0_5tupleIJPjSI_NS0_16reverse_iteratorISI_EEEEENSH_IJSG_SG_SG_EEES9_SI_JZNS1_25segmented_radix_sort_implINS0_14default_configELb0EPKaPaPKlPlN2at6native12_GLOBAL__N_18offset_tEEE10hipError_tPvRmT1_PNSt15iterator_traitsIS12_E10value_typeET2_T3_PNS13_IS18_E10value_typeET4_jRbjT5_S1E_jjP12ihipStream_tbEUljE_ZNSN_ISO_Lb0ESQ_SR_ST_SU_SY_EESZ_S10_S11_S12_S16_S17_S18_S1B_S1C_jS1D_jS1E_S1E_jjS1G_bEUljE0_EEESZ_S10_S11_S18_S1C_S1E_T6_T7_T9_mT8_S1G_bDpT10_ENKUlT_T0_E_clISt17integral_constantIbLb1EES1T_IbLb0EEEEDaS1P_S1Q_EUlS1P_E_NS1_11comp_targetILNS1_3genE2ELNS1_11target_archE906ELNS1_3gpuE6ELNS1_3repE0EEENS1_30default_config_static_selectorELNS0_4arch9wavefront6targetE0EEEvS12_, .Lfunc_end346-_ZN7rocprim17ROCPRIM_400000_NS6detail17trampoline_kernelINS0_13select_configILj256ELj13ELNS0_17block_load_methodE3ELS4_3ELS4_3ELNS0_20block_scan_algorithmE0ELj4294967295EEENS1_25partition_config_selectorILNS1_17partition_subalgoE4EjNS0_10empty_typeEbEEZZNS1_14partition_implILS8_4ELb0ES6_15HIP_vector_typeIjLj2EENS0_17counting_iteratorIjlEEPS9_SG_NS0_5tupleIJPjSI_NS0_16reverse_iteratorISI_EEEEENSH_IJSG_SG_SG_EEES9_SI_JZNS1_25segmented_radix_sort_implINS0_14default_configELb0EPKaPaPKlPlN2at6native12_GLOBAL__N_18offset_tEEE10hipError_tPvRmT1_PNSt15iterator_traitsIS12_E10value_typeET2_T3_PNS13_IS18_E10value_typeET4_jRbjT5_S1E_jjP12ihipStream_tbEUljE_ZNSN_ISO_Lb0ESQ_SR_ST_SU_SY_EESZ_S10_S11_S12_S16_S17_S18_S1B_S1C_jS1D_jS1E_S1E_jjS1G_bEUljE0_EEESZ_S10_S11_S18_S1C_S1E_T6_T7_T9_mT8_S1G_bDpT10_ENKUlT_T0_E_clISt17integral_constantIbLb1EES1T_IbLb0EEEEDaS1P_S1Q_EUlS1P_E_NS1_11comp_targetILNS1_3genE2ELNS1_11target_archE906ELNS1_3gpuE6ELNS1_3repE0EEENS1_30default_config_static_selectorELNS0_4arch9wavefront6targetE0EEEvS12_
                                        ; -- End function
	.set _ZN7rocprim17ROCPRIM_400000_NS6detail17trampoline_kernelINS0_13select_configILj256ELj13ELNS0_17block_load_methodE3ELS4_3ELS4_3ELNS0_20block_scan_algorithmE0ELj4294967295EEENS1_25partition_config_selectorILNS1_17partition_subalgoE4EjNS0_10empty_typeEbEEZZNS1_14partition_implILS8_4ELb0ES6_15HIP_vector_typeIjLj2EENS0_17counting_iteratorIjlEEPS9_SG_NS0_5tupleIJPjSI_NS0_16reverse_iteratorISI_EEEEENSH_IJSG_SG_SG_EEES9_SI_JZNS1_25segmented_radix_sort_implINS0_14default_configELb0EPKaPaPKlPlN2at6native12_GLOBAL__N_18offset_tEEE10hipError_tPvRmT1_PNSt15iterator_traitsIS12_E10value_typeET2_T3_PNS13_IS18_E10value_typeET4_jRbjT5_S1E_jjP12ihipStream_tbEUljE_ZNSN_ISO_Lb0ESQ_SR_ST_SU_SY_EESZ_S10_S11_S12_S16_S17_S18_S1B_S1C_jS1D_jS1E_S1E_jjS1G_bEUljE0_EEESZ_S10_S11_S18_S1C_S1E_T6_T7_T9_mT8_S1G_bDpT10_ENKUlT_T0_E_clISt17integral_constantIbLb1EES1T_IbLb0EEEEDaS1P_S1Q_EUlS1P_E_NS1_11comp_targetILNS1_3genE2ELNS1_11target_archE906ELNS1_3gpuE6ELNS1_3repE0EEENS1_30default_config_static_selectorELNS0_4arch9wavefront6targetE0EEEvS12_.num_vgpr, 0
	.set _ZN7rocprim17ROCPRIM_400000_NS6detail17trampoline_kernelINS0_13select_configILj256ELj13ELNS0_17block_load_methodE3ELS4_3ELS4_3ELNS0_20block_scan_algorithmE0ELj4294967295EEENS1_25partition_config_selectorILNS1_17partition_subalgoE4EjNS0_10empty_typeEbEEZZNS1_14partition_implILS8_4ELb0ES6_15HIP_vector_typeIjLj2EENS0_17counting_iteratorIjlEEPS9_SG_NS0_5tupleIJPjSI_NS0_16reverse_iteratorISI_EEEEENSH_IJSG_SG_SG_EEES9_SI_JZNS1_25segmented_radix_sort_implINS0_14default_configELb0EPKaPaPKlPlN2at6native12_GLOBAL__N_18offset_tEEE10hipError_tPvRmT1_PNSt15iterator_traitsIS12_E10value_typeET2_T3_PNS13_IS18_E10value_typeET4_jRbjT5_S1E_jjP12ihipStream_tbEUljE_ZNSN_ISO_Lb0ESQ_SR_ST_SU_SY_EESZ_S10_S11_S12_S16_S17_S18_S1B_S1C_jS1D_jS1E_S1E_jjS1G_bEUljE0_EEESZ_S10_S11_S18_S1C_S1E_T6_T7_T9_mT8_S1G_bDpT10_ENKUlT_T0_E_clISt17integral_constantIbLb1EES1T_IbLb0EEEEDaS1P_S1Q_EUlS1P_E_NS1_11comp_targetILNS1_3genE2ELNS1_11target_archE906ELNS1_3gpuE6ELNS1_3repE0EEENS1_30default_config_static_selectorELNS0_4arch9wavefront6targetE0EEEvS12_.num_agpr, 0
	.set _ZN7rocprim17ROCPRIM_400000_NS6detail17trampoline_kernelINS0_13select_configILj256ELj13ELNS0_17block_load_methodE3ELS4_3ELS4_3ELNS0_20block_scan_algorithmE0ELj4294967295EEENS1_25partition_config_selectorILNS1_17partition_subalgoE4EjNS0_10empty_typeEbEEZZNS1_14partition_implILS8_4ELb0ES6_15HIP_vector_typeIjLj2EENS0_17counting_iteratorIjlEEPS9_SG_NS0_5tupleIJPjSI_NS0_16reverse_iteratorISI_EEEEENSH_IJSG_SG_SG_EEES9_SI_JZNS1_25segmented_radix_sort_implINS0_14default_configELb0EPKaPaPKlPlN2at6native12_GLOBAL__N_18offset_tEEE10hipError_tPvRmT1_PNSt15iterator_traitsIS12_E10value_typeET2_T3_PNS13_IS18_E10value_typeET4_jRbjT5_S1E_jjP12ihipStream_tbEUljE_ZNSN_ISO_Lb0ESQ_SR_ST_SU_SY_EESZ_S10_S11_S12_S16_S17_S18_S1B_S1C_jS1D_jS1E_S1E_jjS1G_bEUljE0_EEESZ_S10_S11_S18_S1C_S1E_T6_T7_T9_mT8_S1G_bDpT10_ENKUlT_T0_E_clISt17integral_constantIbLb1EES1T_IbLb0EEEEDaS1P_S1Q_EUlS1P_E_NS1_11comp_targetILNS1_3genE2ELNS1_11target_archE906ELNS1_3gpuE6ELNS1_3repE0EEENS1_30default_config_static_selectorELNS0_4arch9wavefront6targetE0EEEvS12_.numbered_sgpr, 0
	.set _ZN7rocprim17ROCPRIM_400000_NS6detail17trampoline_kernelINS0_13select_configILj256ELj13ELNS0_17block_load_methodE3ELS4_3ELS4_3ELNS0_20block_scan_algorithmE0ELj4294967295EEENS1_25partition_config_selectorILNS1_17partition_subalgoE4EjNS0_10empty_typeEbEEZZNS1_14partition_implILS8_4ELb0ES6_15HIP_vector_typeIjLj2EENS0_17counting_iteratorIjlEEPS9_SG_NS0_5tupleIJPjSI_NS0_16reverse_iteratorISI_EEEEENSH_IJSG_SG_SG_EEES9_SI_JZNS1_25segmented_radix_sort_implINS0_14default_configELb0EPKaPaPKlPlN2at6native12_GLOBAL__N_18offset_tEEE10hipError_tPvRmT1_PNSt15iterator_traitsIS12_E10value_typeET2_T3_PNS13_IS18_E10value_typeET4_jRbjT5_S1E_jjP12ihipStream_tbEUljE_ZNSN_ISO_Lb0ESQ_SR_ST_SU_SY_EESZ_S10_S11_S12_S16_S17_S18_S1B_S1C_jS1D_jS1E_S1E_jjS1G_bEUljE0_EEESZ_S10_S11_S18_S1C_S1E_T6_T7_T9_mT8_S1G_bDpT10_ENKUlT_T0_E_clISt17integral_constantIbLb1EES1T_IbLb0EEEEDaS1P_S1Q_EUlS1P_E_NS1_11comp_targetILNS1_3genE2ELNS1_11target_archE906ELNS1_3gpuE6ELNS1_3repE0EEENS1_30default_config_static_selectorELNS0_4arch9wavefront6targetE0EEEvS12_.num_named_barrier, 0
	.set _ZN7rocprim17ROCPRIM_400000_NS6detail17trampoline_kernelINS0_13select_configILj256ELj13ELNS0_17block_load_methodE3ELS4_3ELS4_3ELNS0_20block_scan_algorithmE0ELj4294967295EEENS1_25partition_config_selectorILNS1_17partition_subalgoE4EjNS0_10empty_typeEbEEZZNS1_14partition_implILS8_4ELb0ES6_15HIP_vector_typeIjLj2EENS0_17counting_iteratorIjlEEPS9_SG_NS0_5tupleIJPjSI_NS0_16reverse_iteratorISI_EEEEENSH_IJSG_SG_SG_EEES9_SI_JZNS1_25segmented_radix_sort_implINS0_14default_configELb0EPKaPaPKlPlN2at6native12_GLOBAL__N_18offset_tEEE10hipError_tPvRmT1_PNSt15iterator_traitsIS12_E10value_typeET2_T3_PNS13_IS18_E10value_typeET4_jRbjT5_S1E_jjP12ihipStream_tbEUljE_ZNSN_ISO_Lb0ESQ_SR_ST_SU_SY_EESZ_S10_S11_S12_S16_S17_S18_S1B_S1C_jS1D_jS1E_S1E_jjS1G_bEUljE0_EEESZ_S10_S11_S18_S1C_S1E_T6_T7_T9_mT8_S1G_bDpT10_ENKUlT_T0_E_clISt17integral_constantIbLb1EES1T_IbLb0EEEEDaS1P_S1Q_EUlS1P_E_NS1_11comp_targetILNS1_3genE2ELNS1_11target_archE906ELNS1_3gpuE6ELNS1_3repE0EEENS1_30default_config_static_selectorELNS0_4arch9wavefront6targetE0EEEvS12_.private_seg_size, 0
	.set _ZN7rocprim17ROCPRIM_400000_NS6detail17trampoline_kernelINS0_13select_configILj256ELj13ELNS0_17block_load_methodE3ELS4_3ELS4_3ELNS0_20block_scan_algorithmE0ELj4294967295EEENS1_25partition_config_selectorILNS1_17partition_subalgoE4EjNS0_10empty_typeEbEEZZNS1_14partition_implILS8_4ELb0ES6_15HIP_vector_typeIjLj2EENS0_17counting_iteratorIjlEEPS9_SG_NS0_5tupleIJPjSI_NS0_16reverse_iteratorISI_EEEEENSH_IJSG_SG_SG_EEES9_SI_JZNS1_25segmented_radix_sort_implINS0_14default_configELb0EPKaPaPKlPlN2at6native12_GLOBAL__N_18offset_tEEE10hipError_tPvRmT1_PNSt15iterator_traitsIS12_E10value_typeET2_T3_PNS13_IS18_E10value_typeET4_jRbjT5_S1E_jjP12ihipStream_tbEUljE_ZNSN_ISO_Lb0ESQ_SR_ST_SU_SY_EESZ_S10_S11_S12_S16_S17_S18_S1B_S1C_jS1D_jS1E_S1E_jjS1G_bEUljE0_EEESZ_S10_S11_S18_S1C_S1E_T6_T7_T9_mT8_S1G_bDpT10_ENKUlT_T0_E_clISt17integral_constantIbLb1EES1T_IbLb0EEEEDaS1P_S1Q_EUlS1P_E_NS1_11comp_targetILNS1_3genE2ELNS1_11target_archE906ELNS1_3gpuE6ELNS1_3repE0EEENS1_30default_config_static_selectorELNS0_4arch9wavefront6targetE0EEEvS12_.uses_vcc, 0
	.set _ZN7rocprim17ROCPRIM_400000_NS6detail17trampoline_kernelINS0_13select_configILj256ELj13ELNS0_17block_load_methodE3ELS4_3ELS4_3ELNS0_20block_scan_algorithmE0ELj4294967295EEENS1_25partition_config_selectorILNS1_17partition_subalgoE4EjNS0_10empty_typeEbEEZZNS1_14partition_implILS8_4ELb0ES6_15HIP_vector_typeIjLj2EENS0_17counting_iteratorIjlEEPS9_SG_NS0_5tupleIJPjSI_NS0_16reverse_iteratorISI_EEEEENSH_IJSG_SG_SG_EEES9_SI_JZNS1_25segmented_radix_sort_implINS0_14default_configELb0EPKaPaPKlPlN2at6native12_GLOBAL__N_18offset_tEEE10hipError_tPvRmT1_PNSt15iterator_traitsIS12_E10value_typeET2_T3_PNS13_IS18_E10value_typeET4_jRbjT5_S1E_jjP12ihipStream_tbEUljE_ZNSN_ISO_Lb0ESQ_SR_ST_SU_SY_EESZ_S10_S11_S12_S16_S17_S18_S1B_S1C_jS1D_jS1E_S1E_jjS1G_bEUljE0_EEESZ_S10_S11_S18_S1C_S1E_T6_T7_T9_mT8_S1G_bDpT10_ENKUlT_T0_E_clISt17integral_constantIbLb1EES1T_IbLb0EEEEDaS1P_S1Q_EUlS1P_E_NS1_11comp_targetILNS1_3genE2ELNS1_11target_archE906ELNS1_3gpuE6ELNS1_3repE0EEENS1_30default_config_static_selectorELNS0_4arch9wavefront6targetE0EEEvS12_.uses_flat_scratch, 0
	.set _ZN7rocprim17ROCPRIM_400000_NS6detail17trampoline_kernelINS0_13select_configILj256ELj13ELNS0_17block_load_methodE3ELS4_3ELS4_3ELNS0_20block_scan_algorithmE0ELj4294967295EEENS1_25partition_config_selectorILNS1_17partition_subalgoE4EjNS0_10empty_typeEbEEZZNS1_14partition_implILS8_4ELb0ES6_15HIP_vector_typeIjLj2EENS0_17counting_iteratorIjlEEPS9_SG_NS0_5tupleIJPjSI_NS0_16reverse_iteratorISI_EEEEENSH_IJSG_SG_SG_EEES9_SI_JZNS1_25segmented_radix_sort_implINS0_14default_configELb0EPKaPaPKlPlN2at6native12_GLOBAL__N_18offset_tEEE10hipError_tPvRmT1_PNSt15iterator_traitsIS12_E10value_typeET2_T3_PNS13_IS18_E10value_typeET4_jRbjT5_S1E_jjP12ihipStream_tbEUljE_ZNSN_ISO_Lb0ESQ_SR_ST_SU_SY_EESZ_S10_S11_S12_S16_S17_S18_S1B_S1C_jS1D_jS1E_S1E_jjS1G_bEUljE0_EEESZ_S10_S11_S18_S1C_S1E_T6_T7_T9_mT8_S1G_bDpT10_ENKUlT_T0_E_clISt17integral_constantIbLb1EES1T_IbLb0EEEEDaS1P_S1Q_EUlS1P_E_NS1_11comp_targetILNS1_3genE2ELNS1_11target_archE906ELNS1_3gpuE6ELNS1_3repE0EEENS1_30default_config_static_selectorELNS0_4arch9wavefront6targetE0EEEvS12_.has_dyn_sized_stack, 0
	.set _ZN7rocprim17ROCPRIM_400000_NS6detail17trampoline_kernelINS0_13select_configILj256ELj13ELNS0_17block_load_methodE3ELS4_3ELS4_3ELNS0_20block_scan_algorithmE0ELj4294967295EEENS1_25partition_config_selectorILNS1_17partition_subalgoE4EjNS0_10empty_typeEbEEZZNS1_14partition_implILS8_4ELb0ES6_15HIP_vector_typeIjLj2EENS0_17counting_iteratorIjlEEPS9_SG_NS0_5tupleIJPjSI_NS0_16reverse_iteratorISI_EEEEENSH_IJSG_SG_SG_EEES9_SI_JZNS1_25segmented_radix_sort_implINS0_14default_configELb0EPKaPaPKlPlN2at6native12_GLOBAL__N_18offset_tEEE10hipError_tPvRmT1_PNSt15iterator_traitsIS12_E10value_typeET2_T3_PNS13_IS18_E10value_typeET4_jRbjT5_S1E_jjP12ihipStream_tbEUljE_ZNSN_ISO_Lb0ESQ_SR_ST_SU_SY_EESZ_S10_S11_S12_S16_S17_S18_S1B_S1C_jS1D_jS1E_S1E_jjS1G_bEUljE0_EEESZ_S10_S11_S18_S1C_S1E_T6_T7_T9_mT8_S1G_bDpT10_ENKUlT_T0_E_clISt17integral_constantIbLb1EES1T_IbLb0EEEEDaS1P_S1Q_EUlS1P_E_NS1_11comp_targetILNS1_3genE2ELNS1_11target_archE906ELNS1_3gpuE6ELNS1_3repE0EEENS1_30default_config_static_selectorELNS0_4arch9wavefront6targetE0EEEvS12_.has_recursion, 0
	.set _ZN7rocprim17ROCPRIM_400000_NS6detail17trampoline_kernelINS0_13select_configILj256ELj13ELNS0_17block_load_methodE3ELS4_3ELS4_3ELNS0_20block_scan_algorithmE0ELj4294967295EEENS1_25partition_config_selectorILNS1_17partition_subalgoE4EjNS0_10empty_typeEbEEZZNS1_14partition_implILS8_4ELb0ES6_15HIP_vector_typeIjLj2EENS0_17counting_iteratorIjlEEPS9_SG_NS0_5tupleIJPjSI_NS0_16reverse_iteratorISI_EEEEENSH_IJSG_SG_SG_EEES9_SI_JZNS1_25segmented_radix_sort_implINS0_14default_configELb0EPKaPaPKlPlN2at6native12_GLOBAL__N_18offset_tEEE10hipError_tPvRmT1_PNSt15iterator_traitsIS12_E10value_typeET2_T3_PNS13_IS18_E10value_typeET4_jRbjT5_S1E_jjP12ihipStream_tbEUljE_ZNSN_ISO_Lb0ESQ_SR_ST_SU_SY_EESZ_S10_S11_S12_S16_S17_S18_S1B_S1C_jS1D_jS1E_S1E_jjS1G_bEUljE0_EEESZ_S10_S11_S18_S1C_S1E_T6_T7_T9_mT8_S1G_bDpT10_ENKUlT_T0_E_clISt17integral_constantIbLb1EES1T_IbLb0EEEEDaS1P_S1Q_EUlS1P_E_NS1_11comp_targetILNS1_3genE2ELNS1_11target_archE906ELNS1_3gpuE6ELNS1_3repE0EEENS1_30default_config_static_selectorELNS0_4arch9wavefront6targetE0EEEvS12_.has_indirect_call, 0
	.section	.AMDGPU.csdata,"",@progbits
; Kernel info:
; codeLenInByte = 0
; TotalNumSgprs: 0
; NumVgprs: 0
; ScratchSize: 0
; MemoryBound: 0
; FloatMode: 240
; IeeeMode: 1
; LDSByteSize: 0 bytes/workgroup (compile time only)
; SGPRBlocks: 0
; VGPRBlocks: 0
; NumSGPRsForWavesPerEU: 1
; NumVGPRsForWavesPerEU: 1
; NamedBarCnt: 0
; Occupancy: 16
; WaveLimiterHint : 0
; COMPUTE_PGM_RSRC2:SCRATCH_EN: 0
; COMPUTE_PGM_RSRC2:USER_SGPR: 2
; COMPUTE_PGM_RSRC2:TRAP_HANDLER: 0
; COMPUTE_PGM_RSRC2:TGID_X_EN: 1
; COMPUTE_PGM_RSRC2:TGID_Y_EN: 0
; COMPUTE_PGM_RSRC2:TGID_Z_EN: 0
; COMPUTE_PGM_RSRC2:TIDIG_COMP_CNT: 0
	.section	.text._ZN7rocprim17ROCPRIM_400000_NS6detail17trampoline_kernelINS0_13select_configILj256ELj13ELNS0_17block_load_methodE3ELS4_3ELS4_3ELNS0_20block_scan_algorithmE0ELj4294967295EEENS1_25partition_config_selectorILNS1_17partition_subalgoE4EjNS0_10empty_typeEbEEZZNS1_14partition_implILS8_4ELb0ES6_15HIP_vector_typeIjLj2EENS0_17counting_iteratorIjlEEPS9_SG_NS0_5tupleIJPjSI_NS0_16reverse_iteratorISI_EEEEENSH_IJSG_SG_SG_EEES9_SI_JZNS1_25segmented_radix_sort_implINS0_14default_configELb0EPKaPaPKlPlN2at6native12_GLOBAL__N_18offset_tEEE10hipError_tPvRmT1_PNSt15iterator_traitsIS12_E10value_typeET2_T3_PNS13_IS18_E10value_typeET4_jRbjT5_S1E_jjP12ihipStream_tbEUljE_ZNSN_ISO_Lb0ESQ_SR_ST_SU_SY_EESZ_S10_S11_S12_S16_S17_S18_S1B_S1C_jS1D_jS1E_S1E_jjS1G_bEUljE0_EEESZ_S10_S11_S18_S1C_S1E_T6_T7_T9_mT8_S1G_bDpT10_ENKUlT_T0_E_clISt17integral_constantIbLb1EES1T_IbLb0EEEEDaS1P_S1Q_EUlS1P_E_NS1_11comp_targetILNS1_3genE10ELNS1_11target_archE1200ELNS1_3gpuE4ELNS1_3repE0EEENS1_30default_config_static_selectorELNS0_4arch9wavefront6targetE0EEEvS12_,"axG",@progbits,_ZN7rocprim17ROCPRIM_400000_NS6detail17trampoline_kernelINS0_13select_configILj256ELj13ELNS0_17block_load_methodE3ELS4_3ELS4_3ELNS0_20block_scan_algorithmE0ELj4294967295EEENS1_25partition_config_selectorILNS1_17partition_subalgoE4EjNS0_10empty_typeEbEEZZNS1_14partition_implILS8_4ELb0ES6_15HIP_vector_typeIjLj2EENS0_17counting_iteratorIjlEEPS9_SG_NS0_5tupleIJPjSI_NS0_16reverse_iteratorISI_EEEEENSH_IJSG_SG_SG_EEES9_SI_JZNS1_25segmented_radix_sort_implINS0_14default_configELb0EPKaPaPKlPlN2at6native12_GLOBAL__N_18offset_tEEE10hipError_tPvRmT1_PNSt15iterator_traitsIS12_E10value_typeET2_T3_PNS13_IS18_E10value_typeET4_jRbjT5_S1E_jjP12ihipStream_tbEUljE_ZNSN_ISO_Lb0ESQ_SR_ST_SU_SY_EESZ_S10_S11_S12_S16_S17_S18_S1B_S1C_jS1D_jS1E_S1E_jjS1G_bEUljE0_EEESZ_S10_S11_S18_S1C_S1E_T6_T7_T9_mT8_S1G_bDpT10_ENKUlT_T0_E_clISt17integral_constantIbLb1EES1T_IbLb0EEEEDaS1P_S1Q_EUlS1P_E_NS1_11comp_targetILNS1_3genE10ELNS1_11target_archE1200ELNS1_3gpuE4ELNS1_3repE0EEENS1_30default_config_static_selectorELNS0_4arch9wavefront6targetE0EEEvS12_,comdat
	.globl	_ZN7rocprim17ROCPRIM_400000_NS6detail17trampoline_kernelINS0_13select_configILj256ELj13ELNS0_17block_load_methodE3ELS4_3ELS4_3ELNS0_20block_scan_algorithmE0ELj4294967295EEENS1_25partition_config_selectorILNS1_17partition_subalgoE4EjNS0_10empty_typeEbEEZZNS1_14partition_implILS8_4ELb0ES6_15HIP_vector_typeIjLj2EENS0_17counting_iteratorIjlEEPS9_SG_NS0_5tupleIJPjSI_NS0_16reverse_iteratorISI_EEEEENSH_IJSG_SG_SG_EEES9_SI_JZNS1_25segmented_radix_sort_implINS0_14default_configELb0EPKaPaPKlPlN2at6native12_GLOBAL__N_18offset_tEEE10hipError_tPvRmT1_PNSt15iterator_traitsIS12_E10value_typeET2_T3_PNS13_IS18_E10value_typeET4_jRbjT5_S1E_jjP12ihipStream_tbEUljE_ZNSN_ISO_Lb0ESQ_SR_ST_SU_SY_EESZ_S10_S11_S12_S16_S17_S18_S1B_S1C_jS1D_jS1E_S1E_jjS1G_bEUljE0_EEESZ_S10_S11_S18_S1C_S1E_T6_T7_T9_mT8_S1G_bDpT10_ENKUlT_T0_E_clISt17integral_constantIbLb1EES1T_IbLb0EEEEDaS1P_S1Q_EUlS1P_E_NS1_11comp_targetILNS1_3genE10ELNS1_11target_archE1200ELNS1_3gpuE4ELNS1_3repE0EEENS1_30default_config_static_selectorELNS0_4arch9wavefront6targetE0EEEvS12_ ; -- Begin function _ZN7rocprim17ROCPRIM_400000_NS6detail17trampoline_kernelINS0_13select_configILj256ELj13ELNS0_17block_load_methodE3ELS4_3ELS4_3ELNS0_20block_scan_algorithmE0ELj4294967295EEENS1_25partition_config_selectorILNS1_17partition_subalgoE4EjNS0_10empty_typeEbEEZZNS1_14partition_implILS8_4ELb0ES6_15HIP_vector_typeIjLj2EENS0_17counting_iteratorIjlEEPS9_SG_NS0_5tupleIJPjSI_NS0_16reverse_iteratorISI_EEEEENSH_IJSG_SG_SG_EEES9_SI_JZNS1_25segmented_radix_sort_implINS0_14default_configELb0EPKaPaPKlPlN2at6native12_GLOBAL__N_18offset_tEEE10hipError_tPvRmT1_PNSt15iterator_traitsIS12_E10value_typeET2_T3_PNS13_IS18_E10value_typeET4_jRbjT5_S1E_jjP12ihipStream_tbEUljE_ZNSN_ISO_Lb0ESQ_SR_ST_SU_SY_EESZ_S10_S11_S12_S16_S17_S18_S1B_S1C_jS1D_jS1E_S1E_jjS1G_bEUljE0_EEESZ_S10_S11_S18_S1C_S1E_T6_T7_T9_mT8_S1G_bDpT10_ENKUlT_T0_E_clISt17integral_constantIbLb1EES1T_IbLb0EEEEDaS1P_S1Q_EUlS1P_E_NS1_11comp_targetILNS1_3genE10ELNS1_11target_archE1200ELNS1_3gpuE4ELNS1_3repE0EEENS1_30default_config_static_selectorELNS0_4arch9wavefront6targetE0EEEvS12_
	.p2align	8
	.type	_ZN7rocprim17ROCPRIM_400000_NS6detail17trampoline_kernelINS0_13select_configILj256ELj13ELNS0_17block_load_methodE3ELS4_3ELS4_3ELNS0_20block_scan_algorithmE0ELj4294967295EEENS1_25partition_config_selectorILNS1_17partition_subalgoE4EjNS0_10empty_typeEbEEZZNS1_14partition_implILS8_4ELb0ES6_15HIP_vector_typeIjLj2EENS0_17counting_iteratorIjlEEPS9_SG_NS0_5tupleIJPjSI_NS0_16reverse_iteratorISI_EEEEENSH_IJSG_SG_SG_EEES9_SI_JZNS1_25segmented_radix_sort_implINS0_14default_configELb0EPKaPaPKlPlN2at6native12_GLOBAL__N_18offset_tEEE10hipError_tPvRmT1_PNSt15iterator_traitsIS12_E10value_typeET2_T3_PNS13_IS18_E10value_typeET4_jRbjT5_S1E_jjP12ihipStream_tbEUljE_ZNSN_ISO_Lb0ESQ_SR_ST_SU_SY_EESZ_S10_S11_S12_S16_S17_S18_S1B_S1C_jS1D_jS1E_S1E_jjS1G_bEUljE0_EEESZ_S10_S11_S18_S1C_S1E_T6_T7_T9_mT8_S1G_bDpT10_ENKUlT_T0_E_clISt17integral_constantIbLb1EES1T_IbLb0EEEEDaS1P_S1Q_EUlS1P_E_NS1_11comp_targetILNS1_3genE10ELNS1_11target_archE1200ELNS1_3gpuE4ELNS1_3repE0EEENS1_30default_config_static_selectorELNS0_4arch9wavefront6targetE0EEEvS12_,@function
_ZN7rocprim17ROCPRIM_400000_NS6detail17trampoline_kernelINS0_13select_configILj256ELj13ELNS0_17block_load_methodE3ELS4_3ELS4_3ELNS0_20block_scan_algorithmE0ELj4294967295EEENS1_25partition_config_selectorILNS1_17partition_subalgoE4EjNS0_10empty_typeEbEEZZNS1_14partition_implILS8_4ELb0ES6_15HIP_vector_typeIjLj2EENS0_17counting_iteratorIjlEEPS9_SG_NS0_5tupleIJPjSI_NS0_16reverse_iteratorISI_EEEEENSH_IJSG_SG_SG_EEES9_SI_JZNS1_25segmented_radix_sort_implINS0_14default_configELb0EPKaPaPKlPlN2at6native12_GLOBAL__N_18offset_tEEE10hipError_tPvRmT1_PNSt15iterator_traitsIS12_E10value_typeET2_T3_PNS13_IS18_E10value_typeET4_jRbjT5_S1E_jjP12ihipStream_tbEUljE_ZNSN_ISO_Lb0ESQ_SR_ST_SU_SY_EESZ_S10_S11_S12_S16_S17_S18_S1B_S1C_jS1D_jS1E_S1E_jjS1G_bEUljE0_EEESZ_S10_S11_S18_S1C_S1E_T6_T7_T9_mT8_S1G_bDpT10_ENKUlT_T0_E_clISt17integral_constantIbLb1EES1T_IbLb0EEEEDaS1P_S1Q_EUlS1P_E_NS1_11comp_targetILNS1_3genE10ELNS1_11target_archE1200ELNS1_3gpuE4ELNS1_3repE0EEENS1_30default_config_static_selectorELNS0_4arch9wavefront6targetE0EEEvS12_: ; @_ZN7rocprim17ROCPRIM_400000_NS6detail17trampoline_kernelINS0_13select_configILj256ELj13ELNS0_17block_load_methodE3ELS4_3ELS4_3ELNS0_20block_scan_algorithmE0ELj4294967295EEENS1_25partition_config_selectorILNS1_17partition_subalgoE4EjNS0_10empty_typeEbEEZZNS1_14partition_implILS8_4ELb0ES6_15HIP_vector_typeIjLj2EENS0_17counting_iteratorIjlEEPS9_SG_NS0_5tupleIJPjSI_NS0_16reverse_iteratorISI_EEEEENSH_IJSG_SG_SG_EEES9_SI_JZNS1_25segmented_radix_sort_implINS0_14default_configELb0EPKaPaPKlPlN2at6native12_GLOBAL__N_18offset_tEEE10hipError_tPvRmT1_PNSt15iterator_traitsIS12_E10value_typeET2_T3_PNS13_IS18_E10value_typeET4_jRbjT5_S1E_jjP12ihipStream_tbEUljE_ZNSN_ISO_Lb0ESQ_SR_ST_SU_SY_EESZ_S10_S11_S12_S16_S17_S18_S1B_S1C_jS1D_jS1E_S1E_jjS1G_bEUljE0_EEESZ_S10_S11_S18_S1C_S1E_T6_T7_T9_mT8_S1G_bDpT10_ENKUlT_T0_E_clISt17integral_constantIbLb1EES1T_IbLb0EEEEDaS1P_S1Q_EUlS1P_E_NS1_11comp_targetILNS1_3genE10ELNS1_11target_archE1200ELNS1_3gpuE4ELNS1_3repE0EEENS1_30default_config_static_selectorELNS0_4arch9wavefront6targetE0EEEvS12_
; %bb.0:
	.section	.rodata,"a",@progbits
	.p2align	6, 0x0
	.amdhsa_kernel _ZN7rocprim17ROCPRIM_400000_NS6detail17trampoline_kernelINS0_13select_configILj256ELj13ELNS0_17block_load_methodE3ELS4_3ELS4_3ELNS0_20block_scan_algorithmE0ELj4294967295EEENS1_25partition_config_selectorILNS1_17partition_subalgoE4EjNS0_10empty_typeEbEEZZNS1_14partition_implILS8_4ELb0ES6_15HIP_vector_typeIjLj2EENS0_17counting_iteratorIjlEEPS9_SG_NS0_5tupleIJPjSI_NS0_16reverse_iteratorISI_EEEEENSH_IJSG_SG_SG_EEES9_SI_JZNS1_25segmented_radix_sort_implINS0_14default_configELb0EPKaPaPKlPlN2at6native12_GLOBAL__N_18offset_tEEE10hipError_tPvRmT1_PNSt15iterator_traitsIS12_E10value_typeET2_T3_PNS13_IS18_E10value_typeET4_jRbjT5_S1E_jjP12ihipStream_tbEUljE_ZNSN_ISO_Lb0ESQ_SR_ST_SU_SY_EESZ_S10_S11_S12_S16_S17_S18_S1B_S1C_jS1D_jS1E_S1E_jjS1G_bEUljE0_EEESZ_S10_S11_S18_S1C_S1E_T6_T7_T9_mT8_S1G_bDpT10_ENKUlT_T0_E_clISt17integral_constantIbLb1EES1T_IbLb0EEEEDaS1P_S1Q_EUlS1P_E_NS1_11comp_targetILNS1_3genE10ELNS1_11target_archE1200ELNS1_3gpuE4ELNS1_3repE0EEENS1_30default_config_static_selectorELNS0_4arch9wavefront6targetE0EEEvS12_
		.amdhsa_group_segment_fixed_size 0
		.amdhsa_private_segment_fixed_size 0
		.amdhsa_kernarg_size 176
		.amdhsa_user_sgpr_count 2
		.amdhsa_user_sgpr_dispatch_ptr 0
		.amdhsa_user_sgpr_queue_ptr 0
		.amdhsa_user_sgpr_kernarg_segment_ptr 1
		.amdhsa_user_sgpr_dispatch_id 0
		.amdhsa_user_sgpr_kernarg_preload_length 0
		.amdhsa_user_sgpr_kernarg_preload_offset 0
		.amdhsa_user_sgpr_private_segment_size 0
		.amdhsa_wavefront_size32 1
		.amdhsa_uses_dynamic_stack 0
		.amdhsa_enable_private_segment 0
		.amdhsa_system_sgpr_workgroup_id_x 1
		.amdhsa_system_sgpr_workgroup_id_y 0
		.amdhsa_system_sgpr_workgroup_id_z 0
		.amdhsa_system_sgpr_workgroup_info 0
		.amdhsa_system_vgpr_workitem_id 0
		.amdhsa_next_free_vgpr 1
		.amdhsa_next_free_sgpr 1
		.amdhsa_named_barrier_count 0
		.amdhsa_reserve_vcc 0
		.amdhsa_float_round_mode_32 0
		.amdhsa_float_round_mode_16_64 0
		.amdhsa_float_denorm_mode_32 3
		.amdhsa_float_denorm_mode_16_64 3
		.amdhsa_fp16_overflow 0
		.amdhsa_memory_ordered 1
		.amdhsa_forward_progress 1
		.amdhsa_inst_pref_size 0
		.amdhsa_round_robin_scheduling 0
		.amdhsa_exception_fp_ieee_invalid_op 0
		.amdhsa_exception_fp_denorm_src 0
		.amdhsa_exception_fp_ieee_div_zero 0
		.amdhsa_exception_fp_ieee_overflow 0
		.amdhsa_exception_fp_ieee_underflow 0
		.amdhsa_exception_fp_ieee_inexact 0
		.amdhsa_exception_int_div_zero 0
	.end_amdhsa_kernel
	.section	.text._ZN7rocprim17ROCPRIM_400000_NS6detail17trampoline_kernelINS0_13select_configILj256ELj13ELNS0_17block_load_methodE3ELS4_3ELS4_3ELNS0_20block_scan_algorithmE0ELj4294967295EEENS1_25partition_config_selectorILNS1_17partition_subalgoE4EjNS0_10empty_typeEbEEZZNS1_14partition_implILS8_4ELb0ES6_15HIP_vector_typeIjLj2EENS0_17counting_iteratorIjlEEPS9_SG_NS0_5tupleIJPjSI_NS0_16reverse_iteratorISI_EEEEENSH_IJSG_SG_SG_EEES9_SI_JZNS1_25segmented_radix_sort_implINS0_14default_configELb0EPKaPaPKlPlN2at6native12_GLOBAL__N_18offset_tEEE10hipError_tPvRmT1_PNSt15iterator_traitsIS12_E10value_typeET2_T3_PNS13_IS18_E10value_typeET4_jRbjT5_S1E_jjP12ihipStream_tbEUljE_ZNSN_ISO_Lb0ESQ_SR_ST_SU_SY_EESZ_S10_S11_S12_S16_S17_S18_S1B_S1C_jS1D_jS1E_S1E_jjS1G_bEUljE0_EEESZ_S10_S11_S18_S1C_S1E_T6_T7_T9_mT8_S1G_bDpT10_ENKUlT_T0_E_clISt17integral_constantIbLb1EES1T_IbLb0EEEEDaS1P_S1Q_EUlS1P_E_NS1_11comp_targetILNS1_3genE10ELNS1_11target_archE1200ELNS1_3gpuE4ELNS1_3repE0EEENS1_30default_config_static_selectorELNS0_4arch9wavefront6targetE0EEEvS12_,"axG",@progbits,_ZN7rocprim17ROCPRIM_400000_NS6detail17trampoline_kernelINS0_13select_configILj256ELj13ELNS0_17block_load_methodE3ELS4_3ELS4_3ELNS0_20block_scan_algorithmE0ELj4294967295EEENS1_25partition_config_selectorILNS1_17partition_subalgoE4EjNS0_10empty_typeEbEEZZNS1_14partition_implILS8_4ELb0ES6_15HIP_vector_typeIjLj2EENS0_17counting_iteratorIjlEEPS9_SG_NS0_5tupleIJPjSI_NS0_16reverse_iteratorISI_EEEEENSH_IJSG_SG_SG_EEES9_SI_JZNS1_25segmented_radix_sort_implINS0_14default_configELb0EPKaPaPKlPlN2at6native12_GLOBAL__N_18offset_tEEE10hipError_tPvRmT1_PNSt15iterator_traitsIS12_E10value_typeET2_T3_PNS13_IS18_E10value_typeET4_jRbjT5_S1E_jjP12ihipStream_tbEUljE_ZNSN_ISO_Lb0ESQ_SR_ST_SU_SY_EESZ_S10_S11_S12_S16_S17_S18_S1B_S1C_jS1D_jS1E_S1E_jjS1G_bEUljE0_EEESZ_S10_S11_S18_S1C_S1E_T6_T7_T9_mT8_S1G_bDpT10_ENKUlT_T0_E_clISt17integral_constantIbLb1EES1T_IbLb0EEEEDaS1P_S1Q_EUlS1P_E_NS1_11comp_targetILNS1_3genE10ELNS1_11target_archE1200ELNS1_3gpuE4ELNS1_3repE0EEENS1_30default_config_static_selectorELNS0_4arch9wavefront6targetE0EEEvS12_,comdat
.Lfunc_end347:
	.size	_ZN7rocprim17ROCPRIM_400000_NS6detail17trampoline_kernelINS0_13select_configILj256ELj13ELNS0_17block_load_methodE3ELS4_3ELS4_3ELNS0_20block_scan_algorithmE0ELj4294967295EEENS1_25partition_config_selectorILNS1_17partition_subalgoE4EjNS0_10empty_typeEbEEZZNS1_14partition_implILS8_4ELb0ES6_15HIP_vector_typeIjLj2EENS0_17counting_iteratorIjlEEPS9_SG_NS0_5tupleIJPjSI_NS0_16reverse_iteratorISI_EEEEENSH_IJSG_SG_SG_EEES9_SI_JZNS1_25segmented_radix_sort_implINS0_14default_configELb0EPKaPaPKlPlN2at6native12_GLOBAL__N_18offset_tEEE10hipError_tPvRmT1_PNSt15iterator_traitsIS12_E10value_typeET2_T3_PNS13_IS18_E10value_typeET4_jRbjT5_S1E_jjP12ihipStream_tbEUljE_ZNSN_ISO_Lb0ESQ_SR_ST_SU_SY_EESZ_S10_S11_S12_S16_S17_S18_S1B_S1C_jS1D_jS1E_S1E_jjS1G_bEUljE0_EEESZ_S10_S11_S18_S1C_S1E_T6_T7_T9_mT8_S1G_bDpT10_ENKUlT_T0_E_clISt17integral_constantIbLb1EES1T_IbLb0EEEEDaS1P_S1Q_EUlS1P_E_NS1_11comp_targetILNS1_3genE10ELNS1_11target_archE1200ELNS1_3gpuE4ELNS1_3repE0EEENS1_30default_config_static_selectorELNS0_4arch9wavefront6targetE0EEEvS12_, .Lfunc_end347-_ZN7rocprim17ROCPRIM_400000_NS6detail17trampoline_kernelINS0_13select_configILj256ELj13ELNS0_17block_load_methodE3ELS4_3ELS4_3ELNS0_20block_scan_algorithmE0ELj4294967295EEENS1_25partition_config_selectorILNS1_17partition_subalgoE4EjNS0_10empty_typeEbEEZZNS1_14partition_implILS8_4ELb0ES6_15HIP_vector_typeIjLj2EENS0_17counting_iteratorIjlEEPS9_SG_NS0_5tupleIJPjSI_NS0_16reverse_iteratorISI_EEEEENSH_IJSG_SG_SG_EEES9_SI_JZNS1_25segmented_radix_sort_implINS0_14default_configELb0EPKaPaPKlPlN2at6native12_GLOBAL__N_18offset_tEEE10hipError_tPvRmT1_PNSt15iterator_traitsIS12_E10value_typeET2_T3_PNS13_IS18_E10value_typeET4_jRbjT5_S1E_jjP12ihipStream_tbEUljE_ZNSN_ISO_Lb0ESQ_SR_ST_SU_SY_EESZ_S10_S11_S12_S16_S17_S18_S1B_S1C_jS1D_jS1E_S1E_jjS1G_bEUljE0_EEESZ_S10_S11_S18_S1C_S1E_T6_T7_T9_mT8_S1G_bDpT10_ENKUlT_T0_E_clISt17integral_constantIbLb1EES1T_IbLb0EEEEDaS1P_S1Q_EUlS1P_E_NS1_11comp_targetILNS1_3genE10ELNS1_11target_archE1200ELNS1_3gpuE4ELNS1_3repE0EEENS1_30default_config_static_selectorELNS0_4arch9wavefront6targetE0EEEvS12_
                                        ; -- End function
	.set _ZN7rocprim17ROCPRIM_400000_NS6detail17trampoline_kernelINS0_13select_configILj256ELj13ELNS0_17block_load_methodE3ELS4_3ELS4_3ELNS0_20block_scan_algorithmE0ELj4294967295EEENS1_25partition_config_selectorILNS1_17partition_subalgoE4EjNS0_10empty_typeEbEEZZNS1_14partition_implILS8_4ELb0ES6_15HIP_vector_typeIjLj2EENS0_17counting_iteratorIjlEEPS9_SG_NS0_5tupleIJPjSI_NS0_16reverse_iteratorISI_EEEEENSH_IJSG_SG_SG_EEES9_SI_JZNS1_25segmented_radix_sort_implINS0_14default_configELb0EPKaPaPKlPlN2at6native12_GLOBAL__N_18offset_tEEE10hipError_tPvRmT1_PNSt15iterator_traitsIS12_E10value_typeET2_T3_PNS13_IS18_E10value_typeET4_jRbjT5_S1E_jjP12ihipStream_tbEUljE_ZNSN_ISO_Lb0ESQ_SR_ST_SU_SY_EESZ_S10_S11_S12_S16_S17_S18_S1B_S1C_jS1D_jS1E_S1E_jjS1G_bEUljE0_EEESZ_S10_S11_S18_S1C_S1E_T6_T7_T9_mT8_S1G_bDpT10_ENKUlT_T0_E_clISt17integral_constantIbLb1EES1T_IbLb0EEEEDaS1P_S1Q_EUlS1P_E_NS1_11comp_targetILNS1_3genE10ELNS1_11target_archE1200ELNS1_3gpuE4ELNS1_3repE0EEENS1_30default_config_static_selectorELNS0_4arch9wavefront6targetE0EEEvS12_.num_vgpr, 0
	.set _ZN7rocprim17ROCPRIM_400000_NS6detail17trampoline_kernelINS0_13select_configILj256ELj13ELNS0_17block_load_methodE3ELS4_3ELS4_3ELNS0_20block_scan_algorithmE0ELj4294967295EEENS1_25partition_config_selectorILNS1_17partition_subalgoE4EjNS0_10empty_typeEbEEZZNS1_14partition_implILS8_4ELb0ES6_15HIP_vector_typeIjLj2EENS0_17counting_iteratorIjlEEPS9_SG_NS0_5tupleIJPjSI_NS0_16reverse_iteratorISI_EEEEENSH_IJSG_SG_SG_EEES9_SI_JZNS1_25segmented_radix_sort_implINS0_14default_configELb0EPKaPaPKlPlN2at6native12_GLOBAL__N_18offset_tEEE10hipError_tPvRmT1_PNSt15iterator_traitsIS12_E10value_typeET2_T3_PNS13_IS18_E10value_typeET4_jRbjT5_S1E_jjP12ihipStream_tbEUljE_ZNSN_ISO_Lb0ESQ_SR_ST_SU_SY_EESZ_S10_S11_S12_S16_S17_S18_S1B_S1C_jS1D_jS1E_S1E_jjS1G_bEUljE0_EEESZ_S10_S11_S18_S1C_S1E_T6_T7_T9_mT8_S1G_bDpT10_ENKUlT_T0_E_clISt17integral_constantIbLb1EES1T_IbLb0EEEEDaS1P_S1Q_EUlS1P_E_NS1_11comp_targetILNS1_3genE10ELNS1_11target_archE1200ELNS1_3gpuE4ELNS1_3repE0EEENS1_30default_config_static_selectorELNS0_4arch9wavefront6targetE0EEEvS12_.num_agpr, 0
	.set _ZN7rocprim17ROCPRIM_400000_NS6detail17trampoline_kernelINS0_13select_configILj256ELj13ELNS0_17block_load_methodE3ELS4_3ELS4_3ELNS0_20block_scan_algorithmE0ELj4294967295EEENS1_25partition_config_selectorILNS1_17partition_subalgoE4EjNS0_10empty_typeEbEEZZNS1_14partition_implILS8_4ELb0ES6_15HIP_vector_typeIjLj2EENS0_17counting_iteratorIjlEEPS9_SG_NS0_5tupleIJPjSI_NS0_16reverse_iteratorISI_EEEEENSH_IJSG_SG_SG_EEES9_SI_JZNS1_25segmented_radix_sort_implINS0_14default_configELb0EPKaPaPKlPlN2at6native12_GLOBAL__N_18offset_tEEE10hipError_tPvRmT1_PNSt15iterator_traitsIS12_E10value_typeET2_T3_PNS13_IS18_E10value_typeET4_jRbjT5_S1E_jjP12ihipStream_tbEUljE_ZNSN_ISO_Lb0ESQ_SR_ST_SU_SY_EESZ_S10_S11_S12_S16_S17_S18_S1B_S1C_jS1D_jS1E_S1E_jjS1G_bEUljE0_EEESZ_S10_S11_S18_S1C_S1E_T6_T7_T9_mT8_S1G_bDpT10_ENKUlT_T0_E_clISt17integral_constantIbLb1EES1T_IbLb0EEEEDaS1P_S1Q_EUlS1P_E_NS1_11comp_targetILNS1_3genE10ELNS1_11target_archE1200ELNS1_3gpuE4ELNS1_3repE0EEENS1_30default_config_static_selectorELNS0_4arch9wavefront6targetE0EEEvS12_.numbered_sgpr, 0
	.set _ZN7rocprim17ROCPRIM_400000_NS6detail17trampoline_kernelINS0_13select_configILj256ELj13ELNS0_17block_load_methodE3ELS4_3ELS4_3ELNS0_20block_scan_algorithmE0ELj4294967295EEENS1_25partition_config_selectorILNS1_17partition_subalgoE4EjNS0_10empty_typeEbEEZZNS1_14partition_implILS8_4ELb0ES6_15HIP_vector_typeIjLj2EENS0_17counting_iteratorIjlEEPS9_SG_NS0_5tupleIJPjSI_NS0_16reverse_iteratorISI_EEEEENSH_IJSG_SG_SG_EEES9_SI_JZNS1_25segmented_radix_sort_implINS0_14default_configELb0EPKaPaPKlPlN2at6native12_GLOBAL__N_18offset_tEEE10hipError_tPvRmT1_PNSt15iterator_traitsIS12_E10value_typeET2_T3_PNS13_IS18_E10value_typeET4_jRbjT5_S1E_jjP12ihipStream_tbEUljE_ZNSN_ISO_Lb0ESQ_SR_ST_SU_SY_EESZ_S10_S11_S12_S16_S17_S18_S1B_S1C_jS1D_jS1E_S1E_jjS1G_bEUljE0_EEESZ_S10_S11_S18_S1C_S1E_T6_T7_T9_mT8_S1G_bDpT10_ENKUlT_T0_E_clISt17integral_constantIbLb1EES1T_IbLb0EEEEDaS1P_S1Q_EUlS1P_E_NS1_11comp_targetILNS1_3genE10ELNS1_11target_archE1200ELNS1_3gpuE4ELNS1_3repE0EEENS1_30default_config_static_selectorELNS0_4arch9wavefront6targetE0EEEvS12_.num_named_barrier, 0
	.set _ZN7rocprim17ROCPRIM_400000_NS6detail17trampoline_kernelINS0_13select_configILj256ELj13ELNS0_17block_load_methodE3ELS4_3ELS4_3ELNS0_20block_scan_algorithmE0ELj4294967295EEENS1_25partition_config_selectorILNS1_17partition_subalgoE4EjNS0_10empty_typeEbEEZZNS1_14partition_implILS8_4ELb0ES6_15HIP_vector_typeIjLj2EENS0_17counting_iteratorIjlEEPS9_SG_NS0_5tupleIJPjSI_NS0_16reverse_iteratorISI_EEEEENSH_IJSG_SG_SG_EEES9_SI_JZNS1_25segmented_radix_sort_implINS0_14default_configELb0EPKaPaPKlPlN2at6native12_GLOBAL__N_18offset_tEEE10hipError_tPvRmT1_PNSt15iterator_traitsIS12_E10value_typeET2_T3_PNS13_IS18_E10value_typeET4_jRbjT5_S1E_jjP12ihipStream_tbEUljE_ZNSN_ISO_Lb0ESQ_SR_ST_SU_SY_EESZ_S10_S11_S12_S16_S17_S18_S1B_S1C_jS1D_jS1E_S1E_jjS1G_bEUljE0_EEESZ_S10_S11_S18_S1C_S1E_T6_T7_T9_mT8_S1G_bDpT10_ENKUlT_T0_E_clISt17integral_constantIbLb1EES1T_IbLb0EEEEDaS1P_S1Q_EUlS1P_E_NS1_11comp_targetILNS1_3genE10ELNS1_11target_archE1200ELNS1_3gpuE4ELNS1_3repE0EEENS1_30default_config_static_selectorELNS0_4arch9wavefront6targetE0EEEvS12_.private_seg_size, 0
	.set _ZN7rocprim17ROCPRIM_400000_NS6detail17trampoline_kernelINS0_13select_configILj256ELj13ELNS0_17block_load_methodE3ELS4_3ELS4_3ELNS0_20block_scan_algorithmE0ELj4294967295EEENS1_25partition_config_selectorILNS1_17partition_subalgoE4EjNS0_10empty_typeEbEEZZNS1_14partition_implILS8_4ELb0ES6_15HIP_vector_typeIjLj2EENS0_17counting_iteratorIjlEEPS9_SG_NS0_5tupleIJPjSI_NS0_16reverse_iteratorISI_EEEEENSH_IJSG_SG_SG_EEES9_SI_JZNS1_25segmented_radix_sort_implINS0_14default_configELb0EPKaPaPKlPlN2at6native12_GLOBAL__N_18offset_tEEE10hipError_tPvRmT1_PNSt15iterator_traitsIS12_E10value_typeET2_T3_PNS13_IS18_E10value_typeET4_jRbjT5_S1E_jjP12ihipStream_tbEUljE_ZNSN_ISO_Lb0ESQ_SR_ST_SU_SY_EESZ_S10_S11_S12_S16_S17_S18_S1B_S1C_jS1D_jS1E_S1E_jjS1G_bEUljE0_EEESZ_S10_S11_S18_S1C_S1E_T6_T7_T9_mT8_S1G_bDpT10_ENKUlT_T0_E_clISt17integral_constantIbLb1EES1T_IbLb0EEEEDaS1P_S1Q_EUlS1P_E_NS1_11comp_targetILNS1_3genE10ELNS1_11target_archE1200ELNS1_3gpuE4ELNS1_3repE0EEENS1_30default_config_static_selectorELNS0_4arch9wavefront6targetE0EEEvS12_.uses_vcc, 0
	.set _ZN7rocprim17ROCPRIM_400000_NS6detail17trampoline_kernelINS0_13select_configILj256ELj13ELNS0_17block_load_methodE3ELS4_3ELS4_3ELNS0_20block_scan_algorithmE0ELj4294967295EEENS1_25partition_config_selectorILNS1_17partition_subalgoE4EjNS0_10empty_typeEbEEZZNS1_14partition_implILS8_4ELb0ES6_15HIP_vector_typeIjLj2EENS0_17counting_iteratorIjlEEPS9_SG_NS0_5tupleIJPjSI_NS0_16reverse_iteratorISI_EEEEENSH_IJSG_SG_SG_EEES9_SI_JZNS1_25segmented_radix_sort_implINS0_14default_configELb0EPKaPaPKlPlN2at6native12_GLOBAL__N_18offset_tEEE10hipError_tPvRmT1_PNSt15iterator_traitsIS12_E10value_typeET2_T3_PNS13_IS18_E10value_typeET4_jRbjT5_S1E_jjP12ihipStream_tbEUljE_ZNSN_ISO_Lb0ESQ_SR_ST_SU_SY_EESZ_S10_S11_S12_S16_S17_S18_S1B_S1C_jS1D_jS1E_S1E_jjS1G_bEUljE0_EEESZ_S10_S11_S18_S1C_S1E_T6_T7_T9_mT8_S1G_bDpT10_ENKUlT_T0_E_clISt17integral_constantIbLb1EES1T_IbLb0EEEEDaS1P_S1Q_EUlS1P_E_NS1_11comp_targetILNS1_3genE10ELNS1_11target_archE1200ELNS1_3gpuE4ELNS1_3repE0EEENS1_30default_config_static_selectorELNS0_4arch9wavefront6targetE0EEEvS12_.uses_flat_scratch, 0
	.set _ZN7rocprim17ROCPRIM_400000_NS6detail17trampoline_kernelINS0_13select_configILj256ELj13ELNS0_17block_load_methodE3ELS4_3ELS4_3ELNS0_20block_scan_algorithmE0ELj4294967295EEENS1_25partition_config_selectorILNS1_17partition_subalgoE4EjNS0_10empty_typeEbEEZZNS1_14partition_implILS8_4ELb0ES6_15HIP_vector_typeIjLj2EENS0_17counting_iteratorIjlEEPS9_SG_NS0_5tupleIJPjSI_NS0_16reverse_iteratorISI_EEEEENSH_IJSG_SG_SG_EEES9_SI_JZNS1_25segmented_radix_sort_implINS0_14default_configELb0EPKaPaPKlPlN2at6native12_GLOBAL__N_18offset_tEEE10hipError_tPvRmT1_PNSt15iterator_traitsIS12_E10value_typeET2_T3_PNS13_IS18_E10value_typeET4_jRbjT5_S1E_jjP12ihipStream_tbEUljE_ZNSN_ISO_Lb0ESQ_SR_ST_SU_SY_EESZ_S10_S11_S12_S16_S17_S18_S1B_S1C_jS1D_jS1E_S1E_jjS1G_bEUljE0_EEESZ_S10_S11_S18_S1C_S1E_T6_T7_T9_mT8_S1G_bDpT10_ENKUlT_T0_E_clISt17integral_constantIbLb1EES1T_IbLb0EEEEDaS1P_S1Q_EUlS1P_E_NS1_11comp_targetILNS1_3genE10ELNS1_11target_archE1200ELNS1_3gpuE4ELNS1_3repE0EEENS1_30default_config_static_selectorELNS0_4arch9wavefront6targetE0EEEvS12_.has_dyn_sized_stack, 0
	.set _ZN7rocprim17ROCPRIM_400000_NS6detail17trampoline_kernelINS0_13select_configILj256ELj13ELNS0_17block_load_methodE3ELS4_3ELS4_3ELNS0_20block_scan_algorithmE0ELj4294967295EEENS1_25partition_config_selectorILNS1_17partition_subalgoE4EjNS0_10empty_typeEbEEZZNS1_14partition_implILS8_4ELb0ES6_15HIP_vector_typeIjLj2EENS0_17counting_iteratorIjlEEPS9_SG_NS0_5tupleIJPjSI_NS0_16reverse_iteratorISI_EEEEENSH_IJSG_SG_SG_EEES9_SI_JZNS1_25segmented_radix_sort_implINS0_14default_configELb0EPKaPaPKlPlN2at6native12_GLOBAL__N_18offset_tEEE10hipError_tPvRmT1_PNSt15iterator_traitsIS12_E10value_typeET2_T3_PNS13_IS18_E10value_typeET4_jRbjT5_S1E_jjP12ihipStream_tbEUljE_ZNSN_ISO_Lb0ESQ_SR_ST_SU_SY_EESZ_S10_S11_S12_S16_S17_S18_S1B_S1C_jS1D_jS1E_S1E_jjS1G_bEUljE0_EEESZ_S10_S11_S18_S1C_S1E_T6_T7_T9_mT8_S1G_bDpT10_ENKUlT_T0_E_clISt17integral_constantIbLb1EES1T_IbLb0EEEEDaS1P_S1Q_EUlS1P_E_NS1_11comp_targetILNS1_3genE10ELNS1_11target_archE1200ELNS1_3gpuE4ELNS1_3repE0EEENS1_30default_config_static_selectorELNS0_4arch9wavefront6targetE0EEEvS12_.has_recursion, 0
	.set _ZN7rocprim17ROCPRIM_400000_NS6detail17trampoline_kernelINS0_13select_configILj256ELj13ELNS0_17block_load_methodE3ELS4_3ELS4_3ELNS0_20block_scan_algorithmE0ELj4294967295EEENS1_25partition_config_selectorILNS1_17partition_subalgoE4EjNS0_10empty_typeEbEEZZNS1_14partition_implILS8_4ELb0ES6_15HIP_vector_typeIjLj2EENS0_17counting_iteratorIjlEEPS9_SG_NS0_5tupleIJPjSI_NS0_16reverse_iteratorISI_EEEEENSH_IJSG_SG_SG_EEES9_SI_JZNS1_25segmented_radix_sort_implINS0_14default_configELb0EPKaPaPKlPlN2at6native12_GLOBAL__N_18offset_tEEE10hipError_tPvRmT1_PNSt15iterator_traitsIS12_E10value_typeET2_T3_PNS13_IS18_E10value_typeET4_jRbjT5_S1E_jjP12ihipStream_tbEUljE_ZNSN_ISO_Lb0ESQ_SR_ST_SU_SY_EESZ_S10_S11_S12_S16_S17_S18_S1B_S1C_jS1D_jS1E_S1E_jjS1G_bEUljE0_EEESZ_S10_S11_S18_S1C_S1E_T6_T7_T9_mT8_S1G_bDpT10_ENKUlT_T0_E_clISt17integral_constantIbLb1EES1T_IbLb0EEEEDaS1P_S1Q_EUlS1P_E_NS1_11comp_targetILNS1_3genE10ELNS1_11target_archE1200ELNS1_3gpuE4ELNS1_3repE0EEENS1_30default_config_static_selectorELNS0_4arch9wavefront6targetE0EEEvS12_.has_indirect_call, 0
	.section	.AMDGPU.csdata,"",@progbits
; Kernel info:
; codeLenInByte = 0
; TotalNumSgprs: 0
; NumVgprs: 0
; ScratchSize: 0
; MemoryBound: 0
; FloatMode: 240
; IeeeMode: 1
; LDSByteSize: 0 bytes/workgroup (compile time only)
; SGPRBlocks: 0
; VGPRBlocks: 0
; NumSGPRsForWavesPerEU: 1
; NumVGPRsForWavesPerEU: 1
; NamedBarCnt: 0
; Occupancy: 16
; WaveLimiterHint : 0
; COMPUTE_PGM_RSRC2:SCRATCH_EN: 0
; COMPUTE_PGM_RSRC2:USER_SGPR: 2
; COMPUTE_PGM_RSRC2:TRAP_HANDLER: 0
; COMPUTE_PGM_RSRC2:TGID_X_EN: 1
; COMPUTE_PGM_RSRC2:TGID_Y_EN: 0
; COMPUTE_PGM_RSRC2:TGID_Z_EN: 0
; COMPUTE_PGM_RSRC2:TIDIG_COMP_CNT: 0
	.section	.text._ZN7rocprim17ROCPRIM_400000_NS6detail17trampoline_kernelINS0_13select_configILj256ELj13ELNS0_17block_load_methodE3ELS4_3ELS4_3ELNS0_20block_scan_algorithmE0ELj4294967295EEENS1_25partition_config_selectorILNS1_17partition_subalgoE4EjNS0_10empty_typeEbEEZZNS1_14partition_implILS8_4ELb0ES6_15HIP_vector_typeIjLj2EENS0_17counting_iteratorIjlEEPS9_SG_NS0_5tupleIJPjSI_NS0_16reverse_iteratorISI_EEEEENSH_IJSG_SG_SG_EEES9_SI_JZNS1_25segmented_radix_sort_implINS0_14default_configELb0EPKaPaPKlPlN2at6native12_GLOBAL__N_18offset_tEEE10hipError_tPvRmT1_PNSt15iterator_traitsIS12_E10value_typeET2_T3_PNS13_IS18_E10value_typeET4_jRbjT5_S1E_jjP12ihipStream_tbEUljE_ZNSN_ISO_Lb0ESQ_SR_ST_SU_SY_EESZ_S10_S11_S12_S16_S17_S18_S1B_S1C_jS1D_jS1E_S1E_jjS1G_bEUljE0_EEESZ_S10_S11_S18_S1C_S1E_T6_T7_T9_mT8_S1G_bDpT10_ENKUlT_T0_E_clISt17integral_constantIbLb1EES1T_IbLb0EEEEDaS1P_S1Q_EUlS1P_E_NS1_11comp_targetILNS1_3genE9ELNS1_11target_archE1100ELNS1_3gpuE3ELNS1_3repE0EEENS1_30default_config_static_selectorELNS0_4arch9wavefront6targetE0EEEvS12_,"axG",@progbits,_ZN7rocprim17ROCPRIM_400000_NS6detail17trampoline_kernelINS0_13select_configILj256ELj13ELNS0_17block_load_methodE3ELS4_3ELS4_3ELNS0_20block_scan_algorithmE0ELj4294967295EEENS1_25partition_config_selectorILNS1_17partition_subalgoE4EjNS0_10empty_typeEbEEZZNS1_14partition_implILS8_4ELb0ES6_15HIP_vector_typeIjLj2EENS0_17counting_iteratorIjlEEPS9_SG_NS0_5tupleIJPjSI_NS0_16reverse_iteratorISI_EEEEENSH_IJSG_SG_SG_EEES9_SI_JZNS1_25segmented_radix_sort_implINS0_14default_configELb0EPKaPaPKlPlN2at6native12_GLOBAL__N_18offset_tEEE10hipError_tPvRmT1_PNSt15iterator_traitsIS12_E10value_typeET2_T3_PNS13_IS18_E10value_typeET4_jRbjT5_S1E_jjP12ihipStream_tbEUljE_ZNSN_ISO_Lb0ESQ_SR_ST_SU_SY_EESZ_S10_S11_S12_S16_S17_S18_S1B_S1C_jS1D_jS1E_S1E_jjS1G_bEUljE0_EEESZ_S10_S11_S18_S1C_S1E_T6_T7_T9_mT8_S1G_bDpT10_ENKUlT_T0_E_clISt17integral_constantIbLb1EES1T_IbLb0EEEEDaS1P_S1Q_EUlS1P_E_NS1_11comp_targetILNS1_3genE9ELNS1_11target_archE1100ELNS1_3gpuE3ELNS1_3repE0EEENS1_30default_config_static_selectorELNS0_4arch9wavefront6targetE0EEEvS12_,comdat
	.globl	_ZN7rocprim17ROCPRIM_400000_NS6detail17trampoline_kernelINS0_13select_configILj256ELj13ELNS0_17block_load_methodE3ELS4_3ELS4_3ELNS0_20block_scan_algorithmE0ELj4294967295EEENS1_25partition_config_selectorILNS1_17partition_subalgoE4EjNS0_10empty_typeEbEEZZNS1_14partition_implILS8_4ELb0ES6_15HIP_vector_typeIjLj2EENS0_17counting_iteratorIjlEEPS9_SG_NS0_5tupleIJPjSI_NS0_16reverse_iteratorISI_EEEEENSH_IJSG_SG_SG_EEES9_SI_JZNS1_25segmented_radix_sort_implINS0_14default_configELb0EPKaPaPKlPlN2at6native12_GLOBAL__N_18offset_tEEE10hipError_tPvRmT1_PNSt15iterator_traitsIS12_E10value_typeET2_T3_PNS13_IS18_E10value_typeET4_jRbjT5_S1E_jjP12ihipStream_tbEUljE_ZNSN_ISO_Lb0ESQ_SR_ST_SU_SY_EESZ_S10_S11_S12_S16_S17_S18_S1B_S1C_jS1D_jS1E_S1E_jjS1G_bEUljE0_EEESZ_S10_S11_S18_S1C_S1E_T6_T7_T9_mT8_S1G_bDpT10_ENKUlT_T0_E_clISt17integral_constantIbLb1EES1T_IbLb0EEEEDaS1P_S1Q_EUlS1P_E_NS1_11comp_targetILNS1_3genE9ELNS1_11target_archE1100ELNS1_3gpuE3ELNS1_3repE0EEENS1_30default_config_static_selectorELNS0_4arch9wavefront6targetE0EEEvS12_ ; -- Begin function _ZN7rocprim17ROCPRIM_400000_NS6detail17trampoline_kernelINS0_13select_configILj256ELj13ELNS0_17block_load_methodE3ELS4_3ELS4_3ELNS0_20block_scan_algorithmE0ELj4294967295EEENS1_25partition_config_selectorILNS1_17partition_subalgoE4EjNS0_10empty_typeEbEEZZNS1_14partition_implILS8_4ELb0ES6_15HIP_vector_typeIjLj2EENS0_17counting_iteratorIjlEEPS9_SG_NS0_5tupleIJPjSI_NS0_16reverse_iteratorISI_EEEEENSH_IJSG_SG_SG_EEES9_SI_JZNS1_25segmented_radix_sort_implINS0_14default_configELb0EPKaPaPKlPlN2at6native12_GLOBAL__N_18offset_tEEE10hipError_tPvRmT1_PNSt15iterator_traitsIS12_E10value_typeET2_T3_PNS13_IS18_E10value_typeET4_jRbjT5_S1E_jjP12ihipStream_tbEUljE_ZNSN_ISO_Lb0ESQ_SR_ST_SU_SY_EESZ_S10_S11_S12_S16_S17_S18_S1B_S1C_jS1D_jS1E_S1E_jjS1G_bEUljE0_EEESZ_S10_S11_S18_S1C_S1E_T6_T7_T9_mT8_S1G_bDpT10_ENKUlT_T0_E_clISt17integral_constantIbLb1EES1T_IbLb0EEEEDaS1P_S1Q_EUlS1P_E_NS1_11comp_targetILNS1_3genE9ELNS1_11target_archE1100ELNS1_3gpuE3ELNS1_3repE0EEENS1_30default_config_static_selectorELNS0_4arch9wavefront6targetE0EEEvS12_
	.p2align	8
	.type	_ZN7rocprim17ROCPRIM_400000_NS6detail17trampoline_kernelINS0_13select_configILj256ELj13ELNS0_17block_load_methodE3ELS4_3ELS4_3ELNS0_20block_scan_algorithmE0ELj4294967295EEENS1_25partition_config_selectorILNS1_17partition_subalgoE4EjNS0_10empty_typeEbEEZZNS1_14partition_implILS8_4ELb0ES6_15HIP_vector_typeIjLj2EENS0_17counting_iteratorIjlEEPS9_SG_NS0_5tupleIJPjSI_NS0_16reverse_iteratorISI_EEEEENSH_IJSG_SG_SG_EEES9_SI_JZNS1_25segmented_radix_sort_implINS0_14default_configELb0EPKaPaPKlPlN2at6native12_GLOBAL__N_18offset_tEEE10hipError_tPvRmT1_PNSt15iterator_traitsIS12_E10value_typeET2_T3_PNS13_IS18_E10value_typeET4_jRbjT5_S1E_jjP12ihipStream_tbEUljE_ZNSN_ISO_Lb0ESQ_SR_ST_SU_SY_EESZ_S10_S11_S12_S16_S17_S18_S1B_S1C_jS1D_jS1E_S1E_jjS1G_bEUljE0_EEESZ_S10_S11_S18_S1C_S1E_T6_T7_T9_mT8_S1G_bDpT10_ENKUlT_T0_E_clISt17integral_constantIbLb1EES1T_IbLb0EEEEDaS1P_S1Q_EUlS1P_E_NS1_11comp_targetILNS1_3genE9ELNS1_11target_archE1100ELNS1_3gpuE3ELNS1_3repE0EEENS1_30default_config_static_selectorELNS0_4arch9wavefront6targetE0EEEvS12_,@function
_ZN7rocprim17ROCPRIM_400000_NS6detail17trampoline_kernelINS0_13select_configILj256ELj13ELNS0_17block_load_methodE3ELS4_3ELS4_3ELNS0_20block_scan_algorithmE0ELj4294967295EEENS1_25partition_config_selectorILNS1_17partition_subalgoE4EjNS0_10empty_typeEbEEZZNS1_14partition_implILS8_4ELb0ES6_15HIP_vector_typeIjLj2EENS0_17counting_iteratorIjlEEPS9_SG_NS0_5tupleIJPjSI_NS0_16reverse_iteratorISI_EEEEENSH_IJSG_SG_SG_EEES9_SI_JZNS1_25segmented_radix_sort_implINS0_14default_configELb0EPKaPaPKlPlN2at6native12_GLOBAL__N_18offset_tEEE10hipError_tPvRmT1_PNSt15iterator_traitsIS12_E10value_typeET2_T3_PNS13_IS18_E10value_typeET4_jRbjT5_S1E_jjP12ihipStream_tbEUljE_ZNSN_ISO_Lb0ESQ_SR_ST_SU_SY_EESZ_S10_S11_S12_S16_S17_S18_S1B_S1C_jS1D_jS1E_S1E_jjS1G_bEUljE0_EEESZ_S10_S11_S18_S1C_S1E_T6_T7_T9_mT8_S1G_bDpT10_ENKUlT_T0_E_clISt17integral_constantIbLb1EES1T_IbLb0EEEEDaS1P_S1Q_EUlS1P_E_NS1_11comp_targetILNS1_3genE9ELNS1_11target_archE1100ELNS1_3gpuE3ELNS1_3repE0EEENS1_30default_config_static_selectorELNS0_4arch9wavefront6targetE0EEEvS12_: ; @_ZN7rocprim17ROCPRIM_400000_NS6detail17trampoline_kernelINS0_13select_configILj256ELj13ELNS0_17block_load_methodE3ELS4_3ELS4_3ELNS0_20block_scan_algorithmE0ELj4294967295EEENS1_25partition_config_selectorILNS1_17partition_subalgoE4EjNS0_10empty_typeEbEEZZNS1_14partition_implILS8_4ELb0ES6_15HIP_vector_typeIjLj2EENS0_17counting_iteratorIjlEEPS9_SG_NS0_5tupleIJPjSI_NS0_16reverse_iteratorISI_EEEEENSH_IJSG_SG_SG_EEES9_SI_JZNS1_25segmented_radix_sort_implINS0_14default_configELb0EPKaPaPKlPlN2at6native12_GLOBAL__N_18offset_tEEE10hipError_tPvRmT1_PNSt15iterator_traitsIS12_E10value_typeET2_T3_PNS13_IS18_E10value_typeET4_jRbjT5_S1E_jjP12ihipStream_tbEUljE_ZNSN_ISO_Lb0ESQ_SR_ST_SU_SY_EESZ_S10_S11_S12_S16_S17_S18_S1B_S1C_jS1D_jS1E_S1E_jjS1G_bEUljE0_EEESZ_S10_S11_S18_S1C_S1E_T6_T7_T9_mT8_S1G_bDpT10_ENKUlT_T0_E_clISt17integral_constantIbLb1EES1T_IbLb0EEEEDaS1P_S1Q_EUlS1P_E_NS1_11comp_targetILNS1_3genE9ELNS1_11target_archE1100ELNS1_3gpuE3ELNS1_3repE0EEENS1_30default_config_static_selectorELNS0_4arch9wavefront6targetE0EEEvS12_
; %bb.0:
	.section	.rodata,"a",@progbits
	.p2align	6, 0x0
	.amdhsa_kernel _ZN7rocprim17ROCPRIM_400000_NS6detail17trampoline_kernelINS0_13select_configILj256ELj13ELNS0_17block_load_methodE3ELS4_3ELS4_3ELNS0_20block_scan_algorithmE0ELj4294967295EEENS1_25partition_config_selectorILNS1_17partition_subalgoE4EjNS0_10empty_typeEbEEZZNS1_14partition_implILS8_4ELb0ES6_15HIP_vector_typeIjLj2EENS0_17counting_iteratorIjlEEPS9_SG_NS0_5tupleIJPjSI_NS0_16reverse_iteratorISI_EEEEENSH_IJSG_SG_SG_EEES9_SI_JZNS1_25segmented_radix_sort_implINS0_14default_configELb0EPKaPaPKlPlN2at6native12_GLOBAL__N_18offset_tEEE10hipError_tPvRmT1_PNSt15iterator_traitsIS12_E10value_typeET2_T3_PNS13_IS18_E10value_typeET4_jRbjT5_S1E_jjP12ihipStream_tbEUljE_ZNSN_ISO_Lb0ESQ_SR_ST_SU_SY_EESZ_S10_S11_S12_S16_S17_S18_S1B_S1C_jS1D_jS1E_S1E_jjS1G_bEUljE0_EEESZ_S10_S11_S18_S1C_S1E_T6_T7_T9_mT8_S1G_bDpT10_ENKUlT_T0_E_clISt17integral_constantIbLb1EES1T_IbLb0EEEEDaS1P_S1Q_EUlS1P_E_NS1_11comp_targetILNS1_3genE9ELNS1_11target_archE1100ELNS1_3gpuE3ELNS1_3repE0EEENS1_30default_config_static_selectorELNS0_4arch9wavefront6targetE0EEEvS12_
		.amdhsa_group_segment_fixed_size 0
		.amdhsa_private_segment_fixed_size 0
		.amdhsa_kernarg_size 176
		.amdhsa_user_sgpr_count 2
		.amdhsa_user_sgpr_dispatch_ptr 0
		.amdhsa_user_sgpr_queue_ptr 0
		.amdhsa_user_sgpr_kernarg_segment_ptr 1
		.amdhsa_user_sgpr_dispatch_id 0
		.amdhsa_user_sgpr_kernarg_preload_length 0
		.amdhsa_user_sgpr_kernarg_preload_offset 0
		.amdhsa_user_sgpr_private_segment_size 0
		.amdhsa_wavefront_size32 1
		.amdhsa_uses_dynamic_stack 0
		.amdhsa_enable_private_segment 0
		.amdhsa_system_sgpr_workgroup_id_x 1
		.amdhsa_system_sgpr_workgroup_id_y 0
		.amdhsa_system_sgpr_workgroup_id_z 0
		.amdhsa_system_sgpr_workgroup_info 0
		.amdhsa_system_vgpr_workitem_id 0
		.amdhsa_next_free_vgpr 1
		.amdhsa_next_free_sgpr 1
		.amdhsa_named_barrier_count 0
		.amdhsa_reserve_vcc 0
		.amdhsa_float_round_mode_32 0
		.amdhsa_float_round_mode_16_64 0
		.amdhsa_float_denorm_mode_32 3
		.amdhsa_float_denorm_mode_16_64 3
		.amdhsa_fp16_overflow 0
		.amdhsa_memory_ordered 1
		.amdhsa_forward_progress 1
		.amdhsa_inst_pref_size 0
		.amdhsa_round_robin_scheduling 0
		.amdhsa_exception_fp_ieee_invalid_op 0
		.amdhsa_exception_fp_denorm_src 0
		.amdhsa_exception_fp_ieee_div_zero 0
		.amdhsa_exception_fp_ieee_overflow 0
		.amdhsa_exception_fp_ieee_underflow 0
		.amdhsa_exception_fp_ieee_inexact 0
		.amdhsa_exception_int_div_zero 0
	.end_amdhsa_kernel
	.section	.text._ZN7rocprim17ROCPRIM_400000_NS6detail17trampoline_kernelINS0_13select_configILj256ELj13ELNS0_17block_load_methodE3ELS4_3ELS4_3ELNS0_20block_scan_algorithmE0ELj4294967295EEENS1_25partition_config_selectorILNS1_17partition_subalgoE4EjNS0_10empty_typeEbEEZZNS1_14partition_implILS8_4ELb0ES6_15HIP_vector_typeIjLj2EENS0_17counting_iteratorIjlEEPS9_SG_NS0_5tupleIJPjSI_NS0_16reverse_iteratorISI_EEEEENSH_IJSG_SG_SG_EEES9_SI_JZNS1_25segmented_radix_sort_implINS0_14default_configELb0EPKaPaPKlPlN2at6native12_GLOBAL__N_18offset_tEEE10hipError_tPvRmT1_PNSt15iterator_traitsIS12_E10value_typeET2_T3_PNS13_IS18_E10value_typeET4_jRbjT5_S1E_jjP12ihipStream_tbEUljE_ZNSN_ISO_Lb0ESQ_SR_ST_SU_SY_EESZ_S10_S11_S12_S16_S17_S18_S1B_S1C_jS1D_jS1E_S1E_jjS1G_bEUljE0_EEESZ_S10_S11_S18_S1C_S1E_T6_T7_T9_mT8_S1G_bDpT10_ENKUlT_T0_E_clISt17integral_constantIbLb1EES1T_IbLb0EEEEDaS1P_S1Q_EUlS1P_E_NS1_11comp_targetILNS1_3genE9ELNS1_11target_archE1100ELNS1_3gpuE3ELNS1_3repE0EEENS1_30default_config_static_selectorELNS0_4arch9wavefront6targetE0EEEvS12_,"axG",@progbits,_ZN7rocprim17ROCPRIM_400000_NS6detail17trampoline_kernelINS0_13select_configILj256ELj13ELNS0_17block_load_methodE3ELS4_3ELS4_3ELNS0_20block_scan_algorithmE0ELj4294967295EEENS1_25partition_config_selectorILNS1_17partition_subalgoE4EjNS0_10empty_typeEbEEZZNS1_14partition_implILS8_4ELb0ES6_15HIP_vector_typeIjLj2EENS0_17counting_iteratorIjlEEPS9_SG_NS0_5tupleIJPjSI_NS0_16reverse_iteratorISI_EEEEENSH_IJSG_SG_SG_EEES9_SI_JZNS1_25segmented_radix_sort_implINS0_14default_configELb0EPKaPaPKlPlN2at6native12_GLOBAL__N_18offset_tEEE10hipError_tPvRmT1_PNSt15iterator_traitsIS12_E10value_typeET2_T3_PNS13_IS18_E10value_typeET4_jRbjT5_S1E_jjP12ihipStream_tbEUljE_ZNSN_ISO_Lb0ESQ_SR_ST_SU_SY_EESZ_S10_S11_S12_S16_S17_S18_S1B_S1C_jS1D_jS1E_S1E_jjS1G_bEUljE0_EEESZ_S10_S11_S18_S1C_S1E_T6_T7_T9_mT8_S1G_bDpT10_ENKUlT_T0_E_clISt17integral_constantIbLb1EES1T_IbLb0EEEEDaS1P_S1Q_EUlS1P_E_NS1_11comp_targetILNS1_3genE9ELNS1_11target_archE1100ELNS1_3gpuE3ELNS1_3repE0EEENS1_30default_config_static_selectorELNS0_4arch9wavefront6targetE0EEEvS12_,comdat
.Lfunc_end348:
	.size	_ZN7rocprim17ROCPRIM_400000_NS6detail17trampoline_kernelINS0_13select_configILj256ELj13ELNS0_17block_load_methodE3ELS4_3ELS4_3ELNS0_20block_scan_algorithmE0ELj4294967295EEENS1_25partition_config_selectorILNS1_17partition_subalgoE4EjNS0_10empty_typeEbEEZZNS1_14partition_implILS8_4ELb0ES6_15HIP_vector_typeIjLj2EENS0_17counting_iteratorIjlEEPS9_SG_NS0_5tupleIJPjSI_NS0_16reverse_iteratorISI_EEEEENSH_IJSG_SG_SG_EEES9_SI_JZNS1_25segmented_radix_sort_implINS0_14default_configELb0EPKaPaPKlPlN2at6native12_GLOBAL__N_18offset_tEEE10hipError_tPvRmT1_PNSt15iterator_traitsIS12_E10value_typeET2_T3_PNS13_IS18_E10value_typeET4_jRbjT5_S1E_jjP12ihipStream_tbEUljE_ZNSN_ISO_Lb0ESQ_SR_ST_SU_SY_EESZ_S10_S11_S12_S16_S17_S18_S1B_S1C_jS1D_jS1E_S1E_jjS1G_bEUljE0_EEESZ_S10_S11_S18_S1C_S1E_T6_T7_T9_mT8_S1G_bDpT10_ENKUlT_T0_E_clISt17integral_constantIbLb1EES1T_IbLb0EEEEDaS1P_S1Q_EUlS1P_E_NS1_11comp_targetILNS1_3genE9ELNS1_11target_archE1100ELNS1_3gpuE3ELNS1_3repE0EEENS1_30default_config_static_selectorELNS0_4arch9wavefront6targetE0EEEvS12_, .Lfunc_end348-_ZN7rocprim17ROCPRIM_400000_NS6detail17trampoline_kernelINS0_13select_configILj256ELj13ELNS0_17block_load_methodE3ELS4_3ELS4_3ELNS0_20block_scan_algorithmE0ELj4294967295EEENS1_25partition_config_selectorILNS1_17partition_subalgoE4EjNS0_10empty_typeEbEEZZNS1_14partition_implILS8_4ELb0ES6_15HIP_vector_typeIjLj2EENS0_17counting_iteratorIjlEEPS9_SG_NS0_5tupleIJPjSI_NS0_16reverse_iteratorISI_EEEEENSH_IJSG_SG_SG_EEES9_SI_JZNS1_25segmented_radix_sort_implINS0_14default_configELb0EPKaPaPKlPlN2at6native12_GLOBAL__N_18offset_tEEE10hipError_tPvRmT1_PNSt15iterator_traitsIS12_E10value_typeET2_T3_PNS13_IS18_E10value_typeET4_jRbjT5_S1E_jjP12ihipStream_tbEUljE_ZNSN_ISO_Lb0ESQ_SR_ST_SU_SY_EESZ_S10_S11_S12_S16_S17_S18_S1B_S1C_jS1D_jS1E_S1E_jjS1G_bEUljE0_EEESZ_S10_S11_S18_S1C_S1E_T6_T7_T9_mT8_S1G_bDpT10_ENKUlT_T0_E_clISt17integral_constantIbLb1EES1T_IbLb0EEEEDaS1P_S1Q_EUlS1P_E_NS1_11comp_targetILNS1_3genE9ELNS1_11target_archE1100ELNS1_3gpuE3ELNS1_3repE0EEENS1_30default_config_static_selectorELNS0_4arch9wavefront6targetE0EEEvS12_
                                        ; -- End function
	.set _ZN7rocprim17ROCPRIM_400000_NS6detail17trampoline_kernelINS0_13select_configILj256ELj13ELNS0_17block_load_methodE3ELS4_3ELS4_3ELNS0_20block_scan_algorithmE0ELj4294967295EEENS1_25partition_config_selectorILNS1_17partition_subalgoE4EjNS0_10empty_typeEbEEZZNS1_14partition_implILS8_4ELb0ES6_15HIP_vector_typeIjLj2EENS0_17counting_iteratorIjlEEPS9_SG_NS0_5tupleIJPjSI_NS0_16reverse_iteratorISI_EEEEENSH_IJSG_SG_SG_EEES9_SI_JZNS1_25segmented_radix_sort_implINS0_14default_configELb0EPKaPaPKlPlN2at6native12_GLOBAL__N_18offset_tEEE10hipError_tPvRmT1_PNSt15iterator_traitsIS12_E10value_typeET2_T3_PNS13_IS18_E10value_typeET4_jRbjT5_S1E_jjP12ihipStream_tbEUljE_ZNSN_ISO_Lb0ESQ_SR_ST_SU_SY_EESZ_S10_S11_S12_S16_S17_S18_S1B_S1C_jS1D_jS1E_S1E_jjS1G_bEUljE0_EEESZ_S10_S11_S18_S1C_S1E_T6_T7_T9_mT8_S1G_bDpT10_ENKUlT_T0_E_clISt17integral_constantIbLb1EES1T_IbLb0EEEEDaS1P_S1Q_EUlS1P_E_NS1_11comp_targetILNS1_3genE9ELNS1_11target_archE1100ELNS1_3gpuE3ELNS1_3repE0EEENS1_30default_config_static_selectorELNS0_4arch9wavefront6targetE0EEEvS12_.num_vgpr, 0
	.set _ZN7rocprim17ROCPRIM_400000_NS6detail17trampoline_kernelINS0_13select_configILj256ELj13ELNS0_17block_load_methodE3ELS4_3ELS4_3ELNS0_20block_scan_algorithmE0ELj4294967295EEENS1_25partition_config_selectorILNS1_17partition_subalgoE4EjNS0_10empty_typeEbEEZZNS1_14partition_implILS8_4ELb0ES6_15HIP_vector_typeIjLj2EENS0_17counting_iteratorIjlEEPS9_SG_NS0_5tupleIJPjSI_NS0_16reverse_iteratorISI_EEEEENSH_IJSG_SG_SG_EEES9_SI_JZNS1_25segmented_radix_sort_implINS0_14default_configELb0EPKaPaPKlPlN2at6native12_GLOBAL__N_18offset_tEEE10hipError_tPvRmT1_PNSt15iterator_traitsIS12_E10value_typeET2_T3_PNS13_IS18_E10value_typeET4_jRbjT5_S1E_jjP12ihipStream_tbEUljE_ZNSN_ISO_Lb0ESQ_SR_ST_SU_SY_EESZ_S10_S11_S12_S16_S17_S18_S1B_S1C_jS1D_jS1E_S1E_jjS1G_bEUljE0_EEESZ_S10_S11_S18_S1C_S1E_T6_T7_T9_mT8_S1G_bDpT10_ENKUlT_T0_E_clISt17integral_constantIbLb1EES1T_IbLb0EEEEDaS1P_S1Q_EUlS1P_E_NS1_11comp_targetILNS1_3genE9ELNS1_11target_archE1100ELNS1_3gpuE3ELNS1_3repE0EEENS1_30default_config_static_selectorELNS0_4arch9wavefront6targetE0EEEvS12_.num_agpr, 0
	.set _ZN7rocprim17ROCPRIM_400000_NS6detail17trampoline_kernelINS0_13select_configILj256ELj13ELNS0_17block_load_methodE3ELS4_3ELS4_3ELNS0_20block_scan_algorithmE0ELj4294967295EEENS1_25partition_config_selectorILNS1_17partition_subalgoE4EjNS0_10empty_typeEbEEZZNS1_14partition_implILS8_4ELb0ES6_15HIP_vector_typeIjLj2EENS0_17counting_iteratorIjlEEPS9_SG_NS0_5tupleIJPjSI_NS0_16reverse_iteratorISI_EEEEENSH_IJSG_SG_SG_EEES9_SI_JZNS1_25segmented_radix_sort_implINS0_14default_configELb0EPKaPaPKlPlN2at6native12_GLOBAL__N_18offset_tEEE10hipError_tPvRmT1_PNSt15iterator_traitsIS12_E10value_typeET2_T3_PNS13_IS18_E10value_typeET4_jRbjT5_S1E_jjP12ihipStream_tbEUljE_ZNSN_ISO_Lb0ESQ_SR_ST_SU_SY_EESZ_S10_S11_S12_S16_S17_S18_S1B_S1C_jS1D_jS1E_S1E_jjS1G_bEUljE0_EEESZ_S10_S11_S18_S1C_S1E_T6_T7_T9_mT8_S1G_bDpT10_ENKUlT_T0_E_clISt17integral_constantIbLb1EES1T_IbLb0EEEEDaS1P_S1Q_EUlS1P_E_NS1_11comp_targetILNS1_3genE9ELNS1_11target_archE1100ELNS1_3gpuE3ELNS1_3repE0EEENS1_30default_config_static_selectorELNS0_4arch9wavefront6targetE0EEEvS12_.numbered_sgpr, 0
	.set _ZN7rocprim17ROCPRIM_400000_NS6detail17trampoline_kernelINS0_13select_configILj256ELj13ELNS0_17block_load_methodE3ELS4_3ELS4_3ELNS0_20block_scan_algorithmE0ELj4294967295EEENS1_25partition_config_selectorILNS1_17partition_subalgoE4EjNS0_10empty_typeEbEEZZNS1_14partition_implILS8_4ELb0ES6_15HIP_vector_typeIjLj2EENS0_17counting_iteratorIjlEEPS9_SG_NS0_5tupleIJPjSI_NS0_16reverse_iteratorISI_EEEEENSH_IJSG_SG_SG_EEES9_SI_JZNS1_25segmented_radix_sort_implINS0_14default_configELb0EPKaPaPKlPlN2at6native12_GLOBAL__N_18offset_tEEE10hipError_tPvRmT1_PNSt15iterator_traitsIS12_E10value_typeET2_T3_PNS13_IS18_E10value_typeET4_jRbjT5_S1E_jjP12ihipStream_tbEUljE_ZNSN_ISO_Lb0ESQ_SR_ST_SU_SY_EESZ_S10_S11_S12_S16_S17_S18_S1B_S1C_jS1D_jS1E_S1E_jjS1G_bEUljE0_EEESZ_S10_S11_S18_S1C_S1E_T6_T7_T9_mT8_S1G_bDpT10_ENKUlT_T0_E_clISt17integral_constantIbLb1EES1T_IbLb0EEEEDaS1P_S1Q_EUlS1P_E_NS1_11comp_targetILNS1_3genE9ELNS1_11target_archE1100ELNS1_3gpuE3ELNS1_3repE0EEENS1_30default_config_static_selectorELNS0_4arch9wavefront6targetE0EEEvS12_.num_named_barrier, 0
	.set _ZN7rocprim17ROCPRIM_400000_NS6detail17trampoline_kernelINS0_13select_configILj256ELj13ELNS0_17block_load_methodE3ELS4_3ELS4_3ELNS0_20block_scan_algorithmE0ELj4294967295EEENS1_25partition_config_selectorILNS1_17partition_subalgoE4EjNS0_10empty_typeEbEEZZNS1_14partition_implILS8_4ELb0ES6_15HIP_vector_typeIjLj2EENS0_17counting_iteratorIjlEEPS9_SG_NS0_5tupleIJPjSI_NS0_16reverse_iteratorISI_EEEEENSH_IJSG_SG_SG_EEES9_SI_JZNS1_25segmented_radix_sort_implINS0_14default_configELb0EPKaPaPKlPlN2at6native12_GLOBAL__N_18offset_tEEE10hipError_tPvRmT1_PNSt15iterator_traitsIS12_E10value_typeET2_T3_PNS13_IS18_E10value_typeET4_jRbjT5_S1E_jjP12ihipStream_tbEUljE_ZNSN_ISO_Lb0ESQ_SR_ST_SU_SY_EESZ_S10_S11_S12_S16_S17_S18_S1B_S1C_jS1D_jS1E_S1E_jjS1G_bEUljE0_EEESZ_S10_S11_S18_S1C_S1E_T6_T7_T9_mT8_S1G_bDpT10_ENKUlT_T0_E_clISt17integral_constantIbLb1EES1T_IbLb0EEEEDaS1P_S1Q_EUlS1P_E_NS1_11comp_targetILNS1_3genE9ELNS1_11target_archE1100ELNS1_3gpuE3ELNS1_3repE0EEENS1_30default_config_static_selectorELNS0_4arch9wavefront6targetE0EEEvS12_.private_seg_size, 0
	.set _ZN7rocprim17ROCPRIM_400000_NS6detail17trampoline_kernelINS0_13select_configILj256ELj13ELNS0_17block_load_methodE3ELS4_3ELS4_3ELNS0_20block_scan_algorithmE0ELj4294967295EEENS1_25partition_config_selectorILNS1_17partition_subalgoE4EjNS0_10empty_typeEbEEZZNS1_14partition_implILS8_4ELb0ES6_15HIP_vector_typeIjLj2EENS0_17counting_iteratorIjlEEPS9_SG_NS0_5tupleIJPjSI_NS0_16reverse_iteratorISI_EEEEENSH_IJSG_SG_SG_EEES9_SI_JZNS1_25segmented_radix_sort_implINS0_14default_configELb0EPKaPaPKlPlN2at6native12_GLOBAL__N_18offset_tEEE10hipError_tPvRmT1_PNSt15iterator_traitsIS12_E10value_typeET2_T3_PNS13_IS18_E10value_typeET4_jRbjT5_S1E_jjP12ihipStream_tbEUljE_ZNSN_ISO_Lb0ESQ_SR_ST_SU_SY_EESZ_S10_S11_S12_S16_S17_S18_S1B_S1C_jS1D_jS1E_S1E_jjS1G_bEUljE0_EEESZ_S10_S11_S18_S1C_S1E_T6_T7_T9_mT8_S1G_bDpT10_ENKUlT_T0_E_clISt17integral_constantIbLb1EES1T_IbLb0EEEEDaS1P_S1Q_EUlS1P_E_NS1_11comp_targetILNS1_3genE9ELNS1_11target_archE1100ELNS1_3gpuE3ELNS1_3repE0EEENS1_30default_config_static_selectorELNS0_4arch9wavefront6targetE0EEEvS12_.uses_vcc, 0
	.set _ZN7rocprim17ROCPRIM_400000_NS6detail17trampoline_kernelINS0_13select_configILj256ELj13ELNS0_17block_load_methodE3ELS4_3ELS4_3ELNS0_20block_scan_algorithmE0ELj4294967295EEENS1_25partition_config_selectorILNS1_17partition_subalgoE4EjNS0_10empty_typeEbEEZZNS1_14partition_implILS8_4ELb0ES6_15HIP_vector_typeIjLj2EENS0_17counting_iteratorIjlEEPS9_SG_NS0_5tupleIJPjSI_NS0_16reverse_iteratorISI_EEEEENSH_IJSG_SG_SG_EEES9_SI_JZNS1_25segmented_radix_sort_implINS0_14default_configELb0EPKaPaPKlPlN2at6native12_GLOBAL__N_18offset_tEEE10hipError_tPvRmT1_PNSt15iterator_traitsIS12_E10value_typeET2_T3_PNS13_IS18_E10value_typeET4_jRbjT5_S1E_jjP12ihipStream_tbEUljE_ZNSN_ISO_Lb0ESQ_SR_ST_SU_SY_EESZ_S10_S11_S12_S16_S17_S18_S1B_S1C_jS1D_jS1E_S1E_jjS1G_bEUljE0_EEESZ_S10_S11_S18_S1C_S1E_T6_T7_T9_mT8_S1G_bDpT10_ENKUlT_T0_E_clISt17integral_constantIbLb1EES1T_IbLb0EEEEDaS1P_S1Q_EUlS1P_E_NS1_11comp_targetILNS1_3genE9ELNS1_11target_archE1100ELNS1_3gpuE3ELNS1_3repE0EEENS1_30default_config_static_selectorELNS0_4arch9wavefront6targetE0EEEvS12_.uses_flat_scratch, 0
	.set _ZN7rocprim17ROCPRIM_400000_NS6detail17trampoline_kernelINS0_13select_configILj256ELj13ELNS0_17block_load_methodE3ELS4_3ELS4_3ELNS0_20block_scan_algorithmE0ELj4294967295EEENS1_25partition_config_selectorILNS1_17partition_subalgoE4EjNS0_10empty_typeEbEEZZNS1_14partition_implILS8_4ELb0ES6_15HIP_vector_typeIjLj2EENS0_17counting_iteratorIjlEEPS9_SG_NS0_5tupleIJPjSI_NS0_16reverse_iteratorISI_EEEEENSH_IJSG_SG_SG_EEES9_SI_JZNS1_25segmented_radix_sort_implINS0_14default_configELb0EPKaPaPKlPlN2at6native12_GLOBAL__N_18offset_tEEE10hipError_tPvRmT1_PNSt15iterator_traitsIS12_E10value_typeET2_T3_PNS13_IS18_E10value_typeET4_jRbjT5_S1E_jjP12ihipStream_tbEUljE_ZNSN_ISO_Lb0ESQ_SR_ST_SU_SY_EESZ_S10_S11_S12_S16_S17_S18_S1B_S1C_jS1D_jS1E_S1E_jjS1G_bEUljE0_EEESZ_S10_S11_S18_S1C_S1E_T6_T7_T9_mT8_S1G_bDpT10_ENKUlT_T0_E_clISt17integral_constantIbLb1EES1T_IbLb0EEEEDaS1P_S1Q_EUlS1P_E_NS1_11comp_targetILNS1_3genE9ELNS1_11target_archE1100ELNS1_3gpuE3ELNS1_3repE0EEENS1_30default_config_static_selectorELNS0_4arch9wavefront6targetE0EEEvS12_.has_dyn_sized_stack, 0
	.set _ZN7rocprim17ROCPRIM_400000_NS6detail17trampoline_kernelINS0_13select_configILj256ELj13ELNS0_17block_load_methodE3ELS4_3ELS4_3ELNS0_20block_scan_algorithmE0ELj4294967295EEENS1_25partition_config_selectorILNS1_17partition_subalgoE4EjNS0_10empty_typeEbEEZZNS1_14partition_implILS8_4ELb0ES6_15HIP_vector_typeIjLj2EENS0_17counting_iteratorIjlEEPS9_SG_NS0_5tupleIJPjSI_NS0_16reverse_iteratorISI_EEEEENSH_IJSG_SG_SG_EEES9_SI_JZNS1_25segmented_radix_sort_implINS0_14default_configELb0EPKaPaPKlPlN2at6native12_GLOBAL__N_18offset_tEEE10hipError_tPvRmT1_PNSt15iterator_traitsIS12_E10value_typeET2_T3_PNS13_IS18_E10value_typeET4_jRbjT5_S1E_jjP12ihipStream_tbEUljE_ZNSN_ISO_Lb0ESQ_SR_ST_SU_SY_EESZ_S10_S11_S12_S16_S17_S18_S1B_S1C_jS1D_jS1E_S1E_jjS1G_bEUljE0_EEESZ_S10_S11_S18_S1C_S1E_T6_T7_T9_mT8_S1G_bDpT10_ENKUlT_T0_E_clISt17integral_constantIbLb1EES1T_IbLb0EEEEDaS1P_S1Q_EUlS1P_E_NS1_11comp_targetILNS1_3genE9ELNS1_11target_archE1100ELNS1_3gpuE3ELNS1_3repE0EEENS1_30default_config_static_selectorELNS0_4arch9wavefront6targetE0EEEvS12_.has_recursion, 0
	.set _ZN7rocprim17ROCPRIM_400000_NS6detail17trampoline_kernelINS0_13select_configILj256ELj13ELNS0_17block_load_methodE3ELS4_3ELS4_3ELNS0_20block_scan_algorithmE0ELj4294967295EEENS1_25partition_config_selectorILNS1_17partition_subalgoE4EjNS0_10empty_typeEbEEZZNS1_14partition_implILS8_4ELb0ES6_15HIP_vector_typeIjLj2EENS0_17counting_iteratorIjlEEPS9_SG_NS0_5tupleIJPjSI_NS0_16reverse_iteratorISI_EEEEENSH_IJSG_SG_SG_EEES9_SI_JZNS1_25segmented_radix_sort_implINS0_14default_configELb0EPKaPaPKlPlN2at6native12_GLOBAL__N_18offset_tEEE10hipError_tPvRmT1_PNSt15iterator_traitsIS12_E10value_typeET2_T3_PNS13_IS18_E10value_typeET4_jRbjT5_S1E_jjP12ihipStream_tbEUljE_ZNSN_ISO_Lb0ESQ_SR_ST_SU_SY_EESZ_S10_S11_S12_S16_S17_S18_S1B_S1C_jS1D_jS1E_S1E_jjS1G_bEUljE0_EEESZ_S10_S11_S18_S1C_S1E_T6_T7_T9_mT8_S1G_bDpT10_ENKUlT_T0_E_clISt17integral_constantIbLb1EES1T_IbLb0EEEEDaS1P_S1Q_EUlS1P_E_NS1_11comp_targetILNS1_3genE9ELNS1_11target_archE1100ELNS1_3gpuE3ELNS1_3repE0EEENS1_30default_config_static_selectorELNS0_4arch9wavefront6targetE0EEEvS12_.has_indirect_call, 0
	.section	.AMDGPU.csdata,"",@progbits
; Kernel info:
; codeLenInByte = 0
; TotalNumSgprs: 0
; NumVgprs: 0
; ScratchSize: 0
; MemoryBound: 0
; FloatMode: 240
; IeeeMode: 1
; LDSByteSize: 0 bytes/workgroup (compile time only)
; SGPRBlocks: 0
; VGPRBlocks: 0
; NumSGPRsForWavesPerEU: 1
; NumVGPRsForWavesPerEU: 1
; NamedBarCnt: 0
; Occupancy: 16
; WaveLimiterHint : 0
; COMPUTE_PGM_RSRC2:SCRATCH_EN: 0
; COMPUTE_PGM_RSRC2:USER_SGPR: 2
; COMPUTE_PGM_RSRC2:TRAP_HANDLER: 0
; COMPUTE_PGM_RSRC2:TGID_X_EN: 1
; COMPUTE_PGM_RSRC2:TGID_Y_EN: 0
; COMPUTE_PGM_RSRC2:TGID_Z_EN: 0
; COMPUTE_PGM_RSRC2:TIDIG_COMP_CNT: 0
	.section	.text._ZN7rocprim17ROCPRIM_400000_NS6detail17trampoline_kernelINS0_13select_configILj256ELj13ELNS0_17block_load_methodE3ELS4_3ELS4_3ELNS0_20block_scan_algorithmE0ELj4294967295EEENS1_25partition_config_selectorILNS1_17partition_subalgoE4EjNS0_10empty_typeEbEEZZNS1_14partition_implILS8_4ELb0ES6_15HIP_vector_typeIjLj2EENS0_17counting_iteratorIjlEEPS9_SG_NS0_5tupleIJPjSI_NS0_16reverse_iteratorISI_EEEEENSH_IJSG_SG_SG_EEES9_SI_JZNS1_25segmented_radix_sort_implINS0_14default_configELb0EPKaPaPKlPlN2at6native12_GLOBAL__N_18offset_tEEE10hipError_tPvRmT1_PNSt15iterator_traitsIS12_E10value_typeET2_T3_PNS13_IS18_E10value_typeET4_jRbjT5_S1E_jjP12ihipStream_tbEUljE_ZNSN_ISO_Lb0ESQ_SR_ST_SU_SY_EESZ_S10_S11_S12_S16_S17_S18_S1B_S1C_jS1D_jS1E_S1E_jjS1G_bEUljE0_EEESZ_S10_S11_S18_S1C_S1E_T6_T7_T9_mT8_S1G_bDpT10_ENKUlT_T0_E_clISt17integral_constantIbLb1EES1T_IbLb0EEEEDaS1P_S1Q_EUlS1P_E_NS1_11comp_targetILNS1_3genE8ELNS1_11target_archE1030ELNS1_3gpuE2ELNS1_3repE0EEENS1_30default_config_static_selectorELNS0_4arch9wavefront6targetE0EEEvS12_,"axG",@progbits,_ZN7rocprim17ROCPRIM_400000_NS6detail17trampoline_kernelINS0_13select_configILj256ELj13ELNS0_17block_load_methodE3ELS4_3ELS4_3ELNS0_20block_scan_algorithmE0ELj4294967295EEENS1_25partition_config_selectorILNS1_17partition_subalgoE4EjNS0_10empty_typeEbEEZZNS1_14partition_implILS8_4ELb0ES6_15HIP_vector_typeIjLj2EENS0_17counting_iteratorIjlEEPS9_SG_NS0_5tupleIJPjSI_NS0_16reverse_iteratorISI_EEEEENSH_IJSG_SG_SG_EEES9_SI_JZNS1_25segmented_radix_sort_implINS0_14default_configELb0EPKaPaPKlPlN2at6native12_GLOBAL__N_18offset_tEEE10hipError_tPvRmT1_PNSt15iterator_traitsIS12_E10value_typeET2_T3_PNS13_IS18_E10value_typeET4_jRbjT5_S1E_jjP12ihipStream_tbEUljE_ZNSN_ISO_Lb0ESQ_SR_ST_SU_SY_EESZ_S10_S11_S12_S16_S17_S18_S1B_S1C_jS1D_jS1E_S1E_jjS1G_bEUljE0_EEESZ_S10_S11_S18_S1C_S1E_T6_T7_T9_mT8_S1G_bDpT10_ENKUlT_T0_E_clISt17integral_constantIbLb1EES1T_IbLb0EEEEDaS1P_S1Q_EUlS1P_E_NS1_11comp_targetILNS1_3genE8ELNS1_11target_archE1030ELNS1_3gpuE2ELNS1_3repE0EEENS1_30default_config_static_selectorELNS0_4arch9wavefront6targetE0EEEvS12_,comdat
	.globl	_ZN7rocprim17ROCPRIM_400000_NS6detail17trampoline_kernelINS0_13select_configILj256ELj13ELNS0_17block_load_methodE3ELS4_3ELS4_3ELNS0_20block_scan_algorithmE0ELj4294967295EEENS1_25partition_config_selectorILNS1_17partition_subalgoE4EjNS0_10empty_typeEbEEZZNS1_14partition_implILS8_4ELb0ES6_15HIP_vector_typeIjLj2EENS0_17counting_iteratorIjlEEPS9_SG_NS0_5tupleIJPjSI_NS0_16reverse_iteratorISI_EEEEENSH_IJSG_SG_SG_EEES9_SI_JZNS1_25segmented_radix_sort_implINS0_14default_configELb0EPKaPaPKlPlN2at6native12_GLOBAL__N_18offset_tEEE10hipError_tPvRmT1_PNSt15iterator_traitsIS12_E10value_typeET2_T3_PNS13_IS18_E10value_typeET4_jRbjT5_S1E_jjP12ihipStream_tbEUljE_ZNSN_ISO_Lb0ESQ_SR_ST_SU_SY_EESZ_S10_S11_S12_S16_S17_S18_S1B_S1C_jS1D_jS1E_S1E_jjS1G_bEUljE0_EEESZ_S10_S11_S18_S1C_S1E_T6_T7_T9_mT8_S1G_bDpT10_ENKUlT_T0_E_clISt17integral_constantIbLb1EES1T_IbLb0EEEEDaS1P_S1Q_EUlS1P_E_NS1_11comp_targetILNS1_3genE8ELNS1_11target_archE1030ELNS1_3gpuE2ELNS1_3repE0EEENS1_30default_config_static_selectorELNS0_4arch9wavefront6targetE0EEEvS12_ ; -- Begin function _ZN7rocprim17ROCPRIM_400000_NS6detail17trampoline_kernelINS0_13select_configILj256ELj13ELNS0_17block_load_methodE3ELS4_3ELS4_3ELNS0_20block_scan_algorithmE0ELj4294967295EEENS1_25partition_config_selectorILNS1_17partition_subalgoE4EjNS0_10empty_typeEbEEZZNS1_14partition_implILS8_4ELb0ES6_15HIP_vector_typeIjLj2EENS0_17counting_iteratorIjlEEPS9_SG_NS0_5tupleIJPjSI_NS0_16reverse_iteratorISI_EEEEENSH_IJSG_SG_SG_EEES9_SI_JZNS1_25segmented_radix_sort_implINS0_14default_configELb0EPKaPaPKlPlN2at6native12_GLOBAL__N_18offset_tEEE10hipError_tPvRmT1_PNSt15iterator_traitsIS12_E10value_typeET2_T3_PNS13_IS18_E10value_typeET4_jRbjT5_S1E_jjP12ihipStream_tbEUljE_ZNSN_ISO_Lb0ESQ_SR_ST_SU_SY_EESZ_S10_S11_S12_S16_S17_S18_S1B_S1C_jS1D_jS1E_S1E_jjS1G_bEUljE0_EEESZ_S10_S11_S18_S1C_S1E_T6_T7_T9_mT8_S1G_bDpT10_ENKUlT_T0_E_clISt17integral_constantIbLb1EES1T_IbLb0EEEEDaS1P_S1Q_EUlS1P_E_NS1_11comp_targetILNS1_3genE8ELNS1_11target_archE1030ELNS1_3gpuE2ELNS1_3repE0EEENS1_30default_config_static_selectorELNS0_4arch9wavefront6targetE0EEEvS12_
	.p2align	8
	.type	_ZN7rocprim17ROCPRIM_400000_NS6detail17trampoline_kernelINS0_13select_configILj256ELj13ELNS0_17block_load_methodE3ELS4_3ELS4_3ELNS0_20block_scan_algorithmE0ELj4294967295EEENS1_25partition_config_selectorILNS1_17partition_subalgoE4EjNS0_10empty_typeEbEEZZNS1_14partition_implILS8_4ELb0ES6_15HIP_vector_typeIjLj2EENS0_17counting_iteratorIjlEEPS9_SG_NS0_5tupleIJPjSI_NS0_16reverse_iteratorISI_EEEEENSH_IJSG_SG_SG_EEES9_SI_JZNS1_25segmented_radix_sort_implINS0_14default_configELb0EPKaPaPKlPlN2at6native12_GLOBAL__N_18offset_tEEE10hipError_tPvRmT1_PNSt15iterator_traitsIS12_E10value_typeET2_T3_PNS13_IS18_E10value_typeET4_jRbjT5_S1E_jjP12ihipStream_tbEUljE_ZNSN_ISO_Lb0ESQ_SR_ST_SU_SY_EESZ_S10_S11_S12_S16_S17_S18_S1B_S1C_jS1D_jS1E_S1E_jjS1G_bEUljE0_EEESZ_S10_S11_S18_S1C_S1E_T6_T7_T9_mT8_S1G_bDpT10_ENKUlT_T0_E_clISt17integral_constantIbLb1EES1T_IbLb0EEEEDaS1P_S1Q_EUlS1P_E_NS1_11comp_targetILNS1_3genE8ELNS1_11target_archE1030ELNS1_3gpuE2ELNS1_3repE0EEENS1_30default_config_static_selectorELNS0_4arch9wavefront6targetE0EEEvS12_,@function
_ZN7rocprim17ROCPRIM_400000_NS6detail17trampoline_kernelINS0_13select_configILj256ELj13ELNS0_17block_load_methodE3ELS4_3ELS4_3ELNS0_20block_scan_algorithmE0ELj4294967295EEENS1_25partition_config_selectorILNS1_17partition_subalgoE4EjNS0_10empty_typeEbEEZZNS1_14partition_implILS8_4ELb0ES6_15HIP_vector_typeIjLj2EENS0_17counting_iteratorIjlEEPS9_SG_NS0_5tupleIJPjSI_NS0_16reverse_iteratorISI_EEEEENSH_IJSG_SG_SG_EEES9_SI_JZNS1_25segmented_radix_sort_implINS0_14default_configELb0EPKaPaPKlPlN2at6native12_GLOBAL__N_18offset_tEEE10hipError_tPvRmT1_PNSt15iterator_traitsIS12_E10value_typeET2_T3_PNS13_IS18_E10value_typeET4_jRbjT5_S1E_jjP12ihipStream_tbEUljE_ZNSN_ISO_Lb0ESQ_SR_ST_SU_SY_EESZ_S10_S11_S12_S16_S17_S18_S1B_S1C_jS1D_jS1E_S1E_jjS1G_bEUljE0_EEESZ_S10_S11_S18_S1C_S1E_T6_T7_T9_mT8_S1G_bDpT10_ENKUlT_T0_E_clISt17integral_constantIbLb1EES1T_IbLb0EEEEDaS1P_S1Q_EUlS1P_E_NS1_11comp_targetILNS1_3genE8ELNS1_11target_archE1030ELNS1_3gpuE2ELNS1_3repE0EEENS1_30default_config_static_selectorELNS0_4arch9wavefront6targetE0EEEvS12_: ; @_ZN7rocprim17ROCPRIM_400000_NS6detail17trampoline_kernelINS0_13select_configILj256ELj13ELNS0_17block_load_methodE3ELS4_3ELS4_3ELNS0_20block_scan_algorithmE0ELj4294967295EEENS1_25partition_config_selectorILNS1_17partition_subalgoE4EjNS0_10empty_typeEbEEZZNS1_14partition_implILS8_4ELb0ES6_15HIP_vector_typeIjLj2EENS0_17counting_iteratorIjlEEPS9_SG_NS0_5tupleIJPjSI_NS0_16reverse_iteratorISI_EEEEENSH_IJSG_SG_SG_EEES9_SI_JZNS1_25segmented_radix_sort_implINS0_14default_configELb0EPKaPaPKlPlN2at6native12_GLOBAL__N_18offset_tEEE10hipError_tPvRmT1_PNSt15iterator_traitsIS12_E10value_typeET2_T3_PNS13_IS18_E10value_typeET4_jRbjT5_S1E_jjP12ihipStream_tbEUljE_ZNSN_ISO_Lb0ESQ_SR_ST_SU_SY_EESZ_S10_S11_S12_S16_S17_S18_S1B_S1C_jS1D_jS1E_S1E_jjS1G_bEUljE0_EEESZ_S10_S11_S18_S1C_S1E_T6_T7_T9_mT8_S1G_bDpT10_ENKUlT_T0_E_clISt17integral_constantIbLb1EES1T_IbLb0EEEEDaS1P_S1Q_EUlS1P_E_NS1_11comp_targetILNS1_3genE8ELNS1_11target_archE1030ELNS1_3gpuE2ELNS1_3repE0EEENS1_30default_config_static_selectorELNS0_4arch9wavefront6targetE0EEEvS12_
; %bb.0:
	.section	.rodata,"a",@progbits
	.p2align	6, 0x0
	.amdhsa_kernel _ZN7rocprim17ROCPRIM_400000_NS6detail17trampoline_kernelINS0_13select_configILj256ELj13ELNS0_17block_load_methodE3ELS4_3ELS4_3ELNS0_20block_scan_algorithmE0ELj4294967295EEENS1_25partition_config_selectorILNS1_17partition_subalgoE4EjNS0_10empty_typeEbEEZZNS1_14partition_implILS8_4ELb0ES6_15HIP_vector_typeIjLj2EENS0_17counting_iteratorIjlEEPS9_SG_NS0_5tupleIJPjSI_NS0_16reverse_iteratorISI_EEEEENSH_IJSG_SG_SG_EEES9_SI_JZNS1_25segmented_radix_sort_implINS0_14default_configELb0EPKaPaPKlPlN2at6native12_GLOBAL__N_18offset_tEEE10hipError_tPvRmT1_PNSt15iterator_traitsIS12_E10value_typeET2_T3_PNS13_IS18_E10value_typeET4_jRbjT5_S1E_jjP12ihipStream_tbEUljE_ZNSN_ISO_Lb0ESQ_SR_ST_SU_SY_EESZ_S10_S11_S12_S16_S17_S18_S1B_S1C_jS1D_jS1E_S1E_jjS1G_bEUljE0_EEESZ_S10_S11_S18_S1C_S1E_T6_T7_T9_mT8_S1G_bDpT10_ENKUlT_T0_E_clISt17integral_constantIbLb1EES1T_IbLb0EEEEDaS1P_S1Q_EUlS1P_E_NS1_11comp_targetILNS1_3genE8ELNS1_11target_archE1030ELNS1_3gpuE2ELNS1_3repE0EEENS1_30default_config_static_selectorELNS0_4arch9wavefront6targetE0EEEvS12_
		.amdhsa_group_segment_fixed_size 0
		.amdhsa_private_segment_fixed_size 0
		.amdhsa_kernarg_size 176
		.amdhsa_user_sgpr_count 2
		.amdhsa_user_sgpr_dispatch_ptr 0
		.amdhsa_user_sgpr_queue_ptr 0
		.amdhsa_user_sgpr_kernarg_segment_ptr 1
		.amdhsa_user_sgpr_dispatch_id 0
		.amdhsa_user_sgpr_kernarg_preload_length 0
		.amdhsa_user_sgpr_kernarg_preload_offset 0
		.amdhsa_user_sgpr_private_segment_size 0
		.amdhsa_wavefront_size32 1
		.amdhsa_uses_dynamic_stack 0
		.amdhsa_enable_private_segment 0
		.amdhsa_system_sgpr_workgroup_id_x 1
		.amdhsa_system_sgpr_workgroup_id_y 0
		.amdhsa_system_sgpr_workgroup_id_z 0
		.amdhsa_system_sgpr_workgroup_info 0
		.amdhsa_system_vgpr_workitem_id 0
		.amdhsa_next_free_vgpr 1
		.amdhsa_next_free_sgpr 1
		.amdhsa_named_barrier_count 0
		.amdhsa_reserve_vcc 0
		.amdhsa_float_round_mode_32 0
		.amdhsa_float_round_mode_16_64 0
		.amdhsa_float_denorm_mode_32 3
		.amdhsa_float_denorm_mode_16_64 3
		.amdhsa_fp16_overflow 0
		.amdhsa_memory_ordered 1
		.amdhsa_forward_progress 1
		.amdhsa_inst_pref_size 0
		.amdhsa_round_robin_scheduling 0
		.amdhsa_exception_fp_ieee_invalid_op 0
		.amdhsa_exception_fp_denorm_src 0
		.amdhsa_exception_fp_ieee_div_zero 0
		.amdhsa_exception_fp_ieee_overflow 0
		.amdhsa_exception_fp_ieee_underflow 0
		.amdhsa_exception_fp_ieee_inexact 0
		.amdhsa_exception_int_div_zero 0
	.end_amdhsa_kernel
	.section	.text._ZN7rocprim17ROCPRIM_400000_NS6detail17trampoline_kernelINS0_13select_configILj256ELj13ELNS0_17block_load_methodE3ELS4_3ELS4_3ELNS0_20block_scan_algorithmE0ELj4294967295EEENS1_25partition_config_selectorILNS1_17partition_subalgoE4EjNS0_10empty_typeEbEEZZNS1_14partition_implILS8_4ELb0ES6_15HIP_vector_typeIjLj2EENS0_17counting_iteratorIjlEEPS9_SG_NS0_5tupleIJPjSI_NS0_16reverse_iteratorISI_EEEEENSH_IJSG_SG_SG_EEES9_SI_JZNS1_25segmented_radix_sort_implINS0_14default_configELb0EPKaPaPKlPlN2at6native12_GLOBAL__N_18offset_tEEE10hipError_tPvRmT1_PNSt15iterator_traitsIS12_E10value_typeET2_T3_PNS13_IS18_E10value_typeET4_jRbjT5_S1E_jjP12ihipStream_tbEUljE_ZNSN_ISO_Lb0ESQ_SR_ST_SU_SY_EESZ_S10_S11_S12_S16_S17_S18_S1B_S1C_jS1D_jS1E_S1E_jjS1G_bEUljE0_EEESZ_S10_S11_S18_S1C_S1E_T6_T7_T9_mT8_S1G_bDpT10_ENKUlT_T0_E_clISt17integral_constantIbLb1EES1T_IbLb0EEEEDaS1P_S1Q_EUlS1P_E_NS1_11comp_targetILNS1_3genE8ELNS1_11target_archE1030ELNS1_3gpuE2ELNS1_3repE0EEENS1_30default_config_static_selectorELNS0_4arch9wavefront6targetE0EEEvS12_,"axG",@progbits,_ZN7rocprim17ROCPRIM_400000_NS6detail17trampoline_kernelINS0_13select_configILj256ELj13ELNS0_17block_load_methodE3ELS4_3ELS4_3ELNS0_20block_scan_algorithmE0ELj4294967295EEENS1_25partition_config_selectorILNS1_17partition_subalgoE4EjNS0_10empty_typeEbEEZZNS1_14partition_implILS8_4ELb0ES6_15HIP_vector_typeIjLj2EENS0_17counting_iteratorIjlEEPS9_SG_NS0_5tupleIJPjSI_NS0_16reverse_iteratorISI_EEEEENSH_IJSG_SG_SG_EEES9_SI_JZNS1_25segmented_radix_sort_implINS0_14default_configELb0EPKaPaPKlPlN2at6native12_GLOBAL__N_18offset_tEEE10hipError_tPvRmT1_PNSt15iterator_traitsIS12_E10value_typeET2_T3_PNS13_IS18_E10value_typeET4_jRbjT5_S1E_jjP12ihipStream_tbEUljE_ZNSN_ISO_Lb0ESQ_SR_ST_SU_SY_EESZ_S10_S11_S12_S16_S17_S18_S1B_S1C_jS1D_jS1E_S1E_jjS1G_bEUljE0_EEESZ_S10_S11_S18_S1C_S1E_T6_T7_T9_mT8_S1G_bDpT10_ENKUlT_T0_E_clISt17integral_constantIbLb1EES1T_IbLb0EEEEDaS1P_S1Q_EUlS1P_E_NS1_11comp_targetILNS1_3genE8ELNS1_11target_archE1030ELNS1_3gpuE2ELNS1_3repE0EEENS1_30default_config_static_selectorELNS0_4arch9wavefront6targetE0EEEvS12_,comdat
.Lfunc_end349:
	.size	_ZN7rocprim17ROCPRIM_400000_NS6detail17trampoline_kernelINS0_13select_configILj256ELj13ELNS0_17block_load_methodE3ELS4_3ELS4_3ELNS0_20block_scan_algorithmE0ELj4294967295EEENS1_25partition_config_selectorILNS1_17partition_subalgoE4EjNS0_10empty_typeEbEEZZNS1_14partition_implILS8_4ELb0ES6_15HIP_vector_typeIjLj2EENS0_17counting_iteratorIjlEEPS9_SG_NS0_5tupleIJPjSI_NS0_16reverse_iteratorISI_EEEEENSH_IJSG_SG_SG_EEES9_SI_JZNS1_25segmented_radix_sort_implINS0_14default_configELb0EPKaPaPKlPlN2at6native12_GLOBAL__N_18offset_tEEE10hipError_tPvRmT1_PNSt15iterator_traitsIS12_E10value_typeET2_T3_PNS13_IS18_E10value_typeET4_jRbjT5_S1E_jjP12ihipStream_tbEUljE_ZNSN_ISO_Lb0ESQ_SR_ST_SU_SY_EESZ_S10_S11_S12_S16_S17_S18_S1B_S1C_jS1D_jS1E_S1E_jjS1G_bEUljE0_EEESZ_S10_S11_S18_S1C_S1E_T6_T7_T9_mT8_S1G_bDpT10_ENKUlT_T0_E_clISt17integral_constantIbLb1EES1T_IbLb0EEEEDaS1P_S1Q_EUlS1P_E_NS1_11comp_targetILNS1_3genE8ELNS1_11target_archE1030ELNS1_3gpuE2ELNS1_3repE0EEENS1_30default_config_static_selectorELNS0_4arch9wavefront6targetE0EEEvS12_, .Lfunc_end349-_ZN7rocprim17ROCPRIM_400000_NS6detail17trampoline_kernelINS0_13select_configILj256ELj13ELNS0_17block_load_methodE3ELS4_3ELS4_3ELNS0_20block_scan_algorithmE0ELj4294967295EEENS1_25partition_config_selectorILNS1_17partition_subalgoE4EjNS0_10empty_typeEbEEZZNS1_14partition_implILS8_4ELb0ES6_15HIP_vector_typeIjLj2EENS0_17counting_iteratorIjlEEPS9_SG_NS0_5tupleIJPjSI_NS0_16reverse_iteratorISI_EEEEENSH_IJSG_SG_SG_EEES9_SI_JZNS1_25segmented_radix_sort_implINS0_14default_configELb0EPKaPaPKlPlN2at6native12_GLOBAL__N_18offset_tEEE10hipError_tPvRmT1_PNSt15iterator_traitsIS12_E10value_typeET2_T3_PNS13_IS18_E10value_typeET4_jRbjT5_S1E_jjP12ihipStream_tbEUljE_ZNSN_ISO_Lb0ESQ_SR_ST_SU_SY_EESZ_S10_S11_S12_S16_S17_S18_S1B_S1C_jS1D_jS1E_S1E_jjS1G_bEUljE0_EEESZ_S10_S11_S18_S1C_S1E_T6_T7_T9_mT8_S1G_bDpT10_ENKUlT_T0_E_clISt17integral_constantIbLb1EES1T_IbLb0EEEEDaS1P_S1Q_EUlS1P_E_NS1_11comp_targetILNS1_3genE8ELNS1_11target_archE1030ELNS1_3gpuE2ELNS1_3repE0EEENS1_30default_config_static_selectorELNS0_4arch9wavefront6targetE0EEEvS12_
                                        ; -- End function
	.set _ZN7rocprim17ROCPRIM_400000_NS6detail17trampoline_kernelINS0_13select_configILj256ELj13ELNS0_17block_load_methodE3ELS4_3ELS4_3ELNS0_20block_scan_algorithmE0ELj4294967295EEENS1_25partition_config_selectorILNS1_17partition_subalgoE4EjNS0_10empty_typeEbEEZZNS1_14partition_implILS8_4ELb0ES6_15HIP_vector_typeIjLj2EENS0_17counting_iteratorIjlEEPS9_SG_NS0_5tupleIJPjSI_NS0_16reverse_iteratorISI_EEEEENSH_IJSG_SG_SG_EEES9_SI_JZNS1_25segmented_radix_sort_implINS0_14default_configELb0EPKaPaPKlPlN2at6native12_GLOBAL__N_18offset_tEEE10hipError_tPvRmT1_PNSt15iterator_traitsIS12_E10value_typeET2_T3_PNS13_IS18_E10value_typeET4_jRbjT5_S1E_jjP12ihipStream_tbEUljE_ZNSN_ISO_Lb0ESQ_SR_ST_SU_SY_EESZ_S10_S11_S12_S16_S17_S18_S1B_S1C_jS1D_jS1E_S1E_jjS1G_bEUljE0_EEESZ_S10_S11_S18_S1C_S1E_T6_T7_T9_mT8_S1G_bDpT10_ENKUlT_T0_E_clISt17integral_constantIbLb1EES1T_IbLb0EEEEDaS1P_S1Q_EUlS1P_E_NS1_11comp_targetILNS1_3genE8ELNS1_11target_archE1030ELNS1_3gpuE2ELNS1_3repE0EEENS1_30default_config_static_selectorELNS0_4arch9wavefront6targetE0EEEvS12_.num_vgpr, 0
	.set _ZN7rocprim17ROCPRIM_400000_NS6detail17trampoline_kernelINS0_13select_configILj256ELj13ELNS0_17block_load_methodE3ELS4_3ELS4_3ELNS0_20block_scan_algorithmE0ELj4294967295EEENS1_25partition_config_selectorILNS1_17partition_subalgoE4EjNS0_10empty_typeEbEEZZNS1_14partition_implILS8_4ELb0ES6_15HIP_vector_typeIjLj2EENS0_17counting_iteratorIjlEEPS9_SG_NS0_5tupleIJPjSI_NS0_16reverse_iteratorISI_EEEEENSH_IJSG_SG_SG_EEES9_SI_JZNS1_25segmented_radix_sort_implINS0_14default_configELb0EPKaPaPKlPlN2at6native12_GLOBAL__N_18offset_tEEE10hipError_tPvRmT1_PNSt15iterator_traitsIS12_E10value_typeET2_T3_PNS13_IS18_E10value_typeET4_jRbjT5_S1E_jjP12ihipStream_tbEUljE_ZNSN_ISO_Lb0ESQ_SR_ST_SU_SY_EESZ_S10_S11_S12_S16_S17_S18_S1B_S1C_jS1D_jS1E_S1E_jjS1G_bEUljE0_EEESZ_S10_S11_S18_S1C_S1E_T6_T7_T9_mT8_S1G_bDpT10_ENKUlT_T0_E_clISt17integral_constantIbLb1EES1T_IbLb0EEEEDaS1P_S1Q_EUlS1P_E_NS1_11comp_targetILNS1_3genE8ELNS1_11target_archE1030ELNS1_3gpuE2ELNS1_3repE0EEENS1_30default_config_static_selectorELNS0_4arch9wavefront6targetE0EEEvS12_.num_agpr, 0
	.set _ZN7rocprim17ROCPRIM_400000_NS6detail17trampoline_kernelINS0_13select_configILj256ELj13ELNS0_17block_load_methodE3ELS4_3ELS4_3ELNS0_20block_scan_algorithmE0ELj4294967295EEENS1_25partition_config_selectorILNS1_17partition_subalgoE4EjNS0_10empty_typeEbEEZZNS1_14partition_implILS8_4ELb0ES6_15HIP_vector_typeIjLj2EENS0_17counting_iteratorIjlEEPS9_SG_NS0_5tupleIJPjSI_NS0_16reverse_iteratorISI_EEEEENSH_IJSG_SG_SG_EEES9_SI_JZNS1_25segmented_radix_sort_implINS0_14default_configELb0EPKaPaPKlPlN2at6native12_GLOBAL__N_18offset_tEEE10hipError_tPvRmT1_PNSt15iterator_traitsIS12_E10value_typeET2_T3_PNS13_IS18_E10value_typeET4_jRbjT5_S1E_jjP12ihipStream_tbEUljE_ZNSN_ISO_Lb0ESQ_SR_ST_SU_SY_EESZ_S10_S11_S12_S16_S17_S18_S1B_S1C_jS1D_jS1E_S1E_jjS1G_bEUljE0_EEESZ_S10_S11_S18_S1C_S1E_T6_T7_T9_mT8_S1G_bDpT10_ENKUlT_T0_E_clISt17integral_constantIbLb1EES1T_IbLb0EEEEDaS1P_S1Q_EUlS1P_E_NS1_11comp_targetILNS1_3genE8ELNS1_11target_archE1030ELNS1_3gpuE2ELNS1_3repE0EEENS1_30default_config_static_selectorELNS0_4arch9wavefront6targetE0EEEvS12_.numbered_sgpr, 0
	.set _ZN7rocprim17ROCPRIM_400000_NS6detail17trampoline_kernelINS0_13select_configILj256ELj13ELNS0_17block_load_methodE3ELS4_3ELS4_3ELNS0_20block_scan_algorithmE0ELj4294967295EEENS1_25partition_config_selectorILNS1_17partition_subalgoE4EjNS0_10empty_typeEbEEZZNS1_14partition_implILS8_4ELb0ES6_15HIP_vector_typeIjLj2EENS0_17counting_iteratorIjlEEPS9_SG_NS0_5tupleIJPjSI_NS0_16reverse_iteratorISI_EEEEENSH_IJSG_SG_SG_EEES9_SI_JZNS1_25segmented_radix_sort_implINS0_14default_configELb0EPKaPaPKlPlN2at6native12_GLOBAL__N_18offset_tEEE10hipError_tPvRmT1_PNSt15iterator_traitsIS12_E10value_typeET2_T3_PNS13_IS18_E10value_typeET4_jRbjT5_S1E_jjP12ihipStream_tbEUljE_ZNSN_ISO_Lb0ESQ_SR_ST_SU_SY_EESZ_S10_S11_S12_S16_S17_S18_S1B_S1C_jS1D_jS1E_S1E_jjS1G_bEUljE0_EEESZ_S10_S11_S18_S1C_S1E_T6_T7_T9_mT8_S1G_bDpT10_ENKUlT_T0_E_clISt17integral_constantIbLb1EES1T_IbLb0EEEEDaS1P_S1Q_EUlS1P_E_NS1_11comp_targetILNS1_3genE8ELNS1_11target_archE1030ELNS1_3gpuE2ELNS1_3repE0EEENS1_30default_config_static_selectorELNS0_4arch9wavefront6targetE0EEEvS12_.num_named_barrier, 0
	.set _ZN7rocprim17ROCPRIM_400000_NS6detail17trampoline_kernelINS0_13select_configILj256ELj13ELNS0_17block_load_methodE3ELS4_3ELS4_3ELNS0_20block_scan_algorithmE0ELj4294967295EEENS1_25partition_config_selectorILNS1_17partition_subalgoE4EjNS0_10empty_typeEbEEZZNS1_14partition_implILS8_4ELb0ES6_15HIP_vector_typeIjLj2EENS0_17counting_iteratorIjlEEPS9_SG_NS0_5tupleIJPjSI_NS0_16reverse_iteratorISI_EEEEENSH_IJSG_SG_SG_EEES9_SI_JZNS1_25segmented_radix_sort_implINS0_14default_configELb0EPKaPaPKlPlN2at6native12_GLOBAL__N_18offset_tEEE10hipError_tPvRmT1_PNSt15iterator_traitsIS12_E10value_typeET2_T3_PNS13_IS18_E10value_typeET4_jRbjT5_S1E_jjP12ihipStream_tbEUljE_ZNSN_ISO_Lb0ESQ_SR_ST_SU_SY_EESZ_S10_S11_S12_S16_S17_S18_S1B_S1C_jS1D_jS1E_S1E_jjS1G_bEUljE0_EEESZ_S10_S11_S18_S1C_S1E_T6_T7_T9_mT8_S1G_bDpT10_ENKUlT_T0_E_clISt17integral_constantIbLb1EES1T_IbLb0EEEEDaS1P_S1Q_EUlS1P_E_NS1_11comp_targetILNS1_3genE8ELNS1_11target_archE1030ELNS1_3gpuE2ELNS1_3repE0EEENS1_30default_config_static_selectorELNS0_4arch9wavefront6targetE0EEEvS12_.private_seg_size, 0
	.set _ZN7rocprim17ROCPRIM_400000_NS6detail17trampoline_kernelINS0_13select_configILj256ELj13ELNS0_17block_load_methodE3ELS4_3ELS4_3ELNS0_20block_scan_algorithmE0ELj4294967295EEENS1_25partition_config_selectorILNS1_17partition_subalgoE4EjNS0_10empty_typeEbEEZZNS1_14partition_implILS8_4ELb0ES6_15HIP_vector_typeIjLj2EENS0_17counting_iteratorIjlEEPS9_SG_NS0_5tupleIJPjSI_NS0_16reverse_iteratorISI_EEEEENSH_IJSG_SG_SG_EEES9_SI_JZNS1_25segmented_radix_sort_implINS0_14default_configELb0EPKaPaPKlPlN2at6native12_GLOBAL__N_18offset_tEEE10hipError_tPvRmT1_PNSt15iterator_traitsIS12_E10value_typeET2_T3_PNS13_IS18_E10value_typeET4_jRbjT5_S1E_jjP12ihipStream_tbEUljE_ZNSN_ISO_Lb0ESQ_SR_ST_SU_SY_EESZ_S10_S11_S12_S16_S17_S18_S1B_S1C_jS1D_jS1E_S1E_jjS1G_bEUljE0_EEESZ_S10_S11_S18_S1C_S1E_T6_T7_T9_mT8_S1G_bDpT10_ENKUlT_T0_E_clISt17integral_constantIbLb1EES1T_IbLb0EEEEDaS1P_S1Q_EUlS1P_E_NS1_11comp_targetILNS1_3genE8ELNS1_11target_archE1030ELNS1_3gpuE2ELNS1_3repE0EEENS1_30default_config_static_selectorELNS0_4arch9wavefront6targetE0EEEvS12_.uses_vcc, 0
	.set _ZN7rocprim17ROCPRIM_400000_NS6detail17trampoline_kernelINS0_13select_configILj256ELj13ELNS0_17block_load_methodE3ELS4_3ELS4_3ELNS0_20block_scan_algorithmE0ELj4294967295EEENS1_25partition_config_selectorILNS1_17partition_subalgoE4EjNS0_10empty_typeEbEEZZNS1_14partition_implILS8_4ELb0ES6_15HIP_vector_typeIjLj2EENS0_17counting_iteratorIjlEEPS9_SG_NS0_5tupleIJPjSI_NS0_16reverse_iteratorISI_EEEEENSH_IJSG_SG_SG_EEES9_SI_JZNS1_25segmented_radix_sort_implINS0_14default_configELb0EPKaPaPKlPlN2at6native12_GLOBAL__N_18offset_tEEE10hipError_tPvRmT1_PNSt15iterator_traitsIS12_E10value_typeET2_T3_PNS13_IS18_E10value_typeET4_jRbjT5_S1E_jjP12ihipStream_tbEUljE_ZNSN_ISO_Lb0ESQ_SR_ST_SU_SY_EESZ_S10_S11_S12_S16_S17_S18_S1B_S1C_jS1D_jS1E_S1E_jjS1G_bEUljE0_EEESZ_S10_S11_S18_S1C_S1E_T6_T7_T9_mT8_S1G_bDpT10_ENKUlT_T0_E_clISt17integral_constantIbLb1EES1T_IbLb0EEEEDaS1P_S1Q_EUlS1P_E_NS1_11comp_targetILNS1_3genE8ELNS1_11target_archE1030ELNS1_3gpuE2ELNS1_3repE0EEENS1_30default_config_static_selectorELNS0_4arch9wavefront6targetE0EEEvS12_.uses_flat_scratch, 0
	.set _ZN7rocprim17ROCPRIM_400000_NS6detail17trampoline_kernelINS0_13select_configILj256ELj13ELNS0_17block_load_methodE3ELS4_3ELS4_3ELNS0_20block_scan_algorithmE0ELj4294967295EEENS1_25partition_config_selectorILNS1_17partition_subalgoE4EjNS0_10empty_typeEbEEZZNS1_14partition_implILS8_4ELb0ES6_15HIP_vector_typeIjLj2EENS0_17counting_iteratorIjlEEPS9_SG_NS0_5tupleIJPjSI_NS0_16reverse_iteratorISI_EEEEENSH_IJSG_SG_SG_EEES9_SI_JZNS1_25segmented_radix_sort_implINS0_14default_configELb0EPKaPaPKlPlN2at6native12_GLOBAL__N_18offset_tEEE10hipError_tPvRmT1_PNSt15iterator_traitsIS12_E10value_typeET2_T3_PNS13_IS18_E10value_typeET4_jRbjT5_S1E_jjP12ihipStream_tbEUljE_ZNSN_ISO_Lb0ESQ_SR_ST_SU_SY_EESZ_S10_S11_S12_S16_S17_S18_S1B_S1C_jS1D_jS1E_S1E_jjS1G_bEUljE0_EEESZ_S10_S11_S18_S1C_S1E_T6_T7_T9_mT8_S1G_bDpT10_ENKUlT_T0_E_clISt17integral_constantIbLb1EES1T_IbLb0EEEEDaS1P_S1Q_EUlS1P_E_NS1_11comp_targetILNS1_3genE8ELNS1_11target_archE1030ELNS1_3gpuE2ELNS1_3repE0EEENS1_30default_config_static_selectorELNS0_4arch9wavefront6targetE0EEEvS12_.has_dyn_sized_stack, 0
	.set _ZN7rocprim17ROCPRIM_400000_NS6detail17trampoline_kernelINS0_13select_configILj256ELj13ELNS0_17block_load_methodE3ELS4_3ELS4_3ELNS0_20block_scan_algorithmE0ELj4294967295EEENS1_25partition_config_selectorILNS1_17partition_subalgoE4EjNS0_10empty_typeEbEEZZNS1_14partition_implILS8_4ELb0ES6_15HIP_vector_typeIjLj2EENS0_17counting_iteratorIjlEEPS9_SG_NS0_5tupleIJPjSI_NS0_16reverse_iteratorISI_EEEEENSH_IJSG_SG_SG_EEES9_SI_JZNS1_25segmented_radix_sort_implINS0_14default_configELb0EPKaPaPKlPlN2at6native12_GLOBAL__N_18offset_tEEE10hipError_tPvRmT1_PNSt15iterator_traitsIS12_E10value_typeET2_T3_PNS13_IS18_E10value_typeET4_jRbjT5_S1E_jjP12ihipStream_tbEUljE_ZNSN_ISO_Lb0ESQ_SR_ST_SU_SY_EESZ_S10_S11_S12_S16_S17_S18_S1B_S1C_jS1D_jS1E_S1E_jjS1G_bEUljE0_EEESZ_S10_S11_S18_S1C_S1E_T6_T7_T9_mT8_S1G_bDpT10_ENKUlT_T0_E_clISt17integral_constantIbLb1EES1T_IbLb0EEEEDaS1P_S1Q_EUlS1P_E_NS1_11comp_targetILNS1_3genE8ELNS1_11target_archE1030ELNS1_3gpuE2ELNS1_3repE0EEENS1_30default_config_static_selectorELNS0_4arch9wavefront6targetE0EEEvS12_.has_recursion, 0
	.set _ZN7rocprim17ROCPRIM_400000_NS6detail17trampoline_kernelINS0_13select_configILj256ELj13ELNS0_17block_load_methodE3ELS4_3ELS4_3ELNS0_20block_scan_algorithmE0ELj4294967295EEENS1_25partition_config_selectorILNS1_17partition_subalgoE4EjNS0_10empty_typeEbEEZZNS1_14partition_implILS8_4ELb0ES6_15HIP_vector_typeIjLj2EENS0_17counting_iteratorIjlEEPS9_SG_NS0_5tupleIJPjSI_NS0_16reverse_iteratorISI_EEEEENSH_IJSG_SG_SG_EEES9_SI_JZNS1_25segmented_radix_sort_implINS0_14default_configELb0EPKaPaPKlPlN2at6native12_GLOBAL__N_18offset_tEEE10hipError_tPvRmT1_PNSt15iterator_traitsIS12_E10value_typeET2_T3_PNS13_IS18_E10value_typeET4_jRbjT5_S1E_jjP12ihipStream_tbEUljE_ZNSN_ISO_Lb0ESQ_SR_ST_SU_SY_EESZ_S10_S11_S12_S16_S17_S18_S1B_S1C_jS1D_jS1E_S1E_jjS1G_bEUljE0_EEESZ_S10_S11_S18_S1C_S1E_T6_T7_T9_mT8_S1G_bDpT10_ENKUlT_T0_E_clISt17integral_constantIbLb1EES1T_IbLb0EEEEDaS1P_S1Q_EUlS1P_E_NS1_11comp_targetILNS1_3genE8ELNS1_11target_archE1030ELNS1_3gpuE2ELNS1_3repE0EEENS1_30default_config_static_selectorELNS0_4arch9wavefront6targetE0EEEvS12_.has_indirect_call, 0
	.section	.AMDGPU.csdata,"",@progbits
; Kernel info:
; codeLenInByte = 0
; TotalNumSgprs: 0
; NumVgprs: 0
; ScratchSize: 0
; MemoryBound: 0
; FloatMode: 240
; IeeeMode: 1
; LDSByteSize: 0 bytes/workgroup (compile time only)
; SGPRBlocks: 0
; VGPRBlocks: 0
; NumSGPRsForWavesPerEU: 1
; NumVGPRsForWavesPerEU: 1
; NamedBarCnt: 0
; Occupancy: 16
; WaveLimiterHint : 0
; COMPUTE_PGM_RSRC2:SCRATCH_EN: 0
; COMPUTE_PGM_RSRC2:USER_SGPR: 2
; COMPUTE_PGM_RSRC2:TRAP_HANDLER: 0
; COMPUTE_PGM_RSRC2:TGID_X_EN: 1
; COMPUTE_PGM_RSRC2:TGID_Y_EN: 0
; COMPUTE_PGM_RSRC2:TGID_Z_EN: 0
; COMPUTE_PGM_RSRC2:TIDIG_COMP_CNT: 0
	.section	.text._ZN7rocprim17ROCPRIM_400000_NS6detail17trampoline_kernelINS0_13select_configILj256ELj13ELNS0_17block_load_methodE3ELS4_3ELS4_3ELNS0_20block_scan_algorithmE0ELj4294967295EEENS1_25partition_config_selectorILNS1_17partition_subalgoE4EjNS0_10empty_typeEbEEZZNS1_14partition_implILS8_4ELb0ES6_15HIP_vector_typeIjLj2EENS0_17counting_iteratorIjlEEPS9_SG_NS0_5tupleIJPjSI_NS0_16reverse_iteratorISI_EEEEENSH_IJSG_SG_SG_EEES9_SI_JZNS1_25segmented_radix_sort_implINS0_14default_configELb0EPKaPaPKlPlN2at6native12_GLOBAL__N_18offset_tEEE10hipError_tPvRmT1_PNSt15iterator_traitsIS12_E10value_typeET2_T3_PNS13_IS18_E10value_typeET4_jRbjT5_S1E_jjP12ihipStream_tbEUljE_ZNSN_ISO_Lb0ESQ_SR_ST_SU_SY_EESZ_S10_S11_S12_S16_S17_S18_S1B_S1C_jS1D_jS1E_S1E_jjS1G_bEUljE0_EEESZ_S10_S11_S18_S1C_S1E_T6_T7_T9_mT8_S1G_bDpT10_ENKUlT_T0_E_clISt17integral_constantIbLb0EES1T_IbLb1EEEEDaS1P_S1Q_EUlS1P_E_NS1_11comp_targetILNS1_3genE0ELNS1_11target_archE4294967295ELNS1_3gpuE0ELNS1_3repE0EEENS1_30default_config_static_selectorELNS0_4arch9wavefront6targetE0EEEvS12_,"axG",@progbits,_ZN7rocprim17ROCPRIM_400000_NS6detail17trampoline_kernelINS0_13select_configILj256ELj13ELNS0_17block_load_methodE3ELS4_3ELS4_3ELNS0_20block_scan_algorithmE0ELj4294967295EEENS1_25partition_config_selectorILNS1_17partition_subalgoE4EjNS0_10empty_typeEbEEZZNS1_14partition_implILS8_4ELb0ES6_15HIP_vector_typeIjLj2EENS0_17counting_iteratorIjlEEPS9_SG_NS0_5tupleIJPjSI_NS0_16reverse_iteratorISI_EEEEENSH_IJSG_SG_SG_EEES9_SI_JZNS1_25segmented_radix_sort_implINS0_14default_configELb0EPKaPaPKlPlN2at6native12_GLOBAL__N_18offset_tEEE10hipError_tPvRmT1_PNSt15iterator_traitsIS12_E10value_typeET2_T3_PNS13_IS18_E10value_typeET4_jRbjT5_S1E_jjP12ihipStream_tbEUljE_ZNSN_ISO_Lb0ESQ_SR_ST_SU_SY_EESZ_S10_S11_S12_S16_S17_S18_S1B_S1C_jS1D_jS1E_S1E_jjS1G_bEUljE0_EEESZ_S10_S11_S18_S1C_S1E_T6_T7_T9_mT8_S1G_bDpT10_ENKUlT_T0_E_clISt17integral_constantIbLb0EES1T_IbLb1EEEEDaS1P_S1Q_EUlS1P_E_NS1_11comp_targetILNS1_3genE0ELNS1_11target_archE4294967295ELNS1_3gpuE0ELNS1_3repE0EEENS1_30default_config_static_selectorELNS0_4arch9wavefront6targetE0EEEvS12_,comdat
	.globl	_ZN7rocprim17ROCPRIM_400000_NS6detail17trampoline_kernelINS0_13select_configILj256ELj13ELNS0_17block_load_methodE3ELS4_3ELS4_3ELNS0_20block_scan_algorithmE0ELj4294967295EEENS1_25partition_config_selectorILNS1_17partition_subalgoE4EjNS0_10empty_typeEbEEZZNS1_14partition_implILS8_4ELb0ES6_15HIP_vector_typeIjLj2EENS0_17counting_iteratorIjlEEPS9_SG_NS0_5tupleIJPjSI_NS0_16reverse_iteratorISI_EEEEENSH_IJSG_SG_SG_EEES9_SI_JZNS1_25segmented_radix_sort_implINS0_14default_configELb0EPKaPaPKlPlN2at6native12_GLOBAL__N_18offset_tEEE10hipError_tPvRmT1_PNSt15iterator_traitsIS12_E10value_typeET2_T3_PNS13_IS18_E10value_typeET4_jRbjT5_S1E_jjP12ihipStream_tbEUljE_ZNSN_ISO_Lb0ESQ_SR_ST_SU_SY_EESZ_S10_S11_S12_S16_S17_S18_S1B_S1C_jS1D_jS1E_S1E_jjS1G_bEUljE0_EEESZ_S10_S11_S18_S1C_S1E_T6_T7_T9_mT8_S1G_bDpT10_ENKUlT_T0_E_clISt17integral_constantIbLb0EES1T_IbLb1EEEEDaS1P_S1Q_EUlS1P_E_NS1_11comp_targetILNS1_3genE0ELNS1_11target_archE4294967295ELNS1_3gpuE0ELNS1_3repE0EEENS1_30default_config_static_selectorELNS0_4arch9wavefront6targetE0EEEvS12_ ; -- Begin function _ZN7rocprim17ROCPRIM_400000_NS6detail17trampoline_kernelINS0_13select_configILj256ELj13ELNS0_17block_load_methodE3ELS4_3ELS4_3ELNS0_20block_scan_algorithmE0ELj4294967295EEENS1_25partition_config_selectorILNS1_17partition_subalgoE4EjNS0_10empty_typeEbEEZZNS1_14partition_implILS8_4ELb0ES6_15HIP_vector_typeIjLj2EENS0_17counting_iteratorIjlEEPS9_SG_NS0_5tupleIJPjSI_NS0_16reverse_iteratorISI_EEEEENSH_IJSG_SG_SG_EEES9_SI_JZNS1_25segmented_radix_sort_implINS0_14default_configELb0EPKaPaPKlPlN2at6native12_GLOBAL__N_18offset_tEEE10hipError_tPvRmT1_PNSt15iterator_traitsIS12_E10value_typeET2_T3_PNS13_IS18_E10value_typeET4_jRbjT5_S1E_jjP12ihipStream_tbEUljE_ZNSN_ISO_Lb0ESQ_SR_ST_SU_SY_EESZ_S10_S11_S12_S16_S17_S18_S1B_S1C_jS1D_jS1E_S1E_jjS1G_bEUljE0_EEESZ_S10_S11_S18_S1C_S1E_T6_T7_T9_mT8_S1G_bDpT10_ENKUlT_T0_E_clISt17integral_constantIbLb0EES1T_IbLb1EEEEDaS1P_S1Q_EUlS1P_E_NS1_11comp_targetILNS1_3genE0ELNS1_11target_archE4294967295ELNS1_3gpuE0ELNS1_3repE0EEENS1_30default_config_static_selectorELNS0_4arch9wavefront6targetE0EEEvS12_
	.p2align	8
	.type	_ZN7rocprim17ROCPRIM_400000_NS6detail17trampoline_kernelINS0_13select_configILj256ELj13ELNS0_17block_load_methodE3ELS4_3ELS4_3ELNS0_20block_scan_algorithmE0ELj4294967295EEENS1_25partition_config_selectorILNS1_17partition_subalgoE4EjNS0_10empty_typeEbEEZZNS1_14partition_implILS8_4ELb0ES6_15HIP_vector_typeIjLj2EENS0_17counting_iteratorIjlEEPS9_SG_NS0_5tupleIJPjSI_NS0_16reverse_iteratorISI_EEEEENSH_IJSG_SG_SG_EEES9_SI_JZNS1_25segmented_radix_sort_implINS0_14default_configELb0EPKaPaPKlPlN2at6native12_GLOBAL__N_18offset_tEEE10hipError_tPvRmT1_PNSt15iterator_traitsIS12_E10value_typeET2_T3_PNS13_IS18_E10value_typeET4_jRbjT5_S1E_jjP12ihipStream_tbEUljE_ZNSN_ISO_Lb0ESQ_SR_ST_SU_SY_EESZ_S10_S11_S12_S16_S17_S18_S1B_S1C_jS1D_jS1E_S1E_jjS1G_bEUljE0_EEESZ_S10_S11_S18_S1C_S1E_T6_T7_T9_mT8_S1G_bDpT10_ENKUlT_T0_E_clISt17integral_constantIbLb0EES1T_IbLb1EEEEDaS1P_S1Q_EUlS1P_E_NS1_11comp_targetILNS1_3genE0ELNS1_11target_archE4294967295ELNS1_3gpuE0ELNS1_3repE0EEENS1_30default_config_static_selectorELNS0_4arch9wavefront6targetE0EEEvS12_,@function
_ZN7rocprim17ROCPRIM_400000_NS6detail17trampoline_kernelINS0_13select_configILj256ELj13ELNS0_17block_load_methodE3ELS4_3ELS4_3ELNS0_20block_scan_algorithmE0ELj4294967295EEENS1_25partition_config_selectorILNS1_17partition_subalgoE4EjNS0_10empty_typeEbEEZZNS1_14partition_implILS8_4ELb0ES6_15HIP_vector_typeIjLj2EENS0_17counting_iteratorIjlEEPS9_SG_NS0_5tupleIJPjSI_NS0_16reverse_iteratorISI_EEEEENSH_IJSG_SG_SG_EEES9_SI_JZNS1_25segmented_radix_sort_implINS0_14default_configELb0EPKaPaPKlPlN2at6native12_GLOBAL__N_18offset_tEEE10hipError_tPvRmT1_PNSt15iterator_traitsIS12_E10value_typeET2_T3_PNS13_IS18_E10value_typeET4_jRbjT5_S1E_jjP12ihipStream_tbEUljE_ZNSN_ISO_Lb0ESQ_SR_ST_SU_SY_EESZ_S10_S11_S12_S16_S17_S18_S1B_S1C_jS1D_jS1E_S1E_jjS1G_bEUljE0_EEESZ_S10_S11_S18_S1C_S1E_T6_T7_T9_mT8_S1G_bDpT10_ENKUlT_T0_E_clISt17integral_constantIbLb0EES1T_IbLb1EEEEDaS1P_S1Q_EUlS1P_E_NS1_11comp_targetILNS1_3genE0ELNS1_11target_archE4294967295ELNS1_3gpuE0ELNS1_3repE0EEENS1_30default_config_static_selectorELNS0_4arch9wavefront6targetE0EEEvS12_: ; @_ZN7rocprim17ROCPRIM_400000_NS6detail17trampoline_kernelINS0_13select_configILj256ELj13ELNS0_17block_load_methodE3ELS4_3ELS4_3ELNS0_20block_scan_algorithmE0ELj4294967295EEENS1_25partition_config_selectorILNS1_17partition_subalgoE4EjNS0_10empty_typeEbEEZZNS1_14partition_implILS8_4ELb0ES6_15HIP_vector_typeIjLj2EENS0_17counting_iteratorIjlEEPS9_SG_NS0_5tupleIJPjSI_NS0_16reverse_iteratorISI_EEEEENSH_IJSG_SG_SG_EEES9_SI_JZNS1_25segmented_radix_sort_implINS0_14default_configELb0EPKaPaPKlPlN2at6native12_GLOBAL__N_18offset_tEEE10hipError_tPvRmT1_PNSt15iterator_traitsIS12_E10value_typeET2_T3_PNS13_IS18_E10value_typeET4_jRbjT5_S1E_jjP12ihipStream_tbEUljE_ZNSN_ISO_Lb0ESQ_SR_ST_SU_SY_EESZ_S10_S11_S12_S16_S17_S18_S1B_S1C_jS1D_jS1E_S1E_jjS1G_bEUljE0_EEESZ_S10_S11_S18_S1C_S1E_T6_T7_T9_mT8_S1G_bDpT10_ENKUlT_T0_E_clISt17integral_constantIbLb0EES1T_IbLb1EEEEDaS1P_S1Q_EUlS1P_E_NS1_11comp_targetILNS1_3genE0ELNS1_11target_archE4294967295ELNS1_3gpuE0ELNS1_3repE0EEENS1_30default_config_static_selectorELNS0_4arch9wavefront6targetE0EEEvS12_
; %bb.0:
	s_clause 0x7
	s_load_b64 s[34:35], s[0:1], 0x10
	s_load_b128 s[28:31], s[0:1], 0x28
	s_load_b64 s[14:15], s[0:1], 0x38
	s_load_b128 s[24:27], s[0:1], 0x58
	s_load_b64 s[4:5], s[0:1], 0x68
	s_load_b64 s[36:37], s[0:1], 0x78
	;; [unrolled: 1-line block ×3, first 2 shown]
	s_load_b256 s[16:23], s[0:1], 0x90
	v_cmp_eq_u32_e64 s2, 0, v0
	s_and_saveexec_b32 s3, s2
	s_cbranch_execz .LBB350_4
; %bb.1:
	s_mov_b32 s7, exec_lo
	s_mov_b32 s6, exec_lo
	v_mbcnt_lo_u32_b32 v1, s7, 0
                                        ; implicit-def: $vgpr2
	s_delay_alu instid0(VALU_DEP_1)
	v_cmpx_eq_u32_e32 0, v1
	s_cbranch_execz .LBB350_3
; %bb.2:
	s_load_b64 s[8:9], s[0:1], 0x88
	s_bcnt1_i32_b32 s7, s7
	s_delay_alu instid0(SALU_CYCLE_1)
	v_dual_mov_b32 v2, 0 :: v_dual_mov_b32 v3, s7
	s_wait_xcnt 0x0
	s_wait_kmcnt 0x0
	global_atomic_add_u32 v2, v2, v3, s[8:9] th:TH_ATOMIC_RETURN scope:SCOPE_DEV
.LBB350_3:
	s_wait_xcnt 0x0
	s_or_b32 exec_lo, exec_lo, s6
	s_wait_loadcnt 0x0
	v_readfirstlane_b32 s6, v2
	s_delay_alu instid0(VALU_DEP_1)
	v_dual_mov_b32 v2, 0 :: v_dual_add_nc_u32 v1, s6, v1
	ds_store_b32 v2, v1
.LBB350_4:
	s_or_b32 exec_lo, exec_lo, s3
	v_mov_b32_e32 v1, 0
	s_clause 0x1
	s_load_b32 s3, s[0:1], 0x8
	s_load_b32 s6, s[0:1], 0x80
	s_wait_dscnt 0x0
	s_barrier_signal -1
	s_barrier_wait -1
	ds_load_b32 v6, v1
	s_wait_dscnt 0x0
	s_barrier_signal -1
	s_barrier_wait -1
	s_wait_kmcnt 0x0
	global_load_b128 v[2:5], v1, s[26:27]
	s_mov_b32 s1, 0
	s_add_co_i32 s3, s3, s34
	s_mul_i32 s0, s6, 0xd00
	s_add_co_i32 s6, s6, -1
	s_add_nc_u64 s[8:9], s[34:35], s[0:1]
	s_delay_alu instid0(SALU_CYCLE_1)
	v_cmp_gt_u64_e64 s1, s[4:5], s[8:9]
	v_mul_lo_u32 v14, 0xd00, v6
	s_wait_xcnt 0x0
	v_readfirstlane_b32 s27, v6
	v_cmp_ne_u32_e32 vcc_lo, s6, v6
	s_cmp_eq_u32 s27, s6
	s_cselect_b32 s26, -1, 0
	s_or_b32 s1, s1, vcc_lo
	v_add3_u32 v1, v14, s3, v0
	s_and_b32 vcc_lo, exec_lo, s1
	s_mov_b32 s3, -1
	s_delay_alu instid0(VALU_DEP_1)
	v_add_nc_u32_e32 v6, 0x100, v1
	v_add_nc_u32_e32 v7, 0x200, v1
	v_add_nc_u32_e32 v8, 0x300, v1
	v_add_nc_u32_e32 v9, 0x400, v1
	v_add_nc_u32_e32 v10, 0x500, v1
	v_add_nc_u32_e32 v11, 0x600, v1
	v_add_nc_u32_e32 v12, 0x700, v1
	v_add_nc_u32_e32 v13, 0x800, v1
	v_add_nc_u32_e32 v15, 0x900, v1
	v_add_nc_u32_e32 v16, 0xa00, v1
	v_add_nc_u32_e32 v17, 0xb00, v1
	v_add_nc_u32_e32 v18, 0xc00, v1
	s_cbranch_vccz .LBB350_6
; %bb.5:
	v_lshlrev_b32_e32 v19, 2, v0
	s_mov_b32 s3, 0
	ds_store_2addr_stride64_b32 v19, v1, v6 offset1:4
	ds_store_2addr_stride64_b32 v19, v7, v8 offset0:8 offset1:12
	ds_store_2addr_stride64_b32 v19, v9, v10 offset0:16 offset1:20
	;; [unrolled: 1-line block ×5, first 2 shown]
	ds_store_b32 v19, v18 offset:12288
	s_wait_loadcnt_dscnt 0x0
	s_barrier_signal -1
	s_barrier_wait -1
.LBB350_6:
	s_and_not1_b32 vcc_lo, exec_lo, s3
	s_add_co_i32 s0, s0, s34
	s_cbranch_vccnz .LBB350_8
; %bb.7:
	v_lshlrev_b32_e32 v19, 2, v0
	ds_store_2addr_stride64_b32 v19, v1, v6 offset1:4
	ds_store_2addr_stride64_b32 v19, v7, v8 offset0:8 offset1:12
	ds_store_2addr_stride64_b32 v19, v9, v10 offset0:16 offset1:20
	;; [unrolled: 1-line block ×5, first 2 shown]
	ds_store_b32 v19, v18 offset:12288
	s_wait_loadcnt_dscnt 0x0
	s_barrier_signal -1
	s_barrier_wait -1
.LBB350_8:
	v_mul_u32_u24_e32 v15, 13, v0
	s_wait_loadcnt 0x0
	v_cndmask_b32_e64 v35, 0, 1, s1
	s_sub_co_i32 s33, s4, s0
	s_and_not1_b32 vcc_lo, exec_lo, s1
	v_lshlrev_b32_e32 v1, 2, v15
	ds_load_b32 v34, v1 offset:48
	ds_load_2addr_b32 v[16:17], v1 offset0:10 offset1:11
	ds_load_2addr_b32 v[18:19], v1 offset0:8 offset1:9
	;; [unrolled: 1-line block ×4, first 2 shown]
	ds_load_2addr_b32 v[26:27], v1 offset1:1
	ds_load_2addr_b32 v[24:25], v1 offset0:2 offset1:3
	s_wait_dscnt 0x0
	s_barrier_signal -1
	s_barrier_wait -1
	s_cbranch_vccnz .LBB350_36
; %bb.9:
	v_dual_add_nc_u32 v1, s17, v26 :: v_dual_add_nc_u32 v6, s19, v26
	s_mov_b32 s41, 0
	s_mov_b32 s40, 0
	s_mov_b32 s1, exec_lo
	s_delay_alu instid0(VALU_DEP_1) | instskip(SKIP_1) | instid1(VALU_DEP_1)
	v_mul_lo_u32 v1, v1, s16
	v_mul_lo_u32 v6, v6, s18
	v_sub_nc_u32_e32 v1, v1, v6
	s_delay_alu instid0(VALU_DEP_1)
	v_cmp_lt_u32_e32 vcc_lo, s20, v1
	v_cmpx_ge_u32_e64 s20, v1
	s_cbranch_execz .LBB350_11
; %bb.10:
	v_dual_add_nc_u32 v1, s22, v26 :: v_dual_add_nc_u32 v6, s38, v26
	s_delay_alu instid0(VALU_DEP_1) | instskip(NEXT) | instid1(VALU_DEP_2)
	v_mul_lo_u32 v1, v1, s21
	v_mul_lo_u32 v6, v6, s23
	s_delay_alu instid0(VALU_DEP_1) | instskip(NEXT) | instid1(VALU_DEP_1)
	v_sub_nc_u32_e32 v1, v1, v6
	v_cmp_lt_u32_e64 s0, s39, v1
	s_and_b32 s40, s0, exec_lo
.LBB350_11:
	s_or_b32 exec_lo, exec_lo, s1
	v_dual_add_nc_u32 v1, s17, v27 :: v_dual_add_nc_u32 v6, s19, v27
	s_mov_b32 s3, exec_lo
	s_delay_alu instid0(VALU_DEP_1) | instskip(NEXT) | instid1(VALU_DEP_2)
	v_mul_lo_u32 v1, v1, s16
	v_mul_lo_u32 v6, v6, s18
	s_delay_alu instid0(VALU_DEP_1) | instskip(NEXT) | instid1(VALU_DEP_1)
	v_sub_nc_u32_e32 v1, v1, v6
	v_cmp_lt_u32_e64 s0, s20, v1
	v_cmpx_ge_u32_e64 s20, v1
	s_cbranch_execz .LBB350_13
; %bb.12:
	v_dual_add_nc_u32 v1, s22, v27 :: v_dual_add_nc_u32 v6, s38, v27
	s_delay_alu instid0(VALU_DEP_1) | instskip(NEXT) | instid1(VALU_DEP_2)
	v_mul_lo_u32 v1, v1, s21
	v_mul_lo_u32 v6, v6, s23
	s_delay_alu instid0(VALU_DEP_1) | instskip(NEXT) | instid1(VALU_DEP_1)
	v_sub_nc_u32_e32 v1, v1, v6
	v_cmp_lt_u32_e64 s1, s39, v1
	s_and_b32 s41, s1, exec_lo
.LBB350_13:
	s_or_b32 exec_lo, exec_lo, s3
	v_dual_add_nc_u32 v1, s17, v24 :: v_dual_add_nc_u32 v6, s19, v24
	s_mov_b32 s43, 0
	s_mov_b32 s42, 0
	s_mov_b32 s4, exec_lo
	s_delay_alu instid0(VALU_DEP_1) | instskip(SKIP_1) | instid1(VALU_DEP_1)
	v_mul_lo_u32 v1, v1, s16
	v_mul_lo_u32 v6, v6, s18
	v_sub_nc_u32_e32 v1, v1, v6
	s_delay_alu instid0(VALU_DEP_1)
	v_cmp_lt_u32_e64 s1, s20, v1
	v_cmpx_ge_u32_e64 s20, v1
	s_cbranch_execz .LBB350_15
; %bb.14:
	v_dual_add_nc_u32 v1, s22, v24 :: v_dual_add_nc_u32 v6, s38, v24
	s_delay_alu instid0(VALU_DEP_1) | instskip(NEXT) | instid1(VALU_DEP_2)
	v_mul_lo_u32 v1, v1, s21
	v_mul_lo_u32 v6, v6, s23
	s_delay_alu instid0(VALU_DEP_1) | instskip(NEXT) | instid1(VALU_DEP_1)
	v_sub_nc_u32_e32 v1, v1, v6
	v_cmp_lt_u32_e64 s3, s39, v1
	s_and_b32 s42, s3, exec_lo
.LBB350_15:
	s_or_b32 exec_lo, exec_lo, s4
	v_dual_add_nc_u32 v1, s17, v25 :: v_dual_add_nc_u32 v6, s19, v25
	s_mov_b32 s5, exec_lo
	s_delay_alu instid0(VALU_DEP_1) | instskip(NEXT) | instid1(VALU_DEP_2)
	v_mul_lo_u32 v1, v1, s16
	v_mul_lo_u32 v6, v6, s18
	s_delay_alu instid0(VALU_DEP_1) | instskip(NEXT) | instid1(VALU_DEP_1)
	v_sub_nc_u32_e32 v1, v1, v6
	v_cmp_lt_u32_e64 s3, s20, v1
	v_cmpx_ge_u32_e64 s20, v1
	s_cbranch_execz .LBB350_17
; %bb.16:
	v_dual_add_nc_u32 v1, s22, v25 :: v_dual_add_nc_u32 v6, s38, v25
	s_delay_alu instid0(VALU_DEP_1) | instskip(NEXT) | instid1(VALU_DEP_2)
	v_mul_lo_u32 v1, v1, s21
	v_mul_lo_u32 v6, v6, s23
	s_delay_alu instid0(VALU_DEP_1) | instskip(NEXT) | instid1(VALU_DEP_1)
	v_sub_nc_u32_e32 v1, v1, v6
	v_cmp_lt_u32_e64 s4, s39, v1
	s_and_b32 s43, s4, exec_lo
.LBB350_17:
	s_or_b32 exec_lo, exec_lo, s5
	v_dual_add_nc_u32 v1, s17, v22 :: v_dual_add_nc_u32 v6, s19, v22
	s_mov_b32 s45, 0
	s_mov_b32 s44, 0
	s_mov_b32 s6, exec_lo
	s_delay_alu instid0(VALU_DEP_1) | instskip(SKIP_1) | instid1(VALU_DEP_1)
	v_mul_lo_u32 v1, v1, s16
	v_mul_lo_u32 v6, v6, s18
	v_sub_nc_u32_e32 v1, v1, v6
	s_delay_alu instid0(VALU_DEP_1)
	v_cmp_lt_u32_e64 s4, s20, v1
	;; [unrolled: 44-line block ×6, first 2 shown]
	v_cmpx_ge_u32_e64 s20, v1
	s_cbranch_execz .LBB350_35
; %bb.34:
	v_dual_add_nc_u32 v1, s22, v34 :: v_dual_add_nc_u32 v6, s38, v34
	s_delay_alu instid0(VALU_DEP_1) | instskip(NEXT) | instid1(VALU_DEP_2)
	v_mul_lo_u32 v1, v1, s21
	v_mul_lo_u32 v6, v6, s23
	s_delay_alu instid0(VALU_DEP_1) | instskip(NEXT) | instid1(VALU_DEP_1)
	v_sub_nc_u32_e32 v1, v1, v6
	v_cmp_lt_u32_e64 s13, s39, v1
	s_and_b32 s53, s13, exec_lo
.LBB350_35:
	s_or_b32 exec_lo, exec_lo, s54
	v_cndmask_b32_e64 v6, 0, 1, s0
	v_cndmask_b32_e64 v8, 0, 1, s3
	v_cndmask_b32_e64 v1, 0, 1, vcc_lo
	v_cndmask_b32_e64 v7, 0, 1, s1
	v_cndmask_b32_e64 v10, 0, 1, s5
	v_lshlrev_b16 v6, 8, v6
	v_lshlrev_b16 v8, 8, v8
	v_cndmask_b32_e64 v12, 0, 1, s7
	v_cndmask_b32_e64 v28, 0, 1, s9
	;; [unrolled: 1-line block ×3, first 2 shown]
	v_or_b32_e32 v1, v1, v6
	v_or_b32_e32 v6, v7, v8
	v_cndmask_b32_e64 v8, 0, 1, s42
	v_cndmask_b32_e64 v9, 0, 1, s4
	;; [unrolled: 1-line block ×4, first 2 shown]
	v_lshlrev_b32_e32 v6, 16, v6
	v_and_b32_e32 v1, 0xffff, v1
	v_cndmask_b32_e64 v38, 0, 1, s46
	v_cndmask_b32_e64 v41, 0, 1, s44
	;; [unrolled: 1-line block ×4, first 2 shown]
	v_or_b32_e32 v36, v1, v6
	v_lshlrev_b16 v1, 8, v10
	v_lshlrev_b16 v6, 8, v12
	;; [unrolled: 1-line block ×5, first 2 shown]
	v_cndmask_b32_e64 v11, 0, 1, s6
	v_cndmask_b32_e64 v30, 0, 1, s52
	v_cndmask_b32_e64 v33, 0, 1, s49
	v_cndmask_b32_e64 v40, 0, 1, s45
	v_cndmask_b32_e64 v7, 0, 1, s43
	v_cndmask_b32_e64 v45, 0, 1, s11
	v_lshlrev_b16 v28, 8, v44
	v_or_b32_e32 v8, v42, v8
	v_or_b32_e32 v1, v9, v1
	;; [unrolled: 1-line block ×4, first 2 shown]
	v_lshlrev_b16 v12, 8, v41
	v_lshlrev_b16 v13, 8, v38
	v_cndmask_b32_e64 v32, 0, 1, s50
	v_cndmask_b32_e64 v37, 0, 1, s47
	v_lshlrev_b16 v29, 8, v30
	v_or_b32_e32 v7, v7, v12
	v_or_b32_e32 v12, v40, v13
	;; [unrolled: 1-line block ×4, first 2 shown]
	v_lshlrev_b16 v28, 8, v33
	v_dual_lshlrev_b32 v10, 16, v10 :: v_dual_lshlrev_b32 v8, 16, v8
	v_and_b32_e32 v1, 0xffff, v1
	s_delay_alu instid0(VALU_DEP_4) | instskip(NEXT) | instid1(VALU_DEP_4)
	v_and_b32_e32 v11, 0xffff, v11
	v_or_b32_e32 v13, v37, v28
	v_or_b32_e32 v28, v32, v29
	v_and_b32_e32 v7, 0xffff, v7
	v_dual_lshlrev_b32 v12, 16, v12 :: v_dual_lshlrev_b32 v6, 16, v6
	s_delay_alu instid0(VALU_DEP_4) | instskip(NEXT) | instid1(VALU_DEP_4)
	v_and_b32_e32 v13, 0xffff, v13
	v_lshlrev_b32_e32 v28, 16, v28
	v_and_b32_e32 v9, 0xffff, v9
	v_cndmask_b32_e64 v39, 0, 1, s51
	v_cndmask_b32_e64 v43, 0, 1, s53
	v_or_b32_e32 v38, v1, v6
	v_or_b32_e32 v42, v11, v8
	v_or_b32_e32 v41, v9, v10
	v_or_b32_e32 v37, v7, v12
	v_or_b32_e32 v40, v13, v28
	s_and_b32 vcc_lo, exec_lo, s48
	s_add_co_i32 s5, s33, 0xd00
	s_cbranch_vccnz .LBB350_37
	s_branch .LBB350_114
.LBB350_36:
                                        ; implicit-def: $vgpr43
                                        ; implicit-def: $vgpr39
                                        ; implicit-def: $vgpr40
                                        ; implicit-def: $vgpr37
                                        ; implicit-def: $vgpr42
                                        ; implicit-def: $vgpr41
                                        ; implicit-def: $vgpr38
                                        ; implicit-def: $vgpr36
	s_add_co_i32 s5, s33, 0xd00
	s_cbranch_execz .LBB350_114
.LBB350_37:
	v_dual_mov_b32 v6, 0 :: v_dual_mov_b32 v1, 0
	s_mov_b32 s1, exec_lo
	v_cmpx_gt_u32_e64 s5, v15
	s_cbranch_execz .LBB350_41
; %bb.38:
	v_dual_add_nc_u32 v1, s17, v26 :: v_dual_add_nc_u32 v6, s19, v26
	s_mov_b32 s4, 0
	s_mov_b32 s3, exec_lo
	s_delay_alu instid0(VALU_DEP_1) | instskip(NEXT) | instid1(VALU_DEP_2)
	v_mul_lo_u32 v1, v1, s16
	v_mul_lo_u32 v6, v6, s18
	s_delay_alu instid0(VALU_DEP_1) | instskip(NEXT) | instid1(VALU_DEP_1)
	v_sub_nc_u32_e32 v1, v1, v6
	v_cmp_lt_u32_e32 vcc_lo, s20, v1
	v_cmpx_ge_u32_e64 s20, v1
	s_cbranch_execz .LBB350_40
; %bb.39:
	v_dual_add_nc_u32 v1, s22, v26 :: v_dual_add_nc_u32 v6, s38, v26
	s_delay_alu instid0(VALU_DEP_1) | instskip(NEXT) | instid1(VALU_DEP_2)
	v_mul_lo_u32 v1, v1, s21
	v_mul_lo_u32 v6, v6, s23
	s_delay_alu instid0(VALU_DEP_1) | instskip(NEXT) | instid1(VALU_DEP_1)
	v_sub_nc_u32_e32 v1, v1, v6
	v_cmp_lt_u32_e64 s0, s39, v1
	s_and_b32 s4, s0, exec_lo
.LBB350_40:
	s_or_b32 exec_lo, exec_lo, s3
	v_cndmask_b32_e64 v6, 0, 1, s4
	v_cndmask_b32_e64 v1, 0, 1, vcc_lo
.LBB350_41:
	s_or_b32 exec_lo, exec_lo, s1
	s_delay_alu instid0(VALU_DEP_2) | instskip(SKIP_1) | instid1(VALU_DEP_2)
	v_lshlrev_b16 v6, 8, v6
	v_lshlrev_b16 v13, 8, 0
                                        ; implicit-def: $vgpr9
                                        ; implicit-def: $vgpr11
                                        ; implicit-def: $vgpr8
                                        ; implicit-def: $vgpr12
	v_and_b32_e32 v10, 0xffff, v6
	v_add_nc_u32_e32 v7, 1, v15
                                        ; implicit-def: $vgpr6
	s_delay_alu instid0(VALU_DEP_2) | instskip(NEXT) | instid1(VALU_DEP_2)
	v_lshrrev_b32_e32 v28, 8, v10
	v_cmp_le_u32_e32 vcc_lo, s5, v7
                                        ; implicit-def: $vgpr7
	s_and_saveexec_b32 s0, vcc_lo
	s_delay_alu instid0(SALU_CYCLE_1)
	s_xor_b32 s0, exec_lo, s0
	s_cbranch_execz .LBB350_43
; %bb.42:
	v_lshlrev_b16 v6, 8, v28
	v_bitop3_b16 v7, 0, v13, 0xff bitop3:0xec
	v_and_b32_e32 v12, 0xff, v1
                                        ; implicit-def: $vgpr1
                                        ; implicit-def: $vgpr13
                                        ; implicit-def: $vgpr28
	v_mov_b32_e32 v9, 0
	s_delay_alu instid0(VALU_DEP_4) | instskip(SKIP_3) | instid1(VALU_DEP_4)
	v_bitop3_b16 v10, v10, v6, 0xff bitop3:0xec
	v_mov_b32_e32 v6, 0
	v_and_b32_e32 v8, 0xffff, v7
	v_and_b32_e32 v7, 0xffff, v7
	;; [unrolled: 1-line block ×3, first 2 shown]
                                        ; implicit-def: $vgpr10
.LBB350_43:
	s_and_not1_saveexec_b32 s1, s0
	s_cbranch_execz .LBB350_47
; %bb.44:
	v_dual_add_nc_u32 v6, s17, v27 :: v_dual_add_nc_u32 v7, s19, v27
	s_mov_b32 s3, 0
	s_mov_b32 s4, exec_lo
	s_delay_alu instid0(VALU_DEP_1) | instskip(NEXT) | instid1(VALU_DEP_2)
	v_mul_lo_u32 v6, v6, s16
	v_mul_lo_u32 v7, v7, s18
	s_delay_alu instid0(VALU_DEP_1) | instskip(NEXT) | instid1(VALU_DEP_1)
	v_sub_nc_u32_e32 v6, v6, v7
	v_cmp_lt_u32_e32 vcc_lo, s20, v6
	v_cmpx_ge_u32_e64 s20, v6
	s_cbranch_execz .LBB350_46
; %bb.45:
	v_dual_add_nc_u32 v6, s22, v27 :: v_dual_add_nc_u32 v7, s38, v27
	s_delay_alu instid0(VALU_DEP_1) | instskip(NEXT) | instid1(VALU_DEP_2)
	v_mul_lo_u32 v6, v6, s21
	v_mul_lo_u32 v7, v7, s23
	s_delay_alu instid0(VALU_DEP_1) | instskip(NEXT) | instid1(VALU_DEP_1)
	v_sub_nc_u32_e32 v6, v6, v7
	v_cmp_lt_u32_e64 s0, s39, v6
	s_and_b32 s3, s0, exec_lo
.LBB350_46:
	s_or_b32 exec_lo, exec_lo, s4
	v_cndmask_b32_e64 v6, 0, 1, vcc_lo
	v_lshlrev_b16 v7, 8, v28
	v_cndmask_b32_e64 v11, 0, 1, s3
	v_mov_b32_e32 v9, 0
	s_delay_alu instid0(VALU_DEP_4) | instskip(NEXT) | instid1(VALU_DEP_4)
	v_lshlrev_b16 v6, 8, v6
	v_bitop3_b16 v7, v10, v7, 0xff bitop3:0xec
	v_bitop3_b16 v10, 0, v13, 0xff bitop3:0xec
	s_delay_alu instid0(VALU_DEP_3) | instskip(NEXT) | instid1(VALU_DEP_3)
	v_bitop3_b16 v1, v1, v6, 0xff bitop3:0xec
	v_and_b32_e32 v7, 0xffff, v7
	v_mov_b32_e32 v6, 0
	s_delay_alu instid0(VALU_DEP_4) | instskip(NEXT) | instid1(VALU_DEP_4)
	v_and_b32_e32 v8, 0xffff, v10
	v_and_b32_e32 v12, 0xffff, v1
	s_delay_alu instid0(VALU_DEP_4)
	v_lshl_or_b32 v11, v11, 16, v7
	v_and_b32_e32 v7, 0xffff, v10
.LBB350_47:
	s_or_b32 exec_lo, exec_lo, s1
	s_delay_alu instid0(VALU_DEP_3) | instskip(NEXT) | instid1(VALU_DEP_1)
	v_dual_add_nc_u32 v1, 2, v15 :: v_dual_lshrrev_b32 v13, 8, v12
                                        ; implicit-def: $vgpr10
	v_cmp_le_u32_e32 vcc_lo, s5, v1
                                        ; implicit-def: $vgpr1
	s_and_saveexec_b32 s0, vcc_lo
	s_delay_alu instid0(SALU_CYCLE_1)
	s_xor_b32 s0, exec_lo, s0
	s_cbranch_execz .LBB350_49
; %bb.48:
	v_lshlrev_b16 v1, 8, v13
	v_and_b32_e32 v13, 0xff0000, v11
	v_perm_b32 v8, v8, v8, 0x3060504
	s_delay_alu instid0(VALU_DEP_3) | instskip(NEXT) | instid1(VALU_DEP_1)
	v_bitop3_b16 v1, v12, v1, 0xff bitop3:0xec
	v_and_b32_e32 v1, 0xffff, v1
	s_delay_alu instid0(VALU_DEP_1)
	v_and_or_b32 v10, 0xff000000, v12, v1
	v_perm_b32 v1, v11, v13, 0x3020504
                                        ; implicit-def: $vgpr13
                                        ; implicit-def: $vgpr12
                                        ; implicit-def: $vgpr11
.LBB350_49:
	s_and_not1_saveexec_b32 s1, s0
	s_cbranch_execz .LBB350_53
; %bb.50:
	v_dual_add_nc_u32 v1, s17, v24 :: v_dual_add_nc_u32 v10, s19, v24
	s_mov_b32 s3, 0
	s_mov_b32 s4, exec_lo
	s_delay_alu instid0(VALU_DEP_1) | instskip(NEXT) | instid1(VALU_DEP_2)
	v_mul_lo_u32 v1, v1, s16
	v_mul_lo_u32 v10, v10, s18
	s_delay_alu instid0(VALU_DEP_1) | instskip(NEXT) | instid1(VALU_DEP_1)
	v_sub_nc_u32_e32 v1, v1, v10
	v_cmp_lt_u32_e32 vcc_lo, s20, v1
	v_cmpx_ge_u32_e64 s20, v1
	s_cbranch_execz .LBB350_52
; %bb.51:
	v_dual_add_nc_u32 v1, s22, v24 :: v_dual_add_nc_u32 v10, s38, v24
	s_delay_alu instid0(VALU_DEP_1) | instskip(NEXT) | instid1(VALU_DEP_2)
	v_mul_lo_u32 v1, v1, s21
	v_mul_lo_u32 v10, v10, s23
	s_delay_alu instid0(VALU_DEP_1) | instskip(NEXT) | instid1(VALU_DEP_1)
	v_sub_nc_u32_e32 v1, v1, v10
	v_cmp_lt_u32_e64 s0, s39, v1
	s_and_b32 s3, s0, exec_lo
.LBB350_52:
	s_or_b32 exec_lo, exec_lo, s4
	v_dual_lshrrev_b32 v1, 24, v12 :: v_dual_lshrrev_b32 v29, 8, v11
	v_cndmask_b32_e64 v10, 0, 1, s3
	v_cndmask_b32_e64 v28, 0, 1, vcc_lo
	v_lshlrev_b16 v13, 8, v13
	s_delay_alu instid0(VALU_DEP_4)
	v_lshlrev_b16 v1, 8, v1
	v_lshrrev_b32_e32 v30, 16, v11
	v_lshlrev_b16 v10, 8, v10
	v_lshlrev_b16 v29, 8, v29
	v_bitop3_b16 v12, v12, v13, 0xff bitop3:0xec
	v_or_b32_e32 v1, v28, v1
	s_delay_alu instid0(VALU_DEP_4) | instskip(NEXT) | instid1(VALU_DEP_4)
	v_bitop3_b16 v10, v30, v10, 0xff bitop3:0xec
	v_bitop3_b16 v11, v11, v29, 0xff bitop3:0xec
	s_delay_alu instid0(VALU_DEP_4) | instskip(NEXT) | instid1(VALU_DEP_3)
	v_and_b32_e32 v12, 0xffff, v12
	v_dual_lshlrev_b32 v1, 16, v1 :: v_dual_lshlrev_b32 v13, 16, v10
	s_delay_alu instid0(VALU_DEP_3) | instskip(NEXT) | instid1(VALU_DEP_2)
	v_and_b32_e32 v11, 0xffff, v11
	v_or_b32_e32 v10, v12, v1
	s_delay_alu instid0(VALU_DEP_2)
	v_or_b32_e32 v1, v11, v13
.LBB350_53:
	s_or_b32 exec_lo, exec_lo, s1
	v_dual_add_nc_u32 v12, 3, v15 :: v_dual_lshrrev_b32 v13, 24, v9
	v_lshrrev_b32_e32 v11, 16, v9
                                        ; implicit-def: $vgpr36
	s_delay_alu instid0(VALU_DEP_2) | instskip(SKIP_2) | instid1(SALU_CYCLE_1)
	v_cmp_le_u32_e32 vcc_lo, s5, v12
	v_lshrrev_b32_e32 v12, 8, v9
                                        ; implicit-def: $vgpr9
	s_and_saveexec_b32 s0, vcc_lo
	s_xor_b32 s0, exec_lo, s0
	s_cbranch_execz .LBB350_55
; %bb.54:
	v_lshlrev_b16 v9, 8, v13
	v_lshlrev_b16 v12, 8, v12
	v_perm_b32 v8, v8, v8, 0x3060504
	v_perm_b32 v7, v7, v7, 0x3060504
                                        ; implicit-def: $vgpr13
	s_delay_alu instid0(VALU_DEP_4) | instskip(SKIP_2) | instid1(VALU_DEP_3)
	v_bitop3_b16 v9, v11, v9, 0xff bitop3:0xec
	v_and_b32_e32 v11, 0xff0000, v10
	v_and_b32_e32 v12, 0xffff, v12
	v_lshlrev_b32_e32 v9, 16, v9
	s_delay_alu instid0(VALU_DEP_3) | instskip(NEXT) | instid1(VALU_DEP_2)
	v_perm_b32 v36, v10, v11, 0x3020504
                                        ; implicit-def: $vgpr10
                                        ; implicit-def: $vgpr11
	v_or_b32_e32 v9, v12, v9
                                        ; implicit-def: $vgpr12
.LBB350_55:
	s_and_not1_saveexec_b32 s1, s0
	s_cbranch_execz .LBB350_59
; %bb.56:
	v_dual_add_nc_u32 v9, s17, v25 :: v_dual_add_nc_u32 v28, s19, v25
	s_mov_b32 s3, 0
	s_mov_b32 s4, exec_lo
	s_delay_alu instid0(VALU_DEP_1) | instskip(NEXT) | instid1(VALU_DEP_2)
	v_mul_lo_u32 v9, v9, s16
	v_mul_lo_u32 v28, v28, s18
	s_delay_alu instid0(VALU_DEP_1) | instskip(NEXT) | instid1(VALU_DEP_1)
	v_sub_nc_u32_e32 v9, v9, v28
	v_cmp_lt_u32_e32 vcc_lo, s20, v9
	v_cmpx_ge_u32_e64 s20, v9
	s_cbranch_execz .LBB350_58
; %bb.57:
	v_dual_add_nc_u32 v9, s22, v25 :: v_dual_add_nc_u32 v28, s38, v25
	s_delay_alu instid0(VALU_DEP_1) | instskip(NEXT) | instid1(VALU_DEP_2)
	v_mul_lo_u32 v9, v9, s21
	v_mul_lo_u32 v28, v28, s23
	s_delay_alu instid0(VALU_DEP_1) | instskip(NEXT) | instid1(VALU_DEP_1)
	v_sub_nc_u32_e32 v9, v9, v28
	v_cmp_lt_u32_e64 s0, s39, v9
	s_and_b32 s3, s0, exec_lo
.LBB350_58:
	s_or_b32 exec_lo, exec_lo, s4
	v_cndmask_b32_e64 v9, 0, 1, vcc_lo
	v_dual_lshrrev_b32 v28, 8, v10 :: v_dual_lshrrev_b32 v30, 16, v10
	v_cndmask_b32_e64 v29, 0, 1, s3
	v_lshlrev_b16 v13, 8, v13
	s_delay_alu instid0(VALU_DEP_4) | instskip(NEXT) | instid1(VALU_DEP_4)
	v_lshlrev_b16 v9, 8, v9
	v_lshlrev_b16 v28, 8, v28
	;; [unrolled: 1-line block ×3, first 2 shown]
	s_delay_alu instid0(VALU_DEP_4) | instskip(NEXT) | instid1(VALU_DEP_4)
	v_bitop3_b16 v11, v11, v13, 0xff bitop3:0xec
	v_bitop3_b16 v9, v30, v9, 0xff bitop3:0xec
	s_delay_alu instid0(VALU_DEP_4) | instskip(NEXT) | instid1(VALU_DEP_3)
	v_bitop3_b16 v10, v10, v28, 0xff bitop3:0xec
	v_dual_lshlrev_b32 v11, 16, v11 :: v_dual_bitop2_b32 v12, v29, v12 bitop3:0x54
	s_delay_alu instid0(VALU_DEP_3) | instskip(NEXT) | instid1(VALU_DEP_3)
	v_lshlrev_b32_e32 v9, 16, v9
	v_and_b32_e32 v10, 0xffff, v10
	s_delay_alu instid0(VALU_DEP_3) | instskip(NEXT) | instid1(VALU_DEP_2)
	v_and_b32_e32 v12, 0xffff, v12
	v_or_b32_e32 v36, v10, v9
	s_delay_alu instid0(VALU_DEP_2)
	v_or_b32_e32 v9, v12, v11
.LBB350_59:
	s_or_b32 exec_lo, exec_lo, s1
	v_dual_add_nc_u32 v10, 4, v15 :: v_dual_lshrrev_b32 v28, 8, v8
	v_dual_lshrrev_b32 v11, 16, v8 :: v_dual_lshrrev_b32 v29, 24, v8
	s_delay_alu instid0(VALU_DEP_3) | instskip(NEXT) | instid1(VALU_DEP_3)
	v_dual_lshrrev_b32 v13, 24, v9 :: v_dual_lshrrev_b32 v12, 16, v9
	v_cmp_le_u32_e32 vcc_lo, s5, v10
                                        ; implicit-def: $vgpr8
                                        ; implicit-def: $vgpr10
	s_and_saveexec_b32 s0, vcc_lo
	s_delay_alu instid0(SALU_CYCLE_1)
	s_xor_b32 s0, exec_lo, s0
	s_cbranch_execz .LBB350_61
; %bb.60:
	v_lshlrev_b16 v8, 8, v29
	v_lshlrev_b16 v10, 8, v28
	;; [unrolled: 1-line block ×3, first 2 shown]
	v_perm_b32 v7, v7, v7, 0x3060504
                                        ; implicit-def: $vgpr28
                                        ; implicit-def: $vgpr29
	s_delay_alu instid0(VALU_DEP_4) | instskip(NEXT) | instid1(VALU_DEP_4)
	v_bitop3_b16 v8, v11, v8, 0xff bitop3:0xec
	v_and_b32_e32 v10, 0xffff, v10
	s_delay_alu instid0(VALU_DEP_4) | instskip(NEXT) | instid1(VALU_DEP_3)
	v_bitop3_b16 v11, v12, v13, 0xff bitop3:0xec
                                        ; implicit-def: $vgpr13
	v_lshlrev_b32_e32 v12, 16, v8
	s_delay_alu instid0(VALU_DEP_2) | instskip(NEXT) | instid1(VALU_DEP_2)
	v_perm_b32 v8, v11, v9, 0x5040c00
                                        ; implicit-def: $vgpr9
                                        ; implicit-def: $vgpr11
	v_or_b32_e32 v10, v10, v12
                                        ; implicit-def: $vgpr12
.LBB350_61:
	s_and_not1_saveexec_b32 s1, s0
	s_cbranch_execz .LBB350_65
; %bb.62:
	v_dual_add_nc_u32 v8, s17, v22 :: v_dual_add_nc_u32 v10, s19, v22
	s_mov_b32 s3, 0
	s_mov_b32 s4, exec_lo
	s_delay_alu instid0(VALU_DEP_1) | instskip(NEXT) | instid1(VALU_DEP_2)
	v_mul_lo_u32 v8, v8, s16
	v_mul_lo_u32 v10, v10, s18
	s_delay_alu instid0(VALU_DEP_1) | instskip(NEXT) | instid1(VALU_DEP_1)
	v_sub_nc_u32_e32 v8, v8, v10
	v_cmp_lt_u32_e32 vcc_lo, s20, v8
	v_cmpx_ge_u32_e64 s20, v8
	s_cbranch_execz .LBB350_64
; %bb.63:
	v_dual_add_nc_u32 v8, s22, v22 :: v_dual_add_nc_u32 v10, s38, v22
	s_delay_alu instid0(VALU_DEP_1) | instskip(NEXT) | instid1(VALU_DEP_2)
	v_mul_lo_u32 v8, v8, s21
	v_mul_lo_u32 v10, v10, s23
	s_delay_alu instid0(VALU_DEP_1) | instskip(NEXT) | instid1(VALU_DEP_1)
	v_sub_nc_u32_e32 v8, v8, v10
	v_cmp_lt_u32_e64 s0, s39, v8
	s_and_b32 s3, s0, exec_lo
.LBB350_64:
	s_or_b32 exec_lo, exec_lo, s4
	v_cndmask_b32_e64 v8, 0, 1, s3
	v_cndmask_b32_e64 v10, 0, 1, vcc_lo
	v_lshlrev_b16 v29, 8, v29
	v_lshlrev_b16 v28, 8, v28
	;; [unrolled: 1-line block ×4, first 2 shown]
	s_delay_alu instid0(VALU_DEP_4) | instskip(NEXT) | instid1(VALU_DEP_4)
	v_bitop3_b16 v11, v11, v29, 0xff bitop3:0xec
	v_or_b32_e32 v10, v10, v28
	s_delay_alu instid0(VALU_DEP_4) | instskip(NEXT) | instid1(VALU_DEP_4)
	v_bitop3_b16 v12, v12, v13, 0xff bitop3:0xec
	v_bitop3_b16 v8, v9, v8, 0xff bitop3:0xec
	s_delay_alu instid0(VALU_DEP_4) | instskip(NEXT) | instid1(VALU_DEP_4)
	v_lshlrev_b32_e32 v9, 16, v11
	v_and_b32_e32 v10, 0xffff, v10
	s_delay_alu instid0(VALU_DEP_4) | instskip(NEXT) | instid1(VALU_DEP_4)
	v_lshlrev_b32_e32 v11, 16, v12
	v_and_b32_e32 v8, 0xffff, v8
	s_delay_alu instid0(VALU_DEP_3) | instskip(NEXT) | instid1(VALU_DEP_2)
	v_or_b32_e32 v10, v10, v9
	v_or_b32_e32 v8, v8, v11
.LBB350_65:
	s_or_b32 exec_lo, exec_lo, s1
	s_delay_alu instid0(VALU_DEP_1) | instskip(NEXT) | instid1(VALU_DEP_2)
	v_dual_add_nc_u32 v9, 5, v15 :: v_dual_lshrrev_b32 v12, 16, v10
	v_dual_lshrrev_b32 v13, 24, v10 :: v_dual_lshrrev_b32 v28, 8, v8
                                        ; implicit-def: $vgpr11
	s_delay_alu instid0(VALU_DEP_2) | instskip(SKIP_1) | instid1(SALU_CYCLE_1)
	v_cmp_le_u32_e32 vcc_lo, s5, v9
                                        ; implicit-def: $vgpr9
	s_and_saveexec_b32 s0, vcc_lo
	s_xor_b32 s0, exec_lo, s0
	s_cbranch_execz .LBB350_67
; %bb.66:
	v_lshlrev_b16 v9, 8, v28
	v_lshlrev_b16 v11, 8, v13
	v_perm_b32 v7, v7, v7, 0x3060504
                                        ; implicit-def: $vgpr13
                                        ; implicit-def: $vgpr28
	s_delay_alu instid0(VALU_DEP_3) | instskip(NEXT) | instid1(VALU_DEP_3)
	v_bitop3_b16 v9, v8, v9, 0xff bitop3:0xec
	v_bitop3_b16 v11, v12, v11, 0xff bitop3:0xec
                                        ; implicit-def: $vgpr12
	s_delay_alu instid0(VALU_DEP_2) | instskip(NEXT) | instid1(VALU_DEP_2)
	v_and_b32_e32 v9, 0xffff, v9
	v_perm_b32 v11, v11, v10, 0x5040c00
                                        ; implicit-def: $vgpr10
	s_delay_alu instid0(VALU_DEP_2)
	v_and_or_b32 v9, 0xff000000, v8, v9
                                        ; implicit-def: $vgpr8
.LBB350_67:
	s_and_not1_saveexec_b32 s1, s0
	s_cbranch_execz .LBB350_71
; %bb.68:
	v_dual_add_nc_u32 v9, s17, v23 :: v_dual_add_nc_u32 v11, s19, v23
	s_mov_b32 s3, 0
	s_mov_b32 s4, exec_lo
	s_delay_alu instid0(VALU_DEP_1) | instskip(NEXT) | instid1(VALU_DEP_2)
	v_mul_lo_u32 v9, v9, s16
	v_mul_lo_u32 v11, v11, s18
	s_delay_alu instid0(VALU_DEP_1) | instskip(NEXT) | instid1(VALU_DEP_1)
	v_sub_nc_u32_e32 v9, v9, v11
	v_cmp_lt_u32_e32 vcc_lo, s20, v9
	v_cmpx_ge_u32_e64 s20, v9
	s_cbranch_execz .LBB350_70
; %bb.69:
	v_dual_add_nc_u32 v9, s22, v23 :: v_dual_add_nc_u32 v11, s38, v23
	s_delay_alu instid0(VALU_DEP_1) | instskip(NEXT) | instid1(VALU_DEP_2)
	v_mul_lo_u32 v9, v9, s21
	v_mul_lo_u32 v11, v11, s23
	s_delay_alu instid0(VALU_DEP_1) | instskip(NEXT) | instid1(VALU_DEP_1)
	v_sub_nc_u32_e32 v9, v9, v11
	v_cmp_lt_u32_e64 s0, s39, v9
	s_and_b32 s3, s0, exec_lo
.LBB350_70:
	s_or_b32 exec_lo, exec_lo, s4
	v_cndmask_b32_e64 v9, 0, 1, vcc_lo
	v_lshrrev_b32_e32 v11, 24, v8
	v_cndmask_b32_e64 v29, 0, 1, s3
	v_lshlrev_b16 v13, 8, v13
	v_lshlrev_b16 v28, 8, v28
	;; [unrolled: 1-line block ×4, first 2 shown]
	s_delay_alu instid0(VALU_DEP_4) | instskip(NEXT) | instid1(VALU_DEP_4)
	v_bitop3_b16 v12, v12, v13, 0xff bitop3:0xec
	v_bitop3_b16 v8, v8, v28, 0xff bitop3:0xec
	s_delay_alu instid0(VALU_DEP_4) | instskip(NEXT) | instid1(VALU_DEP_3)
	v_bitop3_b16 v9, v10, v9, 0xff bitop3:0xec
	v_dual_lshlrev_b32 v11, 16, v12 :: v_dual_bitop2_b32 v10, v29, v11 bitop3:0x54
	s_delay_alu instid0(VALU_DEP_3) | instskip(NEXT) | instid1(VALU_DEP_3)
	v_and_b32_e32 v8, 0xffff, v8
	v_and_b32_e32 v9, 0xffff, v9
	s_delay_alu instid0(VALU_DEP_1) | instskip(NEXT) | instid1(VALU_DEP_1)
	v_dual_lshlrev_b32 v10, 16, v10 :: v_dual_bitop2_b32 v11, v9, v11 bitop3:0x54
	v_or_b32_e32 v9, v8, v10
.LBB350_71:
	s_or_b32 exec_lo, exec_lo, s1
	v_add_nc_u32_e32 v8, 6, v15
	s_delay_alu instid0(VALU_DEP_3) | instskip(NEXT) | instid1(VALU_DEP_2)
	v_lshrrev_b32_e32 v10, 8, v11
                                        ; implicit-def: $vgpr37
	v_cmp_le_u32_e32 vcc_lo, s5, v8
                                        ; implicit-def: $vgpr8
	s_and_saveexec_b32 s0, vcc_lo
	s_delay_alu instid0(SALU_CYCLE_1)
	s_xor_b32 s0, exec_lo, s0
	s_cbranch_execz .LBB350_73
; %bb.72:
	v_lshlrev_b16 v8, 8, v10
	v_and_b32_e32 v10, 0xff0000, v9
	v_perm_b32 v7, v7, v7, 0x3060504
	s_delay_alu instid0(VALU_DEP_3) | instskip(NEXT) | instid1(VALU_DEP_3)
	v_bitop3_b16 v8, v11, v8, 0xff bitop3:0xec
	v_perm_b32 v37, v9, v10, 0x3020504
                                        ; implicit-def: $vgpr10
                                        ; implicit-def: $vgpr9
	s_delay_alu instid0(VALU_DEP_2) | instskip(NEXT) | instid1(VALU_DEP_1)
	v_and_b32_e32 v8, 0xffff, v8
	v_and_or_b32 v8, 0xff000000, v11, v8
                                        ; implicit-def: $vgpr11
.LBB350_73:
	s_and_not1_saveexec_b32 s1, s0
	s_cbranch_execz .LBB350_77
; %bb.74:
	v_dual_add_nc_u32 v8, s17, v20 :: v_dual_add_nc_u32 v12, s19, v20
	s_mov_b32 s3, 0
	s_mov_b32 s4, exec_lo
	s_delay_alu instid0(VALU_DEP_1) | instskip(NEXT) | instid1(VALU_DEP_2)
	v_mul_lo_u32 v8, v8, s16
	v_mul_lo_u32 v12, v12, s18
	s_delay_alu instid0(VALU_DEP_1) | instskip(NEXT) | instid1(VALU_DEP_1)
	v_sub_nc_u32_e32 v8, v8, v12
	v_cmp_lt_u32_e32 vcc_lo, s20, v8
	v_cmpx_ge_u32_e64 s20, v8
	s_cbranch_execz .LBB350_76
; %bb.75:
	v_dual_add_nc_u32 v8, s22, v20 :: v_dual_add_nc_u32 v12, s38, v20
	s_delay_alu instid0(VALU_DEP_1) | instskip(NEXT) | instid1(VALU_DEP_2)
	v_mul_lo_u32 v8, v8, s21
	v_mul_lo_u32 v12, v12, s23
	s_delay_alu instid0(VALU_DEP_1) | instskip(NEXT) | instid1(VALU_DEP_1)
	v_sub_nc_u32_e32 v8, v8, v12
	v_cmp_lt_u32_e64 s0, s39, v8
	s_and_b32 s3, s0, exec_lo
.LBB350_76:
	s_or_b32 exec_lo, exec_lo, s4
	v_dual_lshrrev_b32 v8, 24, v11 :: v_dual_lshrrev_b32 v28, 8, v9
	v_cndmask_b32_e64 v12, 0, 1, s3
	v_cndmask_b32_e64 v13, 0, 1, vcc_lo
	v_lshlrev_b16 v10, 8, v10
	s_delay_alu instid0(VALU_DEP_4)
	v_lshlrev_b16 v8, 8, v8
	v_lshrrev_b32_e32 v29, 16, v9
	v_lshlrev_b16 v12, 8, v12
	v_lshlrev_b16 v28, 8, v28
	v_bitop3_b16 v10, v11, v10, 0xff bitop3:0xec
	v_or_b32_e32 v8, v13, v8
	s_delay_alu instid0(VALU_DEP_4) | instskip(NEXT) | instid1(VALU_DEP_4)
	v_bitop3_b16 v11, v29, v12, 0xff bitop3:0xec
	v_bitop3_b16 v9, v9, v28, 0xff bitop3:0xec
	s_delay_alu instid0(VALU_DEP_4) | instskip(NEXT) | instid1(VALU_DEP_3)
	v_and_b32_e32 v10, 0xffff, v10
	v_dual_lshlrev_b32 v8, 16, v8 :: v_dual_lshlrev_b32 v11, 16, v11
	s_delay_alu instid0(VALU_DEP_3) | instskip(NEXT) | instid1(VALU_DEP_2)
	v_and_b32_e32 v9, 0xffff, v9
	v_or_b32_e32 v8, v10, v8
	s_delay_alu instid0(VALU_DEP_2)
	v_or_b32_e32 v37, v9, v11
.LBB350_77:
	s_or_b32 exec_lo, exec_lo, s1
	v_add_nc_u32_e32 v11, 7, v15
	v_dual_lshrrev_b32 v9, 8, v7 :: v_dual_lshrrev_b32 v10, 16, v7
                                        ; implicit-def: $vgpr38
	s_delay_alu instid0(VALU_DEP_2) | instskip(SKIP_2) | instid1(SALU_CYCLE_1)
	v_cmp_le_u32_e32 vcc_lo, s5, v11
	v_lshrrev_b32_e32 v11, 24, v7
                                        ; implicit-def: $vgpr7
	s_and_saveexec_b32 s0, vcc_lo
	s_xor_b32 s0, exec_lo, s0
	s_cbranch_execz .LBB350_79
; %bb.78:
	s_delay_alu instid0(VALU_DEP_1) | instskip(SKIP_1) | instid1(VALU_DEP_2)
	v_lshlrev_b16 v7, 8, v11
	v_lshlrev_b16 v9, 8, v9
                                        ; implicit-def: $vgpr11
	v_bitop3_b16 v7, v10, v7, 0xff bitop3:0xec
	v_and_b32_e32 v10, 0xff0000, v8
	s_delay_alu instid0(VALU_DEP_3) | instskip(NEXT) | instid1(VALU_DEP_3)
	v_and_b32_e32 v9, 0xffff, v9
	v_lshlrev_b32_e32 v7, 16, v7
	s_delay_alu instid0(VALU_DEP_3) | instskip(NEXT) | instid1(VALU_DEP_2)
	v_perm_b32 v38, v8, v10, 0x3020504
                                        ; implicit-def: $vgpr8
                                        ; implicit-def: $vgpr10
	v_or_b32_e32 v7, v9, v7
                                        ; implicit-def: $vgpr9
.LBB350_79:
	s_and_not1_saveexec_b32 s1, s0
	s_cbranch_execz .LBB350_83
; %bb.80:
	v_dual_add_nc_u32 v7, s17, v21 :: v_dual_add_nc_u32 v12, s19, v21
	s_mov_b32 s3, 0
	s_mov_b32 s4, exec_lo
	s_delay_alu instid0(VALU_DEP_1) | instskip(NEXT) | instid1(VALU_DEP_2)
	v_mul_lo_u32 v7, v7, s16
	v_mul_lo_u32 v12, v12, s18
	s_delay_alu instid0(VALU_DEP_1) | instskip(NEXT) | instid1(VALU_DEP_1)
	v_sub_nc_u32_e32 v7, v7, v12
	v_cmp_lt_u32_e32 vcc_lo, s20, v7
	v_cmpx_ge_u32_e64 s20, v7
	s_cbranch_execz .LBB350_82
; %bb.81:
	v_dual_add_nc_u32 v7, s22, v21 :: v_dual_add_nc_u32 v12, s38, v21
	s_delay_alu instid0(VALU_DEP_1) | instskip(NEXT) | instid1(VALU_DEP_2)
	v_mul_lo_u32 v7, v7, s21
	v_mul_lo_u32 v12, v12, s23
	s_delay_alu instid0(VALU_DEP_1) | instskip(NEXT) | instid1(VALU_DEP_1)
	v_sub_nc_u32_e32 v7, v7, v12
	v_cmp_lt_u32_e64 s0, s39, v7
	s_and_b32 s3, s0, exec_lo
.LBB350_82:
	s_or_b32 exec_lo, exec_lo, s4
	v_cndmask_b32_e64 v7, 0, 1, vcc_lo
	v_dual_lshrrev_b32 v12, 8, v8 :: v_dual_lshrrev_b32 v28, 16, v8
	v_cndmask_b32_e64 v13, 0, 1, s3
	v_lshlrev_b16 v11, 8, v11
	s_delay_alu instid0(VALU_DEP_4) | instskip(NEXT) | instid1(VALU_DEP_4)
	v_lshlrev_b16 v7, 8, v7
	v_lshlrev_b16 v12, 8, v12
	;; [unrolled: 1-line block ×3, first 2 shown]
	s_delay_alu instid0(VALU_DEP_4) | instskip(NEXT) | instid1(VALU_DEP_4)
	v_bitop3_b16 v10, v10, v11, 0xff bitop3:0xec
	v_bitop3_b16 v7, v28, v7, 0xff bitop3:0xec
	s_delay_alu instid0(VALU_DEP_4) | instskip(NEXT) | instid1(VALU_DEP_3)
	v_bitop3_b16 v8, v8, v12, 0xff bitop3:0xec
	v_dual_lshlrev_b32 v10, 16, v10 :: v_dual_bitop2_b32 v9, v13, v9 bitop3:0x54
	s_delay_alu instid0(VALU_DEP_3) | instskip(NEXT) | instid1(VALU_DEP_3)
	v_lshlrev_b32_e32 v7, 16, v7
	v_and_b32_e32 v8, 0xffff, v8
	s_delay_alu instid0(VALU_DEP_3) | instskip(NEXT) | instid1(VALU_DEP_2)
	v_and_b32_e32 v9, 0xffff, v9
	v_or_b32_e32 v38, v8, v7
	s_delay_alu instid0(VALU_DEP_2)
	v_or_b32_e32 v7, v9, v10
.LBB350_83:
	s_or_b32 exec_lo, exec_lo, s1
	v_dual_add_nc_u32 v8, 8, v15 :: v_dual_lshrrev_b32 v13, 24, v6
	s_delay_alu instid0(VALU_DEP_2) | instskip(SKIP_1) | instid1(VALU_DEP_3)
	v_dual_lshrrev_b32 v9, 16, v7 :: v_dual_lshrrev_b32 v10, 24, v7
	v_dual_lshrrev_b32 v11, 16, v6 :: v_dual_lshrrev_b32 v12, 8, v6
	v_cmp_le_u32_e32 vcc_lo, s5, v8
                                        ; implicit-def: $vgpr6
                                        ; implicit-def: $vgpr8
	s_and_saveexec_b32 s0, vcc_lo
	s_delay_alu instid0(SALU_CYCLE_1)
	s_xor_b32 s0, exec_lo, s0
	s_cbranch_execz .LBB350_85
; %bb.84:
	v_lshlrev_b16 v6, 8, v13
	v_lshlrev_b16 v8, 8, v12
	;; [unrolled: 1-line block ×3, first 2 shown]
	v_perm_b32 v1, v1, v1, 0x3060504
                                        ; implicit-def: $vgpr13
                                        ; implicit-def: $vgpr12
	s_delay_alu instid0(VALU_DEP_4) | instskip(NEXT) | instid1(VALU_DEP_4)
	v_bitop3_b16 v6, v11, v6, 0xff bitop3:0xec
	v_and_b32_e32 v8, 0xffff, v8
	s_delay_alu instid0(VALU_DEP_4) | instskip(NEXT) | instid1(VALU_DEP_3)
	v_bitop3_b16 v9, v9, v10, 0xff bitop3:0xec
                                        ; implicit-def: $vgpr10
                                        ; implicit-def: $vgpr11
	v_lshlrev_b32_e32 v6, 16, v6
	s_delay_alu instid0(VALU_DEP_1) | instskip(NEXT) | instid1(VALU_DEP_3)
	v_or_b32_e32 v8, v8, v6
	v_perm_b32 v6, v9, v7, 0x5040c00
                                        ; implicit-def: $vgpr7
                                        ; implicit-def: $vgpr9
.LBB350_85:
	s_and_not1_saveexec_b32 s1, s0
	s_cbranch_execz .LBB350_89
; %bb.86:
	v_dual_add_nc_u32 v6, s17, v18 :: v_dual_add_nc_u32 v8, s19, v18
	s_mov_b32 s3, 0
	s_mov_b32 s4, exec_lo
	s_delay_alu instid0(VALU_DEP_1) | instskip(NEXT) | instid1(VALU_DEP_2)
	v_mul_lo_u32 v6, v6, s16
	v_mul_lo_u32 v8, v8, s18
	s_delay_alu instid0(VALU_DEP_1) | instskip(NEXT) | instid1(VALU_DEP_1)
	v_sub_nc_u32_e32 v6, v6, v8
	v_cmp_lt_u32_e32 vcc_lo, s20, v6
	v_cmpx_ge_u32_e64 s20, v6
	s_cbranch_execz .LBB350_88
; %bb.87:
	v_dual_add_nc_u32 v6, s22, v18 :: v_dual_add_nc_u32 v8, s38, v18
	s_delay_alu instid0(VALU_DEP_1) | instskip(NEXT) | instid1(VALU_DEP_2)
	v_mul_lo_u32 v6, v6, s21
	v_mul_lo_u32 v8, v8, s23
	s_delay_alu instid0(VALU_DEP_1) | instskip(NEXT) | instid1(VALU_DEP_1)
	v_sub_nc_u32_e32 v6, v6, v8
	v_cmp_lt_u32_e64 s0, s39, v6
	s_and_b32 s3, s0, exec_lo
.LBB350_88:
	s_or_b32 exec_lo, exec_lo, s4
	v_cndmask_b32_e64 v6, 0, 1, s3
	v_cndmask_b32_e64 v8, 0, 1, vcc_lo
	v_lshlrev_b16 v13, 8, v13
	v_lshlrev_b16 v12, 8, v12
	;; [unrolled: 1-line block ×4, first 2 shown]
	s_delay_alu instid0(VALU_DEP_4) | instskip(NEXT) | instid1(VALU_DEP_4)
	v_bitop3_b16 v11, v11, v13, 0xff bitop3:0xec
	v_or_b32_e32 v8, v8, v12
	s_delay_alu instid0(VALU_DEP_4) | instskip(NEXT) | instid1(VALU_DEP_4)
	v_bitop3_b16 v9, v9, v10, 0xff bitop3:0xec
	v_bitop3_b16 v6, v7, v6, 0xff bitop3:0xec
	s_delay_alu instid0(VALU_DEP_4) | instskip(NEXT) | instid1(VALU_DEP_4)
	v_lshlrev_b32_e32 v7, 16, v11
	v_and_b32_e32 v8, 0xffff, v8
	s_delay_alu instid0(VALU_DEP_4) | instskip(NEXT) | instid1(VALU_DEP_4)
	v_lshlrev_b32_e32 v9, 16, v9
	v_and_b32_e32 v6, 0xffff, v6
	s_delay_alu instid0(VALU_DEP_3) | instskip(NEXT) | instid1(VALU_DEP_2)
	v_or_b32_e32 v8, v8, v7
	v_or_b32_e32 v6, v6, v9
.LBB350_89:
	s_or_b32 exec_lo, exec_lo, s1
	s_delay_alu instid0(VALU_DEP_1) | instskip(NEXT) | instid1(VALU_DEP_3)
	v_dual_add_nc_u32 v7, 9, v15 :: v_dual_lshrrev_b32 v11, 8, v6
	v_dual_lshrrev_b32 v12, 24, v8 :: v_dual_lshrrev_b32 v10, 16, v8
                                        ; implicit-def: $vgpr9
	s_delay_alu instid0(VALU_DEP_2) | instskip(SKIP_1) | instid1(SALU_CYCLE_1)
	v_cmp_le_u32_e32 vcc_lo, s5, v7
                                        ; implicit-def: $vgpr7
	s_and_saveexec_b32 s0, vcc_lo
	s_xor_b32 s0, exec_lo, s0
	s_cbranch_execz .LBB350_91
; %bb.90:
	v_lshlrev_b16 v7, 8, v11
	v_lshlrev_b16 v9, 8, v12
	v_perm_b32 v1, v1, v1, 0x3060504
                                        ; implicit-def: $vgpr11
                                        ; implicit-def: $vgpr12
	s_delay_alu instid0(VALU_DEP_3) | instskip(NEXT) | instid1(VALU_DEP_3)
	v_bitop3_b16 v7, v6, v7, 0xff bitop3:0xec
	v_bitop3_b16 v9, v10, v9, 0xff bitop3:0xec
                                        ; implicit-def: $vgpr10
	s_delay_alu instid0(VALU_DEP_2) | instskip(NEXT) | instid1(VALU_DEP_2)
	v_and_b32_e32 v7, 0xffff, v7
	v_perm_b32 v9, v9, v8, 0x5040c00
                                        ; implicit-def: $vgpr8
	s_delay_alu instid0(VALU_DEP_2)
	v_and_or_b32 v7, 0xff000000, v6, v7
                                        ; implicit-def: $vgpr6
.LBB350_91:
	s_and_not1_saveexec_b32 s1, s0
	s_cbranch_execz .LBB350_95
; %bb.92:
	v_dual_add_nc_u32 v7, s17, v19 :: v_dual_add_nc_u32 v9, s19, v19
	s_mov_b32 s3, 0
	s_mov_b32 s4, exec_lo
	s_delay_alu instid0(VALU_DEP_1) | instskip(NEXT) | instid1(VALU_DEP_2)
	v_mul_lo_u32 v7, v7, s16
	v_mul_lo_u32 v9, v9, s18
	s_delay_alu instid0(VALU_DEP_1) | instskip(NEXT) | instid1(VALU_DEP_1)
	v_sub_nc_u32_e32 v7, v7, v9
	v_cmp_lt_u32_e32 vcc_lo, s20, v7
	v_cmpx_ge_u32_e64 s20, v7
	s_cbranch_execz .LBB350_94
; %bb.93:
	v_dual_add_nc_u32 v7, s22, v19 :: v_dual_add_nc_u32 v9, s38, v19
	s_delay_alu instid0(VALU_DEP_1) | instskip(NEXT) | instid1(VALU_DEP_2)
	v_mul_lo_u32 v7, v7, s21
	v_mul_lo_u32 v9, v9, s23
	s_delay_alu instid0(VALU_DEP_1) | instskip(NEXT) | instid1(VALU_DEP_1)
	v_sub_nc_u32_e32 v7, v7, v9
	v_cmp_lt_u32_e64 s0, s39, v7
	s_and_b32 s3, s0, exec_lo
.LBB350_94:
	s_or_b32 exec_lo, exec_lo, s4
	v_cndmask_b32_e64 v7, 0, 1, vcc_lo
	v_lshrrev_b32_e32 v9, 24, v6
	v_cndmask_b32_e64 v13, 0, 1, s3
	v_lshlrev_b16 v12, 8, v12
	v_lshlrev_b16 v11, 8, v11
	;; [unrolled: 1-line block ×4, first 2 shown]
	s_delay_alu instid0(VALU_DEP_4) | instskip(NEXT) | instid1(VALU_DEP_4)
	v_bitop3_b16 v10, v10, v12, 0xff bitop3:0xec
	v_bitop3_b16 v6, v6, v11, 0xff bitop3:0xec
	s_delay_alu instid0(VALU_DEP_4) | instskip(NEXT) | instid1(VALU_DEP_3)
	v_bitop3_b16 v7, v8, v7, 0xff bitop3:0xec
	v_dual_lshlrev_b32 v9, 16, v10 :: v_dual_bitop2_b32 v8, v13, v9 bitop3:0x54
	s_delay_alu instid0(VALU_DEP_3) | instskip(NEXT) | instid1(VALU_DEP_3)
	v_and_b32_e32 v6, 0xffff, v6
	v_and_b32_e32 v7, 0xffff, v7
	s_delay_alu instid0(VALU_DEP_1) | instskip(NEXT) | instid1(VALU_DEP_1)
	v_dual_lshlrev_b32 v8, 16, v8 :: v_dual_bitop2_b32 v9, v7, v9 bitop3:0x54
	v_or_b32_e32 v7, v6, v8
.LBB350_95:
	s_or_b32 exec_lo, exec_lo, s1
	s_delay_alu instid0(VALU_DEP_2) | instskip(NEXT) | instid1(VALU_DEP_1)
	v_dual_add_nc_u32 v6, 10, v15 :: v_dual_lshrrev_b32 v8, 8, v9
                                        ; implicit-def: $vgpr40
	v_cmp_le_u32_e32 vcc_lo, s5, v6
                                        ; implicit-def: $vgpr6
	s_and_saveexec_b32 s0, vcc_lo
	s_delay_alu instid0(SALU_CYCLE_1)
	s_xor_b32 s0, exec_lo, s0
	s_cbranch_execz .LBB350_97
; %bb.96:
	v_lshlrev_b16 v6, 8, v8
	v_and_b32_e32 v8, 0xff0000, v7
	v_perm_b32 v1, v1, v1, 0x3060504
	s_delay_alu instid0(VALU_DEP_3) | instskip(NEXT) | instid1(VALU_DEP_3)
	v_bitop3_b16 v6, v9, v6, 0xff bitop3:0xec
	v_perm_b32 v40, v7, v8, 0x3020504
                                        ; implicit-def: $vgpr8
                                        ; implicit-def: $vgpr7
	s_delay_alu instid0(VALU_DEP_2) | instskip(NEXT) | instid1(VALU_DEP_1)
	v_and_b32_e32 v6, 0xffff, v6
	v_and_or_b32 v6, 0xff000000, v9, v6
                                        ; implicit-def: $vgpr9
.LBB350_97:
	s_and_not1_saveexec_b32 s1, s0
	s_cbranch_execz .LBB350_101
; %bb.98:
	v_dual_add_nc_u32 v6, s17, v16 :: v_dual_add_nc_u32 v10, s19, v16
	s_mov_b32 s3, 0
	s_mov_b32 s4, exec_lo
	s_delay_alu instid0(VALU_DEP_1) | instskip(NEXT) | instid1(VALU_DEP_2)
	v_mul_lo_u32 v6, v6, s16
	v_mul_lo_u32 v10, v10, s18
	s_delay_alu instid0(VALU_DEP_1) | instskip(NEXT) | instid1(VALU_DEP_1)
	v_sub_nc_u32_e32 v6, v6, v10
	v_cmp_lt_u32_e32 vcc_lo, s20, v6
	v_cmpx_ge_u32_e64 s20, v6
	s_cbranch_execz .LBB350_100
; %bb.99:
	v_dual_add_nc_u32 v6, s22, v16 :: v_dual_add_nc_u32 v10, s38, v16
	s_delay_alu instid0(VALU_DEP_1) | instskip(NEXT) | instid1(VALU_DEP_2)
	v_mul_lo_u32 v6, v6, s21
	v_mul_lo_u32 v10, v10, s23
	s_delay_alu instid0(VALU_DEP_1) | instskip(NEXT) | instid1(VALU_DEP_1)
	v_sub_nc_u32_e32 v6, v6, v10
	v_cmp_lt_u32_e64 s0, s39, v6
	s_and_b32 s3, s0, exec_lo
.LBB350_100:
	s_or_b32 exec_lo, exec_lo, s4
	v_dual_lshrrev_b32 v6, 24, v9 :: v_dual_lshrrev_b32 v12, 8, v7
	v_cndmask_b32_e64 v10, 0, 1, s3
	v_cndmask_b32_e64 v11, 0, 1, vcc_lo
	v_lshlrev_b16 v8, 8, v8
	s_delay_alu instid0(VALU_DEP_4)
	v_lshlrev_b16 v6, 8, v6
	v_lshrrev_b32_e32 v13, 16, v7
	v_lshlrev_b16 v10, 8, v10
	v_lshlrev_b16 v12, 8, v12
	v_bitop3_b16 v8, v9, v8, 0xff bitop3:0xec
	v_or_b32_e32 v6, v11, v6
	s_delay_alu instid0(VALU_DEP_4) | instskip(NEXT) | instid1(VALU_DEP_4)
	v_bitop3_b16 v9, v13, v10, 0xff bitop3:0xec
	v_bitop3_b16 v7, v7, v12, 0xff bitop3:0xec
	s_delay_alu instid0(VALU_DEP_4) | instskip(NEXT) | instid1(VALU_DEP_3)
	v_and_b32_e32 v8, 0xffff, v8
	v_dual_lshlrev_b32 v6, 16, v6 :: v_dual_lshlrev_b32 v9, 16, v9
	s_delay_alu instid0(VALU_DEP_3) | instskip(NEXT) | instid1(VALU_DEP_2)
	v_and_b32_e32 v7, 0xffff, v7
	v_or_b32_e32 v6, v8, v6
	s_delay_alu instid0(VALU_DEP_2)
	v_or_b32_e32 v40, v7, v9
.LBB350_101:
	s_or_b32 exec_lo, exec_lo, s1
	v_dual_add_nc_u32 v7, 11, v15 :: v_dual_mov_b32 v39, 0
	s_mov_b32 s0, exec_lo
                                        ; implicit-def: $vgpr41
	s_delay_alu instid0(VALU_DEP_1)
	v_cmpx_le_u32_e64 s5, v7
	s_xor_b32 s0, exec_lo, s0
; %bb.102:
	v_and_b32_e32 v7, 0xff0000, v6
	v_perm_b32 v1, v1, v1, 0x3060504
	s_delay_alu instid0(VALU_DEP_2)
	v_perm_b32 v41, v6, v7, 0x3020504
                                        ; implicit-def: $vgpr6
; %bb.103:
	s_and_not1_saveexec_b32 s1, s0
	s_cbranch_execz .LBB350_107
; %bb.104:
	v_dual_add_nc_u32 v7, s17, v17 :: v_dual_add_nc_u32 v8, s19, v17
	s_mov_b32 s3, 0
	s_mov_b32 s4, exec_lo
	s_delay_alu instid0(VALU_DEP_1) | instskip(NEXT) | instid1(VALU_DEP_2)
	v_mul_lo_u32 v7, v7, s16
	v_mul_lo_u32 v8, v8, s18
	s_delay_alu instid0(VALU_DEP_1) | instskip(NEXT) | instid1(VALU_DEP_1)
	v_sub_nc_u32_e32 v7, v7, v8
	v_cmp_lt_u32_e32 vcc_lo, s20, v7
	v_cmpx_ge_u32_e64 s20, v7
	s_cbranch_execz .LBB350_106
; %bb.105:
	v_dual_add_nc_u32 v7, s22, v17 :: v_dual_add_nc_u32 v8, s38, v17
	s_delay_alu instid0(VALU_DEP_1) | instskip(NEXT) | instid1(VALU_DEP_2)
	v_mul_lo_u32 v7, v7, s21
	v_mul_lo_u32 v8, v8, s23
	s_delay_alu instid0(VALU_DEP_1) | instskip(NEXT) | instid1(VALU_DEP_1)
	v_sub_nc_u32_e32 v7, v7, v8
	v_cmp_lt_u32_e64 s0, s39, v7
	s_and_b32 s3, s0, exec_lo
.LBB350_106:
	s_or_b32 exec_lo, exec_lo, s4
	v_cndmask_b32_e64 v7, 0, 1, vcc_lo
	v_dual_lshrrev_b32 v8, 8, v6 :: v_dual_lshrrev_b32 v9, 16, v6
	v_cndmask_b32_e64 v39, 0, 1, s3
	s_delay_alu instid0(VALU_DEP_3) | instskip(NEXT) | instid1(VALU_DEP_3)
	v_lshlrev_b16 v7, 8, v7
	v_lshlrev_b16 v8, 8, v8
	s_delay_alu instid0(VALU_DEP_2) | instskip(NEXT) | instid1(VALU_DEP_2)
	v_bitop3_b16 v7, v9, v7, 0xff bitop3:0xec
	v_bitop3_b16 v6, v6, v8, 0xff bitop3:0xec
	s_delay_alu instid0(VALU_DEP_2) | instskip(NEXT) | instid1(VALU_DEP_2)
	v_lshlrev_b32_e32 v7, 16, v7
	v_and_b32_e32 v6, 0xffff, v6
	s_delay_alu instid0(VALU_DEP_1)
	v_or_b32_e32 v41, v6, v7
.LBB350_107:
	s_or_b32 exec_lo, exec_lo, s1
	v_dual_add_nc_u32 v8, 12, v15 :: v_dual_lshrrev_b32 v6, 8, v1
	v_dual_lshrrev_b32 v7, 16, v1 :: v_dual_lshrrev_b32 v1, 24, v1
	s_mov_b32 s0, exec_lo
                                        ; implicit-def: $vgpr42
	s_delay_alu instid0(VALU_DEP_2)
	v_cmpx_le_u32_e64 s5, v8
	s_xor_b32 s0, exec_lo, s0
; %bb.108:
	s_delay_alu instid0(VALU_DEP_2) | instskip(SKIP_1) | instid1(VALU_DEP_2)
	v_lshlrev_b16 v1, 8, v1
	v_lshlrev_b16 v6, 8, v6
	v_bitop3_b16 v1, v7, v1, 0xff bitop3:0xec
	s_delay_alu instid0(VALU_DEP_2) | instskip(NEXT) | instid1(VALU_DEP_2)
	v_and_b32_e32 v6, 0xffff, v6
                                        ; implicit-def: $vgpr7
	v_lshlrev_b32_e32 v1, 16, v1
	s_delay_alu instid0(VALU_DEP_1)
	v_or_b32_e32 v42, v6, v1
                                        ; implicit-def: $vgpr1
                                        ; implicit-def: $vgpr6
; %bb.109:
	s_or_saveexec_b32 s1, s0
	v_mov_b32_e32 v43, 0
	s_xor_b32 exec_lo, exec_lo, s1
	s_cbranch_execz .LBB350_113
; %bb.110:
	v_dual_add_nc_u32 v8, s19, v34 :: v_dual_add_nc_u32 v9, s17, v34
	s_mov_b32 s3, 0
	s_mov_b32 s4, exec_lo
	s_delay_alu instid0(VALU_DEP_1) | instskip(NEXT) | instid1(VALU_DEP_2)
	v_mul_lo_u32 v8, v8, s18
	v_mul_lo_u32 v9, v9, s16
	s_delay_alu instid0(VALU_DEP_1) | instskip(NEXT) | instid1(VALU_DEP_1)
	v_sub_nc_u32_e32 v8, v9, v8
	v_cmp_lt_u32_e32 vcc_lo, s20, v8
	v_cmpx_ge_u32_e64 s20, v8
	s_cbranch_execz .LBB350_112
; %bb.111:
	v_dual_add_nc_u32 v8, s38, v34 :: v_dual_add_nc_u32 v9, s22, v34
	s_delay_alu instid0(VALU_DEP_1) | instskip(NEXT) | instid1(VALU_DEP_2)
	v_mul_lo_u32 v8, v8, s23
	v_mul_lo_u32 v9, v9, s21
	s_delay_alu instid0(VALU_DEP_1) | instskip(NEXT) | instid1(VALU_DEP_1)
	v_sub_nc_u32_e32 v8, v9, v8
	v_cmp_lt_u32_e64 s0, s39, v8
	s_and_b32 s3, s0, exec_lo
.LBB350_112:
	s_or_b32 exec_lo, exec_lo, s4
	v_cndmask_b32_e64 v8, 0, 1, vcc_lo
	v_lshlrev_b16 v1, 8, v1
	v_lshlrev_b16 v6, 8, v6
	v_cndmask_b32_e64 v43, 0, 1, s3
	s_delay_alu instid0(VALU_DEP_3) | instskip(NEXT) | instid1(VALU_DEP_1)
	v_bitop3_b16 v1, v7, v1, 0xff bitop3:0xec
	v_dual_lshlrev_b32 v1, 16, v1 :: v_dual_bitop2_b32 v6, v8, v6 bitop3:0x54
	s_delay_alu instid0(VALU_DEP_1) | instskip(NEXT) | instid1(VALU_DEP_1)
	v_and_b32_e32 v6, 0xffff, v6
	v_or_b32_e32 v42, v6, v1
.LBB350_113:
	s_or_b32 exec_lo, exec_lo, s1
.LBB350_114:
	v_and_b32_e32 v66, 0xff, v36
	s_delay_alu instid0(VALU_DEP_2)
	v_bfe_u32 v67, v42, 8, 8
	v_bfe_u32 v64, v36, 8, 8
	;; [unrolled: 1-line block ×4, first 2 shown]
	v_dual_lshrrev_b32 v49, 24, v42 :: v_dual_lshrrev_b32 v48, 24, v36
	v_and_b32_e32 v62, 0xff, v37
	v_and_b32_e32 v60, 0xff, v38
	v_bfe_u32 v61, v37, 8, 8
	v_add3_u32 v1, v64, v66, v63
	v_add3_u32 v6, v65, v67, v49
	v_bfe_u32 v58, v38, 8, 8
	v_bfe_u32 v59, v37, 16, 8
	v_bfe_u32 v56, v38, 16, 8
	v_dual_lshrrev_b32 v47, 24, v37 :: v_dual_lshrrev_b32 v46, 24, v38
	v_add3_u32 v1, v1, v48, v60
	v_add3_u32 v6, v6, v62, v61
	v_and_b32_e32 v57, 0xff, v40
	v_and_b32_e32 v53, 0xff, v41
	v_bfe_u32 v55, v40, 8, 8
	v_add3_u32 v1, v1, v58, v56
	v_add3_u32 v6, v6, v59, v47
	v_bfe_u32 v52, v41, 8, 8
	v_bfe_u32 v54, v40, 16, 8
	;; [unrolled: 1-line block ×3, first 2 shown]
	v_dual_lshrrev_b32 v45, 24, v40 :: v_dual_lshrrev_b32 v44, 24, v41
	v_add3_u32 v1, v1, v46, v53
	v_add3_u32 v6, v6, v57, v55
	v_mbcnt_lo_u32_b32 v68, -1, 0
	v_and_b32_e32 v50, 0xff, v39
	v_and_b32_e32 v7, 0xff, v42
	;; [unrolled: 1-line block ×3, first 2 shown]
	v_add3_u32 v1, v1, v52, v51
	v_add3_u32 v6, v6, v54, v45
	v_and_b32_e32 v70, 15, v68
	v_and_b32_e32 v72, 16, v68
	v_dual_lshrrev_b32 v69, 5, v0 :: v_dual_bitop2_b32 v71, 31, v0 bitop3:0x54
	v_add3_u32 v73, v1, v44, v7
	v_add3_u32 v74, v6, v50, v8
	v_cmp_eq_u32_e64 s1, 0, v70
	v_cmp_lt_u32_e64 s0, 1, v70
	v_cmp_lt_u32_e64 s3, 3, v70
	s_cmp_lg_u32 s27, 0
	s_mov_b32 s4, -1
	v_cmp_lt_u32_e32 vcc_lo, 7, v70
	s_cbranch_scc0 .LBB350_135
; %bb.115:
	v_mov_b32_dpp v1, v74 row_shr:1 row_mask:0xf bank_mask:0xf
	v_mov_b32_dpp v6, v73 row_shr:1 row_mask:0xf bank_mask:0xf
	s_mov_b32 s4, exec_lo
	s_delay_alu instid0(VALU_DEP_1) | instskip(NEXT) | instid1(VALU_DEP_1)
	v_dual_add_nc_u32 v1, v1, v74 :: v_dual_add_nc_u32 v6, v6, v73
	v_dual_cndmask_b32 v1, v1, v74, s1 :: v_dual_cndmask_b32 v6, v6, v73, s1
	s_delay_alu instid0(VALU_DEP_1) | instskip(NEXT) | instid1(VALU_DEP_2)
	v_mov_b32_dpp v7, v1 row_shr:2 row_mask:0xf bank_mask:0xf
	v_mov_b32_dpp v8, v6 row_shr:2 row_mask:0xf bank_mask:0xf
	s_delay_alu instid0(VALU_DEP_1) | instskip(NEXT) | instid1(VALU_DEP_1)
	v_dual_add_nc_u32 v7, v1, v7 :: v_dual_add_nc_u32 v8, v6, v8
	v_dual_cndmask_b32 v1, v1, v7, s0 :: v_dual_cndmask_b32 v6, v6, v8, s0
	s_delay_alu instid0(VALU_DEP_1) | instskip(NEXT) | instid1(VALU_DEP_2)
	v_mov_b32_dpp v7, v1 row_shr:4 row_mask:0xf bank_mask:0xf
	v_mov_b32_dpp v8, v6 row_shr:4 row_mask:0xf bank_mask:0xf
	;; [unrolled: 6-line block ×3, first 2 shown]
	s_delay_alu instid0(VALU_DEP_1) | instskip(NEXT) | instid1(VALU_DEP_1)
	v_dual_add_nc_u32 v7, v1, v7 :: v_dual_add_nc_u32 v8, v6, v8
	v_dual_cndmask_b32 v1, v1, v7 :: v_dual_cndmask_b32 v6, v6, v8
	v_cmp_eq_u32_e32 vcc_lo, 0, v72
	ds_swizzle_b32 v7, v1 offset:swizzle(BROADCAST,32,15)
	ds_swizzle_b32 v8, v6 offset:swizzle(BROADCAST,32,15)
	s_wait_dscnt 0x0
	v_dual_add_nc_u32 v7, v1, v7 :: v_dual_add_nc_u32 v8, v6, v8
	v_cmpx_eq_u32_e64 v0, v71
; %bb.116:
	s_delay_alu instid0(VALU_DEP_2) | instskip(NEXT) | instid1(VALU_DEP_3)
	v_dual_cndmask_b32 v10, v8, v6 :: v_dual_lshlrev_b32 v9, 3, v69
	v_cndmask_b32_e32 v11, v7, v1, vcc_lo
	ds_store_b64 v9, v[10:11]
; %bb.117:
	s_or_b32 exec_lo, exec_lo, s4
	s_delay_alu instid0(SALU_CYCLE_1)
	s_mov_b32 s4, exec_lo
	s_wait_dscnt 0x0
	s_barrier_signal -1
	s_barrier_wait -1
	v_cmpx_gt_u32_e32 8, v0
	s_cbranch_execz .LBB350_119
; %bb.118:
	v_lshlrev_b32_e32 v9, 3, v0
	ds_load_b64 v[10:11], v9
	s_wait_dscnt 0x0
	v_mov_b32_dpp v12, v10 row_shr:1 row_mask:0xf bank_mask:0xf
	v_mov_b32_dpp v13, v11 row_shr:1 row_mask:0xf bank_mask:0xf
	s_delay_alu instid0(VALU_DEP_2) | instskip(NEXT) | instid1(VALU_DEP_2)
	v_dual_add_nc_u32 v12, v12, v10 :: v_dual_bitop2_b32 v28, 7, v68 bitop3:0x40
	v_add_nc_u32_e32 v13, v13, v11
	s_delay_alu instid0(VALU_DEP_2) | instskip(NEXT) | instid1(VALU_DEP_1)
	v_cmp_eq_u32_e64 s3, 0, v28
	v_dual_cndmask_b32 v11, v13, v11, s3 :: v_dual_cndmask_b32 v10, v12, v10, s3
	v_cmp_lt_u32_e64 s3, 1, v28
	s_delay_alu instid0(VALU_DEP_2) | instskip(NEXT) | instid1(VALU_DEP_3)
	v_mov_b32_dpp v13, v11 row_shr:2 row_mask:0xf bank_mask:0xf
	v_mov_b32_dpp v12, v10 row_shr:2 row_mask:0xf bank_mask:0xf
	s_delay_alu instid0(VALU_DEP_1) | instskip(NEXT) | instid1(VALU_DEP_1)
	v_dual_add_nc_u32 v13, v11, v13 :: v_dual_add_nc_u32 v12, v10, v12
	v_dual_cndmask_b32 v11, v11, v13, s3 :: v_dual_cndmask_b32 v10, v10, v12, s3
	v_cmp_lt_u32_e64 s3, 3, v28
	s_delay_alu instid0(VALU_DEP_2) | instskip(NEXT) | instid1(VALU_DEP_3)
	v_mov_b32_dpp v13, v11 row_shr:4 row_mask:0xf bank_mask:0xf
	v_mov_b32_dpp v12, v10 row_shr:4 row_mask:0xf bank_mask:0xf
	s_delay_alu instid0(VALU_DEP_1) | instskip(NEXT) | instid1(VALU_DEP_1)
	v_dual_cndmask_b32 v13, 0, v13, s3 :: v_dual_cndmask_b32 v12, 0, v12, s3
	v_dual_add_nc_u32 v11, v13, v11 :: v_dual_add_nc_u32 v10, v12, v10
	ds_store_b64 v9, v[10:11]
.LBB350_119:
	s_or_b32 exec_lo, exec_lo, s4
	v_dual_cndmask_b32 v1, v7, v1 :: v_dual_cndmask_b32 v6, v8, v6
	s_mov_b32 s4, exec_lo
	v_cmp_gt_u32_e32 vcc_lo, 32, v0
	s_wait_dscnt 0x0
	s_barrier_signal -1
	s_barrier_wait -1
                                        ; implicit-def: $vgpr28
	v_cmpx_lt_u32_e32 31, v0
	s_cbranch_execz .LBB350_121
; %bb.120:
	v_lshl_add_u32 v7, v69, 3, -8
	ds_load_b64 v[28:29], v7
	s_wait_dscnt 0x0
	v_dual_add_nc_u32 v1, v29, v1 :: v_dual_add_nc_u32 v6, v28, v6
.LBB350_121:
	s_or_b32 exec_lo, exec_lo, s4
	v_sub_co_u32 v7, s3, v68, 1
	s_delay_alu instid0(VALU_DEP_1) | instskip(NEXT) | instid1(VALU_DEP_1)
	v_cmp_gt_i32_e64 s4, 0, v7
	v_cndmask_b32_e64 v7, v7, v68, s4
	s_delay_alu instid0(VALU_DEP_1)
	v_lshlrev_b32_e32 v7, 2, v7
	ds_bpermute_b32 v75, v7, v6
	ds_bpermute_b32 v1, v7, v1
	s_and_saveexec_b32 s4, vcc_lo
	s_cbranch_execz .LBB350_140
; %bb.122:
	v_mov_b32_e32 v9, 0
	ds_load_b64 v[6:7], v9 offset:56
	s_and_saveexec_b32 s6, s3
	s_cbranch_execz .LBB350_124
; %bb.123:
	s_add_co_i32 s8, s27, 32
	s_mov_b32 s9, 0
	v_mov_b32_e32 v8, 1
	s_lshl_b64 s[8:9], s[8:9], 4
	s_delay_alu instid0(SALU_CYCLE_1) | instskip(NEXT) | instid1(SALU_CYCLE_1)
	s_add_nc_u64 s[8:9], s[36:37], s[8:9]
	v_mov_b64_e32 v[10:11], s[8:9]
	s_wait_dscnt 0x0
	;;#ASMSTART
	global_store_b128 v[10:11], v[6:9] off scope:SCOPE_DEV	
s_wait_storecnt 0x0
	;;#ASMEND
.LBB350_124:
	s_or_b32 exec_lo, exec_lo, s6
	v_xad_u32 v30, v68, -1, s27
	s_mov_b32 s7, 0
	s_mov_b32 s6, exec_lo
	s_delay_alu instid0(VALU_DEP_1) | instskip(NEXT) | instid1(VALU_DEP_1)
	v_add_nc_u32_e32 v8, 32, v30
	v_lshl_add_u64 v[8:9], v[8:9], 4, s[36:37]
	;;#ASMSTART
	global_load_b128 v[10:13], v[8:9] off scope:SCOPE_DEV	
s_wait_loadcnt 0x0
	;;#ASMEND
	v_and_b32_e32 v13, 0xff, v12
	s_delay_alu instid0(VALU_DEP_1)
	v_cmpx_eq_u16_e32 0, v13
	s_cbranch_execz .LBB350_127
.LBB350_125:                            ; =>This Inner Loop Header: Depth=1
	;;#ASMSTART
	global_load_b128 v[10:13], v[8:9] off scope:SCOPE_DEV	
s_wait_loadcnt 0x0
	;;#ASMEND
	v_and_b32_e32 v13, 0xff, v12
	s_delay_alu instid0(VALU_DEP_1) | instskip(SKIP_1) | instid1(SALU_CYCLE_1)
	v_cmp_ne_u16_e32 vcc_lo, 0, v13
	s_or_b32 s7, vcc_lo, s7
	s_and_not1_b32 exec_lo, exec_lo, s7
	s_cbranch_execnz .LBB350_125
; %bb.126:
	s_or_b32 exec_lo, exec_lo, s7
.LBB350_127:
	s_delay_alu instid0(SALU_CYCLE_1) | instskip(SKIP_4) | instid1(VALU_DEP_1)
	s_or_b32 exec_lo, exec_lo, s6
	v_cmp_ne_u32_e32 vcc_lo, 31, v68
	v_lshlrev_b32_e64 v77, v68, -1
	v_lshl_or_b32 v84, v68, 2, 64
	v_add_co_ci_u32_e64 v8, null, 0, v68, vcc_lo
	v_lshlrev_b32_e32 v76, 2, v8
	v_and_b32_e32 v8, 0xff, v12
	s_delay_alu instid0(VALU_DEP_1)
	v_cmp_eq_u16_e32 vcc_lo, 2, v8
	v_and_b32_e32 v13, vcc_lo, v77
	ds_bpermute_b32 v9, v76, v11
	ds_bpermute_b32 v8, v76, v10
	v_cmp_gt_u32_e32 vcc_lo, 30, v68
	v_or_b32_e32 v13, 0x80000000, v13
	v_cndmask_b32_e64 v31, 0, 2, vcc_lo
	s_delay_alu instid0(VALU_DEP_2) | instskip(NEXT) | instid1(VALU_DEP_2)
	v_ctz_i32_b32_e32 v13, v13
	v_add_lshl_u32 v78, v31, v68, 2
	s_delay_alu instid0(VALU_DEP_2) | instskip(SKIP_2) | instid1(VALU_DEP_1)
	v_cmp_lt_u32_e32 vcc_lo, v68, v13
	s_wait_dscnt 0x0
	v_dual_add_nc_u32 v9, v9, v11 :: v_dual_add_nc_u32 v8, v8, v10
	v_dual_cndmask_b32 v9, v11, v9 :: v_dual_cndmask_b32 v8, v10, v8
	v_cmp_gt_u32_e32 vcc_lo, 28, v68
	ds_bpermute_b32 v10, v78, v9
	ds_bpermute_b32 v11, v78, v8
	v_add_nc_u32_e32 v79, 2, v68
	v_cndmask_b32_e64 v31, 0, 4, vcc_lo
	s_delay_alu instid0(VALU_DEP_1) | instskip(SKIP_4) | instid1(VALU_DEP_2)
	v_add_lshl_u32 v80, v31, v68, 2
	s_wait_dscnt 0x1
	v_add_nc_u32_e32 v10, v9, v10
	v_cmp_gt_u32_e32 vcc_lo, v79, v13
	s_wait_dscnt 0x0
	v_dual_add_nc_u32 v11, v8, v11 :: v_dual_cndmask_b32 v9, v10, v9, vcc_lo
	ds_bpermute_b32 v10, v80, v9
	v_cndmask_b32_e32 v8, v11, v8, vcc_lo
	v_cmp_gt_u32_e32 vcc_lo, 24, v68
	v_cndmask_b32_e64 v31, 0, 8, vcc_lo
	s_delay_alu instid0(VALU_DEP_1)
	v_add_lshl_u32 v82, v31, v68, 2
	s_wait_dscnt 0x0
	v_dual_mov_b32 v31, 0 :: v_dual_add_nc_u32 v10, v9, v10
	ds_bpermute_b32 v11, v80, v8
	s_wait_dscnt 0x0
	v_dual_add_nc_u32 v81, 4, v68 :: v_dual_add_nc_u32 v11, v8, v11
	s_delay_alu instid0(VALU_DEP_1) | instskip(NEXT) | instid1(VALU_DEP_2)
	v_cmp_gt_u32_e32 vcc_lo, v81, v13
	v_dual_cndmask_b32 v9, v10, v9 :: v_dual_cndmask_b32 v8, v11, v8
	ds_bpermute_b32 v10, v82, v9
	ds_bpermute_b32 v11, v82, v8
	s_wait_dscnt 0x1
	v_dual_add_nc_u32 v83, 8, v68 :: v_dual_add_nc_u32 v10, v9, v10
	s_delay_alu instid0(VALU_DEP_1) | instskip(SKIP_1) | instid1(VALU_DEP_2)
	v_cmp_gt_u32_e32 vcc_lo, v83, v13
	s_wait_dscnt 0x0
	v_dual_add_nc_u32 v11, v8, v11 :: v_dual_cndmask_b32 v9, v10, v9, vcc_lo
	s_delay_alu instid0(VALU_DEP_1) | instskip(SKIP_3) | instid1(VALU_DEP_1)
	v_cndmask_b32_e32 v8, v11, v8, vcc_lo
	ds_bpermute_b32 v11, v84, v9
	ds_bpermute_b32 v10, v84, v8
	v_add_nc_u32_e32 v85, 16, v68
	v_cmp_le_u32_e32 vcc_lo, v85, v13
	s_wait_dscnt 0x0
	v_dual_cndmask_b32 v11, 0, v11 :: v_dual_cndmask_b32 v10, 0, v10
	s_delay_alu instid0(VALU_DEP_1)
	v_dual_add_nc_u32 v11, v11, v9 :: v_dual_add_nc_u32 v10, v10, v8
	s_branch .LBB350_131
.LBB350_128:                            ;   in Loop: Header=BB350_131 Depth=1
	s_or_b32 exec_lo, exec_lo, s7
.LBB350_129:                            ;   in Loop: Header=BB350_131 Depth=1
	s_delay_alu instid0(SALU_CYCLE_1)
	s_or_b32 exec_lo, exec_lo, s6
	ds_bpermute_b32 v13, v76, v10
	ds_bpermute_b32 v32, v76, v11
	v_and_b32_e32 v33, 0xff, v12
	v_subrev_nc_u32_e32 v30, 32, v30
	s_mov_b32 s6, 0
	s_delay_alu instid0(VALU_DEP_2) | instskip(SKIP_1) | instid1(VALU_DEP_1)
	v_cmp_eq_u16_e32 vcc_lo, 2, v33
	v_and_or_b32 v33, vcc_lo, v77, 0x80000000
	v_ctz_i32_b32_e32 v33, v33
	s_wait_dscnt 0x0
	v_dual_add_nc_u32 v13, v13, v10 :: v_dual_add_nc_u32 v32, v32, v11
	s_delay_alu instid0(VALU_DEP_2) | instskip(NEXT) | instid1(VALU_DEP_2)
	v_cmp_lt_u32_e32 vcc_lo, v68, v33
	v_dual_cndmask_b32 v11, v11, v32 :: v_dual_cndmask_b32 v10, v10, v13
	v_cmp_gt_u32_e32 vcc_lo, v79, v33
	ds_bpermute_b32 v32, v78, v11
	ds_bpermute_b32 v13, v78, v10
	s_wait_dscnt 0x0
	v_dual_add_nc_u32 v32, v11, v32 :: v_dual_add_nc_u32 v13, v10, v13
	s_delay_alu instid0(VALU_DEP_1)
	v_dual_cndmask_b32 v11, v32, v11 :: v_dual_cndmask_b32 v10, v13, v10
	v_cmp_gt_u32_e32 vcc_lo, v81, v33
	ds_bpermute_b32 v32, v80, v11
	ds_bpermute_b32 v13, v80, v10
	s_wait_dscnt 0x0
	v_dual_add_nc_u32 v32, v11, v32 :: v_dual_add_nc_u32 v13, v10, v13
	s_delay_alu instid0(VALU_DEP_1)
	;; [unrolled: 7-line block ×3, first 2 shown]
	v_dual_cndmask_b32 v11, v32, v11 :: v_dual_cndmask_b32 v10, v13, v10
	v_cmp_le_u32_e32 vcc_lo, v85, v33
	ds_bpermute_b32 v32, v84, v11
	ds_bpermute_b32 v13, v84, v10
	s_wait_dscnt 0x0
	v_dual_cndmask_b32 v32, 0, v32 :: v_dual_cndmask_b32 v13, 0, v13
	s_delay_alu instid0(VALU_DEP_1) | instskip(NEXT) | instid1(VALU_DEP_2)
	v_add3_u32 v11, v11, v9, v32
	v_add3_u32 v10, v10, v8, v13
.LBB350_130:                            ;   in Loop: Header=BB350_131 Depth=1
	s_and_b32 vcc_lo, exec_lo, s6
	s_cbranch_vccnz .LBB350_136
.LBB350_131:                            ; =>This Loop Header: Depth=1
                                        ;     Child Loop BB350_134 Depth 2
	v_and_b32_e32 v8, 0xff, v12
	s_mov_b32 s6, -1
                                        ; implicit-def: $vgpr12
	s_delay_alu instid0(VALU_DEP_1)
	v_cmp_ne_u16_e32 vcc_lo, 2, v8
	v_mov_b64_e32 v[8:9], v[10:11]
                                        ; implicit-def: $vgpr10_vgpr11
	s_cmp_lg_u32 vcc_lo, exec_lo
	s_cbranch_scc1 .LBB350_130
; %bb.132:                              ;   in Loop: Header=BB350_131 Depth=1
	v_lshl_add_u64 v[32:33], v[30:31], 4, s[36:37]
	;;#ASMSTART
	global_load_b128 v[10:13], v[32:33] off scope:SCOPE_DEV	
s_wait_loadcnt 0x0
	;;#ASMEND
	v_and_b32_e32 v13, 0xff, v12
	s_mov_b32 s6, exec_lo
	s_delay_alu instid0(VALU_DEP_1)
	v_cmpx_eq_u16_e32 0, v13
	s_cbranch_execz .LBB350_129
; %bb.133:                              ;   in Loop: Header=BB350_131 Depth=1
	s_mov_b32 s7, 0
.LBB350_134:                            ;   Parent Loop BB350_131 Depth=1
                                        ; =>  This Inner Loop Header: Depth=2
	;;#ASMSTART
	global_load_b128 v[10:13], v[32:33] off scope:SCOPE_DEV	
s_wait_loadcnt 0x0
	;;#ASMEND
	v_and_b32_e32 v13, 0xff, v12
	s_delay_alu instid0(VALU_DEP_1) | instskip(SKIP_1) | instid1(SALU_CYCLE_1)
	v_cmp_ne_u16_e32 vcc_lo, 0, v13
	s_or_b32 s7, vcc_lo, s7
	s_and_not1_b32 exec_lo, exec_lo, s7
	s_cbranch_execnz .LBB350_134
	s_branch .LBB350_128
.LBB350_135:
                                        ; implicit-def: $vgpr1
                                        ; implicit-def: $vgpr8
                                        ; implicit-def: $vgpr10
                                        ; implicit-def: $vgpr12
                                        ; implicit-def: $vgpr28
	s_and_b32 vcc_lo, exec_lo, s4
	s_cbranch_vccnz .LBB350_141
	s_branch .LBB350_150
.LBB350_136:
	s_and_saveexec_b32 s6, s3
	s_cbranch_execz .LBB350_138
; %bb.137:
	s_add_co_i32 s8, s27, 32
	s_mov_b32 s9, 0
	v_dual_mov_b32 v12, 2 :: v_dual_mov_b32 v13, 0
	s_lshl_b64 s[8:9], s[8:9], 4
	v_dual_add_nc_u32 v11, v9, v7 :: v_dual_add_nc_u32 v10, v8, v6
	s_add_nc_u64 s[8:9], s[36:37], s[8:9]
	s_delay_alu instid0(SALU_CYCLE_1)
	v_mov_b64_e32 v[30:31], s[8:9]
	;;#ASMSTART
	global_store_b128 v[30:31], v[10:13] off scope:SCOPE_DEV	
s_wait_storecnt 0x0
	;;#ASMEND
	ds_store_b128 v13, v[6:9] offset:13312
.LBB350_138:
	s_or_b32 exec_lo, exec_lo, s6
	s_delay_alu instid0(SALU_CYCLE_1)
	s_and_b32 exec_lo, exec_lo, s2
; %bb.139:
	v_mov_b32_e32 v6, 0
	ds_store_b64 v6, v[8:9] offset:56
.LBB350_140:
	s_or_b32 exec_lo, exec_lo, s4
	s_wait_dscnt 0x0
	v_dual_mov_b32 v6, 0 :: v_dual_cndmask_b32 v1, v1, v29, s3
	s_barrier_signal -1
	s_barrier_wait -1
	ds_load_b64 v[12:13], v6 offset:56
	s_wait_dscnt 0x0
	s_barrier_signal -1
	s_barrier_wait -1
	ds_load_b128 v[6:9], v6 offset:13312
	v_cndmask_b32_e64 v10, v75, v28, s3
	s_delay_alu instid0(VALU_DEP_1) | instskip(SKIP_2) | instid1(VALU_DEP_2)
	v_dual_add_nc_u32 v1, v13, v1 :: v_dual_add_nc_u32 v11, v12, v10
	s_wait_dscnt 0x0
	v_mov_b32_e32 v10, v9
	v_dual_cndmask_b32 v1, v1, v13, s2 :: v_dual_cndmask_b32 v28, v11, v12, s2
	v_mov_b32_e32 v12, v7
	s_branch .LBB350_150
.LBB350_141:
	v_mov_b32_dpp v1, v73 row_shr:1 row_mask:0xf bank_mask:0xf
	v_mov_b32_dpp v6, v74 row_shr:1 row_mask:0xf bank_mask:0xf
	v_cmp_lt_u32_e32 vcc_lo, 3, v70
	s_delay_alu instid0(VALU_DEP_2) | instskip(NEXT) | instid1(VALU_DEP_1)
	v_dual_add_nc_u32 v1, v1, v73 :: v_dual_add_nc_u32 v6, v6, v74
	v_dual_cndmask_b32 v1, v1, v73, s1 :: v_dual_cndmask_b32 v6, v6, v74, s1
	s_mov_b32 s1, exec_lo
	s_delay_alu instid0(VALU_DEP_1) | instskip(NEXT) | instid1(VALU_DEP_2)
	v_mov_b32_dpp v7, v1 row_shr:2 row_mask:0xf bank_mask:0xf
	v_mov_b32_dpp v8, v6 row_shr:2 row_mask:0xf bank_mask:0xf
	s_delay_alu instid0(VALU_DEP_1) | instskip(NEXT) | instid1(VALU_DEP_1)
	v_dual_add_nc_u32 v7, v1, v7 :: v_dual_add_nc_u32 v8, v6, v8
	v_dual_cndmask_b32 v1, v1, v7, s0 :: v_dual_cndmask_b32 v6, v6, v8, s0
	s_delay_alu instid0(VALU_DEP_1) | instskip(NEXT) | instid1(VALU_DEP_2)
	v_mov_b32_dpp v7, v1 row_shr:4 row_mask:0xf bank_mask:0xf
	v_mov_b32_dpp v8, v6 row_shr:4 row_mask:0xf bank_mask:0xf
	s_delay_alu instid0(VALU_DEP_1) | instskip(NEXT) | instid1(VALU_DEP_1)
	v_dual_add_nc_u32 v7, v1, v7 :: v_dual_add_nc_u32 v8, v6, v8
	v_dual_cndmask_b32 v7, v1, v7 :: v_dual_cndmask_b32 v6, v6, v8
	v_cmp_lt_u32_e32 vcc_lo, 7, v70
	s_delay_alu instid0(VALU_DEP_2) | instskip(NEXT) | instid1(VALU_DEP_3)
	v_mov_b32_dpp v1, v7 row_shr:8 row_mask:0xf bank_mask:0xf
	v_mov_b32_dpp v8, v6 row_shr:8 row_mask:0xf bank_mask:0xf
	s_delay_alu instid0(VALU_DEP_1) | instskip(NEXT) | instid1(VALU_DEP_1)
	v_dual_add_nc_u32 v9, v7, v1 :: v_dual_add_nc_u32 v1, v6, v8
	v_cndmask_b32_e32 v1, v6, v1, vcc_lo
	s_delay_alu instid0(VALU_DEP_2)
	v_cndmask_b32_e32 v6, v7, v9, vcc_lo
	v_cmp_eq_u32_e32 vcc_lo, 0, v72
	ds_swizzle_b32 v8, v6 offset:swizzle(BROADCAST,32,15)
	s_wait_dscnt 0x0
	v_add_nc_u32_e32 v8, v6, v8
	ds_swizzle_b32 v7, v1 offset:swizzle(BROADCAST,32,15)
	s_wait_dscnt 0x0
	v_add_nc_u32_e32 v7, v1, v7
	v_cmpx_eq_u32_e64 v0, v71
; %bb.142:
	s_delay_alu instid0(VALU_DEP_2)
	v_dual_cndmask_b32 v10, v8, v6 :: v_dual_cndmask_b32 v11, v7, v1
	v_lshlrev_b32_e32 v9, 3, v69
	ds_store_b64 v9, v[10:11]
; %bb.143:
	s_or_b32 exec_lo, exec_lo, s1
	s_delay_alu instid0(SALU_CYCLE_1)
	s_mov_b32 s1, exec_lo
	s_wait_dscnt 0x0
	s_barrier_signal -1
	s_barrier_wait -1
	v_cmpx_gt_u32_e32 8, v0
	s_cbranch_execz .LBB350_145
; %bb.144:
	v_lshlrev_b32_e32 v9, 3, v0
	ds_load_b64 v[10:11], v9
	s_wait_dscnt 0x0
	v_mov_b32_dpp v12, v10 row_shr:1 row_mask:0xf bank_mask:0xf
	v_mov_b32_dpp v13, v11 row_shr:1 row_mask:0xf bank_mask:0xf
	s_delay_alu instid0(VALU_DEP_2) | instskip(NEXT) | instid1(VALU_DEP_2)
	v_dual_add_nc_u32 v12, v12, v10 :: v_dual_bitop2_b32 v28, 7, v68 bitop3:0x40
	v_add_nc_u32_e32 v13, v13, v11
	s_delay_alu instid0(VALU_DEP_2) | instskip(NEXT) | instid1(VALU_DEP_1)
	v_cmp_eq_u32_e64 s0, 0, v28
	v_dual_cndmask_b32 v11, v13, v11, s0 :: v_dual_cndmask_b32 v10, v12, v10, s0
	v_cmp_lt_u32_e64 s0, 1, v28
	s_delay_alu instid0(VALU_DEP_2) | instskip(NEXT) | instid1(VALU_DEP_3)
	v_mov_b32_dpp v13, v11 row_shr:2 row_mask:0xf bank_mask:0xf
	v_mov_b32_dpp v12, v10 row_shr:2 row_mask:0xf bank_mask:0xf
	s_delay_alu instid0(VALU_DEP_1) | instskip(NEXT) | instid1(VALU_DEP_1)
	v_dual_add_nc_u32 v13, v11, v13 :: v_dual_add_nc_u32 v12, v10, v12
	v_dual_cndmask_b32 v11, v11, v13, s0 :: v_dual_cndmask_b32 v10, v10, v12, s0
	v_cmp_lt_u32_e64 s0, 3, v28
	s_delay_alu instid0(VALU_DEP_2) | instskip(NEXT) | instid1(VALU_DEP_3)
	v_mov_b32_dpp v13, v11 row_shr:4 row_mask:0xf bank_mask:0xf
	v_mov_b32_dpp v12, v10 row_shr:4 row_mask:0xf bank_mask:0xf
	s_delay_alu instid0(VALU_DEP_1) | instskip(NEXT) | instid1(VALU_DEP_1)
	v_dual_cndmask_b32 v13, 0, v13, s0 :: v_dual_cndmask_b32 v12, 0, v12, s0
	v_dual_add_nc_u32 v11, v13, v11 :: v_dual_add_nc_u32 v10, v12, v10
	ds_store_b64 v9, v[10:11]
.LBB350_145:
	s_or_b32 exec_lo, exec_lo, s1
	v_dual_mov_b32 v9, 0 :: v_dual_mov_b32 v10, 0
	v_mov_b32_e32 v11, 0
	s_mov_b32 s1, exec_lo
	s_wait_dscnt 0x0
	s_barrier_signal -1
	s_barrier_wait -1
	v_cmpx_lt_u32_e32 31, v0
; %bb.146:
	v_lshl_add_u32 v10, v69, 3, -8
	ds_load_b64 v[10:11], v10
; %bb.147:
	s_or_b32 exec_lo, exec_lo, s1
	v_sub_co_u32 v12, s0, v68, 1
	v_dual_cndmask_b32 v6, v8, v6 :: v_dual_cndmask_b32 v1, v7, v1
	s_delay_alu instid0(VALU_DEP_2) | instskip(SKIP_1) | instid1(VALU_DEP_1)
	v_cmp_gt_i32_e64 s1, 0, v12
	s_wait_dscnt 0x0
	v_dual_add_nc_u32 v6, v10, v6 :: v_dual_cndmask_b32 v8, v12, v68, s1
	s_delay_alu instid0(VALU_DEP_1)
	v_dual_lshlrev_b32 v7, 2, v8 :: v_dual_add_nc_u32 v8, v11, v1
	ds_bpermute_b32 v1, v7, v6
	ds_bpermute_b32 v12, v7, v8
	ds_load_b64 v[6:7], v9 offset:56
	s_and_saveexec_b32 s1, s2
	s_cbranch_execz .LBB350_149
; %bb.148:
	s_add_nc_u64 s[6:7], s[36:37], 0x200
	v_dual_mov_b32 v8, 2 :: v_dual_mov_b32 v9, 0
	v_mov_b64_e32 v[28:29], s[6:7]
	s_wait_dscnt 0x0
	;;#ASMSTART
	global_store_b128 v[28:29], v[6:9] off scope:SCOPE_DEV	
s_wait_storecnt 0x0
	;;#ASMEND
.LBB350_149:
	s_or_b32 exec_lo, exec_lo, s1
	s_wait_dscnt 0x1
	v_dual_cndmask_b32 v9, v12, v11, s0 :: v_dual_cndmask_b32 v11, v1, v10, s0
	v_dual_mov_b32 v10, 0 :: v_dual_mov_b32 v8, 0
	s_wait_dscnt 0x0
	v_mov_b32_e32 v12, v7
	s_delay_alu instid0(VALU_DEP_3)
	v_cndmask_b32_e64 v1, v9, 0, s2
	v_cndmask_b32_e64 v28, v11, 0, s2
	s_barrier_signal -1
	s_barrier_wait -1
.LBB350_150:
	s_delay_alu instid0(VALU_DEP_1) | instskip(SKIP_2) | instid1(VALU_DEP_3)
	v_dual_add_nc_u32 v74, v1, v67 :: v_dual_add_nc_u32 v75, v28, v66
	v_dual_lshrrev_b32 v72, 16, v42 :: v_dual_lshrrev_b32 v7, 8, v42
	v_dual_lshrrev_b32 v73, 8, v36 :: v_dual_lshrrev_b32 v71, 16, v36
	v_dual_add_nc_u32 v65, v74, v65 :: v_dual_add_nc_u32 v64, v75, v64
	v_dual_mov_b32 v9, 0 :: v_dual_lshlrev_b32 v66, 1, v6
	s_delay_alu instid0(VALU_DEP_2) | instskip(NEXT) | instid1(VALU_DEP_3)
	v_dual_add_nc_u32 v76, v65, v49 :: v_dual_bitop2_b32 v36, 1, v36 bitop3:0x40
	v_add_nc_u32_e32 v63, v64, v63
	v_dual_sub_nc_u32 v28, v28, v8 :: v_dual_sub_nc_u32 v1, v1, v10
	s_delay_alu instid0(VALU_DEP_3) | instskip(NEXT) | instid1(VALU_DEP_3)
	v_dual_add_nc_u32 v62, v76, v62 :: v_dual_bitop2_b32 v77, 1, v7 bitop3:0x40
	v_dual_mov_b32 v7, v9 :: v_dual_add_nc_u32 v78, v63, v48
	v_mov_b32_e32 v11, v9
	s_delay_alu instid0(VALU_DEP_3) | instskip(SKIP_1) | instid1(VALU_DEP_4)
	v_dual_add_nc_u32 v1, v1, v6 :: v_dual_add_nc_u32 v61, v62, v61
	v_add3_u32 v15, v66, v12, v15
	v_add_nc_u32_e32 v60, v78, v60
	s_delay_alu instid0(VALU_DEP_3) | instskip(NEXT) | instid1(VALU_DEP_4)
	v_dual_sub_nc_u32 v74, v74, v10 :: v_dual_add_nc_u32 v81, v28, v1
	v_dual_add_nc_u32 v79, v61, v59 :: v_dual_sub_nc_u32 v75, v75, v8
	s_delay_alu instid0(VALU_DEP_3) | instskip(SKIP_1) | instid1(VALU_DEP_4)
	v_add_nc_u32_e32 v80, v60, v58
	v_cmp_eq_u32_e32 vcc_lo, 1, v77
	v_dual_add_nc_u32 v74, v74, v6 :: v_dual_sub_nc_u32 v64, v64, v8
	s_delay_alu instid0(VALU_DEP_3) | instskip(SKIP_2) | instid1(VALU_DEP_3)
	v_dual_add_nc_u32 v82, v79, v47 :: v_dual_add_nc_u32 v56, v80, v56
	v_dual_sub_nc_u32 v81, v15, v81 :: v_dual_sub_nc_u32 v65, v65, v10
	v_sub_nc_u64_e32 v[58:59], v[4:5], v[6:7]
	v_dual_add_nc_u32 v57, v82, v57 :: v_dual_add_nc_u32 v83, v56, v46
	s_delay_alu instid0(VALU_DEP_3) | instskip(SKIP_1) | instid1(VALU_DEP_3)
	v_dual_cndmask_b32 v1, v81, v1, vcc_lo :: v_dual_add_nc_u32 v81, v74, v75
	v_cmp_eq_u32_e32 vcc_lo, 1, v36
	v_dual_add_nc_u32 v55, v57, v55 :: v_dual_add_nc_u32 v77, v83, v53
	v_and_b32_e32 v72, 1, v72
	v_dual_sub_nc_u32 v63, v63, v8 :: v_dual_bitop2_b32 v49, 1, v49 bitop3:0x40
	s_delay_alu instid0(VALU_DEP_3) | instskip(NEXT) | instid1(VALU_DEP_4)
	v_dual_cndmask_b32 v1, v1, v28 :: v_dual_add_nc_u32 v28, v55, v54
	v_add_nc_u32_e32 v36, v77, v52
	v_add_nc_u32_e32 v54, v65, v6
	v_add_nc_u64_e32 v[52:53], v[58:59], v[10:11]
	s_delay_alu instid0(VALU_DEP_4)
	v_lshlrev_b32_e32 v1, 2, v1
	v_add_nc_u32_e32 v58, v28, v45
	v_dual_add_nc_u32 v51, v36, v51 :: v_dual_sub_nc_u32 v59, v15, v81
	v_add_nc_u32_e32 v65, v54, v64
	ds_store_b32 v1, v26
	v_dual_add_nc_u32 v1, v58, v50 :: v_dual_add_nc_u32 v26, v51, v44
	v_dual_sub_nc_u32 v73, v76, v10 :: v_dual_bitop2_b32 v50, 1, v73 bitop3:0x40
	v_dual_sub_nc_u32 v65, v15, v65 :: v_dual_add_nc_u32 v59, 1, v59
	v_cmp_eq_u32_e32 vcc_lo, 1, v72
	s_delay_alu instid0(VALU_DEP_3) | instskip(NEXT) | instid1(VALU_DEP_3)
	v_dual_add_nc_u32 v73, v73, v6 :: v_dual_bitop2_b32 v71, 1, v71 bitop3:0x40
	v_add_nc_u32_e32 v65, 2, v65
	v_dual_lshrrev_b32 v70, 8, v37 :: v_dual_lshrrev_b32 v69, 16, v37
	v_cndmask_b32_e32 v59, v59, v74, vcc_lo
	v_cmp_eq_u32_e32 vcc_lo, 1, v49
	v_dual_add_nc_u32 v72, v63, v73 :: v_dual_lshrrev_b32 v33, 16, v38
	v_dual_lshrrev_b32 v68, 8, v38 :: v_dual_lshrrev_b32 v31, 16, v40
	v_dual_cndmask_b32 v49, v65, v54 :: v_dual_lshrrev_b32 v32, 8, v40
	v_cmp_eq_u32_e32 vcc_lo, 1, v50
	s_delay_alu instid0(VALU_DEP_4)
	v_dual_sub_nc_u32 v54, v15, v72 :: v_dual_lshrrev_b32 v30, 8, v41
	v_dual_lshrrev_b32 v29, 16, v41 :: v_dual_sub_nc_u32 v1, v1, v10
	v_cndmask_b32_e32 v50, v59, v75, vcc_lo
	v_cmp_eq_u32_e32 vcc_lo, 1, v71
	v_dual_sub_nc_u32 v59, v62, v10 :: v_dual_bitop2_b32 v37, 1, v37 bitop3:0x40
	v_dual_add_nc_u32 v54, 3, v54 :: v_dual_bitop2_b32 v48, 1, v48 bitop3:0x40
	v_cndmask_b32_e32 v49, v49, v64, vcc_lo
	v_dual_sub_nc_u32 v62, v78, v8 :: v_dual_lshlrev_b32 v50, 2, v50
	s_delay_alu instid0(VALU_DEP_4) | instskip(SKIP_1) | instid1(VALU_DEP_4)
	v_add_nc_u32_e32 v59, v59, v6
	v_cmp_eq_u32_e32 vcc_lo, 1, v37
	v_lshlrev_b32_e32 v49, 2, v49
	v_add_nc_u64_e32 v[2:3], v[2:3], v[8:9]
	ds_store_b32 v50, v27
	v_dual_sub_nc_u32 v27, v61, v10 :: v_dual_cndmask_b32 v37, v54, v73, vcc_lo
	v_add_nc_u32_e32 v54, v62, v59
	v_cmp_eq_u32_e32 vcc_lo, 1, v48
	ds_store_b32 v49, v24
	v_dual_sub_nc_u32 v48, v60, v8 :: v_dual_sub_nc_u32 v50, v79, v10
	v_dual_cndmask_b32 v37, v37, v63 :: v_dual_sub_nc_u32 v24, v15, v54
	v_dual_add_nc_u32 v27, v27, v6 :: v_dual_mov_b32 v67, v9
	s_delay_alu instid0(VALU_DEP_2) | instskip(NEXT) | instid1(VALU_DEP_3)
	v_dual_mov_b32 v13, v9 :: v_dual_add_nc_u32 v24, 4, v24
	v_dual_lshlrev_b32 v37, 2, v37 :: v_dual_bitop2_b32 v49, 1, v70 bitop3:0x40
	s_delay_alu instid0(VALU_DEP_3)
	v_add_nc_u32_e32 v54, v48, v27
	s_mov_b32 s0, -1
	v_and_b32_e32 v40, 1, v40
	ds_store_b32 v37, v25
	v_cmp_eq_u32_e32 vcc_lo, 1, v49
	v_dual_sub_nc_u32 v49, v80, v8 :: v_dual_bitop2_b32 v38, 1, v38 bitop3:0x40
	v_dual_add_nc_u32 v50, v50, v6 :: v_dual_bitop2_b32 v37, 1, v69 bitop3:0x40
	v_cndmask_b32_e32 v24, v24, v59, vcc_lo
	s_delay_alu instid0(VALU_DEP_3) | instskip(SKIP_1) | instid1(VALU_DEP_3)
	v_cmp_eq_u32_e32 vcc_lo, 1, v38
	v_and_b32_e32 v32, 1, v32
	v_dual_cndmask_b32 v24, v24, v62, vcc_lo :: v_dual_bitop2_b32 v31, 1, v31 bitop3:0x40
	v_sub_nc_u32_e32 v54, v15, v54
	v_cmp_eq_u32_e32 vcc_lo, 1, v37
	s_delay_alu instid0(VALU_DEP_3) | instskip(NEXT) | instid1(VALU_DEP_3)
	v_dual_sub_nc_u32 v37, v57, v10 :: v_dual_lshlrev_b32 v24, 2, v24
	v_add_nc_u32_e32 v38, 5, v54
	v_dual_add_nc_u32 v25, v49, v50 :: v_dual_bitop2_b32 v54, 1, v68 bitop3:0x40
	ds_store_b32 v24, v22
	v_dual_cndmask_b32 v27, v38, v27, vcc_lo :: v_dual_sub_nc_u32 v25, v15, v25
	v_and_b32_e32 v22, 1, v47
	v_cmp_eq_u32_e32 vcc_lo, 1, v54
	v_dual_sub_nc_u32 v38, v55, v10 :: v_dual_sub_nc_u32 v47, v77, v8
	s_delay_alu instid0(VALU_DEP_4) | instskip(SKIP_3) | instid1(VALU_DEP_3)
	v_dual_cndmask_b32 v25, v27, v48 :: v_dual_add_nc_u32 v24, 6, v25
	v_sub_nc_u32_e32 v27, v82, v10
	v_cmp_eq_u32_e32 vcc_lo, 1, v22
	v_and_b32_e32 v33, 1, v33
	v_dual_lshlrev_b32 v25, 2, v25 :: v_dual_add_nc_u32 v27, v27, v6
	v_cndmask_b32_e32 v22, v24, v50, vcc_lo
	v_sub_nc_u32_e32 v24, v56, v8
	s_delay_alu instid0(VALU_DEP_4)
	v_cmp_eq_u32_e32 vcc_lo, 1, v33
	ds_store_b32 v25, v23
	v_dual_sub_nc_u32 v23, v83, v8 :: v_dual_add_nc_u32 v25, v37, v6
	v_dual_cndmask_b32 v22, v22, v49 :: v_dual_add_nc_u32 v33, v24, v27
	v_and_b32_e32 v37, 1, v46
	v_cmp_eq_u32_e32 vcc_lo, 1, v40
	s_delay_alu instid0(VALU_DEP_4) | instskip(NEXT) | instid1(VALU_DEP_4)
	v_add_nc_u32_e32 v46, v23, v25
	v_dual_sub_nc_u32 v33, v15, v33 :: v_dual_lshlrev_b32 v22, 2, v22
	s_delay_alu instid0(VALU_DEP_1)
	v_dual_sub_nc_u32 v46, v15, v46 :: v_dual_add_nc_u32 v33, 7, v33
	v_add_nc_u32_e32 v38, v38, v6
	ds_store_b32 v22, v20
	v_dual_cndmask_b32 v27, v33, v27, vcc_lo :: v_dual_bitop2_b32 v22, 1, v45 bitop3:0x40
	v_cmp_eq_u32_e32 vcc_lo, 1, v37
	v_add_nc_u32_e32 v33, v47, v38
	s_delay_alu instid0(VALU_DEP_3) | instskip(SKIP_2) | instid1(VALU_DEP_3)
	v_dual_add_nc_u32 v40, 8, v46 :: v_dual_cndmask_b32 v24, v27, v24, vcc_lo
	v_and_b32_e32 v27, 1, v41
	v_cmp_eq_u32_e32 vcc_lo, 1, v32
	v_dual_sub_nc_u32 v33, v15, v33 :: v_dual_lshlrev_b32 v24, 2, v24
	s_delay_alu instid0(VALU_DEP_4) | instskip(NEXT) | instid1(VALU_DEP_4)
	v_cndmask_b32_e32 v25, v40, v25, vcc_lo
	v_cmp_eq_u32_e32 vcc_lo, 1, v27
	s_delay_alu instid0(VALU_DEP_3) | instskip(NEXT) | instid1(VALU_DEP_3)
	v_dual_add_nc_u32 v32, 9, v33 :: v_dual_bitop2_b32 v27, 1, v30 bitop3:0x40
	v_dual_cndmask_b32 v23, v25, v23 :: v_dual_sub_nc_u32 v30, v36, v8
	v_sub_nc_u32_e32 v25, v28, v10
	v_cmp_eq_u32_e32 vcc_lo, 1, v31
	s_delay_alu instid0(VALU_DEP_2)
	v_dual_lshlrev_b32 v23, 2, v23 :: v_dual_add_nc_u32 v25, v25, v6
	v_cndmask_b32_e32 v28, v32, v38, vcc_lo
	v_cmp_eq_u32_e32 vcc_lo, 1, v27
	ds_store_b32 v24, v21
	ds_store_b32 v23, v18
	v_sub_nc_u32_e32 v21, v58, v10
	v_dual_add_nc_u32 v20, v30, v25 :: v_dual_sub_nc_u32 v23, v51, v8
	v_dual_cndmask_b32 v27, v28, v47 :: v_dual_sub_nc_u32 v8, v26, v8
	s_delay_alu instid0(VALU_DEP_2) | instskip(NEXT) | instid1(VALU_DEP_2)
	v_dual_add_nc_u32 v1, v1, v6 :: v_dual_sub_nc_u32 v20, v15, v20
	v_dual_add_nc_u32 v21, v21, v6 :: v_dual_lshlrev_b32 v18, 2, v27
	v_cmp_eq_u32_e32 vcc_lo, 1, v22
	s_delay_alu instid0(VALU_DEP_3) | instskip(SKIP_3) | instid1(VALU_DEP_1)
	v_dual_add_nc_u32 v22, v8, v1 :: v_dual_add_nc_u32 v20, 10, v20
	ds_store_b32 v18, v19
	v_cndmask_b32_e32 v20, v20, v25, vcc_lo
	v_add_nc_u32_e32 v26, v23, v21
	v_dual_sub_nc_u32 v18, v15, v26 :: v_dual_bitop2_b32 v24, 1, v29 bitop3:0x40
	s_delay_alu instid0(VALU_DEP_1) | instskip(SKIP_1) | instid1(VALU_DEP_3)
	v_cmp_eq_u32_e32 vcc_lo, 1, v24
	v_dual_sub_nc_u32 v15, v15, v22 :: v_dual_bitop2_b32 v24, 1, v39 bitop3:0x40
	v_dual_add_nc_u32 v25, 11, v18 :: v_dual_bitop2_b32 v22, 1, v44 bitop3:0x40
	v_cndmask_b32_e32 v20, v20, v30, vcc_lo
	s_delay_alu instid0(VALU_DEP_3) | instskip(SKIP_4) | instid1(VALU_DEP_4)
	v_cmp_eq_u32_e32 vcc_lo, 1, v24
	v_and_b32_e32 v26, 1, v43
	v_dual_add_nc_u32 v15, 12, v15 :: v_dual_bitop2_b32 v24, 1, v42 bitop3:0x40
	v_add_nc_u64_e32 v[18:19], v[12:13], v[66:67]
	v_cndmask_b32_e32 v21, v25, v21, vcc_lo
	v_cmp_eq_u32_e32 vcc_lo, 1, v26
	s_delay_alu instid0(VALU_DEP_4)
	v_dual_cndmask_b32 v1, v15, v1 :: v_dual_lshlrev_b32 v20, 2, v20
	v_cmp_eq_u32_e32 vcc_lo, 1, v22
	v_add_nc_u64_e32 v[18:19], v[18:19], v[52:53]
	v_mov_b32_e32 v15, v9
	ds_store_b32 v20, v16
	v_cndmask_b32_e32 v21, v21, v23, vcc_lo
	v_cmp_eq_u32_e32 vcc_lo, 1, v24
	s_delay_alu instid0(VALU_DEP_2)
	v_dual_cndmask_b32 v1, v1, v8 :: v_dual_lshlrev_b32 v22, 2, v21
	v_add_nc_u64_e32 v[8:9], s[34:35], v[14:15]
	v_add_nc_u64_e32 v[14:15], v[18:19], v[2:3]
	v_lshlrev_b64_e32 v[18:19], 2, v[52:53]
	v_lshlrev_b64_e32 v[20:21], 2, v[2:3]
	v_lshlrev_b32_e32 v1, 2, v1
	v_cmp_ne_u32_e32 vcc_lo, 1, v35
	v_sub_nc_u64_e32 v[14:15], v[8:9], v[14:15]
	v_add_nc_u64_e32 v[8:9], s[30:31], v[18:19]
	v_add_nc_u32_e32 v18, v6, v12
	ds_store_b32 v22, v17
	ds_store_b32 v1, v34
	v_add_nc_u64_e32 v[16:17], s[28:29], v[20:21]
	s_wait_dscnt 0x0
	s_barrier_signal -1
	s_barrier_wait -1
	s_cbranch_vccz .LBB350_154
; %bb.151:
	s_and_b32 vcc_lo, exec_lo, s0
	s_cbranch_vccnz .LBB350_259
.LBB350_152:
	s_and_b32 s0, s2, s26
	s_delay_alu instid0(SALU_CYCLE_1)
	s_and_saveexec_b32 s1, s0
	s_cbranch_execnz .LBB350_377
.LBB350_153:
	s_sendmsg sendmsg(MSG_DEALLOC_VGPRS)
	s_endpgm
.LBB350_154:
	s_mov_b32 s0, exec_lo
	v_cmpx_ge_u32_e64 v0, v6
	s_xor_b32 s0, exec_lo, s0
	s_cbranch_execz .LBB350_160
; %bb.155:
	v_mov_b32_e32 v1, 0
	s_mov_b32 s1, exec_lo
	v_cmpx_ge_u32_e64 v0, v18
	s_xor_b32 s1, exec_lo, s1
	s_cbranch_execz .LBB350_157
; %bb.156:
	v_lshlrev_b32_e32 v19, 2, v0
	v_add_nc_u64_e32 v[20:21], v[14:15], v[0:1]
	ds_load_b32 v1, v19
	v_lshlrev_b64_e32 v[20:21], 2, v[20:21]
	s_delay_alu instid0(VALU_DEP_1)
	v_sub_nc_u64_e32 v[20:21], s[14:15], v[20:21]
	s_wait_dscnt 0x0
	global_store_b32 v[20:21], v1, off offset:-4
.LBB350_157:
	s_wait_xcnt 0x0
	s_and_not1_saveexec_b32 s1, s1
	s_cbranch_execz .LBB350_159
; %bb.158:
	v_lshlrev_b32_e32 v1, 2, v0
	v_readfirstlane_b32 s6, v8
	v_readfirstlane_b32 s7, v9
	ds_load_b32 v1, v1
	s_wait_dscnt 0x0
	global_store_b32 v0, v1, s[6:7] scale_offset
.LBB350_159:
	s_wait_xcnt 0x0
	s_or_b32 exec_lo, exec_lo, s1
.LBB350_160:
	s_and_not1_saveexec_b32 s0, s0
	s_cbranch_execz .LBB350_162
; %bb.161:
	v_lshlrev_b32_e32 v1, 2, v0
	v_readfirstlane_b32 s6, v16
	v_readfirstlane_b32 s7, v17
	ds_load_b32 v1, v1
	s_wait_dscnt 0x0
	global_store_b32 v0, v1, s[6:7] scale_offset
.LBB350_162:
	s_wait_xcnt 0x0
	s_or_b32 exec_lo, exec_lo, s0
	v_or_b32_e32 v1, 0x100, v0
	s_mov_b32 s0, exec_lo
	s_delay_alu instid0(VALU_DEP_1)
	v_cmpx_ge_u32_e64 v1, v6
	s_xor_b32 s0, exec_lo, s0
	s_cbranch_execz .LBB350_168
; %bb.163:
	s_mov_b32 s1, exec_lo
	v_cmpx_ge_u32_e64 v1, v18
	s_xor_b32 s1, exec_lo, s1
	s_cbranch_execz .LBB350_165
; %bb.164:
	v_dual_mov_b32 v1, 0 :: v_dual_lshlrev_b32 v19, 2, v0
	s_delay_alu instid0(VALU_DEP_1) | instskip(SKIP_2) | instid1(VALU_DEP_1)
	v_add_nc_u64_e32 v[20:21], v[14:15], v[0:1]
	ds_load_b32 v1, v19 offset:1024
	v_lshlrev_b64_e32 v[20:21], 2, v[20:21]
	v_sub_nc_u64_e32 v[20:21], s[14:15], v[20:21]
	s_wait_dscnt 0x0
	global_store_b32 v[20:21], v1, off offset:-1028
.LBB350_165:
	s_wait_xcnt 0x0
	s_and_not1_saveexec_b32 s1, s1
	s_cbranch_execz .LBB350_167
; %bb.166:
	v_lshlrev_b32_e32 v1, 2, v0
	v_readfirstlane_b32 s6, v8
	v_readfirstlane_b32 s7, v9
	ds_load_b32 v1, v1 offset:1024
	s_wait_dscnt 0x0
	global_store_b32 v0, v1, s[6:7] offset:1024 scale_offset
.LBB350_167:
	s_wait_xcnt 0x0
	s_or_b32 exec_lo, exec_lo, s1
.LBB350_168:
	s_and_not1_saveexec_b32 s0, s0
	s_cbranch_execz .LBB350_170
; %bb.169:
	v_lshlrev_b32_e32 v1, 2, v0
	v_readfirstlane_b32 s6, v16
	v_readfirstlane_b32 s7, v17
	ds_load_b32 v1, v1 offset:1024
	s_wait_dscnt 0x0
	global_store_b32 v0, v1, s[6:7] offset:1024 scale_offset
.LBB350_170:
	s_wait_xcnt 0x0
	s_or_b32 exec_lo, exec_lo, s0
	v_or_b32_e32 v1, 0x200, v0
	s_mov_b32 s0, exec_lo
	s_delay_alu instid0(VALU_DEP_1)
	v_cmpx_ge_u32_e64 v1, v6
	s_xor_b32 s0, exec_lo, s0
	s_cbranch_execz .LBB350_176
; %bb.171:
	s_mov_b32 s1, exec_lo
	v_cmpx_ge_u32_e64 v1, v18
	s_xor_b32 s1, exec_lo, s1
	s_cbranch_execz .LBB350_173
; %bb.172:
	v_dual_mov_b32 v1, 0 :: v_dual_lshlrev_b32 v19, 2, v0
	s_delay_alu instid0(VALU_DEP_1) | instskip(SKIP_2) | instid1(VALU_DEP_1)
	v_add_nc_u64_e32 v[20:21], v[14:15], v[0:1]
	ds_load_b32 v1, v19 offset:2048
	v_lshlrev_b64_e32 v[20:21], 2, v[20:21]
	v_sub_nc_u64_e32 v[20:21], s[14:15], v[20:21]
	s_wait_dscnt 0x0
	global_store_b32 v[20:21], v1, off offset:-2052
.LBB350_173:
	s_wait_xcnt 0x0
	s_and_not1_saveexec_b32 s1, s1
	s_cbranch_execz .LBB350_175
; %bb.174:
	v_lshlrev_b32_e32 v1, 2, v0
	v_readfirstlane_b32 s6, v8
	v_readfirstlane_b32 s7, v9
	ds_load_b32 v1, v1 offset:2048
	s_wait_dscnt 0x0
	global_store_b32 v0, v1, s[6:7] offset:2048 scale_offset
.LBB350_175:
	s_wait_xcnt 0x0
	s_or_b32 exec_lo, exec_lo, s1
.LBB350_176:
	s_and_not1_saveexec_b32 s0, s0
	s_cbranch_execz .LBB350_178
; %bb.177:
	v_lshlrev_b32_e32 v1, 2, v0
	v_readfirstlane_b32 s6, v16
	v_readfirstlane_b32 s7, v17
	ds_load_b32 v1, v1 offset:2048
	s_wait_dscnt 0x0
	global_store_b32 v0, v1, s[6:7] offset:2048 scale_offset
.LBB350_178:
	;; [unrolled: 47-line block ×12, first 2 shown]
	s_wait_xcnt 0x0
	s_or_b32 exec_lo, exec_lo, s0
	s_branch .LBB350_152
.LBB350_259:
	s_mov_b32 s0, exec_lo
	v_cmpx_gt_u32_e64 s5, v0
	s_cbranch_execz .LBB350_268
; %bb.260:
	s_mov_b32 s1, exec_lo
	v_cmpx_ge_u32_e64 v0, v6
	s_xor_b32 s1, exec_lo, s1
	s_cbranch_execz .LBB350_266
; %bb.261:
	v_mov_b32_e32 v1, 0
	s_mov_b32 s3, exec_lo
	v_cmpx_ge_u32_e64 v0, v18
	s_xor_b32 s3, exec_lo, s3
	s_cbranch_execz .LBB350_263
; %bb.262:
	v_lshlrev_b32_e32 v19, 2, v0
	v_add_nc_u64_e32 v[20:21], v[14:15], v[0:1]
	ds_load_b32 v1, v19
	v_lshlrev_b64_e32 v[20:21], 2, v[20:21]
	s_delay_alu instid0(VALU_DEP_1)
	v_sub_nc_u64_e32 v[20:21], s[14:15], v[20:21]
	s_wait_dscnt 0x0
	global_store_b32 v[20:21], v1, off offset:-4
.LBB350_263:
	s_wait_xcnt 0x0
	s_and_not1_saveexec_b32 s3, s3
	s_cbranch_execz .LBB350_265
; %bb.264:
	v_lshlrev_b32_e32 v1, 2, v0
	v_readfirstlane_b32 s6, v8
	v_readfirstlane_b32 s7, v9
	ds_load_b32 v1, v1
	s_wait_dscnt 0x0
	global_store_b32 v0, v1, s[6:7] scale_offset
.LBB350_265:
	s_wait_xcnt 0x0
	s_or_b32 exec_lo, exec_lo, s3
.LBB350_266:
	s_and_not1_saveexec_b32 s1, s1
	s_cbranch_execz .LBB350_268
; %bb.267:
	v_lshlrev_b32_e32 v1, 2, v0
	v_readfirstlane_b32 s6, v16
	v_readfirstlane_b32 s7, v17
	ds_load_b32 v1, v1
	s_wait_dscnt 0x0
	global_store_b32 v0, v1, s[6:7] scale_offset
.LBB350_268:
	s_wait_xcnt 0x0
	s_or_b32 exec_lo, exec_lo, s0
	v_or_b32_e32 v1, 0x100, v0
	s_mov_b32 s0, exec_lo
	s_delay_alu instid0(VALU_DEP_1)
	v_cmpx_gt_u32_e64 s5, v1
	s_cbranch_execz .LBB350_277
; %bb.269:
	s_mov_b32 s1, exec_lo
	v_cmpx_ge_u32_e64 v1, v6
	s_xor_b32 s1, exec_lo, s1
	s_cbranch_execz .LBB350_275
; %bb.270:
	s_mov_b32 s3, exec_lo
	v_cmpx_ge_u32_e64 v1, v18
	s_xor_b32 s3, exec_lo, s3
	s_cbranch_execz .LBB350_272
; %bb.271:
	v_dual_mov_b32 v1, 0 :: v_dual_lshlrev_b32 v19, 2, v0
	s_delay_alu instid0(VALU_DEP_1) | instskip(SKIP_2) | instid1(VALU_DEP_1)
	v_add_nc_u64_e32 v[20:21], v[14:15], v[0:1]
	ds_load_b32 v1, v19 offset:1024
	v_lshlrev_b64_e32 v[20:21], 2, v[20:21]
	v_sub_nc_u64_e32 v[20:21], s[14:15], v[20:21]
	s_wait_dscnt 0x0
	global_store_b32 v[20:21], v1, off offset:-1028
.LBB350_272:
	s_wait_xcnt 0x0
	s_and_not1_saveexec_b32 s3, s3
	s_cbranch_execz .LBB350_274
; %bb.273:
	v_lshlrev_b32_e32 v1, 2, v0
	v_readfirstlane_b32 s6, v8
	v_readfirstlane_b32 s7, v9
	ds_load_b32 v1, v1 offset:1024
	s_wait_dscnt 0x0
	global_store_b32 v0, v1, s[6:7] offset:1024 scale_offset
.LBB350_274:
	s_wait_xcnt 0x0
	s_or_b32 exec_lo, exec_lo, s3
.LBB350_275:
	s_and_not1_saveexec_b32 s1, s1
	s_cbranch_execz .LBB350_277
; %bb.276:
	v_lshlrev_b32_e32 v1, 2, v0
	v_readfirstlane_b32 s6, v16
	v_readfirstlane_b32 s7, v17
	ds_load_b32 v1, v1 offset:1024
	s_wait_dscnt 0x0
	global_store_b32 v0, v1, s[6:7] offset:1024 scale_offset
.LBB350_277:
	s_wait_xcnt 0x0
	s_or_b32 exec_lo, exec_lo, s0
	v_or_b32_e32 v1, 0x200, v0
	s_mov_b32 s0, exec_lo
	s_delay_alu instid0(VALU_DEP_1)
	v_cmpx_gt_u32_e64 s5, v1
	s_cbranch_execz .LBB350_286
; %bb.278:
	s_mov_b32 s1, exec_lo
	v_cmpx_ge_u32_e64 v1, v6
	s_xor_b32 s1, exec_lo, s1
	s_cbranch_execz .LBB350_284
; %bb.279:
	s_mov_b32 s3, exec_lo
	v_cmpx_ge_u32_e64 v1, v18
	s_xor_b32 s3, exec_lo, s3
	s_cbranch_execz .LBB350_281
; %bb.280:
	v_dual_mov_b32 v1, 0 :: v_dual_lshlrev_b32 v19, 2, v0
	s_delay_alu instid0(VALU_DEP_1) | instskip(SKIP_2) | instid1(VALU_DEP_1)
	v_add_nc_u64_e32 v[20:21], v[14:15], v[0:1]
	ds_load_b32 v1, v19 offset:2048
	v_lshlrev_b64_e32 v[20:21], 2, v[20:21]
	v_sub_nc_u64_e32 v[20:21], s[14:15], v[20:21]
	s_wait_dscnt 0x0
	global_store_b32 v[20:21], v1, off offset:-2052
.LBB350_281:
	s_wait_xcnt 0x0
	s_and_not1_saveexec_b32 s3, s3
	s_cbranch_execz .LBB350_283
; %bb.282:
	v_lshlrev_b32_e32 v1, 2, v0
	v_readfirstlane_b32 s6, v8
	v_readfirstlane_b32 s7, v9
	ds_load_b32 v1, v1 offset:2048
	s_wait_dscnt 0x0
	global_store_b32 v0, v1, s[6:7] offset:2048 scale_offset
.LBB350_283:
	s_wait_xcnt 0x0
	s_or_b32 exec_lo, exec_lo, s3
.LBB350_284:
	s_and_not1_saveexec_b32 s1, s1
	s_cbranch_execz .LBB350_286
; %bb.285:
	v_lshlrev_b32_e32 v1, 2, v0
	v_readfirstlane_b32 s6, v16
	v_readfirstlane_b32 s7, v17
	ds_load_b32 v1, v1 offset:2048
	s_wait_dscnt 0x0
	global_store_b32 v0, v1, s[6:7] offset:2048 scale_offset
.LBB350_286:
	s_wait_xcnt 0x0
	s_or_b32 exec_lo, exec_lo, s0
	v_or_b32_e32 v1, 0x300, v0
	s_mov_b32 s0, exec_lo
	s_delay_alu instid0(VALU_DEP_1)
	v_cmpx_gt_u32_e64 s5, v1
	s_cbranch_execz .LBB350_295
; %bb.287:
	s_mov_b32 s1, exec_lo
	v_cmpx_ge_u32_e64 v1, v6
	s_xor_b32 s1, exec_lo, s1
	s_cbranch_execz .LBB350_293
; %bb.288:
	s_mov_b32 s3, exec_lo
	v_cmpx_ge_u32_e64 v1, v18
	s_xor_b32 s3, exec_lo, s3
	s_cbranch_execz .LBB350_290
; %bb.289:
	v_dual_mov_b32 v1, 0 :: v_dual_lshlrev_b32 v19, 2, v0
	s_delay_alu instid0(VALU_DEP_1) | instskip(SKIP_2) | instid1(VALU_DEP_1)
	v_add_nc_u64_e32 v[20:21], v[14:15], v[0:1]
	ds_load_b32 v1, v19 offset:3072
	v_lshlrev_b64_e32 v[20:21], 2, v[20:21]
	v_sub_nc_u64_e32 v[20:21], s[14:15], v[20:21]
	s_wait_dscnt 0x0
	global_store_b32 v[20:21], v1, off offset:-3076
.LBB350_290:
	s_wait_xcnt 0x0
	s_and_not1_saveexec_b32 s3, s3
	s_cbranch_execz .LBB350_292
; %bb.291:
	v_lshlrev_b32_e32 v1, 2, v0
	v_readfirstlane_b32 s6, v8
	v_readfirstlane_b32 s7, v9
	ds_load_b32 v1, v1 offset:3072
	s_wait_dscnt 0x0
	global_store_b32 v0, v1, s[6:7] offset:3072 scale_offset
.LBB350_292:
	s_wait_xcnt 0x0
	s_or_b32 exec_lo, exec_lo, s3
.LBB350_293:
	s_and_not1_saveexec_b32 s1, s1
	s_cbranch_execz .LBB350_295
; %bb.294:
	v_lshlrev_b32_e32 v1, 2, v0
	v_readfirstlane_b32 s6, v16
	v_readfirstlane_b32 s7, v17
	ds_load_b32 v1, v1 offset:3072
	s_wait_dscnt 0x0
	global_store_b32 v0, v1, s[6:7] offset:3072 scale_offset
.LBB350_295:
	s_wait_xcnt 0x0
	s_or_b32 exec_lo, exec_lo, s0
	v_or_b32_e32 v1, 0x400, v0
	s_mov_b32 s0, exec_lo
	s_delay_alu instid0(VALU_DEP_1)
	v_cmpx_gt_u32_e64 s5, v1
	s_cbranch_execz .LBB350_304
; %bb.296:
	s_mov_b32 s1, exec_lo
	v_cmpx_ge_u32_e64 v1, v6
	s_xor_b32 s1, exec_lo, s1
	s_cbranch_execz .LBB350_302
; %bb.297:
	s_mov_b32 s3, exec_lo
	v_cmpx_ge_u32_e64 v1, v18
	s_xor_b32 s3, exec_lo, s3
	s_cbranch_execz .LBB350_299
; %bb.298:
	v_dual_mov_b32 v1, 0 :: v_dual_lshlrev_b32 v19, 2, v0
	s_delay_alu instid0(VALU_DEP_1) | instskip(SKIP_2) | instid1(VALU_DEP_1)
	v_add_nc_u64_e32 v[20:21], v[14:15], v[0:1]
	ds_load_b32 v1, v19 offset:4096
	v_lshlrev_b64_e32 v[20:21], 2, v[20:21]
	v_sub_nc_u64_e32 v[20:21], s[14:15], v[20:21]
	s_wait_dscnt 0x0
	global_store_b32 v[20:21], v1, off offset:-4100
.LBB350_299:
	s_wait_xcnt 0x0
	s_and_not1_saveexec_b32 s3, s3
	s_cbranch_execz .LBB350_301
; %bb.300:
	v_lshlrev_b32_e32 v1, 2, v0
	v_readfirstlane_b32 s6, v8
	v_readfirstlane_b32 s7, v9
	ds_load_b32 v1, v1 offset:4096
	s_wait_dscnt 0x0
	global_store_b32 v0, v1, s[6:7] offset:4096 scale_offset
.LBB350_301:
	s_wait_xcnt 0x0
	s_or_b32 exec_lo, exec_lo, s3
.LBB350_302:
	s_and_not1_saveexec_b32 s1, s1
	s_cbranch_execz .LBB350_304
; %bb.303:
	v_lshlrev_b32_e32 v1, 2, v0
	v_readfirstlane_b32 s6, v16
	v_readfirstlane_b32 s7, v17
	ds_load_b32 v1, v1 offset:4096
	s_wait_dscnt 0x0
	global_store_b32 v0, v1, s[6:7] offset:4096 scale_offset
.LBB350_304:
	s_wait_xcnt 0x0
	s_or_b32 exec_lo, exec_lo, s0
	v_or_b32_e32 v1, 0x500, v0
	s_mov_b32 s0, exec_lo
	s_delay_alu instid0(VALU_DEP_1)
	v_cmpx_gt_u32_e64 s5, v1
	s_cbranch_execz .LBB350_313
; %bb.305:
	s_mov_b32 s1, exec_lo
	v_cmpx_ge_u32_e64 v1, v6
	s_xor_b32 s1, exec_lo, s1
	s_cbranch_execz .LBB350_311
; %bb.306:
	s_mov_b32 s3, exec_lo
	v_cmpx_ge_u32_e64 v1, v18
	s_xor_b32 s3, exec_lo, s3
	s_cbranch_execz .LBB350_308
; %bb.307:
	v_dual_mov_b32 v1, 0 :: v_dual_lshlrev_b32 v19, 2, v0
	s_delay_alu instid0(VALU_DEP_1) | instskip(SKIP_2) | instid1(VALU_DEP_1)
	v_add_nc_u64_e32 v[20:21], v[14:15], v[0:1]
	ds_load_b32 v1, v19 offset:5120
	v_lshlrev_b64_e32 v[20:21], 2, v[20:21]
	v_sub_nc_u64_e32 v[20:21], s[14:15], v[20:21]
	s_wait_dscnt 0x0
	global_store_b32 v[20:21], v1, off offset:-5124
.LBB350_308:
	s_wait_xcnt 0x0
	s_and_not1_saveexec_b32 s3, s3
	s_cbranch_execz .LBB350_310
; %bb.309:
	v_lshlrev_b32_e32 v1, 2, v0
	v_readfirstlane_b32 s6, v8
	v_readfirstlane_b32 s7, v9
	ds_load_b32 v1, v1 offset:5120
	s_wait_dscnt 0x0
	global_store_b32 v0, v1, s[6:7] offset:5120 scale_offset
.LBB350_310:
	s_wait_xcnt 0x0
	s_or_b32 exec_lo, exec_lo, s3
.LBB350_311:
	s_and_not1_saveexec_b32 s1, s1
	s_cbranch_execz .LBB350_313
; %bb.312:
	v_lshlrev_b32_e32 v1, 2, v0
	v_readfirstlane_b32 s6, v16
	v_readfirstlane_b32 s7, v17
	ds_load_b32 v1, v1 offset:5120
	s_wait_dscnt 0x0
	global_store_b32 v0, v1, s[6:7] offset:5120 scale_offset
.LBB350_313:
	s_wait_xcnt 0x0
	s_or_b32 exec_lo, exec_lo, s0
	v_or_b32_e32 v1, 0x600, v0
	s_mov_b32 s0, exec_lo
	s_delay_alu instid0(VALU_DEP_1)
	v_cmpx_gt_u32_e64 s5, v1
	s_cbranch_execz .LBB350_322
; %bb.314:
	s_mov_b32 s1, exec_lo
	v_cmpx_ge_u32_e64 v1, v6
	s_xor_b32 s1, exec_lo, s1
	s_cbranch_execz .LBB350_320
; %bb.315:
	s_mov_b32 s3, exec_lo
	v_cmpx_ge_u32_e64 v1, v18
	s_xor_b32 s3, exec_lo, s3
	s_cbranch_execz .LBB350_317
; %bb.316:
	v_dual_mov_b32 v1, 0 :: v_dual_lshlrev_b32 v19, 2, v0
	s_delay_alu instid0(VALU_DEP_1) | instskip(SKIP_2) | instid1(VALU_DEP_1)
	v_add_nc_u64_e32 v[20:21], v[14:15], v[0:1]
	ds_load_b32 v1, v19 offset:6144
	v_lshlrev_b64_e32 v[20:21], 2, v[20:21]
	v_sub_nc_u64_e32 v[20:21], s[14:15], v[20:21]
	s_wait_dscnt 0x0
	global_store_b32 v[20:21], v1, off offset:-6148
.LBB350_317:
	s_wait_xcnt 0x0
	s_and_not1_saveexec_b32 s3, s3
	s_cbranch_execz .LBB350_319
; %bb.318:
	v_lshlrev_b32_e32 v1, 2, v0
	v_readfirstlane_b32 s6, v8
	v_readfirstlane_b32 s7, v9
	ds_load_b32 v1, v1 offset:6144
	s_wait_dscnt 0x0
	global_store_b32 v0, v1, s[6:7] offset:6144 scale_offset
.LBB350_319:
	s_wait_xcnt 0x0
	s_or_b32 exec_lo, exec_lo, s3
.LBB350_320:
	s_and_not1_saveexec_b32 s1, s1
	s_cbranch_execz .LBB350_322
; %bb.321:
	v_lshlrev_b32_e32 v1, 2, v0
	v_readfirstlane_b32 s6, v16
	v_readfirstlane_b32 s7, v17
	ds_load_b32 v1, v1 offset:6144
	s_wait_dscnt 0x0
	global_store_b32 v0, v1, s[6:7] offset:6144 scale_offset
.LBB350_322:
	s_wait_xcnt 0x0
	s_or_b32 exec_lo, exec_lo, s0
	v_or_b32_e32 v1, 0x700, v0
	s_mov_b32 s0, exec_lo
	s_delay_alu instid0(VALU_DEP_1)
	v_cmpx_gt_u32_e64 s5, v1
	s_cbranch_execz .LBB350_331
; %bb.323:
	s_mov_b32 s1, exec_lo
	v_cmpx_ge_u32_e64 v1, v6
	s_xor_b32 s1, exec_lo, s1
	s_cbranch_execz .LBB350_329
; %bb.324:
	s_mov_b32 s3, exec_lo
	v_cmpx_ge_u32_e64 v1, v18
	s_xor_b32 s3, exec_lo, s3
	s_cbranch_execz .LBB350_326
; %bb.325:
	v_dual_mov_b32 v1, 0 :: v_dual_lshlrev_b32 v19, 2, v0
	s_delay_alu instid0(VALU_DEP_1) | instskip(SKIP_2) | instid1(VALU_DEP_1)
	v_add_nc_u64_e32 v[20:21], v[14:15], v[0:1]
	ds_load_b32 v1, v19 offset:7168
	v_lshlrev_b64_e32 v[20:21], 2, v[20:21]
	v_sub_nc_u64_e32 v[20:21], s[14:15], v[20:21]
	s_wait_dscnt 0x0
	global_store_b32 v[20:21], v1, off offset:-7172
.LBB350_326:
	s_wait_xcnt 0x0
	s_and_not1_saveexec_b32 s3, s3
	s_cbranch_execz .LBB350_328
; %bb.327:
	v_lshlrev_b32_e32 v1, 2, v0
	v_readfirstlane_b32 s6, v8
	v_readfirstlane_b32 s7, v9
	ds_load_b32 v1, v1 offset:7168
	s_wait_dscnt 0x0
	global_store_b32 v0, v1, s[6:7] offset:7168 scale_offset
.LBB350_328:
	s_wait_xcnt 0x0
	s_or_b32 exec_lo, exec_lo, s3
.LBB350_329:
	s_and_not1_saveexec_b32 s1, s1
	s_cbranch_execz .LBB350_331
; %bb.330:
	v_lshlrev_b32_e32 v1, 2, v0
	v_readfirstlane_b32 s6, v16
	v_readfirstlane_b32 s7, v17
	ds_load_b32 v1, v1 offset:7168
	s_wait_dscnt 0x0
	global_store_b32 v0, v1, s[6:7] offset:7168 scale_offset
.LBB350_331:
	s_wait_xcnt 0x0
	s_or_b32 exec_lo, exec_lo, s0
	v_or_b32_e32 v1, 0x800, v0
	s_mov_b32 s0, exec_lo
	s_delay_alu instid0(VALU_DEP_1)
	v_cmpx_gt_u32_e64 s5, v1
	s_cbranch_execz .LBB350_340
; %bb.332:
	s_mov_b32 s1, exec_lo
	v_cmpx_ge_u32_e64 v1, v6
	s_xor_b32 s1, exec_lo, s1
	s_cbranch_execz .LBB350_338
; %bb.333:
	s_mov_b32 s3, exec_lo
	v_cmpx_ge_u32_e64 v1, v18
	s_xor_b32 s3, exec_lo, s3
	s_cbranch_execz .LBB350_335
; %bb.334:
	v_dual_mov_b32 v1, 0 :: v_dual_lshlrev_b32 v19, 2, v0
	s_delay_alu instid0(VALU_DEP_1) | instskip(SKIP_2) | instid1(VALU_DEP_1)
	v_add_nc_u64_e32 v[20:21], v[14:15], v[0:1]
	ds_load_b32 v1, v19 offset:8192
	v_lshlrev_b64_e32 v[20:21], 2, v[20:21]
	v_sub_nc_u64_e32 v[20:21], s[14:15], v[20:21]
	s_wait_dscnt 0x0
	global_store_b32 v[20:21], v1, off offset:-8196
.LBB350_335:
	s_wait_xcnt 0x0
	s_and_not1_saveexec_b32 s3, s3
	s_cbranch_execz .LBB350_337
; %bb.336:
	v_lshlrev_b32_e32 v1, 2, v0
	v_readfirstlane_b32 s6, v8
	v_readfirstlane_b32 s7, v9
	ds_load_b32 v1, v1 offset:8192
	s_wait_dscnt 0x0
	global_store_b32 v0, v1, s[6:7] offset:8192 scale_offset
.LBB350_337:
	s_wait_xcnt 0x0
	s_or_b32 exec_lo, exec_lo, s3
.LBB350_338:
	s_and_not1_saveexec_b32 s1, s1
	s_cbranch_execz .LBB350_340
; %bb.339:
	v_lshlrev_b32_e32 v1, 2, v0
	v_readfirstlane_b32 s6, v16
	v_readfirstlane_b32 s7, v17
	ds_load_b32 v1, v1 offset:8192
	s_wait_dscnt 0x0
	global_store_b32 v0, v1, s[6:7] offset:8192 scale_offset
.LBB350_340:
	s_wait_xcnt 0x0
	s_or_b32 exec_lo, exec_lo, s0
	v_or_b32_e32 v1, 0x900, v0
	s_mov_b32 s0, exec_lo
	s_delay_alu instid0(VALU_DEP_1)
	v_cmpx_gt_u32_e64 s5, v1
	s_cbranch_execz .LBB350_349
; %bb.341:
	s_mov_b32 s1, exec_lo
	v_cmpx_ge_u32_e64 v1, v6
	s_xor_b32 s1, exec_lo, s1
	s_cbranch_execz .LBB350_347
; %bb.342:
	s_mov_b32 s3, exec_lo
	v_cmpx_ge_u32_e64 v1, v18
	s_xor_b32 s3, exec_lo, s3
	s_cbranch_execz .LBB350_344
; %bb.343:
	v_dual_mov_b32 v1, 0 :: v_dual_lshlrev_b32 v19, 2, v0
	s_delay_alu instid0(VALU_DEP_1) | instskip(SKIP_2) | instid1(VALU_DEP_1)
	v_add_nc_u64_e32 v[20:21], v[14:15], v[0:1]
	ds_load_b32 v1, v19 offset:9216
	v_lshlrev_b64_e32 v[20:21], 2, v[20:21]
	v_sub_nc_u64_e32 v[20:21], s[14:15], v[20:21]
	s_wait_dscnt 0x0
	global_store_b32 v[20:21], v1, off offset:-9220
.LBB350_344:
	s_wait_xcnt 0x0
	s_and_not1_saveexec_b32 s3, s3
	s_cbranch_execz .LBB350_346
; %bb.345:
	v_lshlrev_b32_e32 v1, 2, v0
	v_readfirstlane_b32 s6, v8
	v_readfirstlane_b32 s7, v9
	ds_load_b32 v1, v1 offset:9216
	s_wait_dscnt 0x0
	global_store_b32 v0, v1, s[6:7] offset:9216 scale_offset
.LBB350_346:
	s_wait_xcnt 0x0
	s_or_b32 exec_lo, exec_lo, s3
.LBB350_347:
	s_and_not1_saveexec_b32 s1, s1
	s_cbranch_execz .LBB350_349
; %bb.348:
	v_lshlrev_b32_e32 v1, 2, v0
	v_readfirstlane_b32 s6, v16
	v_readfirstlane_b32 s7, v17
	ds_load_b32 v1, v1 offset:9216
	s_wait_dscnt 0x0
	global_store_b32 v0, v1, s[6:7] offset:9216 scale_offset
.LBB350_349:
	s_wait_xcnt 0x0
	s_or_b32 exec_lo, exec_lo, s0
	v_or_b32_e32 v1, 0xa00, v0
	s_mov_b32 s0, exec_lo
	s_delay_alu instid0(VALU_DEP_1)
	v_cmpx_gt_u32_e64 s5, v1
	s_cbranch_execz .LBB350_358
; %bb.350:
	s_mov_b32 s1, exec_lo
	v_cmpx_ge_u32_e64 v1, v6
	s_xor_b32 s1, exec_lo, s1
	s_cbranch_execz .LBB350_356
; %bb.351:
	s_mov_b32 s3, exec_lo
	v_cmpx_ge_u32_e64 v1, v18
	s_xor_b32 s3, exec_lo, s3
	s_cbranch_execz .LBB350_353
; %bb.352:
	v_dual_mov_b32 v1, 0 :: v_dual_lshlrev_b32 v19, 2, v0
	s_delay_alu instid0(VALU_DEP_1) | instskip(SKIP_2) | instid1(VALU_DEP_1)
	v_add_nc_u64_e32 v[20:21], v[14:15], v[0:1]
	ds_load_b32 v1, v19 offset:10240
	v_lshlrev_b64_e32 v[20:21], 2, v[20:21]
	v_sub_nc_u64_e32 v[20:21], s[14:15], v[20:21]
	s_wait_dscnt 0x0
	global_store_b32 v[20:21], v1, off offset:-10244
.LBB350_353:
	s_wait_xcnt 0x0
	s_and_not1_saveexec_b32 s3, s3
	s_cbranch_execz .LBB350_355
; %bb.354:
	v_lshlrev_b32_e32 v1, 2, v0
	v_readfirstlane_b32 s6, v8
	v_readfirstlane_b32 s7, v9
	ds_load_b32 v1, v1 offset:10240
	s_wait_dscnt 0x0
	global_store_b32 v0, v1, s[6:7] offset:10240 scale_offset
.LBB350_355:
	s_wait_xcnt 0x0
	s_or_b32 exec_lo, exec_lo, s3
.LBB350_356:
	s_and_not1_saveexec_b32 s1, s1
	s_cbranch_execz .LBB350_358
; %bb.357:
	v_lshlrev_b32_e32 v1, 2, v0
	v_readfirstlane_b32 s6, v16
	v_readfirstlane_b32 s7, v17
	ds_load_b32 v1, v1 offset:10240
	s_wait_dscnt 0x0
	global_store_b32 v0, v1, s[6:7] offset:10240 scale_offset
.LBB350_358:
	s_wait_xcnt 0x0
	s_or_b32 exec_lo, exec_lo, s0
	v_or_b32_e32 v1, 0xb00, v0
	s_mov_b32 s0, exec_lo
	s_delay_alu instid0(VALU_DEP_1)
	v_cmpx_gt_u32_e64 s5, v1
	s_cbranch_execz .LBB350_367
; %bb.359:
	s_mov_b32 s1, exec_lo
	v_cmpx_ge_u32_e64 v1, v6
	s_xor_b32 s1, exec_lo, s1
	s_cbranch_execz .LBB350_365
; %bb.360:
	s_mov_b32 s3, exec_lo
	v_cmpx_ge_u32_e64 v1, v18
	s_xor_b32 s3, exec_lo, s3
	s_cbranch_execz .LBB350_362
; %bb.361:
	v_dual_mov_b32 v1, 0 :: v_dual_lshlrev_b32 v19, 2, v0
	s_delay_alu instid0(VALU_DEP_1) | instskip(SKIP_2) | instid1(VALU_DEP_1)
	v_add_nc_u64_e32 v[20:21], v[14:15], v[0:1]
	ds_load_b32 v1, v19 offset:11264
	v_lshlrev_b64_e32 v[20:21], 2, v[20:21]
	v_sub_nc_u64_e32 v[20:21], s[14:15], v[20:21]
	s_wait_dscnt 0x0
	global_store_b32 v[20:21], v1, off offset:-11268
.LBB350_362:
	s_wait_xcnt 0x0
	s_and_not1_saveexec_b32 s3, s3
	s_cbranch_execz .LBB350_364
; %bb.363:
	v_lshlrev_b32_e32 v1, 2, v0
	v_readfirstlane_b32 s6, v8
	v_readfirstlane_b32 s7, v9
	ds_load_b32 v1, v1 offset:11264
	s_wait_dscnt 0x0
	global_store_b32 v0, v1, s[6:7] offset:11264 scale_offset
.LBB350_364:
	s_wait_xcnt 0x0
	s_or_b32 exec_lo, exec_lo, s3
.LBB350_365:
	s_and_not1_saveexec_b32 s1, s1
	s_cbranch_execz .LBB350_367
; %bb.366:
	v_lshlrev_b32_e32 v1, 2, v0
	v_readfirstlane_b32 s6, v16
	v_readfirstlane_b32 s7, v17
	ds_load_b32 v1, v1 offset:11264
	s_wait_dscnt 0x0
	global_store_b32 v0, v1, s[6:7] offset:11264 scale_offset
.LBB350_367:
	s_wait_xcnt 0x0
	s_or_b32 exec_lo, exec_lo, s0
	v_or_b32_e32 v1, 0xc00, v0
	s_mov_b32 s0, exec_lo
	s_delay_alu instid0(VALU_DEP_1)
	v_cmpx_gt_u32_e64 s5, v1
	s_cbranch_execz .LBB350_376
; %bb.368:
	s_mov_b32 s1, exec_lo
	v_cmpx_ge_u32_e64 v1, v6
	s_xor_b32 s1, exec_lo, s1
	s_cbranch_execz .LBB350_374
; %bb.369:
	s_mov_b32 s3, exec_lo
	v_cmpx_ge_u32_e64 v1, v18
	s_xor_b32 s3, exec_lo, s3
	s_cbranch_execz .LBB350_371
; %bb.370:
	v_dual_mov_b32 v1, 0 :: v_dual_lshlrev_b32 v8, 2, v0
	s_delay_alu instid0(VALU_DEP_1) | instskip(SKIP_2) | instid1(VALU_DEP_1)
	v_add_nc_u64_e32 v[0:1], v[14:15], v[0:1]
	ds_load_b32 v8, v8 offset:12288
	v_lshlrev_b64_e32 v[0:1], 2, v[0:1]
	v_sub_nc_u64_e32 v[0:1], s[14:15], v[0:1]
	s_wait_dscnt 0x0
	global_store_b32 v[0:1], v8, off offset:-12292
                                        ; implicit-def: $vgpr0
                                        ; implicit-def: $vgpr8_vgpr9
.LBB350_371:
	s_wait_xcnt 0x0
	s_and_not1_saveexec_b32 s3, s3
	s_cbranch_execz .LBB350_373
; %bb.372:
	v_lshlrev_b32_e32 v1, 2, v0
	v_readfirstlane_b32 s4, v8
	v_readfirstlane_b32 s5, v9
	ds_load_b32 v1, v1 offset:12288
	s_wait_dscnt 0x0
	global_store_b32 v0, v1, s[4:5] offset:12288 scale_offset
.LBB350_373:
	s_wait_xcnt 0x0
	s_or_b32 exec_lo, exec_lo, s3
                                        ; implicit-def: $vgpr0
                                        ; implicit-def: $vgpr16_vgpr17
.LBB350_374:
	s_and_not1_saveexec_b32 s1, s1
	s_cbranch_execz .LBB350_376
; %bb.375:
	v_lshlrev_b32_e32 v1, 2, v0
	v_readfirstlane_b32 s4, v16
	v_readfirstlane_b32 s5, v17
	ds_load_b32 v1, v1 offset:12288
	s_wait_dscnt 0x0
	global_store_b32 v0, v1, s[4:5] offset:12288 scale_offset
.LBB350_376:
	s_wait_xcnt 0x0
	s_or_b32 exec_lo, exec_lo, s0
	s_and_b32 s0, s2, s26
	s_delay_alu instid0(SALU_CYCLE_1)
	s_and_saveexec_b32 s1, s0
	s_cbranch_execz .LBB350_153
.LBB350_377:
	v_add_nc_u64_e32 v[0:1], v[4:5], v[12:13]
	v_add_nc_u64_e32 v[2:3], v[2:3], v[6:7]
	s_delay_alu instid0(VALU_DEP_2)
	v_add_nc_u64_e32 v[4:5], v[0:1], v[10:11]
	v_mov_b32_e32 v0, 0
	global_store_b128 v0, v[2:5], s[24:25]
	s_sendmsg sendmsg(MSG_DEALLOC_VGPRS)
	s_endpgm
	.section	.rodata,"a",@progbits
	.p2align	6, 0x0
	.amdhsa_kernel _ZN7rocprim17ROCPRIM_400000_NS6detail17trampoline_kernelINS0_13select_configILj256ELj13ELNS0_17block_load_methodE3ELS4_3ELS4_3ELNS0_20block_scan_algorithmE0ELj4294967295EEENS1_25partition_config_selectorILNS1_17partition_subalgoE4EjNS0_10empty_typeEbEEZZNS1_14partition_implILS8_4ELb0ES6_15HIP_vector_typeIjLj2EENS0_17counting_iteratorIjlEEPS9_SG_NS0_5tupleIJPjSI_NS0_16reverse_iteratorISI_EEEEENSH_IJSG_SG_SG_EEES9_SI_JZNS1_25segmented_radix_sort_implINS0_14default_configELb0EPKaPaPKlPlN2at6native12_GLOBAL__N_18offset_tEEE10hipError_tPvRmT1_PNSt15iterator_traitsIS12_E10value_typeET2_T3_PNS13_IS18_E10value_typeET4_jRbjT5_S1E_jjP12ihipStream_tbEUljE_ZNSN_ISO_Lb0ESQ_SR_ST_SU_SY_EESZ_S10_S11_S12_S16_S17_S18_S1B_S1C_jS1D_jS1E_S1E_jjS1G_bEUljE0_EEESZ_S10_S11_S18_S1C_S1E_T6_T7_T9_mT8_S1G_bDpT10_ENKUlT_T0_E_clISt17integral_constantIbLb0EES1T_IbLb1EEEEDaS1P_S1Q_EUlS1P_E_NS1_11comp_targetILNS1_3genE0ELNS1_11target_archE4294967295ELNS1_3gpuE0ELNS1_3repE0EEENS1_30default_config_static_selectorELNS0_4arch9wavefront6targetE0EEEvS12_
		.amdhsa_group_segment_fixed_size 13328
		.amdhsa_private_segment_fixed_size 0
		.amdhsa_kernarg_size 184
		.amdhsa_user_sgpr_count 2
		.amdhsa_user_sgpr_dispatch_ptr 0
		.amdhsa_user_sgpr_queue_ptr 0
		.amdhsa_user_sgpr_kernarg_segment_ptr 1
		.amdhsa_user_sgpr_dispatch_id 0
		.amdhsa_user_sgpr_kernarg_preload_length 0
		.amdhsa_user_sgpr_kernarg_preload_offset 0
		.amdhsa_user_sgpr_private_segment_size 0
		.amdhsa_wavefront_size32 1
		.amdhsa_uses_dynamic_stack 0
		.amdhsa_enable_private_segment 0
		.amdhsa_system_sgpr_workgroup_id_x 1
		.amdhsa_system_sgpr_workgroup_id_y 0
		.amdhsa_system_sgpr_workgroup_id_z 0
		.amdhsa_system_sgpr_workgroup_info 0
		.amdhsa_system_vgpr_workitem_id 0
		.amdhsa_next_free_vgpr 86
		.amdhsa_next_free_sgpr 55
		.amdhsa_named_barrier_count 0
		.amdhsa_reserve_vcc 1
		.amdhsa_float_round_mode_32 0
		.amdhsa_float_round_mode_16_64 0
		.amdhsa_float_denorm_mode_32 3
		.amdhsa_float_denorm_mode_16_64 3
		.amdhsa_fp16_overflow 0
		.amdhsa_memory_ordered 1
		.amdhsa_forward_progress 1
		.amdhsa_inst_pref_size 140
		.amdhsa_round_robin_scheduling 0
		.amdhsa_exception_fp_ieee_invalid_op 0
		.amdhsa_exception_fp_denorm_src 0
		.amdhsa_exception_fp_ieee_div_zero 0
		.amdhsa_exception_fp_ieee_overflow 0
		.amdhsa_exception_fp_ieee_underflow 0
		.amdhsa_exception_fp_ieee_inexact 0
		.amdhsa_exception_int_div_zero 0
	.end_amdhsa_kernel
	.section	.text._ZN7rocprim17ROCPRIM_400000_NS6detail17trampoline_kernelINS0_13select_configILj256ELj13ELNS0_17block_load_methodE3ELS4_3ELS4_3ELNS0_20block_scan_algorithmE0ELj4294967295EEENS1_25partition_config_selectorILNS1_17partition_subalgoE4EjNS0_10empty_typeEbEEZZNS1_14partition_implILS8_4ELb0ES6_15HIP_vector_typeIjLj2EENS0_17counting_iteratorIjlEEPS9_SG_NS0_5tupleIJPjSI_NS0_16reverse_iteratorISI_EEEEENSH_IJSG_SG_SG_EEES9_SI_JZNS1_25segmented_radix_sort_implINS0_14default_configELb0EPKaPaPKlPlN2at6native12_GLOBAL__N_18offset_tEEE10hipError_tPvRmT1_PNSt15iterator_traitsIS12_E10value_typeET2_T3_PNS13_IS18_E10value_typeET4_jRbjT5_S1E_jjP12ihipStream_tbEUljE_ZNSN_ISO_Lb0ESQ_SR_ST_SU_SY_EESZ_S10_S11_S12_S16_S17_S18_S1B_S1C_jS1D_jS1E_S1E_jjS1G_bEUljE0_EEESZ_S10_S11_S18_S1C_S1E_T6_T7_T9_mT8_S1G_bDpT10_ENKUlT_T0_E_clISt17integral_constantIbLb0EES1T_IbLb1EEEEDaS1P_S1Q_EUlS1P_E_NS1_11comp_targetILNS1_3genE0ELNS1_11target_archE4294967295ELNS1_3gpuE0ELNS1_3repE0EEENS1_30default_config_static_selectorELNS0_4arch9wavefront6targetE0EEEvS12_,"axG",@progbits,_ZN7rocprim17ROCPRIM_400000_NS6detail17trampoline_kernelINS0_13select_configILj256ELj13ELNS0_17block_load_methodE3ELS4_3ELS4_3ELNS0_20block_scan_algorithmE0ELj4294967295EEENS1_25partition_config_selectorILNS1_17partition_subalgoE4EjNS0_10empty_typeEbEEZZNS1_14partition_implILS8_4ELb0ES6_15HIP_vector_typeIjLj2EENS0_17counting_iteratorIjlEEPS9_SG_NS0_5tupleIJPjSI_NS0_16reverse_iteratorISI_EEEEENSH_IJSG_SG_SG_EEES9_SI_JZNS1_25segmented_radix_sort_implINS0_14default_configELb0EPKaPaPKlPlN2at6native12_GLOBAL__N_18offset_tEEE10hipError_tPvRmT1_PNSt15iterator_traitsIS12_E10value_typeET2_T3_PNS13_IS18_E10value_typeET4_jRbjT5_S1E_jjP12ihipStream_tbEUljE_ZNSN_ISO_Lb0ESQ_SR_ST_SU_SY_EESZ_S10_S11_S12_S16_S17_S18_S1B_S1C_jS1D_jS1E_S1E_jjS1G_bEUljE0_EEESZ_S10_S11_S18_S1C_S1E_T6_T7_T9_mT8_S1G_bDpT10_ENKUlT_T0_E_clISt17integral_constantIbLb0EES1T_IbLb1EEEEDaS1P_S1Q_EUlS1P_E_NS1_11comp_targetILNS1_3genE0ELNS1_11target_archE4294967295ELNS1_3gpuE0ELNS1_3repE0EEENS1_30default_config_static_selectorELNS0_4arch9wavefront6targetE0EEEvS12_,comdat
.Lfunc_end350:
	.size	_ZN7rocprim17ROCPRIM_400000_NS6detail17trampoline_kernelINS0_13select_configILj256ELj13ELNS0_17block_load_methodE3ELS4_3ELS4_3ELNS0_20block_scan_algorithmE0ELj4294967295EEENS1_25partition_config_selectorILNS1_17partition_subalgoE4EjNS0_10empty_typeEbEEZZNS1_14partition_implILS8_4ELb0ES6_15HIP_vector_typeIjLj2EENS0_17counting_iteratorIjlEEPS9_SG_NS0_5tupleIJPjSI_NS0_16reverse_iteratorISI_EEEEENSH_IJSG_SG_SG_EEES9_SI_JZNS1_25segmented_radix_sort_implINS0_14default_configELb0EPKaPaPKlPlN2at6native12_GLOBAL__N_18offset_tEEE10hipError_tPvRmT1_PNSt15iterator_traitsIS12_E10value_typeET2_T3_PNS13_IS18_E10value_typeET4_jRbjT5_S1E_jjP12ihipStream_tbEUljE_ZNSN_ISO_Lb0ESQ_SR_ST_SU_SY_EESZ_S10_S11_S12_S16_S17_S18_S1B_S1C_jS1D_jS1E_S1E_jjS1G_bEUljE0_EEESZ_S10_S11_S18_S1C_S1E_T6_T7_T9_mT8_S1G_bDpT10_ENKUlT_T0_E_clISt17integral_constantIbLb0EES1T_IbLb1EEEEDaS1P_S1Q_EUlS1P_E_NS1_11comp_targetILNS1_3genE0ELNS1_11target_archE4294967295ELNS1_3gpuE0ELNS1_3repE0EEENS1_30default_config_static_selectorELNS0_4arch9wavefront6targetE0EEEvS12_, .Lfunc_end350-_ZN7rocprim17ROCPRIM_400000_NS6detail17trampoline_kernelINS0_13select_configILj256ELj13ELNS0_17block_load_methodE3ELS4_3ELS4_3ELNS0_20block_scan_algorithmE0ELj4294967295EEENS1_25partition_config_selectorILNS1_17partition_subalgoE4EjNS0_10empty_typeEbEEZZNS1_14partition_implILS8_4ELb0ES6_15HIP_vector_typeIjLj2EENS0_17counting_iteratorIjlEEPS9_SG_NS0_5tupleIJPjSI_NS0_16reverse_iteratorISI_EEEEENSH_IJSG_SG_SG_EEES9_SI_JZNS1_25segmented_radix_sort_implINS0_14default_configELb0EPKaPaPKlPlN2at6native12_GLOBAL__N_18offset_tEEE10hipError_tPvRmT1_PNSt15iterator_traitsIS12_E10value_typeET2_T3_PNS13_IS18_E10value_typeET4_jRbjT5_S1E_jjP12ihipStream_tbEUljE_ZNSN_ISO_Lb0ESQ_SR_ST_SU_SY_EESZ_S10_S11_S12_S16_S17_S18_S1B_S1C_jS1D_jS1E_S1E_jjS1G_bEUljE0_EEESZ_S10_S11_S18_S1C_S1E_T6_T7_T9_mT8_S1G_bDpT10_ENKUlT_T0_E_clISt17integral_constantIbLb0EES1T_IbLb1EEEEDaS1P_S1Q_EUlS1P_E_NS1_11comp_targetILNS1_3genE0ELNS1_11target_archE4294967295ELNS1_3gpuE0ELNS1_3repE0EEENS1_30default_config_static_selectorELNS0_4arch9wavefront6targetE0EEEvS12_
                                        ; -- End function
	.set _ZN7rocprim17ROCPRIM_400000_NS6detail17trampoline_kernelINS0_13select_configILj256ELj13ELNS0_17block_load_methodE3ELS4_3ELS4_3ELNS0_20block_scan_algorithmE0ELj4294967295EEENS1_25partition_config_selectorILNS1_17partition_subalgoE4EjNS0_10empty_typeEbEEZZNS1_14partition_implILS8_4ELb0ES6_15HIP_vector_typeIjLj2EENS0_17counting_iteratorIjlEEPS9_SG_NS0_5tupleIJPjSI_NS0_16reverse_iteratorISI_EEEEENSH_IJSG_SG_SG_EEES9_SI_JZNS1_25segmented_radix_sort_implINS0_14default_configELb0EPKaPaPKlPlN2at6native12_GLOBAL__N_18offset_tEEE10hipError_tPvRmT1_PNSt15iterator_traitsIS12_E10value_typeET2_T3_PNS13_IS18_E10value_typeET4_jRbjT5_S1E_jjP12ihipStream_tbEUljE_ZNSN_ISO_Lb0ESQ_SR_ST_SU_SY_EESZ_S10_S11_S12_S16_S17_S18_S1B_S1C_jS1D_jS1E_S1E_jjS1G_bEUljE0_EEESZ_S10_S11_S18_S1C_S1E_T6_T7_T9_mT8_S1G_bDpT10_ENKUlT_T0_E_clISt17integral_constantIbLb0EES1T_IbLb1EEEEDaS1P_S1Q_EUlS1P_E_NS1_11comp_targetILNS1_3genE0ELNS1_11target_archE4294967295ELNS1_3gpuE0ELNS1_3repE0EEENS1_30default_config_static_selectorELNS0_4arch9wavefront6targetE0EEEvS12_.num_vgpr, 86
	.set _ZN7rocprim17ROCPRIM_400000_NS6detail17trampoline_kernelINS0_13select_configILj256ELj13ELNS0_17block_load_methodE3ELS4_3ELS4_3ELNS0_20block_scan_algorithmE0ELj4294967295EEENS1_25partition_config_selectorILNS1_17partition_subalgoE4EjNS0_10empty_typeEbEEZZNS1_14partition_implILS8_4ELb0ES6_15HIP_vector_typeIjLj2EENS0_17counting_iteratorIjlEEPS9_SG_NS0_5tupleIJPjSI_NS0_16reverse_iteratorISI_EEEEENSH_IJSG_SG_SG_EEES9_SI_JZNS1_25segmented_radix_sort_implINS0_14default_configELb0EPKaPaPKlPlN2at6native12_GLOBAL__N_18offset_tEEE10hipError_tPvRmT1_PNSt15iterator_traitsIS12_E10value_typeET2_T3_PNS13_IS18_E10value_typeET4_jRbjT5_S1E_jjP12ihipStream_tbEUljE_ZNSN_ISO_Lb0ESQ_SR_ST_SU_SY_EESZ_S10_S11_S12_S16_S17_S18_S1B_S1C_jS1D_jS1E_S1E_jjS1G_bEUljE0_EEESZ_S10_S11_S18_S1C_S1E_T6_T7_T9_mT8_S1G_bDpT10_ENKUlT_T0_E_clISt17integral_constantIbLb0EES1T_IbLb1EEEEDaS1P_S1Q_EUlS1P_E_NS1_11comp_targetILNS1_3genE0ELNS1_11target_archE4294967295ELNS1_3gpuE0ELNS1_3repE0EEENS1_30default_config_static_selectorELNS0_4arch9wavefront6targetE0EEEvS12_.num_agpr, 0
	.set _ZN7rocprim17ROCPRIM_400000_NS6detail17trampoline_kernelINS0_13select_configILj256ELj13ELNS0_17block_load_methodE3ELS4_3ELS4_3ELNS0_20block_scan_algorithmE0ELj4294967295EEENS1_25partition_config_selectorILNS1_17partition_subalgoE4EjNS0_10empty_typeEbEEZZNS1_14partition_implILS8_4ELb0ES6_15HIP_vector_typeIjLj2EENS0_17counting_iteratorIjlEEPS9_SG_NS0_5tupleIJPjSI_NS0_16reverse_iteratorISI_EEEEENSH_IJSG_SG_SG_EEES9_SI_JZNS1_25segmented_radix_sort_implINS0_14default_configELb0EPKaPaPKlPlN2at6native12_GLOBAL__N_18offset_tEEE10hipError_tPvRmT1_PNSt15iterator_traitsIS12_E10value_typeET2_T3_PNS13_IS18_E10value_typeET4_jRbjT5_S1E_jjP12ihipStream_tbEUljE_ZNSN_ISO_Lb0ESQ_SR_ST_SU_SY_EESZ_S10_S11_S12_S16_S17_S18_S1B_S1C_jS1D_jS1E_S1E_jjS1G_bEUljE0_EEESZ_S10_S11_S18_S1C_S1E_T6_T7_T9_mT8_S1G_bDpT10_ENKUlT_T0_E_clISt17integral_constantIbLb0EES1T_IbLb1EEEEDaS1P_S1Q_EUlS1P_E_NS1_11comp_targetILNS1_3genE0ELNS1_11target_archE4294967295ELNS1_3gpuE0ELNS1_3repE0EEENS1_30default_config_static_selectorELNS0_4arch9wavefront6targetE0EEEvS12_.numbered_sgpr, 55
	.set _ZN7rocprim17ROCPRIM_400000_NS6detail17trampoline_kernelINS0_13select_configILj256ELj13ELNS0_17block_load_methodE3ELS4_3ELS4_3ELNS0_20block_scan_algorithmE0ELj4294967295EEENS1_25partition_config_selectorILNS1_17partition_subalgoE4EjNS0_10empty_typeEbEEZZNS1_14partition_implILS8_4ELb0ES6_15HIP_vector_typeIjLj2EENS0_17counting_iteratorIjlEEPS9_SG_NS0_5tupleIJPjSI_NS0_16reverse_iteratorISI_EEEEENSH_IJSG_SG_SG_EEES9_SI_JZNS1_25segmented_radix_sort_implINS0_14default_configELb0EPKaPaPKlPlN2at6native12_GLOBAL__N_18offset_tEEE10hipError_tPvRmT1_PNSt15iterator_traitsIS12_E10value_typeET2_T3_PNS13_IS18_E10value_typeET4_jRbjT5_S1E_jjP12ihipStream_tbEUljE_ZNSN_ISO_Lb0ESQ_SR_ST_SU_SY_EESZ_S10_S11_S12_S16_S17_S18_S1B_S1C_jS1D_jS1E_S1E_jjS1G_bEUljE0_EEESZ_S10_S11_S18_S1C_S1E_T6_T7_T9_mT8_S1G_bDpT10_ENKUlT_T0_E_clISt17integral_constantIbLb0EES1T_IbLb1EEEEDaS1P_S1Q_EUlS1P_E_NS1_11comp_targetILNS1_3genE0ELNS1_11target_archE4294967295ELNS1_3gpuE0ELNS1_3repE0EEENS1_30default_config_static_selectorELNS0_4arch9wavefront6targetE0EEEvS12_.num_named_barrier, 0
	.set _ZN7rocprim17ROCPRIM_400000_NS6detail17trampoline_kernelINS0_13select_configILj256ELj13ELNS0_17block_load_methodE3ELS4_3ELS4_3ELNS0_20block_scan_algorithmE0ELj4294967295EEENS1_25partition_config_selectorILNS1_17partition_subalgoE4EjNS0_10empty_typeEbEEZZNS1_14partition_implILS8_4ELb0ES6_15HIP_vector_typeIjLj2EENS0_17counting_iteratorIjlEEPS9_SG_NS0_5tupleIJPjSI_NS0_16reverse_iteratorISI_EEEEENSH_IJSG_SG_SG_EEES9_SI_JZNS1_25segmented_radix_sort_implINS0_14default_configELb0EPKaPaPKlPlN2at6native12_GLOBAL__N_18offset_tEEE10hipError_tPvRmT1_PNSt15iterator_traitsIS12_E10value_typeET2_T3_PNS13_IS18_E10value_typeET4_jRbjT5_S1E_jjP12ihipStream_tbEUljE_ZNSN_ISO_Lb0ESQ_SR_ST_SU_SY_EESZ_S10_S11_S12_S16_S17_S18_S1B_S1C_jS1D_jS1E_S1E_jjS1G_bEUljE0_EEESZ_S10_S11_S18_S1C_S1E_T6_T7_T9_mT8_S1G_bDpT10_ENKUlT_T0_E_clISt17integral_constantIbLb0EES1T_IbLb1EEEEDaS1P_S1Q_EUlS1P_E_NS1_11comp_targetILNS1_3genE0ELNS1_11target_archE4294967295ELNS1_3gpuE0ELNS1_3repE0EEENS1_30default_config_static_selectorELNS0_4arch9wavefront6targetE0EEEvS12_.private_seg_size, 0
	.set _ZN7rocprim17ROCPRIM_400000_NS6detail17trampoline_kernelINS0_13select_configILj256ELj13ELNS0_17block_load_methodE3ELS4_3ELS4_3ELNS0_20block_scan_algorithmE0ELj4294967295EEENS1_25partition_config_selectorILNS1_17partition_subalgoE4EjNS0_10empty_typeEbEEZZNS1_14partition_implILS8_4ELb0ES6_15HIP_vector_typeIjLj2EENS0_17counting_iteratorIjlEEPS9_SG_NS0_5tupleIJPjSI_NS0_16reverse_iteratorISI_EEEEENSH_IJSG_SG_SG_EEES9_SI_JZNS1_25segmented_radix_sort_implINS0_14default_configELb0EPKaPaPKlPlN2at6native12_GLOBAL__N_18offset_tEEE10hipError_tPvRmT1_PNSt15iterator_traitsIS12_E10value_typeET2_T3_PNS13_IS18_E10value_typeET4_jRbjT5_S1E_jjP12ihipStream_tbEUljE_ZNSN_ISO_Lb0ESQ_SR_ST_SU_SY_EESZ_S10_S11_S12_S16_S17_S18_S1B_S1C_jS1D_jS1E_S1E_jjS1G_bEUljE0_EEESZ_S10_S11_S18_S1C_S1E_T6_T7_T9_mT8_S1G_bDpT10_ENKUlT_T0_E_clISt17integral_constantIbLb0EES1T_IbLb1EEEEDaS1P_S1Q_EUlS1P_E_NS1_11comp_targetILNS1_3genE0ELNS1_11target_archE4294967295ELNS1_3gpuE0ELNS1_3repE0EEENS1_30default_config_static_selectorELNS0_4arch9wavefront6targetE0EEEvS12_.uses_vcc, 1
	.set _ZN7rocprim17ROCPRIM_400000_NS6detail17trampoline_kernelINS0_13select_configILj256ELj13ELNS0_17block_load_methodE3ELS4_3ELS4_3ELNS0_20block_scan_algorithmE0ELj4294967295EEENS1_25partition_config_selectorILNS1_17partition_subalgoE4EjNS0_10empty_typeEbEEZZNS1_14partition_implILS8_4ELb0ES6_15HIP_vector_typeIjLj2EENS0_17counting_iteratorIjlEEPS9_SG_NS0_5tupleIJPjSI_NS0_16reverse_iteratorISI_EEEEENSH_IJSG_SG_SG_EEES9_SI_JZNS1_25segmented_radix_sort_implINS0_14default_configELb0EPKaPaPKlPlN2at6native12_GLOBAL__N_18offset_tEEE10hipError_tPvRmT1_PNSt15iterator_traitsIS12_E10value_typeET2_T3_PNS13_IS18_E10value_typeET4_jRbjT5_S1E_jjP12ihipStream_tbEUljE_ZNSN_ISO_Lb0ESQ_SR_ST_SU_SY_EESZ_S10_S11_S12_S16_S17_S18_S1B_S1C_jS1D_jS1E_S1E_jjS1G_bEUljE0_EEESZ_S10_S11_S18_S1C_S1E_T6_T7_T9_mT8_S1G_bDpT10_ENKUlT_T0_E_clISt17integral_constantIbLb0EES1T_IbLb1EEEEDaS1P_S1Q_EUlS1P_E_NS1_11comp_targetILNS1_3genE0ELNS1_11target_archE4294967295ELNS1_3gpuE0ELNS1_3repE0EEENS1_30default_config_static_selectorELNS0_4arch9wavefront6targetE0EEEvS12_.uses_flat_scratch, 0
	.set _ZN7rocprim17ROCPRIM_400000_NS6detail17trampoline_kernelINS0_13select_configILj256ELj13ELNS0_17block_load_methodE3ELS4_3ELS4_3ELNS0_20block_scan_algorithmE0ELj4294967295EEENS1_25partition_config_selectorILNS1_17partition_subalgoE4EjNS0_10empty_typeEbEEZZNS1_14partition_implILS8_4ELb0ES6_15HIP_vector_typeIjLj2EENS0_17counting_iteratorIjlEEPS9_SG_NS0_5tupleIJPjSI_NS0_16reverse_iteratorISI_EEEEENSH_IJSG_SG_SG_EEES9_SI_JZNS1_25segmented_radix_sort_implINS0_14default_configELb0EPKaPaPKlPlN2at6native12_GLOBAL__N_18offset_tEEE10hipError_tPvRmT1_PNSt15iterator_traitsIS12_E10value_typeET2_T3_PNS13_IS18_E10value_typeET4_jRbjT5_S1E_jjP12ihipStream_tbEUljE_ZNSN_ISO_Lb0ESQ_SR_ST_SU_SY_EESZ_S10_S11_S12_S16_S17_S18_S1B_S1C_jS1D_jS1E_S1E_jjS1G_bEUljE0_EEESZ_S10_S11_S18_S1C_S1E_T6_T7_T9_mT8_S1G_bDpT10_ENKUlT_T0_E_clISt17integral_constantIbLb0EES1T_IbLb1EEEEDaS1P_S1Q_EUlS1P_E_NS1_11comp_targetILNS1_3genE0ELNS1_11target_archE4294967295ELNS1_3gpuE0ELNS1_3repE0EEENS1_30default_config_static_selectorELNS0_4arch9wavefront6targetE0EEEvS12_.has_dyn_sized_stack, 0
	.set _ZN7rocprim17ROCPRIM_400000_NS6detail17trampoline_kernelINS0_13select_configILj256ELj13ELNS0_17block_load_methodE3ELS4_3ELS4_3ELNS0_20block_scan_algorithmE0ELj4294967295EEENS1_25partition_config_selectorILNS1_17partition_subalgoE4EjNS0_10empty_typeEbEEZZNS1_14partition_implILS8_4ELb0ES6_15HIP_vector_typeIjLj2EENS0_17counting_iteratorIjlEEPS9_SG_NS0_5tupleIJPjSI_NS0_16reverse_iteratorISI_EEEEENSH_IJSG_SG_SG_EEES9_SI_JZNS1_25segmented_radix_sort_implINS0_14default_configELb0EPKaPaPKlPlN2at6native12_GLOBAL__N_18offset_tEEE10hipError_tPvRmT1_PNSt15iterator_traitsIS12_E10value_typeET2_T3_PNS13_IS18_E10value_typeET4_jRbjT5_S1E_jjP12ihipStream_tbEUljE_ZNSN_ISO_Lb0ESQ_SR_ST_SU_SY_EESZ_S10_S11_S12_S16_S17_S18_S1B_S1C_jS1D_jS1E_S1E_jjS1G_bEUljE0_EEESZ_S10_S11_S18_S1C_S1E_T6_T7_T9_mT8_S1G_bDpT10_ENKUlT_T0_E_clISt17integral_constantIbLb0EES1T_IbLb1EEEEDaS1P_S1Q_EUlS1P_E_NS1_11comp_targetILNS1_3genE0ELNS1_11target_archE4294967295ELNS1_3gpuE0ELNS1_3repE0EEENS1_30default_config_static_selectorELNS0_4arch9wavefront6targetE0EEEvS12_.has_recursion, 0
	.set _ZN7rocprim17ROCPRIM_400000_NS6detail17trampoline_kernelINS0_13select_configILj256ELj13ELNS0_17block_load_methodE3ELS4_3ELS4_3ELNS0_20block_scan_algorithmE0ELj4294967295EEENS1_25partition_config_selectorILNS1_17partition_subalgoE4EjNS0_10empty_typeEbEEZZNS1_14partition_implILS8_4ELb0ES6_15HIP_vector_typeIjLj2EENS0_17counting_iteratorIjlEEPS9_SG_NS0_5tupleIJPjSI_NS0_16reverse_iteratorISI_EEEEENSH_IJSG_SG_SG_EEES9_SI_JZNS1_25segmented_radix_sort_implINS0_14default_configELb0EPKaPaPKlPlN2at6native12_GLOBAL__N_18offset_tEEE10hipError_tPvRmT1_PNSt15iterator_traitsIS12_E10value_typeET2_T3_PNS13_IS18_E10value_typeET4_jRbjT5_S1E_jjP12ihipStream_tbEUljE_ZNSN_ISO_Lb0ESQ_SR_ST_SU_SY_EESZ_S10_S11_S12_S16_S17_S18_S1B_S1C_jS1D_jS1E_S1E_jjS1G_bEUljE0_EEESZ_S10_S11_S18_S1C_S1E_T6_T7_T9_mT8_S1G_bDpT10_ENKUlT_T0_E_clISt17integral_constantIbLb0EES1T_IbLb1EEEEDaS1P_S1Q_EUlS1P_E_NS1_11comp_targetILNS1_3genE0ELNS1_11target_archE4294967295ELNS1_3gpuE0ELNS1_3repE0EEENS1_30default_config_static_selectorELNS0_4arch9wavefront6targetE0EEEvS12_.has_indirect_call, 0
	.section	.AMDGPU.csdata,"",@progbits
; Kernel info:
; codeLenInByte = 17828
; TotalNumSgprs: 57
; NumVgprs: 86
; ScratchSize: 0
; MemoryBound: 0
; FloatMode: 240
; IeeeMode: 1
; LDSByteSize: 13328 bytes/workgroup (compile time only)
; SGPRBlocks: 0
; VGPRBlocks: 5
; NumSGPRsForWavesPerEU: 57
; NumVGPRsForWavesPerEU: 86
; NamedBarCnt: 0
; Occupancy: 10
; WaveLimiterHint : 1
; COMPUTE_PGM_RSRC2:SCRATCH_EN: 0
; COMPUTE_PGM_RSRC2:USER_SGPR: 2
; COMPUTE_PGM_RSRC2:TRAP_HANDLER: 0
; COMPUTE_PGM_RSRC2:TGID_X_EN: 1
; COMPUTE_PGM_RSRC2:TGID_Y_EN: 0
; COMPUTE_PGM_RSRC2:TGID_Z_EN: 0
; COMPUTE_PGM_RSRC2:TIDIG_COMP_CNT: 0
	.section	.text._ZN7rocprim17ROCPRIM_400000_NS6detail17trampoline_kernelINS0_13select_configILj256ELj13ELNS0_17block_load_methodE3ELS4_3ELS4_3ELNS0_20block_scan_algorithmE0ELj4294967295EEENS1_25partition_config_selectorILNS1_17partition_subalgoE4EjNS0_10empty_typeEbEEZZNS1_14partition_implILS8_4ELb0ES6_15HIP_vector_typeIjLj2EENS0_17counting_iteratorIjlEEPS9_SG_NS0_5tupleIJPjSI_NS0_16reverse_iteratorISI_EEEEENSH_IJSG_SG_SG_EEES9_SI_JZNS1_25segmented_radix_sort_implINS0_14default_configELb0EPKaPaPKlPlN2at6native12_GLOBAL__N_18offset_tEEE10hipError_tPvRmT1_PNSt15iterator_traitsIS12_E10value_typeET2_T3_PNS13_IS18_E10value_typeET4_jRbjT5_S1E_jjP12ihipStream_tbEUljE_ZNSN_ISO_Lb0ESQ_SR_ST_SU_SY_EESZ_S10_S11_S12_S16_S17_S18_S1B_S1C_jS1D_jS1E_S1E_jjS1G_bEUljE0_EEESZ_S10_S11_S18_S1C_S1E_T6_T7_T9_mT8_S1G_bDpT10_ENKUlT_T0_E_clISt17integral_constantIbLb0EES1T_IbLb1EEEEDaS1P_S1Q_EUlS1P_E_NS1_11comp_targetILNS1_3genE5ELNS1_11target_archE942ELNS1_3gpuE9ELNS1_3repE0EEENS1_30default_config_static_selectorELNS0_4arch9wavefront6targetE0EEEvS12_,"axG",@progbits,_ZN7rocprim17ROCPRIM_400000_NS6detail17trampoline_kernelINS0_13select_configILj256ELj13ELNS0_17block_load_methodE3ELS4_3ELS4_3ELNS0_20block_scan_algorithmE0ELj4294967295EEENS1_25partition_config_selectorILNS1_17partition_subalgoE4EjNS0_10empty_typeEbEEZZNS1_14partition_implILS8_4ELb0ES6_15HIP_vector_typeIjLj2EENS0_17counting_iteratorIjlEEPS9_SG_NS0_5tupleIJPjSI_NS0_16reverse_iteratorISI_EEEEENSH_IJSG_SG_SG_EEES9_SI_JZNS1_25segmented_radix_sort_implINS0_14default_configELb0EPKaPaPKlPlN2at6native12_GLOBAL__N_18offset_tEEE10hipError_tPvRmT1_PNSt15iterator_traitsIS12_E10value_typeET2_T3_PNS13_IS18_E10value_typeET4_jRbjT5_S1E_jjP12ihipStream_tbEUljE_ZNSN_ISO_Lb0ESQ_SR_ST_SU_SY_EESZ_S10_S11_S12_S16_S17_S18_S1B_S1C_jS1D_jS1E_S1E_jjS1G_bEUljE0_EEESZ_S10_S11_S18_S1C_S1E_T6_T7_T9_mT8_S1G_bDpT10_ENKUlT_T0_E_clISt17integral_constantIbLb0EES1T_IbLb1EEEEDaS1P_S1Q_EUlS1P_E_NS1_11comp_targetILNS1_3genE5ELNS1_11target_archE942ELNS1_3gpuE9ELNS1_3repE0EEENS1_30default_config_static_selectorELNS0_4arch9wavefront6targetE0EEEvS12_,comdat
	.globl	_ZN7rocprim17ROCPRIM_400000_NS6detail17trampoline_kernelINS0_13select_configILj256ELj13ELNS0_17block_load_methodE3ELS4_3ELS4_3ELNS0_20block_scan_algorithmE0ELj4294967295EEENS1_25partition_config_selectorILNS1_17partition_subalgoE4EjNS0_10empty_typeEbEEZZNS1_14partition_implILS8_4ELb0ES6_15HIP_vector_typeIjLj2EENS0_17counting_iteratorIjlEEPS9_SG_NS0_5tupleIJPjSI_NS0_16reverse_iteratorISI_EEEEENSH_IJSG_SG_SG_EEES9_SI_JZNS1_25segmented_radix_sort_implINS0_14default_configELb0EPKaPaPKlPlN2at6native12_GLOBAL__N_18offset_tEEE10hipError_tPvRmT1_PNSt15iterator_traitsIS12_E10value_typeET2_T3_PNS13_IS18_E10value_typeET4_jRbjT5_S1E_jjP12ihipStream_tbEUljE_ZNSN_ISO_Lb0ESQ_SR_ST_SU_SY_EESZ_S10_S11_S12_S16_S17_S18_S1B_S1C_jS1D_jS1E_S1E_jjS1G_bEUljE0_EEESZ_S10_S11_S18_S1C_S1E_T6_T7_T9_mT8_S1G_bDpT10_ENKUlT_T0_E_clISt17integral_constantIbLb0EES1T_IbLb1EEEEDaS1P_S1Q_EUlS1P_E_NS1_11comp_targetILNS1_3genE5ELNS1_11target_archE942ELNS1_3gpuE9ELNS1_3repE0EEENS1_30default_config_static_selectorELNS0_4arch9wavefront6targetE0EEEvS12_ ; -- Begin function _ZN7rocprim17ROCPRIM_400000_NS6detail17trampoline_kernelINS0_13select_configILj256ELj13ELNS0_17block_load_methodE3ELS4_3ELS4_3ELNS0_20block_scan_algorithmE0ELj4294967295EEENS1_25partition_config_selectorILNS1_17partition_subalgoE4EjNS0_10empty_typeEbEEZZNS1_14partition_implILS8_4ELb0ES6_15HIP_vector_typeIjLj2EENS0_17counting_iteratorIjlEEPS9_SG_NS0_5tupleIJPjSI_NS0_16reverse_iteratorISI_EEEEENSH_IJSG_SG_SG_EEES9_SI_JZNS1_25segmented_radix_sort_implINS0_14default_configELb0EPKaPaPKlPlN2at6native12_GLOBAL__N_18offset_tEEE10hipError_tPvRmT1_PNSt15iterator_traitsIS12_E10value_typeET2_T3_PNS13_IS18_E10value_typeET4_jRbjT5_S1E_jjP12ihipStream_tbEUljE_ZNSN_ISO_Lb0ESQ_SR_ST_SU_SY_EESZ_S10_S11_S12_S16_S17_S18_S1B_S1C_jS1D_jS1E_S1E_jjS1G_bEUljE0_EEESZ_S10_S11_S18_S1C_S1E_T6_T7_T9_mT8_S1G_bDpT10_ENKUlT_T0_E_clISt17integral_constantIbLb0EES1T_IbLb1EEEEDaS1P_S1Q_EUlS1P_E_NS1_11comp_targetILNS1_3genE5ELNS1_11target_archE942ELNS1_3gpuE9ELNS1_3repE0EEENS1_30default_config_static_selectorELNS0_4arch9wavefront6targetE0EEEvS12_
	.p2align	8
	.type	_ZN7rocprim17ROCPRIM_400000_NS6detail17trampoline_kernelINS0_13select_configILj256ELj13ELNS0_17block_load_methodE3ELS4_3ELS4_3ELNS0_20block_scan_algorithmE0ELj4294967295EEENS1_25partition_config_selectorILNS1_17partition_subalgoE4EjNS0_10empty_typeEbEEZZNS1_14partition_implILS8_4ELb0ES6_15HIP_vector_typeIjLj2EENS0_17counting_iteratorIjlEEPS9_SG_NS0_5tupleIJPjSI_NS0_16reverse_iteratorISI_EEEEENSH_IJSG_SG_SG_EEES9_SI_JZNS1_25segmented_radix_sort_implINS0_14default_configELb0EPKaPaPKlPlN2at6native12_GLOBAL__N_18offset_tEEE10hipError_tPvRmT1_PNSt15iterator_traitsIS12_E10value_typeET2_T3_PNS13_IS18_E10value_typeET4_jRbjT5_S1E_jjP12ihipStream_tbEUljE_ZNSN_ISO_Lb0ESQ_SR_ST_SU_SY_EESZ_S10_S11_S12_S16_S17_S18_S1B_S1C_jS1D_jS1E_S1E_jjS1G_bEUljE0_EEESZ_S10_S11_S18_S1C_S1E_T6_T7_T9_mT8_S1G_bDpT10_ENKUlT_T0_E_clISt17integral_constantIbLb0EES1T_IbLb1EEEEDaS1P_S1Q_EUlS1P_E_NS1_11comp_targetILNS1_3genE5ELNS1_11target_archE942ELNS1_3gpuE9ELNS1_3repE0EEENS1_30default_config_static_selectorELNS0_4arch9wavefront6targetE0EEEvS12_,@function
_ZN7rocprim17ROCPRIM_400000_NS6detail17trampoline_kernelINS0_13select_configILj256ELj13ELNS0_17block_load_methodE3ELS4_3ELS4_3ELNS0_20block_scan_algorithmE0ELj4294967295EEENS1_25partition_config_selectorILNS1_17partition_subalgoE4EjNS0_10empty_typeEbEEZZNS1_14partition_implILS8_4ELb0ES6_15HIP_vector_typeIjLj2EENS0_17counting_iteratorIjlEEPS9_SG_NS0_5tupleIJPjSI_NS0_16reverse_iteratorISI_EEEEENSH_IJSG_SG_SG_EEES9_SI_JZNS1_25segmented_radix_sort_implINS0_14default_configELb0EPKaPaPKlPlN2at6native12_GLOBAL__N_18offset_tEEE10hipError_tPvRmT1_PNSt15iterator_traitsIS12_E10value_typeET2_T3_PNS13_IS18_E10value_typeET4_jRbjT5_S1E_jjP12ihipStream_tbEUljE_ZNSN_ISO_Lb0ESQ_SR_ST_SU_SY_EESZ_S10_S11_S12_S16_S17_S18_S1B_S1C_jS1D_jS1E_S1E_jjS1G_bEUljE0_EEESZ_S10_S11_S18_S1C_S1E_T6_T7_T9_mT8_S1G_bDpT10_ENKUlT_T0_E_clISt17integral_constantIbLb0EES1T_IbLb1EEEEDaS1P_S1Q_EUlS1P_E_NS1_11comp_targetILNS1_3genE5ELNS1_11target_archE942ELNS1_3gpuE9ELNS1_3repE0EEENS1_30default_config_static_selectorELNS0_4arch9wavefront6targetE0EEEvS12_: ; @_ZN7rocprim17ROCPRIM_400000_NS6detail17trampoline_kernelINS0_13select_configILj256ELj13ELNS0_17block_load_methodE3ELS4_3ELS4_3ELNS0_20block_scan_algorithmE0ELj4294967295EEENS1_25partition_config_selectorILNS1_17partition_subalgoE4EjNS0_10empty_typeEbEEZZNS1_14partition_implILS8_4ELb0ES6_15HIP_vector_typeIjLj2EENS0_17counting_iteratorIjlEEPS9_SG_NS0_5tupleIJPjSI_NS0_16reverse_iteratorISI_EEEEENSH_IJSG_SG_SG_EEES9_SI_JZNS1_25segmented_radix_sort_implINS0_14default_configELb0EPKaPaPKlPlN2at6native12_GLOBAL__N_18offset_tEEE10hipError_tPvRmT1_PNSt15iterator_traitsIS12_E10value_typeET2_T3_PNS13_IS18_E10value_typeET4_jRbjT5_S1E_jjP12ihipStream_tbEUljE_ZNSN_ISO_Lb0ESQ_SR_ST_SU_SY_EESZ_S10_S11_S12_S16_S17_S18_S1B_S1C_jS1D_jS1E_S1E_jjS1G_bEUljE0_EEESZ_S10_S11_S18_S1C_S1E_T6_T7_T9_mT8_S1G_bDpT10_ENKUlT_T0_E_clISt17integral_constantIbLb0EES1T_IbLb1EEEEDaS1P_S1Q_EUlS1P_E_NS1_11comp_targetILNS1_3genE5ELNS1_11target_archE942ELNS1_3gpuE9ELNS1_3repE0EEENS1_30default_config_static_selectorELNS0_4arch9wavefront6targetE0EEEvS12_
; %bb.0:
	.section	.rodata,"a",@progbits
	.p2align	6, 0x0
	.amdhsa_kernel _ZN7rocprim17ROCPRIM_400000_NS6detail17trampoline_kernelINS0_13select_configILj256ELj13ELNS0_17block_load_methodE3ELS4_3ELS4_3ELNS0_20block_scan_algorithmE0ELj4294967295EEENS1_25partition_config_selectorILNS1_17partition_subalgoE4EjNS0_10empty_typeEbEEZZNS1_14partition_implILS8_4ELb0ES6_15HIP_vector_typeIjLj2EENS0_17counting_iteratorIjlEEPS9_SG_NS0_5tupleIJPjSI_NS0_16reverse_iteratorISI_EEEEENSH_IJSG_SG_SG_EEES9_SI_JZNS1_25segmented_radix_sort_implINS0_14default_configELb0EPKaPaPKlPlN2at6native12_GLOBAL__N_18offset_tEEE10hipError_tPvRmT1_PNSt15iterator_traitsIS12_E10value_typeET2_T3_PNS13_IS18_E10value_typeET4_jRbjT5_S1E_jjP12ihipStream_tbEUljE_ZNSN_ISO_Lb0ESQ_SR_ST_SU_SY_EESZ_S10_S11_S12_S16_S17_S18_S1B_S1C_jS1D_jS1E_S1E_jjS1G_bEUljE0_EEESZ_S10_S11_S18_S1C_S1E_T6_T7_T9_mT8_S1G_bDpT10_ENKUlT_T0_E_clISt17integral_constantIbLb0EES1T_IbLb1EEEEDaS1P_S1Q_EUlS1P_E_NS1_11comp_targetILNS1_3genE5ELNS1_11target_archE942ELNS1_3gpuE9ELNS1_3repE0EEENS1_30default_config_static_selectorELNS0_4arch9wavefront6targetE0EEEvS12_
		.amdhsa_group_segment_fixed_size 0
		.amdhsa_private_segment_fixed_size 0
		.amdhsa_kernarg_size 184
		.amdhsa_user_sgpr_count 2
		.amdhsa_user_sgpr_dispatch_ptr 0
		.amdhsa_user_sgpr_queue_ptr 0
		.amdhsa_user_sgpr_kernarg_segment_ptr 1
		.amdhsa_user_sgpr_dispatch_id 0
		.amdhsa_user_sgpr_kernarg_preload_length 0
		.amdhsa_user_sgpr_kernarg_preload_offset 0
		.amdhsa_user_sgpr_private_segment_size 0
		.amdhsa_wavefront_size32 1
		.amdhsa_uses_dynamic_stack 0
		.amdhsa_enable_private_segment 0
		.amdhsa_system_sgpr_workgroup_id_x 1
		.amdhsa_system_sgpr_workgroup_id_y 0
		.amdhsa_system_sgpr_workgroup_id_z 0
		.amdhsa_system_sgpr_workgroup_info 0
		.amdhsa_system_vgpr_workitem_id 0
		.amdhsa_next_free_vgpr 1
		.amdhsa_next_free_sgpr 1
		.amdhsa_named_barrier_count 0
		.amdhsa_reserve_vcc 0
		.amdhsa_float_round_mode_32 0
		.amdhsa_float_round_mode_16_64 0
		.amdhsa_float_denorm_mode_32 3
		.amdhsa_float_denorm_mode_16_64 3
		.amdhsa_fp16_overflow 0
		.amdhsa_memory_ordered 1
		.amdhsa_forward_progress 1
		.amdhsa_inst_pref_size 0
		.amdhsa_round_robin_scheduling 0
		.amdhsa_exception_fp_ieee_invalid_op 0
		.amdhsa_exception_fp_denorm_src 0
		.amdhsa_exception_fp_ieee_div_zero 0
		.amdhsa_exception_fp_ieee_overflow 0
		.amdhsa_exception_fp_ieee_underflow 0
		.amdhsa_exception_fp_ieee_inexact 0
		.amdhsa_exception_int_div_zero 0
	.end_amdhsa_kernel
	.section	.text._ZN7rocprim17ROCPRIM_400000_NS6detail17trampoline_kernelINS0_13select_configILj256ELj13ELNS0_17block_load_methodE3ELS4_3ELS4_3ELNS0_20block_scan_algorithmE0ELj4294967295EEENS1_25partition_config_selectorILNS1_17partition_subalgoE4EjNS0_10empty_typeEbEEZZNS1_14partition_implILS8_4ELb0ES6_15HIP_vector_typeIjLj2EENS0_17counting_iteratorIjlEEPS9_SG_NS0_5tupleIJPjSI_NS0_16reverse_iteratorISI_EEEEENSH_IJSG_SG_SG_EEES9_SI_JZNS1_25segmented_radix_sort_implINS0_14default_configELb0EPKaPaPKlPlN2at6native12_GLOBAL__N_18offset_tEEE10hipError_tPvRmT1_PNSt15iterator_traitsIS12_E10value_typeET2_T3_PNS13_IS18_E10value_typeET4_jRbjT5_S1E_jjP12ihipStream_tbEUljE_ZNSN_ISO_Lb0ESQ_SR_ST_SU_SY_EESZ_S10_S11_S12_S16_S17_S18_S1B_S1C_jS1D_jS1E_S1E_jjS1G_bEUljE0_EEESZ_S10_S11_S18_S1C_S1E_T6_T7_T9_mT8_S1G_bDpT10_ENKUlT_T0_E_clISt17integral_constantIbLb0EES1T_IbLb1EEEEDaS1P_S1Q_EUlS1P_E_NS1_11comp_targetILNS1_3genE5ELNS1_11target_archE942ELNS1_3gpuE9ELNS1_3repE0EEENS1_30default_config_static_selectorELNS0_4arch9wavefront6targetE0EEEvS12_,"axG",@progbits,_ZN7rocprim17ROCPRIM_400000_NS6detail17trampoline_kernelINS0_13select_configILj256ELj13ELNS0_17block_load_methodE3ELS4_3ELS4_3ELNS0_20block_scan_algorithmE0ELj4294967295EEENS1_25partition_config_selectorILNS1_17partition_subalgoE4EjNS0_10empty_typeEbEEZZNS1_14partition_implILS8_4ELb0ES6_15HIP_vector_typeIjLj2EENS0_17counting_iteratorIjlEEPS9_SG_NS0_5tupleIJPjSI_NS0_16reverse_iteratorISI_EEEEENSH_IJSG_SG_SG_EEES9_SI_JZNS1_25segmented_radix_sort_implINS0_14default_configELb0EPKaPaPKlPlN2at6native12_GLOBAL__N_18offset_tEEE10hipError_tPvRmT1_PNSt15iterator_traitsIS12_E10value_typeET2_T3_PNS13_IS18_E10value_typeET4_jRbjT5_S1E_jjP12ihipStream_tbEUljE_ZNSN_ISO_Lb0ESQ_SR_ST_SU_SY_EESZ_S10_S11_S12_S16_S17_S18_S1B_S1C_jS1D_jS1E_S1E_jjS1G_bEUljE0_EEESZ_S10_S11_S18_S1C_S1E_T6_T7_T9_mT8_S1G_bDpT10_ENKUlT_T0_E_clISt17integral_constantIbLb0EES1T_IbLb1EEEEDaS1P_S1Q_EUlS1P_E_NS1_11comp_targetILNS1_3genE5ELNS1_11target_archE942ELNS1_3gpuE9ELNS1_3repE0EEENS1_30default_config_static_selectorELNS0_4arch9wavefront6targetE0EEEvS12_,comdat
.Lfunc_end351:
	.size	_ZN7rocprim17ROCPRIM_400000_NS6detail17trampoline_kernelINS0_13select_configILj256ELj13ELNS0_17block_load_methodE3ELS4_3ELS4_3ELNS0_20block_scan_algorithmE0ELj4294967295EEENS1_25partition_config_selectorILNS1_17partition_subalgoE4EjNS0_10empty_typeEbEEZZNS1_14partition_implILS8_4ELb0ES6_15HIP_vector_typeIjLj2EENS0_17counting_iteratorIjlEEPS9_SG_NS0_5tupleIJPjSI_NS0_16reverse_iteratorISI_EEEEENSH_IJSG_SG_SG_EEES9_SI_JZNS1_25segmented_radix_sort_implINS0_14default_configELb0EPKaPaPKlPlN2at6native12_GLOBAL__N_18offset_tEEE10hipError_tPvRmT1_PNSt15iterator_traitsIS12_E10value_typeET2_T3_PNS13_IS18_E10value_typeET4_jRbjT5_S1E_jjP12ihipStream_tbEUljE_ZNSN_ISO_Lb0ESQ_SR_ST_SU_SY_EESZ_S10_S11_S12_S16_S17_S18_S1B_S1C_jS1D_jS1E_S1E_jjS1G_bEUljE0_EEESZ_S10_S11_S18_S1C_S1E_T6_T7_T9_mT8_S1G_bDpT10_ENKUlT_T0_E_clISt17integral_constantIbLb0EES1T_IbLb1EEEEDaS1P_S1Q_EUlS1P_E_NS1_11comp_targetILNS1_3genE5ELNS1_11target_archE942ELNS1_3gpuE9ELNS1_3repE0EEENS1_30default_config_static_selectorELNS0_4arch9wavefront6targetE0EEEvS12_, .Lfunc_end351-_ZN7rocprim17ROCPRIM_400000_NS6detail17trampoline_kernelINS0_13select_configILj256ELj13ELNS0_17block_load_methodE3ELS4_3ELS4_3ELNS0_20block_scan_algorithmE0ELj4294967295EEENS1_25partition_config_selectorILNS1_17partition_subalgoE4EjNS0_10empty_typeEbEEZZNS1_14partition_implILS8_4ELb0ES6_15HIP_vector_typeIjLj2EENS0_17counting_iteratorIjlEEPS9_SG_NS0_5tupleIJPjSI_NS0_16reverse_iteratorISI_EEEEENSH_IJSG_SG_SG_EEES9_SI_JZNS1_25segmented_radix_sort_implINS0_14default_configELb0EPKaPaPKlPlN2at6native12_GLOBAL__N_18offset_tEEE10hipError_tPvRmT1_PNSt15iterator_traitsIS12_E10value_typeET2_T3_PNS13_IS18_E10value_typeET4_jRbjT5_S1E_jjP12ihipStream_tbEUljE_ZNSN_ISO_Lb0ESQ_SR_ST_SU_SY_EESZ_S10_S11_S12_S16_S17_S18_S1B_S1C_jS1D_jS1E_S1E_jjS1G_bEUljE0_EEESZ_S10_S11_S18_S1C_S1E_T6_T7_T9_mT8_S1G_bDpT10_ENKUlT_T0_E_clISt17integral_constantIbLb0EES1T_IbLb1EEEEDaS1P_S1Q_EUlS1P_E_NS1_11comp_targetILNS1_3genE5ELNS1_11target_archE942ELNS1_3gpuE9ELNS1_3repE0EEENS1_30default_config_static_selectorELNS0_4arch9wavefront6targetE0EEEvS12_
                                        ; -- End function
	.set _ZN7rocprim17ROCPRIM_400000_NS6detail17trampoline_kernelINS0_13select_configILj256ELj13ELNS0_17block_load_methodE3ELS4_3ELS4_3ELNS0_20block_scan_algorithmE0ELj4294967295EEENS1_25partition_config_selectorILNS1_17partition_subalgoE4EjNS0_10empty_typeEbEEZZNS1_14partition_implILS8_4ELb0ES6_15HIP_vector_typeIjLj2EENS0_17counting_iteratorIjlEEPS9_SG_NS0_5tupleIJPjSI_NS0_16reverse_iteratorISI_EEEEENSH_IJSG_SG_SG_EEES9_SI_JZNS1_25segmented_radix_sort_implINS0_14default_configELb0EPKaPaPKlPlN2at6native12_GLOBAL__N_18offset_tEEE10hipError_tPvRmT1_PNSt15iterator_traitsIS12_E10value_typeET2_T3_PNS13_IS18_E10value_typeET4_jRbjT5_S1E_jjP12ihipStream_tbEUljE_ZNSN_ISO_Lb0ESQ_SR_ST_SU_SY_EESZ_S10_S11_S12_S16_S17_S18_S1B_S1C_jS1D_jS1E_S1E_jjS1G_bEUljE0_EEESZ_S10_S11_S18_S1C_S1E_T6_T7_T9_mT8_S1G_bDpT10_ENKUlT_T0_E_clISt17integral_constantIbLb0EES1T_IbLb1EEEEDaS1P_S1Q_EUlS1P_E_NS1_11comp_targetILNS1_3genE5ELNS1_11target_archE942ELNS1_3gpuE9ELNS1_3repE0EEENS1_30default_config_static_selectorELNS0_4arch9wavefront6targetE0EEEvS12_.num_vgpr, 0
	.set _ZN7rocprim17ROCPRIM_400000_NS6detail17trampoline_kernelINS0_13select_configILj256ELj13ELNS0_17block_load_methodE3ELS4_3ELS4_3ELNS0_20block_scan_algorithmE0ELj4294967295EEENS1_25partition_config_selectorILNS1_17partition_subalgoE4EjNS0_10empty_typeEbEEZZNS1_14partition_implILS8_4ELb0ES6_15HIP_vector_typeIjLj2EENS0_17counting_iteratorIjlEEPS9_SG_NS0_5tupleIJPjSI_NS0_16reverse_iteratorISI_EEEEENSH_IJSG_SG_SG_EEES9_SI_JZNS1_25segmented_radix_sort_implINS0_14default_configELb0EPKaPaPKlPlN2at6native12_GLOBAL__N_18offset_tEEE10hipError_tPvRmT1_PNSt15iterator_traitsIS12_E10value_typeET2_T3_PNS13_IS18_E10value_typeET4_jRbjT5_S1E_jjP12ihipStream_tbEUljE_ZNSN_ISO_Lb0ESQ_SR_ST_SU_SY_EESZ_S10_S11_S12_S16_S17_S18_S1B_S1C_jS1D_jS1E_S1E_jjS1G_bEUljE0_EEESZ_S10_S11_S18_S1C_S1E_T6_T7_T9_mT8_S1G_bDpT10_ENKUlT_T0_E_clISt17integral_constantIbLb0EES1T_IbLb1EEEEDaS1P_S1Q_EUlS1P_E_NS1_11comp_targetILNS1_3genE5ELNS1_11target_archE942ELNS1_3gpuE9ELNS1_3repE0EEENS1_30default_config_static_selectorELNS0_4arch9wavefront6targetE0EEEvS12_.num_agpr, 0
	.set _ZN7rocprim17ROCPRIM_400000_NS6detail17trampoline_kernelINS0_13select_configILj256ELj13ELNS0_17block_load_methodE3ELS4_3ELS4_3ELNS0_20block_scan_algorithmE0ELj4294967295EEENS1_25partition_config_selectorILNS1_17partition_subalgoE4EjNS0_10empty_typeEbEEZZNS1_14partition_implILS8_4ELb0ES6_15HIP_vector_typeIjLj2EENS0_17counting_iteratorIjlEEPS9_SG_NS0_5tupleIJPjSI_NS0_16reverse_iteratorISI_EEEEENSH_IJSG_SG_SG_EEES9_SI_JZNS1_25segmented_radix_sort_implINS0_14default_configELb0EPKaPaPKlPlN2at6native12_GLOBAL__N_18offset_tEEE10hipError_tPvRmT1_PNSt15iterator_traitsIS12_E10value_typeET2_T3_PNS13_IS18_E10value_typeET4_jRbjT5_S1E_jjP12ihipStream_tbEUljE_ZNSN_ISO_Lb0ESQ_SR_ST_SU_SY_EESZ_S10_S11_S12_S16_S17_S18_S1B_S1C_jS1D_jS1E_S1E_jjS1G_bEUljE0_EEESZ_S10_S11_S18_S1C_S1E_T6_T7_T9_mT8_S1G_bDpT10_ENKUlT_T0_E_clISt17integral_constantIbLb0EES1T_IbLb1EEEEDaS1P_S1Q_EUlS1P_E_NS1_11comp_targetILNS1_3genE5ELNS1_11target_archE942ELNS1_3gpuE9ELNS1_3repE0EEENS1_30default_config_static_selectorELNS0_4arch9wavefront6targetE0EEEvS12_.numbered_sgpr, 0
	.set _ZN7rocprim17ROCPRIM_400000_NS6detail17trampoline_kernelINS0_13select_configILj256ELj13ELNS0_17block_load_methodE3ELS4_3ELS4_3ELNS0_20block_scan_algorithmE0ELj4294967295EEENS1_25partition_config_selectorILNS1_17partition_subalgoE4EjNS0_10empty_typeEbEEZZNS1_14partition_implILS8_4ELb0ES6_15HIP_vector_typeIjLj2EENS0_17counting_iteratorIjlEEPS9_SG_NS0_5tupleIJPjSI_NS0_16reverse_iteratorISI_EEEEENSH_IJSG_SG_SG_EEES9_SI_JZNS1_25segmented_radix_sort_implINS0_14default_configELb0EPKaPaPKlPlN2at6native12_GLOBAL__N_18offset_tEEE10hipError_tPvRmT1_PNSt15iterator_traitsIS12_E10value_typeET2_T3_PNS13_IS18_E10value_typeET4_jRbjT5_S1E_jjP12ihipStream_tbEUljE_ZNSN_ISO_Lb0ESQ_SR_ST_SU_SY_EESZ_S10_S11_S12_S16_S17_S18_S1B_S1C_jS1D_jS1E_S1E_jjS1G_bEUljE0_EEESZ_S10_S11_S18_S1C_S1E_T6_T7_T9_mT8_S1G_bDpT10_ENKUlT_T0_E_clISt17integral_constantIbLb0EES1T_IbLb1EEEEDaS1P_S1Q_EUlS1P_E_NS1_11comp_targetILNS1_3genE5ELNS1_11target_archE942ELNS1_3gpuE9ELNS1_3repE0EEENS1_30default_config_static_selectorELNS0_4arch9wavefront6targetE0EEEvS12_.num_named_barrier, 0
	.set _ZN7rocprim17ROCPRIM_400000_NS6detail17trampoline_kernelINS0_13select_configILj256ELj13ELNS0_17block_load_methodE3ELS4_3ELS4_3ELNS0_20block_scan_algorithmE0ELj4294967295EEENS1_25partition_config_selectorILNS1_17partition_subalgoE4EjNS0_10empty_typeEbEEZZNS1_14partition_implILS8_4ELb0ES6_15HIP_vector_typeIjLj2EENS0_17counting_iteratorIjlEEPS9_SG_NS0_5tupleIJPjSI_NS0_16reverse_iteratorISI_EEEEENSH_IJSG_SG_SG_EEES9_SI_JZNS1_25segmented_radix_sort_implINS0_14default_configELb0EPKaPaPKlPlN2at6native12_GLOBAL__N_18offset_tEEE10hipError_tPvRmT1_PNSt15iterator_traitsIS12_E10value_typeET2_T3_PNS13_IS18_E10value_typeET4_jRbjT5_S1E_jjP12ihipStream_tbEUljE_ZNSN_ISO_Lb0ESQ_SR_ST_SU_SY_EESZ_S10_S11_S12_S16_S17_S18_S1B_S1C_jS1D_jS1E_S1E_jjS1G_bEUljE0_EEESZ_S10_S11_S18_S1C_S1E_T6_T7_T9_mT8_S1G_bDpT10_ENKUlT_T0_E_clISt17integral_constantIbLb0EES1T_IbLb1EEEEDaS1P_S1Q_EUlS1P_E_NS1_11comp_targetILNS1_3genE5ELNS1_11target_archE942ELNS1_3gpuE9ELNS1_3repE0EEENS1_30default_config_static_selectorELNS0_4arch9wavefront6targetE0EEEvS12_.private_seg_size, 0
	.set _ZN7rocprim17ROCPRIM_400000_NS6detail17trampoline_kernelINS0_13select_configILj256ELj13ELNS0_17block_load_methodE3ELS4_3ELS4_3ELNS0_20block_scan_algorithmE0ELj4294967295EEENS1_25partition_config_selectorILNS1_17partition_subalgoE4EjNS0_10empty_typeEbEEZZNS1_14partition_implILS8_4ELb0ES6_15HIP_vector_typeIjLj2EENS0_17counting_iteratorIjlEEPS9_SG_NS0_5tupleIJPjSI_NS0_16reverse_iteratorISI_EEEEENSH_IJSG_SG_SG_EEES9_SI_JZNS1_25segmented_radix_sort_implINS0_14default_configELb0EPKaPaPKlPlN2at6native12_GLOBAL__N_18offset_tEEE10hipError_tPvRmT1_PNSt15iterator_traitsIS12_E10value_typeET2_T3_PNS13_IS18_E10value_typeET4_jRbjT5_S1E_jjP12ihipStream_tbEUljE_ZNSN_ISO_Lb0ESQ_SR_ST_SU_SY_EESZ_S10_S11_S12_S16_S17_S18_S1B_S1C_jS1D_jS1E_S1E_jjS1G_bEUljE0_EEESZ_S10_S11_S18_S1C_S1E_T6_T7_T9_mT8_S1G_bDpT10_ENKUlT_T0_E_clISt17integral_constantIbLb0EES1T_IbLb1EEEEDaS1P_S1Q_EUlS1P_E_NS1_11comp_targetILNS1_3genE5ELNS1_11target_archE942ELNS1_3gpuE9ELNS1_3repE0EEENS1_30default_config_static_selectorELNS0_4arch9wavefront6targetE0EEEvS12_.uses_vcc, 0
	.set _ZN7rocprim17ROCPRIM_400000_NS6detail17trampoline_kernelINS0_13select_configILj256ELj13ELNS0_17block_load_methodE3ELS4_3ELS4_3ELNS0_20block_scan_algorithmE0ELj4294967295EEENS1_25partition_config_selectorILNS1_17partition_subalgoE4EjNS0_10empty_typeEbEEZZNS1_14partition_implILS8_4ELb0ES6_15HIP_vector_typeIjLj2EENS0_17counting_iteratorIjlEEPS9_SG_NS0_5tupleIJPjSI_NS0_16reverse_iteratorISI_EEEEENSH_IJSG_SG_SG_EEES9_SI_JZNS1_25segmented_radix_sort_implINS0_14default_configELb0EPKaPaPKlPlN2at6native12_GLOBAL__N_18offset_tEEE10hipError_tPvRmT1_PNSt15iterator_traitsIS12_E10value_typeET2_T3_PNS13_IS18_E10value_typeET4_jRbjT5_S1E_jjP12ihipStream_tbEUljE_ZNSN_ISO_Lb0ESQ_SR_ST_SU_SY_EESZ_S10_S11_S12_S16_S17_S18_S1B_S1C_jS1D_jS1E_S1E_jjS1G_bEUljE0_EEESZ_S10_S11_S18_S1C_S1E_T6_T7_T9_mT8_S1G_bDpT10_ENKUlT_T0_E_clISt17integral_constantIbLb0EES1T_IbLb1EEEEDaS1P_S1Q_EUlS1P_E_NS1_11comp_targetILNS1_3genE5ELNS1_11target_archE942ELNS1_3gpuE9ELNS1_3repE0EEENS1_30default_config_static_selectorELNS0_4arch9wavefront6targetE0EEEvS12_.uses_flat_scratch, 0
	.set _ZN7rocprim17ROCPRIM_400000_NS6detail17trampoline_kernelINS0_13select_configILj256ELj13ELNS0_17block_load_methodE3ELS4_3ELS4_3ELNS0_20block_scan_algorithmE0ELj4294967295EEENS1_25partition_config_selectorILNS1_17partition_subalgoE4EjNS0_10empty_typeEbEEZZNS1_14partition_implILS8_4ELb0ES6_15HIP_vector_typeIjLj2EENS0_17counting_iteratorIjlEEPS9_SG_NS0_5tupleIJPjSI_NS0_16reverse_iteratorISI_EEEEENSH_IJSG_SG_SG_EEES9_SI_JZNS1_25segmented_radix_sort_implINS0_14default_configELb0EPKaPaPKlPlN2at6native12_GLOBAL__N_18offset_tEEE10hipError_tPvRmT1_PNSt15iterator_traitsIS12_E10value_typeET2_T3_PNS13_IS18_E10value_typeET4_jRbjT5_S1E_jjP12ihipStream_tbEUljE_ZNSN_ISO_Lb0ESQ_SR_ST_SU_SY_EESZ_S10_S11_S12_S16_S17_S18_S1B_S1C_jS1D_jS1E_S1E_jjS1G_bEUljE0_EEESZ_S10_S11_S18_S1C_S1E_T6_T7_T9_mT8_S1G_bDpT10_ENKUlT_T0_E_clISt17integral_constantIbLb0EES1T_IbLb1EEEEDaS1P_S1Q_EUlS1P_E_NS1_11comp_targetILNS1_3genE5ELNS1_11target_archE942ELNS1_3gpuE9ELNS1_3repE0EEENS1_30default_config_static_selectorELNS0_4arch9wavefront6targetE0EEEvS12_.has_dyn_sized_stack, 0
	.set _ZN7rocprim17ROCPRIM_400000_NS6detail17trampoline_kernelINS0_13select_configILj256ELj13ELNS0_17block_load_methodE3ELS4_3ELS4_3ELNS0_20block_scan_algorithmE0ELj4294967295EEENS1_25partition_config_selectorILNS1_17partition_subalgoE4EjNS0_10empty_typeEbEEZZNS1_14partition_implILS8_4ELb0ES6_15HIP_vector_typeIjLj2EENS0_17counting_iteratorIjlEEPS9_SG_NS0_5tupleIJPjSI_NS0_16reverse_iteratorISI_EEEEENSH_IJSG_SG_SG_EEES9_SI_JZNS1_25segmented_radix_sort_implINS0_14default_configELb0EPKaPaPKlPlN2at6native12_GLOBAL__N_18offset_tEEE10hipError_tPvRmT1_PNSt15iterator_traitsIS12_E10value_typeET2_T3_PNS13_IS18_E10value_typeET4_jRbjT5_S1E_jjP12ihipStream_tbEUljE_ZNSN_ISO_Lb0ESQ_SR_ST_SU_SY_EESZ_S10_S11_S12_S16_S17_S18_S1B_S1C_jS1D_jS1E_S1E_jjS1G_bEUljE0_EEESZ_S10_S11_S18_S1C_S1E_T6_T7_T9_mT8_S1G_bDpT10_ENKUlT_T0_E_clISt17integral_constantIbLb0EES1T_IbLb1EEEEDaS1P_S1Q_EUlS1P_E_NS1_11comp_targetILNS1_3genE5ELNS1_11target_archE942ELNS1_3gpuE9ELNS1_3repE0EEENS1_30default_config_static_selectorELNS0_4arch9wavefront6targetE0EEEvS12_.has_recursion, 0
	.set _ZN7rocprim17ROCPRIM_400000_NS6detail17trampoline_kernelINS0_13select_configILj256ELj13ELNS0_17block_load_methodE3ELS4_3ELS4_3ELNS0_20block_scan_algorithmE0ELj4294967295EEENS1_25partition_config_selectorILNS1_17partition_subalgoE4EjNS0_10empty_typeEbEEZZNS1_14partition_implILS8_4ELb0ES6_15HIP_vector_typeIjLj2EENS0_17counting_iteratorIjlEEPS9_SG_NS0_5tupleIJPjSI_NS0_16reverse_iteratorISI_EEEEENSH_IJSG_SG_SG_EEES9_SI_JZNS1_25segmented_radix_sort_implINS0_14default_configELb0EPKaPaPKlPlN2at6native12_GLOBAL__N_18offset_tEEE10hipError_tPvRmT1_PNSt15iterator_traitsIS12_E10value_typeET2_T3_PNS13_IS18_E10value_typeET4_jRbjT5_S1E_jjP12ihipStream_tbEUljE_ZNSN_ISO_Lb0ESQ_SR_ST_SU_SY_EESZ_S10_S11_S12_S16_S17_S18_S1B_S1C_jS1D_jS1E_S1E_jjS1G_bEUljE0_EEESZ_S10_S11_S18_S1C_S1E_T6_T7_T9_mT8_S1G_bDpT10_ENKUlT_T0_E_clISt17integral_constantIbLb0EES1T_IbLb1EEEEDaS1P_S1Q_EUlS1P_E_NS1_11comp_targetILNS1_3genE5ELNS1_11target_archE942ELNS1_3gpuE9ELNS1_3repE0EEENS1_30default_config_static_selectorELNS0_4arch9wavefront6targetE0EEEvS12_.has_indirect_call, 0
	.section	.AMDGPU.csdata,"",@progbits
; Kernel info:
; codeLenInByte = 0
; TotalNumSgprs: 0
; NumVgprs: 0
; ScratchSize: 0
; MemoryBound: 0
; FloatMode: 240
; IeeeMode: 1
; LDSByteSize: 0 bytes/workgroup (compile time only)
; SGPRBlocks: 0
; VGPRBlocks: 0
; NumSGPRsForWavesPerEU: 1
; NumVGPRsForWavesPerEU: 1
; NamedBarCnt: 0
; Occupancy: 16
; WaveLimiterHint : 0
; COMPUTE_PGM_RSRC2:SCRATCH_EN: 0
; COMPUTE_PGM_RSRC2:USER_SGPR: 2
; COMPUTE_PGM_RSRC2:TRAP_HANDLER: 0
; COMPUTE_PGM_RSRC2:TGID_X_EN: 1
; COMPUTE_PGM_RSRC2:TGID_Y_EN: 0
; COMPUTE_PGM_RSRC2:TGID_Z_EN: 0
; COMPUTE_PGM_RSRC2:TIDIG_COMP_CNT: 0
	.section	.text._ZN7rocprim17ROCPRIM_400000_NS6detail17trampoline_kernelINS0_13select_configILj256ELj13ELNS0_17block_load_methodE3ELS4_3ELS4_3ELNS0_20block_scan_algorithmE0ELj4294967295EEENS1_25partition_config_selectorILNS1_17partition_subalgoE4EjNS0_10empty_typeEbEEZZNS1_14partition_implILS8_4ELb0ES6_15HIP_vector_typeIjLj2EENS0_17counting_iteratorIjlEEPS9_SG_NS0_5tupleIJPjSI_NS0_16reverse_iteratorISI_EEEEENSH_IJSG_SG_SG_EEES9_SI_JZNS1_25segmented_radix_sort_implINS0_14default_configELb0EPKaPaPKlPlN2at6native12_GLOBAL__N_18offset_tEEE10hipError_tPvRmT1_PNSt15iterator_traitsIS12_E10value_typeET2_T3_PNS13_IS18_E10value_typeET4_jRbjT5_S1E_jjP12ihipStream_tbEUljE_ZNSN_ISO_Lb0ESQ_SR_ST_SU_SY_EESZ_S10_S11_S12_S16_S17_S18_S1B_S1C_jS1D_jS1E_S1E_jjS1G_bEUljE0_EEESZ_S10_S11_S18_S1C_S1E_T6_T7_T9_mT8_S1G_bDpT10_ENKUlT_T0_E_clISt17integral_constantIbLb0EES1T_IbLb1EEEEDaS1P_S1Q_EUlS1P_E_NS1_11comp_targetILNS1_3genE4ELNS1_11target_archE910ELNS1_3gpuE8ELNS1_3repE0EEENS1_30default_config_static_selectorELNS0_4arch9wavefront6targetE0EEEvS12_,"axG",@progbits,_ZN7rocprim17ROCPRIM_400000_NS6detail17trampoline_kernelINS0_13select_configILj256ELj13ELNS0_17block_load_methodE3ELS4_3ELS4_3ELNS0_20block_scan_algorithmE0ELj4294967295EEENS1_25partition_config_selectorILNS1_17partition_subalgoE4EjNS0_10empty_typeEbEEZZNS1_14partition_implILS8_4ELb0ES6_15HIP_vector_typeIjLj2EENS0_17counting_iteratorIjlEEPS9_SG_NS0_5tupleIJPjSI_NS0_16reverse_iteratorISI_EEEEENSH_IJSG_SG_SG_EEES9_SI_JZNS1_25segmented_radix_sort_implINS0_14default_configELb0EPKaPaPKlPlN2at6native12_GLOBAL__N_18offset_tEEE10hipError_tPvRmT1_PNSt15iterator_traitsIS12_E10value_typeET2_T3_PNS13_IS18_E10value_typeET4_jRbjT5_S1E_jjP12ihipStream_tbEUljE_ZNSN_ISO_Lb0ESQ_SR_ST_SU_SY_EESZ_S10_S11_S12_S16_S17_S18_S1B_S1C_jS1D_jS1E_S1E_jjS1G_bEUljE0_EEESZ_S10_S11_S18_S1C_S1E_T6_T7_T9_mT8_S1G_bDpT10_ENKUlT_T0_E_clISt17integral_constantIbLb0EES1T_IbLb1EEEEDaS1P_S1Q_EUlS1P_E_NS1_11comp_targetILNS1_3genE4ELNS1_11target_archE910ELNS1_3gpuE8ELNS1_3repE0EEENS1_30default_config_static_selectorELNS0_4arch9wavefront6targetE0EEEvS12_,comdat
	.globl	_ZN7rocprim17ROCPRIM_400000_NS6detail17trampoline_kernelINS0_13select_configILj256ELj13ELNS0_17block_load_methodE3ELS4_3ELS4_3ELNS0_20block_scan_algorithmE0ELj4294967295EEENS1_25partition_config_selectorILNS1_17partition_subalgoE4EjNS0_10empty_typeEbEEZZNS1_14partition_implILS8_4ELb0ES6_15HIP_vector_typeIjLj2EENS0_17counting_iteratorIjlEEPS9_SG_NS0_5tupleIJPjSI_NS0_16reverse_iteratorISI_EEEEENSH_IJSG_SG_SG_EEES9_SI_JZNS1_25segmented_radix_sort_implINS0_14default_configELb0EPKaPaPKlPlN2at6native12_GLOBAL__N_18offset_tEEE10hipError_tPvRmT1_PNSt15iterator_traitsIS12_E10value_typeET2_T3_PNS13_IS18_E10value_typeET4_jRbjT5_S1E_jjP12ihipStream_tbEUljE_ZNSN_ISO_Lb0ESQ_SR_ST_SU_SY_EESZ_S10_S11_S12_S16_S17_S18_S1B_S1C_jS1D_jS1E_S1E_jjS1G_bEUljE0_EEESZ_S10_S11_S18_S1C_S1E_T6_T7_T9_mT8_S1G_bDpT10_ENKUlT_T0_E_clISt17integral_constantIbLb0EES1T_IbLb1EEEEDaS1P_S1Q_EUlS1P_E_NS1_11comp_targetILNS1_3genE4ELNS1_11target_archE910ELNS1_3gpuE8ELNS1_3repE0EEENS1_30default_config_static_selectorELNS0_4arch9wavefront6targetE0EEEvS12_ ; -- Begin function _ZN7rocprim17ROCPRIM_400000_NS6detail17trampoline_kernelINS0_13select_configILj256ELj13ELNS0_17block_load_methodE3ELS4_3ELS4_3ELNS0_20block_scan_algorithmE0ELj4294967295EEENS1_25partition_config_selectorILNS1_17partition_subalgoE4EjNS0_10empty_typeEbEEZZNS1_14partition_implILS8_4ELb0ES6_15HIP_vector_typeIjLj2EENS0_17counting_iteratorIjlEEPS9_SG_NS0_5tupleIJPjSI_NS0_16reverse_iteratorISI_EEEEENSH_IJSG_SG_SG_EEES9_SI_JZNS1_25segmented_radix_sort_implINS0_14default_configELb0EPKaPaPKlPlN2at6native12_GLOBAL__N_18offset_tEEE10hipError_tPvRmT1_PNSt15iterator_traitsIS12_E10value_typeET2_T3_PNS13_IS18_E10value_typeET4_jRbjT5_S1E_jjP12ihipStream_tbEUljE_ZNSN_ISO_Lb0ESQ_SR_ST_SU_SY_EESZ_S10_S11_S12_S16_S17_S18_S1B_S1C_jS1D_jS1E_S1E_jjS1G_bEUljE0_EEESZ_S10_S11_S18_S1C_S1E_T6_T7_T9_mT8_S1G_bDpT10_ENKUlT_T0_E_clISt17integral_constantIbLb0EES1T_IbLb1EEEEDaS1P_S1Q_EUlS1P_E_NS1_11comp_targetILNS1_3genE4ELNS1_11target_archE910ELNS1_3gpuE8ELNS1_3repE0EEENS1_30default_config_static_selectorELNS0_4arch9wavefront6targetE0EEEvS12_
	.p2align	8
	.type	_ZN7rocprim17ROCPRIM_400000_NS6detail17trampoline_kernelINS0_13select_configILj256ELj13ELNS0_17block_load_methodE3ELS4_3ELS4_3ELNS0_20block_scan_algorithmE0ELj4294967295EEENS1_25partition_config_selectorILNS1_17partition_subalgoE4EjNS0_10empty_typeEbEEZZNS1_14partition_implILS8_4ELb0ES6_15HIP_vector_typeIjLj2EENS0_17counting_iteratorIjlEEPS9_SG_NS0_5tupleIJPjSI_NS0_16reverse_iteratorISI_EEEEENSH_IJSG_SG_SG_EEES9_SI_JZNS1_25segmented_radix_sort_implINS0_14default_configELb0EPKaPaPKlPlN2at6native12_GLOBAL__N_18offset_tEEE10hipError_tPvRmT1_PNSt15iterator_traitsIS12_E10value_typeET2_T3_PNS13_IS18_E10value_typeET4_jRbjT5_S1E_jjP12ihipStream_tbEUljE_ZNSN_ISO_Lb0ESQ_SR_ST_SU_SY_EESZ_S10_S11_S12_S16_S17_S18_S1B_S1C_jS1D_jS1E_S1E_jjS1G_bEUljE0_EEESZ_S10_S11_S18_S1C_S1E_T6_T7_T9_mT8_S1G_bDpT10_ENKUlT_T0_E_clISt17integral_constantIbLb0EES1T_IbLb1EEEEDaS1P_S1Q_EUlS1P_E_NS1_11comp_targetILNS1_3genE4ELNS1_11target_archE910ELNS1_3gpuE8ELNS1_3repE0EEENS1_30default_config_static_selectorELNS0_4arch9wavefront6targetE0EEEvS12_,@function
_ZN7rocprim17ROCPRIM_400000_NS6detail17trampoline_kernelINS0_13select_configILj256ELj13ELNS0_17block_load_methodE3ELS4_3ELS4_3ELNS0_20block_scan_algorithmE0ELj4294967295EEENS1_25partition_config_selectorILNS1_17partition_subalgoE4EjNS0_10empty_typeEbEEZZNS1_14partition_implILS8_4ELb0ES6_15HIP_vector_typeIjLj2EENS0_17counting_iteratorIjlEEPS9_SG_NS0_5tupleIJPjSI_NS0_16reverse_iteratorISI_EEEEENSH_IJSG_SG_SG_EEES9_SI_JZNS1_25segmented_radix_sort_implINS0_14default_configELb0EPKaPaPKlPlN2at6native12_GLOBAL__N_18offset_tEEE10hipError_tPvRmT1_PNSt15iterator_traitsIS12_E10value_typeET2_T3_PNS13_IS18_E10value_typeET4_jRbjT5_S1E_jjP12ihipStream_tbEUljE_ZNSN_ISO_Lb0ESQ_SR_ST_SU_SY_EESZ_S10_S11_S12_S16_S17_S18_S1B_S1C_jS1D_jS1E_S1E_jjS1G_bEUljE0_EEESZ_S10_S11_S18_S1C_S1E_T6_T7_T9_mT8_S1G_bDpT10_ENKUlT_T0_E_clISt17integral_constantIbLb0EES1T_IbLb1EEEEDaS1P_S1Q_EUlS1P_E_NS1_11comp_targetILNS1_3genE4ELNS1_11target_archE910ELNS1_3gpuE8ELNS1_3repE0EEENS1_30default_config_static_selectorELNS0_4arch9wavefront6targetE0EEEvS12_: ; @_ZN7rocprim17ROCPRIM_400000_NS6detail17trampoline_kernelINS0_13select_configILj256ELj13ELNS0_17block_load_methodE3ELS4_3ELS4_3ELNS0_20block_scan_algorithmE0ELj4294967295EEENS1_25partition_config_selectorILNS1_17partition_subalgoE4EjNS0_10empty_typeEbEEZZNS1_14partition_implILS8_4ELb0ES6_15HIP_vector_typeIjLj2EENS0_17counting_iteratorIjlEEPS9_SG_NS0_5tupleIJPjSI_NS0_16reverse_iteratorISI_EEEEENSH_IJSG_SG_SG_EEES9_SI_JZNS1_25segmented_radix_sort_implINS0_14default_configELb0EPKaPaPKlPlN2at6native12_GLOBAL__N_18offset_tEEE10hipError_tPvRmT1_PNSt15iterator_traitsIS12_E10value_typeET2_T3_PNS13_IS18_E10value_typeET4_jRbjT5_S1E_jjP12ihipStream_tbEUljE_ZNSN_ISO_Lb0ESQ_SR_ST_SU_SY_EESZ_S10_S11_S12_S16_S17_S18_S1B_S1C_jS1D_jS1E_S1E_jjS1G_bEUljE0_EEESZ_S10_S11_S18_S1C_S1E_T6_T7_T9_mT8_S1G_bDpT10_ENKUlT_T0_E_clISt17integral_constantIbLb0EES1T_IbLb1EEEEDaS1P_S1Q_EUlS1P_E_NS1_11comp_targetILNS1_3genE4ELNS1_11target_archE910ELNS1_3gpuE8ELNS1_3repE0EEENS1_30default_config_static_selectorELNS0_4arch9wavefront6targetE0EEEvS12_
; %bb.0:
	.section	.rodata,"a",@progbits
	.p2align	6, 0x0
	.amdhsa_kernel _ZN7rocprim17ROCPRIM_400000_NS6detail17trampoline_kernelINS0_13select_configILj256ELj13ELNS0_17block_load_methodE3ELS4_3ELS4_3ELNS0_20block_scan_algorithmE0ELj4294967295EEENS1_25partition_config_selectorILNS1_17partition_subalgoE4EjNS0_10empty_typeEbEEZZNS1_14partition_implILS8_4ELb0ES6_15HIP_vector_typeIjLj2EENS0_17counting_iteratorIjlEEPS9_SG_NS0_5tupleIJPjSI_NS0_16reverse_iteratorISI_EEEEENSH_IJSG_SG_SG_EEES9_SI_JZNS1_25segmented_radix_sort_implINS0_14default_configELb0EPKaPaPKlPlN2at6native12_GLOBAL__N_18offset_tEEE10hipError_tPvRmT1_PNSt15iterator_traitsIS12_E10value_typeET2_T3_PNS13_IS18_E10value_typeET4_jRbjT5_S1E_jjP12ihipStream_tbEUljE_ZNSN_ISO_Lb0ESQ_SR_ST_SU_SY_EESZ_S10_S11_S12_S16_S17_S18_S1B_S1C_jS1D_jS1E_S1E_jjS1G_bEUljE0_EEESZ_S10_S11_S18_S1C_S1E_T6_T7_T9_mT8_S1G_bDpT10_ENKUlT_T0_E_clISt17integral_constantIbLb0EES1T_IbLb1EEEEDaS1P_S1Q_EUlS1P_E_NS1_11comp_targetILNS1_3genE4ELNS1_11target_archE910ELNS1_3gpuE8ELNS1_3repE0EEENS1_30default_config_static_selectorELNS0_4arch9wavefront6targetE0EEEvS12_
		.amdhsa_group_segment_fixed_size 0
		.amdhsa_private_segment_fixed_size 0
		.amdhsa_kernarg_size 184
		.amdhsa_user_sgpr_count 2
		.amdhsa_user_sgpr_dispatch_ptr 0
		.amdhsa_user_sgpr_queue_ptr 0
		.amdhsa_user_sgpr_kernarg_segment_ptr 1
		.amdhsa_user_sgpr_dispatch_id 0
		.amdhsa_user_sgpr_kernarg_preload_length 0
		.amdhsa_user_sgpr_kernarg_preload_offset 0
		.amdhsa_user_sgpr_private_segment_size 0
		.amdhsa_wavefront_size32 1
		.amdhsa_uses_dynamic_stack 0
		.amdhsa_enable_private_segment 0
		.amdhsa_system_sgpr_workgroup_id_x 1
		.amdhsa_system_sgpr_workgroup_id_y 0
		.amdhsa_system_sgpr_workgroup_id_z 0
		.amdhsa_system_sgpr_workgroup_info 0
		.amdhsa_system_vgpr_workitem_id 0
		.amdhsa_next_free_vgpr 1
		.amdhsa_next_free_sgpr 1
		.amdhsa_named_barrier_count 0
		.amdhsa_reserve_vcc 0
		.amdhsa_float_round_mode_32 0
		.amdhsa_float_round_mode_16_64 0
		.amdhsa_float_denorm_mode_32 3
		.amdhsa_float_denorm_mode_16_64 3
		.amdhsa_fp16_overflow 0
		.amdhsa_memory_ordered 1
		.amdhsa_forward_progress 1
		.amdhsa_inst_pref_size 0
		.amdhsa_round_robin_scheduling 0
		.amdhsa_exception_fp_ieee_invalid_op 0
		.amdhsa_exception_fp_denorm_src 0
		.amdhsa_exception_fp_ieee_div_zero 0
		.amdhsa_exception_fp_ieee_overflow 0
		.amdhsa_exception_fp_ieee_underflow 0
		.amdhsa_exception_fp_ieee_inexact 0
		.amdhsa_exception_int_div_zero 0
	.end_amdhsa_kernel
	.section	.text._ZN7rocprim17ROCPRIM_400000_NS6detail17trampoline_kernelINS0_13select_configILj256ELj13ELNS0_17block_load_methodE3ELS4_3ELS4_3ELNS0_20block_scan_algorithmE0ELj4294967295EEENS1_25partition_config_selectorILNS1_17partition_subalgoE4EjNS0_10empty_typeEbEEZZNS1_14partition_implILS8_4ELb0ES6_15HIP_vector_typeIjLj2EENS0_17counting_iteratorIjlEEPS9_SG_NS0_5tupleIJPjSI_NS0_16reverse_iteratorISI_EEEEENSH_IJSG_SG_SG_EEES9_SI_JZNS1_25segmented_radix_sort_implINS0_14default_configELb0EPKaPaPKlPlN2at6native12_GLOBAL__N_18offset_tEEE10hipError_tPvRmT1_PNSt15iterator_traitsIS12_E10value_typeET2_T3_PNS13_IS18_E10value_typeET4_jRbjT5_S1E_jjP12ihipStream_tbEUljE_ZNSN_ISO_Lb0ESQ_SR_ST_SU_SY_EESZ_S10_S11_S12_S16_S17_S18_S1B_S1C_jS1D_jS1E_S1E_jjS1G_bEUljE0_EEESZ_S10_S11_S18_S1C_S1E_T6_T7_T9_mT8_S1G_bDpT10_ENKUlT_T0_E_clISt17integral_constantIbLb0EES1T_IbLb1EEEEDaS1P_S1Q_EUlS1P_E_NS1_11comp_targetILNS1_3genE4ELNS1_11target_archE910ELNS1_3gpuE8ELNS1_3repE0EEENS1_30default_config_static_selectorELNS0_4arch9wavefront6targetE0EEEvS12_,"axG",@progbits,_ZN7rocprim17ROCPRIM_400000_NS6detail17trampoline_kernelINS0_13select_configILj256ELj13ELNS0_17block_load_methodE3ELS4_3ELS4_3ELNS0_20block_scan_algorithmE0ELj4294967295EEENS1_25partition_config_selectorILNS1_17partition_subalgoE4EjNS0_10empty_typeEbEEZZNS1_14partition_implILS8_4ELb0ES6_15HIP_vector_typeIjLj2EENS0_17counting_iteratorIjlEEPS9_SG_NS0_5tupleIJPjSI_NS0_16reverse_iteratorISI_EEEEENSH_IJSG_SG_SG_EEES9_SI_JZNS1_25segmented_radix_sort_implINS0_14default_configELb0EPKaPaPKlPlN2at6native12_GLOBAL__N_18offset_tEEE10hipError_tPvRmT1_PNSt15iterator_traitsIS12_E10value_typeET2_T3_PNS13_IS18_E10value_typeET4_jRbjT5_S1E_jjP12ihipStream_tbEUljE_ZNSN_ISO_Lb0ESQ_SR_ST_SU_SY_EESZ_S10_S11_S12_S16_S17_S18_S1B_S1C_jS1D_jS1E_S1E_jjS1G_bEUljE0_EEESZ_S10_S11_S18_S1C_S1E_T6_T7_T9_mT8_S1G_bDpT10_ENKUlT_T0_E_clISt17integral_constantIbLb0EES1T_IbLb1EEEEDaS1P_S1Q_EUlS1P_E_NS1_11comp_targetILNS1_3genE4ELNS1_11target_archE910ELNS1_3gpuE8ELNS1_3repE0EEENS1_30default_config_static_selectorELNS0_4arch9wavefront6targetE0EEEvS12_,comdat
.Lfunc_end352:
	.size	_ZN7rocprim17ROCPRIM_400000_NS6detail17trampoline_kernelINS0_13select_configILj256ELj13ELNS0_17block_load_methodE3ELS4_3ELS4_3ELNS0_20block_scan_algorithmE0ELj4294967295EEENS1_25partition_config_selectorILNS1_17partition_subalgoE4EjNS0_10empty_typeEbEEZZNS1_14partition_implILS8_4ELb0ES6_15HIP_vector_typeIjLj2EENS0_17counting_iteratorIjlEEPS9_SG_NS0_5tupleIJPjSI_NS0_16reverse_iteratorISI_EEEEENSH_IJSG_SG_SG_EEES9_SI_JZNS1_25segmented_radix_sort_implINS0_14default_configELb0EPKaPaPKlPlN2at6native12_GLOBAL__N_18offset_tEEE10hipError_tPvRmT1_PNSt15iterator_traitsIS12_E10value_typeET2_T3_PNS13_IS18_E10value_typeET4_jRbjT5_S1E_jjP12ihipStream_tbEUljE_ZNSN_ISO_Lb0ESQ_SR_ST_SU_SY_EESZ_S10_S11_S12_S16_S17_S18_S1B_S1C_jS1D_jS1E_S1E_jjS1G_bEUljE0_EEESZ_S10_S11_S18_S1C_S1E_T6_T7_T9_mT8_S1G_bDpT10_ENKUlT_T0_E_clISt17integral_constantIbLb0EES1T_IbLb1EEEEDaS1P_S1Q_EUlS1P_E_NS1_11comp_targetILNS1_3genE4ELNS1_11target_archE910ELNS1_3gpuE8ELNS1_3repE0EEENS1_30default_config_static_selectorELNS0_4arch9wavefront6targetE0EEEvS12_, .Lfunc_end352-_ZN7rocprim17ROCPRIM_400000_NS6detail17trampoline_kernelINS0_13select_configILj256ELj13ELNS0_17block_load_methodE3ELS4_3ELS4_3ELNS0_20block_scan_algorithmE0ELj4294967295EEENS1_25partition_config_selectorILNS1_17partition_subalgoE4EjNS0_10empty_typeEbEEZZNS1_14partition_implILS8_4ELb0ES6_15HIP_vector_typeIjLj2EENS0_17counting_iteratorIjlEEPS9_SG_NS0_5tupleIJPjSI_NS0_16reverse_iteratorISI_EEEEENSH_IJSG_SG_SG_EEES9_SI_JZNS1_25segmented_radix_sort_implINS0_14default_configELb0EPKaPaPKlPlN2at6native12_GLOBAL__N_18offset_tEEE10hipError_tPvRmT1_PNSt15iterator_traitsIS12_E10value_typeET2_T3_PNS13_IS18_E10value_typeET4_jRbjT5_S1E_jjP12ihipStream_tbEUljE_ZNSN_ISO_Lb0ESQ_SR_ST_SU_SY_EESZ_S10_S11_S12_S16_S17_S18_S1B_S1C_jS1D_jS1E_S1E_jjS1G_bEUljE0_EEESZ_S10_S11_S18_S1C_S1E_T6_T7_T9_mT8_S1G_bDpT10_ENKUlT_T0_E_clISt17integral_constantIbLb0EES1T_IbLb1EEEEDaS1P_S1Q_EUlS1P_E_NS1_11comp_targetILNS1_3genE4ELNS1_11target_archE910ELNS1_3gpuE8ELNS1_3repE0EEENS1_30default_config_static_selectorELNS0_4arch9wavefront6targetE0EEEvS12_
                                        ; -- End function
	.set _ZN7rocprim17ROCPRIM_400000_NS6detail17trampoline_kernelINS0_13select_configILj256ELj13ELNS0_17block_load_methodE3ELS4_3ELS4_3ELNS0_20block_scan_algorithmE0ELj4294967295EEENS1_25partition_config_selectorILNS1_17partition_subalgoE4EjNS0_10empty_typeEbEEZZNS1_14partition_implILS8_4ELb0ES6_15HIP_vector_typeIjLj2EENS0_17counting_iteratorIjlEEPS9_SG_NS0_5tupleIJPjSI_NS0_16reverse_iteratorISI_EEEEENSH_IJSG_SG_SG_EEES9_SI_JZNS1_25segmented_radix_sort_implINS0_14default_configELb0EPKaPaPKlPlN2at6native12_GLOBAL__N_18offset_tEEE10hipError_tPvRmT1_PNSt15iterator_traitsIS12_E10value_typeET2_T3_PNS13_IS18_E10value_typeET4_jRbjT5_S1E_jjP12ihipStream_tbEUljE_ZNSN_ISO_Lb0ESQ_SR_ST_SU_SY_EESZ_S10_S11_S12_S16_S17_S18_S1B_S1C_jS1D_jS1E_S1E_jjS1G_bEUljE0_EEESZ_S10_S11_S18_S1C_S1E_T6_T7_T9_mT8_S1G_bDpT10_ENKUlT_T0_E_clISt17integral_constantIbLb0EES1T_IbLb1EEEEDaS1P_S1Q_EUlS1P_E_NS1_11comp_targetILNS1_3genE4ELNS1_11target_archE910ELNS1_3gpuE8ELNS1_3repE0EEENS1_30default_config_static_selectorELNS0_4arch9wavefront6targetE0EEEvS12_.num_vgpr, 0
	.set _ZN7rocprim17ROCPRIM_400000_NS6detail17trampoline_kernelINS0_13select_configILj256ELj13ELNS0_17block_load_methodE3ELS4_3ELS4_3ELNS0_20block_scan_algorithmE0ELj4294967295EEENS1_25partition_config_selectorILNS1_17partition_subalgoE4EjNS0_10empty_typeEbEEZZNS1_14partition_implILS8_4ELb0ES6_15HIP_vector_typeIjLj2EENS0_17counting_iteratorIjlEEPS9_SG_NS0_5tupleIJPjSI_NS0_16reverse_iteratorISI_EEEEENSH_IJSG_SG_SG_EEES9_SI_JZNS1_25segmented_radix_sort_implINS0_14default_configELb0EPKaPaPKlPlN2at6native12_GLOBAL__N_18offset_tEEE10hipError_tPvRmT1_PNSt15iterator_traitsIS12_E10value_typeET2_T3_PNS13_IS18_E10value_typeET4_jRbjT5_S1E_jjP12ihipStream_tbEUljE_ZNSN_ISO_Lb0ESQ_SR_ST_SU_SY_EESZ_S10_S11_S12_S16_S17_S18_S1B_S1C_jS1D_jS1E_S1E_jjS1G_bEUljE0_EEESZ_S10_S11_S18_S1C_S1E_T6_T7_T9_mT8_S1G_bDpT10_ENKUlT_T0_E_clISt17integral_constantIbLb0EES1T_IbLb1EEEEDaS1P_S1Q_EUlS1P_E_NS1_11comp_targetILNS1_3genE4ELNS1_11target_archE910ELNS1_3gpuE8ELNS1_3repE0EEENS1_30default_config_static_selectorELNS0_4arch9wavefront6targetE0EEEvS12_.num_agpr, 0
	.set _ZN7rocprim17ROCPRIM_400000_NS6detail17trampoline_kernelINS0_13select_configILj256ELj13ELNS0_17block_load_methodE3ELS4_3ELS4_3ELNS0_20block_scan_algorithmE0ELj4294967295EEENS1_25partition_config_selectorILNS1_17partition_subalgoE4EjNS0_10empty_typeEbEEZZNS1_14partition_implILS8_4ELb0ES6_15HIP_vector_typeIjLj2EENS0_17counting_iteratorIjlEEPS9_SG_NS0_5tupleIJPjSI_NS0_16reverse_iteratorISI_EEEEENSH_IJSG_SG_SG_EEES9_SI_JZNS1_25segmented_radix_sort_implINS0_14default_configELb0EPKaPaPKlPlN2at6native12_GLOBAL__N_18offset_tEEE10hipError_tPvRmT1_PNSt15iterator_traitsIS12_E10value_typeET2_T3_PNS13_IS18_E10value_typeET4_jRbjT5_S1E_jjP12ihipStream_tbEUljE_ZNSN_ISO_Lb0ESQ_SR_ST_SU_SY_EESZ_S10_S11_S12_S16_S17_S18_S1B_S1C_jS1D_jS1E_S1E_jjS1G_bEUljE0_EEESZ_S10_S11_S18_S1C_S1E_T6_T7_T9_mT8_S1G_bDpT10_ENKUlT_T0_E_clISt17integral_constantIbLb0EES1T_IbLb1EEEEDaS1P_S1Q_EUlS1P_E_NS1_11comp_targetILNS1_3genE4ELNS1_11target_archE910ELNS1_3gpuE8ELNS1_3repE0EEENS1_30default_config_static_selectorELNS0_4arch9wavefront6targetE0EEEvS12_.numbered_sgpr, 0
	.set _ZN7rocprim17ROCPRIM_400000_NS6detail17trampoline_kernelINS0_13select_configILj256ELj13ELNS0_17block_load_methodE3ELS4_3ELS4_3ELNS0_20block_scan_algorithmE0ELj4294967295EEENS1_25partition_config_selectorILNS1_17partition_subalgoE4EjNS0_10empty_typeEbEEZZNS1_14partition_implILS8_4ELb0ES6_15HIP_vector_typeIjLj2EENS0_17counting_iteratorIjlEEPS9_SG_NS0_5tupleIJPjSI_NS0_16reverse_iteratorISI_EEEEENSH_IJSG_SG_SG_EEES9_SI_JZNS1_25segmented_radix_sort_implINS0_14default_configELb0EPKaPaPKlPlN2at6native12_GLOBAL__N_18offset_tEEE10hipError_tPvRmT1_PNSt15iterator_traitsIS12_E10value_typeET2_T3_PNS13_IS18_E10value_typeET4_jRbjT5_S1E_jjP12ihipStream_tbEUljE_ZNSN_ISO_Lb0ESQ_SR_ST_SU_SY_EESZ_S10_S11_S12_S16_S17_S18_S1B_S1C_jS1D_jS1E_S1E_jjS1G_bEUljE0_EEESZ_S10_S11_S18_S1C_S1E_T6_T7_T9_mT8_S1G_bDpT10_ENKUlT_T0_E_clISt17integral_constantIbLb0EES1T_IbLb1EEEEDaS1P_S1Q_EUlS1P_E_NS1_11comp_targetILNS1_3genE4ELNS1_11target_archE910ELNS1_3gpuE8ELNS1_3repE0EEENS1_30default_config_static_selectorELNS0_4arch9wavefront6targetE0EEEvS12_.num_named_barrier, 0
	.set _ZN7rocprim17ROCPRIM_400000_NS6detail17trampoline_kernelINS0_13select_configILj256ELj13ELNS0_17block_load_methodE3ELS4_3ELS4_3ELNS0_20block_scan_algorithmE0ELj4294967295EEENS1_25partition_config_selectorILNS1_17partition_subalgoE4EjNS0_10empty_typeEbEEZZNS1_14partition_implILS8_4ELb0ES6_15HIP_vector_typeIjLj2EENS0_17counting_iteratorIjlEEPS9_SG_NS0_5tupleIJPjSI_NS0_16reverse_iteratorISI_EEEEENSH_IJSG_SG_SG_EEES9_SI_JZNS1_25segmented_radix_sort_implINS0_14default_configELb0EPKaPaPKlPlN2at6native12_GLOBAL__N_18offset_tEEE10hipError_tPvRmT1_PNSt15iterator_traitsIS12_E10value_typeET2_T3_PNS13_IS18_E10value_typeET4_jRbjT5_S1E_jjP12ihipStream_tbEUljE_ZNSN_ISO_Lb0ESQ_SR_ST_SU_SY_EESZ_S10_S11_S12_S16_S17_S18_S1B_S1C_jS1D_jS1E_S1E_jjS1G_bEUljE0_EEESZ_S10_S11_S18_S1C_S1E_T6_T7_T9_mT8_S1G_bDpT10_ENKUlT_T0_E_clISt17integral_constantIbLb0EES1T_IbLb1EEEEDaS1P_S1Q_EUlS1P_E_NS1_11comp_targetILNS1_3genE4ELNS1_11target_archE910ELNS1_3gpuE8ELNS1_3repE0EEENS1_30default_config_static_selectorELNS0_4arch9wavefront6targetE0EEEvS12_.private_seg_size, 0
	.set _ZN7rocprim17ROCPRIM_400000_NS6detail17trampoline_kernelINS0_13select_configILj256ELj13ELNS0_17block_load_methodE3ELS4_3ELS4_3ELNS0_20block_scan_algorithmE0ELj4294967295EEENS1_25partition_config_selectorILNS1_17partition_subalgoE4EjNS0_10empty_typeEbEEZZNS1_14partition_implILS8_4ELb0ES6_15HIP_vector_typeIjLj2EENS0_17counting_iteratorIjlEEPS9_SG_NS0_5tupleIJPjSI_NS0_16reverse_iteratorISI_EEEEENSH_IJSG_SG_SG_EEES9_SI_JZNS1_25segmented_radix_sort_implINS0_14default_configELb0EPKaPaPKlPlN2at6native12_GLOBAL__N_18offset_tEEE10hipError_tPvRmT1_PNSt15iterator_traitsIS12_E10value_typeET2_T3_PNS13_IS18_E10value_typeET4_jRbjT5_S1E_jjP12ihipStream_tbEUljE_ZNSN_ISO_Lb0ESQ_SR_ST_SU_SY_EESZ_S10_S11_S12_S16_S17_S18_S1B_S1C_jS1D_jS1E_S1E_jjS1G_bEUljE0_EEESZ_S10_S11_S18_S1C_S1E_T6_T7_T9_mT8_S1G_bDpT10_ENKUlT_T0_E_clISt17integral_constantIbLb0EES1T_IbLb1EEEEDaS1P_S1Q_EUlS1P_E_NS1_11comp_targetILNS1_3genE4ELNS1_11target_archE910ELNS1_3gpuE8ELNS1_3repE0EEENS1_30default_config_static_selectorELNS0_4arch9wavefront6targetE0EEEvS12_.uses_vcc, 0
	.set _ZN7rocprim17ROCPRIM_400000_NS6detail17trampoline_kernelINS0_13select_configILj256ELj13ELNS0_17block_load_methodE3ELS4_3ELS4_3ELNS0_20block_scan_algorithmE0ELj4294967295EEENS1_25partition_config_selectorILNS1_17partition_subalgoE4EjNS0_10empty_typeEbEEZZNS1_14partition_implILS8_4ELb0ES6_15HIP_vector_typeIjLj2EENS0_17counting_iteratorIjlEEPS9_SG_NS0_5tupleIJPjSI_NS0_16reverse_iteratorISI_EEEEENSH_IJSG_SG_SG_EEES9_SI_JZNS1_25segmented_radix_sort_implINS0_14default_configELb0EPKaPaPKlPlN2at6native12_GLOBAL__N_18offset_tEEE10hipError_tPvRmT1_PNSt15iterator_traitsIS12_E10value_typeET2_T3_PNS13_IS18_E10value_typeET4_jRbjT5_S1E_jjP12ihipStream_tbEUljE_ZNSN_ISO_Lb0ESQ_SR_ST_SU_SY_EESZ_S10_S11_S12_S16_S17_S18_S1B_S1C_jS1D_jS1E_S1E_jjS1G_bEUljE0_EEESZ_S10_S11_S18_S1C_S1E_T6_T7_T9_mT8_S1G_bDpT10_ENKUlT_T0_E_clISt17integral_constantIbLb0EES1T_IbLb1EEEEDaS1P_S1Q_EUlS1P_E_NS1_11comp_targetILNS1_3genE4ELNS1_11target_archE910ELNS1_3gpuE8ELNS1_3repE0EEENS1_30default_config_static_selectorELNS0_4arch9wavefront6targetE0EEEvS12_.uses_flat_scratch, 0
	.set _ZN7rocprim17ROCPRIM_400000_NS6detail17trampoline_kernelINS0_13select_configILj256ELj13ELNS0_17block_load_methodE3ELS4_3ELS4_3ELNS0_20block_scan_algorithmE0ELj4294967295EEENS1_25partition_config_selectorILNS1_17partition_subalgoE4EjNS0_10empty_typeEbEEZZNS1_14partition_implILS8_4ELb0ES6_15HIP_vector_typeIjLj2EENS0_17counting_iteratorIjlEEPS9_SG_NS0_5tupleIJPjSI_NS0_16reverse_iteratorISI_EEEEENSH_IJSG_SG_SG_EEES9_SI_JZNS1_25segmented_radix_sort_implINS0_14default_configELb0EPKaPaPKlPlN2at6native12_GLOBAL__N_18offset_tEEE10hipError_tPvRmT1_PNSt15iterator_traitsIS12_E10value_typeET2_T3_PNS13_IS18_E10value_typeET4_jRbjT5_S1E_jjP12ihipStream_tbEUljE_ZNSN_ISO_Lb0ESQ_SR_ST_SU_SY_EESZ_S10_S11_S12_S16_S17_S18_S1B_S1C_jS1D_jS1E_S1E_jjS1G_bEUljE0_EEESZ_S10_S11_S18_S1C_S1E_T6_T7_T9_mT8_S1G_bDpT10_ENKUlT_T0_E_clISt17integral_constantIbLb0EES1T_IbLb1EEEEDaS1P_S1Q_EUlS1P_E_NS1_11comp_targetILNS1_3genE4ELNS1_11target_archE910ELNS1_3gpuE8ELNS1_3repE0EEENS1_30default_config_static_selectorELNS0_4arch9wavefront6targetE0EEEvS12_.has_dyn_sized_stack, 0
	.set _ZN7rocprim17ROCPRIM_400000_NS6detail17trampoline_kernelINS0_13select_configILj256ELj13ELNS0_17block_load_methodE3ELS4_3ELS4_3ELNS0_20block_scan_algorithmE0ELj4294967295EEENS1_25partition_config_selectorILNS1_17partition_subalgoE4EjNS0_10empty_typeEbEEZZNS1_14partition_implILS8_4ELb0ES6_15HIP_vector_typeIjLj2EENS0_17counting_iteratorIjlEEPS9_SG_NS0_5tupleIJPjSI_NS0_16reverse_iteratorISI_EEEEENSH_IJSG_SG_SG_EEES9_SI_JZNS1_25segmented_radix_sort_implINS0_14default_configELb0EPKaPaPKlPlN2at6native12_GLOBAL__N_18offset_tEEE10hipError_tPvRmT1_PNSt15iterator_traitsIS12_E10value_typeET2_T3_PNS13_IS18_E10value_typeET4_jRbjT5_S1E_jjP12ihipStream_tbEUljE_ZNSN_ISO_Lb0ESQ_SR_ST_SU_SY_EESZ_S10_S11_S12_S16_S17_S18_S1B_S1C_jS1D_jS1E_S1E_jjS1G_bEUljE0_EEESZ_S10_S11_S18_S1C_S1E_T6_T7_T9_mT8_S1G_bDpT10_ENKUlT_T0_E_clISt17integral_constantIbLb0EES1T_IbLb1EEEEDaS1P_S1Q_EUlS1P_E_NS1_11comp_targetILNS1_3genE4ELNS1_11target_archE910ELNS1_3gpuE8ELNS1_3repE0EEENS1_30default_config_static_selectorELNS0_4arch9wavefront6targetE0EEEvS12_.has_recursion, 0
	.set _ZN7rocprim17ROCPRIM_400000_NS6detail17trampoline_kernelINS0_13select_configILj256ELj13ELNS0_17block_load_methodE3ELS4_3ELS4_3ELNS0_20block_scan_algorithmE0ELj4294967295EEENS1_25partition_config_selectorILNS1_17partition_subalgoE4EjNS0_10empty_typeEbEEZZNS1_14partition_implILS8_4ELb0ES6_15HIP_vector_typeIjLj2EENS0_17counting_iteratorIjlEEPS9_SG_NS0_5tupleIJPjSI_NS0_16reverse_iteratorISI_EEEEENSH_IJSG_SG_SG_EEES9_SI_JZNS1_25segmented_radix_sort_implINS0_14default_configELb0EPKaPaPKlPlN2at6native12_GLOBAL__N_18offset_tEEE10hipError_tPvRmT1_PNSt15iterator_traitsIS12_E10value_typeET2_T3_PNS13_IS18_E10value_typeET4_jRbjT5_S1E_jjP12ihipStream_tbEUljE_ZNSN_ISO_Lb0ESQ_SR_ST_SU_SY_EESZ_S10_S11_S12_S16_S17_S18_S1B_S1C_jS1D_jS1E_S1E_jjS1G_bEUljE0_EEESZ_S10_S11_S18_S1C_S1E_T6_T7_T9_mT8_S1G_bDpT10_ENKUlT_T0_E_clISt17integral_constantIbLb0EES1T_IbLb1EEEEDaS1P_S1Q_EUlS1P_E_NS1_11comp_targetILNS1_3genE4ELNS1_11target_archE910ELNS1_3gpuE8ELNS1_3repE0EEENS1_30default_config_static_selectorELNS0_4arch9wavefront6targetE0EEEvS12_.has_indirect_call, 0
	.section	.AMDGPU.csdata,"",@progbits
; Kernel info:
; codeLenInByte = 0
; TotalNumSgprs: 0
; NumVgprs: 0
; ScratchSize: 0
; MemoryBound: 0
; FloatMode: 240
; IeeeMode: 1
; LDSByteSize: 0 bytes/workgroup (compile time only)
; SGPRBlocks: 0
; VGPRBlocks: 0
; NumSGPRsForWavesPerEU: 1
; NumVGPRsForWavesPerEU: 1
; NamedBarCnt: 0
; Occupancy: 16
; WaveLimiterHint : 0
; COMPUTE_PGM_RSRC2:SCRATCH_EN: 0
; COMPUTE_PGM_RSRC2:USER_SGPR: 2
; COMPUTE_PGM_RSRC2:TRAP_HANDLER: 0
; COMPUTE_PGM_RSRC2:TGID_X_EN: 1
; COMPUTE_PGM_RSRC2:TGID_Y_EN: 0
; COMPUTE_PGM_RSRC2:TGID_Z_EN: 0
; COMPUTE_PGM_RSRC2:TIDIG_COMP_CNT: 0
	.section	.text._ZN7rocprim17ROCPRIM_400000_NS6detail17trampoline_kernelINS0_13select_configILj256ELj13ELNS0_17block_load_methodE3ELS4_3ELS4_3ELNS0_20block_scan_algorithmE0ELj4294967295EEENS1_25partition_config_selectorILNS1_17partition_subalgoE4EjNS0_10empty_typeEbEEZZNS1_14partition_implILS8_4ELb0ES6_15HIP_vector_typeIjLj2EENS0_17counting_iteratorIjlEEPS9_SG_NS0_5tupleIJPjSI_NS0_16reverse_iteratorISI_EEEEENSH_IJSG_SG_SG_EEES9_SI_JZNS1_25segmented_radix_sort_implINS0_14default_configELb0EPKaPaPKlPlN2at6native12_GLOBAL__N_18offset_tEEE10hipError_tPvRmT1_PNSt15iterator_traitsIS12_E10value_typeET2_T3_PNS13_IS18_E10value_typeET4_jRbjT5_S1E_jjP12ihipStream_tbEUljE_ZNSN_ISO_Lb0ESQ_SR_ST_SU_SY_EESZ_S10_S11_S12_S16_S17_S18_S1B_S1C_jS1D_jS1E_S1E_jjS1G_bEUljE0_EEESZ_S10_S11_S18_S1C_S1E_T6_T7_T9_mT8_S1G_bDpT10_ENKUlT_T0_E_clISt17integral_constantIbLb0EES1T_IbLb1EEEEDaS1P_S1Q_EUlS1P_E_NS1_11comp_targetILNS1_3genE3ELNS1_11target_archE908ELNS1_3gpuE7ELNS1_3repE0EEENS1_30default_config_static_selectorELNS0_4arch9wavefront6targetE0EEEvS12_,"axG",@progbits,_ZN7rocprim17ROCPRIM_400000_NS6detail17trampoline_kernelINS0_13select_configILj256ELj13ELNS0_17block_load_methodE3ELS4_3ELS4_3ELNS0_20block_scan_algorithmE0ELj4294967295EEENS1_25partition_config_selectorILNS1_17partition_subalgoE4EjNS0_10empty_typeEbEEZZNS1_14partition_implILS8_4ELb0ES6_15HIP_vector_typeIjLj2EENS0_17counting_iteratorIjlEEPS9_SG_NS0_5tupleIJPjSI_NS0_16reverse_iteratorISI_EEEEENSH_IJSG_SG_SG_EEES9_SI_JZNS1_25segmented_radix_sort_implINS0_14default_configELb0EPKaPaPKlPlN2at6native12_GLOBAL__N_18offset_tEEE10hipError_tPvRmT1_PNSt15iterator_traitsIS12_E10value_typeET2_T3_PNS13_IS18_E10value_typeET4_jRbjT5_S1E_jjP12ihipStream_tbEUljE_ZNSN_ISO_Lb0ESQ_SR_ST_SU_SY_EESZ_S10_S11_S12_S16_S17_S18_S1B_S1C_jS1D_jS1E_S1E_jjS1G_bEUljE0_EEESZ_S10_S11_S18_S1C_S1E_T6_T7_T9_mT8_S1G_bDpT10_ENKUlT_T0_E_clISt17integral_constantIbLb0EES1T_IbLb1EEEEDaS1P_S1Q_EUlS1P_E_NS1_11comp_targetILNS1_3genE3ELNS1_11target_archE908ELNS1_3gpuE7ELNS1_3repE0EEENS1_30default_config_static_selectorELNS0_4arch9wavefront6targetE0EEEvS12_,comdat
	.globl	_ZN7rocprim17ROCPRIM_400000_NS6detail17trampoline_kernelINS0_13select_configILj256ELj13ELNS0_17block_load_methodE3ELS4_3ELS4_3ELNS0_20block_scan_algorithmE0ELj4294967295EEENS1_25partition_config_selectorILNS1_17partition_subalgoE4EjNS0_10empty_typeEbEEZZNS1_14partition_implILS8_4ELb0ES6_15HIP_vector_typeIjLj2EENS0_17counting_iteratorIjlEEPS9_SG_NS0_5tupleIJPjSI_NS0_16reverse_iteratorISI_EEEEENSH_IJSG_SG_SG_EEES9_SI_JZNS1_25segmented_radix_sort_implINS0_14default_configELb0EPKaPaPKlPlN2at6native12_GLOBAL__N_18offset_tEEE10hipError_tPvRmT1_PNSt15iterator_traitsIS12_E10value_typeET2_T3_PNS13_IS18_E10value_typeET4_jRbjT5_S1E_jjP12ihipStream_tbEUljE_ZNSN_ISO_Lb0ESQ_SR_ST_SU_SY_EESZ_S10_S11_S12_S16_S17_S18_S1B_S1C_jS1D_jS1E_S1E_jjS1G_bEUljE0_EEESZ_S10_S11_S18_S1C_S1E_T6_T7_T9_mT8_S1G_bDpT10_ENKUlT_T0_E_clISt17integral_constantIbLb0EES1T_IbLb1EEEEDaS1P_S1Q_EUlS1P_E_NS1_11comp_targetILNS1_3genE3ELNS1_11target_archE908ELNS1_3gpuE7ELNS1_3repE0EEENS1_30default_config_static_selectorELNS0_4arch9wavefront6targetE0EEEvS12_ ; -- Begin function _ZN7rocprim17ROCPRIM_400000_NS6detail17trampoline_kernelINS0_13select_configILj256ELj13ELNS0_17block_load_methodE3ELS4_3ELS4_3ELNS0_20block_scan_algorithmE0ELj4294967295EEENS1_25partition_config_selectorILNS1_17partition_subalgoE4EjNS0_10empty_typeEbEEZZNS1_14partition_implILS8_4ELb0ES6_15HIP_vector_typeIjLj2EENS0_17counting_iteratorIjlEEPS9_SG_NS0_5tupleIJPjSI_NS0_16reverse_iteratorISI_EEEEENSH_IJSG_SG_SG_EEES9_SI_JZNS1_25segmented_radix_sort_implINS0_14default_configELb0EPKaPaPKlPlN2at6native12_GLOBAL__N_18offset_tEEE10hipError_tPvRmT1_PNSt15iterator_traitsIS12_E10value_typeET2_T3_PNS13_IS18_E10value_typeET4_jRbjT5_S1E_jjP12ihipStream_tbEUljE_ZNSN_ISO_Lb0ESQ_SR_ST_SU_SY_EESZ_S10_S11_S12_S16_S17_S18_S1B_S1C_jS1D_jS1E_S1E_jjS1G_bEUljE0_EEESZ_S10_S11_S18_S1C_S1E_T6_T7_T9_mT8_S1G_bDpT10_ENKUlT_T0_E_clISt17integral_constantIbLb0EES1T_IbLb1EEEEDaS1P_S1Q_EUlS1P_E_NS1_11comp_targetILNS1_3genE3ELNS1_11target_archE908ELNS1_3gpuE7ELNS1_3repE0EEENS1_30default_config_static_selectorELNS0_4arch9wavefront6targetE0EEEvS12_
	.p2align	8
	.type	_ZN7rocprim17ROCPRIM_400000_NS6detail17trampoline_kernelINS0_13select_configILj256ELj13ELNS0_17block_load_methodE3ELS4_3ELS4_3ELNS0_20block_scan_algorithmE0ELj4294967295EEENS1_25partition_config_selectorILNS1_17partition_subalgoE4EjNS0_10empty_typeEbEEZZNS1_14partition_implILS8_4ELb0ES6_15HIP_vector_typeIjLj2EENS0_17counting_iteratorIjlEEPS9_SG_NS0_5tupleIJPjSI_NS0_16reverse_iteratorISI_EEEEENSH_IJSG_SG_SG_EEES9_SI_JZNS1_25segmented_radix_sort_implINS0_14default_configELb0EPKaPaPKlPlN2at6native12_GLOBAL__N_18offset_tEEE10hipError_tPvRmT1_PNSt15iterator_traitsIS12_E10value_typeET2_T3_PNS13_IS18_E10value_typeET4_jRbjT5_S1E_jjP12ihipStream_tbEUljE_ZNSN_ISO_Lb0ESQ_SR_ST_SU_SY_EESZ_S10_S11_S12_S16_S17_S18_S1B_S1C_jS1D_jS1E_S1E_jjS1G_bEUljE0_EEESZ_S10_S11_S18_S1C_S1E_T6_T7_T9_mT8_S1G_bDpT10_ENKUlT_T0_E_clISt17integral_constantIbLb0EES1T_IbLb1EEEEDaS1P_S1Q_EUlS1P_E_NS1_11comp_targetILNS1_3genE3ELNS1_11target_archE908ELNS1_3gpuE7ELNS1_3repE0EEENS1_30default_config_static_selectorELNS0_4arch9wavefront6targetE0EEEvS12_,@function
_ZN7rocprim17ROCPRIM_400000_NS6detail17trampoline_kernelINS0_13select_configILj256ELj13ELNS0_17block_load_methodE3ELS4_3ELS4_3ELNS0_20block_scan_algorithmE0ELj4294967295EEENS1_25partition_config_selectorILNS1_17partition_subalgoE4EjNS0_10empty_typeEbEEZZNS1_14partition_implILS8_4ELb0ES6_15HIP_vector_typeIjLj2EENS0_17counting_iteratorIjlEEPS9_SG_NS0_5tupleIJPjSI_NS0_16reverse_iteratorISI_EEEEENSH_IJSG_SG_SG_EEES9_SI_JZNS1_25segmented_radix_sort_implINS0_14default_configELb0EPKaPaPKlPlN2at6native12_GLOBAL__N_18offset_tEEE10hipError_tPvRmT1_PNSt15iterator_traitsIS12_E10value_typeET2_T3_PNS13_IS18_E10value_typeET4_jRbjT5_S1E_jjP12ihipStream_tbEUljE_ZNSN_ISO_Lb0ESQ_SR_ST_SU_SY_EESZ_S10_S11_S12_S16_S17_S18_S1B_S1C_jS1D_jS1E_S1E_jjS1G_bEUljE0_EEESZ_S10_S11_S18_S1C_S1E_T6_T7_T9_mT8_S1G_bDpT10_ENKUlT_T0_E_clISt17integral_constantIbLb0EES1T_IbLb1EEEEDaS1P_S1Q_EUlS1P_E_NS1_11comp_targetILNS1_3genE3ELNS1_11target_archE908ELNS1_3gpuE7ELNS1_3repE0EEENS1_30default_config_static_selectorELNS0_4arch9wavefront6targetE0EEEvS12_: ; @_ZN7rocprim17ROCPRIM_400000_NS6detail17trampoline_kernelINS0_13select_configILj256ELj13ELNS0_17block_load_methodE3ELS4_3ELS4_3ELNS0_20block_scan_algorithmE0ELj4294967295EEENS1_25partition_config_selectorILNS1_17partition_subalgoE4EjNS0_10empty_typeEbEEZZNS1_14partition_implILS8_4ELb0ES6_15HIP_vector_typeIjLj2EENS0_17counting_iteratorIjlEEPS9_SG_NS0_5tupleIJPjSI_NS0_16reverse_iteratorISI_EEEEENSH_IJSG_SG_SG_EEES9_SI_JZNS1_25segmented_radix_sort_implINS0_14default_configELb0EPKaPaPKlPlN2at6native12_GLOBAL__N_18offset_tEEE10hipError_tPvRmT1_PNSt15iterator_traitsIS12_E10value_typeET2_T3_PNS13_IS18_E10value_typeET4_jRbjT5_S1E_jjP12ihipStream_tbEUljE_ZNSN_ISO_Lb0ESQ_SR_ST_SU_SY_EESZ_S10_S11_S12_S16_S17_S18_S1B_S1C_jS1D_jS1E_S1E_jjS1G_bEUljE0_EEESZ_S10_S11_S18_S1C_S1E_T6_T7_T9_mT8_S1G_bDpT10_ENKUlT_T0_E_clISt17integral_constantIbLb0EES1T_IbLb1EEEEDaS1P_S1Q_EUlS1P_E_NS1_11comp_targetILNS1_3genE3ELNS1_11target_archE908ELNS1_3gpuE7ELNS1_3repE0EEENS1_30default_config_static_selectorELNS0_4arch9wavefront6targetE0EEEvS12_
; %bb.0:
	.section	.rodata,"a",@progbits
	.p2align	6, 0x0
	.amdhsa_kernel _ZN7rocprim17ROCPRIM_400000_NS6detail17trampoline_kernelINS0_13select_configILj256ELj13ELNS0_17block_load_methodE3ELS4_3ELS4_3ELNS0_20block_scan_algorithmE0ELj4294967295EEENS1_25partition_config_selectorILNS1_17partition_subalgoE4EjNS0_10empty_typeEbEEZZNS1_14partition_implILS8_4ELb0ES6_15HIP_vector_typeIjLj2EENS0_17counting_iteratorIjlEEPS9_SG_NS0_5tupleIJPjSI_NS0_16reverse_iteratorISI_EEEEENSH_IJSG_SG_SG_EEES9_SI_JZNS1_25segmented_radix_sort_implINS0_14default_configELb0EPKaPaPKlPlN2at6native12_GLOBAL__N_18offset_tEEE10hipError_tPvRmT1_PNSt15iterator_traitsIS12_E10value_typeET2_T3_PNS13_IS18_E10value_typeET4_jRbjT5_S1E_jjP12ihipStream_tbEUljE_ZNSN_ISO_Lb0ESQ_SR_ST_SU_SY_EESZ_S10_S11_S12_S16_S17_S18_S1B_S1C_jS1D_jS1E_S1E_jjS1G_bEUljE0_EEESZ_S10_S11_S18_S1C_S1E_T6_T7_T9_mT8_S1G_bDpT10_ENKUlT_T0_E_clISt17integral_constantIbLb0EES1T_IbLb1EEEEDaS1P_S1Q_EUlS1P_E_NS1_11comp_targetILNS1_3genE3ELNS1_11target_archE908ELNS1_3gpuE7ELNS1_3repE0EEENS1_30default_config_static_selectorELNS0_4arch9wavefront6targetE0EEEvS12_
		.amdhsa_group_segment_fixed_size 0
		.amdhsa_private_segment_fixed_size 0
		.amdhsa_kernarg_size 184
		.amdhsa_user_sgpr_count 2
		.amdhsa_user_sgpr_dispatch_ptr 0
		.amdhsa_user_sgpr_queue_ptr 0
		.amdhsa_user_sgpr_kernarg_segment_ptr 1
		.amdhsa_user_sgpr_dispatch_id 0
		.amdhsa_user_sgpr_kernarg_preload_length 0
		.amdhsa_user_sgpr_kernarg_preload_offset 0
		.amdhsa_user_sgpr_private_segment_size 0
		.amdhsa_wavefront_size32 1
		.amdhsa_uses_dynamic_stack 0
		.amdhsa_enable_private_segment 0
		.amdhsa_system_sgpr_workgroup_id_x 1
		.amdhsa_system_sgpr_workgroup_id_y 0
		.amdhsa_system_sgpr_workgroup_id_z 0
		.amdhsa_system_sgpr_workgroup_info 0
		.amdhsa_system_vgpr_workitem_id 0
		.amdhsa_next_free_vgpr 1
		.amdhsa_next_free_sgpr 1
		.amdhsa_named_barrier_count 0
		.amdhsa_reserve_vcc 0
		.amdhsa_float_round_mode_32 0
		.amdhsa_float_round_mode_16_64 0
		.amdhsa_float_denorm_mode_32 3
		.amdhsa_float_denorm_mode_16_64 3
		.amdhsa_fp16_overflow 0
		.amdhsa_memory_ordered 1
		.amdhsa_forward_progress 1
		.amdhsa_inst_pref_size 0
		.amdhsa_round_robin_scheduling 0
		.amdhsa_exception_fp_ieee_invalid_op 0
		.amdhsa_exception_fp_denorm_src 0
		.amdhsa_exception_fp_ieee_div_zero 0
		.amdhsa_exception_fp_ieee_overflow 0
		.amdhsa_exception_fp_ieee_underflow 0
		.amdhsa_exception_fp_ieee_inexact 0
		.amdhsa_exception_int_div_zero 0
	.end_amdhsa_kernel
	.section	.text._ZN7rocprim17ROCPRIM_400000_NS6detail17trampoline_kernelINS0_13select_configILj256ELj13ELNS0_17block_load_methodE3ELS4_3ELS4_3ELNS0_20block_scan_algorithmE0ELj4294967295EEENS1_25partition_config_selectorILNS1_17partition_subalgoE4EjNS0_10empty_typeEbEEZZNS1_14partition_implILS8_4ELb0ES6_15HIP_vector_typeIjLj2EENS0_17counting_iteratorIjlEEPS9_SG_NS0_5tupleIJPjSI_NS0_16reverse_iteratorISI_EEEEENSH_IJSG_SG_SG_EEES9_SI_JZNS1_25segmented_radix_sort_implINS0_14default_configELb0EPKaPaPKlPlN2at6native12_GLOBAL__N_18offset_tEEE10hipError_tPvRmT1_PNSt15iterator_traitsIS12_E10value_typeET2_T3_PNS13_IS18_E10value_typeET4_jRbjT5_S1E_jjP12ihipStream_tbEUljE_ZNSN_ISO_Lb0ESQ_SR_ST_SU_SY_EESZ_S10_S11_S12_S16_S17_S18_S1B_S1C_jS1D_jS1E_S1E_jjS1G_bEUljE0_EEESZ_S10_S11_S18_S1C_S1E_T6_T7_T9_mT8_S1G_bDpT10_ENKUlT_T0_E_clISt17integral_constantIbLb0EES1T_IbLb1EEEEDaS1P_S1Q_EUlS1P_E_NS1_11comp_targetILNS1_3genE3ELNS1_11target_archE908ELNS1_3gpuE7ELNS1_3repE0EEENS1_30default_config_static_selectorELNS0_4arch9wavefront6targetE0EEEvS12_,"axG",@progbits,_ZN7rocprim17ROCPRIM_400000_NS6detail17trampoline_kernelINS0_13select_configILj256ELj13ELNS0_17block_load_methodE3ELS4_3ELS4_3ELNS0_20block_scan_algorithmE0ELj4294967295EEENS1_25partition_config_selectorILNS1_17partition_subalgoE4EjNS0_10empty_typeEbEEZZNS1_14partition_implILS8_4ELb0ES6_15HIP_vector_typeIjLj2EENS0_17counting_iteratorIjlEEPS9_SG_NS0_5tupleIJPjSI_NS0_16reverse_iteratorISI_EEEEENSH_IJSG_SG_SG_EEES9_SI_JZNS1_25segmented_radix_sort_implINS0_14default_configELb0EPKaPaPKlPlN2at6native12_GLOBAL__N_18offset_tEEE10hipError_tPvRmT1_PNSt15iterator_traitsIS12_E10value_typeET2_T3_PNS13_IS18_E10value_typeET4_jRbjT5_S1E_jjP12ihipStream_tbEUljE_ZNSN_ISO_Lb0ESQ_SR_ST_SU_SY_EESZ_S10_S11_S12_S16_S17_S18_S1B_S1C_jS1D_jS1E_S1E_jjS1G_bEUljE0_EEESZ_S10_S11_S18_S1C_S1E_T6_T7_T9_mT8_S1G_bDpT10_ENKUlT_T0_E_clISt17integral_constantIbLb0EES1T_IbLb1EEEEDaS1P_S1Q_EUlS1P_E_NS1_11comp_targetILNS1_3genE3ELNS1_11target_archE908ELNS1_3gpuE7ELNS1_3repE0EEENS1_30default_config_static_selectorELNS0_4arch9wavefront6targetE0EEEvS12_,comdat
.Lfunc_end353:
	.size	_ZN7rocprim17ROCPRIM_400000_NS6detail17trampoline_kernelINS0_13select_configILj256ELj13ELNS0_17block_load_methodE3ELS4_3ELS4_3ELNS0_20block_scan_algorithmE0ELj4294967295EEENS1_25partition_config_selectorILNS1_17partition_subalgoE4EjNS0_10empty_typeEbEEZZNS1_14partition_implILS8_4ELb0ES6_15HIP_vector_typeIjLj2EENS0_17counting_iteratorIjlEEPS9_SG_NS0_5tupleIJPjSI_NS0_16reverse_iteratorISI_EEEEENSH_IJSG_SG_SG_EEES9_SI_JZNS1_25segmented_radix_sort_implINS0_14default_configELb0EPKaPaPKlPlN2at6native12_GLOBAL__N_18offset_tEEE10hipError_tPvRmT1_PNSt15iterator_traitsIS12_E10value_typeET2_T3_PNS13_IS18_E10value_typeET4_jRbjT5_S1E_jjP12ihipStream_tbEUljE_ZNSN_ISO_Lb0ESQ_SR_ST_SU_SY_EESZ_S10_S11_S12_S16_S17_S18_S1B_S1C_jS1D_jS1E_S1E_jjS1G_bEUljE0_EEESZ_S10_S11_S18_S1C_S1E_T6_T7_T9_mT8_S1G_bDpT10_ENKUlT_T0_E_clISt17integral_constantIbLb0EES1T_IbLb1EEEEDaS1P_S1Q_EUlS1P_E_NS1_11comp_targetILNS1_3genE3ELNS1_11target_archE908ELNS1_3gpuE7ELNS1_3repE0EEENS1_30default_config_static_selectorELNS0_4arch9wavefront6targetE0EEEvS12_, .Lfunc_end353-_ZN7rocprim17ROCPRIM_400000_NS6detail17trampoline_kernelINS0_13select_configILj256ELj13ELNS0_17block_load_methodE3ELS4_3ELS4_3ELNS0_20block_scan_algorithmE0ELj4294967295EEENS1_25partition_config_selectorILNS1_17partition_subalgoE4EjNS0_10empty_typeEbEEZZNS1_14partition_implILS8_4ELb0ES6_15HIP_vector_typeIjLj2EENS0_17counting_iteratorIjlEEPS9_SG_NS0_5tupleIJPjSI_NS0_16reverse_iteratorISI_EEEEENSH_IJSG_SG_SG_EEES9_SI_JZNS1_25segmented_radix_sort_implINS0_14default_configELb0EPKaPaPKlPlN2at6native12_GLOBAL__N_18offset_tEEE10hipError_tPvRmT1_PNSt15iterator_traitsIS12_E10value_typeET2_T3_PNS13_IS18_E10value_typeET4_jRbjT5_S1E_jjP12ihipStream_tbEUljE_ZNSN_ISO_Lb0ESQ_SR_ST_SU_SY_EESZ_S10_S11_S12_S16_S17_S18_S1B_S1C_jS1D_jS1E_S1E_jjS1G_bEUljE0_EEESZ_S10_S11_S18_S1C_S1E_T6_T7_T9_mT8_S1G_bDpT10_ENKUlT_T0_E_clISt17integral_constantIbLb0EES1T_IbLb1EEEEDaS1P_S1Q_EUlS1P_E_NS1_11comp_targetILNS1_3genE3ELNS1_11target_archE908ELNS1_3gpuE7ELNS1_3repE0EEENS1_30default_config_static_selectorELNS0_4arch9wavefront6targetE0EEEvS12_
                                        ; -- End function
	.set _ZN7rocprim17ROCPRIM_400000_NS6detail17trampoline_kernelINS0_13select_configILj256ELj13ELNS0_17block_load_methodE3ELS4_3ELS4_3ELNS0_20block_scan_algorithmE0ELj4294967295EEENS1_25partition_config_selectorILNS1_17partition_subalgoE4EjNS0_10empty_typeEbEEZZNS1_14partition_implILS8_4ELb0ES6_15HIP_vector_typeIjLj2EENS0_17counting_iteratorIjlEEPS9_SG_NS0_5tupleIJPjSI_NS0_16reverse_iteratorISI_EEEEENSH_IJSG_SG_SG_EEES9_SI_JZNS1_25segmented_radix_sort_implINS0_14default_configELb0EPKaPaPKlPlN2at6native12_GLOBAL__N_18offset_tEEE10hipError_tPvRmT1_PNSt15iterator_traitsIS12_E10value_typeET2_T3_PNS13_IS18_E10value_typeET4_jRbjT5_S1E_jjP12ihipStream_tbEUljE_ZNSN_ISO_Lb0ESQ_SR_ST_SU_SY_EESZ_S10_S11_S12_S16_S17_S18_S1B_S1C_jS1D_jS1E_S1E_jjS1G_bEUljE0_EEESZ_S10_S11_S18_S1C_S1E_T6_T7_T9_mT8_S1G_bDpT10_ENKUlT_T0_E_clISt17integral_constantIbLb0EES1T_IbLb1EEEEDaS1P_S1Q_EUlS1P_E_NS1_11comp_targetILNS1_3genE3ELNS1_11target_archE908ELNS1_3gpuE7ELNS1_3repE0EEENS1_30default_config_static_selectorELNS0_4arch9wavefront6targetE0EEEvS12_.num_vgpr, 0
	.set _ZN7rocprim17ROCPRIM_400000_NS6detail17trampoline_kernelINS0_13select_configILj256ELj13ELNS0_17block_load_methodE3ELS4_3ELS4_3ELNS0_20block_scan_algorithmE0ELj4294967295EEENS1_25partition_config_selectorILNS1_17partition_subalgoE4EjNS0_10empty_typeEbEEZZNS1_14partition_implILS8_4ELb0ES6_15HIP_vector_typeIjLj2EENS0_17counting_iteratorIjlEEPS9_SG_NS0_5tupleIJPjSI_NS0_16reverse_iteratorISI_EEEEENSH_IJSG_SG_SG_EEES9_SI_JZNS1_25segmented_radix_sort_implINS0_14default_configELb0EPKaPaPKlPlN2at6native12_GLOBAL__N_18offset_tEEE10hipError_tPvRmT1_PNSt15iterator_traitsIS12_E10value_typeET2_T3_PNS13_IS18_E10value_typeET4_jRbjT5_S1E_jjP12ihipStream_tbEUljE_ZNSN_ISO_Lb0ESQ_SR_ST_SU_SY_EESZ_S10_S11_S12_S16_S17_S18_S1B_S1C_jS1D_jS1E_S1E_jjS1G_bEUljE0_EEESZ_S10_S11_S18_S1C_S1E_T6_T7_T9_mT8_S1G_bDpT10_ENKUlT_T0_E_clISt17integral_constantIbLb0EES1T_IbLb1EEEEDaS1P_S1Q_EUlS1P_E_NS1_11comp_targetILNS1_3genE3ELNS1_11target_archE908ELNS1_3gpuE7ELNS1_3repE0EEENS1_30default_config_static_selectorELNS0_4arch9wavefront6targetE0EEEvS12_.num_agpr, 0
	.set _ZN7rocprim17ROCPRIM_400000_NS6detail17trampoline_kernelINS0_13select_configILj256ELj13ELNS0_17block_load_methodE3ELS4_3ELS4_3ELNS0_20block_scan_algorithmE0ELj4294967295EEENS1_25partition_config_selectorILNS1_17partition_subalgoE4EjNS0_10empty_typeEbEEZZNS1_14partition_implILS8_4ELb0ES6_15HIP_vector_typeIjLj2EENS0_17counting_iteratorIjlEEPS9_SG_NS0_5tupleIJPjSI_NS0_16reverse_iteratorISI_EEEEENSH_IJSG_SG_SG_EEES9_SI_JZNS1_25segmented_radix_sort_implINS0_14default_configELb0EPKaPaPKlPlN2at6native12_GLOBAL__N_18offset_tEEE10hipError_tPvRmT1_PNSt15iterator_traitsIS12_E10value_typeET2_T3_PNS13_IS18_E10value_typeET4_jRbjT5_S1E_jjP12ihipStream_tbEUljE_ZNSN_ISO_Lb0ESQ_SR_ST_SU_SY_EESZ_S10_S11_S12_S16_S17_S18_S1B_S1C_jS1D_jS1E_S1E_jjS1G_bEUljE0_EEESZ_S10_S11_S18_S1C_S1E_T6_T7_T9_mT8_S1G_bDpT10_ENKUlT_T0_E_clISt17integral_constantIbLb0EES1T_IbLb1EEEEDaS1P_S1Q_EUlS1P_E_NS1_11comp_targetILNS1_3genE3ELNS1_11target_archE908ELNS1_3gpuE7ELNS1_3repE0EEENS1_30default_config_static_selectorELNS0_4arch9wavefront6targetE0EEEvS12_.numbered_sgpr, 0
	.set _ZN7rocprim17ROCPRIM_400000_NS6detail17trampoline_kernelINS0_13select_configILj256ELj13ELNS0_17block_load_methodE3ELS4_3ELS4_3ELNS0_20block_scan_algorithmE0ELj4294967295EEENS1_25partition_config_selectorILNS1_17partition_subalgoE4EjNS0_10empty_typeEbEEZZNS1_14partition_implILS8_4ELb0ES6_15HIP_vector_typeIjLj2EENS0_17counting_iteratorIjlEEPS9_SG_NS0_5tupleIJPjSI_NS0_16reverse_iteratorISI_EEEEENSH_IJSG_SG_SG_EEES9_SI_JZNS1_25segmented_radix_sort_implINS0_14default_configELb0EPKaPaPKlPlN2at6native12_GLOBAL__N_18offset_tEEE10hipError_tPvRmT1_PNSt15iterator_traitsIS12_E10value_typeET2_T3_PNS13_IS18_E10value_typeET4_jRbjT5_S1E_jjP12ihipStream_tbEUljE_ZNSN_ISO_Lb0ESQ_SR_ST_SU_SY_EESZ_S10_S11_S12_S16_S17_S18_S1B_S1C_jS1D_jS1E_S1E_jjS1G_bEUljE0_EEESZ_S10_S11_S18_S1C_S1E_T6_T7_T9_mT8_S1G_bDpT10_ENKUlT_T0_E_clISt17integral_constantIbLb0EES1T_IbLb1EEEEDaS1P_S1Q_EUlS1P_E_NS1_11comp_targetILNS1_3genE3ELNS1_11target_archE908ELNS1_3gpuE7ELNS1_3repE0EEENS1_30default_config_static_selectorELNS0_4arch9wavefront6targetE0EEEvS12_.num_named_barrier, 0
	.set _ZN7rocprim17ROCPRIM_400000_NS6detail17trampoline_kernelINS0_13select_configILj256ELj13ELNS0_17block_load_methodE3ELS4_3ELS4_3ELNS0_20block_scan_algorithmE0ELj4294967295EEENS1_25partition_config_selectorILNS1_17partition_subalgoE4EjNS0_10empty_typeEbEEZZNS1_14partition_implILS8_4ELb0ES6_15HIP_vector_typeIjLj2EENS0_17counting_iteratorIjlEEPS9_SG_NS0_5tupleIJPjSI_NS0_16reverse_iteratorISI_EEEEENSH_IJSG_SG_SG_EEES9_SI_JZNS1_25segmented_radix_sort_implINS0_14default_configELb0EPKaPaPKlPlN2at6native12_GLOBAL__N_18offset_tEEE10hipError_tPvRmT1_PNSt15iterator_traitsIS12_E10value_typeET2_T3_PNS13_IS18_E10value_typeET4_jRbjT5_S1E_jjP12ihipStream_tbEUljE_ZNSN_ISO_Lb0ESQ_SR_ST_SU_SY_EESZ_S10_S11_S12_S16_S17_S18_S1B_S1C_jS1D_jS1E_S1E_jjS1G_bEUljE0_EEESZ_S10_S11_S18_S1C_S1E_T6_T7_T9_mT8_S1G_bDpT10_ENKUlT_T0_E_clISt17integral_constantIbLb0EES1T_IbLb1EEEEDaS1P_S1Q_EUlS1P_E_NS1_11comp_targetILNS1_3genE3ELNS1_11target_archE908ELNS1_3gpuE7ELNS1_3repE0EEENS1_30default_config_static_selectorELNS0_4arch9wavefront6targetE0EEEvS12_.private_seg_size, 0
	.set _ZN7rocprim17ROCPRIM_400000_NS6detail17trampoline_kernelINS0_13select_configILj256ELj13ELNS0_17block_load_methodE3ELS4_3ELS4_3ELNS0_20block_scan_algorithmE0ELj4294967295EEENS1_25partition_config_selectorILNS1_17partition_subalgoE4EjNS0_10empty_typeEbEEZZNS1_14partition_implILS8_4ELb0ES6_15HIP_vector_typeIjLj2EENS0_17counting_iteratorIjlEEPS9_SG_NS0_5tupleIJPjSI_NS0_16reverse_iteratorISI_EEEEENSH_IJSG_SG_SG_EEES9_SI_JZNS1_25segmented_radix_sort_implINS0_14default_configELb0EPKaPaPKlPlN2at6native12_GLOBAL__N_18offset_tEEE10hipError_tPvRmT1_PNSt15iterator_traitsIS12_E10value_typeET2_T3_PNS13_IS18_E10value_typeET4_jRbjT5_S1E_jjP12ihipStream_tbEUljE_ZNSN_ISO_Lb0ESQ_SR_ST_SU_SY_EESZ_S10_S11_S12_S16_S17_S18_S1B_S1C_jS1D_jS1E_S1E_jjS1G_bEUljE0_EEESZ_S10_S11_S18_S1C_S1E_T6_T7_T9_mT8_S1G_bDpT10_ENKUlT_T0_E_clISt17integral_constantIbLb0EES1T_IbLb1EEEEDaS1P_S1Q_EUlS1P_E_NS1_11comp_targetILNS1_3genE3ELNS1_11target_archE908ELNS1_3gpuE7ELNS1_3repE0EEENS1_30default_config_static_selectorELNS0_4arch9wavefront6targetE0EEEvS12_.uses_vcc, 0
	.set _ZN7rocprim17ROCPRIM_400000_NS6detail17trampoline_kernelINS0_13select_configILj256ELj13ELNS0_17block_load_methodE3ELS4_3ELS4_3ELNS0_20block_scan_algorithmE0ELj4294967295EEENS1_25partition_config_selectorILNS1_17partition_subalgoE4EjNS0_10empty_typeEbEEZZNS1_14partition_implILS8_4ELb0ES6_15HIP_vector_typeIjLj2EENS0_17counting_iteratorIjlEEPS9_SG_NS0_5tupleIJPjSI_NS0_16reverse_iteratorISI_EEEEENSH_IJSG_SG_SG_EEES9_SI_JZNS1_25segmented_radix_sort_implINS0_14default_configELb0EPKaPaPKlPlN2at6native12_GLOBAL__N_18offset_tEEE10hipError_tPvRmT1_PNSt15iterator_traitsIS12_E10value_typeET2_T3_PNS13_IS18_E10value_typeET4_jRbjT5_S1E_jjP12ihipStream_tbEUljE_ZNSN_ISO_Lb0ESQ_SR_ST_SU_SY_EESZ_S10_S11_S12_S16_S17_S18_S1B_S1C_jS1D_jS1E_S1E_jjS1G_bEUljE0_EEESZ_S10_S11_S18_S1C_S1E_T6_T7_T9_mT8_S1G_bDpT10_ENKUlT_T0_E_clISt17integral_constantIbLb0EES1T_IbLb1EEEEDaS1P_S1Q_EUlS1P_E_NS1_11comp_targetILNS1_3genE3ELNS1_11target_archE908ELNS1_3gpuE7ELNS1_3repE0EEENS1_30default_config_static_selectorELNS0_4arch9wavefront6targetE0EEEvS12_.uses_flat_scratch, 0
	.set _ZN7rocprim17ROCPRIM_400000_NS6detail17trampoline_kernelINS0_13select_configILj256ELj13ELNS0_17block_load_methodE3ELS4_3ELS4_3ELNS0_20block_scan_algorithmE0ELj4294967295EEENS1_25partition_config_selectorILNS1_17partition_subalgoE4EjNS0_10empty_typeEbEEZZNS1_14partition_implILS8_4ELb0ES6_15HIP_vector_typeIjLj2EENS0_17counting_iteratorIjlEEPS9_SG_NS0_5tupleIJPjSI_NS0_16reverse_iteratorISI_EEEEENSH_IJSG_SG_SG_EEES9_SI_JZNS1_25segmented_radix_sort_implINS0_14default_configELb0EPKaPaPKlPlN2at6native12_GLOBAL__N_18offset_tEEE10hipError_tPvRmT1_PNSt15iterator_traitsIS12_E10value_typeET2_T3_PNS13_IS18_E10value_typeET4_jRbjT5_S1E_jjP12ihipStream_tbEUljE_ZNSN_ISO_Lb0ESQ_SR_ST_SU_SY_EESZ_S10_S11_S12_S16_S17_S18_S1B_S1C_jS1D_jS1E_S1E_jjS1G_bEUljE0_EEESZ_S10_S11_S18_S1C_S1E_T6_T7_T9_mT8_S1G_bDpT10_ENKUlT_T0_E_clISt17integral_constantIbLb0EES1T_IbLb1EEEEDaS1P_S1Q_EUlS1P_E_NS1_11comp_targetILNS1_3genE3ELNS1_11target_archE908ELNS1_3gpuE7ELNS1_3repE0EEENS1_30default_config_static_selectorELNS0_4arch9wavefront6targetE0EEEvS12_.has_dyn_sized_stack, 0
	.set _ZN7rocprim17ROCPRIM_400000_NS6detail17trampoline_kernelINS0_13select_configILj256ELj13ELNS0_17block_load_methodE3ELS4_3ELS4_3ELNS0_20block_scan_algorithmE0ELj4294967295EEENS1_25partition_config_selectorILNS1_17partition_subalgoE4EjNS0_10empty_typeEbEEZZNS1_14partition_implILS8_4ELb0ES6_15HIP_vector_typeIjLj2EENS0_17counting_iteratorIjlEEPS9_SG_NS0_5tupleIJPjSI_NS0_16reverse_iteratorISI_EEEEENSH_IJSG_SG_SG_EEES9_SI_JZNS1_25segmented_radix_sort_implINS0_14default_configELb0EPKaPaPKlPlN2at6native12_GLOBAL__N_18offset_tEEE10hipError_tPvRmT1_PNSt15iterator_traitsIS12_E10value_typeET2_T3_PNS13_IS18_E10value_typeET4_jRbjT5_S1E_jjP12ihipStream_tbEUljE_ZNSN_ISO_Lb0ESQ_SR_ST_SU_SY_EESZ_S10_S11_S12_S16_S17_S18_S1B_S1C_jS1D_jS1E_S1E_jjS1G_bEUljE0_EEESZ_S10_S11_S18_S1C_S1E_T6_T7_T9_mT8_S1G_bDpT10_ENKUlT_T0_E_clISt17integral_constantIbLb0EES1T_IbLb1EEEEDaS1P_S1Q_EUlS1P_E_NS1_11comp_targetILNS1_3genE3ELNS1_11target_archE908ELNS1_3gpuE7ELNS1_3repE0EEENS1_30default_config_static_selectorELNS0_4arch9wavefront6targetE0EEEvS12_.has_recursion, 0
	.set _ZN7rocprim17ROCPRIM_400000_NS6detail17trampoline_kernelINS0_13select_configILj256ELj13ELNS0_17block_load_methodE3ELS4_3ELS4_3ELNS0_20block_scan_algorithmE0ELj4294967295EEENS1_25partition_config_selectorILNS1_17partition_subalgoE4EjNS0_10empty_typeEbEEZZNS1_14partition_implILS8_4ELb0ES6_15HIP_vector_typeIjLj2EENS0_17counting_iteratorIjlEEPS9_SG_NS0_5tupleIJPjSI_NS0_16reverse_iteratorISI_EEEEENSH_IJSG_SG_SG_EEES9_SI_JZNS1_25segmented_radix_sort_implINS0_14default_configELb0EPKaPaPKlPlN2at6native12_GLOBAL__N_18offset_tEEE10hipError_tPvRmT1_PNSt15iterator_traitsIS12_E10value_typeET2_T3_PNS13_IS18_E10value_typeET4_jRbjT5_S1E_jjP12ihipStream_tbEUljE_ZNSN_ISO_Lb0ESQ_SR_ST_SU_SY_EESZ_S10_S11_S12_S16_S17_S18_S1B_S1C_jS1D_jS1E_S1E_jjS1G_bEUljE0_EEESZ_S10_S11_S18_S1C_S1E_T6_T7_T9_mT8_S1G_bDpT10_ENKUlT_T0_E_clISt17integral_constantIbLb0EES1T_IbLb1EEEEDaS1P_S1Q_EUlS1P_E_NS1_11comp_targetILNS1_3genE3ELNS1_11target_archE908ELNS1_3gpuE7ELNS1_3repE0EEENS1_30default_config_static_selectorELNS0_4arch9wavefront6targetE0EEEvS12_.has_indirect_call, 0
	.section	.AMDGPU.csdata,"",@progbits
; Kernel info:
; codeLenInByte = 0
; TotalNumSgprs: 0
; NumVgprs: 0
; ScratchSize: 0
; MemoryBound: 0
; FloatMode: 240
; IeeeMode: 1
; LDSByteSize: 0 bytes/workgroup (compile time only)
; SGPRBlocks: 0
; VGPRBlocks: 0
; NumSGPRsForWavesPerEU: 1
; NumVGPRsForWavesPerEU: 1
; NamedBarCnt: 0
; Occupancy: 16
; WaveLimiterHint : 0
; COMPUTE_PGM_RSRC2:SCRATCH_EN: 0
; COMPUTE_PGM_RSRC2:USER_SGPR: 2
; COMPUTE_PGM_RSRC2:TRAP_HANDLER: 0
; COMPUTE_PGM_RSRC2:TGID_X_EN: 1
; COMPUTE_PGM_RSRC2:TGID_Y_EN: 0
; COMPUTE_PGM_RSRC2:TGID_Z_EN: 0
; COMPUTE_PGM_RSRC2:TIDIG_COMP_CNT: 0
	.section	.text._ZN7rocprim17ROCPRIM_400000_NS6detail17trampoline_kernelINS0_13select_configILj256ELj13ELNS0_17block_load_methodE3ELS4_3ELS4_3ELNS0_20block_scan_algorithmE0ELj4294967295EEENS1_25partition_config_selectorILNS1_17partition_subalgoE4EjNS0_10empty_typeEbEEZZNS1_14partition_implILS8_4ELb0ES6_15HIP_vector_typeIjLj2EENS0_17counting_iteratorIjlEEPS9_SG_NS0_5tupleIJPjSI_NS0_16reverse_iteratorISI_EEEEENSH_IJSG_SG_SG_EEES9_SI_JZNS1_25segmented_radix_sort_implINS0_14default_configELb0EPKaPaPKlPlN2at6native12_GLOBAL__N_18offset_tEEE10hipError_tPvRmT1_PNSt15iterator_traitsIS12_E10value_typeET2_T3_PNS13_IS18_E10value_typeET4_jRbjT5_S1E_jjP12ihipStream_tbEUljE_ZNSN_ISO_Lb0ESQ_SR_ST_SU_SY_EESZ_S10_S11_S12_S16_S17_S18_S1B_S1C_jS1D_jS1E_S1E_jjS1G_bEUljE0_EEESZ_S10_S11_S18_S1C_S1E_T6_T7_T9_mT8_S1G_bDpT10_ENKUlT_T0_E_clISt17integral_constantIbLb0EES1T_IbLb1EEEEDaS1P_S1Q_EUlS1P_E_NS1_11comp_targetILNS1_3genE2ELNS1_11target_archE906ELNS1_3gpuE6ELNS1_3repE0EEENS1_30default_config_static_selectorELNS0_4arch9wavefront6targetE0EEEvS12_,"axG",@progbits,_ZN7rocprim17ROCPRIM_400000_NS6detail17trampoline_kernelINS0_13select_configILj256ELj13ELNS0_17block_load_methodE3ELS4_3ELS4_3ELNS0_20block_scan_algorithmE0ELj4294967295EEENS1_25partition_config_selectorILNS1_17partition_subalgoE4EjNS0_10empty_typeEbEEZZNS1_14partition_implILS8_4ELb0ES6_15HIP_vector_typeIjLj2EENS0_17counting_iteratorIjlEEPS9_SG_NS0_5tupleIJPjSI_NS0_16reverse_iteratorISI_EEEEENSH_IJSG_SG_SG_EEES9_SI_JZNS1_25segmented_radix_sort_implINS0_14default_configELb0EPKaPaPKlPlN2at6native12_GLOBAL__N_18offset_tEEE10hipError_tPvRmT1_PNSt15iterator_traitsIS12_E10value_typeET2_T3_PNS13_IS18_E10value_typeET4_jRbjT5_S1E_jjP12ihipStream_tbEUljE_ZNSN_ISO_Lb0ESQ_SR_ST_SU_SY_EESZ_S10_S11_S12_S16_S17_S18_S1B_S1C_jS1D_jS1E_S1E_jjS1G_bEUljE0_EEESZ_S10_S11_S18_S1C_S1E_T6_T7_T9_mT8_S1G_bDpT10_ENKUlT_T0_E_clISt17integral_constantIbLb0EES1T_IbLb1EEEEDaS1P_S1Q_EUlS1P_E_NS1_11comp_targetILNS1_3genE2ELNS1_11target_archE906ELNS1_3gpuE6ELNS1_3repE0EEENS1_30default_config_static_selectorELNS0_4arch9wavefront6targetE0EEEvS12_,comdat
	.globl	_ZN7rocprim17ROCPRIM_400000_NS6detail17trampoline_kernelINS0_13select_configILj256ELj13ELNS0_17block_load_methodE3ELS4_3ELS4_3ELNS0_20block_scan_algorithmE0ELj4294967295EEENS1_25partition_config_selectorILNS1_17partition_subalgoE4EjNS0_10empty_typeEbEEZZNS1_14partition_implILS8_4ELb0ES6_15HIP_vector_typeIjLj2EENS0_17counting_iteratorIjlEEPS9_SG_NS0_5tupleIJPjSI_NS0_16reverse_iteratorISI_EEEEENSH_IJSG_SG_SG_EEES9_SI_JZNS1_25segmented_radix_sort_implINS0_14default_configELb0EPKaPaPKlPlN2at6native12_GLOBAL__N_18offset_tEEE10hipError_tPvRmT1_PNSt15iterator_traitsIS12_E10value_typeET2_T3_PNS13_IS18_E10value_typeET4_jRbjT5_S1E_jjP12ihipStream_tbEUljE_ZNSN_ISO_Lb0ESQ_SR_ST_SU_SY_EESZ_S10_S11_S12_S16_S17_S18_S1B_S1C_jS1D_jS1E_S1E_jjS1G_bEUljE0_EEESZ_S10_S11_S18_S1C_S1E_T6_T7_T9_mT8_S1G_bDpT10_ENKUlT_T0_E_clISt17integral_constantIbLb0EES1T_IbLb1EEEEDaS1P_S1Q_EUlS1P_E_NS1_11comp_targetILNS1_3genE2ELNS1_11target_archE906ELNS1_3gpuE6ELNS1_3repE0EEENS1_30default_config_static_selectorELNS0_4arch9wavefront6targetE0EEEvS12_ ; -- Begin function _ZN7rocprim17ROCPRIM_400000_NS6detail17trampoline_kernelINS0_13select_configILj256ELj13ELNS0_17block_load_methodE3ELS4_3ELS4_3ELNS0_20block_scan_algorithmE0ELj4294967295EEENS1_25partition_config_selectorILNS1_17partition_subalgoE4EjNS0_10empty_typeEbEEZZNS1_14partition_implILS8_4ELb0ES6_15HIP_vector_typeIjLj2EENS0_17counting_iteratorIjlEEPS9_SG_NS0_5tupleIJPjSI_NS0_16reverse_iteratorISI_EEEEENSH_IJSG_SG_SG_EEES9_SI_JZNS1_25segmented_radix_sort_implINS0_14default_configELb0EPKaPaPKlPlN2at6native12_GLOBAL__N_18offset_tEEE10hipError_tPvRmT1_PNSt15iterator_traitsIS12_E10value_typeET2_T3_PNS13_IS18_E10value_typeET4_jRbjT5_S1E_jjP12ihipStream_tbEUljE_ZNSN_ISO_Lb0ESQ_SR_ST_SU_SY_EESZ_S10_S11_S12_S16_S17_S18_S1B_S1C_jS1D_jS1E_S1E_jjS1G_bEUljE0_EEESZ_S10_S11_S18_S1C_S1E_T6_T7_T9_mT8_S1G_bDpT10_ENKUlT_T0_E_clISt17integral_constantIbLb0EES1T_IbLb1EEEEDaS1P_S1Q_EUlS1P_E_NS1_11comp_targetILNS1_3genE2ELNS1_11target_archE906ELNS1_3gpuE6ELNS1_3repE0EEENS1_30default_config_static_selectorELNS0_4arch9wavefront6targetE0EEEvS12_
	.p2align	8
	.type	_ZN7rocprim17ROCPRIM_400000_NS6detail17trampoline_kernelINS0_13select_configILj256ELj13ELNS0_17block_load_methodE3ELS4_3ELS4_3ELNS0_20block_scan_algorithmE0ELj4294967295EEENS1_25partition_config_selectorILNS1_17partition_subalgoE4EjNS0_10empty_typeEbEEZZNS1_14partition_implILS8_4ELb0ES6_15HIP_vector_typeIjLj2EENS0_17counting_iteratorIjlEEPS9_SG_NS0_5tupleIJPjSI_NS0_16reverse_iteratorISI_EEEEENSH_IJSG_SG_SG_EEES9_SI_JZNS1_25segmented_radix_sort_implINS0_14default_configELb0EPKaPaPKlPlN2at6native12_GLOBAL__N_18offset_tEEE10hipError_tPvRmT1_PNSt15iterator_traitsIS12_E10value_typeET2_T3_PNS13_IS18_E10value_typeET4_jRbjT5_S1E_jjP12ihipStream_tbEUljE_ZNSN_ISO_Lb0ESQ_SR_ST_SU_SY_EESZ_S10_S11_S12_S16_S17_S18_S1B_S1C_jS1D_jS1E_S1E_jjS1G_bEUljE0_EEESZ_S10_S11_S18_S1C_S1E_T6_T7_T9_mT8_S1G_bDpT10_ENKUlT_T0_E_clISt17integral_constantIbLb0EES1T_IbLb1EEEEDaS1P_S1Q_EUlS1P_E_NS1_11comp_targetILNS1_3genE2ELNS1_11target_archE906ELNS1_3gpuE6ELNS1_3repE0EEENS1_30default_config_static_selectorELNS0_4arch9wavefront6targetE0EEEvS12_,@function
_ZN7rocprim17ROCPRIM_400000_NS6detail17trampoline_kernelINS0_13select_configILj256ELj13ELNS0_17block_load_methodE3ELS4_3ELS4_3ELNS0_20block_scan_algorithmE0ELj4294967295EEENS1_25partition_config_selectorILNS1_17partition_subalgoE4EjNS0_10empty_typeEbEEZZNS1_14partition_implILS8_4ELb0ES6_15HIP_vector_typeIjLj2EENS0_17counting_iteratorIjlEEPS9_SG_NS0_5tupleIJPjSI_NS0_16reverse_iteratorISI_EEEEENSH_IJSG_SG_SG_EEES9_SI_JZNS1_25segmented_radix_sort_implINS0_14default_configELb0EPKaPaPKlPlN2at6native12_GLOBAL__N_18offset_tEEE10hipError_tPvRmT1_PNSt15iterator_traitsIS12_E10value_typeET2_T3_PNS13_IS18_E10value_typeET4_jRbjT5_S1E_jjP12ihipStream_tbEUljE_ZNSN_ISO_Lb0ESQ_SR_ST_SU_SY_EESZ_S10_S11_S12_S16_S17_S18_S1B_S1C_jS1D_jS1E_S1E_jjS1G_bEUljE0_EEESZ_S10_S11_S18_S1C_S1E_T6_T7_T9_mT8_S1G_bDpT10_ENKUlT_T0_E_clISt17integral_constantIbLb0EES1T_IbLb1EEEEDaS1P_S1Q_EUlS1P_E_NS1_11comp_targetILNS1_3genE2ELNS1_11target_archE906ELNS1_3gpuE6ELNS1_3repE0EEENS1_30default_config_static_selectorELNS0_4arch9wavefront6targetE0EEEvS12_: ; @_ZN7rocprim17ROCPRIM_400000_NS6detail17trampoline_kernelINS0_13select_configILj256ELj13ELNS0_17block_load_methodE3ELS4_3ELS4_3ELNS0_20block_scan_algorithmE0ELj4294967295EEENS1_25partition_config_selectorILNS1_17partition_subalgoE4EjNS0_10empty_typeEbEEZZNS1_14partition_implILS8_4ELb0ES6_15HIP_vector_typeIjLj2EENS0_17counting_iteratorIjlEEPS9_SG_NS0_5tupleIJPjSI_NS0_16reverse_iteratorISI_EEEEENSH_IJSG_SG_SG_EEES9_SI_JZNS1_25segmented_radix_sort_implINS0_14default_configELb0EPKaPaPKlPlN2at6native12_GLOBAL__N_18offset_tEEE10hipError_tPvRmT1_PNSt15iterator_traitsIS12_E10value_typeET2_T3_PNS13_IS18_E10value_typeET4_jRbjT5_S1E_jjP12ihipStream_tbEUljE_ZNSN_ISO_Lb0ESQ_SR_ST_SU_SY_EESZ_S10_S11_S12_S16_S17_S18_S1B_S1C_jS1D_jS1E_S1E_jjS1G_bEUljE0_EEESZ_S10_S11_S18_S1C_S1E_T6_T7_T9_mT8_S1G_bDpT10_ENKUlT_T0_E_clISt17integral_constantIbLb0EES1T_IbLb1EEEEDaS1P_S1Q_EUlS1P_E_NS1_11comp_targetILNS1_3genE2ELNS1_11target_archE906ELNS1_3gpuE6ELNS1_3repE0EEENS1_30default_config_static_selectorELNS0_4arch9wavefront6targetE0EEEvS12_
; %bb.0:
	.section	.rodata,"a",@progbits
	.p2align	6, 0x0
	.amdhsa_kernel _ZN7rocprim17ROCPRIM_400000_NS6detail17trampoline_kernelINS0_13select_configILj256ELj13ELNS0_17block_load_methodE3ELS4_3ELS4_3ELNS0_20block_scan_algorithmE0ELj4294967295EEENS1_25partition_config_selectorILNS1_17partition_subalgoE4EjNS0_10empty_typeEbEEZZNS1_14partition_implILS8_4ELb0ES6_15HIP_vector_typeIjLj2EENS0_17counting_iteratorIjlEEPS9_SG_NS0_5tupleIJPjSI_NS0_16reverse_iteratorISI_EEEEENSH_IJSG_SG_SG_EEES9_SI_JZNS1_25segmented_radix_sort_implINS0_14default_configELb0EPKaPaPKlPlN2at6native12_GLOBAL__N_18offset_tEEE10hipError_tPvRmT1_PNSt15iterator_traitsIS12_E10value_typeET2_T3_PNS13_IS18_E10value_typeET4_jRbjT5_S1E_jjP12ihipStream_tbEUljE_ZNSN_ISO_Lb0ESQ_SR_ST_SU_SY_EESZ_S10_S11_S12_S16_S17_S18_S1B_S1C_jS1D_jS1E_S1E_jjS1G_bEUljE0_EEESZ_S10_S11_S18_S1C_S1E_T6_T7_T9_mT8_S1G_bDpT10_ENKUlT_T0_E_clISt17integral_constantIbLb0EES1T_IbLb1EEEEDaS1P_S1Q_EUlS1P_E_NS1_11comp_targetILNS1_3genE2ELNS1_11target_archE906ELNS1_3gpuE6ELNS1_3repE0EEENS1_30default_config_static_selectorELNS0_4arch9wavefront6targetE0EEEvS12_
		.amdhsa_group_segment_fixed_size 0
		.amdhsa_private_segment_fixed_size 0
		.amdhsa_kernarg_size 184
		.amdhsa_user_sgpr_count 2
		.amdhsa_user_sgpr_dispatch_ptr 0
		.amdhsa_user_sgpr_queue_ptr 0
		.amdhsa_user_sgpr_kernarg_segment_ptr 1
		.amdhsa_user_sgpr_dispatch_id 0
		.amdhsa_user_sgpr_kernarg_preload_length 0
		.amdhsa_user_sgpr_kernarg_preload_offset 0
		.amdhsa_user_sgpr_private_segment_size 0
		.amdhsa_wavefront_size32 1
		.amdhsa_uses_dynamic_stack 0
		.amdhsa_enable_private_segment 0
		.amdhsa_system_sgpr_workgroup_id_x 1
		.amdhsa_system_sgpr_workgroup_id_y 0
		.amdhsa_system_sgpr_workgroup_id_z 0
		.amdhsa_system_sgpr_workgroup_info 0
		.amdhsa_system_vgpr_workitem_id 0
		.amdhsa_next_free_vgpr 1
		.amdhsa_next_free_sgpr 1
		.amdhsa_named_barrier_count 0
		.amdhsa_reserve_vcc 0
		.amdhsa_float_round_mode_32 0
		.amdhsa_float_round_mode_16_64 0
		.amdhsa_float_denorm_mode_32 3
		.amdhsa_float_denorm_mode_16_64 3
		.amdhsa_fp16_overflow 0
		.amdhsa_memory_ordered 1
		.amdhsa_forward_progress 1
		.amdhsa_inst_pref_size 0
		.amdhsa_round_robin_scheduling 0
		.amdhsa_exception_fp_ieee_invalid_op 0
		.amdhsa_exception_fp_denorm_src 0
		.amdhsa_exception_fp_ieee_div_zero 0
		.amdhsa_exception_fp_ieee_overflow 0
		.amdhsa_exception_fp_ieee_underflow 0
		.amdhsa_exception_fp_ieee_inexact 0
		.amdhsa_exception_int_div_zero 0
	.end_amdhsa_kernel
	.section	.text._ZN7rocprim17ROCPRIM_400000_NS6detail17trampoline_kernelINS0_13select_configILj256ELj13ELNS0_17block_load_methodE3ELS4_3ELS4_3ELNS0_20block_scan_algorithmE0ELj4294967295EEENS1_25partition_config_selectorILNS1_17partition_subalgoE4EjNS0_10empty_typeEbEEZZNS1_14partition_implILS8_4ELb0ES6_15HIP_vector_typeIjLj2EENS0_17counting_iteratorIjlEEPS9_SG_NS0_5tupleIJPjSI_NS0_16reverse_iteratorISI_EEEEENSH_IJSG_SG_SG_EEES9_SI_JZNS1_25segmented_radix_sort_implINS0_14default_configELb0EPKaPaPKlPlN2at6native12_GLOBAL__N_18offset_tEEE10hipError_tPvRmT1_PNSt15iterator_traitsIS12_E10value_typeET2_T3_PNS13_IS18_E10value_typeET4_jRbjT5_S1E_jjP12ihipStream_tbEUljE_ZNSN_ISO_Lb0ESQ_SR_ST_SU_SY_EESZ_S10_S11_S12_S16_S17_S18_S1B_S1C_jS1D_jS1E_S1E_jjS1G_bEUljE0_EEESZ_S10_S11_S18_S1C_S1E_T6_T7_T9_mT8_S1G_bDpT10_ENKUlT_T0_E_clISt17integral_constantIbLb0EES1T_IbLb1EEEEDaS1P_S1Q_EUlS1P_E_NS1_11comp_targetILNS1_3genE2ELNS1_11target_archE906ELNS1_3gpuE6ELNS1_3repE0EEENS1_30default_config_static_selectorELNS0_4arch9wavefront6targetE0EEEvS12_,"axG",@progbits,_ZN7rocprim17ROCPRIM_400000_NS6detail17trampoline_kernelINS0_13select_configILj256ELj13ELNS0_17block_load_methodE3ELS4_3ELS4_3ELNS0_20block_scan_algorithmE0ELj4294967295EEENS1_25partition_config_selectorILNS1_17partition_subalgoE4EjNS0_10empty_typeEbEEZZNS1_14partition_implILS8_4ELb0ES6_15HIP_vector_typeIjLj2EENS0_17counting_iteratorIjlEEPS9_SG_NS0_5tupleIJPjSI_NS0_16reverse_iteratorISI_EEEEENSH_IJSG_SG_SG_EEES9_SI_JZNS1_25segmented_radix_sort_implINS0_14default_configELb0EPKaPaPKlPlN2at6native12_GLOBAL__N_18offset_tEEE10hipError_tPvRmT1_PNSt15iterator_traitsIS12_E10value_typeET2_T3_PNS13_IS18_E10value_typeET4_jRbjT5_S1E_jjP12ihipStream_tbEUljE_ZNSN_ISO_Lb0ESQ_SR_ST_SU_SY_EESZ_S10_S11_S12_S16_S17_S18_S1B_S1C_jS1D_jS1E_S1E_jjS1G_bEUljE0_EEESZ_S10_S11_S18_S1C_S1E_T6_T7_T9_mT8_S1G_bDpT10_ENKUlT_T0_E_clISt17integral_constantIbLb0EES1T_IbLb1EEEEDaS1P_S1Q_EUlS1P_E_NS1_11comp_targetILNS1_3genE2ELNS1_11target_archE906ELNS1_3gpuE6ELNS1_3repE0EEENS1_30default_config_static_selectorELNS0_4arch9wavefront6targetE0EEEvS12_,comdat
.Lfunc_end354:
	.size	_ZN7rocprim17ROCPRIM_400000_NS6detail17trampoline_kernelINS0_13select_configILj256ELj13ELNS0_17block_load_methodE3ELS4_3ELS4_3ELNS0_20block_scan_algorithmE0ELj4294967295EEENS1_25partition_config_selectorILNS1_17partition_subalgoE4EjNS0_10empty_typeEbEEZZNS1_14partition_implILS8_4ELb0ES6_15HIP_vector_typeIjLj2EENS0_17counting_iteratorIjlEEPS9_SG_NS0_5tupleIJPjSI_NS0_16reverse_iteratorISI_EEEEENSH_IJSG_SG_SG_EEES9_SI_JZNS1_25segmented_radix_sort_implINS0_14default_configELb0EPKaPaPKlPlN2at6native12_GLOBAL__N_18offset_tEEE10hipError_tPvRmT1_PNSt15iterator_traitsIS12_E10value_typeET2_T3_PNS13_IS18_E10value_typeET4_jRbjT5_S1E_jjP12ihipStream_tbEUljE_ZNSN_ISO_Lb0ESQ_SR_ST_SU_SY_EESZ_S10_S11_S12_S16_S17_S18_S1B_S1C_jS1D_jS1E_S1E_jjS1G_bEUljE0_EEESZ_S10_S11_S18_S1C_S1E_T6_T7_T9_mT8_S1G_bDpT10_ENKUlT_T0_E_clISt17integral_constantIbLb0EES1T_IbLb1EEEEDaS1P_S1Q_EUlS1P_E_NS1_11comp_targetILNS1_3genE2ELNS1_11target_archE906ELNS1_3gpuE6ELNS1_3repE0EEENS1_30default_config_static_selectorELNS0_4arch9wavefront6targetE0EEEvS12_, .Lfunc_end354-_ZN7rocprim17ROCPRIM_400000_NS6detail17trampoline_kernelINS0_13select_configILj256ELj13ELNS0_17block_load_methodE3ELS4_3ELS4_3ELNS0_20block_scan_algorithmE0ELj4294967295EEENS1_25partition_config_selectorILNS1_17partition_subalgoE4EjNS0_10empty_typeEbEEZZNS1_14partition_implILS8_4ELb0ES6_15HIP_vector_typeIjLj2EENS0_17counting_iteratorIjlEEPS9_SG_NS0_5tupleIJPjSI_NS0_16reverse_iteratorISI_EEEEENSH_IJSG_SG_SG_EEES9_SI_JZNS1_25segmented_radix_sort_implINS0_14default_configELb0EPKaPaPKlPlN2at6native12_GLOBAL__N_18offset_tEEE10hipError_tPvRmT1_PNSt15iterator_traitsIS12_E10value_typeET2_T3_PNS13_IS18_E10value_typeET4_jRbjT5_S1E_jjP12ihipStream_tbEUljE_ZNSN_ISO_Lb0ESQ_SR_ST_SU_SY_EESZ_S10_S11_S12_S16_S17_S18_S1B_S1C_jS1D_jS1E_S1E_jjS1G_bEUljE0_EEESZ_S10_S11_S18_S1C_S1E_T6_T7_T9_mT8_S1G_bDpT10_ENKUlT_T0_E_clISt17integral_constantIbLb0EES1T_IbLb1EEEEDaS1P_S1Q_EUlS1P_E_NS1_11comp_targetILNS1_3genE2ELNS1_11target_archE906ELNS1_3gpuE6ELNS1_3repE0EEENS1_30default_config_static_selectorELNS0_4arch9wavefront6targetE0EEEvS12_
                                        ; -- End function
	.set _ZN7rocprim17ROCPRIM_400000_NS6detail17trampoline_kernelINS0_13select_configILj256ELj13ELNS0_17block_load_methodE3ELS4_3ELS4_3ELNS0_20block_scan_algorithmE0ELj4294967295EEENS1_25partition_config_selectorILNS1_17partition_subalgoE4EjNS0_10empty_typeEbEEZZNS1_14partition_implILS8_4ELb0ES6_15HIP_vector_typeIjLj2EENS0_17counting_iteratorIjlEEPS9_SG_NS0_5tupleIJPjSI_NS0_16reverse_iteratorISI_EEEEENSH_IJSG_SG_SG_EEES9_SI_JZNS1_25segmented_radix_sort_implINS0_14default_configELb0EPKaPaPKlPlN2at6native12_GLOBAL__N_18offset_tEEE10hipError_tPvRmT1_PNSt15iterator_traitsIS12_E10value_typeET2_T3_PNS13_IS18_E10value_typeET4_jRbjT5_S1E_jjP12ihipStream_tbEUljE_ZNSN_ISO_Lb0ESQ_SR_ST_SU_SY_EESZ_S10_S11_S12_S16_S17_S18_S1B_S1C_jS1D_jS1E_S1E_jjS1G_bEUljE0_EEESZ_S10_S11_S18_S1C_S1E_T6_T7_T9_mT8_S1G_bDpT10_ENKUlT_T0_E_clISt17integral_constantIbLb0EES1T_IbLb1EEEEDaS1P_S1Q_EUlS1P_E_NS1_11comp_targetILNS1_3genE2ELNS1_11target_archE906ELNS1_3gpuE6ELNS1_3repE0EEENS1_30default_config_static_selectorELNS0_4arch9wavefront6targetE0EEEvS12_.num_vgpr, 0
	.set _ZN7rocprim17ROCPRIM_400000_NS6detail17trampoline_kernelINS0_13select_configILj256ELj13ELNS0_17block_load_methodE3ELS4_3ELS4_3ELNS0_20block_scan_algorithmE0ELj4294967295EEENS1_25partition_config_selectorILNS1_17partition_subalgoE4EjNS0_10empty_typeEbEEZZNS1_14partition_implILS8_4ELb0ES6_15HIP_vector_typeIjLj2EENS0_17counting_iteratorIjlEEPS9_SG_NS0_5tupleIJPjSI_NS0_16reverse_iteratorISI_EEEEENSH_IJSG_SG_SG_EEES9_SI_JZNS1_25segmented_radix_sort_implINS0_14default_configELb0EPKaPaPKlPlN2at6native12_GLOBAL__N_18offset_tEEE10hipError_tPvRmT1_PNSt15iterator_traitsIS12_E10value_typeET2_T3_PNS13_IS18_E10value_typeET4_jRbjT5_S1E_jjP12ihipStream_tbEUljE_ZNSN_ISO_Lb0ESQ_SR_ST_SU_SY_EESZ_S10_S11_S12_S16_S17_S18_S1B_S1C_jS1D_jS1E_S1E_jjS1G_bEUljE0_EEESZ_S10_S11_S18_S1C_S1E_T6_T7_T9_mT8_S1G_bDpT10_ENKUlT_T0_E_clISt17integral_constantIbLb0EES1T_IbLb1EEEEDaS1P_S1Q_EUlS1P_E_NS1_11comp_targetILNS1_3genE2ELNS1_11target_archE906ELNS1_3gpuE6ELNS1_3repE0EEENS1_30default_config_static_selectorELNS0_4arch9wavefront6targetE0EEEvS12_.num_agpr, 0
	.set _ZN7rocprim17ROCPRIM_400000_NS6detail17trampoline_kernelINS0_13select_configILj256ELj13ELNS0_17block_load_methodE3ELS4_3ELS4_3ELNS0_20block_scan_algorithmE0ELj4294967295EEENS1_25partition_config_selectorILNS1_17partition_subalgoE4EjNS0_10empty_typeEbEEZZNS1_14partition_implILS8_4ELb0ES6_15HIP_vector_typeIjLj2EENS0_17counting_iteratorIjlEEPS9_SG_NS0_5tupleIJPjSI_NS0_16reverse_iteratorISI_EEEEENSH_IJSG_SG_SG_EEES9_SI_JZNS1_25segmented_radix_sort_implINS0_14default_configELb0EPKaPaPKlPlN2at6native12_GLOBAL__N_18offset_tEEE10hipError_tPvRmT1_PNSt15iterator_traitsIS12_E10value_typeET2_T3_PNS13_IS18_E10value_typeET4_jRbjT5_S1E_jjP12ihipStream_tbEUljE_ZNSN_ISO_Lb0ESQ_SR_ST_SU_SY_EESZ_S10_S11_S12_S16_S17_S18_S1B_S1C_jS1D_jS1E_S1E_jjS1G_bEUljE0_EEESZ_S10_S11_S18_S1C_S1E_T6_T7_T9_mT8_S1G_bDpT10_ENKUlT_T0_E_clISt17integral_constantIbLb0EES1T_IbLb1EEEEDaS1P_S1Q_EUlS1P_E_NS1_11comp_targetILNS1_3genE2ELNS1_11target_archE906ELNS1_3gpuE6ELNS1_3repE0EEENS1_30default_config_static_selectorELNS0_4arch9wavefront6targetE0EEEvS12_.numbered_sgpr, 0
	.set _ZN7rocprim17ROCPRIM_400000_NS6detail17trampoline_kernelINS0_13select_configILj256ELj13ELNS0_17block_load_methodE3ELS4_3ELS4_3ELNS0_20block_scan_algorithmE0ELj4294967295EEENS1_25partition_config_selectorILNS1_17partition_subalgoE4EjNS0_10empty_typeEbEEZZNS1_14partition_implILS8_4ELb0ES6_15HIP_vector_typeIjLj2EENS0_17counting_iteratorIjlEEPS9_SG_NS0_5tupleIJPjSI_NS0_16reverse_iteratorISI_EEEEENSH_IJSG_SG_SG_EEES9_SI_JZNS1_25segmented_radix_sort_implINS0_14default_configELb0EPKaPaPKlPlN2at6native12_GLOBAL__N_18offset_tEEE10hipError_tPvRmT1_PNSt15iterator_traitsIS12_E10value_typeET2_T3_PNS13_IS18_E10value_typeET4_jRbjT5_S1E_jjP12ihipStream_tbEUljE_ZNSN_ISO_Lb0ESQ_SR_ST_SU_SY_EESZ_S10_S11_S12_S16_S17_S18_S1B_S1C_jS1D_jS1E_S1E_jjS1G_bEUljE0_EEESZ_S10_S11_S18_S1C_S1E_T6_T7_T9_mT8_S1G_bDpT10_ENKUlT_T0_E_clISt17integral_constantIbLb0EES1T_IbLb1EEEEDaS1P_S1Q_EUlS1P_E_NS1_11comp_targetILNS1_3genE2ELNS1_11target_archE906ELNS1_3gpuE6ELNS1_3repE0EEENS1_30default_config_static_selectorELNS0_4arch9wavefront6targetE0EEEvS12_.num_named_barrier, 0
	.set _ZN7rocprim17ROCPRIM_400000_NS6detail17trampoline_kernelINS0_13select_configILj256ELj13ELNS0_17block_load_methodE3ELS4_3ELS4_3ELNS0_20block_scan_algorithmE0ELj4294967295EEENS1_25partition_config_selectorILNS1_17partition_subalgoE4EjNS0_10empty_typeEbEEZZNS1_14partition_implILS8_4ELb0ES6_15HIP_vector_typeIjLj2EENS0_17counting_iteratorIjlEEPS9_SG_NS0_5tupleIJPjSI_NS0_16reverse_iteratorISI_EEEEENSH_IJSG_SG_SG_EEES9_SI_JZNS1_25segmented_radix_sort_implINS0_14default_configELb0EPKaPaPKlPlN2at6native12_GLOBAL__N_18offset_tEEE10hipError_tPvRmT1_PNSt15iterator_traitsIS12_E10value_typeET2_T3_PNS13_IS18_E10value_typeET4_jRbjT5_S1E_jjP12ihipStream_tbEUljE_ZNSN_ISO_Lb0ESQ_SR_ST_SU_SY_EESZ_S10_S11_S12_S16_S17_S18_S1B_S1C_jS1D_jS1E_S1E_jjS1G_bEUljE0_EEESZ_S10_S11_S18_S1C_S1E_T6_T7_T9_mT8_S1G_bDpT10_ENKUlT_T0_E_clISt17integral_constantIbLb0EES1T_IbLb1EEEEDaS1P_S1Q_EUlS1P_E_NS1_11comp_targetILNS1_3genE2ELNS1_11target_archE906ELNS1_3gpuE6ELNS1_3repE0EEENS1_30default_config_static_selectorELNS0_4arch9wavefront6targetE0EEEvS12_.private_seg_size, 0
	.set _ZN7rocprim17ROCPRIM_400000_NS6detail17trampoline_kernelINS0_13select_configILj256ELj13ELNS0_17block_load_methodE3ELS4_3ELS4_3ELNS0_20block_scan_algorithmE0ELj4294967295EEENS1_25partition_config_selectorILNS1_17partition_subalgoE4EjNS0_10empty_typeEbEEZZNS1_14partition_implILS8_4ELb0ES6_15HIP_vector_typeIjLj2EENS0_17counting_iteratorIjlEEPS9_SG_NS0_5tupleIJPjSI_NS0_16reverse_iteratorISI_EEEEENSH_IJSG_SG_SG_EEES9_SI_JZNS1_25segmented_radix_sort_implINS0_14default_configELb0EPKaPaPKlPlN2at6native12_GLOBAL__N_18offset_tEEE10hipError_tPvRmT1_PNSt15iterator_traitsIS12_E10value_typeET2_T3_PNS13_IS18_E10value_typeET4_jRbjT5_S1E_jjP12ihipStream_tbEUljE_ZNSN_ISO_Lb0ESQ_SR_ST_SU_SY_EESZ_S10_S11_S12_S16_S17_S18_S1B_S1C_jS1D_jS1E_S1E_jjS1G_bEUljE0_EEESZ_S10_S11_S18_S1C_S1E_T6_T7_T9_mT8_S1G_bDpT10_ENKUlT_T0_E_clISt17integral_constantIbLb0EES1T_IbLb1EEEEDaS1P_S1Q_EUlS1P_E_NS1_11comp_targetILNS1_3genE2ELNS1_11target_archE906ELNS1_3gpuE6ELNS1_3repE0EEENS1_30default_config_static_selectorELNS0_4arch9wavefront6targetE0EEEvS12_.uses_vcc, 0
	.set _ZN7rocprim17ROCPRIM_400000_NS6detail17trampoline_kernelINS0_13select_configILj256ELj13ELNS0_17block_load_methodE3ELS4_3ELS4_3ELNS0_20block_scan_algorithmE0ELj4294967295EEENS1_25partition_config_selectorILNS1_17partition_subalgoE4EjNS0_10empty_typeEbEEZZNS1_14partition_implILS8_4ELb0ES6_15HIP_vector_typeIjLj2EENS0_17counting_iteratorIjlEEPS9_SG_NS0_5tupleIJPjSI_NS0_16reverse_iteratorISI_EEEEENSH_IJSG_SG_SG_EEES9_SI_JZNS1_25segmented_radix_sort_implINS0_14default_configELb0EPKaPaPKlPlN2at6native12_GLOBAL__N_18offset_tEEE10hipError_tPvRmT1_PNSt15iterator_traitsIS12_E10value_typeET2_T3_PNS13_IS18_E10value_typeET4_jRbjT5_S1E_jjP12ihipStream_tbEUljE_ZNSN_ISO_Lb0ESQ_SR_ST_SU_SY_EESZ_S10_S11_S12_S16_S17_S18_S1B_S1C_jS1D_jS1E_S1E_jjS1G_bEUljE0_EEESZ_S10_S11_S18_S1C_S1E_T6_T7_T9_mT8_S1G_bDpT10_ENKUlT_T0_E_clISt17integral_constantIbLb0EES1T_IbLb1EEEEDaS1P_S1Q_EUlS1P_E_NS1_11comp_targetILNS1_3genE2ELNS1_11target_archE906ELNS1_3gpuE6ELNS1_3repE0EEENS1_30default_config_static_selectorELNS0_4arch9wavefront6targetE0EEEvS12_.uses_flat_scratch, 0
	.set _ZN7rocprim17ROCPRIM_400000_NS6detail17trampoline_kernelINS0_13select_configILj256ELj13ELNS0_17block_load_methodE3ELS4_3ELS4_3ELNS0_20block_scan_algorithmE0ELj4294967295EEENS1_25partition_config_selectorILNS1_17partition_subalgoE4EjNS0_10empty_typeEbEEZZNS1_14partition_implILS8_4ELb0ES6_15HIP_vector_typeIjLj2EENS0_17counting_iteratorIjlEEPS9_SG_NS0_5tupleIJPjSI_NS0_16reverse_iteratorISI_EEEEENSH_IJSG_SG_SG_EEES9_SI_JZNS1_25segmented_radix_sort_implINS0_14default_configELb0EPKaPaPKlPlN2at6native12_GLOBAL__N_18offset_tEEE10hipError_tPvRmT1_PNSt15iterator_traitsIS12_E10value_typeET2_T3_PNS13_IS18_E10value_typeET4_jRbjT5_S1E_jjP12ihipStream_tbEUljE_ZNSN_ISO_Lb0ESQ_SR_ST_SU_SY_EESZ_S10_S11_S12_S16_S17_S18_S1B_S1C_jS1D_jS1E_S1E_jjS1G_bEUljE0_EEESZ_S10_S11_S18_S1C_S1E_T6_T7_T9_mT8_S1G_bDpT10_ENKUlT_T0_E_clISt17integral_constantIbLb0EES1T_IbLb1EEEEDaS1P_S1Q_EUlS1P_E_NS1_11comp_targetILNS1_3genE2ELNS1_11target_archE906ELNS1_3gpuE6ELNS1_3repE0EEENS1_30default_config_static_selectorELNS0_4arch9wavefront6targetE0EEEvS12_.has_dyn_sized_stack, 0
	.set _ZN7rocprim17ROCPRIM_400000_NS6detail17trampoline_kernelINS0_13select_configILj256ELj13ELNS0_17block_load_methodE3ELS4_3ELS4_3ELNS0_20block_scan_algorithmE0ELj4294967295EEENS1_25partition_config_selectorILNS1_17partition_subalgoE4EjNS0_10empty_typeEbEEZZNS1_14partition_implILS8_4ELb0ES6_15HIP_vector_typeIjLj2EENS0_17counting_iteratorIjlEEPS9_SG_NS0_5tupleIJPjSI_NS0_16reverse_iteratorISI_EEEEENSH_IJSG_SG_SG_EEES9_SI_JZNS1_25segmented_radix_sort_implINS0_14default_configELb0EPKaPaPKlPlN2at6native12_GLOBAL__N_18offset_tEEE10hipError_tPvRmT1_PNSt15iterator_traitsIS12_E10value_typeET2_T3_PNS13_IS18_E10value_typeET4_jRbjT5_S1E_jjP12ihipStream_tbEUljE_ZNSN_ISO_Lb0ESQ_SR_ST_SU_SY_EESZ_S10_S11_S12_S16_S17_S18_S1B_S1C_jS1D_jS1E_S1E_jjS1G_bEUljE0_EEESZ_S10_S11_S18_S1C_S1E_T6_T7_T9_mT8_S1G_bDpT10_ENKUlT_T0_E_clISt17integral_constantIbLb0EES1T_IbLb1EEEEDaS1P_S1Q_EUlS1P_E_NS1_11comp_targetILNS1_3genE2ELNS1_11target_archE906ELNS1_3gpuE6ELNS1_3repE0EEENS1_30default_config_static_selectorELNS0_4arch9wavefront6targetE0EEEvS12_.has_recursion, 0
	.set _ZN7rocprim17ROCPRIM_400000_NS6detail17trampoline_kernelINS0_13select_configILj256ELj13ELNS0_17block_load_methodE3ELS4_3ELS4_3ELNS0_20block_scan_algorithmE0ELj4294967295EEENS1_25partition_config_selectorILNS1_17partition_subalgoE4EjNS0_10empty_typeEbEEZZNS1_14partition_implILS8_4ELb0ES6_15HIP_vector_typeIjLj2EENS0_17counting_iteratorIjlEEPS9_SG_NS0_5tupleIJPjSI_NS0_16reverse_iteratorISI_EEEEENSH_IJSG_SG_SG_EEES9_SI_JZNS1_25segmented_radix_sort_implINS0_14default_configELb0EPKaPaPKlPlN2at6native12_GLOBAL__N_18offset_tEEE10hipError_tPvRmT1_PNSt15iterator_traitsIS12_E10value_typeET2_T3_PNS13_IS18_E10value_typeET4_jRbjT5_S1E_jjP12ihipStream_tbEUljE_ZNSN_ISO_Lb0ESQ_SR_ST_SU_SY_EESZ_S10_S11_S12_S16_S17_S18_S1B_S1C_jS1D_jS1E_S1E_jjS1G_bEUljE0_EEESZ_S10_S11_S18_S1C_S1E_T6_T7_T9_mT8_S1G_bDpT10_ENKUlT_T0_E_clISt17integral_constantIbLb0EES1T_IbLb1EEEEDaS1P_S1Q_EUlS1P_E_NS1_11comp_targetILNS1_3genE2ELNS1_11target_archE906ELNS1_3gpuE6ELNS1_3repE0EEENS1_30default_config_static_selectorELNS0_4arch9wavefront6targetE0EEEvS12_.has_indirect_call, 0
	.section	.AMDGPU.csdata,"",@progbits
; Kernel info:
; codeLenInByte = 0
; TotalNumSgprs: 0
; NumVgprs: 0
; ScratchSize: 0
; MemoryBound: 0
; FloatMode: 240
; IeeeMode: 1
; LDSByteSize: 0 bytes/workgroup (compile time only)
; SGPRBlocks: 0
; VGPRBlocks: 0
; NumSGPRsForWavesPerEU: 1
; NumVGPRsForWavesPerEU: 1
; NamedBarCnt: 0
; Occupancy: 16
; WaveLimiterHint : 0
; COMPUTE_PGM_RSRC2:SCRATCH_EN: 0
; COMPUTE_PGM_RSRC2:USER_SGPR: 2
; COMPUTE_PGM_RSRC2:TRAP_HANDLER: 0
; COMPUTE_PGM_RSRC2:TGID_X_EN: 1
; COMPUTE_PGM_RSRC2:TGID_Y_EN: 0
; COMPUTE_PGM_RSRC2:TGID_Z_EN: 0
; COMPUTE_PGM_RSRC2:TIDIG_COMP_CNT: 0
	.section	.text._ZN7rocprim17ROCPRIM_400000_NS6detail17trampoline_kernelINS0_13select_configILj256ELj13ELNS0_17block_load_methodE3ELS4_3ELS4_3ELNS0_20block_scan_algorithmE0ELj4294967295EEENS1_25partition_config_selectorILNS1_17partition_subalgoE4EjNS0_10empty_typeEbEEZZNS1_14partition_implILS8_4ELb0ES6_15HIP_vector_typeIjLj2EENS0_17counting_iteratorIjlEEPS9_SG_NS0_5tupleIJPjSI_NS0_16reverse_iteratorISI_EEEEENSH_IJSG_SG_SG_EEES9_SI_JZNS1_25segmented_radix_sort_implINS0_14default_configELb0EPKaPaPKlPlN2at6native12_GLOBAL__N_18offset_tEEE10hipError_tPvRmT1_PNSt15iterator_traitsIS12_E10value_typeET2_T3_PNS13_IS18_E10value_typeET4_jRbjT5_S1E_jjP12ihipStream_tbEUljE_ZNSN_ISO_Lb0ESQ_SR_ST_SU_SY_EESZ_S10_S11_S12_S16_S17_S18_S1B_S1C_jS1D_jS1E_S1E_jjS1G_bEUljE0_EEESZ_S10_S11_S18_S1C_S1E_T6_T7_T9_mT8_S1G_bDpT10_ENKUlT_T0_E_clISt17integral_constantIbLb0EES1T_IbLb1EEEEDaS1P_S1Q_EUlS1P_E_NS1_11comp_targetILNS1_3genE10ELNS1_11target_archE1200ELNS1_3gpuE4ELNS1_3repE0EEENS1_30default_config_static_selectorELNS0_4arch9wavefront6targetE0EEEvS12_,"axG",@progbits,_ZN7rocprim17ROCPRIM_400000_NS6detail17trampoline_kernelINS0_13select_configILj256ELj13ELNS0_17block_load_methodE3ELS4_3ELS4_3ELNS0_20block_scan_algorithmE0ELj4294967295EEENS1_25partition_config_selectorILNS1_17partition_subalgoE4EjNS0_10empty_typeEbEEZZNS1_14partition_implILS8_4ELb0ES6_15HIP_vector_typeIjLj2EENS0_17counting_iteratorIjlEEPS9_SG_NS0_5tupleIJPjSI_NS0_16reverse_iteratorISI_EEEEENSH_IJSG_SG_SG_EEES9_SI_JZNS1_25segmented_radix_sort_implINS0_14default_configELb0EPKaPaPKlPlN2at6native12_GLOBAL__N_18offset_tEEE10hipError_tPvRmT1_PNSt15iterator_traitsIS12_E10value_typeET2_T3_PNS13_IS18_E10value_typeET4_jRbjT5_S1E_jjP12ihipStream_tbEUljE_ZNSN_ISO_Lb0ESQ_SR_ST_SU_SY_EESZ_S10_S11_S12_S16_S17_S18_S1B_S1C_jS1D_jS1E_S1E_jjS1G_bEUljE0_EEESZ_S10_S11_S18_S1C_S1E_T6_T7_T9_mT8_S1G_bDpT10_ENKUlT_T0_E_clISt17integral_constantIbLb0EES1T_IbLb1EEEEDaS1P_S1Q_EUlS1P_E_NS1_11comp_targetILNS1_3genE10ELNS1_11target_archE1200ELNS1_3gpuE4ELNS1_3repE0EEENS1_30default_config_static_selectorELNS0_4arch9wavefront6targetE0EEEvS12_,comdat
	.globl	_ZN7rocprim17ROCPRIM_400000_NS6detail17trampoline_kernelINS0_13select_configILj256ELj13ELNS0_17block_load_methodE3ELS4_3ELS4_3ELNS0_20block_scan_algorithmE0ELj4294967295EEENS1_25partition_config_selectorILNS1_17partition_subalgoE4EjNS0_10empty_typeEbEEZZNS1_14partition_implILS8_4ELb0ES6_15HIP_vector_typeIjLj2EENS0_17counting_iteratorIjlEEPS9_SG_NS0_5tupleIJPjSI_NS0_16reverse_iteratorISI_EEEEENSH_IJSG_SG_SG_EEES9_SI_JZNS1_25segmented_radix_sort_implINS0_14default_configELb0EPKaPaPKlPlN2at6native12_GLOBAL__N_18offset_tEEE10hipError_tPvRmT1_PNSt15iterator_traitsIS12_E10value_typeET2_T3_PNS13_IS18_E10value_typeET4_jRbjT5_S1E_jjP12ihipStream_tbEUljE_ZNSN_ISO_Lb0ESQ_SR_ST_SU_SY_EESZ_S10_S11_S12_S16_S17_S18_S1B_S1C_jS1D_jS1E_S1E_jjS1G_bEUljE0_EEESZ_S10_S11_S18_S1C_S1E_T6_T7_T9_mT8_S1G_bDpT10_ENKUlT_T0_E_clISt17integral_constantIbLb0EES1T_IbLb1EEEEDaS1P_S1Q_EUlS1P_E_NS1_11comp_targetILNS1_3genE10ELNS1_11target_archE1200ELNS1_3gpuE4ELNS1_3repE0EEENS1_30default_config_static_selectorELNS0_4arch9wavefront6targetE0EEEvS12_ ; -- Begin function _ZN7rocprim17ROCPRIM_400000_NS6detail17trampoline_kernelINS0_13select_configILj256ELj13ELNS0_17block_load_methodE3ELS4_3ELS4_3ELNS0_20block_scan_algorithmE0ELj4294967295EEENS1_25partition_config_selectorILNS1_17partition_subalgoE4EjNS0_10empty_typeEbEEZZNS1_14partition_implILS8_4ELb0ES6_15HIP_vector_typeIjLj2EENS0_17counting_iteratorIjlEEPS9_SG_NS0_5tupleIJPjSI_NS0_16reverse_iteratorISI_EEEEENSH_IJSG_SG_SG_EEES9_SI_JZNS1_25segmented_radix_sort_implINS0_14default_configELb0EPKaPaPKlPlN2at6native12_GLOBAL__N_18offset_tEEE10hipError_tPvRmT1_PNSt15iterator_traitsIS12_E10value_typeET2_T3_PNS13_IS18_E10value_typeET4_jRbjT5_S1E_jjP12ihipStream_tbEUljE_ZNSN_ISO_Lb0ESQ_SR_ST_SU_SY_EESZ_S10_S11_S12_S16_S17_S18_S1B_S1C_jS1D_jS1E_S1E_jjS1G_bEUljE0_EEESZ_S10_S11_S18_S1C_S1E_T6_T7_T9_mT8_S1G_bDpT10_ENKUlT_T0_E_clISt17integral_constantIbLb0EES1T_IbLb1EEEEDaS1P_S1Q_EUlS1P_E_NS1_11comp_targetILNS1_3genE10ELNS1_11target_archE1200ELNS1_3gpuE4ELNS1_3repE0EEENS1_30default_config_static_selectorELNS0_4arch9wavefront6targetE0EEEvS12_
	.p2align	8
	.type	_ZN7rocprim17ROCPRIM_400000_NS6detail17trampoline_kernelINS0_13select_configILj256ELj13ELNS0_17block_load_methodE3ELS4_3ELS4_3ELNS0_20block_scan_algorithmE0ELj4294967295EEENS1_25partition_config_selectorILNS1_17partition_subalgoE4EjNS0_10empty_typeEbEEZZNS1_14partition_implILS8_4ELb0ES6_15HIP_vector_typeIjLj2EENS0_17counting_iteratorIjlEEPS9_SG_NS0_5tupleIJPjSI_NS0_16reverse_iteratorISI_EEEEENSH_IJSG_SG_SG_EEES9_SI_JZNS1_25segmented_radix_sort_implINS0_14default_configELb0EPKaPaPKlPlN2at6native12_GLOBAL__N_18offset_tEEE10hipError_tPvRmT1_PNSt15iterator_traitsIS12_E10value_typeET2_T3_PNS13_IS18_E10value_typeET4_jRbjT5_S1E_jjP12ihipStream_tbEUljE_ZNSN_ISO_Lb0ESQ_SR_ST_SU_SY_EESZ_S10_S11_S12_S16_S17_S18_S1B_S1C_jS1D_jS1E_S1E_jjS1G_bEUljE0_EEESZ_S10_S11_S18_S1C_S1E_T6_T7_T9_mT8_S1G_bDpT10_ENKUlT_T0_E_clISt17integral_constantIbLb0EES1T_IbLb1EEEEDaS1P_S1Q_EUlS1P_E_NS1_11comp_targetILNS1_3genE10ELNS1_11target_archE1200ELNS1_3gpuE4ELNS1_3repE0EEENS1_30default_config_static_selectorELNS0_4arch9wavefront6targetE0EEEvS12_,@function
_ZN7rocprim17ROCPRIM_400000_NS6detail17trampoline_kernelINS0_13select_configILj256ELj13ELNS0_17block_load_methodE3ELS4_3ELS4_3ELNS0_20block_scan_algorithmE0ELj4294967295EEENS1_25partition_config_selectorILNS1_17partition_subalgoE4EjNS0_10empty_typeEbEEZZNS1_14partition_implILS8_4ELb0ES6_15HIP_vector_typeIjLj2EENS0_17counting_iteratorIjlEEPS9_SG_NS0_5tupleIJPjSI_NS0_16reverse_iteratorISI_EEEEENSH_IJSG_SG_SG_EEES9_SI_JZNS1_25segmented_radix_sort_implINS0_14default_configELb0EPKaPaPKlPlN2at6native12_GLOBAL__N_18offset_tEEE10hipError_tPvRmT1_PNSt15iterator_traitsIS12_E10value_typeET2_T3_PNS13_IS18_E10value_typeET4_jRbjT5_S1E_jjP12ihipStream_tbEUljE_ZNSN_ISO_Lb0ESQ_SR_ST_SU_SY_EESZ_S10_S11_S12_S16_S17_S18_S1B_S1C_jS1D_jS1E_S1E_jjS1G_bEUljE0_EEESZ_S10_S11_S18_S1C_S1E_T6_T7_T9_mT8_S1G_bDpT10_ENKUlT_T0_E_clISt17integral_constantIbLb0EES1T_IbLb1EEEEDaS1P_S1Q_EUlS1P_E_NS1_11comp_targetILNS1_3genE10ELNS1_11target_archE1200ELNS1_3gpuE4ELNS1_3repE0EEENS1_30default_config_static_selectorELNS0_4arch9wavefront6targetE0EEEvS12_: ; @_ZN7rocprim17ROCPRIM_400000_NS6detail17trampoline_kernelINS0_13select_configILj256ELj13ELNS0_17block_load_methodE3ELS4_3ELS4_3ELNS0_20block_scan_algorithmE0ELj4294967295EEENS1_25partition_config_selectorILNS1_17partition_subalgoE4EjNS0_10empty_typeEbEEZZNS1_14partition_implILS8_4ELb0ES6_15HIP_vector_typeIjLj2EENS0_17counting_iteratorIjlEEPS9_SG_NS0_5tupleIJPjSI_NS0_16reverse_iteratorISI_EEEEENSH_IJSG_SG_SG_EEES9_SI_JZNS1_25segmented_radix_sort_implINS0_14default_configELb0EPKaPaPKlPlN2at6native12_GLOBAL__N_18offset_tEEE10hipError_tPvRmT1_PNSt15iterator_traitsIS12_E10value_typeET2_T3_PNS13_IS18_E10value_typeET4_jRbjT5_S1E_jjP12ihipStream_tbEUljE_ZNSN_ISO_Lb0ESQ_SR_ST_SU_SY_EESZ_S10_S11_S12_S16_S17_S18_S1B_S1C_jS1D_jS1E_S1E_jjS1G_bEUljE0_EEESZ_S10_S11_S18_S1C_S1E_T6_T7_T9_mT8_S1G_bDpT10_ENKUlT_T0_E_clISt17integral_constantIbLb0EES1T_IbLb1EEEEDaS1P_S1Q_EUlS1P_E_NS1_11comp_targetILNS1_3genE10ELNS1_11target_archE1200ELNS1_3gpuE4ELNS1_3repE0EEENS1_30default_config_static_selectorELNS0_4arch9wavefront6targetE0EEEvS12_
; %bb.0:
	.section	.rodata,"a",@progbits
	.p2align	6, 0x0
	.amdhsa_kernel _ZN7rocprim17ROCPRIM_400000_NS6detail17trampoline_kernelINS0_13select_configILj256ELj13ELNS0_17block_load_methodE3ELS4_3ELS4_3ELNS0_20block_scan_algorithmE0ELj4294967295EEENS1_25partition_config_selectorILNS1_17partition_subalgoE4EjNS0_10empty_typeEbEEZZNS1_14partition_implILS8_4ELb0ES6_15HIP_vector_typeIjLj2EENS0_17counting_iteratorIjlEEPS9_SG_NS0_5tupleIJPjSI_NS0_16reverse_iteratorISI_EEEEENSH_IJSG_SG_SG_EEES9_SI_JZNS1_25segmented_radix_sort_implINS0_14default_configELb0EPKaPaPKlPlN2at6native12_GLOBAL__N_18offset_tEEE10hipError_tPvRmT1_PNSt15iterator_traitsIS12_E10value_typeET2_T3_PNS13_IS18_E10value_typeET4_jRbjT5_S1E_jjP12ihipStream_tbEUljE_ZNSN_ISO_Lb0ESQ_SR_ST_SU_SY_EESZ_S10_S11_S12_S16_S17_S18_S1B_S1C_jS1D_jS1E_S1E_jjS1G_bEUljE0_EEESZ_S10_S11_S18_S1C_S1E_T6_T7_T9_mT8_S1G_bDpT10_ENKUlT_T0_E_clISt17integral_constantIbLb0EES1T_IbLb1EEEEDaS1P_S1Q_EUlS1P_E_NS1_11comp_targetILNS1_3genE10ELNS1_11target_archE1200ELNS1_3gpuE4ELNS1_3repE0EEENS1_30default_config_static_selectorELNS0_4arch9wavefront6targetE0EEEvS12_
		.amdhsa_group_segment_fixed_size 0
		.amdhsa_private_segment_fixed_size 0
		.amdhsa_kernarg_size 184
		.amdhsa_user_sgpr_count 2
		.amdhsa_user_sgpr_dispatch_ptr 0
		.amdhsa_user_sgpr_queue_ptr 0
		.amdhsa_user_sgpr_kernarg_segment_ptr 1
		.amdhsa_user_sgpr_dispatch_id 0
		.amdhsa_user_sgpr_kernarg_preload_length 0
		.amdhsa_user_sgpr_kernarg_preload_offset 0
		.amdhsa_user_sgpr_private_segment_size 0
		.amdhsa_wavefront_size32 1
		.amdhsa_uses_dynamic_stack 0
		.amdhsa_enable_private_segment 0
		.amdhsa_system_sgpr_workgroup_id_x 1
		.amdhsa_system_sgpr_workgroup_id_y 0
		.amdhsa_system_sgpr_workgroup_id_z 0
		.amdhsa_system_sgpr_workgroup_info 0
		.amdhsa_system_vgpr_workitem_id 0
		.amdhsa_next_free_vgpr 1
		.amdhsa_next_free_sgpr 1
		.amdhsa_named_barrier_count 0
		.amdhsa_reserve_vcc 0
		.amdhsa_float_round_mode_32 0
		.amdhsa_float_round_mode_16_64 0
		.amdhsa_float_denorm_mode_32 3
		.amdhsa_float_denorm_mode_16_64 3
		.amdhsa_fp16_overflow 0
		.amdhsa_memory_ordered 1
		.amdhsa_forward_progress 1
		.amdhsa_inst_pref_size 0
		.amdhsa_round_robin_scheduling 0
		.amdhsa_exception_fp_ieee_invalid_op 0
		.amdhsa_exception_fp_denorm_src 0
		.amdhsa_exception_fp_ieee_div_zero 0
		.amdhsa_exception_fp_ieee_overflow 0
		.amdhsa_exception_fp_ieee_underflow 0
		.amdhsa_exception_fp_ieee_inexact 0
		.amdhsa_exception_int_div_zero 0
	.end_amdhsa_kernel
	.section	.text._ZN7rocprim17ROCPRIM_400000_NS6detail17trampoline_kernelINS0_13select_configILj256ELj13ELNS0_17block_load_methodE3ELS4_3ELS4_3ELNS0_20block_scan_algorithmE0ELj4294967295EEENS1_25partition_config_selectorILNS1_17partition_subalgoE4EjNS0_10empty_typeEbEEZZNS1_14partition_implILS8_4ELb0ES6_15HIP_vector_typeIjLj2EENS0_17counting_iteratorIjlEEPS9_SG_NS0_5tupleIJPjSI_NS0_16reverse_iteratorISI_EEEEENSH_IJSG_SG_SG_EEES9_SI_JZNS1_25segmented_radix_sort_implINS0_14default_configELb0EPKaPaPKlPlN2at6native12_GLOBAL__N_18offset_tEEE10hipError_tPvRmT1_PNSt15iterator_traitsIS12_E10value_typeET2_T3_PNS13_IS18_E10value_typeET4_jRbjT5_S1E_jjP12ihipStream_tbEUljE_ZNSN_ISO_Lb0ESQ_SR_ST_SU_SY_EESZ_S10_S11_S12_S16_S17_S18_S1B_S1C_jS1D_jS1E_S1E_jjS1G_bEUljE0_EEESZ_S10_S11_S18_S1C_S1E_T6_T7_T9_mT8_S1G_bDpT10_ENKUlT_T0_E_clISt17integral_constantIbLb0EES1T_IbLb1EEEEDaS1P_S1Q_EUlS1P_E_NS1_11comp_targetILNS1_3genE10ELNS1_11target_archE1200ELNS1_3gpuE4ELNS1_3repE0EEENS1_30default_config_static_selectorELNS0_4arch9wavefront6targetE0EEEvS12_,"axG",@progbits,_ZN7rocprim17ROCPRIM_400000_NS6detail17trampoline_kernelINS0_13select_configILj256ELj13ELNS0_17block_load_methodE3ELS4_3ELS4_3ELNS0_20block_scan_algorithmE0ELj4294967295EEENS1_25partition_config_selectorILNS1_17partition_subalgoE4EjNS0_10empty_typeEbEEZZNS1_14partition_implILS8_4ELb0ES6_15HIP_vector_typeIjLj2EENS0_17counting_iteratorIjlEEPS9_SG_NS0_5tupleIJPjSI_NS0_16reverse_iteratorISI_EEEEENSH_IJSG_SG_SG_EEES9_SI_JZNS1_25segmented_radix_sort_implINS0_14default_configELb0EPKaPaPKlPlN2at6native12_GLOBAL__N_18offset_tEEE10hipError_tPvRmT1_PNSt15iterator_traitsIS12_E10value_typeET2_T3_PNS13_IS18_E10value_typeET4_jRbjT5_S1E_jjP12ihipStream_tbEUljE_ZNSN_ISO_Lb0ESQ_SR_ST_SU_SY_EESZ_S10_S11_S12_S16_S17_S18_S1B_S1C_jS1D_jS1E_S1E_jjS1G_bEUljE0_EEESZ_S10_S11_S18_S1C_S1E_T6_T7_T9_mT8_S1G_bDpT10_ENKUlT_T0_E_clISt17integral_constantIbLb0EES1T_IbLb1EEEEDaS1P_S1Q_EUlS1P_E_NS1_11comp_targetILNS1_3genE10ELNS1_11target_archE1200ELNS1_3gpuE4ELNS1_3repE0EEENS1_30default_config_static_selectorELNS0_4arch9wavefront6targetE0EEEvS12_,comdat
.Lfunc_end355:
	.size	_ZN7rocprim17ROCPRIM_400000_NS6detail17trampoline_kernelINS0_13select_configILj256ELj13ELNS0_17block_load_methodE3ELS4_3ELS4_3ELNS0_20block_scan_algorithmE0ELj4294967295EEENS1_25partition_config_selectorILNS1_17partition_subalgoE4EjNS0_10empty_typeEbEEZZNS1_14partition_implILS8_4ELb0ES6_15HIP_vector_typeIjLj2EENS0_17counting_iteratorIjlEEPS9_SG_NS0_5tupleIJPjSI_NS0_16reverse_iteratorISI_EEEEENSH_IJSG_SG_SG_EEES9_SI_JZNS1_25segmented_radix_sort_implINS0_14default_configELb0EPKaPaPKlPlN2at6native12_GLOBAL__N_18offset_tEEE10hipError_tPvRmT1_PNSt15iterator_traitsIS12_E10value_typeET2_T3_PNS13_IS18_E10value_typeET4_jRbjT5_S1E_jjP12ihipStream_tbEUljE_ZNSN_ISO_Lb0ESQ_SR_ST_SU_SY_EESZ_S10_S11_S12_S16_S17_S18_S1B_S1C_jS1D_jS1E_S1E_jjS1G_bEUljE0_EEESZ_S10_S11_S18_S1C_S1E_T6_T7_T9_mT8_S1G_bDpT10_ENKUlT_T0_E_clISt17integral_constantIbLb0EES1T_IbLb1EEEEDaS1P_S1Q_EUlS1P_E_NS1_11comp_targetILNS1_3genE10ELNS1_11target_archE1200ELNS1_3gpuE4ELNS1_3repE0EEENS1_30default_config_static_selectorELNS0_4arch9wavefront6targetE0EEEvS12_, .Lfunc_end355-_ZN7rocprim17ROCPRIM_400000_NS6detail17trampoline_kernelINS0_13select_configILj256ELj13ELNS0_17block_load_methodE3ELS4_3ELS4_3ELNS0_20block_scan_algorithmE0ELj4294967295EEENS1_25partition_config_selectorILNS1_17partition_subalgoE4EjNS0_10empty_typeEbEEZZNS1_14partition_implILS8_4ELb0ES6_15HIP_vector_typeIjLj2EENS0_17counting_iteratorIjlEEPS9_SG_NS0_5tupleIJPjSI_NS0_16reverse_iteratorISI_EEEEENSH_IJSG_SG_SG_EEES9_SI_JZNS1_25segmented_radix_sort_implINS0_14default_configELb0EPKaPaPKlPlN2at6native12_GLOBAL__N_18offset_tEEE10hipError_tPvRmT1_PNSt15iterator_traitsIS12_E10value_typeET2_T3_PNS13_IS18_E10value_typeET4_jRbjT5_S1E_jjP12ihipStream_tbEUljE_ZNSN_ISO_Lb0ESQ_SR_ST_SU_SY_EESZ_S10_S11_S12_S16_S17_S18_S1B_S1C_jS1D_jS1E_S1E_jjS1G_bEUljE0_EEESZ_S10_S11_S18_S1C_S1E_T6_T7_T9_mT8_S1G_bDpT10_ENKUlT_T0_E_clISt17integral_constantIbLb0EES1T_IbLb1EEEEDaS1P_S1Q_EUlS1P_E_NS1_11comp_targetILNS1_3genE10ELNS1_11target_archE1200ELNS1_3gpuE4ELNS1_3repE0EEENS1_30default_config_static_selectorELNS0_4arch9wavefront6targetE0EEEvS12_
                                        ; -- End function
	.set _ZN7rocprim17ROCPRIM_400000_NS6detail17trampoline_kernelINS0_13select_configILj256ELj13ELNS0_17block_load_methodE3ELS4_3ELS4_3ELNS0_20block_scan_algorithmE0ELj4294967295EEENS1_25partition_config_selectorILNS1_17partition_subalgoE4EjNS0_10empty_typeEbEEZZNS1_14partition_implILS8_4ELb0ES6_15HIP_vector_typeIjLj2EENS0_17counting_iteratorIjlEEPS9_SG_NS0_5tupleIJPjSI_NS0_16reverse_iteratorISI_EEEEENSH_IJSG_SG_SG_EEES9_SI_JZNS1_25segmented_radix_sort_implINS0_14default_configELb0EPKaPaPKlPlN2at6native12_GLOBAL__N_18offset_tEEE10hipError_tPvRmT1_PNSt15iterator_traitsIS12_E10value_typeET2_T3_PNS13_IS18_E10value_typeET4_jRbjT5_S1E_jjP12ihipStream_tbEUljE_ZNSN_ISO_Lb0ESQ_SR_ST_SU_SY_EESZ_S10_S11_S12_S16_S17_S18_S1B_S1C_jS1D_jS1E_S1E_jjS1G_bEUljE0_EEESZ_S10_S11_S18_S1C_S1E_T6_T7_T9_mT8_S1G_bDpT10_ENKUlT_T0_E_clISt17integral_constantIbLb0EES1T_IbLb1EEEEDaS1P_S1Q_EUlS1P_E_NS1_11comp_targetILNS1_3genE10ELNS1_11target_archE1200ELNS1_3gpuE4ELNS1_3repE0EEENS1_30default_config_static_selectorELNS0_4arch9wavefront6targetE0EEEvS12_.num_vgpr, 0
	.set _ZN7rocprim17ROCPRIM_400000_NS6detail17trampoline_kernelINS0_13select_configILj256ELj13ELNS0_17block_load_methodE3ELS4_3ELS4_3ELNS0_20block_scan_algorithmE0ELj4294967295EEENS1_25partition_config_selectorILNS1_17partition_subalgoE4EjNS0_10empty_typeEbEEZZNS1_14partition_implILS8_4ELb0ES6_15HIP_vector_typeIjLj2EENS0_17counting_iteratorIjlEEPS9_SG_NS0_5tupleIJPjSI_NS0_16reverse_iteratorISI_EEEEENSH_IJSG_SG_SG_EEES9_SI_JZNS1_25segmented_radix_sort_implINS0_14default_configELb0EPKaPaPKlPlN2at6native12_GLOBAL__N_18offset_tEEE10hipError_tPvRmT1_PNSt15iterator_traitsIS12_E10value_typeET2_T3_PNS13_IS18_E10value_typeET4_jRbjT5_S1E_jjP12ihipStream_tbEUljE_ZNSN_ISO_Lb0ESQ_SR_ST_SU_SY_EESZ_S10_S11_S12_S16_S17_S18_S1B_S1C_jS1D_jS1E_S1E_jjS1G_bEUljE0_EEESZ_S10_S11_S18_S1C_S1E_T6_T7_T9_mT8_S1G_bDpT10_ENKUlT_T0_E_clISt17integral_constantIbLb0EES1T_IbLb1EEEEDaS1P_S1Q_EUlS1P_E_NS1_11comp_targetILNS1_3genE10ELNS1_11target_archE1200ELNS1_3gpuE4ELNS1_3repE0EEENS1_30default_config_static_selectorELNS0_4arch9wavefront6targetE0EEEvS12_.num_agpr, 0
	.set _ZN7rocprim17ROCPRIM_400000_NS6detail17trampoline_kernelINS0_13select_configILj256ELj13ELNS0_17block_load_methodE3ELS4_3ELS4_3ELNS0_20block_scan_algorithmE0ELj4294967295EEENS1_25partition_config_selectorILNS1_17partition_subalgoE4EjNS0_10empty_typeEbEEZZNS1_14partition_implILS8_4ELb0ES6_15HIP_vector_typeIjLj2EENS0_17counting_iteratorIjlEEPS9_SG_NS0_5tupleIJPjSI_NS0_16reverse_iteratorISI_EEEEENSH_IJSG_SG_SG_EEES9_SI_JZNS1_25segmented_radix_sort_implINS0_14default_configELb0EPKaPaPKlPlN2at6native12_GLOBAL__N_18offset_tEEE10hipError_tPvRmT1_PNSt15iterator_traitsIS12_E10value_typeET2_T3_PNS13_IS18_E10value_typeET4_jRbjT5_S1E_jjP12ihipStream_tbEUljE_ZNSN_ISO_Lb0ESQ_SR_ST_SU_SY_EESZ_S10_S11_S12_S16_S17_S18_S1B_S1C_jS1D_jS1E_S1E_jjS1G_bEUljE0_EEESZ_S10_S11_S18_S1C_S1E_T6_T7_T9_mT8_S1G_bDpT10_ENKUlT_T0_E_clISt17integral_constantIbLb0EES1T_IbLb1EEEEDaS1P_S1Q_EUlS1P_E_NS1_11comp_targetILNS1_3genE10ELNS1_11target_archE1200ELNS1_3gpuE4ELNS1_3repE0EEENS1_30default_config_static_selectorELNS0_4arch9wavefront6targetE0EEEvS12_.numbered_sgpr, 0
	.set _ZN7rocprim17ROCPRIM_400000_NS6detail17trampoline_kernelINS0_13select_configILj256ELj13ELNS0_17block_load_methodE3ELS4_3ELS4_3ELNS0_20block_scan_algorithmE0ELj4294967295EEENS1_25partition_config_selectorILNS1_17partition_subalgoE4EjNS0_10empty_typeEbEEZZNS1_14partition_implILS8_4ELb0ES6_15HIP_vector_typeIjLj2EENS0_17counting_iteratorIjlEEPS9_SG_NS0_5tupleIJPjSI_NS0_16reverse_iteratorISI_EEEEENSH_IJSG_SG_SG_EEES9_SI_JZNS1_25segmented_radix_sort_implINS0_14default_configELb0EPKaPaPKlPlN2at6native12_GLOBAL__N_18offset_tEEE10hipError_tPvRmT1_PNSt15iterator_traitsIS12_E10value_typeET2_T3_PNS13_IS18_E10value_typeET4_jRbjT5_S1E_jjP12ihipStream_tbEUljE_ZNSN_ISO_Lb0ESQ_SR_ST_SU_SY_EESZ_S10_S11_S12_S16_S17_S18_S1B_S1C_jS1D_jS1E_S1E_jjS1G_bEUljE0_EEESZ_S10_S11_S18_S1C_S1E_T6_T7_T9_mT8_S1G_bDpT10_ENKUlT_T0_E_clISt17integral_constantIbLb0EES1T_IbLb1EEEEDaS1P_S1Q_EUlS1P_E_NS1_11comp_targetILNS1_3genE10ELNS1_11target_archE1200ELNS1_3gpuE4ELNS1_3repE0EEENS1_30default_config_static_selectorELNS0_4arch9wavefront6targetE0EEEvS12_.num_named_barrier, 0
	.set _ZN7rocprim17ROCPRIM_400000_NS6detail17trampoline_kernelINS0_13select_configILj256ELj13ELNS0_17block_load_methodE3ELS4_3ELS4_3ELNS0_20block_scan_algorithmE0ELj4294967295EEENS1_25partition_config_selectorILNS1_17partition_subalgoE4EjNS0_10empty_typeEbEEZZNS1_14partition_implILS8_4ELb0ES6_15HIP_vector_typeIjLj2EENS0_17counting_iteratorIjlEEPS9_SG_NS0_5tupleIJPjSI_NS0_16reverse_iteratorISI_EEEEENSH_IJSG_SG_SG_EEES9_SI_JZNS1_25segmented_radix_sort_implINS0_14default_configELb0EPKaPaPKlPlN2at6native12_GLOBAL__N_18offset_tEEE10hipError_tPvRmT1_PNSt15iterator_traitsIS12_E10value_typeET2_T3_PNS13_IS18_E10value_typeET4_jRbjT5_S1E_jjP12ihipStream_tbEUljE_ZNSN_ISO_Lb0ESQ_SR_ST_SU_SY_EESZ_S10_S11_S12_S16_S17_S18_S1B_S1C_jS1D_jS1E_S1E_jjS1G_bEUljE0_EEESZ_S10_S11_S18_S1C_S1E_T6_T7_T9_mT8_S1G_bDpT10_ENKUlT_T0_E_clISt17integral_constantIbLb0EES1T_IbLb1EEEEDaS1P_S1Q_EUlS1P_E_NS1_11comp_targetILNS1_3genE10ELNS1_11target_archE1200ELNS1_3gpuE4ELNS1_3repE0EEENS1_30default_config_static_selectorELNS0_4arch9wavefront6targetE0EEEvS12_.private_seg_size, 0
	.set _ZN7rocprim17ROCPRIM_400000_NS6detail17trampoline_kernelINS0_13select_configILj256ELj13ELNS0_17block_load_methodE3ELS4_3ELS4_3ELNS0_20block_scan_algorithmE0ELj4294967295EEENS1_25partition_config_selectorILNS1_17partition_subalgoE4EjNS0_10empty_typeEbEEZZNS1_14partition_implILS8_4ELb0ES6_15HIP_vector_typeIjLj2EENS0_17counting_iteratorIjlEEPS9_SG_NS0_5tupleIJPjSI_NS0_16reverse_iteratorISI_EEEEENSH_IJSG_SG_SG_EEES9_SI_JZNS1_25segmented_radix_sort_implINS0_14default_configELb0EPKaPaPKlPlN2at6native12_GLOBAL__N_18offset_tEEE10hipError_tPvRmT1_PNSt15iterator_traitsIS12_E10value_typeET2_T3_PNS13_IS18_E10value_typeET4_jRbjT5_S1E_jjP12ihipStream_tbEUljE_ZNSN_ISO_Lb0ESQ_SR_ST_SU_SY_EESZ_S10_S11_S12_S16_S17_S18_S1B_S1C_jS1D_jS1E_S1E_jjS1G_bEUljE0_EEESZ_S10_S11_S18_S1C_S1E_T6_T7_T9_mT8_S1G_bDpT10_ENKUlT_T0_E_clISt17integral_constantIbLb0EES1T_IbLb1EEEEDaS1P_S1Q_EUlS1P_E_NS1_11comp_targetILNS1_3genE10ELNS1_11target_archE1200ELNS1_3gpuE4ELNS1_3repE0EEENS1_30default_config_static_selectorELNS0_4arch9wavefront6targetE0EEEvS12_.uses_vcc, 0
	.set _ZN7rocprim17ROCPRIM_400000_NS6detail17trampoline_kernelINS0_13select_configILj256ELj13ELNS0_17block_load_methodE3ELS4_3ELS4_3ELNS0_20block_scan_algorithmE0ELj4294967295EEENS1_25partition_config_selectorILNS1_17partition_subalgoE4EjNS0_10empty_typeEbEEZZNS1_14partition_implILS8_4ELb0ES6_15HIP_vector_typeIjLj2EENS0_17counting_iteratorIjlEEPS9_SG_NS0_5tupleIJPjSI_NS0_16reverse_iteratorISI_EEEEENSH_IJSG_SG_SG_EEES9_SI_JZNS1_25segmented_radix_sort_implINS0_14default_configELb0EPKaPaPKlPlN2at6native12_GLOBAL__N_18offset_tEEE10hipError_tPvRmT1_PNSt15iterator_traitsIS12_E10value_typeET2_T3_PNS13_IS18_E10value_typeET4_jRbjT5_S1E_jjP12ihipStream_tbEUljE_ZNSN_ISO_Lb0ESQ_SR_ST_SU_SY_EESZ_S10_S11_S12_S16_S17_S18_S1B_S1C_jS1D_jS1E_S1E_jjS1G_bEUljE0_EEESZ_S10_S11_S18_S1C_S1E_T6_T7_T9_mT8_S1G_bDpT10_ENKUlT_T0_E_clISt17integral_constantIbLb0EES1T_IbLb1EEEEDaS1P_S1Q_EUlS1P_E_NS1_11comp_targetILNS1_3genE10ELNS1_11target_archE1200ELNS1_3gpuE4ELNS1_3repE0EEENS1_30default_config_static_selectorELNS0_4arch9wavefront6targetE0EEEvS12_.uses_flat_scratch, 0
	.set _ZN7rocprim17ROCPRIM_400000_NS6detail17trampoline_kernelINS0_13select_configILj256ELj13ELNS0_17block_load_methodE3ELS4_3ELS4_3ELNS0_20block_scan_algorithmE0ELj4294967295EEENS1_25partition_config_selectorILNS1_17partition_subalgoE4EjNS0_10empty_typeEbEEZZNS1_14partition_implILS8_4ELb0ES6_15HIP_vector_typeIjLj2EENS0_17counting_iteratorIjlEEPS9_SG_NS0_5tupleIJPjSI_NS0_16reverse_iteratorISI_EEEEENSH_IJSG_SG_SG_EEES9_SI_JZNS1_25segmented_radix_sort_implINS0_14default_configELb0EPKaPaPKlPlN2at6native12_GLOBAL__N_18offset_tEEE10hipError_tPvRmT1_PNSt15iterator_traitsIS12_E10value_typeET2_T3_PNS13_IS18_E10value_typeET4_jRbjT5_S1E_jjP12ihipStream_tbEUljE_ZNSN_ISO_Lb0ESQ_SR_ST_SU_SY_EESZ_S10_S11_S12_S16_S17_S18_S1B_S1C_jS1D_jS1E_S1E_jjS1G_bEUljE0_EEESZ_S10_S11_S18_S1C_S1E_T6_T7_T9_mT8_S1G_bDpT10_ENKUlT_T0_E_clISt17integral_constantIbLb0EES1T_IbLb1EEEEDaS1P_S1Q_EUlS1P_E_NS1_11comp_targetILNS1_3genE10ELNS1_11target_archE1200ELNS1_3gpuE4ELNS1_3repE0EEENS1_30default_config_static_selectorELNS0_4arch9wavefront6targetE0EEEvS12_.has_dyn_sized_stack, 0
	.set _ZN7rocprim17ROCPRIM_400000_NS6detail17trampoline_kernelINS0_13select_configILj256ELj13ELNS0_17block_load_methodE3ELS4_3ELS4_3ELNS0_20block_scan_algorithmE0ELj4294967295EEENS1_25partition_config_selectorILNS1_17partition_subalgoE4EjNS0_10empty_typeEbEEZZNS1_14partition_implILS8_4ELb0ES6_15HIP_vector_typeIjLj2EENS0_17counting_iteratorIjlEEPS9_SG_NS0_5tupleIJPjSI_NS0_16reverse_iteratorISI_EEEEENSH_IJSG_SG_SG_EEES9_SI_JZNS1_25segmented_radix_sort_implINS0_14default_configELb0EPKaPaPKlPlN2at6native12_GLOBAL__N_18offset_tEEE10hipError_tPvRmT1_PNSt15iterator_traitsIS12_E10value_typeET2_T3_PNS13_IS18_E10value_typeET4_jRbjT5_S1E_jjP12ihipStream_tbEUljE_ZNSN_ISO_Lb0ESQ_SR_ST_SU_SY_EESZ_S10_S11_S12_S16_S17_S18_S1B_S1C_jS1D_jS1E_S1E_jjS1G_bEUljE0_EEESZ_S10_S11_S18_S1C_S1E_T6_T7_T9_mT8_S1G_bDpT10_ENKUlT_T0_E_clISt17integral_constantIbLb0EES1T_IbLb1EEEEDaS1P_S1Q_EUlS1P_E_NS1_11comp_targetILNS1_3genE10ELNS1_11target_archE1200ELNS1_3gpuE4ELNS1_3repE0EEENS1_30default_config_static_selectorELNS0_4arch9wavefront6targetE0EEEvS12_.has_recursion, 0
	.set _ZN7rocprim17ROCPRIM_400000_NS6detail17trampoline_kernelINS0_13select_configILj256ELj13ELNS0_17block_load_methodE3ELS4_3ELS4_3ELNS0_20block_scan_algorithmE0ELj4294967295EEENS1_25partition_config_selectorILNS1_17partition_subalgoE4EjNS0_10empty_typeEbEEZZNS1_14partition_implILS8_4ELb0ES6_15HIP_vector_typeIjLj2EENS0_17counting_iteratorIjlEEPS9_SG_NS0_5tupleIJPjSI_NS0_16reverse_iteratorISI_EEEEENSH_IJSG_SG_SG_EEES9_SI_JZNS1_25segmented_radix_sort_implINS0_14default_configELb0EPKaPaPKlPlN2at6native12_GLOBAL__N_18offset_tEEE10hipError_tPvRmT1_PNSt15iterator_traitsIS12_E10value_typeET2_T3_PNS13_IS18_E10value_typeET4_jRbjT5_S1E_jjP12ihipStream_tbEUljE_ZNSN_ISO_Lb0ESQ_SR_ST_SU_SY_EESZ_S10_S11_S12_S16_S17_S18_S1B_S1C_jS1D_jS1E_S1E_jjS1G_bEUljE0_EEESZ_S10_S11_S18_S1C_S1E_T6_T7_T9_mT8_S1G_bDpT10_ENKUlT_T0_E_clISt17integral_constantIbLb0EES1T_IbLb1EEEEDaS1P_S1Q_EUlS1P_E_NS1_11comp_targetILNS1_3genE10ELNS1_11target_archE1200ELNS1_3gpuE4ELNS1_3repE0EEENS1_30default_config_static_selectorELNS0_4arch9wavefront6targetE0EEEvS12_.has_indirect_call, 0
	.section	.AMDGPU.csdata,"",@progbits
; Kernel info:
; codeLenInByte = 0
; TotalNumSgprs: 0
; NumVgprs: 0
; ScratchSize: 0
; MemoryBound: 0
; FloatMode: 240
; IeeeMode: 1
; LDSByteSize: 0 bytes/workgroup (compile time only)
; SGPRBlocks: 0
; VGPRBlocks: 0
; NumSGPRsForWavesPerEU: 1
; NumVGPRsForWavesPerEU: 1
; NamedBarCnt: 0
; Occupancy: 16
; WaveLimiterHint : 0
; COMPUTE_PGM_RSRC2:SCRATCH_EN: 0
; COMPUTE_PGM_RSRC2:USER_SGPR: 2
; COMPUTE_PGM_RSRC2:TRAP_HANDLER: 0
; COMPUTE_PGM_RSRC2:TGID_X_EN: 1
; COMPUTE_PGM_RSRC2:TGID_Y_EN: 0
; COMPUTE_PGM_RSRC2:TGID_Z_EN: 0
; COMPUTE_PGM_RSRC2:TIDIG_COMP_CNT: 0
	.section	.text._ZN7rocprim17ROCPRIM_400000_NS6detail17trampoline_kernelINS0_13select_configILj256ELj13ELNS0_17block_load_methodE3ELS4_3ELS4_3ELNS0_20block_scan_algorithmE0ELj4294967295EEENS1_25partition_config_selectorILNS1_17partition_subalgoE4EjNS0_10empty_typeEbEEZZNS1_14partition_implILS8_4ELb0ES6_15HIP_vector_typeIjLj2EENS0_17counting_iteratorIjlEEPS9_SG_NS0_5tupleIJPjSI_NS0_16reverse_iteratorISI_EEEEENSH_IJSG_SG_SG_EEES9_SI_JZNS1_25segmented_radix_sort_implINS0_14default_configELb0EPKaPaPKlPlN2at6native12_GLOBAL__N_18offset_tEEE10hipError_tPvRmT1_PNSt15iterator_traitsIS12_E10value_typeET2_T3_PNS13_IS18_E10value_typeET4_jRbjT5_S1E_jjP12ihipStream_tbEUljE_ZNSN_ISO_Lb0ESQ_SR_ST_SU_SY_EESZ_S10_S11_S12_S16_S17_S18_S1B_S1C_jS1D_jS1E_S1E_jjS1G_bEUljE0_EEESZ_S10_S11_S18_S1C_S1E_T6_T7_T9_mT8_S1G_bDpT10_ENKUlT_T0_E_clISt17integral_constantIbLb0EES1T_IbLb1EEEEDaS1P_S1Q_EUlS1P_E_NS1_11comp_targetILNS1_3genE9ELNS1_11target_archE1100ELNS1_3gpuE3ELNS1_3repE0EEENS1_30default_config_static_selectorELNS0_4arch9wavefront6targetE0EEEvS12_,"axG",@progbits,_ZN7rocprim17ROCPRIM_400000_NS6detail17trampoline_kernelINS0_13select_configILj256ELj13ELNS0_17block_load_methodE3ELS4_3ELS4_3ELNS0_20block_scan_algorithmE0ELj4294967295EEENS1_25partition_config_selectorILNS1_17partition_subalgoE4EjNS0_10empty_typeEbEEZZNS1_14partition_implILS8_4ELb0ES6_15HIP_vector_typeIjLj2EENS0_17counting_iteratorIjlEEPS9_SG_NS0_5tupleIJPjSI_NS0_16reverse_iteratorISI_EEEEENSH_IJSG_SG_SG_EEES9_SI_JZNS1_25segmented_radix_sort_implINS0_14default_configELb0EPKaPaPKlPlN2at6native12_GLOBAL__N_18offset_tEEE10hipError_tPvRmT1_PNSt15iterator_traitsIS12_E10value_typeET2_T3_PNS13_IS18_E10value_typeET4_jRbjT5_S1E_jjP12ihipStream_tbEUljE_ZNSN_ISO_Lb0ESQ_SR_ST_SU_SY_EESZ_S10_S11_S12_S16_S17_S18_S1B_S1C_jS1D_jS1E_S1E_jjS1G_bEUljE0_EEESZ_S10_S11_S18_S1C_S1E_T6_T7_T9_mT8_S1G_bDpT10_ENKUlT_T0_E_clISt17integral_constantIbLb0EES1T_IbLb1EEEEDaS1P_S1Q_EUlS1P_E_NS1_11comp_targetILNS1_3genE9ELNS1_11target_archE1100ELNS1_3gpuE3ELNS1_3repE0EEENS1_30default_config_static_selectorELNS0_4arch9wavefront6targetE0EEEvS12_,comdat
	.globl	_ZN7rocprim17ROCPRIM_400000_NS6detail17trampoline_kernelINS0_13select_configILj256ELj13ELNS0_17block_load_methodE3ELS4_3ELS4_3ELNS0_20block_scan_algorithmE0ELj4294967295EEENS1_25partition_config_selectorILNS1_17partition_subalgoE4EjNS0_10empty_typeEbEEZZNS1_14partition_implILS8_4ELb0ES6_15HIP_vector_typeIjLj2EENS0_17counting_iteratorIjlEEPS9_SG_NS0_5tupleIJPjSI_NS0_16reverse_iteratorISI_EEEEENSH_IJSG_SG_SG_EEES9_SI_JZNS1_25segmented_radix_sort_implINS0_14default_configELb0EPKaPaPKlPlN2at6native12_GLOBAL__N_18offset_tEEE10hipError_tPvRmT1_PNSt15iterator_traitsIS12_E10value_typeET2_T3_PNS13_IS18_E10value_typeET4_jRbjT5_S1E_jjP12ihipStream_tbEUljE_ZNSN_ISO_Lb0ESQ_SR_ST_SU_SY_EESZ_S10_S11_S12_S16_S17_S18_S1B_S1C_jS1D_jS1E_S1E_jjS1G_bEUljE0_EEESZ_S10_S11_S18_S1C_S1E_T6_T7_T9_mT8_S1G_bDpT10_ENKUlT_T0_E_clISt17integral_constantIbLb0EES1T_IbLb1EEEEDaS1P_S1Q_EUlS1P_E_NS1_11comp_targetILNS1_3genE9ELNS1_11target_archE1100ELNS1_3gpuE3ELNS1_3repE0EEENS1_30default_config_static_selectorELNS0_4arch9wavefront6targetE0EEEvS12_ ; -- Begin function _ZN7rocprim17ROCPRIM_400000_NS6detail17trampoline_kernelINS0_13select_configILj256ELj13ELNS0_17block_load_methodE3ELS4_3ELS4_3ELNS0_20block_scan_algorithmE0ELj4294967295EEENS1_25partition_config_selectorILNS1_17partition_subalgoE4EjNS0_10empty_typeEbEEZZNS1_14partition_implILS8_4ELb0ES6_15HIP_vector_typeIjLj2EENS0_17counting_iteratorIjlEEPS9_SG_NS0_5tupleIJPjSI_NS0_16reverse_iteratorISI_EEEEENSH_IJSG_SG_SG_EEES9_SI_JZNS1_25segmented_radix_sort_implINS0_14default_configELb0EPKaPaPKlPlN2at6native12_GLOBAL__N_18offset_tEEE10hipError_tPvRmT1_PNSt15iterator_traitsIS12_E10value_typeET2_T3_PNS13_IS18_E10value_typeET4_jRbjT5_S1E_jjP12ihipStream_tbEUljE_ZNSN_ISO_Lb0ESQ_SR_ST_SU_SY_EESZ_S10_S11_S12_S16_S17_S18_S1B_S1C_jS1D_jS1E_S1E_jjS1G_bEUljE0_EEESZ_S10_S11_S18_S1C_S1E_T6_T7_T9_mT8_S1G_bDpT10_ENKUlT_T0_E_clISt17integral_constantIbLb0EES1T_IbLb1EEEEDaS1P_S1Q_EUlS1P_E_NS1_11comp_targetILNS1_3genE9ELNS1_11target_archE1100ELNS1_3gpuE3ELNS1_3repE0EEENS1_30default_config_static_selectorELNS0_4arch9wavefront6targetE0EEEvS12_
	.p2align	8
	.type	_ZN7rocprim17ROCPRIM_400000_NS6detail17trampoline_kernelINS0_13select_configILj256ELj13ELNS0_17block_load_methodE3ELS4_3ELS4_3ELNS0_20block_scan_algorithmE0ELj4294967295EEENS1_25partition_config_selectorILNS1_17partition_subalgoE4EjNS0_10empty_typeEbEEZZNS1_14partition_implILS8_4ELb0ES6_15HIP_vector_typeIjLj2EENS0_17counting_iteratorIjlEEPS9_SG_NS0_5tupleIJPjSI_NS0_16reverse_iteratorISI_EEEEENSH_IJSG_SG_SG_EEES9_SI_JZNS1_25segmented_radix_sort_implINS0_14default_configELb0EPKaPaPKlPlN2at6native12_GLOBAL__N_18offset_tEEE10hipError_tPvRmT1_PNSt15iterator_traitsIS12_E10value_typeET2_T3_PNS13_IS18_E10value_typeET4_jRbjT5_S1E_jjP12ihipStream_tbEUljE_ZNSN_ISO_Lb0ESQ_SR_ST_SU_SY_EESZ_S10_S11_S12_S16_S17_S18_S1B_S1C_jS1D_jS1E_S1E_jjS1G_bEUljE0_EEESZ_S10_S11_S18_S1C_S1E_T6_T7_T9_mT8_S1G_bDpT10_ENKUlT_T0_E_clISt17integral_constantIbLb0EES1T_IbLb1EEEEDaS1P_S1Q_EUlS1P_E_NS1_11comp_targetILNS1_3genE9ELNS1_11target_archE1100ELNS1_3gpuE3ELNS1_3repE0EEENS1_30default_config_static_selectorELNS0_4arch9wavefront6targetE0EEEvS12_,@function
_ZN7rocprim17ROCPRIM_400000_NS6detail17trampoline_kernelINS0_13select_configILj256ELj13ELNS0_17block_load_methodE3ELS4_3ELS4_3ELNS0_20block_scan_algorithmE0ELj4294967295EEENS1_25partition_config_selectorILNS1_17partition_subalgoE4EjNS0_10empty_typeEbEEZZNS1_14partition_implILS8_4ELb0ES6_15HIP_vector_typeIjLj2EENS0_17counting_iteratorIjlEEPS9_SG_NS0_5tupleIJPjSI_NS0_16reverse_iteratorISI_EEEEENSH_IJSG_SG_SG_EEES9_SI_JZNS1_25segmented_radix_sort_implINS0_14default_configELb0EPKaPaPKlPlN2at6native12_GLOBAL__N_18offset_tEEE10hipError_tPvRmT1_PNSt15iterator_traitsIS12_E10value_typeET2_T3_PNS13_IS18_E10value_typeET4_jRbjT5_S1E_jjP12ihipStream_tbEUljE_ZNSN_ISO_Lb0ESQ_SR_ST_SU_SY_EESZ_S10_S11_S12_S16_S17_S18_S1B_S1C_jS1D_jS1E_S1E_jjS1G_bEUljE0_EEESZ_S10_S11_S18_S1C_S1E_T6_T7_T9_mT8_S1G_bDpT10_ENKUlT_T0_E_clISt17integral_constantIbLb0EES1T_IbLb1EEEEDaS1P_S1Q_EUlS1P_E_NS1_11comp_targetILNS1_3genE9ELNS1_11target_archE1100ELNS1_3gpuE3ELNS1_3repE0EEENS1_30default_config_static_selectorELNS0_4arch9wavefront6targetE0EEEvS12_: ; @_ZN7rocprim17ROCPRIM_400000_NS6detail17trampoline_kernelINS0_13select_configILj256ELj13ELNS0_17block_load_methodE3ELS4_3ELS4_3ELNS0_20block_scan_algorithmE0ELj4294967295EEENS1_25partition_config_selectorILNS1_17partition_subalgoE4EjNS0_10empty_typeEbEEZZNS1_14partition_implILS8_4ELb0ES6_15HIP_vector_typeIjLj2EENS0_17counting_iteratorIjlEEPS9_SG_NS0_5tupleIJPjSI_NS0_16reverse_iteratorISI_EEEEENSH_IJSG_SG_SG_EEES9_SI_JZNS1_25segmented_radix_sort_implINS0_14default_configELb0EPKaPaPKlPlN2at6native12_GLOBAL__N_18offset_tEEE10hipError_tPvRmT1_PNSt15iterator_traitsIS12_E10value_typeET2_T3_PNS13_IS18_E10value_typeET4_jRbjT5_S1E_jjP12ihipStream_tbEUljE_ZNSN_ISO_Lb0ESQ_SR_ST_SU_SY_EESZ_S10_S11_S12_S16_S17_S18_S1B_S1C_jS1D_jS1E_S1E_jjS1G_bEUljE0_EEESZ_S10_S11_S18_S1C_S1E_T6_T7_T9_mT8_S1G_bDpT10_ENKUlT_T0_E_clISt17integral_constantIbLb0EES1T_IbLb1EEEEDaS1P_S1Q_EUlS1P_E_NS1_11comp_targetILNS1_3genE9ELNS1_11target_archE1100ELNS1_3gpuE3ELNS1_3repE0EEENS1_30default_config_static_selectorELNS0_4arch9wavefront6targetE0EEEvS12_
; %bb.0:
	.section	.rodata,"a",@progbits
	.p2align	6, 0x0
	.amdhsa_kernel _ZN7rocprim17ROCPRIM_400000_NS6detail17trampoline_kernelINS0_13select_configILj256ELj13ELNS0_17block_load_methodE3ELS4_3ELS4_3ELNS0_20block_scan_algorithmE0ELj4294967295EEENS1_25partition_config_selectorILNS1_17partition_subalgoE4EjNS0_10empty_typeEbEEZZNS1_14partition_implILS8_4ELb0ES6_15HIP_vector_typeIjLj2EENS0_17counting_iteratorIjlEEPS9_SG_NS0_5tupleIJPjSI_NS0_16reverse_iteratorISI_EEEEENSH_IJSG_SG_SG_EEES9_SI_JZNS1_25segmented_radix_sort_implINS0_14default_configELb0EPKaPaPKlPlN2at6native12_GLOBAL__N_18offset_tEEE10hipError_tPvRmT1_PNSt15iterator_traitsIS12_E10value_typeET2_T3_PNS13_IS18_E10value_typeET4_jRbjT5_S1E_jjP12ihipStream_tbEUljE_ZNSN_ISO_Lb0ESQ_SR_ST_SU_SY_EESZ_S10_S11_S12_S16_S17_S18_S1B_S1C_jS1D_jS1E_S1E_jjS1G_bEUljE0_EEESZ_S10_S11_S18_S1C_S1E_T6_T7_T9_mT8_S1G_bDpT10_ENKUlT_T0_E_clISt17integral_constantIbLb0EES1T_IbLb1EEEEDaS1P_S1Q_EUlS1P_E_NS1_11comp_targetILNS1_3genE9ELNS1_11target_archE1100ELNS1_3gpuE3ELNS1_3repE0EEENS1_30default_config_static_selectorELNS0_4arch9wavefront6targetE0EEEvS12_
		.amdhsa_group_segment_fixed_size 0
		.amdhsa_private_segment_fixed_size 0
		.amdhsa_kernarg_size 184
		.amdhsa_user_sgpr_count 2
		.amdhsa_user_sgpr_dispatch_ptr 0
		.amdhsa_user_sgpr_queue_ptr 0
		.amdhsa_user_sgpr_kernarg_segment_ptr 1
		.amdhsa_user_sgpr_dispatch_id 0
		.amdhsa_user_sgpr_kernarg_preload_length 0
		.amdhsa_user_sgpr_kernarg_preload_offset 0
		.amdhsa_user_sgpr_private_segment_size 0
		.amdhsa_wavefront_size32 1
		.amdhsa_uses_dynamic_stack 0
		.amdhsa_enable_private_segment 0
		.amdhsa_system_sgpr_workgroup_id_x 1
		.amdhsa_system_sgpr_workgroup_id_y 0
		.amdhsa_system_sgpr_workgroup_id_z 0
		.amdhsa_system_sgpr_workgroup_info 0
		.amdhsa_system_vgpr_workitem_id 0
		.amdhsa_next_free_vgpr 1
		.amdhsa_next_free_sgpr 1
		.amdhsa_named_barrier_count 0
		.amdhsa_reserve_vcc 0
		.amdhsa_float_round_mode_32 0
		.amdhsa_float_round_mode_16_64 0
		.amdhsa_float_denorm_mode_32 3
		.amdhsa_float_denorm_mode_16_64 3
		.amdhsa_fp16_overflow 0
		.amdhsa_memory_ordered 1
		.amdhsa_forward_progress 1
		.amdhsa_inst_pref_size 0
		.amdhsa_round_robin_scheduling 0
		.amdhsa_exception_fp_ieee_invalid_op 0
		.amdhsa_exception_fp_denorm_src 0
		.amdhsa_exception_fp_ieee_div_zero 0
		.amdhsa_exception_fp_ieee_overflow 0
		.amdhsa_exception_fp_ieee_underflow 0
		.amdhsa_exception_fp_ieee_inexact 0
		.amdhsa_exception_int_div_zero 0
	.end_amdhsa_kernel
	.section	.text._ZN7rocprim17ROCPRIM_400000_NS6detail17trampoline_kernelINS0_13select_configILj256ELj13ELNS0_17block_load_methodE3ELS4_3ELS4_3ELNS0_20block_scan_algorithmE0ELj4294967295EEENS1_25partition_config_selectorILNS1_17partition_subalgoE4EjNS0_10empty_typeEbEEZZNS1_14partition_implILS8_4ELb0ES6_15HIP_vector_typeIjLj2EENS0_17counting_iteratorIjlEEPS9_SG_NS0_5tupleIJPjSI_NS0_16reverse_iteratorISI_EEEEENSH_IJSG_SG_SG_EEES9_SI_JZNS1_25segmented_radix_sort_implINS0_14default_configELb0EPKaPaPKlPlN2at6native12_GLOBAL__N_18offset_tEEE10hipError_tPvRmT1_PNSt15iterator_traitsIS12_E10value_typeET2_T3_PNS13_IS18_E10value_typeET4_jRbjT5_S1E_jjP12ihipStream_tbEUljE_ZNSN_ISO_Lb0ESQ_SR_ST_SU_SY_EESZ_S10_S11_S12_S16_S17_S18_S1B_S1C_jS1D_jS1E_S1E_jjS1G_bEUljE0_EEESZ_S10_S11_S18_S1C_S1E_T6_T7_T9_mT8_S1G_bDpT10_ENKUlT_T0_E_clISt17integral_constantIbLb0EES1T_IbLb1EEEEDaS1P_S1Q_EUlS1P_E_NS1_11comp_targetILNS1_3genE9ELNS1_11target_archE1100ELNS1_3gpuE3ELNS1_3repE0EEENS1_30default_config_static_selectorELNS0_4arch9wavefront6targetE0EEEvS12_,"axG",@progbits,_ZN7rocprim17ROCPRIM_400000_NS6detail17trampoline_kernelINS0_13select_configILj256ELj13ELNS0_17block_load_methodE3ELS4_3ELS4_3ELNS0_20block_scan_algorithmE0ELj4294967295EEENS1_25partition_config_selectorILNS1_17partition_subalgoE4EjNS0_10empty_typeEbEEZZNS1_14partition_implILS8_4ELb0ES6_15HIP_vector_typeIjLj2EENS0_17counting_iteratorIjlEEPS9_SG_NS0_5tupleIJPjSI_NS0_16reverse_iteratorISI_EEEEENSH_IJSG_SG_SG_EEES9_SI_JZNS1_25segmented_radix_sort_implINS0_14default_configELb0EPKaPaPKlPlN2at6native12_GLOBAL__N_18offset_tEEE10hipError_tPvRmT1_PNSt15iterator_traitsIS12_E10value_typeET2_T3_PNS13_IS18_E10value_typeET4_jRbjT5_S1E_jjP12ihipStream_tbEUljE_ZNSN_ISO_Lb0ESQ_SR_ST_SU_SY_EESZ_S10_S11_S12_S16_S17_S18_S1B_S1C_jS1D_jS1E_S1E_jjS1G_bEUljE0_EEESZ_S10_S11_S18_S1C_S1E_T6_T7_T9_mT8_S1G_bDpT10_ENKUlT_T0_E_clISt17integral_constantIbLb0EES1T_IbLb1EEEEDaS1P_S1Q_EUlS1P_E_NS1_11comp_targetILNS1_3genE9ELNS1_11target_archE1100ELNS1_3gpuE3ELNS1_3repE0EEENS1_30default_config_static_selectorELNS0_4arch9wavefront6targetE0EEEvS12_,comdat
.Lfunc_end356:
	.size	_ZN7rocprim17ROCPRIM_400000_NS6detail17trampoline_kernelINS0_13select_configILj256ELj13ELNS0_17block_load_methodE3ELS4_3ELS4_3ELNS0_20block_scan_algorithmE0ELj4294967295EEENS1_25partition_config_selectorILNS1_17partition_subalgoE4EjNS0_10empty_typeEbEEZZNS1_14partition_implILS8_4ELb0ES6_15HIP_vector_typeIjLj2EENS0_17counting_iteratorIjlEEPS9_SG_NS0_5tupleIJPjSI_NS0_16reverse_iteratorISI_EEEEENSH_IJSG_SG_SG_EEES9_SI_JZNS1_25segmented_radix_sort_implINS0_14default_configELb0EPKaPaPKlPlN2at6native12_GLOBAL__N_18offset_tEEE10hipError_tPvRmT1_PNSt15iterator_traitsIS12_E10value_typeET2_T3_PNS13_IS18_E10value_typeET4_jRbjT5_S1E_jjP12ihipStream_tbEUljE_ZNSN_ISO_Lb0ESQ_SR_ST_SU_SY_EESZ_S10_S11_S12_S16_S17_S18_S1B_S1C_jS1D_jS1E_S1E_jjS1G_bEUljE0_EEESZ_S10_S11_S18_S1C_S1E_T6_T7_T9_mT8_S1G_bDpT10_ENKUlT_T0_E_clISt17integral_constantIbLb0EES1T_IbLb1EEEEDaS1P_S1Q_EUlS1P_E_NS1_11comp_targetILNS1_3genE9ELNS1_11target_archE1100ELNS1_3gpuE3ELNS1_3repE0EEENS1_30default_config_static_selectorELNS0_4arch9wavefront6targetE0EEEvS12_, .Lfunc_end356-_ZN7rocprim17ROCPRIM_400000_NS6detail17trampoline_kernelINS0_13select_configILj256ELj13ELNS0_17block_load_methodE3ELS4_3ELS4_3ELNS0_20block_scan_algorithmE0ELj4294967295EEENS1_25partition_config_selectorILNS1_17partition_subalgoE4EjNS0_10empty_typeEbEEZZNS1_14partition_implILS8_4ELb0ES6_15HIP_vector_typeIjLj2EENS0_17counting_iteratorIjlEEPS9_SG_NS0_5tupleIJPjSI_NS0_16reverse_iteratorISI_EEEEENSH_IJSG_SG_SG_EEES9_SI_JZNS1_25segmented_radix_sort_implINS0_14default_configELb0EPKaPaPKlPlN2at6native12_GLOBAL__N_18offset_tEEE10hipError_tPvRmT1_PNSt15iterator_traitsIS12_E10value_typeET2_T3_PNS13_IS18_E10value_typeET4_jRbjT5_S1E_jjP12ihipStream_tbEUljE_ZNSN_ISO_Lb0ESQ_SR_ST_SU_SY_EESZ_S10_S11_S12_S16_S17_S18_S1B_S1C_jS1D_jS1E_S1E_jjS1G_bEUljE0_EEESZ_S10_S11_S18_S1C_S1E_T6_T7_T9_mT8_S1G_bDpT10_ENKUlT_T0_E_clISt17integral_constantIbLb0EES1T_IbLb1EEEEDaS1P_S1Q_EUlS1P_E_NS1_11comp_targetILNS1_3genE9ELNS1_11target_archE1100ELNS1_3gpuE3ELNS1_3repE0EEENS1_30default_config_static_selectorELNS0_4arch9wavefront6targetE0EEEvS12_
                                        ; -- End function
	.set _ZN7rocprim17ROCPRIM_400000_NS6detail17trampoline_kernelINS0_13select_configILj256ELj13ELNS0_17block_load_methodE3ELS4_3ELS4_3ELNS0_20block_scan_algorithmE0ELj4294967295EEENS1_25partition_config_selectorILNS1_17partition_subalgoE4EjNS0_10empty_typeEbEEZZNS1_14partition_implILS8_4ELb0ES6_15HIP_vector_typeIjLj2EENS0_17counting_iteratorIjlEEPS9_SG_NS0_5tupleIJPjSI_NS0_16reverse_iteratorISI_EEEEENSH_IJSG_SG_SG_EEES9_SI_JZNS1_25segmented_radix_sort_implINS0_14default_configELb0EPKaPaPKlPlN2at6native12_GLOBAL__N_18offset_tEEE10hipError_tPvRmT1_PNSt15iterator_traitsIS12_E10value_typeET2_T3_PNS13_IS18_E10value_typeET4_jRbjT5_S1E_jjP12ihipStream_tbEUljE_ZNSN_ISO_Lb0ESQ_SR_ST_SU_SY_EESZ_S10_S11_S12_S16_S17_S18_S1B_S1C_jS1D_jS1E_S1E_jjS1G_bEUljE0_EEESZ_S10_S11_S18_S1C_S1E_T6_T7_T9_mT8_S1G_bDpT10_ENKUlT_T0_E_clISt17integral_constantIbLb0EES1T_IbLb1EEEEDaS1P_S1Q_EUlS1P_E_NS1_11comp_targetILNS1_3genE9ELNS1_11target_archE1100ELNS1_3gpuE3ELNS1_3repE0EEENS1_30default_config_static_selectorELNS0_4arch9wavefront6targetE0EEEvS12_.num_vgpr, 0
	.set _ZN7rocprim17ROCPRIM_400000_NS6detail17trampoline_kernelINS0_13select_configILj256ELj13ELNS0_17block_load_methodE3ELS4_3ELS4_3ELNS0_20block_scan_algorithmE0ELj4294967295EEENS1_25partition_config_selectorILNS1_17partition_subalgoE4EjNS0_10empty_typeEbEEZZNS1_14partition_implILS8_4ELb0ES6_15HIP_vector_typeIjLj2EENS0_17counting_iteratorIjlEEPS9_SG_NS0_5tupleIJPjSI_NS0_16reverse_iteratorISI_EEEEENSH_IJSG_SG_SG_EEES9_SI_JZNS1_25segmented_radix_sort_implINS0_14default_configELb0EPKaPaPKlPlN2at6native12_GLOBAL__N_18offset_tEEE10hipError_tPvRmT1_PNSt15iterator_traitsIS12_E10value_typeET2_T3_PNS13_IS18_E10value_typeET4_jRbjT5_S1E_jjP12ihipStream_tbEUljE_ZNSN_ISO_Lb0ESQ_SR_ST_SU_SY_EESZ_S10_S11_S12_S16_S17_S18_S1B_S1C_jS1D_jS1E_S1E_jjS1G_bEUljE0_EEESZ_S10_S11_S18_S1C_S1E_T6_T7_T9_mT8_S1G_bDpT10_ENKUlT_T0_E_clISt17integral_constantIbLb0EES1T_IbLb1EEEEDaS1P_S1Q_EUlS1P_E_NS1_11comp_targetILNS1_3genE9ELNS1_11target_archE1100ELNS1_3gpuE3ELNS1_3repE0EEENS1_30default_config_static_selectorELNS0_4arch9wavefront6targetE0EEEvS12_.num_agpr, 0
	.set _ZN7rocprim17ROCPRIM_400000_NS6detail17trampoline_kernelINS0_13select_configILj256ELj13ELNS0_17block_load_methodE3ELS4_3ELS4_3ELNS0_20block_scan_algorithmE0ELj4294967295EEENS1_25partition_config_selectorILNS1_17partition_subalgoE4EjNS0_10empty_typeEbEEZZNS1_14partition_implILS8_4ELb0ES6_15HIP_vector_typeIjLj2EENS0_17counting_iteratorIjlEEPS9_SG_NS0_5tupleIJPjSI_NS0_16reverse_iteratorISI_EEEEENSH_IJSG_SG_SG_EEES9_SI_JZNS1_25segmented_radix_sort_implINS0_14default_configELb0EPKaPaPKlPlN2at6native12_GLOBAL__N_18offset_tEEE10hipError_tPvRmT1_PNSt15iterator_traitsIS12_E10value_typeET2_T3_PNS13_IS18_E10value_typeET4_jRbjT5_S1E_jjP12ihipStream_tbEUljE_ZNSN_ISO_Lb0ESQ_SR_ST_SU_SY_EESZ_S10_S11_S12_S16_S17_S18_S1B_S1C_jS1D_jS1E_S1E_jjS1G_bEUljE0_EEESZ_S10_S11_S18_S1C_S1E_T6_T7_T9_mT8_S1G_bDpT10_ENKUlT_T0_E_clISt17integral_constantIbLb0EES1T_IbLb1EEEEDaS1P_S1Q_EUlS1P_E_NS1_11comp_targetILNS1_3genE9ELNS1_11target_archE1100ELNS1_3gpuE3ELNS1_3repE0EEENS1_30default_config_static_selectorELNS0_4arch9wavefront6targetE0EEEvS12_.numbered_sgpr, 0
	.set _ZN7rocprim17ROCPRIM_400000_NS6detail17trampoline_kernelINS0_13select_configILj256ELj13ELNS0_17block_load_methodE3ELS4_3ELS4_3ELNS0_20block_scan_algorithmE0ELj4294967295EEENS1_25partition_config_selectorILNS1_17partition_subalgoE4EjNS0_10empty_typeEbEEZZNS1_14partition_implILS8_4ELb0ES6_15HIP_vector_typeIjLj2EENS0_17counting_iteratorIjlEEPS9_SG_NS0_5tupleIJPjSI_NS0_16reverse_iteratorISI_EEEEENSH_IJSG_SG_SG_EEES9_SI_JZNS1_25segmented_radix_sort_implINS0_14default_configELb0EPKaPaPKlPlN2at6native12_GLOBAL__N_18offset_tEEE10hipError_tPvRmT1_PNSt15iterator_traitsIS12_E10value_typeET2_T3_PNS13_IS18_E10value_typeET4_jRbjT5_S1E_jjP12ihipStream_tbEUljE_ZNSN_ISO_Lb0ESQ_SR_ST_SU_SY_EESZ_S10_S11_S12_S16_S17_S18_S1B_S1C_jS1D_jS1E_S1E_jjS1G_bEUljE0_EEESZ_S10_S11_S18_S1C_S1E_T6_T7_T9_mT8_S1G_bDpT10_ENKUlT_T0_E_clISt17integral_constantIbLb0EES1T_IbLb1EEEEDaS1P_S1Q_EUlS1P_E_NS1_11comp_targetILNS1_3genE9ELNS1_11target_archE1100ELNS1_3gpuE3ELNS1_3repE0EEENS1_30default_config_static_selectorELNS0_4arch9wavefront6targetE0EEEvS12_.num_named_barrier, 0
	.set _ZN7rocprim17ROCPRIM_400000_NS6detail17trampoline_kernelINS0_13select_configILj256ELj13ELNS0_17block_load_methodE3ELS4_3ELS4_3ELNS0_20block_scan_algorithmE0ELj4294967295EEENS1_25partition_config_selectorILNS1_17partition_subalgoE4EjNS0_10empty_typeEbEEZZNS1_14partition_implILS8_4ELb0ES6_15HIP_vector_typeIjLj2EENS0_17counting_iteratorIjlEEPS9_SG_NS0_5tupleIJPjSI_NS0_16reverse_iteratorISI_EEEEENSH_IJSG_SG_SG_EEES9_SI_JZNS1_25segmented_radix_sort_implINS0_14default_configELb0EPKaPaPKlPlN2at6native12_GLOBAL__N_18offset_tEEE10hipError_tPvRmT1_PNSt15iterator_traitsIS12_E10value_typeET2_T3_PNS13_IS18_E10value_typeET4_jRbjT5_S1E_jjP12ihipStream_tbEUljE_ZNSN_ISO_Lb0ESQ_SR_ST_SU_SY_EESZ_S10_S11_S12_S16_S17_S18_S1B_S1C_jS1D_jS1E_S1E_jjS1G_bEUljE0_EEESZ_S10_S11_S18_S1C_S1E_T6_T7_T9_mT8_S1G_bDpT10_ENKUlT_T0_E_clISt17integral_constantIbLb0EES1T_IbLb1EEEEDaS1P_S1Q_EUlS1P_E_NS1_11comp_targetILNS1_3genE9ELNS1_11target_archE1100ELNS1_3gpuE3ELNS1_3repE0EEENS1_30default_config_static_selectorELNS0_4arch9wavefront6targetE0EEEvS12_.private_seg_size, 0
	.set _ZN7rocprim17ROCPRIM_400000_NS6detail17trampoline_kernelINS0_13select_configILj256ELj13ELNS0_17block_load_methodE3ELS4_3ELS4_3ELNS0_20block_scan_algorithmE0ELj4294967295EEENS1_25partition_config_selectorILNS1_17partition_subalgoE4EjNS0_10empty_typeEbEEZZNS1_14partition_implILS8_4ELb0ES6_15HIP_vector_typeIjLj2EENS0_17counting_iteratorIjlEEPS9_SG_NS0_5tupleIJPjSI_NS0_16reverse_iteratorISI_EEEEENSH_IJSG_SG_SG_EEES9_SI_JZNS1_25segmented_radix_sort_implINS0_14default_configELb0EPKaPaPKlPlN2at6native12_GLOBAL__N_18offset_tEEE10hipError_tPvRmT1_PNSt15iterator_traitsIS12_E10value_typeET2_T3_PNS13_IS18_E10value_typeET4_jRbjT5_S1E_jjP12ihipStream_tbEUljE_ZNSN_ISO_Lb0ESQ_SR_ST_SU_SY_EESZ_S10_S11_S12_S16_S17_S18_S1B_S1C_jS1D_jS1E_S1E_jjS1G_bEUljE0_EEESZ_S10_S11_S18_S1C_S1E_T6_T7_T9_mT8_S1G_bDpT10_ENKUlT_T0_E_clISt17integral_constantIbLb0EES1T_IbLb1EEEEDaS1P_S1Q_EUlS1P_E_NS1_11comp_targetILNS1_3genE9ELNS1_11target_archE1100ELNS1_3gpuE3ELNS1_3repE0EEENS1_30default_config_static_selectorELNS0_4arch9wavefront6targetE0EEEvS12_.uses_vcc, 0
	.set _ZN7rocprim17ROCPRIM_400000_NS6detail17trampoline_kernelINS0_13select_configILj256ELj13ELNS0_17block_load_methodE3ELS4_3ELS4_3ELNS0_20block_scan_algorithmE0ELj4294967295EEENS1_25partition_config_selectorILNS1_17partition_subalgoE4EjNS0_10empty_typeEbEEZZNS1_14partition_implILS8_4ELb0ES6_15HIP_vector_typeIjLj2EENS0_17counting_iteratorIjlEEPS9_SG_NS0_5tupleIJPjSI_NS0_16reverse_iteratorISI_EEEEENSH_IJSG_SG_SG_EEES9_SI_JZNS1_25segmented_radix_sort_implINS0_14default_configELb0EPKaPaPKlPlN2at6native12_GLOBAL__N_18offset_tEEE10hipError_tPvRmT1_PNSt15iterator_traitsIS12_E10value_typeET2_T3_PNS13_IS18_E10value_typeET4_jRbjT5_S1E_jjP12ihipStream_tbEUljE_ZNSN_ISO_Lb0ESQ_SR_ST_SU_SY_EESZ_S10_S11_S12_S16_S17_S18_S1B_S1C_jS1D_jS1E_S1E_jjS1G_bEUljE0_EEESZ_S10_S11_S18_S1C_S1E_T6_T7_T9_mT8_S1G_bDpT10_ENKUlT_T0_E_clISt17integral_constantIbLb0EES1T_IbLb1EEEEDaS1P_S1Q_EUlS1P_E_NS1_11comp_targetILNS1_3genE9ELNS1_11target_archE1100ELNS1_3gpuE3ELNS1_3repE0EEENS1_30default_config_static_selectorELNS0_4arch9wavefront6targetE0EEEvS12_.uses_flat_scratch, 0
	.set _ZN7rocprim17ROCPRIM_400000_NS6detail17trampoline_kernelINS0_13select_configILj256ELj13ELNS0_17block_load_methodE3ELS4_3ELS4_3ELNS0_20block_scan_algorithmE0ELj4294967295EEENS1_25partition_config_selectorILNS1_17partition_subalgoE4EjNS0_10empty_typeEbEEZZNS1_14partition_implILS8_4ELb0ES6_15HIP_vector_typeIjLj2EENS0_17counting_iteratorIjlEEPS9_SG_NS0_5tupleIJPjSI_NS0_16reverse_iteratorISI_EEEEENSH_IJSG_SG_SG_EEES9_SI_JZNS1_25segmented_radix_sort_implINS0_14default_configELb0EPKaPaPKlPlN2at6native12_GLOBAL__N_18offset_tEEE10hipError_tPvRmT1_PNSt15iterator_traitsIS12_E10value_typeET2_T3_PNS13_IS18_E10value_typeET4_jRbjT5_S1E_jjP12ihipStream_tbEUljE_ZNSN_ISO_Lb0ESQ_SR_ST_SU_SY_EESZ_S10_S11_S12_S16_S17_S18_S1B_S1C_jS1D_jS1E_S1E_jjS1G_bEUljE0_EEESZ_S10_S11_S18_S1C_S1E_T6_T7_T9_mT8_S1G_bDpT10_ENKUlT_T0_E_clISt17integral_constantIbLb0EES1T_IbLb1EEEEDaS1P_S1Q_EUlS1P_E_NS1_11comp_targetILNS1_3genE9ELNS1_11target_archE1100ELNS1_3gpuE3ELNS1_3repE0EEENS1_30default_config_static_selectorELNS0_4arch9wavefront6targetE0EEEvS12_.has_dyn_sized_stack, 0
	.set _ZN7rocprim17ROCPRIM_400000_NS6detail17trampoline_kernelINS0_13select_configILj256ELj13ELNS0_17block_load_methodE3ELS4_3ELS4_3ELNS0_20block_scan_algorithmE0ELj4294967295EEENS1_25partition_config_selectorILNS1_17partition_subalgoE4EjNS0_10empty_typeEbEEZZNS1_14partition_implILS8_4ELb0ES6_15HIP_vector_typeIjLj2EENS0_17counting_iteratorIjlEEPS9_SG_NS0_5tupleIJPjSI_NS0_16reverse_iteratorISI_EEEEENSH_IJSG_SG_SG_EEES9_SI_JZNS1_25segmented_radix_sort_implINS0_14default_configELb0EPKaPaPKlPlN2at6native12_GLOBAL__N_18offset_tEEE10hipError_tPvRmT1_PNSt15iterator_traitsIS12_E10value_typeET2_T3_PNS13_IS18_E10value_typeET4_jRbjT5_S1E_jjP12ihipStream_tbEUljE_ZNSN_ISO_Lb0ESQ_SR_ST_SU_SY_EESZ_S10_S11_S12_S16_S17_S18_S1B_S1C_jS1D_jS1E_S1E_jjS1G_bEUljE0_EEESZ_S10_S11_S18_S1C_S1E_T6_T7_T9_mT8_S1G_bDpT10_ENKUlT_T0_E_clISt17integral_constantIbLb0EES1T_IbLb1EEEEDaS1P_S1Q_EUlS1P_E_NS1_11comp_targetILNS1_3genE9ELNS1_11target_archE1100ELNS1_3gpuE3ELNS1_3repE0EEENS1_30default_config_static_selectorELNS0_4arch9wavefront6targetE0EEEvS12_.has_recursion, 0
	.set _ZN7rocprim17ROCPRIM_400000_NS6detail17trampoline_kernelINS0_13select_configILj256ELj13ELNS0_17block_load_methodE3ELS4_3ELS4_3ELNS0_20block_scan_algorithmE0ELj4294967295EEENS1_25partition_config_selectorILNS1_17partition_subalgoE4EjNS0_10empty_typeEbEEZZNS1_14partition_implILS8_4ELb0ES6_15HIP_vector_typeIjLj2EENS0_17counting_iteratorIjlEEPS9_SG_NS0_5tupleIJPjSI_NS0_16reverse_iteratorISI_EEEEENSH_IJSG_SG_SG_EEES9_SI_JZNS1_25segmented_radix_sort_implINS0_14default_configELb0EPKaPaPKlPlN2at6native12_GLOBAL__N_18offset_tEEE10hipError_tPvRmT1_PNSt15iterator_traitsIS12_E10value_typeET2_T3_PNS13_IS18_E10value_typeET4_jRbjT5_S1E_jjP12ihipStream_tbEUljE_ZNSN_ISO_Lb0ESQ_SR_ST_SU_SY_EESZ_S10_S11_S12_S16_S17_S18_S1B_S1C_jS1D_jS1E_S1E_jjS1G_bEUljE0_EEESZ_S10_S11_S18_S1C_S1E_T6_T7_T9_mT8_S1G_bDpT10_ENKUlT_T0_E_clISt17integral_constantIbLb0EES1T_IbLb1EEEEDaS1P_S1Q_EUlS1P_E_NS1_11comp_targetILNS1_3genE9ELNS1_11target_archE1100ELNS1_3gpuE3ELNS1_3repE0EEENS1_30default_config_static_selectorELNS0_4arch9wavefront6targetE0EEEvS12_.has_indirect_call, 0
	.section	.AMDGPU.csdata,"",@progbits
; Kernel info:
; codeLenInByte = 0
; TotalNumSgprs: 0
; NumVgprs: 0
; ScratchSize: 0
; MemoryBound: 0
; FloatMode: 240
; IeeeMode: 1
; LDSByteSize: 0 bytes/workgroup (compile time only)
; SGPRBlocks: 0
; VGPRBlocks: 0
; NumSGPRsForWavesPerEU: 1
; NumVGPRsForWavesPerEU: 1
; NamedBarCnt: 0
; Occupancy: 16
; WaveLimiterHint : 0
; COMPUTE_PGM_RSRC2:SCRATCH_EN: 0
; COMPUTE_PGM_RSRC2:USER_SGPR: 2
; COMPUTE_PGM_RSRC2:TRAP_HANDLER: 0
; COMPUTE_PGM_RSRC2:TGID_X_EN: 1
; COMPUTE_PGM_RSRC2:TGID_Y_EN: 0
; COMPUTE_PGM_RSRC2:TGID_Z_EN: 0
; COMPUTE_PGM_RSRC2:TIDIG_COMP_CNT: 0
	.section	.text._ZN7rocprim17ROCPRIM_400000_NS6detail17trampoline_kernelINS0_13select_configILj256ELj13ELNS0_17block_load_methodE3ELS4_3ELS4_3ELNS0_20block_scan_algorithmE0ELj4294967295EEENS1_25partition_config_selectorILNS1_17partition_subalgoE4EjNS0_10empty_typeEbEEZZNS1_14partition_implILS8_4ELb0ES6_15HIP_vector_typeIjLj2EENS0_17counting_iteratorIjlEEPS9_SG_NS0_5tupleIJPjSI_NS0_16reverse_iteratorISI_EEEEENSH_IJSG_SG_SG_EEES9_SI_JZNS1_25segmented_radix_sort_implINS0_14default_configELb0EPKaPaPKlPlN2at6native12_GLOBAL__N_18offset_tEEE10hipError_tPvRmT1_PNSt15iterator_traitsIS12_E10value_typeET2_T3_PNS13_IS18_E10value_typeET4_jRbjT5_S1E_jjP12ihipStream_tbEUljE_ZNSN_ISO_Lb0ESQ_SR_ST_SU_SY_EESZ_S10_S11_S12_S16_S17_S18_S1B_S1C_jS1D_jS1E_S1E_jjS1G_bEUljE0_EEESZ_S10_S11_S18_S1C_S1E_T6_T7_T9_mT8_S1G_bDpT10_ENKUlT_T0_E_clISt17integral_constantIbLb0EES1T_IbLb1EEEEDaS1P_S1Q_EUlS1P_E_NS1_11comp_targetILNS1_3genE8ELNS1_11target_archE1030ELNS1_3gpuE2ELNS1_3repE0EEENS1_30default_config_static_selectorELNS0_4arch9wavefront6targetE0EEEvS12_,"axG",@progbits,_ZN7rocprim17ROCPRIM_400000_NS6detail17trampoline_kernelINS0_13select_configILj256ELj13ELNS0_17block_load_methodE3ELS4_3ELS4_3ELNS0_20block_scan_algorithmE0ELj4294967295EEENS1_25partition_config_selectorILNS1_17partition_subalgoE4EjNS0_10empty_typeEbEEZZNS1_14partition_implILS8_4ELb0ES6_15HIP_vector_typeIjLj2EENS0_17counting_iteratorIjlEEPS9_SG_NS0_5tupleIJPjSI_NS0_16reverse_iteratorISI_EEEEENSH_IJSG_SG_SG_EEES9_SI_JZNS1_25segmented_radix_sort_implINS0_14default_configELb0EPKaPaPKlPlN2at6native12_GLOBAL__N_18offset_tEEE10hipError_tPvRmT1_PNSt15iterator_traitsIS12_E10value_typeET2_T3_PNS13_IS18_E10value_typeET4_jRbjT5_S1E_jjP12ihipStream_tbEUljE_ZNSN_ISO_Lb0ESQ_SR_ST_SU_SY_EESZ_S10_S11_S12_S16_S17_S18_S1B_S1C_jS1D_jS1E_S1E_jjS1G_bEUljE0_EEESZ_S10_S11_S18_S1C_S1E_T6_T7_T9_mT8_S1G_bDpT10_ENKUlT_T0_E_clISt17integral_constantIbLb0EES1T_IbLb1EEEEDaS1P_S1Q_EUlS1P_E_NS1_11comp_targetILNS1_3genE8ELNS1_11target_archE1030ELNS1_3gpuE2ELNS1_3repE0EEENS1_30default_config_static_selectorELNS0_4arch9wavefront6targetE0EEEvS12_,comdat
	.globl	_ZN7rocprim17ROCPRIM_400000_NS6detail17trampoline_kernelINS0_13select_configILj256ELj13ELNS0_17block_load_methodE3ELS4_3ELS4_3ELNS0_20block_scan_algorithmE0ELj4294967295EEENS1_25partition_config_selectorILNS1_17partition_subalgoE4EjNS0_10empty_typeEbEEZZNS1_14partition_implILS8_4ELb0ES6_15HIP_vector_typeIjLj2EENS0_17counting_iteratorIjlEEPS9_SG_NS0_5tupleIJPjSI_NS0_16reverse_iteratorISI_EEEEENSH_IJSG_SG_SG_EEES9_SI_JZNS1_25segmented_radix_sort_implINS0_14default_configELb0EPKaPaPKlPlN2at6native12_GLOBAL__N_18offset_tEEE10hipError_tPvRmT1_PNSt15iterator_traitsIS12_E10value_typeET2_T3_PNS13_IS18_E10value_typeET4_jRbjT5_S1E_jjP12ihipStream_tbEUljE_ZNSN_ISO_Lb0ESQ_SR_ST_SU_SY_EESZ_S10_S11_S12_S16_S17_S18_S1B_S1C_jS1D_jS1E_S1E_jjS1G_bEUljE0_EEESZ_S10_S11_S18_S1C_S1E_T6_T7_T9_mT8_S1G_bDpT10_ENKUlT_T0_E_clISt17integral_constantIbLb0EES1T_IbLb1EEEEDaS1P_S1Q_EUlS1P_E_NS1_11comp_targetILNS1_3genE8ELNS1_11target_archE1030ELNS1_3gpuE2ELNS1_3repE0EEENS1_30default_config_static_selectorELNS0_4arch9wavefront6targetE0EEEvS12_ ; -- Begin function _ZN7rocprim17ROCPRIM_400000_NS6detail17trampoline_kernelINS0_13select_configILj256ELj13ELNS0_17block_load_methodE3ELS4_3ELS4_3ELNS0_20block_scan_algorithmE0ELj4294967295EEENS1_25partition_config_selectorILNS1_17partition_subalgoE4EjNS0_10empty_typeEbEEZZNS1_14partition_implILS8_4ELb0ES6_15HIP_vector_typeIjLj2EENS0_17counting_iteratorIjlEEPS9_SG_NS0_5tupleIJPjSI_NS0_16reverse_iteratorISI_EEEEENSH_IJSG_SG_SG_EEES9_SI_JZNS1_25segmented_radix_sort_implINS0_14default_configELb0EPKaPaPKlPlN2at6native12_GLOBAL__N_18offset_tEEE10hipError_tPvRmT1_PNSt15iterator_traitsIS12_E10value_typeET2_T3_PNS13_IS18_E10value_typeET4_jRbjT5_S1E_jjP12ihipStream_tbEUljE_ZNSN_ISO_Lb0ESQ_SR_ST_SU_SY_EESZ_S10_S11_S12_S16_S17_S18_S1B_S1C_jS1D_jS1E_S1E_jjS1G_bEUljE0_EEESZ_S10_S11_S18_S1C_S1E_T6_T7_T9_mT8_S1G_bDpT10_ENKUlT_T0_E_clISt17integral_constantIbLb0EES1T_IbLb1EEEEDaS1P_S1Q_EUlS1P_E_NS1_11comp_targetILNS1_3genE8ELNS1_11target_archE1030ELNS1_3gpuE2ELNS1_3repE0EEENS1_30default_config_static_selectorELNS0_4arch9wavefront6targetE0EEEvS12_
	.p2align	8
	.type	_ZN7rocprim17ROCPRIM_400000_NS6detail17trampoline_kernelINS0_13select_configILj256ELj13ELNS0_17block_load_methodE3ELS4_3ELS4_3ELNS0_20block_scan_algorithmE0ELj4294967295EEENS1_25partition_config_selectorILNS1_17partition_subalgoE4EjNS0_10empty_typeEbEEZZNS1_14partition_implILS8_4ELb0ES6_15HIP_vector_typeIjLj2EENS0_17counting_iteratorIjlEEPS9_SG_NS0_5tupleIJPjSI_NS0_16reverse_iteratorISI_EEEEENSH_IJSG_SG_SG_EEES9_SI_JZNS1_25segmented_radix_sort_implINS0_14default_configELb0EPKaPaPKlPlN2at6native12_GLOBAL__N_18offset_tEEE10hipError_tPvRmT1_PNSt15iterator_traitsIS12_E10value_typeET2_T3_PNS13_IS18_E10value_typeET4_jRbjT5_S1E_jjP12ihipStream_tbEUljE_ZNSN_ISO_Lb0ESQ_SR_ST_SU_SY_EESZ_S10_S11_S12_S16_S17_S18_S1B_S1C_jS1D_jS1E_S1E_jjS1G_bEUljE0_EEESZ_S10_S11_S18_S1C_S1E_T6_T7_T9_mT8_S1G_bDpT10_ENKUlT_T0_E_clISt17integral_constantIbLb0EES1T_IbLb1EEEEDaS1P_S1Q_EUlS1P_E_NS1_11comp_targetILNS1_3genE8ELNS1_11target_archE1030ELNS1_3gpuE2ELNS1_3repE0EEENS1_30default_config_static_selectorELNS0_4arch9wavefront6targetE0EEEvS12_,@function
_ZN7rocprim17ROCPRIM_400000_NS6detail17trampoline_kernelINS0_13select_configILj256ELj13ELNS0_17block_load_methodE3ELS4_3ELS4_3ELNS0_20block_scan_algorithmE0ELj4294967295EEENS1_25partition_config_selectorILNS1_17partition_subalgoE4EjNS0_10empty_typeEbEEZZNS1_14partition_implILS8_4ELb0ES6_15HIP_vector_typeIjLj2EENS0_17counting_iteratorIjlEEPS9_SG_NS0_5tupleIJPjSI_NS0_16reverse_iteratorISI_EEEEENSH_IJSG_SG_SG_EEES9_SI_JZNS1_25segmented_radix_sort_implINS0_14default_configELb0EPKaPaPKlPlN2at6native12_GLOBAL__N_18offset_tEEE10hipError_tPvRmT1_PNSt15iterator_traitsIS12_E10value_typeET2_T3_PNS13_IS18_E10value_typeET4_jRbjT5_S1E_jjP12ihipStream_tbEUljE_ZNSN_ISO_Lb0ESQ_SR_ST_SU_SY_EESZ_S10_S11_S12_S16_S17_S18_S1B_S1C_jS1D_jS1E_S1E_jjS1G_bEUljE0_EEESZ_S10_S11_S18_S1C_S1E_T6_T7_T9_mT8_S1G_bDpT10_ENKUlT_T0_E_clISt17integral_constantIbLb0EES1T_IbLb1EEEEDaS1P_S1Q_EUlS1P_E_NS1_11comp_targetILNS1_3genE8ELNS1_11target_archE1030ELNS1_3gpuE2ELNS1_3repE0EEENS1_30default_config_static_selectorELNS0_4arch9wavefront6targetE0EEEvS12_: ; @_ZN7rocprim17ROCPRIM_400000_NS6detail17trampoline_kernelINS0_13select_configILj256ELj13ELNS0_17block_load_methodE3ELS4_3ELS4_3ELNS0_20block_scan_algorithmE0ELj4294967295EEENS1_25partition_config_selectorILNS1_17partition_subalgoE4EjNS0_10empty_typeEbEEZZNS1_14partition_implILS8_4ELb0ES6_15HIP_vector_typeIjLj2EENS0_17counting_iteratorIjlEEPS9_SG_NS0_5tupleIJPjSI_NS0_16reverse_iteratorISI_EEEEENSH_IJSG_SG_SG_EEES9_SI_JZNS1_25segmented_radix_sort_implINS0_14default_configELb0EPKaPaPKlPlN2at6native12_GLOBAL__N_18offset_tEEE10hipError_tPvRmT1_PNSt15iterator_traitsIS12_E10value_typeET2_T3_PNS13_IS18_E10value_typeET4_jRbjT5_S1E_jjP12ihipStream_tbEUljE_ZNSN_ISO_Lb0ESQ_SR_ST_SU_SY_EESZ_S10_S11_S12_S16_S17_S18_S1B_S1C_jS1D_jS1E_S1E_jjS1G_bEUljE0_EEESZ_S10_S11_S18_S1C_S1E_T6_T7_T9_mT8_S1G_bDpT10_ENKUlT_T0_E_clISt17integral_constantIbLb0EES1T_IbLb1EEEEDaS1P_S1Q_EUlS1P_E_NS1_11comp_targetILNS1_3genE8ELNS1_11target_archE1030ELNS1_3gpuE2ELNS1_3repE0EEENS1_30default_config_static_selectorELNS0_4arch9wavefront6targetE0EEEvS12_
; %bb.0:
	.section	.rodata,"a",@progbits
	.p2align	6, 0x0
	.amdhsa_kernel _ZN7rocprim17ROCPRIM_400000_NS6detail17trampoline_kernelINS0_13select_configILj256ELj13ELNS0_17block_load_methodE3ELS4_3ELS4_3ELNS0_20block_scan_algorithmE0ELj4294967295EEENS1_25partition_config_selectorILNS1_17partition_subalgoE4EjNS0_10empty_typeEbEEZZNS1_14partition_implILS8_4ELb0ES6_15HIP_vector_typeIjLj2EENS0_17counting_iteratorIjlEEPS9_SG_NS0_5tupleIJPjSI_NS0_16reverse_iteratorISI_EEEEENSH_IJSG_SG_SG_EEES9_SI_JZNS1_25segmented_radix_sort_implINS0_14default_configELb0EPKaPaPKlPlN2at6native12_GLOBAL__N_18offset_tEEE10hipError_tPvRmT1_PNSt15iterator_traitsIS12_E10value_typeET2_T3_PNS13_IS18_E10value_typeET4_jRbjT5_S1E_jjP12ihipStream_tbEUljE_ZNSN_ISO_Lb0ESQ_SR_ST_SU_SY_EESZ_S10_S11_S12_S16_S17_S18_S1B_S1C_jS1D_jS1E_S1E_jjS1G_bEUljE0_EEESZ_S10_S11_S18_S1C_S1E_T6_T7_T9_mT8_S1G_bDpT10_ENKUlT_T0_E_clISt17integral_constantIbLb0EES1T_IbLb1EEEEDaS1P_S1Q_EUlS1P_E_NS1_11comp_targetILNS1_3genE8ELNS1_11target_archE1030ELNS1_3gpuE2ELNS1_3repE0EEENS1_30default_config_static_selectorELNS0_4arch9wavefront6targetE0EEEvS12_
		.amdhsa_group_segment_fixed_size 0
		.amdhsa_private_segment_fixed_size 0
		.amdhsa_kernarg_size 184
		.amdhsa_user_sgpr_count 2
		.amdhsa_user_sgpr_dispatch_ptr 0
		.amdhsa_user_sgpr_queue_ptr 0
		.amdhsa_user_sgpr_kernarg_segment_ptr 1
		.amdhsa_user_sgpr_dispatch_id 0
		.amdhsa_user_sgpr_kernarg_preload_length 0
		.amdhsa_user_sgpr_kernarg_preload_offset 0
		.amdhsa_user_sgpr_private_segment_size 0
		.amdhsa_wavefront_size32 1
		.amdhsa_uses_dynamic_stack 0
		.amdhsa_enable_private_segment 0
		.amdhsa_system_sgpr_workgroup_id_x 1
		.amdhsa_system_sgpr_workgroup_id_y 0
		.amdhsa_system_sgpr_workgroup_id_z 0
		.amdhsa_system_sgpr_workgroup_info 0
		.amdhsa_system_vgpr_workitem_id 0
		.amdhsa_next_free_vgpr 1
		.amdhsa_next_free_sgpr 1
		.amdhsa_named_barrier_count 0
		.amdhsa_reserve_vcc 0
		.amdhsa_float_round_mode_32 0
		.amdhsa_float_round_mode_16_64 0
		.amdhsa_float_denorm_mode_32 3
		.amdhsa_float_denorm_mode_16_64 3
		.amdhsa_fp16_overflow 0
		.amdhsa_memory_ordered 1
		.amdhsa_forward_progress 1
		.amdhsa_inst_pref_size 0
		.amdhsa_round_robin_scheduling 0
		.amdhsa_exception_fp_ieee_invalid_op 0
		.amdhsa_exception_fp_denorm_src 0
		.amdhsa_exception_fp_ieee_div_zero 0
		.amdhsa_exception_fp_ieee_overflow 0
		.amdhsa_exception_fp_ieee_underflow 0
		.amdhsa_exception_fp_ieee_inexact 0
		.amdhsa_exception_int_div_zero 0
	.end_amdhsa_kernel
	.section	.text._ZN7rocprim17ROCPRIM_400000_NS6detail17trampoline_kernelINS0_13select_configILj256ELj13ELNS0_17block_load_methodE3ELS4_3ELS4_3ELNS0_20block_scan_algorithmE0ELj4294967295EEENS1_25partition_config_selectorILNS1_17partition_subalgoE4EjNS0_10empty_typeEbEEZZNS1_14partition_implILS8_4ELb0ES6_15HIP_vector_typeIjLj2EENS0_17counting_iteratorIjlEEPS9_SG_NS0_5tupleIJPjSI_NS0_16reverse_iteratorISI_EEEEENSH_IJSG_SG_SG_EEES9_SI_JZNS1_25segmented_radix_sort_implINS0_14default_configELb0EPKaPaPKlPlN2at6native12_GLOBAL__N_18offset_tEEE10hipError_tPvRmT1_PNSt15iterator_traitsIS12_E10value_typeET2_T3_PNS13_IS18_E10value_typeET4_jRbjT5_S1E_jjP12ihipStream_tbEUljE_ZNSN_ISO_Lb0ESQ_SR_ST_SU_SY_EESZ_S10_S11_S12_S16_S17_S18_S1B_S1C_jS1D_jS1E_S1E_jjS1G_bEUljE0_EEESZ_S10_S11_S18_S1C_S1E_T6_T7_T9_mT8_S1G_bDpT10_ENKUlT_T0_E_clISt17integral_constantIbLb0EES1T_IbLb1EEEEDaS1P_S1Q_EUlS1P_E_NS1_11comp_targetILNS1_3genE8ELNS1_11target_archE1030ELNS1_3gpuE2ELNS1_3repE0EEENS1_30default_config_static_selectorELNS0_4arch9wavefront6targetE0EEEvS12_,"axG",@progbits,_ZN7rocprim17ROCPRIM_400000_NS6detail17trampoline_kernelINS0_13select_configILj256ELj13ELNS0_17block_load_methodE3ELS4_3ELS4_3ELNS0_20block_scan_algorithmE0ELj4294967295EEENS1_25partition_config_selectorILNS1_17partition_subalgoE4EjNS0_10empty_typeEbEEZZNS1_14partition_implILS8_4ELb0ES6_15HIP_vector_typeIjLj2EENS0_17counting_iteratorIjlEEPS9_SG_NS0_5tupleIJPjSI_NS0_16reverse_iteratorISI_EEEEENSH_IJSG_SG_SG_EEES9_SI_JZNS1_25segmented_radix_sort_implINS0_14default_configELb0EPKaPaPKlPlN2at6native12_GLOBAL__N_18offset_tEEE10hipError_tPvRmT1_PNSt15iterator_traitsIS12_E10value_typeET2_T3_PNS13_IS18_E10value_typeET4_jRbjT5_S1E_jjP12ihipStream_tbEUljE_ZNSN_ISO_Lb0ESQ_SR_ST_SU_SY_EESZ_S10_S11_S12_S16_S17_S18_S1B_S1C_jS1D_jS1E_S1E_jjS1G_bEUljE0_EEESZ_S10_S11_S18_S1C_S1E_T6_T7_T9_mT8_S1G_bDpT10_ENKUlT_T0_E_clISt17integral_constantIbLb0EES1T_IbLb1EEEEDaS1P_S1Q_EUlS1P_E_NS1_11comp_targetILNS1_3genE8ELNS1_11target_archE1030ELNS1_3gpuE2ELNS1_3repE0EEENS1_30default_config_static_selectorELNS0_4arch9wavefront6targetE0EEEvS12_,comdat
.Lfunc_end357:
	.size	_ZN7rocprim17ROCPRIM_400000_NS6detail17trampoline_kernelINS0_13select_configILj256ELj13ELNS0_17block_load_methodE3ELS4_3ELS4_3ELNS0_20block_scan_algorithmE0ELj4294967295EEENS1_25partition_config_selectorILNS1_17partition_subalgoE4EjNS0_10empty_typeEbEEZZNS1_14partition_implILS8_4ELb0ES6_15HIP_vector_typeIjLj2EENS0_17counting_iteratorIjlEEPS9_SG_NS0_5tupleIJPjSI_NS0_16reverse_iteratorISI_EEEEENSH_IJSG_SG_SG_EEES9_SI_JZNS1_25segmented_radix_sort_implINS0_14default_configELb0EPKaPaPKlPlN2at6native12_GLOBAL__N_18offset_tEEE10hipError_tPvRmT1_PNSt15iterator_traitsIS12_E10value_typeET2_T3_PNS13_IS18_E10value_typeET4_jRbjT5_S1E_jjP12ihipStream_tbEUljE_ZNSN_ISO_Lb0ESQ_SR_ST_SU_SY_EESZ_S10_S11_S12_S16_S17_S18_S1B_S1C_jS1D_jS1E_S1E_jjS1G_bEUljE0_EEESZ_S10_S11_S18_S1C_S1E_T6_T7_T9_mT8_S1G_bDpT10_ENKUlT_T0_E_clISt17integral_constantIbLb0EES1T_IbLb1EEEEDaS1P_S1Q_EUlS1P_E_NS1_11comp_targetILNS1_3genE8ELNS1_11target_archE1030ELNS1_3gpuE2ELNS1_3repE0EEENS1_30default_config_static_selectorELNS0_4arch9wavefront6targetE0EEEvS12_, .Lfunc_end357-_ZN7rocprim17ROCPRIM_400000_NS6detail17trampoline_kernelINS0_13select_configILj256ELj13ELNS0_17block_load_methodE3ELS4_3ELS4_3ELNS0_20block_scan_algorithmE0ELj4294967295EEENS1_25partition_config_selectorILNS1_17partition_subalgoE4EjNS0_10empty_typeEbEEZZNS1_14partition_implILS8_4ELb0ES6_15HIP_vector_typeIjLj2EENS0_17counting_iteratorIjlEEPS9_SG_NS0_5tupleIJPjSI_NS0_16reverse_iteratorISI_EEEEENSH_IJSG_SG_SG_EEES9_SI_JZNS1_25segmented_radix_sort_implINS0_14default_configELb0EPKaPaPKlPlN2at6native12_GLOBAL__N_18offset_tEEE10hipError_tPvRmT1_PNSt15iterator_traitsIS12_E10value_typeET2_T3_PNS13_IS18_E10value_typeET4_jRbjT5_S1E_jjP12ihipStream_tbEUljE_ZNSN_ISO_Lb0ESQ_SR_ST_SU_SY_EESZ_S10_S11_S12_S16_S17_S18_S1B_S1C_jS1D_jS1E_S1E_jjS1G_bEUljE0_EEESZ_S10_S11_S18_S1C_S1E_T6_T7_T9_mT8_S1G_bDpT10_ENKUlT_T0_E_clISt17integral_constantIbLb0EES1T_IbLb1EEEEDaS1P_S1Q_EUlS1P_E_NS1_11comp_targetILNS1_3genE8ELNS1_11target_archE1030ELNS1_3gpuE2ELNS1_3repE0EEENS1_30default_config_static_selectorELNS0_4arch9wavefront6targetE0EEEvS12_
                                        ; -- End function
	.set _ZN7rocprim17ROCPRIM_400000_NS6detail17trampoline_kernelINS0_13select_configILj256ELj13ELNS0_17block_load_methodE3ELS4_3ELS4_3ELNS0_20block_scan_algorithmE0ELj4294967295EEENS1_25partition_config_selectorILNS1_17partition_subalgoE4EjNS0_10empty_typeEbEEZZNS1_14partition_implILS8_4ELb0ES6_15HIP_vector_typeIjLj2EENS0_17counting_iteratorIjlEEPS9_SG_NS0_5tupleIJPjSI_NS0_16reverse_iteratorISI_EEEEENSH_IJSG_SG_SG_EEES9_SI_JZNS1_25segmented_radix_sort_implINS0_14default_configELb0EPKaPaPKlPlN2at6native12_GLOBAL__N_18offset_tEEE10hipError_tPvRmT1_PNSt15iterator_traitsIS12_E10value_typeET2_T3_PNS13_IS18_E10value_typeET4_jRbjT5_S1E_jjP12ihipStream_tbEUljE_ZNSN_ISO_Lb0ESQ_SR_ST_SU_SY_EESZ_S10_S11_S12_S16_S17_S18_S1B_S1C_jS1D_jS1E_S1E_jjS1G_bEUljE0_EEESZ_S10_S11_S18_S1C_S1E_T6_T7_T9_mT8_S1G_bDpT10_ENKUlT_T0_E_clISt17integral_constantIbLb0EES1T_IbLb1EEEEDaS1P_S1Q_EUlS1P_E_NS1_11comp_targetILNS1_3genE8ELNS1_11target_archE1030ELNS1_3gpuE2ELNS1_3repE0EEENS1_30default_config_static_selectorELNS0_4arch9wavefront6targetE0EEEvS12_.num_vgpr, 0
	.set _ZN7rocprim17ROCPRIM_400000_NS6detail17trampoline_kernelINS0_13select_configILj256ELj13ELNS0_17block_load_methodE3ELS4_3ELS4_3ELNS0_20block_scan_algorithmE0ELj4294967295EEENS1_25partition_config_selectorILNS1_17partition_subalgoE4EjNS0_10empty_typeEbEEZZNS1_14partition_implILS8_4ELb0ES6_15HIP_vector_typeIjLj2EENS0_17counting_iteratorIjlEEPS9_SG_NS0_5tupleIJPjSI_NS0_16reverse_iteratorISI_EEEEENSH_IJSG_SG_SG_EEES9_SI_JZNS1_25segmented_radix_sort_implINS0_14default_configELb0EPKaPaPKlPlN2at6native12_GLOBAL__N_18offset_tEEE10hipError_tPvRmT1_PNSt15iterator_traitsIS12_E10value_typeET2_T3_PNS13_IS18_E10value_typeET4_jRbjT5_S1E_jjP12ihipStream_tbEUljE_ZNSN_ISO_Lb0ESQ_SR_ST_SU_SY_EESZ_S10_S11_S12_S16_S17_S18_S1B_S1C_jS1D_jS1E_S1E_jjS1G_bEUljE0_EEESZ_S10_S11_S18_S1C_S1E_T6_T7_T9_mT8_S1G_bDpT10_ENKUlT_T0_E_clISt17integral_constantIbLb0EES1T_IbLb1EEEEDaS1P_S1Q_EUlS1P_E_NS1_11comp_targetILNS1_3genE8ELNS1_11target_archE1030ELNS1_3gpuE2ELNS1_3repE0EEENS1_30default_config_static_selectorELNS0_4arch9wavefront6targetE0EEEvS12_.num_agpr, 0
	.set _ZN7rocprim17ROCPRIM_400000_NS6detail17trampoline_kernelINS0_13select_configILj256ELj13ELNS0_17block_load_methodE3ELS4_3ELS4_3ELNS0_20block_scan_algorithmE0ELj4294967295EEENS1_25partition_config_selectorILNS1_17partition_subalgoE4EjNS0_10empty_typeEbEEZZNS1_14partition_implILS8_4ELb0ES6_15HIP_vector_typeIjLj2EENS0_17counting_iteratorIjlEEPS9_SG_NS0_5tupleIJPjSI_NS0_16reverse_iteratorISI_EEEEENSH_IJSG_SG_SG_EEES9_SI_JZNS1_25segmented_radix_sort_implINS0_14default_configELb0EPKaPaPKlPlN2at6native12_GLOBAL__N_18offset_tEEE10hipError_tPvRmT1_PNSt15iterator_traitsIS12_E10value_typeET2_T3_PNS13_IS18_E10value_typeET4_jRbjT5_S1E_jjP12ihipStream_tbEUljE_ZNSN_ISO_Lb0ESQ_SR_ST_SU_SY_EESZ_S10_S11_S12_S16_S17_S18_S1B_S1C_jS1D_jS1E_S1E_jjS1G_bEUljE0_EEESZ_S10_S11_S18_S1C_S1E_T6_T7_T9_mT8_S1G_bDpT10_ENKUlT_T0_E_clISt17integral_constantIbLb0EES1T_IbLb1EEEEDaS1P_S1Q_EUlS1P_E_NS1_11comp_targetILNS1_3genE8ELNS1_11target_archE1030ELNS1_3gpuE2ELNS1_3repE0EEENS1_30default_config_static_selectorELNS0_4arch9wavefront6targetE0EEEvS12_.numbered_sgpr, 0
	.set _ZN7rocprim17ROCPRIM_400000_NS6detail17trampoline_kernelINS0_13select_configILj256ELj13ELNS0_17block_load_methodE3ELS4_3ELS4_3ELNS0_20block_scan_algorithmE0ELj4294967295EEENS1_25partition_config_selectorILNS1_17partition_subalgoE4EjNS0_10empty_typeEbEEZZNS1_14partition_implILS8_4ELb0ES6_15HIP_vector_typeIjLj2EENS0_17counting_iteratorIjlEEPS9_SG_NS0_5tupleIJPjSI_NS0_16reverse_iteratorISI_EEEEENSH_IJSG_SG_SG_EEES9_SI_JZNS1_25segmented_radix_sort_implINS0_14default_configELb0EPKaPaPKlPlN2at6native12_GLOBAL__N_18offset_tEEE10hipError_tPvRmT1_PNSt15iterator_traitsIS12_E10value_typeET2_T3_PNS13_IS18_E10value_typeET4_jRbjT5_S1E_jjP12ihipStream_tbEUljE_ZNSN_ISO_Lb0ESQ_SR_ST_SU_SY_EESZ_S10_S11_S12_S16_S17_S18_S1B_S1C_jS1D_jS1E_S1E_jjS1G_bEUljE0_EEESZ_S10_S11_S18_S1C_S1E_T6_T7_T9_mT8_S1G_bDpT10_ENKUlT_T0_E_clISt17integral_constantIbLb0EES1T_IbLb1EEEEDaS1P_S1Q_EUlS1P_E_NS1_11comp_targetILNS1_3genE8ELNS1_11target_archE1030ELNS1_3gpuE2ELNS1_3repE0EEENS1_30default_config_static_selectorELNS0_4arch9wavefront6targetE0EEEvS12_.num_named_barrier, 0
	.set _ZN7rocprim17ROCPRIM_400000_NS6detail17trampoline_kernelINS0_13select_configILj256ELj13ELNS0_17block_load_methodE3ELS4_3ELS4_3ELNS0_20block_scan_algorithmE0ELj4294967295EEENS1_25partition_config_selectorILNS1_17partition_subalgoE4EjNS0_10empty_typeEbEEZZNS1_14partition_implILS8_4ELb0ES6_15HIP_vector_typeIjLj2EENS0_17counting_iteratorIjlEEPS9_SG_NS0_5tupleIJPjSI_NS0_16reverse_iteratorISI_EEEEENSH_IJSG_SG_SG_EEES9_SI_JZNS1_25segmented_radix_sort_implINS0_14default_configELb0EPKaPaPKlPlN2at6native12_GLOBAL__N_18offset_tEEE10hipError_tPvRmT1_PNSt15iterator_traitsIS12_E10value_typeET2_T3_PNS13_IS18_E10value_typeET4_jRbjT5_S1E_jjP12ihipStream_tbEUljE_ZNSN_ISO_Lb0ESQ_SR_ST_SU_SY_EESZ_S10_S11_S12_S16_S17_S18_S1B_S1C_jS1D_jS1E_S1E_jjS1G_bEUljE0_EEESZ_S10_S11_S18_S1C_S1E_T6_T7_T9_mT8_S1G_bDpT10_ENKUlT_T0_E_clISt17integral_constantIbLb0EES1T_IbLb1EEEEDaS1P_S1Q_EUlS1P_E_NS1_11comp_targetILNS1_3genE8ELNS1_11target_archE1030ELNS1_3gpuE2ELNS1_3repE0EEENS1_30default_config_static_selectorELNS0_4arch9wavefront6targetE0EEEvS12_.private_seg_size, 0
	.set _ZN7rocprim17ROCPRIM_400000_NS6detail17trampoline_kernelINS0_13select_configILj256ELj13ELNS0_17block_load_methodE3ELS4_3ELS4_3ELNS0_20block_scan_algorithmE0ELj4294967295EEENS1_25partition_config_selectorILNS1_17partition_subalgoE4EjNS0_10empty_typeEbEEZZNS1_14partition_implILS8_4ELb0ES6_15HIP_vector_typeIjLj2EENS0_17counting_iteratorIjlEEPS9_SG_NS0_5tupleIJPjSI_NS0_16reverse_iteratorISI_EEEEENSH_IJSG_SG_SG_EEES9_SI_JZNS1_25segmented_radix_sort_implINS0_14default_configELb0EPKaPaPKlPlN2at6native12_GLOBAL__N_18offset_tEEE10hipError_tPvRmT1_PNSt15iterator_traitsIS12_E10value_typeET2_T3_PNS13_IS18_E10value_typeET4_jRbjT5_S1E_jjP12ihipStream_tbEUljE_ZNSN_ISO_Lb0ESQ_SR_ST_SU_SY_EESZ_S10_S11_S12_S16_S17_S18_S1B_S1C_jS1D_jS1E_S1E_jjS1G_bEUljE0_EEESZ_S10_S11_S18_S1C_S1E_T6_T7_T9_mT8_S1G_bDpT10_ENKUlT_T0_E_clISt17integral_constantIbLb0EES1T_IbLb1EEEEDaS1P_S1Q_EUlS1P_E_NS1_11comp_targetILNS1_3genE8ELNS1_11target_archE1030ELNS1_3gpuE2ELNS1_3repE0EEENS1_30default_config_static_selectorELNS0_4arch9wavefront6targetE0EEEvS12_.uses_vcc, 0
	.set _ZN7rocprim17ROCPRIM_400000_NS6detail17trampoline_kernelINS0_13select_configILj256ELj13ELNS0_17block_load_methodE3ELS4_3ELS4_3ELNS0_20block_scan_algorithmE0ELj4294967295EEENS1_25partition_config_selectorILNS1_17partition_subalgoE4EjNS0_10empty_typeEbEEZZNS1_14partition_implILS8_4ELb0ES6_15HIP_vector_typeIjLj2EENS0_17counting_iteratorIjlEEPS9_SG_NS0_5tupleIJPjSI_NS0_16reverse_iteratorISI_EEEEENSH_IJSG_SG_SG_EEES9_SI_JZNS1_25segmented_radix_sort_implINS0_14default_configELb0EPKaPaPKlPlN2at6native12_GLOBAL__N_18offset_tEEE10hipError_tPvRmT1_PNSt15iterator_traitsIS12_E10value_typeET2_T3_PNS13_IS18_E10value_typeET4_jRbjT5_S1E_jjP12ihipStream_tbEUljE_ZNSN_ISO_Lb0ESQ_SR_ST_SU_SY_EESZ_S10_S11_S12_S16_S17_S18_S1B_S1C_jS1D_jS1E_S1E_jjS1G_bEUljE0_EEESZ_S10_S11_S18_S1C_S1E_T6_T7_T9_mT8_S1G_bDpT10_ENKUlT_T0_E_clISt17integral_constantIbLb0EES1T_IbLb1EEEEDaS1P_S1Q_EUlS1P_E_NS1_11comp_targetILNS1_3genE8ELNS1_11target_archE1030ELNS1_3gpuE2ELNS1_3repE0EEENS1_30default_config_static_selectorELNS0_4arch9wavefront6targetE0EEEvS12_.uses_flat_scratch, 0
	.set _ZN7rocprim17ROCPRIM_400000_NS6detail17trampoline_kernelINS0_13select_configILj256ELj13ELNS0_17block_load_methodE3ELS4_3ELS4_3ELNS0_20block_scan_algorithmE0ELj4294967295EEENS1_25partition_config_selectorILNS1_17partition_subalgoE4EjNS0_10empty_typeEbEEZZNS1_14partition_implILS8_4ELb0ES6_15HIP_vector_typeIjLj2EENS0_17counting_iteratorIjlEEPS9_SG_NS0_5tupleIJPjSI_NS0_16reverse_iteratorISI_EEEEENSH_IJSG_SG_SG_EEES9_SI_JZNS1_25segmented_radix_sort_implINS0_14default_configELb0EPKaPaPKlPlN2at6native12_GLOBAL__N_18offset_tEEE10hipError_tPvRmT1_PNSt15iterator_traitsIS12_E10value_typeET2_T3_PNS13_IS18_E10value_typeET4_jRbjT5_S1E_jjP12ihipStream_tbEUljE_ZNSN_ISO_Lb0ESQ_SR_ST_SU_SY_EESZ_S10_S11_S12_S16_S17_S18_S1B_S1C_jS1D_jS1E_S1E_jjS1G_bEUljE0_EEESZ_S10_S11_S18_S1C_S1E_T6_T7_T9_mT8_S1G_bDpT10_ENKUlT_T0_E_clISt17integral_constantIbLb0EES1T_IbLb1EEEEDaS1P_S1Q_EUlS1P_E_NS1_11comp_targetILNS1_3genE8ELNS1_11target_archE1030ELNS1_3gpuE2ELNS1_3repE0EEENS1_30default_config_static_selectorELNS0_4arch9wavefront6targetE0EEEvS12_.has_dyn_sized_stack, 0
	.set _ZN7rocprim17ROCPRIM_400000_NS6detail17trampoline_kernelINS0_13select_configILj256ELj13ELNS0_17block_load_methodE3ELS4_3ELS4_3ELNS0_20block_scan_algorithmE0ELj4294967295EEENS1_25partition_config_selectorILNS1_17partition_subalgoE4EjNS0_10empty_typeEbEEZZNS1_14partition_implILS8_4ELb0ES6_15HIP_vector_typeIjLj2EENS0_17counting_iteratorIjlEEPS9_SG_NS0_5tupleIJPjSI_NS0_16reverse_iteratorISI_EEEEENSH_IJSG_SG_SG_EEES9_SI_JZNS1_25segmented_radix_sort_implINS0_14default_configELb0EPKaPaPKlPlN2at6native12_GLOBAL__N_18offset_tEEE10hipError_tPvRmT1_PNSt15iterator_traitsIS12_E10value_typeET2_T3_PNS13_IS18_E10value_typeET4_jRbjT5_S1E_jjP12ihipStream_tbEUljE_ZNSN_ISO_Lb0ESQ_SR_ST_SU_SY_EESZ_S10_S11_S12_S16_S17_S18_S1B_S1C_jS1D_jS1E_S1E_jjS1G_bEUljE0_EEESZ_S10_S11_S18_S1C_S1E_T6_T7_T9_mT8_S1G_bDpT10_ENKUlT_T0_E_clISt17integral_constantIbLb0EES1T_IbLb1EEEEDaS1P_S1Q_EUlS1P_E_NS1_11comp_targetILNS1_3genE8ELNS1_11target_archE1030ELNS1_3gpuE2ELNS1_3repE0EEENS1_30default_config_static_selectorELNS0_4arch9wavefront6targetE0EEEvS12_.has_recursion, 0
	.set _ZN7rocprim17ROCPRIM_400000_NS6detail17trampoline_kernelINS0_13select_configILj256ELj13ELNS0_17block_load_methodE3ELS4_3ELS4_3ELNS0_20block_scan_algorithmE0ELj4294967295EEENS1_25partition_config_selectorILNS1_17partition_subalgoE4EjNS0_10empty_typeEbEEZZNS1_14partition_implILS8_4ELb0ES6_15HIP_vector_typeIjLj2EENS0_17counting_iteratorIjlEEPS9_SG_NS0_5tupleIJPjSI_NS0_16reverse_iteratorISI_EEEEENSH_IJSG_SG_SG_EEES9_SI_JZNS1_25segmented_radix_sort_implINS0_14default_configELb0EPKaPaPKlPlN2at6native12_GLOBAL__N_18offset_tEEE10hipError_tPvRmT1_PNSt15iterator_traitsIS12_E10value_typeET2_T3_PNS13_IS18_E10value_typeET4_jRbjT5_S1E_jjP12ihipStream_tbEUljE_ZNSN_ISO_Lb0ESQ_SR_ST_SU_SY_EESZ_S10_S11_S12_S16_S17_S18_S1B_S1C_jS1D_jS1E_S1E_jjS1G_bEUljE0_EEESZ_S10_S11_S18_S1C_S1E_T6_T7_T9_mT8_S1G_bDpT10_ENKUlT_T0_E_clISt17integral_constantIbLb0EES1T_IbLb1EEEEDaS1P_S1Q_EUlS1P_E_NS1_11comp_targetILNS1_3genE8ELNS1_11target_archE1030ELNS1_3gpuE2ELNS1_3repE0EEENS1_30default_config_static_selectorELNS0_4arch9wavefront6targetE0EEEvS12_.has_indirect_call, 0
	.section	.AMDGPU.csdata,"",@progbits
; Kernel info:
; codeLenInByte = 0
; TotalNumSgprs: 0
; NumVgprs: 0
; ScratchSize: 0
; MemoryBound: 0
; FloatMode: 240
; IeeeMode: 1
; LDSByteSize: 0 bytes/workgroup (compile time only)
; SGPRBlocks: 0
; VGPRBlocks: 0
; NumSGPRsForWavesPerEU: 1
; NumVGPRsForWavesPerEU: 1
; NamedBarCnt: 0
; Occupancy: 16
; WaveLimiterHint : 0
; COMPUTE_PGM_RSRC2:SCRATCH_EN: 0
; COMPUTE_PGM_RSRC2:USER_SGPR: 2
; COMPUTE_PGM_RSRC2:TRAP_HANDLER: 0
; COMPUTE_PGM_RSRC2:TGID_X_EN: 1
; COMPUTE_PGM_RSRC2:TGID_Y_EN: 0
; COMPUTE_PGM_RSRC2:TGID_Z_EN: 0
; COMPUTE_PGM_RSRC2:TIDIG_COMP_CNT: 0
	.section	.text._ZN7rocprim17ROCPRIM_400000_NS6detail17trampoline_kernelINS0_13select_configILj256ELj13ELNS0_17block_load_methodE3ELS4_3ELS4_3ELNS0_20block_scan_algorithmE0ELj4294967295EEENS1_25partition_config_selectorILNS1_17partition_subalgoE3EjNS0_10empty_typeEbEEZZNS1_14partition_implILS8_3ELb0ES6_jNS0_17counting_iteratorIjlEEPS9_SE_NS0_5tupleIJPjSE_EEENSF_IJSE_SE_EEES9_SG_JZNS1_25segmented_radix_sort_implINS0_14default_configELb0EPKaPaPKlPlN2at6native12_GLOBAL__N_18offset_tEEE10hipError_tPvRmT1_PNSt15iterator_traitsISY_E10value_typeET2_T3_PNSZ_IS14_E10value_typeET4_jRbjT5_S1A_jjP12ihipStream_tbEUljE_EEESV_SW_SX_S14_S18_S1A_T6_T7_T9_mT8_S1C_bDpT10_ENKUlT_T0_E_clISt17integral_constantIbLb0EES1P_EEDaS1K_S1L_EUlS1K_E_NS1_11comp_targetILNS1_3genE0ELNS1_11target_archE4294967295ELNS1_3gpuE0ELNS1_3repE0EEENS1_30default_config_static_selectorELNS0_4arch9wavefront6targetE0EEEvSY_,"axG",@progbits,_ZN7rocprim17ROCPRIM_400000_NS6detail17trampoline_kernelINS0_13select_configILj256ELj13ELNS0_17block_load_methodE3ELS4_3ELS4_3ELNS0_20block_scan_algorithmE0ELj4294967295EEENS1_25partition_config_selectorILNS1_17partition_subalgoE3EjNS0_10empty_typeEbEEZZNS1_14partition_implILS8_3ELb0ES6_jNS0_17counting_iteratorIjlEEPS9_SE_NS0_5tupleIJPjSE_EEENSF_IJSE_SE_EEES9_SG_JZNS1_25segmented_radix_sort_implINS0_14default_configELb0EPKaPaPKlPlN2at6native12_GLOBAL__N_18offset_tEEE10hipError_tPvRmT1_PNSt15iterator_traitsISY_E10value_typeET2_T3_PNSZ_IS14_E10value_typeET4_jRbjT5_S1A_jjP12ihipStream_tbEUljE_EEESV_SW_SX_S14_S18_S1A_T6_T7_T9_mT8_S1C_bDpT10_ENKUlT_T0_E_clISt17integral_constantIbLb0EES1P_EEDaS1K_S1L_EUlS1K_E_NS1_11comp_targetILNS1_3genE0ELNS1_11target_archE4294967295ELNS1_3gpuE0ELNS1_3repE0EEENS1_30default_config_static_selectorELNS0_4arch9wavefront6targetE0EEEvSY_,comdat
	.globl	_ZN7rocprim17ROCPRIM_400000_NS6detail17trampoline_kernelINS0_13select_configILj256ELj13ELNS0_17block_load_methodE3ELS4_3ELS4_3ELNS0_20block_scan_algorithmE0ELj4294967295EEENS1_25partition_config_selectorILNS1_17partition_subalgoE3EjNS0_10empty_typeEbEEZZNS1_14partition_implILS8_3ELb0ES6_jNS0_17counting_iteratorIjlEEPS9_SE_NS0_5tupleIJPjSE_EEENSF_IJSE_SE_EEES9_SG_JZNS1_25segmented_radix_sort_implINS0_14default_configELb0EPKaPaPKlPlN2at6native12_GLOBAL__N_18offset_tEEE10hipError_tPvRmT1_PNSt15iterator_traitsISY_E10value_typeET2_T3_PNSZ_IS14_E10value_typeET4_jRbjT5_S1A_jjP12ihipStream_tbEUljE_EEESV_SW_SX_S14_S18_S1A_T6_T7_T9_mT8_S1C_bDpT10_ENKUlT_T0_E_clISt17integral_constantIbLb0EES1P_EEDaS1K_S1L_EUlS1K_E_NS1_11comp_targetILNS1_3genE0ELNS1_11target_archE4294967295ELNS1_3gpuE0ELNS1_3repE0EEENS1_30default_config_static_selectorELNS0_4arch9wavefront6targetE0EEEvSY_ ; -- Begin function _ZN7rocprim17ROCPRIM_400000_NS6detail17trampoline_kernelINS0_13select_configILj256ELj13ELNS0_17block_load_methodE3ELS4_3ELS4_3ELNS0_20block_scan_algorithmE0ELj4294967295EEENS1_25partition_config_selectorILNS1_17partition_subalgoE3EjNS0_10empty_typeEbEEZZNS1_14partition_implILS8_3ELb0ES6_jNS0_17counting_iteratorIjlEEPS9_SE_NS0_5tupleIJPjSE_EEENSF_IJSE_SE_EEES9_SG_JZNS1_25segmented_radix_sort_implINS0_14default_configELb0EPKaPaPKlPlN2at6native12_GLOBAL__N_18offset_tEEE10hipError_tPvRmT1_PNSt15iterator_traitsISY_E10value_typeET2_T3_PNSZ_IS14_E10value_typeET4_jRbjT5_S1A_jjP12ihipStream_tbEUljE_EEESV_SW_SX_S14_S18_S1A_T6_T7_T9_mT8_S1C_bDpT10_ENKUlT_T0_E_clISt17integral_constantIbLb0EES1P_EEDaS1K_S1L_EUlS1K_E_NS1_11comp_targetILNS1_3genE0ELNS1_11target_archE4294967295ELNS1_3gpuE0ELNS1_3repE0EEENS1_30default_config_static_selectorELNS0_4arch9wavefront6targetE0EEEvSY_
	.p2align	8
	.type	_ZN7rocprim17ROCPRIM_400000_NS6detail17trampoline_kernelINS0_13select_configILj256ELj13ELNS0_17block_load_methodE3ELS4_3ELS4_3ELNS0_20block_scan_algorithmE0ELj4294967295EEENS1_25partition_config_selectorILNS1_17partition_subalgoE3EjNS0_10empty_typeEbEEZZNS1_14partition_implILS8_3ELb0ES6_jNS0_17counting_iteratorIjlEEPS9_SE_NS0_5tupleIJPjSE_EEENSF_IJSE_SE_EEES9_SG_JZNS1_25segmented_radix_sort_implINS0_14default_configELb0EPKaPaPKlPlN2at6native12_GLOBAL__N_18offset_tEEE10hipError_tPvRmT1_PNSt15iterator_traitsISY_E10value_typeET2_T3_PNSZ_IS14_E10value_typeET4_jRbjT5_S1A_jjP12ihipStream_tbEUljE_EEESV_SW_SX_S14_S18_S1A_T6_T7_T9_mT8_S1C_bDpT10_ENKUlT_T0_E_clISt17integral_constantIbLb0EES1P_EEDaS1K_S1L_EUlS1K_E_NS1_11comp_targetILNS1_3genE0ELNS1_11target_archE4294967295ELNS1_3gpuE0ELNS1_3repE0EEENS1_30default_config_static_selectorELNS0_4arch9wavefront6targetE0EEEvSY_,@function
_ZN7rocprim17ROCPRIM_400000_NS6detail17trampoline_kernelINS0_13select_configILj256ELj13ELNS0_17block_load_methodE3ELS4_3ELS4_3ELNS0_20block_scan_algorithmE0ELj4294967295EEENS1_25partition_config_selectorILNS1_17partition_subalgoE3EjNS0_10empty_typeEbEEZZNS1_14partition_implILS8_3ELb0ES6_jNS0_17counting_iteratorIjlEEPS9_SE_NS0_5tupleIJPjSE_EEENSF_IJSE_SE_EEES9_SG_JZNS1_25segmented_radix_sort_implINS0_14default_configELb0EPKaPaPKlPlN2at6native12_GLOBAL__N_18offset_tEEE10hipError_tPvRmT1_PNSt15iterator_traitsISY_E10value_typeET2_T3_PNSZ_IS14_E10value_typeET4_jRbjT5_S1A_jjP12ihipStream_tbEUljE_EEESV_SW_SX_S14_S18_S1A_T6_T7_T9_mT8_S1C_bDpT10_ENKUlT_T0_E_clISt17integral_constantIbLb0EES1P_EEDaS1K_S1L_EUlS1K_E_NS1_11comp_targetILNS1_3genE0ELNS1_11target_archE4294967295ELNS1_3gpuE0ELNS1_3repE0EEENS1_30default_config_static_selectorELNS0_4arch9wavefront6targetE0EEEvSY_: ; @_ZN7rocprim17ROCPRIM_400000_NS6detail17trampoline_kernelINS0_13select_configILj256ELj13ELNS0_17block_load_methodE3ELS4_3ELS4_3ELNS0_20block_scan_algorithmE0ELj4294967295EEENS1_25partition_config_selectorILNS1_17partition_subalgoE3EjNS0_10empty_typeEbEEZZNS1_14partition_implILS8_3ELb0ES6_jNS0_17counting_iteratorIjlEEPS9_SE_NS0_5tupleIJPjSE_EEENSF_IJSE_SE_EEES9_SG_JZNS1_25segmented_radix_sort_implINS0_14default_configELb0EPKaPaPKlPlN2at6native12_GLOBAL__N_18offset_tEEE10hipError_tPvRmT1_PNSt15iterator_traitsISY_E10value_typeET2_T3_PNSZ_IS14_E10value_typeET4_jRbjT5_S1A_jjP12ihipStream_tbEUljE_EEESV_SW_SX_S14_S18_S1A_T6_T7_T9_mT8_S1C_bDpT10_ENKUlT_T0_E_clISt17integral_constantIbLb0EES1P_EEDaS1K_S1L_EUlS1K_E_NS1_11comp_targetILNS1_3genE0ELNS1_11target_archE4294967295ELNS1_3gpuE0ELNS1_3repE0EEENS1_30default_config_static_selectorELNS0_4arch9wavefront6targetE0EEEvSY_
; %bb.0:
	s_clause 0x4
	s_load_b128 s[8:11], s[0:1], 0x48
	s_load_b32 s2, s[0:1], 0x70
	s_load_b64 s[12:13], s[0:1], 0x10
	s_load_b64 s[14:15], s[0:1], 0x58
	s_load_b32 s20, s[0:1], 0x8
	s_bfe_u32 s3, ttmp6, 0x4000c
	s_and_b32 s4, ttmp6, 15
	s_add_co_i32 s3, s3, 1
	s_getreg_b32 s5, hwreg(HW_REG_IB_STS2, 6, 4)
	s_mul_i32 s3, ttmp9, s3
	s_mov_b32 s17, 0
	s_add_co_i32 s16, s4, s3
	s_cmp_eq_u32 s5, 0
	s_clause 0x1
	s_load_b32 s3, s[0:1], 0x88
	s_load_b128 s[4:7], s[0:1], 0x78
	s_cselect_b32 s24, ttmp9, s16
	v_lshlrev_b32_e32 v19, 2, v0
	s_wait_kmcnt 0x0
	s_load_b64 s[18:19], s[10:11], 0x0
	s_mul_i32 s16, s2, 0xd00
	s_add_co_i32 s2, s2, -1
	s_add_co_i32 s21, s16, s12
	s_wait_xcnt 0x0
	s_add_nc_u64 s[10:11], s[12:13], s[16:17]
	s_sub_co_i32 s23, s14, s21
	v_cmp_gt_u64_e64 s11, s[14:15], s[10:11]
	s_addk_co_i32 s23, 0xd00
	s_cmp_eq_u32 s24, s2
	s_mul_i32 s10, s24, 0xd00
	s_cselect_b32 s22, -1, 0
	s_cmp_lg_u32 s24, s2
	s_mov_b32 s17, -1
	s_cselect_b32 s2, -1, 0
	s_add_co_i32 s16, s20, s10
	s_or_b32 s11, s2, s11
	s_add_co_i32 s16, s16, s12
	s_and_b32 vcc_lo, exec_lo, s11
	v_add_nc_u32_e32 v1, s16, v0
	s_cbranch_vccz .LBB358_2
; %bb.1:
	s_delay_alu instid0(VALU_DEP_1)
	v_add_nc_u32_e32 v2, 0x100, v1
	v_add_nc_u32_e32 v3, 0x200, v1
	;; [unrolled: 1-line block ×12, first 2 shown]
	ds_store_2addr_stride64_b32 v19, v1, v2 offset1:4
	ds_store_2addr_stride64_b32 v19, v3, v4 offset0:8 offset1:12
	ds_store_2addr_stride64_b32 v19, v5, v6 offset0:16 offset1:20
	ds_store_2addr_stride64_b32 v19, v7, v8 offset0:24 offset1:28
	ds_store_2addr_stride64_b32 v19, v9, v10 offset0:32 offset1:36
	ds_store_2addr_stride64_b32 v19, v11, v12 offset0:40 offset1:44
	ds_store_b32 v19, v13 offset:12288
	s_wait_dscnt 0x0
	s_barrier_signal -1
	s_mov_b32 s17, 0
	s_barrier_wait -1
.LBB358_2:
	v_cmp_gt_u32_e64 s2, s23, v0
	v_or_b32_e32 v40, 0x100, v0
	v_or_b32_e32 v38, 0x200, v0
	;; [unrolled: 1-line block ×12, first 2 shown]
	s_and_not1_b32 vcc_lo, exec_lo, s17
	s_cbranch_vccnz .LBB358_4
; %bb.3:
	v_dual_add_nc_u32 v2, s16, v40 :: v_dual_cndmask_b32 v1, 0, v1, s2
	v_cmp_gt_u32_e32 vcc_lo, s23, v40
	v_dual_add_nc_u32 v3, s16, v38 :: v_dual_add_nc_u32 v4, s16, v36
	v_dual_add_nc_u32 v7, s16, v30 :: v_dual_add_nc_u32 v8, s16, v28
	s_delay_alu instid0(VALU_DEP_4)
	v_cndmask_b32_e32 v2, 0, v2, vcc_lo
	v_cmp_gt_u32_e32 vcc_lo, s23, v38
	v_dual_add_nc_u32 v11, s16, v22 :: v_dual_add_nc_u32 v12, s16, v20
	v_cndmask_b32_e32 v3, 0, v3, vcc_lo
	v_cmp_gt_u32_e32 vcc_lo, s23, v36
	v_dual_cndmask_b32 v4, 0, v4 :: v_dual_add_nc_u32 v5, s16, v34
	v_cmp_gt_u32_e32 vcc_lo, s23, v34
	s_delay_alu instid0(VALU_DEP_2) | instskip(SKIP_1) | instid1(VALU_DEP_2)
	v_dual_cndmask_b32 v5, 0, v5 :: v_dual_add_nc_u32 v6, s16, v32
	v_cmp_gt_u32_e32 vcc_lo, s23, v32
	v_cndmask_b32_e32 v6, 0, v6, vcc_lo
	v_cmp_gt_u32_e32 vcc_lo, s23, v30
	v_cndmask_b32_e32 v7, 0, v7, vcc_lo
	v_cmp_gt_u32_e32 vcc_lo, s23, v28
	v_dual_cndmask_b32 v8, 0, v8 :: v_dual_add_nc_u32 v9, s16, v26
	v_cmp_gt_u32_e32 vcc_lo, s23, v26
	s_delay_alu instid0(VALU_DEP_2) | instskip(SKIP_1) | instid1(VALU_DEP_2)
	v_dual_cndmask_b32 v9, 0, v9 :: v_dual_add_nc_u32 v10, s16, v24
	v_cmp_gt_u32_e32 vcc_lo, s23, v24
	v_cndmask_b32_e32 v10, 0, v10, vcc_lo
	v_cmp_gt_u32_e32 vcc_lo, s23, v22
	v_cndmask_b32_e32 v11, 0, v11, vcc_lo
	v_cmp_gt_u32_e32 vcc_lo, s23, v20
	v_dual_cndmask_b32 v12, 0, v12 :: v_dual_add_nc_u32 v13, s16, v18
	v_cmp_gt_u32_e32 vcc_lo, s23, v18
	s_delay_alu instid0(VALU_DEP_2)
	v_cndmask_b32_e32 v13, 0, v13, vcc_lo
	ds_store_2addr_stride64_b32 v19, v1, v2 offset1:4
	ds_store_2addr_stride64_b32 v19, v3, v4 offset0:8 offset1:12
	ds_store_2addr_stride64_b32 v19, v5, v6 offset0:16 offset1:20
	ds_store_2addr_stride64_b32 v19, v7, v8 offset0:24 offset1:28
	ds_store_2addr_stride64_b32 v19, v9, v10 offset0:32 offset1:36
	ds_store_2addr_stride64_b32 v19, v11, v12 offset0:40 offset1:44
	ds_store_b32 v19, v13 offset:12288
	s_wait_dscnt 0x0
	s_barrier_signal -1
	s_barrier_wait -1
.LBB358_4:
	v_mul_u32_u24_e32 v23, 13, v0
	v_cndmask_b32_e64 v21, 0, 1, s11
	s_and_not1_b32 vcc_lo, exec_lo, s11
	s_delay_alu instid0(VALU_DEP_2)
	v_lshlrev_b32_e32 v2, 2, v23
	ds_load_2addr_b32 v[50:51], v2 offset0:2 offset1:3
	ds_load_2addr_b32 v[46:47], v2 offset0:6 offset1:7
	;; [unrolled: 1-line block ×3, first 2 shown]
	ds_load_2addr_b32 v[52:53], v2 offset1:1
	ds_load_2addr_b32 v[42:43], v2 offset0:10 offset1:11
	ds_load_b32 v1, v2 offset:48
	ds_load_2addr_b32 v[44:45], v2 offset0:8 offset1:9
	s_wait_dscnt 0x0
	s_barrier_signal -1
	s_barrier_wait -1
	s_cbranch_vccnz .LBB358_6
; %bb.5:
	v_dual_add_nc_u32 v2, s5, v51 :: v_dual_add_nc_u32 v3, s5, v53
	v_dual_add_nc_u32 v4, s5, v52 :: v_dual_add_nc_u32 v5, s5, v50
	;; [unrolled: 1-line block ×4, first 2 shown]
	s_delay_alu instid0(VALU_DEP_3) | instskip(NEXT) | instid1(VALU_DEP_4)
	v_mul_lo_u32 v5, v5, s4
	v_mul_lo_u32 v4, v4, s4
	;; [unrolled: 1-line block ×8, first 2 shown]
	v_dual_add_nc_u32 v10, s5, v48 :: v_dual_add_nc_u32 v11, s7, v48
	v_dual_add_nc_u32 v14, s7, v43 :: v_dual_add_nc_u32 v15, s5, v42
	;; [unrolled: 1-line block ×3, first 2 shown]
	s_delay_alu instid0(VALU_DEP_3)
	v_mul_lo_u32 v10, v10, s4
	v_dual_sub_nc_u32 v2, v2, v6 :: v_dual_sub_nc_u32 v3, v3, v7
	v_dual_sub_nc_u32 v4, v4, v8 :: v_dual_sub_nc_u32 v5, v5, v9
	v_dual_add_nc_u32 v6, s5, v49 :: v_dual_add_nc_u32 v7, s7, v49
	v_dual_add_nc_u32 v8, s5, v47 :: v_dual_add_nc_u32 v9, s7, v47
	v_mul_lo_u32 v11, v11, s6
	s_delay_alu instid0(VALU_DEP_3) | instskip(NEXT) | instid1(VALU_DEP_4)
	v_mul_lo_u32 v6, v6, s4
	v_mul_lo_u32 v7, v7, s6
	s_delay_alu instid0(VALU_DEP_4)
	v_mul_lo_u32 v8, v8, s4
	v_mul_lo_u32 v9, v9, s6
	v_cmp_lt_u32_e32 vcc_lo, s3, v2
	v_dual_add_nc_u32 v12, s5, v46 :: v_dual_add_nc_u32 v13, s5, v44
	v_mul_lo_u32 v14, v14, s6
	v_mul_lo_u32 v16, v16, s6
	v_cndmask_b32_e64 v2, 0, 1, vcc_lo
	v_cmp_lt_u32_e32 vcc_lo, s3, v3
	v_mul_lo_u32 v13, v13, s4
	v_dual_sub_nc_u32 v6, v6, v7 :: v_dual_add_nc_u32 v7, s7, v46
	v_dual_sub_nc_u32 v8, v8, v9 :: v_dual_sub_nc_u32 v9, v10, v11
	v_dual_add_nc_u32 v11, s5, v45 :: v_dual_add_nc_u32 v10, s5, v43
	v_cndmask_b32_e64 v3, 0, 1, vcc_lo
	s_delay_alu instid0(VALU_DEP_4)
	v_cmp_lt_u32_e32 vcc_lo, s3, v6
	v_mul_lo_u32 v12, v12, s4
	v_mul_lo_u32 v7, v7, s6
	v_mul_lo_u32 v10, v10, s4
	v_mul_lo_u32 v11, v11, s4
	v_cndmask_b32_e64 v6, 0, 1, vcc_lo
	v_cmp_lt_u32_e32 vcc_lo, s3, v8
	v_lshlrev_b16 v3, 8, v3
	v_add_nc_u32_e32 v25, s7, v42
	v_mul_lo_u32 v17, v17, s6
	v_lshlrev_b16 v6, 8, v6
	v_cndmask_b32_e64 v8, 0, 1, vcc_lo
	v_cmp_lt_u32_e32 vcc_lo, s3, v4
	v_dual_sub_nc_u32 v7, v12, v7 :: v_dual_sub_nc_u32 v10, v10, v14
	v_mul_lo_u32 v12, v15, s4
	v_mul_lo_u32 v15, v25, s6
	v_dual_add_nc_u32 v25, s7, v1 :: v_dual_lshrrev_b32 v3, 8, v3
	v_sub_nc_u32_e32 v11, v11, v16
	v_cndmask_b32_e64 v4, 0, 1, vcc_lo
	v_cmp_lt_u32_e32 vcc_lo, s3, v10
	v_dual_lshrrev_b32 v6, 8, v6 :: v_dual_add_nc_u32 v14, s5, v1
	v_mul_lo_u32 v16, v25, s6
	v_lshlrev_b16 v2, 8, v2
	v_cndmask_b32_e64 v10, 0, 1, vcc_lo
	v_cmp_lt_u32_e32 vcc_lo, s3, v11
	v_mul_lo_u32 v14, v14, s4
	v_dual_sub_nc_u32 v13, v13, v17 :: v_dual_sub_nc_u32 v12, v12, v15
	v_lshlrev_b16 v3, 8, v3
	v_cndmask_b32_e64 v11, 0, 1, vcc_lo
	v_cmp_lt_u32_e32 vcc_lo, s3, v5
	v_lshrrev_b32_e32 v2, 8, v2
	v_lshlrev_b16 v8, 8, v8
	v_or_b32_e32 v3, v4, v3
	v_lshlrev_b16 v4, 8, v10
	v_cndmask_b32_e64 v5, 0, 1, vcc_lo
	v_cmp_lt_u32_e32 vcc_lo, s3, v9
	v_lshlrev_b16 v10, 8, v11
	v_sub_nc_u32_e32 v11, v14, v16
	v_lshlrev_b16 v2, 8, v2
	v_lshrrev_b32_e32 v4, 8, v4
	v_cndmask_b32_e64 v9, 0, 1, vcc_lo
	v_cmp_lt_u32_e32 vcc_lo, s3, v7
	v_lshrrev_b32_e32 v10, 8, v10
	v_lshlrev_b16 v6, 8, v6
	v_or_b32_e32 v2, v5, v2
	v_lshlrev_b16 v4, 8, v4
	v_cndmask_b32_e64 v7, 0, 1, vcc_lo
	v_cmp_lt_u32_e32 vcc_lo, s3, v13
	v_lshlrev_b16 v10, 8, v10
	v_or_b32_e32 v5, v9, v6
	v_and_b32_e32 v3, 0xffff, v3
	v_dual_lshlrev_b32 v2, 16, v2 :: v_dual_bitop2_b32 v6, v7, v8 bitop3:0x54
	v_cndmask_b32_e64 v13, 0, 1, vcc_lo
	v_cmp_lt_u32_e32 vcc_lo, s3, v12
	s_delay_alu instid0(VALU_DEP_3) | instskip(SKIP_4) | instid1(VALU_DEP_4)
	v_lshlrev_b32_e32 v6, 16, v6
	v_and_b32_e32 v5, 0xffff, v5
	v_or_b32_e32 v35, v3, v2
	v_cndmask_b32_e64 v12, 0, 1, vcc_lo
	v_cmp_lt_u32_e32 vcc_lo, s3, v11
	v_or_b32_e32 v31, v5, v6
	s_delay_alu instid0(VALU_DEP_3) | instskip(SKIP_2) | instid1(VALU_DEP_3)
	v_or_b32_e32 v4, v12, v4
	v_or_b32_e32 v7, v13, v10
	v_cndmask_b32_e64 v25, 0, 1, vcc_lo
	v_lshlrev_b32_e32 v4, 16, v4
	s_delay_alu instid0(VALU_DEP_3) | instskip(NEXT) | instid1(VALU_DEP_1)
	v_and_b32_e32 v7, 0xffff, v7
	v_or_b32_e32 v27, v7, v4
	s_load_b64 s[20:21], s[0:1], 0x68
	s_cbranch_execz .LBB358_7
	s_branch .LBB358_34
.LBB358_6:
                                        ; implicit-def: $vgpr25
                                        ; implicit-def: $vgpr27
                                        ; implicit-def: $vgpr31
                                        ; implicit-def: $vgpr35
	s_load_b64 s[20:21], s[0:1], 0x68
.LBB358_7:
	v_dual_mov_b32 v3, 0 :: v_dual_mov_b32 v2, 0
	s_mov_b32 s2, exec_lo
	v_cmpx_gt_u32_e64 s23, v23
	s_cbranch_execz .LBB358_9
; %bb.8:
	v_dual_add_nc_u32 v2, s5, v52 :: v_dual_add_nc_u32 v4, s7, v52
	s_delay_alu instid0(VALU_DEP_1) | instskip(NEXT) | instid1(VALU_DEP_2)
	v_mul_lo_u32 v2, v2, s4
	v_mul_lo_u32 v4, v4, s6
	s_delay_alu instid0(VALU_DEP_1) | instskip(NEXT) | instid1(VALU_DEP_1)
	v_sub_nc_u32_e32 v2, v2, v4
	v_cmp_lt_u32_e32 vcc_lo, s3, v2
	v_cndmask_b32_e64 v2, 0, 1, vcc_lo
.LBB358_9:
	s_or_b32 exec_lo, exec_lo, s2
	v_add_nc_u32_e32 v4, 1, v23
	s_mov_b32 s2, exec_lo
	s_delay_alu instid0(VALU_DEP_1)
	v_cmpx_gt_u32_e64 s23, v4
	s_cbranch_execz .LBB358_11
; %bb.10:
	v_dual_add_nc_u32 v3, s5, v53 :: v_dual_add_nc_u32 v4, s7, v53
	s_delay_alu instid0(VALU_DEP_1) | instskip(NEXT) | instid1(VALU_DEP_2)
	v_mul_lo_u32 v3, v3, s4
	v_mul_lo_u32 v4, v4, s6
	s_delay_alu instid0(VALU_DEP_1) | instskip(NEXT) | instid1(VALU_DEP_1)
	v_sub_nc_u32_e32 v3, v3, v4
	v_cmp_lt_u32_e32 vcc_lo, s3, v3
	v_cndmask_b32_e64 v3, 0, 1, vcc_lo
.LBB358_11:
	s_or_b32 exec_lo, exec_lo, s2
	v_dual_mov_b32 v5, 0 :: v_dual_add_nc_u32 v4, 2, v23
	s_delay_alu instid0(VALU_DEP_1)
	v_cmp_gt_u32_e32 vcc_lo, s23, v4
	v_mov_b32_e32 v4, 0
	s_and_saveexec_b32 s2, vcc_lo
	s_cbranch_execz .LBB358_13
; %bb.12:
	v_dual_add_nc_u32 v4, s5, v50 :: v_dual_add_nc_u32 v6, s7, v50
	s_delay_alu instid0(VALU_DEP_1) | instskip(NEXT) | instid1(VALU_DEP_2)
	v_mul_lo_u32 v4, v4, s4
	v_mul_lo_u32 v6, v6, s6
	s_delay_alu instid0(VALU_DEP_1) | instskip(NEXT) | instid1(VALU_DEP_1)
	v_sub_nc_u32_e32 v4, v4, v6
	v_cmp_lt_u32_e32 vcc_lo, s3, v4
	v_cndmask_b32_e64 v4, 0, 1, vcc_lo
.LBB358_13:
	s_or_b32 exec_lo, exec_lo, s2
	v_add_nc_u32_e32 v6, 3, v23
	s_mov_b32 s2, exec_lo
	s_delay_alu instid0(VALU_DEP_1)
	v_cmpx_gt_u32_e64 s23, v6
	s_cbranch_execz .LBB358_15
; %bb.14:
	v_dual_add_nc_u32 v5, s5, v51 :: v_dual_add_nc_u32 v6, s7, v51
	s_delay_alu instid0(VALU_DEP_1) | instskip(NEXT) | instid1(VALU_DEP_2)
	v_mul_lo_u32 v5, v5, s4
	v_mul_lo_u32 v6, v6, s6
	s_delay_alu instid0(VALU_DEP_1) | instskip(NEXT) | instid1(VALU_DEP_1)
	v_sub_nc_u32_e32 v5, v5, v6
	v_cmp_lt_u32_e32 vcc_lo, s3, v5
	v_cndmask_b32_e64 v5, 0, 1, vcc_lo
.LBB358_15:
	s_or_b32 exec_lo, exec_lo, s2
	v_dual_mov_b32 v7, 0 :: v_dual_add_nc_u32 v6, 4, v23
	s_delay_alu instid0(VALU_DEP_1)
	v_cmp_gt_u32_e32 vcc_lo, s23, v6
	v_mov_b32_e32 v6, 0
	s_and_saveexec_b32 s2, vcc_lo
	;; [unrolled: 33-line block ×5, first 2 shown]
	s_cbranch_execz .LBB358_29
; %bb.28:
	v_dual_add_nc_u32 v12, s5, v42 :: v_dual_add_nc_u32 v14, s7, v42
	s_delay_alu instid0(VALU_DEP_1) | instskip(NEXT) | instid1(VALU_DEP_2)
	v_mul_lo_u32 v12, v12, s4
	v_mul_lo_u32 v14, v14, s6
	s_delay_alu instid0(VALU_DEP_1) | instskip(NEXT) | instid1(VALU_DEP_1)
	v_sub_nc_u32_e32 v12, v12, v14
	v_cmp_lt_u32_e32 vcc_lo, s3, v12
	v_cndmask_b32_e64 v12, 0, 1, vcc_lo
.LBB358_29:
	s_or_b32 exec_lo, exec_lo, s2
	v_add_nc_u32_e32 v14, 11, v23
	s_mov_b32 s2, exec_lo
	s_delay_alu instid0(VALU_DEP_1)
	v_cmpx_gt_u32_e64 s23, v14
	s_cbranch_execz .LBB358_31
; %bb.30:
	v_dual_add_nc_u32 v13, s5, v43 :: v_dual_add_nc_u32 v14, s7, v43
	s_delay_alu instid0(VALU_DEP_1) | instskip(NEXT) | instid1(VALU_DEP_2)
	v_mul_lo_u32 v13, v13, s4
	v_mul_lo_u32 v14, v14, s6
	s_delay_alu instid0(VALU_DEP_1) | instskip(NEXT) | instid1(VALU_DEP_1)
	v_sub_nc_u32_e32 v13, v13, v14
	v_cmp_lt_u32_e32 vcc_lo, s3, v13
	v_cndmask_b32_e64 v13, 0, 1, vcc_lo
.LBB358_31:
	s_or_b32 exec_lo, exec_lo, s2
	v_dual_mov_b32 v25, 0 :: v_dual_add_nc_u32 v14, 12, v23
	s_mov_b32 s2, exec_lo
	s_delay_alu instid0(VALU_DEP_1)
	v_cmpx_gt_u32_e64 s23, v14
	s_cbranch_execz .LBB358_33
; %bb.32:
	v_dual_add_nc_u32 v14, s7, v1 :: v_dual_add_nc_u32 v15, s5, v1
	s_delay_alu instid0(VALU_DEP_1) | instskip(NEXT) | instid1(VALU_DEP_2)
	v_mul_lo_u32 v14, v14, s6
	v_mul_lo_u32 v15, v15, s4
	s_delay_alu instid0(VALU_DEP_1) | instskip(NEXT) | instid1(VALU_DEP_1)
	v_sub_nc_u32_e32 v14, v15, v14
	v_cmp_lt_u32_e32 vcc_lo, s3, v14
	v_cndmask_b32_e64 v25, 0, 1, vcc_lo
.LBB358_33:
	s_or_b32 exec_lo, exec_lo, s2
	v_lshlrev_b16 v5, 8, v5
	v_lshlrev_b16 v7, 8, v7
	;; [unrolled: 1-line block ×5, first 2 shown]
	v_or_b32_e32 v4, v4, v5
	v_or_b32_e32 v5, v6, v7
	;; [unrolled: 1-line block ×3, first 2 shown]
	s_delay_alu instid0(VALU_DEP_4) | instskip(NEXT) | instid1(VALU_DEP_3)
	v_or_b32_e32 v7, v10, v11
	v_and_b32_e32 v5, 0xffff, v5
	s_delay_alu instid0(VALU_DEP_3) | instskip(SKIP_3) | instid1(VALU_DEP_4)
	v_dual_lshlrev_b32 v6, 16, v6 :: v_dual_bitop2_b32 v2, v2, v3 bitop3:0x54
	v_lshlrev_b32_e32 v4, 16, v4
	v_lshlrev_b16 v3, 8, v13
	v_and_b32_e32 v7, 0xffff, v7
	v_or_b32_e32 v31, v5, v6
	v_and_b32_e32 v2, 0xffff, v2
	s_delay_alu instid0(VALU_DEP_4) | instskip(NEXT) | instid1(VALU_DEP_1)
	v_or_b32_e32 v3, v12, v3
	v_dual_lshlrev_b32 v3, 16, v3 :: v_dual_bitop2_b32 v35, v2, v4 bitop3:0x54
	s_delay_alu instid0(VALU_DEP_1)
	v_or_b32_e32 v27, v7, v3
.LBB358_34:
	s_delay_alu instid0(VALU_DEP_2)
	v_bfe_u32 v39, v35, 16, 8
	v_bfe_u32 v41, v35, 8, 8
	v_and_b32_e32 v55, 0xff, v35
	v_and_b32_e32 v56, 0xff, v31
	v_mbcnt_lo_u32_b32 v62, -1, 0
	v_lshrrev_b32_e32 v37, 24, v35
	v_bfe_u32 v57, v31, 16, 8
	v_add3_u32 v2, v41, v55, v39
	v_bfe_u32 v58, v31, 8, 8
	v_and_b32_e32 v4, 15, v62
	s_load_b64 s[16:17], s[0:1], 0x28
	v_dual_lshrrev_b32 v33, 24, v31 :: v_dual_lshrrev_b32 v63, 5, v0
	v_add3_u32 v2, v2, v37, v56
	v_and_b32_e32 v59, 0xff, v27
	v_bfe_u32 v60, v27, 16, 8
	v_bfe_u32 v61, v27, 8, 8
	v_dual_lshrrev_b32 v29, 24, v27 :: v_dual_bitop2_b32 v5, 31, v0 bitop3:0x54
	v_add3_u32 v2, v2, v58, v57
	v_and_b32_e32 v3, 0xff, v25
	v_and_b32_e32 v6, 16, v62
	v_cmp_eq_u32_e64 s5, 0, v4
	v_cmp_lt_u32_e64 s4, 1, v4
	v_add3_u32 v2, v2, v33, v59
	v_cmp_lt_u32_e64 s3, 3, v4
	v_cmp_lt_u32_e64 s2, 7, v4
	s_wait_xcnt 0x0
	v_cmp_eq_u32_e64 s1, 0, v6
	v_cmp_eq_u32_e64 s0, v0, v5
	v_add3_u32 v2, v2, v61, v60
	s_cmp_lg_u32 s24, 0
	s_mov_b32 s6, -1
	s_delay_alu instid0(VALU_DEP_1)
	v_add3_u32 v64, v2, v29, v3
	s_cbranch_scc0 .LBB358_56
; %bb.35:
	s_delay_alu instid0(VALU_DEP_1) | instskip(NEXT) | instid1(VALU_DEP_1)
	v_mov_b32_dpp v2, v64 row_shr:1 row_mask:0xf bank_mask:0xf
	v_cndmask_b32_e64 v2, v2, 0, s5
	s_delay_alu instid0(VALU_DEP_1) | instskip(NEXT) | instid1(VALU_DEP_1)
	v_add_nc_u32_e32 v2, v2, v64
	v_mov_b32_dpp v3, v2 row_shr:2 row_mask:0xf bank_mask:0xf
	s_delay_alu instid0(VALU_DEP_1) | instskip(NEXT) | instid1(VALU_DEP_1)
	v_cndmask_b32_e64 v3, 0, v3, s4
	v_add_nc_u32_e32 v2, v2, v3
	s_delay_alu instid0(VALU_DEP_1) | instskip(NEXT) | instid1(VALU_DEP_1)
	v_mov_b32_dpp v3, v2 row_shr:4 row_mask:0xf bank_mask:0xf
	v_cndmask_b32_e64 v3, 0, v3, s3
	s_delay_alu instid0(VALU_DEP_1) | instskip(NEXT) | instid1(VALU_DEP_1)
	v_add_nc_u32_e32 v2, v2, v3
	v_mov_b32_dpp v3, v2 row_shr:8 row_mask:0xf bank_mask:0xf
	s_delay_alu instid0(VALU_DEP_1) | instskip(NEXT) | instid1(VALU_DEP_1)
	v_cndmask_b32_e64 v3, 0, v3, s2
	v_add_nc_u32_e32 v2, v2, v3
	ds_swizzle_b32 v3, v2 offset:swizzle(BROADCAST,32,15)
	s_wait_dscnt 0x0
	v_cndmask_b32_e64 v3, v3, 0, s1
	s_delay_alu instid0(VALU_DEP_1)
	v_add_nc_u32_e32 v2, v2, v3
	s_and_saveexec_b32 s6, s0
; %bb.36:
	v_lshlrev_b32_e32 v3, 2, v63
	ds_store_b32 v3, v2
; %bb.37:
	s_or_b32 exec_lo, exec_lo, s6
	s_delay_alu instid0(SALU_CYCLE_1)
	s_mov_b32 s6, exec_lo
	s_wait_dscnt 0x0
	s_barrier_signal -1
	s_barrier_wait -1
	v_cmpx_gt_u32_e32 8, v0
	s_cbranch_execz .LBB358_39
; %bb.38:
	ds_load_b32 v3, v19
	s_wait_dscnt 0x0
	v_mov_b32_dpp v5, v3 row_shr:1 row_mask:0xf bank_mask:0xf
	v_and_b32_e32 v4, 7, v62
	s_delay_alu instid0(VALU_DEP_1) | instskip(NEXT) | instid1(VALU_DEP_3)
	v_cmp_ne_u32_e32 vcc_lo, 0, v4
	v_cndmask_b32_e32 v5, 0, v5, vcc_lo
	v_cmp_lt_u32_e32 vcc_lo, 1, v4
	s_delay_alu instid0(VALU_DEP_2) | instskip(NEXT) | instid1(VALU_DEP_1)
	v_add_nc_u32_e32 v3, v5, v3
	v_mov_b32_dpp v5, v3 row_shr:2 row_mask:0xf bank_mask:0xf
	s_delay_alu instid0(VALU_DEP_1) | instskip(SKIP_1) | instid1(VALU_DEP_2)
	v_cndmask_b32_e32 v5, 0, v5, vcc_lo
	v_cmp_lt_u32_e32 vcc_lo, 3, v4
	v_add_nc_u32_e32 v3, v3, v5
	s_delay_alu instid0(VALU_DEP_1) | instskip(NEXT) | instid1(VALU_DEP_1)
	v_mov_b32_dpp v5, v3 row_shr:4 row_mask:0xf bank_mask:0xf
	v_cndmask_b32_e32 v4, 0, v5, vcc_lo
	s_delay_alu instid0(VALU_DEP_1)
	v_add_nc_u32_e32 v3, v3, v4
	ds_store_b32 v19, v3
.LBB358_39:
	s_or_b32 exec_lo, exec_lo, s6
	s_delay_alu instid0(SALU_CYCLE_1)
	s_mov_b32 s7, exec_lo
	v_cmp_gt_u32_e32 vcc_lo, 32, v0
	s_wait_dscnt 0x0
	s_barrier_signal -1
	s_barrier_wait -1
                                        ; implicit-def: $vgpr10
	v_cmpx_lt_u32_e32 31, v0
	s_cbranch_execz .LBB358_41
; %bb.40:
	v_lshl_add_u32 v3, v63, 2, -4
	ds_load_b32 v10, v3
	s_wait_dscnt 0x0
	v_add_nc_u32_e32 v2, v10, v2
.LBB358_41:
	s_or_b32 exec_lo, exec_lo, s7
	v_sub_co_u32 v3, s6, v62, 1
	s_delay_alu instid0(VALU_DEP_1) | instskip(NEXT) | instid1(VALU_DEP_1)
	v_cmp_gt_i32_e64 s7, 0, v3
	v_cndmask_b32_e64 v3, v3, v62, s7
	s_delay_alu instid0(VALU_DEP_1)
	v_lshlrev_b32_e32 v3, 2, v3
	ds_bpermute_b32 v11, v3, v2
	s_and_saveexec_b32 s7, vcc_lo
	s_cbranch_execz .LBB358_61
; %bb.42:
	v_mov_b32_e32 v9, 0
	ds_load_b32 v2, v9 offset:28
	s_and_saveexec_b32 s11, s6
	s_cbranch_execz .LBB358_44
; %bb.43:
	s_add_co_i32 s25, s24, 32
	s_delay_alu instid0(SALU_CYCLE_1)
	v_dual_mov_b32 v3, 1 :: v_dual_mov_b32 v4, s25
	s_wait_dscnt 0x0
	s_wait_kmcnt 0x0
	global_store_b64 v4, v[2:3], s[20:21] scale_offset scope:SCOPE_DEV
.LBB358_44:
	s_wait_xcnt 0x0
	s_or_b32 exec_lo, exec_lo, s11
	v_xad_u32 v4, v62, -1, s24
	s_mov_b32 s25, 0
	s_mov_b32 s11, exec_lo
	s_delay_alu instid0(VALU_DEP_1)
	v_add_nc_u32_e32 v8, 32, v4
	s_wait_kmcnt 0x0
	global_load_b64 v[6:7], v8, s[20:21] scale_offset scope:SCOPE_DEV
	s_wait_loadcnt 0x0
	v_and_b32_e32 v3, 0xff, v7
	s_wait_xcnt 0x0
	s_delay_alu instid0(VALU_DEP_1)
	v_cmpx_eq_u16_e32 0, v3
	s_cbranch_execz .LBB358_48
; %bb.45:
	v_lshl_add_u64 v[8:9], v[8:9], 3, s[20:21]
.LBB358_46:                             ; =>This Inner Loop Header: Depth=1
	global_load_b64 v[6:7], v[8:9], off scope:SCOPE_DEV
	s_wait_loadcnt 0x0
	v_and_b32_e32 v3, 0xff, v7
	s_delay_alu instid0(VALU_DEP_1)
	v_cmp_ne_u16_e32 vcc_lo, 0, v3
	s_or_b32 s25, vcc_lo, s25
	s_wait_xcnt 0x0
	s_and_not1_b32 exec_lo, exec_lo, s25
	s_cbranch_execnz .LBB358_46
; %bb.47:
	s_or_b32 exec_lo, exec_lo, s25
.LBB358_48:
	s_delay_alu instid0(SALU_CYCLE_1)
	s_or_b32 exec_lo, exec_lo, s11
	v_cmp_ne_u32_e32 vcc_lo, 31, v62
	v_lshlrev_b32_e64 v13, v62, -1
	v_dual_add_nc_u32 v15, 2, v62 :: v_dual_add_nc_u32 v17, 4, v62
	v_dual_add_nc_u32 v65, 8, v62 :: v_dual_add_nc_u32 v67, 16, v62
	v_add_co_ci_u32_e64 v3, null, 0, v62, vcc_lo
	v_lshl_or_b32 v66, v62, 2, 64
	s_delay_alu instid0(VALU_DEP_2)
	v_lshlrev_b32_e32 v12, 2, v3
	v_and_b32_e32 v3, 0xff, v7
	ds_bpermute_b32 v5, v12, v6
	v_cmp_eq_u16_e32 vcc_lo, 2, v3
	v_and_or_b32 v3, vcc_lo, v13, 0x80000000
	v_cmp_gt_u32_e32 vcc_lo, 30, v62
	s_delay_alu instid0(VALU_DEP_2) | instskip(SKIP_1) | instid1(VALU_DEP_2)
	v_ctz_i32_b32_e32 v3, v3
	v_cndmask_b32_e64 v8, 0, 2, vcc_lo
	v_cmp_lt_u32_e32 vcc_lo, v62, v3
	s_delay_alu instid0(VALU_DEP_2)
	v_add_lshl_u32 v14, v8, v62, 2
	s_wait_dscnt 0x0
	v_cndmask_b32_e32 v5, 0, v5, vcc_lo
	v_cmp_gt_u32_e32 vcc_lo, 28, v62
	v_cndmask_b32_e64 v8, 0, 4, vcc_lo
	v_cmp_le_u32_e32 vcc_lo, v15, v3
	s_delay_alu instid0(VALU_DEP_4) | instskip(NEXT) | instid1(VALU_DEP_3)
	v_add_nc_u32_e32 v5, v5, v6
	v_add_lshl_u32 v16, v8, v62, 2
	ds_bpermute_b32 v6, v14, v5
	s_wait_dscnt 0x0
	v_cndmask_b32_e32 v6, 0, v6, vcc_lo
	v_cmp_gt_u32_e32 vcc_lo, 24, v62
	v_cndmask_b32_e64 v8, 0, 8, vcc_lo
	v_cmp_le_u32_e32 vcc_lo, v17, v3
	s_delay_alu instid0(VALU_DEP_4) | instskip(NEXT) | instid1(VALU_DEP_3)
	v_add_nc_u32_e32 v5, v5, v6
	v_add_lshl_u32 v54, v8, v62, 2
	ds_bpermute_b32 v6, v16, v5
	s_wait_dscnt 0x0
	v_cndmask_b32_e32 v6, 0, v6, vcc_lo
	v_cmp_le_u32_e32 vcc_lo, v65, v3
	s_delay_alu instid0(VALU_DEP_2) | instskip(SKIP_4) | instid1(VALU_DEP_2)
	v_add_nc_u32_e32 v5, v5, v6
	ds_bpermute_b32 v6, v54, v5
	s_wait_dscnt 0x0
	v_cndmask_b32_e32 v6, 0, v6, vcc_lo
	v_cmp_le_u32_e32 vcc_lo, v67, v3
	v_add_nc_u32_e32 v5, v5, v6
	ds_bpermute_b32 v6, v66, v5
	s_wait_dscnt 0x0
	v_cndmask_b32_e32 v3, 0, v6, vcc_lo
	s_delay_alu instid0(VALU_DEP_1)
	v_dual_mov_b32 v5, 0 :: v_dual_add_nc_u32 v6, v5, v3
	s_branch .LBB358_52
.LBB358_49:                             ;   in Loop: Header=BB358_52 Depth=1
	s_or_b32 exec_lo, exec_lo, s25
.LBB358_50:                             ;   in Loop: Header=BB358_52 Depth=1
	s_delay_alu instid0(SALU_CYCLE_1)
	s_or_b32 exec_lo, exec_lo, s11
	v_and_b32_e32 v8, 0xff, v7
	ds_bpermute_b32 v9, v12, v6
	v_subrev_nc_u32_e32 v4, 32, v4
	s_mov_b32 s11, 0
	v_cmp_eq_u16_e32 vcc_lo, 2, v8
	v_and_or_b32 v8, vcc_lo, v13, 0x80000000
	s_delay_alu instid0(VALU_DEP_1) | instskip(NEXT) | instid1(VALU_DEP_1)
	v_ctz_i32_b32_e32 v8, v8
	v_cmp_lt_u32_e32 vcc_lo, v62, v8
	s_wait_dscnt 0x0
	v_cndmask_b32_e32 v9, 0, v9, vcc_lo
	v_cmp_le_u32_e32 vcc_lo, v15, v8
	s_delay_alu instid0(VALU_DEP_2) | instskip(SKIP_4) | instid1(VALU_DEP_2)
	v_add_nc_u32_e32 v6, v9, v6
	ds_bpermute_b32 v9, v14, v6
	s_wait_dscnt 0x0
	v_cndmask_b32_e32 v9, 0, v9, vcc_lo
	v_cmp_le_u32_e32 vcc_lo, v17, v8
	v_add_nc_u32_e32 v6, v6, v9
	ds_bpermute_b32 v9, v16, v6
	s_wait_dscnt 0x0
	v_cndmask_b32_e32 v9, 0, v9, vcc_lo
	v_cmp_le_u32_e32 vcc_lo, v65, v8
	s_delay_alu instid0(VALU_DEP_2) | instskip(SKIP_4) | instid1(VALU_DEP_2)
	v_add_nc_u32_e32 v6, v6, v9
	ds_bpermute_b32 v9, v54, v6
	s_wait_dscnt 0x0
	v_cndmask_b32_e32 v9, 0, v9, vcc_lo
	v_cmp_le_u32_e32 vcc_lo, v67, v8
	v_add_nc_u32_e32 v6, v6, v9
	ds_bpermute_b32 v9, v66, v6
	s_wait_dscnt 0x0
	v_cndmask_b32_e32 v8, 0, v9, vcc_lo
	s_delay_alu instid0(VALU_DEP_1)
	v_add3_u32 v6, v8, v3, v6
.LBB358_51:                             ;   in Loop: Header=BB358_52 Depth=1
	s_and_b32 vcc_lo, exec_lo, s11
	s_cbranch_vccnz .LBB358_57
.LBB358_52:                             ; =>This Loop Header: Depth=1
                                        ;     Child Loop BB358_55 Depth 2
	v_and_b32_e32 v3, 0xff, v7
	s_mov_b32 s11, -1
                                        ; implicit-def: $vgpr7
	s_delay_alu instid0(VALU_DEP_1)
	v_cmp_ne_u16_e32 vcc_lo, 2, v3
	v_mov_b32_e32 v3, v6
                                        ; implicit-def: $vgpr6
	s_cmp_lg_u32 vcc_lo, exec_lo
	s_cbranch_scc1 .LBB358_51
; %bb.53:                               ;   in Loop: Header=BB358_52 Depth=1
	global_load_b64 v[6:7], v4, s[20:21] scale_offset scope:SCOPE_DEV
	s_mov_b32 s11, exec_lo
	s_wait_loadcnt 0x0
	v_and_b32_e32 v8, 0xff, v7
	s_wait_xcnt 0x0
	s_delay_alu instid0(VALU_DEP_1)
	v_cmpx_eq_u16_e32 0, v8
	s_cbranch_execz .LBB358_50
; %bb.54:                               ;   in Loop: Header=BB358_52 Depth=1
	v_lshl_add_u64 v[8:9], v[4:5], 3, s[20:21]
	s_mov_b32 s25, 0
.LBB358_55:                             ;   Parent Loop BB358_52 Depth=1
                                        ; =>  This Inner Loop Header: Depth=2
	global_load_b64 v[6:7], v[8:9], off scope:SCOPE_DEV
	s_wait_loadcnt 0x0
	v_and_b32_e32 v68, 0xff, v7
	s_delay_alu instid0(VALU_DEP_1)
	v_cmp_ne_u16_e32 vcc_lo, 0, v68
	s_or_b32 s25, vcc_lo, s25
	s_wait_xcnt 0x0
	s_and_not1_b32 exec_lo, exec_lo, s25
	s_cbranch_execnz .LBB358_55
	s_branch .LBB358_49
.LBB358_56:
                                        ; implicit-def: $vgpr2_vgpr3_vgpr4_vgpr5_vgpr6_vgpr7_vgpr8_vgpr9_vgpr10_vgpr11_vgpr12_vgpr13_vgpr14_vgpr15_vgpr16_vgpr17
                                        ; implicit-def: $vgpr54
                                        ; implicit-def: $vgpr16
	s_and_b32 vcc_lo, exec_lo, s6
	s_cbranch_vccnz .LBB358_62
	s_branch .LBB358_71
.LBB358_57:
	s_and_saveexec_b32 s11, s6
	s_cbranch_execz .LBB358_59
; %bb.58:
	s_add_co_i32 s24, s24, 32
	v_dual_mov_b32 v5, 2 :: v_dual_add_nc_u32 v4, v3, v2
	v_dual_mov_b32 v6, s24 :: v_dual_mov_b32 v7, 0
	global_store_b64 v6, v[4:5], s[20:21] scale_offset scope:SCOPE_DEV
	ds_store_b64 v7, v[2:3] offset:13312
.LBB358_59:
	s_wait_xcnt 0x0
	s_or_b32 exec_lo, exec_lo, s11
	v_cmp_eq_u32_e32 vcc_lo, 0, v0
	s_and_b32 exec_lo, exec_lo, vcc_lo
; %bb.60:
	v_mov_b32_e32 v2, 0
	ds_store_b32 v2, v3 offset:28
.LBB358_61:
	s_or_b32 exec_lo, exec_lo, s7
	s_wait_dscnt 0x0
	v_dual_mov_b32 v12, 0 :: v_dual_cndmask_b32 v3, v11, v10, s6
	s_wait_storecnt 0x0
	s_barrier_signal -1
	s_barrier_wait -1
	ds_load_b32 v2, v12 offset:28
	v_cmp_ne_u32_e32 vcc_lo, 0, v0
	s_wait_dscnt 0x0
	s_barrier_signal -1
	s_barrier_wait -1
	v_cndmask_b32_e32 v3, 0, v3, vcc_lo
	ds_load_b64 v[16:17], v12 offset:13312
	v_add_nc_u32_e32 v2, v2, v3
	s_wait_dscnt 0x0
	s_delay_alu instid0(VALU_DEP_1) | instskip(NEXT) | instid1(VALU_DEP_1)
	v_dual_mov_b32 v54, v17 :: v_dual_add_nc_u32 v3, v2, v55
	v_add_nc_u32_e32 v4, v3, v41
	s_delay_alu instid0(VALU_DEP_1) | instskip(NEXT) | instid1(VALU_DEP_1)
	v_add_nc_u32_e32 v5, v4, v39
	v_add_nc_u32_e32 v6, v5, v37
	s_delay_alu instid0(VALU_DEP_1) | instskip(NEXT) | instid1(VALU_DEP_1)
	v_add_nc_u32_e32 v7, v6, v56
	;; [unrolled: 3-line block ×5, first 2 shown]
	v_add_nc_u32_e32 v14, v13, v29
	s_branch .LBB358_71
.LBB358_62:
	v_mov_b32_dpp v2, v64 row_shr:1 row_mask:0xf bank_mask:0xf
	s_delay_alu instid0(VALU_DEP_1) | instskip(NEXT) | instid1(VALU_DEP_1)
	v_cndmask_b32_e64 v2, v2, 0, s5
	v_add_nc_u32_e32 v2, v2, v64
	s_delay_alu instid0(VALU_DEP_1) | instskip(NEXT) | instid1(VALU_DEP_1)
	v_mov_b32_dpp v3, v2 row_shr:2 row_mask:0xf bank_mask:0xf
	v_cndmask_b32_e64 v3, 0, v3, s4
	s_delay_alu instid0(VALU_DEP_1) | instskip(NEXT) | instid1(VALU_DEP_1)
	v_add_nc_u32_e32 v2, v2, v3
	v_mov_b32_dpp v3, v2 row_shr:4 row_mask:0xf bank_mask:0xf
	s_delay_alu instid0(VALU_DEP_1) | instskip(NEXT) | instid1(VALU_DEP_1)
	v_cndmask_b32_e64 v3, 0, v3, s3
	v_add_nc_u32_e32 v2, v2, v3
	s_delay_alu instid0(VALU_DEP_1) | instskip(NEXT) | instid1(VALU_DEP_1)
	v_mov_b32_dpp v3, v2 row_shr:8 row_mask:0xf bank_mask:0xf
	v_cndmask_b32_e64 v3, 0, v3, s2
	s_delay_alu instid0(VALU_DEP_1) | instskip(SKIP_3) | instid1(VALU_DEP_1)
	v_add_nc_u32_e32 v2, v2, v3
	ds_swizzle_b32 v3, v2 offset:swizzle(BROADCAST,32,15)
	s_wait_dscnt 0x0
	v_cndmask_b32_e64 v3, v3, 0, s1
	v_add_nc_u32_e32 v2, v2, v3
	s_and_saveexec_b32 s1, s0
; %bb.63:
	v_lshlrev_b32_e32 v3, 2, v63
	ds_store_b32 v3, v2
; %bb.64:
	s_or_b32 exec_lo, exec_lo, s1
	s_delay_alu instid0(SALU_CYCLE_1)
	s_mov_b32 s0, exec_lo
	s_wait_dscnt 0x0
	s_barrier_signal -1
	s_barrier_wait -1
	v_cmpx_gt_u32_e32 8, v0
	s_cbranch_execz .LBB358_66
; %bb.65:
	ds_load_b32 v3, v19
	s_wait_dscnt 0x0
	v_mov_b32_dpp v5, v3 row_shr:1 row_mask:0xf bank_mask:0xf
	v_and_b32_e32 v4, 7, v62
	s_delay_alu instid0(VALU_DEP_1) | instskip(NEXT) | instid1(VALU_DEP_3)
	v_cmp_ne_u32_e32 vcc_lo, 0, v4
	v_cndmask_b32_e32 v5, 0, v5, vcc_lo
	v_cmp_lt_u32_e32 vcc_lo, 1, v4
	s_delay_alu instid0(VALU_DEP_2) | instskip(NEXT) | instid1(VALU_DEP_1)
	v_add_nc_u32_e32 v3, v5, v3
	v_mov_b32_dpp v5, v3 row_shr:2 row_mask:0xf bank_mask:0xf
	s_delay_alu instid0(VALU_DEP_1) | instskip(SKIP_1) | instid1(VALU_DEP_2)
	v_cndmask_b32_e32 v5, 0, v5, vcc_lo
	v_cmp_lt_u32_e32 vcc_lo, 3, v4
	v_add_nc_u32_e32 v3, v3, v5
	s_delay_alu instid0(VALU_DEP_1) | instskip(NEXT) | instid1(VALU_DEP_1)
	v_mov_b32_dpp v5, v3 row_shr:4 row_mask:0xf bank_mask:0xf
	v_cndmask_b32_e32 v4, 0, v5, vcc_lo
	s_delay_alu instid0(VALU_DEP_1)
	v_add_nc_u32_e32 v3, v3, v4
	ds_store_b32 v19, v3
.LBB358_66:
	s_or_b32 exec_lo, exec_lo, s0
	v_dual_mov_b32 v4, 0 :: v_dual_mov_b32 v3, 0
	s_mov_b32 s0, exec_lo
	s_wait_dscnt 0x0
	s_barrier_signal -1
	s_barrier_wait -1
	v_cmpx_lt_u32_e32 31, v0
; %bb.67:
	v_lshl_add_u32 v3, v63, 2, -4
	ds_load_b32 v3, v3
; %bb.68:
	s_or_b32 exec_lo, exec_lo, s0
	v_sub_co_u32 v5, vcc_lo, v62, 1
	ds_load_b32 v16, v4 offset:28
	v_cmp_gt_i32_e64 s0, 0, v5
	s_delay_alu instid0(VALU_DEP_1) | instskip(SKIP_3) | instid1(VALU_DEP_3)
	v_cndmask_b32_e64 v5, v5, v62, s0
	s_wait_dscnt 0x1
	v_add_nc_u32_e32 v2, v3, v2
	v_cmp_eq_u32_e64 s0, 0, v0
	v_lshlrev_b32_e32 v5, 2, v5
	ds_bpermute_b32 v2, v5, v2
	s_and_saveexec_b32 s1, s0
	s_cbranch_execz .LBB358_70
; %bb.69:
	v_dual_mov_b32 v4, 0 :: v_dual_mov_b32 v17, 2
	s_wait_dscnt 0x1
	s_wait_kmcnt 0x0
	global_store_b64 v4, v[16:17], s[20:21] offset:256 scope:SCOPE_DEV
.LBB358_70:
	s_wait_xcnt 0x0
	s_or_b32 exec_lo, exec_lo, s1
	s_wait_dscnt 0x0
	v_cndmask_b32_e32 v2, v2, v3, vcc_lo
	s_wait_storecnt 0x0
	s_barrier_signal -1
	s_barrier_wait -1
	s_delay_alu instid0(VALU_DEP_1) | instskip(NEXT) | instid1(VALU_DEP_1)
	v_cndmask_b32_e64 v2, v2, 0, s0
	v_dual_mov_b32 v54, 0 :: v_dual_add_nc_u32 v3, v2, v55
	s_delay_alu instid0(VALU_DEP_1) | instskip(NEXT) | instid1(VALU_DEP_1)
	v_add_nc_u32_e32 v4, v3, v41
	v_add_nc_u32_e32 v5, v4, v39
	s_delay_alu instid0(VALU_DEP_1) | instskip(NEXT) | instid1(VALU_DEP_1)
	v_add_nc_u32_e32 v6, v5, v37
	v_add_nc_u32_e32 v7, v6, v56
	;; [unrolled: 3-line block ×5, first 2 shown]
	s_delay_alu instid0(VALU_DEP_1)
	v_add_nc_u32_e32 v14, v13, v29
.LBB358_71:
	v_dual_lshrrev_b32 v55, 16, v35 :: v_dual_lshrrev_b32 v56, 8, v35
	v_dual_add_nc_u32 v23, v16, v23 :: v_dual_sub_nc_u32 v3, v3, v54
	v_dual_sub_nc_u32 v2, v2, v54 :: v_dual_bitop2_b32 v35, 1, v35 bitop3:0x40
	s_delay_alu instid0(VALU_DEP_3) | instskip(NEXT) | instid1(VALU_DEP_4)
	v_dual_sub_nc_u32 v4, v4, v54 :: v_dual_bitop2_b32 v56, 1, v56 bitop3:0x40
	v_and_b32_e32 v55, 1, v55
	s_delay_alu instid0(VALU_DEP_3) | instskip(NEXT) | instid1(VALU_DEP_4)
	v_dual_sub_nc_u32 v57, v23, v3 :: v_dual_sub_nc_u32 v58, v23, v2
	v_cmp_eq_u32_e32 vcc_lo, 1, v35
	s_delay_alu instid0(VALU_DEP_4) | instskip(NEXT) | instid1(VALU_DEP_3)
	v_dual_sub_nc_u32 v5, v5, v54 :: v_dual_sub_nc_u32 v59, v23, v4
	v_dual_add_nc_u32 v57, 1, v57 :: v_dual_sub_nc_u32 v6, v6, v54
	s_delay_alu instid0(VALU_DEP_4) | instskip(SKIP_1) | instid1(VALU_DEP_4)
	v_cndmask_b32_e32 v2, v58, v2, vcc_lo
	v_cmp_eq_u32_e32 vcc_lo, 1, v56
	v_dual_sub_nc_u32 v35, v23, v5 :: v_dual_add_nc_u32 v56, 2, v59
	v_dual_lshrrev_b32 v41, 8, v31 :: v_dual_lshrrev_b32 v39, 16, v31
	v_dual_cndmask_b32 v3, v57, v3, vcc_lo :: v_dual_bitop2_b32 v37, 1, v37 bitop3:0x40
	v_lshlrev_b32_e32 v2, 2, v2
	v_cmp_eq_u32_e32 vcc_lo, 1, v55
	v_add_nc_u32_e32 v35, 3, v35
	s_delay_alu instid0(VALU_DEP_4)
	v_lshlrev_b32_e32 v3, 2, v3
	v_dual_lshrrev_b32 v15, 16, v27 :: v_dual_lshrrev_b32 v17, 8, v27
	v_cndmask_b32_e32 v4, v56, v4, vcc_lo
	v_cmp_eq_u32_e32 vcc_lo, 1, v37
	ds_store_b32 v2, v52
	ds_store_b32 v3, v53
	v_dual_lshlrev_b32 v3, 2, v4 :: v_dual_cndmask_b32 v5, v35, v5, vcc_lo
	s_delay_alu instid0(VALU_DEP_1) | instskip(SKIP_1) | instid1(VALU_DEP_2)
	v_dual_sub_nc_u32 v2, v23, v6 :: v_dual_lshlrev_b32 v4, 2, v5
	v_dual_sub_nc_u32 v5, v7, v54 :: v_dual_bitop2_b32 v7, 1, v31 bitop3:0x40
	v_add_nc_u32_e32 v2, 4, v2
	ds_store_b32 v3, v50
	ds_store_b32 v4, v51
	v_sub_nc_u32_e32 v3, v23, v5
	v_cmp_eq_u32_e32 vcc_lo, 1, v7
	s_delay_alu instid0(VALU_DEP_2) | instskip(SKIP_1) | instid1(VALU_DEP_2)
	v_dual_sub_nc_u32 v4, v8, v54 :: v_dual_add_nc_u32 v3, 5, v3
	v_dual_cndmask_b32 v2, v2, v6, vcc_lo :: v_dual_bitop2_b32 v6, 1, v41 bitop3:0x40
	v_dual_sub_nc_u32 v7, v9, v54 :: v_dual_sub_nc_u32 v8, v23, v4
	s_delay_alu instid0(VALU_DEP_2) | instskip(NEXT) | instid1(VALU_DEP_2)
	v_cmp_eq_u32_e32 vcc_lo, 1, v6
	v_dual_lshlrev_b32 v2, 2, v2 :: v_dual_add_nc_u32 v8, 6, v8
	v_cndmask_b32_e32 v3, v3, v5, vcc_lo
	s_delay_alu instid0(VALU_DEP_4)
	v_sub_nc_u32_e32 v5, v23, v7
	v_and_b32_e32 v6, 1, v39
	ds_store_b32 v2, v48
	v_dual_lshlrev_b32 v3, 2, v3 :: v_dual_add_nc_u32 v5, 7, v5
	v_cmp_eq_u32_e32 vcc_lo, 1, v6
	v_dual_sub_nc_u32 v6, v11, v54 :: v_dual_bitop2_b32 v2, 1, v33 bitop3:0x40
	ds_store_b32 v3, v49
	v_cndmask_b32_e32 v4, v8, v4, vcc_lo
	v_cmp_eq_u32_e32 vcc_lo, 1, v2
	s_delay_alu instid0(VALU_DEP_2)
	v_dual_lshlrev_b32 v4, 2, v4 :: v_dual_cndmask_b32 v2, v5, v7, vcc_lo
	v_dual_sub_nc_u32 v5, v10, v54 :: v_dual_bitop2_b32 v7, 1, v17 bitop3:0x40
	v_sub_nc_u32_e32 v3, v23, v6
	ds_store_b32 v4, v46
	v_dual_sub_nc_u32 v4, v23, v5 :: v_dual_lshlrev_b32 v2, 2, v2
	v_add_nc_u32_e32 v3, 9, v3
	v_cmp_eq_u32_e32 vcc_lo, 1, v7
	s_delay_alu instid0(VALU_DEP_3) | instskip(SKIP_3) | instid1(VALU_DEP_2)
	v_dual_sub_nc_u32 v7, v12, v54 :: v_dual_add_nc_u32 v4, 8, v4
	ds_store_b32 v2, v47
	v_dual_cndmask_b32 v3, v3, v6, vcc_lo :: v_dual_bitop2_b32 v2, 1, v27 bitop3:0x40
	v_dual_sub_nc_u32 v6, v13, v54 :: v_dual_sub_nc_u32 v8, v14, v54
	v_cmp_eq_u32_e32 vcc_lo, 1, v2
	v_dual_cndmask_b32 v2, v4, v5 :: v_dual_sub_nc_u32 v5, v23, v7
	s_delay_alu instid0(VALU_DEP_3) | instskip(SKIP_1) | instid1(VALU_DEP_3)
	v_dual_sub_nc_u32 v4, v23, v6 :: v_dual_sub_nc_u32 v9, v23, v8
	v_and_b32_e32 v10, 1, v15
	v_dual_lshlrev_b32 v2, 2, v2 :: v_dual_bitop2_b32 v12, 1, v25 bitop3:0x40
	s_delay_alu instid0(VALU_DEP_3) | instskip(NEXT) | instid1(VALU_DEP_1)
	v_dual_add_nc_u32 v4, 11, v4 :: v_dual_bitop2_b32 v11, 1, v29 bitop3:0x40
	v_cmp_eq_u32_e32 vcc_lo, 1, v11
	s_delay_alu instid0(VALU_DEP_2) | instskip(SKIP_3) | instid1(VALU_DEP_1)
	v_cndmask_b32_e32 v4, v4, v6, vcc_lo
	v_cmp_eq_u32_e32 vcc_lo, 1, v10
	v_add_nc_u32_e32 v9, 12, v9
	v_add_nc_u32_e32 v5, 10, v5
	v_cndmask_b32_e32 v5, v5, v7, vcc_lo
	v_cmp_eq_u32_e32 vcc_lo, 1, v12
	s_delay_alu instid0(VALU_DEP_2) | instskip(SKIP_3) | instid1(VALU_DEP_3)
	v_dual_lshlrev_b32 v3, 2, v3 :: v_dual_lshlrev_b32 v5, 2, v5
	v_cndmask_b32_e32 v6, v9, v8, vcc_lo
	v_lshlrev_b32_e32 v4, 2, v4
	v_cmp_ne_u32_e32 vcc_lo, 1, v21
	v_lshlrev_b32_e32 v6, 2, v6
	ds_store_b32 v2, v44
	ds_store_b32 v3, v45
	;; [unrolled: 1-line block ×5, first 2 shown]
	s_wait_dscnt 0x0
	s_barrier_signal -1
	s_barrier_wait -1
	ds_load_2addr_stride64_b32 v[14:15], v19 offset1:4
	ds_load_2addr_stride64_b32 v[12:13], v19 offset0:8 offset1:12
	ds_load_2addr_stride64_b32 v[10:11], v19 offset0:16 offset1:20
	;; [unrolled: 1-line block ×5, first 2 shown]
	ds_load_b32 v46, v19 offset:12288
	v_mov_b32_e32 v1, 0
	s_and_b32 vcc_lo, exec_lo, vcc_lo
	s_delay_alu instid0(VALU_DEP_1) | instskip(SKIP_3) | instid1(VALU_DEP_3)
	v_dual_mov_b32 v29, v1 :: v_dual_mov_b32 v55, v1
	v_dual_mov_b32 v41, v1 :: v_dual_mov_b32 v39, v1
	;; [unrolled: 1-line block ×3, first 2 shown]
	s_wait_kmcnt 0x0
	v_add_nc_u64_e32 v[2:3], s[18:19], v[54:55]
	v_dual_mov_b32 v33, v1 :: v_dual_mov_b32 v31, v1
	v_dual_mov_b32 v27, v1 :: v_dual_mov_b32 v25, v1
	v_dual_mov_b32 v23, v1 :: v_dual_mov_b32 v21, v1
	v_mov_b32_e32 v19, v1
	s_cbranch_vccnz .LBB358_125
; %bb.72:
	v_mov_b32_e32 v17, v1
	s_mov_b32 s11, 0
	v_sub_nc_u64_e64 v[42:43], v[2:3], s[12:13]
	s_sub_nc_u64 s[0:1], s[14:15], s[10:11]
	s_delay_alu instid0(VALU_DEP_2) | instid1(SALU_CYCLE_1)
	v_add_nc_u64_e32 v[44:45], s[0:1], v[16:17]
	s_mov_b32 s0, exec_lo
	s_delay_alu instid0(VALU_DEP_1)
	v_add_nc_u64_e32 v[42:43], v[44:45], v[42:43]
                                        ; implicit-def: $vgpr44_vgpr45
	v_cmpx_ge_u32_e64 v0, v16
	s_xor_b32 s0, exec_lo, s0
; %bb.73:
	v_not_b32_e32 v44, v0
	s_delay_alu instid0(VALU_DEP_1) | instskip(NEXT) | instid1(VALU_DEP_1)
	v_ashrrev_i32_e32 v45, 31, v44
	v_add_nc_u64_e32 v[44:45], v[42:43], v[44:45]
; %bb.74:
	s_and_not1_saveexec_b32 s0, s0
; %bb.75:
	v_add_nc_u64_e32 v[44:45], v[2:3], v[0:1]
; %bb.76:
	s_or_b32 exec_lo, exec_lo, s0
	s_delay_alu instid0(VALU_DEP_1)
	v_lshl_add_u64 v[44:45], v[44:45], 2, s[16:17]
	s_mov_b32 s0, exec_lo
	s_wait_dscnt 0x6
	global_store_b32 v[44:45], v14, off
                                        ; implicit-def: $vgpr44_vgpr45
	s_wait_xcnt 0x0
	v_cmpx_ge_u32_e64 v40, v16
	s_xor_b32 s0, exec_lo, s0
; %bb.77:
	v_xor_b32_e32 v44, 0xfffffeff, v0
	s_delay_alu instid0(VALU_DEP_1) | instskip(NEXT) | instid1(VALU_DEP_1)
	v_ashrrev_i32_e32 v45, 31, v44
	v_add_nc_u64_e32 v[44:45], v[42:43], v[44:45]
; %bb.78:
	s_and_not1_saveexec_b32 s0, s0
; %bb.79:
	v_add_nc_u64_e32 v[44:45], v[2:3], v[40:41]
; %bb.80:
	s_or_b32 exec_lo, exec_lo, s0
	s_delay_alu instid0(VALU_DEP_1)
	v_lshl_add_u64 v[44:45], v[44:45], 2, s[16:17]
	s_mov_b32 s0, exec_lo
	global_store_b32 v[44:45], v15, off
                                        ; implicit-def: $vgpr44_vgpr45
	s_wait_xcnt 0x0
	v_cmpx_ge_u32_e64 v38, v16
	s_xor_b32 s0, exec_lo, s0
; %bb.81:
	v_xor_b32_e32 v44, 0xfffffdff, v0
	s_delay_alu instid0(VALU_DEP_1) | instskip(NEXT) | instid1(VALU_DEP_1)
	v_ashrrev_i32_e32 v45, 31, v44
	v_add_nc_u64_e32 v[44:45], v[42:43], v[44:45]
; %bb.82:
	s_and_not1_saveexec_b32 s0, s0
; %bb.83:
	v_add_nc_u64_e32 v[44:45], v[2:3], v[38:39]
; %bb.84:
	s_or_b32 exec_lo, exec_lo, s0
	s_delay_alu instid0(VALU_DEP_1)
	v_lshl_add_u64 v[44:45], v[44:45], 2, s[16:17]
	s_mov_b32 s0, exec_lo
	s_wait_dscnt 0x5
	global_store_b32 v[44:45], v12, off
                                        ; implicit-def: $vgpr44_vgpr45
	s_wait_xcnt 0x0
	v_cmpx_ge_u32_e64 v36, v16
	s_xor_b32 s0, exec_lo, s0
; %bb.85:
	v_xor_b32_e32 v44, 0xfffffcff, v0
	s_delay_alu instid0(VALU_DEP_1) | instskip(NEXT) | instid1(VALU_DEP_1)
	v_ashrrev_i32_e32 v45, 31, v44
	v_add_nc_u64_e32 v[44:45], v[42:43], v[44:45]
; %bb.86:
	s_and_not1_saveexec_b32 s0, s0
; %bb.87:
	v_add_nc_u64_e32 v[44:45], v[2:3], v[36:37]
; %bb.88:
	s_or_b32 exec_lo, exec_lo, s0
	s_delay_alu instid0(VALU_DEP_1)
	v_lshl_add_u64 v[44:45], v[44:45], 2, s[16:17]
	s_mov_b32 s0, exec_lo
	global_store_b32 v[44:45], v13, off
                                        ; implicit-def: $vgpr44_vgpr45
	s_wait_xcnt 0x0
	v_cmpx_ge_u32_e64 v34, v16
	s_xor_b32 s0, exec_lo, s0
; %bb.89:
	v_xor_b32_e32 v44, 0xfffffbff, v0
	;; [unrolled: 39-line block ×6, first 2 shown]
	s_delay_alu instid0(VALU_DEP_1) | instskip(NEXT) | instid1(VALU_DEP_1)
	v_ashrrev_i32_e32 v45, 31, v44
	v_add_nc_u64_e32 v[44:45], v[42:43], v[44:45]
; %bb.122:
	s_and_not1_saveexec_b32 s0, s0
; %bb.123:
	v_add_nc_u64_e32 v[44:45], v[2:3], v[18:19]
; %bb.124:
	s_or_b32 exec_lo, exec_lo, s0
	s_mov_b32 s0, -1
	s_branch .LBB358_205
.LBB358_125:
	s_mov_b32 s0, 0
                                        ; implicit-def: $vgpr44_vgpr45
	s_cbranch_execz .LBB358_205
; %bb.126:
	s_mov_b32 s11, 0
	v_mov_b32_e32 v17, 0
	s_add_nc_u64 s[2:3], s[12:13], s[10:11]
	s_mov_b32 s1, exec_lo
	s_sub_nc_u64 s[2:3], s[14:15], s[2:3]
	s_delay_alu instid0(VALU_DEP_1) | instid1(SALU_CYCLE_1)
	v_add_nc_u64_e32 v[42:43], s[2:3], v[16:17]
	s_delay_alu instid0(VALU_DEP_1)
	v_add_nc_u64_e32 v[42:43], v[42:43], v[2:3]
	v_cmpx_gt_u32_e64 s23, v0
	s_cbranch_execz .LBB358_162
; %bb.127:
	s_mov_b32 s2, exec_lo
                                        ; implicit-def: $vgpr44_vgpr45
	v_cmpx_ge_u32_e64 v0, v16
	s_xor_b32 s2, exec_lo, s2
; %bb.128:
	v_not_b32_e32 v44, v0
	s_delay_alu instid0(VALU_DEP_1) | instskip(NEXT) | instid1(VALU_DEP_1)
	v_ashrrev_i32_e32 v45, 31, v44
	v_add_nc_u64_e32 v[44:45], v[42:43], v[44:45]
; %bb.129:
	s_and_not1_saveexec_b32 s2, s2
; %bb.130:
	v_add_nc_u64_e32 v[44:45], v[2:3], v[0:1]
; %bb.131:
	s_or_b32 exec_lo, exec_lo, s2
	s_delay_alu instid0(VALU_DEP_1) | instskip(SKIP_4) | instid1(SALU_CYCLE_1)
	v_lshl_add_u64 v[44:45], v[44:45], 2, s[16:17]
	s_wait_dscnt 0x6
	global_store_b32 v[44:45], v14, off
	s_wait_xcnt 0x0
	s_or_b32 exec_lo, exec_lo, s1
	s_mov_b32 s1, exec_lo
	v_cmpx_gt_u32_e64 s23, v40
	s_cbranch_execnz .LBB358_163
.LBB358_132:
	s_or_b32 exec_lo, exec_lo, s1
	s_delay_alu instid0(SALU_CYCLE_1)
	s_mov_b32 s1, exec_lo
	v_cmpx_gt_u32_e64 s23, v38
	s_cbranch_execz .LBB358_168
.LBB358_133:
	s_mov_b32 s2, exec_lo
                                        ; implicit-def: $vgpr14_vgpr15
	v_cmpx_ge_u32_e64 v38, v16
	s_xor_b32 s2, exec_lo, s2
	s_cbranch_execz .LBB358_135
; %bb.134:
	s_wait_dscnt 0x6
	v_xor_b32_e32 v14, 0xfffffdff, v0
                                        ; implicit-def: $vgpr38_vgpr39
	s_delay_alu instid0(VALU_DEP_1) | instskip(NEXT) | instid1(VALU_DEP_1)
	v_ashrrev_i32_e32 v15, 31, v14
	v_add_nc_u64_e32 v[14:15], v[42:43], v[14:15]
.LBB358_135:
	s_and_not1_saveexec_b32 s2, s2
	s_cbranch_execz .LBB358_137
; %bb.136:
	s_wait_dscnt 0x6
	v_add_nc_u64_e32 v[14:15], v[2:3], v[38:39]
.LBB358_137:
	s_or_b32 exec_lo, exec_lo, s2
	s_wait_dscnt 0x6
	s_delay_alu instid0(VALU_DEP_1) | instskip(SKIP_4) | instid1(SALU_CYCLE_1)
	v_lshl_add_u64 v[14:15], v[14:15], 2, s[16:17]
	s_wait_dscnt 0x5
	global_store_b32 v[14:15], v12, off
	s_wait_xcnt 0x0
	s_or_b32 exec_lo, exec_lo, s1
	s_mov_b32 s1, exec_lo
	v_cmpx_gt_u32_e64 s23, v36
	s_cbranch_execnz .LBB358_169
.LBB358_138:
	s_or_b32 exec_lo, exec_lo, s1
	s_delay_alu instid0(SALU_CYCLE_1)
	s_mov_b32 s1, exec_lo
	v_cmpx_gt_u32_e64 s23, v34
	s_cbranch_execz .LBB358_174
.LBB358_139:
	s_mov_b32 s2, exec_lo
                                        ; implicit-def: $vgpr12_vgpr13
	v_cmpx_ge_u32_e64 v34, v16
	s_xor_b32 s2, exec_lo, s2
	s_cbranch_execz .LBB358_141
; %bb.140:
	s_wait_dscnt 0x5
	v_xor_b32_e32 v12, 0xfffffbff, v0
                                        ; implicit-def: $vgpr34_vgpr35
	s_delay_alu instid0(VALU_DEP_1) | instskip(NEXT) | instid1(VALU_DEP_1)
	v_ashrrev_i32_e32 v13, 31, v12
	v_add_nc_u64_e32 v[12:13], v[42:43], v[12:13]
.LBB358_141:
	s_and_not1_saveexec_b32 s2, s2
	s_cbranch_execz .LBB358_143
; %bb.142:
	s_wait_dscnt 0x5
	v_add_nc_u64_e32 v[12:13], v[2:3], v[34:35]
.LBB358_143:
	s_or_b32 exec_lo, exec_lo, s2
	s_wait_dscnt 0x5
	s_delay_alu instid0(VALU_DEP_1) | instskip(SKIP_4) | instid1(SALU_CYCLE_1)
	v_lshl_add_u64 v[12:13], v[12:13], 2, s[16:17]
	s_wait_dscnt 0x4
	global_store_b32 v[12:13], v10, off
	s_wait_xcnt 0x0
	s_or_b32 exec_lo, exec_lo, s1
	s_mov_b32 s1, exec_lo
	v_cmpx_gt_u32_e64 s23, v32
	s_cbranch_execnz .LBB358_175
.LBB358_144:
	s_or_b32 exec_lo, exec_lo, s1
	s_delay_alu instid0(SALU_CYCLE_1)
	s_mov_b32 s1, exec_lo
	v_cmpx_gt_u32_e64 s23, v30
	s_cbranch_execz .LBB358_180
.LBB358_145:
	s_mov_b32 s2, exec_lo
                                        ; implicit-def: $vgpr10_vgpr11
	v_cmpx_ge_u32_e64 v30, v16
	s_xor_b32 s2, exec_lo, s2
	s_cbranch_execz .LBB358_147
; %bb.146:
	s_wait_dscnt 0x4
	v_xor_b32_e32 v10, 0xfffff9ff, v0
                                        ; implicit-def: $vgpr30_vgpr31
	s_delay_alu instid0(VALU_DEP_1) | instskip(NEXT) | instid1(VALU_DEP_1)
	v_ashrrev_i32_e32 v11, 31, v10
	v_add_nc_u64_e32 v[10:11], v[42:43], v[10:11]
.LBB358_147:
	s_and_not1_saveexec_b32 s2, s2
	s_cbranch_execz .LBB358_149
; %bb.148:
	s_wait_dscnt 0x4
	v_add_nc_u64_e32 v[10:11], v[2:3], v[30:31]
.LBB358_149:
	s_or_b32 exec_lo, exec_lo, s2
	s_wait_dscnt 0x4
	s_delay_alu instid0(VALU_DEP_1) | instskip(SKIP_4) | instid1(SALU_CYCLE_1)
	v_lshl_add_u64 v[10:11], v[10:11], 2, s[16:17]
	s_wait_dscnt 0x3
	global_store_b32 v[10:11], v8, off
	s_wait_xcnt 0x0
	s_or_b32 exec_lo, exec_lo, s1
	s_mov_b32 s1, exec_lo
	v_cmpx_gt_u32_e64 s23, v28
	s_cbranch_execnz .LBB358_181
.LBB358_150:
	s_or_b32 exec_lo, exec_lo, s1
	s_delay_alu instid0(SALU_CYCLE_1)
	s_mov_b32 s1, exec_lo
	v_cmpx_gt_u32_e64 s23, v26
	s_cbranch_execz .LBB358_186
.LBB358_151:
	s_mov_b32 s2, exec_lo
                                        ; implicit-def: $vgpr8_vgpr9
	v_cmpx_ge_u32_e64 v26, v16
	s_xor_b32 s2, exec_lo, s2
	s_cbranch_execz .LBB358_153
; %bb.152:
	s_wait_dscnt 0x3
	v_xor_b32_e32 v8, 0xfffff7ff, v0
                                        ; implicit-def: $vgpr26_vgpr27
	s_delay_alu instid0(VALU_DEP_1) | instskip(NEXT) | instid1(VALU_DEP_1)
	v_ashrrev_i32_e32 v9, 31, v8
	v_add_nc_u64_e32 v[8:9], v[42:43], v[8:9]
.LBB358_153:
	s_and_not1_saveexec_b32 s2, s2
	s_cbranch_execz .LBB358_155
; %bb.154:
	s_wait_dscnt 0x3
	v_add_nc_u64_e32 v[8:9], v[2:3], v[26:27]
.LBB358_155:
	s_or_b32 exec_lo, exec_lo, s2
	s_wait_dscnt 0x3
	s_delay_alu instid0(VALU_DEP_1) | instskip(SKIP_4) | instid1(SALU_CYCLE_1)
	v_lshl_add_u64 v[8:9], v[8:9], 2, s[16:17]
	s_wait_dscnt 0x2
	global_store_b32 v[8:9], v6, off
	s_wait_xcnt 0x0
	s_or_b32 exec_lo, exec_lo, s1
	s_mov_b32 s1, exec_lo
	v_cmpx_gt_u32_e64 s23, v24
	s_cbranch_execnz .LBB358_187
.LBB358_156:
	s_or_b32 exec_lo, exec_lo, s1
	s_delay_alu instid0(SALU_CYCLE_1)
	s_mov_b32 s1, exec_lo
	v_cmpx_gt_u32_e64 s23, v22
	s_cbranch_execz .LBB358_192
.LBB358_157:
	s_mov_b32 s2, exec_lo
                                        ; implicit-def: $vgpr6_vgpr7
	v_cmpx_ge_u32_e64 v22, v16
	s_xor_b32 s2, exec_lo, s2
	s_cbranch_execz .LBB358_159
; %bb.158:
	s_wait_dscnt 0x2
	v_xor_b32_e32 v6, 0xfffff5ff, v0
                                        ; implicit-def: $vgpr22_vgpr23
	s_delay_alu instid0(VALU_DEP_1) | instskip(NEXT) | instid1(VALU_DEP_1)
	v_ashrrev_i32_e32 v7, 31, v6
	v_add_nc_u64_e32 v[6:7], v[42:43], v[6:7]
.LBB358_159:
	s_and_not1_saveexec_b32 s2, s2
	s_cbranch_execz .LBB358_161
; %bb.160:
	s_wait_dscnt 0x2
	v_add_nc_u64_e32 v[6:7], v[2:3], v[22:23]
.LBB358_161:
	s_or_b32 exec_lo, exec_lo, s2
	s_wait_dscnt 0x2
	s_delay_alu instid0(VALU_DEP_1) | instskip(SKIP_4) | instid1(SALU_CYCLE_1)
	v_lshl_add_u64 v[6:7], v[6:7], 2, s[16:17]
	s_wait_dscnt 0x1
	global_store_b32 v[6:7], v4, off
	s_wait_xcnt 0x0
	s_or_b32 exec_lo, exec_lo, s1
	s_mov_b32 s1, exec_lo
	v_cmpx_gt_u32_e64 s23, v20
	s_cbranch_execz .LBB358_198
	s_branch .LBB358_193
.LBB358_162:
	s_or_b32 exec_lo, exec_lo, s1
	s_delay_alu instid0(SALU_CYCLE_1)
	s_mov_b32 s1, exec_lo
	v_cmpx_gt_u32_e64 s23, v40
	s_cbranch_execz .LBB358_132
.LBB358_163:
	s_mov_b32 s2, exec_lo
                                        ; implicit-def: $vgpr44_vgpr45
	v_cmpx_ge_u32_e64 v40, v16
	s_xor_b32 s2, exec_lo, s2
; %bb.164:
	v_xor_b32_e32 v40, 0xfffffeff, v0
	s_delay_alu instid0(VALU_DEP_1) | instskip(NEXT) | instid1(VALU_DEP_1)
	v_ashrrev_i32_e32 v41, 31, v40
	v_add_nc_u64_e32 v[44:45], v[42:43], v[40:41]
                                        ; implicit-def: $vgpr40_vgpr41
; %bb.165:
	s_and_not1_saveexec_b32 s2, s2
; %bb.166:
	v_add_nc_u64_e32 v[44:45], v[2:3], v[40:41]
; %bb.167:
	s_or_b32 exec_lo, exec_lo, s2
	s_delay_alu instid0(VALU_DEP_1) | instskip(SKIP_4) | instid1(SALU_CYCLE_1)
	v_lshl_add_u64 v[40:41], v[44:45], 2, s[16:17]
	s_wait_dscnt 0x6
	global_store_b32 v[40:41], v15, off
	s_wait_xcnt 0x0
	s_or_b32 exec_lo, exec_lo, s1
	s_mov_b32 s1, exec_lo
	v_cmpx_gt_u32_e64 s23, v38
	s_cbranch_execnz .LBB358_133
.LBB358_168:
	s_or_b32 exec_lo, exec_lo, s1
	s_delay_alu instid0(SALU_CYCLE_1)
	s_mov_b32 s1, exec_lo
	v_cmpx_gt_u32_e64 s23, v36
	s_cbranch_execz .LBB358_138
.LBB358_169:
	s_mov_b32 s2, exec_lo
                                        ; implicit-def: $vgpr14_vgpr15
	v_cmpx_ge_u32_e64 v36, v16
	s_xor_b32 s2, exec_lo, s2
	s_cbranch_execz .LBB358_171
; %bb.170:
	s_wait_dscnt 0x6
	v_xor_b32_e32 v14, 0xfffffcff, v0
                                        ; implicit-def: $vgpr36_vgpr37
	s_delay_alu instid0(VALU_DEP_1) | instskip(NEXT) | instid1(VALU_DEP_1)
	v_ashrrev_i32_e32 v15, 31, v14
	v_add_nc_u64_e32 v[14:15], v[42:43], v[14:15]
.LBB358_171:
	s_and_not1_saveexec_b32 s2, s2
	s_cbranch_execz .LBB358_173
; %bb.172:
	s_wait_dscnt 0x6
	v_add_nc_u64_e32 v[14:15], v[2:3], v[36:37]
.LBB358_173:
	s_or_b32 exec_lo, exec_lo, s2
	s_wait_dscnt 0x6
	s_delay_alu instid0(VALU_DEP_1) | instskip(SKIP_4) | instid1(SALU_CYCLE_1)
	v_lshl_add_u64 v[14:15], v[14:15], 2, s[16:17]
	s_wait_dscnt 0x5
	global_store_b32 v[14:15], v13, off
	s_wait_xcnt 0x0
	s_or_b32 exec_lo, exec_lo, s1
	s_mov_b32 s1, exec_lo
	v_cmpx_gt_u32_e64 s23, v34
	s_cbranch_execnz .LBB358_139
.LBB358_174:
	s_or_b32 exec_lo, exec_lo, s1
	s_delay_alu instid0(SALU_CYCLE_1)
	s_mov_b32 s1, exec_lo
	v_cmpx_gt_u32_e64 s23, v32
	s_cbranch_execz .LBB358_144
.LBB358_175:
	s_mov_b32 s2, exec_lo
                                        ; implicit-def: $vgpr12_vgpr13
	v_cmpx_ge_u32_e64 v32, v16
	s_xor_b32 s2, exec_lo, s2
	s_cbranch_execz .LBB358_177
; %bb.176:
	s_wait_dscnt 0x5
	v_xor_b32_e32 v12, 0xfffffaff, v0
                                        ; implicit-def: $vgpr32_vgpr33
	s_delay_alu instid0(VALU_DEP_1) | instskip(NEXT) | instid1(VALU_DEP_1)
	v_ashrrev_i32_e32 v13, 31, v12
	v_add_nc_u64_e32 v[12:13], v[42:43], v[12:13]
.LBB358_177:
	s_and_not1_saveexec_b32 s2, s2
	s_cbranch_execz .LBB358_179
; %bb.178:
	s_wait_dscnt 0x5
	v_add_nc_u64_e32 v[12:13], v[2:3], v[32:33]
.LBB358_179:
	s_or_b32 exec_lo, exec_lo, s2
	s_wait_dscnt 0x5
	s_delay_alu instid0(VALU_DEP_1) | instskip(SKIP_4) | instid1(SALU_CYCLE_1)
	v_lshl_add_u64 v[12:13], v[12:13], 2, s[16:17]
	s_wait_dscnt 0x4
	global_store_b32 v[12:13], v11, off
	s_wait_xcnt 0x0
	s_or_b32 exec_lo, exec_lo, s1
	s_mov_b32 s1, exec_lo
	v_cmpx_gt_u32_e64 s23, v30
	s_cbranch_execnz .LBB358_145
.LBB358_180:
	s_or_b32 exec_lo, exec_lo, s1
	s_delay_alu instid0(SALU_CYCLE_1)
	s_mov_b32 s1, exec_lo
	v_cmpx_gt_u32_e64 s23, v28
	s_cbranch_execz .LBB358_150
.LBB358_181:
	s_mov_b32 s2, exec_lo
                                        ; implicit-def: $vgpr10_vgpr11
	v_cmpx_ge_u32_e64 v28, v16
	s_xor_b32 s2, exec_lo, s2
	s_cbranch_execz .LBB358_183
; %bb.182:
	s_wait_dscnt 0x4
	v_xor_b32_e32 v10, 0xfffff8ff, v0
                                        ; implicit-def: $vgpr28_vgpr29
	s_delay_alu instid0(VALU_DEP_1) | instskip(NEXT) | instid1(VALU_DEP_1)
	v_ashrrev_i32_e32 v11, 31, v10
	v_add_nc_u64_e32 v[10:11], v[42:43], v[10:11]
.LBB358_183:
	s_and_not1_saveexec_b32 s2, s2
	s_cbranch_execz .LBB358_185
; %bb.184:
	s_wait_dscnt 0x4
	v_add_nc_u64_e32 v[10:11], v[2:3], v[28:29]
.LBB358_185:
	s_or_b32 exec_lo, exec_lo, s2
	s_wait_dscnt 0x4
	s_delay_alu instid0(VALU_DEP_1) | instskip(SKIP_4) | instid1(SALU_CYCLE_1)
	v_lshl_add_u64 v[10:11], v[10:11], 2, s[16:17]
	s_wait_dscnt 0x3
	global_store_b32 v[10:11], v9, off
	s_wait_xcnt 0x0
	s_or_b32 exec_lo, exec_lo, s1
	s_mov_b32 s1, exec_lo
	v_cmpx_gt_u32_e64 s23, v26
	s_cbranch_execnz .LBB358_151
.LBB358_186:
	s_or_b32 exec_lo, exec_lo, s1
	s_delay_alu instid0(SALU_CYCLE_1)
	s_mov_b32 s1, exec_lo
	v_cmpx_gt_u32_e64 s23, v24
	s_cbranch_execz .LBB358_156
.LBB358_187:
	s_mov_b32 s2, exec_lo
                                        ; implicit-def: $vgpr8_vgpr9
	v_cmpx_ge_u32_e64 v24, v16
	s_xor_b32 s2, exec_lo, s2
	s_cbranch_execz .LBB358_189
; %bb.188:
	s_wait_dscnt 0x3
	v_xor_b32_e32 v8, 0xfffff6ff, v0
                                        ; implicit-def: $vgpr24_vgpr25
	s_delay_alu instid0(VALU_DEP_1) | instskip(NEXT) | instid1(VALU_DEP_1)
	v_ashrrev_i32_e32 v9, 31, v8
	v_add_nc_u64_e32 v[8:9], v[42:43], v[8:9]
.LBB358_189:
	s_and_not1_saveexec_b32 s2, s2
	s_cbranch_execz .LBB358_191
; %bb.190:
	s_wait_dscnt 0x3
	v_add_nc_u64_e32 v[8:9], v[2:3], v[24:25]
.LBB358_191:
	s_or_b32 exec_lo, exec_lo, s2
	s_wait_dscnt 0x3
	s_delay_alu instid0(VALU_DEP_1) | instskip(SKIP_4) | instid1(SALU_CYCLE_1)
	v_lshl_add_u64 v[8:9], v[8:9], 2, s[16:17]
	s_wait_dscnt 0x2
	global_store_b32 v[8:9], v7, off
	s_wait_xcnt 0x0
	s_or_b32 exec_lo, exec_lo, s1
	s_mov_b32 s1, exec_lo
	v_cmpx_gt_u32_e64 s23, v22
	s_cbranch_execnz .LBB358_157
.LBB358_192:
	s_or_b32 exec_lo, exec_lo, s1
	s_delay_alu instid0(SALU_CYCLE_1)
	s_mov_b32 s1, exec_lo
	v_cmpx_gt_u32_e64 s23, v20
	s_cbranch_execz .LBB358_198
.LBB358_193:
	s_mov_b32 s2, exec_lo
                                        ; implicit-def: $vgpr6_vgpr7
	v_cmpx_ge_u32_e64 v20, v16
	s_xor_b32 s2, exec_lo, s2
	s_cbranch_execz .LBB358_195
; %bb.194:
	s_wait_dscnt 0x2
	v_xor_b32_e32 v6, 0xfffff4ff, v0
                                        ; implicit-def: $vgpr20_vgpr21
	s_delay_alu instid0(VALU_DEP_1) | instskip(NEXT) | instid1(VALU_DEP_1)
	v_ashrrev_i32_e32 v7, 31, v6
	v_add_nc_u64_e32 v[6:7], v[42:43], v[6:7]
.LBB358_195:
	s_and_not1_saveexec_b32 s2, s2
	s_cbranch_execz .LBB358_197
; %bb.196:
	s_wait_dscnt 0x2
	v_add_nc_u64_e32 v[6:7], v[2:3], v[20:21]
.LBB358_197:
	s_or_b32 exec_lo, exec_lo, s2
	s_wait_dscnt 0x2
	s_delay_alu instid0(VALU_DEP_1)
	v_lshl_add_u64 v[6:7], v[6:7], 2, s[16:17]
	s_wait_dscnt 0x1
	global_store_b32 v[6:7], v5, off
.LBB358_198:
	s_wait_xcnt 0x0
	s_or_b32 exec_lo, exec_lo, s1
	s_delay_alu instid0(SALU_CYCLE_1)
	s_mov_b32 s1, exec_lo
                                        ; implicit-def: $vgpr44_vgpr45
	v_cmpx_gt_u32_e64 s23, v18
	s_cbranch_execz .LBB358_204
; %bb.199:
	s_mov_b32 s2, exec_lo
                                        ; implicit-def: $vgpr44_vgpr45
	v_cmpx_ge_u32_e64 v18, v16
	s_xor_b32 s2, exec_lo, s2
	s_cbranch_execz .LBB358_201
; %bb.200:
	s_wait_dscnt 0x1
	v_xor_b32_e32 v4, 0xfffff3ff, v0
                                        ; implicit-def: $vgpr18_vgpr19
	s_delay_alu instid0(VALU_DEP_1) | instskip(NEXT) | instid1(VALU_DEP_1)
	v_ashrrev_i32_e32 v5, 31, v4
	v_add_nc_u64_e32 v[44:45], v[42:43], v[4:5]
.LBB358_201:
	s_and_not1_saveexec_b32 s2, s2
; %bb.202:
	v_add_nc_u64_e32 v[44:45], v[2:3], v[18:19]
; %bb.203:
	s_or_b32 exec_lo, exec_lo, s2
	s_delay_alu instid0(SALU_CYCLE_1)
	s_or_b32 s0, s0, exec_lo
.LBB358_204:
	s_or_b32 exec_lo, exec_lo, s1
.LBB358_205:
	s_and_saveexec_b32 s1, s0
	s_cbranch_execz .LBB358_207
; %bb.206:
	s_wait_dscnt 0x1
	v_lshl_add_u64 v[4:5], v[44:45], 2, s[16:17]
	s_wait_dscnt 0x0
	global_store_b32 v[4:5], v46, off
.LBB358_207:
	s_wait_xcnt 0x0
	s_or_b32 exec_lo, exec_lo, s1
	v_cmp_eq_u32_e32 vcc_lo, 0, v0
	s_and_b32 s0, vcc_lo, s22
	s_delay_alu instid0(SALU_CYCLE_1)
	s_and_saveexec_b32 s1, s0
	s_cbranch_execz .LBB358_209
; %bb.208:
	v_mov_b32_e32 v17, 0
	s_delay_alu instid0(VALU_DEP_1)
	v_add_nc_u64_e32 v[0:1], v[2:3], v[16:17]
	global_store_b64 v17, v[0:1], s[8:9]
.LBB358_209:
	s_sendmsg sendmsg(MSG_DEALLOC_VGPRS)
	s_endpgm
	.section	.rodata,"a",@progbits
	.p2align	6, 0x0
	.amdhsa_kernel _ZN7rocprim17ROCPRIM_400000_NS6detail17trampoline_kernelINS0_13select_configILj256ELj13ELNS0_17block_load_methodE3ELS4_3ELS4_3ELNS0_20block_scan_algorithmE0ELj4294967295EEENS1_25partition_config_selectorILNS1_17partition_subalgoE3EjNS0_10empty_typeEbEEZZNS1_14partition_implILS8_3ELb0ES6_jNS0_17counting_iteratorIjlEEPS9_SE_NS0_5tupleIJPjSE_EEENSF_IJSE_SE_EEES9_SG_JZNS1_25segmented_radix_sort_implINS0_14default_configELb0EPKaPaPKlPlN2at6native12_GLOBAL__N_18offset_tEEE10hipError_tPvRmT1_PNSt15iterator_traitsISY_E10value_typeET2_T3_PNSZ_IS14_E10value_typeET4_jRbjT5_S1A_jjP12ihipStream_tbEUljE_EEESV_SW_SX_S14_S18_S1A_T6_T7_T9_mT8_S1C_bDpT10_ENKUlT_T0_E_clISt17integral_constantIbLb0EES1P_EEDaS1K_S1L_EUlS1K_E_NS1_11comp_targetILNS1_3genE0ELNS1_11target_archE4294967295ELNS1_3gpuE0ELNS1_3repE0EEENS1_30default_config_static_selectorELNS0_4arch9wavefront6targetE0EEEvSY_
		.amdhsa_group_segment_fixed_size 13320
		.amdhsa_private_segment_fixed_size 0
		.amdhsa_kernarg_size 144
		.amdhsa_user_sgpr_count 2
		.amdhsa_user_sgpr_dispatch_ptr 0
		.amdhsa_user_sgpr_queue_ptr 0
		.amdhsa_user_sgpr_kernarg_segment_ptr 1
		.amdhsa_user_sgpr_dispatch_id 0
		.amdhsa_user_sgpr_kernarg_preload_length 0
		.amdhsa_user_sgpr_kernarg_preload_offset 0
		.amdhsa_user_sgpr_private_segment_size 0
		.amdhsa_wavefront_size32 1
		.amdhsa_uses_dynamic_stack 0
		.amdhsa_enable_private_segment 0
		.amdhsa_system_sgpr_workgroup_id_x 1
		.amdhsa_system_sgpr_workgroup_id_y 0
		.amdhsa_system_sgpr_workgroup_id_z 0
		.amdhsa_system_sgpr_workgroup_info 0
		.amdhsa_system_vgpr_workitem_id 0
		.amdhsa_next_free_vgpr 69
		.amdhsa_next_free_sgpr 26
		.amdhsa_named_barrier_count 0
		.amdhsa_reserve_vcc 1
		.amdhsa_float_round_mode_32 0
		.amdhsa_float_round_mode_16_64 0
		.amdhsa_float_denorm_mode_32 3
		.amdhsa_float_denorm_mode_16_64 3
		.amdhsa_fp16_overflow 0
		.amdhsa_memory_ordered 1
		.amdhsa_forward_progress 1
		.amdhsa_inst_pref_size 70
		.amdhsa_round_robin_scheduling 0
		.amdhsa_exception_fp_ieee_invalid_op 0
		.amdhsa_exception_fp_denorm_src 0
		.amdhsa_exception_fp_ieee_div_zero 0
		.amdhsa_exception_fp_ieee_overflow 0
		.amdhsa_exception_fp_ieee_underflow 0
		.amdhsa_exception_fp_ieee_inexact 0
		.amdhsa_exception_int_div_zero 0
	.end_amdhsa_kernel
	.section	.text._ZN7rocprim17ROCPRIM_400000_NS6detail17trampoline_kernelINS0_13select_configILj256ELj13ELNS0_17block_load_methodE3ELS4_3ELS4_3ELNS0_20block_scan_algorithmE0ELj4294967295EEENS1_25partition_config_selectorILNS1_17partition_subalgoE3EjNS0_10empty_typeEbEEZZNS1_14partition_implILS8_3ELb0ES6_jNS0_17counting_iteratorIjlEEPS9_SE_NS0_5tupleIJPjSE_EEENSF_IJSE_SE_EEES9_SG_JZNS1_25segmented_radix_sort_implINS0_14default_configELb0EPKaPaPKlPlN2at6native12_GLOBAL__N_18offset_tEEE10hipError_tPvRmT1_PNSt15iterator_traitsISY_E10value_typeET2_T3_PNSZ_IS14_E10value_typeET4_jRbjT5_S1A_jjP12ihipStream_tbEUljE_EEESV_SW_SX_S14_S18_S1A_T6_T7_T9_mT8_S1C_bDpT10_ENKUlT_T0_E_clISt17integral_constantIbLb0EES1P_EEDaS1K_S1L_EUlS1K_E_NS1_11comp_targetILNS1_3genE0ELNS1_11target_archE4294967295ELNS1_3gpuE0ELNS1_3repE0EEENS1_30default_config_static_selectorELNS0_4arch9wavefront6targetE0EEEvSY_,"axG",@progbits,_ZN7rocprim17ROCPRIM_400000_NS6detail17trampoline_kernelINS0_13select_configILj256ELj13ELNS0_17block_load_methodE3ELS4_3ELS4_3ELNS0_20block_scan_algorithmE0ELj4294967295EEENS1_25partition_config_selectorILNS1_17partition_subalgoE3EjNS0_10empty_typeEbEEZZNS1_14partition_implILS8_3ELb0ES6_jNS0_17counting_iteratorIjlEEPS9_SE_NS0_5tupleIJPjSE_EEENSF_IJSE_SE_EEES9_SG_JZNS1_25segmented_radix_sort_implINS0_14default_configELb0EPKaPaPKlPlN2at6native12_GLOBAL__N_18offset_tEEE10hipError_tPvRmT1_PNSt15iterator_traitsISY_E10value_typeET2_T3_PNSZ_IS14_E10value_typeET4_jRbjT5_S1A_jjP12ihipStream_tbEUljE_EEESV_SW_SX_S14_S18_S1A_T6_T7_T9_mT8_S1C_bDpT10_ENKUlT_T0_E_clISt17integral_constantIbLb0EES1P_EEDaS1K_S1L_EUlS1K_E_NS1_11comp_targetILNS1_3genE0ELNS1_11target_archE4294967295ELNS1_3gpuE0ELNS1_3repE0EEENS1_30default_config_static_selectorELNS0_4arch9wavefront6targetE0EEEvSY_,comdat
.Lfunc_end358:
	.size	_ZN7rocprim17ROCPRIM_400000_NS6detail17trampoline_kernelINS0_13select_configILj256ELj13ELNS0_17block_load_methodE3ELS4_3ELS4_3ELNS0_20block_scan_algorithmE0ELj4294967295EEENS1_25partition_config_selectorILNS1_17partition_subalgoE3EjNS0_10empty_typeEbEEZZNS1_14partition_implILS8_3ELb0ES6_jNS0_17counting_iteratorIjlEEPS9_SE_NS0_5tupleIJPjSE_EEENSF_IJSE_SE_EEES9_SG_JZNS1_25segmented_radix_sort_implINS0_14default_configELb0EPKaPaPKlPlN2at6native12_GLOBAL__N_18offset_tEEE10hipError_tPvRmT1_PNSt15iterator_traitsISY_E10value_typeET2_T3_PNSZ_IS14_E10value_typeET4_jRbjT5_S1A_jjP12ihipStream_tbEUljE_EEESV_SW_SX_S14_S18_S1A_T6_T7_T9_mT8_S1C_bDpT10_ENKUlT_T0_E_clISt17integral_constantIbLb0EES1P_EEDaS1K_S1L_EUlS1K_E_NS1_11comp_targetILNS1_3genE0ELNS1_11target_archE4294967295ELNS1_3gpuE0ELNS1_3repE0EEENS1_30default_config_static_selectorELNS0_4arch9wavefront6targetE0EEEvSY_, .Lfunc_end358-_ZN7rocprim17ROCPRIM_400000_NS6detail17trampoline_kernelINS0_13select_configILj256ELj13ELNS0_17block_load_methodE3ELS4_3ELS4_3ELNS0_20block_scan_algorithmE0ELj4294967295EEENS1_25partition_config_selectorILNS1_17partition_subalgoE3EjNS0_10empty_typeEbEEZZNS1_14partition_implILS8_3ELb0ES6_jNS0_17counting_iteratorIjlEEPS9_SE_NS0_5tupleIJPjSE_EEENSF_IJSE_SE_EEES9_SG_JZNS1_25segmented_radix_sort_implINS0_14default_configELb0EPKaPaPKlPlN2at6native12_GLOBAL__N_18offset_tEEE10hipError_tPvRmT1_PNSt15iterator_traitsISY_E10value_typeET2_T3_PNSZ_IS14_E10value_typeET4_jRbjT5_S1A_jjP12ihipStream_tbEUljE_EEESV_SW_SX_S14_S18_S1A_T6_T7_T9_mT8_S1C_bDpT10_ENKUlT_T0_E_clISt17integral_constantIbLb0EES1P_EEDaS1K_S1L_EUlS1K_E_NS1_11comp_targetILNS1_3genE0ELNS1_11target_archE4294967295ELNS1_3gpuE0ELNS1_3repE0EEENS1_30default_config_static_selectorELNS0_4arch9wavefront6targetE0EEEvSY_
                                        ; -- End function
	.set _ZN7rocprim17ROCPRIM_400000_NS6detail17trampoline_kernelINS0_13select_configILj256ELj13ELNS0_17block_load_methodE3ELS4_3ELS4_3ELNS0_20block_scan_algorithmE0ELj4294967295EEENS1_25partition_config_selectorILNS1_17partition_subalgoE3EjNS0_10empty_typeEbEEZZNS1_14partition_implILS8_3ELb0ES6_jNS0_17counting_iteratorIjlEEPS9_SE_NS0_5tupleIJPjSE_EEENSF_IJSE_SE_EEES9_SG_JZNS1_25segmented_radix_sort_implINS0_14default_configELb0EPKaPaPKlPlN2at6native12_GLOBAL__N_18offset_tEEE10hipError_tPvRmT1_PNSt15iterator_traitsISY_E10value_typeET2_T3_PNSZ_IS14_E10value_typeET4_jRbjT5_S1A_jjP12ihipStream_tbEUljE_EEESV_SW_SX_S14_S18_S1A_T6_T7_T9_mT8_S1C_bDpT10_ENKUlT_T0_E_clISt17integral_constantIbLb0EES1P_EEDaS1K_S1L_EUlS1K_E_NS1_11comp_targetILNS1_3genE0ELNS1_11target_archE4294967295ELNS1_3gpuE0ELNS1_3repE0EEENS1_30default_config_static_selectorELNS0_4arch9wavefront6targetE0EEEvSY_.num_vgpr, 69
	.set _ZN7rocprim17ROCPRIM_400000_NS6detail17trampoline_kernelINS0_13select_configILj256ELj13ELNS0_17block_load_methodE3ELS4_3ELS4_3ELNS0_20block_scan_algorithmE0ELj4294967295EEENS1_25partition_config_selectorILNS1_17partition_subalgoE3EjNS0_10empty_typeEbEEZZNS1_14partition_implILS8_3ELb0ES6_jNS0_17counting_iteratorIjlEEPS9_SE_NS0_5tupleIJPjSE_EEENSF_IJSE_SE_EEES9_SG_JZNS1_25segmented_radix_sort_implINS0_14default_configELb0EPKaPaPKlPlN2at6native12_GLOBAL__N_18offset_tEEE10hipError_tPvRmT1_PNSt15iterator_traitsISY_E10value_typeET2_T3_PNSZ_IS14_E10value_typeET4_jRbjT5_S1A_jjP12ihipStream_tbEUljE_EEESV_SW_SX_S14_S18_S1A_T6_T7_T9_mT8_S1C_bDpT10_ENKUlT_T0_E_clISt17integral_constantIbLb0EES1P_EEDaS1K_S1L_EUlS1K_E_NS1_11comp_targetILNS1_3genE0ELNS1_11target_archE4294967295ELNS1_3gpuE0ELNS1_3repE0EEENS1_30default_config_static_selectorELNS0_4arch9wavefront6targetE0EEEvSY_.num_agpr, 0
	.set _ZN7rocprim17ROCPRIM_400000_NS6detail17trampoline_kernelINS0_13select_configILj256ELj13ELNS0_17block_load_methodE3ELS4_3ELS4_3ELNS0_20block_scan_algorithmE0ELj4294967295EEENS1_25partition_config_selectorILNS1_17partition_subalgoE3EjNS0_10empty_typeEbEEZZNS1_14partition_implILS8_3ELb0ES6_jNS0_17counting_iteratorIjlEEPS9_SE_NS0_5tupleIJPjSE_EEENSF_IJSE_SE_EEES9_SG_JZNS1_25segmented_radix_sort_implINS0_14default_configELb0EPKaPaPKlPlN2at6native12_GLOBAL__N_18offset_tEEE10hipError_tPvRmT1_PNSt15iterator_traitsISY_E10value_typeET2_T3_PNSZ_IS14_E10value_typeET4_jRbjT5_S1A_jjP12ihipStream_tbEUljE_EEESV_SW_SX_S14_S18_S1A_T6_T7_T9_mT8_S1C_bDpT10_ENKUlT_T0_E_clISt17integral_constantIbLb0EES1P_EEDaS1K_S1L_EUlS1K_E_NS1_11comp_targetILNS1_3genE0ELNS1_11target_archE4294967295ELNS1_3gpuE0ELNS1_3repE0EEENS1_30default_config_static_selectorELNS0_4arch9wavefront6targetE0EEEvSY_.numbered_sgpr, 26
	.set _ZN7rocprim17ROCPRIM_400000_NS6detail17trampoline_kernelINS0_13select_configILj256ELj13ELNS0_17block_load_methodE3ELS4_3ELS4_3ELNS0_20block_scan_algorithmE0ELj4294967295EEENS1_25partition_config_selectorILNS1_17partition_subalgoE3EjNS0_10empty_typeEbEEZZNS1_14partition_implILS8_3ELb0ES6_jNS0_17counting_iteratorIjlEEPS9_SE_NS0_5tupleIJPjSE_EEENSF_IJSE_SE_EEES9_SG_JZNS1_25segmented_radix_sort_implINS0_14default_configELb0EPKaPaPKlPlN2at6native12_GLOBAL__N_18offset_tEEE10hipError_tPvRmT1_PNSt15iterator_traitsISY_E10value_typeET2_T3_PNSZ_IS14_E10value_typeET4_jRbjT5_S1A_jjP12ihipStream_tbEUljE_EEESV_SW_SX_S14_S18_S1A_T6_T7_T9_mT8_S1C_bDpT10_ENKUlT_T0_E_clISt17integral_constantIbLb0EES1P_EEDaS1K_S1L_EUlS1K_E_NS1_11comp_targetILNS1_3genE0ELNS1_11target_archE4294967295ELNS1_3gpuE0ELNS1_3repE0EEENS1_30default_config_static_selectorELNS0_4arch9wavefront6targetE0EEEvSY_.num_named_barrier, 0
	.set _ZN7rocprim17ROCPRIM_400000_NS6detail17trampoline_kernelINS0_13select_configILj256ELj13ELNS0_17block_load_methodE3ELS4_3ELS4_3ELNS0_20block_scan_algorithmE0ELj4294967295EEENS1_25partition_config_selectorILNS1_17partition_subalgoE3EjNS0_10empty_typeEbEEZZNS1_14partition_implILS8_3ELb0ES6_jNS0_17counting_iteratorIjlEEPS9_SE_NS0_5tupleIJPjSE_EEENSF_IJSE_SE_EEES9_SG_JZNS1_25segmented_radix_sort_implINS0_14default_configELb0EPKaPaPKlPlN2at6native12_GLOBAL__N_18offset_tEEE10hipError_tPvRmT1_PNSt15iterator_traitsISY_E10value_typeET2_T3_PNSZ_IS14_E10value_typeET4_jRbjT5_S1A_jjP12ihipStream_tbEUljE_EEESV_SW_SX_S14_S18_S1A_T6_T7_T9_mT8_S1C_bDpT10_ENKUlT_T0_E_clISt17integral_constantIbLb0EES1P_EEDaS1K_S1L_EUlS1K_E_NS1_11comp_targetILNS1_3genE0ELNS1_11target_archE4294967295ELNS1_3gpuE0ELNS1_3repE0EEENS1_30default_config_static_selectorELNS0_4arch9wavefront6targetE0EEEvSY_.private_seg_size, 0
	.set _ZN7rocprim17ROCPRIM_400000_NS6detail17trampoline_kernelINS0_13select_configILj256ELj13ELNS0_17block_load_methodE3ELS4_3ELS4_3ELNS0_20block_scan_algorithmE0ELj4294967295EEENS1_25partition_config_selectorILNS1_17partition_subalgoE3EjNS0_10empty_typeEbEEZZNS1_14partition_implILS8_3ELb0ES6_jNS0_17counting_iteratorIjlEEPS9_SE_NS0_5tupleIJPjSE_EEENSF_IJSE_SE_EEES9_SG_JZNS1_25segmented_radix_sort_implINS0_14default_configELb0EPKaPaPKlPlN2at6native12_GLOBAL__N_18offset_tEEE10hipError_tPvRmT1_PNSt15iterator_traitsISY_E10value_typeET2_T3_PNSZ_IS14_E10value_typeET4_jRbjT5_S1A_jjP12ihipStream_tbEUljE_EEESV_SW_SX_S14_S18_S1A_T6_T7_T9_mT8_S1C_bDpT10_ENKUlT_T0_E_clISt17integral_constantIbLb0EES1P_EEDaS1K_S1L_EUlS1K_E_NS1_11comp_targetILNS1_3genE0ELNS1_11target_archE4294967295ELNS1_3gpuE0ELNS1_3repE0EEENS1_30default_config_static_selectorELNS0_4arch9wavefront6targetE0EEEvSY_.uses_vcc, 1
	.set _ZN7rocprim17ROCPRIM_400000_NS6detail17trampoline_kernelINS0_13select_configILj256ELj13ELNS0_17block_load_methodE3ELS4_3ELS4_3ELNS0_20block_scan_algorithmE0ELj4294967295EEENS1_25partition_config_selectorILNS1_17partition_subalgoE3EjNS0_10empty_typeEbEEZZNS1_14partition_implILS8_3ELb0ES6_jNS0_17counting_iteratorIjlEEPS9_SE_NS0_5tupleIJPjSE_EEENSF_IJSE_SE_EEES9_SG_JZNS1_25segmented_radix_sort_implINS0_14default_configELb0EPKaPaPKlPlN2at6native12_GLOBAL__N_18offset_tEEE10hipError_tPvRmT1_PNSt15iterator_traitsISY_E10value_typeET2_T3_PNSZ_IS14_E10value_typeET4_jRbjT5_S1A_jjP12ihipStream_tbEUljE_EEESV_SW_SX_S14_S18_S1A_T6_T7_T9_mT8_S1C_bDpT10_ENKUlT_T0_E_clISt17integral_constantIbLb0EES1P_EEDaS1K_S1L_EUlS1K_E_NS1_11comp_targetILNS1_3genE0ELNS1_11target_archE4294967295ELNS1_3gpuE0ELNS1_3repE0EEENS1_30default_config_static_selectorELNS0_4arch9wavefront6targetE0EEEvSY_.uses_flat_scratch, 0
	.set _ZN7rocprim17ROCPRIM_400000_NS6detail17trampoline_kernelINS0_13select_configILj256ELj13ELNS0_17block_load_methodE3ELS4_3ELS4_3ELNS0_20block_scan_algorithmE0ELj4294967295EEENS1_25partition_config_selectorILNS1_17partition_subalgoE3EjNS0_10empty_typeEbEEZZNS1_14partition_implILS8_3ELb0ES6_jNS0_17counting_iteratorIjlEEPS9_SE_NS0_5tupleIJPjSE_EEENSF_IJSE_SE_EEES9_SG_JZNS1_25segmented_radix_sort_implINS0_14default_configELb0EPKaPaPKlPlN2at6native12_GLOBAL__N_18offset_tEEE10hipError_tPvRmT1_PNSt15iterator_traitsISY_E10value_typeET2_T3_PNSZ_IS14_E10value_typeET4_jRbjT5_S1A_jjP12ihipStream_tbEUljE_EEESV_SW_SX_S14_S18_S1A_T6_T7_T9_mT8_S1C_bDpT10_ENKUlT_T0_E_clISt17integral_constantIbLb0EES1P_EEDaS1K_S1L_EUlS1K_E_NS1_11comp_targetILNS1_3genE0ELNS1_11target_archE4294967295ELNS1_3gpuE0ELNS1_3repE0EEENS1_30default_config_static_selectorELNS0_4arch9wavefront6targetE0EEEvSY_.has_dyn_sized_stack, 0
	.set _ZN7rocprim17ROCPRIM_400000_NS6detail17trampoline_kernelINS0_13select_configILj256ELj13ELNS0_17block_load_methodE3ELS4_3ELS4_3ELNS0_20block_scan_algorithmE0ELj4294967295EEENS1_25partition_config_selectorILNS1_17partition_subalgoE3EjNS0_10empty_typeEbEEZZNS1_14partition_implILS8_3ELb0ES6_jNS0_17counting_iteratorIjlEEPS9_SE_NS0_5tupleIJPjSE_EEENSF_IJSE_SE_EEES9_SG_JZNS1_25segmented_radix_sort_implINS0_14default_configELb0EPKaPaPKlPlN2at6native12_GLOBAL__N_18offset_tEEE10hipError_tPvRmT1_PNSt15iterator_traitsISY_E10value_typeET2_T3_PNSZ_IS14_E10value_typeET4_jRbjT5_S1A_jjP12ihipStream_tbEUljE_EEESV_SW_SX_S14_S18_S1A_T6_T7_T9_mT8_S1C_bDpT10_ENKUlT_T0_E_clISt17integral_constantIbLb0EES1P_EEDaS1K_S1L_EUlS1K_E_NS1_11comp_targetILNS1_3genE0ELNS1_11target_archE4294967295ELNS1_3gpuE0ELNS1_3repE0EEENS1_30default_config_static_selectorELNS0_4arch9wavefront6targetE0EEEvSY_.has_recursion, 0
	.set _ZN7rocprim17ROCPRIM_400000_NS6detail17trampoline_kernelINS0_13select_configILj256ELj13ELNS0_17block_load_methodE3ELS4_3ELS4_3ELNS0_20block_scan_algorithmE0ELj4294967295EEENS1_25partition_config_selectorILNS1_17partition_subalgoE3EjNS0_10empty_typeEbEEZZNS1_14partition_implILS8_3ELb0ES6_jNS0_17counting_iteratorIjlEEPS9_SE_NS0_5tupleIJPjSE_EEENSF_IJSE_SE_EEES9_SG_JZNS1_25segmented_radix_sort_implINS0_14default_configELb0EPKaPaPKlPlN2at6native12_GLOBAL__N_18offset_tEEE10hipError_tPvRmT1_PNSt15iterator_traitsISY_E10value_typeET2_T3_PNSZ_IS14_E10value_typeET4_jRbjT5_S1A_jjP12ihipStream_tbEUljE_EEESV_SW_SX_S14_S18_S1A_T6_T7_T9_mT8_S1C_bDpT10_ENKUlT_T0_E_clISt17integral_constantIbLb0EES1P_EEDaS1K_S1L_EUlS1K_E_NS1_11comp_targetILNS1_3genE0ELNS1_11target_archE4294967295ELNS1_3gpuE0ELNS1_3repE0EEENS1_30default_config_static_selectorELNS0_4arch9wavefront6targetE0EEEvSY_.has_indirect_call, 0
	.section	.AMDGPU.csdata,"",@progbits
; Kernel info:
; codeLenInByte = 8920
; TotalNumSgprs: 28
; NumVgprs: 69
; ScratchSize: 0
; MemoryBound: 0
; FloatMode: 240
; IeeeMode: 1
; LDSByteSize: 13320 bytes/workgroup (compile time only)
; SGPRBlocks: 0
; VGPRBlocks: 4
; NumSGPRsForWavesPerEU: 28
; NumVGPRsForWavesPerEU: 69
; NamedBarCnt: 0
; Occupancy: 12
; WaveLimiterHint : 0
; COMPUTE_PGM_RSRC2:SCRATCH_EN: 0
; COMPUTE_PGM_RSRC2:USER_SGPR: 2
; COMPUTE_PGM_RSRC2:TRAP_HANDLER: 0
; COMPUTE_PGM_RSRC2:TGID_X_EN: 1
; COMPUTE_PGM_RSRC2:TGID_Y_EN: 0
; COMPUTE_PGM_RSRC2:TGID_Z_EN: 0
; COMPUTE_PGM_RSRC2:TIDIG_COMP_CNT: 0
	.section	.text._ZN7rocprim17ROCPRIM_400000_NS6detail17trampoline_kernelINS0_13select_configILj256ELj13ELNS0_17block_load_methodE3ELS4_3ELS4_3ELNS0_20block_scan_algorithmE0ELj4294967295EEENS1_25partition_config_selectorILNS1_17partition_subalgoE3EjNS0_10empty_typeEbEEZZNS1_14partition_implILS8_3ELb0ES6_jNS0_17counting_iteratorIjlEEPS9_SE_NS0_5tupleIJPjSE_EEENSF_IJSE_SE_EEES9_SG_JZNS1_25segmented_radix_sort_implINS0_14default_configELb0EPKaPaPKlPlN2at6native12_GLOBAL__N_18offset_tEEE10hipError_tPvRmT1_PNSt15iterator_traitsISY_E10value_typeET2_T3_PNSZ_IS14_E10value_typeET4_jRbjT5_S1A_jjP12ihipStream_tbEUljE_EEESV_SW_SX_S14_S18_S1A_T6_T7_T9_mT8_S1C_bDpT10_ENKUlT_T0_E_clISt17integral_constantIbLb0EES1P_EEDaS1K_S1L_EUlS1K_E_NS1_11comp_targetILNS1_3genE5ELNS1_11target_archE942ELNS1_3gpuE9ELNS1_3repE0EEENS1_30default_config_static_selectorELNS0_4arch9wavefront6targetE0EEEvSY_,"axG",@progbits,_ZN7rocprim17ROCPRIM_400000_NS6detail17trampoline_kernelINS0_13select_configILj256ELj13ELNS0_17block_load_methodE3ELS4_3ELS4_3ELNS0_20block_scan_algorithmE0ELj4294967295EEENS1_25partition_config_selectorILNS1_17partition_subalgoE3EjNS0_10empty_typeEbEEZZNS1_14partition_implILS8_3ELb0ES6_jNS0_17counting_iteratorIjlEEPS9_SE_NS0_5tupleIJPjSE_EEENSF_IJSE_SE_EEES9_SG_JZNS1_25segmented_radix_sort_implINS0_14default_configELb0EPKaPaPKlPlN2at6native12_GLOBAL__N_18offset_tEEE10hipError_tPvRmT1_PNSt15iterator_traitsISY_E10value_typeET2_T3_PNSZ_IS14_E10value_typeET4_jRbjT5_S1A_jjP12ihipStream_tbEUljE_EEESV_SW_SX_S14_S18_S1A_T6_T7_T9_mT8_S1C_bDpT10_ENKUlT_T0_E_clISt17integral_constantIbLb0EES1P_EEDaS1K_S1L_EUlS1K_E_NS1_11comp_targetILNS1_3genE5ELNS1_11target_archE942ELNS1_3gpuE9ELNS1_3repE0EEENS1_30default_config_static_selectorELNS0_4arch9wavefront6targetE0EEEvSY_,comdat
	.globl	_ZN7rocprim17ROCPRIM_400000_NS6detail17trampoline_kernelINS0_13select_configILj256ELj13ELNS0_17block_load_methodE3ELS4_3ELS4_3ELNS0_20block_scan_algorithmE0ELj4294967295EEENS1_25partition_config_selectorILNS1_17partition_subalgoE3EjNS0_10empty_typeEbEEZZNS1_14partition_implILS8_3ELb0ES6_jNS0_17counting_iteratorIjlEEPS9_SE_NS0_5tupleIJPjSE_EEENSF_IJSE_SE_EEES9_SG_JZNS1_25segmented_radix_sort_implINS0_14default_configELb0EPKaPaPKlPlN2at6native12_GLOBAL__N_18offset_tEEE10hipError_tPvRmT1_PNSt15iterator_traitsISY_E10value_typeET2_T3_PNSZ_IS14_E10value_typeET4_jRbjT5_S1A_jjP12ihipStream_tbEUljE_EEESV_SW_SX_S14_S18_S1A_T6_T7_T9_mT8_S1C_bDpT10_ENKUlT_T0_E_clISt17integral_constantIbLb0EES1P_EEDaS1K_S1L_EUlS1K_E_NS1_11comp_targetILNS1_3genE5ELNS1_11target_archE942ELNS1_3gpuE9ELNS1_3repE0EEENS1_30default_config_static_selectorELNS0_4arch9wavefront6targetE0EEEvSY_ ; -- Begin function _ZN7rocprim17ROCPRIM_400000_NS6detail17trampoline_kernelINS0_13select_configILj256ELj13ELNS0_17block_load_methodE3ELS4_3ELS4_3ELNS0_20block_scan_algorithmE0ELj4294967295EEENS1_25partition_config_selectorILNS1_17partition_subalgoE3EjNS0_10empty_typeEbEEZZNS1_14partition_implILS8_3ELb0ES6_jNS0_17counting_iteratorIjlEEPS9_SE_NS0_5tupleIJPjSE_EEENSF_IJSE_SE_EEES9_SG_JZNS1_25segmented_radix_sort_implINS0_14default_configELb0EPKaPaPKlPlN2at6native12_GLOBAL__N_18offset_tEEE10hipError_tPvRmT1_PNSt15iterator_traitsISY_E10value_typeET2_T3_PNSZ_IS14_E10value_typeET4_jRbjT5_S1A_jjP12ihipStream_tbEUljE_EEESV_SW_SX_S14_S18_S1A_T6_T7_T9_mT8_S1C_bDpT10_ENKUlT_T0_E_clISt17integral_constantIbLb0EES1P_EEDaS1K_S1L_EUlS1K_E_NS1_11comp_targetILNS1_3genE5ELNS1_11target_archE942ELNS1_3gpuE9ELNS1_3repE0EEENS1_30default_config_static_selectorELNS0_4arch9wavefront6targetE0EEEvSY_
	.p2align	8
	.type	_ZN7rocprim17ROCPRIM_400000_NS6detail17trampoline_kernelINS0_13select_configILj256ELj13ELNS0_17block_load_methodE3ELS4_3ELS4_3ELNS0_20block_scan_algorithmE0ELj4294967295EEENS1_25partition_config_selectorILNS1_17partition_subalgoE3EjNS0_10empty_typeEbEEZZNS1_14partition_implILS8_3ELb0ES6_jNS0_17counting_iteratorIjlEEPS9_SE_NS0_5tupleIJPjSE_EEENSF_IJSE_SE_EEES9_SG_JZNS1_25segmented_radix_sort_implINS0_14default_configELb0EPKaPaPKlPlN2at6native12_GLOBAL__N_18offset_tEEE10hipError_tPvRmT1_PNSt15iterator_traitsISY_E10value_typeET2_T3_PNSZ_IS14_E10value_typeET4_jRbjT5_S1A_jjP12ihipStream_tbEUljE_EEESV_SW_SX_S14_S18_S1A_T6_T7_T9_mT8_S1C_bDpT10_ENKUlT_T0_E_clISt17integral_constantIbLb0EES1P_EEDaS1K_S1L_EUlS1K_E_NS1_11comp_targetILNS1_3genE5ELNS1_11target_archE942ELNS1_3gpuE9ELNS1_3repE0EEENS1_30default_config_static_selectorELNS0_4arch9wavefront6targetE0EEEvSY_,@function
_ZN7rocprim17ROCPRIM_400000_NS6detail17trampoline_kernelINS0_13select_configILj256ELj13ELNS0_17block_load_methodE3ELS4_3ELS4_3ELNS0_20block_scan_algorithmE0ELj4294967295EEENS1_25partition_config_selectorILNS1_17partition_subalgoE3EjNS0_10empty_typeEbEEZZNS1_14partition_implILS8_3ELb0ES6_jNS0_17counting_iteratorIjlEEPS9_SE_NS0_5tupleIJPjSE_EEENSF_IJSE_SE_EEES9_SG_JZNS1_25segmented_radix_sort_implINS0_14default_configELb0EPKaPaPKlPlN2at6native12_GLOBAL__N_18offset_tEEE10hipError_tPvRmT1_PNSt15iterator_traitsISY_E10value_typeET2_T3_PNSZ_IS14_E10value_typeET4_jRbjT5_S1A_jjP12ihipStream_tbEUljE_EEESV_SW_SX_S14_S18_S1A_T6_T7_T9_mT8_S1C_bDpT10_ENKUlT_T0_E_clISt17integral_constantIbLb0EES1P_EEDaS1K_S1L_EUlS1K_E_NS1_11comp_targetILNS1_3genE5ELNS1_11target_archE942ELNS1_3gpuE9ELNS1_3repE0EEENS1_30default_config_static_selectorELNS0_4arch9wavefront6targetE0EEEvSY_: ; @_ZN7rocprim17ROCPRIM_400000_NS6detail17trampoline_kernelINS0_13select_configILj256ELj13ELNS0_17block_load_methodE3ELS4_3ELS4_3ELNS0_20block_scan_algorithmE0ELj4294967295EEENS1_25partition_config_selectorILNS1_17partition_subalgoE3EjNS0_10empty_typeEbEEZZNS1_14partition_implILS8_3ELb0ES6_jNS0_17counting_iteratorIjlEEPS9_SE_NS0_5tupleIJPjSE_EEENSF_IJSE_SE_EEES9_SG_JZNS1_25segmented_radix_sort_implINS0_14default_configELb0EPKaPaPKlPlN2at6native12_GLOBAL__N_18offset_tEEE10hipError_tPvRmT1_PNSt15iterator_traitsISY_E10value_typeET2_T3_PNSZ_IS14_E10value_typeET4_jRbjT5_S1A_jjP12ihipStream_tbEUljE_EEESV_SW_SX_S14_S18_S1A_T6_T7_T9_mT8_S1C_bDpT10_ENKUlT_T0_E_clISt17integral_constantIbLb0EES1P_EEDaS1K_S1L_EUlS1K_E_NS1_11comp_targetILNS1_3genE5ELNS1_11target_archE942ELNS1_3gpuE9ELNS1_3repE0EEENS1_30default_config_static_selectorELNS0_4arch9wavefront6targetE0EEEvSY_
; %bb.0:
	.section	.rodata,"a",@progbits
	.p2align	6, 0x0
	.amdhsa_kernel _ZN7rocprim17ROCPRIM_400000_NS6detail17trampoline_kernelINS0_13select_configILj256ELj13ELNS0_17block_load_methodE3ELS4_3ELS4_3ELNS0_20block_scan_algorithmE0ELj4294967295EEENS1_25partition_config_selectorILNS1_17partition_subalgoE3EjNS0_10empty_typeEbEEZZNS1_14partition_implILS8_3ELb0ES6_jNS0_17counting_iteratorIjlEEPS9_SE_NS0_5tupleIJPjSE_EEENSF_IJSE_SE_EEES9_SG_JZNS1_25segmented_radix_sort_implINS0_14default_configELb0EPKaPaPKlPlN2at6native12_GLOBAL__N_18offset_tEEE10hipError_tPvRmT1_PNSt15iterator_traitsISY_E10value_typeET2_T3_PNSZ_IS14_E10value_typeET4_jRbjT5_S1A_jjP12ihipStream_tbEUljE_EEESV_SW_SX_S14_S18_S1A_T6_T7_T9_mT8_S1C_bDpT10_ENKUlT_T0_E_clISt17integral_constantIbLb0EES1P_EEDaS1K_S1L_EUlS1K_E_NS1_11comp_targetILNS1_3genE5ELNS1_11target_archE942ELNS1_3gpuE9ELNS1_3repE0EEENS1_30default_config_static_selectorELNS0_4arch9wavefront6targetE0EEEvSY_
		.amdhsa_group_segment_fixed_size 0
		.amdhsa_private_segment_fixed_size 0
		.amdhsa_kernarg_size 144
		.amdhsa_user_sgpr_count 2
		.amdhsa_user_sgpr_dispatch_ptr 0
		.amdhsa_user_sgpr_queue_ptr 0
		.amdhsa_user_sgpr_kernarg_segment_ptr 1
		.amdhsa_user_sgpr_dispatch_id 0
		.amdhsa_user_sgpr_kernarg_preload_length 0
		.amdhsa_user_sgpr_kernarg_preload_offset 0
		.amdhsa_user_sgpr_private_segment_size 0
		.amdhsa_wavefront_size32 1
		.amdhsa_uses_dynamic_stack 0
		.amdhsa_enable_private_segment 0
		.amdhsa_system_sgpr_workgroup_id_x 1
		.amdhsa_system_sgpr_workgroup_id_y 0
		.amdhsa_system_sgpr_workgroup_id_z 0
		.amdhsa_system_sgpr_workgroup_info 0
		.amdhsa_system_vgpr_workitem_id 0
		.amdhsa_next_free_vgpr 1
		.amdhsa_next_free_sgpr 1
		.amdhsa_named_barrier_count 0
		.amdhsa_reserve_vcc 0
		.amdhsa_float_round_mode_32 0
		.amdhsa_float_round_mode_16_64 0
		.amdhsa_float_denorm_mode_32 3
		.amdhsa_float_denorm_mode_16_64 3
		.amdhsa_fp16_overflow 0
		.amdhsa_memory_ordered 1
		.amdhsa_forward_progress 1
		.amdhsa_inst_pref_size 0
		.amdhsa_round_robin_scheduling 0
		.amdhsa_exception_fp_ieee_invalid_op 0
		.amdhsa_exception_fp_denorm_src 0
		.amdhsa_exception_fp_ieee_div_zero 0
		.amdhsa_exception_fp_ieee_overflow 0
		.amdhsa_exception_fp_ieee_underflow 0
		.amdhsa_exception_fp_ieee_inexact 0
		.amdhsa_exception_int_div_zero 0
	.end_amdhsa_kernel
	.section	.text._ZN7rocprim17ROCPRIM_400000_NS6detail17trampoline_kernelINS0_13select_configILj256ELj13ELNS0_17block_load_methodE3ELS4_3ELS4_3ELNS0_20block_scan_algorithmE0ELj4294967295EEENS1_25partition_config_selectorILNS1_17partition_subalgoE3EjNS0_10empty_typeEbEEZZNS1_14partition_implILS8_3ELb0ES6_jNS0_17counting_iteratorIjlEEPS9_SE_NS0_5tupleIJPjSE_EEENSF_IJSE_SE_EEES9_SG_JZNS1_25segmented_radix_sort_implINS0_14default_configELb0EPKaPaPKlPlN2at6native12_GLOBAL__N_18offset_tEEE10hipError_tPvRmT1_PNSt15iterator_traitsISY_E10value_typeET2_T3_PNSZ_IS14_E10value_typeET4_jRbjT5_S1A_jjP12ihipStream_tbEUljE_EEESV_SW_SX_S14_S18_S1A_T6_T7_T9_mT8_S1C_bDpT10_ENKUlT_T0_E_clISt17integral_constantIbLb0EES1P_EEDaS1K_S1L_EUlS1K_E_NS1_11comp_targetILNS1_3genE5ELNS1_11target_archE942ELNS1_3gpuE9ELNS1_3repE0EEENS1_30default_config_static_selectorELNS0_4arch9wavefront6targetE0EEEvSY_,"axG",@progbits,_ZN7rocprim17ROCPRIM_400000_NS6detail17trampoline_kernelINS0_13select_configILj256ELj13ELNS0_17block_load_methodE3ELS4_3ELS4_3ELNS0_20block_scan_algorithmE0ELj4294967295EEENS1_25partition_config_selectorILNS1_17partition_subalgoE3EjNS0_10empty_typeEbEEZZNS1_14partition_implILS8_3ELb0ES6_jNS0_17counting_iteratorIjlEEPS9_SE_NS0_5tupleIJPjSE_EEENSF_IJSE_SE_EEES9_SG_JZNS1_25segmented_radix_sort_implINS0_14default_configELb0EPKaPaPKlPlN2at6native12_GLOBAL__N_18offset_tEEE10hipError_tPvRmT1_PNSt15iterator_traitsISY_E10value_typeET2_T3_PNSZ_IS14_E10value_typeET4_jRbjT5_S1A_jjP12ihipStream_tbEUljE_EEESV_SW_SX_S14_S18_S1A_T6_T7_T9_mT8_S1C_bDpT10_ENKUlT_T0_E_clISt17integral_constantIbLb0EES1P_EEDaS1K_S1L_EUlS1K_E_NS1_11comp_targetILNS1_3genE5ELNS1_11target_archE942ELNS1_3gpuE9ELNS1_3repE0EEENS1_30default_config_static_selectorELNS0_4arch9wavefront6targetE0EEEvSY_,comdat
.Lfunc_end359:
	.size	_ZN7rocprim17ROCPRIM_400000_NS6detail17trampoline_kernelINS0_13select_configILj256ELj13ELNS0_17block_load_methodE3ELS4_3ELS4_3ELNS0_20block_scan_algorithmE0ELj4294967295EEENS1_25partition_config_selectorILNS1_17partition_subalgoE3EjNS0_10empty_typeEbEEZZNS1_14partition_implILS8_3ELb0ES6_jNS0_17counting_iteratorIjlEEPS9_SE_NS0_5tupleIJPjSE_EEENSF_IJSE_SE_EEES9_SG_JZNS1_25segmented_radix_sort_implINS0_14default_configELb0EPKaPaPKlPlN2at6native12_GLOBAL__N_18offset_tEEE10hipError_tPvRmT1_PNSt15iterator_traitsISY_E10value_typeET2_T3_PNSZ_IS14_E10value_typeET4_jRbjT5_S1A_jjP12ihipStream_tbEUljE_EEESV_SW_SX_S14_S18_S1A_T6_T7_T9_mT8_S1C_bDpT10_ENKUlT_T0_E_clISt17integral_constantIbLb0EES1P_EEDaS1K_S1L_EUlS1K_E_NS1_11comp_targetILNS1_3genE5ELNS1_11target_archE942ELNS1_3gpuE9ELNS1_3repE0EEENS1_30default_config_static_selectorELNS0_4arch9wavefront6targetE0EEEvSY_, .Lfunc_end359-_ZN7rocprim17ROCPRIM_400000_NS6detail17trampoline_kernelINS0_13select_configILj256ELj13ELNS0_17block_load_methodE3ELS4_3ELS4_3ELNS0_20block_scan_algorithmE0ELj4294967295EEENS1_25partition_config_selectorILNS1_17partition_subalgoE3EjNS0_10empty_typeEbEEZZNS1_14partition_implILS8_3ELb0ES6_jNS0_17counting_iteratorIjlEEPS9_SE_NS0_5tupleIJPjSE_EEENSF_IJSE_SE_EEES9_SG_JZNS1_25segmented_radix_sort_implINS0_14default_configELb0EPKaPaPKlPlN2at6native12_GLOBAL__N_18offset_tEEE10hipError_tPvRmT1_PNSt15iterator_traitsISY_E10value_typeET2_T3_PNSZ_IS14_E10value_typeET4_jRbjT5_S1A_jjP12ihipStream_tbEUljE_EEESV_SW_SX_S14_S18_S1A_T6_T7_T9_mT8_S1C_bDpT10_ENKUlT_T0_E_clISt17integral_constantIbLb0EES1P_EEDaS1K_S1L_EUlS1K_E_NS1_11comp_targetILNS1_3genE5ELNS1_11target_archE942ELNS1_3gpuE9ELNS1_3repE0EEENS1_30default_config_static_selectorELNS0_4arch9wavefront6targetE0EEEvSY_
                                        ; -- End function
	.set _ZN7rocprim17ROCPRIM_400000_NS6detail17trampoline_kernelINS0_13select_configILj256ELj13ELNS0_17block_load_methodE3ELS4_3ELS4_3ELNS0_20block_scan_algorithmE0ELj4294967295EEENS1_25partition_config_selectorILNS1_17partition_subalgoE3EjNS0_10empty_typeEbEEZZNS1_14partition_implILS8_3ELb0ES6_jNS0_17counting_iteratorIjlEEPS9_SE_NS0_5tupleIJPjSE_EEENSF_IJSE_SE_EEES9_SG_JZNS1_25segmented_radix_sort_implINS0_14default_configELb0EPKaPaPKlPlN2at6native12_GLOBAL__N_18offset_tEEE10hipError_tPvRmT1_PNSt15iterator_traitsISY_E10value_typeET2_T3_PNSZ_IS14_E10value_typeET4_jRbjT5_S1A_jjP12ihipStream_tbEUljE_EEESV_SW_SX_S14_S18_S1A_T6_T7_T9_mT8_S1C_bDpT10_ENKUlT_T0_E_clISt17integral_constantIbLb0EES1P_EEDaS1K_S1L_EUlS1K_E_NS1_11comp_targetILNS1_3genE5ELNS1_11target_archE942ELNS1_3gpuE9ELNS1_3repE0EEENS1_30default_config_static_selectorELNS0_4arch9wavefront6targetE0EEEvSY_.num_vgpr, 0
	.set _ZN7rocprim17ROCPRIM_400000_NS6detail17trampoline_kernelINS0_13select_configILj256ELj13ELNS0_17block_load_methodE3ELS4_3ELS4_3ELNS0_20block_scan_algorithmE0ELj4294967295EEENS1_25partition_config_selectorILNS1_17partition_subalgoE3EjNS0_10empty_typeEbEEZZNS1_14partition_implILS8_3ELb0ES6_jNS0_17counting_iteratorIjlEEPS9_SE_NS0_5tupleIJPjSE_EEENSF_IJSE_SE_EEES9_SG_JZNS1_25segmented_radix_sort_implINS0_14default_configELb0EPKaPaPKlPlN2at6native12_GLOBAL__N_18offset_tEEE10hipError_tPvRmT1_PNSt15iterator_traitsISY_E10value_typeET2_T3_PNSZ_IS14_E10value_typeET4_jRbjT5_S1A_jjP12ihipStream_tbEUljE_EEESV_SW_SX_S14_S18_S1A_T6_T7_T9_mT8_S1C_bDpT10_ENKUlT_T0_E_clISt17integral_constantIbLb0EES1P_EEDaS1K_S1L_EUlS1K_E_NS1_11comp_targetILNS1_3genE5ELNS1_11target_archE942ELNS1_3gpuE9ELNS1_3repE0EEENS1_30default_config_static_selectorELNS0_4arch9wavefront6targetE0EEEvSY_.num_agpr, 0
	.set _ZN7rocprim17ROCPRIM_400000_NS6detail17trampoline_kernelINS0_13select_configILj256ELj13ELNS0_17block_load_methodE3ELS4_3ELS4_3ELNS0_20block_scan_algorithmE0ELj4294967295EEENS1_25partition_config_selectorILNS1_17partition_subalgoE3EjNS0_10empty_typeEbEEZZNS1_14partition_implILS8_3ELb0ES6_jNS0_17counting_iteratorIjlEEPS9_SE_NS0_5tupleIJPjSE_EEENSF_IJSE_SE_EEES9_SG_JZNS1_25segmented_radix_sort_implINS0_14default_configELb0EPKaPaPKlPlN2at6native12_GLOBAL__N_18offset_tEEE10hipError_tPvRmT1_PNSt15iterator_traitsISY_E10value_typeET2_T3_PNSZ_IS14_E10value_typeET4_jRbjT5_S1A_jjP12ihipStream_tbEUljE_EEESV_SW_SX_S14_S18_S1A_T6_T7_T9_mT8_S1C_bDpT10_ENKUlT_T0_E_clISt17integral_constantIbLb0EES1P_EEDaS1K_S1L_EUlS1K_E_NS1_11comp_targetILNS1_3genE5ELNS1_11target_archE942ELNS1_3gpuE9ELNS1_3repE0EEENS1_30default_config_static_selectorELNS0_4arch9wavefront6targetE0EEEvSY_.numbered_sgpr, 0
	.set _ZN7rocprim17ROCPRIM_400000_NS6detail17trampoline_kernelINS0_13select_configILj256ELj13ELNS0_17block_load_methodE3ELS4_3ELS4_3ELNS0_20block_scan_algorithmE0ELj4294967295EEENS1_25partition_config_selectorILNS1_17partition_subalgoE3EjNS0_10empty_typeEbEEZZNS1_14partition_implILS8_3ELb0ES6_jNS0_17counting_iteratorIjlEEPS9_SE_NS0_5tupleIJPjSE_EEENSF_IJSE_SE_EEES9_SG_JZNS1_25segmented_radix_sort_implINS0_14default_configELb0EPKaPaPKlPlN2at6native12_GLOBAL__N_18offset_tEEE10hipError_tPvRmT1_PNSt15iterator_traitsISY_E10value_typeET2_T3_PNSZ_IS14_E10value_typeET4_jRbjT5_S1A_jjP12ihipStream_tbEUljE_EEESV_SW_SX_S14_S18_S1A_T6_T7_T9_mT8_S1C_bDpT10_ENKUlT_T0_E_clISt17integral_constantIbLb0EES1P_EEDaS1K_S1L_EUlS1K_E_NS1_11comp_targetILNS1_3genE5ELNS1_11target_archE942ELNS1_3gpuE9ELNS1_3repE0EEENS1_30default_config_static_selectorELNS0_4arch9wavefront6targetE0EEEvSY_.num_named_barrier, 0
	.set _ZN7rocprim17ROCPRIM_400000_NS6detail17trampoline_kernelINS0_13select_configILj256ELj13ELNS0_17block_load_methodE3ELS4_3ELS4_3ELNS0_20block_scan_algorithmE0ELj4294967295EEENS1_25partition_config_selectorILNS1_17partition_subalgoE3EjNS0_10empty_typeEbEEZZNS1_14partition_implILS8_3ELb0ES6_jNS0_17counting_iteratorIjlEEPS9_SE_NS0_5tupleIJPjSE_EEENSF_IJSE_SE_EEES9_SG_JZNS1_25segmented_radix_sort_implINS0_14default_configELb0EPKaPaPKlPlN2at6native12_GLOBAL__N_18offset_tEEE10hipError_tPvRmT1_PNSt15iterator_traitsISY_E10value_typeET2_T3_PNSZ_IS14_E10value_typeET4_jRbjT5_S1A_jjP12ihipStream_tbEUljE_EEESV_SW_SX_S14_S18_S1A_T6_T7_T9_mT8_S1C_bDpT10_ENKUlT_T0_E_clISt17integral_constantIbLb0EES1P_EEDaS1K_S1L_EUlS1K_E_NS1_11comp_targetILNS1_3genE5ELNS1_11target_archE942ELNS1_3gpuE9ELNS1_3repE0EEENS1_30default_config_static_selectorELNS0_4arch9wavefront6targetE0EEEvSY_.private_seg_size, 0
	.set _ZN7rocprim17ROCPRIM_400000_NS6detail17trampoline_kernelINS0_13select_configILj256ELj13ELNS0_17block_load_methodE3ELS4_3ELS4_3ELNS0_20block_scan_algorithmE0ELj4294967295EEENS1_25partition_config_selectorILNS1_17partition_subalgoE3EjNS0_10empty_typeEbEEZZNS1_14partition_implILS8_3ELb0ES6_jNS0_17counting_iteratorIjlEEPS9_SE_NS0_5tupleIJPjSE_EEENSF_IJSE_SE_EEES9_SG_JZNS1_25segmented_radix_sort_implINS0_14default_configELb0EPKaPaPKlPlN2at6native12_GLOBAL__N_18offset_tEEE10hipError_tPvRmT1_PNSt15iterator_traitsISY_E10value_typeET2_T3_PNSZ_IS14_E10value_typeET4_jRbjT5_S1A_jjP12ihipStream_tbEUljE_EEESV_SW_SX_S14_S18_S1A_T6_T7_T9_mT8_S1C_bDpT10_ENKUlT_T0_E_clISt17integral_constantIbLb0EES1P_EEDaS1K_S1L_EUlS1K_E_NS1_11comp_targetILNS1_3genE5ELNS1_11target_archE942ELNS1_3gpuE9ELNS1_3repE0EEENS1_30default_config_static_selectorELNS0_4arch9wavefront6targetE0EEEvSY_.uses_vcc, 0
	.set _ZN7rocprim17ROCPRIM_400000_NS6detail17trampoline_kernelINS0_13select_configILj256ELj13ELNS0_17block_load_methodE3ELS4_3ELS4_3ELNS0_20block_scan_algorithmE0ELj4294967295EEENS1_25partition_config_selectorILNS1_17partition_subalgoE3EjNS0_10empty_typeEbEEZZNS1_14partition_implILS8_3ELb0ES6_jNS0_17counting_iteratorIjlEEPS9_SE_NS0_5tupleIJPjSE_EEENSF_IJSE_SE_EEES9_SG_JZNS1_25segmented_radix_sort_implINS0_14default_configELb0EPKaPaPKlPlN2at6native12_GLOBAL__N_18offset_tEEE10hipError_tPvRmT1_PNSt15iterator_traitsISY_E10value_typeET2_T3_PNSZ_IS14_E10value_typeET4_jRbjT5_S1A_jjP12ihipStream_tbEUljE_EEESV_SW_SX_S14_S18_S1A_T6_T7_T9_mT8_S1C_bDpT10_ENKUlT_T0_E_clISt17integral_constantIbLb0EES1P_EEDaS1K_S1L_EUlS1K_E_NS1_11comp_targetILNS1_3genE5ELNS1_11target_archE942ELNS1_3gpuE9ELNS1_3repE0EEENS1_30default_config_static_selectorELNS0_4arch9wavefront6targetE0EEEvSY_.uses_flat_scratch, 0
	.set _ZN7rocprim17ROCPRIM_400000_NS6detail17trampoline_kernelINS0_13select_configILj256ELj13ELNS0_17block_load_methodE3ELS4_3ELS4_3ELNS0_20block_scan_algorithmE0ELj4294967295EEENS1_25partition_config_selectorILNS1_17partition_subalgoE3EjNS0_10empty_typeEbEEZZNS1_14partition_implILS8_3ELb0ES6_jNS0_17counting_iteratorIjlEEPS9_SE_NS0_5tupleIJPjSE_EEENSF_IJSE_SE_EEES9_SG_JZNS1_25segmented_radix_sort_implINS0_14default_configELb0EPKaPaPKlPlN2at6native12_GLOBAL__N_18offset_tEEE10hipError_tPvRmT1_PNSt15iterator_traitsISY_E10value_typeET2_T3_PNSZ_IS14_E10value_typeET4_jRbjT5_S1A_jjP12ihipStream_tbEUljE_EEESV_SW_SX_S14_S18_S1A_T6_T7_T9_mT8_S1C_bDpT10_ENKUlT_T0_E_clISt17integral_constantIbLb0EES1P_EEDaS1K_S1L_EUlS1K_E_NS1_11comp_targetILNS1_3genE5ELNS1_11target_archE942ELNS1_3gpuE9ELNS1_3repE0EEENS1_30default_config_static_selectorELNS0_4arch9wavefront6targetE0EEEvSY_.has_dyn_sized_stack, 0
	.set _ZN7rocprim17ROCPRIM_400000_NS6detail17trampoline_kernelINS0_13select_configILj256ELj13ELNS0_17block_load_methodE3ELS4_3ELS4_3ELNS0_20block_scan_algorithmE0ELj4294967295EEENS1_25partition_config_selectorILNS1_17partition_subalgoE3EjNS0_10empty_typeEbEEZZNS1_14partition_implILS8_3ELb0ES6_jNS0_17counting_iteratorIjlEEPS9_SE_NS0_5tupleIJPjSE_EEENSF_IJSE_SE_EEES9_SG_JZNS1_25segmented_radix_sort_implINS0_14default_configELb0EPKaPaPKlPlN2at6native12_GLOBAL__N_18offset_tEEE10hipError_tPvRmT1_PNSt15iterator_traitsISY_E10value_typeET2_T3_PNSZ_IS14_E10value_typeET4_jRbjT5_S1A_jjP12ihipStream_tbEUljE_EEESV_SW_SX_S14_S18_S1A_T6_T7_T9_mT8_S1C_bDpT10_ENKUlT_T0_E_clISt17integral_constantIbLb0EES1P_EEDaS1K_S1L_EUlS1K_E_NS1_11comp_targetILNS1_3genE5ELNS1_11target_archE942ELNS1_3gpuE9ELNS1_3repE0EEENS1_30default_config_static_selectorELNS0_4arch9wavefront6targetE0EEEvSY_.has_recursion, 0
	.set _ZN7rocprim17ROCPRIM_400000_NS6detail17trampoline_kernelINS0_13select_configILj256ELj13ELNS0_17block_load_methodE3ELS4_3ELS4_3ELNS0_20block_scan_algorithmE0ELj4294967295EEENS1_25partition_config_selectorILNS1_17partition_subalgoE3EjNS0_10empty_typeEbEEZZNS1_14partition_implILS8_3ELb0ES6_jNS0_17counting_iteratorIjlEEPS9_SE_NS0_5tupleIJPjSE_EEENSF_IJSE_SE_EEES9_SG_JZNS1_25segmented_radix_sort_implINS0_14default_configELb0EPKaPaPKlPlN2at6native12_GLOBAL__N_18offset_tEEE10hipError_tPvRmT1_PNSt15iterator_traitsISY_E10value_typeET2_T3_PNSZ_IS14_E10value_typeET4_jRbjT5_S1A_jjP12ihipStream_tbEUljE_EEESV_SW_SX_S14_S18_S1A_T6_T7_T9_mT8_S1C_bDpT10_ENKUlT_T0_E_clISt17integral_constantIbLb0EES1P_EEDaS1K_S1L_EUlS1K_E_NS1_11comp_targetILNS1_3genE5ELNS1_11target_archE942ELNS1_3gpuE9ELNS1_3repE0EEENS1_30default_config_static_selectorELNS0_4arch9wavefront6targetE0EEEvSY_.has_indirect_call, 0
	.section	.AMDGPU.csdata,"",@progbits
; Kernel info:
; codeLenInByte = 0
; TotalNumSgprs: 0
; NumVgprs: 0
; ScratchSize: 0
; MemoryBound: 0
; FloatMode: 240
; IeeeMode: 1
; LDSByteSize: 0 bytes/workgroup (compile time only)
; SGPRBlocks: 0
; VGPRBlocks: 0
; NumSGPRsForWavesPerEU: 1
; NumVGPRsForWavesPerEU: 1
; NamedBarCnt: 0
; Occupancy: 16
; WaveLimiterHint : 0
; COMPUTE_PGM_RSRC2:SCRATCH_EN: 0
; COMPUTE_PGM_RSRC2:USER_SGPR: 2
; COMPUTE_PGM_RSRC2:TRAP_HANDLER: 0
; COMPUTE_PGM_RSRC2:TGID_X_EN: 1
; COMPUTE_PGM_RSRC2:TGID_Y_EN: 0
; COMPUTE_PGM_RSRC2:TGID_Z_EN: 0
; COMPUTE_PGM_RSRC2:TIDIG_COMP_CNT: 0
	.section	.text._ZN7rocprim17ROCPRIM_400000_NS6detail17trampoline_kernelINS0_13select_configILj256ELj13ELNS0_17block_load_methodE3ELS4_3ELS4_3ELNS0_20block_scan_algorithmE0ELj4294967295EEENS1_25partition_config_selectorILNS1_17partition_subalgoE3EjNS0_10empty_typeEbEEZZNS1_14partition_implILS8_3ELb0ES6_jNS0_17counting_iteratorIjlEEPS9_SE_NS0_5tupleIJPjSE_EEENSF_IJSE_SE_EEES9_SG_JZNS1_25segmented_radix_sort_implINS0_14default_configELb0EPKaPaPKlPlN2at6native12_GLOBAL__N_18offset_tEEE10hipError_tPvRmT1_PNSt15iterator_traitsISY_E10value_typeET2_T3_PNSZ_IS14_E10value_typeET4_jRbjT5_S1A_jjP12ihipStream_tbEUljE_EEESV_SW_SX_S14_S18_S1A_T6_T7_T9_mT8_S1C_bDpT10_ENKUlT_T0_E_clISt17integral_constantIbLb0EES1P_EEDaS1K_S1L_EUlS1K_E_NS1_11comp_targetILNS1_3genE4ELNS1_11target_archE910ELNS1_3gpuE8ELNS1_3repE0EEENS1_30default_config_static_selectorELNS0_4arch9wavefront6targetE0EEEvSY_,"axG",@progbits,_ZN7rocprim17ROCPRIM_400000_NS6detail17trampoline_kernelINS0_13select_configILj256ELj13ELNS0_17block_load_methodE3ELS4_3ELS4_3ELNS0_20block_scan_algorithmE0ELj4294967295EEENS1_25partition_config_selectorILNS1_17partition_subalgoE3EjNS0_10empty_typeEbEEZZNS1_14partition_implILS8_3ELb0ES6_jNS0_17counting_iteratorIjlEEPS9_SE_NS0_5tupleIJPjSE_EEENSF_IJSE_SE_EEES9_SG_JZNS1_25segmented_radix_sort_implINS0_14default_configELb0EPKaPaPKlPlN2at6native12_GLOBAL__N_18offset_tEEE10hipError_tPvRmT1_PNSt15iterator_traitsISY_E10value_typeET2_T3_PNSZ_IS14_E10value_typeET4_jRbjT5_S1A_jjP12ihipStream_tbEUljE_EEESV_SW_SX_S14_S18_S1A_T6_T7_T9_mT8_S1C_bDpT10_ENKUlT_T0_E_clISt17integral_constantIbLb0EES1P_EEDaS1K_S1L_EUlS1K_E_NS1_11comp_targetILNS1_3genE4ELNS1_11target_archE910ELNS1_3gpuE8ELNS1_3repE0EEENS1_30default_config_static_selectorELNS0_4arch9wavefront6targetE0EEEvSY_,comdat
	.globl	_ZN7rocprim17ROCPRIM_400000_NS6detail17trampoline_kernelINS0_13select_configILj256ELj13ELNS0_17block_load_methodE3ELS4_3ELS4_3ELNS0_20block_scan_algorithmE0ELj4294967295EEENS1_25partition_config_selectorILNS1_17partition_subalgoE3EjNS0_10empty_typeEbEEZZNS1_14partition_implILS8_3ELb0ES6_jNS0_17counting_iteratorIjlEEPS9_SE_NS0_5tupleIJPjSE_EEENSF_IJSE_SE_EEES9_SG_JZNS1_25segmented_radix_sort_implINS0_14default_configELb0EPKaPaPKlPlN2at6native12_GLOBAL__N_18offset_tEEE10hipError_tPvRmT1_PNSt15iterator_traitsISY_E10value_typeET2_T3_PNSZ_IS14_E10value_typeET4_jRbjT5_S1A_jjP12ihipStream_tbEUljE_EEESV_SW_SX_S14_S18_S1A_T6_T7_T9_mT8_S1C_bDpT10_ENKUlT_T0_E_clISt17integral_constantIbLb0EES1P_EEDaS1K_S1L_EUlS1K_E_NS1_11comp_targetILNS1_3genE4ELNS1_11target_archE910ELNS1_3gpuE8ELNS1_3repE0EEENS1_30default_config_static_selectorELNS0_4arch9wavefront6targetE0EEEvSY_ ; -- Begin function _ZN7rocprim17ROCPRIM_400000_NS6detail17trampoline_kernelINS0_13select_configILj256ELj13ELNS0_17block_load_methodE3ELS4_3ELS4_3ELNS0_20block_scan_algorithmE0ELj4294967295EEENS1_25partition_config_selectorILNS1_17partition_subalgoE3EjNS0_10empty_typeEbEEZZNS1_14partition_implILS8_3ELb0ES6_jNS0_17counting_iteratorIjlEEPS9_SE_NS0_5tupleIJPjSE_EEENSF_IJSE_SE_EEES9_SG_JZNS1_25segmented_radix_sort_implINS0_14default_configELb0EPKaPaPKlPlN2at6native12_GLOBAL__N_18offset_tEEE10hipError_tPvRmT1_PNSt15iterator_traitsISY_E10value_typeET2_T3_PNSZ_IS14_E10value_typeET4_jRbjT5_S1A_jjP12ihipStream_tbEUljE_EEESV_SW_SX_S14_S18_S1A_T6_T7_T9_mT8_S1C_bDpT10_ENKUlT_T0_E_clISt17integral_constantIbLb0EES1P_EEDaS1K_S1L_EUlS1K_E_NS1_11comp_targetILNS1_3genE4ELNS1_11target_archE910ELNS1_3gpuE8ELNS1_3repE0EEENS1_30default_config_static_selectorELNS0_4arch9wavefront6targetE0EEEvSY_
	.p2align	8
	.type	_ZN7rocprim17ROCPRIM_400000_NS6detail17trampoline_kernelINS0_13select_configILj256ELj13ELNS0_17block_load_methodE3ELS4_3ELS4_3ELNS0_20block_scan_algorithmE0ELj4294967295EEENS1_25partition_config_selectorILNS1_17partition_subalgoE3EjNS0_10empty_typeEbEEZZNS1_14partition_implILS8_3ELb0ES6_jNS0_17counting_iteratorIjlEEPS9_SE_NS0_5tupleIJPjSE_EEENSF_IJSE_SE_EEES9_SG_JZNS1_25segmented_radix_sort_implINS0_14default_configELb0EPKaPaPKlPlN2at6native12_GLOBAL__N_18offset_tEEE10hipError_tPvRmT1_PNSt15iterator_traitsISY_E10value_typeET2_T3_PNSZ_IS14_E10value_typeET4_jRbjT5_S1A_jjP12ihipStream_tbEUljE_EEESV_SW_SX_S14_S18_S1A_T6_T7_T9_mT8_S1C_bDpT10_ENKUlT_T0_E_clISt17integral_constantIbLb0EES1P_EEDaS1K_S1L_EUlS1K_E_NS1_11comp_targetILNS1_3genE4ELNS1_11target_archE910ELNS1_3gpuE8ELNS1_3repE0EEENS1_30default_config_static_selectorELNS0_4arch9wavefront6targetE0EEEvSY_,@function
_ZN7rocprim17ROCPRIM_400000_NS6detail17trampoline_kernelINS0_13select_configILj256ELj13ELNS0_17block_load_methodE3ELS4_3ELS4_3ELNS0_20block_scan_algorithmE0ELj4294967295EEENS1_25partition_config_selectorILNS1_17partition_subalgoE3EjNS0_10empty_typeEbEEZZNS1_14partition_implILS8_3ELb0ES6_jNS0_17counting_iteratorIjlEEPS9_SE_NS0_5tupleIJPjSE_EEENSF_IJSE_SE_EEES9_SG_JZNS1_25segmented_radix_sort_implINS0_14default_configELb0EPKaPaPKlPlN2at6native12_GLOBAL__N_18offset_tEEE10hipError_tPvRmT1_PNSt15iterator_traitsISY_E10value_typeET2_T3_PNSZ_IS14_E10value_typeET4_jRbjT5_S1A_jjP12ihipStream_tbEUljE_EEESV_SW_SX_S14_S18_S1A_T6_T7_T9_mT8_S1C_bDpT10_ENKUlT_T0_E_clISt17integral_constantIbLb0EES1P_EEDaS1K_S1L_EUlS1K_E_NS1_11comp_targetILNS1_3genE4ELNS1_11target_archE910ELNS1_3gpuE8ELNS1_3repE0EEENS1_30default_config_static_selectorELNS0_4arch9wavefront6targetE0EEEvSY_: ; @_ZN7rocprim17ROCPRIM_400000_NS6detail17trampoline_kernelINS0_13select_configILj256ELj13ELNS0_17block_load_methodE3ELS4_3ELS4_3ELNS0_20block_scan_algorithmE0ELj4294967295EEENS1_25partition_config_selectorILNS1_17partition_subalgoE3EjNS0_10empty_typeEbEEZZNS1_14partition_implILS8_3ELb0ES6_jNS0_17counting_iteratorIjlEEPS9_SE_NS0_5tupleIJPjSE_EEENSF_IJSE_SE_EEES9_SG_JZNS1_25segmented_radix_sort_implINS0_14default_configELb0EPKaPaPKlPlN2at6native12_GLOBAL__N_18offset_tEEE10hipError_tPvRmT1_PNSt15iterator_traitsISY_E10value_typeET2_T3_PNSZ_IS14_E10value_typeET4_jRbjT5_S1A_jjP12ihipStream_tbEUljE_EEESV_SW_SX_S14_S18_S1A_T6_T7_T9_mT8_S1C_bDpT10_ENKUlT_T0_E_clISt17integral_constantIbLb0EES1P_EEDaS1K_S1L_EUlS1K_E_NS1_11comp_targetILNS1_3genE4ELNS1_11target_archE910ELNS1_3gpuE8ELNS1_3repE0EEENS1_30default_config_static_selectorELNS0_4arch9wavefront6targetE0EEEvSY_
; %bb.0:
	.section	.rodata,"a",@progbits
	.p2align	6, 0x0
	.amdhsa_kernel _ZN7rocprim17ROCPRIM_400000_NS6detail17trampoline_kernelINS0_13select_configILj256ELj13ELNS0_17block_load_methodE3ELS4_3ELS4_3ELNS0_20block_scan_algorithmE0ELj4294967295EEENS1_25partition_config_selectorILNS1_17partition_subalgoE3EjNS0_10empty_typeEbEEZZNS1_14partition_implILS8_3ELb0ES6_jNS0_17counting_iteratorIjlEEPS9_SE_NS0_5tupleIJPjSE_EEENSF_IJSE_SE_EEES9_SG_JZNS1_25segmented_radix_sort_implINS0_14default_configELb0EPKaPaPKlPlN2at6native12_GLOBAL__N_18offset_tEEE10hipError_tPvRmT1_PNSt15iterator_traitsISY_E10value_typeET2_T3_PNSZ_IS14_E10value_typeET4_jRbjT5_S1A_jjP12ihipStream_tbEUljE_EEESV_SW_SX_S14_S18_S1A_T6_T7_T9_mT8_S1C_bDpT10_ENKUlT_T0_E_clISt17integral_constantIbLb0EES1P_EEDaS1K_S1L_EUlS1K_E_NS1_11comp_targetILNS1_3genE4ELNS1_11target_archE910ELNS1_3gpuE8ELNS1_3repE0EEENS1_30default_config_static_selectorELNS0_4arch9wavefront6targetE0EEEvSY_
		.amdhsa_group_segment_fixed_size 0
		.amdhsa_private_segment_fixed_size 0
		.amdhsa_kernarg_size 144
		.amdhsa_user_sgpr_count 2
		.amdhsa_user_sgpr_dispatch_ptr 0
		.amdhsa_user_sgpr_queue_ptr 0
		.amdhsa_user_sgpr_kernarg_segment_ptr 1
		.amdhsa_user_sgpr_dispatch_id 0
		.amdhsa_user_sgpr_kernarg_preload_length 0
		.amdhsa_user_sgpr_kernarg_preload_offset 0
		.amdhsa_user_sgpr_private_segment_size 0
		.amdhsa_wavefront_size32 1
		.amdhsa_uses_dynamic_stack 0
		.amdhsa_enable_private_segment 0
		.amdhsa_system_sgpr_workgroup_id_x 1
		.amdhsa_system_sgpr_workgroup_id_y 0
		.amdhsa_system_sgpr_workgroup_id_z 0
		.amdhsa_system_sgpr_workgroup_info 0
		.amdhsa_system_vgpr_workitem_id 0
		.amdhsa_next_free_vgpr 1
		.amdhsa_next_free_sgpr 1
		.amdhsa_named_barrier_count 0
		.amdhsa_reserve_vcc 0
		.amdhsa_float_round_mode_32 0
		.amdhsa_float_round_mode_16_64 0
		.amdhsa_float_denorm_mode_32 3
		.amdhsa_float_denorm_mode_16_64 3
		.amdhsa_fp16_overflow 0
		.amdhsa_memory_ordered 1
		.amdhsa_forward_progress 1
		.amdhsa_inst_pref_size 0
		.amdhsa_round_robin_scheduling 0
		.amdhsa_exception_fp_ieee_invalid_op 0
		.amdhsa_exception_fp_denorm_src 0
		.amdhsa_exception_fp_ieee_div_zero 0
		.amdhsa_exception_fp_ieee_overflow 0
		.amdhsa_exception_fp_ieee_underflow 0
		.amdhsa_exception_fp_ieee_inexact 0
		.amdhsa_exception_int_div_zero 0
	.end_amdhsa_kernel
	.section	.text._ZN7rocprim17ROCPRIM_400000_NS6detail17trampoline_kernelINS0_13select_configILj256ELj13ELNS0_17block_load_methodE3ELS4_3ELS4_3ELNS0_20block_scan_algorithmE0ELj4294967295EEENS1_25partition_config_selectorILNS1_17partition_subalgoE3EjNS0_10empty_typeEbEEZZNS1_14partition_implILS8_3ELb0ES6_jNS0_17counting_iteratorIjlEEPS9_SE_NS0_5tupleIJPjSE_EEENSF_IJSE_SE_EEES9_SG_JZNS1_25segmented_radix_sort_implINS0_14default_configELb0EPKaPaPKlPlN2at6native12_GLOBAL__N_18offset_tEEE10hipError_tPvRmT1_PNSt15iterator_traitsISY_E10value_typeET2_T3_PNSZ_IS14_E10value_typeET4_jRbjT5_S1A_jjP12ihipStream_tbEUljE_EEESV_SW_SX_S14_S18_S1A_T6_T7_T9_mT8_S1C_bDpT10_ENKUlT_T0_E_clISt17integral_constantIbLb0EES1P_EEDaS1K_S1L_EUlS1K_E_NS1_11comp_targetILNS1_3genE4ELNS1_11target_archE910ELNS1_3gpuE8ELNS1_3repE0EEENS1_30default_config_static_selectorELNS0_4arch9wavefront6targetE0EEEvSY_,"axG",@progbits,_ZN7rocprim17ROCPRIM_400000_NS6detail17trampoline_kernelINS0_13select_configILj256ELj13ELNS0_17block_load_methodE3ELS4_3ELS4_3ELNS0_20block_scan_algorithmE0ELj4294967295EEENS1_25partition_config_selectorILNS1_17partition_subalgoE3EjNS0_10empty_typeEbEEZZNS1_14partition_implILS8_3ELb0ES6_jNS0_17counting_iteratorIjlEEPS9_SE_NS0_5tupleIJPjSE_EEENSF_IJSE_SE_EEES9_SG_JZNS1_25segmented_radix_sort_implINS0_14default_configELb0EPKaPaPKlPlN2at6native12_GLOBAL__N_18offset_tEEE10hipError_tPvRmT1_PNSt15iterator_traitsISY_E10value_typeET2_T3_PNSZ_IS14_E10value_typeET4_jRbjT5_S1A_jjP12ihipStream_tbEUljE_EEESV_SW_SX_S14_S18_S1A_T6_T7_T9_mT8_S1C_bDpT10_ENKUlT_T0_E_clISt17integral_constantIbLb0EES1P_EEDaS1K_S1L_EUlS1K_E_NS1_11comp_targetILNS1_3genE4ELNS1_11target_archE910ELNS1_3gpuE8ELNS1_3repE0EEENS1_30default_config_static_selectorELNS0_4arch9wavefront6targetE0EEEvSY_,comdat
.Lfunc_end360:
	.size	_ZN7rocprim17ROCPRIM_400000_NS6detail17trampoline_kernelINS0_13select_configILj256ELj13ELNS0_17block_load_methodE3ELS4_3ELS4_3ELNS0_20block_scan_algorithmE0ELj4294967295EEENS1_25partition_config_selectorILNS1_17partition_subalgoE3EjNS0_10empty_typeEbEEZZNS1_14partition_implILS8_3ELb0ES6_jNS0_17counting_iteratorIjlEEPS9_SE_NS0_5tupleIJPjSE_EEENSF_IJSE_SE_EEES9_SG_JZNS1_25segmented_radix_sort_implINS0_14default_configELb0EPKaPaPKlPlN2at6native12_GLOBAL__N_18offset_tEEE10hipError_tPvRmT1_PNSt15iterator_traitsISY_E10value_typeET2_T3_PNSZ_IS14_E10value_typeET4_jRbjT5_S1A_jjP12ihipStream_tbEUljE_EEESV_SW_SX_S14_S18_S1A_T6_T7_T9_mT8_S1C_bDpT10_ENKUlT_T0_E_clISt17integral_constantIbLb0EES1P_EEDaS1K_S1L_EUlS1K_E_NS1_11comp_targetILNS1_3genE4ELNS1_11target_archE910ELNS1_3gpuE8ELNS1_3repE0EEENS1_30default_config_static_selectorELNS0_4arch9wavefront6targetE0EEEvSY_, .Lfunc_end360-_ZN7rocprim17ROCPRIM_400000_NS6detail17trampoline_kernelINS0_13select_configILj256ELj13ELNS0_17block_load_methodE3ELS4_3ELS4_3ELNS0_20block_scan_algorithmE0ELj4294967295EEENS1_25partition_config_selectorILNS1_17partition_subalgoE3EjNS0_10empty_typeEbEEZZNS1_14partition_implILS8_3ELb0ES6_jNS0_17counting_iteratorIjlEEPS9_SE_NS0_5tupleIJPjSE_EEENSF_IJSE_SE_EEES9_SG_JZNS1_25segmented_radix_sort_implINS0_14default_configELb0EPKaPaPKlPlN2at6native12_GLOBAL__N_18offset_tEEE10hipError_tPvRmT1_PNSt15iterator_traitsISY_E10value_typeET2_T3_PNSZ_IS14_E10value_typeET4_jRbjT5_S1A_jjP12ihipStream_tbEUljE_EEESV_SW_SX_S14_S18_S1A_T6_T7_T9_mT8_S1C_bDpT10_ENKUlT_T0_E_clISt17integral_constantIbLb0EES1P_EEDaS1K_S1L_EUlS1K_E_NS1_11comp_targetILNS1_3genE4ELNS1_11target_archE910ELNS1_3gpuE8ELNS1_3repE0EEENS1_30default_config_static_selectorELNS0_4arch9wavefront6targetE0EEEvSY_
                                        ; -- End function
	.set _ZN7rocprim17ROCPRIM_400000_NS6detail17trampoline_kernelINS0_13select_configILj256ELj13ELNS0_17block_load_methodE3ELS4_3ELS4_3ELNS0_20block_scan_algorithmE0ELj4294967295EEENS1_25partition_config_selectorILNS1_17partition_subalgoE3EjNS0_10empty_typeEbEEZZNS1_14partition_implILS8_3ELb0ES6_jNS0_17counting_iteratorIjlEEPS9_SE_NS0_5tupleIJPjSE_EEENSF_IJSE_SE_EEES9_SG_JZNS1_25segmented_radix_sort_implINS0_14default_configELb0EPKaPaPKlPlN2at6native12_GLOBAL__N_18offset_tEEE10hipError_tPvRmT1_PNSt15iterator_traitsISY_E10value_typeET2_T3_PNSZ_IS14_E10value_typeET4_jRbjT5_S1A_jjP12ihipStream_tbEUljE_EEESV_SW_SX_S14_S18_S1A_T6_T7_T9_mT8_S1C_bDpT10_ENKUlT_T0_E_clISt17integral_constantIbLb0EES1P_EEDaS1K_S1L_EUlS1K_E_NS1_11comp_targetILNS1_3genE4ELNS1_11target_archE910ELNS1_3gpuE8ELNS1_3repE0EEENS1_30default_config_static_selectorELNS0_4arch9wavefront6targetE0EEEvSY_.num_vgpr, 0
	.set _ZN7rocprim17ROCPRIM_400000_NS6detail17trampoline_kernelINS0_13select_configILj256ELj13ELNS0_17block_load_methodE3ELS4_3ELS4_3ELNS0_20block_scan_algorithmE0ELj4294967295EEENS1_25partition_config_selectorILNS1_17partition_subalgoE3EjNS0_10empty_typeEbEEZZNS1_14partition_implILS8_3ELb0ES6_jNS0_17counting_iteratorIjlEEPS9_SE_NS0_5tupleIJPjSE_EEENSF_IJSE_SE_EEES9_SG_JZNS1_25segmented_radix_sort_implINS0_14default_configELb0EPKaPaPKlPlN2at6native12_GLOBAL__N_18offset_tEEE10hipError_tPvRmT1_PNSt15iterator_traitsISY_E10value_typeET2_T3_PNSZ_IS14_E10value_typeET4_jRbjT5_S1A_jjP12ihipStream_tbEUljE_EEESV_SW_SX_S14_S18_S1A_T6_T7_T9_mT8_S1C_bDpT10_ENKUlT_T0_E_clISt17integral_constantIbLb0EES1P_EEDaS1K_S1L_EUlS1K_E_NS1_11comp_targetILNS1_3genE4ELNS1_11target_archE910ELNS1_3gpuE8ELNS1_3repE0EEENS1_30default_config_static_selectorELNS0_4arch9wavefront6targetE0EEEvSY_.num_agpr, 0
	.set _ZN7rocprim17ROCPRIM_400000_NS6detail17trampoline_kernelINS0_13select_configILj256ELj13ELNS0_17block_load_methodE3ELS4_3ELS4_3ELNS0_20block_scan_algorithmE0ELj4294967295EEENS1_25partition_config_selectorILNS1_17partition_subalgoE3EjNS0_10empty_typeEbEEZZNS1_14partition_implILS8_3ELb0ES6_jNS0_17counting_iteratorIjlEEPS9_SE_NS0_5tupleIJPjSE_EEENSF_IJSE_SE_EEES9_SG_JZNS1_25segmented_radix_sort_implINS0_14default_configELb0EPKaPaPKlPlN2at6native12_GLOBAL__N_18offset_tEEE10hipError_tPvRmT1_PNSt15iterator_traitsISY_E10value_typeET2_T3_PNSZ_IS14_E10value_typeET4_jRbjT5_S1A_jjP12ihipStream_tbEUljE_EEESV_SW_SX_S14_S18_S1A_T6_T7_T9_mT8_S1C_bDpT10_ENKUlT_T0_E_clISt17integral_constantIbLb0EES1P_EEDaS1K_S1L_EUlS1K_E_NS1_11comp_targetILNS1_3genE4ELNS1_11target_archE910ELNS1_3gpuE8ELNS1_3repE0EEENS1_30default_config_static_selectorELNS0_4arch9wavefront6targetE0EEEvSY_.numbered_sgpr, 0
	.set _ZN7rocprim17ROCPRIM_400000_NS6detail17trampoline_kernelINS0_13select_configILj256ELj13ELNS0_17block_load_methodE3ELS4_3ELS4_3ELNS0_20block_scan_algorithmE0ELj4294967295EEENS1_25partition_config_selectorILNS1_17partition_subalgoE3EjNS0_10empty_typeEbEEZZNS1_14partition_implILS8_3ELb0ES6_jNS0_17counting_iteratorIjlEEPS9_SE_NS0_5tupleIJPjSE_EEENSF_IJSE_SE_EEES9_SG_JZNS1_25segmented_radix_sort_implINS0_14default_configELb0EPKaPaPKlPlN2at6native12_GLOBAL__N_18offset_tEEE10hipError_tPvRmT1_PNSt15iterator_traitsISY_E10value_typeET2_T3_PNSZ_IS14_E10value_typeET4_jRbjT5_S1A_jjP12ihipStream_tbEUljE_EEESV_SW_SX_S14_S18_S1A_T6_T7_T9_mT8_S1C_bDpT10_ENKUlT_T0_E_clISt17integral_constantIbLb0EES1P_EEDaS1K_S1L_EUlS1K_E_NS1_11comp_targetILNS1_3genE4ELNS1_11target_archE910ELNS1_3gpuE8ELNS1_3repE0EEENS1_30default_config_static_selectorELNS0_4arch9wavefront6targetE0EEEvSY_.num_named_barrier, 0
	.set _ZN7rocprim17ROCPRIM_400000_NS6detail17trampoline_kernelINS0_13select_configILj256ELj13ELNS0_17block_load_methodE3ELS4_3ELS4_3ELNS0_20block_scan_algorithmE0ELj4294967295EEENS1_25partition_config_selectorILNS1_17partition_subalgoE3EjNS0_10empty_typeEbEEZZNS1_14partition_implILS8_3ELb0ES6_jNS0_17counting_iteratorIjlEEPS9_SE_NS0_5tupleIJPjSE_EEENSF_IJSE_SE_EEES9_SG_JZNS1_25segmented_radix_sort_implINS0_14default_configELb0EPKaPaPKlPlN2at6native12_GLOBAL__N_18offset_tEEE10hipError_tPvRmT1_PNSt15iterator_traitsISY_E10value_typeET2_T3_PNSZ_IS14_E10value_typeET4_jRbjT5_S1A_jjP12ihipStream_tbEUljE_EEESV_SW_SX_S14_S18_S1A_T6_T7_T9_mT8_S1C_bDpT10_ENKUlT_T0_E_clISt17integral_constantIbLb0EES1P_EEDaS1K_S1L_EUlS1K_E_NS1_11comp_targetILNS1_3genE4ELNS1_11target_archE910ELNS1_3gpuE8ELNS1_3repE0EEENS1_30default_config_static_selectorELNS0_4arch9wavefront6targetE0EEEvSY_.private_seg_size, 0
	.set _ZN7rocprim17ROCPRIM_400000_NS6detail17trampoline_kernelINS0_13select_configILj256ELj13ELNS0_17block_load_methodE3ELS4_3ELS4_3ELNS0_20block_scan_algorithmE0ELj4294967295EEENS1_25partition_config_selectorILNS1_17partition_subalgoE3EjNS0_10empty_typeEbEEZZNS1_14partition_implILS8_3ELb0ES6_jNS0_17counting_iteratorIjlEEPS9_SE_NS0_5tupleIJPjSE_EEENSF_IJSE_SE_EEES9_SG_JZNS1_25segmented_radix_sort_implINS0_14default_configELb0EPKaPaPKlPlN2at6native12_GLOBAL__N_18offset_tEEE10hipError_tPvRmT1_PNSt15iterator_traitsISY_E10value_typeET2_T3_PNSZ_IS14_E10value_typeET4_jRbjT5_S1A_jjP12ihipStream_tbEUljE_EEESV_SW_SX_S14_S18_S1A_T6_T7_T9_mT8_S1C_bDpT10_ENKUlT_T0_E_clISt17integral_constantIbLb0EES1P_EEDaS1K_S1L_EUlS1K_E_NS1_11comp_targetILNS1_3genE4ELNS1_11target_archE910ELNS1_3gpuE8ELNS1_3repE0EEENS1_30default_config_static_selectorELNS0_4arch9wavefront6targetE0EEEvSY_.uses_vcc, 0
	.set _ZN7rocprim17ROCPRIM_400000_NS6detail17trampoline_kernelINS0_13select_configILj256ELj13ELNS0_17block_load_methodE3ELS4_3ELS4_3ELNS0_20block_scan_algorithmE0ELj4294967295EEENS1_25partition_config_selectorILNS1_17partition_subalgoE3EjNS0_10empty_typeEbEEZZNS1_14partition_implILS8_3ELb0ES6_jNS0_17counting_iteratorIjlEEPS9_SE_NS0_5tupleIJPjSE_EEENSF_IJSE_SE_EEES9_SG_JZNS1_25segmented_radix_sort_implINS0_14default_configELb0EPKaPaPKlPlN2at6native12_GLOBAL__N_18offset_tEEE10hipError_tPvRmT1_PNSt15iterator_traitsISY_E10value_typeET2_T3_PNSZ_IS14_E10value_typeET4_jRbjT5_S1A_jjP12ihipStream_tbEUljE_EEESV_SW_SX_S14_S18_S1A_T6_T7_T9_mT8_S1C_bDpT10_ENKUlT_T0_E_clISt17integral_constantIbLb0EES1P_EEDaS1K_S1L_EUlS1K_E_NS1_11comp_targetILNS1_3genE4ELNS1_11target_archE910ELNS1_3gpuE8ELNS1_3repE0EEENS1_30default_config_static_selectorELNS0_4arch9wavefront6targetE0EEEvSY_.uses_flat_scratch, 0
	.set _ZN7rocprim17ROCPRIM_400000_NS6detail17trampoline_kernelINS0_13select_configILj256ELj13ELNS0_17block_load_methodE3ELS4_3ELS4_3ELNS0_20block_scan_algorithmE0ELj4294967295EEENS1_25partition_config_selectorILNS1_17partition_subalgoE3EjNS0_10empty_typeEbEEZZNS1_14partition_implILS8_3ELb0ES6_jNS0_17counting_iteratorIjlEEPS9_SE_NS0_5tupleIJPjSE_EEENSF_IJSE_SE_EEES9_SG_JZNS1_25segmented_radix_sort_implINS0_14default_configELb0EPKaPaPKlPlN2at6native12_GLOBAL__N_18offset_tEEE10hipError_tPvRmT1_PNSt15iterator_traitsISY_E10value_typeET2_T3_PNSZ_IS14_E10value_typeET4_jRbjT5_S1A_jjP12ihipStream_tbEUljE_EEESV_SW_SX_S14_S18_S1A_T6_T7_T9_mT8_S1C_bDpT10_ENKUlT_T0_E_clISt17integral_constantIbLb0EES1P_EEDaS1K_S1L_EUlS1K_E_NS1_11comp_targetILNS1_3genE4ELNS1_11target_archE910ELNS1_3gpuE8ELNS1_3repE0EEENS1_30default_config_static_selectorELNS0_4arch9wavefront6targetE0EEEvSY_.has_dyn_sized_stack, 0
	.set _ZN7rocprim17ROCPRIM_400000_NS6detail17trampoline_kernelINS0_13select_configILj256ELj13ELNS0_17block_load_methodE3ELS4_3ELS4_3ELNS0_20block_scan_algorithmE0ELj4294967295EEENS1_25partition_config_selectorILNS1_17partition_subalgoE3EjNS0_10empty_typeEbEEZZNS1_14partition_implILS8_3ELb0ES6_jNS0_17counting_iteratorIjlEEPS9_SE_NS0_5tupleIJPjSE_EEENSF_IJSE_SE_EEES9_SG_JZNS1_25segmented_radix_sort_implINS0_14default_configELb0EPKaPaPKlPlN2at6native12_GLOBAL__N_18offset_tEEE10hipError_tPvRmT1_PNSt15iterator_traitsISY_E10value_typeET2_T3_PNSZ_IS14_E10value_typeET4_jRbjT5_S1A_jjP12ihipStream_tbEUljE_EEESV_SW_SX_S14_S18_S1A_T6_T7_T9_mT8_S1C_bDpT10_ENKUlT_T0_E_clISt17integral_constantIbLb0EES1P_EEDaS1K_S1L_EUlS1K_E_NS1_11comp_targetILNS1_3genE4ELNS1_11target_archE910ELNS1_3gpuE8ELNS1_3repE0EEENS1_30default_config_static_selectorELNS0_4arch9wavefront6targetE0EEEvSY_.has_recursion, 0
	.set _ZN7rocprim17ROCPRIM_400000_NS6detail17trampoline_kernelINS0_13select_configILj256ELj13ELNS0_17block_load_methodE3ELS4_3ELS4_3ELNS0_20block_scan_algorithmE0ELj4294967295EEENS1_25partition_config_selectorILNS1_17partition_subalgoE3EjNS0_10empty_typeEbEEZZNS1_14partition_implILS8_3ELb0ES6_jNS0_17counting_iteratorIjlEEPS9_SE_NS0_5tupleIJPjSE_EEENSF_IJSE_SE_EEES9_SG_JZNS1_25segmented_radix_sort_implINS0_14default_configELb0EPKaPaPKlPlN2at6native12_GLOBAL__N_18offset_tEEE10hipError_tPvRmT1_PNSt15iterator_traitsISY_E10value_typeET2_T3_PNSZ_IS14_E10value_typeET4_jRbjT5_S1A_jjP12ihipStream_tbEUljE_EEESV_SW_SX_S14_S18_S1A_T6_T7_T9_mT8_S1C_bDpT10_ENKUlT_T0_E_clISt17integral_constantIbLb0EES1P_EEDaS1K_S1L_EUlS1K_E_NS1_11comp_targetILNS1_3genE4ELNS1_11target_archE910ELNS1_3gpuE8ELNS1_3repE0EEENS1_30default_config_static_selectorELNS0_4arch9wavefront6targetE0EEEvSY_.has_indirect_call, 0
	.section	.AMDGPU.csdata,"",@progbits
; Kernel info:
; codeLenInByte = 0
; TotalNumSgprs: 0
; NumVgprs: 0
; ScratchSize: 0
; MemoryBound: 0
; FloatMode: 240
; IeeeMode: 1
; LDSByteSize: 0 bytes/workgroup (compile time only)
; SGPRBlocks: 0
; VGPRBlocks: 0
; NumSGPRsForWavesPerEU: 1
; NumVGPRsForWavesPerEU: 1
; NamedBarCnt: 0
; Occupancy: 16
; WaveLimiterHint : 0
; COMPUTE_PGM_RSRC2:SCRATCH_EN: 0
; COMPUTE_PGM_RSRC2:USER_SGPR: 2
; COMPUTE_PGM_RSRC2:TRAP_HANDLER: 0
; COMPUTE_PGM_RSRC2:TGID_X_EN: 1
; COMPUTE_PGM_RSRC2:TGID_Y_EN: 0
; COMPUTE_PGM_RSRC2:TGID_Z_EN: 0
; COMPUTE_PGM_RSRC2:TIDIG_COMP_CNT: 0
	.section	.text._ZN7rocprim17ROCPRIM_400000_NS6detail17trampoline_kernelINS0_13select_configILj256ELj13ELNS0_17block_load_methodE3ELS4_3ELS4_3ELNS0_20block_scan_algorithmE0ELj4294967295EEENS1_25partition_config_selectorILNS1_17partition_subalgoE3EjNS0_10empty_typeEbEEZZNS1_14partition_implILS8_3ELb0ES6_jNS0_17counting_iteratorIjlEEPS9_SE_NS0_5tupleIJPjSE_EEENSF_IJSE_SE_EEES9_SG_JZNS1_25segmented_radix_sort_implINS0_14default_configELb0EPKaPaPKlPlN2at6native12_GLOBAL__N_18offset_tEEE10hipError_tPvRmT1_PNSt15iterator_traitsISY_E10value_typeET2_T3_PNSZ_IS14_E10value_typeET4_jRbjT5_S1A_jjP12ihipStream_tbEUljE_EEESV_SW_SX_S14_S18_S1A_T6_T7_T9_mT8_S1C_bDpT10_ENKUlT_T0_E_clISt17integral_constantIbLb0EES1P_EEDaS1K_S1L_EUlS1K_E_NS1_11comp_targetILNS1_3genE3ELNS1_11target_archE908ELNS1_3gpuE7ELNS1_3repE0EEENS1_30default_config_static_selectorELNS0_4arch9wavefront6targetE0EEEvSY_,"axG",@progbits,_ZN7rocprim17ROCPRIM_400000_NS6detail17trampoline_kernelINS0_13select_configILj256ELj13ELNS0_17block_load_methodE3ELS4_3ELS4_3ELNS0_20block_scan_algorithmE0ELj4294967295EEENS1_25partition_config_selectorILNS1_17partition_subalgoE3EjNS0_10empty_typeEbEEZZNS1_14partition_implILS8_3ELb0ES6_jNS0_17counting_iteratorIjlEEPS9_SE_NS0_5tupleIJPjSE_EEENSF_IJSE_SE_EEES9_SG_JZNS1_25segmented_radix_sort_implINS0_14default_configELb0EPKaPaPKlPlN2at6native12_GLOBAL__N_18offset_tEEE10hipError_tPvRmT1_PNSt15iterator_traitsISY_E10value_typeET2_T3_PNSZ_IS14_E10value_typeET4_jRbjT5_S1A_jjP12ihipStream_tbEUljE_EEESV_SW_SX_S14_S18_S1A_T6_T7_T9_mT8_S1C_bDpT10_ENKUlT_T0_E_clISt17integral_constantIbLb0EES1P_EEDaS1K_S1L_EUlS1K_E_NS1_11comp_targetILNS1_3genE3ELNS1_11target_archE908ELNS1_3gpuE7ELNS1_3repE0EEENS1_30default_config_static_selectorELNS0_4arch9wavefront6targetE0EEEvSY_,comdat
	.globl	_ZN7rocprim17ROCPRIM_400000_NS6detail17trampoline_kernelINS0_13select_configILj256ELj13ELNS0_17block_load_methodE3ELS4_3ELS4_3ELNS0_20block_scan_algorithmE0ELj4294967295EEENS1_25partition_config_selectorILNS1_17partition_subalgoE3EjNS0_10empty_typeEbEEZZNS1_14partition_implILS8_3ELb0ES6_jNS0_17counting_iteratorIjlEEPS9_SE_NS0_5tupleIJPjSE_EEENSF_IJSE_SE_EEES9_SG_JZNS1_25segmented_radix_sort_implINS0_14default_configELb0EPKaPaPKlPlN2at6native12_GLOBAL__N_18offset_tEEE10hipError_tPvRmT1_PNSt15iterator_traitsISY_E10value_typeET2_T3_PNSZ_IS14_E10value_typeET4_jRbjT5_S1A_jjP12ihipStream_tbEUljE_EEESV_SW_SX_S14_S18_S1A_T6_T7_T9_mT8_S1C_bDpT10_ENKUlT_T0_E_clISt17integral_constantIbLb0EES1P_EEDaS1K_S1L_EUlS1K_E_NS1_11comp_targetILNS1_3genE3ELNS1_11target_archE908ELNS1_3gpuE7ELNS1_3repE0EEENS1_30default_config_static_selectorELNS0_4arch9wavefront6targetE0EEEvSY_ ; -- Begin function _ZN7rocprim17ROCPRIM_400000_NS6detail17trampoline_kernelINS0_13select_configILj256ELj13ELNS0_17block_load_methodE3ELS4_3ELS4_3ELNS0_20block_scan_algorithmE0ELj4294967295EEENS1_25partition_config_selectorILNS1_17partition_subalgoE3EjNS0_10empty_typeEbEEZZNS1_14partition_implILS8_3ELb0ES6_jNS0_17counting_iteratorIjlEEPS9_SE_NS0_5tupleIJPjSE_EEENSF_IJSE_SE_EEES9_SG_JZNS1_25segmented_radix_sort_implINS0_14default_configELb0EPKaPaPKlPlN2at6native12_GLOBAL__N_18offset_tEEE10hipError_tPvRmT1_PNSt15iterator_traitsISY_E10value_typeET2_T3_PNSZ_IS14_E10value_typeET4_jRbjT5_S1A_jjP12ihipStream_tbEUljE_EEESV_SW_SX_S14_S18_S1A_T6_T7_T9_mT8_S1C_bDpT10_ENKUlT_T0_E_clISt17integral_constantIbLb0EES1P_EEDaS1K_S1L_EUlS1K_E_NS1_11comp_targetILNS1_3genE3ELNS1_11target_archE908ELNS1_3gpuE7ELNS1_3repE0EEENS1_30default_config_static_selectorELNS0_4arch9wavefront6targetE0EEEvSY_
	.p2align	8
	.type	_ZN7rocprim17ROCPRIM_400000_NS6detail17trampoline_kernelINS0_13select_configILj256ELj13ELNS0_17block_load_methodE3ELS4_3ELS4_3ELNS0_20block_scan_algorithmE0ELj4294967295EEENS1_25partition_config_selectorILNS1_17partition_subalgoE3EjNS0_10empty_typeEbEEZZNS1_14partition_implILS8_3ELb0ES6_jNS0_17counting_iteratorIjlEEPS9_SE_NS0_5tupleIJPjSE_EEENSF_IJSE_SE_EEES9_SG_JZNS1_25segmented_radix_sort_implINS0_14default_configELb0EPKaPaPKlPlN2at6native12_GLOBAL__N_18offset_tEEE10hipError_tPvRmT1_PNSt15iterator_traitsISY_E10value_typeET2_T3_PNSZ_IS14_E10value_typeET4_jRbjT5_S1A_jjP12ihipStream_tbEUljE_EEESV_SW_SX_S14_S18_S1A_T6_T7_T9_mT8_S1C_bDpT10_ENKUlT_T0_E_clISt17integral_constantIbLb0EES1P_EEDaS1K_S1L_EUlS1K_E_NS1_11comp_targetILNS1_3genE3ELNS1_11target_archE908ELNS1_3gpuE7ELNS1_3repE0EEENS1_30default_config_static_selectorELNS0_4arch9wavefront6targetE0EEEvSY_,@function
_ZN7rocprim17ROCPRIM_400000_NS6detail17trampoline_kernelINS0_13select_configILj256ELj13ELNS0_17block_load_methodE3ELS4_3ELS4_3ELNS0_20block_scan_algorithmE0ELj4294967295EEENS1_25partition_config_selectorILNS1_17partition_subalgoE3EjNS0_10empty_typeEbEEZZNS1_14partition_implILS8_3ELb0ES6_jNS0_17counting_iteratorIjlEEPS9_SE_NS0_5tupleIJPjSE_EEENSF_IJSE_SE_EEES9_SG_JZNS1_25segmented_radix_sort_implINS0_14default_configELb0EPKaPaPKlPlN2at6native12_GLOBAL__N_18offset_tEEE10hipError_tPvRmT1_PNSt15iterator_traitsISY_E10value_typeET2_T3_PNSZ_IS14_E10value_typeET4_jRbjT5_S1A_jjP12ihipStream_tbEUljE_EEESV_SW_SX_S14_S18_S1A_T6_T7_T9_mT8_S1C_bDpT10_ENKUlT_T0_E_clISt17integral_constantIbLb0EES1P_EEDaS1K_S1L_EUlS1K_E_NS1_11comp_targetILNS1_3genE3ELNS1_11target_archE908ELNS1_3gpuE7ELNS1_3repE0EEENS1_30default_config_static_selectorELNS0_4arch9wavefront6targetE0EEEvSY_: ; @_ZN7rocprim17ROCPRIM_400000_NS6detail17trampoline_kernelINS0_13select_configILj256ELj13ELNS0_17block_load_methodE3ELS4_3ELS4_3ELNS0_20block_scan_algorithmE0ELj4294967295EEENS1_25partition_config_selectorILNS1_17partition_subalgoE3EjNS0_10empty_typeEbEEZZNS1_14partition_implILS8_3ELb0ES6_jNS0_17counting_iteratorIjlEEPS9_SE_NS0_5tupleIJPjSE_EEENSF_IJSE_SE_EEES9_SG_JZNS1_25segmented_radix_sort_implINS0_14default_configELb0EPKaPaPKlPlN2at6native12_GLOBAL__N_18offset_tEEE10hipError_tPvRmT1_PNSt15iterator_traitsISY_E10value_typeET2_T3_PNSZ_IS14_E10value_typeET4_jRbjT5_S1A_jjP12ihipStream_tbEUljE_EEESV_SW_SX_S14_S18_S1A_T6_T7_T9_mT8_S1C_bDpT10_ENKUlT_T0_E_clISt17integral_constantIbLb0EES1P_EEDaS1K_S1L_EUlS1K_E_NS1_11comp_targetILNS1_3genE3ELNS1_11target_archE908ELNS1_3gpuE7ELNS1_3repE0EEENS1_30default_config_static_selectorELNS0_4arch9wavefront6targetE0EEEvSY_
; %bb.0:
	.section	.rodata,"a",@progbits
	.p2align	6, 0x0
	.amdhsa_kernel _ZN7rocprim17ROCPRIM_400000_NS6detail17trampoline_kernelINS0_13select_configILj256ELj13ELNS0_17block_load_methodE3ELS4_3ELS4_3ELNS0_20block_scan_algorithmE0ELj4294967295EEENS1_25partition_config_selectorILNS1_17partition_subalgoE3EjNS0_10empty_typeEbEEZZNS1_14partition_implILS8_3ELb0ES6_jNS0_17counting_iteratorIjlEEPS9_SE_NS0_5tupleIJPjSE_EEENSF_IJSE_SE_EEES9_SG_JZNS1_25segmented_radix_sort_implINS0_14default_configELb0EPKaPaPKlPlN2at6native12_GLOBAL__N_18offset_tEEE10hipError_tPvRmT1_PNSt15iterator_traitsISY_E10value_typeET2_T3_PNSZ_IS14_E10value_typeET4_jRbjT5_S1A_jjP12ihipStream_tbEUljE_EEESV_SW_SX_S14_S18_S1A_T6_T7_T9_mT8_S1C_bDpT10_ENKUlT_T0_E_clISt17integral_constantIbLb0EES1P_EEDaS1K_S1L_EUlS1K_E_NS1_11comp_targetILNS1_3genE3ELNS1_11target_archE908ELNS1_3gpuE7ELNS1_3repE0EEENS1_30default_config_static_selectorELNS0_4arch9wavefront6targetE0EEEvSY_
		.amdhsa_group_segment_fixed_size 0
		.amdhsa_private_segment_fixed_size 0
		.amdhsa_kernarg_size 144
		.amdhsa_user_sgpr_count 2
		.amdhsa_user_sgpr_dispatch_ptr 0
		.amdhsa_user_sgpr_queue_ptr 0
		.amdhsa_user_sgpr_kernarg_segment_ptr 1
		.amdhsa_user_sgpr_dispatch_id 0
		.amdhsa_user_sgpr_kernarg_preload_length 0
		.amdhsa_user_sgpr_kernarg_preload_offset 0
		.amdhsa_user_sgpr_private_segment_size 0
		.amdhsa_wavefront_size32 1
		.amdhsa_uses_dynamic_stack 0
		.amdhsa_enable_private_segment 0
		.amdhsa_system_sgpr_workgroup_id_x 1
		.amdhsa_system_sgpr_workgroup_id_y 0
		.amdhsa_system_sgpr_workgroup_id_z 0
		.amdhsa_system_sgpr_workgroup_info 0
		.amdhsa_system_vgpr_workitem_id 0
		.amdhsa_next_free_vgpr 1
		.amdhsa_next_free_sgpr 1
		.amdhsa_named_barrier_count 0
		.amdhsa_reserve_vcc 0
		.amdhsa_float_round_mode_32 0
		.amdhsa_float_round_mode_16_64 0
		.amdhsa_float_denorm_mode_32 3
		.amdhsa_float_denorm_mode_16_64 3
		.amdhsa_fp16_overflow 0
		.amdhsa_memory_ordered 1
		.amdhsa_forward_progress 1
		.amdhsa_inst_pref_size 0
		.amdhsa_round_robin_scheduling 0
		.amdhsa_exception_fp_ieee_invalid_op 0
		.amdhsa_exception_fp_denorm_src 0
		.amdhsa_exception_fp_ieee_div_zero 0
		.amdhsa_exception_fp_ieee_overflow 0
		.amdhsa_exception_fp_ieee_underflow 0
		.amdhsa_exception_fp_ieee_inexact 0
		.amdhsa_exception_int_div_zero 0
	.end_amdhsa_kernel
	.section	.text._ZN7rocprim17ROCPRIM_400000_NS6detail17trampoline_kernelINS0_13select_configILj256ELj13ELNS0_17block_load_methodE3ELS4_3ELS4_3ELNS0_20block_scan_algorithmE0ELj4294967295EEENS1_25partition_config_selectorILNS1_17partition_subalgoE3EjNS0_10empty_typeEbEEZZNS1_14partition_implILS8_3ELb0ES6_jNS0_17counting_iteratorIjlEEPS9_SE_NS0_5tupleIJPjSE_EEENSF_IJSE_SE_EEES9_SG_JZNS1_25segmented_radix_sort_implINS0_14default_configELb0EPKaPaPKlPlN2at6native12_GLOBAL__N_18offset_tEEE10hipError_tPvRmT1_PNSt15iterator_traitsISY_E10value_typeET2_T3_PNSZ_IS14_E10value_typeET4_jRbjT5_S1A_jjP12ihipStream_tbEUljE_EEESV_SW_SX_S14_S18_S1A_T6_T7_T9_mT8_S1C_bDpT10_ENKUlT_T0_E_clISt17integral_constantIbLb0EES1P_EEDaS1K_S1L_EUlS1K_E_NS1_11comp_targetILNS1_3genE3ELNS1_11target_archE908ELNS1_3gpuE7ELNS1_3repE0EEENS1_30default_config_static_selectorELNS0_4arch9wavefront6targetE0EEEvSY_,"axG",@progbits,_ZN7rocprim17ROCPRIM_400000_NS6detail17trampoline_kernelINS0_13select_configILj256ELj13ELNS0_17block_load_methodE3ELS4_3ELS4_3ELNS0_20block_scan_algorithmE0ELj4294967295EEENS1_25partition_config_selectorILNS1_17partition_subalgoE3EjNS0_10empty_typeEbEEZZNS1_14partition_implILS8_3ELb0ES6_jNS0_17counting_iteratorIjlEEPS9_SE_NS0_5tupleIJPjSE_EEENSF_IJSE_SE_EEES9_SG_JZNS1_25segmented_radix_sort_implINS0_14default_configELb0EPKaPaPKlPlN2at6native12_GLOBAL__N_18offset_tEEE10hipError_tPvRmT1_PNSt15iterator_traitsISY_E10value_typeET2_T3_PNSZ_IS14_E10value_typeET4_jRbjT5_S1A_jjP12ihipStream_tbEUljE_EEESV_SW_SX_S14_S18_S1A_T6_T7_T9_mT8_S1C_bDpT10_ENKUlT_T0_E_clISt17integral_constantIbLb0EES1P_EEDaS1K_S1L_EUlS1K_E_NS1_11comp_targetILNS1_3genE3ELNS1_11target_archE908ELNS1_3gpuE7ELNS1_3repE0EEENS1_30default_config_static_selectorELNS0_4arch9wavefront6targetE0EEEvSY_,comdat
.Lfunc_end361:
	.size	_ZN7rocprim17ROCPRIM_400000_NS6detail17trampoline_kernelINS0_13select_configILj256ELj13ELNS0_17block_load_methodE3ELS4_3ELS4_3ELNS0_20block_scan_algorithmE0ELj4294967295EEENS1_25partition_config_selectorILNS1_17partition_subalgoE3EjNS0_10empty_typeEbEEZZNS1_14partition_implILS8_3ELb0ES6_jNS0_17counting_iteratorIjlEEPS9_SE_NS0_5tupleIJPjSE_EEENSF_IJSE_SE_EEES9_SG_JZNS1_25segmented_radix_sort_implINS0_14default_configELb0EPKaPaPKlPlN2at6native12_GLOBAL__N_18offset_tEEE10hipError_tPvRmT1_PNSt15iterator_traitsISY_E10value_typeET2_T3_PNSZ_IS14_E10value_typeET4_jRbjT5_S1A_jjP12ihipStream_tbEUljE_EEESV_SW_SX_S14_S18_S1A_T6_T7_T9_mT8_S1C_bDpT10_ENKUlT_T0_E_clISt17integral_constantIbLb0EES1P_EEDaS1K_S1L_EUlS1K_E_NS1_11comp_targetILNS1_3genE3ELNS1_11target_archE908ELNS1_3gpuE7ELNS1_3repE0EEENS1_30default_config_static_selectorELNS0_4arch9wavefront6targetE0EEEvSY_, .Lfunc_end361-_ZN7rocprim17ROCPRIM_400000_NS6detail17trampoline_kernelINS0_13select_configILj256ELj13ELNS0_17block_load_methodE3ELS4_3ELS4_3ELNS0_20block_scan_algorithmE0ELj4294967295EEENS1_25partition_config_selectorILNS1_17partition_subalgoE3EjNS0_10empty_typeEbEEZZNS1_14partition_implILS8_3ELb0ES6_jNS0_17counting_iteratorIjlEEPS9_SE_NS0_5tupleIJPjSE_EEENSF_IJSE_SE_EEES9_SG_JZNS1_25segmented_radix_sort_implINS0_14default_configELb0EPKaPaPKlPlN2at6native12_GLOBAL__N_18offset_tEEE10hipError_tPvRmT1_PNSt15iterator_traitsISY_E10value_typeET2_T3_PNSZ_IS14_E10value_typeET4_jRbjT5_S1A_jjP12ihipStream_tbEUljE_EEESV_SW_SX_S14_S18_S1A_T6_T7_T9_mT8_S1C_bDpT10_ENKUlT_T0_E_clISt17integral_constantIbLb0EES1P_EEDaS1K_S1L_EUlS1K_E_NS1_11comp_targetILNS1_3genE3ELNS1_11target_archE908ELNS1_3gpuE7ELNS1_3repE0EEENS1_30default_config_static_selectorELNS0_4arch9wavefront6targetE0EEEvSY_
                                        ; -- End function
	.set _ZN7rocprim17ROCPRIM_400000_NS6detail17trampoline_kernelINS0_13select_configILj256ELj13ELNS0_17block_load_methodE3ELS4_3ELS4_3ELNS0_20block_scan_algorithmE0ELj4294967295EEENS1_25partition_config_selectorILNS1_17partition_subalgoE3EjNS0_10empty_typeEbEEZZNS1_14partition_implILS8_3ELb0ES6_jNS0_17counting_iteratorIjlEEPS9_SE_NS0_5tupleIJPjSE_EEENSF_IJSE_SE_EEES9_SG_JZNS1_25segmented_radix_sort_implINS0_14default_configELb0EPKaPaPKlPlN2at6native12_GLOBAL__N_18offset_tEEE10hipError_tPvRmT1_PNSt15iterator_traitsISY_E10value_typeET2_T3_PNSZ_IS14_E10value_typeET4_jRbjT5_S1A_jjP12ihipStream_tbEUljE_EEESV_SW_SX_S14_S18_S1A_T6_T7_T9_mT8_S1C_bDpT10_ENKUlT_T0_E_clISt17integral_constantIbLb0EES1P_EEDaS1K_S1L_EUlS1K_E_NS1_11comp_targetILNS1_3genE3ELNS1_11target_archE908ELNS1_3gpuE7ELNS1_3repE0EEENS1_30default_config_static_selectorELNS0_4arch9wavefront6targetE0EEEvSY_.num_vgpr, 0
	.set _ZN7rocprim17ROCPRIM_400000_NS6detail17trampoline_kernelINS0_13select_configILj256ELj13ELNS0_17block_load_methodE3ELS4_3ELS4_3ELNS0_20block_scan_algorithmE0ELj4294967295EEENS1_25partition_config_selectorILNS1_17partition_subalgoE3EjNS0_10empty_typeEbEEZZNS1_14partition_implILS8_3ELb0ES6_jNS0_17counting_iteratorIjlEEPS9_SE_NS0_5tupleIJPjSE_EEENSF_IJSE_SE_EEES9_SG_JZNS1_25segmented_radix_sort_implINS0_14default_configELb0EPKaPaPKlPlN2at6native12_GLOBAL__N_18offset_tEEE10hipError_tPvRmT1_PNSt15iterator_traitsISY_E10value_typeET2_T3_PNSZ_IS14_E10value_typeET4_jRbjT5_S1A_jjP12ihipStream_tbEUljE_EEESV_SW_SX_S14_S18_S1A_T6_T7_T9_mT8_S1C_bDpT10_ENKUlT_T0_E_clISt17integral_constantIbLb0EES1P_EEDaS1K_S1L_EUlS1K_E_NS1_11comp_targetILNS1_3genE3ELNS1_11target_archE908ELNS1_3gpuE7ELNS1_3repE0EEENS1_30default_config_static_selectorELNS0_4arch9wavefront6targetE0EEEvSY_.num_agpr, 0
	.set _ZN7rocprim17ROCPRIM_400000_NS6detail17trampoline_kernelINS0_13select_configILj256ELj13ELNS0_17block_load_methodE3ELS4_3ELS4_3ELNS0_20block_scan_algorithmE0ELj4294967295EEENS1_25partition_config_selectorILNS1_17partition_subalgoE3EjNS0_10empty_typeEbEEZZNS1_14partition_implILS8_3ELb0ES6_jNS0_17counting_iteratorIjlEEPS9_SE_NS0_5tupleIJPjSE_EEENSF_IJSE_SE_EEES9_SG_JZNS1_25segmented_radix_sort_implINS0_14default_configELb0EPKaPaPKlPlN2at6native12_GLOBAL__N_18offset_tEEE10hipError_tPvRmT1_PNSt15iterator_traitsISY_E10value_typeET2_T3_PNSZ_IS14_E10value_typeET4_jRbjT5_S1A_jjP12ihipStream_tbEUljE_EEESV_SW_SX_S14_S18_S1A_T6_T7_T9_mT8_S1C_bDpT10_ENKUlT_T0_E_clISt17integral_constantIbLb0EES1P_EEDaS1K_S1L_EUlS1K_E_NS1_11comp_targetILNS1_3genE3ELNS1_11target_archE908ELNS1_3gpuE7ELNS1_3repE0EEENS1_30default_config_static_selectorELNS0_4arch9wavefront6targetE0EEEvSY_.numbered_sgpr, 0
	.set _ZN7rocprim17ROCPRIM_400000_NS6detail17trampoline_kernelINS0_13select_configILj256ELj13ELNS0_17block_load_methodE3ELS4_3ELS4_3ELNS0_20block_scan_algorithmE0ELj4294967295EEENS1_25partition_config_selectorILNS1_17partition_subalgoE3EjNS0_10empty_typeEbEEZZNS1_14partition_implILS8_3ELb0ES6_jNS0_17counting_iteratorIjlEEPS9_SE_NS0_5tupleIJPjSE_EEENSF_IJSE_SE_EEES9_SG_JZNS1_25segmented_radix_sort_implINS0_14default_configELb0EPKaPaPKlPlN2at6native12_GLOBAL__N_18offset_tEEE10hipError_tPvRmT1_PNSt15iterator_traitsISY_E10value_typeET2_T3_PNSZ_IS14_E10value_typeET4_jRbjT5_S1A_jjP12ihipStream_tbEUljE_EEESV_SW_SX_S14_S18_S1A_T6_T7_T9_mT8_S1C_bDpT10_ENKUlT_T0_E_clISt17integral_constantIbLb0EES1P_EEDaS1K_S1L_EUlS1K_E_NS1_11comp_targetILNS1_3genE3ELNS1_11target_archE908ELNS1_3gpuE7ELNS1_3repE0EEENS1_30default_config_static_selectorELNS0_4arch9wavefront6targetE0EEEvSY_.num_named_barrier, 0
	.set _ZN7rocprim17ROCPRIM_400000_NS6detail17trampoline_kernelINS0_13select_configILj256ELj13ELNS0_17block_load_methodE3ELS4_3ELS4_3ELNS0_20block_scan_algorithmE0ELj4294967295EEENS1_25partition_config_selectorILNS1_17partition_subalgoE3EjNS0_10empty_typeEbEEZZNS1_14partition_implILS8_3ELb0ES6_jNS0_17counting_iteratorIjlEEPS9_SE_NS0_5tupleIJPjSE_EEENSF_IJSE_SE_EEES9_SG_JZNS1_25segmented_radix_sort_implINS0_14default_configELb0EPKaPaPKlPlN2at6native12_GLOBAL__N_18offset_tEEE10hipError_tPvRmT1_PNSt15iterator_traitsISY_E10value_typeET2_T3_PNSZ_IS14_E10value_typeET4_jRbjT5_S1A_jjP12ihipStream_tbEUljE_EEESV_SW_SX_S14_S18_S1A_T6_T7_T9_mT8_S1C_bDpT10_ENKUlT_T0_E_clISt17integral_constantIbLb0EES1P_EEDaS1K_S1L_EUlS1K_E_NS1_11comp_targetILNS1_3genE3ELNS1_11target_archE908ELNS1_3gpuE7ELNS1_3repE0EEENS1_30default_config_static_selectorELNS0_4arch9wavefront6targetE0EEEvSY_.private_seg_size, 0
	.set _ZN7rocprim17ROCPRIM_400000_NS6detail17trampoline_kernelINS0_13select_configILj256ELj13ELNS0_17block_load_methodE3ELS4_3ELS4_3ELNS0_20block_scan_algorithmE0ELj4294967295EEENS1_25partition_config_selectorILNS1_17partition_subalgoE3EjNS0_10empty_typeEbEEZZNS1_14partition_implILS8_3ELb0ES6_jNS0_17counting_iteratorIjlEEPS9_SE_NS0_5tupleIJPjSE_EEENSF_IJSE_SE_EEES9_SG_JZNS1_25segmented_radix_sort_implINS0_14default_configELb0EPKaPaPKlPlN2at6native12_GLOBAL__N_18offset_tEEE10hipError_tPvRmT1_PNSt15iterator_traitsISY_E10value_typeET2_T3_PNSZ_IS14_E10value_typeET4_jRbjT5_S1A_jjP12ihipStream_tbEUljE_EEESV_SW_SX_S14_S18_S1A_T6_T7_T9_mT8_S1C_bDpT10_ENKUlT_T0_E_clISt17integral_constantIbLb0EES1P_EEDaS1K_S1L_EUlS1K_E_NS1_11comp_targetILNS1_3genE3ELNS1_11target_archE908ELNS1_3gpuE7ELNS1_3repE0EEENS1_30default_config_static_selectorELNS0_4arch9wavefront6targetE0EEEvSY_.uses_vcc, 0
	.set _ZN7rocprim17ROCPRIM_400000_NS6detail17trampoline_kernelINS0_13select_configILj256ELj13ELNS0_17block_load_methodE3ELS4_3ELS4_3ELNS0_20block_scan_algorithmE0ELj4294967295EEENS1_25partition_config_selectorILNS1_17partition_subalgoE3EjNS0_10empty_typeEbEEZZNS1_14partition_implILS8_3ELb0ES6_jNS0_17counting_iteratorIjlEEPS9_SE_NS0_5tupleIJPjSE_EEENSF_IJSE_SE_EEES9_SG_JZNS1_25segmented_radix_sort_implINS0_14default_configELb0EPKaPaPKlPlN2at6native12_GLOBAL__N_18offset_tEEE10hipError_tPvRmT1_PNSt15iterator_traitsISY_E10value_typeET2_T3_PNSZ_IS14_E10value_typeET4_jRbjT5_S1A_jjP12ihipStream_tbEUljE_EEESV_SW_SX_S14_S18_S1A_T6_T7_T9_mT8_S1C_bDpT10_ENKUlT_T0_E_clISt17integral_constantIbLb0EES1P_EEDaS1K_S1L_EUlS1K_E_NS1_11comp_targetILNS1_3genE3ELNS1_11target_archE908ELNS1_3gpuE7ELNS1_3repE0EEENS1_30default_config_static_selectorELNS0_4arch9wavefront6targetE0EEEvSY_.uses_flat_scratch, 0
	.set _ZN7rocprim17ROCPRIM_400000_NS6detail17trampoline_kernelINS0_13select_configILj256ELj13ELNS0_17block_load_methodE3ELS4_3ELS4_3ELNS0_20block_scan_algorithmE0ELj4294967295EEENS1_25partition_config_selectorILNS1_17partition_subalgoE3EjNS0_10empty_typeEbEEZZNS1_14partition_implILS8_3ELb0ES6_jNS0_17counting_iteratorIjlEEPS9_SE_NS0_5tupleIJPjSE_EEENSF_IJSE_SE_EEES9_SG_JZNS1_25segmented_radix_sort_implINS0_14default_configELb0EPKaPaPKlPlN2at6native12_GLOBAL__N_18offset_tEEE10hipError_tPvRmT1_PNSt15iterator_traitsISY_E10value_typeET2_T3_PNSZ_IS14_E10value_typeET4_jRbjT5_S1A_jjP12ihipStream_tbEUljE_EEESV_SW_SX_S14_S18_S1A_T6_T7_T9_mT8_S1C_bDpT10_ENKUlT_T0_E_clISt17integral_constantIbLb0EES1P_EEDaS1K_S1L_EUlS1K_E_NS1_11comp_targetILNS1_3genE3ELNS1_11target_archE908ELNS1_3gpuE7ELNS1_3repE0EEENS1_30default_config_static_selectorELNS0_4arch9wavefront6targetE0EEEvSY_.has_dyn_sized_stack, 0
	.set _ZN7rocprim17ROCPRIM_400000_NS6detail17trampoline_kernelINS0_13select_configILj256ELj13ELNS0_17block_load_methodE3ELS4_3ELS4_3ELNS0_20block_scan_algorithmE0ELj4294967295EEENS1_25partition_config_selectorILNS1_17partition_subalgoE3EjNS0_10empty_typeEbEEZZNS1_14partition_implILS8_3ELb0ES6_jNS0_17counting_iteratorIjlEEPS9_SE_NS0_5tupleIJPjSE_EEENSF_IJSE_SE_EEES9_SG_JZNS1_25segmented_radix_sort_implINS0_14default_configELb0EPKaPaPKlPlN2at6native12_GLOBAL__N_18offset_tEEE10hipError_tPvRmT1_PNSt15iterator_traitsISY_E10value_typeET2_T3_PNSZ_IS14_E10value_typeET4_jRbjT5_S1A_jjP12ihipStream_tbEUljE_EEESV_SW_SX_S14_S18_S1A_T6_T7_T9_mT8_S1C_bDpT10_ENKUlT_T0_E_clISt17integral_constantIbLb0EES1P_EEDaS1K_S1L_EUlS1K_E_NS1_11comp_targetILNS1_3genE3ELNS1_11target_archE908ELNS1_3gpuE7ELNS1_3repE0EEENS1_30default_config_static_selectorELNS0_4arch9wavefront6targetE0EEEvSY_.has_recursion, 0
	.set _ZN7rocprim17ROCPRIM_400000_NS6detail17trampoline_kernelINS0_13select_configILj256ELj13ELNS0_17block_load_methodE3ELS4_3ELS4_3ELNS0_20block_scan_algorithmE0ELj4294967295EEENS1_25partition_config_selectorILNS1_17partition_subalgoE3EjNS0_10empty_typeEbEEZZNS1_14partition_implILS8_3ELb0ES6_jNS0_17counting_iteratorIjlEEPS9_SE_NS0_5tupleIJPjSE_EEENSF_IJSE_SE_EEES9_SG_JZNS1_25segmented_radix_sort_implINS0_14default_configELb0EPKaPaPKlPlN2at6native12_GLOBAL__N_18offset_tEEE10hipError_tPvRmT1_PNSt15iterator_traitsISY_E10value_typeET2_T3_PNSZ_IS14_E10value_typeET4_jRbjT5_S1A_jjP12ihipStream_tbEUljE_EEESV_SW_SX_S14_S18_S1A_T6_T7_T9_mT8_S1C_bDpT10_ENKUlT_T0_E_clISt17integral_constantIbLb0EES1P_EEDaS1K_S1L_EUlS1K_E_NS1_11comp_targetILNS1_3genE3ELNS1_11target_archE908ELNS1_3gpuE7ELNS1_3repE0EEENS1_30default_config_static_selectorELNS0_4arch9wavefront6targetE0EEEvSY_.has_indirect_call, 0
	.section	.AMDGPU.csdata,"",@progbits
; Kernel info:
; codeLenInByte = 0
; TotalNumSgprs: 0
; NumVgprs: 0
; ScratchSize: 0
; MemoryBound: 0
; FloatMode: 240
; IeeeMode: 1
; LDSByteSize: 0 bytes/workgroup (compile time only)
; SGPRBlocks: 0
; VGPRBlocks: 0
; NumSGPRsForWavesPerEU: 1
; NumVGPRsForWavesPerEU: 1
; NamedBarCnt: 0
; Occupancy: 16
; WaveLimiterHint : 0
; COMPUTE_PGM_RSRC2:SCRATCH_EN: 0
; COMPUTE_PGM_RSRC2:USER_SGPR: 2
; COMPUTE_PGM_RSRC2:TRAP_HANDLER: 0
; COMPUTE_PGM_RSRC2:TGID_X_EN: 1
; COMPUTE_PGM_RSRC2:TGID_Y_EN: 0
; COMPUTE_PGM_RSRC2:TGID_Z_EN: 0
; COMPUTE_PGM_RSRC2:TIDIG_COMP_CNT: 0
	.section	.text._ZN7rocprim17ROCPRIM_400000_NS6detail17trampoline_kernelINS0_13select_configILj256ELj13ELNS0_17block_load_methodE3ELS4_3ELS4_3ELNS0_20block_scan_algorithmE0ELj4294967295EEENS1_25partition_config_selectorILNS1_17partition_subalgoE3EjNS0_10empty_typeEbEEZZNS1_14partition_implILS8_3ELb0ES6_jNS0_17counting_iteratorIjlEEPS9_SE_NS0_5tupleIJPjSE_EEENSF_IJSE_SE_EEES9_SG_JZNS1_25segmented_radix_sort_implINS0_14default_configELb0EPKaPaPKlPlN2at6native12_GLOBAL__N_18offset_tEEE10hipError_tPvRmT1_PNSt15iterator_traitsISY_E10value_typeET2_T3_PNSZ_IS14_E10value_typeET4_jRbjT5_S1A_jjP12ihipStream_tbEUljE_EEESV_SW_SX_S14_S18_S1A_T6_T7_T9_mT8_S1C_bDpT10_ENKUlT_T0_E_clISt17integral_constantIbLb0EES1P_EEDaS1K_S1L_EUlS1K_E_NS1_11comp_targetILNS1_3genE2ELNS1_11target_archE906ELNS1_3gpuE6ELNS1_3repE0EEENS1_30default_config_static_selectorELNS0_4arch9wavefront6targetE0EEEvSY_,"axG",@progbits,_ZN7rocprim17ROCPRIM_400000_NS6detail17trampoline_kernelINS0_13select_configILj256ELj13ELNS0_17block_load_methodE3ELS4_3ELS4_3ELNS0_20block_scan_algorithmE0ELj4294967295EEENS1_25partition_config_selectorILNS1_17partition_subalgoE3EjNS0_10empty_typeEbEEZZNS1_14partition_implILS8_3ELb0ES6_jNS0_17counting_iteratorIjlEEPS9_SE_NS0_5tupleIJPjSE_EEENSF_IJSE_SE_EEES9_SG_JZNS1_25segmented_radix_sort_implINS0_14default_configELb0EPKaPaPKlPlN2at6native12_GLOBAL__N_18offset_tEEE10hipError_tPvRmT1_PNSt15iterator_traitsISY_E10value_typeET2_T3_PNSZ_IS14_E10value_typeET4_jRbjT5_S1A_jjP12ihipStream_tbEUljE_EEESV_SW_SX_S14_S18_S1A_T6_T7_T9_mT8_S1C_bDpT10_ENKUlT_T0_E_clISt17integral_constantIbLb0EES1P_EEDaS1K_S1L_EUlS1K_E_NS1_11comp_targetILNS1_3genE2ELNS1_11target_archE906ELNS1_3gpuE6ELNS1_3repE0EEENS1_30default_config_static_selectorELNS0_4arch9wavefront6targetE0EEEvSY_,comdat
	.globl	_ZN7rocprim17ROCPRIM_400000_NS6detail17trampoline_kernelINS0_13select_configILj256ELj13ELNS0_17block_load_methodE3ELS4_3ELS4_3ELNS0_20block_scan_algorithmE0ELj4294967295EEENS1_25partition_config_selectorILNS1_17partition_subalgoE3EjNS0_10empty_typeEbEEZZNS1_14partition_implILS8_3ELb0ES6_jNS0_17counting_iteratorIjlEEPS9_SE_NS0_5tupleIJPjSE_EEENSF_IJSE_SE_EEES9_SG_JZNS1_25segmented_radix_sort_implINS0_14default_configELb0EPKaPaPKlPlN2at6native12_GLOBAL__N_18offset_tEEE10hipError_tPvRmT1_PNSt15iterator_traitsISY_E10value_typeET2_T3_PNSZ_IS14_E10value_typeET4_jRbjT5_S1A_jjP12ihipStream_tbEUljE_EEESV_SW_SX_S14_S18_S1A_T6_T7_T9_mT8_S1C_bDpT10_ENKUlT_T0_E_clISt17integral_constantIbLb0EES1P_EEDaS1K_S1L_EUlS1K_E_NS1_11comp_targetILNS1_3genE2ELNS1_11target_archE906ELNS1_3gpuE6ELNS1_3repE0EEENS1_30default_config_static_selectorELNS0_4arch9wavefront6targetE0EEEvSY_ ; -- Begin function _ZN7rocprim17ROCPRIM_400000_NS6detail17trampoline_kernelINS0_13select_configILj256ELj13ELNS0_17block_load_methodE3ELS4_3ELS4_3ELNS0_20block_scan_algorithmE0ELj4294967295EEENS1_25partition_config_selectorILNS1_17partition_subalgoE3EjNS0_10empty_typeEbEEZZNS1_14partition_implILS8_3ELb0ES6_jNS0_17counting_iteratorIjlEEPS9_SE_NS0_5tupleIJPjSE_EEENSF_IJSE_SE_EEES9_SG_JZNS1_25segmented_radix_sort_implINS0_14default_configELb0EPKaPaPKlPlN2at6native12_GLOBAL__N_18offset_tEEE10hipError_tPvRmT1_PNSt15iterator_traitsISY_E10value_typeET2_T3_PNSZ_IS14_E10value_typeET4_jRbjT5_S1A_jjP12ihipStream_tbEUljE_EEESV_SW_SX_S14_S18_S1A_T6_T7_T9_mT8_S1C_bDpT10_ENKUlT_T0_E_clISt17integral_constantIbLb0EES1P_EEDaS1K_S1L_EUlS1K_E_NS1_11comp_targetILNS1_3genE2ELNS1_11target_archE906ELNS1_3gpuE6ELNS1_3repE0EEENS1_30default_config_static_selectorELNS0_4arch9wavefront6targetE0EEEvSY_
	.p2align	8
	.type	_ZN7rocprim17ROCPRIM_400000_NS6detail17trampoline_kernelINS0_13select_configILj256ELj13ELNS0_17block_load_methodE3ELS4_3ELS4_3ELNS0_20block_scan_algorithmE0ELj4294967295EEENS1_25partition_config_selectorILNS1_17partition_subalgoE3EjNS0_10empty_typeEbEEZZNS1_14partition_implILS8_3ELb0ES6_jNS0_17counting_iteratorIjlEEPS9_SE_NS0_5tupleIJPjSE_EEENSF_IJSE_SE_EEES9_SG_JZNS1_25segmented_radix_sort_implINS0_14default_configELb0EPKaPaPKlPlN2at6native12_GLOBAL__N_18offset_tEEE10hipError_tPvRmT1_PNSt15iterator_traitsISY_E10value_typeET2_T3_PNSZ_IS14_E10value_typeET4_jRbjT5_S1A_jjP12ihipStream_tbEUljE_EEESV_SW_SX_S14_S18_S1A_T6_T7_T9_mT8_S1C_bDpT10_ENKUlT_T0_E_clISt17integral_constantIbLb0EES1P_EEDaS1K_S1L_EUlS1K_E_NS1_11comp_targetILNS1_3genE2ELNS1_11target_archE906ELNS1_3gpuE6ELNS1_3repE0EEENS1_30default_config_static_selectorELNS0_4arch9wavefront6targetE0EEEvSY_,@function
_ZN7rocprim17ROCPRIM_400000_NS6detail17trampoline_kernelINS0_13select_configILj256ELj13ELNS0_17block_load_methodE3ELS4_3ELS4_3ELNS0_20block_scan_algorithmE0ELj4294967295EEENS1_25partition_config_selectorILNS1_17partition_subalgoE3EjNS0_10empty_typeEbEEZZNS1_14partition_implILS8_3ELb0ES6_jNS0_17counting_iteratorIjlEEPS9_SE_NS0_5tupleIJPjSE_EEENSF_IJSE_SE_EEES9_SG_JZNS1_25segmented_radix_sort_implINS0_14default_configELb0EPKaPaPKlPlN2at6native12_GLOBAL__N_18offset_tEEE10hipError_tPvRmT1_PNSt15iterator_traitsISY_E10value_typeET2_T3_PNSZ_IS14_E10value_typeET4_jRbjT5_S1A_jjP12ihipStream_tbEUljE_EEESV_SW_SX_S14_S18_S1A_T6_T7_T9_mT8_S1C_bDpT10_ENKUlT_T0_E_clISt17integral_constantIbLb0EES1P_EEDaS1K_S1L_EUlS1K_E_NS1_11comp_targetILNS1_3genE2ELNS1_11target_archE906ELNS1_3gpuE6ELNS1_3repE0EEENS1_30default_config_static_selectorELNS0_4arch9wavefront6targetE0EEEvSY_: ; @_ZN7rocprim17ROCPRIM_400000_NS6detail17trampoline_kernelINS0_13select_configILj256ELj13ELNS0_17block_load_methodE3ELS4_3ELS4_3ELNS0_20block_scan_algorithmE0ELj4294967295EEENS1_25partition_config_selectorILNS1_17partition_subalgoE3EjNS0_10empty_typeEbEEZZNS1_14partition_implILS8_3ELb0ES6_jNS0_17counting_iteratorIjlEEPS9_SE_NS0_5tupleIJPjSE_EEENSF_IJSE_SE_EEES9_SG_JZNS1_25segmented_radix_sort_implINS0_14default_configELb0EPKaPaPKlPlN2at6native12_GLOBAL__N_18offset_tEEE10hipError_tPvRmT1_PNSt15iterator_traitsISY_E10value_typeET2_T3_PNSZ_IS14_E10value_typeET4_jRbjT5_S1A_jjP12ihipStream_tbEUljE_EEESV_SW_SX_S14_S18_S1A_T6_T7_T9_mT8_S1C_bDpT10_ENKUlT_T0_E_clISt17integral_constantIbLb0EES1P_EEDaS1K_S1L_EUlS1K_E_NS1_11comp_targetILNS1_3genE2ELNS1_11target_archE906ELNS1_3gpuE6ELNS1_3repE0EEENS1_30default_config_static_selectorELNS0_4arch9wavefront6targetE0EEEvSY_
; %bb.0:
	.section	.rodata,"a",@progbits
	.p2align	6, 0x0
	.amdhsa_kernel _ZN7rocprim17ROCPRIM_400000_NS6detail17trampoline_kernelINS0_13select_configILj256ELj13ELNS0_17block_load_methodE3ELS4_3ELS4_3ELNS0_20block_scan_algorithmE0ELj4294967295EEENS1_25partition_config_selectorILNS1_17partition_subalgoE3EjNS0_10empty_typeEbEEZZNS1_14partition_implILS8_3ELb0ES6_jNS0_17counting_iteratorIjlEEPS9_SE_NS0_5tupleIJPjSE_EEENSF_IJSE_SE_EEES9_SG_JZNS1_25segmented_radix_sort_implINS0_14default_configELb0EPKaPaPKlPlN2at6native12_GLOBAL__N_18offset_tEEE10hipError_tPvRmT1_PNSt15iterator_traitsISY_E10value_typeET2_T3_PNSZ_IS14_E10value_typeET4_jRbjT5_S1A_jjP12ihipStream_tbEUljE_EEESV_SW_SX_S14_S18_S1A_T6_T7_T9_mT8_S1C_bDpT10_ENKUlT_T0_E_clISt17integral_constantIbLb0EES1P_EEDaS1K_S1L_EUlS1K_E_NS1_11comp_targetILNS1_3genE2ELNS1_11target_archE906ELNS1_3gpuE6ELNS1_3repE0EEENS1_30default_config_static_selectorELNS0_4arch9wavefront6targetE0EEEvSY_
		.amdhsa_group_segment_fixed_size 0
		.amdhsa_private_segment_fixed_size 0
		.amdhsa_kernarg_size 144
		.amdhsa_user_sgpr_count 2
		.amdhsa_user_sgpr_dispatch_ptr 0
		.amdhsa_user_sgpr_queue_ptr 0
		.amdhsa_user_sgpr_kernarg_segment_ptr 1
		.amdhsa_user_sgpr_dispatch_id 0
		.amdhsa_user_sgpr_kernarg_preload_length 0
		.amdhsa_user_sgpr_kernarg_preload_offset 0
		.amdhsa_user_sgpr_private_segment_size 0
		.amdhsa_wavefront_size32 1
		.amdhsa_uses_dynamic_stack 0
		.amdhsa_enable_private_segment 0
		.amdhsa_system_sgpr_workgroup_id_x 1
		.amdhsa_system_sgpr_workgroup_id_y 0
		.amdhsa_system_sgpr_workgroup_id_z 0
		.amdhsa_system_sgpr_workgroup_info 0
		.amdhsa_system_vgpr_workitem_id 0
		.amdhsa_next_free_vgpr 1
		.amdhsa_next_free_sgpr 1
		.amdhsa_named_barrier_count 0
		.amdhsa_reserve_vcc 0
		.amdhsa_float_round_mode_32 0
		.amdhsa_float_round_mode_16_64 0
		.amdhsa_float_denorm_mode_32 3
		.amdhsa_float_denorm_mode_16_64 3
		.amdhsa_fp16_overflow 0
		.amdhsa_memory_ordered 1
		.amdhsa_forward_progress 1
		.amdhsa_inst_pref_size 0
		.amdhsa_round_robin_scheduling 0
		.amdhsa_exception_fp_ieee_invalid_op 0
		.amdhsa_exception_fp_denorm_src 0
		.amdhsa_exception_fp_ieee_div_zero 0
		.amdhsa_exception_fp_ieee_overflow 0
		.amdhsa_exception_fp_ieee_underflow 0
		.amdhsa_exception_fp_ieee_inexact 0
		.amdhsa_exception_int_div_zero 0
	.end_amdhsa_kernel
	.section	.text._ZN7rocprim17ROCPRIM_400000_NS6detail17trampoline_kernelINS0_13select_configILj256ELj13ELNS0_17block_load_methodE3ELS4_3ELS4_3ELNS0_20block_scan_algorithmE0ELj4294967295EEENS1_25partition_config_selectorILNS1_17partition_subalgoE3EjNS0_10empty_typeEbEEZZNS1_14partition_implILS8_3ELb0ES6_jNS0_17counting_iteratorIjlEEPS9_SE_NS0_5tupleIJPjSE_EEENSF_IJSE_SE_EEES9_SG_JZNS1_25segmented_radix_sort_implINS0_14default_configELb0EPKaPaPKlPlN2at6native12_GLOBAL__N_18offset_tEEE10hipError_tPvRmT1_PNSt15iterator_traitsISY_E10value_typeET2_T3_PNSZ_IS14_E10value_typeET4_jRbjT5_S1A_jjP12ihipStream_tbEUljE_EEESV_SW_SX_S14_S18_S1A_T6_T7_T9_mT8_S1C_bDpT10_ENKUlT_T0_E_clISt17integral_constantIbLb0EES1P_EEDaS1K_S1L_EUlS1K_E_NS1_11comp_targetILNS1_3genE2ELNS1_11target_archE906ELNS1_3gpuE6ELNS1_3repE0EEENS1_30default_config_static_selectorELNS0_4arch9wavefront6targetE0EEEvSY_,"axG",@progbits,_ZN7rocprim17ROCPRIM_400000_NS6detail17trampoline_kernelINS0_13select_configILj256ELj13ELNS0_17block_load_methodE3ELS4_3ELS4_3ELNS0_20block_scan_algorithmE0ELj4294967295EEENS1_25partition_config_selectorILNS1_17partition_subalgoE3EjNS0_10empty_typeEbEEZZNS1_14partition_implILS8_3ELb0ES6_jNS0_17counting_iteratorIjlEEPS9_SE_NS0_5tupleIJPjSE_EEENSF_IJSE_SE_EEES9_SG_JZNS1_25segmented_radix_sort_implINS0_14default_configELb0EPKaPaPKlPlN2at6native12_GLOBAL__N_18offset_tEEE10hipError_tPvRmT1_PNSt15iterator_traitsISY_E10value_typeET2_T3_PNSZ_IS14_E10value_typeET4_jRbjT5_S1A_jjP12ihipStream_tbEUljE_EEESV_SW_SX_S14_S18_S1A_T6_T7_T9_mT8_S1C_bDpT10_ENKUlT_T0_E_clISt17integral_constantIbLb0EES1P_EEDaS1K_S1L_EUlS1K_E_NS1_11comp_targetILNS1_3genE2ELNS1_11target_archE906ELNS1_3gpuE6ELNS1_3repE0EEENS1_30default_config_static_selectorELNS0_4arch9wavefront6targetE0EEEvSY_,comdat
.Lfunc_end362:
	.size	_ZN7rocprim17ROCPRIM_400000_NS6detail17trampoline_kernelINS0_13select_configILj256ELj13ELNS0_17block_load_methodE3ELS4_3ELS4_3ELNS0_20block_scan_algorithmE0ELj4294967295EEENS1_25partition_config_selectorILNS1_17partition_subalgoE3EjNS0_10empty_typeEbEEZZNS1_14partition_implILS8_3ELb0ES6_jNS0_17counting_iteratorIjlEEPS9_SE_NS0_5tupleIJPjSE_EEENSF_IJSE_SE_EEES9_SG_JZNS1_25segmented_radix_sort_implINS0_14default_configELb0EPKaPaPKlPlN2at6native12_GLOBAL__N_18offset_tEEE10hipError_tPvRmT1_PNSt15iterator_traitsISY_E10value_typeET2_T3_PNSZ_IS14_E10value_typeET4_jRbjT5_S1A_jjP12ihipStream_tbEUljE_EEESV_SW_SX_S14_S18_S1A_T6_T7_T9_mT8_S1C_bDpT10_ENKUlT_T0_E_clISt17integral_constantIbLb0EES1P_EEDaS1K_S1L_EUlS1K_E_NS1_11comp_targetILNS1_3genE2ELNS1_11target_archE906ELNS1_3gpuE6ELNS1_3repE0EEENS1_30default_config_static_selectorELNS0_4arch9wavefront6targetE0EEEvSY_, .Lfunc_end362-_ZN7rocprim17ROCPRIM_400000_NS6detail17trampoline_kernelINS0_13select_configILj256ELj13ELNS0_17block_load_methodE3ELS4_3ELS4_3ELNS0_20block_scan_algorithmE0ELj4294967295EEENS1_25partition_config_selectorILNS1_17partition_subalgoE3EjNS0_10empty_typeEbEEZZNS1_14partition_implILS8_3ELb0ES6_jNS0_17counting_iteratorIjlEEPS9_SE_NS0_5tupleIJPjSE_EEENSF_IJSE_SE_EEES9_SG_JZNS1_25segmented_radix_sort_implINS0_14default_configELb0EPKaPaPKlPlN2at6native12_GLOBAL__N_18offset_tEEE10hipError_tPvRmT1_PNSt15iterator_traitsISY_E10value_typeET2_T3_PNSZ_IS14_E10value_typeET4_jRbjT5_S1A_jjP12ihipStream_tbEUljE_EEESV_SW_SX_S14_S18_S1A_T6_T7_T9_mT8_S1C_bDpT10_ENKUlT_T0_E_clISt17integral_constantIbLb0EES1P_EEDaS1K_S1L_EUlS1K_E_NS1_11comp_targetILNS1_3genE2ELNS1_11target_archE906ELNS1_3gpuE6ELNS1_3repE0EEENS1_30default_config_static_selectorELNS0_4arch9wavefront6targetE0EEEvSY_
                                        ; -- End function
	.set _ZN7rocprim17ROCPRIM_400000_NS6detail17trampoline_kernelINS0_13select_configILj256ELj13ELNS0_17block_load_methodE3ELS4_3ELS4_3ELNS0_20block_scan_algorithmE0ELj4294967295EEENS1_25partition_config_selectorILNS1_17partition_subalgoE3EjNS0_10empty_typeEbEEZZNS1_14partition_implILS8_3ELb0ES6_jNS0_17counting_iteratorIjlEEPS9_SE_NS0_5tupleIJPjSE_EEENSF_IJSE_SE_EEES9_SG_JZNS1_25segmented_radix_sort_implINS0_14default_configELb0EPKaPaPKlPlN2at6native12_GLOBAL__N_18offset_tEEE10hipError_tPvRmT1_PNSt15iterator_traitsISY_E10value_typeET2_T3_PNSZ_IS14_E10value_typeET4_jRbjT5_S1A_jjP12ihipStream_tbEUljE_EEESV_SW_SX_S14_S18_S1A_T6_T7_T9_mT8_S1C_bDpT10_ENKUlT_T0_E_clISt17integral_constantIbLb0EES1P_EEDaS1K_S1L_EUlS1K_E_NS1_11comp_targetILNS1_3genE2ELNS1_11target_archE906ELNS1_3gpuE6ELNS1_3repE0EEENS1_30default_config_static_selectorELNS0_4arch9wavefront6targetE0EEEvSY_.num_vgpr, 0
	.set _ZN7rocprim17ROCPRIM_400000_NS6detail17trampoline_kernelINS0_13select_configILj256ELj13ELNS0_17block_load_methodE3ELS4_3ELS4_3ELNS0_20block_scan_algorithmE0ELj4294967295EEENS1_25partition_config_selectorILNS1_17partition_subalgoE3EjNS0_10empty_typeEbEEZZNS1_14partition_implILS8_3ELb0ES6_jNS0_17counting_iteratorIjlEEPS9_SE_NS0_5tupleIJPjSE_EEENSF_IJSE_SE_EEES9_SG_JZNS1_25segmented_radix_sort_implINS0_14default_configELb0EPKaPaPKlPlN2at6native12_GLOBAL__N_18offset_tEEE10hipError_tPvRmT1_PNSt15iterator_traitsISY_E10value_typeET2_T3_PNSZ_IS14_E10value_typeET4_jRbjT5_S1A_jjP12ihipStream_tbEUljE_EEESV_SW_SX_S14_S18_S1A_T6_T7_T9_mT8_S1C_bDpT10_ENKUlT_T0_E_clISt17integral_constantIbLb0EES1P_EEDaS1K_S1L_EUlS1K_E_NS1_11comp_targetILNS1_3genE2ELNS1_11target_archE906ELNS1_3gpuE6ELNS1_3repE0EEENS1_30default_config_static_selectorELNS0_4arch9wavefront6targetE0EEEvSY_.num_agpr, 0
	.set _ZN7rocprim17ROCPRIM_400000_NS6detail17trampoline_kernelINS0_13select_configILj256ELj13ELNS0_17block_load_methodE3ELS4_3ELS4_3ELNS0_20block_scan_algorithmE0ELj4294967295EEENS1_25partition_config_selectorILNS1_17partition_subalgoE3EjNS0_10empty_typeEbEEZZNS1_14partition_implILS8_3ELb0ES6_jNS0_17counting_iteratorIjlEEPS9_SE_NS0_5tupleIJPjSE_EEENSF_IJSE_SE_EEES9_SG_JZNS1_25segmented_radix_sort_implINS0_14default_configELb0EPKaPaPKlPlN2at6native12_GLOBAL__N_18offset_tEEE10hipError_tPvRmT1_PNSt15iterator_traitsISY_E10value_typeET2_T3_PNSZ_IS14_E10value_typeET4_jRbjT5_S1A_jjP12ihipStream_tbEUljE_EEESV_SW_SX_S14_S18_S1A_T6_T7_T9_mT8_S1C_bDpT10_ENKUlT_T0_E_clISt17integral_constantIbLb0EES1P_EEDaS1K_S1L_EUlS1K_E_NS1_11comp_targetILNS1_3genE2ELNS1_11target_archE906ELNS1_3gpuE6ELNS1_3repE0EEENS1_30default_config_static_selectorELNS0_4arch9wavefront6targetE0EEEvSY_.numbered_sgpr, 0
	.set _ZN7rocprim17ROCPRIM_400000_NS6detail17trampoline_kernelINS0_13select_configILj256ELj13ELNS0_17block_load_methodE3ELS4_3ELS4_3ELNS0_20block_scan_algorithmE0ELj4294967295EEENS1_25partition_config_selectorILNS1_17partition_subalgoE3EjNS0_10empty_typeEbEEZZNS1_14partition_implILS8_3ELb0ES6_jNS0_17counting_iteratorIjlEEPS9_SE_NS0_5tupleIJPjSE_EEENSF_IJSE_SE_EEES9_SG_JZNS1_25segmented_radix_sort_implINS0_14default_configELb0EPKaPaPKlPlN2at6native12_GLOBAL__N_18offset_tEEE10hipError_tPvRmT1_PNSt15iterator_traitsISY_E10value_typeET2_T3_PNSZ_IS14_E10value_typeET4_jRbjT5_S1A_jjP12ihipStream_tbEUljE_EEESV_SW_SX_S14_S18_S1A_T6_T7_T9_mT8_S1C_bDpT10_ENKUlT_T0_E_clISt17integral_constantIbLb0EES1P_EEDaS1K_S1L_EUlS1K_E_NS1_11comp_targetILNS1_3genE2ELNS1_11target_archE906ELNS1_3gpuE6ELNS1_3repE0EEENS1_30default_config_static_selectorELNS0_4arch9wavefront6targetE0EEEvSY_.num_named_barrier, 0
	.set _ZN7rocprim17ROCPRIM_400000_NS6detail17trampoline_kernelINS0_13select_configILj256ELj13ELNS0_17block_load_methodE3ELS4_3ELS4_3ELNS0_20block_scan_algorithmE0ELj4294967295EEENS1_25partition_config_selectorILNS1_17partition_subalgoE3EjNS0_10empty_typeEbEEZZNS1_14partition_implILS8_3ELb0ES6_jNS0_17counting_iteratorIjlEEPS9_SE_NS0_5tupleIJPjSE_EEENSF_IJSE_SE_EEES9_SG_JZNS1_25segmented_radix_sort_implINS0_14default_configELb0EPKaPaPKlPlN2at6native12_GLOBAL__N_18offset_tEEE10hipError_tPvRmT1_PNSt15iterator_traitsISY_E10value_typeET2_T3_PNSZ_IS14_E10value_typeET4_jRbjT5_S1A_jjP12ihipStream_tbEUljE_EEESV_SW_SX_S14_S18_S1A_T6_T7_T9_mT8_S1C_bDpT10_ENKUlT_T0_E_clISt17integral_constantIbLb0EES1P_EEDaS1K_S1L_EUlS1K_E_NS1_11comp_targetILNS1_3genE2ELNS1_11target_archE906ELNS1_3gpuE6ELNS1_3repE0EEENS1_30default_config_static_selectorELNS0_4arch9wavefront6targetE0EEEvSY_.private_seg_size, 0
	.set _ZN7rocprim17ROCPRIM_400000_NS6detail17trampoline_kernelINS0_13select_configILj256ELj13ELNS0_17block_load_methodE3ELS4_3ELS4_3ELNS0_20block_scan_algorithmE0ELj4294967295EEENS1_25partition_config_selectorILNS1_17partition_subalgoE3EjNS0_10empty_typeEbEEZZNS1_14partition_implILS8_3ELb0ES6_jNS0_17counting_iteratorIjlEEPS9_SE_NS0_5tupleIJPjSE_EEENSF_IJSE_SE_EEES9_SG_JZNS1_25segmented_radix_sort_implINS0_14default_configELb0EPKaPaPKlPlN2at6native12_GLOBAL__N_18offset_tEEE10hipError_tPvRmT1_PNSt15iterator_traitsISY_E10value_typeET2_T3_PNSZ_IS14_E10value_typeET4_jRbjT5_S1A_jjP12ihipStream_tbEUljE_EEESV_SW_SX_S14_S18_S1A_T6_T7_T9_mT8_S1C_bDpT10_ENKUlT_T0_E_clISt17integral_constantIbLb0EES1P_EEDaS1K_S1L_EUlS1K_E_NS1_11comp_targetILNS1_3genE2ELNS1_11target_archE906ELNS1_3gpuE6ELNS1_3repE0EEENS1_30default_config_static_selectorELNS0_4arch9wavefront6targetE0EEEvSY_.uses_vcc, 0
	.set _ZN7rocprim17ROCPRIM_400000_NS6detail17trampoline_kernelINS0_13select_configILj256ELj13ELNS0_17block_load_methodE3ELS4_3ELS4_3ELNS0_20block_scan_algorithmE0ELj4294967295EEENS1_25partition_config_selectorILNS1_17partition_subalgoE3EjNS0_10empty_typeEbEEZZNS1_14partition_implILS8_3ELb0ES6_jNS0_17counting_iteratorIjlEEPS9_SE_NS0_5tupleIJPjSE_EEENSF_IJSE_SE_EEES9_SG_JZNS1_25segmented_radix_sort_implINS0_14default_configELb0EPKaPaPKlPlN2at6native12_GLOBAL__N_18offset_tEEE10hipError_tPvRmT1_PNSt15iterator_traitsISY_E10value_typeET2_T3_PNSZ_IS14_E10value_typeET4_jRbjT5_S1A_jjP12ihipStream_tbEUljE_EEESV_SW_SX_S14_S18_S1A_T6_T7_T9_mT8_S1C_bDpT10_ENKUlT_T0_E_clISt17integral_constantIbLb0EES1P_EEDaS1K_S1L_EUlS1K_E_NS1_11comp_targetILNS1_3genE2ELNS1_11target_archE906ELNS1_3gpuE6ELNS1_3repE0EEENS1_30default_config_static_selectorELNS0_4arch9wavefront6targetE0EEEvSY_.uses_flat_scratch, 0
	.set _ZN7rocprim17ROCPRIM_400000_NS6detail17trampoline_kernelINS0_13select_configILj256ELj13ELNS0_17block_load_methodE3ELS4_3ELS4_3ELNS0_20block_scan_algorithmE0ELj4294967295EEENS1_25partition_config_selectorILNS1_17partition_subalgoE3EjNS0_10empty_typeEbEEZZNS1_14partition_implILS8_3ELb0ES6_jNS0_17counting_iteratorIjlEEPS9_SE_NS0_5tupleIJPjSE_EEENSF_IJSE_SE_EEES9_SG_JZNS1_25segmented_radix_sort_implINS0_14default_configELb0EPKaPaPKlPlN2at6native12_GLOBAL__N_18offset_tEEE10hipError_tPvRmT1_PNSt15iterator_traitsISY_E10value_typeET2_T3_PNSZ_IS14_E10value_typeET4_jRbjT5_S1A_jjP12ihipStream_tbEUljE_EEESV_SW_SX_S14_S18_S1A_T6_T7_T9_mT8_S1C_bDpT10_ENKUlT_T0_E_clISt17integral_constantIbLb0EES1P_EEDaS1K_S1L_EUlS1K_E_NS1_11comp_targetILNS1_3genE2ELNS1_11target_archE906ELNS1_3gpuE6ELNS1_3repE0EEENS1_30default_config_static_selectorELNS0_4arch9wavefront6targetE0EEEvSY_.has_dyn_sized_stack, 0
	.set _ZN7rocprim17ROCPRIM_400000_NS6detail17trampoline_kernelINS0_13select_configILj256ELj13ELNS0_17block_load_methodE3ELS4_3ELS4_3ELNS0_20block_scan_algorithmE0ELj4294967295EEENS1_25partition_config_selectorILNS1_17partition_subalgoE3EjNS0_10empty_typeEbEEZZNS1_14partition_implILS8_3ELb0ES6_jNS0_17counting_iteratorIjlEEPS9_SE_NS0_5tupleIJPjSE_EEENSF_IJSE_SE_EEES9_SG_JZNS1_25segmented_radix_sort_implINS0_14default_configELb0EPKaPaPKlPlN2at6native12_GLOBAL__N_18offset_tEEE10hipError_tPvRmT1_PNSt15iterator_traitsISY_E10value_typeET2_T3_PNSZ_IS14_E10value_typeET4_jRbjT5_S1A_jjP12ihipStream_tbEUljE_EEESV_SW_SX_S14_S18_S1A_T6_T7_T9_mT8_S1C_bDpT10_ENKUlT_T0_E_clISt17integral_constantIbLb0EES1P_EEDaS1K_S1L_EUlS1K_E_NS1_11comp_targetILNS1_3genE2ELNS1_11target_archE906ELNS1_3gpuE6ELNS1_3repE0EEENS1_30default_config_static_selectorELNS0_4arch9wavefront6targetE0EEEvSY_.has_recursion, 0
	.set _ZN7rocprim17ROCPRIM_400000_NS6detail17trampoline_kernelINS0_13select_configILj256ELj13ELNS0_17block_load_methodE3ELS4_3ELS4_3ELNS0_20block_scan_algorithmE0ELj4294967295EEENS1_25partition_config_selectorILNS1_17partition_subalgoE3EjNS0_10empty_typeEbEEZZNS1_14partition_implILS8_3ELb0ES6_jNS0_17counting_iteratorIjlEEPS9_SE_NS0_5tupleIJPjSE_EEENSF_IJSE_SE_EEES9_SG_JZNS1_25segmented_radix_sort_implINS0_14default_configELb0EPKaPaPKlPlN2at6native12_GLOBAL__N_18offset_tEEE10hipError_tPvRmT1_PNSt15iterator_traitsISY_E10value_typeET2_T3_PNSZ_IS14_E10value_typeET4_jRbjT5_S1A_jjP12ihipStream_tbEUljE_EEESV_SW_SX_S14_S18_S1A_T6_T7_T9_mT8_S1C_bDpT10_ENKUlT_T0_E_clISt17integral_constantIbLb0EES1P_EEDaS1K_S1L_EUlS1K_E_NS1_11comp_targetILNS1_3genE2ELNS1_11target_archE906ELNS1_3gpuE6ELNS1_3repE0EEENS1_30default_config_static_selectorELNS0_4arch9wavefront6targetE0EEEvSY_.has_indirect_call, 0
	.section	.AMDGPU.csdata,"",@progbits
; Kernel info:
; codeLenInByte = 0
; TotalNumSgprs: 0
; NumVgprs: 0
; ScratchSize: 0
; MemoryBound: 0
; FloatMode: 240
; IeeeMode: 1
; LDSByteSize: 0 bytes/workgroup (compile time only)
; SGPRBlocks: 0
; VGPRBlocks: 0
; NumSGPRsForWavesPerEU: 1
; NumVGPRsForWavesPerEU: 1
; NamedBarCnt: 0
; Occupancy: 16
; WaveLimiterHint : 0
; COMPUTE_PGM_RSRC2:SCRATCH_EN: 0
; COMPUTE_PGM_RSRC2:USER_SGPR: 2
; COMPUTE_PGM_RSRC2:TRAP_HANDLER: 0
; COMPUTE_PGM_RSRC2:TGID_X_EN: 1
; COMPUTE_PGM_RSRC2:TGID_Y_EN: 0
; COMPUTE_PGM_RSRC2:TGID_Z_EN: 0
; COMPUTE_PGM_RSRC2:TIDIG_COMP_CNT: 0
	.section	.text._ZN7rocprim17ROCPRIM_400000_NS6detail17trampoline_kernelINS0_13select_configILj256ELj13ELNS0_17block_load_methodE3ELS4_3ELS4_3ELNS0_20block_scan_algorithmE0ELj4294967295EEENS1_25partition_config_selectorILNS1_17partition_subalgoE3EjNS0_10empty_typeEbEEZZNS1_14partition_implILS8_3ELb0ES6_jNS0_17counting_iteratorIjlEEPS9_SE_NS0_5tupleIJPjSE_EEENSF_IJSE_SE_EEES9_SG_JZNS1_25segmented_radix_sort_implINS0_14default_configELb0EPKaPaPKlPlN2at6native12_GLOBAL__N_18offset_tEEE10hipError_tPvRmT1_PNSt15iterator_traitsISY_E10value_typeET2_T3_PNSZ_IS14_E10value_typeET4_jRbjT5_S1A_jjP12ihipStream_tbEUljE_EEESV_SW_SX_S14_S18_S1A_T6_T7_T9_mT8_S1C_bDpT10_ENKUlT_T0_E_clISt17integral_constantIbLb0EES1P_EEDaS1K_S1L_EUlS1K_E_NS1_11comp_targetILNS1_3genE10ELNS1_11target_archE1200ELNS1_3gpuE4ELNS1_3repE0EEENS1_30default_config_static_selectorELNS0_4arch9wavefront6targetE0EEEvSY_,"axG",@progbits,_ZN7rocprim17ROCPRIM_400000_NS6detail17trampoline_kernelINS0_13select_configILj256ELj13ELNS0_17block_load_methodE3ELS4_3ELS4_3ELNS0_20block_scan_algorithmE0ELj4294967295EEENS1_25partition_config_selectorILNS1_17partition_subalgoE3EjNS0_10empty_typeEbEEZZNS1_14partition_implILS8_3ELb0ES6_jNS0_17counting_iteratorIjlEEPS9_SE_NS0_5tupleIJPjSE_EEENSF_IJSE_SE_EEES9_SG_JZNS1_25segmented_radix_sort_implINS0_14default_configELb0EPKaPaPKlPlN2at6native12_GLOBAL__N_18offset_tEEE10hipError_tPvRmT1_PNSt15iterator_traitsISY_E10value_typeET2_T3_PNSZ_IS14_E10value_typeET4_jRbjT5_S1A_jjP12ihipStream_tbEUljE_EEESV_SW_SX_S14_S18_S1A_T6_T7_T9_mT8_S1C_bDpT10_ENKUlT_T0_E_clISt17integral_constantIbLb0EES1P_EEDaS1K_S1L_EUlS1K_E_NS1_11comp_targetILNS1_3genE10ELNS1_11target_archE1200ELNS1_3gpuE4ELNS1_3repE0EEENS1_30default_config_static_selectorELNS0_4arch9wavefront6targetE0EEEvSY_,comdat
	.globl	_ZN7rocprim17ROCPRIM_400000_NS6detail17trampoline_kernelINS0_13select_configILj256ELj13ELNS0_17block_load_methodE3ELS4_3ELS4_3ELNS0_20block_scan_algorithmE0ELj4294967295EEENS1_25partition_config_selectorILNS1_17partition_subalgoE3EjNS0_10empty_typeEbEEZZNS1_14partition_implILS8_3ELb0ES6_jNS0_17counting_iteratorIjlEEPS9_SE_NS0_5tupleIJPjSE_EEENSF_IJSE_SE_EEES9_SG_JZNS1_25segmented_radix_sort_implINS0_14default_configELb0EPKaPaPKlPlN2at6native12_GLOBAL__N_18offset_tEEE10hipError_tPvRmT1_PNSt15iterator_traitsISY_E10value_typeET2_T3_PNSZ_IS14_E10value_typeET4_jRbjT5_S1A_jjP12ihipStream_tbEUljE_EEESV_SW_SX_S14_S18_S1A_T6_T7_T9_mT8_S1C_bDpT10_ENKUlT_T0_E_clISt17integral_constantIbLb0EES1P_EEDaS1K_S1L_EUlS1K_E_NS1_11comp_targetILNS1_3genE10ELNS1_11target_archE1200ELNS1_3gpuE4ELNS1_3repE0EEENS1_30default_config_static_selectorELNS0_4arch9wavefront6targetE0EEEvSY_ ; -- Begin function _ZN7rocprim17ROCPRIM_400000_NS6detail17trampoline_kernelINS0_13select_configILj256ELj13ELNS0_17block_load_methodE3ELS4_3ELS4_3ELNS0_20block_scan_algorithmE0ELj4294967295EEENS1_25partition_config_selectorILNS1_17partition_subalgoE3EjNS0_10empty_typeEbEEZZNS1_14partition_implILS8_3ELb0ES6_jNS0_17counting_iteratorIjlEEPS9_SE_NS0_5tupleIJPjSE_EEENSF_IJSE_SE_EEES9_SG_JZNS1_25segmented_radix_sort_implINS0_14default_configELb0EPKaPaPKlPlN2at6native12_GLOBAL__N_18offset_tEEE10hipError_tPvRmT1_PNSt15iterator_traitsISY_E10value_typeET2_T3_PNSZ_IS14_E10value_typeET4_jRbjT5_S1A_jjP12ihipStream_tbEUljE_EEESV_SW_SX_S14_S18_S1A_T6_T7_T9_mT8_S1C_bDpT10_ENKUlT_T0_E_clISt17integral_constantIbLb0EES1P_EEDaS1K_S1L_EUlS1K_E_NS1_11comp_targetILNS1_3genE10ELNS1_11target_archE1200ELNS1_3gpuE4ELNS1_3repE0EEENS1_30default_config_static_selectorELNS0_4arch9wavefront6targetE0EEEvSY_
	.p2align	8
	.type	_ZN7rocprim17ROCPRIM_400000_NS6detail17trampoline_kernelINS0_13select_configILj256ELj13ELNS0_17block_load_methodE3ELS4_3ELS4_3ELNS0_20block_scan_algorithmE0ELj4294967295EEENS1_25partition_config_selectorILNS1_17partition_subalgoE3EjNS0_10empty_typeEbEEZZNS1_14partition_implILS8_3ELb0ES6_jNS0_17counting_iteratorIjlEEPS9_SE_NS0_5tupleIJPjSE_EEENSF_IJSE_SE_EEES9_SG_JZNS1_25segmented_radix_sort_implINS0_14default_configELb0EPKaPaPKlPlN2at6native12_GLOBAL__N_18offset_tEEE10hipError_tPvRmT1_PNSt15iterator_traitsISY_E10value_typeET2_T3_PNSZ_IS14_E10value_typeET4_jRbjT5_S1A_jjP12ihipStream_tbEUljE_EEESV_SW_SX_S14_S18_S1A_T6_T7_T9_mT8_S1C_bDpT10_ENKUlT_T0_E_clISt17integral_constantIbLb0EES1P_EEDaS1K_S1L_EUlS1K_E_NS1_11comp_targetILNS1_3genE10ELNS1_11target_archE1200ELNS1_3gpuE4ELNS1_3repE0EEENS1_30default_config_static_selectorELNS0_4arch9wavefront6targetE0EEEvSY_,@function
_ZN7rocprim17ROCPRIM_400000_NS6detail17trampoline_kernelINS0_13select_configILj256ELj13ELNS0_17block_load_methodE3ELS4_3ELS4_3ELNS0_20block_scan_algorithmE0ELj4294967295EEENS1_25partition_config_selectorILNS1_17partition_subalgoE3EjNS0_10empty_typeEbEEZZNS1_14partition_implILS8_3ELb0ES6_jNS0_17counting_iteratorIjlEEPS9_SE_NS0_5tupleIJPjSE_EEENSF_IJSE_SE_EEES9_SG_JZNS1_25segmented_radix_sort_implINS0_14default_configELb0EPKaPaPKlPlN2at6native12_GLOBAL__N_18offset_tEEE10hipError_tPvRmT1_PNSt15iterator_traitsISY_E10value_typeET2_T3_PNSZ_IS14_E10value_typeET4_jRbjT5_S1A_jjP12ihipStream_tbEUljE_EEESV_SW_SX_S14_S18_S1A_T6_T7_T9_mT8_S1C_bDpT10_ENKUlT_T0_E_clISt17integral_constantIbLb0EES1P_EEDaS1K_S1L_EUlS1K_E_NS1_11comp_targetILNS1_3genE10ELNS1_11target_archE1200ELNS1_3gpuE4ELNS1_3repE0EEENS1_30default_config_static_selectorELNS0_4arch9wavefront6targetE0EEEvSY_: ; @_ZN7rocprim17ROCPRIM_400000_NS6detail17trampoline_kernelINS0_13select_configILj256ELj13ELNS0_17block_load_methodE3ELS4_3ELS4_3ELNS0_20block_scan_algorithmE0ELj4294967295EEENS1_25partition_config_selectorILNS1_17partition_subalgoE3EjNS0_10empty_typeEbEEZZNS1_14partition_implILS8_3ELb0ES6_jNS0_17counting_iteratorIjlEEPS9_SE_NS0_5tupleIJPjSE_EEENSF_IJSE_SE_EEES9_SG_JZNS1_25segmented_radix_sort_implINS0_14default_configELb0EPKaPaPKlPlN2at6native12_GLOBAL__N_18offset_tEEE10hipError_tPvRmT1_PNSt15iterator_traitsISY_E10value_typeET2_T3_PNSZ_IS14_E10value_typeET4_jRbjT5_S1A_jjP12ihipStream_tbEUljE_EEESV_SW_SX_S14_S18_S1A_T6_T7_T9_mT8_S1C_bDpT10_ENKUlT_T0_E_clISt17integral_constantIbLb0EES1P_EEDaS1K_S1L_EUlS1K_E_NS1_11comp_targetILNS1_3genE10ELNS1_11target_archE1200ELNS1_3gpuE4ELNS1_3repE0EEENS1_30default_config_static_selectorELNS0_4arch9wavefront6targetE0EEEvSY_
; %bb.0:
	.section	.rodata,"a",@progbits
	.p2align	6, 0x0
	.amdhsa_kernel _ZN7rocprim17ROCPRIM_400000_NS6detail17trampoline_kernelINS0_13select_configILj256ELj13ELNS0_17block_load_methodE3ELS4_3ELS4_3ELNS0_20block_scan_algorithmE0ELj4294967295EEENS1_25partition_config_selectorILNS1_17partition_subalgoE3EjNS0_10empty_typeEbEEZZNS1_14partition_implILS8_3ELb0ES6_jNS0_17counting_iteratorIjlEEPS9_SE_NS0_5tupleIJPjSE_EEENSF_IJSE_SE_EEES9_SG_JZNS1_25segmented_radix_sort_implINS0_14default_configELb0EPKaPaPKlPlN2at6native12_GLOBAL__N_18offset_tEEE10hipError_tPvRmT1_PNSt15iterator_traitsISY_E10value_typeET2_T3_PNSZ_IS14_E10value_typeET4_jRbjT5_S1A_jjP12ihipStream_tbEUljE_EEESV_SW_SX_S14_S18_S1A_T6_T7_T9_mT8_S1C_bDpT10_ENKUlT_T0_E_clISt17integral_constantIbLb0EES1P_EEDaS1K_S1L_EUlS1K_E_NS1_11comp_targetILNS1_3genE10ELNS1_11target_archE1200ELNS1_3gpuE4ELNS1_3repE0EEENS1_30default_config_static_selectorELNS0_4arch9wavefront6targetE0EEEvSY_
		.amdhsa_group_segment_fixed_size 0
		.amdhsa_private_segment_fixed_size 0
		.amdhsa_kernarg_size 144
		.amdhsa_user_sgpr_count 2
		.amdhsa_user_sgpr_dispatch_ptr 0
		.amdhsa_user_sgpr_queue_ptr 0
		.amdhsa_user_sgpr_kernarg_segment_ptr 1
		.amdhsa_user_sgpr_dispatch_id 0
		.amdhsa_user_sgpr_kernarg_preload_length 0
		.amdhsa_user_sgpr_kernarg_preload_offset 0
		.amdhsa_user_sgpr_private_segment_size 0
		.amdhsa_wavefront_size32 1
		.amdhsa_uses_dynamic_stack 0
		.amdhsa_enable_private_segment 0
		.amdhsa_system_sgpr_workgroup_id_x 1
		.amdhsa_system_sgpr_workgroup_id_y 0
		.amdhsa_system_sgpr_workgroup_id_z 0
		.amdhsa_system_sgpr_workgroup_info 0
		.amdhsa_system_vgpr_workitem_id 0
		.amdhsa_next_free_vgpr 1
		.amdhsa_next_free_sgpr 1
		.amdhsa_named_barrier_count 0
		.amdhsa_reserve_vcc 0
		.amdhsa_float_round_mode_32 0
		.amdhsa_float_round_mode_16_64 0
		.amdhsa_float_denorm_mode_32 3
		.amdhsa_float_denorm_mode_16_64 3
		.amdhsa_fp16_overflow 0
		.amdhsa_memory_ordered 1
		.amdhsa_forward_progress 1
		.amdhsa_inst_pref_size 0
		.amdhsa_round_robin_scheduling 0
		.amdhsa_exception_fp_ieee_invalid_op 0
		.amdhsa_exception_fp_denorm_src 0
		.amdhsa_exception_fp_ieee_div_zero 0
		.amdhsa_exception_fp_ieee_overflow 0
		.amdhsa_exception_fp_ieee_underflow 0
		.amdhsa_exception_fp_ieee_inexact 0
		.amdhsa_exception_int_div_zero 0
	.end_amdhsa_kernel
	.section	.text._ZN7rocprim17ROCPRIM_400000_NS6detail17trampoline_kernelINS0_13select_configILj256ELj13ELNS0_17block_load_methodE3ELS4_3ELS4_3ELNS0_20block_scan_algorithmE0ELj4294967295EEENS1_25partition_config_selectorILNS1_17partition_subalgoE3EjNS0_10empty_typeEbEEZZNS1_14partition_implILS8_3ELb0ES6_jNS0_17counting_iteratorIjlEEPS9_SE_NS0_5tupleIJPjSE_EEENSF_IJSE_SE_EEES9_SG_JZNS1_25segmented_radix_sort_implINS0_14default_configELb0EPKaPaPKlPlN2at6native12_GLOBAL__N_18offset_tEEE10hipError_tPvRmT1_PNSt15iterator_traitsISY_E10value_typeET2_T3_PNSZ_IS14_E10value_typeET4_jRbjT5_S1A_jjP12ihipStream_tbEUljE_EEESV_SW_SX_S14_S18_S1A_T6_T7_T9_mT8_S1C_bDpT10_ENKUlT_T0_E_clISt17integral_constantIbLb0EES1P_EEDaS1K_S1L_EUlS1K_E_NS1_11comp_targetILNS1_3genE10ELNS1_11target_archE1200ELNS1_3gpuE4ELNS1_3repE0EEENS1_30default_config_static_selectorELNS0_4arch9wavefront6targetE0EEEvSY_,"axG",@progbits,_ZN7rocprim17ROCPRIM_400000_NS6detail17trampoline_kernelINS0_13select_configILj256ELj13ELNS0_17block_load_methodE3ELS4_3ELS4_3ELNS0_20block_scan_algorithmE0ELj4294967295EEENS1_25partition_config_selectorILNS1_17partition_subalgoE3EjNS0_10empty_typeEbEEZZNS1_14partition_implILS8_3ELb0ES6_jNS0_17counting_iteratorIjlEEPS9_SE_NS0_5tupleIJPjSE_EEENSF_IJSE_SE_EEES9_SG_JZNS1_25segmented_radix_sort_implINS0_14default_configELb0EPKaPaPKlPlN2at6native12_GLOBAL__N_18offset_tEEE10hipError_tPvRmT1_PNSt15iterator_traitsISY_E10value_typeET2_T3_PNSZ_IS14_E10value_typeET4_jRbjT5_S1A_jjP12ihipStream_tbEUljE_EEESV_SW_SX_S14_S18_S1A_T6_T7_T9_mT8_S1C_bDpT10_ENKUlT_T0_E_clISt17integral_constantIbLb0EES1P_EEDaS1K_S1L_EUlS1K_E_NS1_11comp_targetILNS1_3genE10ELNS1_11target_archE1200ELNS1_3gpuE4ELNS1_3repE0EEENS1_30default_config_static_selectorELNS0_4arch9wavefront6targetE0EEEvSY_,comdat
.Lfunc_end363:
	.size	_ZN7rocprim17ROCPRIM_400000_NS6detail17trampoline_kernelINS0_13select_configILj256ELj13ELNS0_17block_load_methodE3ELS4_3ELS4_3ELNS0_20block_scan_algorithmE0ELj4294967295EEENS1_25partition_config_selectorILNS1_17partition_subalgoE3EjNS0_10empty_typeEbEEZZNS1_14partition_implILS8_3ELb0ES6_jNS0_17counting_iteratorIjlEEPS9_SE_NS0_5tupleIJPjSE_EEENSF_IJSE_SE_EEES9_SG_JZNS1_25segmented_radix_sort_implINS0_14default_configELb0EPKaPaPKlPlN2at6native12_GLOBAL__N_18offset_tEEE10hipError_tPvRmT1_PNSt15iterator_traitsISY_E10value_typeET2_T3_PNSZ_IS14_E10value_typeET4_jRbjT5_S1A_jjP12ihipStream_tbEUljE_EEESV_SW_SX_S14_S18_S1A_T6_T7_T9_mT8_S1C_bDpT10_ENKUlT_T0_E_clISt17integral_constantIbLb0EES1P_EEDaS1K_S1L_EUlS1K_E_NS1_11comp_targetILNS1_3genE10ELNS1_11target_archE1200ELNS1_3gpuE4ELNS1_3repE0EEENS1_30default_config_static_selectorELNS0_4arch9wavefront6targetE0EEEvSY_, .Lfunc_end363-_ZN7rocprim17ROCPRIM_400000_NS6detail17trampoline_kernelINS0_13select_configILj256ELj13ELNS0_17block_load_methodE3ELS4_3ELS4_3ELNS0_20block_scan_algorithmE0ELj4294967295EEENS1_25partition_config_selectorILNS1_17partition_subalgoE3EjNS0_10empty_typeEbEEZZNS1_14partition_implILS8_3ELb0ES6_jNS0_17counting_iteratorIjlEEPS9_SE_NS0_5tupleIJPjSE_EEENSF_IJSE_SE_EEES9_SG_JZNS1_25segmented_radix_sort_implINS0_14default_configELb0EPKaPaPKlPlN2at6native12_GLOBAL__N_18offset_tEEE10hipError_tPvRmT1_PNSt15iterator_traitsISY_E10value_typeET2_T3_PNSZ_IS14_E10value_typeET4_jRbjT5_S1A_jjP12ihipStream_tbEUljE_EEESV_SW_SX_S14_S18_S1A_T6_T7_T9_mT8_S1C_bDpT10_ENKUlT_T0_E_clISt17integral_constantIbLb0EES1P_EEDaS1K_S1L_EUlS1K_E_NS1_11comp_targetILNS1_3genE10ELNS1_11target_archE1200ELNS1_3gpuE4ELNS1_3repE0EEENS1_30default_config_static_selectorELNS0_4arch9wavefront6targetE0EEEvSY_
                                        ; -- End function
	.set _ZN7rocprim17ROCPRIM_400000_NS6detail17trampoline_kernelINS0_13select_configILj256ELj13ELNS0_17block_load_methodE3ELS4_3ELS4_3ELNS0_20block_scan_algorithmE0ELj4294967295EEENS1_25partition_config_selectorILNS1_17partition_subalgoE3EjNS0_10empty_typeEbEEZZNS1_14partition_implILS8_3ELb0ES6_jNS0_17counting_iteratorIjlEEPS9_SE_NS0_5tupleIJPjSE_EEENSF_IJSE_SE_EEES9_SG_JZNS1_25segmented_radix_sort_implINS0_14default_configELb0EPKaPaPKlPlN2at6native12_GLOBAL__N_18offset_tEEE10hipError_tPvRmT1_PNSt15iterator_traitsISY_E10value_typeET2_T3_PNSZ_IS14_E10value_typeET4_jRbjT5_S1A_jjP12ihipStream_tbEUljE_EEESV_SW_SX_S14_S18_S1A_T6_T7_T9_mT8_S1C_bDpT10_ENKUlT_T0_E_clISt17integral_constantIbLb0EES1P_EEDaS1K_S1L_EUlS1K_E_NS1_11comp_targetILNS1_3genE10ELNS1_11target_archE1200ELNS1_3gpuE4ELNS1_3repE0EEENS1_30default_config_static_selectorELNS0_4arch9wavefront6targetE0EEEvSY_.num_vgpr, 0
	.set _ZN7rocprim17ROCPRIM_400000_NS6detail17trampoline_kernelINS0_13select_configILj256ELj13ELNS0_17block_load_methodE3ELS4_3ELS4_3ELNS0_20block_scan_algorithmE0ELj4294967295EEENS1_25partition_config_selectorILNS1_17partition_subalgoE3EjNS0_10empty_typeEbEEZZNS1_14partition_implILS8_3ELb0ES6_jNS0_17counting_iteratorIjlEEPS9_SE_NS0_5tupleIJPjSE_EEENSF_IJSE_SE_EEES9_SG_JZNS1_25segmented_radix_sort_implINS0_14default_configELb0EPKaPaPKlPlN2at6native12_GLOBAL__N_18offset_tEEE10hipError_tPvRmT1_PNSt15iterator_traitsISY_E10value_typeET2_T3_PNSZ_IS14_E10value_typeET4_jRbjT5_S1A_jjP12ihipStream_tbEUljE_EEESV_SW_SX_S14_S18_S1A_T6_T7_T9_mT8_S1C_bDpT10_ENKUlT_T0_E_clISt17integral_constantIbLb0EES1P_EEDaS1K_S1L_EUlS1K_E_NS1_11comp_targetILNS1_3genE10ELNS1_11target_archE1200ELNS1_3gpuE4ELNS1_3repE0EEENS1_30default_config_static_selectorELNS0_4arch9wavefront6targetE0EEEvSY_.num_agpr, 0
	.set _ZN7rocprim17ROCPRIM_400000_NS6detail17trampoline_kernelINS0_13select_configILj256ELj13ELNS0_17block_load_methodE3ELS4_3ELS4_3ELNS0_20block_scan_algorithmE0ELj4294967295EEENS1_25partition_config_selectorILNS1_17partition_subalgoE3EjNS0_10empty_typeEbEEZZNS1_14partition_implILS8_3ELb0ES6_jNS0_17counting_iteratorIjlEEPS9_SE_NS0_5tupleIJPjSE_EEENSF_IJSE_SE_EEES9_SG_JZNS1_25segmented_radix_sort_implINS0_14default_configELb0EPKaPaPKlPlN2at6native12_GLOBAL__N_18offset_tEEE10hipError_tPvRmT1_PNSt15iterator_traitsISY_E10value_typeET2_T3_PNSZ_IS14_E10value_typeET4_jRbjT5_S1A_jjP12ihipStream_tbEUljE_EEESV_SW_SX_S14_S18_S1A_T6_T7_T9_mT8_S1C_bDpT10_ENKUlT_T0_E_clISt17integral_constantIbLb0EES1P_EEDaS1K_S1L_EUlS1K_E_NS1_11comp_targetILNS1_3genE10ELNS1_11target_archE1200ELNS1_3gpuE4ELNS1_3repE0EEENS1_30default_config_static_selectorELNS0_4arch9wavefront6targetE0EEEvSY_.numbered_sgpr, 0
	.set _ZN7rocprim17ROCPRIM_400000_NS6detail17trampoline_kernelINS0_13select_configILj256ELj13ELNS0_17block_load_methodE3ELS4_3ELS4_3ELNS0_20block_scan_algorithmE0ELj4294967295EEENS1_25partition_config_selectorILNS1_17partition_subalgoE3EjNS0_10empty_typeEbEEZZNS1_14partition_implILS8_3ELb0ES6_jNS0_17counting_iteratorIjlEEPS9_SE_NS0_5tupleIJPjSE_EEENSF_IJSE_SE_EEES9_SG_JZNS1_25segmented_radix_sort_implINS0_14default_configELb0EPKaPaPKlPlN2at6native12_GLOBAL__N_18offset_tEEE10hipError_tPvRmT1_PNSt15iterator_traitsISY_E10value_typeET2_T3_PNSZ_IS14_E10value_typeET4_jRbjT5_S1A_jjP12ihipStream_tbEUljE_EEESV_SW_SX_S14_S18_S1A_T6_T7_T9_mT8_S1C_bDpT10_ENKUlT_T0_E_clISt17integral_constantIbLb0EES1P_EEDaS1K_S1L_EUlS1K_E_NS1_11comp_targetILNS1_3genE10ELNS1_11target_archE1200ELNS1_3gpuE4ELNS1_3repE0EEENS1_30default_config_static_selectorELNS0_4arch9wavefront6targetE0EEEvSY_.num_named_barrier, 0
	.set _ZN7rocprim17ROCPRIM_400000_NS6detail17trampoline_kernelINS0_13select_configILj256ELj13ELNS0_17block_load_methodE3ELS4_3ELS4_3ELNS0_20block_scan_algorithmE0ELj4294967295EEENS1_25partition_config_selectorILNS1_17partition_subalgoE3EjNS0_10empty_typeEbEEZZNS1_14partition_implILS8_3ELb0ES6_jNS0_17counting_iteratorIjlEEPS9_SE_NS0_5tupleIJPjSE_EEENSF_IJSE_SE_EEES9_SG_JZNS1_25segmented_radix_sort_implINS0_14default_configELb0EPKaPaPKlPlN2at6native12_GLOBAL__N_18offset_tEEE10hipError_tPvRmT1_PNSt15iterator_traitsISY_E10value_typeET2_T3_PNSZ_IS14_E10value_typeET4_jRbjT5_S1A_jjP12ihipStream_tbEUljE_EEESV_SW_SX_S14_S18_S1A_T6_T7_T9_mT8_S1C_bDpT10_ENKUlT_T0_E_clISt17integral_constantIbLb0EES1P_EEDaS1K_S1L_EUlS1K_E_NS1_11comp_targetILNS1_3genE10ELNS1_11target_archE1200ELNS1_3gpuE4ELNS1_3repE0EEENS1_30default_config_static_selectorELNS0_4arch9wavefront6targetE0EEEvSY_.private_seg_size, 0
	.set _ZN7rocprim17ROCPRIM_400000_NS6detail17trampoline_kernelINS0_13select_configILj256ELj13ELNS0_17block_load_methodE3ELS4_3ELS4_3ELNS0_20block_scan_algorithmE0ELj4294967295EEENS1_25partition_config_selectorILNS1_17partition_subalgoE3EjNS0_10empty_typeEbEEZZNS1_14partition_implILS8_3ELb0ES6_jNS0_17counting_iteratorIjlEEPS9_SE_NS0_5tupleIJPjSE_EEENSF_IJSE_SE_EEES9_SG_JZNS1_25segmented_radix_sort_implINS0_14default_configELb0EPKaPaPKlPlN2at6native12_GLOBAL__N_18offset_tEEE10hipError_tPvRmT1_PNSt15iterator_traitsISY_E10value_typeET2_T3_PNSZ_IS14_E10value_typeET4_jRbjT5_S1A_jjP12ihipStream_tbEUljE_EEESV_SW_SX_S14_S18_S1A_T6_T7_T9_mT8_S1C_bDpT10_ENKUlT_T0_E_clISt17integral_constantIbLb0EES1P_EEDaS1K_S1L_EUlS1K_E_NS1_11comp_targetILNS1_3genE10ELNS1_11target_archE1200ELNS1_3gpuE4ELNS1_3repE0EEENS1_30default_config_static_selectorELNS0_4arch9wavefront6targetE0EEEvSY_.uses_vcc, 0
	.set _ZN7rocprim17ROCPRIM_400000_NS6detail17trampoline_kernelINS0_13select_configILj256ELj13ELNS0_17block_load_methodE3ELS4_3ELS4_3ELNS0_20block_scan_algorithmE0ELj4294967295EEENS1_25partition_config_selectorILNS1_17partition_subalgoE3EjNS0_10empty_typeEbEEZZNS1_14partition_implILS8_3ELb0ES6_jNS0_17counting_iteratorIjlEEPS9_SE_NS0_5tupleIJPjSE_EEENSF_IJSE_SE_EEES9_SG_JZNS1_25segmented_radix_sort_implINS0_14default_configELb0EPKaPaPKlPlN2at6native12_GLOBAL__N_18offset_tEEE10hipError_tPvRmT1_PNSt15iterator_traitsISY_E10value_typeET2_T3_PNSZ_IS14_E10value_typeET4_jRbjT5_S1A_jjP12ihipStream_tbEUljE_EEESV_SW_SX_S14_S18_S1A_T6_T7_T9_mT8_S1C_bDpT10_ENKUlT_T0_E_clISt17integral_constantIbLb0EES1P_EEDaS1K_S1L_EUlS1K_E_NS1_11comp_targetILNS1_3genE10ELNS1_11target_archE1200ELNS1_3gpuE4ELNS1_3repE0EEENS1_30default_config_static_selectorELNS0_4arch9wavefront6targetE0EEEvSY_.uses_flat_scratch, 0
	.set _ZN7rocprim17ROCPRIM_400000_NS6detail17trampoline_kernelINS0_13select_configILj256ELj13ELNS0_17block_load_methodE3ELS4_3ELS4_3ELNS0_20block_scan_algorithmE0ELj4294967295EEENS1_25partition_config_selectorILNS1_17partition_subalgoE3EjNS0_10empty_typeEbEEZZNS1_14partition_implILS8_3ELb0ES6_jNS0_17counting_iteratorIjlEEPS9_SE_NS0_5tupleIJPjSE_EEENSF_IJSE_SE_EEES9_SG_JZNS1_25segmented_radix_sort_implINS0_14default_configELb0EPKaPaPKlPlN2at6native12_GLOBAL__N_18offset_tEEE10hipError_tPvRmT1_PNSt15iterator_traitsISY_E10value_typeET2_T3_PNSZ_IS14_E10value_typeET4_jRbjT5_S1A_jjP12ihipStream_tbEUljE_EEESV_SW_SX_S14_S18_S1A_T6_T7_T9_mT8_S1C_bDpT10_ENKUlT_T0_E_clISt17integral_constantIbLb0EES1P_EEDaS1K_S1L_EUlS1K_E_NS1_11comp_targetILNS1_3genE10ELNS1_11target_archE1200ELNS1_3gpuE4ELNS1_3repE0EEENS1_30default_config_static_selectorELNS0_4arch9wavefront6targetE0EEEvSY_.has_dyn_sized_stack, 0
	.set _ZN7rocprim17ROCPRIM_400000_NS6detail17trampoline_kernelINS0_13select_configILj256ELj13ELNS0_17block_load_methodE3ELS4_3ELS4_3ELNS0_20block_scan_algorithmE0ELj4294967295EEENS1_25partition_config_selectorILNS1_17partition_subalgoE3EjNS0_10empty_typeEbEEZZNS1_14partition_implILS8_3ELb0ES6_jNS0_17counting_iteratorIjlEEPS9_SE_NS0_5tupleIJPjSE_EEENSF_IJSE_SE_EEES9_SG_JZNS1_25segmented_radix_sort_implINS0_14default_configELb0EPKaPaPKlPlN2at6native12_GLOBAL__N_18offset_tEEE10hipError_tPvRmT1_PNSt15iterator_traitsISY_E10value_typeET2_T3_PNSZ_IS14_E10value_typeET4_jRbjT5_S1A_jjP12ihipStream_tbEUljE_EEESV_SW_SX_S14_S18_S1A_T6_T7_T9_mT8_S1C_bDpT10_ENKUlT_T0_E_clISt17integral_constantIbLb0EES1P_EEDaS1K_S1L_EUlS1K_E_NS1_11comp_targetILNS1_3genE10ELNS1_11target_archE1200ELNS1_3gpuE4ELNS1_3repE0EEENS1_30default_config_static_selectorELNS0_4arch9wavefront6targetE0EEEvSY_.has_recursion, 0
	.set _ZN7rocprim17ROCPRIM_400000_NS6detail17trampoline_kernelINS0_13select_configILj256ELj13ELNS0_17block_load_methodE3ELS4_3ELS4_3ELNS0_20block_scan_algorithmE0ELj4294967295EEENS1_25partition_config_selectorILNS1_17partition_subalgoE3EjNS0_10empty_typeEbEEZZNS1_14partition_implILS8_3ELb0ES6_jNS0_17counting_iteratorIjlEEPS9_SE_NS0_5tupleIJPjSE_EEENSF_IJSE_SE_EEES9_SG_JZNS1_25segmented_radix_sort_implINS0_14default_configELb0EPKaPaPKlPlN2at6native12_GLOBAL__N_18offset_tEEE10hipError_tPvRmT1_PNSt15iterator_traitsISY_E10value_typeET2_T3_PNSZ_IS14_E10value_typeET4_jRbjT5_S1A_jjP12ihipStream_tbEUljE_EEESV_SW_SX_S14_S18_S1A_T6_T7_T9_mT8_S1C_bDpT10_ENKUlT_T0_E_clISt17integral_constantIbLb0EES1P_EEDaS1K_S1L_EUlS1K_E_NS1_11comp_targetILNS1_3genE10ELNS1_11target_archE1200ELNS1_3gpuE4ELNS1_3repE0EEENS1_30default_config_static_selectorELNS0_4arch9wavefront6targetE0EEEvSY_.has_indirect_call, 0
	.section	.AMDGPU.csdata,"",@progbits
; Kernel info:
; codeLenInByte = 0
; TotalNumSgprs: 0
; NumVgprs: 0
; ScratchSize: 0
; MemoryBound: 0
; FloatMode: 240
; IeeeMode: 1
; LDSByteSize: 0 bytes/workgroup (compile time only)
; SGPRBlocks: 0
; VGPRBlocks: 0
; NumSGPRsForWavesPerEU: 1
; NumVGPRsForWavesPerEU: 1
; NamedBarCnt: 0
; Occupancy: 16
; WaveLimiterHint : 0
; COMPUTE_PGM_RSRC2:SCRATCH_EN: 0
; COMPUTE_PGM_RSRC2:USER_SGPR: 2
; COMPUTE_PGM_RSRC2:TRAP_HANDLER: 0
; COMPUTE_PGM_RSRC2:TGID_X_EN: 1
; COMPUTE_PGM_RSRC2:TGID_Y_EN: 0
; COMPUTE_PGM_RSRC2:TGID_Z_EN: 0
; COMPUTE_PGM_RSRC2:TIDIG_COMP_CNT: 0
	.section	.text._ZN7rocprim17ROCPRIM_400000_NS6detail17trampoline_kernelINS0_13select_configILj256ELj13ELNS0_17block_load_methodE3ELS4_3ELS4_3ELNS0_20block_scan_algorithmE0ELj4294967295EEENS1_25partition_config_selectorILNS1_17partition_subalgoE3EjNS0_10empty_typeEbEEZZNS1_14partition_implILS8_3ELb0ES6_jNS0_17counting_iteratorIjlEEPS9_SE_NS0_5tupleIJPjSE_EEENSF_IJSE_SE_EEES9_SG_JZNS1_25segmented_radix_sort_implINS0_14default_configELb0EPKaPaPKlPlN2at6native12_GLOBAL__N_18offset_tEEE10hipError_tPvRmT1_PNSt15iterator_traitsISY_E10value_typeET2_T3_PNSZ_IS14_E10value_typeET4_jRbjT5_S1A_jjP12ihipStream_tbEUljE_EEESV_SW_SX_S14_S18_S1A_T6_T7_T9_mT8_S1C_bDpT10_ENKUlT_T0_E_clISt17integral_constantIbLb0EES1P_EEDaS1K_S1L_EUlS1K_E_NS1_11comp_targetILNS1_3genE9ELNS1_11target_archE1100ELNS1_3gpuE3ELNS1_3repE0EEENS1_30default_config_static_selectorELNS0_4arch9wavefront6targetE0EEEvSY_,"axG",@progbits,_ZN7rocprim17ROCPRIM_400000_NS6detail17trampoline_kernelINS0_13select_configILj256ELj13ELNS0_17block_load_methodE3ELS4_3ELS4_3ELNS0_20block_scan_algorithmE0ELj4294967295EEENS1_25partition_config_selectorILNS1_17partition_subalgoE3EjNS0_10empty_typeEbEEZZNS1_14partition_implILS8_3ELb0ES6_jNS0_17counting_iteratorIjlEEPS9_SE_NS0_5tupleIJPjSE_EEENSF_IJSE_SE_EEES9_SG_JZNS1_25segmented_radix_sort_implINS0_14default_configELb0EPKaPaPKlPlN2at6native12_GLOBAL__N_18offset_tEEE10hipError_tPvRmT1_PNSt15iterator_traitsISY_E10value_typeET2_T3_PNSZ_IS14_E10value_typeET4_jRbjT5_S1A_jjP12ihipStream_tbEUljE_EEESV_SW_SX_S14_S18_S1A_T6_T7_T9_mT8_S1C_bDpT10_ENKUlT_T0_E_clISt17integral_constantIbLb0EES1P_EEDaS1K_S1L_EUlS1K_E_NS1_11comp_targetILNS1_3genE9ELNS1_11target_archE1100ELNS1_3gpuE3ELNS1_3repE0EEENS1_30default_config_static_selectorELNS0_4arch9wavefront6targetE0EEEvSY_,comdat
	.globl	_ZN7rocprim17ROCPRIM_400000_NS6detail17trampoline_kernelINS0_13select_configILj256ELj13ELNS0_17block_load_methodE3ELS4_3ELS4_3ELNS0_20block_scan_algorithmE0ELj4294967295EEENS1_25partition_config_selectorILNS1_17partition_subalgoE3EjNS0_10empty_typeEbEEZZNS1_14partition_implILS8_3ELb0ES6_jNS0_17counting_iteratorIjlEEPS9_SE_NS0_5tupleIJPjSE_EEENSF_IJSE_SE_EEES9_SG_JZNS1_25segmented_radix_sort_implINS0_14default_configELb0EPKaPaPKlPlN2at6native12_GLOBAL__N_18offset_tEEE10hipError_tPvRmT1_PNSt15iterator_traitsISY_E10value_typeET2_T3_PNSZ_IS14_E10value_typeET4_jRbjT5_S1A_jjP12ihipStream_tbEUljE_EEESV_SW_SX_S14_S18_S1A_T6_T7_T9_mT8_S1C_bDpT10_ENKUlT_T0_E_clISt17integral_constantIbLb0EES1P_EEDaS1K_S1L_EUlS1K_E_NS1_11comp_targetILNS1_3genE9ELNS1_11target_archE1100ELNS1_3gpuE3ELNS1_3repE0EEENS1_30default_config_static_selectorELNS0_4arch9wavefront6targetE0EEEvSY_ ; -- Begin function _ZN7rocprim17ROCPRIM_400000_NS6detail17trampoline_kernelINS0_13select_configILj256ELj13ELNS0_17block_load_methodE3ELS4_3ELS4_3ELNS0_20block_scan_algorithmE0ELj4294967295EEENS1_25partition_config_selectorILNS1_17partition_subalgoE3EjNS0_10empty_typeEbEEZZNS1_14partition_implILS8_3ELb0ES6_jNS0_17counting_iteratorIjlEEPS9_SE_NS0_5tupleIJPjSE_EEENSF_IJSE_SE_EEES9_SG_JZNS1_25segmented_radix_sort_implINS0_14default_configELb0EPKaPaPKlPlN2at6native12_GLOBAL__N_18offset_tEEE10hipError_tPvRmT1_PNSt15iterator_traitsISY_E10value_typeET2_T3_PNSZ_IS14_E10value_typeET4_jRbjT5_S1A_jjP12ihipStream_tbEUljE_EEESV_SW_SX_S14_S18_S1A_T6_T7_T9_mT8_S1C_bDpT10_ENKUlT_T0_E_clISt17integral_constantIbLb0EES1P_EEDaS1K_S1L_EUlS1K_E_NS1_11comp_targetILNS1_3genE9ELNS1_11target_archE1100ELNS1_3gpuE3ELNS1_3repE0EEENS1_30default_config_static_selectorELNS0_4arch9wavefront6targetE0EEEvSY_
	.p2align	8
	.type	_ZN7rocprim17ROCPRIM_400000_NS6detail17trampoline_kernelINS0_13select_configILj256ELj13ELNS0_17block_load_methodE3ELS4_3ELS4_3ELNS0_20block_scan_algorithmE0ELj4294967295EEENS1_25partition_config_selectorILNS1_17partition_subalgoE3EjNS0_10empty_typeEbEEZZNS1_14partition_implILS8_3ELb0ES6_jNS0_17counting_iteratorIjlEEPS9_SE_NS0_5tupleIJPjSE_EEENSF_IJSE_SE_EEES9_SG_JZNS1_25segmented_radix_sort_implINS0_14default_configELb0EPKaPaPKlPlN2at6native12_GLOBAL__N_18offset_tEEE10hipError_tPvRmT1_PNSt15iterator_traitsISY_E10value_typeET2_T3_PNSZ_IS14_E10value_typeET4_jRbjT5_S1A_jjP12ihipStream_tbEUljE_EEESV_SW_SX_S14_S18_S1A_T6_T7_T9_mT8_S1C_bDpT10_ENKUlT_T0_E_clISt17integral_constantIbLb0EES1P_EEDaS1K_S1L_EUlS1K_E_NS1_11comp_targetILNS1_3genE9ELNS1_11target_archE1100ELNS1_3gpuE3ELNS1_3repE0EEENS1_30default_config_static_selectorELNS0_4arch9wavefront6targetE0EEEvSY_,@function
_ZN7rocprim17ROCPRIM_400000_NS6detail17trampoline_kernelINS0_13select_configILj256ELj13ELNS0_17block_load_methodE3ELS4_3ELS4_3ELNS0_20block_scan_algorithmE0ELj4294967295EEENS1_25partition_config_selectorILNS1_17partition_subalgoE3EjNS0_10empty_typeEbEEZZNS1_14partition_implILS8_3ELb0ES6_jNS0_17counting_iteratorIjlEEPS9_SE_NS0_5tupleIJPjSE_EEENSF_IJSE_SE_EEES9_SG_JZNS1_25segmented_radix_sort_implINS0_14default_configELb0EPKaPaPKlPlN2at6native12_GLOBAL__N_18offset_tEEE10hipError_tPvRmT1_PNSt15iterator_traitsISY_E10value_typeET2_T3_PNSZ_IS14_E10value_typeET4_jRbjT5_S1A_jjP12ihipStream_tbEUljE_EEESV_SW_SX_S14_S18_S1A_T6_T7_T9_mT8_S1C_bDpT10_ENKUlT_T0_E_clISt17integral_constantIbLb0EES1P_EEDaS1K_S1L_EUlS1K_E_NS1_11comp_targetILNS1_3genE9ELNS1_11target_archE1100ELNS1_3gpuE3ELNS1_3repE0EEENS1_30default_config_static_selectorELNS0_4arch9wavefront6targetE0EEEvSY_: ; @_ZN7rocprim17ROCPRIM_400000_NS6detail17trampoline_kernelINS0_13select_configILj256ELj13ELNS0_17block_load_methodE3ELS4_3ELS4_3ELNS0_20block_scan_algorithmE0ELj4294967295EEENS1_25partition_config_selectorILNS1_17partition_subalgoE3EjNS0_10empty_typeEbEEZZNS1_14partition_implILS8_3ELb0ES6_jNS0_17counting_iteratorIjlEEPS9_SE_NS0_5tupleIJPjSE_EEENSF_IJSE_SE_EEES9_SG_JZNS1_25segmented_radix_sort_implINS0_14default_configELb0EPKaPaPKlPlN2at6native12_GLOBAL__N_18offset_tEEE10hipError_tPvRmT1_PNSt15iterator_traitsISY_E10value_typeET2_T3_PNSZ_IS14_E10value_typeET4_jRbjT5_S1A_jjP12ihipStream_tbEUljE_EEESV_SW_SX_S14_S18_S1A_T6_T7_T9_mT8_S1C_bDpT10_ENKUlT_T0_E_clISt17integral_constantIbLb0EES1P_EEDaS1K_S1L_EUlS1K_E_NS1_11comp_targetILNS1_3genE9ELNS1_11target_archE1100ELNS1_3gpuE3ELNS1_3repE0EEENS1_30default_config_static_selectorELNS0_4arch9wavefront6targetE0EEEvSY_
; %bb.0:
	.section	.rodata,"a",@progbits
	.p2align	6, 0x0
	.amdhsa_kernel _ZN7rocprim17ROCPRIM_400000_NS6detail17trampoline_kernelINS0_13select_configILj256ELj13ELNS0_17block_load_methodE3ELS4_3ELS4_3ELNS0_20block_scan_algorithmE0ELj4294967295EEENS1_25partition_config_selectorILNS1_17partition_subalgoE3EjNS0_10empty_typeEbEEZZNS1_14partition_implILS8_3ELb0ES6_jNS0_17counting_iteratorIjlEEPS9_SE_NS0_5tupleIJPjSE_EEENSF_IJSE_SE_EEES9_SG_JZNS1_25segmented_radix_sort_implINS0_14default_configELb0EPKaPaPKlPlN2at6native12_GLOBAL__N_18offset_tEEE10hipError_tPvRmT1_PNSt15iterator_traitsISY_E10value_typeET2_T3_PNSZ_IS14_E10value_typeET4_jRbjT5_S1A_jjP12ihipStream_tbEUljE_EEESV_SW_SX_S14_S18_S1A_T6_T7_T9_mT8_S1C_bDpT10_ENKUlT_T0_E_clISt17integral_constantIbLb0EES1P_EEDaS1K_S1L_EUlS1K_E_NS1_11comp_targetILNS1_3genE9ELNS1_11target_archE1100ELNS1_3gpuE3ELNS1_3repE0EEENS1_30default_config_static_selectorELNS0_4arch9wavefront6targetE0EEEvSY_
		.amdhsa_group_segment_fixed_size 0
		.amdhsa_private_segment_fixed_size 0
		.amdhsa_kernarg_size 144
		.amdhsa_user_sgpr_count 2
		.amdhsa_user_sgpr_dispatch_ptr 0
		.amdhsa_user_sgpr_queue_ptr 0
		.amdhsa_user_sgpr_kernarg_segment_ptr 1
		.amdhsa_user_sgpr_dispatch_id 0
		.amdhsa_user_sgpr_kernarg_preload_length 0
		.amdhsa_user_sgpr_kernarg_preload_offset 0
		.amdhsa_user_sgpr_private_segment_size 0
		.amdhsa_wavefront_size32 1
		.amdhsa_uses_dynamic_stack 0
		.amdhsa_enable_private_segment 0
		.amdhsa_system_sgpr_workgroup_id_x 1
		.amdhsa_system_sgpr_workgroup_id_y 0
		.amdhsa_system_sgpr_workgroup_id_z 0
		.amdhsa_system_sgpr_workgroup_info 0
		.amdhsa_system_vgpr_workitem_id 0
		.amdhsa_next_free_vgpr 1
		.amdhsa_next_free_sgpr 1
		.amdhsa_named_barrier_count 0
		.amdhsa_reserve_vcc 0
		.amdhsa_float_round_mode_32 0
		.amdhsa_float_round_mode_16_64 0
		.amdhsa_float_denorm_mode_32 3
		.amdhsa_float_denorm_mode_16_64 3
		.amdhsa_fp16_overflow 0
		.amdhsa_memory_ordered 1
		.amdhsa_forward_progress 1
		.amdhsa_inst_pref_size 0
		.amdhsa_round_robin_scheduling 0
		.amdhsa_exception_fp_ieee_invalid_op 0
		.amdhsa_exception_fp_denorm_src 0
		.amdhsa_exception_fp_ieee_div_zero 0
		.amdhsa_exception_fp_ieee_overflow 0
		.amdhsa_exception_fp_ieee_underflow 0
		.amdhsa_exception_fp_ieee_inexact 0
		.amdhsa_exception_int_div_zero 0
	.end_amdhsa_kernel
	.section	.text._ZN7rocprim17ROCPRIM_400000_NS6detail17trampoline_kernelINS0_13select_configILj256ELj13ELNS0_17block_load_methodE3ELS4_3ELS4_3ELNS0_20block_scan_algorithmE0ELj4294967295EEENS1_25partition_config_selectorILNS1_17partition_subalgoE3EjNS0_10empty_typeEbEEZZNS1_14partition_implILS8_3ELb0ES6_jNS0_17counting_iteratorIjlEEPS9_SE_NS0_5tupleIJPjSE_EEENSF_IJSE_SE_EEES9_SG_JZNS1_25segmented_radix_sort_implINS0_14default_configELb0EPKaPaPKlPlN2at6native12_GLOBAL__N_18offset_tEEE10hipError_tPvRmT1_PNSt15iterator_traitsISY_E10value_typeET2_T3_PNSZ_IS14_E10value_typeET4_jRbjT5_S1A_jjP12ihipStream_tbEUljE_EEESV_SW_SX_S14_S18_S1A_T6_T7_T9_mT8_S1C_bDpT10_ENKUlT_T0_E_clISt17integral_constantIbLb0EES1P_EEDaS1K_S1L_EUlS1K_E_NS1_11comp_targetILNS1_3genE9ELNS1_11target_archE1100ELNS1_3gpuE3ELNS1_3repE0EEENS1_30default_config_static_selectorELNS0_4arch9wavefront6targetE0EEEvSY_,"axG",@progbits,_ZN7rocprim17ROCPRIM_400000_NS6detail17trampoline_kernelINS0_13select_configILj256ELj13ELNS0_17block_load_methodE3ELS4_3ELS4_3ELNS0_20block_scan_algorithmE0ELj4294967295EEENS1_25partition_config_selectorILNS1_17partition_subalgoE3EjNS0_10empty_typeEbEEZZNS1_14partition_implILS8_3ELb0ES6_jNS0_17counting_iteratorIjlEEPS9_SE_NS0_5tupleIJPjSE_EEENSF_IJSE_SE_EEES9_SG_JZNS1_25segmented_radix_sort_implINS0_14default_configELb0EPKaPaPKlPlN2at6native12_GLOBAL__N_18offset_tEEE10hipError_tPvRmT1_PNSt15iterator_traitsISY_E10value_typeET2_T3_PNSZ_IS14_E10value_typeET4_jRbjT5_S1A_jjP12ihipStream_tbEUljE_EEESV_SW_SX_S14_S18_S1A_T6_T7_T9_mT8_S1C_bDpT10_ENKUlT_T0_E_clISt17integral_constantIbLb0EES1P_EEDaS1K_S1L_EUlS1K_E_NS1_11comp_targetILNS1_3genE9ELNS1_11target_archE1100ELNS1_3gpuE3ELNS1_3repE0EEENS1_30default_config_static_selectorELNS0_4arch9wavefront6targetE0EEEvSY_,comdat
.Lfunc_end364:
	.size	_ZN7rocprim17ROCPRIM_400000_NS6detail17trampoline_kernelINS0_13select_configILj256ELj13ELNS0_17block_load_methodE3ELS4_3ELS4_3ELNS0_20block_scan_algorithmE0ELj4294967295EEENS1_25partition_config_selectorILNS1_17partition_subalgoE3EjNS0_10empty_typeEbEEZZNS1_14partition_implILS8_3ELb0ES6_jNS0_17counting_iteratorIjlEEPS9_SE_NS0_5tupleIJPjSE_EEENSF_IJSE_SE_EEES9_SG_JZNS1_25segmented_radix_sort_implINS0_14default_configELb0EPKaPaPKlPlN2at6native12_GLOBAL__N_18offset_tEEE10hipError_tPvRmT1_PNSt15iterator_traitsISY_E10value_typeET2_T3_PNSZ_IS14_E10value_typeET4_jRbjT5_S1A_jjP12ihipStream_tbEUljE_EEESV_SW_SX_S14_S18_S1A_T6_T7_T9_mT8_S1C_bDpT10_ENKUlT_T0_E_clISt17integral_constantIbLb0EES1P_EEDaS1K_S1L_EUlS1K_E_NS1_11comp_targetILNS1_3genE9ELNS1_11target_archE1100ELNS1_3gpuE3ELNS1_3repE0EEENS1_30default_config_static_selectorELNS0_4arch9wavefront6targetE0EEEvSY_, .Lfunc_end364-_ZN7rocprim17ROCPRIM_400000_NS6detail17trampoline_kernelINS0_13select_configILj256ELj13ELNS0_17block_load_methodE3ELS4_3ELS4_3ELNS0_20block_scan_algorithmE0ELj4294967295EEENS1_25partition_config_selectorILNS1_17partition_subalgoE3EjNS0_10empty_typeEbEEZZNS1_14partition_implILS8_3ELb0ES6_jNS0_17counting_iteratorIjlEEPS9_SE_NS0_5tupleIJPjSE_EEENSF_IJSE_SE_EEES9_SG_JZNS1_25segmented_radix_sort_implINS0_14default_configELb0EPKaPaPKlPlN2at6native12_GLOBAL__N_18offset_tEEE10hipError_tPvRmT1_PNSt15iterator_traitsISY_E10value_typeET2_T3_PNSZ_IS14_E10value_typeET4_jRbjT5_S1A_jjP12ihipStream_tbEUljE_EEESV_SW_SX_S14_S18_S1A_T6_T7_T9_mT8_S1C_bDpT10_ENKUlT_T0_E_clISt17integral_constantIbLb0EES1P_EEDaS1K_S1L_EUlS1K_E_NS1_11comp_targetILNS1_3genE9ELNS1_11target_archE1100ELNS1_3gpuE3ELNS1_3repE0EEENS1_30default_config_static_selectorELNS0_4arch9wavefront6targetE0EEEvSY_
                                        ; -- End function
	.set _ZN7rocprim17ROCPRIM_400000_NS6detail17trampoline_kernelINS0_13select_configILj256ELj13ELNS0_17block_load_methodE3ELS4_3ELS4_3ELNS0_20block_scan_algorithmE0ELj4294967295EEENS1_25partition_config_selectorILNS1_17partition_subalgoE3EjNS0_10empty_typeEbEEZZNS1_14partition_implILS8_3ELb0ES6_jNS0_17counting_iteratorIjlEEPS9_SE_NS0_5tupleIJPjSE_EEENSF_IJSE_SE_EEES9_SG_JZNS1_25segmented_radix_sort_implINS0_14default_configELb0EPKaPaPKlPlN2at6native12_GLOBAL__N_18offset_tEEE10hipError_tPvRmT1_PNSt15iterator_traitsISY_E10value_typeET2_T3_PNSZ_IS14_E10value_typeET4_jRbjT5_S1A_jjP12ihipStream_tbEUljE_EEESV_SW_SX_S14_S18_S1A_T6_T7_T9_mT8_S1C_bDpT10_ENKUlT_T0_E_clISt17integral_constantIbLb0EES1P_EEDaS1K_S1L_EUlS1K_E_NS1_11comp_targetILNS1_3genE9ELNS1_11target_archE1100ELNS1_3gpuE3ELNS1_3repE0EEENS1_30default_config_static_selectorELNS0_4arch9wavefront6targetE0EEEvSY_.num_vgpr, 0
	.set _ZN7rocprim17ROCPRIM_400000_NS6detail17trampoline_kernelINS0_13select_configILj256ELj13ELNS0_17block_load_methodE3ELS4_3ELS4_3ELNS0_20block_scan_algorithmE0ELj4294967295EEENS1_25partition_config_selectorILNS1_17partition_subalgoE3EjNS0_10empty_typeEbEEZZNS1_14partition_implILS8_3ELb0ES6_jNS0_17counting_iteratorIjlEEPS9_SE_NS0_5tupleIJPjSE_EEENSF_IJSE_SE_EEES9_SG_JZNS1_25segmented_radix_sort_implINS0_14default_configELb0EPKaPaPKlPlN2at6native12_GLOBAL__N_18offset_tEEE10hipError_tPvRmT1_PNSt15iterator_traitsISY_E10value_typeET2_T3_PNSZ_IS14_E10value_typeET4_jRbjT5_S1A_jjP12ihipStream_tbEUljE_EEESV_SW_SX_S14_S18_S1A_T6_T7_T9_mT8_S1C_bDpT10_ENKUlT_T0_E_clISt17integral_constantIbLb0EES1P_EEDaS1K_S1L_EUlS1K_E_NS1_11comp_targetILNS1_3genE9ELNS1_11target_archE1100ELNS1_3gpuE3ELNS1_3repE0EEENS1_30default_config_static_selectorELNS0_4arch9wavefront6targetE0EEEvSY_.num_agpr, 0
	.set _ZN7rocprim17ROCPRIM_400000_NS6detail17trampoline_kernelINS0_13select_configILj256ELj13ELNS0_17block_load_methodE3ELS4_3ELS4_3ELNS0_20block_scan_algorithmE0ELj4294967295EEENS1_25partition_config_selectorILNS1_17partition_subalgoE3EjNS0_10empty_typeEbEEZZNS1_14partition_implILS8_3ELb0ES6_jNS0_17counting_iteratorIjlEEPS9_SE_NS0_5tupleIJPjSE_EEENSF_IJSE_SE_EEES9_SG_JZNS1_25segmented_radix_sort_implINS0_14default_configELb0EPKaPaPKlPlN2at6native12_GLOBAL__N_18offset_tEEE10hipError_tPvRmT1_PNSt15iterator_traitsISY_E10value_typeET2_T3_PNSZ_IS14_E10value_typeET4_jRbjT5_S1A_jjP12ihipStream_tbEUljE_EEESV_SW_SX_S14_S18_S1A_T6_T7_T9_mT8_S1C_bDpT10_ENKUlT_T0_E_clISt17integral_constantIbLb0EES1P_EEDaS1K_S1L_EUlS1K_E_NS1_11comp_targetILNS1_3genE9ELNS1_11target_archE1100ELNS1_3gpuE3ELNS1_3repE0EEENS1_30default_config_static_selectorELNS0_4arch9wavefront6targetE0EEEvSY_.numbered_sgpr, 0
	.set _ZN7rocprim17ROCPRIM_400000_NS6detail17trampoline_kernelINS0_13select_configILj256ELj13ELNS0_17block_load_methodE3ELS4_3ELS4_3ELNS0_20block_scan_algorithmE0ELj4294967295EEENS1_25partition_config_selectorILNS1_17partition_subalgoE3EjNS0_10empty_typeEbEEZZNS1_14partition_implILS8_3ELb0ES6_jNS0_17counting_iteratorIjlEEPS9_SE_NS0_5tupleIJPjSE_EEENSF_IJSE_SE_EEES9_SG_JZNS1_25segmented_radix_sort_implINS0_14default_configELb0EPKaPaPKlPlN2at6native12_GLOBAL__N_18offset_tEEE10hipError_tPvRmT1_PNSt15iterator_traitsISY_E10value_typeET2_T3_PNSZ_IS14_E10value_typeET4_jRbjT5_S1A_jjP12ihipStream_tbEUljE_EEESV_SW_SX_S14_S18_S1A_T6_T7_T9_mT8_S1C_bDpT10_ENKUlT_T0_E_clISt17integral_constantIbLb0EES1P_EEDaS1K_S1L_EUlS1K_E_NS1_11comp_targetILNS1_3genE9ELNS1_11target_archE1100ELNS1_3gpuE3ELNS1_3repE0EEENS1_30default_config_static_selectorELNS0_4arch9wavefront6targetE0EEEvSY_.num_named_barrier, 0
	.set _ZN7rocprim17ROCPRIM_400000_NS6detail17trampoline_kernelINS0_13select_configILj256ELj13ELNS0_17block_load_methodE3ELS4_3ELS4_3ELNS0_20block_scan_algorithmE0ELj4294967295EEENS1_25partition_config_selectorILNS1_17partition_subalgoE3EjNS0_10empty_typeEbEEZZNS1_14partition_implILS8_3ELb0ES6_jNS0_17counting_iteratorIjlEEPS9_SE_NS0_5tupleIJPjSE_EEENSF_IJSE_SE_EEES9_SG_JZNS1_25segmented_radix_sort_implINS0_14default_configELb0EPKaPaPKlPlN2at6native12_GLOBAL__N_18offset_tEEE10hipError_tPvRmT1_PNSt15iterator_traitsISY_E10value_typeET2_T3_PNSZ_IS14_E10value_typeET4_jRbjT5_S1A_jjP12ihipStream_tbEUljE_EEESV_SW_SX_S14_S18_S1A_T6_T7_T9_mT8_S1C_bDpT10_ENKUlT_T0_E_clISt17integral_constantIbLb0EES1P_EEDaS1K_S1L_EUlS1K_E_NS1_11comp_targetILNS1_3genE9ELNS1_11target_archE1100ELNS1_3gpuE3ELNS1_3repE0EEENS1_30default_config_static_selectorELNS0_4arch9wavefront6targetE0EEEvSY_.private_seg_size, 0
	.set _ZN7rocprim17ROCPRIM_400000_NS6detail17trampoline_kernelINS0_13select_configILj256ELj13ELNS0_17block_load_methodE3ELS4_3ELS4_3ELNS0_20block_scan_algorithmE0ELj4294967295EEENS1_25partition_config_selectorILNS1_17partition_subalgoE3EjNS0_10empty_typeEbEEZZNS1_14partition_implILS8_3ELb0ES6_jNS0_17counting_iteratorIjlEEPS9_SE_NS0_5tupleIJPjSE_EEENSF_IJSE_SE_EEES9_SG_JZNS1_25segmented_radix_sort_implINS0_14default_configELb0EPKaPaPKlPlN2at6native12_GLOBAL__N_18offset_tEEE10hipError_tPvRmT1_PNSt15iterator_traitsISY_E10value_typeET2_T3_PNSZ_IS14_E10value_typeET4_jRbjT5_S1A_jjP12ihipStream_tbEUljE_EEESV_SW_SX_S14_S18_S1A_T6_T7_T9_mT8_S1C_bDpT10_ENKUlT_T0_E_clISt17integral_constantIbLb0EES1P_EEDaS1K_S1L_EUlS1K_E_NS1_11comp_targetILNS1_3genE9ELNS1_11target_archE1100ELNS1_3gpuE3ELNS1_3repE0EEENS1_30default_config_static_selectorELNS0_4arch9wavefront6targetE0EEEvSY_.uses_vcc, 0
	.set _ZN7rocprim17ROCPRIM_400000_NS6detail17trampoline_kernelINS0_13select_configILj256ELj13ELNS0_17block_load_methodE3ELS4_3ELS4_3ELNS0_20block_scan_algorithmE0ELj4294967295EEENS1_25partition_config_selectorILNS1_17partition_subalgoE3EjNS0_10empty_typeEbEEZZNS1_14partition_implILS8_3ELb0ES6_jNS0_17counting_iteratorIjlEEPS9_SE_NS0_5tupleIJPjSE_EEENSF_IJSE_SE_EEES9_SG_JZNS1_25segmented_radix_sort_implINS0_14default_configELb0EPKaPaPKlPlN2at6native12_GLOBAL__N_18offset_tEEE10hipError_tPvRmT1_PNSt15iterator_traitsISY_E10value_typeET2_T3_PNSZ_IS14_E10value_typeET4_jRbjT5_S1A_jjP12ihipStream_tbEUljE_EEESV_SW_SX_S14_S18_S1A_T6_T7_T9_mT8_S1C_bDpT10_ENKUlT_T0_E_clISt17integral_constantIbLb0EES1P_EEDaS1K_S1L_EUlS1K_E_NS1_11comp_targetILNS1_3genE9ELNS1_11target_archE1100ELNS1_3gpuE3ELNS1_3repE0EEENS1_30default_config_static_selectorELNS0_4arch9wavefront6targetE0EEEvSY_.uses_flat_scratch, 0
	.set _ZN7rocprim17ROCPRIM_400000_NS6detail17trampoline_kernelINS0_13select_configILj256ELj13ELNS0_17block_load_methodE3ELS4_3ELS4_3ELNS0_20block_scan_algorithmE0ELj4294967295EEENS1_25partition_config_selectorILNS1_17partition_subalgoE3EjNS0_10empty_typeEbEEZZNS1_14partition_implILS8_3ELb0ES6_jNS0_17counting_iteratorIjlEEPS9_SE_NS0_5tupleIJPjSE_EEENSF_IJSE_SE_EEES9_SG_JZNS1_25segmented_radix_sort_implINS0_14default_configELb0EPKaPaPKlPlN2at6native12_GLOBAL__N_18offset_tEEE10hipError_tPvRmT1_PNSt15iterator_traitsISY_E10value_typeET2_T3_PNSZ_IS14_E10value_typeET4_jRbjT5_S1A_jjP12ihipStream_tbEUljE_EEESV_SW_SX_S14_S18_S1A_T6_T7_T9_mT8_S1C_bDpT10_ENKUlT_T0_E_clISt17integral_constantIbLb0EES1P_EEDaS1K_S1L_EUlS1K_E_NS1_11comp_targetILNS1_3genE9ELNS1_11target_archE1100ELNS1_3gpuE3ELNS1_3repE0EEENS1_30default_config_static_selectorELNS0_4arch9wavefront6targetE0EEEvSY_.has_dyn_sized_stack, 0
	.set _ZN7rocprim17ROCPRIM_400000_NS6detail17trampoline_kernelINS0_13select_configILj256ELj13ELNS0_17block_load_methodE3ELS4_3ELS4_3ELNS0_20block_scan_algorithmE0ELj4294967295EEENS1_25partition_config_selectorILNS1_17partition_subalgoE3EjNS0_10empty_typeEbEEZZNS1_14partition_implILS8_3ELb0ES6_jNS0_17counting_iteratorIjlEEPS9_SE_NS0_5tupleIJPjSE_EEENSF_IJSE_SE_EEES9_SG_JZNS1_25segmented_radix_sort_implINS0_14default_configELb0EPKaPaPKlPlN2at6native12_GLOBAL__N_18offset_tEEE10hipError_tPvRmT1_PNSt15iterator_traitsISY_E10value_typeET2_T3_PNSZ_IS14_E10value_typeET4_jRbjT5_S1A_jjP12ihipStream_tbEUljE_EEESV_SW_SX_S14_S18_S1A_T6_T7_T9_mT8_S1C_bDpT10_ENKUlT_T0_E_clISt17integral_constantIbLb0EES1P_EEDaS1K_S1L_EUlS1K_E_NS1_11comp_targetILNS1_3genE9ELNS1_11target_archE1100ELNS1_3gpuE3ELNS1_3repE0EEENS1_30default_config_static_selectorELNS0_4arch9wavefront6targetE0EEEvSY_.has_recursion, 0
	.set _ZN7rocprim17ROCPRIM_400000_NS6detail17trampoline_kernelINS0_13select_configILj256ELj13ELNS0_17block_load_methodE3ELS4_3ELS4_3ELNS0_20block_scan_algorithmE0ELj4294967295EEENS1_25partition_config_selectorILNS1_17partition_subalgoE3EjNS0_10empty_typeEbEEZZNS1_14partition_implILS8_3ELb0ES6_jNS0_17counting_iteratorIjlEEPS9_SE_NS0_5tupleIJPjSE_EEENSF_IJSE_SE_EEES9_SG_JZNS1_25segmented_radix_sort_implINS0_14default_configELb0EPKaPaPKlPlN2at6native12_GLOBAL__N_18offset_tEEE10hipError_tPvRmT1_PNSt15iterator_traitsISY_E10value_typeET2_T3_PNSZ_IS14_E10value_typeET4_jRbjT5_S1A_jjP12ihipStream_tbEUljE_EEESV_SW_SX_S14_S18_S1A_T6_T7_T9_mT8_S1C_bDpT10_ENKUlT_T0_E_clISt17integral_constantIbLb0EES1P_EEDaS1K_S1L_EUlS1K_E_NS1_11comp_targetILNS1_3genE9ELNS1_11target_archE1100ELNS1_3gpuE3ELNS1_3repE0EEENS1_30default_config_static_selectorELNS0_4arch9wavefront6targetE0EEEvSY_.has_indirect_call, 0
	.section	.AMDGPU.csdata,"",@progbits
; Kernel info:
; codeLenInByte = 0
; TotalNumSgprs: 0
; NumVgprs: 0
; ScratchSize: 0
; MemoryBound: 0
; FloatMode: 240
; IeeeMode: 1
; LDSByteSize: 0 bytes/workgroup (compile time only)
; SGPRBlocks: 0
; VGPRBlocks: 0
; NumSGPRsForWavesPerEU: 1
; NumVGPRsForWavesPerEU: 1
; NamedBarCnt: 0
; Occupancy: 16
; WaveLimiterHint : 0
; COMPUTE_PGM_RSRC2:SCRATCH_EN: 0
; COMPUTE_PGM_RSRC2:USER_SGPR: 2
; COMPUTE_PGM_RSRC2:TRAP_HANDLER: 0
; COMPUTE_PGM_RSRC2:TGID_X_EN: 1
; COMPUTE_PGM_RSRC2:TGID_Y_EN: 0
; COMPUTE_PGM_RSRC2:TGID_Z_EN: 0
; COMPUTE_PGM_RSRC2:TIDIG_COMP_CNT: 0
	.section	.text._ZN7rocprim17ROCPRIM_400000_NS6detail17trampoline_kernelINS0_13select_configILj256ELj13ELNS0_17block_load_methodE3ELS4_3ELS4_3ELNS0_20block_scan_algorithmE0ELj4294967295EEENS1_25partition_config_selectorILNS1_17partition_subalgoE3EjNS0_10empty_typeEbEEZZNS1_14partition_implILS8_3ELb0ES6_jNS0_17counting_iteratorIjlEEPS9_SE_NS0_5tupleIJPjSE_EEENSF_IJSE_SE_EEES9_SG_JZNS1_25segmented_radix_sort_implINS0_14default_configELb0EPKaPaPKlPlN2at6native12_GLOBAL__N_18offset_tEEE10hipError_tPvRmT1_PNSt15iterator_traitsISY_E10value_typeET2_T3_PNSZ_IS14_E10value_typeET4_jRbjT5_S1A_jjP12ihipStream_tbEUljE_EEESV_SW_SX_S14_S18_S1A_T6_T7_T9_mT8_S1C_bDpT10_ENKUlT_T0_E_clISt17integral_constantIbLb0EES1P_EEDaS1K_S1L_EUlS1K_E_NS1_11comp_targetILNS1_3genE8ELNS1_11target_archE1030ELNS1_3gpuE2ELNS1_3repE0EEENS1_30default_config_static_selectorELNS0_4arch9wavefront6targetE0EEEvSY_,"axG",@progbits,_ZN7rocprim17ROCPRIM_400000_NS6detail17trampoline_kernelINS0_13select_configILj256ELj13ELNS0_17block_load_methodE3ELS4_3ELS4_3ELNS0_20block_scan_algorithmE0ELj4294967295EEENS1_25partition_config_selectorILNS1_17partition_subalgoE3EjNS0_10empty_typeEbEEZZNS1_14partition_implILS8_3ELb0ES6_jNS0_17counting_iteratorIjlEEPS9_SE_NS0_5tupleIJPjSE_EEENSF_IJSE_SE_EEES9_SG_JZNS1_25segmented_radix_sort_implINS0_14default_configELb0EPKaPaPKlPlN2at6native12_GLOBAL__N_18offset_tEEE10hipError_tPvRmT1_PNSt15iterator_traitsISY_E10value_typeET2_T3_PNSZ_IS14_E10value_typeET4_jRbjT5_S1A_jjP12ihipStream_tbEUljE_EEESV_SW_SX_S14_S18_S1A_T6_T7_T9_mT8_S1C_bDpT10_ENKUlT_T0_E_clISt17integral_constantIbLb0EES1P_EEDaS1K_S1L_EUlS1K_E_NS1_11comp_targetILNS1_3genE8ELNS1_11target_archE1030ELNS1_3gpuE2ELNS1_3repE0EEENS1_30default_config_static_selectorELNS0_4arch9wavefront6targetE0EEEvSY_,comdat
	.globl	_ZN7rocprim17ROCPRIM_400000_NS6detail17trampoline_kernelINS0_13select_configILj256ELj13ELNS0_17block_load_methodE3ELS4_3ELS4_3ELNS0_20block_scan_algorithmE0ELj4294967295EEENS1_25partition_config_selectorILNS1_17partition_subalgoE3EjNS0_10empty_typeEbEEZZNS1_14partition_implILS8_3ELb0ES6_jNS0_17counting_iteratorIjlEEPS9_SE_NS0_5tupleIJPjSE_EEENSF_IJSE_SE_EEES9_SG_JZNS1_25segmented_radix_sort_implINS0_14default_configELb0EPKaPaPKlPlN2at6native12_GLOBAL__N_18offset_tEEE10hipError_tPvRmT1_PNSt15iterator_traitsISY_E10value_typeET2_T3_PNSZ_IS14_E10value_typeET4_jRbjT5_S1A_jjP12ihipStream_tbEUljE_EEESV_SW_SX_S14_S18_S1A_T6_T7_T9_mT8_S1C_bDpT10_ENKUlT_T0_E_clISt17integral_constantIbLb0EES1P_EEDaS1K_S1L_EUlS1K_E_NS1_11comp_targetILNS1_3genE8ELNS1_11target_archE1030ELNS1_3gpuE2ELNS1_3repE0EEENS1_30default_config_static_selectorELNS0_4arch9wavefront6targetE0EEEvSY_ ; -- Begin function _ZN7rocprim17ROCPRIM_400000_NS6detail17trampoline_kernelINS0_13select_configILj256ELj13ELNS0_17block_load_methodE3ELS4_3ELS4_3ELNS0_20block_scan_algorithmE0ELj4294967295EEENS1_25partition_config_selectorILNS1_17partition_subalgoE3EjNS0_10empty_typeEbEEZZNS1_14partition_implILS8_3ELb0ES6_jNS0_17counting_iteratorIjlEEPS9_SE_NS0_5tupleIJPjSE_EEENSF_IJSE_SE_EEES9_SG_JZNS1_25segmented_radix_sort_implINS0_14default_configELb0EPKaPaPKlPlN2at6native12_GLOBAL__N_18offset_tEEE10hipError_tPvRmT1_PNSt15iterator_traitsISY_E10value_typeET2_T3_PNSZ_IS14_E10value_typeET4_jRbjT5_S1A_jjP12ihipStream_tbEUljE_EEESV_SW_SX_S14_S18_S1A_T6_T7_T9_mT8_S1C_bDpT10_ENKUlT_T0_E_clISt17integral_constantIbLb0EES1P_EEDaS1K_S1L_EUlS1K_E_NS1_11comp_targetILNS1_3genE8ELNS1_11target_archE1030ELNS1_3gpuE2ELNS1_3repE0EEENS1_30default_config_static_selectorELNS0_4arch9wavefront6targetE0EEEvSY_
	.p2align	8
	.type	_ZN7rocprim17ROCPRIM_400000_NS6detail17trampoline_kernelINS0_13select_configILj256ELj13ELNS0_17block_load_methodE3ELS4_3ELS4_3ELNS0_20block_scan_algorithmE0ELj4294967295EEENS1_25partition_config_selectorILNS1_17partition_subalgoE3EjNS0_10empty_typeEbEEZZNS1_14partition_implILS8_3ELb0ES6_jNS0_17counting_iteratorIjlEEPS9_SE_NS0_5tupleIJPjSE_EEENSF_IJSE_SE_EEES9_SG_JZNS1_25segmented_radix_sort_implINS0_14default_configELb0EPKaPaPKlPlN2at6native12_GLOBAL__N_18offset_tEEE10hipError_tPvRmT1_PNSt15iterator_traitsISY_E10value_typeET2_T3_PNSZ_IS14_E10value_typeET4_jRbjT5_S1A_jjP12ihipStream_tbEUljE_EEESV_SW_SX_S14_S18_S1A_T6_T7_T9_mT8_S1C_bDpT10_ENKUlT_T0_E_clISt17integral_constantIbLb0EES1P_EEDaS1K_S1L_EUlS1K_E_NS1_11comp_targetILNS1_3genE8ELNS1_11target_archE1030ELNS1_3gpuE2ELNS1_3repE0EEENS1_30default_config_static_selectorELNS0_4arch9wavefront6targetE0EEEvSY_,@function
_ZN7rocprim17ROCPRIM_400000_NS6detail17trampoline_kernelINS0_13select_configILj256ELj13ELNS0_17block_load_methodE3ELS4_3ELS4_3ELNS0_20block_scan_algorithmE0ELj4294967295EEENS1_25partition_config_selectorILNS1_17partition_subalgoE3EjNS0_10empty_typeEbEEZZNS1_14partition_implILS8_3ELb0ES6_jNS0_17counting_iteratorIjlEEPS9_SE_NS0_5tupleIJPjSE_EEENSF_IJSE_SE_EEES9_SG_JZNS1_25segmented_radix_sort_implINS0_14default_configELb0EPKaPaPKlPlN2at6native12_GLOBAL__N_18offset_tEEE10hipError_tPvRmT1_PNSt15iterator_traitsISY_E10value_typeET2_T3_PNSZ_IS14_E10value_typeET4_jRbjT5_S1A_jjP12ihipStream_tbEUljE_EEESV_SW_SX_S14_S18_S1A_T6_T7_T9_mT8_S1C_bDpT10_ENKUlT_T0_E_clISt17integral_constantIbLb0EES1P_EEDaS1K_S1L_EUlS1K_E_NS1_11comp_targetILNS1_3genE8ELNS1_11target_archE1030ELNS1_3gpuE2ELNS1_3repE0EEENS1_30default_config_static_selectorELNS0_4arch9wavefront6targetE0EEEvSY_: ; @_ZN7rocprim17ROCPRIM_400000_NS6detail17trampoline_kernelINS0_13select_configILj256ELj13ELNS0_17block_load_methodE3ELS4_3ELS4_3ELNS0_20block_scan_algorithmE0ELj4294967295EEENS1_25partition_config_selectorILNS1_17partition_subalgoE3EjNS0_10empty_typeEbEEZZNS1_14partition_implILS8_3ELb0ES6_jNS0_17counting_iteratorIjlEEPS9_SE_NS0_5tupleIJPjSE_EEENSF_IJSE_SE_EEES9_SG_JZNS1_25segmented_radix_sort_implINS0_14default_configELb0EPKaPaPKlPlN2at6native12_GLOBAL__N_18offset_tEEE10hipError_tPvRmT1_PNSt15iterator_traitsISY_E10value_typeET2_T3_PNSZ_IS14_E10value_typeET4_jRbjT5_S1A_jjP12ihipStream_tbEUljE_EEESV_SW_SX_S14_S18_S1A_T6_T7_T9_mT8_S1C_bDpT10_ENKUlT_T0_E_clISt17integral_constantIbLb0EES1P_EEDaS1K_S1L_EUlS1K_E_NS1_11comp_targetILNS1_3genE8ELNS1_11target_archE1030ELNS1_3gpuE2ELNS1_3repE0EEENS1_30default_config_static_selectorELNS0_4arch9wavefront6targetE0EEEvSY_
; %bb.0:
	.section	.rodata,"a",@progbits
	.p2align	6, 0x0
	.amdhsa_kernel _ZN7rocprim17ROCPRIM_400000_NS6detail17trampoline_kernelINS0_13select_configILj256ELj13ELNS0_17block_load_methodE3ELS4_3ELS4_3ELNS0_20block_scan_algorithmE0ELj4294967295EEENS1_25partition_config_selectorILNS1_17partition_subalgoE3EjNS0_10empty_typeEbEEZZNS1_14partition_implILS8_3ELb0ES6_jNS0_17counting_iteratorIjlEEPS9_SE_NS0_5tupleIJPjSE_EEENSF_IJSE_SE_EEES9_SG_JZNS1_25segmented_radix_sort_implINS0_14default_configELb0EPKaPaPKlPlN2at6native12_GLOBAL__N_18offset_tEEE10hipError_tPvRmT1_PNSt15iterator_traitsISY_E10value_typeET2_T3_PNSZ_IS14_E10value_typeET4_jRbjT5_S1A_jjP12ihipStream_tbEUljE_EEESV_SW_SX_S14_S18_S1A_T6_T7_T9_mT8_S1C_bDpT10_ENKUlT_T0_E_clISt17integral_constantIbLb0EES1P_EEDaS1K_S1L_EUlS1K_E_NS1_11comp_targetILNS1_3genE8ELNS1_11target_archE1030ELNS1_3gpuE2ELNS1_3repE0EEENS1_30default_config_static_selectorELNS0_4arch9wavefront6targetE0EEEvSY_
		.amdhsa_group_segment_fixed_size 0
		.amdhsa_private_segment_fixed_size 0
		.amdhsa_kernarg_size 144
		.amdhsa_user_sgpr_count 2
		.amdhsa_user_sgpr_dispatch_ptr 0
		.amdhsa_user_sgpr_queue_ptr 0
		.amdhsa_user_sgpr_kernarg_segment_ptr 1
		.amdhsa_user_sgpr_dispatch_id 0
		.amdhsa_user_sgpr_kernarg_preload_length 0
		.amdhsa_user_sgpr_kernarg_preload_offset 0
		.amdhsa_user_sgpr_private_segment_size 0
		.amdhsa_wavefront_size32 1
		.amdhsa_uses_dynamic_stack 0
		.amdhsa_enable_private_segment 0
		.amdhsa_system_sgpr_workgroup_id_x 1
		.amdhsa_system_sgpr_workgroup_id_y 0
		.amdhsa_system_sgpr_workgroup_id_z 0
		.amdhsa_system_sgpr_workgroup_info 0
		.amdhsa_system_vgpr_workitem_id 0
		.amdhsa_next_free_vgpr 1
		.amdhsa_next_free_sgpr 1
		.amdhsa_named_barrier_count 0
		.amdhsa_reserve_vcc 0
		.amdhsa_float_round_mode_32 0
		.amdhsa_float_round_mode_16_64 0
		.amdhsa_float_denorm_mode_32 3
		.amdhsa_float_denorm_mode_16_64 3
		.amdhsa_fp16_overflow 0
		.amdhsa_memory_ordered 1
		.amdhsa_forward_progress 1
		.amdhsa_inst_pref_size 0
		.amdhsa_round_robin_scheduling 0
		.amdhsa_exception_fp_ieee_invalid_op 0
		.amdhsa_exception_fp_denorm_src 0
		.amdhsa_exception_fp_ieee_div_zero 0
		.amdhsa_exception_fp_ieee_overflow 0
		.amdhsa_exception_fp_ieee_underflow 0
		.amdhsa_exception_fp_ieee_inexact 0
		.amdhsa_exception_int_div_zero 0
	.end_amdhsa_kernel
	.section	.text._ZN7rocprim17ROCPRIM_400000_NS6detail17trampoline_kernelINS0_13select_configILj256ELj13ELNS0_17block_load_methodE3ELS4_3ELS4_3ELNS0_20block_scan_algorithmE0ELj4294967295EEENS1_25partition_config_selectorILNS1_17partition_subalgoE3EjNS0_10empty_typeEbEEZZNS1_14partition_implILS8_3ELb0ES6_jNS0_17counting_iteratorIjlEEPS9_SE_NS0_5tupleIJPjSE_EEENSF_IJSE_SE_EEES9_SG_JZNS1_25segmented_radix_sort_implINS0_14default_configELb0EPKaPaPKlPlN2at6native12_GLOBAL__N_18offset_tEEE10hipError_tPvRmT1_PNSt15iterator_traitsISY_E10value_typeET2_T3_PNSZ_IS14_E10value_typeET4_jRbjT5_S1A_jjP12ihipStream_tbEUljE_EEESV_SW_SX_S14_S18_S1A_T6_T7_T9_mT8_S1C_bDpT10_ENKUlT_T0_E_clISt17integral_constantIbLb0EES1P_EEDaS1K_S1L_EUlS1K_E_NS1_11comp_targetILNS1_3genE8ELNS1_11target_archE1030ELNS1_3gpuE2ELNS1_3repE0EEENS1_30default_config_static_selectorELNS0_4arch9wavefront6targetE0EEEvSY_,"axG",@progbits,_ZN7rocprim17ROCPRIM_400000_NS6detail17trampoline_kernelINS0_13select_configILj256ELj13ELNS0_17block_load_methodE3ELS4_3ELS4_3ELNS0_20block_scan_algorithmE0ELj4294967295EEENS1_25partition_config_selectorILNS1_17partition_subalgoE3EjNS0_10empty_typeEbEEZZNS1_14partition_implILS8_3ELb0ES6_jNS0_17counting_iteratorIjlEEPS9_SE_NS0_5tupleIJPjSE_EEENSF_IJSE_SE_EEES9_SG_JZNS1_25segmented_radix_sort_implINS0_14default_configELb0EPKaPaPKlPlN2at6native12_GLOBAL__N_18offset_tEEE10hipError_tPvRmT1_PNSt15iterator_traitsISY_E10value_typeET2_T3_PNSZ_IS14_E10value_typeET4_jRbjT5_S1A_jjP12ihipStream_tbEUljE_EEESV_SW_SX_S14_S18_S1A_T6_T7_T9_mT8_S1C_bDpT10_ENKUlT_T0_E_clISt17integral_constantIbLb0EES1P_EEDaS1K_S1L_EUlS1K_E_NS1_11comp_targetILNS1_3genE8ELNS1_11target_archE1030ELNS1_3gpuE2ELNS1_3repE0EEENS1_30default_config_static_selectorELNS0_4arch9wavefront6targetE0EEEvSY_,comdat
.Lfunc_end365:
	.size	_ZN7rocprim17ROCPRIM_400000_NS6detail17trampoline_kernelINS0_13select_configILj256ELj13ELNS0_17block_load_methodE3ELS4_3ELS4_3ELNS0_20block_scan_algorithmE0ELj4294967295EEENS1_25partition_config_selectorILNS1_17partition_subalgoE3EjNS0_10empty_typeEbEEZZNS1_14partition_implILS8_3ELb0ES6_jNS0_17counting_iteratorIjlEEPS9_SE_NS0_5tupleIJPjSE_EEENSF_IJSE_SE_EEES9_SG_JZNS1_25segmented_radix_sort_implINS0_14default_configELb0EPKaPaPKlPlN2at6native12_GLOBAL__N_18offset_tEEE10hipError_tPvRmT1_PNSt15iterator_traitsISY_E10value_typeET2_T3_PNSZ_IS14_E10value_typeET4_jRbjT5_S1A_jjP12ihipStream_tbEUljE_EEESV_SW_SX_S14_S18_S1A_T6_T7_T9_mT8_S1C_bDpT10_ENKUlT_T0_E_clISt17integral_constantIbLb0EES1P_EEDaS1K_S1L_EUlS1K_E_NS1_11comp_targetILNS1_3genE8ELNS1_11target_archE1030ELNS1_3gpuE2ELNS1_3repE0EEENS1_30default_config_static_selectorELNS0_4arch9wavefront6targetE0EEEvSY_, .Lfunc_end365-_ZN7rocprim17ROCPRIM_400000_NS6detail17trampoline_kernelINS0_13select_configILj256ELj13ELNS0_17block_load_methodE3ELS4_3ELS4_3ELNS0_20block_scan_algorithmE0ELj4294967295EEENS1_25partition_config_selectorILNS1_17partition_subalgoE3EjNS0_10empty_typeEbEEZZNS1_14partition_implILS8_3ELb0ES6_jNS0_17counting_iteratorIjlEEPS9_SE_NS0_5tupleIJPjSE_EEENSF_IJSE_SE_EEES9_SG_JZNS1_25segmented_radix_sort_implINS0_14default_configELb0EPKaPaPKlPlN2at6native12_GLOBAL__N_18offset_tEEE10hipError_tPvRmT1_PNSt15iterator_traitsISY_E10value_typeET2_T3_PNSZ_IS14_E10value_typeET4_jRbjT5_S1A_jjP12ihipStream_tbEUljE_EEESV_SW_SX_S14_S18_S1A_T6_T7_T9_mT8_S1C_bDpT10_ENKUlT_T0_E_clISt17integral_constantIbLb0EES1P_EEDaS1K_S1L_EUlS1K_E_NS1_11comp_targetILNS1_3genE8ELNS1_11target_archE1030ELNS1_3gpuE2ELNS1_3repE0EEENS1_30default_config_static_selectorELNS0_4arch9wavefront6targetE0EEEvSY_
                                        ; -- End function
	.set _ZN7rocprim17ROCPRIM_400000_NS6detail17trampoline_kernelINS0_13select_configILj256ELj13ELNS0_17block_load_methodE3ELS4_3ELS4_3ELNS0_20block_scan_algorithmE0ELj4294967295EEENS1_25partition_config_selectorILNS1_17partition_subalgoE3EjNS0_10empty_typeEbEEZZNS1_14partition_implILS8_3ELb0ES6_jNS0_17counting_iteratorIjlEEPS9_SE_NS0_5tupleIJPjSE_EEENSF_IJSE_SE_EEES9_SG_JZNS1_25segmented_radix_sort_implINS0_14default_configELb0EPKaPaPKlPlN2at6native12_GLOBAL__N_18offset_tEEE10hipError_tPvRmT1_PNSt15iterator_traitsISY_E10value_typeET2_T3_PNSZ_IS14_E10value_typeET4_jRbjT5_S1A_jjP12ihipStream_tbEUljE_EEESV_SW_SX_S14_S18_S1A_T6_T7_T9_mT8_S1C_bDpT10_ENKUlT_T0_E_clISt17integral_constantIbLb0EES1P_EEDaS1K_S1L_EUlS1K_E_NS1_11comp_targetILNS1_3genE8ELNS1_11target_archE1030ELNS1_3gpuE2ELNS1_3repE0EEENS1_30default_config_static_selectorELNS0_4arch9wavefront6targetE0EEEvSY_.num_vgpr, 0
	.set _ZN7rocprim17ROCPRIM_400000_NS6detail17trampoline_kernelINS0_13select_configILj256ELj13ELNS0_17block_load_methodE3ELS4_3ELS4_3ELNS0_20block_scan_algorithmE0ELj4294967295EEENS1_25partition_config_selectorILNS1_17partition_subalgoE3EjNS0_10empty_typeEbEEZZNS1_14partition_implILS8_3ELb0ES6_jNS0_17counting_iteratorIjlEEPS9_SE_NS0_5tupleIJPjSE_EEENSF_IJSE_SE_EEES9_SG_JZNS1_25segmented_radix_sort_implINS0_14default_configELb0EPKaPaPKlPlN2at6native12_GLOBAL__N_18offset_tEEE10hipError_tPvRmT1_PNSt15iterator_traitsISY_E10value_typeET2_T3_PNSZ_IS14_E10value_typeET4_jRbjT5_S1A_jjP12ihipStream_tbEUljE_EEESV_SW_SX_S14_S18_S1A_T6_T7_T9_mT8_S1C_bDpT10_ENKUlT_T0_E_clISt17integral_constantIbLb0EES1P_EEDaS1K_S1L_EUlS1K_E_NS1_11comp_targetILNS1_3genE8ELNS1_11target_archE1030ELNS1_3gpuE2ELNS1_3repE0EEENS1_30default_config_static_selectorELNS0_4arch9wavefront6targetE0EEEvSY_.num_agpr, 0
	.set _ZN7rocprim17ROCPRIM_400000_NS6detail17trampoline_kernelINS0_13select_configILj256ELj13ELNS0_17block_load_methodE3ELS4_3ELS4_3ELNS0_20block_scan_algorithmE0ELj4294967295EEENS1_25partition_config_selectorILNS1_17partition_subalgoE3EjNS0_10empty_typeEbEEZZNS1_14partition_implILS8_3ELb0ES6_jNS0_17counting_iteratorIjlEEPS9_SE_NS0_5tupleIJPjSE_EEENSF_IJSE_SE_EEES9_SG_JZNS1_25segmented_radix_sort_implINS0_14default_configELb0EPKaPaPKlPlN2at6native12_GLOBAL__N_18offset_tEEE10hipError_tPvRmT1_PNSt15iterator_traitsISY_E10value_typeET2_T3_PNSZ_IS14_E10value_typeET4_jRbjT5_S1A_jjP12ihipStream_tbEUljE_EEESV_SW_SX_S14_S18_S1A_T6_T7_T9_mT8_S1C_bDpT10_ENKUlT_T0_E_clISt17integral_constantIbLb0EES1P_EEDaS1K_S1L_EUlS1K_E_NS1_11comp_targetILNS1_3genE8ELNS1_11target_archE1030ELNS1_3gpuE2ELNS1_3repE0EEENS1_30default_config_static_selectorELNS0_4arch9wavefront6targetE0EEEvSY_.numbered_sgpr, 0
	.set _ZN7rocprim17ROCPRIM_400000_NS6detail17trampoline_kernelINS0_13select_configILj256ELj13ELNS0_17block_load_methodE3ELS4_3ELS4_3ELNS0_20block_scan_algorithmE0ELj4294967295EEENS1_25partition_config_selectorILNS1_17partition_subalgoE3EjNS0_10empty_typeEbEEZZNS1_14partition_implILS8_3ELb0ES6_jNS0_17counting_iteratorIjlEEPS9_SE_NS0_5tupleIJPjSE_EEENSF_IJSE_SE_EEES9_SG_JZNS1_25segmented_radix_sort_implINS0_14default_configELb0EPKaPaPKlPlN2at6native12_GLOBAL__N_18offset_tEEE10hipError_tPvRmT1_PNSt15iterator_traitsISY_E10value_typeET2_T3_PNSZ_IS14_E10value_typeET4_jRbjT5_S1A_jjP12ihipStream_tbEUljE_EEESV_SW_SX_S14_S18_S1A_T6_T7_T9_mT8_S1C_bDpT10_ENKUlT_T0_E_clISt17integral_constantIbLb0EES1P_EEDaS1K_S1L_EUlS1K_E_NS1_11comp_targetILNS1_3genE8ELNS1_11target_archE1030ELNS1_3gpuE2ELNS1_3repE0EEENS1_30default_config_static_selectorELNS0_4arch9wavefront6targetE0EEEvSY_.num_named_barrier, 0
	.set _ZN7rocprim17ROCPRIM_400000_NS6detail17trampoline_kernelINS0_13select_configILj256ELj13ELNS0_17block_load_methodE3ELS4_3ELS4_3ELNS0_20block_scan_algorithmE0ELj4294967295EEENS1_25partition_config_selectorILNS1_17partition_subalgoE3EjNS0_10empty_typeEbEEZZNS1_14partition_implILS8_3ELb0ES6_jNS0_17counting_iteratorIjlEEPS9_SE_NS0_5tupleIJPjSE_EEENSF_IJSE_SE_EEES9_SG_JZNS1_25segmented_radix_sort_implINS0_14default_configELb0EPKaPaPKlPlN2at6native12_GLOBAL__N_18offset_tEEE10hipError_tPvRmT1_PNSt15iterator_traitsISY_E10value_typeET2_T3_PNSZ_IS14_E10value_typeET4_jRbjT5_S1A_jjP12ihipStream_tbEUljE_EEESV_SW_SX_S14_S18_S1A_T6_T7_T9_mT8_S1C_bDpT10_ENKUlT_T0_E_clISt17integral_constantIbLb0EES1P_EEDaS1K_S1L_EUlS1K_E_NS1_11comp_targetILNS1_3genE8ELNS1_11target_archE1030ELNS1_3gpuE2ELNS1_3repE0EEENS1_30default_config_static_selectorELNS0_4arch9wavefront6targetE0EEEvSY_.private_seg_size, 0
	.set _ZN7rocprim17ROCPRIM_400000_NS6detail17trampoline_kernelINS0_13select_configILj256ELj13ELNS0_17block_load_methodE3ELS4_3ELS4_3ELNS0_20block_scan_algorithmE0ELj4294967295EEENS1_25partition_config_selectorILNS1_17partition_subalgoE3EjNS0_10empty_typeEbEEZZNS1_14partition_implILS8_3ELb0ES6_jNS0_17counting_iteratorIjlEEPS9_SE_NS0_5tupleIJPjSE_EEENSF_IJSE_SE_EEES9_SG_JZNS1_25segmented_radix_sort_implINS0_14default_configELb0EPKaPaPKlPlN2at6native12_GLOBAL__N_18offset_tEEE10hipError_tPvRmT1_PNSt15iterator_traitsISY_E10value_typeET2_T3_PNSZ_IS14_E10value_typeET4_jRbjT5_S1A_jjP12ihipStream_tbEUljE_EEESV_SW_SX_S14_S18_S1A_T6_T7_T9_mT8_S1C_bDpT10_ENKUlT_T0_E_clISt17integral_constantIbLb0EES1P_EEDaS1K_S1L_EUlS1K_E_NS1_11comp_targetILNS1_3genE8ELNS1_11target_archE1030ELNS1_3gpuE2ELNS1_3repE0EEENS1_30default_config_static_selectorELNS0_4arch9wavefront6targetE0EEEvSY_.uses_vcc, 0
	.set _ZN7rocprim17ROCPRIM_400000_NS6detail17trampoline_kernelINS0_13select_configILj256ELj13ELNS0_17block_load_methodE3ELS4_3ELS4_3ELNS0_20block_scan_algorithmE0ELj4294967295EEENS1_25partition_config_selectorILNS1_17partition_subalgoE3EjNS0_10empty_typeEbEEZZNS1_14partition_implILS8_3ELb0ES6_jNS0_17counting_iteratorIjlEEPS9_SE_NS0_5tupleIJPjSE_EEENSF_IJSE_SE_EEES9_SG_JZNS1_25segmented_radix_sort_implINS0_14default_configELb0EPKaPaPKlPlN2at6native12_GLOBAL__N_18offset_tEEE10hipError_tPvRmT1_PNSt15iterator_traitsISY_E10value_typeET2_T3_PNSZ_IS14_E10value_typeET4_jRbjT5_S1A_jjP12ihipStream_tbEUljE_EEESV_SW_SX_S14_S18_S1A_T6_T7_T9_mT8_S1C_bDpT10_ENKUlT_T0_E_clISt17integral_constantIbLb0EES1P_EEDaS1K_S1L_EUlS1K_E_NS1_11comp_targetILNS1_3genE8ELNS1_11target_archE1030ELNS1_3gpuE2ELNS1_3repE0EEENS1_30default_config_static_selectorELNS0_4arch9wavefront6targetE0EEEvSY_.uses_flat_scratch, 0
	.set _ZN7rocprim17ROCPRIM_400000_NS6detail17trampoline_kernelINS0_13select_configILj256ELj13ELNS0_17block_load_methodE3ELS4_3ELS4_3ELNS0_20block_scan_algorithmE0ELj4294967295EEENS1_25partition_config_selectorILNS1_17partition_subalgoE3EjNS0_10empty_typeEbEEZZNS1_14partition_implILS8_3ELb0ES6_jNS0_17counting_iteratorIjlEEPS9_SE_NS0_5tupleIJPjSE_EEENSF_IJSE_SE_EEES9_SG_JZNS1_25segmented_radix_sort_implINS0_14default_configELb0EPKaPaPKlPlN2at6native12_GLOBAL__N_18offset_tEEE10hipError_tPvRmT1_PNSt15iterator_traitsISY_E10value_typeET2_T3_PNSZ_IS14_E10value_typeET4_jRbjT5_S1A_jjP12ihipStream_tbEUljE_EEESV_SW_SX_S14_S18_S1A_T6_T7_T9_mT8_S1C_bDpT10_ENKUlT_T0_E_clISt17integral_constantIbLb0EES1P_EEDaS1K_S1L_EUlS1K_E_NS1_11comp_targetILNS1_3genE8ELNS1_11target_archE1030ELNS1_3gpuE2ELNS1_3repE0EEENS1_30default_config_static_selectorELNS0_4arch9wavefront6targetE0EEEvSY_.has_dyn_sized_stack, 0
	.set _ZN7rocprim17ROCPRIM_400000_NS6detail17trampoline_kernelINS0_13select_configILj256ELj13ELNS0_17block_load_methodE3ELS4_3ELS4_3ELNS0_20block_scan_algorithmE0ELj4294967295EEENS1_25partition_config_selectorILNS1_17partition_subalgoE3EjNS0_10empty_typeEbEEZZNS1_14partition_implILS8_3ELb0ES6_jNS0_17counting_iteratorIjlEEPS9_SE_NS0_5tupleIJPjSE_EEENSF_IJSE_SE_EEES9_SG_JZNS1_25segmented_radix_sort_implINS0_14default_configELb0EPKaPaPKlPlN2at6native12_GLOBAL__N_18offset_tEEE10hipError_tPvRmT1_PNSt15iterator_traitsISY_E10value_typeET2_T3_PNSZ_IS14_E10value_typeET4_jRbjT5_S1A_jjP12ihipStream_tbEUljE_EEESV_SW_SX_S14_S18_S1A_T6_T7_T9_mT8_S1C_bDpT10_ENKUlT_T0_E_clISt17integral_constantIbLb0EES1P_EEDaS1K_S1L_EUlS1K_E_NS1_11comp_targetILNS1_3genE8ELNS1_11target_archE1030ELNS1_3gpuE2ELNS1_3repE0EEENS1_30default_config_static_selectorELNS0_4arch9wavefront6targetE0EEEvSY_.has_recursion, 0
	.set _ZN7rocprim17ROCPRIM_400000_NS6detail17trampoline_kernelINS0_13select_configILj256ELj13ELNS0_17block_load_methodE3ELS4_3ELS4_3ELNS0_20block_scan_algorithmE0ELj4294967295EEENS1_25partition_config_selectorILNS1_17partition_subalgoE3EjNS0_10empty_typeEbEEZZNS1_14partition_implILS8_3ELb0ES6_jNS0_17counting_iteratorIjlEEPS9_SE_NS0_5tupleIJPjSE_EEENSF_IJSE_SE_EEES9_SG_JZNS1_25segmented_radix_sort_implINS0_14default_configELb0EPKaPaPKlPlN2at6native12_GLOBAL__N_18offset_tEEE10hipError_tPvRmT1_PNSt15iterator_traitsISY_E10value_typeET2_T3_PNSZ_IS14_E10value_typeET4_jRbjT5_S1A_jjP12ihipStream_tbEUljE_EEESV_SW_SX_S14_S18_S1A_T6_T7_T9_mT8_S1C_bDpT10_ENKUlT_T0_E_clISt17integral_constantIbLb0EES1P_EEDaS1K_S1L_EUlS1K_E_NS1_11comp_targetILNS1_3genE8ELNS1_11target_archE1030ELNS1_3gpuE2ELNS1_3repE0EEENS1_30default_config_static_selectorELNS0_4arch9wavefront6targetE0EEEvSY_.has_indirect_call, 0
	.section	.AMDGPU.csdata,"",@progbits
; Kernel info:
; codeLenInByte = 0
; TotalNumSgprs: 0
; NumVgprs: 0
; ScratchSize: 0
; MemoryBound: 0
; FloatMode: 240
; IeeeMode: 1
; LDSByteSize: 0 bytes/workgroup (compile time only)
; SGPRBlocks: 0
; VGPRBlocks: 0
; NumSGPRsForWavesPerEU: 1
; NumVGPRsForWavesPerEU: 1
; NamedBarCnt: 0
; Occupancy: 16
; WaveLimiterHint : 0
; COMPUTE_PGM_RSRC2:SCRATCH_EN: 0
; COMPUTE_PGM_RSRC2:USER_SGPR: 2
; COMPUTE_PGM_RSRC2:TRAP_HANDLER: 0
; COMPUTE_PGM_RSRC2:TGID_X_EN: 1
; COMPUTE_PGM_RSRC2:TGID_Y_EN: 0
; COMPUTE_PGM_RSRC2:TGID_Z_EN: 0
; COMPUTE_PGM_RSRC2:TIDIG_COMP_CNT: 0
	.section	.text._ZN7rocprim17ROCPRIM_400000_NS6detail17trampoline_kernelINS0_13select_configILj256ELj13ELNS0_17block_load_methodE3ELS4_3ELS4_3ELNS0_20block_scan_algorithmE0ELj4294967295EEENS1_25partition_config_selectorILNS1_17partition_subalgoE3EjNS0_10empty_typeEbEEZZNS1_14partition_implILS8_3ELb0ES6_jNS0_17counting_iteratorIjlEEPS9_SE_NS0_5tupleIJPjSE_EEENSF_IJSE_SE_EEES9_SG_JZNS1_25segmented_radix_sort_implINS0_14default_configELb0EPKaPaPKlPlN2at6native12_GLOBAL__N_18offset_tEEE10hipError_tPvRmT1_PNSt15iterator_traitsISY_E10value_typeET2_T3_PNSZ_IS14_E10value_typeET4_jRbjT5_S1A_jjP12ihipStream_tbEUljE_EEESV_SW_SX_S14_S18_S1A_T6_T7_T9_mT8_S1C_bDpT10_ENKUlT_T0_E_clISt17integral_constantIbLb1EES1P_EEDaS1K_S1L_EUlS1K_E_NS1_11comp_targetILNS1_3genE0ELNS1_11target_archE4294967295ELNS1_3gpuE0ELNS1_3repE0EEENS1_30default_config_static_selectorELNS0_4arch9wavefront6targetE0EEEvSY_,"axG",@progbits,_ZN7rocprim17ROCPRIM_400000_NS6detail17trampoline_kernelINS0_13select_configILj256ELj13ELNS0_17block_load_methodE3ELS4_3ELS4_3ELNS0_20block_scan_algorithmE0ELj4294967295EEENS1_25partition_config_selectorILNS1_17partition_subalgoE3EjNS0_10empty_typeEbEEZZNS1_14partition_implILS8_3ELb0ES6_jNS0_17counting_iteratorIjlEEPS9_SE_NS0_5tupleIJPjSE_EEENSF_IJSE_SE_EEES9_SG_JZNS1_25segmented_radix_sort_implINS0_14default_configELb0EPKaPaPKlPlN2at6native12_GLOBAL__N_18offset_tEEE10hipError_tPvRmT1_PNSt15iterator_traitsISY_E10value_typeET2_T3_PNSZ_IS14_E10value_typeET4_jRbjT5_S1A_jjP12ihipStream_tbEUljE_EEESV_SW_SX_S14_S18_S1A_T6_T7_T9_mT8_S1C_bDpT10_ENKUlT_T0_E_clISt17integral_constantIbLb1EES1P_EEDaS1K_S1L_EUlS1K_E_NS1_11comp_targetILNS1_3genE0ELNS1_11target_archE4294967295ELNS1_3gpuE0ELNS1_3repE0EEENS1_30default_config_static_selectorELNS0_4arch9wavefront6targetE0EEEvSY_,comdat
	.globl	_ZN7rocprim17ROCPRIM_400000_NS6detail17trampoline_kernelINS0_13select_configILj256ELj13ELNS0_17block_load_methodE3ELS4_3ELS4_3ELNS0_20block_scan_algorithmE0ELj4294967295EEENS1_25partition_config_selectorILNS1_17partition_subalgoE3EjNS0_10empty_typeEbEEZZNS1_14partition_implILS8_3ELb0ES6_jNS0_17counting_iteratorIjlEEPS9_SE_NS0_5tupleIJPjSE_EEENSF_IJSE_SE_EEES9_SG_JZNS1_25segmented_radix_sort_implINS0_14default_configELb0EPKaPaPKlPlN2at6native12_GLOBAL__N_18offset_tEEE10hipError_tPvRmT1_PNSt15iterator_traitsISY_E10value_typeET2_T3_PNSZ_IS14_E10value_typeET4_jRbjT5_S1A_jjP12ihipStream_tbEUljE_EEESV_SW_SX_S14_S18_S1A_T6_T7_T9_mT8_S1C_bDpT10_ENKUlT_T0_E_clISt17integral_constantIbLb1EES1P_EEDaS1K_S1L_EUlS1K_E_NS1_11comp_targetILNS1_3genE0ELNS1_11target_archE4294967295ELNS1_3gpuE0ELNS1_3repE0EEENS1_30default_config_static_selectorELNS0_4arch9wavefront6targetE0EEEvSY_ ; -- Begin function _ZN7rocprim17ROCPRIM_400000_NS6detail17trampoline_kernelINS0_13select_configILj256ELj13ELNS0_17block_load_methodE3ELS4_3ELS4_3ELNS0_20block_scan_algorithmE0ELj4294967295EEENS1_25partition_config_selectorILNS1_17partition_subalgoE3EjNS0_10empty_typeEbEEZZNS1_14partition_implILS8_3ELb0ES6_jNS0_17counting_iteratorIjlEEPS9_SE_NS0_5tupleIJPjSE_EEENSF_IJSE_SE_EEES9_SG_JZNS1_25segmented_radix_sort_implINS0_14default_configELb0EPKaPaPKlPlN2at6native12_GLOBAL__N_18offset_tEEE10hipError_tPvRmT1_PNSt15iterator_traitsISY_E10value_typeET2_T3_PNSZ_IS14_E10value_typeET4_jRbjT5_S1A_jjP12ihipStream_tbEUljE_EEESV_SW_SX_S14_S18_S1A_T6_T7_T9_mT8_S1C_bDpT10_ENKUlT_T0_E_clISt17integral_constantIbLb1EES1P_EEDaS1K_S1L_EUlS1K_E_NS1_11comp_targetILNS1_3genE0ELNS1_11target_archE4294967295ELNS1_3gpuE0ELNS1_3repE0EEENS1_30default_config_static_selectorELNS0_4arch9wavefront6targetE0EEEvSY_
	.p2align	8
	.type	_ZN7rocprim17ROCPRIM_400000_NS6detail17trampoline_kernelINS0_13select_configILj256ELj13ELNS0_17block_load_methodE3ELS4_3ELS4_3ELNS0_20block_scan_algorithmE0ELj4294967295EEENS1_25partition_config_selectorILNS1_17partition_subalgoE3EjNS0_10empty_typeEbEEZZNS1_14partition_implILS8_3ELb0ES6_jNS0_17counting_iteratorIjlEEPS9_SE_NS0_5tupleIJPjSE_EEENSF_IJSE_SE_EEES9_SG_JZNS1_25segmented_radix_sort_implINS0_14default_configELb0EPKaPaPKlPlN2at6native12_GLOBAL__N_18offset_tEEE10hipError_tPvRmT1_PNSt15iterator_traitsISY_E10value_typeET2_T3_PNSZ_IS14_E10value_typeET4_jRbjT5_S1A_jjP12ihipStream_tbEUljE_EEESV_SW_SX_S14_S18_S1A_T6_T7_T9_mT8_S1C_bDpT10_ENKUlT_T0_E_clISt17integral_constantIbLb1EES1P_EEDaS1K_S1L_EUlS1K_E_NS1_11comp_targetILNS1_3genE0ELNS1_11target_archE4294967295ELNS1_3gpuE0ELNS1_3repE0EEENS1_30default_config_static_selectorELNS0_4arch9wavefront6targetE0EEEvSY_,@function
_ZN7rocprim17ROCPRIM_400000_NS6detail17trampoline_kernelINS0_13select_configILj256ELj13ELNS0_17block_load_methodE3ELS4_3ELS4_3ELNS0_20block_scan_algorithmE0ELj4294967295EEENS1_25partition_config_selectorILNS1_17partition_subalgoE3EjNS0_10empty_typeEbEEZZNS1_14partition_implILS8_3ELb0ES6_jNS0_17counting_iteratorIjlEEPS9_SE_NS0_5tupleIJPjSE_EEENSF_IJSE_SE_EEES9_SG_JZNS1_25segmented_radix_sort_implINS0_14default_configELb0EPKaPaPKlPlN2at6native12_GLOBAL__N_18offset_tEEE10hipError_tPvRmT1_PNSt15iterator_traitsISY_E10value_typeET2_T3_PNSZ_IS14_E10value_typeET4_jRbjT5_S1A_jjP12ihipStream_tbEUljE_EEESV_SW_SX_S14_S18_S1A_T6_T7_T9_mT8_S1C_bDpT10_ENKUlT_T0_E_clISt17integral_constantIbLb1EES1P_EEDaS1K_S1L_EUlS1K_E_NS1_11comp_targetILNS1_3genE0ELNS1_11target_archE4294967295ELNS1_3gpuE0ELNS1_3repE0EEENS1_30default_config_static_selectorELNS0_4arch9wavefront6targetE0EEEvSY_: ; @_ZN7rocprim17ROCPRIM_400000_NS6detail17trampoline_kernelINS0_13select_configILj256ELj13ELNS0_17block_load_methodE3ELS4_3ELS4_3ELNS0_20block_scan_algorithmE0ELj4294967295EEENS1_25partition_config_selectorILNS1_17partition_subalgoE3EjNS0_10empty_typeEbEEZZNS1_14partition_implILS8_3ELb0ES6_jNS0_17counting_iteratorIjlEEPS9_SE_NS0_5tupleIJPjSE_EEENSF_IJSE_SE_EEES9_SG_JZNS1_25segmented_radix_sort_implINS0_14default_configELb0EPKaPaPKlPlN2at6native12_GLOBAL__N_18offset_tEEE10hipError_tPvRmT1_PNSt15iterator_traitsISY_E10value_typeET2_T3_PNSZ_IS14_E10value_typeET4_jRbjT5_S1A_jjP12ihipStream_tbEUljE_EEESV_SW_SX_S14_S18_S1A_T6_T7_T9_mT8_S1C_bDpT10_ENKUlT_T0_E_clISt17integral_constantIbLb1EES1P_EEDaS1K_S1L_EUlS1K_E_NS1_11comp_targetILNS1_3genE0ELNS1_11target_archE4294967295ELNS1_3gpuE0ELNS1_3repE0EEENS1_30default_config_static_selectorELNS0_4arch9wavefront6targetE0EEEvSY_
; %bb.0:
	s_endpgm
	.section	.rodata,"a",@progbits
	.p2align	6, 0x0
	.amdhsa_kernel _ZN7rocprim17ROCPRIM_400000_NS6detail17trampoline_kernelINS0_13select_configILj256ELj13ELNS0_17block_load_methodE3ELS4_3ELS4_3ELNS0_20block_scan_algorithmE0ELj4294967295EEENS1_25partition_config_selectorILNS1_17partition_subalgoE3EjNS0_10empty_typeEbEEZZNS1_14partition_implILS8_3ELb0ES6_jNS0_17counting_iteratorIjlEEPS9_SE_NS0_5tupleIJPjSE_EEENSF_IJSE_SE_EEES9_SG_JZNS1_25segmented_radix_sort_implINS0_14default_configELb0EPKaPaPKlPlN2at6native12_GLOBAL__N_18offset_tEEE10hipError_tPvRmT1_PNSt15iterator_traitsISY_E10value_typeET2_T3_PNSZ_IS14_E10value_typeET4_jRbjT5_S1A_jjP12ihipStream_tbEUljE_EEESV_SW_SX_S14_S18_S1A_T6_T7_T9_mT8_S1C_bDpT10_ENKUlT_T0_E_clISt17integral_constantIbLb1EES1P_EEDaS1K_S1L_EUlS1K_E_NS1_11comp_targetILNS1_3genE0ELNS1_11target_archE4294967295ELNS1_3gpuE0ELNS1_3repE0EEENS1_30default_config_static_selectorELNS0_4arch9wavefront6targetE0EEEvSY_
		.amdhsa_group_segment_fixed_size 0
		.amdhsa_private_segment_fixed_size 0
		.amdhsa_kernarg_size 152
		.amdhsa_user_sgpr_count 2
		.amdhsa_user_sgpr_dispatch_ptr 0
		.amdhsa_user_sgpr_queue_ptr 0
		.amdhsa_user_sgpr_kernarg_segment_ptr 1
		.amdhsa_user_sgpr_dispatch_id 0
		.amdhsa_user_sgpr_kernarg_preload_length 0
		.amdhsa_user_sgpr_kernarg_preload_offset 0
		.amdhsa_user_sgpr_private_segment_size 0
		.amdhsa_wavefront_size32 1
		.amdhsa_uses_dynamic_stack 0
		.amdhsa_enable_private_segment 0
		.amdhsa_system_sgpr_workgroup_id_x 1
		.amdhsa_system_sgpr_workgroup_id_y 0
		.amdhsa_system_sgpr_workgroup_id_z 0
		.amdhsa_system_sgpr_workgroup_info 0
		.amdhsa_system_vgpr_workitem_id 0
		.amdhsa_next_free_vgpr 1
		.amdhsa_next_free_sgpr 1
		.amdhsa_named_barrier_count 0
		.amdhsa_reserve_vcc 0
		.amdhsa_float_round_mode_32 0
		.amdhsa_float_round_mode_16_64 0
		.amdhsa_float_denorm_mode_32 3
		.amdhsa_float_denorm_mode_16_64 3
		.amdhsa_fp16_overflow 0
		.amdhsa_memory_ordered 1
		.amdhsa_forward_progress 1
		.amdhsa_inst_pref_size 1
		.amdhsa_round_robin_scheduling 0
		.amdhsa_exception_fp_ieee_invalid_op 0
		.amdhsa_exception_fp_denorm_src 0
		.amdhsa_exception_fp_ieee_div_zero 0
		.amdhsa_exception_fp_ieee_overflow 0
		.amdhsa_exception_fp_ieee_underflow 0
		.amdhsa_exception_fp_ieee_inexact 0
		.amdhsa_exception_int_div_zero 0
	.end_amdhsa_kernel
	.section	.text._ZN7rocprim17ROCPRIM_400000_NS6detail17trampoline_kernelINS0_13select_configILj256ELj13ELNS0_17block_load_methodE3ELS4_3ELS4_3ELNS0_20block_scan_algorithmE0ELj4294967295EEENS1_25partition_config_selectorILNS1_17partition_subalgoE3EjNS0_10empty_typeEbEEZZNS1_14partition_implILS8_3ELb0ES6_jNS0_17counting_iteratorIjlEEPS9_SE_NS0_5tupleIJPjSE_EEENSF_IJSE_SE_EEES9_SG_JZNS1_25segmented_radix_sort_implINS0_14default_configELb0EPKaPaPKlPlN2at6native12_GLOBAL__N_18offset_tEEE10hipError_tPvRmT1_PNSt15iterator_traitsISY_E10value_typeET2_T3_PNSZ_IS14_E10value_typeET4_jRbjT5_S1A_jjP12ihipStream_tbEUljE_EEESV_SW_SX_S14_S18_S1A_T6_T7_T9_mT8_S1C_bDpT10_ENKUlT_T0_E_clISt17integral_constantIbLb1EES1P_EEDaS1K_S1L_EUlS1K_E_NS1_11comp_targetILNS1_3genE0ELNS1_11target_archE4294967295ELNS1_3gpuE0ELNS1_3repE0EEENS1_30default_config_static_selectorELNS0_4arch9wavefront6targetE0EEEvSY_,"axG",@progbits,_ZN7rocprim17ROCPRIM_400000_NS6detail17trampoline_kernelINS0_13select_configILj256ELj13ELNS0_17block_load_methodE3ELS4_3ELS4_3ELNS0_20block_scan_algorithmE0ELj4294967295EEENS1_25partition_config_selectorILNS1_17partition_subalgoE3EjNS0_10empty_typeEbEEZZNS1_14partition_implILS8_3ELb0ES6_jNS0_17counting_iteratorIjlEEPS9_SE_NS0_5tupleIJPjSE_EEENSF_IJSE_SE_EEES9_SG_JZNS1_25segmented_radix_sort_implINS0_14default_configELb0EPKaPaPKlPlN2at6native12_GLOBAL__N_18offset_tEEE10hipError_tPvRmT1_PNSt15iterator_traitsISY_E10value_typeET2_T3_PNSZ_IS14_E10value_typeET4_jRbjT5_S1A_jjP12ihipStream_tbEUljE_EEESV_SW_SX_S14_S18_S1A_T6_T7_T9_mT8_S1C_bDpT10_ENKUlT_T0_E_clISt17integral_constantIbLb1EES1P_EEDaS1K_S1L_EUlS1K_E_NS1_11comp_targetILNS1_3genE0ELNS1_11target_archE4294967295ELNS1_3gpuE0ELNS1_3repE0EEENS1_30default_config_static_selectorELNS0_4arch9wavefront6targetE0EEEvSY_,comdat
.Lfunc_end366:
	.size	_ZN7rocprim17ROCPRIM_400000_NS6detail17trampoline_kernelINS0_13select_configILj256ELj13ELNS0_17block_load_methodE3ELS4_3ELS4_3ELNS0_20block_scan_algorithmE0ELj4294967295EEENS1_25partition_config_selectorILNS1_17partition_subalgoE3EjNS0_10empty_typeEbEEZZNS1_14partition_implILS8_3ELb0ES6_jNS0_17counting_iteratorIjlEEPS9_SE_NS0_5tupleIJPjSE_EEENSF_IJSE_SE_EEES9_SG_JZNS1_25segmented_radix_sort_implINS0_14default_configELb0EPKaPaPKlPlN2at6native12_GLOBAL__N_18offset_tEEE10hipError_tPvRmT1_PNSt15iterator_traitsISY_E10value_typeET2_T3_PNSZ_IS14_E10value_typeET4_jRbjT5_S1A_jjP12ihipStream_tbEUljE_EEESV_SW_SX_S14_S18_S1A_T6_T7_T9_mT8_S1C_bDpT10_ENKUlT_T0_E_clISt17integral_constantIbLb1EES1P_EEDaS1K_S1L_EUlS1K_E_NS1_11comp_targetILNS1_3genE0ELNS1_11target_archE4294967295ELNS1_3gpuE0ELNS1_3repE0EEENS1_30default_config_static_selectorELNS0_4arch9wavefront6targetE0EEEvSY_, .Lfunc_end366-_ZN7rocprim17ROCPRIM_400000_NS6detail17trampoline_kernelINS0_13select_configILj256ELj13ELNS0_17block_load_methodE3ELS4_3ELS4_3ELNS0_20block_scan_algorithmE0ELj4294967295EEENS1_25partition_config_selectorILNS1_17partition_subalgoE3EjNS0_10empty_typeEbEEZZNS1_14partition_implILS8_3ELb0ES6_jNS0_17counting_iteratorIjlEEPS9_SE_NS0_5tupleIJPjSE_EEENSF_IJSE_SE_EEES9_SG_JZNS1_25segmented_radix_sort_implINS0_14default_configELb0EPKaPaPKlPlN2at6native12_GLOBAL__N_18offset_tEEE10hipError_tPvRmT1_PNSt15iterator_traitsISY_E10value_typeET2_T3_PNSZ_IS14_E10value_typeET4_jRbjT5_S1A_jjP12ihipStream_tbEUljE_EEESV_SW_SX_S14_S18_S1A_T6_T7_T9_mT8_S1C_bDpT10_ENKUlT_T0_E_clISt17integral_constantIbLb1EES1P_EEDaS1K_S1L_EUlS1K_E_NS1_11comp_targetILNS1_3genE0ELNS1_11target_archE4294967295ELNS1_3gpuE0ELNS1_3repE0EEENS1_30default_config_static_selectorELNS0_4arch9wavefront6targetE0EEEvSY_
                                        ; -- End function
	.set _ZN7rocprim17ROCPRIM_400000_NS6detail17trampoline_kernelINS0_13select_configILj256ELj13ELNS0_17block_load_methodE3ELS4_3ELS4_3ELNS0_20block_scan_algorithmE0ELj4294967295EEENS1_25partition_config_selectorILNS1_17partition_subalgoE3EjNS0_10empty_typeEbEEZZNS1_14partition_implILS8_3ELb0ES6_jNS0_17counting_iteratorIjlEEPS9_SE_NS0_5tupleIJPjSE_EEENSF_IJSE_SE_EEES9_SG_JZNS1_25segmented_radix_sort_implINS0_14default_configELb0EPKaPaPKlPlN2at6native12_GLOBAL__N_18offset_tEEE10hipError_tPvRmT1_PNSt15iterator_traitsISY_E10value_typeET2_T3_PNSZ_IS14_E10value_typeET4_jRbjT5_S1A_jjP12ihipStream_tbEUljE_EEESV_SW_SX_S14_S18_S1A_T6_T7_T9_mT8_S1C_bDpT10_ENKUlT_T0_E_clISt17integral_constantIbLb1EES1P_EEDaS1K_S1L_EUlS1K_E_NS1_11comp_targetILNS1_3genE0ELNS1_11target_archE4294967295ELNS1_3gpuE0ELNS1_3repE0EEENS1_30default_config_static_selectorELNS0_4arch9wavefront6targetE0EEEvSY_.num_vgpr, 0
	.set _ZN7rocprim17ROCPRIM_400000_NS6detail17trampoline_kernelINS0_13select_configILj256ELj13ELNS0_17block_load_methodE3ELS4_3ELS4_3ELNS0_20block_scan_algorithmE0ELj4294967295EEENS1_25partition_config_selectorILNS1_17partition_subalgoE3EjNS0_10empty_typeEbEEZZNS1_14partition_implILS8_3ELb0ES6_jNS0_17counting_iteratorIjlEEPS9_SE_NS0_5tupleIJPjSE_EEENSF_IJSE_SE_EEES9_SG_JZNS1_25segmented_radix_sort_implINS0_14default_configELb0EPKaPaPKlPlN2at6native12_GLOBAL__N_18offset_tEEE10hipError_tPvRmT1_PNSt15iterator_traitsISY_E10value_typeET2_T3_PNSZ_IS14_E10value_typeET4_jRbjT5_S1A_jjP12ihipStream_tbEUljE_EEESV_SW_SX_S14_S18_S1A_T6_T7_T9_mT8_S1C_bDpT10_ENKUlT_T0_E_clISt17integral_constantIbLb1EES1P_EEDaS1K_S1L_EUlS1K_E_NS1_11comp_targetILNS1_3genE0ELNS1_11target_archE4294967295ELNS1_3gpuE0ELNS1_3repE0EEENS1_30default_config_static_selectorELNS0_4arch9wavefront6targetE0EEEvSY_.num_agpr, 0
	.set _ZN7rocprim17ROCPRIM_400000_NS6detail17trampoline_kernelINS0_13select_configILj256ELj13ELNS0_17block_load_methodE3ELS4_3ELS4_3ELNS0_20block_scan_algorithmE0ELj4294967295EEENS1_25partition_config_selectorILNS1_17partition_subalgoE3EjNS0_10empty_typeEbEEZZNS1_14partition_implILS8_3ELb0ES6_jNS0_17counting_iteratorIjlEEPS9_SE_NS0_5tupleIJPjSE_EEENSF_IJSE_SE_EEES9_SG_JZNS1_25segmented_radix_sort_implINS0_14default_configELb0EPKaPaPKlPlN2at6native12_GLOBAL__N_18offset_tEEE10hipError_tPvRmT1_PNSt15iterator_traitsISY_E10value_typeET2_T3_PNSZ_IS14_E10value_typeET4_jRbjT5_S1A_jjP12ihipStream_tbEUljE_EEESV_SW_SX_S14_S18_S1A_T6_T7_T9_mT8_S1C_bDpT10_ENKUlT_T0_E_clISt17integral_constantIbLb1EES1P_EEDaS1K_S1L_EUlS1K_E_NS1_11comp_targetILNS1_3genE0ELNS1_11target_archE4294967295ELNS1_3gpuE0ELNS1_3repE0EEENS1_30default_config_static_selectorELNS0_4arch9wavefront6targetE0EEEvSY_.numbered_sgpr, 0
	.set _ZN7rocprim17ROCPRIM_400000_NS6detail17trampoline_kernelINS0_13select_configILj256ELj13ELNS0_17block_load_methodE3ELS4_3ELS4_3ELNS0_20block_scan_algorithmE0ELj4294967295EEENS1_25partition_config_selectorILNS1_17partition_subalgoE3EjNS0_10empty_typeEbEEZZNS1_14partition_implILS8_3ELb0ES6_jNS0_17counting_iteratorIjlEEPS9_SE_NS0_5tupleIJPjSE_EEENSF_IJSE_SE_EEES9_SG_JZNS1_25segmented_radix_sort_implINS0_14default_configELb0EPKaPaPKlPlN2at6native12_GLOBAL__N_18offset_tEEE10hipError_tPvRmT1_PNSt15iterator_traitsISY_E10value_typeET2_T3_PNSZ_IS14_E10value_typeET4_jRbjT5_S1A_jjP12ihipStream_tbEUljE_EEESV_SW_SX_S14_S18_S1A_T6_T7_T9_mT8_S1C_bDpT10_ENKUlT_T0_E_clISt17integral_constantIbLb1EES1P_EEDaS1K_S1L_EUlS1K_E_NS1_11comp_targetILNS1_3genE0ELNS1_11target_archE4294967295ELNS1_3gpuE0ELNS1_3repE0EEENS1_30default_config_static_selectorELNS0_4arch9wavefront6targetE0EEEvSY_.num_named_barrier, 0
	.set _ZN7rocprim17ROCPRIM_400000_NS6detail17trampoline_kernelINS0_13select_configILj256ELj13ELNS0_17block_load_methodE3ELS4_3ELS4_3ELNS0_20block_scan_algorithmE0ELj4294967295EEENS1_25partition_config_selectorILNS1_17partition_subalgoE3EjNS0_10empty_typeEbEEZZNS1_14partition_implILS8_3ELb0ES6_jNS0_17counting_iteratorIjlEEPS9_SE_NS0_5tupleIJPjSE_EEENSF_IJSE_SE_EEES9_SG_JZNS1_25segmented_radix_sort_implINS0_14default_configELb0EPKaPaPKlPlN2at6native12_GLOBAL__N_18offset_tEEE10hipError_tPvRmT1_PNSt15iterator_traitsISY_E10value_typeET2_T3_PNSZ_IS14_E10value_typeET4_jRbjT5_S1A_jjP12ihipStream_tbEUljE_EEESV_SW_SX_S14_S18_S1A_T6_T7_T9_mT8_S1C_bDpT10_ENKUlT_T0_E_clISt17integral_constantIbLb1EES1P_EEDaS1K_S1L_EUlS1K_E_NS1_11comp_targetILNS1_3genE0ELNS1_11target_archE4294967295ELNS1_3gpuE0ELNS1_3repE0EEENS1_30default_config_static_selectorELNS0_4arch9wavefront6targetE0EEEvSY_.private_seg_size, 0
	.set _ZN7rocprim17ROCPRIM_400000_NS6detail17trampoline_kernelINS0_13select_configILj256ELj13ELNS0_17block_load_methodE3ELS4_3ELS4_3ELNS0_20block_scan_algorithmE0ELj4294967295EEENS1_25partition_config_selectorILNS1_17partition_subalgoE3EjNS0_10empty_typeEbEEZZNS1_14partition_implILS8_3ELb0ES6_jNS0_17counting_iteratorIjlEEPS9_SE_NS0_5tupleIJPjSE_EEENSF_IJSE_SE_EEES9_SG_JZNS1_25segmented_radix_sort_implINS0_14default_configELb0EPKaPaPKlPlN2at6native12_GLOBAL__N_18offset_tEEE10hipError_tPvRmT1_PNSt15iterator_traitsISY_E10value_typeET2_T3_PNSZ_IS14_E10value_typeET4_jRbjT5_S1A_jjP12ihipStream_tbEUljE_EEESV_SW_SX_S14_S18_S1A_T6_T7_T9_mT8_S1C_bDpT10_ENKUlT_T0_E_clISt17integral_constantIbLb1EES1P_EEDaS1K_S1L_EUlS1K_E_NS1_11comp_targetILNS1_3genE0ELNS1_11target_archE4294967295ELNS1_3gpuE0ELNS1_3repE0EEENS1_30default_config_static_selectorELNS0_4arch9wavefront6targetE0EEEvSY_.uses_vcc, 0
	.set _ZN7rocprim17ROCPRIM_400000_NS6detail17trampoline_kernelINS0_13select_configILj256ELj13ELNS0_17block_load_methodE3ELS4_3ELS4_3ELNS0_20block_scan_algorithmE0ELj4294967295EEENS1_25partition_config_selectorILNS1_17partition_subalgoE3EjNS0_10empty_typeEbEEZZNS1_14partition_implILS8_3ELb0ES6_jNS0_17counting_iteratorIjlEEPS9_SE_NS0_5tupleIJPjSE_EEENSF_IJSE_SE_EEES9_SG_JZNS1_25segmented_radix_sort_implINS0_14default_configELb0EPKaPaPKlPlN2at6native12_GLOBAL__N_18offset_tEEE10hipError_tPvRmT1_PNSt15iterator_traitsISY_E10value_typeET2_T3_PNSZ_IS14_E10value_typeET4_jRbjT5_S1A_jjP12ihipStream_tbEUljE_EEESV_SW_SX_S14_S18_S1A_T6_T7_T9_mT8_S1C_bDpT10_ENKUlT_T0_E_clISt17integral_constantIbLb1EES1P_EEDaS1K_S1L_EUlS1K_E_NS1_11comp_targetILNS1_3genE0ELNS1_11target_archE4294967295ELNS1_3gpuE0ELNS1_3repE0EEENS1_30default_config_static_selectorELNS0_4arch9wavefront6targetE0EEEvSY_.uses_flat_scratch, 0
	.set _ZN7rocprim17ROCPRIM_400000_NS6detail17trampoline_kernelINS0_13select_configILj256ELj13ELNS0_17block_load_methodE3ELS4_3ELS4_3ELNS0_20block_scan_algorithmE0ELj4294967295EEENS1_25partition_config_selectorILNS1_17partition_subalgoE3EjNS0_10empty_typeEbEEZZNS1_14partition_implILS8_3ELb0ES6_jNS0_17counting_iteratorIjlEEPS9_SE_NS0_5tupleIJPjSE_EEENSF_IJSE_SE_EEES9_SG_JZNS1_25segmented_radix_sort_implINS0_14default_configELb0EPKaPaPKlPlN2at6native12_GLOBAL__N_18offset_tEEE10hipError_tPvRmT1_PNSt15iterator_traitsISY_E10value_typeET2_T3_PNSZ_IS14_E10value_typeET4_jRbjT5_S1A_jjP12ihipStream_tbEUljE_EEESV_SW_SX_S14_S18_S1A_T6_T7_T9_mT8_S1C_bDpT10_ENKUlT_T0_E_clISt17integral_constantIbLb1EES1P_EEDaS1K_S1L_EUlS1K_E_NS1_11comp_targetILNS1_3genE0ELNS1_11target_archE4294967295ELNS1_3gpuE0ELNS1_3repE0EEENS1_30default_config_static_selectorELNS0_4arch9wavefront6targetE0EEEvSY_.has_dyn_sized_stack, 0
	.set _ZN7rocprim17ROCPRIM_400000_NS6detail17trampoline_kernelINS0_13select_configILj256ELj13ELNS0_17block_load_methodE3ELS4_3ELS4_3ELNS0_20block_scan_algorithmE0ELj4294967295EEENS1_25partition_config_selectorILNS1_17partition_subalgoE3EjNS0_10empty_typeEbEEZZNS1_14partition_implILS8_3ELb0ES6_jNS0_17counting_iteratorIjlEEPS9_SE_NS0_5tupleIJPjSE_EEENSF_IJSE_SE_EEES9_SG_JZNS1_25segmented_radix_sort_implINS0_14default_configELb0EPKaPaPKlPlN2at6native12_GLOBAL__N_18offset_tEEE10hipError_tPvRmT1_PNSt15iterator_traitsISY_E10value_typeET2_T3_PNSZ_IS14_E10value_typeET4_jRbjT5_S1A_jjP12ihipStream_tbEUljE_EEESV_SW_SX_S14_S18_S1A_T6_T7_T9_mT8_S1C_bDpT10_ENKUlT_T0_E_clISt17integral_constantIbLb1EES1P_EEDaS1K_S1L_EUlS1K_E_NS1_11comp_targetILNS1_3genE0ELNS1_11target_archE4294967295ELNS1_3gpuE0ELNS1_3repE0EEENS1_30default_config_static_selectorELNS0_4arch9wavefront6targetE0EEEvSY_.has_recursion, 0
	.set _ZN7rocprim17ROCPRIM_400000_NS6detail17trampoline_kernelINS0_13select_configILj256ELj13ELNS0_17block_load_methodE3ELS4_3ELS4_3ELNS0_20block_scan_algorithmE0ELj4294967295EEENS1_25partition_config_selectorILNS1_17partition_subalgoE3EjNS0_10empty_typeEbEEZZNS1_14partition_implILS8_3ELb0ES6_jNS0_17counting_iteratorIjlEEPS9_SE_NS0_5tupleIJPjSE_EEENSF_IJSE_SE_EEES9_SG_JZNS1_25segmented_radix_sort_implINS0_14default_configELb0EPKaPaPKlPlN2at6native12_GLOBAL__N_18offset_tEEE10hipError_tPvRmT1_PNSt15iterator_traitsISY_E10value_typeET2_T3_PNSZ_IS14_E10value_typeET4_jRbjT5_S1A_jjP12ihipStream_tbEUljE_EEESV_SW_SX_S14_S18_S1A_T6_T7_T9_mT8_S1C_bDpT10_ENKUlT_T0_E_clISt17integral_constantIbLb1EES1P_EEDaS1K_S1L_EUlS1K_E_NS1_11comp_targetILNS1_3genE0ELNS1_11target_archE4294967295ELNS1_3gpuE0ELNS1_3repE0EEENS1_30default_config_static_selectorELNS0_4arch9wavefront6targetE0EEEvSY_.has_indirect_call, 0
	.section	.AMDGPU.csdata,"",@progbits
; Kernel info:
; codeLenInByte = 4
; TotalNumSgprs: 0
; NumVgprs: 0
; ScratchSize: 0
; MemoryBound: 0
; FloatMode: 240
; IeeeMode: 1
; LDSByteSize: 0 bytes/workgroup (compile time only)
; SGPRBlocks: 0
; VGPRBlocks: 0
; NumSGPRsForWavesPerEU: 1
; NumVGPRsForWavesPerEU: 1
; NamedBarCnt: 0
; Occupancy: 16
; WaveLimiterHint : 0
; COMPUTE_PGM_RSRC2:SCRATCH_EN: 0
; COMPUTE_PGM_RSRC2:USER_SGPR: 2
; COMPUTE_PGM_RSRC2:TRAP_HANDLER: 0
; COMPUTE_PGM_RSRC2:TGID_X_EN: 1
; COMPUTE_PGM_RSRC2:TGID_Y_EN: 0
; COMPUTE_PGM_RSRC2:TGID_Z_EN: 0
; COMPUTE_PGM_RSRC2:TIDIG_COMP_CNT: 0
	.section	.text._ZN7rocprim17ROCPRIM_400000_NS6detail17trampoline_kernelINS0_13select_configILj256ELj13ELNS0_17block_load_methodE3ELS4_3ELS4_3ELNS0_20block_scan_algorithmE0ELj4294967295EEENS1_25partition_config_selectorILNS1_17partition_subalgoE3EjNS0_10empty_typeEbEEZZNS1_14partition_implILS8_3ELb0ES6_jNS0_17counting_iteratorIjlEEPS9_SE_NS0_5tupleIJPjSE_EEENSF_IJSE_SE_EEES9_SG_JZNS1_25segmented_radix_sort_implINS0_14default_configELb0EPKaPaPKlPlN2at6native12_GLOBAL__N_18offset_tEEE10hipError_tPvRmT1_PNSt15iterator_traitsISY_E10value_typeET2_T3_PNSZ_IS14_E10value_typeET4_jRbjT5_S1A_jjP12ihipStream_tbEUljE_EEESV_SW_SX_S14_S18_S1A_T6_T7_T9_mT8_S1C_bDpT10_ENKUlT_T0_E_clISt17integral_constantIbLb1EES1P_EEDaS1K_S1L_EUlS1K_E_NS1_11comp_targetILNS1_3genE5ELNS1_11target_archE942ELNS1_3gpuE9ELNS1_3repE0EEENS1_30default_config_static_selectorELNS0_4arch9wavefront6targetE0EEEvSY_,"axG",@progbits,_ZN7rocprim17ROCPRIM_400000_NS6detail17trampoline_kernelINS0_13select_configILj256ELj13ELNS0_17block_load_methodE3ELS4_3ELS4_3ELNS0_20block_scan_algorithmE0ELj4294967295EEENS1_25partition_config_selectorILNS1_17partition_subalgoE3EjNS0_10empty_typeEbEEZZNS1_14partition_implILS8_3ELb0ES6_jNS0_17counting_iteratorIjlEEPS9_SE_NS0_5tupleIJPjSE_EEENSF_IJSE_SE_EEES9_SG_JZNS1_25segmented_radix_sort_implINS0_14default_configELb0EPKaPaPKlPlN2at6native12_GLOBAL__N_18offset_tEEE10hipError_tPvRmT1_PNSt15iterator_traitsISY_E10value_typeET2_T3_PNSZ_IS14_E10value_typeET4_jRbjT5_S1A_jjP12ihipStream_tbEUljE_EEESV_SW_SX_S14_S18_S1A_T6_T7_T9_mT8_S1C_bDpT10_ENKUlT_T0_E_clISt17integral_constantIbLb1EES1P_EEDaS1K_S1L_EUlS1K_E_NS1_11comp_targetILNS1_3genE5ELNS1_11target_archE942ELNS1_3gpuE9ELNS1_3repE0EEENS1_30default_config_static_selectorELNS0_4arch9wavefront6targetE0EEEvSY_,comdat
	.globl	_ZN7rocprim17ROCPRIM_400000_NS6detail17trampoline_kernelINS0_13select_configILj256ELj13ELNS0_17block_load_methodE3ELS4_3ELS4_3ELNS0_20block_scan_algorithmE0ELj4294967295EEENS1_25partition_config_selectorILNS1_17partition_subalgoE3EjNS0_10empty_typeEbEEZZNS1_14partition_implILS8_3ELb0ES6_jNS0_17counting_iteratorIjlEEPS9_SE_NS0_5tupleIJPjSE_EEENSF_IJSE_SE_EEES9_SG_JZNS1_25segmented_radix_sort_implINS0_14default_configELb0EPKaPaPKlPlN2at6native12_GLOBAL__N_18offset_tEEE10hipError_tPvRmT1_PNSt15iterator_traitsISY_E10value_typeET2_T3_PNSZ_IS14_E10value_typeET4_jRbjT5_S1A_jjP12ihipStream_tbEUljE_EEESV_SW_SX_S14_S18_S1A_T6_T7_T9_mT8_S1C_bDpT10_ENKUlT_T0_E_clISt17integral_constantIbLb1EES1P_EEDaS1K_S1L_EUlS1K_E_NS1_11comp_targetILNS1_3genE5ELNS1_11target_archE942ELNS1_3gpuE9ELNS1_3repE0EEENS1_30default_config_static_selectorELNS0_4arch9wavefront6targetE0EEEvSY_ ; -- Begin function _ZN7rocprim17ROCPRIM_400000_NS6detail17trampoline_kernelINS0_13select_configILj256ELj13ELNS0_17block_load_methodE3ELS4_3ELS4_3ELNS0_20block_scan_algorithmE0ELj4294967295EEENS1_25partition_config_selectorILNS1_17partition_subalgoE3EjNS0_10empty_typeEbEEZZNS1_14partition_implILS8_3ELb0ES6_jNS0_17counting_iteratorIjlEEPS9_SE_NS0_5tupleIJPjSE_EEENSF_IJSE_SE_EEES9_SG_JZNS1_25segmented_radix_sort_implINS0_14default_configELb0EPKaPaPKlPlN2at6native12_GLOBAL__N_18offset_tEEE10hipError_tPvRmT1_PNSt15iterator_traitsISY_E10value_typeET2_T3_PNSZ_IS14_E10value_typeET4_jRbjT5_S1A_jjP12ihipStream_tbEUljE_EEESV_SW_SX_S14_S18_S1A_T6_T7_T9_mT8_S1C_bDpT10_ENKUlT_T0_E_clISt17integral_constantIbLb1EES1P_EEDaS1K_S1L_EUlS1K_E_NS1_11comp_targetILNS1_3genE5ELNS1_11target_archE942ELNS1_3gpuE9ELNS1_3repE0EEENS1_30default_config_static_selectorELNS0_4arch9wavefront6targetE0EEEvSY_
	.p2align	8
	.type	_ZN7rocprim17ROCPRIM_400000_NS6detail17trampoline_kernelINS0_13select_configILj256ELj13ELNS0_17block_load_methodE3ELS4_3ELS4_3ELNS0_20block_scan_algorithmE0ELj4294967295EEENS1_25partition_config_selectorILNS1_17partition_subalgoE3EjNS0_10empty_typeEbEEZZNS1_14partition_implILS8_3ELb0ES6_jNS0_17counting_iteratorIjlEEPS9_SE_NS0_5tupleIJPjSE_EEENSF_IJSE_SE_EEES9_SG_JZNS1_25segmented_radix_sort_implINS0_14default_configELb0EPKaPaPKlPlN2at6native12_GLOBAL__N_18offset_tEEE10hipError_tPvRmT1_PNSt15iterator_traitsISY_E10value_typeET2_T3_PNSZ_IS14_E10value_typeET4_jRbjT5_S1A_jjP12ihipStream_tbEUljE_EEESV_SW_SX_S14_S18_S1A_T6_T7_T9_mT8_S1C_bDpT10_ENKUlT_T0_E_clISt17integral_constantIbLb1EES1P_EEDaS1K_S1L_EUlS1K_E_NS1_11comp_targetILNS1_3genE5ELNS1_11target_archE942ELNS1_3gpuE9ELNS1_3repE0EEENS1_30default_config_static_selectorELNS0_4arch9wavefront6targetE0EEEvSY_,@function
_ZN7rocprim17ROCPRIM_400000_NS6detail17trampoline_kernelINS0_13select_configILj256ELj13ELNS0_17block_load_methodE3ELS4_3ELS4_3ELNS0_20block_scan_algorithmE0ELj4294967295EEENS1_25partition_config_selectorILNS1_17partition_subalgoE3EjNS0_10empty_typeEbEEZZNS1_14partition_implILS8_3ELb0ES6_jNS0_17counting_iteratorIjlEEPS9_SE_NS0_5tupleIJPjSE_EEENSF_IJSE_SE_EEES9_SG_JZNS1_25segmented_radix_sort_implINS0_14default_configELb0EPKaPaPKlPlN2at6native12_GLOBAL__N_18offset_tEEE10hipError_tPvRmT1_PNSt15iterator_traitsISY_E10value_typeET2_T3_PNSZ_IS14_E10value_typeET4_jRbjT5_S1A_jjP12ihipStream_tbEUljE_EEESV_SW_SX_S14_S18_S1A_T6_T7_T9_mT8_S1C_bDpT10_ENKUlT_T0_E_clISt17integral_constantIbLb1EES1P_EEDaS1K_S1L_EUlS1K_E_NS1_11comp_targetILNS1_3genE5ELNS1_11target_archE942ELNS1_3gpuE9ELNS1_3repE0EEENS1_30default_config_static_selectorELNS0_4arch9wavefront6targetE0EEEvSY_: ; @_ZN7rocprim17ROCPRIM_400000_NS6detail17trampoline_kernelINS0_13select_configILj256ELj13ELNS0_17block_load_methodE3ELS4_3ELS4_3ELNS0_20block_scan_algorithmE0ELj4294967295EEENS1_25partition_config_selectorILNS1_17partition_subalgoE3EjNS0_10empty_typeEbEEZZNS1_14partition_implILS8_3ELb0ES6_jNS0_17counting_iteratorIjlEEPS9_SE_NS0_5tupleIJPjSE_EEENSF_IJSE_SE_EEES9_SG_JZNS1_25segmented_radix_sort_implINS0_14default_configELb0EPKaPaPKlPlN2at6native12_GLOBAL__N_18offset_tEEE10hipError_tPvRmT1_PNSt15iterator_traitsISY_E10value_typeET2_T3_PNSZ_IS14_E10value_typeET4_jRbjT5_S1A_jjP12ihipStream_tbEUljE_EEESV_SW_SX_S14_S18_S1A_T6_T7_T9_mT8_S1C_bDpT10_ENKUlT_T0_E_clISt17integral_constantIbLb1EES1P_EEDaS1K_S1L_EUlS1K_E_NS1_11comp_targetILNS1_3genE5ELNS1_11target_archE942ELNS1_3gpuE9ELNS1_3repE0EEENS1_30default_config_static_selectorELNS0_4arch9wavefront6targetE0EEEvSY_
; %bb.0:
	.section	.rodata,"a",@progbits
	.p2align	6, 0x0
	.amdhsa_kernel _ZN7rocprim17ROCPRIM_400000_NS6detail17trampoline_kernelINS0_13select_configILj256ELj13ELNS0_17block_load_methodE3ELS4_3ELS4_3ELNS0_20block_scan_algorithmE0ELj4294967295EEENS1_25partition_config_selectorILNS1_17partition_subalgoE3EjNS0_10empty_typeEbEEZZNS1_14partition_implILS8_3ELb0ES6_jNS0_17counting_iteratorIjlEEPS9_SE_NS0_5tupleIJPjSE_EEENSF_IJSE_SE_EEES9_SG_JZNS1_25segmented_radix_sort_implINS0_14default_configELb0EPKaPaPKlPlN2at6native12_GLOBAL__N_18offset_tEEE10hipError_tPvRmT1_PNSt15iterator_traitsISY_E10value_typeET2_T3_PNSZ_IS14_E10value_typeET4_jRbjT5_S1A_jjP12ihipStream_tbEUljE_EEESV_SW_SX_S14_S18_S1A_T6_T7_T9_mT8_S1C_bDpT10_ENKUlT_T0_E_clISt17integral_constantIbLb1EES1P_EEDaS1K_S1L_EUlS1K_E_NS1_11comp_targetILNS1_3genE5ELNS1_11target_archE942ELNS1_3gpuE9ELNS1_3repE0EEENS1_30default_config_static_selectorELNS0_4arch9wavefront6targetE0EEEvSY_
		.amdhsa_group_segment_fixed_size 0
		.amdhsa_private_segment_fixed_size 0
		.amdhsa_kernarg_size 152
		.amdhsa_user_sgpr_count 2
		.amdhsa_user_sgpr_dispatch_ptr 0
		.amdhsa_user_sgpr_queue_ptr 0
		.amdhsa_user_sgpr_kernarg_segment_ptr 1
		.amdhsa_user_sgpr_dispatch_id 0
		.amdhsa_user_sgpr_kernarg_preload_length 0
		.amdhsa_user_sgpr_kernarg_preload_offset 0
		.amdhsa_user_sgpr_private_segment_size 0
		.amdhsa_wavefront_size32 1
		.amdhsa_uses_dynamic_stack 0
		.amdhsa_enable_private_segment 0
		.amdhsa_system_sgpr_workgroup_id_x 1
		.amdhsa_system_sgpr_workgroup_id_y 0
		.amdhsa_system_sgpr_workgroup_id_z 0
		.amdhsa_system_sgpr_workgroup_info 0
		.amdhsa_system_vgpr_workitem_id 0
		.amdhsa_next_free_vgpr 1
		.amdhsa_next_free_sgpr 1
		.amdhsa_named_barrier_count 0
		.amdhsa_reserve_vcc 0
		.amdhsa_float_round_mode_32 0
		.amdhsa_float_round_mode_16_64 0
		.amdhsa_float_denorm_mode_32 3
		.amdhsa_float_denorm_mode_16_64 3
		.amdhsa_fp16_overflow 0
		.amdhsa_memory_ordered 1
		.amdhsa_forward_progress 1
		.amdhsa_inst_pref_size 0
		.amdhsa_round_robin_scheduling 0
		.amdhsa_exception_fp_ieee_invalid_op 0
		.amdhsa_exception_fp_denorm_src 0
		.amdhsa_exception_fp_ieee_div_zero 0
		.amdhsa_exception_fp_ieee_overflow 0
		.amdhsa_exception_fp_ieee_underflow 0
		.amdhsa_exception_fp_ieee_inexact 0
		.amdhsa_exception_int_div_zero 0
	.end_amdhsa_kernel
	.section	.text._ZN7rocprim17ROCPRIM_400000_NS6detail17trampoline_kernelINS0_13select_configILj256ELj13ELNS0_17block_load_methodE3ELS4_3ELS4_3ELNS0_20block_scan_algorithmE0ELj4294967295EEENS1_25partition_config_selectorILNS1_17partition_subalgoE3EjNS0_10empty_typeEbEEZZNS1_14partition_implILS8_3ELb0ES6_jNS0_17counting_iteratorIjlEEPS9_SE_NS0_5tupleIJPjSE_EEENSF_IJSE_SE_EEES9_SG_JZNS1_25segmented_radix_sort_implINS0_14default_configELb0EPKaPaPKlPlN2at6native12_GLOBAL__N_18offset_tEEE10hipError_tPvRmT1_PNSt15iterator_traitsISY_E10value_typeET2_T3_PNSZ_IS14_E10value_typeET4_jRbjT5_S1A_jjP12ihipStream_tbEUljE_EEESV_SW_SX_S14_S18_S1A_T6_T7_T9_mT8_S1C_bDpT10_ENKUlT_T0_E_clISt17integral_constantIbLb1EES1P_EEDaS1K_S1L_EUlS1K_E_NS1_11comp_targetILNS1_3genE5ELNS1_11target_archE942ELNS1_3gpuE9ELNS1_3repE0EEENS1_30default_config_static_selectorELNS0_4arch9wavefront6targetE0EEEvSY_,"axG",@progbits,_ZN7rocprim17ROCPRIM_400000_NS6detail17trampoline_kernelINS0_13select_configILj256ELj13ELNS0_17block_load_methodE3ELS4_3ELS4_3ELNS0_20block_scan_algorithmE0ELj4294967295EEENS1_25partition_config_selectorILNS1_17partition_subalgoE3EjNS0_10empty_typeEbEEZZNS1_14partition_implILS8_3ELb0ES6_jNS0_17counting_iteratorIjlEEPS9_SE_NS0_5tupleIJPjSE_EEENSF_IJSE_SE_EEES9_SG_JZNS1_25segmented_radix_sort_implINS0_14default_configELb0EPKaPaPKlPlN2at6native12_GLOBAL__N_18offset_tEEE10hipError_tPvRmT1_PNSt15iterator_traitsISY_E10value_typeET2_T3_PNSZ_IS14_E10value_typeET4_jRbjT5_S1A_jjP12ihipStream_tbEUljE_EEESV_SW_SX_S14_S18_S1A_T6_T7_T9_mT8_S1C_bDpT10_ENKUlT_T0_E_clISt17integral_constantIbLb1EES1P_EEDaS1K_S1L_EUlS1K_E_NS1_11comp_targetILNS1_3genE5ELNS1_11target_archE942ELNS1_3gpuE9ELNS1_3repE0EEENS1_30default_config_static_selectorELNS0_4arch9wavefront6targetE0EEEvSY_,comdat
.Lfunc_end367:
	.size	_ZN7rocprim17ROCPRIM_400000_NS6detail17trampoline_kernelINS0_13select_configILj256ELj13ELNS0_17block_load_methodE3ELS4_3ELS4_3ELNS0_20block_scan_algorithmE0ELj4294967295EEENS1_25partition_config_selectorILNS1_17partition_subalgoE3EjNS0_10empty_typeEbEEZZNS1_14partition_implILS8_3ELb0ES6_jNS0_17counting_iteratorIjlEEPS9_SE_NS0_5tupleIJPjSE_EEENSF_IJSE_SE_EEES9_SG_JZNS1_25segmented_radix_sort_implINS0_14default_configELb0EPKaPaPKlPlN2at6native12_GLOBAL__N_18offset_tEEE10hipError_tPvRmT1_PNSt15iterator_traitsISY_E10value_typeET2_T3_PNSZ_IS14_E10value_typeET4_jRbjT5_S1A_jjP12ihipStream_tbEUljE_EEESV_SW_SX_S14_S18_S1A_T6_T7_T9_mT8_S1C_bDpT10_ENKUlT_T0_E_clISt17integral_constantIbLb1EES1P_EEDaS1K_S1L_EUlS1K_E_NS1_11comp_targetILNS1_3genE5ELNS1_11target_archE942ELNS1_3gpuE9ELNS1_3repE0EEENS1_30default_config_static_selectorELNS0_4arch9wavefront6targetE0EEEvSY_, .Lfunc_end367-_ZN7rocprim17ROCPRIM_400000_NS6detail17trampoline_kernelINS0_13select_configILj256ELj13ELNS0_17block_load_methodE3ELS4_3ELS4_3ELNS0_20block_scan_algorithmE0ELj4294967295EEENS1_25partition_config_selectorILNS1_17partition_subalgoE3EjNS0_10empty_typeEbEEZZNS1_14partition_implILS8_3ELb0ES6_jNS0_17counting_iteratorIjlEEPS9_SE_NS0_5tupleIJPjSE_EEENSF_IJSE_SE_EEES9_SG_JZNS1_25segmented_radix_sort_implINS0_14default_configELb0EPKaPaPKlPlN2at6native12_GLOBAL__N_18offset_tEEE10hipError_tPvRmT1_PNSt15iterator_traitsISY_E10value_typeET2_T3_PNSZ_IS14_E10value_typeET4_jRbjT5_S1A_jjP12ihipStream_tbEUljE_EEESV_SW_SX_S14_S18_S1A_T6_T7_T9_mT8_S1C_bDpT10_ENKUlT_T0_E_clISt17integral_constantIbLb1EES1P_EEDaS1K_S1L_EUlS1K_E_NS1_11comp_targetILNS1_3genE5ELNS1_11target_archE942ELNS1_3gpuE9ELNS1_3repE0EEENS1_30default_config_static_selectorELNS0_4arch9wavefront6targetE0EEEvSY_
                                        ; -- End function
	.set _ZN7rocprim17ROCPRIM_400000_NS6detail17trampoline_kernelINS0_13select_configILj256ELj13ELNS0_17block_load_methodE3ELS4_3ELS4_3ELNS0_20block_scan_algorithmE0ELj4294967295EEENS1_25partition_config_selectorILNS1_17partition_subalgoE3EjNS0_10empty_typeEbEEZZNS1_14partition_implILS8_3ELb0ES6_jNS0_17counting_iteratorIjlEEPS9_SE_NS0_5tupleIJPjSE_EEENSF_IJSE_SE_EEES9_SG_JZNS1_25segmented_radix_sort_implINS0_14default_configELb0EPKaPaPKlPlN2at6native12_GLOBAL__N_18offset_tEEE10hipError_tPvRmT1_PNSt15iterator_traitsISY_E10value_typeET2_T3_PNSZ_IS14_E10value_typeET4_jRbjT5_S1A_jjP12ihipStream_tbEUljE_EEESV_SW_SX_S14_S18_S1A_T6_T7_T9_mT8_S1C_bDpT10_ENKUlT_T0_E_clISt17integral_constantIbLb1EES1P_EEDaS1K_S1L_EUlS1K_E_NS1_11comp_targetILNS1_3genE5ELNS1_11target_archE942ELNS1_3gpuE9ELNS1_3repE0EEENS1_30default_config_static_selectorELNS0_4arch9wavefront6targetE0EEEvSY_.num_vgpr, 0
	.set _ZN7rocprim17ROCPRIM_400000_NS6detail17trampoline_kernelINS0_13select_configILj256ELj13ELNS0_17block_load_methodE3ELS4_3ELS4_3ELNS0_20block_scan_algorithmE0ELj4294967295EEENS1_25partition_config_selectorILNS1_17partition_subalgoE3EjNS0_10empty_typeEbEEZZNS1_14partition_implILS8_3ELb0ES6_jNS0_17counting_iteratorIjlEEPS9_SE_NS0_5tupleIJPjSE_EEENSF_IJSE_SE_EEES9_SG_JZNS1_25segmented_radix_sort_implINS0_14default_configELb0EPKaPaPKlPlN2at6native12_GLOBAL__N_18offset_tEEE10hipError_tPvRmT1_PNSt15iterator_traitsISY_E10value_typeET2_T3_PNSZ_IS14_E10value_typeET4_jRbjT5_S1A_jjP12ihipStream_tbEUljE_EEESV_SW_SX_S14_S18_S1A_T6_T7_T9_mT8_S1C_bDpT10_ENKUlT_T0_E_clISt17integral_constantIbLb1EES1P_EEDaS1K_S1L_EUlS1K_E_NS1_11comp_targetILNS1_3genE5ELNS1_11target_archE942ELNS1_3gpuE9ELNS1_3repE0EEENS1_30default_config_static_selectorELNS0_4arch9wavefront6targetE0EEEvSY_.num_agpr, 0
	.set _ZN7rocprim17ROCPRIM_400000_NS6detail17trampoline_kernelINS0_13select_configILj256ELj13ELNS0_17block_load_methodE3ELS4_3ELS4_3ELNS0_20block_scan_algorithmE0ELj4294967295EEENS1_25partition_config_selectorILNS1_17partition_subalgoE3EjNS0_10empty_typeEbEEZZNS1_14partition_implILS8_3ELb0ES6_jNS0_17counting_iteratorIjlEEPS9_SE_NS0_5tupleIJPjSE_EEENSF_IJSE_SE_EEES9_SG_JZNS1_25segmented_radix_sort_implINS0_14default_configELb0EPKaPaPKlPlN2at6native12_GLOBAL__N_18offset_tEEE10hipError_tPvRmT1_PNSt15iterator_traitsISY_E10value_typeET2_T3_PNSZ_IS14_E10value_typeET4_jRbjT5_S1A_jjP12ihipStream_tbEUljE_EEESV_SW_SX_S14_S18_S1A_T6_T7_T9_mT8_S1C_bDpT10_ENKUlT_T0_E_clISt17integral_constantIbLb1EES1P_EEDaS1K_S1L_EUlS1K_E_NS1_11comp_targetILNS1_3genE5ELNS1_11target_archE942ELNS1_3gpuE9ELNS1_3repE0EEENS1_30default_config_static_selectorELNS0_4arch9wavefront6targetE0EEEvSY_.numbered_sgpr, 0
	.set _ZN7rocprim17ROCPRIM_400000_NS6detail17trampoline_kernelINS0_13select_configILj256ELj13ELNS0_17block_load_methodE3ELS4_3ELS4_3ELNS0_20block_scan_algorithmE0ELj4294967295EEENS1_25partition_config_selectorILNS1_17partition_subalgoE3EjNS0_10empty_typeEbEEZZNS1_14partition_implILS8_3ELb0ES6_jNS0_17counting_iteratorIjlEEPS9_SE_NS0_5tupleIJPjSE_EEENSF_IJSE_SE_EEES9_SG_JZNS1_25segmented_radix_sort_implINS0_14default_configELb0EPKaPaPKlPlN2at6native12_GLOBAL__N_18offset_tEEE10hipError_tPvRmT1_PNSt15iterator_traitsISY_E10value_typeET2_T3_PNSZ_IS14_E10value_typeET4_jRbjT5_S1A_jjP12ihipStream_tbEUljE_EEESV_SW_SX_S14_S18_S1A_T6_T7_T9_mT8_S1C_bDpT10_ENKUlT_T0_E_clISt17integral_constantIbLb1EES1P_EEDaS1K_S1L_EUlS1K_E_NS1_11comp_targetILNS1_3genE5ELNS1_11target_archE942ELNS1_3gpuE9ELNS1_3repE0EEENS1_30default_config_static_selectorELNS0_4arch9wavefront6targetE0EEEvSY_.num_named_barrier, 0
	.set _ZN7rocprim17ROCPRIM_400000_NS6detail17trampoline_kernelINS0_13select_configILj256ELj13ELNS0_17block_load_methodE3ELS4_3ELS4_3ELNS0_20block_scan_algorithmE0ELj4294967295EEENS1_25partition_config_selectorILNS1_17partition_subalgoE3EjNS0_10empty_typeEbEEZZNS1_14partition_implILS8_3ELb0ES6_jNS0_17counting_iteratorIjlEEPS9_SE_NS0_5tupleIJPjSE_EEENSF_IJSE_SE_EEES9_SG_JZNS1_25segmented_radix_sort_implINS0_14default_configELb0EPKaPaPKlPlN2at6native12_GLOBAL__N_18offset_tEEE10hipError_tPvRmT1_PNSt15iterator_traitsISY_E10value_typeET2_T3_PNSZ_IS14_E10value_typeET4_jRbjT5_S1A_jjP12ihipStream_tbEUljE_EEESV_SW_SX_S14_S18_S1A_T6_T7_T9_mT8_S1C_bDpT10_ENKUlT_T0_E_clISt17integral_constantIbLb1EES1P_EEDaS1K_S1L_EUlS1K_E_NS1_11comp_targetILNS1_3genE5ELNS1_11target_archE942ELNS1_3gpuE9ELNS1_3repE0EEENS1_30default_config_static_selectorELNS0_4arch9wavefront6targetE0EEEvSY_.private_seg_size, 0
	.set _ZN7rocprim17ROCPRIM_400000_NS6detail17trampoline_kernelINS0_13select_configILj256ELj13ELNS0_17block_load_methodE3ELS4_3ELS4_3ELNS0_20block_scan_algorithmE0ELj4294967295EEENS1_25partition_config_selectorILNS1_17partition_subalgoE3EjNS0_10empty_typeEbEEZZNS1_14partition_implILS8_3ELb0ES6_jNS0_17counting_iteratorIjlEEPS9_SE_NS0_5tupleIJPjSE_EEENSF_IJSE_SE_EEES9_SG_JZNS1_25segmented_radix_sort_implINS0_14default_configELb0EPKaPaPKlPlN2at6native12_GLOBAL__N_18offset_tEEE10hipError_tPvRmT1_PNSt15iterator_traitsISY_E10value_typeET2_T3_PNSZ_IS14_E10value_typeET4_jRbjT5_S1A_jjP12ihipStream_tbEUljE_EEESV_SW_SX_S14_S18_S1A_T6_T7_T9_mT8_S1C_bDpT10_ENKUlT_T0_E_clISt17integral_constantIbLb1EES1P_EEDaS1K_S1L_EUlS1K_E_NS1_11comp_targetILNS1_3genE5ELNS1_11target_archE942ELNS1_3gpuE9ELNS1_3repE0EEENS1_30default_config_static_selectorELNS0_4arch9wavefront6targetE0EEEvSY_.uses_vcc, 0
	.set _ZN7rocprim17ROCPRIM_400000_NS6detail17trampoline_kernelINS0_13select_configILj256ELj13ELNS0_17block_load_methodE3ELS4_3ELS4_3ELNS0_20block_scan_algorithmE0ELj4294967295EEENS1_25partition_config_selectorILNS1_17partition_subalgoE3EjNS0_10empty_typeEbEEZZNS1_14partition_implILS8_3ELb0ES6_jNS0_17counting_iteratorIjlEEPS9_SE_NS0_5tupleIJPjSE_EEENSF_IJSE_SE_EEES9_SG_JZNS1_25segmented_radix_sort_implINS0_14default_configELb0EPKaPaPKlPlN2at6native12_GLOBAL__N_18offset_tEEE10hipError_tPvRmT1_PNSt15iterator_traitsISY_E10value_typeET2_T3_PNSZ_IS14_E10value_typeET4_jRbjT5_S1A_jjP12ihipStream_tbEUljE_EEESV_SW_SX_S14_S18_S1A_T6_T7_T9_mT8_S1C_bDpT10_ENKUlT_T0_E_clISt17integral_constantIbLb1EES1P_EEDaS1K_S1L_EUlS1K_E_NS1_11comp_targetILNS1_3genE5ELNS1_11target_archE942ELNS1_3gpuE9ELNS1_3repE0EEENS1_30default_config_static_selectorELNS0_4arch9wavefront6targetE0EEEvSY_.uses_flat_scratch, 0
	.set _ZN7rocprim17ROCPRIM_400000_NS6detail17trampoline_kernelINS0_13select_configILj256ELj13ELNS0_17block_load_methodE3ELS4_3ELS4_3ELNS0_20block_scan_algorithmE0ELj4294967295EEENS1_25partition_config_selectorILNS1_17partition_subalgoE3EjNS0_10empty_typeEbEEZZNS1_14partition_implILS8_3ELb0ES6_jNS0_17counting_iteratorIjlEEPS9_SE_NS0_5tupleIJPjSE_EEENSF_IJSE_SE_EEES9_SG_JZNS1_25segmented_radix_sort_implINS0_14default_configELb0EPKaPaPKlPlN2at6native12_GLOBAL__N_18offset_tEEE10hipError_tPvRmT1_PNSt15iterator_traitsISY_E10value_typeET2_T3_PNSZ_IS14_E10value_typeET4_jRbjT5_S1A_jjP12ihipStream_tbEUljE_EEESV_SW_SX_S14_S18_S1A_T6_T7_T9_mT8_S1C_bDpT10_ENKUlT_T0_E_clISt17integral_constantIbLb1EES1P_EEDaS1K_S1L_EUlS1K_E_NS1_11comp_targetILNS1_3genE5ELNS1_11target_archE942ELNS1_3gpuE9ELNS1_3repE0EEENS1_30default_config_static_selectorELNS0_4arch9wavefront6targetE0EEEvSY_.has_dyn_sized_stack, 0
	.set _ZN7rocprim17ROCPRIM_400000_NS6detail17trampoline_kernelINS0_13select_configILj256ELj13ELNS0_17block_load_methodE3ELS4_3ELS4_3ELNS0_20block_scan_algorithmE0ELj4294967295EEENS1_25partition_config_selectorILNS1_17partition_subalgoE3EjNS0_10empty_typeEbEEZZNS1_14partition_implILS8_3ELb0ES6_jNS0_17counting_iteratorIjlEEPS9_SE_NS0_5tupleIJPjSE_EEENSF_IJSE_SE_EEES9_SG_JZNS1_25segmented_radix_sort_implINS0_14default_configELb0EPKaPaPKlPlN2at6native12_GLOBAL__N_18offset_tEEE10hipError_tPvRmT1_PNSt15iterator_traitsISY_E10value_typeET2_T3_PNSZ_IS14_E10value_typeET4_jRbjT5_S1A_jjP12ihipStream_tbEUljE_EEESV_SW_SX_S14_S18_S1A_T6_T7_T9_mT8_S1C_bDpT10_ENKUlT_T0_E_clISt17integral_constantIbLb1EES1P_EEDaS1K_S1L_EUlS1K_E_NS1_11comp_targetILNS1_3genE5ELNS1_11target_archE942ELNS1_3gpuE9ELNS1_3repE0EEENS1_30default_config_static_selectorELNS0_4arch9wavefront6targetE0EEEvSY_.has_recursion, 0
	.set _ZN7rocprim17ROCPRIM_400000_NS6detail17trampoline_kernelINS0_13select_configILj256ELj13ELNS0_17block_load_methodE3ELS4_3ELS4_3ELNS0_20block_scan_algorithmE0ELj4294967295EEENS1_25partition_config_selectorILNS1_17partition_subalgoE3EjNS0_10empty_typeEbEEZZNS1_14partition_implILS8_3ELb0ES6_jNS0_17counting_iteratorIjlEEPS9_SE_NS0_5tupleIJPjSE_EEENSF_IJSE_SE_EEES9_SG_JZNS1_25segmented_radix_sort_implINS0_14default_configELb0EPKaPaPKlPlN2at6native12_GLOBAL__N_18offset_tEEE10hipError_tPvRmT1_PNSt15iterator_traitsISY_E10value_typeET2_T3_PNSZ_IS14_E10value_typeET4_jRbjT5_S1A_jjP12ihipStream_tbEUljE_EEESV_SW_SX_S14_S18_S1A_T6_T7_T9_mT8_S1C_bDpT10_ENKUlT_T0_E_clISt17integral_constantIbLb1EES1P_EEDaS1K_S1L_EUlS1K_E_NS1_11comp_targetILNS1_3genE5ELNS1_11target_archE942ELNS1_3gpuE9ELNS1_3repE0EEENS1_30default_config_static_selectorELNS0_4arch9wavefront6targetE0EEEvSY_.has_indirect_call, 0
	.section	.AMDGPU.csdata,"",@progbits
; Kernel info:
; codeLenInByte = 0
; TotalNumSgprs: 0
; NumVgprs: 0
; ScratchSize: 0
; MemoryBound: 0
; FloatMode: 240
; IeeeMode: 1
; LDSByteSize: 0 bytes/workgroup (compile time only)
; SGPRBlocks: 0
; VGPRBlocks: 0
; NumSGPRsForWavesPerEU: 1
; NumVGPRsForWavesPerEU: 1
; NamedBarCnt: 0
; Occupancy: 16
; WaveLimiterHint : 0
; COMPUTE_PGM_RSRC2:SCRATCH_EN: 0
; COMPUTE_PGM_RSRC2:USER_SGPR: 2
; COMPUTE_PGM_RSRC2:TRAP_HANDLER: 0
; COMPUTE_PGM_RSRC2:TGID_X_EN: 1
; COMPUTE_PGM_RSRC2:TGID_Y_EN: 0
; COMPUTE_PGM_RSRC2:TGID_Z_EN: 0
; COMPUTE_PGM_RSRC2:TIDIG_COMP_CNT: 0
	.section	.text._ZN7rocprim17ROCPRIM_400000_NS6detail17trampoline_kernelINS0_13select_configILj256ELj13ELNS0_17block_load_methodE3ELS4_3ELS4_3ELNS0_20block_scan_algorithmE0ELj4294967295EEENS1_25partition_config_selectorILNS1_17partition_subalgoE3EjNS0_10empty_typeEbEEZZNS1_14partition_implILS8_3ELb0ES6_jNS0_17counting_iteratorIjlEEPS9_SE_NS0_5tupleIJPjSE_EEENSF_IJSE_SE_EEES9_SG_JZNS1_25segmented_radix_sort_implINS0_14default_configELb0EPKaPaPKlPlN2at6native12_GLOBAL__N_18offset_tEEE10hipError_tPvRmT1_PNSt15iterator_traitsISY_E10value_typeET2_T3_PNSZ_IS14_E10value_typeET4_jRbjT5_S1A_jjP12ihipStream_tbEUljE_EEESV_SW_SX_S14_S18_S1A_T6_T7_T9_mT8_S1C_bDpT10_ENKUlT_T0_E_clISt17integral_constantIbLb1EES1P_EEDaS1K_S1L_EUlS1K_E_NS1_11comp_targetILNS1_3genE4ELNS1_11target_archE910ELNS1_3gpuE8ELNS1_3repE0EEENS1_30default_config_static_selectorELNS0_4arch9wavefront6targetE0EEEvSY_,"axG",@progbits,_ZN7rocprim17ROCPRIM_400000_NS6detail17trampoline_kernelINS0_13select_configILj256ELj13ELNS0_17block_load_methodE3ELS4_3ELS4_3ELNS0_20block_scan_algorithmE0ELj4294967295EEENS1_25partition_config_selectorILNS1_17partition_subalgoE3EjNS0_10empty_typeEbEEZZNS1_14partition_implILS8_3ELb0ES6_jNS0_17counting_iteratorIjlEEPS9_SE_NS0_5tupleIJPjSE_EEENSF_IJSE_SE_EEES9_SG_JZNS1_25segmented_radix_sort_implINS0_14default_configELb0EPKaPaPKlPlN2at6native12_GLOBAL__N_18offset_tEEE10hipError_tPvRmT1_PNSt15iterator_traitsISY_E10value_typeET2_T3_PNSZ_IS14_E10value_typeET4_jRbjT5_S1A_jjP12ihipStream_tbEUljE_EEESV_SW_SX_S14_S18_S1A_T6_T7_T9_mT8_S1C_bDpT10_ENKUlT_T0_E_clISt17integral_constantIbLb1EES1P_EEDaS1K_S1L_EUlS1K_E_NS1_11comp_targetILNS1_3genE4ELNS1_11target_archE910ELNS1_3gpuE8ELNS1_3repE0EEENS1_30default_config_static_selectorELNS0_4arch9wavefront6targetE0EEEvSY_,comdat
	.globl	_ZN7rocprim17ROCPRIM_400000_NS6detail17trampoline_kernelINS0_13select_configILj256ELj13ELNS0_17block_load_methodE3ELS4_3ELS4_3ELNS0_20block_scan_algorithmE0ELj4294967295EEENS1_25partition_config_selectorILNS1_17partition_subalgoE3EjNS0_10empty_typeEbEEZZNS1_14partition_implILS8_3ELb0ES6_jNS0_17counting_iteratorIjlEEPS9_SE_NS0_5tupleIJPjSE_EEENSF_IJSE_SE_EEES9_SG_JZNS1_25segmented_radix_sort_implINS0_14default_configELb0EPKaPaPKlPlN2at6native12_GLOBAL__N_18offset_tEEE10hipError_tPvRmT1_PNSt15iterator_traitsISY_E10value_typeET2_T3_PNSZ_IS14_E10value_typeET4_jRbjT5_S1A_jjP12ihipStream_tbEUljE_EEESV_SW_SX_S14_S18_S1A_T6_T7_T9_mT8_S1C_bDpT10_ENKUlT_T0_E_clISt17integral_constantIbLb1EES1P_EEDaS1K_S1L_EUlS1K_E_NS1_11comp_targetILNS1_3genE4ELNS1_11target_archE910ELNS1_3gpuE8ELNS1_3repE0EEENS1_30default_config_static_selectorELNS0_4arch9wavefront6targetE0EEEvSY_ ; -- Begin function _ZN7rocprim17ROCPRIM_400000_NS6detail17trampoline_kernelINS0_13select_configILj256ELj13ELNS0_17block_load_methodE3ELS4_3ELS4_3ELNS0_20block_scan_algorithmE0ELj4294967295EEENS1_25partition_config_selectorILNS1_17partition_subalgoE3EjNS0_10empty_typeEbEEZZNS1_14partition_implILS8_3ELb0ES6_jNS0_17counting_iteratorIjlEEPS9_SE_NS0_5tupleIJPjSE_EEENSF_IJSE_SE_EEES9_SG_JZNS1_25segmented_radix_sort_implINS0_14default_configELb0EPKaPaPKlPlN2at6native12_GLOBAL__N_18offset_tEEE10hipError_tPvRmT1_PNSt15iterator_traitsISY_E10value_typeET2_T3_PNSZ_IS14_E10value_typeET4_jRbjT5_S1A_jjP12ihipStream_tbEUljE_EEESV_SW_SX_S14_S18_S1A_T6_T7_T9_mT8_S1C_bDpT10_ENKUlT_T0_E_clISt17integral_constantIbLb1EES1P_EEDaS1K_S1L_EUlS1K_E_NS1_11comp_targetILNS1_3genE4ELNS1_11target_archE910ELNS1_3gpuE8ELNS1_3repE0EEENS1_30default_config_static_selectorELNS0_4arch9wavefront6targetE0EEEvSY_
	.p2align	8
	.type	_ZN7rocprim17ROCPRIM_400000_NS6detail17trampoline_kernelINS0_13select_configILj256ELj13ELNS0_17block_load_methodE3ELS4_3ELS4_3ELNS0_20block_scan_algorithmE0ELj4294967295EEENS1_25partition_config_selectorILNS1_17partition_subalgoE3EjNS0_10empty_typeEbEEZZNS1_14partition_implILS8_3ELb0ES6_jNS0_17counting_iteratorIjlEEPS9_SE_NS0_5tupleIJPjSE_EEENSF_IJSE_SE_EEES9_SG_JZNS1_25segmented_radix_sort_implINS0_14default_configELb0EPKaPaPKlPlN2at6native12_GLOBAL__N_18offset_tEEE10hipError_tPvRmT1_PNSt15iterator_traitsISY_E10value_typeET2_T3_PNSZ_IS14_E10value_typeET4_jRbjT5_S1A_jjP12ihipStream_tbEUljE_EEESV_SW_SX_S14_S18_S1A_T6_T7_T9_mT8_S1C_bDpT10_ENKUlT_T0_E_clISt17integral_constantIbLb1EES1P_EEDaS1K_S1L_EUlS1K_E_NS1_11comp_targetILNS1_3genE4ELNS1_11target_archE910ELNS1_3gpuE8ELNS1_3repE0EEENS1_30default_config_static_selectorELNS0_4arch9wavefront6targetE0EEEvSY_,@function
_ZN7rocprim17ROCPRIM_400000_NS6detail17trampoline_kernelINS0_13select_configILj256ELj13ELNS0_17block_load_methodE3ELS4_3ELS4_3ELNS0_20block_scan_algorithmE0ELj4294967295EEENS1_25partition_config_selectorILNS1_17partition_subalgoE3EjNS0_10empty_typeEbEEZZNS1_14partition_implILS8_3ELb0ES6_jNS0_17counting_iteratorIjlEEPS9_SE_NS0_5tupleIJPjSE_EEENSF_IJSE_SE_EEES9_SG_JZNS1_25segmented_radix_sort_implINS0_14default_configELb0EPKaPaPKlPlN2at6native12_GLOBAL__N_18offset_tEEE10hipError_tPvRmT1_PNSt15iterator_traitsISY_E10value_typeET2_T3_PNSZ_IS14_E10value_typeET4_jRbjT5_S1A_jjP12ihipStream_tbEUljE_EEESV_SW_SX_S14_S18_S1A_T6_T7_T9_mT8_S1C_bDpT10_ENKUlT_T0_E_clISt17integral_constantIbLb1EES1P_EEDaS1K_S1L_EUlS1K_E_NS1_11comp_targetILNS1_3genE4ELNS1_11target_archE910ELNS1_3gpuE8ELNS1_3repE0EEENS1_30default_config_static_selectorELNS0_4arch9wavefront6targetE0EEEvSY_: ; @_ZN7rocprim17ROCPRIM_400000_NS6detail17trampoline_kernelINS0_13select_configILj256ELj13ELNS0_17block_load_methodE3ELS4_3ELS4_3ELNS0_20block_scan_algorithmE0ELj4294967295EEENS1_25partition_config_selectorILNS1_17partition_subalgoE3EjNS0_10empty_typeEbEEZZNS1_14partition_implILS8_3ELb0ES6_jNS0_17counting_iteratorIjlEEPS9_SE_NS0_5tupleIJPjSE_EEENSF_IJSE_SE_EEES9_SG_JZNS1_25segmented_radix_sort_implINS0_14default_configELb0EPKaPaPKlPlN2at6native12_GLOBAL__N_18offset_tEEE10hipError_tPvRmT1_PNSt15iterator_traitsISY_E10value_typeET2_T3_PNSZ_IS14_E10value_typeET4_jRbjT5_S1A_jjP12ihipStream_tbEUljE_EEESV_SW_SX_S14_S18_S1A_T6_T7_T9_mT8_S1C_bDpT10_ENKUlT_T0_E_clISt17integral_constantIbLb1EES1P_EEDaS1K_S1L_EUlS1K_E_NS1_11comp_targetILNS1_3genE4ELNS1_11target_archE910ELNS1_3gpuE8ELNS1_3repE0EEENS1_30default_config_static_selectorELNS0_4arch9wavefront6targetE0EEEvSY_
; %bb.0:
	.section	.rodata,"a",@progbits
	.p2align	6, 0x0
	.amdhsa_kernel _ZN7rocprim17ROCPRIM_400000_NS6detail17trampoline_kernelINS0_13select_configILj256ELj13ELNS0_17block_load_methodE3ELS4_3ELS4_3ELNS0_20block_scan_algorithmE0ELj4294967295EEENS1_25partition_config_selectorILNS1_17partition_subalgoE3EjNS0_10empty_typeEbEEZZNS1_14partition_implILS8_3ELb0ES6_jNS0_17counting_iteratorIjlEEPS9_SE_NS0_5tupleIJPjSE_EEENSF_IJSE_SE_EEES9_SG_JZNS1_25segmented_radix_sort_implINS0_14default_configELb0EPKaPaPKlPlN2at6native12_GLOBAL__N_18offset_tEEE10hipError_tPvRmT1_PNSt15iterator_traitsISY_E10value_typeET2_T3_PNSZ_IS14_E10value_typeET4_jRbjT5_S1A_jjP12ihipStream_tbEUljE_EEESV_SW_SX_S14_S18_S1A_T6_T7_T9_mT8_S1C_bDpT10_ENKUlT_T0_E_clISt17integral_constantIbLb1EES1P_EEDaS1K_S1L_EUlS1K_E_NS1_11comp_targetILNS1_3genE4ELNS1_11target_archE910ELNS1_3gpuE8ELNS1_3repE0EEENS1_30default_config_static_selectorELNS0_4arch9wavefront6targetE0EEEvSY_
		.amdhsa_group_segment_fixed_size 0
		.amdhsa_private_segment_fixed_size 0
		.amdhsa_kernarg_size 152
		.amdhsa_user_sgpr_count 2
		.amdhsa_user_sgpr_dispatch_ptr 0
		.amdhsa_user_sgpr_queue_ptr 0
		.amdhsa_user_sgpr_kernarg_segment_ptr 1
		.amdhsa_user_sgpr_dispatch_id 0
		.amdhsa_user_sgpr_kernarg_preload_length 0
		.amdhsa_user_sgpr_kernarg_preload_offset 0
		.amdhsa_user_sgpr_private_segment_size 0
		.amdhsa_wavefront_size32 1
		.amdhsa_uses_dynamic_stack 0
		.amdhsa_enable_private_segment 0
		.amdhsa_system_sgpr_workgroup_id_x 1
		.amdhsa_system_sgpr_workgroup_id_y 0
		.amdhsa_system_sgpr_workgroup_id_z 0
		.amdhsa_system_sgpr_workgroup_info 0
		.amdhsa_system_vgpr_workitem_id 0
		.amdhsa_next_free_vgpr 1
		.amdhsa_next_free_sgpr 1
		.amdhsa_named_barrier_count 0
		.amdhsa_reserve_vcc 0
		.amdhsa_float_round_mode_32 0
		.amdhsa_float_round_mode_16_64 0
		.amdhsa_float_denorm_mode_32 3
		.amdhsa_float_denorm_mode_16_64 3
		.amdhsa_fp16_overflow 0
		.amdhsa_memory_ordered 1
		.amdhsa_forward_progress 1
		.amdhsa_inst_pref_size 0
		.amdhsa_round_robin_scheduling 0
		.amdhsa_exception_fp_ieee_invalid_op 0
		.amdhsa_exception_fp_denorm_src 0
		.amdhsa_exception_fp_ieee_div_zero 0
		.amdhsa_exception_fp_ieee_overflow 0
		.amdhsa_exception_fp_ieee_underflow 0
		.amdhsa_exception_fp_ieee_inexact 0
		.amdhsa_exception_int_div_zero 0
	.end_amdhsa_kernel
	.section	.text._ZN7rocprim17ROCPRIM_400000_NS6detail17trampoline_kernelINS0_13select_configILj256ELj13ELNS0_17block_load_methodE3ELS4_3ELS4_3ELNS0_20block_scan_algorithmE0ELj4294967295EEENS1_25partition_config_selectorILNS1_17partition_subalgoE3EjNS0_10empty_typeEbEEZZNS1_14partition_implILS8_3ELb0ES6_jNS0_17counting_iteratorIjlEEPS9_SE_NS0_5tupleIJPjSE_EEENSF_IJSE_SE_EEES9_SG_JZNS1_25segmented_radix_sort_implINS0_14default_configELb0EPKaPaPKlPlN2at6native12_GLOBAL__N_18offset_tEEE10hipError_tPvRmT1_PNSt15iterator_traitsISY_E10value_typeET2_T3_PNSZ_IS14_E10value_typeET4_jRbjT5_S1A_jjP12ihipStream_tbEUljE_EEESV_SW_SX_S14_S18_S1A_T6_T7_T9_mT8_S1C_bDpT10_ENKUlT_T0_E_clISt17integral_constantIbLb1EES1P_EEDaS1K_S1L_EUlS1K_E_NS1_11comp_targetILNS1_3genE4ELNS1_11target_archE910ELNS1_3gpuE8ELNS1_3repE0EEENS1_30default_config_static_selectorELNS0_4arch9wavefront6targetE0EEEvSY_,"axG",@progbits,_ZN7rocprim17ROCPRIM_400000_NS6detail17trampoline_kernelINS0_13select_configILj256ELj13ELNS0_17block_load_methodE3ELS4_3ELS4_3ELNS0_20block_scan_algorithmE0ELj4294967295EEENS1_25partition_config_selectorILNS1_17partition_subalgoE3EjNS0_10empty_typeEbEEZZNS1_14partition_implILS8_3ELb0ES6_jNS0_17counting_iteratorIjlEEPS9_SE_NS0_5tupleIJPjSE_EEENSF_IJSE_SE_EEES9_SG_JZNS1_25segmented_radix_sort_implINS0_14default_configELb0EPKaPaPKlPlN2at6native12_GLOBAL__N_18offset_tEEE10hipError_tPvRmT1_PNSt15iterator_traitsISY_E10value_typeET2_T3_PNSZ_IS14_E10value_typeET4_jRbjT5_S1A_jjP12ihipStream_tbEUljE_EEESV_SW_SX_S14_S18_S1A_T6_T7_T9_mT8_S1C_bDpT10_ENKUlT_T0_E_clISt17integral_constantIbLb1EES1P_EEDaS1K_S1L_EUlS1K_E_NS1_11comp_targetILNS1_3genE4ELNS1_11target_archE910ELNS1_3gpuE8ELNS1_3repE0EEENS1_30default_config_static_selectorELNS0_4arch9wavefront6targetE0EEEvSY_,comdat
.Lfunc_end368:
	.size	_ZN7rocprim17ROCPRIM_400000_NS6detail17trampoline_kernelINS0_13select_configILj256ELj13ELNS0_17block_load_methodE3ELS4_3ELS4_3ELNS0_20block_scan_algorithmE0ELj4294967295EEENS1_25partition_config_selectorILNS1_17partition_subalgoE3EjNS0_10empty_typeEbEEZZNS1_14partition_implILS8_3ELb0ES6_jNS0_17counting_iteratorIjlEEPS9_SE_NS0_5tupleIJPjSE_EEENSF_IJSE_SE_EEES9_SG_JZNS1_25segmented_radix_sort_implINS0_14default_configELb0EPKaPaPKlPlN2at6native12_GLOBAL__N_18offset_tEEE10hipError_tPvRmT1_PNSt15iterator_traitsISY_E10value_typeET2_T3_PNSZ_IS14_E10value_typeET4_jRbjT5_S1A_jjP12ihipStream_tbEUljE_EEESV_SW_SX_S14_S18_S1A_T6_T7_T9_mT8_S1C_bDpT10_ENKUlT_T0_E_clISt17integral_constantIbLb1EES1P_EEDaS1K_S1L_EUlS1K_E_NS1_11comp_targetILNS1_3genE4ELNS1_11target_archE910ELNS1_3gpuE8ELNS1_3repE0EEENS1_30default_config_static_selectorELNS0_4arch9wavefront6targetE0EEEvSY_, .Lfunc_end368-_ZN7rocprim17ROCPRIM_400000_NS6detail17trampoline_kernelINS0_13select_configILj256ELj13ELNS0_17block_load_methodE3ELS4_3ELS4_3ELNS0_20block_scan_algorithmE0ELj4294967295EEENS1_25partition_config_selectorILNS1_17partition_subalgoE3EjNS0_10empty_typeEbEEZZNS1_14partition_implILS8_3ELb0ES6_jNS0_17counting_iteratorIjlEEPS9_SE_NS0_5tupleIJPjSE_EEENSF_IJSE_SE_EEES9_SG_JZNS1_25segmented_radix_sort_implINS0_14default_configELb0EPKaPaPKlPlN2at6native12_GLOBAL__N_18offset_tEEE10hipError_tPvRmT1_PNSt15iterator_traitsISY_E10value_typeET2_T3_PNSZ_IS14_E10value_typeET4_jRbjT5_S1A_jjP12ihipStream_tbEUljE_EEESV_SW_SX_S14_S18_S1A_T6_T7_T9_mT8_S1C_bDpT10_ENKUlT_T0_E_clISt17integral_constantIbLb1EES1P_EEDaS1K_S1L_EUlS1K_E_NS1_11comp_targetILNS1_3genE4ELNS1_11target_archE910ELNS1_3gpuE8ELNS1_3repE0EEENS1_30default_config_static_selectorELNS0_4arch9wavefront6targetE0EEEvSY_
                                        ; -- End function
	.set _ZN7rocprim17ROCPRIM_400000_NS6detail17trampoline_kernelINS0_13select_configILj256ELj13ELNS0_17block_load_methodE3ELS4_3ELS4_3ELNS0_20block_scan_algorithmE0ELj4294967295EEENS1_25partition_config_selectorILNS1_17partition_subalgoE3EjNS0_10empty_typeEbEEZZNS1_14partition_implILS8_3ELb0ES6_jNS0_17counting_iteratorIjlEEPS9_SE_NS0_5tupleIJPjSE_EEENSF_IJSE_SE_EEES9_SG_JZNS1_25segmented_radix_sort_implINS0_14default_configELb0EPKaPaPKlPlN2at6native12_GLOBAL__N_18offset_tEEE10hipError_tPvRmT1_PNSt15iterator_traitsISY_E10value_typeET2_T3_PNSZ_IS14_E10value_typeET4_jRbjT5_S1A_jjP12ihipStream_tbEUljE_EEESV_SW_SX_S14_S18_S1A_T6_T7_T9_mT8_S1C_bDpT10_ENKUlT_T0_E_clISt17integral_constantIbLb1EES1P_EEDaS1K_S1L_EUlS1K_E_NS1_11comp_targetILNS1_3genE4ELNS1_11target_archE910ELNS1_3gpuE8ELNS1_3repE0EEENS1_30default_config_static_selectorELNS0_4arch9wavefront6targetE0EEEvSY_.num_vgpr, 0
	.set _ZN7rocprim17ROCPRIM_400000_NS6detail17trampoline_kernelINS0_13select_configILj256ELj13ELNS0_17block_load_methodE3ELS4_3ELS4_3ELNS0_20block_scan_algorithmE0ELj4294967295EEENS1_25partition_config_selectorILNS1_17partition_subalgoE3EjNS0_10empty_typeEbEEZZNS1_14partition_implILS8_3ELb0ES6_jNS0_17counting_iteratorIjlEEPS9_SE_NS0_5tupleIJPjSE_EEENSF_IJSE_SE_EEES9_SG_JZNS1_25segmented_radix_sort_implINS0_14default_configELb0EPKaPaPKlPlN2at6native12_GLOBAL__N_18offset_tEEE10hipError_tPvRmT1_PNSt15iterator_traitsISY_E10value_typeET2_T3_PNSZ_IS14_E10value_typeET4_jRbjT5_S1A_jjP12ihipStream_tbEUljE_EEESV_SW_SX_S14_S18_S1A_T6_T7_T9_mT8_S1C_bDpT10_ENKUlT_T0_E_clISt17integral_constantIbLb1EES1P_EEDaS1K_S1L_EUlS1K_E_NS1_11comp_targetILNS1_3genE4ELNS1_11target_archE910ELNS1_3gpuE8ELNS1_3repE0EEENS1_30default_config_static_selectorELNS0_4arch9wavefront6targetE0EEEvSY_.num_agpr, 0
	.set _ZN7rocprim17ROCPRIM_400000_NS6detail17trampoline_kernelINS0_13select_configILj256ELj13ELNS0_17block_load_methodE3ELS4_3ELS4_3ELNS0_20block_scan_algorithmE0ELj4294967295EEENS1_25partition_config_selectorILNS1_17partition_subalgoE3EjNS0_10empty_typeEbEEZZNS1_14partition_implILS8_3ELb0ES6_jNS0_17counting_iteratorIjlEEPS9_SE_NS0_5tupleIJPjSE_EEENSF_IJSE_SE_EEES9_SG_JZNS1_25segmented_radix_sort_implINS0_14default_configELb0EPKaPaPKlPlN2at6native12_GLOBAL__N_18offset_tEEE10hipError_tPvRmT1_PNSt15iterator_traitsISY_E10value_typeET2_T3_PNSZ_IS14_E10value_typeET4_jRbjT5_S1A_jjP12ihipStream_tbEUljE_EEESV_SW_SX_S14_S18_S1A_T6_T7_T9_mT8_S1C_bDpT10_ENKUlT_T0_E_clISt17integral_constantIbLb1EES1P_EEDaS1K_S1L_EUlS1K_E_NS1_11comp_targetILNS1_3genE4ELNS1_11target_archE910ELNS1_3gpuE8ELNS1_3repE0EEENS1_30default_config_static_selectorELNS0_4arch9wavefront6targetE0EEEvSY_.numbered_sgpr, 0
	.set _ZN7rocprim17ROCPRIM_400000_NS6detail17trampoline_kernelINS0_13select_configILj256ELj13ELNS0_17block_load_methodE3ELS4_3ELS4_3ELNS0_20block_scan_algorithmE0ELj4294967295EEENS1_25partition_config_selectorILNS1_17partition_subalgoE3EjNS0_10empty_typeEbEEZZNS1_14partition_implILS8_3ELb0ES6_jNS0_17counting_iteratorIjlEEPS9_SE_NS0_5tupleIJPjSE_EEENSF_IJSE_SE_EEES9_SG_JZNS1_25segmented_radix_sort_implINS0_14default_configELb0EPKaPaPKlPlN2at6native12_GLOBAL__N_18offset_tEEE10hipError_tPvRmT1_PNSt15iterator_traitsISY_E10value_typeET2_T3_PNSZ_IS14_E10value_typeET4_jRbjT5_S1A_jjP12ihipStream_tbEUljE_EEESV_SW_SX_S14_S18_S1A_T6_T7_T9_mT8_S1C_bDpT10_ENKUlT_T0_E_clISt17integral_constantIbLb1EES1P_EEDaS1K_S1L_EUlS1K_E_NS1_11comp_targetILNS1_3genE4ELNS1_11target_archE910ELNS1_3gpuE8ELNS1_3repE0EEENS1_30default_config_static_selectorELNS0_4arch9wavefront6targetE0EEEvSY_.num_named_barrier, 0
	.set _ZN7rocprim17ROCPRIM_400000_NS6detail17trampoline_kernelINS0_13select_configILj256ELj13ELNS0_17block_load_methodE3ELS4_3ELS4_3ELNS0_20block_scan_algorithmE0ELj4294967295EEENS1_25partition_config_selectorILNS1_17partition_subalgoE3EjNS0_10empty_typeEbEEZZNS1_14partition_implILS8_3ELb0ES6_jNS0_17counting_iteratorIjlEEPS9_SE_NS0_5tupleIJPjSE_EEENSF_IJSE_SE_EEES9_SG_JZNS1_25segmented_radix_sort_implINS0_14default_configELb0EPKaPaPKlPlN2at6native12_GLOBAL__N_18offset_tEEE10hipError_tPvRmT1_PNSt15iterator_traitsISY_E10value_typeET2_T3_PNSZ_IS14_E10value_typeET4_jRbjT5_S1A_jjP12ihipStream_tbEUljE_EEESV_SW_SX_S14_S18_S1A_T6_T7_T9_mT8_S1C_bDpT10_ENKUlT_T0_E_clISt17integral_constantIbLb1EES1P_EEDaS1K_S1L_EUlS1K_E_NS1_11comp_targetILNS1_3genE4ELNS1_11target_archE910ELNS1_3gpuE8ELNS1_3repE0EEENS1_30default_config_static_selectorELNS0_4arch9wavefront6targetE0EEEvSY_.private_seg_size, 0
	.set _ZN7rocprim17ROCPRIM_400000_NS6detail17trampoline_kernelINS0_13select_configILj256ELj13ELNS0_17block_load_methodE3ELS4_3ELS4_3ELNS0_20block_scan_algorithmE0ELj4294967295EEENS1_25partition_config_selectorILNS1_17partition_subalgoE3EjNS0_10empty_typeEbEEZZNS1_14partition_implILS8_3ELb0ES6_jNS0_17counting_iteratorIjlEEPS9_SE_NS0_5tupleIJPjSE_EEENSF_IJSE_SE_EEES9_SG_JZNS1_25segmented_radix_sort_implINS0_14default_configELb0EPKaPaPKlPlN2at6native12_GLOBAL__N_18offset_tEEE10hipError_tPvRmT1_PNSt15iterator_traitsISY_E10value_typeET2_T3_PNSZ_IS14_E10value_typeET4_jRbjT5_S1A_jjP12ihipStream_tbEUljE_EEESV_SW_SX_S14_S18_S1A_T6_T7_T9_mT8_S1C_bDpT10_ENKUlT_T0_E_clISt17integral_constantIbLb1EES1P_EEDaS1K_S1L_EUlS1K_E_NS1_11comp_targetILNS1_3genE4ELNS1_11target_archE910ELNS1_3gpuE8ELNS1_3repE0EEENS1_30default_config_static_selectorELNS0_4arch9wavefront6targetE0EEEvSY_.uses_vcc, 0
	.set _ZN7rocprim17ROCPRIM_400000_NS6detail17trampoline_kernelINS0_13select_configILj256ELj13ELNS0_17block_load_methodE3ELS4_3ELS4_3ELNS0_20block_scan_algorithmE0ELj4294967295EEENS1_25partition_config_selectorILNS1_17partition_subalgoE3EjNS0_10empty_typeEbEEZZNS1_14partition_implILS8_3ELb0ES6_jNS0_17counting_iteratorIjlEEPS9_SE_NS0_5tupleIJPjSE_EEENSF_IJSE_SE_EEES9_SG_JZNS1_25segmented_radix_sort_implINS0_14default_configELb0EPKaPaPKlPlN2at6native12_GLOBAL__N_18offset_tEEE10hipError_tPvRmT1_PNSt15iterator_traitsISY_E10value_typeET2_T3_PNSZ_IS14_E10value_typeET4_jRbjT5_S1A_jjP12ihipStream_tbEUljE_EEESV_SW_SX_S14_S18_S1A_T6_T7_T9_mT8_S1C_bDpT10_ENKUlT_T0_E_clISt17integral_constantIbLb1EES1P_EEDaS1K_S1L_EUlS1K_E_NS1_11comp_targetILNS1_3genE4ELNS1_11target_archE910ELNS1_3gpuE8ELNS1_3repE0EEENS1_30default_config_static_selectorELNS0_4arch9wavefront6targetE0EEEvSY_.uses_flat_scratch, 0
	.set _ZN7rocprim17ROCPRIM_400000_NS6detail17trampoline_kernelINS0_13select_configILj256ELj13ELNS0_17block_load_methodE3ELS4_3ELS4_3ELNS0_20block_scan_algorithmE0ELj4294967295EEENS1_25partition_config_selectorILNS1_17partition_subalgoE3EjNS0_10empty_typeEbEEZZNS1_14partition_implILS8_3ELb0ES6_jNS0_17counting_iteratorIjlEEPS9_SE_NS0_5tupleIJPjSE_EEENSF_IJSE_SE_EEES9_SG_JZNS1_25segmented_radix_sort_implINS0_14default_configELb0EPKaPaPKlPlN2at6native12_GLOBAL__N_18offset_tEEE10hipError_tPvRmT1_PNSt15iterator_traitsISY_E10value_typeET2_T3_PNSZ_IS14_E10value_typeET4_jRbjT5_S1A_jjP12ihipStream_tbEUljE_EEESV_SW_SX_S14_S18_S1A_T6_T7_T9_mT8_S1C_bDpT10_ENKUlT_T0_E_clISt17integral_constantIbLb1EES1P_EEDaS1K_S1L_EUlS1K_E_NS1_11comp_targetILNS1_3genE4ELNS1_11target_archE910ELNS1_3gpuE8ELNS1_3repE0EEENS1_30default_config_static_selectorELNS0_4arch9wavefront6targetE0EEEvSY_.has_dyn_sized_stack, 0
	.set _ZN7rocprim17ROCPRIM_400000_NS6detail17trampoline_kernelINS0_13select_configILj256ELj13ELNS0_17block_load_methodE3ELS4_3ELS4_3ELNS0_20block_scan_algorithmE0ELj4294967295EEENS1_25partition_config_selectorILNS1_17partition_subalgoE3EjNS0_10empty_typeEbEEZZNS1_14partition_implILS8_3ELb0ES6_jNS0_17counting_iteratorIjlEEPS9_SE_NS0_5tupleIJPjSE_EEENSF_IJSE_SE_EEES9_SG_JZNS1_25segmented_radix_sort_implINS0_14default_configELb0EPKaPaPKlPlN2at6native12_GLOBAL__N_18offset_tEEE10hipError_tPvRmT1_PNSt15iterator_traitsISY_E10value_typeET2_T3_PNSZ_IS14_E10value_typeET4_jRbjT5_S1A_jjP12ihipStream_tbEUljE_EEESV_SW_SX_S14_S18_S1A_T6_T7_T9_mT8_S1C_bDpT10_ENKUlT_T0_E_clISt17integral_constantIbLb1EES1P_EEDaS1K_S1L_EUlS1K_E_NS1_11comp_targetILNS1_3genE4ELNS1_11target_archE910ELNS1_3gpuE8ELNS1_3repE0EEENS1_30default_config_static_selectorELNS0_4arch9wavefront6targetE0EEEvSY_.has_recursion, 0
	.set _ZN7rocprim17ROCPRIM_400000_NS6detail17trampoline_kernelINS0_13select_configILj256ELj13ELNS0_17block_load_methodE3ELS4_3ELS4_3ELNS0_20block_scan_algorithmE0ELj4294967295EEENS1_25partition_config_selectorILNS1_17partition_subalgoE3EjNS0_10empty_typeEbEEZZNS1_14partition_implILS8_3ELb0ES6_jNS0_17counting_iteratorIjlEEPS9_SE_NS0_5tupleIJPjSE_EEENSF_IJSE_SE_EEES9_SG_JZNS1_25segmented_radix_sort_implINS0_14default_configELb0EPKaPaPKlPlN2at6native12_GLOBAL__N_18offset_tEEE10hipError_tPvRmT1_PNSt15iterator_traitsISY_E10value_typeET2_T3_PNSZ_IS14_E10value_typeET4_jRbjT5_S1A_jjP12ihipStream_tbEUljE_EEESV_SW_SX_S14_S18_S1A_T6_T7_T9_mT8_S1C_bDpT10_ENKUlT_T0_E_clISt17integral_constantIbLb1EES1P_EEDaS1K_S1L_EUlS1K_E_NS1_11comp_targetILNS1_3genE4ELNS1_11target_archE910ELNS1_3gpuE8ELNS1_3repE0EEENS1_30default_config_static_selectorELNS0_4arch9wavefront6targetE0EEEvSY_.has_indirect_call, 0
	.section	.AMDGPU.csdata,"",@progbits
; Kernel info:
; codeLenInByte = 0
; TotalNumSgprs: 0
; NumVgprs: 0
; ScratchSize: 0
; MemoryBound: 0
; FloatMode: 240
; IeeeMode: 1
; LDSByteSize: 0 bytes/workgroup (compile time only)
; SGPRBlocks: 0
; VGPRBlocks: 0
; NumSGPRsForWavesPerEU: 1
; NumVGPRsForWavesPerEU: 1
; NamedBarCnt: 0
; Occupancy: 16
; WaveLimiterHint : 0
; COMPUTE_PGM_RSRC2:SCRATCH_EN: 0
; COMPUTE_PGM_RSRC2:USER_SGPR: 2
; COMPUTE_PGM_RSRC2:TRAP_HANDLER: 0
; COMPUTE_PGM_RSRC2:TGID_X_EN: 1
; COMPUTE_PGM_RSRC2:TGID_Y_EN: 0
; COMPUTE_PGM_RSRC2:TGID_Z_EN: 0
; COMPUTE_PGM_RSRC2:TIDIG_COMP_CNT: 0
	.section	.text._ZN7rocprim17ROCPRIM_400000_NS6detail17trampoline_kernelINS0_13select_configILj256ELj13ELNS0_17block_load_methodE3ELS4_3ELS4_3ELNS0_20block_scan_algorithmE0ELj4294967295EEENS1_25partition_config_selectorILNS1_17partition_subalgoE3EjNS0_10empty_typeEbEEZZNS1_14partition_implILS8_3ELb0ES6_jNS0_17counting_iteratorIjlEEPS9_SE_NS0_5tupleIJPjSE_EEENSF_IJSE_SE_EEES9_SG_JZNS1_25segmented_radix_sort_implINS0_14default_configELb0EPKaPaPKlPlN2at6native12_GLOBAL__N_18offset_tEEE10hipError_tPvRmT1_PNSt15iterator_traitsISY_E10value_typeET2_T3_PNSZ_IS14_E10value_typeET4_jRbjT5_S1A_jjP12ihipStream_tbEUljE_EEESV_SW_SX_S14_S18_S1A_T6_T7_T9_mT8_S1C_bDpT10_ENKUlT_T0_E_clISt17integral_constantIbLb1EES1P_EEDaS1K_S1L_EUlS1K_E_NS1_11comp_targetILNS1_3genE3ELNS1_11target_archE908ELNS1_3gpuE7ELNS1_3repE0EEENS1_30default_config_static_selectorELNS0_4arch9wavefront6targetE0EEEvSY_,"axG",@progbits,_ZN7rocprim17ROCPRIM_400000_NS6detail17trampoline_kernelINS0_13select_configILj256ELj13ELNS0_17block_load_methodE3ELS4_3ELS4_3ELNS0_20block_scan_algorithmE0ELj4294967295EEENS1_25partition_config_selectorILNS1_17partition_subalgoE3EjNS0_10empty_typeEbEEZZNS1_14partition_implILS8_3ELb0ES6_jNS0_17counting_iteratorIjlEEPS9_SE_NS0_5tupleIJPjSE_EEENSF_IJSE_SE_EEES9_SG_JZNS1_25segmented_radix_sort_implINS0_14default_configELb0EPKaPaPKlPlN2at6native12_GLOBAL__N_18offset_tEEE10hipError_tPvRmT1_PNSt15iterator_traitsISY_E10value_typeET2_T3_PNSZ_IS14_E10value_typeET4_jRbjT5_S1A_jjP12ihipStream_tbEUljE_EEESV_SW_SX_S14_S18_S1A_T6_T7_T9_mT8_S1C_bDpT10_ENKUlT_T0_E_clISt17integral_constantIbLb1EES1P_EEDaS1K_S1L_EUlS1K_E_NS1_11comp_targetILNS1_3genE3ELNS1_11target_archE908ELNS1_3gpuE7ELNS1_3repE0EEENS1_30default_config_static_selectorELNS0_4arch9wavefront6targetE0EEEvSY_,comdat
	.globl	_ZN7rocprim17ROCPRIM_400000_NS6detail17trampoline_kernelINS0_13select_configILj256ELj13ELNS0_17block_load_methodE3ELS4_3ELS4_3ELNS0_20block_scan_algorithmE0ELj4294967295EEENS1_25partition_config_selectorILNS1_17partition_subalgoE3EjNS0_10empty_typeEbEEZZNS1_14partition_implILS8_3ELb0ES6_jNS0_17counting_iteratorIjlEEPS9_SE_NS0_5tupleIJPjSE_EEENSF_IJSE_SE_EEES9_SG_JZNS1_25segmented_radix_sort_implINS0_14default_configELb0EPKaPaPKlPlN2at6native12_GLOBAL__N_18offset_tEEE10hipError_tPvRmT1_PNSt15iterator_traitsISY_E10value_typeET2_T3_PNSZ_IS14_E10value_typeET4_jRbjT5_S1A_jjP12ihipStream_tbEUljE_EEESV_SW_SX_S14_S18_S1A_T6_T7_T9_mT8_S1C_bDpT10_ENKUlT_T0_E_clISt17integral_constantIbLb1EES1P_EEDaS1K_S1L_EUlS1K_E_NS1_11comp_targetILNS1_3genE3ELNS1_11target_archE908ELNS1_3gpuE7ELNS1_3repE0EEENS1_30default_config_static_selectorELNS0_4arch9wavefront6targetE0EEEvSY_ ; -- Begin function _ZN7rocprim17ROCPRIM_400000_NS6detail17trampoline_kernelINS0_13select_configILj256ELj13ELNS0_17block_load_methodE3ELS4_3ELS4_3ELNS0_20block_scan_algorithmE0ELj4294967295EEENS1_25partition_config_selectorILNS1_17partition_subalgoE3EjNS0_10empty_typeEbEEZZNS1_14partition_implILS8_3ELb0ES6_jNS0_17counting_iteratorIjlEEPS9_SE_NS0_5tupleIJPjSE_EEENSF_IJSE_SE_EEES9_SG_JZNS1_25segmented_radix_sort_implINS0_14default_configELb0EPKaPaPKlPlN2at6native12_GLOBAL__N_18offset_tEEE10hipError_tPvRmT1_PNSt15iterator_traitsISY_E10value_typeET2_T3_PNSZ_IS14_E10value_typeET4_jRbjT5_S1A_jjP12ihipStream_tbEUljE_EEESV_SW_SX_S14_S18_S1A_T6_T7_T9_mT8_S1C_bDpT10_ENKUlT_T0_E_clISt17integral_constantIbLb1EES1P_EEDaS1K_S1L_EUlS1K_E_NS1_11comp_targetILNS1_3genE3ELNS1_11target_archE908ELNS1_3gpuE7ELNS1_3repE0EEENS1_30default_config_static_selectorELNS0_4arch9wavefront6targetE0EEEvSY_
	.p2align	8
	.type	_ZN7rocprim17ROCPRIM_400000_NS6detail17trampoline_kernelINS0_13select_configILj256ELj13ELNS0_17block_load_methodE3ELS4_3ELS4_3ELNS0_20block_scan_algorithmE0ELj4294967295EEENS1_25partition_config_selectorILNS1_17partition_subalgoE3EjNS0_10empty_typeEbEEZZNS1_14partition_implILS8_3ELb0ES6_jNS0_17counting_iteratorIjlEEPS9_SE_NS0_5tupleIJPjSE_EEENSF_IJSE_SE_EEES9_SG_JZNS1_25segmented_radix_sort_implINS0_14default_configELb0EPKaPaPKlPlN2at6native12_GLOBAL__N_18offset_tEEE10hipError_tPvRmT1_PNSt15iterator_traitsISY_E10value_typeET2_T3_PNSZ_IS14_E10value_typeET4_jRbjT5_S1A_jjP12ihipStream_tbEUljE_EEESV_SW_SX_S14_S18_S1A_T6_T7_T9_mT8_S1C_bDpT10_ENKUlT_T0_E_clISt17integral_constantIbLb1EES1P_EEDaS1K_S1L_EUlS1K_E_NS1_11comp_targetILNS1_3genE3ELNS1_11target_archE908ELNS1_3gpuE7ELNS1_3repE0EEENS1_30default_config_static_selectorELNS0_4arch9wavefront6targetE0EEEvSY_,@function
_ZN7rocprim17ROCPRIM_400000_NS6detail17trampoline_kernelINS0_13select_configILj256ELj13ELNS0_17block_load_methodE3ELS4_3ELS4_3ELNS0_20block_scan_algorithmE0ELj4294967295EEENS1_25partition_config_selectorILNS1_17partition_subalgoE3EjNS0_10empty_typeEbEEZZNS1_14partition_implILS8_3ELb0ES6_jNS0_17counting_iteratorIjlEEPS9_SE_NS0_5tupleIJPjSE_EEENSF_IJSE_SE_EEES9_SG_JZNS1_25segmented_radix_sort_implINS0_14default_configELb0EPKaPaPKlPlN2at6native12_GLOBAL__N_18offset_tEEE10hipError_tPvRmT1_PNSt15iterator_traitsISY_E10value_typeET2_T3_PNSZ_IS14_E10value_typeET4_jRbjT5_S1A_jjP12ihipStream_tbEUljE_EEESV_SW_SX_S14_S18_S1A_T6_T7_T9_mT8_S1C_bDpT10_ENKUlT_T0_E_clISt17integral_constantIbLb1EES1P_EEDaS1K_S1L_EUlS1K_E_NS1_11comp_targetILNS1_3genE3ELNS1_11target_archE908ELNS1_3gpuE7ELNS1_3repE0EEENS1_30default_config_static_selectorELNS0_4arch9wavefront6targetE0EEEvSY_: ; @_ZN7rocprim17ROCPRIM_400000_NS6detail17trampoline_kernelINS0_13select_configILj256ELj13ELNS0_17block_load_methodE3ELS4_3ELS4_3ELNS0_20block_scan_algorithmE0ELj4294967295EEENS1_25partition_config_selectorILNS1_17partition_subalgoE3EjNS0_10empty_typeEbEEZZNS1_14partition_implILS8_3ELb0ES6_jNS0_17counting_iteratorIjlEEPS9_SE_NS0_5tupleIJPjSE_EEENSF_IJSE_SE_EEES9_SG_JZNS1_25segmented_radix_sort_implINS0_14default_configELb0EPKaPaPKlPlN2at6native12_GLOBAL__N_18offset_tEEE10hipError_tPvRmT1_PNSt15iterator_traitsISY_E10value_typeET2_T3_PNSZ_IS14_E10value_typeET4_jRbjT5_S1A_jjP12ihipStream_tbEUljE_EEESV_SW_SX_S14_S18_S1A_T6_T7_T9_mT8_S1C_bDpT10_ENKUlT_T0_E_clISt17integral_constantIbLb1EES1P_EEDaS1K_S1L_EUlS1K_E_NS1_11comp_targetILNS1_3genE3ELNS1_11target_archE908ELNS1_3gpuE7ELNS1_3repE0EEENS1_30default_config_static_selectorELNS0_4arch9wavefront6targetE0EEEvSY_
; %bb.0:
	.section	.rodata,"a",@progbits
	.p2align	6, 0x0
	.amdhsa_kernel _ZN7rocprim17ROCPRIM_400000_NS6detail17trampoline_kernelINS0_13select_configILj256ELj13ELNS0_17block_load_methodE3ELS4_3ELS4_3ELNS0_20block_scan_algorithmE0ELj4294967295EEENS1_25partition_config_selectorILNS1_17partition_subalgoE3EjNS0_10empty_typeEbEEZZNS1_14partition_implILS8_3ELb0ES6_jNS0_17counting_iteratorIjlEEPS9_SE_NS0_5tupleIJPjSE_EEENSF_IJSE_SE_EEES9_SG_JZNS1_25segmented_radix_sort_implINS0_14default_configELb0EPKaPaPKlPlN2at6native12_GLOBAL__N_18offset_tEEE10hipError_tPvRmT1_PNSt15iterator_traitsISY_E10value_typeET2_T3_PNSZ_IS14_E10value_typeET4_jRbjT5_S1A_jjP12ihipStream_tbEUljE_EEESV_SW_SX_S14_S18_S1A_T6_T7_T9_mT8_S1C_bDpT10_ENKUlT_T0_E_clISt17integral_constantIbLb1EES1P_EEDaS1K_S1L_EUlS1K_E_NS1_11comp_targetILNS1_3genE3ELNS1_11target_archE908ELNS1_3gpuE7ELNS1_3repE0EEENS1_30default_config_static_selectorELNS0_4arch9wavefront6targetE0EEEvSY_
		.amdhsa_group_segment_fixed_size 0
		.amdhsa_private_segment_fixed_size 0
		.amdhsa_kernarg_size 152
		.amdhsa_user_sgpr_count 2
		.amdhsa_user_sgpr_dispatch_ptr 0
		.amdhsa_user_sgpr_queue_ptr 0
		.amdhsa_user_sgpr_kernarg_segment_ptr 1
		.amdhsa_user_sgpr_dispatch_id 0
		.amdhsa_user_sgpr_kernarg_preload_length 0
		.amdhsa_user_sgpr_kernarg_preload_offset 0
		.amdhsa_user_sgpr_private_segment_size 0
		.amdhsa_wavefront_size32 1
		.amdhsa_uses_dynamic_stack 0
		.amdhsa_enable_private_segment 0
		.amdhsa_system_sgpr_workgroup_id_x 1
		.amdhsa_system_sgpr_workgroup_id_y 0
		.amdhsa_system_sgpr_workgroup_id_z 0
		.amdhsa_system_sgpr_workgroup_info 0
		.amdhsa_system_vgpr_workitem_id 0
		.amdhsa_next_free_vgpr 1
		.amdhsa_next_free_sgpr 1
		.amdhsa_named_barrier_count 0
		.amdhsa_reserve_vcc 0
		.amdhsa_float_round_mode_32 0
		.amdhsa_float_round_mode_16_64 0
		.amdhsa_float_denorm_mode_32 3
		.amdhsa_float_denorm_mode_16_64 3
		.amdhsa_fp16_overflow 0
		.amdhsa_memory_ordered 1
		.amdhsa_forward_progress 1
		.amdhsa_inst_pref_size 0
		.amdhsa_round_robin_scheduling 0
		.amdhsa_exception_fp_ieee_invalid_op 0
		.amdhsa_exception_fp_denorm_src 0
		.amdhsa_exception_fp_ieee_div_zero 0
		.amdhsa_exception_fp_ieee_overflow 0
		.amdhsa_exception_fp_ieee_underflow 0
		.amdhsa_exception_fp_ieee_inexact 0
		.amdhsa_exception_int_div_zero 0
	.end_amdhsa_kernel
	.section	.text._ZN7rocprim17ROCPRIM_400000_NS6detail17trampoline_kernelINS0_13select_configILj256ELj13ELNS0_17block_load_methodE3ELS4_3ELS4_3ELNS0_20block_scan_algorithmE0ELj4294967295EEENS1_25partition_config_selectorILNS1_17partition_subalgoE3EjNS0_10empty_typeEbEEZZNS1_14partition_implILS8_3ELb0ES6_jNS0_17counting_iteratorIjlEEPS9_SE_NS0_5tupleIJPjSE_EEENSF_IJSE_SE_EEES9_SG_JZNS1_25segmented_radix_sort_implINS0_14default_configELb0EPKaPaPKlPlN2at6native12_GLOBAL__N_18offset_tEEE10hipError_tPvRmT1_PNSt15iterator_traitsISY_E10value_typeET2_T3_PNSZ_IS14_E10value_typeET4_jRbjT5_S1A_jjP12ihipStream_tbEUljE_EEESV_SW_SX_S14_S18_S1A_T6_T7_T9_mT8_S1C_bDpT10_ENKUlT_T0_E_clISt17integral_constantIbLb1EES1P_EEDaS1K_S1L_EUlS1K_E_NS1_11comp_targetILNS1_3genE3ELNS1_11target_archE908ELNS1_3gpuE7ELNS1_3repE0EEENS1_30default_config_static_selectorELNS0_4arch9wavefront6targetE0EEEvSY_,"axG",@progbits,_ZN7rocprim17ROCPRIM_400000_NS6detail17trampoline_kernelINS0_13select_configILj256ELj13ELNS0_17block_load_methodE3ELS4_3ELS4_3ELNS0_20block_scan_algorithmE0ELj4294967295EEENS1_25partition_config_selectorILNS1_17partition_subalgoE3EjNS0_10empty_typeEbEEZZNS1_14partition_implILS8_3ELb0ES6_jNS0_17counting_iteratorIjlEEPS9_SE_NS0_5tupleIJPjSE_EEENSF_IJSE_SE_EEES9_SG_JZNS1_25segmented_radix_sort_implINS0_14default_configELb0EPKaPaPKlPlN2at6native12_GLOBAL__N_18offset_tEEE10hipError_tPvRmT1_PNSt15iterator_traitsISY_E10value_typeET2_T3_PNSZ_IS14_E10value_typeET4_jRbjT5_S1A_jjP12ihipStream_tbEUljE_EEESV_SW_SX_S14_S18_S1A_T6_T7_T9_mT8_S1C_bDpT10_ENKUlT_T0_E_clISt17integral_constantIbLb1EES1P_EEDaS1K_S1L_EUlS1K_E_NS1_11comp_targetILNS1_3genE3ELNS1_11target_archE908ELNS1_3gpuE7ELNS1_3repE0EEENS1_30default_config_static_selectorELNS0_4arch9wavefront6targetE0EEEvSY_,comdat
.Lfunc_end369:
	.size	_ZN7rocprim17ROCPRIM_400000_NS6detail17trampoline_kernelINS0_13select_configILj256ELj13ELNS0_17block_load_methodE3ELS4_3ELS4_3ELNS0_20block_scan_algorithmE0ELj4294967295EEENS1_25partition_config_selectorILNS1_17partition_subalgoE3EjNS0_10empty_typeEbEEZZNS1_14partition_implILS8_3ELb0ES6_jNS0_17counting_iteratorIjlEEPS9_SE_NS0_5tupleIJPjSE_EEENSF_IJSE_SE_EEES9_SG_JZNS1_25segmented_radix_sort_implINS0_14default_configELb0EPKaPaPKlPlN2at6native12_GLOBAL__N_18offset_tEEE10hipError_tPvRmT1_PNSt15iterator_traitsISY_E10value_typeET2_T3_PNSZ_IS14_E10value_typeET4_jRbjT5_S1A_jjP12ihipStream_tbEUljE_EEESV_SW_SX_S14_S18_S1A_T6_T7_T9_mT8_S1C_bDpT10_ENKUlT_T0_E_clISt17integral_constantIbLb1EES1P_EEDaS1K_S1L_EUlS1K_E_NS1_11comp_targetILNS1_3genE3ELNS1_11target_archE908ELNS1_3gpuE7ELNS1_3repE0EEENS1_30default_config_static_selectorELNS0_4arch9wavefront6targetE0EEEvSY_, .Lfunc_end369-_ZN7rocprim17ROCPRIM_400000_NS6detail17trampoline_kernelINS0_13select_configILj256ELj13ELNS0_17block_load_methodE3ELS4_3ELS4_3ELNS0_20block_scan_algorithmE0ELj4294967295EEENS1_25partition_config_selectorILNS1_17partition_subalgoE3EjNS0_10empty_typeEbEEZZNS1_14partition_implILS8_3ELb0ES6_jNS0_17counting_iteratorIjlEEPS9_SE_NS0_5tupleIJPjSE_EEENSF_IJSE_SE_EEES9_SG_JZNS1_25segmented_radix_sort_implINS0_14default_configELb0EPKaPaPKlPlN2at6native12_GLOBAL__N_18offset_tEEE10hipError_tPvRmT1_PNSt15iterator_traitsISY_E10value_typeET2_T3_PNSZ_IS14_E10value_typeET4_jRbjT5_S1A_jjP12ihipStream_tbEUljE_EEESV_SW_SX_S14_S18_S1A_T6_T7_T9_mT8_S1C_bDpT10_ENKUlT_T0_E_clISt17integral_constantIbLb1EES1P_EEDaS1K_S1L_EUlS1K_E_NS1_11comp_targetILNS1_3genE3ELNS1_11target_archE908ELNS1_3gpuE7ELNS1_3repE0EEENS1_30default_config_static_selectorELNS0_4arch9wavefront6targetE0EEEvSY_
                                        ; -- End function
	.set _ZN7rocprim17ROCPRIM_400000_NS6detail17trampoline_kernelINS0_13select_configILj256ELj13ELNS0_17block_load_methodE3ELS4_3ELS4_3ELNS0_20block_scan_algorithmE0ELj4294967295EEENS1_25partition_config_selectorILNS1_17partition_subalgoE3EjNS0_10empty_typeEbEEZZNS1_14partition_implILS8_3ELb0ES6_jNS0_17counting_iteratorIjlEEPS9_SE_NS0_5tupleIJPjSE_EEENSF_IJSE_SE_EEES9_SG_JZNS1_25segmented_radix_sort_implINS0_14default_configELb0EPKaPaPKlPlN2at6native12_GLOBAL__N_18offset_tEEE10hipError_tPvRmT1_PNSt15iterator_traitsISY_E10value_typeET2_T3_PNSZ_IS14_E10value_typeET4_jRbjT5_S1A_jjP12ihipStream_tbEUljE_EEESV_SW_SX_S14_S18_S1A_T6_T7_T9_mT8_S1C_bDpT10_ENKUlT_T0_E_clISt17integral_constantIbLb1EES1P_EEDaS1K_S1L_EUlS1K_E_NS1_11comp_targetILNS1_3genE3ELNS1_11target_archE908ELNS1_3gpuE7ELNS1_3repE0EEENS1_30default_config_static_selectorELNS0_4arch9wavefront6targetE0EEEvSY_.num_vgpr, 0
	.set _ZN7rocprim17ROCPRIM_400000_NS6detail17trampoline_kernelINS0_13select_configILj256ELj13ELNS0_17block_load_methodE3ELS4_3ELS4_3ELNS0_20block_scan_algorithmE0ELj4294967295EEENS1_25partition_config_selectorILNS1_17partition_subalgoE3EjNS0_10empty_typeEbEEZZNS1_14partition_implILS8_3ELb0ES6_jNS0_17counting_iteratorIjlEEPS9_SE_NS0_5tupleIJPjSE_EEENSF_IJSE_SE_EEES9_SG_JZNS1_25segmented_radix_sort_implINS0_14default_configELb0EPKaPaPKlPlN2at6native12_GLOBAL__N_18offset_tEEE10hipError_tPvRmT1_PNSt15iterator_traitsISY_E10value_typeET2_T3_PNSZ_IS14_E10value_typeET4_jRbjT5_S1A_jjP12ihipStream_tbEUljE_EEESV_SW_SX_S14_S18_S1A_T6_T7_T9_mT8_S1C_bDpT10_ENKUlT_T0_E_clISt17integral_constantIbLb1EES1P_EEDaS1K_S1L_EUlS1K_E_NS1_11comp_targetILNS1_3genE3ELNS1_11target_archE908ELNS1_3gpuE7ELNS1_3repE0EEENS1_30default_config_static_selectorELNS0_4arch9wavefront6targetE0EEEvSY_.num_agpr, 0
	.set _ZN7rocprim17ROCPRIM_400000_NS6detail17trampoline_kernelINS0_13select_configILj256ELj13ELNS0_17block_load_methodE3ELS4_3ELS4_3ELNS0_20block_scan_algorithmE0ELj4294967295EEENS1_25partition_config_selectorILNS1_17partition_subalgoE3EjNS0_10empty_typeEbEEZZNS1_14partition_implILS8_3ELb0ES6_jNS0_17counting_iteratorIjlEEPS9_SE_NS0_5tupleIJPjSE_EEENSF_IJSE_SE_EEES9_SG_JZNS1_25segmented_radix_sort_implINS0_14default_configELb0EPKaPaPKlPlN2at6native12_GLOBAL__N_18offset_tEEE10hipError_tPvRmT1_PNSt15iterator_traitsISY_E10value_typeET2_T3_PNSZ_IS14_E10value_typeET4_jRbjT5_S1A_jjP12ihipStream_tbEUljE_EEESV_SW_SX_S14_S18_S1A_T6_T7_T9_mT8_S1C_bDpT10_ENKUlT_T0_E_clISt17integral_constantIbLb1EES1P_EEDaS1K_S1L_EUlS1K_E_NS1_11comp_targetILNS1_3genE3ELNS1_11target_archE908ELNS1_3gpuE7ELNS1_3repE0EEENS1_30default_config_static_selectorELNS0_4arch9wavefront6targetE0EEEvSY_.numbered_sgpr, 0
	.set _ZN7rocprim17ROCPRIM_400000_NS6detail17trampoline_kernelINS0_13select_configILj256ELj13ELNS0_17block_load_methodE3ELS4_3ELS4_3ELNS0_20block_scan_algorithmE0ELj4294967295EEENS1_25partition_config_selectorILNS1_17partition_subalgoE3EjNS0_10empty_typeEbEEZZNS1_14partition_implILS8_3ELb0ES6_jNS0_17counting_iteratorIjlEEPS9_SE_NS0_5tupleIJPjSE_EEENSF_IJSE_SE_EEES9_SG_JZNS1_25segmented_radix_sort_implINS0_14default_configELb0EPKaPaPKlPlN2at6native12_GLOBAL__N_18offset_tEEE10hipError_tPvRmT1_PNSt15iterator_traitsISY_E10value_typeET2_T3_PNSZ_IS14_E10value_typeET4_jRbjT5_S1A_jjP12ihipStream_tbEUljE_EEESV_SW_SX_S14_S18_S1A_T6_T7_T9_mT8_S1C_bDpT10_ENKUlT_T0_E_clISt17integral_constantIbLb1EES1P_EEDaS1K_S1L_EUlS1K_E_NS1_11comp_targetILNS1_3genE3ELNS1_11target_archE908ELNS1_3gpuE7ELNS1_3repE0EEENS1_30default_config_static_selectorELNS0_4arch9wavefront6targetE0EEEvSY_.num_named_barrier, 0
	.set _ZN7rocprim17ROCPRIM_400000_NS6detail17trampoline_kernelINS0_13select_configILj256ELj13ELNS0_17block_load_methodE3ELS4_3ELS4_3ELNS0_20block_scan_algorithmE0ELj4294967295EEENS1_25partition_config_selectorILNS1_17partition_subalgoE3EjNS0_10empty_typeEbEEZZNS1_14partition_implILS8_3ELb0ES6_jNS0_17counting_iteratorIjlEEPS9_SE_NS0_5tupleIJPjSE_EEENSF_IJSE_SE_EEES9_SG_JZNS1_25segmented_radix_sort_implINS0_14default_configELb0EPKaPaPKlPlN2at6native12_GLOBAL__N_18offset_tEEE10hipError_tPvRmT1_PNSt15iterator_traitsISY_E10value_typeET2_T3_PNSZ_IS14_E10value_typeET4_jRbjT5_S1A_jjP12ihipStream_tbEUljE_EEESV_SW_SX_S14_S18_S1A_T6_T7_T9_mT8_S1C_bDpT10_ENKUlT_T0_E_clISt17integral_constantIbLb1EES1P_EEDaS1K_S1L_EUlS1K_E_NS1_11comp_targetILNS1_3genE3ELNS1_11target_archE908ELNS1_3gpuE7ELNS1_3repE0EEENS1_30default_config_static_selectorELNS0_4arch9wavefront6targetE0EEEvSY_.private_seg_size, 0
	.set _ZN7rocprim17ROCPRIM_400000_NS6detail17trampoline_kernelINS0_13select_configILj256ELj13ELNS0_17block_load_methodE3ELS4_3ELS4_3ELNS0_20block_scan_algorithmE0ELj4294967295EEENS1_25partition_config_selectorILNS1_17partition_subalgoE3EjNS0_10empty_typeEbEEZZNS1_14partition_implILS8_3ELb0ES6_jNS0_17counting_iteratorIjlEEPS9_SE_NS0_5tupleIJPjSE_EEENSF_IJSE_SE_EEES9_SG_JZNS1_25segmented_radix_sort_implINS0_14default_configELb0EPKaPaPKlPlN2at6native12_GLOBAL__N_18offset_tEEE10hipError_tPvRmT1_PNSt15iterator_traitsISY_E10value_typeET2_T3_PNSZ_IS14_E10value_typeET4_jRbjT5_S1A_jjP12ihipStream_tbEUljE_EEESV_SW_SX_S14_S18_S1A_T6_T7_T9_mT8_S1C_bDpT10_ENKUlT_T0_E_clISt17integral_constantIbLb1EES1P_EEDaS1K_S1L_EUlS1K_E_NS1_11comp_targetILNS1_3genE3ELNS1_11target_archE908ELNS1_3gpuE7ELNS1_3repE0EEENS1_30default_config_static_selectorELNS0_4arch9wavefront6targetE0EEEvSY_.uses_vcc, 0
	.set _ZN7rocprim17ROCPRIM_400000_NS6detail17trampoline_kernelINS0_13select_configILj256ELj13ELNS0_17block_load_methodE3ELS4_3ELS4_3ELNS0_20block_scan_algorithmE0ELj4294967295EEENS1_25partition_config_selectorILNS1_17partition_subalgoE3EjNS0_10empty_typeEbEEZZNS1_14partition_implILS8_3ELb0ES6_jNS0_17counting_iteratorIjlEEPS9_SE_NS0_5tupleIJPjSE_EEENSF_IJSE_SE_EEES9_SG_JZNS1_25segmented_radix_sort_implINS0_14default_configELb0EPKaPaPKlPlN2at6native12_GLOBAL__N_18offset_tEEE10hipError_tPvRmT1_PNSt15iterator_traitsISY_E10value_typeET2_T3_PNSZ_IS14_E10value_typeET4_jRbjT5_S1A_jjP12ihipStream_tbEUljE_EEESV_SW_SX_S14_S18_S1A_T6_T7_T9_mT8_S1C_bDpT10_ENKUlT_T0_E_clISt17integral_constantIbLb1EES1P_EEDaS1K_S1L_EUlS1K_E_NS1_11comp_targetILNS1_3genE3ELNS1_11target_archE908ELNS1_3gpuE7ELNS1_3repE0EEENS1_30default_config_static_selectorELNS0_4arch9wavefront6targetE0EEEvSY_.uses_flat_scratch, 0
	.set _ZN7rocprim17ROCPRIM_400000_NS6detail17trampoline_kernelINS0_13select_configILj256ELj13ELNS0_17block_load_methodE3ELS4_3ELS4_3ELNS0_20block_scan_algorithmE0ELj4294967295EEENS1_25partition_config_selectorILNS1_17partition_subalgoE3EjNS0_10empty_typeEbEEZZNS1_14partition_implILS8_3ELb0ES6_jNS0_17counting_iteratorIjlEEPS9_SE_NS0_5tupleIJPjSE_EEENSF_IJSE_SE_EEES9_SG_JZNS1_25segmented_radix_sort_implINS0_14default_configELb0EPKaPaPKlPlN2at6native12_GLOBAL__N_18offset_tEEE10hipError_tPvRmT1_PNSt15iterator_traitsISY_E10value_typeET2_T3_PNSZ_IS14_E10value_typeET4_jRbjT5_S1A_jjP12ihipStream_tbEUljE_EEESV_SW_SX_S14_S18_S1A_T6_T7_T9_mT8_S1C_bDpT10_ENKUlT_T0_E_clISt17integral_constantIbLb1EES1P_EEDaS1K_S1L_EUlS1K_E_NS1_11comp_targetILNS1_3genE3ELNS1_11target_archE908ELNS1_3gpuE7ELNS1_3repE0EEENS1_30default_config_static_selectorELNS0_4arch9wavefront6targetE0EEEvSY_.has_dyn_sized_stack, 0
	.set _ZN7rocprim17ROCPRIM_400000_NS6detail17trampoline_kernelINS0_13select_configILj256ELj13ELNS0_17block_load_methodE3ELS4_3ELS4_3ELNS0_20block_scan_algorithmE0ELj4294967295EEENS1_25partition_config_selectorILNS1_17partition_subalgoE3EjNS0_10empty_typeEbEEZZNS1_14partition_implILS8_3ELb0ES6_jNS0_17counting_iteratorIjlEEPS9_SE_NS0_5tupleIJPjSE_EEENSF_IJSE_SE_EEES9_SG_JZNS1_25segmented_radix_sort_implINS0_14default_configELb0EPKaPaPKlPlN2at6native12_GLOBAL__N_18offset_tEEE10hipError_tPvRmT1_PNSt15iterator_traitsISY_E10value_typeET2_T3_PNSZ_IS14_E10value_typeET4_jRbjT5_S1A_jjP12ihipStream_tbEUljE_EEESV_SW_SX_S14_S18_S1A_T6_T7_T9_mT8_S1C_bDpT10_ENKUlT_T0_E_clISt17integral_constantIbLb1EES1P_EEDaS1K_S1L_EUlS1K_E_NS1_11comp_targetILNS1_3genE3ELNS1_11target_archE908ELNS1_3gpuE7ELNS1_3repE0EEENS1_30default_config_static_selectorELNS0_4arch9wavefront6targetE0EEEvSY_.has_recursion, 0
	.set _ZN7rocprim17ROCPRIM_400000_NS6detail17trampoline_kernelINS0_13select_configILj256ELj13ELNS0_17block_load_methodE3ELS4_3ELS4_3ELNS0_20block_scan_algorithmE0ELj4294967295EEENS1_25partition_config_selectorILNS1_17partition_subalgoE3EjNS0_10empty_typeEbEEZZNS1_14partition_implILS8_3ELb0ES6_jNS0_17counting_iteratorIjlEEPS9_SE_NS0_5tupleIJPjSE_EEENSF_IJSE_SE_EEES9_SG_JZNS1_25segmented_radix_sort_implINS0_14default_configELb0EPKaPaPKlPlN2at6native12_GLOBAL__N_18offset_tEEE10hipError_tPvRmT1_PNSt15iterator_traitsISY_E10value_typeET2_T3_PNSZ_IS14_E10value_typeET4_jRbjT5_S1A_jjP12ihipStream_tbEUljE_EEESV_SW_SX_S14_S18_S1A_T6_T7_T9_mT8_S1C_bDpT10_ENKUlT_T0_E_clISt17integral_constantIbLb1EES1P_EEDaS1K_S1L_EUlS1K_E_NS1_11comp_targetILNS1_3genE3ELNS1_11target_archE908ELNS1_3gpuE7ELNS1_3repE0EEENS1_30default_config_static_selectorELNS0_4arch9wavefront6targetE0EEEvSY_.has_indirect_call, 0
	.section	.AMDGPU.csdata,"",@progbits
; Kernel info:
; codeLenInByte = 0
; TotalNumSgprs: 0
; NumVgprs: 0
; ScratchSize: 0
; MemoryBound: 0
; FloatMode: 240
; IeeeMode: 1
; LDSByteSize: 0 bytes/workgroup (compile time only)
; SGPRBlocks: 0
; VGPRBlocks: 0
; NumSGPRsForWavesPerEU: 1
; NumVGPRsForWavesPerEU: 1
; NamedBarCnt: 0
; Occupancy: 16
; WaveLimiterHint : 0
; COMPUTE_PGM_RSRC2:SCRATCH_EN: 0
; COMPUTE_PGM_RSRC2:USER_SGPR: 2
; COMPUTE_PGM_RSRC2:TRAP_HANDLER: 0
; COMPUTE_PGM_RSRC2:TGID_X_EN: 1
; COMPUTE_PGM_RSRC2:TGID_Y_EN: 0
; COMPUTE_PGM_RSRC2:TGID_Z_EN: 0
; COMPUTE_PGM_RSRC2:TIDIG_COMP_CNT: 0
	.section	.text._ZN7rocprim17ROCPRIM_400000_NS6detail17trampoline_kernelINS0_13select_configILj256ELj13ELNS0_17block_load_methodE3ELS4_3ELS4_3ELNS0_20block_scan_algorithmE0ELj4294967295EEENS1_25partition_config_selectorILNS1_17partition_subalgoE3EjNS0_10empty_typeEbEEZZNS1_14partition_implILS8_3ELb0ES6_jNS0_17counting_iteratorIjlEEPS9_SE_NS0_5tupleIJPjSE_EEENSF_IJSE_SE_EEES9_SG_JZNS1_25segmented_radix_sort_implINS0_14default_configELb0EPKaPaPKlPlN2at6native12_GLOBAL__N_18offset_tEEE10hipError_tPvRmT1_PNSt15iterator_traitsISY_E10value_typeET2_T3_PNSZ_IS14_E10value_typeET4_jRbjT5_S1A_jjP12ihipStream_tbEUljE_EEESV_SW_SX_S14_S18_S1A_T6_T7_T9_mT8_S1C_bDpT10_ENKUlT_T0_E_clISt17integral_constantIbLb1EES1P_EEDaS1K_S1L_EUlS1K_E_NS1_11comp_targetILNS1_3genE2ELNS1_11target_archE906ELNS1_3gpuE6ELNS1_3repE0EEENS1_30default_config_static_selectorELNS0_4arch9wavefront6targetE0EEEvSY_,"axG",@progbits,_ZN7rocprim17ROCPRIM_400000_NS6detail17trampoline_kernelINS0_13select_configILj256ELj13ELNS0_17block_load_methodE3ELS4_3ELS4_3ELNS0_20block_scan_algorithmE0ELj4294967295EEENS1_25partition_config_selectorILNS1_17partition_subalgoE3EjNS0_10empty_typeEbEEZZNS1_14partition_implILS8_3ELb0ES6_jNS0_17counting_iteratorIjlEEPS9_SE_NS0_5tupleIJPjSE_EEENSF_IJSE_SE_EEES9_SG_JZNS1_25segmented_radix_sort_implINS0_14default_configELb0EPKaPaPKlPlN2at6native12_GLOBAL__N_18offset_tEEE10hipError_tPvRmT1_PNSt15iterator_traitsISY_E10value_typeET2_T3_PNSZ_IS14_E10value_typeET4_jRbjT5_S1A_jjP12ihipStream_tbEUljE_EEESV_SW_SX_S14_S18_S1A_T6_T7_T9_mT8_S1C_bDpT10_ENKUlT_T0_E_clISt17integral_constantIbLb1EES1P_EEDaS1K_S1L_EUlS1K_E_NS1_11comp_targetILNS1_3genE2ELNS1_11target_archE906ELNS1_3gpuE6ELNS1_3repE0EEENS1_30default_config_static_selectorELNS0_4arch9wavefront6targetE0EEEvSY_,comdat
	.globl	_ZN7rocprim17ROCPRIM_400000_NS6detail17trampoline_kernelINS0_13select_configILj256ELj13ELNS0_17block_load_methodE3ELS4_3ELS4_3ELNS0_20block_scan_algorithmE0ELj4294967295EEENS1_25partition_config_selectorILNS1_17partition_subalgoE3EjNS0_10empty_typeEbEEZZNS1_14partition_implILS8_3ELb0ES6_jNS0_17counting_iteratorIjlEEPS9_SE_NS0_5tupleIJPjSE_EEENSF_IJSE_SE_EEES9_SG_JZNS1_25segmented_radix_sort_implINS0_14default_configELb0EPKaPaPKlPlN2at6native12_GLOBAL__N_18offset_tEEE10hipError_tPvRmT1_PNSt15iterator_traitsISY_E10value_typeET2_T3_PNSZ_IS14_E10value_typeET4_jRbjT5_S1A_jjP12ihipStream_tbEUljE_EEESV_SW_SX_S14_S18_S1A_T6_T7_T9_mT8_S1C_bDpT10_ENKUlT_T0_E_clISt17integral_constantIbLb1EES1P_EEDaS1K_S1L_EUlS1K_E_NS1_11comp_targetILNS1_3genE2ELNS1_11target_archE906ELNS1_3gpuE6ELNS1_3repE0EEENS1_30default_config_static_selectorELNS0_4arch9wavefront6targetE0EEEvSY_ ; -- Begin function _ZN7rocprim17ROCPRIM_400000_NS6detail17trampoline_kernelINS0_13select_configILj256ELj13ELNS0_17block_load_methodE3ELS4_3ELS4_3ELNS0_20block_scan_algorithmE0ELj4294967295EEENS1_25partition_config_selectorILNS1_17partition_subalgoE3EjNS0_10empty_typeEbEEZZNS1_14partition_implILS8_3ELb0ES6_jNS0_17counting_iteratorIjlEEPS9_SE_NS0_5tupleIJPjSE_EEENSF_IJSE_SE_EEES9_SG_JZNS1_25segmented_radix_sort_implINS0_14default_configELb0EPKaPaPKlPlN2at6native12_GLOBAL__N_18offset_tEEE10hipError_tPvRmT1_PNSt15iterator_traitsISY_E10value_typeET2_T3_PNSZ_IS14_E10value_typeET4_jRbjT5_S1A_jjP12ihipStream_tbEUljE_EEESV_SW_SX_S14_S18_S1A_T6_T7_T9_mT8_S1C_bDpT10_ENKUlT_T0_E_clISt17integral_constantIbLb1EES1P_EEDaS1K_S1L_EUlS1K_E_NS1_11comp_targetILNS1_3genE2ELNS1_11target_archE906ELNS1_3gpuE6ELNS1_3repE0EEENS1_30default_config_static_selectorELNS0_4arch9wavefront6targetE0EEEvSY_
	.p2align	8
	.type	_ZN7rocprim17ROCPRIM_400000_NS6detail17trampoline_kernelINS0_13select_configILj256ELj13ELNS0_17block_load_methodE3ELS4_3ELS4_3ELNS0_20block_scan_algorithmE0ELj4294967295EEENS1_25partition_config_selectorILNS1_17partition_subalgoE3EjNS0_10empty_typeEbEEZZNS1_14partition_implILS8_3ELb0ES6_jNS0_17counting_iteratorIjlEEPS9_SE_NS0_5tupleIJPjSE_EEENSF_IJSE_SE_EEES9_SG_JZNS1_25segmented_radix_sort_implINS0_14default_configELb0EPKaPaPKlPlN2at6native12_GLOBAL__N_18offset_tEEE10hipError_tPvRmT1_PNSt15iterator_traitsISY_E10value_typeET2_T3_PNSZ_IS14_E10value_typeET4_jRbjT5_S1A_jjP12ihipStream_tbEUljE_EEESV_SW_SX_S14_S18_S1A_T6_T7_T9_mT8_S1C_bDpT10_ENKUlT_T0_E_clISt17integral_constantIbLb1EES1P_EEDaS1K_S1L_EUlS1K_E_NS1_11comp_targetILNS1_3genE2ELNS1_11target_archE906ELNS1_3gpuE6ELNS1_3repE0EEENS1_30default_config_static_selectorELNS0_4arch9wavefront6targetE0EEEvSY_,@function
_ZN7rocprim17ROCPRIM_400000_NS6detail17trampoline_kernelINS0_13select_configILj256ELj13ELNS0_17block_load_methodE3ELS4_3ELS4_3ELNS0_20block_scan_algorithmE0ELj4294967295EEENS1_25partition_config_selectorILNS1_17partition_subalgoE3EjNS0_10empty_typeEbEEZZNS1_14partition_implILS8_3ELb0ES6_jNS0_17counting_iteratorIjlEEPS9_SE_NS0_5tupleIJPjSE_EEENSF_IJSE_SE_EEES9_SG_JZNS1_25segmented_radix_sort_implINS0_14default_configELb0EPKaPaPKlPlN2at6native12_GLOBAL__N_18offset_tEEE10hipError_tPvRmT1_PNSt15iterator_traitsISY_E10value_typeET2_T3_PNSZ_IS14_E10value_typeET4_jRbjT5_S1A_jjP12ihipStream_tbEUljE_EEESV_SW_SX_S14_S18_S1A_T6_T7_T9_mT8_S1C_bDpT10_ENKUlT_T0_E_clISt17integral_constantIbLb1EES1P_EEDaS1K_S1L_EUlS1K_E_NS1_11comp_targetILNS1_3genE2ELNS1_11target_archE906ELNS1_3gpuE6ELNS1_3repE0EEENS1_30default_config_static_selectorELNS0_4arch9wavefront6targetE0EEEvSY_: ; @_ZN7rocprim17ROCPRIM_400000_NS6detail17trampoline_kernelINS0_13select_configILj256ELj13ELNS0_17block_load_methodE3ELS4_3ELS4_3ELNS0_20block_scan_algorithmE0ELj4294967295EEENS1_25partition_config_selectorILNS1_17partition_subalgoE3EjNS0_10empty_typeEbEEZZNS1_14partition_implILS8_3ELb0ES6_jNS0_17counting_iteratorIjlEEPS9_SE_NS0_5tupleIJPjSE_EEENSF_IJSE_SE_EEES9_SG_JZNS1_25segmented_radix_sort_implINS0_14default_configELb0EPKaPaPKlPlN2at6native12_GLOBAL__N_18offset_tEEE10hipError_tPvRmT1_PNSt15iterator_traitsISY_E10value_typeET2_T3_PNSZ_IS14_E10value_typeET4_jRbjT5_S1A_jjP12ihipStream_tbEUljE_EEESV_SW_SX_S14_S18_S1A_T6_T7_T9_mT8_S1C_bDpT10_ENKUlT_T0_E_clISt17integral_constantIbLb1EES1P_EEDaS1K_S1L_EUlS1K_E_NS1_11comp_targetILNS1_3genE2ELNS1_11target_archE906ELNS1_3gpuE6ELNS1_3repE0EEENS1_30default_config_static_selectorELNS0_4arch9wavefront6targetE0EEEvSY_
; %bb.0:
	.section	.rodata,"a",@progbits
	.p2align	6, 0x0
	.amdhsa_kernel _ZN7rocprim17ROCPRIM_400000_NS6detail17trampoline_kernelINS0_13select_configILj256ELj13ELNS0_17block_load_methodE3ELS4_3ELS4_3ELNS0_20block_scan_algorithmE0ELj4294967295EEENS1_25partition_config_selectorILNS1_17partition_subalgoE3EjNS0_10empty_typeEbEEZZNS1_14partition_implILS8_3ELb0ES6_jNS0_17counting_iteratorIjlEEPS9_SE_NS0_5tupleIJPjSE_EEENSF_IJSE_SE_EEES9_SG_JZNS1_25segmented_radix_sort_implINS0_14default_configELb0EPKaPaPKlPlN2at6native12_GLOBAL__N_18offset_tEEE10hipError_tPvRmT1_PNSt15iterator_traitsISY_E10value_typeET2_T3_PNSZ_IS14_E10value_typeET4_jRbjT5_S1A_jjP12ihipStream_tbEUljE_EEESV_SW_SX_S14_S18_S1A_T6_T7_T9_mT8_S1C_bDpT10_ENKUlT_T0_E_clISt17integral_constantIbLb1EES1P_EEDaS1K_S1L_EUlS1K_E_NS1_11comp_targetILNS1_3genE2ELNS1_11target_archE906ELNS1_3gpuE6ELNS1_3repE0EEENS1_30default_config_static_selectorELNS0_4arch9wavefront6targetE0EEEvSY_
		.amdhsa_group_segment_fixed_size 0
		.amdhsa_private_segment_fixed_size 0
		.amdhsa_kernarg_size 152
		.amdhsa_user_sgpr_count 2
		.amdhsa_user_sgpr_dispatch_ptr 0
		.amdhsa_user_sgpr_queue_ptr 0
		.amdhsa_user_sgpr_kernarg_segment_ptr 1
		.amdhsa_user_sgpr_dispatch_id 0
		.amdhsa_user_sgpr_kernarg_preload_length 0
		.amdhsa_user_sgpr_kernarg_preload_offset 0
		.amdhsa_user_sgpr_private_segment_size 0
		.amdhsa_wavefront_size32 1
		.amdhsa_uses_dynamic_stack 0
		.amdhsa_enable_private_segment 0
		.amdhsa_system_sgpr_workgroup_id_x 1
		.amdhsa_system_sgpr_workgroup_id_y 0
		.amdhsa_system_sgpr_workgroup_id_z 0
		.amdhsa_system_sgpr_workgroup_info 0
		.amdhsa_system_vgpr_workitem_id 0
		.amdhsa_next_free_vgpr 1
		.amdhsa_next_free_sgpr 1
		.amdhsa_named_barrier_count 0
		.amdhsa_reserve_vcc 0
		.amdhsa_float_round_mode_32 0
		.amdhsa_float_round_mode_16_64 0
		.amdhsa_float_denorm_mode_32 3
		.amdhsa_float_denorm_mode_16_64 3
		.amdhsa_fp16_overflow 0
		.amdhsa_memory_ordered 1
		.amdhsa_forward_progress 1
		.amdhsa_inst_pref_size 0
		.amdhsa_round_robin_scheduling 0
		.amdhsa_exception_fp_ieee_invalid_op 0
		.amdhsa_exception_fp_denorm_src 0
		.amdhsa_exception_fp_ieee_div_zero 0
		.amdhsa_exception_fp_ieee_overflow 0
		.amdhsa_exception_fp_ieee_underflow 0
		.amdhsa_exception_fp_ieee_inexact 0
		.amdhsa_exception_int_div_zero 0
	.end_amdhsa_kernel
	.section	.text._ZN7rocprim17ROCPRIM_400000_NS6detail17trampoline_kernelINS0_13select_configILj256ELj13ELNS0_17block_load_methodE3ELS4_3ELS4_3ELNS0_20block_scan_algorithmE0ELj4294967295EEENS1_25partition_config_selectorILNS1_17partition_subalgoE3EjNS0_10empty_typeEbEEZZNS1_14partition_implILS8_3ELb0ES6_jNS0_17counting_iteratorIjlEEPS9_SE_NS0_5tupleIJPjSE_EEENSF_IJSE_SE_EEES9_SG_JZNS1_25segmented_radix_sort_implINS0_14default_configELb0EPKaPaPKlPlN2at6native12_GLOBAL__N_18offset_tEEE10hipError_tPvRmT1_PNSt15iterator_traitsISY_E10value_typeET2_T3_PNSZ_IS14_E10value_typeET4_jRbjT5_S1A_jjP12ihipStream_tbEUljE_EEESV_SW_SX_S14_S18_S1A_T6_T7_T9_mT8_S1C_bDpT10_ENKUlT_T0_E_clISt17integral_constantIbLb1EES1P_EEDaS1K_S1L_EUlS1K_E_NS1_11comp_targetILNS1_3genE2ELNS1_11target_archE906ELNS1_3gpuE6ELNS1_3repE0EEENS1_30default_config_static_selectorELNS0_4arch9wavefront6targetE0EEEvSY_,"axG",@progbits,_ZN7rocprim17ROCPRIM_400000_NS6detail17trampoline_kernelINS0_13select_configILj256ELj13ELNS0_17block_load_methodE3ELS4_3ELS4_3ELNS0_20block_scan_algorithmE0ELj4294967295EEENS1_25partition_config_selectorILNS1_17partition_subalgoE3EjNS0_10empty_typeEbEEZZNS1_14partition_implILS8_3ELb0ES6_jNS0_17counting_iteratorIjlEEPS9_SE_NS0_5tupleIJPjSE_EEENSF_IJSE_SE_EEES9_SG_JZNS1_25segmented_radix_sort_implINS0_14default_configELb0EPKaPaPKlPlN2at6native12_GLOBAL__N_18offset_tEEE10hipError_tPvRmT1_PNSt15iterator_traitsISY_E10value_typeET2_T3_PNSZ_IS14_E10value_typeET4_jRbjT5_S1A_jjP12ihipStream_tbEUljE_EEESV_SW_SX_S14_S18_S1A_T6_T7_T9_mT8_S1C_bDpT10_ENKUlT_T0_E_clISt17integral_constantIbLb1EES1P_EEDaS1K_S1L_EUlS1K_E_NS1_11comp_targetILNS1_3genE2ELNS1_11target_archE906ELNS1_3gpuE6ELNS1_3repE0EEENS1_30default_config_static_selectorELNS0_4arch9wavefront6targetE0EEEvSY_,comdat
.Lfunc_end370:
	.size	_ZN7rocprim17ROCPRIM_400000_NS6detail17trampoline_kernelINS0_13select_configILj256ELj13ELNS0_17block_load_methodE3ELS4_3ELS4_3ELNS0_20block_scan_algorithmE0ELj4294967295EEENS1_25partition_config_selectorILNS1_17partition_subalgoE3EjNS0_10empty_typeEbEEZZNS1_14partition_implILS8_3ELb0ES6_jNS0_17counting_iteratorIjlEEPS9_SE_NS0_5tupleIJPjSE_EEENSF_IJSE_SE_EEES9_SG_JZNS1_25segmented_radix_sort_implINS0_14default_configELb0EPKaPaPKlPlN2at6native12_GLOBAL__N_18offset_tEEE10hipError_tPvRmT1_PNSt15iterator_traitsISY_E10value_typeET2_T3_PNSZ_IS14_E10value_typeET4_jRbjT5_S1A_jjP12ihipStream_tbEUljE_EEESV_SW_SX_S14_S18_S1A_T6_T7_T9_mT8_S1C_bDpT10_ENKUlT_T0_E_clISt17integral_constantIbLb1EES1P_EEDaS1K_S1L_EUlS1K_E_NS1_11comp_targetILNS1_3genE2ELNS1_11target_archE906ELNS1_3gpuE6ELNS1_3repE0EEENS1_30default_config_static_selectorELNS0_4arch9wavefront6targetE0EEEvSY_, .Lfunc_end370-_ZN7rocprim17ROCPRIM_400000_NS6detail17trampoline_kernelINS0_13select_configILj256ELj13ELNS0_17block_load_methodE3ELS4_3ELS4_3ELNS0_20block_scan_algorithmE0ELj4294967295EEENS1_25partition_config_selectorILNS1_17partition_subalgoE3EjNS0_10empty_typeEbEEZZNS1_14partition_implILS8_3ELb0ES6_jNS0_17counting_iteratorIjlEEPS9_SE_NS0_5tupleIJPjSE_EEENSF_IJSE_SE_EEES9_SG_JZNS1_25segmented_radix_sort_implINS0_14default_configELb0EPKaPaPKlPlN2at6native12_GLOBAL__N_18offset_tEEE10hipError_tPvRmT1_PNSt15iterator_traitsISY_E10value_typeET2_T3_PNSZ_IS14_E10value_typeET4_jRbjT5_S1A_jjP12ihipStream_tbEUljE_EEESV_SW_SX_S14_S18_S1A_T6_T7_T9_mT8_S1C_bDpT10_ENKUlT_T0_E_clISt17integral_constantIbLb1EES1P_EEDaS1K_S1L_EUlS1K_E_NS1_11comp_targetILNS1_3genE2ELNS1_11target_archE906ELNS1_3gpuE6ELNS1_3repE0EEENS1_30default_config_static_selectorELNS0_4arch9wavefront6targetE0EEEvSY_
                                        ; -- End function
	.set _ZN7rocprim17ROCPRIM_400000_NS6detail17trampoline_kernelINS0_13select_configILj256ELj13ELNS0_17block_load_methodE3ELS4_3ELS4_3ELNS0_20block_scan_algorithmE0ELj4294967295EEENS1_25partition_config_selectorILNS1_17partition_subalgoE3EjNS0_10empty_typeEbEEZZNS1_14partition_implILS8_3ELb0ES6_jNS0_17counting_iteratorIjlEEPS9_SE_NS0_5tupleIJPjSE_EEENSF_IJSE_SE_EEES9_SG_JZNS1_25segmented_radix_sort_implINS0_14default_configELb0EPKaPaPKlPlN2at6native12_GLOBAL__N_18offset_tEEE10hipError_tPvRmT1_PNSt15iterator_traitsISY_E10value_typeET2_T3_PNSZ_IS14_E10value_typeET4_jRbjT5_S1A_jjP12ihipStream_tbEUljE_EEESV_SW_SX_S14_S18_S1A_T6_T7_T9_mT8_S1C_bDpT10_ENKUlT_T0_E_clISt17integral_constantIbLb1EES1P_EEDaS1K_S1L_EUlS1K_E_NS1_11comp_targetILNS1_3genE2ELNS1_11target_archE906ELNS1_3gpuE6ELNS1_3repE0EEENS1_30default_config_static_selectorELNS0_4arch9wavefront6targetE0EEEvSY_.num_vgpr, 0
	.set _ZN7rocprim17ROCPRIM_400000_NS6detail17trampoline_kernelINS0_13select_configILj256ELj13ELNS0_17block_load_methodE3ELS4_3ELS4_3ELNS0_20block_scan_algorithmE0ELj4294967295EEENS1_25partition_config_selectorILNS1_17partition_subalgoE3EjNS0_10empty_typeEbEEZZNS1_14partition_implILS8_3ELb0ES6_jNS0_17counting_iteratorIjlEEPS9_SE_NS0_5tupleIJPjSE_EEENSF_IJSE_SE_EEES9_SG_JZNS1_25segmented_radix_sort_implINS0_14default_configELb0EPKaPaPKlPlN2at6native12_GLOBAL__N_18offset_tEEE10hipError_tPvRmT1_PNSt15iterator_traitsISY_E10value_typeET2_T3_PNSZ_IS14_E10value_typeET4_jRbjT5_S1A_jjP12ihipStream_tbEUljE_EEESV_SW_SX_S14_S18_S1A_T6_T7_T9_mT8_S1C_bDpT10_ENKUlT_T0_E_clISt17integral_constantIbLb1EES1P_EEDaS1K_S1L_EUlS1K_E_NS1_11comp_targetILNS1_3genE2ELNS1_11target_archE906ELNS1_3gpuE6ELNS1_3repE0EEENS1_30default_config_static_selectorELNS0_4arch9wavefront6targetE0EEEvSY_.num_agpr, 0
	.set _ZN7rocprim17ROCPRIM_400000_NS6detail17trampoline_kernelINS0_13select_configILj256ELj13ELNS0_17block_load_methodE3ELS4_3ELS4_3ELNS0_20block_scan_algorithmE0ELj4294967295EEENS1_25partition_config_selectorILNS1_17partition_subalgoE3EjNS0_10empty_typeEbEEZZNS1_14partition_implILS8_3ELb0ES6_jNS0_17counting_iteratorIjlEEPS9_SE_NS0_5tupleIJPjSE_EEENSF_IJSE_SE_EEES9_SG_JZNS1_25segmented_radix_sort_implINS0_14default_configELb0EPKaPaPKlPlN2at6native12_GLOBAL__N_18offset_tEEE10hipError_tPvRmT1_PNSt15iterator_traitsISY_E10value_typeET2_T3_PNSZ_IS14_E10value_typeET4_jRbjT5_S1A_jjP12ihipStream_tbEUljE_EEESV_SW_SX_S14_S18_S1A_T6_T7_T9_mT8_S1C_bDpT10_ENKUlT_T0_E_clISt17integral_constantIbLb1EES1P_EEDaS1K_S1L_EUlS1K_E_NS1_11comp_targetILNS1_3genE2ELNS1_11target_archE906ELNS1_3gpuE6ELNS1_3repE0EEENS1_30default_config_static_selectorELNS0_4arch9wavefront6targetE0EEEvSY_.numbered_sgpr, 0
	.set _ZN7rocprim17ROCPRIM_400000_NS6detail17trampoline_kernelINS0_13select_configILj256ELj13ELNS0_17block_load_methodE3ELS4_3ELS4_3ELNS0_20block_scan_algorithmE0ELj4294967295EEENS1_25partition_config_selectorILNS1_17partition_subalgoE3EjNS0_10empty_typeEbEEZZNS1_14partition_implILS8_3ELb0ES6_jNS0_17counting_iteratorIjlEEPS9_SE_NS0_5tupleIJPjSE_EEENSF_IJSE_SE_EEES9_SG_JZNS1_25segmented_radix_sort_implINS0_14default_configELb0EPKaPaPKlPlN2at6native12_GLOBAL__N_18offset_tEEE10hipError_tPvRmT1_PNSt15iterator_traitsISY_E10value_typeET2_T3_PNSZ_IS14_E10value_typeET4_jRbjT5_S1A_jjP12ihipStream_tbEUljE_EEESV_SW_SX_S14_S18_S1A_T6_T7_T9_mT8_S1C_bDpT10_ENKUlT_T0_E_clISt17integral_constantIbLb1EES1P_EEDaS1K_S1L_EUlS1K_E_NS1_11comp_targetILNS1_3genE2ELNS1_11target_archE906ELNS1_3gpuE6ELNS1_3repE0EEENS1_30default_config_static_selectorELNS0_4arch9wavefront6targetE0EEEvSY_.num_named_barrier, 0
	.set _ZN7rocprim17ROCPRIM_400000_NS6detail17trampoline_kernelINS0_13select_configILj256ELj13ELNS0_17block_load_methodE3ELS4_3ELS4_3ELNS0_20block_scan_algorithmE0ELj4294967295EEENS1_25partition_config_selectorILNS1_17partition_subalgoE3EjNS0_10empty_typeEbEEZZNS1_14partition_implILS8_3ELb0ES6_jNS0_17counting_iteratorIjlEEPS9_SE_NS0_5tupleIJPjSE_EEENSF_IJSE_SE_EEES9_SG_JZNS1_25segmented_radix_sort_implINS0_14default_configELb0EPKaPaPKlPlN2at6native12_GLOBAL__N_18offset_tEEE10hipError_tPvRmT1_PNSt15iterator_traitsISY_E10value_typeET2_T3_PNSZ_IS14_E10value_typeET4_jRbjT5_S1A_jjP12ihipStream_tbEUljE_EEESV_SW_SX_S14_S18_S1A_T6_T7_T9_mT8_S1C_bDpT10_ENKUlT_T0_E_clISt17integral_constantIbLb1EES1P_EEDaS1K_S1L_EUlS1K_E_NS1_11comp_targetILNS1_3genE2ELNS1_11target_archE906ELNS1_3gpuE6ELNS1_3repE0EEENS1_30default_config_static_selectorELNS0_4arch9wavefront6targetE0EEEvSY_.private_seg_size, 0
	.set _ZN7rocprim17ROCPRIM_400000_NS6detail17trampoline_kernelINS0_13select_configILj256ELj13ELNS0_17block_load_methodE3ELS4_3ELS4_3ELNS0_20block_scan_algorithmE0ELj4294967295EEENS1_25partition_config_selectorILNS1_17partition_subalgoE3EjNS0_10empty_typeEbEEZZNS1_14partition_implILS8_3ELb0ES6_jNS0_17counting_iteratorIjlEEPS9_SE_NS0_5tupleIJPjSE_EEENSF_IJSE_SE_EEES9_SG_JZNS1_25segmented_radix_sort_implINS0_14default_configELb0EPKaPaPKlPlN2at6native12_GLOBAL__N_18offset_tEEE10hipError_tPvRmT1_PNSt15iterator_traitsISY_E10value_typeET2_T3_PNSZ_IS14_E10value_typeET4_jRbjT5_S1A_jjP12ihipStream_tbEUljE_EEESV_SW_SX_S14_S18_S1A_T6_T7_T9_mT8_S1C_bDpT10_ENKUlT_T0_E_clISt17integral_constantIbLb1EES1P_EEDaS1K_S1L_EUlS1K_E_NS1_11comp_targetILNS1_3genE2ELNS1_11target_archE906ELNS1_3gpuE6ELNS1_3repE0EEENS1_30default_config_static_selectorELNS0_4arch9wavefront6targetE0EEEvSY_.uses_vcc, 0
	.set _ZN7rocprim17ROCPRIM_400000_NS6detail17trampoline_kernelINS0_13select_configILj256ELj13ELNS0_17block_load_methodE3ELS4_3ELS4_3ELNS0_20block_scan_algorithmE0ELj4294967295EEENS1_25partition_config_selectorILNS1_17partition_subalgoE3EjNS0_10empty_typeEbEEZZNS1_14partition_implILS8_3ELb0ES6_jNS0_17counting_iteratorIjlEEPS9_SE_NS0_5tupleIJPjSE_EEENSF_IJSE_SE_EEES9_SG_JZNS1_25segmented_radix_sort_implINS0_14default_configELb0EPKaPaPKlPlN2at6native12_GLOBAL__N_18offset_tEEE10hipError_tPvRmT1_PNSt15iterator_traitsISY_E10value_typeET2_T3_PNSZ_IS14_E10value_typeET4_jRbjT5_S1A_jjP12ihipStream_tbEUljE_EEESV_SW_SX_S14_S18_S1A_T6_T7_T9_mT8_S1C_bDpT10_ENKUlT_T0_E_clISt17integral_constantIbLb1EES1P_EEDaS1K_S1L_EUlS1K_E_NS1_11comp_targetILNS1_3genE2ELNS1_11target_archE906ELNS1_3gpuE6ELNS1_3repE0EEENS1_30default_config_static_selectorELNS0_4arch9wavefront6targetE0EEEvSY_.uses_flat_scratch, 0
	.set _ZN7rocprim17ROCPRIM_400000_NS6detail17trampoline_kernelINS0_13select_configILj256ELj13ELNS0_17block_load_methodE3ELS4_3ELS4_3ELNS0_20block_scan_algorithmE0ELj4294967295EEENS1_25partition_config_selectorILNS1_17partition_subalgoE3EjNS0_10empty_typeEbEEZZNS1_14partition_implILS8_3ELb0ES6_jNS0_17counting_iteratorIjlEEPS9_SE_NS0_5tupleIJPjSE_EEENSF_IJSE_SE_EEES9_SG_JZNS1_25segmented_radix_sort_implINS0_14default_configELb0EPKaPaPKlPlN2at6native12_GLOBAL__N_18offset_tEEE10hipError_tPvRmT1_PNSt15iterator_traitsISY_E10value_typeET2_T3_PNSZ_IS14_E10value_typeET4_jRbjT5_S1A_jjP12ihipStream_tbEUljE_EEESV_SW_SX_S14_S18_S1A_T6_T7_T9_mT8_S1C_bDpT10_ENKUlT_T0_E_clISt17integral_constantIbLb1EES1P_EEDaS1K_S1L_EUlS1K_E_NS1_11comp_targetILNS1_3genE2ELNS1_11target_archE906ELNS1_3gpuE6ELNS1_3repE0EEENS1_30default_config_static_selectorELNS0_4arch9wavefront6targetE0EEEvSY_.has_dyn_sized_stack, 0
	.set _ZN7rocprim17ROCPRIM_400000_NS6detail17trampoline_kernelINS0_13select_configILj256ELj13ELNS0_17block_load_methodE3ELS4_3ELS4_3ELNS0_20block_scan_algorithmE0ELj4294967295EEENS1_25partition_config_selectorILNS1_17partition_subalgoE3EjNS0_10empty_typeEbEEZZNS1_14partition_implILS8_3ELb0ES6_jNS0_17counting_iteratorIjlEEPS9_SE_NS0_5tupleIJPjSE_EEENSF_IJSE_SE_EEES9_SG_JZNS1_25segmented_radix_sort_implINS0_14default_configELb0EPKaPaPKlPlN2at6native12_GLOBAL__N_18offset_tEEE10hipError_tPvRmT1_PNSt15iterator_traitsISY_E10value_typeET2_T3_PNSZ_IS14_E10value_typeET4_jRbjT5_S1A_jjP12ihipStream_tbEUljE_EEESV_SW_SX_S14_S18_S1A_T6_T7_T9_mT8_S1C_bDpT10_ENKUlT_T0_E_clISt17integral_constantIbLb1EES1P_EEDaS1K_S1L_EUlS1K_E_NS1_11comp_targetILNS1_3genE2ELNS1_11target_archE906ELNS1_3gpuE6ELNS1_3repE0EEENS1_30default_config_static_selectorELNS0_4arch9wavefront6targetE0EEEvSY_.has_recursion, 0
	.set _ZN7rocprim17ROCPRIM_400000_NS6detail17trampoline_kernelINS0_13select_configILj256ELj13ELNS0_17block_load_methodE3ELS4_3ELS4_3ELNS0_20block_scan_algorithmE0ELj4294967295EEENS1_25partition_config_selectorILNS1_17partition_subalgoE3EjNS0_10empty_typeEbEEZZNS1_14partition_implILS8_3ELb0ES6_jNS0_17counting_iteratorIjlEEPS9_SE_NS0_5tupleIJPjSE_EEENSF_IJSE_SE_EEES9_SG_JZNS1_25segmented_radix_sort_implINS0_14default_configELb0EPKaPaPKlPlN2at6native12_GLOBAL__N_18offset_tEEE10hipError_tPvRmT1_PNSt15iterator_traitsISY_E10value_typeET2_T3_PNSZ_IS14_E10value_typeET4_jRbjT5_S1A_jjP12ihipStream_tbEUljE_EEESV_SW_SX_S14_S18_S1A_T6_T7_T9_mT8_S1C_bDpT10_ENKUlT_T0_E_clISt17integral_constantIbLb1EES1P_EEDaS1K_S1L_EUlS1K_E_NS1_11comp_targetILNS1_3genE2ELNS1_11target_archE906ELNS1_3gpuE6ELNS1_3repE0EEENS1_30default_config_static_selectorELNS0_4arch9wavefront6targetE0EEEvSY_.has_indirect_call, 0
	.section	.AMDGPU.csdata,"",@progbits
; Kernel info:
; codeLenInByte = 0
; TotalNumSgprs: 0
; NumVgprs: 0
; ScratchSize: 0
; MemoryBound: 0
; FloatMode: 240
; IeeeMode: 1
; LDSByteSize: 0 bytes/workgroup (compile time only)
; SGPRBlocks: 0
; VGPRBlocks: 0
; NumSGPRsForWavesPerEU: 1
; NumVGPRsForWavesPerEU: 1
; NamedBarCnt: 0
; Occupancy: 16
; WaveLimiterHint : 0
; COMPUTE_PGM_RSRC2:SCRATCH_EN: 0
; COMPUTE_PGM_RSRC2:USER_SGPR: 2
; COMPUTE_PGM_RSRC2:TRAP_HANDLER: 0
; COMPUTE_PGM_RSRC2:TGID_X_EN: 1
; COMPUTE_PGM_RSRC2:TGID_Y_EN: 0
; COMPUTE_PGM_RSRC2:TGID_Z_EN: 0
; COMPUTE_PGM_RSRC2:TIDIG_COMP_CNT: 0
	.section	.text._ZN7rocprim17ROCPRIM_400000_NS6detail17trampoline_kernelINS0_13select_configILj256ELj13ELNS0_17block_load_methodE3ELS4_3ELS4_3ELNS0_20block_scan_algorithmE0ELj4294967295EEENS1_25partition_config_selectorILNS1_17partition_subalgoE3EjNS0_10empty_typeEbEEZZNS1_14partition_implILS8_3ELb0ES6_jNS0_17counting_iteratorIjlEEPS9_SE_NS0_5tupleIJPjSE_EEENSF_IJSE_SE_EEES9_SG_JZNS1_25segmented_radix_sort_implINS0_14default_configELb0EPKaPaPKlPlN2at6native12_GLOBAL__N_18offset_tEEE10hipError_tPvRmT1_PNSt15iterator_traitsISY_E10value_typeET2_T3_PNSZ_IS14_E10value_typeET4_jRbjT5_S1A_jjP12ihipStream_tbEUljE_EEESV_SW_SX_S14_S18_S1A_T6_T7_T9_mT8_S1C_bDpT10_ENKUlT_T0_E_clISt17integral_constantIbLb1EES1P_EEDaS1K_S1L_EUlS1K_E_NS1_11comp_targetILNS1_3genE10ELNS1_11target_archE1200ELNS1_3gpuE4ELNS1_3repE0EEENS1_30default_config_static_selectorELNS0_4arch9wavefront6targetE0EEEvSY_,"axG",@progbits,_ZN7rocprim17ROCPRIM_400000_NS6detail17trampoline_kernelINS0_13select_configILj256ELj13ELNS0_17block_load_methodE3ELS4_3ELS4_3ELNS0_20block_scan_algorithmE0ELj4294967295EEENS1_25partition_config_selectorILNS1_17partition_subalgoE3EjNS0_10empty_typeEbEEZZNS1_14partition_implILS8_3ELb0ES6_jNS0_17counting_iteratorIjlEEPS9_SE_NS0_5tupleIJPjSE_EEENSF_IJSE_SE_EEES9_SG_JZNS1_25segmented_radix_sort_implINS0_14default_configELb0EPKaPaPKlPlN2at6native12_GLOBAL__N_18offset_tEEE10hipError_tPvRmT1_PNSt15iterator_traitsISY_E10value_typeET2_T3_PNSZ_IS14_E10value_typeET4_jRbjT5_S1A_jjP12ihipStream_tbEUljE_EEESV_SW_SX_S14_S18_S1A_T6_T7_T9_mT8_S1C_bDpT10_ENKUlT_T0_E_clISt17integral_constantIbLb1EES1P_EEDaS1K_S1L_EUlS1K_E_NS1_11comp_targetILNS1_3genE10ELNS1_11target_archE1200ELNS1_3gpuE4ELNS1_3repE0EEENS1_30default_config_static_selectorELNS0_4arch9wavefront6targetE0EEEvSY_,comdat
	.globl	_ZN7rocprim17ROCPRIM_400000_NS6detail17trampoline_kernelINS0_13select_configILj256ELj13ELNS0_17block_load_methodE3ELS4_3ELS4_3ELNS0_20block_scan_algorithmE0ELj4294967295EEENS1_25partition_config_selectorILNS1_17partition_subalgoE3EjNS0_10empty_typeEbEEZZNS1_14partition_implILS8_3ELb0ES6_jNS0_17counting_iteratorIjlEEPS9_SE_NS0_5tupleIJPjSE_EEENSF_IJSE_SE_EEES9_SG_JZNS1_25segmented_radix_sort_implINS0_14default_configELb0EPKaPaPKlPlN2at6native12_GLOBAL__N_18offset_tEEE10hipError_tPvRmT1_PNSt15iterator_traitsISY_E10value_typeET2_T3_PNSZ_IS14_E10value_typeET4_jRbjT5_S1A_jjP12ihipStream_tbEUljE_EEESV_SW_SX_S14_S18_S1A_T6_T7_T9_mT8_S1C_bDpT10_ENKUlT_T0_E_clISt17integral_constantIbLb1EES1P_EEDaS1K_S1L_EUlS1K_E_NS1_11comp_targetILNS1_3genE10ELNS1_11target_archE1200ELNS1_3gpuE4ELNS1_3repE0EEENS1_30default_config_static_selectorELNS0_4arch9wavefront6targetE0EEEvSY_ ; -- Begin function _ZN7rocprim17ROCPRIM_400000_NS6detail17trampoline_kernelINS0_13select_configILj256ELj13ELNS0_17block_load_methodE3ELS4_3ELS4_3ELNS0_20block_scan_algorithmE0ELj4294967295EEENS1_25partition_config_selectorILNS1_17partition_subalgoE3EjNS0_10empty_typeEbEEZZNS1_14partition_implILS8_3ELb0ES6_jNS0_17counting_iteratorIjlEEPS9_SE_NS0_5tupleIJPjSE_EEENSF_IJSE_SE_EEES9_SG_JZNS1_25segmented_radix_sort_implINS0_14default_configELb0EPKaPaPKlPlN2at6native12_GLOBAL__N_18offset_tEEE10hipError_tPvRmT1_PNSt15iterator_traitsISY_E10value_typeET2_T3_PNSZ_IS14_E10value_typeET4_jRbjT5_S1A_jjP12ihipStream_tbEUljE_EEESV_SW_SX_S14_S18_S1A_T6_T7_T9_mT8_S1C_bDpT10_ENKUlT_T0_E_clISt17integral_constantIbLb1EES1P_EEDaS1K_S1L_EUlS1K_E_NS1_11comp_targetILNS1_3genE10ELNS1_11target_archE1200ELNS1_3gpuE4ELNS1_3repE0EEENS1_30default_config_static_selectorELNS0_4arch9wavefront6targetE0EEEvSY_
	.p2align	8
	.type	_ZN7rocprim17ROCPRIM_400000_NS6detail17trampoline_kernelINS0_13select_configILj256ELj13ELNS0_17block_load_methodE3ELS4_3ELS4_3ELNS0_20block_scan_algorithmE0ELj4294967295EEENS1_25partition_config_selectorILNS1_17partition_subalgoE3EjNS0_10empty_typeEbEEZZNS1_14partition_implILS8_3ELb0ES6_jNS0_17counting_iteratorIjlEEPS9_SE_NS0_5tupleIJPjSE_EEENSF_IJSE_SE_EEES9_SG_JZNS1_25segmented_radix_sort_implINS0_14default_configELb0EPKaPaPKlPlN2at6native12_GLOBAL__N_18offset_tEEE10hipError_tPvRmT1_PNSt15iterator_traitsISY_E10value_typeET2_T3_PNSZ_IS14_E10value_typeET4_jRbjT5_S1A_jjP12ihipStream_tbEUljE_EEESV_SW_SX_S14_S18_S1A_T6_T7_T9_mT8_S1C_bDpT10_ENKUlT_T0_E_clISt17integral_constantIbLb1EES1P_EEDaS1K_S1L_EUlS1K_E_NS1_11comp_targetILNS1_3genE10ELNS1_11target_archE1200ELNS1_3gpuE4ELNS1_3repE0EEENS1_30default_config_static_selectorELNS0_4arch9wavefront6targetE0EEEvSY_,@function
_ZN7rocprim17ROCPRIM_400000_NS6detail17trampoline_kernelINS0_13select_configILj256ELj13ELNS0_17block_load_methodE3ELS4_3ELS4_3ELNS0_20block_scan_algorithmE0ELj4294967295EEENS1_25partition_config_selectorILNS1_17partition_subalgoE3EjNS0_10empty_typeEbEEZZNS1_14partition_implILS8_3ELb0ES6_jNS0_17counting_iteratorIjlEEPS9_SE_NS0_5tupleIJPjSE_EEENSF_IJSE_SE_EEES9_SG_JZNS1_25segmented_radix_sort_implINS0_14default_configELb0EPKaPaPKlPlN2at6native12_GLOBAL__N_18offset_tEEE10hipError_tPvRmT1_PNSt15iterator_traitsISY_E10value_typeET2_T3_PNSZ_IS14_E10value_typeET4_jRbjT5_S1A_jjP12ihipStream_tbEUljE_EEESV_SW_SX_S14_S18_S1A_T6_T7_T9_mT8_S1C_bDpT10_ENKUlT_T0_E_clISt17integral_constantIbLb1EES1P_EEDaS1K_S1L_EUlS1K_E_NS1_11comp_targetILNS1_3genE10ELNS1_11target_archE1200ELNS1_3gpuE4ELNS1_3repE0EEENS1_30default_config_static_selectorELNS0_4arch9wavefront6targetE0EEEvSY_: ; @_ZN7rocprim17ROCPRIM_400000_NS6detail17trampoline_kernelINS0_13select_configILj256ELj13ELNS0_17block_load_methodE3ELS4_3ELS4_3ELNS0_20block_scan_algorithmE0ELj4294967295EEENS1_25partition_config_selectorILNS1_17partition_subalgoE3EjNS0_10empty_typeEbEEZZNS1_14partition_implILS8_3ELb0ES6_jNS0_17counting_iteratorIjlEEPS9_SE_NS0_5tupleIJPjSE_EEENSF_IJSE_SE_EEES9_SG_JZNS1_25segmented_radix_sort_implINS0_14default_configELb0EPKaPaPKlPlN2at6native12_GLOBAL__N_18offset_tEEE10hipError_tPvRmT1_PNSt15iterator_traitsISY_E10value_typeET2_T3_PNSZ_IS14_E10value_typeET4_jRbjT5_S1A_jjP12ihipStream_tbEUljE_EEESV_SW_SX_S14_S18_S1A_T6_T7_T9_mT8_S1C_bDpT10_ENKUlT_T0_E_clISt17integral_constantIbLb1EES1P_EEDaS1K_S1L_EUlS1K_E_NS1_11comp_targetILNS1_3genE10ELNS1_11target_archE1200ELNS1_3gpuE4ELNS1_3repE0EEENS1_30default_config_static_selectorELNS0_4arch9wavefront6targetE0EEEvSY_
; %bb.0:
	.section	.rodata,"a",@progbits
	.p2align	6, 0x0
	.amdhsa_kernel _ZN7rocprim17ROCPRIM_400000_NS6detail17trampoline_kernelINS0_13select_configILj256ELj13ELNS0_17block_load_methodE3ELS4_3ELS4_3ELNS0_20block_scan_algorithmE0ELj4294967295EEENS1_25partition_config_selectorILNS1_17partition_subalgoE3EjNS0_10empty_typeEbEEZZNS1_14partition_implILS8_3ELb0ES6_jNS0_17counting_iteratorIjlEEPS9_SE_NS0_5tupleIJPjSE_EEENSF_IJSE_SE_EEES9_SG_JZNS1_25segmented_radix_sort_implINS0_14default_configELb0EPKaPaPKlPlN2at6native12_GLOBAL__N_18offset_tEEE10hipError_tPvRmT1_PNSt15iterator_traitsISY_E10value_typeET2_T3_PNSZ_IS14_E10value_typeET4_jRbjT5_S1A_jjP12ihipStream_tbEUljE_EEESV_SW_SX_S14_S18_S1A_T6_T7_T9_mT8_S1C_bDpT10_ENKUlT_T0_E_clISt17integral_constantIbLb1EES1P_EEDaS1K_S1L_EUlS1K_E_NS1_11comp_targetILNS1_3genE10ELNS1_11target_archE1200ELNS1_3gpuE4ELNS1_3repE0EEENS1_30default_config_static_selectorELNS0_4arch9wavefront6targetE0EEEvSY_
		.amdhsa_group_segment_fixed_size 0
		.amdhsa_private_segment_fixed_size 0
		.amdhsa_kernarg_size 152
		.amdhsa_user_sgpr_count 2
		.amdhsa_user_sgpr_dispatch_ptr 0
		.amdhsa_user_sgpr_queue_ptr 0
		.amdhsa_user_sgpr_kernarg_segment_ptr 1
		.amdhsa_user_sgpr_dispatch_id 0
		.amdhsa_user_sgpr_kernarg_preload_length 0
		.amdhsa_user_sgpr_kernarg_preload_offset 0
		.amdhsa_user_sgpr_private_segment_size 0
		.amdhsa_wavefront_size32 1
		.amdhsa_uses_dynamic_stack 0
		.amdhsa_enable_private_segment 0
		.amdhsa_system_sgpr_workgroup_id_x 1
		.amdhsa_system_sgpr_workgroup_id_y 0
		.amdhsa_system_sgpr_workgroup_id_z 0
		.amdhsa_system_sgpr_workgroup_info 0
		.amdhsa_system_vgpr_workitem_id 0
		.amdhsa_next_free_vgpr 1
		.amdhsa_next_free_sgpr 1
		.amdhsa_named_barrier_count 0
		.amdhsa_reserve_vcc 0
		.amdhsa_float_round_mode_32 0
		.amdhsa_float_round_mode_16_64 0
		.amdhsa_float_denorm_mode_32 3
		.amdhsa_float_denorm_mode_16_64 3
		.amdhsa_fp16_overflow 0
		.amdhsa_memory_ordered 1
		.amdhsa_forward_progress 1
		.amdhsa_inst_pref_size 0
		.amdhsa_round_robin_scheduling 0
		.amdhsa_exception_fp_ieee_invalid_op 0
		.amdhsa_exception_fp_denorm_src 0
		.amdhsa_exception_fp_ieee_div_zero 0
		.amdhsa_exception_fp_ieee_overflow 0
		.amdhsa_exception_fp_ieee_underflow 0
		.amdhsa_exception_fp_ieee_inexact 0
		.amdhsa_exception_int_div_zero 0
	.end_amdhsa_kernel
	.section	.text._ZN7rocprim17ROCPRIM_400000_NS6detail17trampoline_kernelINS0_13select_configILj256ELj13ELNS0_17block_load_methodE3ELS4_3ELS4_3ELNS0_20block_scan_algorithmE0ELj4294967295EEENS1_25partition_config_selectorILNS1_17partition_subalgoE3EjNS0_10empty_typeEbEEZZNS1_14partition_implILS8_3ELb0ES6_jNS0_17counting_iteratorIjlEEPS9_SE_NS0_5tupleIJPjSE_EEENSF_IJSE_SE_EEES9_SG_JZNS1_25segmented_radix_sort_implINS0_14default_configELb0EPKaPaPKlPlN2at6native12_GLOBAL__N_18offset_tEEE10hipError_tPvRmT1_PNSt15iterator_traitsISY_E10value_typeET2_T3_PNSZ_IS14_E10value_typeET4_jRbjT5_S1A_jjP12ihipStream_tbEUljE_EEESV_SW_SX_S14_S18_S1A_T6_T7_T9_mT8_S1C_bDpT10_ENKUlT_T0_E_clISt17integral_constantIbLb1EES1P_EEDaS1K_S1L_EUlS1K_E_NS1_11comp_targetILNS1_3genE10ELNS1_11target_archE1200ELNS1_3gpuE4ELNS1_3repE0EEENS1_30default_config_static_selectorELNS0_4arch9wavefront6targetE0EEEvSY_,"axG",@progbits,_ZN7rocprim17ROCPRIM_400000_NS6detail17trampoline_kernelINS0_13select_configILj256ELj13ELNS0_17block_load_methodE3ELS4_3ELS4_3ELNS0_20block_scan_algorithmE0ELj4294967295EEENS1_25partition_config_selectorILNS1_17partition_subalgoE3EjNS0_10empty_typeEbEEZZNS1_14partition_implILS8_3ELb0ES6_jNS0_17counting_iteratorIjlEEPS9_SE_NS0_5tupleIJPjSE_EEENSF_IJSE_SE_EEES9_SG_JZNS1_25segmented_radix_sort_implINS0_14default_configELb0EPKaPaPKlPlN2at6native12_GLOBAL__N_18offset_tEEE10hipError_tPvRmT1_PNSt15iterator_traitsISY_E10value_typeET2_T3_PNSZ_IS14_E10value_typeET4_jRbjT5_S1A_jjP12ihipStream_tbEUljE_EEESV_SW_SX_S14_S18_S1A_T6_T7_T9_mT8_S1C_bDpT10_ENKUlT_T0_E_clISt17integral_constantIbLb1EES1P_EEDaS1K_S1L_EUlS1K_E_NS1_11comp_targetILNS1_3genE10ELNS1_11target_archE1200ELNS1_3gpuE4ELNS1_3repE0EEENS1_30default_config_static_selectorELNS0_4arch9wavefront6targetE0EEEvSY_,comdat
.Lfunc_end371:
	.size	_ZN7rocprim17ROCPRIM_400000_NS6detail17trampoline_kernelINS0_13select_configILj256ELj13ELNS0_17block_load_methodE3ELS4_3ELS4_3ELNS0_20block_scan_algorithmE0ELj4294967295EEENS1_25partition_config_selectorILNS1_17partition_subalgoE3EjNS0_10empty_typeEbEEZZNS1_14partition_implILS8_3ELb0ES6_jNS0_17counting_iteratorIjlEEPS9_SE_NS0_5tupleIJPjSE_EEENSF_IJSE_SE_EEES9_SG_JZNS1_25segmented_radix_sort_implINS0_14default_configELb0EPKaPaPKlPlN2at6native12_GLOBAL__N_18offset_tEEE10hipError_tPvRmT1_PNSt15iterator_traitsISY_E10value_typeET2_T3_PNSZ_IS14_E10value_typeET4_jRbjT5_S1A_jjP12ihipStream_tbEUljE_EEESV_SW_SX_S14_S18_S1A_T6_T7_T9_mT8_S1C_bDpT10_ENKUlT_T0_E_clISt17integral_constantIbLb1EES1P_EEDaS1K_S1L_EUlS1K_E_NS1_11comp_targetILNS1_3genE10ELNS1_11target_archE1200ELNS1_3gpuE4ELNS1_3repE0EEENS1_30default_config_static_selectorELNS0_4arch9wavefront6targetE0EEEvSY_, .Lfunc_end371-_ZN7rocprim17ROCPRIM_400000_NS6detail17trampoline_kernelINS0_13select_configILj256ELj13ELNS0_17block_load_methodE3ELS4_3ELS4_3ELNS0_20block_scan_algorithmE0ELj4294967295EEENS1_25partition_config_selectorILNS1_17partition_subalgoE3EjNS0_10empty_typeEbEEZZNS1_14partition_implILS8_3ELb0ES6_jNS0_17counting_iteratorIjlEEPS9_SE_NS0_5tupleIJPjSE_EEENSF_IJSE_SE_EEES9_SG_JZNS1_25segmented_radix_sort_implINS0_14default_configELb0EPKaPaPKlPlN2at6native12_GLOBAL__N_18offset_tEEE10hipError_tPvRmT1_PNSt15iterator_traitsISY_E10value_typeET2_T3_PNSZ_IS14_E10value_typeET4_jRbjT5_S1A_jjP12ihipStream_tbEUljE_EEESV_SW_SX_S14_S18_S1A_T6_T7_T9_mT8_S1C_bDpT10_ENKUlT_T0_E_clISt17integral_constantIbLb1EES1P_EEDaS1K_S1L_EUlS1K_E_NS1_11comp_targetILNS1_3genE10ELNS1_11target_archE1200ELNS1_3gpuE4ELNS1_3repE0EEENS1_30default_config_static_selectorELNS0_4arch9wavefront6targetE0EEEvSY_
                                        ; -- End function
	.set _ZN7rocprim17ROCPRIM_400000_NS6detail17trampoline_kernelINS0_13select_configILj256ELj13ELNS0_17block_load_methodE3ELS4_3ELS4_3ELNS0_20block_scan_algorithmE0ELj4294967295EEENS1_25partition_config_selectorILNS1_17partition_subalgoE3EjNS0_10empty_typeEbEEZZNS1_14partition_implILS8_3ELb0ES6_jNS0_17counting_iteratorIjlEEPS9_SE_NS0_5tupleIJPjSE_EEENSF_IJSE_SE_EEES9_SG_JZNS1_25segmented_radix_sort_implINS0_14default_configELb0EPKaPaPKlPlN2at6native12_GLOBAL__N_18offset_tEEE10hipError_tPvRmT1_PNSt15iterator_traitsISY_E10value_typeET2_T3_PNSZ_IS14_E10value_typeET4_jRbjT5_S1A_jjP12ihipStream_tbEUljE_EEESV_SW_SX_S14_S18_S1A_T6_T7_T9_mT8_S1C_bDpT10_ENKUlT_T0_E_clISt17integral_constantIbLb1EES1P_EEDaS1K_S1L_EUlS1K_E_NS1_11comp_targetILNS1_3genE10ELNS1_11target_archE1200ELNS1_3gpuE4ELNS1_3repE0EEENS1_30default_config_static_selectorELNS0_4arch9wavefront6targetE0EEEvSY_.num_vgpr, 0
	.set _ZN7rocprim17ROCPRIM_400000_NS6detail17trampoline_kernelINS0_13select_configILj256ELj13ELNS0_17block_load_methodE3ELS4_3ELS4_3ELNS0_20block_scan_algorithmE0ELj4294967295EEENS1_25partition_config_selectorILNS1_17partition_subalgoE3EjNS0_10empty_typeEbEEZZNS1_14partition_implILS8_3ELb0ES6_jNS0_17counting_iteratorIjlEEPS9_SE_NS0_5tupleIJPjSE_EEENSF_IJSE_SE_EEES9_SG_JZNS1_25segmented_radix_sort_implINS0_14default_configELb0EPKaPaPKlPlN2at6native12_GLOBAL__N_18offset_tEEE10hipError_tPvRmT1_PNSt15iterator_traitsISY_E10value_typeET2_T3_PNSZ_IS14_E10value_typeET4_jRbjT5_S1A_jjP12ihipStream_tbEUljE_EEESV_SW_SX_S14_S18_S1A_T6_T7_T9_mT8_S1C_bDpT10_ENKUlT_T0_E_clISt17integral_constantIbLb1EES1P_EEDaS1K_S1L_EUlS1K_E_NS1_11comp_targetILNS1_3genE10ELNS1_11target_archE1200ELNS1_3gpuE4ELNS1_3repE0EEENS1_30default_config_static_selectorELNS0_4arch9wavefront6targetE0EEEvSY_.num_agpr, 0
	.set _ZN7rocprim17ROCPRIM_400000_NS6detail17trampoline_kernelINS0_13select_configILj256ELj13ELNS0_17block_load_methodE3ELS4_3ELS4_3ELNS0_20block_scan_algorithmE0ELj4294967295EEENS1_25partition_config_selectorILNS1_17partition_subalgoE3EjNS0_10empty_typeEbEEZZNS1_14partition_implILS8_3ELb0ES6_jNS0_17counting_iteratorIjlEEPS9_SE_NS0_5tupleIJPjSE_EEENSF_IJSE_SE_EEES9_SG_JZNS1_25segmented_radix_sort_implINS0_14default_configELb0EPKaPaPKlPlN2at6native12_GLOBAL__N_18offset_tEEE10hipError_tPvRmT1_PNSt15iterator_traitsISY_E10value_typeET2_T3_PNSZ_IS14_E10value_typeET4_jRbjT5_S1A_jjP12ihipStream_tbEUljE_EEESV_SW_SX_S14_S18_S1A_T6_T7_T9_mT8_S1C_bDpT10_ENKUlT_T0_E_clISt17integral_constantIbLb1EES1P_EEDaS1K_S1L_EUlS1K_E_NS1_11comp_targetILNS1_3genE10ELNS1_11target_archE1200ELNS1_3gpuE4ELNS1_3repE0EEENS1_30default_config_static_selectorELNS0_4arch9wavefront6targetE0EEEvSY_.numbered_sgpr, 0
	.set _ZN7rocprim17ROCPRIM_400000_NS6detail17trampoline_kernelINS0_13select_configILj256ELj13ELNS0_17block_load_methodE3ELS4_3ELS4_3ELNS0_20block_scan_algorithmE0ELj4294967295EEENS1_25partition_config_selectorILNS1_17partition_subalgoE3EjNS0_10empty_typeEbEEZZNS1_14partition_implILS8_3ELb0ES6_jNS0_17counting_iteratorIjlEEPS9_SE_NS0_5tupleIJPjSE_EEENSF_IJSE_SE_EEES9_SG_JZNS1_25segmented_radix_sort_implINS0_14default_configELb0EPKaPaPKlPlN2at6native12_GLOBAL__N_18offset_tEEE10hipError_tPvRmT1_PNSt15iterator_traitsISY_E10value_typeET2_T3_PNSZ_IS14_E10value_typeET4_jRbjT5_S1A_jjP12ihipStream_tbEUljE_EEESV_SW_SX_S14_S18_S1A_T6_T7_T9_mT8_S1C_bDpT10_ENKUlT_T0_E_clISt17integral_constantIbLb1EES1P_EEDaS1K_S1L_EUlS1K_E_NS1_11comp_targetILNS1_3genE10ELNS1_11target_archE1200ELNS1_3gpuE4ELNS1_3repE0EEENS1_30default_config_static_selectorELNS0_4arch9wavefront6targetE0EEEvSY_.num_named_barrier, 0
	.set _ZN7rocprim17ROCPRIM_400000_NS6detail17trampoline_kernelINS0_13select_configILj256ELj13ELNS0_17block_load_methodE3ELS4_3ELS4_3ELNS0_20block_scan_algorithmE0ELj4294967295EEENS1_25partition_config_selectorILNS1_17partition_subalgoE3EjNS0_10empty_typeEbEEZZNS1_14partition_implILS8_3ELb0ES6_jNS0_17counting_iteratorIjlEEPS9_SE_NS0_5tupleIJPjSE_EEENSF_IJSE_SE_EEES9_SG_JZNS1_25segmented_radix_sort_implINS0_14default_configELb0EPKaPaPKlPlN2at6native12_GLOBAL__N_18offset_tEEE10hipError_tPvRmT1_PNSt15iterator_traitsISY_E10value_typeET2_T3_PNSZ_IS14_E10value_typeET4_jRbjT5_S1A_jjP12ihipStream_tbEUljE_EEESV_SW_SX_S14_S18_S1A_T6_T7_T9_mT8_S1C_bDpT10_ENKUlT_T0_E_clISt17integral_constantIbLb1EES1P_EEDaS1K_S1L_EUlS1K_E_NS1_11comp_targetILNS1_3genE10ELNS1_11target_archE1200ELNS1_3gpuE4ELNS1_3repE0EEENS1_30default_config_static_selectorELNS0_4arch9wavefront6targetE0EEEvSY_.private_seg_size, 0
	.set _ZN7rocprim17ROCPRIM_400000_NS6detail17trampoline_kernelINS0_13select_configILj256ELj13ELNS0_17block_load_methodE3ELS4_3ELS4_3ELNS0_20block_scan_algorithmE0ELj4294967295EEENS1_25partition_config_selectorILNS1_17partition_subalgoE3EjNS0_10empty_typeEbEEZZNS1_14partition_implILS8_3ELb0ES6_jNS0_17counting_iteratorIjlEEPS9_SE_NS0_5tupleIJPjSE_EEENSF_IJSE_SE_EEES9_SG_JZNS1_25segmented_radix_sort_implINS0_14default_configELb0EPKaPaPKlPlN2at6native12_GLOBAL__N_18offset_tEEE10hipError_tPvRmT1_PNSt15iterator_traitsISY_E10value_typeET2_T3_PNSZ_IS14_E10value_typeET4_jRbjT5_S1A_jjP12ihipStream_tbEUljE_EEESV_SW_SX_S14_S18_S1A_T6_T7_T9_mT8_S1C_bDpT10_ENKUlT_T0_E_clISt17integral_constantIbLb1EES1P_EEDaS1K_S1L_EUlS1K_E_NS1_11comp_targetILNS1_3genE10ELNS1_11target_archE1200ELNS1_3gpuE4ELNS1_3repE0EEENS1_30default_config_static_selectorELNS0_4arch9wavefront6targetE0EEEvSY_.uses_vcc, 0
	.set _ZN7rocprim17ROCPRIM_400000_NS6detail17trampoline_kernelINS0_13select_configILj256ELj13ELNS0_17block_load_methodE3ELS4_3ELS4_3ELNS0_20block_scan_algorithmE0ELj4294967295EEENS1_25partition_config_selectorILNS1_17partition_subalgoE3EjNS0_10empty_typeEbEEZZNS1_14partition_implILS8_3ELb0ES6_jNS0_17counting_iteratorIjlEEPS9_SE_NS0_5tupleIJPjSE_EEENSF_IJSE_SE_EEES9_SG_JZNS1_25segmented_radix_sort_implINS0_14default_configELb0EPKaPaPKlPlN2at6native12_GLOBAL__N_18offset_tEEE10hipError_tPvRmT1_PNSt15iterator_traitsISY_E10value_typeET2_T3_PNSZ_IS14_E10value_typeET4_jRbjT5_S1A_jjP12ihipStream_tbEUljE_EEESV_SW_SX_S14_S18_S1A_T6_T7_T9_mT8_S1C_bDpT10_ENKUlT_T0_E_clISt17integral_constantIbLb1EES1P_EEDaS1K_S1L_EUlS1K_E_NS1_11comp_targetILNS1_3genE10ELNS1_11target_archE1200ELNS1_3gpuE4ELNS1_3repE0EEENS1_30default_config_static_selectorELNS0_4arch9wavefront6targetE0EEEvSY_.uses_flat_scratch, 0
	.set _ZN7rocprim17ROCPRIM_400000_NS6detail17trampoline_kernelINS0_13select_configILj256ELj13ELNS0_17block_load_methodE3ELS4_3ELS4_3ELNS0_20block_scan_algorithmE0ELj4294967295EEENS1_25partition_config_selectorILNS1_17partition_subalgoE3EjNS0_10empty_typeEbEEZZNS1_14partition_implILS8_3ELb0ES6_jNS0_17counting_iteratorIjlEEPS9_SE_NS0_5tupleIJPjSE_EEENSF_IJSE_SE_EEES9_SG_JZNS1_25segmented_radix_sort_implINS0_14default_configELb0EPKaPaPKlPlN2at6native12_GLOBAL__N_18offset_tEEE10hipError_tPvRmT1_PNSt15iterator_traitsISY_E10value_typeET2_T3_PNSZ_IS14_E10value_typeET4_jRbjT5_S1A_jjP12ihipStream_tbEUljE_EEESV_SW_SX_S14_S18_S1A_T6_T7_T9_mT8_S1C_bDpT10_ENKUlT_T0_E_clISt17integral_constantIbLb1EES1P_EEDaS1K_S1L_EUlS1K_E_NS1_11comp_targetILNS1_3genE10ELNS1_11target_archE1200ELNS1_3gpuE4ELNS1_3repE0EEENS1_30default_config_static_selectorELNS0_4arch9wavefront6targetE0EEEvSY_.has_dyn_sized_stack, 0
	.set _ZN7rocprim17ROCPRIM_400000_NS6detail17trampoline_kernelINS0_13select_configILj256ELj13ELNS0_17block_load_methodE3ELS4_3ELS4_3ELNS0_20block_scan_algorithmE0ELj4294967295EEENS1_25partition_config_selectorILNS1_17partition_subalgoE3EjNS0_10empty_typeEbEEZZNS1_14partition_implILS8_3ELb0ES6_jNS0_17counting_iteratorIjlEEPS9_SE_NS0_5tupleIJPjSE_EEENSF_IJSE_SE_EEES9_SG_JZNS1_25segmented_radix_sort_implINS0_14default_configELb0EPKaPaPKlPlN2at6native12_GLOBAL__N_18offset_tEEE10hipError_tPvRmT1_PNSt15iterator_traitsISY_E10value_typeET2_T3_PNSZ_IS14_E10value_typeET4_jRbjT5_S1A_jjP12ihipStream_tbEUljE_EEESV_SW_SX_S14_S18_S1A_T6_T7_T9_mT8_S1C_bDpT10_ENKUlT_T0_E_clISt17integral_constantIbLb1EES1P_EEDaS1K_S1L_EUlS1K_E_NS1_11comp_targetILNS1_3genE10ELNS1_11target_archE1200ELNS1_3gpuE4ELNS1_3repE0EEENS1_30default_config_static_selectorELNS0_4arch9wavefront6targetE0EEEvSY_.has_recursion, 0
	.set _ZN7rocprim17ROCPRIM_400000_NS6detail17trampoline_kernelINS0_13select_configILj256ELj13ELNS0_17block_load_methodE3ELS4_3ELS4_3ELNS0_20block_scan_algorithmE0ELj4294967295EEENS1_25partition_config_selectorILNS1_17partition_subalgoE3EjNS0_10empty_typeEbEEZZNS1_14partition_implILS8_3ELb0ES6_jNS0_17counting_iteratorIjlEEPS9_SE_NS0_5tupleIJPjSE_EEENSF_IJSE_SE_EEES9_SG_JZNS1_25segmented_radix_sort_implINS0_14default_configELb0EPKaPaPKlPlN2at6native12_GLOBAL__N_18offset_tEEE10hipError_tPvRmT1_PNSt15iterator_traitsISY_E10value_typeET2_T3_PNSZ_IS14_E10value_typeET4_jRbjT5_S1A_jjP12ihipStream_tbEUljE_EEESV_SW_SX_S14_S18_S1A_T6_T7_T9_mT8_S1C_bDpT10_ENKUlT_T0_E_clISt17integral_constantIbLb1EES1P_EEDaS1K_S1L_EUlS1K_E_NS1_11comp_targetILNS1_3genE10ELNS1_11target_archE1200ELNS1_3gpuE4ELNS1_3repE0EEENS1_30default_config_static_selectorELNS0_4arch9wavefront6targetE0EEEvSY_.has_indirect_call, 0
	.section	.AMDGPU.csdata,"",@progbits
; Kernel info:
; codeLenInByte = 0
; TotalNumSgprs: 0
; NumVgprs: 0
; ScratchSize: 0
; MemoryBound: 0
; FloatMode: 240
; IeeeMode: 1
; LDSByteSize: 0 bytes/workgroup (compile time only)
; SGPRBlocks: 0
; VGPRBlocks: 0
; NumSGPRsForWavesPerEU: 1
; NumVGPRsForWavesPerEU: 1
; NamedBarCnt: 0
; Occupancy: 16
; WaveLimiterHint : 0
; COMPUTE_PGM_RSRC2:SCRATCH_EN: 0
; COMPUTE_PGM_RSRC2:USER_SGPR: 2
; COMPUTE_PGM_RSRC2:TRAP_HANDLER: 0
; COMPUTE_PGM_RSRC2:TGID_X_EN: 1
; COMPUTE_PGM_RSRC2:TGID_Y_EN: 0
; COMPUTE_PGM_RSRC2:TGID_Z_EN: 0
; COMPUTE_PGM_RSRC2:TIDIG_COMP_CNT: 0
	.section	.text._ZN7rocprim17ROCPRIM_400000_NS6detail17trampoline_kernelINS0_13select_configILj256ELj13ELNS0_17block_load_methodE3ELS4_3ELS4_3ELNS0_20block_scan_algorithmE0ELj4294967295EEENS1_25partition_config_selectorILNS1_17partition_subalgoE3EjNS0_10empty_typeEbEEZZNS1_14partition_implILS8_3ELb0ES6_jNS0_17counting_iteratorIjlEEPS9_SE_NS0_5tupleIJPjSE_EEENSF_IJSE_SE_EEES9_SG_JZNS1_25segmented_radix_sort_implINS0_14default_configELb0EPKaPaPKlPlN2at6native12_GLOBAL__N_18offset_tEEE10hipError_tPvRmT1_PNSt15iterator_traitsISY_E10value_typeET2_T3_PNSZ_IS14_E10value_typeET4_jRbjT5_S1A_jjP12ihipStream_tbEUljE_EEESV_SW_SX_S14_S18_S1A_T6_T7_T9_mT8_S1C_bDpT10_ENKUlT_T0_E_clISt17integral_constantIbLb1EES1P_EEDaS1K_S1L_EUlS1K_E_NS1_11comp_targetILNS1_3genE9ELNS1_11target_archE1100ELNS1_3gpuE3ELNS1_3repE0EEENS1_30default_config_static_selectorELNS0_4arch9wavefront6targetE0EEEvSY_,"axG",@progbits,_ZN7rocprim17ROCPRIM_400000_NS6detail17trampoline_kernelINS0_13select_configILj256ELj13ELNS0_17block_load_methodE3ELS4_3ELS4_3ELNS0_20block_scan_algorithmE0ELj4294967295EEENS1_25partition_config_selectorILNS1_17partition_subalgoE3EjNS0_10empty_typeEbEEZZNS1_14partition_implILS8_3ELb0ES6_jNS0_17counting_iteratorIjlEEPS9_SE_NS0_5tupleIJPjSE_EEENSF_IJSE_SE_EEES9_SG_JZNS1_25segmented_radix_sort_implINS0_14default_configELb0EPKaPaPKlPlN2at6native12_GLOBAL__N_18offset_tEEE10hipError_tPvRmT1_PNSt15iterator_traitsISY_E10value_typeET2_T3_PNSZ_IS14_E10value_typeET4_jRbjT5_S1A_jjP12ihipStream_tbEUljE_EEESV_SW_SX_S14_S18_S1A_T6_T7_T9_mT8_S1C_bDpT10_ENKUlT_T0_E_clISt17integral_constantIbLb1EES1P_EEDaS1K_S1L_EUlS1K_E_NS1_11comp_targetILNS1_3genE9ELNS1_11target_archE1100ELNS1_3gpuE3ELNS1_3repE0EEENS1_30default_config_static_selectorELNS0_4arch9wavefront6targetE0EEEvSY_,comdat
	.globl	_ZN7rocprim17ROCPRIM_400000_NS6detail17trampoline_kernelINS0_13select_configILj256ELj13ELNS0_17block_load_methodE3ELS4_3ELS4_3ELNS0_20block_scan_algorithmE0ELj4294967295EEENS1_25partition_config_selectorILNS1_17partition_subalgoE3EjNS0_10empty_typeEbEEZZNS1_14partition_implILS8_3ELb0ES6_jNS0_17counting_iteratorIjlEEPS9_SE_NS0_5tupleIJPjSE_EEENSF_IJSE_SE_EEES9_SG_JZNS1_25segmented_radix_sort_implINS0_14default_configELb0EPKaPaPKlPlN2at6native12_GLOBAL__N_18offset_tEEE10hipError_tPvRmT1_PNSt15iterator_traitsISY_E10value_typeET2_T3_PNSZ_IS14_E10value_typeET4_jRbjT5_S1A_jjP12ihipStream_tbEUljE_EEESV_SW_SX_S14_S18_S1A_T6_T7_T9_mT8_S1C_bDpT10_ENKUlT_T0_E_clISt17integral_constantIbLb1EES1P_EEDaS1K_S1L_EUlS1K_E_NS1_11comp_targetILNS1_3genE9ELNS1_11target_archE1100ELNS1_3gpuE3ELNS1_3repE0EEENS1_30default_config_static_selectorELNS0_4arch9wavefront6targetE0EEEvSY_ ; -- Begin function _ZN7rocprim17ROCPRIM_400000_NS6detail17trampoline_kernelINS0_13select_configILj256ELj13ELNS0_17block_load_methodE3ELS4_3ELS4_3ELNS0_20block_scan_algorithmE0ELj4294967295EEENS1_25partition_config_selectorILNS1_17partition_subalgoE3EjNS0_10empty_typeEbEEZZNS1_14partition_implILS8_3ELb0ES6_jNS0_17counting_iteratorIjlEEPS9_SE_NS0_5tupleIJPjSE_EEENSF_IJSE_SE_EEES9_SG_JZNS1_25segmented_radix_sort_implINS0_14default_configELb0EPKaPaPKlPlN2at6native12_GLOBAL__N_18offset_tEEE10hipError_tPvRmT1_PNSt15iterator_traitsISY_E10value_typeET2_T3_PNSZ_IS14_E10value_typeET4_jRbjT5_S1A_jjP12ihipStream_tbEUljE_EEESV_SW_SX_S14_S18_S1A_T6_T7_T9_mT8_S1C_bDpT10_ENKUlT_T0_E_clISt17integral_constantIbLb1EES1P_EEDaS1K_S1L_EUlS1K_E_NS1_11comp_targetILNS1_3genE9ELNS1_11target_archE1100ELNS1_3gpuE3ELNS1_3repE0EEENS1_30default_config_static_selectorELNS0_4arch9wavefront6targetE0EEEvSY_
	.p2align	8
	.type	_ZN7rocprim17ROCPRIM_400000_NS6detail17trampoline_kernelINS0_13select_configILj256ELj13ELNS0_17block_load_methodE3ELS4_3ELS4_3ELNS0_20block_scan_algorithmE0ELj4294967295EEENS1_25partition_config_selectorILNS1_17partition_subalgoE3EjNS0_10empty_typeEbEEZZNS1_14partition_implILS8_3ELb0ES6_jNS0_17counting_iteratorIjlEEPS9_SE_NS0_5tupleIJPjSE_EEENSF_IJSE_SE_EEES9_SG_JZNS1_25segmented_radix_sort_implINS0_14default_configELb0EPKaPaPKlPlN2at6native12_GLOBAL__N_18offset_tEEE10hipError_tPvRmT1_PNSt15iterator_traitsISY_E10value_typeET2_T3_PNSZ_IS14_E10value_typeET4_jRbjT5_S1A_jjP12ihipStream_tbEUljE_EEESV_SW_SX_S14_S18_S1A_T6_T7_T9_mT8_S1C_bDpT10_ENKUlT_T0_E_clISt17integral_constantIbLb1EES1P_EEDaS1K_S1L_EUlS1K_E_NS1_11comp_targetILNS1_3genE9ELNS1_11target_archE1100ELNS1_3gpuE3ELNS1_3repE0EEENS1_30default_config_static_selectorELNS0_4arch9wavefront6targetE0EEEvSY_,@function
_ZN7rocprim17ROCPRIM_400000_NS6detail17trampoline_kernelINS0_13select_configILj256ELj13ELNS0_17block_load_methodE3ELS4_3ELS4_3ELNS0_20block_scan_algorithmE0ELj4294967295EEENS1_25partition_config_selectorILNS1_17partition_subalgoE3EjNS0_10empty_typeEbEEZZNS1_14partition_implILS8_3ELb0ES6_jNS0_17counting_iteratorIjlEEPS9_SE_NS0_5tupleIJPjSE_EEENSF_IJSE_SE_EEES9_SG_JZNS1_25segmented_radix_sort_implINS0_14default_configELb0EPKaPaPKlPlN2at6native12_GLOBAL__N_18offset_tEEE10hipError_tPvRmT1_PNSt15iterator_traitsISY_E10value_typeET2_T3_PNSZ_IS14_E10value_typeET4_jRbjT5_S1A_jjP12ihipStream_tbEUljE_EEESV_SW_SX_S14_S18_S1A_T6_T7_T9_mT8_S1C_bDpT10_ENKUlT_T0_E_clISt17integral_constantIbLb1EES1P_EEDaS1K_S1L_EUlS1K_E_NS1_11comp_targetILNS1_3genE9ELNS1_11target_archE1100ELNS1_3gpuE3ELNS1_3repE0EEENS1_30default_config_static_selectorELNS0_4arch9wavefront6targetE0EEEvSY_: ; @_ZN7rocprim17ROCPRIM_400000_NS6detail17trampoline_kernelINS0_13select_configILj256ELj13ELNS0_17block_load_methodE3ELS4_3ELS4_3ELNS0_20block_scan_algorithmE0ELj4294967295EEENS1_25partition_config_selectorILNS1_17partition_subalgoE3EjNS0_10empty_typeEbEEZZNS1_14partition_implILS8_3ELb0ES6_jNS0_17counting_iteratorIjlEEPS9_SE_NS0_5tupleIJPjSE_EEENSF_IJSE_SE_EEES9_SG_JZNS1_25segmented_radix_sort_implINS0_14default_configELb0EPKaPaPKlPlN2at6native12_GLOBAL__N_18offset_tEEE10hipError_tPvRmT1_PNSt15iterator_traitsISY_E10value_typeET2_T3_PNSZ_IS14_E10value_typeET4_jRbjT5_S1A_jjP12ihipStream_tbEUljE_EEESV_SW_SX_S14_S18_S1A_T6_T7_T9_mT8_S1C_bDpT10_ENKUlT_T0_E_clISt17integral_constantIbLb1EES1P_EEDaS1K_S1L_EUlS1K_E_NS1_11comp_targetILNS1_3genE9ELNS1_11target_archE1100ELNS1_3gpuE3ELNS1_3repE0EEENS1_30default_config_static_selectorELNS0_4arch9wavefront6targetE0EEEvSY_
; %bb.0:
	.section	.rodata,"a",@progbits
	.p2align	6, 0x0
	.amdhsa_kernel _ZN7rocprim17ROCPRIM_400000_NS6detail17trampoline_kernelINS0_13select_configILj256ELj13ELNS0_17block_load_methodE3ELS4_3ELS4_3ELNS0_20block_scan_algorithmE0ELj4294967295EEENS1_25partition_config_selectorILNS1_17partition_subalgoE3EjNS0_10empty_typeEbEEZZNS1_14partition_implILS8_3ELb0ES6_jNS0_17counting_iteratorIjlEEPS9_SE_NS0_5tupleIJPjSE_EEENSF_IJSE_SE_EEES9_SG_JZNS1_25segmented_radix_sort_implINS0_14default_configELb0EPKaPaPKlPlN2at6native12_GLOBAL__N_18offset_tEEE10hipError_tPvRmT1_PNSt15iterator_traitsISY_E10value_typeET2_T3_PNSZ_IS14_E10value_typeET4_jRbjT5_S1A_jjP12ihipStream_tbEUljE_EEESV_SW_SX_S14_S18_S1A_T6_T7_T9_mT8_S1C_bDpT10_ENKUlT_T0_E_clISt17integral_constantIbLb1EES1P_EEDaS1K_S1L_EUlS1K_E_NS1_11comp_targetILNS1_3genE9ELNS1_11target_archE1100ELNS1_3gpuE3ELNS1_3repE0EEENS1_30default_config_static_selectorELNS0_4arch9wavefront6targetE0EEEvSY_
		.amdhsa_group_segment_fixed_size 0
		.amdhsa_private_segment_fixed_size 0
		.amdhsa_kernarg_size 152
		.amdhsa_user_sgpr_count 2
		.amdhsa_user_sgpr_dispatch_ptr 0
		.amdhsa_user_sgpr_queue_ptr 0
		.amdhsa_user_sgpr_kernarg_segment_ptr 1
		.amdhsa_user_sgpr_dispatch_id 0
		.amdhsa_user_sgpr_kernarg_preload_length 0
		.amdhsa_user_sgpr_kernarg_preload_offset 0
		.amdhsa_user_sgpr_private_segment_size 0
		.amdhsa_wavefront_size32 1
		.amdhsa_uses_dynamic_stack 0
		.amdhsa_enable_private_segment 0
		.amdhsa_system_sgpr_workgroup_id_x 1
		.amdhsa_system_sgpr_workgroup_id_y 0
		.amdhsa_system_sgpr_workgroup_id_z 0
		.amdhsa_system_sgpr_workgroup_info 0
		.amdhsa_system_vgpr_workitem_id 0
		.amdhsa_next_free_vgpr 1
		.amdhsa_next_free_sgpr 1
		.amdhsa_named_barrier_count 0
		.amdhsa_reserve_vcc 0
		.amdhsa_float_round_mode_32 0
		.amdhsa_float_round_mode_16_64 0
		.amdhsa_float_denorm_mode_32 3
		.amdhsa_float_denorm_mode_16_64 3
		.amdhsa_fp16_overflow 0
		.amdhsa_memory_ordered 1
		.amdhsa_forward_progress 1
		.amdhsa_inst_pref_size 0
		.amdhsa_round_robin_scheduling 0
		.amdhsa_exception_fp_ieee_invalid_op 0
		.amdhsa_exception_fp_denorm_src 0
		.amdhsa_exception_fp_ieee_div_zero 0
		.amdhsa_exception_fp_ieee_overflow 0
		.amdhsa_exception_fp_ieee_underflow 0
		.amdhsa_exception_fp_ieee_inexact 0
		.amdhsa_exception_int_div_zero 0
	.end_amdhsa_kernel
	.section	.text._ZN7rocprim17ROCPRIM_400000_NS6detail17trampoline_kernelINS0_13select_configILj256ELj13ELNS0_17block_load_methodE3ELS4_3ELS4_3ELNS0_20block_scan_algorithmE0ELj4294967295EEENS1_25partition_config_selectorILNS1_17partition_subalgoE3EjNS0_10empty_typeEbEEZZNS1_14partition_implILS8_3ELb0ES6_jNS0_17counting_iteratorIjlEEPS9_SE_NS0_5tupleIJPjSE_EEENSF_IJSE_SE_EEES9_SG_JZNS1_25segmented_radix_sort_implINS0_14default_configELb0EPKaPaPKlPlN2at6native12_GLOBAL__N_18offset_tEEE10hipError_tPvRmT1_PNSt15iterator_traitsISY_E10value_typeET2_T3_PNSZ_IS14_E10value_typeET4_jRbjT5_S1A_jjP12ihipStream_tbEUljE_EEESV_SW_SX_S14_S18_S1A_T6_T7_T9_mT8_S1C_bDpT10_ENKUlT_T0_E_clISt17integral_constantIbLb1EES1P_EEDaS1K_S1L_EUlS1K_E_NS1_11comp_targetILNS1_3genE9ELNS1_11target_archE1100ELNS1_3gpuE3ELNS1_3repE0EEENS1_30default_config_static_selectorELNS0_4arch9wavefront6targetE0EEEvSY_,"axG",@progbits,_ZN7rocprim17ROCPRIM_400000_NS6detail17trampoline_kernelINS0_13select_configILj256ELj13ELNS0_17block_load_methodE3ELS4_3ELS4_3ELNS0_20block_scan_algorithmE0ELj4294967295EEENS1_25partition_config_selectorILNS1_17partition_subalgoE3EjNS0_10empty_typeEbEEZZNS1_14partition_implILS8_3ELb0ES6_jNS0_17counting_iteratorIjlEEPS9_SE_NS0_5tupleIJPjSE_EEENSF_IJSE_SE_EEES9_SG_JZNS1_25segmented_radix_sort_implINS0_14default_configELb0EPKaPaPKlPlN2at6native12_GLOBAL__N_18offset_tEEE10hipError_tPvRmT1_PNSt15iterator_traitsISY_E10value_typeET2_T3_PNSZ_IS14_E10value_typeET4_jRbjT5_S1A_jjP12ihipStream_tbEUljE_EEESV_SW_SX_S14_S18_S1A_T6_T7_T9_mT8_S1C_bDpT10_ENKUlT_T0_E_clISt17integral_constantIbLb1EES1P_EEDaS1K_S1L_EUlS1K_E_NS1_11comp_targetILNS1_3genE9ELNS1_11target_archE1100ELNS1_3gpuE3ELNS1_3repE0EEENS1_30default_config_static_selectorELNS0_4arch9wavefront6targetE0EEEvSY_,comdat
.Lfunc_end372:
	.size	_ZN7rocprim17ROCPRIM_400000_NS6detail17trampoline_kernelINS0_13select_configILj256ELj13ELNS0_17block_load_methodE3ELS4_3ELS4_3ELNS0_20block_scan_algorithmE0ELj4294967295EEENS1_25partition_config_selectorILNS1_17partition_subalgoE3EjNS0_10empty_typeEbEEZZNS1_14partition_implILS8_3ELb0ES6_jNS0_17counting_iteratorIjlEEPS9_SE_NS0_5tupleIJPjSE_EEENSF_IJSE_SE_EEES9_SG_JZNS1_25segmented_radix_sort_implINS0_14default_configELb0EPKaPaPKlPlN2at6native12_GLOBAL__N_18offset_tEEE10hipError_tPvRmT1_PNSt15iterator_traitsISY_E10value_typeET2_T3_PNSZ_IS14_E10value_typeET4_jRbjT5_S1A_jjP12ihipStream_tbEUljE_EEESV_SW_SX_S14_S18_S1A_T6_T7_T9_mT8_S1C_bDpT10_ENKUlT_T0_E_clISt17integral_constantIbLb1EES1P_EEDaS1K_S1L_EUlS1K_E_NS1_11comp_targetILNS1_3genE9ELNS1_11target_archE1100ELNS1_3gpuE3ELNS1_3repE0EEENS1_30default_config_static_selectorELNS0_4arch9wavefront6targetE0EEEvSY_, .Lfunc_end372-_ZN7rocprim17ROCPRIM_400000_NS6detail17trampoline_kernelINS0_13select_configILj256ELj13ELNS0_17block_load_methodE3ELS4_3ELS4_3ELNS0_20block_scan_algorithmE0ELj4294967295EEENS1_25partition_config_selectorILNS1_17partition_subalgoE3EjNS0_10empty_typeEbEEZZNS1_14partition_implILS8_3ELb0ES6_jNS0_17counting_iteratorIjlEEPS9_SE_NS0_5tupleIJPjSE_EEENSF_IJSE_SE_EEES9_SG_JZNS1_25segmented_radix_sort_implINS0_14default_configELb0EPKaPaPKlPlN2at6native12_GLOBAL__N_18offset_tEEE10hipError_tPvRmT1_PNSt15iterator_traitsISY_E10value_typeET2_T3_PNSZ_IS14_E10value_typeET4_jRbjT5_S1A_jjP12ihipStream_tbEUljE_EEESV_SW_SX_S14_S18_S1A_T6_T7_T9_mT8_S1C_bDpT10_ENKUlT_T0_E_clISt17integral_constantIbLb1EES1P_EEDaS1K_S1L_EUlS1K_E_NS1_11comp_targetILNS1_3genE9ELNS1_11target_archE1100ELNS1_3gpuE3ELNS1_3repE0EEENS1_30default_config_static_selectorELNS0_4arch9wavefront6targetE0EEEvSY_
                                        ; -- End function
	.set _ZN7rocprim17ROCPRIM_400000_NS6detail17trampoline_kernelINS0_13select_configILj256ELj13ELNS0_17block_load_methodE3ELS4_3ELS4_3ELNS0_20block_scan_algorithmE0ELj4294967295EEENS1_25partition_config_selectorILNS1_17partition_subalgoE3EjNS0_10empty_typeEbEEZZNS1_14partition_implILS8_3ELb0ES6_jNS0_17counting_iteratorIjlEEPS9_SE_NS0_5tupleIJPjSE_EEENSF_IJSE_SE_EEES9_SG_JZNS1_25segmented_radix_sort_implINS0_14default_configELb0EPKaPaPKlPlN2at6native12_GLOBAL__N_18offset_tEEE10hipError_tPvRmT1_PNSt15iterator_traitsISY_E10value_typeET2_T3_PNSZ_IS14_E10value_typeET4_jRbjT5_S1A_jjP12ihipStream_tbEUljE_EEESV_SW_SX_S14_S18_S1A_T6_T7_T9_mT8_S1C_bDpT10_ENKUlT_T0_E_clISt17integral_constantIbLb1EES1P_EEDaS1K_S1L_EUlS1K_E_NS1_11comp_targetILNS1_3genE9ELNS1_11target_archE1100ELNS1_3gpuE3ELNS1_3repE0EEENS1_30default_config_static_selectorELNS0_4arch9wavefront6targetE0EEEvSY_.num_vgpr, 0
	.set _ZN7rocprim17ROCPRIM_400000_NS6detail17trampoline_kernelINS0_13select_configILj256ELj13ELNS0_17block_load_methodE3ELS4_3ELS4_3ELNS0_20block_scan_algorithmE0ELj4294967295EEENS1_25partition_config_selectorILNS1_17partition_subalgoE3EjNS0_10empty_typeEbEEZZNS1_14partition_implILS8_3ELb0ES6_jNS0_17counting_iteratorIjlEEPS9_SE_NS0_5tupleIJPjSE_EEENSF_IJSE_SE_EEES9_SG_JZNS1_25segmented_radix_sort_implINS0_14default_configELb0EPKaPaPKlPlN2at6native12_GLOBAL__N_18offset_tEEE10hipError_tPvRmT1_PNSt15iterator_traitsISY_E10value_typeET2_T3_PNSZ_IS14_E10value_typeET4_jRbjT5_S1A_jjP12ihipStream_tbEUljE_EEESV_SW_SX_S14_S18_S1A_T6_T7_T9_mT8_S1C_bDpT10_ENKUlT_T0_E_clISt17integral_constantIbLb1EES1P_EEDaS1K_S1L_EUlS1K_E_NS1_11comp_targetILNS1_3genE9ELNS1_11target_archE1100ELNS1_3gpuE3ELNS1_3repE0EEENS1_30default_config_static_selectorELNS0_4arch9wavefront6targetE0EEEvSY_.num_agpr, 0
	.set _ZN7rocprim17ROCPRIM_400000_NS6detail17trampoline_kernelINS0_13select_configILj256ELj13ELNS0_17block_load_methodE3ELS4_3ELS4_3ELNS0_20block_scan_algorithmE0ELj4294967295EEENS1_25partition_config_selectorILNS1_17partition_subalgoE3EjNS0_10empty_typeEbEEZZNS1_14partition_implILS8_3ELb0ES6_jNS0_17counting_iteratorIjlEEPS9_SE_NS0_5tupleIJPjSE_EEENSF_IJSE_SE_EEES9_SG_JZNS1_25segmented_radix_sort_implINS0_14default_configELb0EPKaPaPKlPlN2at6native12_GLOBAL__N_18offset_tEEE10hipError_tPvRmT1_PNSt15iterator_traitsISY_E10value_typeET2_T3_PNSZ_IS14_E10value_typeET4_jRbjT5_S1A_jjP12ihipStream_tbEUljE_EEESV_SW_SX_S14_S18_S1A_T6_T7_T9_mT8_S1C_bDpT10_ENKUlT_T0_E_clISt17integral_constantIbLb1EES1P_EEDaS1K_S1L_EUlS1K_E_NS1_11comp_targetILNS1_3genE9ELNS1_11target_archE1100ELNS1_3gpuE3ELNS1_3repE0EEENS1_30default_config_static_selectorELNS0_4arch9wavefront6targetE0EEEvSY_.numbered_sgpr, 0
	.set _ZN7rocprim17ROCPRIM_400000_NS6detail17trampoline_kernelINS0_13select_configILj256ELj13ELNS0_17block_load_methodE3ELS4_3ELS4_3ELNS0_20block_scan_algorithmE0ELj4294967295EEENS1_25partition_config_selectorILNS1_17partition_subalgoE3EjNS0_10empty_typeEbEEZZNS1_14partition_implILS8_3ELb0ES6_jNS0_17counting_iteratorIjlEEPS9_SE_NS0_5tupleIJPjSE_EEENSF_IJSE_SE_EEES9_SG_JZNS1_25segmented_radix_sort_implINS0_14default_configELb0EPKaPaPKlPlN2at6native12_GLOBAL__N_18offset_tEEE10hipError_tPvRmT1_PNSt15iterator_traitsISY_E10value_typeET2_T3_PNSZ_IS14_E10value_typeET4_jRbjT5_S1A_jjP12ihipStream_tbEUljE_EEESV_SW_SX_S14_S18_S1A_T6_T7_T9_mT8_S1C_bDpT10_ENKUlT_T0_E_clISt17integral_constantIbLb1EES1P_EEDaS1K_S1L_EUlS1K_E_NS1_11comp_targetILNS1_3genE9ELNS1_11target_archE1100ELNS1_3gpuE3ELNS1_3repE0EEENS1_30default_config_static_selectorELNS0_4arch9wavefront6targetE0EEEvSY_.num_named_barrier, 0
	.set _ZN7rocprim17ROCPRIM_400000_NS6detail17trampoline_kernelINS0_13select_configILj256ELj13ELNS0_17block_load_methodE3ELS4_3ELS4_3ELNS0_20block_scan_algorithmE0ELj4294967295EEENS1_25partition_config_selectorILNS1_17partition_subalgoE3EjNS0_10empty_typeEbEEZZNS1_14partition_implILS8_3ELb0ES6_jNS0_17counting_iteratorIjlEEPS9_SE_NS0_5tupleIJPjSE_EEENSF_IJSE_SE_EEES9_SG_JZNS1_25segmented_radix_sort_implINS0_14default_configELb0EPKaPaPKlPlN2at6native12_GLOBAL__N_18offset_tEEE10hipError_tPvRmT1_PNSt15iterator_traitsISY_E10value_typeET2_T3_PNSZ_IS14_E10value_typeET4_jRbjT5_S1A_jjP12ihipStream_tbEUljE_EEESV_SW_SX_S14_S18_S1A_T6_T7_T9_mT8_S1C_bDpT10_ENKUlT_T0_E_clISt17integral_constantIbLb1EES1P_EEDaS1K_S1L_EUlS1K_E_NS1_11comp_targetILNS1_3genE9ELNS1_11target_archE1100ELNS1_3gpuE3ELNS1_3repE0EEENS1_30default_config_static_selectorELNS0_4arch9wavefront6targetE0EEEvSY_.private_seg_size, 0
	.set _ZN7rocprim17ROCPRIM_400000_NS6detail17trampoline_kernelINS0_13select_configILj256ELj13ELNS0_17block_load_methodE3ELS4_3ELS4_3ELNS0_20block_scan_algorithmE0ELj4294967295EEENS1_25partition_config_selectorILNS1_17partition_subalgoE3EjNS0_10empty_typeEbEEZZNS1_14partition_implILS8_3ELb0ES6_jNS0_17counting_iteratorIjlEEPS9_SE_NS0_5tupleIJPjSE_EEENSF_IJSE_SE_EEES9_SG_JZNS1_25segmented_radix_sort_implINS0_14default_configELb0EPKaPaPKlPlN2at6native12_GLOBAL__N_18offset_tEEE10hipError_tPvRmT1_PNSt15iterator_traitsISY_E10value_typeET2_T3_PNSZ_IS14_E10value_typeET4_jRbjT5_S1A_jjP12ihipStream_tbEUljE_EEESV_SW_SX_S14_S18_S1A_T6_T7_T9_mT8_S1C_bDpT10_ENKUlT_T0_E_clISt17integral_constantIbLb1EES1P_EEDaS1K_S1L_EUlS1K_E_NS1_11comp_targetILNS1_3genE9ELNS1_11target_archE1100ELNS1_3gpuE3ELNS1_3repE0EEENS1_30default_config_static_selectorELNS0_4arch9wavefront6targetE0EEEvSY_.uses_vcc, 0
	.set _ZN7rocprim17ROCPRIM_400000_NS6detail17trampoline_kernelINS0_13select_configILj256ELj13ELNS0_17block_load_methodE3ELS4_3ELS4_3ELNS0_20block_scan_algorithmE0ELj4294967295EEENS1_25partition_config_selectorILNS1_17partition_subalgoE3EjNS0_10empty_typeEbEEZZNS1_14partition_implILS8_3ELb0ES6_jNS0_17counting_iteratorIjlEEPS9_SE_NS0_5tupleIJPjSE_EEENSF_IJSE_SE_EEES9_SG_JZNS1_25segmented_radix_sort_implINS0_14default_configELb0EPKaPaPKlPlN2at6native12_GLOBAL__N_18offset_tEEE10hipError_tPvRmT1_PNSt15iterator_traitsISY_E10value_typeET2_T3_PNSZ_IS14_E10value_typeET4_jRbjT5_S1A_jjP12ihipStream_tbEUljE_EEESV_SW_SX_S14_S18_S1A_T6_T7_T9_mT8_S1C_bDpT10_ENKUlT_T0_E_clISt17integral_constantIbLb1EES1P_EEDaS1K_S1L_EUlS1K_E_NS1_11comp_targetILNS1_3genE9ELNS1_11target_archE1100ELNS1_3gpuE3ELNS1_3repE0EEENS1_30default_config_static_selectorELNS0_4arch9wavefront6targetE0EEEvSY_.uses_flat_scratch, 0
	.set _ZN7rocprim17ROCPRIM_400000_NS6detail17trampoline_kernelINS0_13select_configILj256ELj13ELNS0_17block_load_methodE3ELS4_3ELS4_3ELNS0_20block_scan_algorithmE0ELj4294967295EEENS1_25partition_config_selectorILNS1_17partition_subalgoE3EjNS0_10empty_typeEbEEZZNS1_14partition_implILS8_3ELb0ES6_jNS0_17counting_iteratorIjlEEPS9_SE_NS0_5tupleIJPjSE_EEENSF_IJSE_SE_EEES9_SG_JZNS1_25segmented_radix_sort_implINS0_14default_configELb0EPKaPaPKlPlN2at6native12_GLOBAL__N_18offset_tEEE10hipError_tPvRmT1_PNSt15iterator_traitsISY_E10value_typeET2_T3_PNSZ_IS14_E10value_typeET4_jRbjT5_S1A_jjP12ihipStream_tbEUljE_EEESV_SW_SX_S14_S18_S1A_T6_T7_T9_mT8_S1C_bDpT10_ENKUlT_T0_E_clISt17integral_constantIbLb1EES1P_EEDaS1K_S1L_EUlS1K_E_NS1_11comp_targetILNS1_3genE9ELNS1_11target_archE1100ELNS1_3gpuE3ELNS1_3repE0EEENS1_30default_config_static_selectorELNS0_4arch9wavefront6targetE0EEEvSY_.has_dyn_sized_stack, 0
	.set _ZN7rocprim17ROCPRIM_400000_NS6detail17trampoline_kernelINS0_13select_configILj256ELj13ELNS0_17block_load_methodE3ELS4_3ELS4_3ELNS0_20block_scan_algorithmE0ELj4294967295EEENS1_25partition_config_selectorILNS1_17partition_subalgoE3EjNS0_10empty_typeEbEEZZNS1_14partition_implILS8_3ELb0ES6_jNS0_17counting_iteratorIjlEEPS9_SE_NS0_5tupleIJPjSE_EEENSF_IJSE_SE_EEES9_SG_JZNS1_25segmented_radix_sort_implINS0_14default_configELb0EPKaPaPKlPlN2at6native12_GLOBAL__N_18offset_tEEE10hipError_tPvRmT1_PNSt15iterator_traitsISY_E10value_typeET2_T3_PNSZ_IS14_E10value_typeET4_jRbjT5_S1A_jjP12ihipStream_tbEUljE_EEESV_SW_SX_S14_S18_S1A_T6_T7_T9_mT8_S1C_bDpT10_ENKUlT_T0_E_clISt17integral_constantIbLb1EES1P_EEDaS1K_S1L_EUlS1K_E_NS1_11comp_targetILNS1_3genE9ELNS1_11target_archE1100ELNS1_3gpuE3ELNS1_3repE0EEENS1_30default_config_static_selectorELNS0_4arch9wavefront6targetE0EEEvSY_.has_recursion, 0
	.set _ZN7rocprim17ROCPRIM_400000_NS6detail17trampoline_kernelINS0_13select_configILj256ELj13ELNS0_17block_load_methodE3ELS4_3ELS4_3ELNS0_20block_scan_algorithmE0ELj4294967295EEENS1_25partition_config_selectorILNS1_17partition_subalgoE3EjNS0_10empty_typeEbEEZZNS1_14partition_implILS8_3ELb0ES6_jNS0_17counting_iteratorIjlEEPS9_SE_NS0_5tupleIJPjSE_EEENSF_IJSE_SE_EEES9_SG_JZNS1_25segmented_radix_sort_implINS0_14default_configELb0EPKaPaPKlPlN2at6native12_GLOBAL__N_18offset_tEEE10hipError_tPvRmT1_PNSt15iterator_traitsISY_E10value_typeET2_T3_PNSZ_IS14_E10value_typeET4_jRbjT5_S1A_jjP12ihipStream_tbEUljE_EEESV_SW_SX_S14_S18_S1A_T6_T7_T9_mT8_S1C_bDpT10_ENKUlT_T0_E_clISt17integral_constantIbLb1EES1P_EEDaS1K_S1L_EUlS1K_E_NS1_11comp_targetILNS1_3genE9ELNS1_11target_archE1100ELNS1_3gpuE3ELNS1_3repE0EEENS1_30default_config_static_selectorELNS0_4arch9wavefront6targetE0EEEvSY_.has_indirect_call, 0
	.section	.AMDGPU.csdata,"",@progbits
; Kernel info:
; codeLenInByte = 0
; TotalNumSgprs: 0
; NumVgprs: 0
; ScratchSize: 0
; MemoryBound: 0
; FloatMode: 240
; IeeeMode: 1
; LDSByteSize: 0 bytes/workgroup (compile time only)
; SGPRBlocks: 0
; VGPRBlocks: 0
; NumSGPRsForWavesPerEU: 1
; NumVGPRsForWavesPerEU: 1
; NamedBarCnt: 0
; Occupancy: 16
; WaveLimiterHint : 0
; COMPUTE_PGM_RSRC2:SCRATCH_EN: 0
; COMPUTE_PGM_RSRC2:USER_SGPR: 2
; COMPUTE_PGM_RSRC2:TRAP_HANDLER: 0
; COMPUTE_PGM_RSRC2:TGID_X_EN: 1
; COMPUTE_PGM_RSRC2:TGID_Y_EN: 0
; COMPUTE_PGM_RSRC2:TGID_Z_EN: 0
; COMPUTE_PGM_RSRC2:TIDIG_COMP_CNT: 0
	.section	.text._ZN7rocprim17ROCPRIM_400000_NS6detail17trampoline_kernelINS0_13select_configILj256ELj13ELNS0_17block_load_methodE3ELS4_3ELS4_3ELNS0_20block_scan_algorithmE0ELj4294967295EEENS1_25partition_config_selectorILNS1_17partition_subalgoE3EjNS0_10empty_typeEbEEZZNS1_14partition_implILS8_3ELb0ES6_jNS0_17counting_iteratorIjlEEPS9_SE_NS0_5tupleIJPjSE_EEENSF_IJSE_SE_EEES9_SG_JZNS1_25segmented_radix_sort_implINS0_14default_configELb0EPKaPaPKlPlN2at6native12_GLOBAL__N_18offset_tEEE10hipError_tPvRmT1_PNSt15iterator_traitsISY_E10value_typeET2_T3_PNSZ_IS14_E10value_typeET4_jRbjT5_S1A_jjP12ihipStream_tbEUljE_EEESV_SW_SX_S14_S18_S1A_T6_T7_T9_mT8_S1C_bDpT10_ENKUlT_T0_E_clISt17integral_constantIbLb1EES1P_EEDaS1K_S1L_EUlS1K_E_NS1_11comp_targetILNS1_3genE8ELNS1_11target_archE1030ELNS1_3gpuE2ELNS1_3repE0EEENS1_30default_config_static_selectorELNS0_4arch9wavefront6targetE0EEEvSY_,"axG",@progbits,_ZN7rocprim17ROCPRIM_400000_NS6detail17trampoline_kernelINS0_13select_configILj256ELj13ELNS0_17block_load_methodE3ELS4_3ELS4_3ELNS0_20block_scan_algorithmE0ELj4294967295EEENS1_25partition_config_selectorILNS1_17partition_subalgoE3EjNS0_10empty_typeEbEEZZNS1_14partition_implILS8_3ELb0ES6_jNS0_17counting_iteratorIjlEEPS9_SE_NS0_5tupleIJPjSE_EEENSF_IJSE_SE_EEES9_SG_JZNS1_25segmented_radix_sort_implINS0_14default_configELb0EPKaPaPKlPlN2at6native12_GLOBAL__N_18offset_tEEE10hipError_tPvRmT1_PNSt15iterator_traitsISY_E10value_typeET2_T3_PNSZ_IS14_E10value_typeET4_jRbjT5_S1A_jjP12ihipStream_tbEUljE_EEESV_SW_SX_S14_S18_S1A_T6_T7_T9_mT8_S1C_bDpT10_ENKUlT_T0_E_clISt17integral_constantIbLb1EES1P_EEDaS1K_S1L_EUlS1K_E_NS1_11comp_targetILNS1_3genE8ELNS1_11target_archE1030ELNS1_3gpuE2ELNS1_3repE0EEENS1_30default_config_static_selectorELNS0_4arch9wavefront6targetE0EEEvSY_,comdat
	.globl	_ZN7rocprim17ROCPRIM_400000_NS6detail17trampoline_kernelINS0_13select_configILj256ELj13ELNS0_17block_load_methodE3ELS4_3ELS4_3ELNS0_20block_scan_algorithmE0ELj4294967295EEENS1_25partition_config_selectorILNS1_17partition_subalgoE3EjNS0_10empty_typeEbEEZZNS1_14partition_implILS8_3ELb0ES6_jNS0_17counting_iteratorIjlEEPS9_SE_NS0_5tupleIJPjSE_EEENSF_IJSE_SE_EEES9_SG_JZNS1_25segmented_radix_sort_implINS0_14default_configELb0EPKaPaPKlPlN2at6native12_GLOBAL__N_18offset_tEEE10hipError_tPvRmT1_PNSt15iterator_traitsISY_E10value_typeET2_T3_PNSZ_IS14_E10value_typeET4_jRbjT5_S1A_jjP12ihipStream_tbEUljE_EEESV_SW_SX_S14_S18_S1A_T6_T7_T9_mT8_S1C_bDpT10_ENKUlT_T0_E_clISt17integral_constantIbLb1EES1P_EEDaS1K_S1L_EUlS1K_E_NS1_11comp_targetILNS1_3genE8ELNS1_11target_archE1030ELNS1_3gpuE2ELNS1_3repE0EEENS1_30default_config_static_selectorELNS0_4arch9wavefront6targetE0EEEvSY_ ; -- Begin function _ZN7rocprim17ROCPRIM_400000_NS6detail17trampoline_kernelINS0_13select_configILj256ELj13ELNS0_17block_load_methodE3ELS4_3ELS4_3ELNS0_20block_scan_algorithmE0ELj4294967295EEENS1_25partition_config_selectorILNS1_17partition_subalgoE3EjNS0_10empty_typeEbEEZZNS1_14partition_implILS8_3ELb0ES6_jNS0_17counting_iteratorIjlEEPS9_SE_NS0_5tupleIJPjSE_EEENSF_IJSE_SE_EEES9_SG_JZNS1_25segmented_radix_sort_implINS0_14default_configELb0EPKaPaPKlPlN2at6native12_GLOBAL__N_18offset_tEEE10hipError_tPvRmT1_PNSt15iterator_traitsISY_E10value_typeET2_T3_PNSZ_IS14_E10value_typeET4_jRbjT5_S1A_jjP12ihipStream_tbEUljE_EEESV_SW_SX_S14_S18_S1A_T6_T7_T9_mT8_S1C_bDpT10_ENKUlT_T0_E_clISt17integral_constantIbLb1EES1P_EEDaS1K_S1L_EUlS1K_E_NS1_11comp_targetILNS1_3genE8ELNS1_11target_archE1030ELNS1_3gpuE2ELNS1_3repE0EEENS1_30default_config_static_selectorELNS0_4arch9wavefront6targetE0EEEvSY_
	.p2align	8
	.type	_ZN7rocprim17ROCPRIM_400000_NS6detail17trampoline_kernelINS0_13select_configILj256ELj13ELNS0_17block_load_methodE3ELS4_3ELS4_3ELNS0_20block_scan_algorithmE0ELj4294967295EEENS1_25partition_config_selectorILNS1_17partition_subalgoE3EjNS0_10empty_typeEbEEZZNS1_14partition_implILS8_3ELb0ES6_jNS0_17counting_iteratorIjlEEPS9_SE_NS0_5tupleIJPjSE_EEENSF_IJSE_SE_EEES9_SG_JZNS1_25segmented_radix_sort_implINS0_14default_configELb0EPKaPaPKlPlN2at6native12_GLOBAL__N_18offset_tEEE10hipError_tPvRmT1_PNSt15iterator_traitsISY_E10value_typeET2_T3_PNSZ_IS14_E10value_typeET4_jRbjT5_S1A_jjP12ihipStream_tbEUljE_EEESV_SW_SX_S14_S18_S1A_T6_T7_T9_mT8_S1C_bDpT10_ENKUlT_T0_E_clISt17integral_constantIbLb1EES1P_EEDaS1K_S1L_EUlS1K_E_NS1_11comp_targetILNS1_3genE8ELNS1_11target_archE1030ELNS1_3gpuE2ELNS1_3repE0EEENS1_30default_config_static_selectorELNS0_4arch9wavefront6targetE0EEEvSY_,@function
_ZN7rocprim17ROCPRIM_400000_NS6detail17trampoline_kernelINS0_13select_configILj256ELj13ELNS0_17block_load_methodE3ELS4_3ELS4_3ELNS0_20block_scan_algorithmE0ELj4294967295EEENS1_25partition_config_selectorILNS1_17partition_subalgoE3EjNS0_10empty_typeEbEEZZNS1_14partition_implILS8_3ELb0ES6_jNS0_17counting_iteratorIjlEEPS9_SE_NS0_5tupleIJPjSE_EEENSF_IJSE_SE_EEES9_SG_JZNS1_25segmented_radix_sort_implINS0_14default_configELb0EPKaPaPKlPlN2at6native12_GLOBAL__N_18offset_tEEE10hipError_tPvRmT1_PNSt15iterator_traitsISY_E10value_typeET2_T3_PNSZ_IS14_E10value_typeET4_jRbjT5_S1A_jjP12ihipStream_tbEUljE_EEESV_SW_SX_S14_S18_S1A_T6_T7_T9_mT8_S1C_bDpT10_ENKUlT_T0_E_clISt17integral_constantIbLb1EES1P_EEDaS1K_S1L_EUlS1K_E_NS1_11comp_targetILNS1_3genE8ELNS1_11target_archE1030ELNS1_3gpuE2ELNS1_3repE0EEENS1_30default_config_static_selectorELNS0_4arch9wavefront6targetE0EEEvSY_: ; @_ZN7rocprim17ROCPRIM_400000_NS6detail17trampoline_kernelINS0_13select_configILj256ELj13ELNS0_17block_load_methodE3ELS4_3ELS4_3ELNS0_20block_scan_algorithmE0ELj4294967295EEENS1_25partition_config_selectorILNS1_17partition_subalgoE3EjNS0_10empty_typeEbEEZZNS1_14partition_implILS8_3ELb0ES6_jNS0_17counting_iteratorIjlEEPS9_SE_NS0_5tupleIJPjSE_EEENSF_IJSE_SE_EEES9_SG_JZNS1_25segmented_radix_sort_implINS0_14default_configELb0EPKaPaPKlPlN2at6native12_GLOBAL__N_18offset_tEEE10hipError_tPvRmT1_PNSt15iterator_traitsISY_E10value_typeET2_T3_PNSZ_IS14_E10value_typeET4_jRbjT5_S1A_jjP12ihipStream_tbEUljE_EEESV_SW_SX_S14_S18_S1A_T6_T7_T9_mT8_S1C_bDpT10_ENKUlT_T0_E_clISt17integral_constantIbLb1EES1P_EEDaS1K_S1L_EUlS1K_E_NS1_11comp_targetILNS1_3genE8ELNS1_11target_archE1030ELNS1_3gpuE2ELNS1_3repE0EEENS1_30default_config_static_selectorELNS0_4arch9wavefront6targetE0EEEvSY_
; %bb.0:
	.section	.rodata,"a",@progbits
	.p2align	6, 0x0
	.amdhsa_kernel _ZN7rocprim17ROCPRIM_400000_NS6detail17trampoline_kernelINS0_13select_configILj256ELj13ELNS0_17block_load_methodE3ELS4_3ELS4_3ELNS0_20block_scan_algorithmE0ELj4294967295EEENS1_25partition_config_selectorILNS1_17partition_subalgoE3EjNS0_10empty_typeEbEEZZNS1_14partition_implILS8_3ELb0ES6_jNS0_17counting_iteratorIjlEEPS9_SE_NS0_5tupleIJPjSE_EEENSF_IJSE_SE_EEES9_SG_JZNS1_25segmented_radix_sort_implINS0_14default_configELb0EPKaPaPKlPlN2at6native12_GLOBAL__N_18offset_tEEE10hipError_tPvRmT1_PNSt15iterator_traitsISY_E10value_typeET2_T3_PNSZ_IS14_E10value_typeET4_jRbjT5_S1A_jjP12ihipStream_tbEUljE_EEESV_SW_SX_S14_S18_S1A_T6_T7_T9_mT8_S1C_bDpT10_ENKUlT_T0_E_clISt17integral_constantIbLb1EES1P_EEDaS1K_S1L_EUlS1K_E_NS1_11comp_targetILNS1_3genE8ELNS1_11target_archE1030ELNS1_3gpuE2ELNS1_3repE0EEENS1_30default_config_static_selectorELNS0_4arch9wavefront6targetE0EEEvSY_
		.amdhsa_group_segment_fixed_size 0
		.amdhsa_private_segment_fixed_size 0
		.amdhsa_kernarg_size 152
		.amdhsa_user_sgpr_count 2
		.amdhsa_user_sgpr_dispatch_ptr 0
		.amdhsa_user_sgpr_queue_ptr 0
		.amdhsa_user_sgpr_kernarg_segment_ptr 1
		.amdhsa_user_sgpr_dispatch_id 0
		.amdhsa_user_sgpr_kernarg_preload_length 0
		.amdhsa_user_sgpr_kernarg_preload_offset 0
		.amdhsa_user_sgpr_private_segment_size 0
		.amdhsa_wavefront_size32 1
		.amdhsa_uses_dynamic_stack 0
		.amdhsa_enable_private_segment 0
		.amdhsa_system_sgpr_workgroup_id_x 1
		.amdhsa_system_sgpr_workgroup_id_y 0
		.amdhsa_system_sgpr_workgroup_id_z 0
		.amdhsa_system_sgpr_workgroup_info 0
		.amdhsa_system_vgpr_workitem_id 0
		.amdhsa_next_free_vgpr 1
		.amdhsa_next_free_sgpr 1
		.amdhsa_named_barrier_count 0
		.amdhsa_reserve_vcc 0
		.amdhsa_float_round_mode_32 0
		.amdhsa_float_round_mode_16_64 0
		.amdhsa_float_denorm_mode_32 3
		.amdhsa_float_denorm_mode_16_64 3
		.amdhsa_fp16_overflow 0
		.amdhsa_memory_ordered 1
		.amdhsa_forward_progress 1
		.amdhsa_inst_pref_size 0
		.amdhsa_round_robin_scheduling 0
		.amdhsa_exception_fp_ieee_invalid_op 0
		.amdhsa_exception_fp_denorm_src 0
		.amdhsa_exception_fp_ieee_div_zero 0
		.amdhsa_exception_fp_ieee_overflow 0
		.amdhsa_exception_fp_ieee_underflow 0
		.amdhsa_exception_fp_ieee_inexact 0
		.amdhsa_exception_int_div_zero 0
	.end_amdhsa_kernel
	.section	.text._ZN7rocprim17ROCPRIM_400000_NS6detail17trampoline_kernelINS0_13select_configILj256ELj13ELNS0_17block_load_methodE3ELS4_3ELS4_3ELNS0_20block_scan_algorithmE0ELj4294967295EEENS1_25partition_config_selectorILNS1_17partition_subalgoE3EjNS0_10empty_typeEbEEZZNS1_14partition_implILS8_3ELb0ES6_jNS0_17counting_iteratorIjlEEPS9_SE_NS0_5tupleIJPjSE_EEENSF_IJSE_SE_EEES9_SG_JZNS1_25segmented_radix_sort_implINS0_14default_configELb0EPKaPaPKlPlN2at6native12_GLOBAL__N_18offset_tEEE10hipError_tPvRmT1_PNSt15iterator_traitsISY_E10value_typeET2_T3_PNSZ_IS14_E10value_typeET4_jRbjT5_S1A_jjP12ihipStream_tbEUljE_EEESV_SW_SX_S14_S18_S1A_T6_T7_T9_mT8_S1C_bDpT10_ENKUlT_T0_E_clISt17integral_constantIbLb1EES1P_EEDaS1K_S1L_EUlS1K_E_NS1_11comp_targetILNS1_3genE8ELNS1_11target_archE1030ELNS1_3gpuE2ELNS1_3repE0EEENS1_30default_config_static_selectorELNS0_4arch9wavefront6targetE0EEEvSY_,"axG",@progbits,_ZN7rocprim17ROCPRIM_400000_NS6detail17trampoline_kernelINS0_13select_configILj256ELj13ELNS0_17block_load_methodE3ELS4_3ELS4_3ELNS0_20block_scan_algorithmE0ELj4294967295EEENS1_25partition_config_selectorILNS1_17partition_subalgoE3EjNS0_10empty_typeEbEEZZNS1_14partition_implILS8_3ELb0ES6_jNS0_17counting_iteratorIjlEEPS9_SE_NS0_5tupleIJPjSE_EEENSF_IJSE_SE_EEES9_SG_JZNS1_25segmented_radix_sort_implINS0_14default_configELb0EPKaPaPKlPlN2at6native12_GLOBAL__N_18offset_tEEE10hipError_tPvRmT1_PNSt15iterator_traitsISY_E10value_typeET2_T3_PNSZ_IS14_E10value_typeET4_jRbjT5_S1A_jjP12ihipStream_tbEUljE_EEESV_SW_SX_S14_S18_S1A_T6_T7_T9_mT8_S1C_bDpT10_ENKUlT_T0_E_clISt17integral_constantIbLb1EES1P_EEDaS1K_S1L_EUlS1K_E_NS1_11comp_targetILNS1_3genE8ELNS1_11target_archE1030ELNS1_3gpuE2ELNS1_3repE0EEENS1_30default_config_static_selectorELNS0_4arch9wavefront6targetE0EEEvSY_,comdat
.Lfunc_end373:
	.size	_ZN7rocprim17ROCPRIM_400000_NS6detail17trampoline_kernelINS0_13select_configILj256ELj13ELNS0_17block_load_methodE3ELS4_3ELS4_3ELNS0_20block_scan_algorithmE0ELj4294967295EEENS1_25partition_config_selectorILNS1_17partition_subalgoE3EjNS0_10empty_typeEbEEZZNS1_14partition_implILS8_3ELb0ES6_jNS0_17counting_iteratorIjlEEPS9_SE_NS0_5tupleIJPjSE_EEENSF_IJSE_SE_EEES9_SG_JZNS1_25segmented_radix_sort_implINS0_14default_configELb0EPKaPaPKlPlN2at6native12_GLOBAL__N_18offset_tEEE10hipError_tPvRmT1_PNSt15iterator_traitsISY_E10value_typeET2_T3_PNSZ_IS14_E10value_typeET4_jRbjT5_S1A_jjP12ihipStream_tbEUljE_EEESV_SW_SX_S14_S18_S1A_T6_T7_T9_mT8_S1C_bDpT10_ENKUlT_T0_E_clISt17integral_constantIbLb1EES1P_EEDaS1K_S1L_EUlS1K_E_NS1_11comp_targetILNS1_3genE8ELNS1_11target_archE1030ELNS1_3gpuE2ELNS1_3repE0EEENS1_30default_config_static_selectorELNS0_4arch9wavefront6targetE0EEEvSY_, .Lfunc_end373-_ZN7rocprim17ROCPRIM_400000_NS6detail17trampoline_kernelINS0_13select_configILj256ELj13ELNS0_17block_load_methodE3ELS4_3ELS4_3ELNS0_20block_scan_algorithmE0ELj4294967295EEENS1_25partition_config_selectorILNS1_17partition_subalgoE3EjNS0_10empty_typeEbEEZZNS1_14partition_implILS8_3ELb0ES6_jNS0_17counting_iteratorIjlEEPS9_SE_NS0_5tupleIJPjSE_EEENSF_IJSE_SE_EEES9_SG_JZNS1_25segmented_radix_sort_implINS0_14default_configELb0EPKaPaPKlPlN2at6native12_GLOBAL__N_18offset_tEEE10hipError_tPvRmT1_PNSt15iterator_traitsISY_E10value_typeET2_T3_PNSZ_IS14_E10value_typeET4_jRbjT5_S1A_jjP12ihipStream_tbEUljE_EEESV_SW_SX_S14_S18_S1A_T6_T7_T9_mT8_S1C_bDpT10_ENKUlT_T0_E_clISt17integral_constantIbLb1EES1P_EEDaS1K_S1L_EUlS1K_E_NS1_11comp_targetILNS1_3genE8ELNS1_11target_archE1030ELNS1_3gpuE2ELNS1_3repE0EEENS1_30default_config_static_selectorELNS0_4arch9wavefront6targetE0EEEvSY_
                                        ; -- End function
	.set _ZN7rocprim17ROCPRIM_400000_NS6detail17trampoline_kernelINS0_13select_configILj256ELj13ELNS0_17block_load_methodE3ELS4_3ELS4_3ELNS0_20block_scan_algorithmE0ELj4294967295EEENS1_25partition_config_selectorILNS1_17partition_subalgoE3EjNS0_10empty_typeEbEEZZNS1_14partition_implILS8_3ELb0ES6_jNS0_17counting_iteratorIjlEEPS9_SE_NS0_5tupleIJPjSE_EEENSF_IJSE_SE_EEES9_SG_JZNS1_25segmented_radix_sort_implINS0_14default_configELb0EPKaPaPKlPlN2at6native12_GLOBAL__N_18offset_tEEE10hipError_tPvRmT1_PNSt15iterator_traitsISY_E10value_typeET2_T3_PNSZ_IS14_E10value_typeET4_jRbjT5_S1A_jjP12ihipStream_tbEUljE_EEESV_SW_SX_S14_S18_S1A_T6_T7_T9_mT8_S1C_bDpT10_ENKUlT_T0_E_clISt17integral_constantIbLb1EES1P_EEDaS1K_S1L_EUlS1K_E_NS1_11comp_targetILNS1_3genE8ELNS1_11target_archE1030ELNS1_3gpuE2ELNS1_3repE0EEENS1_30default_config_static_selectorELNS0_4arch9wavefront6targetE0EEEvSY_.num_vgpr, 0
	.set _ZN7rocprim17ROCPRIM_400000_NS6detail17trampoline_kernelINS0_13select_configILj256ELj13ELNS0_17block_load_methodE3ELS4_3ELS4_3ELNS0_20block_scan_algorithmE0ELj4294967295EEENS1_25partition_config_selectorILNS1_17partition_subalgoE3EjNS0_10empty_typeEbEEZZNS1_14partition_implILS8_3ELb0ES6_jNS0_17counting_iteratorIjlEEPS9_SE_NS0_5tupleIJPjSE_EEENSF_IJSE_SE_EEES9_SG_JZNS1_25segmented_radix_sort_implINS0_14default_configELb0EPKaPaPKlPlN2at6native12_GLOBAL__N_18offset_tEEE10hipError_tPvRmT1_PNSt15iterator_traitsISY_E10value_typeET2_T3_PNSZ_IS14_E10value_typeET4_jRbjT5_S1A_jjP12ihipStream_tbEUljE_EEESV_SW_SX_S14_S18_S1A_T6_T7_T9_mT8_S1C_bDpT10_ENKUlT_T0_E_clISt17integral_constantIbLb1EES1P_EEDaS1K_S1L_EUlS1K_E_NS1_11comp_targetILNS1_3genE8ELNS1_11target_archE1030ELNS1_3gpuE2ELNS1_3repE0EEENS1_30default_config_static_selectorELNS0_4arch9wavefront6targetE0EEEvSY_.num_agpr, 0
	.set _ZN7rocprim17ROCPRIM_400000_NS6detail17trampoline_kernelINS0_13select_configILj256ELj13ELNS0_17block_load_methodE3ELS4_3ELS4_3ELNS0_20block_scan_algorithmE0ELj4294967295EEENS1_25partition_config_selectorILNS1_17partition_subalgoE3EjNS0_10empty_typeEbEEZZNS1_14partition_implILS8_3ELb0ES6_jNS0_17counting_iteratorIjlEEPS9_SE_NS0_5tupleIJPjSE_EEENSF_IJSE_SE_EEES9_SG_JZNS1_25segmented_radix_sort_implINS0_14default_configELb0EPKaPaPKlPlN2at6native12_GLOBAL__N_18offset_tEEE10hipError_tPvRmT1_PNSt15iterator_traitsISY_E10value_typeET2_T3_PNSZ_IS14_E10value_typeET4_jRbjT5_S1A_jjP12ihipStream_tbEUljE_EEESV_SW_SX_S14_S18_S1A_T6_T7_T9_mT8_S1C_bDpT10_ENKUlT_T0_E_clISt17integral_constantIbLb1EES1P_EEDaS1K_S1L_EUlS1K_E_NS1_11comp_targetILNS1_3genE8ELNS1_11target_archE1030ELNS1_3gpuE2ELNS1_3repE0EEENS1_30default_config_static_selectorELNS0_4arch9wavefront6targetE0EEEvSY_.numbered_sgpr, 0
	.set _ZN7rocprim17ROCPRIM_400000_NS6detail17trampoline_kernelINS0_13select_configILj256ELj13ELNS0_17block_load_methodE3ELS4_3ELS4_3ELNS0_20block_scan_algorithmE0ELj4294967295EEENS1_25partition_config_selectorILNS1_17partition_subalgoE3EjNS0_10empty_typeEbEEZZNS1_14partition_implILS8_3ELb0ES6_jNS0_17counting_iteratorIjlEEPS9_SE_NS0_5tupleIJPjSE_EEENSF_IJSE_SE_EEES9_SG_JZNS1_25segmented_radix_sort_implINS0_14default_configELb0EPKaPaPKlPlN2at6native12_GLOBAL__N_18offset_tEEE10hipError_tPvRmT1_PNSt15iterator_traitsISY_E10value_typeET2_T3_PNSZ_IS14_E10value_typeET4_jRbjT5_S1A_jjP12ihipStream_tbEUljE_EEESV_SW_SX_S14_S18_S1A_T6_T7_T9_mT8_S1C_bDpT10_ENKUlT_T0_E_clISt17integral_constantIbLb1EES1P_EEDaS1K_S1L_EUlS1K_E_NS1_11comp_targetILNS1_3genE8ELNS1_11target_archE1030ELNS1_3gpuE2ELNS1_3repE0EEENS1_30default_config_static_selectorELNS0_4arch9wavefront6targetE0EEEvSY_.num_named_barrier, 0
	.set _ZN7rocprim17ROCPRIM_400000_NS6detail17trampoline_kernelINS0_13select_configILj256ELj13ELNS0_17block_load_methodE3ELS4_3ELS4_3ELNS0_20block_scan_algorithmE0ELj4294967295EEENS1_25partition_config_selectorILNS1_17partition_subalgoE3EjNS0_10empty_typeEbEEZZNS1_14partition_implILS8_3ELb0ES6_jNS0_17counting_iteratorIjlEEPS9_SE_NS0_5tupleIJPjSE_EEENSF_IJSE_SE_EEES9_SG_JZNS1_25segmented_radix_sort_implINS0_14default_configELb0EPKaPaPKlPlN2at6native12_GLOBAL__N_18offset_tEEE10hipError_tPvRmT1_PNSt15iterator_traitsISY_E10value_typeET2_T3_PNSZ_IS14_E10value_typeET4_jRbjT5_S1A_jjP12ihipStream_tbEUljE_EEESV_SW_SX_S14_S18_S1A_T6_T7_T9_mT8_S1C_bDpT10_ENKUlT_T0_E_clISt17integral_constantIbLb1EES1P_EEDaS1K_S1L_EUlS1K_E_NS1_11comp_targetILNS1_3genE8ELNS1_11target_archE1030ELNS1_3gpuE2ELNS1_3repE0EEENS1_30default_config_static_selectorELNS0_4arch9wavefront6targetE0EEEvSY_.private_seg_size, 0
	.set _ZN7rocprim17ROCPRIM_400000_NS6detail17trampoline_kernelINS0_13select_configILj256ELj13ELNS0_17block_load_methodE3ELS4_3ELS4_3ELNS0_20block_scan_algorithmE0ELj4294967295EEENS1_25partition_config_selectorILNS1_17partition_subalgoE3EjNS0_10empty_typeEbEEZZNS1_14partition_implILS8_3ELb0ES6_jNS0_17counting_iteratorIjlEEPS9_SE_NS0_5tupleIJPjSE_EEENSF_IJSE_SE_EEES9_SG_JZNS1_25segmented_radix_sort_implINS0_14default_configELb0EPKaPaPKlPlN2at6native12_GLOBAL__N_18offset_tEEE10hipError_tPvRmT1_PNSt15iterator_traitsISY_E10value_typeET2_T3_PNSZ_IS14_E10value_typeET4_jRbjT5_S1A_jjP12ihipStream_tbEUljE_EEESV_SW_SX_S14_S18_S1A_T6_T7_T9_mT8_S1C_bDpT10_ENKUlT_T0_E_clISt17integral_constantIbLb1EES1P_EEDaS1K_S1L_EUlS1K_E_NS1_11comp_targetILNS1_3genE8ELNS1_11target_archE1030ELNS1_3gpuE2ELNS1_3repE0EEENS1_30default_config_static_selectorELNS0_4arch9wavefront6targetE0EEEvSY_.uses_vcc, 0
	.set _ZN7rocprim17ROCPRIM_400000_NS6detail17trampoline_kernelINS0_13select_configILj256ELj13ELNS0_17block_load_methodE3ELS4_3ELS4_3ELNS0_20block_scan_algorithmE0ELj4294967295EEENS1_25partition_config_selectorILNS1_17partition_subalgoE3EjNS0_10empty_typeEbEEZZNS1_14partition_implILS8_3ELb0ES6_jNS0_17counting_iteratorIjlEEPS9_SE_NS0_5tupleIJPjSE_EEENSF_IJSE_SE_EEES9_SG_JZNS1_25segmented_radix_sort_implINS0_14default_configELb0EPKaPaPKlPlN2at6native12_GLOBAL__N_18offset_tEEE10hipError_tPvRmT1_PNSt15iterator_traitsISY_E10value_typeET2_T3_PNSZ_IS14_E10value_typeET4_jRbjT5_S1A_jjP12ihipStream_tbEUljE_EEESV_SW_SX_S14_S18_S1A_T6_T7_T9_mT8_S1C_bDpT10_ENKUlT_T0_E_clISt17integral_constantIbLb1EES1P_EEDaS1K_S1L_EUlS1K_E_NS1_11comp_targetILNS1_3genE8ELNS1_11target_archE1030ELNS1_3gpuE2ELNS1_3repE0EEENS1_30default_config_static_selectorELNS0_4arch9wavefront6targetE0EEEvSY_.uses_flat_scratch, 0
	.set _ZN7rocprim17ROCPRIM_400000_NS6detail17trampoline_kernelINS0_13select_configILj256ELj13ELNS0_17block_load_methodE3ELS4_3ELS4_3ELNS0_20block_scan_algorithmE0ELj4294967295EEENS1_25partition_config_selectorILNS1_17partition_subalgoE3EjNS0_10empty_typeEbEEZZNS1_14partition_implILS8_3ELb0ES6_jNS0_17counting_iteratorIjlEEPS9_SE_NS0_5tupleIJPjSE_EEENSF_IJSE_SE_EEES9_SG_JZNS1_25segmented_radix_sort_implINS0_14default_configELb0EPKaPaPKlPlN2at6native12_GLOBAL__N_18offset_tEEE10hipError_tPvRmT1_PNSt15iterator_traitsISY_E10value_typeET2_T3_PNSZ_IS14_E10value_typeET4_jRbjT5_S1A_jjP12ihipStream_tbEUljE_EEESV_SW_SX_S14_S18_S1A_T6_T7_T9_mT8_S1C_bDpT10_ENKUlT_T0_E_clISt17integral_constantIbLb1EES1P_EEDaS1K_S1L_EUlS1K_E_NS1_11comp_targetILNS1_3genE8ELNS1_11target_archE1030ELNS1_3gpuE2ELNS1_3repE0EEENS1_30default_config_static_selectorELNS0_4arch9wavefront6targetE0EEEvSY_.has_dyn_sized_stack, 0
	.set _ZN7rocprim17ROCPRIM_400000_NS6detail17trampoline_kernelINS0_13select_configILj256ELj13ELNS0_17block_load_methodE3ELS4_3ELS4_3ELNS0_20block_scan_algorithmE0ELj4294967295EEENS1_25partition_config_selectorILNS1_17partition_subalgoE3EjNS0_10empty_typeEbEEZZNS1_14partition_implILS8_3ELb0ES6_jNS0_17counting_iteratorIjlEEPS9_SE_NS0_5tupleIJPjSE_EEENSF_IJSE_SE_EEES9_SG_JZNS1_25segmented_radix_sort_implINS0_14default_configELb0EPKaPaPKlPlN2at6native12_GLOBAL__N_18offset_tEEE10hipError_tPvRmT1_PNSt15iterator_traitsISY_E10value_typeET2_T3_PNSZ_IS14_E10value_typeET4_jRbjT5_S1A_jjP12ihipStream_tbEUljE_EEESV_SW_SX_S14_S18_S1A_T6_T7_T9_mT8_S1C_bDpT10_ENKUlT_T0_E_clISt17integral_constantIbLb1EES1P_EEDaS1K_S1L_EUlS1K_E_NS1_11comp_targetILNS1_3genE8ELNS1_11target_archE1030ELNS1_3gpuE2ELNS1_3repE0EEENS1_30default_config_static_selectorELNS0_4arch9wavefront6targetE0EEEvSY_.has_recursion, 0
	.set _ZN7rocprim17ROCPRIM_400000_NS6detail17trampoline_kernelINS0_13select_configILj256ELj13ELNS0_17block_load_methodE3ELS4_3ELS4_3ELNS0_20block_scan_algorithmE0ELj4294967295EEENS1_25partition_config_selectorILNS1_17partition_subalgoE3EjNS0_10empty_typeEbEEZZNS1_14partition_implILS8_3ELb0ES6_jNS0_17counting_iteratorIjlEEPS9_SE_NS0_5tupleIJPjSE_EEENSF_IJSE_SE_EEES9_SG_JZNS1_25segmented_radix_sort_implINS0_14default_configELb0EPKaPaPKlPlN2at6native12_GLOBAL__N_18offset_tEEE10hipError_tPvRmT1_PNSt15iterator_traitsISY_E10value_typeET2_T3_PNSZ_IS14_E10value_typeET4_jRbjT5_S1A_jjP12ihipStream_tbEUljE_EEESV_SW_SX_S14_S18_S1A_T6_T7_T9_mT8_S1C_bDpT10_ENKUlT_T0_E_clISt17integral_constantIbLb1EES1P_EEDaS1K_S1L_EUlS1K_E_NS1_11comp_targetILNS1_3genE8ELNS1_11target_archE1030ELNS1_3gpuE2ELNS1_3repE0EEENS1_30default_config_static_selectorELNS0_4arch9wavefront6targetE0EEEvSY_.has_indirect_call, 0
	.section	.AMDGPU.csdata,"",@progbits
; Kernel info:
; codeLenInByte = 0
; TotalNumSgprs: 0
; NumVgprs: 0
; ScratchSize: 0
; MemoryBound: 0
; FloatMode: 240
; IeeeMode: 1
; LDSByteSize: 0 bytes/workgroup (compile time only)
; SGPRBlocks: 0
; VGPRBlocks: 0
; NumSGPRsForWavesPerEU: 1
; NumVGPRsForWavesPerEU: 1
; NamedBarCnt: 0
; Occupancy: 16
; WaveLimiterHint : 0
; COMPUTE_PGM_RSRC2:SCRATCH_EN: 0
; COMPUTE_PGM_RSRC2:USER_SGPR: 2
; COMPUTE_PGM_RSRC2:TRAP_HANDLER: 0
; COMPUTE_PGM_RSRC2:TGID_X_EN: 1
; COMPUTE_PGM_RSRC2:TGID_Y_EN: 0
; COMPUTE_PGM_RSRC2:TGID_Z_EN: 0
; COMPUTE_PGM_RSRC2:TIDIG_COMP_CNT: 0
	.section	.text._ZN7rocprim17ROCPRIM_400000_NS6detail17trampoline_kernelINS0_13select_configILj256ELj13ELNS0_17block_load_methodE3ELS4_3ELS4_3ELNS0_20block_scan_algorithmE0ELj4294967295EEENS1_25partition_config_selectorILNS1_17partition_subalgoE3EjNS0_10empty_typeEbEEZZNS1_14partition_implILS8_3ELb0ES6_jNS0_17counting_iteratorIjlEEPS9_SE_NS0_5tupleIJPjSE_EEENSF_IJSE_SE_EEES9_SG_JZNS1_25segmented_radix_sort_implINS0_14default_configELb0EPKaPaPKlPlN2at6native12_GLOBAL__N_18offset_tEEE10hipError_tPvRmT1_PNSt15iterator_traitsISY_E10value_typeET2_T3_PNSZ_IS14_E10value_typeET4_jRbjT5_S1A_jjP12ihipStream_tbEUljE_EEESV_SW_SX_S14_S18_S1A_T6_T7_T9_mT8_S1C_bDpT10_ENKUlT_T0_E_clISt17integral_constantIbLb1EES1O_IbLb0EEEEDaS1K_S1L_EUlS1K_E_NS1_11comp_targetILNS1_3genE0ELNS1_11target_archE4294967295ELNS1_3gpuE0ELNS1_3repE0EEENS1_30default_config_static_selectorELNS0_4arch9wavefront6targetE0EEEvSY_,"axG",@progbits,_ZN7rocprim17ROCPRIM_400000_NS6detail17trampoline_kernelINS0_13select_configILj256ELj13ELNS0_17block_load_methodE3ELS4_3ELS4_3ELNS0_20block_scan_algorithmE0ELj4294967295EEENS1_25partition_config_selectorILNS1_17partition_subalgoE3EjNS0_10empty_typeEbEEZZNS1_14partition_implILS8_3ELb0ES6_jNS0_17counting_iteratorIjlEEPS9_SE_NS0_5tupleIJPjSE_EEENSF_IJSE_SE_EEES9_SG_JZNS1_25segmented_radix_sort_implINS0_14default_configELb0EPKaPaPKlPlN2at6native12_GLOBAL__N_18offset_tEEE10hipError_tPvRmT1_PNSt15iterator_traitsISY_E10value_typeET2_T3_PNSZ_IS14_E10value_typeET4_jRbjT5_S1A_jjP12ihipStream_tbEUljE_EEESV_SW_SX_S14_S18_S1A_T6_T7_T9_mT8_S1C_bDpT10_ENKUlT_T0_E_clISt17integral_constantIbLb1EES1O_IbLb0EEEEDaS1K_S1L_EUlS1K_E_NS1_11comp_targetILNS1_3genE0ELNS1_11target_archE4294967295ELNS1_3gpuE0ELNS1_3repE0EEENS1_30default_config_static_selectorELNS0_4arch9wavefront6targetE0EEEvSY_,comdat
	.globl	_ZN7rocprim17ROCPRIM_400000_NS6detail17trampoline_kernelINS0_13select_configILj256ELj13ELNS0_17block_load_methodE3ELS4_3ELS4_3ELNS0_20block_scan_algorithmE0ELj4294967295EEENS1_25partition_config_selectorILNS1_17partition_subalgoE3EjNS0_10empty_typeEbEEZZNS1_14partition_implILS8_3ELb0ES6_jNS0_17counting_iteratorIjlEEPS9_SE_NS0_5tupleIJPjSE_EEENSF_IJSE_SE_EEES9_SG_JZNS1_25segmented_radix_sort_implINS0_14default_configELb0EPKaPaPKlPlN2at6native12_GLOBAL__N_18offset_tEEE10hipError_tPvRmT1_PNSt15iterator_traitsISY_E10value_typeET2_T3_PNSZ_IS14_E10value_typeET4_jRbjT5_S1A_jjP12ihipStream_tbEUljE_EEESV_SW_SX_S14_S18_S1A_T6_T7_T9_mT8_S1C_bDpT10_ENKUlT_T0_E_clISt17integral_constantIbLb1EES1O_IbLb0EEEEDaS1K_S1L_EUlS1K_E_NS1_11comp_targetILNS1_3genE0ELNS1_11target_archE4294967295ELNS1_3gpuE0ELNS1_3repE0EEENS1_30default_config_static_selectorELNS0_4arch9wavefront6targetE0EEEvSY_ ; -- Begin function _ZN7rocprim17ROCPRIM_400000_NS6detail17trampoline_kernelINS0_13select_configILj256ELj13ELNS0_17block_load_methodE3ELS4_3ELS4_3ELNS0_20block_scan_algorithmE0ELj4294967295EEENS1_25partition_config_selectorILNS1_17partition_subalgoE3EjNS0_10empty_typeEbEEZZNS1_14partition_implILS8_3ELb0ES6_jNS0_17counting_iteratorIjlEEPS9_SE_NS0_5tupleIJPjSE_EEENSF_IJSE_SE_EEES9_SG_JZNS1_25segmented_radix_sort_implINS0_14default_configELb0EPKaPaPKlPlN2at6native12_GLOBAL__N_18offset_tEEE10hipError_tPvRmT1_PNSt15iterator_traitsISY_E10value_typeET2_T3_PNSZ_IS14_E10value_typeET4_jRbjT5_S1A_jjP12ihipStream_tbEUljE_EEESV_SW_SX_S14_S18_S1A_T6_T7_T9_mT8_S1C_bDpT10_ENKUlT_T0_E_clISt17integral_constantIbLb1EES1O_IbLb0EEEEDaS1K_S1L_EUlS1K_E_NS1_11comp_targetILNS1_3genE0ELNS1_11target_archE4294967295ELNS1_3gpuE0ELNS1_3repE0EEENS1_30default_config_static_selectorELNS0_4arch9wavefront6targetE0EEEvSY_
	.p2align	8
	.type	_ZN7rocprim17ROCPRIM_400000_NS6detail17trampoline_kernelINS0_13select_configILj256ELj13ELNS0_17block_load_methodE3ELS4_3ELS4_3ELNS0_20block_scan_algorithmE0ELj4294967295EEENS1_25partition_config_selectorILNS1_17partition_subalgoE3EjNS0_10empty_typeEbEEZZNS1_14partition_implILS8_3ELb0ES6_jNS0_17counting_iteratorIjlEEPS9_SE_NS0_5tupleIJPjSE_EEENSF_IJSE_SE_EEES9_SG_JZNS1_25segmented_radix_sort_implINS0_14default_configELb0EPKaPaPKlPlN2at6native12_GLOBAL__N_18offset_tEEE10hipError_tPvRmT1_PNSt15iterator_traitsISY_E10value_typeET2_T3_PNSZ_IS14_E10value_typeET4_jRbjT5_S1A_jjP12ihipStream_tbEUljE_EEESV_SW_SX_S14_S18_S1A_T6_T7_T9_mT8_S1C_bDpT10_ENKUlT_T0_E_clISt17integral_constantIbLb1EES1O_IbLb0EEEEDaS1K_S1L_EUlS1K_E_NS1_11comp_targetILNS1_3genE0ELNS1_11target_archE4294967295ELNS1_3gpuE0ELNS1_3repE0EEENS1_30default_config_static_selectorELNS0_4arch9wavefront6targetE0EEEvSY_,@function
_ZN7rocprim17ROCPRIM_400000_NS6detail17trampoline_kernelINS0_13select_configILj256ELj13ELNS0_17block_load_methodE3ELS4_3ELS4_3ELNS0_20block_scan_algorithmE0ELj4294967295EEENS1_25partition_config_selectorILNS1_17partition_subalgoE3EjNS0_10empty_typeEbEEZZNS1_14partition_implILS8_3ELb0ES6_jNS0_17counting_iteratorIjlEEPS9_SE_NS0_5tupleIJPjSE_EEENSF_IJSE_SE_EEES9_SG_JZNS1_25segmented_radix_sort_implINS0_14default_configELb0EPKaPaPKlPlN2at6native12_GLOBAL__N_18offset_tEEE10hipError_tPvRmT1_PNSt15iterator_traitsISY_E10value_typeET2_T3_PNSZ_IS14_E10value_typeET4_jRbjT5_S1A_jjP12ihipStream_tbEUljE_EEESV_SW_SX_S14_S18_S1A_T6_T7_T9_mT8_S1C_bDpT10_ENKUlT_T0_E_clISt17integral_constantIbLb1EES1O_IbLb0EEEEDaS1K_S1L_EUlS1K_E_NS1_11comp_targetILNS1_3genE0ELNS1_11target_archE4294967295ELNS1_3gpuE0ELNS1_3repE0EEENS1_30default_config_static_selectorELNS0_4arch9wavefront6targetE0EEEvSY_: ; @_ZN7rocprim17ROCPRIM_400000_NS6detail17trampoline_kernelINS0_13select_configILj256ELj13ELNS0_17block_load_methodE3ELS4_3ELS4_3ELNS0_20block_scan_algorithmE0ELj4294967295EEENS1_25partition_config_selectorILNS1_17partition_subalgoE3EjNS0_10empty_typeEbEEZZNS1_14partition_implILS8_3ELb0ES6_jNS0_17counting_iteratorIjlEEPS9_SE_NS0_5tupleIJPjSE_EEENSF_IJSE_SE_EEES9_SG_JZNS1_25segmented_radix_sort_implINS0_14default_configELb0EPKaPaPKlPlN2at6native12_GLOBAL__N_18offset_tEEE10hipError_tPvRmT1_PNSt15iterator_traitsISY_E10value_typeET2_T3_PNSZ_IS14_E10value_typeET4_jRbjT5_S1A_jjP12ihipStream_tbEUljE_EEESV_SW_SX_S14_S18_S1A_T6_T7_T9_mT8_S1C_bDpT10_ENKUlT_T0_E_clISt17integral_constantIbLb1EES1O_IbLb0EEEEDaS1K_S1L_EUlS1K_E_NS1_11comp_targetILNS1_3genE0ELNS1_11target_archE4294967295ELNS1_3gpuE0ELNS1_3repE0EEENS1_30default_config_static_selectorELNS0_4arch9wavefront6targetE0EEEvSY_
; %bb.0:
	s_endpgm
	.section	.rodata,"a",@progbits
	.p2align	6, 0x0
	.amdhsa_kernel _ZN7rocprim17ROCPRIM_400000_NS6detail17trampoline_kernelINS0_13select_configILj256ELj13ELNS0_17block_load_methodE3ELS4_3ELS4_3ELNS0_20block_scan_algorithmE0ELj4294967295EEENS1_25partition_config_selectorILNS1_17partition_subalgoE3EjNS0_10empty_typeEbEEZZNS1_14partition_implILS8_3ELb0ES6_jNS0_17counting_iteratorIjlEEPS9_SE_NS0_5tupleIJPjSE_EEENSF_IJSE_SE_EEES9_SG_JZNS1_25segmented_radix_sort_implINS0_14default_configELb0EPKaPaPKlPlN2at6native12_GLOBAL__N_18offset_tEEE10hipError_tPvRmT1_PNSt15iterator_traitsISY_E10value_typeET2_T3_PNSZ_IS14_E10value_typeET4_jRbjT5_S1A_jjP12ihipStream_tbEUljE_EEESV_SW_SX_S14_S18_S1A_T6_T7_T9_mT8_S1C_bDpT10_ENKUlT_T0_E_clISt17integral_constantIbLb1EES1O_IbLb0EEEEDaS1K_S1L_EUlS1K_E_NS1_11comp_targetILNS1_3genE0ELNS1_11target_archE4294967295ELNS1_3gpuE0ELNS1_3repE0EEENS1_30default_config_static_selectorELNS0_4arch9wavefront6targetE0EEEvSY_
		.amdhsa_group_segment_fixed_size 0
		.amdhsa_private_segment_fixed_size 0
		.amdhsa_kernarg_size 144
		.amdhsa_user_sgpr_count 2
		.amdhsa_user_sgpr_dispatch_ptr 0
		.amdhsa_user_sgpr_queue_ptr 0
		.amdhsa_user_sgpr_kernarg_segment_ptr 1
		.amdhsa_user_sgpr_dispatch_id 0
		.amdhsa_user_sgpr_kernarg_preload_length 0
		.amdhsa_user_sgpr_kernarg_preload_offset 0
		.amdhsa_user_sgpr_private_segment_size 0
		.amdhsa_wavefront_size32 1
		.amdhsa_uses_dynamic_stack 0
		.amdhsa_enable_private_segment 0
		.amdhsa_system_sgpr_workgroup_id_x 1
		.amdhsa_system_sgpr_workgroup_id_y 0
		.amdhsa_system_sgpr_workgroup_id_z 0
		.amdhsa_system_sgpr_workgroup_info 0
		.amdhsa_system_vgpr_workitem_id 0
		.amdhsa_next_free_vgpr 1
		.amdhsa_next_free_sgpr 1
		.amdhsa_named_barrier_count 0
		.amdhsa_reserve_vcc 0
		.amdhsa_float_round_mode_32 0
		.amdhsa_float_round_mode_16_64 0
		.amdhsa_float_denorm_mode_32 3
		.amdhsa_float_denorm_mode_16_64 3
		.amdhsa_fp16_overflow 0
		.amdhsa_memory_ordered 1
		.amdhsa_forward_progress 1
		.amdhsa_inst_pref_size 1
		.amdhsa_round_robin_scheduling 0
		.amdhsa_exception_fp_ieee_invalid_op 0
		.amdhsa_exception_fp_denorm_src 0
		.amdhsa_exception_fp_ieee_div_zero 0
		.amdhsa_exception_fp_ieee_overflow 0
		.amdhsa_exception_fp_ieee_underflow 0
		.amdhsa_exception_fp_ieee_inexact 0
		.amdhsa_exception_int_div_zero 0
	.end_amdhsa_kernel
	.section	.text._ZN7rocprim17ROCPRIM_400000_NS6detail17trampoline_kernelINS0_13select_configILj256ELj13ELNS0_17block_load_methodE3ELS4_3ELS4_3ELNS0_20block_scan_algorithmE0ELj4294967295EEENS1_25partition_config_selectorILNS1_17partition_subalgoE3EjNS0_10empty_typeEbEEZZNS1_14partition_implILS8_3ELb0ES6_jNS0_17counting_iteratorIjlEEPS9_SE_NS0_5tupleIJPjSE_EEENSF_IJSE_SE_EEES9_SG_JZNS1_25segmented_radix_sort_implINS0_14default_configELb0EPKaPaPKlPlN2at6native12_GLOBAL__N_18offset_tEEE10hipError_tPvRmT1_PNSt15iterator_traitsISY_E10value_typeET2_T3_PNSZ_IS14_E10value_typeET4_jRbjT5_S1A_jjP12ihipStream_tbEUljE_EEESV_SW_SX_S14_S18_S1A_T6_T7_T9_mT8_S1C_bDpT10_ENKUlT_T0_E_clISt17integral_constantIbLb1EES1O_IbLb0EEEEDaS1K_S1L_EUlS1K_E_NS1_11comp_targetILNS1_3genE0ELNS1_11target_archE4294967295ELNS1_3gpuE0ELNS1_3repE0EEENS1_30default_config_static_selectorELNS0_4arch9wavefront6targetE0EEEvSY_,"axG",@progbits,_ZN7rocprim17ROCPRIM_400000_NS6detail17trampoline_kernelINS0_13select_configILj256ELj13ELNS0_17block_load_methodE3ELS4_3ELS4_3ELNS0_20block_scan_algorithmE0ELj4294967295EEENS1_25partition_config_selectorILNS1_17partition_subalgoE3EjNS0_10empty_typeEbEEZZNS1_14partition_implILS8_3ELb0ES6_jNS0_17counting_iteratorIjlEEPS9_SE_NS0_5tupleIJPjSE_EEENSF_IJSE_SE_EEES9_SG_JZNS1_25segmented_radix_sort_implINS0_14default_configELb0EPKaPaPKlPlN2at6native12_GLOBAL__N_18offset_tEEE10hipError_tPvRmT1_PNSt15iterator_traitsISY_E10value_typeET2_T3_PNSZ_IS14_E10value_typeET4_jRbjT5_S1A_jjP12ihipStream_tbEUljE_EEESV_SW_SX_S14_S18_S1A_T6_T7_T9_mT8_S1C_bDpT10_ENKUlT_T0_E_clISt17integral_constantIbLb1EES1O_IbLb0EEEEDaS1K_S1L_EUlS1K_E_NS1_11comp_targetILNS1_3genE0ELNS1_11target_archE4294967295ELNS1_3gpuE0ELNS1_3repE0EEENS1_30default_config_static_selectorELNS0_4arch9wavefront6targetE0EEEvSY_,comdat
.Lfunc_end374:
	.size	_ZN7rocprim17ROCPRIM_400000_NS6detail17trampoline_kernelINS0_13select_configILj256ELj13ELNS0_17block_load_methodE3ELS4_3ELS4_3ELNS0_20block_scan_algorithmE0ELj4294967295EEENS1_25partition_config_selectorILNS1_17partition_subalgoE3EjNS0_10empty_typeEbEEZZNS1_14partition_implILS8_3ELb0ES6_jNS0_17counting_iteratorIjlEEPS9_SE_NS0_5tupleIJPjSE_EEENSF_IJSE_SE_EEES9_SG_JZNS1_25segmented_radix_sort_implINS0_14default_configELb0EPKaPaPKlPlN2at6native12_GLOBAL__N_18offset_tEEE10hipError_tPvRmT1_PNSt15iterator_traitsISY_E10value_typeET2_T3_PNSZ_IS14_E10value_typeET4_jRbjT5_S1A_jjP12ihipStream_tbEUljE_EEESV_SW_SX_S14_S18_S1A_T6_T7_T9_mT8_S1C_bDpT10_ENKUlT_T0_E_clISt17integral_constantIbLb1EES1O_IbLb0EEEEDaS1K_S1L_EUlS1K_E_NS1_11comp_targetILNS1_3genE0ELNS1_11target_archE4294967295ELNS1_3gpuE0ELNS1_3repE0EEENS1_30default_config_static_selectorELNS0_4arch9wavefront6targetE0EEEvSY_, .Lfunc_end374-_ZN7rocprim17ROCPRIM_400000_NS6detail17trampoline_kernelINS0_13select_configILj256ELj13ELNS0_17block_load_methodE3ELS4_3ELS4_3ELNS0_20block_scan_algorithmE0ELj4294967295EEENS1_25partition_config_selectorILNS1_17partition_subalgoE3EjNS0_10empty_typeEbEEZZNS1_14partition_implILS8_3ELb0ES6_jNS0_17counting_iteratorIjlEEPS9_SE_NS0_5tupleIJPjSE_EEENSF_IJSE_SE_EEES9_SG_JZNS1_25segmented_radix_sort_implINS0_14default_configELb0EPKaPaPKlPlN2at6native12_GLOBAL__N_18offset_tEEE10hipError_tPvRmT1_PNSt15iterator_traitsISY_E10value_typeET2_T3_PNSZ_IS14_E10value_typeET4_jRbjT5_S1A_jjP12ihipStream_tbEUljE_EEESV_SW_SX_S14_S18_S1A_T6_T7_T9_mT8_S1C_bDpT10_ENKUlT_T0_E_clISt17integral_constantIbLb1EES1O_IbLb0EEEEDaS1K_S1L_EUlS1K_E_NS1_11comp_targetILNS1_3genE0ELNS1_11target_archE4294967295ELNS1_3gpuE0ELNS1_3repE0EEENS1_30default_config_static_selectorELNS0_4arch9wavefront6targetE0EEEvSY_
                                        ; -- End function
	.set _ZN7rocprim17ROCPRIM_400000_NS6detail17trampoline_kernelINS0_13select_configILj256ELj13ELNS0_17block_load_methodE3ELS4_3ELS4_3ELNS0_20block_scan_algorithmE0ELj4294967295EEENS1_25partition_config_selectorILNS1_17partition_subalgoE3EjNS0_10empty_typeEbEEZZNS1_14partition_implILS8_3ELb0ES6_jNS0_17counting_iteratorIjlEEPS9_SE_NS0_5tupleIJPjSE_EEENSF_IJSE_SE_EEES9_SG_JZNS1_25segmented_radix_sort_implINS0_14default_configELb0EPKaPaPKlPlN2at6native12_GLOBAL__N_18offset_tEEE10hipError_tPvRmT1_PNSt15iterator_traitsISY_E10value_typeET2_T3_PNSZ_IS14_E10value_typeET4_jRbjT5_S1A_jjP12ihipStream_tbEUljE_EEESV_SW_SX_S14_S18_S1A_T6_T7_T9_mT8_S1C_bDpT10_ENKUlT_T0_E_clISt17integral_constantIbLb1EES1O_IbLb0EEEEDaS1K_S1L_EUlS1K_E_NS1_11comp_targetILNS1_3genE0ELNS1_11target_archE4294967295ELNS1_3gpuE0ELNS1_3repE0EEENS1_30default_config_static_selectorELNS0_4arch9wavefront6targetE0EEEvSY_.num_vgpr, 0
	.set _ZN7rocprim17ROCPRIM_400000_NS6detail17trampoline_kernelINS0_13select_configILj256ELj13ELNS0_17block_load_methodE3ELS4_3ELS4_3ELNS0_20block_scan_algorithmE0ELj4294967295EEENS1_25partition_config_selectorILNS1_17partition_subalgoE3EjNS0_10empty_typeEbEEZZNS1_14partition_implILS8_3ELb0ES6_jNS0_17counting_iteratorIjlEEPS9_SE_NS0_5tupleIJPjSE_EEENSF_IJSE_SE_EEES9_SG_JZNS1_25segmented_radix_sort_implINS0_14default_configELb0EPKaPaPKlPlN2at6native12_GLOBAL__N_18offset_tEEE10hipError_tPvRmT1_PNSt15iterator_traitsISY_E10value_typeET2_T3_PNSZ_IS14_E10value_typeET4_jRbjT5_S1A_jjP12ihipStream_tbEUljE_EEESV_SW_SX_S14_S18_S1A_T6_T7_T9_mT8_S1C_bDpT10_ENKUlT_T0_E_clISt17integral_constantIbLb1EES1O_IbLb0EEEEDaS1K_S1L_EUlS1K_E_NS1_11comp_targetILNS1_3genE0ELNS1_11target_archE4294967295ELNS1_3gpuE0ELNS1_3repE0EEENS1_30default_config_static_selectorELNS0_4arch9wavefront6targetE0EEEvSY_.num_agpr, 0
	.set _ZN7rocprim17ROCPRIM_400000_NS6detail17trampoline_kernelINS0_13select_configILj256ELj13ELNS0_17block_load_methodE3ELS4_3ELS4_3ELNS0_20block_scan_algorithmE0ELj4294967295EEENS1_25partition_config_selectorILNS1_17partition_subalgoE3EjNS0_10empty_typeEbEEZZNS1_14partition_implILS8_3ELb0ES6_jNS0_17counting_iteratorIjlEEPS9_SE_NS0_5tupleIJPjSE_EEENSF_IJSE_SE_EEES9_SG_JZNS1_25segmented_radix_sort_implINS0_14default_configELb0EPKaPaPKlPlN2at6native12_GLOBAL__N_18offset_tEEE10hipError_tPvRmT1_PNSt15iterator_traitsISY_E10value_typeET2_T3_PNSZ_IS14_E10value_typeET4_jRbjT5_S1A_jjP12ihipStream_tbEUljE_EEESV_SW_SX_S14_S18_S1A_T6_T7_T9_mT8_S1C_bDpT10_ENKUlT_T0_E_clISt17integral_constantIbLb1EES1O_IbLb0EEEEDaS1K_S1L_EUlS1K_E_NS1_11comp_targetILNS1_3genE0ELNS1_11target_archE4294967295ELNS1_3gpuE0ELNS1_3repE0EEENS1_30default_config_static_selectorELNS0_4arch9wavefront6targetE0EEEvSY_.numbered_sgpr, 0
	.set _ZN7rocprim17ROCPRIM_400000_NS6detail17trampoline_kernelINS0_13select_configILj256ELj13ELNS0_17block_load_methodE3ELS4_3ELS4_3ELNS0_20block_scan_algorithmE0ELj4294967295EEENS1_25partition_config_selectorILNS1_17partition_subalgoE3EjNS0_10empty_typeEbEEZZNS1_14partition_implILS8_3ELb0ES6_jNS0_17counting_iteratorIjlEEPS9_SE_NS0_5tupleIJPjSE_EEENSF_IJSE_SE_EEES9_SG_JZNS1_25segmented_radix_sort_implINS0_14default_configELb0EPKaPaPKlPlN2at6native12_GLOBAL__N_18offset_tEEE10hipError_tPvRmT1_PNSt15iterator_traitsISY_E10value_typeET2_T3_PNSZ_IS14_E10value_typeET4_jRbjT5_S1A_jjP12ihipStream_tbEUljE_EEESV_SW_SX_S14_S18_S1A_T6_T7_T9_mT8_S1C_bDpT10_ENKUlT_T0_E_clISt17integral_constantIbLb1EES1O_IbLb0EEEEDaS1K_S1L_EUlS1K_E_NS1_11comp_targetILNS1_3genE0ELNS1_11target_archE4294967295ELNS1_3gpuE0ELNS1_3repE0EEENS1_30default_config_static_selectorELNS0_4arch9wavefront6targetE0EEEvSY_.num_named_barrier, 0
	.set _ZN7rocprim17ROCPRIM_400000_NS6detail17trampoline_kernelINS0_13select_configILj256ELj13ELNS0_17block_load_methodE3ELS4_3ELS4_3ELNS0_20block_scan_algorithmE0ELj4294967295EEENS1_25partition_config_selectorILNS1_17partition_subalgoE3EjNS0_10empty_typeEbEEZZNS1_14partition_implILS8_3ELb0ES6_jNS0_17counting_iteratorIjlEEPS9_SE_NS0_5tupleIJPjSE_EEENSF_IJSE_SE_EEES9_SG_JZNS1_25segmented_radix_sort_implINS0_14default_configELb0EPKaPaPKlPlN2at6native12_GLOBAL__N_18offset_tEEE10hipError_tPvRmT1_PNSt15iterator_traitsISY_E10value_typeET2_T3_PNSZ_IS14_E10value_typeET4_jRbjT5_S1A_jjP12ihipStream_tbEUljE_EEESV_SW_SX_S14_S18_S1A_T6_T7_T9_mT8_S1C_bDpT10_ENKUlT_T0_E_clISt17integral_constantIbLb1EES1O_IbLb0EEEEDaS1K_S1L_EUlS1K_E_NS1_11comp_targetILNS1_3genE0ELNS1_11target_archE4294967295ELNS1_3gpuE0ELNS1_3repE0EEENS1_30default_config_static_selectorELNS0_4arch9wavefront6targetE0EEEvSY_.private_seg_size, 0
	.set _ZN7rocprim17ROCPRIM_400000_NS6detail17trampoline_kernelINS0_13select_configILj256ELj13ELNS0_17block_load_methodE3ELS4_3ELS4_3ELNS0_20block_scan_algorithmE0ELj4294967295EEENS1_25partition_config_selectorILNS1_17partition_subalgoE3EjNS0_10empty_typeEbEEZZNS1_14partition_implILS8_3ELb0ES6_jNS0_17counting_iteratorIjlEEPS9_SE_NS0_5tupleIJPjSE_EEENSF_IJSE_SE_EEES9_SG_JZNS1_25segmented_radix_sort_implINS0_14default_configELb0EPKaPaPKlPlN2at6native12_GLOBAL__N_18offset_tEEE10hipError_tPvRmT1_PNSt15iterator_traitsISY_E10value_typeET2_T3_PNSZ_IS14_E10value_typeET4_jRbjT5_S1A_jjP12ihipStream_tbEUljE_EEESV_SW_SX_S14_S18_S1A_T6_T7_T9_mT8_S1C_bDpT10_ENKUlT_T0_E_clISt17integral_constantIbLb1EES1O_IbLb0EEEEDaS1K_S1L_EUlS1K_E_NS1_11comp_targetILNS1_3genE0ELNS1_11target_archE4294967295ELNS1_3gpuE0ELNS1_3repE0EEENS1_30default_config_static_selectorELNS0_4arch9wavefront6targetE0EEEvSY_.uses_vcc, 0
	.set _ZN7rocprim17ROCPRIM_400000_NS6detail17trampoline_kernelINS0_13select_configILj256ELj13ELNS0_17block_load_methodE3ELS4_3ELS4_3ELNS0_20block_scan_algorithmE0ELj4294967295EEENS1_25partition_config_selectorILNS1_17partition_subalgoE3EjNS0_10empty_typeEbEEZZNS1_14partition_implILS8_3ELb0ES6_jNS0_17counting_iteratorIjlEEPS9_SE_NS0_5tupleIJPjSE_EEENSF_IJSE_SE_EEES9_SG_JZNS1_25segmented_radix_sort_implINS0_14default_configELb0EPKaPaPKlPlN2at6native12_GLOBAL__N_18offset_tEEE10hipError_tPvRmT1_PNSt15iterator_traitsISY_E10value_typeET2_T3_PNSZ_IS14_E10value_typeET4_jRbjT5_S1A_jjP12ihipStream_tbEUljE_EEESV_SW_SX_S14_S18_S1A_T6_T7_T9_mT8_S1C_bDpT10_ENKUlT_T0_E_clISt17integral_constantIbLb1EES1O_IbLb0EEEEDaS1K_S1L_EUlS1K_E_NS1_11comp_targetILNS1_3genE0ELNS1_11target_archE4294967295ELNS1_3gpuE0ELNS1_3repE0EEENS1_30default_config_static_selectorELNS0_4arch9wavefront6targetE0EEEvSY_.uses_flat_scratch, 0
	.set _ZN7rocprim17ROCPRIM_400000_NS6detail17trampoline_kernelINS0_13select_configILj256ELj13ELNS0_17block_load_methodE3ELS4_3ELS4_3ELNS0_20block_scan_algorithmE0ELj4294967295EEENS1_25partition_config_selectorILNS1_17partition_subalgoE3EjNS0_10empty_typeEbEEZZNS1_14partition_implILS8_3ELb0ES6_jNS0_17counting_iteratorIjlEEPS9_SE_NS0_5tupleIJPjSE_EEENSF_IJSE_SE_EEES9_SG_JZNS1_25segmented_radix_sort_implINS0_14default_configELb0EPKaPaPKlPlN2at6native12_GLOBAL__N_18offset_tEEE10hipError_tPvRmT1_PNSt15iterator_traitsISY_E10value_typeET2_T3_PNSZ_IS14_E10value_typeET4_jRbjT5_S1A_jjP12ihipStream_tbEUljE_EEESV_SW_SX_S14_S18_S1A_T6_T7_T9_mT8_S1C_bDpT10_ENKUlT_T0_E_clISt17integral_constantIbLb1EES1O_IbLb0EEEEDaS1K_S1L_EUlS1K_E_NS1_11comp_targetILNS1_3genE0ELNS1_11target_archE4294967295ELNS1_3gpuE0ELNS1_3repE0EEENS1_30default_config_static_selectorELNS0_4arch9wavefront6targetE0EEEvSY_.has_dyn_sized_stack, 0
	.set _ZN7rocprim17ROCPRIM_400000_NS6detail17trampoline_kernelINS0_13select_configILj256ELj13ELNS0_17block_load_methodE3ELS4_3ELS4_3ELNS0_20block_scan_algorithmE0ELj4294967295EEENS1_25partition_config_selectorILNS1_17partition_subalgoE3EjNS0_10empty_typeEbEEZZNS1_14partition_implILS8_3ELb0ES6_jNS0_17counting_iteratorIjlEEPS9_SE_NS0_5tupleIJPjSE_EEENSF_IJSE_SE_EEES9_SG_JZNS1_25segmented_radix_sort_implINS0_14default_configELb0EPKaPaPKlPlN2at6native12_GLOBAL__N_18offset_tEEE10hipError_tPvRmT1_PNSt15iterator_traitsISY_E10value_typeET2_T3_PNSZ_IS14_E10value_typeET4_jRbjT5_S1A_jjP12ihipStream_tbEUljE_EEESV_SW_SX_S14_S18_S1A_T6_T7_T9_mT8_S1C_bDpT10_ENKUlT_T0_E_clISt17integral_constantIbLb1EES1O_IbLb0EEEEDaS1K_S1L_EUlS1K_E_NS1_11comp_targetILNS1_3genE0ELNS1_11target_archE4294967295ELNS1_3gpuE0ELNS1_3repE0EEENS1_30default_config_static_selectorELNS0_4arch9wavefront6targetE0EEEvSY_.has_recursion, 0
	.set _ZN7rocprim17ROCPRIM_400000_NS6detail17trampoline_kernelINS0_13select_configILj256ELj13ELNS0_17block_load_methodE3ELS4_3ELS4_3ELNS0_20block_scan_algorithmE0ELj4294967295EEENS1_25partition_config_selectorILNS1_17partition_subalgoE3EjNS0_10empty_typeEbEEZZNS1_14partition_implILS8_3ELb0ES6_jNS0_17counting_iteratorIjlEEPS9_SE_NS0_5tupleIJPjSE_EEENSF_IJSE_SE_EEES9_SG_JZNS1_25segmented_radix_sort_implINS0_14default_configELb0EPKaPaPKlPlN2at6native12_GLOBAL__N_18offset_tEEE10hipError_tPvRmT1_PNSt15iterator_traitsISY_E10value_typeET2_T3_PNSZ_IS14_E10value_typeET4_jRbjT5_S1A_jjP12ihipStream_tbEUljE_EEESV_SW_SX_S14_S18_S1A_T6_T7_T9_mT8_S1C_bDpT10_ENKUlT_T0_E_clISt17integral_constantIbLb1EES1O_IbLb0EEEEDaS1K_S1L_EUlS1K_E_NS1_11comp_targetILNS1_3genE0ELNS1_11target_archE4294967295ELNS1_3gpuE0ELNS1_3repE0EEENS1_30default_config_static_selectorELNS0_4arch9wavefront6targetE0EEEvSY_.has_indirect_call, 0
	.section	.AMDGPU.csdata,"",@progbits
; Kernel info:
; codeLenInByte = 4
; TotalNumSgprs: 0
; NumVgprs: 0
; ScratchSize: 0
; MemoryBound: 0
; FloatMode: 240
; IeeeMode: 1
; LDSByteSize: 0 bytes/workgroup (compile time only)
; SGPRBlocks: 0
; VGPRBlocks: 0
; NumSGPRsForWavesPerEU: 1
; NumVGPRsForWavesPerEU: 1
; NamedBarCnt: 0
; Occupancy: 16
; WaveLimiterHint : 0
; COMPUTE_PGM_RSRC2:SCRATCH_EN: 0
; COMPUTE_PGM_RSRC2:USER_SGPR: 2
; COMPUTE_PGM_RSRC2:TRAP_HANDLER: 0
; COMPUTE_PGM_RSRC2:TGID_X_EN: 1
; COMPUTE_PGM_RSRC2:TGID_Y_EN: 0
; COMPUTE_PGM_RSRC2:TGID_Z_EN: 0
; COMPUTE_PGM_RSRC2:TIDIG_COMP_CNT: 0
	.section	.text._ZN7rocprim17ROCPRIM_400000_NS6detail17trampoline_kernelINS0_13select_configILj256ELj13ELNS0_17block_load_methodE3ELS4_3ELS4_3ELNS0_20block_scan_algorithmE0ELj4294967295EEENS1_25partition_config_selectorILNS1_17partition_subalgoE3EjNS0_10empty_typeEbEEZZNS1_14partition_implILS8_3ELb0ES6_jNS0_17counting_iteratorIjlEEPS9_SE_NS0_5tupleIJPjSE_EEENSF_IJSE_SE_EEES9_SG_JZNS1_25segmented_radix_sort_implINS0_14default_configELb0EPKaPaPKlPlN2at6native12_GLOBAL__N_18offset_tEEE10hipError_tPvRmT1_PNSt15iterator_traitsISY_E10value_typeET2_T3_PNSZ_IS14_E10value_typeET4_jRbjT5_S1A_jjP12ihipStream_tbEUljE_EEESV_SW_SX_S14_S18_S1A_T6_T7_T9_mT8_S1C_bDpT10_ENKUlT_T0_E_clISt17integral_constantIbLb1EES1O_IbLb0EEEEDaS1K_S1L_EUlS1K_E_NS1_11comp_targetILNS1_3genE5ELNS1_11target_archE942ELNS1_3gpuE9ELNS1_3repE0EEENS1_30default_config_static_selectorELNS0_4arch9wavefront6targetE0EEEvSY_,"axG",@progbits,_ZN7rocprim17ROCPRIM_400000_NS6detail17trampoline_kernelINS0_13select_configILj256ELj13ELNS0_17block_load_methodE3ELS4_3ELS4_3ELNS0_20block_scan_algorithmE0ELj4294967295EEENS1_25partition_config_selectorILNS1_17partition_subalgoE3EjNS0_10empty_typeEbEEZZNS1_14partition_implILS8_3ELb0ES6_jNS0_17counting_iteratorIjlEEPS9_SE_NS0_5tupleIJPjSE_EEENSF_IJSE_SE_EEES9_SG_JZNS1_25segmented_radix_sort_implINS0_14default_configELb0EPKaPaPKlPlN2at6native12_GLOBAL__N_18offset_tEEE10hipError_tPvRmT1_PNSt15iterator_traitsISY_E10value_typeET2_T3_PNSZ_IS14_E10value_typeET4_jRbjT5_S1A_jjP12ihipStream_tbEUljE_EEESV_SW_SX_S14_S18_S1A_T6_T7_T9_mT8_S1C_bDpT10_ENKUlT_T0_E_clISt17integral_constantIbLb1EES1O_IbLb0EEEEDaS1K_S1L_EUlS1K_E_NS1_11comp_targetILNS1_3genE5ELNS1_11target_archE942ELNS1_3gpuE9ELNS1_3repE0EEENS1_30default_config_static_selectorELNS0_4arch9wavefront6targetE0EEEvSY_,comdat
	.globl	_ZN7rocprim17ROCPRIM_400000_NS6detail17trampoline_kernelINS0_13select_configILj256ELj13ELNS0_17block_load_methodE3ELS4_3ELS4_3ELNS0_20block_scan_algorithmE0ELj4294967295EEENS1_25partition_config_selectorILNS1_17partition_subalgoE3EjNS0_10empty_typeEbEEZZNS1_14partition_implILS8_3ELb0ES6_jNS0_17counting_iteratorIjlEEPS9_SE_NS0_5tupleIJPjSE_EEENSF_IJSE_SE_EEES9_SG_JZNS1_25segmented_radix_sort_implINS0_14default_configELb0EPKaPaPKlPlN2at6native12_GLOBAL__N_18offset_tEEE10hipError_tPvRmT1_PNSt15iterator_traitsISY_E10value_typeET2_T3_PNSZ_IS14_E10value_typeET4_jRbjT5_S1A_jjP12ihipStream_tbEUljE_EEESV_SW_SX_S14_S18_S1A_T6_T7_T9_mT8_S1C_bDpT10_ENKUlT_T0_E_clISt17integral_constantIbLb1EES1O_IbLb0EEEEDaS1K_S1L_EUlS1K_E_NS1_11comp_targetILNS1_3genE5ELNS1_11target_archE942ELNS1_3gpuE9ELNS1_3repE0EEENS1_30default_config_static_selectorELNS0_4arch9wavefront6targetE0EEEvSY_ ; -- Begin function _ZN7rocprim17ROCPRIM_400000_NS6detail17trampoline_kernelINS0_13select_configILj256ELj13ELNS0_17block_load_methodE3ELS4_3ELS4_3ELNS0_20block_scan_algorithmE0ELj4294967295EEENS1_25partition_config_selectorILNS1_17partition_subalgoE3EjNS0_10empty_typeEbEEZZNS1_14partition_implILS8_3ELb0ES6_jNS0_17counting_iteratorIjlEEPS9_SE_NS0_5tupleIJPjSE_EEENSF_IJSE_SE_EEES9_SG_JZNS1_25segmented_radix_sort_implINS0_14default_configELb0EPKaPaPKlPlN2at6native12_GLOBAL__N_18offset_tEEE10hipError_tPvRmT1_PNSt15iterator_traitsISY_E10value_typeET2_T3_PNSZ_IS14_E10value_typeET4_jRbjT5_S1A_jjP12ihipStream_tbEUljE_EEESV_SW_SX_S14_S18_S1A_T6_T7_T9_mT8_S1C_bDpT10_ENKUlT_T0_E_clISt17integral_constantIbLb1EES1O_IbLb0EEEEDaS1K_S1L_EUlS1K_E_NS1_11comp_targetILNS1_3genE5ELNS1_11target_archE942ELNS1_3gpuE9ELNS1_3repE0EEENS1_30default_config_static_selectorELNS0_4arch9wavefront6targetE0EEEvSY_
	.p2align	8
	.type	_ZN7rocprim17ROCPRIM_400000_NS6detail17trampoline_kernelINS0_13select_configILj256ELj13ELNS0_17block_load_methodE3ELS4_3ELS4_3ELNS0_20block_scan_algorithmE0ELj4294967295EEENS1_25partition_config_selectorILNS1_17partition_subalgoE3EjNS0_10empty_typeEbEEZZNS1_14partition_implILS8_3ELb0ES6_jNS0_17counting_iteratorIjlEEPS9_SE_NS0_5tupleIJPjSE_EEENSF_IJSE_SE_EEES9_SG_JZNS1_25segmented_radix_sort_implINS0_14default_configELb0EPKaPaPKlPlN2at6native12_GLOBAL__N_18offset_tEEE10hipError_tPvRmT1_PNSt15iterator_traitsISY_E10value_typeET2_T3_PNSZ_IS14_E10value_typeET4_jRbjT5_S1A_jjP12ihipStream_tbEUljE_EEESV_SW_SX_S14_S18_S1A_T6_T7_T9_mT8_S1C_bDpT10_ENKUlT_T0_E_clISt17integral_constantIbLb1EES1O_IbLb0EEEEDaS1K_S1L_EUlS1K_E_NS1_11comp_targetILNS1_3genE5ELNS1_11target_archE942ELNS1_3gpuE9ELNS1_3repE0EEENS1_30default_config_static_selectorELNS0_4arch9wavefront6targetE0EEEvSY_,@function
_ZN7rocprim17ROCPRIM_400000_NS6detail17trampoline_kernelINS0_13select_configILj256ELj13ELNS0_17block_load_methodE3ELS4_3ELS4_3ELNS0_20block_scan_algorithmE0ELj4294967295EEENS1_25partition_config_selectorILNS1_17partition_subalgoE3EjNS0_10empty_typeEbEEZZNS1_14partition_implILS8_3ELb0ES6_jNS0_17counting_iteratorIjlEEPS9_SE_NS0_5tupleIJPjSE_EEENSF_IJSE_SE_EEES9_SG_JZNS1_25segmented_radix_sort_implINS0_14default_configELb0EPKaPaPKlPlN2at6native12_GLOBAL__N_18offset_tEEE10hipError_tPvRmT1_PNSt15iterator_traitsISY_E10value_typeET2_T3_PNSZ_IS14_E10value_typeET4_jRbjT5_S1A_jjP12ihipStream_tbEUljE_EEESV_SW_SX_S14_S18_S1A_T6_T7_T9_mT8_S1C_bDpT10_ENKUlT_T0_E_clISt17integral_constantIbLb1EES1O_IbLb0EEEEDaS1K_S1L_EUlS1K_E_NS1_11comp_targetILNS1_3genE5ELNS1_11target_archE942ELNS1_3gpuE9ELNS1_3repE0EEENS1_30default_config_static_selectorELNS0_4arch9wavefront6targetE0EEEvSY_: ; @_ZN7rocprim17ROCPRIM_400000_NS6detail17trampoline_kernelINS0_13select_configILj256ELj13ELNS0_17block_load_methodE3ELS4_3ELS4_3ELNS0_20block_scan_algorithmE0ELj4294967295EEENS1_25partition_config_selectorILNS1_17partition_subalgoE3EjNS0_10empty_typeEbEEZZNS1_14partition_implILS8_3ELb0ES6_jNS0_17counting_iteratorIjlEEPS9_SE_NS0_5tupleIJPjSE_EEENSF_IJSE_SE_EEES9_SG_JZNS1_25segmented_radix_sort_implINS0_14default_configELb0EPKaPaPKlPlN2at6native12_GLOBAL__N_18offset_tEEE10hipError_tPvRmT1_PNSt15iterator_traitsISY_E10value_typeET2_T3_PNSZ_IS14_E10value_typeET4_jRbjT5_S1A_jjP12ihipStream_tbEUljE_EEESV_SW_SX_S14_S18_S1A_T6_T7_T9_mT8_S1C_bDpT10_ENKUlT_T0_E_clISt17integral_constantIbLb1EES1O_IbLb0EEEEDaS1K_S1L_EUlS1K_E_NS1_11comp_targetILNS1_3genE5ELNS1_11target_archE942ELNS1_3gpuE9ELNS1_3repE0EEENS1_30default_config_static_selectorELNS0_4arch9wavefront6targetE0EEEvSY_
; %bb.0:
	.section	.rodata,"a",@progbits
	.p2align	6, 0x0
	.amdhsa_kernel _ZN7rocprim17ROCPRIM_400000_NS6detail17trampoline_kernelINS0_13select_configILj256ELj13ELNS0_17block_load_methodE3ELS4_3ELS4_3ELNS0_20block_scan_algorithmE0ELj4294967295EEENS1_25partition_config_selectorILNS1_17partition_subalgoE3EjNS0_10empty_typeEbEEZZNS1_14partition_implILS8_3ELb0ES6_jNS0_17counting_iteratorIjlEEPS9_SE_NS0_5tupleIJPjSE_EEENSF_IJSE_SE_EEES9_SG_JZNS1_25segmented_radix_sort_implINS0_14default_configELb0EPKaPaPKlPlN2at6native12_GLOBAL__N_18offset_tEEE10hipError_tPvRmT1_PNSt15iterator_traitsISY_E10value_typeET2_T3_PNSZ_IS14_E10value_typeET4_jRbjT5_S1A_jjP12ihipStream_tbEUljE_EEESV_SW_SX_S14_S18_S1A_T6_T7_T9_mT8_S1C_bDpT10_ENKUlT_T0_E_clISt17integral_constantIbLb1EES1O_IbLb0EEEEDaS1K_S1L_EUlS1K_E_NS1_11comp_targetILNS1_3genE5ELNS1_11target_archE942ELNS1_3gpuE9ELNS1_3repE0EEENS1_30default_config_static_selectorELNS0_4arch9wavefront6targetE0EEEvSY_
		.amdhsa_group_segment_fixed_size 0
		.amdhsa_private_segment_fixed_size 0
		.amdhsa_kernarg_size 144
		.amdhsa_user_sgpr_count 2
		.amdhsa_user_sgpr_dispatch_ptr 0
		.amdhsa_user_sgpr_queue_ptr 0
		.amdhsa_user_sgpr_kernarg_segment_ptr 1
		.amdhsa_user_sgpr_dispatch_id 0
		.amdhsa_user_sgpr_kernarg_preload_length 0
		.amdhsa_user_sgpr_kernarg_preload_offset 0
		.amdhsa_user_sgpr_private_segment_size 0
		.amdhsa_wavefront_size32 1
		.amdhsa_uses_dynamic_stack 0
		.amdhsa_enable_private_segment 0
		.amdhsa_system_sgpr_workgroup_id_x 1
		.amdhsa_system_sgpr_workgroup_id_y 0
		.amdhsa_system_sgpr_workgroup_id_z 0
		.amdhsa_system_sgpr_workgroup_info 0
		.amdhsa_system_vgpr_workitem_id 0
		.amdhsa_next_free_vgpr 1
		.amdhsa_next_free_sgpr 1
		.amdhsa_named_barrier_count 0
		.amdhsa_reserve_vcc 0
		.amdhsa_float_round_mode_32 0
		.amdhsa_float_round_mode_16_64 0
		.amdhsa_float_denorm_mode_32 3
		.amdhsa_float_denorm_mode_16_64 3
		.amdhsa_fp16_overflow 0
		.amdhsa_memory_ordered 1
		.amdhsa_forward_progress 1
		.amdhsa_inst_pref_size 0
		.amdhsa_round_robin_scheduling 0
		.amdhsa_exception_fp_ieee_invalid_op 0
		.amdhsa_exception_fp_denorm_src 0
		.amdhsa_exception_fp_ieee_div_zero 0
		.amdhsa_exception_fp_ieee_overflow 0
		.amdhsa_exception_fp_ieee_underflow 0
		.amdhsa_exception_fp_ieee_inexact 0
		.amdhsa_exception_int_div_zero 0
	.end_amdhsa_kernel
	.section	.text._ZN7rocprim17ROCPRIM_400000_NS6detail17trampoline_kernelINS0_13select_configILj256ELj13ELNS0_17block_load_methodE3ELS4_3ELS4_3ELNS0_20block_scan_algorithmE0ELj4294967295EEENS1_25partition_config_selectorILNS1_17partition_subalgoE3EjNS0_10empty_typeEbEEZZNS1_14partition_implILS8_3ELb0ES6_jNS0_17counting_iteratorIjlEEPS9_SE_NS0_5tupleIJPjSE_EEENSF_IJSE_SE_EEES9_SG_JZNS1_25segmented_radix_sort_implINS0_14default_configELb0EPKaPaPKlPlN2at6native12_GLOBAL__N_18offset_tEEE10hipError_tPvRmT1_PNSt15iterator_traitsISY_E10value_typeET2_T3_PNSZ_IS14_E10value_typeET4_jRbjT5_S1A_jjP12ihipStream_tbEUljE_EEESV_SW_SX_S14_S18_S1A_T6_T7_T9_mT8_S1C_bDpT10_ENKUlT_T0_E_clISt17integral_constantIbLb1EES1O_IbLb0EEEEDaS1K_S1L_EUlS1K_E_NS1_11comp_targetILNS1_3genE5ELNS1_11target_archE942ELNS1_3gpuE9ELNS1_3repE0EEENS1_30default_config_static_selectorELNS0_4arch9wavefront6targetE0EEEvSY_,"axG",@progbits,_ZN7rocprim17ROCPRIM_400000_NS6detail17trampoline_kernelINS0_13select_configILj256ELj13ELNS0_17block_load_methodE3ELS4_3ELS4_3ELNS0_20block_scan_algorithmE0ELj4294967295EEENS1_25partition_config_selectorILNS1_17partition_subalgoE3EjNS0_10empty_typeEbEEZZNS1_14partition_implILS8_3ELb0ES6_jNS0_17counting_iteratorIjlEEPS9_SE_NS0_5tupleIJPjSE_EEENSF_IJSE_SE_EEES9_SG_JZNS1_25segmented_radix_sort_implINS0_14default_configELb0EPKaPaPKlPlN2at6native12_GLOBAL__N_18offset_tEEE10hipError_tPvRmT1_PNSt15iterator_traitsISY_E10value_typeET2_T3_PNSZ_IS14_E10value_typeET4_jRbjT5_S1A_jjP12ihipStream_tbEUljE_EEESV_SW_SX_S14_S18_S1A_T6_T7_T9_mT8_S1C_bDpT10_ENKUlT_T0_E_clISt17integral_constantIbLb1EES1O_IbLb0EEEEDaS1K_S1L_EUlS1K_E_NS1_11comp_targetILNS1_3genE5ELNS1_11target_archE942ELNS1_3gpuE9ELNS1_3repE0EEENS1_30default_config_static_selectorELNS0_4arch9wavefront6targetE0EEEvSY_,comdat
.Lfunc_end375:
	.size	_ZN7rocprim17ROCPRIM_400000_NS6detail17trampoline_kernelINS0_13select_configILj256ELj13ELNS0_17block_load_methodE3ELS4_3ELS4_3ELNS0_20block_scan_algorithmE0ELj4294967295EEENS1_25partition_config_selectorILNS1_17partition_subalgoE3EjNS0_10empty_typeEbEEZZNS1_14partition_implILS8_3ELb0ES6_jNS0_17counting_iteratorIjlEEPS9_SE_NS0_5tupleIJPjSE_EEENSF_IJSE_SE_EEES9_SG_JZNS1_25segmented_radix_sort_implINS0_14default_configELb0EPKaPaPKlPlN2at6native12_GLOBAL__N_18offset_tEEE10hipError_tPvRmT1_PNSt15iterator_traitsISY_E10value_typeET2_T3_PNSZ_IS14_E10value_typeET4_jRbjT5_S1A_jjP12ihipStream_tbEUljE_EEESV_SW_SX_S14_S18_S1A_T6_T7_T9_mT8_S1C_bDpT10_ENKUlT_T0_E_clISt17integral_constantIbLb1EES1O_IbLb0EEEEDaS1K_S1L_EUlS1K_E_NS1_11comp_targetILNS1_3genE5ELNS1_11target_archE942ELNS1_3gpuE9ELNS1_3repE0EEENS1_30default_config_static_selectorELNS0_4arch9wavefront6targetE0EEEvSY_, .Lfunc_end375-_ZN7rocprim17ROCPRIM_400000_NS6detail17trampoline_kernelINS0_13select_configILj256ELj13ELNS0_17block_load_methodE3ELS4_3ELS4_3ELNS0_20block_scan_algorithmE0ELj4294967295EEENS1_25partition_config_selectorILNS1_17partition_subalgoE3EjNS0_10empty_typeEbEEZZNS1_14partition_implILS8_3ELb0ES6_jNS0_17counting_iteratorIjlEEPS9_SE_NS0_5tupleIJPjSE_EEENSF_IJSE_SE_EEES9_SG_JZNS1_25segmented_radix_sort_implINS0_14default_configELb0EPKaPaPKlPlN2at6native12_GLOBAL__N_18offset_tEEE10hipError_tPvRmT1_PNSt15iterator_traitsISY_E10value_typeET2_T3_PNSZ_IS14_E10value_typeET4_jRbjT5_S1A_jjP12ihipStream_tbEUljE_EEESV_SW_SX_S14_S18_S1A_T6_T7_T9_mT8_S1C_bDpT10_ENKUlT_T0_E_clISt17integral_constantIbLb1EES1O_IbLb0EEEEDaS1K_S1L_EUlS1K_E_NS1_11comp_targetILNS1_3genE5ELNS1_11target_archE942ELNS1_3gpuE9ELNS1_3repE0EEENS1_30default_config_static_selectorELNS0_4arch9wavefront6targetE0EEEvSY_
                                        ; -- End function
	.set _ZN7rocprim17ROCPRIM_400000_NS6detail17trampoline_kernelINS0_13select_configILj256ELj13ELNS0_17block_load_methodE3ELS4_3ELS4_3ELNS0_20block_scan_algorithmE0ELj4294967295EEENS1_25partition_config_selectorILNS1_17partition_subalgoE3EjNS0_10empty_typeEbEEZZNS1_14partition_implILS8_3ELb0ES6_jNS0_17counting_iteratorIjlEEPS9_SE_NS0_5tupleIJPjSE_EEENSF_IJSE_SE_EEES9_SG_JZNS1_25segmented_radix_sort_implINS0_14default_configELb0EPKaPaPKlPlN2at6native12_GLOBAL__N_18offset_tEEE10hipError_tPvRmT1_PNSt15iterator_traitsISY_E10value_typeET2_T3_PNSZ_IS14_E10value_typeET4_jRbjT5_S1A_jjP12ihipStream_tbEUljE_EEESV_SW_SX_S14_S18_S1A_T6_T7_T9_mT8_S1C_bDpT10_ENKUlT_T0_E_clISt17integral_constantIbLb1EES1O_IbLb0EEEEDaS1K_S1L_EUlS1K_E_NS1_11comp_targetILNS1_3genE5ELNS1_11target_archE942ELNS1_3gpuE9ELNS1_3repE0EEENS1_30default_config_static_selectorELNS0_4arch9wavefront6targetE0EEEvSY_.num_vgpr, 0
	.set _ZN7rocprim17ROCPRIM_400000_NS6detail17trampoline_kernelINS0_13select_configILj256ELj13ELNS0_17block_load_methodE3ELS4_3ELS4_3ELNS0_20block_scan_algorithmE0ELj4294967295EEENS1_25partition_config_selectorILNS1_17partition_subalgoE3EjNS0_10empty_typeEbEEZZNS1_14partition_implILS8_3ELb0ES6_jNS0_17counting_iteratorIjlEEPS9_SE_NS0_5tupleIJPjSE_EEENSF_IJSE_SE_EEES9_SG_JZNS1_25segmented_radix_sort_implINS0_14default_configELb0EPKaPaPKlPlN2at6native12_GLOBAL__N_18offset_tEEE10hipError_tPvRmT1_PNSt15iterator_traitsISY_E10value_typeET2_T3_PNSZ_IS14_E10value_typeET4_jRbjT5_S1A_jjP12ihipStream_tbEUljE_EEESV_SW_SX_S14_S18_S1A_T6_T7_T9_mT8_S1C_bDpT10_ENKUlT_T0_E_clISt17integral_constantIbLb1EES1O_IbLb0EEEEDaS1K_S1L_EUlS1K_E_NS1_11comp_targetILNS1_3genE5ELNS1_11target_archE942ELNS1_3gpuE9ELNS1_3repE0EEENS1_30default_config_static_selectorELNS0_4arch9wavefront6targetE0EEEvSY_.num_agpr, 0
	.set _ZN7rocprim17ROCPRIM_400000_NS6detail17trampoline_kernelINS0_13select_configILj256ELj13ELNS0_17block_load_methodE3ELS4_3ELS4_3ELNS0_20block_scan_algorithmE0ELj4294967295EEENS1_25partition_config_selectorILNS1_17partition_subalgoE3EjNS0_10empty_typeEbEEZZNS1_14partition_implILS8_3ELb0ES6_jNS0_17counting_iteratorIjlEEPS9_SE_NS0_5tupleIJPjSE_EEENSF_IJSE_SE_EEES9_SG_JZNS1_25segmented_radix_sort_implINS0_14default_configELb0EPKaPaPKlPlN2at6native12_GLOBAL__N_18offset_tEEE10hipError_tPvRmT1_PNSt15iterator_traitsISY_E10value_typeET2_T3_PNSZ_IS14_E10value_typeET4_jRbjT5_S1A_jjP12ihipStream_tbEUljE_EEESV_SW_SX_S14_S18_S1A_T6_T7_T9_mT8_S1C_bDpT10_ENKUlT_T0_E_clISt17integral_constantIbLb1EES1O_IbLb0EEEEDaS1K_S1L_EUlS1K_E_NS1_11comp_targetILNS1_3genE5ELNS1_11target_archE942ELNS1_3gpuE9ELNS1_3repE0EEENS1_30default_config_static_selectorELNS0_4arch9wavefront6targetE0EEEvSY_.numbered_sgpr, 0
	.set _ZN7rocprim17ROCPRIM_400000_NS6detail17trampoline_kernelINS0_13select_configILj256ELj13ELNS0_17block_load_methodE3ELS4_3ELS4_3ELNS0_20block_scan_algorithmE0ELj4294967295EEENS1_25partition_config_selectorILNS1_17partition_subalgoE3EjNS0_10empty_typeEbEEZZNS1_14partition_implILS8_3ELb0ES6_jNS0_17counting_iteratorIjlEEPS9_SE_NS0_5tupleIJPjSE_EEENSF_IJSE_SE_EEES9_SG_JZNS1_25segmented_radix_sort_implINS0_14default_configELb0EPKaPaPKlPlN2at6native12_GLOBAL__N_18offset_tEEE10hipError_tPvRmT1_PNSt15iterator_traitsISY_E10value_typeET2_T3_PNSZ_IS14_E10value_typeET4_jRbjT5_S1A_jjP12ihipStream_tbEUljE_EEESV_SW_SX_S14_S18_S1A_T6_T7_T9_mT8_S1C_bDpT10_ENKUlT_T0_E_clISt17integral_constantIbLb1EES1O_IbLb0EEEEDaS1K_S1L_EUlS1K_E_NS1_11comp_targetILNS1_3genE5ELNS1_11target_archE942ELNS1_3gpuE9ELNS1_3repE0EEENS1_30default_config_static_selectorELNS0_4arch9wavefront6targetE0EEEvSY_.num_named_barrier, 0
	.set _ZN7rocprim17ROCPRIM_400000_NS6detail17trampoline_kernelINS0_13select_configILj256ELj13ELNS0_17block_load_methodE3ELS4_3ELS4_3ELNS0_20block_scan_algorithmE0ELj4294967295EEENS1_25partition_config_selectorILNS1_17partition_subalgoE3EjNS0_10empty_typeEbEEZZNS1_14partition_implILS8_3ELb0ES6_jNS0_17counting_iteratorIjlEEPS9_SE_NS0_5tupleIJPjSE_EEENSF_IJSE_SE_EEES9_SG_JZNS1_25segmented_radix_sort_implINS0_14default_configELb0EPKaPaPKlPlN2at6native12_GLOBAL__N_18offset_tEEE10hipError_tPvRmT1_PNSt15iterator_traitsISY_E10value_typeET2_T3_PNSZ_IS14_E10value_typeET4_jRbjT5_S1A_jjP12ihipStream_tbEUljE_EEESV_SW_SX_S14_S18_S1A_T6_T7_T9_mT8_S1C_bDpT10_ENKUlT_T0_E_clISt17integral_constantIbLb1EES1O_IbLb0EEEEDaS1K_S1L_EUlS1K_E_NS1_11comp_targetILNS1_3genE5ELNS1_11target_archE942ELNS1_3gpuE9ELNS1_3repE0EEENS1_30default_config_static_selectorELNS0_4arch9wavefront6targetE0EEEvSY_.private_seg_size, 0
	.set _ZN7rocprim17ROCPRIM_400000_NS6detail17trampoline_kernelINS0_13select_configILj256ELj13ELNS0_17block_load_methodE3ELS4_3ELS4_3ELNS0_20block_scan_algorithmE0ELj4294967295EEENS1_25partition_config_selectorILNS1_17partition_subalgoE3EjNS0_10empty_typeEbEEZZNS1_14partition_implILS8_3ELb0ES6_jNS0_17counting_iteratorIjlEEPS9_SE_NS0_5tupleIJPjSE_EEENSF_IJSE_SE_EEES9_SG_JZNS1_25segmented_radix_sort_implINS0_14default_configELb0EPKaPaPKlPlN2at6native12_GLOBAL__N_18offset_tEEE10hipError_tPvRmT1_PNSt15iterator_traitsISY_E10value_typeET2_T3_PNSZ_IS14_E10value_typeET4_jRbjT5_S1A_jjP12ihipStream_tbEUljE_EEESV_SW_SX_S14_S18_S1A_T6_T7_T9_mT8_S1C_bDpT10_ENKUlT_T0_E_clISt17integral_constantIbLb1EES1O_IbLb0EEEEDaS1K_S1L_EUlS1K_E_NS1_11comp_targetILNS1_3genE5ELNS1_11target_archE942ELNS1_3gpuE9ELNS1_3repE0EEENS1_30default_config_static_selectorELNS0_4arch9wavefront6targetE0EEEvSY_.uses_vcc, 0
	.set _ZN7rocprim17ROCPRIM_400000_NS6detail17trampoline_kernelINS0_13select_configILj256ELj13ELNS0_17block_load_methodE3ELS4_3ELS4_3ELNS0_20block_scan_algorithmE0ELj4294967295EEENS1_25partition_config_selectorILNS1_17partition_subalgoE3EjNS0_10empty_typeEbEEZZNS1_14partition_implILS8_3ELb0ES6_jNS0_17counting_iteratorIjlEEPS9_SE_NS0_5tupleIJPjSE_EEENSF_IJSE_SE_EEES9_SG_JZNS1_25segmented_radix_sort_implINS0_14default_configELb0EPKaPaPKlPlN2at6native12_GLOBAL__N_18offset_tEEE10hipError_tPvRmT1_PNSt15iterator_traitsISY_E10value_typeET2_T3_PNSZ_IS14_E10value_typeET4_jRbjT5_S1A_jjP12ihipStream_tbEUljE_EEESV_SW_SX_S14_S18_S1A_T6_T7_T9_mT8_S1C_bDpT10_ENKUlT_T0_E_clISt17integral_constantIbLb1EES1O_IbLb0EEEEDaS1K_S1L_EUlS1K_E_NS1_11comp_targetILNS1_3genE5ELNS1_11target_archE942ELNS1_3gpuE9ELNS1_3repE0EEENS1_30default_config_static_selectorELNS0_4arch9wavefront6targetE0EEEvSY_.uses_flat_scratch, 0
	.set _ZN7rocprim17ROCPRIM_400000_NS6detail17trampoline_kernelINS0_13select_configILj256ELj13ELNS0_17block_load_methodE3ELS4_3ELS4_3ELNS0_20block_scan_algorithmE0ELj4294967295EEENS1_25partition_config_selectorILNS1_17partition_subalgoE3EjNS0_10empty_typeEbEEZZNS1_14partition_implILS8_3ELb0ES6_jNS0_17counting_iteratorIjlEEPS9_SE_NS0_5tupleIJPjSE_EEENSF_IJSE_SE_EEES9_SG_JZNS1_25segmented_radix_sort_implINS0_14default_configELb0EPKaPaPKlPlN2at6native12_GLOBAL__N_18offset_tEEE10hipError_tPvRmT1_PNSt15iterator_traitsISY_E10value_typeET2_T3_PNSZ_IS14_E10value_typeET4_jRbjT5_S1A_jjP12ihipStream_tbEUljE_EEESV_SW_SX_S14_S18_S1A_T6_T7_T9_mT8_S1C_bDpT10_ENKUlT_T0_E_clISt17integral_constantIbLb1EES1O_IbLb0EEEEDaS1K_S1L_EUlS1K_E_NS1_11comp_targetILNS1_3genE5ELNS1_11target_archE942ELNS1_3gpuE9ELNS1_3repE0EEENS1_30default_config_static_selectorELNS0_4arch9wavefront6targetE0EEEvSY_.has_dyn_sized_stack, 0
	.set _ZN7rocprim17ROCPRIM_400000_NS6detail17trampoline_kernelINS0_13select_configILj256ELj13ELNS0_17block_load_methodE3ELS4_3ELS4_3ELNS0_20block_scan_algorithmE0ELj4294967295EEENS1_25partition_config_selectorILNS1_17partition_subalgoE3EjNS0_10empty_typeEbEEZZNS1_14partition_implILS8_3ELb0ES6_jNS0_17counting_iteratorIjlEEPS9_SE_NS0_5tupleIJPjSE_EEENSF_IJSE_SE_EEES9_SG_JZNS1_25segmented_radix_sort_implINS0_14default_configELb0EPKaPaPKlPlN2at6native12_GLOBAL__N_18offset_tEEE10hipError_tPvRmT1_PNSt15iterator_traitsISY_E10value_typeET2_T3_PNSZ_IS14_E10value_typeET4_jRbjT5_S1A_jjP12ihipStream_tbEUljE_EEESV_SW_SX_S14_S18_S1A_T6_T7_T9_mT8_S1C_bDpT10_ENKUlT_T0_E_clISt17integral_constantIbLb1EES1O_IbLb0EEEEDaS1K_S1L_EUlS1K_E_NS1_11comp_targetILNS1_3genE5ELNS1_11target_archE942ELNS1_3gpuE9ELNS1_3repE0EEENS1_30default_config_static_selectorELNS0_4arch9wavefront6targetE0EEEvSY_.has_recursion, 0
	.set _ZN7rocprim17ROCPRIM_400000_NS6detail17trampoline_kernelINS0_13select_configILj256ELj13ELNS0_17block_load_methodE3ELS4_3ELS4_3ELNS0_20block_scan_algorithmE0ELj4294967295EEENS1_25partition_config_selectorILNS1_17partition_subalgoE3EjNS0_10empty_typeEbEEZZNS1_14partition_implILS8_3ELb0ES6_jNS0_17counting_iteratorIjlEEPS9_SE_NS0_5tupleIJPjSE_EEENSF_IJSE_SE_EEES9_SG_JZNS1_25segmented_radix_sort_implINS0_14default_configELb0EPKaPaPKlPlN2at6native12_GLOBAL__N_18offset_tEEE10hipError_tPvRmT1_PNSt15iterator_traitsISY_E10value_typeET2_T3_PNSZ_IS14_E10value_typeET4_jRbjT5_S1A_jjP12ihipStream_tbEUljE_EEESV_SW_SX_S14_S18_S1A_T6_T7_T9_mT8_S1C_bDpT10_ENKUlT_T0_E_clISt17integral_constantIbLb1EES1O_IbLb0EEEEDaS1K_S1L_EUlS1K_E_NS1_11comp_targetILNS1_3genE5ELNS1_11target_archE942ELNS1_3gpuE9ELNS1_3repE0EEENS1_30default_config_static_selectorELNS0_4arch9wavefront6targetE0EEEvSY_.has_indirect_call, 0
	.section	.AMDGPU.csdata,"",@progbits
; Kernel info:
; codeLenInByte = 0
; TotalNumSgprs: 0
; NumVgprs: 0
; ScratchSize: 0
; MemoryBound: 0
; FloatMode: 240
; IeeeMode: 1
; LDSByteSize: 0 bytes/workgroup (compile time only)
; SGPRBlocks: 0
; VGPRBlocks: 0
; NumSGPRsForWavesPerEU: 1
; NumVGPRsForWavesPerEU: 1
; NamedBarCnt: 0
; Occupancy: 16
; WaveLimiterHint : 0
; COMPUTE_PGM_RSRC2:SCRATCH_EN: 0
; COMPUTE_PGM_RSRC2:USER_SGPR: 2
; COMPUTE_PGM_RSRC2:TRAP_HANDLER: 0
; COMPUTE_PGM_RSRC2:TGID_X_EN: 1
; COMPUTE_PGM_RSRC2:TGID_Y_EN: 0
; COMPUTE_PGM_RSRC2:TGID_Z_EN: 0
; COMPUTE_PGM_RSRC2:TIDIG_COMP_CNT: 0
	.section	.text._ZN7rocprim17ROCPRIM_400000_NS6detail17trampoline_kernelINS0_13select_configILj256ELj13ELNS0_17block_load_methodE3ELS4_3ELS4_3ELNS0_20block_scan_algorithmE0ELj4294967295EEENS1_25partition_config_selectorILNS1_17partition_subalgoE3EjNS0_10empty_typeEbEEZZNS1_14partition_implILS8_3ELb0ES6_jNS0_17counting_iteratorIjlEEPS9_SE_NS0_5tupleIJPjSE_EEENSF_IJSE_SE_EEES9_SG_JZNS1_25segmented_radix_sort_implINS0_14default_configELb0EPKaPaPKlPlN2at6native12_GLOBAL__N_18offset_tEEE10hipError_tPvRmT1_PNSt15iterator_traitsISY_E10value_typeET2_T3_PNSZ_IS14_E10value_typeET4_jRbjT5_S1A_jjP12ihipStream_tbEUljE_EEESV_SW_SX_S14_S18_S1A_T6_T7_T9_mT8_S1C_bDpT10_ENKUlT_T0_E_clISt17integral_constantIbLb1EES1O_IbLb0EEEEDaS1K_S1L_EUlS1K_E_NS1_11comp_targetILNS1_3genE4ELNS1_11target_archE910ELNS1_3gpuE8ELNS1_3repE0EEENS1_30default_config_static_selectorELNS0_4arch9wavefront6targetE0EEEvSY_,"axG",@progbits,_ZN7rocprim17ROCPRIM_400000_NS6detail17trampoline_kernelINS0_13select_configILj256ELj13ELNS0_17block_load_methodE3ELS4_3ELS4_3ELNS0_20block_scan_algorithmE0ELj4294967295EEENS1_25partition_config_selectorILNS1_17partition_subalgoE3EjNS0_10empty_typeEbEEZZNS1_14partition_implILS8_3ELb0ES6_jNS0_17counting_iteratorIjlEEPS9_SE_NS0_5tupleIJPjSE_EEENSF_IJSE_SE_EEES9_SG_JZNS1_25segmented_radix_sort_implINS0_14default_configELb0EPKaPaPKlPlN2at6native12_GLOBAL__N_18offset_tEEE10hipError_tPvRmT1_PNSt15iterator_traitsISY_E10value_typeET2_T3_PNSZ_IS14_E10value_typeET4_jRbjT5_S1A_jjP12ihipStream_tbEUljE_EEESV_SW_SX_S14_S18_S1A_T6_T7_T9_mT8_S1C_bDpT10_ENKUlT_T0_E_clISt17integral_constantIbLb1EES1O_IbLb0EEEEDaS1K_S1L_EUlS1K_E_NS1_11comp_targetILNS1_3genE4ELNS1_11target_archE910ELNS1_3gpuE8ELNS1_3repE0EEENS1_30default_config_static_selectorELNS0_4arch9wavefront6targetE0EEEvSY_,comdat
	.globl	_ZN7rocprim17ROCPRIM_400000_NS6detail17trampoline_kernelINS0_13select_configILj256ELj13ELNS0_17block_load_methodE3ELS4_3ELS4_3ELNS0_20block_scan_algorithmE0ELj4294967295EEENS1_25partition_config_selectorILNS1_17partition_subalgoE3EjNS0_10empty_typeEbEEZZNS1_14partition_implILS8_3ELb0ES6_jNS0_17counting_iteratorIjlEEPS9_SE_NS0_5tupleIJPjSE_EEENSF_IJSE_SE_EEES9_SG_JZNS1_25segmented_radix_sort_implINS0_14default_configELb0EPKaPaPKlPlN2at6native12_GLOBAL__N_18offset_tEEE10hipError_tPvRmT1_PNSt15iterator_traitsISY_E10value_typeET2_T3_PNSZ_IS14_E10value_typeET4_jRbjT5_S1A_jjP12ihipStream_tbEUljE_EEESV_SW_SX_S14_S18_S1A_T6_T7_T9_mT8_S1C_bDpT10_ENKUlT_T0_E_clISt17integral_constantIbLb1EES1O_IbLb0EEEEDaS1K_S1L_EUlS1K_E_NS1_11comp_targetILNS1_3genE4ELNS1_11target_archE910ELNS1_3gpuE8ELNS1_3repE0EEENS1_30default_config_static_selectorELNS0_4arch9wavefront6targetE0EEEvSY_ ; -- Begin function _ZN7rocprim17ROCPRIM_400000_NS6detail17trampoline_kernelINS0_13select_configILj256ELj13ELNS0_17block_load_methodE3ELS4_3ELS4_3ELNS0_20block_scan_algorithmE0ELj4294967295EEENS1_25partition_config_selectorILNS1_17partition_subalgoE3EjNS0_10empty_typeEbEEZZNS1_14partition_implILS8_3ELb0ES6_jNS0_17counting_iteratorIjlEEPS9_SE_NS0_5tupleIJPjSE_EEENSF_IJSE_SE_EEES9_SG_JZNS1_25segmented_radix_sort_implINS0_14default_configELb0EPKaPaPKlPlN2at6native12_GLOBAL__N_18offset_tEEE10hipError_tPvRmT1_PNSt15iterator_traitsISY_E10value_typeET2_T3_PNSZ_IS14_E10value_typeET4_jRbjT5_S1A_jjP12ihipStream_tbEUljE_EEESV_SW_SX_S14_S18_S1A_T6_T7_T9_mT8_S1C_bDpT10_ENKUlT_T0_E_clISt17integral_constantIbLb1EES1O_IbLb0EEEEDaS1K_S1L_EUlS1K_E_NS1_11comp_targetILNS1_3genE4ELNS1_11target_archE910ELNS1_3gpuE8ELNS1_3repE0EEENS1_30default_config_static_selectorELNS0_4arch9wavefront6targetE0EEEvSY_
	.p2align	8
	.type	_ZN7rocprim17ROCPRIM_400000_NS6detail17trampoline_kernelINS0_13select_configILj256ELj13ELNS0_17block_load_methodE3ELS4_3ELS4_3ELNS0_20block_scan_algorithmE0ELj4294967295EEENS1_25partition_config_selectorILNS1_17partition_subalgoE3EjNS0_10empty_typeEbEEZZNS1_14partition_implILS8_3ELb0ES6_jNS0_17counting_iteratorIjlEEPS9_SE_NS0_5tupleIJPjSE_EEENSF_IJSE_SE_EEES9_SG_JZNS1_25segmented_radix_sort_implINS0_14default_configELb0EPKaPaPKlPlN2at6native12_GLOBAL__N_18offset_tEEE10hipError_tPvRmT1_PNSt15iterator_traitsISY_E10value_typeET2_T3_PNSZ_IS14_E10value_typeET4_jRbjT5_S1A_jjP12ihipStream_tbEUljE_EEESV_SW_SX_S14_S18_S1A_T6_T7_T9_mT8_S1C_bDpT10_ENKUlT_T0_E_clISt17integral_constantIbLb1EES1O_IbLb0EEEEDaS1K_S1L_EUlS1K_E_NS1_11comp_targetILNS1_3genE4ELNS1_11target_archE910ELNS1_3gpuE8ELNS1_3repE0EEENS1_30default_config_static_selectorELNS0_4arch9wavefront6targetE0EEEvSY_,@function
_ZN7rocprim17ROCPRIM_400000_NS6detail17trampoline_kernelINS0_13select_configILj256ELj13ELNS0_17block_load_methodE3ELS4_3ELS4_3ELNS0_20block_scan_algorithmE0ELj4294967295EEENS1_25partition_config_selectorILNS1_17partition_subalgoE3EjNS0_10empty_typeEbEEZZNS1_14partition_implILS8_3ELb0ES6_jNS0_17counting_iteratorIjlEEPS9_SE_NS0_5tupleIJPjSE_EEENSF_IJSE_SE_EEES9_SG_JZNS1_25segmented_radix_sort_implINS0_14default_configELb0EPKaPaPKlPlN2at6native12_GLOBAL__N_18offset_tEEE10hipError_tPvRmT1_PNSt15iterator_traitsISY_E10value_typeET2_T3_PNSZ_IS14_E10value_typeET4_jRbjT5_S1A_jjP12ihipStream_tbEUljE_EEESV_SW_SX_S14_S18_S1A_T6_T7_T9_mT8_S1C_bDpT10_ENKUlT_T0_E_clISt17integral_constantIbLb1EES1O_IbLb0EEEEDaS1K_S1L_EUlS1K_E_NS1_11comp_targetILNS1_3genE4ELNS1_11target_archE910ELNS1_3gpuE8ELNS1_3repE0EEENS1_30default_config_static_selectorELNS0_4arch9wavefront6targetE0EEEvSY_: ; @_ZN7rocprim17ROCPRIM_400000_NS6detail17trampoline_kernelINS0_13select_configILj256ELj13ELNS0_17block_load_methodE3ELS4_3ELS4_3ELNS0_20block_scan_algorithmE0ELj4294967295EEENS1_25partition_config_selectorILNS1_17partition_subalgoE3EjNS0_10empty_typeEbEEZZNS1_14partition_implILS8_3ELb0ES6_jNS0_17counting_iteratorIjlEEPS9_SE_NS0_5tupleIJPjSE_EEENSF_IJSE_SE_EEES9_SG_JZNS1_25segmented_radix_sort_implINS0_14default_configELb0EPKaPaPKlPlN2at6native12_GLOBAL__N_18offset_tEEE10hipError_tPvRmT1_PNSt15iterator_traitsISY_E10value_typeET2_T3_PNSZ_IS14_E10value_typeET4_jRbjT5_S1A_jjP12ihipStream_tbEUljE_EEESV_SW_SX_S14_S18_S1A_T6_T7_T9_mT8_S1C_bDpT10_ENKUlT_T0_E_clISt17integral_constantIbLb1EES1O_IbLb0EEEEDaS1K_S1L_EUlS1K_E_NS1_11comp_targetILNS1_3genE4ELNS1_11target_archE910ELNS1_3gpuE8ELNS1_3repE0EEENS1_30default_config_static_selectorELNS0_4arch9wavefront6targetE0EEEvSY_
; %bb.0:
	.section	.rodata,"a",@progbits
	.p2align	6, 0x0
	.amdhsa_kernel _ZN7rocprim17ROCPRIM_400000_NS6detail17trampoline_kernelINS0_13select_configILj256ELj13ELNS0_17block_load_methodE3ELS4_3ELS4_3ELNS0_20block_scan_algorithmE0ELj4294967295EEENS1_25partition_config_selectorILNS1_17partition_subalgoE3EjNS0_10empty_typeEbEEZZNS1_14partition_implILS8_3ELb0ES6_jNS0_17counting_iteratorIjlEEPS9_SE_NS0_5tupleIJPjSE_EEENSF_IJSE_SE_EEES9_SG_JZNS1_25segmented_radix_sort_implINS0_14default_configELb0EPKaPaPKlPlN2at6native12_GLOBAL__N_18offset_tEEE10hipError_tPvRmT1_PNSt15iterator_traitsISY_E10value_typeET2_T3_PNSZ_IS14_E10value_typeET4_jRbjT5_S1A_jjP12ihipStream_tbEUljE_EEESV_SW_SX_S14_S18_S1A_T6_T7_T9_mT8_S1C_bDpT10_ENKUlT_T0_E_clISt17integral_constantIbLb1EES1O_IbLb0EEEEDaS1K_S1L_EUlS1K_E_NS1_11comp_targetILNS1_3genE4ELNS1_11target_archE910ELNS1_3gpuE8ELNS1_3repE0EEENS1_30default_config_static_selectorELNS0_4arch9wavefront6targetE0EEEvSY_
		.amdhsa_group_segment_fixed_size 0
		.amdhsa_private_segment_fixed_size 0
		.amdhsa_kernarg_size 144
		.amdhsa_user_sgpr_count 2
		.amdhsa_user_sgpr_dispatch_ptr 0
		.amdhsa_user_sgpr_queue_ptr 0
		.amdhsa_user_sgpr_kernarg_segment_ptr 1
		.amdhsa_user_sgpr_dispatch_id 0
		.amdhsa_user_sgpr_kernarg_preload_length 0
		.amdhsa_user_sgpr_kernarg_preload_offset 0
		.amdhsa_user_sgpr_private_segment_size 0
		.amdhsa_wavefront_size32 1
		.amdhsa_uses_dynamic_stack 0
		.amdhsa_enable_private_segment 0
		.amdhsa_system_sgpr_workgroup_id_x 1
		.amdhsa_system_sgpr_workgroup_id_y 0
		.amdhsa_system_sgpr_workgroup_id_z 0
		.amdhsa_system_sgpr_workgroup_info 0
		.amdhsa_system_vgpr_workitem_id 0
		.amdhsa_next_free_vgpr 1
		.amdhsa_next_free_sgpr 1
		.amdhsa_named_barrier_count 0
		.amdhsa_reserve_vcc 0
		.amdhsa_float_round_mode_32 0
		.amdhsa_float_round_mode_16_64 0
		.amdhsa_float_denorm_mode_32 3
		.amdhsa_float_denorm_mode_16_64 3
		.amdhsa_fp16_overflow 0
		.amdhsa_memory_ordered 1
		.amdhsa_forward_progress 1
		.amdhsa_inst_pref_size 0
		.amdhsa_round_robin_scheduling 0
		.amdhsa_exception_fp_ieee_invalid_op 0
		.amdhsa_exception_fp_denorm_src 0
		.amdhsa_exception_fp_ieee_div_zero 0
		.amdhsa_exception_fp_ieee_overflow 0
		.amdhsa_exception_fp_ieee_underflow 0
		.amdhsa_exception_fp_ieee_inexact 0
		.amdhsa_exception_int_div_zero 0
	.end_amdhsa_kernel
	.section	.text._ZN7rocprim17ROCPRIM_400000_NS6detail17trampoline_kernelINS0_13select_configILj256ELj13ELNS0_17block_load_methodE3ELS4_3ELS4_3ELNS0_20block_scan_algorithmE0ELj4294967295EEENS1_25partition_config_selectorILNS1_17partition_subalgoE3EjNS0_10empty_typeEbEEZZNS1_14partition_implILS8_3ELb0ES6_jNS0_17counting_iteratorIjlEEPS9_SE_NS0_5tupleIJPjSE_EEENSF_IJSE_SE_EEES9_SG_JZNS1_25segmented_radix_sort_implINS0_14default_configELb0EPKaPaPKlPlN2at6native12_GLOBAL__N_18offset_tEEE10hipError_tPvRmT1_PNSt15iterator_traitsISY_E10value_typeET2_T3_PNSZ_IS14_E10value_typeET4_jRbjT5_S1A_jjP12ihipStream_tbEUljE_EEESV_SW_SX_S14_S18_S1A_T6_T7_T9_mT8_S1C_bDpT10_ENKUlT_T0_E_clISt17integral_constantIbLb1EES1O_IbLb0EEEEDaS1K_S1L_EUlS1K_E_NS1_11comp_targetILNS1_3genE4ELNS1_11target_archE910ELNS1_3gpuE8ELNS1_3repE0EEENS1_30default_config_static_selectorELNS0_4arch9wavefront6targetE0EEEvSY_,"axG",@progbits,_ZN7rocprim17ROCPRIM_400000_NS6detail17trampoline_kernelINS0_13select_configILj256ELj13ELNS0_17block_load_methodE3ELS4_3ELS4_3ELNS0_20block_scan_algorithmE0ELj4294967295EEENS1_25partition_config_selectorILNS1_17partition_subalgoE3EjNS0_10empty_typeEbEEZZNS1_14partition_implILS8_3ELb0ES6_jNS0_17counting_iteratorIjlEEPS9_SE_NS0_5tupleIJPjSE_EEENSF_IJSE_SE_EEES9_SG_JZNS1_25segmented_radix_sort_implINS0_14default_configELb0EPKaPaPKlPlN2at6native12_GLOBAL__N_18offset_tEEE10hipError_tPvRmT1_PNSt15iterator_traitsISY_E10value_typeET2_T3_PNSZ_IS14_E10value_typeET4_jRbjT5_S1A_jjP12ihipStream_tbEUljE_EEESV_SW_SX_S14_S18_S1A_T6_T7_T9_mT8_S1C_bDpT10_ENKUlT_T0_E_clISt17integral_constantIbLb1EES1O_IbLb0EEEEDaS1K_S1L_EUlS1K_E_NS1_11comp_targetILNS1_3genE4ELNS1_11target_archE910ELNS1_3gpuE8ELNS1_3repE0EEENS1_30default_config_static_selectorELNS0_4arch9wavefront6targetE0EEEvSY_,comdat
.Lfunc_end376:
	.size	_ZN7rocprim17ROCPRIM_400000_NS6detail17trampoline_kernelINS0_13select_configILj256ELj13ELNS0_17block_load_methodE3ELS4_3ELS4_3ELNS0_20block_scan_algorithmE0ELj4294967295EEENS1_25partition_config_selectorILNS1_17partition_subalgoE3EjNS0_10empty_typeEbEEZZNS1_14partition_implILS8_3ELb0ES6_jNS0_17counting_iteratorIjlEEPS9_SE_NS0_5tupleIJPjSE_EEENSF_IJSE_SE_EEES9_SG_JZNS1_25segmented_radix_sort_implINS0_14default_configELb0EPKaPaPKlPlN2at6native12_GLOBAL__N_18offset_tEEE10hipError_tPvRmT1_PNSt15iterator_traitsISY_E10value_typeET2_T3_PNSZ_IS14_E10value_typeET4_jRbjT5_S1A_jjP12ihipStream_tbEUljE_EEESV_SW_SX_S14_S18_S1A_T6_T7_T9_mT8_S1C_bDpT10_ENKUlT_T0_E_clISt17integral_constantIbLb1EES1O_IbLb0EEEEDaS1K_S1L_EUlS1K_E_NS1_11comp_targetILNS1_3genE4ELNS1_11target_archE910ELNS1_3gpuE8ELNS1_3repE0EEENS1_30default_config_static_selectorELNS0_4arch9wavefront6targetE0EEEvSY_, .Lfunc_end376-_ZN7rocprim17ROCPRIM_400000_NS6detail17trampoline_kernelINS0_13select_configILj256ELj13ELNS0_17block_load_methodE3ELS4_3ELS4_3ELNS0_20block_scan_algorithmE0ELj4294967295EEENS1_25partition_config_selectorILNS1_17partition_subalgoE3EjNS0_10empty_typeEbEEZZNS1_14partition_implILS8_3ELb0ES6_jNS0_17counting_iteratorIjlEEPS9_SE_NS0_5tupleIJPjSE_EEENSF_IJSE_SE_EEES9_SG_JZNS1_25segmented_radix_sort_implINS0_14default_configELb0EPKaPaPKlPlN2at6native12_GLOBAL__N_18offset_tEEE10hipError_tPvRmT1_PNSt15iterator_traitsISY_E10value_typeET2_T3_PNSZ_IS14_E10value_typeET4_jRbjT5_S1A_jjP12ihipStream_tbEUljE_EEESV_SW_SX_S14_S18_S1A_T6_T7_T9_mT8_S1C_bDpT10_ENKUlT_T0_E_clISt17integral_constantIbLb1EES1O_IbLb0EEEEDaS1K_S1L_EUlS1K_E_NS1_11comp_targetILNS1_3genE4ELNS1_11target_archE910ELNS1_3gpuE8ELNS1_3repE0EEENS1_30default_config_static_selectorELNS0_4arch9wavefront6targetE0EEEvSY_
                                        ; -- End function
	.set _ZN7rocprim17ROCPRIM_400000_NS6detail17trampoline_kernelINS0_13select_configILj256ELj13ELNS0_17block_load_methodE3ELS4_3ELS4_3ELNS0_20block_scan_algorithmE0ELj4294967295EEENS1_25partition_config_selectorILNS1_17partition_subalgoE3EjNS0_10empty_typeEbEEZZNS1_14partition_implILS8_3ELb0ES6_jNS0_17counting_iteratorIjlEEPS9_SE_NS0_5tupleIJPjSE_EEENSF_IJSE_SE_EEES9_SG_JZNS1_25segmented_radix_sort_implINS0_14default_configELb0EPKaPaPKlPlN2at6native12_GLOBAL__N_18offset_tEEE10hipError_tPvRmT1_PNSt15iterator_traitsISY_E10value_typeET2_T3_PNSZ_IS14_E10value_typeET4_jRbjT5_S1A_jjP12ihipStream_tbEUljE_EEESV_SW_SX_S14_S18_S1A_T6_T7_T9_mT8_S1C_bDpT10_ENKUlT_T0_E_clISt17integral_constantIbLb1EES1O_IbLb0EEEEDaS1K_S1L_EUlS1K_E_NS1_11comp_targetILNS1_3genE4ELNS1_11target_archE910ELNS1_3gpuE8ELNS1_3repE0EEENS1_30default_config_static_selectorELNS0_4arch9wavefront6targetE0EEEvSY_.num_vgpr, 0
	.set _ZN7rocprim17ROCPRIM_400000_NS6detail17trampoline_kernelINS0_13select_configILj256ELj13ELNS0_17block_load_methodE3ELS4_3ELS4_3ELNS0_20block_scan_algorithmE0ELj4294967295EEENS1_25partition_config_selectorILNS1_17partition_subalgoE3EjNS0_10empty_typeEbEEZZNS1_14partition_implILS8_3ELb0ES6_jNS0_17counting_iteratorIjlEEPS9_SE_NS0_5tupleIJPjSE_EEENSF_IJSE_SE_EEES9_SG_JZNS1_25segmented_radix_sort_implINS0_14default_configELb0EPKaPaPKlPlN2at6native12_GLOBAL__N_18offset_tEEE10hipError_tPvRmT1_PNSt15iterator_traitsISY_E10value_typeET2_T3_PNSZ_IS14_E10value_typeET4_jRbjT5_S1A_jjP12ihipStream_tbEUljE_EEESV_SW_SX_S14_S18_S1A_T6_T7_T9_mT8_S1C_bDpT10_ENKUlT_T0_E_clISt17integral_constantIbLb1EES1O_IbLb0EEEEDaS1K_S1L_EUlS1K_E_NS1_11comp_targetILNS1_3genE4ELNS1_11target_archE910ELNS1_3gpuE8ELNS1_3repE0EEENS1_30default_config_static_selectorELNS0_4arch9wavefront6targetE0EEEvSY_.num_agpr, 0
	.set _ZN7rocprim17ROCPRIM_400000_NS6detail17trampoline_kernelINS0_13select_configILj256ELj13ELNS0_17block_load_methodE3ELS4_3ELS4_3ELNS0_20block_scan_algorithmE0ELj4294967295EEENS1_25partition_config_selectorILNS1_17partition_subalgoE3EjNS0_10empty_typeEbEEZZNS1_14partition_implILS8_3ELb0ES6_jNS0_17counting_iteratorIjlEEPS9_SE_NS0_5tupleIJPjSE_EEENSF_IJSE_SE_EEES9_SG_JZNS1_25segmented_radix_sort_implINS0_14default_configELb0EPKaPaPKlPlN2at6native12_GLOBAL__N_18offset_tEEE10hipError_tPvRmT1_PNSt15iterator_traitsISY_E10value_typeET2_T3_PNSZ_IS14_E10value_typeET4_jRbjT5_S1A_jjP12ihipStream_tbEUljE_EEESV_SW_SX_S14_S18_S1A_T6_T7_T9_mT8_S1C_bDpT10_ENKUlT_T0_E_clISt17integral_constantIbLb1EES1O_IbLb0EEEEDaS1K_S1L_EUlS1K_E_NS1_11comp_targetILNS1_3genE4ELNS1_11target_archE910ELNS1_3gpuE8ELNS1_3repE0EEENS1_30default_config_static_selectorELNS0_4arch9wavefront6targetE0EEEvSY_.numbered_sgpr, 0
	.set _ZN7rocprim17ROCPRIM_400000_NS6detail17trampoline_kernelINS0_13select_configILj256ELj13ELNS0_17block_load_methodE3ELS4_3ELS4_3ELNS0_20block_scan_algorithmE0ELj4294967295EEENS1_25partition_config_selectorILNS1_17partition_subalgoE3EjNS0_10empty_typeEbEEZZNS1_14partition_implILS8_3ELb0ES6_jNS0_17counting_iteratorIjlEEPS9_SE_NS0_5tupleIJPjSE_EEENSF_IJSE_SE_EEES9_SG_JZNS1_25segmented_radix_sort_implINS0_14default_configELb0EPKaPaPKlPlN2at6native12_GLOBAL__N_18offset_tEEE10hipError_tPvRmT1_PNSt15iterator_traitsISY_E10value_typeET2_T3_PNSZ_IS14_E10value_typeET4_jRbjT5_S1A_jjP12ihipStream_tbEUljE_EEESV_SW_SX_S14_S18_S1A_T6_T7_T9_mT8_S1C_bDpT10_ENKUlT_T0_E_clISt17integral_constantIbLb1EES1O_IbLb0EEEEDaS1K_S1L_EUlS1K_E_NS1_11comp_targetILNS1_3genE4ELNS1_11target_archE910ELNS1_3gpuE8ELNS1_3repE0EEENS1_30default_config_static_selectorELNS0_4arch9wavefront6targetE0EEEvSY_.num_named_barrier, 0
	.set _ZN7rocprim17ROCPRIM_400000_NS6detail17trampoline_kernelINS0_13select_configILj256ELj13ELNS0_17block_load_methodE3ELS4_3ELS4_3ELNS0_20block_scan_algorithmE0ELj4294967295EEENS1_25partition_config_selectorILNS1_17partition_subalgoE3EjNS0_10empty_typeEbEEZZNS1_14partition_implILS8_3ELb0ES6_jNS0_17counting_iteratorIjlEEPS9_SE_NS0_5tupleIJPjSE_EEENSF_IJSE_SE_EEES9_SG_JZNS1_25segmented_radix_sort_implINS0_14default_configELb0EPKaPaPKlPlN2at6native12_GLOBAL__N_18offset_tEEE10hipError_tPvRmT1_PNSt15iterator_traitsISY_E10value_typeET2_T3_PNSZ_IS14_E10value_typeET4_jRbjT5_S1A_jjP12ihipStream_tbEUljE_EEESV_SW_SX_S14_S18_S1A_T6_T7_T9_mT8_S1C_bDpT10_ENKUlT_T0_E_clISt17integral_constantIbLb1EES1O_IbLb0EEEEDaS1K_S1L_EUlS1K_E_NS1_11comp_targetILNS1_3genE4ELNS1_11target_archE910ELNS1_3gpuE8ELNS1_3repE0EEENS1_30default_config_static_selectorELNS0_4arch9wavefront6targetE0EEEvSY_.private_seg_size, 0
	.set _ZN7rocprim17ROCPRIM_400000_NS6detail17trampoline_kernelINS0_13select_configILj256ELj13ELNS0_17block_load_methodE3ELS4_3ELS4_3ELNS0_20block_scan_algorithmE0ELj4294967295EEENS1_25partition_config_selectorILNS1_17partition_subalgoE3EjNS0_10empty_typeEbEEZZNS1_14partition_implILS8_3ELb0ES6_jNS0_17counting_iteratorIjlEEPS9_SE_NS0_5tupleIJPjSE_EEENSF_IJSE_SE_EEES9_SG_JZNS1_25segmented_radix_sort_implINS0_14default_configELb0EPKaPaPKlPlN2at6native12_GLOBAL__N_18offset_tEEE10hipError_tPvRmT1_PNSt15iterator_traitsISY_E10value_typeET2_T3_PNSZ_IS14_E10value_typeET4_jRbjT5_S1A_jjP12ihipStream_tbEUljE_EEESV_SW_SX_S14_S18_S1A_T6_T7_T9_mT8_S1C_bDpT10_ENKUlT_T0_E_clISt17integral_constantIbLb1EES1O_IbLb0EEEEDaS1K_S1L_EUlS1K_E_NS1_11comp_targetILNS1_3genE4ELNS1_11target_archE910ELNS1_3gpuE8ELNS1_3repE0EEENS1_30default_config_static_selectorELNS0_4arch9wavefront6targetE0EEEvSY_.uses_vcc, 0
	.set _ZN7rocprim17ROCPRIM_400000_NS6detail17trampoline_kernelINS0_13select_configILj256ELj13ELNS0_17block_load_methodE3ELS4_3ELS4_3ELNS0_20block_scan_algorithmE0ELj4294967295EEENS1_25partition_config_selectorILNS1_17partition_subalgoE3EjNS0_10empty_typeEbEEZZNS1_14partition_implILS8_3ELb0ES6_jNS0_17counting_iteratorIjlEEPS9_SE_NS0_5tupleIJPjSE_EEENSF_IJSE_SE_EEES9_SG_JZNS1_25segmented_radix_sort_implINS0_14default_configELb0EPKaPaPKlPlN2at6native12_GLOBAL__N_18offset_tEEE10hipError_tPvRmT1_PNSt15iterator_traitsISY_E10value_typeET2_T3_PNSZ_IS14_E10value_typeET4_jRbjT5_S1A_jjP12ihipStream_tbEUljE_EEESV_SW_SX_S14_S18_S1A_T6_T7_T9_mT8_S1C_bDpT10_ENKUlT_T0_E_clISt17integral_constantIbLb1EES1O_IbLb0EEEEDaS1K_S1L_EUlS1K_E_NS1_11comp_targetILNS1_3genE4ELNS1_11target_archE910ELNS1_3gpuE8ELNS1_3repE0EEENS1_30default_config_static_selectorELNS0_4arch9wavefront6targetE0EEEvSY_.uses_flat_scratch, 0
	.set _ZN7rocprim17ROCPRIM_400000_NS6detail17trampoline_kernelINS0_13select_configILj256ELj13ELNS0_17block_load_methodE3ELS4_3ELS4_3ELNS0_20block_scan_algorithmE0ELj4294967295EEENS1_25partition_config_selectorILNS1_17partition_subalgoE3EjNS0_10empty_typeEbEEZZNS1_14partition_implILS8_3ELb0ES6_jNS0_17counting_iteratorIjlEEPS9_SE_NS0_5tupleIJPjSE_EEENSF_IJSE_SE_EEES9_SG_JZNS1_25segmented_radix_sort_implINS0_14default_configELb0EPKaPaPKlPlN2at6native12_GLOBAL__N_18offset_tEEE10hipError_tPvRmT1_PNSt15iterator_traitsISY_E10value_typeET2_T3_PNSZ_IS14_E10value_typeET4_jRbjT5_S1A_jjP12ihipStream_tbEUljE_EEESV_SW_SX_S14_S18_S1A_T6_T7_T9_mT8_S1C_bDpT10_ENKUlT_T0_E_clISt17integral_constantIbLb1EES1O_IbLb0EEEEDaS1K_S1L_EUlS1K_E_NS1_11comp_targetILNS1_3genE4ELNS1_11target_archE910ELNS1_3gpuE8ELNS1_3repE0EEENS1_30default_config_static_selectorELNS0_4arch9wavefront6targetE0EEEvSY_.has_dyn_sized_stack, 0
	.set _ZN7rocprim17ROCPRIM_400000_NS6detail17trampoline_kernelINS0_13select_configILj256ELj13ELNS0_17block_load_methodE3ELS4_3ELS4_3ELNS0_20block_scan_algorithmE0ELj4294967295EEENS1_25partition_config_selectorILNS1_17partition_subalgoE3EjNS0_10empty_typeEbEEZZNS1_14partition_implILS8_3ELb0ES6_jNS0_17counting_iteratorIjlEEPS9_SE_NS0_5tupleIJPjSE_EEENSF_IJSE_SE_EEES9_SG_JZNS1_25segmented_radix_sort_implINS0_14default_configELb0EPKaPaPKlPlN2at6native12_GLOBAL__N_18offset_tEEE10hipError_tPvRmT1_PNSt15iterator_traitsISY_E10value_typeET2_T3_PNSZ_IS14_E10value_typeET4_jRbjT5_S1A_jjP12ihipStream_tbEUljE_EEESV_SW_SX_S14_S18_S1A_T6_T7_T9_mT8_S1C_bDpT10_ENKUlT_T0_E_clISt17integral_constantIbLb1EES1O_IbLb0EEEEDaS1K_S1L_EUlS1K_E_NS1_11comp_targetILNS1_3genE4ELNS1_11target_archE910ELNS1_3gpuE8ELNS1_3repE0EEENS1_30default_config_static_selectorELNS0_4arch9wavefront6targetE0EEEvSY_.has_recursion, 0
	.set _ZN7rocprim17ROCPRIM_400000_NS6detail17trampoline_kernelINS0_13select_configILj256ELj13ELNS0_17block_load_methodE3ELS4_3ELS4_3ELNS0_20block_scan_algorithmE0ELj4294967295EEENS1_25partition_config_selectorILNS1_17partition_subalgoE3EjNS0_10empty_typeEbEEZZNS1_14partition_implILS8_3ELb0ES6_jNS0_17counting_iteratorIjlEEPS9_SE_NS0_5tupleIJPjSE_EEENSF_IJSE_SE_EEES9_SG_JZNS1_25segmented_radix_sort_implINS0_14default_configELb0EPKaPaPKlPlN2at6native12_GLOBAL__N_18offset_tEEE10hipError_tPvRmT1_PNSt15iterator_traitsISY_E10value_typeET2_T3_PNSZ_IS14_E10value_typeET4_jRbjT5_S1A_jjP12ihipStream_tbEUljE_EEESV_SW_SX_S14_S18_S1A_T6_T7_T9_mT8_S1C_bDpT10_ENKUlT_T0_E_clISt17integral_constantIbLb1EES1O_IbLb0EEEEDaS1K_S1L_EUlS1K_E_NS1_11comp_targetILNS1_3genE4ELNS1_11target_archE910ELNS1_3gpuE8ELNS1_3repE0EEENS1_30default_config_static_selectorELNS0_4arch9wavefront6targetE0EEEvSY_.has_indirect_call, 0
	.section	.AMDGPU.csdata,"",@progbits
; Kernel info:
; codeLenInByte = 0
; TotalNumSgprs: 0
; NumVgprs: 0
; ScratchSize: 0
; MemoryBound: 0
; FloatMode: 240
; IeeeMode: 1
; LDSByteSize: 0 bytes/workgroup (compile time only)
; SGPRBlocks: 0
; VGPRBlocks: 0
; NumSGPRsForWavesPerEU: 1
; NumVGPRsForWavesPerEU: 1
; NamedBarCnt: 0
; Occupancy: 16
; WaveLimiterHint : 0
; COMPUTE_PGM_RSRC2:SCRATCH_EN: 0
; COMPUTE_PGM_RSRC2:USER_SGPR: 2
; COMPUTE_PGM_RSRC2:TRAP_HANDLER: 0
; COMPUTE_PGM_RSRC2:TGID_X_EN: 1
; COMPUTE_PGM_RSRC2:TGID_Y_EN: 0
; COMPUTE_PGM_RSRC2:TGID_Z_EN: 0
; COMPUTE_PGM_RSRC2:TIDIG_COMP_CNT: 0
	.section	.text._ZN7rocprim17ROCPRIM_400000_NS6detail17trampoline_kernelINS0_13select_configILj256ELj13ELNS0_17block_load_methodE3ELS4_3ELS4_3ELNS0_20block_scan_algorithmE0ELj4294967295EEENS1_25partition_config_selectorILNS1_17partition_subalgoE3EjNS0_10empty_typeEbEEZZNS1_14partition_implILS8_3ELb0ES6_jNS0_17counting_iteratorIjlEEPS9_SE_NS0_5tupleIJPjSE_EEENSF_IJSE_SE_EEES9_SG_JZNS1_25segmented_radix_sort_implINS0_14default_configELb0EPKaPaPKlPlN2at6native12_GLOBAL__N_18offset_tEEE10hipError_tPvRmT1_PNSt15iterator_traitsISY_E10value_typeET2_T3_PNSZ_IS14_E10value_typeET4_jRbjT5_S1A_jjP12ihipStream_tbEUljE_EEESV_SW_SX_S14_S18_S1A_T6_T7_T9_mT8_S1C_bDpT10_ENKUlT_T0_E_clISt17integral_constantIbLb1EES1O_IbLb0EEEEDaS1K_S1L_EUlS1K_E_NS1_11comp_targetILNS1_3genE3ELNS1_11target_archE908ELNS1_3gpuE7ELNS1_3repE0EEENS1_30default_config_static_selectorELNS0_4arch9wavefront6targetE0EEEvSY_,"axG",@progbits,_ZN7rocprim17ROCPRIM_400000_NS6detail17trampoline_kernelINS0_13select_configILj256ELj13ELNS0_17block_load_methodE3ELS4_3ELS4_3ELNS0_20block_scan_algorithmE0ELj4294967295EEENS1_25partition_config_selectorILNS1_17partition_subalgoE3EjNS0_10empty_typeEbEEZZNS1_14partition_implILS8_3ELb0ES6_jNS0_17counting_iteratorIjlEEPS9_SE_NS0_5tupleIJPjSE_EEENSF_IJSE_SE_EEES9_SG_JZNS1_25segmented_radix_sort_implINS0_14default_configELb0EPKaPaPKlPlN2at6native12_GLOBAL__N_18offset_tEEE10hipError_tPvRmT1_PNSt15iterator_traitsISY_E10value_typeET2_T3_PNSZ_IS14_E10value_typeET4_jRbjT5_S1A_jjP12ihipStream_tbEUljE_EEESV_SW_SX_S14_S18_S1A_T6_T7_T9_mT8_S1C_bDpT10_ENKUlT_T0_E_clISt17integral_constantIbLb1EES1O_IbLb0EEEEDaS1K_S1L_EUlS1K_E_NS1_11comp_targetILNS1_3genE3ELNS1_11target_archE908ELNS1_3gpuE7ELNS1_3repE0EEENS1_30default_config_static_selectorELNS0_4arch9wavefront6targetE0EEEvSY_,comdat
	.globl	_ZN7rocprim17ROCPRIM_400000_NS6detail17trampoline_kernelINS0_13select_configILj256ELj13ELNS0_17block_load_methodE3ELS4_3ELS4_3ELNS0_20block_scan_algorithmE0ELj4294967295EEENS1_25partition_config_selectorILNS1_17partition_subalgoE3EjNS0_10empty_typeEbEEZZNS1_14partition_implILS8_3ELb0ES6_jNS0_17counting_iteratorIjlEEPS9_SE_NS0_5tupleIJPjSE_EEENSF_IJSE_SE_EEES9_SG_JZNS1_25segmented_radix_sort_implINS0_14default_configELb0EPKaPaPKlPlN2at6native12_GLOBAL__N_18offset_tEEE10hipError_tPvRmT1_PNSt15iterator_traitsISY_E10value_typeET2_T3_PNSZ_IS14_E10value_typeET4_jRbjT5_S1A_jjP12ihipStream_tbEUljE_EEESV_SW_SX_S14_S18_S1A_T6_T7_T9_mT8_S1C_bDpT10_ENKUlT_T0_E_clISt17integral_constantIbLb1EES1O_IbLb0EEEEDaS1K_S1L_EUlS1K_E_NS1_11comp_targetILNS1_3genE3ELNS1_11target_archE908ELNS1_3gpuE7ELNS1_3repE0EEENS1_30default_config_static_selectorELNS0_4arch9wavefront6targetE0EEEvSY_ ; -- Begin function _ZN7rocprim17ROCPRIM_400000_NS6detail17trampoline_kernelINS0_13select_configILj256ELj13ELNS0_17block_load_methodE3ELS4_3ELS4_3ELNS0_20block_scan_algorithmE0ELj4294967295EEENS1_25partition_config_selectorILNS1_17partition_subalgoE3EjNS0_10empty_typeEbEEZZNS1_14partition_implILS8_3ELb0ES6_jNS0_17counting_iteratorIjlEEPS9_SE_NS0_5tupleIJPjSE_EEENSF_IJSE_SE_EEES9_SG_JZNS1_25segmented_radix_sort_implINS0_14default_configELb0EPKaPaPKlPlN2at6native12_GLOBAL__N_18offset_tEEE10hipError_tPvRmT1_PNSt15iterator_traitsISY_E10value_typeET2_T3_PNSZ_IS14_E10value_typeET4_jRbjT5_S1A_jjP12ihipStream_tbEUljE_EEESV_SW_SX_S14_S18_S1A_T6_T7_T9_mT8_S1C_bDpT10_ENKUlT_T0_E_clISt17integral_constantIbLb1EES1O_IbLb0EEEEDaS1K_S1L_EUlS1K_E_NS1_11comp_targetILNS1_3genE3ELNS1_11target_archE908ELNS1_3gpuE7ELNS1_3repE0EEENS1_30default_config_static_selectorELNS0_4arch9wavefront6targetE0EEEvSY_
	.p2align	8
	.type	_ZN7rocprim17ROCPRIM_400000_NS6detail17trampoline_kernelINS0_13select_configILj256ELj13ELNS0_17block_load_methodE3ELS4_3ELS4_3ELNS0_20block_scan_algorithmE0ELj4294967295EEENS1_25partition_config_selectorILNS1_17partition_subalgoE3EjNS0_10empty_typeEbEEZZNS1_14partition_implILS8_3ELb0ES6_jNS0_17counting_iteratorIjlEEPS9_SE_NS0_5tupleIJPjSE_EEENSF_IJSE_SE_EEES9_SG_JZNS1_25segmented_radix_sort_implINS0_14default_configELb0EPKaPaPKlPlN2at6native12_GLOBAL__N_18offset_tEEE10hipError_tPvRmT1_PNSt15iterator_traitsISY_E10value_typeET2_T3_PNSZ_IS14_E10value_typeET4_jRbjT5_S1A_jjP12ihipStream_tbEUljE_EEESV_SW_SX_S14_S18_S1A_T6_T7_T9_mT8_S1C_bDpT10_ENKUlT_T0_E_clISt17integral_constantIbLb1EES1O_IbLb0EEEEDaS1K_S1L_EUlS1K_E_NS1_11comp_targetILNS1_3genE3ELNS1_11target_archE908ELNS1_3gpuE7ELNS1_3repE0EEENS1_30default_config_static_selectorELNS0_4arch9wavefront6targetE0EEEvSY_,@function
_ZN7rocprim17ROCPRIM_400000_NS6detail17trampoline_kernelINS0_13select_configILj256ELj13ELNS0_17block_load_methodE3ELS4_3ELS4_3ELNS0_20block_scan_algorithmE0ELj4294967295EEENS1_25partition_config_selectorILNS1_17partition_subalgoE3EjNS0_10empty_typeEbEEZZNS1_14partition_implILS8_3ELb0ES6_jNS0_17counting_iteratorIjlEEPS9_SE_NS0_5tupleIJPjSE_EEENSF_IJSE_SE_EEES9_SG_JZNS1_25segmented_radix_sort_implINS0_14default_configELb0EPKaPaPKlPlN2at6native12_GLOBAL__N_18offset_tEEE10hipError_tPvRmT1_PNSt15iterator_traitsISY_E10value_typeET2_T3_PNSZ_IS14_E10value_typeET4_jRbjT5_S1A_jjP12ihipStream_tbEUljE_EEESV_SW_SX_S14_S18_S1A_T6_T7_T9_mT8_S1C_bDpT10_ENKUlT_T0_E_clISt17integral_constantIbLb1EES1O_IbLb0EEEEDaS1K_S1L_EUlS1K_E_NS1_11comp_targetILNS1_3genE3ELNS1_11target_archE908ELNS1_3gpuE7ELNS1_3repE0EEENS1_30default_config_static_selectorELNS0_4arch9wavefront6targetE0EEEvSY_: ; @_ZN7rocprim17ROCPRIM_400000_NS6detail17trampoline_kernelINS0_13select_configILj256ELj13ELNS0_17block_load_methodE3ELS4_3ELS4_3ELNS0_20block_scan_algorithmE0ELj4294967295EEENS1_25partition_config_selectorILNS1_17partition_subalgoE3EjNS0_10empty_typeEbEEZZNS1_14partition_implILS8_3ELb0ES6_jNS0_17counting_iteratorIjlEEPS9_SE_NS0_5tupleIJPjSE_EEENSF_IJSE_SE_EEES9_SG_JZNS1_25segmented_radix_sort_implINS0_14default_configELb0EPKaPaPKlPlN2at6native12_GLOBAL__N_18offset_tEEE10hipError_tPvRmT1_PNSt15iterator_traitsISY_E10value_typeET2_T3_PNSZ_IS14_E10value_typeET4_jRbjT5_S1A_jjP12ihipStream_tbEUljE_EEESV_SW_SX_S14_S18_S1A_T6_T7_T9_mT8_S1C_bDpT10_ENKUlT_T0_E_clISt17integral_constantIbLb1EES1O_IbLb0EEEEDaS1K_S1L_EUlS1K_E_NS1_11comp_targetILNS1_3genE3ELNS1_11target_archE908ELNS1_3gpuE7ELNS1_3repE0EEENS1_30default_config_static_selectorELNS0_4arch9wavefront6targetE0EEEvSY_
; %bb.0:
	.section	.rodata,"a",@progbits
	.p2align	6, 0x0
	.amdhsa_kernel _ZN7rocprim17ROCPRIM_400000_NS6detail17trampoline_kernelINS0_13select_configILj256ELj13ELNS0_17block_load_methodE3ELS4_3ELS4_3ELNS0_20block_scan_algorithmE0ELj4294967295EEENS1_25partition_config_selectorILNS1_17partition_subalgoE3EjNS0_10empty_typeEbEEZZNS1_14partition_implILS8_3ELb0ES6_jNS0_17counting_iteratorIjlEEPS9_SE_NS0_5tupleIJPjSE_EEENSF_IJSE_SE_EEES9_SG_JZNS1_25segmented_radix_sort_implINS0_14default_configELb0EPKaPaPKlPlN2at6native12_GLOBAL__N_18offset_tEEE10hipError_tPvRmT1_PNSt15iterator_traitsISY_E10value_typeET2_T3_PNSZ_IS14_E10value_typeET4_jRbjT5_S1A_jjP12ihipStream_tbEUljE_EEESV_SW_SX_S14_S18_S1A_T6_T7_T9_mT8_S1C_bDpT10_ENKUlT_T0_E_clISt17integral_constantIbLb1EES1O_IbLb0EEEEDaS1K_S1L_EUlS1K_E_NS1_11comp_targetILNS1_3genE3ELNS1_11target_archE908ELNS1_3gpuE7ELNS1_3repE0EEENS1_30default_config_static_selectorELNS0_4arch9wavefront6targetE0EEEvSY_
		.amdhsa_group_segment_fixed_size 0
		.amdhsa_private_segment_fixed_size 0
		.amdhsa_kernarg_size 144
		.amdhsa_user_sgpr_count 2
		.amdhsa_user_sgpr_dispatch_ptr 0
		.amdhsa_user_sgpr_queue_ptr 0
		.amdhsa_user_sgpr_kernarg_segment_ptr 1
		.amdhsa_user_sgpr_dispatch_id 0
		.amdhsa_user_sgpr_kernarg_preload_length 0
		.amdhsa_user_sgpr_kernarg_preload_offset 0
		.amdhsa_user_sgpr_private_segment_size 0
		.amdhsa_wavefront_size32 1
		.amdhsa_uses_dynamic_stack 0
		.amdhsa_enable_private_segment 0
		.amdhsa_system_sgpr_workgroup_id_x 1
		.amdhsa_system_sgpr_workgroup_id_y 0
		.amdhsa_system_sgpr_workgroup_id_z 0
		.amdhsa_system_sgpr_workgroup_info 0
		.amdhsa_system_vgpr_workitem_id 0
		.amdhsa_next_free_vgpr 1
		.amdhsa_next_free_sgpr 1
		.amdhsa_named_barrier_count 0
		.amdhsa_reserve_vcc 0
		.amdhsa_float_round_mode_32 0
		.amdhsa_float_round_mode_16_64 0
		.amdhsa_float_denorm_mode_32 3
		.amdhsa_float_denorm_mode_16_64 3
		.amdhsa_fp16_overflow 0
		.amdhsa_memory_ordered 1
		.amdhsa_forward_progress 1
		.amdhsa_inst_pref_size 0
		.amdhsa_round_robin_scheduling 0
		.amdhsa_exception_fp_ieee_invalid_op 0
		.amdhsa_exception_fp_denorm_src 0
		.amdhsa_exception_fp_ieee_div_zero 0
		.amdhsa_exception_fp_ieee_overflow 0
		.amdhsa_exception_fp_ieee_underflow 0
		.amdhsa_exception_fp_ieee_inexact 0
		.amdhsa_exception_int_div_zero 0
	.end_amdhsa_kernel
	.section	.text._ZN7rocprim17ROCPRIM_400000_NS6detail17trampoline_kernelINS0_13select_configILj256ELj13ELNS0_17block_load_methodE3ELS4_3ELS4_3ELNS0_20block_scan_algorithmE0ELj4294967295EEENS1_25partition_config_selectorILNS1_17partition_subalgoE3EjNS0_10empty_typeEbEEZZNS1_14partition_implILS8_3ELb0ES6_jNS0_17counting_iteratorIjlEEPS9_SE_NS0_5tupleIJPjSE_EEENSF_IJSE_SE_EEES9_SG_JZNS1_25segmented_radix_sort_implINS0_14default_configELb0EPKaPaPKlPlN2at6native12_GLOBAL__N_18offset_tEEE10hipError_tPvRmT1_PNSt15iterator_traitsISY_E10value_typeET2_T3_PNSZ_IS14_E10value_typeET4_jRbjT5_S1A_jjP12ihipStream_tbEUljE_EEESV_SW_SX_S14_S18_S1A_T6_T7_T9_mT8_S1C_bDpT10_ENKUlT_T0_E_clISt17integral_constantIbLb1EES1O_IbLb0EEEEDaS1K_S1L_EUlS1K_E_NS1_11comp_targetILNS1_3genE3ELNS1_11target_archE908ELNS1_3gpuE7ELNS1_3repE0EEENS1_30default_config_static_selectorELNS0_4arch9wavefront6targetE0EEEvSY_,"axG",@progbits,_ZN7rocprim17ROCPRIM_400000_NS6detail17trampoline_kernelINS0_13select_configILj256ELj13ELNS0_17block_load_methodE3ELS4_3ELS4_3ELNS0_20block_scan_algorithmE0ELj4294967295EEENS1_25partition_config_selectorILNS1_17partition_subalgoE3EjNS0_10empty_typeEbEEZZNS1_14partition_implILS8_3ELb0ES6_jNS0_17counting_iteratorIjlEEPS9_SE_NS0_5tupleIJPjSE_EEENSF_IJSE_SE_EEES9_SG_JZNS1_25segmented_radix_sort_implINS0_14default_configELb0EPKaPaPKlPlN2at6native12_GLOBAL__N_18offset_tEEE10hipError_tPvRmT1_PNSt15iterator_traitsISY_E10value_typeET2_T3_PNSZ_IS14_E10value_typeET4_jRbjT5_S1A_jjP12ihipStream_tbEUljE_EEESV_SW_SX_S14_S18_S1A_T6_T7_T9_mT8_S1C_bDpT10_ENKUlT_T0_E_clISt17integral_constantIbLb1EES1O_IbLb0EEEEDaS1K_S1L_EUlS1K_E_NS1_11comp_targetILNS1_3genE3ELNS1_11target_archE908ELNS1_3gpuE7ELNS1_3repE0EEENS1_30default_config_static_selectorELNS0_4arch9wavefront6targetE0EEEvSY_,comdat
.Lfunc_end377:
	.size	_ZN7rocprim17ROCPRIM_400000_NS6detail17trampoline_kernelINS0_13select_configILj256ELj13ELNS0_17block_load_methodE3ELS4_3ELS4_3ELNS0_20block_scan_algorithmE0ELj4294967295EEENS1_25partition_config_selectorILNS1_17partition_subalgoE3EjNS0_10empty_typeEbEEZZNS1_14partition_implILS8_3ELb0ES6_jNS0_17counting_iteratorIjlEEPS9_SE_NS0_5tupleIJPjSE_EEENSF_IJSE_SE_EEES9_SG_JZNS1_25segmented_radix_sort_implINS0_14default_configELb0EPKaPaPKlPlN2at6native12_GLOBAL__N_18offset_tEEE10hipError_tPvRmT1_PNSt15iterator_traitsISY_E10value_typeET2_T3_PNSZ_IS14_E10value_typeET4_jRbjT5_S1A_jjP12ihipStream_tbEUljE_EEESV_SW_SX_S14_S18_S1A_T6_T7_T9_mT8_S1C_bDpT10_ENKUlT_T0_E_clISt17integral_constantIbLb1EES1O_IbLb0EEEEDaS1K_S1L_EUlS1K_E_NS1_11comp_targetILNS1_3genE3ELNS1_11target_archE908ELNS1_3gpuE7ELNS1_3repE0EEENS1_30default_config_static_selectorELNS0_4arch9wavefront6targetE0EEEvSY_, .Lfunc_end377-_ZN7rocprim17ROCPRIM_400000_NS6detail17trampoline_kernelINS0_13select_configILj256ELj13ELNS0_17block_load_methodE3ELS4_3ELS4_3ELNS0_20block_scan_algorithmE0ELj4294967295EEENS1_25partition_config_selectorILNS1_17partition_subalgoE3EjNS0_10empty_typeEbEEZZNS1_14partition_implILS8_3ELb0ES6_jNS0_17counting_iteratorIjlEEPS9_SE_NS0_5tupleIJPjSE_EEENSF_IJSE_SE_EEES9_SG_JZNS1_25segmented_radix_sort_implINS0_14default_configELb0EPKaPaPKlPlN2at6native12_GLOBAL__N_18offset_tEEE10hipError_tPvRmT1_PNSt15iterator_traitsISY_E10value_typeET2_T3_PNSZ_IS14_E10value_typeET4_jRbjT5_S1A_jjP12ihipStream_tbEUljE_EEESV_SW_SX_S14_S18_S1A_T6_T7_T9_mT8_S1C_bDpT10_ENKUlT_T0_E_clISt17integral_constantIbLb1EES1O_IbLb0EEEEDaS1K_S1L_EUlS1K_E_NS1_11comp_targetILNS1_3genE3ELNS1_11target_archE908ELNS1_3gpuE7ELNS1_3repE0EEENS1_30default_config_static_selectorELNS0_4arch9wavefront6targetE0EEEvSY_
                                        ; -- End function
	.set _ZN7rocprim17ROCPRIM_400000_NS6detail17trampoline_kernelINS0_13select_configILj256ELj13ELNS0_17block_load_methodE3ELS4_3ELS4_3ELNS0_20block_scan_algorithmE0ELj4294967295EEENS1_25partition_config_selectorILNS1_17partition_subalgoE3EjNS0_10empty_typeEbEEZZNS1_14partition_implILS8_3ELb0ES6_jNS0_17counting_iteratorIjlEEPS9_SE_NS0_5tupleIJPjSE_EEENSF_IJSE_SE_EEES9_SG_JZNS1_25segmented_radix_sort_implINS0_14default_configELb0EPKaPaPKlPlN2at6native12_GLOBAL__N_18offset_tEEE10hipError_tPvRmT1_PNSt15iterator_traitsISY_E10value_typeET2_T3_PNSZ_IS14_E10value_typeET4_jRbjT5_S1A_jjP12ihipStream_tbEUljE_EEESV_SW_SX_S14_S18_S1A_T6_T7_T9_mT8_S1C_bDpT10_ENKUlT_T0_E_clISt17integral_constantIbLb1EES1O_IbLb0EEEEDaS1K_S1L_EUlS1K_E_NS1_11comp_targetILNS1_3genE3ELNS1_11target_archE908ELNS1_3gpuE7ELNS1_3repE0EEENS1_30default_config_static_selectorELNS0_4arch9wavefront6targetE0EEEvSY_.num_vgpr, 0
	.set _ZN7rocprim17ROCPRIM_400000_NS6detail17trampoline_kernelINS0_13select_configILj256ELj13ELNS0_17block_load_methodE3ELS4_3ELS4_3ELNS0_20block_scan_algorithmE0ELj4294967295EEENS1_25partition_config_selectorILNS1_17partition_subalgoE3EjNS0_10empty_typeEbEEZZNS1_14partition_implILS8_3ELb0ES6_jNS0_17counting_iteratorIjlEEPS9_SE_NS0_5tupleIJPjSE_EEENSF_IJSE_SE_EEES9_SG_JZNS1_25segmented_radix_sort_implINS0_14default_configELb0EPKaPaPKlPlN2at6native12_GLOBAL__N_18offset_tEEE10hipError_tPvRmT1_PNSt15iterator_traitsISY_E10value_typeET2_T3_PNSZ_IS14_E10value_typeET4_jRbjT5_S1A_jjP12ihipStream_tbEUljE_EEESV_SW_SX_S14_S18_S1A_T6_T7_T9_mT8_S1C_bDpT10_ENKUlT_T0_E_clISt17integral_constantIbLb1EES1O_IbLb0EEEEDaS1K_S1L_EUlS1K_E_NS1_11comp_targetILNS1_3genE3ELNS1_11target_archE908ELNS1_3gpuE7ELNS1_3repE0EEENS1_30default_config_static_selectorELNS0_4arch9wavefront6targetE0EEEvSY_.num_agpr, 0
	.set _ZN7rocprim17ROCPRIM_400000_NS6detail17trampoline_kernelINS0_13select_configILj256ELj13ELNS0_17block_load_methodE3ELS4_3ELS4_3ELNS0_20block_scan_algorithmE0ELj4294967295EEENS1_25partition_config_selectorILNS1_17partition_subalgoE3EjNS0_10empty_typeEbEEZZNS1_14partition_implILS8_3ELb0ES6_jNS0_17counting_iteratorIjlEEPS9_SE_NS0_5tupleIJPjSE_EEENSF_IJSE_SE_EEES9_SG_JZNS1_25segmented_radix_sort_implINS0_14default_configELb0EPKaPaPKlPlN2at6native12_GLOBAL__N_18offset_tEEE10hipError_tPvRmT1_PNSt15iterator_traitsISY_E10value_typeET2_T3_PNSZ_IS14_E10value_typeET4_jRbjT5_S1A_jjP12ihipStream_tbEUljE_EEESV_SW_SX_S14_S18_S1A_T6_T7_T9_mT8_S1C_bDpT10_ENKUlT_T0_E_clISt17integral_constantIbLb1EES1O_IbLb0EEEEDaS1K_S1L_EUlS1K_E_NS1_11comp_targetILNS1_3genE3ELNS1_11target_archE908ELNS1_3gpuE7ELNS1_3repE0EEENS1_30default_config_static_selectorELNS0_4arch9wavefront6targetE0EEEvSY_.numbered_sgpr, 0
	.set _ZN7rocprim17ROCPRIM_400000_NS6detail17trampoline_kernelINS0_13select_configILj256ELj13ELNS0_17block_load_methodE3ELS4_3ELS4_3ELNS0_20block_scan_algorithmE0ELj4294967295EEENS1_25partition_config_selectorILNS1_17partition_subalgoE3EjNS0_10empty_typeEbEEZZNS1_14partition_implILS8_3ELb0ES6_jNS0_17counting_iteratorIjlEEPS9_SE_NS0_5tupleIJPjSE_EEENSF_IJSE_SE_EEES9_SG_JZNS1_25segmented_radix_sort_implINS0_14default_configELb0EPKaPaPKlPlN2at6native12_GLOBAL__N_18offset_tEEE10hipError_tPvRmT1_PNSt15iterator_traitsISY_E10value_typeET2_T3_PNSZ_IS14_E10value_typeET4_jRbjT5_S1A_jjP12ihipStream_tbEUljE_EEESV_SW_SX_S14_S18_S1A_T6_T7_T9_mT8_S1C_bDpT10_ENKUlT_T0_E_clISt17integral_constantIbLb1EES1O_IbLb0EEEEDaS1K_S1L_EUlS1K_E_NS1_11comp_targetILNS1_3genE3ELNS1_11target_archE908ELNS1_3gpuE7ELNS1_3repE0EEENS1_30default_config_static_selectorELNS0_4arch9wavefront6targetE0EEEvSY_.num_named_barrier, 0
	.set _ZN7rocprim17ROCPRIM_400000_NS6detail17trampoline_kernelINS0_13select_configILj256ELj13ELNS0_17block_load_methodE3ELS4_3ELS4_3ELNS0_20block_scan_algorithmE0ELj4294967295EEENS1_25partition_config_selectorILNS1_17partition_subalgoE3EjNS0_10empty_typeEbEEZZNS1_14partition_implILS8_3ELb0ES6_jNS0_17counting_iteratorIjlEEPS9_SE_NS0_5tupleIJPjSE_EEENSF_IJSE_SE_EEES9_SG_JZNS1_25segmented_radix_sort_implINS0_14default_configELb0EPKaPaPKlPlN2at6native12_GLOBAL__N_18offset_tEEE10hipError_tPvRmT1_PNSt15iterator_traitsISY_E10value_typeET2_T3_PNSZ_IS14_E10value_typeET4_jRbjT5_S1A_jjP12ihipStream_tbEUljE_EEESV_SW_SX_S14_S18_S1A_T6_T7_T9_mT8_S1C_bDpT10_ENKUlT_T0_E_clISt17integral_constantIbLb1EES1O_IbLb0EEEEDaS1K_S1L_EUlS1K_E_NS1_11comp_targetILNS1_3genE3ELNS1_11target_archE908ELNS1_3gpuE7ELNS1_3repE0EEENS1_30default_config_static_selectorELNS0_4arch9wavefront6targetE0EEEvSY_.private_seg_size, 0
	.set _ZN7rocprim17ROCPRIM_400000_NS6detail17trampoline_kernelINS0_13select_configILj256ELj13ELNS0_17block_load_methodE3ELS4_3ELS4_3ELNS0_20block_scan_algorithmE0ELj4294967295EEENS1_25partition_config_selectorILNS1_17partition_subalgoE3EjNS0_10empty_typeEbEEZZNS1_14partition_implILS8_3ELb0ES6_jNS0_17counting_iteratorIjlEEPS9_SE_NS0_5tupleIJPjSE_EEENSF_IJSE_SE_EEES9_SG_JZNS1_25segmented_radix_sort_implINS0_14default_configELb0EPKaPaPKlPlN2at6native12_GLOBAL__N_18offset_tEEE10hipError_tPvRmT1_PNSt15iterator_traitsISY_E10value_typeET2_T3_PNSZ_IS14_E10value_typeET4_jRbjT5_S1A_jjP12ihipStream_tbEUljE_EEESV_SW_SX_S14_S18_S1A_T6_T7_T9_mT8_S1C_bDpT10_ENKUlT_T0_E_clISt17integral_constantIbLb1EES1O_IbLb0EEEEDaS1K_S1L_EUlS1K_E_NS1_11comp_targetILNS1_3genE3ELNS1_11target_archE908ELNS1_3gpuE7ELNS1_3repE0EEENS1_30default_config_static_selectorELNS0_4arch9wavefront6targetE0EEEvSY_.uses_vcc, 0
	.set _ZN7rocprim17ROCPRIM_400000_NS6detail17trampoline_kernelINS0_13select_configILj256ELj13ELNS0_17block_load_methodE3ELS4_3ELS4_3ELNS0_20block_scan_algorithmE0ELj4294967295EEENS1_25partition_config_selectorILNS1_17partition_subalgoE3EjNS0_10empty_typeEbEEZZNS1_14partition_implILS8_3ELb0ES6_jNS0_17counting_iteratorIjlEEPS9_SE_NS0_5tupleIJPjSE_EEENSF_IJSE_SE_EEES9_SG_JZNS1_25segmented_radix_sort_implINS0_14default_configELb0EPKaPaPKlPlN2at6native12_GLOBAL__N_18offset_tEEE10hipError_tPvRmT1_PNSt15iterator_traitsISY_E10value_typeET2_T3_PNSZ_IS14_E10value_typeET4_jRbjT5_S1A_jjP12ihipStream_tbEUljE_EEESV_SW_SX_S14_S18_S1A_T6_T7_T9_mT8_S1C_bDpT10_ENKUlT_T0_E_clISt17integral_constantIbLb1EES1O_IbLb0EEEEDaS1K_S1L_EUlS1K_E_NS1_11comp_targetILNS1_3genE3ELNS1_11target_archE908ELNS1_3gpuE7ELNS1_3repE0EEENS1_30default_config_static_selectorELNS0_4arch9wavefront6targetE0EEEvSY_.uses_flat_scratch, 0
	.set _ZN7rocprim17ROCPRIM_400000_NS6detail17trampoline_kernelINS0_13select_configILj256ELj13ELNS0_17block_load_methodE3ELS4_3ELS4_3ELNS0_20block_scan_algorithmE0ELj4294967295EEENS1_25partition_config_selectorILNS1_17partition_subalgoE3EjNS0_10empty_typeEbEEZZNS1_14partition_implILS8_3ELb0ES6_jNS0_17counting_iteratorIjlEEPS9_SE_NS0_5tupleIJPjSE_EEENSF_IJSE_SE_EEES9_SG_JZNS1_25segmented_radix_sort_implINS0_14default_configELb0EPKaPaPKlPlN2at6native12_GLOBAL__N_18offset_tEEE10hipError_tPvRmT1_PNSt15iterator_traitsISY_E10value_typeET2_T3_PNSZ_IS14_E10value_typeET4_jRbjT5_S1A_jjP12ihipStream_tbEUljE_EEESV_SW_SX_S14_S18_S1A_T6_T7_T9_mT8_S1C_bDpT10_ENKUlT_T0_E_clISt17integral_constantIbLb1EES1O_IbLb0EEEEDaS1K_S1L_EUlS1K_E_NS1_11comp_targetILNS1_3genE3ELNS1_11target_archE908ELNS1_3gpuE7ELNS1_3repE0EEENS1_30default_config_static_selectorELNS0_4arch9wavefront6targetE0EEEvSY_.has_dyn_sized_stack, 0
	.set _ZN7rocprim17ROCPRIM_400000_NS6detail17trampoline_kernelINS0_13select_configILj256ELj13ELNS0_17block_load_methodE3ELS4_3ELS4_3ELNS0_20block_scan_algorithmE0ELj4294967295EEENS1_25partition_config_selectorILNS1_17partition_subalgoE3EjNS0_10empty_typeEbEEZZNS1_14partition_implILS8_3ELb0ES6_jNS0_17counting_iteratorIjlEEPS9_SE_NS0_5tupleIJPjSE_EEENSF_IJSE_SE_EEES9_SG_JZNS1_25segmented_radix_sort_implINS0_14default_configELb0EPKaPaPKlPlN2at6native12_GLOBAL__N_18offset_tEEE10hipError_tPvRmT1_PNSt15iterator_traitsISY_E10value_typeET2_T3_PNSZ_IS14_E10value_typeET4_jRbjT5_S1A_jjP12ihipStream_tbEUljE_EEESV_SW_SX_S14_S18_S1A_T6_T7_T9_mT8_S1C_bDpT10_ENKUlT_T0_E_clISt17integral_constantIbLb1EES1O_IbLb0EEEEDaS1K_S1L_EUlS1K_E_NS1_11comp_targetILNS1_3genE3ELNS1_11target_archE908ELNS1_3gpuE7ELNS1_3repE0EEENS1_30default_config_static_selectorELNS0_4arch9wavefront6targetE0EEEvSY_.has_recursion, 0
	.set _ZN7rocprim17ROCPRIM_400000_NS6detail17trampoline_kernelINS0_13select_configILj256ELj13ELNS0_17block_load_methodE3ELS4_3ELS4_3ELNS0_20block_scan_algorithmE0ELj4294967295EEENS1_25partition_config_selectorILNS1_17partition_subalgoE3EjNS0_10empty_typeEbEEZZNS1_14partition_implILS8_3ELb0ES6_jNS0_17counting_iteratorIjlEEPS9_SE_NS0_5tupleIJPjSE_EEENSF_IJSE_SE_EEES9_SG_JZNS1_25segmented_radix_sort_implINS0_14default_configELb0EPKaPaPKlPlN2at6native12_GLOBAL__N_18offset_tEEE10hipError_tPvRmT1_PNSt15iterator_traitsISY_E10value_typeET2_T3_PNSZ_IS14_E10value_typeET4_jRbjT5_S1A_jjP12ihipStream_tbEUljE_EEESV_SW_SX_S14_S18_S1A_T6_T7_T9_mT8_S1C_bDpT10_ENKUlT_T0_E_clISt17integral_constantIbLb1EES1O_IbLb0EEEEDaS1K_S1L_EUlS1K_E_NS1_11comp_targetILNS1_3genE3ELNS1_11target_archE908ELNS1_3gpuE7ELNS1_3repE0EEENS1_30default_config_static_selectorELNS0_4arch9wavefront6targetE0EEEvSY_.has_indirect_call, 0
	.section	.AMDGPU.csdata,"",@progbits
; Kernel info:
; codeLenInByte = 0
; TotalNumSgprs: 0
; NumVgprs: 0
; ScratchSize: 0
; MemoryBound: 0
; FloatMode: 240
; IeeeMode: 1
; LDSByteSize: 0 bytes/workgroup (compile time only)
; SGPRBlocks: 0
; VGPRBlocks: 0
; NumSGPRsForWavesPerEU: 1
; NumVGPRsForWavesPerEU: 1
; NamedBarCnt: 0
; Occupancy: 16
; WaveLimiterHint : 0
; COMPUTE_PGM_RSRC2:SCRATCH_EN: 0
; COMPUTE_PGM_RSRC2:USER_SGPR: 2
; COMPUTE_PGM_RSRC2:TRAP_HANDLER: 0
; COMPUTE_PGM_RSRC2:TGID_X_EN: 1
; COMPUTE_PGM_RSRC2:TGID_Y_EN: 0
; COMPUTE_PGM_RSRC2:TGID_Z_EN: 0
; COMPUTE_PGM_RSRC2:TIDIG_COMP_CNT: 0
	.section	.text._ZN7rocprim17ROCPRIM_400000_NS6detail17trampoline_kernelINS0_13select_configILj256ELj13ELNS0_17block_load_methodE3ELS4_3ELS4_3ELNS0_20block_scan_algorithmE0ELj4294967295EEENS1_25partition_config_selectorILNS1_17partition_subalgoE3EjNS0_10empty_typeEbEEZZNS1_14partition_implILS8_3ELb0ES6_jNS0_17counting_iteratorIjlEEPS9_SE_NS0_5tupleIJPjSE_EEENSF_IJSE_SE_EEES9_SG_JZNS1_25segmented_radix_sort_implINS0_14default_configELb0EPKaPaPKlPlN2at6native12_GLOBAL__N_18offset_tEEE10hipError_tPvRmT1_PNSt15iterator_traitsISY_E10value_typeET2_T3_PNSZ_IS14_E10value_typeET4_jRbjT5_S1A_jjP12ihipStream_tbEUljE_EEESV_SW_SX_S14_S18_S1A_T6_T7_T9_mT8_S1C_bDpT10_ENKUlT_T0_E_clISt17integral_constantIbLb1EES1O_IbLb0EEEEDaS1K_S1L_EUlS1K_E_NS1_11comp_targetILNS1_3genE2ELNS1_11target_archE906ELNS1_3gpuE6ELNS1_3repE0EEENS1_30default_config_static_selectorELNS0_4arch9wavefront6targetE0EEEvSY_,"axG",@progbits,_ZN7rocprim17ROCPRIM_400000_NS6detail17trampoline_kernelINS0_13select_configILj256ELj13ELNS0_17block_load_methodE3ELS4_3ELS4_3ELNS0_20block_scan_algorithmE0ELj4294967295EEENS1_25partition_config_selectorILNS1_17partition_subalgoE3EjNS0_10empty_typeEbEEZZNS1_14partition_implILS8_3ELb0ES6_jNS0_17counting_iteratorIjlEEPS9_SE_NS0_5tupleIJPjSE_EEENSF_IJSE_SE_EEES9_SG_JZNS1_25segmented_radix_sort_implINS0_14default_configELb0EPKaPaPKlPlN2at6native12_GLOBAL__N_18offset_tEEE10hipError_tPvRmT1_PNSt15iterator_traitsISY_E10value_typeET2_T3_PNSZ_IS14_E10value_typeET4_jRbjT5_S1A_jjP12ihipStream_tbEUljE_EEESV_SW_SX_S14_S18_S1A_T6_T7_T9_mT8_S1C_bDpT10_ENKUlT_T0_E_clISt17integral_constantIbLb1EES1O_IbLb0EEEEDaS1K_S1L_EUlS1K_E_NS1_11comp_targetILNS1_3genE2ELNS1_11target_archE906ELNS1_3gpuE6ELNS1_3repE0EEENS1_30default_config_static_selectorELNS0_4arch9wavefront6targetE0EEEvSY_,comdat
	.globl	_ZN7rocprim17ROCPRIM_400000_NS6detail17trampoline_kernelINS0_13select_configILj256ELj13ELNS0_17block_load_methodE3ELS4_3ELS4_3ELNS0_20block_scan_algorithmE0ELj4294967295EEENS1_25partition_config_selectorILNS1_17partition_subalgoE3EjNS0_10empty_typeEbEEZZNS1_14partition_implILS8_3ELb0ES6_jNS0_17counting_iteratorIjlEEPS9_SE_NS0_5tupleIJPjSE_EEENSF_IJSE_SE_EEES9_SG_JZNS1_25segmented_radix_sort_implINS0_14default_configELb0EPKaPaPKlPlN2at6native12_GLOBAL__N_18offset_tEEE10hipError_tPvRmT1_PNSt15iterator_traitsISY_E10value_typeET2_T3_PNSZ_IS14_E10value_typeET4_jRbjT5_S1A_jjP12ihipStream_tbEUljE_EEESV_SW_SX_S14_S18_S1A_T6_T7_T9_mT8_S1C_bDpT10_ENKUlT_T0_E_clISt17integral_constantIbLb1EES1O_IbLb0EEEEDaS1K_S1L_EUlS1K_E_NS1_11comp_targetILNS1_3genE2ELNS1_11target_archE906ELNS1_3gpuE6ELNS1_3repE0EEENS1_30default_config_static_selectorELNS0_4arch9wavefront6targetE0EEEvSY_ ; -- Begin function _ZN7rocprim17ROCPRIM_400000_NS6detail17trampoline_kernelINS0_13select_configILj256ELj13ELNS0_17block_load_methodE3ELS4_3ELS4_3ELNS0_20block_scan_algorithmE0ELj4294967295EEENS1_25partition_config_selectorILNS1_17partition_subalgoE3EjNS0_10empty_typeEbEEZZNS1_14partition_implILS8_3ELb0ES6_jNS0_17counting_iteratorIjlEEPS9_SE_NS0_5tupleIJPjSE_EEENSF_IJSE_SE_EEES9_SG_JZNS1_25segmented_radix_sort_implINS0_14default_configELb0EPKaPaPKlPlN2at6native12_GLOBAL__N_18offset_tEEE10hipError_tPvRmT1_PNSt15iterator_traitsISY_E10value_typeET2_T3_PNSZ_IS14_E10value_typeET4_jRbjT5_S1A_jjP12ihipStream_tbEUljE_EEESV_SW_SX_S14_S18_S1A_T6_T7_T9_mT8_S1C_bDpT10_ENKUlT_T0_E_clISt17integral_constantIbLb1EES1O_IbLb0EEEEDaS1K_S1L_EUlS1K_E_NS1_11comp_targetILNS1_3genE2ELNS1_11target_archE906ELNS1_3gpuE6ELNS1_3repE0EEENS1_30default_config_static_selectorELNS0_4arch9wavefront6targetE0EEEvSY_
	.p2align	8
	.type	_ZN7rocprim17ROCPRIM_400000_NS6detail17trampoline_kernelINS0_13select_configILj256ELj13ELNS0_17block_load_methodE3ELS4_3ELS4_3ELNS0_20block_scan_algorithmE0ELj4294967295EEENS1_25partition_config_selectorILNS1_17partition_subalgoE3EjNS0_10empty_typeEbEEZZNS1_14partition_implILS8_3ELb0ES6_jNS0_17counting_iteratorIjlEEPS9_SE_NS0_5tupleIJPjSE_EEENSF_IJSE_SE_EEES9_SG_JZNS1_25segmented_radix_sort_implINS0_14default_configELb0EPKaPaPKlPlN2at6native12_GLOBAL__N_18offset_tEEE10hipError_tPvRmT1_PNSt15iterator_traitsISY_E10value_typeET2_T3_PNSZ_IS14_E10value_typeET4_jRbjT5_S1A_jjP12ihipStream_tbEUljE_EEESV_SW_SX_S14_S18_S1A_T6_T7_T9_mT8_S1C_bDpT10_ENKUlT_T0_E_clISt17integral_constantIbLb1EES1O_IbLb0EEEEDaS1K_S1L_EUlS1K_E_NS1_11comp_targetILNS1_3genE2ELNS1_11target_archE906ELNS1_3gpuE6ELNS1_3repE0EEENS1_30default_config_static_selectorELNS0_4arch9wavefront6targetE0EEEvSY_,@function
_ZN7rocprim17ROCPRIM_400000_NS6detail17trampoline_kernelINS0_13select_configILj256ELj13ELNS0_17block_load_methodE3ELS4_3ELS4_3ELNS0_20block_scan_algorithmE0ELj4294967295EEENS1_25partition_config_selectorILNS1_17partition_subalgoE3EjNS0_10empty_typeEbEEZZNS1_14partition_implILS8_3ELb0ES6_jNS0_17counting_iteratorIjlEEPS9_SE_NS0_5tupleIJPjSE_EEENSF_IJSE_SE_EEES9_SG_JZNS1_25segmented_radix_sort_implINS0_14default_configELb0EPKaPaPKlPlN2at6native12_GLOBAL__N_18offset_tEEE10hipError_tPvRmT1_PNSt15iterator_traitsISY_E10value_typeET2_T3_PNSZ_IS14_E10value_typeET4_jRbjT5_S1A_jjP12ihipStream_tbEUljE_EEESV_SW_SX_S14_S18_S1A_T6_T7_T9_mT8_S1C_bDpT10_ENKUlT_T0_E_clISt17integral_constantIbLb1EES1O_IbLb0EEEEDaS1K_S1L_EUlS1K_E_NS1_11comp_targetILNS1_3genE2ELNS1_11target_archE906ELNS1_3gpuE6ELNS1_3repE0EEENS1_30default_config_static_selectorELNS0_4arch9wavefront6targetE0EEEvSY_: ; @_ZN7rocprim17ROCPRIM_400000_NS6detail17trampoline_kernelINS0_13select_configILj256ELj13ELNS0_17block_load_methodE3ELS4_3ELS4_3ELNS0_20block_scan_algorithmE0ELj4294967295EEENS1_25partition_config_selectorILNS1_17partition_subalgoE3EjNS0_10empty_typeEbEEZZNS1_14partition_implILS8_3ELb0ES6_jNS0_17counting_iteratorIjlEEPS9_SE_NS0_5tupleIJPjSE_EEENSF_IJSE_SE_EEES9_SG_JZNS1_25segmented_radix_sort_implINS0_14default_configELb0EPKaPaPKlPlN2at6native12_GLOBAL__N_18offset_tEEE10hipError_tPvRmT1_PNSt15iterator_traitsISY_E10value_typeET2_T3_PNSZ_IS14_E10value_typeET4_jRbjT5_S1A_jjP12ihipStream_tbEUljE_EEESV_SW_SX_S14_S18_S1A_T6_T7_T9_mT8_S1C_bDpT10_ENKUlT_T0_E_clISt17integral_constantIbLb1EES1O_IbLb0EEEEDaS1K_S1L_EUlS1K_E_NS1_11comp_targetILNS1_3genE2ELNS1_11target_archE906ELNS1_3gpuE6ELNS1_3repE0EEENS1_30default_config_static_selectorELNS0_4arch9wavefront6targetE0EEEvSY_
; %bb.0:
	.section	.rodata,"a",@progbits
	.p2align	6, 0x0
	.amdhsa_kernel _ZN7rocprim17ROCPRIM_400000_NS6detail17trampoline_kernelINS0_13select_configILj256ELj13ELNS0_17block_load_methodE3ELS4_3ELS4_3ELNS0_20block_scan_algorithmE0ELj4294967295EEENS1_25partition_config_selectorILNS1_17partition_subalgoE3EjNS0_10empty_typeEbEEZZNS1_14partition_implILS8_3ELb0ES6_jNS0_17counting_iteratorIjlEEPS9_SE_NS0_5tupleIJPjSE_EEENSF_IJSE_SE_EEES9_SG_JZNS1_25segmented_radix_sort_implINS0_14default_configELb0EPKaPaPKlPlN2at6native12_GLOBAL__N_18offset_tEEE10hipError_tPvRmT1_PNSt15iterator_traitsISY_E10value_typeET2_T3_PNSZ_IS14_E10value_typeET4_jRbjT5_S1A_jjP12ihipStream_tbEUljE_EEESV_SW_SX_S14_S18_S1A_T6_T7_T9_mT8_S1C_bDpT10_ENKUlT_T0_E_clISt17integral_constantIbLb1EES1O_IbLb0EEEEDaS1K_S1L_EUlS1K_E_NS1_11comp_targetILNS1_3genE2ELNS1_11target_archE906ELNS1_3gpuE6ELNS1_3repE0EEENS1_30default_config_static_selectorELNS0_4arch9wavefront6targetE0EEEvSY_
		.amdhsa_group_segment_fixed_size 0
		.amdhsa_private_segment_fixed_size 0
		.amdhsa_kernarg_size 144
		.amdhsa_user_sgpr_count 2
		.amdhsa_user_sgpr_dispatch_ptr 0
		.amdhsa_user_sgpr_queue_ptr 0
		.amdhsa_user_sgpr_kernarg_segment_ptr 1
		.amdhsa_user_sgpr_dispatch_id 0
		.amdhsa_user_sgpr_kernarg_preload_length 0
		.amdhsa_user_sgpr_kernarg_preload_offset 0
		.amdhsa_user_sgpr_private_segment_size 0
		.amdhsa_wavefront_size32 1
		.amdhsa_uses_dynamic_stack 0
		.amdhsa_enable_private_segment 0
		.amdhsa_system_sgpr_workgroup_id_x 1
		.amdhsa_system_sgpr_workgroup_id_y 0
		.amdhsa_system_sgpr_workgroup_id_z 0
		.amdhsa_system_sgpr_workgroup_info 0
		.amdhsa_system_vgpr_workitem_id 0
		.amdhsa_next_free_vgpr 1
		.amdhsa_next_free_sgpr 1
		.amdhsa_named_barrier_count 0
		.amdhsa_reserve_vcc 0
		.amdhsa_float_round_mode_32 0
		.amdhsa_float_round_mode_16_64 0
		.amdhsa_float_denorm_mode_32 3
		.amdhsa_float_denorm_mode_16_64 3
		.amdhsa_fp16_overflow 0
		.amdhsa_memory_ordered 1
		.amdhsa_forward_progress 1
		.amdhsa_inst_pref_size 0
		.amdhsa_round_robin_scheduling 0
		.amdhsa_exception_fp_ieee_invalid_op 0
		.amdhsa_exception_fp_denorm_src 0
		.amdhsa_exception_fp_ieee_div_zero 0
		.amdhsa_exception_fp_ieee_overflow 0
		.amdhsa_exception_fp_ieee_underflow 0
		.amdhsa_exception_fp_ieee_inexact 0
		.amdhsa_exception_int_div_zero 0
	.end_amdhsa_kernel
	.section	.text._ZN7rocprim17ROCPRIM_400000_NS6detail17trampoline_kernelINS0_13select_configILj256ELj13ELNS0_17block_load_methodE3ELS4_3ELS4_3ELNS0_20block_scan_algorithmE0ELj4294967295EEENS1_25partition_config_selectorILNS1_17partition_subalgoE3EjNS0_10empty_typeEbEEZZNS1_14partition_implILS8_3ELb0ES6_jNS0_17counting_iteratorIjlEEPS9_SE_NS0_5tupleIJPjSE_EEENSF_IJSE_SE_EEES9_SG_JZNS1_25segmented_radix_sort_implINS0_14default_configELb0EPKaPaPKlPlN2at6native12_GLOBAL__N_18offset_tEEE10hipError_tPvRmT1_PNSt15iterator_traitsISY_E10value_typeET2_T3_PNSZ_IS14_E10value_typeET4_jRbjT5_S1A_jjP12ihipStream_tbEUljE_EEESV_SW_SX_S14_S18_S1A_T6_T7_T9_mT8_S1C_bDpT10_ENKUlT_T0_E_clISt17integral_constantIbLb1EES1O_IbLb0EEEEDaS1K_S1L_EUlS1K_E_NS1_11comp_targetILNS1_3genE2ELNS1_11target_archE906ELNS1_3gpuE6ELNS1_3repE0EEENS1_30default_config_static_selectorELNS0_4arch9wavefront6targetE0EEEvSY_,"axG",@progbits,_ZN7rocprim17ROCPRIM_400000_NS6detail17trampoline_kernelINS0_13select_configILj256ELj13ELNS0_17block_load_methodE3ELS4_3ELS4_3ELNS0_20block_scan_algorithmE0ELj4294967295EEENS1_25partition_config_selectorILNS1_17partition_subalgoE3EjNS0_10empty_typeEbEEZZNS1_14partition_implILS8_3ELb0ES6_jNS0_17counting_iteratorIjlEEPS9_SE_NS0_5tupleIJPjSE_EEENSF_IJSE_SE_EEES9_SG_JZNS1_25segmented_radix_sort_implINS0_14default_configELb0EPKaPaPKlPlN2at6native12_GLOBAL__N_18offset_tEEE10hipError_tPvRmT1_PNSt15iterator_traitsISY_E10value_typeET2_T3_PNSZ_IS14_E10value_typeET4_jRbjT5_S1A_jjP12ihipStream_tbEUljE_EEESV_SW_SX_S14_S18_S1A_T6_T7_T9_mT8_S1C_bDpT10_ENKUlT_T0_E_clISt17integral_constantIbLb1EES1O_IbLb0EEEEDaS1K_S1L_EUlS1K_E_NS1_11comp_targetILNS1_3genE2ELNS1_11target_archE906ELNS1_3gpuE6ELNS1_3repE0EEENS1_30default_config_static_selectorELNS0_4arch9wavefront6targetE0EEEvSY_,comdat
.Lfunc_end378:
	.size	_ZN7rocprim17ROCPRIM_400000_NS6detail17trampoline_kernelINS0_13select_configILj256ELj13ELNS0_17block_load_methodE3ELS4_3ELS4_3ELNS0_20block_scan_algorithmE0ELj4294967295EEENS1_25partition_config_selectorILNS1_17partition_subalgoE3EjNS0_10empty_typeEbEEZZNS1_14partition_implILS8_3ELb0ES6_jNS0_17counting_iteratorIjlEEPS9_SE_NS0_5tupleIJPjSE_EEENSF_IJSE_SE_EEES9_SG_JZNS1_25segmented_radix_sort_implINS0_14default_configELb0EPKaPaPKlPlN2at6native12_GLOBAL__N_18offset_tEEE10hipError_tPvRmT1_PNSt15iterator_traitsISY_E10value_typeET2_T3_PNSZ_IS14_E10value_typeET4_jRbjT5_S1A_jjP12ihipStream_tbEUljE_EEESV_SW_SX_S14_S18_S1A_T6_T7_T9_mT8_S1C_bDpT10_ENKUlT_T0_E_clISt17integral_constantIbLb1EES1O_IbLb0EEEEDaS1K_S1L_EUlS1K_E_NS1_11comp_targetILNS1_3genE2ELNS1_11target_archE906ELNS1_3gpuE6ELNS1_3repE0EEENS1_30default_config_static_selectorELNS0_4arch9wavefront6targetE0EEEvSY_, .Lfunc_end378-_ZN7rocprim17ROCPRIM_400000_NS6detail17trampoline_kernelINS0_13select_configILj256ELj13ELNS0_17block_load_methodE3ELS4_3ELS4_3ELNS0_20block_scan_algorithmE0ELj4294967295EEENS1_25partition_config_selectorILNS1_17partition_subalgoE3EjNS0_10empty_typeEbEEZZNS1_14partition_implILS8_3ELb0ES6_jNS0_17counting_iteratorIjlEEPS9_SE_NS0_5tupleIJPjSE_EEENSF_IJSE_SE_EEES9_SG_JZNS1_25segmented_radix_sort_implINS0_14default_configELb0EPKaPaPKlPlN2at6native12_GLOBAL__N_18offset_tEEE10hipError_tPvRmT1_PNSt15iterator_traitsISY_E10value_typeET2_T3_PNSZ_IS14_E10value_typeET4_jRbjT5_S1A_jjP12ihipStream_tbEUljE_EEESV_SW_SX_S14_S18_S1A_T6_T7_T9_mT8_S1C_bDpT10_ENKUlT_T0_E_clISt17integral_constantIbLb1EES1O_IbLb0EEEEDaS1K_S1L_EUlS1K_E_NS1_11comp_targetILNS1_3genE2ELNS1_11target_archE906ELNS1_3gpuE6ELNS1_3repE0EEENS1_30default_config_static_selectorELNS0_4arch9wavefront6targetE0EEEvSY_
                                        ; -- End function
	.set _ZN7rocprim17ROCPRIM_400000_NS6detail17trampoline_kernelINS0_13select_configILj256ELj13ELNS0_17block_load_methodE3ELS4_3ELS4_3ELNS0_20block_scan_algorithmE0ELj4294967295EEENS1_25partition_config_selectorILNS1_17partition_subalgoE3EjNS0_10empty_typeEbEEZZNS1_14partition_implILS8_3ELb0ES6_jNS0_17counting_iteratorIjlEEPS9_SE_NS0_5tupleIJPjSE_EEENSF_IJSE_SE_EEES9_SG_JZNS1_25segmented_radix_sort_implINS0_14default_configELb0EPKaPaPKlPlN2at6native12_GLOBAL__N_18offset_tEEE10hipError_tPvRmT1_PNSt15iterator_traitsISY_E10value_typeET2_T3_PNSZ_IS14_E10value_typeET4_jRbjT5_S1A_jjP12ihipStream_tbEUljE_EEESV_SW_SX_S14_S18_S1A_T6_T7_T9_mT8_S1C_bDpT10_ENKUlT_T0_E_clISt17integral_constantIbLb1EES1O_IbLb0EEEEDaS1K_S1L_EUlS1K_E_NS1_11comp_targetILNS1_3genE2ELNS1_11target_archE906ELNS1_3gpuE6ELNS1_3repE0EEENS1_30default_config_static_selectorELNS0_4arch9wavefront6targetE0EEEvSY_.num_vgpr, 0
	.set _ZN7rocprim17ROCPRIM_400000_NS6detail17trampoline_kernelINS0_13select_configILj256ELj13ELNS0_17block_load_methodE3ELS4_3ELS4_3ELNS0_20block_scan_algorithmE0ELj4294967295EEENS1_25partition_config_selectorILNS1_17partition_subalgoE3EjNS0_10empty_typeEbEEZZNS1_14partition_implILS8_3ELb0ES6_jNS0_17counting_iteratorIjlEEPS9_SE_NS0_5tupleIJPjSE_EEENSF_IJSE_SE_EEES9_SG_JZNS1_25segmented_radix_sort_implINS0_14default_configELb0EPKaPaPKlPlN2at6native12_GLOBAL__N_18offset_tEEE10hipError_tPvRmT1_PNSt15iterator_traitsISY_E10value_typeET2_T3_PNSZ_IS14_E10value_typeET4_jRbjT5_S1A_jjP12ihipStream_tbEUljE_EEESV_SW_SX_S14_S18_S1A_T6_T7_T9_mT8_S1C_bDpT10_ENKUlT_T0_E_clISt17integral_constantIbLb1EES1O_IbLb0EEEEDaS1K_S1L_EUlS1K_E_NS1_11comp_targetILNS1_3genE2ELNS1_11target_archE906ELNS1_3gpuE6ELNS1_3repE0EEENS1_30default_config_static_selectorELNS0_4arch9wavefront6targetE0EEEvSY_.num_agpr, 0
	.set _ZN7rocprim17ROCPRIM_400000_NS6detail17trampoline_kernelINS0_13select_configILj256ELj13ELNS0_17block_load_methodE3ELS4_3ELS4_3ELNS0_20block_scan_algorithmE0ELj4294967295EEENS1_25partition_config_selectorILNS1_17partition_subalgoE3EjNS0_10empty_typeEbEEZZNS1_14partition_implILS8_3ELb0ES6_jNS0_17counting_iteratorIjlEEPS9_SE_NS0_5tupleIJPjSE_EEENSF_IJSE_SE_EEES9_SG_JZNS1_25segmented_radix_sort_implINS0_14default_configELb0EPKaPaPKlPlN2at6native12_GLOBAL__N_18offset_tEEE10hipError_tPvRmT1_PNSt15iterator_traitsISY_E10value_typeET2_T3_PNSZ_IS14_E10value_typeET4_jRbjT5_S1A_jjP12ihipStream_tbEUljE_EEESV_SW_SX_S14_S18_S1A_T6_T7_T9_mT8_S1C_bDpT10_ENKUlT_T0_E_clISt17integral_constantIbLb1EES1O_IbLb0EEEEDaS1K_S1L_EUlS1K_E_NS1_11comp_targetILNS1_3genE2ELNS1_11target_archE906ELNS1_3gpuE6ELNS1_3repE0EEENS1_30default_config_static_selectorELNS0_4arch9wavefront6targetE0EEEvSY_.numbered_sgpr, 0
	.set _ZN7rocprim17ROCPRIM_400000_NS6detail17trampoline_kernelINS0_13select_configILj256ELj13ELNS0_17block_load_methodE3ELS4_3ELS4_3ELNS0_20block_scan_algorithmE0ELj4294967295EEENS1_25partition_config_selectorILNS1_17partition_subalgoE3EjNS0_10empty_typeEbEEZZNS1_14partition_implILS8_3ELb0ES6_jNS0_17counting_iteratorIjlEEPS9_SE_NS0_5tupleIJPjSE_EEENSF_IJSE_SE_EEES9_SG_JZNS1_25segmented_radix_sort_implINS0_14default_configELb0EPKaPaPKlPlN2at6native12_GLOBAL__N_18offset_tEEE10hipError_tPvRmT1_PNSt15iterator_traitsISY_E10value_typeET2_T3_PNSZ_IS14_E10value_typeET4_jRbjT5_S1A_jjP12ihipStream_tbEUljE_EEESV_SW_SX_S14_S18_S1A_T6_T7_T9_mT8_S1C_bDpT10_ENKUlT_T0_E_clISt17integral_constantIbLb1EES1O_IbLb0EEEEDaS1K_S1L_EUlS1K_E_NS1_11comp_targetILNS1_3genE2ELNS1_11target_archE906ELNS1_3gpuE6ELNS1_3repE0EEENS1_30default_config_static_selectorELNS0_4arch9wavefront6targetE0EEEvSY_.num_named_barrier, 0
	.set _ZN7rocprim17ROCPRIM_400000_NS6detail17trampoline_kernelINS0_13select_configILj256ELj13ELNS0_17block_load_methodE3ELS4_3ELS4_3ELNS0_20block_scan_algorithmE0ELj4294967295EEENS1_25partition_config_selectorILNS1_17partition_subalgoE3EjNS0_10empty_typeEbEEZZNS1_14partition_implILS8_3ELb0ES6_jNS0_17counting_iteratorIjlEEPS9_SE_NS0_5tupleIJPjSE_EEENSF_IJSE_SE_EEES9_SG_JZNS1_25segmented_radix_sort_implINS0_14default_configELb0EPKaPaPKlPlN2at6native12_GLOBAL__N_18offset_tEEE10hipError_tPvRmT1_PNSt15iterator_traitsISY_E10value_typeET2_T3_PNSZ_IS14_E10value_typeET4_jRbjT5_S1A_jjP12ihipStream_tbEUljE_EEESV_SW_SX_S14_S18_S1A_T6_T7_T9_mT8_S1C_bDpT10_ENKUlT_T0_E_clISt17integral_constantIbLb1EES1O_IbLb0EEEEDaS1K_S1L_EUlS1K_E_NS1_11comp_targetILNS1_3genE2ELNS1_11target_archE906ELNS1_3gpuE6ELNS1_3repE0EEENS1_30default_config_static_selectorELNS0_4arch9wavefront6targetE0EEEvSY_.private_seg_size, 0
	.set _ZN7rocprim17ROCPRIM_400000_NS6detail17trampoline_kernelINS0_13select_configILj256ELj13ELNS0_17block_load_methodE3ELS4_3ELS4_3ELNS0_20block_scan_algorithmE0ELj4294967295EEENS1_25partition_config_selectorILNS1_17partition_subalgoE3EjNS0_10empty_typeEbEEZZNS1_14partition_implILS8_3ELb0ES6_jNS0_17counting_iteratorIjlEEPS9_SE_NS0_5tupleIJPjSE_EEENSF_IJSE_SE_EEES9_SG_JZNS1_25segmented_radix_sort_implINS0_14default_configELb0EPKaPaPKlPlN2at6native12_GLOBAL__N_18offset_tEEE10hipError_tPvRmT1_PNSt15iterator_traitsISY_E10value_typeET2_T3_PNSZ_IS14_E10value_typeET4_jRbjT5_S1A_jjP12ihipStream_tbEUljE_EEESV_SW_SX_S14_S18_S1A_T6_T7_T9_mT8_S1C_bDpT10_ENKUlT_T0_E_clISt17integral_constantIbLb1EES1O_IbLb0EEEEDaS1K_S1L_EUlS1K_E_NS1_11comp_targetILNS1_3genE2ELNS1_11target_archE906ELNS1_3gpuE6ELNS1_3repE0EEENS1_30default_config_static_selectorELNS0_4arch9wavefront6targetE0EEEvSY_.uses_vcc, 0
	.set _ZN7rocprim17ROCPRIM_400000_NS6detail17trampoline_kernelINS0_13select_configILj256ELj13ELNS0_17block_load_methodE3ELS4_3ELS4_3ELNS0_20block_scan_algorithmE0ELj4294967295EEENS1_25partition_config_selectorILNS1_17partition_subalgoE3EjNS0_10empty_typeEbEEZZNS1_14partition_implILS8_3ELb0ES6_jNS0_17counting_iteratorIjlEEPS9_SE_NS0_5tupleIJPjSE_EEENSF_IJSE_SE_EEES9_SG_JZNS1_25segmented_radix_sort_implINS0_14default_configELb0EPKaPaPKlPlN2at6native12_GLOBAL__N_18offset_tEEE10hipError_tPvRmT1_PNSt15iterator_traitsISY_E10value_typeET2_T3_PNSZ_IS14_E10value_typeET4_jRbjT5_S1A_jjP12ihipStream_tbEUljE_EEESV_SW_SX_S14_S18_S1A_T6_T7_T9_mT8_S1C_bDpT10_ENKUlT_T0_E_clISt17integral_constantIbLb1EES1O_IbLb0EEEEDaS1K_S1L_EUlS1K_E_NS1_11comp_targetILNS1_3genE2ELNS1_11target_archE906ELNS1_3gpuE6ELNS1_3repE0EEENS1_30default_config_static_selectorELNS0_4arch9wavefront6targetE0EEEvSY_.uses_flat_scratch, 0
	.set _ZN7rocprim17ROCPRIM_400000_NS6detail17trampoline_kernelINS0_13select_configILj256ELj13ELNS0_17block_load_methodE3ELS4_3ELS4_3ELNS0_20block_scan_algorithmE0ELj4294967295EEENS1_25partition_config_selectorILNS1_17partition_subalgoE3EjNS0_10empty_typeEbEEZZNS1_14partition_implILS8_3ELb0ES6_jNS0_17counting_iteratorIjlEEPS9_SE_NS0_5tupleIJPjSE_EEENSF_IJSE_SE_EEES9_SG_JZNS1_25segmented_radix_sort_implINS0_14default_configELb0EPKaPaPKlPlN2at6native12_GLOBAL__N_18offset_tEEE10hipError_tPvRmT1_PNSt15iterator_traitsISY_E10value_typeET2_T3_PNSZ_IS14_E10value_typeET4_jRbjT5_S1A_jjP12ihipStream_tbEUljE_EEESV_SW_SX_S14_S18_S1A_T6_T7_T9_mT8_S1C_bDpT10_ENKUlT_T0_E_clISt17integral_constantIbLb1EES1O_IbLb0EEEEDaS1K_S1L_EUlS1K_E_NS1_11comp_targetILNS1_3genE2ELNS1_11target_archE906ELNS1_3gpuE6ELNS1_3repE0EEENS1_30default_config_static_selectorELNS0_4arch9wavefront6targetE0EEEvSY_.has_dyn_sized_stack, 0
	.set _ZN7rocprim17ROCPRIM_400000_NS6detail17trampoline_kernelINS0_13select_configILj256ELj13ELNS0_17block_load_methodE3ELS4_3ELS4_3ELNS0_20block_scan_algorithmE0ELj4294967295EEENS1_25partition_config_selectorILNS1_17partition_subalgoE3EjNS0_10empty_typeEbEEZZNS1_14partition_implILS8_3ELb0ES6_jNS0_17counting_iteratorIjlEEPS9_SE_NS0_5tupleIJPjSE_EEENSF_IJSE_SE_EEES9_SG_JZNS1_25segmented_radix_sort_implINS0_14default_configELb0EPKaPaPKlPlN2at6native12_GLOBAL__N_18offset_tEEE10hipError_tPvRmT1_PNSt15iterator_traitsISY_E10value_typeET2_T3_PNSZ_IS14_E10value_typeET4_jRbjT5_S1A_jjP12ihipStream_tbEUljE_EEESV_SW_SX_S14_S18_S1A_T6_T7_T9_mT8_S1C_bDpT10_ENKUlT_T0_E_clISt17integral_constantIbLb1EES1O_IbLb0EEEEDaS1K_S1L_EUlS1K_E_NS1_11comp_targetILNS1_3genE2ELNS1_11target_archE906ELNS1_3gpuE6ELNS1_3repE0EEENS1_30default_config_static_selectorELNS0_4arch9wavefront6targetE0EEEvSY_.has_recursion, 0
	.set _ZN7rocprim17ROCPRIM_400000_NS6detail17trampoline_kernelINS0_13select_configILj256ELj13ELNS0_17block_load_methodE3ELS4_3ELS4_3ELNS0_20block_scan_algorithmE0ELj4294967295EEENS1_25partition_config_selectorILNS1_17partition_subalgoE3EjNS0_10empty_typeEbEEZZNS1_14partition_implILS8_3ELb0ES6_jNS0_17counting_iteratorIjlEEPS9_SE_NS0_5tupleIJPjSE_EEENSF_IJSE_SE_EEES9_SG_JZNS1_25segmented_radix_sort_implINS0_14default_configELb0EPKaPaPKlPlN2at6native12_GLOBAL__N_18offset_tEEE10hipError_tPvRmT1_PNSt15iterator_traitsISY_E10value_typeET2_T3_PNSZ_IS14_E10value_typeET4_jRbjT5_S1A_jjP12ihipStream_tbEUljE_EEESV_SW_SX_S14_S18_S1A_T6_T7_T9_mT8_S1C_bDpT10_ENKUlT_T0_E_clISt17integral_constantIbLb1EES1O_IbLb0EEEEDaS1K_S1L_EUlS1K_E_NS1_11comp_targetILNS1_3genE2ELNS1_11target_archE906ELNS1_3gpuE6ELNS1_3repE0EEENS1_30default_config_static_selectorELNS0_4arch9wavefront6targetE0EEEvSY_.has_indirect_call, 0
	.section	.AMDGPU.csdata,"",@progbits
; Kernel info:
; codeLenInByte = 0
; TotalNumSgprs: 0
; NumVgprs: 0
; ScratchSize: 0
; MemoryBound: 0
; FloatMode: 240
; IeeeMode: 1
; LDSByteSize: 0 bytes/workgroup (compile time only)
; SGPRBlocks: 0
; VGPRBlocks: 0
; NumSGPRsForWavesPerEU: 1
; NumVGPRsForWavesPerEU: 1
; NamedBarCnt: 0
; Occupancy: 16
; WaveLimiterHint : 0
; COMPUTE_PGM_RSRC2:SCRATCH_EN: 0
; COMPUTE_PGM_RSRC2:USER_SGPR: 2
; COMPUTE_PGM_RSRC2:TRAP_HANDLER: 0
; COMPUTE_PGM_RSRC2:TGID_X_EN: 1
; COMPUTE_PGM_RSRC2:TGID_Y_EN: 0
; COMPUTE_PGM_RSRC2:TGID_Z_EN: 0
; COMPUTE_PGM_RSRC2:TIDIG_COMP_CNT: 0
	.section	.text._ZN7rocprim17ROCPRIM_400000_NS6detail17trampoline_kernelINS0_13select_configILj256ELj13ELNS0_17block_load_methodE3ELS4_3ELS4_3ELNS0_20block_scan_algorithmE0ELj4294967295EEENS1_25partition_config_selectorILNS1_17partition_subalgoE3EjNS0_10empty_typeEbEEZZNS1_14partition_implILS8_3ELb0ES6_jNS0_17counting_iteratorIjlEEPS9_SE_NS0_5tupleIJPjSE_EEENSF_IJSE_SE_EEES9_SG_JZNS1_25segmented_radix_sort_implINS0_14default_configELb0EPKaPaPKlPlN2at6native12_GLOBAL__N_18offset_tEEE10hipError_tPvRmT1_PNSt15iterator_traitsISY_E10value_typeET2_T3_PNSZ_IS14_E10value_typeET4_jRbjT5_S1A_jjP12ihipStream_tbEUljE_EEESV_SW_SX_S14_S18_S1A_T6_T7_T9_mT8_S1C_bDpT10_ENKUlT_T0_E_clISt17integral_constantIbLb1EES1O_IbLb0EEEEDaS1K_S1L_EUlS1K_E_NS1_11comp_targetILNS1_3genE10ELNS1_11target_archE1200ELNS1_3gpuE4ELNS1_3repE0EEENS1_30default_config_static_selectorELNS0_4arch9wavefront6targetE0EEEvSY_,"axG",@progbits,_ZN7rocprim17ROCPRIM_400000_NS6detail17trampoline_kernelINS0_13select_configILj256ELj13ELNS0_17block_load_methodE3ELS4_3ELS4_3ELNS0_20block_scan_algorithmE0ELj4294967295EEENS1_25partition_config_selectorILNS1_17partition_subalgoE3EjNS0_10empty_typeEbEEZZNS1_14partition_implILS8_3ELb0ES6_jNS0_17counting_iteratorIjlEEPS9_SE_NS0_5tupleIJPjSE_EEENSF_IJSE_SE_EEES9_SG_JZNS1_25segmented_radix_sort_implINS0_14default_configELb0EPKaPaPKlPlN2at6native12_GLOBAL__N_18offset_tEEE10hipError_tPvRmT1_PNSt15iterator_traitsISY_E10value_typeET2_T3_PNSZ_IS14_E10value_typeET4_jRbjT5_S1A_jjP12ihipStream_tbEUljE_EEESV_SW_SX_S14_S18_S1A_T6_T7_T9_mT8_S1C_bDpT10_ENKUlT_T0_E_clISt17integral_constantIbLb1EES1O_IbLb0EEEEDaS1K_S1L_EUlS1K_E_NS1_11comp_targetILNS1_3genE10ELNS1_11target_archE1200ELNS1_3gpuE4ELNS1_3repE0EEENS1_30default_config_static_selectorELNS0_4arch9wavefront6targetE0EEEvSY_,comdat
	.globl	_ZN7rocprim17ROCPRIM_400000_NS6detail17trampoline_kernelINS0_13select_configILj256ELj13ELNS0_17block_load_methodE3ELS4_3ELS4_3ELNS0_20block_scan_algorithmE0ELj4294967295EEENS1_25partition_config_selectorILNS1_17partition_subalgoE3EjNS0_10empty_typeEbEEZZNS1_14partition_implILS8_3ELb0ES6_jNS0_17counting_iteratorIjlEEPS9_SE_NS0_5tupleIJPjSE_EEENSF_IJSE_SE_EEES9_SG_JZNS1_25segmented_radix_sort_implINS0_14default_configELb0EPKaPaPKlPlN2at6native12_GLOBAL__N_18offset_tEEE10hipError_tPvRmT1_PNSt15iterator_traitsISY_E10value_typeET2_T3_PNSZ_IS14_E10value_typeET4_jRbjT5_S1A_jjP12ihipStream_tbEUljE_EEESV_SW_SX_S14_S18_S1A_T6_T7_T9_mT8_S1C_bDpT10_ENKUlT_T0_E_clISt17integral_constantIbLb1EES1O_IbLb0EEEEDaS1K_S1L_EUlS1K_E_NS1_11comp_targetILNS1_3genE10ELNS1_11target_archE1200ELNS1_3gpuE4ELNS1_3repE0EEENS1_30default_config_static_selectorELNS0_4arch9wavefront6targetE0EEEvSY_ ; -- Begin function _ZN7rocprim17ROCPRIM_400000_NS6detail17trampoline_kernelINS0_13select_configILj256ELj13ELNS0_17block_load_methodE3ELS4_3ELS4_3ELNS0_20block_scan_algorithmE0ELj4294967295EEENS1_25partition_config_selectorILNS1_17partition_subalgoE3EjNS0_10empty_typeEbEEZZNS1_14partition_implILS8_3ELb0ES6_jNS0_17counting_iteratorIjlEEPS9_SE_NS0_5tupleIJPjSE_EEENSF_IJSE_SE_EEES9_SG_JZNS1_25segmented_radix_sort_implINS0_14default_configELb0EPKaPaPKlPlN2at6native12_GLOBAL__N_18offset_tEEE10hipError_tPvRmT1_PNSt15iterator_traitsISY_E10value_typeET2_T3_PNSZ_IS14_E10value_typeET4_jRbjT5_S1A_jjP12ihipStream_tbEUljE_EEESV_SW_SX_S14_S18_S1A_T6_T7_T9_mT8_S1C_bDpT10_ENKUlT_T0_E_clISt17integral_constantIbLb1EES1O_IbLb0EEEEDaS1K_S1L_EUlS1K_E_NS1_11comp_targetILNS1_3genE10ELNS1_11target_archE1200ELNS1_3gpuE4ELNS1_3repE0EEENS1_30default_config_static_selectorELNS0_4arch9wavefront6targetE0EEEvSY_
	.p2align	8
	.type	_ZN7rocprim17ROCPRIM_400000_NS6detail17trampoline_kernelINS0_13select_configILj256ELj13ELNS0_17block_load_methodE3ELS4_3ELS4_3ELNS0_20block_scan_algorithmE0ELj4294967295EEENS1_25partition_config_selectorILNS1_17partition_subalgoE3EjNS0_10empty_typeEbEEZZNS1_14partition_implILS8_3ELb0ES6_jNS0_17counting_iteratorIjlEEPS9_SE_NS0_5tupleIJPjSE_EEENSF_IJSE_SE_EEES9_SG_JZNS1_25segmented_radix_sort_implINS0_14default_configELb0EPKaPaPKlPlN2at6native12_GLOBAL__N_18offset_tEEE10hipError_tPvRmT1_PNSt15iterator_traitsISY_E10value_typeET2_T3_PNSZ_IS14_E10value_typeET4_jRbjT5_S1A_jjP12ihipStream_tbEUljE_EEESV_SW_SX_S14_S18_S1A_T6_T7_T9_mT8_S1C_bDpT10_ENKUlT_T0_E_clISt17integral_constantIbLb1EES1O_IbLb0EEEEDaS1K_S1L_EUlS1K_E_NS1_11comp_targetILNS1_3genE10ELNS1_11target_archE1200ELNS1_3gpuE4ELNS1_3repE0EEENS1_30default_config_static_selectorELNS0_4arch9wavefront6targetE0EEEvSY_,@function
_ZN7rocprim17ROCPRIM_400000_NS6detail17trampoline_kernelINS0_13select_configILj256ELj13ELNS0_17block_load_methodE3ELS4_3ELS4_3ELNS0_20block_scan_algorithmE0ELj4294967295EEENS1_25partition_config_selectorILNS1_17partition_subalgoE3EjNS0_10empty_typeEbEEZZNS1_14partition_implILS8_3ELb0ES6_jNS0_17counting_iteratorIjlEEPS9_SE_NS0_5tupleIJPjSE_EEENSF_IJSE_SE_EEES9_SG_JZNS1_25segmented_radix_sort_implINS0_14default_configELb0EPKaPaPKlPlN2at6native12_GLOBAL__N_18offset_tEEE10hipError_tPvRmT1_PNSt15iterator_traitsISY_E10value_typeET2_T3_PNSZ_IS14_E10value_typeET4_jRbjT5_S1A_jjP12ihipStream_tbEUljE_EEESV_SW_SX_S14_S18_S1A_T6_T7_T9_mT8_S1C_bDpT10_ENKUlT_T0_E_clISt17integral_constantIbLb1EES1O_IbLb0EEEEDaS1K_S1L_EUlS1K_E_NS1_11comp_targetILNS1_3genE10ELNS1_11target_archE1200ELNS1_3gpuE4ELNS1_3repE0EEENS1_30default_config_static_selectorELNS0_4arch9wavefront6targetE0EEEvSY_: ; @_ZN7rocprim17ROCPRIM_400000_NS6detail17trampoline_kernelINS0_13select_configILj256ELj13ELNS0_17block_load_methodE3ELS4_3ELS4_3ELNS0_20block_scan_algorithmE0ELj4294967295EEENS1_25partition_config_selectorILNS1_17partition_subalgoE3EjNS0_10empty_typeEbEEZZNS1_14partition_implILS8_3ELb0ES6_jNS0_17counting_iteratorIjlEEPS9_SE_NS0_5tupleIJPjSE_EEENSF_IJSE_SE_EEES9_SG_JZNS1_25segmented_radix_sort_implINS0_14default_configELb0EPKaPaPKlPlN2at6native12_GLOBAL__N_18offset_tEEE10hipError_tPvRmT1_PNSt15iterator_traitsISY_E10value_typeET2_T3_PNSZ_IS14_E10value_typeET4_jRbjT5_S1A_jjP12ihipStream_tbEUljE_EEESV_SW_SX_S14_S18_S1A_T6_T7_T9_mT8_S1C_bDpT10_ENKUlT_T0_E_clISt17integral_constantIbLb1EES1O_IbLb0EEEEDaS1K_S1L_EUlS1K_E_NS1_11comp_targetILNS1_3genE10ELNS1_11target_archE1200ELNS1_3gpuE4ELNS1_3repE0EEENS1_30default_config_static_selectorELNS0_4arch9wavefront6targetE0EEEvSY_
; %bb.0:
	.section	.rodata,"a",@progbits
	.p2align	6, 0x0
	.amdhsa_kernel _ZN7rocprim17ROCPRIM_400000_NS6detail17trampoline_kernelINS0_13select_configILj256ELj13ELNS0_17block_load_methodE3ELS4_3ELS4_3ELNS0_20block_scan_algorithmE0ELj4294967295EEENS1_25partition_config_selectorILNS1_17partition_subalgoE3EjNS0_10empty_typeEbEEZZNS1_14partition_implILS8_3ELb0ES6_jNS0_17counting_iteratorIjlEEPS9_SE_NS0_5tupleIJPjSE_EEENSF_IJSE_SE_EEES9_SG_JZNS1_25segmented_radix_sort_implINS0_14default_configELb0EPKaPaPKlPlN2at6native12_GLOBAL__N_18offset_tEEE10hipError_tPvRmT1_PNSt15iterator_traitsISY_E10value_typeET2_T3_PNSZ_IS14_E10value_typeET4_jRbjT5_S1A_jjP12ihipStream_tbEUljE_EEESV_SW_SX_S14_S18_S1A_T6_T7_T9_mT8_S1C_bDpT10_ENKUlT_T0_E_clISt17integral_constantIbLb1EES1O_IbLb0EEEEDaS1K_S1L_EUlS1K_E_NS1_11comp_targetILNS1_3genE10ELNS1_11target_archE1200ELNS1_3gpuE4ELNS1_3repE0EEENS1_30default_config_static_selectorELNS0_4arch9wavefront6targetE0EEEvSY_
		.amdhsa_group_segment_fixed_size 0
		.amdhsa_private_segment_fixed_size 0
		.amdhsa_kernarg_size 144
		.amdhsa_user_sgpr_count 2
		.amdhsa_user_sgpr_dispatch_ptr 0
		.amdhsa_user_sgpr_queue_ptr 0
		.amdhsa_user_sgpr_kernarg_segment_ptr 1
		.amdhsa_user_sgpr_dispatch_id 0
		.amdhsa_user_sgpr_kernarg_preload_length 0
		.amdhsa_user_sgpr_kernarg_preload_offset 0
		.amdhsa_user_sgpr_private_segment_size 0
		.amdhsa_wavefront_size32 1
		.amdhsa_uses_dynamic_stack 0
		.amdhsa_enable_private_segment 0
		.amdhsa_system_sgpr_workgroup_id_x 1
		.amdhsa_system_sgpr_workgroup_id_y 0
		.amdhsa_system_sgpr_workgroup_id_z 0
		.amdhsa_system_sgpr_workgroup_info 0
		.amdhsa_system_vgpr_workitem_id 0
		.amdhsa_next_free_vgpr 1
		.amdhsa_next_free_sgpr 1
		.amdhsa_named_barrier_count 0
		.amdhsa_reserve_vcc 0
		.amdhsa_float_round_mode_32 0
		.amdhsa_float_round_mode_16_64 0
		.amdhsa_float_denorm_mode_32 3
		.amdhsa_float_denorm_mode_16_64 3
		.amdhsa_fp16_overflow 0
		.amdhsa_memory_ordered 1
		.amdhsa_forward_progress 1
		.amdhsa_inst_pref_size 0
		.amdhsa_round_robin_scheduling 0
		.amdhsa_exception_fp_ieee_invalid_op 0
		.amdhsa_exception_fp_denorm_src 0
		.amdhsa_exception_fp_ieee_div_zero 0
		.amdhsa_exception_fp_ieee_overflow 0
		.amdhsa_exception_fp_ieee_underflow 0
		.amdhsa_exception_fp_ieee_inexact 0
		.amdhsa_exception_int_div_zero 0
	.end_amdhsa_kernel
	.section	.text._ZN7rocprim17ROCPRIM_400000_NS6detail17trampoline_kernelINS0_13select_configILj256ELj13ELNS0_17block_load_methodE3ELS4_3ELS4_3ELNS0_20block_scan_algorithmE0ELj4294967295EEENS1_25partition_config_selectorILNS1_17partition_subalgoE3EjNS0_10empty_typeEbEEZZNS1_14partition_implILS8_3ELb0ES6_jNS0_17counting_iteratorIjlEEPS9_SE_NS0_5tupleIJPjSE_EEENSF_IJSE_SE_EEES9_SG_JZNS1_25segmented_radix_sort_implINS0_14default_configELb0EPKaPaPKlPlN2at6native12_GLOBAL__N_18offset_tEEE10hipError_tPvRmT1_PNSt15iterator_traitsISY_E10value_typeET2_T3_PNSZ_IS14_E10value_typeET4_jRbjT5_S1A_jjP12ihipStream_tbEUljE_EEESV_SW_SX_S14_S18_S1A_T6_T7_T9_mT8_S1C_bDpT10_ENKUlT_T0_E_clISt17integral_constantIbLb1EES1O_IbLb0EEEEDaS1K_S1L_EUlS1K_E_NS1_11comp_targetILNS1_3genE10ELNS1_11target_archE1200ELNS1_3gpuE4ELNS1_3repE0EEENS1_30default_config_static_selectorELNS0_4arch9wavefront6targetE0EEEvSY_,"axG",@progbits,_ZN7rocprim17ROCPRIM_400000_NS6detail17trampoline_kernelINS0_13select_configILj256ELj13ELNS0_17block_load_methodE3ELS4_3ELS4_3ELNS0_20block_scan_algorithmE0ELj4294967295EEENS1_25partition_config_selectorILNS1_17partition_subalgoE3EjNS0_10empty_typeEbEEZZNS1_14partition_implILS8_3ELb0ES6_jNS0_17counting_iteratorIjlEEPS9_SE_NS0_5tupleIJPjSE_EEENSF_IJSE_SE_EEES9_SG_JZNS1_25segmented_radix_sort_implINS0_14default_configELb0EPKaPaPKlPlN2at6native12_GLOBAL__N_18offset_tEEE10hipError_tPvRmT1_PNSt15iterator_traitsISY_E10value_typeET2_T3_PNSZ_IS14_E10value_typeET4_jRbjT5_S1A_jjP12ihipStream_tbEUljE_EEESV_SW_SX_S14_S18_S1A_T6_T7_T9_mT8_S1C_bDpT10_ENKUlT_T0_E_clISt17integral_constantIbLb1EES1O_IbLb0EEEEDaS1K_S1L_EUlS1K_E_NS1_11comp_targetILNS1_3genE10ELNS1_11target_archE1200ELNS1_3gpuE4ELNS1_3repE0EEENS1_30default_config_static_selectorELNS0_4arch9wavefront6targetE0EEEvSY_,comdat
.Lfunc_end379:
	.size	_ZN7rocprim17ROCPRIM_400000_NS6detail17trampoline_kernelINS0_13select_configILj256ELj13ELNS0_17block_load_methodE3ELS4_3ELS4_3ELNS0_20block_scan_algorithmE0ELj4294967295EEENS1_25partition_config_selectorILNS1_17partition_subalgoE3EjNS0_10empty_typeEbEEZZNS1_14partition_implILS8_3ELb0ES6_jNS0_17counting_iteratorIjlEEPS9_SE_NS0_5tupleIJPjSE_EEENSF_IJSE_SE_EEES9_SG_JZNS1_25segmented_radix_sort_implINS0_14default_configELb0EPKaPaPKlPlN2at6native12_GLOBAL__N_18offset_tEEE10hipError_tPvRmT1_PNSt15iterator_traitsISY_E10value_typeET2_T3_PNSZ_IS14_E10value_typeET4_jRbjT5_S1A_jjP12ihipStream_tbEUljE_EEESV_SW_SX_S14_S18_S1A_T6_T7_T9_mT8_S1C_bDpT10_ENKUlT_T0_E_clISt17integral_constantIbLb1EES1O_IbLb0EEEEDaS1K_S1L_EUlS1K_E_NS1_11comp_targetILNS1_3genE10ELNS1_11target_archE1200ELNS1_3gpuE4ELNS1_3repE0EEENS1_30default_config_static_selectorELNS0_4arch9wavefront6targetE0EEEvSY_, .Lfunc_end379-_ZN7rocprim17ROCPRIM_400000_NS6detail17trampoline_kernelINS0_13select_configILj256ELj13ELNS0_17block_load_methodE3ELS4_3ELS4_3ELNS0_20block_scan_algorithmE0ELj4294967295EEENS1_25partition_config_selectorILNS1_17partition_subalgoE3EjNS0_10empty_typeEbEEZZNS1_14partition_implILS8_3ELb0ES6_jNS0_17counting_iteratorIjlEEPS9_SE_NS0_5tupleIJPjSE_EEENSF_IJSE_SE_EEES9_SG_JZNS1_25segmented_radix_sort_implINS0_14default_configELb0EPKaPaPKlPlN2at6native12_GLOBAL__N_18offset_tEEE10hipError_tPvRmT1_PNSt15iterator_traitsISY_E10value_typeET2_T3_PNSZ_IS14_E10value_typeET4_jRbjT5_S1A_jjP12ihipStream_tbEUljE_EEESV_SW_SX_S14_S18_S1A_T6_T7_T9_mT8_S1C_bDpT10_ENKUlT_T0_E_clISt17integral_constantIbLb1EES1O_IbLb0EEEEDaS1K_S1L_EUlS1K_E_NS1_11comp_targetILNS1_3genE10ELNS1_11target_archE1200ELNS1_3gpuE4ELNS1_3repE0EEENS1_30default_config_static_selectorELNS0_4arch9wavefront6targetE0EEEvSY_
                                        ; -- End function
	.set _ZN7rocprim17ROCPRIM_400000_NS6detail17trampoline_kernelINS0_13select_configILj256ELj13ELNS0_17block_load_methodE3ELS4_3ELS4_3ELNS0_20block_scan_algorithmE0ELj4294967295EEENS1_25partition_config_selectorILNS1_17partition_subalgoE3EjNS0_10empty_typeEbEEZZNS1_14partition_implILS8_3ELb0ES6_jNS0_17counting_iteratorIjlEEPS9_SE_NS0_5tupleIJPjSE_EEENSF_IJSE_SE_EEES9_SG_JZNS1_25segmented_radix_sort_implINS0_14default_configELb0EPKaPaPKlPlN2at6native12_GLOBAL__N_18offset_tEEE10hipError_tPvRmT1_PNSt15iterator_traitsISY_E10value_typeET2_T3_PNSZ_IS14_E10value_typeET4_jRbjT5_S1A_jjP12ihipStream_tbEUljE_EEESV_SW_SX_S14_S18_S1A_T6_T7_T9_mT8_S1C_bDpT10_ENKUlT_T0_E_clISt17integral_constantIbLb1EES1O_IbLb0EEEEDaS1K_S1L_EUlS1K_E_NS1_11comp_targetILNS1_3genE10ELNS1_11target_archE1200ELNS1_3gpuE4ELNS1_3repE0EEENS1_30default_config_static_selectorELNS0_4arch9wavefront6targetE0EEEvSY_.num_vgpr, 0
	.set _ZN7rocprim17ROCPRIM_400000_NS6detail17trampoline_kernelINS0_13select_configILj256ELj13ELNS0_17block_load_methodE3ELS4_3ELS4_3ELNS0_20block_scan_algorithmE0ELj4294967295EEENS1_25partition_config_selectorILNS1_17partition_subalgoE3EjNS0_10empty_typeEbEEZZNS1_14partition_implILS8_3ELb0ES6_jNS0_17counting_iteratorIjlEEPS9_SE_NS0_5tupleIJPjSE_EEENSF_IJSE_SE_EEES9_SG_JZNS1_25segmented_radix_sort_implINS0_14default_configELb0EPKaPaPKlPlN2at6native12_GLOBAL__N_18offset_tEEE10hipError_tPvRmT1_PNSt15iterator_traitsISY_E10value_typeET2_T3_PNSZ_IS14_E10value_typeET4_jRbjT5_S1A_jjP12ihipStream_tbEUljE_EEESV_SW_SX_S14_S18_S1A_T6_T7_T9_mT8_S1C_bDpT10_ENKUlT_T0_E_clISt17integral_constantIbLb1EES1O_IbLb0EEEEDaS1K_S1L_EUlS1K_E_NS1_11comp_targetILNS1_3genE10ELNS1_11target_archE1200ELNS1_3gpuE4ELNS1_3repE0EEENS1_30default_config_static_selectorELNS0_4arch9wavefront6targetE0EEEvSY_.num_agpr, 0
	.set _ZN7rocprim17ROCPRIM_400000_NS6detail17trampoline_kernelINS0_13select_configILj256ELj13ELNS0_17block_load_methodE3ELS4_3ELS4_3ELNS0_20block_scan_algorithmE0ELj4294967295EEENS1_25partition_config_selectorILNS1_17partition_subalgoE3EjNS0_10empty_typeEbEEZZNS1_14partition_implILS8_3ELb0ES6_jNS0_17counting_iteratorIjlEEPS9_SE_NS0_5tupleIJPjSE_EEENSF_IJSE_SE_EEES9_SG_JZNS1_25segmented_radix_sort_implINS0_14default_configELb0EPKaPaPKlPlN2at6native12_GLOBAL__N_18offset_tEEE10hipError_tPvRmT1_PNSt15iterator_traitsISY_E10value_typeET2_T3_PNSZ_IS14_E10value_typeET4_jRbjT5_S1A_jjP12ihipStream_tbEUljE_EEESV_SW_SX_S14_S18_S1A_T6_T7_T9_mT8_S1C_bDpT10_ENKUlT_T0_E_clISt17integral_constantIbLb1EES1O_IbLb0EEEEDaS1K_S1L_EUlS1K_E_NS1_11comp_targetILNS1_3genE10ELNS1_11target_archE1200ELNS1_3gpuE4ELNS1_3repE0EEENS1_30default_config_static_selectorELNS0_4arch9wavefront6targetE0EEEvSY_.numbered_sgpr, 0
	.set _ZN7rocprim17ROCPRIM_400000_NS6detail17trampoline_kernelINS0_13select_configILj256ELj13ELNS0_17block_load_methodE3ELS4_3ELS4_3ELNS0_20block_scan_algorithmE0ELj4294967295EEENS1_25partition_config_selectorILNS1_17partition_subalgoE3EjNS0_10empty_typeEbEEZZNS1_14partition_implILS8_3ELb0ES6_jNS0_17counting_iteratorIjlEEPS9_SE_NS0_5tupleIJPjSE_EEENSF_IJSE_SE_EEES9_SG_JZNS1_25segmented_radix_sort_implINS0_14default_configELb0EPKaPaPKlPlN2at6native12_GLOBAL__N_18offset_tEEE10hipError_tPvRmT1_PNSt15iterator_traitsISY_E10value_typeET2_T3_PNSZ_IS14_E10value_typeET4_jRbjT5_S1A_jjP12ihipStream_tbEUljE_EEESV_SW_SX_S14_S18_S1A_T6_T7_T9_mT8_S1C_bDpT10_ENKUlT_T0_E_clISt17integral_constantIbLb1EES1O_IbLb0EEEEDaS1K_S1L_EUlS1K_E_NS1_11comp_targetILNS1_3genE10ELNS1_11target_archE1200ELNS1_3gpuE4ELNS1_3repE0EEENS1_30default_config_static_selectorELNS0_4arch9wavefront6targetE0EEEvSY_.num_named_barrier, 0
	.set _ZN7rocprim17ROCPRIM_400000_NS6detail17trampoline_kernelINS0_13select_configILj256ELj13ELNS0_17block_load_methodE3ELS4_3ELS4_3ELNS0_20block_scan_algorithmE0ELj4294967295EEENS1_25partition_config_selectorILNS1_17partition_subalgoE3EjNS0_10empty_typeEbEEZZNS1_14partition_implILS8_3ELb0ES6_jNS0_17counting_iteratorIjlEEPS9_SE_NS0_5tupleIJPjSE_EEENSF_IJSE_SE_EEES9_SG_JZNS1_25segmented_radix_sort_implINS0_14default_configELb0EPKaPaPKlPlN2at6native12_GLOBAL__N_18offset_tEEE10hipError_tPvRmT1_PNSt15iterator_traitsISY_E10value_typeET2_T3_PNSZ_IS14_E10value_typeET4_jRbjT5_S1A_jjP12ihipStream_tbEUljE_EEESV_SW_SX_S14_S18_S1A_T6_T7_T9_mT8_S1C_bDpT10_ENKUlT_T0_E_clISt17integral_constantIbLb1EES1O_IbLb0EEEEDaS1K_S1L_EUlS1K_E_NS1_11comp_targetILNS1_3genE10ELNS1_11target_archE1200ELNS1_3gpuE4ELNS1_3repE0EEENS1_30default_config_static_selectorELNS0_4arch9wavefront6targetE0EEEvSY_.private_seg_size, 0
	.set _ZN7rocprim17ROCPRIM_400000_NS6detail17trampoline_kernelINS0_13select_configILj256ELj13ELNS0_17block_load_methodE3ELS4_3ELS4_3ELNS0_20block_scan_algorithmE0ELj4294967295EEENS1_25partition_config_selectorILNS1_17partition_subalgoE3EjNS0_10empty_typeEbEEZZNS1_14partition_implILS8_3ELb0ES6_jNS0_17counting_iteratorIjlEEPS9_SE_NS0_5tupleIJPjSE_EEENSF_IJSE_SE_EEES9_SG_JZNS1_25segmented_radix_sort_implINS0_14default_configELb0EPKaPaPKlPlN2at6native12_GLOBAL__N_18offset_tEEE10hipError_tPvRmT1_PNSt15iterator_traitsISY_E10value_typeET2_T3_PNSZ_IS14_E10value_typeET4_jRbjT5_S1A_jjP12ihipStream_tbEUljE_EEESV_SW_SX_S14_S18_S1A_T6_T7_T9_mT8_S1C_bDpT10_ENKUlT_T0_E_clISt17integral_constantIbLb1EES1O_IbLb0EEEEDaS1K_S1L_EUlS1K_E_NS1_11comp_targetILNS1_3genE10ELNS1_11target_archE1200ELNS1_3gpuE4ELNS1_3repE0EEENS1_30default_config_static_selectorELNS0_4arch9wavefront6targetE0EEEvSY_.uses_vcc, 0
	.set _ZN7rocprim17ROCPRIM_400000_NS6detail17trampoline_kernelINS0_13select_configILj256ELj13ELNS0_17block_load_methodE3ELS4_3ELS4_3ELNS0_20block_scan_algorithmE0ELj4294967295EEENS1_25partition_config_selectorILNS1_17partition_subalgoE3EjNS0_10empty_typeEbEEZZNS1_14partition_implILS8_3ELb0ES6_jNS0_17counting_iteratorIjlEEPS9_SE_NS0_5tupleIJPjSE_EEENSF_IJSE_SE_EEES9_SG_JZNS1_25segmented_radix_sort_implINS0_14default_configELb0EPKaPaPKlPlN2at6native12_GLOBAL__N_18offset_tEEE10hipError_tPvRmT1_PNSt15iterator_traitsISY_E10value_typeET2_T3_PNSZ_IS14_E10value_typeET4_jRbjT5_S1A_jjP12ihipStream_tbEUljE_EEESV_SW_SX_S14_S18_S1A_T6_T7_T9_mT8_S1C_bDpT10_ENKUlT_T0_E_clISt17integral_constantIbLb1EES1O_IbLb0EEEEDaS1K_S1L_EUlS1K_E_NS1_11comp_targetILNS1_3genE10ELNS1_11target_archE1200ELNS1_3gpuE4ELNS1_3repE0EEENS1_30default_config_static_selectorELNS0_4arch9wavefront6targetE0EEEvSY_.uses_flat_scratch, 0
	.set _ZN7rocprim17ROCPRIM_400000_NS6detail17trampoline_kernelINS0_13select_configILj256ELj13ELNS0_17block_load_methodE3ELS4_3ELS4_3ELNS0_20block_scan_algorithmE0ELj4294967295EEENS1_25partition_config_selectorILNS1_17partition_subalgoE3EjNS0_10empty_typeEbEEZZNS1_14partition_implILS8_3ELb0ES6_jNS0_17counting_iteratorIjlEEPS9_SE_NS0_5tupleIJPjSE_EEENSF_IJSE_SE_EEES9_SG_JZNS1_25segmented_radix_sort_implINS0_14default_configELb0EPKaPaPKlPlN2at6native12_GLOBAL__N_18offset_tEEE10hipError_tPvRmT1_PNSt15iterator_traitsISY_E10value_typeET2_T3_PNSZ_IS14_E10value_typeET4_jRbjT5_S1A_jjP12ihipStream_tbEUljE_EEESV_SW_SX_S14_S18_S1A_T6_T7_T9_mT8_S1C_bDpT10_ENKUlT_T0_E_clISt17integral_constantIbLb1EES1O_IbLb0EEEEDaS1K_S1L_EUlS1K_E_NS1_11comp_targetILNS1_3genE10ELNS1_11target_archE1200ELNS1_3gpuE4ELNS1_3repE0EEENS1_30default_config_static_selectorELNS0_4arch9wavefront6targetE0EEEvSY_.has_dyn_sized_stack, 0
	.set _ZN7rocprim17ROCPRIM_400000_NS6detail17trampoline_kernelINS0_13select_configILj256ELj13ELNS0_17block_load_methodE3ELS4_3ELS4_3ELNS0_20block_scan_algorithmE0ELj4294967295EEENS1_25partition_config_selectorILNS1_17partition_subalgoE3EjNS0_10empty_typeEbEEZZNS1_14partition_implILS8_3ELb0ES6_jNS0_17counting_iteratorIjlEEPS9_SE_NS0_5tupleIJPjSE_EEENSF_IJSE_SE_EEES9_SG_JZNS1_25segmented_radix_sort_implINS0_14default_configELb0EPKaPaPKlPlN2at6native12_GLOBAL__N_18offset_tEEE10hipError_tPvRmT1_PNSt15iterator_traitsISY_E10value_typeET2_T3_PNSZ_IS14_E10value_typeET4_jRbjT5_S1A_jjP12ihipStream_tbEUljE_EEESV_SW_SX_S14_S18_S1A_T6_T7_T9_mT8_S1C_bDpT10_ENKUlT_T0_E_clISt17integral_constantIbLb1EES1O_IbLb0EEEEDaS1K_S1L_EUlS1K_E_NS1_11comp_targetILNS1_3genE10ELNS1_11target_archE1200ELNS1_3gpuE4ELNS1_3repE0EEENS1_30default_config_static_selectorELNS0_4arch9wavefront6targetE0EEEvSY_.has_recursion, 0
	.set _ZN7rocprim17ROCPRIM_400000_NS6detail17trampoline_kernelINS0_13select_configILj256ELj13ELNS0_17block_load_methodE3ELS4_3ELS4_3ELNS0_20block_scan_algorithmE0ELj4294967295EEENS1_25partition_config_selectorILNS1_17partition_subalgoE3EjNS0_10empty_typeEbEEZZNS1_14partition_implILS8_3ELb0ES6_jNS0_17counting_iteratorIjlEEPS9_SE_NS0_5tupleIJPjSE_EEENSF_IJSE_SE_EEES9_SG_JZNS1_25segmented_radix_sort_implINS0_14default_configELb0EPKaPaPKlPlN2at6native12_GLOBAL__N_18offset_tEEE10hipError_tPvRmT1_PNSt15iterator_traitsISY_E10value_typeET2_T3_PNSZ_IS14_E10value_typeET4_jRbjT5_S1A_jjP12ihipStream_tbEUljE_EEESV_SW_SX_S14_S18_S1A_T6_T7_T9_mT8_S1C_bDpT10_ENKUlT_T0_E_clISt17integral_constantIbLb1EES1O_IbLb0EEEEDaS1K_S1L_EUlS1K_E_NS1_11comp_targetILNS1_3genE10ELNS1_11target_archE1200ELNS1_3gpuE4ELNS1_3repE0EEENS1_30default_config_static_selectorELNS0_4arch9wavefront6targetE0EEEvSY_.has_indirect_call, 0
	.section	.AMDGPU.csdata,"",@progbits
; Kernel info:
; codeLenInByte = 0
; TotalNumSgprs: 0
; NumVgprs: 0
; ScratchSize: 0
; MemoryBound: 0
; FloatMode: 240
; IeeeMode: 1
; LDSByteSize: 0 bytes/workgroup (compile time only)
; SGPRBlocks: 0
; VGPRBlocks: 0
; NumSGPRsForWavesPerEU: 1
; NumVGPRsForWavesPerEU: 1
; NamedBarCnt: 0
; Occupancy: 16
; WaveLimiterHint : 0
; COMPUTE_PGM_RSRC2:SCRATCH_EN: 0
; COMPUTE_PGM_RSRC2:USER_SGPR: 2
; COMPUTE_PGM_RSRC2:TRAP_HANDLER: 0
; COMPUTE_PGM_RSRC2:TGID_X_EN: 1
; COMPUTE_PGM_RSRC2:TGID_Y_EN: 0
; COMPUTE_PGM_RSRC2:TGID_Z_EN: 0
; COMPUTE_PGM_RSRC2:TIDIG_COMP_CNT: 0
	.section	.text._ZN7rocprim17ROCPRIM_400000_NS6detail17trampoline_kernelINS0_13select_configILj256ELj13ELNS0_17block_load_methodE3ELS4_3ELS4_3ELNS0_20block_scan_algorithmE0ELj4294967295EEENS1_25partition_config_selectorILNS1_17partition_subalgoE3EjNS0_10empty_typeEbEEZZNS1_14partition_implILS8_3ELb0ES6_jNS0_17counting_iteratorIjlEEPS9_SE_NS0_5tupleIJPjSE_EEENSF_IJSE_SE_EEES9_SG_JZNS1_25segmented_radix_sort_implINS0_14default_configELb0EPKaPaPKlPlN2at6native12_GLOBAL__N_18offset_tEEE10hipError_tPvRmT1_PNSt15iterator_traitsISY_E10value_typeET2_T3_PNSZ_IS14_E10value_typeET4_jRbjT5_S1A_jjP12ihipStream_tbEUljE_EEESV_SW_SX_S14_S18_S1A_T6_T7_T9_mT8_S1C_bDpT10_ENKUlT_T0_E_clISt17integral_constantIbLb1EES1O_IbLb0EEEEDaS1K_S1L_EUlS1K_E_NS1_11comp_targetILNS1_3genE9ELNS1_11target_archE1100ELNS1_3gpuE3ELNS1_3repE0EEENS1_30default_config_static_selectorELNS0_4arch9wavefront6targetE0EEEvSY_,"axG",@progbits,_ZN7rocprim17ROCPRIM_400000_NS6detail17trampoline_kernelINS0_13select_configILj256ELj13ELNS0_17block_load_methodE3ELS4_3ELS4_3ELNS0_20block_scan_algorithmE0ELj4294967295EEENS1_25partition_config_selectorILNS1_17partition_subalgoE3EjNS0_10empty_typeEbEEZZNS1_14partition_implILS8_3ELb0ES6_jNS0_17counting_iteratorIjlEEPS9_SE_NS0_5tupleIJPjSE_EEENSF_IJSE_SE_EEES9_SG_JZNS1_25segmented_radix_sort_implINS0_14default_configELb0EPKaPaPKlPlN2at6native12_GLOBAL__N_18offset_tEEE10hipError_tPvRmT1_PNSt15iterator_traitsISY_E10value_typeET2_T3_PNSZ_IS14_E10value_typeET4_jRbjT5_S1A_jjP12ihipStream_tbEUljE_EEESV_SW_SX_S14_S18_S1A_T6_T7_T9_mT8_S1C_bDpT10_ENKUlT_T0_E_clISt17integral_constantIbLb1EES1O_IbLb0EEEEDaS1K_S1L_EUlS1K_E_NS1_11comp_targetILNS1_3genE9ELNS1_11target_archE1100ELNS1_3gpuE3ELNS1_3repE0EEENS1_30default_config_static_selectorELNS0_4arch9wavefront6targetE0EEEvSY_,comdat
	.globl	_ZN7rocprim17ROCPRIM_400000_NS6detail17trampoline_kernelINS0_13select_configILj256ELj13ELNS0_17block_load_methodE3ELS4_3ELS4_3ELNS0_20block_scan_algorithmE0ELj4294967295EEENS1_25partition_config_selectorILNS1_17partition_subalgoE3EjNS0_10empty_typeEbEEZZNS1_14partition_implILS8_3ELb0ES6_jNS0_17counting_iteratorIjlEEPS9_SE_NS0_5tupleIJPjSE_EEENSF_IJSE_SE_EEES9_SG_JZNS1_25segmented_radix_sort_implINS0_14default_configELb0EPKaPaPKlPlN2at6native12_GLOBAL__N_18offset_tEEE10hipError_tPvRmT1_PNSt15iterator_traitsISY_E10value_typeET2_T3_PNSZ_IS14_E10value_typeET4_jRbjT5_S1A_jjP12ihipStream_tbEUljE_EEESV_SW_SX_S14_S18_S1A_T6_T7_T9_mT8_S1C_bDpT10_ENKUlT_T0_E_clISt17integral_constantIbLb1EES1O_IbLb0EEEEDaS1K_S1L_EUlS1K_E_NS1_11comp_targetILNS1_3genE9ELNS1_11target_archE1100ELNS1_3gpuE3ELNS1_3repE0EEENS1_30default_config_static_selectorELNS0_4arch9wavefront6targetE0EEEvSY_ ; -- Begin function _ZN7rocprim17ROCPRIM_400000_NS6detail17trampoline_kernelINS0_13select_configILj256ELj13ELNS0_17block_load_methodE3ELS4_3ELS4_3ELNS0_20block_scan_algorithmE0ELj4294967295EEENS1_25partition_config_selectorILNS1_17partition_subalgoE3EjNS0_10empty_typeEbEEZZNS1_14partition_implILS8_3ELb0ES6_jNS0_17counting_iteratorIjlEEPS9_SE_NS0_5tupleIJPjSE_EEENSF_IJSE_SE_EEES9_SG_JZNS1_25segmented_radix_sort_implINS0_14default_configELb0EPKaPaPKlPlN2at6native12_GLOBAL__N_18offset_tEEE10hipError_tPvRmT1_PNSt15iterator_traitsISY_E10value_typeET2_T3_PNSZ_IS14_E10value_typeET4_jRbjT5_S1A_jjP12ihipStream_tbEUljE_EEESV_SW_SX_S14_S18_S1A_T6_T7_T9_mT8_S1C_bDpT10_ENKUlT_T0_E_clISt17integral_constantIbLb1EES1O_IbLb0EEEEDaS1K_S1L_EUlS1K_E_NS1_11comp_targetILNS1_3genE9ELNS1_11target_archE1100ELNS1_3gpuE3ELNS1_3repE0EEENS1_30default_config_static_selectorELNS0_4arch9wavefront6targetE0EEEvSY_
	.p2align	8
	.type	_ZN7rocprim17ROCPRIM_400000_NS6detail17trampoline_kernelINS0_13select_configILj256ELj13ELNS0_17block_load_methodE3ELS4_3ELS4_3ELNS0_20block_scan_algorithmE0ELj4294967295EEENS1_25partition_config_selectorILNS1_17partition_subalgoE3EjNS0_10empty_typeEbEEZZNS1_14partition_implILS8_3ELb0ES6_jNS0_17counting_iteratorIjlEEPS9_SE_NS0_5tupleIJPjSE_EEENSF_IJSE_SE_EEES9_SG_JZNS1_25segmented_radix_sort_implINS0_14default_configELb0EPKaPaPKlPlN2at6native12_GLOBAL__N_18offset_tEEE10hipError_tPvRmT1_PNSt15iterator_traitsISY_E10value_typeET2_T3_PNSZ_IS14_E10value_typeET4_jRbjT5_S1A_jjP12ihipStream_tbEUljE_EEESV_SW_SX_S14_S18_S1A_T6_T7_T9_mT8_S1C_bDpT10_ENKUlT_T0_E_clISt17integral_constantIbLb1EES1O_IbLb0EEEEDaS1K_S1L_EUlS1K_E_NS1_11comp_targetILNS1_3genE9ELNS1_11target_archE1100ELNS1_3gpuE3ELNS1_3repE0EEENS1_30default_config_static_selectorELNS0_4arch9wavefront6targetE0EEEvSY_,@function
_ZN7rocprim17ROCPRIM_400000_NS6detail17trampoline_kernelINS0_13select_configILj256ELj13ELNS0_17block_load_methodE3ELS4_3ELS4_3ELNS0_20block_scan_algorithmE0ELj4294967295EEENS1_25partition_config_selectorILNS1_17partition_subalgoE3EjNS0_10empty_typeEbEEZZNS1_14partition_implILS8_3ELb0ES6_jNS0_17counting_iteratorIjlEEPS9_SE_NS0_5tupleIJPjSE_EEENSF_IJSE_SE_EEES9_SG_JZNS1_25segmented_radix_sort_implINS0_14default_configELb0EPKaPaPKlPlN2at6native12_GLOBAL__N_18offset_tEEE10hipError_tPvRmT1_PNSt15iterator_traitsISY_E10value_typeET2_T3_PNSZ_IS14_E10value_typeET4_jRbjT5_S1A_jjP12ihipStream_tbEUljE_EEESV_SW_SX_S14_S18_S1A_T6_T7_T9_mT8_S1C_bDpT10_ENKUlT_T0_E_clISt17integral_constantIbLb1EES1O_IbLb0EEEEDaS1K_S1L_EUlS1K_E_NS1_11comp_targetILNS1_3genE9ELNS1_11target_archE1100ELNS1_3gpuE3ELNS1_3repE0EEENS1_30default_config_static_selectorELNS0_4arch9wavefront6targetE0EEEvSY_: ; @_ZN7rocprim17ROCPRIM_400000_NS6detail17trampoline_kernelINS0_13select_configILj256ELj13ELNS0_17block_load_methodE3ELS4_3ELS4_3ELNS0_20block_scan_algorithmE0ELj4294967295EEENS1_25partition_config_selectorILNS1_17partition_subalgoE3EjNS0_10empty_typeEbEEZZNS1_14partition_implILS8_3ELb0ES6_jNS0_17counting_iteratorIjlEEPS9_SE_NS0_5tupleIJPjSE_EEENSF_IJSE_SE_EEES9_SG_JZNS1_25segmented_radix_sort_implINS0_14default_configELb0EPKaPaPKlPlN2at6native12_GLOBAL__N_18offset_tEEE10hipError_tPvRmT1_PNSt15iterator_traitsISY_E10value_typeET2_T3_PNSZ_IS14_E10value_typeET4_jRbjT5_S1A_jjP12ihipStream_tbEUljE_EEESV_SW_SX_S14_S18_S1A_T6_T7_T9_mT8_S1C_bDpT10_ENKUlT_T0_E_clISt17integral_constantIbLb1EES1O_IbLb0EEEEDaS1K_S1L_EUlS1K_E_NS1_11comp_targetILNS1_3genE9ELNS1_11target_archE1100ELNS1_3gpuE3ELNS1_3repE0EEENS1_30default_config_static_selectorELNS0_4arch9wavefront6targetE0EEEvSY_
; %bb.0:
	.section	.rodata,"a",@progbits
	.p2align	6, 0x0
	.amdhsa_kernel _ZN7rocprim17ROCPRIM_400000_NS6detail17trampoline_kernelINS0_13select_configILj256ELj13ELNS0_17block_load_methodE3ELS4_3ELS4_3ELNS0_20block_scan_algorithmE0ELj4294967295EEENS1_25partition_config_selectorILNS1_17partition_subalgoE3EjNS0_10empty_typeEbEEZZNS1_14partition_implILS8_3ELb0ES6_jNS0_17counting_iteratorIjlEEPS9_SE_NS0_5tupleIJPjSE_EEENSF_IJSE_SE_EEES9_SG_JZNS1_25segmented_radix_sort_implINS0_14default_configELb0EPKaPaPKlPlN2at6native12_GLOBAL__N_18offset_tEEE10hipError_tPvRmT1_PNSt15iterator_traitsISY_E10value_typeET2_T3_PNSZ_IS14_E10value_typeET4_jRbjT5_S1A_jjP12ihipStream_tbEUljE_EEESV_SW_SX_S14_S18_S1A_T6_T7_T9_mT8_S1C_bDpT10_ENKUlT_T0_E_clISt17integral_constantIbLb1EES1O_IbLb0EEEEDaS1K_S1L_EUlS1K_E_NS1_11comp_targetILNS1_3genE9ELNS1_11target_archE1100ELNS1_3gpuE3ELNS1_3repE0EEENS1_30default_config_static_selectorELNS0_4arch9wavefront6targetE0EEEvSY_
		.amdhsa_group_segment_fixed_size 0
		.amdhsa_private_segment_fixed_size 0
		.amdhsa_kernarg_size 144
		.amdhsa_user_sgpr_count 2
		.amdhsa_user_sgpr_dispatch_ptr 0
		.amdhsa_user_sgpr_queue_ptr 0
		.amdhsa_user_sgpr_kernarg_segment_ptr 1
		.amdhsa_user_sgpr_dispatch_id 0
		.amdhsa_user_sgpr_kernarg_preload_length 0
		.amdhsa_user_sgpr_kernarg_preload_offset 0
		.amdhsa_user_sgpr_private_segment_size 0
		.amdhsa_wavefront_size32 1
		.amdhsa_uses_dynamic_stack 0
		.amdhsa_enable_private_segment 0
		.amdhsa_system_sgpr_workgroup_id_x 1
		.amdhsa_system_sgpr_workgroup_id_y 0
		.amdhsa_system_sgpr_workgroup_id_z 0
		.amdhsa_system_sgpr_workgroup_info 0
		.amdhsa_system_vgpr_workitem_id 0
		.amdhsa_next_free_vgpr 1
		.amdhsa_next_free_sgpr 1
		.amdhsa_named_barrier_count 0
		.amdhsa_reserve_vcc 0
		.amdhsa_float_round_mode_32 0
		.amdhsa_float_round_mode_16_64 0
		.amdhsa_float_denorm_mode_32 3
		.amdhsa_float_denorm_mode_16_64 3
		.amdhsa_fp16_overflow 0
		.amdhsa_memory_ordered 1
		.amdhsa_forward_progress 1
		.amdhsa_inst_pref_size 0
		.amdhsa_round_robin_scheduling 0
		.amdhsa_exception_fp_ieee_invalid_op 0
		.amdhsa_exception_fp_denorm_src 0
		.amdhsa_exception_fp_ieee_div_zero 0
		.amdhsa_exception_fp_ieee_overflow 0
		.amdhsa_exception_fp_ieee_underflow 0
		.amdhsa_exception_fp_ieee_inexact 0
		.amdhsa_exception_int_div_zero 0
	.end_amdhsa_kernel
	.section	.text._ZN7rocprim17ROCPRIM_400000_NS6detail17trampoline_kernelINS0_13select_configILj256ELj13ELNS0_17block_load_methodE3ELS4_3ELS4_3ELNS0_20block_scan_algorithmE0ELj4294967295EEENS1_25partition_config_selectorILNS1_17partition_subalgoE3EjNS0_10empty_typeEbEEZZNS1_14partition_implILS8_3ELb0ES6_jNS0_17counting_iteratorIjlEEPS9_SE_NS0_5tupleIJPjSE_EEENSF_IJSE_SE_EEES9_SG_JZNS1_25segmented_radix_sort_implINS0_14default_configELb0EPKaPaPKlPlN2at6native12_GLOBAL__N_18offset_tEEE10hipError_tPvRmT1_PNSt15iterator_traitsISY_E10value_typeET2_T3_PNSZ_IS14_E10value_typeET4_jRbjT5_S1A_jjP12ihipStream_tbEUljE_EEESV_SW_SX_S14_S18_S1A_T6_T7_T9_mT8_S1C_bDpT10_ENKUlT_T0_E_clISt17integral_constantIbLb1EES1O_IbLb0EEEEDaS1K_S1L_EUlS1K_E_NS1_11comp_targetILNS1_3genE9ELNS1_11target_archE1100ELNS1_3gpuE3ELNS1_3repE0EEENS1_30default_config_static_selectorELNS0_4arch9wavefront6targetE0EEEvSY_,"axG",@progbits,_ZN7rocprim17ROCPRIM_400000_NS6detail17trampoline_kernelINS0_13select_configILj256ELj13ELNS0_17block_load_methodE3ELS4_3ELS4_3ELNS0_20block_scan_algorithmE0ELj4294967295EEENS1_25partition_config_selectorILNS1_17partition_subalgoE3EjNS0_10empty_typeEbEEZZNS1_14partition_implILS8_3ELb0ES6_jNS0_17counting_iteratorIjlEEPS9_SE_NS0_5tupleIJPjSE_EEENSF_IJSE_SE_EEES9_SG_JZNS1_25segmented_radix_sort_implINS0_14default_configELb0EPKaPaPKlPlN2at6native12_GLOBAL__N_18offset_tEEE10hipError_tPvRmT1_PNSt15iterator_traitsISY_E10value_typeET2_T3_PNSZ_IS14_E10value_typeET4_jRbjT5_S1A_jjP12ihipStream_tbEUljE_EEESV_SW_SX_S14_S18_S1A_T6_T7_T9_mT8_S1C_bDpT10_ENKUlT_T0_E_clISt17integral_constantIbLb1EES1O_IbLb0EEEEDaS1K_S1L_EUlS1K_E_NS1_11comp_targetILNS1_3genE9ELNS1_11target_archE1100ELNS1_3gpuE3ELNS1_3repE0EEENS1_30default_config_static_selectorELNS0_4arch9wavefront6targetE0EEEvSY_,comdat
.Lfunc_end380:
	.size	_ZN7rocprim17ROCPRIM_400000_NS6detail17trampoline_kernelINS0_13select_configILj256ELj13ELNS0_17block_load_methodE3ELS4_3ELS4_3ELNS0_20block_scan_algorithmE0ELj4294967295EEENS1_25partition_config_selectorILNS1_17partition_subalgoE3EjNS0_10empty_typeEbEEZZNS1_14partition_implILS8_3ELb0ES6_jNS0_17counting_iteratorIjlEEPS9_SE_NS0_5tupleIJPjSE_EEENSF_IJSE_SE_EEES9_SG_JZNS1_25segmented_radix_sort_implINS0_14default_configELb0EPKaPaPKlPlN2at6native12_GLOBAL__N_18offset_tEEE10hipError_tPvRmT1_PNSt15iterator_traitsISY_E10value_typeET2_T3_PNSZ_IS14_E10value_typeET4_jRbjT5_S1A_jjP12ihipStream_tbEUljE_EEESV_SW_SX_S14_S18_S1A_T6_T7_T9_mT8_S1C_bDpT10_ENKUlT_T0_E_clISt17integral_constantIbLb1EES1O_IbLb0EEEEDaS1K_S1L_EUlS1K_E_NS1_11comp_targetILNS1_3genE9ELNS1_11target_archE1100ELNS1_3gpuE3ELNS1_3repE0EEENS1_30default_config_static_selectorELNS0_4arch9wavefront6targetE0EEEvSY_, .Lfunc_end380-_ZN7rocprim17ROCPRIM_400000_NS6detail17trampoline_kernelINS0_13select_configILj256ELj13ELNS0_17block_load_methodE3ELS4_3ELS4_3ELNS0_20block_scan_algorithmE0ELj4294967295EEENS1_25partition_config_selectorILNS1_17partition_subalgoE3EjNS0_10empty_typeEbEEZZNS1_14partition_implILS8_3ELb0ES6_jNS0_17counting_iteratorIjlEEPS9_SE_NS0_5tupleIJPjSE_EEENSF_IJSE_SE_EEES9_SG_JZNS1_25segmented_radix_sort_implINS0_14default_configELb0EPKaPaPKlPlN2at6native12_GLOBAL__N_18offset_tEEE10hipError_tPvRmT1_PNSt15iterator_traitsISY_E10value_typeET2_T3_PNSZ_IS14_E10value_typeET4_jRbjT5_S1A_jjP12ihipStream_tbEUljE_EEESV_SW_SX_S14_S18_S1A_T6_T7_T9_mT8_S1C_bDpT10_ENKUlT_T0_E_clISt17integral_constantIbLb1EES1O_IbLb0EEEEDaS1K_S1L_EUlS1K_E_NS1_11comp_targetILNS1_3genE9ELNS1_11target_archE1100ELNS1_3gpuE3ELNS1_3repE0EEENS1_30default_config_static_selectorELNS0_4arch9wavefront6targetE0EEEvSY_
                                        ; -- End function
	.set _ZN7rocprim17ROCPRIM_400000_NS6detail17trampoline_kernelINS0_13select_configILj256ELj13ELNS0_17block_load_methodE3ELS4_3ELS4_3ELNS0_20block_scan_algorithmE0ELj4294967295EEENS1_25partition_config_selectorILNS1_17partition_subalgoE3EjNS0_10empty_typeEbEEZZNS1_14partition_implILS8_3ELb0ES6_jNS0_17counting_iteratorIjlEEPS9_SE_NS0_5tupleIJPjSE_EEENSF_IJSE_SE_EEES9_SG_JZNS1_25segmented_radix_sort_implINS0_14default_configELb0EPKaPaPKlPlN2at6native12_GLOBAL__N_18offset_tEEE10hipError_tPvRmT1_PNSt15iterator_traitsISY_E10value_typeET2_T3_PNSZ_IS14_E10value_typeET4_jRbjT5_S1A_jjP12ihipStream_tbEUljE_EEESV_SW_SX_S14_S18_S1A_T6_T7_T9_mT8_S1C_bDpT10_ENKUlT_T0_E_clISt17integral_constantIbLb1EES1O_IbLb0EEEEDaS1K_S1L_EUlS1K_E_NS1_11comp_targetILNS1_3genE9ELNS1_11target_archE1100ELNS1_3gpuE3ELNS1_3repE0EEENS1_30default_config_static_selectorELNS0_4arch9wavefront6targetE0EEEvSY_.num_vgpr, 0
	.set _ZN7rocprim17ROCPRIM_400000_NS6detail17trampoline_kernelINS0_13select_configILj256ELj13ELNS0_17block_load_methodE3ELS4_3ELS4_3ELNS0_20block_scan_algorithmE0ELj4294967295EEENS1_25partition_config_selectorILNS1_17partition_subalgoE3EjNS0_10empty_typeEbEEZZNS1_14partition_implILS8_3ELb0ES6_jNS0_17counting_iteratorIjlEEPS9_SE_NS0_5tupleIJPjSE_EEENSF_IJSE_SE_EEES9_SG_JZNS1_25segmented_radix_sort_implINS0_14default_configELb0EPKaPaPKlPlN2at6native12_GLOBAL__N_18offset_tEEE10hipError_tPvRmT1_PNSt15iterator_traitsISY_E10value_typeET2_T3_PNSZ_IS14_E10value_typeET4_jRbjT5_S1A_jjP12ihipStream_tbEUljE_EEESV_SW_SX_S14_S18_S1A_T6_T7_T9_mT8_S1C_bDpT10_ENKUlT_T0_E_clISt17integral_constantIbLb1EES1O_IbLb0EEEEDaS1K_S1L_EUlS1K_E_NS1_11comp_targetILNS1_3genE9ELNS1_11target_archE1100ELNS1_3gpuE3ELNS1_3repE0EEENS1_30default_config_static_selectorELNS0_4arch9wavefront6targetE0EEEvSY_.num_agpr, 0
	.set _ZN7rocprim17ROCPRIM_400000_NS6detail17trampoline_kernelINS0_13select_configILj256ELj13ELNS0_17block_load_methodE3ELS4_3ELS4_3ELNS0_20block_scan_algorithmE0ELj4294967295EEENS1_25partition_config_selectorILNS1_17partition_subalgoE3EjNS0_10empty_typeEbEEZZNS1_14partition_implILS8_3ELb0ES6_jNS0_17counting_iteratorIjlEEPS9_SE_NS0_5tupleIJPjSE_EEENSF_IJSE_SE_EEES9_SG_JZNS1_25segmented_radix_sort_implINS0_14default_configELb0EPKaPaPKlPlN2at6native12_GLOBAL__N_18offset_tEEE10hipError_tPvRmT1_PNSt15iterator_traitsISY_E10value_typeET2_T3_PNSZ_IS14_E10value_typeET4_jRbjT5_S1A_jjP12ihipStream_tbEUljE_EEESV_SW_SX_S14_S18_S1A_T6_T7_T9_mT8_S1C_bDpT10_ENKUlT_T0_E_clISt17integral_constantIbLb1EES1O_IbLb0EEEEDaS1K_S1L_EUlS1K_E_NS1_11comp_targetILNS1_3genE9ELNS1_11target_archE1100ELNS1_3gpuE3ELNS1_3repE0EEENS1_30default_config_static_selectorELNS0_4arch9wavefront6targetE0EEEvSY_.numbered_sgpr, 0
	.set _ZN7rocprim17ROCPRIM_400000_NS6detail17trampoline_kernelINS0_13select_configILj256ELj13ELNS0_17block_load_methodE3ELS4_3ELS4_3ELNS0_20block_scan_algorithmE0ELj4294967295EEENS1_25partition_config_selectorILNS1_17partition_subalgoE3EjNS0_10empty_typeEbEEZZNS1_14partition_implILS8_3ELb0ES6_jNS0_17counting_iteratorIjlEEPS9_SE_NS0_5tupleIJPjSE_EEENSF_IJSE_SE_EEES9_SG_JZNS1_25segmented_radix_sort_implINS0_14default_configELb0EPKaPaPKlPlN2at6native12_GLOBAL__N_18offset_tEEE10hipError_tPvRmT1_PNSt15iterator_traitsISY_E10value_typeET2_T3_PNSZ_IS14_E10value_typeET4_jRbjT5_S1A_jjP12ihipStream_tbEUljE_EEESV_SW_SX_S14_S18_S1A_T6_T7_T9_mT8_S1C_bDpT10_ENKUlT_T0_E_clISt17integral_constantIbLb1EES1O_IbLb0EEEEDaS1K_S1L_EUlS1K_E_NS1_11comp_targetILNS1_3genE9ELNS1_11target_archE1100ELNS1_3gpuE3ELNS1_3repE0EEENS1_30default_config_static_selectorELNS0_4arch9wavefront6targetE0EEEvSY_.num_named_barrier, 0
	.set _ZN7rocprim17ROCPRIM_400000_NS6detail17trampoline_kernelINS0_13select_configILj256ELj13ELNS0_17block_load_methodE3ELS4_3ELS4_3ELNS0_20block_scan_algorithmE0ELj4294967295EEENS1_25partition_config_selectorILNS1_17partition_subalgoE3EjNS0_10empty_typeEbEEZZNS1_14partition_implILS8_3ELb0ES6_jNS0_17counting_iteratorIjlEEPS9_SE_NS0_5tupleIJPjSE_EEENSF_IJSE_SE_EEES9_SG_JZNS1_25segmented_radix_sort_implINS0_14default_configELb0EPKaPaPKlPlN2at6native12_GLOBAL__N_18offset_tEEE10hipError_tPvRmT1_PNSt15iterator_traitsISY_E10value_typeET2_T3_PNSZ_IS14_E10value_typeET4_jRbjT5_S1A_jjP12ihipStream_tbEUljE_EEESV_SW_SX_S14_S18_S1A_T6_T7_T9_mT8_S1C_bDpT10_ENKUlT_T0_E_clISt17integral_constantIbLb1EES1O_IbLb0EEEEDaS1K_S1L_EUlS1K_E_NS1_11comp_targetILNS1_3genE9ELNS1_11target_archE1100ELNS1_3gpuE3ELNS1_3repE0EEENS1_30default_config_static_selectorELNS0_4arch9wavefront6targetE0EEEvSY_.private_seg_size, 0
	.set _ZN7rocprim17ROCPRIM_400000_NS6detail17trampoline_kernelINS0_13select_configILj256ELj13ELNS0_17block_load_methodE3ELS4_3ELS4_3ELNS0_20block_scan_algorithmE0ELj4294967295EEENS1_25partition_config_selectorILNS1_17partition_subalgoE3EjNS0_10empty_typeEbEEZZNS1_14partition_implILS8_3ELb0ES6_jNS0_17counting_iteratorIjlEEPS9_SE_NS0_5tupleIJPjSE_EEENSF_IJSE_SE_EEES9_SG_JZNS1_25segmented_radix_sort_implINS0_14default_configELb0EPKaPaPKlPlN2at6native12_GLOBAL__N_18offset_tEEE10hipError_tPvRmT1_PNSt15iterator_traitsISY_E10value_typeET2_T3_PNSZ_IS14_E10value_typeET4_jRbjT5_S1A_jjP12ihipStream_tbEUljE_EEESV_SW_SX_S14_S18_S1A_T6_T7_T9_mT8_S1C_bDpT10_ENKUlT_T0_E_clISt17integral_constantIbLb1EES1O_IbLb0EEEEDaS1K_S1L_EUlS1K_E_NS1_11comp_targetILNS1_3genE9ELNS1_11target_archE1100ELNS1_3gpuE3ELNS1_3repE0EEENS1_30default_config_static_selectorELNS0_4arch9wavefront6targetE0EEEvSY_.uses_vcc, 0
	.set _ZN7rocprim17ROCPRIM_400000_NS6detail17trampoline_kernelINS0_13select_configILj256ELj13ELNS0_17block_load_methodE3ELS4_3ELS4_3ELNS0_20block_scan_algorithmE0ELj4294967295EEENS1_25partition_config_selectorILNS1_17partition_subalgoE3EjNS0_10empty_typeEbEEZZNS1_14partition_implILS8_3ELb0ES6_jNS0_17counting_iteratorIjlEEPS9_SE_NS0_5tupleIJPjSE_EEENSF_IJSE_SE_EEES9_SG_JZNS1_25segmented_radix_sort_implINS0_14default_configELb0EPKaPaPKlPlN2at6native12_GLOBAL__N_18offset_tEEE10hipError_tPvRmT1_PNSt15iterator_traitsISY_E10value_typeET2_T3_PNSZ_IS14_E10value_typeET4_jRbjT5_S1A_jjP12ihipStream_tbEUljE_EEESV_SW_SX_S14_S18_S1A_T6_T7_T9_mT8_S1C_bDpT10_ENKUlT_T0_E_clISt17integral_constantIbLb1EES1O_IbLb0EEEEDaS1K_S1L_EUlS1K_E_NS1_11comp_targetILNS1_3genE9ELNS1_11target_archE1100ELNS1_3gpuE3ELNS1_3repE0EEENS1_30default_config_static_selectorELNS0_4arch9wavefront6targetE0EEEvSY_.uses_flat_scratch, 0
	.set _ZN7rocprim17ROCPRIM_400000_NS6detail17trampoline_kernelINS0_13select_configILj256ELj13ELNS0_17block_load_methodE3ELS4_3ELS4_3ELNS0_20block_scan_algorithmE0ELj4294967295EEENS1_25partition_config_selectorILNS1_17partition_subalgoE3EjNS0_10empty_typeEbEEZZNS1_14partition_implILS8_3ELb0ES6_jNS0_17counting_iteratorIjlEEPS9_SE_NS0_5tupleIJPjSE_EEENSF_IJSE_SE_EEES9_SG_JZNS1_25segmented_radix_sort_implINS0_14default_configELb0EPKaPaPKlPlN2at6native12_GLOBAL__N_18offset_tEEE10hipError_tPvRmT1_PNSt15iterator_traitsISY_E10value_typeET2_T3_PNSZ_IS14_E10value_typeET4_jRbjT5_S1A_jjP12ihipStream_tbEUljE_EEESV_SW_SX_S14_S18_S1A_T6_T7_T9_mT8_S1C_bDpT10_ENKUlT_T0_E_clISt17integral_constantIbLb1EES1O_IbLb0EEEEDaS1K_S1L_EUlS1K_E_NS1_11comp_targetILNS1_3genE9ELNS1_11target_archE1100ELNS1_3gpuE3ELNS1_3repE0EEENS1_30default_config_static_selectorELNS0_4arch9wavefront6targetE0EEEvSY_.has_dyn_sized_stack, 0
	.set _ZN7rocprim17ROCPRIM_400000_NS6detail17trampoline_kernelINS0_13select_configILj256ELj13ELNS0_17block_load_methodE3ELS4_3ELS4_3ELNS0_20block_scan_algorithmE0ELj4294967295EEENS1_25partition_config_selectorILNS1_17partition_subalgoE3EjNS0_10empty_typeEbEEZZNS1_14partition_implILS8_3ELb0ES6_jNS0_17counting_iteratorIjlEEPS9_SE_NS0_5tupleIJPjSE_EEENSF_IJSE_SE_EEES9_SG_JZNS1_25segmented_radix_sort_implINS0_14default_configELb0EPKaPaPKlPlN2at6native12_GLOBAL__N_18offset_tEEE10hipError_tPvRmT1_PNSt15iterator_traitsISY_E10value_typeET2_T3_PNSZ_IS14_E10value_typeET4_jRbjT5_S1A_jjP12ihipStream_tbEUljE_EEESV_SW_SX_S14_S18_S1A_T6_T7_T9_mT8_S1C_bDpT10_ENKUlT_T0_E_clISt17integral_constantIbLb1EES1O_IbLb0EEEEDaS1K_S1L_EUlS1K_E_NS1_11comp_targetILNS1_3genE9ELNS1_11target_archE1100ELNS1_3gpuE3ELNS1_3repE0EEENS1_30default_config_static_selectorELNS0_4arch9wavefront6targetE0EEEvSY_.has_recursion, 0
	.set _ZN7rocprim17ROCPRIM_400000_NS6detail17trampoline_kernelINS0_13select_configILj256ELj13ELNS0_17block_load_methodE3ELS4_3ELS4_3ELNS0_20block_scan_algorithmE0ELj4294967295EEENS1_25partition_config_selectorILNS1_17partition_subalgoE3EjNS0_10empty_typeEbEEZZNS1_14partition_implILS8_3ELb0ES6_jNS0_17counting_iteratorIjlEEPS9_SE_NS0_5tupleIJPjSE_EEENSF_IJSE_SE_EEES9_SG_JZNS1_25segmented_radix_sort_implINS0_14default_configELb0EPKaPaPKlPlN2at6native12_GLOBAL__N_18offset_tEEE10hipError_tPvRmT1_PNSt15iterator_traitsISY_E10value_typeET2_T3_PNSZ_IS14_E10value_typeET4_jRbjT5_S1A_jjP12ihipStream_tbEUljE_EEESV_SW_SX_S14_S18_S1A_T6_T7_T9_mT8_S1C_bDpT10_ENKUlT_T0_E_clISt17integral_constantIbLb1EES1O_IbLb0EEEEDaS1K_S1L_EUlS1K_E_NS1_11comp_targetILNS1_3genE9ELNS1_11target_archE1100ELNS1_3gpuE3ELNS1_3repE0EEENS1_30default_config_static_selectorELNS0_4arch9wavefront6targetE0EEEvSY_.has_indirect_call, 0
	.section	.AMDGPU.csdata,"",@progbits
; Kernel info:
; codeLenInByte = 0
; TotalNumSgprs: 0
; NumVgprs: 0
; ScratchSize: 0
; MemoryBound: 0
; FloatMode: 240
; IeeeMode: 1
; LDSByteSize: 0 bytes/workgroup (compile time only)
; SGPRBlocks: 0
; VGPRBlocks: 0
; NumSGPRsForWavesPerEU: 1
; NumVGPRsForWavesPerEU: 1
; NamedBarCnt: 0
; Occupancy: 16
; WaveLimiterHint : 0
; COMPUTE_PGM_RSRC2:SCRATCH_EN: 0
; COMPUTE_PGM_RSRC2:USER_SGPR: 2
; COMPUTE_PGM_RSRC2:TRAP_HANDLER: 0
; COMPUTE_PGM_RSRC2:TGID_X_EN: 1
; COMPUTE_PGM_RSRC2:TGID_Y_EN: 0
; COMPUTE_PGM_RSRC2:TGID_Z_EN: 0
; COMPUTE_PGM_RSRC2:TIDIG_COMP_CNT: 0
	.section	.text._ZN7rocprim17ROCPRIM_400000_NS6detail17trampoline_kernelINS0_13select_configILj256ELj13ELNS0_17block_load_methodE3ELS4_3ELS4_3ELNS0_20block_scan_algorithmE0ELj4294967295EEENS1_25partition_config_selectorILNS1_17partition_subalgoE3EjNS0_10empty_typeEbEEZZNS1_14partition_implILS8_3ELb0ES6_jNS0_17counting_iteratorIjlEEPS9_SE_NS0_5tupleIJPjSE_EEENSF_IJSE_SE_EEES9_SG_JZNS1_25segmented_radix_sort_implINS0_14default_configELb0EPKaPaPKlPlN2at6native12_GLOBAL__N_18offset_tEEE10hipError_tPvRmT1_PNSt15iterator_traitsISY_E10value_typeET2_T3_PNSZ_IS14_E10value_typeET4_jRbjT5_S1A_jjP12ihipStream_tbEUljE_EEESV_SW_SX_S14_S18_S1A_T6_T7_T9_mT8_S1C_bDpT10_ENKUlT_T0_E_clISt17integral_constantIbLb1EES1O_IbLb0EEEEDaS1K_S1L_EUlS1K_E_NS1_11comp_targetILNS1_3genE8ELNS1_11target_archE1030ELNS1_3gpuE2ELNS1_3repE0EEENS1_30default_config_static_selectorELNS0_4arch9wavefront6targetE0EEEvSY_,"axG",@progbits,_ZN7rocprim17ROCPRIM_400000_NS6detail17trampoline_kernelINS0_13select_configILj256ELj13ELNS0_17block_load_methodE3ELS4_3ELS4_3ELNS0_20block_scan_algorithmE0ELj4294967295EEENS1_25partition_config_selectorILNS1_17partition_subalgoE3EjNS0_10empty_typeEbEEZZNS1_14partition_implILS8_3ELb0ES6_jNS0_17counting_iteratorIjlEEPS9_SE_NS0_5tupleIJPjSE_EEENSF_IJSE_SE_EEES9_SG_JZNS1_25segmented_radix_sort_implINS0_14default_configELb0EPKaPaPKlPlN2at6native12_GLOBAL__N_18offset_tEEE10hipError_tPvRmT1_PNSt15iterator_traitsISY_E10value_typeET2_T3_PNSZ_IS14_E10value_typeET4_jRbjT5_S1A_jjP12ihipStream_tbEUljE_EEESV_SW_SX_S14_S18_S1A_T6_T7_T9_mT8_S1C_bDpT10_ENKUlT_T0_E_clISt17integral_constantIbLb1EES1O_IbLb0EEEEDaS1K_S1L_EUlS1K_E_NS1_11comp_targetILNS1_3genE8ELNS1_11target_archE1030ELNS1_3gpuE2ELNS1_3repE0EEENS1_30default_config_static_selectorELNS0_4arch9wavefront6targetE0EEEvSY_,comdat
	.globl	_ZN7rocprim17ROCPRIM_400000_NS6detail17trampoline_kernelINS0_13select_configILj256ELj13ELNS0_17block_load_methodE3ELS4_3ELS4_3ELNS0_20block_scan_algorithmE0ELj4294967295EEENS1_25partition_config_selectorILNS1_17partition_subalgoE3EjNS0_10empty_typeEbEEZZNS1_14partition_implILS8_3ELb0ES6_jNS0_17counting_iteratorIjlEEPS9_SE_NS0_5tupleIJPjSE_EEENSF_IJSE_SE_EEES9_SG_JZNS1_25segmented_radix_sort_implINS0_14default_configELb0EPKaPaPKlPlN2at6native12_GLOBAL__N_18offset_tEEE10hipError_tPvRmT1_PNSt15iterator_traitsISY_E10value_typeET2_T3_PNSZ_IS14_E10value_typeET4_jRbjT5_S1A_jjP12ihipStream_tbEUljE_EEESV_SW_SX_S14_S18_S1A_T6_T7_T9_mT8_S1C_bDpT10_ENKUlT_T0_E_clISt17integral_constantIbLb1EES1O_IbLb0EEEEDaS1K_S1L_EUlS1K_E_NS1_11comp_targetILNS1_3genE8ELNS1_11target_archE1030ELNS1_3gpuE2ELNS1_3repE0EEENS1_30default_config_static_selectorELNS0_4arch9wavefront6targetE0EEEvSY_ ; -- Begin function _ZN7rocprim17ROCPRIM_400000_NS6detail17trampoline_kernelINS0_13select_configILj256ELj13ELNS0_17block_load_methodE3ELS4_3ELS4_3ELNS0_20block_scan_algorithmE0ELj4294967295EEENS1_25partition_config_selectorILNS1_17partition_subalgoE3EjNS0_10empty_typeEbEEZZNS1_14partition_implILS8_3ELb0ES6_jNS0_17counting_iteratorIjlEEPS9_SE_NS0_5tupleIJPjSE_EEENSF_IJSE_SE_EEES9_SG_JZNS1_25segmented_radix_sort_implINS0_14default_configELb0EPKaPaPKlPlN2at6native12_GLOBAL__N_18offset_tEEE10hipError_tPvRmT1_PNSt15iterator_traitsISY_E10value_typeET2_T3_PNSZ_IS14_E10value_typeET4_jRbjT5_S1A_jjP12ihipStream_tbEUljE_EEESV_SW_SX_S14_S18_S1A_T6_T7_T9_mT8_S1C_bDpT10_ENKUlT_T0_E_clISt17integral_constantIbLb1EES1O_IbLb0EEEEDaS1K_S1L_EUlS1K_E_NS1_11comp_targetILNS1_3genE8ELNS1_11target_archE1030ELNS1_3gpuE2ELNS1_3repE0EEENS1_30default_config_static_selectorELNS0_4arch9wavefront6targetE0EEEvSY_
	.p2align	8
	.type	_ZN7rocprim17ROCPRIM_400000_NS6detail17trampoline_kernelINS0_13select_configILj256ELj13ELNS0_17block_load_methodE3ELS4_3ELS4_3ELNS0_20block_scan_algorithmE0ELj4294967295EEENS1_25partition_config_selectorILNS1_17partition_subalgoE3EjNS0_10empty_typeEbEEZZNS1_14partition_implILS8_3ELb0ES6_jNS0_17counting_iteratorIjlEEPS9_SE_NS0_5tupleIJPjSE_EEENSF_IJSE_SE_EEES9_SG_JZNS1_25segmented_radix_sort_implINS0_14default_configELb0EPKaPaPKlPlN2at6native12_GLOBAL__N_18offset_tEEE10hipError_tPvRmT1_PNSt15iterator_traitsISY_E10value_typeET2_T3_PNSZ_IS14_E10value_typeET4_jRbjT5_S1A_jjP12ihipStream_tbEUljE_EEESV_SW_SX_S14_S18_S1A_T6_T7_T9_mT8_S1C_bDpT10_ENKUlT_T0_E_clISt17integral_constantIbLb1EES1O_IbLb0EEEEDaS1K_S1L_EUlS1K_E_NS1_11comp_targetILNS1_3genE8ELNS1_11target_archE1030ELNS1_3gpuE2ELNS1_3repE0EEENS1_30default_config_static_selectorELNS0_4arch9wavefront6targetE0EEEvSY_,@function
_ZN7rocprim17ROCPRIM_400000_NS6detail17trampoline_kernelINS0_13select_configILj256ELj13ELNS0_17block_load_methodE3ELS4_3ELS4_3ELNS0_20block_scan_algorithmE0ELj4294967295EEENS1_25partition_config_selectorILNS1_17partition_subalgoE3EjNS0_10empty_typeEbEEZZNS1_14partition_implILS8_3ELb0ES6_jNS0_17counting_iteratorIjlEEPS9_SE_NS0_5tupleIJPjSE_EEENSF_IJSE_SE_EEES9_SG_JZNS1_25segmented_radix_sort_implINS0_14default_configELb0EPKaPaPKlPlN2at6native12_GLOBAL__N_18offset_tEEE10hipError_tPvRmT1_PNSt15iterator_traitsISY_E10value_typeET2_T3_PNSZ_IS14_E10value_typeET4_jRbjT5_S1A_jjP12ihipStream_tbEUljE_EEESV_SW_SX_S14_S18_S1A_T6_T7_T9_mT8_S1C_bDpT10_ENKUlT_T0_E_clISt17integral_constantIbLb1EES1O_IbLb0EEEEDaS1K_S1L_EUlS1K_E_NS1_11comp_targetILNS1_3genE8ELNS1_11target_archE1030ELNS1_3gpuE2ELNS1_3repE0EEENS1_30default_config_static_selectorELNS0_4arch9wavefront6targetE0EEEvSY_: ; @_ZN7rocprim17ROCPRIM_400000_NS6detail17trampoline_kernelINS0_13select_configILj256ELj13ELNS0_17block_load_methodE3ELS4_3ELS4_3ELNS0_20block_scan_algorithmE0ELj4294967295EEENS1_25partition_config_selectorILNS1_17partition_subalgoE3EjNS0_10empty_typeEbEEZZNS1_14partition_implILS8_3ELb0ES6_jNS0_17counting_iteratorIjlEEPS9_SE_NS0_5tupleIJPjSE_EEENSF_IJSE_SE_EEES9_SG_JZNS1_25segmented_radix_sort_implINS0_14default_configELb0EPKaPaPKlPlN2at6native12_GLOBAL__N_18offset_tEEE10hipError_tPvRmT1_PNSt15iterator_traitsISY_E10value_typeET2_T3_PNSZ_IS14_E10value_typeET4_jRbjT5_S1A_jjP12ihipStream_tbEUljE_EEESV_SW_SX_S14_S18_S1A_T6_T7_T9_mT8_S1C_bDpT10_ENKUlT_T0_E_clISt17integral_constantIbLb1EES1O_IbLb0EEEEDaS1K_S1L_EUlS1K_E_NS1_11comp_targetILNS1_3genE8ELNS1_11target_archE1030ELNS1_3gpuE2ELNS1_3repE0EEENS1_30default_config_static_selectorELNS0_4arch9wavefront6targetE0EEEvSY_
; %bb.0:
	.section	.rodata,"a",@progbits
	.p2align	6, 0x0
	.amdhsa_kernel _ZN7rocprim17ROCPRIM_400000_NS6detail17trampoline_kernelINS0_13select_configILj256ELj13ELNS0_17block_load_methodE3ELS4_3ELS4_3ELNS0_20block_scan_algorithmE0ELj4294967295EEENS1_25partition_config_selectorILNS1_17partition_subalgoE3EjNS0_10empty_typeEbEEZZNS1_14partition_implILS8_3ELb0ES6_jNS0_17counting_iteratorIjlEEPS9_SE_NS0_5tupleIJPjSE_EEENSF_IJSE_SE_EEES9_SG_JZNS1_25segmented_radix_sort_implINS0_14default_configELb0EPKaPaPKlPlN2at6native12_GLOBAL__N_18offset_tEEE10hipError_tPvRmT1_PNSt15iterator_traitsISY_E10value_typeET2_T3_PNSZ_IS14_E10value_typeET4_jRbjT5_S1A_jjP12ihipStream_tbEUljE_EEESV_SW_SX_S14_S18_S1A_T6_T7_T9_mT8_S1C_bDpT10_ENKUlT_T0_E_clISt17integral_constantIbLb1EES1O_IbLb0EEEEDaS1K_S1L_EUlS1K_E_NS1_11comp_targetILNS1_3genE8ELNS1_11target_archE1030ELNS1_3gpuE2ELNS1_3repE0EEENS1_30default_config_static_selectorELNS0_4arch9wavefront6targetE0EEEvSY_
		.amdhsa_group_segment_fixed_size 0
		.amdhsa_private_segment_fixed_size 0
		.amdhsa_kernarg_size 144
		.amdhsa_user_sgpr_count 2
		.amdhsa_user_sgpr_dispatch_ptr 0
		.amdhsa_user_sgpr_queue_ptr 0
		.amdhsa_user_sgpr_kernarg_segment_ptr 1
		.amdhsa_user_sgpr_dispatch_id 0
		.amdhsa_user_sgpr_kernarg_preload_length 0
		.amdhsa_user_sgpr_kernarg_preload_offset 0
		.amdhsa_user_sgpr_private_segment_size 0
		.amdhsa_wavefront_size32 1
		.amdhsa_uses_dynamic_stack 0
		.amdhsa_enable_private_segment 0
		.amdhsa_system_sgpr_workgroup_id_x 1
		.amdhsa_system_sgpr_workgroup_id_y 0
		.amdhsa_system_sgpr_workgroup_id_z 0
		.amdhsa_system_sgpr_workgroup_info 0
		.amdhsa_system_vgpr_workitem_id 0
		.amdhsa_next_free_vgpr 1
		.amdhsa_next_free_sgpr 1
		.amdhsa_named_barrier_count 0
		.amdhsa_reserve_vcc 0
		.amdhsa_float_round_mode_32 0
		.amdhsa_float_round_mode_16_64 0
		.amdhsa_float_denorm_mode_32 3
		.amdhsa_float_denorm_mode_16_64 3
		.amdhsa_fp16_overflow 0
		.amdhsa_memory_ordered 1
		.amdhsa_forward_progress 1
		.amdhsa_inst_pref_size 0
		.amdhsa_round_robin_scheduling 0
		.amdhsa_exception_fp_ieee_invalid_op 0
		.amdhsa_exception_fp_denorm_src 0
		.amdhsa_exception_fp_ieee_div_zero 0
		.amdhsa_exception_fp_ieee_overflow 0
		.amdhsa_exception_fp_ieee_underflow 0
		.amdhsa_exception_fp_ieee_inexact 0
		.amdhsa_exception_int_div_zero 0
	.end_amdhsa_kernel
	.section	.text._ZN7rocprim17ROCPRIM_400000_NS6detail17trampoline_kernelINS0_13select_configILj256ELj13ELNS0_17block_load_methodE3ELS4_3ELS4_3ELNS0_20block_scan_algorithmE0ELj4294967295EEENS1_25partition_config_selectorILNS1_17partition_subalgoE3EjNS0_10empty_typeEbEEZZNS1_14partition_implILS8_3ELb0ES6_jNS0_17counting_iteratorIjlEEPS9_SE_NS0_5tupleIJPjSE_EEENSF_IJSE_SE_EEES9_SG_JZNS1_25segmented_radix_sort_implINS0_14default_configELb0EPKaPaPKlPlN2at6native12_GLOBAL__N_18offset_tEEE10hipError_tPvRmT1_PNSt15iterator_traitsISY_E10value_typeET2_T3_PNSZ_IS14_E10value_typeET4_jRbjT5_S1A_jjP12ihipStream_tbEUljE_EEESV_SW_SX_S14_S18_S1A_T6_T7_T9_mT8_S1C_bDpT10_ENKUlT_T0_E_clISt17integral_constantIbLb1EES1O_IbLb0EEEEDaS1K_S1L_EUlS1K_E_NS1_11comp_targetILNS1_3genE8ELNS1_11target_archE1030ELNS1_3gpuE2ELNS1_3repE0EEENS1_30default_config_static_selectorELNS0_4arch9wavefront6targetE0EEEvSY_,"axG",@progbits,_ZN7rocprim17ROCPRIM_400000_NS6detail17trampoline_kernelINS0_13select_configILj256ELj13ELNS0_17block_load_methodE3ELS4_3ELS4_3ELNS0_20block_scan_algorithmE0ELj4294967295EEENS1_25partition_config_selectorILNS1_17partition_subalgoE3EjNS0_10empty_typeEbEEZZNS1_14partition_implILS8_3ELb0ES6_jNS0_17counting_iteratorIjlEEPS9_SE_NS0_5tupleIJPjSE_EEENSF_IJSE_SE_EEES9_SG_JZNS1_25segmented_radix_sort_implINS0_14default_configELb0EPKaPaPKlPlN2at6native12_GLOBAL__N_18offset_tEEE10hipError_tPvRmT1_PNSt15iterator_traitsISY_E10value_typeET2_T3_PNSZ_IS14_E10value_typeET4_jRbjT5_S1A_jjP12ihipStream_tbEUljE_EEESV_SW_SX_S14_S18_S1A_T6_T7_T9_mT8_S1C_bDpT10_ENKUlT_T0_E_clISt17integral_constantIbLb1EES1O_IbLb0EEEEDaS1K_S1L_EUlS1K_E_NS1_11comp_targetILNS1_3genE8ELNS1_11target_archE1030ELNS1_3gpuE2ELNS1_3repE0EEENS1_30default_config_static_selectorELNS0_4arch9wavefront6targetE0EEEvSY_,comdat
.Lfunc_end381:
	.size	_ZN7rocprim17ROCPRIM_400000_NS6detail17trampoline_kernelINS0_13select_configILj256ELj13ELNS0_17block_load_methodE3ELS4_3ELS4_3ELNS0_20block_scan_algorithmE0ELj4294967295EEENS1_25partition_config_selectorILNS1_17partition_subalgoE3EjNS0_10empty_typeEbEEZZNS1_14partition_implILS8_3ELb0ES6_jNS0_17counting_iteratorIjlEEPS9_SE_NS0_5tupleIJPjSE_EEENSF_IJSE_SE_EEES9_SG_JZNS1_25segmented_radix_sort_implINS0_14default_configELb0EPKaPaPKlPlN2at6native12_GLOBAL__N_18offset_tEEE10hipError_tPvRmT1_PNSt15iterator_traitsISY_E10value_typeET2_T3_PNSZ_IS14_E10value_typeET4_jRbjT5_S1A_jjP12ihipStream_tbEUljE_EEESV_SW_SX_S14_S18_S1A_T6_T7_T9_mT8_S1C_bDpT10_ENKUlT_T0_E_clISt17integral_constantIbLb1EES1O_IbLb0EEEEDaS1K_S1L_EUlS1K_E_NS1_11comp_targetILNS1_3genE8ELNS1_11target_archE1030ELNS1_3gpuE2ELNS1_3repE0EEENS1_30default_config_static_selectorELNS0_4arch9wavefront6targetE0EEEvSY_, .Lfunc_end381-_ZN7rocprim17ROCPRIM_400000_NS6detail17trampoline_kernelINS0_13select_configILj256ELj13ELNS0_17block_load_methodE3ELS4_3ELS4_3ELNS0_20block_scan_algorithmE0ELj4294967295EEENS1_25partition_config_selectorILNS1_17partition_subalgoE3EjNS0_10empty_typeEbEEZZNS1_14partition_implILS8_3ELb0ES6_jNS0_17counting_iteratorIjlEEPS9_SE_NS0_5tupleIJPjSE_EEENSF_IJSE_SE_EEES9_SG_JZNS1_25segmented_radix_sort_implINS0_14default_configELb0EPKaPaPKlPlN2at6native12_GLOBAL__N_18offset_tEEE10hipError_tPvRmT1_PNSt15iterator_traitsISY_E10value_typeET2_T3_PNSZ_IS14_E10value_typeET4_jRbjT5_S1A_jjP12ihipStream_tbEUljE_EEESV_SW_SX_S14_S18_S1A_T6_T7_T9_mT8_S1C_bDpT10_ENKUlT_T0_E_clISt17integral_constantIbLb1EES1O_IbLb0EEEEDaS1K_S1L_EUlS1K_E_NS1_11comp_targetILNS1_3genE8ELNS1_11target_archE1030ELNS1_3gpuE2ELNS1_3repE0EEENS1_30default_config_static_selectorELNS0_4arch9wavefront6targetE0EEEvSY_
                                        ; -- End function
	.set _ZN7rocprim17ROCPRIM_400000_NS6detail17trampoline_kernelINS0_13select_configILj256ELj13ELNS0_17block_load_methodE3ELS4_3ELS4_3ELNS0_20block_scan_algorithmE0ELj4294967295EEENS1_25partition_config_selectorILNS1_17partition_subalgoE3EjNS0_10empty_typeEbEEZZNS1_14partition_implILS8_3ELb0ES6_jNS0_17counting_iteratorIjlEEPS9_SE_NS0_5tupleIJPjSE_EEENSF_IJSE_SE_EEES9_SG_JZNS1_25segmented_radix_sort_implINS0_14default_configELb0EPKaPaPKlPlN2at6native12_GLOBAL__N_18offset_tEEE10hipError_tPvRmT1_PNSt15iterator_traitsISY_E10value_typeET2_T3_PNSZ_IS14_E10value_typeET4_jRbjT5_S1A_jjP12ihipStream_tbEUljE_EEESV_SW_SX_S14_S18_S1A_T6_T7_T9_mT8_S1C_bDpT10_ENKUlT_T0_E_clISt17integral_constantIbLb1EES1O_IbLb0EEEEDaS1K_S1L_EUlS1K_E_NS1_11comp_targetILNS1_3genE8ELNS1_11target_archE1030ELNS1_3gpuE2ELNS1_3repE0EEENS1_30default_config_static_selectorELNS0_4arch9wavefront6targetE0EEEvSY_.num_vgpr, 0
	.set _ZN7rocprim17ROCPRIM_400000_NS6detail17trampoline_kernelINS0_13select_configILj256ELj13ELNS0_17block_load_methodE3ELS4_3ELS4_3ELNS0_20block_scan_algorithmE0ELj4294967295EEENS1_25partition_config_selectorILNS1_17partition_subalgoE3EjNS0_10empty_typeEbEEZZNS1_14partition_implILS8_3ELb0ES6_jNS0_17counting_iteratorIjlEEPS9_SE_NS0_5tupleIJPjSE_EEENSF_IJSE_SE_EEES9_SG_JZNS1_25segmented_radix_sort_implINS0_14default_configELb0EPKaPaPKlPlN2at6native12_GLOBAL__N_18offset_tEEE10hipError_tPvRmT1_PNSt15iterator_traitsISY_E10value_typeET2_T3_PNSZ_IS14_E10value_typeET4_jRbjT5_S1A_jjP12ihipStream_tbEUljE_EEESV_SW_SX_S14_S18_S1A_T6_T7_T9_mT8_S1C_bDpT10_ENKUlT_T0_E_clISt17integral_constantIbLb1EES1O_IbLb0EEEEDaS1K_S1L_EUlS1K_E_NS1_11comp_targetILNS1_3genE8ELNS1_11target_archE1030ELNS1_3gpuE2ELNS1_3repE0EEENS1_30default_config_static_selectorELNS0_4arch9wavefront6targetE0EEEvSY_.num_agpr, 0
	.set _ZN7rocprim17ROCPRIM_400000_NS6detail17trampoline_kernelINS0_13select_configILj256ELj13ELNS0_17block_load_methodE3ELS4_3ELS4_3ELNS0_20block_scan_algorithmE0ELj4294967295EEENS1_25partition_config_selectorILNS1_17partition_subalgoE3EjNS0_10empty_typeEbEEZZNS1_14partition_implILS8_3ELb0ES6_jNS0_17counting_iteratorIjlEEPS9_SE_NS0_5tupleIJPjSE_EEENSF_IJSE_SE_EEES9_SG_JZNS1_25segmented_radix_sort_implINS0_14default_configELb0EPKaPaPKlPlN2at6native12_GLOBAL__N_18offset_tEEE10hipError_tPvRmT1_PNSt15iterator_traitsISY_E10value_typeET2_T3_PNSZ_IS14_E10value_typeET4_jRbjT5_S1A_jjP12ihipStream_tbEUljE_EEESV_SW_SX_S14_S18_S1A_T6_T7_T9_mT8_S1C_bDpT10_ENKUlT_T0_E_clISt17integral_constantIbLb1EES1O_IbLb0EEEEDaS1K_S1L_EUlS1K_E_NS1_11comp_targetILNS1_3genE8ELNS1_11target_archE1030ELNS1_3gpuE2ELNS1_3repE0EEENS1_30default_config_static_selectorELNS0_4arch9wavefront6targetE0EEEvSY_.numbered_sgpr, 0
	.set _ZN7rocprim17ROCPRIM_400000_NS6detail17trampoline_kernelINS0_13select_configILj256ELj13ELNS0_17block_load_methodE3ELS4_3ELS4_3ELNS0_20block_scan_algorithmE0ELj4294967295EEENS1_25partition_config_selectorILNS1_17partition_subalgoE3EjNS0_10empty_typeEbEEZZNS1_14partition_implILS8_3ELb0ES6_jNS0_17counting_iteratorIjlEEPS9_SE_NS0_5tupleIJPjSE_EEENSF_IJSE_SE_EEES9_SG_JZNS1_25segmented_radix_sort_implINS0_14default_configELb0EPKaPaPKlPlN2at6native12_GLOBAL__N_18offset_tEEE10hipError_tPvRmT1_PNSt15iterator_traitsISY_E10value_typeET2_T3_PNSZ_IS14_E10value_typeET4_jRbjT5_S1A_jjP12ihipStream_tbEUljE_EEESV_SW_SX_S14_S18_S1A_T6_T7_T9_mT8_S1C_bDpT10_ENKUlT_T0_E_clISt17integral_constantIbLb1EES1O_IbLb0EEEEDaS1K_S1L_EUlS1K_E_NS1_11comp_targetILNS1_3genE8ELNS1_11target_archE1030ELNS1_3gpuE2ELNS1_3repE0EEENS1_30default_config_static_selectorELNS0_4arch9wavefront6targetE0EEEvSY_.num_named_barrier, 0
	.set _ZN7rocprim17ROCPRIM_400000_NS6detail17trampoline_kernelINS0_13select_configILj256ELj13ELNS0_17block_load_methodE3ELS4_3ELS4_3ELNS0_20block_scan_algorithmE0ELj4294967295EEENS1_25partition_config_selectorILNS1_17partition_subalgoE3EjNS0_10empty_typeEbEEZZNS1_14partition_implILS8_3ELb0ES6_jNS0_17counting_iteratorIjlEEPS9_SE_NS0_5tupleIJPjSE_EEENSF_IJSE_SE_EEES9_SG_JZNS1_25segmented_radix_sort_implINS0_14default_configELb0EPKaPaPKlPlN2at6native12_GLOBAL__N_18offset_tEEE10hipError_tPvRmT1_PNSt15iterator_traitsISY_E10value_typeET2_T3_PNSZ_IS14_E10value_typeET4_jRbjT5_S1A_jjP12ihipStream_tbEUljE_EEESV_SW_SX_S14_S18_S1A_T6_T7_T9_mT8_S1C_bDpT10_ENKUlT_T0_E_clISt17integral_constantIbLb1EES1O_IbLb0EEEEDaS1K_S1L_EUlS1K_E_NS1_11comp_targetILNS1_3genE8ELNS1_11target_archE1030ELNS1_3gpuE2ELNS1_3repE0EEENS1_30default_config_static_selectorELNS0_4arch9wavefront6targetE0EEEvSY_.private_seg_size, 0
	.set _ZN7rocprim17ROCPRIM_400000_NS6detail17trampoline_kernelINS0_13select_configILj256ELj13ELNS0_17block_load_methodE3ELS4_3ELS4_3ELNS0_20block_scan_algorithmE0ELj4294967295EEENS1_25partition_config_selectorILNS1_17partition_subalgoE3EjNS0_10empty_typeEbEEZZNS1_14partition_implILS8_3ELb0ES6_jNS0_17counting_iteratorIjlEEPS9_SE_NS0_5tupleIJPjSE_EEENSF_IJSE_SE_EEES9_SG_JZNS1_25segmented_radix_sort_implINS0_14default_configELb0EPKaPaPKlPlN2at6native12_GLOBAL__N_18offset_tEEE10hipError_tPvRmT1_PNSt15iterator_traitsISY_E10value_typeET2_T3_PNSZ_IS14_E10value_typeET4_jRbjT5_S1A_jjP12ihipStream_tbEUljE_EEESV_SW_SX_S14_S18_S1A_T6_T7_T9_mT8_S1C_bDpT10_ENKUlT_T0_E_clISt17integral_constantIbLb1EES1O_IbLb0EEEEDaS1K_S1L_EUlS1K_E_NS1_11comp_targetILNS1_3genE8ELNS1_11target_archE1030ELNS1_3gpuE2ELNS1_3repE0EEENS1_30default_config_static_selectorELNS0_4arch9wavefront6targetE0EEEvSY_.uses_vcc, 0
	.set _ZN7rocprim17ROCPRIM_400000_NS6detail17trampoline_kernelINS0_13select_configILj256ELj13ELNS0_17block_load_methodE3ELS4_3ELS4_3ELNS0_20block_scan_algorithmE0ELj4294967295EEENS1_25partition_config_selectorILNS1_17partition_subalgoE3EjNS0_10empty_typeEbEEZZNS1_14partition_implILS8_3ELb0ES6_jNS0_17counting_iteratorIjlEEPS9_SE_NS0_5tupleIJPjSE_EEENSF_IJSE_SE_EEES9_SG_JZNS1_25segmented_radix_sort_implINS0_14default_configELb0EPKaPaPKlPlN2at6native12_GLOBAL__N_18offset_tEEE10hipError_tPvRmT1_PNSt15iterator_traitsISY_E10value_typeET2_T3_PNSZ_IS14_E10value_typeET4_jRbjT5_S1A_jjP12ihipStream_tbEUljE_EEESV_SW_SX_S14_S18_S1A_T6_T7_T9_mT8_S1C_bDpT10_ENKUlT_T0_E_clISt17integral_constantIbLb1EES1O_IbLb0EEEEDaS1K_S1L_EUlS1K_E_NS1_11comp_targetILNS1_3genE8ELNS1_11target_archE1030ELNS1_3gpuE2ELNS1_3repE0EEENS1_30default_config_static_selectorELNS0_4arch9wavefront6targetE0EEEvSY_.uses_flat_scratch, 0
	.set _ZN7rocprim17ROCPRIM_400000_NS6detail17trampoline_kernelINS0_13select_configILj256ELj13ELNS0_17block_load_methodE3ELS4_3ELS4_3ELNS0_20block_scan_algorithmE0ELj4294967295EEENS1_25partition_config_selectorILNS1_17partition_subalgoE3EjNS0_10empty_typeEbEEZZNS1_14partition_implILS8_3ELb0ES6_jNS0_17counting_iteratorIjlEEPS9_SE_NS0_5tupleIJPjSE_EEENSF_IJSE_SE_EEES9_SG_JZNS1_25segmented_radix_sort_implINS0_14default_configELb0EPKaPaPKlPlN2at6native12_GLOBAL__N_18offset_tEEE10hipError_tPvRmT1_PNSt15iterator_traitsISY_E10value_typeET2_T3_PNSZ_IS14_E10value_typeET4_jRbjT5_S1A_jjP12ihipStream_tbEUljE_EEESV_SW_SX_S14_S18_S1A_T6_T7_T9_mT8_S1C_bDpT10_ENKUlT_T0_E_clISt17integral_constantIbLb1EES1O_IbLb0EEEEDaS1K_S1L_EUlS1K_E_NS1_11comp_targetILNS1_3genE8ELNS1_11target_archE1030ELNS1_3gpuE2ELNS1_3repE0EEENS1_30default_config_static_selectorELNS0_4arch9wavefront6targetE0EEEvSY_.has_dyn_sized_stack, 0
	.set _ZN7rocprim17ROCPRIM_400000_NS6detail17trampoline_kernelINS0_13select_configILj256ELj13ELNS0_17block_load_methodE3ELS4_3ELS4_3ELNS0_20block_scan_algorithmE0ELj4294967295EEENS1_25partition_config_selectorILNS1_17partition_subalgoE3EjNS0_10empty_typeEbEEZZNS1_14partition_implILS8_3ELb0ES6_jNS0_17counting_iteratorIjlEEPS9_SE_NS0_5tupleIJPjSE_EEENSF_IJSE_SE_EEES9_SG_JZNS1_25segmented_radix_sort_implINS0_14default_configELb0EPKaPaPKlPlN2at6native12_GLOBAL__N_18offset_tEEE10hipError_tPvRmT1_PNSt15iterator_traitsISY_E10value_typeET2_T3_PNSZ_IS14_E10value_typeET4_jRbjT5_S1A_jjP12ihipStream_tbEUljE_EEESV_SW_SX_S14_S18_S1A_T6_T7_T9_mT8_S1C_bDpT10_ENKUlT_T0_E_clISt17integral_constantIbLb1EES1O_IbLb0EEEEDaS1K_S1L_EUlS1K_E_NS1_11comp_targetILNS1_3genE8ELNS1_11target_archE1030ELNS1_3gpuE2ELNS1_3repE0EEENS1_30default_config_static_selectorELNS0_4arch9wavefront6targetE0EEEvSY_.has_recursion, 0
	.set _ZN7rocprim17ROCPRIM_400000_NS6detail17trampoline_kernelINS0_13select_configILj256ELj13ELNS0_17block_load_methodE3ELS4_3ELS4_3ELNS0_20block_scan_algorithmE0ELj4294967295EEENS1_25partition_config_selectorILNS1_17partition_subalgoE3EjNS0_10empty_typeEbEEZZNS1_14partition_implILS8_3ELb0ES6_jNS0_17counting_iteratorIjlEEPS9_SE_NS0_5tupleIJPjSE_EEENSF_IJSE_SE_EEES9_SG_JZNS1_25segmented_radix_sort_implINS0_14default_configELb0EPKaPaPKlPlN2at6native12_GLOBAL__N_18offset_tEEE10hipError_tPvRmT1_PNSt15iterator_traitsISY_E10value_typeET2_T3_PNSZ_IS14_E10value_typeET4_jRbjT5_S1A_jjP12ihipStream_tbEUljE_EEESV_SW_SX_S14_S18_S1A_T6_T7_T9_mT8_S1C_bDpT10_ENKUlT_T0_E_clISt17integral_constantIbLb1EES1O_IbLb0EEEEDaS1K_S1L_EUlS1K_E_NS1_11comp_targetILNS1_3genE8ELNS1_11target_archE1030ELNS1_3gpuE2ELNS1_3repE0EEENS1_30default_config_static_selectorELNS0_4arch9wavefront6targetE0EEEvSY_.has_indirect_call, 0
	.section	.AMDGPU.csdata,"",@progbits
; Kernel info:
; codeLenInByte = 0
; TotalNumSgprs: 0
; NumVgprs: 0
; ScratchSize: 0
; MemoryBound: 0
; FloatMode: 240
; IeeeMode: 1
; LDSByteSize: 0 bytes/workgroup (compile time only)
; SGPRBlocks: 0
; VGPRBlocks: 0
; NumSGPRsForWavesPerEU: 1
; NumVGPRsForWavesPerEU: 1
; NamedBarCnt: 0
; Occupancy: 16
; WaveLimiterHint : 0
; COMPUTE_PGM_RSRC2:SCRATCH_EN: 0
; COMPUTE_PGM_RSRC2:USER_SGPR: 2
; COMPUTE_PGM_RSRC2:TRAP_HANDLER: 0
; COMPUTE_PGM_RSRC2:TGID_X_EN: 1
; COMPUTE_PGM_RSRC2:TGID_Y_EN: 0
; COMPUTE_PGM_RSRC2:TGID_Z_EN: 0
; COMPUTE_PGM_RSRC2:TIDIG_COMP_CNT: 0
	.section	.text._ZN7rocprim17ROCPRIM_400000_NS6detail17trampoline_kernelINS0_13select_configILj256ELj13ELNS0_17block_load_methodE3ELS4_3ELS4_3ELNS0_20block_scan_algorithmE0ELj4294967295EEENS1_25partition_config_selectorILNS1_17partition_subalgoE3EjNS0_10empty_typeEbEEZZNS1_14partition_implILS8_3ELb0ES6_jNS0_17counting_iteratorIjlEEPS9_SE_NS0_5tupleIJPjSE_EEENSF_IJSE_SE_EEES9_SG_JZNS1_25segmented_radix_sort_implINS0_14default_configELb0EPKaPaPKlPlN2at6native12_GLOBAL__N_18offset_tEEE10hipError_tPvRmT1_PNSt15iterator_traitsISY_E10value_typeET2_T3_PNSZ_IS14_E10value_typeET4_jRbjT5_S1A_jjP12ihipStream_tbEUljE_EEESV_SW_SX_S14_S18_S1A_T6_T7_T9_mT8_S1C_bDpT10_ENKUlT_T0_E_clISt17integral_constantIbLb0EES1O_IbLb1EEEEDaS1K_S1L_EUlS1K_E_NS1_11comp_targetILNS1_3genE0ELNS1_11target_archE4294967295ELNS1_3gpuE0ELNS1_3repE0EEENS1_30default_config_static_selectorELNS0_4arch9wavefront6targetE0EEEvSY_,"axG",@progbits,_ZN7rocprim17ROCPRIM_400000_NS6detail17trampoline_kernelINS0_13select_configILj256ELj13ELNS0_17block_load_methodE3ELS4_3ELS4_3ELNS0_20block_scan_algorithmE0ELj4294967295EEENS1_25partition_config_selectorILNS1_17partition_subalgoE3EjNS0_10empty_typeEbEEZZNS1_14partition_implILS8_3ELb0ES6_jNS0_17counting_iteratorIjlEEPS9_SE_NS0_5tupleIJPjSE_EEENSF_IJSE_SE_EEES9_SG_JZNS1_25segmented_radix_sort_implINS0_14default_configELb0EPKaPaPKlPlN2at6native12_GLOBAL__N_18offset_tEEE10hipError_tPvRmT1_PNSt15iterator_traitsISY_E10value_typeET2_T3_PNSZ_IS14_E10value_typeET4_jRbjT5_S1A_jjP12ihipStream_tbEUljE_EEESV_SW_SX_S14_S18_S1A_T6_T7_T9_mT8_S1C_bDpT10_ENKUlT_T0_E_clISt17integral_constantIbLb0EES1O_IbLb1EEEEDaS1K_S1L_EUlS1K_E_NS1_11comp_targetILNS1_3genE0ELNS1_11target_archE4294967295ELNS1_3gpuE0ELNS1_3repE0EEENS1_30default_config_static_selectorELNS0_4arch9wavefront6targetE0EEEvSY_,comdat
	.globl	_ZN7rocprim17ROCPRIM_400000_NS6detail17trampoline_kernelINS0_13select_configILj256ELj13ELNS0_17block_load_methodE3ELS4_3ELS4_3ELNS0_20block_scan_algorithmE0ELj4294967295EEENS1_25partition_config_selectorILNS1_17partition_subalgoE3EjNS0_10empty_typeEbEEZZNS1_14partition_implILS8_3ELb0ES6_jNS0_17counting_iteratorIjlEEPS9_SE_NS0_5tupleIJPjSE_EEENSF_IJSE_SE_EEES9_SG_JZNS1_25segmented_radix_sort_implINS0_14default_configELb0EPKaPaPKlPlN2at6native12_GLOBAL__N_18offset_tEEE10hipError_tPvRmT1_PNSt15iterator_traitsISY_E10value_typeET2_T3_PNSZ_IS14_E10value_typeET4_jRbjT5_S1A_jjP12ihipStream_tbEUljE_EEESV_SW_SX_S14_S18_S1A_T6_T7_T9_mT8_S1C_bDpT10_ENKUlT_T0_E_clISt17integral_constantIbLb0EES1O_IbLb1EEEEDaS1K_S1L_EUlS1K_E_NS1_11comp_targetILNS1_3genE0ELNS1_11target_archE4294967295ELNS1_3gpuE0ELNS1_3repE0EEENS1_30default_config_static_selectorELNS0_4arch9wavefront6targetE0EEEvSY_ ; -- Begin function _ZN7rocprim17ROCPRIM_400000_NS6detail17trampoline_kernelINS0_13select_configILj256ELj13ELNS0_17block_load_methodE3ELS4_3ELS4_3ELNS0_20block_scan_algorithmE0ELj4294967295EEENS1_25partition_config_selectorILNS1_17partition_subalgoE3EjNS0_10empty_typeEbEEZZNS1_14partition_implILS8_3ELb0ES6_jNS0_17counting_iteratorIjlEEPS9_SE_NS0_5tupleIJPjSE_EEENSF_IJSE_SE_EEES9_SG_JZNS1_25segmented_radix_sort_implINS0_14default_configELb0EPKaPaPKlPlN2at6native12_GLOBAL__N_18offset_tEEE10hipError_tPvRmT1_PNSt15iterator_traitsISY_E10value_typeET2_T3_PNSZ_IS14_E10value_typeET4_jRbjT5_S1A_jjP12ihipStream_tbEUljE_EEESV_SW_SX_S14_S18_S1A_T6_T7_T9_mT8_S1C_bDpT10_ENKUlT_T0_E_clISt17integral_constantIbLb0EES1O_IbLb1EEEEDaS1K_S1L_EUlS1K_E_NS1_11comp_targetILNS1_3genE0ELNS1_11target_archE4294967295ELNS1_3gpuE0ELNS1_3repE0EEENS1_30default_config_static_selectorELNS0_4arch9wavefront6targetE0EEEvSY_
	.p2align	8
	.type	_ZN7rocprim17ROCPRIM_400000_NS6detail17trampoline_kernelINS0_13select_configILj256ELj13ELNS0_17block_load_methodE3ELS4_3ELS4_3ELNS0_20block_scan_algorithmE0ELj4294967295EEENS1_25partition_config_selectorILNS1_17partition_subalgoE3EjNS0_10empty_typeEbEEZZNS1_14partition_implILS8_3ELb0ES6_jNS0_17counting_iteratorIjlEEPS9_SE_NS0_5tupleIJPjSE_EEENSF_IJSE_SE_EEES9_SG_JZNS1_25segmented_radix_sort_implINS0_14default_configELb0EPKaPaPKlPlN2at6native12_GLOBAL__N_18offset_tEEE10hipError_tPvRmT1_PNSt15iterator_traitsISY_E10value_typeET2_T3_PNSZ_IS14_E10value_typeET4_jRbjT5_S1A_jjP12ihipStream_tbEUljE_EEESV_SW_SX_S14_S18_S1A_T6_T7_T9_mT8_S1C_bDpT10_ENKUlT_T0_E_clISt17integral_constantIbLb0EES1O_IbLb1EEEEDaS1K_S1L_EUlS1K_E_NS1_11comp_targetILNS1_3genE0ELNS1_11target_archE4294967295ELNS1_3gpuE0ELNS1_3repE0EEENS1_30default_config_static_selectorELNS0_4arch9wavefront6targetE0EEEvSY_,@function
_ZN7rocprim17ROCPRIM_400000_NS6detail17trampoline_kernelINS0_13select_configILj256ELj13ELNS0_17block_load_methodE3ELS4_3ELS4_3ELNS0_20block_scan_algorithmE0ELj4294967295EEENS1_25partition_config_selectorILNS1_17partition_subalgoE3EjNS0_10empty_typeEbEEZZNS1_14partition_implILS8_3ELb0ES6_jNS0_17counting_iteratorIjlEEPS9_SE_NS0_5tupleIJPjSE_EEENSF_IJSE_SE_EEES9_SG_JZNS1_25segmented_radix_sort_implINS0_14default_configELb0EPKaPaPKlPlN2at6native12_GLOBAL__N_18offset_tEEE10hipError_tPvRmT1_PNSt15iterator_traitsISY_E10value_typeET2_T3_PNSZ_IS14_E10value_typeET4_jRbjT5_S1A_jjP12ihipStream_tbEUljE_EEESV_SW_SX_S14_S18_S1A_T6_T7_T9_mT8_S1C_bDpT10_ENKUlT_T0_E_clISt17integral_constantIbLb0EES1O_IbLb1EEEEDaS1K_S1L_EUlS1K_E_NS1_11comp_targetILNS1_3genE0ELNS1_11target_archE4294967295ELNS1_3gpuE0ELNS1_3repE0EEENS1_30default_config_static_selectorELNS0_4arch9wavefront6targetE0EEEvSY_: ; @_ZN7rocprim17ROCPRIM_400000_NS6detail17trampoline_kernelINS0_13select_configILj256ELj13ELNS0_17block_load_methodE3ELS4_3ELS4_3ELNS0_20block_scan_algorithmE0ELj4294967295EEENS1_25partition_config_selectorILNS1_17partition_subalgoE3EjNS0_10empty_typeEbEEZZNS1_14partition_implILS8_3ELb0ES6_jNS0_17counting_iteratorIjlEEPS9_SE_NS0_5tupleIJPjSE_EEENSF_IJSE_SE_EEES9_SG_JZNS1_25segmented_radix_sort_implINS0_14default_configELb0EPKaPaPKlPlN2at6native12_GLOBAL__N_18offset_tEEE10hipError_tPvRmT1_PNSt15iterator_traitsISY_E10value_typeET2_T3_PNSZ_IS14_E10value_typeET4_jRbjT5_S1A_jjP12ihipStream_tbEUljE_EEESV_SW_SX_S14_S18_S1A_T6_T7_T9_mT8_S1C_bDpT10_ENKUlT_T0_E_clISt17integral_constantIbLb0EES1O_IbLb1EEEEDaS1K_S1L_EUlS1K_E_NS1_11comp_targetILNS1_3genE0ELNS1_11target_archE4294967295ELNS1_3gpuE0ELNS1_3repE0EEENS1_30default_config_static_selectorELNS0_4arch9wavefront6targetE0EEEvSY_
; %bb.0:
	s_clause 0x5
	s_load_b64 s[16:17], s[0:1], 0x10
	s_load_b128 s[12:15], s[0:1], 0x48
	s_load_b64 s[18:19], s[0:1], 0x58
	s_load_b64 s[20:21], s[0:1], 0x68
	s_load_b32 s3, s[0:1], 0x90
	s_load_b128 s[4:7], s[0:1], 0x80
	v_cmp_eq_u32_e64 s2, 0, v0
	s_and_saveexec_b32 s8, s2
	s_cbranch_execz .LBB382_4
; %bb.1:
	s_mov_b32 s10, exec_lo
	s_mov_b32 s9, exec_lo
	v_mbcnt_lo_u32_b32 v1, s10, 0
                                        ; implicit-def: $vgpr2
	s_delay_alu instid0(VALU_DEP_1)
	v_cmpx_eq_u32_e32 0, v1
	s_cbranch_execz .LBB382_3
; %bb.2:
	s_load_b64 s[22:23], s[0:1], 0x78
	s_bcnt1_i32_b32 s10, s10
	s_delay_alu instid0(SALU_CYCLE_1)
	v_dual_mov_b32 v2, 0 :: v_dual_mov_b32 v3, s10
	s_wait_xcnt 0x0
	s_wait_kmcnt 0x0
	global_atomic_add_u32 v2, v2, v3, s[22:23] th:TH_ATOMIC_RETURN scope:SCOPE_DEV
.LBB382_3:
	s_wait_xcnt 0x0
	s_or_b32 exec_lo, exec_lo, s9
	s_wait_loadcnt 0x0
	v_readfirstlane_b32 s9, v2
	s_delay_alu instid0(VALU_DEP_1)
	v_dual_mov_b32 v2, 0 :: v_dual_add_nc_u32 v1, s9, v1
	ds_store_b32 v2, v1
.LBB382_4:
	s_or_b32 exec_lo, exec_lo, s8
	v_dual_mov_b32 v1, 0 :: v_dual_lshlrev_b32 v19, 2, v0
	s_clause 0x2
	s_load_b32 s8, s[0:1], 0x8
	s_load_b64 s[10:11], s[0:1], 0x28
	s_load_b32 s9, s[0:1], 0x70
	s_wait_dscnt 0x0
	s_barrier_signal -1
	s_barrier_wait -1
	ds_load_b32 v4, v1
	s_wait_dscnt 0x0
	s_barrier_signal -1
	s_barrier_wait -1
	s_wait_kmcnt 0x0
	global_load_b64 v[42:43], v1, s[14:15]
	s_mov_b32 s1, 0
	s_add_co_i32 s8, s8, s16
	s_mul_i32 s0, s9, 0xd00
	s_add_co_i32 s9, s9, -1
	s_wait_xcnt 0x0
	s_add_nc_u64 s[14:15], s[16:17], s[0:1]
	s_add_co_i32 s0, s0, s16
	v_cmp_gt_u64_e64 s1, s[18:19], s[14:15]
	v_readfirstlane_b32 s23, v4
	s_sub_co_i32 s22, s18, s0
	v_cmp_ne_u32_e32 vcc_lo, s9, v4
	s_addk_co_i32 s22, 0xd00
	s_mov_b32 s15, -1
	s_cmp_eq_u32 s23, s9
	s_mul_i32 s14, s23, 0xd00
	s_cselect_b32 s9, -1, 0
	s_or_b32 s1, s1, vcc_lo
	s_delay_alu instid0(SALU_CYCLE_1)
	s_and_b32 vcc_lo, exec_lo, s1
	s_cbranch_vccz .LBB382_6
; %bb.5:
	v_add3_u32 v1, s14, s8, v0
	s_mov_b32 s15, 0
	s_delay_alu instid0(VALU_DEP_1)
	v_add_nc_u32_e32 v2, 0x100, v1
	v_add_nc_u32_e32 v3, 0x200, v1
	;; [unrolled: 1-line block ×12, first 2 shown]
	ds_store_2addr_stride64_b32 v19, v1, v2 offset1:4
	ds_store_2addr_stride64_b32 v19, v3, v5 offset0:8 offset1:12
	ds_store_2addr_stride64_b32 v19, v6, v7 offset0:16 offset1:20
	;; [unrolled: 1-line block ×5, first 2 shown]
	ds_store_b32 v19, v14 offset:12288
	s_wait_loadcnt_dscnt 0x0
	s_barrier_signal -1
	s_barrier_wait -1
.LBB382_6:
	v_cmp_gt_u32_e64 s0, s22, v0
	v_or_b32_e32 v40, 0x100, v0
	v_or_b32_e32 v38, 0x200, v0
	;; [unrolled: 1-line block ×12, first 2 shown]
	s_and_not1_b32 vcc_lo, exec_lo, s15
	s_cbranch_vccnz .LBB382_8
; %bb.7:
	s_add_co_i32 s8, s14, s8
	v_cmp_gt_u32_e32 vcc_lo, s22, v40
	v_dual_add_nc_u32 v1, s8, v0 :: v_dual_add_nc_u32 v3, s8, v38
	v_dual_add_nc_u32 v2, s8, v40 :: v_dual_add_nc_u32 v8, s8, v30
	s_delay_alu instid0(VALU_DEP_2) | instskip(NEXT) | instid1(VALU_DEP_2)
	v_dual_add_nc_u32 v9, s8, v28 :: v_dual_cndmask_b32 v1, 0, v1, s0
	v_dual_cndmask_b32 v2, 0, v2 :: v_dual_add_nc_u32 v5, s8, v36
	v_cmp_gt_u32_e32 vcc_lo, s22, v38
	v_dual_add_nc_u32 v12, s8, v22 :: v_dual_add_nc_u32 v13, s8, v20
	v_dual_add_nc_u32 v6, s8, v34 :: v_dual_add_nc_u32 v7, s8, v32
	v_cndmask_b32_e32 v3, 0, v3, vcc_lo
	v_cmp_gt_u32_e32 vcc_lo, s22, v36
	v_dual_add_nc_u32 v10, s8, v26 :: v_dual_add_nc_u32 v11, s8, v24
	v_cndmask_b32_e32 v5, 0, v5, vcc_lo
	v_cmp_gt_u32_e32 vcc_lo, s22, v34
	v_cndmask_b32_e32 v6, 0, v6, vcc_lo
	v_cmp_gt_u32_e32 vcc_lo, s22, v32
	v_cndmask_b32_e32 v7, 0, v7, vcc_lo
	v_cmp_gt_u32_e32 vcc_lo, s22, v30
	v_cndmask_b32_e32 v8, 0, v8, vcc_lo
	v_cmp_gt_u32_e32 vcc_lo, s22, v28
	v_cndmask_b32_e32 v9, 0, v9, vcc_lo
	v_cmp_gt_u32_e32 vcc_lo, s22, v26
	v_cndmask_b32_e32 v10, 0, v10, vcc_lo
	v_cmp_gt_u32_e32 vcc_lo, s22, v24
	v_cndmask_b32_e32 v11, 0, v11, vcc_lo
	v_cmp_gt_u32_e32 vcc_lo, s22, v22
	v_dual_add_nc_u32 v14, s8, v18 :: v_dual_cndmask_b32 v12, 0, v12, vcc_lo
	v_cmp_gt_u32_e32 vcc_lo, s22, v20
	v_cndmask_b32_e32 v13, 0, v13, vcc_lo
	v_cmp_gt_u32_e32 vcc_lo, s22, v18
	s_delay_alu instid0(VALU_DEP_4)
	v_cndmask_b32_e32 v14, 0, v14, vcc_lo
	ds_store_2addr_stride64_b32 v19, v1, v2 offset1:4
	ds_store_2addr_stride64_b32 v19, v3, v5 offset0:8 offset1:12
	ds_store_2addr_stride64_b32 v19, v6, v7 offset0:16 offset1:20
	;; [unrolled: 1-line block ×5, first 2 shown]
	ds_store_b32 v19, v14 offset:12288
	s_wait_loadcnt_dscnt 0x0
	s_barrier_signal -1
	s_barrier_wait -1
.LBB382_8:
	v_mul_u32_u24_e32 v23, 13, v0
	s_wait_loadcnt 0x0
	v_cndmask_b32_e64 v21, 0, 1, s1
	s_and_not1_b32 vcc_lo, exec_lo, s1
	s_delay_alu instid0(VALU_DEP_2)
	v_lshlrev_b32_e32 v2, 2, v23
	ds_load_2addr_b32 v[52:53], v2 offset0:2 offset1:3
	ds_load_2addr_b32 v[48:49], v2 offset0:6 offset1:7
	;; [unrolled: 1-line block ×3, first 2 shown]
	ds_load_2addr_b32 v[54:55], v2 offset1:1
	ds_load_2addr_b32 v[44:45], v2 offset0:10 offset1:11
	ds_load_b32 v1, v2 offset:48
	ds_load_2addr_b32 v[46:47], v2 offset0:8 offset1:9
	s_wait_dscnt 0x0
	s_barrier_signal -1
	s_barrier_wait -1
	s_cbranch_vccnz .LBB382_10
; %bb.9:
	v_dual_add_nc_u32 v2, s5, v53 :: v_dual_add_nc_u32 v3, s5, v55
	v_dual_add_nc_u32 v5, s5, v54 :: v_dual_add_nc_u32 v6, s5, v52
	;; [unrolled: 1-line block ×4, first 2 shown]
	s_delay_alu instid0(VALU_DEP_3) | instskip(NEXT) | instid1(VALU_DEP_4)
	v_mul_lo_u32 v6, v6, s4
	v_mul_lo_u32 v5, v5, s4
	;; [unrolled: 1-line block ×8, first 2 shown]
	v_dual_add_nc_u32 v11, s5, v50 :: v_dual_add_nc_u32 v12, s7, v50
	v_dual_add_nc_u32 v13, s5, v48 :: v_dual_add_nc_u32 v15, s7, v45
	v_add_nc_u32_e32 v16, s5, v44
	s_delay_alu instid0(VALU_DEP_3) | instskip(NEXT) | instid1(VALU_DEP_4)
	v_mul_lo_u32 v11, v11, s4
	v_mul_lo_u32 v12, v12, s6
	v_dual_sub_nc_u32 v2, v2, v7 :: v_dual_sub_nc_u32 v3, v3, v8
	v_dual_sub_nc_u32 v5, v5, v9 :: v_dual_sub_nc_u32 v6, v6, v10
	v_dual_add_nc_u32 v7, s5, v51 :: v_dual_add_nc_u32 v8, s7, v51
	v_dual_add_nc_u32 v9, s5, v49 :: v_dual_add_nc_u32 v10, s7, v49
	s_delay_alu instid0(VALU_DEP_4) | instskip(NEXT) | instid1(VALU_DEP_3)
	v_cmp_lt_u32_e32 vcc_lo, s3, v2
	v_mul_lo_u32 v7, v7, s4
	s_delay_alu instid0(VALU_DEP_4) | instskip(NEXT) | instid1(VALU_DEP_4)
	v_mul_lo_u32 v8, v8, s6
	v_mul_lo_u32 v9, v9, s4
	;; [unrolled: 1-line block ×3, first 2 shown]
	v_cndmask_b32_e64 v2, 0, 1, vcc_lo
	v_cmp_lt_u32_e32 vcc_lo, s3, v3
	v_dual_add_nc_u32 v17, s7, v47 :: v_dual_add_nc_u32 v25, s7, v46
	v_mul_lo_u32 v15, v15, s6
	v_add_nc_u32_e32 v14, s5, v46
	v_cndmask_b32_e64 v3, 0, 1, vcc_lo
	s_delay_alu instid0(VALU_DEP_4) | instskip(SKIP_4) | instid1(VALU_DEP_3)
	v_mul_lo_u32 v17, v17, s6
	v_sub_nc_u32_e32 v7, v7, v8
	v_dual_add_nc_u32 v8, s7, v48 :: v_dual_sub_nc_u32 v9, v9, v10
	v_dual_sub_nc_u32 v10, v11, v12 :: v_dual_add_nc_u32 v11, s5, v45
	v_mul_lo_u32 v13, v13, s4
	v_mul_lo_u32 v8, v8, s6
	v_add_nc_u32_e32 v12, s5, v47
	v_cmp_lt_u32_e32 vcc_lo, s3, v7
	v_mul_lo_u32 v11, v11, s4
	v_lshlrev_b16 v3, 8, v3
	v_mul_lo_u32 v14, v14, s4
	v_mul_lo_u32 v12, v12, s4
	v_cndmask_b32_e64 v7, 0, 1, vcc_lo
	v_cmp_lt_u32_e32 vcc_lo, s3, v9
	v_lshrrev_b32_e32 v3, 8, v3
	v_mul_lo_u32 v25, v25, s6
	v_sub_nc_u32_e32 v8, v13, v8
	v_lshlrev_b16 v7, 8, v7
	v_cndmask_b32_e64 v9, 0, 1, vcc_lo
	v_sub_nc_u32_e32 v11, v11, v15
	v_cmp_lt_u32_e32 vcc_lo, s3, v5
	s_delay_alu instid0(VALU_DEP_4)
	v_dual_add_nc_u32 v27, s7, v44 :: v_dual_lshrrev_b32 v7, 8, v7
	v_sub_nc_u32_e32 v12, v12, v17
	v_mul_lo_u32 v13, v16, s4
	v_cndmask_b32_e64 v5, 0, 1, vcc_lo
	v_cmp_lt_u32_e32 vcc_lo, s3, v11
	v_mul_lo_u32 v16, v27, s6
	v_dual_add_nc_u32 v15, s5, v1 :: v_dual_add_nc_u32 v27, s7, v1
	v_lshlrev_b16 v2, 8, v2
	v_cndmask_b32_e64 v11, 0, 1, vcc_lo
	v_cmp_lt_u32_e32 vcc_lo, s3, v12
	s_delay_alu instid0(VALU_DEP_4)
	v_mul_lo_u32 v15, v15, s4
	v_mul_lo_u32 v17, v27, s6
	v_sub_nc_u32_e32 v14, v14, v25
	v_lshlrev_b16 v3, 8, v3
	v_cndmask_b32_e64 v12, 0, 1, vcc_lo
	v_cmp_lt_u32_e32 vcc_lo, s3, v6
	v_dual_sub_nc_u32 v13, v13, v16 :: v_dual_lshrrev_b32 v2, 8, v2
	s_delay_alu instid0(VALU_DEP_4)
	v_or_b32_e32 v3, v5, v3
	v_lshlrev_b16 v5, 8, v11
	v_cndmask_b32_e64 v6, 0, 1, vcc_lo
	v_cmp_lt_u32_e32 vcc_lo, s3, v10
	v_lshlrev_b16 v11, 8, v12
	v_lshlrev_b16 v9, 8, v9
	v_sub_nc_u32_e32 v12, v15, v17
	v_lshlrev_b16 v2, 8, v2
	v_cndmask_b32_e64 v10, 0, 1, vcc_lo
	v_cmp_lt_u32_e32 vcc_lo, s3, v8
	v_lshlrev_b16 v7, 8, v7
	v_dual_lshrrev_b32 v11, 8, v11 :: v_dual_lshrrev_b32 v5, 8, v5
	v_or_b32_e32 v2, v6, v2
	v_cndmask_b32_e64 v8, 0, 1, vcc_lo
	v_cmp_lt_u32_e32 vcc_lo, s3, v14
	s_delay_alu instid0(VALU_DEP_4)
	v_lshlrev_b16 v11, 8, v11
	v_lshlrev_b16 v5, 8, v5
	v_dual_lshlrev_b32 v2, 16, v2 :: v_dual_bitop2_b32 v6, v10, v7 bitop3:0x54
	v_cndmask_b32_e64 v14, 0, 1, vcc_lo
	v_cmp_lt_u32_e32 vcc_lo, s3, v13
	v_or_b32_e32 v7, v8, v9
	v_and_b32_e32 v3, 0xffff, v3
	v_and_b32_e32 v6, 0xffff, v6
	v_cndmask_b32_e64 v13, 0, 1, vcc_lo
	s_delay_alu instid0(VALU_DEP_4) | instskip(SKIP_2) | instid1(VALU_DEP_4)
	v_lshlrev_b32_e32 v7, 16, v7
	v_cmp_lt_u32_e32 vcc_lo, s3, v12
	v_or_b32_e32 v35, v3, v2
	v_or_b32_e32 v5, v13, v5
	;; [unrolled: 1-line block ×3, first 2 shown]
	v_cndmask_b32_e64 v25, 0, 1, vcc_lo
	s_delay_alu instid0(VALU_DEP_3) | instskip(NEXT) | instid1(VALU_DEP_3)
	v_dual_lshlrev_b32 v5, 16, v5 :: v_dual_bitop2_b32 v31, v6, v7 bitop3:0x54
	v_and_b32_e32 v8, 0xffff, v8
	s_delay_alu instid0(VALU_DEP_1)
	v_or_b32_e32 v27, v8, v5
	s_cbranch_execz .LBB382_11
	s_branch .LBB382_38
.LBB382_10:
                                        ; implicit-def: $vgpr25
                                        ; implicit-def: $vgpr27
                                        ; implicit-def: $vgpr31
                                        ; implicit-def: $vgpr35
.LBB382_11:
	v_dual_mov_b32 v3, 0 :: v_dual_mov_b32 v2, 0
	s_mov_b32 s0, exec_lo
	v_cmpx_gt_u32_e64 s22, v23
	s_cbranch_execz .LBB382_13
; %bb.12:
	v_dual_add_nc_u32 v2, s5, v54 :: v_dual_add_nc_u32 v5, s7, v54
	s_delay_alu instid0(VALU_DEP_1) | instskip(NEXT) | instid1(VALU_DEP_2)
	v_mul_lo_u32 v2, v2, s4
	v_mul_lo_u32 v5, v5, s6
	s_delay_alu instid0(VALU_DEP_1) | instskip(NEXT) | instid1(VALU_DEP_1)
	v_sub_nc_u32_e32 v2, v2, v5
	v_cmp_lt_u32_e32 vcc_lo, s3, v2
	v_cndmask_b32_e64 v2, 0, 1, vcc_lo
.LBB382_13:
	s_or_b32 exec_lo, exec_lo, s0
	v_add_nc_u32_e32 v5, 1, v23
	s_mov_b32 s0, exec_lo
	s_delay_alu instid0(VALU_DEP_1)
	v_cmpx_gt_u32_e64 s22, v5
	s_cbranch_execz .LBB382_15
; %bb.14:
	v_dual_add_nc_u32 v3, s5, v55 :: v_dual_add_nc_u32 v5, s7, v55
	s_delay_alu instid0(VALU_DEP_1) | instskip(NEXT) | instid1(VALU_DEP_2)
	v_mul_lo_u32 v3, v3, s4
	v_mul_lo_u32 v5, v5, s6
	s_delay_alu instid0(VALU_DEP_1) | instskip(NEXT) | instid1(VALU_DEP_1)
	v_sub_nc_u32_e32 v3, v3, v5
	v_cmp_lt_u32_e32 vcc_lo, s3, v3
	v_cndmask_b32_e64 v3, 0, 1, vcc_lo
.LBB382_15:
	s_or_b32 exec_lo, exec_lo, s0
	v_dual_mov_b32 v6, 0 :: v_dual_add_nc_u32 v5, 2, v23
	s_delay_alu instid0(VALU_DEP_1)
	v_cmp_gt_u32_e32 vcc_lo, s22, v5
	v_mov_b32_e32 v5, 0
	s_and_saveexec_b32 s0, vcc_lo
	s_cbranch_execz .LBB382_17
; %bb.16:
	v_dual_add_nc_u32 v5, s5, v52 :: v_dual_add_nc_u32 v7, s7, v52
	s_delay_alu instid0(VALU_DEP_1) | instskip(NEXT) | instid1(VALU_DEP_2)
	v_mul_lo_u32 v5, v5, s4
	v_mul_lo_u32 v7, v7, s6
	s_delay_alu instid0(VALU_DEP_1) | instskip(NEXT) | instid1(VALU_DEP_1)
	v_sub_nc_u32_e32 v5, v5, v7
	v_cmp_lt_u32_e32 vcc_lo, s3, v5
	v_cndmask_b32_e64 v5, 0, 1, vcc_lo
.LBB382_17:
	s_or_b32 exec_lo, exec_lo, s0
	v_add_nc_u32_e32 v7, 3, v23
	s_mov_b32 s0, exec_lo
	s_delay_alu instid0(VALU_DEP_1)
	v_cmpx_gt_u32_e64 s22, v7
	s_cbranch_execz .LBB382_19
; %bb.18:
	v_dual_add_nc_u32 v6, s5, v53 :: v_dual_add_nc_u32 v7, s7, v53
	s_delay_alu instid0(VALU_DEP_1) | instskip(NEXT) | instid1(VALU_DEP_2)
	v_mul_lo_u32 v6, v6, s4
	v_mul_lo_u32 v7, v7, s6
	s_delay_alu instid0(VALU_DEP_1) | instskip(NEXT) | instid1(VALU_DEP_1)
	v_sub_nc_u32_e32 v6, v6, v7
	v_cmp_lt_u32_e32 vcc_lo, s3, v6
	v_cndmask_b32_e64 v6, 0, 1, vcc_lo
.LBB382_19:
	s_or_b32 exec_lo, exec_lo, s0
	v_dual_mov_b32 v8, 0 :: v_dual_add_nc_u32 v7, 4, v23
	s_delay_alu instid0(VALU_DEP_1)
	v_cmp_gt_u32_e32 vcc_lo, s22, v7
	v_mov_b32_e32 v7, 0
	s_and_saveexec_b32 s0, vcc_lo
	;; [unrolled: 33-line block ×5, first 2 shown]
	s_cbranch_execz .LBB382_33
; %bb.32:
	v_dual_add_nc_u32 v13, s5, v44 :: v_dual_add_nc_u32 v15, s7, v44
	s_delay_alu instid0(VALU_DEP_1) | instskip(NEXT) | instid1(VALU_DEP_2)
	v_mul_lo_u32 v13, v13, s4
	v_mul_lo_u32 v15, v15, s6
	s_delay_alu instid0(VALU_DEP_1) | instskip(NEXT) | instid1(VALU_DEP_1)
	v_sub_nc_u32_e32 v13, v13, v15
	v_cmp_lt_u32_e32 vcc_lo, s3, v13
	v_cndmask_b32_e64 v13, 0, 1, vcc_lo
.LBB382_33:
	s_or_b32 exec_lo, exec_lo, s0
	v_add_nc_u32_e32 v15, 11, v23
	s_mov_b32 s0, exec_lo
	s_delay_alu instid0(VALU_DEP_1)
	v_cmpx_gt_u32_e64 s22, v15
	s_cbranch_execz .LBB382_35
; %bb.34:
	v_dual_add_nc_u32 v14, s5, v45 :: v_dual_add_nc_u32 v15, s7, v45
	s_delay_alu instid0(VALU_DEP_1) | instskip(NEXT) | instid1(VALU_DEP_2)
	v_mul_lo_u32 v14, v14, s4
	v_mul_lo_u32 v15, v15, s6
	s_delay_alu instid0(VALU_DEP_1) | instskip(NEXT) | instid1(VALU_DEP_1)
	v_sub_nc_u32_e32 v14, v14, v15
	v_cmp_lt_u32_e32 vcc_lo, s3, v14
	v_cndmask_b32_e64 v14, 0, 1, vcc_lo
.LBB382_35:
	s_or_b32 exec_lo, exec_lo, s0
	v_dual_add_nc_u32 v15, 12, v23 :: v_dual_mov_b32 v25, 0
	s_mov_b32 s0, exec_lo
	s_delay_alu instid0(VALU_DEP_1)
	v_cmpx_gt_u32_e64 s22, v15
	s_cbranch_execz .LBB382_37
; %bb.36:
	v_dual_add_nc_u32 v15, s7, v1 :: v_dual_add_nc_u32 v16, s5, v1
	s_delay_alu instid0(VALU_DEP_1) | instskip(NEXT) | instid1(VALU_DEP_2)
	v_mul_lo_u32 v15, v15, s6
	v_mul_lo_u32 v16, v16, s4
	s_delay_alu instid0(VALU_DEP_1) | instskip(NEXT) | instid1(VALU_DEP_1)
	v_sub_nc_u32_e32 v15, v16, v15
	v_cmp_lt_u32_e32 vcc_lo, s3, v15
	v_cndmask_b32_e64 v25, 0, 1, vcc_lo
.LBB382_37:
	s_or_b32 exec_lo, exec_lo, s0
	v_lshlrev_b16 v6, 8, v6
	v_lshlrev_b16 v8, 8, v8
	;; [unrolled: 1-line block ×5, first 2 shown]
	v_or_b32_e32 v5, v5, v6
	v_or_b32_e32 v6, v7, v8
	;; [unrolled: 1-line block ×3, first 2 shown]
	s_delay_alu instid0(VALU_DEP_1) | instskip(NEXT) | instid1(VALU_DEP_4)
	v_dual_lshlrev_b32 v7, 16, v7 :: v_dual_bitop2_b32 v8, v11, v12 bitop3:0x54
	v_dual_lshlrev_b32 v5, 16, v5 :: v_dual_bitop2_b32 v2, v2, v3 bitop3:0x54
	v_lshlrev_b16 v3, 8, v14
	s_delay_alu instid0(VALU_DEP_3) | instskip(NEXT) | instid1(VALU_DEP_3)
	v_and_b32_e32 v8, 0xffff, v8
	v_and_b32_e32 v2, 0xffff, v2
	s_delay_alu instid0(VALU_DEP_3) | instskip(NEXT) | instid1(VALU_DEP_1)
	v_or_b32_e32 v3, v13, v3
	v_dual_lshlrev_b32 v3, 16, v3 :: v_dual_bitop2_b32 v35, v2, v5 bitop3:0x54
	v_and_b32_e32 v6, 0xffff, v6
	s_delay_alu instid0(VALU_DEP_2) | instskip(NEXT) | instid1(VALU_DEP_2)
	v_or_b32_e32 v27, v8, v3
	v_or_b32_e32 v31, v6, v7
.LBB382_38:
	s_delay_alu instid0(VALU_DEP_4) | instskip(SKIP_2) | instid1(VALU_DEP_4)
	v_bfe_u32 v39, v35, 16, 8
	v_bfe_u32 v41, v35, 8, 8
	v_and_b32_e32 v57, 0xff, v35
	v_and_b32_e32 v58, 0xff, v31
	v_mbcnt_lo_u32_b32 v64, -1, 0
	v_lshrrev_b32_e32 v37, 24, v35
	v_bfe_u32 v59, v31, 16, 8
	v_add3_u32 v2, v41, v57, v39
	v_bfe_u32 v60, v31, 8, 8
	v_dual_lshrrev_b32 v33, 24, v31 :: v_dual_bitop2_b32 v5, 15, v64 bitop3:0x40
	v_lshrrev_b32_e32 v65, 5, v0
	s_delay_alu instid0(VALU_DEP_4)
	v_add3_u32 v2, v2, v37, v58
	v_and_b32_e32 v61, 0xff, v27
	v_bfe_u32 v62, v27, 16, 8
	v_bfe_u32 v63, v27, 8, 8
	v_dual_lshrrev_b32 v29, 24, v27 :: v_dual_bitop2_b32 v6, 31, v0 bitop3:0x54
	v_add3_u32 v2, v2, v60, v59
	v_and_b32_e32 v3, 0xff, v25
	v_and_b32_e32 v7, 16, v64
	v_cmp_ne_u32_e32 vcc_lo, 0, v4
	v_cmp_eq_u32_e64 s6, 0, v5
	v_add3_u32 v2, v2, v33, v61
	v_cmp_lt_u32_e64 s5, 1, v5
	v_cmp_lt_u32_e64 s4, 3, v5
	;; [unrolled: 1-line block ×3, first 2 shown]
	v_cmp_eq_u32_e64 s1, 0, v7
	v_add3_u32 v2, v2, v63, v62
	v_cmp_eq_u32_e64 s0, v0, v6
	s_mov_b32 s7, -1
	v_add3_u32 v66, v2, v29, v3
	s_cbranch_vccz .LBB382_60
; %bb.39:
	s_delay_alu instid0(VALU_DEP_1) | instskip(NEXT) | instid1(VALU_DEP_1)
	v_mov_b32_dpp v2, v66 row_shr:1 row_mask:0xf bank_mask:0xf
	v_cndmask_b32_e64 v2, v2, 0, s6
	s_delay_alu instid0(VALU_DEP_1) | instskip(NEXT) | instid1(VALU_DEP_1)
	v_add_nc_u32_e32 v2, v2, v66
	v_mov_b32_dpp v3, v2 row_shr:2 row_mask:0xf bank_mask:0xf
	s_delay_alu instid0(VALU_DEP_1) | instskip(NEXT) | instid1(VALU_DEP_1)
	v_cndmask_b32_e64 v3, 0, v3, s5
	v_add_nc_u32_e32 v2, v2, v3
	s_delay_alu instid0(VALU_DEP_1) | instskip(NEXT) | instid1(VALU_DEP_1)
	v_mov_b32_dpp v3, v2 row_shr:4 row_mask:0xf bank_mask:0xf
	v_cndmask_b32_e64 v3, 0, v3, s4
	s_delay_alu instid0(VALU_DEP_1) | instskip(NEXT) | instid1(VALU_DEP_1)
	v_add_nc_u32_e32 v2, v2, v3
	v_mov_b32_dpp v3, v2 row_shr:8 row_mask:0xf bank_mask:0xf
	s_delay_alu instid0(VALU_DEP_1) | instskip(NEXT) | instid1(VALU_DEP_1)
	v_cndmask_b32_e64 v3, 0, v3, s3
	v_add_nc_u32_e32 v2, v2, v3
	ds_swizzle_b32 v3, v2 offset:swizzle(BROADCAST,32,15)
	s_wait_dscnt 0x0
	v_cndmask_b32_e64 v3, v3, 0, s1
	s_delay_alu instid0(VALU_DEP_1)
	v_add_nc_u32_e32 v2, v2, v3
	s_and_saveexec_b32 s7, s0
; %bb.40:
	v_lshlrev_b32_e32 v3, 2, v65
	ds_store_b32 v3, v2
; %bb.41:
	s_or_b32 exec_lo, exec_lo, s7
	s_delay_alu instid0(SALU_CYCLE_1)
	s_mov_b32 s7, exec_lo
	s_wait_dscnt 0x0
	s_barrier_signal -1
	s_barrier_wait -1
	v_cmpx_gt_u32_e32 8, v0
	s_cbranch_execz .LBB382_43
; %bb.42:
	ds_load_b32 v3, v19
	s_wait_dscnt 0x0
	v_mov_b32_dpp v6, v3 row_shr:1 row_mask:0xf bank_mask:0xf
	v_and_b32_e32 v5, 7, v64
	s_delay_alu instid0(VALU_DEP_1) | instskip(NEXT) | instid1(VALU_DEP_3)
	v_cmp_ne_u32_e32 vcc_lo, 0, v5
	v_cndmask_b32_e32 v6, 0, v6, vcc_lo
	v_cmp_lt_u32_e32 vcc_lo, 1, v5
	s_delay_alu instid0(VALU_DEP_2) | instskip(NEXT) | instid1(VALU_DEP_1)
	v_add_nc_u32_e32 v3, v6, v3
	v_mov_b32_dpp v6, v3 row_shr:2 row_mask:0xf bank_mask:0xf
	s_delay_alu instid0(VALU_DEP_1) | instskip(SKIP_1) | instid1(VALU_DEP_2)
	v_cndmask_b32_e32 v6, 0, v6, vcc_lo
	v_cmp_lt_u32_e32 vcc_lo, 3, v5
	v_add_nc_u32_e32 v3, v3, v6
	s_delay_alu instid0(VALU_DEP_1) | instskip(NEXT) | instid1(VALU_DEP_1)
	v_mov_b32_dpp v6, v3 row_shr:4 row_mask:0xf bank_mask:0xf
	v_cndmask_b32_e32 v5, 0, v6, vcc_lo
	s_delay_alu instid0(VALU_DEP_1)
	v_add_nc_u32_e32 v3, v3, v5
	ds_store_b32 v19, v3
.LBB382_43:
	s_or_b32 exec_lo, exec_lo, s7
	s_delay_alu instid0(SALU_CYCLE_1)
	s_mov_b32 s8, exec_lo
	v_cmp_gt_u32_e32 vcc_lo, 32, v0
	s_wait_dscnt 0x0
	s_barrier_signal -1
	s_barrier_wait -1
                                        ; implicit-def: $vgpr10
	v_cmpx_lt_u32_e32 31, v0
	s_cbranch_execz .LBB382_45
; %bb.44:
	v_lshl_add_u32 v3, v65, 2, -4
	ds_load_b32 v10, v3
	s_wait_dscnt 0x0
	v_add_nc_u32_e32 v2, v10, v2
.LBB382_45:
	s_or_b32 exec_lo, exec_lo, s8
	v_sub_co_u32 v3, s7, v64, 1
	s_delay_alu instid0(VALU_DEP_1) | instskip(NEXT) | instid1(VALU_DEP_1)
	v_cmp_gt_i32_e64 s8, 0, v3
	v_cndmask_b32_e64 v3, v3, v64, s8
	s_delay_alu instid0(VALU_DEP_1)
	v_lshlrev_b32_e32 v3, 2, v3
	ds_bpermute_b32 v11, v3, v2
	s_and_saveexec_b32 s8, vcc_lo
	s_cbranch_execz .LBB382_65
; %bb.46:
	v_dual_mov_b32 v9, 0 :: v_dual_add_nc_u32 v12, 32, v4
	ds_load_b32 v2, v9 offset:28
	s_and_saveexec_b32 s15, s7
	s_cbranch_execz .LBB382_48
; %bb.47:
	v_mov_b32_e32 v3, 1
	s_wait_dscnt 0x0
	global_store_b64 v12, v[2:3], s[20:21] scale_offset scope:SCOPE_DEV
.LBB382_48:
	s_wait_xcnt 0x0
	s_or_b32 exec_lo, exec_lo, s15
	v_xad_u32 v4, v64, -1, v4
	s_mov_b32 s23, 0
	s_mov_b32 s15, exec_lo
	s_delay_alu instid0(VALU_DEP_1) | instskip(SKIP_4) | instid1(VALU_DEP_1)
	v_add_nc_u32_e32 v8, 32, v4
	global_load_b64 v[6:7], v8, s[20:21] scale_offset scope:SCOPE_DEV
	s_wait_loadcnt 0x0
	v_and_b32_e32 v3, 0xff, v7
	s_wait_xcnt 0x0
	v_cmpx_eq_u16_e32 0, v3
	s_cbranch_execz .LBB382_52
; %bb.49:
	v_lshl_add_u64 v[8:9], v[8:9], 3, s[20:21]
.LBB382_50:                             ; =>This Inner Loop Header: Depth=1
	global_load_b64 v[6:7], v[8:9], off scope:SCOPE_DEV
	s_wait_loadcnt 0x0
	v_and_b32_e32 v3, 0xff, v7
	s_delay_alu instid0(VALU_DEP_1)
	v_cmp_ne_u16_e32 vcc_lo, 0, v3
	s_or_b32 s23, vcc_lo, s23
	s_wait_xcnt 0x0
	s_and_not1_b32 exec_lo, exec_lo, s23
	s_cbranch_execnz .LBB382_50
; %bb.51:
	s_or_b32 exec_lo, exec_lo, s23
.LBB382_52:
	s_delay_alu instid0(SALU_CYCLE_1)
	s_or_b32 exec_lo, exec_lo, s15
	v_cmp_ne_u32_e32 vcc_lo, 31, v64
	v_lshlrev_b32_e64 v14, v64, -1
	v_lshl_or_b32 v69, v64, 2, 64
	v_dual_add_nc_u32 v16, 2, v64 :: v_dual_add_nc_u32 v56, 4, v64
	v_add_co_ci_u32_e64 v3, null, 0, v64, vcc_lo
	v_dual_add_nc_u32 v68, 8, v64 :: v_dual_add_nc_u32 v70, 16, v64
	s_delay_alu instid0(VALU_DEP_2)
	v_lshlrev_b32_e32 v13, 2, v3
	v_and_b32_e32 v3, 0xff, v7
	ds_bpermute_b32 v5, v13, v6
	v_cmp_eq_u16_e32 vcc_lo, 2, v3
	v_and_or_b32 v3, vcc_lo, v14, 0x80000000
	v_cmp_gt_u32_e32 vcc_lo, 30, v64
	s_delay_alu instid0(VALU_DEP_2) | instskip(SKIP_1) | instid1(VALU_DEP_2)
	v_ctz_i32_b32_e32 v3, v3
	v_cndmask_b32_e64 v8, 0, 2, vcc_lo
	v_cmp_lt_u32_e32 vcc_lo, v64, v3
	s_delay_alu instid0(VALU_DEP_2) | instskip(SKIP_3) | instid1(VALU_DEP_2)
	v_add_lshl_u32 v15, v8, v64, 2
	s_wait_dscnt 0x0
	v_cndmask_b32_e32 v5, 0, v5, vcc_lo
	v_cmp_gt_u32_e32 vcc_lo, 28, v64
	v_add_nc_u32_e32 v5, v5, v6
	v_cndmask_b32_e64 v8, 0, 4, vcc_lo
	v_cmp_le_u32_e32 vcc_lo, v16, v3
	ds_bpermute_b32 v6, v15, v5
	v_add_lshl_u32 v17, v8, v64, 2
	s_wait_dscnt 0x0
	v_cndmask_b32_e32 v6, 0, v6, vcc_lo
	v_cmp_gt_u32_e32 vcc_lo, 24, v64
	v_cndmask_b32_e64 v8, 0, 8, vcc_lo
	v_cmp_le_u32_e32 vcc_lo, v56, v3
	s_delay_alu instid0(VALU_DEP_4) | instskip(NEXT) | instid1(VALU_DEP_3)
	v_add_nc_u32_e32 v5, v5, v6
	v_add_lshl_u32 v67, v8, v64, 2
	ds_bpermute_b32 v6, v17, v5
	s_wait_dscnt 0x0
	v_cndmask_b32_e32 v6, 0, v6, vcc_lo
	v_cmp_le_u32_e32 vcc_lo, v68, v3
	s_delay_alu instid0(VALU_DEP_2) | instskip(SKIP_4) | instid1(VALU_DEP_2)
	v_add_nc_u32_e32 v5, v5, v6
	ds_bpermute_b32 v6, v67, v5
	s_wait_dscnt 0x0
	v_cndmask_b32_e32 v6, 0, v6, vcc_lo
	v_cmp_le_u32_e32 vcc_lo, v70, v3
	v_add_nc_u32_e32 v5, v5, v6
	ds_bpermute_b32 v6, v69, v5
	s_wait_dscnt 0x0
	v_cndmask_b32_e32 v3, 0, v6, vcc_lo
	s_delay_alu instid0(VALU_DEP_1)
	v_dual_mov_b32 v5, 0 :: v_dual_add_nc_u32 v6, v5, v3
	s_branch .LBB382_56
.LBB382_53:                             ;   in Loop: Header=BB382_56 Depth=1
	s_or_b32 exec_lo, exec_lo, s23
.LBB382_54:                             ;   in Loop: Header=BB382_56 Depth=1
	s_delay_alu instid0(SALU_CYCLE_1)
	s_or_b32 exec_lo, exec_lo, s15
	v_and_b32_e32 v8, 0xff, v7
	ds_bpermute_b32 v9, v13, v6
	v_subrev_nc_u32_e32 v4, 32, v4
	s_mov_b32 s15, 0
	v_cmp_eq_u16_e32 vcc_lo, 2, v8
	v_and_or_b32 v8, vcc_lo, v14, 0x80000000
	s_delay_alu instid0(VALU_DEP_1) | instskip(NEXT) | instid1(VALU_DEP_1)
	v_ctz_i32_b32_e32 v8, v8
	v_cmp_lt_u32_e32 vcc_lo, v64, v8
	s_wait_dscnt 0x0
	v_cndmask_b32_e32 v9, 0, v9, vcc_lo
	v_cmp_le_u32_e32 vcc_lo, v16, v8
	s_delay_alu instid0(VALU_DEP_2) | instskip(SKIP_4) | instid1(VALU_DEP_2)
	v_add_nc_u32_e32 v6, v9, v6
	ds_bpermute_b32 v9, v15, v6
	s_wait_dscnt 0x0
	v_cndmask_b32_e32 v9, 0, v9, vcc_lo
	v_cmp_le_u32_e32 vcc_lo, v56, v8
	v_add_nc_u32_e32 v6, v6, v9
	ds_bpermute_b32 v9, v17, v6
	s_wait_dscnt 0x0
	v_cndmask_b32_e32 v9, 0, v9, vcc_lo
	v_cmp_le_u32_e32 vcc_lo, v68, v8
	s_delay_alu instid0(VALU_DEP_2) | instskip(SKIP_4) | instid1(VALU_DEP_2)
	v_add_nc_u32_e32 v6, v6, v9
	ds_bpermute_b32 v9, v67, v6
	s_wait_dscnt 0x0
	v_cndmask_b32_e32 v9, 0, v9, vcc_lo
	v_cmp_le_u32_e32 vcc_lo, v70, v8
	v_add_nc_u32_e32 v6, v6, v9
	ds_bpermute_b32 v9, v69, v6
	s_wait_dscnt 0x0
	v_cndmask_b32_e32 v8, 0, v9, vcc_lo
	s_delay_alu instid0(VALU_DEP_1)
	v_add3_u32 v6, v8, v3, v6
.LBB382_55:                             ;   in Loop: Header=BB382_56 Depth=1
	s_and_b32 vcc_lo, exec_lo, s15
	s_cbranch_vccnz .LBB382_61
.LBB382_56:                             ; =>This Loop Header: Depth=1
                                        ;     Child Loop BB382_59 Depth 2
	v_and_b32_e32 v3, 0xff, v7
	s_mov_b32 s15, -1
                                        ; implicit-def: $vgpr7
	s_delay_alu instid0(VALU_DEP_1)
	v_cmp_ne_u16_e32 vcc_lo, 2, v3
	v_mov_b32_e32 v3, v6
                                        ; implicit-def: $vgpr6
	s_cmp_lg_u32 vcc_lo, exec_lo
	s_cbranch_scc1 .LBB382_55
; %bb.57:                               ;   in Loop: Header=BB382_56 Depth=1
	global_load_b64 v[6:7], v4, s[20:21] scale_offset scope:SCOPE_DEV
	s_mov_b32 s15, exec_lo
	s_wait_loadcnt 0x0
	v_and_b32_e32 v8, 0xff, v7
	s_wait_xcnt 0x0
	s_delay_alu instid0(VALU_DEP_1)
	v_cmpx_eq_u16_e32 0, v8
	s_cbranch_execz .LBB382_54
; %bb.58:                               ;   in Loop: Header=BB382_56 Depth=1
	v_lshl_add_u64 v[8:9], v[4:5], 3, s[20:21]
	s_mov_b32 s23, 0
.LBB382_59:                             ;   Parent Loop BB382_56 Depth=1
                                        ; =>  This Inner Loop Header: Depth=2
	global_load_b64 v[6:7], v[8:9], off scope:SCOPE_DEV
	s_wait_loadcnt 0x0
	v_and_b32_e32 v71, 0xff, v7
	s_delay_alu instid0(VALU_DEP_1)
	v_cmp_ne_u16_e32 vcc_lo, 0, v71
	s_or_b32 s23, vcc_lo, s23
	s_wait_xcnt 0x0
	s_and_not1_b32 exec_lo, exec_lo, s23
	s_cbranch_execnz .LBB382_59
	s_branch .LBB382_53
.LBB382_60:
                                        ; implicit-def: $vgpr2_vgpr3_vgpr4_vgpr5_vgpr6_vgpr7_vgpr8_vgpr9_vgpr10_vgpr11_vgpr12_vgpr13_vgpr14_vgpr15_vgpr16_vgpr17
                                        ; implicit-def: $vgpr56
                                        ; implicit-def: $vgpr16
	s_and_b32 vcc_lo, exec_lo, s7
	s_cbranch_vccnz .LBB382_66
	s_branch .LBB382_75
.LBB382_61:
	s_and_saveexec_b32 s15, s7
	s_cbranch_execz .LBB382_63
; %bb.62:
	v_dual_mov_b32 v5, 2 :: v_dual_add_nc_u32 v4, v3, v2
	v_mov_b32_e32 v6, 0
	global_store_b64 v12, v[4:5], s[20:21] scale_offset scope:SCOPE_DEV
	ds_store_b64 v6, v[2:3] offset:13312
.LBB382_63:
	s_wait_xcnt 0x0
	s_or_b32 exec_lo, exec_lo, s15
	s_delay_alu instid0(SALU_CYCLE_1)
	s_and_b32 exec_lo, exec_lo, s2
; %bb.64:
	v_mov_b32_e32 v2, 0
	ds_store_b32 v2, v3 offset:28
.LBB382_65:
	s_or_b32 exec_lo, exec_lo, s8
	s_wait_dscnt 0x0
	v_dual_mov_b32 v12, 0 :: v_dual_cndmask_b32 v3, v11, v10, s7
	s_wait_storecnt 0x0
	s_barrier_signal -1
	s_barrier_wait -1
	ds_load_b32 v2, v12 offset:28
	v_cndmask_b32_e64 v3, v3, 0, s2
	s_wait_dscnt 0x0
	s_barrier_signal -1
	s_barrier_wait -1
	ds_load_b64 v[16:17], v12 offset:13312
	v_add_nc_u32_e32 v2, v2, v3
	s_wait_dscnt 0x0
	s_delay_alu instid0(VALU_DEP_1) | instskip(NEXT) | instid1(VALU_DEP_1)
	v_dual_mov_b32 v56, v17 :: v_dual_add_nc_u32 v3, v2, v57
	v_add_nc_u32_e32 v4, v3, v41
	s_delay_alu instid0(VALU_DEP_1) | instskip(NEXT) | instid1(VALU_DEP_1)
	v_add_nc_u32_e32 v5, v4, v39
	v_add_nc_u32_e32 v6, v5, v37
	s_delay_alu instid0(VALU_DEP_1) | instskip(NEXT) | instid1(VALU_DEP_1)
	v_add_nc_u32_e32 v7, v6, v58
	;; [unrolled: 3-line block ×5, first 2 shown]
	v_add_nc_u32_e32 v14, v13, v29
	s_branch .LBB382_75
.LBB382_66:
	v_mov_b32_dpp v2, v66 row_shr:1 row_mask:0xf bank_mask:0xf
	s_delay_alu instid0(VALU_DEP_1) | instskip(NEXT) | instid1(VALU_DEP_1)
	v_cndmask_b32_e64 v2, v2, 0, s6
	v_add_nc_u32_e32 v2, v2, v66
	s_delay_alu instid0(VALU_DEP_1) | instskip(NEXT) | instid1(VALU_DEP_1)
	v_mov_b32_dpp v3, v2 row_shr:2 row_mask:0xf bank_mask:0xf
	v_cndmask_b32_e64 v3, 0, v3, s5
	s_delay_alu instid0(VALU_DEP_1) | instskip(NEXT) | instid1(VALU_DEP_1)
	v_add_nc_u32_e32 v2, v2, v3
	v_mov_b32_dpp v3, v2 row_shr:4 row_mask:0xf bank_mask:0xf
	s_delay_alu instid0(VALU_DEP_1) | instskip(NEXT) | instid1(VALU_DEP_1)
	v_cndmask_b32_e64 v3, 0, v3, s4
	v_add_nc_u32_e32 v2, v2, v3
	s_delay_alu instid0(VALU_DEP_1) | instskip(NEXT) | instid1(VALU_DEP_1)
	v_mov_b32_dpp v3, v2 row_shr:8 row_mask:0xf bank_mask:0xf
	v_cndmask_b32_e64 v3, 0, v3, s3
	s_delay_alu instid0(VALU_DEP_1) | instskip(SKIP_3) | instid1(VALU_DEP_1)
	v_add_nc_u32_e32 v2, v2, v3
	ds_swizzle_b32 v3, v2 offset:swizzle(BROADCAST,32,15)
	s_wait_dscnt 0x0
	v_cndmask_b32_e64 v3, v3, 0, s1
	v_add_nc_u32_e32 v2, v2, v3
	s_and_saveexec_b32 s1, s0
; %bb.67:
	v_lshlrev_b32_e32 v3, 2, v65
	ds_store_b32 v3, v2
; %bb.68:
	s_or_b32 exec_lo, exec_lo, s1
	s_delay_alu instid0(SALU_CYCLE_1)
	s_mov_b32 s0, exec_lo
	s_wait_dscnt 0x0
	s_barrier_signal -1
	s_barrier_wait -1
	v_cmpx_gt_u32_e32 8, v0
	s_cbranch_execz .LBB382_70
; %bb.69:
	ds_load_b32 v3, v19
	s_wait_dscnt 0x0
	v_mov_b32_dpp v5, v3 row_shr:1 row_mask:0xf bank_mask:0xf
	v_and_b32_e32 v4, 7, v64
	s_delay_alu instid0(VALU_DEP_1) | instskip(NEXT) | instid1(VALU_DEP_3)
	v_cmp_ne_u32_e32 vcc_lo, 0, v4
	v_cndmask_b32_e32 v5, 0, v5, vcc_lo
	v_cmp_lt_u32_e32 vcc_lo, 1, v4
	s_delay_alu instid0(VALU_DEP_2) | instskip(NEXT) | instid1(VALU_DEP_1)
	v_add_nc_u32_e32 v3, v5, v3
	v_mov_b32_dpp v5, v3 row_shr:2 row_mask:0xf bank_mask:0xf
	s_delay_alu instid0(VALU_DEP_1) | instskip(SKIP_1) | instid1(VALU_DEP_2)
	v_cndmask_b32_e32 v5, 0, v5, vcc_lo
	v_cmp_lt_u32_e32 vcc_lo, 3, v4
	v_add_nc_u32_e32 v3, v3, v5
	s_delay_alu instid0(VALU_DEP_1) | instskip(NEXT) | instid1(VALU_DEP_1)
	v_mov_b32_dpp v5, v3 row_shr:4 row_mask:0xf bank_mask:0xf
	v_cndmask_b32_e32 v4, 0, v5, vcc_lo
	s_delay_alu instid0(VALU_DEP_1)
	v_add_nc_u32_e32 v3, v3, v4
	ds_store_b32 v19, v3
.LBB382_70:
	s_or_b32 exec_lo, exec_lo, s0
	v_dual_mov_b32 v4, 0 :: v_dual_mov_b32 v3, 0
	s_mov_b32 s0, exec_lo
	s_wait_dscnt 0x0
	s_barrier_signal -1
	s_barrier_wait -1
	v_cmpx_lt_u32_e32 31, v0
; %bb.71:
	v_lshl_add_u32 v3, v65, 2, -4
	ds_load_b32 v3, v3
; %bb.72:
	s_or_b32 exec_lo, exec_lo, s0
	v_sub_co_u32 v5, vcc_lo, v64, 1
	ds_load_b32 v16, v4 offset:28
	s_wait_dscnt 0x1
	v_add_nc_u32_e32 v2, v3, v2
	v_cmp_gt_i32_e64 s0, 0, v5
	s_delay_alu instid0(VALU_DEP_1) | instskip(NEXT) | instid1(VALU_DEP_1)
	v_cndmask_b32_e64 v5, v5, v64, s0
	v_lshlrev_b32_e32 v5, 2, v5
	ds_bpermute_b32 v2, v5, v2
	s_and_saveexec_b32 s0, s2
	s_cbranch_execz .LBB382_74
; %bb.73:
	v_dual_mov_b32 v4, 0 :: v_dual_mov_b32 v17, 2
	s_wait_dscnt 0x1
	global_store_b64 v4, v[16:17], s[20:21] offset:256 scope:SCOPE_DEV
.LBB382_74:
	s_wait_xcnt 0x0
	s_or_b32 exec_lo, exec_lo, s0
	s_wait_dscnt 0x0
	v_cndmask_b32_e32 v2, v2, v3, vcc_lo
	s_wait_storecnt 0x0
	s_barrier_signal -1
	s_barrier_wait -1
	s_delay_alu instid0(VALU_DEP_1) | instskip(NEXT) | instid1(VALU_DEP_1)
	v_cndmask_b32_e64 v2, v2, 0, s2
	v_dual_mov_b32 v56, 0 :: v_dual_add_nc_u32 v3, v2, v57
	s_delay_alu instid0(VALU_DEP_1) | instskip(NEXT) | instid1(VALU_DEP_1)
	v_add_nc_u32_e32 v4, v3, v41
	v_add_nc_u32_e32 v5, v4, v39
	s_delay_alu instid0(VALU_DEP_1) | instskip(NEXT) | instid1(VALU_DEP_1)
	v_add_nc_u32_e32 v6, v5, v37
	v_add_nc_u32_e32 v7, v6, v58
	;; [unrolled: 3-line block ×5, first 2 shown]
	s_delay_alu instid0(VALU_DEP_1)
	v_add_nc_u32_e32 v14, v13, v29
.LBB382_75:
	v_dual_lshrrev_b32 v57, 16, v35 :: v_dual_lshrrev_b32 v58, 8, v35
	v_dual_add_nc_u32 v23, v16, v23 :: v_dual_sub_nc_u32 v3, v3, v56
	v_dual_sub_nc_u32 v2, v2, v56 :: v_dual_bitop2_b32 v35, 1, v35 bitop3:0x40
	s_delay_alu instid0(VALU_DEP_3) | instskip(NEXT) | instid1(VALU_DEP_3)
	v_dual_sub_nc_u32 v4, v4, v56 :: v_dual_bitop2_b32 v58, 1, v58 bitop3:0x40
	v_dual_sub_nc_u32 v59, v23, v3 :: v_dual_bitop2_b32 v57, 1, v57 bitop3:0x40
	s_delay_alu instid0(VALU_DEP_3) | instskip(NEXT) | instid1(VALU_DEP_4)
	v_dual_sub_nc_u32 v60, v23, v2 :: v_dual_sub_nc_u32 v5, v5, v56
	v_cmp_eq_u32_e32 vcc_lo, 1, v35
	s_delay_alu instid0(VALU_DEP_3) | instskip(SKIP_1) | instid1(VALU_DEP_4)
	v_dual_sub_nc_u32 v61, v23, v4 :: v_dual_add_nc_u32 v59, 1, v59
	v_dual_lshrrev_b32 v41, 8, v31 :: v_dual_lshrrev_b32 v39, 16, v31
	v_cndmask_b32_e32 v2, v60, v2, vcc_lo
	v_cmp_eq_u32_e32 vcc_lo, 1, v58
	v_dual_lshrrev_b32 v15, 16, v27 :: v_dual_lshrrev_b32 v17, 8, v27
	v_cndmask_b32_e32 v3, v59, v3, vcc_lo
	s_delay_alu instid0(VALU_DEP_4)
	v_dual_sub_nc_u32 v35, v23, v5 :: v_dual_lshlrev_b32 v2, 2, v2
	v_and_b32_e32 v37, 1, v37
	v_add_nc_u32_e32 v58, 2, v61
	v_cmp_eq_u32_e32 vcc_lo, 1, v57
	v_lshlrev_b32_e32 v3, 2, v3
	v_add_nc_u32_e32 v35, 3, v35
	ds_store_b32 v2, v54
	ds_store_b32 v3, v55
	v_cndmask_b32_e32 v4, v58, v4, vcc_lo
	v_cmp_eq_u32_e32 vcc_lo, 1, v37
	v_dual_cndmask_b32 v5, v35, v5 :: v_dual_sub_nc_u32 v6, v6, v56
	s_delay_alu instid0(VALU_DEP_1) | instskip(NEXT) | instid1(VALU_DEP_2)
	v_dual_lshlrev_b32 v3, 2, v4 :: v_dual_lshlrev_b32 v4, 2, v5
	v_sub_nc_u32_e32 v2, v23, v6
	v_dual_sub_nc_u32 v5, v7, v56 :: v_dual_bitop2_b32 v7, 1, v31 bitop3:0x40
	s_delay_alu instid0(VALU_DEP_2)
	v_add_nc_u32_e32 v2, 4, v2
	ds_store_b32 v3, v52
	ds_store_b32 v4, v53
	v_cmp_eq_u32_e32 vcc_lo, 1, v7
	v_dual_sub_nc_u32 v4, v8, v56 :: v_dual_cndmask_b32 v2, v2, v6, vcc_lo
	v_sub_nc_u32_e32 v3, v23, v5
	v_dual_sub_nc_u32 v7, v9, v56 :: v_dual_bitop2_b32 v6, 1, v41 bitop3:0x40
	s_delay_alu instid0(VALU_DEP_2) | instskip(NEXT) | instid1(VALU_DEP_2)
	v_dual_lshlrev_b32 v2, 2, v2 :: v_dual_add_nc_u32 v3, 5, v3
	v_cmp_eq_u32_e32 vcc_lo, 1, v6
	v_dual_sub_nc_u32 v8, v23, v4 :: v_dual_bitop2_b32 v6, 1, v39 bitop3:0x40
	ds_store_b32 v2, v50
	v_and_b32_e32 v2, 1, v33
	v_cndmask_b32_e32 v3, v3, v5, vcc_lo
	v_dual_sub_nc_u32 v5, v23, v7 :: v_dual_add_nc_u32 v8, 6, v8
	v_cmp_eq_u32_e32 vcc_lo, 1, v6
	s_delay_alu instid0(VALU_DEP_3) | instskip(NEXT) | instid1(VALU_DEP_3)
	v_dual_sub_nc_u32 v6, v11, v56 :: v_dual_lshlrev_b32 v3, 2, v3
	v_dual_cndmask_b32 v4, v8, v4 :: v_dual_add_nc_u32 v5, 7, v5
	v_cmp_eq_u32_e32 vcc_lo, 1, v2
	ds_store_b32 v3, v51
	v_dual_sub_nc_u32 v3, v23, v6 :: v_dual_sub_nc_u32 v8, v14, v56
	v_dual_lshlrev_b32 v4, 2, v4 :: v_dual_cndmask_b32 v2, v5, v7, vcc_lo
	v_dual_sub_nc_u32 v5, v10, v56 :: v_dual_bitop2_b32 v7, 1, v17 bitop3:0x40
	s_delay_alu instid0(VALU_DEP_3)
	v_add_nc_u32_e32 v3, 9, v3
	ds_store_b32 v4, v48
	v_dual_lshlrev_b32 v2, 2, v2 :: v_dual_sub_nc_u32 v4, v23, v5
	v_cmp_eq_u32_e32 vcc_lo, 1, v7
	v_sub_nc_u32_e32 v7, v12, v56
	v_sub_nc_u32_e32 v9, v23, v8
	ds_store_b32 v2, v49
	v_dual_add_nc_u32 v4, 8, v4 :: v_dual_bitop2_b32 v2, 1, v27 bitop3:0x40
	v_dual_cndmask_b32 v3, v3, v6 :: v_dual_sub_nc_u32 v6, v13, v56
	s_delay_alu instid0(VALU_DEP_2) | instskip(NEXT) | instid1(VALU_DEP_2)
	v_cmp_eq_u32_e32 vcc_lo, 1, v2
	v_dual_cndmask_b32 v2, v4, v5, vcc_lo :: v_dual_sub_nc_u32 v4, v23, v6
	v_and_b32_e32 v10, 1, v15
	v_dual_sub_nc_u32 v5, v23, v7 :: v_dual_bitop2_b32 v12, 1, v25 bitop3:0x40
	s_delay_alu instid0(VALU_DEP_3) | instskip(SKIP_1) | instid1(VALU_DEP_1)
	v_dual_lshlrev_b32 v2, 2, v2 :: v_dual_add_nc_u32 v4, 11, v4
	v_and_b32_e32 v11, 1, v29
	v_cmp_eq_u32_e32 vcc_lo, 1, v11
	s_delay_alu instid0(VALU_DEP_3) | instskip(SKIP_3) | instid1(VALU_DEP_1)
	v_cndmask_b32_e32 v4, v4, v6, vcc_lo
	v_cmp_eq_u32_e32 vcc_lo, 1, v10
	v_add_nc_u32_e32 v9, 12, v9
	v_add_nc_u32_e32 v5, 10, v5
	v_cndmask_b32_e32 v5, v5, v7, vcc_lo
	v_cmp_eq_u32_e32 vcc_lo, 1, v12
	s_delay_alu instid0(VALU_DEP_2) | instskip(SKIP_3) | instid1(VALU_DEP_3)
	v_dual_lshlrev_b32 v3, 2, v3 :: v_dual_lshlrev_b32 v5, 2, v5
	v_cndmask_b32_e32 v6, v9, v8, vcc_lo
	v_lshlrev_b32_e32 v4, 2, v4
	v_cmp_ne_u32_e32 vcc_lo, 1, v21
	v_lshlrev_b32_e32 v6, 2, v6
	ds_store_b32 v2, v46
	ds_store_b32 v3, v47
	;; [unrolled: 1-line block ×5, first 2 shown]
	s_wait_dscnt 0x0
	s_barrier_signal -1
	s_barrier_wait -1
	ds_load_2addr_stride64_b32 v[14:15], v19 offset1:4
	ds_load_2addr_stride64_b32 v[12:13], v19 offset0:8 offset1:12
	ds_load_2addr_stride64_b32 v[10:11], v19 offset0:16 offset1:20
	ds_load_2addr_stride64_b32 v[8:9], v19 offset0:24 offset1:28
	ds_load_2addr_stride64_b32 v[6:7], v19 offset0:32 offset1:36
	ds_load_2addr_stride64_b32 v[4:5], v19 offset0:40 offset1:44
	ds_load_b32 v46, v19 offset:12288
	v_mov_b32_e32 v1, 0
	s_and_b32 vcc_lo, exec_lo, vcc_lo
	s_delay_alu instid0(VALU_DEP_1) | instskip(SKIP_2) | instid1(VALU_DEP_3)
	v_dual_mov_b32 v29, v1 :: v_dual_mov_b32 v57, v1
	v_dual_mov_b32 v41, v1 :: v_dual_mov_b32 v39, v1
	;; [unrolled: 1-line block ×3, first 2 shown]
	v_add_nc_u64_e32 v[2:3], v[42:43], v[56:57]
	v_dual_mov_b32 v33, v1 :: v_dual_mov_b32 v31, v1
	v_dual_mov_b32 v27, v1 :: v_dual_mov_b32 v25, v1
	;; [unrolled: 1-line block ×3, first 2 shown]
	v_mov_b32_e32 v19, v1
	s_cbranch_vccnz .LBB382_132
; %bb.76:
	v_mov_b32_e32 v17, v1
	s_mov_b32 s15, 0
	v_sub_nc_u64_e64 v[42:43], v[2:3], s[16:17]
	s_sub_nc_u64 s[0:1], s[18:19], s[14:15]
	s_delay_alu instid0(VALU_DEP_2) | instid1(SALU_CYCLE_1)
	v_add_nc_u64_e32 v[44:45], s[0:1], v[16:17]
	s_mov_b32 s0, exec_lo
	s_delay_alu instid0(VALU_DEP_1)
	v_add_nc_u64_e32 v[42:43], v[44:45], v[42:43]
                                        ; implicit-def: $vgpr44_vgpr45
	v_cmpx_ge_u32_e64 v0, v16
	s_xor_b32 s0, exec_lo, s0
; %bb.77:
	v_not_b32_e32 v44, v0
	s_delay_alu instid0(VALU_DEP_1) | instskip(NEXT) | instid1(VALU_DEP_1)
	v_ashrrev_i32_e32 v45, 31, v44
	v_add_nc_u64_e32 v[44:45], v[42:43], v[44:45]
; %bb.78:
	s_and_not1_saveexec_b32 s0, s0
; %bb.79:
	v_add_nc_u64_e32 v[44:45], v[2:3], v[0:1]
; %bb.80:
	s_or_b32 exec_lo, exec_lo, s0
	s_delay_alu instid0(VALU_DEP_1)
	v_lshl_add_u64 v[44:45], v[44:45], 2, s[10:11]
	s_mov_b32 s0, exec_lo
	s_wait_dscnt 0x6
	global_store_b32 v[44:45], v14, off
                                        ; implicit-def: $vgpr44_vgpr45
	s_wait_xcnt 0x0
	v_cmpx_ge_u32_e64 v40, v16
	s_xor_b32 s0, exec_lo, s0
; %bb.81:
	v_xor_b32_e32 v44, 0xfffffeff, v0
	s_delay_alu instid0(VALU_DEP_1) | instskip(NEXT) | instid1(VALU_DEP_1)
	v_ashrrev_i32_e32 v45, 31, v44
	v_add_nc_u64_e32 v[44:45], v[42:43], v[44:45]
; %bb.82:
	s_and_not1_saveexec_b32 s0, s0
; %bb.83:
	v_add_nc_u64_e32 v[44:45], v[2:3], v[40:41]
; %bb.84:
	s_or_b32 exec_lo, exec_lo, s0
	s_delay_alu instid0(VALU_DEP_1)
	v_lshl_add_u64 v[44:45], v[44:45], 2, s[10:11]
	s_mov_b32 s0, exec_lo
	global_store_b32 v[44:45], v15, off
                                        ; implicit-def: $vgpr44_vgpr45
	s_wait_xcnt 0x0
	v_cmpx_ge_u32_e64 v38, v16
	s_xor_b32 s0, exec_lo, s0
; %bb.85:
	v_xor_b32_e32 v44, 0xfffffdff, v0
	s_delay_alu instid0(VALU_DEP_1) | instskip(NEXT) | instid1(VALU_DEP_1)
	v_ashrrev_i32_e32 v45, 31, v44
	v_add_nc_u64_e32 v[44:45], v[42:43], v[44:45]
; %bb.86:
	s_and_not1_saveexec_b32 s0, s0
; %bb.87:
	v_add_nc_u64_e32 v[44:45], v[2:3], v[38:39]
; %bb.88:
	s_or_b32 exec_lo, exec_lo, s0
	s_delay_alu instid0(VALU_DEP_1)
	v_lshl_add_u64 v[44:45], v[44:45], 2, s[10:11]
	s_mov_b32 s0, exec_lo
	s_wait_dscnt 0x5
	global_store_b32 v[44:45], v12, off
                                        ; implicit-def: $vgpr44_vgpr45
	s_wait_xcnt 0x0
	v_cmpx_ge_u32_e64 v36, v16
	s_xor_b32 s0, exec_lo, s0
; %bb.89:
	v_xor_b32_e32 v44, 0xfffffcff, v0
	s_delay_alu instid0(VALU_DEP_1) | instskip(NEXT) | instid1(VALU_DEP_1)
	v_ashrrev_i32_e32 v45, 31, v44
	v_add_nc_u64_e32 v[44:45], v[42:43], v[44:45]
; %bb.90:
	s_and_not1_saveexec_b32 s0, s0
; %bb.91:
	v_add_nc_u64_e32 v[44:45], v[2:3], v[36:37]
; %bb.92:
	s_or_b32 exec_lo, exec_lo, s0
	s_delay_alu instid0(VALU_DEP_1)
	v_lshl_add_u64 v[44:45], v[44:45], 2, s[10:11]
	s_mov_b32 s0, exec_lo
	global_store_b32 v[44:45], v13, off
                                        ; implicit-def: $vgpr44_vgpr45
	s_wait_xcnt 0x0
	v_cmpx_ge_u32_e64 v34, v16
	s_xor_b32 s0, exec_lo, s0
; %bb.93:
	v_xor_b32_e32 v44, 0xfffffbff, v0
	;; [unrolled: 39-line block ×6, first 2 shown]
	s_delay_alu instid0(VALU_DEP_1) | instskip(NEXT) | instid1(VALU_DEP_1)
	v_ashrrev_i32_e32 v45, 31, v44
	v_add_nc_u64_e32 v[44:45], v[42:43], v[44:45]
; %bb.126:
	s_and_not1_saveexec_b32 s0, s0
; %bb.127:
	v_add_nc_u64_e32 v[44:45], v[2:3], v[18:19]
; %bb.128:
	s_or_b32 exec_lo, exec_lo, s0
	s_mov_b32 s0, -1
.LBB382_129:
	s_delay_alu instid0(SALU_CYCLE_1)
	s_and_saveexec_b32 s1, s0
	s_cbranch_execz .LBB382_212
.LBB382_130:
	s_delay_alu instid0(VALU_DEP_1)
	v_lshl_add_u64 v[0:1], v[44:45], 2, s[10:11]
	s_wait_dscnt 0x0
	global_store_b32 v[0:1], v46, off
	s_wait_xcnt 0x0
	s_or_b32 exec_lo, exec_lo, s1
	s_and_b32 s0, s2, s9
	s_delay_alu instid0(SALU_CYCLE_1)
	s_and_saveexec_b32 s1, s0
	s_cbranch_execnz .LBB382_213
.LBB382_131:
	s_sendmsg sendmsg(MSG_DEALLOC_VGPRS)
	s_endpgm
.LBB382_132:
	s_mov_b32 s0, 0
                                        ; implicit-def: $vgpr44_vgpr45
	s_cbranch_execz .LBB382_129
; %bb.133:
	s_mov_b32 s15, 0
	v_mov_b32_e32 v17, 0
	s_add_nc_u64 s[4:5], s[16:17], s[14:15]
	s_mov_b32 s1, exec_lo
	s_sub_nc_u64 s[4:5], s[18:19], s[4:5]
	s_delay_alu instid0(VALU_DEP_1) | instid1(SALU_CYCLE_1)
	v_add_nc_u64_e32 v[42:43], s[4:5], v[16:17]
	s_delay_alu instid0(VALU_DEP_1)
	v_add_nc_u64_e32 v[42:43], v[42:43], v[2:3]
	v_cmpx_gt_u32_e64 s22, v0
	s_cbranch_execz .LBB382_169
; %bb.134:
	s_mov_b32 s3, exec_lo
                                        ; implicit-def: $vgpr44_vgpr45
	v_cmpx_ge_u32_e64 v0, v16
	s_xor_b32 s3, exec_lo, s3
; %bb.135:
	v_not_b32_e32 v44, v0
	s_delay_alu instid0(VALU_DEP_1) | instskip(NEXT) | instid1(VALU_DEP_1)
	v_ashrrev_i32_e32 v45, 31, v44
	v_add_nc_u64_e32 v[44:45], v[42:43], v[44:45]
; %bb.136:
	s_and_not1_saveexec_b32 s3, s3
; %bb.137:
	v_add_nc_u64_e32 v[44:45], v[2:3], v[0:1]
; %bb.138:
	s_or_b32 exec_lo, exec_lo, s3
	s_delay_alu instid0(VALU_DEP_1) | instskip(SKIP_4) | instid1(SALU_CYCLE_1)
	v_lshl_add_u64 v[44:45], v[44:45], 2, s[10:11]
	s_wait_dscnt 0x6
	global_store_b32 v[44:45], v14, off
	s_wait_xcnt 0x0
	s_or_b32 exec_lo, exec_lo, s1
	s_mov_b32 s1, exec_lo
	v_cmpx_gt_u32_e64 s22, v40
	s_cbranch_execnz .LBB382_170
.LBB382_139:
	s_or_b32 exec_lo, exec_lo, s1
	s_delay_alu instid0(SALU_CYCLE_1)
	s_mov_b32 s1, exec_lo
	v_cmpx_gt_u32_e64 s22, v38
	s_cbranch_execz .LBB382_175
.LBB382_140:
	s_mov_b32 s3, exec_lo
                                        ; implicit-def: $vgpr14_vgpr15
	v_cmpx_ge_u32_e64 v38, v16
	s_xor_b32 s3, exec_lo, s3
	s_cbranch_execz .LBB382_142
; %bb.141:
	s_wait_dscnt 0x6
	v_xor_b32_e32 v14, 0xfffffdff, v0
                                        ; implicit-def: $vgpr38_vgpr39
	s_delay_alu instid0(VALU_DEP_1) | instskip(NEXT) | instid1(VALU_DEP_1)
	v_ashrrev_i32_e32 v15, 31, v14
	v_add_nc_u64_e32 v[14:15], v[42:43], v[14:15]
.LBB382_142:
	s_and_not1_saveexec_b32 s3, s3
	s_cbranch_execz .LBB382_144
; %bb.143:
	s_wait_dscnt 0x6
	v_add_nc_u64_e32 v[14:15], v[2:3], v[38:39]
.LBB382_144:
	s_or_b32 exec_lo, exec_lo, s3
	s_wait_dscnt 0x6
	s_delay_alu instid0(VALU_DEP_1) | instskip(SKIP_4) | instid1(SALU_CYCLE_1)
	v_lshl_add_u64 v[14:15], v[14:15], 2, s[10:11]
	s_wait_dscnt 0x5
	global_store_b32 v[14:15], v12, off
	s_wait_xcnt 0x0
	s_or_b32 exec_lo, exec_lo, s1
	s_mov_b32 s1, exec_lo
	v_cmpx_gt_u32_e64 s22, v36
	s_cbranch_execnz .LBB382_176
.LBB382_145:
	s_or_b32 exec_lo, exec_lo, s1
	s_delay_alu instid0(SALU_CYCLE_1)
	s_mov_b32 s1, exec_lo
	v_cmpx_gt_u32_e64 s22, v34
	s_cbranch_execz .LBB382_181
.LBB382_146:
	s_mov_b32 s3, exec_lo
                                        ; implicit-def: $vgpr12_vgpr13
	v_cmpx_ge_u32_e64 v34, v16
	s_xor_b32 s3, exec_lo, s3
	s_cbranch_execz .LBB382_148
; %bb.147:
	s_wait_dscnt 0x5
	v_xor_b32_e32 v12, 0xfffffbff, v0
                                        ; implicit-def: $vgpr34_vgpr35
	s_delay_alu instid0(VALU_DEP_1) | instskip(NEXT) | instid1(VALU_DEP_1)
	v_ashrrev_i32_e32 v13, 31, v12
	v_add_nc_u64_e32 v[12:13], v[42:43], v[12:13]
.LBB382_148:
	s_and_not1_saveexec_b32 s3, s3
	s_cbranch_execz .LBB382_150
; %bb.149:
	s_wait_dscnt 0x5
	v_add_nc_u64_e32 v[12:13], v[2:3], v[34:35]
.LBB382_150:
	s_or_b32 exec_lo, exec_lo, s3
	s_wait_dscnt 0x5
	s_delay_alu instid0(VALU_DEP_1) | instskip(SKIP_4) | instid1(SALU_CYCLE_1)
	v_lshl_add_u64 v[12:13], v[12:13], 2, s[10:11]
	s_wait_dscnt 0x4
	global_store_b32 v[12:13], v10, off
	s_wait_xcnt 0x0
	s_or_b32 exec_lo, exec_lo, s1
	s_mov_b32 s1, exec_lo
	v_cmpx_gt_u32_e64 s22, v32
	s_cbranch_execnz .LBB382_182
.LBB382_151:
	s_or_b32 exec_lo, exec_lo, s1
	s_delay_alu instid0(SALU_CYCLE_1)
	s_mov_b32 s1, exec_lo
	v_cmpx_gt_u32_e64 s22, v30
	s_cbranch_execz .LBB382_187
.LBB382_152:
	s_mov_b32 s3, exec_lo
                                        ; implicit-def: $vgpr10_vgpr11
	v_cmpx_ge_u32_e64 v30, v16
	s_xor_b32 s3, exec_lo, s3
	s_cbranch_execz .LBB382_154
; %bb.153:
	s_wait_dscnt 0x4
	v_xor_b32_e32 v10, 0xfffff9ff, v0
                                        ; implicit-def: $vgpr30_vgpr31
	s_delay_alu instid0(VALU_DEP_1) | instskip(NEXT) | instid1(VALU_DEP_1)
	v_ashrrev_i32_e32 v11, 31, v10
	v_add_nc_u64_e32 v[10:11], v[42:43], v[10:11]
.LBB382_154:
	s_and_not1_saveexec_b32 s3, s3
	s_cbranch_execz .LBB382_156
; %bb.155:
	s_wait_dscnt 0x4
	v_add_nc_u64_e32 v[10:11], v[2:3], v[30:31]
.LBB382_156:
	s_or_b32 exec_lo, exec_lo, s3
	s_wait_dscnt 0x4
	s_delay_alu instid0(VALU_DEP_1) | instskip(SKIP_4) | instid1(SALU_CYCLE_1)
	v_lshl_add_u64 v[10:11], v[10:11], 2, s[10:11]
	s_wait_dscnt 0x3
	global_store_b32 v[10:11], v8, off
	s_wait_xcnt 0x0
	s_or_b32 exec_lo, exec_lo, s1
	s_mov_b32 s1, exec_lo
	v_cmpx_gt_u32_e64 s22, v28
	s_cbranch_execnz .LBB382_188
.LBB382_157:
	s_or_b32 exec_lo, exec_lo, s1
	s_delay_alu instid0(SALU_CYCLE_1)
	s_mov_b32 s1, exec_lo
	v_cmpx_gt_u32_e64 s22, v26
	s_cbranch_execz .LBB382_193
.LBB382_158:
	s_mov_b32 s3, exec_lo
                                        ; implicit-def: $vgpr8_vgpr9
	v_cmpx_ge_u32_e64 v26, v16
	s_xor_b32 s3, exec_lo, s3
	s_cbranch_execz .LBB382_160
; %bb.159:
	s_wait_dscnt 0x3
	v_xor_b32_e32 v8, 0xfffff7ff, v0
                                        ; implicit-def: $vgpr26_vgpr27
	s_delay_alu instid0(VALU_DEP_1) | instskip(NEXT) | instid1(VALU_DEP_1)
	v_ashrrev_i32_e32 v9, 31, v8
	v_add_nc_u64_e32 v[8:9], v[42:43], v[8:9]
.LBB382_160:
	s_and_not1_saveexec_b32 s3, s3
	s_cbranch_execz .LBB382_162
; %bb.161:
	s_wait_dscnt 0x3
	v_add_nc_u64_e32 v[8:9], v[2:3], v[26:27]
.LBB382_162:
	s_or_b32 exec_lo, exec_lo, s3
	s_wait_dscnt 0x3
	s_delay_alu instid0(VALU_DEP_1) | instskip(SKIP_4) | instid1(SALU_CYCLE_1)
	v_lshl_add_u64 v[8:9], v[8:9], 2, s[10:11]
	s_wait_dscnt 0x2
	global_store_b32 v[8:9], v6, off
	s_wait_xcnt 0x0
	s_or_b32 exec_lo, exec_lo, s1
	s_mov_b32 s1, exec_lo
	v_cmpx_gt_u32_e64 s22, v24
	s_cbranch_execnz .LBB382_194
.LBB382_163:
	s_or_b32 exec_lo, exec_lo, s1
	s_delay_alu instid0(SALU_CYCLE_1)
	s_mov_b32 s1, exec_lo
	v_cmpx_gt_u32_e64 s22, v22
	s_cbranch_execz .LBB382_199
.LBB382_164:
	s_mov_b32 s3, exec_lo
                                        ; implicit-def: $vgpr6_vgpr7
	v_cmpx_ge_u32_e64 v22, v16
	s_xor_b32 s3, exec_lo, s3
	s_cbranch_execz .LBB382_166
; %bb.165:
	s_wait_dscnt 0x2
	v_xor_b32_e32 v6, 0xfffff5ff, v0
                                        ; implicit-def: $vgpr22_vgpr23
	s_delay_alu instid0(VALU_DEP_1) | instskip(NEXT) | instid1(VALU_DEP_1)
	v_ashrrev_i32_e32 v7, 31, v6
	v_add_nc_u64_e32 v[6:7], v[42:43], v[6:7]
.LBB382_166:
	s_and_not1_saveexec_b32 s3, s3
	s_cbranch_execz .LBB382_168
; %bb.167:
	s_wait_dscnt 0x2
	v_add_nc_u64_e32 v[6:7], v[2:3], v[22:23]
.LBB382_168:
	s_or_b32 exec_lo, exec_lo, s3
	s_wait_dscnt 0x2
	s_delay_alu instid0(VALU_DEP_1) | instskip(SKIP_4) | instid1(SALU_CYCLE_1)
	v_lshl_add_u64 v[6:7], v[6:7], 2, s[10:11]
	s_wait_dscnt 0x1
	global_store_b32 v[6:7], v4, off
	s_wait_xcnt 0x0
	s_or_b32 exec_lo, exec_lo, s1
	s_mov_b32 s1, exec_lo
	v_cmpx_gt_u32_e64 s22, v20
	s_cbranch_execz .LBB382_205
	s_branch .LBB382_200
.LBB382_169:
	s_or_b32 exec_lo, exec_lo, s1
	s_delay_alu instid0(SALU_CYCLE_1)
	s_mov_b32 s1, exec_lo
	v_cmpx_gt_u32_e64 s22, v40
	s_cbranch_execz .LBB382_139
.LBB382_170:
	s_mov_b32 s3, exec_lo
                                        ; implicit-def: $vgpr44_vgpr45
	v_cmpx_ge_u32_e64 v40, v16
	s_xor_b32 s3, exec_lo, s3
; %bb.171:
	v_xor_b32_e32 v40, 0xfffffeff, v0
	s_delay_alu instid0(VALU_DEP_1) | instskip(NEXT) | instid1(VALU_DEP_1)
	v_ashrrev_i32_e32 v41, 31, v40
	v_add_nc_u64_e32 v[44:45], v[42:43], v[40:41]
                                        ; implicit-def: $vgpr40_vgpr41
; %bb.172:
	s_and_not1_saveexec_b32 s3, s3
; %bb.173:
	v_add_nc_u64_e32 v[44:45], v[2:3], v[40:41]
; %bb.174:
	s_or_b32 exec_lo, exec_lo, s3
	s_delay_alu instid0(VALU_DEP_1) | instskip(SKIP_4) | instid1(SALU_CYCLE_1)
	v_lshl_add_u64 v[40:41], v[44:45], 2, s[10:11]
	s_wait_dscnt 0x6
	global_store_b32 v[40:41], v15, off
	s_wait_xcnt 0x0
	s_or_b32 exec_lo, exec_lo, s1
	s_mov_b32 s1, exec_lo
	v_cmpx_gt_u32_e64 s22, v38
	s_cbranch_execnz .LBB382_140
.LBB382_175:
	s_or_b32 exec_lo, exec_lo, s1
	s_delay_alu instid0(SALU_CYCLE_1)
	s_mov_b32 s1, exec_lo
	v_cmpx_gt_u32_e64 s22, v36
	s_cbranch_execz .LBB382_145
.LBB382_176:
	s_mov_b32 s3, exec_lo
                                        ; implicit-def: $vgpr14_vgpr15
	v_cmpx_ge_u32_e64 v36, v16
	s_xor_b32 s3, exec_lo, s3
	s_cbranch_execz .LBB382_178
; %bb.177:
	s_wait_dscnt 0x6
	v_xor_b32_e32 v14, 0xfffffcff, v0
                                        ; implicit-def: $vgpr36_vgpr37
	s_delay_alu instid0(VALU_DEP_1) | instskip(NEXT) | instid1(VALU_DEP_1)
	v_ashrrev_i32_e32 v15, 31, v14
	v_add_nc_u64_e32 v[14:15], v[42:43], v[14:15]
.LBB382_178:
	s_and_not1_saveexec_b32 s3, s3
	s_cbranch_execz .LBB382_180
; %bb.179:
	s_wait_dscnt 0x6
	v_add_nc_u64_e32 v[14:15], v[2:3], v[36:37]
.LBB382_180:
	s_or_b32 exec_lo, exec_lo, s3
	s_wait_dscnt 0x6
	s_delay_alu instid0(VALU_DEP_1) | instskip(SKIP_4) | instid1(SALU_CYCLE_1)
	v_lshl_add_u64 v[14:15], v[14:15], 2, s[10:11]
	s_wait_dscnt 0x5
	global_store_b32 v[14:15], v13, off
	s_wait_xcnt 0x0
	s_or_b32 exec_lo, exec_lo, s1
	s_mov_b32 s1, exec_lo
	v_cmpx_gt_u32_e64 s22, v34
	s_cbranch_execnz .LBB382_146
.LBB382_181:
	s_or_b32 exec_lo, exec_lo, s1
	s_delay_alu instid0(SALU_CYCLE_1)
	s_mov_b32 s1, exec_lo
	v_cmpx_gt_u32_e64 s22, v32
	s_cbranch_execz .LBB382_151
.LBB382_182:
	s_mov_b32 s3, exec_lo
                                        ; implicit-def: $vgpr12_vgpr13
	v_cmpx_ge_u32_e64 v32, v16
	s_xor_b32 s3, exec_lo, s3
	s_cbranch_execz .LBB382_184
; %bb.183:
	s_wait_dscnt 0x5
	v_xor_b32_e32 v12, 0xfffffaff, v0
                                        ; implicit-def: $vgpr32_vgpr33
	s_delay_alu instid0(VALU_DEP_1) | instskip(NEXT) | instid1(VALU_DEP_1)
	v_ashrrev_i32_e32 v13, 31, v12
	v_add_nc_u64_e32 v[12:13], v[42:43], v[12:13]
.LBB382_184:
	s_and_not1_saveexec_b32 s3, s3
	s_cbranch_execz .LBB382_186
; %bb.185:
	s_wait_dscnt 0x5
	v_add_nc_u64_e32 v[12:13], v[2:3], v[32:33]
.LBB382_186:
	s_or_b32 exec_lo, exec_lo, s3
	s_wait_dscnt 0x5
	s_delay_alu instid0(VALU_DEP_1) | instskip(SKIP_4) | instid1(SALU_CYCLE_1)
	v_lshl_add_u64 v[12:13], v[12:13], 2, s[10:11]
	s_wait_dscnt 0x4
	global_store_b32 v[12:13], v11, off
	s_wait_xcnt 0x0
	s_or_b32 exec_lo, exec_lo, s1
	s_mov_b32 s1, exec_lo
	v_cmpx_gt_u32_e64 s22, v30
	s_cbranch_execnz .LBB382_152
.LBB382_187:
	s_or_b32 exec_lo, exec_lo, s1
	s_delay_alu instid0(SALU_CYCLE_1)
	s_mov_b32 s1, exec_lo
	v_cmpx_gt_u32_e64 s22, v28
	s_cbranch_execz .LBB382_157
.LBB382_188:
	s_mov_b32 s3, exec_lo
                                        ; implicit-def: $vgpr10_vgpr11
	v_cmpx_ge_u32_e64 v28, v16
	s_xor_b32 s3, exec_lo, s3
	s_cbranch_execz .LBB382_190
; %bb.189:
	s_wait_dscnt 0x4
	v_xor_b32_e32 v10, 0xfffff8ff, v0
                                        ; implicit-def: $vgpr28_vgpr29
	s_delay_alu instid0(VALU_DEP_1) | instskip(NEXT) | instid1(VALU_DEP_1)
	v_ashrrev_i32_e32 v11, 31, v10
	v_add_nc_u64_e32 v[10:11], v[42:43], v[10:11]
.LBB382_190:
	s_and_not1_saveexec_b32 s3, s3
	s_cbranch_execz .LBB382_192
; %bb.191:
	s_wait_dscnt 0x4
	v_add_nc_u64_e32 v[10:11], v[2:3], v[28:29]
.LBB382_192:
	s_or_b32 exec_lo, exec_lo, s3
	s_wait_dscnt 0x4
	s_delay_alu instid0(VALU_DEP_1) | instskip(SKIP_4) | instid1(SALU_CYCLE_1)
	v_lshl_add_u64 v[10:11], v[10:11], 2, s[10:11]
	s_wait_dscnt 0x3
	global_store_b32 v[10:11], v9, off
	s_wait_xcnt 0x0
	s_or_b32 exec_lo, exec_lo, s1
	s_mov_b32 s1, exec_lo
	v_cmpx_gt_u32_e64 s22, v26
	s_cbranch_execnz .LBB382_158
.LBB382_193:
	s_or_b32 exec_lo, exec_lo, s1
	s_delay_alu instid0(SALU_CYCLE_1)
	s_mov_b32 s1, exec_lo
	v_cmpx_gt_u32_e64 s22, v24
	s_cbranch_execz .LBB382_163
.LBB382_194:
	s_mov_b32 s3, exec_lo
                                        ; implicit-def: $vgpr8_vgpr9
	v_cmpx_ge_u32_e64 v24, v16
	s_xor_b32 s3, exec_lo, s3
	s_cbranch_execz .LBB382_196
; %bb.195:
	s_wait_dscnt 0x3
	v_xor_b32_e32 v8, 0xfffff6ff, v0
                                        ; implicit-def: $vgpr24_vgpr25
	s_delay_alu instid0(VALU_DEP_1) | instskip(NEXT) | instid1(VALU_DEP_1)
	v_ashrrev_i32_e32 v9, 31, v8
	v_add_nc_u64_e32 v[8:9], v[42:43], v[8:9]
.LBB382_196:
	s_and_not1_saveexec_b32 s3, s3
	s_cbranch_execz .LBB382_198
; %bb.197:
	s_wait_dscnt 0x3
	v_add_nc_u64_e32 v[8:9], v[2:3], v[24:25]
.LBB382_198:
	s_or_b32 exec_lo, exec_lo, s3
	s_wait_dscnt 0x3
	s_delay_alu instid0(VALU_DEP_1) | instskip(SKIP_4) | instid1(SALU_CYCLE_1)
	v_lshl_add_u64 v[8:9], v[8:9], 2, s[10:11]
	s_wait_dscnt 0x2
	global_store_b32 v[8:9], v7, off
	s_wait_xcnt 0x0
	s_or_b32 exec_lo, exec_lo, s1
	s_mov_b32 s1, exec_lo
	v_cmpx_gt_u32_e64 s22, v22
	s_cbranch_execnz .LBB382_164
.LBB382_199:
	s_or_b32 exec_lo, exec_lo, s1
	s_delay_alu instid0(SALU_CYCLE_1)
	s_mov_b32 s1, exec_lo
	v_cmpx_gt_u32_e64 s22, v20
	s_cbranch_execz .LBB382_205
.LBB382_200:
	s_mov_b32 s3, exec_lo
                                        ; implicit-def: $vgpr6_vgpr7
	v_cmpx_ge_u32_e64 v20, v16
	s_xor_b32 s3, exec_lo, s3
	s_cbranch_execz .LBB382_202
; %bb.201:
	s_wait_dscnt 0x2
	v_xor_b32_e32 v6, 0xfffff4ff, v0
                                        ; implicit-def: $vgpr20_vgpr21
	s_delay_alu instid0(VALU_DEP_1) | instskip(NEXT) | instid1(VALU_DEP_1)
	v_ashrrev_i32_e32 v7, 31, v6
	v_add_nc_u64_e32 v[6:7], v[42:43], v[6:7]
.LBB382_202:
	s_and_not1_saveexec_b32 s3, s3
	s_cbranch_execz .LBB382_204
; %bb.203:
	s_wait_dscnt 0x2
	v_add_nc_u64_e32 v[6:7], v[2:3], v[20:21]
.LBB382_204:
	s_or_b32 exec_lo, exec_lo, s3
	s_wait_dscnt 0x2
	s_delay_alu instid0(VALU_DEP_1)
	v_lshl_add_u64 v[6:7], v[6:7], 2, s[10:11]
	s_wait_dscnt 0x1
	global_store_b32 v[6:7], v5, off
.LBB382_205:
	s_wait_xcnt 0x0
	s_or_b32 exec_lo, exec_lo, s1
	s_delay_alu instid0(SALU_CYCLE_1)
	s_mov_b32 s1, exec_lo
                                        ; implicit-def: $vgpr44_vgpr45
	v_cmpx_gt_u32_e64 s22, v18
	s_cbranch_execz .LBB382_211
; %bb.206:
	s_mov_b32 s3, exec_lo
                                        ; implicit-def: $vgpr44_vgpr45
	v_cmpx_ge_u32_e64 v18, v16
	s_xor_b32 s3, exec_lo, s3
; %bb.207:
	v_xor_b32_e32 v0, 0xfffff3ff, v0
                                        ; implicit-def: $vgpr18_vgpr19
	s_delay_alu instid0(VALU_DEP_1) | instskip(NEXT) | instid1(VALU_DEP_1)
	v_ashrrev_i32_e32 v1, 31, v0
	v_add_nc_u64_e32 v[44:45], v[42:43], v[0:1]
; %bb.208:
	s_and_not1_saveexec_b32 s3, s3
; %bb.209:
	v_add_nc_u64_e32 v[44:45], v[2:3], v[18:19]
; %bb.210:
	s_or_b32 exec_lo, exec_lo, s3
	s_delay_alu instid0(SALU_CYCLE_1)
	s_or_b32 s0, s0, exec_lo
.LBB382_211:
	s_or_b32 exec_lo, exec_lo, s1
	s_and_saveexec_b32 s1, s0
	s_cbranch_execnz .LBB382_130
.LBB382_212:
	s_or_b32 exec_lo, exec_lo, s1
	s_and_b32 s0, s2, s9
	s_delay_alu instid0(SALU_CYCLE_1)
	s_and_saveexec_b32 s1, s0
	s_cbranch_execz .LBB382_131
.LBB382_213:
	v_mov_b32_e32 v17, 0
	s_delay_alu instid0(VALU_DEP_1)
	v_add_nc_u64_e32 v[0:1], v[2:3], v[16:17]
	global_store_b64 v17, v[0:1], s[12:13]
	s_sendmsg sendmsg(MSG_DEALLOC_VGPRS)
	s_endpgm
	.section	.rodata,"a",@progbits
	.p2align	6, 0x0
	.amdhsa_kernel _ZN7rocprim17ROCPRIM_400000_NS6detail17trampoline_kernelINS0_13select_configILj256ELj13ELNS0_17block_load_methodE3ELS4_3ELS4_3ELNS0_20block_scan_algorithmE0ELj4294967295EEENS1_25partition_config_selectorILNS1_17partition_subalgoE3EjNS0_10empty_typeEbEEZZNS1_14partition_implILS8_3ELb0ES6_jNS0_17counting_iteratorIjlEEPS9_SE_NS0_5tupleIJPjSE_EEENSF_IJSE_SE_EEES9_SG_JZNS1_25segmented_radix_sort_implINS0_14default_configELb0EPKaPaPKlPlN2at6native12_GLOBAL__N_18offset_tEEE10hipError_tPvRmT1_PNSt15iterator_traitsISY_E10value_typeET2_T3_PNSZ_IS14_E10value_typeET4_jRbjT5_S1A_jjP12ihipStream_tbEUljE_EEESV_SW_SX_S14_S18_S1A_T6_T7_T9_mT8_S1C_bDpT10_ENKUlT_T0_E_clISt17integral_constantIbLb0EES1O_IbLb1EEEEDaS1K_S1L_EUlS1K_E_NS1_11comp_targetILNS1_3genE0ELNS1_11target_archE4294967295ELNS1_3gpuE0ELNS1_3repE0EEENS1_30default_config_static_selectorELNS0_4arch9wavefront6targetE0EEEvSY_
		.amdhsa_group_segment_fixed_size 13320
		.amdhsa_private_segment_fixed_size 0
		.amdhsa_kernarg_size 152
		.amdhsa_user_sgpr_count 2
		.amdhsa_user_sgpr_dispatch_ptr 0
		.amdhsa_user_sgpr_queue_ptr 0
		.amdhsa_user_sgpr_kernarg_segment_ptr 1
		.amdhsa_user_sgpr_dispatch_id 0
		.amdhsa_user_sgpr_kernarg_preload_length 0
		.amdhsa_user_sgpr_kernarg_preload_offset 0
		.amdhsa_user_sgpr_private_segment_size 0
		.amdhsa_wavefront_size32 1
		.amdhsa_uses_dynamic_stack 0
		.amdhsa_enable_private_segment 0
		.amdhsa_system_sgpr_workgroup_id_x 1
		.amdhsa_system_sgpr_workgroup_id_y 0
		.amdhsa_system_sgpr_workgroup_id_z 0
		.amdhsa_system_sgpr_workgroup_info 0
		.amdhsa_system_vgpr_workitem_id 0
		.amdhsa_next_free_vgpr 72
		.amdhsa_next_free_sgpr 24
		.amdhsa_named_barrier_count 0
		.amdhsa_reserve_vcc 1
		.amdhsa_float_round_mode_32 0
		.amdhsa_float_round_mode_16_64 0
		.amdhsa_float_denorm_mode_32 3
		.amdhsa_float_denorm_mode_16_64 3
		.amdhsa_fp16_overflow 0
		.amdhsa_memory_ordered 1
		.amdhsa_forward_progress 1
		.amdhsa_inst_pref_size 71
		.amdhsa_round_robin_scheduling 0
		.amdhsa_exception_fp_ieee_invalid_op 0
		.amdhsa_exception_fp_denorm_src 0
		.amdhsa_exception_fp_ieee_div_zero 0
		.amdhsa_exception_fp_ieee_overflow 0
		.amdhsa_exception_fp_ieee_underflow 0
		.amdhsa_exception_fp_ieee_inexact 0
		.amdhsa_exception_int_div_zero 0
	.end_amdhsa_kernel
	.section	.text._ZN7rocprim17ROCPRIM_400000_NS6detail17trampoline_kernelINS0_13select_configILj256ELj13ELNS0_17block_load_methodE3ELS4_3ELS4_3ELNS0_20block_scan_algorithmE0ELj4294967295EEENS1_25partition_config_selectorILNS1_17partition_subalgoE3EjNS0_10empty_typeEbEEZZNS1_14partition_implILS8_3ELb0ES6_jNS0_17counting_iteratorIjlEEPS9_SE_NS0_5tupleIJPjSE_EEENSF_IJSE_SE_EEES9_SG_JZNS1_25segmented_radix_sort_implINS0_14default_configELb0EPKaPaPKlPlN2at6native12_GLOBAL__N_18offset_tEEE10hipError_tPvRmT1_PNSt15iterator_traitsISY_E10value_typeET2_T3_PNSZ_IS14_E10value_typeET4_jRbjT5_S1A_jjP12ihipStream_tbEUljE_EEESV_SW_SX_S14_S18_S1A_T6_T7_T9_mT8_S1C_bDpT10_ENKUlT_T0_E_clISt17integral_constantIbLb0EES1O_IbLb1EEEEDaS1K_S1L_EUlS1K_E_NS1_11comp_targetILNS1_3genE0ELNS1_11target_archE4294967295ELNS1_3gpuE0ELNS1_3repE0EEENS1_30default_config_static_selectorELNS0_4arch9wavefront6targetE0EEEvSY_,"axG",@progbits,_ZN7rocprim17ROCPRIM_400000_NS6detail17trampoline_kernelINS0_13select_configILj256ELj13ELNS0_17block_load_methodE3ELS4_3ELS4_3ELNS0_20block_scan_algorithmE0ELj4294967295EEENS1_25partition_config_selectorILNS1_17partition_subalgoE3EjNS0_10empty_typeEbEEZZNS1_14partition_implILS8_3ELb0ES6_jNS0_17counting_iteratorIjlEEPS9_SE_NS0_5tupleIJPjSE_EEENSF_IJSE_SE_EEES9_SG_JZNS1_25segmented_radix_sort_implINS0_14default_configELb0EPKaPaPKlPlN2at6native12_GLOBAL__N_18offset_tEEE10hipError_tPvRmT1_PNSt15iterator_traitsISY_E10value_typeET2_T3_PNSZ_IS14_E10value_typeET4_jRbjT5_S1A_jjP12ihipStream_tbEUljE_EEESV_SW_SX_S14_S18_S1A_T6_T7_T9_mT8_S1C_bDpT10_ENKUlT_T0_E_clISt17integral_constantIbLb0EES1O_IbLb1EEEEDaS1K_S1L_EUlS1K_E_NS1_11comp_targetILNS1_3genE0ELNS1_11target_archE4294967295ELNS1_3gpuE0ELNS1_3repE0EEENS1_30default_config_static_selectorELNS0_4arch9wavefront6targetE0EEEvSY_,comdat
.Lfunc_end382:
	.size	_ZN7rocprim17ROCPRIM_400000_NS6detail17trampoline_kernelINS0_13select_configILj256ELj13ELNS0_17block_load_methodE3ELS4_3ELS4_3ELNS0_20block_scan_algorithmE0ELj4294967295EEENS1_25partition_config_selectorILNS1_17partition_subalgoE3EjNS0_10empty_typeEbEEZZNS1_14partition_implILS8_3ELb0ES6_jNS0_17counting_iteratorIjlEEPS9_SE_NS0_5tupleIJPjSE_EEENSF_IJSE_SE_EEES9_SG_JZNS1_25segmented_radix_sort_implINS0_14default_configELb0EPKaPaPKlPlN2at6native12_GLOBAL__N_18offset_tEEE10hipError_tPvRmT1_PNSt15iterator_traitsISY_E10value_typeET2_T3_PNSZ_IS14_E10value_typeET4_jRbjT5_S1A_jjP12ihipStream_tbEUljE_EEESV_SW_SX_S14_S18_S1A_T6_T7_T9_mT8_S1C_bDpT10_ENKUlT_T0_E_clISt17integral_constantIbLb0EES1O_IbLb1EEEEDaS1K_S1L_EUlS1K_E_NS1_11comp_targetILNS1_3genE0ELNS1_11target_archE4294967295ELNS1_3gpuE0ELNS1_3repE0EEENS1_30default_config_static_selectorELNS0_4arch9wavefront6targetE0EEEvSY_, .Lfunc_end382-_ZN7rocprim17ROCPRIM_400000_NS6detail17trampoline_kernelINS0_13select_configILj256ELj13ELNS0_17block_load_methodE3ELS4_3ELS4_3ELNS0_20block_scan_algorithmE0ELj4294967295EEENS1_25partition_config_selectorILNS1_17partition_subalgoE3EjNS0_10empty_typeEbEEZZNS1_14partition_implILS8_3ELb0ES6_jNS0_17counting_iteratorIjlEEPS9_SE_NS0_5tupleIJPjSE_EEENSF_IJSE_SE_EEES9_SG_JZNS1_25segmented_radix_sort_implINS0_14default_configELb0EPKaPaPKlPlN2at6native12_GLOBAL__N_18offset_tEEE10hipError_tPvRmT1_PNSt15iterator_traitsISY_E10value_typeET2_T3_PNSZ_IS14_E10value_typeET4_jRbjT5_S1A_jjP12ihipStream_tbEUljE_EEESV_SW_SX_S14_S18_S1A_T6_T7_T9_mT8_S1C_bDpT10_ENKUlT_T0_E_clISt17integral_constantIbLb0EES1O_IbLb1EEEEDaS1K_S1L_EUlS1K_E_NS1_11comp_targetILNS1_3genE0ELNS1_11target_archE4294967295ELNS1_3gpuE0ELNS1_3repE0EEENS1_30default_config_static_selectorELNS0_4arch9wavefront6targetE0EEEvSY_
                                        ; -- End function
	.set _ZN7rocprim17ROCPRIM_400000_NS6detail17trampoline_kernelINS0_13select_configILj256ELj13ELNS0_17block_load_methodE3ELS4_3ELS4_3ELNS0_20block_scan_algorithmE0ELj4294967295EEENS1_25partition_config_selectorILNS1_17partition_subalgoE3EjNS0_10empty_typeEbEEZZNS1_14partition_implILS8_3ELb0ES6_jNS0_17counting_iteratorIjlEEPS9_SE_NS0_5tupleIJPjSE_EEENSF_IJSE_SE_EEES9_SG_JZNS1_25segmented_radix_sort_implINS0_14default_configELb0EPKaPaPKlPlN2at6native12_GLOBAL__N_18offset_tEEE10hipError_tPvRmT1_PNSt15iterator_traitsISY_E10value_typeET2_T3_PNSZ_IS14_E10value_typeET4_jRbjT5_S1A_jjP12ihipStream_tbEUljE_EEESV_SW_SX_S14_S18_S1A_T6_T7_T9_mT8_S1C_bDpT10_ENKUlT_T0_E_clISt17integral_constantIbLb0EES1O_IbLb1EEEEDaS1K_S1L_EUlS1K_E_NS1_11comp_targetILNS1_3genE0ELNS1_11target_archE4294967295ELNS1_3gpuE0ELNS1_3repE0EEENS1_30default_config_static_selectorELNS0_4arch9wavefront6targetE0EEEvSY_.num_vgpr, 72
	.set _ZN7rocprim17ROCPRIM_400000_NS6detail17trampoline_kernelINS0_13select_configILj256ELj13ELNS0_17block_load_methodE3ELS4_3ELS4_3ELNS0_20block_scan_algorithmE0ELj4294967295EEENS1_25partition_config_selectorILNS1_17partition_subalgoE3EjNS0_10empty_typeEbEEZZNS1_14partition_implILS8_3ELb0ES6_jNS0_17counting_iteratorIjlEEPS9_SE_NS0_5tupleIJPjSE_EEENSF_IJSE_SE_EEES9_SG_JZNS1_25segmented_radix_sort_implINS0_14default_configELb0EPKaPaPKlPlN2at6native12_GLOBAL__N_18offset_tEEE10hipError_tPvRmT1_PNSt15iterator_traitsISY_E10value_typeET2_T3_PNSZ_IS14_E10value_typeET4_jRbjT5_S1A_jjP12ihipStream_tbEUljE_EEESV_SW_SX_S14_S18_S1A_T6_T7_T9_mT8_S1C_bDpT10_ENKUlT_T0_E_clISt17integral_constantIbLb0EES1O_IbLb1EEEEDaS1K_S1L_EUlS1K_E_NS1_11comp_targetILNS1_3genE0ELNS1_11target_archE4294967295ELNS1_3gpuE0ELNS1_3repE0EEENS1_30default_config_static_selectorELNS0_4arch9wavefront6targetE0EEEvSY_.num_agpr, 0
	.set _ZN7rocprim17ROCPRIM_400000_NS6detail17trampoline_kernelINS0_13select_configILj256ELj13ELNS0_17block_load_methodE3ELS4_3ELS4_3ELNS0_20block_scan_algorithmE0ELj4294967295EEENS1_25partition_config_selectorILNS1_17partition_subalgoE3EjNS0_10empty_typeEbEEZZNS1_14partition_implILS8_3ELb0ES6_jNS0_17counting_iteratorIjlEEPS9_SE_NS0_5tupleIJPjSE_EEENSF_IJSE_SE_EEES9_SG_JZNS1_25segmented_radix_sort_implINS0_14default_configELb0EPKaPaPKlPlN2at6native12_GLOBAL__N_18offset_tEEE10hipError_tPvRmT1_PNSt15iterator_traitsISY_E10value_typeET2_T3_PNSZ_IS14_E10value_typeET4_jRbjT5_S1A_jjP12ihipStream_tbEUljE_EEESV_SW_SX_S14_S18_S1A_T6_T7_T9_mT8_S1C_bDpT10_ENKUlT_T0_E_clISt17integral_constantIbLb0EES1O_IbLb1EEEEDaS1K_S1L_EUlS1K_E_NS1_11comp_targetILNS1_3genE0ELNS1_11target_archE4294967295ELNS1_3gpuE0ELNS1_3repE0EEENS1_30default_config_static_selectorELNS0_4arch9wavefront6targetE0EEEvSY_.numbered_sgpr, 24
	.set _ZN7rocprim17ROCPRIM_400000_NS6detail17trampoline_kernelINS0_13select_configILj256ELj13ELNS0_17block_load_methodE3ELS4_3ELS4_3ELNS0_20block_scan_algorithmE0ELj4294967295EEENS1_25partition_config_selectorILNS1_17partition_subalgoE3EjNS0_10empty_typeEbEEZZNS1_14partition_implILS8_3ELb0ES6_jNS0_17counting_iteratorIjlEEPS9_SE_NS0_5tupleIJPjSE_EEENSF_IJSE_SE_EEES9_SG_JZNS1_25segmented_radix_sort_implINS0_14default_configELb0EPKaPaPKlPlN2at6native12_GLOBAL__N_18offset_tEEE10hipError_tPvRmT1_PNSt15iterator_traitsISY_E10value_typeET2_T3_PNSZ_IS14_E10value_typeET4_jRbjT5_S1A_jjP12ihipStream_tbEUljE_EEESV_SW_SX_S14_S18_S1A_T6_T7_T9_mT8_S1C_bDpT10_ENKUlT_T0_E_clISt17integral_constantIbLb0EES1O_IbLb1EEEEDaS1K_S1L_EUlS1K_E_NS1_11comp_targetILNS1_3genE0ELNS1_11target_archE4294967295ELNS1_3gpuE0ELNS1_3repE0EEENS1_30default_config_static_selectorELNS0_4arch9wavefront6targetE0EEEvSY_.num_named_barrier, 0
	.set _ZN7rocprim17ROCPRIM_400000_NS6detail17trampoline_kernelINS0_13select_configILj256ELj13ELNS0_17block_load_methodE3ELS4_3ELS4_3ELNS0_20block_scan_algorithmE0ELj4294967295EEENS1_25partition_config_selectorILNS1_17partition_subalgoE3EjNS0_10empty_typeEbEEZZNS1_14partition_implILS8_3ELb0ES6_jNS0_17counting_iteratorIjlEEPS9_SE_NS0_5tupleIJPjSE_EEENSF_IJSE_SE_EEES9_SG_JZNS1_25segmented_radix_sort_implINS0_14default_configELb0EPKaPaPKlPlN2at6native12_GLOBAL__N_18offset_tEEE10hipError_tPvRmT1_PNSt15iterator_traitsISY_E10value_typeET2_T3_PNSZ_IS14_E10value_typeET4_jRbjT5_S1A_jjP12ihipStream_tbEUljE_EEESV_SW_SX_S14_S18_S1A_T6_T7_T9_mT8_S1C_bDpT10_ENKUlT_T0_E_clISt17integral_constantIbLb0EES1O_IbLb1EEEEDaS1K_S1L_EUlS1K_E_NS1_11comp_targetILNS1_3genE0ELNS1_11target_archE4294967295ELNS1_3gpuE0ELNS1_3repE0EEENS1_30default_config_static_selectorELNS0_4arch9wavefront6targetE0EEEvSY_.private_seg_size, 0
	.set _ZN7rocprim17ROCPRIM_400000_NS6detail17trampoline_kernelINS0_13select_configILj256ELj13ELNS0_17block_load_methodE3ELS4_3ELS4_3ELNS0_20block_scan_algorithmE0ELj4294967295EEENS1_25partition_config_selectorILNS1_17partition_subalgoE3EjNS0_10empty_typeEbEEZZNS1_14partition_implILS8_3ELb0ES6_jNS0_17counting_iteratorIjlEEPS9_SE_NS0_5tupleIJPjSE_EEENSF_IJSE_SE_EEES9_SG_JZNS1_25segmented_radix_sort_implINS0_14default_configELb0EPKaPaPKlPlN2at6native12_GLOBAL__N_18offset_tEEE10hipError_tPvRmT1_PNSt15iterator_traitsISY_E10value_typeET2_T3_PNSZ_IS14_E10value_typeET4_jRbjT5_S1A_jjP12ihipStream_tbEUljE_EEESV_SW_SX_S14_S18_S1A_T6_T7_T9_mT8_S1C_bDpT10_ENKUlT_T0_E_clISt17integral_constantIbLb0EES1O_IbLb1EEEEDaS1K_S1L_EUlS1K_E_NS1_11comp_targetILNS1_3genE0ELNS1_11target_archE4294967295ELNS1_3gpuE0ELNS1_3repE0EEENS1_30default_config_static_selectorELNS0_4arch9wavefront6targetE0EEEvSY_.uses_vcc, 1
	.set _ZN7rocprim17ROCPRIM_400000_NS6detail17trampoline_kernelINS0_13select_configILj256ELj13ELNS0_17block_load_methodE3ELS4_3ELS4_3ELNS0_20block_scan_algorithmE0ELj4294967295EEENS1_25partition_config_selectorILNS1_17partition_subalgoE3EjNS0_10empty_typeEbEEZZNS1_14partition_implILS8_3ELb0ES6_jNS0_17counting_iteratorIjlEEPS9_SE_NS0_5tupleIJPjSE_EEENSF_IJSE_SE_EEES9_SG_JZNS1_25segmented_radix_sort_implINS0_14default_configELb0EPKaPaPKlPlN2at6native12_GLOBAL__N_18offset_tEEE10hipError_tPvRmT1_PNSt15iterator_traitsISY_E10value_typeET2_T3_PNSZ_IS14_E10value_typeET4_jRbjT5_S1A_jjP12ihipStream_tbEUljE_EEESV_SW_SX_S14_S18_S1A_T6_T7_T9_mT8_S1C_bDpT10_ENKUlT_T0_E_clISt17integral_constantIbLb0EES1O_IbLb1EEEEDaS1K_S1L_EUlS1K_E_NS1_11comp_targetILNS1_3genE0ELNS1_11target_archE4294967295ELNS1_3gpuE0ELNS1_3repE0EEENS1_30default_config_static_selectorELNS0_4arch9wavefront6targetE0EEEvSY_.uses_flat_scratch, 0
	.set _ZN7rocprim17ROCPRIM_400000_NS6detail17trampoline_kernelINS0_13select_configILj256ELj13ELNS0_17block_load_methodE3ELS4_3ELS4_3ELNS0_20block_scan_algorithmE0ELj4294967295EEENS1_25partition_config_selectorILNS1_17partition_subalgoE3EjNS0_10empty_typeEbEEZZNS1_14partition_implILS8_3ELb0ES6_jNS0_17counting_iteratorIjlEEPS9_SE_NS0_5tupleIJPjSE_EEENSF_IJSE_SE_EEES9_SG_JZNS1_25segmented_radix_sort_implINS0_14default_configELb0EPKaPaPKlPlN2at6native12_GLOBAL__N_18offset_tEEE10hipError_tPvRmT1_PNSt15iterator_traitsISY_E10value_typeET2_T3_PNSZ_IS14_E10value_typeET4_jRbjT5_S1A_jjP12ihipStream_tbEUljE_EEESV_SW_SX_S14_S18_S1A_T6_T7_T9_mT8_S1C_bDpT10_ENKUlT_T0_E_clISt17integral_constantIbLb0EES1O_IbLb1EEEEDaS1K_S1L_EUlS1K_E_NS1_11comp_targetILNS1_3genE0ELNS1_11target_archE4294967295ELNS1_3gpuE0ELNS1_3repE0EEENS1_30default_config_static_selectorELNS0_4arch9wavefront6targetE0EEEvSY_.has_dyn_sized_stack, 0
	.set _ZN7rocprim17ROCPRIM_400000_NS6detail17trampoline_kernelINS0_13select_configILj256ELj13ELNS0_17block_load_methodE3ELS4_3ELS4_3ELNS0_20block_scan_algorithmE0ELj4294967295EEENS1_25partition_config_selectorILNS1_17partition_subalgoE3EjNS0_10empty_typeEbEEZZNS1_14partition_implILS8_3ELb0ES6_jNS0_17counting_iteratorIjlEEPS9_SE_NS0_5tupleIJPjSE_EEENSF_IJSE_SE_EEES9_SG_JZNS1_25segmented_radix_sort_implINS0_14default_configELb0EPKaPaPKlPlN2at6native12_GLOBAL__N_18offset_tEEE10hipError_tPvRmT1_PNSt15iterator_traitsISY_E10value_typeET2_T3_PNSZ_IS14_E10value_typeET4_jRbjT5_S1A_jjP12ihipStream_tbEUljE_EEESV_SW_SX_S14_S18_S1A_T6_T7_T9_mT8_S1C_bDpT10_ENKUlT_T0_E_clISt17integral_constantIbLb0EES1O_IbLb1EEEEDaS1K_S1L_EUlS1K_E_NS1_11comp_targetILNS1_3genE0ELNS1_11target_archE4294967295ELNS1_3gpuE0ELNS1_3repE0EEENS1_30default_config_static_selectorELNS0_4arch9wavefront6targetE0EEEvSY_.has_recursion, 0
	.set _ZN7rocprim17ROCPRIM_400000_NS6detail17trampoline_kernelINS0_13select_configILj256ELj13ELNS0_17block_load_methodE3ELS4_3ELS4_3ELNS0_20block_scan_algorithmE0ELj4294967295EEENS1_25partition_config_selectorILNS1_17partition_subalgoE3EjNS0_10empty_typeEbEEZZNS1_14partition_implILS8_3ELb0ES6_jNS0_17counting_iteratorIjlEEPS9_SE_NS0_5tupleIJPjSE_EEENSF_IJSE_SE_EEES9_SG_JZNS1_25segmented_radix_sort_implINS0_14default_configELb0EPKaPaPKlPlN2at6native12_GLOBAL__N_18offset_tEEE10hipError_tPvRmT1_PNSt15iterator_traitsISY_E10value_typeET2_T3_PNSZ_IS14_E10value_typeET4_jRbjT5_S1A_jjP12ihipStream_tbEUljE_EEESV_SW_SX_S14_S18_S1A_T6_T7_T9_mT8_S1C_bDpT10_ENKUlT_T0_E_clISt17integral_constantIbLb0EES1O_IbLb1EEEEDaS1K_S1L_EUlS1K_E_NS1_11comp_targetILNS1_3genE0ELNS1_11target_archE4294967295ELNS1_3gpuE0ELNS1_3repE0EEENS1_30default_config_static_selectorELNS0_4arch9wavefront6targetE0EEEvSY_.has_indirect_call, 0
	.section	.AMDGPU.csdata,"",@progbits
; Kernel info:
; codeLenInByte = 9040
; TotalNumSgprs: 26
; NumVgprs: 72
; ScratchSize: 0
; MemoryBound: 0
; FloatMode: 240
; IeeeMode: 1
; LDSByteSize: 13320 bytes/workgroup (compile time only)
; SGPRBlocks: 0
; VGPRBlocks: 4
; NumSGPRsForWavesPerEU: 26
; NumVGPRsForWavesPerEU: 72
; NamedBarCnt: 0
; Occupancy: 12
; WaveLimiterHint : 0
; COMPUTE_PGM_RSRC2:SCRATCH_EN: 0
; COMPUTE_PGM_RSRC2:USER_SGPR: 2
; COMPUTE_PGM_RSRC2:TRAP_HANDLER: 0
; COMPUTE_PGM_RSRC2:TGID_X_EN: 1
; COMPUTE_PGM_RSRC2:TGID_Y_EN: 0
; COMPUTE_PGM_RSRC2:TGID_Z_EN: 0
; COMPUTE_PGM_RSRC2:TIDIG_COMP_CNT: 0
	.section	.text._ZN7rocprim17ROCPRIM_400000_NS6detail17trampoline_kernelINS0_13select_configILj256ELj13ELNS0_17block_load_methodE3ELS4_3ELS4_3ELNS0_20block_scan_algorithmE0ELj4294967295EEENS1_25partition_config_selectorILNS1_17partition_subalgoE3EjNS0_10empty_typeEbEEZZNS1_14partition_implILS8_3ELb0ES6_jNS0_17counting_iteratorIjlEEPS9_SE_NS0_5tupleIJPjSE_EEENSF_IJSE_SE_EEES9_SG_JZNS1_25segmented_radix_sort_implINS0_14default_configELb0EPKaPaPKlPlN2at6native12_GLOBAL__N_18offset_tEEE10hipError_tPvRmT1_PNSt15iterator_traitsISY_E10value_typeET2_T3_PNSZ_IS14_E10value_typeET4_jRbjT5_S1A_jjP12ihipStream_tbEUljE_EEESV_SW_SX_S14_S18_S1A_T6_T7_T9_mT8_S1C_bDpT10_ENKUlT_T0_E_clISt17integral_constantIbLb0EES1O_IbLb1EEEEDaS1K_S1L_EUlS1K_E_NS1_11comp_targetILNS1_3genE5ELNS1_11target_archE942ELNS1_3gpuE9ELNS1_3repE0EEENS1_30default_config_static_selectorELNS0_4arch9wavefront6targetE0EEEvSY_,"axG",@progbits,_ZN7rocprim17ROCPRIM_400000_NS6detail17trampoline_kernelINS0_13select_configILj256ELj13ELNS0_17block_load_methodE3ELS4_3ELS4_3ELNS0_20block_scan_algorithmE0ELj4294967295EEENS1_25partition_config_selectorILNS1_17partition_subalgoE3EjNS0_10empty_typeEbEEZZNS1_14partition_implILS8_3ELb0ES6_jNS0_17counting_iteratorIjlEEPS9_SE_NS0_5tupleIJPjSE_EEENSF_IJSE_SE_EEES9_SG_JZNS1_25segmented_radix_sort_implINS0_14default_configELb0EPKaPaPKlPlN2at6native12_GLOBAL__N_18offset_tEEE10hipError_tPvRmT1_PNSt15iterator_traitsISY_E10value_typeET2_T3_PNSZ_IS14_E10value_typeET4_jRbjT5_S1A_jjP12ihipStream_tbEUljE_EEESV_SW_SX_S14_S18_S1A_T6_T7_T9_mT8_S1C_bDpT10_ENKUlT_T0_E_clISt17integral_constantIbLb0EES1O_IbLb1EEEEDaS1K_S1L_EUlS1K_E_NS1_11comp_targetILNS1_3genE5ELNS1_11target_archE942ELNS1_3gpuE9ELNS1_3repE0EEENS1_30default_config_static_selectorELNS0_4arch9wavefront6targetE0EEEvSY_,comdat
	.globl	_ZN7rocprim17ROCPRIM_400000_NS6detail17trampoline_kernelINS0_13select_configILj256ELj13ELNS0_17block_load_methodE3ELS4_3ELS4_3ELNS0_20block_scan_algorithmE0ELj4294967295EEENS1_25partition_config_selectorILNS1_17partition_subalgoE3EjNS0_10empty_typeEbEEZZNS1_14partition_implILS8_3ELb0ES6_jNS0_17counting_iteratorIjlEEPS9_SE_NS0_5tupleIJPjSE_EEENSF_IJSE_SE_EEES9_SG_JZNS1_25segmented_radix_sort_implINS0_14default_configELb0EPKaPaPKlPlN2at6native12_GLOBAL__N_18offset_tEEE10hipError_tPvRmT1_PNSt15iterator_traitsISY_E10value_typeET2_T3_PNSZ_IS14_E10value_typeET4_jRbjT5_S1A_jjP12ihipStream_tbEUljE_EEESV_SW_SX_S14_S18_S1A_T6_T7_T9_mT8_S1C_bDpT10_ENKUlT_T0_E_clISt17integral_constantIbLb0EES1O_IbLb1EEEEDaS1K_S1L_EUlS1K_E_NS1_11comp_targetILNS1_3genE5ELNS1_11target_archE942ELNS1_3gpuE9ELNS1_3repE0EEENS1_30default_config_static_selectorELNS0_4arch9wavefront6targetE0EEEvSY_ ; -- Begin function _ZN7rocprim17ROCPRIM_400000_NS6detail17trampoline_kernelINS0_13select_configILj256ELj13ELNS0_17block_load_methodE3ELS4_3ELS4_3ELNS0_20block_scan_algorithmE0ELj4294967295EEENS1_25partition_config_selectorILNS1_17partition_subalgoE3EjNS0_10empty_typeEbEEZZNS1_14partition_implILS8_3ELb0ES6_jNS0_17counting_iteratorIjlEEPS9_SE_NS0_5tupleIJPjSE_EEENSF_IJSE_SE_EEES9_SG_JZNS1_25segmented_radix_sort_implINS0_14default_configELb0EPKaPaPKlPlN2at6native12_GLOBAL__N_18offset_tEEE10hipError_tPvRmT1_PNSt15iterator_traitsISY_E10value_typeET2_T3_PNSZ_IS14_E10value_typeET4_jRbjT5_S1A_jjP12ihipStream_tbEUljE_EEESV_SW_SX_S14_S18_S1A_T6_T7_T9_mT8_S1C_bDpT10_ENKUlT_T0_E_clISt17integral_constantIbLb0EES1O_IbLb1EEEEDaS1K_S1L_EUlS1K_E_NS1_11comp_targetILNS1_3genE5ELNS1_11target_archE942ELNS1_3gpuE9ELNS1_3repE0EEENS1_30default_config_static_selectorELNS0_4arch9wavefront6targetE0EEEvSY_
	.p2align	8
	.type	_ZN7rocprim17ROCPRIM_400000_NS6detail17trampoline_kernelINS0_13select_configILj256ELj13ELNS0_17block_load_methodE3ELS4_3ELS4_3ELNS0_20block_scan_algorithmE0ELj4294967295EEENS1_25partition_config_selectorILNS1_17partition_subalgoE3EjNS0_10empty_typeEbEEZZNS1_14partition_implILS8_3ELb0ES6_jNS0_17counting_iteratorIjlEEPS9_SE_NS0_5tupleIJPjSE_EEENSF_IJSE_SE_EEES9_SG_JZNS1_25segmented_radix_sort_implINS0_14default_configELb0EPKaPaPKlPlN2at6native12_GLOBAL__N_18offset_tEEE10hipError_tPvRmT1_PNSt15iterator_traitsISY_E10value_typeET2_T3_PNSZ_IS14_E10value_typeET4_jRbjT5_S1A_jjP12ihipStream_tbEUljE_EEESV_SW_SX_S14_S18_S1A_T6_T7_T9_mT8_S1C_bDpT10_ENKUlT_T0_E_clISt17integral_constantIbLb0EES1O_IbLb1EEEEDaS1K_S1L_EUlS1K_E_NS1_11comp_targetILNS1_3genE5ELNS1_11target_archE942ELNS1_3gpuE9ELNS1_3repE0EEENS1_30default_config_static_selectorELNS0_4arch9wavefront6targetE0EEEvSY_,@function
_ZN7rocprim17ROCPRIM_400000_NS6detail17trampoline_kernelINS0_13select_configILj256ELj13ELNS0_17block_load_methodE3ELS4_3ELS4_3ELNS0_20block_scan_algorithmE0ELj4294967295EEENS1_25partition_config_selectorILNS1_17partition_subalgoE3EjNS0_10empty_typeEbEEZZNS1_14partition_implILS8_3ELb0ES6_jNS0_17counting_iteratorIjlEEPS9_SE_NS0_5tupleIJPjSE_EEENSF_IJSE_SE_EEES9_SG_JZNS1_25segmented_radix_sort_implINS0_14default_configELb0EPKaPaPKlPlN2at6native12_GLOBAL__N_18offset_tEEE10hipError_tPvRmT1_PNSt15iterator_traitsISY_E10value_typeET2_T3_PNSZ_IS14_E10value_typeET4_jRbjT5_S1A_jjP12ihipStream_tbEUljE_EEESV_SW_SX_S14_S18_S1A_T6_T7_T9_mT8_S1C_bDpT10_ENKUlT_T0_E_clISt17integral_constantIbLb0EES1O_IbLb1EEEEDaS1K_S1L_EUlS1K_E_NS1_11comp_targetILNS1_3genE5ELNS1_11target_archE942ELNS1_3gpuE9ELNS1_3repE0EEENS1_30default_config_static_selectorELNS0_4arch9wavefront6targetE0EEEvSY_: ; @_ZN7rocprim17ROCPRIM_400000_NS6detail17trampoline_kernelINS0_13select_configILj256ELj13ELNS0_17block_load_methodE3ELS4_3ELS4_3ELNS0_20block_scan_algorithmE0ELj4294967295EEENS1_25partition_config_selectorILNS1_17partition_subalgoE3EjNS0_10empty_typeEbEEZZNS1_14partition_implILS8_3ELb0ES6_jNS0_17counting_iteratorIjlEEPS9_SE_NS0_5tupleIJPjSE_EEENSF_IJSE_SE_EEES9_SG_JZNS1_25segmented_radix_sort_implINS0_14default_configELb0EPKaPaPKlPlN2at6native12_GLOBAL__N_18offset_tEEE10hipError_tPvRmT1_PNSt15iterator_traitsISY_E10value_typeET2_T3_PNSZ_IS14_E10value_typeET4_jRbjT5_S1A_jjP12ihipStream_tbEUljE_EEESV_SW_SX_S14_S18_S1A_T6_T7_T9_mT8_S1C_bDpT10_ENKUlT_T0_E_clISt17integral_constantIbLb0EES1O_IbLb1EEEEDaS1K_S1L_EUlS1K_E_NS1_11comp_targetILNS1_3genE5ELNS1_11target_archE942ELNS1_3gpuE9ELNS1_3repE0EEENS1_30default_config_static_selectorELNS0_4arch9wavefront6targetE0EEEvSY_
; %bb.0:
	.section	.rodata,"a",@progbits
	.p2align	6, 0x0
	.amdhsa_kernel _ZN7rocprim17ROCPRIM_400000_NS6detail17trampoline_kernelINS0_13select_configILj256ELj13ELNS0_17block_load_methodE3ELS4_3ELS4_3ELNS0_20block_scan_algorithmE0ELj4294967295EEENS1_25partition_config_selectorILNS1_17partition_subalgoE3EjNS0_10empty_typeEbEEZZNS1_14partition_implILS8_3ELb0ES6_jNS0_17counting_iteratorIjlEEPS9_SE_NS0_5tupleIJPjSE_EEENSF_IJSE_SE_EEES9_SG_JZNS1_25segmented_radix_sort_implINS0_14default_configELb0EPKaPaPKlPlN2at6native12_GLOBAL__N_18offset_tEEE10hipError_tPvRmT1_PNSt15iterator_traitsISY_E10value_typeET2_T3_PNSZ_IS14_E10value_typeET4_jRbjT5_S1A_jjP12ihipStream_tbEUljE_EEESV_SW_SX_S14_S18_S1A_T6_T7_T9_mT8_S1C_bDpT10_ENKUlT_T0_E_clISt17integral_constantIbLb0EES1O_IbLb1EEEEDaS1K_S1L_EUlS1K_E_NS1_11comp_targetILNS1_3genE5ELNS1_11target_archE942ELNS1_3gpuE9ELNS1_3repE0EEENS1_30default_config_static_selectorELNS0_4arch9wavefront6targetE0EEEvSY_
		.amdhsa_group_segment_fixed_size 0
		.amdhsa_private_segment_fixed_size 0
		.amdhsa_kernarg_size 152
		.amdhsa_user_sgpr_count 2
		.amdhsa_user_sgpr_dispatch_ptr 0
		.amdhsa_user_sgpr_queue_ptr 0
		.amdhsa_user_sgpr_kernarg_segment_ptr 1
		.amdhsa_user_sgpr_dispatch_id 0
		.amdhsa_user_sgpr_kernarg_preload_length 0
		.amdhsa_user_sgpr_kernarg_preload_offset 0
		.amdhsa_user_sgpr_private_segment_size 0
		.amdhsa_wavefront_size32 1
		.amdhsa_uses_dynamic_stack 0
		.amdhsa_enable_private_segment 0
		.amdhsa_system_sgpr_workgroup_id_x 1
		.amdhsa_system_sgpr_workgroup_id_y 0
		.amdhsa_system_sgpr_workgroup_id_z 0
		.amdhsa_system_sgpr_workgroup_info 0
		.amdhsa_system_vgpr_workitem_id 0
		.amdhsa_next_free_vgpr 1
		.amdhsa_next_free_sgpr 1
		.amdhsa_named_barrier_count 0
		.amdhsa_reserve_vcc 0
		.amdhsa_float_round_mode_32 0
		.amdhsa_float_round_mode_16_64 0
		.amdhsa_float_denorm_mode_32 3
		.amdhsa_float_denorm_mode_16_64 3
		.amdhsa_fp16_overflow 0
		.amdhsa_memory_ordered 1
		.amdhsa_forward_progress 1
		.amdhsa_inst_pref_size 0
		.amdhsa_round_robin_scheduling 0
		.amdhsa_exception_fp_ieee_invalid_op 0
		.amdhsa_exception_fp_denorm_src 0
		.amdhsa_exception_fp_ieee_div_zero 0
		.amdhsa_exception_fp_ieee_overflow 0
		.amdhsa_exception_fp_ieee_underflow 0
		.amdhsa_exception_fp_ieee_inexact 0
		.amdhsa_exception_int_div_zero 0
	.end_amdhsa_kernel
	.section	.text._ZN7rocprim17ROCPRIM_400000_NS6detail17trampoline_kernelINS0_13select_configILj256ELj13ELNS0_17block_load_methodE3ELS4_3ELS4_3ELNS0_20block_scan_algorithmE0ELj4294967295EEENS1_25partition_config_selectorILNS1_17partition_subalgoE3EjNS0_10empty_typeEbEEZZNS1_14partition_implILS8_3ELb0ES6_jNS0_17counting_iteratorIjlEEPS9_SE_NS0_5tupleIJPjSE_EEENSF_IJSE_SE_EEES9_SG_JZNS1_25segmented_radix_sort_implINS0_14default_configELb0EPKaPaPKlPlN2at6native12_GLOBAL__N_18offset_tEEE10hipError_tPvRmT1_PNSt15iterator_traitsISY_E10value_typeET2_T3_PNSZ_IS14_E10value_typeET4_jRbjT5_S1A_jjP12ihipStream_tbEUljE_EEESV_SW_SX_S14_S18_S1A_T6_T7_T9_mT8_S1C_bDpT10_ENKUlT_T0_E_clISt17integral_constantIbLb0EES1O_IbLb1EEEEDaS1K_S1L_EUlS1K_E_NS1_11comp_targetILNS1_3genE5ELNS1_11target_archE942ELNS1_3gpuE9ELNS1_3repE0EEENS1_30default_config_static_selectorELNS0_4arch9wavefront6targetE0EEEvSY_,"axG",@progbits,_ZN7rocprim17ROCPRIM_400000_NS6detail17trampoline_kernelINS0_13select_configILj256ELj13ELNS0_17block_load_methodE3ELS4_3ELS4_3ELNS0_20block_scan_algorithmE0ELj4294967295EEENS1_25partition_config_selectorILNS1_17partition_subalgoE3EjNS0_10empty_typeEbEEZZNS1_14partition_implILS8_3ELb0ES6_jNS0_17counting_iteratorIjlEEPS9_SE_NS0_5tupleIJPjSE_EEENSF_IJSE_SE_EEES9_SG_JZNS1_25segmented_radix_sort_implINS0_14default_configELb0EPKaPaPKlPlN2at6native12_GLOBAL__N_18offset_tEEE10hipError_tPvRmT1_PNSt15iterator_traitsISY_E10value_typeET2_T3_PNSZ_IS14_E10value_typeET4_jRbjT5_S1A_jjP12ihipStream_tbEUljE_EEESV_SW_SX_S14_S18_S1A_T6_T7_T9_mT8_S1C_bDpT10_ENKUlT_T0_E_clISt17integral_constantIbLb0EES1O_IbLb1EEEEDaS1K_S1L_EUlS1K_E_NS1_11comp_targetILNS1_3genE5ELNS1_11target_archE942ELNS1_3gpuE9ELNS1_3repE0EEENS1_30default_config_static_selectorELNS0_4arch9wavefront6targetE0EEEvSY_,comdat
.Lfunc_end383:
	.size	_ZN7rocprim17ROCPRIM_400000_NS6detail17trampoline_kernelINS0_13select_configILj256ELj13ELNS0_17block_load_methodE3ELS4_3ELS4_3ELNS0_20block_scan_algorithmE0ELj4294967295EEENS1_25partition_config_selectorILNS1_17partition_subalgoE3EjNS0_10empty_typeEbEEZZNS1_14partition_implILS8_3ELb0ES6_jNS0_17counting_iteratorIjlEEPS9_SE_NS0_5tupleIJPjSE_EEENSF_IJSE_SE_EEES9_SG_JZNS1_25segmented_radix_sort_implINS0_14default_configELb0EPKaPaPKlPlN2at6native12_GLOBAL__N_18offset_tEEE10hipError_tPvRmT1_PNSt15iterator_traitsISY_E10value_typeET2_T3_PNSZ_IS14_E10value_typeET4_jRbjT5_S1A_jjP12ihipStream_tbEUljE_EEESV_SW_SX_S14_S18_S1A_T6_T7_T9_mT8_S1C_bDpT10_ENKUlT_T0_E_clISt17integral_constantIbLb0EES1O_IbLb1EEEEDaS1K_S1L_EUlS1K_E_NS1_11comp_targetILNS1_3genE5ELNS1_11target_archE942ELNS1_3gpuE9ELNS1_3repE0EEENS1_30default_config_static_selectorELNS0_4arch9wavefront6targetE0EEEvSY_, .Lfunc_end383-_ZN7rocprim17ROCPRIM_400000_NS6detail17trampoline_kernelINS0_13select_configILj256ELj13ELNS0_17block_load_methodE3ELS4_3ELS4_3ELNS0_20block_scan_algorithmE0ELj4294967295EEENS1_25partition_config_selectorILNS1_17partition_subalgoE3EjNS0_10empty_typeEbEEZZNS1_14partition_implILS8_3ELb0ES6_jNS0_17counting_iteratorIjlEEPS9_SE_NS0_5tupleIJPjSE_EEENSF_IJSE_SE_EEES9_SG_JZNS1_25segmented_radix_sort_implINS0_14default_configELb0EPKaPaPKlPlN2at6native12_GLOBAL__N_18offset_tEEE10hipError_tPvRmT1_PNSt15iterator_traitsISY_E10value_typeET2_T3_PNSZ_IS14_E10value_typeET4_jRbjT5_S1A_jjP12ihipStream_tbEUljE_EEESV_SW_SX_S14_S18_S1A_T6_T7_T9_mT8_S1C_bDpT10_ENKUlT_T0_E_clISt17integral_constantIbLb0EES1O_IbLb1EEEEDaS1K_S1L_EUlS1K_E_NS1_11comp_targetILNS1_3genE5ELNS1_11target_archE942ELNS1_3gpuE9ELNS1_3repE0EEENS1_30default_config_static_selectorELNS0_4arch9wavefront6targetE0EEEvSY_
                                        ; -- End function
	.set _ZN7rocprim17ROCPRIM_400000_NS6detail17trampoline_kernelINS0_13select_configILj256ELj13ELNS0_17block_load_methodE3ELS4_3ELS4_3ELNS0_20block_scan_algorithmE0ELj4294967295EEENS1_25partition_config_selectorILNS1_17partition_subalgoE3EjNS0_10empty_typeEbEEZZNS1_14partition_implILS8_3ELb0ES6_jNS0_17counting_iteratorIjlEEPS9_SE_NS0_5tupleIJPjSE_EEENSF_IJSE_SE_EEES9_SG_JZNS1_25segmented_radix_sort_implINS0_14default_configELb0EPKaPaPKlPlN2at6native12_GLOBAL__N_18offset_tEEE10hipError_tPvRmT1_PNSt15iterator_traitsISY_E10value_typeET2_T3_PNSZ_IS14_E10value_typeET4_jRbjT5_S1A_jjP12ihipStream_tbEUljE_EEESV_SW_SX_S14_S18_S1A_T6_T7_T9_mT8_S1C_bDpT10_ENKUlT_T0_E_clISt17integral_constantIbLb0EES1O_IbLb1EEEEDaS1K_S1L_EUlS1K_E_NS1_11comp_targetILNS1_3genE5ELNS1_11target_archE942ELNS1_3gpuE9ELNS1_3repE0EEENS1_30default_config_static_selectorELNS0_4arch9wavefront6targetE0EEEvSY_.num_vgpr, 0
	.set _ZN7rocprim17ROCPRIM_400000_NS6detail17trampoline_kernelINS0_13select_configILj256ELj13ELNS0_17block_load_methodE3ELS4_3ELS4_3ELNS0_20block_scan_algorithmE0ELj4294967295EEENS1_25partition_config_selectorILNS1_17partition_subalgoE3EjNS0_10empty_typeEbEEZZNS1_14partition_implILS8_3ELb0ES6_jNS0_17counting_iteratorIjlEEPS9_SE_NS0_5tupleIJPjSE_EEENSF_IJSE_SE_EEES9_SG_JZNS1_25segmented_radix_sort_implINS0_14default_configELb0EPKaPaPKlPlN2at6native12_GLOBAL__N_18offset_tEEE10hipError_tPvRmT1_PNSt15iterator_traitsISY_E10value_typeET2_T3_PNSZ_IS14_E10value_typeET4_jRbjT5_S1A_jjP12ihipStream_tbEUljE_EEESV_SW_SX_S14_S18_S1A_T6_T7_T9_mT8_S1C_bDpT10_ENKUlT_T0_E_clISt17integral_constantIbLb0EES1O_IbLb1EEEEDaS1K_S1L_EUlS1K_E_NS1_11comp_targetILNS1_3genE5ELNS1_11target_archE942ELNS1_3gpuE9ELNS1_3repE0EEENS1_30default_config_static_selectorELNS0_4arch9wavefront6targetE0EEEvSY_.num_agpr, 0
	.set _ZN7rocprim17ROCPRIM_400000_NS6detail17trampoline_kernelINS0_13select_configILj256ELj13ELNS0_17block_load_methodE3ELS4_3ELS4_3ELNS0_20block_scan_algorithmE0ELj4294967295EEENS1_25partition_config_selectorILNS1_17partition_subalgoE3EjNS0_10empty_typeEbEEZZNS1_14partition_implILS8_3ELb0ES6_jNS0_17counting_iteratorIjlEEPS9_SE_NS0_5tupleIJPjSE_EEENSF_IJSE_SE_EEES9_SG_JZNS1_25segmented_radix_sort_implINS0_14default_configELb0EPKaPaPKlPlN2at6native12_GLOBAL__N_18offset_tEEE10hipError_tPvRmT1_PNSt15iterator_traitsISY_E10value_typeET2_T3_PNSZ_IS14_E10value_typeET4_jRbjT5_S1A_jjP12ihipStream_tbEUljE_EEESV_SW_SX_S14_S18_S1A_T6_T7_T9_mT8_S1C_bDpT10_ENKUlT_T0_E_clISt17integral_constantIbLb0EES1O_IbLb1EEEEDaS1K_S1L_EUlS1K_E_NS1_11comp_targetILNS1_3genE5ELNS1_11target_archE942ELNS1_3gpuE9ELNS1_3repE0EEENS1_30default_config_static_selectorELNS0_4arch9wavefront6targetE0EEEvSY_.numbered_sgpr, 0
	.set _ZN7rocprim17ROCPRIM_400000_NS6detail17trampoline_kernelINS0_13select_configILj256ELj13ELNS0_17block_load_methodE3ELS4_3ELS4_3ELNS0_20block_scan_algorithmE0ELj4294967295EEENS1_25partition_config_selectorILNS1_17partition_subalgoE3EjNS0_10empty_typeEbEEZZNS1_14partition_implILS8_3ELb0ES6_jNS0_17counting_iteratorIjlEEPS9_SE_NS0_5tupleIJPjSE_EEENSF_IJSE_SE_EEES9_SG_JZNS1_25segmented_radix_sort_implINS0_14default_configELb0EPKaPaPKlPlN2at6native12_GLOBAL__N_18offset_tEEE10hipError_tPvRmT1_PNSt15iterator_traitsISY_E10value_typeET2_T3_PNSZ_IS14_E10value_typeET4_jRbjT5_S1A_jjP12ihipStream_tbEUljE_EEESV_SW_SX_S14_S18_S1A_T6_T7_T9_mT8_S1C_bDpT10_ENKUlT_T0_E_clISt17integral_constantIbLb0EES1O_IbLb1EEEEDaS1K_S1L_EUlS1K_E_NS1_11comp_targetILNS1_3genE5ELNS1_11target_archE942ELNS1_3gpuE9ELNS1_3repE0EEENS1_30default_config_static_selectorELNS0_4arch9wavefront6targetE0EEEvSY_.num_named_barrier, 0
	.set _ZN7rocprim17ROCPRIM_400000_NS6detail17trampoline_kernelINS0_13select_configILj256ELj13ELNS0_17block_load_methodE3ELS4_3ELS4_3ELNS0_20block_scan_algorithmE0ELj4294967295EEENS1_25partition_config_selectorILNS1_17partition_subalgoE3EjNS0_10empty_typeEbEEZZNS1_14partition_implILS8_3ELb0ES6_jNS0_17counting_iteratorIjlEEPS9_SE_NS0_5tupleIJPjSE_EEENSF_IJSE_SE_EEES9_SG_JZNS1_25segmented_radix_sort_implINS0_14default_configELb0EPKaPaPKlPlN2at6native12_GLOBAL__N_18offset_tEEE10hipError_tPvRmT1_PNSt15iterator_traitsISY_E10value_typeET2_T3_PNSZ_IS14_E10value_typeET4_jRbjT5_S1A_jjP12ihipStream_tbEUljE_EEESV_SW_SX_S14_S18_S1A_T6_T7_T9_mT8_S1C_bDpT10_ENKUlT_T0_E_clISt17integral_constantIbLb0EES1O_IbLb1EEEEDaS1K_S1L_EUlS1K_E_NS1_11comp_targetILNS1_3genE5ELNS1_11target_archE942ELNS1_3gpuE9ELNS1_3repE0EEENS1_30default_config_static_selectorELNS0_4arch9wavefront6targetE0EEEvSY_.private_seg_size, 0
	.set _ZN7rocprim17ROCPRIM_400000_NS6detail17trampoline_kernelINS0_13select_configILj256ELj13ELNS0_17block_load_methodE3ELS4_3ELS4_3ELNS0_20block_scan_algorithmE0ELj4294967295EEENS1_25partition_config_selectorILNS1_17partition_subalgoE3EjNS0_10empty_typeEbEEZZNS1_14partition_implILS8_3ELb0ES6_jNS0_17counting_iteratorIjlEEPS9_SE_NS0_5tupleIJPjSE_EEENSF_IJSE_SE_EEES9_SG_JZNS1_25segmented_radix_sort_implINS0_14default_configELb0EPKaPaPKlPlN2at6native12_GLOBAL__N_18offset_tEEE10hipError_tPvRmT1_PNSt15iterator_traitsISY_E10value_typeET2_T3_PNSZ_IS14_E10value_typeET4_jRbjT5_S1A_jjP12ihipStream_tbEUljE_EEESV_SW_SX_S14_S18_S1A_T6_T7_T9_mT8_S1C_bDpT10_ENKUlT_T0_E_clISt17integral_constantIbLb0EES1O_IbLb1EEEEDaS1K_S1L_EUlS1K_E_NS1_11comp_targetILNS1_3genE5ELNS1_11target_archE942ELNS1_3gpuE9ELNS1_3repE0EEENS1_30default_config_static_selectorELNS0_4arch9wavefront6targetE0EEEvSY_.uses_vcc, 0
	.set _ZN7rocprim17ROCPRIM_400000_NS6detail17trampoline_kernelINS0_13select_configILj256ELj13ELNS0_17block_load_methodE3ELS4_3ELS4_3ELNS0_20block_scan_algorithmE0ELj4294967295EEENS1_25partition_config_selectorILNS1_17partition_subalgoE3EjNS0_10empty_typeEbEEZZNS1_14partition_implILS8_3ELb0ES6_jNS0_17counting_iteratorIjlEEPS9_SE_NS0_5tupleIJPjSE_EEENSF_IJSE_SE_EEES9_SG_JZNS1_25segmented_radix_sort_implINS0_14default_configELb0EPKaPaPKlPlN2at6native12_GLOBAL__N_18offset_tEEE10hipError_tPvRmT1_PNSt15iterator_traitsISY_E10value_typeET2_T3_PNSZ_IS14_E10value_typeET4_jRbjT5_S1A_jjP12ihipStream_tbEUljE_EEESV_SW_SX_S14_S18_S1A_T6_T7_T9_mT8_S1C_bDpT10_ENKUlT_T0_E_clISt17integral_constantIbLb0EES1O_IbLb1EEEEDaS1K_S1L_EUlS1K_E_NS1_11comp_targetILNS1_3genE5ELNS1_11target_archE942ELNS1_3gpuE9ELNS1_3repE0EEENS1_30default_config_static_selectorELNS0_4arch9wavefront6targetE0EEEvSY_.uses_flat_scratch, 0
	.set _ZN7rocprim17ROCPRIM_400000_NS6detail17trampoline_kernelINS0_13select_configILj256ELj13ELNS0_17block_load_methodE3ELS4_3ELS4_3ELNS0_20block_scan_algorithmE0ELj4294967295EEENS1_25partition_config_selectorILNS1_17partition_subalgoE3EjNS0_10empty_typeEbEEZZNS1_14partition_implILS8_3ELb0ES6_jNS0_17counting_iteratorIjlEEPS9_SE_NS0_5tupleIJPjSE_EEENSF_IJSE_SE_EEES9_SG_JZNS1_25segmented_radix_sort_implINS0_14default_configELb0EPKaPaPKlPlN2at6native12_GLOBAL__N_18offset_tEEE10hipError_tPvRmT1_PNSt15iterator_traitsISY_E10value_typeET2_T3_PNSZ_IS14_E10value_typeET4_jRbjT5_S1A_jjP12ihipStream_tbEUljE_EEESV_SW_SX_S14_S18_S1A_T6_T7_T9_mT8_S1C_bDpT10_ENKUlT_T0_E_clISt17integral_constantIbLb0EES1O_IbLb1EEEEDaS1K_S1L_EUlS1K_E_NS1_11comp_targetILNS1_3genE5ELNS1_11target_archE942ELNS1_3gpuE9ELNS1_3repE0EEENS1_30default_config_static_selectorELNS0_4arch9wavefront6targetE0EEEvSY_.has_dyn_sized_stack, 0
	.set _ZN7rocprim17ROCPRIM_400000_NS6detail17trampoline_kernelINS0_13select_configILj256ELj13ELNS0_17block_load_methodE3ELS4_3ELS4_3ELNS0_20block_scan_algorithmE0ELj4294967295EEENS1_25partition_config_selectorILNS1_17partition_subalgoE3EjNS0_10empty_typeEbEEZZNS1_14partition_implILS8_3ELb0ES6_jNS0_17counting_iteratorIjlEEPS9_SE_NS0_5tupleIJPjSE_EEENSF_IJSE_SE_EEES9_SG_JZNS1_25segmented_radix_sort_implINS0_14default_configELb0EPKaPaPKlPlN2at6native12_GLOBAL__N_18offset_tEEE10hipError_tPvRmT1_PNSt15iterator_traitsISY_E10value_typeET2_T3_PNSZ_IS14_E10value_typeET4_jRbjT5_S1A_jjP12ihipStream_tbEUljE_EEESV_SW_SX_S14_S18_S1A_T6_T7_T9_mT8_S1C_bDpT10_ENKUlT_T0_E_clISt17integral_constantIbLb0EES1O_IbLb1EEEEDaS1K_S1L_EUlS1K_E_NS1_11comp_targetILNS1_3genE5ELNS1_11target_archE942ELNS1_3gpuE9ELNS1_3repE0EEENS1_30default_config_static_selectorELNS0_4arch9wavefront6targetE0EEEvSY_.has_recursion, 0
	.set _ZN7rocprim17ROCPRIM_400000_NS6detail17trampoline_kernelINS0_13select_configILj256ELj13ELNS0_17block_load_methodE3ELS4_3ELS4_3ELNS0_20block_scan_algorithmE0ELj4294967295EEENS1_25partition_config_selectorILNS1_17partition_subalgoE3EjNS0_10empty_typeEbEEZZNS1_14partition_implILS8_3ELb0ES6_jNS0_17counting_iteratorIjlEEPS9_SE_NS0_5tupleIJPjSE_EEENSF_IJSE_SE_EEES9_SG_JZNS1_25segmented_radix_sort_implINS0_14default_configELb0EPKaPaPKlPlN2at6native12_GLOBAL__N_18offset_tEEE10hipError_tPvRmT1_PNSt15iterator_traitsISY_E10value_typeET2_T3_PNSZ_IS14_E10value_typeET4_jRbjT5_S1A_jjP12ihipStream_tbEUljE_EEESV_SW_SX_S14_S18_S1A_T6_T7_T9_mT8_S1C_bDpT10_ENKUlT_T0_E_clISt17integral_constantIbLb0EES1O_IbLb1EEEEDaS1K_S1L_EUlS1K_E_NS1_11comp_targetILNS1_3genE5ELNS1_11target_archE942ELNS1_3gpuE9ELNS1_3repE0EEENS1_30default_config_static_selectorELNS0_4arch9wavefront6targetE0EEEvSY_.has_indirect_call, 0
	.section	.AMDGPU.csdata,"",@progbits
; Kernel info:
; codeLenInByte = 0
; TotalNumSgprs: 0
; NumVgprs: 0
; ScratchSize: 0
; MemoryBound: 0
; FloatMode: 240
; IeeeMode: 1
; LDSByteSize: 0 bytes/workgroup (compile time only)
; SGPRBlocks: 0
; VGPRBlocks: 0
; NumSGPRsForWavesPerEU: 1
; NumVGPRsForWavesPerEU: 1
; NamedBarCnt: 0
; Occupancy: 16
; WaveLimiterHint : 0
; COMPUTE_PGM_RSRC2:SCRATCH_EN: 0
; COMPUTE_PGM_RSRC2:USER_SGPR: 2
; COMPUTE_PGM_RSRC2:TRAP_HANDLER: 0
; COMPUTE_PGM_RSRC2:TGID_X_EN: 1
; COMPUTE_PGM_RSRC2:TGID_Y_EN: 0
; COMPUTE_PGM_RSRC2:TGID_Z_EN: 0
; COMPUTE_PGM_RSRC2:TIDIG_COMP_CNT: 0
	.section	.text._ZN7rocprim17ROCPRIM_400000_NS6detail17trampoline_kernelINS0_13select_configILj256ELj13ELNS0_17block_load_methodE3ELS4_3ELS4_3ELNS0_20block_scan_algorithmE0ELj4294967295EEENS1_25partition_config_selectorILNS1_17partition_subalgoE3EjNS0_10empty_typeEbEEZZNS1_14partition_implILS8_3ELb0ES6_jNS0_17counting_iteratorIjlEEPS9_SE_NS0_5tupleIJPjSE_EEENSF_IJSE_SE_EEES9_SG_JZNS1_25segmented_radix_sort_implINS0_14default_configELb0EPKaPaPKlPlN2at6native12_GLOBAL__N_18offset_tEEE10hipError_tPvRmT1_PNSt15iterator_traitsISY_E10value_typeET2_T3_PNSZ_IS14_E10value_typeET4_jRbjT5_S1A_jjP12ihipStream_tbEUljE_EEESV_SW_SX_S14_S18_S1A_T6_T7_T9_mT8_S1C_bDpT10_ENKUlT_T0_E_clISt17integral_constantIbLb0EES1O_IbLb1EEEEDaS1K_S1L_EUlS1K_E_NS1_11comp_targetILNS1_3genE4ELNS1_11target_archE910ELNS1_3gpuE8ELNS1_3repE0EEENS1_30default_config_static_selectorELNS0_4arch9wavefront6targetE0EEEvSY_,"axG",@progbits,_ZN7rocprim17ROCPRIM_400000_NS6detail17trampoline_kernelINS0_13select_configILj256ELj13ELNS0_17block_load_methodE3ELS4_3ELS4_3ELNS0_20block_scan_algorithmE0ELj4294967295EEENS1_25partition_config_selectorILNS1_17partition_subalgoE3EjNS0_10empty_typeEbEEZZNS1_14partition_implILS8_3ELb0ES6_jNS0_17counting_iteratorIjlEEPS9_SE_NS0_5tupleIJPjSE_EEENSF_IJSE_SE_EEES9_SG_JZNS1_25segmented_radix_sort_implINS0_14default_configELb0EPKaPaPKlPlN2at6native12_GLOBAL__N_18offset_tEEE10hipError_tPvRmT1_PNSt15iterator_traitsISY_E10value_typeET2_T3_PNSZ_IS14_E10value_typeET4_jRbjT5_S1A_jjP12ihipStream_tbEUljE_EEESV_SW_SX_S14_S18_S1A_T6_T7_T9_mT8_S1C_bDpT10_ENKUlT_T0_E_clISt17integral_constantIbLb0EES1O_IbLb1EEEEDaS1K_S1L_EUlS1K_E_NS1_11comp_targetILNS1_3genE4ELNS1_11target_archE910ELNS1_3gpuE8ELNS1_3repE0EEENS1_30default_config_static_selectorELNS0_4arch9wavefront6targetE0EEEvSY_,comdat
	.globl	_ZN7rocprim17ROCPRIM_400000_NS6detail17trampoline_kernelINS0_13select_configILj256ELj13ELNS0_17block_load_methodE3ELS4_3ELS4_3ELNS0_20block_scan_algorithmE0ELj4294967295EEENS1_25partition_config_selectorILNS1_17partition_subalgoE3EjNS0_10empty_typeEbEEZZNS1_14partition_implILS8_3ELb0ES6_jNS0_17counting_iteratorIjlEEPS9_SE_NS0_5tupleIJPjSE_EEENSF_IJSE_SE_EEES9_SG_JZNS1_25segmented_radix_sort_implINS0_14default_configELb0EPKaPaPKlPlN2at6native12_GLOBAL__N_18offset_tEEE10hipError_tPvRmT1_PNSt15iterator_traitsISY_E10value_typeET2_T3_PNSZ_IS14_E10value_typeET4_jRbjT5_S1A_jjP12ihipStream_tbEUljE_EEESV_SW_SX_S14_S18_S1A_T6_T7_T9_mT8_S1C_bDpT10_ENKUlT_T0_E_clISt17integral_constantIbLb0EES1O_IbLb1EEEEDaS1K_S1L_EUlS1K_E_NS1_11comp_targetILNS1_3genE4ELNS1_11target_archE910ELNS1_3gpuE8ELNS1_3repE0EEENS1_30default_config_static_selectorELNS0_4arch9wavefront6targetE0EEEvSY_ ; -- Begin function _ZN7rocprim17ROCPRIM_400000_NS6detail17trampoline_kernelINS0_13select_configILj256ELj13ELNS0_17block_load_methodE3ELS4_3ELS4_3ELNS0_20block_scan_algorithmE0ELj4294967295EEENS1_25partition_config_selectorILNS1_17partition_subalgoE3EjNS0_10empty_typeEbEEZZNS1_14partition_implILS8_3ELb0ES6_jNS0_17counting_iteratorIjlEEPS9_SE_NS0_5tupleIJPjSE_EEENSF_IJSE_SE_EEES9_SG_JZNS1_25segmented_radix_sort_implINS0_14default_configELb0EPKaPaPKlPlN2at6native12_GLOBAL__N_18offset_tEEE10hipError_tPvRmT1_PNSt15iterator_traitsISY_E10value_typeET2_T3_PNSZ_IS14_E10value_typeET4_jRbjT5_S1A_jjP12ihipStream_tbEUljE_EEESV_SW_SX_S14_S18_S1A_T6_T7_T9_mT8_S1C_bDpT10_ENKUlT_T0_E_clISt17integral_constantIbLb0EES1O_IbLb1EEEEDaS1K_S1L_EUlS1K_E_NS1_11comp_targetILNS1_3genE4ELNS1_11target_archE910ELNS1_3gpuE8ELNS1_3repE0EEENS1_30default_config_static_selectorELNS0_4arch9wavefront6targetE0EEEvSY_
	.p2align	8
	.type	_ZN7rocprim17ROCPRIM_400000_NS6detail17trampoline_kernelINS0_13select_configILj256ELj13ELNS0_17block_load_methodE3ELS4_3ELS4_3ELNS0_20block_scan_algorithmE0ELj4294967295EEENS1_25partition_config_selectorILNS1_17partition_subalgoE3EjNS0_10empty_typeEbEEZZNS1_14partition_implILS8_3ELb0ES6_jNS0_17counting_iteratorIjlEEPS9_SE_NS0_5tupleIJPjSE_EEENSF_IJSE_SE_EEES9_SG_JZNS1_25segmented_radix_sort_implINS0_14default_configELb0EPKaPaPKlPlN2at6native12_GLOBAL__N_18offset_tEEE10hipError_tPvRmT1_PNSt15iterator_traitsISY_E10value_typeET2_T3_PNSZ_IS14_E10value_typeET4_jRbjT5_S1A_jjP12ihipStream_tbEUljE_EEESV_SW_SX_S14_S18_S1A_T6_T7_T9_mT8_S1C_bDpT10_ENKUlT_T0_E_clISt17integral_constantIbLb0EES1O_IbLb1EEEEDaS1K_S1L_EUlS1K_E_NS1_11comp_targetILNS1_3genE4ELNS1_11target_archE910ELNS1_3gpuE8ELNS1_3repE0EEENS1_30default_config_static_selectorELNS0_4arch9wavefront6targetE0EEEvSY_,@function
_ZN7rocprim17ROCPRIM_400000_NS6detail17trampoline_kernelINS0_13select_configILj256ELj13ELNS0_17block_load_methodE3ELS4_3ELS4_3ELNS0_20block_scan_algorithmE0ELj4294967295EEENS1_25partition_config_selectorILNS1_17partition_subalgoE3EjNS0_10empty_typeEbEEZZNS1_14partition_implILS8_3ELb0ES6_jNS0_17counting_iteratorIjlEEPS9_SE_NS0_5tupleIJPjSE_EEENSF_IJSE_SE_EEES9_SG_JZNS1_25segmented_radix_sort_implINS0_14default_configELb0EPKaPaPKlPlN2at6native12_GLOBAL__N_18offset_tEEE10hipError_tPvRmT1_PNSt15iterator_traitsISY_E10value_typeET2_T3_PNSZ_IS14_E10value_typeET4_jRbjT5_S1A_jjP12ihipStream_tbEUljE_EEESV_SW_SX_S14_S18_S1A_T6_T7_T9_mT8_S1C_bDpT10_ENKUlT_T0_E_clISt17integral_constantIbLb0EES1O_IbLb1EEEEDaS1K_S1L_EUlS1K_E_NS1_11comp_targetILNS1_3genE4ELNS1_11target_archE910ELNS1_3gpuE8ELNS1_3repE0EEENS1_30default_config_static_selectorELNS0_4arch9wavefront6targetE0EEEvSY_: ; @_ZN7rocprim17ROCPRIM_400000_NS6detail17trampoline_kernelINS0_13select_configILj256ELj13ELNS0_17block_load_methodE3ELS4_3ELS4_3ELNS0_20block_scan_algorithmE0ELj4294967295EEENS1_25partition_config_selectorILNS1_17partition_subalgoE3EjNS0_10empty_typeEbEEZZNS1_14partition_implILS8_3ELb0ES6_jNS0_17counting_iteratorIjlEEPS9_SE_NS0_5tupleIJPjSE_EEENSF_IJSE_SE_EEES9_SG_JZNS1_25segmented_radix_sort_implINS0_14default_configELb0EPKaPaPKlPlN2at6native12_GLOBAL__N_18offset_tEEE10hipError_tPvRmT1_PNSt15iterator_traitsISY_E10value_typeET2_T3_PNSZ_IS14_E10value_typeET4_jRbjT5_S1A_jjP12ihipStream_tbEUljE_EEESV_SW_SX_S14_S18_S1A_T6_T7_T9_mT8_S1C_bDpT10_ENKUlT_T0_E_clISt17integral_constantIbLb0EES1O_IbLb1EEEEDaS1K_S1L_EUlS1K_E_NS1_11comp_targetILNS1_3genE4ELNS1_11target_archE910ELNS1_3gpuE8ELNS1_3repE0EEENS1_30default_config_static_selectorELNS0_4arch9wavefront6targetE0EEEvSY_
; %bb.0:
	.section	.rodata,"a",@progbits
	.p2align	6, 0x0
	.amdhsa_kernel _ZN7rocprim17ROCPRIM_400000_NS6detail17trampoline_kernelINS0_13select_configILj256ELj13ELNS0_17block_load_methodE3ELS4_3ELS4_3ELNS0_20block_scan_algorithmE0ELj4294967295EEENS1_25partition_config_selectorILNS1_17partition_subalgoE3EjNS0_10empty_typeEbEEZZNS1_14partition_implILS8_3ELb0ES6_jNS0_17counting_iteratorIjlEEPS9_SE_NS0_5tupleIJPjSE_EEENSF_IJSE_SE_EEES9_SG_JZNS1_25segmented_radix_sort_implINS0_14default_configELb0EPKaPaPKlPlN2at6native12_GLOBAL__N_18offset_tEEE10hipError_tPvRmT1_PNSt15iterator_traitsISY_E10value_typeET2_T3_PNSZ_IS14_E10value_typeET4_jRbjT5_S1A_jjP12ihipStream_tbEUljE_EEESV_SW_SX_S14_S18_S1A_T6_T7_T9_mT8_S1C_bDpT10_ENKUlT_T0_E_clISt17integral_constantIbLb0EES1O_IbLb1EEEEDaS1K_S1L_EUlS1K_E_NS1_11comp_targetILNS1_3genE4ELNS1_11target_archE910ELNS1_3gpuE8ELNS1_3repE0EEENS1_30default_config_static_selectorELNS0_4arch9wavefront6targetE0EEEvSY_
		.amdhsa_group_segment_fixed_size 0
		.amdhsa_private_segment_fixed_size 0
		.amdhsa_kernarg_size 152
		.amdhsa_user_sgpr_count 2
		.amdhsa_user_sgpr_dispatch_ptr 0
		.amdhsa_user_sgpr_queue_ptr 0
		.amdhsa_user_sgpr_kernarg_segment_ptr 1
		.amdhsa_user_sgpr_dispatch_id 0
		.amdhsa_user_sgpr_kernarg_preload_length 0
		.amdhsa_user_sgpr_kernarg_preload_offset 0
		.amdhsa_user_sgpr_private_segment_size 0
		.amdhsa_wavefront_size32 1
		.amdhsa_uses_dynamic_stack 0
		.amdhsa_enable_private_segment 0
		.amdhsa_system_sgpr_workgroup_id_x 1
		.amdhsa_system_sgpr_workgroup_id_y 0
		.amdhsa_system_sgpr_workgroup_id_z 0
		.amdhsa_system_sgpr_workgroup_info 0
		.amdhsa_system_vgpr_workitem_id 0
		.amdhsa_next_free_vgpr 1
		.amdhsa_next_free_sgpr 1
		.amdhsa_named_barrier_count 0
		.amdhsa_reserve_vcc 0
		.amdhsa_float_round_mode_32 0
		.amdhsa_float_round_mode_16_64 0
		.amdhsa_float_denorm_mode_32 3
		.amdhsa_float_denorm_mode_16_64 3
		.amdhsa_fp16_overflow 0
		.amdhsa_memory_ordered 1
		.amdhsa_forward_progress 1
		.amdhsa_inst_pref_size 0
		.amdhsa_round_robin_scheduling 0
		.amdhsa_exception_fp_ieee_invalid_op 0
		.amdhsa_exception_fp_denorm_src 0
		.amdhsa_exception_fp_ieee_div_zero 0
		.amdhsa_exception_fp_ieee_overflow 0
		.amdhsa_exception_fp_ieee_underflow 0
		.amdhsa_exception_fp_ieee_inexact 0
		.amdhsa_exception_int_div_zero 0
	.end_amdhsa_kernel
	.section	.text._ZN7rocprim17ROCPRIM_400000_NS6detail17trampoline_kernelINS0_13select_configILj256ELj13ELNS0_17block_load_methodE3ELS4_3ELS4_3ELNS0_20block_scan_algorithmE0ELj4294967295EEENS1_25partition_config_selectorILNS1_17partition_subalgoE3EjNS0_10empty_typeEbEEZZNS1_14partition_implILS8_3ELb0ES6_jNS0_17counting_iteratorIjlEEPS9_SE_NS0_5tupleIJPjSE_EEENSF_IJSE_SE_EEES9_SG_JZNS1_25segmented_radix_sort_implINS0_14default_configELb0EPKaPaPKlPlN2at6native12_GLOBAL__N_18offset_tEEE10hipError_tPvRmT1_PNSt15iterator_traitsISY_E10value_typeET2_T3_PNSZ_IS14_E10value_typeET4_jRbjT5_S1A_jjP12ihipStream_tbEUljE_EEESV_SW_SX_S14_S18_S1A_T6_T7_T9_mT8_S1C_bDpT10_ENKUlT_T0_E_clISt17integral_constantIbLb0EES1O_IbLb1EEEEDaS1K_S1L_EUlS1K_E_NS1_11comp_targetILNS1_3genE4ELNS1_11target_archE910ELNS1_3gpuE8ELNS1_3repE0EEENS1_30default_config_static_selectorELNS0_4arch9wavefront6targetE0EEEvSY_,"axG",@progbits,_ZN7rocprim17ROCPRIM_400000_NS6detail17trampoline_kernelINS0_13select_configILj256ELj13ELNS0_17block_load_methodE3ELS4_3ELS4_3ELNS0_20block_scan_algorithmE0ELj4294967295EEENS1_25partition_config_selectorILNS1_17partition_subalgoE3EjNS0_10empty_typeEbEEZZNS1_14partition_implILS8_3ELb0ES6_jNS0_17counting_iteratorIjlEEPS9_SE_NS0_5tupleIJPjSE_EEENSF_IJSE_SE_EEES9_SG_JZNS1_25segmented_radix_sort_implINS0_14default_configELb0EPKaPaPKlPlN2at6native12_GLOBAL__N_18offset_tEEE10hipError_tPvRmT1_PNSt15iterator_traitsISY_E10value_typeET2_T3_PNSZ_IS14_E10value_typeET4_jRbjT5_S1A_jjP12ihipStream_tbEUljE_EEESV_SW_SX_S14_S18_S1A_T6_T7_T9_mT8_S1C_bDpT10_ENKUlT_T0_E_clISt17integral_constantIbLb0EES1O_IbLb1EEEEDaS1K_S1L_EUlS1K_E_NS1_11comp_targetILNS1_3genE4ELNS1_11target_archE910ELNS1_3gpuE8ELNS1_3repE0EEENS1_30default_config_static_selectorELNS0_4arch9wavefront6targetE0EEEvSY_,comdat
.Lfunc_end384:
	.size	_ZN7rocprim17ROCPRIM_400000_NS6detail17trampoline_kernelINS0_13select_configILj256ELj13ELNS0_17block_load_methodE3ELS4_3ELS4_3ELNS0_20block_scan_algorithmE0ELj4294967295EEENS1_25partition_config_selectorILNS1_17partition_subalgoE3EjNS0_10empty_typeEbEEZZNS1_14partition_implILS8_3ELb0ES6_jNS0_17counting_iteratorIjlEEPS9_SE_NS0_5tupleIJPjSE_EEENSF_IJSE_SE_EEES9_SG_JZNS1_25segmented_radix_sort_implINS0_14default_configELb0EPKaPaPKlPlN2at6native12_GLOBAL__N_18offset_tEEE10hipError_tPvRmT1_PNSt15iterator_traitsISY_E10value_typeET2_T3_PNSZ_IS14_E10value_typeET4_jRbjT5_S1A_jjP12ihipStream_tbEUljE_EEESV_SW_SX_S14_S18_S1A_T6_T7_T9_mT8_S1C_bDpT10_ENKUlT_T0_E_clISt17integral_constantIbLb0EES1O_IbLb1EEEEDaS1K_S1L_EUlS1K_E_NS1_11comp_targetILNS1_3genE4ELNS1_11target_archE910ELNS1_3gpuE8ELNS1_3repE0EEENS1_30default_config_static_selectorELNS0_4arch9wavefront6targetE0EEEvSY_, .Lfunc_end384-_ZN7rocprim17ROCPRIM_400000_NS6detail17trampoline_kernelINS0_13select_configILj256ELj13ELNS0_17block_load_methodE3ELS4_3ELS4_3ELNS0_20block_scan_algorithmE0ELj4294967295EEENS1_25partition_config_selectorILNS1_17partition_subalgoE3EjNS0_10empty_typeEbEEZZNS1_14partition_implILS8_3ELb0ES6_jNS0_17counting_iteratorIjlEEPS9_SE_NS0_5tupleIJPjSE_EEENSF_IJSE_SE_EEES9_SG_JZNS1_25segmented_radix_sort_implINS0_14default_configELb0EPKaPaPKlPlN2at6native12_GLOBAL__N_18offset_tEEE10hipError_tPvRmT1_PNSt15iterator_traitsISY_E10value_typeET2_T3_PNSZ_IS14_E10value_typeET4_jRbjT5_S1A_jjP12ihipStream_tbEUljE_EEESV_SW_SX_S14_S18_S1A_T6_T7_T9_mT8_S1C_bDpT10_ENKUlT_T0_E_clISt17integral_constantIbLb0EES1O_IbLb1EEEEDaS1K_S1L_EUlS1K_E_NS1_11comp_targetILNS1_3genE4ELNS1_11target_archE910ELNS1_3gpuE8ELNS1_3repE0EEENS1_30default_config_static_selectorELNS0_4arch9wavefront6targetE0EEEvSY_
                                        ; -- End function
	.set _ZN7rocprim17ROCPRIM_400000_NS6detail17trampoline_kernelINS0_13select_configILj256ELj13ELNS0_17block_load_methodE3ELS4_3ELS4_3ELNS0_20block_scan_algorithmE0ELj4294967295EEENS1_25partition_config_selectorILNS1_17partition_subalgoE3EjNS0_10empty_typeEbEEZZNS1_14partition_implILS8_3ELb0ES6_jNS0_17counting_iteratorIjlEEPS9_SE_NS0_5tupleIJPjSE_EEENSF_IJSE_SE_EEES9_SG_JZNS1_25segmented_radix_sort_implINS0_14default_configELb0EPKaPaPKlPlN2at6native12_GLOBAL__N_18offset_tEEE10hipError_tPvRmT1_PNSt15iterator_traitsISY_E10value_typeET2_T3_PNSZ_IS14_E10value_typeET4_jRbjT5_S1A_jjP12ihipStream_tbEUljE_EEESV_SW_SX_S14_S18_S1A_T6_T7_T9_mT8_S1C_bDpT10_ENKUlT_T0_E_clISt17integral_constantIbLb0EES1O_IbLb1EEEEDaS1K_S1L_EUlS1K_E_NS1_11comp_targetILNS1_3genE4ELNS1_11target_archE910ELNS1_3gpuE8ELNS1_3repE0EEENS1_30default_config_static_selectorELNS0_4arch9wavefront6targetE0EEEvSY_.num_vgpr, 0
	.set _ZN7rocprim17ROCPRIM_400000_NS6detail17trampoline_kernelINS0_13select_configILj256ELj13ELNS0_17block_load_methodE3ELS4_3ELS4_3ELNS0_20block_scan_algorithmE0ELj4294967295EEENS1_25partition_config_selectorILNS1_17partition_subalgoE3EjNS0_10empty_typeEbEEZZNS1_14partition_implILS8_3ELb0ES6_jNS0_17counting_iteratorIjlEEPS9_SE_NS0_5tupleIJPjSE_EEENSF_IJSE_SE_EEES9_SG_JZNS1_25segmented_radix_sort_implINS0_14default_configELb0EPKaPaPKlPlN2at6native12_GLOBAL__N_18offset_tEEE10hipError_tPvRmT1_PNSt15iterator_traitsISY_E10value_typeET2_T3_PNSZ_IS14_E10value_typeET4_jRbjT5_S1A_jjP12ihipStream_tbEUljE_EEESV_SW_SX_S14_S18_S1A_T6_T7_T9_mT8_S1C_bDpT10_ENKUlT_T0_E_clISt17integral_constantIbLb0EES1O_IbLb1EEEEDaS1K_S1L_EUlS1K_E_NS1_11comp_targetILNS1_3genE4ELNS1_11target_archE910ELNS1_3gpuE8ELNS1_3repE0EEENS1_30default_config_static_selectorELNS0_4arch9wavefront6targetE0EEEvSY_.num_agpr, 0
	.set _ZN7rocprim17ROCPRIM_400000_NS6detail17trampoline_kernelINS0_13select_configILj256ELj13ELNS0_17block_load_methodE3ELS4_3ELS4_3ELNS0_20block_scan_algorithmE0ELj4294967295EEENS1_25partition_config_selectorILNS1_17partition_subalgoE3EjNS0_10empty_typeEbEEZZNS1_14partition_implILS8_3ELb0ES6_jNS0_17counting_iteratorIjlEEPS9_SE_NS0_5tupleIJPjSE_EEENSF_IJSE_SE_EEES9_SG_JZNS1_25segmented_radix_sort_implINS0_14default_configELb0EPKaPaPKlPlN2at6native12_GLOBAL__N_18offset_tEEE10hipError_tPvRmT1_PNSt15iterator_traitsISY_E10value_typeET2_T3_PNSZ_IS14_E10value_typeET4_jRbjT5_S1A_jjP12ihipStream_tbEUljE_EEESV_SW_SX_S14_S18_S1A_T6_T7_T9_mT8_S1C_bDpT10_ENKUlT_T0_E_clISt17integral_constantIbLb0EES1O_IbLb1EEEEDaS1K_S1L_EUlS1K_E_NS1_11comp_targetILNS1_3genE4ELNS1_11target_archE910ELNS1_3gpuE8ELNS1_3repE0EEENS1_30default_config_static_selectorELNS0_4arch9wavefront6targetE0EEEvSY_.numbered_sgpr, 0
	.set _ZN7rocprim17ROCPRIM_400000_NS6detail17trampoline_kernelINS0_13select_configILj256ELj13ELNS0_17block_load_methodE3ELS4_3ELS4_3ELNS0_20block_scan_algorithmE0ELj4294967295EEENS1_25partition_config_selectorILNS1_17partition_subalgoE3EjNS0_10empty_typeEbEEZZNS1_14partition_implILS8_3ELb0ES6_jNS0_17counting_iteratorIjlEEPS9_SE_NS0_5tupleIJPjSE_EEENSF_IJSE_SE_EEES9_SG_JZNS1_25segmented_radix_sort_implINS0_14default_configELb0EPKaPaPKlPlN2at6native12_GLOBAL__N_18offset_tEEE10hipError_tPvRmT1_PNSt15iterator_traitsISY_E10value_typeET2_T3_PNSZ_IS14_E10value_typeET4_jRbjT5_S1A_jjP12ihipStream_tbEUljE_EEESV_SW_SX_S14_S18_S1A_T6_T7_T9_mT8_S1C_bDpT10_ENKUlT_T0_E_clISt17integral_constantIbLb0EES1O_IbLb1EEEEDaS1K_S1L_EUlS1K_E_NS1_11comp_targetILNS1_3genE4ELNS1_11target_archE910ELNS1_3gpuE8ELNS1_3repE0EEENS1_30default_config_static_selectorELNS0_4arch9wavefront6targetE0EEEvSY_.num_named_barrier, 0
	.set _ZN7rocprim17ROCPRIM_400000_NS6detail17trampoline_kernelINS0_13select_configILj256ELj13ELNS0_17block_load_methodE3ELS4_3ELS4_3ELNS0_20block_scan_algorithmE0ELj4294967295EEENS1_25partition_config_selectorILNS1_17partition_subalgoE3EjNS0_10empty_typeEbEEZZNS1_14partition_implILS8_3ELb0ES6_jNS0_17counting_iteratorIjlEEPS9_SE_NS0_5tupleIJPjSE_EEENSF_IJSE_SE_EEES9_SG_JZNS1_25segmented_radix_sort_implINS0_14default_configELb0EPKaPaPKlPlN2at6native12_GLOBAL__N_18offset_tEEE10hipError_tPvRmT1_PNSt15iterator_traitsISY_E10value_typeET2_T3_PNSZ_IS14_E10value_typeET4_jRbjT5_S1A_jjP12ihipStream_tbEUljE_EEESV_SW_SX_S14_S18_S1A_T6_T7_T9_mT8_S1C_bDpT10_ENKUlT_T0_E_clISt17integral_constantIbLb0EES1O_IbLb1EEEEDaS1K_S1L_EUlS1K_E_NS1_11comp_targetILNS1_3genE4ELNS1_11target_archE910ELNS1_3gpuE8ELNS1_3repE0EEENS1_30default_config_static_selectorELNS0_4arch9wavefront6targetE0EEEvSY_.private_seg_size, 0
	.set _ZN7rocprim17ROCPRIM_400000_NS6detail17trampoline_kernelINS0_13select_configILj256ELj13ELNS0_17block_load_methodE3ELS4_3ELS4_3ELNS0_20block_scan_algorithmE0ELj4294967295EEENS1_25partition_config_selectorILNS1_17partition_subalgoE3EjNS0_10empty_typeEbEEZZNS1_14partition_implILS8_3ELb0ES6_jNS0_17counting_iteratorIjlEEPS9_SE_NS0_5tupleIJPjSE_EEENSF_IJSE_SE_EEES9_SG_JZNS1_25segmented_radix_sort_implINS0_14default_configELb0EPKaPaPKlPlN2at6native12_GLOBAL__N_18offset_tEEE10hipError_tPvRmT1_PNSt15iterator_traitsISY_E10value_typeET2_T3_PNSZ_IS14_E10value_typeET4_jRbjT5_S1A_jjP12ihipStream_tbEUljE_EEESV_SW_SX_S14_S18_S1A_T6_T7_T9_mT8_S1C_bDpT10_ENKUlT_T0_E_clISt17integral_constantIbLb0EES1O_IbLb1EEEEDaS1K_S1L_EUlS1K_E_NS1_11comp_targetILNS1_3genE4ELNS1_11target_archE910ELNS1_3gpuE8ELNS1_3repE0EEENS1_30default_config_static_selectorELNS0_4arch9wavefront6targetE0EEEvSY_.uses_vcc, 0
	.set _ZN7rocprim17ROCPRIM_400000_NS6detail17trampoline_kernelINS0_13select_configILj256ELj13ELNS0_17block_load_methodE3ELS4_3ELS4_3ELNS0_20block_scan_algorithmE0ELj4294967295EEENS1_25partition_config_selectorILNS1_17partition_subalgoE3EjNS0_10empty_typeEbEEZZNS1_14partition_implILS8_3ELb0ES6_jNS0_17counting_iteratorIjlEEPS9_SE_NS0_5tupleIJPjSE_EEENSF_IJSE_SE_EEES9_SG_JZNS1_25segmented_radix_sort_implINS0_14default_configELb0EPKaPaPKlPlN2at6native12_GLOBAL__N_18offset_tEEE10hipError_tPvRmT1_PNSt15iterator_traitsISY_E10value_typeET2_T3_PNSZ_IS14_E10value_typeET4_jRbjT5_S1A_jjP12ihipStream_tbEUljE_EEESV_SW_SX_S14_S18_S1A_T6_T7_T9_mT8_S1C_bDpT10_ENKUlT_T0_E_clISt17integral_constantIbLb0EES1O_IbLb1EEEEDaS1K_S1L_EUlS1K_E_NS1_11comp_targetILNS1_3genE4ELNS1_11target_archE910ELNS1_3gpuE8ELNS1_3repE0EEENS1_30default_config_static_selectorELNS0_4arch9wavefront6targetE0EEEvSY_.uses_flat_scratch, 0
	.set _ZN7rocprim17ROCPRIM_400000_NS6detail17trampoline_kernelINS0_13select_configILj256ELj13ELNS0_17block_load_methodE3ELS4_3ELS4_3ELNS0_20block_scan_algorithmE0ELj4294967295EEENS1_25partition_config_selectorILNS1_17partition_subalgoE3EjNS0_10empty_typeEbEEZZNS1_14partition_implILS8_3ELb0ES6_jNS0_17counting_iteratorIjlEEPS9_SE_NS0_5tupleIJPjSE_EEENSF_IJSE_SE_EEES9_SG_JZNS1_25segmented_radix_sort_implINS0_14default_configELb0EPKaPaPKlPlN2at6native12_GLOBAL__N_18offset_tEEE10hipError_tPvRmT1_PNSt15iterator_traitsISY_E10value_typeET2_T3_PNSZ_IS14_E10value_typeET4_jRbjT5_S1A_jjP12ihipStream_tbEUljE_EEESV_SW_SX_S14_S18_S1A_T6_T7_T9_mT8_S1C_bDpT10_ENKUlT_T0_E_clISt17integral_constantIbLb0EES1O_IbLb1EEEEDaS1K_S1L_EUlS1K_E_NS1_11comp_targetILNS1_3genE4ELNS1_11target_archE910ELNS1_3gpuE8ELNS1_3repE0EEENS1_30default_config_static_selectorELNS0_4arch9wavefront6targetE0EEEvSY_.has_dyn_sized_stack, 0
	.set _ZN7rocprim17ROCPRIM_400000_NS6detail17trampoline_kernelINS0_13select_configILj256ELj13ELNS0_17block_load_methodE3ELS4_3ELS4_3ELNS0_20block_scan_algorithmE0ELj4294967295EEENS1_25partition_config_selectorILNS1_17partition_subalgoE3EjNS0_10empty_typeEbEEZZNS1_14partition_implILS8_3ELb0ES6_jNS0_17counting_iteratorIjlEEPS9_SE_NS0_5tupleIJPjSE_EEENSF_IJSE_SE_EEES9_SG_JZNS1_25segmented_radix_sort_implINS0_14default_configELb0EPKaPaPKlPlN2at6native12_GLOBAL__N_18offset_tEEE10hipError_tPvRmT1_PNSt15iterator_traitsISY_E10value_typeET2_T3_PNSZ_IS14_E10value_typeET4_jRbjT5_S1A_jjP12ihipStream_tbEUljE_EEESV_SW_SX_S14_S18_S1A_T6_T7_T9_mT8_S1C_bDpT10_ENKUlT_T0_E_clISt17integral_constantIbLb0EES1O_IbLb1EEEEDaS1K_S1L_EUlS1K_E_NS1_11comp_targetILNS1_3genE4ELNS1_11target_archE910ELNS1_3gpuE8ELNS1_3repE0EEENS1_30default_config_static_selectorELNS0_4arch9wavefront6targetE0EEEvSY_.has_recursion, 0
	.set _ZN7rocprim17ROCPRIM_400000_NS6detail17trampoline_kernelINS0_13select_configILj256ELj13ELNS0_17block_load_methodE3ELS4_3ELS4_3ELNS0_20block_scan_algorithmE0ELj4294967295EEENS1_25partition_config_selectorILNS1_17partition_subalgoE3EjNS0_10empty_typeEbEEZZNS1_14partition_implILS8_3ELb0ES6_jNS0_17counting_iteratorIjlEEPS9_SE_NS0_5tupleIJPjSE_EEENSF_IJSE_SE_EEES9_SG_JZNS1_25segmented_radix_sort_implINS0_14default_configELb0EPKaPaPKlPlN2at6native12_GLOBAL__N_18offset_tEEE10hipError_tPvRmT1_PNSt15iterator_traitsISY_E10value_typeET2_T3_PNSZ_IS14_E10value_typeET4_jRbjT5_S1A_jjP12ihipStream_tbEUljE_EEESV_SW_SX_S14_S18_S1A_T6_T7_T9_mT8_S1C_bDpT10_ENKUlT_T0_E_clISt17integral_constantIbLb0EES1O_IbLb1EEEEDaS1K_S1L_EUlS1K_E_NS1_11comp_targetILNS1_3genE4ELNS1_11target_archE910ELNS1_3gpuE8ELNS1_3repE0EEENS1_30default_config_static_selectorELNS0_4arch9wavefront6targetE0EEEvSY_.has_indirect_call, 0
	.section	.AMDGPU.csdata,"",@progbits
; Kernel info:
; codeLenInByte = 0
; TotalNumSgprs: 0
; NumVgprs: 0
; ScratchSize: 0
; MemoryBound: 0
; FloatMode: 240
; IeeeMode: 1
; LDSByteSize: 0 bytes/workgroup (compile time only)
; SGPRBlocks: 0
; VGPRBlocks: 0
; NumSGPRsForWavesPerEU: 1
; NumVGPRsForWavesPerEU: 1
; NamedBarCnt: 0
; Occupancy: 16
; WaveLimiterHint : 0
; COMPUTE_PGM_RSRC2:SCRATCH_EN: 0
; COMPUTE_PGM_RSRC2:USER_SGPR: 2
; COMPUTE_PGM_RSRC2:TRAP_HANDLER: 0
; COMPUTE_PGM_RSRC2:TGID_X_EN: 1
; COMPUTE_PGM_RSRC2:TGID_Y_EN: 0
; COMPUTE_PGM_RSRC2:TGID_Z_EN: 0
; COMPUTE_PGM_RSRC2:TIDIG_COMP_CNT: 0
	.section	.text._ZN7rocprim17ROCPRIM_400000_NS6detail17trampoline_kernelINS0_13select_configILj256ELj13ELNS0_17block_load_methodE3ELS4_3ELS4_3ELNS0_20block_scan_algorithmE0ELj4294967295EEENS1_25partition_config_selectorILNS1_17partition_subalgoE3EjNS0_10empty_typeEbEEZZNS1_14partition_implILS8_3ELb0ES6_jNS0_17counting_iteratorIjlEEPS9_SE_NS0_5tupleIJPjSE_EEENSF_IJSE_SE_EEES9_SG_JZNS1_25segmented_radix_sort_implINS0_14default_configELb0EPKaPaPKlPlN2at6native12_GLOBAL__N_18offset_tEEE10hipError_tPvRmT1_PNSt15iterator_traitsISY_E10value_typeET2_T3_PNSZ_IS14_E10value_typeET4_jRbjT5_S1A_jjP12ihipStream_tbEUljE_EEESV_SW_SX_S14_S18_S1A_T6_T7_T9_mT8_S1C_bDpT10_ENKUlT_T0_E_clISt17integral_constantIbLb0EES1O_IbLb1EEEEDaS1K_S1L_EUlS1K_E_NS1_11comp_targetILNS1_3genE3ELNS1_11target_archE908ELNS1_3gpuE7ELNS1_3repE0EEENS1_30default_config_static_selectorELNS0_4arch9wavefront6targetE0EEEvSY_,"axG",@progbits,_ZN7rocprim17ROCPRIM_400000_NS6detail17trampoline_kernelINS0_13select_configILj256ELj13ELNS0_17block_load_methodE3ELS4_3ELS4_3ELNS0_20block_scan_algorithmE0ELj4294967295EEENS1_25partition_config_selectorILNS1_17partition_subalgoE3EjNS0_10empty_typeEbEEZZNS1_14partition_implILS8_3ELb0ES6_jNS0_17counting_iteratorIjlEEPS9_SE_NS0_5tupleIJPjSE_EEENSF_IJSE_SE_EEES9_SG_JZNS1_25segmented_radix_sort_implINS0_14default_configELb0EPKaPaPKlPlN2at6native12_GLOBAL__N_18offset_tEEE10hipError_tPvRmT1_PNSt15iterator_traitsISY_E10value_typeET2_T3_PNSZ_IS14_E10value_typeET4_jRbjT5_S1A_jjP12ihipStream_tbEUljE_EEESV_SW_SX_S14_S18_S1A_T6_T7_T9_mT8_S1C_bDpT10_ENKUlT_T0_E_clISt17integral_constantIbLb0EES1O_IbLb1EEEEDaS1K_S1L_EUlS1K_E_NS1_11comp_targetILNS1_3genE3ELNS1_11target_archE908ELNS1_3gpuE7ELNS1_3repE0EEENS1_30default_config_static_selectorELNS0_4arch9wavefront6targetE0EEEvSY_,comdat
	.globl	_ZN7rocprim17ROCPRIM_400000_NS6detail17trampoline_kernelINS0_13select_configILj256ELj13ELNS0_17block_load_methodE3ELS4_3ELS4_3ELNS0_20block_scan_algorithmE0ELj4294967295EEENS1_25partition_config_selectorILNS1_17partition_subalgoE3EjNS0_10empty_typeEbEEZZNS1_14partition_implILS8_3ELb0ES6_jNS0_17counting_iteratorIjlEEPS9_SE_NS0_5tupleIJPjSE_EEENSF_IJSE_SE_EEES9_SG_JZNS1_25segmented_radix_sort_implINS0_14default_configELb0EPKaPaPKlPlN2at6native12_GLOBAL__N_18offset_tEEE10hipError_tPvRmT1_PNSt15iterator_traitsISY_E10value_typeET2_T3_PNSZ_IS14_E10value_typeET4_jRbjT5_S1A_jjP12ihipStream_tbEUljE_EEESV_SW_SX_S14_S18_S1A_T6_T7_T9_mT8_S1C_bDpT10_ENKUlT_T0_E_clISt17integral_constantIbLb0EES1O_IbLb1EEEEDaS1K_S1L_EUlS1K_E_NS1_11comp_targetILNS1_3genE3ELNS1_11target_archE908ELNS1_3gpuE7ELNS1_3repE0EEENS1_30default_config_static_selectorELNS0_4arch9wavefront6targetE0EEEvSY_ ; -- Begin function _ZN7rocprim17ROCPRIM_400000_NS6detail17trampoline_kernelINS0_13select_configILj256ELj13ELNS0_17block_load_methodE3ELS4_3ELS4_3ELNS0_20block_scan_algorithmE0ELj4294967295EEENS1_25partition_config_selectorILNS1_17partition_subalgoE3EjNS0_10empty_typeEbEEZZNS1_14partition_implILS8_3ELb0ES6_jNS0_17counting_iteratorIjlEEPS9_SE_NS0_5tupleIJPjSE_EEENSF_IJSE_SE_EEES9_SG_JZNS1_25segmented_radix_sort_implINS0_14default_configELb0EPKaPaPKlPlN2at6native12_GLOBAL__N_18offset_tEEE10hipError_tPvRmT1_PNSt15iterator_traitsISY_E10value_typeET2_T3_PNSZ_IS14_E10value_typeET4_jRbjT5_S1A_jjP12ihipStream_tbEUljE_EEESV_SW_SX_S14_S18_S1A_T6_T7_T9_mT8_S1C_bDpT10_ENKUlT_T0_E_clISt17integral_constantIbLb0EES1O_IbLb1EEEEDaS1K_S1L_EUlS1K_E_NS1_11comp_targetILNS1_3genE3ELNS1_11target_archE908ELNS1_3gpuE7ELNS1_3repE0EEENS1_30default_config_static_selectorELNS0_4arch9wavefront6targetE0EEEvSY_
	.p2align	8
	.type	_ZN7rocprim17ROCPRIM_400000_NS6detail17trampoline_kernelINS0_13select_configILj256ELj13ELNS0_17block_load_methodE3ELS4_3ELS4_3ELNS0_20block_scan_algorithmE0ELj4294967295EEENS1_25partition_config_selectorILNS1_17partition_subalgoE3EjNS0_10empty_typeEbEEZZNS1_14partition_implILS8_3ELb0ES6_jNS0_17counting_iteratorIjlEEPS9_SE_NS0_5tupleIJPjSE_EEENSF_IJSE_SE_EEES9_SG_JZNS1_25segmented_radix_sort_implINS0_14default_configELb0EPKaPaPKlPlN2at6native12_GLOBAL__N_18offset_tEEE10hipError_tPvRmT1_PNSt15iterator_traitsISY_E10value_typeET2_T3_PNSZ_IS14_E10value_typeET4_jRbjT5_S1A_jjP12ihipStream_tbEUljE_EEESV_SW_SX_S14_S18_S1A_T6_T7_T9_mT8_S1C_bDpT10_ENKUlT_T0_E_clISt17integral_constantIbLb0EES1O_IbLb1EEEEDaS1K_S1L_EUlS1K_E_NS1_11comp_targetILNS1_3genE3ELNS1_11target_archE908ELNS1_3gpuE7ELNS1_3repE0EEENS1_30default_config_static_selectorELNS0_4arch9wavefront6targetE0EEEvSY_,@function
_ZN7rocprim17ROCPRIM_400000_NS6detail17trampoline_kernelINS0_13select_configILj256ELj13ELNS0_17block_load_methodE3ELS4_3ELS4_3ELNS0_20block_scan_algorithmE0ELj4294967295EEENS1_25partition_config_selectorILNS1_17partition_subalgoE3EjNS0_10empty_typeEbEEZZNS1_14partition_implILS8_3ELb0ES6_jNS0_17counting_iteratorIjlEEPS9_SE_NS0_5tupleIJPjSE_EEENSF_IJSE_SE_EEES9_SG_JZNS1_25segmented_radix_sort_implINS0_14default_configELb0EPKaPaPKlPlN2at6native12_GLOBAL__N_18offset_tEEE10hipError_tPvRmT1_PNSt15iterator_traitsISY_E10value_typeET2_T3_PNSZ_IS14_E10value_typeET4_jRbjT5_S1A_jjP12ihipStream_tbEUljE_EEESV_SW_SX_S14_S18_S1A_T6_T7_T9_mT8_S1C_bDpT10_ENKUlT_T0_E_clISt17integral_constantIbLb0EES1O_IbLb1EEEEDaS1K_S1L_EUlS1K_E_NS1_11comp_targetILNS1_3genE3ELNS1_11target_archE908ELNS1_3gpuE7ELNS1_3repE0EEENS1_30default_config_static_selectorELNS0_4arch9wavefront6targetE0EEEvSY_: ; @_ZN7rocprim17ROCPRIM_400000_NS6detail17trampoline_kernelINS0_13select_configILj256ELj13ELNS0_17block_load_methodE3ELS4_3ELS4_3ELNS0_20block_scan_algorithmE0ELj4294967295EEENS1_25partition_config_selectorILNS1_17partition_subalgoE3EjNS0_10empty_typeEbEEZZNS1_14partition_implILS8_3ELb0ES6_jNS0_17counting_iteratorIjlEEPS9_SE_NS0_5tupleIJPjSE_EEENSF_IJSE_SE_EEES9_SG_JZNS1_25segmented_radix_sort_implINS0_14default_configELb0EPKaPaPKlPlN2at6native12_GLOBAL__N_18offset_tEEE10hipError_tPvRmT1_PNSt15iterator_traitsISY_E10value_typeET2_T3_PNSZ_IS14_E10value_typeET4_jRbjT5_S1A_jjP12ihipStream_tbEUljE_EEESV_SW_SX_S14_S18_S1A_T6_T7_T9_mT8_S1C_bDpT10_ENKUlT_T0_E_clISt17integral_constantIbLb0EES1O_IbLb1EEEEDaS1K_S1L_EUlS1K_E_NS1_11comp_targetILNS1_3genE3ELNS1_11target_archE908ELNS1_3gpuE7ELNS1_3repE0EEENS1_30default_config_static_selectorELNS0_4arch9wavefront6targetE0EEEvSY_
; %bb.0:
	.section	.rodata,"a",@progbits
	.p2align	6, 0x0
	.amdhsa_kernel _ZN7rocprim17ROCPRIM_400000_NS6detail17trampoline_kernelINS0_13select_configILj256ELj13ELNS0_17block_load_methodE3ELS4_3ELS4_3ELNS0_20block_scan_algorithmE0ELj4294967295EEENS1_25partition_config_selectorILNS1_17partition_subalgoE3EjNS0_10empty_typeEbEEZZNS1_14partition_implILS8_3ELb0ES6_jNS0_17counting_iteratorIjlEEPS9_SE_NS0_5tupleIJPjSE_EEENSF_IJSE_SE_EEES9_SG_JZNS1_25segmented_radix_sort_implINS0_14default_configELb0EPKaPaPKlPlN2at6native12_GLOBAL__N_18offset_tEEE10hipError_tPvRmT1_PNSt15iterator_traitsISY_E10value_typeET2_T3_PNSZ_IS14_E10value_typeET4_jRbjT5_S1A_jjP12ihipStream_tbEUljE_EEESV_SW_SX_S14_S18_S1A_T6_T7_T9_mT8_S1C_bDpT10_ENKUlT_T0_E_clISt17integral_constantIbLb0EES1O_IbLb1EEEEDaS1K_S1L_EUlS1K_E_NS1_11comp_targetILNS1_3genE3ELNS1_11target_archE908ELNS1_3gpuE7ELNS1_3repE0EEENS1_30default_config_static_selectorELNS0_4arch9wavefront6targetE0EEEvSY_
		.amdhsa_group_segment_fixed_size 0
		.amdhsa_private_segment_fixed_size 0
		.amdhsa_kernarg_size 152
		.amdhsa_user_sgpr_count 2
		.amdhsa_user_sgpr_dispatch_ptr 0
		.amdhsa_user_sgpr_queue_ptr 0
		.amdhsa_user_sgpr_kernarg_segment_ptr 1
		.amdhsa_user_sgpr_dispatch_id 0
		.amdhsa_user_sgpr_kernarg_preload_length 0
		.amdhsa_user_sgpr_kernarg_preload_offset 0
		.amdhsa_user_sgpr_private_segment_size 0
		.amdhsa_wavefront_size32 1
		.amdhsa_uses_dynamic_stack 0
		.amdhsa_enable_private_segment 0
		.amdhsa_system_sgpr_workgroup_id_x 1
		.amdhsa_system_sgpr_workgroup_id_y 0
		.amdhsa_system_sgpr_workgroup_id_z 0
		.amdhsa_system_sgpr_workgroup_info 0
		.amdhsa_system_vgpr_workitem_id 0
		.amdhsa_next_free_vgpr 1
		.amdhsa_next_free_sgpr 1
		.amdhsa_named_barrier_count 0
		.amdhsa_reserve_vcc 0
		.amdhsa_float_round_mode_32 0
		.amdhsa_float_round_mode_16_64 0
		.amdhsa_float_denorm_mode_32 3
		.amdhsa_float_denorm_mode_16_64 3
		.amdhsa_fp16_overflow 0
		.amdhsa_memory_ordered 1
		.amdhsa_forward_progress 1
		.amdhsa_inst_pref_size 0
		.amdhsa_round_robin_scheduling 0
		.amdhsa_exception_fp_ieee_invalid_op 0
		.amdhsa_exception_fp_denorm_src 0
		.amdhsa_exception_fp_ieee_div_zero 0
		.amdhsa_exception_fp_ieee_overflow 0
		.amdhsa_exception_fp_ieee_underflow 0
		.amdhsa_exception_fp_ieee_inexact 0
		.amdhsa_exception_int_div_zero 0
	.end_amdhsa_kernel
	.section	.text._ZN7rocprim17ROCPRIM_400000_NS6detail17trampoline_kernelINS0_13select_configILj256ELj13ELNS0_17block_load_methodE3ELS4_3ELS4_3ELNS0_20block_scan_algorithmE0ELj4294967295EEENS1_25partition_config_selectorILNS1_17partition_subalgoE3EjNS0_10empty_typeEbEEZZNS1_14partition_implILS8_3ELb0ES6_jNS0_17counting_iteratorIjlEEPS9_SE_NS0_5tupleIJPjSE_EEENSF_IJSE_SE_EEES9_SG_JZNS1_25segmented_radix_sort_implINS0_14default_configELb0EPKaPaPKlPlN2at6native12_GLOBAL__N_18offset_tEEE10hipError_tPvRmT1_PNSt15iterator_traitsISY_E10value_typeET2_T3_PNSZ_IS14_E10value_typeET4_jRbjT5_S1A_jjP12ihipStream_tbEUljE_EEESV_SW_SX_S14_S18_S1A_T6_T7_T9_mT8_S1C_bDpT10_ENKUlT_T0_E_clISt17integral_constantIbLb0EES1O_IbLb1EEEEDaS1K_S1L_EUlS1K_E_NS1_11comp_targetILNS1_3genE3ELNS1_11target_archE908ELNS1_3gpuE7ELNS1_3repE0EEENS1_30default_config_static_selectorELNS0_4arch9wavefront6targetE0EEEvSY_,"axG",@progbits,_ZN7rocprim17ROCPRIM_400000_NS6detail17trampoline_kernelINS0_13select_configILj256ELj13ELNS0_17block_load_methodE3ELS4_3ELS4_3ELNS0_20block_scan_algorithmE0ELj4294967295EEENS1_25partition_config_selectorILNS1_17partition_subalgoE3EjNS0_10empty_typeEbEEZZNS1_14partition_implILS8_3ELb0ES6_jNS0_17counting_iteratorIjlEEPS9_SE_NS0_5tupleIJPjSE_EEENSF_IJSE_SE_EEES9_SG_JZNS1_25segmented_radix_sort_implINS0_14default_configELb0EPKaPaPKlPlN2at6native12_GLOBAL__N_18offset_tEEE10hipError_tPvRmT1_PNSt15iterator_traitsISY_E10value_typeET2_T3_PNSZ_IS14_E10value_typeET4_jRbjT5_S1A_jjP12ihipStream_tbEUljE_EEESV_SW_SX_S14_S18_S1A_T6_T7_T9_mT8_S1C_bDpT10_ENKUlT_T0_E_clISt17integral_constantIbLb0EES1O_IbLb1EEEEDaS1K_S1L_EUlS1K_E_NS1_11comp_targetILNS1_3genE3ELNS1_11target_archE908ELNS1_3gpuE7ELNS1_3repE0EEENS1_30default_config_static_selectorELNS0_4arch9wavefront6targetE0EEEvSY_,comdat
.Lfunc_end385:
	.size	_ZN7rocprim17ROCPRIM_400000_NS6detail17trampoline_kernelINS0_13select_configILj256ELj13ELNS0_17block_load_methodE3ELS4_3ELS4_3ELNS0_20block_scan_algorithmE0ELj4294967295EEENS1_25partition_config_selectorILNS1_17partition_subalgoE3EjNS0_10empty_typeEbEEZZNS1_14partition_implILS8_3ELb0ES6_jNS0_17counting_iteratorIjlEEPS9_SE_NS0_5tupleIJPjSE_EEENSF_IJSE_SE_EEES9_SG_JZNS1_25segmented_radix_sort_implINS0_14default_configELb0EPKaPaPKlPlN2at6native12_GLOBAL__N_18offset_tEEE10hipError_tPvRmT1_PNSt15iterator_traitsISY_E10value_typeET2_T3_PNSZ_IS14_E10value_typeET4_jRbjT5_S1A_jjP12ihipStream_tbEUljE_EEESV_SW_SX_S14_S18_S1A_T6_T7_T9_mT8_S1C_bDpT10_ENKUlT_T0_E_clISt17integral_constantIbLb0EES1O_IbLb1EEEEDaS1K_S1L_EUlS1K_E_NS1_11comp_targetILNS1_3genE3ELNS1_11target_archE908ELNS1_3gpuE7ELNS1_3repE0EEENS1_30default_config_static_selectorELNS0_4arch9wavefront6targetE0EEEvSY_, .Lfunc_end385-_ZN7rocprim17ROCPRIM_400000_NS6detail17trampoline_kernelINS0_13select_configILj256ELj13ELNS0_17block_load_methodE3ELS4_3ELS4_3ELNS0_20block_scan_algorithmE0ELj4294967295EEENS1_25partition_config_selectorILNS1_17partition_subalgoE3EjNS0_10empty_typeEbEEZZNS1_14partition_implILS8_3ELb0ES6_jNS0_17counting_iteratorIjlEEPS9_SE_NS0_5tupleIJPjSE_EEENSF_IJSE_SE_EEES9_SG_JZNS1_25segmented_radix_sort_implINS0_14default_configELb0EPKaPaPKlPlN2at6native12_GLOBAL__N_18offset_tEEE10hipError_tPvRmT1_PNSt15iterator_traitsISY_E10value_typeET2_T3_PNSZ_IS14_E10value_typeET4_jRbjT5_S1A_jjP12ihipStream_tbEUljE_EEESV_SW_SX_S14_S18_S1A_T6_T7_T9_mT8_S1C_bDpT10_ENKUlT_T0_E_clISt17integral_constantIbLb0EES1O_IbLb1EEEEDaS1K_S1L_EUlS1K_E_NS1_11comp_targetILNS1_3genE3ELNS1_11target_archE908ELNS1_3gpuE7ELNS1_3repE0EEENS1_30default_config_static_selectorELNS0_4arch9wavefront6targetE0EEEvSY_
                                        ; -- End function
	.set _ZN7rocprim17ROCPRIM_400000_NS6detail17trampoline_kernelINS0_13select_configILj256ELj13ELNS0_17block_load_methodE3ELS4_3ELS4_3ELNS0_20block_scan_algorithmE0ELj4294967295EEENS1_25partition_config_selectorILNS1_17partition_subalgoE3EjNS0_10empty_typeEbEEZZNS1_14partition_implILS8_3ELb0ES6_jNS0_17counting_iteratorIjlEEPS9_SE_NS0_5tupleIJPjSE_EEENSF_IJSE_SE_EEES9_SG_JZNS1_25segmented_radix_sort_implINS0_14default_configELb0EPKaPaPKlPlN2at6native12_GLOBAL__N_18offset_tEEE10hipError_tPvRmT1_PNSt15iterator_traitsISY_E10value_typeET2_T3_PNSZ_IS14_E10value_typeET4_jRbjT5_S1A_jjP12ihipStream_tbEUljE_EEESV_SW_SX_S14_S18_S1A_T6_T7_T9_mT8_S1C_bDpT10_ENKUlT_T0_E_clISt17integral_constantIbLb0EES1O_IbLb1EEEEDaS1K_S1L_EUlS1K_E_NS1_11comp_targetILNS1_3genE3ELNS1_11target_archE908ELNS1_3gpuE7ELNS1_3repE0EEENS1_30default_config_static_selectorELNS0_4arch9wavefront6targetE0EEEvSY_.num_vgpr, 0
	.set _ZN7rocprim17ROCPRIM_400000_NS6detail17trampoline_kernelINS0_13select_configILj256ELj13ELNS0_17block_load_methodE3ELS4_3ELS4_3ELNS0_20block_scan_algorithmE0ELj4294967295EEENS1_25partition_config_selectorILNS1_17partition_subalgoE3EjNS0_10empty_typeEbEEZZNS1_14partition_implILS8_3ELb0ES6_jNS0_17counting_iteratorIjlEEPS9_SE_NS0_5tupleIJPjSE_EEENSF_IJSE_SE_EEES9_SG_JZNS1_25segmented_radix_sort_implINS0_14default_configELb0EPKaPaPKlPlN2at6native12_GLOBAL__N_18offset_tEEE10hipError_tPvRmT1_PNSt15iterator_traitsISY_E10value_typeET2_T3_PNSZ_IS14_E10value_typeET4_jRbjT5_S1A_jjP12ihipStream_tbEUljE_EEESV_SW_SX_S14_S18_S1A_T6_T7_T9_mT8_S1C_bDpT10_ENKUlT_T0_E_clISt17integral_constantIbLb0EES1O_IbLb1EEEEDaS1K_S1L_EUlS1K_E_NS1_11comp_targetILNS1_3genE3ELNS1_11target_archE908ELNS1_3gpuE7ELNS1_3repE0EEENS1_30default_config_static_selectorELNS0_4arch9wavefront6targetE0EEEvSY_.num_agpr, 0
	.set _ZN7rocprim17ROCPRIM_400000_NS6detail17trampoline_kernelINS0_13select_configILj256ELj13ELNS0_17block_load_methodE3ELS4_3ELS4_3ELNS0_20block_scan_algorithmE0ELj4294967295EEENS1_25partition_config_selectorILNS1_17partition_subalgoE3EjNS0_10empty_typeEbEEZZNS1_14partition_implILS8_3ELb0ES6_jNS0_17counting_iteratorIjlEEPS9_SE_NS0_5tupleIJPjSE_EEENSF_IJSE_SE_EEES9_SG_JZNS1_25segmented_radix_sort_implINS0_14default_configELb0EPKaPaPKlPlN2at6native12_GLOBAL__N_18offset_tEEE10hipError_tPvRmT1_PNSt15iterator_traitsISY_E10value_typeET2_T3_PNSZ_IS14_E10value_typeET4_jRbjT5_S1A_jjP12ihipStream_tbEUljE_EEESV_SW_SX_S14_S18_S1A_T6_T7_T9_mT8_S1C_bDpT10_ENKUlT_T0_E_clISt17integral_constantIbLb0EES1O_IbLb1EEEEDaS1K_S1L_EUlS1K_E_NS1_11comp_targetILNS1_3genE3ELNS1_11target_archE908ELNS1_3gpuE7ELNS1_3repE0EEENS1_30default_config_static_selectorELNS0_4arch9wavefront6targetE0EEEvSY_.numbered_sgpr, 0
	.set _ZN7rocprim17ROCPRIM_400000_NS6detail17trampoline_kernelINS0_13select_configILj256ELj13ELNS0_17block_load_methodE3ELS4_3ELS4_3ELNS0_20block_scan_algorithmE0ELj4294967295EEENS1_25partition_config_selectorILNS1_17partition_subalgoE3EjNS0_10empty_typeEbEEZZNS1_14partition_implILS8_3ELb0ES6_jNS0_17counting_iteratorIjlEEPS9_SE_NS0_5tupleIJPjSE_EEENSF_IJSE_SE_EEES9_SG_JZNS1_25segmented_radix_sort_implINS0_14default_configELb0EPKaPaPKlPlN2at6native12_GLOBAL__N_18offset_tEEE10hipError_tPvRmT1_PNSt15iterator_traitsISY_E10value_typeET2_T3_PNSZ_IS14_E10value_typeET4_jRbjT5_S1A_jjP12ihipStream_tbEUljE_EEESV_SW_SX_S14_S18_S1A_T6_T7_T9_mT8_S1C_bDpT10_ENKUlT_T0_E_clISt17integral_constantIbLb0EES1O_IbLb1EEEEDaS1K_S1L_EUlS1K_E_NS1_11comp_targetILNS1_3genE3ELNS1_11target_archE908ELNS1_3gpuE7ELNS1_3repE0EEENS1_30default_config_static_selectorELNS0_4arch9wavefront6targetE0EEEvSY_.num_named_barrier, 0
	.set _ZN7rocprim17ROCPRIM_400000_NS6detail17trampoline_kernelINS0_13select_configILj256ELj13ELNS0_17block_load_methodE3ELS4_3ELS4_3ELNS0_20block_scan_algorithmE0ELj4294967295EEENS1_25partition_config_selectorILNS1_17partition_subalgoE3EjNS0_10empty_typeEbEEZZNS1_14partition_implILS8_3ELb0ES6_jNS0_17counting_iteratorIjlEEPS9_SE_NS0_5tupleIJPjSE_EEENSF_IJSE_SE_EEES9_SG_JZNS1_25segmented_radix_sort_implINS0_14default_configELb0EPKaPaPKlPlN2at6native12_GLOBAL__N_18offset_tEEE10hipError_tPvRmT1_PNSt15iterator_traitsISY_E10value_typeET2_T3_PNSZ_IS14_E10value_typeET4_jRbjT5_S1A_jjP12ihipStream_tbEUljE_EEESV_SW_SX_S14_S18_S1A_T6_T7_T9_mT8_S1C_bDpT10_ENKUlT_T0_E_clISt17integral_constantIbLb0EES1O_IbLb1EEEEDaS1K_S1L_EUlS1K_E_NS1_11comp_targetILNS1_3genE3ELNS1_11target_archE908ELNS1_3gpuE7ELNS1_3repE0EEENS1_30default_config_static_selectorELNS0_4arch9wavefront6targetE0EEEvSY_.private_seg_size, 0
	.set _ZN7rocprim17ROCPRIM_400000_NS6detail17trampoline_kernelINS0_13select_configILj256ELj13ELNS0_17block_load_methodE3ELS4_3ELS4_3ELNS0_20block_scan_algorithmE0ELj4294967295EEENS1_25partition_config_selectorILNS1_17partition_subalgoE3EjNS0_10empty_typeEbEEZZNS1_14partition_implILS8_3ELb0ES6_jNS0_17counting_iteratorIjlEEPS9_SE_NS0_5tupleIJPjSE_EEENSF_IJSE_SE_EEES9_SG_JZNS1_25segmented_radix_sort_implINS0_14default_configELb0EPKaPaPKlPlN2at6native12_GLOBAL__N_18offset_tEEE10hipError_tPvRmT1_PNSt15iterator_traitsISY_E10value_typeET2_T3_PNSZ_IS14_E10value_typeET4_jRbjT5_S1A_jjP12ihipStream_tbEUljE_EEESV_SW_SX_S14_S18_S1A_T6_T7_T9_mT8_S1C_bDpT10_ENKUlT_T0_E_clISt17integral_constantIbLb0EES1O_IbLb1EEEEDaS1K_S1L_EUlS1K_E_NS1_11comp_targetILNS1_3genE3ELNS1_11target_archE908ELNS1_3gpuE7ELNS1_3repE0EEENS1_30default_config_static_selectorELNS0_4arch9wavefront6targetE0EEEvSY_.uses_vcc, 0
	.set _ZN7rocprim17ROCPRIM_400000_NS6detail17trampoline_kernelINS0_13select_configILj256ELj13ELNS0_17block_load_methodE3ELS4_3ELS4_3ELNS0_20block_scan_algorithmE0ELj4294967295EEENS1_25partition_config_selectorILNS1_17partition_subalgoE3EjNS0_10empty_typeEbEEZZNS1_14partition_implILS8_3ELb0ES6_jNS0_17counting_iteratorIjlEEPS9_SE_NS0_5tupleIJPjSE_EEENSF_IJSE_SE_EEES9_SG_JZNS1_25segmented_radix_sort_implINS0_14default_configELb0EPKaPaPKlPlN2at6native12_GLOBAL__N_18offset_tEEE10hipError_tPvRmT1_PNSt15iterator_traitsISY_E10value_typeET2_T3_PNSZ_IS14_E10value_typeET4_jRbjT5_S1A_jjP12ihipStream_tbEUljE_EEESV_SW_SX_S14_S18_S1A_T6_T7_T9_mT8_S1C_bDpT10_ENKUlT_T0_E_clISt17integral_constantIbLb0EES1O_IbLb1EEEEDaS1K_S1L_EUlS1K_E_NS1_11comp_targetILNS1_3genE3ELNS1_11target_archE908ELNS1_3gpuE7ELNS1_3repE0EEENS1_30default_config_static_selectorELNS0_4arch9wavefront6targetE0EEEvSY_.uses_flat_scratch, 0
	.set _ZN7rocprim17ROCPRIM_400000_NS6detail17trampoline_kernelINS0_13select_configILj256ELj13ELNS0_17block_load_methodE3ELS4_3ELS4_3ELNS0_20block_scan_algorithmE0ELj4294967295EEENS1_25partition_config_selectorILNS1_17partition_subalgoE3EjNS0_10empty_typeEbEEZZNS1_14partition_implILS8_3ELb0ES6_jNS0_17counting_iteratorIjlEEPS9_SE_NS0_5tupleIJPjSE_EEENSF_IJSE_SE_EEES9_SG_JZNS1_25segmented_radix_sort_implINS0_14default_configELb0EPKaPaPKlPlN2at6native12_GLOBAL__N_18offset_tEEE10hipError_tPvRmT1_PNSt15iterator_traitsISY_E10value_typeET2_T3_PNSZ_IS14_E10value_typeET4_jRbjT5_S1A_jjP12ihipStream_tbEUljE_EEESV_SW_SX_S14_S18_S1A_T6_T7_T9_mT8_S1C_bDpT10_ENKUlT_T0_E_clISt17integral_constantIbLb0EES1O_IbLb1EEEEDaS1K_S1L_EUlS1K_E_NS1_11comp_targetILNS1_3genE3ELNS1_11target_archE908ELNS1_3gpuE7ELNS1_3repE0EEENS1_30default_config_static_selectorELNS0_4arch9wavefront6targetE0EEEvSY_.has_dyn_sized_stack, 0
	.set _ZN7rocprim17ROCPRIM_400000_NS6detail17trampoline_kernelINS0_13select_configILj256ELj13ELNS0_17block_load_methodE3ELS4_3ELS4_3ELNS0_20block_scan_algorithmE0ELj4294967295EEENS1_25partition_config_selectorILNS1_17partition_subalgoE3EjNS0_10empty_typeEbEEZZNS1_14partition_implILS8_3ELb0ES6_jNS0_17counting_iteratorIjlEEPS9_SE_NS0_5tupleIJPjSE_EEENSF_IJSE_SE_EEES9_SG_JZNS1_25segmented_radix_sort_implINS0_14default_configELb0EPKaPaPKlPlN2at6native12_GLOBAL__N_18offset_tEEE10hipError_tPvRmT1_PNSt15iterator_traitsISY_E10value_typeET2_T3_PNSZ_IS14_E10value_typeET4_jRbjT5_S1A_jjP12ihipStream_tbEUljE_EEESV_SW_SX_S14_S18_S1A_T6_T7_T9_mT8_S1C_bDpT10_ENKUlT_T0_E_clISt17integral_constantIbLb0EES1O_IbLb1EEEEDaS1K_S1L_EUlS1K_E_NS1_11comp_targetILNS1_3genE3ELNS1_11target_archE908ELNS1_3gpuE7ELNS1_3repE0EEENS1_30default_config_static_selectorELNS0_4arch9wavefront6targetE0EEEvSY_.has_recursion, 0
	.set _ZN7rocprim17ROCPRIM_400000_NS6detail17trampoline_kernelINS0_13select_configILj256ELj13ELNS0_17block_load_methodE3ELS4_3ELS4_3ELNS0_20block_scan_algorithmE0ELj4294967295EEENS1_25partition_config_selectorILNS1_17partition_subalgoE3EjNS0_10empty_typeEbEEZZNS1_14partition_implILS8_3ELb0ES6_jNS0_17counting_iteratorIjlEEPS9_SE_NS0_5tupleIJPjSE_EEENSF_IJSE_SE_EEES9_SG_JZNS1_25segmented_radix_sort_implINS0_14default_configELb0EPKaPaPKlPlN2at6native12_GLOBAL__N_18offset_tEEE10hipError_tPvRmT1_PNSt15iterator_traitsISY_E10value_typeET2_T3_PNSZ_IS14_E10value_typeET4_jRbjT5_S1A_jjP12ihipStream_tbEUljE_EEESV_SW_SX_S14_S18_S1A_T6_T7_T9_mT8_S1C_bDpT10_ENKUlT_T0_E_clISt17integral_constantIbLb0EES1O_IbLb1EEEEDaS1K_S1L_EUlS1K_E_NS1_11comp_targetILNS1_3genE3ELNS1_11target_archE908ELNS1_3gpuE7ELNS1_3repE0EEENS1_30default_config_static_selectorELNS0_4arch9wavefront6targetE0EEEvSY_.has_indirect_call, 0
	.section	.AMDGPU.csdata,"",@progbits
; Kernel info:
; codeLenInByte = 0
; TotalNumSgprs: 0
; NumVgprs: 0
; ScratchSize: 0
; MemoryBound: 0
; FloatMode: 240
; IeeeMode: 1
; LDSByteSize: 0 bytes/workgroup (compile time only)
; SGPRBlocks: 0
; VGPRBlocks: 0
; NumSGPRsForWavesPerEU: 1
; NumVGPRsForWavesPerEU: 1
; NamedBarCnt: 0
; Occupancy: 16
; WaveLimiterHint : 0
; COMPUTE_PGM_RSRC2:SCRATCH_EN: 0
; COMPUTE_PGM_RSRC2:USER_SGPR: 2
; COMPUTE_PGM_RSRC2:TRAP_HANDLER: 0
; COMPUTE_PGM_RSRC2:TGID_X_EN: 1
; COMPUTE_PGM_RSRC2:TGID_Y_EN: 0
; COMPUTE_PGM_RSRC2:TGID_Z_EN: 0
; COMPUTE_PGM_RSRC2:TIDIG_COMP_CNT: 0
	.section	.text._ZN7rocprim17ROCPRIM_400000_NS6detail17trampoline_kernelINS0_13select_configILj256ELj13ELNS0_17block_load_methodE3ELS4_3ELS4_3ELNS0_20block_scan_algorithmE0ELj4294967295EEENS1_25partition_config_selectorILNS1_17partition_subalgoE3EjNS0_10empty_typeEbEEZZNS1_14partition_implILS8_3ELb0ES6_jNS0_17counting_iteratorIjlEEPS9_SE_NS0_5tupleIJPjSE_EEENSF_IJSE_SE_EEES9_SG_JZNS1_25segmented_radix_sort_implINS0_14default_configELb0EPKaPaPKlPlN2at6native12_GLOBAL__N_18offset_tEEE10hipError_tPvRmT1_PNSt15iterator_traitsISY_E10value_typeET2_T3_PNSZ_IS14_E10value_typeET4_jRbjT5_S1A_jjP12ihipStream_tbEUljE_EEESV_SW_SX_S14_S18_S1A_T6_T7_T9_mT8_S1C_bDpT10_ENKUlT_T0_E_clISt17integral_constantIbLb0EES1O_IbLb1EEEEDaS1K_S1L_EUlS1K_E_NS1_11comp_targetILNS1_3genE2ELNS1_11target_archE906ELNS1_3gpuE6ELNS1_3repE0EEENS1_30default_config_static_selectorELNS0_4arch9wavefront6targetE0EEEvSY_,"axG",@progbits,_ZN7rocprim17ROCPRIM_400000_NS6detail17trampoline_kernelINS0_13select_configILj256ELj13ELNS0_17block_load_methodE3ELS4_3ELS4_3ELNS0_20block_scan_algorithmE0ELj4294967295EEENS1_25partition_config_selectorILNS1_17partition_subalgoE3EjNS0_10empty_typeEbEEZZNS1_14partition_implILS8_3ELb0ES6_jNS0_17counting_iteratorIjlEEPS9_SE_NS0_5tupleIJPjSE_EEENSF_IJSE_SE_EEES9_SG_JZNS1_25segmented_radix_sort_implINS0_14default_configELb0EPKaPaPKlPlN2at6native12_GLOBAL__N_18offset_tEEE10hipError_tPvRmT1_PNSt15iterator_traitsISY_E10value_typeET2_T3_PNSZ_IS14_E10value_typeET4_jRbjT5_S1A_jjP12ihipStream_tbEUljE_EEESV_SW_SX_S14_S18_S1A_T6_T7_T9_mT8_S1C_bDpT10_ENKUlT_T0_E_clISt17integral_constantIbLb0EES1O_IbLb1EEEEDaS1K_S1L_EUlS1K_E_NS1_11comp_targetILNS1_3genE2ELNS1_11target_archE906ELNS1_3gpuE6ELNS1_3repE0EEENS1_30default_config_static_selectorELNS0_4arch9wavefront6targetE0EEEvSY_,comdat
	.globl	_ZN7rocprim17ROCPRIM_400000_NS6detail17trampoline_kernelINS0_13select_configILj256ELj13ELNS0_17block_load_methodE3ELS4_3ELS4_3ELNS0_20block_scan_algorithmE0ELj4294967295EEENS1_25partition_config_selectorILNS1_17partition_subalgoE3EjNS0_10empty_typeEbEEZZNS1_14partition_implILS8_3ELb0ES6_jNS0_17counting_iteratorIjlEEPS9_SE_NS0_5tupleIJPjSE_EEENSF_IJSE_SE_EEES9_SG_JZNS1_25segmented_radix_sort_implINS0_14default_configELb0EPKaPaPKlPlN2at6native12_GLOBAL__N_18offset_tEEE10hipError_tPvRmT1_PNSt15iterator_traitsISY_E10value_typeET2_T3_PNSZ_IS14_E10value_typeET4_jRbjT5_S1A_jjP12ihipStream_tbEUljE_EEESV_SW_SX_S14_S18_S1A_T6_T7_T9_mT8_S1C_bDpT10_ENKUlT_T0_E_clISt17integral_constantIbLb0EES1O_IbLb1EEEEDaS1K_S1L_EUlS1K_E_NS1_11comp_targetILNS1_3genE2ELNS1_11target_archE906ELNS1_3gpuE6ELNS1_3repE0EEENS1_30default_config_static_selectorELNS0_4arch9wavefront6targetE0EEEvSY_ ; -- Begin function _ZN7rocprim17ROCPRIM_400000_NS6detail17trampoline_kernelINS0_13select_configILj256ELj13ELNS0_17block_load_methodE3ELS4_3ELS4_3ELNS0_20block_scan_algorithmE0ELj4294967295EEENS1_25partition_config_selectorILNS1_17partition_subalgoE3EjNS0_10empty_typeEbEEZZNS1_14partition_implILS8_3ELb0ES6_jNS0_17counting_iteratorIjlEEPS9_SE_NS0_5tupleIJPjSE_EEENSF_IJSE_SE_EEES9_SG_JZNS1_25segmented_radix_sort_implINS0_14default_configELb0EPKaPaPKlPlN2at6native12_GLOBAL__N_18offset_tEEE10hipError_tPvRmT1_PNSt15iterator_traitsISY_E10value_typeET2_T3_PNSZ_IS14_E10value_typeET4_jRbjT5_S1A_jjP12ihipStream_tbEUljE_EEESV_SW_SX_S14_S18_S1A_T6_T7_T9_mT8_S1C_bDpT10_ENKUlT_T0_E_clISt17integral_constantIbLb0EES1O_IbLb1EEEEDaS1K_S1L_EUlS1K_E_NS1_11comp_targetILNS1_3genE2ELNS1_11target_archE906ELNS1_3gpuE6ELNS1_3repE0EEENS1_30default_config_static_selectorELNS0_4arch9wavefront6targetE0EEEvSY_
	.p2align	8
	.type	_ZN7rocprim17ROCPRIM_400000_NS6detail17trampoline_kernelINS0_13select_configILj256ELj13ELNS0_17block_load_methodE3ELS4_3ELS4_3ELNS0_20block_scan_algorithmE0ELj4294967295EEENS1_25partition_config_selectorILNS1_17partition_subalgoE3EjNS0_10empty_typeEbEEZZNS1_14partition_implILS8_3ELb0ES6_jNS0_17counting_iteratorIjlEEPS9_SE_NS0_5tupleIJPjSE_EEENSF_IJSE_SE_EEES9_SG_JZNS1_25segmented_radix_sort_implINS0_14default_configELb0EPKaPaPKlPlN2at6native12_GLOBAL__N_18offset_tEEE10hipError_tPvRmT1_PNSt15iterator_traitsISY_E10value_typeET2_T3_PNSZ_IS14_E10value_typeET4_jRbjT5_S1A_jjP12ihipStream_tbEUljE_EEESV_SW_SX_S14_S18_S1A_T6_T7_T9_mT8_S1C_bDpT10_ENKUlT_T0_E_clISt17integral_constantIbLb0EES1O_IbLb1EEEEDaS1K_S1L_EUlS1K_E_NS1_11comp_targetILNS1_3genE2ELNS1_11target_archE906ELNS1_3gpuE6ELNS1_3repE0EEENS1_30default_config_static_selectorELNS0_4arch9wavefront6targetE0EEEvSY_,@function
_ZN7rocprim17ROCPRIM_400000_NS6detail17trampoline_kernelINS0_13select_configILj256ELj13ELNS0_17block_load_methodE3ELS4_3ELS4_3ELNS0_20block_scan_algorithmE0ELj4294967295EEENS1_25partition_config_selectorILNS1_17partition_subalgoE3EjNS0_10empty_typeEbEEZZNS1_14partition_implILS8_3ELb0ES6_jNS0_17counting_iteratorIjlEEPS9_SE_NS0_5tupleIJPjSE_EEENSF_IJSE_SE_EEES9_SG_JZNS1_25segmented_radix_sort_implINS0_14default_configELb0EPKaPaPKlPlN2at6native12_GLOBAL__N_18offset_tEEE10hipError_tPvRmT1_PNSt15iterator_traitsISY_E10value_typeET2_T3_PNSZ_IS14_E10value_typeET4_jRbjT5_S1A_jjP12ihipStream_tbEUljE_EEESV_SW_SX_S14_S18_S1A_T6_T7_T9_mT8_S1C_bDpT10_ENKUlT_T0_E_clISt17integral_constantIbLb0EES1O_IbLb1EEEEDaS1K_S1L_EUlS1K_E_NS1_11comp_targetILNS1_3genE2ELNS1_11target_archE906ELNS1_3gpuE6ELNS1_3repE0EEENS1_30default_config_static_selectorELNS0_4arch9wavefront6targetE0EEEvSY_: ; @_ZN7rocprim17ROCPRIM_400000_NS6detail17trampoline_kernelINS0_13select_configILj256ELj13ELNS0_17block_load_methodE3ELS4_3ELS4_3ELNS0_20block_scan_algorithmE0ELj4294967295EEENS1_25partition_config_selectorILNS1_17partition_subalgoE3EjNS0_10empty_typeEbEEZZNS1_14partition_implILS8_3ELb0ES6_jNS0_17counting_iteratorIjlEEPS9_SE_NS0_5tupleIJPjSE_EEENSF_IJSE_SE_EEES9_SG_JZNS1_25segmented_radix_sort_implINS0_14default_configELb0EPKaPaPKlPlN2at6native12_GLOBAL__N_18offset_tEEE10hipError_tPvRmT1_PNSt15iterator_traitsISY_E10value_typeET2_T3_PNSZ_IS14_E10value_typeET4_jRbjT5_S1A_jjP12ihipStream_tbEUljE_EEESV_SW_SX_S14_S18_S1A_T6_T7_T9_mT8_S1C_bDpT10_ENKUlT_T0_E_clISt17integral_constantIbLb0EES1O_IbLb1EEEEDaS1K_S1L_EUlS1K_E_NS1_11comp_targetILNS1_3genE2ELNS1_11target_archE906ELNS1_3gpuE6ELNS1_3repE0EEENS1_30default_config_static_selectorELNS0_4arch9wavefront6targetE0EEEvSY_
; %bb.0:
	.section	.rodata,"a",@progbits
	.p2align	6, 0x0
	.amdhsa_kernel _ZN7rocprim17ROCPRIM_400000_NS6detail17trampoline_kernelINS0_13select_configILj256ELj13ELNS0_17block_load_methodE3ELS4_3ELS4_3ELNS0_20block_scan_algorithmE0ELj4294967295EEENS1_25partition_config_selectorILNS1_17partition_subalgoE3EjNS0_10empty_typeEbEEZZNS1_14partition_implILS8_3ELb0ES6_jNS0_17counting_iteratorIjlEEPS9_SE_NS0_5tupleIJPjSE_EEENSF_IJSE_SE_EEES9_SG_JZNS1_25segmented_radix_sort_implINS0_14default_configELb0EPKaPaPKlPlN2at6native12_GLOBAL__N_18offset_tEEE10hipError_tPvRmT1_PNSt15iterator_traitsISY_E10value_typeET2_T3_PNSZ_IS14_E10value_typeET4_jRbjT5_S1A_jjP12ihipStream_tbEUljE_EEESV_SW_SX_S14_S18_S1A_T6_T7_T9_mT8_S1C_bDpT10_ENKUlT_T0_E_clISt17integral_constantIbLb0EES1O_IbLb1EEEEDaS1K_S1L_EUlS1K_E_NS1_11comp_targetILNS1_3genE2ELNS1_11target_archE906ELNS1_3gpuE6ELNS1_3repE0EEENS1_30default_config_static_selectorELNS0_4arch9wavefront6targetE0EEEvSY_
		.amdhsa_group_segment_fixed_size 0
		.amdhsa_private_segment_fixed_size 0
		.amdhsa_kernarg_size 152
		.amdhsa_user_sgpr_count 2
		.amdhsa_user_sgpr_dispatch_ptr 0
		.amdhsa_user_sgpr_queue_ptr 0
		.amdhsa_user_sgpr_kernarg_segment_ptr 1
		.amdhsa_user_sgpr_dispatch_id 0
		.amdhsa_user_sgpr_kernarg_preload_length 0
		.amdhsa_user_sgpr_kernarg_preload_offset 0
		.amdhsa_user_sgpr_private_segment_size 0
		.amdhsa_wavefront_size32 1
		.amdhsa_uses_dynamic_stack 0
		.amdhsa_enable_private_segment 0
		.amdhsa_system_sgpr_workgroup_id_x 1
		.amdhsa_system_sgpr_workgroup_id_y 0
		.amdhsa_system_sgpr_workgroup_id_z 0
		.amdhsa_system_sgpr_workgroup_info 0
		.amdhsa_system_vgpr_workitem_id 0
		.amdhsa_next_free_vgpr 1
		.amdhsa_next_free_sgpr 1
		.amdhsa_named_barrier_count 0
		.amdhsa_reserve_vcc 0
		.amdhsa_float_round_mode_32 0
		.amdhsa_float_round_mode_16_64 0
		.amdhsa_float_denorm_mode_32 3
		.amdhsa_float_denorm_mode_16_64 3
		.amdhsa_fp16_overflow 0
		.amdhsa_memory_ordered 1
		.amdhsa_forward_progress 1
		.amdhsa_inst_pref_size 0
		.amdhsa_round_robin_scheduling 0
		.amdhsa_exception_fp_ieee_invalid_op 0
		.amdhsa_exception_fp_denorm_src 0
		.amdhsa_exception_fp_ieee_div_zero 0
		.amdhsa_exception_fp_ieee_overflow 0
		.amdhsa_exception_fp_ieee_underflow 0
		.amdhsa_exception_fp_ieee_inexact 0
		.amdhsa_exception_int_div_zero 0
	.end_amdhsa_kernel
	.section	.text._ZN7rocprim17ROCPRIM_400000_NS6detail17trampoline_kernelINS0_13select_configILj256ELj13ELNS0_17block_load_methodE3ELS4_3ELS4_3ELNS0_20block_scan_algorithmE0ELj4294967295EEENS1_25partition_config_selectorILNS1_17partition_subalgoE3EjNS0_10empty_typeEbEEZZNS1_14partition_implILS8_3ELb0ES6_jNS0_17counting_iteratorIjlEEPS9_SE_NS0_5tupleIJPjSE_EEENSF_IJSE_SE_EEES9_SG_JZNS1_25segmented_radix_sort_implINS0_14default_configELb0EPKaPaPKlPlN2at6native12_GLOBAL__N_18offset_tEEE10hipError_tPvRmT1_PNSt15iterator_traitsISY_E10value_typeET2_T3_PNSZ_IS14_E10value_typeET4_jRbjT5_S1A_jjP12ihipStream_tbEUljE_EEESV_SW_SX_S14_S18_S1A_T6_T7_T9_mT8_S1C_bDpT10_ENKUlT_T0_E_clISt17integral_constantIbLb0EES1O_IbLb1EEEEDaS1K_S1L_EUlS1K_E_NS1_11comp_targetILNS1_3genE2ELNS1_11target_archE906ELNS1_3gpuE6ELNS1_3repE0EEENS1_30default_config_static_selectorELNS0_4arch9wavefront6targetE0EEEvSY_,"axG",@progbits,_ZN7rocprim17ROCPRIM_400000_NS6detail17trampoline_kernelINS0_13select_configILj256ELj13ELNS0_17block_load_methodE3ELS4_3ELS4_3ELNS0_20block_scan_algorithmE0ELj4294967295EEENS1_25partition_config_selectorILNS1_17partition_subalgoE3EjNS0_10empty_typeEbEEZZNS1_14partition_implILS8_3ELb0ES6_jNS0_17counting_iteratorIjlEEPS9_SE_NS0_5tupleIJPjSE_EEENSF_IJSE_SE_EEES9_SG_JZNS1_25segmented_radix_sort_implINS0_14default_configELb0EPKaPaPKlPlN2at6native12_GLOBAL__N_18offset_tEEE10hipError_tPvRmT1_PNSt15iterator_traitsISY_E10value_typeET2_T3_PNSZ_IS14_E10value_typeET4_jRbjT5_S1A_jjP12ihipStream_tbEUljE_EEESV_SW_SX_S14_S18_S1A_T6_T7_T9_mT8_S1C_bDpT10_ENKUlT_T0_E_clISt17integral_constantIbLb0EES1O_IbLb1EEEEDaS1K_S1L_EUlS1K_E_NS1_11comp_targetILNS1_3genE2ELNS1_11target_archE906ELNS1_3gpuE6ELNS1_3repE0EEENS1_30default_config_static_selectorELNS0_4arch9wavefront6targetE0EEEvSY_,comdat
.Lfunc_end386:
	.size	_ZN7rocprim17ROCPRIM_400000_NS6detail17trampoline_kernelINS0_13select_configILj256ELj13ELNS0_17block_load_methodE3ELS4_3ELS4_3ELNS0_20block_scan_algorithmE0ELj4294967295EEENS1_25partition_config_selectorILNS1_17partition_subalgoE3EjNS0_10empty_typeEbEEZZNS1_14partition_implILS8_3ELb0ES6_jNS0_17counting_iteratorIjlEEPS9_SE_NS0_5tupleIJPjSE_EEENSF_IJSE_SE_EEES9_SG_JZNS1_25segmented_radix_sort_implINS0_14default_configELb0EPKaPaPKlPlN2at6native12_GLOBAL__N_18offset_tEEE10hipError_tPvRmT1_PNSt15iterator_traitsISY_E10value_typeET2_T3_PNSZ_IS14_E10value_typeET4_jRbjT5_S1A_jjP12ihipStream_tbEUljE_EEESV_SW_SX_S14_S18_S1A_T6_T7_T9_mT8_S1C_bDpT10_ENKUlT_T0_E_clISt17integral_constantIbLb0EES1O_IbLb1EEEEDaS1K_S1L_EUlS1K_E_NS1_11comp_targetILNS1_3genE2ELNS1_11target_archE906ELNS1_3gpuE6ELNS1_3repE0EEENS1_30default_config_static_selectorELNS0_4arch9wavefront6targetE0EEEvSY_, .Lfunc_end386-_ZN7rocprim17ROCPRIM_400000_NS6detail17trampoline_kernelINS0_13select_configILj256ELj13ELNS0_17block_load_methodE3ELS4_3ELS4_3ELNS0_20block_scan_algorithmE0ELj4294967295EEENS1_25partition_config_selectorILNS1_17partition_subalgoE3EjNS0_10empty_typeEbEEZZNS1_14partition_implILS8_3ELb0ES6_jNS0_17counting_iteratorIjlEEPS9_SE_NS0_5tupleIJPjSE_EEENSF_IJSE_SE_EEES9_SG_JZNS1_25segmented_radix_sort_implINS0_14default_configELb0EPKaPaPKlPlN2at6native12_GLOBAL__N_18offset_tEEE10hipError_tPvRmT1_PNSt15iterator_traitsISY_E10value_typeET2_T3_PNSZ_IS14_E10value_typeET4_jRbjT5_S1A_jjP12ihipStream_tbEUljE_EEESV_SW_SX_S14_S18_S1A_T6_T7_T9_mT8_S1C_bDpT10_ENKUlT_T0_E_clISt17integral_constantIbLb0EES1O_IbLb1EEEEDaS1K_S1L_EUlS1K_E_NS1_11comp_targetILNS1_3genE2ELNS1_11target_archE906ELNS1_3gpuE6ELNS1_3repE0EEENS1_30default_config_static_selectorELNS0_4arch9wavefront6targetE0EEEvSY_
                                        ; -- End function
	.set _ZN7rocprim17ROCPRIM_400000_NS6detail17trampoline_kernelINS0_13select_configILj256ELj13ELNS0_17block_load_methodE3ELS4_3ELS4_3ELNS0_20block_scan_algorithmE0ELj4294967295EEENS1_25partition_config_selectorILNS1_17partition_subalgoE3EjNS0_10empty_typeEbEEZZNS1_14partition_implILS8_3ELb0ES6_jNS0_17counting_iteratorIjlEEPS9_SE_NS0_5tupleIJPjSE_EEENSF_IJSE_SE_EEES9_SG_JZNS1_25segmented_radix_sort_implINS0_14default_configELb0EPKaPaPKlPlN2at6native12_GLOBAL__N_18offset_tEEE10hipError_tPvRmT1_PNSt15iterator_traitsISY_E10value_typeET2_T3_PNSZ_IS14_E10value_typeET4_jRbjT5_S1A_jjP12ihipStream_tbEUljE_EEESV_SW_SX_S14_S18_S1A_T6_T7_T9_mT8_S1C_bDpT10_ENKUlT_T0_E_clISt17integral_constantIbLb0EES1O_IbLb1EEEEDaS1K_S1L_EUlS1K_E_NS1_11comp_targetILNS1_3genE2ELNS1_11target_archE906ELNS1_3gpuE6ELNS1_3repE0EEENS1_30default_config_static_selectorELNS0_4arch9wavefront6targetE0EEEvSY_.num_vgpr, 0
	.set _ZN7rocprim17ROCPRIM_400000_NS6detail17trampoline_kernelINS0_13select_configILj256ELj13ELNS0_17block_load_methodE3ELS4_3ELS4_3ELNS0_20block_scan_algorithmE0ELj4294967295EEENS1_25partition_config_selectorILNS1_17partition_subalgoE3EjNS0_10empty_typeEbEEZZNS1_14partition_implILS8_3ELb0ES6_jNS0_17counting_iteratorIjlEEPS9_SE_NS0_5tupleIJPjSE_EEENSF_IJSE_SE_EEES9_SG_JZNS1_25segmented_radix_sort_implINS0_14default_configELb0EPKaPaPKlPlN2at6native12_GLOBAL__N_18offset_tEEE10hipError_tPvRmT1_PNSt15iterator_traitsISY_E10value_typeET2_T3_PNSZ_IS14_E10value_typeET4_jRbjT5_S1A_jjP12ihipStream_tbEUljE_EEESV_SW_SX_S14_S18_S1A_T6_T7_T9_mT8_S1C_bDpT10_ENKUlT_T0_E_clISt17integral_constantIbLb0EES1O_IbLb1EEEEDaS1K_S1L_EUlS1K_E_NS1_11comp_targetILNS1_3genE2ELNS1_11target_archE906ELNS1_3gpuE6ELNS1_3repE0EEENS1_30default_config_static_selectorELNS0_4arch9wavefront6targetE0EEEvSY_.num_agpr, 0
	.set _ZN7rocprim17ROCPRIM_400000_NS6detail17trampoline_kernelINS0_13select_configILj256ELj13ELNS0_17block_load_methodE3ELS4_3ELS4_3ELNS0_20block_scan_algorithmE0ELj4294967295EEENS1_25partition_config_selectorILNS1_17partition_subalgoE3EjNS0_10empty_typeEbEEZZNS1_14partition_implILS8_3ELb0ES6_jNS0_17counting_iteratorIjlEEPS9_SE_NS0_5tupleIJPjSE_EEENSF_IJSE_SE_EEES9_SG_JZNS1_25segmented_radix_sort_implINS0_14default_configELb0EPKaPaPKlPlN2at6native12_GLOBAL__N_18offset_tEEE10hipError_tPvRmT1_PNSt15iterator_traitsISY_E10value_typeET2_T3_PNSZ_IS14_E10value_typeET4_jRbjT5_S1A_jjP12ihipStream_tbEUljE_EEESV_SW_SX_S14_S18_S1A_T6_T7_T9_mT8_S1C_bDpT10_ENKUlT_T0_E_clISt17integral_constantIbLb0EES1O_IbLb1EEEEDaS1K_S1L_EUlS1K_E_NS1_11comp_targetILNS1_3genE2ELNS1_11target_archE906ELNS1_3gpuE6ELNS1_3repE0EEENS1_30default_config_static_selectorELNS0_4arch9wavefront6targetE0EEEvSY_.numbered_sgpr, 0
	.set _ZN7rocprim17ROCPRIM_400000_NS6detail17trampoline_kernelINS0_13select_configILj256ELj13ELNS0_17block_load_methodE3ELS4_3ELS4_3ELNS0_20block_scan_algorithmE0ELj4294967295EEENS1_25partition_config_selectorILNS1_17partition_subalgoE3EjNS0_10empty_typeEbEEZZNS1_14partition_implILS8_3ELb0ES6_jNS0_17counting_iteratorIjlEEPS9_SE_NS0_5tupleIJPjSE_EEENSF_IJSE_SE_EEES9_SG_JZNS1_25segmented_radix_sort_implINS0_14default_configELb0EPKaPaPKlPlN2at6native12_GLOBAL__N_18offset_tEEE10hipError_tPvRmT1_PNSt15iterator_traitsISY_E10value_typeET2_T3_PNSZ_IS14_E10value_typeET4_jRbjT5_S1A_jjP12ihipStream_tbEUljE_EEESV_SW_SX_S14_S18_S1A_T6_T7_T9_mT8_S1C_bDpT10_ENKUlT_T0_E_clISt17integral_constantIbLb0EES1O_IbLb1EEEEDaS1K_S1L_EUlS1K_E_NS1_11comp_targetILNS1_3genE2ELNS1_11target_archE906ELNS1_3gpuE6ELNS1_3repE0EEENS1_30default_config_static_selectorELNS0_4arch9wavefront6targetE0EEEvSY_.num_named_barrier, 0
	.set _ZN7rocprim17ROCPRIM_400000_NS6detail17trampoline_kernelINS0_13select_configILj256ELj13ELNS0_17block_load_methodE3ELS4_3ELS4_3ELNS0_20block_scan_algorithmE0ELj4294967295EEENS1_25partition_config_selectorILNS1_17partition_subalgoE3EjNS0_10empty_typeEbEEZZNS1_14partition_implILS8_3ELb0ES6_jNS0_17counting_iteratorIjlEEPS9_SE_NS0_5tupleIJPjSE_EEENSF_IJSE_SE_EEES9_SG_JZNS1_25segmented_radix_sort_implINS0_14default_configELb0EPKaPaPKlPlN2at6native12_GLOBAL__N_18offset_tEEE10hipError_tPvRmT1_PNSt15iterator_traitsISY_E10value_typeET2_T3_PNSZ_IS14_E10value_typeET4_jRbjT5_S1A_jjP12ihipStream_tbEUljE_EEESV_SW_SX_S14_S18_S1A_T6_T7_T9_mT8_S1C_bDpT10_ENKUlT_T0_E_clISt17integral_constantIbLb0EES1O_IbLb1EEEEDaS1K_S1L_EUlS1K_E_NS1_11comp_targetILNS1_3genE2ELNS1_11target_archE906ELNS1_3gpuE6ELNS1_3repE0EEENS1_30default_config_static_selectorELNS0_4arch9wavefront6targetE0EEEvSY_.private_seg_size, 0
	.set _ZN7rocprim17ROCPRIM_400000_NS6detail17trampoline_kernelINS0_13select_configILj256ELj13ELNS0_17block_load_methodE3ELS4_3ELS4_3ELNS0_20block_scan_algorithmE0ELj4294967295EEENS1_25partition_config_selectorILNS1_17partition_subalgoE3EjNS0_10empty_typeEbEEZZNS1_14partition_implILS8_3ELb0ES6_jNS0_17counting_iteratorIjlEEPS9_SE_NS0_5tupleIJPjSE_EEENSF_IJSE_SE_EEES9_SG_JZNS1_25segmented_radix_sort_implINS0_14default_configELb0EPKaPaPKlPlN2at6native12_GLOBAL__N_18offset_tEEE10hipError_tPvRmT1_PNSt15iterator_traitsISY_E10value_typeET2_T3_PNSZ_IS14_E10value_typeET4_jRbjT5_S1A_jjP12ihipStream_tbEUljE_EEESV_SW_SX_S14_S18_S1A_T6_T7_T9_mT8_S1C_bDpT10_ENKUlT_T0_E_clISt17integral_constantIbLb0EES1O_IbLb1EEEEDaS1K_S1L_EUlS1K_E_NS1_11comp_targetILNS1_3genE2ELNS1_11target_archE906ELNS1_3gpuE6ELNS1_3repE0EEENS1_30default_config_static_selectorELNS0_4arch9wavefront6targetE0EEEvSY_.uses_vcc, 0
	.set _ZN7rocprim17ROCPRIM_400000_NS6detail17trampoline_kernelINS0_13select_configILj256ELj13ELNS0_17block_load_methodE3ELS4_3ELS4_3ELNS0_20block_scan_algorithmE0ELj4294967295EEENS1_25partition_config_selectorILNS1_17partition_subalgoE3EjNS0_10empty_typeEbEEZZNS1_14partition_implILS8_3ELb0ES6_jNS0_17counting_iteratorIjlEEPS9_SE_NS0_5tupleIJPjSE_EEENSF_IJSE_SE_EEES9_SG_JZNS1_25segmented_radix_sort_implINS0_14default_configELb0EPKaPaPKlPlN2at6native12_GLOBAL__N_18offset_tEEE10hipError_tPvRmT1_PNSt15iterator_traitsISY_E10value_typeET2_T3_PNSZ_IS14_E10value_typeET4_jRbjT5_S1A_jjP12ihipStream_tbEUljE_EEESV_SW_SX_S14_S18_S1A_T6_T7_T9_mT8_S1C_bDpT10_ENKUlT_T0_E_clISt17integral_constantIbLb0EES1O_IbLb1EEEEDaS1K_S1L_EUlS1K_E_NS1_11comp_targetILNS1_3genE2ELNS1_11target_archE906ELNS1_3gpuE6ELNS1_3repE0EEENS1_30default_config_static_selectorELNS0_4arch9wavefront6targetE0EEEvSY_.uses_flat_scratch, 0
	.set _ZN7rocprim17ROCPRIM_400000_NS6detail17trampoline_kernelINS0_13select_configILj256ELj13ELNS0_17block_load_methodE3ELS4_3ELS4_3ELNS0_20block_scan_algorithmE0ELj4294967295EEENS1_25partition_config_selectorILNS1_17partition_subalgoE3EjNS0_10empty_typeEbEEZZNS1_14partition_implILS8_3ELb0ES6_jNS0_17counting_iteratorIjlEEPS9_SE_NS0_5tupleIJPjSE_EEENSF_IJSE_SE_EEES9_SG_JZNS1_25segmented_radix_sort_implINS0_14default_configELb0EPKaPaPKlPlN2at6native12_GLOBAL__N_18offset_tEEE10hipError_tPvRmT1_PNSt15iterator_traitsISY_E10value_typeET2_T3_PNSZ_IS14_E10value_typeET4_jRbjT5_S1A_jjP12ihipStream_tbEUljE_EEESV_SW_SX_S14_S18_S1A_T6_T7_T9_mT8_S1C_bDpT10_ENKUlT_T0_E_clISt17integral_constantIbLb0EES1O_IbLb1EEEEDaS1K_S1L_EUlS1K_E_NS1_11comp_targetILNS1_3genE2ELNS1_11target_archE906ELNS1_3gpuE6ELNS1_3repE0EEENS1_30default_config_static_selectorELNS0_4arch9wavefront6targetE0EEEvSY_.has_dyn_sized_stack, 0
	.set _ZN7rocprim17ROCPRIM_400000_NS6detail17trampoline_kernelINS0_13select_configILj256ELj13ELNS0_17block_load_methodE3ELS4_3ELS4_3ELNS0_20block_scan_algorithmE0ELj4294967295EEENS1_25partition_config_selectorILNS1_17partition_subalgoE3EjNS0_10empty_typeEbEEZZNS1_14partition_implILS8_3ELb0ES6_jNS0_17counting_iteratorIjlEEPS9_SE_NS0_5tupleIJPjSE_EEENSF_IJSE_SE_EEES9_SG_JZNS1_25segmented_radix_sort_implINS0_14default_configELb0EPKaPaPKlPlN2at6native12_GLOBAL__N_18offset_tEEE10hipError_tPvRmT1_PNSt15iterator_traitsISY_E10value_typeET2_T3_PNSZ_IS14_E10value_typeET4_jRbjT5_S1A_jjP12ihipStream_tbEUljE_EEESV_SW_SX_S14_S18_S1A_T6_T7_T9_mT8_S1C_bDpT10_ENKUlT_T0_E_clISt17integral_constantIbLb0EES1O_IbLb1EEEEDaS1K_S1L_EUlS1K_E_NS1_11comp_targetILNS1_3genE2ELNS1_11target_archE906ELNS1_3gpuE6ELNS1_3repE0EEENS1_30default_config_static_selectorELNS0_4arch9wavefront6targetE0EEEvSY_.has_recursion, 0
	.set _ZN7rocprim17ROCPRIM_400000_NS6detail17trampoline_kernelINS0_13select_configILj256ELj13ELNS0_17block_load_methodE3ELS4_3ELS4_3ELNS0_20block_scan_algorithmE0ELj4294967295EEENS1_25partition_config_selectorILNS1_17partition_subalgoE3EjNS0_10empty_typeEbEEZZNS1_14partition_implILS8_3ELb0ES6_jNS0_17counting_iteratorIjlEEPS9_SE_NS0_5tupleIJPjSE_EEENSF_IJSE_SE_EEES9_SG_JZNS1_25segmented_radix_sort_implINS0_14default_configELb0EPKaPaPKlPlN2at6native12_GLOBAL__N_18offset_tEEE10hipError_tPvRmT1_PNSt15iterator_traitsISY_E10value_typeET2_T3_PNSZ_IS14_E10value_typeET4_jRbjT5_S1A_jjP12ihipStream_tbEUljE_EEESV_SW_SX_S14_S18_S1A_T6_T7_T9_mT8_S1C_bDpT10_ENKUlT_T0_E_clISt17integral_constantIbLb0EES1O_IbLb1EEEEDaS1K_S1L_EUlS1K_E_NS1_11comp_targetILNS1_3genE2ELNS1_11target_archE906ELNS1_3gpuE6ELNS1_3repE0EEENS1_30default_config_static_selectorELNS0_4arch9wavefront6targetE0EEEvSY_.has_indirect_call, 0
	.section	.AMDGPU.csdata,"",@progbits
; Kernel info:
; codeLenInByte = 0
; TotalNumSgprs: 0
; NumVgprs: 0
; ScratchSize: 0
; MemoryBound: 0
; FloatMode: 240
; IeeeMode: 1
; LDSByteSize: 0 bytes/workgroup (compile time only)
; SGPRBlocks: 0
; VGPRBlocks: 0
; NumSGPRsForWavesPerEU: 1
; NumVGPRsForWavesPerEU: 1
; NamedBarCnt: 0
; Occupancy: 16
; WaveLimiterHint : 0
; COMPUTE_PGM_RSRC2:SCRATCH_EN: 0
; COMPUTE_PGM_RSRC2:USER_SGPR: 2
; COMPUTE_PGM_RSRC2:TRAP_HANDLER: 0
; COMPUTE_PGM_RSRC2:TGID_X_EN: 1
; COMPUTE_PGM_RSRC2:TGID_Y_EN: 0
; COMPUTE_PGM_RSRC2:TGID_Z_EN: 0
; COMPUTE_PGM_RSRC2:TIDIG_COMP_CNT: 0
	.section	.text._ZN7rocprim17ROCPRIM_400000_NS6detail17trampoline_kernelINS0_13select_configILj256ELj13ELNS0_17block_load_methodE3ELS4_3ELS4_3ELNS0_20block_scan_algorithmE0ELj4294967295EEENS1_25partition_config_selectorILNS1_17partition_subalgoE3EjNS0_10empty_typeEbEEZZNS1_14partition_implILS8_3ELb0ES6_jNS0_17counting_iteratorIjlEEPS9_SE_NS0_5tupleIJPjSE_EEENSF_IJSE_SE_EEES9_SG_JZNS1_25segmented_radix_sort_implINS0_14default_configELb0EPKaPaPKlPlN2at6native12_GLOBAL__N_18offset_tEEE10hipError_tPvRmT1_PNSt15iterator_traitsISY_E10value_typeET2_T3_PNSZ_IS14_E10value_typeET4_jRbjT5_S1A_jjP12ihipStream_tbEUljE_EEESV_SW_SX_S14_S18_S1A_T6_T7_T9_mT8_S1C_bDpT10_ENKUlT_T0_E_clISt17integral_constantIbLb0EES1O_IbLb1EEEEDaS1K_S1L_EUlS1K_E_NS1_11comp_targetILNS1_3genE10ELNS1_11target_archE1200ELNS1_3gpuE4ELNS1_3repE0EEENS1_30default_config_static_selectorELNS0_4arch9wavefront6targetE0EEEvSY_,"axG",@progbits,_ZN7rocprim17ROCPRIM_400000_NS6detail17trampoline_kernelINS0_13select_configILj256ELj13ELNS0_17block_load_methodE3ELS4_3ELS4_3ELNS0_20block_scan_algorithmE0ELj4294967295EEENS1_25partition_config_selectorILNS1_17partition_subalgoE3EjNS0_10empty_typeEbEEZZNS1_14partition_implILS8_3ELb0ES6_jNS0_17counting_iteratorIjlEEPS9_SE_NS0_5tupleIJPjSE_EEENSF_IJSE_SE_EEES9_SG_JZNS1_25segmented_radix_sort_implINS0_14default_configELb0EPKaPaPKlPlN2at6native12_GLOBAL__N_18offset_tEEE10hipError_tPvRmT1_PNSt15iterator_traitsISY_E10value_typeET2_T3_PNSZ_IS14_E10value_typeET4_jRbjT5_S1A_jjP12ihipStream_tbEUljE_EEESV_SW_SX_S14_S18_S1A_T6_T7_T9_mT8_S1C_bDpT10_ENKUlT_T0_E_clISt17integral_constantIbLb0EES1O_IbLb1EEEEDaS1K_S1L_EUlS1K_E_NS1_11comp_targetILNS1_3genE10ELNS1_11target_archE1200ELNS1_3gpuE4ELNS1_3repE0EEENS1_30default_config_static_selectorELNS0_4arch9wavefront6targetE0EEEvSY_,comdat
	.globl	_ZN7rocprim17ROCPRIM_400000_NS6detail17trampoline_kernelINS0_13select_configILj256ELj13ELNS0_17block_load_methodE3ELS4_3ELS4_3ELNS0_20block_scan_algorithmE0ELj4294967295EEENS1_25partition_config_selectorILNS1_17partition_subalgoE3EjNS0_10empty_typeEbEEZZNS1_14partition_implILS8_3ELb0ES6_jNS0_17counting_iteratorIjlEEPS9_SE_NS0_5tupleIJPjSE_EEENSF_IJSE_SE_EEES9_SG_JZNS1_25segmented_radix_sort_implINS0_14default_configELb0EPKaPaPKlPlN2at6native12_GLOBAL__N_18offset_tEEE10hipError_tPvRmT1_PNSt15iterator_traitsISY_E10value_typeET2_T3_PNSZ_IS14_E10value_typeET4_jRbjT5_S1A_jjP12ihipStream_tbEUljE_EEESV_SW_SX_S14_S18_S1A_T6_T7_T9_mT8_S1C_bDpT10_ENKUlT_T0_E_clISt17integral_constantIbLb0EES1O_IbLb1EEEEDaS1K_S1L_EUlS1K_E_NS1_11comp_targetILNS1_3genE10ELNS1_11target_archE1200ELNS1_3gpuE4ELNS1_3repE0EEENS1_30default_config_static_selectorELNS0_4arch9wavefront6targetE0EEEvSY_ ; -- Begin function _ZN7rocprim17ROCPRIM_400000_NS6detail17trampoline_kernelINS0_13select_configILj256ELj13ELNS0_17block_load_methodE3ELS4_3ELS4_3ELNS0_20block_scan_algorithmE0ELj4294967295EEENS1_25partition_config_selectorILNS1_17partition_subalgoE3EjNS0_10empty_typeEbEEZZNS1_14partition_implILS8_3ELb0ES6_jNS0_17counting_iteratorIjlEEPS9_SE_NS0_5tupleIJPjSE_EEENSF_IJSE_SE_EEES9_SG_JZNS1_25segmented_radix_sort_implINS0_14default_configELb0EPKaPaPKlPlN2at6native12_GLOBAL__N_18offset_tEEE10hipError_tPvRmT1_PNSt15iterator_traitsISY_E10value_typeET2_T3_PNSZ_IS14_E10value_typeET4_jRbjT5_S1A_jjP12ihipStream_tbEUljE_EEESV_SW_SX_S14_S18_S1A_T6_T7_T9_mT8_S1C_bDpT10_ENKUlT_T0_E_clISt17integral_constantIbLb0EES1O_IbLb1EEEEDaS1K_S1L_EUlS1K_E_NS1_11comp_targetILNS1_3genE10ELNS1_11target_archE1200ELNS1_3gpuE4ELNS1_3repE0EEENS1_30default_config_static_selectorELNS0_4arch9wavefront6targetE0EEEvSY_
	.p2align	8
	.type	_ZN7rocprim17ROCPRIM_400000_NS6detail17trampoline_kernelINS0_13select_configILj256ELj13ELNS0_17block_load_methodE3ELS4_3ELS4_3ELNS0_20block_scan_algorithmE0ELj4294967295EEENS1_25partition_config_selectorILNS1_17partition_subalgoE3EjNS0_10empty_typeEbEEZZNS1_14partition_implILS8_3ELb0ES6_jNS0_17counting_iteratorIjlEEPS9_SE_NS0_5tupleIJPjSE_EEENSF_IJSE_SE_EEES9_SG_JZNS1_25segmented_radix_sort_implINS0_14default_configELb0EPKaPaPKlPlN2at6native12_GLOBAL__N_18offset_tEEE10hipError_tPvRmT1_PNSt15iterator_traitsISY_E10value_typeET2_T3_PNSZ_IS14_E10value_typeET4_jRbjT5_S1A_jjP12ihipStream_tbEUljE_EEESV_SW_SX_S14_S18_S1A_T6_T7_T9_mT8_S1C_bDpT10_ENKUlT_T0_E_clISt17integral_constantIbLb0EES1O_IbLb1EEEEDaS1K_S1L_EUlS1K_E_NS1_11comp_targetILNS1_3genE10ELNS1_11target_archE1200ELNS1_3gpuE4ELNS1_3repE0EEENS1_30default_config_static_selectorELNS0_4arch9wavefront6targetE0EEEvSY_,@function
_ZN7rocprim17ROCPRIM_400000_NS6detail17trampoline_kernelINS0_13select_configILj256ELj13ELNS0_17block_load_methodE3ELS4_3ELS4_3ELNS0_20block_scan_algorithmE0ELj4294967295EEENS1_25partition_config_selectorILNS1_17partition_subalgoE3EjNS0_10empty_typeEbEEZZNS1_14partition_implILS8_3ELb0ES6_jNS0_17counting_iteratorIjlEEPS9_SE_NS0_5tupleIJPjSE_EEENSF_IJSE_SE_EEES9_SG_JZNS1_25segmented_radix_sort_implINS0_14default_configELb0EPKaPaPKlPlN2at6native12_GLOBAL__N_18offset_tEEE10hipError_tPvRmT1_PNSt15iterator_traitsISY_E10value_typeET2_T3_PNSZ_IS14_E10value_typeET4_jRbjT5_S1A_jjP12ihipStream_tbEUljE_EEESV_SW_SX_S14_S18_S1A_T6_T7_T9_mT8_S1C_bDpT10_ENKUlT_T0_E_clISt17integral_constantIbLb0EES1O_IbLb1EEEEDaS1K_S1L_EUlS1K_E_NS1_11comp_targetILNS1_3genE10ELNS1_11target_archE1200ELNS1_3gpuE4ELNS1_3repE0EEENS1_30default_config_static_selectorELNS0_4arch9wavefront6targetE0EEEvSY_: ; @_ZN7rocprim17ROCPRIM_400000_NS6detail17trampoline_kernelINS0_13select_configILj256ELj13ELNS0_17block_load_methodE3ELS4_3ELS4_3ELNS0_20block_scan_algorithmE0ELj4294967295EEENS1_25partition_config_selectorILNS1_17partition_subalgoE3EjNS0_10empty_typeEbEEZZNS1_14partition_implILS8_3ELb0ES6_jNS0_17counting_iteratorIjlEEPS9_SE_NS0_5tupleIJPjSE_EEENSF_IJSE_SE_EEES9_SG_JZNS1_25segmented_radix_sort_implINS0_14default_configELb0EPKaPaPKlPlN2at6native12_GLOBAL__N_18offset_tEEE10hipError_tPvRmT1_PNSt15iterator_traitsISY_E10value_typeET2_T3_PNSZ_IS14_E10value_typeET4_jRbjT5_S1A_jjP12ihipStream_tbEUljE_EEESV_SW_SX_S14_S18_S1A_T6_T7_T9_mT8_S1C_bDpT10_ENKUlT_T0_E_clISt17integral_constantIbLb0EES1O_IbLb1EEEEDaS1K_S1L_EUlS1K_E_NS1_11comp_targetILNS1_3genE10ELNS1_11target_archE1200ELNS1_3gpuE4ELNS1_3repE0EEENS1_30default_config_static_selectorELNS0_4arch9wavefront6targetE0EEEvSY_
; %bb.0:
	.section	.rodata,"a",@progbits
	.p2align	6, 0x0
	.amdhsa_kernel _ZN7rocprim17ROCPRIM_400000_NS6detail17trampoline_kernelINS0_13select_configILj256ELj13ELNS0_17block_load_methodE3ELS4_3ELS4_3ELNS0_20block_scan_algorithmE0ELj4294967295EEENS1_25partition_config_selectorILNS1_17partition_subalgoE3EjNS0_10empty_typeEbEEZZNS1_14partition_implILS8_3ELb0ES6_jNS0_17counting_iteratorIjlEEPS9_SE_NS0_5tupleIJPjSE_EEENSF_IJSE_SE_EEES9_SG_JZNS1_25segmented_radix_sort_implINS0_14default_configELb0EPKaPaPKlPlN2at6native12_GLOBAL__N_18offset_tEEE10hipError_tPvRmT1_PNSt15iterator_traitsISY_E10value_typeET2_T3_PNSZ_IS14_E10value_typeET4_jRbjT5_S1A_jjP12ihipStream_tbEUljE_EEESV_SW_SX_S14_S18_S1A_T6_T7_T9_mT8_S1C_bDpT10_ENKUlT_T0_E_clISt17integral_constantIbLb0EES1O_IbLb1EEEEDaS1K_S1L_EUlS1K_E_NS1_11comp_targetILNS1_3genE10ELNS1_11target_archE1200ELNS1_3gpuE4ELNS1_3repE0EEENS1_30default_config_static_selectorELNS0_4arch9wavefront6targetE0EEEvSY_
		.amdhsa_group_segment_fixed_size 0
		.amdhsa_private_segment_fixed_size 0
		.amdhsa_kernarg_size 152
		.amdhsa_user_sgpr_count 2
		.amdhsa_user_sgpr_dispatch_ptr 0
		.amdhsa_user_sgpr_queue_ptr 0
		.amdhsa_user_sgpr_kernarg_segment_ptr 1
		.amdhsa_user_sgpr_dispatch_id 0
		.amdhsa_user_sgpr_kernarg_preload_length 0
		.amdhsa_user_sgpr_kernarg_preload_offset 0
		.amdhsa_user_sgpr_private_segment_size 0
		.amdhsa_wavefront_size32 1
		.amdhsa_uses_dynamic_stack 0
		.amdhsa_enable_private_segment 0
		.amdhsa_system_sgpr_workgroup_id_x 1
		.amdhsa_system_sgpr_workgroup_id_y 0
		.amdhsa_system_sgpr_workgroup_id_z 0
		.amdhsa_system_sgpr_workgroup_info 0
		.amdhsa_system_vgpr_workitem_id 0
		.amdhsa_next_free_vgpr 1
		.amdhsa_next_free_sgpr 1
		.amdhsa_named_barrier_count 0
		.amdhsa_reserve_vcc 0
		.amdhsa_float_round_mode_32 0
		.amdhsa_float_round_mode_16_64 0
		.amdhsa_float_denorm_mode_32 3
		.amdhsa_float_denorm_mode_16_64 3
		.amdhsa_fp16_overflow 0
		.amdhsa_memory_ordered 1
		.amdhsa_forward_progress 1
		.amdhsa_inst_pref_size 0
		.amdhsa_round_robin_scheduling 0
		.amdhsa_exception_fp_ieee_invalid_op 0
		.amdhsa_exception_fp_denorm_src 0
		.amdhsa_exception_fp_ieee_div_zero 0
		.amdhsa_exception_fp_ieee_overflow 0
		.amdhsa_exception_fp_ieee_underflow 0
		.amdhsa_exception_fp_ieee_inexact 0
		.amdhsa_exception_int_div_zero 0
	.end_amdhsa_kernel
	.section	.text._ZN7rocprim17ROCPRIM_400000_NS6detail17trampoline_kernelINS0_13select_configILj256ELj13ELNS0_17block_load_methodE3ELS4_3ELS4_3ELNS0_20block_scan_algorithmE0ELj4294967295EEENS1_25partition_config_selectorILNS1_17partition_subalgoE3EjNS0_10empty_typeEbEEZZNS1_14partition_implILS8_3ELb0ES6_jNS0_17counting_iteratorIjlEEPS9_SE_NS0_5tupleIJPjSE_EEENSF_IJSE_SE_EEES9_SG_JZNS1_25segmented_radix_sort_implINS0_14default_configELb0EPKaPaPKlPlN2at6native12_GLOBAL__N_18offset_tEEE10hipError_tPvRmT1_PNSt15iterator_traitsISY_E10value_typeET2_T3_PNSZ_IS14_E10value_typeET4_jRbjT5_S1A_jjP12ihipStream_tbEUljE_EEESV_SW_SX_S14_S18_S1A_T6_T7_T9_mT8_S1C_bDpT10_ENKUlT_T0_E_clISt17integral_constantIbLb0EES1O_IbLb1EEEEDaS1K_S1L_EUlS1K_E_NS1_11comp_targetILNS1_3genE10ELNS1_11target_archE1200ELNS1_3gpuE4ELNS1_3repE0EEENS1_30default_config_static_selectorELNS0_4arch9wavefront6targetE0EEEvSY_,"axG",@progbits,_ZN7rocprim17ROCPRIM_400000_NS6detail17trampoline_kernelINS0_13select_configILj256ELj13ELNS0_17block_load_methodE3ELS4_3ELS4_3ELNS0_20block_scan_algorithmE0ELj4294967295EEENS1_25partition_config_selectorILNS1_17partition_subalgoE3EjNS0_10empty_typeEbEEZZNS1_14partition_implILS8_3ELb0ES6_jNS0_17counting_iteratorIjlEEPS9_SE_NS0_5tupleIJPjSE_EEENSF_IJSE_SE_EEES9_SG_JZNS1_25segmented_radix_sort_implINS0_14default_configELb0EPKaPaPKlPlN2at6native12_GLOBAL__N_18offset_tEEE10hipError_tPvRmT1_PNSt15iterator_traitsISY_E10value_typeET2_T3_PNSZ_IS14_E10value_typeET4_jRbjT5_S1A_jjP12ihipStream_tbEUljE_EEESV_SW_SX_S14_S18_S1A_T6_T7_T9_mT8_S1C_bDpT10_ENKUlT_T0_E_clISt17integral_constantIbLb0EES1O_IbLb1EEEEDaS1K_S1L_EUlS1K_E_NS1_11comp_targetILNS1_3genE10ELNS1_11target_archE1200ELNS1_3gpuE4ELNS1_3repE0EEENS1_30default_config_static_selectorELNS0_4arch9wavefront6targetE0EEEvSY_,comdat
.Lfunc_end387:
	.size	_ZN7rocprim17ROCPRIM_400000_NS6detail17trampoline_kernelINS0_13select_configILj256ELj13ELNS0_17block_load_methodE3ELS4_3ELS4_3ELNS0_20block_scan_algorithmE0ELj4294967295EEENS1_25partition_config_selectorILNS1_17partition_subalgoE3EjNS0_10empty_typeEbEEZZNS1_14partition_implILS8_3ELb0ES6_jNS0_17counting_iteratorIjlEEPS9_SE_NS0_5tupleIJPjSE_EEENSF_IJSE_SE_EEES9_SG_JZNS1_25segmented_radix_sort_implINS0_14default_configELb0EPKaPaPKlPlN2at6native12_GLOBAL__N_18offset_tEEE10hipError_tPvRmT1_PNSt15iterator_traitsISY_E10value_typeET2_T3_PNSZ_IS14_E10value_typeET4_jRbjT5_S1A_jjP12ihipStream_tbEUljE_EEESV_SW_SX_S14_S18_S1A_T6_T7_T9_mT8_S1C_bDpT10_ENKUlT_T0_E_clISt17integral_constantIbLb0EES1O_IbLb1EEEEDaS1K_S1L_EUlS1K_E_NS1_11comp_targetILNS1_3genE10ELNS1_11target_archE1200ELNS1_3gpuE4ELNS1_3repE0EEENS1_30default_config_static_selectorELNS0_4arch9wavefront6targetE0EEEvSY_, .Lfunc_end387-_ZN7rocprim17ROCPRIM_400000_NS6detail17trampoline_kernelINS0_13select_configILj256ELj13ELNS0_17block_load_methodE3ELS4_3ELS4_3ELNS0_20block_scan_algorithmE0ELj4294967295EEENS1_25partition_config_selectorILNS1_17partition_subalgoE3EjNS0_10empty_typeEbEEZZNS1_14partition_implILS8_3ELb0ES6_jNS0_17counting_iteratorIjlEEPS9_SE_NS0_5tupleIJPjSE_EEENSF_IJSE_SE_EEES9_SG_JZNS1_25segmented_radix_sort_implINS0_14default_configELb0EPKaPaPKlPlN2at6native12_GLOBAL__N_18offset_tEEE10hipError_tPvRmT1_PNSt15iterator_traitsISY_E10value_typeET2_T3_PNSZ_IS14_E10value_typeET4_jRbjT5_S1A_jjP12ihipStream_tbEUljE_EEESV_SW_SX_S14_S18_S1A_T6_T7_T9_mT8_S1C_bDpT10_ENKUlT_T0_E_clISt17integral_constantIbLb0EES1O_IbLb1EEEEDaS1K_S1L_EUlS1K_E_NS1_11comp_targetILNS1_3genE10ELNS1_11target_archE1200ELNS1_3gpuE4ELNS1_3repE0EEENS1_30default_config_static_selectorELNS0_4arch9wavefront6targetE0EEEvSY_
                                        ; -- End function
	.set _ZN7rocprim17ROCPRIM_400000_NS6detail17trampoline_kernelINS0_13select_configILj256ELj13ELNS0_17block_load_methodE3ELS4_3ELS4_3ELNS0_20block_scan_algorithmE0ELj4294967295EEENS1_25partition_config_selectorILNS1_17partition_subalgoE3EjNS0_10empty_typeEbEEZZNS1_14partition_implILS8_3ELb0ES6_jNS0_17counting_iteratorIjlEEPS9_SE_NS0_5tupleIJPjSE_EEENSF_IJSE_SE_EEES9_SG_JZNS1_25segmented_radix_sort_implINS0_14default_configELb0EPKaPaPKlPlN2at6native12_GLOBAL__N_18offset_tEEE10hipError_tPvRmT1_PNSt15iterator_traitsISY_E10value_typeET2_T3_PNSZ_IS14_E10value_typeET4_jRbjT5_S1A_jjP12ihipStream_tbEUljE_EEESV_SW_SX_S14_S18_S1A_T6_T7_T9_mT8_S1C_bDpT10_ENKUlT_T0_E_clISt17integral_constantIbLb0EES1O_IbLb1EEEEDaS1K_S1L_EUlS1K_E_NS1_11comp_targetILNS1_3genE10ELNS1_11target_archE1200ELNS1_3gpuE4ELNS1_3repE0EEENS1_30default_config_static_selectorELNS0_4arch9wavefront6targetE0EEEvSY_.num_vgpr, 0
	.set _ZN7rocprim17ROCPRIM_400000_NS6detail17trampoline_kernelINS0_13select_configILj256ELj13ELNS0_17block_load_methodE3ELS4_3ELS4_3ELNS0_20block_scan_algorithmE0ELj4294967295EEENS1_25partition_config_selectorILNS1_17partition_subalgoE3EjNS0_10empty_typeEbEEZZNS1_14partition_implILS8_3ELb0ES6_jNS0_17counting_iteratorIjlEEPS9_SE_NS0_5tupleIJPjSE_EEENSF_IJSE_SE_EEES9_SG_JZNS1_25segmented_radix_sort_implINS0_14default_configELb0EPKaPaPKlPlN2at6native12_GLOBAL__N_18offset_tEEE10hipError_tPvRmT1_PNSt15iterator_traitsISY_E10value_typeET2_T3_PNSZ_IS14_E10value_typeET4_jRbjT5_S1A_jjP12ihipStream_tbEUljE_EEESV_SW_SX_S14_S18_S1A_T6_T7_T9_mT8_S1C_bDpT10_ENKUlT_T0_E_clISt17integral_constantIbLb0EES1O_IbLb1EEEEDaS1K_S1L_EUlS1K_E_NS1_11comp_targetILNS1_3genE10ELNS1_11target_archE1200ELNS1_3gpuE4ELNS1_3repE0EEENS1_30default_config_static_selectorELNS0_4arch9wavefront6targetE0EEEvSY_.num_agpr, 0
	.set _ZN7rocprim17ROCPRIM_400000_NS6detail17trampoline_kernelINS0_13select_configILj256ELj13ELNS0_17block_load_methodE3ELS4_3ELS4_3ELNS0_20block_scan_algorithmE0ELj4294967295EEENS1_25partition_config_selectorILNS1_17partition_subalgoE3EjNS0_10empty_typeEbEEZZNS1_14partition_implILS8_3ELb0ES6_jNS0_17counting_iteratorIjlEEPS9_SE_NS0_5tupleIJPjSE_EEENSF_IJSE_SE_EEES9_SG_JZNS1_25segmented_radix_sort_implINS0_14default_configELb0EPKaPaPKlPlN2at6native12_GLOBAL__N_18offset_tEEE10hipError_tPvRmT1_PNSt15iterator_traitsISY_E10value_typeET2_T3_PNSZ_IS14_E10value_typeET4_jRbjT5_S1A_jjP12ihipStream_tbEUljE_EEESV_SW_SX_S14_S18_S1A_T6_T7_T9_mT8_S1C_bDpT10_ENKUlT_T0_E_clISt17integral_constantIbLb0EES1O_IbLb1EEEEDaS1K_S1L_EUlS1K_E_NS1_11comp_targetILNS1_3genE10ELNS1_11target_archE1200ELNS1_3gpuE4ELNS1_3repE0EEENS1_30default_config_static_selectorELNS0_4arch9wavefront6targetE0EEEvSY_.numbered_sgpr, 0
	.set _ZN7rocprim17ROCPRIM_400000_NS6detail17trampoline_kernelINS0_13select_configILj256ELj13ELNS0_17block_load_methodE3ELS4_3ELS4_3ELNS0_20block_scan_algorithmE0ELj4294967295EEENS1_25partition_config_selectorILNS1_17partition_subalgoE3EjNS0_10empty_typeEbEEZZNS1_14partition_implILS8_3ELb0ES6_jNS0_17counting_iteratorIjlEEPS9_SE_NS0_5tupleIJPjSE_EEENSF_IJSE_SE_EEES9_SG_JZNS1_25segmented_radix_sort_implINS0_14default_configELb0EPKaPaPKlPlN2at6native12_GLOBAL__N_18offset_tEEE10hipError_tPvRmT1_PNSt15iterator_traitsISY_E10value_typeET2_T3_PNSZ_IS14_E10value_typeET4_jRbjT5_S1A_jjP12ihipStream_tbEUljE_EEESV_SW_SX_S14_S18_S1A_T6_T7_T9_mT8_S1C_bDpT10_ENKUlT_T0_E_clISt17integral_constantIbLb0EES1O_IbLb1EEEEDaS1K_S1L_EUlS1K_E_NS1_11comp_targetILNS1_3genE10ELNS1_11target_archE1200ELNS1_3gpuE4ELNS1_3repE0EEENS1_30default_config_static_selectorELNS0_4arch9wavefront6targetE0EEEvSY_.num_named_barrier, 0
	.set _ZN7rocprim17ROCPRIM_400000_NS6detail17trampoline_kernelINS0_13select_configILj256ELj13ELNS0_17block_load_methodE3ELS4_3ELS4_3ELNS0_20block_scan_algorithmE0ELj4294967295EEENS1_25partition_config_selectorILNS1_17partition_subalgoE3EjNS0_10empty_typeEbEEZZNS1_14partition_implILS8_3ELb0ES6_jNS0_17counting_iteratorIjlEEPS9_SE_NS0_5tupleIJPjSE_EEENSF_IJSE_SE_EEES9_SG_JZNS1_25segmented_radix_sort_implINS0_14default_configELb0EPKaPaPKlPlN2at6native12_GLOBAL__N_18offset_tEEE10hipError_tPvRmT1_PNSt15iterator_traitsISY_E10value_typeET2_T3_PNSZ_IS14_E10value_typeET4_jRbjT5_S1A_jjP12ihipStream_tbEUljE_EEESV_SW_SX_S14_S18_S1A_T6_T7_T9_mT8_S1C_bDpT10_ENKUlT_T0_E_clISt17integral_constantIbLb0EES1O_IbLb1EEEEDaS1K_S1L_EUlS1K_E_NS1_11comp_targetILNS1_3genE10ELNS1_11target_archE1200ELNS1_3gpuE4ELNS1_3repE0EEENS1_30default_config_static_selectorELNS0_4arch9wavefront6targetE0EEEvSY_.private_seg_size, 0
	.set _ZN7rocprim17ROCPRIM_400000_NS6detail17trampoline_kernelINS0_13select_configILj256ELj13ELNS0_17block_load_methodE3ELS4_3ELS4_3ELNS0_20block_scan_algorithmE0ELj4294967295EEENS1_25partition_config_selectorILNS1_17partition_subalgoE3EjNS0_10empty_typeEbEEZZNS1_14partition_implILS8_3ELb0ES6_jNS0_17counting_iteratorIjlEEPS9_SE_NS0_5tupleIJPjSE_EEENSF_IJSE_SE_EEES9_SG_JZNS1_25segmented_radix_sort_implINS0_14default_configELb0EPKaPaPKlPlN2at6native12_GLOBAL__N_18offset_tEEE10hipError_tPvRmT1_PNSt15iterator_traitsISY_E10value_typeET2_T3_PNSZ_IS14_E10value_typeET4_jRbjT5_S1A_jjP12ihipStream_tbEUljE_EEESV_SW_SX_S14_S18_S1A_T6_T7_T9_mT8_S1C_bDpT10_ENKUlT_T0_E_clISt17integral_constantIbLb0EES1O_IbLb1EEEEDaS1K_S1L_EUlS1K_E_NS1_11comp_targetILNS1_3genE10ELNS1_11target_archE1200ELNS1_3gpuE4ELNS1_3repE0EEENS1_30default_config_static_selectorELNS0_4arch9wavefront6targetE0EEEvSY_.uses_vcc, 0
	.set _ZN7rocprim17ROCPRIM_400000_NS6detail17trampoline_kernelINS0_13select_configILj256ELj13ELNS0_17block_load_methodE3ELS4_3ELS4_3ELNS0_20block_scan_algorithmE0ELj4294967295EEENS1_25partition_config_selectorILNS1_17partition_subalgoE3EjNS0_10empty_typeEbEEZZNS1_14partition_implILS8_3ELb0ES6_jNS0_17counting_iteratorIjlEEPS9_SE_NS0_5tupleIJPjSE_EEENSF_IJSE_SE_EEES9_SG_JZNS1_25segmented_radix_sort_implINS0_14default_configELb0EPKaPaPKlPlN2at6native12_GLOBAL__N_18offset_tEEE10hipError_tPvRmT1_PNSt15iterator_traitsISY_E10value_typeET2_T3_PNSZ_IS14_E10value_typeET4_jRbjT5_S1A_jjP12ihipStream_tbEUljE_EEESV_SW_SX_S14_S18_S1A_T6_T7_T9_mT8_S1C_bDpT10_ENKUlT_T0_E_clISt17integral_constantIbLb0EES1O_IbLb1EEEEDaS1K_S1L_EUlS1K_E_NS1_11comp_targetILNS1_3genE10ELNS1_11target_archE1200ELNS1_3gpuE4ELNS1_3repE0EEENS1_30default_config_static_selectorELNS0_4arch9wavefront6targetE0EEEvSY_.uses_flat_scratch, 0
	.set _ZN7rocprim17ROCPRIM_400000_NS6detail17trampoline_kernelINS0_13select_configILj256ELj13ELNS0_17block_load_methodE3ELS4_3ELS4_3ELNS0_20block_scan_algorithmE0ELj4294967295EEENS1_25partition_config_selectorILNS1_17partition_subalgoE3EjNS0_10empty_typeEbEEZZNS1_14partition_implILS8_3ELb0ES6_jNS0_17counting_iteratorIjlEEPS9_SE_NS0_5tupleIJPjSE_EEENSF_IJSE_SE_EEES9_SG_JZNS1_25segmented_radix_sort_implINS0_14default_configELb0EPKaPaPKlPlN2at6native12_GLOBAL__N_18offset_tEEE10hipError_tPvRmT1_PNSt15iterator_traitsISY_E10value_typeET2_T3_PNSZ_IS14_E10value_typeET4_jRbjT5_S1A_jjP12ihipStream_tbEUljE_EEESV_SW_SX_S14_S18_S1A_T6_T7_T9_mT8_S1C_bDpT10_ENKUlT_T0_E_clISt17integral_constantIbLb0EES1O_IbLb1EEEEDaS1K_S1L_EUlS1K_E_NS1_11comp_targetILNS1_3genE10ELNS1_11target_archE1200ELNS1_3gpuE4ELNS1_3repE0EEENS1_30default_config_static_selectorELNS0_4arch9wavefront6targetE0EEEvSY_.has_dyn_sized_stack, 0
	.set _ZN7rocprim17ROCPRIM_400000_NS6detail17trampoline_kernelINS0_13select_configILj256ELj13ELNS0_17block_load_methodE3ELS4_3ELS4_3ELNS0_20block_scan_algorithmE0ELj4294967295EEENS1_25partition_config_selectorILNS1_17partition_subalgoE3EjNS0_10empty_typeEbEEZZNS1_14partition_implILS8_3ELb0ES6_jNS0_17counting_iteratorIjlEEPS9_SE_NS0_5tupleIJPjSE_EEENSF_IJSE_SE_EEES9_SG_JZNS1_25segmented_radix_sort_implINS0_14default_configELb0EPKaPaPKlPlN2at6native12_GLOBAL__N_18offset_tEEE10hipError_tPvRmT1_PNSt15iterator_traitsISY_E10value_typeET2_T3_PNSZ_IS14_E10value_typeET4_jRbjT5_S1A_jjP12ihipStream_tbEUljE_EEESV_SW_SX_S14_S18_S1A_T6_T7_T9_mT8_S1C_bDpT10_ENKUlT_T0_E_clISt17integral_constantIbLb0EES1O_IbLb1EEEEDaS1K_S1L_EUlS1K_E_NS1_11comp_targetILNS1_3genE10ELNS1_11target_archE1200ELNS1_3gpuE4ELNS1_3repE0EEENS1_30default_config_static_selectorELNS0_4arch9wavefront6targetE0EEEvSY_.has_recursion, 0
	.set _ZN7rocprim17ROCPRIM_400000_NS6detail17trampoline_kernelINS0_13select_configILj256ELj13ELNS0_17block_load_methodE3ELS4_3ELS4_3ELNS0_20block_scan_algorithmE0ELj4294967295EEENS1_25partition_config_selectorILNS1_17partition_subalgoE3EjNS0_10empty_typeEbEEZZNS1_14partition_implILS8_3ELb0ES6_jNS0_17counting_iteratorIjlEEPS9_SE_NS0_5tupleIJPjSE_EEENSF_IJSE_SE_EEES9_SG_JZNS1_25segmented_radix_sort_implINS0_14default_configELb0EPKaPaPKlPlN2at6native12_GLOBAL__N_18offset_tEEE10hipError_tPvRmT1_PNSt15iterator_traitsISY_E10value_typeET2_T3_PNSZ_IS14_E10value_typeET4_jRbjT5_S1A_jjP12ihipStream_tbEUljE_EEESV_SW_SX_S14_S18_S1A_T6_T7_T9_mT8_S1C_bDpT10_ENKUlT_T0_E_clISt17integral_constantIbLb0EES1O_IbLb1EEEEDaS1K_S1L_EUlS1K_E_NS1_11comp_targetILNS1_3genE10ELNS1_11target_archE1200ELNS1_3gpuE4ELNS1_3repE0EEENS1_30default_config_static_selectorELNS0_4arch9wavefront6targetE0EEEvSY_.has_indirect_call, 0
	.section	.AMDGPU.csdata,"",@progbits
; Kernel info:
; codeLenInByte = 0
; TotalNumSgprs: 0
; NumVgprs: 0
; ScratchSize: 0
; MemoryBound: 0
; FloatMode: 240
; IeeeMode: 1
; LDSByteSize: 0 bytes/workgroup (compile time only)
; SGPRBlocks: 0
; VGPRBlocks: 0
; NumSGPRsForWavesPerEU: 1
; NumVGPRsForWavesPerEU: 1
; NamedBarCnt: 0
; Occupancy: 16
; WaveLimiterHint : 0
; COMPUTE_PGM_RSRC2:SCRATCH_EN: 0
; COMPUTE_PGM_RSRC2:USER_SGPR: 2
; COMPUTE_PGM_RSRC2:TRAP_HANDLER: 0
; COMPUTE_PGM_RSRC2:TGID_X_EN: 1
; COMPUTE_PGM_RSRC2:TGID_Y_EN: 0
; COMPUTE_PGM_RSRC2:TGID_Z_EN: 0
; COMPUTE_PGM_RSRC2:TIDIG_COMP_CNT: 0
	.section	.text._ZN7rocprim17ROCPRIM_400000_NS6detail17trampoline_kernelINS0_13select_configILj256ELj13ELNS0_17block_load_methodE3ELS4_3ELS4_3ELNS0_20block_scan_algorithmE0ELj4294967295EEENS1_25partition_config_selectorILNS1_17partition_subalgoE3EjNS0_10empty_typeEbEEZZNS1_14partition_implILS8_3ELb0ES6_jNS0_17counting_iteratorIjlEEPS9_SE_NS0_5tupleIJPjSE_EEENSF_IJSE_SE_EEES9_SG_JZNS1_25segmented_radix_sort_implINS0_14default_configELb0EPKaPaPKlPlN2at6native12_GLOBAL__N_18offset_tEEE10hipError_tPvRmT1_PNSt15iterator_traitsISY_E10value_typeET2_T3_PNSZ_IS14_E10value_typeET4_jRbjT5_S1A_jjP12ihipStream_tbEUljE_EEESV_SW_SX_S14_S18_S1A_T6_T7_T9_mT8_S1C_bDpT10_ENKUlT_T0_E_clISt17integral_constantIbLb0EES1O_IbLb1EEEEDaS1K_S1L_EUlS1K_E_NS1_11comp_targetILNS1_3genE9ELNS1_11target_archE1100ELNS1_3gpuE3ELNS1_3repE0EEENS1_30default_config_static_selectorELNS0_4arch9wavefront6targetE0EEEvSY_,"axG",@progbits,_ZN7rocprim17ROCPRIM_400000_NS6detail17trampoline_kernelINS0_13select_configILj256ELj13ELNS0_17block_load_methodE3ELS4_3ELS4_3ELNS0_20block_scan_algorithmE0ELj4294967295EEENS1_25partition_config_selectorILNS1_17partition_subalgoE3EjNS0_10empty_typeEbEEZZNS1_14partition_implILS8_3ELb0ES6_jNS0_17counting_iteratorIjlEEPS9_SE_NS0_5tupleIJPjSE_EEENSF_IJSE_SE_EEES9_SG_JZNS1_25segmented_radix_sort_implINS0_14default_configELb0EPKaPaPKlPlN2at6native12_GLOBAL__N_18offset_tEEE10hipError_tPvRmT1_PNSt15iterator_traitsISY_E10value_typeET2_T3_PNSZ_IS14_E10value_typeET4_jRbjT5_S1A_jjP12ihipStream_tbEUljE_EEESV_SW_SX_S14_S18_S1A_T6_T7_T9_mT8_S1C_bDpT10_ENKUlT_T0_E_clISt17integral_constantIbLb0EES1O_IbLb1EEEEDaS1K_S1L_EUlS1K_E_NS1_11comp_targetILNS1_3genE9ELNS1_11target_archE1100ELNS1_3gpuE3ELNS1_3repE0EEENS1_30default_config_static_selectorELNS0_4arch9wavefront6targetE0EEEvSY_,comdat
	.globl	_ZN7rocprim17ROCPRIM_400000_NS6detail17trampoline_kernelINS0_13select_configILj256ELj13ELNS0_17block_load_methodE3ELS4_3ELS4_3ELNS0_20block_scan_algorithmE0ELj4294967295EEENS1_25partition_config_selectorILNS1_17partition_subalgoE3EjNS0_10empty_typeEbEEZZNS1_14partition_implILS8_3ELb0ES6_jNS0_17counting_iteratorIjlEEPS9_SE_NS0_5tupleIJPjSE_EEENSF_IJSE_SE_EEES9_SG_JZNS1_25segmented_radix_sort_implINS0_14default_configELb0EPKaPaPKlPlN2at6native12_GLOBAL__N_18offset_tEEE10hipError_tPvRmT1_PNSt15iterator_traitsISY_E10value_typeET2_T3_PNSZ_IS14_E10value_typeET4_jRbjT5_S1A_jjP12ihipStream_tbEUljE_EEESV_SW_SX_S14_S18_S1A_T6_T7_T9_mT8_S1C_bDpT10_ENKUlT_T0_E_clISt17integral_constantIbLb0EES1O_IbLb1EEEEDaS1K_S1L_EUlS1K_E_NS1_11comp_targetILNS1_3genE9ELNS1_11target_archE1100ELNS1_3gpuE3ELNS1_3repE0EEENS1_30default_config_static_selectorELNS0_4arch9wavefront6targetE0EEEvSY_ ; -- Begin function _ZN7rocprim17ROCPRIM_400000_NS6detail17trampoline_kernelINS0_13select_configILj256ELj13ELNS0_17block_load_methodE3ELS4_3ELS4_3ELNS0_20block_scan_algorithmE0ELj4294967295EEENS1_25partition_config_selectorILNS1_17partition_subalgoE3EjNS0_10empty_typeEbEEZZNS1_14partition_implILS8_3ELb0ES6_jNS0_17counting_iteratorIjlEEPS9_SE_NS0_5tupleIJPjSE_EEENSF_IJSE_SE_EEES9_SG_JZNS1_25segmented_radix_sort_implINS0_14default_configELb0EPKaPaPKlPlN2at6native12_GLOBAL__N_18offset_tEEE10hipError_tPvRmT1_PNSt15iterator_traitsISY_E10value_typeET2_T3_PNSZ_IS14_E10value_typeET4_jRbjT5_S1A_jjP12ihipStream_tbEUljE_EEESV_SW_SX_S14_S18_S1A_T6_T7_T9_mT8_S1C_bDpT10_ENKUlT_T0_E_clISt17integral_constantIbLb0EES1O_IbLb1EEEEDaS1K_S1L_EUlS1K_E_NS1_11comp_targetILNS1_3genE9ELNS1_11target_archE1100ELNS1_3gpuE3ELNS1_3repE0EEENS1_30default_config_static_selectorELNS0_4arch9wavefront6targetE0EEEvSY_
	.p2align	8
	.type	_ZN7rocprim17ROCPRIM_400000_NS6detail17trampoline_kernelINS0_13select_configILj256ELj13ELNS0_17block_load_methodE3ELS4_3ELS4_3ELNS0_20block_scan_algorithmE0ELj4294967295EEENS1_25partition_config_selectorILNS1_17partition_subalgoE3EjNS0_10empty_typeEbEEZZNS1_14partition_implILS8_3ELb0ES6_jNS0_17counting_iteratorIjlEEPS9_SE_NS0_5tupleIJPjSE_EEENSF_IJSE_SE_EEES9_SG_JZNS1_25segmented_radix_sort_implINS0_14default_configELb0EPKaPaPKlPlN2at6native12_GLOBAL__N_18offset_tEEE10hipError_tPvRmT1_PNSt15iterator_traitsISY_E10value_typeET2_T3_PNSZ_IS14_E10value_typeET4_jRbjT5_S1A_jjP12ihipStream_tbEUljE_EEESV_SW_SX_S14_S18_S1A_T6_T7_T9_mT8_S1C_bDpT10_ENKUlT_T0_E_clISt17integral_constantIbLb0EES1O_IbLb1EEEEDaS1K_S1L_EUlS1K_E_NS1_11comp_targetILNS1_3genE9ELNS1_11target_archE1100ELNS1_3gpuE3ELNS1_3repE0EEENS1_30default_config_static_selectorELNS0_4arch9wavefront6targetE0EEEvSY_,@function
_ZN7rocprim17ROCPRIM_400000_NS6detail17trampoline_kernelINS0_13select_configILj256ELj13ELNS0_17block_load_methodE3ELS4_3ELS4_3ELNS0_20block_scan_algorithmE0ELj4294967295EEENS1_25partition_config_selectorILNS1_17partition_subalgoE3EjNS0_10empty_typeEbEEZZNS1_14partition_implILS8_3ELb0ES6_jNS0_17counting_iteratorIjlEEPS9_SE_NS0_5tupleIJPjSE_EEENSF_IJSE_SE_EEES9_SG_JZNS1_25segmented_radix_sort_implINS0_14default_configELb0EPKaPaPKlPlN2at6native12_GLOBAL__N_18offset_tEEE10hipError_tPvRmT1_PNSt15iterator_traitsISY_E10value_typeET2_T3_PNSZ_IS14_E10value_typeET4_jRbjT5_S1A_jjP12ihipStream_tbEUljE_EEESV_SW_SX_S14_S18_S1A_T6_T7_T9_mT8_S1C_bDpT10_ENKUlT_T0_E_clISt17integral_constantIbLb0EES1O_IbLb1EEEEDaS1K_S1L_EUlS1K_E_NS1_11comp_targetILNS1_3genE9ELNS1_11target_archE1100ELNS1_3gpuE3ELNS1_3repE0EEENS1_30default_config_static_selectorELNS0_4arch9wavefront6targetE0EEEvSY_: ; @_ZN7rocprim17ROCPRIM_400000_NS6detail17trampoline_kernelINS0_13select_configILj256ELj13ELNS0_17block_load_methodE3ELS4_3ELS4_3ELNS0_20block_scan_algorithmE0ELj4294967295EEENS1_25partition_config_selectorILNS1_17partition_subalgoE3EjNS0_10empty_typeEbEEZZNS1_14partition_implILS8_3ELb0ES6_jNS0_17counting_iteratorIjlEEPS9_SE_NS0_5tupleIJPjSE_EEENSF_IJSE_SE_EEES9_SG_JZNS1_25segmented_radix_sort_implINS0_14default_configELb0EPKaPaPKlPlN2at6native12_GLOBAL__N_18offset_tEEE10hipError_tPvRmT1_PNSt15iterator_traitsISY_E10value_typeET2_T3_PNSZ_IS14_E10value_typeET4_jRbjT5_S1A_jjP12ihipStream_tbEUljE_EEESV_SW_SX_S14_S18_S1A_T6_T7_T9_mT8_S1C_bDpT10_ENKUlT_T0_E_clISt17integral_constantIbLb0EES1O_IbLb1EEEEDaS1K_S1L_EUlS1K_E_NS1_11comp_targetILNS1_3genE9ELNS1_11target_archE1100ELNS1_3gpuE3ELNS1_3repE0EEENS1_30default_config_static_selectorELNS0_4arch9wavefront6targetE0EEEvSY_
; %bb.0:
	.section	.rodata,"a",@progbits
	.p2align	6, 0x0
	.amdhsa_kernel _ZN7rocprim17ROCPRIM_400000_NS6detail17trampoline_kernelINS0_13select_configILj256ELj13ELNS0_17block_load_methodE3ELS4_3ELS4_3ELNS0_20block_scan_algorithmE0ELj4294967295EEENS1_25partition_config_selectorILNS1_17partition_subalgoE3EjNS0_10empty_typeEbEEZZNS1_14partition_implILS8_3ELb0ES6_jNS0_17counting_iteratorIjlEEPS9_SE_NS0_5tupleIJPjSE_EEENSF_IJSE_SE_EEES9_SG_JZNS1_25segmented_radix_sort_implINS0_14default_configELb0EPKaPaPKlPlN2at6native12_GLOBAL__N_18offset_tEEE10hipError_tPvRmT1_PNSt15iterator_traitsISY_E10value_typeET2_T3_PNSZ_IS14_E10value_typeET4_jRbjT5_S1A_jjP12ihipStream_tbEUljE_EEESV_SW_SX_S14_S18_S1A_T6_T7_T9_mT8_S1C_bDpT10_ENKUlT_T0_E_clISt17integral_constantIbLb0EES1O_IbLb1EEEEDaS1K_S1L_EUlS1K_E_NS1_11comp_targetILNS1_3genE9ELNS1_11target_archE1100ELNS1_3gpuE3ELNS1_3repE0EEENS1_30default_config_static_selectorELNS0_4arch9wavefront6targetE0EEEvSY_
		.amdhsa_group_segment_fixed_size 0
		.amdhsa_private_segment_fixed_size 0
		.amdhsa_kernarg_size 152
		.amdhsa_user_sgpr_count 2
		.amdhsa_user_sgpr_dispatch_ptr 0
		.amdhsa_user_sgpr_queue_ptr 0
		.amdhsa_user_sgpr_kernarg_segment_ptr 1
		.amdhsa_user_sgpr_dispatch_id 0
		.amdhsa_user_sgpr_kernarg_preload_length 0
		.amdhsa_user_sgpr_kernarg_preload_offset 0
		.amdhsa_user_sgpr_private_segment_size 0
		.amdhsa_wavefront_size32 1
		.amdhsa_uses_dynamic_stack 0
		.amdhsa_enable_private_segment 0
		.amdhsa_system_sgpr_workgroup_id_x 1
		.amdhsa_system_sgpr_workgroup_id_y 0
		.amdhsa_system_sgpr_workgroup_id_z 0
		.amdhsa_system_sgpr_workgroup_info 0
		.amdhsa_system_vgpr_workitem_id 0
		.amdhsa_next_free_vgpr 1
		.amdhsa_next_free_sgpr 1
		.amdhsa_named_barrier_count 0
		.amdhsa_reserve_vcc 0
		.amdhsa_float_round_mode_32 0
		.amdhsa_float_round_mode_16_64 0
		.amdhsa_float_denorm_mode_32 3
		.amdhsa_float_denorm_mode_16_64 3
		.amdhsa_fp16_overflow 0
		.amdhsa_memory_ordered 1
		.amdhsa_forward_progress 1
		.amdhsa_inst_pref_size 0
		.amdhsa_round_robin_scheduling 0
		.amdhsa_exception_fp_ieee_invalid_op 0
		.amdhsa_exception_fp_denorm_src 0
		.amdhsa_exception_fp_ieee_div_zero 0
		.amdhsa_exception_fp_ieee_overflow 0
		.amdhsa_exception_fp_ieee_underflow 0
		.amdhsa_exception_fp_ieee_inexact 0
		.amdhsa_exception_int_div_zero 0
	.end_amdhsa_kernel
	.section	.text._ZN7rocprim17ROCPRIM_400000_NS6detail17trampoline_kernelINS0_13select_configILj256ELj13ELNS0_17block_load_methodE3ELS4_3ELS4_3ELNS0_20block_scan_algorithmE0ELj4294967295EEENS1_25partition_config_selectorILNS1_17partition_subalgoE3EjNS0_10empty_typeEbEEZZNS1_14partition_implILS8_3ELb0ES6_jNS0_17counting_iteratorIjlEEPS9_SE_NS0_5tupleIJPjSE_EEENSF_IJSE_SE_EEES9_SG_JZNS1_25segmented_radix_sort_implINS0_14default_configELb0EPKaPaPKlPlN2at6native12_GLOBAL__N_18offset_tEEE10hipError_tPvRmT1_PNSt15iterator_traitsISY_E10value_typeET2_T3_PNSZ_IS14_E10value_typeET4_jRbjT5_S1A_jjP12ihipStream_tbEUljE_EEESV_SW_SX_S14_S18_S1A_T6_T7_T9_mT8_S1C_bDpT10_ENKUlT_T0_E_clISt17integral_constantIbLb0EES1O_IbLb1EEEEDaS1K_S1L_EUlS1K_E_NS1_11comp_targetILNS1_3genE9ELNS1_11target_archE1100ELNS1_3gpuE3ELNS1_3repE0EEENS1_30default_config_static_selectorELNS0_4arch9wavefront6targetE0EEEvSY_,"axG",@progbits,_ZN7rocprim17ROCPRIM_400000_NS6detail17trampoline_kernelINS0_13select_configILj256ELj13ELNS0_17block_load_methodE3ELS4_3ELS4_3ELNS0_20block_scan_algorithmE0ELj4294967295EEENS1_25partition_config_selectorILNS1_17partition_subalgoE3EjNS0_10empty_typeEbEEZZNS1_14partition_implILS8_3ELb0ES6_jNS0_17counting_iteratorIjlEEPS9_SE_NS0_5tupleIJPjSE_EEENSF_IJSE_SE_EEES9_SG_JZNS1_25segmented_radix_sort_implINS0_14default_configELb0EPKaPaPKlPlN2at6native12_GLOBAL__N_18offset_tEEE10hipError_tPvRmT1_PNSt15iterator_traitsISY_E10value_typeET2_T3_PNSZ_IS14_E10value_typeET4_jRbjT5_S1A_jjP12ihipStream_tbEUljE_EEESV_SW_SX_S14_S18_S1A_T6_T7_T9_mT8_S1C_bDpT10_ENKUlT_T0_E_clISt17integral_constantIbLb0EES1O_IbLb1EEEEDaS1K_S1L_EUlS1K_E_NS1_11comp_targetILNS1_3genE9ELNS1_11target_archE1100ELNS1_3gpuE3ELNS1_3repE0EEENS1_30default_config_static_selectorELNS0_4arch9wavefront6targetE0EEEvSY_,comdat
.Lfunc_end388:
	.size	_ZN7rocprim17ROCPRIM_400000_NS6detail17trampoline_kernelINS0_13select_configILj256ELj13ELNS0_17block_load_methodE3ELS4_3ELS4_3ELNS0_20block_scan_algorithmE0ELj4294967295EEENS1_25partition_config_selectorILNS1_17partition_subalgoE3EjNS0_10empty_typeEbEEZZNS1_14partition_implILS8_3ELb0ES6_jNS0_17counting_iteratorIjlEEPS9_SE_NS0_5tupleIJPjSE_EEENSF_IJSE_SE_EEES9_SG_JZNS1_25segmented_radix_sort_implINS0_14default_configELb0EPKaPaPKlPlN2at6native12_GLOBAL__N_18offset_tEEE10hipError_tPvRmT1_PNSt15iterator_traitsISY_E10value_typeET2_T3_PNSZ_IS14_E10value_typeET4_jRbjT5_S1A_jjP12ihipStream_tbEUljE_EEESV_SW_SX_S14_S18_S1A_T6_T7_T9_mT8_S1C_bDpT10_ENKUlT_T0_E_clISt17integral_constantIbLb0EES1O_IbLb1EEEEDaS1K_S1L_EUlS1K_E_NS1_11comp_targetILNS1_3genE9ELNS1_11target_archE1100ELNS1_3gpuE3ELNS1_3repE0EEENS1_30default_config_static_selectorELNS0_4arch9wavefront6targetE0EEEvSY_, .Lfunc_end388-_ZN7rocprim17ROCPRIM_400000_NS6detail17trampoline_kernelINS0_13select_configILj256ELj13ELNS0_17block_load_methodE3ELS4_3ELS4_3ELNS0_20block_scan_algorithmE0ELj4294967295EEENS1_25partition_config_selectorILNS1_17partition_subalgoE3EjNS0_10empty_typeEbEEZZNS1_14partition_implILS8_3ELb0ES6_jNS0_17counting_iteratorIjlEEPS9_SE_NS0_5tupleIJPjSE_EEENSF_IJSE_SE_EEES9_SG_JZNS1_25segmented_radix_sort_implINS0_14default_configELb0EPKaPaPKlPlN2at6native12_GLOBAL__N_18offset_tEEE10hipError_tPvRmT1_PNSt15iterator_traitsISY_E10value_typeET2_T3_PNSZ_IS14_E10value_typeET4_jRbjT5_S1A_jjP12ihipStream_tbEUljE_EEESV_SW_SX_S14_S18_S1A_T6_T7_T9_mT8_S1C_bDpT10_ENKUlT_T0_E_clISt17integral_constantIbLb0EES1O_IbLb1EEEEDaS1K_S1L_EUlS1K_E_NS1_11comp_targetILNS1_3genE9ELNS1_11target_archE1100ELNS1_3gpuE3ELNS1_3repE0EEENS1_30default_config_static_selectorELNS0_4arch9wavefront6targetE0EEEvSY_
                                        ; -- End function
	.set _ZN7rocprim17ROCPRIM_400000_NS6detail17trampoline_kernelINS0_13select_configILj256ELj13ELNS0_17block_load_methodE3ELS4_3ELS4_3ELNS0_20block_scan_algorithmE0ELj4294967295EEENS1_25partition_config_selectorILNS1_17partition_subalgoE3EjNS0_10empty_typeEbEEZZNS1_14partition_implILS8_3ELb0ES6_jNS0_17counting_iteratorIjlEEPS9_SE_NS0_5tupleIJPjSE_EEENSF_IJSE_SE_EEES9_SG_JZNS1_25segmented_radix_sort_implINS0_14default_configELb0EPKaPaPKlPlN2at6native12_GLOBAL__N_18offset_tEEE10hipError_tPvRmT1_PNSt15iterator_traitsISY_E10value_typeET2_T3_PNSZ_IS14_E10value_typeET4_jRbjT5_S1A_jjP12ihipStream_tbEUljE_EEESV_SW_SX_S14_S18_S1A_T6_T7_T9_mT8_S1C_bDpT10_ENKUlT_T0_E_clISt17integral_constantIbLb0EES1O_IbLb1EEEEDaS1K_S1L_EUlS1K_E_NS1_11comp_targetILNS1_3genE9ELNS1_11target_archE1100ELNS1_3gpuE3ELNS1_3repE0EEENS1_30default_config_static_selectorELNS0_4arch9wavefront6targetE0EEEvSY_.num_vgpr, 0
	.set _ZN7rocprim17ROCPRIM_400000_NS6detail17trampoline_kernelINS0_13select_configILj256ELj13ELNS0_17block_load_methodE3ELS4_3ELS4_3ELNS0_20block_scan_algorithmE0ELj4294967295EEENS1_25partition_config_selectorILNS1_17partition_subalgoE3EjNS0_10empty_typeEbEEZZNS1_14partition_implILS8_3ELb0ES6_jNS0_17counting_iteratorIjlEEPS9_SE_NS0_5tupleIJPjSE_EEENSF_IJSE_SE_EEES9_SG_JZNS1_25segmented_radix_sort_implINS0_14default_configELb0EPKaPaPKlPlN2at6native12_GLOBAL__N_18offset_tEEE10hipError_tPvRmT1_PNSt15iterator_traitsISY_E10value_typeET2_T3_PNSZ_IS14_E10value_typeET4_jRbjT5_S1A_jjP12ihipStream_tbEUljE_EEESV_SW_SX_S14_S18_S1A_T6_T7_T9_mT8_S1C_bDpT10_ENKUlT_T0_E_clISt17integral_constantIbLb0EES1O_IbLb1EEEEDaS1K_S1L_EUlS1K_E_NS1_11comp_targetILNS1_3genE9ELNS1_11target_archE1100ELNS1_3gpuE3ELNS1_3repE0EEENS1_30default_config_static_selectorELNS0_4arch9wavefront6targetE0EEEvSY_.num_agpr, 0
	.set _ZN7rocprim17ROCPRIM_400000_NS6detail17trampoline_kernelINS0_13select_configILj256ELj13ELNS0_17block_load_methodE3ELS4_3ELS4_3ELNS0_20block_scan_algorithmE0ELj4294967295EEENS1_25partition_config_selectorILNS1_17partition_subalgoE3EjNS0_10empty_typeEbEEZZNS1_14partition_implILS8_3ELb0ES6_jNS0_17counting_iteratorIjlEEPS9_SE_NS0_5tupleIJPjSE_EEENSF_IJSE_SE_EEES9_SG_JZNS1_25segmented_radix_sort_implINS0_14default_configELb0EPKaPaPKlPlN2at6native12_GLOBAL__N_18offset_tEEE10hipError_tPvRmT1_PNSt15iterator_traitsISY_E10value_typeET2_T3_PNSZ_IS14_E10value_typeET4_jRbjT5_S1A_jjP12ihipStream_tbEUljE_EEESV_SW_SX_S14_S18_S1A_T6_T7_T9_mT8_S1C_bDpT10_ENKUlT_T0_E_clISt17integral_constantIbLb0EES1O_IbLb1EEEEDaS1K_S1L_EUlS1K_E_NS1_11comp_targetILNS1_3genE9ELNS1_11target_archE1100ELNS1_3gpuE3ELNS1_3repE0EEENS1_30default_config_static_selectorELNS0_4arch9wavefront6targetE0EEEvSY_.numbered_sgpr, 0
	.set _ZN7rocprim17ROCPRIM_400000_NS6detail17trampoline_kernelINS0_13select_configILj256ELj13ELNS0_17block_load_methodE3ELS4_3ELS4_3ELNS0_20block_scan_algorithmE0ELj4294967295EEENS1_25partition_config_selectorILNS1_17partition_subalgoE3EjNS0_10empty_typeEbEEZZNS1_14partition_implILS8_3ELb0ES6_jNS0_17counting_iteratorIjlEEPS9_SE_NS0_5tupleIJPjSE_EEENSF_IJSE_SE_EEES9_SG_JZNS1_25segmented_radix_sort_implINS0_14default_configELb0EPKaPaPKlPlN2at6native12_GLOBAL__N_18offset_tEEE10hipError_tPvRmT1_PNSt15iterator_traitsISY_E10value_typeET2_T3_PNSZ_IS14_E10value_typeET4_jRbjT5_S1A_jjP12ihipStream_tbEUljE_EEESV_SW_SX_S14_S18_S1A_T6_T7_T9_mT8_S1C_bDpT10_ENKUlT_T0_E_clISt17integral_constantIbLb0EES1O_IbLb1EEEEDaS1K_S1L_EUlS1K_E_NS1_11comp_targetILNS1_3genE9ELNS1_11target_archE1100ELNS1_3gpuE3ELNS1_3repE0EEENS1_30default_config_static_selectorELNS0_4arch9wavefront6targetE0EEEvSY_.num_named_barrier, 0
	.set _ZN7rocprim17ROCPRIM_400000_NS6detail17trampoline_kernelINS0_13select_configILj256ELj13ELNS0_17block_load_methodE3ELS4_3ELS4_3ELNS0_20block_scan_algorithmE0ELj4294967295EEENS1_25partition_config_selectorILNS1_17partition_subalgoE3EjNS0_10empty_typeEbEEZZNS1_14partition_implILS8_3ELb0ES6_jNS0_17counting_iteratorIjlEEPS9_SE_NS0_5tupleIJPjSE_EEENSF_IJSE_SE_EEES9_SG_JZNS1_25segmented_radix_sort_implINS0_14default_configELb0EPKaPaPKlPlN2at6native12_GLOBAL__N_18offset_tEEE10hipError_tPvRmT1_PNSt15iterator_traitsISY_E10value_typeET2_T3_PNSZ_IS14_E10value_typeET4_jRbjT5_S1A_jjP12ihipStream_tbEUljE_EEESV_SW_SX_S14_S18_S1A_T6_T7_T9_mT8_S1C_bDpT10_ENKUlT_T0_E_clISt17integral_constantIbLb0EES1O_IbLb1EEEEDaS1K_S1L_EUlS1K_E_NS1_11comp_targetILNS1_3genE9ELNS1_11target_archE1100ELNS1_3gpuE3ELNS1_3repE0EEENS1_30default_config_static_selectorELNS0_4arch9wavefront6targetE0EEEvSY_.private_seg_size, 0
	.set _ZN7rocprim17ROCPRIM_400000_NS6detail17trampoline_kernelINS0_13select_configILj256ELj13ELNS0_17block_load_methodE3ELS4_3ELS4_3ELNS0_20block_scan_algorithmE0ELj4294967295EEENS1_25partition_config_selectorILNS1_17partition_subalgoE3EjNS0_10empty_typeEbEEZZNS1_14partition_implILS8_3ELb0ES6_jNS0_17counting_iteratorIjlEEPS9_SE_NS0_5tupleIJPjSE_EEENSF_IJSE_SE_EEES9_SG_JZNS1_25segmented_radix_sort_implINS0_14default_configELb0EPKaPaPKlPlN2at6native12_GLOBAL__N_18offset_tEEE10hipError_tPvRmT1_PNSt15iterator_traitsISY_E10value_typeET2_T3_PNSZ_IS14_E10value_typeET4_jRbjT5_S1A_jjP12ihipStream_tbEUljE_EEESV_SW_SX_S14_S18_S1A_T6_T7_T9_mT8_S1C_bDpT10_ENKUlT_T0_E_clISt17integral_constantIbLb0EES1O_IbLb1EEEEDaS1K_S1L_EUlS1K_E_NS1_11comp_targetILNS1_3genE9ELNS1_11target_archE1100ELNS1_3gpuE3ELNS1_3repE0EEENS1_30default_config_static_selectorELNS0_4arch9wavefront6targetE0EEEvSY_.uses_vcc, 0
	.set _ZN7rocprim17ROCPRIM_400000_NS6detail17trampoline_kernelINS0_13select_configILj256ELj13ELNS0_17block_load_methodE3ELS4_3ELS4_3ELNS0_20block_scan_algorithmE0ELj4294967295EEENS1_25partition_config_selectorILNS1_17partition_subalgoE3EjNS0_10empty_typeEbEEZZNS1_14partition_implILS8_3ELb0ES6_jNS0_17counting_iteratorIjlEEPS9_SE_NS0_5tupleIJPjSE_EEENSF_IJSE_SE_EEES9_SG_JZNS1_25segmented_radix_sort_implINS0_14default_configELb0EPKaPaPKlPlN2at6native12_GLOBAL__N_18offset_tEEE10hipError_tPvRmT1_PNSt15iterator_traitsISY_E10value_typeET2_T3_PNSZ_IS14_E10value_typeET4_jRbjT5_S1A_jjP12ihipStream_tbEUljE_EEESV_SW_SX_S14_S18_S1A_T6_T7_T9_mT8_S1C_bDpT10_ENKUlT_T0_E_clISt17integral_constantIbLb0EES1O_IbLb1EEEEDaS1K_S1L_EUlS1K_E_NS1_11comp_targetILNS1_3genE9ELNS1_11target_archE1100ELNS1_3gpuE3ELNS1_3repE0EEENS1_30default_config_static_selectorELNS0_4arch9wavefront6targetE0EEEvSY_.uses_flat_scratch, 0
	.set _ZN7rocprim17ROCPRIM_400000_NS6detail17trampoline_kernelINS0_13select_configILj256ELj13ELNS0_17block_load_methodE3ELS4_3ELS4_3ELNS0_20block_scan_algorithmE0ELj4294967295EEENS1_25partition_config_selectorILNS1_17partition_subalgoE3EjNS0_10empty_typeEbEEZZNS1_14partition_implILS8_3ELb0ES6_jNS0_17counting_iteratorIjlEEPS9_SE_NS0_5tupleIJPjSE_EEENSF_IJSE_SE_EEES9_SG_JZNS1_25segmented_radix_sort_implINS0_14default_configELb0EPKaPaPKlPlN2at6native12_GLOBAL__N_18offset_tEEE10hipError_tPvRmT1_PNSt15iterator_traitsISY_E10value_typeET2_T3_PNSZ_IS14_E10value_typeET4_jRbjT5_S1A_jjP12ihipStream_tbEUljE_EEESV_SW_SX_S14_S18_S1A_T6_T7_T9_mT8_S1C_bDpT10_ENKUlT_T0_E_clISt17integral_constantIbLb0EES1O_IbLb1EEEEDaS1K_S1L_EUlS1K_E_NS1_11comp_targetILNS1_3genE9ELNS1_11target_archE1100ELNS1_3gpuE3ELNS1_3repE0EEENS1_30default_config_static_selectorELNS0_4arch9wavefront6targetE0EEEvSY_.has_dyn_sized_stack, 0
	.set _ZN7rocprim17ROCPRIM_400000_NS6detail17trampoline_kernelINS0_13select_configILj256ELj13ELNS0_17block_load_methodE3ELS4_3ELS4_3ELNS0_20block_scan_algorithmE0ELj4294967295EEENS1_25partition_config_selectorILNS1_17partition_subalgoE3EjNS0_10empty_typeEbEEZZNS1_14partition_implILS8_3ELb0ES6_jNS0_17counting_iteratorIjlEEPS9_SE_NS0_5tupleIJPjSE_EEENSF_IJSE_SE_EEES9_SG_JZNS1_25segmented_radix_sort_implINS0_14default_configELb0EPKaPaPKlPlN2at6native12_GLOBAL__N_18offset_tEEE10hipError_tPvRmT1_PNSt15iterator_traitsISY_E10value_typeET2_T3_PNSZ_IS14_E10value_typeET4_jRbjT5_S1A_jjP12ihipStream_tbEUljE_EEESV_SW_SX_S14_S18_S1A_T6_T7_T9_mT8_S1C_bDpT10_ENKUlT_T0_E_clISt17integral_constantIbLb0EES1O_IbLb1EEEEDaS1K_S1L_EUlS1K_E_NS1_11comp_targetILNS1_3genE9ELNS1_11target_archE1100ELNS1_3gpuE3ELNS1_3repE0EEENS1_30default_config_static_selectorELNS0_4arch9wavefront6targetE0EEEvSY_.has_recursion, 0
	.set _ZN7rocprim17ROCPRIM_400000_NS6detail17trampoline_kernelINS0_13select_configILj256ELj13ELNS0_17block_load_methodE3ELS4_3ELS4_3ELNS0_20block_scan_algorithmE0ELj4294967295EEENS1_25partition_config_selectorILNS1_17partition_subalgoE3EjNS0_10empty_typeEbEEZZNS1_14partition_implILS8_3ELb0ES6_jNS0_17counting_iteratorIjlEEPS9_SE_NS0_5tupleIJPjSE_EEENSF_IJSE_SE_EEES9_SG_JZNS1_25segmented_radix_sort_implINS0_14default_configELb0EPKaPaPKlPlN2at6native12_GLOBAL__N_18offset_tEEE10hipError_tPvRmT1_PNSt15iterator_traitsISY_E10value_typeET2_T3_PNSZ_IS14_E10value_typeET4_jRbjT5_S1A_jjP12ihipStream_tbEUljE_EEESV_SW_SX_S14_S18_S1A_T6_T7_T9_mT8_S1C_bDpT10_ENKUlT_T0_E_clISt17integral_constantIbLb0EES1O_IbLb1EEEEDaS1K_S1L_EUlS1K_E_NS1_11comp_targetILNS1_3genE9ELNS1_11target_archE1100ELNS1_3gpuE3ELNS1_3repE0EEENS1_30default_config_static_selectorELNS0_4arch9wavefront6targetE0EEEvSY_.has_indirect_call, 0
	.section	.AMDGPU.csdata,"",@progbits
; Kernel info:
; codeLenInByte = 0
; TotalNumSgprs: 0
; NumVgprs: 0
; ScratchSize: 0
; MemoryBound: 0
; FloatMode: 240
; IeeeMode: 1
; LDSByteSize: 0 bytes/workgroup (compile time only)
; SGPRBlocks: 0
; VGPRBlocks: 0
; NumSGPRsForWavesPerEU: 1
; NumVGPRsForWavesPerEU: 1
; NamedBarCnt: 0
; Occupancy: 16
; WaveLimiterHint : 0
; COMPUTE_PGM_RSRC2:SCRATCH_EN: 0
; COMPUTE_PGM_RSRC2:USER_SGPR: 2
; COMPUTE_PGM_RSRC2:TRAP_HANDLER: 0
; COMPUTE_PGM_RSRC2:TGID_X_EN: 1
; COMPUTE_PGM_RSRC2:TGID_Y_EN: 0
; COMPUTE_PGM_RSRC2:TGID_Z_EN: 0
; COMPUTE_PGM_RSRC2:TIDIG_COMP_CNT: 0
	.section	.text._ZN7rocprim17ROCPRIM_400000_NS6detail17trampoline_kernelINS0_13select_configILj256ELj13ELNS0_17block_load_methodE3ELS4_3ELS4_3ELNS0_20block_scan_algorithmE0ELj4294967295EEENS1_25partition_config_selectorILNS1_17partition_subalgoE3EjNS0_10empty_typeEbEEZZNS1_14partition_implILS8_3ELb0ES6_jNS0_17counting_iteratorIjlEEPS9_SE_NS0_5tupleIJPjSE_EEENSF_IJSE_SE_EEES9_SG_JZNS1_25segmented_radix_sort_implINS0_14default_configELb0EPKaPaPKlPlN2at6native12_GLOBAL__N_18offset_tEEE10hipError_tPvRmT1_PNSt15iterator_traitsISY_E10value_typeET2_T3_PNSZ_IS14_E10value_typeET4_jRbjT5_S1A_jjP12ihipStream_tbEUljE_EEESV_SW_SX_S14_S18_S1A_T6_T7_T9_mT8_S1C_bDpT10_ENKUlT_T0_E_clISt17integral_constantIbLb0EES1O_IbLb1EEEEDaS1K_S1L_EUlS1K_E_NS1_11comp_targetILNS1_3genE8ELNS1_11target_archE1030ELNS1_3gpuE2ELNS1_3repE0EEENS1_30default_config_static_selectorELNS0_4arch9wavefront6targetE0EEEvSY_,"axG",@progbits,_ZN7rocprim17ROCPRIM_400000_NS6detail17trampoline_kernelINS0_13select_configILj256ELj13ELNS0_17block_load_methodE3ELS4_3ELS4_3ELNS0_20block_scan_algorithmE0ELj4294967295EEENS1_25partition_config_selectorILNS1_17partition_subalgoE3EjNS0_10empty_typeEbEEZZNS1_14partition_implILS8_3ELb0ES6_jNS0_17counting_iteratorIjlEEPS9_SE_NS0_5tupleIJPjSE_EEENSF_IJSE_SE_EEES9_SG_JZNS1_25segmented_radix_sort_implINS0_14default_configELb0EPKaPaPKlPlN2at6native12_GLOBAL__N_18offset_tEEE10hipError_tPvRmT1_PNSt15iterator_traitsISY_E10value_typeET2_T3_PNSZ_IS14_E10value_typeET4_jRbjT5_S1A_jjP12ihipStream_tbEUljE_EEESV_SW_SX_S14_S18_S1A_T6_T7_T9_mT8_S1C_bDpT10_ENKUlT_T0_E_clISt17integral_constantIbLb0EES1O_IbLb1EEEEDaS1K_S1L_EUlS1K_E_NS1_11comp_targetILNS1_3genE8ELNS1_11target_archE1030ELNS1_3gpuE2ELNS1_3repE0EEENS1_30default_config_static_selectorELNS0_4arch9wavefront6targetE0EEEvSY_,comdat
	.globl	_ZN7rocprim17ROCPRIM_400000_NS6detail17trampoline_kernelINS0_13select_configILj256ELj13ELNS0_17block_load_methodE3ELS4_3ELS4_3ELNS0_20block_scan_algorithmE0ELj4294967295EEENS1_25partition_config_selectorILNS1_17partition_subalgoE3EjNS0_10empty_typeEbEEZZNS1_14partition_implILS8_3ELb0ES6_jNS0_17counting_iteratorIjlEEPS9_SE_NS0_5tupleIJPjSE_EEENSF_IJSE_SE_EEES9_SG_JZNS1_25segmented_radix_sort_implINS0_14default_configELb0EPKaPaPKlPlN2at6native12_GLOBAL__N_18offset_tEEE10hipError_tPvRmT1_PNSt15iterator_traitsISY_E10value_typeET2_T3_PNSZ_IS14_E10value_typeET4_jRbjT5_S1A_jjP12ihipStream_tbEUljE_EEESV_SW_SX_S14_S18_S1A_T6_T7_T9_mT8_S1C_bDpT10_ENKUlT_T0_E_clISt17integral_constantIbLb0EES1O_IbLb1EEEEDaS1K_S1L_EUlS1K_E_NS1_11comp_targetILNS1_3genE8ELNS1_11target_archE1030ELNS1_3gpuE2ELNS1_3repE0EEENS1_30default_config_static_selectorELNS0_4arch9wavefront6targetE0EEEvSY_ ; -- Begin function _ZN7rocprim17ROCPRIM_400000_NS6detail17trampoline_kernelINS0_13select_configILj256ELj13ELNS0_17block_load_methodE3ELS4_3ELS4_3ELNS0_20block_scan_algorithmE0ELj4294967295EEENS1_25partition_config_selectorILNS1_17partition_subalgoE3EjNS0_10empty_typeEbEEZZNS1_14partition_implILS8_3ELb0ES6_jNS0_17counting_iteratorIjlEEPS9_SE_NS0_5tupleIJPjSE_EEENSF_IJSE_SE_EEES9_SG_JZNS1_25segmented_radix_sort_implINS0_14default_configELb0EPKaPaPKlPlN2at6native12_GLOBAL__N_18offset_tEEE10hipError_tPvRmT1_PNSt15iterator_traitsISY_E10value_typeET2_T3_PNSZ_IS14_E10value_typeET4_jRbjT5_S1A_jjP12ihipStream_tbEUljE_EEESV_SW_SX_S14_S18_S1A_T6_T7_T9_mT8_S1C_bDpT10_ENKUlT_T0_E_clISt17integral_constantIbLb0EES1O_IbLb1EEEEDaS1K_S1L_EUlS1K_E_NS1_11comp_targetILNS1_3genE8ELNS1_11target_archE1030ELNS1_3gpuE2ELNS1_3repE0EEENS1_30default_config_static_selectorELNS0_4arch9wavefront6targetE0EEEvSY_
	.p2align	8
	.type	_ZN7rocprim17ROCPRIM_400000_NS6detail17trampoline_kernelINS0_13select_configILj256ELj13ELNS0_17block_load_methodE3ELS4_3ELS4_3ELNS0_20block_scan_algorithmE0ELj4294967295EEENS1_25partition_config_selectorILNS1_17partition_subalgoE3EjNS0_10empty_typeEbEEZZNS1_14partition_implILS8_3ELb0ES6_jNS0_17counting_iteratorIjlEEPS9_SE_NS0_5tupleIJPjSE_EEENSF_IJSE_SE_EEES9_SG_JZNS1_25segmented_radix_sort_implINS0_14default_configELb0EPKaPaPKlPlN2at6native12_GLOBAL__N_18offset_tEEE10hipError_tPvRmT1_PNSt15iterator_traitsISY_E10value_typeET2_T3_PNSZ_IS14_E10value_typeET4_jRbjT5_S1A_jjP12ihipStream_tbEUljE_EEESV_SW_SX_S14_S18_S1A_T6_T7_T9_mT8_S1C_bDpT10_ENKUlT_T0_E_clISt17integral_constantIbLb0EES1O_IbLb1EEEEDaS1K_S1L_EUlS1K_E_NS1_11comp_targetILNS1_3genE8ELNS1_11target_archE1030ELNS1_3gpuE2ELNS1_3repE0EEENS1_30default_config_static_selectorELNS0_4arch9wavefront6targetE0EEEvSY_,@function
_ZN7rocprim17ROCPRIM_400000_NS6detail17trampoline_kernelINS0_13select_configILj256ELj13ELNS0_17block_load_methodE3ELS4_3ELS4_3ELNS0_20block_scan_algorithmE0ELj4294967295EEENS1_25partition_config_selectorILNS1_17partition_subalgoE3EjNS0_10empty_typeEbEEZZNS1_14partition_implILS8_3ELb0ES6_jNS0_17counting_iteratorIjlEEPS9_SE_NS0_5tupleIJPjSE_EEENSF_IJSE_SE_EEES9_SG_JZNS1_25segmented_radix_sort_implINS0_14default_configELb0EPKaPaPKlPlN2at6native12_GLOBAL__N_18offset_tEEE10hipError_tPvRmT1_PNSt15iterator_traitsISY_E10value_typeET2_T3_PNSZ_IS14_E10value_typeET4_jRbjT5_S1A_jjP12ihipStream_tbEUljE_EEESV_SW_SX_S14_S18_S1A_T6_T7_T9_mT8_S1C_bDpT10_ENKUlT_T0_E_clISt17integral_constantIbLb0EES1O_IbLb1EEEEDaS1K_S1L_EUlS1K_E_NS1_11comp_targetILNS1_3genE8ELNS1_11target_archE1030ELNS1_3gpuE2ELNS1_3repE0EEENS1_30default_config_static_selectorELNS0_4arch9wavefront6targetE0EEEvSY_: ; @_ZN7rocprim17ROCPRIM_400000_NS6detail17trampoline_kernelINS0_13select_configILj256ELj13ELNS0_17block_load_methodE3ELS4_3ELS4_3ELNS0_20block_scan_algorithmE0ELj4294967295EEENS1_25partition_config_selectorILNS1_17partition_subalgoE3EjNS0_10empty_typeEbEEZZNS1_14partition_implILS8_3ELb0ES6_jNS0_17counting_iteratorIjlEEPS9_SE_NS0_5tupleIJPjSE_EEENSF_IJSE_SE_EEES9_SG_JZNS1_25segmented_radix_sort_implINS0_14default_configELb0EPKaPaPKlPlN2at6native12_GLOBAL__N_18offset_tEEE10hipError_tPvRmT1_PNSt15iterator_traitsISY_E10value_typeET2_T3_PNSZ_IS14_E10value_typeET4_jRbjT5_S1A_jjP12ihipStream_tbEUljE_EEESV_SW_SX_S14_S18_S1A_T6_T7_T9_mT8_S1C_bDpT10_ENKUlT_T0_E_clISt17integral_constantIbLb0EES1O_IbLb1EEEEDaS1K_S1L_EUlS1K_E_NS1_11comp_targetILNS1_3genE8ELNS1_11target_archE1030ELNS1_3gpuE2ELNS1_3repE0EEENS1_30default_config_static_selectorELNS0_4arch9wavefront6targetE0EEEvSY_
; %bb.0:
	.section	.rodata,"a",@progbits
	.p2align	6, 0x0
	.amdhsa_kernel _ZN7rocprim17ROCPRIM_400000_NS6detail17trampoline_kernelINS0_13select_configILj256ELj13ELNS0_17block_load_methodE3ELS4_3ELS4_3ELNS0_20block_scan_algorithmE0ELj4294967295EEENS1_25partition_config_selectorILNS1_17partition_subalgoE3EjNS0_10empty_typeEbEEZZNS1_14partition_implILS8_3ELb0ES6_jNS0_17counting_iteratorIjlEEPS9_SE_NS0_5tupleIJPjSE_EEENSF_IJSE_SE_EEES9_SG_JZNS1_25segmented_radix_sort_implINS0_14default_configELb0EPKaPaPKlPlN2at6native12_GLOBAL__N_18offset_tEEE10hipError_tPvRmT1_PNSt15iterator_traitsISY_E10value_typeET2_T3_PNSZ_IS14_E10value_typeET4_jRbjT5_S1A_jjP12ihipStream_tbEUljE_EEESV_SW_SX_S14_S18_S1A_T6_T7_T9_mT8_S1C_bDpT10_ENKUlT_T0_E_clISt17integral_constantIbLb0EES1O_IbLb1EEEEDaS1K_S1L_EUlS1K_E_NS1_11comp_targetILNS1_3genE8ELNS1_11target_archE1030ELNS1_3gpuE2ELNS1_3repE0EEENS1_30default_config_static_selectorELNS0_4arch9wavefront6targetE0EEEvSY_
		.amdhsa_group_segment_fixed_size 0
		.amdhsa_private_segment_fixed_size 0
		.amdhsa_kernarg_size 152
		.amdhsa_user_sgpr_count 2
		.amdhsa_user_sgpr_dispatch_ptr 0
		.amdhsa_user_sgpr_queue_ptr 0
		.amdhsa_user_sgpr_kernarg_segment_ptr 1
		.amdhsa_user_sgpr_dispatch_id 0
		.amdhsa_user_sgpr_kernarg_preload_length 0
		.amdhsa_user_sgpr_kernarg_preload_offset 0
		.amdhsa_user_sgpr_private_segment_size 0
		.amdhsa_wavefront_size32 1
		.amdhsa_uses_dynamic_stack 0
		.amdhsa_enable_private_segment 0
		.amdhsa_system_sgpr_workgroup_id_x 1
		.amdhsa_system_sgpr_workgroup_id_y 0
		.amdhsa_system_sgpr_workgroup_id_z 0
		.amdhsa_system_sgpr_workgroup_info 0
		.amdhsa_system_vgpr_workitem_id 0
		.amdhsa_next_free_vgpr 1
		.amdhsa_next_free_sgpr 1
		.amdhsa_named_barrier_count 0
		.amdhsa_reserve_vcc 0
		.amdhsa_float_round_mode_32 0
		.amdhsa_float_round_mode_16_64 0
		.amdhsa_float_denorm_mode_32 3
		.amdhsa_float_denorm_mode_16_64 3
		.amdhsa_fp16_overflow 0
		.amdhsa_memory_ordered 1
		.amdhsa_forward_progress 1
		.amdhsa_inst_pref_size 0
		.amdhsa_round_robin_scheduling 0
		.amdhsa_exception_fp_ieee_invalid_op 0
		.amdhsa_exception_fp_denorm_src 0
		.amdhsa_exception_fp_ieee_div_zero 0
		.amdhsa_exception_fp_ieee_overflow 0
		.amdhsa_exception_fp_ieee_underflow 0
		.amdhsa_exception_fp_ieee_inexact 0
		.amdhsa_exception_int_div_zero 0
	.end_amdhsa_kernel
	.section	.text._ZN7rocprim17ROCPRIM_400000_NS6detail17trampoline_kernelINS0_13select_configILj256ELj13ELNS0_17block_load_methodE3ELS4_3ELS4_3ELNS0_20block_scan_algorithmE0ELj4294967295EEENS1_25partition_config_selectorILNS1_17partition_subalgoE3EjNS0_10empty_typeEbEEZZNS1_14partition_implILS8_3ELb0ES6_jNS0_17counting_iteratorIjlEEPS9_SE_NS0_5tupleIJPjSE_EEENSF_IJSE_SE_EEES9_SG_JZNS1_25segmented_radix_sort_implINS0_14default_configELb0EPKaPaPKlPlN2at6native12_GLOBAL__N_18offset_tEEE10hipError_tPvRmT1_PNSt15iterator_traitsISY_E10value_typeET2_T3_PNSZ_IS14_E10value_typeET4_jRbjT5_S1A_jjP12ihipStream_tbEUljE_EEESV_SW_SX_S14_S18_S1A_T6_T7_T9_mT8_S1C_bDpT10_ENKUlT_T0_E_clISt17integral_constantIbLb0EES1O_IbLb1EEEEDaS1K_S1L_EUlS1K_E_NS1_11comp_targetILNS1_3genE8ELNS1_11target_archE1030ELNS1_3gpuE2ELNS1_3repE0EEENS1_30default_config_static_selectorELNS0_4arch9wavefront6targetE0EEEvSY_,"axG",@progbits,_ZN7rocprim17ROCPRIM_400000_NS6detail17trampoline_kernelINS0_13select_configILj256ELj13ELNS0_17block_load_methodE3ELS4_3ELS4_3ELNS0_20block_scan_algorithmE0ELj4294967295EEENS1_25partition_config_selectorILNS1_17partition_subalgoE3EjNS0_10empty_typeEbEEZZNS1_14partition_implILS8_3ELb0ES6_jNS0_17counting_iteratorIjlEEPS9_SE_NS0_5tupleIJPjSE_EEENSF_IJSE_SE_EEES9_SG_JZNS1_25segmented_radix_sort_implINS0_14default_configELb0EPKaPaPKlPlN2at6native12_GLOBAL__N_18offset_tEEE10hipError_tPvRmT1_PNSt15iterator_traitsISY_E10value_typeET2_T3_PNSZ_IS14_E10value_typeET4_jRbjT5_S1A_jjP12ihipStream_tbEUljE_EEESV_SW_SX_S14_S18_S1A_T6_T7_T9_mT8_S1C_bDpT10_ENKUlT_T0_E_clISt17integral_constantIbLb0EES1O_IbLb1EEEEDaS1K_S1L_EUlS1K_E_NS1_11comp_targetILNS1_3genE8ELNS1_11target_archE1030ELNS1_3gpuE2ELNS1_3repE0EEENS1_30default_config_static_selectorELNS0_4arch9wavefront6targetE0EEEvSY_,comdat
.Lfunc_end389:
	.size	_ZN7rocprim17ROCPRIM_400000_NS6detail17trampoline_kernelINS0_13select_configILj256ELj13ELNS0_17block_load_methodE3ELS4_3ELS4_3ELNS0_20block_scan_algorithmE0ELj4294967295EEENS1_25partition_config_selectorILNS1_17partition_subalgoE3EjNS0_10empty_typeEbEEZZNS1_14partition_implILS8_3ELb0ES6_jNS0_17counting_iteratorIjlEEPS9_SE_NS0_5tupleIJPjSE_EEENSF_IJSE_SE_EEES9_SG_JZNS1_25segmented_radix_sort_implINS0_14default_configELb0EPKaPaPKlPlN2at6native12_GLOBAL__N_18offset_tEEE10hipError_tPvRmT1_PNSt15iterator_traitsISY_E10value_typeET2_T3_PNSZ_IS14_E10value_typeET4_jRbjT5_S1A_jjP12ihipStream_tbEUljE_EEESV_SW_SX_S14_S18_S1A_T6_T7_T9_mT8_S1C_bDpT10_ENKUlT_T0_E_clISt17integral_constantIbLb0EES1O_IbLb1EEEEDaS1K_S1L_EUlS1K_E_NS1_11comp_targetILNS1_3genE8ELNS1_11target_archE1030ELNS1_3gpuE2ELNS1_3repE0EEENS1_30default_config_static_selectorELNS0_4arch9wavefront6targetE0EEEvSY_, .Lfunc_end389-_ZN7rocprim17ROCPRIM_400000_NS6detail17trampoline_kernelINS0_13select_configILj256ELj13ELNS0_17block_load_methodE3ELS4_3ELS4_3ELNS0_20block_scan_algorithmE0ELj4294967295EEENS1_25partition_config_selectorILNS1_17partition_subalgoE3EjNS0_10empty_typeEbEEZZNS1_14partition_implILS8_3ELb0ES6_jNS0_17counting_iteratorIjlEEPS9_SE_NS0_5tupleIJPjSE_EEENSF_IJSE_SE_EEES9_SG_JZNS1_25segmented_radix_sort_implINS0_14default_configELb0EPKaPaPKlPlN2at6native12_GLOBAL__N_18offset_tEEE10hipError_tPvRmT1_PNSt15iterator_traitsISY_E10value_typeET2_T3_PNSZ_IS14_E10value_typeET4_jRbjT5_S1A_jjP12ihipStream_tbEUljE_EEESV_SW_SX_S14_S18_S1A_T6_T7_T9_mT8_S1C_bDpT10_ENKUlT_T0_E_clISt17integral_constantIbLb0EES1O_IbLb1EEEEDaS1K_S1L_EUlS1K_E_NS1_11comp_targetILNS1_3genE8ELNS1_11target_archE1030ELNS1_3gpuE2ELNS1_3repE0EEENS1_30default_config_static_selectorELNS0_4arch9wavefront6targetE0EEEvSY_
                                        ; -- End function
	.set _ZN7rocprim17ROCPRIM_400000_NS6detail17trampoline_kernelINS0_13select_configILj256ELj13ELNS0_17block_load_methodE3ELS4_3ELS4_3ELNS0_20block_scan_algorithmE0ELj4294967295EEENS1_25partition_config_selectorILNS1_17partition_subalgoE3EjNS0_10empty_typeEbEEZZNS1_14partition_implILS8_3ELb0ES6_jNS0_17counting_iteratorIjlEEPS9_SE_NS0_5tupleIJPjSE_EEENSF_IJSE_SE_EEES9_SG_JZNS1_25segmented_radix_sort_implINS0_14default_configELb0EPKaPaPKlPlN2at6native12_GLOBAL__N_18offset_tEEE10hipError_tPvRmT1_PNSt15iterator_traitsISY_E10value_typeET2_T3_PNSZ_IS14_E10value_typeET4_jRbjT5_S1A_jjP12ihipStream_tbEUljE_EEESV_SW_SX_S14_S18_S1A_T6_T7_T9_mT8_S1C_bDpT10_ENKUlT_T0_E_clISt17integral_constantIbLb0EES1O_IbLb1EEEEDaS1K_S1L_EUlS1K_E_NS1_11comp_targetILNS1_3genE8ELNS1_11target_archE1030ELNS1_3gpuE2ELNS1_3repE0EEENS1_30default_config_static_selectorELNS0_4arch9wavefront6targetE0EEEvSY_.num_vgpr, 0
	.set _ZN7rocprim17ROCPRIM_400000_NS6detail17trampoline_kernelINS0_13select_configILj256ELj13ELNS0_17block_load_methodE3ELS4_3ELS4_3ELNS0_20block_scan_algorithmE0ELj4294967295EEENS1_25partition_config_selectorILNS1_17partition_subalgoE3EjNS0_10empty_typeEbEEZZNS1_14partition_implILS8_3ELb0ES6_jNS0_17counting_iteratorIjlEEPS9_SE_NS0_5tupleIJPjSE_EEENSF_IJSE_SE_EEES9_SG_JZNS1_25segmented_radix_sort_implINS0_14default_configELb0EPKaPaPKlPlN2at6native12_GLOBAL__N_18offset_tEEE10hipError_tPvRmT1_PNSt15iterator_traitsISY_E10value_typeET2_T3_PNSZ_IS14_E10value_typeET4_jRbjT5_S1A_jjP12ihipStream_tbEUljE_EEESV_SW_SX_S14_S18_S1A_T6_T7_T9_mT8_S1C_bDpT10_ENKUlT_T0_E_clISt17integral_constantIbLb0EES1O_IbLb1EEEEDaS1K_S1L_EUlS1K_E_NS1_11comp_targetILNS1_3genE8ELNS1_11target_archE1030ELNS1_3gpuE2ELNS1_3repE0EEENS1_30default_config_static_selectorELNS0_4arch9wavefront6targetE0EEEvSY_.num_agpr, 0
	.set _ZN7rocprim17ROCPRIM_400000_NS6detail17trampoline_kernelINS0_13select_configILj256ELj13ELNS0_17block_load_methodE3ELS4_3ELS4_3ELNS0_20block_scan_algorithmE0ELj4294967295EEENS1_25partition_config_selectorILNS1_17partition_subalgoE3EjNS0_10empty_typeEbEEZZNS1_14partition_implILS8_3ELb0ES6_jNS0_17counting_iteratorIjlEEPS9_SE_NS0_5tupleIJPjSE_EEENSF_IJSE_SE_EEES9_SG_JZNS1_25segmented_radix_sort_implINS0_14default_configELb0EPKaPaPKlPlN2at6native12_GLOBAL__N_18offset_tEEE10hipError_tPvRmT1_PNSt15iterator_traitsISY_E10value_typeET2_T3_PNSZ_IS14_E10value_typeET4_jRbjT5_S1A_jjP12ihipStream_tbEUljE_EEESV_SW_SX_S14_S18_S1A_T6_T7_T9_mT8_S1C_bDpT10_ENKUlT_T0_E_clISt17integral_constantIbLb0EES1O_IbLb1EEEEDaS1K_S1L_EUlS1K_E_NS1_11comp_targetILNS1_3genE8ELNS1_11target_archE1030ELNS1_3gpuE2ELNS1_3repE0EEENS1_30default_config_static_selectorELNS0_4arch9wavefront6targetE0EEEvSY_.numbered_sgpr, 0
	.set _ZN7rocprim17ROCPRIM_400000_NS6detail17trampoline_kernelINS0_13select_configILj256ELj13ELNS0_17block_load_methodE3ELS4_3ELS4_3ELNS0_20block_scan_algorithmE0ELj4294967295EEENS1_25partition_config_selectorILNS1_17partition_subalgoE3EjNS0_10empty_typeEbEEZZNS1_14partition_implILS8_3ELb0ES6_jNS0_17counting_iteratorIjlEEPS9_SE_NS0_5tupleIJPjSE_EEENSF_IJSE_SE_EEES9_SG_JZNS1_25segmented_radix_sort_implINS0_14default_configELb0EPKaPaPKlPlN2at6native12_GLOBAL__N_18offset_tEEE10hipError_tPvRmT1_PNSt15iterator_traitsISY_E10value_typeET2_T3_PNSZ_IS14_E10value_typeET4_jRbjT5_S1A_jjP12ihipStream_tbEUljE_EEESV_SW_SX_S14_S18_S1A_T6_T7_T9_mT8_S1C_bDpT10_ENKUlT_T0_E_clISt17integral_constantIbLb0EES1O_IbLb1EEEEDaS1K_S1L_EUlS1K_E_NS1_11comp_targetILNS1_3genE8ELNS1_11target_archE1030ELNS1_3gpuE2ELNS1_3repE0EEENS1_30default_config_static_selectorELNS0_4arch9wavefront6targetE0EEEvSY_.num_named_barrier, 0
	.set _ZN7rocprim17ROCPRIM_400000_NS6detail17trampoline_kernelINS0_13select_configILj256ELj13ELNS0_17block_load_methodE3ELS4_3ELS4_3ELNS0_20block_scan_algorithmE0ELj4294967295EEENS1_25partition_config_selectorILNS1_17partition_subalgoE3EjNS0_10empty_typeEbEEZZNS1_14partition_implILS8_3ELb0ES6_jNS0_17counting_iteratorIjlEEPS9_SE_NS0_5tupleIJPjSE_EEENSF_IJSE_SE_EEES9_SG_JZNS1_25segmented_radix_sort_implINS0_14default_configELb0EPKaPaPKlPlN2at6native12_GLOBAL__N_18offset_tEEE10hipError_tPvRmT1_PNSt15iterator_traitsISY_E10value_typeET2_T3_PNSZ_IS14_E10value_typeET4_jRbjT5_S1A_jjP12ihipStream_tbEUljE_EEESV_SW_SX_S14_S18_S1A_T6_T7_T9_mT8_S1C_bDpT10_ENKUlT_T0_E_clISt17integral_constantIbLb0EES1O_IbLb1EEEEDaS1K_S1L_EUlS1K_E_NS1_11comp_targetILNS1_3genE8ELNS1_11target_archE1030ELNS1_3gpuE2ELNS1_3repE0EEENS1_30default_config_static_selectorELNS0_4arch9wavefront6targetE0EEEvSY_.private_seg_size, 0
	.set _ZN7rocprim17ROCPRIM_400000_NS6detail17trampoline_kernelINS0_13select_configILj256ELj13ELNS0_17block_load_methodE3ELS4_3ELS4_3ELNS0_20block_scan_algorithmE0ELj4294967295EEENS1_25partition_config_selectorILNS1_17partition_subalgoE3EjNS0_10empty_typeEbEEZZNS1_14partition_implILS8_3ELb0ES6_jNS0_17counting_iteratorIjlEEPS9_SE_NS0_5tupleIJPjSE_EEENSF_IJSE_SE_EEES9_SG_JZNS1_25segmented_radix_sort_implINS0_14default_configELb0EPKaPaPKlPlN2at6native12_GLOBAL__N_18offset_tEEE10hipError_tPvRmT1_PNSt15iterator_traitsISY_E10value_typeET2_T3_PNSZ_IS14_E10value_typeET4_jRbjT5_S1A_jjP12ihipStream_tbEUljE_EEESV_SW_SX_S14_S18_S1A_T6_T7_T9_mT8_S1C_bDpT10_ENKUlT_T0_E_clISt17integral_constantIbLb0EES1O_IbLb1EEEEDaS1K_S1L_EUlS1K_E_NS1_11comp_targetILNS1_3genE8ELNS1_11target_archE1030ELNS1_3gpuE2ELNS1_3repE0EEENS1_30default_config_static_selectorELNS0_4arch9wavefront6targetE0EEEvSY_.uses_vcc, 0
	.set _ZN7rocprim17ROCPRIM_400000_NS6detail17trampoline_kernelINS0_13select_configILj256ELj13ELNS0_17block_load_methodE3ELS4_3ELS4_3ELNS0_20block_scan_algorithmE0ELj4294967295EEENS1_25partition_config_selectorILNS1_17partition_subalgoE3EjNS0_10empty_typeEbEEZZNS1_14partition_implILS8_3ELb0ES6_jNS0_17counting_iteratorIjlEEPS9_SE_NS0_5tupleIJPjSE_EEENSF_IJSE_SE_EEES9_SG_JZNS1_25segmented_radix_sort_implINS0_14default_configELb0EPKaPaPKlPlN2at6native12_GLOBAL__N_18offset_tEEE10hipError_tPvRmT1_PNSt15iterator_traitsISY_E10value_typeET2_T3_PNSZ_IS14_E10value_typeET4_jRbjT5_S1A_jjP12ihipStream_tbEUljE_EEESV_SW_SX_S14_S18_S1A_T6_T7_T9_mT8_S1C_bDpT10_ENKUlT_T0_E_clISt17integral_constantIbLb0EES1O_IbLb1EEEEDaS1K_S1L_EUlS1K_E_NS1_11comp_targetILNS1_3genE8ELNS1_11target_archE1030ELNS1_3gpuE2ELNS1_3repE0EEENS1_30default_config_static_selectorELNS0_4arch9wavefront6targetE0EEEvSY_.uses_flat_scratch, 0
	.set _ZN7rocprim17ROCPRIM_400000_NS6detail17trampoline_kernelINS0_13select_configILj256ELj13ELNS0_17block_load_methodE3ELS4_3ELS4_3ELNS0_20block_scan_algorithmE0ELj4294967295EEENS1_25partition_config_selectorILNS1_17partition_subalgoE3EjNS0_10empty_typeEbEEZZNS1_14partition_implILS8_3ELb0ES6_jNS0_17counting_iteratorIjlEEPS9_SE_NS0_5tupleIJPjSE_EEENSF_IJSE_SE_EEES9_SG_JZNS1_25segmented_radix_sort_implINS0_14default_configELb0EPKaPaPKlPlN2at6native12_GLOBAL__N_18offset_tEEE10hipError_tPvRmT1_PNSt15iterator_traitsISY_E10value_typeET2_T3_PNSZ_IS14_E10value_typeET4_jRbjT5_S1A_jjP12ihipStream_tbEUljE_EEESV_SW_SX_S14_S18_S1A_T6_T7_T9_mT8_S1C_bDpT10_ENKUlT_T0_E_clISt17integral_constantIbLb0EES1O_IbLb1EEEEDaS1K_S1L_EUlS1K_E_NS1_11comp_targetILNS1_3genE8ELNS1_11target_archE1030ELNS1_3gpuE2ELNS1_3repE0EEENS1_30default_config_static_selectorELNS0_4arch9wavefront6targetE0EEEvSY_.has_dyn_sized_stack, 0
	.set _ZN7rocprim17ROCPRIM_400000_NS6detail17trampoline_kernelINS0_13select_configILj256ELj13ELNS0_17block_load_methodE3ELS4_3ELS4_3ELNS0_20block_scan_algorithmE0ELj4294967295EEENS1_25partition_config_selectorILNS1_17partition_subalgoE3EjNS0_10empty_typeEbEEZZNS1_14partition_implILS8_3ELb0ES6_jNS0_17counting_iteratorIjlEEPS9_SE_NS0_5tupleIJPjSE_EEENSF_IJSE_SE_EEES9_SG_JZNS1_25segmented_radix_sort_implINS0_14default_configELb0EPKaPaPKlPlN2at6native12_GLOBAL__N_18offset_tEEE10hipError_tPvRmT1_PNSt15iterator_traitsISY_E10value_typeET2_T3_PNSZ_IS14_E10value_typeET4_jRbjT5_S1A_jjP12ihipStream_tbEUljE_EEESV_SW_SX_S14_S18_S1A_T6_T7_T9_mT8_S1C_bDpT10_ENKUlT_T0_E_clISt17integral_constantIbLb0EES1O_IbLb1EEEEDaS1K_S1L_EUlS1K_E_NS1_11comp_targetILNS1_3genE8ELNS1_11target_archE1030ELNS1_3gpuE2ELNS1_3repE0EEENS1_30default_config_static_selectorELNS0_4arch9wavefront6targetE0EEEvSY_.has_recursion, 0
	.set _ZN7rocprim17ROCPRIM_400000_NS6detail17trampoline_kernelINS0_13select_configILj256ELj13ELNS0_17block_load_methodE3ELS4_3ELS4_3ELNS0_20block_scan_algorithmE0ELj4294967295EEENS1_25partition_config_selectorILNS1_17partition_subalgoE3EjNS0_10empty_typeEbEEZZNS1_14partition_implILS8_3ELb0ES6_jNS0_17counting_iteratorIjlEEPS9_SE_NS0_5tupleIJPjSE_EEENSF_IJSE_SE_EEES9_SG_JZNS1_25segmented_radix_sort_implINS0_14default_configELb0EPKaPaPKlPlN2at6native12_GLOBAL__N_18offset_tEEE10hipError_tPvRmT1_PNSt15iterator_traitsISY_E10value_typeET2_T3_PNSZ_IS14_E10value_typeET4_jRbjT5_S1A_jjP12ihipStream_tbEUljE_EEESV_SW_SX_S14_S18_S1A_T6_T7_T9_mT8_S1C_bDpT10_ENKUlT_T0_E_clISt17integral_constantIbLb0EES1O_IbLb1EEEEDaS1K_S1L_EUlS1K_E_NS1_11comp_targetILNS1_3genE8ELNS1_11target_archE1030ELNS1_3gpuE2ELNS1_3repE0EEENS1_30default_config_static_selectorELNS0_4arch9wavefront6targetE0EEEvSY_.has_indirect_call, 0
	.section	.AMDGPU.csdata,"",@progbits
; Kernel info:
; codeLenInByte = 0
; TotalNumSgprs: 0
; NumVgprs: 0
; ScratchSize: 0
; MemoryBound: 0
; FloatMode: 240
; IeeeMode: 1
; LDSByteSize: 0 bytes/workgroup (compile time only)
; SGPRBlocks: 0
; VGPRBlocks: 0
; NumSGPRsForWavesPerEU: 1
; NumVGPRsForWavesPerEU: 1
; NamedBarCnt: 0
; Occupancy: 16
; WaveLimiterHint : 0
; COMPUTE_PGM_RSRC2:SCRATCH_EN: 0
; COMPUTE_PGM_RSRC2:USER_SGPR: 2
; COMPUTE_PGM_RSRC2:TRAP_HANDLER: 0
; COMPUTE_PGM_RSRC2:TGID_X_EN: 1
; COMPUTE_PGM_RSRC2:TGID_Y_EN: 0
; COMPUTE_PGM_RSRC2:TGID_Z_EN: 0
; COMPUTE_PGM_RSRC2:TIDIG_COMP_CNT: 0
	.text
	.p2align	2                               ; -- Begin function _ZN7rocprim17ROCPRIM_400000_NS6detail40segmented_radix_sort_single_block_helperIalLj256ELj17ELb0EE4sortIPKaPaPKlPlEEbT_T0_T1_T2_jjjjRNS3_12storage_typeE
	.type	_ZN7rocprim17ROCPRIM_400000_NS6detail40segmented_radix_sort_single_block_helperIalLj256ELj17ELb0EE4sortIPKaPaPKlPlEEbT_T0_T1_T2_jjjjRNS3_12storage_typeE,@function
_ZN7rocprim17ROCPRIM_400000_NS6detail40segmented_radix_sort_single_block_helperIalLj256ELj17ELb0EE4sortIPKaPaPKlPlEEbT_T0_T1_T2_jjjjRNS3_12storage_typeE: ; @_ZN7rocprim17ROCPRIM_400000_NS6detail40segmented_radix_sort_single_block_helperIalLj256ELj17ELb0EE4sortIPKaPaPKlPlEEbT_T0_T1_T2_jjjjRNS3_12storage_typeE
; %bb.0:
	s_wait_loadcnt_dscnt 0x0
	s_wait_kmcnt 0x0
	s_set_vgpr_msb 64                       ;  msbs: dst=1 src0=0 src1=0 src2=0
	v_sub_nc_u32_e32 v20 /*v276*/, v9, v8
	s_mov_b32 s22, exec_lo
	s_set_vgpr_msb 4                        ;  msbs: dst=0 src0=0 src1=1 src2=0
	s_delay_alu instid0(VALU_DEP_1)
	v_cmpx_gt_u32_e32 0x1101, v20 /*v276*/
	s_set_vgpr_msb 0                        ;  msbs: dst=0 src0=0 src1=0 src2=0
	s_cbranch_execz .LBB390_382
; %bb.1:
	v_bfe_u32 v9, v31, 10, 10
	v_bfe_u32 v15, v31, 20, 10
	v_and_b32_e32 v14, 0x3ff, v31
	v_mbcnt_lo_u32_b32 v16, -1, 0
	s_getreg_b32 s23, hwreg(HW_REG_IB_STS2, 6, 4)
	s_mov_b32 s0, exec_lo
	s_set_vgpr_msb 4                        ;  msbs: dst=0 src0=0 src1=1 src2=0
	v_cmpx_lt_u32_e32 0x800, v20 /*v276*/
	s_xor_b32 s24, exec_lo, s0
	s_set_vgpr_msb 0                        ;  msbs: dst=0 src0=0 src1=0 src2=0
	s_cbranch_execz .LBB390_151
; %bb.2:
	s_load_b64 s[0:1], s[8:9], 0x0
	s_bfe_u32 s3, ttmp6, 0x4000c
	s_bfe_u32 s5, ttmp6, 0x40010
	s_and_b32 s4, ttmp7, 0xffff
	s_add_co_i32 s3, s3, 1
	s_add_co_i32 s5, s5, 1
	s_and_b32 s2, ttmp6, 15
	s_bfe_u32 s6, ttmp6, 0x40004
	s_mul_i32 s3, ttmp9, s3
	s_mul_i32 s5, s4, s5
	s_add_co_i32 s2, s2, s3
	s_add_co_i32 s6, s6, s5
	s_cmp_eq_u32 s23, 0
	s_mov_b32 s3, 0
	s_cselect_b32 s2, ttmp9, s2
	s_cselect_b32 s4, s4, s6
	v_dual_mov_b32 v22, 0x7f :: v_dual_mov_b32 v33, 0x7f
	v_dual_mov_b32 v23, 0x7f :: v_dual_mov_b32 v28, 0x7f
	s_wait_kmcnt 0x0
	s_cmp_lt_u32 s2, s0
	v_dual_mov_b32 v27, 0x7f :: v_dual_mov_b32 v24, 0x7f
	s_cselect_b32 s2, 12, 18
	s_cmp_lt_u32 s4, s1
	s_mov_b32 s1, s3
	s_cselect_b32 s0, 14, 20
	v_dual_mov_b32 v25, 0x7f :: v_dual_mov_b32 v34, 0x7f
	s_add_nc_u64 s[0:1], s[8:9], s[0:1]
	v_dual_mov_b32 v29, 0x7f :: v_dual_mov_b32 v30, 0x7f
	s_load_u16 s4, s[0:1], 0x0
	s_wait_xcnt 0x0
	s_add_nc_u64 s[0:1], s[8:9], s[2:3]
	v_dual_mov_b32 v21, 0x7f :: v_dual_mov_b32 v32, 0x7f
	s_load_u16 s0, s[0:1], 0x0
	v_dual_mov_b32 v31, 0x7f :: v_dual_mov_b32 v26, 0x7f
	v_mov_b32_e32 v20, 0x7f
	s_wait_kmcnt 0x0
	v_mad_u32_u24 v9, v15, s4, v9
	v_mov_b32_e32 v15, 0x7f
	s_delay_alu instid0(VALU_DEP_2) | instskip(SKIP_1) | instid1(VALU_DEP_1)
	v_mad_u32 v38, v9, s0, v14
	v_mov_b32_e32 v9, 0
	v_add_nc_u64_e32 v[18:19], v[0:1], v[8:9]
	v_dual_mov_b32 v17, v9 :: v_dual_mov_b32 v1, v9
	s_delay_alu instid0(VALU_DEP_4) | instskip(NEXT) | instid1(VALU_DEP_2)
	v_and_b32_e32 v0, 0xffffffe0, v38
	v_add_nc_u64_e32 v[18:19], v[18:19], v[16:17]
	v_mov_b32_e32 v17, 0x7f
	s_delay_alu instid0(VALU_DEP_3) | instskip(NEXT) | instid1(VALU_DEP_1)
	v_lshl_add_u32 v0, v0, 4, v0
	v_or_b32_e32 v35, v0, v16
	s_delay_alu instid0(VALU_DEP_4) | instskip(SKIP_1) | instid1(VALU_DEP_2)
	v_add_nc_u64_e32 v[18:19], v[18:19], v[0:1]
	s_set_vgpr_msb 4                        ;  msbs: dst=0 src0=0 src1=1 src2=0
	v_cmp_lt_u32_e32 vcc_lo, v35, v20 /*v276*/
	s_and_saveexec_b32 s0, vcc_lo
	s_set_vgpr_msb 0                        ;  msbs: dst=0 src0=0 src1=0 src2=0
	s_cbranch_execz .LBB390_4
; %bb.3:
	flat_load_u8 v20, v[18:19]
	v_dual_mov_b32 v15, 0x7f :: v_dual_mov_b32 v26, 0x7f
	v_dual_mov_b32 v22, 0x7f :: v_dual_mov_b32 v33, 0x7f
	;; [unrolled: 1-line block ×7, first 2 shown]
	v_mov_b32_e32 v17, 0x7f
	v_mov_b32_e32 v31, 0x7f
.LBB390_4:
	s_wait_xcnt 0x0
	s_or_b32 exec_lo, exec_lo, s0
	v_add_nc_u32_e32 v36, 32, v35
	s_set_vgpr_msb 4                        ;  msbs: dst=0 src0=0 src1=1 src2=0
	s_delay_alu instid0(VALU_DEP_1)
	v_cmp_lt_u32_e64 s0, v36, v20 /*v276*/
	s_and_saveexec_b32 s1, s0
	s_set_vgpr_msb 0                        ;  msbs: dst=0 src0=0 src1=0 src2=0
	s_cbranch_execz .LBB390_6
; %bb.5:
	flat_load_u8 v26, v[18:19] offset:32
.LBB390_6:
	s_wait_xcnt 0x0
	s_or_b32 exec_lo, exec_lo, s1
	v_add_nc_u32_e32 v36, 64, v35
	s_set_vgpr_msb 4                        ;  msbs: dst=0 src0=0 src1=1 src2=0
	s_delay_alu instid0(VALU_DEP_1)
	v_cmp_lt_u32_e64 s1, v36, v20 /*v276*/
	s_and_saveexec_b32 s2, s1
	s_set_vgpr_msb 0                        ;  msbs: dst=0 src0=0 src1=0 src2=0
	s_cbranch_execz .LBB390_8
; %bb.7:
	flat_load_u8 v22, v[18:19] offset:64
.LBB390_8:
	;; [unrolled: 12-line block ×16, first 2 shown]
	s_wait_xcnt 0x0
	s_or_b32 exec_lo, exec_lo, s18
	v_lshl_add_u64 v[4:5], v[8:9], 3, v[4:5]
	v_dual_mov_b32 v19, 0 :: v_dual_lshlrev_b32 v18, 3, v16
                                        ; implicit-def: $vgpr84_vgpr85
	s_delay_alu instid0(VALU_DEP_1) | instskip(NEXT) | instid1(VALU_DEP_1)
	v_add_nc_u64_e32 v[4:5], v[4:5], v[18:19]
	v_lshl_add_u64 v[0:1], v[0:1], 3, v[4:5]
	s_and_saveexec_b32 s18, vcc_lo
	s_cbranch_execnz .LBB390_204
; %bb.37:
	s_or_b32 exec_lo, exec_lo, s18
                                        ; implicit-def: $vgpr86_vgpr87
	s_and_saveexec_b32 s18, s0
	s_cbranch_execnz .LBB390_205
.LBB390_38:
	s_or_b32 exec_lo, exec_lo, s18
                                        ; implicit-def: $vgpr96_vgpr97
	s_and_saveexec_b32 s0, s1
	s_cbranch_execnz .LBB390_206
.LBB390_39:
	s_or_b32 exec_lo, exec_lo, s0
                                        ; implicit-def: $vgpr98_vgpr99
	s_and_saveexec_b32 s0, s2
	s_cbranch_execnz .LBB390_207
.LBB390_40:
	s_or_b32 exec_lo, exec_lo, s0
                                        ; implicit-def: $vgpr100_vgpr101
	s_and_saveexec_b32 s0, s3
	s_cbranch_execnz .LBB390_208
.LBB390_41:
	s_or_b32 exec_lo, exec_lo, s0
                                        ; implicit-def: $vgpr102_vgpr103
	s_and_saveexec_b32 s0, s4
	s_cbranch_execnz .LBB390_209
.LBB390_42:
	s_or_b32 exec_lo, exec_lo, s0
                                        ; implicit-def: $vgpr112_vgpr113
	s_and_saveexec_b32 s0, s5
	s_cbranch_execnz .LBB390_210
.LBB390_43:
	s_or_b32 exec_lo, exec_lo, s0
                                        ; implicit-def: $vgpr114_vgpr115
	s_and_saveexec_b32 s0, s6
	s_cbranch_execnz .LBB390_211
.LBB390_44:
	s_or_b32 exec_lo, exec_lo, s0
                                        ; implicit-def: $vgpr116_vgpr117
	s_and_saveexec_b32 s0, s7
	s_cbranch_execnz .LBB390_212
.LBB390_45:
	s_or_b32 exec_lo, exec_lo, s0
                                        ; implicit-def: $vgpr130_vgpr131
	s_and_saveexec_b32 s0, s10
	s_cbranch_execnz .LBB390_213
.LBB390_46:
	s_or_b32 exec_lo, exec_lo, s0
                                        ; implicit-def: $vgpr132_vgpr133
	s_and_saveexec_b32 s0, s11
	s_cbranch_execnz .LBB390_214
.LBB390_47:
	s_or_b32 exec_lo, exec_lo, s0
                                        ; implicit-def: $vgpr134_vgpr135
	s_and_saveexec_b32 s0, s12
	s_cbranch_execnz .LBB390_215
.LBB390_48:
	s_or_b32 exec_lo, exec_lo, s0
                                        ; implicit-def: $vgpr118_vgpr119
	s_and_saveexec_b32 s0, s13
	s_cbranch_execnz .LBB390_216
.LBB390_49:
	s_or_b32 exec_lo, exec_lo, s0
                                        ; implicit-def: $vgpr128_vgpr129
	s_and_saveexec_b32 s0, s14
	s_cbranch_execnz .LBB390_217
.LBB390_50:
	s_or_b32 exec_lo, exec_lo, s0
                                        ; implicit-def: $vgpr144_vgpr145
	s_and_saveexec_b32 s0, s15
	s_cbranch_execnz .LBB390_218
.LBB390_51:
	s_or_b32 exec_lo, exec_lo, s0
                                        ; implicit-def: $vgpr146_vgpr147
	s_and_saveexec_b32 s0, s16
	s_cbranch_execnz .LBB390_219
.LBB390_52:
	s_or_b32 exec_lo, exec_lo, s0
                                        ; implicit-def: $vgpr148_vgpr149
	s_and_saveexec_b32 s0, s17
	s_cbranch_execz .LBB390_54
.LBB390_53:
	flat_load_b64 v[148:149], v[0:1] offset:4096
.LBB390_54:
	s_wait_xcnt 0x0
	s_or_b32 exec_lo, exec_lo, s0
	s_wait_loadcnt_dscnt 0x0
	v_xor_b32_e32 v0, 0x80, v26
	v_xor_b32_e32 v4, 0x80, v27
	v_xor_b32_e32 v1, 0x80, v33
	v_xor_b32_e32 v18, 0x80, v20
	v_lshlrev_b16 v26, 8, v28
	v_lshlrev_b16 v19, 8, v0
	;; [unrolled: 1-line block ×4, first 2 shown]
	v_xor_b32_e32 v1, 0x80, v29
	v_xor_b32_e32 v4, 0x80, v34
	v_xor_b32_e32 v22, 0x80, v22
	v_lshrrev_b32_e32 v27, 8, v0
	v_xor_b32_e32 v0, 0x80, v31
	v_lshlrev_b16 v28, 8, v1
	v_lshl_add_u32 v1, v14, 5, v12
	v_xor_b32_e32 v25, 0x80, v25
	v_lshlrev_b16 v29, 8, v4
	v_lshlrev_b16 v0, 8, v0
	v_xor_b32_e32 v163, 0xffffff80, v15
	v_dual_add_nc_u32 v15, 32, v1 :: v_dual_add_nc_u32 v39, 36, v1
	s_set_vgpr_msb 64                       ;  msbs: dst=1 src0=0 src1=0 src2=0
	v_dual_add_nc_u32 v21 /*v277*/, 40, v1 :: v_dual_add_nc_u32 v22 /*v278*/, 44, v1
	s_set_vgpr_msb 0                        ;  msbs: dst=0 src0=0 src1=0 src2=0
	v_lshrrev_b32_e32 v33, 8, v0
	v_and_b32_e32 v0, 0x3e0, v14
	s_set_vgpr_msb 64                       ;  msbs: dst=1 src0=0 src1=0 src2=0
	v_dual_add_nc_u32 v23 /*v279*/, 48, v1 :: v_dual_add_nc_u32 v24 /*v280*/, 52, v1
	s_set_vgpr_msb 0                        ;  msbs: dst=0 src0=0 src1=0 src2=0
	v_and_b32_e32 v4, 15, v16
	s_set_vgpr_msb 64                       ;  msbs: dst=1 src0=0 src1=0 src2=0
	v_dual_add_nc_u32 v25 /*v281*/, 56, v1 :: v_dual_add_nc_u32 v26 /*v282*/, 60, v1
	s_set_vgpr_msb 0                        ;  msbs: dst=0 src0=0 src1=0 src2=0
	v_min_u32_e32 v1, 0xe0, v0
	s_get_pc_i64 s[0:1]
	s_add_nc_u64 s[0:1], s[0:1], _ZN7rocprim17ROCPRIM_400000_NS16block_radix_sortIaLj256ELj17ElLj1ELj1ELj8ELNS0_26block_radix_rank_algorithmE2ELNS0_18block_padding_hintE2ELNS0_4arch9wavefront6targetE0EE19radix_bits_per_passE@rel64+4
	v_lshlrev_b16 v31, 8, v32
	v_xor_b32_e32 v32, 0x80, v17
	s_load_b32 s25, s[0:1], 0x0
	v_or_b32_e32 v17, 31, v1
	v_mul_u32_u24_e32 v0, 17, v0
	v_mov_b32_e32 v1, 0
	v_cmp_eq_u32_e32 vcc_lo, 0, v4
	s_wait_xcnt 0x0
	v_cmp_lt_u32_e64 s0, 1, v4
	v_cmp_lt_u32_e64 s1, 3, v4
	;; [unrolled: 1-line block ×3, first 2 shown]
	v_sub_co_u32 v4, s3, v16, 1
	v_perm_b32 v20, v22, v20, 0xc0c0104
	v_bitop3_b16 v22, v25, v26, 0xff bitop3:0xec
	v_dual_lshrrev_b32 v34, 3, v14 :: v_dual_bitop2_b32 v5, 16, v16 bitop3:0x40
	s_delay_alu instid0(VALU_DEP_4) | instskip(SKIP_1) | instid1(VALU_DEP_4)
	v_cmp_gt_i32_e64 s5, 0, v4
	v_xor_b32_e32 v23, 0x80, v23
	v_add_nc_u16 v22, 0x8000, v22
	v_or_b32_e32 v0, v16, v0
	v_cmp_eq_u32_e64 s4, 0, v5
	v_cndmask_b32_e64 v35, v4, v16, s5
	s_set_vgpr_msb 64                       ;  msbs: dst=1 src0=0 src1=0 src2=0
	v_lshrrev_b32_e32 v27 /*v283*/, 5, v38
	s_set_vgpr_msb 0                        ;  msbs: dst=0 src0=0 src1=0 src2=0
	v_lshlrev_b32_e32 v22, 16, v22
	v_add_nc_u64_e32 v[4:5], v[12:13], v[0:1]
	v_cmp_eq_u32_e64 s5, v14, v17
	v_and_b32_e32 v34, 0x7c, v34
	s_set_vgpr_msb 64                       ;  msbs: dst=1 src0=0 src1=0 src2=0
	v_lshlrev_b32_e32 v28 /*v284*/, 2, v35
	s_set_vgpr_msb 0                        ;  msbs: dst=0 src0=0 src1=0 src2=0
	v_and_b32_e32 v35, 7, v16
	v_xor_b32_e32 v30, 0x80, v30
	v_xor_b32_e32 v24, 0x80, v24
	v_mad_nc_u64_u32 v[16:17], v0, 7, v[4:5]
	v_dual_lshrrev_b32 v0, 8, v19 :: v_dual_lshrrev_b32 v19, 8, v28
	s_delay_alu instid0(VALU_DEP_4) | instskip(SKIP_2) | instid1(VALU_DEP_4)
	v_bitop3_b16 v25, v30, v31, 0xff bitop3:0xec
	v_xor_b32_e32 v21, 0x80, v21
	v_cmp_gt_u32_e64 s6, 8, v14
	v_lshlrev_b16 v0, 8, v0
	v_lshlrev_b16 v19, 8, v19
	v_cmp_lt_u32_e64 s7, 31, v14
	v_perm_b32 v21, v21, v29, 0xc0c0104
	v_cmp_eq_u32_e64 s10, 0, v14
	v_bitop3_b16 v0, v18, v0, 0xff bitop3:0xec
	v_lshlrev_b16 v18, 8, v27
	v_add_nc_u32_e32 v5, v12, v34
	v_lshl_add_u32 v17, v14, 2, v12
	v_cmp_eq_u32_e64 s11, 0, v35
	v_and_b32_e32 v0, 0xffff, v0
	v_bitop3_b16 v18, v23, v18, 0xff bitop3:0xec
	v_lshlrev_b16 v23, 8, v33
	v_cmp_lt_u32_e64 s12, 1, v35
	v_cmp_lt_u32_e64 s13, 3, v35
	s_set_vgpr_msb 64                       ;  msbs: dst=1 src0=0 src1=0 src2=0
	v_add_nc_u32_e32 v29 /*v285*/, 0x1a0, v4
	s_set_vgpr_msb 0                        ;  msbs: dst=0 src0=0 src1=0 src2=0
	v_and_b32_e32 v26, 0xffff, v18
	v_bitop3_b16 v18, v24, v19, 0xff bitop3:0xec
	v_bitop3_b16 v19, v32, v23, 0xff bitop3:0xec
	v_add_nc_u16 v23, 0x8000, v25
	s_set_vgpr_msb 64                       ;  msbs: dst=1 src0=0 src1=0 src2=0
	v_add_nc_u32_e32 v30 /*v286*/, 0x1c0, v4
	v_add_nc_u32_e32 v31 /*v287*/, 0x1e0, v4
	s_set_vgpr_msb 0                        ;  msbs: dst=0 src0=0 src1=0 src2=0
	v_and_b32_e32 v24, 0xffff, v18
	v_and_b32_e32 v19, 0xffff, v19
	v_dual_lshlrev_b32 v23, 16, v23 :: v_dual_bitop2_b32 v167, v26, v22 bitop3:0x54
	v_lshl_or_b32 v18, v20, 16, v0
	s_delay_alu instid0(VALU_DEP_4)
	v_lshl_or_b32 v177, v21, 16, v24
	v_mov_b64_e32 v[20:21], 0
	s_set_vgpr_msb 64                       ;  msbs: dst=1 src0=0 src1=0 src2=0
	v_add_nc_u32_e32 v32 /*v288*/, 0x200, v4
	v_add_nc_u32_e32 v33 /*v289*/, 0x100, v16
	;; [unrolled: 1-line block ×17, first 2 shown]
	s_set_vgpr_msb 0                        ;  msbs: dst=0 src0=0 src1=0 src2=0
	v_or_b32_e32 v179, v19, v23
	s_set_vgpr_msb 64                       ;  msbs: dst=1 src0=0 src1=0 src2=0
	v_sub_nc_u32_e32 v49 /*v305*/, v11, v10
	s_mov_b32 s26, 0
	s_wait_storecnt 0x0
	s_barrier_signal -1
	s_barrier_wait -1
	s_set_vgpr_msb 0                        ;  msbs: dst=0 src0=0 src1=0 src2=0
	s_branch .LBB390_56
.LBB390_55:                             ;   in Loop: Header=BB390_56 Depth=1
	s_or_b32 exec_lo, exec_lo, s15
	s_delay_alu instid0(SALU_CYCLE_1) | instskip(NEXT) | instid1(SALU_CYCLE_1)
	s_and_b32 s14, exec_lo, s16
	s_or_b32 s26, s14, s26
	s_delay_alu instid0(SALU_CYCLE_1)
	s_and_not1_b32 exec_lo, exec_lo, s26
	s_cbranch_execz .LBB390_98
.LBB390_56:                             ; =>This Inner Loop Header: Depth=1
	s_wait_kmcnt 0x0
	s_set_vgpr_msb 4                        ;  msbs: dst=0 src0=0 src1=1 src2=0
	v_min_u32_e32 v0, s25, v49 /*v305*/
	s_set_vgpr_msb 0                        ;  msbs: dst=0 src0=0 src1=0 src2=0
	v_and_b32_e32 v22, 0xff, v18
	v_mov_b32_e32 v19, v167
	v_mov_b64_e32 v[32:33], v[84:85]
	v_mov_b64_e32 v[52:53], v[86:87]
	v_lshlrev_b32_e64 v150, v0, -1
	v_lshrrev_b32_e32 v0, v10, v22
	v_mov_b64_e32 v[50:51], v[96:97]
	v_mov_b64_e32 v[24:25], v[98:99]
	;; [unrolled: 1-line block ×4, first 2 shown]
	v_bitop3_b32 v66, v0, v150, v0 bitop3:0x30
	v_bitop3_b32 v0, v0, 1, v150 bitop3:0x40
	v_mov_b64_e32 v[48:49], v[112:113]
	v_mov_b64_e32 v[36:37], v[114:115]
	;; [unrolled: 1-line block ×3, first 2 shown]
	v_dual_lshlrev_b32 v64, 30, v66 :: v_dual_lshlrev_b32 v68, 29, v66
	v_add_co_u32 v0, s14, v0, -1
	s_delay_alu instid0(VALU_DEP_1) | instskip(NEXT) | instid1(VALU_DEP_3)
	v_cndmask_b32_e64 v65, 0, 1, s14
	v_not_b32_e32 v67, v64
	v_cmp_gt_i32_e64 s15, 0, v64
	v_not_b32_e32 v70, v68
	v_mov_b64_e32 v[28:29], v[130:131]
	v_cmp_ne_u32_e64 s14, 0, v65
	v_dual_ashrrev_i32 v67, 31, v67 :: v_dual_lshlrev_b32 v69, 28, v66
	v_mov_b64_e32 v[34:35], v[132:133]
	v_mov_b64_e32 v[64:65], v[134:135]
	s_delay_alu instid0(VALU_DEP_4) | instskip(NEXT) | instid1(VALU_DEP_4)
	v_xor_b32_e32 v0, s14, v0
	v_xor_b32_e32 v67, s15, v67
	v_not_b32_e32 v71, v69
	v_cmp_gt_i32_e64 s14, 0, v68
	v_ashrrev_i32_e32 v68, 31, v70
	v_lshlrev_b32_e32 v70, 27, v66
	v_cmp_gt_i32_e64 s15, 0, v69
	v_ashrrev_i32_e32 v69, 31, v71
	v_bitop3_b32 v0, v0, v67, exec_lo bitop3:0x80
	v_lshlrev_b32_e32 v67, 26, v66
	v_not_b32_e32 v71, v70
	v_xor_b32_e32 v68, s14, v68
	v_dual_lshlrev_b32 v80, 25, v66 :: v_dual_bitop2_b32 v69, s15, v69 bitop3:0x14
	v_cmp_gt_i32_e64 s14, 0, v70
	v_not_b32_e32 v70, v67
	v_ashrrev_i32_e32 v71, 31, v71
	v_cmp_gt_i32_e64 s15, 0, v67
	v_lshlrev_b32_e32 v67, 24, v66
	v_bitop3_b32 v0, v0, v69, v68 bitop3:0x80
	v_not_b32_e32 v68, v80
	v_dual_ashrrev_i32 v70, 31, v70 :: v_dual_bitop2_b32 v69, s14, v71 bitop3:0x14
	s_delay_alu instid0(VALU_DEP_4) | instskip(SKIP_1) | instid1(VALU_DEP_3)
	v_not_b32_e32 v71, v67
	v_cmp_gt_i32_e64 s14, 0, v80
	v_dual_ashrrev_i32 v68, 31, v68 :: v_dual_bitop2_b32 v70, s15, v70 bitop3:0x14
	v_cmp_gt_i32_e64 s15, 0, v67
	s_delay_alu instid0(VALU_DEP_4) | instskip(NEXT) | instid1(VALU_DEP_3)
	v_dual_ashrrev_i32 v67, 31, v71 :: v_dual_lshlrev_b32 v71, 3, v66
	v_xor_b32_e32 v81, s14, v68
	s_delay_alu instid0(VALU_DEP_4) | instskip(SKIP_1) | instid1(VALU_DEP_4)
	v_bitop3_b32 v80, v0, v70, v69 bitop3:0x80
	v_mov_b64_e32 v[82:83], v[118:119]
	v_xor_b32_e32 v84, s15, v67
	s_set_vgpr_msb 4                        ;  msbs: dst=0 src0=0 src1=1 src2=0
	v_add_lshl_u32 v0, v71, v27 /*v283*/, 2
	v_mov_b64_e32 v[66:67], v[128:129]
	v_mov_b64_e32 v[70:71], v[144:145]
	;; [unrolled: 1-line block ×3, first 2 shown]
	s_set_vgpr_msb 0                        ;  msbs: dst=0 src0=0 src1=0 src2=0
	v_bitop3_b32 v86, v80, v84, v81 bitop3:0x80
	v_add_nc_u64_e32 v[84:85], v[12:13], v[0:1]
	v_mov_b64_e32 v[80:81], v[148:149]
	s_set_vgpr_msb 64                       ;  msbs: dst=1 src0=0 src1=0 src2=0
	v_mov_b32_e32 v50 /*v306*/, v163
	s_set_vgpr_msb 0                        ;  msbs: dst=0 src0=0 src1=0 src2=0
	v_dual_mov_b32 v55, v179 :: v_dual_mov_b32 v54, v177
	v_mbcnt_lo_u32_b32 v0, v86, 0
	v_cmp_ne_u32_e64 s15, 0, v86
	v_add_nc_u64_e32 v[84:85], 32, v[84:85]
	ds_store_b64 v15, v[20:21]
	s_set_vgpr_msb 1                        ;  msbs: dst=0 src0=1 src1=0 src2=0
	ds_store_b64 v21 /*v277*/, v[20:21]
	ds_store_b64 v23 /*v279*/, v[20:21]
	;; [unrolled: 1-line block ×3, first 2 shown]
	v_cmp_eq_u32_e64 s14, 0, v0
	s_wait_dscnt 0x0
	s_barrier_signal -1
	s_barrier_wait -1
	s_and_b32 s15, s15, s14
	; wave barrier
	s_delay_alu instid0(SALU_CYCLE_1)
	s_and_saveexec_b32 s14, s15
; %bb.57:                               ;   in Loop: Header=BB390_56 Depth=1
	s_set_vgpr_msb 0                        ;  msbs: dst=0 src0=0 src1=0 src2=0
	v_bcnt_u32_b32 v85, v86, 0
	ds_store_b32 v84, v85
; %bb.58:                               ;   in Loop: Header=BB390_56 Depth=1
	s_or_b32 exec_lo, exec_lo, s14
	v_bfe_u32 v85, v18, 8, 8
	v_not_b32_e32 v102, v150
	; wave barrier
	s_set_vgpr_msb 4                        ;  msbs: dst=0 src0=0 src1=1 src2=0
	v_and_b32_e32 v114, 0xff, v50 /*v306*/
	s_set_vgpr_msb 0                        ;  msbs: dst=0 src0=0 src1=0 src2=0
	v_lshrrev_b32_e32 v85, v10, v85
	s_delay_alu instid0(VALU_DEP_1) | instskip(NEXT) | instid1(VALU_DEP_1)
	v_and_b32_e32 v86, v85, v102
	v_lshlrev_b32_e32 v97, 30, v86
	v_bitop3_b32 v85, v85, 1, v102 bitop3:0x80
	s_delay_alu instid0(VALU_DEP_2) | instskip(NEXT) | instid1(VALU_DEP_2)
	v_cmp_gt_i32_e64 s15, 0, v97
	v_add_co_u32 v85, s14, v85, -1
	s_delay_alu instid0(VALU_DEP_1) | instskip(NEXT) | instid1(VALU_DEP_1)
	v_cndmask_b32_e64 v96, 0, 1, s14
	v_cmp_ne_u32_e64 s14, 0, v96
	v_not_b32_e32 v96, v97
	s_delay_alu instid0(VALU_DEP_1)
	v_dual_ashrrev_i32 v96, 31, v96 :: v_dual_lshlrev_b32 v98, 29, v86
	v_dual_lshlrev_b32 v99, 28, v86 :: v_dual_lshlrev_b32 v100, 27, v86
	v_lshlrev_b32_e32 v101, 26, v86
	s_set_vgpr_msb 16                       ;  msbs: dst=0 src0=0 src1=0 src2=1
	v_lshl_add_u32 v87, v86, 3, v27 /*v283*/
	v_cmp_gt_i32_e64 s16, 0, v98
	v_not_b32_e32 v97, v98
	v_not_b32_e32 v98, v99
	v_dual_lshlrev_b32 v103, 25, v86 :: v_dual_lshlrev_b32 v86, 24, v86
	v_cmp_gt_i32_e64 s17, 0, v99
	v_cmp_gt_i32_e64 s18, 0, v100
	v_not_b32_e32 v99, v100
	v_dual_ashrrev_i32 v98, 31, v98 :: v_dual_bitop2_b32 v85, s14, v85 bitop3:0x14
	v_dual_ashrrev_i32 v97, 31, v97 :: v_dual_bitop2_b32 v96, s15, v96 bitop3:0x14
	v_not_b32_e32 v100, v101
	v_cmp_gt_i32_e64 s19, 0, v101
	s_delay_alu instid0(VALU_DEP_3)
	v_dual_ashrrev_i32 v99, 31, v99 :: v_dual_bitop2_b32 v97, s16, v97 bitop3:0x14
	v_xor_b32_e32 v98, s17, v98
	v_bitop3_b32 v85, v85, v96, exec_lo bitop3:0x80
	v_ashrrev_i32_e32 v96, 31, v100
	v_not_b32_e32 v100, v103
	v_not_b32_e32 v101, v86
	v_xor_b32_e32 v99, s18, v99
	s_set_vgpr_msb 0                        ;  msbs: dst=0 src0=0 src1=0 src2=0
	v_bitop3_b32 v85, v85, v98, v97 bitop3:0x80
	v_xor_b32_e32 v96, s19, v96
	v_cmp_gt_i32_e64 s14, 0, v103
	v_ashrrev_i32_e32 v97, 31, v100
	v_cmp_gt_i32_e64 s15, 0, v86
	v_ashrrev_i32_e32 v86, 31, v101
	v_lshl_add_u32 v87, v87, 2, v12
	v_bitop3_b32 v96, v85, v96, v99 bitop3:0x80
	v_xor_b32_e32 v97, s14, v97
	s_delay_alu instid0(VALU_DEP_4) | instskip(SKIP_3) | instid1(VALU_DEP_1)
	v_xor_b32_e32 v86, s15, v86
	ds_load_b32 v85, v87 offset:32
	v_add_nc_u32_e32 v87, 32, v87
	; wave barrier
	v_bitop3_b32 v96, v96, v86, v97 bitop3:0x80
	v_mbcnt_lo_u32_b32 v86, v96, 0
	v_cmp_ne_u32_e64 s15, 0, v96
	s_delay_alu instid0(VALU_DEP_2) | instskip(SKIP_1) | instid1(SALU_CYCLE_1)
	v_cmp_eq_u32_e64 s14, 0, v86
	s_and_b32 s15, s15, s14
	s_and_saveexec_b32 s14, s15
	s_cbranch_execz .LBB390_60
; %bb.59:                               ;   in Loop: Header=BB390_56 Depth=1
	s_wait_dscnt 0x0
	v_bcnt_u32_b32 v96, v96, v85
	ds_store_b32 v87, v96
.LBB390_60:                             ;   in Loop: Header=BB390_56 Depth=1
	s_or_b32 exec_lo, exec_lo, s14
	v_bfe_u32 v96, v18, 16, 8
	; wave barrier
	s_delay_alu instid0(VALU_DEP_1) | instskip(NEXT) | instid1(VALU_DEP_1)
	v_lshrrev_b32_e32 v96, v10, v96
	v_and_b32_e32 v97, v96, v102
	s_delay_alu instid0(VALU_DEP_1) | instskip(SKIP_1) | instid1(VALU_DEP_2)
	v_lshlrev_b32_e32 v100, 30, v97
	v_bitop3_b32 v96, v96, 1, v102 bitop3:0x80
	v_cmp_gt_i32_e64 s15, 0, v100
	s_delay_alu instid0(VALU_DEP_2) | instskip(NEXT) | instid1(VALU_DEP_1)
	v_add_co_u32 v96, s14, v96, -1
	v_cndmask_b32_e64 v99, 0, 1, s14
	s_delay_alu instid0(VALU_DEP_1) | instskip(SKIP_1) | instid1(VALU_DEP_1)
	v_cmp_ne_u32_e64 s14, 0, v99
	v_not_b32_e32 v99, v100
	v_dual_ashrrev_i32 v99, 31, v99 :: v_dual_lshlrev_b32 v101, 29, v97
	v_dual_lshlrev_b32 v103, 28, v97 :: v_dual_lshlrev_b32 v112, 27, v97
	v_lshlrev_b32_e32 v113, 26, v97
	s_set_vgpr_msb 16                       ;  msbs: dst=0 src0=0 src1=0 src2=1
	v_lshl_add_u32 v98, v97, 3, v27 /*v283*/
	v_cmp_gt_i32_e64 s16, 0, v101
	v_not_b32_e32 v100, v101
	v_not_b32_e32 v101, v103
	v_dual_lshlrev_b32 v115, 25, v97 :: v_dual_lshlrev_b32 v97, 24, v97
	v_cmp_gt_i32_e64 s17, 0, v103
	v_cmp_gt_i32_e64 s18, 0, v112
	v_not_b32_e32 v103, v112
	v_not_b32_e32 v112, v113
	v_dual_ashrrev_i32 v101, 31, v101 :: v_dual_bitop2_b32 v96, s14, v96 bitop3:0x14
	v_dual_ashrrev_i32 v100, 31, v100 :: v_dual_bitop2_b32 v99, s15, v99 bitop3:0x14
	v_cmp_gt_i32_e64 s19, 0, v113
	s_delay_alu instid0(VALU_DEP_4) | instskip(SKIP_1) | instid1(VALU_DEP_4)
	v_dual_ashrrev_i32 v103, 31, v103 :: v_dual_ashrrev_i32 v112, 31, v112
	v_not_b32_e32 v113, v97
	v_bitop3_b32 v96, v96, v99, exec_lo bitop3:0x80
	v_not_b32_e32 v99, v115
	v_xor_b32_e32 v100, s16, v100
	s_set_vgpr_msb 0                        ;  msbs: dst=0 src0=0 src1=0 src2=0
	v_lshl_add_u32 v98, v98, 2, v12
	v_xor_b32_e32 v101, s17, v101
	v_xor_b32_e32 v103, s18, v103
	;; [unrolled: 1-line block ×3, first 2 shown]
	v_cmp_gt_i32_e64 s14, 0, v115
	v_ashrrev_i32_e32 v99, 31, v99
	v_bitop3_b32 v96, v96, v101, v100 bitop3:0x80
	v_cmp_gt_i32_e64 s15, 0, v97
	s_delay_alu instid0(VALU_DEP_3) | instskip(NEXT) | instid1(VALU_DEP_3)
	v_dual_ashrrev_i32 v97, 31, v113 :: v_dual_bitop2_b32 v99, s14, v99 bitop3:0x14
	v_bitop3_b32 v100, v96, v112, v103 bitop3:0x80
	ds_load_b32 v96, v98 offset:32
	v_dual_add_nc_u32 v98, 32, v98 :: v_dual_bitop2_b32 v97, s15, v97 bitop3:0x14
	; wave barrier
	s_delay_alu instid0(VALU_DEP_1) | instskip(NEXT) | instid1(VALU_DEP_1)
	v_bitop3_b32 v99, v100, v97, v99 bitop3:0x80
	v_mbcnt_lo_u32_b32 v97, v99, 0
	v_cmp_ne_u32_e64 s15, 0, v99
	s_delay_alu instid0(VALU_DEP_2) | instskip(SKIP_1) | instid1(SALU_CYCLE_1)
	v_cmp_eq_u32_e64 s14, 0, v97
	s_and_b32 s15, s15, s14
	s_and_saveexec_b32 s14, s15
	s_cbranch_execz .LBB390_62
; %bb.61:                               ;   in Loop: Header=BB390_56 Depth=1
	s_wait_dscnt 0x0
	v_bcnt_u32_b32 v99, v99, v96
	ds_store_b32 v98, v99
.LBB390_62:                             ;   in Loop: Header=BB390_56 Depth=1
	s_or_b32 exec_lo, exec_lo, s14
	v_alignbit_b32 v99, v19, v18, 24
	; wave barrier
	s_delay_alu instid0(VALU_DEP_1) | instskip(NEXT) | instid1(VALU_DEP_1)
	v_and_b32_e32 v99, 0xff, v99
	v_lshrrev_b32_e32 v99, v10, v99
	s_delay_alu instid0(VALU_DEP_1) | instskip(NEXT) | instid1(VALU_DEP_1)
	v_and_b32_e32 v100, v99, v102
	v_lshlrev_b32_e32 v112, 30, v100
	v_bitop3_b32 v99, v99, 1, v102 bitop3:0x80
	s_delay_alu instid0(VALU_DEP_2) | instskip(NEXT) | instid1(VALU_DEP_2)
	v_cmp_gt_i32_e64 s15, 0, v112
	v_add_co_u32 v99, s14, v99, -1
	s_delay_alu instid0(VALU_DEP_1) | instskip(NEXT) | instid1(VALU_DEP_1)
	v_cndmask_b32_e64 v103, 0, 1, s14
	v_cmp_ne_u32_e64 s14, 0, v103
	v_not_b32_e32 v103, v112
	s_delay_alu instid0(VALU_DEP_1)
	v_dual_ashrrev_i32 v103, 31, v103 :: v_dual_lshlrev_b32 v113, 29, v100
	v_dual_lshlrev_b32 v115, 28, v100 :: v_dual_lshlrev_b32 v116, 27, v100
	v_lshlrev_b32_e32 v117, 26, v100
	s_set_vgpr_msb 16                       ;  msbs: dst=0 src0=0 src1=0 src2=1
	v_lshl_add_u32 v101, v100, 3, v27 /*v283*/
	v_cmp_gt_i32_e64 s16, 0, v113
	v_not_b32_e32 v112, v113
	v_not_b32_e32 v113, v115
	v_dual_lshlrev_b32 v118, 25, v100 :: v_dual_lshlrev_b32 v100, 24, v100
	v_cmp_gt_i32_e64 s17, 0, v115
	v_cmp_gt_i32_e64 s18, 0, v116
	v_not_b32_e32 v115, v116
	v_not_b32_e32 v116, v117
	v_dual_ashrrev_i32 v112, 31, v112 :: v_dual_bitop2_b32 v99, s14, v99 bitop3:0x14
	v_dual_ashrrev_i32 v113, 31, v113 :: v_dual_bitop2_b32 v103, s15, v103 bitop3:0x14
	v_cmp_gt_i32_e64 s19, 0, v117
	v_not_b32_e32 v117, v118
	v_cmp_gt_i32_e64 s21, 0, v100
	v_not_b32_e32 v100, v100
	v_dual_ashrrev_i32 v115, 31, v115 :: v_dual_ashrrev_i32 v116, 31, v116
	v_xor_b32_e32 v112, s16, v112
	s_delay_alu instid0(VALU_DEP_3)
	v_dual_ashrrev_i32 v100, 31, v100 :: v_dual_bitop2_b32 v113, s17, v113 bitop3:0x14
	v_bitop3_b32 v99, v99, v103, exec_lo bitop3:0x80
	v_cmp_gt_i32_e64 s20, 0, v118
	v_dual_ashrrev_i32 v103, 31, v117 :: v_dual_bitop2_b32 v116, s19, v116 bitop3:0x14
	s_set_vgpr_msb 0                        ;  msbs: dst=0 src0=0 src1=0 src2=0
	v_lshl_add_u32 v101, v101, 2, v12
	v_xor_b32_e32 v115, s18, v115
	v_bitop3_b32 v99, v99, v113, v112 bitop3:0x80
	v_xor_b32_e32 v103, s20, v103
	v_xor_b32_e32 v100, s21, v100
	s_delay_alu instid0(VALU_DEP_3) | instskip(SKIP_3) | instid1(VALU_DEP_1)
	v_bitop3_b32 v112, v99, v116, v115 bitop3:0x80
	ds_load_b32 v99, v101 offset:32
	v_add_nc_u32_e32 v101, 32, v101
	; wave barrier
	v_bitop3_b32 v103, v112, v100, v103 bitop3:0x80
	v_mbcnt_lo_u32_b32 v100, v103, 0
	v_cmp_ne_u32_e64 s15, 0, v103
	s_delay_alu instid0(VALU_DEP_2) | instskip(SKIP_1) | instid1(SALU_CYCLE_1)
	v_cmp_eq_u32_e64 s14, 0, v100
	s_and_b32 s15, s15, s14
	s_and_saveexec_b32 s14, s15
	s_cbranch_execz .LBB390_64
; %bb.63:                               ;   in Loop: Header=BB390_56 Depth=1
	s_wait_dscnt 0x0
	v_bcnt_u32_b32 v103, v103, v99
	ds_store_b32 v101, v103
.LBB390_64:                             ;   in Loop: Header=BB390_56 Depth=1
	s_or_b32 exec_lo, exec_lo, s14
	v_and_b32_e32 v103, 0xff, v19
	; wave barrier
	s_delay_alu instid0(VALU_DEP_1) | instskip(NEXT) | instid1(VALU_DEP_1)
	v_lshrrev_b32_e32 v103, v10, v103
	v_and_b32_e32 v112, v103, v102
	s_delay_alu instid0(VALU_DEP_1) | instskip(SKIP_1) | instid1(VALU_DEP_2)
	v_lshlrev_b32_e32 v116, 30, v112
	v_bitop3_b32 v103, v103, 1, v102 bitop3:0x80
	v_cmp_gt_i32_e64 s15, 0, v116
	s_delay_alu instid0(VALU_DEP_2) | instskip(NEXT) | instid1(VALU_DEP_1)
	v_add_co_u32 v103, s14, v103, -1
	v_cndmask_b32_e64 v115, 0, 1, s14
	s_delay_alu instid0(VALU_DEP_1) | instskip(SKIP_1) | instid1(VALU_DEP_1)
	v_cmp_ne_u32_e64 s14, 0, v115
	v_not_b32_e32 v115, v116
	v_dual_ashrrev_i32 v115, 31, v115 :: v_dual_lshlrev_b32 v117, 29, v112
	v_dual_lshlrev_b32 v118, 28, v112 :: v_dual_lshlrev_b32 v119, 27, v112
	v_lshlrev_b32_e32 v128, 26, v112
	s_set_vgpr_msb 16                       ;  msbs: dst=0 src0=0 src1=0 src2=1
	v_lshl_add_u32 v113, v112, 3, v27 /*v283*/
	v_cmp_gt_i32_e64 s16, 0, v117
	v_not_b32_e32 v116, v117
	v_not_b32_e32 v117, v118
	v_dual_lshlrev_b32 v129, 25, v112 :: v_dual_lshlrev_b32 v112, 24, v112
	v_cmp_gt_i32_e64 s17, 0, v118
	v_cmp_gt_i32_e64 s18, 0, v119
	v_not_b32_e32 v118, v119
	v_not_b32_e32 v119, v128
	v_dual_ashrrev_i32 v116, 31, v116 :: v_dual_bitop2_b32 v103, s14, v103 bitop3:0x14
	v_dual_ashrrev_i32 v117, 31, v117 :: v_dual_bitop2_b32 v115, s15, v115 bitop3:0x14
	v_cmp_gt_i32_e64 s19, 0, v128
	s_delay_alu instid0(VALU_DEP_4) | instskip(SKIP_1) | instid1(VALU_DEP_4)
	v_dual_ashrrev_i32 v118, 31, v118 :: v_dual_ashrrev_i32 v119, 31, v119
	v_not_b32_e32 v128, v112
	v_xor_b32_e32 v117, s17, v117
	v_bitop3_b32 v103, v103, v115, exec_lo bitop3:0x80
	v_not_b32_e32 v115, v129
	v_xor_b32_e32 v116, s16, v116
	v_xor_b32_e32 v119, s19, v119
	v_cmp_gt_i32_e64 s14, 0, v129
	v_cmp_gt_i32_e64 s15, 0, v112
	v_dual_ashrrev_i32 v115, 31, v115 :: v_dual_ashrrev_i32 v112, 31, v128
	s_set_vgpr_msb 0                        ;  msbs: dst=0 src0=0 src1=0 src2=0
	v_bitop3_b32 v103, v103, v117, v116 bitop3:0x80
	v_lshl_add_u32 v113, v113, 2, v12
	v_xor_b32_e32 v118, s18, v118
	v_xor_b32_e32 v115, s14, v115
	;; [unrolled: 1-line block ×3, first 2 shown]
	s_delay_alu instid0(VALU_DEP_3) | instskip(SKIP_3) | instid1(VALU_DEP_1)
	v_bitop3_b32 v116, v103, v119, v118 bitop3:0x80
	ds_load_b32 v103, v113 offset:32
	v_add_nc_u32_e32 v113, 32, v113
	; wave barrier
	v_bitop3_b32 v115, v116, v112, v115 bitop3:0x80
	v_mbcnt_lo_u32_b32 v112, v115, 0
	v_cmp_ne_u32_e64 s15, 0, v115
	s_delay_alu instid0(VALU_DEP_2) | instskip(SKIP_1) | instid1(SALU_CYCLE_1)
	v_cmp_eq_u32_e64 s14, 0, v112
	s_and_b32 s15, s15, s14
	s_and_saveexec_b32 s14, s15
	s_cbranch_execz .LBB390_66
; %bb.65:                               ;   in Loop: Header=BB390_56 Depth=1
	s_wait_dscnt 0x0
	v_bcnt_u32_b32 v115, v115, v103
	ds_store_b32 v113, v115
.LBB390_66:                             ;   in Loop: Header=BB390_56 Depth=1
	s_or_b32 exec_lo, exec_lo, s14
	v_bfe_u32 v115, v19, 8, 8
	; wave barrier
	s_delay_alu instid0(VALU_DEP_1) | instskip(NEXT) | instid1(VALU_DEP_1)
	v_lshrrev_b32_e32 v115, v10, v115
	v_and_b32_e32 v116, v115, v102
	s_delay_alu instid0(VALU_DEP_1) | instskip(SKIP_2) | instid1(VALU_DEP_3)
	v_lshlrev_b32_e32 v119, 30, v116
	v_bitop3_b32 v115, v115, 1, v102 bitop3:0x80
	v_lshlrev_b32_e32 v128, 29, v116
	v_cmp_gt_i32_e64 s15, 0, v119
	s_delay_alu instid0(VALU_DEP_3) | instskip(NEXT) | instid1(VALU_DEP_1)
	v_add_co_u32 v115, s14, v115, -1
	v_cndmask_b32_e64 v118, 0, 1, s14
	s_delay_alu instid0(VALU_DEP_1) | instskip(SKIP_2) | instid1(VALU_DEP_2)
	v_cmp_ne_u32_e64 s14, 0, v118
	v_not_b32_e32 v118, v119
	v_not_b32_e32 v119, v128
	v_dual_ashrrev_i32 v118, 31, v118 :: v_dual_bitop2_b32 v115, s14, v115 bitop3:0x14
	s_delay_alu instid0(VALU_DEP_2)
	v_dual_ashrrev_i32 v119, 31, v119 :: v_dual_lshlrev_b32 v129, 28, v116
	v_dual_lshlrev_b32 v130, 27, v116 :: v_dual_lshlrev_b32 v131, 26, v116
	v_cmp_gt_i32_e64 s16, 0, v128
	s_set_vgpr_msb 16                       ;  msbs: dst=0 src0=0 src1=0 src2=1
	v_lshl_add_u32 v117, v116, 3, v27 /*v283*/
	v_not_b32_e32 v128, v129
	v_dual_lshlrev_b32 v132, 25, v116 :: v_dual_lshlrev_b32 v116, 24, v116
	v_cmp_gt_i32_e64 s17, 0, v129
	v_cmp_gt_i32_e64 s18, 0, v130
	v_not_b32_e32 v129, v130
	v_not_b32_e32 v130, v131
	v_dual_ashrrev_i32 v128, 31, v128 :: v_dual_bitop2_b32 v118, s15, v118 bitop3:0x14
	v_cmp_gt_i32_e64 s19, 0, v131
	s_delay_alu instid0(VALU_DEP_3) | instskip(SKIP_1) | instid1(VALU_DEP_4)
	v_dual_ashrrev_i32 v129, 31, v129 :: v_dual_ashrrev_i32 v130, 31, v130
	v_not_b32_e32 v131, v116
	v_xor_b32_e32 v128, s17, v128
	v_bitop3_b32 v115, v115, v118, exec_lo bitop3:0x80
	v_not_b32_e32 v118, v132
	v_xor_b32_e32 v119, s16, v119
	v_xor_b32_e32 v129, s18, v129
	v_cmp_gt_i32_e64 s14, 0, v132
	v_cmp_gt_i32_e64 s15, 0, v116
	v_dual_ashrrev_i32 v118, 31, v118 :: v_dual_ashrrev_i32 v116, 31, v131
	s_set_vgpr_msb 0                        ;  msbs: dst=0 src0=0 src1=0 src2=0
	v_bitop3_b32 v115, v115, v128, v119 bitop3:0x80
	v_lshl_add_u32 v117, v117, 2, v12
	v_xor_b32_e32 v130, s19, v130
	v_xor_b32_e32 v118, s14, v118
	;; [unrolled: 1-line block ×3, first 2 shown]
	s_delay_alu instid0(VALU_DEP_3) | instskip(SKIP_3) | instid1(VALU_DEP_1)
	v_bitop3_b32 v119, v115, v130, v129 bitop3:0x80
	ds_load_b32 v115, v117 offset:32
	v_add_nc_u32_e32 v117, 32, v117
	; wave barrier
	v_bitop3_b32 v118, v119, v116, v118 bitop3:0x80
	v_mbcnt_lo_u32_b32 v116, v118, 0
	v_cmp_ne_u32_e64 s15, 0, v118
	s_delay_alu instid0(VALU_DEP_2) | instskip(SKIP_1) | instid1(SALU_CYCLE_1)
	v_cmp_eq_u32_e64 s14, 0, v116
	s_and_b32 s15, s15, s14
	s_and_saveexec_b32 s14, s15
	s_cbranch_execz .LBB390_68
; %bb.67:                               ;   in Loop: Header=BB390_56 Depth=1
	s_wait_dscnt 0x0
	v_bcnt_u32_b32 v118, v118, v115
	ds_store_b32 v117, v118
.LBB390_68:                             ;   in Loop: Header=BB390_56 Depth=1
	s_or_b32 exec_lo, exec_lo, s14
	v_bfe_u32 v118, v19, 16, 8
	; wave barrier
	s_delay_alu instid0(VALU_DEP_1) | instskip(NEXT) | instid1(VALU_DEP_1)
	v_lshrrev_b32_e32 v118, v10, v118
	v_and_b32_e32 v119, v118, v102
	s_delay_alu instid0(VALU_DEP_1) | instskip(SKIP_1) | instid1(VALU_DEP_2)
	v_lshlrev_b32_e32 v130, 30, v119
	v_bitop3_b32 v118, v118, 1, v102 bitop3:0x80
	v_cmp_gt_i32_e64 s15, 0, v130
	s_delay_alu instid0(VALU_DEP_2) | instskip(NEXT) | instid1(VALU_DEP_1)
	v_add_co_u32 v118, s14, v118, -1
	v_cndmask_b32_e64 v129, 0, 1, s14
	s_delay_alu instid0(VALU_DEP_1) | instskip(SKIP_1) | instid1(VALU_DEP_1)
	v_cmp_ne_u32_e64 s14, 0, v129
	v_not_b32_e32 v129, v130
	v_dual_ashrrev_i32 v129, 31, v129 :: v_dual_lshlrev_b32 v131, 29, v119
	v_dual_lshlrev_b32 v132, 28, v119 :: v_dual_lshlrev_b32 v133, 27, v119
	v_lshlrev_b32_e32 v134, 26, v119
	s_set_vgpr_msb 16                       ;  msbs: dst=0 src0=0 src1=0 src2=1
	v_lshl_add_u32 v128, v119, 3, v27 /*v283*/
	v_cmp_gt_i32_e64 s16, 0, v131
	v_not_b32_e32 v130, v131
	v_not_b32_e32 v131, v132
	v_dual_lshlrev_b32 v135, 25, v119 :: v_dual_lshlrev_b32 v119, 24, v119
	v_cmp_gt_i32_e64 s17, 0, v132
	v_cmp_gt_i32_e64 s18, 0, v133
	v_not_b32_e32 v132, v133
	v_not_b32_e32 v133, v134
	v_dual_ashrrev_i32 v131, 31, v131 :: v_dual_bitop2_b32 v118, s14, v118 bitop3:0x14
	v_dual_ashrrev_i32 v130, 31, v130 :: v_dual_bitop2_b32 v129, s15, v129 bitop3:0x14
	v_cmp_gt_i32_e64 s19, 0, v134
	s_delay_alu instid0(VALU_DEP_4)
	v_dual_ashrrev_i32 v132, 31, v132 :: v_dual_ashrrev_i32 v133, 31, v133
	v_not_b32_e32 v134, v119
	v_xor_b32_e32 v131, s17, v131
	v_bitop3_b32 v118, v118, v129, exec_lo bitop3:0x80
	v_not_b32_e32 v129, v135
	v_xor_b32_e32 v130, s16, v130
	v_xor_b32_e32 v132, s18, v132
	v_cmp_gt_i32_e64 s14, 0, v135
	v_cmp_gt_i32_e64 s15, 0, v119
	v_dual_ashrrev_i32 v129, 31, v129 :: v_dual_ashrrev_i32 v119, 31, v134
	s_set_vgpr_msb 0                        ;  msbs: dst=0 src0=0 src1=0 src2=0
	v_bitop3_b32 v118, v118, v131, v130 bitop3:0x80
	v_lshl_add_u32 v128, v128, 2, v12
	v_xor_b32_e32 v133, s19, v133
	v_xor_b32_e32 v129, s14, v129
	;; [unrolled: 1-line block ×3, first 2 shown]
	s_delay_alu instid0(VALU_DEP_3) | instskip(SKIP_3) | instid1(VALU_DEP_1)
	v_bitop3_b32 v130, v118, v133, v132 bitop3:0x80
	ds_load_b32 v118, v128 offset:32
	v_add_nc_u32_e32 v128, 32, v128
	; wave barrier
	v_bitop3_b32 v129, v130, v119, v129 bitop3:0x80
	v_mbcnt_lo_u32_b32 v119, v129, 0
	v_cmp_ne_u32_e64 s15, 0, v129
	s_delay_alu instid0(VALU_DEP_2) | instskip(SKIP_1) | instid1(SALU_CYCLE_1)
	v_cmp_eq_u32_e64 s14, 0, v119
	s_and_b32 s15, s15, s14
	s_and_saveexec_b32 s14, s15
	s_cbranch_execz .LBB390_70
; %bb.69:                               ;   in Loop: Header=BB390_56 Depth=1
	s_wait_dscnt 0x0
	v_bcnt_u32_b32 v129, v129, v118
	ds_store_b32 v128, v129
.LBB390_70:                             ;   in Loop: Header=BB390_56 Depth=1
	s_or_b32 exec_lo, exec_lo, s14
	s_set_vgpr_msb 64                       ;  msbs: dst=1 src0=0 src1=0 src2=0
	v_lshrrev_b32_e32 v51 /*v307*/, 24, v19
	; wave barrier
	s_set_vgpr_msb 4                        ;  msbs: dst=0 src0=0 src1=1 src2=0
	s_delay_alu instid0(VALU_DEP_1) | instskip(SKIP_1) | instid1(VALU_DEP_1)
	v_lshrrev_b32_e32 v129, v10, v51 /*v307*/
	s_set_vgpr_msb 0                        ;  msbs: dst=0 src0=0 src1=0 src2=0
	v_and_b32_e32 v130, v129, v102
	v_bitop3_b32 v129, v129, 1, v102 bitop3:0x80
	s_delay_alu instid0(VALU_DEP_2) | instskip(NEXT) | instid1(VALU_DEP_2)
	v_lshlrev_b32_e32 v133, 30, v130
	v_add_co_u32 v129, s14, v129, -1
	s_delay_alu instid0(VALU_DEP_1) | instskip(NEXT) | instid1(VALU_DEP_1)
	v_cndmask_b32_e64 v132, 0, 1, s14
	v_cmp_ne_u32_e64 s14, 0, v132
	s_delay_alu instid0(VALU_DEP_4) | instskip(NEXT) | instid1(VALU_DEP_1)
	v_not_b32_e32 v132, v133
	v_dual_ashrrev_i32 v132, 31, v132 :: v_dual_bitop2_b32 v129, s14, v129 bitop3:0x14
	v_dual_lshlrev_b32 v134, 29, v130 :: v_dual_lshlrev_b32 v135, 28, v130
	v_dual_lshlrev_b32 v144, 27, v130 :: v_dual_lshlrev_b32 v145, 26, v130
	v_lshlrev_b32_e32 v146, 25, v130
	v_cmp_gt_i32_e64 s15, 0, v133
	s_delay_alu instid0(VALU_DEP_4)
	v_cmp_gt_i32_e64 s16, 0, v134
	v_not_b32_e32 v133, v134
	v_not_b32_e32 v134, v135
	s_set_vgpr_msb 16                       ;  msbs: dst=0 src0=0 src1=0 src2=1
	v_lshl_add_u32 v131, v130, 3, v27 /*v283*/
	v_lshlrev_b32_e32 v130, 24, v130
	v_cmp_gt_i32_e64 s17, 0, v135
	v_cmp_gt_i32_e64 s18, 0, v144
	v_not_b32_e32 v135, v144
	v_not_b32_e32 v144, v145
	v_dual_ashrrev_i32 v133, 31, v133 :: v_dual_ashrrev_i32 v134, 31, v134
	s_delay_alu instid0(VALU_DEP_3) | instskip(SKIP_1) | instid1(VALU_DEP_3)
	v_dual_ashrrev_i32 v135, 31, v135 :: v_dual_bitop2_b32 v132, s15, v132 bitop3:0x14
	v_cmp_gt_i32_e64 s19, 0, v145
	v_dual_ashrrev_i32 v144, 31, v144 :: v_dual_bitop2_b32 v133, s16, v133 bitop3:0x14
	s_delay_alu instid0(VALU_DEP_3)
	v_bitop3_b32 v129, v129, v132, exec_lo bitop3:0x80
	v_not_b32_e32 v132, v146
	v_xor_b32_e32 v134, s17, v134
	v_not_b32_e32 v145, v130
	v_xor_b32_e32 v135, s18, v135
	v_cmp_gt_i32_e64 s14, 0, v146
	v_ashrrev_i32_e32 v132, 31, v132
	s_set_vgpr_msb 0                        ;  msbs: dst=0 src0=0 src1=0 src2=0
	v_bitop3_b32 v129, v129, v134, v133 bitop3:0x80
	v_cmp_gt_i32_e64 s15, 0, v130
	v_ashrrev_i32_e32 v130, 31, v145
	v_lshl_add_u32 v131, v131, 2, v12
	v_xor_b32_e32 v144, s19, v144
	v_xor_b32_e32 v132, s14, v132
	s_delay_alu instid0(VALU_DEP_4) | instskip(NEXT) | instid1(VALU_DEP_3)
	v_xor_b32_e32 v130, s15, v130
	v_bitop3_b32 v133, v129, v144, v135 bitop3:0x80
	ds_load_b32 v129, v131 offset:32
	v_add_nc_u32_e32 v131, 32, v131
	; wave barrier
	v_bitop3_b32 v132, v133, v130, v132 bitop3:0x80
	s_delay_alu instid0(VALU_DEP_1) | instskip(SKIP_1) | instid1(VALU_DEP_2)
	v_mbcnt_lo_u32_b32 v130, v132, 0
	v_cmp_ne_u32_e64 s15, 0, v132
	v_cmp_eq_u32_e64 s14, 0, v130
	s_and_b32 s15, s15, s14
	s_delay_alu instid0(SALU_CYCLE_1)
	s_and_saveexec_b32 s14, s15
	s_cbranch_execz .LBB390_72
; %bb.71:                               ;   in Loop: Header=BB390_56 Depth=1
	s_wait_dscnt 0x0
	v_bcnt_u32_b32 v132, v132, v129
	ds_store_b32 v131, v132
.LBB390_72:                             ;   in Loop: Header=BB390_56 Depth=1
	s_or_b32 exec_lo, exec_lo, s14
	v_and_b32_e32 v132, 0xff, v54
	; wave barrier
	s_delay_alu instid0(VALU_DEP_1) | instskip(NEXT) | instid1(VALU_DEP_1)
	v_lshrrev_b32_e32 v132, v10, v132
	v_and_b32_e32 v133, v132, v102
	s_delay_alu instid0(VALU_DEP_1) | instskip(SKIP_1) | instid1(VALU_DEP_2)
	v_lshlrev_b32_e32 v144, 30, v133
	v_bitop3_b32 v132, v132, 1, v102 bitop3:0x80
	v_cmp_gt_i32_e64 s15, 0, v144
	s_delay_alu instid0(VALU_DEP_2) | instskip(NEXT) | instid1(VALU_DEP_1)
	v_add_co_u32 v132, s14, v132, -1
	v_cndmask_b32_e64 v135, 0, 1, s14
	s_delay_alu instid0(VALU_DEP_1) | instskip(SKIP_1) | instid1(VALU_DEP_1)
	v_cmp_ne_u32_e64 s14, 0, v135
	v_not_b32_e32 v135, v144
	v_dual_ashrrev_i32 v135, 31, v135 :: v_dual_lshlrev_b32 v145, 29, v133
	v_dual_lshlrev_b32 v146, 28, v133 :: v_dual_lshlrev_b32 v147, 27, v133
	v_lshlrev_b32_e32 v148, 26, v133
	s_set_vgpr_msb 16                       ;  msbs: dst=0 src0=0 src1=0 src2=1
	v_lshl_add_u32 v134, v133, 3, v27 /*v283*/
	v_cmp_gt_i32_e64 s16, 0, v145
	v_not_b32_e32 v144, v145
	v_not_b32_e32 v145, v146
	v_dual_lshlrev_b32 v149, 25, v133 :: v_dual_lshlrev_b32 v133, 24, v133
	v_cmp_gt_i32_e64 s17, 0, v146
	v_cmp_gt_i32_e64 s18, 0, v147
	v_not_b32_e32 v146, v147
	v_not_b32_e32 v147, v148
	v_dual_ashrrev_i32 v145, 31, v145 :: v_dual_bitop2_b32 v132, s14, v132 bitop3:0x14
	v_dual_ashrrev_i32 v144, 31, v144 :: v_dual_bitop2_b32 v135, s15, v135 bitop3:0x14
	v_cmp_gt_i32_e64 s19, 0, v148
	s_delay_alu instid0(VALU_DEP_4)
	v_dual_ashrrev_i32 v146, 31, v146 :: v_dual_ashrrev_i32 v147, 31, v147
	v_not_b32_e32 v148, v133
	v_xor_b32_e32 v145, s17, v145
	v_bitop3_b32 v132, v132, v135, exec_lo bitop3:0x80
	v_not_b32_e32 v135, v149
	v_xor_b32_e32 v144, s16, v144
	v_xor_b32_e32 v146, s18, v146
	v_cmp_gt_i32_e64 s14, 0, v149
	v_cmp_gt_i32_e64 s15, 0, v133
	v_dual_ashrrev_i32 v135, 31, v135 :: v_dual_ashrrev_i32 v133, 31, v148
	s_set_vgpr_msb 0                        ;  msbs: dst=0 src0=0 src1=0 src2=0
	v_bitop3_b32 v132, v132, v145, v144 bitop3:0x80
	v_lshl_add_u32 v134, v134, 2, v12
	v_xor_b32_e32 v147, s19, v147
	v_xor_b32_e32 v135, s14, v135
	;; [unrolled: 1-line block ×3, first 2 shown]
	s_delay_alu instid0(VALU_DEP_3) | instskip(SKIP_3) | instid1(VALU_DEP_1)
	v_bitop3_b32 v144, v132, v147, v146 bitop3:0x80
	ds_load_b32 v132, v134 offset:32
	v_add_nc_u32_e32 v134, 32, v134
	; wave barrier
	v_bitop3_b32 v135, v144, v133, v135 bitop3:0x80
	v_mbcnt_lo_u32_b32 v133, v135, 0
	v_cmp_ne_u32_e64 s15, 0, v135
	s_delay_alu instid0(VALU_DEP_2) | instskip(SKIP_1) | instid1(SALU_CYCLE_1)
	v_cmp_eq_u32_e64 s14, 0, v133
	s_and_b32 s15, s15, s14
	s_and_saveexec_b32 s14, s15
	s_cbranch_execz .LBB390_74
; %bb.73:                               ;   in Loop: Header=BB390_56 Depth=1
	s_wait_dscnt 0x0
	v_bcnt_u32_b32 v135, v135, v132
	ds_store_b32 v134, v135
.LBB390_74:                             ;   in Loop: Header=BB390_56 Depth=1
	s_or_b32 exec_lo, exec_lo, s14
	v_bfe_u32 v135, v54, 8, 8
	; wave barrier
	s_delay_alu instid0(VALU_DEP_1) | instskip(NEXT) | instid1(VALU_DEP_1)
	v_lshrrev_b32_e32 v135, v10, v135
	v_and_b32_e32 v144, v135, v102
	s_delay_alu instid0(VALU_DEP_1) | instskip(SKIP_2) | instid1(VALU_DEP_3)
	v_lshlrev_b32_e32 v147, 30, v144
	v_bitop3_b32 v135, v135, 1, v102 bitop3:0x80
	v_lshlrev_b32_e32 v148, 29, v144
	v_cmp_gt_i32_e64 s15, 0, v147
	s_delay_alu instid0(VALU_DEP_3) | instskip(NEXT) | instid1(VALU_DEP_1)
	v_add_co_u32 v135, s14, v135, -1
	v_cndmask_b32_e64 v146, 0, 1, s14
	s_delay_alu instid0(VALU_DEP_1) | instskip(SKIP_2) | instid1(VALU_DEP_2)
	v_cmp_ne_u32_e64 s14, 0, v146
	v_not_b32_e32 v146, v147
	v_not_b32_e32 v147, v148
	v_dual_ashrrev_i32 v146, 31, v146 :: v_dual_bitop2_b32 v135, s14, v135 bitop3:0x14
	s_delay_alu instid0(VALU_DEP_2)
	v_dual_ashrrev_i32 v147, 31, v147 :: v_dual_lshlrev_b32 v149, 28, v144
	v_dual_lshlrev_b32 v150, 27, v144 :: v_dual_lshlrev_b32 v151, 26, v144
	v_cmp_gt_i32_e64 s16, 0, v148
	s_set_vgpr_msb 16                       ;  msbs: dst=0 src0=0 src1=0 src2=1
	v_lshl_add_u32 v145, v144, 3, v27 /*v283*/
	v_not_b32_e32 v148, v149
	v_dual_lshlrev_b32 v160, 25, v144 :: v_dual_lshlrev_b32 v144, 24, v144
	v_cmp_gt_i32_e64 s17, 0, v149
	v_cmp_gt_i32_e64 s18, 0, v150
	v_not_b32_e32 v149, v150
	v_not_b32_e32 v150, v151
	v_dual_ashrrev_i32 v148, 31, v148 :: v_dual_bitop2_b32 v146, s15, v146 bitop3:0x14
	v_cmp_gt_i32_e64 s19, 0, v151
	s_delay_alu instid0(VALU_DEP_3) | instskip(SKIP_1) | instid1(VALU_DEP_4)
	v_dual_ashrrev_i32 v149, 31, v149 :: v_dual_ashrrev_i32 v150, 31, v150
	v_not_b32_e32 v151, v144
	v_xor_b32_e32 v148, s17, v148
	v_bitop3_b32 v135, v135, v146, exec_lo bitop3:0x80
	v_not_b32_e32 v146, v160
	v_xor_b32_e32 v147, s16, v147
	v_xor_b32_e32 v149, s18, v149
	v_cmp_gt_i32_e64 s14, 0, v160
	v_cmp_gt_i32_e64 s15, 0, v144
	v_dual_ashrrev_i32 v146, 31, v146 :: v_dual_ashrrev_i32 v144, 31, v151
	s_set_vgpr_msb 0                        ;  msbs: dst=0 src0=0 src1=0 src2=0
	v_bitop3_b32 v135, v135, v148, v147 bitop3:0x80
	v_lshl_add_u32 v145, v145, 2, v12
	v_xor_b32_e32 v150, s19, v150
	v_xor_b32_e32 v146, s14, v146
	;; [unrolled: 1-line block ×3, first 2 shown]
	s_delay_alu instid0(VALU_DEP_3) | instskip(SKIP_3) | instid1(VALU_DEP_1)
	v_bitop3_b32 v147, v135, v150, v149 bitop3:0x80
	ds_load_b32 v135, v145 offset:32
	v_add_nc_u32_e32 v145, 32, v145
	; wave barrier
	v_bitop3_b32 v146, v147, v144, v146 bitop3:0x80
	v_mbcnt_lo_u32_b32 v144, v146, 0
	v_cmp_ne_u32_e64 s15, 0, v146
	s_delay_alu instid0(VALU_DEP_2) | instskip(SKIP_1) | instid1(SALU_CYCLE_1)
	v_cmp_eq_u32_e64 s14, 0, v144
	s_and_b32 s15, s15, s14
	s_and_saveexec_b32 s14, s15
	s_cbranch_execz .LBB390_76
; %bb.75:                               ;   in Loop: Header=BB390_56 Depth=1
	s_wait_dscnt 0x0
	v_bcnt_u32_b32 v146, v146, v135
	ds_store_b32 v145, v146
.LBB390_76:                             ;   in Loop: Header=BB390_56 Depth=1
	s_or_b32 exec_lo, exec_lo, s14
	v_bfe_u32 v146, v54, 16, 8
	; wave barrier
	s_delay_alu instid0(VALU_DEP_1) | instskip(NEXT) | instid1(VALU_DEP_1)
	v_lshrrev_b32_e32 v146, v10, v146
	v_and_b32_e32 v147, v146, v102
	s_delay_alu instid0(VALU_DEP_1) | instskip(SKIP_1) | instid1(VALU_DEP_2)
	v_lshlrev_b32_e32 v150, 30, v147
	v_bitop3_b32 v146, v146, 1, v102 bitop3:0x80
	v_cmp_gt_i32_e64 s15, 0, v150
	s_delay_alu instid0(VALU_DEP_2) | instskip(NEXT) | instid1(VALU_DEP_1)
	v_add_co_u32 v146, s14, v146, -1
	v_cndmask_b32_e64 v149, 0, 1, s14
	s_delay_alu instid0(VALU_DEP_1) | instskip(SKIP_1) | instid1(VALU_DEP_1)
	v_cmp_ne_u32_e64 s14, 0, v149
	v_not_b32_e32 v149, v150
	v_dual_ashrrev_i32 v149, 31, v149 :: v_dual_lshlrev_b32 v151, 29, v147
	v_dual_lshlrev_b32 v160, 28, v147 :: v_dual_lshlrev_b32 v161, 27, v147
	v_lshlrev_b32_e32 v162, 26, v147
	s_set_vgpr_msb 16                       ;  msbs: dst=0 src0=0 src1=0 src2=1
	v_lshl_add_u32 v148, v147, 3, v27 /*v283*/
	v_cmp_gt_i32_e64 s16, 0, v151
	v_not_b32_e32 v150, v151
	v_not_b32_e32 v151, v160
	v_dual_lshlrev_b32 v163, 25, v147 :: v_dual_lshlrev_b32 v147, 24, v147
	v_cmp_gt_i32_e64 s17, 0, v160
	v_cmp_gt_i32_e64 s18, 0, v161
	v_not_b32_e32 v160, v161
	v_not_b32_e32 v161, v162
	v_dual_ashrrev_i32 v151, 31, v151 :: v_dual_bitop2_b32 v146, s14, v146 bitop3:0x14
	v_dual_ashrrev_i32 v150, 31, v150 :: v_dual_bitop2_b32 v149, s15, v149 bitop3:0x14
	v_cmp_gt_i32_e64 s19, 0, v162
	s_delay_alu instid0(VALU_DEP_4)
	v_dual_ashrrev_i32 v160, 31, v160 :: v_dual_ashrrev_i32 v161, 31, v161
	v_not_b32_e32 v162, v147
	v_xor_b32_e32 v151, s17, v151
	v_bitop3_b32 v146, v146, v149, exec_lo bitop3:0x80
	v_not_b32_e32 v149, v163
	v_xor_b32_e32 v150, s16, v150
	v_xor_b32_e32 v160, s18, v160
	v_cmp_gt_i32_e64 s14, 0, v163
	v_cmp_gt_i32_e64 s15, 0, v147
	v_dual_ashrrev_i32 v149, 31, v149 :: v_dual_ashrrev_i32 v147, 31, v162
	s_set_vgpr_msb 0                        ;  msbs: dst=0 src0=0 src1=0 src2=0
	v_bitop3_b32 v146, v146, v151, v150 bitop3:0x80
	v_lshl_add_u32 v148, v148, 2, v12
	v_xor_b32_e32 v161, s19, v161
	v_xor_b32_e32 v149, s14, v149
	;; [unrolled: 1-line block ×3, first 2 shown]
	s_delay_alu instid0(VALU_DEP_3) | instskip(SKIP_3) | instid1(VALU_DEP_1)
	v_bitop3_b32 v150, v146, v161, v160 bitop3:0x80
	ds_load_b32 v146, v148 offset:32
	v_add_nc_u32_e32 v148, 32, v148
	; wave barrier
	v_bitop3_b32 v149, v150, v147, v149 bitop3:0x80
	v_mbcnt_lo_u32_b32 v147, v149, 0
	v_cmp_ne_u32_e64 s15, 0, v149
	s_delay_alu instid0(VALU_DEP_2) | instskip(SKIP_1) | instid1(SALU_CYCLE_1)
	v_cmp_eq_u32_e64 s14, 0, v147
	s_and_b32 s15, s15, s14
	s_and_saveexec_b32 s14, s15
	s_cbranch_execz .LBB390_78
; %bb.77:                               ;   in Loop: Header=BB390_56 Depth=1
	s_wait_dscnt 0x0
	v_bcnt_u32_b32 v149, v149, v146
	ds_store_b32 v148, v149
.LBB390_78:                             ;   in Loop: Header=BB390_56 Depth=1
	s_or_b32 exec_lo, exec_lo, s14
	v_alignbit_b32 v149, v55, v54, 24
	; wave barrier
	s_delay_alu instid0(VALU_DEP_1) | instskip(NEXT) | instid1(VALU_DEP_1)
	v_and_b32_e32 v149, 0xff, v149
	v_lshrrev_b32_e32 v149, v10, v149
	s_delay_alu instid0(VALU_DEP_1) | instskip(NEXT) | instid1(VALU_DEP_1)
	v_and_b32_e32 v150, v149, v102
	v_lshlrev_b32_e32 v161, 30, v150
	v_bitop3_b32 v149, v149, 1, v102 bitop3:0x80
	s_delay_alu instid0(VALU_DEP_2) | instskip(NEXT) | instid1(VALU_DEP_2)
	v_cmp_gt_i32_e64 s15, 0, v161
	v_add_co_u32 v149, s14, v149, -1
	s_delay_alu instid0(VALU_DEP_1) | instskip(NEXT) | instid1(VALU_DEP_1)
	v_cndmask_b32_e64 v160, 0, 1, s14
	v_cmp_ne_u32_e64 s14, 0, v160
	v_not_b32_e32 v160, v161
	s_delay_alu instid0(VALU_DEP_1)
	v_dual_ashrrev_i32 v160, 31, v160 :: v_dual_lshlrev_b32 v162, 29, v150
	v_dual_lshlrev_b32 v163, 28, v150 :: v_dual_lshlrev_b32 v164, 27, v150
	v_lshlrev_b32_e32 v165, 26, v150
	s_set_vgpr_msb 16                       ;  msbs: dst=0 src0=0 src1=0 src2=1
	v_lshl_add_u32 v151, v150, 3, v27 /*v283*/
	v_cmp_gt_i32_e64 s16, 0, v162
	v_not_b32_e32 v161, v162
	v_not_b32_e32 v162, v163
	v_dual_lshlrev_b32 v166, 25, v150 :: v_dual_lshlrev_b32 v150, 24, v150
	v_cmp_gt_i32_e64 s17, 0, v163
	v_cmp_gt_i32_e64 s18, 0, v164
	v_not_b32_e32 v163, v164
	v_not_b32_e32 v164, v165
	v_dual_ashrrev_i32 v162, 31, v162 :: v_dual_bitop2_b32 v149, s14, v149 bitop3:0x14
	v_dual_ashrrev_i32 v161, 31, v161 :: v_dual_bitop2_b32 v160, s15, v160 bitop3:0x14
	v_cmp_gt_i32_e64 s19, 0, v165
	v_not_b32_e32 v165, v166
	v_cmp_gt_i32_e64 s21, 0, v150
	v_not_b32_e32 v150, v150
	v_dual_ashrrev_i32 v163, 31, v163 :: v_dual_ashrrev_i32 v164, 31, v164
	v_xor_b32_e32 v161, s16, v161
	v_xor_b32_e32 v162, s17, v162
	v_bitop3_b32 v149, v149, v160, exec_lo bitop3:0x80
	v_cmp_gt_i32_e64 s20, 0, v166
	v_dual_ashrrev_i32 v160, 31, v165 :: v_dual_ashrrev_i32 v150, 31, v150
	v_xor_b32_e32 v163, s18, v163
	s_set_vgpr_msb 0                        ;  msbs: dst=0 src0=0 src1=0 src2=0
	v_bitop3_b32 v149, v149, v162, v161 bitop3:0x80
	v_lshl_add_u32 v151, v151, 2, v12
	v_xor_b32_e32 v164, s19, v164
	v_xor_b32_e32 v160, s20, v160
	s_delay_alu instid0(VALU_DEP_3) | instskip(NEXT) | instid1(VALU_DEP_3)
	v_dual_add_nc_u32 v162, 32, v151 :: v_dual_bitop2_b32 v150, s21, v150 bitop3:0x14
	v_bitop3_b32 v161, v149, v164, v163 bitop3:0x80
	ds_load_b32 v149, v151 offset:32
	; wave barrier
	v_bitop3_b32 v150, v161, v150, v160 bitop3:0x80
	s_delay_alu instid0(VALU_DEP_1) | instskip(SKIP_1) | instid1(VALU_DEP_2)
	v_mbcnt_lo_u32_b32 v194, v150, 0
	v_cmp_ne_u32_e64 s15, 0, v150
	v_cmp_eq_u32_e64 s14, 0, v194
	s_and_b32 s15, s15, s14
	s_delay_alu instid0(SALU_CYCLE_1)
	s_and_saveexec_b32 s14, s15
	s_cbranch_execz .LBB390_80
; %bb.79:                               ;   in Loop: Header=BB390_56 Depth=1
	s_wait_dscnt 0x0
	v_bcnt_u32_b32 v150, v150, v149
	ds_store_b32 v162, v150
.LBB390_80:                             ;   in Loop: Header=BB390_56 Depth=1
	s_or_b32 exec_lo, exec_lo, s14
	v_and_b32_e32 v150, 0xff, v55
	; wave barrier
	s_delay_alu instid0(VALU_DEP_1) | instskip(NEXT) | instid1(VALU_DEP_1)
	v_lshrrev_b32_e32 v150, v10, v150
	v_and_b32_e32 v151, v150, v102
	s_delay_alu instid0(VALU_DEP_1) | instskip(SKIP_1) | instid1(VALU_DEP_2)
	v_lshlrev_b32_e32 v163, 30, v151
	v_bitop3_b32 v150, v150, 1, v102 bitop3:0x80
	v_cmp_gt_i32_e64 s15, 0, v163
	s_delay_alu instid0(VALU_DEP_2) | instskip(NEXT) | instid1(VALU_DEP_1)
	v_add_co_u32 v150, s14, v150, -1
	v_cndmask_b32_e64 v161, 0, 1, s14
	s_delay_alu instid0(VALU_DEP_1) | instskip(SKIP_1) | instid1(VALU_DEP_1)
	v_cmp_ne_u32_e64 s14, 0, v161
	v_not_b32_e32 v161, v163
	v_dual_ashrrev_i32 v161, 31, v161 :: v_dual_lshlrev_b32 v164, 29, v151
	v_dual_lshlrev_b32 v165, 28, v151 :: v_dual_lshlrev_b32 v166, 27, v151
	v_lshlrev_b32_e32 v167, 26, v151
	s_set_vgpr_msb 16                       ;  msbs: dst=0 src0=0 src1=0 src2=1
	v_lshl_add_u32 v160, v151, 3, v27 /*v283*/
	v_cmp_gt_i32_e64 s16, 0, v164
	v_not_b32_e32 v163, v164
	v_not_b32_e32 v164, v165
	v_dual_lshlrev_b32 v176, 25, v151 :: v_dual_lshlrev_b32 v151, 24, v151
	v_cmp_gt_i32_e64 s17, 0, v165
	v_cmp_gt_i32_e64 s18, 0, v166
	v_not_b32_e32 v165, v166
	v_not_b32_e32 v166, v167
	v_dual_ashrrev_i32 v163, 31, v163 :: v_dual_bitop2_b32 v150, s14, v150 bitop3:0x14
	v_dual_ashrrev_i32 v164, 31, v164 :: v_dual_bitop2_b32 v161, s15, v161 bitop3:0x14
	v_cmp_gt_i32_e64 s19, 0, v167
	s_delay_alu instid0(VALU_DEP_4) | instskip(SKIP_1) | instid1(VALU_DEP_4)
	v_dual_ashrrev_i32 v165, 31, v165 :: v_dual_ashrrev_i32 v166, 31, v166
	v_not_b32_e32 v167, v151
	v_xor_b32_e32 v164, s17, v164
	v_bitop3_b32 v150, v150, v161, exec_lo bitop3:0x80
	v_not_b32_e32 v161, v176
	v_xor_b32_e32 v163, s16, v163
	v_xor_b32_e32 v166, s19, v166
	v_cmp_gt_i32_e64 s14, 0, v176
	v_cmp_gt_i32_e64 s15, 0, v151
	v_dual_ashrrev_i32 v161, 31, v161 :: v_dual_ashrrev_i32 v151, 31, v167
	s_set_vgpr_msb 0                        ;  msbs: dst=0 src0=0 src1=0 src2=0
	v_bitop3_b32 v150, v150, v164, v163 bitop3:0x80
	v_lshl_add_u32 v160, v160, 2, v12
	v_xor_b32_e32 v165, s18, v165
	v_xor_b32_e32 v161, s14, v161
	s_delay_alu instid0(VALU_DEP_3) | instskip(NEXT) | instid1(VALU_DEP_3)
	v_dual_add_nc_u32 v164, 32, v160 :: v_dual_bitop2_b32 v151, s15, v151 bitop3:0x14
	v_bitop3_b32 v150, v150, v166, v165 bitop3:0x80
	ds_load_b32 v210, v160 offset:32
	; wave barrier
	v_bitop3_b32 v150, v150, v151, v161 bitop3:0x80
	s_delay_alu instid0(VALU_DEP_1) | instskip(SKIP_1) | instid1(VALU_DEP_2)
	v_mbcnt_lo_u32_b32 v212, v150, 0
	v_cmp_ne_u32_e64 s15, 0, v150
	v_cmp_eq_u32_e64 s14, 0, v212
	s_and_b32 s15, s15, s14
	s_delay_alu instid0(SALU_CYCLE_1)
	s_and_saveexec_b32 s14, s15
	s_cbranch_execz .LBB390_82
; %bb.81:                               ;   in Loop: Header=BB390_56 Depth=1
	s_wait_dscnt 0x0
	v_bcnt_u32_b32 v150, v150, v210
	ds_store_b32 v164, v150
.LBB390_82:                             ;   in Loop: Header=BB390_56 Depth=1
	s_or_b32 exec_lo, exec_lo, s14
	v_bfe_u32 v150, v55, 8, 8
	; wave barrier
	s_delay_alu instid0(VALU_DEP_1) | instskip(NEXT) | instid1(VALU_DEP_1)
	v_lshrrev_b32_e32 v150, v10, v150
	v_and_b32_e32 v151, v150, v102
	s_delay_alu instid0(VALU_DEP_1) | instskip(SKIP_1) | instid1(VALU_DEP_2)
	v_lshlrev_b32_e32 v163, 30, v151
	v_bitop3_b32 v150, v150, 1, v102 bitop3:0x80
	v_cmp_gt_i32_e64 s15, 0, v163
	s_delay_alu instid0(VALU_DEP_2) | instskip(NEXT) | instid1(VALU_DEP_1)
	v_add_co_u32 v150, s14, v150, -1
	v_cndmask_b32_e64 v161, 0, 1, s14
	s_delay_alu instid0(VALU_DEP_1) | instskip(SKIP_1) | instid1(VALU_DEP_1)
	v_cmp_ne_u32_e64 s14, 0, v161
	v_not_b32_e32 v161, v163
	v_dual_ashrrev_i32 v161, 31, v161 :: v_dual_lshlrev_b32 v165, 29, v151
	v_dual_lshlrev_b32 v166, 28, v151 :: v_dual_lshlrev_b32 v167, 27, v151
	v_lshlrev_b32_e32 v176, 26, v151
	s_set_vgpr_msb 16                       ;  msbs: dst=0 src0=0 src1=0 src2=1
	v_lshl_add_u32 v160, v151, 3, v27 /*v283*/
	v_cmp_gt_i32_e64 s16, 0, v165
	v_not_b32_e32 v163, v165
	v_not_b32_e32 v165, v166
	v_dual_lshlrev_b32 v177, 25, v151 :: v_dual_lshlrev_b32 v151, 24, v151
	v_cmp_gt_i32_e64 s17, 0, v166
	v_cmp_gt_i32_e64 s18, 0, v167
	v_not_b32_e32 v166, v167
	v_not_b32_e32 v167, v176
	v_dual_ashrrev_i32 v163, 31, v163 :: v_dual_bitop2_b32 v150, s14, v150 bitop3:0x14
	s_delay_alu instid0(VALU_DEP_3) | instskip(NEXT) | instid1(VALU_DEP_3)
	v_dual_ashrrev_i32 v165, 31, v165 :: v_dual_ashrrev_i32 v166, 31, v166
	v_dual_ashrrev_i32 v167, 31, v167 :: v_dual_bitop2_b32 v161, s15, v161 bitop3:0x14
	v_cmp_gt_i32_e64 s19, 0, v176
	v_not_b32_e32 v176, v151
	s_delay_alu instid0(VALU_DEP_4) | instskip(NEXT) | instid1(VALU_DEP_4)
	v_xor_b32_e32 v165, s17, v165
	v_bitop3_b32 v150, v150, v161, exec_lo bitop3:0x80
	v_not_b32_e32 v161, v177
	v_xor_b32_e32 v163, s16, v163
	v_xor_b32_e32 v166, s18, v166
	v_cmp_gt_i32_e64 s14, 0, v177
	v_cmp_gt_i32_e64 s15, 0, v151
	v_dual_ashrrev_i32 v161, 31, v161 :: v_dual_ashrrev_i32 v151, 31, v176
	s_set_vgpr_msb 0                        ;  msbs: dst=0 src0=0 src1=0 src2=0
	v_bitop3_b32 v150, v150, v165, v163 bitop3:0x80
	v_lshl_add_u32 v160, v160, 2, v12
	v_xor_b32_e32 v167, s19, v167
	v_xor_b32_e32 v161, s14, v161
	v_xor_b32_e32 v151, s15, v151
	ds_load_b32 v214, v160 offset:32
	v_bitop3_b32 v150, v150, v167, v166 bitop3:0x80
	v_add_nc_u32_e32 v166, 32, v160
	; wave barrier
	s_delay_alu instid0(VALU_DEP_2) | instskip(NEXT) | instid1(VALU_DEP_1)
	v_bitop3_b32 v150, v150, v151, v161 bitop3:0x80
	v_mbcnt_lo_u32_b32 v224, v150, 0
	v_cmp_ne_u32_e64 s15, 0, v150
	s_delay_alu instid0(VALU_DEP_2) | instskip(SKIP_1) | instid1(SALU_CYCLE_1)
	v_cmp_eq_u32_e64 s14, 0, v224
	s_and_b32 s15, s15, s14
	s_and_saveexec_b32 s14, s15
	s_cbranch_execz .LBB390_84
; %bb.83:                               ;   in Loop: Header=BB390_56 Depth=1
	s_wait_dscnt 0x0
	v_bcnt_u32_b32 v150, v150, v214
	ds_store_b32 v166, v150
.LBB390_84:                             ;   in Loop: Header=BB390_56 Depth=1
	s_or_b32 exec_lo, exec_lo, s14
	v_bfe_u32 v150, v55, 16, 8
	; wave barrier
	s_delay_alu instid0(VALU_DEP_1) | instskip(NEXT) | instid1(VALU_DEP_1)
	v_lshrrev_b32_e32 v150, v10, v150
	v_and_b32_e32 v151, v150, v102
	s_delay_alu instid0(VALU_DEP_1) | instskip(SKIP_1) | instid1(VALU_DEP_2)
	v_lshlrev_b32_e32 v163, 30, v151
	v_bitop3_b32 v150, v150, 1, v102 bitop3:0x80
	v_cmp_gt_i32_e64 s15, 0, v163
	s_delay_alu instid0(VALU_DEP_2) | instskip(NEXT) | instid1(VALU_DEP_1)
	v_add_co_u32 v150, s14, v150, -1
	v_cndmask_b32_e64 v161, 0, 1, s14
	s_delay_alu instid0(VALU_DEP_1) | instskip(SKIP_1) | instid1(VALU_DEP_1)
	v_cmp_ne_u32_e64 s14, 0, v161
	v_not_b32_e32 v161, v163
	v_dual_ashrrev_i32 v161, 31, v161 :: v_dual_lshlrev_b32 v165, 29, v151
	v_dual_lshlrev_b32 v167, 28, v151 :: v_dual_lshlrev_b32 v176, 27, v151
	v_lshlrev_b32_e32 v177, 26, v151
	s_set_vgpr_msb 16                       ;  msbs: dst=0 src0=0 src1=0 src2=1
	v_lshl_add_u32 v160, v151, 3, v27 /*v283*/
	v_cmp_gt_i32_e64 s16, 0, v165
	v_not_b32_e32 v163, v165
	v_not_b32_e32 v165, v167
	v_dual_lshlrev_b32 v178, 25, v151 :: v_dual_lshlrev_b32 v151, 24, v151
	v_cmp_gt_i32_e64 s17, 0, v167
	v_cmp_gt_i32_e64 s18, 0, v176
	v_not_b32_e32 v167, v176
	v_not_b32_e32 v176, v177
	v_dual_ashrrev_i32 v163, 31, v163 :: v_dual_bitop2_b32 v150, s14, v150 bitop3:0x14
	s_delay_alu instid0(VALU_DEP_3) | instskip(NEXT) | instid1(VALU_DEP_3)
	v_dual_ashrrev_i32 v165, 31, v165 :: v_dual_ashrrev_i32 v167, 31, v167
	v_dual_ashrrev_i32 v176, 31, v176 :: v_dual_bitop2_b32 v161, s15, v161 bitop3:0x14
	v_cmp_gt_i32_e64 s19, 0, v177
	v_not_b32_e32 v177, v151
	s_set_vgpr_msb 0                        ;  msbs: dst=0 src0=0 src1=0 src2=0
	v_lshl_add_u32 v160, v160, 2, v12
	v_xor_b32_e32 v165, s17, v165
	v_bitop3_b32 v150, v150, v161, exec_lo bitop3:0x80
	v_not_b32_e32 v161, v178
	v_xor_b32_e32 v163, s16, v163
	v_xor_b32_e32 v167, s18, v167
	v_xor_b32_e32 v176, s19, v176
	v_cmp_gt_i32_e64 s14, 0, v178
	v_ashrrev_i32_e32 v161, 31, v161
	v_bitop3_b32 v150, v150, v165, v163 bitop3:0x80
	v_cmp_gt_i32_e64 s15, 0, v151
	v_ashrrev_i32_e32 v151, 31, v177
	ds_load_b32 v226, v160 offset:32
	v_xor_b32_e32 v161, s14, v161
	v_bitop3_b32 v150, v150, v176, v167 bitop3:0x80
	v_dual_add_nc_u32 v176, 32, v160 :: v_dual_bitop2_b32 v151, s15, v151 bitop3:0x14
	; wave barrier
	s_delay_alu instid0(VALU_DEP_1) | instskip(NEXT) | instid1(VALU_DEP_1)
	v_bitop3_b32 v150, v150, v151, v161 bitop3:0x80
	v_mbcnt_lo_u32_b32 v227, v150, 0
	v_cmp_ne_u32_e64 s15, 0, v150
	s_delay_alu instid0(VALU_DEP_2) | instskip(SKIP_1) | instid1(SALU_CYCLE_1)
	v_cmp_eq_u32_e64 s14, 0, v227
	s_and_b32 s15, s15, s14
	s_and_saveexec_b32 s14, s15
	s_cbranch_execz .LBB390_86
; %bb.85:                               ;   in Loop: Header=BB390_56 Depth=1
	s_wait_dscnt 0x0
	v_bcnt_u32_b32 v150, v150, v226
	ds_store_b32 v176, v150
.LBB390_86:                             ;   in Loop: Header=BB390_56 Depth=1
	s_or_b32 exec_lo, exec_lo, s14
	s_set_vgpr_msb 64                       ;  msbs: dst=1 src0=0 src1=0 src2=0
	v_lshrrev_b32_e32 v52 /*v308*/, 24, v55
	; wave barrier
	s_set_vgpr_msb 4                        ;  msbs: dst=0 src0=0 src1=1 src2=0
	s_delay_alu instid0(VALU_DEP_1) | instskip(SKIP_1) | instid1(VALU_DEP_1)
	v_lshrrev_b32_e32 v150, v10, v52 /*v308*/
	s_set_vgpr_msb 0                        ;  msbs: dst=0 src0=0 src1=0 src2=0
	v_and_b32_e32 v151, v150, v102
	v_bitop3_b32 v150, v150, 1, v102 bitop3:0x80
	s_delay_alu instid0(VALU_DEP_2) | instskip(NEXT) | instid1(VALU_DEP_2)
	v_lshlrev_b32_e32 v163, 30, v151
	v_add_co_u32 v150, s14, v150, -1
	s_delay_alu instid0(VALU_DEP_1) | instskip(NEXT) | instid1(VALU_DEP_1)
	v_cndmask_b32_e64 v161, 0, 1, s14
	v_cmp_ne_u32_e64 s14, 0, v161
	s_delay_alu instid0(VALU_DEP_4) | instskip(NEXT) | instid1(VALU_DEP_1)
	v_not_b32_e32 v161, v163
	v_dual_ashrrev_i32 v161, 31, v161 :: v_dual_bitop2_b32 v150, s14, v150 bitop3:0x14
	v_dual_lshlrev_b32 v165, 29, v151 :: v_dual_lshlrev_b32 v167, 28, v151
	v_dual_lshlrev_b32 v177, 27, v151 :: v_dual_lshlrev_b32 v178, 26, v151
	v_lshlrev_b32_e32 v179, 25, v151
	v_cmp_gt_i32_e64 s15, 0, v163
	s_delay_alu instid0(VALU_DEP_4)
	v_cmp_gt_i32_e64 s16, 0, v165
	v_not_b32_e32 v163, v165
	v_not_b32_e32 v165, v167
	s_set_vgpr_msb 16                       ;  msbs: dst=0 src0=0 src1=0 src2=1
	v_lshl_add_u32 v160, v151, 3, v27 /*v283*/
	v_lshlrev_b32_e32 v151, 24, v151
	v_cmp_gt_i32_e64 s17, 0, v167
	v_cmp_gt_i32_e64 s18, 0, v177
	v_not_b32_e32 v167, v177
	v_not_b32_e32 v177, v178
	v_dual_ashrrev_i32 v163, 31, v163 :: v_dual_ashrrev_i32 v165, 31, v165
	s_delay_alu instid0(VALU_DEP_3) | instskip(SKIP_1) | instid1(VALU_DEP_3)
	v_dual_ashrrev_i32 v167, 31, v167 :: v_dual_bitop2_b32 v161, s15, v161 bitop3:0x14
	v_cmp_gt_i32_e64 s19, 0, v178
	v_dual_ashrrev_i32 v177, 31, v177 :: v_dual_bitop2_b32 v163, s16, v163 bitop3:0x14
	s_delay_alu instid0(VALU_DEP_3)
	v_bitop3_b32 v150, v150, v161, exec_lo bitop3:0x80
	v_not_b32_e32 v161, v179
	v_not_b32_e32 v178, v151
	v_xor_b32_e32 v165, s17, v165
	v_xor_b32_e32 v167, s18, v167
	v_cmp_gt_i32_e64 s14, 0, v179
	v_ashrrev_i32_e32 v161, 31, v161
	v_cmp_gt_i32_e64 s15, 0, v151
	v_ashrrev_i32_e32 v151, 31, v178
	s_set_vgpr_msb 0                        ;  msbs: dst=0 src0=0 src1=0 src2=0
	v_bitop3_b32 v150, v150, v165, v163 bitop3:0x80
	v_lshl_add_u32 v160, v160, 2, v12
	v_xor_b32_e32 v177, s19, v177
	v_xor_b32_e32 v161, s14, v161
	s_delay_alu instid0(VALU_DEP_3) | instskip(NEXT) | instid1(VALU_DEP_3)
	v_dual_add_nc_u32 v178, 32, v160 :: v_dual_bitop2_b32 v151, s15, v151 bitop3:0x14
	v_bitop3_b32 v150, v150, v177, v167 bitop3:0x80
	ds_load_b32 v228, v160 offset:32
	; wave barrier
	v_bitop3_b32 v150, v150, v151, v161 bitop3:0x80
	s_delay_alu instid0(VALU_DEP_1) | instskip(SKIP_1) | instid1(VALU_DEP_2)
	v_mbcnt_lo_u32_b32 v229, v150, 0
	v_cmp_ne_u32_e64 s15, 0, v150
	v_cmp_eq_u32_e64 s14, 0, v229
	s_and_b32 s15, s15, s14
	s_delay_alu instid0(SALU_CYCLE_1)
	s_and_saveexec_b32 s14, s15
	s_cbranch_execz .LBB390_88
; %bb.87:                               ;   in Loop: Header=BB390_56 Depth=1
	s_wait_dscnt 0x0
	v_bcnt_u32_b32 v150, v150, v228
	ds_store_b32 v178, v150
.LBB390_88:                             ;   in Loop: Header=BB390_56 Depth=1
	s_or_b32 exec_lo, exec_lo, s14
	v_lshrrev_b32_e32 v114, v10, v114
	; wave barrier
	s_delay_alu instid0(VALU_DEP_1) | instskip(SKIP_1) | instid1(VALU_DEP_2)
	v_and_b32_e32 v150, v114, v102
	v_bitop3_b32 v102, v114, 1, v102 bitop3:0x80
	v_dual_lshlrev_b32 v160, 30, v150 :: v_dual_lshlrev_b32 v161, 29, v150
	s_delay_alu instid0(VALU_DEP_2) | instskip(NEXT) | instid1(VALU_DEP_1)
	v_add_co_u32 v102, s14, v102, -1
	v_cndmask_b32_e64 v151, 0, 1, s14
	s_delay_alu instid0(VALU_DEP_3) | instskip(NEXT) | instid1(VALU_DEP_4)
	v_cmp_gt_i32_e64 s15, 0, v160
	v_cmp_gt_i32_e64 s16, 0, v161
	s_delay_alu instid0(VALU_DEP_3) | instskip(SKIP_2) | instid1(VALU_DEP_1)
	v_cmp_ne_u32_e64 s14, 0, v151
	v_not_b32_e32 v151, v160
	v_not_b32_e32 v160, v161
	v_dual_ashrrev_i32 v151, 31, v151 :: v_dual_ashrrev_i32 v160, 31, v160
	v_dual_lshlrev_b32 v163, 28, v150 :: v_dual_lshlrev_b32 v165, 27, v150
	s_set_vgpr_msb 16                       ;  msbs: dst=0 src0=0 src1=0 src2=1
	v_lshl_add_u32 v114, v150, 3, v27 /*v283*/
	v_dual_lshlrev_b32 v167, 26, v150 :: v_dual_lshlrev_b32 v177, 25, v150
	s_delay_alu instid0(VALU_DEP_3)
	v_not_b32_e32 v161, v163
	v_lshlrev_b32_e32 v150, 24, v150
	v_cmp_gt_i32_e64 s17, 0, v163
	v_xor_b32_e32 v151, s15, v151
	v_not_b32_e32 v163, v165
	v_dual_ashrrev_i32 v161, 31, v161 :: v_dual_bitop2_b32 v102, s14, v102 bitop3:0x14
	v_not_b32_e32 v179, v167
	v_xor_b32_e32 v160, s16, v160
	v_cmp_gt_i32_e64 s14, 0, v165
	s_delay_alu instid0(VALU_DEP_4)
	v_bitop3_b32 v102, v102, v151, exec_lo bitop3:0x80
	v_dual_ashrrev_i32 v151, 31, v163 :: v_dual_bitop2_b32 v161, s17, v161 bitop3:0x14
	v_cmp_gt_i32_e64 s15, 0, v167
	v_ashrrev_i32_e32 v163, 31, v179
	s_set_vgpr_msb 0                        ;  msbs: dst=0 src0=0 src1=0 src2=0
	v_bitop3_b32 v102, v102, v161, v160 bitop3:0x80
	v_not_b32_e32 v160, v177
	v_not_b32_e32 v161, v150
	v_xor_b32_e32 v151, s14, v151
	v_xor_b32_e32 v163, s15, v163
	v_cmp_gt_i32_e64 s14, 0, v177
	v_ashrrev_i32_e32 v160, 31, v160
	v_cmp_gt_i32_e64 s15, 0, v150
	v_ashrrev_i32_e32 v150, 31, v161
	v_lshl_add_u32 v161, v114, 2, v12
	s_delay_alu instid0(VALU_DEP_1) | instskip(SKIP_4) | instid1(VALU_DEP_1)
	v_dual_add_nc_u32 v180, 32, v161 :: v_dual_bitop2_b32 v150, s15, v150 bitop3:0x14
	v_bitop3_b32 v114, v102, v163, v151 bitop3:0x80
	v_xor_b32_e32 v151, s14, v160
	ds_load_b32 v102, v161 offset:32
	; wave barrier
	v_bitop3_b32 v150, v114, v150, v151 bitop3:0x80
	v_mbcnt_lo_u32_b32 v114, v150, 0
	v_cmp_ne_u32_e64 s15, 0, v150
	s_delay_alu instid0(VALU_DEP_2) | instskip(SKIP_1) | instid1(SALU_CYCLE_1)
	v_cmp_eq_u32_e64 s14, 0, v114
	s_and_b32 s15, s15, s14
	s_and_saveexec_b32 s14, s15
	s_cbranch_execz .LBB390_90
; %bb.89:                               ;   in Loop: Header=BB390_56 Depth=1
	s_wait_dscnt 0x0
	v_bcnt_u32_b32 v150, v150, v102
	ds_store_b32 v180, v150
.LBB390_90:                             ;   in Loop: Header=BB390_56 Depth=1
	s_or_b32 exec_lo, exec_lo, s14
	; wave barrier
	s_wait_dscnt 0x0
	s_barrier_signal -1
	s_barrier_wait -1
	ds_load_b32 v151, v15
	ds_load_b32 v150, v39
	s_set_vgpr_msb 1                        ;  msbs: dst=0 src0=1 src1=0 src2=0
	ds_load_b32 v163, v21 /*v277*/
	ds_load_b32 v167, v22 /*v278*/
	;; [unrolled: 1-line block ×6, first 2 shown]
	s_wait_dscnt 0x6
	s_set_vgpr_msb 0                        ;  msbs: dst=0 src0=0 src1=0 src2=0
	v_add_nc_u32_e32 v161, v150, v151
	s_wait_dscnt 0x4
	s_delay_alu instid0(VALU_DEP_1) | instskip(SKIP_1) | instid1(VALU_DEP_1)
	v_add3_u32 v161, v161, v163, v167
	s_wait_dscnt 0x2
	v_add3_u32 v161, v161, v183, v192
	s_wait_dscnt 0x0
	s_delay_alu instid0(VALU_DEP_1) | instskip(NEXT) | instid1(VALU_DEP_1)
	v_add3_u32 v160, v161, v182, v160
	v_mov_b32_dpp v161, v160 row_shr:1 row_mask:0xf bank_mask:0xf
	s_delay_alu instid0(VALU_DEP_1) | instskip(NEXT) | instid1(VALU_DEP_1)
	v_cndmask_b32_e64 v161, v161, 0, vcc_lo
	v_add_nc_u32_e32 v160, v161, v160
	s_delay_alu instid0(VALU_DEP_1) | instskip(NEXT) | instid1(VALU_DEP_1)
	v_mov_b32_dpp v161, v160 row_shr:2 row_mask:0xf bank_mask:0xf
	v_cndmask_b32_e64 v161, 0, v161, s0
	s_delay_alu instid0(VALU_DEP_1) | instskip(NEXT) | instid1(VALU_DEP_1)
	v_add_nc_u32_e32 v160, v160, v161
	v_mov_b32_dpp v161, v160 row_shr:4 row_mask:0xf bank_mask:0xf
	s_delay_alu instid0(VALU_DEP_1) | instskip(NEXT) | instid1(VALU_DEP_1)
	v_cndmask_b32_e64 v161, 0, v161, s1
	v_add_nc_u32_e32 v160, v160, v161
	s_delay_alu instid0(VALU_DEP_1) | instskip(NEXT) | instid1(VALU_DEP_1)
	v_mov_b32_dpp v161, v160 row_shr:8 row_mask:0xf bank_mask:0xf
	v_cndmask_b32_e64 v161, 0, v161, s2
	s_delay_alu instid0(VALU_DEP_1) | instskip(SKIP_3) | instid1(VALU_DEP_1)
	v_add_nc_u32_e32 v160, v160, v161
	ds_swizzle_b32 v161, v160 offset:swizzle(BROADCAST,32,15)
	s_wait_dscnt 0x0
	v_cndmask_b32_e64 v161, v161, 0, s4
	v_add_nc_u32_e32 v160, v160, v161
	s_and_saveexec_b32 s14, s5
; %bb.91:                               ;   in Loop: Header=BB390_56 Depth=1
	ds_store_b32 v5, v160
; %bb.92:                               ;   in Loop: Header=BB390_56 Depth=1
	s_or_b32 exec_lo, exec_lo, s14
	s_wait_dscnt 0x0
	s_barrier_signal -1
	s_barrier_wait -1
	s_and_saveexec_b32 s14, s6
	s_cbranch_execz .LBB390_94
; %bb.93:                               ;   in Loop: Header=BB390_56 Depth=1
	ds_load_b32 v161, v17
	s_wait_dscnt 0x0
	v_mov_b32_dpp v165, v161 row_shr:1 row_mask:0xf bank_mask:0xf
	s_delay_alu instid0(VALU_DEP_1) | instskip(NEXT) | instid1(VALU_DEP_1)
	v_cndmask_b32_e64 v165, v165, 0, s11
	v_add_nc_u32_e32 v161, v165, v161
	s_delay_alu instid0(VALU_DEP_1) | instskip(NEXT) | instid1(VALU_DEP_1)
	v_mov_b32_dpp v165, v161 row_shr:2 row_mask:0xf bank_mask:0xf
	v_cndmask_b32_e64 v165, 0, v165, s12
	s_delay_alu instid0(VALU_DEP_1) | instskip(NEXT) | instid1(VALU_DEP_1)
	v_add_nc_u32_e32 v161, v161, v165
	v_mov_b32_dpp v165, v161 row_shr:4 row_mask:0xf bank_mask:0xf
	s_delay_alu instid0(VALU_DEP_1) | instskip(NEXT) | instid1(VALU_DEP_1)
	v_cndmask_b32_e64 v165, 0, v165, s13
	v_add_nc_u32_e32 v161, v161, v165
	ds_store_b32 v17, v161
.LBB390_94:                             ;   in Loop: Header=BB390_56 Depth=1
	s_or_b32 exec_lo, exec_lo, s14
	v_mov_b32_e32 v161, 0
	s_wait_dscnt 0x0
	s_barrier_signal -1
	s_barrier_wait -1
	s_and_saveexec_b32 s14, s7
; %bb.95:                               ;   in Loop: Header=BB390_56 Depth=1
	v_add_nc_u32_e32 v161, -4, v5
	ds_load_b32 v161, v161
; %bb.96:                               ;   in Loop: Header=BB390_56 Depth=1
	s_or_b32 exec_lo, exec_lo, s14
	s_wait_dscnt 0x0
	v_add_nc_u32_e32 v160, v161, v160
	v_dual_mov_b32 v177, v1 :: v_dual_mov_b32 v181, v1
	v_dual_mov_b32 v179, v1 :: v_dual_mov_b32 v193, v1
	s_set_vgpr_msb 1                        ;  msbs: dst=0 src0=1 src1=0 src2=0
	ds_bpermute_b32 v160, v28 /*v284*/, v160
	s_set_vgpr_msb 0                        ;  msbs: dst=0 src0=0 src1=0 src2=0
	v_dual_mov_b32 v199, v1 :: v_dual_mov_b32 v197, v1
	v_dual_mov_b32 v209, v1 :: v_dual_mov_b32 v211, v1
	v_mov_b32_e32 v195, v1
	s_set_vgpr_msb 64                       ;  msbs: dst=1 src0=0 src1=0 src2=0
	v_dual_mov_b32 v54 /*v310*/, v18 :: v_dual_lshrrev_b32 v55 /*v311*/, 8, v18
	v_dual_lshrrev_b32 v56 /*v312*/, 16, v18 :: v_dual_lshrrev_b32 v57 /*v313*/, 8, v19
	v_dual_lshrrev_b32 v58 /*v314*/, 16, v19 :: v_dual_lshrrev_b32 v53 /*v309*/, 16, v54
	s_mov_b32 s16, -1
	s_wait_dscnt 0x0
	s_set_vgpr_msb 0                        ;  msbs: dst=0 src0=0 src1=0 src2=0
	v_dual_mov_b32 v165, v1 :: v_dual_cndmask_b32 v160, v160, v161, s3
	s_delay_alu instid0(VALU_DEP_1) | instskip(SKIP_1) | instid1(VALU_DEP_2)
	v_cndmask_b32_e64 v196, v160, 0, s10
	v_lshrrev_b64 v[160:161], 24, v[18:19]
	v_dual_lshrrev_b32 v161, 8, v54 :: v_dual_add_nc_u32 v198, v196, v151
	s_delay_alu instid0(VALU_DEP_1)
	v_add_nc_u32_e32 v208, v198, v150
	v_lshrrev_b64 v[150:151], 24, v[54:55]
	v_dual_lshrrev_b32 v151, 8, v55 :: v_dual_add_nc_u32 v10, 8, v10
	ds_store_b32 v15, v196
	ds_store_b32 v39, v198
	s_set_vgpr_msb 1                        ;  msbs: dst=0 src0=1 src1=0 src2=0
	ds_store_b32 v21 /*v277*/, v208
	s_set_vgpr_msb 0                        ;  msbs: dst=0 src0=0 src1=0 src2=0
	v_dual_add_nc_u32 v213, v208, v163 :: v_dual_mov_b32 v163, v1
	v_cmp_lt_u32_e64 s14, v10, v11
	s_delay_alu instid0(VALU_DEP_2) | instskip(NEXT) | instid1(VALU_DEP_1)
	v_add_nc_u32_e32 v215, v213, v167
	v_dual_mov_b32 v167, v1 :: v_dual_add_nc_u32 v225, v215, v183
	v_mov_b32_e32 v183, v1
	s_delay_alu instid0(VALU_DEP_2) | instskip(NEXT) | instid1(VALU_DEP_1)
	v_add_nc_u32_e32 v192, v225, v192
	v_add_nc_u32_e32 v182, v192, v182
	s_set_vgpr_msb 1                        ;  msbs: dst=0 src0=1 src1=0 src2=0
	ds_store_b32 v22 /*v278*/, v213
	ds_store_b32 v23 /*v279*/, v215
	ds_store_b32 v24 /*v280*/, v225
	ds_store_b32 v25 /*v281*/, v192
	ds_store_b32 v26 /*v282*/, v182
	s_wait_dscnt 0x0
	s_barrier_signal -1
	s_barrier_wait -1
	s_set_vgpr_msb 0                        ;  msbs: dst=0 src0=0 src1=0 src2=0
	ds_load_b32 v84, v84
	ds_load_b32 v87, v87
	;; [unrolled: 1-line block ×17, first 2 shown]
	v_dual_mov_b32 v213, v1 :: v_dual_mov_b32 v215, v1
	s_wait_dscnt 0x10
	v_dual_mov_b32 v225, v1 :: v_dual_add_nc_u32 v0, v84, v0
	s_wait_dscnt 0xf
	v_add3_u32 v176, v86, v85, v87
	s_wait_dscnt 0xe
	v_add3_u32 v180, v97, v96, v98
	;; [unrolled: 2-line block ×16, first 2 shown]
	v_add_nc_u64_e32 v[226:227], v[12:13], v[0:1]
	v_add_nc_u64_e32 v[228:229], v[12:13], v[176:177]
	;; [unrolled: 1-line block ×7, first 2 shown]
	s_set_vgpr_msb 64                       ;  msbs: dst=1 src0=0 src1=0 src2=0
	v_add_nc_u64_e32 v[0:1] /*v[256:257]*/, v[12:13], v[198:199]
	v_add_nc_u64_e32 v[2:3] /*v[258:259]*/, v[12:13], v[166:167]
	;; [unrolled: 1-line block ×10, first 2 shown]
	s_set_vgpr_msb 0                        ;  msbs: dst=0 src0=0 src1=0 src2=0
	v_lshrrev_b32_e32 v165, 16, v55
                                        ; implicit-def: $vgpr163
                                        ; implicit-def: $vgpr179
                                        ; implicit-def: $vgpr177
                                        ; implicit-def: $vgpr167
                                        ; implicit-def: $vgpr84_vgpr85
                                        ; implicit-def: $vgpr86_vgpr87
                                        ; implicit-def: $vgpr96_vgpr97
                                        ; implicit-def: $vgpr98_vgpr99
                                        ; implicit-def: $vgpr100_vgpr101
                                        ; implicit-def: $vgpr102_vgpr103
                                        ; implicit-def: $vgpr112_vgpr113
                                        ; implicit-def: $vgpr114_vgpr115
                                        ; implicit-def: $vgpr116_vgpr117
                                        ; implicit-def: $vgpr130_vgpr131
                                        ; implicit-def: $vgpr132_vgpr133
                                        ; implicit-def: $vgpr134_vgpr135
                                        ; implicit-def: $vgpr118_vgpr119
                                        ; implicit-def: $vgpr128_vgpr129
                                        ; implicit-def: $vgpr144_vgpr145
                                        ; implicit-def: $vgpr146_vgpr147
                                        ; implicit-def: $vgpr148_vgpr149
	s_and_saveexec_b32 s15, s14
	s_cbranch_execz .LBB390_55
; %bb.97:                               ;   in Loop: Header=BB390_56 Depth=1
	v_dual_add_nc_u32 v84, 64, v4 :: v_dual_add_nc_u32 v85, 32, v4
	s_barrier_signal -1
	s_barrier_wait -1
	ds_store_b8 v226, v18
	s_set_vgpr_msb 4                        ;  msbs: dst=0 src0=0 src1=1 src2=0
	ds_store_b8 v228, v55 /*v311*/
	ds_store_b8 v230, v56 /*v312*/
	s_set_vgpr_msb 0                        ;  msbs: dst=0 src0=0 src1=0 src2=0
	ds_store_b8 v240, v160
	ds_store_b8 v242, v19
	s_set_vgpr_msb 4                        ;  msbs: dst=0 src0=0 src1=1 src2=0
	ds_store_b8 v244, v57 /*v313*/
	ds_store_b8 v246, v58 /*v314*/
	s_set_vgpr_msb 5                        ;  msbs: dst=0 src0=1 src1=1 src2=0
	ds_store_b8 v0 /*v256*/, v51 /*v307*/
	s_set_vgpr_msb 1                        ;  msbs: dst=0 src0=1 src1=0 src2=0
	ds_store_b8 v2 /*v258*/, v54
	ds_store_b8 v4 /*v260*/, v161
	s_set_vgpr_msb 5                        ;  msbs: dst=0 src0=1 src1=1 src2=0
	ds_store_b8 v6 /*v262*/, v53 /*v309*/
	s_set_vgpr_msb 1                        ;  msbs: dst=0 src0=1 src1=0 src2=0
	ds_store_b8 v8 /*v264*/, v150
	ds_store_b8 v10 /*v266*/, v55
	;; [unrolled: 1-line block ×4, first 2 shown]
	s_set_vgpr_msb 5                        ;  msbs: dst=0 src0=1 src1=1 src2=0
	ds_store_b8 v16 /*v272*/, v52 /*v308*/
	ds_store_b8 v18 /*v274*/, v50 /*v306*/
	s_set_vgpr_msb 1                        ;  msbs: dst=0 src0=1 src1=0 src2=0
	v_add_nc_u32_e32 v18, 0x60, v4
	s_wait_dscnt 0x0
	s_barrier_signal -1
	s_barrier_wait -1
	ds_load_u8 v163, v32 /*v288*/
	s_set_vgpr_msb 0                        ;  msbs: dst=0 src0=0 src1=0 src2=0
	ds_load_u8 v18, v18
	ds_load_u8 v144, v84
	v_add_nc_u32_e32 v84, 0xe0, v4
	v_add_nc_u32_e32 v86, 0xc0, v4
	;; [unrolled: 1-line block ×3, first 2 shown]
	ds_load_u8 v145, v85
	ds_load_u8 v146, v4
	;; [unrolled: 1-line block ×5, first 2 shown]
	v_add_nc_u32_e32 v84, 0x80, v4
	v_add_nc_u32_e32 v85, 0x160, v4
	;; [unrolled: 1-line block ×5, first 2 shown]
	ds_load_u8 v167, v84
	ds_load_u8 v177, v85
	;; [unrolled: 1-line block ×5, first 2 shown]
	s_set_vgpr_msb 1                        ;  msbs: dst=0 src0=1 src1=0 src2=0
	ds_load_u8 v193, v31 /*v287*/
	ds_load_u8 v195, v30 /*v286*/
	;; [unrolled: 1-line block ×3, first 2 shown]
	s_set_vgpr_msb 0                        ;  msbs: dst=0 src0=0 src1=0 src2=0
	v_mad_nc_u64_u32 v[84:85], v0, 7, v[226:227]
	v_mad_nc_u64_u32 v[86:87], v176, 7, v[228:229]
	;; [unrolled: 1-line block ×6, first 2 shown]
	v_add_nc_u32_e32 v85, 0x180, v4
	s_set_vgpr_msb 16                       ;  msbs: dst=0 src0=0 src1=0 src2=1
	v_mad_nc_u64_u32 v[112:113], v210, 7, v[10:11] /*v[266:267]*/
	v_mad_nc_u64_u32 v[114:115], v194, 7, v[12:13] /*v[268:269]*/
	v_mad_nc_u64_u32 v[116:117], v212, 7, v[14:15] /*v[270:271]*/
	v_mad_nc_u64_u32 v[118:119], v214, 7, v[16:17] /*v[272:273]*/
	ds_load_u8 v199, v85
	s_wait_dscnt 0x0
	s_barrier_signal -1
	s_barrier_wait -1
	ds_store_b64 v84, v[32:33]
	ds_store_b64 v86, v[52:53]
	;; [unrolled: 1-line block ×6, first 2 shown]
	s_set_vgpr_msb 0                        ;  msbs: dst=0 src0=0 src1=0 src2=0
	v_mad_nc_u64_u32 v[84:85], v192, 7, v[246:247]
	s_set_vgpr_msb 16                       ;  msbs: dst=0 src0=0 src1=0 src2=1
	v_mad_nc_u64_u32 v[86:87], v198, 7, v[0:1] /*v[256:257]*/
	v_mad_nc_u64_u32 v[96:97], v166, 7, v[2:3] /*v[258:259]*/
	;; [unrolled: 1-line block ×6, first 2 shown]
	ds_store_b64 v84, v[48:49]
	ds_store_b64 v86, v[36:37]
	;; [unrolled: 1-line block ×11, first 2 shown]
	s_wait_dscnt 0x0
	s_barrier_signal -1
	s_barrier_wait -1
	ds_load_b64 v[84:85], v16
	s_set_vgpr_msb 1                        ;  msbs: dst=0 src0=1 src1=0 src2=0
	ds_load_b64 v[86:87], v33 /*v289*/
	ds_load_b64 v[96:97], v34 /*v290*/
	;; [unrolled: 1-line block ×11, first 2 shown]
	s_set_vgpr_msb 0                        ;  msbs: dst=0 src0=0 src1=0 src2=0
	v_perm_b32 v209, v146, v145, 0xc0c0004
	s_set_vgpr_msb 1                        ;  msbs: dst=0 src0=1 src1=0 src2=0
	ds_load_b64 v[118:119], v44 /*v300*/
	s_set_vgpr_msb 0                        ;  msbs: dst=0 src0=0 src1=0 src2=0
	v_perm_b32 v18, v144, v18, 0xc0c0004
	v_perm_b32 v167, v167, v149, 0xc0c0004
	s_set_vgpr_msb 1                        ;  msbs: dst=0 src0=1 src1=0 src2=0
	ds_load_b64 v[128:129], v45 /*v301*/
	s_set_vgpr_msb 0                        ;  msbs: dst=0 src0=0 src1=0 src2=0
	v_perm_b32 v211, v148, v147, 0xc0c0004
	s_set_vgpr_msb 1                        ;  msbs: dst=0 src0=1 src1=0 src2=0
	ds_load_b64 v[144:145], v46 /*v302*/
	ds_load_b64 v[146:147], v47 /*v303*/
	;; [unrolled: 1-line block ×3, first 2 shown]
	s_set_vgpr_msb 0                        ;  msbs: dst=0 src0=0 src1=0 src2=0
	v_perm_b32 v181, v183, v181, 0xc0c0004
	v_perm_b32 v177, v179, v177, 0xc0c0004
	;; [unrolled: 1-line block ×4, first 2 shown]
	v_lshl_or_b32 v18, v18, 16, v209
	v_lshl_or_b32 v167, v211, 16, v167
	;; [unrolled: 1-line block ×3, first 2 shown]
	s_set_vgpr_msb 0x44                     ;  msbs: dst=1 src0=0 src1=1 src2=0
	v_add_nc_u32_e32 v49 /*v305*/, -8, v49 /*v305*/
	s_set_vgpr_msb 0                        ;  msbs: dst=0 src0=0 src1=0 src2=0
	v_lshl_or_b32 v179, v183, 16, v179
	s_xor_b32 s16, exec_lo, -1
	s_wait_dscnt 0x0
	s_barrier_signal -1
	s_barrier_wait -1
	s_branch .LBB390_55
.LBB390_98:
	s_or_b32 exec_lo, exec_lo, s26
	v_dual_add_nc_u32 v1, v12, v14 :: v_dual_mov_b32 v39, 0
	v_lshl_add_u32 v0, v0, 3, v12
	v_lshl_add_u32 v10, v176, 3, v12
	;; [unrolled: 1-line block ×3, first 2 shown]
	s_barrier_signal -1
	s_barrier_wait -1
	s_set_vgpr_msb 4                        ;  msbs: dst=0 src0=0 src1=1 src2=0
	ds_store_b8 v226, v54 /*v310*/
	ds_store_b8 v228, v55 /*v311*/
	;; [unrolled: 1-line block ×3, first 2 shown]
	s_set_vgpr_msb 0                        ;  msbs: dst=0 src0=0 src1=0 src2=0
	ds_store_b8 v240, v160
	ds_store_b8 v242, v19
	s_set_vgpr_msb 4                        ;  msbs: dst=0 src0=0 src1=1 src2=0
	ds_store_b8 v244, v57 /*v313*/
	ds_store_b8 v246, v58 /*v314*/
	s_set_vgpr_msb 5                        ;  msbs: dst=0 src0=1 src1=1 src2=0
	ds_store_b8 v0 /*v256*/, v51 /*v307*/
	s_set_vgpr_msb 1                        ;  msbs: dst=0 src0=1 src1=0 src2=0
	ds_store_b8 v2 /*v258*/, v54
	ds_store_b8 v4 /*v260*/, v161
	s_set_vgpr_msb 5                        ;  msbs: dst=0 src0=1 src1=1 src2=0
	ds_store_b8 v6 /*v262*/, v53 /*v309*/
	s_set_vgpr_msb 1                        ;  msbs: dst=0 src0=1 src1=0 src2=0
	ds_store_b8 v8 /*v264*/, v150
	ds_store_b8 v10 /*v266*/, v55
	;; [unrolled: 1-line block ×4, first 2 shown]
	s_set_vgpr_msb 5                        ;  msbs: dst=0 src0=1 src1=1 src2=0
	ds_store_b8 v16 /*v272*/, v52 /*v308*/
	ds_store_b8 v18 /*v274*/, v50 /*v306*/
	s_wait_dscnt 0x0
	s_barrier_signal -1
	s_barrier_wait -1
	s_set_vgpr_msb 0                        ;  msbs: dst=0 src0=0 src1=0 src2=0
	ds_load_u8 v112, v1
	ds_load_u8 v103, v1 offset:256
	ds_load_u8 v102, v1 offset:512
	;; [unrolled: 1-line block ×16, first 2 shown]
	s_wait_dscnt 0x0
	s_barrier_signal -1
	s_barrier_wait -1
	ds_store_b64 v0, v[32:33]
	ds_store_b64 v10, v[52:53]
	;; [unrolled: 1-line block ×3, first 2 shown]
	v_lshl_add_u32 v0, v162, 3, v12
	v_lshl_add_u32 v10, v164, 3, v12
	;; [unrolled: 1-line block ×5, first 2 shown]
	ds_store_b64 v0, v[24:25]
	ds_store_b64 v10, v[22:23]
	ds_store_b64 v11, v[26:27]
	ds_store_b64 v13, v[48:49]
	ds_store_b64 v15, v[36:37]
	v_lshl_add_u32 v0, v166, 3, v12
	v_lshl_add_u32 v10, v182, 3, v12
	;; [unrolled: 1-line block ×5, first 2 shown]
	ds_store_b64 v0, v[30:31]
	ds_store_b64 v10, v[28:29]
	;; [unrolled: 1-line block ×5, first 2 shown]
	v_lshl_add_u32 v0, v194, 3, v12
	v_mul_u32_u24_e32 v13, 7, v14
	v_lshl_add_u32 v10, v212, 3, v12
	v_lshl_add_u32 v11, v214, 3, v12
	;; [unrolled: 1-line block ×3, first 2 shown]
	ds_store_b64 v0, v[66:67]
	ds_store_b64 v10, v[70:71]
	;; [unrolled: 1-line block ×4, first 2 shown]
	v_add_nc_u32_e32 v0, v1, v13
	s_wait_dscnt 0x0
	s_barrier_signal -1
	s_barrier_wait -1
	ds_load_2addr_stride64_b64 v[48:51], v0 offset1:4
	ds_load_2addr_stride64_b64 v[34:37], v0 offset0:8 offset1:12
	ds_load_2addr_stride64_b64 v[30:33], v0 offset0:16 offset1:20
	;; [unrolled: 1-line block ×7, first 2 shown]
	ds_load_b64 v[0:1], v0 offset:32768
	v_add_nc_u64_e32 v[2:3], v[2:3], v[8:9]
	s_set_vgpr_msb 4                        ;  msbs: dst=0 src0=0 src1=1 src2=0
	v_cmp_lt_u32_e32 vcc_lo, v38, v20 /*v276*/
	s_wait_dscnt 0x0
	s_barrier_signal -1
	s_barrier_wait -1
	s_set_vgpr_msb 0                        ;  msbs: dst=0 src0=0 src1=0 src2=0
	v_add_nc_u64_e32 v[2:3], v[2:3], v[38:39]
	s_and_saveexec_b32 s0, vcc_lo
	s_cbranch_execz .LBB390_100
; %bb.99:
	v_xor_b32_e32 v52, 0x80, v112
	flat_store_b8 v[2:3], v52
.LBB390_100:
	s_wait_xcnt 0x0
	s_or_b32 exec_lo, exec_lo, s0
	v_add_nc_u32_e32 v52, 0x100, v38
	s_set_vgpr_msb 4                        ;  msbs: dst=0 src0=0 src1=1 src2=0
	s_delay_alu instid0(VALU_DEP_1)
	v_cmp_lt_u32_e64 s0, v52, v20 /*v276*/
	s_and_saveexec_b32 s1, s0
	s_set_vgpr_msb 0                        ;  msbs: dst=0 src0=0 src1=0 src2=0
	s_cbranch_execz .LBB390_102
; %bb.101:
	v_xor_b32_e32 v52, 0x80, v103
	flat_store_b8 v[2:3], v52 offset:256
.LBB390_102:
	s_wait_xcnt 0x0
	s_or_b32 exec_lo, exec_lo, s1
	v_add_nc_u32_e32 v52, 0x200, v38
	s_set_vgpr_msb 4                        ;  msbs: dst=0 src0=0 src1=1 src2=0
	s_delay_alu instid0(VALU_DEP_1)
	v_cmp_lt_u32_e64 s1, v52, v20 /*v276*/
	s_and_saveexec_b32 s2, s1
	s_set_vgpr_msb 0                        ;  msbs: dst=0 src0=0 src1=0 src2=0
	s_cbranch_execz .LBB390_104
; %bb.103:
	v_xor_b32_e32 v52, 0x80, v102
	flat_store_b8 v[2:3], v52 offset:512
.LBB390_104:
	s_wait_xcnt 0x0
	s_or_b32 exec_lo, exec_lo, s2
	v_add_nc_u32_e32 v52, 0x300, v38
	s_set_vgpr_msb 4                        ;  msbs: dst=0 src0=0 src1=1 src2=0
	s_delay_alu instid0(VALU_DEP_1)
	v_cmp_lt_u32_e64 s2, v52, v20 /*v276*/
	s_and_saveexec_b32 s3, s2
	s_set_vgpr_msb 0                        ;  msbs: dst=0 src0=0 src1=0 src2=0
	s_cbranch_execz .LBB390_106
; %bb.105:
	v_xor_b32_e32 v52, 0x80, v101
	flat_store_b8 v[2:3], v52 offset:768
.LBB390_106:
	s_wait_xcnt 0x0
	s_or_b32 exec_lo, exec_lo, s3
	v_add_nc_u32_e32 v52, 0x400, v38
	s_set_vgpr_msb 4                        ;  msbs: dst=0 src0=0 src1=1 src2=0
	s_delay_alu instid0(VALU_DEP_1)
	v_cmp_lt_u32_e64 s3, v52, v20 /*v276*/
	s_and_saveexec_b32 s4, s3
	s_set_vgpr_msb 0                        ;  msbs: dst=0 src0=0 src1=0 src2=0
	s_cbranch_execz .LBB390_108
; %bb.107:
	v_xor_b32_e32 v52, 0x80, v100
	flat_store_b8 v[2:3], v52 offset:1024
.LBB390_108:
	s_wait_xcnt 0x0
	s_or_b32 exec_lo, exec_lo, s4
	v_add_nc_u32_e32 v52, 0x500, v38
	s_set_vgpr_msb 4                        ;  msbs: dst=0 src0=0 src1=1 src2=0
	s_delay_alu instid0(VALU_DEP_1)
	v_cmp_lt_u32_e64 s4, v52, v20 /*v276*/
	s_and_saveexec_b32 s5, s4
	s_set_vgpr_msb 0                        ;  msbs: dst=0 src0=0 src1=0 src2=0
	s_cbranch_execz .LBB390_110
; %bb.109:
	v_xor_b32_e32 v52, 0x80, v99
	flat_store_b8 v[2:3], v52 offset:1280
.LBB390_110:
	s_wait_xcnt 0x0
	s_or_b32 exec_lo, exec_lo, s5
	v_add_nc_u32_e32 v52, 0x600, v38
	s_set_vgpr_msb 4                        ;  msbs: dst=0 src0=0 src1=1 src2=0
	s_delay_alu instid0(VALU_DEP_1)
	v_cmp_lt_u32_e64 s5, v52, v20 /*v276*/
	s_and_saveexec_b32 s6, s5
	s_set_vgpr_msb 0                        ;  msbs: dst=0 src0=0 src1=0 src2=0
	s_cbranch_execz .LBB390_112
; %bb.111:
	v_xor_b32_e32 v52, 0x80, v98
	flat_store_b8 v[2:3], v52 offset:1536
.LBB390_112:
	s_wait_xcnt 0x0
	s_or_b32 exec_lo, exec_lo, s6
	v_add_nc_u32_e32 v52, 0x700, v38
	s_set_vgpr_msb 4                        ;  msbs: dst=0 src0=0 src1=1 src2=0
	s_delay_alu instid0(VALU_DEP_1)
	v_cmp_lt_u32_e64 s6, v52, v20 /*v276*/
	s_and_saveexec_b32 s7, s6
	s_set_vgpr_msb 0                        ;  msbs: dst=0 src0=0 src1=0 src2=0
	s_cbranch_execz .LBB390_114
; %bb.113:
	v_xor_b32_e32 v52, 0x80, v97
	flat_store_b8 v[2:3], v52 offset:1792
.LBB390_114:
	s_wait_xcnt 0x0
	s_or_b32 exec_lo, exec_lo, s7
	v_add_nc_u32_e32 v52, 0x800, v38
	s_set_vgpr_msb 4                        ;  msbs: dst=0 src0=0 src1=1 src2=0
	s_delay_alu instid0(VALU_DEP_1)
	v_cmp_lt_u32_e64 s7, v52, v20 /*v276*/
	s_and_saveexec_b32 s10, s7
	s_set_vgpr_msb 0                        ;  msbs: dst=0 src0=0 src1=0 src2=0
	s_cbranch_execz .LBB390_116
; %bb.115:
	v_xor_b32_e32 v52, 0x80, v96
	flat_store_b8 v[2:3], v52 offset:2048
.LBB390_116:
	s_wait_xcnt 0x0
	s_or_b32 exec_lo, exec_lo, s10
	v_add_nc_u32_e32 v52, 0x900, v38
	s_set_vgpr_msb 4                        ;  msbs: dst=0 src0=0 src1=1 src2=0
	s_delay_alu instid0(VALU_DEP_1)
	v_cmp_lt_u32_e64 s10, v52, v20 /*v276*/
	s_and_saveexec_b32 s11, s10
	s_set_vgpr_msb 0                        ;  msbs: dst=0 src0=0 src1=0 src2=0
	s_cbranch_execz .LBB390_118
; %bb.117:
	v_xor_b32_e32 v52, 0x80, v87
	flat_store_b8 v[2:3], v52 offset:2304
.LBB390_118:
	s_wait_xcnt 0x0
	s_or_b32 exec_lo, exec_lo, s11
	v_add_nc_u32_e32 v52, 0xa00, v38
	s_set_vgpr_msb 4                        ;  msbs: dst=0 src0=0 src1=1 src2=0
	s_delay_alu instid0(VALU_DEP_1)
	v_cmp_lt_u32_e64 s11, v52, v20 /*v276*/
	s_and_saveexec_b32 s12, s11
	s_set_vgpr_msb 0                        ;  msbs: dst=0 src0=0 src1=0 src2=0
	s_cbranch_execz .LBB390_120
; %bb.119:
	v_xor_b32_e32 v52, 0x80, v86
	flat_store_b8 v[2:3], v52 offset:2560
.LBB390_120:
	s_wait_xcnt 0x0
	s_or_b32 exec_lo, exec_lo, s12
	v_add_nc_u32_e32 v52, 0xb00, v38
	s_set_vgpr_msb 4                        ;  msbs: dst=0 src0=0 src1=1 src2=0
	s_delay_alu instid0(VALU_DEP_1)
	v_cmp_lt_u32_e64 s12, v52, v20 /*v276*/
	s_and_saveexec_b32 s13, s12
	s_set_vgpr_msb 0                        ;  msbs: dst=0 src0=0 src1=0 src2=0
	s_cbranch_execz .LBB390_122
; %bb.121:
	v_xor_b32_e32 v52, 0x80, v85
	flat_store_b8 v[2:3], v52 offset:2816
.LBB390_122:
	s_wait_xcnt 0x0
	s_or_b32 exec_lo, exec_lo, s13
	v_add_nc_u32_e32 v52, 0xc00, v38
	s_set_vgpr_msb 4                        ;  msbs: dst=0 src0=0 src1=1 src2=0
	s_delay_alu instid0(VALU_DEP_1)
	v_cmp_lt_u32_e64 s13, v52, v20 /*v276*/
	s_and_saveexec_b32 s14, s13
	s_set_vgpr_msb 0                        ;  msbs: dst=0 src0=0 src1=0 src2=0
	s_cbranch_execz .LBB390_124
; %bb.123:
	v_xor_b32_e32 v52, 0x80, v84
	flat_store_b8 v[2:3], v52 offset:3072
.LBB390_124:
	s_wait_xcnt 0x0
	s_or_b32 exec_lo, exec_lo, s14
	v_add_nc_u32_e32 v52, 0xd00, v38
	s_set_vgpr_msb 4                        ;  msbs: dst=0 src0=0 src1=1 src2=0
	s_delay_alu instid0(VALU_DEP_1)
	v_cmp_lt_u32_e64 s14, v52, v20 /*v276*/
	s_and_saveexec_b32 s15, s14
	s_set_vgpr_msb 0                        ;  msbs: dst=0 src0=0 src1=0 src2=0
	s_cbranch_execz .LBB390_126
; %bb.125:
	v_xor_b32_e32 v52, 0x80, v55
	flat_store_b8 v[2:3], v52 offset:3328
.LBB390_126:
	s_wait_xcnt 0x0
	s_or_b32 exec_lo, exec_lo, s15
	v_add_nc_u32_e32 v52, 0xe00, v38
	s_set_vgpr_msb 4                        ;  msbs: dst=0 src0=0 src1=1 src2=0
	s_delay_alu instid0(VALU_DEP_1)
	v_cmp_lt_u32_e64 s15, v52, v20 /*v276*/
	s_and_saveexec_b32 s16, s15
	s_set_vgpr_msb 0                        ;  msbs: dst=0 src0=0 src1=0 src2=0
	s_cbranch_execz .LBB390_128
; %bb.127:
	v_xor_b32_e32 v52, 0x80, v54
	flat_store_b8 v[2:3], v52 offset:3584
.LBB390_128:
	s_wait_xcnt 0x0
	s_or_b32 exec_lo, exec_lo, s16
	v_add_nc_u32_e32 v52, 0xf00, v38
	s_set_vgpr_msb 4                        ;  msbs: dst=0 src0=0 src1=1 src2=0
	s_delay_alu instid0(VALU_DEP_1)
	v_cmp_lt_u32_e64 s16, v52, v20 /*v276*/
	s_and_saveexec_b32 s17, s16
	s_set_vgpr_msb 0                        ;  msbs: dst=0 src0=0 src1=0 src2=0
	s_cbranch_execz .LBB390_130
; %bb.129:
	v_xor_b32_e32 v5, 0x80, v5
	flat_store_b8 v[2:3], v5 offset:3840
.LBB390_130:
	s_wait_xcnt 0x0
	s_or_b32 exec_lo, exec_lo, s17
	v_add_nc_u32_e32 v5, 0x1000, v38
	s_set_vgpr_msb 4                        ;  msbs: dst=0 src0=0 src1=1 src2=0
	s_delay_alu instid0(VALU_DEP_1)
	v_cmp_lt_u32_e64 s17, v5, v20 /*v276*/
	s_and_saveexec_b32 s18, s17
	s_set_vgpr_msb 0                        ;  msbs: dst=0 src0=0 src1=0 src2=0
	s_cbranch_execz .LBB390_132
; %bb.131:
	v_xor_b32_e32 v4, 0x80, v4
	flat_store_b8 v[2:3], v4 offset:4096
.LBB390_132:
	s_wait_xcnt 0x0
	s_or_b32 exec_lo, exec_lo, s18
	v_lshl_add_u64 v[2:3], v[8:9], 3, v[6:7]
	s_delay_alu instid0(VALU_DEP_1)
	v_lshl_add_u64 v[2:3], v[38:39], 3, v[2:3]
	s_and_saveexec_b32 s18, vcc_lo
	s_cbranch_execnz .LBB390_220
; %bb.133:
	s_or_b32 exec_lo, exec_lo, s18
	s_and_saveexec_b32 s18, s0
	s_cbranch_execnz .LBB390_221
.LBB390_134:
	s_or_b32 exec_lo, exec_lo, s18
	s_and_saveexec_b32 s0, s1
	s_cbranch_execnz .LBB390_222
.LBB390_135:
	s_or_b32 exec_lo, exec_lo, s0
	s_and_saveexec_b32 s0, s2
	s_cbranch_execnz .LBB390_223
.LBB390_136:
	s_or_b32 exec_lo, exec_lo, s0
	s_and_saveexec_b32 s0, s3
	s_cbranch_execnz .LBB390_224
.LBB390_137:
	s_or_b32 exec_lo, exec_lo, s0
	s_and_saveexec_b32 s0, s4
	s_cbranch_execnz .LBB390_225
.LBB390_138:
	s_or_b32 exec_lo, exec_lo, s0
	s_and_saveexec_b32 s0, s5
	s_cbranch_execnz .LBB390_226
.LBB390_139:
	s_or_b32 exec_lo, exec_lo, s0
	s_and_saveexec_b32 s0, s6
	s_cbranch_execnz .LBB390_227
.LBB390_140:
	s_or_b32 exec_lo, exec_lo, s0
	s_and_saveexec_b32 s0, s7
	s_cbranch_execnz .LBB390_228
.LBB390_141:
	s_or_b32 exec_lo, exec_lo, s0
	s_and_saveexec_b32 s0, s10
	s_cbranch_execnz .LBB390_229
.LBB390_142:
	s_or_b32 exec_lo, exec_lo, s0
	s_and_saveexec_b32 s0, s11
	s_cbranch_execnz .LBB390_230
.LBB390_143:
	s_or_b32 exec_lo, exec_lo, s0
	s_and_saveexec_b32 s0, s12
	s_cbranch_execnz .LBB390_231
.LBB390_144:
	s_or_b32 exec_lo, exec_lo, s0
	s_and_saveexec_b32 s0, s13
	s_cbranch_execnz .LBB390_232
.LBB390_145:
	s_or_b32 exec_lo, exec_lo, s0
	s_and_saveexec_b32 s0, s14
	s_cbranch_execnz .LBB390_233
.LBB390_146:
	s_or_b32 exec_lo, exec_lo, s0
	s_and_saveexec_b32 s0, s15
	s_cbranch_execnz .LBB390_234
.LBB390_147:
	s_or_b32 exec_lo, exec_lo, s0
	s_and_saveexec_b32 s0, s16
	s_cbranch_execnz .LBB390_235
.LBB390_148:
	s_or_b32 exec_lo, exec_lo, s0
	s_and_saveexec_b32 s0, s17
	s_cbranch_execz .LBB390_150
.LBB390_149:
	flat_store_b64 v[2:3], v[0:1] offset:32768
.LBB390_150:
	s_wait_xcnt 0x0
	s_or_b32 exec_lo, exec_lo, s0
                                        ; implicit-def: $vgpr276
                                        ; implicit-def: $vgpr8
                                        ; implicit-def: $vgpr10
                                        ; implicit-def: $vgpr11
                                        ; implicit-def: $vgpr0_vgpr1
                                        ; implicit-def: $vgpr2_vgpr3
                                        ; implicit-def: $vgpr4_vgpr5
                                        ; implicit-def: $vgpr6_vgpr7
                                        ; implicit-def: $vgpr12_vgpr13
                                        ; implicit-def: $vgpr9
                                        ; implicit-def: $vgpr15
                                        ; implicit-def: $vgpr14
                                        ; implicit-def: $vgpr16
.LBB390_151:
	s_and_not1_saveexec_b32 s0, s24
	s_cbranch_execz .LBB390_382
; %bb.152:
	s_mov_b32 s0, exec_lo
	s_set_vgpr_msb 4                        ;  msbs: dst=0 src0=0 src1=1 src2=0
	v_cmpx_lt_u32_e32 0x400, v20 /*v276*/
	s_xor_b32 s24, exec_lo, s0
	s_set_vgpr_msb 0                        ;  msbs: dst=0 src0=0 src1=0 src2=0
	s_cbranch_execz .LBB390_262
; %bb.153:
	s_load_b64 s[0:1], s[8:9], 0x0
	s_bfe_u32 s3, ttmp6, 0x4000c
	s_bfe_u32 s5, ttmp6, 0x40010
	s_and_b32 s4, ttmp7, 0xffff
	s_add_co_i32 s3, s3, 1
	s_add_co_i32 s5, s5, 1
	s_and_b32 s2, ttmp6, 15
	s_bfe_u32 s6, ttmp6, 0x40004
	s_mul_i32 s3, ttmp9, s3
	s_mul_i32 s5, s4, s5
	s_add_co_i32 s2, s2, s3
	s_add_co_i32 s6, s6, s5
	s_cmp_eq_u32 s23, 0
	s_mov_b32 s3, 0
	s_cselect_b32 s2, ttmp9, s2
	s_cselect_b32 s4, s4, s6
	v_dual_mov_b32 v21, 0x7f :: v_dual_mov_b32 v22, 0x7f
	v_mov_b32_e32 v23, 0x7f
	v_mov_b32_e32 v25, 0x7f
	s_wait_kmcnt 0x0
	s_cmp_lt_u32 s2, s0
	v_mov_b32_e32 v24, 0x7f
	s_cselect_b32 s2, 12, 18
	s_cmp_lt_u32 s4, s1
	s_mov_b32 s1, s3
	s_cselect_b32 s0, 14, 20
	v_mov_b32_e32 v20, 0x7f
	s_add_nc_u64 s[0:1], s[8:9], s[0:1]
	s_load_u16 s4, s[0:1], 0x0
	s_wait_xcnt 0x0
	s_add_nc_u64 s[0:1], s[8:9], s[2:3]
	s_load_u16 s0, s[0:1], 0x0
	s_wait_kmcnt 0x0
	v_mad_u32_u24 v9, v15, s4, v9
	v_mov_b32_e32 v15, 0x7f
	s_delay_alu instid0(VALU_DEP_2) | instskip(SKIP_1) | instid1(VALU_DEP_1)
	v_mad_u32 v26, v9, s0, v14
	v_mov_b32_e32 v9, 0
	v_add_nc_u64_e32 v[18:19], v[0:1], v[8:9]
	s_delay_alu instid0(VALU_DEP_3) | instskip(NEXT) | instid1(VALU_DEP_1)
	v_dual_mov_b32 v17, v9 :: v_dual_lshlrev_b32 v0, 3, v26
	v_and_b32_e32 v0, 0xffffff00, v0
	s_delay_alu instid0(VALU_DEP_2) | instskip(SKIP_2) | instid1(VALU_DEP_4)
	v_add_nc_u64_e32 v[18:19], v[18:19], v[16:17]
	v_mov_b32_e32 v1, v9
	v_mov_b32_e32 v17, 0x7f
	v_or_b32_e32 v27, v0, v16
	s_delay_alu instid0(VALU_DEP_3) | instskip(SKIP_1) | instid1(VALU_DEP_2)
	v_add_nc_u64_e32 v[18:19], v[18:19], v[0:1]
	s_set_vgpr_msb 4                        ;  msbs: dst=0 src0=0 src1=1 src2=0
	v_cmp_lt_u32_e32 vcc_lo, v27, v20 /*v276*/
	s_and_saveexec_b32 s0, vcc_lo
	s_set_vgpr_msb 0                        ;  msbs: dst=0 src0=0 src1=0 src2=0
	s_cbranch_execz .LBB390_155
; %bb.154:
	flat_load_u8 v15, v[18:19]
	v_dual_mov_b32 v21, 0x7f :: v_dual_mov_b32 v20, 0x7f
	v_dual_mov_b32 v17, 0x7f :: v_dual_mov_b32 v22, 0x7f
	;; [unrolled: 1-line block ×3, first 2 shown]
	v_mov_b32_e32 v25, 0x7f
.LBB390_155:
	s_wait_xcnt 0x0
	s_or_b32 exec_lo, exec_lo, s0
	v_or_b32_e32 v28, 32, v27
	s_set_vgpr_msb 4                        ;  msbs: dst=0 src0=0 src1=1 src2=0
	s_delay_alu instid0(VALU_DEP_1)
	v_cmp_lt_u32_e64 s0, v28, v20 /*v276*/
	s_and_saveexec_b32 s1, s0
	s_set_vgpr_msb 0                        ;  msbs: dst=0 src0=0 src1=0 src2=0
	s_cbranch_execz .LBB390_157
; %bb.156:
	flat_load_u8 v20, v[18:19] offset:32
.LBB390_157:
	s_wait_xcnt 0x0
	s_or_b32 exec_lo, exec_lo, s1
	v_or_b32_e32 v28, 64, v27
	s_set_vgpr_msb 4                        ;  msbs: dst=0 src0=0 src1=1 src2=0
	s_delay_alu instid0(VALU_DEP_1)
	v_cmp_lt_u32_e64 s1, v28, v20 /*v276*/
	s_and_saveexec_b32 s2, s1
	s_set_vgpr_msb 0                        ;  msbs: dst=0 src0=0 src1=0 src2=0
	s_cbranch_execz .LBB390_159
; %bb.158:
	flat_load_u8 v17, v[18:19] offset:64
.LBB390_159:
	;; [unrolled: 12-line block ×7, first 2 shown]
	s_wait_xcnt 0x0
	s_or_b32 exec_lo, exec_lo, s7
	v_lshl_add_u64 v[4:5], v[8:9], 3, v[4:5]
	v_dual_mov_b32 v19, 0 :: v_dual_lshlrev_b32 v18, 3, v16
                                        ; implicit-def: $vgpr52_vgpr53
	s_delay_alu instid0(VALU_DEP_1) | instskip(NEXT) | instid1(VALU_DEP_1)
	v_add_nc_u64_e32 v[4:5], v[4:5], v[18:19]
	v_lshl_add_u64 v[0:1], v[0:1], 3, v[4:5]
	s_and_saveexec_b32 s7, vcc_lo
	s_cbranch_execnz .LBB390_295
; %bb.170:
	s_or_b32 exec_lo, exec_lo, s7
                                        ; implicit-def: $vgpr54_vgpr55
	s_and_saveexec_b32 s7, s0
	s_cbranch_execnz .LBB390_296
.LBB390_171:
	s_or_b32 exec_lo, exec_lo, s7
                                        ; implicit-def: $vgpr66_vgpr67
	s_and_saveexec_b32 s0, s1
	s_cbranch_execnz .LBB390_297
.LBB390_172:
	s_or_b32 exec_lo, exec_lo, s0
                                        ; implicit-def: $vgpr36_vgpr37
	s_and_saveexec_b32 s0, s2
	s_cbranch_execnz .LBB390_298
.LBB390_173:
	s_or_b32 exec_lo, exec_lo, s0
                                        ; implicit-def: $vgpr38_vgpr39
	s_and_saveexec_b32 s0, s3
	s_cbranch_execnz .LBB390_299
.LBB390_174:
	s_or_b32 exec_lo, exec_lo, s0
                                        ; implicit-def: $vgpr48_vgpr49
	s_and_saveexec_b32 s0, s4
	s_cbranch_execnz .LBB390_300
.LBB390_175:
	s_or_b32 exec_lo, exec_lo, s0
                                        ; implicit-def: $vgpr50_vgpr51
	s_and_saveexec_b32 s0, s5
	s_cbranch_execnz .LBB390_301
.LBB390_176:
	s_or_b32 exec_lo, exec_lo, s0
                                        ; implicit-def: $vgpr64_vgpr65
	s_and_saveexec_b32 s0, s6
	s_cbranch_execz .LBB390_178
.LBB390_177:
	flat_load_b64 v[64:65], v[0:1] offset:1792
.LBB390_178:
	s_wait_xcnt 0x0
	s_or_b32 exec_lo, exec_lo, s0
	s_wait_loadcnt_dscnt 0x0
	v_xor_b32_e32 v0, 0x80, v21
	v_xor_b32_e32 v1, 0x80, v24
	;; [unrolled: 1-line block ×5, first 2 shown]
	v_lshlrev_b16 v0, 8, v0
	v_lshlrev_b16 v1, 8, v1
	v_xor_b32_e32 v4, 0x80, v25
	v_xor_b32_e32 v5, 0x80, v23
	v_sub_co_u32 v25, s2, v16, 1
	s_delay_alu instid0(VALU_DEP_4)
	v_dual_lshrrev_b32 v0, 8, v0 :: v_dual_lshrrev_b32 v20, 8, v1
	v_lshl_add_u32 v1, v14, 5, v12
	v_dual_lshlrev_b32 v22, 3, v14 :: v_dual_bitop2_b32 v23, 15, v16 bitop3:0x40
	s_get_pc_i64 s[0:1]
	s_add_nc_u64 s[0:1], s[0:1], _ZN7rocprim17ROCPRIM_400000_NS16block_radix_sortIaLj256ELj8ElLj1ELj1ELj8ELNS0_26block_radix_rank_algorithmE2ELNS0_18block_padding_hintE2ELNS0_4arch9wavefront6targetE0EE19radix_bits_per_passE@rel64+4
	v_dual_lshrrev_b32 v146, 5, v26 :: v_dual_bitop2_b32 v24, 16, v16 bitop3:0x40
	v_dual_add_nc_u32 v15, 32, v1 :: v_dual_add_nc_u32 v27, 36, v1
	v_dual_add_nc_u32 v132, 40, v1 :: v_dual_add_nc_u32 v133, 44, v1
	;; [unrolled: 1-line block ×4, first 2 shown]
	v_and_b32_e32 v1, 0x3e0, v14
	s_load_b32 s25, s[0:1], 0x0
	v_cmp_eq_u32_e32 vcc_lo, 0, v23
	s_wait_xcnt 0x0
	v_cmp_lt_u32_e64 s0, 1, v23
	v_cmp_lt_u32_e64 s1, 3, v23
	v_min_u32_e32 v1, 0xe0, v1
	v_cmp_lt_u32_e64 s3, 7, v23
	v_lshrrev_b32_e32 v23, 3, v14
	v_cmp_gt_i32_e64 s5, 0, v25
	v_cmp_eq_u32_e64 s4, 0, v24
	v_or_b32_e32 v1, 31, v1
	v_lshlrev_b16 v18, 8, v18
	v_lshlrev_b16 v0, 8, v0
	v_cndmask_b32_e64 v24, v25, v16, s5
	v_lshlrev_b16 v19, 8, v19
	v_cmp_eq_u32_e64 s5, v14, v1
	v_and_b32_e32 v1, 0x7c, v23
	v_and_b32_e32 v23, 7, v16
	v_and_or_b32 v16, 0x1f00, v22, v16
	v_lshlrev_b32_e32 v147, 2, v24
	v_bitop3_b16 v0, v4, v0, 0xff bitop3:0xec
	v_dual_mov_b32 v1, 0 :: v_dual_add_nc_u32 v148, v12, v1
	s_delay_alu instid0(VALU_DEP_4) | instskip(SKIP_1) | instid1(VALU_DEP_4)
	v_add_nc_u32_e32 v150, v12, v16
	v_mul_u32_u24_e32 v16, 7, v16
	v_lshlrev_b32_e32 v0, 16, v0
	v_xor_b32_e32 v17, 0x80, v17
	v_cmp_gt_u32_e64 s6, 8, v14
	s_delay_alu instid0(VALU_DEP_4)
	v_dual_add_nc_u32 v161, 64, v150 :: v_dual_add_nc_u32 v164, v150, v16
	v_lshrrev_b32_e32 v16, 8, v18
	v_lshlrev_b16 v18, 8, v20
	v_perm_b32 v4, v17, v19, 0xc0c0104
	v_cmp_lt_u32_e64 s7, 31, v14
	v_cmp_eq_u32_e64 s10, 0, v14
	v_lshlrev_b16 v16, 8, v16
	v_bitop3_b16 v5, v5, v18, 0xff bitop3:0xec
	v_mov_b64_e32 v[18:19], 0
	v_lshl_add_u32 v149, v14, 2, v12
	v_cmp_eq_u32_e64 s11, 0, v23
	v_bitop3_b16 v16, v21, v16, 0xff bitop3:0xec
	v_and_b32_e32 v5, 0xffff, v5
	v_cmp_lt_u32_e64 s12, 1, v23
	v_cmp_lt_u32_e64 s13, 3, v23
	v_dual_add_nc_u32 v151, -4, v148 :: v_dual_add_nc_u32 v160, 32, v150
	v_and_b32_e32 v16, 0xffff, v16
	v_add_nc_u32_e32 v162, 0x60, v150
	v_add_nc_u32_e32 v163, 0x80, v150
	;; [unrolled: 1-line block ×12, first 2 shown]
	v_lshl_or_b32 v4, v4, 16, v16
	v_dual_sub_nc_u32 v183, v11, v10 :: v_dual_bitop2_b32 v69, v5, v0 bitop3:0x54
	s_mov_b32 s26, 0
	s_wait_storecnt 0x0
	s_barrier_signal -1
	s_barrier_wait -1
	s_branch .LBB390_180
.LBB390_179:                            ;   in Loop: Header=BB390_180 Depth=1
	s_or_b32 exec_lo, exec_lo, s15
	s_delay_alu instid0(SALU_CYCLE_1) | instskip(NEXT) | instid1(SALU_CYCLE_1)
	s_and_b32 s14, exec_lo, s16
	s_or_b32 s26, s14, s26
	s_delay_alu instid0(SALU_CYCLE_1)
	s_and_not1_b32 exec_lo, exec_lo, s26
	s_cbranch_execz .LBB390_236
.LBB390_180:                            ; =>This Inner Loop Header: Depth=1
	s_wait_kmcnt 0x0
	v_min_u32_e32 v0, s25, v183
	v_and_b32_e32 v16, 0xff, v4
	v_mov_b64_e32 v[20:21], v[54:55]
	v_mov_b64_e32 v[22:23], v[66:67]
	ds_store_b64 v15, v[18:19]
	ds_store_b64 v132, v[18:19]
	v_lshlrev_b32_e64 v5, v0, -1
	v_lshrrev_b32_e32 v0, v10, v16
	v_mov_b64_e32 v[16:17], v[52:53]
	ds_store_b64 v134, v[18:19]
	ds_store_b64 v144, v[18:19]
	s_wait_dscnt 0x0
	s_barrier_signal -1
	v_bitop3_b32 v24, v0, 1, v5 bitop3:0x40
	v_bitop3_b32 v0, v0, v5, v0 bitop3:0x30
	s_barrier_wait -1
	s_delay_alu instid0(VALU_DEP_2) | instskip(NEXT) | instid1(VALU_DEP_1)
	v_add_co_u32 v24, s14, v24, -1
	v_cndmask_b32_e64 v25, 0, 1, s14
	s_delay_alu instid0(VALU_DEP_3) | instskip(SKIP_1) | instid1(VALU_DEP_3)
	v_dual_lshlrev_b32 v28, 30, v0 :: v_dual_lshlrev_b32 v29, 29, v0
	v_dual_lshlrev_b32 v30, 28, v0 :: v_dual_lshlrev_b32 v31, 27, v0
	v_cmp_ne_u32_e64 s14, 0, v25
	s_delay_alu instid0(VALU_DEP_3)
	v_not_b32_e32 v25, v28
	v_cmp_gt_i32_e64 s15, 0, v28
	v_cmp_gt_i32_e64 s16, 0, v29
	v_not_b32_e32 v28, v29
	v_not_b32_e32 v29, v30
	v_dual_ashrrev_i32 v25, 31, v25 :: v_dual_lshlrev_b32 v32, 26, v0
	v_dual_lshlrev_b32 v33, 25, v0 :: v_dual_lshlrev_b32 v34, 24, v0
	s_delay_alu instid0(VALU_DEP_3) | instskip(SKIP_1) | instid1(VALU_DEP_4)
	v_ashrrev_i32_e32 v29, 31, v29
	v_cmp_gt_i32_e64 s17, 0, v30
	v_dual_ashrrev_i32 v28, 31, v28 :: v_dual_bitop2_b32 v25, s15, v25 bitop3:0x14
	v_not_b32_e32 v30, v31
	v_xor_b32_e32 v24, s14, v24
	v_not_b32_e32 v35, v32
	s_delay_alu instid0(VALU_DEP_4)
	v_xor_b32_e32 v28, s16, v28
	v_xor_b32_e32 v29, s17, v29
	v_cmp_gt_i32_e64 s14, 0, v31
	v_bitop3_b32 v24, v24, v25, exec_lo bitop3:0x80
	v_ashrrev_i32_e32 v25, 31, v30
	v_cmp_gt_i32_e64 s15, 0, v32
	v_dual_ashrrev_i32 v30, 31, v35 :: v_dual_lshlrev_b32 v0, 3, v0
	s_delay_alu instid0(VALU_DEP_4)
	v_bitop3_b32 v24, v24, v29, v28 bitop3:0x80
	v_not_b32_e32 v28, v33
	v_not_b32_e32 v29, v34
	v_xor_b32_e32 v25, s14, v25
	v_xor_b32_e32 v30, s15, v30
	v_cmp_gt_i32_e64 s14, 0, v33
	v_ashrrev_i32_e32 v28, 31, v28
	v_cmp_gt_i32_e64 s15, 0, v34
	v_ashrrev_i32_e32 v29, 31, v29
	v_mov_b64_e32 v[34:35], v[36:37]
	v_bitop3_b32 v32, v24, v30, v25 bitop3:0x80
	v_xor_b32_e32 v33, s14, v28
	v_add_lshl_u32 v0, v0, v146, 2
	v_xor_b32_e32 v36, s15, v29
	v_mov_b64_e32 v[24:25], v[38:39]
	v_mov_b64_e32 v[30:31], v[48:49]
	;; [unrolled: 1-line block ×3, first 2 shown]
	; wave barrier
	s_delay_alu instid0(VALU_DEP_4) | instskip(SKIP_2) | instid1(VALU_DEP_3)
	v_bitop3_b32 v38, v32, v36, v33 bitop3:0x80
	v_add_nc_u64_e32 v[36:37], v[12:13], v[0:1]
	v_mov_b64_e32 v[32:33], v[64:65]
	v_mbcnt_lo_u32_b32 v0, v38, 0
	v_cmp_ne_u32_e64 s15, 0, v38
	s_delay_alu instid0(VALU_DEP_4) | instskip(NEXT) | instid1(VALU_DEP_3)
	v_add_nc_u64_e32 v[36:37], 32, v[36:37]
	v_cmp_eq_u32_e64 s14, 0, v0
	s_and_b32 s15, s15, s14
	s_delay_alu instid0(SALU_CYCLE_1)
	s_and_saveexec_b32 s14, s15
; %bb.181:                              ;   in Loop: Header=BB390_180 Depth=1
	v_bcnt_u32_b32 v37, v38, 0
	ds_store_b32 v36, v37
; %bb.182:                              ;   in Loop: Header=BB390_180 Depth=1
	s_or_b32 exec_lo, exec_lo, s14
	v_bfe_u32 v37, v4, 8, 8
	v_not_b32_e32 v51, v5
	; wave barrier
	s_delay_alu instid0(VALU_DEP_2) | instskip(NEXT) | instid1(VALU_DEP_1)
	v_lshrrev_b32_e32 v5, v10, v37
	v_and_b32_e32 v37, v5, v51
	s_delay_alu instid0(VALU_DEP_1) | instskip(SKIP_2) | instid1(VALU_DEP_3)
	v_lshlrev_b32_e32 v48, 30, v37
	v_bitop3_b32 v5, v5, 1, v51 bitop3:0x80
	v_lshlrev_b32_e32 v49, 29, v37
	v_cmp_gt_i32_e64 s15, 0, v48
	s_delay_alu instid0(VALU_DEP_3) | instskip(NEXT) | instid1(VALU_DEP_1)
	v_add_co_u32 v5, s14, v5, -1
	v_cndmask_b32_e64 v39, 0, 1, s14
	s_delay_alu instid0(VALU_DEP_1) | instskip(SKIP_2) | instid1(VALU_DEP_2)
	v_cmp_ne_u32_e64 s14, 0, v39
	v_not_b32_e32 v39, v48
	v_not_b32_e32 v48, v49
	v_dual_ashrrev_i32 v39, 31, v39 :: v_dual_bitop2_b32 v5, s14, v5 bitop3:0x14
	s_delay_alu instid0(VALU_DEP_2) | instskip(SKIP_3) | instid1(VALU_DEP_4)
	v_dual_ashrrev_i32 v48, 31, v48 :: v_dual_lshlrev_b32 v50, 28, v37
	v_dual_lshlrev_b32 v52, 27, v37 :: v_dual_lshlrev_b32 v53, 26, v37
	v_cmp_gt_i32_e64 s16, 0, v49
	v_lshl_add_u32 v38, v37, 3, v146
	v_not_b32_e32 v49, v50
	v_dual_lshlrev_b32 v54, 25, v37 :: v_dual_lshlrev_b32 v37, 24, v37
	v_cmp_gt_i32_e64 s17, 0, v50
	v_cmp_gt_i32_e64 s18, 0, v52
	v_not_b32_e32 v50, v52
	v_dual_ashrrev_i32 v49, 31, v49 :: v_dual_bitop2_b32 v39, s15, v39 bitop3:0x14
	v_not_b32_e32 v52, v53
	v_cmp_gt_i32_e64 s19, 0, v53
	s_delay_alu instid0(VALU_DEP_4) | instskip(NEXT) | instid1(VALU_DEP_4)
	v_dual_ashrrev_i32 v50, 31, v50 :: v_dual_bitop2_b32 v48, s16, v48 bitop3:0x14
	v_xor_b32_e32 v49, s17, v49
	v_bitop3_b32 v5, v5, v39, exec_lo bitop3:0x80
	v_ashrrev_i32_e32 v39, 31, v52
	v_not_b32_e32 v52, v54
	v_not_b32_e32 v53, v37
	v_xor_b32_e32 v50, s18, v50
	v_bitop3_b32 v5, v5, v49, v48 bitop3:0x80
	v_xor_b32_e32 v39, s19, v39
	v_cmp_gt_i32_e64 s14, 0, v54
	v_ashrrev_i32_e32 v48, 31, v52
	v_cmp_gt_i32_e64 s15, 0, v37
	v_ashrrev_i32_e32 v37, 31, v53
	v_lshl_add_u32 v49, v38, 2, v12
	v_bitop3_b32 v5, v5, v39, v50 bitop3:0x80
	v_xor_b32_e32 v38, s14, v48
	s_delay_alu instid0(VALU_DEP_4) | instskip(SKIP_3) | instid1(VALU_DEP_2)
	v_xor_b32_e32 v39, s15, v37
	ds_load_b32 v37, v49 offset:32
	; wave barrier
	v_bitop3_b32 v48, v5, v39, v38 bitop3:0x80
	v_dual_mov_b32 v5, v69 :: v_dual_add_nc_u32 v39, 32, v49
	v_mbcnt_lo_u32_b32 v38, v48, 0
	v_cmp_ne_u32_e64 s15, 0, v48
	s_delay_alu instid0(VALU_DEP_2) | instskip(SKIP_1) | instid1(SALU_CYCLE_1)
	v_cmp_eq_u32_e64 s14, 0, v38
	s_and_b32 s15, s15, s14
	s_and_saveexec_b32 s14, s15
	s_cbranch_execz .LBB390_184
; %bb.183:                              ;   in Loop: Header=BB390_180 Depth=1
	s_wait_dscnt 0x0
	v_bcnt_u32_b32 v48, v48, v37
	ds_store_b32 v39, v48
.LBB390_184:                            ;   in Loop: Header=BB390_180 Depth=1
	s_or_b32 exec_lo, exec_lo, s14
	v_bfe_u32 v48, v4, 16, 8
	; wave barrier
	s_delay_alu instid0(VALU_DEP_1) | instskip(NEXT) | instid1(VALU_DEP_1)
	v_lshrrev_b32_e32 v48, v10, v48
	v_and_b32_e32 v49, v48, v51
	s_delay_alu instid0(VALU_DEP_1) | instskip(SKIP_1) | instid1(VALU_DEP_2)
	v_lshlrev_b32_e32 v53, 30, v49
	v_bitop3_b32 v48, v48, 1, v51 bitop3:0x80
	v_cmp_gt_i32_e64 s15, 0, v53
	s_delay_alu instid0(VALU_DEP_2) | instskip(NEXT) | instid1(VALU_DEP_1)
	v_add_co_u32 v48, s14, v48, -1
	v_cndmask_b32_e64 v52, 0, 1, s14
	s_delay_alu instid0(VALU_DEP_1) | instskip(SKIP_1) | instid1(VALU_DEP_1)
	v_cmp_ne_u32_e64 s14, 0, v52
	v_not_b32_e32 v52, v53
	v_dual_ashrrev_i32 v52, 31, v52 :: v_dual_lshlrev_b32 v54, 29, v49
	v_dual_lshlrev_b32 v55, 28, v49 :: v_dual_lshlrev_b32 v64, 27, v49
	v_lshlrev_b32_e32 v65, 26, v49
	v_lshl_add_u32 v50, v49, 3, v146
	s_delay_alu instid0(VALU_DEP_4)
	v_cmp_gt_i32_e64 s16, 0, v54
	v_not_b32_e32 v53, v54
	v_not_b32_e32 v54, v55
	v_dual_lshlrev_b32 v66, 25, v49 :: v_dual_lshlrev_b32 v49, 24, v49
	v_cmp_gt_i32_e64 s17, 0, v55
	v_cmp_gt_i32_e64 s18, 0, v64
	v_not_b32_e32 v55, v64
	v_not_b32_e32 v64, v65
	v_dual_ashrrev_i32 v53, 31, v53 :: v_dual_bitop2_b32 v48, s14, v48 bitop3:0x14
	v_dual_ashrrev_i32 v54, 31, v54 :: v_dual_bitop2_b32 v52, s15, v52 bitop3:0x14
	v_cmp_gt_i32_e64 s19, 0, v65
	s_delay_alu instid0(VALU_DEP_4) | instskip(SKIP_1) | instid1(VALU_DEP_4)
	v_dual_ashrrev_i32 v55, 31, v55 :: v_dual_ashrrev_i32 v64, 31, v64
	v_not_b32_e32 v65, v49
	v_xor_b32_e32 v54, s17, v54
	v_bitop3_b32 v48, v48, v52, exec_lo bitop3:0x80
	v_not_b32_e32 v52, v66
	v_xor_b32_e32 v53, s16, v53
	v_xor_b32_e32 v64, s19, v64
	v_cmp_gt_i32_e64 s14, 0, v66
	v_cmp_gt_i32_e64 s15, 0, v49
	v_dual_ashrrev_i32 v52, 31, v52 :: v_dual_ashrrev_i32 v49, 31, v65
	v_bitop3_b32 v48, v48, v54, v53 bitop3:0x80
	v_lshl_add_u32 v50, v50, 2, v12
	v_xor_b32_e32 v55, s18, v55
	s_delay_alu instid0(VALU_DEP_4) | instskip(SKIP_1) | instid1(VALU_DEP_3)
	v_xor_b32_e32 v52, s14, v52
	v_xor_b32_e32 v49, s15, v49
	v_bitop3_b32 v53, v48, v64, v55 bitop3:0x80
	ds_load_b32 v48, v50 offset:32
	v_add_nc_u32_e32 v50, 32, v50
	; wave barrier
	v_bitop3_b32 v52, v53, v49, v52 bitop3:0x80
	s_delay_alu instid0(VALU_DEP_1) | instskip(SKIP_1) | instid1(VALU_DEP_2)
	v_mbcnt_lo_u32_b32 v49, v52, 0
	v_cmp_ne_u32_e64 s15, 0, v52
	v_cmp_eq_u32_e64 s14, 0, v49
	s_and_b32 s15, s15, s14
	s_delay_alu instid0(SALU_CYCLE_1)
	s_and_saveexec_b32 s14, s15
	s_cbranch_execz .LBB390_186
; %bb.185:                              ;   in Loop: Header=BB390_180 Depth=1
	s_wait_dscnt 0x0
	v_bcnt_u32_b32 v52, v52, v48
	ds_store_b32 v50, v52
.LBB390_186:                            ;   in Loop: Header=BB390_180 Depth=1
	s_or_b32 exec_lo, exec_lo, s14
	v_alignbit_b32 v52, v5, v4, 24
	; wave barrier
	s_delay_alu instid0(VALU_DEP_1) | instskip(NEXT) | instid1(VALU_DEP_1)
	v_and_b32_e32 v52, 0xff, v52
	v_lshrrev_b32_e32 v52, v10, v52
	s_delay_alu instid0(VALU_DEP_1) | instskip(NEXT) | instid1(VALU_DEP_1)
	v_and_b32_e32 v53, v52, v51
	v_lshlrev_b32_e32 v64, 30, v53
	v_bitop3_b32 v52, v52, 1, v51 bitop3:0x80
	v_lshlrev_b32_e32 v65, 29, v53
	s_delay_alu instid0(VALU_DEP_3) | instskip(NEXT) | instid1(VALU_DEP_3)
	v_cmp_gt_i32_e64 s15, 0, v64
	v_add_co_u32 v52, s14, v52, -1
	s_delay_alu instid0(VALU_DEP_1) | instskip(NEXT) | instid1(VALU_DEP_1)
	v_cndmask_b32_e64 v55, 0, 1, s14
	v_cmp_ne_u32_e64 s14, 0, v55
	v_not_b32_e32 v55, v64
	v_not_b32_e32 v64, v65
	s_delay_alu instid0(VALU_DEP_2) | instskip(NEXT) | instid1(VALU_DEP_2)
	v_dual_ashrrev_i32 v55, 31, v55 :: v_dual_bitop2_b32 v52, s14, v52 bitop3:0x14
	v_dual_ashrrev_i32 v64, 31, v64 :: v_dual_lshlrev_b32 v66, 28, v53
	v_dual_lshlrev_b32 v67, 27, v53 :: v_dual_lshlrev_b32 v68, 26, v53
	v_cmp_gt_i32_e64 s16, 0, v65
	v_lshl_add_u32 v54, v53, 3, v146
	s_delay_alu instid0(VALU_DEP_4)
	v_not_b32_e32 v65, v66
	v_dual_lshlrev_b32 v69, 25, v53 :: v_dual_lshlrev_b32 v53, 24, v53
	v_cmp_gt_i32_e64 s17, 0, v66
	v_cmp_gt_i32_e64 s18, 0, v67
	v_not_b32_e32 v66, v67
	v_not_b32_e32 v67, v68
	v_dual_ashrrev_i32 v65, 31, v65 :: v_dual_bitop2_b32 v55, s15, v55 bitop3:0x14
	v_cmp_gt_i32_e64 s19, 0, v68
	v_not_b32_e32 v68, v69
	v_cmp_gt_i32_e64 s21, 0, v53
	v_not_b32_e32 v53, v53
	v_dual_ashrrev_i32 v66, 31, v66 :: v_dual_ashrrev_i32 v67, 31, v67
	v_xor_b32_e32 v64, s16, v64
	v_xor_b32_e32 v65, s17, v65
	v_bitop3_b32 v52, v52, v55, exec_lo bitop3:0x80
	v_cmp_gt_i32_e64 s20, 0, v69
	v_dual_ashrrev_i32 v55, 31, v68 :: v_dual_ashrrev_i32 v53, 31, v53
	v_xor_b32_e32 v66, s18, v66
	s_delay_alu instid0(VALU_DEP_4) | instskip(SKIP_4) | instid1(VALU_DEP_3)
	v_bitop3_b32 v52, v52, v65, v64 bitop3:0x80
	v_lshl_add_u32 v54, v54, 2, v12
	v_xor_b32_e32 v67, s19, v67
	v_xor_b32_e32 v55, s20, v55
	;; [unrolled: 1-line block ×3, first 2 shown]
	v_bitop3_b32 v64, v52, v67, v66 bitop3:0x80
	ds_load_b32 v52, v54 offset:32
	v_add_nc_u32_e32 v54, 32, v54
	; wave barrier
	v_bitop3_b32 v55, v64, v53, v55 bitop3:0x80
	s_delay_alu instid0(VALU_DEP_1) | instskip(SKIP_1) | instid1(VALU_DEP_2)
	v_mbcnt_lo_u32_b32 v53, v55, 0
	v_cmp_ne_u32_e64 s15, 0, v55
	v_cmp_eq_u32_e64 s14, 0, v53
	s_and_b32 s15, s15, s14
	s_delay_alu instid0(SALU_CYCLE_1)
	s_and_saveexec_b32 s14, s15
	s_cbranch_execz .LBB390_188
; %bb.187:                              ;   in Loop: Header=BB390_180 Depth=1
	s_wait_dscnt 0x0
	v_bcnt_u32_b32 v55, v55, v52
	ds_store_b32 v54, v55
.LBB390_188:                            ;   in Loop: Header=BB390_180 Depth=1
	s_or_b32 exec_lo, exec_lo, s14
	v_and_b32_e32 v55, 0xff, v5
	; wave barrier
	s_delay_alu instid0(VALU_DEP_1) | instskip(NEXT) | instid1(VALU_DEP_1)
	v_lshrrev_b32_e32 v55, v10, v55
	v_and_b32_e32 v64, v55, v51
	s_delay_alu instid0(VALU_DEP_1) | instskip(SKIP_1) | instid1(VALU_DEP_2)
	v_lshlrev_b32_e32 v67, 30, v64
	v_bitop3_b32 v55, v55, 1, v51 bitop3:0x80
	v_cmp_gt_i32_e64 s15, 0, v67
	s_delay_alu instid0(VALU_DEP_2) | instskip(NEXT) | instid1(VALU_DEP_1)
	v_add_co_u32 v55, s14, v55, -1
	v_cndmask_b32_e64 v66, 0, 1, s14
	s_delay_alu instid0(VALU_DEP_1) | instskip(SKIP_1) | instid1(VALU_DEP_1)
	v_cmp_ne_u32_e64 s14, 0, v66
	v_not_b32_e32 v66, v67
	v_dual_ashrrev_i32 v66, 31, v66 :: v_dual_lshlrev_b32 v68, 29, v64
	v_dual_lshlrev_b32 v69, 28, v64 :: v_dual_lshlrev_b32 v70, 27, v64
	v_lshlrev_b32_e32 v71, 26, v64
	v_lshl_add_u32 v65, v64, 3, v146
	s_delay_alu instid0(VALU_DEP_4)
	v_cmp_gt_i32_e64 s16, 0, v68
	v_not_b32_e32 v67, v68
	v_not_b32_e32 v68, v69
	v_dual_lshlrev_b32 v80, 25, v64 :: v_dual_lshlrev_b32 v64, 24, v64
	v_cmp_gt_i32_e64 s17, 0, v69
	v_cmp_gt_i32_e64 s18, 0, v70
	v_not_b32_e32 v69, v70
	v_not_b32_e32 v70, v71
	v_dual_ashrrev_i32 v68, 31, v68 :: v_dual_bitop2_b32 v55, s14, v55 bitop3:0x14
	v_dual_ashrrev_i32 v67, 31, v67 :: v_dual_bitop2_b32 v66, s15, v66 bitop3:0x14
	v_cmp_gt_i32_e64 s19, 0, v71
	s_delay_alu instid0(VALU_DEP_4)
	v_dual_ashrrev_i32 v69, 31, v69 :: v_dual_ashrrev_i32 v70, 31, v70
	v_not_b32_e32 v71, v64
	v_xor_b32_e32 v68, s17, v68
	v_bitop3_b32 v55, v55, v66, exec_lo bitop3:0x80
	v_not_b32_e32 v66, v80
	v_xor_b32_e32 v67, s16, v67
	v_xor_b32_e32 v69, s18, v69
	v_cmp_gt_i32_e64 s14, 0, v80
	v_cmp_gt_i32_e64 s15, 0, v64
	v_dual_ashrrev_i32 v66, 31, v66 :: v_dual_ashrrev_i32 v64, 31, v71
	v_bitop3_b32 v55, v55, v68, v67 bitop3:0x80
	v_lshl_add_u32 v65, v65, 2, v12
	v_xor_b32_e32 v70, s19, v70
	s_delay_alu instid0(VALU_DEP_4) | instskip(SKIP_1) | instid1(VALU_DEP_3)
	v_xor_b32_e32 v66, s14, v66
	v_xor_b32_e32 v64, s15, v64
	v_bitop3_b32 v67, v55, v70, v69 bitop3:0x80
	ds_load_b32 v55, v65 offset:32
	v_add_nc_u32_e32 v65, 32, v65
	; wave barrier
	v_bitop3_b32 v66, v67, v64, v66 bitop3:0x80
	s_delay_alu instid0(VALU_DEP_1) | instskip(SKIP_1) | instid1(VALU_DEP_2)
	v_mbcnt_lo_u32_b32 v64, v66, 0
	v_cmp_ne_u32_e64 s15, 0, v66
	v_cmp_eq_u32_e64 s14, 0, v64
	s_and_b32 s15, s15, s14
	s_delay_alu instid0(SALU_CYCLE_1)
	s_and_saveexec_b32 s14, s15
	s_cbranch_execz .LBB390_190
; %bb.189:                              ;   in Loop: Header=BB390_180 Depth=1
	s_wait_dscnt 0x0
	v_bcnt_u32_b32 v66, v66, v55
	ds_store_b32 v65, v66
.LBB390_190:                            ;   in Loop: Header=BB390_180 Depth=1
	s_or_b32 exec_lo, exec_lo, s14
	v_bfe_u32 v66, v5, 8, 8
	; wave barrier
	s_delay_alu instid0(VALU_DEP_1) | instskip(NEXT) | instid1(VALU_DEP_1)
	v_lshrrev_b32_e32 v66, v10, v66
	v_and_b32_e32 v67, v66, v51
	s_delay_alu instid0(VALU_DEP_1) | instskip(SKIP_1) | instid1(VALU_DEP_2)
	v_lshlrev_b32_e32 v70, 30, v67
	v_bitop3_b32 v66, v66, 1, v51 bitop3:0x80
	v_cmp_gt_i32_e64 s15, 0, v70
	s_delay_alu instid0(VALU_DEP_2) | instskip(NEXT) | instid1(VALU_DEP_1)
	v_add_co_u32 v66, s14, v66, -1
	v_cndmask_b32_e64 v69, 0, 1, s14
	s_delay_alu instid0(VALU_DEP_1) | instskip(SKIP_1) | instid1(VALU_DEP_1)
	v_cmp_ne_u32_e64 s14, 0, v69
	v_not_b32_e32 v69, v70
	v_dual_ashrrev_i32 v69, 31, v69 :: v_dual_lshlrev_b32 v71, 29, v67
	v_dual_lshlrev_b32 v80, 28, v67 :: v_dual_lshlrev_b32 v81, 27, v67
	v_lshlrev_b32_e32 v82, 26, v67
	v_lshl_add_u32 v68, v67, 3, v146
	s_delay_alu instid0(VALU_DEP_4)
	v_cmp_gt_i32_e64 s16, 0, v71
	v_not_b32_e32 v70, v71
	v_not_b32_e32 v71, v80
	v_dual_lshlrev_b32 v83, 25, v67 :: v_dual_lshlrev_b32 v67, 24, v67
	v_cmp_gt_i32_e64 s17, 0, v80
	v_cmp_gt_i32_e64 s18, 0, v81
	v_not_b32_e32 v80, v81
	v_not_b32_e32 v81, v82
	v_dual_ashrrev_i32 v71, 31, v71 :: v_dual_bitop2_b32 v66, s14, v66 bitop3:0x14
	v_dual_ashrrev_i32 v70, 31, v70 :: v_dual_bitop2_b32 v69, s15, v69 bitop3:0x14
	v_cmp_gt_i32_e64 s19, 0, v82
	s_delay_alu instid0(VALU_DEP_4)
	v_dual_ashrrev_i32 v80, 31, v80 :: v_dual_ashrrev_i32 v81, 31, v81
	v_not_b32_e32 v82, v67
	v_xor_b32_e32 v71, s17, v71
	v_bitop3_b32 v66, v66, v69, exec_lo bitop3:0x80
	v_not_b32_e32 v69, v83
	v_xor_b32_e32 v70, s16, v70
	v_xor_b32_e32 v80, s18, v80
	v_cmp_gt_i32_e64 s14, 0, v83
	v_cmp_gt_i32_e64 s15, 0, v67
	v_dual_ashrrev_i32 v69, 31, v69 :: v_dual_ashrrev_i32 v67, 31, v82
	v_bitop3_b32 v66, v66, v71, v70 bitop3:0x80
	v_lshl_add_u32 v68, v68, 2, v12
	v_xor_b32_e32 v81, s19, v81
	s_delay_alu instid0(VALU_DEP_4) | instskip(SKIP_1) | instid1(VALU_DEP_3)
	v_xor_b32_e32 v69, s14, v69
	v_xor_b32_e32 v67, s15, v67
	v_bitop3_b32 v70, v66, v81, v80 bitop3:0x80
	ds_load_b32 v66, v68 offset:32
	v_add_nc_u32_e32 v68, 32, v68
	; wave barrier
	v_bitop3_b32 v69, v70, v67, v69 bitop3:0x80
	s_delay_alu instid0(VALU_DEP_1) | instskip(SKIP_1) | instid1(VALU_DEP_2)
	v_mbcnt_lo_u32_b32 v67, v69, 0
	v_cmp_ne_u32_e64 s15, 0, v69
	v_cmp_eq_u32_e64 s14, 0, v67
	s_and_b32 s15, s15, s14
	s_delay_alu instid0(SALU_CYCLE_1)
	s_and_saveexec_b32 s14, s15
	s_cbranch_execz .LBB390_192
; %bb.191:                              ;   in Loop: Header=BB390_180 Depth=1
	s_wait_dscnt 0x0
	v_bcnt_u32_b32 v69, v69, v66
	ds_store_b32 v68, v69
.LBB390_192:                            ;   in Loop: Header=BB390_180 Depth=1
	s_or_b32 exec_lo, exec_lo, s14
	v_bfe_u32 v69, v5, 16, 8
	; wave barrier
	s_delay_alu instid0(VALU_DEP_1) | instskip(NEXT) | instid1(VALU_DEP_1)
	v_lshrrev_b32_e32 v69, v10, v69
	v_and_b32_e32 v70, v69, v51
	s_delay_alu instid0(VALU_DEP_1) | instskip(SKIP_1) | instid1(VALU_DEP_2)
	v_lshlrev_b32_e32 v81, 30, v70
	v_bitop3_b32 v69, v69, 1, v51 bitop3:0x80
	v_cmp_gt_i32_e64 s15, 0, v81
	s_delay_alu instid0(VALU_DEP_2) | instskip(NEXT) | instid1(VALU_DEP_1)
	v_add_co_u32 v69, s14, v69, -1
	v_cndmask_b32_e64 v80, 0, 1, s14
	s_delay_alu instid0(VALU_DEP_1) | instskip(SKIP_1) | instid1(VALU_DEP_1)
	v_cmp_ne_u32_e64 s14, 0, v80
	v_not_b32_e32 v80, v81
	v_dual_ashrrev_i32 v80, 31, v80 :: v_dual_lshlrev_b32 v82, 29, v70
	v_dual_lshlrev_b32 v83, 28, v70 :: v_dual_lshlrev_b32 v84, 27, v70
	v_lshlrev_b32_e32 v85, 26, v70
	v_lshl_add_u32 v71, v70, 3, v146
	s_delay_alu instid0(VALU_DEP_4)
	v_cmp_gt_i32_e64 s16, 0, v82
	v_not_b32_e32 v81, v82
	v_not_b32_e32 v82, v83
	v_dual_lshlrev_b32 v86, 25, v70 :: v_dual_lshlrev_b32 v70, 24, v70
	v_cmp_gt_i32_e64 s17, 0, v83
	v_cmp_gt_i32_e64 s18, 0, v84
	v_not_b32_e32 v83, v84
	v_not_b32_e32 v84, v85
	v_dual_ashrrev_i32 v82, 31, v82 :: v_dual_bitop2_b32 v69, s14, v69 bitop3:0x14
	v_dual_ashrrev_i32 v81, 31, v81 :: v_dual_bitop2_b32 v80, s15, v80 bitop3:0x14
	v_cmp_gt_i32_e64 s19, 0, v85
	s_delay_alu instid0(VALU_DEP_4)
	v_dual_ashrrev_i32 v83, 31, v83 :: v_dual_ashrrev_i32 v84, 31, v84
	v_not_b32_e32 v85, v70
	v_xor_b32_e32 v82, s17, v82
	v_bitop3_b32 v69, v69, v80, exec_lo bitop3:0x80
	v_not_b32_e32 v80, v86
	v_xor_b32_e32 v81, s16, v81
	v_xor_b32_e32 v83, s18, v83
	v_cmp_gt_i32_e64 s14, 0, v86
	v_cmp_gt_i32_e64 s15, 0, v70
	v_dual_ashrrev_i32 v80, 31, v80 :: v_dual_ashrrev_i32 v70, 31, v85
	v_bitop3_b32 v69, v69, v82, v81 bitop3:0x80
	v_lshl_add_u32 v71, v71, 2, v12
	v_xor_b32_e32 v84, s19, v84
	s_delay_alu instid0(VALU_DEP_4) | instskip(SKIP_3) | instid1(VALU_DEP_1)
	v_xor_b32_e32 v80, s14, v80
	v_xor_b32_e32 v70, s15, v70
	ds_load_b32 v86, v71 offset:32
	v_bitop3_b32 v69, v69, v84, v83 bitop3:0x80
	; wave barrier
	v_bitop3_b32 v70, v69, v70, v80 bitop3:0x80
	v_add_nc_u32_e32 v69, 32, v71
	s_delay_alu instid0(VALU_DEP_2) | instskip(SKIP_1) | instid1(VALU_DEP_2)
	v_mbcnt_lo_u32_b32 v96, v70, 0
	v_cmp_ne_u32_e64 s15, 0, v70
	v_cmp_eq_u32_e64 s14, 0, v96
	s_and_b32 s15, s15, s14
	s_delay_alu instid0(SALU_CYCLE_1)
	s_and_saveexec_b32 s14, s15
	s_cbranch_execz .LBB390_194
; %bb.193:                              ;   in Loop: Header=BB390_180 Depth=1
	s_wait_dscnt 0x0
	v_bcnt_u32_b32 v70, v70, v86
	ds_store_b32 v69, v70
.LBB390_194:                            ;   in Loop: Header=BB390_180 Depth=1
	s_or_b32 exec_lo, exec_lo, s14
	v_lshrrev_b32_e32 v192, 24, v5
	; wave barrier
	s_delay_alu instid0(VALU_DEP_1) | instskip(NEXT) | instid1(VALU_DEP_1)
	v_lshrrev_b32_e32 v70, v10, v192
	v_and_b32_e32 v71, v70, v51
	s_delay_alu instid0(VALU_DEP_1) | instskip(SKIP_3) | instid1(VALU_DEP_3)
	v_lshlrev_b32_e32 v81, 30, v71
	v_bitop3_b32 v51, v70, 1, v51 bitop3:0x80
	v_dual_lshlrev_b32 v82, 29, v71 :: v_dual_lshlrev_b32 v83, 28, v71
	v_dual_lshlrev_b32 v84, 27, v71 :: v_dual_lshlrev_b32 v85, 26, v71
	v_add_co_u32 v51, s14, v51, -1
	s_delay_alu instid0(VALU_DEP_1)
	v_cndmask_b32_e64 v80, 0, 1, s14
	v_cmp_gt_i32_e64 s15, 0, v81
	v_cmp_gt_i32_e64 s16, 0, v82
	v_lshl_add_u32 v70, v71, 3, v146
	v_dual_lshlrev_b32 v87, 25, v71 :: v_dual_lshlrev_b32 v71, 24, v71
	v_cmp_ne_u32_e64 s14, 0, v80
	v_not_b32_e32 v80, v81
	v_not_b32_e32 v81, v82
	;; [unrolled: 1-line block ×3, first 2 shown]
	v_cmp_gt_i32_e64 s17, 0, v83
	v_cmp_gt_i32_e64 s18, 0, v84
	v_dual_ashrrev_i32 v80, 31, v80 :: v_dual_bitop2_b32 v51, s14, v51 bitop3:0x14
	v_not_b32_e32 v83, v84
	v_not_b32_e32 v84, v85
	v_dual_ashrrev_i32 v81, 31, v81 :: v_dual_ashrrev_i32 v82, 31, v82
	s_delay_alu instid0(VALU_DEP_3) | instskip(SKIP_1) | instid1(VALU_DEP_3)
	v_dual_ashrrev_i32 v83, 31, v83 :: v_dual_bitop2_b32 v80, s15, v80 bitop3:0x14
	v_cmp_gt_i32_e64 s19, 0, v85
	v_dual_ashrrev_i32 v84, 31, v84 :: v_dual_bitop2_b32 v81, s16, v81 bitop3:0x14
	s_delay_alu instid0(VALU_DEP_3)
	v_bitop3_b32 v51, v51, v80, exec_lo bitop3:0x80
	v_not_b32_e32 v80, v87
	v_xor_b32_e32 v82, s17, v82
	v_not_b32_e32 v85, v71
	v_xor_b32_e32 v83, s18, v83
	v_cmp_gt_i32_e64 s14, 0, v87
	v_ashrrev_i32_e32 v80, 31, v80
	v_bitop3_b32 v51, v51, v82, v81 bitop3:0x80
	v_cmp_gt_i32_e64 s15, 0, v71
	v_ashrrev_i32_e32 v71, 31, v85
	v_lshl_add_u32 v70, v70, 2, v12
	v_xor_b32_e32 v84, s19, v84
	v_xor_b32_e32 v80, s14, v80
	s_delay_alu instid0(VALU_DEP_4) | instskip(NEXT) | instid1(VALU_DEP_3)
	v_xor_b32_e32 v71, s15, v71
	v_bitop3_b32 v81, v51, v84, v83 bitop3:0x80
	ds_load_b32 v51, v70 offset:32
	v_add_nc_u32_e32 v70, 32, v70
	; wave barrier
	v_bitop3_b32 v71, v81, v71, v80 bitop3:0x80
	s_delay_alu instid0(VALU_DEP_1) | instskip(SKIP_1) | instid1(VALU_DEP_2)
	v_mbcnt_lo_u32_b32 v100, v71, 0
	v_cmp_ne_u32_e64 s15, 0, v71
	v_cmp_eq_u32_e64 s14, 0, v100
	s_and_b32 s15, s15, s14
	s_delay_alu instid0(SALU_CYCLE_1)
	s_and_saveexec_b32 s14, s15
	s_cbranch_execz .LBB390_196
; %bb.195:                              ;   in Loop: Header=BB390_180 Depth=1
	s_wait_dscnt 0x0
	v_bcnt_u32_b32 v71, v71, v51
	ds_store_b32 v70, v71
.LBB390_196:                            ;   in Loop: Header=BB390_180 Depth=1
	s_or_b32 exec_lo, exec_lo, s14
	; wave barrier
	s_wait_dscnt 0x0
	s_barrier_signal -1
	s_barrier_wait -1
	ds_load_b32 v80, v15
	ds_load_b32 v81, v27
	;; [unrolled: 1-line block ×8, first 2 shown]
	s_wait_dscnt 0x6
	v_add_nc_u32_e32 v97, v81, v80
	s_wait_dscnt 0x4
	s_delay_alu instid0(VALU_DEP_1) | instskip(SKIP_1) | instid1(VALU_DEP_1)
	v_add3_u32 v97, v97, v82, v83
	s_wait_dscnt 0x2
	v_add3_u32 v97, v97, v84, v85
	s_wait_dscnt 0x0
	s_delay_alu instid0(VALU_DEP_1) | instskip(NEXT) | instid1(VALU_DEP_1)
	v_add3_u32 v87, v97, v71, v87
	v_mov_b32_dpp v97, v87 row_shr:1 row_mask:0xf bank_mask:0xf
	s_delay_alu instid0(VALU_DEP_1) | instskip(NEXT) | instid1(VALU_DEP_1)
	v_cndmask_b32_e64 v97, v97, 0, vcc_lo
	v_add_nc_u32_e32 v87, v97, v87
	s_delay_alu instid0(VALU_DEP_1) | instskip(NEXT) | instid1(VALU_DEP_1)
	v_mov_b32_dpp v97, v87 row_shr:2 row_mask:0xf bank_mask:0xf
	v_cndmask_b32_e64 v97, 0, v97, s0
	s_delay_alu instid0(VALU_DEP_1) | instskip(NEXT) | instid1(VALU_DEP_1)
	v_add_nc_u32_e32 v87, v87, v97
	v_mov_b32_dpp v97, v87 row_shr:4 row_mask:0xf bank_mask:0xf
	s_delay_alu instid0(VALU_DEP_1) | instskip(NEXT) | instid1(VALU_DEP_1)
	v_cndmask_b32_e64 v97, 0, v97, s1
	v_add_nc_u32_e32 v87, v87, v97
	s_delay_alu instid0(VALU_DEP_1) | instskip(NEXT) | instid1(VALU_DEP_1)
	v_mov_b32_dpp v97, v87 row_shr:8 row_mask:0xf bank_mask:0xf
	v_cndmask_b32_e64 v97, 0, v97, s3
	s_delay_alu instid0(VALU_DEP_1) | instskip(SKIP_3) | instid1(VALU_DEP_1)
	v_add_nc_u32_e32 v87, v87, v97
	ds_swizzle_b32 v97, v87 offset:swizzle(BROADCAST,32,15)
	s_wait_dscnt 0x0
	v_cndmask_b32_e64 v97, v97, 0, s4
	v_add_nc_u32_e32 v87, v87, v97
	s_and_saveexec_b32 s14, s5
; %bb.197:                              ;   in Loop: Header=BB390_180 Depth=1
	ds_store_b32 v148, v87
; %bb.198:                              ;   in Loop: Header=BB390_180 Depth=1
	s_or_b32 exec_lo, exec_lo, s14
	s_wait_dscnt 0x0
	s_barrier_signal -1
	s_barrier_wait -1
	s_and_saveexec_b32 s14, s6
	s_cbranch_execz .LBB390_200
; %bb.199:                              ;   in Loop: Header=BB390_180 Depth=1
	ds_load_b32 v97, v149
	s_wait_dscnt 0x0
	v_mov_b32_dpp v98, v97 row_shr:1 row_mask:0xf bank_mask:0xf
	s_delay_alu instid0(VALU_DEP_1) | instskip(NEXT) | instid1(VALU_DEP_1)
	v_cndmask_b32_e64 v98, v98, 0, s11
	v_add_nc_u32_e32 v97, v98, v97
	s_delay_alu instid0(VALU_DEP_1) | instskip(NEXT) | instid1(VALU_DEP_1)
	v_mov_b32_dpp v98, v97 row_shr:2 row_mask:0xf bank_mask:0xf
	v_cndmask_b32_e64 v98, 0, v98, s12
	s_delay_alu instid0(VALU_DEP_1) | instskip(NEXT) | instid1(VALU_DEP_1)
	v_add_nc_u32_e32 v97, v97, v98
	v_mov_b32_dpp v98, v97 row_shr:4 row_mask:0xf bank_mask:0xf
	s_delay_alu instid0(VALU_DEP_1) | instskip(NEXT) | instid1(VALU_DEP_1)
	v_cndmask_b32_e64 v98, 0, v98, s13
	v_add_nc_u32_e32 v97, v97, v98
	ds_store_b32 v149, v97
.LBB390_200:                            ;   in Loop: Header=BB390_180 Depth=1
	s_or_b32 exec_lo, exec_lo, s14
	v_mov_b32_e32 v97, 0
	s_wait_dscnt 0x0
	s_barrier_signal -1
	s_barrier_wait -1
	s_and_saveexec_b32 s14, s7
; %bb.201:                              ;   in Loop: Header=BB390_180 Depth=1
	ds_load_b32 v97, v151
; %bb.202:                              ;   in Loop: Header=BB390_180 Depth=1
	s_or_b32 exec_lo, exec_lo, s14
	s_wait_dscnt 0x0
	v_add_nc_u32_e32 v87, v97, v87
	v_lshrrev_b64 v[98:99], 24, v[4:5]
	v_dual_lshrrev_b32 v99, 8, v5 :: v_dual_add_nc_u32 v10, 8, v10
	s_mov_b32 s16, -1
	ds_bpermute_b32 v87, v147, v87
	s_mov_b32 s15, exec_lo
	v_dual_mov_b32 v193, v4 :: v_dual_lshrrev_b32 v194, 8, v4
	s_wait_dscnt 0x0
	v_dual_lshrrev_b32 v195, 16, v4 :: v_dual_cndmask_b32 v87, v87, v97, s2
	s_delay_alu instid0(VALU_DEP_1) | instskip(NEXT) | instid1(VALU_DEP_1)
	v_cndmask_b32_e64 v87, v87, 0, s10
	v_add_nc_u32_e32 v80, v87, v80
	s_delay_alu instid0(VALU_DEP_1) | instskip(NEXT) | instid1(VALU_DEP_1)
	v_add_nc_u32_e32 v81, v80, v81
	v_add_nc_u32_e32 v82, v81, v82
	s_delay_alu instid0(VALU_DEP_1)
	v_add_nc_u32_e32 v83, v82, v83
	ds_store_b32 v15, v87
	ds_store_b32 v27, v80
	;; [unrolled: 1-line block ×3, first 2 shown]
	v_dual_mov_b32 v81, v1 :: v_dual_mov_b32 v87, v1
	v_add_nc_u32_e32 v84, v83, v84
	s_delay_alu instid0(VALU_DEP_1) | instskip(NEXT) | instid1(VALU_DEP_1)
	v_add_nc_u32_e32 v85, v84, v85
	v_add_nc_u32_e32 v71, v85, v71
	ds_store_b32 v133, v82
	ds_store_b32 v134, v83
	;; [unrolled: 1-line block ×5, first 2 shown]
	s_wait_dscnt 0x0
	s_barrier_signal -1
	s_barrier_wait -1
	ds_load_b32 v36, v36
	ds_load_b32 v39, v39
	;; [unrolled: 1-line block ×8, first 2 shown]
	v_dual_mov_b32 v69, v1 :: v_dual_mov_b32 v71, v1
	v_dual_mov_b32 v83, v1 :: v_dual_mov_b32 v85, v1
	v_mov_b32_e32 v97, v1
	s_wait_dscnt 0x0
	v_add_nc_u32_e32 v0, v36, v0
	v_add3_u32 v68, v38, v37, v39
	v_add3_u32 v70, v49, v48, v50
	;; [unrolled: 1-line block ×7, first 2 shown]
	v_add_nc_u64_e32 v[130:131], v[12:13], v[0:1]
	v_add_nc_u64_e32 v[128:129], v[12:13], v[68:69]
	v_add_nc_u64_e32 v[118:119], v[12:13], v[70:71]
	v_add_nc_u64_e32 v[116:117], v[12:13], v[82:83]
	v_add_nc_u64_e32 v[114:115], v[12:13], v[80:81]
	v_add_nc_u64_e32 v[112:113], v[12:13], v[84:85]
	v_add_nc_u64_e32 v[102:103], v[12:13], v[86:87]
	v_add_nc_u64_e32 v[100:101], v[12:13], v[96:97]
	v_lshrrev_b32_e32 v71, 16, v5
                                        ; implicit-def: $vgpr69
                                        ; implicit-def: $vgpr52_vgpr53
                                        ; implicit-def: $vgpr54_vgpr55
                                        ; implicit-def: $vgpr66_vgpr67
                                        ; implicit-def: $vgpr36_vgpr37
                                        ; implicit-def: $vgpr38_vgpr39
                                        ; implicit-def: $vgpr48_vgpr49
                                        ; implicit-def: $vgpr50_vgpr51
                                        ; implicit-def: $vgpr64_vgpr65
	v_cmpx_lt_u32_e64 v10, v11
	s_cbranch_execz .LBB390_179
; %bb.203:                              ;   in Loop: Header=BB390_180 Depth=1
	v_mad_nc_u64_u32 v[36:37], v0, 7, v[130:131]
	v_mad_nc_u64_u32 v[38:39], v68, 7, v[128:129]
	;; [unrolled: 1-line block ×7, first 2 shown]
	s_barrier_signal -1
	s_barrier_wait -1
	ds_store_b8 v130, v4
	ds_store_b8 v128, v194
	;; [unrolled: 1-line block ×8, first 2 shown]
	s_wait_dscnt 0x0
	s_barrier_signal -1
	s_barrier_wait -1
	ds_load_u8 v4, v162
	ds_load_u8 v69, v161
	ds_load_u8 v81, v160
	ds_load_u8 v83, v150
	ds_load_u8 v85, v167
	ds_load_u8 v87, v166
	ds_load_u8 v97, v165
	ds_load_u8 v196, v163
	v_mad_nc_u64_u32 v[66:67], v96, 7, v[100:101]
	s_wait_dscnt 0x0
	s_barrier_signal -1
	s_barrier_wait -1
	ds_store_b64 v36, v[16:17]
	ds_store_b64 v38, v[20:21]
	;; [unrolled: 1-line block ×8, first 2 shown]
	s_wait_dscnt 0x0
	s_barrier_signal -1
	s_barrier_wait -1
	ds_load_b64 v[52:53], v164
	ds_load_b64 v[54:55], v176
	;; [unrolled: 1-line block ×8, first 2 shown]
	v_add_nc_u32_e32 v183, -8, v183
	s_xor_b32 s16, exec_lo, -1
	v_perm_b32 v4, v69, v4, 0xc0c0004
	s_wait_dscnt 0x0
	v_perm_b32 v81, v83, v81, 0xc0c0004
	s_barrier_signal -1
	v_perm_b32 v83, v87, v85, 0xc0c0004
	s_barrier_wait -1
	v_perm_b32 v69, v196, v97, 0xc0c0004
	v_lshl_or_b32 v4, v4, 16, v81
	s_delay_alu instid0(VALU_DEP_2)
	v_lshl_or_b32 v69, v83, 16, v69
	s_branch .LBB390_179
.LBB390_204:
	flat_load_b64 v[84:85], v[0:1]
	s_wait_xcnt 0x0
	s_or_b32 exec_lo, exec_lo, s18
                                        ; implicit-def: $vgpr86_vgpr87
	s_and_saveexec_b32 s18, s0
	s_cbranch_execz .LBB390_38
.LBB390_205:
	flat_load_b64 v[86:87], v[0:1] offset:256
	s_wait_xcnt 0x0
	s_or_b32 exec_lo, exec_lo, s18
                                        ; implicit-def: $vgpr96_vgpr97
	s_and_saveexec_b32 s0, s1
	s_cbranch_execz .LBB390_39
.LBB390_206:
	flat_load_b64 v[96:97], v[0:1] offset:512
	s_wait_xcnt 0x0
	s_or_b32 exec_lo, exec_lo, s0
                                        ; implicit-def: $vgpr98_vgpr99
	s_and_saveexec_b32 s0, s2
	s_cbranch_execz .LBB390_40
.LBB390_207:
	flat_load_b64 v[98:99], v[0:1] offset:768
	s_wait_xcnt 0x0
	s_or_b32 exec_lo, exec_lo, s0
                                        ; implicit-def: $vgpr100_vgpr101
	s_and_saveexec_b32 s0, s3
	s_cbranch_execz .LBB390_41
.LBB390_208:
	flat_load_b64 v[100:101], v[0:1] offset:1024
	s_wait_xcnt 0x0
	s_or_b32 exec_lo, exec_lo, s0
                                        ; implicit-def: $vgpr102_vgpr103
	s_and_saveexec_b32 s0, s4
	s_cbranch_execz .LBB390_42
.LBB390_209:
	flat_load_b64 v[102:103], v[0:1] offset:1280
	s_wait_xcnt 0x0
	s_or_b32 exec_lo, exec_lo, s0
                                        ; implicit-def: $vgpr112_vgpr113
	s_and_saveexec_b32 s0, s5
	s_cbranch_execz .LBB390_43
.LBB390_210:
	flat_load_b64 v[112:113], v[0:1] offset:1536
	s_wait_xcnt 0x0
	s_or_b32 exec_lo, exec_lo, s0
                                        ; implicit-def: $vgpr114_vgpr115
	s_and_saveexec_b32 s0, s6
	s_cbranch_execz .LBB390_44
.LBB390_211:
	flat_load_b64 v[114:115], v[0:1] offset:1792
	s_wait_xcnt 0x0
	s_or_b32 exec_lo, exec_lo, s0
                                        ; implicit-def: $vgpr116_vgpr117
	s_and_saveexec_b32 s0, s7
	s_cbranch_execz .LBB390_45
.LBB390_212:
	flat_load_b64 v[116:117], v[0:1] offset:2048
	s_wait_xcnt 0x0
	s_or_b32 exec_lo, exec_lo, s0
                                        ; implicit-def: $vgpr130_vgpr131
	s_and_saveexec_b32 s0, s10
	s_cbranch_execz .LBB390_46
.LBB390_213:
	flat_load_b64 v[130:131], v[0:1] offset:2304
	s_wait_xcnt 0x0
	s_or_b32 exec_lo, exec_lo, s0
                                        ; implicit-def: $vgpr132_vgpr133
	s_and_saveexec_b32 s0, s11
	s_cbranch_execz .LBB390_47
.LBB390_214:
	flat_load_b64 v[132:133], v[0:1] offset:2560
	s_wait_xcnt 0x0
	s_or_b32 exec_lo, exec_lo, s0
                                        ; implicit-def: $vgpr134_vgpr135
	s_and_saveexec_b32 s0, s12
	s_cbranch_execz .LBB390_48
.LBB390_215:
	flat_load_b64 v[134:135], v[0:1] offset:2816
	s_wait_xcnt 0x0
	s_or_b32 exec_lo, exec_lo, s0
                                        ; implicit-def: $vgpr118_vgpr119
	s_and_saveexec_b32 s0, s13
	s_cbranch_execz .LBB390_49
.LBB390_216:
	flat_load_b64 v[118:119], v[0:1] offset:3072
	s_wait_xcnt 0x0
	s_or_b32 exec_lo, exec_lo, s0
                                        ; implicit-def: $vgpr128_vgpr129
	s_and_saveexec_b32 s0, s14
	s_cbranch_execz .LBB390_50
.LBB390_217:
	flat_load_b64 v[128:129], v[0:1] offset:3328
	s_wait_xcnt 0x0
	s_or_b32 exec_lo, exec_lo, s0
                                        ; implicit-def: $vgpr144_vgpr145
	s_and_saveexec_b32 s0, s15
	s_cbranch_execz .LBB390_51
.LBB390_218:
	flat_load_b64 v[144:145], v[0:1] offset:3584
	s_wait_xcnt 0x0
	s_or_b32 exec_lo, exec_lo, s0
                                        ; implicit-def: $vgpr146_vgpr147
	s_and_saveexec_b32 s0, s16
	s_cbranch_execz .LBB390_52
.LBB390_219:
	flat_load_b64 v[146:147], v[0:1] offset:3840
	s_wait_xcnt 0x0
	s_or_b32 exec_lo, exec_lo, s0
                                        ; implicit-def: $vgpr148_vgpr149
	s_and_saveexec_b32 s0, s17
	s_cbranch_execnz .LBB390_53
	s_branch .LBB390_54
.LBB390_220:
	flat_store_b64 v[2:3], v[48:49]
	s_wait_xcnt 0x0
	s_or_b32 exec_lo, exec_lo, s18
	s_and_saveexec_b32 s18, s0
	s_cbranch_execz .LBB390_134
.LBB390_221:
	flat_store_b64 v[2:3], v[50:51] offset:2048
	s_wait_xcnt 0x0
	s_or_b32 exec_lo, exec_lo, s18
	s_and_saveexec_b32 s0, s1
	s_cbranch_execz .LBB390_135
.LBB390_222:
	flat_store_b64 v[2:3], v[34:35] offset:4096
	s_wait_xcnt 0x0
	s_or_b32 exec_lo, exec_lo, s0
	s_and_saveexec_b32 s0, s2
	s_cbranch_execz .LBB390_136
.LBB390_223:
	flat_store_b64 v[2:3], v[36:37] offset:6144
	s_wait_xcnt 0x0
	s_or_b32 exec_lo, exec_lo, s0
	s_and_saveexec_b32 s0, s3
	s_cbranch_execz .LBB390_137
.LBB390_224:
	flat_store_b64 v[2:3], v[30:31] offset:8192
	s_wait_xcnt 0x0
	s_or_b32 exec_lo, exec_lo, s0
	s_and_saveexec_b32 s0, s4
	s_cbranch_execz .LBB390_138
.LBB390_225:
	flat_store_b64 v[2:3], v[32:33] offset:10240
	s_wait_xcnt 0x0
	s_or_b32 exec_lo, exec_lo, s0
	s_and_saveexec_b32 s0, s5
	s_cbranch_execz .LBB390_139
.LBB390_226:
	flat_store_b64 v[2:3], v[26:27] offset:12288
	s_wait_xcnt 0x0
	s_or_b32 exec_lo, exec_lo, s0
	s_and_saveexec_b32 s0, s6
	s_cbranch_execz .LBB390_140
.LBB390_227:
	flat_store_b64 v[2:3], v[28:29] offset:14336
	s_wait_xcnt 0x0
	s_or_b32 exec_lo, exec_lo, s0
	s_and_saveexec_b32 s0, s7
	s_cbranch_execz .LBB390_141
.LBB390_228:
	flat_store_b64 v[2:3], v[22:23] offset:16384
	s_wait_xcnt 0x0
	s_or_b32 exec_lo, exec_lo, s0
	s_and_saveexec_b32 s0, s10
	s_cbranch_execz .LBB390_142
.LBB390_229:
	flat_store_b64 v[2:3], v[24:25] offset:18432
	s_wait_xcnt 0x0
	s_or_b32 exec_lo, exec_lo, s0
	s_and_saveexec_b32 s0, s11
	s_cbranch_execz .LBB390_143
.LBB390_230:
	flat_store_b64 v[2:3], v[18:19] offset:20480
	s_wait_xcnt 0x0
	s_or_b32 exec_lo, exec_lo, s0
	s_and_saveexec_b32 s0, s12
	s_cbranch_execz .LBB390_144
.LBB390_231:
	flat_store_b64 v[2:3], v[20:21] offset:22528
	s_wait_xcnt 0x0
	s_or_b32 exec_lo, exec_lo, s0
	s_and_saveexec_b32 s0, s13
	s_cbranch_execz .LBB390_145
.LBB390_232:
	flat_store_b64 v[2:3], v[14:15] offset:24576
	s_wait_xcnt 0x0
	s_or_b32 exec_lo, exec_lo, s0
	s_and_saveexec_b32 s0, s14
	s_cbranch_execz .LBB390_146
.LBB390_233:
	flat_store_b64 v[2:3], v[16:17] offset:26624
	s_wait_xcnt 0x0
	s_or_b32 exec_lo, exec_lo, s0
	s_and_saveexec_b32 s0, s15
	s_cbranch_execz .LBB390_147
.LBB390_234:
	flat_store_b64 v[2:3], v[10:11] offset:28672
	s_wait_xcnt 0x0
	s_or_b32 exec_lo, exec_lo, s0
	s_and_saveexec_b32 s0, s16
	s_cbranch_execz .LBB390_148
.LBB390_235:
	flat_store_b64 v[2:3], v[12:13] offset:30720
	s_wait_xcnt 0x0
	s_or_b32 exec_lo, exec_lo, s0
	s_and_saveexec_b32 s0, s17
	s_cbranch_execnz .LBB390_149
	s_branch .LBB390_150
.LBB390_236:
	s_or_b32 exec_lo, exec_lo, s26
	v_mad_nc_u64_u32 v[0:1], v0, 7, v[130:131]
	v_mad_nc_u64_u32 v[10:11], v68, 7, v[128:129]
	v_dual_add_nc_u32 v15, v12, v14 :: v_dual_mov_b32 v27, 0
	v_mad_nc_u64_u32 v[12:13], v70, 7, v[118:119]
	v_mad_nc_u64_u32 v[18:19], v82, 7, v[116:117]
	;; [unrolled: 1-line block ×3, first 2 shown]
	s_barrier_signal -1
	s_barrier_wait -1
	ds_store_b8 v130, v193
	ds_store_b8 v128, v194
	;; [unrolled: 1-line block ×8, first 2 shown]
	s_wait_dscnt 0x0
	s_barrier_signal -1
	s_barrier_wait -1
	ds_load_u8 v49, v15
	ds_load_u8 v48, v15 offset:256
	ds_load_u8 v39, v15 offset:512
	;; [unrolled: 1-line block ×7, first 2 shown]
	s_wait_dscnt 0x0
	s_barrier_signal -1
	v_mad_nc_u64_u32 v[52:53], v84, 7, v[112:113]
	s_barrier_wait -1
	ds_store_b64 v0, v[16:17]
	ds_store_b64 v10, v[20:21]
	;; [unrolled: 1-line block ×4, first 2 shown]
	v_mul_u32_u24_e32 v0, 7, v14
	v_mad_nc_u64_u32 v[54:55], v86, 7, v[102:103]
	v_mad_nc_u64_u32 v[64:65], v96, 7, v[100:101]
	ds_store_b64 v50, v[24:25]
	ds_store_b64 v52, v[30:31]
	;; [unrolled: 1-line block ×4, first 2 shown]
	v_add_nc_u32_e32 v0, v15, v0
	s_wait_dscnt 0x0
	s_barrier_signal -1
	s_barrier_wait -1
	ds_load_2addr_stride64_b64 v[22:25], v0 offset1:4
	ds_load_2addr_stride64_b64 v[18:21], v0 offset0:8 offset1:12
	ds_load_2addr_stride64_b64 v[14:17], v0 offset0:16 offset1:20
	;; [unrolled: 1-line block ×3, first 2 shown]
	v_add_nc_u64_e32 v[0:1], v[2:3], v[8:9]
	s_set_vgpr_msb 4                        ;  msbs: dst=0 src0=0 src1=1 src2=0
	v_cmp_lt_u32_e32 vcc_lo, v26, v20 /*v276*/
	s_wait_dscnt 0x0
	s_barrier_signal -1
	s_barrier_wait -1
	s_set_vgpr_msb 0                        ;  msbs: dst=0 src0=0 src1=0 src2=0
	v_add_nc_u64_e32 v[0:1], v[0:1], v[26:27]
	s_and_saveexec_b32 s0, vcc_lo
	s_cbranch_execz .LBB390_238
; %bb.237:
	v_xor_b32_e32 v2, 0x80, v49
	flat_store_b8 v[0:1], v2
.LBB390_238:
	s_wait_xcnt 0x0
	s_or_b32 exec_lo, exec_lo, s0
	v_add_nc_u32_e32 v2, 0x100, v26
	s_set_vgpr_msb 4                        ;  msbs: dst=0 src0=0 src1=1 src2=0
	s_delay_alu instid0(VALU_DEP_1)
	v_cmp_lt_u32_e64 s0, v2, v20 /*v276*/
	s_and_saveexec_b32 s1, s0
	s_set_vgpr_msb 0                        ;  msbs: dst=0 src0=0 src1=0 src2=0
	s_cbranch_execz .LBB390_240
; %bb.239:
	v_xor_b32_e32 v2, 0x80, v48
	flat_store_b8 v[0:1], v2 offset:256
.LBB390_240:
	s_wait_xcnt 0x0
	s_or_b32 exec_lo, exec_lo, s1
	v_add_nc_u32_e32 v2, 0x200, v26
	s_set_vgpr_msb 4                        ;  msbs: dst=0 src0=0 src1=1 src2=0
	s_delay_alu instid0(VALU_DEP_1)
	v_cmp_lt_u32_e64 s1, v2, v20 /*v276*/
	s_and_saveexec_b32 s2, s1
	s_set_vgpr_msb 0                        ;  msbs: dst=0 src0=0 src1=0 src2=0
	s_cbranch_execz .LBB390_242
; %bb.241:
	v_xor_b32_e32 v2, 0x80, v39
	flat_store_b8 v[0:1], v2 offset:512
.LBB390_242:
	;; [unrolled: 13-line block ×7, first 2 shown]
	s_wait_xcnt 0x0
	s_or_b32 exec_lo, exec_lo, s7
	v_lshl_add_u64 v[0:1], v[8:9], 3, v[6:7]
	s_delay_alu instid0(VALU_DEP_1)
	v_lshl_add_u64 v[0:1], v[26:27], 3, v[0:1]
	s_and_saveexec_b32 s7, vcc_lo
	s_cbranch_execnz .LBB390_302
; %bb.253:
	s_or_b32 exec_lo, exec_lo, s7
	s_and_saveexec_b32 s7, s0
	s_cbranch_execnz .LBB390_303
.LBB390_254:
	s_or_b32 exec_lo, exec_lo, s7
	s_and_saveexec_b32 s0, s1
	s_cbranch_execnz .LBB390_304
.LBB390_255:
	s_or_b32 exec_lo, exec_lo, s0
	s_and_saveexec_b32 s0, s2
	s_cbranch_execnz .LBB390_305
.LBB390_256:
	s_or_b32 exec_lo, exec_lo, s0
	s_and_saveexec_b32 s0, s3
	s_cbranch_execnz .LBB390_306
.LBB390_257:
	s_or_b32 exec_lo, exec_lo, s0
	s_and_saveexec_b32 s0, s4
	s_cbranch_execnz .LBB390_307
.LBB390_258:
	s_or_b32 exec_lo, exec_lo, s0
	s_and_saveexec_b32 s0, s5
	s_cbranch_execnz .LBB390_308
.LBB390_259:
	s_or_b32 exec_lo, exec_lo, s0
	s_and_saveexec_b32 s0, s6
	s_cbranch_execz .LBB390_261
.LBB390_260:
	flat_store_b64 v[0:1], v[12:13] offset:14336
.LBB390_261:
	s_wait_xcnt 0x0
	s_or_b32 exec_lo, exec_lo, s0
                                        ; implicit-def: $vgpr276
                                        ; implicit-def: $vgpr8
                                        ; implicit-def: $vgpr10
                                        ; implicit-def: $vgpr11
                                        ; implicit-def: $vgpr0_vgpr1
                                        ; implicit-def: $vgpr2_vgpr3
                                        ; implicit-def: $vgpr4_vgpr5
                                        ; implicit-def: $vgpr6_vgpr7
                                        ; implicit-def: $vgpr12_vgpr13
                                        ; implicit-def: $vgpr9
                                        ; implicit-def: $vgpr15
                                        ; implicit-def: $vgpr14
                                        ; implicit-def: $vgpr16
.LBB390_262:
	s_and_not1_saveexec_b32 s0, s24
	s_cbranch_execz .LBB390_382
; %bb.263:
	s_mov_b32 s0, exec_lo
	s_set_vgpr_msb 4                        ;  msbs: dst=0 src0=0 src1=1 src2=0
	v_cmpx_lt_u32_e32 0x200, v20 /*v276*/
	s_xor_b32 s20, exec_lo, s0
	s_set_vgpr_msb 0                        ;  msbs: dst=0 src0=0 src1=0 src2=0
	s_cbranch_execz .LBB390_323
; %bb.264:
	s_load_b64 s[0:1], s[8:9], 0x0
	s_bfe_u32 s3, ttmp6, 0x4000c
	s_bfe_u32 s5, ttmp6, 0x40010
	s_and_b32 s4, ttmp7, 0xffff
	s_add_co_i32 s3, s3, 1
	s_add_co_i32 s5, s5, 1
	s_and_b32 s2, ttmp6, 15
	s_bfe_u32 s6, ttmp6, 0x40004
	s_mul_i32 s3, ttmp9, s3
	s_mul_i32 s5, s4, s5
	s_add_co_i32 s2, s2, s3
	s_add_co_i32 s6, s6, s5
	s_cmp_eq_u32 s23, 0
	s_mov_b32 s3, 0
	s_cselect_b32 s2, ttmp9, s2
	s_cselect_b32 s4, s4, s6
	v_dual_mov_b32 v19, 0x7f :: v_dual_mov_b32 v22, 0x7f
	s_wait_kmcnt 0x0
	s_cmp_lt_u32 s2, s0
	s_cselect_b32 s2, 12, 18
	s_cmp_lt_u32 s4, s1
	s_mov_b32 s1, s3
	s_cselect_b32 s0, 14, 20
	s_delay_alu instid0(SALU_CYCLE_1)
	s_add_nc_u64 s[0:1], s[8:9], s[0:1]
	s_load_u16 s4, s[0:1], 0x0
	s_wait_xcnt 0x0
	s_add_nc_u64 s[0:1], s[8:9], s[2:3]
	s_load_u16 s0, s[0:1], 0x0
	s_wait_kmcnt 0x0
	v_mad_u32_u24 v9, v15, s4, v9
	v_mov_b32_e32 v15, 0x7f
	s_delay_alu instid0(VALU_DEP_2) | instskip(SKIP_1) | instid1(VALU_DEP_1)
	v_mad_u32 v18, v9, s0, v14
	v_mov_b32_e32 v9, 0
	v_add_nc_u64_e32 v[20:21], v[0:1], v[8:9]
	s_delay_alu instid0(VALU_DEP_3) | instskip(SKIP_1) | instid1(VALU_DEP_2)
	v_dual_mov_b32 v17, v9 :: v_dual_lshlrev_b32 v0, 2, v18
	v_mov_b32_e32 v1, v9
	v_and_b32_e32 v0, 0xffffff80, v0
	s_delay_alu instid0(VALU_DEP_3) | instskip(SKIP_1) | instid1(VALU_DEP_3)
	v_add_nc_u64_e32 v[20:21], v[20:21], v[16:17]
	v_mov_b32_e32 v17, 0x7f
	v_or_b32_e32 v23, v0, v16
	s_delay_alu instid0(VALU_DEP_3) | instskip(SKIP_1) | instid1(VALU_DEP_2)
	v_add_nc_u64_e32 v[20:21], v[20:21], v[0:1]
	s_set_vgpr_msb 4                        ;  msbs: dst=0 src0=0 src1=1 src2=0
	v_cmp_lt_u32_e32 vcc_lo, v23, v20 /*v276*/
	s_and_saveexec_b32 s0, vcc_lo
	s_set_vgpr_msb 0                        ;  msbs: dst=0 src0=0 src1=0 src2=0
	s_cbranch_execz .LBB390_266
; %bb.265:
	flat_load_u8 v15, v[20:21]
	v_dual_mov_b32 v17, 0x7f :: v_dual_mov_b32 v22, 0x7f
	v_mov_b32_e32 v19, 0x7f
.LBB390_266:
	s_wait_xcnt 0x0
	s_or_b32 exec_lo, exec_lo, s0
	v_or_b32_e32 v24, 32, v23
	s_set_vgpr_msb 4                        ;  msbs: dst=0 src0=0 src1=1 src2=0
	s_delay_alu instid0(VALU_DEP_1)
	v_cmp_lt_u32_e64 s0, v24, v20 /*v276*/
	s_and_saveexec_b32 s1, s0
	s_set_vgpr_msb 0                        ;  msbs: dst=0 src0=0 src1=0 src2=0
	s_cbranch_execz .LBB390_268
; %bb.267:
	flat_load_u8 v22, v[20:21] offset:32
.LBB390_268:
	s_wait_xcnt 0x0
	s_or_b32 exec_lo, exec_lo, s1
	v_or_b32_e32 v24, 64, v23
	s_set_vgpr_msb 4                        ;  msbs: dst=0 src0=0 src1=1 src2=0
	s_delay_alu instid0(VALU_DEP_1)
	v_cmp_lt_u32_e64 s1, v24, v20 /*v276*/
	s_and_saveexec_b32 s2, s1
	s_set_vgpr_msb 0                        ;  msbs: dst=0 src0=0 src1=0 src2=0
	s_cbranch_execz .LBB390_270
; %bb.269:
	flat_load_u8 v19, v[20:21] offset:64
.LBB390_270:
	;; [unrolled: 12-line block ×3, first 2 shown]
	s_wait_xcnt 0x0
	s_or_b32 exec_lo, exec_lo, s3
	v_lshl_add_u64 v[4:5], v[8:9], 3, v[4:5]
	v_dual_mov_b32 v21, 0 :: v_dual_lshlrev_b32 v20, 3, v16
                                        ; implicit-def: $vgpr26_vgpr27
	s_delay_alu instid0(VALU_DEP_1) | instskip(NEXT) | instid1(VALU_DEP_1)
	v_add_nc_u64_e32 v[4:5], v[4:5], v[20:21]
	v_lshl_add_u64 v[0:1], v[0:1], 3, v[4:5]
	s_and_saveexec_b32 s3, vcc_lo
	s_cbranch_execnz .LBB390_347
; %bb.273:
	s_or_b32 exec_lo, exec_lo, s3
                                        ; implicit-def: $vgpr28_vgpr29
	s_and_saveexec_b32 s3, s0
	s_cbranch_execnz .LBB390_348
.LBB390_274:
	s_or_b32 exec_lo, exec_lo, s3
                                        ; implicit-def: $vgpr30_vgpr31
	s_and_saveexec_b32 s0, s1
	s_cbranch_execnz .LBB390_349
.LBB390_275:
	s_or_b32 exec_lo, exec_lo, s0
                                        ; implicit-def: $vgpr32_vgpr33
	s_and_saveexec_b32 s0, s2
	s_cbranch_execz .LBB390_277
.LBB390_276:
	flat_load_b64 v[32:33], v[0:1] offset:768
.LBB390_277:
	s_wait_xcnt 0x0
	s_or_b32 exec_lo, exec_lo, s0
	s_wait_loadcnt_dscnt 0x0
	v_xor_b32_e32 v0, 0x80, v22
	v_xor_b32_e32 v1, 0x80, v17
	;; [unrolled: 1-line block ×4, first 2 shown]
	v_lshl_add_u32 v17, v14, 5, v12
	v_lshlrev_b16 v0, 8, v0
	v_lshlrev_b16 v1, 8, v1
	s_get_pc_i64 s[0:1]
	s_add_nc_u64 s[0:1], s[0:1], _ZN7rocprim17ROCPRIM_400000_NS16block_radix_sortIaLj256ELj4ElLj1ELj1ELj8ELNS0_26block_radix_rank_algorithmE2ELNS0_18block_padding_hintE2ELNS0_4arch9wavefront6targetE0EE19radix_bits_per_passE@rel64+4
	v_cmp_lt_u32_e64 s7, 31, v14
	v_add_nc_u32_e32 v69, 60, v17
	v_bitop3_b16 v0, v4, v0, 0xff bitop3:0xec
	v_bitop3_b16 v1, v5, v1, 0xff bitop3:0xec
	v_and_b32_e32 v4, 16, v16
	v_sub_co_u32 v5, s2, v16, 1
	s_delay_alu instid0(VALU_DEP_4) | instskip(NEXT) | instid1(VALU_DEP_4)
	v_and_b32_e32 v0, 0xffff, v0
	v_dual_lshlrev_b32 v1, 16, v1 :: v_dual_lshrrev_b32 v70, 5, v18
	s_delay_alu instid0(VALU_DEP_4) | instskip(NEXT) | instid1(VALU_DEP_4)
	v_cmp_eq_u32_e64 s4, 0, v4
	v_cmp_gt_i32_e64 s6, 0, v5
	s_load_b32 s21, s[0:1], 0x0
	v_or_b32_e32 v80, v0, v1
	v_and_b32_e32 v0, 0x3e0, v14
	v_dual_add_nc_u32 v68, 56, v17 :: v_dual_bitop2_b32 v1, 15, v16 bitop3:0x40
	v_dual_add_nc_u32 v15, 32, v17 :: v_dual_add_nc_u32 v19, 36, v17
	s_delay_alu instid0(VALU_DEP_3) | instskip(NEXT) | instid1(VALU_DEP_3)
	v_min_u32_e32 v0, 0xe0, v0
	v_cmp_eq_u32_e32 vcc_lo, 0, v1
	s_wait_xcnt 0x0
	v_cmp_lt_u32_e64 s0, 1, v1
	v_lshlrev_b32_e32 v4, 2, v14
	v_cmp_lt_u32_e64 s1, 3, v1
	v_or_b32_e32 v0, 31, v0
	v_cmp_lt_u32_e64 s3, 7, v1
	v_cndmask_b32_e64 v1, v5, v16, s6
	v_and_or_b32 v5, 0xf80, v4, v16
	v_dual_add_nc_u32 v64, 40, v17 :: v_dual_add_nc_u32 v65, 44, v17
	v_cmp_eq_u32_e64 s5, v14, v0
	v_dual_lshrrev_b32 v0, 3, v14 :: v_dual_add_nc_u32 v66, 48, v17
	v_add_nc_u32_e32 v67, 52, v17
	v_cmp_gt_u32_e64 s6, 8, v14
	v_cmp_eq_u32_e64 s10, 0, v14
	s_delay_alu instid0(VALU_DEP_4) | instskip(SKIP_3) | instid1(VALU_DEP_4)
	v_and_b32_e32 v0, 0x7c, v0
	v_add_nc_u32_e32 v82, v12, v5
	v_mul_u32_u24_e32 v5, 7, v5
	v_dual_add_nc_u32 v83, v12, v4 :: v_dual_sub_nc_u32 v100, v11, v10
	v_add_nc_u32_e32 v81, v12, v0
	s_delay_alu instid0(VALU_DEP_3) | instskip(SKIP_2) | instid1(VALU_DEP_3)
	v_dual_add_nc_u32 v84, v82, v5 :: v_dual_bitop2_b32 v0, 7, v16 bitop3:0x40
	v_mov_b64_e32 v[4:5], 0
	v_dual_lshlrev_b32 v71, 2, v1 :: v_dual_mov_b32 v1, 0
	v_cmp_eq_u32_e64 s11, 0, v0
	v_cmp_lt_u32_e64 s12, 1, v0
	v_cmp_lt_u32_e64 s13, 3, v0
	v_dual_add_nc_u32 v85, -4, v81 :: v_dual_add_nc_u32 v86, 32, v82
	v_add_nc_u32_e32 v87, 64, v82
	v_add_nc_u32_e32 v96, 0x60, v82
	;; [unrolled: 1-line block ×5, first 2 shown]
	s_mov_b32 s24, 0
	s_wait_storecnt 0x0
	s_barrier_signal -1
	s_barrier_wait -1
	s_branch .LBB390_279
.LBB390_278:                            ;   in Loop: Header=BB390_279 Depth=1
	s_or_b32 exec_lo, exec_lo, s15
	s_delay_alu instid0(SALU_CYCLE_1) | instskip(NEXT) | instid1(SALU_CYCLE_1)
	s_and_b32 s14, exec_lo, s16
	s_or_b32 s24, s14, s24
	s_delay_alu instid0(SALU_CYCLE_1)
	s_and_not1_b32 exec_lo, exec_lo, s24
	s_cbranch_execz .LBB390_309
.LBB390_279:                            ; =>This Inner Loop Header: Depth=1
	s_wait_kmcnt 0x0
	v_min_u32_e32 v0, s21, v100
	v_and_b32_e32 v16, 0xff, v80
	ds_store_b64 v15, v[4:5]
	ds_store_b64 v64, v[4:5]
	;; [unrolled: 1-line block ×4, first 2 shown]
	s_wait_dscnt 0x0
	v_lshlrev_b32_e64 v34, v0, -1
	v_lshrrev_b32_e32 v0, v10, v16
	s_barrier_signal -1
	s_barrier_wait -1
	s_delay_alu instid0(VALU_DEP_1) | instskip(SKIP_1) | instid1(VALU_DEP_2)
	v_bitop3_b32 v16, v0, 1, v34 bitop3:0x40
	v_bitop3_b32 v0, v0, v34, v0 bitop3:0x30
	; wave barrier
	v_add_co_u32 v16, s14, v16, -1
	s_delay_alu instid0(VALU_DEP_1) | instskip(NEXT) | instid1(VALU_DEP_3)
	v_cndmask_b32_e64 v17, 0, 1, s14
	v_dual_lshlrev_b32 v20, 30, v0 :: v_dual_lshlrev_b32 v21, 29, v0
	v_dual_lshlrev_b32 v22, 28, v0 :: v_dual_lshlrev_b32 v23, 27, v0
	s_delay_alu instid0(VALU_DEP_3) | instskip(NEXT) | instid1(VALU_DEP_3)
	v_cmp_ne_u32_e64 s14, 0, v17
	v_not_b32_e32 v17, v20
	v_dual_lshlrev_b32 v24, 26, v0 :: v_dual_lshlrev_b32 v25, 25, v0
	v_cmp_gt_i32_e64 s15, 0, v20
	v_cmp_gt_i32_e64 s16, 0, v21
	v_not_b32_e32 v20, v21
	v_not_b32_e32 v21, v22
	v_dual_ashrrev_i32 v17, 31, v17 :: v_dual_lshlrev_b32 v35, 24, v0
	v_cmp_gt_i32_e64 s17, 0, v22
	v_cmp_gt_i32_e64 s18, 0, v23
	v_not_b32_e32 v22, v23
	v_xor_b32_e32 v16, s14, v16
	v_dual_ashrrev_i32 v20, 31, v20 :: v_dual_bitop2_b32 v17, s15, v17 bitop3:0x14
	v_ashrrev_i32_e32 v21, 31, v21
	v_not_b32_e32 v23, v24
	v_cmp_gt_i32_e64 s19, 0, v24
	s_delay_alu instid0(VALU_DEP_4) | instskip(SKIP_1) | instid1(VALU_DEP_4)
	v_dual_ashrrev_i32 v22, 31, v22 :: v_dual_bitop2_b32 v20, s16, v20 bitop3:0x14
	v_bitop3_b32 v16, v16, v17, exec_lo bitop3:0x80
	v_ashrrev_i32_e32 v17, 31, v23
	v_not_b32_e32 v23, v25
	v_xor_b32_e32 v21, s17, v21
	v_not_b32_e32 v24, v35
	v_xor_b32_e32 v22, s18, v22
	v_dual_lshlrev_b32 v0, 3, v0 :: v_dual_bitop2_b32 v17, s19, v17 bitop3:0x14
	s_delay_alu instid0(VALU_DEP_4)
	v_bitop3_b32 v16, v16, v21, v20 bitop3:0x80
	v_cmp_gt_i32_e64 s14, 0, v25
	v_ashrrev_i32_e32 v20, 31, v23
	v_cmp_gt_i32_e64 s15, 0, v35
	v_ashrrev_i32_e32 v21, 31, v24
	v_bitop3_b32 v24, v16, v17, v22 bitop3:0x80
	v_add_lshl_u32 v0, v0, v70, 2
	v_xor_b32_e32 v25, s14, v20
	v_mov_b64_e32 v[22:23], v[28:29]
	v_xor_b32_e32 v35, s15, v21
	v_mov_b64_e32 v[16:17], v[26:27]
	v_add_nc_u64_e32 v[26:27], v[12:13], v[0:1]
	v_mov_b64_e32 v[20:21], v[30:31]
	s_delay_alu instid0(VALU_DEP_4) | instskip(SKIP_1) | instid1(VALU_DEP_4)
	v_bitop3_b32 v28, v24, v35, v25 bitop3:0x80
	v_mov_b64_e32 v[24:25], v[32:33]
	v_add_nc_u64_e32 v[26:27], 32, v[26:27]
	s_delay_alu instid0(VALU_DEP_3) | instskip(SKIP_1) | instid1(VALU_DEP_2)
	v_mbcnt_lo_u32_b32 v0, v28, 0
	v_cmp_ne_u32_e64 s15, 0, v28
	v_cmp_eq_u32_e64 s14, 0, v0
	s_and_b32 s15, s15, s14
	s_delay_alu instid0(SALU_CYCLE_1)
	s_and_saveexec_b32 s14, s15
; %bb.280:                              ;   in Loop: Header=BB390_279 Depth=1
	v_bcnt_u32_b32 v27, v28, 0
	ds_store_b32 v26, v27
; %bb.281:                              ;   in Loop: Header=BB390_279 Depth=1
	s_or_b32 exec_lo, exec_lo, s14
	v_bfe_u32 v27, v80, 8, 8
	v_not_b32_e32 v33, v34
	; wave barrier
	s_delay_alu instid0(VALU_DEP_2) | instskip(NEXT) | instid1(VALU_DEP_1)
	v_lshrrev_b32_e32 v27, v10, v27
	v_and_b32_e32 v28, v27, v33
	s_delay_alu instid0(VALU_DEP_1) | instskip(SKIP_1) | instid1(VALU_DEP_2)
	v_lshlrev_b32_e32 v31, 30, v28
	v_bitop3_b32 v27, v27, 1, v33 bitop3:0x80
	v_cmp_gt_i32_e64 s15, 0, v31
	s_delay_alu instid0(VALU_DEP_2) | instskip(NEXT) | instid1(VALU_DEP_1)
	v_add_co_u32 v27, s14, v27, -1
	v_cndmask_b32_e64 v30, 0, 1, s14
	s_delay_alu instid0(VALU_DEP_1) | instskip(SKIP_1) | instid1(VALU_DEP_1)
	v_cmp_ne_u32_e64 s14, 0, v30
	v_not_b32_e32 v30, v31
	v_dual_ashrrev_i32 v30, 31, v30 :: v_dual_lshlrev_b32 v32, 29, v28
	v_dual_lshlrev_b32 v34, 28, v28 :: v_dual_lshlrev_b32 v35, 27, v28
	v_lshlrev_b32_e32 v36, 26, v28
	v_lshl_add_u32 v29, v28, 3, v70
	s_delay_alu instid0(VALU_DEP_4)
	v_cmp_gt_i32_e64 s16, 0, v32
	v_not_b32_e32 v31, v32
	v_not_b32_e32 v32, v34
	v_dual_lshlrev_b32 v37, 25, v28 :: v_dual_lshlrev_b32 v28, 24, v28
	v_cmp_gt_i32_e64 s17, 0, v34
	v_cmp_gt_i32_e64 s18, 0, v35
	v_not_b32_e32 v34, v35
	v_dual_ashrrev_i32 v32, 31, v32 :: v_dual_bitop2_b32 v27, s14, v27 bitop3:0x14
	v_dual_ashrrev_i32 v31, 31, v31 :: v_dual_bitop2_b32 v30, s15, v30 bitop3:0x14
	v_not_b32_e32 v35, v36
	v_cmp_gt_i32_e64 s19, 0, v36
	s_delay_alu instid0(VALU_DEP_3)
	v_dual_ashrrev_i32 v34, 31, v34 :: v_dual_bitop2_b32 v31, s16, v31 bitop3:0x14
	v_xor_b32_e32 v32, s17, v32
	v_bitop3_b32 v27, v27, v30, exec_lo bitop3:0x80
	v_ashrrev_i32_e32 v30, 31, v35
	v_not_b32_e32 v35, v37
	v_not_b32_e32 v36, v28
	v_xor_b32_e32 v34, s18, v34
	v_bitop3_b32 v27, v27, v32, v31 bitop3:0x80
	v_xor_b32_e32 v30, s19, v30
	v_cmp_gt_i32_e64 s14, 0, v37
	v_ashrrev_i32_e32 v31, 31, v35
	v_cmp_gt_i32_e64 s15, 0, v28
	v_ashrrev_i32_e32 v28, 31, v36
	v_lshl_add_u32 v29, v29, 2, v12
	v_bitop3_b32 v30, v27, v30, v34 bitop3:0x80
	v_xor_b32_e32 v31, s14, v31
	s_delay_alu instid0(VALU_DEP_4) | instskip(SKIP_3) | instid1(VALU_DEP_1)
	v_xor_b32_e32 v28, s15, v28
	ds_load_b32 v27, v29 offset:32
	v_add_nc_u32_e32 v29, 32, v29
	; wave barrier
	v_bitop3_b32 v30, v30, v28, v31 bitop3:0x80
	v_mbcnt_lo_u32_b32 v28, v30, 0
	v_cmp_ne_u32_e64 s15, 0, v30
	s_delay_alu instid0(VALU_DEP_2) | instskip(SKIP_1) | instid1(SALU_CYCLE_1)
	v_cmp_eq_u32_e64 s14, 0, v28
	s_and_b32 s15, s15, s14
	s_and_saveexec_b32 s14, s15
	s_cbranch_execz .LBB390_283
; %bb.282:                              ;   in Loop: Header=BB390_279 Depth=1
	s_wait_dscnt 0x0
	v_bcnt_u32_b32 v30, v30, v27
	ds_store_b32 v29, v30
.LBB390_283:                            ;   in Loop: Header=BB390_279 Depth=1
	s_or_b32 exec_lo, exec_lo, s14
	v_bfe_u32 v30, v80, 16, 8
	; wave barrier
	s_delay_alu instid0(VALU_DEP_1) | instskip(NEXT) | instid1(VALU_DEP_1)
	v_lshrrev_b32_e32 v30, v10, v30
	v_and_b32_e32 v31, v30, v33
	s_delay_alu instid0(VALU_DEP_1) | instskip(SKIP_1) | instid1(VALU_DEP_2)
	v_lshlrev_b32_e32 v35, 30, v31
	v_bitop3_b32 v30, v30, 1, v33 bitop3:0x80
	v_cmp_gt_i32_e64 s15, 0, v35
	s_delay_alu instid0(VALU_DEP_2) | instskip(NEXT) | instid1(VALU_DEP_1)
	v_add_co_u32 v30, s14, v30, -1
	v_cndmask_b32_e64 v34, 0, 1, s14
	s_delay_alu instid0(VALU_DEP_1) | instskip(SKIP_1) | instid1(VALU_DEP_1)
	v_cmp_ne_u32_e64 s14, 0, v34
	v_not_b32_e32 v34, v35
	v_dual_ashrrev_i32 v34, 31, v34 :: v_dual_lshlrev_b32 v36, 29, v31
	v_dual_lshlrev_b32 v37, 28, v31 :: v_dual_lshlrev_b32 v38, 27, v31
	v_lshlrev_b32_e32 v39, 26, v31
	v_lshl_add_u32 v32, v31, 3, v70
	s_delay_alu instid0(VALU_DEP_4)
	v_cmp_gt_i32_e64 s16, 0, v36
	v_not_b32_e32 v35, v36
	v_not_b32_e32 v36, v37
	v_dual_lshlrev_b32 v48, 25, v31 :: v_dual_lshlrev_b32 v31, 24, v31
	v_cmp_gt_i32_e64 s17, 0, v37
	v_cmp_gt_i32_e64 s18, 0, v38
	v_not_b32_e32 v37, v38
	v_not_b32_e32 v38, v39
	v_dual_ashrrev_i32 v35, 31, v35 :: v_dual_bitop2_b32 v30, s14, v30 bitop3:0x14
	v_dual_ashrrev_i32 v36, 31, v36 :: v_dual_bitop2_b32 v34, s15, v34 bitop3:0x14
	v_cmp_gt_i32_e64 s19, 0, v39
	s_delay_alu instid0(VALU_DEP_4) | instskip(SKIP_1) | instid1(VALU_DEP_4)
	v_dual_ashrrev_i32 v37, 31, v37 :: v_dual_ashrrev_i32 v38, 31, v38
	v_not_b32_e32 v39, v31
	v_xor_b32_e32 v36, s17, v36
	v_bitop3_b32 v30, v30, v34, exec_lo bitop3:0x80
	v_not_b32_e32 v34, v48
	v_xor_b32_e32 v35, s16, v35
	v_xor_b32_e32 v38, s19, v38
	v_cmp_gt_i32_e64 s14, 0, v48
	v_cmp_gt_i32_e64 s15, 0, v31
	v_dual_ashrrev_i32 v34, 31, v34 :: v_dual_ashrrev_i32 v31, 31, v39
	v_bitop3_b32 v30, v30, v36, v35 bitop3:0x80
	v_lshl_add_u32 v32, v32, 2, v12
	v_xor_b32_e32 v37, s18, v37
	s_delay_alu instid0(VALU_DEP_4) | instskip(SKIP_1) | instid1(VALU_DEP_3)
	v_xor_b32_e32 v34, s14, v34
	v_xor_b32_e32 v31, s15, v31
	v_bitop3_b32 v35, v30, v38, v37 bitop3:0x80
	ds_load_b32 v30, v32 offset:32
	v_add_nc_u32_e32 v32, 32, v32
	; wave barrier
	v_bitop3_b32 v34, v35, v31, v34 bitop3:0x80
	s_delay_alu instid0(VALU_DEP_1) | instskip(SKIP_1) | instid1(VALU_DEP_2)
	v_mbcnt_lo_u32_b32 v31, v34, 0
	v_cmp_ne_u32_e64 s15, 0, v34
	v_cmp_eq_u32_e64 s14, 0, v31
	s_and_b32 s15, s15, s14
	s_delay_alu instid0(SALU_CYCLE_1)
	s_and_saveexec_b32 s14, s15
	s_cbranch_execz .LBB390_285
; %bb.284:                              ;   in Loop: Header=BB390_279 Depth=1
	s_wait_dscnt 0x0
	v_bcnt_u32_b32 v34, v34, v30
	ds_store_b32 v32, v34
.LBB390_285:                            ;   in Loop: Header=BB390_279 Depth=1
	s_or_b32 exec_lo, exec_lo, s14
	v_lshrrev_b32_e32 v101, 24, v80
	; wave barrier
	s_delay_alu instid0(VALU_DEP_1) | instskip(NEXT) | instid1(VALU_DEP_1)
	v_lshrrev_b32_e32 v34, v10, v101
	v_and_b32_e32 v35, v34, v33
	s_delay_alu instid0(VALU_DEP_1) | instskip(SKIP_3) | instid1(VALU_DEP_3)
	v_lshlrev_b32_e32 v37, 30, v35
	v_bitop3_b32 v33, v34, 1, v33 bitop3:0x80
	v_dual_lshlrev_b32 v38, 29, v35 :: v_dual_lshlrev_b32 v39, 28, v35
	v_dual_lshlrev_b32 v48, 27, v35 :: v_dual_lshlrev_b32 v49, 26, v35
	v_add_co_u32 v33, s14, v33, -1
	s_delay_alu instid0(VALU_DEP_1)
	v_cndmask_b32_e64 v36, 0, 1, s14
	v_cmp_gt_i32_e64 s15, 0, v37
	v_cmp_gt_i32_e64 s16, 0, v38
	v_lshl_add_u32 v34, v35, 3, v70
	v_dual_lshlrev_b32 v50, 25, v35 :: v_dual_lshlrev_b32 v35, 24, v35
	v_cmp_ne_u32_e64 s14, 0, v36
	v_not_b32_e32 v36, v37
	v_not_b32_e32 v37, v38
	;; [unrolled: 1-line block ×3, first 2 shown]
	v_cmp_gt_i32_e64 s17, 0, v39
	v_cmp_gt_i32_e64 s18, 0, v48
	v_dual_ashrrev_i32 v36, 31, v36 :: v_dual_bitop2_b32 v33, s14, v33 bitop3:0x14
	v_not_b32_e32 v39, v48
	v_not_b32_e32 v48, v49
	v_dual_ashrrev_i32 v37, 31, v37 :: v_dual_ashrrev_i32 v38, 31, v38
	s_delay_alu instid0(VALU_DEP_3) | instskip(SKIP_1) | instid1(VALU_DEP_3)
	v_dual_ashrrev_i32 v39, 31, v39 :: v_dual_bitop2_b32 v36, s15, v36 bitop3:0x14
	v_cmp_gt_i32_e64 s19, 0, v49
	v_dual_ashrrev_i32 v48, 31, v48 :: v_dual_bitop2_b32 v37, s16, v37 bitop3:0x14
	s_delay_alu instid0(VALU_DEP_3)
	v_bitop3_b32 v33, v33, v36, exec_lo bitop3:0x80
	v_not_b32_e32 v36, v50
	v_xor_b32_e32 v38, s17, v38
	v_not_b32_e32 v49, v35
	v_xor_b32_e32 v39, s18, v39
	v_cmp_gt_i32_e64 s14, 0, v50
	v_ashrrev_i32_e32 v36, 31, v36
	v_bitop3_b32 v33, v33, v38, v37 bitop3:0x80
	v_cmp_gt_i32_e64 s15, 0, v35
	v_ashrrev_i32_e32 v35, 31, v49
	v_lshl_add_u32 v37, v34, 2, v12
	v_xor_b32_e32 v48, s19, v48
	v_xor_b32_e32 v36, s14, v36
	s_delay_alu instid0(VALU_DEP_4) | instskip(NEXT) | instid1(VALU_DEP_3)
	v_xor_b32_e32 v35, s15, v35
	v_bitop3_b32 v34, v33, v48, v39 bitop3:0x80
	ds_load_b32 v33, v37 offset:32
	; wave barrier
	v_bitop3_b32 v36, v34, v35, v36 bitop3:0x80
	v_add_nc_u32_e32 v35, 32, v37
	s_delay_alu instid0(VALU_DEP_2) | instskip(SKIP_1) | instid1(VALU_DEP_2)
	v_mbcnt_lo_u32_b32 v34, v36, 0
	v_cmp_ne_u32_e64 s15, 0, v36
	v_cmp_eq_u32_e64 s14, 0, v34
	s_and_b32 s15, s15, s14
	s_delay_alu instid0(SALU_CYCLE_1)
	s_and_saveexec_b32 s14, s15
	s_cbranch_execz .LBB390_287
; %bb.286:                              ;   in Loop: Header=BB390_279 Depth=1
	s_wait_dscnt 0x0
	v_bcnt_u32_b32 v36, v36, v33
	ds_store_b32 v35, v36
.LBB390_287:                            ;   in Loop: Header=BB390_279 Depth=1
	s_or_b32 exec_lo, exec_lo, s14
	; wave barrier
	s_wait_dscnt 0x0
	s_barrier_signal -1
	s_barrier_wait -1
	ds_load_b32 v37, v15
	ds_load_b32 v38, v19
	;; [unrolled: 1-line block ×8, first 2 shown]
	s_wait_dscnt 0x6
	v_add_nc_u32_e32 v52, v38, v37
	s_wait_dscnt 0x4
	s_delay_alu instid0(VALU_DEP_1) | instskip(SKIP_1) | instid1(VALU_DEP_1)
	v_add3_u32 v52, v52, v39, v48
	s_wait_dscnt 0x2
	v_add3_u32 v52, v52, v49, v50
	s_wait_dscnt 0x0
	s_delay_alu instid0(VALU_DEP_1) | instskip(NEXT) | instid1(VALU_DEP_1)
	v_add3_u32 v51, v52, v36, v51
	v_mov_b32_dpp v52, v51 row_shr:1 row_mask:0xf bank_mask:0xf
	s_delay_alu instid0(VALU_DEP_1) | instskip(NEXT) | instid1(VALU_DEP_1)
	v_cndmask_b32_e64 v52, v52, 0, vcc_lo
	v_add_nc_u32_e32 v51, v52, v51
	s_delay_alu instid0(VALU_DEP_1) | instskip(NEXT) | instid1(VALU_DEP_1)
	v_mov_b32_dpp v52, v51 row_shr:2 row_mask:0xf bank_mask:0xf
	v_cndmask_b32_e64 v52, 0, v52, s0
	s_delay_alu instid0(VALU_DEP_1) | instskip(NEXT) | instid1(VALU_DEP_1)
	v_add_nc_u32_e32 v51, v51, v52
	v_mov_b32_dpp v52, v51 row_shr:4 row_mask:0xf bank_mask:0xf
	s_delay_alu instid0(VALU_DEP_1) | instskip(NEXT) | instid1(VALU_DEP_1)
	v_cndmask_b32_e64 v52, 0, v52, s1
	v_add_nc_u32_e32 v51, v51, v52
	s_delay_alu instid0(VALU_DEP_1) | instskip(NEXT) | instid1(VALU_DEP_1)
	v_mov_b32_dpp v52, v51 row_shr:8 row_mask:0xf bank_mask:0xf
	v_cndmask_b32_e64 v52, 0, v52, s3
	s_delay_alu instid0(VALU_DEP_1) | instskip(SKIP_3) | instid1(VALU_DEP_1)
	v_add_nc_u32_e32 v51, v51, v52
	ds_swizzle_b32 v52, v51 offset:swizzle(BROADCAST,32,15)
	s_wait_dscnt 0x0
	v_cndmask_b32_e64 v52, v52, 0, s4
	v_add_nc_u32_e32 v51, v51, v52
	s_and_saveexec_b32 s14, s5
; %bb.288:                              ;   in Loop: Header=BB390_279 Depth=1
	ds_store_b32 v81, v51
; %bb.289:                              ;   in Loop: Header=BB390_279 Depth=1
	s_or_b32 exec_lo, exec_lo, s14
	s_wait_dscnt 0x0
	s_barrier_signal -1
	s_barrier_wait -1
	s_and_saveexec_b32 s14, s6
	s_cbranch_execz .LBB390_291
; %bb.290:                              ;   in Loop: Header=BB390_279 Depth=1
	ds_load_b32 v52, v83
	s_wait_dscnt 0x0
	v_mov_b32_dpp v53, v52 row_shr:1 row_mask:0xf bank_mask:0xf
	s_delay_alu instid0(VALU_DEP_1) | instskip(NEXT) | instid1(VALU_DEP_1)
	v_cndmask_b32_e64 v53, v53, 0, s11
	v_add_nc_u32_e32 v52, v53, v52
	s_delay_alu instid0(VALU_DEP_1) | instskip(NEXT) | instid1(VALU_DEP_1)
	v_mov_b32_dpp v53, v52 row_shr:2 row_mask:0xf bank_mask:0xf
	v_cndmask_b32_e64 v53, 0, v53, s12
	s_delay_alu instid0(VALU_DEP_1) | instskip(NEXT) | instid1(VALU_DEP_1)
	v_add_nc_u32_e32 v52, v52, v53
	v_mov_b32_dpp v53, v52 row_shr:4 row_mask:0xf bank_mask:0xf
	s_delay_alu instid0(VALU_DEP_1) | instskip(NEXT) | instid1(VALU_DEP_1)
	v_cndmask_b32_e64 v53, 0, v53, s13
	v_add_nc_u32_e32 v52, v52, v53
	ds_store_b32 v83, v52
.LBB390_291:                            ;   in Loop: Header=BB390_279 Depth=1
	s_or_b32 exec_lo, exec_lo, s14
	v_mov_b32_e32 v52, 0
	s_wait_dscnt 0x0
	s_barrier_signal -1
	s_barrier_wait -1
	s_and_saveexec_b32 s14, s7
; %bb.292:                              ;   in Loop: Header=BB390_279 Depth=1
	ds_load_b32 v52, v85
; %bb.293:                              ;   in Loop: Header=BB390_279 Depth=1
	s_or_b32 exec_lo, exec_lo, s14
	s_wait_dscnt 0x0
	v_dual_add_nc_u32 v51, v52, v51 :: v_dual_lshrrev_b32 v103, 8, v80
	s_mov_b32 s16, -1
	s_mov_b32 s15, exec_lo
	v_add_nc_u32_e32 v10, 8, v10
	ds_bpermute_b32 v51, v71, v51
	s_wait_dscnt 0x0
	v_dual_mov_b32 v102, v80 :: v_dual_cndmask_b32 v51, v51, v52, s2
	s_delay_alu instid0(VALU_DEP_1) | instskip(NEXT) | instid1(VALU_DEP_1)
	v_cndmask_b32_e64 v51, v51, 0, s10
	v_add_nc_u32_e32 v37, v51, v37
	s_delay_alu instid0(VALU_DEP_1) | instskip(NEXT) | instid1(VALU_DEP_1)
	v_add_nc_u32_e32 v38, v37, v38
	v_add_nc_u32_e32 v39, v38, v39
	s_delay_alu instid0(VALU_DEP_1) | instskip(NEXT) | instid1(VALU_DEP_1)
	v_add_nc_u32_e32 v48, v39, v48
	v_add_nc_u32_e32 v49, v48, v49
	s_delay_alu instid0(VALU_DEP_1)
	v_add_nc_u32_e32 v50, v49, v50
	ds_store_b32 v15, v51
	ds_store_b32 v19, v37
	;; [unrolled: 1-line block ×3, first 2 shown]
	v_dual_mov_b32 v37, v1 :: v_dual_add_nc_u32 v36, v50, v36
	ds_store_b32 v65, v39
	ds_store_b32 v66, v48
	;; [unrolled: 1-line block ×5, first 2 shown]
	s_wait_dscnt 0x0
	s_barrier_signal -1
	s_barrier_wait -1
	ds_load_b32 v26, v26
	ds_load_b32 v29, v29
	;; [unrolled: 1-line block ×4, first 2 shown]
	v_dual_mov_b32 v49, v1 :: v_dual_mov_b32 v39, v1
	s_wait_dscnt 0x0
	v_add_nc_u32_e32 v48, v26, v0
	v_add3_u32 v0, v28, v27, v29
	v_add3_u32 v38, v31, v30, v32
	;; [unrolled: 1-line block ×3, first 2 shown]
                                        ; implicit-def: $vgpr26_vgpr27
                                        ; implicit-def: $vgpr28_vgpr29
                                        ; implicit-def: $vgpr30_vgpr31
                                        ; implicit-def: $vgpr32_vgpr33
	s_delay_alu instid0(VALU_DEP_4) | instskip(NEXT) | instid1(VALU_DEP_4)
	v_add_nc_u64_e32 v[54:55], v[12:13], v[48:49]
	v_add_nc_u64_e32 v[52:53], v[12:13], v[0:1]
	s_delay_alu instid0(VALU_DEP_4) | instskip(NEXT) | instid1(VALU_DEP_3)
	v_add_nc_u64_e32 v[50:51], v[12:13], v[38:39]
	v_mad_nc_u64_u32 v[34:35], v48, 7, v[54:55]
	v_add_nc_u64_e32 v[48:49], v[12:13], v[36:37]
	v_lshrrev_b32_e32 v35, 16, v80
	v_cmpx_lt_u32_e64 v10, v11
	s_cbranch_execz .LBB390_278
; %bb.294:                              ;   in Loop: Header=BB390_279 Depth=1
	v_mad_nc_u64_u32 v[26:27], v0, 7, v[52:53]
	v_mad_nc_u64_u32 v[28:29], v38, 7, v[50:51]
	s_barrier_signal -1
	s_barrier_wait -1
	ds_store_b8 v54, v80
	ds_store_b8 v52, v103
	;; [unrolled: 1-line block ×4, first 2 shown]
	s_wait_dscnt 0x0
	s_barrier_signal -1
	s_barrier_wait -1
	ds_load_u8 v37, v86
	v_mad_nc_u64_u32 v[30:31], v36, 7, v[48:49]
	ds_load_u8 v39, v82
	ds_load_u8 v55, v96
	;; [unrolled: 1-line block ×3, first 2 shown]
	s_wait_dscnt 0x0
	s_barrier_signal -1
	s_barrier_wait -1
	ds_store_b64 v34, v[16:17]
	ds_store_b64 v26, v[22:23]
	;; [unrolled: 1-line block ×4, first 2 shown]
	s_wait_dscnt 0x0
	s_barrier_signal -1
	s_barrier_wait -1
	ds_load_b64 v[26:27], v84
	ds_load_b64 v[28:29], v97
	;; [unrolled: 1-line block ×4, first 2 shown]
	v_add_nc_u32_e32 v100, -8, v100
	s_xor_b32 s16, exec_lo, -1
	s_wait_dscnt 0x0
	s_barrier_signal -1
	s_barrier_wait -1
	v_perm_b32 v37, v39, v37, 0xc0c0004
	v_perm_b32 v39, v80, v55, 0xc0c0004
	s_delay_alu instid0(VALU_DEP_1)
	v_lshl_or_b32 v80, v39, 16, v37
	s_branch .LBB390_278
.LBB390_295:
	flat_load_b64 v[52:53], v[0:1]
	s_wait_xcnt 0x0
	s_or_b32 exec_lo, exec_lo, s7
                                        ; implicit-def: $vgpr54_vgpr55
	s_and_saveexec_b32 s7, s0
	s_cbranch_execz .LBB390_171
.LBB390_296:
	flat_load_b64 v[54:55], v[0:1] offset:256
	s_wait_xcnt 0x0
	s_or_b32 exec_lo, exec_lo, s7
                                        ; implicit-def: $vgpr66_vgpr67
	s_and_saveexec_b32 s0, s1
	s_cbranch_execz .LBB390_172
.LBB390_297:
	flat_load_b64 v[66:67], v[0:1] offset:512
	s_wait_xcnt 0x0
	s_or_b32 exec_lo, exec_lo, s0
                                        ; implicit-def: $vgpr36_vgpr37
	s_and_saveexec_b32 s0, s2
	s_cbranch_execz .LBB390_173
.LBB390_298:
	flat_load_b64 v[36:37], v[0:1] offset:768
	s_wait_xcnt 0x0
	s_or_b32 exec_lo, exec_lo, s0
                                        ; implicit-def: $vgpr38_vgpr39
	s_and_saveexec_b32 s0, s3
	s_cbranch_execz .LBB390_174
.LBB390_299:
	flat_load_b64 v[38:39], v[0:1] offset:1024
	s_wait_xcnt 0x0
	s_or_b32 exec_lo, exec_lo, s0
                                        ; implicit-def: $vgpr48_vgpr49
	s_and_saveexec_b32 s0, s4
	s_cbranch_execz .LBB390_175
.LBB390_300:
	flat_load_b64 v[48:49], v[0:1] offset:1280
	s_wait_xcnt 0x0
	s_or_b32 exec_lo, exec_lo, s0
                                        ; implicit-def: $vgpr50_vgpr51
	s_and_saveexec_b32 s0, s5
	s_cbranch_execz .LBB390_176
.LBB390_301:
	flat_load_b64 v[50:51], v[0:1] offset:1536
	s_wait_xcnt 0x0
	s_or_b32 exec_lo, exec_lo, s0
                                        ; implicit-def: $vgpr64_vgpr65
	s_and_saveexec_b32 s0, s6
	s_cbranch_execnz .LBB390_177
	s_branch .LBB390_178
.LBB390_302:
	flat_store_b64 v[0:1], v[22:23]
	s_wait_xcnt 0x0
	s_or_b32 exec_lo, exec_lo, s7
	s_and_saveexec_b32 s7, s0
	s_cbranch_execz .LBB390_254
.LBB390_303:
	flat_store_b64 v[0:1], v[24:25] offset:2048
	s_wait_xcnt 0x0
	s_or_b32 exec_lo, exec_lo, s7
	s_and_saveexec_b32 s0, s1
	s_cbranch_execz .LBB390_255
.LBB390_304:
	flat_store_b64 v[0:1], v[18:19] offset:4096
	s_wait_xcnt 0x0
	s_or_b32 exec_lo, exec_lo, s0
	s_and_saveexec_b32 s0, s2
	s_cbranch_execz .LBB390_256
.LBB390_305:
	flat_store_b64 v[0:1], v[20:21] offset:6144
	s_wait_xcnt 0x0
	s_or_b32 exec_lo, exec_lo, s0
	s_and_saveexec_b32 s0, s3
	s_cbranch_execz .LBB390_257
.LBB390_306:
	flat_store_b64 v[0:1], v[14:15] offset:8192
	s_wait_xcnt 0x0
	s_or_b32 exec_lo, exec_lo, s0
	s_and_saveexec_b32 s0, s4
	s_cbranch_execz .LBB390_258
.LBB390_307:
	flat_store_b64 v[0:1], v[16:17] offset:10240
	s_wait_xcnt 0x0
	s_or_b32 exec_lo, exec_lo, s0
	s_and_saveexec_b32 s0, s5
	s_cbranch_execz .LBB390_259
.LBB390_308:
	flat_store_b64 v[0:1], v[10:11] offset:12288
	s_wait_xcnt 0x0
	s_or_b32 exec_lo, exec_lo, s0
	s_and_saveexec_b32 s0, s6
	s_cbranch_execnz .LBB390_260
	s_branch .LBB390_261
.LBB390_309:
	s_or_b32 exec_lo, exec_lo, s24
	v_mad_nc_u64_u32 v[0:1], v0, 7, v[52:53]
	v_mad_nc_u64_u32 v[10:11], v38, 7, v[50:51]
	v_dual_add_nc_u32 v15, v12, v14 :: v_dual_mov_b32 v19, 0
	v_mad_nc_u64_u32 v[12:13], v36, 7, v[48:49]
	v_mul_u32_u24_e32 v1, 7, v14
	s_barrier_signal -1
	s_barrier_wait -1
	ds_store_b8 v54, v102
	ds_store_b8 v52, v103
	ds_store_b8 v50, v35
	ds_store_b8 v48, v101
	s_wait_dscnt 0x0
	s_barrier_signal -1
	s_barrier_wait -1
	ds_load_u8 v27, v15
	ds_load_u8 v26, v15 offset:256
	ds_load_u8 v5, v15 offset:512
	;; [unrolled: 1-line block ×3, first 2 shown]
	s_wait_dscnt 0x0
	s_barrier_signal -1
	s_barrier_wait -1
	ds_store_b64 v34, v[16:17]
	ds_store_b64 v0, v[22:23]
	;; [unrolled: 1-line block ×4, first 2 shown]
	v_add_nc_u32_e32 v0, v15, v1
	s_wait_dscnt 0x0
	s_barrier_signal -1
	s_barrier_wait -1
	ds_load_2addr_stride64_b64 v[14:17], v0 offset1:4
	ds_load_2addr_stride64_b64 v[10:13], v0 offset0:8 offset1:12
	v_add_nc_u64_e32 v[0:1], v[2:3], v[8:9]
	s_set_vgpr_msb 4                        ;  msbs: dst=0 src0=0 src1=1 src2=0
	v_cmp_lt_u32_e32 vcc_lo, v18, v20 /*v276*/
	s_wait_dscnt 0x0
	s_barrier_signal -1
	s_barrier_wait -1
	s_set_vgpr_msb 0                        ;  msbs: dst=0 src0=0 src1=0 src2=0
	v_add_nc_u64_e32 v[0:1], v[0:1], v[18:19]
	s_and_saveexec_b32 s0, vcc_lo
	s_cbranch_execz .LBB390_311
; %bb.310:
	v_xor_b32_e32 v2, 0x80, v27
	flat_store_b8 v[0:1], v2
.LBB390_311:
	s_wait_xcnt 0x0
	s_or_b32 exec_lo, exec_lo, s0
	v_add_nc_u32_e32 v2, 0x100, v18
	s_set_vgpr_msb 4                        ;  msbs: dst=0 src0=0 src1=1 src2=0
	s_delay_alu instid0(VALU_DEP_1)
	v_cmp_lt_u32_e64 s0, v2, v20 /*v276*/
	s_and_saveexec_b32 s1, s0
	s_set_vgpr_msb 0                        ;  msbs: dst=0 src0=0 src1=0 src2=0
	s_cbranch_execz .LBB390_313
; %bb.312:
	v_xor_b32_e32 v2, 0x80, v26
	flat_store_b8 v[0:1], v2 offset:256
.LBB390_313:
	s_wait_xcnt 0x0
	s_or_b32 exec_lo, exec_lo, s1
	v_add_nc_u32_e32 v2, 0x200, v18
	s_set_vgpr_msb 4                        ;  msbs: dst=0 src0=0 src1=1 src2=0
	s_delay_alu instid0(VALU_DEP_1)
	v_cmp_lt_u32_e64 s1, v2, v20 /*v276*/
	s_and_saveexec_b32 s2, s1
	s_set_vgpr_msb 0                        ;  msbs: dst=0 src0=0 src1=0 src2=0
	s_cbranch_execz .LBB390_315
; %bb.314:
	v_xor_b32_e32 v2, 0x80, v5
	flat_store_b8 v[0:1], v2 offset:512
.LBB390_315:
	s_wait_xcnt 0x0
	s_or_b32 exec_lo, exec_lo, s2
	v_add_nc_u32_e32 v2, 0x300, v18
	s_set_vgpr_msb 4                        ;  msbs: dst=0 src0=0 src1=1 src2=0
	s_delay_alu instid0(VALU_DEP_1)
	v_cmp_lt_u32_e64 s2, v2, v20 /*v276*/
	s_and_saveexec_b32 s3, s2
	s_set_vgpr_msb 0                        ;  msbs: dst=0 src0=0 src1=0 src2=0
	s_cbranch_execz .LBB390_317
; %bb.316:
	v_xor_b32_e32 v2, 0x80, v4
	flat_store_b8 v[0:1], v2 offset:768
.LBB390_317:
	s_wait_xcnt 0x0
	s_or_b32 exec_lo, exec_lo, s3
	v_lshl_add_u64 v[0:1], v[8:9], 3, v[6:7]
	s_delay_alu instid0(VALU_DEP_1)
	v_lshl_add_u64 v[0:1], v[18:19], 3, v[0:1]
	s_and_saveexec_b32 s3, vcc_lo
	s_cbranch_execnz .LBB390_350
; %bb.318:
	s_or_b32 exec_lo, exec_lo, s3
	s_and_saveexec_b32 s3, s0
	s_cbranch_execnz .LBB390_351
.LBB390_319:
	s_or_b32 exec_lo, exec_lo, s3
	s_and_saveexec_b32 s0, s1
	s_cbranch_execnz .LBB390_352
.LBB390_320:
	s_or_b32 exec_lo, exec_lo, s0
	s_and_saveexec_b32 s0, s2
	s_cbranch_execz .LBB390_322
.LBB390_321:
	flat_store_b64 v[0:1], v[12:13] offset:6144
.LBB390_322:
	s_wait_xcnt 0x0
	s_or_b32 exec_lo, exec_lo, s0
                                        ; implicit-def: $vgpr276
                                        ; implicit-def: $vgpr8
                                        ; implicit-def: $vgpr10
                                        ; implicit-def: $vgpr11
                                        ; implicit-def: $vgpr0_vgpr1
                                        ; implicit-def: $vgpr2_vgpr3
                                        ; implicit-def: $vgpr4_vgpr5
                                        ; implicit-def: $vgpr6_vgpr7
                                        ; implicit-def: $vgpr12_vgpr13
                                        ; implicit-def: $vgpr9
                                        ; implicit-def: $vgpr15
                                        ; implicit-def: $vgpr14
                                        ; implicit-def: $vgpr16
.LBB390_323:
	s_and_not1_saveexec_b32 s0, s20
	s_cbranch_execz .LBB390_382
; %bb.324:
	s_load_b64 s[0:1], s[8:9], 0x0
	s_bfe_u32 s3, ttmp6, 0x4000c
	s_bfe_u32 s5, ttmp6, 0x40010
	s_and_b32 s4, ttmp7, 0xffff
	s_add_co_i32 s3, s3, 1
	s_add_co_i32 s5, s5, 1
	s_and_b32 s2, ttmp6, 15
	s_bfe_u32 s6, ttmp6, 0x40004
	s_mul_i32 s3, ttmp9, s3
	s_mul_i32 s5, s4, s5
	s_add_co_i32 s2, s2, s3
	s_add_co_i32 s6, s6, s5
	s_cmp_eq_u32 s23, 0
	s_cselect_b32 s2, ttmp9, s2
	s_cselect_b32 s3, s4, s6
	s_wait_kmcnt 0x0
	s_cmp_lt_u32 s2, s0
	s_cselect_b32 s0, 12, 18
	s_cmp_lt_u32 s3, s1
	s_mov_b32 s1, 0
	s_cselect_b32 s2, 14, 20
	s_mov_b32 s3, s1
	s_add_nc_u64 s[0:1], s[8:9], s[0:1]
	s_add_nc_u64 s[2:3], s[8:9], s[2:3]
	s_clause 0x1
	s_load_u16 s0, s[0:1], 0x0
	s_nop 0
	s_load_u16 s2, s[2:3], 0x0
	s_wait_kmcnt 0x0
	v_mad_u32_u24 v9, v15, s2, v9
	s_delay_alu instid0(VALU_DEP_1)
	v_mad_u32 v18, v9, s0, v14
	v_mov_b32_e32 v9, 0
	s_mov_b32 s0, exec_lo
	s_set_vgpr_msb 4                        ;  msbs: dst=0 src0=0 src1=1 src2=0
	v_cmpx_lt_u32_e32 0x100, v20 /*v276*/
	s_xor_b32 s18, exec_lo, s0
	s_set_vgpr_msb 0                        ;  msbs: dst=0 src0=0 src1=0 src2=0
	s_cbranch_execz .LBB390_362
; %bb.325:
	v_add_nc_u64_e32 v[20:21], v[0:1], v[8:9]
	s_delay_alu instid0(VALU_DEP_4) | instskip(SKIP_1) | instid1(VALU_DEP_2)
	v_dual_mov_b32 v17, v9 :: v_dual_lshlrev_b32 v0, 1, v18
	v_mov_b32_e32 v15, 0x7f
	v_and_b32_e32 v0, 0xffffffc0, v0
	s_delay_alu instid0(VALU_DEP_3) | instskip(SKIP_2) | instid1(VALU_DEP_4)
	v_add_nc_u64_e32 v[20:21], v[20:21], v[16:17]
	v_mov_b32_e32 v1, v9
	v_mov_b32_e32 v17, 0x7f
	v_or_b32_e32 v19, v16, v0
	s_delay_alu instid0(VALU_DEP_3) | instskip(SKIP_1) | instid1(VALU_DEP_2)
	v_add_nc_u64_e32 v[20:21], v[20:21], v[0:1]
	s_set_vgpr_msb 4                        ;  msbs: dst=0 src0=0 src1=1 src2=0
	v_cmp_lt_u32_e32 vcc_lo, v19, v20 /*v276*/
	s_and_saveexec_b32 s0, vcc_lo
	s_set_vgpr_msb 0                        ;  msbs: dst=0 src0=0 src1=0 src2=0
	s_cbranch_execz .LBB390_327
; %bb.326:
	flat_load_u8 v15, v[20:21]
.LBB390_327:
	s_wait_xcnt 0x0
	s_or_b32 exec_lo, exec_lo, s0
	v_or_b32_e32 v19, 32, v19
	s_set_vgpr_msb 4                        ;  msbs: dst=0 src0=0 src1=1 src2=0
	s_delay_alu instid0(VALU_DEP_1)
	v_cmp_lt_u32_e64 s0, v19, v20 /*v276*/
	s_and_saveexec_b32 s1, s0
	s_set_vgpr_msb 0                        ;  msbs: dst=0 src0=0 src1=0 src2=0
	s_cbranch_execz .LBB390_329
; %bb.328:
	flat_load_u8 v17, v[20:21] offset:32
.LBB390_329:
	s_wait_xcnt 0x0
	s_or_b32 exec_lo, exec_lo, s1
	v_lshl_add_u64 v[4:5], v[8:9], 3, v[4:5]
	v_dual_mov_b32 v21, 0 :: v_dual_lshlrev_b32 v20, 3, v16
	v_mov_b64_e32 v[24:25], 0
	v_mov_b64_e32 v[22:23], 0
	s_delay_alu instid0(VALU_DEP_3) | instskip(NEXT) | instid1(VALU_DEP_1)
	v_add_nc_u64_e32 v[4:5], v[4:5], v[20:21]
	v_lshl_add_u64 v[0:1], v[0:1], 3, v[4:5]
	s_and_saveexec_b32 s1, vcc_lo
	s_cbranch_execz .LBB390_331
; %bb.330:
	flat_load_b64 v[22:23], v[0:1]
.LBB390_331:
	s_wait_xcnt 0x0
	s_or_b32 exec_lo, exec_lo, s1
	s_and_saveexec_b32 s1, s0
	s_cbranch_execz .LBB390_333
; %bb.332:
	flat_load_b64 v[24:25], v[0:1] offset:256
.LBB390_333:
	s_wait_xcnt 0x0
	s_or_b32 exec_lo, exec_lo, s1
	s_wait_loadcnt_dscnt 0x0
	v_xor_b32_e32 v0, 0x80, v17
	v_xor_b32_e32 v4, 0x80, v15
	v_lshl_add_u32 v1, v14, 5, v12
	v_and_b32_e32 v5, 0x3e0, v14
	s_get_pc_i64 s[0:1]
	s_add_nc_u64 s[0:1], s[0:1], _ZN7rocprim17ROCPRIM_400000_NS16block_radix_sortIaLj256ELj2ElLj1ELj1ELj8ELNS0_26block_radix_rank_algorithmE2ELNS0_18block_padding_hintE2ELNS0_4arch9wavefront6targetE0EE19radix_bits_per_passE@rel64+4
	v_lshlrev_b16 v0, 8, v0
	s_load_b32 s19, s[0:1], 0x0
	v_dual_add_nc_u32 v15, 32, v1 :: v_dual_add_nc_u32 v19, 36, v1
	v_dual_add_nc_u32 v34, 40, v1 :: v_dual_add_nc_u32 v35, 44, v1
	s_delay_alu instid0(VALU_DEP_3) | instskip(SKIP_2) | instid1(VALU_DEP_3)
	v_bitop3_b16 v0, v4, v0, 0xff bitop3:0xec
	v_dual_add_nc_u32 v36, 48, v1 :: v_dual_add_nc_u32 v37, 52, v1
	v_dual_add_nc_u32 v39, 60, v1 :: v_dual_lshrrev_b32 v48, 5, v18
	v_and_b32_e32 v49, 0xffff, v0
	v_dual_add_nc_u32 v38, 56, v1 :: v_dual_bitop2_b32 v0, 15, v16 bitop3:0x40
	v_min_u32_e32 v1, 0xe0, v5
	v_and_b32_e32 v4, 16, v16
	v_cmp_lt_u32_e64 s7, 31, v14
	s_delay_alu instid0(VALU_DEP_4)
	v_cmp_eq_u32_e32 vcc_lo, 0, v0
	s_wait_xcnt 0x0
	v_cmp_lt_u32_e64 s0, 1, v0
	v_or_b32_e32 v1, 31, v1
	v_cmp_lt_u32_e64 s1, 3, v0
	v_cmp_lt_u32_e64 s2, 7, v0
	v_sub_co_u32 v0, s3, v16, 1
	s_delay_alu instid0(VALU_DEP_4)
	v_cmp_eq_u32_e64 s5, v14, v1
	v_lshrrev_b32_e32 v1, 3, v14
	v_cmp_eq_u32_e64 s4, 0, v4
	v_lshlrev_b32_e32 v4, 1, v14
	v_cmp_gt_i32_e64 s6, 0, v0
	v_cmp_eq_u32_e64 s8, 0, v14
	v_and_b32_e32 v1, 0x7c, v1
	v_sub_nc_u32_e32 v66, v11, v10
	v_and_or_b32 v4, 0x7c0, v4, v16
	v_cndmask_b32_e64 v0, v0, v16, s6
	v_cmp_gt_u32_e64 s6, 8, v14
	v_dual_add_nc_u32 v51, v12, v1 :: v_dual_mov_b32 v1, 0
	s_delay_alu instid0(VALU_DEP_4) | instskip(SKIP_4) | instid1(VALU_DEP_4)
	v_add_nc_u32_e32 v52, v12, v4
	v_mul_u32_u24_e32 v4, 7, v4
	v_lshlrev_b32_e32 v50, 2, v0
	v_and_b32_e32 v0, 7, v16
	v_lshl_add_u32 v53, v14, 2, v12
	v_dual_add_nc_u32 v55, -4, v51 :: v_dual_add_nc_u32 v54, v52, v4
	v_mov_b64_e32 v[4:5], 0
	s_delay_alu instid0(VALU_DEP_4)
	v_cmp_eq_u32_e64 s9, 0, v0
	v_cmp_lt_u32_e64 s10, 1, v0
	v_cmp_lt_u32_e64 s11, 3, v0
	v_add_nc_u32_e32 v64, 32, v52
	v_add_nc_u32_e32 v65, 0x100, v54
	s_mov_b32 s20, 0
	s_wait_storecnt 0x0
	s_barrier_signal -1
	s_barrier_wait -1
	s_branch .LBB390_335
.LBB390_334:                            ;   in Loop: Header=BB390_335 Depth=1
	s_or_b32 exec_lo, exec_lo, s13
	s_delay_alu instid0(SALU_CYCLE_1) | instskip(NEXT) | instid1(SALU_CYCLE_1)
	s_and_b32 s12, exec_lo, s14
	s_or_b32 s20, s12, s20
	s_delay_alu instid0(SALU_CYCLE_1)
	s_and_not1_b32 exec_lo, exec_lo, s20
	s_cbranch_execz .LBB390_353
.LBB390_335:                            ; =>This Inner Loop Header: Depth=1
	s_wait_kmcnt 0x0
	v_min_u32_e32 v0, s19, v66
	v_and_b32_e32 v16, 0xff, v49
	ds_store_b64 v15, v[4:5]
	ds_store_b64 v34, v[4:5]
	;; [unrolled: 1-line block ×4, first 2 shown]
	s_wait_dscnt 0x0
	v_lshlrev_b32_e64 v26, v0, -1
	v_lshrrev_b32_e32 v0, v10, v16
	s_barrier_signal -1
	s_barrier_wait -1
	s_delay_alu instid0(VALU_DEP_1) | instskip(SKIP_1) | instid1(VALU_DEP_2)
	v_bitop3_b32 v16, v0, 1, v26 bitop3:0x40
	v_bitop3_b32 v0, v0, v26, v0 bitop3:0x30
	; wave barrier
	v_add_co_u32 v16, s12, v16, -1
	s_delay_alu instid0(VALU_DEP_1) | instskip(NEXT) | instid1(VALU_DEP_3)
	v_cndmask_b32_e64 v17, 0, 1, s12
	v_dual_lshlrev_b32 v20, 30, v0 :: v_dual_lshlrev_b32 v21, 29, v0
	v_dual_lshlrev_b32 v27, 28, v0 :: v_dual_lshlrev_b32 v28, 27, v0
	s_delay_alu instid0(VALU_DEP_3) | instskip(NEXT) | instid1(VALU_DEP_3)
	v_cmp_ne_u32_e64 s12, 0, v17
	v_not_b32_e32 v17, v20
	v_dual_lshlrev_b32 v29, 26, v0 :: v_dual_lshlrev_b32 v30, 25, v0
	v_cmp_gt_i32_e64 s13, 0, v20
	v_cmp_gt_i32_e64 s14, 0, v21
	v_not_b32_e32 v20, v21
	v_not_b32_e32 v21, v27
	v_dual_ashrrev_i32 v17, 31, v17 :: v_dual_lshlrev_b32 v31, 24, v0
	v_cmp_gt_i32_e64 s15, 0, v27
	v_cmp_gt_i32_e64 s16, 0, v28
	v_not_b32_e32 v27, v28
	v_xor_b32_e32 v16, s12, v16
	v_dual_ashrrev_i32 v20, 31, v20 :: v_dual_bitop2_b32 v17, s13, v17 bitop3:0x14
	v_ashrrev_i32_e32 v21, 31, v21
	v_not_b32_e32 v28, v29
	v_cmp_gt_i32_e64 s17, 0, v29
	v_ashrrev_i32_e32 v27, 31, v27
	v_bitop3_b32 v16, v16, v17, exec_lo bitop3:0x80
	s_delay_alu instid0(VALU_DEP_4)
	v_dual_ashrrev_i32 v17, 31, v28 :: v_dual_bitop2_b32 v21, s15, v21 bitop3:0x14
	v_not_b32_e32 v28, v30
	v_not_b32_e32 v29, v31
	v_xor_b32_e32 v20, s14, v20
	v_xor_b32_e32 v27, s16, v27
	v_dual_lshlrev_b32 v0, 3, v0 :: v_dual_bitop2_b32 v17, s17, v17 bitop3:0x14
	v_cmp_gt_i32_e64 s12, 0, v30
	s_delay_alu instid0(VALU_DEP_4)
	v_bitop3_b32 v16, v16, v21, v20 bitop3:0x80
	v_ashrrev_i32_e32 v20, 31, v28
	v_cmp_gt_i32_e64 s13, 0, v31
	v_ashrrev_i32_e32 v21, 31, v29
	v_add_lshl_u32 v0, v0, v48, 2
	v_bitop3_b32 v27, v16, v17, v27 bitop3:0x80
	v_xor_b32_e32 v20, s12, v20
	v_mov_b64_e32 v[16:17], v[24:25]
	v_xor_b32_e32 v21, s13, v21
	s_delay_alu instid0(VALU_DEP_1) | instskip(SKIP_2) | instid1(VALU_DEP_3)
	v_bitop3_b32 v24, v27, v21, v20 bitop3:0x80
	v_mov_b64_e32 v[20:21], v[22:23]
	v_add_nc_u64_e32 v[22:23], v[12:13], v[0:1]
	v_mbcnt_lo_u32_b32 v0, v24, 0
	v_cmp_ne_u32_e64 s13, 0, v24
	s_delay_alu instid0(VALU_DEP_3) | instskip(NEXT) | instid1(VALU_DEP_3)
	v_add_nc_u64_e32 v[22:23], 32, v[22:23]
	v_cmp_eq_u32_e64 s12, 0, v0
	s_and_b32 s13, s13, s12
	s_delay_alu instid0(SALU_CYCLE_1)
	s_and_saveexec_b32 s12, s13
; %bb.336:                              ;   in Loop: Header=BB390_335 Depth=1
	v_bcnt_u32_b32 v23, v24, 0
	ds_store_b32 v22, v23
; %bb.337:                              ;   in Loop: Header=BB390_335 Depth=1
	s_or_b32 exec_lo, exec_lo, s12
	v_lshrrev_b16 v67, 8, v49
	v_not_b32_e32 v24, v26
	; wave barrier
	s_delay_alu instid0(VALU_DEP_2) | instskip(NEXT) | instid1(VALU_DEP_1)
	v_and_b32_e32 v23, 0xffff, v67
	v_lshrrev_b32_e32 v23, v10, v23
	s_delay_alu instid0(VALU_DEP_1) | instskip(NEXT) | instid1(VALU_DEP_1)
	v_and_b32_e32 v25, v23, v24
	v_lshlrev_b32_e32 v27, 30, v25
	v_bitop3_b32 v23, v23, 1, v24 bitop3:0x80
	s_delay_alu instid0(VALU_DEP_2) | instskip(NEXT) | instid1(VALU_DEP_2)
	v_cmp_gt_i32_e64 s13, 0, v27
	v_add_co_u32 v23, s12, v23, -1
	s_delay_alu instid0(VALU_DEP_1) | instskip(NEXT) | instid1(VALU_DEP_1)
	v_cndmask_b32_e64 v26, 0, 1, s12
	v_cmp_ne_u32_e64 s12, 0, v26
	v_not_b32_e32 v26, v27
	s_delay_alu instid0(VALU_DEP_1) | instskip(SKIP_2) | instid1(VALU_DEP_3)
	v_dual_ashrrev_i32 v26, 31, v26 :: v_dual_lshlrev_b32 v28, 29, v25
	v_dual_lshlrev_b32 v29, 28, v25 :: v_dual_lshlrev_b32 v30, 27, v25
	v_dual_lshlrev_b32 v31, 26, v25 :: v_dual_lshlrev_b32 v32, 25, v25
	v_cmp_gt_i32_e64 s14, 0, v28
	v_not_b32_e32 v27, v28
	s_delay_alu instid0(VALU_DEP_4)
	v_not_b32_e32 v28, v29
	v_lshl_add_u32 v24, v25, 3, v48
	v_lshlrev_b32_e32 v25, 24, v25
	v_cmp_gt_i32_e64 s15, 0, v29
	v_cmp_gt_i32_e64 s16, 0, v30
	v_not_b32_e32 v29, v30
	v_cmp_gt_i32_e64 s17, 0, v31
	v_not_b32_e32 v30, v31
	v_not_b32_e32 v31, v32
	v_dual_ashrrev_i32 v28, 31, v28 :: v_dual_bitop2_b32 v23, s12, v23 bitop3:0x14
	v_dual_ashrrev_i32 v27, 31, v27 :: v_dual_ashrrev_i32 v29, 31, v29
	v_xor_b32_e32 v26, s13, v26
	v_not_b32_e32 v33, v25
	s_delay_alu instid0(VALU_DEP_3) | instskip(SKIP_1) | instid1(VALU_DEP_4)
	v_dual_ashrrev_i32 v30, 31, v30 :: v_dual_bitop2_b32 v27, s14, v27 bitop3:0x14
	v_xor_b32_e32 v28, s15, v28
	v_bitop3_b32 v23, v23, v26, exec_lo bitop3:0x80
	v_cmp_gt_i32_e64 s12, 0, v32
	s_delay_alu instid0(VALU_DEP_4)
	v_dual_ashrrev_i32 v30, 31, v31 :: v_dual_bitop2_b32 v26, s17, v30 bitop3:0x14
	v_cmp_gt_i32_e64 s13, 0, v25
	v_ashrrev_i32_e32 v25, 31, v33
	v_bitop3_b32 v23, v23, v28, v27 bitop3:0x80
	v_lshl_add_u32 v27, v24, 2, v12
	v_xor_b32_e32 v29, s16, v29
	v_xor_b32_e32 v24, s12, v30
	;; [unrolled: 1-line block ×3, first 2 shown]
	s_delay_alu instid0(VALU_DEP_3) | instskip(SKIP_3) | instid1(VALU_DEP_2)
	v_bitop3_b32 v26, v23, v26, v29 bitop3:0x80
	ds_load_b32 v23, v27 offset:32
	; wave barrier
	v_bitop3_b32 v26, v26, v25, v24 bitop3:0x80
	v_add_nc_u32_e32 v25, 32, v27
	v_mbcnt_lo_u32_b32 v24, v26, 0
	v_cmp_ne_u32_e64 s13, 0, v26
	s_delay_alu instid0(VALU_DEP_2) | instskip(SKIP_1) | instid1(SALU_CYCLE_1)
	v_cmp_eq_u32_e64 s12, 0, v24
	s_and_b32 s13, s13, s12
	s_and_saveexec_b32 s12, s13
	s_cbranch_execz .LBB390_339
; %bb.338:                              ;   in Loop: Header=BB390_335 Depth=1
	s_wait_dscnt 0x0
	v_bcnt_u32_b32 v26, v26, v23
	ds_store_b32 v25, v26
.LBB390_339:                            ;   in Loop: Header=BB390_335 Depth=1
	s_or_b32 exec_lo, exec_lo, s12
	; wave barrier
	s_wait_dscnt 0x0
	s_barrier_signal -1
	s_barrier_wait -1
	ds_load_b32 v27, v15
	ds_load_b32 v28, v19
	;; [unrolled: 1-line block ×8, first 2 shown]
	s_wait_dscnt 0x6
	v_add_nc_u32_e32 v68, v28, v27
	s_wait_dscnt 0x4
	s_delay_alu instid0(VALU_DEP_1) | instskip(SKIP_1) | instid1(VALU_DEP_1)
	v_add3_u32 v68, v68, v29, v30
	s_wait_dscnt 0x2
	v_add3_u32 v68, v68, v31, v32
	s_wait_dscnt 0x0
	s_delay_alu instid0(VALU_DEP_1) | instskip(NEXT) | instid1(VALU_DEP_1)
	v_add3_u32 v33, v68, v26, v33
	v_mov_b32_dpp v68, v33 row_shr:1 row_mask:0xf bank_mask:0xf
	s_delay_alu instid0(VALU_DEP_1) | instskip(NEXT) | instid1(VALU_DEP_1)
	v_cndmask_b32_e64 v68, v68, 0, vcc_lo
	v_add_nc_u32_e32 v33, v68, v33
	s_delay_alu instid0(VALU_DEP_1) | instskip(NEXT) | instid1(VALU_DEP_1)
	v_mov_b32_dpp v68, v33 row_shr:2 row_mask:0xf bank_mask:0xf
	v_cndmask_b32_e64 v68, 0, v68, s0
	s_delay_alu instid0(VALU_DEP_1) | instskip(NEXT) | instid1(VALU_DEP_1)
	v_add_nc_u32_e32 v33, v33, v68
	v_mov_b32_dpp v68, v33 row_shr:4 row_mask:0xf bank_mask:0xf
	s_delay_alu instid0(VALU_DEP_1) | instskip(NEXT) | instid1(VALU_DEP_1)
	v_cndmask_b32_e64 v68, 0, v68, s1
	v_add_nc_u32_e32 v33, v33, v68
	s_delay_alu instid0(VALU_DEP_1) | instskip(NEXT) | instid1(VALU_DEP_1)
	v_mov_b32_dpp v68, v33 row_shr:8 row_mask:0xf bank_mask:0xf
	v_cndmask_b32_e64 v68, 0, v68, s2
	s_delay_alu instid0(VALU_DEP_1) | instskip(SKIP_3) | instid1(VALU_DEP_1)
	v_add_nc_u32_e32 v33, v33, v68
	ds_swizzle_b32 v68, v33 offset:swizzle(BROADCAST,32,15)
	s_wait_dscnt 0x0
	v_cndmask_b32_e64 v68, v68, 0, s4
	v_add_nc_u32_e32 v33, v33, v68
	s_and_saveexec_b32 s12, s5
; %bb.340:                              ;   in Loop: Header=BB390_335 Depth=1
	ds_store_b32 v51, v33
; %bb.341:                              ;   in Loop: Header=BB390_335 Depth=1
	s_or_b32 exec_lo, exec_lo, s12
	s_wait_dscnt 0x0
	s_barrier_signal -1
	s_barrier_wait -1
	s_and_saveexec_b32 s12, s6
	s_cbranch_execz .LBB390_343
; %bb.342:                              ;   in Loop: Header=BB390_335 Depth=1
	ds_load_b32 v68, v53
	s_wait_dscnt 0x0
	v_mov_b32_dpp v69, v68 row_shr:1 row_mask:0xf bank_mask:0xf
	s_delay_alu instid0(VALU_DEP_1) | instskip(NEXT) | instid1(VALU_DEP_1)
	v_cndmask_b32_e64 v69, v69, 0, s9
	v_add_nc_u32_e32 v68, v69, v68
	s_delay_alu instid0(VALU_DEP_1) | instskip(NEXT) | instid1(VALU_DEP_1)
	v_mov_b32_dpp v69, v68 row_shr:2 row_mask:0xf bank_mask:0xf
	v_cndmask_b32_e64 v69, 0, v69, s10
	s_delay_alu instid0(VALU_DEP_1) | instskip(NEXT) | instid1(VALU_DEP_1)
	v_add_nc_u32_e32 v68, v68, v69
	v_mov_b32_dpp v69, v68 row_shr:4 row_mask:0xf bank_mask:0xf
	s_delay_alu instid0(VALU_DEP_1) | instskip(NEXT) | instid1(VALU_DEP_1)
	v_cndmask_b32_e64 v69, 0, v69, s11
	v_add_nc_u32_e32 v68, v68, v69
	ds_store_b32 v53, v68
.LBB390_343:                            ;   in Loop: Header=BB390_335 Depth=1
	s_or_b32 exec_lo, exec_lo, s12
	v_mov_b32_e32 v68, 0
	s_wait_dscnt 0x0
	s_barrier_signal -1
	s_barrier_wait -1
	s_and_saveexec_b32 s12, s7
; %bb.344:                              ;   in Loop: Header=BB390_335 Depth=1
	ds_load_b32 v68, v55
; %bb.345:                              ;   in Loop: Header=BB390_335 Depth=1
	s_or_b32 exec_lo, exec_lo, s12
	s_wait_dscnt 0x0
	v_add_nc_u32_e32 v33, v68, v33
	s_mov_b32 s14, -1
	s_mov_b32 s13, exec_lo
	v_add_nc_u32_e32 v10, 8, v10
	ds_bpermute_b32 v33, v50, v33
	s_wait_dscnt 0x0
	v_cndmask_b32_e64 v33, v33, v68, s3
	s_delay_alu instid0(VALU_DEP_1) | instskip(NEXT) | instid1(VALU_DEP_1)
	v_cndmask_b32_e64 v33, v33, 0, s8
	v_add_nc_u32_e32 v27, v33, v27
	s_delay_alu instid0(VALU_DEP_1) | instskip(NEXT) | instid1(VALU_DEP_1)
	v_add_nc_u32_e32 v28, v27, v28
	v_add_nc_u32_e32 v29, v28, v29
	s_delay_alu instid0(VALU_DEP_1) | instskip(NEXT) | instid1(VALU_DEP_1)
	v_add_nc_u32_e32 v30, v29, v30
	v_add_nc_u32_e32 v31, v30, v31
	s_delay_alu instid0(VALU_DEP_1)
	v_add_nc_u32_e32 v32, v31, v32
	ds_store_b32 v15, v33
	ds_store_b32 v19, v27
	;; [unrolled: 1-line block ×3, first 2 shown]
	v_add_nc_u32_e32 v26, v32, v26
	ds_store_b32 v35, v29
	ds_store_b32 v36, v30
	ds_store_b32 v37, v31
	ds_store_b32 v38, v32
	ds_store_b32 v39, v26
	s_wait_dscnt 0x0
	s_barrier_signal -1
	s_barrier_wait -1
	ds_load_b32 v22, v22
	ds_load_b32 v26, v25
	v_mov_b32_e32 v25, v1
	s_wait_dscnt 0x0
	v_add_nc_u32_e32 v0, v22, v0
	v_add3_u32 v24, v24, v23, v26
                                        ; implicit-def: $vgpr22_vgpr23
	s_delay_alu instid0(VALU_DEP_2) | instskip(NEXT) | instid1(VALU_DEP_2)
	v_add_nc_u64_e32 v[30:31], v[12:13], v[0:1]
	v_add_nc_u64_e32 v[32:33], v[12:13], v[24:25]
	s_delay_alu instid0(VALU_DEP_2) | instskip(NEXT) | instid1(VALU_DEP_2)
	v_mad_nc_u64_u32 v[26:27], v0, 7, v[30:31]
	v_mad_nc_u64_u32 v[28:29], v24, 7, v[32:33]
	v_mov_b32_e32 v0, v49
                                        ; implicit-def: $vgpr24_vgpr25
	v_cmpx_lt_u32_e64 v10, v11
	s_cbranch_execz .LBB390_334
; %bb.346:                              ;   in Loop: Header=BB390_335 Depth=1
	s_barrier_signal -1
	s_barrier_wait -1
	ds_store_b8 v30, v49
	ds_store_b8 v32, v67
	s_wait_dscnt 0x0
	s_barrier_signal -1
	s_barrier_wait -1
	ds_load_u8 v27, v64
	ds_load_u8 v29, v52
	s_wait_dscnt 0x0
	s_barrier_signal -1
	s_barrier_wait -1
	ds_store_b64 v26, v[20:21]
	ds_store_b64 v28, v[16:17]
	s_wait_dscnt 0x0
	s_barrier_signal -1
	s_barrier_wait -1
	ds_load_b64 v[22:23], v54
	ds_load_b64 v[24:25], v65
	v_add_nc_u32_e32 v66, -8, v66
	s_xor_b32 s14, exec_lo, -1
	s_wait_dscnt 0x0
	s_barrier_signal -1
	s_barrier_wait -1
	v_perm_b32 v49, v29, v27, 0xc0c0004
	s_branch .LBB390_334
.LBB390_347:
	flat_load_b64 v[26:27], v[0:1]
	s_wait_xcnt 0x0
	s_or_b32 exec_lo, exec_lo, s3
                                        ; implicit-def: $vgpr28_vgpr29
	s_and_saveexec_b32 s3, s0
	s_cbranch_execz .LBB390_274
.LBB390_348:
	flat_load_b64 v[28:29], v[0:1] offset:256
	s_wait_xcnt 0x0
	s_or_b32 exec_lo, exec_lo, s3
                                        ; implicit-def: $vgpr30_vgpr31
	s_and_saveexec_b32 s0, s1
	s_cbranch_execz .LBB390_275
.LBB390_349:
	flat_load_b64 v[30:31], v[0:1] offset:512
	s_wait_xcnt 0x0
	s_or_b32 exec_lo, exec_lo, s0
                                        ; implicit-def: $vgpr32_vgpr33
	s_and_saveexec_b32 s0, s2
	s_cbranch_execnz .LBB390_276
	s_branch .LBB390_277
.LBB390_350:
	flat_store_b64 v[0:1], v[14:15]
	s_wait_xcnt 0x0
	s_or_b32 exec_lo, exec_lo, s3
	s_and_saveexec_b32 s3, s0
	s_cbranch_execz .LBB390_319
.LBB390_351:
	flat_store_b64 v[0:1], v[16:17] offset:2048
	s_wait_xcnt 0x0
	s_or_b32 exec_lo, exec_lo, s3
	s_and_saveexec_b32 s0, s1
	s_cbranch_execz .LBB390_320
.LBB390_352:
	flat_store_b64 v[0:1], v[10:11] offset:4096
	s_wait_xcnt 0x0
	s_or_b32 exec_lo, exec_lo, s0
	s_and_saveexec_b32 s0, s2
	s_cbranch_execnz .LBB390_321
	s_branch .LBB390_322
.LBB390_353:
	s_or_b32 exec_lo, exec_lo, s20
	s_barrier_signal -1
	s_barrier_wait -1
	ds_store_b8 v30, v0
	ds_store_b8 v32, v67
	v_dual_mov_b32 v19, 0 :: v_dual_add_nc_u32 v0, v12, v14
	v_mul_u32_u24_e32 v1, 7, v14
	s_wait_dscnt 0x0
	s_barrier_signal -1
	s_barrier_wait -1
	ds_load_u8 v5, v0
	ds_load_u8 v4, v0 offset:256
	v_add_nc_u32_e32 v0, v0, v1
	s_wait_dscnt 0x0
	s_barrier_signal -1
	s_barrier_wait -1
	ds_store_b64 v26, v[20:21]
	ds_store_b64 v28, v[16:17]
	s_wait_dscnt 0x0
	s_barrier_signal -1
	s_barrier_wait -1
	ds_load_2addr_stride64_b64 v[10:13], v0 offset1:4
	v_add_nc_u64_e32 v[0:1], v[2:3], v[8:9]
	s_set_vgpr_msb 4                        ;  msbs: dst=0 src0=0 src1=1 src2=0
	v_cmp_lt_u32_e32 vcc_lo, v18, v20 /*v276*/
	s_wait_dscnt 0x0
	s_barrier_signal -1
	s_barrier_wait -1
	s_set_vgpr_msb 0                        ;  msbs: dst=0 src0=0 src1=0 src2=0
	v_add_nc_u64_e32 v[0:1], v[0:1], v[18:19]
	s_and_saveexec_b32 s0, vcc_lo
	s_cbranch_execz .LBB390_355
; %bb.354:
	v_xor_b32_e32 v2, 0x80, v5
	flat_store_b8 v[0:1], v2
.LBB390_355:
	s_wait_xcnt 0x0
	s_or_b32 exec_lo, exec_lo, s0
	v_add_nc_u32_e32 v2, 0x100, v18
	s_set_vgpr_msb 4                        ;  msbs: dst=0 src0=0 src1=1 src2=0
	s_delay_alu instid0(VALU_DEP_1)
	v_cmp_lt_u32_e64 s0, v2, v20 /*v276*/
	s_and_saveexec_b32 s1, s0
	s_set_vgpr_msb 0                        ;  msbs: dst=0 src0=0 src1=0 src2=0
	s_cbranch_execz .LBB390_357
; %bb.356:
	v_xor_b32_e32 v2, 0x80, v4
	flat_store_b8 v[0:1], v2 offset:256
.LBB390_357:
	s_wait_xcnt 0x0
	s_or_b32 exec_lo, exec_lo, s1
	v_lshl_add_u64 v[0:1], v[8:9], 3, v[6:7]
	s_delay_alu instid0(VALU_DEP_1)
	v_lshl_add_u64 v[0:1], v[18:19], 3, v[0:1]
	s_and_saveexec_b32 s1, vcc_lo
	s_cbranch_execz .LBB390_359
; %bb.358:
	flat_store_b64 v[0:1], v[10:11]
.LBB390_359:
	s_wait_xcnt 0x0
	s_or_b32 exec_lo, exec_lo, s1
	s_and_saveexec_b32 s1, s0
	s_cbranch_execz .LBB390_361
; %bb.360:
	flat_store_b64 v[0:1], v[12:13] offset:2048
.LBB390_361:
	s_wait_xcnt 0x0
	s_or_b32 exec_lo, exec_lo, s1
                                        ; implicit-def: $vgpr18
                                        ; implicit-def: $vgpr8_vgpr9
                                        ; implicit-def: $vgpr276
                                        ; implicit-def: $vgpr10
                                        ; implicit-def: $vgpr11
                                        ; implicit-def: $vgpr0_vgpr1
                                        ; implicit-def: $vgpr2_vgpr3
                                        ; implicit-def: $vgpr4_vgpr5
                                        ; implicit-def: $vgpr6_vgpr7
                                        ; implicit-def: $vgpr12_vgpr13
                                        ; implicit-def: $vgpr14
                                        ; implicit-def: $vgpr16
.LBB390_362:
	s_and_not1_saveexec_b32 s0, s18
	s_cbranch_execz .LBB390_382
; %bb.363:
	s_delay_alu instid0(VALU_DEP_3) | instskip(SKIP_1) | instid1(VALU_DEP_2)
	v_and_b32_e32 v22, 0xffffffe0, v18
	v_mov_b32_e32 v39, 0xff
	v_or_b32_e32 v15, v16, v22
	s_set_vgpr_msb 4                        ;  msbs: dst=0 src0=0 src1=1 src2=0
	s_delay_alu instid0(VALU_DEP_1)
	v_cmp_lt_u32_e32 vcc_lo, v15, v20 /*v276*/
	s_and_saveexec_b32 s0, vcc_lo
	s_set_vgpr_msb 0                        ;  msbs: dst=0 src0=0 src1=0 src2=0
	s_cbranch_execz .LBB390_365
; %bb.364:
	v_add_nc_u64_e32 v[0:1], v[0:1], v[8:9]
	v_mov_b32_e32 v17, 0
	s_delay_alu instid0(VALU_DEP_1) | instskip(NEXT) | instid1(VALU_DEP_3)
	v_mov_b32_e32 v23, v17
	v_add_nc_u64_e32 v[0:1], v[0:1], v[16:17]
	s_delay_alu instid0(VALU_DEP_1)
	v_add_nc_u64_e32 v[0:1], v[0:1], v[22:23]
	flat_load_u8 v0, v[0:1]
	s_wait_loadcnt_dscnt 0x0
	v_xor_b32_e32 v39, 0xffffff80, v0
.LBB390_365:
	s_wait_xcnt 0x0
	s_or_b32 exec_lo, exec_lo, s0
                                        ; implicit-def: $vgpr20_vgpr21
	s_and_saveexec_b32 s0, vcc_lo
	s_cbranch_execz .LBB390_367
; %bb.366:
	v_lshl_add_u64 v[0:1], v[8:9], 3, v[4:5]
	v_dual_mov_b32 v5, 0 :: v_dual_lshlrev_b32 v4, 3, v16
	s_delay_alu instid0(VALU_DEP_1) | instskip(SKIP_1) | instid1(VALU_DEP_1)
	v_add_nc_u64_e32 v[0:1], v[0:1], v[4:5]
	v_mov_b32_e32 v23, v5
	v_lshl_add_u64 v[0:1], v[22:23], 3, v[0:1]
	flat_load_b64 v[20:21], v[0:1]
.LBB390_367:
	s_wait_xcnt 0x0
	s_or_b32 exec_lo, exec_lo, s0
	v_lshl_add_u32 v0, v14, 5, v12
	v_sub_co_u32 v17, s2, v16, 1
	v_dual_lshrrev_b32 v30, 5, v18 :: v_dual_bitop2_b32 v1, 15, v16 bitop3:0x40
	s_delay_alu instid0(VALU_DEP_3)
	v_dual_add_nc_u32 v15, 32, v0 :: v_dual_add_nc_u32 v19, 36, v0
	v_dual_add_nc_u32 v24, 40, v0 :: v_dual_add_nc_u32 v25, 44, v0
	;; [unrolled: 1-line block ×4, first 2 shown]
	v_and_b32_e32 v0, 0x3e0, v14
	v_and_b32_e32 v5, 16, v16
	v_cmp_gt_i32_e64 s5, 0, v17
	s_get_pc_i64 s[0:1]
	s_add_nc_u64 s[0:1], s[0:1], _ZN7rocprim17ROCPRIM_400000_NS16block_radix_sortIaLj256ELj1ElLj1ELj1ELj8ELNS0_26block_radix_rank_algorithmE2ELNS0_18block_padding_hintE2ELNS0_4arch9wavefront6targetE0EE19radix_bits_per_passE@rel64+4
	v_cmp_eq_u32_e32 vcc_lo, 0, v1
	v_min_u32_e32 v4, 0xe0, v0
	s_load_b32 s18, s[0:1], 0x0
	s_wait_xcnt 0x0
	v_cmp_lt_u32_e64 s0, 1, v1
	v_cmp_lt_u32_e64 s1, 3, v1
	;; [unrolled: 1-line block ×3, first 2 shown]
	v_dual_lshrrev_b32 v4, 3, v14 :: v_dual_bitop2_b32 v1, 31, v4 bitop3:0x54
	v_cmp_eq_u32_e64 s4, 0, v5
	v_cndmask_b32_e64 v5, v17, v16, s5
	v_or_b32_e32 v0, v16, v0
	v_cmp_gt_u32_e64 s6, 8, v14
	v_cmp_lt_u32_e64 s7, 31, v14
	v_cmp_eq_u32_e64 s8, 0, v14
	v_lshlrev_b32_e32 v31, 2, v5
	v_cmp_eq_u32_e64 s5, v14, v1
	v_and_b32_e32 v1, 0x7c, v4
	v_and_b32_e32 v4, 7, v16
	v_lshl_add_u32 v33, v14, 2, v12
	v_sub_nc_u32_e32 v37, v11, v10
	s_mov_b32 s19, 0
	v_dual_mov_b32 v1, 0 :: v_dual_add_nc_u32 v32, v12, v1
	v_add_nc_u32_e32 v34, v12, v0
	v_mul_u32_u24_e32 v0, 7, v0
	v_cmp_eq_u32_e64 s9, 0, v4
	v_cmp_lt_u32_e64 s10, 1, v4
	v_cmp_lt_u32_e64 s11, 3, v4
	v_mov_b64_e32 v[4:5], 0
	v_add_nc_u32_e32 v35, -4, v32
	v_add_nc_u32_e32 v36, v34, v0
	s_wait_storecnt 0x0
	s_wait_loadcnt_dscnt 0x0
	s_barrier_signal -1
	s_barrier_wait -1
	s_branch .LBB390_369
.LBB390_368:                            ;   in Loop: Header=BB390_369 Depth=1
	s_or_b32 exec_lo, exec_lo, s13
	s_delay_alu instid0(SALU_CYCLE_1) | instskip(NEXT) | instid1(SALU_CYCLE_1)
	s_and_b32 s12, exec_lo, s14
	s_or_b32 s19, s12, s19
	s_delay_alu instid0(SALU_CYCLE_1)
	s_and_not1_b32 exec_lo, exec_lo, s19
	s_cbranch_execz .LBB390_379
.LBB390_369:                            ; =>This Inner Loop Header: Depth=1
	v_mov_b32_e32 v38, v39
	s_wait_kmcnt 0x0
	v_min_u32_e32 v0, s18, v37
	ds_store_b64 v15, v[4:5]
	ds_store_b64 v24, v[4:5]
	ds_store_b64 v26, v[4:5]
	ds_store_b64 v28, v[4:5]
	s_wait_dscnt 0x0
	v_and_b32_e32 v16, 0xff, v38
	v_lshlrev_b32_e64 v0, v0, -1
	s_barrier_signal -1
	s_barrier_wait -1
	s_delay_alu instid0(VALU_DEP_2) | instskip(NEXT) | instid1(VALU_DEP_1)
	v_lshrrev_b32_e32 v16, v10, v16
	; wave barrier
	v_bitop3_b32 v17, v16, 1, v0 bitop3:0x40
	v_bitop3_b32 v0, v16, v0, v16 bitop3:0x30
	s_delay_alu instid0(VALU_DEP_2) | instskip(NEXT) | instid1(VALU_DEP_1)
	v_add_co_u32 v16, s12, v17, -1
	v_cndmask_b32_e64 v17, 0, 1, s12
	s_delay_alu instid0(VALU_DEP_3) | instskip(SKIP_1) | instid1(VALU_DEP_3)
	v_dual_lshlrev_b32 v22, 30, v0 :: v_dual_lshlrev_b32 v23, 29, v0
	v_dual_lshlrev_b32 v39, 28, v0 :: v_dual_lshlrev_b32 v48, 27, v0
	v_cmp_ne_u32_e64 s12, 0, v17
	s_delay_alu instid0(VALU_DEP_3)
	v_not_b32_e32 v17, v22
	v_dual_lshlrev_b32 v49, 26, v0 :: v_dual_lshlrev_b32 v50, 25, v0
	v_lshlrev_b32_e32 v51, 24, v0
	v_cmp_gt_i32_e64 s13, 0, v22
	v_cmp_gt_i32_e64 s14, 0, v23
	v_not_b32_e32 v22, v23
	v_not_b32_e32 v23, v39
	v_ashrrev_i32_e32 v17, 31, v17
	v_cmp_gt_i32_e64 s15, 0, v39
	v_cmp_gt_i32_e64 s16, 0, v48
	v_not_b32_e32 v39, v48
	v_not_b32_e32 v48, v49
	v_dual_ashrrev_i32 v22, 31, v22 :: v_dual_bitop2_b32 v16, s12, v16 bitop3:0x14
	v_dual_ashrrev_i32 v23, 31, v23 :: v_dual_bitop2_b32 v17, s13, v17 bitop3:0x14
	v_cmp_gt_i32_e64 s17, 0, v49
	v_not_b32_e32 v49, v50
	v_not_b32_e32 v52, v51
	v_dual_ashrrev_i32 v39, 31, v39 :: v_dual_ashrrev_i32 v48, 31, v48
	v_xor_b32_e32 v22, s14, v22
	v_xor_b32_e32 v23, s15, v23
	v_bitop3_b32 v16, v16, v17, exec_lo bitop3:0x80
	s_delay_alu instid0(VALU_DEP_4)
	v_dual_lshlrev_b32 v0, 3, v0 :: v_dual_bitop2_b32 v39, s16, v39 bitop3:0x14
	v_xor_b32_e32 v17, s17, v48
	v_cmp_gt_i32_e64 s12, 0, v50
	v_ashrrev_i32_e32 v48, 31, v49
	v_cmp_gt_i32_e64 s13, 0, v51
	v_ashrrev_i32_e32 v49, 31, v52
	v_bitop3_b32 v16, v16, v23, v22 bitop3:0x80
	v_add_lshl_u32 v0, v0, v30, 2
	v_xor_b32_e32 v22, s12, v48
	s_delay_alu instid0(VALU_DEP_4) | instskip(NEXT) | instid1(VALU_DEP_4)
	v_xor_b32_e32 v23, s13, v49
	v_bitop3_b32 v16, v16, v17, v39 bitop3:0x80
	s_delay_alu instid0(VALU_DEP_1) | instskip(SKIP_2) | instid1(VALU_DEP_3)
	v_bitop3_b32 v22, v16, v23, v22 bitop3:0x80
	v_mov_b64_e32 v[16:17], v[20:21]
	v_add_nc_u64_e32 v[20:21], v[12:13], v[0:1]
	v_mbcnt_lo_u32_b32 v0, v22, 0
	v_cmp_ne_u32_e64 s13, 0, v22
	s_delay_alu instid0(VALU_DEP_3) | instskip(NEXT) | instid1(VALU_DEP_3)
	v_add_nc_u64_e32 v[20:21], 32, v[20:21]
	v_cmp_eq_u32_e64 s12, 0, v0
	s_and_b32 s13, s13, s12
	s_delay_alu instid0(SALU_CYCLE_1)
	s_and_saveexec_b32 s12, s13
; %bb.370:                              ;   in Loop: Header=BB390_369 Depth=1
	v_bcnt_u32_b32 v21, v22, 0
	ds_store_b32 v20, v21
; %bb.371:                              ;   in Loop: Header=BB390_369 Depth=1
	s_or_b32 exec_lo, exec_lo, s12
	; wave barrier
	s_wait_dscnt 0x0
	s_barrier_signal -1
	s_barrier_wait -1
	ds_load_b32 v22, v15
	ds_load_b32 v23, v19
	;; [unrolled: 1-line block ×8, first 2 shown]
	s_wait_dscnt 0x6
	v_add_nc_u32_e32 v52, v23, v22
	s_wait_dscnt 0x4
	s_delay_alu instid0(VALU_DEP_1) | instskip(SKIP_1) | instid1(VALU_DEP_1)
	v_add3_u32 v52, v52, v39, v48
	s_wait_dscnt 0x2
	v_add3_u32 v52, v52, v49, v50
	s_wait_dscnt 0x0
	s_delay_alu instid0(VALU_DEP_1) | instskip(NEXT) | instid1(VALU_DEP_1)
	v_add3_u32 v51, v52, v21, v51
	v_mov_b32_dpp v52, v51 row_shr:1 row_mask:0xf bank_mask:0xf
	s_delay_alu instid0(VALU_DEP_1) | instskip(NEXT) | instid1(VALU_DEP_1)
	v_cndmask_b32_e64 v52, v52, 0, vcc_lo
	v_add_nc_u32_e32 v51, v52, v51
	s_delay_alu instid0(VALU_DEP_1) | instskip(NEXT) | instid1(VALU_DEP_1)
	v_mov_b32_dpp v52, v51 row_shr:2 row_mask:0xf bank_mask:0xf
	v_cndmask_b32_e64 v52, 0, v52, s0
	s_delay_alu instid0(VALU_DEP_1) | instskip(NEXT) | instid1(VALU_DEP_1)
	v_add_nc_u32_e32 v51, v51, v52
	v_mov_b32_dpp v52, v51 row_shr:4 row_mask:0xf bank_mask:0xf
	s_delay_alu instid0(VALU_DEP_1) | instskip(NEXT) | instid1(VALU_DEP_1)
	v_cndmask_b32_e64 v52, 0, v52, s1
	v_add_nc_u32_e32 v51, v51, v52
	s_delay_alu instid0(VALU_DEP_1) | instskip(NEXT) | instid1(VALU_DEP_1)
	v_mov_b32_dpp v52, v51 row_shr:8 row_mask:0xf bank_mask:0xf
	v_cndmask_b32_e64 v52, 0, v52, s3
	s_delay_alu instid0(VALU_DEP_1) | instskip(SKIP_3) | instid1(VALU_DEP_1)
	v_add_nc_u32_e32 v51, v51, v52
	ds_swizzle_b32 v52, v51 offset:swizzle(BROADCAST,32,15)
	s_wait_dscnt 0x0
	v_cndmask_b32_e64 v52, v52, 0, s4
	v_add_nc_u32_e32 v51, v51, v52
	s_and_saveexec_b32 s12, s5
; %bb.372:                              ;   in Loop: Header=BB390_369 Depth=1
	ds_store_b32 v32, v51
; %bb.373:                              ;   in Loop: Header=BB390_369 Depth=1
	s_or_b32 exec_lo, exec_lo, s12
	s_wait_dscnt 0x0
	s_barrier_signal -1
	s_barrier_wait -1
	s_and_saveexec_b32 s12, s6
	s_cbranch_execz .LBB390_375
; %bb.374:                              ;   in Loop: Header=BB390_369 Depth=1
	ds_load_b32 v52, v33
	s_wait_dscnt 0x0
	v_mov_b32_dpp v53, v52 row_shr:1 row_mask:0xf bank_mask:0xf
	s_delay_alu instid0(VALU_DEP_1) | instskip(NEXT) | instid1(VALU_DEP_1)
	v_cndmask_b32_e64 v53, v53, 0, s9
	v_add_nc_u32_e32 v52, v53, v52
	s_delay_alu instid0(VALU_DEP_1) | instskip(NEXT) | instid1(VALU_DEP_1)
	v_mov_b32_dpp v53, v52 row_shr:2 row_mask:0xf bank_mask:0xf
	v_cndmask_b32_e64 v53, 0, v53, s10
	s_delay_alu instid0(VALU_DEP_1) | instskip(NEXT) | instid1(VALU_DEP_1)
	v_add_nc_u32_e32 v52, v52, v53
	v_mov_b32_dpp v53, v52 row_shr:4 row_mask:0xf bank_mask:0xf
	s_delay_alu instid0(VALU_DEP_1) | instskip(NEXT) | instid1(VALU_DEP_1)
	v_cndmask_b32_e64 v53, 0, v53, s11
	v_add_nc_u32_e32 v52, v52, v53
	ds_store_b32 v33, v52
.LBB390_375:                            ;   in Loop: Header=BB390_369 Depth=1
	s_or_b32 exec_lo, exec_lo, s12
	v_mov_b32_e32 v52, 0
	s_wait_dscnt 0x0
	s_barrier_signal -1
	s_barrier_wait -1
	s_and_saveexec_b32 s12, s7
; %bb.376:                              ;   in Loop: Header=BB390_369 Depth=1
	ds_load_b32 v52, v35
; %bb.377:                              ;   in Loop: Header=BB390_369 Depth=1
	s_or_b32 exec_lo, exec_lo, s12
	s_wait_dscnt 0x0
	v_dual_add_nc_u32 v51, v52, v51 :: v_dual_add_nc_u32 v10, 8, v10
	s_mov_b32 s14, -1
	s_mov_b32 s13, exec_lo
	ds_bpermute_b32 v51, v31, v51
	s_wait_dscnt 0x0
	v_cndmask_b32_e64 v51, v51, v52, s2
	s_delay_alu instid0(VALU_DEP_1) | instskip(NEXT) | instid1(VALU_DEP_1)
	v_cndmask_b32_e64 v51, v51, 0, s8
	v_add_nc_u32_e32 v22, v51, v22
	s_delay_alu instid0(VALU_DEP_1) | instskip(NEXT) | instid1(VALU_DEP_1)
	v_add_nc_u32_e32 v23, v22, v23
	v_add_nc_u32_e32 v39, v23, v39
	s_delay_alu instid0(VALU_DEP_1) | instskip(NEXT) | instid1(VALU_DEP_1)
	v_add_nc_u32_e32 v48, v39, v48
	v_add_nc_u32_e32 v49, v48, v49
	ds_store_b32 v15, v51
	ds_store_b32 v19, v22
	;; [unrolled: 1-line block ×3, first 2 shown]
	v_add_nc_u32_e32 v50, v49, v50
	s_delay_alu instid0(VALU_DEP_1)
	v_add_nc_u32_e32 v21, v50, v21
	ds_store_b32 v25, v39
	ds_store_b32 v26, v48
	;; [unrolled: 1-line block ×5, first 2 shown]
	s_wait_dscnt 0x0
	s_barrier_signal -1
	s_barrier_wait -1
	ds_load_b32 v20, v20
	s_wait_dscnt 0x0
                                        ; implicit-def: $vgpr39
	v_add_nc_u32_e32 v0, v20, v0
                                        ; implicit-def: $vgpr20_vgpr21
	s_delay_alu instid0(VALU_DEP_1)
	v_add_nc_u64_e32 v[22:23], v[12:13], v[0:1]
	v_cmpx_lt_u32_e64 v10, v11
	s_cbranch_execz .LBB390_368
; %bb.378:                              ;   in Loop: Header=BB390_369 Depth=1
	s_delay_alu instid0(VALU_DEP_2)
	v_mad_nc_u64_u32 v[20:21], v0, 7, v[22:23]
	s_barrier_signal -1
	s_barrier_wait -1
	ds_store_b8 v22, v38
	s_wait_dscnt 0x0
	s_barrier_signal -1
	s_barrier_wait -1
	ds_load_u8 v39, v34
	s_wait_dscnt 0x0
	s_barrier_signal -1
	s_barrier_wait -1
	ds_store_b64 v20, v[16:17]
	s_wait_dscnt 0x0
	s_barrier_signal -1
	s_barrier_wait -1
	ds_load_b64 v[20:21], v36
	v_add_nc_u32_e32 v37, -8, v37
	s_xor_b32 s14, exec_lo, -1
	s_wait_dscnt 0x0
	s_barrier_signal -1
	s_barrier_wait -1
	s_branch .LBB390_368
.LBB390_379:
	s_or_b32 exec_lo, exec_lo, s19
	v_mad_nc_u64_u32 v[0:1], v0, 7, v[22:23]
	v_add_nc_u32_e32 v5, v12, v14
	v_mul_u32_u24_e32 v1, 7, v14
	s_barrier_signal -1
	s_barrier_wait -1
	ds_store_b8 v22, v38
	s_wait_dscnt 0x0
	s_barrier_signal -1
	s_barrier_wait -1
	ds_load_u8 v4, v5
	s_wait_dscnt 0x0
	s_barrier_signal -1
	s_barrier_wait -1
	ds_store_b64 v0, v[16:17]
	v_add_nc_u32_e32 v0, v5, v1
	s_wait_dscnt 0x0
	s_barrier_signal -1
	s_barrier_wait -1
	ds_load_b64 v[0:1], v0
	s_mov_b32 s0, exec_lo
	s_wait_dscnt 0x0
	s_barrier_signal -1
	s_barrier_wait -1
	s_set_vgpr_msb 4                        ;  msbs: dst=0 src0=0 src1=1 src2=0
	v_cmpx_lt_u32_e64 v18, v20 /*v276*/
	s_set_vgpr_msb 0                        ;  msbs: dst=0 src0=0 src1=0 src2=0
	s_cbranch_execz .LBB390_381
; %bb.380:
	v_add_nc_u64_e32 v[2:3], v[2:3], v[8:9]
	v_mov_b32_e32 v19, 0
	v_lshl_add_u64 v[6:7], v[8:9], 3, v[6:7]
	v_xor_b32_e32 v8, 0x80, v4
	s_delay_alu instid0(VALU_DEP_2)
	v_lshl_add_u64 v[4:5], v[18:19], 3, v[6:7]
	v_add_nc_u64_e32 v[2:3], v[2:3], v[18:19]
	flat_store_b8 v[2:3], v8
	flat_store_b64 v[4:5], v[0:1]
.LBB390_381:
	s_wait_xcnt 0x0
	s_or_b32 exec_lo, exec_lo, s0
.LBB390_382:
	s_delay_alu instid0(SALU_CYCLE_1)
	s_or_b32 exec_lo, exec_lo, s22
	s_wait_dscnt 0x0
	s_set_pc_i64 s[30:31]
.Lfunc_end390:
	.size	_ZN7rocprim17ROCPRIM_400000_NS6detail40segmented_radix_sort_single_block_helperIalLj256ELj17ELb0EE4sortIPKaPaPKlPlEEbT_T0_T1_T2_jjjjRNS3_12storage_typeE, .Lfunc_end390-_ZN7rocprim17ROCPRIM_400000_NS6detail40segmented_radix_sort_single_block_helperIalLj256ELj17ELb0EE4sortIPKaPaPKlPlEEbT_T0_T1_T2_jjjjRNS3_12storage_typeE
                                        ; -- End function
	.set .L_ZN7rocprim17ROCPRIM_400000_NS6detail40segmented_radix_sort_single_block_helperIalLj256ELj17ELb0EE4sortIPKaPaPKlPlEEbT_T0_T1_T2_jjjjRNS3_12storage_typeE.num_vgpr, 315
	.set .L_ZN7rocprim17ROCPRIM_400000_NS6detail40segmented_radix_sort_single_block_helperIalLj256ELj17ELb0EE4sortIPKaPaPKlPlEEbT_T0_T1_T2_jjjjRNS3_12storage_typeE.num_agpr, 0
	.set .L_ZN7rocprim17ROCPRIM_400000_NS6detail40segmented_radix_sort_single_block_helperIalLj256ELj17ELb0EE4sortIPKaPaPKlPlEEbT_T0_T1_T2_jjjjRNS3_12storage_typeE.numbered_sgpr, 32
	.set .L_ZN7rocprim17ROCPRIM_400000_NS6detail40segmented_radix_sort_single_block_helperIalLj256ELj17ELb0EE4sortIPKaPaPKlPlEEbT_T0_T1_T2_jjjjRNS3_12storage_typeE.num_named_barrier, 0
	.set .L_ZN7rocprim17ROCPRIM_400000_NS6detail40segmented_radix_sort_single_block_helperIalLj256ELj17ELb0EE4sortIPKaPaPKlPlEEbT_T0_T1_T2_jjjjRNS3_12storage_typeE.private_seg_size, 0
	.set .L_ZN7rocprim17ROCPRIM_400000_NS6detail40segmented_radix_sort_single_block_helperIalLj256ELj17ELb0EE4sortIPKaPaPKlPlEEbT_T0_T1_T2_jjjjRNS3_12storage_typeE.uses_vcc, 1
	.set .L_ZN7rocprim17ROCPRIM_400000_NS6detail40segmented_radix_sort_single_block_helperIalLj256ELj17ELb0EE4sortIPKaPaPKlPlEEbT_T0_T1_T2_jjjjRNS3_12storage_typeE.uses_flat_scratch, 0
	.set .L_ZN7rocprim17ROCPRIM_400000_NS6detail40segmented_radix_sort_single_block_helperIalLj256ELj17ELb0EE4sortIPKaPaPKlPlEEbT_T0_T1_T2_jjjjRNS3_12storage_typeE.has_dyn_sized_stack, 0
	.set .L_ZN7rocprim17ROCPRIM_400000_NS6detail40segmented_radix_sort_single_block_helperIalLj256ELj17ELb0EE4sortIPKaPaPKlPlEEbT_T0_T1_T2_jjjjRNS3_12storage_typeE.has_recursion, 0
	.set .L_ZN7rocprim17ROCPRIM_400000_NS6detail40segmented_radix_sort_single_block_helperIalLj256ELj17ELb0EE4sortIPKaPaPKlPlEEbT_T0_T1_T2_jjjjRNS3_12storage_typeE.has_indirect_call, 0
	.section	.AMDGPU.csdata,"",@progbits
; Function info:
; codeLenInByte = 32136
; TotalNumSgprs: 34
; NumVgprs: 315
; ScratchSize: 0
; MemoryBound: 1
	.section	.text._ZN7rocprim17ROCPRIM_400000_NS6detail17trampoline_kernelINS0_14default_configENS1_36segmented_radix_sort_config_selectorIalEEZNS1_25segmented_radix_sort_implIS3_Lb0EPKaPaPKlPlN2at6native12_GLOBAL__N_18offset_tEEE10hipError_tPvRmT1_PNSt15iterator_traitsISK_E10value_typeET2_T3_PNSL_ISQ_E10value_typeET4_jRbjT5_SW_jjP12ihipStream_tbEUlT_E_NS1_11comp_targetILNS1_3genE0ELNS1_11target_archE4294967295ELNS1_3gpuE0ELNS1_3repE0EEENS1_30default_config_static_selectorELNS0_4arch9wavefront6targetE0EEEvSK_,"axG",@progbits,_ZN7rocprim17ROCPRIM_400000_NS6detail17trampoline_kernelINS0_14default_configENS1_36segmented_radix_sort_config_selectorIalEEZNS1_25segmented_radix_sort_implIS3_Lb0EPKaPaPKlPlN2at6native12_GLOBAL__N_18offset_tEEE10hipError_tPvRmT1_PNSt15iterator_traitsISK_E10value_typeET2_T3_PNSL_ISQ_E10value_typeET4_jRbjT5_SW_jjP12ihipStream_tbEUlT_E_NS1_11comp_targetILNS1_3genE0ELNS1_11target_archE4294967295ELNS1_3gpuE0ELNS1_3repE0EEENS1_30default_config_static_selectorELNS0_4arch9wavefront6targetE0EEEvSK_,comdat
	.globl	_ZN7rocprim17ROCPRIM_400000_NS6detail17trampoline_kernelINS0_14default_configENS1_36segmented_radix_sort_config_selectorIalEEZNS1_25segmented_radix_sort_implIS3_Lb0EPKaPaPKlPlN2at6native12_GLOBAL__N_18offset_tEEE10hipError_tPvRmT1_PNSt15iterator_traitsISK_E10value_typeET2_T3_PNSL_ISQ_E10value_typeET4_jRbjT5_SW_jjP12ihipStream_tbEUlT_E_NS1_11comp_targetILNS1_3genE0ELNS1_11target_archE4294967295ELNS1_3gpuE0ELNS1_3repE0EEENS1_30default_config_static_selectorELNS0_4arch9wavefront6targetE0EEEvSK_ ; -- Begin function _ZN7rocprim17ROCPRIM_400000_NS6detail17trampoline_kernelINS0_14default_configENS1_36segmented_radix_sort_config_selectorIalEEZNS1_25segmented_radix_sort_implIS3_Lb0EPKaPaPKlPlN2at6native12_GLOBAL__N_18offset_tEEE10hipError_tPvRmT1_PNSt15iterator_traitsISK_E10value_typeET2_T3_PNSL_ISQ_E10value_typeET4_jRbjT5_SW_jjP12ihipStream_tbEUlT_E_NS1_11comp_targetILNS1_3genE0ELNS1_11target_archE4294967295ELNS1_3gpuE0ELNS1_3repE0EEENS1_30default_config_static_selectorELNS0_4arch9wavefront6targetE0EEEvSK_
	.p2align	8
	.type	_ZN7rocprim17ROCPRIM_400000_NS6detail17trampoline_kernelINS0_14default_configENS1_36segmented_radix_sort_config_selectorIalEEZNS1_25segmented_radix_sort_implIS3_Lb0EPKaPaPKlPlN2at6native12_GLOBAL__N_18offset_tEEE10hipError_tPvRmT1_PNSt15iterator_traitsISK_E10value_typeET2_T3_PNSL_ISQ_E10value_typeET4_jRbjT5_SW_jjP12ihipStream_tbEUlT_E_NS1_11comp_targetILNS1_3genE0ELNS1_11target_archE4294967295ELNS1_3gpuE0ELNS1_3repE0EEENS1_30default_config_static_selectorELNS0_4arch9wavefront6targetE0EEEvSK_,@function
_ZN7rocprim17ROCPRIM_400000_NS6detail17trampoline_kernelINS0_14default_configENS1_36segmented_radix_sort_config_selectorIalEEZNS1_25segmented_radix_sort_implIS3_Lb0EPKaPaPKlPlN2at6native12_GLOBAL__N_18offset_tEEE10hipError_tPvRmT1_PNSt15iterator_traitsISK_E10value_typeET2_T3_PNSL_ISQ_E10value_typeET4_jRbjT5_SW_jjP12ihipStream_tbEUlT_E_NS1_11comp_targetILNS1_3genE0ELNS1_11target_archE4294967295ELNS1_3gpuE0ELNS1_3repE0EEENS1_30default_config_static_selectorELNS0_4arch9wavefront6targetE0EEEvSK_: ; @_ZN7rocprim17ROCPRIM_400000_NS6detail17trampoline_kernelINS0_14default_configENS1_36segmented_radix_sort_config_selectorIalEEZNS1_25segmented_radix_sort_implIS3_Lb0EPKaPaPKlPlN2at6native12_GLOBAL__N_18offset_tEEE10hipError_tPvRmT1_PNSt15iterator_traitsISK_E10value_typeET2_T3_PNSL_ISQ_E10value_typeET4_jRbjT5_SW_jjP12ihipStream_tbEUlT_E_NS1_11comp_targetILNS1_3genE0ELNS1_11target_archE4294967295ELNS1_3gpuE0ELNS1_3repE0EEENS1_30default_config_static_selectorELNS0_4arch9wavefront6targetE0EEEvSK_
; %bb.0:
	s_load_b64 s[8:9], s[2:3], 0x38
	s_bfe_u32 s4, ttmp6, 0x4000c
	s_and_b32 s5, ttmp6, 15
	s_add_co_i32 s4, s4, 1
	s_getreg_b32 s27, hwreg(HW_REG_IB_STS2, 6, 4)
	s_mul_i32 s4, ttmp9, s4
	s_mov_b32 s32, 0
	s_add_co_i32 s5, s5, s4
	s_cmp_eq_u32 s27, 0
	s_cselect_b32 s51, ttmp9, s5
	s_load_b128 s[4:7], s[2:3], 0x40
	s_wait_kmcnt 0x0
	s_load_b32 s10, s[8:9], s51 offset:0x0 scale_offset
	s_wait_kmcnt 0x0
	s_add_co_i32 s54, s10, s7
	s_add_co_i32 s55, s10, s5
	s_mul_i32 s54, s54, s6
	s_mul_i32 s55, s55, s4
	s_delay_alu instid0(SALU_CYCLE_1)
	s_cmp_le_u32 s54, s55
	s_cbranch_scc1 .LBB391_1254
; %bb.1:
	s_clause 0x3
	s_load_b32 s4, s[2:3], 0x30
	s_load_b128 s[44:47], s[2:3], 0x20
	s_load_b96 s[48:50], s[2:3], 0x50
	s_load_b256 s[36:43], s[2:3], 0x0
	s_wait_kmcnt 0x0
	s_bitcmp1_b32 s4, 0
	s_mov_b32 s4, -1
	s_cselect_b32 s56, -1, 0
	s_sub_co_i32 s57, s54, s55
	s_delay_alu instid0(SALU_CYCLE_1)
	s_cmp_lt_u32 s57, 0x1101
	s_cbranch_scc0 .LBB391_7
; %bb.2:
	v_cndmask_b32_e64 v1, 0, 1, s56
	s_and_b32 s4, s48, 1
	s_get_pc_i64 s[28:29]
	s_add_nc_u64 s[28:29], s[28:29], _ZN7rocprim17ROCPRIM_400000_NS6detail40segmented_radix_sort_single_block_helperIalLj256ELj17ELb0EE4sortIPKaPaPKlPlEEbT_T0_T1_T2_jjjjRNS3_12storage_typeE@rel64+4
	s_delay_alu instid0(VALU_DEP_1)
	v_cmp_ne_u32_e32 vcc_lo, s4, v1
	s_mov_b32 s4, -1
	s_cbranch_vccnz .LBB391_4
; %bb.3:
	s_mov_b64 s[4:5], src_shared_base
	v_dual_mov_b32 v31, v0 :: v_dual_mov_b32 v40, v0
	v_dual_mov_b32 v0, s36 :: v_dual_mov_b32 v1, s37
	v_dual_mov_b32 v2, s40 :: v_dual_mov_b32 v3, s41
	v_dual_mov_b32 v4, s42 :: v_dual_mov_b32 v5, s43
	v_dual_mov_b32 v6, s46 :: v_dual_mov_b32 v7, s47
	v_dual_mov_b32 v8, s55 :: v_dual_mov_b32 v9, s54
	v_dual_mov_b32 v10, s49 :: v_dual_mov_b32 v11, s50
	v_dual_mov_b32 v12, 0 :: v_dual_mov_b32 v13, s5
	s_add_nc_u64 s[8:9], s[2:3], 0x60
	s_mov_b64 s[6:7], s[0:1]
	s_mov_b64 s[34:35], s[2:3]
	;; [unrolled: 1-line block ×3, first 2 shown]
	s_swap_pc_i64 s[30:31], s[28:29]
	v_mov_b32_e32 v0, v40
	s_mov_b64 s[0:1], s[52:53]
	s_mov_b64 s[2:3], s[34:35]
	s_mov_b32 s4, 0
.LBB391_4:
	s_delay_alu instid0(SALU_CYCLE_1)
	s_and_not1_b32 vcc_lo, exec_lo, s4
	s_cbranch_vccnz .LBB391_6
; %bb.5:
	s_mov_b64 s[4:5], src_shared_base
	v_dual_mov_b32 v31, v0 :: v_dual_mov_b32 v40, v0
	v_dual_mov_b32 v0, s36 :: v_dual_mov_b32 v1, s37
	;; [unrolled: 1-line block ×8, first 2 shown]
	s_add_nc_u64 s[8:9], s[2:3], 0x60
	s_mov_b64 s[6:7], s[0:1]
	s_mov_b64 s[34:35], s[2:3]
	s_swap_pc_i64 s[30:31], s[28:29]
	v_mov_b32_e32 v0, v40
	s_mov_b64 s[2:3], s[34:35]
.LBB391_6:
	s_mov_b32 s4, 0
.LBB391_7:
	s_delay_alu instid0(SALU_CYCLE_1)
	s_and_not1_b32 vcc_lo, exec_lo, s4
	s_cbranch_vccnz .LBB391_1254
; %bb.8:
	s_cmp_ge_u32 s49, s50
	s_cbranch_scc1 .LBB391_1254
; %bb.9:
	v_dual_mov_b32 v1, 0 :: v_dual_bitop2_b32 v6, 3, v0 bitop3:0x40
	v_and_b32_e32 v2, 0x3ff, v0
	v_and_b32_e32 v8, 0xe0, v0
	s_bfe_u32 s6, ttmp6, 0x40010
	s_delay_alu instid0(VALU_DEP_3)
	v_mov_b32_e32 v3, v1
	v_bfe_u32 v89, v0, 20, 10
	v_lshlrev_b32_e32 v66, 2, v2
	v_min_u32_e32 v7, 0x60, v8
	v_dual_lshrrev_b32 v9, 3, v0 :: v_dual_lshlrev_b32 v84, 2, v6
	v_mul_u32_u24_e32 v6, 17, v8
	s_delay_alu instid0(VALU_DEP_4) | instskip(NEXT) | instid1(VALU_DEP_4)
	v_mad_u32_u24 v85, v2, 12, v66
	v_or_b32_e32 v7, 31, v7
	s_delay_alu instid0(VALU_DEP_4) | instskip(SKIP_1) | instid1(VALU_DEP_4)
	v_and_b32_e32 v83, 28, v9
	v_dual_lshlrev_b32 v9, 4, v2 :: v_dual_bitop2_b32 v8, 31, v8 bitop3:0x54
	v_add_nc_u32_e32 v90, v85, v66
	s_delay_alu instid0(VALU_DEP_4) | instskip(NEXT) | instid1(VALU_DEP_4)
	v_cmp_eq_u32_e64 s1, v2, v7
	v_dual_mov_b32 v7, v1 :: v_dual_add_nc_u32 v88, 0x89fc, v83
	s_add_nc_u64 s[52:53], s[2:3], 0x60
	v_bfe_u32 v91, v0, 10, 10
	v_cmp_eq_u32_e64 s2, v2, v8
	v_dual_add_nc_u32 v8, 1, v2 :: v_dual_sub_nc_u32 v92, v90, v9
	v_lshlrev_b32_e32 v0, 3, v6
	s_add_co_i32 s6, s6, 1
	s_bfe_u32 s7, ttmp6, 0x40004
	s_mul_i32 s6, ttmp7, s6
	v_add_nc_u64_e32 v[4:5], s[40:41], v[2:3]
	s_add_co_i32 s8, s7, s6
	v_mul_u32_u24_e32 v93, 36, v8
	v_cmp_ne_u32_e64 s7, 0x80, v8
	v_add_nc_u64_e32 v[8:9], s[46:47], v[0:1]
	v_add_nc_u64_e32 v[10:11], s[40:41], v[6:7]
	;; [unrolled: 1-line block ×8, first 2 shown]
	v_or_b32_e32 v67, 0x100, v2
	v_or_b32_e32 v68, 0x200, v2
	;; [unrolled: 1-line block ×16, first 2 shown]
	v_cmp_gt_u32_e64 s0, 0x80, v2
	v_or_b32_e32 v86, 0x8a00, v83
	v_cmp_gt_u32_e64 s4, 4, v2
	v_add_nc_u32_e32 v87, 0x8a00, v66
	v_cmp_lt_u32_e64 s5, 31, v2
	v_cmp_gt_u32_e64 s3, 8, v2
	v_cmp_eq_u32_e64 s6, 0, v2
	v_dual_mov_b32 v7, 1 :: v_dual_lshlrev_b32 v94, 5, v2
	v_mul_u32_u24_e32 v95, 7, v2
	v_mbcnt_lo_u32_b32 v0, -1, 0
	s_cmp_eq_u32 s27, 0
	s_mov_b32 s35, 0
	s_cselect_b32 s42, ttmp7, s8
	s_movk_i32 s43, 0xff
	s_mov_b32 s48, s49
	s_branch .LBB391_12
.LBB391_10:                             ;   in Loop: Header=BB391_12 Depth=1
	s_wait_dscnt 0x0
	s_barrier_signal -1
	s_barrier_wait -1
.LBB391_11:                             ;   in Loop: Header=BB391_12 Depth=1
	s_add_co_i32 s48, s48, 7
	s_delay_alu instid0(SALU_CYCLE_1)
	s_cmp_ge_u32 s48, s50
	s_cbranch_scc1 .LBB391_1254
.LBB391_12:                             ; =>This Loop Header: Depth=1
                                        ;     Child Loop BB391_16 Depth 2
                                        ;     Child Loop BB391_100 Depth 2
	;; [unrolled: 1-line block ×8, first 2 shown]
	s_sub_co_i32 s8, s50, s48
	s_xor_b32 s56, s56, -1
	s_min_u32 s8, s8, 7
	ds_store_2addr_stride64_b32 v66, v1, v1 offset1:4
	s_lshl_b32 s8, -1, s8
	s_wait_storecnt_dscnt 0x0
	s_not_b32 s58, s8
	s_cmp_lg_u32 s48, s49
	s_mov_b32 s8, -1
	s_cbranch_scc0 .LBB391_634
; %bb.13:                               ;   in Loop: Header=BB391_12 Depth=1
	s_and_b32 vcc_lo, exec_lo, s56
	s_cbranch_vccz .LBB391_323
; %bb.14:                               ;   in Loop: Header=BB391_12 Depth=1
	v_dual_mov_b32 v39, 0 :: v_dual_mov_b32 v42, 0
	v_dual_mov_b32 v41, 0 :: v_dual_mov_b32 v40, 0
	;; [unrolled: 1-line block ×8, first 2 shown]
	v_mov_b32_e32 v26, 0
	s_mov_b32 s8, s57
	s_mov_b32 s34, s55
	s_barrier_signal -1
	s_barrier_wait -1
	s_branch .LBB391_16
.LBB391_15:                             ;   in Loop: Header=BB391_16 Depth=2
	s_or_b32 exec_lo, exec_lo, s10
	s_addk_co_i32 s8, 0xef00
	s_cmp_ge_u32 s9, s54
	s_mov_b32 s34, s9
	s_cbranch_scc1 .LBB391_88
.LBB391_16:                             ;   Parent Loop BB391_12 Depth=1
                                        ; =>  This Inner Loop Header: Depth=2
	s_add_co_i32 s9, s34, 0x1100
	s_mov_b32 s10, -1
	s_cmp_gt_u32 s9, s54
                                        ; implicit-def: $vgpr24
                                        ; implicit-def: $vgpr25
                                        ; implicit-def: $vgpr43
                                        ; implicit-def: $vgpr44
                                        ; implicit-def: $vgpr45
                                        ; implicit-def: $vgpr46
                                        ; implicit-def: $vgpr47
                                        ; implicit-def: $vgpr48
                                        ; implicit-def: $vgpr49
                                        ; implicit-def: $vgpr50
                                        ; implicit-def: $vgpr51
                                        ; implicit-def: $vgpr52
                                        ; implicit-def: $vgpr53
                                        ; implicit-def: $vgpr54
                                        ; implicit-def: $vgpr55
                                        ; implicit-def: $vgpr56
                                        ; implicit-def: $vgpr57
	s_cbranch_scc1 .LBB391_18
; %bb.17:                               ;   in Loop: Header=BB391_16 Depth=2
	v_add_nc_u64_e32 v[58:59], s[34:35], v[4:5]
	s_mov_b32 s10, 0
	s_clause 0x10
	global_load_u8 v57, v[58:59], off offset:4096
	global_load_u8 v56, v[58:59], off offset:3840
	;; [unrolled: 1-line block ×16, first 2 shown]
	global_load_u8 v24, v[58:59], off
.LBB391_18:                             ;   in Loop: Header=BB391_16 Depth=2
	s_and_not1_b32 vcc_lo, exec_lo, s10
	s_movk_i32 s10, 0x1100
	s_cbranch_vccnz .LBB391_38
; %bb.19:                               ;   in Loop: Header=BB391_16 Depth=2
	s_add_nc_u64 s[10:11], s[40:41], s[34:35]
	s_wait_loadcnt 0x0
	v_add_nc_u64_e32 v[24:25], s[10:11], v[2:3]
	s_mov_b32 s10, exec_lo
	s_wait_xcnt 0x0
	v_cmpx_gt_u32_e64 s8, v2
	s_cbranch_execnz .LBB391_72
; %bb.20:                               ;   in Loop: Header=BB391_16 Depth=2
	s_or_b32 exec_lo, exec_lo, s10
	s_delay_alu instid0(SALU_CYCLE_1)
	s_mov_b32 s10, exec_lo
	v_cmpx_gt_u32_e64 s8, v67
	s_cbranch_execnz .LBB391_73
.LBB391_21:                             ;   in Loop: Header=BB391_16 Depth=2
	s_or_b32 exec_lo, exec_lo, s10
	s_delay_alu instid0(SALU_CYCLE_1)
	s_mov_b32 s10, exec_lo
	v_cmpx_gt_u32_e64 s8, v68
	s_cbranch_execnz .LBB391_74
.LBB391_22:                             ;   in Loop: Header=BB391_16 Depth=2
	s_or_b32 exec_lo, exec_lo, s10
	s_delay_alu instid0(SALU_CYCLE_1)
	s_mov_b32 s10, exec_lo
	v_cmpx_gt_u32_e64 s8, v69
	s_cbranch_execnz .LBB391_75
.LBB391_23:                             ;   in Loop: Header=BB391_16 Depth=2
	s_or_b32 exec_lo, exec_lo, s10
	s_delay_alu instid0(SALU_CYCLE_1)
	s_mov_b32 s10, exec_lo
	v_cmpx_gt_u32_e64 s8, v70
	s_cbranch_execnz .LBB391_76
.LBB391_24:                             ;   in Loop: Header=BB391_16 Depth=2
	s_or_b32 exec_lo, exec_lo, s10
	s_delay_alu instid0(SALU_CYCLE_1)
	s_mov_b32 s10, exec_lo
	v_cmpx_gt_u32_e64 s8, v71
	s_cbranch_execnz .LBB391_77
.LBB391_25:                             ;   in Loop: Header=BB391_16 Depth=2
	s_or_b32 exec_lo, exec_lo, s10
	s_delay_alu instid0(SALU_CYCLE_1)
	s_mov_b32 s10, exec_lo
	v_cmpx_gt_u32_e64 s8, v72
	s_cbranch_execnz .LBB391_78
.LBB391_26:                             ;   in Loop: Header=BB391_16 Depth=2
	s_or_b32 exec_lo, exec_lo, s10
	s_delay_alu instid0(SALU_CYCLE_1)
	s_mov_b32 s10, exec_lo
	v_cmpx_gt_u32_e64 s8, v73
	s_cbranch_execnz .LBB391_79
.LBB391_27:                             ;   in Loop: Header=BB391_16 Depth=2
	s_or_b32 exec_lo, exec_lo, s10
	s_delay_alu instid0(SALU_CYCLE_1)
	s_mov_b32 s10, exec_lo
	v_cmpx_gt_u32_e64 s8, v74
	s_cbranch_execnz .LBB391_80
.LBB391_28:                             ;   in Loop: Header=BB391_16 Depth=2
	s_or_b32 exec_lo, exec_lo, s10
	s_delay_alu instid0(SALU_CYCLE_1)
	s_mov_b32 s10, exec_lo
	v_cmpx_gt_u32_e64 s8, v75
	s_cbranch_execnz .LBB391_81
.LBB391_29:                             ;   in Loop: Header=BB391_16 Depth=2
	s_or_b32 exec_lo, exec_lo, s10
	s_delay_alu instid0(SALU_CYCLE_1)
	s_mov_b32 s10, exec_lo
	v_cmpx_gt_u32_e64 s8, v76
	s_cbranch_execnz .LBB391_82
.LBB391_30:                             ;   in Loop: Header=BB391_16 Depth=2
	s_or_b32 exec_lo, exec_lo, s10
	s_delay_alu instid0(SALU_CYCLE_1)
	s_mov_b32 s10, exec_lo
	v_cmpx_gt_u32_e64 s8, v77
	s_cbranch_execnz .LBB391_83
.LBB391_31:                             ;   in Loop: Header=BB391_16 Depth=2
	s_or_b32 exec_lo, exec_lo, s10
	s_delay_alu instid0(SALU_CYCLE_1)
	s_mov_b32 s10, exec_lo
	v_cmpx_gt_u32_e64 s8, v78
	s_cbranch_execnz .LBB391_84
.LBB391_32:                             ;   in Loop: Header=BB391_16 Depth=2
	s_or_b32 exec_lo, exec_lo, s10
	s_delay_alu instid0(SALU_CYCLE_1)
	s_mov_b32 s10, exec_lo
	v_cmpx_gt_u32_e64 s8, v79
	s_cbranch_execnz .LBB391_85
.LBB391_33:                             ;   in Loop: Header=BB391_16 Depth=2
	s_or_b32 exec_lo, exec_lo, s10
	s_delay_alu instid0(SALU_CYCLE_1)
	s_mov_b32 s10, exec_lo
	v_cmpx_gt_u32_e64 s8, v80
	s_cbranch_execnz .LBB391_86
.LBB391_34:                             ;   in Loop: Header=BB391_16 Depth=2
	s_or_b32 exec_lo, exec_lo, s10
	s_delay_alu instid0(SALU_CYCLE_1)
	s_mov_b32 s10, exec_lo
	v_cmpx_gt_u32_e64 s8, v81
	s_cbranch_execnz .LBB391_87
.LBB391_35:                             ;   in Loop: Header=BB391_16 Depth=2
	s_or_b32 exec_lo, exec_lo, s10
	s_delay_alu instid0(SALU_CYCLE_1)
	s_mov_b32 s10, exec_lo
	v_cmpx_gt_u32_e64 s8, v82
	s_cbranch_execz .LBB391_37
.LBB391_36:                             ;   in Loop: Header=BB391_16 Depth=2
	global_load_u8 v26, v[24:25], off offset:4096
.LBB391_37:                             ;   in Loop: Header=BB391_16 Depth=2
	s_wait_xcnt 0x0
	s_or_b32 exec_lo, exec_lo, s10
	s_wait_loadcnt 0x0
	v_dual_mov_b32 v24, v39 :: v_dual_mov_b32 v25, v42
	v_dual_mov_b32 v43, v41 :: v_dual_mov_b32 v44, v40
	;; [unrolled: 1-line block ×8, first 2 shown]
	v_mov_b32_e32 v57, v26
	s_mov_b32 s10, s8
.LBB391_38:                             ;   in Loop: Header=BB391_16 Depth=2
	s_wait_loadcnt 0xf
	s_delay_alu instid0(VALU_DEP_1)
	v_dual_mov_b32 v26, v57 :: v_dual_mov_b32 v27, v56
	s_wait_loadcnt 0xd
	v_dual_mov_b32 v28, v55 :: v_dual_mov_b32 v29, v54
	s_wait_loadcnt 0xb
	;; [unrolled: 2-line block ×8, first 2 shown]
	v_mov_b32_e32 v39, v24
	s_mov_b32 s11, exec_lo
	s_wait_xcnt 0x0
	v_cmpx_gt_u32_e64 s10, v2
	s_cbranch_execnz .LBB391_55
; %bb.39:                               ;   in Loop: Header=BB391_16 Depth=2
	s_or_b32 exec_lo, exec_lo, s11
	s_delay_alu instid0(SALU_CYCLE_1)
	s_mov_b32 s11, exec_lo
	v_cmpx_gt_u32_e64 s10, v67
	s_cbranch_execnz .LBB391_56
.LBB391_40:                             ;   in Loop: Header=BB391_16 Depth=2
	s_or_b32 exec_lo, exec_lo, s11
	s_delay_alu instid0(SALU_CYCLE_1)
	s_mov_b32 s11, exec_lo
	v_cmpx_gt_u32_e64 s10, v68
	s_cbranch_execnz .LBB391_57
.LBB391_41:                             ;   in Loop: Header=BB391_16 Depth=2
	s_or_b32 exec_lo, exec_lo, s11
	s_delay_alu instid0(SALU_CYCLE_1)
	s_mov_b32 s11, exec_lo
	v_cmpx_gt_u32_e64 s10, v69
	s_cbranch_execnz .LBB391_58
.LBB391_42:                             ;   in Loop: Header=BB391_16 Depth=2
	s_or_b32 exec_lo, exec_lo, s11
	s_delay_alu instid0(SALU_CYCLE_1)
	s_mov_b32 s11, exec_lo
	v_cmpx_gt_u32_e64 s10, v70
	s_cbranch_execnz .LBB391_59
.LBB391_43:                             ;   in Loop: Header=BB391_16 Depth=2
	s_or_b32 exec_lo, exec_lo, s11
	s_delay_alu instid0(SALU_CYCLE_1)
	s_mov_b32 s11, exec_lo
	v_cmpx_gt_u32_e64 s10, v71
	s_cbranch_execnz .LBB391_60
.LBB391_44:                             ;   in Loop: Header=BB391_16 Depth=2
	s_or_b32 exec_lo, exec_lo, s11
	s_delay_alu instid0(SALU_CYCLE_1)
	s_mov_b32 s11, exec_lo
	v_cmpx_gt_u32_e64 s10, v72
	s_cbranch_execnz .LBB391_61
.LBB391_45:                             ;   in Loop: Header=BB391_16 Depth=2
	s_or_b32 exec_lo, exec_lo, s11
	s_delay_alu instid0(SALU_CYCLE_1)
	s_mov_b32 s11, exec_lo
	v_cmpx_gt_u32_e64 s10, v73
	s_cbranch_execnz .LBB391_62
.LBB391_46:                             ;   in Loop: Header=BB391_16 Depth=2
	s_or_b32 exec_lo, exec_lo, s11
	s_delay_alu instid0(SALU_CYCLE_1)
	s_mov_b32 s11, exec_lo
	v_cmpx_gt_u32_e64 s10, v74
	s_cbranch_execnz .LBB391_63
.LBB391_47:                             ;   in Loop: Header=BB391_16 Depth=2
	s_or_b32 exec_lo, exec_lo, s11
	s_delay_alu instid0(SALU_CYCLE_1)
	s_mov_b32 s11, exec_lo
	v_cmpx_gt_u32_e64 s10, v75
	s_cbranch_execnz .LBB391_64
.LBB391_48:                             ;   in Loop: Header=BB391_16 Depth=2
	s_or_b32 exec_lo, exec_lo, s11
	s_delay_alu instid0(SALU_CYCLE_1)
	s_mov_b32 s11, exec_lo
	v_cmpx_gt_u32_e64 s10, v76
	s_cbranch_execnz .LBB391_65
.LBB391_49:                             ;   in Loop: Header=BB391_16 Depth=2
	s_or_b32 exec_lo, exec_lo, s11
	s_delay_alu instid0(SALU_CYCLE_1)
	s_mov_b32 s11, exec_lo
	v_cmpx_gt_u32_e64 s10, v77
	s_cbranch_execnz .LBB391_66
.LBB391_50:                             ;   in Loop: Header=BB391_16 Depth=2
	s_or_b32 exec_lo, exec_lo, s11
	s_delay_alu instid0(SALU_CYCLE_1)
	s_mov_b32 s11, exec_lo
	v_cmpx_gt_u32_e64 s10, v78
	s_cbranch_execnz .LBB391_67
.LBB391_51:                             ;   in Loop: Header=BB391_16 Depth=2
	s_or_b32 exec_lo, exec_lo, s11
	s_delay_alu instid0(SALU_CYCLE_1)
	s_mov_b32 s11, exec_lo
	v_cmpx_gt_u32_e64 s10, v79
	s_cbranch_execnz .LBB391_68
.LBB391_52:                             ;   in Loop: Header=BB391_16 Depth=2
	s_or_b32 exec_lo, exec_lo, s11
	s_delay_alu instid0(SALU_CYCLE_1)
	s_mov_b32 s11, exec_lo
	v_cmpx_gt_u32_e64 s10, v80
	s_cbranch_execnz .LBB391_69
.LBB391_53:                             ;   in Loop: Header=BB391_16 Depth=2
	s_or_b32 exec_lo, exec_lo, s11
	s_delay_alu instid0(SALU_CYCLE_1)
	s_mov_b32 s11, exec_lo
	v_cmpx_gt_u32_e64 s10, v81
	s_cbranch_execnz .LBB391_70
.LBB391_54:                             ;   in Loop: Header=BB391_16 Depth=2
	s_or_b32 exec_lo, exec_lo, s11
	v_cmp_gt_u32_e32 vcc_lo, s10, v82
	s_and_saveexec_b32 s10, vcc_lo
	s_cbranch_execz .LBB391_15
	s_branch .LBB391_71
.LBB391_55:                             ;   in Loop: Header=BB391_16 Depth=2
	v_xor_b32_e32 v24, 0x80, v39
	s_delay_alu instid0(VALU_DEP_1) | instskip(NEXT) | instid1(VALU_DEP_1)
	v_and_b32_e32 v24, 0xff, v24
	v_lshrrev_b32_e32 v24, s48, v24
	s_delay_alu instid0(VALU_DEP_1) | instskip(NEXT) | instid1(VALU_DEP_1)
	v_and_b32_e32 v24, s58, v24
	v_lshl_or_b32 v24, v24, 4, v84
	ds_add_u32 v24, v7
	s_or_b32 exec_lo, exec_lo, s11
	s_delay_alu instid0(SALU_CYCLE_1)
	s_mov_b32 s11, exec_lo
	v_cmpx_gt_u32_e64 s10, v67
	s_cbranch_execz .LBB391_40
.LBB391_56:                             ;   in Loop: Header=BB391_16 Depth=2
	v_xor_b32_e32 v24, 0x80, v42
	s_delay_alu instid0(VALU_DEP_1) | instskip(NEXT) | instid1(VALU_DEP_1)
	v_and_b32_e32 v24, 0xff, v24
	v_lshrrev_b32_e32 v24, s48, v24
	s_delay_alu instid0(VALU_DEP_1) | instskip(NEXT) | instid1(VALU_DEP_1)
	v_and_b32_e32 v24, s58, v24
	v_lshl_or_b32 v24, v24, 4, v84
	ds_add_u32 v24, v7
	s_or_b32 exec_lo, exec_lo, s11
	s_delay_alu instid0(SALU_CYCLE_1)
	s_mov_b32 s11, exec_lo
	v_cmpx_gt_u32_e64 s10, v68
	s_cbranch_execz .LBB391_41
.LBB391_57:                             ;   in Loop: Header=BB391_16 Depth=2
	v_xor_b32_e32 v24, 0x80, v41
	s_delay_alu instid0(VALU_DEP_1) | instskip(NEXT) | instid1(VALU_DEP_1)
	v_and_b32_e32 v24, 0xff, v24
	v_lshrrev_b32_e32 v24, s48, v24
	s_delay_alu instid0(VALU_DEP_1) | instskip(NEXT) | instid1(VALU_DEP_1)
	v_and_b32_e32 v24, s58, v24
	v_lshl_or_b32 v24, v24, 4, v84
	ds_add_u32 v24, v7
	s_or_b32 exec_lo, exec_lo, s11
	s_delay_alu instid0(SALU_CYCLE_1)
	s_mov_b32 s11, exec_lo
	v_cmpx_gt_u32_e64 s10, v69
	s_cbranch_execz .LBB391_42
.LBB391_58:                             ;   in Loop: Header=BB391_16 Depth=2
	v_xor_b32_e32 v24, 0x80, v40
	s_delay_alu instid0(VALU_DEP_1) | instskip(NEXT) | instid1(VALU_DEP_1)
	v_and_b32_e32 v24, 0xff, v24
	v_lshrrev_b32_e32 v24, s48, v24
	s_delay_alu instid0(VALU_DEP_1) | instskip(NEXT) | instid1(VALU_DEP_1)
	v_and_b32_e32 v24, s58, v24
	v_lshl_or_b32 v24, v24, 4, v84
	ds_add_u32 v24, v7
	s_or_b32 exec_lo, exec_lo, s11
	s_delay_alu instid0(SALU_CYCLE_1)
	s_mov_b32 s11, exec_lo
	v_cmpx_gt_u32_e64 s10, v70
	s_cbranch_execz .LBB391_43
.LBB391_59:                             ;   in Loop: Header=BB391_16 Depth=2
	v_xor_b32_e32 v24, 0x80, v38
	s_delay_alu instid0(VALU_DEP_1) | instskip(NEXT) | instid1(VALU_DEP_1)
	v_and_b32_e32 v24, 0xff, v24
	v_lshrrev_b32_e32 v24, s48, v24
	s_delay_alu instid0(VALU_DEP_1) | instskip(NEXT) | instid1(VALU_DEP_1)
	v_and_b32_e32 v24, s58, v24
	v_lshl_or_b32 v24, v24, 4, v84
	ds_add_u32 v24, v7
	s_or_b32 exec_lo, exec_lo, s11
	s_delay_alu instid0(SALU_CYCLE_1)
	s_mov_b32 s11, exec_lo
	v_cmpx_gt_u32_e64 s10, v71
	s_cbranch_execz .LBB391_44
.LBB391_60:                             ;   in Loop: Header=BB391_16 Depth=2
	v_xor_b32_e32 v24, 0x80, v37
	s_delay_alu instid0(VALU_DEP_1) | instskip(NEXT) | instid1(VALU_DEP_1)
	v_and_b32_e32 v24, 0xff, v24
	v_lshrrev_b32_e32 v24, s48, v24
	s_delay_alu instid0(VALU_DEP_1) | instskip(NEXT) | instid1(VALU_DEP_1)
	v_and_b32_e32 v24, s58, v24
	v_lshl_or_b32 v24, v24, 4, v84
	ds_add_u32 v24, v7
	s_or_b32 exec_lo, exec_lo, s11
	s_delay_alu instid0(SALU_CYCLE_1)
	s_mov_b32 s11, exec_lo
	v_cmpx_gt_u32_e64 s10, v72
	s_cbranch_execz .LBB391_45
.LBB391_61:                             ;   in Loop: Header=BB391_16 Depth=2
	v_xor_b32_e32 v24, 0x80, v36
	s_delay_alu instid0(VALU_DEP_1) | instskip(NEXT) | instid1(VALU_DEP_1)
	v_and_b32_e32 v24, 0xff, v24
	v_lshrrev_b32_e32 v24, s48, v24
	s_delay_alu instid0(VALU_DEP_1) | instskip(NEXT) | instid1(VALU_DEP_1)
	v_and_b32_e32 v24, s58, v24
	v_lshl_or_b32 v24, v24, 4, v84
	ds_add_u32 v24, v7
	s_or_b32 exec_lo, exec_lo, s11
	s_delay_alu instid0(SALU_CYCLE_1)
	s_mov_b32 s11, exec_lo
	v_cmpx_gt_u32_e64 s10, v73
	s_cbranch_execz .LBB391_46
.LBB391_62:                             ;   in Loop: Header=BB391_16 Depth=2
	v_xor_b32_e32 v24, 0x80, v35
	s_delay_alu instid0(VALU_DEP_1) | instskip(NEXT) | instid1(VALU_DEP_1)
	v_and_b32_e32 v24, 0xff, v24
	v_lshrrev_b32_e32 v24, s48, v24
	s_delay_alu instid0(VALU_DEP_1) | instskip(NEXT) | instid1(VALU_DEP_1)
	v_and_b32_e32 v24, s58, v24
	v_lshl_or_b32 v24, v24, 4, v84
	ds_add_u32 v24, v7
	s_or_b32 exec_lo, exec_lo, s11
	s_delay_alu instid0(SALU_CYCLE_1)
	s_mov_b32 s11, exec_lo
	v_cmpx_gt_u32_e64 s10, v74
	s_cbranch_execz .LBB391_47
.LBB391_63:                             ;   in Loop: Header=BB391_16 Depth=2
	v_xor_b32_e32 v24, 0x80, v34
	s_delay_alu instid0(VALU_DEP_1) | instskip(NEXT) | instid1(VALU_DEP_1)
	v_and_b32_e32 v24, 0xff, v24
	v_lshrrev_b32_e32 v24, s48, v24
	s_delay_alu instid0(VALU_DEP_1) | instskip(NEXT) | instid1(VALU_DEP_1)
	v_and_b32_e32 v24, s58, v24
	v_lshl_or_b32 v24, v24, 4, v84
	ds_add_u32 v24, v7
	s_or_b32 exec_lo, exec_lo, s11
	s_delay_alu instid0(SALU_CYCLE_1)
	s_mov_b32 s11, exec_lo
	v_cmpx_gt_u32_e64 s10, v75
	s_cbranch_execz .LBB391_48
.LBB391_64:                             ;   in Loop: Header=BB391_16 Depth=2
	v_xor_b32_e32 v24, 0x80, v33
	s_delay_alu instid0(VALU_DEP_1) | instskip(NEXT) | instid1(VALU_DEP_1)
	v_and_b32_e32 v24, 0xff, v24
	v_lshrrev_b32_e32 v24, s48, v24
	s_delay_alu instid0(VALU_DEP_1) | instskip(NEXT) | instid1(VALU_DEP_1)
	v_and_b32_e32 v24, s58, v24
	v_lshl_or_b32 v24, v24, 4, v84
	ds_add_u32 v24, v7
	s_or_b32 exec_lo, exec_lo, s11
	s_delay_alu instid0(SALU_CYCLE_1)
	s_mov_b32 s11, exec_lo
	v_cmpx_gt_u32_e64 s10, v76
	s_cbranch_execz .LBB391_49
.LBB391_65:                             ;   in Loop: Header=BB391_16 Depth=2
	v_xor_b32_e32 v24, 0x80, v32
	s_delay_alu instid0(VALU_DEP_1) | instskip(NEXT) | instid1(VALU_DEP_1)
	v_and_b32_e32 v24, 0xff, v24
	v_lshrrev_b32_e32 v24, s48, v24
	s_delay_alu instid0(VALU_DEP_1) | instskip(NEXT) | instid1(VALU_DEP_1)
	v_and_b32_e32 v24, s58, v24
	v_lshl_or_b32 v24, v24, 4, v84
	ds_add_u32 v24, v7
	s_or_b32 exec_lo, exec_lo, s11
	s_delay_alu instid0(SALU_CYCLE_1)
	s_mov_b32 s11, exec_lo
	v_cmpx_gt_u32_e64 s10, v77
	s_cbranch_execz .LBB391_50
.LBB391_66:                             ;   in Loop: Header=BB391_16 Depth=2
	v_xor_b32_e32 v24, 0x80, v31
	s_delay_alu instid0(VALU_DEP_1) | instskip(NEXT) | instid1(VALU_DEP_1)
	v_and_b32_e32 v24, 0xff, v24
	v_lshrrev_b32_e32 v24, s48, v24
	s_delay_alu instid0(VALU_DEP_1) | instskip(NEXT) | instid1(VALU_DEP_1)
	v_and_b32_e32 v24, s58, v24
	v_lshl_or_b32 v24, v24, 4, v84
	ds_add_u32 v24, v7
	s_or_b32 exec_lo, exec_lo, s11
	s_delay_alu instid0(SALU_CYCLE_1)
	s_mov_b32 s11, exec_lo
	v_cmpx_gt_u32_e64 s10, v78
	s_cbranch_execz .LBB391_51
.LBB391_67:                             ;   in Loop: Header=BB391_16 Depth=2
	v_xor_b32_e32 v24, 0x80, v30
	s_delay_alu instid0(VALU_DEP_1) | instskip(NEXT) | instid1(VALU_DEP_1)
	v_and_b32_e32 v24, 0xff, v24
	v_lshrrev_b32_e32 v24, s48, v24
	s_delay_alu instid0(VALU_DEP_1) | instskip(NEXT) | instid1(VALU_DEP_1)
	v_and_b32_e32 v24, s58, v24
	v_lshl_or_b32 v24, v24, 4, v84
	ds_add_u32 v24, v7
	s_or_b32 exec_lo, exec_lo, s11
	s_delay_alu instid0(SALU_CYCLE_1)
	s_mov_b32 s11, exec_lo
	v_cmpx_gt_u32_e64 s10, v79
	s_cbranch_execz .LBB391_52
.LBB391_68:                             ;   in Loop: Header=BB391_16 Depth=2
	v_xor_b32_e32 v24, 0x80, v29
	s_delay_alu instid0(VALU_DEP_1) | instskip(NEXT) | instid1(VALU_DEP_1)
	v_and_b32_e32 v24, 0xff, v24
	v_lshrrev_b32_e32 v24, s48, v24
	s_delay_alu instid0(VALU_DEP_1) | instskip(NEXT) | instid1(VALU_DEP_1)
	v_and_b32_e32 v24, s58, v24
	v_lshl_or_b32 v24, v24, 4, v84
	ds_add_u32 v24, v7
	s_or_b32 exec_lo, exec_lo, s11
	s_delay_alu instid0(SALU_CYCLE_1)
	s_mov_b32 s11, exec_lo
	v_cmpx_gt_u32_e64 s10, v80
	s_cbranch_execz .LBB391_53
.LBB391_69:                             ;   in Loop: Header=BB391_16 Depth=2
	v_xor_b32_e32 v24, 0x80, v28
	s_delay_alu instid0(VALU_DEP_1) | instskip(NEXT) | instid1(VALU_DEP_1)
	v_and_b32_e32 v24, 0xff, v24
	v_lshrrev_b32_e32 v24, s48, v24
	s_delay_alu instid0(VALU_DEP_1) | instskip(NEXT) | instid1(VALU_DEP_1)
	v_and_b32_e32 v24, s58, v24
	v_lshl_or_b32 v24, v24, 4, v84
	ds_add_u32 v24, v7
	s_or_b32 exec_lo, exec_lo, s11
	s_delay_alu instid0(SALU_CYCLE_1)
	s_mov_b32 s11, exec_lo
	v_cmpx_gt_u32_e64 s10, v81
	s_cbranch_execz .LBB391_54
.LBB391_70:                             ;   in Loop: Header=BB391_16 Depth=2
	v_xor_b32_e32 v24, 0x80, v27
	s_delay_alu instid0(VALU_DEP_1) | instskip(NEXT) | instid1(VALU_DEP_1)
	v_and_b32_e32 v24, 0xff, v24
	v_lshrrev_b32_e32 v24, s48, v24
	s_delay_alu instid0(VALU_DEP_1) | instskip(NEXT) | instid1(VALU_DEP_1)
	v_and_b32_e32 v24, s58, v24
	v_lshl_or_b32 v24, v24, 4, v84
	ds_add_u32 v24, v7
	s_or_b32 exec_lo, exec_lo, s11
	v_cmp_gt_u32_e32 vcc_lo, s10, v82
	s_and_saveexec_b32 s10, vcc_lo
	s_cbranch_execz .LBB391_15
.LBB391_71:                             ;   in Loop: Header=BB391_16 Depth=2
	v_xor_b32_e32 v24, 0x80, v26
	s_delay_alu instid0(VALU_DEP_1) | instskip(NEXT) | instid1(VALU_DEP_1)
	v_and_b32_e32 v24, 0xff, v24
	v_lshrrev_b32_e32 v24, s48, v24
	s_delay_alu instid0(VALU_DEP_1) | instskip(NEXT) | instid1(VALU_DEP_1)
	v_and_b32_e32 v24, s58, v24
	v_lshl_or_b32 v24, v24, 4, v84
	ds_add_u32 v24, v7
	s_branch .LBB391_15
.LBB391_72:                             ;   in Loop: Header=BB391_16 Depth=2
	global_load_u8 v39, v[24:25], off
	s_wait_xcnt 0x0
	s_or_b32 exec_lo, exec_lo, s10
	s_delay_alu instid0(SALU_CYCLE_1)
	s_mov_b32 s10, exec_lo
	v_cmpx_gt_u32_e64 s8, v67
	s_cbranch_execz .LBB391_21
.LBB391_73:                             ;   in Loop: Header=BB391_16 Depth=2
	global_load_u8 v42, v[24:25], off offset:256
	s_wait_xcnt 0x0
	s_or_b32 exec_lo, exec_lo, s10
	s_delay_alu instid0(SALU_CYCLE_1)
	s_mov_b32 s10, exec_lo
	v_cmpx_gt_u32_e64 s8, v68
	s_cbranch_execz .LBB391_22
.LBB391_74:                             ;   in Loop: Header=BB391_16 Depth=2
	global_load_u8 v41, v[24:25], off offset:512
	s_wait_xcnt 0x0
	s_or_b32 exec_lo, exec_lo, s10
	s_delay_alu instid0(SALU_CYCLE_1)
	s_mov_b32 s10, exec_lo
	v_cmpx_gt_u32_e64 s8, v69
	s_cbranch_execz .LBB391_23
.LBB391_75:                             ;   in Loop: Header=BB391_16 Depth=2
	global_load_u8 v40, v[24:25], off offset:768
	s_wait_xcnt 0x0
	s_or_b32 exec_lo, exec_lo, s10
	s_delay_alu instid0(SALU_CYCLE_1)
	s_mov_b32 s10, exec_lo
	v_cmpx_gt_u32_e64 s8, v70
	s_cbranch_execz .LBB391_24
.LBB391_76:                             ;   in Loop: Header=BB391_16 Depth=2
	global_load_u8 v38, v[24:25], off offset:1024
	s_wait_xcnt 0x0
	s_or_b32 exec_lo, exec_lo, s10
	s_delay_alu instid0(SALU_CYCLE_1)
	s_mov_b32 s10, exec_lo
	v_cmpx_gt_u32_e64 s8, v71
	s_cbranch_execz .LBB391_25
.LBB391_77:                             ;   in Loop: Header=BB391_16 Depth=2
	global_load_u8 v37, v[24:25], off offset:1280
	s_wait_xcnt 0x0
	s_or_b32 exec_lo, exec_lo, s10
	s_delay_alu instid0(SALU_CYCLE_1)
	s_mov_b32 s10, exec_lo
	v_cmpx_gt_u32_e64 s8, v72
	s_cbranch_execz .LBB391_26
.LBB391_78:                             ;   in Loop: Header=BB391_16 Depth=2
	global_load_u8 v36, v[24:25], off offset:1536
	s_wait_xcnt 0x0
	s_or_b32 exec_lo, exec_lo, s10
	s_delay_alu instid0(SALU_CYCLE_1)
	s_mov_b32 s10, exec_lo
	v_cmpx_gt_u32_e64 s8, v73
	s_cbranch_execz .LBB391_27
.LBB391_79:                             ;   in Loop: Header=BB391_16 Depth=2
	global_load_u8 v35, v[24:25], off offset:1792
	s_wait_xcnt 0x0
	s_or_b32 exec_lo, exec_lo, s10
	s_delay_alu instid0(SALU_CYCLE_1)
	s_mov_b32 s10, exec_lo
	v_cmpx_gt_u32_e64 s8, v74
	s_cbranch_execz .LBB391_28
.LBB391_80:                             ;   in Loop: Header=BB391_16 Depth=2
	global_load_u8 v34, v[24:25], off offset:2048
	s_wait_xcnt 0x0
	s_or_b32 exec_lo, exec_lo, s10
	s_delay_alu instid0(SALU_CYCLE_1)
	s_mov_b32 s10, exec_lo
	v_cmpx_gt_u32_e64 s8, v75
	s_cbranch_execz .LBB391_29
.LBB391_81:                             ;   in Loop: Header=BB391_16 Depth=2
	global_load_u8 v33, v[24:25], off offset:2304
	s_wait_xcnt 0x0
	s_or_b32 exec_lo, exec_lo, s10
	s_delay_alu instid0(SALU_CYCLE_1)
	s_mov_b32 s10, exec_lo
	v_cmpx_gt_u32_e64 s8, v76
	s_cbranch_execz .LBB391_30
.LBB391_82:                             ;   in Loop: Header=BB391_16 Depth=2
	global_load_u8 v32, v[24:25], off offset:2560
	s_wait_xcnt 0x0
	s_or_b32 exec_lo, exec_lo, s10
	s_delay_alu instid0(SALU_CYCLE_1)
	s_mov_b32 s10, exec_lo
	v_cmpx_gt_u32_e64 s8, v77
	s_cbranch_execz .LBB391_31
.LBB391_83:                             ;   in Loop: Header=BB391_16 Depth=2
	global_load_u8 v31, v[24:25], off offset:2816
	s_wait_xcnt 0x0
	s_or_b32 exec_lo, exec_lo, s10
	s_delay_alu instid0(SALU_CYCLE_1)
	s_mov_b32 s10, exec_lo
	v_cmpx_gt_u32_e64 s8, v78
	s_cbranch_execz .LBB391_32
.LBB391_84:                             ;   in Loop: Header=BB391_16 Depth=2
	global_load_u8 v30, v[24:25], off offset:3072
	s_wait_xcnt 0x0
	s_or_b32 exec_lo, exec_lo, s10
	s_delay_alu instid0(SALU_CYCLE_1)
	s_mov_b32 s10, exec_lo
	v_cmpx_gt_u32_e64 s8, v79
	s_cbranch_execz .LBB391_33
.LBB391_85:                             ;   in Loop: Header=BB391_16 Depth=2
	global_load_u8 v29, v[24:25], off offset:3328
	s_wait_xcnt 0x0
	s_or_b32 exec_lo, exec_lo, s10
	s_delay_alu instid0(SALU_CYCLE_1)
	s_mov_b32 s10, exec_lo
	v_cmpx_gt_u32_e64 s8, v80
	s_cbranch_execz .LBB391_34
.LBB391_86:                             ;   in Loop: Header=BB391_16 Depth=2
	global_load_u8 v28, v[24:25], off offset:3584
	s_wait_xcnt 0x0
	s_or_b32 exec_lo, exec_lo, s10
	s_delay_alu instid0(SALU_CYCLE_1)
	s_mov_b32 s10, exec_lo
	v_cmpx_gt_u32_e64 s8, v81
	s_cbranch_execz .LBB391_35
.LBB391_87:                             ;   in Loop: Header=BB391_16 Depth=2
	global_load_u8 v27, v[24:25], off offset:3840
	s_wait_xcnt 0x0
	s_or_b32 exec_lo, exec_lo, s10
	s_delay_alu instid0(SALU_CYCLE_1)
	s_mov_b32 s10, exec_lo
	v_cmpx_gt_u32_e64 s8, v82
	s_cbranch_execnz .LBB391_36
	s_branch .LBB391_37
.LBB391_88:                             ;   in Loop: Header=BB391_12 Depth=1
	v_mov_b32_e32 v24, 0
	s_wait_dscnt 0x0
	s_barrier_signal -1
	s_barrier_wait -1
	s_and_saveexec_b32 s8, s0
	s_cbranch_execz .LBB391_90
; %bb.89:                               ;   in Loop: Header=BB391_12 Depth=1
	ds_load_2addr_b64 v[24:27], v85 offset1:1
	s_wait_dscnt 0x0
	v_add_nc_u32_e32 v24, v25, v24
	s_delay_alu instid0(VALU_DEP_1)
	v_add3_u32 v24, v24, v26, v27
.LBB391_90:                             ;   in Loop: Header=BB391_12 Depth=1
	s_or_b32 exec_lo, exec_lo, s8
	v_and_b32_e32 v25, 15, v0
	s_delay_alu instid0(VALU_DEP_2) | instskip(SKIP_1) | instid1(VALU_DEP_3)
	v_mov_b32_dpp v26, v24 row_shr:1 row_mask:0xf bank_mask:0xf
	v_and_b32_e32 v27, 16, v0
	v_cmp_eq_u32_e64 s8, 0, v25
	v_cmp_lt_u32_e64 s9, 1, v25
	s_delay_alu instid0(VALU_DEP_3) | instskip(NEXT) | instid1(VALU_DEP_3)
	v_cmp_eq_u32_e64 s12, 0, v27
	v_cndmask_b32_e64 v26, v26, 0, s8
	s_delay_alu instid0(VALU_DEP_1) | instskip(NEXT) | instid1(VALU_DEP_1)
	v_add_nc_u32_e32 v24, v26, v24
	v_mov_b32_dpp v26, v24 row_shr:2 row_mask:0xf bank_mask:0xf
	s_delay_alu instid0(VALU_DEP_1) | instskip(SKIP_2) | instid1(VALU_DEP_3)
	v_cndmask_b32_e64 v26, 0, v26, s9
	v_cmp_lt_u32_e64 s11, 7, v25
	v_cmp_lt_u32_e64 s10, 3, v25
	v_add_nc_u32_e32 v24, v24, v26
	s_delay_alu instid0(VALU_DEP_1) | instskip(NEXT) | instid1(VALU_DEP_1)
	v_mov_b32_dpp v26, v24 row_shr:4 row_mask:0xf bank_mask:0xf
	v_cndmask_b32_e64 v26, 0, v26, s10
	s_delay_alu instid0(VALU_DEP_1) | instskip(NEXT) | instid1(VALU_DEP_1)
	v_add_nc_u32_e32 v24, v24, v26
	v_mov_b32_dpp v26, v24 row_shr:8 row_mask:0xf bank_mask:0xf
	s_delay_alu instid0(VALU_DEP_1) | instskip(SKIP_1) | instid1(VALU_DEP_2)
	v_cndmask_b32_e64 v25, 0, v26, s11
	v_bfe_i32 v26, v0, 4, 1
	v_add_nc_u32_e32 v24, v24, v25
	ds_swizzle_b32 v25, v24 offset:swizzle(BROADCAST,32,15)
	s_wait_dscnt 0x0
	v_and_b32_e32 v25, v26, v25
	s_delay_alu instid0(VALU_DEP_1)
	v_add_nc_u32_e32 v24, v24, v25
	s_and_saveexec_b32 s13, s1
; %bb.91:                               ;   in Loop: Header=BB391_12 Depth=1
	ds_store_b32 v86, v24
; %bb.92:                               ;   in Loop: Header=BB391_12 Depth=1
	s_or_b32 exec_lo, exec_lo, s13
	s_wait_dscnt 0x0
	s_barrier_signal -1
	s_barrier_wait -1
	s_and_saveexec_b32 s13, s4
	s_cbranch_execz .LBB391_94
; %bb.93:                               ;   in Loop: Header=BB391_12 Depth=1
	ds_load_b32 v25, v87
	s_wait_dscnt 0x0
	v_mov_b32_dpp v27, v25 row_shr:1 row_mask:0xf bank_mask:0xf
	v_and_b32_e32 v26, 3, v0
	s_delay_alu instid0(VALU_DEP_1) | instskip(NEXT) | instid1(VALU_DEP_3)
	v_cmp_ne_u32_e32 vcc_lo, 0, v26
	v_cndmask_b32_e32 v27, 0, v27, vcc_lo
	v_cmp_lt_u32_e32 vcc_lo, 1, v26
	s_delay_alu instid0(VALU_DEP_2) | instskip(NEXT) | instid1(VALU_DEP_1)
	v_add_nc_u32_e32 v25, v27, v25
	v_mov_b32_dpp v27, v25 row_shr:2 row_mask:0xf bank_mask:0xf
	s_delay_alu instid0(VALU_DEP_1) | instskip(NEXT) | instid1(VALU_DEP_1)
	v_cndmask_b32_e32 v26, 0, v27, vcc_lo
	v_add_nc_u32_e32 v25, v25, v26
	ds_store_b32 v87, v25
.LBB391_94:                             ;   in Loop: Header=BB391_12 Depth=1
	s_or_b32 exec_lo, exec_lo, s13
	v_mov_b32_e32 v25, 0
	s_wait_dscnt 0x0
	s_barrier_signal -1
	s_barrier_wait -1
	s_and_saveexec_b32 s13, s5
; %bb.95:                               ;   in Loop: Header=BB391_12 Depth=1
	ds_load_b32 v25, v88
; %bb.96:                               ;   in Loop: Header=BB391_12 Depth=1
	s_or_b32 exec_lo, exec_lo, s13
	v_sub_co_u32 v26, s13, v0, 1
	s_wait_dscnt 0x0
	s_barrier_signal -1
	s_barrier_wait -1
	s_delay_alu instid0(VALU_DEP_1) | instskip(SKIP_1) | instid1(VALU_DEP_1)
	v_cmp_gt_i32_e32 vcc_lo, 0, v26
	v_cndmask_b32_e32 v26, v26, v0, vcc_lo
	v_dual_add_nc_u32 v24, v25, v24 :: v_dual_lshlrev_b32 v96, 2, v26
	ds_bpermute_b32 v24, v96, v24
	s_and_saveexec_b32 s14, s0
	s_cbranch_execz .LBB391_98
; %bb.97:                               ;   in Loop: Header=BB391_12 Depth=1
	s_wait_dscnt 0x0
	v_cndmask_b32_e64 v24, v24, v25, s13
	s_delay_alu instid0(VALU_DEP_1)
	v_add_nc_u32_e32 v24, s55, v24
	ds_store_b32 v66, v24
.LBB391_98:                             ;   in Loop: Header=BB391_12 Depth=1
	s_or_b32 exec_lo, exec_lo, s14
	s_clause 0x1
	s_load_b32 s14, s[52:53], 0x4
	s_load_b32 s17, s[52:53], 0xc
	v_dual_lshlrev_b32 v26, 3, v0 :: v_dual_bitop2_b32 v28, 7, v0 bitop3:0x40
	v_dual_mov_b32 v27, v1 :: v_dual_bitop2_b32 v97, v0, v6 bitop3:0x54
	s_wait_dscnt 0x0
	v_add_nc_u64_e32 v[24:25], v[10:11], v[0:1]
	s_delay_alu instid0(VALU_DEP_3)
	v_cmp_lt_u32_e64 s16, 3, v28
	v_mov_b32_e32 v115, 0
	v_add_nc_u64_e32 v[26:27], v[8:9], v[26:27]
	v_dual_add_nc_u32 v98, 32, v97 :: v_dual_add_nc_u32 v99, 64, v97
	v_add_nc_u32_e32 v100, 0x60, v97
	v_add_nc_u32_e32 v101, 0x80, v97
	;; [unrolled: 1-line block ×8, first 2 shown]
	s_wait_kmcnt 0x0
	s_cmp_lt_u32 s42, s14
	v_add_nc_u32_e32 v108, 0x160, v97
	s_cselect_b32 s34, 14, 20
	s_and_b32 s17, s17, 0xffff
	s_add_nc_u64 s[14:15], s[52:53], s[34:35]
	v_add_nc_u32_e32 v109, 0x180, v97
	s_load_u16 s18, s[14:15], 0x0
	s_wait_xcnt 0x0
	v_cmp_eq_u32_e64 s14, 0, v28
	v_cmp_lt_u32_e64 s15, 1, v28
	v_add_nc_u32_e32 v110, 0x1a0, v97
	v_add_nc_u32_e32 v111, 0x1c0, v97
	;; [unrolled: 1-line block ×4, first 2 shown]
	s_mov_b32 s59, s57
	s_mov_b32 s34, s55
                                        ; implicit-def: $vgpr30_vgpr31
                                        ; implicit-def: $vgpr32_vgpr33
                                        ; implicit-def: $vgpr34_vgpr35
                                        ; implicit-def: $vgpr36_vgpr37
                                        ; implicit-def: $vgpr38_vgpr39
                                        ; implicit-def: $vgpr40_vgpr41
                                        ; implicit-def: $vgpr42_vgpr43
                                        ; implicit-def: $vgpr44_vgpr45
                                        ; implicit-def: $vgpr46_vgpr47
                                        ; implicit-def: $vgpr48_vgpr49
                                        ; implicit-def: $vgpr50_vgpr51
                                        ; implicit-def: $vgpr52_vgpr53
                                        ; implicit-def: $vgpr54_vgpr55
                                        ; implicit-def: $vgpr56_vgpr57
                                        ; implicit-def: $vgpr58_vgpr59
                                        ; implicit-def: $vgpr60_vgpr61
                                        ; implicit-def: $vgpr116
                                        ; implicit-def: $vgpr117
                                        ; implicit-def: $vgpr118
                                        ; implicit-def: $vgpr119
                                        ; implicit-def: $vgpr120
                                        ; implicit-def: $vgpr121
                                        ; implicit-def: $vgpr122
                                        ; implicit-def: $vgpr123
                                        ; implicit-def: $vgpr124
                                        ; implicit-def: $vgpr125
                                        ; implicit-def: $vgpr126
                                        ; implicit-def: $vgpr127
                                        ; implicit-def: $vgpr128
                                        ; implicit-def: $vgpr129
                                        ; implicit-def: $vgpr130
                                        ; implicit-def: $vgpr131
                                        ; implicit-def: $vgpr132
                                        ; implicit-def: $vgpr133
                                        ; implicit-def: $vgpr134
	s_wait_kmcnt 0x0
	v_mad_u32_u24 v28, v89, s18, v91
	s_delay_alu instid0(VALU_DEP_1) | instskip(NEXT) | instid1(VALU_DEP_1)
	v_mad_u32 v28, v28, s17, v2
	v_lshrrev_b32_e32 v28, 3, v28
	s_delay_alu instid0(VALU_DEP_1)
	v_and_b32_e32 v114, 0x1ffffffc, v28
                                        ; implicit-def: $vgpr28_vgpr29
	s_branch .LBB391_100
.LBB391_99:                             ;   in Loop: Header=BB391_100 Depth=2
	s_or_b32 exec_lo, exec_lo, s17
	s_addk_co_i32 s59, 0xef00
	s_cmp_lt_u32 s60, s54
	s_mov_b32 s34, s60
	s_cbranch_scc0 .LBB391_322
.LBB391_100:                            ;   Parent Loop BB391_12 Depth=1
                                        ; =>  This Inner Loop Header: Depth=2
	s_add_co_i32 s60, s34, 0x1100
	s_delay_alu instid0(SALU_CYCLE_1)
	s_cmp_gt_u32 s60, s54
	s_cbranch_scc1 .LBB391_102
; %bb.101:                              ;   in Loop: Header=BB391_100 Depth=2
	v_add_nc_u64_e32 v[62:63], s[34:35], v[24:25]
	s_mov_b32 s17, -1
	s_clause 0xf
	global_load_u8 v135, v[62:63], off offset:480
	global_load_u8 v65, v[62:63], off offset:448
	;; [unrolled: 1-line block ×15, first 2 shown]
	global_load_u8 v147, v[62:63], off
	s_movk_i32 s18, 0x1100
	s_cbranch_execz .LBB391_103
	s_branch .LBB391_121
.LBB391_102:                            ;   in Loop: Header=BB391_100 Depth=2
	s_mov_b32 s17, 0
                                        ; implicit-def: $vgpr147
                                        ; implicit-def: $vgpr150
                                        ; implicit-def: $vgpr148
                                        ; implicit-def: $vgpr151
                                        ; implicit-def: $vgpr142
                                        ; implicit-def: $vgpr145
                                        ; implicit-def: $vgpr143
                                        ; implicit-def: $vgpr144
                                        ; implicit-def: $vgpr138
                                        ; implicit-def: $vgpr141
                                        ; implicit-def: $vgpr139
                                        ; implicit-def: $vgpr140
                                        ; implicit-def: $vgpr64
                                        ; implicit-def: $vgpr136
                                        ; implicit-def: $vgpr65
                                        ; implicit-def: $vgpr135
                                        ; implicit-def: $vgpr115
	s_movk_i32 s18, 0x1100
.LBB391_103:                            ;   in Loop: Header=BB391_100 Depth=2
	s_wait_xcnt 0x0
	v_add_nc_u64_e32 v[62:63], s[34:35], v[24:25]
	s_wait_loadcnt 0x1
	v_dual_mov_b32 v115, 0x7f :: v_dual_mov_b32 v150, 0x7f
	s_wait_loadcnt 0x0
	v_dual_mov_b32 v147, 0x7f :: v_dual_mov_b32 v148, 0x7f
	v_dual_mov_b32 v151, 0x7f :: v_dual_mov_b32 v142, 0x7f
	;; [unrolled: 1-line block ×7, first 2 shown]
	v_mov_b32_e32 v135, 0x7f
	s_mov_b32 s17, exec_lo
	v_cmpx_gt_u32_e64 s59, v97
	s_cbranch_execnz .LBB391_307
; %bb.104:                              ;   in Loop: Header=BB391_100 Depth=2
	s_or_b32 exec_lo, exec_lo, s17
	s_delay_alu instid0(SALU_CYCLE_1)
	s_mov_b32 s17, exec_lo
	v_cmpx_gt_u32_e64 s59, v98
	s_cbranch_execnz .LBB391_308
.LBB391_105:                            ;   in Loop: Header=BB391_100 Depth=2
	s_or_b32 exec_lo, exec_lo, s17
	s_delay_alu instid0(SALU_CYCLE_1)
	s_mov_b32 s17, exec_lo
	v_cmpx_gt_u32_e64 s59, v99
	s_cbranch_execnz .LBB391_309
.LBB391_106:                            ;   in Loop: Header=BB391_100 Depth=2
	s_or_b32 exec_lo, exec_lo, s17
	s_delay_alu instid0(SALU_CYCLE_1)
	s_mov_b32 s17, exec_lo
	v_cmpx_gt_u32_e64 s59, v100
	s_cbranch_execnz .LBB391_310
.LBB391_107:                            ;   in Loop: Header=BB391_100 Depth=2
	s_or_b32 exec_lo, exec_lo, s17
	s_delay_alu instid0(SALU_CYCLE_1)
	s_mov_b32 s17, exec_lo
	v_cmpx_gt_u32_e64 s59, v101
	s_cbranch_execnz .LBB391_311
.LBB391_108:                            ;   in Loop: Header=BB391_100 Depth=2
	s_or_b32 exec_lo, exec_lo, s17
	s_delay_alu instid0(SALU_CYCLE_1)
	s_mov_b32 s17, exec_lo
	v_cmpx_gt_u32_e64 s59, v102
	s_cbranch_execnz .LBB391_312
.LBB391_109:                            ;   in Loop: Header=BB391_100 Depth=2
	s_or_b32 exec_lo, exec_lo, s17
	s_delay_alu instid0(SALU_CYCLE_1)
	s_mov_b32 s17, exec_lo
	v_cmpx_gt_u32_e64 s59, v103
	s_cbranch_execnz .LBB391_313
.LBB391_110:                            ;   in Loop: Header=BB391_100 Depth=2
	s_or_b32 exec_lo, exec_lo, s17
	s_delay_alu instid0(SALU_CYCLE_1)
	s_mov_b32 s17, exec_lo
	v_cmpx_gt_u32_e64 s59, v104
	s_cbranch_execnz .LBB391_314
.LBB391_111:                            ;   in Loop: Header=BB391_100 Depth=2
	s_or_b32 exec_lo, exec_lo, s17
	s_delay_alu instid0(SALU_CYCLE_1)
	s_mov_b32 s17, exec_lo
	v_cmpx_gt_u32_e64 s59, v105
	s_cbranch_execnz .LBB391_315
.LBB391_112:                            ;   in Loop: Header=BB391_100 Depth=2
	s_or_b32 exec_lo, exec_lo, s17
	s_delay_alu instid0(SALU_CYCLE_1)
	s_mov_b32 s17, exec_lo
	v_cmpx_gt_u32_e64 s59, v106
	s_cbranch_execnz .LBB391_316
.LBB391_113:                            ;   in Loop: Header=BB391_100 Depth=2
	s_or_b32 exec_lo, exec_lo, s17
	s_delay_alu instid0(SALU_CYCLE_1)
	s_mov_b32 s17, exec_lo
	v_cmpx_gt_u32_e64 s59, v107
	s_cbranch_execnz .LBB391_317
.LBB391_114:                            ;   in Loop: Header=BB391_100 Depth=2
	s_or_b32 exec_lo, exec_lo, s17
	s_delay_alu instid0(SALU_CYCLE_1)
	s_mov_b32 s17, exec_lo
	v_cmpx_gt_u32_e64 s59, v108
	s_cbranch_execnz .LBB391_318
.LBB391_115:                            ;   in Loop: Header=BB391_100 Depth=2
	s_or_b32 exec_lo, exec_lo, s17
	s_delay_alu instid0(SALU_CYCLE_1)
	s_mov_b32 s17, exec_lo
	v_cmpx_gt_u32_e64 s59, v109
	s_cbranch_execnz .LBB391_319
.LBB391_116:                            ;   in Loop: Header=BB391_100 Depth=2
	s_or_b32 exec_lo, exec_lo, s17
	s_delay_alu instid0(SALU_CYCLE_1)
	s_mov_b32 s17, exec_lo
	v_cmpx_gt_u32_e64 s59, v110
	s_cbranch_execnz .LBB391_320
.LBB391_117:                            ;   in Loop: Header=BB391_100 Depth=2
	s_or_b32 exec_lo, exec_lo, s17
	s_delay_alu instid0(SALU_CYCLE_1)
	s_mov_b32 s17, exec_lo
	v_cmpx_gt_u32_e64 s59, v111
	s_cbranch_execnz .LBB391_321
.LBB391_118:                            ;   in Loop: Header=BB391_100 Depth=2
	s_or_b32 exec_lo, exec_lo, s17
	s_delay_alu instid0(SALU_CYCLE_1)
	s_mov_b32 s17, exec_lo
	v_cmpx_gt_u32_e64 s59, v112
	s_cbranch_execz .LBB391_120
.LBB391_119:                            ;   in Loop: Header=BB391_100 Depth=2
	global_load_u8 v135, v[62:63], off offset:480
.LBB391_120:                            ;   in Loop: Header=BB391_100 Depth=2
	s_wait_xcnt 0x0
	s_or_b32 exec_lo, exec_lo, s17
	v_cmp_gt_u32_e64 s17, s59, v113
	s_sub_co_i32 s18, s54, s34
.LBB391_121:                            ;   in Loop: Header=BB391_100 Depth=2
	v_mov_b32_e32 v137, s59
	s_wait_xcnt 0x0
	s_and_saveexec_b32 s19, s17
	s_cbranch_execz .LBB391_123
; %bb.122:                              ;   in Loop: Header=BB391_100 Depth=2
	v_add_nc_u64_e32 v[62:63], s[34:35], v[24:25]
	v_mov_b32_e32 v137, s18
	global_load_u8 v115, v[62:63], off offset:512
.LBB391_123:                            ;   in Loop: Header=BB391_100 Depth=2
	s_wait_xcnt 0x0
	s_or_b32 exec_lo, exec_lo, s19
	s_wait_loadcnt 0x0
	v_bitop3_b16 v62, v147, s43, 0x80 bitop3:0x48
	ds_store_2addr_b32 v90, v1, v1 offset0:136 offset1:137
	ds_store_2addr_b32 v90, v1, v1 offset0:138 offset1:139
	ds_store_b32 v90, v1 offset:560
	s_wait_dscnt 0x0
	s_barrier_signal -1
	s_barrier_wait -1
	v_and_b32_e32 v62, 0xffff, v62
	; wave barrier
	s_delay_alu instid0(VALU_DEP_1) | instskip(NEXT) | instid1(VALU_DEP_1)
	v_lshrrev_b32_e32 v62, s48, v62
	v_and_b32_e32 v149, s58, v62
	s_delay_alu instid0(VALU_DEP_1) | instskip(SKIP_1) | instid1(VALU_DEP_1)
	v_lshlrev_b32_e32 v146, 30, v149
	v_bitop3_b32 v63, v62, 1, s58 bitop3:0x80
	v_add_co_u32 v62, s17, v63, -1
	s_delay_alu instid0(VALU_DEP_1) | instskip(NEXT) | instid1(VALU_DEP_4)
	v_cndmask_b32_e64 v63, 0, 1, s17
	v_cmp_gt_i32_e64 s17, 0, v146
	s_delay_alu instid0(VALU_DEP_2) | instskip(SKIP_2) | instid1(VALU_DEP_2)
	v_cmp_ne_u32_e32 vcc_lo, 0, v63
	v_not_b32_e32 v63, v146
	v_bitop3_b32 v62, vcc_lo, exec_lo, v62 bitop3:0x48
	v_dual_ashrrev_i32 v63, 31, v63 :: v_dual_lshlrev_b32 v152, 29, v149
	v_dual_lshlrev_b32 v153, 28, v149 :: v_dual_lshlrev_b32 v154, 27, v149
	v_lshlrev_b32_e32 v155, 26, v149
	s_delay_alu instid0(VALU_DEP_3)
	v_not_b32_e32 v146, v152
	v_lshlrev_b32_e32 v156, 25, v149
	v_cmp_gt_i32_e64 s18, 0, v152
	v_cmp_gt_i32_e64 s19, 0, v153
	v_not_b32_e32 v152, v153
	v_not_b32_e32 v153, v154
	v_ashrrev_i32_e32 v146, 31, v146
	v_cmp_gt_i32_e64 s20, 0, v154
	v_cmp_gt_i32_e64 s21, 0, v155
	v_not_b32_e32 v154, v155
	v_not_b32_e32 v155, v156
	v_dual_ashrrev_i32 v152, 31, v152 :: v_dual_ashrrev_i32 v153, 31, v153
	s_delay_alu instid0(VALU_DEP_3) | instskip(NEXT) | instid1(VALU_DEP_3)
	v_dual_ashrrev_i32 v154, 31, v154 :: v_dual_bitop2_b32 v63, s17, v63 bitop3:0x14
	v_dual_ashrrev_i32 v155, 31, v155 :: v_dual_bitop2_b32 v146, s18, v146 bitop3:0x14
	v_cmp_gt_i32_e64 s22, 0, v156
	s_delay_alu instid0(VALU_DEP_4) | instskip(SKIP_1) | instid1(VALU_DEP_4)
	v_xor_b32_e32 v152, s19, v152
	v_xor_b32_e32 v153, s20, v153
	v_bitop3_b32 v62, v62, v146, v63 bitop3:0x80
	v_xor_b32_e32 v63, s21, v154
	v_xor_b32_e32 v146, s22, v155
	s_delay_alu instid0(VALU_DEP_3) | instskip(NEXT) | instid1(VALU_DEP_1)
	v_bitop3_b32 v62, v62, v153, v152 bitop3:0x80
	v_bitop3_b32 v62, v62, v146, v63 bitop3:0x80
	v_mul_u32_u24_e32 v63, 36, v149
	s_delay_alu instid0(VALU_DEP_2) | instskip(SKIP_1) | instid1(VALU_DEP_3)
	v_mbcnt_lo_u32_b32 v146, v62, 0
	v_cmp_ne_u32_e64 s17, 0, v62
	v_add_nc_u32_e32 v149, v114, v63
	s_delay_alu instid0(VALU_DEP_3) | instskip(SKIP_1) | instid1(SALU_CYCLE_1)
	v_cmp_eq_u32_e32 vcc_lo, 0, v146
	s_and_b32 s18, s17, vcc_lo
	s_and_saveexec_b32 s17, s18
; %bb.124:                              ;   in Loop: Header=BB391_100 Depth=2
	v_bcnt_u32_b32 v62, v62, 0
	ds_store_b32 v149, v62 offset:544
; %bb.125:                              ;   in Loop: Header=BB391_100 Depth=2
	s_or_b32 exec_lo, exec_lo, s17
	v_xor_b32_e32 v62, 0x80, v150
	v_xor_b32_e32 v63, 0x80, v151
	;; [unrolled: 1-line block ×4, first 2 shown]
	s_delay_alu instid0(VALU_DEP_4) | instskip(NEXT) | instid1(VALU_DEP_4)
	v_lshlrev_b16 v62, 8, v62
	v_lshlrev_b16 v63, 8, v63
	; wave barrier
	s_delay_alu instid0(VALU_DEP_2) | instskip(NEXT) | instid1(VALU_DEP_2)
	v_bitop3_b16 v147, v147, v62, 0xff bitop3:0xec
	v_bitop3_b16 v62, v148, v63, 0xff bitop3:0xec
	s_delay_alu instid0(VALU_DEP_2) | instskip(NEXT) | instid1(VALU_DEP_2)
	v_and_b32_e32 v63, 0xffff, v147
	v_lshlrev_b32_e32 v62, 16, v62
	s_delay_alu instid0(VALU_DEP_1) | instskip(NEXT) | instid1(VALU_DEP_1)
	v_or_b32_e32 v148, v63, v62
	v_bfe_u32 v62, v148, 8, 8
	s_delay_alu instid0(VALU_DEP_1) | instskip(NEXT) | instid1(VALU_DEP_1)
	v_lshrrev_b32_e32 v62, s48, v62
	v_bitop3_b32 v63, v62, 1, s58 bitop3:0x80
	v_and_b32_e32 v152, s58, v62
	s_delay_alu instid0(VALU_DEP_2) | instskip(NEXT) | instid1(VALU_DEP_1)
	v_add_co_u32 v62, s17, v63, -1
	v_cndmask_b32_e64 v63, 0, 1, s17
	s_delay_alu instid0(VALU_DEP_3) | instskip(NEXT) | instid1(VALU_DEP_2)
	v_lshlrev_b32_e32 v150, 30, v152
	v_cmp_ne_u32_e32 vcc_lo, 0, v63
	s_delay_alu instid0(VALU_DEP_2) | instskip(SKIP_2) | instid1(VALU_DEP_3)
	v_not_b32_e32 v63, v150
	v_cmp_gt_i32_e64 s17, 0, v150
	v_bitop3_b32 v62, vcc_lo, exec_lo, v62 bitop3:0x48
	v_dual_ashrrev_i32 v63, 31, v63 :: v_dual_lshlrev_b32 v151, 29, v152
	v_dual_lshlrev_b32 v153, 28, v152 :: v_dual_lshlrev_b32 v154, 27, v152
	v_lshlrev_b32_e32 v155, 26, v152
	s_delay_alu instid0(VALU_DEP_3)
	v_not_b32_e32 v150, v151
	v_lshlrev_b32_e32 v156, 25, v152
	v_cmp_gt_i32_e64 s18, 0, v151
	v_cmp_gt_i32_e64 s19, 0, v153
	v_not_b32_e32 v151, v153
	v_ashrrev_i32_e32 v150, 31, v150
	v_cmp_gt_i32_e64 s20, 0, v154
	v_not_b32_e32 v153, v154
	v_cmp_gt_i32_e64 s21, 0, v155
	v_not_b32_e32 v154, v155
	v_not_b32_e32 v155, v156
	v_xor_b32_e32 v63, s17, v63
	v_dual_ashrrev_i32 v151, 31, v151 :: v_dual_bitop2_b32 v150, s18, v150 bitop3:0x14
	s_delay_alu instid0(VALU_DEP_4) | instskip(NEXT) | instid1(VALU_DEP_4)
	v_dual_ashrrev_i32 v153, 31, v153 :: v_dual_ashrrev_i32 v154, 31, v154
	v_ashrrev_i32_e32 v155, 31, v155
	s_delay_alu instid0(VALU_DEP_3)
	v_bitop3_b32 v62, v62, v150, v63 bitop3:0x80
	v_mad_u32_u24 v63, v152, 36, v114
	v_cmp_gt_i32_e64 s22, 0, v156
	v_xor_b32_e32 v151, s19, v151
	v_xor_b32_e32 v154, s21, v154
	ds_load_b32 v150, v63 offset:544
	v_mul_u32_u24_e32 v63, 36, v152
	v_xor_b32_e32 v153, s20, v153
	v_xor_b32_e32 v155, s22, v155
	; wave barrier
	s_delay_alu instid0(VALU_DEP_3) | instskip(NEXT) | instid1(VALU_DEP_3)
	v_add_nc_u32_e32 v152, v114, v63
	v_bitop3_b32 v62, v62, v153, v151 bitop3:0x80
	s_delay_alu instid0(VALU_DEP_1) | instskip(NEXT) | instid1(VALU_DEP_1)
	v_bitop3_b32 v62, v62, v155, v154 bitop3:0x80
	v_mbcnt_lo_u32_b32 v151, v62, 0
	v_cmp_ne_u32_e64 s17, 0, v62
	s_delay_alu instid0(VALU_DEP_2) | instskip(SKIP_1) | instid1(SALU_CYCLE_1)
	v_cmp_eq_u32_e32 vcc_lo, 0, v151
	s_and_b32 s18, s17, vcc_lo
	s_and_saveexec_b32 s17, s18
	s_cbranch_execz .LBB391_127
; %bb.126:                              ;   in Loop: Header=BB391_100 Depth=2
	s_wait_dscnt 0x0
	v_bcnt_u32_b32 v62, v62, v150
	ds_store_b32 v152, v62 offset:544
.LBB391_127:                            ;   in Loop: Header=BB391_100 Depth=2
	s_or_b32 exec_lo, exec_lo, s17
	v_bfe_u32 v62, v148, 16, 8
	; wave barrier
	s_delay_alu instid0(VALU_DEP_1) | instskip(NEXT) | instid1(VALU_DEP_1)
	v_lshrrev_b32_e32 v62, s48, v62
	v_and_b32_e32 v155, s58, v62
	s_delay_alu instid0(VALU_DEP_1) | instskip(SKIP_1) | instid1(VALU_DEP_1)
	v_lshlrev_b32_e32 v153, 30, v155
	v_bitop3_b32 v63, v62, 1, s58 bitop3:0x80
	v_add_co_u32 v62, s17, v63, -1
	s_delay_alu instid0(VALU_DEP_1) | instskip(NEXT) | instid1(VALU_DEP_4)
	v_cndmask_b32_e64 v63, 0, 1, s17
	v_cmp_gt_i32_e64 s17, 0, v153
	s_delay_alu instid0(VALU_DEP_2) | instskip(SKIP_2) | instid1(VALU_DEP_2)
	v_cmp_ne_u32_e32 vcc_lo, 0, v63
	v_not_b32_e32 v63, v153
	v_bitop3_b32 v62, vcc_lo, exec_lo, v62 bitop3:0x48
	v_ashrrev_i32_e32 v63, 31, v63
	v_dual_lshlrev_b32 v154, 29, v155 :: v_dual_lshlrev_b32 v156, 28, v155
	v_dual_lshlrev_b32 v157, 27, v155 :: v_dual_lshlrev_b32 v158, 26, v155
	s_delay_alu instid0(VALU_DEP_2)
	v_not_b32_e32 v153, v154
	v_lshlrev_b32_e32 v159, 25, v155
	v_cmp_gt_i32_e64 s18, 0, v154
	v_cmp_gt_i32_e64 s19, 0, v156
	v_not_b32_e32 v154, v156
	v_not_b32_e32 v156, v157
	v_ashrrev_i32_e32 v153, 31, v153
	v_cmp_gt_i32_e64 s20, 0, v157
	v_cmp_gt_i32_e64 s21, 0, v158
	v_not_b32_e32 v157, v158
	v_dual_ashrrev_i32 v154, 31, v154 :: v_dual_ashrrev_i32 v156, 31, v156
	v_xor_b32_e32 v63, s17, v63
	v_not_b32_e32 v158, v159
	v_xor_b32_e32 v153, s18, v153
	s_delay_alu instid0(VALU_DEP_4) | instskip(SKIP_2) | instid1(VALU_DEP_4)
	v_dual_ashrrev_i32 v157, 31, v157 :: v_dual_bitop2_b32 v154, s19, v154 bitop3:0x14
	v_xor_b32_e32 v156, s20, v156
	v_cmp_gt_i32_e32 vcc_lo, 0, v159
	v_bitop3_b32 v62, v62, v153, v63 bitop3:0x80
	v_ashrrev_i32_e32 v63, 31, v158
	v_mad_u32_u24 v153, v155, 36, v114
	v_xor_b32_e32 v157, s21, v157
	s_delay_alu instid0(VALU_DEP_4) | instskip(NEXT) | instid1(VALU_DEP_4)
	v_bitop3_b32 v62, v62, v156, v154 bitop3:0x80
	v_xor_b32_e32 v63, vcc_lo, v63
	ds_load_b32 v153, v153 offset:544
	; wave barrier
	v_bitop3_b32 v62, v62, v63, v157 bitop3:0x80
	v_mul_u32_u24_e32 v63, 36, v155
	s_delay_alu instid0(VALU_DEP_2) | instskip(SKIP_1) | instid1(VALU_DEP_3)
	v_mbcnt_lo_u32_b32 v154, v62, 0
	v_cmp_ne_u32_e64 s17, 0, v62
	v_add_nc_u32_e32 v156, v114, v63
	s_delay_alu instid0(VALU_DEP_3) | instskip(SKIP_1) | instid1(SALU_CYCLE_1)
	v_cmp_eq_u32_e32 vcc_lo, 0, v154
	s_and_b32 s18, s17, vcc_lo
	s_and_saveexec_b32 s17, s18
	s_cbranch_execz .LBB391_129
; %bb.128:                              ;   in Loop: Header=BB391_100 Depth=2
	s_wait_dscnt 0x0
	v_bcnt_u32_b32 v62, v62, v153
	ds_store_b32 v156, v62 offset:544
.LBB391_129:                            ;   in Loop: Header=BB391_100 Depth=2
	s_or_b32 exec_lo, exec_lo, s17
	v_lshrrev_b32_e32 v155, 24, v148
	; wave barrier
	s_delay_alu instid0(VALU_DEP_1) | instskip(NEXT) | instid1(VALU_DEP_1)
	v_lshrrev_b32_e32 v62, s48, v155
	v_bitop3_b32 v63, v62, 1, s58 bitop3:0x80
	v_and_b32_e32 v159, s58, v62
	s_delay_alu instid0(VALU_DEP_2) | instskip(NEXT) | instid1(VALU_DEP_1)
	v_add_co_u32 v62, s17, v63, -1
	v_cndmask_b32_e64 v63, 0, 1, s17
	s_delay_alu instid0(VALU_DEP_3) | instskip(SKIP_1) | instid1(VALU_DEP_3)
	v_dual_lshlrev_b32 v157, 30, v159 :: v_dual_lshlrev_b32 v158, 29, v159
	v_dual_lshlrev_b32 v160, 28, v159 :: v_dual_lshlrev_b32 v161, 27, v159
	v_cmp_ne_u32_e32 vcc_lo, 0, v63
	s_delay_alu instid0(VALU_DEP_3)
	v_cmp_gt_i32_e64 s17, 0, v157
	v_not_b32_e32 v63, v157
	v_not_b32_e32 v157, v158
	v_dual_lshlrev_b32 v162, 26, v159 :: v_dual_lshlrev_b32 v163, 25, v159
	v_cmp_gt_i32_e64 s18, 0, v158
	v_cmp_gt_i32_e64 s19, 0, v160
	v_not_b32_e32 v158, v160
	v_not_b32_e32 v160, v161
	v_dual_ashrrev_i32 v63, 31, v63 :: v_dual_ashrrev_i32 v157, 31, v157
	v_cmp_gt_i32_e64 s20, 0, v161
	v_cmp_gt_i32_e64 s21, 0, v162
	v_not_b32_e32 v161, v162
	v_bitop3_b32 v62, vcc_lo, exec_lo, v62 bitop3:0x48
	v_dual_ashrrev_i32 v158, 31, v158 :: v_dual_ashrrev_i32 v160, 31, v160
	v_xor_b32_e32 v63, s17, v63
	v_not_b32_e32 v162, v163
	v_xor_b32_e32 v157, s18, v157
	s_delay_alu instid0(VALU_DEP_4) | instskip(SKIP_2) | instid1(VALU_DEP_4)
	v_dual_ashrrev_i32 v161, 31, v161 :: v_dual_bitop2_b32 v158, s19, v158 bitop3:0x14
	v_xor_b32_e32 v160, s20, v160
	v_cmp_gt_i32_e32 vcc_lo, 0, v163
	v_bitop3_b32 v62, v62, v157, v63 bitop3:0x80
	v_ashrrev_i32_e32 v63, 31, v162
	v_mad_u32_u24 v157, v159, 36, v114
	v_xor_b32_e32 v161, s21, v161
	s_delay_alu instid0(VALU_DEP_4) | instskip(NEXT) | instid1(VALU_DEP_4)
	v_bitop3_b32 v62, v62, v160, v158 bitop3:0x80
	v_xor_b32_e32 v63, vcc_lo, v63
	ds_load_b32 v157, v157 offset:544
	; wave barrier
	v_bitop3_b32 v62, v62, v63, v161 bitop3:0x80
	v_mul_u32_u24_e32 v63, 36, v159
	s_delay_alu instid0(VALU_DEP_2) | instskip(SKIP_1) | instid1(VALU_DEP_3)
	v_mbcnt_lo_u32_b32 v158, v62, 0
	v_cmp_ne_u32_e64 s17, 0, v62
	v_add_nc_u32_e32 v159, v114, v63
	s_delay_alu instid0(VALU_DEP_3) | instskip(SKIP_1) | instid1(SALU_CYCLE_1)
	v_cmp_eq_u32_e32 vcc_lo, 0, v158
	s_and_b32 s18, s17, vcc_lo
	s_and_saveexec_b32 s17, s18
	s_cbranch_execz .LBB391_131
; %bb.130:                              ;   in Loop: Header=BB391_100 Depth=2
	s_wait_dscnt 0x0
	v_bcnt_u32_b32 v62, v62, v157
	ds_store_b32 v159, v62 offset:544
.LBB391_131:                            ;   in Loop: Header=BB391_100 Depth=2
	s_or_b32 exec_lo, exec_lo, s17
	v_bitop3_b16 v62, v142, s43, 0x80 bitop3:0x48
	; wave barrier
	s_delay_alu instid0(VALU_DEP_1) | instskip(NEXT) | instid1(VALU_DEP_1)
	v_and_b32_e32 v62, 0xffff, v62
	v_lshrrev_b32_e32 v62, s48, v62
	s_delay_alu instid0(VALU_DEP_1) | instskip(SKIP_1) | instid1(VALU_DEP_2)
	v_bitop3_b32 v63, v62, 1, s58 bitop3:0x80
	v_and_b32_e32 v162, s58, v62
	v_add_co_u32 v62, s17, v63, -1
	s_delay_alu instid0(VALU_DEP_1) | instskip(NEXT) | instid1(VALU_DEP_3)
	v_cndmask_b32_e64 v63, 0, 1, s17
	v_dual_lshlrev_b32 v160, 30, v162 :: v_dual_lshlrev_b32 v161, 29, v162
	s_delay_alu instid0(VALU_DEP_2) | instskip(NEXT) | instid1(VALU_DEP_2)
	v_cmp_ne_u32_e32 vcc_lo, 0, v63
	v_cmp_gt_i32_e64 s17, 0, v160
	v_not_b32_e32 v63, v160
	s_delay_alu instid0(VALU_DEP_4) | instskip(SKIP_2) | instid1(VALU_DEP_3)
	v_not_b32_e32 v160, v161
	v_cmp_gt_i32_e64 s18, 0, v161
	v_bitop3_b32 v62, vcc_lo, exec_lo, v62 bitop3:0x48
	v_dual_ashrrev_i32 v63, 31, v63 :: v_dual_ashrrev_i32 v160, 31, v160
	v_dual_lshlrev_b32 v163, 28, v162 :: v_dual_lshlrev_b32 v164, 27, v162
	v_dual_lshlrev_b32 v165, 26, v162 :: v_dual_lshlrev_b32 v166, 25, v162
	s_delay_alu instid0(VALU_DEP_2) | instskip(SKIP_1) | instid1(VALU_DEP_4)
	v_cmp_gt_i32_e64 s19, 0, v163
	v_not_b32_e32 v161, v163
	v_cmp_gt_i32_e64 s20, 0, v164
	v_not_b32_e32 v163, v164
	v_cmp_gt_i32_e64 s21, 0, v165
	v_not_b32_e32 v164, v165
	v_not_b32_e32 v165, v166
	v_xor_b32_e32 v63, s17, v63
	v_dual_ashrrev_i32 v161, 31, v161 :: v_dual_bitop2_b32 v160, s18, v160 bitop3:0x14
	s_delay_alu instid0(VALU_DEP_4) | instskip(NEXT) | instid1(VALU_DEP_4)
	v_dual_ashrrev_i32 v163, 31, v163 :: v_dual_ashrrev_i32 v164, 31, v164
	v_ashrrev_i32_e32 v165, 31, v165
	s_delay_alu instid0(VALU_DEP_3)
	v_bitop3_b32 v62, v62, v160, v63 bitop3:0x80
	v_mad_u32_u24 v63, v162, 36, v114
	v_cmp_gt_i32_e64 s22, 0, v166
	v_xor_b32_e32 v163, s20, v163
	v_xor_b32_e32 v164, s21, v164
	ds_load_b32 v160, v63 offset:544
	v_mul_u32_u24_e32 v63, 36, v162
	v_xor_b32_e32 v161, s19, v161
	v_xor_b32_e32 v165, s22, v165
	; wave barrier
	s_delay_alu instid0(VALU_DEP_3) | instskip(NEXT) | instid1(VALU_DEP_3)
	v_add_nc_u32_e32 v162, v114, v63
	v_bitop3_b32 v62, v62, v163, v161 bitop3:0x80
	s_delay_alu instid0(VALU_DEP_1) | instskip(NEXT) | instid1(VALU_DEP_1)
	v_bitop3_b32 v62, v62, v165, v164 bitop3:0x80
	v_mbcnt_lo_u32_b32 v161, v62, 0
	v_cmp_ne_u32_e64 s17, 0, v62
	s_delay_alu instid0(VALU_DEP_2) | instskip(SKIP_1) | instid1(SALU_CYCLE_1)
	v_cmp_eq_u32_e32 vcc_lo, 0, v161
	s_and_b32 s18, s17, vcc_lo
	s_and_saveexec_b32 s17, s18
	s_cbranch_execz .LBB391_133
; %bb.132:                              ;   in Loop: Header=BB391_100 Depth=2
	s_wait_dscnt 0x0
	v_bcnt_u32_b32 v62, v62, v160
	ds_store_b32 v162, v62 offset:544
.LBB391_133:                            ;   in Loop: Header=BB391_100 Depth=2
	s_or_b32 exec_lo, exec_lo, s17
	v_xor_b32_e32 v62, 0x80, v145
	v_xor_b32_e32 v63, 0x80, v144
	;; [unrolled: 1-line block ×4, first 2 shown]
	s_delay_alu instid0(VALU_DEP_4) | instskip(NEXT) | instid1(VALU_DEP_4)
	v_lshlrev_b16 v62, 8, v62
	v_lshlrev_b16 v63, 8, v63
	; wave barrier
	s_delay_alu instid0(VALU_DEP_2) | instskip(NEXT) | instid1(VALU_DEP_2)
	v_bitop3_b16 v142, v142, v62, 0xff bitop3:0xec
	v_bitop3_b16 v62, v143, v63, 0xff bitop3:0xec
	s_delay_alu instid0(VALU_DEP_2) | instskip(NEXT) | instid1(VALU_DEP_2)
	v_and_b32_e32 v63, 0xffff, v142
	v_lshlrev_b32_e32 v62, 16, v62
	s_delay_alu instid0(VALU_DEP_1) | instskip(NEXT) | instid1(VALU_DEP_1)
	v_or_b32_e32 v143, v63, v62
	v_bfe_u32 v62, v143, 8, 8
	s_delay_alu instid0(VALU_DEP_1) | instskip(NEXT) | instid1(VALU_DEP_1)
	v_lshrrev_b32_e32 v62, s48, v62
	v_bitop3_b32 v63, v62, 1, s58 bitop3:0x80
	v_and_b32_e32 v163, s58, v62
	s_delay_alu instid0(VALU_DEP_2) | instskip(NEXT) | instid1(VALU_DEP_1)
	v_add_co_u32 v62, s17, v63, -1
	v_cndmask_b32_e64 v63, 0, 1, s17
	s_delay_alu instid0(VALU_DEP_3) | instskip(NEXT) | instid1(VALU_DEP_2)
	v_lshlrev_b32_e32 v144, 30, v163
	v_cmp_ne_u32_e32 vcc_lo, 0, v63
	s_delay_alu instid0(VALU_DEP_2) | instskip(SKIP_2) | instid1(VALU_DEP_3)
	v_not_b32_e32 v63, v144
	v_cmp_gt_i32_e64 s17, 0, v144
	v_bitop3_b32 v62, vcc_lo, exec_lo, v62 bitop3:0x48
	v_ashrrev_i32_e32 v63, 31, v63
	v_dual_lshlrev_b32 v145, 29, v163 :: v_dual_lshlrev_b32 v164, 28, v163
	v_dual_lshlrev_b32 v165, 27, v163 :: v_dual_lshlrev_b32 v166, 26, v163
	s_delay_alu instid0(VALU_DEP_2)
	v_not_b32_e32 v144, v145
	v_lshlrev_b32_e32 v167, 25, v163
	v_cmp_gt_i32_e64 s18, 0, v145
	v_cmp_gt_i32_e64 s19, 0, v164
	v_not_b32_e32 v145, v164
	v_ashrrev_i32_e32 v144, 31, v144
	v_cmp_gt_i32_e64 s20, 0, v165
	v_not_b32_e32 v164, v165
	v_cmp_gt_i32_e64 s21, 0, v166
	v_not_b32_e32 v165, v166
	v_not_b32_e32 v166, v167
	v_xor_b32_e32 v63, s17, v63
	v_dual_ashrrev_i32 v145, 31, v145 :: v_dual_bitop2_b32 v144, s18, v144 bitop3:0x14
	s_delay_alu instid0(VALU_DEP_4) | instskip(NEXT) | instid1(VALU_DEP_4)
	v_dual_ashrrev_i32 v164, 31, v164 :: v_dual_ashrrev_i32 v165, 31, v165
	v_ashrrev_i32_e32 v166, 31, v166
	s_delay_alu instid0(VALU_DEP_3)
	v_bitop3_b32 v62, v62, v144, v63 bitop3:0x80
	v_mad_u32_u24 v63, v163, 36, v114
	v_cmp_gt_i32_e64 s22, 0, v167
	v_xor_b32_e32 v164, s20, v164
	v_xor_b32_e32 v165, s21, v165
	ds_load_b32 v144, v63 offset:544
	v_mul_u32_u24_e32 v63, 36, v163
	v_xor_b32_e32 v145, s19, v145
	v_xor_b32_e32 v166, s22, v166
	; wave barrier
	s_delay_alu instid0(VALU_DEP_3) | instskip(NEXT) | instid1(VALU_DEP_3)
	v_add_nc_u32_e32 v163, v114, v63
	v_bitop3_b32 v62, v62, v164, v145 bitop3:0x80
	s_delay_alu instid0(VALU_DEP_1) | instskip(NEXT) | instid1(VALU_DEP_1)
	v_bitop3_b32 v62, v62, v166, v165 bitop3:0x80
	v_mbcnt_lo_u32_b32 v145, v62, 0
	v_cmp_ne_u32_e64 s17, 0, v62
	s_delay_alu instid0(VALU_DEP_2) | instskip(SKIP_1) | instid1(SALU_CYCLE_1)
	v_cmp_eq_u32_e32 vcc_lo, 0, v145
	s_and_b32 s18, s17, vcc_lo
	s_and_saveexec_b32 s17, s18
	s_cbranch_execz .LBB391_135
; %bb.134:                              ;   in Loop: Header=BB391_100 Depth=2
	s_wait_dscnt 0x0
	v_bcnt_u32_b32 v62, v62, v144
	ds_store_b32 v163, v62 offset:544
.LBB391_135:                            ;   in Loop: Header=BB391_100 Depth=2
	s_or_b32 exec_lo, exec_lo, s17
	v_bfe_u32 v62, v143, 16, 8
	; wave barrier
	s_delay_alu instid0(VALU_DEP_1) | instskip(NEXT) | instid1(VALU_DEP_1)
	v_lshrrev_b32_e32 v62, s48, v62
	v_bitop3_b32 v63, v62, 1, s58 bitop3:0x80
	v_and_b32_e32 v166, s58, v62
	s_delay_alu instid0(VALU_DEP_2) | instskip(NEXT) | instid1(VALU_DEP_1)
	v_add_co_u32 v62, s17, v63, -1
	v_cndmask_b32_e64 v63, 0, 1, s17
	s_delay_alu instid0(VALU_DEP_3) | instskip(NEXT) | instid1(VALU_DEP_2)
	v_dual_lshlrev_b32 v164, 30, v166 :: v_dual_lshlrev_b32 v165, 29, v166
	v_cmp_ne_u32_e32 vcc_lo, 0, v63
	s_delay_alu instid0(VALU_DEP_2) | instskip(SKIP_1) | instid1(VALU_DEP_4)
	v_cmp_gt_i32_e64 s17, 0, v164
	v_not_b32_e32 v63, v164
	v_not_b32_e32 v164, v165
	v_cmp_gt_i32_e64 s18, 0, v165
	v_bitop3_b32 v62, vcc_lo, exec_lo, v62 bitop3:0x48
	s_delay_alu instid0(VALU_DEP_3) | instskip(SKIP_2) | instid1(VALU_DEP_2)
	v_dual_ashrrev_i32 v63, 31, v63 :: v_dual_ashrrev_i32 v164, 31, v164
	v_dual_lshlrev_b32 v167, 28, v166 :: v_dual_lshlrev_b32 v168, 27, v166
	v_dual_lshlrev_b32 v169, 26, v166 :: v_dual_lshlrev_b32 v170, 25, v166
	v_cmp_gt_i32_e64 s19, 0, v167
	v_not_b32_e32 v165, v167
	s_delay_alu instid0(VALU_DEP_4) | instskip(SKIP_3) | instid1(VALU_DEP_4)
	v_not_b32_e32 v167, v168
	v_cmp_gt_i32_e64 s20, 0, v168
	v_cmp_gt_i32_e64 s21, 0, v169
	v_not_b32_e32 v168, v169
	v_dual_ashrrev_i32 v165, 31, v165 :: v_dual_ashrrev_i32 v167, 31, v167
	v_xor_b32_e32 v63, s17, v63
	v_not_b32_e32 v169, v170
	v_xor_b32_e32 v164, s18, v164
	s_delay_alu instid0(VALU_DEP_4) | instskip(SKIP_2) | instid1(VALU_DEP_4)
	v_dual_ashrrev_i32 v168, 31, v168 :: v_dual_bitop2_b32 v165, s19, v165 bitop3:0x14
	v_xor_b32_e32 v167, s20, v167
	v_cmp_gt_i32_e32 vcc_lo, 0, v170
	v_bitop3_b32 v62, v62, v164, v63 bitop3:0x80
	v_ashrrev_i32_e32 v63, 31, v169
	v_mad_u32_u24 v164, v166, 36, v114
	v_xor_b32_e32 v168, s21, v168
	s_delay_alu instid0(VALU_DEP_4) | instskip(NEXT) | instid1(VALU_DEP_4)
	v_bitop3_b32 v62, v62, v167, v165 bitop3:0x80
	v_xor_b32_e32 v63, vcc_lo, v63
	ds_load_b32 v164, v164 offset:544
	; wave barrier
	v_bitop3_b32 v62, v62, v63, v168 bitop3:0x80
	v_mul_u32_u24_e32 v63, 36, v166
	s_delay_alu instid0(VALU_DEP_2) | instskip(SKIP_1) | instid1(VALU_DEP_3)
	v_mbcnt_lo_u32_b32 v165, v62, 0
	v_cmp_ne_u32_e64 s17, 0, v62
	v_add_nc_u32_e32 v167, v114, v63
	s_delay_alu instid0(VALU_DEP_3) | instskip(SKIP_1) | instid1(SALU_CYCLE_1)
	v_cmp_eq_u32_e32 vcc_lo, 0, v165
	s_and_b32 s18, s17, vcc_lo
	s_and_saveexec_b32 s17, s18
	s_cbranch_execz .LBB391_137
; %bb.136:                              ;   in Loop: Header=BB391_100 Depth=2
	s_wait_dscnt 0x0
	v_bcnt_u32_b32 v62, v62, v164
	ds_store_b32 v167, v62 offset:544
.LBB391_137:                            ;   in Loop: Header=BB391_100 Depth=2
	s_or_b32 exec_lo, exec_lo, s17
	v_lshrrev_b32_e32 v166, 24, v143
	; wave barrier
	s_delay_alu instid0(VALU_DEP_1) | instskip(NEXT) | instid1(VALU_DEP_1)
	v_lshrrev_b32_e32 v62, s48, v166
	v_bitop3_b32 v63, v62, 1, s58 bitop3:0x80
	v_and_b32_e32 v170, s58, v62
	s_delay_alu instid0(VALU_DEP_2) | instskip(NEXT) | instid1(VALU_DEP_1)
	v_add_co_u32 v62, s17, v63, -1
	v_cndmask_b32_e64 v63, 0, 1, s17
	s_delay_alu instid0(VALU_DEP_3) | instskip(SKIP_1) | instid1(VALU_DEP_3)
	v_dual_lshlrev_b32 v168, 30, v170 :: v_dual_lshlrev_b32 v169, 29, v170
	v_dual_lshlrev_b32 v171, 28, v170 :: v_dual_lshlrev_b32 v172, 27, v170
	v_cmp_ne_u32_e32 vcc_lo, 0, v63
	s_delay_alu instid0(VALU_DEP_3)
	v_cmp_gt_i32_e64 s17, 0, v168
	v_not_b32_e32 v63, v168
	v_not_b32_e32 v168, v169
	v_dual_lshlrev_b32 v173, 26, v170 :: v_dual_lshlrev_b32 v174, 25, v170
	v_cmp_gt_i32_e64 s18, 0, v169
	v_cmp_gt_i32_e64 s19, 0, v171
	v_not_b32_e32 v169, v171
	v_not_b32_e32 v171, v172
	v_dual_ashrrev_i32 v63, 31, v63 :: v_dual_ashrrev_i32 v168, 31, v168
	v_cmp_gt_i32_e64 s20, 0, v172
	v_cmp_gt_i32_e64 s21, 0, v173
	v_not_b32_e32 v172, v173
	v_bitop3_b32 v62, vcc_lo, exec_lo, v62 bitop3:0x48
	v_dual_ashrrev_i32 v169, 31, v169 :: v_dual_ashrrev_i32 v171, 31, v171
	v_xor_b32_e32 v168, s18, v168
	s_delay_alu instid0(VALU_DEP_4) | instskip(SKIP_1) | instid1(VALU_DEP_4)
	v_dual_ashrrev_i32 v172, 31, v172 :: v_dual_bitop2_b32 v63, s17, v63 bitop3:0x14
	v_not_b32_e32 v173, v174
	v_xor_b32_e32 v169, s19, v169
	v_xor_b32_e32 v171, s20, v171
	s_delay_alu instid0(VALU_DEP_4)
	v_bitop3_b32 v62, v62, v168, v63 bitop3:0x80
	v_cmp_gt_i32_e32 vcc_lo, 0, v174
	v_ashrrev_i32_e32 v63, 31, v173
	v_mad_u32_u24 v168, v170, 36, v114
	v_xor_b32_e32 v172, s21, v172
	v_bitop3_b32 v62, v62, v171, v169 bitop3:0x80
	s_delay_alu instid0(VALU_DEP_4) | instskip(SKIP_3) | instid1(VALU_DEP_2)
	v_xor_b32_e32 v63, vcc_lo, v63
	ds_load_b32 v168, v168 offset:544
	; wave barrier
	v_bitop3_b32 v62, v62, v63, v172 bitop3:0x80
	v_mul_u32_u24_e32 v63, 36, v170
	v_mbcnt_lo_u32_b32 v169, v62, 0
	v_cmp_ne_u32_e64 s17, 0, v62
	s_delay_alu instid0(VALU_DEP_3) | instskip(NEXT) | instid1(VALU_DEP_3)
	v_add_nc_u32_e32 v170, v114, v63
	v_cmp_eq_u32_e32 vcc_lo, 0, v169
	s_and_b32 s18, s17, vcc_lo
	s_delay_alu instid0(SALU_CYCLE_1)
	s_and_saveexec_b32 s17, s18
	s_cbranch_execz .LBB391_139
; %bb.138:                              ;   in Loop: Header=BB391_100 Depth=2
	s_wait_dscnt 0x0
	v_bcnt_u32_b32 v62, v62, v168
	ds_store_b32 v170, v62 offset:544
.LBB391_139:                            ;   in Loop: Header=BB391_100 Depth=2
	s_or_b32 exec_lo, exec_lo, s17
	v_bitop3_b16 v62, v138, s43, 0x80 bitop3:0x48
	; wave barrier
	s_delay_alu instid0(VALU_DEP_1) | instskip(NEXT) | instid1(VALU_DEP_1)
	v_and_b32_e32 v62, 0xffff, v62
	v_lshrrev_b32_e32 v62, s48, v62
	s_delay_alu instid0(VALU_DEP_1) | instskip(NEXT) | instid1(VALU_DEP_1)
	v_and_b32_e32 v173, s58, v62
	v_lshlrev_b32_e32 v171, 30, v173
	v_bitop3_b32 v63, v62, 1, s58 bitop3:0x80
	s_delay_alu instid0(VALU_DEP_1) | instskip(NEXT) | instid1(VALU_DEP_1)
	v_add_co_u32 v62, s17, v63, -1
	v_cndmask_b32_e64 v63, 0, 1, s17
	s_delay_alu instid0(VALU_DEP_4) | instskip(NEXT) | instid1(VALU_DEP_2)
	v_cmp_gt_i32_e64 s17, 0, v171
	v_cmp_ne_u32_e32 vcc_lo, 0, v63
	v_not_b32_e32 v63, v171
	v_bitop3_b32 v62, vcc_lo, exec_lo, v62 bitop3:0x48
	s_delay_alu instid0(VALU_DEP_2) | instskip(SKIP_2) | instid1(VALU_DEP_3)
	v_dual_ashrrev_i32 v63, 31, v63 :: v_dual_lshlrev_b32 v172, 29, v173
	v_dual_lshlrev_b32 v174, 28, v173 :: v_dual_lshlrev_b32 v175, 27, v173
	v_lshlrev_b32_e32 v176, 26, v173
	v_not_b32_e32 v171, v172
	v_lshlrev_b32_e32 v177, 25, v173
	v_cmp_gt_i32_e64 s18, 0, v172
	v_cmp_gt_i32_e64 s19, 0, v174
	v_not_b32_e32 v172, v174
	v_ashrrev_i32_e32 v171, 31, v171
	v_cmp_gt_i32_e64 s20, 0, v175
	v_not_b32_e32 v174, v175
	v_cmp_gt_i32_e64 s21, 0, v176
	v_not_b32_e32 v175, v176
	v_not_b32_e32 v176, v177
	v_xor_b32_e32 v63, s17, v63
	v_dual_ashrrev_i32 v172, 31, v172 :: v_dual_bitop2_b32 v171, s18, v171 bitop3:0x14
	s_delay_alu instid0(VALU_DEP_3) | instskip(SKIP_1) | instid1(VALU_DEP_3)
	v_dual_ashrrev_i32 v174, 31, v174 :: v_dual_ashrrev_i32 v176, 31, v176
	v_cmp_gt_i32_e64 s22, 0, v177
	v_bitop3_b32 v62, v62, v171, v63 bitop3:0x80
	v_mad_u32_u24 v63, v173, 36, v114
	v_dual_ashrrev_i32 v175, 31, v175 :: v_dual_bitop2_b32 v172, s19, v172 bitop3:0x14
	s_delay_alu instid0(VALU_DEP_4) | instskip(SKIP_4) | instid1(VALU_DEP_3)
	v_xor_b32_e32 v176, s22, v176
	ds_load_b32 v171, v63 offset:544
	v_mul_u32_u24_e32 v63, 36, v173
	v_xor_b32_e32 v174, s20, v174
	v_xor_b32_e32 v175, s21, v175
	; wave barrier
	v_add_nc_u32_e32 v173, v114, v63
	s_delay_alu instid0(VALU_DEP_3) | instskip(NEXT) | instid1(VALU_DEP_1)
	v_bitop3_b32 v62, v62, v174, v172 bitop3:0x80
	v_bitop3_b32 v62, v62, v176, v175 bitop3:0x80
	s_delay_alu instid0(VALU_DEP_1) | instskip(SKIP_1) | instid1(VALU_DEP_2)
	v_mbcnt_lo_u32_b32 v172, v62, 0
	v_cmp_ne_u32_e64 s17, 0, v62
	v_cmp_eq_u32_e32 vcc_lo, 0, v172
	s_and_b32 s18, s17, vcc_lo
	s_delay_alu instid0(SALU_CYCLE_1)
	s_and_saveexec_b32 s17, s18
	s_cbranch_execz .LBB391_141
; %bb.140:                              ;   in Loop: Header=BB391_100 Depth=2
	s_wait_dscnt 0x0
	v_bcnt_u32_b32 v62, v62, v171
	ds_store_b32 v173, v62 offset:544
.LBB391_141:                            ;   in Loop: Header=BB391_100 Depth=2
	s_or_b32 exec_lo, exec_lo, s17
	v_xor_b32_e32 v62, 0x80, v141
	v_xor_b32_e32 v63, 0x80, v140
	;; [unrolled: 1-line block ×4, first 2 shown]
	s_delay_alu instid0(VALU_DEP_4) | instskip(NEXT) | instid1(VALU_DEP_4)
	v_lshlrev_b16 v62, 8, v62
	v_lshlrev_b16 v63, 8, v63
	; wave barrier
	s_delay_alu instid0(VALU_DEP_2) | instskip(NEXT) | instid1(VALU_DEP_2)
	v_bitop3_b16 v138, v138, v62, 0xff bitop3:0xec
	v_bitop3_b16 v62, v139, v63, 0xff bitop3:0xec
	s_delay_alu instid0(VALU_DEP_2) | instskip(NEXT) | instid1(VALU_DEP_2)
	v_and_b32_e32 v63, 0xffff, v138
	v_lshlrev_b32_e32 v62, 16, v62
	s_delay_alu instid0(VALU_DEP_1) | instskip(NEXT) | instid1(VALU_DEP_1)
	v_or_b32_e32 v139, v63, v62
	v_bfe_u32 v62, v139, 8, 8
	s_delay_alu instid0(VALU_DEP_1) | instskip(NEXT) | instid1(VALU_DEP_1)
	v_lshrrev_b32_e32 v62, s48, v62
	v_bitop3_b32 v63, v62, 1, s58 bitop3:0x80
	v_and_b32_e32 v174, s58, v62
	s_delay_alu instid0(VALU_DEP_2) | instskip(NEXT) | instid1(VALU_DEP_1)
	v_add_co_u32 v62, s17, v63, -1
	v_cndmask_b32_e64 v63, 0, 1, s17
	s_delay_alu instid0(VALU_DEP_3) | instskip(NEXT) | instid1(VALU_DEP_2)
	v_dual_lshlrev_b32 v140, 30, v174 :: v_dual_lshlrev_b32 v141, 29, v174
	v_cmp_ne_u32_e32 vcc_lo, 0, v63
	s_delay_alu instid0(VALU_DEP_2) | instskip(SKIP_1) | instid1(VALU_DEP_4)
	v_cmp_gt_i32_e64 s17, 0, v140
	v_not_b32_e32 v63, v140
	v_not_b32_e32 v140, v141
	v_cmp_gt_i32_e64 s18, 0, v141
	v_bitop3_b32 v62, vcc_lo, exec_lo, v62 bitop3:0x48
	s_delay_alu instid0(VALU_DEP_3) | instskip(SKIP_2) | instid1(VALU_DEP_2)
	v_dual_ashrrev_i32 v63, 31, v63 :: v_dual_ashrrev_i32 v140, 31, v140
	v_dual_lshlrev_b32 v175, 28, v174 :: v_dual_lshlrev_b32 v176, 27, v174
	v_dual_lshlrev_b32 v177, 26, v174 :: v_dual_lshlrev_b32 v178, 25, v174
	v_cmp_gt_i32_e64 s19, 0, v175
	v_not_b32_e32 v141, v175
	s_delay_alu instid0(VALU_DEP_4)
	v_cmp_gt_i32_e64 s20, 0, v176
	v_not_b32_e32 v175, v176
	v_cmp_gt_i32_e64 s21, 0, v177
	v_not_b32_e32 v176, v177
	v_not_b32_e32 v177, v178
	v_xor_b32_e32 v63, s17, v63
	v_dual_ashrrev_i32 v141, 31, v141 :: v_dual_bitop2_b32 v140, s18, v140 bitop3:0x14
	s_delay_alu instid0(VALU_DEP_4) | instskip(NEXT) | instid1(VALU_DEP_4)
	v_dual_ashrrev_i32 v175, 31, v175 :: v_dual_ashrrev_i32 v176, 31, v176
	v_ashrrev_i32_e32 v177, 31, v177
	s_delay_alu instid0(VALU_DEP_3)
	v_bitop3_b32 v62, v62, v140, v63 bitop3:0x80
	v_mad_u32_u24 v63, v174, 36, v114
	v_cmp_gt_i32_e64 s22, 0, v178
	v_xor_b32_e32 v175, s20, v175
	v_xor_b32_e32 v176, s21, v176
	ds_load_b32 v140, v63 offset:544
	v_mul_u32_u24_e32 v63, 36, v174
	v_xor_b32_e32 v141, s19, v141
	v_xor_b32_e32 v177, s22, v177
	; wave barrier
	s_delay_alu instid0(VALU_DEP_3) | instskip(NEXT) | instid1(VALU_DEP_3)
	v_add_nc_u32_e32 v174, v114, v63
	v_bitop3_b32 v62, v62, v175, v141 bitop3:0x80
	s_delay_alu instid0(VALU_DEP_1) | instskip(NEXT) | instid1(VALU_DEP_1)
	v_bitop3_b32 v62, v62, v177, v176 bitop3:0x80
	v_mbcnt_lo_u32_b32 v141, v62, 0
	v_cmp_ne_u32_e64 s17, 0, v62
	s_delay_alu instid0(VALU_DEP_2) | instskip(SKIP_1) | instid1(SALU_CYCLE_1)
	v_cmp_eq_u32_e32 vcc_lo, 0, v141
	s_and_b32 s18, s17, vcc_lo
	s_and_saveexec_b32 s17, s18
	s_cbranch_execz .LBB391_143
; %bb.142:                              ;   in Loop: Header=BB391_100 Depth=2
	s_wait_dscnt 0x0
	v_bcnt_u32_b32 v62, v62, v140
	ds_store_b32 v174, v62 offset:544
.LBB391_143:                            ;   in Loop: Header=BB391_100 Depth=2
	s_or_b32 exec_lo, exec_lo, s17
	v_bfe_u32 v62, v139, 16, 8
	; wave barrier
	s_delay_alu instid0(VALU_DEP_1) | instskip(NEXT) | instid1(VALU_DEP_1)
	v_lshrrev_b32_e32 v62, s48, v62
	v_and_b32_e32 v177, s58, v62
	s_delay_alu instid0(VALU_DEP_1) | instskip(SKIP_1) | instid1(VALU_DEP_1)
	v_lshlrev_b32_e32 v175, 30, v177
	v_bitop3_b32 v63, v62, 1, s58 bitop3:0x80
	v_add_co_u32 v62, s17, v63, -1
	s_delay_alu instid0(VALU_DEP_1) | instskip(NEXT) | instid1(VALU_DEP_4)
	v_cndmask_b32_e64 v63, 0, 1, s17
	v_cmp_gt_i32_e64 s17, 0, v175
	s_delay_alu instid0(VALU_DEP_2) | instskip(SKIP_2) | instid1(VALU_DEP_2)
	v_cmp_ne_u32_e32 vcc_lo, 0, v63
	v_not_b32_e32 v63, v175
	v_bitop3_b32 v62, vcc_lo, exec_lo, v62 bitop3:0x48
	v_dual_ashrrev_i32 v63, 31, v63 :: v_dual_lshlrev_b32 v176, 29, v177
	v_dual_lshlrev_b32 v178, 28, v177 :: v_dual_lshlrev_b32 v179, 27, v177
	s_delay_alu instid0(VALU_DEP_2) | instskip(NEXT) | instid1(VALU_DEP_3)
	v_dual_lshlrev_b32 v180, 26, v177 :: v_dual_bitop2_b32 v63, s17, v63 bitop3:0x14
	v_not_b32_e32 v175, v176
	v_lshlrev_b32_e32 v181, 25, v177
	v_cmp_gt_i32_e64 s18, 0, v176
	v_cmp_gt_i32_e64 s19, 0, v178
	v_not_b32_e32 v176, v178
	v_not_b32_e32 v178, v179
	v_ashrrev_i32_e32 v175, 31, v175
	v_cmp_gt_i32_e64 s20, 0, v179
	v_cmp_gt_i32_e64 s21, 0, v180
	v_not_b32_e32 v179, v180
	v_dual_ashrrev_i32 v176, 31, v176 :: v_dual_ashrrev_i32 v178, 31, v178
	v_not_b32_e32 v180, v181
	v_xor_b32_e32 v175, s18, v175
	s_delay_alu instid0(VALU_DEP_3) | instskip(NEXT) | instid1(VALU_DEP_4)
	v_dual_ashrrev_i32 v179, 31, v179 :: v_dual_bitop2_b32 v176, s19, v176 bitop3:0x14
	v_xor_b32_e32 v178, s20, v178
	v_cmp_gt_i32_e32 vcc_lo, 0, v181
	s_delay_alu instid0(VALU_DEP_4) | instskip(SKIP_3) | instid1(VALU_DEP_4)
	v_bitop3_b32 v62, v62, v175, v63 bitop3:0x80
	v_ashrrev_i32_e32 v63, 31, v180
	v_mad_u32_u24 v175, v177, 36, v114
	v_xor_b32_e32 v179, s21, v179
	v_bitop3_b32 v62, v62, v178, v176 bitop3:0x80
	s_delay_alu instid0(VALU_DEP_4) | instskip(SKIP_3) | instid1(VALU_DEP_2)
	v_xor_b32_e32 v63, vcc_lo, v63
	ds_load_b32 v175, v175 offset:544
	; wave barrier
	v_bitop3_b32 v62, v62, v63, v179 bitop3:0x80
	v_mul_u32_u24_e32 v63, 36, v177
	v_mbcnt_lo_u32_b32 v176, v62, 0
	v_cmp_ne_u32_e64 s17, 0, v62
	s_delay_alu instid0(VALU_DEP_3) | instskip(NEXT) | instid1(VALU_DEP_3)
	v_add_nc_u32_e32 v178, v114, v63
	v_cmp_eq_u32_e32 vcc_lo, 0, v176
	s_and_b32 s18, s17, vcc_lo
	s_delay_alu instid0(SALU_CYCLE_1)
	s_and_saveexec_b32 s17, s18
	s_cbranch_execz .LBB391_145
; %bb.144:                              ;   in Loop: Header=BB391_100 Depth=2
	s_wait_dscnt 0x0
	v_bcnt_u32_b32 v62, v62, v175
	ds_store_b32 v178, v62 offset:544
.LBB391_145:                            ;   in Loop: Header=BB391_100 Depth=2
	s_or_b32 exec_lo, exec_lo, s17
	v_lshrrev_b32_e32 v177, 24, v139
	; wave barrier
	s_delay_alu instid0(VALU_DEP_1) | instskip(NEXT) | instid1(VALU_DEP_1)
	v_lshrrev_b32_e32 v62, s48, v177
	v_bitop3_b32 v63, v62, 1, s58 bitop3:0x80
	v_and_b32_e32 v181, s58, v62
	s_delay_alu instid0(VALU_DEP_2) | instskip(NEXT) | instid1(VALU_DEP_1)
	v_add_co_u32 v62, s17, v63, -1
	v_cndmask_b32_e64 v63, 0, 1, s17
	s_delay_alu instid0(VALU_DEP_3) | instskip(SKIP_1) | instid1(VALU_DEP_3)
	v_dual_lshlrev_b32 v179, 30, v181 :: v_dual_lshlrev_b32 v180, 29, v181
	v_dual_lshlrev_b32 v182, 28, v181 :: v_dual_lshlrev_b32 v183, 27, v181
	v_cmp_ne_u32_e32 vcc_lo, 0, v63
	s_delay_alu instid0(VALU_DEP_3)
	v_cmp_gt_i32_e64 s17, 0, v179
	v_not_b32_e32 v63, v179
	v_not_b32_e32 v179, v180
	v_dual_lshlrev_b32 v184, 26, v181 :: v_dual_lshlrev_b32 v185, 25, v181
	v_cmp_gt_i32_e64 s18, 0, v180
	v_cmp_gt_i32_e64 s19, 0, v182
	v_not_b32_e32 v180, v182
	v_not_b32_e32 v182, v183
	v_ashrrev_i32_e32 v63, 31, v63
	v_ashrrev_i32_e32 v179, 31, v179
	v_cmp_gt_i32_e64 s20, 0, v183
	v_cmp_gt_i32_e64 s21, 0, v184
	v_not_b32_e32 v183, v184
	v_bitop3_b32 v62, vcc_lo, exec_lo, v62 bitop3:0x48
	v_dual_ashrrev_i32 v180, 31, v180 :: v_dual_ashrrev_i32 v182, 31, v182
	v_xor_b32_e32 v63, s17, v63
	v_not_b32_e32 v184, v185
	v_xor_b32_e32 v179, s18, v179
	s_delay_alu instid0(VALU_DEP_4) | instskip(SKIP_2) | instid1(VALU_DEP_4)
	v_dual_ashrrev_i32 v183, 31, v183 :: v_dual_bitop2_b32 v180, s19, v180 bitop3:0x14
	v_xor_b32_e32 v182, s20, v182
	v_cmp_gt_i32_e32 vcc_lo, 0, v185
	v_bitop3_b32 v62, v62, v179, v63 bitop3:0x80
	v_ashrrev_i32_e32 v63, 31, v184
	v_mad_u32_u24 v179, v181, 36, v114
	v_xor_b32_e32 v183, s21, v183
	s_delay_alu instid0(VALU_DEP_4) | instskip(NEXT) | instid1(VALU_DEP_4)
	v_bitop3_b32 v62, v62, v182, v180 bitop3:0x80
	v_xor_b32_e32 v63, vcc_lo, v63
	ds_load_b32 v179, v179 offset:544
	; wave barrier
	v_bitop3_b32 v62, v62, v63, v183 bitop3:0x80
	v_mul_u32_u24_e32 v63, 36, v181
	s_delay_alu instid0(VALU_DEP_2) | instskip(SKIP_1) | instid1(VALU_DEP_3)
	v_mbcnt_lo_u32_b32 v180, v62, 0
	v_cmp_ne_u32_e64 s17, 0, v62
	v_add_nc_u32_e32 v181, v114, v63
	s_delay_alu instid0(VALU_DEP_3) | instskip(SKIP_1) | instid1(SALU_CYCLE_1)
	v_cmp_eq_u32_e32 vcc_lo, 0, v180
	s_and_b32 s18, s17, vcc_lo
	s_and_saveexec_b32 s17, s18
	s_cbranch_execz .LBB391_147
; %bb.146:                              ;   in Loop: Header=BB391_100 Depth=2
	s_wait_dscnt 0x0
	v_bcnt_u32_b32 v62, v62, v179
	ds_store_b32 v181, v62 offset:544
.LBB391_147:                            ;   in Loop: Header=BB391_100 Depth=2
	s_or_b32 exec_lo, exec_lo, s17
	v_bitop3_b16 v62, v64, s43, 0x80 bitop3:0x48
	; wave barrier
	s_delay_alu instid0(VALU_DEP_1) | instskip(NEXT) | instid1(VALU_DEP_1)
	v_and_b32_e32 v62, 0xffff, v62
	v_lshrrev_b32_e32 v62, s48, v62
	s_delay_alu instid0(VALU_DEP_1) | instskip(NEXT) | instid1(VALU_DEP_1)
	v_and_b32_e32 v184, s58, v62
	v_lshlrev_b32_e32 v182, 30, v184
	v_bitop3_b32 v63, v62, 1, s58 bitop3:0x80
	s_delay_alu instid0(VALU_DEP_1) | instskip(NEXT) | instid1(VALU_DEP_1)
	v_add_co_u32 v62, s17, v63, -1
	v_cndmask_b32_e64 v63, 0, 1, s17
	s_delay_alu instid0(VALU_DEP_4) | instskip(NEXT) | instid1(VALU_DEP_2)
	v_cmp_gt_i32_e64 s17, 0, v182
	v_cmp_ne_u32_e32 vcc_lo, 0, v63
	v_not_b32_e32 v63, v182
	v_bitop3_b32 v62, vcc_lo, exec_lo, v62 bitop3:0x48
	s_delay_alu instid0(VALU_DEP_2) | instskip(SKIP_2) | instid1(VALU_DEP_3)
	v_dual_ashrrev_i32 v63, 31, v63 :: v_dual_lshlrev_b32 v183, 29, v184
	v_dual_lshlrev_b32 v185, 28, v184 :: v_dual_lshlrev_b32 v186, 27, v184
	v_lshlrev_b32_e32 v187, 26, v184
	v_not_b32_e32 v182, v183
	v_lshlrev_b32_e32 v188, 25, v184
	v_cmp_gt_i32_e64 s18, 0, v183
	v_cmp_gt_i32_e64 s19, 0, v185
	v_not_b32_e32 v183, v185
	v_not_b32_e32 v185, v186
	v_ashrrev_i32_e32 v182, 31, v182
	v_cmp_gt_i32_e64 s20, 0, v186
	v_cmp_gt_i32_e64 s21, 0, v187
	v_not_b32_e32 v186, v187
	v_not_b32_e32 v187, v188
	v_dual_ashrrev_i32 v183, 31, v183 :: v_dual_ashrrev_i32 v185, 31, v185
	s_delay_alu instid0(VALU_DEP_3) | instskip(NEXT) | instid1(VALU_DEP_3)
	v_dual_ashrrev_i32 v186, 31, v186 :: v_dual_bitop2_b32 v63, s17, v63 bitop3:0x14
	v_dual_ashrrev_i32 v187, 31, v187 :: v_dual_bitop2_b32 v182, s18, v182 bitop3:0x14
	v_cmp_gt_i32_e64 s22, 0, v188
	s_delay_alu instid0(VALU_DEP_4) | instskip(SKIP_1) | instid1(VALU_DEP_4)
	v_xor_b32_e32 v183, s19, v183
	v_xor_b32_e32 v185, s20, v185
	v_bitop3_b32 v62, v62, v182, v63 bitop3:0x80
	v_mad_u32_u24 v63, v184, 36, v114
	v_xor_b32_e32 v187, s22, v187
	s_delay_alu instid0(VALU_DEP_3) | instskip(SKIP_3) | instid1(VALU_DEP_2)
	v_bitop3_b32 v62, v62, v185, v183 bitop3:0x80
	ds_load_b32 v182, v63 offset:544
	v_mul_u32_u24_e32 v63, 36, v184
	v_xor_b32_e32 v186, s21, v186
	; wave barrier
	v_add_nc_u32_e32 v185, v114, v63
	s_delay_alu instid0(VALU_DEP_2) | instskip(NEXT) | instid1(VALU_DEP_1)
	v_bitop3_b32 v62, v62, v187, v186 bitop3:0x80
	v_mbcnt_lo_u32_b32 v183, v62, 0
	v_cmp_ne_u32_e64 s17, 0, v62
	s_delay_alu instid0(VALU_DEP_2) | instskip(SKIP_1) | instid1(SALU_CYCLE_1)
	v_cmp_eq_u32_e32 vcc_lo, 0, v183
	s_and_b32 s18, s17, vcc_lo
	s_and_saveexec_b32 s17, s18
	s_cbranch_execz .LBB391_149
; %bb.148:                              ;   in Loop: Header=BB391_100 Depth=2
	s_wait_dscnt 0x0
	v_bcnt_u32_b32 v62, v62, v182
	ds_store_b32 v185, v62 offset:544
.LBB391_149:                            ;   in Loop: Header=BB391_100 Depth=2
	s_or_b32 exec_lo, exec_lo, s17
	v_xor_b32_e32 v62, 0x80, v136
	v_xor_b32_e32 v63, 0x80, v135
	;; [unrolled: 1-line block ×4, first 2 shown]
	s_delay_alu instid0(VALU_DEP_4) | instskip(NEXT) | instid1(VALU_DEP_4)
	v_lshlrev_b16 v62, 8, v62
	v_lshlrev_b16 v63, 8, v63
	; wave barrier
	s_delay_alu instid0(VALU_DEP_2) | instskip(NEXT) | instid1(VALU_DEP_2)
	v_bitop3_b16 v184, v64, v62, 0xff bitop3:0xec
	v_bitop3_b16 v62, v65, v63, 0xff bitop3:0xec
	s_delay_alu instid0(VALU_DEP_2) | instskip(NEXT) | instid1(VALU_DEP_2)
	v_and_b32_e32 v63, 0xffff, v184
	v_lshlrev_b32_e32 v62, 16, v62
	s_delay_alu instid0(VALU_DEP_1) | instskip(NEXT) | instid1(VALU_DEP_1)
	v_or_b32_e32 v135, v63, v62
	v_bfe_u32 v62, v135, 8, 8
	s_delay_alu instid0(VALU_DEP_1) | instskip(NEXT) | instid1(VALU_DEP_1)
	v_lshrrev_b32_e32 v62, s48, v62
	v_bitop3_b32 v63, v62, 1, s58 bitop3:0x80
	v_and_b32_e32 v64, s58, v62
	s_delay_alu instid0(VALU_DEP_2) | instskip(NEXT) | instid1(VALU_DEP_1)
	v_add_co_u32 v62, s17, v63, -1
	v_cndmask_b32_e64 v63, 0, 1, s17
	s_delay_alu instid0(VALU_DEP_3) | instskip(NEXT) | instid1(VALU_DEP_2)
	v_lshlrev_b32_e32 v65, 30, v64
	v_cmp_ne_u32_e32 vcc_lo, 0, v63
	s_delay_alu instid0(VALU_DEP_2) | instskip(SKIP_2) | instid1(VALU_DEP_3)
	v_not_b32_e32 v63, v65
	v_cmp_gt_i32_e64 s17, 0, v65
	v_bitop3_b32 v62, vcc_lo, exec_lo, v62 bitop3:0x48
	v_dual_ashrrev_i32 v63, 31, v63 :: v_dual_lshlrev_b32 v136, 29, v64
	v_dual_lshlrev_b32 v186, 28, v64 :: v_dual_lshlrev_b32 v187, 27, v64
	v_lshlrev_b32_e32 v188, 26, v64
	s_delay_alu instid0(VALU_DEP_3)
	v_not_b32_e32 v65, v136
	v_lshlrev_b32_e32 v189, 25, v64
	v_cmp_gt_i32_e64 s18, 0, v136
	v_cmp_gt_i32_e64 s19, 0, v186
	v_not_b32_e32 v136, v186
	v_not_b32_e32 v186, v187
	v_ashrrev_i32_e32 v65, 31, v65
	v_cmp_gt_i32_e64 s20, 0, v187
	v_cmp_gt_i32_e64 s21, 0, v188
	v_not_b32_e32 v187, v188
	v_not_b32_e32 v188, v189
	v_dual_ashrrev_i32 v136, 31, v136 :: v_dual_ashrrev_i32 v186, 31, v186
	v_xor_b32_e32 v63, s17, v63
	s_delay_alu instid0(VALU_DEP_4)
	v_dual_ashrrev_i32 v187, 31, v187 :: v_dual_bitop2_b32 v65, s18, v65 bitop3:0x14
	v_cmp_gt_i32_e64 s22, 0, v189
	v_ashrrev_i32_e32 v188, 31, v188
	v_xor_b32_e32 v136, s19, v136
	v_xor_b32_e32 v186, s20, v186
	v_bitop3_b32 v62, v62, v65, v63 bitop3:0x80
	v_mad_u32_u24 v63, v64, 36, v114
	v_xor_b32_e32 v65, s21, v187
	v_xor_b32_e32 v187, s22, v188
	s_delay_alu instid0(VALU_DEP_4) | instskip(SKIP_3) | instid1(VALU_DEP_2)
	v_bitop3_b32 v62, v62, v186, v136 bitop3:0x80
	ds_load_b32 v136, v63 offset:544
	v_mul_u32_u24_e32 v63, 36, v64
	; wave barrier
	v_bitop3_b32 v62, v62, v187, v65 bitop3:0x80
	v_add_nc_u32_e32 v187, v114, v63
	s_delay_alu instid0(VALU_DEP_2) | instskip(SKIP_1) | instid1(VALU_DEP_2)
	v_mbcnt_lo_u32_b32 v186, v62, 0
	v_cmp_ne_u32_e64 s17, 0, v62
	v_cmp_eq_u32_e32 vcc_lo, 0, v186
	s_and_b32 s18, s17, vcc_lo
	s_delay_alu instid0(SALU_CYCLE_1)
	s_and_saveexec_b32 s17, s18
	s_cbranch_execz .LBB391_151
; %bb.150:                              ;   in Loop: Header=BB391_100 Depth=2
	s_wait_dscnt 0x0
	v_bcnt_u32_b32 v62, v62, v136
	ds_store_b32 v187, v62 offset:544
.LBB391_151:                            ;   in Loop: Header=BB391_100 Depth=2
	s_or_b32 exec_lo, exec_lo, s17
	v_bfe_u32 v62, v135, 16, 8
	; wave barrier
	s_delay_alu instid0(VALU_DEP_1) | instskip(NEXT) | instid1(VALU_DEP_1)
	v_lshrrev_b32_e32 v62, s48, v62
	v_and_b32_e32 v64, s58, v62
	s_delay_alu instid0(VALU_DEP_1) | instskip(SKIP_1) | instid1(VALU_DEP_1)
	v_lshlrev_b32_e32 v65, 30, v64
	v_bitop3_b32 v63, v62, 1, s58 bitop3:0x80
	v_add_co_u32 v62, s17, v63, -1
	s_delay_alu instid0(VALU_DEP_1) | instskip(NEXT) | instid1(VALU_DEP_4)
	v_cndmask_b32_e64 v63, 0, 1, s17
	v_cmp_gt_i32_e64 s17, 0, v65
	s_delay_alu instid0(VALU_DEP_2) | instskip(SKIP_2) | instid1(VALU_DEP_2)
	v_cmp_ne_u32_e32 vcc_lo, 0, v63
	v_not_b32_e32 v63, v65
	v_bitop3_b32 v62, vcc_lo, exec_lo, v62 bitop3:0x48
	v_dual_ashrrev_i32 v63, 31, v63 :: v_dual_lshlrev_b32 v188, 29, v64
	v_dual_lshlrev_b32 v189, 28, v64 :: v_dual_lshlrev_b32 v190, 27, v64
	v_lshlrev_b32_e32 v191, 26, v64
	s_delay_alu instid0(VALU_DEP_3)
	v_not_b32_e32 v65, v188
	v_lshlrev_b32_e32 v192, 25, v64
	v_cmp_gt_i32_e64 s18, 0, v188
	v_cmp_gt_i32_e64 s19, 0, v189
	v_not_b32_e32 v188, v189
	v_not_b32_e32 v189, v190
	v_ashrrev_i32_e32 v65, 31, v65
	v_cmp_gt_i32_e64 s20, 0, v190
	v_cmp_gt_i32_e64 s21, 0, v191
	v_not_b32_e32 v190, v191
	v_dual_ashrrev_i32 v188, 31, v188 :: v_dual_ashrrev_i32 v189, 31, v189
	v_xor_b32_e32 v63, s17, v63
	v_not_b32_e32 v191, v192
	s_delay_alu instid0(VALU_DEP_4) | instskip(NEXT) | instid1(VALU_DEP_4)
	v_dual_ashrrev_i32 v190, 31, v190 :: v_dual_bitop2_b32 v65, s18, v65 bitop3:0x14
	v_xor_b32_e32 v188, s19, v188
	v_xor_b32_e32 v189, s20, v189
	v_cmp_gt_i32_e32 vcc_lo, 0, v192
	s_delay_alu instid0(VALU_DEP_4) | instskip(SKIP_3) | instid1(VALU_DEP_4)
	v_bitop3_b32 v62, v62, v65, v63 bitop3:0x80
	v_ashrrev_i32_e32 v63, 31, v191
	v_mad_u32_u24 v65, v64, 36, v114
	v_xor_b32_e32 v190, s21, v190
	v_bitop3_b32 v62, v62, v189, v188 bitop3:0x80
	s_delay_alu instid0(VALU_DEP_4) | instskip(SKIP_3) | instid1(VALU_DEP_2)
	v_xor_b32_e32 v63, vcc_lo, v63
	ds_load_b32 v188, v65 offset:544
	; wave barrier
	v_bitop3_b32 v62, v62, v63, v190 bitop3:0x80
	v_mul_u32_u24_e32 v63, 36, v64
	v_mbcnt_lo_u32_b32 v189, v62, 0
	v_cmp_ne_u32_e64 s17, 0, v62
	s_delay_alu instid0(VALU_DEP_3) | instskip(NEXT) | instid1(VALU_DEP_3)
	v_add_nc_u32_e32 v191, v114, v63
	v_cmp_eq_u32_e32 vcc_lo, 0, v189
	s_and_b32 s18, s17, vcc_lo
	s_delay_alu instid0(SALU_CYCLE_1)
	s_and_saveexec_b32 s17, s18
	s_cbranch_execz .LBB391_153
; %bb.152:                              ;   in Loop: Header=BB391_100 Depth=2
	s_wait_dscnt 0x0
	v_bcnt_u32_b32 v62, v62, v188
	ds_store_b32 v191, v62 offset:544
.LBB391_153:                            ;   in Loop: Header=BB391_100 Depth=2
	s_or_b32 exec_lo, exec_lo, s17
	v_lshrrev_b32_e32 v190, 24, v135
	; wave barrier
	s_delay_alu instid0(VALU_DEP_1) | instskip(NEXT) | instid1(VALU_DEP_1)
	v_lshrrev_b32_e32 v62, s48, v190
	v_and_b32_e32 v64, s58, v62
	s_delay_alu instid0(VALU_DEP_1) | instskip(SKIP_3) | instid1(VALU_DEP_3)
	v_lshlrev_b32_e32 v65, 30, v64
	v_bitop3_b32 v63, v62, 1, s58 bitop3:0x80
	v_dual_lshlrev_b32 v192, 29, v64 :: v_dual_lshlrev_b32 v193, 28, v64
	v_dual_lshlrev_b32 v194, 27, v64 :: v_dual_lshlrev_b32 v195, 26, v64
	v_add_co_u32 v62, s17, v63, -1
	s_delay_alu instid0(VALU_DEP_1)
	v_cndmask_b32_e64 v63, 0, 1, s17
	v_cmp_gt_i32_e64 s17, 0, v65
	v_cmp_gt_i32_e64 s18, 0, v192
	;; [unrolled: 1-line block ×4, first 2 shown]
	v_cmp_ne_u32_e32 vcc_lo, 0, v63
	v_not_b32_e32 v63, v65
	v_not_b32_e32 v65, v192
	v_lshlrev_b32_e32 v196, 25, v64
	v_not_b32_e32 v192, v193
	v_not_b32_e32 v193, v194
	s_delay_alu instid0(VALU_DEP_4)
	v_dual_ashrrev_i32 v63, 31, v63 :: v_dual_ashrrev_i32 v65, 31, v65
	v_cmp_gt_i32_e64 s21, 0, v195
	v_not_b32_e32 v194, v195
	v_bitop3_b32 v62, vcc_lo, exec_lo, v62 bitop3:0x48
	v_dual_ashrrev_i32 v192, 31, v192 :: v_dual_ashrrev_i32 v193, 31, v193
	v_xor_b32_e32 v63, s17, v63
	s_delay_alu instid0(VALU_DEP_4) | instskip(SKIP_1) | instid1(VALU_DEP_4)
	v_dual_ashrrev_i32 v194, 31, v194 :: v_dual_bitop2_b32 v65, s18, v65 bitop3:0x14
	v_not_b32_e32 v195, v196
	v_xor_b32_e32 v192, s19, v192
	v_xor_b32_e32 v193, s20, v193
	s_delay_alu instid0(VALU_DEP_4)
	v_bitop3_b32 v62, v62, v65, v63 bitop3:0x80
	v_cmp_gt_i32_e32 vcc_lo, 0, v196
	v_ashrrev_i32_e32 v63, 31, v195
	v_mad_u32_u24 v65, v64, 36, v114
	v_xor_b32_e32 v194, s21, v194
	v_bitop3_b32 v62, v62, v193, v192 bitop3:0x80
	s_delay_alu instid0(VALU_DEP_4) | instskip(SKIP_3) | instid1(VALU_DEP_2)
	v_xor_b32_e32 v63, vcc_lo, v63
	ds_load_b32 v192, v65 offset:544
	; wave barrier
	v_bitop3_b32 v62, v62, v63, v194 bitop3:0x80
	v_mul_u32_u24_e32 v63, 36, v64
	v_mbcnt_lo_u32_b32 v193, v62, 0
	v_cmp_ne_u32_e64 s17, 0, v62
	s_delay_alu instid0(VALU_DEP_3) | instskip(NEXT) | instid1(VALU_DEP_3)
	v_add_nc_u32_e32 v194, v114, v63
	v_cmp_eq_u32_e32 vcc_lo, 0, v193
	s_and_b32 s18, s17, vcc_lo
	s_delay_alu instid0(SALU_CYCLE_1)
	s_and_saveexec_b32 s17, s18
	s_cbranch_execz .LBB391_155
; %bb.154:                              ;   in Loop: Header=BB391_100 Depth=2
	s_wait_dscnt 0x0
	v_bcnt_u32_b32 v62, v62, v192
	ds_store_b32 v194, v62 offset:544
.LBB391_155:                            ;   in Loop: Header=BB391_100 Depth=2
	s_or_b32 exec_lo, exec_lo, s17
	v_xor_b32_e32 v115, 0xffffff80, v115
	; wave barrier
	s_delay_alu instid0(VALU_DEP_1) | instskip(NEXT) | instid1(VALU_DEP_1)
	v_and_b32_e32 v62, 0xff, v115
	v_lshrrev_b32_e32 v62, s48, v62
	s_delay_alu instid0(VALU_DEP_1) | instskip(NEXT) | instid1(VALU_DEP_1)
	v_and_b32_e32 v64, s58, v62
	v_lshlrev_b32_e32 v65, 30, v64
	v_bitop3_b32 v63, v62, 1, s58 bitop3:0x80
	s_delay_alu instid0(VALU_DEP_1) | instskip(NEXT) | instid1(VALU_DEP_1)
	v_add_co_u32 v62, s17, v63, -1
	v_cndmask_b32_e64 v63, 0, 1, s17
	s_delay_alu instid0(VALU_DEP_4) | instskip(NEXT) | instid1(VALU_DEP_2)
	v_cmp_gt_i32_e64 s17, 0, v65
	v_cmp_ne_u32_e32 vcc_lo, 0, v63
	v_not_b32_e32 v63, v65
	v_bitop3_b32 v62, vcc_lo, exec_lo, v62 bitop3:0x48
	s_delay_alu instid0(VALU_DEP_2) | instskip(SKIP_2) | instid1(VALU_DEP_3)
	v_dual_ashrrev_i32 v63, 31, v63 :: v_dual_lshlrev_b32 v195, 29, v64
	v_dual_lshlrev_b32 v196, 28, v64 :: v_dual_lshlrev_b32 v197, 27, v64
	v_lshlrev_b32_e32 v198, 26, v64
	v_not_b32_e32 v65, v195
	v_lshlrev_b32_e32 v199, 25, v64
	v_cmp_gt_i32_e64 s18, 0, v195
	v_cmp_gt_i32_e64 s19, 0, v196
	v_not_b32_e32 v195, v196
	v_not_b32_e32 v196, v197
	v_ashrrev_i32_e32 v65, 31, v65
	v_cmp_gt_i32_e64 s20, 0, v197
	v_cmp_gt_i32_e64 s21, 0, v198
	v_not_b32_e32 v197, v198
	v_not_b32_e32 v198, v199
	v_dual_ashrrev_i32 v195, 31, v195 :: v_dual_ashrrev_i32 v196, 31, v196
	s_delay_alu instid0(VALU_DEP_3) | instskip(NEXT) | instid1(VALU_DEP_3)
	v_dual_ashrrev_i32 v197, 31, v197 :: v_dual_bitop2_b32 v63, s17, v63 bitop3:0x14
	v_dual_ashrrev_i32 v198, 31, v198 :: v_dual_bitop2_b32 v65, s18, v65 bitop3:0x14
	v_cmp_gt_i32_e64 s22, 0, v199
	s_delay_alu instid0(VALU_DEP_4) | instskip(SKIP_1) | instid1(VALU_DEP_4)
	v_xor_b32_e32 v195, s19, v195
	v_xor_b32_e32 v196, s20, v196
	v_bitop3_b32 v62, v62, v65, v63 bitop3:0x80
	v_mad_u32_u24 v63, v64, 36, v114
	v_xor_b32_e32 v65, s21, v197
	v_xor_b32_e32 v197, s22, v198
	s_delay_alu instid0(VALU_DEP_4) | instskip(SKIP_3) | instid1(VALU_DEP_2)
	v_bitop3_b32 v62, v62, v196, v195 bitop3:0x80
	ds_load_b32 v195, v63 offset:544
	v_mul_u32_u24_e32 v63, 36, v64
	; wave barrier
	v_bitop3_b32 v62, v62, v197, v65 bitop3:0x80
	v_add_nc_u32_e32 v197, v114, v63
	s_delay_alu instid0(VALU_DEP_2) | instskip(SKIP_1) | instid1(VALU_DEP_2)
	v_mbcnt_lo_u32_b32 v196, v62, 0
	v_cmp_ne_u32_e64 s17, 0, v62
	v_cmp_eq_u32_e32 vcc_lo, 0, v196
	s_and_b32 s18, s17, vcc_lo
	s_delay_alu instid0(SALU_CYCLE_1)
	s_and_saveexec_b32 s17, s18
	s_cbranch_execz .LBB391_157
; %bb.156:                              ;   in Loop: Header=BB391_100 Depth=2
	s_wait_dscnt 0x0
	v_bcnt_u32_b32 v62, v62, v195
	ds_store_b32 v197, v62 offset:544
.LBB391_157:                            ;   in Loop: Header=BB391_100 Depth=2
	s_or_b32 exec_lo, exec_lo, s17
	; wave barrier
	s_wait_dscnt 0x0
	s_barrier_signal -1
	s_barrier_wait -1
	ds_load_2addr_b32 v[64:65], v90 offset0:136 offset1:137
	ds_load_2addr_b32 v[62:63], v90 offset0:138 offset1:139
	ds_load_b32 v198, v90 offset:560
	s_wait_dscnt 0x1
	v_add3_u32 v199, v65, v64, v62
	s_wait_dscnt 0x0
	s_delay_alu instid0(VALU_DEP_1) | instskip(NEXT) | instid1(VALU_DEP_1)
	v_add3_u32 v198, v199, v63, v198
	v_mov_b32_dpp v199, v198 row_shr:1 row_mask:0xf bank_mask:0xf
	s_delay_alu instid0(VALU_DEP_1) | instskip(NEXT) | instid1(VALU_DEP_1)
	v_cndmask_b32_e64 v199, v199, 0, s8
	v_add_nc_u32_e32 v198, v199, v198
	s_delay_alu instid0(VALU_DEP_1) | instskip(NEXT) | instid1(VALU_DEP_1)
	v_mov_b32_dpp v199, v198 row_shr:2 row_mask:0xf bank_mask:0xf
	v_cndmask_b32_e64 v199, 0, v199, s9
	s_delay_alu instid0(VALU_DEP_1) | instskip(NEXT) | instid1(VALU_DEP_1)
	v_add_nc_u32_e32 v198, v198, v199
	v_mov_b32_dpp v199, v198 row_shr:4 row_mask:0xf bank_mask:0xf
	s_delay_alu instid0(VALU_DEP_1) | instskip(NEXT) | instid1(VALU_DEP_1)
	v_cndmask_b32_e64 v199, 0, v199, s10
	v_add_nc_u32_e32 v198, v198, v199
	s_delay_alu instid0(VALU_DEP_1) | instskip(NEXT) | instid1(VALU_DEP_1)
	v_mov_b32_dpp v199, v198 row_shr:8 row_mask:0xf bank_mask:0xf
	v_cndmask_b32_e64 v199, 0, v199, s11
	s_delay_alu instid0(VALU_DEP_1) | instskip(SKIP_3) | instid1(VALU_DEP_1)
	v_add_nc_u32_e32 v198, v198, v199
	ds_swizzle_b32 v199, v198 offset:swizzle(BROADCAST,32,15)
	s_wait_dscnt 0x0
	v_cndmask_b32_e64 v199, v199, 0, s12
	v_add_nc_u32_e32 v198, v198, v199
	s_and_saveexec_b32 s17, s2
; %bb.158:                              ;   in Loop: Header=BB391_100 Depth=2
	ds_store_b32 v83, v198 offset:512
; %bb.159:                              ;   in Loop: Header=BB391_100 Depth=2
	s_or_b32 exec_lo, exec_lo, s17
	s_wait_dscnt 0x0
	s_barrier_signal -1
	s_barrier_wait -1
	s_and_saveexec_b32 s17, s3
	s_cbranch_execz .LBB391_161
; %bb.160:                              ;   in Loop: Header=BB391_100 Depth=2
	ds_load_b32 v199, v92 offset:512
	s_wait_dscnt 0x0
	v_mov_b32_dpp v200, v199 row_shr:1 row_mask:0xf bank_mask:0xf
	s_delay_alu instid0(VALU_DEP_1) | instskip(NEXT) | instid1(VALU_DEP_1)
	v_cndmask_b32_e64 v200, v200, 0, s14
	v_add_nc_u32_e32 v199, v200, v199
	s_delay_alu instid0(VALU_DEP_1) | instskip(NEXT) | instid1(VALU_DEP_1)
	v_mov_b32_dpp v200, v199 row_shr:2 row_mask:0xf bank_mask:0xf
	v_cndmask_b32_e64 v200, 0, v200, s15
	s_delay_alu instid0(VALU_DEP_1) | instskip(NEXT) | instid1(VALU_DEP_1)
	v_add_nc_u32_e32 v199, v199, v200
	v_mov_b32_dpp v200, v199 row_shr:4 row_mask:0xf bank_mask:0xf
	s_delay_alu instid0(VALU_DEP_1) | instskip(NEXT) | instid1(VALU_DEP_1)
	v_cndmask_b32_e64 v200, 0, v200, s16
	v_add_nc_u32_e32 v199, v199, v200
	ds_store_b32 v92, v199 offset:512
.LBB391_161:                            ;   in Loop: Header=BB391_100 Depth=2
	s_or_b32 exec_lo, exec_lo, s17
	v_mov_b32_e32 v199, 0
	s_wait_dscnt 0x0
	s_barrier_signal -1
	s_barrier_wait -1
	s_and_saveexec_b32 s17, s5
; %bb.162:                              ;   in Loop: Header=BB391_100 Depth=2
	ds_load_b32 v199, v83 offset:508
; %bb.163:                              ;   in Loop: Header=BB391_100 Depth=2
	s_or_b32 exec_lo, exec_lo, s17
	s_wait_dscnt 0x0
	v_add_nc_u32_e32 v198, v199, v198
	ds_bpermute_b32 v198, v96, v198
	s_wait_dscnt 0x0
	v_cndmask_b32_e64 v198, v198, v199, s13
	s_delay_alu instid0(VALU_DEP_1) | instskip(NEXT) | instid1(VALU_DEP_1)
	v_cndmask_b32_e64 v198, v198, 0, s6
	v_add_nc_u32_e32 v64, v198, v64
	s_delay_alu instid0(VALU_DEP_1) | instskip(NEXT) | instid1(VALU_DEP_1)
	v_add_nc_u32_e32 v65, v64, v65
	v_add_nc_u32_e32 v62, v65, v62
	s_delay_alu instid0(VALU_DEP_1)
	v_add_nc_u32_e32 v63, v62, v63
	ds_store_2addr_b32 v90, v198, v64 offset0:136 offset1:137
	ds_store_2addr_b32 v90, v65, v62 offset0:138 offset1:139
	ds_store_b32 v90, v63 offset:560
	s_wait_dscnt 0x0
	s_barrier_signal -1
	s_barrier_wait -1
	ds_load_b32 v62, v149 offset:544
	ds_load_b32 v63, v152 offset:544
	;; [unrolled: 1-line block ×17, first 2 shown]
	s_and_saveexec_b32 s17, s0
	s_cbranch_execz .LBB391_167
; %bb.164:                              ;   in Loop: Header=BB391_100 Depth=2
	v_dual_mov_b32 v134, 0x1100 :: v_dual_add_nc_u32 v133, v92, v94
	ds_load_b32 v133, v133 offset:544
	s_and_saveexec_b32 s18, s7
; %bb.165:                              ;   in Loop: Header=BB391_100 Depth=2
	ds_load_b32 v134, v93 offset:544
; %bb.166:                              ;   in Loop: Header=BB391_100 Depth=2
	s_or_b32 exec_lo, exec_lo, s18
	s_wait_dscnt 0x0
	v_sub_nc_u32_e32 v134, v134, v133
.LBB391_167:                            ;   in Loop: Header=BB391_100 Depth=2
	s_or_b32 exec_lo, exec_lo, s17
	v_dual_lshrrev_b32 v202, 8, v148 :: v_dual_lshrrev_b32 v203, 16, v148
	v_dual_lshrrev_b32 v200, 8, v143 :: v_dual_lshrrev_b32 v201, 16, v143
	;; [unrolled: 1-line block ×4, first 2 shown]
	s_wait_dscnt 0x0
	s_barrier_signal -1
	s_barrier_wait -1
	s_and_saveexec_b32 s17, s0
	s_cbranch_execz .LBB391_169
; %bb.168:                              ;   in Loop: Header=BB391_100 Depth=2
	ds_load_b32 v135, v66
	s_wait_dscnt 0x0
	v_sub_nc_u32_e32 v135, v135, v133
	ds_store_b32 v66, v135
.LBB391_169:                            ;   in Loop: Header=BB391_100 Depth=2
	s_or_b32 exec_lo, exec_lo, s17
	v_add_nc_u32_e32 v156, v62, v146
	v_add3_u32 v152, v151, v150, v63
	v_add3_u32 v151, v154, v153, v64
	;; [unrolled: 1-line block ×16, first 2 shown]
	v_cmp_lt_u32_e32 vcc_lo, v2, v137
	ds_store_b8 v156, v147 offset:512
	ds_store_b8 v152, v202 offset:512
	;; [unrolled: 1-line block ×17, first 2 shown]
	s_wait_dscnt 0x0
	s_barrier_signal -1
	s_barrier_wait -1
	s_and_saveexec_b32 s17, vcc_lo
	s_cbranch_execnz .LBB391_242
; %bb.170:                              ;   in Loop: Header=BB391_100 Depth=2
	s_or_b32 exec_lo, exec_lo, s17
	v_cmp_lt_u32_e64 s17, v67, v137
	s_and_saveexec_b32 s18, s17
	s_cbranch_execnz .LBB391_243
.LBB391_171:                            ;   in Loop: Header=BB391_100 Depth=2
	s_or_b32 exec_lo, exec_lo, s18
	v_cmp_lt_u32_e64 s18, v68, v137
	s_and_saveexec_b32 s19, s18
	s_cbranch_execnz .LBB391_244
.LBB391_172:                            ;   in Loop: Header=BB391_100 Depth=2
	s_or_b32 exec_lo, exec_lo, s19
	v_cmp_lt_u32_e64 s19, v69, v137
	s_and_saveexec_b32 s20, s19
	s_cbranch_execnz .LBB391_245
.LBB391_173:                            ;   in Loop: Header=BB391_100 Depth=2
	s_or_b32 exec_lo, exec_lo, s20
	v_cmp_lt_u32_e64 s20, v70, v137
	s_and_saveexec_b32 s21, s20
	s_cbranch_execnz .LBB391_246
.LBB391_174:                            ;   in Loop: Header=BB391_100 Depth=2
	s_or_b32 exec_lo, exec_lo, s21
	v_cmp_lt_u32_e64 s21, v71, v137
	s_and_saveexec_b32 s22, s21
	s_cbranch_execnz .LBB391_247
.LBB391_175:                            ;   in Loop: Header=BB391_100 Depth=2
	s_or_b32 exec_lo, exec_lo, s22
	v_cmp_lt_u32_e64 s22, v72, v137
	s_and_saveexec_b32 s23, s22
	s_cbranch_execnz .LBB391_248
.LBB391_176:                            ;   in Loop: Header=BB391_100 Depth=2
	s_or_b32 exec_lo, exec_lo, s23
	v_cmp_lt_u32_e64 s23, v73, v137
	s_and_saveexec_b32 s24, s23
	s_cbranch_execnz .LBB391_249
.LBB391_177:                            ;   in Loop: Header=BB391_100 Depth=2
	s_or_b32 exec_lo, exec_lo, s24
	v_cmp_lt_u32_e64 s24, v74, v137
	s_and_saveexec_b32 s25, s24
	s_cbranch_execnz .LBB391_250
.LBB391_178:                            ;   in Loop: Header=BB391_100 Depth=2
	s_or_b32 exec_lo, exec_lo, s25
	v_cmp_lt_u32_e64 s25, v75, v137
	s_and_saveexec_b32 s26, s25
	s_cbranch_execnz .LBB391_251
.LBB391_179:                            ;   in Loop: Header=BB391_100 Depth=2
	s_or_b32 exec_lo, exec_lo, s26
	v_cmp_lt_u32_e64 s26, v76, v137
	s_and_saveexec_b32 s27, s26
	s_cbranch_execnz .LBB391_252
.LBB391_180:                            ;   in Loop: Header=BB391_100 Depth=2
	s_or_b32 exec_lo, exec_lo, s27
	v_cmp_lt_u32_e64 s27, v77, v137
	s_and_saveexec_b32 s28, s27
	s_cbranch_execnz .LBB391_253
.LBB391_181:                            ;   in Loop: Header=BB391_100 Depth=2
	s_or_b32 exec_lo, exec_lo, s28
	v_cmp_lt_u32_e64 s28, v78, v137
	s_and_saveexec_b32 s29, s28
	s_cbranch_execnz .LBB391_254
.LBB391_182:                            ;   in Loop: Header=BB391_100 Depth=2
	s_or_b32 exec_lo, exec_lo, s29
	v_cmp_lt_u32_e64 s29, v79, v137
	s_and_saveexec_b32 s30, s29
	s_cbranch_execnz .LBB391_255
.LBB391_183:                            ;   in Loop: Header=BB391_100 Depth=2
	s_or_b32 exec_lo, exec_lo, s30
	v_cmp_lt_u32_e64 s30, v80, v137
	s_and_saveexec_b32 s31, s30
	s_cbranch_execnz .LBB391_256
.LBB391_184:                            ;   in Loop: Header=BB391_100 Depth=2
	s_or_b32 exec_lo, exec_lo, s31
	v_cmp_lt_u32_e64 s31, v81, v137
	s_and_saveexec_b32 s33, s31
	s_cbranch_execnz .LBB391_257
.LBB391_185:                            ;   in Loop: Header=BB391_100 Depth=2
	s_or_b32 exec_lo, exec_lo, s33
	v_cmp_lt_u32_e64 s33, v82, v137
	s_and_saveexec_b32 s61, s33
	s_cbranch_execz .LBB391_187
.LBB391_186:                            ;   in Loop: Header=BB391_100 Depth=2
	ds_load_u8 v62, v2 offset:4608
	s_wait_dscnt 0x0
	v_and_b32_e32 v63, 0xff, v62
	v_xor_b32_e32 v62, 0x80, v62
	s_delay_alu instid0(VALU_DEP_2) | instskip(NEXT) | instid1(VALU_DEP_1)
	v_lshrrev_b32_e32 v63, s48, v63
	v_and_b32_e32 v63, s58, v63
	s_delay_alu instid0(VALU_DEP_1)
	v_lshlrev_b32_e32 v63, 2, v63
	ds_load_b32 v63, v63
	s_wait_dscnt 0x0
	v_add_nc_u32_e32 v63, v63, v82
	global_store_b8 v63, v62, s[38:39]
.LBB391_187:                            ;   in Loop: Header=BB391_100 Depth=2
	s_wait_xcnt 0x0
	s_or_b32 exec_lo, exec_lo, s61
	v_lshl_add_u64 v[62:63], s[34:35], 3, v[26:27]
	v_cmp_lt_u32_e64 s34, v97, v137
	s_and_saveexec_b32 s61, s34
	s_delay_alu instid0(SALU_CYCLE_1)
	s_xor_b32 s34, exec_lo, s61
	s_cbranch_execnz .LBB391_258
; %bb.188:                              ;   in Loop: Header=BB391_100 Depth=2
	s_or_b32 exec_lo, exec_lo, s34
	s_delay_alu instid0(SALU_CYCLE_1)
	s_mov_b32 s61, exec_lo
	v_cmpx_lt_u32_e64 v98, v137
	s_cbranch_execnz .LBB391_259
.LBB391_189:                            ;   in Loop: Header=BB391_100 Depth=2
	s_or_b32 exec_lo, exec_lo, s61
	s_delay_alu instid0(SALU_CYCLE_1)
	s_mov_b32 s61, exec_lo
	v_cmpx_lt_u32_e64 v99, v137
	s_cbranch_execnz .LBB391_260
.LBB391_190:                            ;   in Loop: Header=BB391_100 Depth=2
	s_or_b32 exec_lo, exec_lo, s61
	s_delay_alu instid0(SALU_CYCLE_1)
	s_mov_b32 s61, exec_lo
	v_cmpx_lt_u32_e64 v100, v137
	s_cbranch_execnz .LBB391_261
.LBB391_191:                            ;   in Loop: Header=BB391_100 Depth=2
	s_or_b32 exec_lo, exec_lo, s61
	s_delay_alu instid0(SALU_CYCLE_1)
	s_mov_b32 s61, exec_lo
	v_cmpx_lt_u32_e64 v101, v137
	s_cbranch_execnz .LBB391_262
.LBB391_192:                            ;   in Loop: Header=BB391_100 Depth=2
	s_or_b32 exec_lo, exec_lo, s61
	s_delay_alu instid0(SALU_CYCLE_1)
	s_mov_b32 s61, exec_lo
	v_cmpx_lt_u32_e64 v102, v137
	s_cbranch_execnz .LBB391_263
.LBB391_193:                            ;   in Loop: Header=BB391_100 Depth=2
	s_or_b32 exec_lo, exec_lo, s61
	s_delay_alu instid0(SALU_CYCLE_1)
	s_mov_b32 s61, exec_lo
	v_cmpx_lt_u32_e64 v103, v137
	s_cbranch_execnz .LBB391_264
.LBB391_194:                            ;   in Loop: Header=BB391_100 Depth=2
	s_or_b32 exec_lo, exec_lo, s61
	s_delay_alu instid0(SALU_CYCLE_1)
	s_mov_b32 s61, exec_lo
	v_cmpx_lt_u32_e64 v104, v137
	s_cbranch_execnz .LBB391_265
.LBB391_195:                            ;   in Loop: Header=BB391_100 Depth=2
	s_or_b32 exec_lo, exec_lo, s61
	s_delay_alu instid0(SALU_CYCLE_1)
	s_mov_b32 s61, exec_lo
	v_cmpx_lt_u32_e64 v105, v137
	s_cbranch_execnz .LBB391_266
.LBB391_196:                            ;   in Loop: Header=BB391_100 Depth=2
	s_or_b32 exec_lo, exec_lo, s61
	s_delay_alu instid0(SALU_CYCLE_1)
	s_mov_b32 s61, exec_lo
	v_cmpx_lt_u32_e64 v106, v137
	s_cbranch_execnz .LBB391_267
.LBB391_197:                            ;   in Loop: Header=BB391_100 Depth=2
	s_or_b32 exec_lo, exec_lo, s61
	s_delay_alu instid0(SALU_CYCLE_1)
	s_mov_b32 s61, exec_lo
	v_cmpx_lt_u32_e64 v107, v137
	s_cbranch_execnz .LBB391_268
.LBB391_198:                            ;   in Loop: Header=BB391_100 Depth=2
	s_or_b32 exec_lo, exec_lo, s61
	s_delay_alu instid0(SALU_CYCLE_1)
	s_mov_b32 s61, exec_lo
	v_cmpx_lt_u32_e64 v108, v137
	s_cbranch_execnz .LBB391_269
.LBB391_199:                            ;   in Loop: Header=BB391_100 Depth=2
	s_or_b32 exec_lo, exec_lo, s61
	s_delay_alu instid0(SALU_CYCLE_1)
	s_mov_b32 s61, exec_lo
	v_cmpx_lt_u32_e64 v109, v137
	s_cbranch_execnz .LBB391_270
.LBB391_200:                            ;   in Loop: Header=BB391_100 Depth=2
	s_or_b32 exec_lo, exec_lo, s61
	s_delay_alu instid0(SALU_CYCLE_1)
	s_mov_b32 s61, exec_lo
	v_cmpx_lt_u32_e64 v110, v137
	s_cbranch_execnz .LBB391_271
.LBB391_201:                            ;   in Loop: Header=BB391_100 Depth=2
	s_or_b32 exec_lo, exec_lo, s61
	s_delay_alu instid0(SALU_CYCLE_1)
	s_mov_b32 s61, exec_lo
	v_cmpx_lt_u32_e64 v111, v137
	s_cbranch_execnz .LBB391_272
.LBB391_202:                            ;   in Loop: Header=BB391_100 Depth=2
	s_or_b32 exec_lo, exec_lo, s61
	s_delay_alu instid0(SALU_CYCLE_1)
	s_mov_b32 s61, exec_lo
	v_cmpx_lt_u32_e64 v112, v137
	s_cbranch_execnz .LBB391_273
.LBB391_203:                            ;   in Loop: Header=BB391_100 Depth=2
	s_or_b32 exec_lo, exec_lo, s61
	s_delay_alu instid0(SALU_CYCLE_1)
	s_mov_b32 s61, exec_lo
	v_cmpx_lt_u32_e64 v113, v137
	s_cbranch_execnz .LBB391_274
.LBB391_204:                            ;   in Loop: Header=BB391_100 Depth=2
	s_or_b32 exec_lo, exec_lo, s61
	s_and_saveexec_b32 s34, vcc_lo
	s_cbranch_execnz .LBB391_275
.LBB391_205:                            ;   in Loop: Header=BB391_100 Depth=2
	s_or_b32 exec_lo, exec_lo, s34
	s_and_saveexec_b32 s34, s17
	s_cbranch_execnz .LBB391_276
.LBB391_206:                            ;   in Loop: Header=BB391_100 Depth=2
	s_or_b32 exec_lo, exec_lo, s34
	s_and_saveexec_b32 s34, s18
	s_cbranch_execnz .LBB391_277
.LBB391_207:                            ;   in Loop: Header=BB391_100 Depth=2
	s_or_b32 exec_lo, exec_lo, s34
	s_and_saveexec_b32 s34, s19
	s_cbranch_execnz .LBB391_278
.LBB391_208:                            ;   in Loop: Header=BB391_100 Depth=2
	s_or_b32 exec_lo, exec_lo, s34
	s_and_saveexec_b32 s34, s20
	s_cbranch_execnz .LBB391_279
.LBB391_209:                            ;   in Loop: Header=BB391_100 Depth=2
	s_or_b32 exec_lo, exec_lo, s34
	s_and_saveexec_b32 s34, s21
	s_cbranch_execnz .LBB391_280
.LBB391_210:                            ;   in Loop: Header=BB391_100 Depth=2
	s_or_b32 exec_lo, exec_lo, s34
	s_and_saveexec_b32 s34, s22
	s_cbranch_execnz .LBB391_281
.LBB391_211:                            ;   in Loop: Header=BB391_100 Depth=2
	s_or_b32 exec_lo, exec_lo, s34
	s_and_saveexec_b32 s34, s23
	s_cbranch_execnz .LBB391_282
.LBB391_212:                            ;   in Loop: Header=BB391_100 Depth=2
	s_or_b32 exec_lo, exec_lo, s34
	s_and_saveexec_b32 s34, s24
	s_cbranch_execnz .LBB391_283
.LBB391_213:                            ;   in Loop: Header=BB391_100 Depth=2
	s_or_b32 exec_lo, exec_lo, s34
	s_and_saveexec_b32 s34, s25
	s_cbranch_execnz .LBB391_284
.LBB391_214:                            ;   in Loop: Header=BB391_100 Depth=2
	s_or_b32 exec_lo, exec_lo, s34
	s_and_saveexec_b32 s34, s26
	s_cbranch_execnz .LBB391_285
.LBB391_215:                            ;   in Loop: Header=BB391_100 Depth=2
	s_or_b32 exec_lo, exec_lo, s34
	s_and_saveexec_b32 s34, s27
	s_cbranch_execnz .LBB391_286
.LBB391_216:                            ;   in Loop: Header=BB391_100 Depth=2
	s_or_b32 exec_lo, exec_lo, s34
	s_and_saveexec_b32 s34, s28
	s_cbranch_execnz .LBB391_287
.LBB391_217:                            ;   in Loop: Header=BB391_100 Depth=2
	s_or_b32 exec_lo, exec_lo, s34
	s_and_saveexec_b32 s34, s29
	s_cbranch_execnz .LBB391_288
.LBB391_218:                            ;   in Loop: Header=BB391_100 Depth=2
	s_or_b32 exec_lo, exec_lo, s34
	s_and_saveexec_b32 s34, s30
	s_cbranch_execnz .LBB391_289
.LBB391_219:                            ;   in Loop: Header=BB391_100 Depth=2
	s_or_b32 exec_lo, exec_lo, s34
	s_and_saveexec_b32 s34, s31
	s_cbranch_execnz .LBB391_290
.LBB391_220:                            ;   in Loop: Header=BB391_100 Depth=2
	s_or_b32 exec_lo, exec_lo, s34
	s_and_saveexec_b32 s34, s33
	s_cbranch_execz .LBB391_222
.LBB391_221:                            ;   in Loop: Header=BB391_100 Depth=2
	ds_load_u8 v62, v2 offset:4608
	s_wait_dscnt 0x0
	v_lshrrev_b32_e32 v62, s48, v62
	s_delay_alu instid0(VALU_DEP_1)
	v_and_b32_e32 v116, s58, v62
.LBB391_222:                            ;   in Loop: Header=BB391_100 Depth=2
	s_or_b32 exec_lo, exec_lo, s34
	v_lshlrev_b32_e32 v62, 3, v156
	v_lshlrev_b32_e32 v63, 3, v152
	s_wait_loadcnt 0x0
	s_wait_storecnt 0x0
	s_barrier_signal -1
	s_barrier_wait -1
	ds_store_b64 v62, v[60:61] offset:512
	ds_store_b64 v63, v[58:59] offset:512
	v_dual_lshlrev_b32 v62, 3, v151 :: v_dual_lshlrev_b32 v63, 3, v150
	v_dual_lshlrev_b32 v137, 3, v149 :: v_dual_lshlrev_b32 v138, 3, v148
	v_lshlrev_b32_e32 v142, 3, v146
	ds_store_b64 v62, v[56:57] offset:512
	ds_store_b64 v63, v[54:55] offset:512
	ds_store_b64 v137, v[52:53] offset:512
	ds_store_b64 v138, v[50:51] offset:512
	ds_store_b64 v142, v[48:49] offset:512
	v_dual_lshlrev_b32 v62, 3, v145 :: v_dual_lshlrev_b32 v63, 3, v144
	v_dual_lshlrev_b32 v137, 3, v143 :: v_dual_lshlrev_b32 v138, 3, v141
	v_lshlrev_b32_e32 v140, 3, v140
	ds_store_b64 v62, v[46:47] offset:512
	ds_store_b64 v63, v[44:45] offset:512
	ds_store_b64 v137, v[42:43] offset:512
	;; [unrolled: 8-line block ×3, first 2 shown]
	ds_store_b64 v65, v[30:31] offset:512
	ds_store_b64 v64, v[28:29] offset:512
	s_wait_dscnt 0x0
	s_barrier_signal -1
	s_barrier_wait -1
	s_and_saveexec_b32 s34, vcc_lo
	s_cbranch_execnz .LBB391_291
; %bb.223:                              ;   in Loop: Header=BB391_100 Depth=2
	s_or_b32 exec_lo, exec_lo, s34
	s_and_saveexec_b32 s34, s17
	s_cbranch_execnz .LBB391_292
.LBB391_224:                            ;   in Loop: Header=BB391_100 Depth=2
	s_or_b32 exec_lo, exec_lo, s34
	s_and_saveexec_b32 s17, s18
	s_cbranch_execnz .LBB391_293
.LBB391_225:                            ;   in Loop: Header=BB391_100 Depth=2
	s_or_b32 exec_lo, exec_lo, s17
	s_and_saveexec_b32 s17, s19
	s_cbranch_execnz .LBB391_294
.LBB391_226:                            ;   in Loop: Header=BB391_100 Depth=2
	s_or_b32 exec_lo, exec_lo, s17
	s_and_saveexec_b32 s17, s20
	s_cbranch_execnz .LBB391_295
.LBB391_227:                            ;   in Loop: Header=BB391_100 Depth=2
	s_or_b32 exec_lo, exec_lo, s17
	s_and_saveexec_b32 s17, s21
	s_cbranch_execnz .LBB391_296
.LBB391_228:                            ;   in Loop: Header=BB391_100 Depth=2
	s_or_b32 exec_lo, exec_lo, s17
	s_and_saveexec_b32 s17, s22
	s_cbranch_execnz .LBB391_297
.LBB391_229:                            ;   in Loop: Header=BB391_100 Depth=2
	s_or_b32 exec_lo, exec_lo, s17
	s_and_saveexec_b32 s17, s23
	s_cbranch_execnz .LBB391_298
.LBB391_230:                            ;   in Loop: Header=BB391_100 Depth=2
	s_or_b32 exec_lo, exec_lo, s17
	s_and_saveexec_b32 s17, s24
	s_cbranch_execnz .LBB391_299
.LBB391_231:                            ;   in Loop: Header=BB391_100 Depth=2
	s_or_b32 exec_lo, exec_lo, s17
	s_and_saveexec_b32 s17, s25
	s_cbranch_execnz .LBB391_300
.LBB391_232:                            ;   in Loop: Header=BB391_100 Depth=2
	s_or_b32 exec_lo, exec_lo, s17
	s_and_saveexec_b32 s17, s26
	s_cbranch_execnz .LBB391_301
.LBB391_233:                            ;   in Loop: Header=BB391_100 Depth=2
	s_or_b32 exec_lo, exec_lo, s17
	s_and_saveexec_b32 s17, s27
	s_cbranch_execnz .LBB391_302
.LBB391_234:                            ;   in Loop: Header=BB391_100 Depth=2
	s_or_b32 exec_lo, exec_lo, s17
	s_and_saveexec_b32 s17, s28
	s_cbranch_execnz .LBB391_303
.LBB391_235:                            ;   in Loop: Header=BB391_100 Depth=2
	s_or_b32 exec_lo, exec_lo, s17
	s_and_saveexec_b32 s17, s29
	s_cbranch_execnz .LBB391_304
.LBB391_236:                            ;   in Loop: Header=BB391_100 Depth=2
	s_or_b32 exec_lo, exec_lo, s17
	s_and_saveexec_b32 s17, s30
	s_cbranch_execnz .LBB391_305
.LBB391_237:                            ;   in Loop: Header=BB391_100 Depth=2
	s_or_b32 exec_lo, exec_lo, s17
	s_and_saveexec_b32 s17, s31
	s_cbranch_execnz .LBB391_306
.LBB391_238:                            ;   in Loop: Header=BB391_100 Depth=2
	s_or_b32 exec_lo, exec_lo, s17
	s_and_saveexec_b32 s17, s33
	s_cbranch_execz .LBB391_240
.LBB391_239:                            ;   in Loop: Header=BB391_100 Depth=2
	v_dual_lshlrev_b32 v62, 2, v116 :: v_dual_add_nc_u32 v63, v2, v95
	ds_load_b32 v64, v62
	ds_load_b64 v[62:63], v63 offset:33280
	s_wait_dscnt 0x1
	v_add_nc_u32_e32 v64, v64, v82
	s_wait_dscnt 0x0
	global_store_b64 v64, v[62:63], s[44:45] scale_offset
.LBB391_240:                            ;   in Loop: Header=BB391_100 Depth=2
	s_wait_xcnt 0x0
	s_or_b32 exec_lo, exec_lo, s17
	s_wait_storecnt 0x0
	s_barrier_signal -1
	s_barrier_wait -1
	s_and_saveexec_b32 s17, s0
	s_cbranch_execz .LBB391_99
; %bb.241:                              ;   in Loop: Header=BB391_100 Depth=2
	ds_load_b32 v62, v66
	s_wait_dscnt 0x0
	v_add3_u32 v62, v133, v134, v62
	ds_store_b32 v66, v62
	s_branch .LBB391_99
.LBB391_242:                            ;   in Loop: Header=BB391_100 Depth=2
	ds_load_u8 v62, v2 offset:512
	s_wait_dscnt 0x0
	v_and_b32_e32 v63, 0xff, v62
	v_xor_b32_e32 v62, 0x80, v62
	s_delay_alu instid0(VALU_DEP_2) | instskip(NEXT) | instid1(VALU_DEP_1)
	v_lshrrev_b32_e32 v63, s48, v63
	v_and_b32_e32 v63, s58, v63
	s_delay_alu instid0(VALU_DEP_1)
	v_lshlrev_b32_e32 v63, 2, v63
	ds_load_b32 v63, v63
	s_wait_dscnt 0x0
	v_add_nc_u32_e32 v63, v63, v2
	global_store_b8 v63, v62, s[38:39]
	s_wait_xcnt 0x0
	s_or_b32 exec_lo, exec_lo, s17
	v_cmp_lt_u32_e64 s17, v67, v137
	s_and_saveexec_b32 s18, s17
	s_cbranch_execz .LBB391_171
.LBB391_243:                            ;   in Loop: Header=BB391_100 Depth=2
	ds_load_u8 v62, v2 offset:768
	s_wait_dscnt 0x0
	v_and_b32_e32 v63, 0xff, v62
	v_xor_b32_e32 v62, 0x80, v62
	s_delay_alu instid0(VALU_DEP_2) | instskip(NEXT) | instid1(VALU_DEP_1)
	v_lshrrev_b32_e32 v63, s48, v63
	v_and_b32_e32 v63, s58, v63
	s_delay_alu instid0(VALU_DEP_1)
	v_lshlrev_b32_e32 v63, 2, v63
	ds_load_b32 v63, v63
	s_wait_dscnt 0x0
	v_add_nc_u32_e32 v63, v63, v67
	global_store_b8 v63, v62, s[38:39]
	s_wait_xcnt 0x0
	s_or_b32 exec_lo, exec_lo, s18
	v_cmp_lt_u32_e64 s18, v68, v137
	s_and_saveexec_b32 s19, s18
	s_cbranch_execz .LBB391_172
.LBB391_244:                            ;   in Loop: Header=BB391_100 Depth=2
	ds_load_u8 v62, v2 offset:1024
	s_wait_dscnt 0x0
	v_and_b32_e32 v63, 0xff, v62
	v_xor_b32_e32 v62, 0x80, v62
	s_delay_alu instid0(VALU_DEP_2) | instskip(NEXT) | instid1(VALU_DEP_1)
	v_lshrrev_b32_e32 v63, s48, v63
	v_and_b32_e32 v63, s58, v63
	s_delay_alu instid0(VALU_DEP_1)
	v_lshlrev_b32_e32 v63, 2, v63
	ds_load_b32 v63, v63
	s_wait_dscnt 0x0
	v_add_nc_u32_e32 v63, v63, v68
	global_store_b8 v63, v62, s[38:39]
	s_wait_xcnt 0x0
	s_or_b32 exec_lo, exec_lo, s19
	v_cmp_lt_u32_e64 s19, v69, v137
	s_and_saveexec_b32 s20, s19
	s_cbranch_execz .LBB391_173
.LBB391_245:                            ;   in Loop: Header=BB391_100 Depth=2
	ds_load_u8 v62, v2 offset:1280
	s_wait_dscnt 0x0
	v_and_b32_e32 v63, 0xff, v62
	v_xor_b32_e32 v62, 0x80, v62
	s_delay_alu instid0(VALU_DEP_2) | instskip(NEXT) | instid1(VALU_DEP_1)
	v_lshrrev_b32_e32 v63, s48, v63
	v_and_b32_e32 v63, s58, v63
	s_delay_alu instid0(VALU_DEP_1)
	v_lshlrev_b32_e32 v63, 2, v63
	ds_load_b32 v63, v63
	s_wait_dscnt 0x0
	v_add_nc_u32_e32 v63, v63, v69
	global_store_b8 v63, v62, s[38:39]
	s_wait_xcnt 0x0
	s_or_b32 exec_lo, exec_lo, s20
	v_cmp_lt_u32_e64 s20, v70, v137
	s_and_saveexec_b32 s21, s20
	s_cbranch_execz .LBB391_174
.LBB391_246:                            ;   in Loop: Header=BB391_100 Depth=2
	ds_load_u8 v62, v2 offset:1536
	s_wait_dscnt 0x0
	v_and_b32_e32 v63, 0xff, v62
	v_xor_b32_e32 v62, 0x80, v62
	s_delay_alu instid0(VALU_DEP_2) | instskip(NEXT) | instid1(VALU_DEP_1)
	v_lshrrev_b32_e32 v63, s48, v63
	v_and_b32_e32 v63, s58, v63
	s_delay_alu instid0(VALU_DEP_1)
	v_lshlrev_b32_e32 v63, 2, v63
	ds_load_b32 v63, v63
	s_wait_dscnt 0x0
	v_add_nc_u32_e32 v63, v63, v70
	global_store_b8 v63, v62, s[38:39]
	s_wait_xcnt 0x0
	s_or_b32 exec_lo, exec_lo, s21
	v_cmp_lt_u32_e64 s21, v71, v137
	s_and_saveexec_b32 s22, s21
	s_cbranch_execz .LBB391_175
.LBB391_247:                            ;   in Loop: Header=BB391_100 Depth=2
	ds_load_u8 v62, v2 offset:1792
	s_wait_dscnt 0x0
	v_and_b32_e32 v63, 0xff, v62
	v_xor_b32_e32 v62, 0x80, v62
	s_delay_alu instid0(VALU_DEP_2) | instskip(NEXT) | instid1(VALU_DEP_1)
	v_lshrrev_b32_e32 v63, s48, v63
	v_and_b32_e32 v63, s58, v63
	s_delay_alu instid0(VALU_DEP_1)
	v_lshlrev_b32_e32 v63, 2, v63
	ds_load_b32 v63, v63
	s_wait_dscnt 0x0
	v_add_nc_u32_e32 v63, v63, v71
	global_store_b8 v63, v62, s[38:39]
	s_wait_xcnt 0x0
	s_or_b32 exec_lo, exec_lo, s22
	v_cmp_lt_u32_e64 s22, v72, v137
	s_and_saveexec_b32 s23, s22
	s_cbranch_execz .LBB391_176
.LBB391_248:                            ;   in Loop: Header=BB391_100 Depth=2
	ds_load_u8 v62, v2 offset:2048
	s_wait_dscnt 0x0
	v_and_b32_e32 v63, 0xff, v62
	v_xor_b32_e32 v62, 0x80, v62
	s_delay_alu instid0(VALU_DEP_2) | instskip(NEXT) | instid1(VALU_DEP_1)
	v_lshrrev_b32_e32 v63, s48, v63
	v_and_b32_e32 v63, s58, v63
	s_delay_alu instid0(VALU_DEP_1)
	v_lshlrev_b32_e32 v63, 2, v63
	ds_load_b32 v63, v63
	s_wait_dscnt 0x0
	v_add_nc_u32_e32 v63, v63, v72
	global_store_b8 v63, v62, s[38:39]
	s_wait_xcnt 0x0
	s_or_b32 exec_lo, exec_lo, s23
	v_cmp_lt_u32_e64 s23, v73, v137
	s_and_saveexec_b32 s24, s23
	s_cbranch_execz .LBB391_177
.LBB391_249:                            ;   in Loop: Header=BB391_100 Depth=2
	ds_load_u8 v62, v2 offset:2304
	s_wait_dscnt 0x0
	v_and_b32_e32 v63, 0xff, v62
	v_xor_b32_e32 v62, 0x80, v62
	s_delay_alu instid0(VALU_DEP_2) | instskip(NEXT) | instid1(VALU_DEP_1)
	v_lshrrev_b32_e32 v63, s48, v63
	v_and_b32_e32 v63, s58, v63
	s_delay_alu instid0(VALU_DEP_1)
	v_lshlrev_b32_e32 v63, 2, v63
	ds_load_b32 v63, v63
	s_wait_dscnt 0x0
	v_add_nc_u32_e32 v63, v63, v73
	global_store_b8 v63, v62, s[38:39]
	s_wait_xcnt 0x0
	s_or_b32 exec_lo, exec_lo, s24
	v_cmp_lt_u32_e64 s24, v74, v137
	s_and_saveexec_b32 s25, s24
	s_cbranch_execz .LBB391_178
.LBB391_250:                            ;   in Loop: Header=BB391_100 Depth=2
	ds_load_u8 v62, v2 offset:2560
	s_wait_dscnt 0x0
	v_and_b32_e32 v63, 0xff, v62
	v_xor_b32_e32 v62, 0x80, v62
	s_delay_alu instid0(VALU_DEP_2) | instskip(NEXT) | instid1(VALU_DEP_1)
	v_lshrrev_b32_e32 v63, s48, v63
	v_and_b32_e32 v63, s58, v63
	s_delay_alu instid0(VALU_DEP_1)
	v_lshlrev_b32_e32 v63, 2, v63
	ds_load_b32 v63, v63
	s_wait_dscnt 0x0
	v_add_nc_u32_e32 v63, v63, v74
	global_store_b8 v63, v62, s[38:39]
	s_wait_xcnt 0x0
	s_or_b32 exec_lo, exec_lo, s25
	v_cmp_lt_u32_e64 s25, v75, v137
	s_and_saveexec_b32 s26, s25
	s_cbranch_execz .LBB391_179
.LBB391_251:                            ;   in Loop: Header=BB391_100 Depth=2
	ds_load_u8 v62, v2 offset:2816
	s_wait_dscnt 0x0
	v_and_b32_e32 v63, 0xff, v62
	v_xor_b32_e32 v62, 0x80, v62
	s_delay_alu instid0(VALU_DEP_2) | instskip(NEXT) | instid1(VALU_DEP_1)
	v_lshrrev_b32_e32 v63, s48, v63
	v_and_b32_e32 v63, s58, v63
	s_delay_alu instid0(VALU_DEP_1)
	v_lshlrev_b32_e32 v63, 2, v63
	ds_load_b32 v63, v63
	s_wait_dscnt 0x0
	v_add_nc_u32_e32 v63, v63, v75
	global_store_b8 v63, v62, s[38:39]
	s_wait_xcnt 0x0
	s_or_b32 exec_lo, exec_lo, s26
	v_cmp_lt_u32_e64 s26, v76, v137
	s_and_saveexec_b32 s27, s26
	s_cbranch_execz .LBB391_180
.LBB391_252:                            ;   in Loop: Header=BB391_100 Depth=2
	ds_load_u8 v62, v2 offset:3072
	s_wait_dscnt 0x0
	v_and_b32_e32 v63, 0xff, v62
	v_xor_b32_e32 v62, 0x80, v62
	s_delay_alu instid0(VALU_DEP_2) | instskip(NEXT) | instid1(VALU_DEP_1)
	v_lshrrev_b32_e32 v63, s48, v63
	v_and_b32_e32 v63, s58, v63
	s_delay_alu instid0(VALU_DEP_1)
	v_lshlrev_b32_e32 v63, 2, v63
	ds_load_b32 v63, v63
	s_wait_dscnt 0x0
	v_add_nc_u32_e32 v63, v63, v76
	global_store_b8 v63, v62, s[38:39]
	s_wait_xcnt 0x0
	s_or_b32 exec_lo, exec_lo, s27
	v_cmp_lt_u32_e64 s27, v77, v137
	s_and_saveexec_b32 s28, s27
	s_cbranch_execz .LBB391_181
.LBB391_253:                            ;   in Loop: Header=BB391_100 Depth=2
	ds_load_u8 v62, v2 offset:3328
	s_wait_dscnt 0x0
	v_and_b32_e32 v63, 0xff, v62
	v_xor_b32_e32 v62, 0x80, v62
	s_delay_alu instid0(VALU_DEP_2) | instskip(NEXT) | instid1(VALU_DEP_1)
	v_lshrrev_b32_e32 v63, s48, v63
	v_and_b32_e32 v63, s58, v63
	s_delay_alu instid0(VALU_DEP_1)
	v_lshlrev_b32_e32 v63, 2, v63
	ds_load_b32 v63, v63
	s_wait_dscnt 0x0
	v_add_nc_u32_e32 v63, v63, v77
	global_store_b8 v63, v62, s[38:39]
	s_wait_xcnt 0x0
	s_or_b32 exec_lo, exec_lo, s28
	v_cmp_lt_u32_e64 s28, v78, v137
	s_and_saveexec_b32 s29, s28
	s_cbranch_execz .LBB391_182
.LBB391_254:                            ;   in Loop: Header=BB391_100 Depth=2
	ds_load_u8 v62, v2 offset:3584
	s_wait_dscnt 0x0
	v_and_b32_e32 v63, 0xff, v62
	v_xor_b32_e32 v62, 0x80, v62
	s_delay_alu instid0(VALU_DEP_2) | instskip(NEXT) | instid1(VALU_DEP_1)
	v_lshrrev_b32_e32 v63, s48, v63
	v_and_b32_e32 v63, s58, v63
	s_delay_alu instid0(VALU_DEP_1)
	v_lshlrev_b32_e32 v63, 2, v63
	ds_load_b32 v63, v63
	s_wait_dscnt 0x0
	v_add_nc_u32_e32 v63, v63, v78
	global_store_b8 v63, v62, s[38:39]
	s_wait_xcnt 0x0
	s_or_b32 exec_lo, exec_lo, s29
	v_cmp_lt_u32_e64 s29, v79, v137
	s_and_saveexec_b32 s30, s29
	s_cbranch_execz .LBB391_183
.LBB391_255:                            ;   in Loop: Header=BB391_100 Depth=2
	ds_load_u8 v62, v2 offset:3840
	s_wait_dscnt 0x0
	v_and_b32_e32 v63, 0xff, v62
	v_xor_b32_e32 v62, 0x80, v62
	s_delay_alu instid0(VALU_DEP_2) | instskip(NEXT) | instid1(VALU_DEP_1)
	v_lshrrev_b32_e32 v63, s48, v63
	v_and_b32_e32 v63, s58, v63
	s_delay_alu instid0(VALU_DEP_1)
	v_lshlrev_b32_e32 v63, 2, v63
	ds_load_b32 v63, v63
	s_wait_dscnt 0x0
	v_add_nc_u32_e32 v63, v63, v79
	global_store_b8 v63, v62, s[38:39]
	s_wait_xcnt 0x0
	s_or_b32 exec_lo, exec_lo, s30
	v_cmp_lt_u32_e64 s30, v80, v137
	s_and_saveexec_b32 s31, s30
	s_cbranch_execz .LBB391_184
.LBB391_256:                            ;   in Loop: Header=BB391_100 Depth=2
	ds_load_u8 v62, v2 offset:4096
	s_wait_dscnt 0x0
	v_and_b32_e32 v63, 0xff, v62
	v_xor_b32_e32 v62, 0x80, v62
	s_delay_alu instid0(VALU_DEP_2) | instskip(NEXT) | instid1(VALU_DEP_1)
	v_lshrrev_b32_e32 v63, s48, v63
	v_and_b32_e32 v63, s58, v63
	s_delay_alu instid0(VALU_DEP_1)
	v_lshlrev_b32_e32 v63, 2, v63
	ds_load_b32 v63, v63
	s_wait_dscnt 0x0
	v_add_nc_u32_e32 v63, v63, v80
	global_store_b8 v63, v62, s[38:39]
	s_wait_xcnt 0x0
	s_or_b32 exec_lo, exec_lo, s31
	v_cmp_lt_u32_e64 s31, v81, v137
	s_and_saveexec_b32 s33, s31
	s_cbranch_execz .LBB391_185
.LBB391_257:                            ;   in Loop: Header=BB391_100 Depth=2
	ds_load_u8 v62, v2 offset:4352
	s_wait_dscnt 0x0
	v_and_b32_e32 v63, 0xff, v62
	v_xor_b32_e32 v62, 0x80, v62
	s_delay_alu instid0(VALU_DEP_2) | instskip(NEXT) | instid1(VALU_DEP_1)
	v_lshrrev_b32_e32 v63, s48, v63
	v_and_b32_e32 v63, s58, v63
	s_delay_alu instid0(VALU_DEP_1)
	v_lshlrev_b32_e32 v63, 2, v63
	ds_load_b32 v63, v63
	s_wait_dscnt 0x0
	v_add_nc_u32_e32 v63, v63, v81
	global_store_b8 v63, v62, s[38:39]
	s_wait_xcnt 0x0
	s_or_b32 exec_lo, exec_lo, s33
	v_cmp_lt_u32_e64 s33, v82, v137
	s_and_saveexec_b32 s61, s33
	s_cbranch_execnz .LBB391_186
	s_branch .LBB391_187
.LBB391_258:                            ;   in Loop: Header=BB391_100 Depth=2
	global_load_b64 v[60:61], v[62:63], off
	s_wait_xcnt 0x0
	s_or_b32 exec_lo, exec_lo, s34
	s_delay_alu instid0(SALU_CYCLE_1)
	s_mov_b32 s61, exec_lo
	v_cmpx_lt_u32_e64 v98, v137
	s_cbranch_execz .LBB391_189
.LBB391_259:                            ;   in Loop: Header=BB391_100 Depth=2
	global_load_b64 v[58:59], v[62:63], off offset:256
	s_wait_xcnt 0x0
	s_or_b32 exec_lo, exec_lo, s61
	s_delay_alu instid0(SALU_CYCLE_1)
	s_mov_b32 s61, exec_lo
	v_cmpx_lt_u32_e64 v99, v137
	s_cbranch_execz .LBB391_190
.LBB391_260:                            ;   in Loop: Header=BB391_100 Depth=2
	global_load_b64 v[56:57], v[62:63], off offset:512
	s_wait_xcnt 0x0
	s_or_b32 exec_lo, exec_lo, s61
	s_delay_alu instid0(SALU_CYCLE_1)
	s_mov_b32 s61, exec_lo
	v_cmpx_lt_u32_e64 v100, v137
	s_cbranch_execz .LBB391_191
.LBB391_261:                            ;   in Loop: Header=BB391_100 Depth=2
	global_load_b64 v[54:55], v[62:63], off offset:768
	s_wait_xcnt 0x0
	s_or_b32 exec_lo, exec_lo, s61
	s_delay_alu instid0(SALU_CYCLE_1)
	s_mov_b32 s61, exec_lo
	v_cmpx_lt_u32_e64 v101, v137
	s_cbranch_execz .LBB391_192
.LBB391_262:                            ;   in Loop: Header=BB391_100 Depth=2
	global_load_b64 v[52:53], v[62:63], off offset:1024
	s_wait_xcnt 0x0
	s_or_b32 exec_lo, exec_lo, s61
	s_delay_alu instid0(SALU_CYCLE_1)
	s_mov_b32 s61, exec_lo
	v_cmpx_lt_u32_e64 v102, v137
	s_cbranch_execz .LBB391_193
.LBB391_263:                            ;   in Loop: Header=BB391_100 Depth=2
	global_load_b64 v[50:51], v[62:63], off offset:1280
	s_wait_xcnt 0x0
	s_or_b32 exec_lo, exec_lo, s61
	s_delay_alu instid0(SALU_CYCLE_1)
	s_mov_b32 s61, exec_lo
	v_cmpx_lt_u32_e64 v103, v137
	s_cbranch_execz .LBB391_194
.LBB391_264:                            ;   in Loop: Header=BB391_100 Depth=2
	global_load_b64 v[48:49], v[62:63], off offset:1536
	s_wait_xcnt 0x0
	s_or_b32 exec_lo, exec_lo, s61
	s_delay_alu instid0(SALU_CYCLE_1)
	s_mov_b32 s61, exec_lo
	v_cmpx_lt_u32_e64 v104, v137
	s_cbranch_execz .LBB391_195
.LBB391_265:                            ;   in Loop: Header=BB391_100 Depth=2
	global_load_b64 v[46:47], v[62:63], off offset:1792
	s_wait_xcnt 0x0
	s_or_b32 exec_lo, exec_lo, s61
	s_delay_alu instid0(SALU_CYCLE_1)
	s_mov_b32 s61, exec_lo
	v_cmpx_lt_u32_e64 v105, v137
	s_cbranch_execz .LBB391_196
.LBB391_266:                            ;   in Loop: Header=BB391_100 Depth=2
	global_load_b64 v[44:45], v[62:63], off offset:2048
	s_wait_xcnt 0x0
	s_or_b32 exec_lo, exec_lo, s61
	s_delay_alu instid0(SALU_CYCLE_1)
	s_mov_b32 s61, exec_lo
	v_cmpx_lt_u32_e64 v106, v137
	s_cbranch_execz .LBB391_197
.LBB391_267:                            ;   in Loop: Header=BB391_100 Depth=2
	global_load_b64 v[42:43], v[62:63], off offset:2304
	s_wait_xcnt 0x0
	s_or_b32 exec_lo, exec_lo, s61
	s_delay_alu instid0(SALU_CYCLE_1)
	s_mov_b32 s61, exec_lo
	v_cmpx_lt_u32_e64 v107, v137
	s_cbranch_execz .LBB391_198
.LBB391_268:                            ;   in Loop: Header=BB391_100 Depth=2
	global_load_b64 v[40:41], v[62:63], off offset:2560
	s_wait_xcnt 0x0
	s_or_b32 exec_lo, exec_lo, s61
	s_delay_alu instid0(SALU_CYCLE_1)
	s_mov_b32 s61, exec_lo
	v_cmpx_lt_u32_e64 v108, v137
	s_cbranch_execz .LBB391_199
.LBB391_269:                            ;   in Loop: Header=BB391_100 Depth=2
	global_load_b64 v[38:39], v[62:63], off offset:2816
	s_wait_xcnt 0x0
	s_or_b32 exec_lo, exec_lo, s61
	s_delay_alu instid0(SALU_CYCLE_1)
	s_mov_b32 s61, exec_lo
	v_cmpx_lt_u32_e64 v109, v137
	s_cbranch_execz .LBB391_200
.LBB391_270:                            ;   in Loop: Header=BB391_100 Depth=2
	global_load_b64 v[36:37], v[62:63], off offset:3072
	s_wait_xcnt 0x0
	s_or_b32 exec_lo, exec_lo, s61
	s_delay_alu instid0(SALU_CYCLE_1)
	s_mov_b32 s61, exec_lo
	v_cmpx_lt_u32_e64 v110, v137
	s_cbranch_execz .LBB391_201
.LBB391_271:                            ;   in Loop: Header=BB391_100 Depth=2
	global_load_b64 v[34:35], v[62:63], off offset:3328
	s_wait_xcnt 0x0
	s_or_b32 exec_lo, exec_lo, s61
	s_delay_alu instid0(SALU_CYCLE_1)
	s_mov_b32 s61, exec_lo
	v_cmpx_lt_u32_e64 v111, v137
	s_cbranch_execz .LBB391_202
.LBB391_272:                            ;   in Loop: Header=BB391_100 Depth=2
	global_load_b64 v[32:33], v[62:63], off offset:3584
	s_wait_xcnt 0x0
	s_or_b32 exec_lo, exec_lo, s61
	s_delay_alu instid0(SALU_CYCLE_1)
	s_mov_b32 s61, exec_lo
	v_cmpx_lt_u32_e64 v112, v137
	s_cbranch_execz .LBB391_203
.LBB391_273:                            ;   in Loop: Header=BB391_100 Depth=2
	global_load_b64 v[30:31], v[62:63], off offset:3840
	s_wait_xcnt 0x0
	s_or_b32 exec_lo, exec_lo, s61
	s_delay_alu instid0(SALU_CYCLE_1)
	s_mov_b32 s61, exec_lo
	v_cmpx_lt_u32_e64 v113, v137
	s_cbranch_execz .LBB391_204
.LBB391_274:                            ;   in Loop: Header=BB391_100 Depth=2
	global_load_b64 v[28:29], v[62:63], off offset:4096
	s_wait_xcnt 0x0
	s_or_b32 exec_lo, exec_lo, s61
	s_and_saveexec_b32 s34, vcc_lo
	s_cbranch_execz .LBB391_205
.LBB391_275:                            ;   in Loop: Header=BB391_100 Depth=2
	ds_load_u8 v62, v2 offset:512
	s_wait_dscnt 0x0
	v_lshrrev_b32_e32 v62, s48, v62
	s_delay_alu instid0(VALU_DEP_1)
	v_and_b32_e32 v132, s58, v62
	s_or_b32 exec_lo, exec_lo, s34
	s_and_saveexec_b32 s34, s17
	s_cbranch_execz .LBB391_206
.LBB391_276:                            ;   in Loop: Header=BB391_100 Depth=2
	ds_load_u8 v62, v2 offset:768
	s_wait_dscnt 0x0
	v_lshrrev_b32_e32 v62, s48, v62
	s_delay_alu instid0(VALU_DEP_1)
	v_and_b32_e32 v131, s58, v62
	s_or_b32 exec_lo, exec_lo, s34
	s_and_saveexec_b32 s34, s18
	s_cbranch_execz .LBB391_207
.LBB391_277:                            ;   in Loop: Header=BB391_100 Depth=2
	ds_load_u8 v62, v2 offset:1024
	s_wait_dscnt 0x0
	v_lshrrev_b32_e32 v62, s48, v62
	s_delay_alu instid0(VALU_DEP_1)
	v_and_b32_e32 v130, s58, v62
	s_or_b32 exec_lo, exec_lo, s34
	s_and_saveexec_b32 s34, s19
	s_cbranch_execz .LBB391_208
.LBB391_278:                            ;   in Loop: Header=BB391_100 Depth=2
	ds_load_u8 v62, v2 offset:1280
	s_wait_dscnt 0x0
	v_lshrrev_b32_e32 v62, s48, v62
	s_delay_alu instid0(VALU_DEP_1)
	v_and_b32_e32 v129, s58, v62
	s_or_b32 exec_lo, exec_lo, s34
	s_and_saveexec_b32 s34, s20
	s_cbranch_execz .LBB391_209
.LBB391_279:                            ;   in Loop: Header=BB391_100 Depth=2
	ds_load_u8 v62, v2 offset:1536
	s_wait_dscnt 0x0
	v_lshrrev_b32_e32 v62, s48, v62
	s_delay_alu instid0(VALU_DEP_1)
	v_and_b32_e32 v128, s58, v62
	s_or_b32 exec_lo, exec_lo, s34
	s_and_saveexec_b32 s34, s21
	s_cbranch_execz .LBB391_210
.LBB391_280:                            ;   in Loop: Header=BB391_100 Depth=2
	ds_load_u8 v62, v2 offset:1792
	s_wait_dscnt 0x0
	v_lshrrev_b32_e32 v62, s48, v62
	s_delay_alu instid0(VALU_DEP_1)
	v_and_b32_e32 v127, s58, v62
	s_or_b32 exec_lo, exec_lo, s34
	s_and_saveexec_b32 s34, s22
	s_cbranch_execz .LBB391_211
.LBB391_281:                            ;   in Loop: Header=BB391_100 Depth=2
	ds_load_u8 v62, v2 offset:2048
	s_wait_dscnt 0x0
	v_lshrrev_b32_e32 v62, s48, v62
	s_delay_alu instid0(VALU_DEP_1)
	v_and_b32_e32 v126, s58, v62
	s_or_b32 exec_lo, exec_lo, s34
	s_and_saveexec_b32 s34, s23
	s_cbranch_execz .LBB391_212
.LBB391_282:                            ;   in Loop: Header=BB391_100 Depth=2
	ds_load_u8 v62, v2 offset:2304
	s_wait_dscnt 0x0
	v_lshrrev_b32_e32 v62, s48, v62
	s_delay_alu instid0(VALU_DEP_1)
	v_and_b32_e32 v125, s58, v62
	s_or_b32 exec_lo, exec_lo, s34
	s_and_saveexec_b32 s34, s24
	s_cbranch_execz .LBB391_213
.LBB391_283:                            ;   in Loop: Header=BB391_100 Depth=2
	ds_load_u8 v62, v2 offset:2560
	s_wait_dscnt 0x0
	v_lshrrev_b32_e32 v62, s48, v62
	s_delay_alu instid0(VALU_DEP_1)
	v_and_b32_e32 v124, s58, v62
	s_or_b32 exec_lo, exec_lo, s34
	s_and_saveexec_b32 s34, s25
	s_cbranch_execz .LBB391_214
.LBB391_284:                            ;   in Loop: Header=BB391_100 Depth=2
	ds_load_u8 v62, v2 offset:2816
	s_wait_dscnt 0x0
	v_lshrrev_b32_e32 v62, s48, v62
	s_delay_alu instid0(VALU_DEP_1)
	v_and_b32_e32 v123, s58, v62
	s_or_b32 exec_lo, exec_lo, s34
	s_and_saveexec_b32 s34, s26
	s_cbranch_execz .LBB391_215
.LBB391_285:                            ;   in Loop: Header=BB391_100 Depth=2
	ds_load_u8 v62, v2 offset:3072
	s_wait_dscnt 0x0
	v_lshrrev_b32_e32 v62, s48, v62
	s_delay_alu instid0(VALU_DEP_1)
	v_and_b32_e32 v122, s58, v62
	s_or_b32 exec_lo, exec_lo, s34
	s_and_saveexec_b32 s34, s27
	s_cbranch_execz .LBB391_216
.LBB391_286:                            ;   in Loop: Header=BB391_100 Depth=2
	ds_load_u8 v62, v2 offset:3328
	s_wait_dscnt 0x0
	v_lshrrev_b32_e32 v62, s48, v62
	s_delay_alu instid0(VALU_DEP_1)
	v_and_b32_e32 v121, s58, v62
	s_or_b32 exec_lo, exec_lo, s34
	s_and_saveexec_b32 s34, s28
	s_cbranch_execz .LBB391_217
.LBB391_287:                            ;   in Loop: Header=BB391_100 Depth=2
	ds_load_u8 v62, v2 offset:3584
	s_wait_dscnt 0x0
	v_lshrrev_b32_e32 v62, s48, v62
	s_delay_alu instid0(VALU_DEP_1)
	v_and_b32_e32 v120, s58, v62
	s_or_b32 exec_lo, exec_lo, s34
	s_and_saveexec_b32 s34, s29
	s_cbranch_execz .LBB391_218
.LBB391_288:                            ;   in Loop: Header=BB391_100 Depth=2
	ds_load_u8 v62, v2 offset:3840
	s_wait_dscnt 0x0
	v_lshrrev_b32_e32 v62, s48, v62
	s_delay_alu instid0(VALU_DEP_1)
	v_and_b32_e32 v119, s58, v62
	s_or_b32 exec_lo, exec_lo, s34
	s_and_saveexec_b32 s34, s30
	s_cbranch_execz .LBB391_219
.LBB391_289:                            ;   in Loop: Header=BB391_100 Depth=2
	ds_load_u8 v62, v2 offset:4096
	s_wait_dscnt 0x0
	v_lshrrev_b32_e32 v62, s48, v62
	s_delay_alu instid0(VALU_DEP_1)
	v_and_b32_e32 v118, s58, v62
	s_or_b32 exec_lo, exec_lo, s34
	s_and_saveexec_b32 s34, s31
	s_cbranch_execz .LBB391_220
.LBB391_290:                            ;   in Loop: Header=BB391_100 Depth=2
	ds_load_u8 v62, v2 offset:4352
	s_wait_dscnt 0x0
	v_lshrrev_b32_e32 v62, s48, v62
	s_delay_alu instid0(VALU_DEP_1)
	v_and_b32_e32 v117, s58, v62
	s_or_b32 exec_lo, exec_lo, s34
	s_and_saveexec_b32 s34, s33
	s_cbranch_execnz .LBB391_221
	s_branch .LBB391_222
.LBB391_291:                            ;   in Loop: Header=BB391_100 Depth=2
	v_dual_lshlrev_b32 v62, 2, v132 :: v_dual_add_nc_u32 v63, v2, v95
	ds_load_b32 v64, v62
	ds_load_b64 v[62:63], v63 offset:512
	s_wait_dscnt 0x1
	v_add_nc_u32_e32 v64, v64, v2
	s_wait_dscnt 0x0
	global_store_b64 v64, v[62:63], s[44:45] scale_offset
	s_wait_xcnt 0x0
	s_or_b32 exec_lo, exec_lo, s34
	s_and_saveexec_b32 s34, s17
	s_cbranch_execz .LBB391_224
.LBB391_292:                            ;   in Loop: Header=BB391_100 Depth=2
	v_lshlrev_b32_e32 v62, 2, v131
	v_add_nc_u32_e32 v63, v2, v95
	ds_load_b32 v64, v62
	ds_load_b64 v[62:63], v63 offset:2560
	s_wait_dscnt 0x1
	v_add_nc_u32_e32 v64, v64, v67
	s_wait_dscnt 0x0
	global_store_b64 v64, v[62:63], s[44:45] scale_offset
	s_wait_xcnt 0x0
	s_or_b32 exec_lo, exec_lo, s34
	s_and_saveexec_b32 s17, s18
	s_cbranch_execz .LBB391_225
.LBB391_293:                            ;   in Loop: Header=BB391_100 Depth=2
	v_dual_lshlrev_b32 v62, 2, v130 :: v_dual_add_nc_u32 v63, v2, v95
	ds_load_b32 v64, v62
	ds_load_b64 v[62:63], v63 offset:4608
	s_wait_dscnt 0x1
	v_add_nc_u32_e32 v64, v64, v68
	s_wait_dscnt 0x0
	global_store_b64 v64, v[62:63], s[44:45] scale_offset
	s_wait_xcnt 0x0
	s_or_b32 exec_lo, exec_lo, s17
	s_and_saveexec_b32 s17, s19
	s_cbranch_execz .LBB391_226
.LBB391_294:                            ;   in Loop: Header=BB391_100 Depth=2
	v_dual_lshlrev_b32 v62, 2, v129 :: v_dual_add_nc_u32 v63, v2, v95
	ds_load_b32 v64, v62
	ds_load_b64 v[62:63], v63 offset:6656
	s_wait_dscnt 0x1
	v_add_nc_u32_e32 v64, v64, v69
	s_wait_dscnt 0x0
	global_store_b64 v64, v[62:63], s[44:45] scale_offset
	s_wait_xcnt 0x0
	s_or_b32 exec_lo, exec_lo, s17
	s_and_saveexec_b32 s17, s20
	s_cbranch_execz .LBB391_227
.LBB391_295:                            ;   in Loop: Header=BB391_100 Depth=2
	v_dual_lshlrev_b32 v62, 2, v128 :: v_dual_add_nc_u32 v63, v2, v95
	ds_load_b32 v64, v62
	ds_load_b64 v[62:63], v63 offset:8704
	s_wait_dscnt 0x1
	v_add_nc_u32_e32 v64, v64, v70
	s_wait_dscnt 0x0
	global_store_b64 v64, v[62:63], s[44:45] scale_offset
	s_wait_xcnt 0x0
	s_or_b32 exec_lo, exec_lo, s17
	s_and_saveexec_b32 s17, s21
	s_cbranch_execz .LBB391_228
.LBB391_296:                            ;   in Loop: Header=BB391_100 Depth=2
	v_lshlrev_b32_e32 v62, 2, v127
	v_add_nc_u32_e32 v63, v2, v95
	ds_load_b32 v64, v62
	ds_load_b64 v[62:63], v63 offset:10752
	s_wait_dscnt 0x1
	v_add_nc_u32_e32 v64, v64, v71
	s_wait_dscnt 0x0
	global_store_b64 v64, v[62:63], s[44:45] scale_offset
	s_wait_xcnt 0x0
	s_or_b32 exec_lo, exec_lo, s17
	s_and_saveexec_b32 s17, s22
	s_cbranch_execz .LBB391_229
.LBB391_297:                            ;   in Loop: Header=BB391_100 Depth=2
	v_dual_lshlrev_b32 v62, 2, v126 :: v_dual_add_nc_u32 v63, v2, v95
	ds_load_b32 v64, v62
	ds_load_b64 v[62:63], v63 offset:12800
	s_wait_dscnt 0x1
	v_add_nc_u32_e32 v64, v64, v72
	s_wait_dscnt 0x0
	global_store_b64 v64, v[62:63], s[44:45] scale_offset
	s_wait_xcnt 0x0
	s_or_b32 exec_lo, exec_lo, s17
	s_and_saveexec_b32 s17, s23
	s_cbranch_execz .LBB391_230
.LBB391_298:                            ;   in Loop: Header=BB391_100 Depth=2
	v_dual_lshlrev_b32 v62, 2, v125 :: v_dual_add_nc_u32 v63, v2, v95
	ds_load_b32 v64, v62
	ds_load_b64 v[62:63], v63 offset:14848
	s_wait_dscnt 0x1
	v_add_nc_u32_e32 v64, v64, v73
	s_wait_dscnt 0x0
	global_store_b64 v64, v[62:63], s[44:45] scale_offset
	s_wait_xcnt 0x0
	s_or_b32 exec_lo, exec_lo, s17
	s_and_saveexec_b32 s17, s24
	s_cbranch_execz .LBB391_231
.LBB391_299:                            ;   in Loop: Header=BB391_100 Depth=2
	v_dual_lshlrev_b32 v62, 2, v124 :: v_dual_add_nc_u32 v63, v2, v95
	ds_load_b32 v64, v62
	ds_load_b64 v[62:63], v63 offset:16896
	s_wait_dscnt 0x1
	v_add_nc_u32_e32 v64, v64, v74
	s_wait_dscnt 0x0
	global_store_b64 v64, v[62:63], s[44:45] scale_offset
	s_wait_xcnt 0x0
	s_or_b32 exec_lo, exec_lo, s17
	s_and_saveexec_b32 s17, s25
	s_cbranch_execz .LBB391_232
.LBB391_300:                            ;   in Loop: Header=BB391_100 Depth=2
	v_lshlrev_b32_e32 v62, 2, v123
	v_add_nc_u32_e32 v63, v2, v95
	ds_load_b32 v64, v62
	ds_load_b64 v[62:63], v63 offset:18944
	s_wait_dscnt 0x1
	v_add_nc_u32_e32 v64, v64, v75
	s_wait_dscnt 0x0
	global_store_b64 v64, v[62:63], s[44:45] scale_offset
	s_wait_xcnt 0x0
	s_or_b32 exec_lo, exec_lo, s17
	s_and_saveexec_b32 s17, s26
	s_cbranch_execz .LBB391_233
.LBB391_301:                            ;   in Loop: Header=BB391_100 Depth=2
	v_dual_lshlrev_b32 v62, 2, v122 :: v_dual_add_nc_u32 v63, v2, v95
	ds_load_b32 v64, v62
	ds_load_b64 v[62:63], v63 offset:20992
	s_wait_dscnt 0x1
	v_add_nc_u32_e32 v64, v64, v76
	s_wait_dscnt 0x0
	global_store_b64 v64, v[62:63], s[44:45] scale_offset
	s_wait_xcnt 0x0
	s_or_b32 exec_lo, exec_lo, s17
	s_and_saveexec_b32 s17, s27
	s_cbranch_execz .LBB391_234
.LBB391_302:                            ;   in Loop: Header=BB391_100 Depth=2
	v_dual_lshlrev_b32 v62, 2, v121 :: v_dual_add_nc_u32 v63, v2, v95
	ds_load_b32 v64, v62
	ds_load_b64 v[62:63], v63 offset:23040
	s_wait_dscnt 0x1
	v_add_nc_u32_e32 v64, v64, v77
	s_wait_dscnt 0x0
	global_store_b64 v64, v[62:63], s[44:45] scale_offset
	s_wait_xcnt 0x0
	s_or_b32 exec_lo, exec_lo, s17
	s_and_saveexec_b32 s17, s28
	s_cbranch_execz .LBB391_235
.LBB391_303:                            ;   in Loop: Header=BB391_100 Depth=2
	v_dual_lshlrev_b32 v62, 2, v120 :: v_dual_add_nc_u32 v63, v2, v95
	ds_load_b32 v64, v62
	ds_load_b64 v[62:63], v63 offset:25088
	s_wait_dscnt 0x1
	v_add_nc_u32_e32 v64, v64, v78
	s_wait_dscnt 0x0
	global_store_b64 v64, v[62:63], s[44:45] scale_offset
	s_wait_xcnt 0x0
	s_or_b32 exec_lo, exec_lo, s17
	s_and_saveexec_b32 s17, s29
	s_cbranch_execz .LBB391_236
.LBB391_304:                            ;   in Loop: Header=BB391_100 Depth=2
	v_lshlrev_b32_e32 v62, 2, v119
	v_add_nc_u32_e32 v63, v2, v95
	ds_load_b32 v64, v62
	ds_load_b64 v[62:63], v63 offset:27136
	s_wait_dscnt 0x1
	v_add_nc_u32_e32 v64, v64, v79
	s_wait_dscnt 0x0
	global_store_b64 v64, v[62:63], s[44:45] scale_offset
	s_wait_xcnt 0x0
	s_or_b32 exec_lo, exec_lo, s17
	s_and_saveexec_b32 s17, s30
	s_cbranch_execz .LBB391_237
.LBB391_305:                            ;   in Loop: Header=BB391_100 Depth=2
	v_dual_lshlrev_b32 v62, 2, v118 :: v_dual_add_nc_u32 v63, v2, v95
	ds_load_b32 v64, v62
	ds_load_b64 v[62:63], v63 offset:29184
	s_wait_dscnt 0x1
	v_add_nc_u32_e32 v64, v64, v80
	s_wait_dscnt 0x0
	global_store_b64 v64, v[62:63], s[44:45] scale_offset
	s_wait_xcnt 0x0
	s_or_b32 exec_lo, exec_lo, s17
	s_and_saveexec_b32 s17, s31
	s_cbranch_execz .LBB391_238
.LBB391_306:                            ;   in Loop: Header=BB391_100 Depth=2
	v_dual_lshlrev_b32 v62, 2, v117 :: v_dual_add_nc_u32 v63, v2, v95
	ds_load_b32 v64, v62
	ds_load_b64 v[62:63], v63 offset:31232
	s_wait_dscnt 0x1
	v_add_nc_u32_e32 v64, v64, v81
	s_wait_dscnt 0x0
	global_store_b64 v64, v[62:63], s[44:45] scale_offset
	s_wait_xcnt 0x0
	s_or_b32 exec_lo, exec_lo, s17
	s_and_saveexec_b32 s17, s33
	s_cbranch_execnz .LBB391_239
	s_branch .LBB391_240
.LBB391_307:                            ;   in Loop: Header=BB391_100 Depth=2
	global_load_u8 v147, v[62:63], off
	v_dual_mov_b32 v115, 0x7f :: v_dual_mov_b32 v150, 0x7f
	v_dual_mov_b32 v148, 0x7f :: v_dual_mov_b32 v151, 0x7f
	v_dual_mov_b32 v142, 0x7f :: v_dual_mov_b32 v145, 0x7f
	v_dual_mov_b32 v143, 0x7f :: v_dual_mov_b32 v144, 0x7f
	v_dual_mov_b32 v138, 0x7f :: v_dual_mov_b32 v141, 0x7f
	v_dual_mov_b32 v139, 0x7f :: v_dual_mov_b32 v140, 0x7f
	v_dual_mov_b32 v64, 0x7f :: v_dual_mov_b32 v65, 0x7f
	v_dual_mov_b32 v136, 0x7f :: v_dual_mov_b32 v135, 0x7f
	s_wait_xcnt 0x0
	s_or_b32 exec_lo, exec_lo, s17
	s_delay_alu instid0(SALU_CYCLE_1)
	s_mov_b32 s17, exec_lo
	v_cmpx_gt_u32_e64 s59, v98
	s_cbranch_execz .LBB391_105
.LBB391_308:                            ;   in Loop: Header=BB391_100 Depth=2
	global_load_u8 v150, v[62:63], off offset:32
	s_wait_xcnt 0x0
	s_or_b32 exec_lo, exec_lo, s17
	s_delay_alu instid0(SALU_CYCLE_1)
	s_mov_b32 s17, exec_lo
	v_cmpx_gt_u32_e64 s59, v99
	s_cbranch_execz .LBB391_106
.LBB391_309:                            ;   in Loop: Header=BB391_100 Depth=2
	global_load_u8 v148, v[62:63], off offset:64
	s_wait_xcnt 0x0
	s_or_b32 exec_lo, exec_lo, s17
	s_delay_alu instid0(SALU_CYCLE_1)
	s_mov_b32 s17, exec_lo
	v_cmpx_gt_u32_e64 s59, v100
	s_cbranch_execz .LBB391_107
.LBB391_310:                            ;   in Loop: Header=BB391_100 Depth=2
	global_load_u8 v151, v[62:63], off offset:96
	s_wait_xcnt 0x0
	s_or_b32 exec_lo, exec_lo, s17
	s_delay_alu instid0(SALU_CYCLE_1)
	s_mov_b32 s17, exec_lo
	v_cmpx_gt_u32_e64 s59, v101
	s_cbranch_execz .LBB391_108
.LBB391_311:                            ;   in Loop: Header=BB391_100 Depth=2
	global_load_u8 v142, v[62:63], off offset:128
	s_wait_xcnt 0x0
	s_or_b32 exec_lo, exec_lo, s17
	s_delay_alu instid0(SALU_CYCLE_1)
	s_mov_b32 s17, exec_lo
	v_cmpx_gt_u32_e64 s59, v102
	s_cbranch_execz .LBB391_109
.LBB391_312:                            ;   in Loop: Header=BB391_100 Depth=2
	global_load_u8 v145, v[62:63], off offset:160
	s_wait_xcnt 0x0
	s_or_b32 exec_lo, exec_lo, s17
	s_delay_alu instid0(SALU_CYCLE_1)
	s_mov_b32 s17, exec_lo
	v_cmpx_gt_u32_e64 s59, v103
	s_cbranch_execz .LBB391_110
.LBB391_313:                            ;   in Loop: Header=BB391_100 Depth=2
	global_load_u8 v143, v[62:63], off offset:192
	s_wait_xcnt 0x0
	s_or_b32 exec_lo, exec_lo, s17
	s_delay_alu instid0(SALU_CYCLE_1)
	s_mov_b32 s17, exec_lo
	v_cmpx_gt_u32_e64 s59, v104
	s_cbranch_execz .LBB391_111
.LBB391_314:                            ;   in Loop: Header=BB391_100 Depth=2
	global_load_u8 v144, v[62:63], off offset:224
	s_wait_xcnt 0x0
	s_or_b32 exec_lo, exec_lo, s17
	s_delay_alu instid0(SALU_CYCLE_1)
	s_mov_b32 s17, exec_lo
	v_cmpx_gt_u32_e64 s59, v105
	s_cbranch_execz .LBB391_112
.LBB391_315:                            ;   in Loop: Header=BB391_100 Depth=2
	global_load_u8 v138, v[62:63], off offset:256
	s_wait_xcnt 0x0
	s_or_b32 exec_lo, exec_lo, s17
	s_delay_alu instid0(SALU_CYCLE_1)
	s_mov_b32 s17, exec_lo
	v_cmpx_gt_u32_e64 s59, v106
	s_cbranch_execz .LBB391_113
.LBB391_316:                            ;   in Loop: Header=BB391_100 Depth=2
	global_load_u8 v141, v[62:63], off offset:288
	s_wait_xcnt 0x0
	s_or_b32 exec_lo, exec_lo, s17
	s_delay_alu instid0(SALU_CYCLE_1)
	s_mov_b32 s17, exec_lo
	v_cmpx_gt_u32_e64 s59, v107
	s_cbranch_execz .LBB391_114
.LBB391_317:                            ;   in Loop: Header=BB391_100 Depth=2
	global_load_u8 v139, v[62:63], off offset:320
	s_wait_xcnt 0x0
	s_or_b32 exec_lo, exec_lo, s17
	s_delay_alu instid0(SALU_CYCLE_1)
	s_mov_b32 s17, exec_lo
	v_cmpx_gt_u32_e64 s59, v108
	s_cbranch_execz .LBB391_115
.LBB391_318:                            ;   in Loop: Header=BB391_100 Depth=2
	global_load_u8 v140, v[62:63], off offset:352
	s_wait_xcnt 0x0
	s_or_b32 exec_lo, exec_lo, s17
	s_delay_alu instid0(SALU_CYCLE_1)
	s_mov_b32 s17, exec_lo
	v_cmpx_gt_u32_e64 s59, v109
	s_cbranch_execz .LBB391_116
.LBB391_319:                            ;   in Loop: Header=BB391_100 Depth=2
	global_load_u8 v64, v[62:63], off offset:384
	s_wait_xcnt 0x0
	s_or_b32 exec_lo, exec_lo, s17
	s_delay_alu instid0(SALU_CYCLE_1)
	s_mov_b32 s17, exec_lo
	v_cmpx_gt_u32_e64 s59, v110
	s_cbranch_execz .LBB391_117
.LBB391_320:                            ;   in Loop: Header=BB391_100 Depth=2
	global_load_u8 v136, v[62:63], off offset:416
	s_wait_xcnt 0x0
	s_or_b32 exec_lo, exec_lo, s17
	s_delay_alu instid0(SALU_CYCLE_1)
	s_mov_b32 s17, exec_lo
	v_cmpx_gt_u32_e64 s59, v111
	s_cbranch_execz .LBB391_118
.LBB391_321:                            ;   in Loop: Header=BB391_100 Depth=2
	global_load_u8 v65, v[62:63], off offset:448
	s_wait_xcnt 0x0
	s_or_b32 exec_lo, exec_lo, s17
	s_delay_alu instid0(SALU_CYCLE_1)
	s_mov_b32 s17, exec_lo
	v_cmpx_gt_u32_e64 s59, v112
	s_cbranch_execnz .LBB391_119
	s_branch .LBB391_120
.LBB391_322:                            ;   in Loop: Header=BB391_12 Depth=1
	s_wait_dscnt 0x0
	s_barrier_signal -1
	s_mov_b32 s8, 0
	s_barrier_wait -1
.LBB391_323:                            ;   in Loop: Header=BB391_12 Depth=1
	s_and_b32 vcc_lo, exec_lo, s8
	s_cbranch_vccz .LBB391_633
; %bb.324:                              ;   in Loop: Header=BB391_12 Depth=1
	v_dual_mov_b32 v39, 0 :: v_dual_mov_b32 v42, 0
	v_dual_mov_b32 v41, 0 :: v_dual_mov_b32 v40, 0
	v_dual_mov_b32 v38, 0 :: v_dual_mov_b32 v37, 0
	v_dual_mov_b32 v36, 0 :: v_dual_mov_b32 v35, 0
	v_dual_mov_b32 v34, 0 :: v_dual_mov_b32 v33, 0
	v_dual_mov_b32 v32, 0 :: v_dual_mov_b32 v31, 0
	v_dual_mov_b32 v30, 0 :: v_dual_mov_b32 v29, 0
	v_dual_mov_b32 v28, 0 :: v_dual_mov_b32 v27, 0
	v_mov_b32_e32 v26, 0
	s_mov_b32 s8, s57
	s_mov_b32 s34, s55
	s_barrier_signal -1
	s_barrier_wait -1
	s_branch .LBB391_326
.LBB391_325:                            ;   in Loop: Header=BB391_326 Depth=2
	s_or_b32 exec_lo, exec_lo, s10
	s_addk_co_i32 s8, 0xef00
	s_cmp_ge_u32 s9, s54
	s_mov_b32 s34, s9
	s_cbranch_scc1 .LBB391_398
.LBB391_326:                            ;   Parent Loop BB391_12 Depth=1
                                        ; =>  This Inner Loop Header: Depth=2
	s_add_co_i32 s9, s34, 0x1100
	s_mov_b32 s10, -1
	s_cmp_gt_u32 s9, s54
                                        ; implicit-def: $vgpr24
                                        ; implicit-def: $vgpr25
                                        ; implicit-def: $vgpr43
                                        ; implicit-def: $vgpr44
                                        ; implicit-def: $vgpr45
                                        ; implicit-def: $vgpr46
                                        ; implicit-def: $vgpr47
                                        ; implicit-def: $vgpr48
                                        ; implicit-def: $vgpr49
                                        ; implicit-def: $vgpr50
                                        ; implicit-def: $vgpr51
                                        ; implicit-def: $vgpr52
                                        ; implicit-def: $vgpr53
                                        ; implicit-def: $vgpr54
                                        ; implicit-def: $vgpr55
                                        ; implicit-def: $vgpr56
                                        ; implicit-def: $vgpr57
	s_cbranch_scc1 .LBB391_328
; %bb.327:                              ;   in Loop: Header=BB391_326 Depth=2
	v_add_nc_u64_e32 v[58:59], s[34:35], v[12:13]
	s_mov_b32 s10, 0
	s_clause 0x10
	global_load_u8 v57, v[58:59], off offset:4096
	global_load_u8 v56, v[58:59], off offset:3840
	;; [unrolled: 1-line block ×16, first 2 shown]
	global_load_u8 v24, v[58:59], off
.LBB391_328:                            ;   in Loop: Header=BB391_326 Depth=2
	s_and_not1_b32 vcc_lo, exec_lo, s10
	s_movk_i32 s10, 0x1100
	s_cbranch_vccnz .LBB391_348
; %bb.329:                              ;   in Loop: Header=BB391_326 Depth=2
	s_add_nc_u64 s[10:11], s[38:39], s[34:35]
	s_wait_loadcnt 0x0
	v_add_nc_u64_e32 v[24:25], s[10:11], v[2:3]
	s_mov_b32 s10, exec_lo
	s_wait_xcnt 0x0
	v_cmpx_gt_u32_e64 s8, v2
	s_cbranch_execnz .LBB391_382
; %bb.330:                              ;   in Loop: Header=BB391_326 Depth=2
	s_or_b32 exec_lo, exec_lo, s10
	s_delay_alu instid0(SALU_CYCLE_1)
	s_mov_b32 s10, exec_lo
	v_cmpx_gt_u32_e64 s8, v67
	s_cbranch_execnz .LBB391_383
.LBB391_331:                            ;   in Loop: Header=BB391_326 Depth=2
	s_or_b32 exec_lo, exec_lo, s10
	s_delay_alu instid0(SALU_CYCLE_1)
	s_mov_b32 s10, exec_lo
	v_cmpx_gt_u32_e64 s8, v68
	s_cbranch_execnz .LBB391_384
.LBB391_332:                            ;   in Loop: Header=BB391_326 Depth=2
	s_or_b32 exec_lo, exec_lo, s10
	s_delay_alu instid0(SALU_CYCLE_1)
	s_mov_b32 s10, exec_lo
	v_cmpx_gt_u32_e64 s8, v69
	s_cbranch_execnz .LBB391_385
.LBB391_333:                            ;   in Loop: Header=BB391_326 Depth=2
	s_or_b32 exec_lo, exec_lo, s10
	s_delay_alu instid0(SALU_CYCLE_1)
	s_mov_b32 s10, exec_lo
	v_cmpx_gt_u32_e64 s8, v70
	s_cbranch_execnz .LBB391_386
.LBB391_334:                            ;   in Loop: Header=BB391_326 Depth=2
	s_or_b32 exec_lo, exec_lo, s10
	s_delay_alu instid0(SALU_CYCLE_1)
	s_mov_b32 s10, exec_lo
	v_cmpx_gt_u32_e64 s8, v71
	s_cbranch_execnz .LBB391_387
.LBB391_335:                            ;   in Loop: Header=BB391_326 Depth=2
	s_or_b32 exec_lo, exec_lo, s10
	s_delay_alu instid0(SALU_CYCLE_1)
	s_mov_b32 s10, exec_lo
	v_cmpx_gt_u32_e64 s8, v72
	s_cbranch_execnz .LBB391_388
.LBB391_336:                            ;   in Loop: Header=BB391_326 Depth=2
	s_or_b32 exec_lo, exec_lo, s10
	s_delay_alu instid0(SALU_CYCLE_1)
	s_mov_b32 s10, exec_lo
	v_cmpx_gt_u32_e64 s8, v73
	s_cbranch_execnz .LBB391_389
.LBB391_337:                            ;   in Loop: Header=BB391_326 Depth=2
	s_or_b32 exec_lo, exec_lo, s10
	s_delay_alu instid0(SALU_CYCLE_1)
	s_mov_b32 s10, exec_lo
	v_cmpx_gt_u32_e64 s8, v74
	s_cbranch_execnz .LBB391_390
.LBB391_338:                            ;   in Loop: Header=BB391_326 Depth=2
	s_or_b32 exec_lo, exec_lo, s10
	s_delay_alu instid0(SALU_CYCLE_1)
	s_mov_b32 s10, exec_lo
	v_cmpx_gt_u32_e64 s8, v75
	s_cbranch_execnz .LBB391_391
.LBB391_339:                            ;   in Loop: Header=BB391_326 Depth=2
	s_or_b32 exec_lo, exec_lo, s10
	s_delay_alu instid0(SALU_CYCLE_1)
	s_mov_b32 s10, exec_lo
	v_cmpx_gt_u32_e64 s8, v76
	s_cbranch_execnz .LBB391_392
.LBB391_340:                            ;   in Loop: Header=BB391_326 Depth=2
	s_or_b32 exec_lo, exec_lo, s10
	s_delay_alu instid0(SALU_CYCLE_1)
	s_mov_b32 s10, exec_lo
	v_cmpx_gt_u32_e64 s8, v77
	s_cbranch_execnz .LBB391_393
.LBB391_341:                            ;   in Loop: Header=BB391_326 Depth=2
	s_or_b32 exec_lo, exec_lo, s10
	s_delay_alu instid0(SALU_CYCLE_1)
	s_mov_b32 s10, exec_lo
	v_cmpx_gt_u32_e64 s8, v78
	s_cbranch_execnz .LBB391_394
.LBB391_342:                            ;   in Loop: Header=BB391_326 Depth=2
	s_or_b32 exec_lo, exec_lo, s10
	s_delay_alu instid0(SALU_CYCLE_1)
	s_mov_b32 s10, exec_lo
	v_cmpx_gt_u32_e64 s8, v79
	s_cbranch_execnz .LBB391_395
.LBB391_343:                            ;   in Loop: Header=BB391_326 Depth=2
	s_or_b32 exec_lo, exec_lo, s10
	s_delay_alu instid0(SALU_CYCLE_1)
	s_mov_b32 s10, exec_lo
	v_cmpx_gt_u32_e64 s8, v80
	s_cbranch_execnz .LBB391_396
.LBB391_344:                            ;   in Loop: Header=BB391_326 Depth=2
	s_or_b32 exec_lo, exec_lo, s10
	s_delay_alu instid0(SALU_CYCLE_1)
	s_mov_b32 s10, exec_lo
	v_cmpx_gt_u32_e64 s8, v81
	s_cbranch_execnz .LBB391_397
.LBB391_345:                            ;   in Loop: Header=BB391_326 Depth=2
	s_or_b32 exec_lo, exec_lo, s10
	s_delay_alu instid0(SALU_CYCLE_1)
	s_mov_b32 s10, exec_lo
	v_cmpx_gt_u32_e64 s8, v82
	s_cbranch_execz .LBB391_347
.LBB391_346:                            ;   in Loop: Header=BB391_326 Depth=2
	global_load_u8 v26, v[24:25], off offset:4096
.LBB391_347:                            ;   in Loop: Header=BB391_326 Depth=2
	s_wait_xcnt 0x0
	s_or_b32 exec_lo, exec_lo, s10
	s_wait_loadcnt 0x0
	v_dual_mov_b32 v24, v39 :: v_dual_mov_b32 v25, v42
	v_dual_mov_b32 v43, v41 :: v_dual_mov_b32 v44, v40
	;; [unrolled: 1-line block ×8, first 2 shown]
	v_mov_b32_e32 v57, v26
	s_mov_b32 s10, s8
.LBB391_348:                            ;   in Loop: Header=BB391_326 Depth=2
	s_wait_loadcnt 0xf
	s_delay_alu instid0(VALU_DEP_1)
	v_dual_mov_b32 v26, v57 :: v_dual_mov_b32 v27, v56
	s_wait_loadcnt 0xd
	v_dual_mov_b32 v28, v55 :: v_dual_mov_b32 v29, v54
	s_wait_loadcnt 0xb
	v_dual_mov_b32 v30, v53 :: v_dual_mov_b32 v31, v52
	s_wait_loadcnt 0x9
	v_dual_mov_b32 v32, v51 :: v_dual_mov_b32 v33, v50
	s_wait_loadcnt 0x7
	v_dual_mov_b32 v34, v49 :: v_dual_mov_b32 v35, v48
	s_wait_loadcnt 0x5
	v_dual_mov_b32 v36, v47 :: v_dual_mov_b32 v37, v46
	s_wait_loadcnt 0x3
	v_dual_mov_b32 v38, v45 :: v_dual_mov_b32 v40, v44
	s_wait_loadcnt 0x1
	v_dual_mov_b32 v41, v43 :: v_dual_mov_b32 v42, v25
	s_wait_loadcnt 0x0
	v_mov_b32_e32 v39, v24
	s_mov_b32 s11, exec_lo
	s_wait_xcnt 0x0
	v_cmpx_gt_u32_e64 s10, v2
	s_cbranch_execnz .LBB391_365
; %bb.349:                              ;   in Loop: Header=BB391_326 Depth=2
	s_or_b32 exec_lo, exec_lo, s11
	s_delay_alu instid0(SALU_CYCLE_1)
	s_mov_b32 s11, exec_lo
	v_cmpx_gt_u32_e64 s10, v67
	s_cbranch_execnz .LBB391_366
.LBB391_350:                            ;   in Loop: Header=BB391_326 Depth=2
	s_or_b32 exec_lo, exec_lo, s11
	s_delay_alu instid0(SALU_CYCLE_1)
	s_mov_b32 s11, exec_lo
	v_cmpx_gt_u32_e64 s10, v68
	s_cbranch_execnz .LBB391_367
.LBB391_351:                            ;   in Loop: Header=BB391_326 Depth=2
	s_or_b32 exec_lo, exec_lo, s11
	s_delay_alu instid0(SALU_CYCLE_1)
	s_mov_b32 s11, exec_lo
	v_cmpx_gt_u32_e64 s10, v69
	s_cbranch_execnz .LBB391_368
.LBB391_352:                            ;   in Loop: Header=BB391_326 Depth=2
	s_or_b32 exec_lo, exec_lo, s11
	s_delay_alu instid0(SALU_CYCLE_1)
	s_mov_b32 s11, exec_lo
	v_cmpx_gt_u32_e64 s10, v70
	s_cbranch_execnz .LBB391_369
.LBB391_353:                            ;   in Loop: Header=BB391_326 Depth=2
	s_or_b32 exec_lo, exec_lo, s11
	s_delay_alu instid0(SALU_CYCLE_1)
	s_mov_b32 s11, exec_lo
	v_cmpx_gt_u32_e64 s10, v71
	s_cbranch_execnz .LBB391_370
.LBB391_354:                            ;   in Loop: Header=BB391_326 Depth=2
	s_or_b32 exec_lo, exec_lo, s11
	s_delay_alu instid0(SALU_CYCLE_1)
	s_mov_b32 s11, exec_lo
	v_cmpx_gt_u32_e64 s10, v72
	s_cbranch_execnz .LBB391_371
.LBB391_355:                            ;   in Loop: Header=BB391_326 Depth=2
	s_or_b32 exec_lo, exec_lo, s11
	s_delay_alu instid0(SALU_CYCLE_1)
	s_mov_b32 s11, exec_lo
	v_cmpx_gt_u32_e64 s10, v73
	s_cbranch_execnz .LBB391_372
.LBB391_356:                            ;   in Loop: Header=BB391_326 Depth=2
	s_or_b32 exec_lo, exec_lo, s11
	s_delay_alu instid0(SALU_CYCLE_1)
	s_mov_b32 s11, exec_lo
	v_cmpx_gt_u32_e64 s10, v74
	s_cbranch_execnz .LBB391_373
.LBB391_357:                            ;   in Loop: Header=BB391_326 Depth=2
	s_or_b32 exec_lo, exec_lo, s11
	s_delay_alu instid0(SALU_CYCLE_1)
	s_mov_b32 s11, exec_lo
	v_cmpx_gt_u32_e64 s10, v75
	s_cbranch_execnz .LBB391_374
.LBB391_358:                            ;   in Loop: Header=BB391_326 Depth=2
	s_or_b32 exec_lo, exec_lo, s11
	s_delay_alu instid0(SALU_CYCLE_1)
	s_mov_b32 s11, exec_lo
	v_cmpx_gt_u32_e64 s10, v76
	s_cbranch_execnz .LBB391_375
.LBB391_359:                            ;   in Loop: Header=BB391_326 Depth=2
	s_or_b32 exec_lo, exec_lo, s11
	s_delay_alu instid0(SALU_CYCLE_1)
	s_mov_b32 s11, exec_lo
	v_cmpx_gt_u32_e64 s10, v77
	s_cbranch_execnz .LBB391_376
.LBB391_360:                            ;   in Loop: Header=BB391_326 Depth=2
	s_or_b32 exec_lo, exec_lo, s11
	s_delay_alu instid0(SALU_CYCLE_1)
	s_mov_b32 s11, exec_lo
	v_cmpx_gt_u32_e64 s10, v78
	s_cbranch_execnz .LBB391_377
.LBB391_361:                            ;   in Loop: Header=BB391_326 Depth=2
	s_or_b32 exec_lo, exec_lo, s11
	s_delay_alu instid0(SALU_CYCLE_1)
	s_mov_b32 s11, exec_lo
	v_cmpx_gt_u32_e64 s10, v79
	s_cbranch_execnz .LBB391_378
.LBB391_362:                            ;   in Loop: Header=BB391_326 Depth=2
	s_or_b32 exec_lo, exec_lo, s11
	s_delay_alu instid0(SALU_CYCLE_1)
	s_mov_b32 s11, exec_lo
	v_cmpx_gt_u32_e64 s10, v80
	s_cbranch_execnz .LBB391_379
.LBB391_363:                            ;   in Loop: Header=BB391_326 Depth=2
	s_or_b32 exec_lo, exec_lo, s11
	s_delay_alu instid0(SALU_CYCLE_1)
	s_mov_b32 s11, exec_lo
	v_cmpx_gt_u32_e64 s10, v81
	s_cbranch_execnz .LBB391_380
.LBB391_364:                            ;   in Loop: Header=BB391_326 Depth=2
	s_or_b32 exec_lo, exec_lo, s11
	v_cmp_gt_u32_e32 vcc_lo, s10, v82
	s_and_saveexec_b32 s10, vcc_lo
	s_cbranch_execz .LBB391_325
	s_branch .LBB391_381
.LBB391_365:                            ;   in Loop: Header=BB391_326 Depth=2
	v_xor_b32_e32 v24, 0x80, v39
	s_delay_alu instid0(VALU_DEP_1) | instskip(NEXT) | instid1(VALU_DEP_1)
	v_and_b32_e32 v24, 0xff, v24
	v_lshrrev_b32_e32 v24, s48, v24
	s_delay_alu instid0(VALU_DEP_1) | instskip(NEXT) | instid1(VALU_DEP_1)
	v_and_b32_e32 v24, s58, v24
	v_lshl_or_b32 v24, v24, 4, v84
	ds_add_u32 v24, v7
	s_or_b32 exec_lo, exec_lo, s11
	s_delay_alu instid0(SALU_CYCLE_1)
	s_mov_b32 s11, exec_lo
	v_cmpx_gt_u32_e64 s10, v67
	s_cbranch_execz .LBB391_350
.LBB391_366:                            ;   in Loop: Header=BB391_326 Depth=2
	v_xor_b32_e32 v24, 0x80, v42
	s_delay_alu instid0(VALU_DEP_1) | instskip(NEXT) | instid1(VALU_DEP_1)
	v_and_b32_e32 v24, 0xff, v24
	v_lshrrev_b32_e32 v24, s48, v24
	s_delay_alu instid0(VALU_DEP_1) | instskip(NEXT) | instid1(VALU_DEP_1)
	v_and_b32_e32 v24, s58, v24
	v_lshl_or_b32 v24, v24, 4, v84
	ds_add_u32 v24, v7
	s_or_b32 exec_lo, exec_lo, s11
	s_delay_alu instid0(SALU_CYCLE_1)
	s_mov_b32 s11, exec_lo
	v_cmpx_gt_u32_e64 s10, v68
	s_cbranch_execz .LBB391_351
.LBB391_367:                            ;   in Loop: Header=BB391_326 Depth=2
	v_xor_b32_e32 v24, 0x80, v41
	s_delay_alu instid0(VALU_DEP_1) | instskip(NEXT) | instid1(VALU_DEP_1)
	v_and_b32_e32 v24, 0xff, v24
	v_lshrrev_b32_e32 v24, s48, v24
	s_delay_alu instid0(VALU_DEP_1) | instskip(NEXT) | instid1(VALU_DEP_1)
	v_and_b32_e32 v24, s58, v24
	v_lshl_or_b32 v24, v24, 4, v84
	ds_add_u32 v24, v7
	s_or_b32 exec_lo, exec_lo, s11
	s_delay_alu instid0(SALU_CYCLE_1)
	s_mov_b32 s11, exec_lo
	v_cmpx_gt_u32_e64 s10, v69
	s_cbranch_execz .LBB391_352
.LBB391_368:                            ;   in Loop: Header=BB391_326 Depth=2
	v_xor_b32_e32 v24, 0x80, v40
	s_delay_alu instid0(VALU_DEP_1) | instskip(NEXT) | instid1(VALU_DEP_1)
	v_and_b32_e32 v24, 0xff, v24
	v_lshrrev_b32_e32 v24, s48, v24
	s_delay_alu instid0(VALU_DEP_1) | instskip(NEXT) | instid1(VALU_DEP_1)
	v_and_b32_e32 v24, s58, v24
	v_lshl_or_b32 v24, v24, 4, v84
	ds_add_u32 v24, v7
	s_or_b32 exec_lo, exec_lo, s11
	s_delay_alu instid0(SALU_CYCLE_1)
	s_mov_b32 s11, exec_lo
	v_cmpx_gt_u32_e64 s10, v70
	s_cbranch_execz .LBB391_353
.LBB391_369:                            ;   in Loop: Header=BB391_326 Depth=2
	v_xor_b32_e32 v24, 0x80, v38
	s_delay_alu instid0(VALU_DEP_1) | instskip(NEXT) | instid1(VALU_DEP_1)
	v_and_b32_e32 v24, 0xff, v24
	v_lshrrev_b32_e32 v24, s48, v24
	s_delay_alu instid0(VALU_DEP_1) | instskip(NEXT) | instid1(VALU_DEP_1)
	v_and_b32_e32 v24, s58, v24
	v_lshl_or_b32 v24, v24, 4, v84
	ds_add_u32 v24, v7
	s_or_b32 exec_lo, exec_lo, s11
	s_delay_alu instid0(SALU_CYCLE_1)
	s_mov_b32 s11, exec_lo
	v_cmpx_gt_u32_e64 s10, v71
	s_cbranch_execz .LBB391_354
.LBB391_370:                            ;   in Loop: Header=BB391_326 Depth=2
	v_xor_b32_e32 v24, 0x80, v37
	s_delay_alu instid0(VALU_DEP_1) | instskip(NEXT) | instid1(VALU_DEP_1)
	v_and_b32_e32 v24, 0xff, v24
	v_lshrrev_b32_e32 v24, s48, v24
	s_delay_alu instid0(VALU_DEP_1) | instskip(NEXT) | instid1(VALU_DEP_1)
	v_and_b32_e32 v24, s58, v24
	v_lshl_or_b32 v24, v24, 4, v84
	ds_add_u32 v24, v7
	s_or_b32 exec_lo, exec_lo, s11
	s_delay_alu instid0(SALU_CYCLE_1)
	s_mov_b32 s11, exec_lo
	v_cmpx_gt_u32_e64 s10, v72
	s_cbranch_execz .LBB391_355
.LBB391_371:                            ;   in Loop: Header=BB391_326 Depth=2
	v_xor_b32_e32 v24, 0x80, v36
	s_delay_alu instid0(VALU_DEP_1) | instskip(NEXT) | instid1(VALU_DEP_1)
	v_and_b32_e32 v24, 0xff, v24
	v_lshrrev_b32_e32 v24, s48, v24
	s_delay_alu instid0(VALU_DEP_1) | instskip(NEXT) | instid1(VALU_DEP_1)
	v_and_b32_e32 v24, s58, v24
	v_lshl_or_b32 v24, v24, 4, v84
	ds_add_u32 v24, v7
	s_or_b32 exec_lo, exec_lo, s11
	s_delay_alu instid0(SALU_CYCLE_1)
	s_mov_b32 s11, exec_lo
	v_cmpx_gt_u32_e64 s10, v73
	s_cbranch_execz .LBB391_356
.LBB391_372:                            ;   in Loop: Header=BB391_326 Depth=2
	v_xor_b32_e32 v24, 0x80, v35
	s_delay_alu instid0(VALU_DEP_1) | instskip(NEXT) | instid1(VALU_DEP_1)
	v_and_b32_e32 v24, 0xff, v24
	v_lshrrev_b32_e32 v24, s48, v24
	s_delay_alu instid0(VALU_DEP_1) | instskip(NEXT) | instid1(VALU_DEP_1)
	v_and_b32_e32 v24, s58, v24
	v_lshl_or_b32 v24, v24, 4, v84
	ds_add_u32 v24, v7
	s_or_b32 exec_lo, exec_lo, s11
	s_delay_alu instid0(SALU_CYCLE_1)
	s_mov_b32 s11, exec_lo
	v_cmpx_gt_u32_e64 s10, v74
	s_cbranch_execz .LBB391_357
.LBB391_373:                            ;   in Loop: Header=BB391_326 Depth=2
	v_xor_b32_e32 v24, 0x80, v34
	s_delay_alu instid0(VALU_DEP_1) | instskip(NEXT) | instid1(VALU_DEP_1)
	v_and_b32_e32 v24, 0xff, v24
	v_lshrrev_b32_e32 v24, s48, v24
	s_delay_alu instid0(VALU_DEP_1) | instskip(NEXT) | instid1(VALU_DEP_1)
	v_and_b32_e32 v24, s58, v24
	v_lshl_or_b32 v24, v24, 4, v84
	ds_add_u32 v24, v7
	s_or_b32 exec_lo, exec_lo, s11
	s_delay_alu instid0(SALU_CYCLE_1)
	s_mov_b32 s11, exec_lo
	v_cmpx_gt_u32_e64 s10, v75
	s_cbranch_execz .LBB391_358
.LBB391_374:                            ;   in Loop: Header=BB391_326 Depth=2
	v_xor_b32_e32 v24, 0x80, v33
	s_delay_alu instid0(VALU_DEP_1) | instskip(NEXT) | instid1(VALU_DEP_1)
	v_and_b32_e32 v24, 0xff, v24
	v_lshrrev_b32_e32 v24, s48, v24
	s_delay_alu instid0(VALU_DEP_1) | instskip(NEXT) | instid1(VALU_DEP_1)
	v_and_b32_e32 v24, s58, v24
	v_lshl_or_b32 v24, v24, 4, v84
	ds_add_u32 v24, v7
	s_or_b32 exec_lo, exec_lo, s11
	s_delay_alu instid0(SALU_CYCLE_1)
	s_mov_b32 s11, exec_lo
	v_cmpx_gt_u32_e64 s10, v76
	s_cbranch_execz .LBB391_359
.LBB391_375:                            ;   in Loop: Header=BB391_326 Depth=2
	v_xor_b32_e32 v24, 0x80, v32
	s_delay_alu instid0(VALU_DEP_1) | instskip(NEXT) | instid1(VALU_DEP_1)
	v_and_b32_e32 v24, 0xff, v24
	v_lshrrev_b32_e32 v24, s48, v24
	s_delay_alu instid0(VALU_DEP_1) | instskip(NEXT) | instid1(VALU_DEP_1)
	v_and_b32_e32 v24, s58, v24
	v_lshl_or_b32 v24, v24, 4, v84
	ds_add_u32 v24, v7
	s_or_b32 exec_lo, exec_lo, s11
	s_delay_alu instid0(SALU_CYCLE_1)
	s_mov_b32 s11, exec_lo
	v_cmpx_gt_u32_e64 s10, v77
	s_cbranch_execz .LBB391_360
.LBB391_376:                            ;   in Loop: Header=BB391_326 Depth=2
	v_xor_b32_e32 v24, 0x80, v31
	s_delay_alu instid0(VALU_DEP_1) | instskip(NEXT) | instid1(VALU_DEP_1)
	v_and_b32_e32 v24, 0xff, v24
	v_lshrrev_b32_e32 v24, s48, v24
	s_delay_alu instid0(VALU_DEP_1) | instskip(NEXT) | instid1(VALU_DEP_1)
	v_and_b32_e32 v24, s58, v24
	v_lshl_or_b32 v24, v24, 4, v84
	ds_add_u32 v24, v7
	s_or_b32 exec_lo, exec_lo, s11
	s_delay_alu instid0(SALU_CYCLE_1)
	s_mov_b32 s11, exec_lo
	v_cmpx_gt_u32_e64 s10, v78
	s_cbranch_execz .LBB391_361
.LBB391_377:                            ;   in Loop: Header=BB391_326 Depth=2
	v_xor_b32_e32 v24, 0x80, v30
	s_delay_alu instid0(VALU_DEP_1) | instskip(NEXT) | instid1(VALU_DEP_1)
	v_and_b32_e32 v24, 0xff, v24
	v_lshrrev_b32_e32 v24, s48, v24
	s_delay_alu instid0(VALU_DEP_1) | instskip(NEXT) | instid1(VALU_DEP_1)
	v_and_b32_e32 v24, s58, v24
	v_lshl_or_b32 v24, v24, 4, v84
	ds_add_u32 v24, v7
	s_or_b32 exec_lo, exec_lo, s11
	s_delay_alu instid0(SALU_CYCLE_1)
	s_mov_b32 s11, exec_lo
	v_cmpx_gt_u32_e64 s10, v79
	s_cbranch_execz .LBB391_362
.LBB391_378:                            ;   in Loop: Header=BB391_326 Depth=2
	v_xor_b32_e32 v24, 0x80, v29
	s_delay_alu instid0(VALU_DEP_1) | instskip(NEXT) | instid1(VALU_DEP_1)
	v_and_b32_e32 v24, 0xff, v24
	v_lshrrev_b32_e32 v24, s48, v24
	s_delay_alu instid0(VALU_DEP_1) | instskip(NEXT) | instid1(VALU_DEP_1)
	v_and_b32_e32 v24, s58, v24
	v_lshl_or_b32 v24, v24, 4, v84
	ds_add_u32 v24, v7
	s_or_b32 exec_lo, exec_lo, s11
	s_delay_alu instid0(SALU_CYCLE_1)
	s_mov_b32 s11, exec_lo
	v_cmpx_gt_u32_e64 s10, v80
	s_cbranch_execz .LBB391_363
.LBB391_379:                            ;   in Loop: Header=BB391_326 Depth=2
	v_xor_b32_e32 v24, 0x80, v28
	s_delay_alu instid0(VALU_DEP_1) | instskip(NEXT) | instid1(VALU_DEP_1)
	v_and_b32_e32 v24, 0xff, v24
	v_lshrrev_b32_e32 v24, s48, v24
	s_delay_alu instid0(VALU_DEP_1) | instskip(NEXT) | instid1(VALU_DEP_1)
	v_and_b32_e32 v24, s58, v24
	v_lshl_or_b32 v24, v24, 4, v84
	ds_add_u32 v24, v7
	s_or_b32 exec_lo, exec_lo, s11
	s_delay_alu instid0(SALU_CYCLE_1)
	s_mov_b32 s11, exec_lo
	v_cmpx_gt_u32_e64 s10, v81
	s_cbranch_execz .LBB391_364
.LBB391_380:                            ;   in Loop: Header=BB391_326 Depth=2
	v_xor_b32_e32 v24, 0x80, v27
	s_delay_alu instid0(VALU_DEP_1) | instskip(NEXT) | instid1(VALU_DEP_1)
	v_and_b32_e32 v24, 0xff, v24
	v_lshrrev_b32_e32 v24, s48, v24
	s_delay_alu instid0(VALU_DEP_1) | instskip(NEXT) | instid1(VALU_DEP_1)
	v_and_b32_e32 v24, s58, v24
	v_lshl_or_b32 v24, v24, 4, v84
	ds_add_u32 v24, v7
	s_or_b32 exec_lo, exec_lo, s11
	v_cmp_gt_u32_e32 vcc_lo, s10, v82
	s_and_saveexec_b32 s10, vcc_lo
	s_cbranch_execz .LBB391_325
.LBB391_381:                            ;   in Loop: Header=BB391_326 Depth=2
	v_xor_b32_e32 v24, 0x80, v26
	s_delay_alu instid0(VALU_DEP_1) | instskip(NEXT) | instid1(VALU_DEP_1)
	v_and_b32_e32 v24, 0xff, v24
	v_lshrrev_b32_e32 v24, s48, v24
	s_delay_alu instid0(VALU_DEP_1) | instskip(NEXT) | instid1(VALU_DEP_1)
	v_and_b32_e32 v24, s58, v24
	v_lshl_or_b32 v24, v24, 4, v84
	ds_add_u32 v24, v7
	s_branch .LBB391_325
.LBB391_382:                            ;   in Loop: Header=BB391_326 Depth=2
	global_load_u8 v39, v[24:25], off
	s_wait_xcnt 0x0
	s_or_b32 exec_lo, exec_lo, s10
	s_delay_alu instid0(SALU_CYCLE_1)
	s_mov_b32 s10, exec_lo
	v_cmpx_gt_u32_e64 s8, v67
	s_cbranch_execz .LBB391_331
.LBB391_383:                            ;   in Loop: Header=BB391_326 Depth=2
	global_load_u8 v42, v[24:25], off offset:256
	s_wait_xcnt 0x0
	s_or_b32 exec_lo, exec_lo, s10
	s_delay_alu instid0(SALU_CYCLE_1)
	s_mov_b32 s10, exec_lo
	v_cmpx_gt_u32_e64 s8, v68
	s_cbranch_execz .LBB391_332
.LBB391_384:                            ;   in Loop: Header=BB391_326 Depth=2
	global_load_u8 v41, v[24:25], off offset:512
	s_wait_xcnt 0x0
	s_or_b32 exec_lo, exec_lo, s10
	s_delay_alu instid0(SALU_CYCLE_1)
	s_mov_b32 s10, exec_lo
	v_cmpx_gt_u32_e64 s8, v69
	s_cbranch_execz .LBB391_333
.LBB391_385:                            ;   in Loop: Header=BB391_326 Depth=2
	global_load_u8 v40, v[24:25], off offset:768
	s_wait_xcnt 0x0
	s_or_b32 exec_lo, exec_lo, s10
	s_delay_alu instid0(SALU_CYCLE_1)
	s_mov_b32 s10, exec_lo
	v_cmpx_gt_u32_e64 s8, v70
	s_cbranch_execz .LBB391_334
.LBB391_386:                            ;   in Loop: Header=BB391_326 Depth=2
	global_load_u8 v38, v[24:25], off offset:1024
	s_wait_xcnt 0x0
	s_or_b32 exec_lo, exec_lo, s10
	s_delay_alu instid0(SALU_CYCLE_1)
	s_mov_b32 s10, exec_lo
	v_cmpx_gt_u32_e64 s8, v71
	s_cbranch_execz .LBB391_335
.LBB391_387:                            ;   in Loop: Header=BB391_326 Depth=2
	global_load_u8 v37, v[24:25], off offset:1280
	s_wait_xcnt 0x0
	s_or_b32 exec_lo, exec_lo, s10
	s_delay_alu instid0(SALU_CYCLE_1)
	s_mov_b32 s10, exec_lo
	v_cmpx_gt_u32_e64 s8, v72
	s_cbranch_execz .LBB391_336
.LBB391_388:                            ;   in Loop: Header=BB391_326 Depth=2
	global_load_u8 v36, v[24:25], off offset:1536
	s_wait_xcnt 0x0
	s_or_b32 exec_lo, exec_lo, s10
	s_delay_alu instid0(SALU_CYCLE_1)
	s_mov_b32 s10, exec_lo
	v_cmpx_gt_u32_e64 s8, v73
	s_cbranch_execz .LBB391_337
.LBB391_389:                            ;   in Loop: Header=BB391_326 Depth=2
	global_load_u8 v35, v[24:25], off offset:1792
	s_wait_xcnt 0x0
	s_or_b32 exec_lo, exec_lo, s10
	s_delay_alu instid0(SALU_CYCLE_1)
	s_mov_b32 s10, exec_lo
	v_cmpx_gt_u32_e64 s8, v74
	s_cbranch_execz .LBB391_338
.LBB391_390:                            ;   in Loop: Header=BB391_326 Depth=2
	global_load_u8 v34, v[24:25], off offset:2048
	s_wait_xcnt 0x0
	s_or_b32 exec_lo, exec_lo, s10
	s_delay_alu instid0(SALU_CYCLE_1)
	s_mov_b32 s10, exec_lo
	v_cmpx_gt_u32_e64 s8, v75
	s_cbranch_execz .LBB391_339
.LBB391_391:                            ;   in Loop: Header=BB391_326 Depth=2
	global_load_u8 v33, v[24:25], off offset:2304
	s_wait_xcnt 0x0
	s_or_b32 exec_lo, exec_lo, s10
	s_delay_alu instid0(SALU_CYCLE_1)
	s_mov_b32 s10, exec_lo
	v_cmpx_gt_u32_e64 s8, v76
	s_cbranch_execz .LBB391_340
.LBB391_392:                            ;   in Loop: Header=BB391_326 Depth=2
	global_load_u8 v32, v[24:25], off offset:2560
	s_wait_xcnt 0x0
	s_or_b32 exec_lo, exec_lo, s10
	s_delay_alu instid0(SALU_CYCLE_1)
	s_mov_b32 s10, exec_lo
	v_cmpx_gt_u32_e64 s8, v77
	s_cbranch_execz .LBB391_341
.LBB391_393:                            ;   in Loop: Header=BB391_326 Depth=2
	global_load_u8 v31, v[24:25], off offset:2816
	s_wait_xcnt 0x0
	s_or_b32 exec_lo, exec_lo, s10
	s_delay_alu instid0(SALU_CYCLE_1)
	s_mov_b32 s10, exec_lo
	v_cmpx_gt_u32_e64 s8, v78
	s_cbranch_execz .LBB391_342
.LBB391_394:                            ;   in Loop: Header=BB391_326 Depth=2
	global_load_u8 v30, v[24:25], off offset:3072
	s_wait_xcnt 0x0
	s_or_b32 exec_lo, exec_lo, s10
	s_delay_alu instid0(SALU_CYCLE_1)
	s_mov_b32 s10, exec_lo
	v_cmpx_gt_u32_e64 s8, v79
	s_cbranch_execz .LBB391_343
.LBB391_395:                            ;   in Loop: Header=BB391_326 Depth=2
	global_load_u8 v29, v[24:25], off offset:3328
	s_wait_xcnt 0x0
	s_or_b32 exec_lo, exec_lo, s10
	s_delay_alu instid0(SALU_CYCLE_1)
	s_mov_b32 s10, exec_lo
	v_cmpx_gt_u32_e64 s8, v80
	s_cbranch_execz .LBB391_344
.LBB391_396:                            ;   in Loop: Header=BB391_326 Depth=2
	global_load_u8 v28, v[24:25], off offset:3584
	s_wait_xcnt 0x0
	s_or_b32 exec_lo, exec_lo, s10
	s_delay_alu instid0(SALU_CYCLE_1)
	s_mov_b32 s10, exec_lo
	v_cmpx_gt_u32_e64 s8, v81
	s_cbranch_execz .LBB391_345
.LBB391_397:                            ;   in Loop: Header=BB391_326 Depth=2
	global_load_u8 v27, v[24:25], off offset:3840
	s_wait_xcnt 0x0
	s_or_b32 exec_lo, exec_lo, s10
	s_delay_alu instid0(SALU_CYCLE_1)
	s_mov_b32 s10, exec_lo
	v_cmpx_gt_u32_e64 s8, v82
	s_cbranch_execnz .LBB391_346
	s_branch .LBB391_347
.LBB391_398:                            ;   in Loop: Header=BB391_12 Depth=1
	v_mov_b32_e32 v24, 0
	s_wait_dscnt 0x0
	s_barrier_signal -1
	s_barrier_wait -1
	s_and_saveexec_b32 s8, s0
	s_cbranch_execz .LBB391_400
; %bb.399:                              ;   in Loop: Header=BB391_12 Depth=1
	ds_load_2addr_b64 v[24:27], v85 offset1:1
	s_wait_dscnt 0x0
	v_add_nc_u32_e32 v24, v25, v24
	s_delay_alu instid0(VALU_DEP_1)
	v_add3_u32 v24, v24, v26, v27
.LBB391_400:                            ;   in Loop: Header=BB391_12 Depth=1
	s_or_b32 exec_lo, exec_lo, s8
	v_and_b32_e32 v25, 15, v0
	s_delay_alu instid0(VALU_DEP_2) | instskip(SKIP_1) | instid1(VALU_DEP_3)
	v_mov_b32_dpp v26, v24 row_shr:1 row_mask:0xf bank_mask:0xf
	v_and_b32_e32 v27, 16, v0
	v_cmp_eq_u32_e64 s8, 0, v25
	v_cmp_lt_u32_e64 s9, 1, v25
	s_delay_alu instid0(VALU_DEP_3) | instskip(NEXT) | instid1(VALU_DEP_3)
	v_cmp_eq_u32_e64 s12, 0, v27
	v_cndmask_b32_e64 v26, v26, 0, s8
	s_delay_alu instid0(VALU_DEP_1) | instskip(NEXT) | instid1(VALU_DEP_1)
	v_add_nc_u32_e32 v24, v26, v24
	v_mov_b32_dpp v26, v24 row_shr:2 row_mask:0xf bank_mask:0xf
	s_delay_alu instid0(VALU_DEP_1) | instskip(SKIP_2) | instid1(VALU_DEP_3)
	v_cndmask_b32_e64 v26, 0, v26, s9
	v_cmp_lt_u32_e64 s11, 7, v25
	v_cmp_lt_u32_e64 s10, 3, v25
	v_add_nc_u32_e32 v24, v24, v26
	s_delay_alu instid0(VALU_DEP_1) | instskip(NEXT) | instid1(VALU_DEP_1)
	v_mov_b32_dpp v26, v24 row_shr:4 row_mask:0xf bank_mask:0xf
	v_cndmask_b32_e64 v26, 0, v26, s10
	s_delay_alu instid0(VALU_DEP_1) | instskip(NEXT) | instid1(VALU_DEP_1)
	v_add_nc_u32_e32 v24, v24, v26
	v_mov_b32_dpp v26, v24 row_shr:8 row_mask:0xf bank_mask:0xf
	s_delay_alu instid0(VALU_DEP_1) | instskip(SKIP_1) | instid1(VALU_DEP_2)
	v_cndmask_b32_e64 v25, 0, v26, s11
	v_bfe_i32 v26, v0, 4, 1
	v_add_nc_u32_e32 v24, v24, v25
	ds_swizzle_b32 v25, v24 offset:swizzle(BROADCAST,32,15)
	s_wait_dscnt 0x0
	v_and_b32_e32 v25, v26, v25
	s_delay_alu instid0(VALU_DEP_1)
	v_add_nc_u32_e32 v24, v24, v25
	s_and_saveexec_b32 s13, s1
; %bb.401:                              ;   in Loop: Header=BB391_12 Depth=1
	ds_store_b32 v86, v24
; %bb.402:                              ;   in Loop: Header=BB391_12 Depth=1
	s_or_b32 exec_lo, exec_lo, s13
	s_wait_dscnt 0x0
	s_barrier_signal -1
	s_barrier_wait -1
	s_and_saveexec_b32 s13, s4
	s_cbranch_execz .LBB391_404
; %bb.403:                              ;   in Loop: Header=BB391_12 Depth=1
	ds_load_b32 v25, v87
	s_wait_dscnt 0x0
	v_mov_b32_dpp v27, v25 row_shr:1 row_mask:0xf bank_mask:0xf
	v_and_b32_e32 v26, 3, v0
	s_delay_alu instid0(VALU_DEP_1) | instskip(NEXT) | instid1(VALU_DEP_3)
	v_cmp_ne_u32_e32 vcc_lo, 0, v26
	v_cndmask_b32_e32 v27, 0, v27, vcc_lo
	v_cmp_lt_u32_e32 vcc_lo, 1, v26
	s_delay_alu instid0(VALU_DEP_2) | instskip(NEXT) | instid1(VALU_DEP_1)
	v_add_nc_u32_e32 v25, v27, v25
	v_mov_b32_dpp v27, v25 row_shr:2 row_mask:0xf bank_mask:0xf
	s_delay_alu instid0(VALU_DEP_1) | instskip(NEXT) | instid1(VALU_DEP_1)
	v_cndmask_b32_e32 v26, 0, v27, vcc_lo
	v_add_nc_u32_e32 v25, v25, v26
	ds_store_b32 v87, v25
.LBB391_404:                            ;   in Loop: Header=BB391_12 Depth=1
	s_or_b32 exec_lo, exec_lo, s13
	v_mov_b32_e32 v25, 0
	s_wait_dscnt 0x0
	s_barrier_signal -1
	s_barrier_wait -1
	s_and_saveexec_b32 s13, s5
; %bb.405:                              ;   in Loop: Header=BB391_12 Depth=1
	ds_load_b32 v25, v88
; %bb.406:                              ;   in Loop: Header=BB391_12 Depth=1
	s_or_b32 exec_lo, exec_lo, s13
	v_sub_co_u32 v26, s13, v0, 1
	s_wait_dscnt 0x0
	s_barrier_signal -1
	s_barrier_wait -1
	s_delay_alu instid0(VALU_DEP_1) | instskip(SKIP_1) | instid1(VALU_DEP_1)
	v_cmp_gt_i32_e32 vcc_lo, 0, v26
	v_cndmask_b32_e32 v26, v26, v0, vcc_lo
	v_dual_add_nc_u32 v24, v25, v24 :: v_dual_lshlrev_b32 v96, 2, v26
	ds_bpermute_b32 v24, v96, v24
	s_and_saveexec_b32 s14, s0
	s_cbranch_execz .LBB391_408
; %bb.407:                              ;   in Loop: Header=BB391_12 Depth=1
	s_wait_dscnt 0x0
	v_cndmask_b32_e64 v24, v24, v25, s13
	s_delay_alu instid0(VALU_DEP_1)
	v_add_nc_u32_e32 v24, s55, v24
	ds_store_b32 v66, v24
.LBB391_408:                            ;   in Loop: Header=BB391_12 Depth=1
	s_or_b32 exec_lo, exec_lo, s14
	s_load_b64 s[14:15], s[52:53], 0x0
	v_dual_lshlrev_b32 v26, 3, v0 :: v_dual_bitop2_b32 v28, 7, v0 bitop3:0x40
	v_dual_mov_b32 v27, v1 :: v_dual_bitop2_b32 v97, v0, v6 bitop3:0x54
	s_wait_dscnt 0x0
	v_add_nc_u64_e32 v[24:25], v[16:17], v[0:1]
	v_mov_b32_e32 v115, 0
	s_mov_b32 s59, s57
	v_add_nc_u64_e32 v[26:27], v[14:15], v[26:27]
	v_dual_add_nc_u32 v98, 32, v97 :: v_dual_add_nc_u32 v99, 64, v97
	v_add_nc_u32_e32 v100, 0x60, v97
	v_add_nc_u32_e32 v101, 0x80, v97
	;; [unrolled: 1-line block ×9, first 2 shown]
	s_wait_kmcnt 0x0
	s_cmp_lt_u32 s51, s14
	v_add_nc_u32_e32 v109, 0x180, v97
	s_cselect_b32 s34, 12, 18
	s_cmp_lt_u32 s42, s15
	s_mov_b32 s15, s35
	s_cselect_b32 s14, 14, 20
	v_add_nc_u32_e32 v110, 0x1a0, v97
	s_add_nc_u64 s[14:15], s[52:53], s[14:15]
	v_add_nc_u32_e32 v111, 0x1c0, v97
	s_load_u16 s16, s[14:15], 0x0
	s_wait_xcnt 0x0
	s_add_nc_u64 s[14:15], s[52:53], s[34:35]
	v_add_nc_u32_e32 v112, 0x1e0, v97
	s_load_u16 s17, s[14:15], 0x0
	s_wait_xcnt 0x0
	v_cmp_eq_u32_e64 s14, 0, v28
	v_cmp_lt_u32_e64 s15, 1, v28
	v_add_nc_u32_e32 v113, 0x200, v97
	s_mov_b32 s34, s55
                                        ; implicit-def: $vgpr30_vgpr31
                                        ; implicit-def: $vgpr32_vgpr33
                                        ; implicit-def: $vgpr34_vgpr35
                                        ; implicit-def: $vgpr36_vgpr37
                                        ; implicit-def: $vgpr38_vgpr39
                                        ; implicit-def: $vgpr40_vgpr41
                                        ; implicit-def: $vgpr42_vgpr43
                                        ; implicit-def: $vgpr44_vgpr45
                                        ; implicit-def: $vgpr46_vgpr47
                                        ; implicit-def: $vgpr48_vgpr49
                                        ; implicit-def: $vgpr50_vgpr51
                                        ; implicit-def: $vgpr52_vgpr53
                                        ; implicit-def: $vgpr54_vgpr55
                                        ; implicit-def: $vgpr56_vgpr57
                                        ; implicit-def: $vgpr58_vgpr59
                                        ; implicit-def: $vgpr60_vgpr61
                                        ; implicit-def: $vgpr116
                                        ; implicit-def: $vgpr117
                                        ; implicit-def: $vgpr118
                                        ; implicit-def: $vgpr119
                                        ; implicit-def: $vgpr120
                                        ; implicit-def: $vgpr121
                                        ; implicit-def: $vgpr122
                                        ; implicit-def: $vgpr123
                                        ; implicit-def: $vgpr124
                                        ; implicit-def: $vgpr125
                                        ; implicit-def: $vgpr126
                                        ; implicit-def: $vgpr127
                                        ; implicit-def: $vgpr128
                                        ; implicit-def: $vgpr129
                                        ; implicit-def: $vgpr130
                                        ; implicit-def: $vgpr131
                                        ; implicit-def: $vgpr132
                                        ; implicit-def: $vgpr133
                                        ; implicit-def: $vgpr134
	s_wait_kmcnt 0x0
	v_mad_u32_u24 v29, v89, s16, v91
	v_cmp_lt_u32_e64 s16, 3, v28
	s_delay_alu instid0(VALU_DEP_2) | instskip(NEXT) | instid1(VALU_DEP_1)
	v_mad_u32 v28, v29, s17, v2
	v_lshrrev_b32_e32 v28, 3, v28
	s_delay_alu instid0(VALU_DEP_1)
	v_and_b32_e32 v114, 0x1ffffffc, v28
                                        ; implicit-def: $vgpr28_vgpr29
	s_branch .LBB391_410
.LBB391_409:                            ;   in Loop: Header=BB391_410 Depth=2
	s_or_b32 exec_lo, exec_lo, s17
	s_addk_co_i32 s59, 0xef00
	s_cmp_lt_u32 s60, s54
	s_mov_b32 s34, s60
	s_cbranch_scc0 .LBB391_632
.LBB391_410:                            ;   Parent Loop BB391_12 Depth=1
                                        ; =>  This Inner Loop Header: Depth=2
	s_add_co_i32 s60, s34, 0x1100
	s_delay_alu instid0(SALU_CYCLE_1)
	s_cmp_gt_u32 s60, s54
	s_cbranch_scc1 .LBB391_412
; %bb.411:                              ;   in Loop: Header=BB391_410 Depth=2
	v_add_nc_u64_e32 v[62:63], s[34:35], v[24:25]
	s_mov_b32 s17, -1
	s_clause 0xf
	global_load_u8 v135, v[62:63], off offset:480
	global_load_u8 v65, v[62:63], off offset:448
	global_load_u8 v136, v[62:63], off offset:416
	global_load_u8 v64, v[62:63], off offset:384
	global_load_u8 v140, v[62:63], off offset:352
	global_load_u8 v139, v[62:63], off offset:320
	global_load_u8 v141, v[62:63], off offset:288
	global_load_u8 v138, v[62:63], off offset:256
	global_load_u8 v144, v[62:63], off offset:224
	global_load_u8 v143, v[62:63], off offset:192
	global_load_u8 v145, v[62:63], off offset:160
	global_load_u8 v142, v[62:63], off offset:128
	global_load_u8 v151, v[62:63], off offset:96
	global_load_u8 v148, v[62:63], off offset:64
	global_load_u8 v150, v[62:63], off offset:32
	global_load_u8 v147, v[62:63], off
	s_movk_i32 s18, 0x1100
	s_cbranch_execz .LBB391_413
	s_branch .LBB391_431
.LBB391_412:                            ;   in Loop: Header=BB391_410 Depth=2
	s_mov_b32 s17, 0
                                        ; implicit-def: $vgpr147
                                        ; implicit-def: $vgpr150
                                        ; implicit-def: $vgpr148
                                        ; implicit-def: $vgpr151
                                        ; implicit-def: $vgpr142
                                        ; implicit-def: $vgpr145
                                        ; implicit-def: $vgpr143
                                        ; implicit-def: $vgpr144
                                        ; implicit-def: $vgpr138
                                        ; implicit-def: $vgpr141
                                        ; implicit-def: $vgpr139
                                        ; implicit-def: $vgpr140
                                        ; implicit-def: $vgpr64
                                        ; implicit-def: $vgpr136
                                        ; implicit-def: $vgpr65
                                        ; implicit-def: $vgpr135
                                        ; implicit-def: $vgpr115
	s_movk_i32 s18, 0x1100
.LBB391_413:                            ;   in Loop: Header=BB391_410 Depth=2
	s_wait_xcnt 0x0
	v_add_nc_u64_e32 v[62:63], s[34:35], v[24:25]
	s_wait_loadcnt 0x1
	v_dual_mov_b32 v115, 0x7f :: v_dual_mov_b32 v150, 0x7f
	s_wait_loadcnt 0x0
	v_dual_mov_b32 v147, 0x7f :: v_dual_mov_b32 v148, 0x7f
	v_dual_mov_b32 v151, 0x7f :: v_dual_mov_b32 v142, 0x7f
	;; [unrolled: 1-line block ×7, first 2 shown]
	v_mov_b32_e32 v135, 0x7f
	s_mov_b32 s17, exec_lo
	v_cmpx_gt_u32_e64 s59, v97
	s_cbranch_execnz .LBB391_617
; %bb.414:                              ;   in Loop: Header=BB391_410 Depth=2
	s_or_b32 exec_lo, exec_lo, s17
	s_delay_alu instid0(SALU_CYCLE_1)
	s_mov_b32 s17, exec_lo
	v_cmpx_gt_u32_e64 s59, v98
	s_cbranch_execnz .LBB391_618
.LBB391_415:                            ;   in Loop: Header=BB391_410 Depth=2
	s_or_b32 exec_lo, exec_lo, s17
	s_delay_alu instid0(SALU_CYCLE_1)
	s_mov_b32 s17, exec_lo
	v_cmpx_gt_u32_e64 s59, v99
	s_cbranch_execnz .LBB391_619
.LBB391_416:                            ;   in Loop: Header=BB391_410 Depth=2
	s_or_b32 exec_lo, exec_lo, s17
	s_delay_alu instid0(SALU_CYCLE_1)
	s_mov_b32 s17, exec_lo
	v_cmpx_gt_u32_e64 s59, v100
	s_cbranch_execnz .LBB391_620
.LBB391_417:                            ;   in Loop: Header=BB391_410 Depth=2
	s_or_b32 exec_lo, exec_lo, s17
	s_delay_alu instid0(SALU_CYCLE_1)
	s_mov_b32 s17, exec_lo
	v_cmpx_gt_u32_e64 s59, v101
	s_cbranch_execnz .LBB391_621
.LBB391_418:                            ;   in Loop: Header=BB391_410 Depth=2
	s_or_b32 exec_lo, exec_lo, s17
	s_delay_alu instid0(SALU_CYCLE_1)
	s_mov_b32 s17, exec_lo
	v_cmpx_gt_u32_e64 s59, v102
	s_cbranch_execnz .LBB391_622
.LBB391_419:                            ;   in Loop: Header=BB391_410 Depth=2
	s_or_b32 exec_lo, exec_lo, s17
	s_delay_alu instid0(SALU_CYCLE_1)
	s_mov_b32 s17, exec_lo
	v_cmpx_gt_u32_e64 s59, v103
	s_cbranch_execnz .LBB391_623
.LBB391_420:                            ;   in Loop: Header=BB391_410 Depth=2
	s_or_b32 exec_lo, exec_lo, s17
	s_delay_alu instid0(SALU_CYCLE_1)
	s_mov_b32 s17, exec_lo
	v_cmpx_gt_u32_e64 s59, v104
	s_cbranch_execnz .LBB391_624
.LBB391_421:                            ;   in Loop: Header=BB391_410 Depth=2
	s_or_b32 exec_lo, exec_lo, s17
	s_delay_alu instid0(SALU_CYCLE_1)
	s_mov_b32 s17, exec_lo
	v_cmpx_gt_u32_e64 s59, v105
	s_cbranch_execnz .LBB391_625
.LBB391_422:                            ;   in Loop: Header=BB391_410 Depth=2
	s_or_b32 exec_lo, exec_lo, s17
	s_delay_alu instid0(SALU_CYCLE_1)
	s_mov_b32 s17, exec_lo
	v_cmpx_gt_u32_e64 s59, v106
	s_cbranch_execnz .LBB391_626
.LBB391_423:                            ;   in Loop: Header=BB391_410 Depth=2
	s_or_b32 exec_lo, exec_lo, s17
	s_delay_alu instid0(SALU_CYCLE_1)
	s_mov_b32 s17, exec_lo
	v_cmpx_gt_u32_e64 s59, v107
	s_cbranch_execnz .LBB391_627
.LBB391_424:                            ;   in Loop: Header=BB391_410 Depth=2
	s_or_b32 exec_lo, exec_lo, s17
	s_delay_alu instid0(SALU_CYCLE_1)
	s_mov_b32 s17, exec_lo
	v_cmpx_gt_u32_e64 s59, v108
	s_cbranch_execnz .LBB391_628
.LBB391_425:                            ;   in Loop: Header=BB391_410 Depth=2
	s_or_b32 exec_lo, exec_lo, s17
	s_delay_alu instid0(SALU_CYCLE_1)
	s_mov_b32 s17, exec_lo
	v_cmpx_gt_u32_e64 s59, v109
	s_cbranch_execnz .LBB391_629
.LBB391_426:                            ;   in Loop: Header=BB391_410 Depth=2
	s_or_b32 exec_lo, exec_lo, s17
	s_delay_alu instid0(SALU_CYCLE_1)
	s_mov_b32 s17, exec_lo
	v_cmpx_gt_u32_e64 s59, v110
	s_cbranch_execnz .LBB391_630
.LBB391_427:                            ;   in Loop: Header=BB391_410 Depth=2
	s_or_b32 exec_lo, exec_lo, s17
	s_delay_alu instid0(SALU_CYCLE_1)
	s_mov_b32 s17, exec_lo
	v_cmpx_gt_u32_e64 s59, v111
	s_cbranch_execnz .LBB391_631
.LBB391_428:                            ;   in Loop: Header=BB391_410 Depth=2
	s_or_b32 exec_lo, exec_lo, s17
	s_delay_alu instid0(SALU_CYCLE_1)
	s_mov_b32 s17, exec_lo
	v_cmpx_gt_u32_e64 s59, v112
	s_cbranch_execz .LBB391_430
.LBB391_429:                            ;   in Loop: Header=BB391_410 Depth=2
	global_load_u8 v135, v[62:63], off offset:480
.LBB391_430:                            ;   in Loop: Header=BB391_410 Depth=2
	s_wait_xcnt 0x0
	s_or_b32 exec_lo, exec_lo, s17
	v_cmp_gt_u32_e64 s17, s59, v113
	s_sub_co_i32 s18, s54, s34
.LBB391_431:                            ;   in Loop: Header=BB391_410 Depth=2
	v_mov_b32_e32 v137, s59
	s_wait_xcnt 0x0
	s_and_saveexec_b32 s19, s17
	s_cbranch_execz .LBB391_433
; %bb.432:                              ;   in Loop: Header=BB391_410 Depth=2
	v_add_nc_u64_e32 v[62:63], s[34:35], v[24:25]
	v_mov_b32_e32 v137, s18
	global_load_u8 v115, v[62:63], off offset:512
.LBB391_433:                            ;   in Loop: Header=BB391_410 Depth=2
	s_wait_xcnt 0x0
	s_or_b32 exec_lo, exec_lo, s19
	s_wait_loadcnt 0x0
	v_bitop3_b16 v62, v147, s43, 0x80 bitop3:0x48
	ds_store_2addr_b32 v90, v1, v1 offset0:136 offset1:137
	ds_store_2addr_b32 v90, v1, v1 offset0:138 offset1:139
	ds_store_b32 v90, v1 offset:560
	s_wait_dscnt 0x0
	s_barrier_signal -1
	s_barrier_wait -1
	v_and_b32_e32 v62, 0xffff, v62
	; wave barrier
	s_delay_alu instid0(VALU_DEP_1) | instskip(NEXT) | instid1(VALU_DEP_1)
	v_lshrrev_b32_e32 v62, s48, v62
	v_and_b32_e32 v149, s58, v62
	s_delay_alu instid0(VALU_DEP_1) | instskip(SKIP_1) | instid1(VALU_DEP_1)
	v_lshlrev_b32_e32 v146, 30, v149
	v_bitop3_b32 v63, v62, 1, s58 bitop3:0x80
	v_add_co_u32 v62, s17, v63, -1
	s_delay_alu instid0(VALU_DEP_1) | instskip(NEXT) | instid1(VALU_DEP_4)
	v_cndmask_b32_e64 v63, 0, 1, s17
	v_cmp_gt_i32_e64 s17, 0, v146
	s_delay_alu instid0(VALU_DEP_2) | instskip(SKIP_2) | instid1(VALU_DEP_2)
	v_cmp_ne_u32_e32 vcc_lo, 0, v63
	v_not_b32_e32 v63, v146
	v_bitop3_b32 v62, vcc_lo, exec_lo, v62 bitop3:0x48
	v_dual_ashrrev_i32 v63, 31, v63 :: v_dual_lshlrev_b32 v152, 29, v149
	v_dual_lshlrev_b32 v153, 28, v149 :: v_dual_lshlrev_b32 v154, 27, v149
	v_lshlrev_b32_e32 v155, 26, v149
	s_delay_alu instid0(VALU_DEP_3)
	v_not_b32_e32 v146, v152
	v_lshlrev_b32_e32 v156, 25, v149
	v_cmp_gt_i32_e64 s18, 0, v152
	v_cmp_gt_i32_e64 s19, 0, v153
	v_not_b32_e32 v152, v153
	v_not_b32_e32 v153, v154
	v_ashrrev_i32_e32 v146, 31, v146
	v_cmp_gt_i32_e64 s20, 0, v154
	v_cmp_gt_i32_e64 s21, 0, v155
	v_not_b32_e32 v154, v155
	v_not_b32_e32 v155, v156
	v_dual_ashrrev_i32 v152, 31, v152 :: v_dual_ashrrev_i32 v153, 31, v153
	s_delay_alu instid0(VALU_DEP_3) | instskip(NEXT) | instid1(VALU_DEP_3)
	v_dual_ashrrev_i32 v154, 31, v154 :: v_dual_bitop2_b32 v63, s17, v63 bitop3:0x14
	v_dual_ashrrev_i32 v155, 31, v155 :: v_dual_bitop2_b32 v146, s18, v146 bitop3:0x14
	v_cmp_gt_i32_e64 s22, 0, v156
	s_delay_alu instid0(VALU_DEP_4) | instskip(SKIP_1) | instid1(VALU_DEP_4)
	v_xor_b32_e32 v152, s19, v152
	v_xor_b32_e32 v153, s20, v153
	v_bitop3_b32 v62, v62, v146, v63 bitop3:0x80
	v_xor_b32_e32 v63, s21, v154
	v_xor_b32_e32 v146, s22, v155
	s_delay_alu instid0(VALU_DEP_3) | instskip(NEXT) | instid1(VALU_DEP_1)
	v_bitop3_b32 v62, v62, v153, v152 bitop3:0x80
	v_bitop3_b32 v62, v62, v146, v63 bitop3:0x80
	v_mul_u32_u24_e32 v63, 36, v149
	s_delay_alu instid0(VALU_DEP_2) | instskip(SKIP_1) | instid1(VALU_DEP_3)
	v_mbcnt_lo_u32_b32 v146, v62, 0
	v_cmp_ne_u32_e64 s17, 0, v62
	v_add_nc_u32_e32 v149, v114, v63
	s_delay_alu instid0(VALU_DEP_3) | instskip(SKIP_1) | instid1(SALU_CYCLE_1)
	v_cmp_eq_u32_e32 vcc_lo, 0, v146
	s_and_b32 s18, s17, vcc_lo
	s_and_saveexec_b32 s17, s18
; %bb.434:                              ;   in Loop: Header=BB391_410 Depth=2
	v_bcnt_u32_b32 v62, v62, 0
	ds_store_b32 v149, v62 offset:544
; %bb.435:                              ;   in Loop: Header=BB391_410 Depth=2
	s_or_b32 exec_lo, exec_lo, s17
	v_xor_b32_e32 v62, 0x80, v150
	v_xor_b32_e32 v63, 0x80, v151
	;; [unrolled: 1-line block ×4, first 2 shown]
	s_delay_alu instid0(VALU_DEP_4) | instskip(NEXT) | instid1(VALU_DEP_4)
	v_lshlrev_b16 v62, 8, v62
	v_lshlrev_b16 v63, 8, v63
	; wave barrier
	s_delay_alu instid0(VALU_DEP_2) | instskip(NEXT) | instid1(VALU_DEP_2)
	v_bitop3_b16 v147, v147, v62, 0xff bitop3:0xec
	v_bitop3_b16 v62, v148, v63, 0xff bitop3:0xec
	s_delay_alu instid0(VALU_DEP_2) | instskip(NEXT) | instid1(VALU_DEP_2)
	v_and_b32_e32 v63, 0xffff, v147
	v_lshlrev_b32_e32 v62, 16, v62
	s_delay_alu instid0(VALU_DEP_1) | instskip(NEXT) | instid1(VALU_DEP_1)
	v_or_b32_e32 v148, v63, v62
	v_bfe_u32 v62, v148, 8, 8
	s_delay_alu instid0(VALU_DEP_1) | instskip(NEXT) | instid1(VALU_DEP_1)
	v_lshrrev_b32_e32 v62, s48, v62
	v_bitop3_b32 v63, v62, 1, s58 bitop3:0x80
	v_and_b32_e32 v152, s58, v62
	s_delay_alu instid0(VALU_DEP_2) | instskip(NEXT) | instid1(VALU_DEP_1)
	v_add_co_u32 v62, s17, v63, -1
	v_cndmask_b32_e64 v63, 0, 1, s17
	s_delay_alu instid0(VALU_DEP_3) | instskip(NEXT) | instid1(VALU_DEP_2)
	v_lshlrev_b32_e32 v150, 30, v152
	v_cmp_ne_u32_e32 vcc_lo, 0, v63
	s_delay_alu instid0(VALU_DEP_2) | instskip(SKIP_2) | instid1(VALU_DEP_3)
	v_not_b32_e32 v63, v150
	v_cmp_gt_i32_e64 s17, 0, v150
	v_bitop3_b32 v62, vcc_lo, exec_lo, v62 bitop3:0x48
	v_dual_ashrrev_i32 v63, 31, v63 :: v_dual_lshlrev_b32 v151, 29, v152
	v_dual_lshlrev_b32 v153, 28, v152 :: v_dual_lshlrev_b32 v154, 27, v152
	v_lshlrev_b32_e32 v155, 26, v152
	s_delay_alu instid0(VALU_DEP_3)
	v_not_b32_e32 v150, v151
	v_lshlrev_b32_e32 v156, 25, v152
	v_cmp_gt_i32_e64 s18, 0, v151
	v_cmp_gt_i32_e64 s19, 0, v153
	v_not_b32_e32 v151, v153
	v_ashrrev_i32_e32 v150, 31, v150
	v_cmp_gt_i32_e64 s20, 0, v154
	v_not_b32_e32 v153, v154
	v_cmp_gt_i32_e64 s21, 0, v155
	v_not_b32_e32 v154, v155
	v_not_b32_e32 v155, v156
	v_xor_b32_e32 v63, s17, v63
	v_dual_ashrrev_i32 v151, 31, v151 :: v_dual_bitop2_b32 v150, s18, v150 bitop3:0x14
	s_delay_alu instid0(VALU_DEP_4) | instskip(NEXT) | instid1(VALU_DEP_4)
	v_dual_ashrrev_i32 v153, 31, v153 :: v_dual_ashrrev_i32 v154, 31, v154
	v_ashrrev_i32_e32 v155, 31, v155
	s_delay_alu instid0(VALU_DEP_3)
	v_bitop3_b32 v62, v62, v150, v63 bitop3:0x80
	v_mad_u32_u24 v63, v152, 36, v114
	v_cmp_gt_i32_e64 s22, 0, v156
	v_xor_b32_e32 v151, s19, v151
	v_xor_b32_e32 v154, s21, v154
	ds_load_b32 v150, v63 offset:544
	v_mul_u32_u24_e32 v63, 36, v152
	v_xor_b32_e32 v153, s20, v153
	v_xor_b32_e32 v155, s22, v155
	; wave barrier
	s_delay_alu instid0(VALU_DEP_3) | instskip(NEXT) | instid1(VALU_DEP_3)
	v_add_nc_u32_e32 v152, v114, v63
	v_bitop3_b32 v62, v62, v153, v151 bitop3:0x80
	s_delay_alu instid0(VALU_DEP_1) | instskip(NEXT) | instid1(VALU_DEP_1)
	v_bitop3_b32 v62, v62, v155, v154 bitop3:0x80
	v_mbcnt_lo_u32_b32 v151, v62, 0
	v_cmp_ne_u32_e64 s17, 0, v62
	s_delay_alu instid0(VALU_DEP_2) | instskip(SKIP_1) | instid1(SALU_CYCLE_1)
	v_cmp_eq_u32_e32 vcc_lo, 0, v151
	s_and_b32 s18, s17, vcc_lo
	s_and_saveexec_b32 s17, s18
	s_cbranch_execz .LBB391_437
; %bb.436:                              ;   in Loop: Header=BB391_410 Depth=2
	s_wait_dscnt 0x0
	v_bcnt_u32_b32 v62, v62, v150
	ds_store_b32 v152, v62 offset:544
.LBB391_437:                            ;   in Loop: Header=BB391_410 Depth=2
	s_or_b32 exec_lo, exec_lo, s17
	v_bfe_u32 v62, v148, 16, 8
	; wave barrier
	s_delay_alu instid0(VALU_DEP_1) | instskip(NEXT) | instid1(VALU_DEP_1)
	v_lshrrev_b32_e32 v62, s48, v62
	v_and_b32_e32 v155, s58, v62
	s_delay_alu instid0(VALU_DEP_1) | instskip(SKIP_1) | instid1(VALU_DEP_1)
	v_lshlrev_b32_e32 v153, 30, v155
	v_bitop3_b32 v63, v62, 1, s58 bitop3:0x80
	v_add_co_u32 v62, s17, v63, -1
	s_delay_alu instid0(VALU_DEP_1) | instskip(NEXT) | instid1(VALU_DEP_4)
	v_cndmask_b32_e64 v63, 0, 1, s17
	v_cmp_gt_i32_e64 s17, 0, v153
	s_delay_alu instid0(VALU_DEP_2) | instskip(SKIP_2) | instid1(VALU_DEP_2)
	v_cmp_ne_u32_e32 vcc_lo, 0, v63
	v_not_b32_e32 v63, v153
	v_bitop3_b32 v62, vcc_lo, exec_lo, v62 bitop3:0x48
	v_ashrrev_i32_e32 v63, 31, v63
	v_dual_lshlrev_b32 v154, 29, v155 :: v_dual_lshlrev_b32 v156, 28, v155
	v_dual_lshlrev_b32 v157, 27, v155 :: v_dual_lshlrev_b32 v158, 26, v155
	s_delay_alu instid0(VALU_DEP_2)
	v_not_b32_e32 v153, v154
	v_lshlrev_b32_e32 v159, 25, v155
	v_cmp_gt_i32_e64 s18, 0, v154
	v_cmp_gt_i32_e64 s19, 0, v156
	v_not_b32_e32 v154, v156
	v_not_b32_e32 v156, v157
	v_ashrrev_i32_e32 v153, 31, v153
	v_cmp_gt_i32_e64 s20, 0, v157
	v_cmp_gt_i32_e64 s21, 0, v158
	v_not_b32_e32 v157, v158
	v_dual_ashrrev_i32 v154, 31, v154 :: v_dual_ashrrev_i32 v156, 31, v156
	v_xor_b32_e32 v63, s17, v63
	v_not_b32_e32 v158, v159
	v_xor_b32_e32 v153, s18, v153
	s_delay_alu instid0(VALU_DEP_4) | instskip(SKIP_2) | instid1(VALU_DEP_4)
	v_dual_ashrrev_i32 v157, 31, v157 :: v_dual_bitop2_b32 v154, s19, v154 bitop3:0x14
	v_xor_b32_e32 v156, s20, v156
	v_cmp_gt_i32_e32 vcc_lo, 0, v159
	v_bitop3_b32 v62, v62, v153, v63 bitop3:0x80
	v_ashrrev_i32_e32 v63, 31, v158
	v_mad_u32_u24 v153, v155, 36, v114
	v_xor_b32_e32 v157, s21, v157
	s_delay_alu instid0(VALU_DEP_4) | instskip(NEXT) | instid1(VALU_DEP_4)
	v_bitop3_b32 v62, v62, v156, v154 bitop3:0x80
	v_xor_b32_e32 v63, vcc_lo, v63
	ds_load_b32 v153, v153 offset:544
	; wave barrier
	v_bitop3_b32 v62, v62, v63, v157 bitop3:0x80
	v_mul_u32_u24_e32 v63, 36, v155
	s_delay_alu instid0(VALU_DEP_2) | instskip(SKIP_1) | instid1(VALU_DEP_3)
	v_mbcnt_lo_u32_b32 v154, v62, 0
	v_cmp_ne_u32_e64 s17, 0, v62
	v_add_nc_u32_e32 v156, v114, v63
	s_delay_alu instid0(VALU_DEP_3) | instskip(SKIP_1) | instid1(SALU_CYCLE_1)
	v_cmp_eq_u32_e32 vcc_lo, 0, v154
	s_and_b32 s18, s17, vcc_lo
	s_and_saveexec_b32 s17, s18
	s_cbranch_execz .LBB391_439
; %bb.438:                              ;   in Loop: Header=BB391_410 Depth=2
	s_wait_dscnt 0x0
	v_bcnt_u32_b32 v62, v62, v153
	ds_store_b32 v156, v62 offset:544
.LBB391_439:                            ;   in Loop: Header=BB391_410 Depth=2
	s_or_b32 exec_lo, exec_lo, s17
	v_lshrrev_b32_e32 v155, 24, v148
	; wave barrier
	s_delay_alu instid0(VALU_DEP_1) | instskip(NEXT) | instid1(VALU_DEP_1)
	v_lshrrev_b32_e32 v62, s48, v155
	v_bitop3_b32 v63, v62, 1, s58 bitop3:0x80
	v_and_b32_e32 v159, s58, v62
	s_delay_alu instid0(VALU_DEP_2) | instskip(NEXT) | instid1(VALU_DEP_1)
	v_add_co_u32 v62, s17, v63, -1
	v_cndmask_b32_e64 v63, 0, 1, s17
	s_delay_alu instid0(VALU_DEP_3) | instskip(SKIP_1) | instid1(VALU_DEP_3)
	v_dual_lshlrev_b32 v157, 30, v159 :: v_dual_lshlrev_b32 v158, 29, v159
	v_dual_lshlrev_b32 v160, 28, v159 :: v_dual_lshlrev_b32 v161, 27, v159
	v_cmp_ne_u32_e32 vcc_lo, 0, v63
	s_delay_alu instid0(VALU_DEP_3)
	v_cmp_gt_i32_e64 s17, 0, v157
	v_not_b32_e32 v63, v157
	v_not_b32_e32 v157, v158
	v_dual_lshlrev_b32 v162, 26, v159 :: v_dual_lshlrev_b32 v163, 25, v159
	v_cmp_gt_i32_e64 s18, 0, v158
	v_cmp_gt_i32_e64 s19, 0, v160
	v_not_b32_e32 v158, v160
	v_not_b32_e32 v160, v161
	v_dual_ashrrev_i32 v63, 31, v63 :: v_dual_ashrrev_i32 v157, 31, v157
	v_cmp_gt_i32_e64 s20, 0, v161
	v_cmp_gt_i32_e64 s21, 0, v162
	v_not_b32_e32 v161, v162
	v_bitop3_b32 v62, vcc_lo, exec_lo, v62 bitop3:0x48
	v_dual_ashrrev_i32 v158, 31, v158 :: v_dual_ashrrev_i32 v160, 31, v160
	v_xor_b32_e32 v63, s17, v63
	v_not_b32_e32 v162, v163
	v_xor_b32_e32 v157, s18, v157
	s_delay_alu instid0(VALU_DEP_4) | instskip(SKIP_2) | instid1(VALU_DEP_4)
	v_dual_ashrrev_i32 v161, 31, v161 :: v_dual_bitop2_b32 v158, s19, v158 bitop3:0x14
	v_xor_b32_e32 v160, s20, v160
	v_cmp_gt_i32_e32 vcc_lo, 0, v163
	v_bitop3_b32 v62, v62, v157, v63 bitop3:0x80
	v_ashrrev_i32_e32 v63, 31, v162
	v_mad_u32_u24 v157, v159, 36, v114
	v_xor_b32_e32 v161, s21, v161
	s_delay_alu instid0(VALU_DEP_4) | instskip(NEXT) | instid1(VALU_DEP_4)
	v_bitop3_b32 v62, v62, v160, v158 bitop3:0x80
	v_xor_b32_e32 v63, vcc_lo, v63
	ds_load_b32 v157, v157 offset:544
	; wave barrier
	v_bitop3_b32 v62, v62, v63, v161 bitop3:0x80
	v_mul_u32_u24_e32 v63, 36, v159
	s_delay_alu instid0(VALU_DEP_2) | instskip(SKIP_1) | instid1(VALU_DEP_3)
	v_mbcnt_lo_u32_b32 v158, v62, 0
	v_cmp_ne_u32_e64 s17, 0, v62
	v_add_nc_u32_e32 v159, v114, v63
	s_delay_alu instid0(VALU_DEP_3) | instskip(SKIP_1) | instid1(SALU_CYCLE_1)
	v_cmp_eq_u32_e32 vcc_lo, 0, v158
	s_and_b32 s18, s17, vcc_lo
	s_and_saveexec_b32 s17, s18
	s_cbranch_execz .LBB391_441
; %bb.440:                              ;   in Loop: Header=BB391_410 Depth=2
	s_wait_dscnt 0x0
	v_bcnt_u32_b32 v62, v62, v157
	ds_store_b32 v159, v62 offset:544
.LBB391_441:                            ;   in Loop: Header=BB391_410 Depth=2
	s_or_b32 exec_lo, exec_lo, s17
	v_bitop3_b16 v62, v142, s43, 0x80 bitop3:0x48
	; wave barrier
	s_delay_alu instid0(VALU_DEP_1) | instskip(NEXT) | instid1(VALU_DEP_1)
	v_and_b32_e32 v62, 0xffff, v62
	v_lshrrev_b32_e32 v62, s48, v62
	s_delay_alu instid0(VALU_DEP_1) | instskip(SKIP_1) | instid1(VALU_DEP_2)
	v_bitop3_b32 v63, v62, 1, s58 bitop3:0x80
	v_and_b32_e32 v162, s58, v62
	v_add_co_u32 v62, s17, v63, -1
	s_delay_alu instid0(VALU_DEP_1) | instskip(NEXT) | instid1(VALU_DEP_3)
	v_cndmask_b32_e64 v63, 0, 1, s17
	v_dual_lshlrev_b32 v160, 30, v162 :: v_dual_lshlrev_b32 v161, 29, v162
	s_delay_alu instid0(VALU_DEP_2) | instskip(NEXT) | instid1(VALU_DEP_2)
	v_cmp_ne_u32_e32 vcc_lo, 0, v63
	v_cmp_gt_i32_e64 s17, 0, v160
	v_not_b32_e32 v63, v160
	s_delay_alu instid0(VALU_DEP_4) | instskip(SKIP_2) | instid1(VALU_DEP_3)
	v_not_b32_e32 v160, v161
	v_cmp_gt_i32_e64 s18, 0, v161
	v_bitop3_b32 v62, vcc_lo, exec_lo, v62 bitop3:0x48
	v_dual_ashrrev_i32 v63, 31, v63 :: v_dual_ashrrev_i32 v160, 31, v160
	v_dual_lshlrev_b32 v163, 28, v162 :: v_dual_lshlrev_b32 v164, 27, v162
	v_dual_lshlrev_b32 v165, 26, v162 :: v_dual_lshlrev_b32 v166, 25, v162
	s_delay_alu instid0(VALU_DEP_2) | instskip(SKIP_1) | instid1(VALU_DEP_4)
	v_cmp_gt_i32_e64 s19, 0, v163
	v_not_b32_e32 v161, v163
	v_cmp_gt_i32_e64 s20, 0, v164
	v_not_b32_e32 v163, v164
	;; [unrolled: 2-line block ×3, first 2 shown]
	v_not_b32_e32 v165, v166
	v_xor_b32_e32 v63, s17, v63
	v_dual_ashrrev_i32 v161, 31, v161 :: v_dual_bitop2_b32 v160, s18, v160 bitop3:0x14
	s_delay_alu instid0(VALU_DEP_4) | instskip(NEXT) | instid1(VALU_DEP_4)
	v_dual_ashrrev_i32 v163, 31, v163 :: v_dual_ashrrev_i32 v164, 31, v164
	v_ashrrev_i32_e32 v165, 31, v165
	s_delay_alu instid0(VALU_DEP_3)
	v_bitop3_b32 v62, v62, v160, v63 bitop3:0x80
	v_mad_u32_u24 v63, v162, 36, v114
	v_cmp_gt_i32_e64 s22, 0, v166
	v_xor_b32_e32 v163, s20, v163
	v_xor_b32_e32 v164, s21, v164
	ds_load_b32 v160, v63 offset:544
	v_mul_u32_u24_e32 v63, 36, v162
	v_xor_b32_e32 v161, s19, v161
	v_xor_b32_e32 v165, s22, v165
	; wave barrier
	s_delay_alu instid0(VALU_DEP_3) | instskip(NEXT) | instid1(VALU_DEP_3)
	v_add_nc_u32_e32 v162, v114, v63
	v_bitop3_b32 v62, v62, v163, v161 bitop3:0x80
	s_delay_alu instid0(VALU_DEP_1) | instskip(NEXT) | instid1(VALU_DEP_1)
	v_bitop3_b32 v62, v62, v165, v164 bitop3:0x80
	v_mbcnt_lo_u32_b32 v161, v62, 0
	v_cmp_ne_u32_e64 s17, 0, v62
	s_delay_alu instid0(VALU_DEP_2) | instskip(SKIP_1) | instid1(SALU_CYCLE_1)
	v_cmp_eq_u32_e32 vcc_lo, 0, v161
	s_and_b32 s18, s17, vcc_lo
	s_and_saveexec_b32 s17, s18
	s_cbranch_execz .LBB391_443
; %bb.442:                              ;   in Loop: Header=BB391_410 Depth=2
	s_wait_dscnt 0x0
	v_bcnt_u32_b32 v62, v62, v160
	ds_store_b32 v162, v62 offset:544
.LBB391_443:                            ;   in Loop: Header=BB391_410 Depth=2
	s_or_b32 exec_lo, exec_lo, s17
	v_xor_b32_e32 v62, 0x80, v145
	v_xor_b32_e32 v63, 0x80, v144
	;; [unrolled: 1-line block ×4, first 2 shown]
	s_delay_alu instid0(VALU_DEP_4) | instskip(NEXT) | instid1(VALU_DEP_4)
	v_lshlrev_b16 v62, 8, v62
	v_lshlrev_b16 v63, 8, v63
	; wave barrier
	s_delay_alu instid0(VALU_DEP_2) | instskip(NEXT) | instid1(VALU_DEP_2)
	v_bitop3_b16 v142, v142, v62, 0xff bitop3:0xec
	v_bitop3_b16 v62, v143, v63, 0xff bitop3:0xec
	s_delay_alu instid0(VALU_DEP_2) | instskip(NEXT) | instid1(VALU_DEP_2)
	v_and_b32_e32 v63, 0xffff, v142
	v_lshlrev_b32_e32 v62, 16, v62
	s_delay_alu instid0(VALU_DEP_1) | instskip(NEXT) | instid1(VALU_DEP_1)
	v_or_b32_e32 v143, v63, v62
	v_bfe_u32 v62, v143, 8, 8
	s_delay_alu instid0(VALU_DEP_1) | instskip(NEXT) | instid1(VALU_DEP_1)
	v_lshrrev_b32_e32 v62, s48, v62
	v_bitop3_b32 v63, v62, 1, s58 bitop3:0x80
	v_and_b32_e32 v163, s58, v62
	s_delay_alu instid0(VALU_DEP_2) | instskip(NEXT) | instid1(VALU_DEP_1)
	v_add_co_u32 v62, s17, v63, -1
	v_cndmask_b32_e64 v63, 0, 1, s17
	s_delay_alu instid0(VALU_DEP_3) | instskip(NEXT) | instid1(VALU_DEP_2)
	v_lshlrev_b32_e32 v144, 30, v163
	v_cmp_ne_u32_e32 vcc_lo, 0, v63
	s_delay_alu instid0(VALU_DEP_2) | instskip(SKIP_2) | instid1(VALU_DEP_3)
	v_not_b32_e32 v63, v144
	v_cmp_gt_i32_e64 s17, 0, v144
	v_bitop3_b32 v62, vcc_lo, exec_lo, v62 bitop3:0x48
	v_ashrrev_i32_e32 v63, 31, v63
	v_dual_lshlrev_b32 v145, 29, v163 :: v_dual_lshlrev_b32 v164, 28, v163
	v_dual_lshlrev_b32 v165, 27, v163 :: v_dual_lshlrev_b32 v166, 26, v163
	s_delay_alu instid0(VALU_DEP_2)
	v_not_b32_e32 v144, v145
	v_lshlrev_b32_e32 v167, 25, v163
	v_cmp_gt_i32_e64 s18, 0, v145
	v_cmp_gt_i32_e64 s19, 0, v164
	v_not_b32_e32 v145, v164
	v_ashrrev_i32_e32 v144, 31, v144
	v_cmp_gt_i32_e64 s20, 0, v165
	v_not_b32_e32 v164, v165
	v_cmp_gt_i32_e64 s21, 0, v166
	v_not_b32_e32 v165, v166
	v_not_b32_e32 v166, v167
	v_xor_b32_e32 v63, s17, v63
	v_dual_ashrrev_i32 v145, 31, v145 :: v_dual_bitop2_b32 v144, s18, v144 bitop3:0x14
	s_delay_alu instid0(VALU_DEP_4) | instskip(NEXT) | instid1(VALU_DEP_4)
	v_dual_ashrrev_i32 v164, 31, v164 :: v_dual_ashrrev_i32 v165, 31, v165
	v_ashrrev_i32_e32 v166, 31, v166
	s_delay_alu instid0(VALU_DEP_3)
	v_bitop3_b32 v62, v62, v144, v63 bitop3:0x80
	v_mad_u32_u24 v63, v163, 36, v114
	v_cmp_gt_i32_e64 s22, 0, v167
	v_xor_b32_e32 v164, s20, v164
	v_xor_b32_e32 v165, s21, v165
	ds_load_b32 v144, v63 offset:544
	v_mul_u32_u24_e32 v63, 36, v163
	v_xor_b32_e32 v145, s19, v145
	v_xor_b32_e32 v166, s22, v166
	; wave barrier
	s_delay_alu instid0(VALU_DEP_3) | instskip(NEXT) | instid1(VALU_DEP_3)
	v_add_nc_u32_e32 v163, v114, v63
	v_bitop3_b32 v62, v62, v164, v145 bitop3:0x80
	s_delay_alu instid0(VALU_DEP_1) | instskip(NEXT) | instid1(VALU_DEP_1)
	v_bitop3_b32 v62, v62, v166, v165 bitop3:0x80
	v_mbcnt_lo_u32_b32 v145, v62, 0
	v_cmp_ne_u32_e64 s17, 0, v62
	s_delay_alu instid0(VALU_DEP_2) | instskip(SKIP_1) | instid1(SALU_CYCLE_1)
	v_cmp_eq_u32_e32 vcc_lo, 0, v145
	s_and_b32 s18, s17, vcc_lo
	s_and_saveexec_b32 s17, s18
	s_cbranch_execz .LBB391_445
; %bb.444:                              ;   in Loop: Header=BB391_410 Depth=2
	s_wait_dscnt 0x0
	v_bcnt_u32_b32 v62, v62, v144
	ds_store_b32 v163, v62 offset:544
.LBB391_445:                            ;   in Loop: Header=BB391_410 Depth=2
	s_or_b32 exec_lo, exec_lo, s17
	v_bfe_u32 v62, v143, 16, 8
	; wave barrier
	s_delay_alu instid0(VALU_DEP_1) | instskip(NEXT) | instid1(VALU_DEP_1)
	v_lshrrev_b32_e32 v62, s48, v62
	v_bitop3_b32 v63, v62, 1, s58 bitop3:0x80
	v_and_b32_e32 v166, s58, v62
	s_delay_alu instid0(VALU_DEP_2) | instskip(NEXT) | instid1(VALU_DEP_1)
	v_add_co_u32 v62, s17, v63, -1
	v_cndmask_b32_e64 v63, 0, 1, s17
	s_delay_alu instid0(VALU_DEP_3) | instskip(NEXT) | instid1(VALU_DEP_2)
	v_dual_lshlrev_b32 v164, 30, v166 :: v_dual_lshlrev_b32 v165, 29, v166
	v_cmp_ne_u32_e32 vcc_lo, 0, v63
	s_delay_alu instid0(VALU_DEP_2) | instskip(SKIP_1) | instid1(VALU_DEP_4)
	v_cmp_gt_i32_e64 s17, 0, v164
	v_not_b32_e32 v63, v164
	v_not_b32_e32 v164, v165
	v_cmp_gt_i32_e64 s18, 0, v165
	v_bitop3_b32 v62, vcc_lo, exec_lo, v62 bitop3:0x48
	s_delay_alu instid0(VALU_DEP_3) | instskip(SKIP_2) | instid1(VALU_DEP_2)
	v_dual_ashrrev_i32 v63, 31, v63 :: v_dual_ashrrev_i32 v164, 31, v164
	v_dual_lshlrev_b32 v167, 28, v166 :: v_dual_lshlrev_b32 v168, 27, v166
	v_dual_lshlrev_b32 v169, 26, v166 :: v_dual_lshlrev_b32 v170, 25, v166
	v_cmp_gt_i32_e64 s19, 0, v167
	v_not_b32_e32 v165, v167
	s_delay_alu instid0(VALU_DEP_4) | instskip(SKIP_3) | instid1(VALU_DEP_4)
	v_not_b32_e32 v167, v168
	v_cmp_gt_i32_e64 s20, 0, v168
	v_cmp_gt_i32_e64 s21, 0, v169
	v_not_b32_e32 v168, v169
	v_dual_ashrrev_i32 v165, 31, v165 :: v_dual_ashrrev_i32 v167, 31, v167
	v_xor_b32_e32 v63, s17, v63
	v_not_b32_e32 v169, v170
	v_xor_b32_e32 v164, s18, v164
	s_delay_alu instid0(VALU_DEP_4) | instskip(SKIP_2) | instid1(VALU_DEP_4)
	v_dual_ashrrev_i32 v168, 31, v168 :: v_dual_bitop2_b32 v165, s19, v165 bitop3:0x14
	v_xor_b32_e32 v167, s20, v167
	v_cmp_gt_i32_e32 vcc_lo, 0, v170
	v_bitop3_b32 v62, v62, v164, v63 bitop3:0x80
	v_ashrrev_i32_e32 v63, 31, v169
	v_mad_u32_u24 v164, v166, 36, v114
	v_xor_b32_e32 v168, s21, v168
	s_delay_alu instid0(VALU_DEP_4) | instskip(NEXT) | instid1(VALU_DEP_4)
	v_bitop3_b32 v62, v62, v167, v165 bitop3:0x80
	v_xor_b32_e32 v63, vcc_lo, v63
	ds_load_b32 v164, v164 offset:544
	; wave barrier
	v_bitop3_b32 v62, v62, v63, v168 bitop3:0x80
	v_mul_u32_u24_e32 v63, 36, v166
	s_delay_alu instid0(VALU_DEP_2) | instskip(SKIP_1) | instid1(VALU_DEP_3)
	v_mbcnt_lo_u32_b32 v165, v62, 0
	v_cmp_ne_u32_e64 s17, 0, v62
	v_add_nc_u32_e32 v167, v114, v63
	s_delay_alu instid0(VALU_DEP_3) | instskip(SKIP_1) | instid1(SALU_CYCLE_1)
	v_cmp_eq_u32_e32 vcc_lo, 0, v165
	s_and_b32 s18, s17, vcc_lo
	s_and_saveexec_b32 s17, s18
	s_cbranch_execz .LBB391_447
; %bb.446:                              ;   in Loop: Header=BB391_410 Depth=2
	s_wait_dscnt 0x0
	v_bcnt_u32_b32 v62, v62, v164
	ds_store_b32 v167, v62 offset:544
.LBB391_447:                            ;   in Loop: Header=BB391_410 Depth=2
	s_or_b32 exec_lo, exec_lo, s17
	v_lshrrev_b32_e32 v166, 24, v143
	; wave barrier
	s_delay_alu instid0(VALU_DEP_1) | instskip(NEXT) | instid1(VALU_DEP_1)
	v_lshrrev_b32_e32 v62, s48, v166
	v_bitop3_b32 v63, v62, 1, s58 bitop3:0x80
	v_and_b32_e32 v170, s58, v62
	s_delay_alu instid0(VALU_DEP_2) | instskip(NEXT) | instid1(VALU_DEP_1)
	v_add_co_u32 v62, s17, v63, -1
	v_cndmask_b32_e64 v63, 0, 1, s17
	s_delay_alu instid0(VALU_DEP_3) | instskip(SKIP_1) | instid1(VALU_DEP_3)
	v_dual_lshlrev_b32 v168, 30, v170 :: v_dual_lshlrev_b32 v169, 29, v170
	v_dual_lshlrev_b32 v171, 28, v170 :: v_dual_lshlrev_b32 v172, 27, v170
	v_cmp_ne_u32_e32 vcc_lo, 0, v63
	s_delay_alu instid0(VALU_DEP_3)
	v_cmp_gt_i32_e64 s17, 0, v168
	v_not_b32_e32 v63, v168
	v_not_b32_e32 v168, v169
	v_dual_lshlrev_b32 v173, 26, v170 :: v_dual_lshlrev_b32 v174, 25, v170
	v_cmp_gt_i32_e64 s18, 0, v169
	v_cmp_gt_i32_e64 s19, 0, v171
	v_not_b32_e32 v169, v171
	v_not_b32_e32 v171, v172
	v_dual_ashrrev_i32 v63, 31, v63 :: v_dual_ashrrev_i32 v168, 31, v168
	v_cmp_gt_i32_e64 s20, 0, v172
	v_cmp_gt_i32_e64 s21, 0, v173
	v_not_b32_e32 v172, v173
	v_bitop3_b32 v62, vcc_lo, exec_lo, v62 bitop3:0x48
	v_dual_ashrrev_i32 v169, 31, v169 :: v_dual_ashrrev_i32 v171, 31, v171
	v_xor_b32_e32 v168, s18, v168
	s_delay_alu instid0(VALU_DEP_4) | instskip(SKIP_1) | instid1(VALU_DEP_4)
	v_dual_ashrrev_i32 v172, 31, v172 :: v_dual_bitop2_b32 v63, s17, v63 bitop3:0x14
	v_not_b32_e32 v173, v174
	v_xor_b32_e32 v169, s19, v169
	v_xor_b32_e32 v171, s20, v171
	s_delay_alu instid0(VALU_DEP_4)
	v_bitop3_b32 v62, v62, v168, v63 bitop3:0x80
	v_cmp_gt_i32_e32 vcc_lo, 0, v174
	v_ashrrev_i32_e32 v63, 31, v173
	v_mad_u32_u24 v168, v170, 36, v114
	v_xor_b32_e32 v172, s21, v172
	v_bitop3_b32 v62, v62, v171, v169 bitop3:0x80
	s_delay_alu instid0(VALU_DEP_4) | instskip(SKIP_3) | instid1(VALU_DEP_2)
	v_xor_b32_e32 v63, vcc_lo, v63
	ds_load_b32 v168, v168 offset:544
	; wave barrier
	v_bitop3_b32 v62, v62, v63, v172 bitop3:0x80
	v_mul_u32_u24_e32 v63, 36, v170
	v_mbcnt_lo_u32_b32 v169, v62, 0
	v_cmp_ne_u32_e64 s17, 0, v62
	s_delay_alu instid0(VALU_DEP_3) | instskip(NEXT) | instid1(VALU_DEP_3)
	v_add_nc_u32_e32 v170, v114, v63
	v_cmp_eq_u32_e32 vcc_lo, 0, v169
	s_and_b32 s18, s17, vcc_lo
	s_delay_alu instid0(SALU_CYCLE_1)
	s_and_saveexec_b32 s17, s18
	s_cbranch_execz .LBB391_449
; %bb.448:                              ;   in Loop: Header=BB391_410 Depth=2
	s_wait_dscnt 0x0
	v_bcnt_u32_b32 v62, v62, v168
	ds_store_b32 v170, v62 offset:544
.LBB391_449:                            ;   in Loop: Header=BB391_410 Depth=2
	s_or_b32 exec_lo, exec_lo, s17
	v_bitop3_b16 v62, v138, s43, 0x80 bitop3:0x48
	; wave barrier
	s_delay_alu instid0(VALU_DEP_1) | instskip(NEXT) | instid1(VALU_DEP_1)
	v_and_b32_e32 v62, 0xffff, v62
	v_lshrrev_b32_e32 v62, s48, v62
	s_delay_alu instid0(VALU_DEP_1) | instskip(NEXT) | instid1(VALU_DEP_1)
	v_and_b32_e32 v173, s58, v62
	v_lshlrev_b32_e32 v171, 30, v173
	v_bitop3_b32 v63, v62, 1, s58 bitop3:0x80
	s_delay_alu instid0(VALU_DEP_1) | instskip(NEXT) | instid1(VALU_DEP_1)
	v_add_co_u32 v62, s17, v63, -1
	v_cndmask_b32_e64 v63, 0, 1, s17
	s_delay_alu instid0(VALU_DEP_4) | instskip(NEXT) | instid1(VALU_DEP_2)
	v_cmp_gt_i32_e64 s17, 0, v171
	v_cmp_ne_u32_e32 vcc_lo, 0, v63
	v_not_b32_e32 v63, v171
	v_bitop3_b32 v62, vcc_lo, exec_lo, v62 bitop3:0x48
	s_delay_alu instid0(VALU_DEP_2) | instskip(SKIP_2) | instid1(VALU_DEP_3)
	v_dual_ashrrev_i32 v63, 31, v63 :: v_dual_lshlrev_b32 v172, 29, v173
	v_dual_lshlrev_b32 v174, 28, v173 :: v_dual_lshlrev_b32 v175, 27, v173
	v_lshlrev_b32_e32 v176, 26, v173
	v_not_b32_e32 v171, v172
	v_lshlrev_b32_e32 v177, 25, v173
	v_cmp_gt_i32_e64 s18, 0, v172
	v_cmp_gt_i32_e64 s19, 0, v174
	v_not_b32_e32 v172, v174
	v_ashrrev_i32_e32 v171, 31, v171
	v_cmp_gt_i32_e64 s20, 0, v175
	v_not_b32_e32 v174, v175
	v_cmp_gt_i32_e64 s21, 0, v176
	v_not_b32_e32 v175, v176
	v_not_b32_e32 v176, v177
	v_xor_b32_e32 v63, s17, v63
	v_dual_ashrrev_i32 v172, 31, v172 :: v_dual_bitop2_b32 v171, s18, v171 bitop3:0x14
	s_delay_alu instid0(VALU_DEP_3) | instskip(SKIP_1) | instid1(VALU_DEP_3)
	v_dual_ashrrev_i32 v174, 31, v174 :: v_dual_ashrrev_i32 v176, 31, v176
	v_cmp_gt_i32_e64 s22, 0, v177
	v_bitop3_b32 v62, v62, v171, v63 bitop3:0x80
	v_mad_u32_u24 v63, v173, 36, v114
	v_dual_ashrrev_i32 v175, 31, v175 :: v_dual_bitop2_b32 v172, s19, v172 bitop3:0x14
	s_delay_alu instid0(VALU_DEP_4) | instskip(SKIP_4) | instid1(VALU_DEP_3)
	v_xor_b32_e32 v176, s22, v176
	ds_load_b32 v171, v63 offset:544
	v_mul_u32_u24_e32 v63, 36, v173
	v_xor_b32_e32 v174, s20, v174
	v_xor_b32_e32 v175, s21, v175
	; wave barrier
	v_add_nc_u32_e32 v173, v114, v63
	s_delay_alu instid0(VALU_DEP_3) | instskip(NEXT) | instid1(VALU_DEP_1)
	v_bitop3_b32 v62, v62, v174, v172 bitop3:0x80
	v_bitop3_b32 v62, v62, v176, v175 bitop3:0x80
	s_delay_alu instid0(VALU_DEP_1) | instskip(SKIP_1) | instid1(VALU_DEP_2)
	v_mbcnt_lo_u32_b32 v172, v62, 0
	v_cmp_ne_u32_e64 s17, 0, v62
	v_cmp_eq_u32_e32 vcc_lo, 0, v172
	s_and_b32 s18, s17, vcc_lo
	s_delay_alu instid0(SALU_CYCLE_1)
	s_and_saveexec_b32 s17, s18
	s_cbranch_execz .LBB391_451
; %bb.450:                              ;   in Loop: Header=BB391_410 Depth=2
	s_wait_dscnt 0x0
	v_bcnt_u32_b32 v62, v62, v171
	ds_store_b32 v173, v62 offset:544
.LBB391_451:                            ;   in Loop: Header=BB391_410 Depth=2
	s_or_b32 exec_lo, exec_lo, s17
	v_xor_b32_e32 v62, 0x80, v141
	v_xor_b32_e32 v63, 0x80, v140
	v_xor_b32_e32 v138, 0x80, v138
	v_xor_b32_e32 v139, 0x80, v139
	s_delay_alu instid0(VALU_DEP_4) | instskip(NEXT) | instid1(VALU_DEP_4)
	v_lshlrev_b16 v62, 8, v62
	v_lshlrev_b16 v63, 8, v63
	; wave barrier
	s_delay_alu instid0(VALU_DEP_2) | instskip(NEXT) | instid1(VALU_DEP_2)
	v_bitop3_b16 v138, v138, v62, 0xff bitop3:0xec
	v_bitop3_b16 v62, v139, v63, 0xff bitop3:0xec
	s_delay_alu instid0(VALU_DEP_2) | instskip(NEXT) | instid1(VALU_DEP_2)
	v_and_b32_e32 v63, 0xffff, v138
	v_lshlrev_b32_e32 v62, 16, v62
	s_delay_alu instid0(VALU_DEP_1) | instskip(NEXT) | instid1(VALU_DEP_1)
	v_or_b32_e32 v139, v63, v62
	v_bfe_u32 v62, v139, 8, 8
	s_delay_alu instid0(VALU_DEP_1) | instskip(NEXT) | instid1(VALU_DEP_1)
	v_lshrrev_b32_e32 v62, s48, v62
	v_bitop3_b32 v63, v62, 1, s58 bitop3:0x80
	v_and_b32_e32 v174, s58, v62
	s_delay_alu instid0(VALU_DEP_2) | instskip(NEXT) | instid1(VALU_DEP_1)
	v_add_co_u32 v62, s17, v63, -1
	v_cndmask_b32_e64 v63, 0, 1, s17
	s_delay_alu instid0(VALU_DEP_3) | instskip(NEXT) | instid1(VALU_DEP_2)
	v_dual_lshlrev_b32 v140, 30, v174 :: v_dual_lshlrev_b32 v141, 29, v174
	v_cmp_ne_u32_e32 vcc_lo, 0, v63
	s_delay_alu instid0(VALU_DEP_2) | instskip(SKIP_1) | instid1(VALU_DEP_4)
	v_cmp_gt_i32_e64 s17, 0, v140
	v_not_b32_e32 v63, v140
	v_not_b32_e32 v140, v141
	v_cmp_gt_i32_e64 s18, 0, v141
	v_bitop3_b32 v62, vcc_lo, exec_lo, v62 bitop3:0x48
	s_delay_alu instid0(VALU_DEP_3) | instskip(SKIP_2) | instid1(VALU_DEP_2)
	v_dual_ashrrev_i32 v63, 31, v63 :: v_dual_ashrrev_i32 v140, 31, v140
	v_dual_lshlrev_b32 v175, 28, v174 :: v_dual_lshlrev_b32 v176, 27, v174
	v_dual_lshlrev_b32 v177, 26, v174 :: v_dual_lshlrev_b32 v178, 25, v174
	v_cmp_gt_i32_e64 s19, 0, v175
	v_not_b32_e32 v141, v175
	s_delay_alu instid0(VALU_DEP_4)
	v_cmp_gt_i32_e64 s20, 0, v176
	v_not_b32_e32 v175, v176
	v_cmp_gt_i32_e64 s21, 0, v177
	v_not_b32_e32 v176, v177
	v_not_b32_e32 v177, v178
	v_xor_b32_e32 v63, s17, v63
	v_dual_ashrrev_i32 v141, 31, v141 :: v_dual_bitop2_b32 v140, s18, v140 bitop3:0x14
	s_delay_alu instid0(VALU_DEP_4) | instskip(NEXT) | instid1(VALU_DEP_4)
	v_dual_ashrrev_i32 v175, 31, v175 :: v_dual_ashrrev_i32 v176, 31, v176
	v_ashrrev_i32_e32 v177, 31, v177
	s_delay_alu instid0(VALU_DEP_3)
	v_bitop3_b32 v62, v62, v140, v63 bitop3:0x80
	v_mad_u32_u24 v63, v174, 36, v114
	v_cmp_gt_i32_e64 s22, 0, v178
	v_xor_b32_e32 v175, s20, v175
	v_xor_b32_e32 v176, s21, v176
	ds_load_b32 v140, v63 offset:544
	v_mul_u32_u24_e32 v63, 36, v174
	v_xor_b32_e32 v141, s19, v141
	v_xor_b32_e32 v177, s22, v177
	; wave barrier
	s_delay_alu instid0(VALU_DEP_3) | instskip(NEXT) | instid1(VALU_DEP_3)
	v_add_nc_u32_e32 v174, v114, v63
	v_bitop3_b32 v62, v62, v175, v141 bitop3:0x80
	s_delay_alu instid0(VALU_DEP_1) | instskip(NEXT) | instid1(VALU_DEP_1)
	v_bitop3_b32 v62, v62, v177, v176 bitop3:0x80
	v_mbcnt_lo_u32_b32 v141, v62, 0
	v_cmp_ne_u32_e64 s17, 0, v62
	s_delay_alu instid0(VALU_DEP_2) | instskip(SKIP_1) | instid1(SALU_CYCLE_1)
	v_cmp_eq_u32_e32 vcc_lo, 0, v141
	s_and_b32 s18, s17, vcc_lo
	s_and_saveexec_b32 s17, s18
	s_cbranch_execz .LBB391_453
; %bb.452:                              ;   in Loop: Header=BB391_410 Depth=2
	s_wait_dscnt 0x0
	v_bcnt_u32_b32 v62, v62, v140
	ds_store_b32 v174, v62 offset:544
.LBB391_453:                            ;   in Loop: Header=BB391_410 Depth=2
	s_or_b32 exec_lo, exec_lo, s17
	v_bfe_u32 v62, v139, 16, 8
	; wave barrier
	s_delay_alu instid0(VALU_DEP_1) | instskip(NEXT) | instid1(VALU_DEP_1)
	v_lshrrev_b32_e32 v62, s48, v62
	v_and_b32_e32 v177, s58, v62
	s_delay_alu instid0(VALU_DEP_1) | instskip(SKIP_1) | instid1(VALU_DEP_1)
	v_lshlrev_b32_e32 v175, 30, v177
	v_bitop3_b32 v63, v62, 1, s58 bitop3:0x80
	v_add_co_u32 v62, s17, v63, -1
	s_delay_alu instid0(VALU_DEP_1) | instskip(NEXT) | instid1(VALU_DEP_4)
	v_cndmask_b32_e64 v63, 0, 1, s17
	v_cmp_gt_i32_e64 s17, 0, v175
	s_delay_alu instid0(VALU_DEP_2) | instskip(SKIP_2) | instid1(VALU_DEP_2)
	v_cmp_ne_u32_e32 vcc_lo, 0, v63
	v_not_b32_e32 v63, v175
	v_bitop3_b32 v62, vcc_lo, exec_lo, v62 bitop3:0x48
	v_dual_ashrrev_i32 v63, 31, v63 :: v_dual_lshlrev_b32 v176, 29, v177
	v_dual_lshlrev_b32 v178, 28, v177 :: v_dual_lshlrev_b32 v179, 27, v177
	s_delay_alu instid0(VALU_DEP_2) | instskip(NEXT) | instid1(VALU_DEP_3)
	v_dual_lshlrev_b32 v180, 26, v177 :: v_dual_bitop2_b32 v63, s17, v63 bitop3:0x14
	v_not_b32_e32 v175, v176
	v_lshlrev_b32_e32 v181, 25, v177
	v_cmp_gt_i32_e64 s18, 0, v176
	v_cmp_gt_i32_e64 s19, 0, v178
	v_not_b32_e32 v176, v178
	v_not_b32_e32 v178, v179
	v_ashrrev_i32_e32 v175, 31, v175
	v_cmp_gt_i32_e64 s20, 0, v179
	v_cmp_gt_i32_e64 s21, 0, v180
	v_not_b32_e32 v179, v180
	v_dual_ashrrev_i32 v176, 31, v176 :: v_dual_ashrrev_i32 v178, 31, v178
	v_not_b32_e32 v180, v181
	v_xor_b32_e32 v175, s18, v175
	s_delay_alu instid0(VALU_DEP_3) | instskip(NEXT) | instid1(VALU_DEP_4)
	v_dual_ashrrev_i32 v179, 31, v179 :: v_dual_bitop2_b32 v176, s19, v176 bitop3:0x14
	v_xor_b32_e32 v178, s20, v178
	v_cmp_gt_i32_e32 vcc_lo, 0, v181
	s_delay_alu instid0(VALU_DEP_4) | instskip(SKIP_3) | instid1(VALU_DEP_4)
	v_bitop3_b32 v62, v62, v175, v63 bitop3:0x80
	v_ashrrev_i32_e32 v63, 31, v180
	v_mad_u32_u24 v175, v177, 36, v114
	v_xor_b32_e32 v179, s21, v179
	v_bitop3_b32 v62, v62, v178, v176 bitop3:0x80
	s_delay_alu instid0(VALU_DEP_4) | instskip(SKIP_3) | instid1(VALU_DEP_2)
	v_xor_b32_e32 v63, vcc_lo, v63
	ds_load_b32 v175, v175 offset:544
	; wave barrier
	v_bitop3_b32 v62, v62, v63, v179 bitop3:0x80
	v_mul_u32_u24_e32 v63, 36, v177
	v_mbcnt_lo_u32_b32 v176, v62, 0
	v_cmp_ne_u32_e64 s17, 0, v62
	s_delay_alu instid0(VALU_DEP_3) | instskip(NEXT) | instid1(VALU_DEP_3)
	v_add_nc_u32_e32 v178, v114, v63
	v_cmp_eq_u32_e32 vcc_lo, 0, v176
	s_and_b32 s18, s17, vcc_lo
	s_delay_alu instid0(SALU_CYCLE_1)
	s_and_saveexec_b32 s17, s18
	s_cbranch_execz .LBB391_455
; %bb.454:                              ;   in Loop: Header=BB391_410 Depth=2
	s_wait_dscnt 0x0
	v_bcnt_u32_b32 v62, v62, v175
	ds_store_b32 v178, v62 offset:544
.LBB391_455:                            ;   in Loop: Header=BB391_410 Depth=2
	s_or_b32 exec_lo, exec_lo, s17
	v_lshrrev_b32_e32 v177, 24, v139
	; wave barrier
	s_delay_alu instid0(VALU_DEP_1) | instskip(NEXT) | instid1(VALU_DEP_1)
	v_lshrrev_b32_e32 v62, s48, v177
	v_bitop3_b32 v63, v62, 1, s58 bitop3:0x80
	v_and_b32_e32 v181, s58, v62
	s_delay_alu instid0(VALU_DEP_2) | instskip(NEXT) | instid1(VALU_DEP_1)
	v_add_co_u32 v62, s17, v63, -1
	v_cndmask_b32_e64 v63, 0, 1, s17
	s_delay_alu instid0(VALU_DEP_3) | instskip(SKIP_1) | instid1(VALU_DEP_3)
	v_dual_lshlrev_b32 v179, 30, v181 :: v_dual_lshlrev_b32 v180, 29, v181
	v_dual_lshlrev_b32 v182, 28, v181 :: v_dual_lshlrev_b32 v183, 27, v181
	v_cmp_ne_u32_e32 vcc_lo, 0, v63
	s_delay_alu instid0(VALU_DEP_3)
	v_cmp_gt_i32_e64 s17, 0, v179
	v_not_b32_e32 v63, v179
	v_not_b32_e32 v179, v180
	v_dual_lshlrev_b32 v184, 26, v181 :: v_dual_lshlrev_b32 v185, 25, v181
	v_cmp_gt_i32_e64 s18, 0, v180
	v_cmp_gt_i32_e64 s19, 0, v182
	v_not_b32_e32 v180, v182
	v_not_b32_e32 v182, v183
	v_ashrrev_i32_e32 v63, 31, v63
	v_ashrrev_i32_e32 v179, 31, v179
	v_cmp_gt_i32_e64 s20, 0, v183
	v_cmp_gt_i32_e64 s21, 0, v184
	v_not_b32_e32 v183, v184
	v_bitop3_b32 v62, vcc_lo, exec_lo, v62 bitop3:0x48
	v_dual_ashrrev_i32 v180, 31, v180 :: v_dual_ashrrev_i32 v182, 31, v182
	v_xor_b32_e32 v63, s17, v63
	v_not_b32_e32 v184, v185
	v_xor_b32_e32 v179, s18, v179
	s_delay_alu instid0(VALU_DEP_4) | instskip(SKIP_2) | instid1(VALU_DEP_4)
	v_dual_ashrrev_i32 v183, 31, v183 :: v_dual_bitop2_b32 v180, s19, v180 bitop3:0x14
	v_xor_b32_e32 v182, s20, v182
	v_cmp_gt_i32_e32 vcc_lo, 0, v185
	v_bitop3_b32 v62, v62, v179, v63 bitop3:0x80
	v_ashrrev_i32_e32 v63, 31, v184
	v_mad_u32_u24 v179, v181, 36, v114
	v_xor_b32_e32 v183, s21, v183
	s_delay_alu instid0(VALU_DEP_4) | instskip(NEXT) | instid1(VALU_DEP_4)
	v_bitop3_b32 v62, v62, v182, v180 bitop3:0x80
	v_xor_b32_e32 v63, vcc_lo, v63
	ds_load_b32 v179, v179 offset:544
	; wave barrier
	v_bitop3_b32 v62, v62, v63, v183 bitop3:0x80
	v_mul_u32_u24_e32 v63, 36, v181
	s_delay_alu instid0(VALU_DEP_2) | instskip(SKIP_1) | instid1(VALU_DEP_3)
	v_mbcnt_lo_u32_b32 v180, v62, 0
	v_cmp_ne_u32_e64 s17, 0, v62
	v_add_nc_u32_e32 v181, v114, v63
	s_delay_alu instid0(VALU_DEP_3) | instskip(SKIP_1) | instid1(SALU_CYCLE_1)
	v_cmp_eq_u32_e32 vcc_lo, 0, v180
	s_and_b32 s18, s17, vcc_lo
	s_and_saveexec_b32 s17, s18
	s_cbranch_execz .LBB391_457
; %bb.456:                              ;   in Loop: Header=BB391_410 Depth=2
	s_wait_dscnt 0x0
	v_bcnt_u32_b32 v62, v62, v179
	ds_store_b32 v181, v62 offset:544
.LBB391_457:                            ;   in Loop: Header=BB391_410 Depth=2
	s_or_b32 exec_lo, exec_lo, s17
	v_bitop3_b16 v62, v64, s43, 0x80 bitop3:0x48
	; wave barrier
	s_delay_alu instid0(VALU_DEP_1) | instskip(NEXT) | instid1(VALU_DEP_1)
	v_and_b32_e32 v62, 0xffff, v62
	v_lshrrev_b32_e32 v62, s48, v62
	s_delay_alu instid0(VALU_DEP_1) | instskip(NEXT) | instid1(VALU_DEP_1)
	v_and_b32_e32 v184, s58, v62
	v_lshlrev_b32_e32 v182, 30, v184
	v_bitop3_b32 v63, v62, 1, s58 bitop3:0x80
	s_delay_alu instid0(VALU_DEP_1) | instskip(NEXT) | instid1(VALU_DEP_1)
	v_add_co_u32 v62, s17, v63, -1
	v_cndmask_b32_e64 v63, 0, 1, s17
	s_delay_alu instid0(VALU_DEP_4) | instskip(NEXT) | instid1(VALU_DEP_2)
	v_cmp_gt_i32_e64 s17, 0, v182
	v_cmp_ne_u32_e32 vcc_lo, 0, v63
	v_not_b32_e32 v63, v182
	v_bitop3_b32 v62, vcc_lo, exec_lo, v62 bitop3:0x48
	s_delay_alu instid0(VALU_DEP_2) | instskip(SKIP_2) | instid1(VALU_DEP_3)
	v_dual_ashrrev_i32 v63, 31, v63 :: v_dual_lshlrev_b32 v183, 29, v184
	v_dual_lshlrev_b32 v185, 28, v184 :: v_dual_lshlrev_b32 v186, 27, v184
	v_lshlrev_b32_e32 v187, 26, v184
	v_not_b32_e32 v182, v183
	v_lshlrev_b32_e32 v188, 25, v184
	v_cmp_gt_i32_e64 s18, 0, v183
	v_cmp_gt_i32_e64 s19, 0, v185
	v_not_b32_e32 v183, v185
	v_not_b32_e32 v185, v186
	v_ashrrev_i32_e32 v182, 31, v182
	v_cmp_gt_i32_e64 s20, 0, v186
	v_cmp_gt_i32_e64 s21, 0, v187
	v_not_b32_e32 v186, v187
	v_not_b32_e32 v187, v188
	v_dual_ashrrev_i32 v183, 31, v183 :: v_dual_ashrrev_i32 v185, 31, v185
	s_delay_alu instid0(VALU_DEP_3) | instskip(NEXT) | instid1(VALU_DEP_3)
	v_dual_ashrrev_i32 v186, 31, v186 :: v_dual_bitop2_b32 v63, s17, v63 bitop3:0x14
	v_dual_ashrrev_i32 v187, 31, v187 :: v_dual_bitop2_b32 v182, s18, v182 bitop3:0x14
	v_cmp_gt_i32_e64 s22, 0, v188
	s_delay_alu instid0(VALU_DEP_4) | instskip(SKIP_1) | instid1(VALU_DEP_4)
	v_xor_b32_e32 v183, s19, v183
	v_xor_b32_e32 v185, s20, v185
	v_bitop3_b32 v62, v62, v182, v63 bitop3:0x80
	v_mad_u32_u24 v63, v184, 36, v114
	v_xor_b32_e32 v187, s22, v187
	s_delay_alu instid0(VALU_DEP_3) | instskip(SKIP_3) | instid1(VALU_DEP_2)
	v_bitop3_b32 v62, v62, v185, v183 bitop3:0x80
	ds_load_b32 v182, v63 offset:544
	v_mul_u32_u24_e32 v63, 36, v184
	v_xor_b32_e32 v186, s21, v186
	; wave barrier
	v_add_nc_u32_e32 v185, v114, v63
	s_delay_alu instid0(VALU_DEP_2) | instskip(NEXT) | instid1(VALU_DEP_1)
	v_bitop3_b32 v62, v62, v187, v186 bitop3:0x80
	v_mbcnt_lo_u32_b32 v183, v62, 0
	v_cmp_ne_u32_e64 s17, 0, v62
	s_delay_alu instid0(VALU_DEP_2) | instskip(SKIP_1) | instid1(SALU_CYCLE_1)
	v_cmp_eq_u32_e32 vcc_lo, 0, v183
	s_and_b32 s18, s17, vcc_lo
	s_and_saveexec_b32 s17, s18
	s_cbranch_execz .LBB391_459
; %bb.458:                              ;   in Loop: Header=BB391_410 Depth=2
	s_wait_dscnt 0x0
	v_bcnt_u32_b32 v62, v62, v182
	ds_store_b32 v185, v62 offset:544
.LBB391_459:                            ;   in Loop: Header=BB391_410 Depth=2
	s_or_b32 exec_lo, exec_lo, s17
	v_xor_b32_e32 v62, 0x80, v136
	v_xor_b32_e32 v63, 0x80, v135
	;; [unrolled: 1-line block ×4, first 2 shown]
	s_delay_alu instid0(VALU_DEP_4) | instskip(NEXT) | instid1(VALU_DEP_4)
	v_lshlrev_b16 v62, 8, v62
	v_lshlrev_b16 v63, 8, v63
	; wave barrier
	s_delay_alu instid0(VALU_DEP_2) | instskip(NEXT) | instid1(VALU_DEP_2)
	v_bitop3_b16 v184, v64, v62, 0xff bitop3:0xec
	v_bitop3_b16 v62, v65, v63, 0xff bitop3:0xec
	s_delay_alu instid0(VALU_DEP_2) | instskip(NEXT) | instid1(VALU_DEP_2)
	v_and_b32_e32 v63, 0xffff, v184
	v_lshlrev_b32_e32 v62, 16, v62
	s_delay_alu instid0(VALU_DEP_1) | instskip(NEXT) | instid1(VALU_DEP_1)
	v_or_b32_e32 v135, v63, v62
	v_bfe_u32 v62, v135, 8, 8
	s_delay_alu instid0(VALU_DEP_1) | instskip(NEXT) | instid1(VALU_DEP_1)
	v_lshrrev_b32_e32 v62, s48, v62
	v_bitop3_b32 v63, v62, 1, s58 bitop3:0x80
	v_and_b32_e32 v64, s58, v62
	s_delay_alu instid0(VALU_DEP_2) | instskip(NEXT) | instid1(VALU_DEP_1)
	v_add_co_u32 v62, s17, v63, -1
	v_cndmask_b32_e64 v63, 0, 1, s17
	s_delay_alu instid0(VALU_DEP_3) | instskip(NEXT) | instid1(VALU_DEP_2)
	v_lshlrev_b32_e32 v65, 30, v64
	v_cmp_ne_u32_e32 vcc_lo, 0, v63
	s_delay_alu instid0(VALU_DEP_2) | instskip(SKIP_2) | instid1(VALU_DEP_3)
	v_not_b32_e32 v63, v65
	v_cmp_gt_i32_e64 s17, 0, v65
	v_bitop3_b32 v62, vcc_lo, exec_lo, v62 bitop3:0x48
	v_dual_ashrrev_i32 v63, 31, v63 :: v_dual_lshlrev_b32 v136, 29, v64
	v_dual_lshlrev_b32 v186, 28, v64 :: v_dual_lshlrev_b32 v187, 27, v64
	v_lshlrev_b32_e32 v188, 26, v64
	s_delay_alu instid0(VALU_DEP_3)
	v_not_b32_e32 v65, v136
	v_lshlrev_b32_e32 v189, 25, v64
	v_cmp_gt_i32_e64 s18, 0, v136
	v_cmp_gt_i32_e64 s19, 0, v186
	v_not_b32_e32 v136, v186
	v_not_b32_e32 v186, v187
	v_ashrrev_i32_e32 v65, 31, v65
	v_cmp_gt_i32_e64 s20, 0, v187
	v_cmp_gt_i32_e64 s21, 0, v188
	v_not_b32_e32 v187, v188
	v_not_b32_e32 v188, v189
	v_dual_ashrrev_i32 v136, 31, v136 :: v_dual_ashrrev_i32 v186, 31, v186
	v_xor_b32_e32 v63, s17, v63
	s_delay_alu instid0(VALU_DEP_4)
	v_dual_ashrrev_i32 v187, 31, v187 :: v_dual_bitop2_b32 v65, s18, v65 bitop3:0x14
	v_cmp_gt_i32_e64 s22, 0, v189
	v_ashrrev_i32_e32 v188, 31, v188
	v_xor_b32_e32 v136, s19, v136
	v_xor_b32_e32 v186, s20, v186
	v_bitop3_b32 v62, v62, v65, v63 bitop3:0x80
	v_mad_u32_u24 v63, v64, 36, v114
	v_xor_b32_e32 v65, s21, v187
	v_xor_b32_e32 v187, s22, v188
	s_delay_alu instid0(VALU_DEP_4) | instskip(SKIP_3) | instid1(VALU_DEP_2)
	v_bitop3_b32 v62, v62, v186, v136 bitop3:0x80
	ds_load_b32 v136, v63 offset:544
	v_mul_u32_u24_e32 v63, 36, v64
	; wave barrier
	v_bitop3_b32 v62, v62, v187, v65 bitop3:0x80
	v_add_nc_u32_e32 v187, v114, v63
	s_delay_alu instid0(VALU_DEP_2) | instskip(SKIP_1) | instid1(VALU_DEP_2)
	v_mbcnt_lo_u32_b32 v186, v62, 0
	v_cmp_ne_u32_e64 s17, 0, v62
	v_cmp_eq_u32_e32 vcc_lo, 0, v186
	s_and_b32 s18, s17, vcc_lo
	s_delay_alu instid0(SALU_CYCLE_1)
	s_and_saveexec_b32 s17, s18
	s_cbranch_execz .LBB391_461
; %bb.460:                              ;   in Loop: Header=BB391_410 Depth=2
	s_wait_dscnt 0x0
	v_bcnt_u32_b32 v62, v62, v136
	ds_store_b32 v187, v62 offset:544
.LBB391_461:                            ;   in Loop: Header=BB391_410 Depth=2
	s_or_b32 exec_lo, exec_lo, s17
	v_bfe_u32 v62, v135, 16, 8
	; wave barrier
	s_delay_alu instid0(VALU_DEP_1) | instskip(NEXT) | instid1(VALU_DEP_1)
	v_lshrrev_b32_e32 v62, s48, v62
	v_and_b32_e32 v64, s58, v62
	s_delay_alu instid0(VALU_DEP_1) | instskip(SKIP_1) | instid1(VALU_DEP_1)
	v_lshlrev_b32_e32 v65, 30, v64
	v_bitop3_b32 v63, v62, 1, s58 bitop3:0x80
	v_add_co_u32 v62, s17, v63, -1
	s_delay_alu instid0(VALU_DEP_1) | instskip(NEXT) | instid1(VALU_DEP_4)
	v_cndmask_b32_e64 v63, 0, 1, s17
	v_cmp_gt_i32_e64 s17, 0, v65
	s_delay_alu instid0(VALU_DEP_2) | instskip(SKIP_2) | instid1(VALU_DEP_2)
	v_cmp_ne_u32_e32 vcc_lo, 0, v63
	v_not_b32_e32 v63, v65
	v_bitop3_b32 v62, vcc_lo, exec_lo, v62 bitop3:0x48
	v_dual_ashrrev_i32 v63, 31, v63 :: v_dual_lshlrev_b32 v188, 29, v64
	v_dual_lshlrev_b32 v189, 28, v64 :: v_dual_lshlrev_b32 v190, 27, v64
	v_lshlrev_b32_e32 v191, 26, v64
	s_delay_alu instid0(VALU_DEP_3)
	v_not_b32_e32 v65, v188
	v_lshlrev_b32_e32 v192, 25, v64
	v_cmp_gt_i32_e64 s18, 0, v188
	v_cmp_gt_i32_e64 s19, 0, v189
	v_not_b32_e32 v188, v189
	v_not_b32_e32 v189, v190
	v_ashrrev_i32_e32 v65, 31, v65
	v_cmp_gt_i32_e64 s20, 0, v190
	v_cmp_gt_i32_e64 s21, 0, v191
	v_not_b32_e32 v190, v191
	v_dual_ashrrev_i32 v188, 31, v188 :: v_dual_ashrrev_i32 v189, 31, v189
	v_xor_b32_e32 v63, s17, v63
	v_not_b32_e32 v191, v192
	s_delay_alu instid0(VALU_DEP_4) | instskip(NEXT) | instid1(VALU_DEP_4)
	v_dual_ashrrev_i32 v190, 31, v190 :: v_dual_bitop2_b32 v65, s18, v65 bitop3:0x14
	v_xor_b32_e32 v188, s19, v188
	v_xor_b32_e32 v189, s20, v189
	v_cmp_gt_i32_e32 vcc_lo, 0, v192
	s_delay_alu instid0(VALU_DEP_4) | instskip(SKIP_3) | instid1(VALU_DEP_4)
	v_bitop3_b32 v62, v62, v65, v63 bitop3:0x80
	v_ashrrev_i32_e32 v63, 31, v191
	v_mad_u32_u24 v65, v64, 36, v114
	v_xor_b32_e32 v190, s21, v190
	v_bitop3_b32 v62, v62, v189, v188 bitop3:0x80
	s_delay_alu instid0(VALU_DEP_4) | instskip(SKIP_3) | instid1(VALU_DEP_2)
	v_xor_b32_e32 v63, vcc_lo, v63
	ds_load_b32 v188, v65 offset:544
	; wave barrier
	v_bitop3_b32 v62, v62, v63, v190 bitop3:0x80
	v_mul_u32_u24_e32 v63, 36, v64
	v_mbcnt_lo_u32_b32 v189, v62, 0
	v_cmp_ne_u32_e64 s17, 0, v62
	s_delay_alu instid0(VALU_DEP_3) | instskip(NEXT) | instid1(VALU_DEP_3)
	v_add_nc_u32_e32 v191, v114, v63
	v_cmp_eq_u32_e32 vcc_lo, 0, v189
	s_and_b32 s18, s17, vcc_lo
	s_delay_alu instid0(SALU_CYCLE_1)
	s_and_saveexec_b32 s17, s18
	s_cbranch_execz .LBB391_463
; %bb.462:                              ;   in Loop: Header=BB391_410 Depth=2
	s_wait_dscnt 0x0
	v_bcnt_u32_b32 v62, v62, v188
	ds_store_b32 v191, v62 offset:544
.LBB391_463:                            ;   in Loop: Header=BB391_410 Depth=2
	s_or_b32 exec_lo, exec_lo, s17
	v_lshrrev_b32_e32 v190, 24, v135
	; wave barrier
	s_delay_alu instid0(VALU_DEP_1) | instskip(NEXT) | instid1(VALU_DEP_1)
	v_lshrrev_b32_e32 v62, s48, v190
	v_and_b32_e32 v64, s58, v62
	s_delay_alu instid0(VALU_DEP_1) | instskip(SKIP_3) | instid1(VALU_DEP_3)
	v_lshlrev_b32_e32 v65, 30, v64
	v_bitop3_b32 v63, v62, 1, s58 bitop3:0x80
	v_dual_lshlrev_b32 v192, 29, v64 :: v_dual_lshlrev_b32 v193, 28, v64
	v_dual_lshlrev_b32 v194, 27, v64 :: v_dual_lshlrev_b32 v195, 26, v64
	v_add_co_u32 v62, s17, v63, -1
	s_delay_alu instid0(VALU_DEP_1)
	v_cndmask_b32_e64 v63, 0, 1, s17
	v_cmp_gt_i32_e64 s17, 0, v65
	v_cmp_gt_i32_e64 s18, 0, v192
	;; [unrolled: 1-line block ×4, first 2 shown]
	v_cmp_ne_u32_e32 vcc_lo, 0, v63
	v_not_b32_e32 v63, v65
	v_not_b32_e32 v65, v192
	v_lshlrev_b32_e32 v196, 25, v64
	v_not_b32_e32 v192, v193
	v_not_b32_e32 v193, v194
	s_delay_alu instid0(VALU_DEP_4)
	v_dual_ashrrev_i32 v63, 31, v63 :: v_dual_ashrrev_i32 v65, 31, v65
	v_cmp_gt_i32_e64 s21, 0, v195
	v_not_b32_e32 v194, v195
	v_bitop3_b32 v62, vcc_lo, exec_lo, v62 bitop3:0x48
	v_dual_ashrrev_i32 v192, 31, v192 :: v_dual_ashrrev_i32 v193, 31, v193
	v_xor_b32_e32 v63, s17, v63
	s_delay_alu instid0(VALU_DEP_4) | instskip(SKIP_1) | instid1(VALU_DEP_4)
	v_dual_ashrrev_i32 v194, 31, v194 :: v_dual_bitop2_b32 v65, s18, v65 bitop3:0x14
	v_not_b32_e32 v195, v196
	v_xor_b32_e32 v192, s19, v192
	v_xor_b32_e32 v193, s20, v193
	s_delay_alu instid0(VALU_DEP_4)
	v_bitop3_b32 v62, v62, v65, v63 bitop3:0x80
	v_cmp_gt_i32_e32 vcc_lo, 0, v196
	v_ashrrev_i32_e32 v63, 31, v195
	v_mad_u32_u24 v65, v64, 36, v114
	v_xor_b32_e32 v194, s21, v194
	v_bitop3_b32 v62, v62, v193, v192 bitop3:0x80
	s_delay_alu instid0(VALU_DEP_4) | instskip(SKIP_3) | instid1(VALU_DEP_2)
	v_xor_b32_e32 v63, vcc_lo, v63
	ds_load_b32 v192, v65 offset:544
	; wave barrier
	v_bitop3_b32 v62, v62, v63, v194 bitop3:0x80
	v_mul_u32_u24_e32 v63, 36, v64
	v_mbcnt_lo_u32_b32 v193, v62, 0
	v_cmp_ne_u32_e64 s17, 0, v62
	s_delay_alu instid0(VALU_DEP_3) | instskip(NEXT) | instid1(VALU_DEP_3)
	v_add_nc_u32_e32 v194, v114, v63
	v_cmp_eq_u32_e32 vcc_lo, 0, v193
	s_and_b32 s18, s17, vcc_lo
	s_delay_alu instid0(SALU_CYCLE_1)
	s_and_saveexec_b32 s17, s18
	s_cbranch_execz .LBB391_465
; %bb.464:                              ;   in Loop: Header=BB391_410 Depth=2
	s_wait_dscnt 0x0
	v_bcnt_u32_b32 v62, v62, v192
	ds_store_b32 v194, v62 offset:544
.LBB391_465:                            ;   in Loop: Header=BB391_410 Depth=2
	s_or_b32 exec_lo, exec_lo, s17
	v_xor_b32_e32 v115, 0xffffff80, v115
	; wave barrier
	s_delay_alu instid0(VALU_DEP_1) | instskip(NEXT) | instid1(VALU_DEP_1)
	v_and_b32_e32 v62, 0xff, v115
	v_lshrrev_b32_e32 v62, s48, v62
	s_delay_alu instid0(VALU_DEP_1) | instskip(NEXT) | instid1(VALU_DEP_1)
	v_and_b32_e32 v64, s58, v62
	v_lshlrev_b32_e32 v65, 30, v64
	v_bitop3_b32 v63, v62, 1, s58 bitop3:0x80
	s_delay_alu instid0(VALU_DEP_1) | instskip(NEXT) | instid1(VALU_DEP_1)
	v_add_co_u32 v62, s17, v63, -1
	v_cndmask_b32_e64 v63, 0, 1, s17
	s_delay_alu instid0(VALU_DEP_4) | instskip(NEXT) | instid1(VALU_DEP_2)
	v_cmp_gt_i32_e64 s17, 0, v65
	v_cmp_ne_u32_e32 vcc_lo, 0, v63
	v_not_b32_e32 v63, v65
	v_bitop3_b32 v62, vcc_lo, exec_lo, v62 bitop3:0x48
	s_delay_alu instid0(VALU_DEP_2) | instskip(SKIP_2) | instid1(VALU_DEP_3)
	v_dual_ashrrev_i32 v63, 31, v63 :: v_dual_lshlrev_b32 v195, 29, v64
	v_dual_lshlrev_b32 v196, 28, v64 :: v_dual_lshlrev_b32 v197, 27, v64
	v_lshlrev_b32_e32 v198, 26, v64
	v_not_b32_e32 v65, v195
	v_lshlrev_b32_e32 v199, 25, v64
	v_cmp_gt_i32_e64 s18, 0, v195
	v_cmp_gt_i32_e64 s19, 0, v196
	v_not_b32_e32 v195, v196
	v_not_b32_e32 v196, v197
	v_ashrrev_i32_e32 v65, 31, v65
	v_cmp_gt_i32_e64 s20, 0, v197
	v_cmp_gt_i32_e64 s21, 0, v198
	v_not_b32_e32 v197, v198
	v_not_b32_e32 v198, v199
	v_dual_ashrrev_i32 v195, 31, v195 :: v_dual_ashrrev_i32 v196, 31, v196
	s_delay_alu instid0(VALU_DEP_3) | instskip(NEXT) | instid1(VALU_DEP_3)
	v_dual_ashrrev_i32 v197, 31, v197 :: v_dual_bitop2_b32 v63, s17, v63 bitop3:0x14
	v_dual_ashrrev_i32 v198, 31, v198 :: v_dual_bitop2_b32 v65, s18, v65 bitop3:0x14
	v_cmp_gt_i32_e64 s22, 0, v199
	s_delay_alu instid0(VALU_DEP_4) | instskip(SKIP_1) | instid1(VALU_DEP_4)
	v_xor_b32_e32 v195, s19, v195
	v_xor_b32_e32 v196, s20, v196
	v_bitop3_b32 v62, v62, v65, v63 bitop3:0x80
	v_mad_u32_u24 v63, v64, 36, v114
	v_xor_b32_e32 v65, s21, v197
	v_xor_b32_e32 v197, s22, v198
	s_delay_alu instid0(VALU_DEP_4) | instskip(SKIP_3) | instid1(VALU_DEP_2)
	v_bitop3_b32 v62, v62, v196, v195 bitop3:0x80
	ds_load_b32 v195, v63 offset:544
	v_mul_u32_u24_e32 v63, 36, v64
	; wave barrier
	v_bitop3_b32 v62, v62, v197, v65 bitop3:0x80
	v_add_nc_u32_e32 v197, v114, v63
	s_delay_alu instid0(VALU_DEP_2) | instskip(SKIP_1) | instid1(VALU_DEP_2)
	v_mbcnt_lo_u32_b32 v196, v62, 0
	v_cmp_ne_u32_e64 s17, 0, v62
	v_cmp_eq_u32_e32 vcc_lo, 0, v196
	s_and_b32 s18, s17, vcc_lo
	s_delay_alu instid0(SALU_CYCLE_1)
	s_and_saveexec_b32 s17, s18
	s_cbranch_execz .LBB391_467
; %bb.466:                              ;   in Loop: Header=BB391_410 Depth=2
	s_wait_dscnt 0x0
	v_bcnt_u32_b32 v62, v62, v195
	ds_store_b32 v197, v62 offset:544
.LBB391_467:                            ;   in Loop: Header=BB391_410 Depth=2
	s_or_b32 exec_lo, exec_lo, s17
	; wave barrier
	s_wait_dscnt 0x0
	s_barrier_signal -1
	s_barrier_wait -1
	ds_load_2addr_b32 v[64:65], v90 offset0:136 offset1:137
	ds_load_2addr_b32 v[62:63], v90 offset0:138 offset1:139
	ds_load_b32 v198, v90 offset:560
	s_wait_dscnt 0x1
	v_add3_u32 v199, v65, v64, v62
	s_wait_dscnt 0x0
	s_delay_alu instid0(VALU_DEP_1) | instskip(NEXT) | instid1(VALU_DEP_1)
	v_add3_u32 v198, v199, v63, v198
	v_mov_b32_dpp v199, v198 row_shr:1 row_mask:0xf bank_mask:0xf
	s_delay_alu instid0(VALU_DEP_1) | instskip(NEXT) | instid1(VALU_DEP_1)
	v_cndmask_b32_e64 v199, v199, 0, s8
	v_add_nc_u32_e32 v198, v199, v198
	s_delay_alu instid0(VALU_DEP_1) | instskip(NEXT) | instid1(VALU_DEP_1)
	v_mov_b32_dpp v199, v198 row_shr:2 row_mask:0xf bank_mask:0xf
	v_cndmask_b32_e64 v199, 0, v199, s9
	s_delay_alu instid0(VALU_DEP_1) | instskip(NEXT) | instid1(VALU_DEP_1)
	v_add_nc_u32_e32 v198, v198, v199
	v_mov_b32_dpp v199, v198 row_shr:4 row_mask:0xf bank_mask:0xf
	s_delay_alu instid0(VALU_DEP_1) | instskip(NEXT) | instid1(VALU_DEP_1)
	v_cndmask_b32_e64 v199, 0, v199, s10
	v_add_nc_u32_e32 v198, v198, v199
	s_delay_alu instid0(VALU_DEP_1) | instskip(NEXT) | instid1(VALU_DEP_1)
	v_mov_b32_dpp v199, v198 row_shr:8 row_mask:0xf bank_mask:0xf
	v_cndmask_b32_e64 v199, 0, v199, s11
	s_delay_alu instid0(VALU_DEP_1) | instskip(SKIP_3) | instid1(VALU_DEP_1)
	v_add_nc_u32_e32 v198, v198, v199
	ds_swizzle_b32 v199, v198 offset:swizzle(BROADCAST,32,15)
	s_wait_dscnt 0x0
	v_cndmask_b32_e64 v199, v199, 0, s12
	v_add_nc_u32_e32 v198, v198, v199
	s_and_saveexec_b32 s17, s2
; %bb.468:                              ;   in Loop: Header=BB391_410 Depth=2
	ds_store_b32 v83, v198 offset:512
; %bb.469:                              ;   in Loop: Header=BB391_410 Depth=2
	s_or_b32 exec_lo, exec_lo, s17
	s_wait_dscnt 0x0
	s_barrier_signal -1
	s_barrier_wait -1
	s_and_saveexec_b32 s17, s3
	s_cbranch_execz .LBB391_471
; %bb.470:                              ;   in Loop: Header=BB391_410 Depth=2
	ds_load_b32 v199, v92 offset:512
	s_wait_dscnt 0x0
	v_mov_b32_dpp v200, v199 row_shr:1 row_mask:0xf bank_mask:0xf
	s_delay_alu instid0(VALU_DEP_1) | instskip(NEXT) | instid1(VALU_DEP_1)
	v_cndmask_b32_e64 v200, v200, 0, s14
	v_add_nc_u32_e32 v199, v200, v199
	s_delay_alu instid0(VALU_DEP_1) | instskip(NEXT) | instid1(VALU_DEP_1)
	v_mov_b32_dpp v200, v199 row_shr:2 row_mask:0xf bank_mask:0xf
	v_cndmask_b32_e64 v200, 0, v200, s15
	s_delay_alu instid0(VALU_DEP_1) | instskip(NEXT) | instid1(VALU_DEP_1)
	v_add_nc_u32_e32 v199, v199, v200
	v_mov_b32_dpp v200, v199 row_shr:4 row_mask:0xf bank_mask:0xf
	s_delay_alu instid0(VALU_DEP_1) | instskip(NEXT) | instid1(VALU_DEP_1)
	v_cndmask_b32_e64 v200, 0, v200, s16
	v_add_nc_u32_e32 v199, v199, v200
	ds_store_b32 v92, v199 offset:512
.LBB391_471:                            ;   in Loop: Header=BB391_410 Depth=2
	s_or_b32 exec_lo, exec_lo, s17
	v_mov_b32_e32 v199, 0
	s_wait_dscnt 0x0
	s_barrier_signal -1
	s_barrier_wait -1
	s_and_saveexec_b32 s17, s5
; %bb.472:                              ;   in Loop: Header=BB391_410 Depth=2
	ds_load_b32 v199, v83 offset:508
; %bb.473:                              ;   in Loop: Header=BB391_410 Depth=2
	s_or_b32 exec_lo, exec_lo, s17
	s_wait_dscnt 0x0
	v_add_nc_u32_e32 v198, v199, v198
	ds_bpermute_b32 v198, v96, v198
	s_wait_dscnt 0x0
	v_cndmask_b32_e64 v198, v198, v199, s13
	s_delay_alu instid0(VALU_DEP_1) | instskip(NEXT) | instid1(VALU_DEP_1)
	v_cndmask_b32_e64 v198, v198, 0, s6
	v_add_nc_u32_e32 v64, v198, v64
	s_delay_alu instid0(VALU_DEP_1) | instskip(NEXT) | instid1(VALU_DEP_1)
	v_add_nc_u32_e32 v65, v64, v65
	v_add_nc_u32_e32 v62, v65, v62
	s_delay_alu instid0(VALU_DEP_1)
	v_add_nc_u32_e32 v63, v62, v63
	ds_store_2addr_b32 v90, v198, v64 offset0:136 offset1:137
	ds_store_2addr_b32 v90, v65, v62 offset0:138 offset1:139
	ds_store_b32 v90, v63 offset:560
	s_wait_dscnt 0x0
	s_barrier_signal -1
	s_barrier_wait -1
	ds_load_b32 v62, v149 offset:544
	ds_load_b32 v63, v152 offset:544
	;; [unrolled: 1-line block ×17, first 2 shown]
	s_and_saveexec_b32 s17, s0
	s_cbranch_execz .LBB391_477
; %bb.474:                              ;   in Loop: Header=BB391_410 Depth=2
	v_dual_mov_b32 v134, 0x1100 :: v_dual_add_nc_u32 v133, v92, v94
	ds_load_b32 v133, v133 offset:544
	s_and_saveexec_b32 s18, s7
; %bb.475:                              ;   in Loop: Header=BB391_410 Depth=2
	ds_load_b32 v134, v93 offset:544
; %bb.476:                              ;   in Loop: Header=BB391_410 Depth=2
	s_or_b32 exec_lo, exec_lo, s18
	s_wait_dscnt 0x0
	v_sub_nc_u32_e32 v134, v134, v133
.LBB391_477:                            ;   in Loop: Header=BB391_410 Depth=2
	s_or_b32 exec_lo, exec_lo, s17
	v_dual_lshrrev_b32 v202, 8, v148 :: v_dual_lshrrev_b32 v203, 16, v148
	v_dual_lshrrev_b32 v200, 8, v143 :: v_dual_lshrrev_b32 v201, 16, v143
	;; [unrolled: 1-line block ×4, first 2 shown]
	s_wait_dscnt 0x0
	s_barrier_signal -1
	s_barrier_wait -1
	s_and_saveexec_b32 s17, s0
	s_cbranch_execz .LBB391_479
; %bb.478:                              ;   in Loop: Header=BB391_410 Depth=2
	ds_load_b32 v135, v66
	s_wait_dscnt 0x0
	v_sub_nc_u32_e32 v135, v135, v133
	ds_store_b32 v66, v135
.LBB391_479:                            ;   in Loop: Header=BB391_410 Depth=2
	s_or_b32 exec_lo, exec_lo, s17
	v_add_nc_u32_e32 v156, v62, v146
	v_add3_u32 v152, v151, v150, v63
	v_add3_u32 v151, v154, v153, v64
	;; [unrolled: 1-line block ×16, first 2 shown]
	v_cmp_lt_u32_e32 vcc_lo, v2, v137
	ds_store_b8 v156, v147 offset:512
	ds_store_b8 v152, v202 offset:512
	;; [unrolled: 1-line block ×17, first 2 shown]
	s_wait_dscnt 0x0
	s_barrier_signal -1
	s_barrier_wait -1
	s_and_saveexec_b32 s17, vcc_lo
	s_cbranch_execnz .LBB391_552
; %bb.480:                              ;   in Loop: Header=BB391_410 Depth=2
	s_or_b32 exec_lo, exec_lo, s17
	v_cmp_lt_u32_e64 s17, v67, v137
	s_and_saveexec_b32 s18, s17
	s_cbranch_execnz .LBB391_553
.LBB391_481:                            ;   in Loop: Header=BB391_410 Depth=2
	s_or_b32 exec_lo, exec_lo, s18
	v_cmp_lt_u32_e64 s18, v68, v137
	s_and_saveexec_b32 s19, s18
	s_cbranch_execnz .LBB391_554
.LBB391_482:                            ;   in Loop: Header=BB391_410 Depth=2
	s_or_b32 exec_lo, exec_lo, s19
	v_cmp_lt_u32_e64 s19, v69, v137
	s_and_saveexec_b32 s20, s19
	s_cbranch_execnz .LBB391_555
.LBB391_483:                            ;   in Loop: Header=BB391_410 Depth=2
	s_or_b32 exec_lo, exec_lo, s20
	v_cmp_lt_u32_e64 s20, v70, v137
	s_and_saveexec_b32 s21, s20
	s_cbranch_execnz .LBB391_556
.LBB391_484:                            ;   in Loop: Header=BB391_410 Depth=2
	s_or_b32 exec_lo, exec_lo, s21
	v_cmp_lt_u32_e64 s21, v71, v137
	s_and_saveexec_b32 s22, s21
	s_cbranch_execnz .LBB391_557
.LBB391_485:                            ;   in Loop: Header=BB391_410 Depth=2
	s_or_b32 exec_lo, exec_lo, s22
	v_cmp_lt_u32_e64 s22, v72, v137
	s_and_saveexec_b32 s23, s22
	s_cbranch_execnz .LBB391_558
.LBB391_486:                            ;   in Loop: Header=BB391_410 Depth=2
	s_or_b32 exec_lo, exec_lo, s23
	v_cmp_lt_u32_e64 s23, v73, v137
	s_and_saveexec_b32 s24, s23
	s_cbranch_execnz .LBB391_559
.LBB391_487:                            ;   in Loop: Header=BB391_410 Depth=2
	s_or_b32 exec_lo, exec_lo, s24
	v_cmp_lt_u32_e64 s24, v74, v137
	s_and_saveexec_b32 s25, s24
	s_cbranch_execnz .LBB391_560
.LBB391_488:                            ;   in Loop: Header=BB391_410 Depth=2
	s_or_b32 exec_lo, exec_lo, s25
	v_cmp_lt_u32_e64 s25, v75, v137
	s_and_saveexec_b32 s26, s25
	s_cbranch_execnz .LBB391_561
.LBB391_489:                            ;   in Loop: Header=BB391_410 Depth=2
	s_or_b32 exec_lo, exec_lo, s26
	v_cmp_lt_u32_e64 s26, v76, v137
	s_and_saveexec_b32 s27, s26
	s_cbranch_execnz .LBB391_562
.LBB391_490:                            ;   in Loop: Header=BB391_410 Depth=2
	s_or_b32 exec_lo, exec_lo, s27
	v_cmp_lt_u32_e64 s27, v77, v137
	s_and_saveexec_b32 s28, s27
	s_cbranch_execnz .LBB391_563
.LBB391_491:                            ;   in Loop: Header=BB391_410 Depth=2
	s_or_b32 exec_lo, exec_lo, s28
	v_cmp_lt_u32_e64 s28, v78, v137
	s_and_saveexec_b32 s29, s28
	s_cbranch_execnz .LBB391_564
.LBB391_492:                            ;   in Loop: Header=BB391_410 Depth=2
	s_or_b32 exec_lo, exec_lo, s29
	v_cmp_lt_u32_e64 s29, v79, v137
	s_and_saveexec_b32 s30, s29
	s_cbranch_execnz .LBB391_565
.LBB391_493:                            ;   in Loop: Header=BB391_410 Depth=2
	s_or_b32 exec_lo, exec_lo, s30
	v_cmp_lt_u32_e64 s30, v80, v137
	s_and_saveexec_b32 s31, s30
	s_cbranch_execnz .LBB391_566
.LBB391_494:                            ;   in Loop: Header=BB391_410 Depth=2
	s_or_b32 exec_lo, exec_lo, s31
	v_cmp_lt_u32_e64 s31, v81, v137
	s_and_saveexec_b32 s33, s31
	s_cbranch_execnz .LBB391_567
.LBB391_495:                            ;   in Loop: Header=BB391_410 Depth=2
	s_or_b32 exec_lo, exec_lo, s33
	v_cmp_lt_u32_e64 s33, v82, v137
	s_and_saveexec_b32 s61, s33
	s_cbranch_execz .LBB391_497
.LBB391_496:                            ;   in Loop: Header=BB391_410 Depth=2
	ds_load_u8 v62, v2 offset:4608
	s_wait_dscnt 0x0
	v_and_b32_e32 v63, 0xff, v62
	v_xor_b32_e32 v62, 0x80, v62
	s_delay_alu instid0(VALU_DEP_2) | instskip(NEXT) | instid1(VALU_DEP_1)
	v_lshrrev_b32_e32 v63, s48, v63
	v_and_b32_e32 v63, s58, v63
	s_delay_alu instid0(VALU_DEP_1)
	v_lshlrev_b32_e32 v63, 2, v63
	ds_load_b32 v63, v63
	s_wait_dscnt 0x0
	v_add_nc_u32_e32 v63, v63, v82
	global_store_b8 v63, v62, s[40:41]
.LBB391_497:                            ;   in Loop: Header=BB391_410 Depth=2
	s_wait_xcnt 0x0
	s_or_b32 exec_lo, exec_lo, s61
	v_lshl_add_u64 v[62:63], s[34:35], 3, v[26:27]
	v_cmp_lt_u32_e64 s34, v97, v137
	s_and_saveexec_b32 s61, s34
	s_delay_alu instid0(SALU_CYCLE_1)
	s_xor_b32 s34, exec_lo, s61
	s_cbranch_execnz .LBB391_568
; %bb.498:                              ;   in Loop: Header=BB391_410 Depth=2
	s_or_b32 exec_lo, exec_lo, s34
	s_delay_alu instid0(SALU_CYCLE_1)
	s_mov_b32 s61, exec_lo
	v_cmpx_lt_u32_e64 v98, v137
	s_cbranch_execnz .LBB391_569
.LBB391_499:                            ;   in Loop: Header=BB391_410 Depth=2
	s_or_b32 exec_lo, exec_lo, s61
	s_delay_alu instid0(SALU_CYCLE_1)
	s_mov_b32 s61, exec_lo
	v_cmpx_lt_u32_e64 v99, v137
	s_cbranch_execnz .LBB391_570
.LBB391_500:                            ;   in Loop: Header=BB391_410 Depth=2
	s_or_b32 exec_lo, exec_lo, s61
	s_delay_alu instid0(SALU_CYCLE_1)
	s_mov_b32 s61, exec_lo
	v_cmpx_lt_u32_e64 v100, v137
	s_cbranch_execnz .LBB391_571
.LBB391_501:                            ;   in Loop: Header=BB391_410 Depth=2
	s_or_b32 exec_lo, exec_lo, s61
	s_delay_alu instid0(SALU_CYCLE_1)
	s_mov_b32 s61, exec_lo
	v_cmpx_lt_u32_e64 v101, v137
	s_cbranch_execnz .LBB391_572
.LBB391_502:                            ;   in Loop: Header=BB391_410 Depth=2
	s_or_b32 exec_lo, exec_lo, s61
	s_delay_alu instid0(SALU_CYCLE_1)
	s_mov_b32 s61, exec_lo
	v_cmpx_lt_u32_e64 v102, v137
	s_cbranch_execnz .LBB391_573
.LBB391_503:                            ;   in Loop: Header=BB391_410 Depth=2
	s_or_b32 exec_lo, exec_lo, s61
	s_delay_alu instid0(SALU_CYCLE_1)
	s_mov_b32 s61, exec_lo
	v_cmpx_lt_u32_e64 v103, v137
	s_cbranch_execnz .LBB391_574
.LBB391_504:                            ;   in Loop: Header=BB391_410 Depth=2
	s_or_b32 exec_lo, exec_lo, s61
	s_delay_alu instid0(SALU_CYCLE_1)
	s_mov_b32 s61, exec_lo
	v_cmpx_lt_u32_e64 v104, v137
	s_cbranch_execnz .LBB391_575
.LBB391_505:                            ;   in Loop: Header=BB391_410 Depth=2
	s_or_b32 exec_lo, exec_lo, s61
	s_delay_alu instid0(SALU_CYCLE_1)
	s_mov_b32 s61, exec_lo
	v_cmpx_lt_u32_e64 v105, v137
	s_cbranch_execnz .LBB391_576
.LBB391_506:                            ;   in Loop: Header=BB391_410 Depth=2
	s_or_b32 exec_lo, exec_lo, s61
	s_delay_alu instid0(SALU_CYCLE_1)
	s_mov_b32 s61, exec_lo
	v_cmpx_lt_u32_e64 v106, v137
	s_cbranch_execnz .LBB391_577
.LBB391_507:                            ;   in Loop: Header=BB391_410 Depth=2
	s_or_b32 exec_lo, exec_lo, s61
	s_delay_alu instid0(SALU_CYCLE_1)
	s_mov_b32 s61, exec_lo
	v_cmpx_lt_u32_e64 v107, v137
	s_cbranch_execnz .LBB391_578
.LBB391_508:                            ;   in Loop: Header=BB391_410 Depth=2
	s_or_b32 exec_lo, exec_lo, s61
	s_delay_alu instid0(SALU_CYCLE_1)
	s_mov_b32 s61, exec_lo
	v_cmpx_lt_u32_e64 v108, v137
	s_cbranch_execnz .LBB391_579
.LBB391_509:                            ;   in Loop: Header=BB391_410 Depth=2
	s_or_b32 exec_lo, exec_lo, s61
	s_delay_alu instid0(SALU_CYCLE_1)
	s_mov_b32 s61, exec_lo
	v_cmpx_lt_u32_e64 v109, v137
	s_cbranch_execnz .LBB391_580
.LBB391_510:                            ;   in Loop: Header=BB391_410 Depth=2
	s_or_b32 exec_lo, exec_lo, s61
	s_delay_alu instid0(SALU_CYCLE_1)
	s_mov_b32 s61, exec_lo
	v_cmpx_lt_u32_e64 v110, v137
	s_cbranch_execnz .LBB391_581
.LBB391_511:                            ;   in Loop: Header=BB391_410 Depth=2
	s_or_b32 exec_lo, exec_lo, s61
	s_delay_alu instid0(SALU_CYCLE_1)
	s_mov_b32 s61, exec_lo
	v_cmpx_lt_u32_e64 v111, v137
	s_cbranch_execnz .LBB391_582
.LBB391_512:                            ;   in Loop: Header=BB391_410 Depth=2
	s_or_b32 exec_lo, exec_lo, s61
	s_delay_alu instid0(SALU_CYCLE_1)
	s_mov_b32 s61, exec_lo
	v_cmpx_lt_u32_e64 v112, v137
	s_cbranch_execnz .LBB391_583
.LBB391_513:                            ;   in Loop: Header=BB391_410 Depth=2
	s_or_b32 exec_lo, exec_lo, s61
	s_delay_alu instid0(SALU_CYCLE_1)
	s_mov_b32 s61, exec_lo
	v_cmpx_lt_u32_e64 v113, v137
	s_cbranch_execnz .LBB391_584
.LBB391_514:                            ;   in Loop: Header=BB391_410 Depth=2
	s_or_b32 exec_lo, exec_lo, s61
	s_and_saveexec_b32 s34, vcc_lo
	s_cbranch_execnz .LBB391_585
.LBB391_515:                            ;   in Loop: Header=BB391_410 Depth=2
	s_or_b32 exec_lo, exec_lo, s34
	s_and_saveexec_b32 s34, s17
	s_cbranch_execnz .LBB391_586
.LBB391_516:                            ;   in Loop: Header=BB391_410 Depth=2
	s_or_b32 exec_lo, exec_lo, s34
	s_and_saveexec_b32 s34, s18
	s_cbranch_execnz .LBB391_587
.LBB391_517:                            ;   in Loop: Header=BB391_410 Depth=2
	s_or_b32 exec_lo, exec_lo, s34
	s_and_saveexec_b32 s34, s19
	s_cbranch_execnz .LBB391_588
.LBB391_518:                            ;   in Loop: Header=BB391_410 Depth=2
	s_or_b32 exec_lo, exec_lo, s34
	s_and_saveexec_b32 s34, s20
	s_cbranch_execnz .LBB391_589
.LBB391_519:                            ;   in Loop: Header=BB391_410 Depth=2
	s_or_b32 exec_lo, exec_lo, s34
	s_and_saveexec_b32 s34, s21
	s_cbranch_execnz .LBB391_590
.LBB391_520:                            ;   in Loop: Header=BB391_410 Depth=2
	s_or_b32 exec_lo, exec_lo, s34
	s_and_saveexec_b32 s34, s22
	s_cbranch_execnz .LBB391_591
.LBB391_521:                            ;   in Loop: Header=BB391_410 Depth=2
	s_or_b32 exec_lo, exec_lo, s34
	s_and_saveexec_b32 s34, s23
	s_cbranch_execnz .LBB391_592
.LBB391_522:                            ;   in Loop: Header=BB391_410 Depth=2
	s_or_b32 exec_lo, exec_lo, s34
	s_and_saveexec_b32 s34, s24
	s_cbranch_execnz .LBB391_593
.LBB391_523:                            ;   in Loop: Header=BB391_410 Depth=2
	s_or_b32 exec_lo, exec_lo, s34
	s_and_saveexec_b32 s34, s25
	s_cbranch_execnz .LBB391_594
.LBB391_524:                            ;   in Loop: Header=BB391_410 Depth=2
	s_or_b32 exec_lo, exec_lo, s34
	s_and_saveexec_b32 s34, s26
	s_cbranch_execnz .LBB391_595
.LBB391_525:                            ;   in Loop: Header=BB391_410 Depth=2
	s_or_b32 exec_lo, exec_lo, s34
	s_and_saveexec_b32 s34, s27
	s_cbranch_execnz .LBB391_596
.LBB391_526:                            ;   in Loop: Header=BB391_410 Depth=2
	s_or_b32 exec_lo, exec_lo, s34
	s_and_saveexec_b32 s34, s28
	s_cbranch_execnz .LBB391_597
.LBB391_527:                            ;   in Loop: Header=BB391_410 Depth=2
	s_or_b32 exec_lo, exec_lo, s34
	s_and_saveexec_b32 s34, s29
	s_cbranch_execnz .LBB391_598
.LBB391_528:                            ;   in Loop: Header=BB391_410 Depth=2
	s_or_b32 exec_lo, exec_lo, s34
	s_and_saveexec_b32 s34, s30
	s_cbranch_execnz .LBB391_599
.LBB391_529:                            ;   in Loop: Header=BB391_410 Depth=2
	s_or_b32 exec_lo, exec_lo, s34
	s_and_saveexec_b32 s34, s31
	s_cbranch_execnz .LBB391_600
.LBB391_530:                            ;   in Loop: Header=BB391_410 Depth=2
	s_or_b32 exec_lo, exec_lo, s34
	s_and_saveexec_b32 s34, s33
	s_cbranch_execz .LBB391_532
.LBB391_531:                            ;   in Loop: Header=BB391_410 Depth=2
	ds_load_u8 v62, v2 offset:4608
	s_wait_dscnt 0x0
	v_lshrrev_b32_e32 v62, s48, v62
	s_delay_alu instid0(VALU_DEP_1)
	v_and_b32_e32 v116, s58, v62
.LBB391_532:                            ;   in Loop: Header=BB391_410 Depth=2
	s_or_b32 exec_lo, exec_lo, s34
	v_lshlrev_b32_e32 v62, 3, v156
	v_lshlrev_b32_e32 v63, 3, v152
	s_wait_loadcnt 0x0
	s_wait_storecnt 0x0
	s_barrier_signal -1
	s_barrier_wait -1
	ds_store_b64 v62, v[60:61] offset:512
	ds_store_b64 v63, v[58:59] offset:512
	v_dual_lshlrev_b32 v62, 3, v151 :: v_dual_lshlrev_b32 v63, 3, v150
	v_dual_lshlrev_b32 v137, 3, v149 :: v_dual_lshlrev_b32 v138, 3, v148
	v_lshlrev_b32_e32 v142, 3, v146
	ds_store_b64 v62, v[56:57] offset:512
	ds_store_b64 v63, v[54:55] offset:512
	ds_store_b64 v137, v[52:53] offset:512
	ds_store_b64 v138, v[50:51] offset:512
	ds_store_b64 v142, v[48:49] offset:512
	v_dual_lshlrev_b32 v62, 3, v145 :: v_dual_lshlrev_b32 v63, 3, v144
	v_dual_lshlrev_b32 v137, 3, v143 :: v_dual_lshlrev_b32 v138, 3, v141
	v_lshlrev_b32_e32 v140, 3, v140
	ds_store_b64 v62, v[46:47] offset:512
	ds_store_b64 v63, v[44:45] offset:512
	ds_store_b64 v137, v[42:43] offset:512
	;; [unrolled: 8-line block ×3, first 2 shown]
	ds_store_b64 v65, v[30:31] offset:512
	ds_store_b64 v64, v[28:29] offset:512
	s_wait_dscnt 0x0
	s_barrier_signal -1
	s_barrier_wait -1
	s_and_saveexec_b32 s34, vcc_lo
	s_cbranch_execnz .LBB391_601
; %bb.533:                              ;   in Loop: Header=BB391_410 Depth=2
	s_or_b32 exec_lo, exec_lo, s34
	s_and_saveexec_b32 s34, s17
	s_cbranch_execnz .LBB391_602
.LBB391_534:                            ;   in Loop: Header=BB391_410 Depth=2
	s_or_b32 exec_lo, exec_lo, s34
	s_and_saveexec_b32 s17, s18
	s_cbranch_execnz .LBB391_603
.LBB391_535:                            ;   in Loop: Header=BB391_410 Depth=2
	s_or_b32 exec_lo, exec_lo, s17
	s_and_saveexec_b32 s17, s19
	s_cbranch_execnz .LBB391_604
.LBB391_536:                            ;   in Loop: Header=BB391_410 Depth=2
	s_or_b32 exec_lo, exec_lo, s17
	s_and_saveexec_b32 s17, s20
	s_cbranch_execnz .LBB391_605
.LBB391_537:                            ;   in Loop: Header=BB391_410 Depth=2
	s_or_b32 exec_lo, exec_lo, s17
	s_and_saveexec_b32 s17, s21
	s_cbranch_execnz .LBB391_606
.LBB391_538:                            ;   in Loop: Header=BB391_410 Depth=2
	s_or_b32 exec_lo, exec_lo, s17
	s_and_saveexec_b32 s17, s22
	s_cbranch_execnz .LBB391_607
.LBB391_539:                            ;   in Loop: Header=BB391_410 Depth=2
	s_or_b32 exec_lo, exec_lo, s17
	s_and_saveexec_b32 s17, s23
	s_cbranch_execnz .LBB391_608
.LBB391_540:                            ;   in Loop: Header=BB391_410 Depth=2
	s_or_b32 exec_lo, exec_lo, s17
	s_and_saveexec_b32 s17, s24
	s_cbranch_execnz .LBB391_609
.LBB391_541:                            ;   in Loop: Header=BB391_410 Depth=2
	s_or_b32 exec_lo, exec_lo, s17
	s_and_saveexec_b32 s17, s25
	s_cbranch_execnz .LBB391_610
.LBB391_542:                            ;   in Loop: Header=BB391_410 Depth=2
	s_or_b32 exec_lo, exec_lo, s17
	s_and_saveexec_b32 s17, s26
	s_cbranch_execnz .LBB391_611
.LBB391_543:                            ;   in Loop: Header=BB391_410 Depth=2
	s_or_b32 exec_lo, exec_lo, s17
	s_and_saveexec_b32 s17, s27
	s_cbranch_execnz .LBB391_612
.LBB391_544:                            ;   in Loop: Header=BB391_410 Depth=2
	s_or_b32 exec_lo, exec_lo, s17
	s_and_saveexec_b32 s17, s28
	s_cbranch_execnz .LBB391_613
.LBB391_545:                            ;   in Loop: Header=BB391_410 Depth=2
	s_or_b32 exec_lo, exec_lo, s17
	s_and_saveexec_b32 s17, s29
	s_cbranch_execnz .LBB391_614
.LBB391_546:                            ;   in Loop: Header=BB391_410 Depth=2
	s_or_b32 exec_lo, exec_lo, s17
	s_and_saveexec_b32 s17, s30
	s_cbranch_execnz .LBB391_615
.LBB391_547:                            ;   in Loop: Header=BB391_410 Depth=2
	s_or_b32 exec_lo, exec_lo, s17
	s_and_saveexec_b32 s17, s31
	s_cbranch_execnz .LBB391_616
.LBB391_548:                            ;   in Loop: Header=BB391_410 Depth=2
	s_or_b32 exec_lo, exec_lo, s17
	s_and_saveexec_b32 s17, s33
	s_cbranch_execz .LBB391_550
.LBB391_549:                            ;   in Loop: Header=BB391_410 Depth=2
	v_dual_lshlrev_b32 v62, 2, v116 :: v_dual_add_nc_u32 v63, v2, v95
	ds_load_b32 v64, v62
	ds_load_b64 v[62:63], v63 offset:33280
	s_wait_dscnt 0x1
	v_add_nc_u32_e32 v64, v64, v82
	s_wait_dscnt 0x0
	global_store_b64 v64, v[62:63], s[46:47] scale_offset
.LBB391_550:                            ;   in Loop: Header=BB391_410 Depth=2
	s_wait_xcnt 0x0
	s_or_b32 exec_lo, exec_lo, s17
	s_wait_storecnt 0x0
	s_barrier_signal -1
	s_barrier_wait -1
	s_and_saveexec_b32 s17, s0
	s_cbranch_execz .LBB391_409
; %bb.551:                              ;   in Loop: Header=BB391_410 Depth=2
	ds_load_b32 v62, v66
	s_wait_dscnt 0x0
	v_add3_u32 v62, v133, v134, v62
	ds_store_b32 v66, v62
	s_branch .LBB391_409
.LBB391_552:                            ;   in Loop: Header=BB391_410 Depth=2
	ds_load_u8 v62, v2 offset:512
	s_wait_dscnt 0x0
	v_and_b32_e32 v63, 0xff, v62
	v_xor_b32_e32 v62, 0x80, v62
	s_delay_alu instid0(VALU_DEP_2) | instskip(NEXT) | instid1(VALU_DEP_1)
	v_lshrrev_b32_e32 v63, s48, v63
	v_and_b32_e32 v63, s58, v63
	s_delay_alu instid0(VALU_DEP_1)
	v_lshlrev_b32_e32 v63, 2, v63
	ds_load_b32 v63, v63
	s_wait_dscnt 0x0
	v_add_nc_u32_e32 v63, v63, v2
	global_store_b8 v63, v62, s[40:41]
	s_wait_xcnt 0x0
	s_or_b32 exec_lo, exec_lo, s17
	v_cmp_lt_u32_e64 s17, v67, v137
	s_and_saveexec_b32 s18, s17
	s_cbranch_execz .LBB391_481
.LBB391_553:                            ;   in Loop: Header=BB391_410 Depth=2
	ds_load_u8 v62, v2 offset:768
	s_wait_dscnt 0x0
	v_and_b32_e32 v63, 0xff, v62
	v_xor_b32_e32 v62, 0x80, v62
	s_delay_alu instid0(VALU_DEP_2) | instskip(NEXT) | instid1(VALU_DEP_1)
	v_lshrrev_b32_e32 v63, s48, v63
	v_and_b32_e32 v63, s58, v63
	s_delay_alu instid0(VALU_DEP_1)
	v_lshlrev_b32_e32 v63, 2, v63
	ds_load_b32 v63, v63
	s_wait_dscnt 0x0
	v_add_nc_u32_e32 v63, v63, v67
	global_store_b8 v63, v62, s[40:41]
	s_wait_xcnt 0x0
	s_or_b32 exec_lo, exec_lo, s18
	v_cmp_lt_u32_e64 s18, v68, v137
	s_and_saveexec_b32 s19, s18
	s_cbranch_execz .LBB391_482
.LBB391_554:                            ;   in Loop: Header=BB391_410 Depth=2
	ds_load_u8 v62, v2 offset:1024
	s_wait_dscnt 0x0
	v_and_b32_e32 v63, 0xff, v62
	v_xor_b32_e32 v62, 0x80, v62
	s_delay_alu instid0(VALU_DEP_2) | instskip(NEXT) | instid1(VALU_DEP_1)
	v_lshrrev_b32_e32 v63, s48, v63
	v_and_b32_e32 v63, s58, v63
	s_delay_alu instid0(VALU_DEP_1)
	v_lshlrev_b32_e32 v63, 2, v63
	ds_load_b32 v63, v63
	s_wait_dscnt 0x0
	v_add_nc_u32_e32 v63, v63, v68
	global_store_b8 v63, v62, s[40:41]
	s_wait_xcnt 0x0
	s_or_b32 exec_lo, exec_lo, s19
	v_cmp_lt_u32_e64 s19, v69, v137
	s_and_saveexec_b32 s20, s19
	s_cbranch_execz .LBB391_483
.LBB391_555:                            ;   in Loop: Header=BB391_410 Depth=2
	ds_load_u8 v62, v2 offset:1280
	s_wait_dscnt 0x0
	v_and_b32_e32 v63, 0xff, v62
	v_xor_b32_e32 v62, 0x80, v62
	s_delay_alu instid0(VALU_DEP_2) | instskip(NEXT) | instid1(VALU_DEP_1)
	v_lshrrev_b32_e32 v63, s48, v63
	v_and_b32_e32 v63, s58, v63
	s_delay_alu instid0(VALU_DEP_1)
	v_lshlrev_b32_e32 v63, 2, v63
	ds_load_b32 v63, v63
	s_wait_dscnt 0x0
	v_add_nc_u32_e32 v63, v63, v69
	global_store_b8 v63, v62, s[40:41]
	s_wait_xcnt 0x0
	s_or_b32 exec_lo, exec_lo, s20
	v_cmp_lt_u32_e64 s20, v70, v137
	s_and_saveexec_b32 s21, s20
	s_cbranch_execz .LBB391_484
.LBB391_556:                            ;   in Loop: Header=BB391_410 Depth=2
	ds_load_u8 v62, v2 offset:1536
	s_wait_dscnt 0x0
	v_and_b32_e32 v63, 0xff, v62
	v_xor_b32_e32 v62, 0x80, v62
	s_delay_alu instid0(VALU_DEP_2) | instskip(NEXT) | instid1(VALU_DEP_1)
	v_lshrrev_b32_e32 v63, s48, v63
	v_and_b32_e32 v63, s58, v63
	s_delay_alu instid0(VALU_DEP_1)
	v_lshlrev_b32_e32 v63, 2, v63
	ds_load_b32 v63, v63
	s_wait_dscnt 0x0
	v_add_nc_u32_e32 v63, v63, v70
	global_store_b8 v63, v62, s[40:41]
	s_wait_xcnt 0x0
	s_or_b32 exec_lo, exec_lo, s21
	v_cmp_lt_u32_e64 s21, v71, v137
	s_and_saveexec_b32 s22, s21
	s_cbranch_execz .LBB391_485
.LBB391_557:                            ;   in Loop: Header=BB391_410 Depth=2
	ds_load_u8 v62, v2 offset:1792
	s_wait_dscnt 0x0
	v_and_b32_e32 v63, 0xff, v62
	v_xor_b32_e32 v62, 0x80, v62
	s_delay_alu instid0(VALU_DEP_2) | instskip(NEXT) | instid1(VALU_DEP_1)
	v_lshrrev_b32_e32 v63, s48, v63
	v_and_b32_e32 v63, s58, v63
	s_delay_alu instid0(VALU_DEP_1)
	v_lshlrev_b32_e32 v63, 2, v63
	ds_load_b32 v63, v63
	s_wait_dscnt 0x0
	v_add_nc_u32_e32 v63, v63, v71
	global_store_b8 v63, v62, s[40:41]
	s_wait_xcnt 0x0
	s_or_b32 exec_lo, exec_lo, s22
	v_cmp_lt_u32_e64 s22, v72, v137
	s_and_saveexec_b32 s23, s22
	s_cbranch_execz .LBB391_486
.LBB391_558:                            ;   in Loop: Header=BB391_410 Depth=2
	ds_load_u8 v62, v2 offset:2048
	s_wait_dscnt 0x0
	v_and_b32_e32 v63, 0xff, v62
	v_xor_b32_e32 v62, 0x80, v62
	s_delay_alu instid0(VALU_DEP_2) | instskip(NEXT) | instid1(VALU_DEP_1)
	v_lshrrev_b32_e32 v63, s48, v63
	v_and_b32_e32 v63, s58, v63
	s_delay_alu instid0(VALU_DEP_1)
	v_lshlrev_b32_e32 v63, 2, v63
	ds_load_b32 v63, v63
	s_wait_dscnt 0x0
	v_add_nc_u32_e32 v63, v63, v72
	global_store_b8 v63, v62, s[40:41]
	s_wait_xcnt 0x0
	s_or_b32 exec_lo, exec_lo, s23
	v_cmp_lt_u32_e64 s23, v73, v137
	s_and_saveexec_b32 s24, s23
	s_cbranch_execz .LBB391_487
.LBB391_559:                            ;   in Loop: Header=BB391_410 Depth=2
	ds_load_u8 v62, v2 offset:2304
	s_wait_dscnt 0x0
	v_and_b32_e32 v63, 0xff, v62
	v_xor_b32_e32 v62, 0x80, v62
	s_delay_alu instid0(VALU_DEP_2) | instskip(NEXT) | instid1(VALU_DEP_1)
	v_lshrrev_b32_e32 v63, s48, v63
	v_and_b32_e32 v63, s58, v63
	s_delay_alu instid0(VALU_DEP_1)
	v_lshlrev_b32_e32 v63, 2, v63
	ds_load_b32 v63, v63
	s_wait_dscnt 0x0
	v_add_nc_u32_e32 v63, v63, v73
	global_store_b8 v63, v62, s[40:41]
	s_wait_xcnt 0x0
	s_or_b32 exec_lo, exec_lo, s24
	v_cmp_lt_u32_e64 s24, v74, v137
	s_and_saveexec_b32 s25, s24
	s_cbranch_execz .LBB391_488
.LBB391_560:                            ;   in Loop: Header=BB391_410 Depth=2
	ds_load_u8 v62, v2 offset:2560
	s_wait_dscnt 0x0
	v_and_b32_e32 v63, 0xff, v62
	v_xor_b32_e32 v62, 0x80, v62
	s_delay_alu instid0(VALU_DEP_2) | instskip(NEXT) | instid1(VALU_DEP_1)
	v_lshrrev_b32_e32 v63, s48, v63
	v_and_b32_e32 v63, s58, v63
	s_delay_alu instid0(VALU_DEP_1)
	v_lshlrev_b32_e32 v63, 2, v63
	ds_load_b32 v63, v63
	s_wait_dscnt 0x0
	v_add_nc_u32_e32 v63, v63, v74
	global_store_b8 v63, v62, s[40:41]
	s_wait_xcnt 0x0
	s_or_b32 exec_lo, exec_lo, s25
	v_cmp_lt_u32_e64 s25, v75, v137
	s_and_saveexec_b32 s26, s25
	s_cbranch_execz .LBB391_489
.LBB391_561:                            ;   in Loop: Header=BB391_410 Depth=2
	ds_load_u8 v62, v2 offset:2816
	s_wait_dscnt 0x0
	v_and_b32_e32 v63, 0xff, v62
	v_xor_b32_e32 v62, 0x80, v62
	s_delay_alu instid0(VALU_DEP_2) | instskip(NEXT) | instid1(VALU_DEP_1)
	v_lshrrev_b32_e32 v63, s48, v63
	v_and_b32_e32 v63, s58, v63
	s_delay_alu instid0(VALU_DEP_1)
	v_lshlrev_b32_e32 v63, 2, v63
	ds_load_b32 v63, v63
	s_wait_dscnt 0x0
	v_add_nc_u32_e32 v63, v63, v75
	global_store_b8 v63, v62, s[40:41]
	s_wait_xcnt 0x0
	s_or_b32 exec_lo, exec_lo, s26
	v_cmp_lt_u32_e64 s26, v76, v137
	s_and_saveexec_b32 s27, s26
	s_cbranch_execz .LBB391_490
.LBB391_562:                            ;   in Loop: Header=BB391_410 Depth=2
	ds_load_u8 v62, v2 offset:3072
	s_wait_dscnt 0x0
	v_and_b32_e32 v63, 0xff, v62
	v_xor_b32_e32 v62, 0x80, v62
	s_delay_alu instid0(VALU_DEP_2) | instskip(NEXT) | instid1(VALU_DEP_1)
	v_lshrrev_b32_e32 v63, s48, v63
	v_and_b32_e32 v63, s58, v63
	s_delay_alu instid0(VALU_DEP_1)
	v_lshlrev_b32_e32 v63, 2, v63
	ds_load_b32 v63, v63
	s_wait_dscnt 0x0
	v_add_nc_u32_e32 v63, v63, v76
	global_store_b8 v63, v62, s[40:41]
	s_wait_xcnt 0x0
	s_or_b32 exec_lo, exec_lo, s27
	v_cmp_lt_u32_e64 s27, v77, v137
	s_and_saveexec_b32 s28, s27
	s_cbranch_execz .LBB391_491
.LBB391_563:                            ;   in Loop: Header=BB391_410 Depth=2
	ds_load_u8 v62, v2 offset:3328
	s_wait_dscnt 0x0
	v_and_b32_e32 v63, 0xff, v62
	v_xor_b32_e32 v62, 0x80, v62
	s_delay_alu instid0(VALU_DEP_2) | instskip(NEXT) | instid1(VALU_DEP_1)
	v_lshrrev_b32_e32 v63, s48, v63
	v_and_b32_e32 v63, s58, v63
	s_delay_alu instid0(VALU_DEP_1)
	v_lshlrev_b32_e32 v63, 2, v63
	ds_load_b32 v63, v63
	s_wait_dscnt 0x0
	v_add_nc_u32_e32 v63, v63, v77
	global_store_b8 v63, v62, s[40:41]
	s_wait_xcnt 0x0
	s_or_b32 exec_lo, exec_lo, s28
	v_cmp_lt_u32_e64 s28, v78, v137
	s_and_saveexec_b32 s29, s28
	s_cbranch_execz .LBB391_492
.LBB391_564:                            ;   in Loop: Header=BB391_410 Depth=2
	ds_load_u8 v62, v2 offset:3584
	s_wait_dscnt 0x0
	v_and_b32_e32 v63, 0xff, v62
	v_xor_b32_e32 v62, 0x80, v62
	s_delay_alu instid0(VALU_DEP_2) | instskip(NEXT) | instid1(VALU_DEP_1)
	v_lshrrev_b32_e32 v63, s48, v63
	v_and_b32_e32 v63, s58, v63
	s_delay_alu instid0(VALU_DEP_1)
	v_lshlrev_b32_e32 v63, 2, v63
	ds_load_b32 v63, v63
	s_wait_dscnt 0x0
	v_add_nc_u32_e32 v63, v63, v78
	global_store_b8 v63, v62, s[40:41]
	s_wait_xcnt 0x0
	s_or_b32 exec_lo, exec_lo, s29
	v_cmp_lt_u32_e64 s29, v79, v137
	s_and_saveexec_b32 s30, s29
	s_cbranch_execz .LBB391_493
.LBB391_565:                            ;   in Loop: Header=BB391_410 Depth=2
	ds_load_u8 v62, v2 offset:3840
	s_wait_dscnt 0x0
	v_and_b32_e32 v63, 0xff, v62
	v_xor_b32_e32 v62, 0x80, v62
	s_delay_alu instid0(VALU_DEP_2) | instskip(NEXT) | instid1(VALU_DEP_1)
	v_lshrrev_b32_e32 v63, s48, v63
	v_and_b32_e32 v63, s58, v63
	s_delay_alu instid0(VALU_DEP_1)
	v_lshlrev_b32_e32 v63, 2, v63
	ds_load_b32 v63, v63
	s_wait_dscnt 0x0
	v_add_nc_u32_e32 v63, v63, v79
	global_store_b8 v63, v62, s[40:41]
	s_wait_xcnt 0x0
	s_or_b32 exec_lo, exec_lo, s30
	v_cmp_lt_u32_e64 s30, v80, v137
	s_and_saveexec_b32 s31, s30
	s_cbranch_execz .LBB391_494
.LBB391_566:                            ;   in Loop: Header=BB391_410 Depth=2
	ds_load_u8 v62, v2 offset:4096
	s_wait_dscnt 0x0
	v_and_b32_e32 v63, 0xff, v62
	v_xor_b32_e32 v62, 0x80, v62
	s_delay_alu instid0(VALU_DEP_2) | instskip(NEXT) | instid1(VALU_DEP_1)
	v_lshrrev_b32_e32 v63, s48, v63
	v_and_b32_e32 v63, s58, v63
	s_delay_alu instid0(VALU_DEP_1)
	v_lshlrev_b32_e32 v63, 2, v63
	ds_load_b32 v63, v63
	s_wait_dscnt 0x0
	v_add_nc_u32_e32 v63, v63, v80
	global_store_b8 v63, v62, s[40:41]
	s_wait_xcnt 0x0
	s_or_b32 exec_lo, exec_lo, s31
	v_cmp_lt_u32_e64 s31, v81, v137
	s_and_saveexec_b32 s33, s31
	s_cbranch_execz .LBB391_495
.LBB391_567:                            ;   in Loop: Header=BB391_410 Depth=2
	ds_load_u8 v62, v2 offset:4352
	s_wait_dscnt 0x0
	v_and_b32_e32 v63, 0xff, v62
	v_xor_b32_e32 v62, 0x80, v62
	s_delay_alu instid0(VALU_DEP_2) | instskip(NEXT) | instid1(VALU_DEP_1)
	v_lshrrev_b32_e32 v63, s48, v63
	v_and_b32_e32 v63, s58, v63
	s_delay_alu instid0(VALU_DEP_1)
	v_lshlrev_b32_e32 v63, 2, v63
	ds_load_b32 v63, v63
	s_wait_dscnt 0x0
	v_add_nc_u32_e32 v63, v63, v81
	global_store_b8 v63, v62, s[40:41]
	s_wait_xcnt 0x0
	s_or_b32 exec_lo, exec_lo, s33
	v_cmp_lt_u32_e64 s33, v82, v137
	s_and_saveexec_b32 s61, s33
	s_cbranch_execnz .LBB391_496
	s_branch .LBB391_497
.LBB391_568:                            ;   in Loop: Header=BB391_410 Depth=2
	global_load_b64 v[60:61], v[62:63], off
	s_wait_xcnt 0x0
	s_or_b32 exec_lo, exec_lo, s34
	s_delay_alu instid0(SALU_CYCLE_1)
	s_mov_b32 s61, exec_lo
	v_cmpx_lt_u32_e64 v98, v137
	s_cbranch_execz .LBB391_499
.LBB391_569:                            ;   in Loop: Header=BB391_410 Depth=2
	global_load_b64 v[58:59], v[62:63], off offset:256
	s_wait_xcnt 0x0
	s_or_b32 exec_lo, exec_lo, s61
	s_delay_alu instid0(SALU_CYCLE_1)
	s_mov_b32 s61, exec_lo
	v_cmpx_lt_u32_e64 v99, v137
	s_cbranch_execz .LBB391_500
.LBB391_570:                            ;   in Loop: Header=BB391_410 Depth=2
	global_load_b64 v[56:57], v[62:63], off offset:512
	s_wait_xcnt 0x0
	s_or_b32 exec_lo, exec_lo, s61
	s_delay_alu instid0(SALU_CYCLE_1)
	s_mov_b32 s61, exec_lo
	v_cmpx_lt_u32_e64 v100, v137
	s_cbranch_execz .LBB391_501
.LBB391_571:                            ;   in Loop: Header=BB391_410 Depth=2
	global_load_b64 v[54:55], v[62:63], off offset:768
	s_wait_xcnt 0x0
	s_or_b32 exec_lo, exec_lo, s61
	s_delay_alu instid0(SALU_CYCLE_1)
	s_mov_b32 s61, exec_lo
	v_cmpx_lt_u32_e64 v101, v137
	s_cbranch_execz .LBB391_502
.LBB391_572:                            ;   in Loop: Header=BB391_410 Depth=2
	global_load_b64 v[52:53], v[62:63], off offset:1024
	s_wait_xcnt 0x0
	s_or_b32 exec_lo, exec_lo, s61
	s_delay_alu instid0(SALU_CYCLE_1)
	s_mov_b32 s61, exec_lo
	v_cmpx_lt_u32_e64 v102, v137
	s_cbranch_execz .LBB391_503
.LBB391_573:                            ;   in Loop: Header=BB391_410 Depth=2
	global_load_b64 v[50:51], v[62:63], off offset:1280
	s_wait_xcnt 0x0
	s_or_b32 exec_lo, exec_lo, s61
	s_delay_alu instid0(SALU_CYCLE_1)
	s_mov_b32 s61, exec_lo
	v_cmpx_lt_u32_e64 v103, v137
	s_cbranch_execz .LBB391_504
.LBB391_574:                            ;   in Loop: Header=BB391_410 Depth=2
	global_load_b64 v[48:49], v[62:63], off offset:1536
	s_wait_xcnt 0x0
	s_or_b32 exec_lo, exec_lo, s61
	s_delay_alu instid0(SALU_CYCLE_1)
	s_mov_b32 s61, exec_lo
	v_cmpx_lt_u32_e64 v104, v137
	s_cbranch_execz .LBB391_505
.LBB391_575:                            ;   in Loop: Header=BB391_410 Depth=2
	global_load_b64 v[46:47], v[62:63], off offset:1792
	s_wait_xcnt 0x0
	s_or_b32 exec_lo, exec_lo, s61
	s_delay_alu instid0(SALU_CYCLE_1)
	s_mov_b32 s61, exec_lo
	v_cmpx_lt_u32_e64 v105, v137
	s_cbranch_execz .LBB391_506
.LBB391_576:                            ;   in Loop: Header=BB391_410 Depth=2
	global_load_b64 v[44:45], v[62:63], off offset:2048
	s_wait_xcnt 0x0
	s_or_b32 exec_lo, exec_lo, s61
	s_delay_alu instid0(SALU_CYCLE_1)
	s_mov_b32 s61, exec_lo
	v_cmpx_lt_u32_e64 v106, v137
	s_cbranch_execz .LBB391_507
.LBB391_577:                            ;   in Loop: Header=BB391_410 Depth=2
	global_load_b64 v[42:43], v[62:63], off offset:2304
	s_wait_xcnt 0x0
	s_or_b32 exec_lo, exec_lo, s61
	s_delay_alu instid0(SALU_CYCLE_1)
	s_mov_b32 s61, exec_lo
	v_cmpx_lt_u32_e64 v107, v137
	s_cbranch_execz .LBB391_508
.LBB391_578:                            ;   in Loop: Header=BB391_410 Depth=2
	global_load_b64 v[40:41], v[62:63], off offset:2560
	s_wait_xcnt 0x0
	s_or_b32 exec_lo, exec_lo, s61
	s_delay_alu instid0(SALU_CYCLE_1)
	s_mov_b32 s61, exec_lo
	v_cmpx_lt_u32_e64 v108, v137
	s_cbranch_execz .LBB391_509
.LBB391_579:                            ;   in Loop: Header=BB391_410 Depth=2
	global_load_b64 v[38:39], v[62:63], off offset:2816
	s_wait_xcnt 0x0
	s_or_b32 exec_lo, exec_lo, s61
	s_delay_alu instid0(SALU_CYCLE_1)
	s_mov_b32 s61, exec_lo
	v_cmpx_lt_u32_e64 v109, v137
	s_cbranch_execz .LBB391_510
.LBB391_580:                            ;   in Loop: Header=BB391_410 Depth=2
	global_load_b64 v[36:37], v[62:63], off offset:3072
	s_wait_xcnt 0x0
	s_or_b32 exec_lo, exec_lo, s61
	s_delay_alu instid0(SALU_CYCLE_1)
	s_mov_b32 s61, exec_lo
	v_cmpx_lt_u32_e64 v110, v137
	s_cbranch_execz .LBB391_511
.LBB391_581:                            ;   in Loop: Header=BB391_410 Depth=2
	global_load_b64 v[34:35], v[62:63], off offset:3328
	s_wait_xcnt 0x0
	s_or_b32 exec_lo, exec_lo, s61
	s_delay_alu instid0(SALU_CYCLE_1)
	s_mov_b32 s61, exec_lo
	v_cmpx_lt_u32_e64 v111, v137
	s_cbranch_execz .LBB391_512
.LBB391_582:                            ;   in Loop: Header=BB391_410 Depth=2
	global_load_b64 v[32:33], v[62:63], off offset:3584
	s_wait_xcnt 0x0
	s_or_b32 exec_lo, exec_lo, s61
	s_delay_alu instid0(SALU_CYCLE_1)
	s_mov_b32 s61, exec_lo
	v_cmpx_lt_u32_e64 v112, v137
	s_cbranch_execz .LBB391_513
.LBB391_583:                            ;   in Loop: Header=BB391_410 Depth=2
	global_load_b64 v[30:31], v[62:63], off offset:3840
	s_wait_xcnt 0x0
	s_or_b32 exec_lo, exec_lo, s61
	s_delay_alu instid0(SALU_CYCLE_1)
	s_mov_b32 s61, exec_lo
	v_cmpx_lt_u32_e64 v113, v137
	s_cbranch_execz .LBB391_514
.LBB391_584:                            ;   in Loop: Header=BB391_410 Depth=2
	global_load_b64 v[28:29], v[62:63], off offset:4096
	s_wait_xcnt 0x0
	s_or_b32 exec_lo, exec_lo, s61
	s_and_saveexec_b32 s34, vcc_lo
	s_cbranch_execz .LBB391_515
.LBB391_585:                            ;   in Loop: Header=BB391_410 Depth=2
	ds_load_u8 v62, v2 offset:512
	s_wait_dscnt 0x0
	v_lshrrev_b32_e32 v62, s48, v62
	s_delay_alu instid0(VALU_DEP_1)
	v_and_b32_e32 v132, s58, v62
	s_or_b32 exec_lo, exec_lo, s34
	s_and_saveexec_b32 s34, s17
	s_cbranch_execz .LBB391_516
.LBB391_586:                            ;   in Loop: Header=BB391_410 Depth=2
	ds_load_u8 v62, v2 offset:768
	s_wait_dscnt 0x0
	v_lshrrev_b32_e32 v62, s48, v62
	s_delay_alu instid0(VALU_DEP_1)
	v_and_b32_e32 v131, s58, v62
	s_or_b32 exec_lo, exec_lo, s34
	s_and_saveexec_b32 s34, s18
	s_cbranch_execz .LBB391_517
.LBB391_587:                            ;   in Loop: Header=BB391_410 Depth=2
	ds_load_u8 v62, v2 offset:1024
	s_wait_dscnt 0x0
	v_lshrrev_b32_e32 v62, s48, v62
	s_delay_alu instid0(VALU_DEP_1)
	v_and_b32_e32 v130, s58, v62
	s_or_b32 exec_lo, exec_lo, s34
	s_and_saveexec_b32 s34, s19
	s_cbranch_execz .LBB391_518
.LBB391_588:                            ;   in Loop: Header=BB391_410 Depth=2
	ds_load_u8 v62, v2 offset:1280
	s_wait_dscnt 0x0
	v_lshrrev_b32_e32 v62, s48, v62
	s_delay_alu instid0(VALU_DEP_1)
	v_and_b32_e32 v129, s58, v62
	s_or_b32 exec_lo, exec_lo, s34
	s_and_saveexec_b32 s34, s20
	s_cbranch_execz .LBB391_519
.LBB391_589:                            ;   in Loop: Header=BB391_410 Depth=2
	ds_load_u8 v62, v2 offset:1536
	s_wait_dscnt 0x0
	v_lshrrev_b32_e32 v62, s48, v62
	s_delay_alu instid0(VALU_DEP_1)
	v_and_b32_e32 v128, s58, v62
	s_or_b32 exec_lo, exec_lo, s34
	s_and_saveexec_b32 s34, s21
	s_cbranch_execz .LBB391_520
.LBB391_590:                            ;   in Loop: Header=BB391_410 Depth=2
	ds_load_u8 v62, v2 offset:1792
	s_wait_dscnt 0x0
	v_lshrrev_b32_e32 v62, s48, v62
	s_delay_alu instid0(VALU_DEP_1)
	v_and_b32_e32 v127, s58, v62
	s_or_b32 exec_lo, exec_lo, s34
	s_and_saveexec_b32 s34, s22
	s_cbranch_execz .LBB391_521
.LBB391_591:                            ;   in Loop: Header=BB391_410 Depth=2
	ds_load_u8 v62, v2 offset:2048
	s_wait_dscnt 0x0
	v_lshrrev_b32_e32 v62, s48, v62
	s_delay_alu instid0(VALU_DEP_1)
	v_and_b32_e32 v126, s58, v62
	s_or_b32 exec_lo, exec_lo, s34
	s_and_saveexec_b32 s34, s23
	s_cbranch_execz .LBB391_522
.LBB391_592:                            ;   in Loop: Header=BB391_410 Depth=2
	ds_load_u8 v62, v2 offset:2304
	s_wait_dscnt 0x0
	v_lshrrev_b32_e32 v62, s48, v62
	s_delay_alu instid0(VALU_DEP_1)
	v_and_b32_e32 v125, s58, v62
	s_or_b32 exec_lo, exec_lo, s34
	s_and_saveexec_b32 s34, s24
	s_cbranch_execz .LBB391_523
.LBB391_593:                            ;   in Loop: Header=BB391_410 Depth=2
	ds_load_u8 v62, v2 offset:2560
	s_wait_dscnt 0x0
	v_lshrrev_b32_e32 v62, s48, v62
	s_delay_alu instid0(VALU_DEP_1)
	v_and_b32_e32 v124, s58, v62
	s_or_b32 exec_lo, exec_lo, s34
	s_and_saveexec_b32 s34, s25
	s_cbranch_execz .LBB391_524
.LBB391_594:                            ;   in Loop: Header=BB391_410 Depth=2
	ds_load_u8 v62, v2 offset:2816
	s_wait_dscnt 0x0
	v_lshrrev_b32_e32 v62, s48, v62
	s_delay_alu instid0(VALU_DEP_1)
	v_and_b32_e32 v123, s58, v62
	s_or_b32 exec_lo, exec_lo, s34
	s_and_saveexec_b32 s34, s26
	s_cbranch_execz .LBB391_525
.LBB391_595:                            ;   in Loop: Header=BB391_410 Depth=2
	ds_load_u8 v62, v2 offset:3072
	s_wait_dscnt 0x0
	v_lshrrev_b32_e32 v62, s48, v62
	s_delay_alu instid0(VALU_DEP_1)
	v_and_b32_e32 v122, s58, v62
	s_or_b32 exec_lo, exec_lo, s34
	s_and_saveexec_b32 s34, s27
	s_cbranch_execz .LBB391_526
.LBB391_596:                            ;   in Loop: Header=BB391_410 Depth=2
	ds_load_u8 v62, v2 offset:3328
	s_wait_dscnt 0x0
	v_lshrrev_b32_e32 v62, s48, v62
	s_delay_alu instid0(VALU_DEP_1)
	v_and_b32_e32 v121, s58, v62
	s_or_b32 exec_lo, exec_lo, s34
	s_and_saveexec_b32 s34, s28
	s_cbranch_execz .LBB391_527
.LBB391_597:                            ;   in Loop: Header=BB391_410 Depth=2
	ds_load_u8 v62, v2 offset:3584
	s_wait_dscnt 0x0
	v_lshrrev_b32_e32 v62, s48, v62
	s_delay_alu instid0(VALU_DEP_1)
	v_and_b32_e32 v120, s58, v62
	s_or_b32 exec_lo, exec_lo, s34
	s_and_saveexec_b32 s34, s29
	s_cbranch_execz .LBB391_528
.LBB391_598:                            ;   in Loop: Header=BB391_410 Depth=2
	ds_load_u8 v62, v2 offset:3840
	s_wait_dscnt 0x0
	v_lshrrev_b32_e32 v62, s48, v62
	s_delay_alu instid0(VALU_DEP_1)
	v_and_b32_e32 v119, s58, v62
	s_or_b32 exec_lo, exec_lo, s34
	s_and_saveexec_b32 s34, s30
	s_cbranch_execz .LBB391_529
.LBB391_599:                            ;   in Loop: Header=BB391_410 Depth=2
	ds_load_u8 v62, v2 offset:4096
	s_wait_dscnt 0x0
	v_lshrrev_b32_e32 v62, s48, v62
	s_delay_alu instid0(VALU_DEP_1)
	v_and_b32_e32 v118, s58, v62
	s_or_b32 exec_lo, exec_lo, s34
	s_and_saveexec_b32 s34, s31
	s_cbranch_execz .LBB391_530
.LBB391_600:                            ;   in Loop: Header=BB391_410 Depth=2
	ds_load_u8 v62, v2 offset:4352
	s_wait_dscnt 0x0
	v_lshrrev_b32_e32 v62, s48, v62
	s_delay_alu instid0(VALU_DEP_1)
	v_and_b32_e32 v117, s58, v62
	s_or_b32 exec_lo, exec_lo, s34
	s_and_saveexec_b32 s34, s33
	s_cbranch_execnz .LBB391_531
	s_branch .LBB391_532
.LBB391_601:                            ;   in Loop: Header=BB391_410 Depth=2
	v_dual_lshlrev_b32 v62, 2, v132 :: v_dual_add_nc_u32 v63, v2, v95
	ds_load_b32 v64, v62
	ds_load_b64 v[62:63], v63 offset:512
	s_wait_dscnt 0x1
	v_add_nc_u32_e32 v64, v64, v2
	s_wait_dscnt 0x0
	global_store_b64 v64, v[62:63], s[46:47] scale_offset
	s_wait_xcnt 0x0
	s_or_b32 exec_lo, exec_lo, s34
	s_and_saveexec_b32 s34, s17
	s_cbranch_execz .LBB391_534
.LBB391_602:                            ;   in Loop: Header=BB391_410 Depth=2
	v_lshlrev_b32_e32 v62, 2, v131
	v_add_nc_u32_e32 v63, v2, v95
	ds_load_b32 v64, v62
	ds_load_b64 v[62:63], v63 offset:2560
	s_wait_dscnt 0x1
	v_add_nc_u32_e32 v64, v64, v67
	s_wait_dscnt 0x0
	global_store_b64 v64, v[62:63], s[46:47] scale_offset
	s_wait_xcnt 0x0
	s_or_b32 exec_lo, exec_lo, s34
	s_and_saveexec_b32 s17, s18
	s_cbranch_execz .LBB391_535
.LBB391_603:                            ;   in Loop: Header=BB391_410 Depth=2
	v_dual_lshlrev_b32 v62, 2, v130 :: v_dual_add_nc_u32 v63, v2, v95
	ds_load_b32 v64, v62
	ds_load_b64 v[62:63], v63 offset:4608
	s_wait_dscnt 0x1
	v_add_nc_u32_e32 v64, v64, v68
	s_wait_dscnt 0x0
	global_store_b64 v64, v[62:63], s[46:47] scale_offset
	s_wait_xcnt 0x0
	s_or_b32 exec_lo, exec_lo, s17
	s_and_saveexec_b32 s17, s19
	s_cbranch_execz .LBB391_536
.LBB391_604:                            ;   in Loop: Header=BB391_410 Depth=2
	v_dual_lshlrev_b32 v62, 2, v129 :: v_dual_add_nc_u32 v63, v2, v95
	ds_load_b32 v64, v62
	ds_load_b64 v[62:63], v63 offset:6656
	s_wait_dscnt 0x1
	v_add_nc_u32_e32 v64, v64, v69
	s_wait_dscnt 0x0
	global_store_b64 v64, v[62:63], s[46:47] scale_offset
	s_wait_xcnt 0x0
	s_or_b32 exec_lo, exec_lo, s17
	s_and_saveexec_b32 s17, s20
	s_cbranch_execz .LBB391_537
.LBB391_605:                            ;   in Loop: Header=BB391_410 Depth=2
	v_dual_lshlrev_b32 v62, 2, v128 :: v_dual_add_nc_u32 v63, v2, v95
	ds_load_b32 v64, v62
	ds_load_b64 v[62:63], v63 offset:8704
	s_wait_dscnt 0x1
	v_add_nc_u32_e32 v64, v64, v70
	s_wait_dscnt 0x0
	global_store_b64 v64, v[62:63], s[46:47] scale_offset
	s_wait_xcnt 0x0
	s_or_b32 exec_lo, exec_lo, s17
	s_and_saveexec_b32 s17, s21
	s_cbranch_execz .LBB391_538
.LBB391_606:                            ;   in Loop: Header=BB391_410 Depth=2
	v_lshlrev_b32_e32 v62, 2, v127
	v_add_nc_u32_e32 v63, v2, v95
	ds_load_b32 v64, v62
	ds_load_b64 v[62:63], v63 offset:10752
	s_wait_dscnt 0x1
	v_add_nc_u32_e32 v64, v64, v71
	s_wait_dscnt 0x0
	global_store_b64 v64, v[62:63], s[46:47] scale_offset
	s_wait_xcnt 0x0
	s_or_b32 exec_lo, exec_lo, s17
	s_and_saveexec_b32 s17, s22
	s_cbranch_execz .LBB391_539
.LBB391_607:                            ;   in Loop: Header=BB391_410 Depth=2
	v_dual_lshlrev_b32 v62, 2, v126 :: v_dual_add_nc_u32 v63, v2, v95
	ds_load_b32 v64, v62
	ds_load_b64 v[62:63], v63 offset:12800
	s_wait_dscnt 0x1
	v_add_nc_u32_e32 v64, v64, v72
	s_wait_dscnt 0x0
	global_store_b64 v64, v[62:63], s[46:47] scale_offset
	s_wait_xcnt 0x0
	s_or_b32 exec_lo, exec_lo, s17
	s_and_saveexec_b32 s17, s23
	s_cbranch_execz .LBB391_540
.LBB391_608:                            ;   in Loop: Header=BB391_410 Depth=2
	v_dual_lshlrev_b32 v62, 2, v125 :: v_dual_add_nc_u32 v63, v2, v95
	ds_load_b32 v64, v62
	ds_load_b64 v[62:63], v63 offset:14848
	s_wait_dscnt 0x1
	v_add_nc_u32_e32 v64, v64, v73
	s_wait_dscnt 0x0
	global_store_b64 v64, v[62:63], s[46:47] scale_offset
	s_wait_xcnt 0x0
	s_or_b32 exec_lo, exec_lo, s17
	s_and_saveexec_b32 s17, s24
	s_cbranch_execz .LBB391_541
.LBB391_609:                            ;   in Loop: Header=BB391_410 Depth=2
	v_dual_lshlrev_b32 v62, 2, v124 :: v_dual_add_nc_u32 v63, v2, v95
	ds_load_b32 v64, v62
	ds_load_b64 v[62:63], v63 offset:16896
	s_wait_dscnt 0x1
	v_add_nc_u32_e32 v64, v64, v74
	s_wait_dscnt 0x0
	global_store_b64 v64, v[62:63], s[46:47] scale_offset
	s_wait_xcnt 0x0
	s_or_b32 exec_lo, exec_lo, s17
	s_and_saveexec_b32 s17, s25
	s_cbranch_execz .LBB391_542
.LBB391_610:                            ;   in Loop: Header=BB391_410 Depth=2
	v_lshlrev_b32_e32 v62, 2, v123
	v_add_nc_u32_e32 v63, v2, v95
	ds_load_b32 v64, v62
	ds_load_b64 v[62:63], v63 offset:18944
	s_wait_dscnt 0x1
	v_add_nc_u32_e32 v64, v64, v75
	s_wait_dscnt 0x0
	global_store_b64 v64, v[62:63], s[46:47] scale_offset
	s_wait_xcnt 0x0
	s_or_b32 exec_lo, exec_lo, s17
	s_and_saveexec_b32 s17, s26
	s_cbranch_execz .LBB391_543
.LBB391_611:                            ;   in Loop: Header=BB391_410 Depth=2
	v_dual_lshlrev_b32 v62, 2, v122 :: v_dual_add_nc_u32 v63, v2, v95
	ds_load_b32 v64, v62
	ds_load_b64 v[62:63], v63 offset:20992
	s_wait_dscnt 0x1
	v_add_nc_u32_e32 v64, v64, v76
	s_wait_dscnt 0x0
	global_store_b64 v64, v[62:63], s[46:47] scale_offset
	s_wait_xcnt 0x0
	s_or_b32 exec_lo, exec_lo, s17
	s_and_saveexec_b32 s17, s27
	s_cbranch_execz .LBB391_544
.LBB391_612:                            ;   in Loop: Header=BB391_410 Depth=2
	v_dual_lshlrev_b32 v62, 2, v121 :: v_dual_add_nc_u32 v63, v2, v95
	ds_load_b32 v64, v62
	ds_load_b64 v[62:63], v63 offset:23040
	s_wait_dscnt 0x1
	v_add_nc_u32_e32 v64, v64, v77
	s_wait_dscnt 0x0
	global_store_b64 v64, v[62:63], s[46:47] scale_offset
	s_wait_xcnt 0x0
	s_or_b32 exec_lo, exec_lo, s17
	s_and_saveexec_b32 s17, s28
	s_cbranch_execz .LBB391_545
.LBB391_613:                            ;   in Loop: Header=BB391_410 Depth=2
	v_dual_lshlrev_b32 v62, 2, v120 :: v_dual_add_nc_u32 v63, v2, v95
	ds_load_b32 v64, v62
	ds_load_b64 v[62:63], v63 offset:25088
	s_wait_dscnt 0x1
	v_add_nc_u32_e32 v64, v64, v78
	s_wait_dscnt 0x0
	global_store_b64 v64, v[62:63], s[46:47] scale_offset
	s_wait_xcnt 0x0
	s_or_b32 exec_lo, exec_lo, s17
	s_and_saveexec_b32 s17, s29
	s_cbranch_execz .LBB391_546
.LBB391_614:                            ;   in Loop: Header=BB391_410 Depth=2
	v_lshlrev_b32_e32 v62, 2, v119
	v_add_nc_u32_e32 v63, v2, v95
	ds_load_b32 v64, v62
	ds_load_b64 v[62:63], v63 offset:27136
	s_wait_dscnt 0x1
	v_add_nc_u32_e32 v64, v64, v79
	s_wait_dscnt 0x0
	global_store_b64 v64, v[62:63], s[46:47] scale_offset
	s_wait_xcnt 0x0
	s_or_b32 exec_lo, exec_lo, s17
	s_and_saveexec_b32 s17, s30
	s_cbranch_execz .LBB391_547
.LBB391_615:                            ;   in Loop: Header=BB391_410 Depth=2
	v_dual_lshlrev_b32 v62, 2, v118 :: v_dual_add_nc_u32 v63, v2, v95
	ds_load_b32 v64, v62
	ds_load_b64 v[62:63], v63 offset:29184
	s_wait_dscnt 0x1
	v_add_nc_u32_e32 v64, v64, v80
	s_wait_dscnt 0x0
	global_store_b64 v64, v[62:63], s[46:47] scale_offset
	s_wait_xcnt 0x0
	s_or_b32 exec_lo, exec_lo, s17
	s_and_saveexec_b32 s17, s31
	s_cbranch_execz .LBB391_548
.LBB391_616:                            ;   in Loop: Header=BB391_410 Depth=2
	v_dual_lshlrev_b32 v62, 2, v117 :: v_dual_add_nc_u32 v63, v2, v95
	ds_load_b32 v64, v62
	ds_load_b64 v[62:63], v63 offset:31232
	s_wait_dscnt 0x1
	v_add_nc_u32_e32 v64, v64, v81
	s_wait_dscnt 0x0
	global_store_b64 v64, v[62:63], s[46:47] scale_offset
	s_wait_xcnt 0x0
	s_or_b32 exec_lo, exec_lo, s17
	s_and_saveexec_b32 s17, s33
	s_cbranch_execnz .LBB391_549
	s_branch .LBB391_550
.LBB391_617:                            ;   in Loop: Header=BB391_410 Depth=2
	global_load_u8 v147, v[62:63], off
	v_dual_mov_b32 v115, 0x7f :: v_dual_mov_b32 v150, 0x7f
	v_dual_mov_b32 v148, 0x7f :: v_dual_mov_b32 v151, 0x7f
	;; [unrolled: 1-line block ×8, first 2 shown]
	s_wait_xcnt 0x0
	s_or_b32 exec_lo, exec_lo, s17
	s_delay_alu instid0(SALU_CYCLE_1)
	s_mov_b32 s17, exec_lo
	v_cmpx_gt_u32_e64 s59, v98
	s_cbranch_execz .LBB391_415
.LBB391_618:                            ;   in Loop: Header=BB391_410 Depth=2
	global_load_u8 v150, v[62:63], off offset:32
	s_wait_xcnt 0x0
	s_or_b32 exec_lo, exec_lo, s17
	s_delay_alu instid0(SALU_CYCLE_1)
	s_mov_b32 s17, exec_lo
	v_cmpx_gt_u32_e64 s59, v99
	s_cbranch_execz .LBB391_416
.LBB391_619:                            ;   in Loop: Header=BB391_410 Depth=2
	global_load_u8 v148, v[62:63], off offset:64
	s_wait_xcnt 0x0
	s_or_b32 exec_lo, exec_lo, s17
	s_delay_alu instid0(SALU_CYCLE_1)
	s_mov_b32 s17, exec_lo
	v_cmpx_gt_u32_e64 s59, v100
	s_cbranch_execz .LBB391_417
.LBB391_620:                            ;   in Loop: Header=BB391_410 Depth=2
	global_load_u8 v151, v[62:63], off offset:96
	s_wait_xcnt 0x0
	s_or_b32 exec_lo, exec_lo, s17
	s_delay_alu instid0(SALU_CYCLE_1)
	s_mov_b32 s17, exec_lo
	v_cmpx_gt_u32_e64 s59, v101
	s_cbranch_execz .LBB391_418
.LBB391_621:                            ;   in Loop: Header=BB391_410 Depth=2
	global_load_u8 v142, v[62:63], off offset:128
	s_wait_xcnt 0x0
	s_or_b32 exec_lo, exec_lo, s17
	s_delay_alu instid0(SALU_CYCLE_1)
	s_mov_b32 s17, exec_lo
	v_cmpx_gt_u32_e64 s59, v102
	s_cbranch_execz .LBB391_419
.LBB391_622:                            ;   in Loop: Header=BB391_410 Depth=2
	global_load_u8 v145, v[62:63], off offset:160
	s_wait_xcnt 0x0
	s_or_b32 exec_lo, exec_lo, s17
	s_delay_alu instid0(SALU_CYCLE_1)
	s_mov_b32 s17, exec_lo
	v_cmpx_gt_u32_e64 s59, v103
	s_cbranch_execz .LBB391_420
.LBB391_623:                            ;   in Loop: Header=BB391_410 Depth=2
	global_load_u8 v143, v[62:63], off offset:192
	s_wait_xcnt 0x0
	s_or_b32 exec_lo, exec_lo, s17
	s_delay_alu instid0(SALU_CYCLE_1)
	s_mov_b32 s17, exec_lo
	v_cmpx_gt_u32_e64 s59, v104
	s_cbranch_execz .LBB391_421
.LBB391_624:                            ;   in Loop: Header=BB391_410 Depth=2
	global_load_u8 v144, v[62:63], off offset:224
	s_wait_xcnt 0x0
	s_or_b32 exec_lo, exec_lo, s17
	s_delay_alu instid0(SALU_CYCLE_1)
	s_mov_b32 s17, exec_lo
	v_cmpx_gt_u32_e64 s59, v105
	s_cbranch_execz .LBB391_422
.LBB391_625:                            ;   in Loop: Header=BB391_410 Depth=2
	global_load_u8 v138, v[62:63], off offset:256
	s_wait_xcnt 0x0
	s_or_b32 exec_lo, exec_lo, s17
	s_delay_alu instid0(SALU_CYCLE_1)
	s_mov_b32 s17, exec_lo
	v_cmpx_gt_u32_e64 s59, v106
	s_cbranch_execz .LBB391_423
.LBB391_626:                            ;   in Loop: Header=BB391_410 Depth=2
	global_load_u8 v141, v[62:63], off offset:288
	s_wait_xcnt 0x0
	s_or_b32 exec_lo, exec_lo, s17
	s_delay_alu instid0(SALU_CYCLE_1)
	s_mov_b32 s17, exec_lo
	v_cmpx_gt_u32_e64 s59, v107
	s_cbranch_execz .LBB391_424
.LBB391_627:                            ;   in Loop: Header=BB391_410 Depth=2
	global_load_u8 v139, v[62:63], off offset:320
	s_wait_xcnt 0x0
	s_or_b32 exec_lo, exec_lo, s17
	s_delay_alu instid0(SALU_CYCLE_1)
	s_mov_b32 s17, exec_lo
	v_cmpx_gt_u32_e64 s59, v108
	s_cbranch_execz .LBB391_425
.LBB391_628:                            ;   in Loop: Header=BB391_410 Depth=2
	global_load_u8 v140, v[62:63], off offset:352
	s_wait_xcnt 0x0
	s_or_b32 exec_lo, exec_lo, s17
	s_delay_alu instid0(SALU_CYCLE_1)
	s_mov_b32 s17, exec_lo
	v_cmpx_gt_u32_e64 s59, v109
	s_cbranch_execz .LBB391_426
.LBB391_629:                            ;   in Loop: Header=BB391_410 Depth=2
	global_load_u8 v64, v[62:63], off offset:384
	s_wait_xcnt 0x0
	s_or_b32 exec_lo, exec_lo, s17
	s_delay_alu instid0(SALU_CYCLE_1)
	s_mov_b32 s17, exec_lo
	v_cmpx_gt_u32_e64 s59, v110
	s_cbranch_execz .LBB391_427
.LBB391_630:                            ;   in Loop: Header=BB391_410 Depth=2
	global_load_u8 v136, v[62:63], off offset:416
	s_wait_xcnt 0x0
	s_or_b32 exec_lo, exec_lo, s17
	s_delay_alu instid0(SALU_CYCLE_1)
	s_mov_b32 s17, exec_lo
	v_cmpx_gt_u32_e64 s59, v111
	s_cbranch_execz .LBB391_428
.LBB391_631:                            ;   in Loop: Header=BB391_410 Depth=2
	global_load_u8 v65, v[62:63], off offset:448
	s_wait_xcnt 0x0
	s_or_b32 exec_lo, exec_lo, s17
	s_delay_alu instid0(SALU_CYCLE_1)
	s_mov_b32 s17, exec_lo
	v_cmpx_gt_u32_e64 s59, v112
	s_cbranch_execnz .LBB391_429
	s_branch .LBB391_430
.LBB391_632:                            ;   in Loop: Header=BB391_12 Depth=1
	s_wait_dscnt 0x0
	s_barrier_signal -1
	s_barrier_wait -1
.LBB391_633:                            ;   in Loop: Header=BB391_12 Depth=1
	s_mov_b32 s8, 0
.LBB391_634:                            ;   in Loop: Header=BB391_12 Depth=1
	s_delay_alu instid0(SALU_CYCLE_1)
	s_and_not1_b32 vcc_lo, exec_lo, s8
	s_cbranch_vccnz .LBB391_11
; %bb.635:                              ;   in Loop: Header=BB391_12 Depth=1
	s_and_b32 vcc_lo, exec_lo, s56
	s_mov_b32 s8, -1
	s_cbranch_vccz .LBB391_945
; %bb.636:                              ;   in Loop: Header=BB391_12 Depth=1
	v_dual_mov_b32 v39, 0 :: v_dual_mov_b32 v42, 0
	v_dual_mov_b32 v41, 0 :: v_dual_mov_b32 v40, 0
	;; [unrolled: 1-line block ×8, first 2 shown]
	v_mov_b32_e32 v26, 0
	s_mov_b32 s8, s57
	s_mov_b32 s34, s55
	s_barrier_signal -1
	s_barrier_wait -1
	s_branch .LBB391_638
.LBB391_637:                            ;   in Loop: Header=BB391_638 Depth=2
	s_or_b32 exec_lo, exec_lo, s10
	s_addk_co_i32 s8, 0xef00
	s_cmp_ge_u32 s9, s54
	s_mov_b32 s34, s9
	s_cbranch_scc1 .LBB391_710
.LBB391_638:                            ;   Parent Loop BB391_12 Depth=1
                                        ; =>  This Inner Loop Header: Depth=2
	s_add_co_i32 s9, s34, 0x1100
	s_mov_b32 s10, -1
	s_cmp_gt_u32 s9, s54
                                        ; implicit-def: $vgpr24
                                        ; implicit-def: $vgpr25
                                        ; implicit-def: $vgpr43
                                        ; implicit-def: $vgpr44
                                        ; implicit-def: $vgpr45
                                        ; implicit-def: $vgpr46
                                        ; implicit-def: $vgpr47
                                        ; implicit-def: $vgpr48
                                        ; implicit-def: $vgpr49
                                        ; implicit-def: $vgpr50
                                        ; implicit-def: $vgpr51
                                        ; implicit-def: $vgpr52
                                        ; implicit-def: $vgpr53
                                        ; implicit-def: $vgpr54
                                        ; implicit-def: $vgpr55
                                        ; implicit-def: $vgpr56
                                        ; implicit-def: $vgpr57
	s_cbranch_scc1 .LBB391_640
; %bb.639:                              ;   in Loop: Header=BB391_638 Depth=2
	v_add_nc_u64_e32 v[58:59], s[34:35], v[18:19]
	s_mov_b32 s10, 0
	s_clause 0x10
	global_load_u8 v57, v[58:59], off offset:4096
	global_load_u8 v56, v[58:59], off offset:3840
	;; [unrolled: 1-line block ×16, first 2 shown]
	global_load_u8 v24, v[58:59], off
.LBB391_640:                            ;   in Loop: Header=BB391_638 Depth=2
	s_and_not1_b32 vcc_lo, exec_lo, s10
	s_movk_i32 s10, 0x1100
	s_cbranch_vccnz .LBB391_660
; %bb.641:                              ;   in Loop: Header=BB391_638 Depth=2
	s_add_nc_u64 s[10:11], s[36:37], s[34:35]
	s_wait_loadcnt 0x0
	v_add_nc_u64_e32 v[24:25], s[10:11], v[2:3]
	s_mov_b32 s10, exec_lo
	s_wait_xcnt 0x0
	v_cmpx_gt_u32_e64 s8, v2
	s_cbranch_execnz .LBB391_694
; %bb.642:                              ;   in Loop: Header=BB391_638 Depth=2
	s_or_b32 exec_lo, exec_lo, s10
	s_delay_alu instid0(SALU_CYCLE_1)
	s_mov_b32 s10, exec_lo
	v_cmpx_gt_u32_e64 s8, v67
	s_cbranch_execnz .LBB391_695
.LBB391_643:                            ;   in Loop: Header=BB391_638 Depth=2
	s_or_b32 exec_lo, exec_lo, s10
	s_delay_alu instid0(SALU_CYCLE_1)
	s_mov_b32 s10, exec_lo
	v_cmpx_gt_u32_e64 s8, v68
	s_cbranch_execnz .LBB391_696
.LBB391_644:                            ;   in Loop: Header=BB391_638 Depth=2
	s_or_b32 exec_lo, exec_lo, s10
	s_delay_alu instid0(SALU_CYCLE_1)
	s_mov_b32 s10, exec_lo
	v_cmpx_gt_u32_e64 s8, v69
	s_cbranch_execnz .LBB391_697
.LBB391_645:                            ;   in Loop: Header=BB391_638 Depth=2
	s_or_b32 exec_lo, exec_lo, s10
	s_delay_alu instid0(SALU_CYCLE_1)
	s_mov_b32 s10, exec_lo
	v_cmpx_gt_u32_e64 s8, v70
	s_cbranch_execnz .LBB391_698
.LBB391_646:                            ;   in Loop: Header=BB391_638 Depth=2
	s_or_b32 exec_lo, exec_lo, s10
	s_delay_alu instid0(SALU_CYCLE_1)
	s_mov_b32 s10, exec_lo
	v_cmpx_gt_u32_e64 s8, v71
	s_cbranch_execnz .LBB391_699
.LBB391_647:                            ;   in Loop: Header=BB391_638 Depth=2
	s_or_b32 exec_lo, exec_lo, s10
	s_delay_alu instid0(SALU_CYCLE_1)
	s_mov_b32 s10, exec_lo
	v_cmpx_gt_u32_e64 s8, v72
	s_cbranch_execnz .LBB391_700
.LBB391_648:                            ;   in Loop: Header=BB391_638 Depth=2
	s_or_b32 exec_lo, exec_lo, s10
	s_delay_alu instid0(SALU_CYCLE_1)
	s_mov_b32 s10, exec_lo
	v_cmpx_gt_u32_e64 s8, v73
	s_cbranch_execnz .LBB391_701
.LBB391_649:                            ;   in Loop: Header=BB391_638 Depth=2
	s_or_b32 exec_lo, exec_lo, s10
	s_delay_alu instid0(SALU_CYCLE_1)
	s_mov_b32 s10, exec_lo
	v_cmpx_gt_u32_e64 s8, v74
	s_cbranch_execnz .LBB391_702
.LBB391_650:                            ;   in Loop: Header=BB391_638 Depth=2
	s_or_b32 exec_lo, exec_lo, s10
	s_delay_alu instid0(SALU_CYCLE_1)
	s_mov_b32 s10, exec_lo
	v_cmpx_gt_u32_e64 s8, v75
	s_cbranch_execnz .LBB391_703
.LBB391_651:                            ;   in Loop: Header=BB391_638 Depth=2
	s_or_b32 exec_lo, exec_lo, s10
	s_delay_alu instid0(SALU_CYCLE_1)
	s_mov_b32 s10, exec_lo
	v_cmpx_gt_u32_e64 s8, v76
	s_cbranch_execnz .LBB391_704
.LBB391_652:                            ;   in Loop: Header=BB391_638 Depth=2
	s_or_b32 exec_lo, exec_lo, s10
	s_delay_alu instid0(SALU_CYCLE_1)
	s_mov_b32 s10, exec_lo
	v_cmpx_gt_u32_e64 s8, v77
	s_cbranch_execnz .LBB391_705
.LBB391_653:                            ;   in Loop: Header=BB391_638 Depth=2
	s_or_b32 exec_lo, exec_lo, s10
	s_delay_alu instid0(SALU_CYCLE_1)
	s_mov_b32 s10, exec_lo
	v_cmpx_gt_u32_e64 s8, v78
	s_cbranch_execnz .LBB391_706
.LBB391_654:                            ;   in Loop: Header=BB391_638 Depth=2
	s_or_b32 exec_lo, exec_lo, s10
	s_delay_alu instid0(SALU_CYCLE_1)
	s_mov_b32 s10, exec_lo
	v_cmpx_gt_u32_e64 s8, v79
	s_cbranch_execnz .LBB391_707
.LBB391_655:                            ;   in Loop: Header=BB391_638 Depth=2
	s_or_b32 exec_lo, exec_lo, s10
	s_delay_alu instid0(SALU_CYCLE_1)
	s_mov_b32 s10, exec_lo
	v_cmpx_gt_u32_e64 s8, v80
	s_cbranch_execnz .LBB391_708
.LBB391_656:                            ;   in Loop: Header=BB391_638 Depth=2
	s_or_b32 exec_lo, exec_lo, s10
	s_delay_alu instid0(SALU_CYCLE_1)
	s_mov_b32 s10, exec_lo
	v_cmpx_gt_u32_e64 s8, v81
	s_cbranch_execnz .LBB391_709
.LBB391_657:                            ;   in Loop: Header=BB391_638 Depth=2
	s_or_b32 exec_lo, exec_lo, s10
	s_delay_alu instid0(SALU_CYCLE_1)
	s_mov_b32 s10, exec_lo
	v_cmpx_gt_u32_e64 s8, v82
	s_cbranch_execz .LBB391_659
.LBB391_658:                            ;   in Loop: Header=BB391_638 Depth=2
	global_load_u8 v26, v[24:25], off offset:4096
.LBB391_659:                            ;   in Loop: Header=BB391_638 Depth=2
	s_wait_xcnt 0x0
	s_or_b32 exec_lo, exec_lo, s10
	s_wait_loadcnt 0x0
	v_dual_mov_b32 v24, v39 :: v_dual_mov_b32 v25, v42
	v_dual_mov_b32 v43, v41 :: v_dual_mov_b32 v44, v40
	;; [unrolled: 1-line block ×8, first 2 shown]
	v_mov_b32_e32 v57, v26
	s_mov_b32 s10, s8
.LBB391_660:                            ;   in Loop: Header=BB391_638 Depth=2
	s_wait_loadcnt 0xf
	s_delay_alu instid0(VALU_DEP_1)
	v_dual_mov_b32 v26, v57 :: v_dual_mov_b32 v27, v56
	s_wait_loadcnt 0xd
	v_dual_mov_b32 v28, v55 :: v_dual_mov_b32 v29, v54
	s_wait_loadcnt 0xb
	;; [unrolled: 2-line block ×8, first 2 shown]
	v_mov_b32_e32 v39, v24
	s_mov_b32 s11, exec_lo
	s_wait_xcnt 0x0
	v_cmpx_gt_u32_e64 s10, v2
	s_cbranch_execnz .LBB391_677
; %bb.661:                              ;   in Loop: Header=BB391_638 Depth=2
	s_or_b32 exec_lo, exec_lo, s11
	s_delay_alu instid0(SALU_CYCLE_1)
	s_mov_b32 s11, exec_lo
	v_cmpx_gt_u32_e64 s10, v67
	s_cbranch_execnz .LBB391_678
.LBB391_662:                            ;   in Loop: Header=BB391_638 Depth=2
	s_or_b32 exec_lo, exec_lo, s11
	s_delay_alu instid0(SALU_CYCLE_1)
	s_mov_b32 s11, exec_lo
	v_cmpx_gt_u32_e64 s10, v68
	s_cbranch_execnz .LBB391_679
.LBB391_663:                            ;   in Loop: Header=BB391_638 Depth=2
	s_or_b32 exec_lo, exec_lo, s11
	s_delay_alu instid0(SALU_CYCLE_1)
	s_mov_b32 s11, exec_lo
	v_cmpx_gt_u32_e64 s10, v69
	s_cbranch_execnz .LBB391_680
.LBB391_664:                            ;   in Loop: Header=BB391_638 Depth=2
	s_or_b32 exec_lo, exec_lo, s11
	s_delay_alu instid0(SALU_CYCLE_1)
	s_mov_b32 s11, exec_lo
	v_cmpx_gt_u32_e64 s10, v70
	s_cbranch_execnz .LBB391_681
.LBB391_665:                            ;   in Loop: Header=BB391_638 Depth=2
	s_or_b32 exec_lo, exec_lo, s11
	s_delay_alu instid0(SALU_CYCLE_1)
	s_mov_b32 s11, exec_lo
	v_cmpx_gt_u32_e64 s10, v71
	s_cbranch_execnz .LBB391_682
.LBB391_666:                            ;   in Loop: Header=BB391_638 Depth=2
	s_or_b32 exec_lo, exec_lo, s11
	s_delay_alu instid0(SALU_CYCLE_1)
	s_mov_b32 s11, exec_lo
	v_cmpx_gt_u32_e64 s10, v72
	s_cbranch_execnz .LBB391_683
.LBB391_667:                            ;   in Loop: Header=BB391_638 Depth=2
	s_or_b32 exec_lo, exec_lo, s11
	s_delay_alu instid0(SALU_CYCLE_1)
	s_mov_b32 s11, exec_lo
	v_cmpx_gt_u32_e64 s10, v73
	s_cbranch_execnz .LBB391_684
.LBB391_668:                            ;   in Loop: Header=BB391_638 Depth=2
	s_or_b32 exec_lo, exec_lo, s11
	s_delay_alu instid0(SALU_CYCLE_1)
	s_mov_b32 s11, exec_lo
	v_cmpx_gt_u32_e64 s10, v74
	s_cbranch_execnz .LBB391_685
.LBB391_669:                            ;   in Loop: Header=BB391_638 Depth=2
	s_or_b32 exec_lo, exec_lo, s11
	s_delay_alu instid0(SALU_CYCLE_1)
	s_mov_b32 s11, exec_lo
	v_cmpx_gt_u32_e64 s10, v75
	s_cbranch_execnz .LBB391_686
.LBB391_670:                            ;   in Loop: Header=BB391_638 Depth=2
	s_or_b32 exec_lo, exec_lo, s11
	s_delay_alu instid0(SALU_CYCLE_1)
	s_mov_b32 s11, exec_lo
	v_cmpx_gt_u32_e64 s10, v76
	s_cbranch_execnz .LBB391_687
.LBB391_671:                            ;   in Loop: Header=BB391_638 Depth=2
	s_or_b32 exec_lo, exec_lo, s11
	s_delay_alu instid0(SALU_CYCLE_1)
	s_mov_b32 s11, exec_lo
	v_cmpx_gt_u32_e64 s10, v77
	s_cbranch_execnz .LBB391_688
.LBB391_672:                            ;   in Loop: Header=BB391_638 Depth=2
	s_or_b32 exec_lo, exec_lo, s11
	s_delay_alu instid0(SALU_CYCLE_1)
	s_mov_b32 s11, exec_lo
	v_cmpx_gt_u32_e64 s10, v78
	s_cbranch_execnz .LBB391_689
.LBB391_673:                            ;   in Loop: Header=BB391_638 Depth=2
	s_or_b32 exec_lo, exec_lo, s11
	s_delay_alu instid0(SALU_CYCLE_1)
	s_mov_b32 s11, exec_lo
	v_cmpx_gt_u32_e64 s10, v79
	s_cbranch_execnz .LBB391_690
.LBB391_674:                            ;   in Loop: Header=BB391_638 Depth=2
	s_or_b32 exec_lo, exec_lo, s11
	s_delay_alu instid0(SALU_CYCLE_1)
	s_mov_b32 s11, exec_lo
	v_cmpx_gt_u32_e64 s10, v80
	s_cbranch_execnz .LBB391_691
.LBB391_675:                            ;   in Loop: Header=BB391_638 Depth=2
	s_or_b32 exec_lo, exec_lo, s11
	s_delay_alu instid0(SALU_CYCLE_1)
	s_mov_b32 s11, exec_lo
	v_cmpx_gt_u32_e64 s10, v81
	s_cbranch_execnz .LBB391_692
.LBB391_676:                            ;   in Loop: Header=BB391_638 Depth=2
	s_or_b32 exec_lo, exec_lo, s11
	v_cmp_gt_u32_e32 vcc_lo, s10, v82
	s_and_saveexec_b32 s10, vcc_lo
	s_cbranch_execz .LBB391_637
	s_branch .LBB391_693
.LBB391_677:                            ;   in Loop: Header=BB391_638 Depth=2
	v_xor_b32_e32 v24, 0x80, v39
	s_delay_alu instid0(VALU_DEP_1) | instskip(NEXT) | instid1(VALU_DEP_1)
	v_and_b32_e32 v24, 0xff, v24
	v_lshrrev_b32_e32 v24, s49, v24
	s_delay_alu instid0(VALU_DEP_1) | instskip(NEXT) | instid1(VALU_DEP_1)
	v_and_b32_e32 v24, s58, v24
	v_lshl_or_b32 v24, v24, 4, v84
	ds_add_u32 v24, v7
	s_or_b32 exec_lo, exec_lo, s11
	s_delay_alu instid0(SALU_CYCLE_1)
	s_mov_b32 s11, exec_lo
	v_cmpx_gt_u32_e64 s10, v67
	s_cbranch_execz .LBB391_662
.LBB391_678:                            ;   in Loop: Header=BB391_638 Depth=2
	v_xor_b32_e32 v24, 0x80, v42
	s_delay_alu instid0(VALU_DEP_1) | instskip(NEXT) | instid1(VALU_DEP_1)
	v_and_b32_e32 v24, 0xff, v24
	v_lshrrev_b32_e32 v24, s49, v24
	s_delay_alu instid0(VALU_DEP_1) | instskip(NEXT) | instid1(VALU_DEP_1)
	v_and_b32_e32 v24, s58, v24
	v_lshl_or_b32 v24, v24, 4, v84
	ds_add_u32 v24, v7
	s_or_b32 exec_lo, exec_lo, s11
	s_delay_alu instid0(SALU_CYCLE_1)
	s_mov_b32 s11, exec_lo
	v_cmpx_gt_u32_e64 s10, v68
	s_cbranch_execz .LBB391_663
.LBB391_679:                            ;   in Loop: Header=BB391_638 Depth=2
	v_xor_b32_e32 v24, 0x80, v41
	s_delay_alu instid0(VALU_DEP_1) | instskip(NEXT) | instid1(VALU_DEP_1)
	v_and_b32_e32 v24, 0xff, v24
	v_lshrrev_b32_e32 v24, s49, v24
	s_delay_alu instid0(VALU_DEP_1) | instskip(NEXT) | instid1(VALU_DEP_1)
	v_and_b32_e32 v24, s58, v24
	v_lshl_or_b32 v24, v24, 4, v84
	ds_add_u32 v24, v7
	s_or_b32 exec_lo, exec_lo, s11
	s_delay_alu instid0(SALU_CYCLE_1)
	s_mov_b32 s11, exec_lo
	v_cmpx_gt_u32_e64 s10, v69
	s_cbranch_execz .LBB391_664
.LBB391_680:                            ;   in Loop: Header=BB391_638 Depth=2
	v_xor_b32_e32 v24, 0x80, v40
	s_delay_alu instid0(VALU_DEP_1) | instskip(NEXT) | instid1(VALU_DEP_1)
	v_and_b32_e32 v24, 0xff, v24
	v_lshrrev_b32_e32 v24, s49, v24
	s_delay_alu instid0(VALU_DEP_1) | instskip(NEXT) | instid1(VALU_DEP_1)
	v_and_b32_e32 v24, s58, v24
	v_lshl_or_b32 v24, v24, 4, v84
	ds_add_u32 v24, v7
	s_or_b32 exec_lo, exec_lo, s11
	s_delay_alu instid0(SALU_CYCLE_1)
	s_mov_b32 s11, exec_lo
	v_cmpx_gt_u32_e64 s10, v70
	s_cbranch_execz .LBB391_665
.LBB391_681:                            ;   in Loop: Header=BB391_638 Depth=2
	v_xor_b32_e32 v24, 0x80, v38
	s_delay_alu instid0(VALU_DEP_1) | instskip(NEXT) | instid1(VALU_DEP_1)
	v_and_b32_e32 v24, 0xff, v24
	v_lshrrev_b32_e32 v24, s49, v24
	s_delay_alu instid0(VALU_DEP_1) | instskip(NEXT) | instid1(VALU_DEP_1)
	v_and_b32_e32 v24, s58, v24
	v_lshl_or_b32 v24, v24, 4, v84
	ds_add_u32 v24, v7
	s_or_b32 exec_lo, exec_lo, s11
	s_delay_alu instid0(SALU_CYCLE_1)
	s_mov_b32 s11, exec_lo
	v_cmpx_gt_u32_e64 s10, v71
	s_cbranch_execz .LBB391_666
.LBB391_682:                            ;   in Loop: Header=BB391_638 Depth=2
	v_xor_b32_e32 v24, 0x80, v37
	s_delay_alu instid0(VALU_DEP_1) | instskip(NEXT) | instid1(VALU_DEP_1)
	v_and_b32_e32 v24, 0xff, v24
	v_lshrrev_b32_e32 v24, s49, v24
	s_delay_alu instid0(VALU_DEP_1) | instskip(NEXT) | instid1(VALU_DEP_1)
	v_and_b32_e32 v24, s58, v24
	v_lshl_or_b32 v24, v24, 4, v84
	ds_add_u32 v24, v7
	s_or_b32 exec_lo, exec_lo, s11
	s_delay_alu instid0(SALU_CYCLE_1)
	s_mov_b32 s11, exec_lo
	v_cmpx_gt_u32_e64 s10, v72
	s_cbranch_execz .LBB391_667
.LBB391_683:                            ;   in Loop: Header=BB391_638 Depth=2
	v_xor_b32_e32 v24, 0x80, v36
	s_delay_alu instid0(VALU_DEP_1) | instskip(NEXT) | instid1(VALU_DEP_1)
	v_and_b32_e32 v24, 0xff, v24
	v_lshrrev_b32_e32 v24, s49, v24
	s_delay_alu instid0(VALU_DEP_1) | instskip(NEXT) | instid1(VALU_DEP_1)
	v_and_b32_e32 v24, s58, v24
	v_lshl_or_b32 v24, v24, 4, v84
	ds_add_u32 v24, v7
	s_or_b32 exec_lo, exec_lo, s11
	s_delay_alu instid0(SALU_CYCLE_1)
	s_mov_b32 s11, exec_lo
	v_cmpx_gt_u32_e64 s10, v73
	s_cbranch_execz .LBB391_668
.LBB391_684:                            ;   in Loop: Header=BB391_638 Depth=2
	v_xor_b32_e32 v24, 0x80, v35
	s_delay_alu instid0(VALU_DEP_1) | instskip(NEXT) | instid1(VALU_DEP_1)
	v_and_b32_e32 v24, 0xff, v24
	v_lshrrev_b32_e32 v24, s49, v24
	s_delay_alu instid0(VALU_DEP_1) | instskip(NEXT) | instid1(VALU_DEP_1)
	v_and_b32_e32 v24, s58, v24
	v_lshl_or_b32 v24, v24, 4, v84
	ds_add_u32 v24, v7
	s_or_b32 exec_lo, exec_lo, s11
	s_delay_alu instid0(SALU_CYCLE_1)
	s_mov_b32 s11, exec_lo
	v_cmpx_gt_u32_e64 s10, v74
	s_cbranch_execz .LBB391_669
.LBB391_685:                            ;   in Loop: Header=BB391_638 Depth=2
	v_xor_b32_e32 v24, 0x80, v34
	s_delay_alu instid0(VALU_DEP_1) | instskip(NEXT) | instid1(VALU_DEP_1)
	v_and_b32_e32 v24, 0xff, v24
	v_lshrrev_b32_e32 v24, s49, v24
	s_delay_alu instid0(VALU_DEP_1) | instskip(NEXT) | instid1(VALU_DEP_1)
	v_and_b32_e32 v24, s58, v24
	v_lshl_or_b32 v24, v24, 4, v84
	ds_add_u32 v24, v7
	s_or_b32 exec_lo, exec_lo, s11
	s_delay_alu instid0(SALU_CYCLE_1)
	s_mov_b32 s11, exec_lo
	v_cmpx_gt_u32_e64 s10, v75
	s_cbranch_execz .LBB391_670
.LBB391_686:                            ;   in Loop: Header=BB391_638 Depth=2
	v_xor_b32_e32 v24, 0x80, v33
	s_delay_alu instid0(VALU_DEP_1) | instskip(NEXT) | instid1(VALU_DEP_1)
	v_and_b32_e32 v24, 0xff, v24
	v_lshrrev_b32_e32 v24, s49, v24
	s_delay_alu instid0(VALU_DEP_1) | instskip(NEXT) | instid1(VALU_DEP_1)
	v_and_b32_e32 v24, s58, v24
	v_lshl_or_b32 v24, v24, 4, v84
	ds_add_u32 v24, v7
	s_or_b32 exec_lo, exec_lo, s11
	s_delay_alu instid0(SALU_CYCLE_1)
	s_mov_b32 s11, exec_lo
	v_cmpx_gt_u32_e64 s10, v76
	s_cbranch_execz .LBB391_671
.LBB391_687:                            ;   in Loop: Header=BB391_638 Depth=2
	v_xor_b32_e32 v24, 0x80, v32
	s_delay_alu instid0(VALU_DEP_1) | instskip(NEXT) | instid1(VALU_DEP_1)
	v_and_b32_e32 v24, 0xff, v24
	v_lshrrev_b32_e32 v24, s49, v24
	s_delay_alu instid0(VALU_DEP_1) | instskip(NEXT) | instid1(VALU_DEP_1)
	v_and_b32_e32 v24, s58, v24
	v_lshl_or_b32 v24, v24, 4, v84
	ds_add_u32 v24, v7
	s_or_b32 exec_lo, exec_lo, s11
	s_delay_alu instid0(SALU_CYCLE_1)
	s_mov_b32 s11, exec_lo
	v_cmpx_gt_u32_e64 s10, v77
	s_cbranch_execz .LBB391_672
.LBB391_688:                            ;   in Loop: Header=BB391_638 Depth=2
	v_xor_b32_e32 v24, 0x80, v31
	s_delay_alu instid0(VALU_DEP_1) | instskip(NEXT) | instid1(VALU_DEP_1)
	v_and_b32_e32 v24, 0xff, v24
	v_lshrrev_b32_e32 v24, s49, v24
	s_delay_alu instid0(VALU_DEP_1) | instskip(NEXT) | instid1(VALU_DEP_1)
	v_and_b32_e32 v24, s58, v24
	v_lshl_or_b32 v24, v24, 4, v84
	ds_add_u32 v24, v7
	s_or_b32 exec_lo, exec_lo, s11
	s_delay_alu instid0(SALU_CYCLE_1)
	s_mov_b32 s11, exec_lo
	v_cmpx_gt_u32_e64 s10, v78
	s_cbranch_execz .LBB391_673
.LBB391_689:                            ;   in Loop: Header=BB391_638 Depth=2
	v_xor_b32_e32 v24, 0x80, v30
	s_delay_alu instid0(VALU_DEP_1) | instskip(NEXT) | instid1(VALU_DEP_1)
	v_and_b32_e32 v24, 0xff, v24
	v_lshrrev_b32_e32 v24, s49, v24
	s_delay_alu instid0(VALU_DEP_1) | instskip(NEXT) | instid1(VALU_DEP_1)
	v_and_b32_e32 v24, s58, v24
	v_lshl_or_b32 v24, v24, 4, v84
	ds_add_u32 v24, v7
	s_or_b32 exec_lo, exec_lo, s11
	s_delay_alu instid0(SALU_CYCLE_1)
	s_mov_b32 s11, exec_lo
	v_cmpx_gt_u32_e64 s10, v79
	s_cbranch_execz .LBB391_674
.LBB391_690:                            ;   in Loop: Header=BB391_638 Depth=2
	v_xor_b32_e32 v24, 0x80, v29
	s_delay_alu instid0(VALU_DEP_1) | instskip(NEXT) | instid1(VALU_DEP_1)
	v_and_b32_e32 v24, 0xff, v24
	v_lshrrev_b32_e32 v24, s49, v24
	s_delay_alu instid0(VALU_DEP_1) | instskip(NEXT) | instid1(VALU_DEP_1)
	v_and_b32_e32 v24, s58, v24
	v_lshl_or_b32 v24, v24, 4, v84
	ds_add_u32 v24, v7
	s_or_b32 exec_lo, exec_lo, s11
	s_delay_alu instid0(SALU_CYCLE_1)
	s_mov_b32 s11, exec_lo
	v_cmpx_gt_u32_e64 s10, v80
	s_cbranch_execz .LBB391_675
.LBB391_691:                            ;   in Loop: Header=BB391_638 Depth=2
	v_xor_b32_e32 v24, 0x80, v28
	s_delay_alu instid0(VALU_DEP_1) | instskip(NEXT) | instid1(VALU_DEP_1)
	v_and_b32_e32 v24, 0xff, v24
	v_lshrrev_b32_e32 v24, s49, v24
	s_delay_alu instid0(VALU_DEP_1) | instskip(NEXT) | instid1(VALU_DEP_1)
	v_and_b32_e32 v24, s58, v24
	v_lshl_or_b32 v24, v24, 4, v84
	ds_add_u32 v24, v7
	s_or_b32 exec_lo, exec_lo, s11
	s_delay_alu instid0(SALU_CYCLE_1)
	s_mov_b32 s11, exec_lo
	v_cmpx_gt_u32_e64 s10, v81
	s_cbranch_execz .LBB391_676
.LBB391_692:                            ;   in Loop: Header=BB391_638 Depth=2
	v_xor_b32_e32 v24, 0x80, v27
	s_delay_alu instid0(VALU_DEP_1) | instskip(NEXT) | instid1(VALU_DEP_1)
	v_and_b32_e32 v24, 0xff, v24
	v_lshrrev_b32_e32 v24, s49, v24
	s_delay_alu instid0(VALU_DEP_1) | instskip(NEXT) | instid1(VALU_DEP_1)
	v_and_b32_e32 v24, s58, v24
	v_lshl_or_b32 v24, v24, 4, v84
	ds_add_u32 v24, v7
	s_or_b32 exec_lo, exec_lo, s11
	v_cmp_gt_u32_e32 vcc_lo, s10, v82
	s_and_saveexec_b32 s10, vcc_lo
	s_cbranch_execz .LBB391_637
.LBB391_693:                            ;   in Loop: Header=BB391_638 Depth=2
	v_xor_b32_e32 v24, 0x80, v26
	s_delay_alu instid0(VALU_DEP_1) | instskip(NEXT) | instid1(VALU_DEP_1)
	v_and_b32_e32 v24, 0xff, v24
	v_lshrrev_b32_e32 v24, s49, v24
	s_delay_alu instid0(VALU_DEP_1) | instskip(NEXT) | instid1(VALU_DEP_1)
	v_and_b32_e32 v24, s58, v24
	v_lshl_or_b32 v24, v24, 4, v84
	ds_add_u32 v24, v7
	s_branch .LBB391_637
.LBB391_694:                            ;   in Loop: Header=BB391_638 Depth=2
	global_load_u8 v39, v[24:25], off
	s_wait_xcnt 0x0
	s_or_b32 exec_lo, exec_lo, s10
	s_delay_alu instid0(SALU_CYCLE_1)
	s_mov_b32 s10, exec_lo
	v_cmpx_gt_u32_e64 s8, v67
	s_cbranch_execz .LBB391_643
.LBB391_695:                            ;   in Loop: Header=BB391_638 Depth=2
	global_load_u8 v42, v[24:25], off offset:256
	s_wait_xcnt 0x0
	s_or_b32 exec_lo, exec_lo, s10
	s_delay_alu instid0(SALU_CYCLE_1)
	s_mov_b32 s10, exec_lo
	v_cmpx_gt_u32_e64 s8, v68
	s_cbranch_execz .LBB391_644
.LBB391_696:                            ;   in Loop: Header=BB391_638 Depth=2
	global_load_u8 v41, v[24:25], off offset:512
	s_wait_xcnt 0x0
	s_or_b32 exec_lo, exec_lo, s10
	s_delay_alu instid0(SALU_CYCLE_1)
	s_mov_b32 s10, exec_lo
	v_cmpx_gt_u32_e64 s8, v69
	s_cbranch_execz .LBB391_645
.LBB391_697:                            ;   in Loop: Header=BB391_638 Depth=2
	global_load_u8 v40, v[24:25], off offset:768
	s_wait_xcnt 0x0
	s_or_b32 exec_lo, exec_lo, s10
	s_delay_alu instid0(SALU_CYCLE_1)
	s_mov_b32 s10, exec_lo
	v_cmpx_gt_u32_e64 s8, v70
	s_cbranch_execz .LBB391_646
.LBB391_698:                            ;   in Loop: Header=BB391_638 Depth=2
	global_load_u8 v38, v[24:25], off offset:1024
	s_wait_xcnt 0x0
	s_or_b32 exec_lo, exec_lo, s10
	s_delay_alu instid0(SALU_CYCLE_1)
	s_mov_b32 s10, exec_lo
	v_cmpx_gt_u32_e64 s8, v71
	s_cbranch_execz .LBB391_647
.LBB391_699:                            ;   in Loop: Header=BB391_638 Depth=2
	global_load_u8 v37, v[24:25], off offset:1280
	s_wait_xcnt 0x0
	s_or_b32 exec_lo, exec_lo, s10
	s_delay_alu instid0(SALU_CYCLE_1)
	s_mov_b32 s10, exec_lo
	v_cmpx_gt_u32_e64 s8, v72
	s_cbranch_execz .LBB391_648
.LBB391_700:                            ;   in Loop: Header=BB391_638 Depth=2
	global_load_u8 v36, v[24:25], off offset:1536
	s_wait_xcnt 0x0
	s_or_b32 exec_lo, exec_lo, s10
	s_delay_alu instid0(SALU_CYCLE_1)
	s_mov_b32 s10, exec_lo
	v_cmpx_gt_u32_e64 s8, v73
	s_cbranch_execz .LBB391_649
.LBB391_701:                            ;   in Loop: Header=BB391_638 Depth=2
	global_load_u8 v35, v[24:25], off offset:1792
	s_wait_xcnt 0x0
	s_or_b32 exec_lo, exec_lo, s10
	s_delay_alu instid0(SALU_CYCLE_1)
	s_mov_b32 s10, exec_lo
	v_cmpx_gt_u32_e64 s8, v74
	s_cbranch_execz .LBB391_650
.LBB391_702:                            ;   in Loop: Header=BB391_638 Depth=2
	global_load_u8 v34, v[24:25], off offset:2048
	s_wait_xcnt 0x0
	s_or_b32 exec_lo, exec_lo, s10
	s_delay_alu instid0(SALU_CYCLE_1)
	s_mov_b32 s10, exec_lo
	v_cmpx_gt_u32_e64 s8, v75
	s_cbranch_execz .LBB391_651
.LBB391_703:                            ;   in Loop: Header=BB391_638 Depth=2
	global_load_u8 v33, v[24:25], off offset:2304
	s_wait_xcnt 0x0
	s_or_b32 exec_lo, exec_lo, s10
	s_delay_alu instid0(SALU_CYCLE_1)
	s_mov_b32 s10, exec_lo
	v_cmpx_gt_u32_e64 s8, v76
	s_cbranch_execz .LBB391_652
.LBB391_704:                            ;   in Loop: Header=BB391_638 Depth=2
	global_load_u8 v32, v[24:25], off offset:2560
	s_wait_xcnt 0x0
	s_or_b32 exec_lo, exec_lo, s10
	s_delay_alu instid0(SALU_CYCLE_1)
	s_mov_b32 s10, exec_lo
	v_cmpx_gt_u32_e64 s8, v77
	s_cbranch_execz .LBB391_653
.LBB391_705:                            ;   in Loop: Header=BB391_638 Depth=2
	global_load_u8 v31, v[24:25], off offset:2816
	s_wait_xcnt 0x0
	s_or_b32 exec_lo, exec_lo, s10
	s_delay_alu instid0(SALU_CYCLE_1)
	s_mov_b32 s10, exec_lo
	v_cmpx_gt_u32_e64 s8, v78
	s_cbranch_execz .LBB391_654
.LBB391_706:                            ;   in Loop: Header=BB391_638 Depth=2
	global_load_u8 v30, v[24:25], off offset:3072
	s_wait_xcnt 0x0
	s_or_b32 exec_lo, exec_lo, s10
	s_delay_alu instid0(SALU_CYCLE_1)
	s_mov_b32 s10, exec_lo
	v_cmpx_gt_u32_e64 s8, v79
	s_cbranch_execz .LBB391_655
.LBB391_707:                            ;   in Loop: Header=BB391_638 Depth=2
	global_load_u8 v29, v[24:25], off offset:3328
	s_wait_xcnt 0x0
	s_or_b32 exec_lo, exec_lo, s10
	s_delay_alu instid0(SALU_CYCLE_1)
	s_mov_b32 s10, exec_lo
	v_cmpx_gt_u32_e64 s8, v80
	s_cbranch_execz .LBB391_656
.LBB391_708:                            ;   in Loop: Header=BB391_638 Depth=2
	global_load_u8 v28, v[24:25], off offset:3584
	s_wait_xcnt 0x0
	s_or_b32 exec_lo, exec_lo, s10
	s_delay_alu instid0(SALU_CYCLE_1)
	s_mov_b32 s10, exec_lo
	v_cmpx_gt_u32_e64 s8, v81
	s_cbranch_execz .LBB391_657
.LBB391_709:                            ;   in Loop: Header=BB391_638 Depth=2
	global_load_u8 v27, v[24:25], off offset:3840
	s_wait_xcnt 0x0
	s_or_b32 exec_lo, exec_lo, s10
	s_delay_alu instid0(SALU_CYCLE_1)
	s_mov_b32 s10, exec_lo
	v_cmpx_gt_u32_e64 s8, v82
	s_cbranch_execnz .LBB391_658
	s_branch .LBB391_659
.LBB391_710:                            ;   in Loop: Header=BB391_12 Depth=1
	v_mov_b32_e32 v24, 0
	s_wait_dscnt 0x0
	s_barrier_signal -1
	s_barrier_wait -1
	s_and_saveexec_b32 s8, s0
	s_cbranch_execz .LBB391_712
; %bb.711:                              ;   in Loop: Header=BB391_12 Depth=1
	ds_load_2addr_b64 v[24:27], v85 offset1:1
	s_wait_dscnt 0x0
	v_add_nc_u32_e32 v24, v25, v24
	s_delay_alu instid0(VALU_DEP_1)
	v_add3_u32 v24, v24, v26, v27
.LBB391_712:                            ;   in Loop: Header=BB391_12 Depth=1
	s_or_b32 exec_lo, exec_lo, s8
	v_and_b32_e32 v25, 15, v0
	s_delay_alu instid0(VALU_DEP_2) | instskip(SKIP_1) | instid1(VALU_DEP_3)
	v_mov_b32_dpp v26, v24 row_shr:1 row_mask:0xf bank_mask:0xf
	v_and_b32_e32 v27, 16, v0
	v_cmp_eq_u32_e64 s8, 0, v25
	v_cmp_lt_u32_e64 s9, 1, v25
	s_delay_alu instid0(VALU_DEP_3) | instskip(NEXT) | instid1(VALU_DEP_3)
	v_cmp_eq_u32_e64 s12, 0, v27
	v_cndmask_b32_e64 v26, v26, 0, s8
	s_delay_alu instid0(VALU_DEP_1) | instskip(NEXT) | instid1(VALU_DEP_1)
	v_add_nc_u32_e32 v24, v26, v24
	v_mov_b32_dpp v26, v24 row_shr:2 row_mask:0xf bank_mask:0xf
	s_delay_alu instid0(VALU_DEP_1) | instskip(SKIP_2) | instid1(VALU_DEP_3)
	v_cndmask_b32_e64 v26, 0, v26, s9
	v_cmp_lt_u32_e64 s11, 7, v25
	v_cmp_lt_u32_e64 s10, 3, v25
	v_add_nc_u32_e32 v24, v24, v26
	s_delay_alu instid0(VALU_DEP_1) | instskip(NEXT) | instid1(VALU_DEP_1)
	v_mov_b32_dpp v26, v24 row_shr:4 row_mask:0xf bank_mask:0xf
	v_cndmask_b32_e64 v26, 0, v26, s10
	s_delay_alu instid0(VALU_DEP_1) | instskip(NEXT) | instid1(VALU_DEP_1)
	v_add_nc_u32_e32 v24, v24, v26
	v_mov_b32_dpp v26, v24 row_shr:8 row_mask:0xf bank_mask:0xf
	s_delay_alu instid0(VALU_DEP_1) | instskip(SKIP_1) | instid1(VALU_DEP_2)
	v_cndmask_b32_e64 v25, 0, v26, s11
	v_bfe_i32 v26, v0, 4, 1
	v_add_nc_u32_e32 v24, v24, v25
	ds_swizzle_b32 v25, v24 offset:swizzle(BROADCAST,32,15)
	s_wait_dscnt 0x0
	v_and_b32_e32 v25, v26, v25
	s_delay_alu instid0(VALU_DEP_1)
	v_add_nc_u32_e32 v24, v24, v25
	s_and_saveexec_b32 s13, s1
; %bb.713:                              ;   in Loop: Header=BB391_12 Depth=1
	ds_store_b32 v86, v24
; %bb.714:                              ;   in Loop: Header=BB391_12 Depth=1
	s_or_b32 exec_lo, exec_lo, s13
	s_wait_dscnt 0x0
	s_barrier_signal -1
	s_barrier_wait -1
	s_and_saveexec_b32 s13, s4
	s_cbranch_execz .LBB391_716
; %bb.715:                              ;   in Loop: Header=BB391_12 Depth=1
	ds_load_b32 v25, v87
	s_wait_dscnt 0x0
	v_mov_b32_dpp v27, v25 row_shr:1 row_mask:0xf bank_mask:0xf
	v_and_b32_e32 v26, 3, v0
	s_delay_alu instid0(VALU_DEP_1) | instskip(NEXT) | instid1(VALU_DEP_3)
	v_cmp_ne_u32_e32 vcc_lo, 0, v26
	v_cndmask_b32_e32 v27, 0, v27, vcc_lo
	v_cmp_lt_u32_e32 vcc_lo, 1, v26
	s_delay_alu instid0(VALU_DEP_2) | instskip(NEXT) | instid1(VALU_DEP_1)
	v_add_nc_u32_e32 v25, v27, v25
	v_mov_b32_dpp v27, v25 row_shr:2 row_mask:0xf bank_mask:0xf
	s_delay_alu instid0(VALU_DEP_1) | instskip(NEXT) | instid1(VALU_DEP_1)
	v_cndmask_b32_e32 v26, 0, v27, vcc_lo
	v_add_nc_u32_e32 v25, v25, v26
	ds_store_b32 v87, v25
.LBB391_716:                            ;   in Loop: Header=BB391_12 Depth=1
	s_or_b32 exec_lo, exec_lo, s13
	v_mov_b32_e32 v25, 0
	s_wait_dscnt 0x0
	s_barrier_signal -1
	s_barrier_wait -1
	s_and_saveexec_b32 s13, s5
; %bb.717:                              ;   in Loop: Header=BB391_12 Depth=1
	ds_load_b32 v25, v88
; %bb.718:                              ;   in Loop: Header=BB391_12 Depth=1
	s_or_b32 exec_lo, exec_lo, s13
	v_sub_co_u32 v26, s13, v0, 1
	s_wait_dscnt 0x0
	s_barrier_signal -1
	s_barrier_wait -1
	s_delay_alu instid0(VALU_DEP_1) | instskip(SKIP_1) | instid1(VALU_DEP_1)
	v_cmp_gt_i32_e32 vcc_lo, 0, v26
	v_cndmask_b32_e32 v26, v26, v0, vcc_lo
	v_dual_add_nc_u32 v24, v25, v24 :: v_dual_lshlrev_b32 v96, 2, v26
	ds_bpermute_b32 v24, v96, v24
	s_and_saveexec_b32 s14, s0
	s_cbranch_execz .LBB391_720
; %bb.719:                              ;   in Loop: Header=BB391_12 Depth=1
	s_wait_dscnt 0x0
	v_cndmask_b32_e64 v24, v24, v25, s13
	s_delay_alu instid0(VALU_DEP_1)
	v_add_nc_u32_e32 v24, s55, v24
	ds_store_b32 v66, v24
.LBB391_720:                            ;   in Loop: Header=BB391_12 Depth=1
	s_or_b32 exec_lo, exec_lo, s14
	s_load_b64 s[14:15], s[52:53], 0x0
	v_dual_lshlrev_b32 v26, 3, v0 :: v_dual_bitop2_b32 v28, 7, v0 bitop3:0x40
	v_dual_mov_b32 v27, v1 :: v_dual_bitop2_b32 v97, v0, v6 bitop3:0x54
	s_wait_dscnt 0x0
	v_add_nc_u64_e32 v[24:25], v[22:23], v[0:1]
	v_mov_b32_e32 v115, 0
	s_mov_b32 s59, s57
	v_add_nc_u64_e32 v[26:27], v[20:21], v[26:27]
	v_dual_add_nc_u32 v98, 32, v97 :: v_dual_add_nc_u32 v99, 64, v97
	v_add_nc_u32_e32 v100, 0x60, v97
	v_add_nc_u32_e32 v101, 0x80, v97
	v_add_nc_u32_e32 v102, 0xa0, v97
	v_add_nc_u32_e32 v103, 0xc0, v97
	v_add_nc_u32_e32 v104, 0xe0, v97
	v_add_nc_u32_e32 v105, 0x100, v97
	v_add_nc_u32_e32 v106, 0x120, v97
	v_add_nc_u32_e32 v107, 0x140, v97
	v_add_nc_u32_e32 v108, 0x160, v97
	s_wait_kmcnt 0x0
	s_cmp_lt_u32 s51, s14
	v_add_nc_u32_e32 v109, 0x180, v97
	s_cselect_b32 s34, 12, 18
	s_cmp_lt_u32 s42, s15
	s_mov_b32 s15, s35
	s_cselect_b32 s14, 14, 20
	v_add_nc_u32_e32 v110, 0x1a0, v97
	s_add_nc_u64 s[14:15], s[52:53], s[14:15]
	v_add_nc_u32_e32 v111, 0x1c0, v97
	s_load_u16 s16, s[14:15], 0x0
	s_wait_xcnt 0x0
	s_add_nc_u64 s[14:15], s[52:53], s[34:35]
	v_add_nc_u32_e32 v112, 0x1e0, v97
	s_load_u16 s17, s[14:15], 0x0
	s_wait_xcnt 0x0
	v_cmp_eq_u32_e64 s14, 0, v28
	v_cmp_lt_u32_e64 s15, 1, v28
	v_add_nc_u32_e32 v113, 0x200, v97
	s_mov_b32 s34, s55
                                        ; implicit-def: $vgpr30_vgpr31
                                        ; implicit-def: $vgpr32_vgpr33
                                        ; implicit-def: $vgpr34_vgpr35
                                        ; implicit-def: $vgpr36_vgpr37
                                        ; implicit-def: $vgpr38_vgpr39
                                        ; implicit-def: $vgpr40_vgpr41
                                        ; implicit-def: $vgpr42_vgpr43
                                        ; implicit-def: $vgpr44_vgpr45
                                        ; implicit-def: $vgpr46_vgpr47
                                        ; implicit-def: $vgpr48_vgpr49
                                        ; implicit-def: $vgpr50_vgpr51
                                        ; implicit-def: $vgpr52_vgpr53
                                        ; implicit-def: $vgpr54_vgpr55
                                        ; implicit-def: $vgpr56_vgpr57
                                        ; implicit-def: $vgpr58_vgpr59
                                        ; implicit-def: $vgpr60_vgpr61
                                        ; implicit-def: $vgpr116
                                        ; implicit-def: $vgpr117
                                        ; implicit-def: $vgpr118
                                        ; implicit-def: $vgpr119
                                        ; implicit-def: $vgpr120
                                        ; implicit-def: $vgpr121
                                        ; implicit-def: $vgpr122
                                        ; implicit-def: $vgpr123
                                        ; implicit-def: $vgpr124
                                        ; implicit-def: $vgpr125
                                        ; implicit-def: $vgpr126
                                        ; implicit-def: $vgpr127
                                        ; implicit-def: $vgpr128
                                        ; implicit-def: $vgpr129
                                        ; implicit-def: $vgpr130
                                        ; implicit-def: $vgpr131
                                        ; implicit-def: $vgpr132
                                        ; implicit-def: $vgpr133
                                        ; implicit-def: $vgpr134
	s_wait_kmcnt 0x0
	v_mad_u32_u24 v29, v89, s16, v91
	v_cmp_lt_u32_e64 s16, 3, v28
	s_delay_alu instid0(VALU_DEP_2) | instskip(NEXT) | instid1(VALU_DEP_1)
	v_mad_u32 v28, v29, s17, v2
	v_lshrrev_b32_e32 v28, 3, v28
	s_delay_alu instid0(VALU_DEP_1)
	v_and_b32_e32 v114, 0x1ffffffc, v28
                                        ; implicit-def: $vgpr28_vgpr29
	s_branch .LBB391_722
.LBB391_721:                            ;   in Loop: Header=BB391_722 Depth=2
	s_or_b32 exec_lo, exec_lo, s17
	s_addk_co_i32 s59, 0xef00
	s_cmp_lt_u32 s60, s54
	s_mov_b32 s34, s60
	s_cbranch_scc0 .LBB391_944
.LBB391_722:                            ;   Parent Loop BB391_12 Depth=1
                                        ; =>  This Inner Loop Header: Depth=2
	s_add_co_i32 s60, s34, 0x1100
	s_delay_alu instid0(SALU_CYCLE_1)
	s_cmp_gt_u32 s60, s54
	s_cbranch_scc1 .LBB391_724
; %bb.723:                              ;   in Loop: Header=BB391_722 Depth=2
	v_add_nc_u64_e32 v[62:63], s[34:35], v[24:25]
	s_mov_b32 s17, -1
	s_clause 0xf
	global_load_u8 v135, v[62:63], off offset:480
	global_load_u8 v65, v[62:63], off offset:448
	;; [unrolled: 1-line block ×15, first 2 shown]
	global_load_u8 v147, v[62:63], off
	s_movk_i32 s18, 0x1100
	s_cbranch_execz .LBB391_725
	s_branch .LBB391_743
.LBB391_724:                            ;   in Loop: Header=BB391_722 Depth=2
	s_mov_b32 s17, 0
                                        ; implicit-def: $vgpr147
                                        ; implicit-def: $vgpr150
                                        ; implicit-def: $vgpr148
                                        ; implicit-def: $vgpr151
                                        ; implicit-def: $vgpr142
                                        ; implicit-def: $vgpr145
                                        ; implicit-def: $vgpr143
                                        ; implicit-def: $vgpr144
                                        ; implicit-def: $vgpr138
                                        ; implicit-def: $vgpr141
                                        ; implicit-def: $vgpr139
                                        ; implicit-def: $vgpr140
                                        ; implicit-def: $vgpr64
                                        ; implicit-def: $vgpr136
                                        ; implicit-def: $vgpr65
                                        ; implicit-def: $vgpr135
                                        ; implicit-def: $vgpr115
	s_movk_i32 s18, 0x1100
.LBB391_725:                            ;   in Loop: Header=BB391_722 Depth=2
	s_wait_xcnt 0x0
	v_add_nc_u64_e32 v[62:63], s[34:35], v[24:25]
	s_wait_loadcnt 0x1
	v_dual_mov_b32 v115, 0x7f :: v_dual_mov_b32 v150, 0x7f
	s_wait_loadcnt 0x0
	v_dual_mov_b32 v147, 0x7f :: v_dual_mov_b32 v148, 0x7f
	v_dual_mov_b32 v151, 0x7f :: v_dual_mov_b32 v142, 0x7f
	;; [unrolled: 1-line block ×7, first 2 shown]
	v_mov_b32_e32 v135, 0x7f
	s_mov_b32 s17, exec_lo
	v_cmpx_gt_u32_e64 s59, v97
	s_cbranch_execnz .LBB391_929
; %bb.726:                              ;   in Loop: Header=BB391_722 Depth=2
	s_or_b32 exec_lo, exec_lo, s17
	s_delay_alu instid0(SALU_CYCLE_1)
	s_mov_b32 s17, exec_lo
	v_cmpx_gt_u32_e64 s59, v98
	s_cbranch_execnz .LBB391_930
.LBB391_727:                            ;   in Loop: Header=BB391_722 Depth=2
	s_or_b32 exec_lo, exec_lo, s17
	s_delay_alu instid0(SALU_CYCLE_1)
	s_mov_b32 s17, exec_lo
	v_cmpx_gt_u32_e64 s59, v99
	s_cbranch_execnz .LBB391_931
.LBB391_728:                            ;   in Loop: Header=BB391_722 Depth=2
	s_or_b32 exec_lo, exec_lo, s17
	s_delay_alu instid0(SALU_CYCLE_1)
	s_mov_b32 s17, exec_lo
	v_cmpx_gt_u32_e64 s59, v100
	s_cbranch_execnz .LBB391_932
.LBB391_729:                            ;   in Loop: Header=BB391_722 Depth=2
	s_or_b32 exec_lo, exec_lo, s17
	s_delay_alu instid0(SALU_CYCLE_1)
	s_mov_b32 s17, exec_lo
	v_cmpx_gt_u32_e64 s59, v101
	s_cbranch_execnz .LBB391_933
.LBB391_730:                            ;   in Loop: Header=BB391_722 Depth=2
	s_or_b32 exec_lo, exec_lo, s17
	s_delay_alu instid0(SALU_CYCLE_1)
	s_mov_b32 s17, exec_lo
	v_cmpx_gt_u32_e64 s59, v102
	s_cbranch_execnz .LBB391_934
.LBB391_731:                            ;   in Loop: Header=BB391_722 Depth=2
	s_or_b32 exec_lo, exec_lo, s17
	s_delay_alu instid0(SALU_CYCLE_1)
	s_mov_b32 s17, exec_lo
	v_cmpx_gt_u32_e64 s59, v103
	s_cbranch_execnz .LBB391_935
.LBB391_732:                            ;   in Loop: Header=BB391_722 Depth=2
	s_or_b32 exec_lo, exec_lo, s17
	s_delay_alu instid0(SALU_CYCLE_1)
	s_mov_b32 s17, exec_lo
	v_cmpx_gt_u32_e64 s59, v104
	s_cbranch_execnz .LBB391_936
.LBB391_733:                            ;   in Loop: Header=BB391_722 Depth=2
	s_or_b32 exec_lo, exec_lo, s17
	s_delay_alu instid0(SALU_CYCLE_1)
	s_mov_b32 s17, exec_lo
	v_cmpx_gt_u32_e64 s59, v105
	s_cbranch_execnz .LBB391_937
.LBB391_734:                            ;   in Loop: Header=BB391_722 Depth=2
	s_or_b32 exec_lo, exec_lo, s17
	s_delay_alu instid0(SALU_CYCLE_1)
	s_mov_b32 s17, exec_lo
	v_cmpx_gt_u32_e64 s59, v106
	s_cbranch_execnz .LBB391_938
.LBB391_735:                            ;   in Loop: Header=BB391_722 Depth=2
	s_or_b32 exec_lo, exec_lo, s17
	s_delay_alu instid0(SALU_CYCLE_1)
	s_mov_b32 s17, exec_lo
	v_cmpx_gt_u32_e64 s59, v107
	s_cbranch_execnz .LBB391_939
.LBB391_736:                            ;   in Loop: Header=BB391_722 Depth=2
	s_or_b32 exec_lo, exec_lo, s17
	s_delay_alu instid0(SALU_CYCLE_1)
	s_mov_b32 s17, exec_lo
	v_cmpx_gt_u32_e64 s59, v108
	s_cbranch_execnz .LBB391_940
.LBB391_737:                            ;   in Loop: Header=BB391_722 Depth=2
	s_or_b32 exec_lo, exec_lo, s17
	s_delay_alu instid0(SALU_CYCLE_1)
	s_mov_b32 s17, exec_lo
	v_cmpx_gt_u32_e64 s59, v109
	s_cbranch_execnz .LBB391_941
.LBB391_738:                            ;   in Loop: Header=BB391_722 Depth=2
	s_or_b32 exec_lo, exec_lo, s17
	s_delay_alu instid0(SALU_CYCLE_1)
	s_mov_b32 s17, exec_lo
	v_cmpx_gt_u32_e64 s59, v110
	s_cbranch_execnz .LBB391_942
.LBB391_739:                            ;   in Loop: Header=BB391_722 Depth=2
	s_or_b32 exec_lo, exec_lo, s17
	s_delay_alu instid0(SALU_CYCLE_1)
	s_mov_b32 s17, exec_lo
	v_cmpx_gt_u32_e64 s59, v111
	s_cbranch_execnz .LBB391_943
.LBB391_740:                            ;   in Loop: Header=BB391_722 Depth=2
	s_or_b32 exec_lo, exec_lo, s17
	s_delay_alu instid0(SALU_CYCLE_1)
	s_mov_b32 s17, exec_lo
	v_cmpx_gt_u32_e64 s59, v112
	s_cbranch_execz .LBB391_742
.LBB391_741:                            ;   in Loop: Header=BB391_722 Depth=2
	global_load_u8 v135, v[62:63], off offset:480
.LBB391_742:                            ;   in Loop: Header=BB391_722 Depth=2
	s_wait_xcnt 0x0
	s_or_b32 exec_lo, exec_lo, s17
	v_cmp_gt_u32_e64 s17, s59, v113
	s_sub_co_i32 s18, s54, s34
.LBB391_743:                            ;   in Loop: Header=BB391_722 Depth=2
	v_mov_b32_e32 v137, s59
	s_wait_xcnt 0x0
	s_and_saveexec_b32 s19, s17
	s_cbranch_execz .LBB391_745
; %bb.744:                              ;   in Loop: Header=BB391_722 Depth=2
	v_add_nc_u64_e32 v[62:63], s[34:35], v[24:25]
	v_mov_b32_e32 v137, s18
	global_load_u8 v115, v[62:63], off offset:512
.LBB391_745:                            ;   in Loop: Header=BB391_722 Depth=2
	s_wait_xcnt 0x0
	s_or_b32 exec_lo, exec_lo, s19
	s_wait_loadcnt 0x0
	v_bitop3_b16 v62, v147, s43, 0x80 bitop3:0x48
	ds_store_2addr_b32 v90, v1, v1 offset0:136 offset1:137
	ds_store_2addr_b32 v90, v1, v1 offset0:138 offset1:139
	ds_store_b32 v90, v1 offset:560
	s_wait_dscnt 0x0
	s_barrier_signal -1
	s_barrier_wait -1
	v_and_b32_e32 v62, 0xffff, v62
	; wave barrier
	s_delay_alu instid0(VALU_DEP_1) | instskip(NEXT) | instid1(VALU_DEP_1)
	v_lshrrev_b32_e32 v62, s49, v62
	v_and_b32_e32 v149, s58, v62
	s_delay_alu instid0(VALU_DEP_1) | instskip(SKIP_1) | instid1(VALU_DEP_1)
	v_lshlrev_b32_e32 v146, 30, v149
	v_bitop3_b32 v63, v62, 1, s58 bitop3:0x80
	v_add_co_u32 v62, s17, v63, -1
	s_delay_alu instid0(VALU_DEP_1) | instskip(NEXT) | instid1(VALU_DEP_4)
	v_cndmask_b32_e64 v63, 0, 1, s17
	v_cmp_gt_i32_e64 s17, 0, v146
	s_delay_alu instid0(VALU_DEP_2) | instskip(SKIP_2) | instid1(VALU_DEP_2)
	v_cmp_ne_u32_e32 vcc_lo, 0, v63
	v_not_b32_e32 v63, v146
	v_bitop3_b32 v62, vcc_lo, exec_lo, v62 bitop3:0x48
	v_dual_ashrrev_i32 v63, 31, v63 :: v_dual_lshlrev_b32 v152, 29, v149
	v_dual_lshlrev_b32 v153, 28, v149 :: v_dual_lshlrev_b32 v154, 27, v149
	v_lshlrev_b32_e32 v155, 26, v149
	s_delay_alu instid0(VALU_DEP_3)
	v_not_b32_e32 v146, v152
	v_lshlrev_b32_e32 v156, 25, v149
	v_cmp_gt_i32_e64 s18, 0, v152
	v_cmp_gt_i32_e64 s19, 0, v153
	v_not_b32_e32 v152, v153
	v_not_b32_e32 v153, v154
	v_ashrrev_i32_e32 v146, 31, v146
	v_cmp_gt_i32_e64 s20, 0, v154
	v_cmp_gt_i32_e64 s21, 0, v155
	v_not_b32_e32 v154, v155
	v_not_b32_e32 v155, v156
	v_dual_ashrrev_i32 v152, 31, v152 :: v_dual_ashrrev_i32 v153, 31, v153
	s_delay_alu instid0(VALU_DEP_3) | instskip(NEXT) | instid1(VALU_DEP_3)
	v_dual_ashrrev_i32 v154, 31, v154 :: v_dual_bitop2_b32 v63, s17, v63 bitop3:0x14
	v_dual_ashrrev_i32 v155, 31, v155 :: v_dual_bitop2_b32 v146, s18, v146 bitop3:0x14
	v_cmp_gt_i32_e64 s22, 0, v156
	s_delay_alu instid0(VALU_DEP_4) | instskip(SKIP_1) | instid1(VALU_DEP_4)
	v_xor_b32_e32 v152, s19, v152
	v_xor_b32_e32 v153, s20, v153
	v_bitop3_b32 v62, v62, v146, v63 bitop3:0x80
	v_xor_b32_e32 v63, s21, v154
	v_xor_b32_e32 v146, s22, v155
	s_delay_alu instid0(VALU_DEP_3) | instskip(NEXT) | instid1(VALU_DEP_1)
	v_bitop3_b32 v62, v62, v153, v152 bitop3:0x80
	v_bitop3_b32 v62, v62, v146, v63 bitop3:0x80
	v_mul_u32_u24_e32 v63, 36, v149
	s_delay_alu instid0(VALU_DEP_2) | instskip(SKIP_1) | instid1(VALU_DEP_3)
	v_mbcnt_lo_u32_b32 v146, v62, 0
	v_cmp_ne_u32_e64 s17, 0, v62
	v_add_nc_u32_e32 v149, v114, v63
	s_delay_alu instid0(VALU_DEP_3) | instskip(SKIP_1) | instid1(SALU_CYCLE_1)
	v_cmp_eq_u32_e32 vcc_lo, 0, v146
	s_and_b32 s18, s17, vcc_lo
	s_and_saveexec_b32 s17, s18
; %bb.746:                              ;   in Loop: Header=BB391_722 Depth=2
	v_bcnt_u32_b32 v62, v62, 0
	ds_store_b32 v149, v62 offset:544
; %bb.747:                              ;   in Loop: Header=BB391_722 Depth=2
	s_or_b32 exec_lo, exec_lo, s17
	v_xor_b32_e32 v62, 0x80, v150
	v_xor_b32_e32 v63, 0x80, v151
	v_xor_b32_e32 v147, 0x80, v147
	v_xor_b32_e32 v148, 0x80, v148
	s_delay_alu instid0(VALU_DEP_4) | instskip(NEXT) | instid1(VALU_DEP_4)
	v_lshlrev_b16 v62, 8, v62
	v_lshlrev_b16 v63, 8, v63
	; wave barrier
	s_delay_alu instid0(VALU_DEP_2) | instskip(NEXT) | instid1(VALU_DEP_2)
	v_bitop3_b16 v147, v147, v62, 0xff bitop3:0xec
	v_bitop3_b16 v62, v148, v63, 0xff bitop3:0xec
	s_delay_alu instid0(VALU_DEP_2) | instskip(NEXT) | instid1(VALU_DEP_2)
	v_and_b32_e32 v63, 0xffff, v147
	v_lshlrev_b32_e32 v62, 16, v62
	s_delay_alu instid0(VALU_DEP_1) | instskip(NEXT) | instid1(VALU_DEP_1)
	v_or_b32_e32 v148, v63, v62
	v_bfe_u32 v62, v148, 8, 8
	s_delay_alu instid0(VALU_DEP_1) | instskip(NEXT) | instid1(VALU_DEP_1)
	v_lshrrev_b32_e32 v62, s49, v62
	v_bitop3_b32 v63, v62, 1, s58 bitop3:0x80
	v_and_b32_e32 v152, s58, v62
	s_delay_alu instid0(VALU_DEP_2) | instskip(NEXT) | instid1(VALU_DEP_1)
	v_add_co_u32 v62, s17, v63, -1
	v_cndmask_b32_e64 v63, 0, 1, s17
	s_delay_alu instid0(VALU_DEP_3) | instskip(NEXT) | instid1(VALU_DEP_2)
	v_lshlrev_b32_e32 v150, 30, v152
	v_cmp_ne_u32_e32 vcc_lo, 0, v63
	s_delay_alu instid0(VALU_DEP_2) | instskip(SKIP_2) | instid1(VALU_DEP_3)
	v_not_b32_e32 v63, v150
	v_cmp_gt_i32_e64 s17, 0, v150
	v_bitop3_b32 v62, vcc_lo, exec_lo, v62 bitop3:0x48
	v_dual_ashrrev_i32 v63, 31, v63 :: v_dual_lshlrev_b32 v151, 29, v152
	v_dual_lshlrev_b32 v153, 28, v152 :: v_dual_lshlrev_b32 v154, 27, v152
	v_lshlrev_b32_e32 v155, 26, v152
	s_delay_alu instid0(VALU_DEP_3)
	v_not_b32_e32 v150, v151
	v_lshlrev_b32_e32 v156, 25, v152
	v_cmp_gt_i32_e64 s18, 0, v151
	v_cmp_gt_i32_e64 s19, 0, v153
	v_not_b32_e32 v151, v153
	v_ashrrev_i32_e32 v150, 31, v150
	v_cmp_gt_i32_e64 s20, 0, v154
	v_not_b32_e32 v153, v154
	v_cmp_gt_i32_e64 s21, 0, v155
	v_not_b32_e32 v154, v155
	v_not_b32_e32 v155, v156
	v_xor_b32_e32 v63, s17, v63
	v_dual_ashrrev_i32 v151, 31, v151 :: v_dual_bitop2_b32 v150, s18, v150 bitop3:0x14
	s_delay_alu instid0(VALU_DEP_4) | instskip(NEXT) | instid1(VALU_DEP_4)
	v_dual_ashrrev_i32 v153, 31, v153 :: v_dual_ashrrev_i32 v154, 31, v154
	v_ashrrev_i32_e32 v155, 31, v155
	s_delay_alu instid0(VALU_DEP_3)
	v_bitop3_b32 v62, v62, v150, v63 bitop3:0x80
	v_mad_u32_u24 v63, v152, 36, v114
	v_cmp_gt_i32_e64 s22, 0, v156
	v_xor_b32_e32 v151, s19, v151
	v_xor_b32_e32 v154, s21, v154
	ds_load_b32 v150, v63 offset:544
	v_mul_u32_u24_e32 v63, 36, v152
	v_xor_b32_e32 v153, s20, v153
	v_xor_b32_e32 v155, s22, v155
	; wave barrier
	s_delay_alu instid0(VALU_DEP_3) | instskip(NEXT) | instid1(VALU_DEP_3)
	v_add_nc_u32_e32 v152, v114, v63
	v_bitop3_b32 v62, v62, v153, v151 bitop3:0x80
	s_delay_alu instid0(VALU_DEP_1) | instskip(NEXT) | instid1(VALU_DEP_1)
	v_bitop3_b32 v62, v62, v155, v154 bitop3:0x80
	v_mbcnt_lo_u32_b32 v151, v62, 0
	v_cmp_ne_u32_e64 s17, 0, v62
	s_delay_alu instid0(VALU_DEP_2) | instskip(SKIP_1) | instid1(SALU_CYCLE_1)
	v_cmp_eq_u32_e32 vcc_lo, 0, v151
	s_and_b32 s18, s17, vcc_lo
	s_and_saveexec_b32 s17, s18
	s_cbranch_execz .LBB391_749
; %bb.748:                              ;   in Loop: Header=BB391_722 Depth=2
	s_wait_dscnt 0x0
	v_bcnt_u32_b32 v62, v62, v150
	ds_store_b32 v152, v62 offset:544
.LBB391_749:                            ;   in Loop: Header=BB391_722 Depth=2
	s_or_b32 exec_lo, exec_lo, s17
	v_bfe_u32 v62, v148, 16, 8
	; wave barrier
	s_delay_alu instid0(VALU_DEP_1) | instskip(NEXT) | instid1(VALU_DEP_1)
	v_lshrrev_b32_e32 v62, s49, v62
	v_and_b32_e32 v155, s58, v62
	s_delay_alu instid0(VALU_DEP_1) | instskip(SKIP_1) | instid1(VALU_DEP_1)
	v_lshlrev_b32_e32 v153, 30, v155
	v_bitop3_b32 v63, v62, 1, s58 bitop3:0x80
	v_add_co_u32 v62, s17, v63, -1
	s_delay_alu instid0(VALU_DEP_1) | instskip(NEXT) | instid1(VALU_DEP_4)
	v_cndmask_b32_e64 v63, 0, 1, s17
	v_cmp_gt_i32_e64 s17, 0, v153
	s_delay_alu instid0(VALU_DEP_2) | instskip(SKIP_2) | instid1(VALU_DEP_2)
	v_cmp_ne_u32_e32 vcc_lo, 0, v63
	v_not_b32_e32 v63, v153
	v_bitop3_b32 v62, vcc_lo, exec_lo, v62 bitop3:0x48
	v_ashrrev_i32_e32 v63, 31, v63
	v_dual_lshlrev_b32 v154, 29, v155 :: v_dual_lshlrev_b32 v156, 28, v155
	v_dual_lshlrev_b32 v157, 27, v155 :: v_dual_lshlrev_b32 v158, 26, v155
	s_delay_alu instid0(VALU_DEP_2)
	v_not_b32_e32 v153, v154
	v_lshlrev_b32_e32 v159, 25, v155
	v_cmp_gt_i32_e64 s18, 0, v154
	v_cmp_gt_i32_e64 s19, 0, v156
	v_not_b32_e32 v154, v156
	v_not_b32_e32 v156, v157
	v_ashrrev_i32_e32 v153, 31, v153
	v_cmp_gt_i32_e64 s20, 0, v157
	v_cmp_gt_i32_e64 s21, 0, v158
	v_not_b32_e32 v157, v158
	v_dual_ashrrev_i32 v154, 31, v154 :: v_dual_ashrrev_i32 v156, 31, v156
	v_xor_b32_e32 v63, s17, v63
	v_not_b32_e32 v158, v159
	v_xor_b32_e32 v153, s18, v153
	s_delay_alu instid0(VALU_DEP_4) | instskip(SKIP_2) | instid1(VALU_DEP_4)
	v_dual_ashrrev_i32 v157, 31, v157 :: v_dual_bitop2_b32 v154, s19, v154 bitop3:0x14
	v_xor_b32_e32 v156, s20, v156
	v_cmp_gt_i32_e32 vcc_lo, 0, v159
	v_bitop3_b32 v62, v62, v153, v63 bitop3:0x80
	v_ashrrev_i32_e32 v63, 31, v158
	v_mad_u32_u24 v153, v155, 36, v114
	v_xor_b32_e32 v157, s21, v157
	s_delay_alu instid0(VALU_DEP_4) | instskip(NEXT) | instid1(VALU_DEP_4)
	v_bitop3_b32 v62, v62, v156, v154 bitop3:0x80
	v_xor_b32_e32 v63, vcc_lo, v63
	ds_load_b32 v153, v153 offset:544
	; wave barrier
	v_bitop3_b32 v62, v62, v63, v157 bitop3:0x80
	v_mul_u32_u24_e32 v63, 36, v155
	s_delay_alu instid0(VALU_DEP_2) | instskip(SKIP_1) | instid1(VALU_DEP_3)
	v_mbcnt_lo_u32_b32 v154, v62, 0
	v_cmp_ne_u32_e64 s17, 0, v62
	v_add_nc_u32_e32 v156, v114, v63
	s_delay_alu instid0(VALU_DEP_3) | instskip(SKIP_1) | instid1(SALU_CYCLE_1)
	v_cmp_eq_u32_e32 vcc_lo, 0, v154
	s_and_b32 s18, s17, vcc_lo
	s_and_saveexec_b32 s17, s18
	s_cbranch_execz .LBB391_751
; %bb.750:                              ;   in Loop: Header=BB391_722 Depth=2
	s_wait_dscnt 0x0
	v_bcnt_u32_b32 v62, v62, v153
	ds_store_b32 v156, v62 offset:544
.LBB391_751:                            ;   in Loop: Header=BB391_722 Depth=2
	s_or_b32 exec_lo, exec_lo, s17
	v_lshrrev_b32_e32 v155, 24, v148
	; wave barrier
	s_delay_alu instid0(VALU_DEP_1) | instskip(NEXT) | instid1(VALU_DEP_1)
	v_lshrrev_b32_e32 v62, s49, v155
	v_bitop3_b32 v63, v62, 1, s58 bitop3:0x80
	v_and_b32_e32 v159, s58, v62
	s_delay_alu instid0(VALU_DEP_2) | instskip(NEXT) | instid1(VALU_DEP_1)
	v_add_co_u32 v62, s17, v63, -1
	v_cndmask_b32_e64 v63, 0, 1, s17
	s_delay_alu instid0(VALU_DEP_3) | instskip(SKIP_1) | instid1(VALU_DEP_3)
	v_dual_lshlrev_b32 v157, 30, v159 :: v_dual_lshlrev_b32 v158, 29, v159
	v_dual_lshlrev_b32 v160, 28, v159 :: v_dual_lshlrev_b32 v161, 27, v159
	v_cmp_ne_u32_e32 vcc_lo, 0, v63
	s_delay_alu instid0(VALU_DEP_3)
	v_cmp_gt_i32_e64 s17, 0, v157
	v_not_b32_e32 v63, v157
	v_not_b32_e32 v157, v158
	v_dual_lshlrev_b32 v162, 26, v159 :: v_dual_lshlrev_b32 v163, 25, v159
	v_cmp_gt_i32_e64 s18, 0, v158
	v_cmp_gt_i32_e64 s19, 0, v160
	v_not_b32_e32 v158, v160
	v_not_b32_e32 v160, v161
	v_dual_ashrrev_i32 v63, 31, v63 :: v_dual_ashrrev_i32 v157, 31, v157
	v_cmp_gt_i32_e64 s20, 0, v161
	v_cmp_gt_i32_e64 s21, 0, v162
	v_not_b32_e32 v161, v162
	v_bitop3_b32 v62, vcc_lo, exec_lo, v62 bitop3:0x48
	v_dual_ashrrev_i32 v158, 31, v158 :: v_dual_ashrrev_i32 v160, 31, v160
	v_xor_b32_e32 v63, s17, v63
	v_not_b32_e32 v162, v163
	v_xor_b32_e32 v157, s18, v157
	s_delay_alu instid0(VALU_DEP_4) | instskip(SKIP_2) | instid1(VALU_DEP_4)
	v_dual_ashrrev_i32 v161, 31, v161 :: v_dual_bitop2_b32 v158, s19, v158 bitop3:0x14
	v_xor_b32_e32 v160, s20, v160
	v_cmp_gt_i32_e32 vcc_lo, 0, v163
	v_bitop3_b32 v62, v62, v157, v63 bitop3:0x80
	v_ashrrev_i32_e32 v63, 31, v162
	v_mad_u32_u24 v157, v159, 36, v114
	v_xor_b32_e32 v161, s21, v161
	s_delay_alu instid0(VALU_DEP_4) | instskip(NEXT) | instid1(VALU_DEP_4)
	v_bitop3_b32 v62, v62, v160, v158 bitop3:0x80
	v_xor_b32_e32 v63, vcc_lo, v63
	ds_load_b32 v157, v157 offset:544
	; wave barrier
	v_bitop3_b32 v62, v62, v63, v161 bitop3:0x80
	v_mul_u32_u24_e32 v63, 36, v159
	s_delay_alu instid0(VALU_DEP_2) | instskip(SKIP_1) | instid1(VALU_DEP_3)
	v_mbcnt_lo_u32_b32 v158, v62, 0
	v_cmp_ne_u32_e64 s17, 0, v62
	v_add_nc_u32_e32 v159, v114, v63
	s_delay_alu instid0(VALU_DEP_3) | instskip(SKIP_1) | instid1(SALU_CYCLE_1)
	v_cmp_eq_u32_e32 vcc_lo, 0, v158
	s_and_b32 s18, s17, vcc_lo
	s_and_saveexec_b32 s17, s18
	s_cbranch_execz .LBB391_753
; %bb.752:                              ;   in Loop: Header=BB391_722 Depth=2
	s_wait_dscnt 0x0
	v_bcnt_u32_b32 v62, v62, v157
	ds_store_b32 v159, v62 offset:544
.LBB391_753:                            ;   in Loop: Header=BB391_722 Depth=2
	s_or_b32 exec_lo, exec_lo, s17
	v_bitop3_b16 v62, v142, s43, 0x80 bitop3:0x48
	; wave barrier
	s_delay_alu instid0(VALU_DEP_1) | instskip(NEXT) | instid1(VALU_DEP_1)
	v_and_b32_e32 v62, 0xffff, v62
	v_lshrrev_b32_e32 v62, s49, v62
	s_delay_alu instid0(VALU_DEP_1) | instskip(SKIP_1) | instid1(VALU_DEP_2)
	v_bitop3_b32 v63, v62, 1, s58 bitop3:0x80
	v_and_b32_e32 v162, s58, v62
	v_add_co_u32 v62, s17, v63, -1
	s_delay_alu instid0(VALU_DEP_1) | instskip(NEXT) | instid1(VALU_DEP_3)
	v_cndmask_b32_e64 v63, 0, 1, s17
	v_dual_lshlrev_b32 v160, 30, v162 :: v_dual_lshlrev_b32 v161, 29, v162
	s_delay_alu instid0(VALU_DEP_2) | instskip(NEXT) | instid1(VALU_DEP_2)
	v_cmp_ne_u32_e32 vcc_lo, 0, v63
	v_cmp_gt_i32_e64 s17, 0, v160
	v_not_b32_e32 v63, v160
	s_delay_alu instid0(VALU_DEP_4) | instskip(SKIP_2) | instid1(VALU_DEP_3)
	v_not_b32_e32 v160, v161
	v_cmp_gt_i32_e64 s18, 0, v161
	v_bitop3_b32 v62, vcc_lo, exec_lo, v62 bitop3:0x48
	v_dual_ashrrev_i32 v63, 31, v63 :: v_dual_ashrrev_i32 v160, 31, v160
	v_dual_lshlrev_b32 v163, 28, v162 :: v_dual_lshlrev_b32 v164, 27, v162
	v_dual_lshlrev_b32 v165, 26, v162 :: v_dual_lshlrev_b32 v166, 25, v162
	s_delay_alu instid0(VALU_DEP_2) | instskip(SKIP_1) | instid1(VALU_DEP_4)
	v_cmp_gt_i32_e64 s19, 0, v163
	v_not_b32_e32 v161, v163
	v_cmp_gt_i32_e64 s20, 0, v164
	v_not_b32_e32 v163, v164
	;; [unrolled: 2-line block ×3, first 2 shown]
	v_not_b32_e32 v165, v166
	v_xor_b32_e32 v63, s17, v63
	v_dual_ashrrev_i32 v161, 31, v161 :: v_dual_bitop2_b32 v160, s18, v160 bitop3:0x14
	s_delay_alu instid0(VALU_DEP_4) | instskip(NEXT) | instid1(VALU_DEP_4)
	v_dual_ashrrev_i32 v163, 31, v163 :: v_dual_ashrrev_i32 v164, 31, v164
	v_ashrrev_i32_e32 v165, 31, v165
	s_delay_alu instid0(VALU_DEP_3)
	v_bitop3_b32 v62, v62, v160, v63 bitop3:0x80
	v_mad_u32_u24 v63, v162, 36, v114
	v_cmp_gt_i32_e64 s22, 0, v166
	v_xor_b32_e32 v163, s20, v163
	v_xor_b32_e32 v164, s21, v164
	ds_load_b32 v160, v63 offset:544
	v_mul_u32_u24_e32 v63, 36, v162
	v_xor_b32_e32 v161, s19, v161
	v_xor_b32_e32 v165, s22, v165
	; wave barrier
	s_delay_alu instid0(VALU_DEP_3) | instskip(NEXT) | instid1(VALU_DEP_3)
	v_add_nc_u32_e32 v162, v114, v63
	v_bitop3_b32 v62, v62, v163, v161 bitop3:0x80
	s_delay_alu instid0(VALU_DEP_1) | instskip(NEXT) | instid1(VALU_DEP_1)
	v_bitop3_b32 v62, v62, v165, v164 bitop3:0x80
	v_mbcnt_lo_u32_b32 v161, v62, 0
	v_cmp_ne_u32_e64 s17, 0, v62
	s_delay_alu instid0(VALU_DEP_2) | instskip(SKIP_1) | instid1(SALU_CYCLE_1)
	v_cmp_eq_u32_e32 vcc_lo, 0, v161
	s_and_b32 s18, s17, vcc_lo
	s_and_saveexec_b32 s17, s18
	s_cbranch_execz .LBB391_755
; %bb.754:                              ;   in Loop: Header=BB391_722 Depth=2
	s_wait_dscnt 0x0
	v_bcnt_u32_b32 v62, v62, v160
	ds_store_b32 v162, v62 offset:544
.LBB391_755:                            ;   in Loop: Header=BB391_722 Depth=2
	s_or_b32 exec_lo, exec_lo, s17
	v_xor_b32_e32 v62, 0x80, v145
	v_xor_b32_e32 v63, 0x80, v144
	;; [unrolled: 1-line block ×4, first 2 shown]
	s_delay_alu instid0(VALU_DEP_4) | instskip(NEXT) | instid1(VALU_DEP_4)
	v_lshlrev_b16 v62, 8, v62
	v_lshlrev_b16 v63, 8, v63
	; wave barrier
	s_delay_alu instid0(VALU_DEP_2) | instskip(NEXT) | instid1(VALU_DEP_2)
	v_bitop3_b16 v142, v142, v62, 0xff bitop3:0xec
	v_bitop3_b16 v62, v143, v63, 0xff bitop3:0xec
	s_delay_alu instid0(VALU_DEP_2) | instskip(NEXT) | instid1(VALU_DEP_2)
	v_and_b32_e32 v63, 0xffff, v142
	v_lshlrev_b32_e32 v62, 16, v62
	s_delay_alu instid0(VALU_DEP_1) | instskip(NEXT) | instid1(VALU_DEP_1)
	v_or_b32_e32 v143, v63, v62
	v_bfe_u32 v62, v143, 8, 8
	s_delay_alu instid0(VALU_DEP_1) | instskip(NEXT) | instid1(VALU_DEP_1)
	v_lshrrev_b32_e32 v62, s49, v62
	v_bitop3_b32 v63, v62, 1, s58 bitop3:0x80
	v_and_b32_e32 v163, s58, v62
	s_delay_alu instid0(VALU_DEP_2) | instskip(NEXT) | instid1(VALU_DEP_1)
	v_add_co_u32 v62, s17, v63, -1
	v_cndmask_b32_e64 v63, 0, 1, s17
	s_delay_alu instid0(VALU_DEP_3) | instskip(NEXT) | instid1(VALU_DEP_2)
	v_lshlrev_b32_e32 v144, 30, v163
	v_cmp_ne_u32_e32 vcc_lo, 0, v63
	s_delay_alu instid0(VALU_DEP_2) | instskip(SKIP_2) | instid1(VALU_DEP_3)
	v_not_b32_e32 v63, v144
	v_cmp_gt_i32_e64 s17, 0, v144
	v_bitop3_b32 v62, vcc_lo, exec_lo, v62 bitop3:0x48
	v_ashrrev_i32_e32 v63, 31, v63
	v_dual_lshlrev_b32 v145, 29, v163 :: v_dual_lshlrev_b32 v164, 28, v163
	v_dual_lshlrev_b32 v165, 27, v163 :: v_dual_lshlrev_b32 v166, 26, v163
	s_delay_alu instid0(VALU_DEP_2)
	v_not_b32_e32 v144, v145
	v_lshlrev_b32_e32 v167, 25, v163
	v_cmp_gt_i32_e64 s18, 0, v145
	v_cmp_gt_i32_e64 s19, 0, v164
	v_not_b32_e32 v145, v164
	v_ashrrev_i32_e32 v144, 31, v144
	v_cmp_gt_i32_e64 s20, 0, v165
	v_not_b32_e32 v164, v165
	v_cmp_gt_i32_e64 s21, 0, v166
	v_not_b32_e32 v165, v166
	v_not_b32_e32 v166, v167
	v_xor_b32_e32 v63, s17, v63
	v_dual_ashrrev_i32 v145, 31, v145 :: v_dual_bitop2_b32 v144, s18, v144 bitop3:0x14
	s_delay_alu instid0(VALU_DEP_4) | instskip(NEXT) | instid1(VALU_DEP_4)
	v_dual_ashrrev_i32 v164, 31, v164 :: v_dual_ashrrev_i32 v165, 31, v165
	v_ashrrev_i32_e32 v166, 31, v166
	s_delay_alu instid0(VALU_DEP_3)
	v_bitop3_b32 v62, v62, v144, v63 bitop3:0x80
	v_mad_u32_u24 v63, v163, 36, v114
	v_cmp_gt_i32_e64 s22, 0, v167
	v_xor_b32_e32 v164, s20, v164
	v_xor_b32_e32 v165, s21, v165
	ds_load_b32 v144, v63 offset:544
	v_mul_u32_u24_e32 v63, 36, v163
	v_xor_b32_e32 v145, s19, v145
	v_xor_b32_e32 v166, s22, v166
	; wave barrier
	s_delay_alu instid0(VALU_DEP_3) | instskip(NEXT) | instid1(VALU_DEP_3)
	v_add_nc_u32_e32 v163, v114, v63
	v_bitop3_b32 v62, v62, v164, v145 bitop3:0x80
	s_delay_alu instid0(VALU_DEP_1) | instskip(NEXT) | instid1(VALU_DEP_1)
	v_bitop3_b32 v62, v62, v166, v165 bitop3:0x80
	v_mbcnt_lo_u32_b32 v145, v62, 0
	v_cmp_ne_u32_e64 s17, 0, v62
	s_delay_alu instid0(VALU_DEP_2) | instskip(SKIP_1) | instid1(SALU_CYCLE_1)
	v_cmp_eq_u32_e32 vcc_lo, 0, v145
	s_and_b32 s18, s17, vcc_lo
	s_and_saveexec_b32 s17, s18
	s_cbranch_execz .LBB391_757
; %bb.756:                              ;   in Loop: Header=BB391_722 Depth=2
	s_wait_dscnt 0x0
	v_bcnt_u32_b32 v62, v62, v144
	ds_store_b32 v163, v62 offset:544
.LBB391_757:                            ;   in Loop: Header=BB391_722 Depth=2
	s_or_b32 exec_lo, exec_lo, s17
	v_bfe_u32 v62, v143, 16, 8
	; wave barrier
	s_delay_alu instid0(VALU_DEP_1) | instskip(NEXT) | instid1(VALU_DEP_1)
	v_lshrrev_b32_e32 v62, s49, v62
	v_bitop3_b32 v63, v62, 1, s58 bitop3:0x80
	v_and_b32_e32 v166, s58, v62
	s_delay_alu instid0(VALU_DEP_2) | instskip(NEXT) | instid1(VALU_DEP_1)
	v_add_co_u32 v62, s17, v63, -1
	v_cndmask_b32_e64 v63, 0, 1, s17
	s_delay_alu instid0(VALU_DEP_3) | instskip(NEXT) | instid1(VALU_DEP_2)
	v_dual_lshlrev_b32 v164, 30, v166 :: v_dual_lshlrev_b32 v165, 29, v166
	v_cmp_ne_u32_e32 vcc_lo, 0, v63
	s_delay_alu instid0(VALU_DEP_2) | instskip(SKIP_1) | instid1(VALU_DEP_4)
	v_cmp_gt_i32_e64 s17, 0, v164
	v_not_b32_e32 v63, v164
	v_not_b32_e32 v164, v165
	v_cmp_gt_i32_e64 s18, 0, v165
	v_bitop3_b32 v62, vcc_lo, exec_lo, v62 bitop3:0x48
	s_delay_alu instid0(VALU_DEP_3) | instskip(SKIP_2) | instid1(VALU_DEP_2)
	v_dual_ashrrev_i32 v63, 31, v63 :: v_dual_ashrrev_i32 v164, 31, v164
	v_dual_lshlrev_b32 v167, 28, v166 :: v_dual_lshlrev_b32 v168, 27, v166
	v_dual_lshlrev_b32 v169, 26, v166 :: v_dual_lshlrev_b32 v170, 25, v166
	v_cmp_gt_i32_e64 s19, 0, v167
	v_not_b32_e32 v165, v167
	s_delay_alu instid0(VALU_DEP_4) | instskip(SKIP_3) | instid1(VALU_DEP_4)
	v_not_b32_e32 v167, v168
	v_cmp_gt_i32_e64 s20, 0, v168
	v_cmp_gt_i32_e64 s21, 0, v169
	v_not_b32_e32 v168, v169
	v_dual_ashrrev_i32 v165, 31, v165 :: v_dual_ashrrev_i32 v167, 31, v167
	v_xor_b32_e32 v63, s17, v63
	v_not_b32_e32 v169, v170
	v_xor_b32_e32 v164, s18, v164
	s_delay_alu instid0(VALU_DEP_4) | instskip(SKIP_2) | instid1(VALU_DEP_4)
	v_dual_ashrrev_i32 v168, 31, v168 :: v_dual_bitop2_b32 v165, s19, v165 bitop3:0x14
	v_xor_b32_e32 v167, s20, v167
	v_cmp_gt_i32_e32 vcc_lo, 0, v170
	v_bitop3_b32 v62, v62, v164, v63 bitop3:0x80
	v_ashrrev_i32_e32 v63, 31, v169
	v_mad_u32_u24 v164, v166, 36, v114
	v_xor_b32_e32 v168, s21, v168
	s_delay_alu instid0(VALU_DEP_4) | instskip(NEXT) | instid1(VALU_DEP_4)
	v_bitop3_b32 v62, v62, v167, v165 bitop3:0x80
	v_xor_b32_e32 v63, vcc_lo, v63
	ds_load_b32 v164, v164 offset:544
	; wave barrier
	v_bitop3_b32 v62, v62, v63, v168 bitop3:0x80
	v_mul_u32_u24_e32 v63, 36, v166
	s_delay_alu instid0(VALU_DEP_2) | instskip(SKIP_1) | instid1(VALU_DEP_3)
	v_mbcnt_lo_u32_b32 v165, v62, 0
	v_cmp_ne_u32_e64 s17, 0, v62
	v_add_nc_u32_e32 v167, v114, v63
	s_delay_alu instid0(VALU_DEP_3) | instskip(SKIP_1) | instid1(SALU_CYCLE_1)
	v_cmp_eq_u32_e32 vcc_lo, 0, v165
	s_and_b32 s18, s17, vcc_lo
	s_and_saveexec_b32 s17, s18
	s_cbranch_execz .LBB391_759
; %bb.758:                              ;   in Loop: Header=BB391_722 Depth=2
	s_wait_dscnt 0x0
	v_bcnt_u32_b32 v62, v62, v164
	ds_store_b32 v167, v62 offset:544
.LBB391_759:                            ;   in Loop: Header=BB391_722 Depth=2
	s_or_b32 exec_lo, exec_lo, s17
	v_lshrrev_b32_e32 v166, 24, v143
	; wave barrier
	s_delay_alu instid0(VALU_DEP_1) | instskip(NEXT) | instid1(VALU_DEP_1)
	v_lshrrev_b32_e32 v62, s49, v166
	v_bitop3_b32 v63, v62, 1, s58 bitop3:0x80
	v_and_b32_e32 v170, s58, v62
	s_delay_alu instid0(VALU_DEP_2) | instskip(NEXT) | instid1(VALU_DEP_1)
	v_add_co_u32 v62, s17, v63, -1
	v_cndmask_b32_e64 v63, 0, 1, s17
	s_delay_alu instid0(VALU_DEP_3) | instskip(SKIP_1) | instid1(VALU_DEP_3)
	v_dual_lshlrev_b32 v168, 30, v170 :: v_dual_lshlrev_b32 v169, 29, v170
	v_dual_lshlrev_b32 v171, 28, v170 :: v_dual_lshlrev_b32 v172, 27, v170
	v_cmp_ne_u32_e32 vcc_lo, 0, v63
	s_delay_alu instid0(VALU_DEP_3)
	v_cmp_gt_i32_e64 s17, 0, v168
	v_not_b32_e32 v63, v168
	v_not_b32_e32 v168, v169
	v_dual_lshlrev_b32 v173, 26, v170 :: v_dual_lshlrev_b32 v174, 25, v170
	v_cmp_gt_i32_e64 s18, 0, v169
	v_cmp_gt_i32_e64 s19, 0, v171
	v_not_b32_e32 v169, v171
	v_not_b32_e32 v171, v172
	v_dual_ashrrev_i32 v63, 31, v63 :: v_dual_ashrrev_i32 v168, 31, v168
	v_cmp_gt_i32_e64 s20, 0, v172
	v_cmp_gt_i32_e64 s21, 0, v173
	v_not_b32_e32 v172, v173
	v_bitop3_b32 v62, vcc_lo, exec_lo, v62 bitop3:0x48
	v_dual_ashrrev_i32 v169, 31, v169 :: v_dual_ashrrev_i32 v171, 31, v171
	v_xor_b32_e32 v168, s18, v168
	s_delay_alu instid0(VALU_DEP_4) | instskip(SKIP_1) | instid1(VALU_DEP_4)
	v_dual_ashrrev_i32 v172, 31, v172 :: v_dual_bitop2_b32 v63, s17, v63 bitop3:0x14
	v_not_b32_e32 v173, v174
	v_xor_b32_e32 v169, s19, v169
	v_xor_b32_e32 v171, s20, v171
	s_delay_alu instid0(VALU_DEP_4)
	v_bitop3_b32 v62, v62, v168, v63 bitop3:0x80
	v_cmp_gt_i32_e32 vcc_lo, 0, v174
	v_ashrrev_i32_e32 v63, 31, v173
	v_mad_u32_u24 v168, v170, 36, v114
	v_xor_b32_e32 v172, s21, v172
	v_bitop3_b32 v62, v62, v171, v169 bitop3:0x80
	s_delay_alu instid0(VALU_DEP_4) | instskip(SKIP_3) | instid1(VALU_DEP_2)
	v_xor_b32_e32 v63, vcc_lo, v63
	ds_load_b32 v168, v168 offset:544
	; wave barrier
	v_bitop3_b32 v62, v62, v63, v172 bitop3:0x80
	v_mul_u32_u24_e32 v63, 36, v170
	v_mbcnt_lo_u32_b32 v169, v62, 0
	v_cmp_ne_u32_e64 s17, 0, v62
	s_delay_alu instid0(VALU_DEP_3) | instskip(NEXT) | instid1(VALU_DEP_3)
	v_add_nc_u32_e32 v170, v114, v63
	v_cmp_eq_u32_e32 vcc_lo, 0, v169
	s_and_b32 s18, s17, vcc_lo
	s_delay_alu instid0(SALU_CYCLE_1)
	s_and_saveexec_b32 s17, s18
	s_cbranch_execz .LBB391_761
; %bb.760:                              ;   in Loop: Header=BB391_722 Depth=2
	s_wait_dscnt 0x0
	v_bcnt_u32_b32 v62, v62, v168
	ds_store_b32 v170, v62 offset:544
.LBB391_761:                            ;   in Loop: Header=BB391_722 Depth=2
	s_or_b32 exec_lo, exec_lo, s17
	v_bitop3_b16 v62, v138, s43, 0x80 bitop3:0x48
	; wave barrier
	s_delay_alu instid0(VALU_DEP_1) | instskip(NEXT) | instid1(VALU_DEP_1)
	v_and_b32_e32 v62, 0xffff, v62
	v_lshrrev_b32_e32 v62, s49, v62
	s_delay_alu instid0(VALU_DEP_1) | instskip(NEXT) | instid1(VALU_DEP_1)
	v_and_b32_e32 v173, s58, v62
	v_lshlrev_b32_e32 v171, 30, v173
	v_bitop3_b32 v63, v62, 1, s58 bitop3:0x80
	s_delay_alu instid0(VALU_DEP_1) | instskip(NEXT) | instid1(VALU_DEP_1)
	v_add_co_u32 v62, s17, v63, -1
	v_cndmask_b32_e64 v63, 0, 1, s17
	s_delay_alu instid0(VALU_DEP_4) | instskip(NEXT) | instid1(VALU_DEP_2)
	v_cmp_gt_i32_e64 s17, 0, v171
	v_cmp_ne_u32_e32 vcc_lo, 0, v63
	v_not_b32_e32 v63, v171
	v_bitop3_b32 v62, vcc_lo, exec_lo, v62 bitop3:0x48
	s_delay_alu instid0(VALU_DEP_2) | instskip(SKIP_2) | instid1(VALU_DEP_3)
	v_dual_ashrrev_i32 v63, 31, v63 :: v_dual_lshlrev_b32 v172, 29, v173
	v_dual_lshlrev_b32 v174, 28, v173 :: v_dual_lshlrev_b32 v175, 27, v173
	v_lshlrev_b32_e32 v176, 26, v173
	v_not_b32_e32 v171, v172
	v_lshlrev_b32_e32 v177, 25, v173
	v_cmp_gt_i32_e64 s18, 0, v172
	v_cmp_gt_i32_e64 s19, 0, v174
	v_not_b32_e32 v172, v174
	v_ashrrev_i32_e32 v171, 31, v171
	v_cmp_gt_i32_e64 s20, 0, v175
	v_not_b32_e32 v174, v175
	v_cmp_gt_i32_e64 s21, 0, v176
	v_not_b32_e32 v175, v176
	v_not_b32_e32 v176, v177
	v_xor_b32_e32 v63, s17, v63
	v_dual_ashrrev_i32 v172, 31, v172 :: v_dual_bitop2_b32 v171, s18, v171 bitop3:0x14
	s_delay_alu instid0(VALU_DEP_3) | instskip(SKIP_1) | instid1(VALU_DEP_3)
	v_dual_ashrrev_i32 v174, 31, v174 :: v_dual_ashrrev_i32 v176, 31, v176
	v_cmp_gt_i32_e64 s22, 0, v177
	v_bitop3_b32 v62, v62, v171, v63 bitop3:0x80
	v_mad_u32_u24 v63, v173, 36, v114
	v_dual_ashrrev_i32 v175, 31, v175 :: v_dual_bitop2_b32 v172, s19, v172 bitop3:0x14
	s_delay_alu instid0(VALU_DEP_4) | instskip(SKIP_4) | instid1(VALU_DEP_3)
	v_xor_b32_e32 v176, s22, v176
	ds_load_b32 v171, v63 offset:544
	v_mul_u32_u24_e32 v63, 36, v173
	v_xor_b32_e32 v174, s20, v174
	v_xor_b32_e32 v175, s21, v175
	; wave barrier
	v_add_nc_u32_e32 v173, v114, v63
	s_delay_alu instid0(VALU_DEP_3) | instskip(NEXT) | instid1(VALU_DEP_1)
	v_bitop3_b32 v62, v62, v174, v172 bitop3:0x80
	v_bitop3_b32 v62, v62, v176, v175 bitop3:0x80
	s_delay_alu instid0(VALU_DEP_1) | instskip(SKIP_1) | instid1(VALU_DEP_2)
	v_mbcnt_lo_u32_b32 v172, v62, 0
	v_cmp_ne_u32_e64 s17, 0, v62
	v_cmp_eq_u32_e32 vcc_lo, 0, v172
	s_and_b32 s18, s17, vcc_lo
	s_delay_alu instid0(SALU_CYCLE_1)
	s_and_saveexec_b32 s17, s18
	s_cbranch_execz .LBB391_763
; %bb.762:                              ;   in Loop: Header=BB391_722 Depth=2
	s_wait_dscnt 0x0
	v_bcnt_u32_b32 v62, v62, v171
	ds_store_b32 v173, v62 offset:544
.LBB391_763:                            ;   in Loop: Header=BB391_722 Depth=2
	s_or_b32 exec_lo, exec_lo, s17
	v_xor_b32_e32 v62, 0x80, v141
	v_xor_b32_e32 v63, 0x80, v140
	;; [unrolled: 1-line block ×4, first 2 shown]
	s_delay_alu instid0(VALU_DEP_4) | instskip(NEXT) | instid1(VALU_DEP_4)
	v_lshlrev_b16 v62, 8, v62
	v_lshlrev_b16 v63, 8, v63
	; wave barrier
	s_delay_alu instid0(VALU_DEP_2) | instskip(NEXT) | instid1(VALU_DEP_2)
	v_bitop3_b16 v138, v138, v62, 0xff bitop3:0xec
	v_bitop3_b16 v62, v139, v63, 0xff bitop3:0xec
	s_delay_alu instid0(VALU_DEP_2) | instskip(NEXT) | instid1(VALU_DEP_2)
	v_and_b32_e32 v63, 0xffff, v138
	v_lshlrev_b32_e32 v62, 16, v62
	s_delay_alu instid0(VALU_DEP_1) | instskip(NEXT) | instid1(VALU_DEP_1)
	v_or_b32_e32 v139, v63, v62
	v_bfe_u32 v62, v139, 8, 8
	s_delay_alu instid0(VALU_DEP_1) | instskip(NEXT) | instid1(VALU_DEP_1)
	v_lshrrev_b32_e32 v62, s49, v62
	v_bitop3_b32 v63, v62, 1, s58 bitop3:0x80
	v_and_b32_e32 v174, s58, v62
	s_delay_alu instid0(VALU_DEP_2) | instskip(NEXT) | instid1(VALU_DEP_1)
	v_add_co_u32 v62, s17, v63, -1
	v_cndmask_b32_e64 v63, 0, 1, s17
	s_delay_alu instid0(VALU_DEP_3) | instskip(NEXT) | instid1(VALU_DEP_2)
	v_dual_lshlrev_b32 v140, 30, v174 :: v_dual_lshlrev_b32 v141, 29, v174
	v_cmp_ne_u32_e32 vcc_lo, 0, v63
	s_delay_alu instid0(VALU_DEP_2) | instskip(SKIP_1) | instid1(VALU_DEP_4)
	v_cmp_gt_i32_e64 s17, 0, v140
	v_not_b32_e32 v63, v140
	v_not_b32_e32 v140, v141
	v_cmp_gt_i32_e64 s18, 0, v141
	v_bitop3_b32 v62, vcc_lo, exec_lo, v62 bitop3:0x48
	s_delay_alu instid0(VALU_DEP_3) | instskip(SKIP_2) | instid1(VALU_DEP_2)
	v_dual_ashrrev_i32 v63, 31, v63 :: v_dual_ashrrev_i32 v140, 31, v140
	v_dual_lshlrev_b32 v175, 28, v174 :: v_dual_lshlrev_b32 v176, 27, v174
	v_dual_lshlrev_b32 v177, 26, v174 :: v_dual_lshlrev_b32 v178, 25, v174
	v_cmp_gt_i32_e64 s19, 0, v175
	v_not_b32_e32 v141, v175
	s_delay_alu instid0(VALU_DEP_4)
	v_cmp_gt_i32_e64 s20, 0, v176
	v_not_b32_e32 v175, v176
	v_cmp_gt_i32_e64 s21, 0, v177
	v_not_b32_e32 v176, v177
	v_not_b32_e32 v177, v178
	v_xor_b32_e32 v63, s17, v63
	v_dual_ashrrev_i32 v141, 31, v141 :: v_dual_bitop2_b32 v140, s18, v140 bitop3:0x14
	s_delay_alu instid0(VALU_DEP_4) | instskip(NEXT) | instid1(VALU_DEP_4)
	v_dual_ashrrev_i32 v175, 31, v175 :: v_dual_ashrrev_i32 v176, 31, v176
	v_ashrrev_i32_e32 v177, 31, v177
	s_delay_alu instid0(VALU_DEP_3)
	v_bitop3_b32 v62, v62, v140, v63 bitop3:0x80
	v_mad_u32_u24 v63, v174, 36, v114
	v_cmp_gt_i32_e64 s22, 0, v178
	v_xor_b32_e32 v175, s20, v175
	v_xor_b32_e32 v176, s21, v176
	ds_load_b32 v140, v63 offset:544
	v_mul_u32_u24_e32 v63, 36, v174
	v_xor_b32_e32 v141, s19, v141
	v_xor_b32_e32 v177, s22, v177
	; wave barrier
	s_delay_alu instid0(VALU_DEP_3) | instskip(NEXT) | instid1(VALU_DEP_3)
	v_add_nc_u32_e32 v174, v114, v63
	v_bitop3_b32 v62, v62, v175, v141 bitop3:0x80
	s_delay_alu instid0(VALU_DEP_1) | instskip(NEXT) | instid1(VALU_DEP_1)
	v_bitop3_b32 v62, v62, v177, v176 bitop3:0x80
	v_mbcnt_lo_u32_b32 v141, v62, 0
	v_cmp_ne_u32_e64 s17, 0, v62
	s_delay_alu instid0(VALU_DEP_2) | instskip(SKIP_1) | instid1(SALU_CYCLE_1)
	v_cmp_eq_u32_e32 vcc_lo, 0, v141
	s_and_b32 s18, s17, vcc_lo
	s_and_saveexec_b32 s17, s18
	s_cbranch_execz .LBB391_765
; %bb.764:                              ;   in Loop: Header=BB391_722 Depth=2
	s_wait_dscnt 0x0
	v_bcnt_u32_b32 v62, v62, v140
	ds_store_b32 v174, v62 offset:544
.LBB391_765:                            ;   in Loop: Header=BB391_722 Depth=2
	s_or_b32 exec_lo, exec_lo, s17
	v_bfe_u32 v62, v139, 16, 8
	; wave barrier
	s_delay_alu instid0(VALU_DEP_1) | instskip(NEXT) | instid1(VALU_DEP_1)
	v_lshrrev_b32_e32 v62, s49, v62
	v_and_b32_e32 v177, s58, v62
	s_delay_alu instid0(VALU_DEP_1) | instskip(SKIP_1) | instid1(VALU_DEP_1)
	v_lshlrev_b32_e32 v175, 30, v177
	v_bitop3_b32 v63, v62, 1, s58 bitop3:0x80
	v_add_co_u32 v62, s17, v63, -1
	s_delay_alu instid0(VALU_DEP_1) | instskip(NEXT) | instid1(VALU_DEP_4)
	v_cndmask_b32_e64 v63, 0, 1, s17
	v_cmp_gt_i32_e64 s17, 0, v175
	s_delay_alu instid0(VALU_DEP_2) | instskip(SKIP_2) | instid1(VALU_DEP_2)
	v_cmp_ne_u32_e32 vcc_lo, 0, v63
	v_not_b32_e32 v63, v175
	v_bitop3_b32 v62, vcc_lo, exec_lo, v62 bitop3:0x48
	v_dual_ashrrev_i32 v63, 31, v63 :: v_dual_lshlrev_b32 v176, 29, v177
	v_dual_lshlrev_b32 v178, 28, v177 :: v_dual_lshlrev_b32 v179, 27, v177
	s_delay_alu instid0(VALU_DEP_2) | instskip(NEXT) | instid1(VALU_DEP_3)
	v_dual_lshlrev_b32 v180, 26, v177 :: v_dual_bitop2_b32 v63, s17, v63 bitop3:0x14
	v_not_b32_e32 v175, v176
	v_lshlrev_b32_e32 v181, 25, v177
	v_cmp_gt_i32_e64 s18, 0, v176
	v_cmp_gt_i32_e64 s19, 0, v178
	v_not_b32_e32 v176, v178
	v_not_b32_e32 v178, v179
	v_ashrrev_i32_e32 v175, 31, v175
	v_cmp_gt_i32_e64 s20, 0, v179
	v_cmp_gt_i32_e64 s21, 0, v180
	v_not_b32_e32 v179, v180
	v_dual_ashrrev_i32 v176, 31, v176 :: v_dual_ashrrev_i32 v178, 31, v178
	v_not_b32_e32 v180, v181
	v_xor_b32_e32 v175, s18, v175
	s_delay_alu instid0(VALU_DEP_3) | instskip(NEXT) | instid1(VALU_DEP_4)
	v_dual_ashrrev_i32 v179, 31, v179 :: v_dual_bitop2_b32 v176, s19, v176 bitop3:0x14
	v_xor_b32_e32 v178, s20, v178
	v_cmp_gt_i32_e32 vcc_lo, 0, v181
	s_delay_alu instid0(VALU_DEP_4) | instskip(SKIP_3) | instid1(VALU_DEP_4)
	v_bitop3_b32 v62, v62, v175, v63 bitop3:0x80
	v_ashrrev_i32_e32 v63, 31, v180
	v_mad_u32_u24 v175, v177, 36, v114
	v_xor_b32_e32 v179, s21, v179
	v_bitop3_b32 v62, v62, v178, v176 bitop3:0x80
	s_delay_alu instid0(VALU_DEP_4) | instskip(SKIP_3) | instid1(VALU_DEP_2)
	v_xor_b32_e32 v63, vcc_lo, v63
	ds_load_b32 v175, v175 offset:544
	; wave barrier
	v_bitop3_b32 v62, v62, v63, v179 bitop3:0x80
	v_mul_u32_u24_e32 v63, 36, v177
	v_mbcnt_lo_u32_b32 v176, v62, 0
	v_cmp_ne_u32_e64 s17, 0, v62
	s_delay_alu instid0(VALU_DEP_3) | instskip(NEXT) | instid1(VALU_DEP_3)
	v_add_nc_u32_e32 v178, v114, v63
	v_cmp_eq_u32_e32 vcc_lo, 0, v176
	s_and_b32 s18, s17, vcc_lo
	s_delay_alu instid0(SALU_CYCLE_1)
	s_and_saveexec_b32 s17, s18
	s_cbranch_execz .LBB391_767
; %bb.766:                              ;   in Loop: Header=BB391_722 Depth=2
	s_wait_dscnt 0x0
	v_bcnt_u32_b32 v62, v62, v175
	ds_store_b32 v178, v62 offset:544
.LBB391_767:                            ;   in Loop: Header=BB391_722 Depth=2
	s_or_b32 exec_lo, exec_lo, s17
	v_lshrrev_b32_e32 v177, 24, v139
	; wave barrier
	s_delay_alu instid0(VALU_DEP_1) | instskip(NEXT) | instid1(VALU_DEP_1)
	v_lshrrev_b32_e32 v62, s49, v177
	v_bitop3_b32 v63, v62, 1, s58 bitop3:0x80
	v_and_b32_e32 v181, s58, v62
	s_delay_alu instid0(VALU_DEP_2) | instskip(NEXT) | instid1(VALU_DEP_1)
	v_add_co_u32 v62, s17, v63, -1
	v_cndmask_b32_e64 v63, 0, 1, s17
	s_delay_alu instid0(VALU_DEP_3) | instskip(SKIP_1) | instid1(VALU_DEP_3)
	v_dual_lshlrev_b32 v179, 30, v181 :: v_dual_lshlrev_b32 v180, 29, v181
	v_dual_lshlrev_b32 v182, 28, v181 :: v_dual_lshlrev_b32 v183, 27, v181
	v_cmp_ne_u32_e32 vcc_lo, 0, v63
	s_delay_alu instid0(VALU_DEP_3)
	v_cmp_gt_i32_e64 s17, 0, v179
	v_not_b32_e32 v63, v179
	v_not_b32_e32 v179, v180
	v_dual_lshlrev_b32 v184, 26, v181 :: v_dual_lshlrev_b32 v185, 25, v181
	v_cmp_gt_i32_e64 s18, 0, v180
	v_cmp_gt_i32_e64 s19, 0, v182
	v_not_b32_e32 v180, v182
	v_not_b32_e32 v182, v183
	v_ashrrev_i32_e32 v63, 31, v63
	v_ashrrev_i32_e32 v179, 31, v179
	v_cmp_gt_i32_e64 s20, 0, v183
	v_cmp_gt_i32_e64 s21, 0, v184
	v_not_b32_e32 v183, v184
	v_bitop3_b32 v62, vcc_lo, exec_lo, v62 bitop3:0x48
	v_dual_ashrrev_i32 v180, 31, v180 :: v_dual_ashrrev_i32 v182, 31, v182
	v_xor_b32_e32 v63, s17, v63
	v_not_b32_e32 v184, v185
	v_xor_b32_e32 v179, s18, v179
	s_delay_alu instid0(VALU_DEP_4) | instskip(SKIP_2) | instid1(VALU_DEP_4)
	v_dual_ashrrev_i32 v183, 31, v183 :: v_dual_bitop2_b32 v180, s19, v180 bitop3:0x14
	v_xor_b32_e32 v182, s20, v182
	v_cmp_gt_i32_e32 vcc_lo, 0, v185
	v_bitop3_b32 v62, v62, v179, v63 bitop3:0x80
	v_ashrrev_i32_e32 v63, 31, v184
	v_mad_u32_u24 v179, v181, 36, v114
	v_xor_b32_e32 v183, s21, v183
	s_delay_alu instid0(VALU_DEP_4) | instskip(NEXT) | instid1(VALU_DEP_4)
	v_bitop3_b32 v62, v62, v182, v180 bitop3:0x80
	v_xor_b32_e32 v63, vcc_lo, v63
	ds_load_b32 v179, v179 offset:544
	; wave barrier
	v_bitop3_b32 v62, v62, v63, v183 bitop3:0x80
	v_mul_u32_u24_e32 v63, 36, v181
	s_delay_alu instid0(VALU_DEP_2) | instskip(SKIP_1) | instid1(VALU_DEP_3)
	v_mbcnt_lo_u32_b32 v180, v62, 0
	v_cmp_ne_u32_e64 s17, 0, v62
	v_add_nc_u32_e32 v181, v114, v63
	s_delay_alu instid0(VALU_DEP_3) | instskip(SKIP_1) | instid1(SALU_CYCLE_1)
	v_cmp_eq_u32_e32 vcc_lo, 0, v180
	s_and_b32 s18, s17, vcc_lo
	s_and_saveexec_b32 s17, s18
	s_cbranch_execz .LBB391_769
; %bb.768:                              ;   in Loop: Header=BB391_722 Depth=2
	s_wait_dscnt 0x0
	v_bcnt_u32_b32 v62, v62, v179
	ds_store_b32 v181, v62 offset:544
.LBB391_769:                            ;   in Loop: Header=BB391_722 Depth=2
	s_or_b32 exec_lo, exec_lo, s17
	v_bitop3_b16 v62, v64, s43, 0x80 bitop3:0x48
	; wave barrier
	s_delay_alu instid0(VALU_DEP_1) | instskip(NEXT) | instid1(VALU_DEP_1)
	v_and_b32_e32 v62, 0xffff, v62
	v_lshrrev_b32_e32 v62, s49, v62
	s_delay_alu instid0(VALU_DEP_1) | instskip(NEXT) | instid1(VALU_DEP_1)
	v_and_b32_e32 v184, s58, v62
	v_lshlrev_b32_e32 v182, 30, v184
	v_bitop3_b32 v63, v62, 1, s58 bitop3:0x80
	s_delay_alu instid0(VALU_DEP_1) | instskip(NEXT) | instid1(VALU_DEP_1)
	v_add_co_u32 v62, s17, v63, -1
	v_cndmask_b32_e64 v63, 0, 1, s17
	s_delay_alu instid0(VALU_DEP_4) | instskip(NEXT) | instid1(VALU_DEP_2)
	v_cmp_gt_i32_e64 s17, 0, v182
	v_cmp_ne_u32_e32 vcc_lo, 0, v63
	v_not_b32_e32 v63, v182
	v_bitop3_b32 v62, vcc_lo, exec_lo, v62 bitop3:0x48
	s_delay_alu instid0(VALU_DEP_2) | instskip(SKIP_2) | instid1(VALU_DEP_3)
	v_dual_ashrrev_i32 v63, 31, v63 :: v_dual_lshlrev_b32 v183, 29, v184
	v_dual_lshlrev_b32 v185, 28, v184 :: v_dual_lshlrev_b32 v186, 27, v184
	v_lshlrev_b32_e32 v187, 26, v184
	v_not_b32_e32 v182, v183
	v_lshlrev_b32_e32 v188, 25, v184
	v_cmp_gt_i32_e64 s18, 0, v183
	v_cmp_gt_i32_e64 s19, 0, v185
	v_not_b32_e32 v183, v185
	v_not_b32_e32 v185, v186
	v_ashrrev_i32_e32 v182, 31, v182
	v_cmp_gt_i32_e64 s20, 0, v186
	v_cmp_gt_i32_e64 s21, 0, v187
	v_not_b32_e32 v186, v187
	v_not_b32_e32 v187, v188
	v_dual_ashrrev_i32 v183, 31, v183 :: v_dual_ashrrev_i32 v185, 31, v185
	s_delay_alu instid0(VALU_DEP_3) | instskip(NEXT) | instid1(VALU_DEP_3)
	v_dual_ashrrev_i32 v186, 31, v186 :: v_dual_bitop2_b32 v63, s17, v63 bitop3:0x14
	v_dual_ashrrev_i32 v187, 31, v187 :: v_dual_bitop2_b32 v182, s18, v182 bitop3:0x14
	v_cmp_gt_i32_e64 s22, 0, v188
	s_delay_alu instid0(VALU_DEP_4) | instskip(SKIP_1) | instid1(VALU_DEP_4)
	v_xor_b32_e32 v183, s19, v183
	v_xor_b32_e32 v185, s20, v185
	v_bitop3_b32 v62, v62, v182, v63 bitop3:0x80
	v_mad_u32_u24 v63, v184, 36, v114
	v_xor_b32_e32 v187, s22, v187
	s_delay_alu instid0(VALU_DEP_3) | instskip(SKIP_3) | instid1(VALU_DEP_2)
	v_bitop3_b32 v62, v62, v185, v183 bitop3:0x80
	ds_load_b32 v182, v63 offset:544
	v_mul_u32_u24_e32 v63, 36, v184
	v_xor_b32_e32 v186, s21, v186
	; wave barrier
	v_add_nc_u32_e32 v185, v114, v63
	s_delay_alu instid0(VALU_DEP_2) | instskip(NEXT) | instid1(VALU_DEP_1)
	v_bitop3_b32 v62, v62, v187, v186 bitop3:0x80
	v_mbcnt_lo_u32_b32 v183, v62, 0
	v_cmp_ne_u32_e64 s17, 0, v62
	s_delay_alu instid0(VALU_DEP_2) | instskip(SKIP_1) | instid1(SALU_CYCLE_1)
	v_cmp_eq_u32_e32 vcc_lo, 0, v183
	s_and_b32 s18, s17, vcc_lo
	s_and_saveexec_b32 s17, s18
	s_cbranch_execz .LBB391_771
; %bb.770:                              ;   in Loop: Header=BB391_722 Depth=2
	s_wait_dscnt 0x0
	v_bcnt_u32_b32 v62, v62, v182
	ds_store_b32 v185, v62 offset:544
.LBB391_771:                            ;   in Loop: Header=BB391_722 Depth=2
	s_or_b32 exec_lo, exec_lo, s17
	v_xor_b32_e32 v62, 0x80, v136
	v_xor_b32_e32 v63, 0x80, v135
	;; [unrolled: 1-line block ×4, first 2 shown]
	s_delay_alu instid0(VALU_DEP_4) | instskip(NEXT) | instid1(VALU_DEP_4)
	v_lshlrev_b16 v62, 8, v62
	v_lshlrev_b16 v63, 8, v63
	; wave barrier
	s_delay_alu instid0(VALU_DEP_2) | instskip(NEXT) | instid1(VALU_DEP_2)
	v_bitop3_b16 v184, v64, v62, 0xff bitop3:0xec
	v_bitop3_b16 v62, v65, v63, 0xff bitop3:0xec
	s_delay_alu instid0(VALU_DEP_2) | instskip(NEXT) | instid1(VALU_DEP_2)
	v_and_b32_e32 v63, 0xffff, v184
	v_lshlrev_b32_e32 v62, 16, v62
	s_delay_alu instid0(VALU_DEP_1) | instskip(NEXT) | instid1(VALU_DEP_1)
	v_or_b32_e32 v135, v63, v62
	v_bfe_u32 v62, v135, 8, 8
	s_delay_alu instid0(VALU_DEP_1) | instskip(NEXT) | instid1(VALU_DEP_1)
	v_lshrrev_b32_e32 v62, s49, v62
	v_bitop3_b32 v63, v62, 1, s58 bitop3:0x80
	v_and_b32_e32 v64, s58, v62
	s_delay_alu instid0(VALU_DEP_2) | instskip(NEXT) | instid1(VALU_DEP_1)
	v_add_co_u32 v62, s17, v63, -1
	v_cndmask_b32_e64 v63, 0, 1, s17
	s_delay_alu instid0(VALU_DEP_3) | instskip(NEXT) | instid1(VALU_DEP_2)
	v_lshlrev_b32_e32 v65, 30, v64
	v_cmp_ne_u32_e32 vcc_lo, 0, v63
	s_delay_alu instid0(VALU_DEP_2) | instskip(SKIP_2) | instid1(VALU_DEP_3)
	v_not_b32_e32 v63, v65
	v_cmp_gt_i32_e64 s17, 0, v65
	v_bitop3_b32 v62, vcc_lo, exec_lo, v62 bitop3:0x48
	v_dual_ashrrev_i32 v63, 31, v63 :: v_dual_lshlrev_b32 v136, 29, v64
	v_dual_lshlrev_b32 v186, 28, v64 :: v_dual_lshlrev_b32 v187, 27, v64
	v_lshlrev_b32_e32 v188, 26, v64
	s_delay_alu instid0(VALU_DEP_3)
	v_not_b32_e32 v65, v136
	v_lshlrev_b32_e32 v189, 25, v64
	v_cmp_gt_i32_e64 s18, 0, v136
	v_cmp_gt_i32_e64 s19, 0, v186
	v_not_b32_e32 v136, v186
	v_not_b32_e32 v186, v187
	v_ashrrev_i32_e32 v65, 31, v65
	v_cmp_gt_i32_e64 s20, 0, v187
	v_cmp_gt_i32_e64 s21, 0, v188
	v_not_b32_e32 v187, v188
	v_not_b32_e32 v188, v189
	v_dual_ashrrev_i32 v136, 31, v136 :: v_dual_ashrrev_i32 v186, 31, v186
	v_xor_b32_e32 v63, s17, v63
	s_delay_alu instid0(VALU_DEP_4)
	v_dual_ashrrev_i32 v187, 31, v187 :: v_dual_bitop2_b32 v65, s18, v65 bitop3:0x14
	v_cmp_gt_i32_e64 s22, 0, v189
	v_ashrrev_i32_e32 v188, 31, v188
	v_xor_b32_e32 v136, s19, v136
	v_xor_b32_e32 v186, s20, v186
	v_bitop3_b32 v62, v62, v65, v63 bitop3:0x80
	v_mad_u32_u24 v63, v64, 36, v114
	v_xor_b32_e32 v65, s21, v187
	v_xor_b32_e32 v187, s22, v188
	s_delay_alu instid0(VALU_DEP_4) | instskip(SKIP_3) | instid1(VALU_DEP_2)
	v_bitop3_b32 v62, v62, v186, v136 bitop3:0x80
	ds_load_b32 v136, v63 offset:544
	v_mul_u32_u24_e32 v63, 36, v64
	; wave barrier
	v_bitop3_b32 v62, v62, v187, v65 bitop3:0x80
	v_add_nc_u32_e32 v187, v114, v63
	s_delay_alu instid0(VALU_DEP_2) | instskip(SKIP_1) | instid1(VALU_DEP_2)
	v_mbcnt_lo_u32_b32 v186, v62, 0
	v_cmp_ne_u32_e64 s17, 0, v62
	v_cmp_eq_u32_e32 vcc_lo, 0, v186
	s_and_b32 s18, s17, vcc_lo
	s_delay_alu instid0(SALU_CYCLE_1)
	s_and_saveexec_b32 s17, s18
	s_cbranch_execz .LBB391_773
; %bb.772:                              ;   in Loop: Header=BB391_722 Depth=2
	s_wait_dscnt 0x0
	v_bcnt_u32_b32 v62, v62, v136
	ds_store_b32 v187, v62 offset:544
.LBB391_773:                            ;   in Loop: Header=BB391_722 Depth=2
	s_or_b32 exec_lo, exec_lo, s17
	v_bfe_u32 v62, v135, 16, 8
	; wave barrier
	s_delay_alu instid0(VALU_DEP_1) | instskip(NEXT) | instid1(VALU_DEP_1)
	v_lshrrev_b32_e32 v62, s49, v62
	v_and_b32_e32 v64, s58, v62
	s_delay_alu instid0(VALU_DEP_1) | instskip(SKIP_1) | instid1(VALU_DEP_1)
	v_lshlrev_b32_e32 v65, 30, v64
	v_bitop3_b32 v63, v62, 1, s58 bitop3:0x80
	v_add_co_u32 v62, s17, v63, -1
	s_delay_alu instid0(VALU_DEP_1) | instskip(NEXT) | instid1(VALU_DEP_4)
	v_cndmask_b32_e64 v63, 0, 1, s17
	v_cmp_gt_i32_e64 s17, 0, v65
	s_delay_alu instid0(VALU_DEP_2) | instskip(SKIP_2) | instid1(VALU_DEP_2)
	v_cmp_ne_u32_e32 vcc_lo, 0, v63
	v_not_b32_e32 v63, v65
	v_bitop3_b32 v62, vcc_lo, exec_lo, v62 bitop3:0x48
	v_dual_ashrrev_i32 v63, 31, v63 :: v_dual_lshlrev_b32 v188, 29, v64
	v_dual_lshlrev_b32 v189, 28, v64 :: v_dual_lshlrev_b32 v190, 27, v64
	v_lshlrev_b32_e32 v191, 26, v64
	s_delay_alu instid0(VALU_DEP_3)
	v_not_b32_e32 v65, v188
	v_lshlrev_b32_e32 v192, 25, v64
	v_cmp_gt_i32_e64 s18, 0, v188
	v_cmp_gt_i32_e64 s19, 0, v189
	v_not_b32_e32 v188, v189
	v_not_b32_e32 v189, v190
	v_ashrrev_i32_e32 v65, 31, v65
	v_cmp_gt_i32_e64 s20, 0, v190
	v_cmp_gt_i32_e64 s21, 0, v191
	v_not_b32_e32 v190, v191
	v_dual_ashrrev_i32 v188, 31, v188 :: v_dual_ashrrev_i32 v189, 31, v189
	v_xor_b32_e32 v63, s17, v63
	v_not_b32_e32 v191, v192
	s_delay_alu instid0(VALU_DEP_4) | instskip(NEXT) | instid1(VALU_DEP_4)
	v_dual_ashrrev_i32 v190, 31, v190 :: v_dual_bitop2_b32 v65, s18, v65 bitop3:0x14
	v_xor_b32_e32 v188, s19, v188
	v_xor_b32_e32 v189, s20, v189
	v_cmp_gt_i32_e32 vcc_lo, 0, v192
	s_delay_alu instid0(VALU_DEP_4) | instskip(SKIP_3) | instid1(VALU_DEP_4)
	v_bitop3_b32 v62, v62, v65, v63 bitop3:0x80
	v_ashrrev_i32_e32 v63, 31, v191
	v_mad_u32_u24 v65, v64, 36, v114
	v_xor_b32_e32 v190, s21, v190
	v_bitop3_b32 v62, v62, v189, v188 bitop3:0x80
	s_delay_alu instid0(VALU_DEP_4) | instskip(SKIP_3) | instid1(VALU_DEP_2)
	v_xor_b32_e32 v63, vcc_lo, v63
	ds_load_b32 v188, v65 offset:544
	; wave barrier
	v_bitop3_b32 v62, v62, v63, v190 bitop3:0x80
	v_mul_u32_u24_e32 v63, 36, v64
	v_mbcnt_lo_u32_b32 v189, v62, 0
	v_cmp_ne_u32_e64 s17, 0, v62
	s_delay_alu instid0(VALU_DEP_3) | instskip(NEXT) | instid1(VALU_DEP_3)
	v_add_nc_u32_e32 v191, v114, v63
	v_cmp_eq_u32_e32 vcc_lo, 0, v189
	s_and_b32 s18, s17, vcc_lo
	s_delay_alu instid0(SALU_CYCLE_1)
	s_and_saveexec_b32 s17, s18
	s_cbranch_execz .LBB391_775
; %bb.774:                              ;   in Loop: Header=BB391_722 Depth=2
	s_wait_dscnt 0x0
	v_bcnt_u32_b32 v62, v62, v188
	ds_store_b32 v191, v62 offset:544
.LBB391_775:                            ;   in Loop: Header=BB391_722 Depth=2
	s_or_b32 exec_lo, exec_lo, s17
	v_lshrrev_b32_e32 v190, 24, v135
	; wave barrier
	s_delay_alu instid0(VALU_DEP_1) | instskip(NEXT) | instid1(VALU_DEP_1)
	v_lshrrev_b32_e32 v62, s49, v190
	v_and_b32_e32 v64, s58, v62
	s_delay_alu instid0(VALU_DEP_1) | instskip(SKIP_3) | instid1(VALU_DEP_3)
	v_lshlrev_b32_e32 v65, 30, v64
	v_bitop3_b32 v63, v62, 1, s58 bitop3:0x80
	v_dual_lshlrev_b32 v192, 29, v64 :: v_dual_lshlrev_b32 v193, 28, v64
	v_dual_lshlrev_b32 v194, 27, v64 :: v_dual_lshlrev_b32 v195, 26, v64
	v_add_co_u32 v62, s17, v63, -1
	s_delay_alu instid0(VALU_DEP_1)
	v_cndmask_b32_e64 v63, 0, 1, s17
	v_cmp_gt_i32_e64 s17, 0, v65
	v_cmp_gt_i32_e64 s18, 0, v192
	;; [unrolled: 1-line block ×4, first 2 shown]
	v_cmp_ne_u32_e32 vcc_lo, 0, v63
	v_not_b32_e32 v63, v65
	v_not_b32_e32 v65, v192
	v_lshlrev_b32_e32 v196, 25, v64
	v_not_b32_e32 v192, v193
	v_not_b32_e32 v193, v194
	s_delay_alu instid0(VALU_DEP_4)
	v_dual_ashrrev_i32 v63, 31, v63 :: v_dual_ashrrev_i32 v65, 31, v65
	v_cmp_gt_i32_e64 s21, 0, v195
	v_not_b32_e32 v194, v195
	v_bitop3_b32 v62, vcc_lo, exec_lo, v62 bitop3:0x48
	v_dual_ashrrev_i32 v192, 31, v192 :: v_dual_ashrrev_i32 v193, 31, v193
	v_xor_b32_e32 v63, s17, v63
	s_delay_alu instid0(VALU_DEP_4) | instskip(SKIP_1) | instid1(VALU_DEP_4)
	v_dual_ashrrev_i32 v194, 31, v194 :: v_dual_bitop2_b32 v65, s18, v65 bitop3:0x14
	v_not_b32_e32 v195, v196
	v_xor_b32_e32 v192, s19, v192
	v_xor_b32_e32 v193, s20, v193
	s_delay_alu instid0(VALU_DEP_4)
	v_bitop3_b32 v62, v62, v65, v63 bitop3:0x80
	v_cmp_gt_i32_e32 vcc_lo, 0, v196
	v_ashrrev_i32_e32 v63, 31, v195
	v_mad_u32_u24 v65, v64, 36, v114
	v_xor_b32_e32 v194, s21, v194
	v_bitop3_b32 v62, v62, v193, v192 bitop3:0x80
	s_delay_alu instid0(VALU_DEP_4) | instskip(SKIP_3) | instid1(VALU_DEP_2)
	v_xor_b32_e32 v63, vcc_lo, v63
	ds_load_b32 v192, v65 offset:544
	; wave barrier
	v_bitop3_b32 v62, v62, v63, v194 bitop3:0x80
	v_mul_u32_u24_e32 v63, 36, v64
	v_mbcnt_lo_u32_b32 v193, v62, 0
	v_cmp_ne_u32_e64 s17, 0, v62
	s_delay_alu instid0(VALU_DEP_3) | instskip(NEXT) | instid1(VALU_DEP_3)
	v_add_nc_u32_e32 v194, v114, v63
	v_cmp_eq_u32_e32 vcc_lo, 0, v193
	s_and_b32 s18, s17, vcc_lo
	s_delay_alu instid0(SALU_CYCLE_1)
	s_and_saveexec_b32 s17, s18
	s_cbranch_execz .LBB391_777
; %bb.776:                              ;   in Loop: Header=BB391_722 Depth=2
	s_wait_dscnt 0x0
	v_bcnt_u32_b32 v62, v62, v192
	ds_store_b32 v194, v62 offset:544
.LBB391_777:                            ;   in Loop: Header=BB391_722 Depth=2
	s_or_b32 exec_lo, exec_lo, s17
	v_xor_b32_e32 v115, 0xffffff80, v115
	; wave barrier
	s_delay_alu instid0(VALU_DEP_1) | instskip(NEXT) | instid1(VALU_DEP_1)
	v_and_b32_e32 v62, 0xff, v115
	v_lshrrev_b32_e32 v62, s49, v62
	s_delay_alu instid0(VALU_DEP_1) | instskip(NEXT) | instid1(VALU_DEP_1)
	v_and_b32_e32 v64, s58, v62
	v_lshlrev_b32_e32 v65, 30, v64
	v_bitop3_b32 v63, v62, 1, s58 bitop3:0x80
	s_delay_alu instid0(VALU_DEP_1) | instskip(NEXT) | instid1(VALU_DEP_1)
	v_add_co_u32 v62, s17, v63, -1
	v_cndmask_b32_e64 v63, 0, 1, s17
	s_delay_alu instid0(VALU_DEP_4) | instskip(NEXT) | instid1(VALU_DEP_2)
	v_cmp_gt_i32_e64 s17, 0, v65
	v_cmp_ne_u32_e32 vcc_lo, 0, v63
	v_not_b32_e32 v63, v65
	v_bitop3_b32 v62, vcc_lo, exec_lo, v62 bitop3:0x48
	s_delay_alu instid0(VALU_DEP_2) | instskip(SKIP_2) | instid1(VALU_DEP_3)
	v_dual_ashrrev_i32 v63, 31, v63 :: v_dual_lshlrev_b32 v195, 29, v64
	v_dual_lshlrev_b32 v196, 28, v64 :: v_dual_lshlrev_b32 v197, 27, v64
	v_lshlrev_b32_e32 v198, 26, v64
	v_not_b32_e32 v65, v195
	v_lshlrev_b32_e32 v199, 25, v64
	v_cmp_gt_i32_e64 s18, 0, v195
	v_cmp_gt_i32_e64 s19, 0, v196
	v_not_b32_e32 v195, v196
	v_not_b32_e32 v196, v197
	v_ashrrev_i32_e32 v65, 31, v65
	v_cmp_gt_i32_e64 s20, 0, v197
	v_cmp_gt_i32_e64 s21, 0, v198
	v_not_b32_e32 v197, v198
	v_not_b32_e32 v198, v199
	v_dual_ashrrev_i32 v195, 31, v195 :: v_dual_ashrrev_i32 v196, 31, v196
	s_delay_alu instid0(VALU_DEP_3) | instskip(NEXT) | instid1(VALU_DEP_3)
	v_dual_ashrrev_i32 v197, 31, v197 :: v_dual_bitop2_b32 v63, s17, v63 bitop3:0x14
	v_dual_ashrrev_i32 v198, 31, v198 :: v_dual_bitop2_b32 v65, s18, v65 bitop3:0x14
	v_cmp_gt_i32_e64 s22, 0, v199
	s_delay_alu instid0(VALU_DEP_4) | instskip(SKIP_1) | instid1(VALU_DEP_4)
	v_xor_b32_e32 v195, s19, v195
	v_xor_b32_e32 v196, s20, v196
	v_bitop3_b32 v62, v62, v65, v63 bitop3:0x80
	v_mad_u32_u24 v63, v64, 36, v114
	v_xor_b32_e32 v65, s21, v197
	v_xor_b32_e32 v197, s22, v198
	s_delay_alu instid0(VALU_DEP_4) | instskip(SKIP_3) | instid1(VALU_DEP_2)
	v_bitop3_b32 v62, v62, v196, v195 bitop3:0x80
	ds_load_b32 v195, v63 offset:544
	v_mul_u32_u24_e32 v63, 36, v64
	; wave barrier
	v_bitop3_b32 v62, v62, v197, v65 bitop3:0x80
	v_add_nc_u32_e32 v197, v114, v63
	s_delay_alu instid0(VALU_DEP_2) | instskip(SKIP_1) | instid1(VALU_DEP_2)
	v_mbcnt_lo_u32_b32 v196, v62, 0
	v_cmp_ne_u32_e64 s17, 0, v62
	v_cmp_eq_u32_e32 vcc_lo, 0, v196
	s_and_b32 s18, s17, vcc_lo
	s_delay_alu instid0(SALU_CYCLE_1)
	s_and_saveexec_b32 s17, s18
	s_cbranch_execz .LBB391_779
; %bb.778:                              ;   in Loop: Header=BB391_722 Depth=2
	s_wait_dscnt 0x0
	v_bcnt_u32_b32 v62, v62, v195
	ds_store_b32 v197, v62 offset:544
.LBB391_779:                            ;   in Loop: Header=BB391_722 Depth=2
	s_or_b32 exec_lo, exec_lo, s17
	; wave barrier
	s_wait_dscnt 0x0
	s_barrier_signal -1
	s_barrier_wait -1
	ds_load_2addr_b32 v[64:65], v90 offset0:136 offset1:137
	ds_load_2addr_b32 v[62:63], v90 offset0:138 offset1:139
	ds_load_b32 v198, v90 offset:560
	s_wait_dscnt 0x1
	v_add3_u32 v199, v65, v64, v62
	s_wait_dscnt 0x0
	s_delay_alu instid0(VALU_DEP_1) | instskip(NEXT) | instid1(VALU_DEP_1)
	v_add3_u32 v198, v199, v63, v198
	v_mov_b32_dpp v199, v198 row_shr:1 row_mask:0xf bank_mask:0xf
	s_delay_alu instid0(VALU_DEP_1) | instskip(NEXT) | instid1(VALU_DEP_1)
	v_cndmask_b32_e64 v199, v199, 0, s8
	v_add_nc_u32_e32 v198, v199, v198
	s_delay_alu instid0(VALU_DEP_1) | instskip(NEXT) | instid1(VALU_DEP_1)
	v_mov_b32_dpp v199, v198 row_shr:2 row_mask:0xf bank_mask:0xf
	v_cndmask_b32_e64 v199, 0, v199, s9
	s_delay_alu instid0(VALU_DEP_1) | instskip(NEXT) | instid1(VALU_DEP_1)
	v_add_nc_u32_e32 v198, v198, v199
	v_mov_b32_dpp v199, v198 row_shr:4 row_mask:0xf bank_mask:0xf
	s_delay_alu instid0(VALU_DEP_1) | instskip(NEXT) | instid1(VALU_DEP_1)
	v_cndmask_b32_e64 v199, 0, v199, s10
	v_add_nc_u32_e32 v198, v198, v199
	s_delay_alu instid0(VALU_DEP_1) | instskip(NEXT) | instid1(VALU_DEP_1)
	v_mov_b32_dpp v199, v198 row_shr:8 row_mask:0xf bank_mask:0xf
	v_cndmask_b32_e64 v199, 0, v199, s11
	s_delay_alu instid0(VALU_DEP_1) | instskip(SKIP_3) | instid1(VALU_DEP_1)
	v_add_nc_u32_e32 v198, v198, v199
	ds_swizzle_b32 v199, v198 offset:swizzle(BROADCAST,32,15)
	s_wait_dscnt 0x0
	v_cndmask_b32_e64 v199, v199, 0, s12
	v_add_nc_u32_e32 v198, v198, v199
	s_and_saveexec_b32 s17, s2
; %bb.780:                              ;   in Loop: Header=BB391_722 Depth=2
	ds_store_b32 v83, v198 offset:512
; %bb.781:                              ;   in Loop: Header=BB391_722 Depth=2
	s_or_b32 exec_lo, exec_lo, s17
	s_wait_dscnt 0x0
	s_barrier_signal -1
	s_barrier_wait -1
	s_and_saveexec_b32 s17, s3
	s_cbranch_execz .LBB391_783
; %bb.782:                              ;   in Loop: Header=BB391_722 Depth=2
	ds_load_b32 v199, v92 offset:512
	s_wait_dscnt 0x0
	v_mov_b32_dpp v200, v199 row_shr:1 row_mask:0xf bank_mask:0xf
	s_delay_alu instid0(VALU_DEP_1) | instskip(NEXT) | instid1(VALU_DEP_1)
	v_cndmask_b32_e64 v200, v200, 0, s14
	v_add_nc_u32_e32 v199, v200, v199
	s_delay_alu instid0(VALU_DEP_1) | instskip(NEXT) | instid1(VALU_DEP_1)
	v_mov_b32_dpp v200, v199 row_shr:2 row_mask:0xf bank_mask:0xf
	v_cndmask_b32_e64 v200, 0, v200, s15
	s_delay_alu instid0(VALU_DEP_1) | instskip(NEXT) | instid1(VALU_DEP_1)
	v_add_nc_u32_e32 v199, v199, v200
	v_mov_b32_dpp v200, v199 row_shr:4 row_mask:0xf bank_mask:0xf
	s_delay_alu instid0(VALU_DEP_1) | instskip(NEXT) | instid1(VALU_DEP_1)
	v_cndmask_b32_e64 v200, 0, v200, s16
	v_add_nc_u32_e32 v199, v199, v200
	ds_store_b32 v92, v199 offset:512
.LBB391_783:                            ;   in Loop: Header=BB391_722 Depth=2
	s_or_b32 exec_lo, exec_lo, s17
	v_mov_b32_e32 v199, 0
	s_wait_dscnt 0x0
	s_barrier_signal -1
	s_barrier_wait -1
	s_and_saveexec_b32 s17, s5
; %bb.784:                              ;   in Loop: Header=BB391_722 Depth=2
	ds_load_b32 v199, v83 offset:508
; %bb.785:                              ;   in Loop: Header=BB391_722 Depth=2
	s_or_b32 exec_lo, exec_lo, s17
	s_wait_dscnt 0x0
	v_add_nc_u32_e32 v198, v199, v198
	ds_bpermute_b32 v198, v96, v198
	s_wait_dscnt 0x0
	v_cndmask_b32_e64 v198, v198, v199, s13
	s_delay_alu instid0(VALU_DEP_1) | instskip(NEXT) | instid1(VALU_DEP_1)
	v_cndmask_b32_e64 v198, v198, 0, s6
	v_add_nc_u32_e32 v64, v198, v64
	s_delay_alu instid0(VALU_DEP_1) | instskip(NEXT) | instid1(VALU_DEP_1)
	v_add_nc_u32_e32 v65, v64, v65
	v_add_nc_u32_e32 v62, v65, v62
	s_delay_alu instid0(VALU_DEP_1)
	v_add_nc_u32_e32 v63, v62, v63
	ds_store_2addr_b32 v90, v198, v64 offset0:136 offset1:137
	ds_store_2addr_b32 v90, v65, v62 offset0:138 offset1:139
	ds_store_b32 v90, v63 offset:560
	s_wait_dscnt 0x0
	s_barrier_signal -1
	s_barrier_wait -1
	ds_load_b32 v62, v149 offset:544
	ds_load_b32 v63, v152 offset:544
	ds_load_b32 v64, v156 offset:544
	ds_load_b32 v65, v159 offset:544
	ds_load_b32 v149, v162 offset:544
	ds_load_b32 v159, v163 offset:544
	ds_load_b32 v162, v167 offset:544
	ds_load_b32 v163, v170 offset:544
	ds_load_b32 v167, v173 offset:544
	ds_load_b32 v170, v174 offset:544
	ds_load_b32 v173, v178 offset:544
	ds_load_b32 v174, v181 offset:544
	ds_load_b32 v178, v185 offset:544
	ds_load_b32 v181, v187 offset:544
	ds_load_b32 v185, v191 offset:544
	ds_load_b32 v187, v194 offset:544
	ds_load_b32 v191, v197 offset:544
	s_and_saveexec_b32 s17, s0
	s_cbranch_execz .LBB391_789
; %bb.786:                              ;   in Loop: Header=BB391_722 Depth=2
	v_dual_mov_b32 v134, 0x1100 :: v_dual_add_nc_u32 v133, v92, v94
	ds_load_b32 v133, v133 offset:544
	s_and_saveexec_b32 s18, s7
; %bb.787:                              ;   in Loop: Header=BB391_722 Depth=2
	ds_load_b32 v134, v93 offset:544
; %bb.788:                              ;   in Loop: Header=BB391_722 Depth=2
	s_or_b32 exec_lo, exec_lo, s18
	s_wait_dscnt 0x0
	v_sub_nc_u32_e32 v134, v134, v133
.LBB391_789:                            ;   in Loop: Header=BB391_722 Depth=2
	s_or_b32 exec_lo, exec_lo, s17
	v_dual_lshrrev_b32 v202, 8, v148 :: v_dual_lshrrev_b32 v203, 16, v148
	v_dual_lshrrev_b32 v200, 8, v143 :: v_dual_lshrrev_b32 v201, 16, v143
	;; [unrolled: 1-line block ×4, first 2 shown]
	s_wait_dscnt 0x0
	s_barrier_signal -1
	s_barrier_wait -1
	s_and_saveexec_b32 s17, s0
	s_cbranch_execz .LBB391_791
; %bb.790:                              ;   in Loop: Header=BB391_722 Depth=2
	ds_load_b32 v135, v66
	s_wait_dscnt 0x0
	v_sub_nc_u32_e32 v135, v135, v133
	ds_store_b32 v66, v135
.LBB391_791:                            ;   in Loop: Header=BB391_722 Depth=2
	s_or_b32 exec_lo, exec_lo, s17
	v_add_nc_u32_e32 v156, v62, v146
	v_add3_u32 v152, v151, v150, v63
	v_add3_u32 v151, v154, v153, v64
	;; [unrolled: 1-line block ×16, first 2 shown]
	v_cmp_lt_u32_e32 vcc_lo, v2, v137
	ds_store_b8 v156, v147 offset:512
	ds_store_b8 v152, v202 offset:512
	;; [unrolled: 1-line block ×17, first 2 shown]
	s_wait_dscnt 0x0
	s_barrier_signal -1
	s_barrier_wait -1
	s_and_saveexec_b32 s17, vcc_lo
	s_cbranch_execnz .LBB391_864
; %bb.792:                              ;   in Loop: Header=BB391_722 Depth=2
	s_or_b32 exec_lo, exec_lo, s17
	v_cmp_lt_u32_e64 s17, v67, v137
	s_and_saveexec_b32 s18, s17
	s_cbranch_execnz .LBB391_865
.LBB391_793:                            ;   in Loop: Header=BB391_722 Depth=2
	s_or_b32 exec_lo, exec_lo, s18
	v_cmp_lt_u32_e64 s18, v68, v137
	s_and_saveexec_b32 s19, s18
	s_cbranch_execnz .LBB391_866
.LBB391_794:                            ;   in Loop: Header=BB391_722 Depth=2
	s_or_b32 exec_lo, exec_lo, s19
	v_cmp_lt_u32_e64 s19, v69, v137
	s_and_saveexec_b32 s20, s19
	s_cbranch_execnz .LBB391_867
.LBB391_795:                            ;   in Loop: Header=BB391_722 Depth=2
	s_or_b32 exec_lo, exec_lo, s20
	v_cmp_lt_u32_e64 s20, v70, v137
	s_and_saveexec_b32 s21, s20
	s_cbranch_execnz .LBB391_868
.LBB391_796:                            ;   in Loop: Header=BB391_722 Depth=2
	s_or_b32 exec_lo, exec_lo, s21
	v_cmp_lt_u32_e64 s21, v71, v137
	s_and_saveexec_b32 s22, s21
	s_cbranch_execnz .LBB391_869
.LBB391_797:                            ;   in Loop: Header=BB391_722 Depth=2
	s_or_b32 exec_lo, exec_lo, s22
	v_cmp_lt_u32_e64 s22, v72, v137
	s_and_saveexec_b32 s23, s22
	s_cbranch_execnz .LBB391_870
.LBB391_798:                            ;   in Loop: Header=BB391_722 Depth=2
	s_or_b32 exec_lo, exec_lo, s23
	v_cmp_lt_u32_e64 s23, v73, v137
	s_and_saveexec_b32 s24, s23
	s_cbranch_execnz .LBB391_871
.LBB391_799:                            ;   in Loop: Header=BB391_722 Depth=2
	s_or_b32 exec_lo, exec_lo, s24
	v_cmp_lt_u32_e64 s24, v74, v137
	s_and_saveexec_b32 s25, s24
	s_cbranch_execnz .LBB391_872
.LBB391_800:                            ;   in Loop: Header=BB391_722 Depth=2
	s_or_b32 exec_lo, exec_lo, s25
	v_cmp_lt_u32_e64 s25, v75, v137
	s_and_saveexec_b32 s26, s25
	s_cbranch_execnz .LBB391_873
.LBB391_801:                            ;   in Loop: Header=BB391_722 Depth=2
	s_or_b32 exec_lo, exec_lo, s26
	v_cmp_lt_u32_e64 s26, v76, v137
	s_and_saveexec_b32 s27, s26
	s_cbranch_execnz .LBB391_874
.LBB391_802:                            ;   in Loop: Header=BB391_722 Depth=2
	s_or_b32 exec_lo, exec_lo, s27
	v_cmp_lt_u32_e64 s27, v77, v137
	s_and_saveexec_b32 s28, s27
	s_cbranch_execnz .LBB391_875
.LBB391_803:                            ;   in Loop: Header=BB391_722 Depth=2
	s_or_b32 exec_lo, exec_lo, s28
	v_cmp_lt_u32_e64 s28, v78, v137
	s_and_saveexec_b32 s29, s28
	s_cbranch_execnz .LBB391_876
.LBB391_804:                            ;   in Loop: Header=BB391_722 Depth=2
	s_or_b32 exec_lo, exec_lo, s29
	v_cmp_lt_u32_e64 s29, v79, v137
	s_and_saveexec_b32 s30, s29
	s_cbranch_execnz .LBB391_877
.LBB391_805:                            ;   in Loop: Header=BB391_722 Depth=2
	s_or_b32 exec_lo, exec_lo, s30
	v_cmp_lt_u32_e64 s30, v80, v137
	s_and_saveexec_b32 s31, s30
	s_cbranch_execnz .LBB391_878
.LBB391_806:                            ;   in Loop: Header=BB391_722 Depth=2
	s_or_b32 exec_lo, exec_lo, s31
	v_cmp_lt_u32_e64 s31, v81, v137
	s_and_saveexec_b32 s33, s31
	s_cbranch_execnz .LBB391_879
.LBB391_807:                            ;   in Loop: Header=BB391_722 Depth=2
	s_or_b32 exec_lo, exec_lo, s33
	v_cmp_lt_u32_e64 s33, v82, v137
	s_and_saveexec_b32 s61, s33
	s_cbranch_execz .LBB391_809
.LBB391_808:                            ;   in Loop: Header=BB391_722 Depth=2
	ds_load_u8 v62, v2 offset:4608
	s_wait_dscnt 0x0
	v_and_b32_e32 v63, 0xff, v62
	v_xor_b32_e32 v62, 0x80, v62
	s_delay_alu instid0(VALU_DEP_2) | instskip(NEXT) | instid1(VALU_DEP_1)
	v_lshrrev_b32_e32 v63, s49, v63
	v_and_b32_e32 v63, s58, v63
	s_delay_alu instid0(VALU_DEP_1)
	v_lshlrev_b32_e32 v63, 2, v63
	ds_load_b32 v63, v63
	s_wait_dscnt 0x0
	v_add_nc_u32_e32 v63, v63, v82
	global_store_b8 v63, v62, s[38:39]
.LBB391_809:                            ;   in Loop: Header=BB391_722 Depth=2
	s_wait_xcnt 0x0
	s_or_b32 exec_lo, exec_lo, s61
	v_lshl_add_u64 v[62:63], s[34:35], 3, v[26:27]
	v_cmp_lt_u32_e64 s34, v97, v137
	s_and_saveexec_b32 s61, s34
	s_delay_alu instid0(SALU_CYCLE_1)
	s_xor_b32 s34, exec_lo, s61
	s_cbranch_execnz .LBB391_880
; %bb.810:                              ;   in Loop: Header=BB391_722 Depth=2
	s_or_b32 exec_lo, exec_lo, s34
	s_delay_alu instid0(SALU_CYCLE_1)
	s_mov_b32 s61, exec_lo
	v_cmpx_lt_u32_e64 v98, v137
	s_cbranch_execnz .LBB391_881
.LBB391_811:                            ;   in Loop: Header=BB391_722 Depth=2
	s_or_b32 exec_lo, exec_lo, s61
	s_delay_alu instid0(SALU_CYCLE_1)
	s_mov_b32 s61, exec_lo
	v_cmpx_lt_u32_e64 v99, v137
	s_cbranch_execnz .LBB391_882
.LBB391_812:                            ;   in Loop: Header=BB391_722 Depth=2
	s_or_b32 exec_lo, exec_lo, s61
	s_delay_alu instid0(SALU_CYCLE_1)
	s_mov_b32 s61, exec_lo
	v_cmpx_lt_u32_e64 v100, v137
	s_cbranch_execnz .LBB391_883
.LBB391_813:                            ;   in Loop: Header=BB391_722 Depth=2
	s_or_b32 exec_lo, exec_lo, s61
	s_delay_alu instid0(SALU_CYCLE_1)
	s_mov_b32 s61, exec_lo
	v_cmpx_lt_u32_e64 v101, v137
	s_cbranch_execnz .LBB391_884
.LBB391_814:                            ;   in Loop: Header=BB391_722 Depth=2
	s_or_b32 exec_lo, exec_lo, s61
	s_delay_alu instid0(SALU_CYCLE_1)
	s_mov_b32 s61, exec_lo
	v_cmpx_lt_u32_e64 v102, v137
	s_cbranch_execnz .LBB391_885
.LBB391_815:                            ;   in Loop: Header=BB391_722 Depth=2
	s_or_b32 exec_lo, exec_lo, s61
	s_delay_alu instid0(SALU_CYCLE_1)
	s_mov_b32 s61, exec_lo
	v_cmpx_lt_u32_e64 v103, v137
	s_cbranch_execnz .LBB391_886
.LBB391_816:                            ;   in Loop: Header=BB391_722 Depth=2
	s_or_b32 exec_lo, exec_lo, s61
	s_delay_alu instid0(SALU_CYCLE_1)
	s_mov_b32 s61, exec_lo
	v_cmpx_lt_u32_e64 v104, v137
	s_cbranch_execnz .LBB391_887
.LBB391_817:                            ;   in Loop: Header=BB391_722 Depth=2
	s_or_b32 exec_lo, exec_lo, s61
	s_delay_alu instid0(SALU_CYCLE_1)
	s_mov_b32 s61, exec_lo
	v_cmpx_lt_u32_e64 v105, v137
	s_cbranch_execnz .LBB391_888
.LBB391_818:                            ;   in Loop: Header=BB391_722 Depth=2
	s_or_b32 exec_lo, exec_lo, s61
	s_delay_alu instid0(SALU_CYCLE_1)
	s_mov_b32 s61, exec_lo
	v_cmpx_lt_u32_e64 v106, v137
	s_cbranch_execnz .LBB391_889
.LBB391_819:                            ;   in Loop: Header=BB391_722 Depth=2
	s_or_b32 exec_lo, exec_lo, s61
	s_delay_alu instid0(SALU_CYCLE_1)
	s_mov_b32 s61, exec_lo
	v_cmpx_lt_u32_e64 v107, v137
	s_cbranch_execnz .LBB391_890
.LBB391_820:                            ;   in Loop: Header=BB391_722 Depth=2
	s_or_b32 exec_lo, exec_lo, s61
	s_delay_alu instid0(SALU_CYCLE_1)
	s_mov_b32 s61, exec_lo
	v_cmpx_lt_u32_e64 v108, v137
	s_cbranch_execnz .LBB391_891
.LBB391_821:                            ;   in Loop: Header=BB391_722 Depth=2
	s_or_b32 exec_lo, exec_lo, s61
	s_delay_alu instid0(SALU_CYCLE_1)
	s_mov_b32 s61, exec_lo
	v_cmpx_lt_u32_e64 v109, v137
	s_cbranch_execnz .LBB391_892
.LBB391_822:                            ;   in Loop: Header=BB391_722 Depth=2
	s_or_b32 exec_lo, exec_lo, s61
	s_delay_alu instid0(SALU_CYCLE_1)
	s_mov_b32 s61, exec_lo
	v_cmpx_lt_u32_e64 v110, v137
	s_cbranch_execnz .LBB391_893
.LBB391_823:                            ;   in Loop: Header=BB391_722 Depth=2
	s_or_b32 exec_lo, exec_lo, s61
	s_delay_alu instid0(SALU_CYCLE_1)
	s_mov_b32 s61, exec_lo
	v_cmpx_lt_u32_e64 v111, v137
	s_cbranch_execnz .LBB391_894
.LBB391_824:                            ;   in Loop: Header=BB391_722 Depth=2
	s_or_b32 exec_lo, exec_lo, s61
	s_delay_alu instid0(SALU_CYCLE_1)
	s_mov_b32 s61, exec_lo
	v_cmpx_lt_u32_e64 v112, v137
	s_cbranch_execnz .LBB391_895
.LBB391_825:                            ;   in Loop: Header=BB391_722 Depth=2
	s_or_b32 exec_lo, exec_lo, s61
	s_delay_alu instid0(SALU_CYCLE_1)
	s_mov_b32 s61, exec_lo
	v_cmpx_lt_u32_e64 v113, v137
	s_cbranch_execnz .LBB391_896
.LBB391_826:                            ;   in Loop: Header=BB391_722 Depth=2
	s_or_b32 exec_lo, exec_lo, s61
	s_and_saveexec_b32 s34, vcc_lo
	s_cbranch_execnz .LBB391_897
.LBB391_827:                            ;   in Loop: Header=BB391_722 Depth=2
	s_or_b32 exec_lo, exec_lo, s34
	s_and_saveexec_b32 s34, s17
	s_cbranch_execnz .LBB391_898
.LBB391_828:                            ;   in Loop: Header=BB391_722 Depth=2
	s_or_b32 exec_lo, exec_lo, s34
	s_and_saveexec_b32 s34, s18
	s_cbranch_execnz .LBB391_899
.LBB391_829:                            ;   in Loop: Header=BB391_722 Depth=2
	s_or_b32 exec_lo, exec_lo, s34
	s_and_saveexec_b32 s34, s19
	s_cbranch_execnz .LBB391_900
.LBB391_830:                            ;   in Loop: Header=BB391_722 Depth=2
	s_or_b32 exec_lo, exec_lo, s34
	s_and_saveexec_b32 s34, s20
	s_cbranch_execnz .LBB391_901
.LBB391_831:                            ;   in Loop: Header=BB391_722 Depth=2
	s_or_b32 exec_lo, exec_lo, s34
	s_and_saveexec_b32 s34, s21
	s_cbranch_execnz .LBB391_902
.LBB391_832:                            ;   in Loop: Header=BB391_722 Depth=2
	s_or_b32 exec_lo, exec_lo, s34
	s_and_saveexec_b32 s34, s22
	s_cbranch_execnz .LBB391_903
.LBB391_833:                            ;   in Loop: Header=BB391_722 Depth=2
	s_or_b32 exec_lo, exec_lo, s34
	s_and_saveexec_b32 s34, s23
	s_cbranch_execnz .LBB391_904
.LBB391_834:                            ;   in Loop: Header=BB391_722 Depth=2
	s_or_b32 exec_lo, exec_lo, s34
	s_and_saveexec_b32 s34, s24
	s_cbranch_execnz .LBB391_905
.LBB391_835:                            ;   in Loop: Header=BB391_722 Depth=2
	s_or_b32 exec_lo, exec_lo, s34
	s_and_saveexec_b32 s34, s25
	s_cbranch_execnz .LBB391_906
.LBB391_836:                            ;   in Loop: Header=BB391_722 Depth=2
	s_or_b32 exec_lo, exec_lo, s34
	s_and_saveexec_b32 s34, s26
	s_cbranch_execnz .LBB391_907
.LBB391_837:                            ;   in Loop: Header=BB391_722 Depth=2
	s_or_b32 exec_lo, exec_lo, s34
	s_and_saveexec_b32 s34, s27
	s_cbranch_execnz .LBB391_908
.LBB391_838:                            ;   in Loop: Header=BB391_722 Depth=2
	s_or_b32 exec_lo, exec_lo, s34
	s_and_saveexec_b32 s34, s28
	s_cbranch_execnz .LBB391_909
.LBB391_839:                            ;   in Loop: Header=BB391_722 Depth=2
	s_or_b32 exec_lo, exec_lo, s34
	s_and_saveexec_b32 s34, s29
	s_cbranch_execnz .LBB391_910
.LBB391_840:                            ;   in Loop: Header=BB391_722 Depth=2
	s_or_b32 exec_lo, exec_lo, s34
	s_and_saveexec_b32 s34, s30
	s_cbranch_execnz .LBB391_911
.LBB391_841:                            ;   in Loop: Header=BB391_722 Depth=2
	s_or_b32 exec_lo, exec_lo, s34
	s_and_saveexec_b32 s34, s31
	s_cbranch_execnz .LBB391_912
.LBB391_842:                            ;   in Loop: Header=BB391_722 Depth=2
	s_or_b32 exec_lo, exec_lo, s34
	s_and_saveexec_b32 s34, s33
	s_cbranch_execz .LBB391_844
.LBB391_843:                            ;   in Loop: Header=BB391_722 Depth=2
	ds_load_u8 v62, v2 offset:4608
	s_wait_dscnt 0x0
	v_lshrrev_b32_e32 v62, s49, v62
	s_delay_alu instid0(VALU_DEP_1)
	v_and_b32_e32 v116, s58, v62
.LBB391_844:                            ;   in Loop: Header=BB391_722 Depth=2
	s_or_b32 exec_lo, exec_lo, s34
	v_lshlrev_b32_e32 v62, 3, v156
	v_lshlrev_b32_e32 v63, 3, v152
	s_wait_loadcnt 0x0
	s_wait_storecnt 0x0
	s_barrier_signal -1
	s_barrier_wait -1
	ds_store_b64 v62, v[60:61] offset:512
	ds_store_b64 v63, v[58:59] offset:512
	v_dual_lshlrev_b32 v62, 3, v151 :: v_dual_lshlrev_b32 v63, 3, v150
	v_dual_lshlrev_b32 v137, 3, v149 :: v_dual_lshlrev_b32 v138, 3, v148
	v_lshlrev_b32_e32 v142, 3, v146
	ds_store_b64 v62, v[56:57] offset:512
	ds_store_b64 v63, v[54:55] offset:512
	ds_store_b64 v137, v[52:53] offset:512
	ds_store_b64 v138, v[50:51] offset:512
	ds_store_b64 v142, v[48:49] offset:512
	v_dual_lshlrev_b32 v62, 3, v145 :: v_dual_lshlrev_b32 v63, 3, v144
	v_dual_lshlrev_b32 v137, 3, v143 :: v_dual_lshlrev_b32 v138, 3, v141
	v_lshlrev_b32_e32 v140, 3, v140
	ds_store_b64 v62, v[46:47] offset:512
	ds_store_b64 v63, v[44:45] offset:512
	ds_store_b64 v137, v[42:43] offset:512
	ds_store_b64 v138, v[40:41] offset:512
	ds_store_b64 v140, v[38:39] offset:512
	v_dual_lshlrev_b32 v62, 3, v139 :: v_dual_lshlrev_b32 v63, 3, v136
	v_dual_lshlrev_b32 v135, 3, v135 :: v_dual_lshlrev_b32 v65, 3, v65
	v_lshlrev_b32_e32 v64, 3, v64
	ds_store_b64 v62, v[36:37] offset:512
	ds_store_b64 v63, v[34:35] offset:512
	ds_store_b64 v135, v[32:33] offset:512
	ds_store_b64 v65, v[30:31] offset:512
	ds_store_b64 v64, v[28:29] offset:512
	s_wait_dscnt 0x0
	s_barrier_signal -1
	s_barrier_wait -1
	s_and_saveexec_b32 s34, vcc_lo
	s_cbranch_execnz .LBB391_913
; %bb.845:                              ;   in Loop: Header=BB391_722 Depth=2
	s_or_b32 exec_lo, exec_lo, s34
	s_and_saveexec_b32 s34, s17
	s_cbranch_execnz .LBB391_914
.LBB391_846:                            ;   in Loop: Header=BB391_722 Depth=2
	s_or_b32 exec_lo, exec_lo, s34
	s_and_saveexec_b32 s17, s18
	s_cbranch_execnz .LBB391_915
.LBB391_847:                            ;   in Loop: Header=BB391_722 Depth=2
	s_or_b32 exec_lo, exec_lo, s17
	s_and_saveexec_b32 s17, s19
	s_cbranch_execnz .LBB391_916
.LBB391_848:                            ;   in Loop: Header=BB391_722 Depth=2
	s_or_b32 exec_lo, exec_lo, s17
	s_and_saveexec_b32 s17, s20
	s_cbranch_execnz .LBB391_917
.LBB391_849:                            ;   in Loop: Header=BB391_722 Depth=2
	s_or_b32 exec_lo, exec_lo, s17
	s_and_saveexec_b32 s17, s21
	s_cbranch_execnz .LBB391_918
.LBB391_850:                            ;   in Loop: Header=BB391_722 Depth=2
	s_or_b32 exec_lo, exec_lo, s17
	s_and_saveexec_b32 s17, s22
	s_cbranch_execnz .LBB391_919
.LBB391_851:                            ;   in Loop: Header=BB391_722 Depth=2
	s_or_b32 exec_lo, exec_lo, s17
	s_and_saveexec_b32 s17, s23
	s_cbranch_execnz .LBB391_920
.LBB391_852:                            ;   in Loop: Header=BB391_722 Depth=2
	s_or_b32 exec_lo, exec_lo, s17
	s_and_saveexec_b32 s17, s24
	s_cbranch_execnz .LBB391_921
.LBB391_853:                            ;   in Loop: Header=BB391_722 Depth=2
	s_or_b32 exec_lo, exec_lo, s17
	s_and_saveexec_b32 s17, s25
	s_cbranch_execnz .LBB391_922
.LBB391_854:                            ;   in Loop: Header=BB391_722 Depth=2
	s_or_b32 exec_lo, exec_lo, s17
	s_and_saveexec_b32 s17, s26
	s_cbranch_execnz .LBB391_923
.LBB391_855:                            ;   in Loop: Header=BB391_722 Depth=2
	s_or_b32 exec_lo, exec_lo, s17
	s_and_saveexec_b32 s17, s27
	s_cbranch_execnz .LBB391_924
.LBB391_856:                            ;   in Loop: Header=BB391_722 Depth=2
	s_or_b32 exec_lo, exec_lo, s17
	s_and_saveexec_b32 s17, s28
	s_cbranch_execnz .LBB391_925
.LBB391_857:                            ;   in Loop: Header=BB391_722 Depth=2
	s_or_b32 exec_lo, exec_lo, s17
	s_and_saveexec_b32 s17, s29
	s_cbranch_execnz .LBB391_926
.LBB391_858:                            ;   in Loop: Header=BB391_722 Depth=2
	s_or_b32 exec_lo, exec_lo, s17
	s_and_saveexec_b32 s17, s30
	s_cbranch_execnz .LBB391_927
.LBB391_859:                            ;   in Loop: Header=BB391_722 Depth=2
	s_or_b32 exec_lo, exec_lo, s17
	s_and_saveexec_b32 s17, s31
	s_cbranch_execnz .LBB391_928
.LBB391_860:                            ;   in Loop: Header=BB391_722 Depth=2
	s_or_b32 exec_lo, exec_lo, s17
	s_and_saveexec_b32 s17, s33
	s_cbranch_execz .LBB391_862
.LBB391_861:                            ;   in Loop: Header=BB391_722 Depth=2
	v_dual_lshlrev_b32 v62, 2, v116 :: v_dual_add_nc_u32 v63, v2, v95
	ds_load_b32 v64, v62
	ds_load_b64 v[62:63], v63 offset:33280
	s_wait_dscnt 0x1
	v_add_nc_u32_e32 v64, v64, v82
	s_wait_dscnt 0x0
	global_store_b64 v64, v[62:63], s[44:45] scale_offset
.LBB391_862:                            ;   in Loop: Header=BB391_722 Depth=2
	s_wait_xcnt 0x0
	s_or_b32 exec_lo, exec_lo, s17
	s_wait_storecnt 0x0
	s_barrier_signal -1
	s_barrier_wait -1
	s_and_saveexec_b32 s17, s0
	s_cbranch_execz .LBB391_721
; %bb.863:                              ;   in Loop: Header=BB391_722 Depth=2
	ds_load_b32 v62, v66
	s_wait_dscnt 0x0
	v_add3_u32 v62, v133, v134, v62
	ds_store_b32 v66, v62
	s_branch .LBB391_721
.LBB391_864:                            ;   in Loop: Header=BB391_722 Depth=2
	ds_load_u8 v62, v2 offset:512
	s_wait_dscnt 0x0
	v_and_b32_e32 v63, 0xff, v62
	v_xor_b32_e32 v62, 0x80, v62
	s_delay_alu instid0(VALU_DEP_2) | instskip(NEXT) | instid1(VALU_DEP_1)
	v_lshrrev_b32_e32 v63, s49, v63
	v_and_b32_e32 v63, s58, v63
	s_delay_alu instid0(VALU_DEP_1)
	v_lshlrev_b32_e32 v63, 2, v63
	ds_load_b32 v63, v63
	s_wait_dscnt 0x0
	v_add_nc_u32_e32 v63, v63, v2
	global_store_b8 v63, v62, s[38:39]
	s_wait_xcnt 0x0
	s_or_b32 exec_lo, exec_lo, s17
	v_cmp_lt_u32_e64 s17, v67, v137
	s_and_saveexec_b32 s18, s17
	s_cbranch_execz .LBB391_793
.LBB391_865:                            ;   in Loop: Header=BB391_722 Depth=2
	ds_load_u8 v62, v2 offset:768
	s_wait_dscnt 0x0
	v_and_b32_e32 v63, 0xff, v62
	v_xor_b32_e32 v62, 0x80, v62
	s_delay_alu instid0(VALU_DEP_2) | instskip(NEXT) | instid1(VALU_DEP_1)
	v_lshrrev_b32_e32 v63, s49, v63
	v_and_b32_e32 v63, s58, v63
	s_delay_alu instid0(VALU_DEP_1)
	v_lshlrev_b32_e32 v63, 2, v63
	ds_load_b32 v63, v63
	s_wait_dscnt 0x0
	v_add_nc_u32_e32 v63, v63, v67
	global_store_b8 v63, v62, s[38:39]
	s_wait_xcnt 0x0
	s_or_b32 exec_lo, exec_lo, s18
	v_cmp_lt_u32_e64 s18, v68, v137
	s_and_saveexec_b32 s19, s18
	s_cbranch_execz .LBB391_794
.LBB391_866:                            ;   in Loop: Header=BB391_722 Depth=2
	ds_load_u8 v62, v2 offset:1024
	s_wait_dscnt 0x0
	v_and_b32_e32 v63, 0xff, v62
	v_xor_b32_e32 v62, 0x80, v62
	s_delay_alu instid0(VALU_DEP_2) | instskip(NEXT) | instid1(VALU_DEP_1)
	v_lshrrev_b32_e32 v63, s49, v63
	v_and_b32_e32 v63, s58, v63
	s_delay_alu instid0(VALU_DEP_1)
	v_lshlrev_b32_e32 v63, 2, v63
	ds_load_b32 v63, v63
	s_wait_dscnt 0x0
	v_add_nc_u32_e32 v63, v63, v68
	global_store_b8 v63, v62, s[38:39]
	s_wait_xcnt 0x0
	s_or_b32 exec_lo, exec_lo, s19
	v_cmp_lt_u32_e64 s19, v69, v137
	s_and_saveexec_b32 s20, s19
	s_cbranch_execz .LBB391_795
.LBB391_867:                            ;   in Loop: Header=BB391_722 Depth=2
	ds_load_u8 v62, v2 offset:1280
	s_wait_dscnt 0x0
	v_and_b32_e32 v63, 0xff, v62
	v_xor_b32_e32 v62, 0x80, v62
	s_delay_alu instid0(VALU_DEP_2) | instskip(NEXT) | instid1(VALU_DEP_1)
	v_lshrrev_b32_e32 v63, s49, v63
	v_and_b32_e32 v63, s58, v63
	s_delay_alu instid0(VALU_DEP_1)
	v_lshlrev_b32_e32 v63, 2, v63
	ds_load_b32 v63, v63
	s_wait_dscnt 0x0
	v_add_nc_u32_e32 v63, v63, v69
	global_store_b8 v63, v62, s[38:39]
	s_wait_xcnt 0x0
	s_or_b32 exec_lo, exec_lo, s20
	v_cmp_lt_u32_e64 s20, v70, v137
	s_and_saveexec_b32 s21, s20
	s_cbranch_execz .LBB391_796
.LBB391_868:                            ;   in Loop: Header=BB391_722 Depth=2
	ds_load_u8 v62, v2 offset:1536
	s_wait_dscnt 0x0
	v_and_b32_e32 v63, 0xff, v62
	v_xor_b32_e32 v62, 0x80, v62
	s_delay_alu instid0(VALU_DEP_2) | instskip(NEXT) | instid1(VALU_DEP_1)
	v_lshrrev_b32_e32 v63, s49, v63
	v_and_b32_e32 v63, s58, v63
	s_delay_alu instid0(VALU_DEP_1)
	v_lshlrev_b32_e32 v63, 2, v63
	ds_load_b32 v63, v63
	s_wait_dscnt 0x0
	v_add_nc_u32_e32 v63, v63, v70
	global_store_b8 v63, v62, s[38:39]
	s_wait_xcnt 0x0
	s_or_b32 exec_lo, exec_lo, s21
	v_cmp_lt_u32_e64 s21, v71, v137
	s_and_saveexec_b32 s22, s21
	s_cbranch_execz .LBB391_797
.LBB391_869:                            ;   in Loop: Header=BB391_722 Depth=2
	ds_load_u8 v62, v2 offset:1792
	s_wait_dscnt 0x0
	v_and_b32_e32 v63, 0xff, v62
	v_xor_b32_e32 v62, 0x80, v62
	s_delay_alu instid0(VALU_DEP_2) | instskip(NEXT) | instid1(VALU_DEP_1)
	v_lshrrev_b32_e32 v63, s49, v63
	v_and_b32_e32 v63, s58, v63
	s_delay_alu instid0(VALU_DEP_1)
	v_lshlrev_b32_e32 v63, 2, v63
	ds_load_b32 v63, v63
	s_wait_dscnt 0x0
	v_add_nc_u32_e32 v63, v63, v71
	global_store_b8 v63, v62, s[38:39]
	s_wait_xcnt 0x0
	s_or_b32 exec_lo, exec_lo, s22
	v_cmp_lt_u32_e64 s22, v72, v137
	s_and_saveexec_b32 s23, s22
	s_cbranch_execz .LBB391_798
.LBB391_870:                            ;   in Loop: Header=BB391_722 Depth=2
	ds_load_u8 v62, v2 offset:2048
	s_wait_dscnt 0x0
	v_and_b32_e32 v63, 0xff, v62
	v_xor_b32_e32 v62, 0x80, v62
	s_delay_alu instid0(VALU_DEP_2) | instskip(NEXT) | instid1(VALU_DEP_1)
	v_lshrrev_b32_e32 v63, s49, v63
	v_and_b32_e32 v63, s58, v63
	s_delay_alu instid0(VALU_DEP_1)
	v_lshlrev_b32_e32 v63, 2, v63
	ds_load_b32 v63, v63
	s_wait_dscnt 0x0
	v_add_nc_u32_e32 v63, v63, v72
	global_store_b8 v63, v62, s[38:39]
	s_wait_xcnt 0x0
	s_or_b32 exec_lo, exec_lo, s23
	v_cmp_lt_u32_e64 s23, v73, v137
	s_and_saveexec_b32 s24, s23
	s_cbranch_execz .LBB391_799
.LBB391_871:                            ;   in Loop: Header=BB391_722 Depth=2
	ds_load_u8 v62, v2 offset:2304
	s_wait_dscnt 0x0
	v_and_b32_e32 v63, 0xff, v62
	v_xor_b32_e32 v62, 0x80, v62
	s_delay_alu instid0(VALU_DEP_2) | instskip(NEXT) | instid1(VALU_DEP_1)
	v_lshrrev_b32_e32 v63, s49, v63
	v_and_b32_e32 v63, s58, v63
	s_delay_alu instid0(VALU_DEP_1)
	v_lshlrev_b32_e32 v63, 2, v63
	ds_load_b32 v63, v63
	s_wait_dscnt 0x0
	v_add_nc_u32_e32 v63, v63, v73
	global_store_b8 v63, v62, s[38:39]
	s_wait_xcnt 0x0
	s_or_b32 exec_lo, exec_lo, s24
	v_cmp_lt_u32_e64 s24, v74, v137
	s_and_saveexec_b32 s25, s24
	s_cbranch_execz .LBB391_800
.LBB391_872:                            ;   in Loop: Header=BB391_722 Depth=2
	ds_load_u8 v62, v2 offset:2560
	s_wait_dscnt 0x0
	v_and_b32_e32 v63, 0xff, v62
	v_xor_b32_e32 v62, 0x80, v62
	s_delay_alu instid0(VALU_DEP_2) | instskip(NEXT) | instid1(VALU_DEP_1)
	v_lshrrev_b32_e32 v63, s49, v63
	v_and_b32_e32 v63, s58, v63
	s_delay_alu instid0(VALU_DEP_1)
	v_lshlrev_b32_e32 v63, 2, v63
	ds_load_b32 v63, v63
	s_wait_dscnt 0x0
	v_add_nc_u32_e32 v63, v63, v74
	global_store_b8 v63, v62, s[38:39]
	s_wait_xcnt 0x0
	s_or_b32 exec_lo, exec_lo, s25
	v_cmp_lt_u32_e64 s25, v75, v137
	s_and_saveexec_b32 s26, s25
	s_cbranch_execz .LBB391_801
.LBB391_873:                            ;   in Loop: Header=BB391_722 Depth=2
	ds_load_u8 v62, v2 offset:2816
	s_wait_dscnt 0x0
	v_and_b32_e32 v63, 0xff, v62
	v_xor_b32_e32 v62, 0x80, v62
	s_delay_alu instid0(VALU_DEP_2) | instskip(NEXT) | instid1(VALU_DEP_1)
	v_lshrrev_b32_e32 v63, s49, v63
	v_and_b32_e32 v63, s58, v63
	s_delay_alu instid0(VALU_DEP_1)
	v_lshlrev_b32_e32 v63, 2, v63
	ds_load_b32 v63, v63
	s_wait_dscnt 0x0
	v_add_nc_u32_e32 v63, v63, v75
	global_store_b8 v63, v62, s[38:39]
	s_wait_xcnt 0x0
	s_or_b32 exec_lo, exec_lo, s26
	v_cmp_lt_u32_e64 s26, v76, v137
	s_and_saveexec_b32 s27, s26
	s_cbranch_execz .LBB391_802
.LBB391_874:                            ;   in Loop: Header=BB391_722 Depth=2
	ds_load_u8 v62, v2 offset:3072
	s_wait_dscnt 0x0
	v_and_b32_e32 v63, 0xff, v62
	v_xor_b32_e32 v62, 0x80, v62
	s_delay_alu instid0(VALU_DEP_2) | instskip(NEXT) | instid1(VALU_DEP_1)
	v_lshrrev_b32_e32 v63, s49, v63
	v_and_b32_e32 v63, s58, v63
	s_delay_alu instid0(VALU_DEP_1)
	v_lshlrev_b32_e32 v63, 2, v63
	ds_load_b32 v63, v63
	s_wait_dscnt 0x0
	v_add_nc_u32_e32 v63, v63, v76
	global_store_b8 v63, v62, s[38:39]
	s_wait_xcnt 0x0
	s_or_b32 exec_lo, exec_lo, s27
	v_cmp_lt_u32_e64 s27, v77, v137
	s_and_saveexec_b32 s28, s27
	s_cbranch_execz .LBB391_803
.LBB391_875:                            ;   in Loop: Header=BB391_722 Depth=2
	ds_load_u8 v62, v2 offset:3328
	s_wait_dscnt 0x0
	v_and_b32_e32 v63, 0xff, v62
	v_xor_b32_e32 v62, 0x80, v62
	s_delay_alu instid0(VALU_DEP_2) | instskip(NEXT) | instid1(VALU_DEP_1)
	v_lshrrev_b32_e32 v63, s49, v63
	v_and_b32_e32 v63, s58, v63
	s_delay_alu instid0(VALU_DEP_1)
	v_lshlrev_b32_e32 v63, 2, v63
	ds_load_b32 v63, v63
	s_wait_dscnt 0x0
	v_add_nc_u32_e32 v63, v63, v77
	global_store_b8 v63, v62, s[38:39]
	s_wait_xcnt 0x0
	s_or_b32 exec_lo, exec_lo, s28
	v_cmp_lt_u32_e64 s28, v78, v137
	s_and_saveexec_b32 s29, s28
	s_cbranch_execz .LBB391_804
.LBB391_876:                            ;   in Loop: Header=BB391_722 Depth=2
	ds_load_u8 v62, v2 offset:3584
	s_wait_dscnt 0x0
	v_and_b32_e32 v63, 0xff, v62
	v_xor_b32_e32 v62, 0x80, v62
	s_delay_alu instid0(VALU_DEP_2) | instskip(NEXT) | instid1(VALU_DEP_1)
	v_lshrrev_b32_e32 v63, s49, v63
	v_and_b32_e32 v63, s58, v63
	s_delay_alu instid0(VALU_DEP_1)
	v_lshlrev_b32_e32 v63, 2, v63
	ds_load_b32 v63, v63
	s_wait_dscnt 0x0
	v_add_nc_u32_e32 v63, v63, v78
	global_store_b8 v63, v62, s[38:39]
	s_wait_xcnt 0x0
	s_or_b32 exec_lo, exec_lo, s29
	v_cmp_lt_u32_e64 s29, v79, v137
	s_and_saveexec_b32 s30, s29
	s_cbranch_execz .LBB391_805
.LBB391_877:                            ;   in Loop: Header=BB391_722 Depth=2
	ds_load_u8 v62, v2 offset:3840
	s_wait_dscnt 0x0
	v_and_b32_e32 v63, 0xff, v62
	v_xor_b32_e32 v62, 0x80, v62
	s_delay_alu instid0(VALU_DEP_2) | instskip(NEXT) | instid1(VALU_DEP_1)
	v_lshrrev_b32_e32 v63, s49, v63
	v_and_b32_e32 v63, s58, v63
	s_delay_alu instid0(VALU_DEP_1)
	v_lshlrev_b32_e32 v63, 2, v63
	ds_load_b32 v63, v63
	s_wait_dscnt 0x0
	v_add_nc_u32_e32 v63, v63, v79
	global_store_b8 v63, v62, s[38:39]
	s_wait_xcnt 0x0
	s_or_b32 exec_lo, exec_lo, s30
	v_cmp_lt_u32_e64 s30, v80, v137
	s_and_saveexec_b32 s31, s30
	s_cbranch_execz .LBB391_806
.LBB391_878:                            ;   in Loop: Header=BB391_722 Depth=2
	ds_load_u8 v62, v2 offset:4096
	s_wait_dscnt 0x0
	v_and_b32_e32 v63, 0xff, v62
	v_xor_b32_e32 v62, 0x80, v62
	s_delay_alu instid0(VALU_DEP_2) | instskip(NEXT) | instid1(VALU_DEP_1)
	v_lshrrev_b32_e32 v63, s49, v63
	v_and_b32_e32 v63, s58, v63
	s_delay_alu instid0(VALU_DEP_1)
	v_lshlrev_b32_e32 v63, 2, v63
	ds_load_b32 v63, v63
	s_wait_dscnt 0x0
	v_add_nc_u32_e32 v63, v63, v80
	global_store_b8 v63, v62, s[38:39]
	s_wait_xcnt 0x0
	s_or_b32 exec_lo, exec_lo, s31
	v_cmp_lt_u32_e64 s31, v81, v137
	s_and_saveexec_b32 s33, s31
	s_cbranch_execz .LBB391_807
.LBB391_879:                            ;   in Loop: Header=BB391_722 Depth=2
	ds_load_u8 v62, v2 offset:4352
	s_wait_dscnt 0x0
	v_and_b32_e32 v63, 0xff, v62
	v_xor_b32_e32 v62, 0x80, v62
	s_delay_alu instid0(VALU_DEP_2) | instskip(NEXT) | instid1(VALU_DEP_1)
	v_lshrrev_b32_e32 v63, s49, v63
	v_and_b32_e32 v63, s58, v63
	s_delay_alu instid0(VALU_DEP_1)
	v_lshlrev_b32_e32 v63, 2, v63
	ds_load_b32 v63, v63
	s_wait_dscnt 0x0
	v_add_nc_u32_e32 v63, v63, v81
	global_store_b8 v63, v62, s[38:39]
	s_wait_xcnt 0x0
	s_or_b32 exec_lo, exec_lo, s33
	v_cmp_lt_u32_e64 s33, v82, v137
	s_and_saveexec_b32 s61, s33
	s_cbranch_execnz .LBB391_808
	s_branch .LBB391_809
.LBB391_880:                            ;   in Loop: Header=BB391_722 Depth=2
	global_load_b64 v[60:61], v[62:63], off
	s_wait_xcnt 0x0
	s_or_b32 exec_lo, exec_lo, s34
	s_delay_alu instid0(SALU_CYCLE_1)
	s_mov_b32 s61, exec_lo
	v_cmpx_lt_u32_e64 v98, v137
	s_cbranch_execz .LBB391_811
.LBB391_881:                            ;   in Loop: Header=BB391_722 Depth=2
	global_load_b64 v[58:59], v[62:63], off offset:256
	s_wait_xcnt 0x0
	s_or_b32 exec_lo, exec_lo, s61
	s_delay_alu instid0(SALU_CYCLE_1)
	s_mov_b32 s61, exec_lo
	v_cmpx_lt_u32_e64 v99, v137
	s_cbranch_execz .LBB391_812
.LBB391_882:                            ;   in Loop: Header=BB391_722 Depth=2
	global_load_b64 v[56:57], v[62:63], off offset:512
	s_wait_xcnt 0x0
	s_or_b32 exec_lo, exec_lo, s61
	s_delay_alu instid0(SALU_CYCLE_1)
	s_mov_b32 s61, exec_lo
	v_cmpx_lt_u32_e64 v100, v137
	s_cbranch_execz .LBB391_813
.LBB391_883:                            ;   in Loop: Header=BB391_722 Depth=2
	global_load_b64 v[54:55], v[62:63], off offset:768
	s_wait_xcnt 0x0
	s_or_b32 exec_lo, exec_lo, s61
	s_delay_alu instid0(SALU_CYCLE_1)
	s_mov_b32 s61, exec_lo
	v_cmpx_lt_u32_e64 v101, v137
	s_cbranch_execz .LBB391_814
.LBB391_884:                            ;   in Loop: Header=BB391_722 Depth=2
	global_load_b64 v[52:53], v[62:63], off offset:1024
	s_wait_xcnt 0x0
	s_or_b32 exec_lo, exec_lo, s61
	s_delay_alu instid0(SALU_CYCLE_1)
	s_mov_b32 s61, exec_lo
	v_cmpx_lt_u32_e64 v102, v137
	s_cbranch_execz .LBB391_815
.LBB391_885:                            ;   in Loop: Header=BB391_722 Depth=2
	global_load_b64 v[50:51], v[62:63], off offset:1280
	s_wait_xcnt 0x0
	s_or_b32 exec_lo, exec_lo, s61
	s_delay_alu instid0(SALU_CYCLE_1)
	s_mov_b32 s61, exec_lo
	v_cmpx_lt_u32_e64 v103, v137
	s_cbranch_execz .LBB391_816
.LBB391_886:                            ;   in Loop: Header=BB391_722 Depth=2
	global_load_b64 v[48:49], v[62:63], off offset:1536
	s_wait_xcnt 0x0
	s_or_b32 exec_lo, exec_lo, s61
	s_delay_alu instid0(SALU_CYCLE_1)
	s_mov_b32 s61, exec_lo
	v_cmpx_lt_u32_e64 v104, v137
	s_cbranch_execz .LBB391_817
.LBB391_887:                            ;   in Loop: Header=BB391_722 Depth=2
	global_load_b64 v[46:47], v[62:63], off offset:1792
	s_wait_xcnt 0x0
	s_or_b32 exec_lo, exec_lo, s61
	s_delay_alu instid0(SALU_CYCLE_1)
	s_mov_b32 s61, exec_lo
	v_cmpx_lt_u32_e64 v105, v137
	s_cbranch_execz .LBB391_818
.LBB391_888:                            ;   in Loop: Header=BB391_722 Depth=2
	global_load_b64 v[44:45], v[62:63], off offset:2048
	s_wait_xcnt 0x0
	s_or_b32 exec_lo, exec_lo, s61
	s_delay_alu instid0(SALU_CYCLE_1)
	s_mov_b32 s61, exec_lo
	v_cmpx_lt_u32_e64 v106, v137
	s_cbranch_execz .LBB391_819
.LBB391_889:                            ;   in Loop: Header=BB391_722 Depth=2
	global_load_b64 v[42:43], v[62:63], off offset:2304
	s_wait_xcnt 0x0
	s_or_b32 exec_lo, exec_lo, s61
	s_delay_alu instid0(SALU_CYCLE_1)
	s_mov_b32 s61, exec_lo
	v_cmpx_lt_u32_e64 v107, v137
	s_cbranch_execz .LBB391_820
.LBB391_890:                            ;   in Loop: Header=BB391_722 Depth=2
	global_load_b64 v[40:41], v[62:63], off offset:2560
	s_wait_xcnt 0x0
	s_or_b32 exec_lo, exec_lo, s61
	s_delay_alu instid0(SALU_CYCLE_1)
	s_mov_b32 s61, exec_lo
	v_cmpx_lt_u32_e64 v108, v137
	s_cbranch_execz .LBB391_821
.LBB391_891:                            ;   in Loop: Header=BB391_722 Depth=2
	global_load_b64 v[38:39], v[62:63], off offset:2816
	s_wait_xcnt 0x0
	s_or_b32 exec_lo, exec_lo, s61
	s_delay_alu instid0(SALU_CYCLE_1)
	s_mov_b32 s61, exec_lo
	v_cmpx_lt_u32_e64 v109, v137
	s_cbranch_execz .LBB391_822
.LBB391_892:                            ;   in Loop: Header=BB391_722 Depth=2
	global_load_b64 v[36:37], v[62:63], off offset:3072
	s_wait_xcnt 0x0
	s_or_b32 exec_lo, exec_lo, s61
	s_delay_alu instid0(SALU_CYCLE_1)
	s_mov_b32 s61, exec_lo
	v_cmpx_lt_u32_e64 v110, v137
	s_cbranch_execz .LBB391_823
.LBB391_893:                            ;   in Loop: Header=BB391_722 Depth=2
	global_load_b64 v[34:35], v[62:63], off offset:3328
	s_wait_xcnt 0x0
	s_or_b32 exec_lo, exec_lo, s61
	s_delay_alu instid0(SALU_CYCLE_1)
	s_mov_b32 s61, exec_lo
	v_cmpx_lt_u32_e64 v111, v137
	s_cbranch_execz .LBB391_824
.LBB391_894:                            ;   in Loop: Header=BB391_722 Depth=2
	global_load_b64 v[32:33], v[62:63], off offset:3584
	s_wait_xcnt 0x0
	s_or_b32 exec_lo, exec_lo, s61
	s_delay_alu instid0(SALU_CYCLE_1)
	s_mov_b32 s61, exec_lo
	v_cmpx_lt_u32_e64 v112, v137
	s_cbranch_execz .LBB391_825
.LBB391_895:                            ;   in Loop: Header=BB391_722 Depth=2
	global_load_b64 v[30:31], v[62:63], off offset:3840
	s_wait_xcnt 0x0
	s_or_b32 exec_lo, exec_lo, s61
	s_delay_alu instid0(SALU_CYCLE_1)
	s_mov_b32 s61, exec_lo
	v_cmpx_lt_u32_e64 v113, v137
	s_cbranch_execz .LBB391_826
.LBB391_896:                            ;   in Loop: Header=BB391_722 Depth=2
	global_load_b64 v[28:29], v[62:63], off offset:4096
	s_wait_xcnt 0x0
	s_or_b32 exec_lo, exec_lo, s61
	s_and_saveexec_b32 s34, vcc_lo
	s_cbranch_execz .LBB391_827
.LBB391_897:                            ;   in Loop: Header=BB391_722 Depth=2
	ds_load_u8 v62, v2 offset:512
	s_wait_dscnt 0x0
	v_lshrrev_b32_e32 v62, s49, v62
	s_delay_alu instid0(VALU_DEP_1)
	v_and_b32_e32 v132, s58, v62
	s_or_b32 exec_lo, exec_lo, s34
	s_and_saveexec_b32 s34, s17
	s_cbranch_execz .LBB391_828
.LBB391_898:                            ;   in Loop: Header=BB391_722 Depth=2
	ds_load_u8 v62, v2 offset:768
	s_wait_dscnt 0x0
	v_lshrrev_b32_e32 v62, s49, v62
	s_delay_alu instid0(VALU_DEP_1)
	v_and_b32_e32 v131, s58, v62
	s_or_b32 exec_lo, exec_lo, s34
	s_and_saveexec_b32 s34, s18
	s_cbranch_execz .LBB391_829
.LBB391_899:                            ;   in Loop: Header=BB391_722 Depth=2
	ds_load_u8 v62, v2 offset:1024
	s_wait_dscnt 0x0
	v_lshrrev_b32_e32 v62, s49, v62
	s_delay_alu instid0(VALU_DEP_1)
	v_and_b32_e32 v130, s58, v62
	s_or_b32 exec_lo, exec_lo, s34
	s_and_saveexec_b32 s34, s19
	s_cbranch_execz .LBB391_830
.LBB391_900:                            ;   in Loop: Header=BB391_722 Depth=2
	ds_load_u8 v62, v2 offset:1280
	s_wait_dscnt 0x0
	v_lshrrev_b32_e32 v62, s49, v62
	s_delay_alu instid0(VALU_DEP_1)
	v_and_b32_e32 v129, s58, v62
	s_or_b32 exec_lo, exec_lo, s34
	s_and_saveexec_b32 s34, s20
	s_cbranch_execz .LBB391_831
.LBB391_901:                            ;   in Loop: Header=BB391_722 Depth=2
	ds_load_u8 v62, v2 offset:1536
	s_wait_dscnt 0x0
	v_lshrrev_b32_e32 v62, s49, v62
	s_delay_alu instid0(VALU_DEP_1)
	v_and_b32_e32 v128, s58, v62
	s_or_b32 exec_lo, exec_lo, s34
	s_and_saveexec_b32 s34, s21
	s_cbranch_execz .LBB391_832
.LBB391_902:                            ;   in Loop: Header=BB391_722 Depth=2
	ds_load_u8 v62, v2 offset:1792
	s_wait_dscnt 0x0
	v_lshrrev_b32_e32 v62, s49, v62
	s_delay_alu instid0(VALU_DEP_1)
	v_and_b32_e32 v127, s58, v62
	s_or_b32 exec_lo, exec_lo, s34
	s_and_saveexec_b32 s34, s22
	s_cbranch_execz .LBB391_833
.LBB391_903:                            ;   in Loop: Header=BB391_722 Depth=2
	ds_load_u8 v62, v2 offset:2048
	s_wait_dscnt 0x0
	v_lshrrev_b32_e32 v62, s49, v62
	s_delay_alu instid0(VALU_DEP_1)
	v_and_b32_e32 v126, s58, v62
	s_or_b32 exec_lo, exec_lo, s34
	s_and_saveexec_b32 s34, s23
	s_cbranch_execz .LBB391_834
.LBB391_904:                            ;   in Loop: Header=BB391_722 Depth=2
	ds_load_u8 v62, v2 offset:2304
	s_wait_dscnt 0x0
	v_lshrrev_b32_e32 v62, s49, v62
	s_delay_alu instid0(VALU_DEP_1)
	v_and_b32_e32 v125, s58, v62
	s_or_b32 exec_lo, exec_lo, s34
	s_and_saveexec_b32 s34, s24
	s_cbranch_execz .LBB391_835
.LBB391_905:                            ;   in Loop: Header=BB391_722 Depth=2
	ds_load_u8 v62, v2 offset:2560
	s_wait_dscnt 0x0
	v_lshrrev_b32_e32 v62, s49, v62
	s_delay_alu instid0(VALU_DEP_1)
	v_and_b32_e32 v124, s58, v62
	s_or_b32 exec_lo, exec_lo, s34
	s_and_saveexec_b32 s34, s25
	s_cbranch_execz .LBB391_836
.LBB391_906:                            ;   in Loop: Header=BB391_722 Depth=2
	ds_load_u8 v62, v2 offset:2816
	s_wait_dscnt 0x0
	v_lshrrev_b32_e32 v62, s49, v62
	s_delay_alu instid0(VALU_DEP_1)
	v_and_b32_e32 v123, s58, v62
	s_or_b32 exec_lo, exec_lo, s34
	s_and_saveexec_b32 s34, s26
	s_cbranch_execz .LBB391_837
.LBB391_907:                            ;   in Loop: Header=BB391_722 Depth=2
	ds_load_u8 v62, v2 offset:3072
	s_wait_dscnt 0x0
	v_lshrrev_b32_e32 v62, s49, v62
	s_delay_alu instid0(VALU_DEP_1)
	v_and_b32_e32 v122, s58, v62
	s_or_b32 exec_lo, exec_lo, s34
	s_and_saveexec_b32 s34, s27
	s_cbranch_execz .LBB391_838
.LBB391_908:                            ;   in Loop: Header=BB391_722 Depth=2
	ds_load_u8 v62, v2 offset:3328
	s_wait_dscnt 0x0
	v_lshrrev_b32_e32 v62, s49, v62
	s_delay_alu instid0(VALU_DEP_1)
	v_and_b32_e32 v121, s58, v62
	s_or_b32 exec_lo, exec_lo, s34
	s_and_saveexec_b32 s34, s28
	s_cbranch_execz .LBB391_839
.LBB391_909:                            ;   in Loop: Header=BB391_722 Depth=2
	ds_load_u8 v62, v2 offset:3584
	s_wait_dscnt 0x0
	v_lshrrev_b32_e32 v62, s49, v62
	s_delay_alu instid0(VALU_DEP_1)
	v_and_b32_e32 v120, s58, v62
	s_or_b32 exec_lo, exec_lo, s34
	s_and_saveexec_b32 s34, s29
	s_cbranch_execz .LBB391_840
.LBB391_910:                            ;   in Loop: Header=BB391_722 Depth=2
	ds_load_u8 v62, v2 offset:3840
	s_wait_dscnt 0x0
	v_lshrrev_b32_e32 v62, s49, v62
	s_delay_alu instid0(VALU_DEP_1)
	v_and_b32_e32 v119, s58, v62
	s_or_b32 exec_lo, exec_lo, s34
	s_and_saveexec_b32 s34, s30
	s_cbranch_execz .LBB391_841
.LBB391_911:                            ;   in Loop: Header=BB391_722 Depth=2
	ds_load_u8 v62, v2 offset:4096
	s_wait_dscnt 0x0
	v_lshrrev_b32_e32 v62, s49, v62
	s_delay_alu instid0(VALU_DEP_1)
	v_and_b32_e32 v118, s58, v62
	s_or_b32 exec_lo, exec_lo, s34
	s_and_saveexec_b32 s34, s31
	s_cbranch_execz .LBB391_842
.LBB391_912:                            ;   in Loop: Header=BB391_722 Depth=2
	ds_load_u8 v62, v2 offset:4352
	s_wait_dscnt 0x0
	v_lshrrev_b32_e32 v62, s49, v62
	s_delay_alu instid0(VALU_DEP_1)
	v_and_b32_e32 v117, s58, v62
	s_or_b32 exec_lo, exec_lo, s34
	s_and_saveexec_b32 s34, s33
	s_cbranch_execnz .LBB391_843
	s_branch .LBB391_844
.LBB391_913:                            ;   in Loop: Header=BB391_722 Depth=2
	v_dual_lshlrev_b32 v62, 2, v132 :: v_dual_add_nc_u32 v63, v2, v95
	ds_load_b32 v64, v62
	ds_load_b64 v[62:63], v63 offset:512
	s_wait_dscnt 0x1
	v_add_nc_u32_e32 v64, v64, v2
	s_wait_dscnt 0x0
	global_store_b64 v64, v[62:63], s[44:45] scale_offset
	s_wait_xcnt 0x0
	s_or_b32 exec_lo, exec_lo, s34
	s_and_saveexec_b32 s34, s17
	s_cbranch_execz .LBB391_846
.LBB391_914:                            ;   in Loop: Header=BB391_722 Depth=2
	v_lshlrev_b32_e32 v62, 2, v131
	v_add_nc_u32_e32 v63, v2, v95
	ds_load_b32 v64, v62
	ds_load_b64 v[62:63], v63 offset:2560
	s_wait_dscnt 0x1
	v_add_nc_u32_e32 v64, v64, v67
	s_wait_dscnt 0x0
	global_store_b64 v64, v[62:63], s[44:45] scale_offset
	s_wait_xcnt 0x0
	s_or_b32 exec_lo, exec_lo, s34
	s_and_saveexec_b32 s17, s18
	s_cbranch_execz .LBB391_847
.LBB391_915:                            ;   in Loop: Header=BB391_722 Depth=2
	v_dual_lshlrev_b32 v62, 2, v130 :: v_dual_add_nc_u32 v63, v2, v95
	ds_load_b32 v64, v62
	ds_load_b64 v[62:63], v63 offset:4608
	s_wait_dscnt 0x1
	v_add_nc_u32_e32 v64, v64, v68
	s_wait_dscnt 0x0
	global_store_b64 v64, v[62:63], s[44:45] scale_offset
	s_wait_xcnt 0x0
	s_or_b32 exec_lo, exec_lo, s17
	s_and_saveexec_b32 s17, s19
	s_cbranch_execz .LBB391_848
.LBB391_916:                            ;   in Loop: Header=BB391_722 Depth=2
	v_dual_lshlrev_b32 v62, 2, v129 :: v_dual_add_nc_u32 v63, v2, v95
	ds_load_b32 v64, v62
	ds_load_b64 v[62:63], v63 offset:6656
	s_wait_dscnt 0x1
	v_add_nc_u32_e32 v64, v64, v69
	s_wait_dscnt 0x0
	global_store_b64 v64, v[62:63], s[44:45] scale_offset
	s_wait_xcnt 0x0
	s_or_b32 exec_lo, exec_lo, s17
	s_and_saveexec_b32 s17, s20
	s_cbranch_execz .LBB391_849
.LBB391_917:                            ;   in Loop: Header=BB391_722 Depth=2
	v_dual_lshlrev_b32 v62, 2, v128 :: v_dual_add_nc_u32 v63, v2, v95
	ds_load_b32 v64, v62
	ds_load_b64 v[62:63], v63 offset:8704
	s_wait_dscnt 0x1
	v_add_nc_u32_e32 v64, v64, v70
	s_wait_dscnt 0x0
	global_store_b64 v64, v[62:63], s[44:45] scale_offset
	s_wait_xcnt 0x0
	s_or_b32 exec_lo, exec_lo, s17
	s_and_saveexec_b32 s17, s21
	s_cbranch_execz .LBB391_850
.LBB391_918:                            ;   in Loop: Header=BB391_722 Depth=2
	v_lshlrev_b32_e32 v62, 2, v127
	v_add_nc_u32_e32 v63, v2, v95
	ds_load_b32 v64, v62
	ds_load_b64 v[62:63], v63 offset:10752
	s_wait_dscnt 0x1
	v_add_nc_u32_e32 v64, v64, v71
	s_wait_dscnt 0x0
	global_store_b64 v64, v[62:63], s[44:45] scale_offset
	s_wait_xcnt 0x0
	s_or_b32 exec_lo, exec_lo, s17
	s_and_saveexec_b32 s17, s22
	s_cbranch_execz .LBB391_851
.LBB391_919:                            ;   in Loop: Header=BB391_722 Depth=2
	v_dual_lshlrev_b32 v62, 2, v126 :: v_dual_add_nc_u32 v63, v2, v95
	ds_load_b32 v64, v62
	ds_load_b64 v[62:63], v63 offset:12800
	s_wait_dscnt 0x1
	v_add_nc_u32_e32 v64, v64, v72
	s_wait_dscnt 0x0
	global_store_b64 v64, v[62:63], s[44:45] scale_offset
	s_wait_xcnt 0x0
	s_or_b32 exec_lo, exec_lo, s17
	s_and_saveexec_b32 s17, s23
	s_cbranch_execz .LBB391_852
.LBB391_920:                            ;   in Loop: Header=BB391_722 Depth=2
	v_dual_lshlrev_b32 v62, 2, v125 :: v_dual_add_nc_u32 v63, v2, v95
	ds_load_b32 v64, v62
	ds_load_b64 v[62:63], v63 offset:14848
	s_wait_dscnt 0x1
	v_add_nc_u32_e32 v64, v64, v73
	s_wait_dscnt 0x0
	global_store_b64 v64, v[62:63], s[44:45] scale_offset
	s_wait_xcnt 0x0
	s_or_b32 exec_lo, exec_lo, s17
	s_and_saveexec_b32 s17, s24
	s_cbranch_execz .LBB391_853
.LBB391_921:                            ;   in Loop: Header=BB391_722 Depth=2
	v_dual_lshlrev_b32 v62, 2, v124 :: v_dual_add_nc_u32 v63, v2, v95
	ds_load_b32 v64, v62
	ds_load_b64 v[62:63], v63 offset:16896
	s_wait_dscnt 0x1
	v_add_nc_u32_e32 v64, v64, v74
	s_wait_dscnt 0x0
	global_store_b64 v64, v[62:63], s[44:45] scale_offset
	s_wait_xcnt 0x0
	s_or_b32 exec_lo, exec_lo, s17
	s_and_saveexec_b32 s17, s25
	s_cbranch_execz .LBB391_854
.LBB391_922:                            ;   in Loop: Header=BB391_722 Depth=2
	v_lshlrev_b32_e32 v62, 2, v123
	v_add_nc_u32_e32 v63, v2, v95
	ds_load_b32 v64, v62
	ds_load_b64 v[62:63], v63 offset:18944
	s_wait_dscnt 0x1
	v_add_nc_u32_e32 v64, v64, v75
	s_wait_dscnt 0x0
	global_store_b64 v64, v[62:63], s[44:45] scale_offset
	s_wait_xcnt 0x0
	s_or_b32 exec_lo, exec_lo, s17
	s_and_saveexec_b32 s17, s26
	s_cbranch_execz .LBB391_855
.LBB391_923:                            ;   in Loop: Header=BB391_722 Depth=2
	v_dual_lshlrev_b32 v62, 2, v122 :: v_dual_add_nc_u32 v63, v2, v95
	ds_load_b32 v64, v62
	ds_load_b64 v[62:63], v63 offset:20992
	s_wait_dscnt 0x1
	v_add_nc_u32_e32 v64, v64, v76
	s_wait_dscnt 0x0
	global_store_b64 v64, v[62:63], s[44:45] scale_offset
	s_wait_xcnt 0x0
	s_or_b32 exec_lo, exec_lo, s17
	s_and_saveexec_b32 s17, s27
	s_cbranch_execz .LBB391_856
.LBB391_924:                            ;   in Loop: Header=BB391_722 Depth=2
	v_dual_lshlrev_b32 v62, 2, v121 :: v_dual_add_nc_u32 v63, v2, v95
	ds_load_b32 v64, v62
	ds_load_b64 v[62:63], v63 offset:23040
	s_wait_dscnt 0x1
	v_add_nc_u32_e32 v64, v64, v77
	s_wait_dscnt 0x0
	global_store_b64 v64, v[62:63], s[44:45] scale_offset
	s_wait_xcnt 0x0
	s_or_b32 exec_lo, exec_lo, s17
	s_and_saveexec_b32 s17, s28
	s_cbranch_execz .LBB391_857
.LBB391_925:                            ;   in Loop: Header=BB391_722 Depth=2
	v_dual_lshlrev_b32 v62, 2, v120 :: v_dual_add_nc_u32 v63, v2, v95
	ds_load_b32 v64, v62
	ds_load_b64 v[62:63], v63 offset:25088
	s_wait_dscnt 0x1
	v_add_nc_u32_e32 v64, v64, v78
	s_wait_dscnt 0x0
	global_store_b64 v64, v[62:63], s[44:45] scale_offset
	s_wait_xcnt 0x0
	s_or_b32 exec_lo, exec_lo, s17
	s_and_saveexec_b32 s17, s29
	s_cbranch_execz .LBB391_858
.LBB391_926:                            ;   in Loop: Header=BB391_722 Depth=2
	v_lshlrev_b32_e32 v62, 2, v119
	v_add_nc_u32_e32 v63, v2, v95
	ds_load_b32 v64, v62
	ds_load_b64 v[62:63], v63 offset:27136
	s_wait_dscnt 0x1
	v_add_nc_u32_e32 v64, v64, v79
	s_wait_dscnt 0x0
	global_store_b64 v64, v[62:63], s[44:45] scale_offset
	s_wait_xcnt 0x0
	s_or_b32 exec_lo, exec_lo, s17
	s_and_saveexec_b32 s17, s30
	s_cbranch_execz .LBB391_859
.LBB391_927:                            ;   in Loop: Header=BB391_722 Depth=2
	v_dual_lshlrev_b32 v62, 2, v118 :: v_dual_add_nc_u32 v63, v2, v95
	ds_load_b32 v64, v62
	ds_load_b64 v[62:63], v63 offset:29184
	s_wait_dscnt 0x1
	v_add_nc_u32_e32 v64, v64, v80
	s_wait_dscnt 0x0
	global_store_b64 v64, v[62:63], s[44:45] scale_offset
	s_wait_xcnt 0x0
	s_or_b32 exec_lo, exec_lo, s17
	s_and_saveexec_b32 s17, s31
	s_cbranch_execz .LBB391_860
.LBB391_928:                            ;   in Loop: Header=BB391_722 Depth=2
	v_dual_lshlrev_b32 v62, 2, v117 :: v_dual_add_nc_u32 v63, v2, v95
	ds_load_b32 v64, v62
	ds_load_b64 v[62:63], v63 offset:31232
	s_wait_dscnt 0x1
	v_add_nc_u32_e32 v64, v64, v81
	s_wait_dscnt 0x0
	global_store_b64 v64, v[62:63], s[44:45] scale_offset
	s_wait_xcnt 0x0
	s_or_b32 exec_lo, exec_lo, s17
	s_and_saveexec_b32 s17, s33
	s_cbranch_execnz .LBB391_861
	s_branch .LBB391_862
.LBB391_929:                            ;   in Loop: Header=BB391_722 Depth=2
	global_load_u8 v147, v[62:63], off
	v_dual_mov_b32 v115, 0x7f :: v_dual_mov_b32 v150, 0x7f
	v_dual_mov_b32 v148, 0x7f :: v_dual_mov_b32 v151, 0x7f
	;; [unrolled: 1-line block ×8, first 2 shown]
	s_wait_xcnt 0x0
	s_or_b32 exec_lo, exec_lo, s17
	s_delay_alu instid0(SALU_CYCLE_1)
	s_mov_b32 s17, exec_lo
	v_cmpx_gt_u32_e64 s59, v98
	s_cbranch_execz .LBB391_727
.LBB391_930:                            ;   in Loop: Header=BB391_722 Depth=2
	global_load_u8 v150, v[62:63], off offset:32
	s_wait_xcnt 0x0
	s_or_b32 exec_lo, exec_lo, s17
	s_delay_alu instid0(SALU_CYCLE_1)
	s_mov_b32 s17, exec_lo
	v_cmpx_gt_u32_e64 s59, v99
	s_cbranch_execz .LBB391_728
.LBB391_931:                            ;   in Loop: Header=BB391_722 Depth=2
	global_load_u8 v148, v[62:63], off offset:64
	s_wait_xcnt 0x0
	s_or_b32 exec_lo, exec_lo, s17
	s_delay_alu instid0(SALU_CYCLE_1)
	s_mov_b32 s17, exec_lo
	v_cmpx_gt_u32_e64 s59, v100
	s_cbranch_execz .LBB391_729
.LBB391_932:                            ;   in Loop: Header=BB391_722 Depth=2
	global_load_u8 v151, v[62:63], off offset:96
	s_wait_xcnt 0x0
	s_or_b32 exec_lo, exec_lo, s17
	s_delay_alu instid0(SALU_CYCLE_1)
	s_mov_b32 s17, exec_lo
	v_cmpx_gt_u32_e64 s59, v101
	s_cbranch_execz .LBB391_730
.LBB391_933:                            ;   in Loop: Header=BB391_722 Depth=2
	global_load_u8 v142, v[62:63], off offset:128
	s_wait_xcnt 0x0
	s_or_b32 exec_lo, exec_lo, s17
	s_delay_alu instid0(SALU_CYCLE_1)
	s_mov_b32 s17, exec_lo
	v_cmpx_gt_u32_e64 s59, v102
	s_cbranch_execz .LBB391_731
.LBB391_934:                            ;   in Loop: Header=BB391_722 Depth=2
	global_load_u8 v145, v[62:63], off offset:160
	s_wait_xcnt 0x0
	s_or_b32 exec_lo, exec_lo, s17
	s_delay_alu instid0(SALU_CYCLE_1)
	s_mov_b32 s17, exec_lo
	v_cmpx_gt_u32_e64 s59, v103
	s_cbranch_execz .LBB391_732
.LBB391_935:                            ;   in Loop: Header=BB391_722 Depth=2
	global_load_u8 v143, v[62:63], off offset:192
	s_wait_xcnt 0x0
	s_or_b32 exec_lo, exec_lo, s17
	s_delay_alu instid0(SALU_CYCLE_1)
	s_mov_b32 s17, exec_lo
	v_cmpx_gt_u32_e64 s59, v104
	s_cbranch_execz .LBB391_733
.LBB391_936:                            ;   in Loop: Header=BB391_722 Depth=2
	global_load_u8 v144, v[62:63], off offset:224
	s_wait_xcnt 0x0
	s_or_b32 exec_lo, exec_lo, s17
	s_delay_alu instid0(SALU_CYCLE_1)
	s_mov_b32 s17, exec_lo
	v_cmpx_gt_u32_e64 s59, v105
	s_cbranch_execz .LBB391_734
.LBB391_937:                            ;   in Loop: Header=BB391_722 Depth=2
	global_load_u8 v138, v[62:63], off offset:256
	s_wait_xcnt 0x0
	s_or_b32 exec_lo, exec_lo, s17
	s_delay_alu instid0(SALU_CYCLE_1)
	s_mov_b32 s17, exec_lo
	v_cmpx_gt_u32_e64 s59, v106
	s_cbranch_execz .LBB391_735
.LBB391_938:                            ;   in Loop: Header=BB391_722 Depth=2
	global_load_u8 v141, v[62:63], off offset:288
	s_wait_xcnt 0x0
	s_or_b32 exec_lo, exec_lo, s17
	s_delay_alu instid0(SALU_CYCLE_1)
	s_mov_b32 s17, exec_lo
	v_cmpx_gt_u32_e64 s59, v107
	s_cbranch_execz .LBB391_736
.LBB391_939:                            ;   in Loop: Header=BB391_722 Depth=2
	global_load_u8 v139, v[62:63], off offset:320
	s_wait_xcnt 0x0
	s_or_b32 exec_lo, exec_lo, s17
	s_delay_alu instid0(SALU_CYCLE_1)
	s_mov_b32 s17, exec_lo
	v_cmpx_gt_u32_e64 s59, v108
	s_cbranch_execz .LBB391_737
.LBB391_940:                            ;   in Loop: Header=BB391_722 Depth=2
	global_load_u8 v140, v[62:63], off offset:352
	s_wait_xcnt 0x0
	s_or_b32 exec_lo, exec_lo, s17
	s_delay_alu instid0(SALU_CYCLE_1)
	s_mov_b32 s17, exec_lo
	v_cmpx_gt_u32_e64 s59, v109
	s_cbranch_execz .LBB391_738
.LBB391_941:                            ;   in Loop: Header=BB391_722 Depth=2
	global_load_u8 v64, v[62:63], off offset:384
	s_wait_xcnt 0x0
	s_or_b32 exec_lo, exec_lo, s17
	s_delay_alu instid0(SALU_CYCLE_1)
	s_mov_b32 s17, exec_lo
	v_cmpx_gt_u32_e64 s59, v110
	s_cbranch_execz .LBB391_739
.LBB391_942:                            ;   in Loop: Header=BB391_722 Depth=2
	global_load_u8 v136, v[62:63], off offset:416
	s_wait_xcnt 0x0
	s_or_b32 exec_lo, exec_lo, s17
	s_delay_alu instid0(SALU_CYCLE_1)
	s_mov_b32 s17, exec_lo
	v_cmpx_gt_u32_e64 s59, v111
	s_cbranch_execz .LBB391_740
.LBB391_943:                            ;   in Loop: Header=BB391_722 Depth=2
	global_load_u8 v65, v[62:63], off offset:448
	s_wait_xcnt 0x0
	s_or_b32 exec_lo, exec_lo, s17
	s_delay_alu instid0(SALU_CYCLE_1)
	s_mov_b32 s17, exec_lo
	v_cmpx_gt_u32_e64 s59, v112
	s_cbranch_execnz .LBB391_741
	s_branch .LBB391_742
.LBB391_944:                            ;   in Loop: Header=BB391_12 Depth=1
	s_wait_dscnt 0x0
	s_barrier_signal -1
	s_mov_b32 s8, 0
	s_barrier_wait -1
.LBB391_945:                            ;   in Loop: Header=BB391_12 Depth=1
	s_and_b32 vcc_lo, exec_lo, s8
	s_cbranch_vccz .LBB391_11
; %bb.946:                              ;   in Loop: Header=BB391_12 Depth=1
	v_dual_mov_b32 v39, 0 :: v_dual_mov_b32 v42, 0
	v_dual_mov_b32 v41, 0 :: v_dual_mov_b32 v40, 0
	;; [unrolled: 1-line block ×8, first 2 shown]
	v_mov_b32_e32 v26, 0
	s_mov_b32 s8, s57
	s_mov_b32 s34, s55
	s_barrier_signal -1
	s_barrier_wait -1
	s_branch .LBB391_948
.LBB391_947:                            ;   in Loop: Header=BB391_948 Depth=2
	s_or_b32 exec_lo, exec_lo, s10
	s_addk_co_i32 s8, 0xef00
	s_cmp_ge_u32 s9, s54
	s_mov_b32 s34, s9
	s_cbranch_scc1 .LBB391_1020
.LBB391_948:                            ;   Parent Loop BB391_12 Depth=1
                                        ; =>  This Inner Loop Header: Depth=2
	s_add_co_i32 s9, s34, 0x1100
	s_mov_b32 s10, -1
	s_cmp_gt_u32 s9, s54
                                        ; implicit-def: $vgpr24
                                        ; implicit-def: $vgpr25
                                        ; implicit-def: $vgpr43
                                        ; implicit-def: $vgpr44
                                        ; implicit-def: $vgpr45
                                        ; implicit-def: $vgpr46
                                        ; implicit-def: $vgpr47
                                        ; implicit-def: $vgpr48
                                        ; implicit-def: $vgpr49
                                        ; implicit-def: $vgpr50
                                        ; implicit-def: $vgpr51
                                        ; implicit-def: $vgpr52
                                        ; implicit-def: $vgpr53
                                        ; implicit-def: $vgpr54
                                        ; implicit-def: $vgpr55
                                        ; implicit-def: $vgpr56
                                        ; implicit-def: $vgpr57
	s_cbranch_scc1 .LBB391_950
; %bb.949:                              ;   in Loop: Header=BB391_948 Depth=2
	v_add_nc_u64_e32 v[58:59], s[34:35], v[18:19]
	s_mov_b32 s10, 0
	s_clause 0x10
	global_load_u8 v57, v[58:59], off offset:4096
	global_load_u8 v56, v[58:59], off offset:3840
	;; [unrolled: 1-line block ×16, first 2 shown]
	global_load_u8 v24, v[58:59], off
.LBB391_950:                            ;   in Loop: Header=BB391_948 Depth=2
	s_and_not1_b32 vcc_lo, exec_lo, s10
	s_movk_i32 s10, 0x1100
	s_cbranch_vccnz .LBB391_970
; %bb.951:                              ;   in Loop: Header=BB391_948 Depth=2
	s_add_nc_u64 s[10:11], s[36:37], s[34:35]
	s_wait_loadcnt 0x0
	v_add_nc_u64_e32 v[24:25], s[10:11], v[2:3]
	s_mov_b32 s10, exec_lo
	s_wait_xcnt 0x0
	v_cmpx_gt_u32_e64 s8, v2
	s_cbranch_execnz .LBB391_1004
; %bb.952:                              ;   in Loop: Header=BB391_948 Depth=2
	s_or_b32 exec_lo, exec_lo, s10
	s_delay_alu instid0(SALU_CYCLE_1)
	s_mov_b32 s10, exec_lo
	v_cmpx_gt_u32_e64 s8, v67
	s_cbranch_execnz .LBB391_1005
.LBB391_953:                            ;   in Loop: Header=BB391_948 Depth=2
	s_or_b32 exec_lo, exec_lo, s10
	s_delay_alu instid0(SALU_CYCLE_1)
	s_mov_b32 s10, exec_lo
	v_cmpx_gt_u32_e64 s8, v68
	s_cbranch_execnz .LBB391_1006
.LBB391_954:                            ;   in Loop: Header=BB391_948 Depth=2
	s_or_b32 exec_lo, exec_lo, s10
	s_delay_alu instid0(SALU_CYCLE_1)
	s_mov_b32 s10, exec_lo
	v_cmpx_gt_u32_e64 s8, v69
	s_cbranch_execnz .LBB391_1007
.LBB391_955:                            ;   in Loop: Header=BB391_948 Depth=2
	s_or_b32 exec_lo, exec_lo, s10
	s_delay_alu instid0(SALU_CYCLE_1)
	s_mov_b32 s10, exec_lo
	v_cmpx_gt_u32_e64 s8, v70
	s_cbranch_execnz .LBB391_1008
.LBB391_956:                            ;   in Loop: Header=BB391_948 Depth=2
	s_or_b32 exec_lo, exec_lo, s10
	s_delay_alu instid0(SALU_CYCLE_1)
	s_mov_b32 s10, exec_lo
	v_cmpx_gt_u32_e64 s8, v71
	s_cbranch_execnz .LBB391_1009
.LBB391_957:                            ;   in Loop: Header=BB391_948 Depth=2
	s_or_b32 exec_lo, exec_lo, s10
	s_delay_alu instid0(SALU_CYCLE_1)
	s_mov_b32 s10, exec_lo
	v_cmpx_gt_u32_e64 s8, v72
	s_cbranch_execnz .LBB391_1010
.LBB391_958:                            ;   in Loop: Header=BB391_948 Depth=2
	s_or_b32 exec_lo, exec_lo, s10
	s_delay_alu instid0(SALU_CYCLE_1)
	s_mov_b32 s10, exec_lo
	v_cmpx_gt_u32_e64 s8, v73
	s_cbranch_execnz .LBB391_1011
.LBB391_959:                            ;   in Loop: Header=BB391_948 Depth=2
	s_or_b32 exec_lo, exec_lo, s10
	s_delay_alu instid0(SALU_CYCLE_1)
	s_mov_b32 s10, exec_lo
	v_cmpx_gt_u32_e64 s8, v74
	s_cbranch_execnz .LBB391_1012
.LBB391_960:                            ;   in Loop: Header=BB391_948 Depth=2
	s_or_b32 exec_lo, exec_lo, s10
	s_delay_alu instid0(SALU_CYCLE_1)
	s_mov_b32 s10, exec_lo
	v_cmpx_gt_u32_e64 s8, v75
	s_cbranch_execnz .LBB391_1013
.LBB391_961:                            ;   in Loop: Header=BB391_948 Depth=2
	s_or_b32 exec_lo, exec_lo, s10
	s_delay_alu instid0(SALU_CYCLE_1)
	s_mov_b32 s10, exec_lo
	v_cmpx_gt_u32_e64 s8, v76
	s_cbranch_execnz .LBB391_1014
.LBB391_962:                            ;   in Loop: Header=BB391_948 Depth=2
	s_or_b32 exec_lo, exec_lo, s10
	s_delay_alu instid0(SALU_CYCLE_1)
	s_mov_b32 s10, exec_lo
	v_cmpx_gt_u32_e64 s8, v77
	s_cbranch_execnz .LBB391_1015
.LBB391_963:                            ;   in Loop: Header=BB391_948 Depth=2
	s_or_b32 exec_lo, exec_lo, s10
	s_delay_alu instid0(SALU_CYCLE_1)
	s_mov_b32 s10, exec_lo
	v_cmpx_gt_u32_e64 s8, v78
	s_cbranch_execnz .LBB391_1016
.LBB391_964:                            ;   in Loop: Header=BB391_948 Depth=2
	s_or_b32 exec_lo, exec_lo, s10
	s_delay_alu instid0(SALU_CYCLE_1)
	s_mov_b32 s10, exec_lo
	v_cmpx_gt_u32_e64 s8, v79
	s_cbranch_execnz .LBB391_1017
.LBB391_965:                            ;   in Loop: Header=BB391_948 Depth=2
	s_or_b32 exec_lo, exec_lo, s10
	s_delay_alu instid0(SALU_CYCLE_1)
	s_mov_b32 s10, exec_lo
	v_cmpx_gt_u32_e64 s8, v80
	s_cbranch_execnz .LBB391_1018
.LBB391_966:                            ;   in Loop: Header=BB391_948 Depth=2
	s_or_b32 exec_lo, exec_lo, s10
	s_delay_alu instid0(SALU_CYCLE_1)
	s_mov_b32 s10, exec_lo
	v_cmpx_gt_u32_e64 s8, v81
	s_cbranch_execnz .LBB391_1019
.LBB391_967:                            ;   in Loop: Header=BB391_948 Depth=2
	s_or_b32 exec_lo, exec_lo, s10
	s_delay_alu instid0(SALU_CYCLE_1)
	s_mov_b32 s10, exec_lo
	v_cmpx_gt_u32_e64 s8, v82
	s_cbranch_execz .LBB391_969
.LBB391_968:                            ;   in Loop: Header=BB391_948 Depth=2
	global_load_u8 v26, v[24:25], off offset:4096
.LBB391_969:                            ;   in Loop: Header=BB391_948 Depth=2
	s_wait_xcnt 0x0
	s_or_b32 exec_lo, exec_lo, s10
	s_wait_loadcnt 0x0
	v_dual_mov_b32 v24, v39 :: v_dual_mov_b32 v25, v42
	v_dual_mov_b32 v43, v41 :: v_dual_mov_b32 v44, v40
	;; [unrolled: 1-line block ×8, first 2 shown]
	v_mov_b32_e32 v57, v26
	s_mov_b32 s10, s8
.LBB391_970:                            ;   in Loop: Header=BB391_948 Depth=2
	s_wait_loadcnt 0xf
	s_delay_alu instid0(VALU_DEP_1)
	v_dual_mov_b32 v26, v57 :: v_dual_mov_b32 v27, v56
	s_wait_loadcnt 0xd
	v_dual_mov_b32 v28, v55 :: v_dual_mov_b32 v29, v54
	s_wait_loadcnt 0xb
	;; [unrolled: 2-line block ×8, first 2 shown]
	v_mov_b32_e32 v39, v24
	s_mov_b32 s11, exec_lo
	s_wait_xcnt 0x0
	v_cmpx_gt_u32_e64 s10, v2
	s_cbranch_execnz .LBB391_987
; %bb.971:                              ;   in Loop: Header=BB391_948 Depth=2
	s_or_b32 exec_lo, exec_lo, s11
	s_delay_alu instid0(SALU_CYCLE_1)
	s_mov_b32 s11, exec_lo
	v_cmpx_gt_u32_e64 s10, v67
	s_cbranch_execnz .LBB391_988
.LBB391_972:                            ;   in Loop: Header=BB391_948 Depth=2
	s_or_b32 exec_lo, exec_lo, s11
	s_delay_alu instid0(SALU_CYCLE_1)
	s_mov_b32 s11, exec_lo
	v_cmpx_gt_u32_e64 s10, v68
	s_cbranch_execnz .LBB391_989
.LBB391_973:                            ;   in Loop: Header=BB391_948 Depth=2
	s_or_b32 exec_lo, exec_lo, s11
	s_delay_alu instid0(SALU_CYCLE_1)
	s_mov_b32 s11, exec_lo
	v_cmpx_gt_u32_e64 s10, v69
	s_cbranch_execnz .LBB391_990
.LBB391_974:                            ;   in Loop: Header=BB391_948 Depth=2
	s_or_b32 exec_lo, exec_lo, s11
	s_delay_alu instid0(SALU_CYCLE_1)
	s_mov_b32 s11, exec_lo
	v_cmpx_gt_u32_e64 s10, v70
	s_cbranch_execnz .LBB391_991
.LBB391_975:                            ;   in Loop: Header=BB391_948 Depth=2
	s_or_b32 exec_lo, exec_lo, s11
	s_delay_alu instid0(SALU_CYCLE_1)
	s_mov_b32 s11, exec_lo
	v_cmpx_gt_u32_e64 s10, v71
	s_cbranch_execnz .LBB391_992
.LBB391_976:                            ;   in Loop: Header=BB391_948 Depth=2
	s_or_b32 exec_lo, exec_lo, s11
	s_delay_alu instid0(SALU_CYCLE_1)
	s_mov_b32 s11, exec_lo
	v_cmpx_gt_u32_e64 s10, v72
	s_cbranch_execnz .LBB391_993
.LBB391_977:                            ;   in Loop: Header=BB391_948 Depth=2
	s_or_b32 exec_lo, exec_lo, s11
	s_delay_alu instid0(SALU_CYCLE_1)
	s_mov_b32 s11, exec_lo
	v_cmpx_gt_u32_e64 s10, v73
	s_cbranch_execnz .LBB391_994
.LBB391_978:                            ;   in Loop: Header=BB391_948 Depth=2
	s_or_b32 exec_lo, exec_lo, s11
	s_delay_alu instid0(SALU_CYCLE_1)
	s_mov_b32 s11, exec_lo
	v_cmpx_gt_u32_e64 s10, v74
	s_cbranch_execnz .LBB391_995
.LBB391_979:                            ;   in Loop: Header=BB391_948 Depth=2
	s_or_b32 exec_lo, exec_lo, s11
	s_delay_alu instid0(SALU_CYCLE_1)
	s_mov_b32 s11, exec_lo
	v_cmpx_gt_u32_e64 s10, v75
	s_cbranch_execnz .LBB391_996
.LBB391_980:                            ;   in Loop: Header=BB391_948 Depth=2
	s_or_b32 exec_lo, exec_lo, s11
	s_delay_alu instid0(SALU_CYCLE_1)
	s_mov_b32 s11, exec_lo
	v_cmpx_gt_u32_e64 s10, v76
	s_cbranch_execnz .LBB391_997
.LBB391_981:                            ;   in Loop: Header=BB391_948 Depth=2
	s_or_b32 exec_lo, exec_lo, s11
	s_delay_alu instid0(SALU_CYCLE_1)
	s_mov_b32 s11, exec_lo
	v_cmpx_gt_u32_e64 s10, v77
	s_cbranch_execnz .LBB391_998
.LBB391_982:                            ;   in Loop: Header=BB391_948 Depth=2
	s_or_b32 exec_lo, exec_lo, s11
	s_delay_alu instid0(SALU_CYCLE_1)
	s_mov_b32 s11, exec_lo
	v_cmpx_gt_u32_e64 s10, v78
	s_cbranch_execnz .LBB391_999
.LBB391_983:                            ;   in Loop: Header=BB391_948 Depth=2
	s_or_b32 exec_lo, exec_lo, s11
	s_delay_alu instid0(SALU_CYCLE_1)
	s_mov_b32 s11, exec_lo
	v_cmpx_gt_u32_e64 s10, v79
	s_cbranch_execnz .LBB391_1000
.LBB391_984:                            ;   in Loop: Header=BB391_948 Depth=2
	s_or_b32 exec_lo, exec_lo, s11
	s_delay_alu instid0(SALU_CYCLE_1)
	s_mov_b32 s11, exec_lo
	v_cmpx_gt_u32_e64 s10, v80
	s_cbranch_execnz .LBB391_1001
.LBB391_985:                            ;   in Loop: Header=BB391_948 Depth=2
	s_or_b32 exec_lo, exec_lo, s11
	s_delay_alu instid0(SALU_CYCLE_1)
	s_mov_b32 s11, exec_lo
	v_cmpx_gt_u32_e64 s10, v81
	s_cbranch_execnz .LBB391_1002
.LBB391_986:                            ;   in Loop: Header=BB391_948 Depth=2
	s_or_b32 exec_lo, exec_lo, s11
	v_cmp_gt_u32_e32 vcc_lo, s10, v82
	s_and_saveexec_b32 s10, vcc_lo
	s_cbranch_execz .LBB391_947
	s_branch .LBB391_1003
.LBB391_987:                            ;   in Loop: Header=BB391_948 Depth=2
	v_xor_b32_e32 v24, 0x80, v39
	s_delay_alu instid0(VALU_DEP_1) | instskip(NEXT) | instid1(VALU_DEP_1)
	v_and_b32_e32 v24, 0xff, v24
	v_lshrrev_b32_e32 v24, s49, v24
	s_delay_alu instid0(VALU_DEP_1) | instskip(NEXT) | instid1(VALU_DEP_1)
	v_and_b32_e32 v24, s58, v24
	v_lshl_or_b32 v24, v24, 4, v84
	ds_add_u32 v24, v7
	s_or_b32 exec_lo, exec_lo, s11
	s_delay_alu instid0(SALU_CYCLE_1)
	s_mov_b32 s11, exec_lo
	v_cmpx_gt_u32_e64 s10, v67
	s_cbranch_execz .LBB391_972
.LBB391_988:                            ;   in Loop: Header=BB391_948 Depth=2
	v_xor_b32_e32 v24, 0x80, v42
	s_delay_alu instid0(VALU_DEP_1) | instskip(NEXT) | instid1(VALU_DEP_1)
	v_and_b32_e32 v24, 0xff, v24
	v_lshrrev_b32_e32 v24, s49, v24
	s_delay_alu instid0(VALU_DEP_1) | instskip(NEXT) | instid1(VALU_DEP_1)
	v_and_b32_e32 v24, s58, v24
	v_lshl_or_b32 v24, v24, 4, v84
	ds_add_u32 v24, v7
	s_or_b32 exec_lo, exec_lo, s11
	s_delay_alu instid0(SALU_CYCLE_1)
	s_mov_b32 s11, exec_lo
	v_cmpx_gt_u32_e64 s10, v68
	s_cbranch_execz .LBB391_973
.LBB391_989:                            ;   in Loop: Header=BB391_948 Depth=2
	v_xor_b32_e32 v24, 0x80, v41
	s_delay_alu instid0(VALU_DEP_1) | instskip(NEXT) | instid1(VALU_DEP_1)
	v_and_b32_e32 v24, 0xff, v24
	v_lshrrev_b32_e32 v24, s49, v24
	s_delay_alu instid0(VALU_DEP_1) | instskip(NEXT) | instid1(VALU_DEP_1)
	v_and_b32_e32 v24, s58, v24
	v_lshl_or_b32 v24, v24, 4, v84
	ds_add_u32 v24, v7
	s_or_b32 exec_lo, exec_lo, s11
	s_delay_alu instid0(SALU_CYCLE_1)
	s_mov_b32 s11, exec_lo
	v_cmpx_gt_u32_e64 s10, v69
	s_cbranch_execz .LBB391_974
.LBB391_990:                            ;   in Loop: Header=BB391_948 Depth=2
	v_xor_b32_e32 v24, 0x80, v40
	s_delay_alu instid0(VALU_DEP_1) | instskip(NEXT) | instid1(VALU_DEP_1)
	v_and_b32_e32 v24, 0xff, v24
	v_lshrrev_b32_e32 v24, s49, v24
	s_delay_alu instid0(VALU_DEP_1) | instskip(NEXT) | instid1(VALU_DEP_1)
	v_and_b32_e32 v24, s58, v24
	v_lshl_or_b32 v24, v24, 4, v84
	ds_add_u32 v24, v7
	s_or_b32 exec_lo, exec_lo, s11
	s_delay_alu instid0(SALU_CYCLE_1)
	s_mov_b32 s11, exec_lo
	v_cmpx_gt_u32_e64 s10, v70
	s_cbranch_execz .LBB391_975
.LBB391_991:                            ;   in Loop: Header=BB391_948 Depth=2
	v_xor_b32_e32 v24, 0x80, v38
	s_delay_alu instid0(VALU_DEP_1) | instskip(NEXT) | instid1(VALU_DEP_1)
	v_and_b32_e32 v24, 0xff, v24
	v_lshrrev_b32_e32 v24, s49, v24
	s_delay_alu instid0(VALU_DEP_1) | instskip(NEXT) | instid1(VALU_DEP_1)
	v_and_b32_e32 v24, s58, v24
	v_lshl_or_b32 v24, v24, 4, v84
	ds_add_u32 v24, v7
	s_or_b32 exec_lo, exec_lo, s11
	s_delay_alu instid0(SALU_CYCLE_1)
	s_mov_b32 s11, exec_lo
	v_cmpx_gt_u32_e64 s10, v71
	s_cbranch_execz .LBB391_976
.LBB391_992:                            ;   in Loop: Header=BB391_948 Depth=2
	v_xor_b32_e32 v24, 0x80, v37
	s_delay_alu instid0(VALU_DEP_1) | instskip(NEXT) | instid1(VALU_DEP_1)
	v_and_b32_e32 v24, 0xff, v24
	v_lshrrev_b32_e32 v24, s49, v24
	s_delay_alu instid0(VALU_DEP_1) | instskip(NEXT) | instid1(VALU_DEP_1)
	v_and_b32_e32 v24, s58, v24
	v_lshl_or_b32 v24, v24, 4, v84
	ds_add_u32 v24, v7
	s_or_b32 exec_lo, exec_lo, s11
	s_delay_alu instid0(SALU_CYCLE_1)
	s_mov_b32 s11, exec_lo
	v_cmpx_gt_u32_e64 s10, v72
	s_cbranch_execz .LBB391_977
.LBB391_993:                            ;   in Loop: Header=BB391_948 Depth=2
	v_xor_b32_e32 v24, 0x80, v36
	s_delay_alu instid0(VALU_DEP_1) | instskip(NEXT) | instid1(VALU_DEP_1)
	v_and_b32_e32 v24, 0xff, v24
	v_lshrrev_b32_e32 v24, s49, v24
	s_delay_alu instid0(VALU_DEP_1) | instskip(NEXT) | instid1(VALU_DEP_1)
	v_and_b32_e32 v24, s58, v24
	v_lshl_or_b32 v24, v24, 4, v84
	ds_add_u32 v24, v7
	s_or_b32 exec_lo, exec_lo, s11
	s_delay_alu instid0(SALU_CYCLE_1)
	s_mov_b32 s11, exec_lo
	v_cmpx_gt_u32_e64 s10, v73
	s_cbranch_execz .LBB391_978
.LBB391_994:                            ;   in Loop: Header=BB391_948 Depth=2
	v_xor_b32_e32 v24, 0x80, v35
	s_delay_alu instid0(VALU_DEP_1) | instskip(NEXT) | instid1(VALU_DEP_1)
	v_and_b32_e32 v24, 0xff, v24
	v_lshrrev_b32_e32 v24, s49, v24
	s_delay_alu instid0(VALU_DEP_1) | instskip(NEXT) | instid1(VALU_DEP_1)
	v_and_b32_e32 v24, s58, v24
	v_lshl_or_b32 v24, v24, 4, v84
	ds_add_u32 v24, v7
	s_or_b32 exec_lo, exec_lo, s11
	s_delay_alu instid0(SALU_CYCLE_1)
	s_mov_b32 s11, exec_lo
	v_cmpx_gt_u32_e64 s10, v74
	s_cbranch_execz .LBB391_979
.LBB391_995:                            ;   in Loop: Header=BB391_948 Depth=2
	v_xor_b32_e32 v24, 0x80, v34
	s_delay_alu instid0(VALU_DEP_1) | instskip(NEXT) | instid1(VALU_DEP_1)
	v_and_b32_e32 v24, 0xff, v24
	v_lshrrev_b32_e32 v24, s49, v24
	s_delay_alu instid0(VALU_DEP_1) | instskip(NEXT) | instid1(VALU_DEP_1)
	v_and_b32_e32 v24, s58, v24
	v_lshl_or_b32 v24, v24, 4, v84
	ds_add_u32 v24, v7
	s_or_b32 exec_lo, exec_lo, s11
	s_delay_alu instid0(SALU_CYCLE_1)
	s_mov_b32 s11, exec_lo
	v_cmpx_gt_u32_e64 s10, v75
	s_cbranch_execz .LBB391_980
.LBB391_996:                            ;   in Loop: Header=BB391_948 Depth=2
	v_xor_b32_e32 v24, 0x80, v33
	s_delay_alu instid0(VALU_DEP_1) | instskip(NEXT) | instid1(VALU_DEP_1)
	v_and_b32_e32 v24, 0xff, v24
	v_lshrrev_b32_e32 v24, s49, v24
	s_delay_alu instid0(VALU_DEP_1) | instskip(NEXT) | instid1(VALU_DEP_1)
	v_and_b32_e32 v24, s58, v24
	v_lshl_or_b32 v24, v24, 4, v84
	ds_add_u32 v24, v7
	s_or_b32 exec_lo, exec_lo, s11
	s_delay_alu instid0(SALU_CYCLE_1)
	s_mov_b32 s11, exec_lo
	v_cmpx_gt_u32_e64 s10, v76
	s_cbranch_execz .LBB391_981
.LBB391_997:                            ;   in Loop: Header=BB391_948 Depth=2
	v_xor_b32_e32 v24, 0x80, v32
	s_delay_alu instid0(VALU_DEP_1) | instskip(NEXT) | instid1(VALU_DEP_1)
	v_and_b32_e32 v24, 0xff, v24
	v_lshrrev_b32_e32 v24, s49, v24
	s_delay_alu instid0(VALU_DEP_1) | instskip(NEXT) | instid1(VALU_DEP_1)
	v_and_b32_e32 v24, s58, v24
	v_lshl_or_b32 v24, v24, 4, v84
	ds_add_u32 v24, v7
	s_or_b32 exec_lo, exec_lo, s11
	s_delay_alu instid0(SALU_CYCLE_1)
	s_mov_b32 s11, exec_lo
	v_cmpx_gt_u32_e64 s10, v77
	s_cbranch_execz .LBB391_982
.LBB391_998:                            ;   in Loop: Header=BB391_948 Depth=2
	v_xor_b32_e32 v24, 0x80, v31
	s_delay_alu instid0(VALU_DEP_1) | instskip(NEXT) | instid1(VALU_DEP_1)
	v_and_b32_e32 v24, 0xff, v24
	v_lshrrev_b32_e32 v24, s49, v24
	s_delay_alu instid0(VALU_DEP_1) | instskip(NEXT) | instid1(VALU_DEP_1)
	v_and_b32_e32 v24, s58, v24
	v_lshl_or_b32 v24, v24, 4, v84
	ds_add_u32 v24, v7
	s_or_b32 exec_lo, exec_lo, s11
	s_delay_alu instid0(SALU_CYCLE_1)
	s_mov_b32 s11, exec_lo
	v_cmpx_gt_u32_e64 s10, v78
	s_cbranch_execz .LBB391_983
.LBB391_999:                            ;   in Loop: Header=BB391_948 Depth=2
	v_xor_b32_e32 v24, 0x80, v30
	s_delay_alu instid0(VALU_DEP_1) | instskip(NEXT) | instid1(VALU_DEP_1)
	v_and_b32_e32 v24, 0xff, v24
	v_lshrrev_b32_e32 v24, s49, v24
	s_delay_alu instid0(VALU_DEP_1) | instskip(NEXT) | instid1(VALU_DEP_1)
	v_and_b32_e32 v24, s58, v24
	v_lshl_or_b32 v24, v24, 4, v84
	ds_add_u32 v24, v7
	s_or_b32 exec_lo, exec_lo, s11
	s_delay_alu instid0(SALU_CYCLE_1)
	s_mov_b32 s11, exec_lo
	v_cmpx_gt_u32_e64 s10, v79
	s_cbranch_execz .LBB391_984
.LBB391_1000:                           ;   in Loop: Header=BB391_948 Depth=2
	v_xor_b32_e32 v24, 0x80, v29
	s_delay_alu instid0(VALU_DEP_1) | instskip(NEXT) | instid1(VALU_DEP_1)
	v_and_b32_e32 v24, 0xff, v24
	v_lshrrev_b32_e32 v24, s49, v24
	s_delay_alu instid0(VALU_DEP_1) | instskip(NEXT) | instid1(VALU_DEP_1)
	v_and_b32_e32 v24, s58, v24
	v_lshl_or_b32 v24, v24, 4, v84
	ds_add_u32 v24, v7
	s_or_b32 exec_lo, exec_lo, s11
	s_delay_alu instid0(SALU_CYCLE_1)
	s_mov_b32 s11, exec_lo
	v_cmpx_gt_u32_e64 s10, v80
	s_cbranch_execz .LBB391_985
.LBB391_1001:                           ;   in Loop: Header=BB391_948 Depth=2
	v_xor_b32_e32 v24, 0x80, v28
	s_delay_alu instid0(VALU_DEP_1) | instskip(NEXT) | instid1(VALU_DEP_1)
	v_and_b32_e32 v24, 0xff, v24
	v_lshrrev_b32_e32 v24, s49, v24
	s_delay_alu instid0(VALU_DEP_1) | instskip(NEXT) | instid1(VALU_DEP_1)
	v_and_b32_e32 v24, s58, v24
	v_lshl_or_b32 v24, v24, 4, v84
	ds_add_u32 v24, v7
	s_or_b32 exec_lo, exec_lo, s11
	s_delay_alu instid0(SALU_CYCLE_1)
	s_mov_b32 s11, exec_lo
	v_cmpx_gt_u32_e64 s10, v81
	s_cbranch_execz .LBB391_986
.LBB391_1002:                           ;   in Loop: Header=BB391_948 Depth=2
	v_xor_b32_e32 v24, 0x80, v27
	s_delay_alu instid0(VALU_DEP_1) | instskip(NEXT) | instid1(VALU_DEP_1)
	v_and_b32_e32 v24, 0xff, v24
	v_lshrrev_b32_e32 v24, s49, v24
	s_delay_alu instid0(VALU_DEP_1) | instskip(NEXT) | instid1(VALU_DEP_1)
	v_and_b32_e32 v24, s58, v24
	v_lshl_or_b32 v24, v24, 4, v84
	ds_add_u32 v24, v7
	s_or_b32 exec_lo, exec_lo, s11
	v_cmp_gt_u32_e32 vcc_lo, s10, v82
	s_and_saveexec_b32 s10, vcc_lo
	s_cbranch_execz .LBB391_947
.LBB391_1003:                           ;   in Loop: Header=BB391_948 Depth=2
	v_xor_b32_e32 v24, 0x80, v26
	s_delay_alu instid0(VALU_DEP_1) | instskip(NEXT) | instid1(VALU_DEP_1)
	v_and_b32_e32 v24, 0xff, v24
	v_lshrrev_b32_e32 v24, s49, v24
	s_delay_alu instid0(VALU_DEP_1) | instskip(NEXT) | instid1(VALU_DEP_1)
	v_and_b32_e32 v24, s58, v24
	v_lshl_or_b32 v24, v24, 4, v84
	ds_add_u32 v24, v7
	s_branch .LBB391_947
.LBB391_1004:                           ;   in Loop: Header=BB391_948 Depth=2
	global_load_u8 v39, v[24:25], off
	s_wait_xcnt 0x0
	s_or_b32 exec_lo, exec_lo, s10
	s_delay_alu instid0(SALU_CYCLE_1)
	s_mov_b32 s10, exec_lo
	v_cmpx_gt_u32_e64 s8, v67
	s_cbranch_execz .LBB391_953
.LBB391_1005:                           ;   in Loop: Header=BB391_948 Depth=2
	global_load_u8 v42, v[24:25], off offset:256
	s_wait_xcnt 0x0
	s_or_b32 exec_lo, exec_lo, s10
	s_delay_alu instid0(SALU_CYCLE_1)
	s_mov_b32 s10, exec_lo
	v_cmpx_gt_u32_e64 s8, v68
	s_cbranch_execz .LBB391_954
.LBB391_1006:                           ;   in Loop: Header=BB391_948 Depth=2
	global_load_u8 v41, v[24:25], off offset:512
	s_wait_xcnt 0x0
	s_or_b32 exec_lo, exec_lo, s10
	s_delay_alu instid0(SALU_CYCLE_1)
	s_mov_b32 s10, exec_lo
	v_cmpx_gt_u32_e64 s8, v69
	s_cbranch_execz .LBB391_955
.LBB391_1007:                           ;   in Loop: Header=BB391_948 Depth=2
	global_load_u8 v40, v[24:25], off offset:768
	s_wait_xcnt 0x0
	s_or_b32 exec_lo, exec_lo, s10
	s_delay_alu instid0(SALU_CYCLE_1)
	s_mov_b32 s10, exec_lo
	v_cmpx_gt_u32_e64 s8, v70
	s_cbranch_execz .LBB391_956
.LBB391_1008:                           ;   in Loop: Header=BB391_948 Depth=2
	global_load_u8 v38, v[24:25], off offset:1024
	s_wait_xcnt 0x0
	s_or_b32 exec_lo, exec_lo, s10
	s_delay_alu instid0(SALU_CYCLE_1)
	s_mov_b32 s10, exec_lo
	v_cmpx_gt_u32_e64 s8, v71
	s_cbranch_execz .LBB391_957
.LBB391_1009:                           ;   in Loop: Header=BB391_948 Depth=2
	global_load_u8 v37, v[24:25], off offset:1280
	s_wait_xcnt 0x0
	s_or_b32 exec_lo, exec_lo, s10
	s_delay_alu instid0(SALU_CYCLE_1)
	s_mov_b32 s10, exec_lo
	v_cmpx_gt_u32_e64 s8, v72
	s_cbranch_execz .LBB391_958
.LBB391_1010:                           ;   in Loop: Header=BB391_948 Depth=2
	global_load_u8 v36, v[24:25], off offset:1536
	s_wait_xcnt 0x0
	s_or_b32 exec_lo, exec_lo, s10
	s_delay_alu instid0(SALU_CYCLE_1)
	s_mov_b32 s10, exec_lo
	v_cmpx_gt_u32_e64 s8, v73
	s_cbranch_execz .LBB391_959
.LBB391_1011:                           ;   in Loop: Header=BB391_948 Depth=2
	global_load_u8 v35, v[24:25], off offset:1792
	s_wait_xcnt 0x0
	s_or_b32 exec_lo, exec_lo, s10
	s_delay_alu instid0(SALU_CYCLE_1)
	s_mov_b32 s10, exec_lo
	v_cmpx_gt_u32_e64 s8, v74
	s_cbranch_execz .LBB391_960
.LBB391_1012:                           ;   in Loop: Header=BB391_948 Depth=2
	global_load_u8 v34, v[24:25], off offset:2048
	s_wait_xcnt 0x0
	s_or_b32 exec_lo, exec_lo, s10
	s_delay_alu instid0(SALU_CYCLE_1)
	s_mov_b32 s10, exec_lo
	v_cmpx_gt_u32_e64 s8, v75
	s_cbranch_execz .LBB391_961
.LBB391_1013:                           ;   in Loop: Header=BB391_948 Depth=2
	global_load_u8 v33, v[24:25], off offset:2304
	s_wait_xcnt 0x0
	s_or_b32 exec_lo, exec_lo, s10
	s_delay_alu instid0(SALU_CYCLE_1)
	s_mov_b32 s10, exec_lo
	v_cmpx_gt_u32_e64 s8, v76
	s_cbranch_execz .LBB391_962
.LBB391_1014:                           ;   in Loop: Header=BB391_948 Depth=2
	global_load_u8 v32, v[24:25], off offset:2560
	s_wait_xcnt 0x0
	s_or_b32 exec_lo, exec_lo, s10
	s_delay_alu instid0(SALU_CYCLE_1)
	s_mov_b32 s10, exec_lo
	v_cmpx_gt_u32_e64 s8, v77
	s_cbranch_execz .LBB391_963
.LBB391_1015:                           ;   in Loop: Header=BB391_948 Depth=2
	global_load_u8 v31, v[24:25], off offset:2816
	s_wait_xcnt 0x0
	s_or_b32 exec_lo, exec_lo, s10
	s_delay_alu instid0(SALU_CYCLE_1)
	s_mov_b32 s10, exec_lo
	v_cmpx_gt_u32_e64 s8, v78
	s_cbranch_execz .LBB391_964
.LBB391_1016:                           ;   in Loop: Header=BB391_948 Depth=2
	global_load_u8 v30, v[24:25], off offset:3072
	s_wait_xcnt 0x0
	s_or_b32 exec_lo, exec_lo, s10
	s_delay_alu instid0(SALU_CYCLE_1)
	s_mov_b32 s10, exec_lo
	v_cmpx_gt_u32_e64 s8, v79
	s_cbranch_execz .LBB391_965
.LBB391_1017:                           ;   in Loop: Header=BB391_948 Depth=2
	global_load_u8 v29, v[24:25], off offset:3328
	s_wait_xcnt 0x0
	s_or_b32 exec_lo, exec_lo, s10
	s_delay_alu instid0(SALU_CYCLE_1)
	s_mov_b32 s10, exec_lo
	v_cmpx_gt_u32_e64 s8, v80
	s_cbranch_execz .LBB391_966
.LBB391_1018:                           ;   in Loop: Header=BB391_948 Depth=2
	global_load_u8 v28, v[24:25], off offset:3584
	s_wait_xcnt 0x0
	s_or_b32 exec_lo, exec_lo, s10
	s_delay_alu instid0(SALU_CYCLE_1)
	s_mov_b32 s10, exec_lo
	v_cmpx_gt_u32_e64 s8, v81
	s_cbranch_execz .LBB391_967
.LBB391_1019:                           ;   in Loop: Header=BB391_948 Depth=2
	global_load_u8 v27, v[24:25], off offset:3840
	s_wait_xcnt 0x0
	s_or_b32 exec_lo, exec_lo, s10
	s_delay_alu instid0(SALU_CYCLE_1)
	s_mov_b32 s10, exec_lo
	v_cmpx_gt_u32_e64 s8, v82
	s_cbranch_execnz .LBB391_968
	s_branch .LBB391_969
.LBB391_1020:                           ;   in Loop: Header=BB391_12 Depth=1
	v_mov_b32_e32 v24, 0
	s_wait_dscnt 0x0
	s_barrier_signal -1
	s_barrier_wait -1
	s_and_saveexec_b32 s8, s0
	s_cbranch_execz .LBB391_1022
; %bb.1021:                             ;   in Loop: Header=BB391_12 Depth=1
	ds_load_2addr_b64 v[24:27], v85 offset1:1
	s_wait_dscnt 0x0
	v_add_nc_u32_e32 v24, v25, v24
	s_delay_alu instid0(VALU_DEP_1)
	v_add3_u32 v24, v24, v26, v27
.LBB391_1022:                           ;   in Loop: Header=BB391_12 Depth=1
	s_or_b32 exec_lo, exec_lo, s8
	v_and_b32_e32 v25, 15, v0
	s_delay_alu instid0(VALU_DEP_2) | instskip(SKIP_1) | instid1(VALU_DEP_3)
	v_mov_b32_dpp v26, v24 row_shr:1 row_mask:0xf bank_mask:0xf
	v_and_b32_e32 v27, 16, v0
	v_cmp_eq_u32_e64 s8, 0, v25
	v_cmp_lt_u32_e64 s9, 1, v25
	s_delay_alu instid0(VALU_DEP_3) | instskip(NEXT) | instid1(VALU_DEP_3)
	v_cmp_eq_u32_e64 s12, 0, v27
	v_cndmask_b32_e64 v26, v26, 0, s8
	s_delay_alu instid0(VALU_DEP_1) | instskip(NEXT) | instid1(VALU_DEP_1)
	v_add_nc_u32_e32 v24, v26, v24
	v_mov_b32_dpp v26, v24 row_shr:2 row_mask:0xf bank_mask:0xf
	s_delay_alu instid0(VALU_DEP_1) | instskip(SKIP_2) | instid1(VALU_DEP_3)
	v_cndmask_b32_e64 v26, 0, v26, s9
	v_cmp_lt_u32_e64 s11, 7, v25
	v_cmp_lt_u32_e64 s10, 3, v25
	v_add_nc_u32_e32 v24, v24, v26
	s_delay_alu instid0(VALU_DEP_1) | instskip(NEXT) | instid1(VALU_DEP_1)
	v_mov_b32_dpp v26, v24 row_shr:4 row_mask:0xf bank_mask:0xf
	v_cndmask_b32_e64 v26, 0, v26, s10
	s_delay_alu instid0(VALU_DEP_1) | instskip(NEXT) | instid1(VALU_DEP_1)
	v_add_nc_u32_e32 v24, v24, v26
	v_mov_b32_dpp v26, v24 row_shr:8 row_mask:0xf bank_mask:0xf
	s_delay_alu instid0(VALU_DEP_1) | instskip(SKIP_1) | instid1(VALU_DEP_2)
	v_cndmask_b32_e64 v25, 0, v26, s11
	v_bfe_i32 v26, v0, 4, 1
	v_add_nc_u32_e32 v24, v24, v25
	ds_swizzle_b32 v25, v24 offset:swizzle(BROADCAST,32,15)
	s_wait_dscnt 0x0
	v_and_b32_e32 v25, v26, v25
	s_delay_alu instid0(VALU_DEP_1)
	v_add_nc_u32_e32 v24, v24, v25
	s_and_saveexec_b32 s13, s1
; %bb.1023:                             ;   in Loop: Header=BB391_12 Depth=1
	ds_store_b32 v86, v24
; %bb.1024:                             ;   in Loop: Header=BB391_12 Depth=1
	s_or_b32 exec_lo, exec_lo, s13
	s_wait_dscnt 0x0
	s_barrier_signal -1
	s_barrier_wait -1
	s_and_saveexec_b32 s13, s4
	s_cbranch_execz .LBB391_1026
; %bb.1025:                             ;   in Loop: Header=BB391_12 Depth=1
	ds_load_b32 v25, v87
	s_wait_dscnt 0x0
	v_mov_b32_dpp v27, v25 row_shr:1 row_mask:0xf bank_mask:0xf
	v_and_b32_e32 v26, 3, v0
	s_delay_alu instid0(VALU_DEP_1) | instskip(NEXT) | instid1(VALU_DEP_3)
	v_cmp_ne_u32_e32 vcc_lo, 0, v26
	v_cndmask_b32_e32 v27, 0, v27, vcc_lo
	v_cmp_lt_u32_e32 vcc_lo, 1, v26
	s_delay_alu instid0(VALU_DEP_2) | instskip(NEXT) | instid1(VALU_DEP_1)
	v_add_nc_u32_e32 v25, v27, v25
	v_mov_b32_dpp v27, v25 row_shr:2 row_mask:0xf bank_mask:0xf
	s_delay_alu instid0(VALU_DEP_1) | instskip(NEXT) | instid1(VALU_DEP_1)
	v_cndmask_b32_e32 v26, 0, v27, vcc_lo
	v_add_nc_u32_e32 v25, v25, v26
	ds_store_b32 v87, v25
.LBB391_1026:                           ;   in Loop: Header=BB391_12 Depth=1
	s_or_b32 exec_lo, exec_lo, s13
	v_mov_b32_e32 v25, 0
	s_wait_dscnt 0x0
	s_barrier_signal -1
	s_barrier_wait -1
	s_and_saveexec_b32 s13, s5
; %bb.1027:                             ;   in Loop: Header=BB391_12 Depth=1
	ds_load_b32 v25, v88
; %bb.1028:                             ;   in Loop: Header=BB391_12 Depth=1
	s_or_b32 exec_lo, exec_lo, s13
	v_sub_co_u32 v26, s13, v0, 1
	s_wait_dscnt 0x0
	s_barrier_signal -1
	s_barrier_wait -1
	s_delay_alu instid0(VALU_DEP_1) | instskip(SKIP_1) | instid1(VALU_DEP_1)
	v_cmp_gt_i32_e32 vcc_lo, 0, v26
	v_cndmask_b32_e32 v26, v26, v0, vcc_lo
	v_dual_add_nc_u32 v24, v25, v24 :: v_dual_lshlrev_b32 v96, 2, v26
	ds_bpermute_b32 v24, v96, v24
	s_and_saveexec_b32 s14, s0
	s_cbranch_execz .LBB391_1030
; %bb.1029:                             ;   in Loop: Header=BB391_12 Depth=1
	s_wait_dscnt 0x0
	v_cndmask_b32_e64 v24, v24, v25, s13
	s_delay_alu instid0(VALU_DEP_1)
	v_add_nc_u32_e32 v24, s55, v24
	ds_store_b32 v66, v24
.LBB391_1030:                           ;   in Loop: Header=BB391_12 Depth=1
	s_or_b32 exec_lo, exec_lo, s14
	s_load_b64 s[14:15], s[52:53], 0x0
	v_dual_lshlrev_b32 v26, 3, v0 :: v_dual_bitop2_b32 v28, 7, v0 bitop3:0x40
	v_dual_mov_b32 v27, v1 :: v_dual_bitop2_b32 v97, v0, v6 bitop3:0x54
	s_wait_dscnt 0x0
	v_add_nc_u64_e32 v[24:25], v[22:23], v[0:1]
	v_mov_b32_e32 v115, 0
	s_mov_b32 s59, s57
	v_add_nc_u64_e32 v[26:27], v[20:21], v[26:27]
	v_dual_add_nc_u32 v98, 32, v97 :: v_dual_add_nc_u32 v99, 64, v97
	v_add_nc_u32_e32 v100, 0x60, v97
	v_add_nc_u32_e32 v101, 0x80, v97
	;; [unrolled: 1-line block ×9, first 2 shown]
	s_wait_kmcnt 0x0
	s_cmp_lt_u32 s51, s14
	v_add_nc_u32_e32 v109, 0x180, v97
	s_cselect_b32 s34, 12, 18
	s_cmp_lt_u32 s42, s15
	s_mov_b32 s15, s35
	s_cselect_b32 s14, 14, 20
	v_add_nc_u32_e32 v110, 0x1a0, v97
	s_add_nc_u64 s[14:15], s[52:53], s[14:15]
	v_add_nc_u32_e32 v111, 0x1c0, v97
	s_load_u16 s16, s[14:15], 0x0
	s_wait_xcnt 0x0
	s_add_nc_u64 s[14:15], s[52:53], s[34:35]
	v_add_nc_u32_e32 v112, 0x1e0, v97
	s_load_u16 s17, s[14:15], 0x0
	s_wait_xcnt 0x0
	v_cmp_eq_u32_e64 s14, 0, v28
	v_cmp_lt_u32_e64 s15, 1, v28
	v_add_nc_u32_e32 v113, 0x200, v97
	s_mov_b32 s34, s55
                                        ; implicit-def: $vgpr30_vgpr31
                                        ; implicit-def: $vgpr32_vgpr33
                                        ; implicit-def: $vgpr34_vgpr35
                                        ; implicit-def: $vgpr36_vgpr37
                                        ; implicit-def: $vgpr38_vgpr39
                                        ; implicit-def: $vgpr40_vgpr41
                                        ; implicit-def: $vgpr42_vgpr43
                                        ; implicit-def: $vgpr44_vgpr45
                                        ; implicit-def: $vgpr46_vgpr47
                                        ; implicit-def: $vgpr48_vgpr49
                                        ; implicit-def: $vgpr50_vgpr51
                                        ; implicit-def: $vgpr52_vgpr53
                                        ; implicit-def: $vgpr54_vgpr55
                                        ; implicit-def: $vgpr56_vgpr57
                                        ; implicit-def: $vgpr58_vgpr59
                                        ; implicit-def: $vgpr60_vgpr61
                                        ; implicit-def: $vgpr116
                                        ; implicit-def: $vgpr117
                                        ; implicit-def: $vgpr118
                                        ; implicit-def: $vgpr119
                                        ; implicit-def: $vgpr120
                                        ; implicit-def: $vgpr121
                                        ; implicit-def: $vgpr122
                                        ; implicit-def: $vgpr123
                                        ; implicit-def: $vgpr124
                                        ; implicit-def: $vgpr125
                                        ; implicit-def: $vgpr126
                                        ; implicit-def: $vgpr127
                                        ; implicit-def: $vgpr128
                                        ; implicit-def: $vgpr129
                                        ; implicit-def: $vgpr130
                                        ; implicit-def: $vgpr131
                                        ; implicit-def: $vgpr132
                                        ; implicit-def: $vgpr133
                                        ; implicit-def: $vgpr134
	s_wait_kmcnt 0x0
	v_mad_u32_u24 v29, v89, s16, v91
	v_cmp_lt_u32_e64 s16, 3, v28
	s_delay_alu instid0(VALU_DEP_2) | instskip(NEXT) | instid1(VALU_DEP_1)
	v_mad_u32 v28, v29, s17, v2
	v_lshrrev_b32_e32 v28, 3, v28
	s_delay_alu instid0(VALU_DEP_1)
	v_and_b32_e32 v114, 0x1ffffffc, v28
                                        ; implicit-def: $vgpr28_vgpr29
	s_branch .LBB391_1032
.LBB391_1031:                           ;   in Loop: Header=BB391_1032 Depth=2
	s_or_b32 exec_lo, exec_lo, s17
	s_addk_co_i32 s59, 0xef00
	s_cmp_lt_u32 s60, s54
	s_mov_b32 s34, s60
	s_cbranch_scc0 .LBB391_10
.LBB391_1032:                           ;   Parent Loop BB391_12 Depth=1
                                        ; =>  This Inner Loop Header: Depth=2
	s_add_co_i32 s60, s34, 0x1100
	s_delay_alu instid0(SALU_CYCLE_1)
	s_cmp_gt_u32 s60, s54
	s_cbranch_scc1 .LBB391_1034
; %bb.1033:                             ;   in Loop: Header=BB391_1032 Depth=2
	v_add_nc_u64_e32 v[62:63], s[34:35], v[24:25]
	s_mov_b32 s17, -1
	s_clause 0xf
	global_load_u8 v135, v[62:63], off offset:480
	global_load_u8 v65, v[62:63], off offset:448
	global_load_u8 v136, v[62:63], off offset:416
	global_load_u8 v64, v[62:63], off offset:384
	global_load_u8 v140, v[62:63], off offset:352
	global_load_u8 v139, v[62:63], off offset:320
	global_load_u8 v141, v[62:63], off offset:288
	global_load_u8 v138, v[62:63], off offset:256
	global_load_u8 v144, v[62:63], off offset:224
	global_load_u8 v143, v[62:63], off offset:192
	global_load_u8 v145, v[62:63], off offset:160
	global_load_u8 v142, v[62:63], off offset:128
	global_load_u8 v151, v[62:63], off offset:96
	global_load_u8 v148, v[62:63], off offset:64
	global_load_u8 v150, v[62:63], off offset:32
	global_load_u8 v147, v[62:63], off
	s_movk_i32 s18, 0x1100
	s_cbranch_execz .LBB391_1035
	s_branch .LBB391_1053
.LBB391_1034:                           ;   in Loop: Header=BB391_1032 Depth=2
	s_mov_b32 s17, 0
                                        ; implicit-def: $vgpr147
                                        ; implicit-def: $vgpr150
                                        ; implicit-def: $vgpr148
                                        ; implicit-def: $vgpr151
                                        ; implicit-def: $vgpr142
                                        ; implicit-def: $vgpr145
                                        ; implicit-def: $vgpr143
                                        ; implicit-def: $vgpr144
                                        ; implicit-def: $vgpr138
                                        ; implicit-def: $vgpr141
                                        ; implicit-def: $vgpr139
                                        ; implicit-def: $vgpr140
                                        ; implicit-def: $vgpr64
                                        ; implicit-def: $vgpr136
                                        ; implicit-def: $vgpr65
                                        ; implicit-def: $vgpr135
                                        ; implicit-def: $vgpr115
	s_movk_i32 s18, 0x1100
.LBB391_1035:                           ;   in Loop: Header=BB391_1032 Depth=2
	s_wait_xcnt 0x0
	v_add_nc_u64_e32 v[62:63], s[34:35], v[24:25]
	s_wait_loadcnt 0x1
	v_dual_mov_b32 v115, 0x7f :: v_dual_mov_b32 v150, 0x7f
	s_wait_loadcnt 0x0
	v_dual_mov_b32 v147, 0x7f :: v_dual_mov_b32 v148, 0x7f
	v_dual_mov_b32 v151, 0x7f :: v_dual_mov_b32 v142, 0x7f
	v_dual_mov_b32 v145, 0x7f :: v_dual_mov_b32 v144, 0x7f
	v_dual_mov_b32 v143, 0x7f :: v_dual_mov_b32 v138, 0x7f
	v_dual_mov_b32 v141, 0x7f :: v_dual_mov_b32 v140, 0x7f
	v_dual_mov_b32 v139, 0x7f :: v_dual_mov_b32 v64, 0x7f
	v_dual_mov_b32 v136, 0x7f :: v_dual_mov_b32 v65, 0x7f
	v_mov_b32_e32 v135, 0x7f
	s_mov_b32 s17, exec_lo
	v_cmpx_gt_u32_e64 s59, v97
	s_cbranch_execnz .LBB391_1239
; %bb.1036:                             ;   in Loop: Header=BB391_1032 Depth=2
	s_or_b32 exec_lo, exec_lo, s17
	s_delay_alu instid0(SALU_CYCLE_1)
	s_mov_b32 s17, exec_lo
	v_cmpx_gt_u32_e64 s59, v98
	s_cbranch_execnz .LBB391_1240
.LBB391_1037:                           ;   in Loop: Header=BB391_1032 Depth=2
	s_or_b32 exec_lo, exec_lo, s17
	s_delay_alu instid0(SALU_CYCLE_1)
	s_mov_b32 s17, exec_lo
	v_cmpx_gt_u32_e64 s59, v99
	s_cbranch_execnz .LBB391_1241
.LBB391_1038:                           ;   in Loop: Header=BB391_1032 Depth=2
	s_or_b32 exec_lo, exec_lo, s17
	s_delay_alu instid0(SALU_CYCLE_1)
	s_mov_b32 s17, exec_lo
	v_cmpx_gt_u32_e64 s59, v100
	s_cbranch_execnz .LBB391_1242
.LBB391_1039:                           ;   in Loop: Header=BB391_1032 Depth=2
	s_or_b32 exec_lo, exec_lo, s17
	s_delay_alu instid0(SALU_CYCLE_1)
	s_mov_b32 s17, exec_lo
	v_cmpx_gt_u32_e64 s59, v101
	s_cbranch_execnz .LBB391_1243
.LBB391_1040:                           ;   in Loop: Header=BB391_1032 Depth=2
	s_or_b32 exec_lo, exec_lo, s17
	s_delay_alu instid0(SALU_CYCLE_1)
	s_mov_b32 s17, exec_lo
	v_cmpx_gt_u32_e64 s59, v102
	s_cbranch_execnz .LBB391_1244
.LBB391_1041:                           ;   in Loop: Header=BB391_1032 Depth=2
	s_or_b32 exec_lo, exec_lo, s17
	s_delay_alu instid0(SALU_CYCLE_1)
	s_mov_b32 s17, exec_lo
	v_cmpx_gt_u32_e64 s59, v103
	s_cbranch_execnz .LBB391_1245
.LBB391_1042:                           ;   in Loop: Header=BB391_1032 Depth=2
	s_or_b32 exec_lo, exec_lo, s17
	s_delay_alu instid0(SALU_CYCLE_1)
	s_mov_b32 s17, exec_lo
	v_cmpx_gt_u32_e64 s59, v104
	s_cbranch_execnz .LBB391_1246
.LBB391_1043:                           ;   in Loop: Header=BB391_1032 Depth=2
	s_or_b32 exec_lo, exec_lo, s17
	s_delay_alu instid0(SALU_CYCLE_1)
	s_mov_b32 s17, exec_lo
	v_cmpx_gt_u32_e64 s59, v105
	s_cbranch_execnz .LBB391_1247
.LBB391_1044:                           ;   in Loop: Header=BB391_1032 Depth=2
	s_or_b32 exec_lo, exec_lo, s17
	s_delay_alu instid0(SALU_CYCLE_1)
	s_mov_b32 s17, exec_lo
	v_cmpx_gt_u32_e64 s59, v106
	s_cbranch_execnz .LBB391_1248
.LBB391_1045:                           ;   in Loop: Header=BB391_1032 Depth=2
	s_or_b32 exec_lo, exec_lo, s17
	s_delay_alu instid0(SALU_CYCLE_1)
	s_mov_b32 s17, exec_lo
	v_cmpx_gt_u32_e64 s59, v107
	s_cbranch_execnz .LBB391_1249
.LBB391_1046:                           ;   in Loop: Header=BB391_1032 Depth=2
	s_or_b32 exec_lo, exec_lo, s17
	s_delay_alu instid0(SALU_CYCLE_1)
	s_mov_b32 s17, exec_lo
	v_cmpx_gt_u32_e64 s59, v108
	s_cbranch_execnz .LBB391_1250
.LBB391_1047:                           ;   in Loop: Header=BB391_1032 Depth=2
	s_or_b32 exec_lo, exec_lo, s17
	s_delay_alu instid0(SALU_CYCLE_1)
	s_mov_b32 s17, exec_lo
	v_cmpx_gt_u32_e64 s59, v109
	s_cbranch_execnz .LBB391_1251
.LBB391_1048:                           ;   in Loop: Header=BB391_1032 Depth=2
	s_or_b32 exec_lo, exec_lo, s17
	s_delay_alu instid0(SALU_CYCLE_1)
	s_mov_b32 s17, exec_lo
	v_cmpx_gt_u32_e64 s59, v110
	s_cbranch_execnz .LBB391_1252
.LBB391_1049:                           ;   in Loop: Header=BB391_1032 Depth=2
	s_or_b32 exec_lo, exec_lo, s17
	s_delay_alu instid0(SALU_CYCLE_1)
	s_mov_b32 s17, exec_lo
	v_cmpx_gt_u32_e64 s59, v111
	s_cbranch_execnz .LBB391_1253
.LBB391_1050:                           ;   in Loop: Header=BB391_1032 Depth=2
	s_or_b32 exec_lo, exec_lo, s17
	s_delay_alu instid0(SALU_CYCLE_1)
	s_mov_b32 s17, exec_lo
	v_cmpx_gt_u32_e64 s59, v112
	s_cbranch_execz .LBB391_1052
.LBB391_1051:                           ;   in Loop: Header=BB391_1032 Depth=2
	global_load_u8 v135, v[62:63], off offset:480
.LBB391_1052:                           ;   in Loop: Header=BB391_1032 Depth=2
	s_wait_xcnt 0x0
	s_or_b32 exec_lo, exec_lo, s17
	v_cmp_gt_u32_e64 s17, s59, v113
	s_sub_co_i32 s18, s54, s34
.LBB391_1053:                           ;   in Loop: Header=BB391_1032 Depth=2
	v_mov_b32_e32 v137, s59
	s_wait_xcnt 0x0
	s_and_saveexec_b32 s19, s17
	s_cbranch_execz .LBB391_1055
; %bb.1054:                             ;   in Loop: Header=BB391_1032 Depth=2
	v_add_nc_u64_e32 v[62:63], s[34:35], v[24:25]
	v_mov_b32_e32 v137, s18
	global_load_u8 v115, v[62:63], off offset:512
.LBB391_1055:                           ;   in Loop: Header=BB391_1032 Depth=2
	s_wait_xcnt 0x0
	s_or_b32 exec_lo, exec_lo, s19
	s_wait_loadcnt 0x0
	v_bitop3_b16 v62, v147, s43, 0x80 bitop3:0x48
	ds_store_2addr_b32 v90, v1, v1 offset0:136 offset1:137
	ds_store_2addr_b32 v90, v1, v1 offset0:138 offset1:139
	ds_store_b32 v90, v1 offset:560
	s_wait_dscnt 0x0
	s_barrier_signal -1
	s_barrier_wait -1
	v_and_b32_e32 v62, 0xffff, v62
	; wave barrier
	s_delay_alu instid0(VALU_DEP_1) | instskip(NEXT) | instid1(VALU_DEP_1)
	v_lshrrev_b32_e32 v62, s49, v62
	v_and_b32_e32 v149, s58, v62
	s_delay_alu instid0(VALU_DEP_1) | instskip(SKIP_1) | instid1(VALU_DEP_1)
	v_lshlrev_b32_e32 v146, 30, v149
	v_bitop3_b32 v63, v62, 1, s58 bitop3:0x80
	v_add_co_u32 v62, s17, v63, -1
	s_delay_alu instid0(VALU_DEP_1) | instskip(NEXT) | instid1(VALU_DEP_4)
	v_cndmask_b32_e64 v63, 0, 1, s17
	v_cmp_gt_i32_e64 s17, 0, v146
	s_delay_alu instid0(VALU_DEP_2) | instskip(SKIP_2) | instid1(VALU_DEP_2)
	v_cmp_ne_u32_e32 vcc_lo, 0, v63
	v_not_b32_e32 v63, v146
	v_bitop3_b32 v62, vcc_lo, exec_lo, v62 bitop3:0x48
	v_dual_ashrrev_i32 v63, 31, v63 :: v_dual_lshlrev_b32 v152, 29, v149
	v_dual_lshlrev_b32 v153, 28, v149 :: v_dual_lshlrev_b32 v154, 27, v149
	v_lshlrev_b32_e32 v155, 26, v149
	s_delay_alu instid0(VALU_DEP_3)
	v_not_b32_e32 v146, v152
	v_lshlrev_b32_e32 v156, 25, v149
	v_cmp_gt_i32_e64 s18, 0, v152
	v_cmp_gt_i32_e64 s19, 0, v153
	v_not_b32_e32 v152, v153
	v_not_b32_e32 v153, v154
	v_ashrrev_i32_e32 v146, 31, v146
	v_cmp_gt_i32_e64 s20, 0, v154
	v_cmp_gt_i32_e64 s21, 0, v155
	v_not_b32_e32 v154, v155
	v_not_b32_e32 v155, v156
	v_dual_ashrrev_i32 v152, 31, v152 :: v_dual_ashrrev_i32 v153, 31, v153
	s_delay_alu instid0(VALU_DEP_3) | instskip(NEXT) | instid1(VALU_DEP_3)
	v_dual_ashrrev_i32 v154, 31, v154 :: v_dual_bitop2_b32 v63, s17, v63 bitop3:0x14
	v_dual_ashrrev_i32 v155, 31, v155 :: v_dual_bitop2_b32 v146, s18, v146 bitop3:0x14
	v_cmp_gt_i32_e64 s22, 0, v156
	s_delay_alu instid0(VALU_DEP_4) | instskip(SKIP_1) | instid1(VALU_DEP_4)
	v_xor_b32_e32 v152, s19, v152
	v_xor_b32_e32 v153, s20, v153
	v_bitop3_b32 v62, v62, v146, v63 bitop3:0x80
	v_xor_b32_e32 v63, s21, v154
	v_xor_b32_e32 v146, s22, v155
	s_delay_alu instid0(VALU_DEP_3) | instskip(NEXT) | instid1(VALU_DEP_1)
	v_bitop3_b32 v62, v62, v153, v152 bitop3:0x80
	v_bitop3_b32 v62, v62, v146, v63 bitop3:0x80
	v_mul_u32_u24_e32 v63, 36, v149
	s_delay_alu instid0(VALU_DEP_2) | instskip(SKIP_1) | instid1(VALU_DEP_3)
	v_mbcnt_lo_u32_b32 v146, v62, 0
	v_cmp_ne_u32_e64 s17, 0, v62
	v_add_nc_u32_e32 v149, v114, v63
	s_delay_alu instid0(VALU_DEP_3) | instskip(SKIP_1) | instid1(SALU_CYCLE_1)
	v_cmp_eq_u32_e32 vcc_lo, 0, v146
	s_and_b32 s18, s17, vcc_lo
	s_and_saveexec_b32 s17, s18
; %bb.1056:                             ;   in Loop: Header=BB391_1032 Depth=2
	v_bcnt_u32_b32 v62, v62, 0
	ds_store_b32 v149, v62 offset:544
; %bb.1057:                             ;   in Loop: Header=BB391_1032 Depth=2
	s_or_b32 exec_lo, exec_lo, s17
	v_xor_b32_e32 v62, 0x80, v150
	v_xor_b32_e32 v63, 0x80, v151
	;; [unrolled: 1-line block ×4, first 2 shown]
	s_delay_alu instid0(VALU_DEP_4) | instskip(NEXT) | instid1(VALU_DEP_4)
	v_lshlrev_b16 v62, 8, v62
	v_lshlrev_b16 v63, 8, v63
	; wave barrier
	s_delay_alu instid0(VALU_DEP_2) | instskip(NEXT) | instid1(VALU_DEP_2)
	v_bitop3_b16 v147, v147, v62, 0xff bitop3:0xec
	v_bitop3_b16 v62, v148, v63, 0xff bitop3:0xec
	s_delay_alu instid0(VALU_DEP_2) | instskip(NEXT) | instid1(VALU_DEP_2)
	v_and_b32_e32 v63, 0xffff, v147
	v_lshlrev_b32_e32 v62, 16, v62
	s_delay_alu instid0(VALU_DEP_1) | instskip(NEXT) | instid1(VALU_DEP_1)
	v_or_b32_e32 v148, v63, v62
	v_bfe_u32 v62, v148, 8, 8
	s_delay_alu instid0(VALU_DEP_1) | instskip(NEXT) | instid1(VALU_DEP_1)
	v_lshrrev_b32_e32 v62, s49, v62
	v_bitop3_b32 v63, v62, 1, s58 bitop3:0x80
	v_and_b32_e32 v152, s58, v62
	s_delay_alu instid0(VALU_DEP_2) | instskip(NEXT) | instid1(VALU_DEP_1)
	v_add_co_u32 v62, s17, v63, -1
	v_cndmask_b32_e64 v63, 0, 1, s17
	s_delay_alu instid0(VALU_DEP_3) | instskip(NEXT) | instid1(VALU_DEP_2)
	v_lshlrev_b32_e32 v150, 30, v152
	v_cmp_ne_u32_e32 vcc_lo, 0, v63
	s_delay_alu instid0(VALU_DEP_2) | instskip(SKIP_2) | instid1(VALU_DEP_3)
	v_not_b32_e32 v63, v150
	v_cmp_gt_i32_e64 s17, 0, v150
	v_bitop3_b32 v62, vcc_lo, exec_lo, v62 bitop3:0x48
	v_dual_ashrrev_i32 v63, 31, v63 :: v_dual_lshlrev_b32 v151, 29, v152
	v_dual_lshlrev_b32 v153, 28, v152 :: v_dual_lshlrev_b32 v154, 27, v152
	v_lshlrev_b32_e32 v155, 26, v152
	s_delay_alu instid0(VALU_DEP_3)
	v_not_b32_e32 v150, v151
	v_lshlrev_b32_e32 v156, 25, v152
	v_cmp_gt_i32_e64 s18, 0, v151
	v_cmp_gt_i32_e64 s19, 0, v153
	v_not_b32_e32 v151, v153
	v_ashrrev_i32_e32 v150, 31, v150
	v_cmp_gt_i32_e64 s20, 0, v154
	v_not_b32_e32 v153, v154
	v_cmp_gt_i32_e64 s21, 0, v155
	v_not_b32_e32 v154, v155
	v_not_b32_e32 v155, v156
	v_xor_b32_e32 v63, s17, v63
	v_dual_ashrrev_i32 v151, 31, v151 :: v_dual_bitop2_b32 v150, s18, v150 bitop3:0x14
	s_delay_alu instid0(VALU_DEP_4) | instskip(NEXT) | instid1(VALU_DEP_4)
	v_dual_ashrrev_i32 v153, 31, v153 :: v_dual_ashrrev_i32 v154, 31, v154
	v_ashrrev_i32_e32 v155, 31, v155
	s_delay_alu instid0(VALU_DEP_3)
	v_bitop3_b32 v62, v62, v150, v63 bitop3:0x80
	v_mad_u32_u24 v63, v152, 36, v114
	v_cmp_gt_i32_e64 s22, 0, v156
	v_xor_b32_e32 v151, s19, v151
	v_xor_b32_e32 v154, s21, v154
	ds_load_b32 v150, v63 offset:544
	v_mul_u32_u24_e32 v63, 36, v152
	v_xor_b32_e32 v153, s20, v153
	v_xor_b32_e32 v155, s22, v155
	; wave barrier
	s_delay_alu instid0(VALU_DEP_3) | instskip(NEXT) | instid1(VALU_DEP_3)
	v_add_nc_u32_e32 v152, v114, v63
	v_bitop3_b32 v62, v62, v153, v151 bitop3:0x80
	s_delay_alu instid0(VALU_DEP_1) | instskip(NEXT) | instid1(VALU_DEP_1)
	v_bitop3_b32 v62, v62, v155, v154 bitop3:0x80
	v_mbcnt_lo_u32_b32 v151, v62, 0
	v_cmp_ne_u32_e64 s17, 0, v62
	s_delay_alu instid0(VALU_DEP_2) | instskip(SKIP_1) | instid1(SALU_CYCLE_1)
	v_cmp_eq_u32_e32 vcc_lo, 0, v151
	s_and_b32 s18, s17, vcc_lo
	s_and_saveexec_b32 s17, s18
	s_cbranch_execz .LBB391_1059
; %bb.1058:                             ;   in Loop: Header=BB391_1032 Depth=2
	s_wait_dscnt 0x0
	v_bcnt_u32_b32 v62, v62, v150
	ds_store_b32 v152, v62 offset:544
.LBB391_1059:                           ;   in Loop: Header=BB391_1032 Depth=2
	s_or_b32 exec_lo, exec_lo, s17
	v_bfe_u32 v62, v148, 16, 8
	; wave barrier
	s_delay_alu instid0(VALU_DEP_1) | instskip(NEXT) | instid1(VALU_DEP_1)
	v_lshrrev_b32_e32 v62, s49, v62
	v_and_b32_e32 v155, s58, v62
	s_delay_alu instid0(VALU_DEP_1) | instskip(SKIP_1) | instid1(VALU_DEP_1)
	v_lshlrev_b32_e32 v153, 30, v155
	v_bitop3_b32 v63, v62, 1, s58 bitop3:0x80
	v_add_co_u32 v62, s17, v63, -1
	s_delay_alu instid0(VALU_DEP_1) | instskip(NEXT) | instid1(VALU_DEP_4)
	v_cndmask_b32_e64 v63, 0, 1, s17
	v_cmp_gt_i32_e64 s17, 0, v153
	s_delay_alu instid0(VALU_DEP_2) | instskip(SKIP_2) | instid1(VALU_DEP_2)
	v_cmp_ne_u32_e32 vcc_lo, 0, v63
	v_not_b32_e32 v63, v153
	v_bitop3_b32 v62, vcc_lo, exec_lo, v62 bitop3:0x48
	v_ashrrev_i32_e32 v63, 31, v63
	v_dual_lshlrev_b32 v154, 29, v155 :: v_dual_lshlrev_b32 v156, 28, v155
	v_dual_lshlrev_b32 v157, 27, v155 :: v_dual_lshlrev_b32 v158, 26, v155
	s_delay_alu instid0(VALU_DEP_2)
	v_not_b32_e32 v153, v154
	v_lshlrev_b32_e32 v159, 25, v155
	v_cmp_gt_i32_e64 s18, 0, v154
	v_cmp_gt_i32_e64 s19, 0, v156
	v_not_b32_e32 v154, v156
	v_not_b32_e32 v156, v157
	v_ashrrev_i32_e32 v153, 31, v153
	v_cmp_gt_i32_e64 s20, 0, v157
	v_cmp_gt_i32_e64 s21, 0, v158
	v_not_b32_e32 v157, v158
	v_dual_ashrrev_i32 v154, 31, v154 :: v_dual_ashrrev_i32 v156, 31, v156
	v_xor_b32_e32 v63, s17, v63
	v_not_b32_e32 v158, v159
	v_xor_b32_e32 v153, s18, v153
	s_delay_alu instid0(VALU_DEP_4) | instskip(SKIP_2) | instid1(VALU_DEP_4)
	v_dual_ashrrev_i32 v157, 31, v157 :: v_dual_bitop2_b32 v154, s19, v154 bitop3:0x14
	v_xor_b32_e32 v156, s20, v156
	v_cmp_gt_i32_e32 vcc_lo, 0, v159
	v_bitop3_b32 v62, v62, v153, v63 bitop3:0x80
	v_ashrrev_i32_e32 v63, 31, v158
	v_mad_u32_u24 v153, v155, 36, v114
	v_xor_b32_e32 v157, s21, v157
	s_delay_alu instid0(VALU_DEP_4) | instskip(NEXT) | instid1(VALU_DEP_4)
	v_bitop3_b32 v62, v62, v156, v154 bitop3:0x80
	v_xor_b32_e32 v63, vcc_lo, v63
	ds_load_b32 v153, v153 offset:544
	; wave barrier
	v_bitop3_b32 v62, v62, v63, v157 bitop3:0x80
	v_mul_u32_u24_e32 v63, 36, v155
	s_delay_alu instid0(VALU_DEP_2) | instskip(SKIP_1) | instid1(VALU_DEP_3)
	v_mbcnt_lo_u32_b32 v154, v62, 0
	v_cmp_ne_u32_e64 s17, 0, v62
	v_add_nc_u32_e32 v156, v114, v63
	s_delay_alu instid0(VALU_DEP_3) | instskip(SKIP_1) | instid1(SALU_CYCLE_1)
	v_cmp_eq_u32_e32 vcc_lo, 0, v154
	s_and_b32 s18, s17, vcc_lo
	s_and_saveexec_b32 s17, s18
	s_cbranch_execz .LBB391_1061
; %bb.1060:                             ;   in Loop: Header=BB391_1032 Depth=2
	s_wait_dscnt 0x0
	v_bcnt_u32_b32 v62, v62, v153
	ds_store_b32 v156, v62 offset:544
.LBB391_1061:                           ;   in Loop: Header=BB391_1032 Depth=2
	s_or_b32 exec_lo, exec_lo, s17
	v_lshrrev_b32_e32 v155, 24, v148
	; wave barrier
	s_delay_alu instid0(VALU_DEP_1) | instskip(NEXT) | instid1(VALU_DEP_1)
	v_lshrrev_b32_e32 v62, s49, v155
	v_bitop3_b32 v63, v62, 1, s58 bitop3:0x80
	v_and_b32_e32 v159, s58, v62
	s_delay_alu instid0(VALU_DEP_2) | instskip(NEXT) | instid1(VALU_DEP_1)
	v_add_co_u32 v62, s17, v63, -1
	v_cndmask_b32_e64 v63, 0, 1, s17
	s_delay_alu instid0(VALU_DEP_3) | instskip(SKIP_1) | instid1(VALU_DEP_3)
	v_dual_lshlrev_b32 v157, 30, v159 :: v_dual_lshlrev_b32 v158, 29, v159
	v_dual_lshlrev_b32 v160, 28, v159 :: v_dual_lshlrev_b32 v161, 27, v159
	v_cmp_ne_u32_e32 vcc_lo, 0, v63
	s_delay_alu instid0(VALU_DEP_3)
	v_cmp_gt_i32_e64 s17, 0, v157
	v_not_b32_e32 v63, v157
	v_not_b32_e32 v157, v158
	v_dual_lshlrev_b32 v162, 26, v159 :: v_dual_lshlrev_b32 v163, 25, v159
	v_cmp_gt_i32_e64 s18, 0, v158
	v_cmp_gt_i32_e64 s19, 0, v160
	v_not_b32_e32 v158, v160
	v_not_b32_e32 v160, v161
	v_dual_ashrrev_i32 v63, 31, v63 :: v_dual_ashrrev_i32 v157, 31, v157
	v_cmp_gt_i32_e64 s20, 0, v161
	v_cmp_gt_i32_e64 s21, 0, v162
	v_not_b32_e32 v161, v162
	v_bitop3_b32 v62, vcc_lo, exec_lo, v62 bitop3:0x48
	v_dual_ashrrev_i32 v158, 31, v158 :: v_dual_ashrrev_i32 v160, 31, v160
	v_xor_b32_e32 v63, s17, v63
	v_not_b32_e32 v162, v163
	v_xor_b32_e32 v157, s18, v157
	s_delay_alu instid0(VALU_DEP_4) | instskip(SKIP_2) | instid1(VALU_DEP_4)
	v_dual_ashrrev_i32 v161, 31, v161 :: v_dual_bitop2_b32 v158, s19, v158 bitop3:0x14
	v_xor_b32_e32 v160, s20, v160
	v_cmp_gt_i32_e32 vcc_lo, 0, v163
	v_bitop3_b32 v62, v62, v157, v63 bitop3:0x80
	v_ashrrev_i32_e32 v63, 31, v162
	v_mad_u32_u24 v157, v159, 36, v114
	v_xor_b32_e32 v161, s21, v161
	s_delay_alu instid0(VALU_DEP_4) | instskip(NEXT) | instid1(VALU_DEP_4)
	v_bitop3_b32 v62, v62, v160, v158 bitop3:0x80
	v_xor_b32_e32 v63, vcc_lo, v63
	ds_load_b32 v157, v157 offset:544
	; wave barrier
	v_bitop3_b32 v62, v62, v63, v161 bitop3:0x80
	v_mul_u32_u24_e32 v63, 36, v159
	s_delay_alu instid0(VALU_DEP_2) | instskip(SKIP_1) | instid1(VALU_DEP_3)
	v_mbcnt_lo_u32_b32 v158, v62, 0
	v_cmp_ne_u32_e64 s17, 0, v62
	v_add_nc_u32_e32 v159, v114, v63
	s_delay_alu instid0(VALU_DEP_3) | instskip(SKIP_1) | instid1(SALU_CYCLE_1)
	v_cmp_eq_u32_e32 vcc_lo, 0, v158
	s_and_b32 s18, s17, vcc_lo
	s_and_saveexec_b32 s17, s18
	s_cbranch_execz .LBB391_1063
; %bb.1062:                             ;   in Loop: Header=BB391_1032 Depth=2
	s_wait_dscnt 0x0
	v_bcnt_u32_b32 v62, v62, v157
	ds_store_b32 v159, v62 offset:544
.LBB391_1063:                           ;   in Loop: Header=BB391_1032 Depth=2
	s_or_b32 exec_lo, exec_lo, s17
	v_bitop3_b16 v62, v142, s43, 0x80 bitop3:0x48
	; wave barrier
	s_delay_alu instid0(VALU_DEP_1) | instskip(NEXT) | instid1(VALU_DEP_1)
	v_and_b32_e32 v62, 0xffff, v62
	v_lshrrev_b32_e32 v62, s49, v62
	s_delay_alu instid0(VALU_DEP_1) | instskip(SKIP_1) | instid1(VALU_DEP_2)
	v_bitop3_b32 v63, v62, 1, s58 bitop3:0x80
	v_and_b32_e32 v162, s58, v62
	v_add_co_u32 v62, s17, v63, -1
	s_delay_alu instid0(VALU_DEP_1) | instskip(NEXT) | instid1(VALU_DEP_3)
	v_cndmask_b32_e64 v63, 0, 1, s17
	v_dual_lshlrev_b32 v160, 30, v162 :: v_dual_lshlrev_b32 v161, 29, v162
	s_delay_alu instid0(VALU_DEP_2) | instskip(NEXT) | instid1(VALU_DEP_2)
	v_cmp_ne_u32_e32 vcc_lo, 0, v63
	v_cmp_gt_i32_e64 s17, 0, v160
	v_not_b32_e32 v63, v160
	s_delay_alu instid0(VALU_DEP_4) | instskip(SKIP_2) | instid1(VALU_DEP_3)
	v_not_b32_e32 v160, v161
	v_cmp_gt_i32_e64 s18, 0, v161
	v_bitop3_b32 v62, vcc_lo, exec_lo, v62 bitop3:0x48
	v_dual_ashrrev_i32 v63, 31, v63 :: v_dual_ashrrev_i32 v160, 31, v160
	v_dual_lshlrev_b32 v163, 28, v162 :: v_dual_lshlrev_b32 v164, 27, v162
	v_dual_lshlrev_b32 v165, 26, v162 :: v_dual_lshlrev_b32 v166, 25, v162
	s_delay_alu instid0(VALU_DEP_2) | instskip(SKIP_1) | instid1(VALU_DEP_4)
	v_cmp_gt_i32_e64 s19, 0, v163
	v_not_b32_e32 v161, v163
	v_cmp_gt_i32_e64 s20, 0, v164
	v_not_b32_e32 v163, v164
	;; [unrolled: 2-line block ×3, first 2 shown]
	v_not_b32_e32 v165, v166
	v_xor_b32_e32 v63, s17, v63
	v_dual_ashrrev_i32 v161, 31, v161 :: v_dual_bitop2_b32 v160, s18, v160 bitop3:0x14
	s_delay_alu instid0(VALU_DEP_4) | instskip(NEXT) | instid1(VALU_DEP_4)
	v_dual_ashrrev_i32 v163, 31, v163 :: v_dual_ashrrev_i32 v164, 31, v164
	v_ashrrev_i32_e32 v165, 31, v165
	s_delay_alu instid0(VALU_DEP_3)
	v_bitop3_b32 v62, v62, v160, v63 bitop3:0x80
	v_mad_u32_u24 v63, v162, 36, v114
	v_cmp_gt_i32_e64 s22, 0, v166
	v_xor_b32_e32 v163, s20, v163
	v_xor_b32_e32 v164, s21, v164
	ds_load_b32 v160, v63 offset:544
	v_mul_u32_u24_e32 v63, 36, v162
	v_xor_b32_e32 v161, s19, v161
	v_xor_b32_e32 v165, s22, v165
	; wave barrier
	s_delay_alu instid0(VALU_DEP_3) | instskip(NEXT) | instid1(VALU_DEP_3)
	v_add_nc_u32_e32 v162, v114, v63
	v_bitop3_b32 v62, v62, v163, v161 bitop3:0x80
	s_delay_alu instid0(VALU_DEP_1) | instskip(NEXT) | instid1(VALU_DEP_1)
	v_bitop3_b32 v62, v62, v165, v164 bitop3:0x80
	v_mbcnt_lo_u32_b32 v161, v62, 0
	v_cmp_ne_u32_e64 s17, 0, v62
	s_delay_alu instid0(VALU_DEP_2) | instskip(SKIP_1) | instid1(SALU_CYCLE_1)
	v_cmp_eq_u32_e32 vcc_lo, 0, v161
	s_and_b32 s18, s17, vcc_lo
	s_and_saveexec_b32 s17, s18
	s_cbranch_execz .LBB391_1065
; %bb.1064:                             ;   in Loop: Header=BB391_1032 Depth=2
	s_wait_dscnt 0x0
	v_bcnt_u32_b32 v62, v62, v160
	ds_store_b32 v162, v62 offset:544
.LBB391_1065:                           ;   in Loop: Header=BB391_1032 Depth=2
	s_or_b32 exec_lo, exec_lo, s17
	v_xor_b32_e32 v62, 0x80, v145
	v_xor_b32_e32 v63, 0x80, v144
	;; [unrolled: 1-line block ×4, first 2 shown]
	s_delay_alu instid0(VALU_DEP_4) | instskip(NEXT) | instid1(VALU_DEP_4)
	v_lshlrev_b16 v62, 8, v62
	v_lshlrev_b16 v63, 8, v63
	; wave barrier
	s_delay_alu instid0(VALU_DEP_2) | instskip(NEXT) | instid1(VALU_DEP_2)
	v_bitop3_b16 v142, v142, v62, 0xff bitop3:0xec
	v_bitop3_b16 v62, v143, v63, 0xff bitop3:0xec
	s_delay_alu instid0(VALU_DEP_2) | instskip(NEXT) | instid1(VALU_DEP_2)
	v_and_b32_e32 v63, 0xffff, v142
	v_lshlrev_b32_e32 v62, 16, v62
	s_delay_alu instid0(VALU_DEP_1) | instskip(NEXT) | instid1(VALU_DEP_1)
	v_or_b32_e32 v143, v63, v62
	v_bfe_u32 v62, v143, 8, 8
	s_delay_alu instid0(VALU_DEP_1) | instskip(NEXT) | instid1(VALU_DEP_1)
	v_lshrrev_b32_e32 v62, s49, v62
	v_bitop3_b32 v63, v62, 1, s58 bitop3:0x80
	v_and_b32_e32 v163, s58, v62
	s_delay_alu instid0(VALU_DEP_2) | instskip(NEXT) | instid1(VALU_DEP_1)
	v_add_co_u32 v62, s17, v63, -1
	v_cndmask_b32_e64 v63, 0, 1, s17
	s_delay_alu instid0(VALU_DEP_3) | instskip(NEXT) | instid1(VALU_DEP_2)
	v_lshlrev_b32_e32 v144, 30, v163
	v_cmp_ne_u32_e32 vcc_lo, 0, v63
	s_delay_alu instid0(VALU_DEP_2) | instskip(SKIP_2) | instid1(VALU_DEP_3)
	v_not_b32_e32 v63, v144
	v_cmp_gt_i32_e64 s17, 0, v144
	v_bitop3_b32 v62, vcc_lo, exec_lo, v62 bitop3:0x48
	v_ashrrev_i32_e32 v63, 31, v63
	v_dual_lshlrev_b32 v145, 29, v163 :: v_dual_lshlrev_b32 v164, 28, v163
	v_dual_lshlrev_b32 v165, 27, v163 :: v_dual_lshlrev_b32 v166, 26, v163
	s_delay_alu instid0(VALU_DEP_2)
	v_not_b32_e32 v144, v145
	v_lshlrev_b32_e32 v167, 25, v163
	v_cmp_gt_i32_e64 s18, 0, v145
	v_cmp_gt_i32_e64 s19, 0, v164
	v_not_b32_e32 v145, v164
	v_ashrrev_i32_e32 v144, 31, v144
	v_cmp_gt_i32_e64 s20, 0, v165
	v_not_b32_e32 v164, v165
	v_cmp_gt_i32_e64 s21, 0, v166
	v_not_b32_e32 v165, v166
	v_not_b32_e32 v166, v167
	v_xor_b32_e32 v63, s17, v63
	v_dual_ashrrev_i32 v145, 31, v145 :: v_dual_bitop2_b32 v144, s18, v144 bitop3:0x14
	s_delay_alu instid0(VALU_DEP_4) | instskip(NEXT) | instid1(VALU_DEP_4)
	v_dual_ashrrev_i32 v164, 31, v164 :: v_dual_ashrrev_i32 v165, 31, v165
	v_ashrrev_i32_e32 v166, 31, v166
	s_delay_alu instid0(VALU_DEP_3)
	v_bitop3_b32 v62, v62, v144, v63 bitop3:0x80
	v_mad_u32_u24 v63, v163, 36, v114
	v_cmp_gt_i32_e64 s22, 0, v167
	v_xor_b32_e32 v164, s20, v164
	v_xor_b32_e32 v165, s21, v165
	ds_load_b32 v144, v63 offset:544
	v_mul_u32_u24_e32 v63, 36, v163
	v_xor_b32_e32 v145, s19, v145
	v_xor_b32_e32 v166, s22, v166
	; wave barrier
	s_delay_alu instid0(VALU_DEP_3) | instskip(NEXT) | instid1(VALU_DEP_3)
	v_add_nc_u32_e32 v163, v114, v63
	v_bitop3_b32 v62, v62, v164, v145 bitop3:0x80
	s_delay_alu instid0(VALU_DEP_1) | instskip(NEXT) | instid1(VALU_DEP_1)
	v_bitop3_b32 v62, v62, v166, v165 bitop3:0x80
	v_mbcnt_lo_u32_b32 v145, v62, 0
	v_cmp_ne_u32_e64 s17, 0, v62
	s_delay_alu instid0(VALU_DEP_2) | instskip(SKIP_1) | instid1(SALU_CYCLE_1)
	v_cmp_eq_u32_e32 vcc_lo, 0, v145
	s_and_b32 s18, s17, vcc_lo
	s_and_saveexec_b32 s17, s18
	s_cbranch_execz .LBB391_1067
; %bb.1066:                             ;   in Loop: Header=BB391_1032 Depth=2
	s_wait_dscnt 0x0
	v_bcnt_u32_b32 v62, v62, v144
	ds_store_b32 v163, v62 offset:544
.LBB391_1067:                           ;   in Loop: Header=BB391_1032 Depth=2
	s_or_b32 exec_lo, exec_lo, s17
	v_bfe_u32 v62, v143, 16, 8
	; wave barrier
	s_delay_alu instid0(VALU_DEP_1) | instskip(NEXT) | instid1(VALU_DEP_1)
	v_lshrrev_b32_e32 v62, s49, v62
	v_bitop3_b32 v63, v62, 1, s58 bitop3:0x80
	v_and_b32_e32 v166, s58, v62
	s_delay_alu instid0(VALU_DEP_2) | instskip(NEXT) | instid1(VALU_DEP_1)
	v_add_co_u32 v62, s17, v63, -1
	v_cndmask_b32_e64 v63, 0, 1, s17
	s_delay_alu instid0(VALU_DEP_3) | instskip(NEXT) | instid1(VALU_DEP_2)
	v_dual_lshlrev_b32 v164, 30, v166 :: v_dual_lshlrev_b32 v165, 29, v166
	v_cmp_ne_u32_e32 vcc_lo, 0, v63
	s_delay_alu instid0(VALU_DEP_2) | instskip(SKIP_1) | instid1(VALU_DEP_4)
	v_cmp_gt_i32_e64 s17, 0, v164
	v_not_b32_e32 v63, v164
	v_not_b32_e32 v164, v165
	v_cmp_gt_i32_e64 s18, 0, v165
	v_bitop3_b32 v62, vcc_lo, exec_lo, v62 bitop3:0x48
	s_delay_alu instid0(VALU_DEP_3) | instskip(SKIP_2) | instid1(VALU_DEP_2)
	v_dual_ashrrev_i32 v63, 31, v63 :: v_dual_ashrrev_i32 v164, 31, v164
	v_dual_lshlrev_b32 v167, 28, v166 :: v_dual_lshlrev_b32 v168, 27, v166
	v_dual_lshlrev_b32 v169, 26, v166 :: v_dual_lshlrev_b32 v170, 25, v166
	v_cmp_gt_i32_e64 s19, 0, v167
	v_not_b32_e32 v165, v167
	s_delay_alu instid0(VALU_DEP_4) | instskip(SKIP_3) | instid1(VALU_DEP_4)
	v_not_b32_e32 v167, v168
	v_cmp_gt_i32_e64 s20, 0, v168
	v_cmp_gt_i32_e64 s21, 0, v169
	v_not_b32_e32 v168, v169
	v_dual_ashrrev_i32 v165, 31, v165 :: v_dual_ashrrev_i32 v167, 31, v167
	v_xor_b32_e32 v63, s17, v63
	v_not_b32_e32 v169, v170
	v_xor_b32_e32 v164, s18, v164
	s_delay_alu instid0(VALU_DEP_4) | instskip(SKIP_2) | instid1(VALU_DEP_4)
	v_dual_ashrrev_i32 v168, 31, v168 :: v_dual_bitop2_b32 v165, s19, v165 bitop3:0x14
	v_xor_b32_e32 v167, s20, v167
	v_cmp_gt_i32_e32 vcc_lo, 0, v170
	v_bitop3_b32 v62, v62, v164, v63 bitop3:0x80
	v_ashrrev_i32_e32 v63, 31, v169
	v_mad_u32_u24 v164, v166, 36, v114
	v_xor_b32_e32 v168, s21, v168
	s_delay_alu instid0(VALU_DEP_4) | instskip(NEXT) | instid1(VALU_DEP_4)
	v_bitop3_b32 v62, v62, v167, v165 bitop3:0x80
	v_xor_b32_e32 v63, vcc_lo, v63
	ds_load_b32 v164, v164 offset:544
	; wave barrier
	v_bitop3_b32 v62, v62, v63, v168 bitop3:0x80
	v_mul_u32_u24_e32 v63, 36, v166
	s_delay_alu instid0(VALU_DEP_2) | instskip(SKIP_1) | instid1(VALU_DEP_3)
	v_mbcnt_lo_u32_b32 v165, v62, 0
	v_cmp_ne_u32_e64 s17, 0, v62
	v_add_nc_u32_e32 v167, v114, v63
	s_delay_alu instid0(VALU_DEP_3) | instskip(SKIP_1) | instid1(SALU_CYCLE_1)
	v_cmp_eq_u32_e32 vcc_lo, 0, v165
	s_and_b32 s18, s17, vcc_lo
	s_and_saveexec_b32 s17, s18
	s_cbranch_execz .LBB391_1069
; %bb.1068:                             ;   in Loop: Header=BB391_1032 Depth=2
	s_wait_dscnt 0x0
	v_bcnt_u32_b32 v62, v62, v164
	ds_store_b32 v167, v62 offset:544
.LBB391_1069:                           ;   in Loop: Header=BB391_1032 Depth=2
	s_or_b32 exec_lo, exec_lo, s17
	v_lshrrev_b32_e32 v166, 24, v143
	; wave barrier
	s_delay_alu instid0(VALU_DEP_1) | instskip(NEXT) | instid1(VALU_DEP_1)
	v_lshrrev_b32_e32 v62, s49, v166
	v_bitop3_b32 v63, v62, 1, s58 bitop3:0x80
	v_and_b32_e32 v170, s58, v62
	s_delay_alu instid0(VALU_DEP_2) | instskip(NEXT) | instid1(VALU_DEP_1)
	v_add_co_u32 v62, s17, v63, -1
	v_cndmask_b32_e64 v63, 0, 1, s17
	s_delay_alu instid0(VALU_DEP_3) | instskip(SKIP_1) | instid1(VALU_DEP_3)
	v_dual_lshlrev_b32 v168, 30, v170 :: v_dual_lshlrev_b32 v169, 29, v170
	v_dual_lshlrev_b32 v171, 28, v170 :: v_dual_lshlrev_b32 v172, 27, v170
	v_cmp_ne_u32_e32 vcc_lo, 0, v63
	s_delay_alu instid0(VALU_DEP_3)
	v_cmp_gt_i32_e64 s17, 0, v168
	v_not_b32_e32 v63, v168
	v_not_b32_e32 v168, v169
	v_dual_lshlrev_b32 v173, 26, v170 :: v_dual_lshlrev_b32 v174, 25, v170
	v_cmp_gt_i32_e64 s18, 0, v169
	v_cmp_gt_i32_e64 s19, 0, v171
	v_not_b32_e32 v169, v171
	v_not_b32_e32 v171, v172
	v_dual_ashrrev_i32 v63, 31, v63 :: v_dual_ashrrev_i32 v168, 31, v168
	v_cmp_gt_i32_e64 s20, 0, v172
	v_cmp_gt_i32_e64 s21, 0, v173
	v_not_b32_e32 v172, v173
	v_bitop3_b32 v62, vcc_lo, exec_lo, v62 bitop3:0x48
	v_dual_ashrrev_i32 v169, 31, v169 :: v_dual_ashrrev_i32 v171, 31, v171
	v_xor_b32_e32 v168, s18, v168
	s_delay_alu instid0(VALU_DEP_4) | instskip(SKIP_1) | instid1(VALU_DEP_4)
	v_dual_ashrrev_i32 v172, 31, v172 :: v_dual_bitop2_b32 v63, s17, v63 bitop3:0x14
	v_not_b32_e32 v173, v174
	v_xor_b32_e32 v169, s19, v169
	v_xor_b32_e32 v171, s20, v171
	s_delay_alu instid0(VALU_DEP_4)
	v_bitop3_b32 v62, v62, v168, v63 bitop3:0x80
	v_cmp_gt_i32_e32 vcc_lo, 0, v174
	v_ashrrev_i32_e32 v63, 31, v173
	v_mad_u32_u24 v168, v170, 36, v114
	v_xor_b32_e32 v172, s21, v172
	v_bitop3_b32 v62, v62, v171, v169 bitop3:0x80
	s_delay_alu instid0(VALU_DEP_4) | instskip(SKIP_3) | instid1(VALU_DEP_2)
	v_xor_b32_e32 v63, vcc_lo, v63
	ds_load_b32 v168, v168 offset:544
	; wave barrier
	v_bitop3_b32 v62, v62, v63, v172 bitop3:0x80
	v_mul_u32_u24_e32 v63, 36, v170
	v_mbcnt_lo_u32_b32 v169, v62, 0
	v_cmp_ne_u32_e64 s17, 0, v62
	s_delay_alu instid0(VALU_DEP_3) | instskip(NEXT) | instid1(VALU_DEP_3)
	v_add_nc_u32_e32 v170, v114, v63
	v_cmp_eq_u32_e32 vcc_lo, 0, v169
	s_and_b32 s18, s17, vcc_lo
	s_delay_alu instid0(SALU_CYCLE_1)
	s_and_saveexec_b32 s17, s18
	s_cbranch_execz .LBB391_1071
; %bb.1070:                             ;   in Loop: Header=BB391_1032 Depth=2
	s_wait_dscnt 0x0
	v_bcnt_u32_b32 v62, v62, v168
	ds_store_b32 v170, v62 offset:544
.LBB391_1071:                           ;   in Loop: Header=BB391_1032 Depth=2
	s_or_b32 exec_lo, exec_lo, s17
	v_bitop3_b16 v62, v138, s43, 0x80 bitop3:0x48
	; wave barrier
	s_delay_alu instid0(VALU_DEP_1) | instskip(NEXT) | instid1(VALU_DEP_1)
	v_and_b32_e32 v62, 0xffff, v62
	v_lshrrev_b32_e32 v62, s49, v62
	s_delay_alu instid0(VALU_DEP_1) | instskip(NEXT) | instid1(VALU_DEP_1)
	v_and_b32_e32 v173, s58, v62
	v_lshlrev_b32_e32 v171, 30, v173
	v_bitop3_b32 v63, v62, 1, s58 bitop3:0x80
	s_delay_alu instid0(VALU_DEP_1) | instskip(NEXT) | instid1(VALU_DEP_1)
	v_add_co_u32 v62, s17, v63, -1
	v_cndmask_b32_e64 v63, 0, 1, s17
	s_delay_alu instid0(VALU_DEP_4) | instskip(NEXT) | instid1(VALU_DEP_2)
	v_cmp_gt_i32_e64 s17, 0, v171
	v_cmp_ne_u32_e32 vcc_lo, 0, v63
	v_not_b32_e32 v63, v171
	v_bitop3_b32 v62, vcc_lo, exec_lo, v62 bitop3:0x48
	s_delay_alu instid0(VALU_DEP_2) | instskip(SKIP_2) | instid1(VALU_DEP_3)
	v_dual_ashrrev_i32 v63, 31, v63 :: v_dual_lshlrev_b32 v172, 29, v173
	v_dual_lshlrev_b32 v174, 28, v173 :: v_dual_lshlrev_b32 v175, 27, v173
	v_lshlrev_b32_e32 v176, 26, v173
	v_not_b32_e32 v171, v172
	v_lshlrev_b32_e32 v177, 25, v173
	v_cmp_gt_i32_e64 s18, 0, v172
	v_cmp_gt_i32_e64 s19, 0, v174
	v_not_b32_e32 v172, v174
	v_ashrrev_i32_e32 v171, 31, v171
	v_cmp_gt_i32_e64 s20, 0, v175
	v_not_b32_e32 v174, v175
	v_cmp_gt_i32_e64 s21, 0, v176
	v_not_b32_e32 v175, v176
	v_not_b32_e32 v176, v177
	v_xor_b32_e32 v63, s17, v63
	v_dual_ashrrev_i32 v172, 31, v172 :: v_dual_bitop2_b32 v171, s18, v171 bitop3:0x14
	s_delay_alu instid0(VALU_DEP_3) | instskip(SKIP_1) | instid1(VALU_DEP_3)
	v_dual_ashrrev_i32 v174, 31, v174 :: v_dual_ashrrev_i32 v176, 31, v176
	v_cmp_gt_i32_e64 s22, 0, v177
	v_bitop3_b32 v62, v62, v171, v63 bitop3:0x80
	v_mad_u32_u24 v63, v173, 36, v114
	v_dual_ashrrev_i32 v175, 31, v175 :: v_dual_bitop2_b32 v172, s19, v172 bitop3:0x14
	s_delay_alu instid0(VALU_DEP_4) | instskip(SKIP_4) | instid1(VALU_DEP_3)
	v_xor_b32_e32 v176, s22, v176
	ds_load_b32 v171, v63 offset:544
	v_mul_u32_u24_e32 v63, 36, v173
	v_xor_b32_e32 v174, s20, v174
	v_xor_b32_e32 v175, s21, v175
	; wave barrier
	v_add_nc_u32_e32 v173, v114, v63
	s_delay_alu instid0(VALU_DEP_3) | instskip(NEXT) | instid1(VALU_DEP_1)
	v_bitop3_b32 v62, v62, v174, v172 bitop3:0x80
	v_bitop3_b32 v62, v62, v176, v175 bitop3:0x80
	s_delay_alu instid0(VALU_DEP_1) | instskip(SKIP_1) | instid1(VALU_DEP_2)
	v_mbcnt_lo_u32_b32 v172, v62, 0
	v_cmp_ne_u32_e64 s17, 0, v62
	v_cmp_eq_u32_e32 vcc_lo, 0, v172
	s_and_b32 s18, s17, vcc_lo
	s_delay_alu instid0(SALU_CYCLE_1)
	s_and_saveexec_b32 s17, s18
	s_cbranch_execz .LBB391_1073
; %bb.1072:                             ;   in Loop: Header=BB391_1032 Depth=2
	s_wait_dscnt 0x0
	v_bcnt_u32_b32 v62, v62, v171
	ds_store_b32 v173, v62 offset:544
.LBB391_1073:                           ;   in Loop: Header=BB391_1032 Depth=2
	s_or_b32 exec_lo, exec_lo, s17
	v_xor_b32_e32 v62, 0x80, v141
	v_xor_b32_e32 v63, 0x80, v140
	;; [unrolled: 1-line block ×4, first 2 shown]
	s_delay_alu instid0(VALU_DEP_4) | instskip(NEXT) | instid1(VALU_DEP_4)
	v_lshlrev_b16 v62, 8, v62
	v_lshlrev_b16 v63, 8, v63
	; wave barrier
	s_delay_alu instid0(VALU_DEP_2) | instskip(NEXT) | instid1(VALU_DEP_2)
	v_bitop3_b16 v138, v138, v62, 0xff bitop3:0xec
	v_bitop3_b16 v62, v139, v63, 0xff bitop3:0xec
	s_delay_alu instid0(VALU_DEP_2) | instskip(NEXT) | instid1(VALU_DEP_2)
	v_and_b32_e32 v63, 0xffff, v138
	v_lshlrev_b32_e32 v62, 16, v62
	s_delay_alu instid0(VALU_DEP_1) | instskip(NEXT) | instid1(VALU_DEP_1)
	v_or_b32_e32 v139, v63, v62
	v_bfe_u32 v62, v139, 8, 8
	s_delay_alu instid0(VALU_DEP_1) | instskip(NEXT) | instid1(VALU_DEP_1)
	v_lshrrev_b32_e32 v62, s49, v62
	v_bitop3_b32 v63, v62, 1, s58 bitop3:0x80
	v_and_b32_e32 v174, s58, v62
	s_delay_alu instid0(VALU_DEP_2) | instskip(NEXT) | instid1(VALU_DEP_1)
	v_add_co_u32 v62, s17, v63, -1
	v_cndmask_b32_e64 v63, 0, 1, s17
	s_delay_alu instid0(VALU_DEP_3) | instskip(NEXT) | instid1(VALU_DEP_2)
	v_dual_lshlrev_b32 v140, 30, v174 :: v_dual_lshlrev_b32 v141, 29, v174
	v_cmp_ne_u32_e32 vcc_lo, 0, v63
	s_delay_alu instid0(VALU_DEP_2) | instskip(SKIP_1) | instid1(VALU_DEP_4)
	v_cmp_gt_i32_e64 s17, 0, v140
	v_not_b32_e32 v63, v140
	v_not_b32_e32 v140, v141
	v_cmp_gt_i32_e64 s18, 0, v141
	v_bitop3_b32 v62, vcc_lo, exec_lo, v62 bitop3:0x48
	s_delay_alu instid0(VALU_DEP_3) | instskip(SKIP_2) | instid1(VALU_DEP_2)
	v_dual_ashrrev_i32 v63, 31, v63 :: v_dual_ashrrev_i32 v140, 31, v140
	v_dual_lshlrev_b32 v175, 28, v174 :: v_dual_lshlrev_b32 v176, 27, v174
	v_dual_lshlrev_b32 v177, 26, v174 :: v_dual_lshlrev_b32 v178, 25, v174
	v_cmp_gt_i32_e64 s19, 0, v175
	v_not_b32_e32 v141, v175
	s_delay_alu instid0(VALU_DEP_4)
	v_cmp_gt_i32_e64 s20, 0, v176
	v_not_b32_e32 v175, v176
	v_cmp_gt_i32_e64 s21, 0, v177
	v_not_b32_e32 v176, v177
	v_not_b32_e32 v177, v178
	v_xor_b32_e32 v63, s17, v63
	v_dual_ashrrev_i32 v141, 31, v141 :: v_dual_bitop2_b32 v140, s18, v140 bitop3:0x14
	s_delay_alu instid0(VALU_DEP_4) | instskip(NEXT) | instid1(VALU_DEP_4)
	v_dual_ashrrev_i32 v175, 31, v175 :: v_dual_ashrrev_i32 v176, 31, v176
	v_ashrrev_i32_e32 v177, 31, v177
	s_delay_alu instid0(VALU_DEP_3)
	v_bitop3_b32 v62, v62, v140, v63 bitop3:0x80
	v_mad_u32_u24 v63, v174, 36, v114
	v_cmp_gt_i32_e64 s22, 0, v178
	v_xor_b32_e32 v175, s20, v175
	v_xor_b32_e32 v176, s21, v176
	ds_load_b32 v140, v63 offset:544
	v_mul_u32_u24_e32 v63, 36, v174
	v_xor_b32_e32 v141, s19, v141
	v_xor_b32_e32 v177, s22, v177
	; wave barrier
	s_delay_alu instid0(VALU_DEP_3) | instskip(NEXT) | instid1(VALU_DEP_3)
	v_add_nc_u32_e32 v174, v114, v63
	v_bitop3_b32 v62, v62, v175, v141 bitop3:0x80
	s_delay_alu instid0(VALU_DEP_1) | instskip(NEXT) | instid1(VALU_DEP_1)
	v_bitop3_b32 v62, v62, v177, v176 bitop3:0x80
	v_mbcnt_lo_u32_b32 v141, v62, 0
	v_cmp_ne_u32_e64 s17, 0, v62
	s_delay_alu instid0(VALU_DEP_2) | instskip(SKIP_1) | instid1(SALU_CYCLE_1)
	v_cmp_eq_u32_e32 vcc_lo, 0, v141
	s_and_b32 s18, s17, vcc_lo
	s_and_saveexec_b32 s17, s18
	s_cbranch_execz .LBB391_1075
; %bb.1074:                             ;   in Loop: Header=BB391_1032 Depth=2
	s_wait_dscnt 0x0
	v_bcnt_u32_b32 v62, v62, v140
	ds_store_b32 v174, v62 offset:544
.LBB391_1075:                           ;   in Loop: Header=BB391_1032 Depth=2
	s_or_b32 exec_lo, exec_lo, s17
	v_bfe_u32 v62, v139, 16, 8
	; wave barrier
	s_delay_alu instid0(VALU_DEP_1) | instskip(NEXT) | instid1(VALU_DEP_1)
	v_lshrrev_b32_e32 v62, s49, v62
	v_and_b32_e32 v177, s58, v62
	s_delay_alu instid0(VALU_DEP_1) | instskip(SKIP_1) | instid1(VALU_DEP_1)
	v_lshlrev_b32_e32 v175, 30, v177
	v_bitop3_b32 v63, v62, 1, s58 bitop3:0x80
	v_add_co_u32 v62, s17, v63, -1
	s_delay_alu instid0(VALU_DEP_1) | instskip(NEXT) | instid1(VALU_DEP_4)
	v_cndmask_b32_e64 v63, 0, 1, s17
	v_cmp_gt_i32_e64 s17, 0, v175
	s_delay_alu instid0(VALU_DEP_2) | instskip(SKIP_2) | instid1(VALU_DEP_2)
	v_cmp_ne_u32_e32 vcc_lo, 0, v63
	v_not_b32_e32 v63, v175
	v_bitop3_b32 v62, vcc_lo, exec_lo, v62 bitop3:0x48
	v_dual_ashrrev_i32 v63, 31, v63 :: v_dual_lshlrev_b32 v176, 29, v177
	v_dual_lshlrev_b32 v178, 28, v177 :: v_dual_lshlrev_b32 v179, 27, v177
	s_delay_alu instid0(VALU_DEP_2) | instskip(NEXT) | instid1(VALU_DEP_3)
	v_dual_lshlrev_b32 v180, 26, v177 :: v_dual_bitop2_b32 v63, s17, v63 bitop3:0x14
	v_not_b32_e32 v175, v176
	v_lshlrev_b32_e32 v181, 25, v177
	v_cmp_gt_i32_e64 s18, 0, v176
	v_cmp_gt_i32_e64 s19, 0, v178
	v_not_b32_e32 v176, v178
	v_not_b32_e32 v178, v179
	v_ashrrev_i32_e32 v175, 31, v175
	v_cmp_gt_i32_e64 s20, 0, v179
	v_cmp_gt_i32_e64 s21, 0, v180
	v_not_b32_e32 v179, v180
	v_dual_ashrrev_i32 v176, 31, v176 :: v_dual_ashrrev_i32 v178, 31, v178
	v_not_b32_e32 v180, v181
	v_xor_b32_e32 v175, s18, v175
	s_delay_alu instid0(VALU_DEP_3) | instskip(NEXT) | instid1(VALU_DEP_4)
	v_dual_ashrrev_i32 v179, 31, v179 :: v_dual_bitop2_b32 v176, s19, v176 bitop3:0x14
	v_xor_b32_e32 v178, s20, v178
	v_cmp_gt_i32_e32 vcc_lo, 0, v181
	s_delay_alu instid0(VALU_DEP_4) | instskip(SKIP_3) | instid1(VALU_DEP_4)
	v_bitop3_b32 v62, v62, v175, v63 bitop3:0x80
	v_ashrrev_i32_e32 v63, 31, v180
	v_mad_u32_u24 v175, v177, 36, v114
	v_xor_b32_e32 v179, s21, v179
	v_bitop3_b32 v62, v62, v178, v176 bitop3:0x80
	s_delay_alu instid0(VALU_DEP_4) | instskip(SKIP_3) | instid1(VALU_DEP_2)
	v_xor_b32_e32 v63, vcc_lo, v63
	ds_load_b32 v175, v175 offset:544
	; wave barrier
	v_bitop3_b32 v62, v62, v63, v179 bitop3:0x80
	v_mul_u32_u24_e32 v63, 36, v177
	v_mbcnt_lo_u32_b32 v176, v62, 0
	v_cmp_ne_u32_e64 s17, 0, v62
	s_delay_alu instid0(VALU_DEP_3) | instskip(NEXT) | instid1(VALU_DEP_3)
	v_add_nc_u32_e32 v178, v114, v63
	v_cmp_eq_u32_e32 vcc_lo, 0, v176
	s_and_b32 s18, s17, vcc_lo
	s_delay_alu instid0(SALU_CYCLE_1)
	s_and_saveexec_b32 s17, s18
	s_cbranch_execz .LBB391_1077
; %bb.1076:                             ;   in Loop: Header=BB391_1032 Depth=2
	s_wait_dscnt 0x0
	v_bcnt_u32_b32 v62, v62, v175
	ds_store_b32 v178, v62 offset:544
.LBB391_1077:                           ;   in Loop: Header=BB391_1032 Depth=2
	s_or_b32 exec_lo, exec_lo, s17
	v_lshrrev_b32_e32 v177, 24, v139
	; wave barrier
	s_delay_alu instid0(VALU_DEP_1) | instskip(NEXT) | instid1(VALU_DEP_1)
	v_lshrrev_b32_e32 v62, s49, v177
	v_bitop3_b32 v63, v62, 1, s58 bitop3:0x80
	v_and_b32_e32 v181, s58, v62
	s_delay_alu instid0(VALU_DEP_2) | instskip(NEXT) | instid1(VALU_DEP_1)
	v_add_co_u32 v62, s17, v63, -1
	v_cndmask_b32_e64 v63, 0, 1, s17
	s_delay_alu instid0(VALU_DEP_3) | instskip(SKIP_1) | instid1(VALU_DEP_3)
	v_dual_lshlrev_b32 v179, 30, v181 :: v_dual_lshlrev_b32 v180, 29, v181
	v_dual_lshlrev_b32 v182, 28, v181 :: v_dual_lshlrev_b32 v183, 27, v181
	v_cmp_ne_u32_e32 vcc_lo, 0, v63
	s_delay_alu instid0(VALU_DEP_3)
	v_cmp_gt_i32_e64 s17, 0, v179
	v_not_b32_e32 v63, v179
	v_not_b32_e32 v179, v180
	v_dual_lshlrev_b32 v184, 26, v181 :: v_dual_lshlrev_b32 v185, 25, v181
	v_cmp_gt_i32_e64 s18, 0, v180
	v_cmp_gt_i32_e64 s19, 0, v182
	v_not_b32_e32 v180, v182
	v_not_b32_e32 v182, v183
	v_ashrrev_i32_e32 v63, 31, v63
	v_ashrrev_i32_e32 v179, 31, v179
	v_cmp_gt_i32_e64 s20, 0, v183
	v_cmp_gt_i32_e64 s21, 0, v184
	v_not_b32_e32 v183, v184
	v_bitop3_b32 v62, vcc_lo, exec_lo, v62 bitop3:0x48
	v_dual_ashrrev_i32 v180, 31, v180 :: v_dual_ashrrev_i32 v182, 31, v182
	v_xor_b32_e32 v63, s17, v63
	v_not_b32_e32 v184, v185
	v_xor_b32_e32 v179, s18, v179
	s_delay_alu instid0(VALU_DEP_4) | instskip(SKIP_2) | instid1(VALU_DEP_4)
	v_dual_ashrrev_i32 v183, 31, v183 :: v_dual_bitop2_b32 v180, s19, v180 bitop3:0x14
	v_xor_b32_e32 v182, s20, v182
	v_cmp_gt_i32_e32 vcc_lo, 0, v185
	v_bitop3_b32 v62, v62, v179, v63 bitop3:0x80
	v_ashrrev_i32_e32 v63, 31, v184
	v_mad_u32_u24 v179, v181, 36, v114
	v_xor_b32_e32 v183, s21, v183
	s_delay_alu instid0(VALU_DEP_4) | instskip(NEXT) | instid1(VALU_DEP_4)
	v_bitop3_b32 v62, v62, v182, v180 bitop3:0x80
	v_xor_b32_e32 v63, vcc_lo, v63
	ds_load_b32 v179, v179 offset:544
	; wave barrier
	v_bitop3_b32 v62, v62, v63, v183 bitop3:0x80
	v_mul_u32_u24_e32 v63, 36, v181
	s_delay_alu instid0(VALU_DEP_2) | instskip(SKIP_1) | instid1(VALU_DEP_3)
	v_mbcnt_lo_u32_b32 v180, v62, 0
	v_cmp_ne_u32_e64 s17, 0, v62
	v_add_nc_u32_e32 v181, v114, v63
	s_delay_alu instid0(VALU_DEP_3) | instskip(SKIP_1) | instid1(SALU_CYCLE_1)
	v_cmp_eq_u32_e32 vcc_lo, 0, v180
	s_and_b32 s18, s17, vcc_lo
	s_and_saveexec_b32 s17, s18
	s_cbranch_execz .LBB391_1079
; %bb.1078:                             ;   in Loop: Header=BB391_1032 Depth=2
	s_wait_dscnt 0x0
	v_bcnt_u32_b32 v62, v62, v179
	ds_store_b32 v181, v62 offset:544
.LBB391_1079:                           ;   in Loop: Header=BB391_1032 Depth=2
	s_or_b32 exec_lo, exec_lo, s17
	v_bitop3_b16 v62, v64, s43, 0x80 bitop3:0x48
	; wave barrier
	s_delay_alu instid0(VALU_DEP_1) | instskip(NEXT) | instid1(VALU_DEP_1)
	v_and_b32_e32 v62, 0xffff, v62
	v_lshrrev_b32_e32 v62, s49, v62
	s_delay_alu instid0(VALU_DEP_1) | instskip(NEXT) | instid1(VALU_DEP_1)
	v_and_b32_e32 v184, s58, v62
	v_lshlrev_b32_e32 v182, 30, v184
	v_bitop3_b32 v63, v62, 1, s58 bitop3:0x80
	s_delay_alu instid0(VALU_DEP_1) | instskip(NEXT) | instid1(VALU_DEP_1)
	v_add_co_u32 v62, s17, v63, -1
	v_cndmask_b32_e64 v63, 0, 1, s17
	s_delay_alu instid0(VALU_DEP_4) | instskip(NEXT) | instid1(VALU_DEP_2)
	v_cmp_gt_i32_e64 s17, 0, v182
	v_cmp_ne_u32_e32 vcc_lo, 0, v63
	v_not_b32_e32 v63, v182
	v_bitop3_b32 v62, vcc_lo, exec_lo, v62 bitop3:0x48
	s_delay_alu instid0(VALU_DEP_2) | instskip(SKIP_2) | instid1(VALU_DEP_3)
	v_dual_ashrrev_i32 v63, 31, v63 :: v_dual_lshlrev_b32 v183, 29, v184
	v_dual_lshlrev_b32 v185, 28, v184 :: v_dual_lshlrev_b32 v186, 27, v184
	v_lshlrev_b32_e32 v187, 26, v184
	v_not_b32_e32 v182, v183
	v_lshlrev_b32_e32 v188, 25, v184
	v_cmp_gt_i32_e64 s18, 0, v183
	v_cmp_gt_i32_e64 s19, 0, v185
	v_not_b32_e32 v183, v185
	v_not_b32_e32 v185, v186
	v_ashrrev_i32_e32 v182, 31, v182
	v_cmp_gt_i32_e64 s20, 0, v186
	v_cmp_gt_i32_e64 s21, 0, v187
	v_not_b32_e32 v186, v187
	v_not_b32_e32 v187, v188
	v_dual_ashrrev_i32 v183, 31, v183 :: v_dual_ashrrev_i32 v185, 31, v185
	s_delay_alu instid0(VALU_DEP_3) | instskip(NEXT) | instid1(VALU_DEP_3)
	v_dual_ashrrev_i32 v186, 31, v186 :: v_dual_bitop2_b32 v63, s17, v63 bitop3:0x14
	v_dual_ashrrev_i32 v187, 31, v187 :: v_dual_bitop2_b32 v182, s18, v182 bitop3:0x14
	v_cmp_gt_i32_e64 s22, 0, v188
	s_delay_alu instid0(VALU_DEP_4) | instskip(SKIP_1) | instid1(VALU_DEP_4)
	v_xor_b32_e32 v183, s19, v183
	v_xor_b32_e32 v185, s20, v185
	v_bitop3_b32 v62, v62, v182, v63 bitop3:0x80
	v_mad_u32_u24 v63, v184, 36, v114
	v_xor_b32_e32 v187, s22, v187
	s_delay_alu instid0(VALU_DEP_3) | instskip(SKIP_3) | instid1(VALU_DEP_2)
	v_bitop3_b32 v62, v62, v185, v183 bitop3:0x80
	ds_load_b32 v182, v63 offset:544
	v_mul_u32_u24_e32 v63, 36, v184
	v_xor_b32_e32 v186, s21, v186
	; wave barrier
	v_add_nc_u32_e32 v185, v114, v63
	s_delay_alu instid0(VALU_DEP_2) | instskip(NEXT) | instid1(VALU_DEP_1)
	v_bitop3_b32 v62, v62, v187, v186 bitop3:0x80
	v_mbcnt_lo_u32_b32 v183, v62, 0
	v_cmp_ne_u32_e64 s17, 0, v62
	s_delay_alu instid0(VALU_DEP_2) | instskip(SKIP_1) | instid1(SALU_CYCLE_1)
	v_cmp_eq_u32_e32 vcc_lo, 0, v183
	s_and_b32 s18, s17, vcc_lo
	s_and_saveexec_b32 s17, s18
	s_cbranch_execz .LBB391_1081
; %bb.1080:                             ;   in Loop: Header=BB391_1032 Depth=2
	s_wait_dscnt 0x0
	v_bcnt_u32_b32 v62, v62, v182
	ds_store_b32 v185, v62 offset:544
.LBB391_1081:                           ;   in Loop: Header=BB391_1032 Depth=2
	s_or_b32 exec_lo, exec_lo, s17
	v_xor_b32_e32 v62, 0x80, v136
	v_xor_b32_e32 v63, 0x80, v135
	;; [unrolled: 1-line block ×4, first 2 shown]
	s_delay_alu instid0(VALU_DEP_4) | instskip(NEXT) | instid1(VALU_DEP_4)
	v_lshlrev_b16 v62, 8, v62
	v_lshlrev_b16 v63, 8, v63
	; wave barrier
	s_delay_alu instid0(VALU_DEP_2) | instskip(NEXT) | instid1(VALU_DEP_2)
	v_bitop3_b16 v184, v64, v62, 0xff bitop3:0xec
	v_bitop3_b16 v62, v65, v63, 0xff bitop3:0xec
	s_delay_alu instid0(VALU_DEP_2) | instskip(NEXT) | instid1(VALU_DEP_2)
	v_and_b32_e32 v63, 0xffff, v184
	v_lshlrev_b32_e32 v62, 16, v62
	s_delay_alu instid0(VALU_DEP_1) | instskip(NEXT) | instid1(VALU_DEP_1)
	v_or_b32_e32 v135, v63, v62
	v_bfe_u32 v62, v135, 8, 8
	s_delay_alu instid0(VALU_DEP_1) | instskip(NEXT) | instid1(VALU_DEP_1)
	v_lshrrev_b32_e32 v62, s49, v62
	v_bitop3_b32 v63, v62, 1, s58 bitop3:0x80
	v_and_b32_e32 v64, s58, v62
	s_delay_alu instid0(VALU_DEP_2) | instskip(NEXT) | instid1(VALU_DEP_1)
	v_add_co_u32 v62, s17, v63, -1
	v_cndmask_b32_e64 v63, 0, 1, s17
	s_delay_alu instid0(VALU_DEP_3) | instskip(NEXT) | instid1(VALU_DEP_2)
	v_lshlrev_b32_e32 v65, 30, v64
	v_cmp_ne_u32_e32 vcc_lo, 0, v63
	s_delay_alu instid0(VALU_DEP_2) | instskip(SKIP_2) | instid1(VALU_DEP_3)
	v_not_b32_e32 v63, v65
	v_cmp_gt_i32_e64 s17, 0, v65
	v_bitop3_b32 v62, vcc_lo, exec_lo, v62 bitop3:0x48
	v_dual_ashrrev_i32 v63, 31, v63 :: v_dual_lshlrev_b32 v136, 29, v64
	v_dual_lshlrev_b32 v186, 28, v64 :: v_dual_lshlrev_b32 v187, 27, v64
	v_lshlrev_b32_e32 v188, 26, v64
	s_delay_alu instid0(VALU_DEP_3)
	v_not_b32_e32 v65, v136
	v_lshlrev_b32_e32 v189, 25, v64
	v_cmp_gt_i32_e64 s18, 0, v136
	v_cmp_gt_i32_e64 s19, 0, v186
	v_not_b32_e32 v136, v186
	v_not_b32_e32 v186, v187
	v_ashrrev_i32_e32 v65, 31, v65
	v_cmp_gt_i32_e64 s20, 0, v187
	v_cmp_gt_i32_e64 s21, 0, v188
	v_not_b32_e32 v187, v188
	v_not_b32_e32 v188, v189
	v_dual_ashrrev_i32 v136, 31, v136 :: v_dual_ashrrev_i32 v186, 31, v186
	v_xor_b32_e32 v63, s17, v63
	s_delay_alu instid0(VALU_DEP_4)
	v_dual_ashrrev_i32 v187, 31, v187 :: v_dual_bitop2_b32 v65, s18, v65 bitop3:0x14
	v_cmp_gt_i32_e64 s22, 0, v189
	v_ashrrev_i32_e32 v188, 31, v188
	v_xor_b32_e32 v136, s19, v136
	v_xor_b32_e32 v186, s20, v186
	v_bitop3_b32 v62, v62, v65, v63 bitop3:0x80
	v_mad_u32_u24 v63, v64, 36, v114
	v_xor_b32_e32 v65, s21, v187
	v_xor_b32_e32 v187, s22, v188
	s_delay_alu instid0(VALU_DEP_4) | instskip(SKIP_3) | instid1(VALU_DEP_2)
	v_bitop3_b32 v62, v62, v186, v136 bitop3:0x80
	ds_load_b32 v136, v63 offset:544
	v_mul_u32_u24_e32 v63, 36, v64
	; wave barrier
	v_bitop3_b32 v62, v62, v187, v65 bitop3:0x80
	v_add_nc_u32_e32 v187, v114, v63
	s_delay_alu instid0(VALU_DEP_2) | instskip(SKIP_1) | instid1(VALU_DEP_2)
	v_mbcnt_lo_u32_b32 v186, v62, 0
	v_cmp_ne_u32_e64 s17, 0, v62
	v_cmp_eq_u32_e32 vcc_lo, 0, v186
	s_and_b32 s18, s17, vcc_lo
	s_delay_alu instid0(SALU_CYCLE_1)
	s_and_saveexec_b32 s17, s18
	s_cbranch_execz .LBB391_1083
; %bb.1082:                             ;   in Loop: Header=BB391_1032 Depth=2
	s_wait_dscnt 0x0
	v_bcnt_u32_b32 v62, v62, v136
	ds_store_b32 v187, v62 offset:544
.LBB391_1083:                           ;   in Loop: Header=BB391_1032 Depth=2
	s_or_b32 exec_lo, exec_lo, s17
	v_bfe_u32 v62, v135, 16, 8
	; wave barrier
	s_delay_alu instid0(VALU_DEP_1) | instskip(NEXT) | instid1(VALU_DEP_1)
	v_lshrrev_b32_e32 v62, s49, v62
	v_and_b32_e32 v64, s58, v62
	s_delay_alu instid0(VALU_DEP_1) | instskip(SKIP_1) | instid1(VALU_DEP_1)
	v_lshlrev_b32_e32 v65, 30, v64
	v_bitop3_b32 v63, v62, 1, s58 bitop3:0x80
	v_add_co_u32 v62, s17, v63, -1
	s_delay_alu instid0(VALU_DEP_1) | instskip(NEXT) | instid1(VALU_DEP_4)
	v_cndmask_b32_e64 v63, 0, 1, s17
	v_cmp_gt_i32_e64 s17, 0, v65
	s_delay_alu instid0(VALU_DEP_2) | instskip(SKIP_2) | instid1(VALU_DEP_2)
	v_cmp_ne_u32_e32 vcc_lo, 0, v63
	v_not_b32_e32 v63, v65
	v_bitop3_b32 v62, vcc_lo, exec_lo, v62 bitop3:0x48
	v_dual_ashrrev_i32 v63, 31, v63 :: v_dual_lshlrev_b32 v188, 29, v64
	v_dual_lshlrev_b32 v189, 28, v64 :: v_dual_lshlrev_b32 v190, 27, v64
	v_lshlrev_b32_e32 v191, 26, v64
	s_delay_alu instid0(VALU_DEP_3)
	v_not_b32_e32 v65, v188
	v_lshlrev_b32_e32 v192, 25, v64
	v_cmp_gt_i32_e64 s18, 0, v188
	v_cmp_gt_i32_e64 s19, 0, v189
	v_not_b32_e32 v188, v189
	v_not_b32_e32 v189, v190
	v_ashrrev_i32_e32 v65, 31, v65
	v_cmp_gt_i32_e64 s20, 0, v190
	v_cmp_gt_i32_e64 s21, 0, v191
	v_not_b32_e32 v190, v191
	v_dual_ashrrev_i32 v188, 31, v188 :: v_dual_ashrrev_i32 v189, 31, v189
	v_xor_b32_e32 v63, s17, v63
	v_not_b32_e32 v191, v192
	s_delay_alu instid0(VALU_DEP_4) | instskip(NEXT) | instid1(VALU_DEP_4)
	v_dual_ashrrev_i32 v190, 31, v190 :: v_dual_bitop2_b32 v65, s18, v65 bitop3:0x14
	v_xor_b32_e32 v188, s19, v188
	v_xor_b32_e32 v189, s20, v189
	v_cmp_gt_i32_e32 vcc_lo, 0, v192
	s_delay_alu instid0(VALU_DEP_4) | instskip(SKIP_3) | instid1(VALU_DEP_4)
	v_bitop3_b32 v62, v62, v65, v63 bitop3:0x80
	v_ashrrev_i32_e32 v63, 31, v191
	v_mad_u32_u24 v65, v64, 36, v114
	v_xor_b32_e32 v190, s21, v190
	v_bitop3_b32 v62, v62, v189, v188 bitop3:0x80
	s_delay_alu instid0(VALU_DEP_4) | instskip(SKIP_3) | instid1(VALU_DEP_2)
	v_xor_b32_e32 v63, vcc_lo, v63
	ds_load_b32 v188, v65 offset:544
	; wave barrier
	v_bitop3_b32 v62, v62, v63, v190 bitop3:0x80
	v_mul_u32_u24_e32 v63, 36, v64
	v_mbcnt_lo_u32_b32 v189, v62, 0
	v_cmp_ne_u32_e64 s17, 0, v62
	s_delay_alu instid0(VALU_DEP_3) | instskip(NEXT) | instid1(VALU_DEP_3)
	v_add_nc_u32_e32 v191, v114, v63
	v_cmp_eq_u32_e32 vcc_lo, 0, v189
	s_and_b32 s18, s17, vcc_lo
	s_delay_alu instid0(SALU_CYCLE_1)
	s_and_saveexec_b32 s17, s18
	s_cbranch_execz .LBB391_1085
; %bb.1084:                             ;   in Loop: Header=BB391_1032 Depth=2
	s_wait_dscnt 0x0
	v_bcnt_u32_b32 v62, v62, v188
	ds_store_b32 v191, v62 offset:544
.LBB391_1085:                           ;   in Loop: Header=BB391_1032 Depth=2
	s_or_b32 exec_lo, exec_lo, s17
	v_lshrrev_b32_e32 v190, 24, v135
	; wave barrier
	s_delay_alu instid0(VALU_DEP_1) | instskip(NEXT) | instid1(VALU_DEP_1)
	v_lshrrev_b32_e32 v62, s49, v190
	v_and_b32_e32 v64, s58, v62
	s_delay_alu instid0(VALU_DEP_1) | instskip(SKIP_3) | instid1(VALU_DEP_3)
	v_lshlrev_b32_e32 v65, 30, v64
	v_bitop3_b32 v63, v62, 1, s58 bitop3:0x80
	v_dual_lshlrev_b32 v192, 29, v64 :: v_dual_lshlrev_b32 v193, 28, v64
	v_dual_lshlrev_b32 v194, 27, v64 :: v_dual_lshlrev_b32 v195, 26, v64
	v_add_co_u32 v62, s17, v63, -1
	s_delay_alu instid0(VALU_DEP_1)
	v_cndmask_b32_e64 v63, 0, 1, s17
	v_cmp_gt_i32_e64 s17, 0, v65
	v_cmp_gt_i32_e64 s18, 0, v192
	;; [unrolled: 1-line block ×4, first 2 shown]
	v_cmp_ne_u32_e32 vcc_lo, 0, v63
	v_not_b32_e32 v63, v65
	v_not_b32_e32 v65, v192
	v_lshlrev_b32_e32 v196, 25, v64
	v_not_b32_e32 v192, v193
	v_not_b32_e32 v193, v194
	s_delay_alu instid0(VALU_DEP_4)
	v_dual_ashrrev_i32 v63, 31, v63 :: v_dual_ashrrev_i32 v65, 31, v65
	v_cmp_gt_i32_e64 s21, 0, v195
	v_not_b32_e32 v194, v195
	v_bitop3_b32 v62, vcc_lo, exec_lo, v62 bitop3:0x48
	v_dual_ashrrev_i32 v192, 31, v192 :: v_dual_ashrrev_i32 v193, 31, v193
	v_xor_b32_e32 v63, s17, v63
	s_delay_alu instid0(VALU_DEP_4) | instskip(SKIP_1) | instid1(VALU_DEP_4)
	v_dual_ashrrev_i32 v194, 31, v194 :: v_dual_bitop2_b32 v65, s18, v65 bitop3:0x14
	v_not_b32_e32 v195, v196
	v_xor_b32_e32 v192, s19, v192
	v_xor_b32_e32 v193, s20, v193
	s_delay_alu instid0(VALU_DEP_4)
	v_bitop3_b32 v62, v62, v65, v63 bitop3:0x80
	v_cmp_gt_i32_e32 vcc_lo, 0, v196
	v_ashrrev_i32_e32 v63, 31, v195
	v_mad_u32_u24 v65, v64, 36, v114
	v_xor_b32_e32 v194, s21, v194
	v_bitop3_b32 v62, v62, v193, v192 bitop3:0x80
	s_delay_alu instid0(VALU_DEP_4) | instskip(SKIP_3) | instid1(VALU_DEP_2)
	v_xor_b32_e32 v63, vcc_lo, v63
	ds_load_b32 v192, v65 offset:544
	; wave barrier
	v_bitop3_b32 v62, v62, v63, v194 bitop3:0x80
	v_mul_u32_u24_e32 v63, 36, v64
	v_mbcnt_lo_u32_b32 v193, v62, 0
	v_cmp_ne_u32_e64 s17, 0, v62
	s_delay_alu instid0(VALU_DEP_3) | instskip(NEXT) | instid1(VALU_DEP_3)
	v_add_nc_u32_e32 v194, v114, v63
	v_cmp_eq_u32_e32 vcc_lo, 0, v193
	s_and_b32 s18, s17, vcc_lo
	s_delay_alu instid0(SALU_CYCLE_1)
	s_and_saveexec_b32 s17, s18
	s_cbranch_execz .LBB391_1087
; %bb.1086:                             ;   in Loop: Header=BB391_1032 Depth=2
	s_wait_dscnt 0x0
	v_bcnt_u32_b32 v62, v62, v192
	ds_store_b32 v194, v62 offset:544
.LBB391_1087:                           ;   in Loop: Header=BB391_1032 Depth=2
	s_or_b32 exec_lo, exec_lo, s17
	v_xor_b32_e32 v115, 0xffffff80, v115
	; wave barrier
	s_delay_alu instid0(VALU_DEP_1) | instskip(NEXT) | instid1(VALU_DEP_1)
	v_and_b32_e32 v62, 0xff, v115
	v_lshrrev_b32_e32 v62, s49, v62
	s_delay_alu instid0(VALU_DEP_1) | instskip(NEXT) | instid1(VALU_DEP_1)
	v_and_b32_e32 v64, s58, v62
	v_lshlrev_b32_e32 v65, 30, v64
	v_bitop3_b32 v63, v62, 1, s58 bitop3:0x80
	s_delay_alu instid0(VALU_DEP_1) | instskip(NEXT) | instid1(VALU_DEP_1)
	v_add_co_u32 v62, s17, v63, -1
	v_cndmask_b32_e64 v63, 0, 1, s17
	s_delay_alu instid0(VALU_DEP_4) | instskip(NEXT) | instid1(VALU_DEP_2)
	v_cmp_gt_i32_e64 s17, 0, v65
	v_cmp_ne_u32_e32 vcc_lo, 0, v63
	v_not_b32_e32 v63, v65
	v_bitop3_b32 v62, vcc_lo, exec_lo, v62 bitop3:0x48
	s_delay_alu instid0(VALU_DEP_2) | instskip(SKIP_2) | instid1(VALU_DEP_3)
	v_dual_ashrrev_i32 v63, 31, v63 :: v_dual_lshlrev_b32 v195, 29, v64
	v_dual_lshlrev_b32 v196, 28, v64 :: v_dual_lshlrev_b32 v197, 27, v64
	v_lshlrev_b32_e32 v198, 26, v64
	v_not_b32_e32 v65, v195
	v_lshlrev_b32_e32 v199, 25, v64
	v_cmp_gt_i32_e64 s18, 0, v195
	v_cmp_gt_i32_e64 s19, 0, v196
	v_not_b32_e32 v195, v196
	v_not_b32_e32 v196, v197
	v_ashrrev_i32_e32 v65, 31, v65
	v_cmp_gt_i32_e64 s20, 0, v197
	v_cmp_gt_i32_e64 s21, 0, v198
	v_not_b32_e32 v197, v198
	v_not_b32_e32 v198, v199
	v_dual_ashrrev_i32 v195, 31, v195 :: v_dual_ashrrev_i32 v196, 31, v196
	s_delay_alu instid0(VALU_DEP_3) | instskip(NEXT) | instid1(VALU_DEP_3)
	v_dual_ashrrev_i32 v197, 31, v197 :: v_dual_bitop2_b32 v63, s17, v63 bitop3:0x14
	v_dual_ashrrev_i32 v198, 31, v198 :: v_dual_bitop2_b32 v65, s18, v65 bitop3:0x14
	v_cmp_gt_i32_e64 s22, 0, v199
	s_delay_alu instid0(VALU_DEP_4) | instskip(SKIP_1) | instid1(VALU_DEP_4)
	v_xor_b32_e32 v195, s19, v195
	v_xor_b32_e32 v196, s20, v196
	v_bitop3_b32 v62, v62, v65, v63 bitop3:0x80
	v_mad_u32_u24 v63, v64, 36, v114
	v_xor_b32_e32 v65, s21, v197
	v_xor_b32_e32 v197, s22, v198
	s_delay_alu instid0(VALU_DEP_4) | instskip(SKIP_3) | instid1(VALU_DEP_2)
	v_bitop3_b32 v62, v62, v196, v195 bitop3:0x80
	ds_load_b32 v195, v63 offset:544
	v_mul_u32_u24_e32 v63, 36, v64
	; wave barrier
	v_bitop3_b32 v62, v62, v197, v65 bitop3:0x80
	v_add_nc_u32_e32 v197, v114, v63
	s_delay_alu instid0(VALU_DEP_2) | instskip(SKIP_1) | instid1(VALU_DEP_2)
	v_mbcnt_lo_u32_b32 v196, v62, 0
	v_cmp_ne_u32_e64 s17, 0, v62
	v_cmp_eq_u32_e32 vcc_lo, 0, v196
	s_and_b32 s18, s17, vcc_lo
	s_delay_alu instid0(SALU_CYCLE_1)
	s_and_saveexec_b32 s17, s18
	s_cbranch_execz .LBB391_1089
; %bb.1088:                             ;   in Loop: Header=BB391_1032 Depth=2
	s_wait_dscnt 0x0
	v_bcnt_u32_b32 v62, v62, v195
	ds_store_b32 v197, v62 offset:544
.LBB391_1089:                           ;   in Loop: Header=BB391_1032 Depth=2
	s_or_b32 exec_lo, exec_lo, s17
	; wave barrier
	s_wait_dscnt 0x0
	s_barrier_signal -1
	s_barrier_wait -1
	ds_load_2addr_b32 v[64:65], v90 offset0:136 offset1:137
	ds_load_2addr_b32 v[62:63], v90 offset0:138 offset1:139
	ds_load_b32 v198, v90 offset:560
	s_wait_dscnt 0x1
	v_add3_u32 v199, v65, v64, v62
	s_wait_dscnt 0x0
	s_delay_alu instid0(VALU_DEP_1) | instskip(NEXT) | instid1(VALU_DEP_1)
	v_add3_u32 v198, v199, v63, v198
	v_mov_b32_dpp v199, v198 row_shr:1 row_mask:0xf bank_mask:0xf
	s_delay_alu instid0(VALU_DEP_1) | instskip(NEXT) | instid1(VALU_DEP_1)
	v_cndmask_b32_e64 v199, v199, 0, s8
	v_add_nc_u32_e32 v198, v199, v198
	s_delay_alu instid0(VALU_DEP_1) | instskip(NEXT) | instid1(VALU_DEP_1)
	v_mov_b32_dpp v199, v198 row_shr:2 row_mask:0xf bank_mask:0xf
	v_cndmask_b32_e64 v199, 0, v199, s9
	s_delay_alu instid0(VALU_DEP_1) | instskip(NEXT) | instid1(VALU_DEP_1)
	v_add_nc_u32_e32 v198, v198, v199
	v_mov_b32_dpp v199, v198 row_shr:4 row_mask:0xf bank_mask:0xf
	s_delay_alu instid0(VALU_DEP_1) | instskip(NEXT) | instid1(VALU_DEP_1)
	v_cndmask_b32_e64 v199, 0, v199, s10
	v_add_nc_u32_e32 v198, v198, v199
	s_delay_alu instid0(VALU_DEP_1) | instskip(NEXT) | instid1(VALU_DEP_1)
	v_mov_b32_dpp v199, v198 row_shr:8 row_mask:0xf bank_mask:0xf
	v_cndmask_b32_e64 v199, 0, v199, s11
	s_delay_alu instid0(VALU_DEP_1) | instskip(SKIP_3) | instid1(VALU_DEP_1)
	v_add_nc_u32_e32 v198, v198, v199
	ds_swizzle_b32 v199, v198 offset:swizzle(BROADCAST,32,15)
	s_wait_dscnt 0x0
	v_cndmask_b32_e64 v199, v199, 0, s12
	v_add_nc_u32_e32 v198, v198, v199
	s_and_saveexec_b32 s17, s2
; %bb.1090:                             ;   in Loop: Header=BB391_1032 Depth=2
	ds_store_b32 v83, v198 offset:512
; %bb.1091:                             ;   in Loop: Header=BB391_1032 Depth=2
	s_or_b32 exec_lo, exec_lo, s17
	s_wait_dscnt 0x0
	s_barrier_signal -1
	s_barrier_wait -1
	s_and_saveexec_b32 s17, s3
	s_cbranch_execz .LBB391_1093
; %bb.1092:                             ;   in Loop: Header=BB391_1032 Depth=2
	ds_load_b32 v199, v92 offset:512
	s_wait_dscnt 0x0
	v_mov_b32_dpp v200, v199 row_shr:1 row_mask:0xf bank_mask:0xf
	s_delay_alu instid0(VALU_DEP_1) | instskip(NEXT) | instid1(VALU_DEP_1)
	v_cndmask_b32_e64 v200, v200, 0, s14
	v_add_nc_u32_e32 v199, v200, v199
	s_delay_alu instid0(VALU_DEP_1) | instskip(NEXT) | instid1(VALU_DEP_1)
	v_mov_b32_dpp v200, v199 row_shr:2 row_mask:0xf bank_mask:0xf
	v_cndmask_b32_e64 v200, 0, v200, s15
	s_delay_alu instid0(VALU_DEP_1) | instskip(NEXT) | instid1(VALU_DEP_1)
	v_add_nc_u32_e32 v199, v199, v200
	v_mov_b32_dpp v200, v199 row_shr:4 row_mask:0xf bank_mask:0xf
	s_delay_alu instid0(VALU_DEP_1) | instskip(NEXT) | instid1(VALU_DEP_1)
	v_cndmask_b32_e64 v200, 0, v200, s16
	v_add_nc_u32_e32 v199, v199, v200
	ds_store_b32 v92, v199 offset:512
.LBB391_1093:                           ;   in Loop: Header=BB391_1032 Depth=2
	s_or_b32 exec_lo, exec_lo, s17
	v_mov_b32_e32 v199, 0
	s_wait_dscnt 0x0
	s_barrier_signal -1
	s_barrier_wait -1
	s_and_saveexec_b32 s17, s5
; %bb.1094:                             ;   in Loop: Header=BB391_1032 Depth=2
	ds_load_b32 v199, v83 offset:508
; %bb.1095:                             ;   in Loop: Header=BB391_1032 Depth=2
	s_or_b32 exec_lo, exec_lo, s17
	s_wait_dscnt 0x0
	v_add_nc_u32_e32 v198, v199, v198
	ds_bpermute_b32 v198, v96, v198
	s_wait_dscnt 0x0
	v_cndmask_b32_e64 v198, v198, v199, s13
	s_delay_alu instid0(VALU_DEP_1) | instskip(NEXT) | instid1(VALU_DEP_1)
	v_cndmask_b32_e64 v198, v198, 0, s6
	v_add_nc_u32_e32 v64, v198, v64
	s_delay_alu instid0(VALU_DEP_1) | instskip(NEXT) | instid1(VALU_DEP_1)
	v_add_nc_u32_e32 v65, v64, v65
	v_add_nc_u32_e32 v62, v65, v62
	s_delay_alu instid0(VALU_DEP_1)
	v_add_nc_u32_e32 v63, v62, v63
	ds_store_2addr_b32 v90, v198, v64 offset0:136 offset1:137
	ds_store_2addr_b32 v90, v65, v62 offset0:138 offset1:139
	ds_store_b32 v90, v63 offset:560
	s_wait_dscnt 0x0
	s_barrier_signal -1
	s_barrier_wait -1
	ds_load_b32 v62, v149 offset:544
	ds_load_b32 v63, v152 offset:544
	;; [unrolled: 1-line block ×17, first 2 shown]
	s_and_saveexec_b32 s17, s0
	s_cbranch_execz .LBB391_1099
; %bb.1096:                             ;   in Loop: Header=BB391_1032 Depth=2
	v_dual_mov_b32 v134, 0x1100 :: v_dual_add_nc_u32 v133, v92, v94
	ds_load_b32 v133, v133 offset:544
	s_and_saveexec_b32 s18, s7
; %bb.1097:                             ;   in Loop: Header=BB391_1032 Depth=2
	ds_load_b32 v134, v93 offset:544
; %bb.1098:                             ;   in Loop: Header=BB391_1032 Depth=2
	s_or_b32 exec_lo, exec_lo, s18
	s_wait_dscnt 0x0
	v_sub_nc_u32_e32 v134, v134, v133
.LBB391_1099:                           ;   in Loop: Header=BB391_1032 Depth=2
	s_or_b32 exec_lo, exec_lo, s17
	v_dual_lshrrev_b32 v202, 8, v148 :: v_dual_lshrrev_b32 v203, 16, v148
	v_dual_lshrrev_b32 v200, 8, v143 :: v_dual_lshrrev_b32 v201, 16, v143
	;; [unrolled: 1-line block ×4, first 2 shown]
	s_wait_dscnt 0x0
	s_barrier_signal -1
	s_barrier_wait -1
	s_and_saveexec_b32 s17, s0
	s_cbranch_execz .LBB391_1101
; %bb.1100:                             ;   in Loop: Header=BB391_1032 Depth=2
	ds_load_b32 v135, v66
	s_wait_dscnt 0x0
	v_sub_nc_u32_e32 v135, v135, v133
	ds_store_b32 v66, v135
.LBB391_1101:                           ;   in Loop: Header=BB391_1032 Depth=2
	s_or_b32 exec_lo, exec_lo, s17
	v_add_nc_u32_e32 v156, v62, v146
	v_add3_u32 v152, v151, v150, v63
	v_add3_u32 v151, v154, v153, v64
	v_add3_u32 v150, v158, v157, v65
	v_add3_u32 v149, v161, v160, v149
	v_add3_u32 v148, v145, v144, v159
	v_add3_u32 v146, v165, v164, v162
	v_add3_u32 v145, v169, v168, v163
	v_add3_u32 v144, v172, v171, v167
	v_add3_u32 v143, v141, v140, v170
	v_add3_u32 v141, v176, v175, v173
	v_add3_u32 v140, v180, v179, v174
	v_add3_u32 v139, v183, v182, v178
	v_add3_u32 v136, v186, v136, v181
	v_add3_u32 v135, v189, v188, v185
	v_add3_u32 v65, v193, v192, v187
	v_add3_u32 v64, v196, v195, v191
	v_cmp_lt_u32_e32 vcc_lo, v2, v137
	ds_store_b8 v156, v147 offset:512
	ds_store_b8 v152, v202 offset:512
	ds_store_b8 v151, v203 offset:512
	ds_store_b8 v150, v155 offset:512
	ds_store_b8 v149, v142 offset:512
	ds_store_b8 v148, v200 offset:512
	ds_store_b8 v146, v201 offset:512
	ds_store_b8 v145, v166 offset:512
	ds_store_b8 v144, v138 offset:512
	ds_store_b8 v143, v198 offset:512
	ds_store_b8 v141, v199 offset:512
	ds_store_b8 v140, v177 offset:512
	ds_store_b8 v139, v184 offset:512
	ds_store_b8 v136, v194 offset:512
	ds_store_b8 v135, v197 offset:512
	ds_store_b8 v65, v190 offset:512
	ds_store_b8 v64, v115 offset:512
	s_wait_dscnt 0x0
	s_barrier_signal -1
	s_barrier_wait -1
	s_and_saveexec_b32 s17, vcc_lo
	s_cbranch_execnz .LBB391_1174
; %bb.1102:                             ;   in Loop: Header=BB391_1032 Depth=2
	s_or_b32 exec_lo, exec_lo, s17
	v_cmp_lt_u32_e64 s17, v67, v137
	s_and_saveexec_b32 s18, s17
	s_cbranch_execnz .LBB391_1175
.LBB391_1103:                           ;   in Loop: Header=BB391_1032 Depth=2
	s_or_b32 exec_lo, exec_lo, s18
	v_cmp_lt_u32_e64 s18, v68, v137
	s_and_saveexec_b32 s19, s18
	s_cbranch_execnz .LBB391_1176
.LBB391_1104:                           ;   in Loop: Header=BB391_1032 Depth=2
	s_or_b32 exec_lo, exec_lo, s19
	v_cmp_lt_u32_e64 s19, v69, v137
	s_and_saveexec_b32 s20, s19
	s_cbranch_execnz .LBB391_1177
.LBB391_1105:                           ;   in Loop: Header=BB391_1032 Depth=2
	s_or_b32 exec_lo, exec_lo, s20
	v_cmp_lt_u32_e64 s20, v70, v137
	s_and_saveexec_b32 s21, s20
	s_cbranch_execnz .LBB391_1178
.LBB391_1106:                           ;   in Loop: Header=BB391_1032 Depth=2
	s_or_b32 exec_lo, exec_lo, s21
	v_cmp_lt_u32_e64 s21, v71, v137
	s_and_saveexec_b32 s22, s21
	s_cbranch_execnz .LBB391_1179
.LBB391_1107:                           ;   in Loop: Header=BB391_1032 Depth=2
	s_or_b32 exec_lo, exec_lo, s22
	v_cmp_lt_u32_e64 s22, v72, v137
	s_and_saveexec_b32 s23, s22
	s_cbranch_execnz .LBB391_1180
.LBB391_1108:                           ;   in Loop: Header=BB391_1032 Depth=2
	s_or_b32 exec_lo, exec_lo, s23
	v_cmp_lt_u32_e64 s23, v73, v137
	s_and_saveexec_b32 s24, s23
	s_cbranch_execnz .LBB391_1181
.LBB391_1109:                           ;   in Loop: Header=BB391_1032 Depth=2
	s_or_b32 exec_lo, exec_lo, s24
	v_cmp_lt_u32_e64 s24, v74, v137
	s_and_saveexec_b32 s25, s24
	s_cbranch_execnz .LBB391_1182
.LBB391_1110:                           ;   in Loop: Header=BB391_1032 Depth=2
	s_or_b32 exec_lo, exec_lo, s25
	v_cmp_lt_u32_e64 s25, v75, v137
	s_and_saveexec_b32 s26, s25
	s_cbranch_execnz .LBB391_1183
.LBB391_1111:                           ;   in Loop: Header=BB391_1032 Depth=2
	s_or_b32 exec_lo, exec_lo, s26
	v_cmp_lt_u32_e64 s26, v76, v137
	s_and_saveexec_b32 s27, s26
	s_cbranch_execnz .LBB391_1184
.LBB391_1112:                           ;   in Loop: Header=BB391_1032 Depth=2
	s_or_b32 exec_lo, exec_lo, s27
	v_cmp_lt_u32_e64 s27, v77, v137
	s_and_saveexec_b32 s28, s27
	s_cbranch_execnz .LBB391_1185
.LBB391_1113:                           ;   in Loop: Header=BB391_1032 Depth=2
	s_or_b32 exec_lo, exec_lo, s28
	v_cmp_lt_u32_e64 s28, v78, v137
	s_and_saveexec_b32 s29, s28
	s_cbranch_execnz .LBB391_1186
.LBB391_1114:                           ;   in Loop: Header=BB391_1032 Depth=2
	s_or_b32 exec_lo, exec_lo, s29
	v_cmp_lt_u32_e64 s29, v79, v137
	s_and_saveexec_b32 s30, s29
	s_cbranch_execnz .LBB391_1187
.LBB391_1115:                           ;   in Loop: Header=BB391_1032 Depth=2
	s_or_b32 exec_lo, exec_lo, s30
	v_cmp_lt_u32_e64 s30, v80, v137
	s_and_saveexec_b32 s31, s30
	s_cbranch_execnz .LBB391_1188
.LBB391_1116:                           ;   in Loop: Header=BB391_1032 Depth=2
	s_or_b32 exec_lo, exec_lo, s31
	v_cmp_lt_u32_e64 s31, v81, v137
	s_and_saveexec_b32 s33, s31
	s_cbranch_execnz .LBB391_1189
.LBB391_1117:                           ;   in Loop: Header=BB391_1032 Depth=2
	s_or_b32 exec_lo, exec_lo, s33
	v_cmp_lt_u32_e64 s33, v82, v137
	s_and_saveexec_b32 s61, s33
	s_cbranch_execz .LBB391_1119
.LBB391_1118:                           ;   in Loop: Header=BB391_1032 Depth=2
	ds_load_u8 v62, v2 offset:4608
	s_wait_dscnt 0x0
	v_and_b32_e32 v63, 0xff, v62
	v_xor_b32_e32 v62, 0x80, v62
	s_delay_alu instid0(VALU_DEP_2) | instskip(NEXT) | instid1(VALU_DEP_1)
	v_lshrrev_b32_e32 v63, s49, v63
	v_and_b32_e32 v63, s58, v63
	s_delay_alu instid0(VALU_DEP_1)
	v_lshlrev_b32_e32 v63, 2, v63
	ds_load_b32 v63, v63
	s_wait_dscnt 0x0
	v_add_nc_u32_e32 v63, v63, v82
	global_store_b8 v63, v62, s[40:41]
.LBB391_1119:                           ;   in Loop: Header=BB391_1032 Depth=2
	s_wait_xcnt 0x0
	s_or_b32 exec_lo, exec_lo, s61
	v_lshl_add_u64 v[62:63], s[34:35], 3, v[26:27]
	v_cmp_lt_u32_e64 s34, v97, v137
	s_and_saveexec_b32 s61, s34
	s_delay_alu instid0(SALU_CYCLE_1)
	s_xor_b32 s34, exec_lo, s61
	s_cbranch_execnz .LBB391_1190
; %bb.1120:                             ;   in Loop: Header=BB391_1032 Depth=2
	s_or_b32 exec_lo, exec_lo, s34
	s_delay_alu instid0(SALU_CYCLE_1)
	s_mov_b32 s61, exec_lo
	v_cmpx_lt_u32_e64 v98, v137
	s_cbranch_execnz .LBB391_1191
.LBB391_1121:                           ;   in Loop: Header=BB391_1032 Depth=2
	s_or_b32 exec_lo, exec_lo, s61
	s_delay_alu instid0(SALU_CYCLE_1)
	s_mov_b32 s61, exec_lo
	v_cmpx_lt_u32_e64 v99, v137
	s_cbranch_execnz .LBB391_1192
.LBB391_1122:                           ;   in Loop: Header=BB391_1032 Depth=2
	s_or_b32 exec_lo, exec_lo, s61
	s_delay_alu instid0(SALU_CYCLE_1)
	s_mov_b32 s61, exec_lo
	v_cmpx_lt_u32_e64 v100, v137
	s_cbranch_execnz .LBB391_1193
.LBB391_1123:                           ;   in Loop: Header=BB391_1032 Depth=2
	s_or_b32 exec_lo, exec_lo, s61
	s_delay_alu instid0(SALU_CYCLE_1)
	s_mov_b32 s61, exec_lo
	v_cmpx_lt_u32_e64 v101, v137
	s_cbranch_execnz .LBB391_1194
.LBB391_1124:                           ;   in Loop: Header=BB391_1032 Depth=2
	s_or_b32 exec_lo, exec_lo, s61
	s_delay_alu instid0(SALU_CYCLE_1)
	s_mov_b32 s61, exec_lo
	v_cmpx_lt_u32_e64 v102, v137
	s_cbranch_execnz .LBB391_1195
.LBB391_1125:                           ;   in Loop: Header=BB391_1032 Depth=2
	s_or_b32 exec_lo, exec_lo, s61
	s_delay_alu instid0(SALU_CYCLE_1)
	s_mov_b32 s61, exec_lo
	v_cmpx_lt_u32_e64 v103, v137
	s_cbranch_execnz .LBB391_1196
.LBB391_1126:                           ;   in Loop: Header=BB391_1032 Depth=2
	s_or_b32 exec_lo, exec_lo, s61
	s_delay_alu instid0(SALU_CYCLE_1)
	s_mov_b32 s61, exec_lo
	v_cmpx_lt_u32_e64 v104, v137
	s_cbranch_execnz .LBB391_1197
.LBB391_1127:                           ;   in Loop: Header=BB391_1032 Depth=2
	s_or_b32 exec_lo, exec_lo, s61
	s_delay_alu instid0(SALU_CYCLE_1)
	s_mov_b32 s61, exec_lo
	v_cmpx_lt_u32_e64 v105, v137
	s_cbranch_execnz .LBB391_1198
.LBB391_1128:                           ;   in Loop: Header=BB391_1032 Depth=2
	s_or_b32 exec_lo, exec_lo, s61
	s_delay_alu instid0(SALU_CYCLE_1)
	s_mov_b32 s61, exec_lo
	v_cmpx_lt_u32_e64 v106, v137
	s_cbranch_execnz .LBB391_1199
.LBB391_1129:                           ;   in Loop: Header=BB391_1032 Depth=2
	s_or_b32 exec_lo, exec_lo, s61
	s_delay_alu instid0(SALU_CYCLE_1)
	s_mov_b32 s61, exec_lo
	v_cmpx_lt_u32_e64 v107, v137
	s_cbranch_execnz .LBB391_1200
.LBB391_1130:                           ;   in Loop: Header=BB391_1032 Depth=2
	s_or_b32 exec_lo, exec_lo, s61
	s_delay_alu instid0(SALU_CYCLE_1)
	s_mov_b32 s61, exec_lo
	v_cmpx_lt_u32_e64 v108, v137
	s_cbranch_execnz .LBB391_1201
.LBB391_1131:                           ;   in Loop: Header=BB391_1032 Depth=2
	s_or_b32 exec_lo, exec_lo, s61
	s_delay_alu instid0(SALU_CYCLE_1)
	s_mov_b32 s61, exec_lo
	v_cmpx_lt_u32_e64 v109, v137
	s_cbranch_execnz .LBB391_1202
.LBB391_1132:                           ;   in Loop: Header=BB391_1032 Depth=2
	s_or_b32 exec_lo, exec_lo, s61
	s_delay_alu instid0(SALU_CYCLE_1)
	s_mov_b32 s61, exec_lo
	v_cmpx_lt_u32_e64 v110, v137
	s_cbranch_execnz .LBB391_1203
.LBB391_1133:                           ;   in Loop: Header=BB391_1032 Depth=2
	s_or_b32 exec_lo, exec_lo, s61
	s_delay_alu instid0(SALU_CYCLE_1)
	s_mov_b32 s61, exec_lo
	v_cmpx_lt_u32_e64 v111, v137
	s_cbranch_execnz .LBB391_1204
.LBB391_1134:                           ;   in Loop: Header=BB391_1032 Depth=2
	s_or_b32 exec_lo, exec_lo, s61
	s_delay_alu instid0(SALU_CYCLE_1)
	s_mov_b32 s61, exec_lo
	v_cmpx_lt_u32_e64 v112, v137
	s_cbranch_execnz .LBB391_1205
.LBB391_1135:                           ;   in Loop: Header=BB391_1032 Depth=2
	s_or_b32 exec_lo, exec_lo, s61
	s_delay_alu instid0(SALU_CYCLE_1)
	s_mov_b32 s61, exec_lo
	v_cmpx_lt_u32_e64 v113, v137
	s_cbranch_execnz .LBB391_1206
.LBB391_1136:                           ;   in Loop: Header=BB391_1032 Depth=2
	s_or_b32 exec_lo, exec_lo, s61
	s_and_saveexec_b32 s34, vcc_lo
	s_cbranch_execnz .LBB391_1207
.LBB391_1137:                           ;   in Loop: Header=BB391_1032 Depth=2
	s_or_b32 exec_lo, exec_lo, s34
	s_and_saveexec_b32 s34, s17
	s_cbranch_execnz .LBB391_1208
.LBB391_1138:                           ;   in Loop: Header=BB391_1032 Depth=2
	s_or_b32 exec_lo, exec_lo, s34
	s_and_saveexec_b32 s34, s18
	s_cbranch_execnz .LBB391_1209
.LBB391_1139:                           ;   in Loop: Header=BB391_1032 Depth=2
	s_or_b32 exec_lo, exec_lo, s34
	s_and_saveexec_b32 s34, s19
	s_cbranch_execnz .LBB391_1210
.LBB391_1140:                           ;   in Loop: Header=BB391_1032 Depth=2
	s_or_b32 exec_lo, exec_lo, s34
	s_and_saveexec_b32 s34, s20
	s_cbranch_execnz .LBB391_1211
.LBB391_1141:                           ;   in Loop: Header=BB391_1032 Depth=2
	s_or_b32 exec_lo, exec_lo, s34
	s_and_saveexec_b32 s34, s21
	s_cbranch_execnz .LBB391_1212
.LBB391_1142:                           ;   in Loop: Header=BB391_1032 Depth=2
	s_or_b32 exec_lo, exec_lo, s34
	s_and_saveexec_b32 s34, s22
	s_cbranch_execnz .LBB391_1213
.LBB391_1143:                           ;   in Loop: Header=BB391_1032 Depth=2
	s_or_b32 exec_lo, exec_lo, s34
	s_and_saveexec_b32 s34, s23
	s_cbranch_execnz .LBB391_1214
.LBB391_1144:                           ;   in Loop: Header=BB391_1032 Depth=2
	s_or_b32 exec_lo, exec_lo, s34
	s_and_saveexec_b32 s34, s24
	s_cbranch_execnz .LBB391_1215
.LBB391_1145:                           ;   in Loop: Header=BB391_1032 Depth=2
	s_or_b32 exec_lo, exec_lo, s34
	s_and_saveexec_b32 s34, s25
	s_cbranch_execnz .LBB391_1216
.LBB391_1146:                           ;   in Loop: Header=BB391_1032 Depth=2
	s_or_b32 exec_lo, exec_lo, s34
	s_and_saveexec_b32 s34, s26
	s_cbranch_execnz .LBB391_1217
.LBB391_1147:                           ;   in Loop: Header=BB391_1032 Depth=2
	s_or_b32 exec_lo, exec_lo, s34
	s_and_saveexec_b32 s34, s27
	s_cbranch_execnz .LBB391_1218
.LBB391_1148:                           ;   in Loop: Header=BB391_1032 Depth=2
	s_or_b32 exec_lo, exec_lo, s34
	s_and_saveexec_b32 s34, s28
	s_cbranch_execnz .LBB391_1219
.LBB391_1149:                           ;   in Loop: Header=BB391_1032 Depth=2
	s_or_b32 exec_lo, exec_lo, s34
	s_and_saveexec_b32 s34, s29
	s_cbranch_execnz .LBB391_1220
.LBB391_1150:                           ;   in Loop: Header=BB391_1032 Depth=2
	s_or_b32 exec_lo, exec_lo, s34
	s_and_saveexec_b32 s34, s30
	s_cbranch_execnz .LBB391_1221
.LBB391_1151:                           ;   in Loop: Header=BB391_1032 Depth=2
	s_or_b32 exec_lo, exec_lo, s34
	s_and_saveexec_b32 s34, s31
	s_cbranch_execnz .LBB391_1222
.LBB391_1152:                           ;   in Loop: Header=BB391_1032 Depth=2
	s_or_b32 exec_lo, exec_lo, s34
	s_and_saveexec_b32 s34, s33
	s_cbranch_execz .LBB391_1154
.LBB391_1153:                           ;   in Loop: Header=BB391_1032 Depth=2
	ds_load_u8 v62, v2 offset:4608
	s_wait_dscnt 0x0
	v_lshrrev_b32_e32 v62, s49, v62
	s_delay_alu instid0(VALU_DEP_1)
	v_and_b32_e32 v116, s58, v62
.LBB391_1154:                           ;   in Loop: Header=BB391_1032 Depth=2
	s_or_b32 exec_lo, exec_lo, s34
	v_lshlrev_b32_e32 v62, 3, v156
	v_lshlrev_b32_e32 v63, 3, v152
	s_wait_loadcnt 0x0
	s_wait_storecnt 0x0
	s_barrier_signal -1
	s_barrier_wait -1
	ds_store_b64 v62, v[60:61] offset:512
	ds_store_b64 v63, v[58:59] offset:512
	v_dual_lshlrev_b32 v62, 3, v151 :: v_dual_lshlrev_b32 v63, 3, v150
	v_dual_lshlrev_b32 v137, 3, v149 :: v_dual_lshlrev_b32 v138, 3, v148
	v_lshlrev_b32_e32 v142, 3, v146
	ds_store_b64 v62, v[56:57] offset:512
	ds_store_b64 v63, v[54:55] offset:512
	ds_store_b64 v137, v[52:53] offset:512
	ds_store_b64 v138, v[50:51] offset:512
	ds_store_b64 v142, v[48:49] offset:512
	v_dual_lshlrev_b32 v62, 3, v145 :: v_dual_lshlrev_b32 v63, 3, v144
	v_dual_lshlrev_b32 v137, 3, v143 :: v_dual_lshlrev_b32 v138, 3, v141
	v_lshlrev_b32_e32 v140, 3, v140
	ds_store_b64 v62, v[46:47] offset:512
	ds_store_b64 v63, v[44:45] offset:512
	ds_store_b64 v137, v[42:43] offset:512
	;; [unrolled: 8-line block ×3, first 2 shown]
	ds_store_b64 v65, v[30:31] offset:512
	ds_store_b64 v64, v[28:29] offset:512
	v_add_nc_u32_e32 v62, v2, v95
	s_wait_dscnt 0x0
	s_barrier_signal -1
	s_barrier_wait -1
	s_and_saveexec_b32 s34, vcc_lo
	s_cbranch_execnz .LBB391_1223
; %bb.1155:                             ;   in Loop: Header=BB391_1032 Depth=2
	s_or_b32 exec_lo, exec_lo, s34
	s_and_saveexec_b32 s34, s17
	s_cbranch_execnz .LBB391_1224
.LBB391_1156:                           ;   in Loop: Header=BB391_1032 Depth=2
	s_or_b32 exec_lo, exec_lo, s34
	s_and_saveexec_b32 s17, s18
	s_cbranch_execnz .LBB391_1225
.LBB391_1157:                           ;   in Loop: Header=BB391_1032 Depth=2
	s_or_b32 exec_lo, exec_lo, s17
	s_and_saveexec_b32 s17, s19
	s_cbranch_execnz .LBB391_1226
.LBB391_1158:                           ;   in Loop: Header=BB391_1032 Depth=2
	s_or_b32 exec_lo, exec_lo, s17
	s_and_saveexec_b32 s17, s20
	s_cbranch_execnz .LBB391_1227
.LBB391_1159:                           ;   in Loop: Header=BB391_1032 Depth=2
	s_or_b32 exec_lo, exec_lo, s17
	s_and_saveexec_b32 s17, s21
	s_cbranch_execnz .LBB391_1228
.LBB391_1160:                           ;   in Loop: Header=BB391_1032 Depth=2
	s_or_b32 exec_lo, exec_lo, s17
	s_and_saveexec_b32 s17, s22
	s_cbranch_execnz .LBB391_1229
.LBB391_1161:                           ;   in Loop: Header=BB391_1032 Depth=2
	s_or_b32 exec_lo, exec_lo, s17
	s_and_saveexec_b32 s17, s23
	s_cbranch_execnz .LBB391_1230
.LBB391_1162:                           ;   in Loop: Header=BB391_1032 Depth=2
	s_or_b32 exec_lo, exec_lo, s17
	s_and_saveexec_b32 s17, s24
	s_cbranch_execnz .LBB391_1231
.LBB391_1163:                           ;   in Loop: Header=BB391_1032 Depth=2
	s_or_b32 exec_lo, exec_lo, s17
	s_and_saveexec_b32 s17, s25
	s_cbranch_execnz .LBB391_1232
.LBB391_1164:                           ;   in Loop: Header=BB391_1032 Depth=2
	s_or_b32 exec_lo, exec_lo, s17
	s_and_saveexec_b32 s17, s26
	s_cbranch_execnz .LBB391_1233
.LBB391_1165:                           ;   in Loop: Header=BB391_1032 Depth=2
	s_or_b32 exec_lo, exec_lo, s17
	s_and_saveexec_b32 s17, s27
	s_cbranch_execnz .LBB391_1234
.LBB391_1166:                           ;   in Loop: Header=BB391_1032 Depth=2
	s_or_b32 exec_lo, exec_lo, s17
	s_and_saveexec_b32 s17, s28
	s_cbranch_execnz .LBB391_1235
.LBB391_1167:                           ;   in Loop: Header=BB391_1032 Depth=2
	s_or_b32 exec_lo, exec_lo, s17
	s_and_saveexec_b32 s17, s29
	s_cbranch_execnz .LBB391_1236
.LBB391_1168:                           ;   in Loop: Header=BB391_1032 Depth=2
	s_or_b32 exec_lo, exec_lo, s17
	s_and_saveexec_b32 s17, s30
	s_cbranch_execnz .LBB391_1237
.LBB391_1169:                           ;   in Loop: Header=BB391_1032 Depth=2
	s_or_b32 exec_lo, exec_lo, s17
	s_and_saveexec_b32 s17, s31
	s_cbranch_execnz .LBB391_1238
.LBB391_1170:                           ;   in Loop: Header=BB391_1032 Depth=2
	s_or_b32 exec_lo, exec_lo, s17
	s_and_saveexec_b32 s17, s33
	s_cbranch_execz .LBB391_1172
.LBB391_1171:                           ;   in Loop: Header=BB391_1032 Depth=2
	v_lshlrev_b32_e32 v63, 2, v116
	ds_load_b32 v64, v63
	ds_load_b64 v[62:63], v62 offset:33280
	s_wait_dscnt 0x1
	v_add_nc_u32_e32 v64, v64, v82
	s_wait_dscnt 0x0
	global_store_b64 v64, v[62:63], s[46:47] scale_offset
.LBB391_1172:                           ;   in Loop: Header=BB391_1032 Depth=2
	s_wait_xcnt 0x0
	s_or_b32 exec_lo, exec_lo, s17
	s_wait_storecnt 0x0
	s_barrier_signal -1
	s_barrier_wait -1
	s_and_saveexec_b32 s17, s0
	s_cbranch_execz .LBB391_1031
; %bb.1173:                             ;   in Loop: Header=BB391_1032 Depth=2
	ds_load_b32 v62, v66
	s_wait_dscnt 0x0
	v_add3_u32 v62, v133, v134, v62
	ds_store_b32 v66, v62
	s_branch .LBB391_1031
.LBB391_1174:                           ;   in Loop: Header=BB391_1032 Depth=2
	ds_load_u8 v62, v2 offset:512
	s_wait_dscnt 0x0
	v_and_b32_e32 v63, 0xff, v62
	v_xor_b32_e32 v62, 0x80, v62
	s_delay_alu instid0(VALU_DEP_2) | instskip(NEXT) | instid1(VALU_DEP_1)
	v_lshrrev_b32_e32 v63, s49, v63
	v_and_b32_e32 v63, s58, v63
	s_delay_alu instid0(VALU_DEP_1)
	v_lshlrev_b32_e32 v63, 2, v63
	ds_load_b32 v63, v63
	s_wait_dscnt 0x0
	v_add_nc_u32_e32 v63, v63, v2
	global_store_b8 v63, v62, s[40:41]
	s_wait_xcnt 0x0
	s_or_b32 exec_lo, exec_lo, s17
	v_cmp_lt_u32_e64 s17, v67, v137
	s_and_saveexec_b32 s18, s17
	s_cbranch_execz .LBB391_1103
.LBB391_1175:                           ;   in Loop: Header=BB391_1032 Depth=2
	ds_load_u8 v62, v2 offset:768
	s_wait_dscnt 0x0
	v_and_b32_e32 v63, 0xff, v62
	v_xor_b32_e32 v62, 0x80, v62
	s_delay_alu instid0(VALU_DEP_2) | instskip(NEXT) | instid1(VALU_DEP_1)
	v_lshrrev_b32_e32 v63, s49, v63
	v_and_b32_e32 v63, s58, v63
	s_delay_alu instid0(VALU_DEP_1)
	v_lshlrev_b32_e32 v63, 2, v63
	ds_load_b32 v63, v63
	s_wait_dscnt 0x0
	v_add_nc_u32_e32 v63, v63, v67
	global_store_b8 v63, v62, s[40:41]
	s_wait_xcnt 0x0
	s_or_b32 exec_lo, exec_lo, s18
	v_cmp_lt_u32_e64 s18, v68, v137
	s_and_saveexec_b32 s19, s18
	s_cbranch_execz .LBB391_1104
.LBB391_1176:                           ;   in Loop: Header=BB391_1032 Depth=2
	ds_load_u8 v62, v2 offset:1024
	s_wait_dscnt 0x0
	v_and_b32_e32 v63, 0xff, v62
	v_xor_b32_e32 v62, 0x80, v62
	s_delay_alu instid0(VALU_DEP_2) | instskip(NEXT) | instid1(VALU_DEP_1)
	v_lshrrev_b32_e32 v63, s49, v63
	v_and_b32_e32 v63, s58, v63
	s_delay_alu instid0(VALU_DEP_1)
	v_lshlrev_b32_e32 v63, 2, v63
	ds_load_b32 v63, v63
	s_wait_dscnt 0x0
	v_add_nc_u32_e32 v63, v63, v68
	global_store_b8 v63, v62, s[40:41]
	s_wait_xcnt 0x0
	s_or_b32 exec_lo, exec_lo, s19
	v_cmp_lt_u32_e64 s19, v69, v137
	s_and_saveexec_b32 s20, s19
	s_cbranch_execz .LBB391_1105
.LBB391_1177:                           ;   in Loop: Header=BB391_1032 Depth=2
	ds_load_u8 v62, v2 offset:1280
	s_wait_dscnt 0x0
	v_and_b32_e32 v63, 0xff, v62
	v_xor_b32_e32 v62, 0x80, v62
	s_delay_alu instid0(VALU_DEP_2) | instskip(NEXT) | instid1(VALU_DEP_1)
	v_lshrrev_b32_e32 v63, s49, v63
	v_and_b32_e32 v63, s58, v63
	s_delay_alu instid0(VALU_DEP_1)
	v_lshlrev_b32_e32 v63, 2, v63
	ds_load_b32 v63, v63
	s_wait_dscnt 0x0
	v_add_nc_u32_e32 v63, v63, v69
	global_store_b8 v63, v62, s[40:41]
	s_wait_xcnt 0x0
	s_or_b32 exec_lo, exec_lo, s20
	v_cmp_lt_u32_e64 s20, v70, v137
	s_and_saveexec_b32 s21, s20
	s_cbranch_execz .LBB391_1106
.LBB391_1178:                           ;   in Loop: Header=BB391_1032 Depth=2
	ds_load_u8 v62, v2 offset:1536
	s_wait_dscnt 0x0
	v_and_b32_e32 v63, 0xff, v62
	v_xor_b32_e32 v62, 0x80, v62
	s_delay_alu instid0(VALU_DEP_2) | instskip(NEXT) | instid1(VALU_DEP_1)
	v_lshrrev_b32_e32 v63, s49, v63
	v_and_b32_e32 v63, s58, v63
	s_delay_alu instid0(VALU_DEP_1)
	v_lshlrev_b32_e32 v63, 2, v63
	ds_load_b32 v63, v63
	s_wait_dscnt 0x0
	v_add_nc_u32_e32 v63, v63, v70
	global_store_b8 v63, v62, s[40:41]
	s_wait_xcnt 0x0
	s_or_b32 exec_lo, exec_lo, s21
	v_cmp_lt_u32_e64 s21, v71, v137
	s_and_saveexec_b32 s22, s21
	s_cbranch_execz .LBB391_1107
.LBB391_1179:                           ;   in Loop: Header=BB391_1032 Depth=2
	ds_load_u8 v62, v2 offset:1792
	s_wait_dscnt 0x0
	v_and_b32_e32 v63, 0xff, v62
	v_xor_b32_e32 v62, 0x80, v62
	s_delay_alu instid0(VALU_DEP_2) | instskip(NEXT) | instid1(VALU_DEP_1)
	v_lshrrev_b32_e32 v63, s49, v63
	v_and_b32_e32 v63, s58, v63
	s_delay_alu instid0(VALU_DEP_1)
	v_lshlrev_b32_e32 v63, 2, v63
	ds_load_b32 v63, v63
	s_wait_dscnt 0x0
	v_add_nc_u32_e32 v63, v63, v71
	global_store_b8 v63, v62, s[40:41]
	s_wait_xcnt 0x0
	s_or_b32 exec_lo, exec_lo, s22
	v_cmp_lt_u32_e64 s22, v72, v137
	s_and_saveexec_b32 s23, s22
	s_cbranch_execz .LBB391_1108
.LBB391_1180:                           ;   in Loop: Header=BB391_1032 Depth=2
	ds_load_u8 v62, v2 offset:2048
	s_wait_dscnt 0x0
	v_and_b32_e32 v63, 0xff, v62
	v_xor_b32_e32 v62, 0x80, v62
	s_delay_alu instid0(VALU_DEP_2) | instskip(NEXT) | instid1(VALU_DEP_1)
	v_lshrrev_b32_e32 v63, s49, v63
	v_and_b32_e32 v63, s58, v63
	s_delay_alu instid0(VALU_DEP_1)
	v_lshlrev_b32_e32 v63, 2, v63
	ds_load_b32 v63, v63
	s_wait_dscnt 0x0
	v_add_nc_u32_e32 v63, v63, v72
	global_store_b8 v63, v62, s[40:41]
	s_wait_xcnt 0x0
	s_or_b32 exec_lo, exec_lo, s23
	v_cmp_lt_u32_e64 s23, v73, v137
	s_and_saveexec_b32 s24, s23
	s_cbranch_execz .LBB391_1109
.LBB391_1181:                           ;   in Loop: Header=BB391_1032 Depth=2
	ds_load_u8 v62, v2 offset:2304
	s_wait_dscnt 0x0
	v_and_b32_e32 v63, 0xff, v62
	v_xor_b32_e32 v62, 0x80, v62
	s_delay_alu instid0(VALU_DEP_2) | instskip(NEXT) | instid1(VALU_DEP_1)
	v_lshrrev_b32_e32 v63, s49, v63
	v_and_b32_e32 v63, s58, v63
	s_delay_alu instid0(VALU_DEP_1)
	v_lshlrev_b32_e32 v63, 2, v63
	ds_load_b32 v63, v63
	s_wait_dscnt 0x0
	v_add_nc_u32_e32 v63, v63, v73
	global_store_b8 v63, v62, s[40:41]
	s_wait_xcnt 0x0
	s_or_b32 exec_lo, exec_lo, s24
	v_cmp_lt_u32_e64 s24, v74, v137
	s_and_saveexec_b32 s25, s24
	s_cbranch_execz .LBB391_1110
.LBB391_1182:                           ;   in Loop: Header=BB391_1032 Depth=2
	ds_load_u8 v62, v2 offset:2560
	s_wait_dscnt 0x0
	v_and_b32_e32 v63, 0xff, v62
	v_xor_b32_e32 v62, 0x80, v62
	s_delay_alu instid0(VALU_DEP_2) | instskip(NEXT) | instid1(VALU_DEP_1)
	v_lshrrev_b32_e32 v63, s49, v63
	v_and_b32_e32 v63, s58, v63
	s_delay_alu instid0(VALU_DEP_1)
	v_lshlrev_b32_e32 v63, 2, v63
	ds_load_b32 v63, v63
	s_wait_dscnt 0x0
	v_add_nc_u32_e32 v63, v63, v74
	global_store_b8 v63, v62, s[40:41]
	s_wait_xcnt 0x0
	s_or_b32 exec_lo, exec_lo, s25
	v_cmp_lt_u32_e64 s25, v75, v137
	s_and_saveexec_b32 s26, s25
	s_cbranch_execz .LBB391_1111
.LBB391_1183:                           ;   in Loop: Header=BB391_1032 Depth=2
	ds_load_u8 v62, v2 offset:2816
	s_wait_dscnt 0x0
	v_and_b32_e32 v63, 0xff, v62
	v_xor_b32_e32 v62, 0x80, v62
	s_delay_alu instid0(VALU_DEP_2) | instskip(NEXT) | instid1(VALU_DEP_1)
	v_lshrrev_b32_e32 v63, s49, v63
	v_and_b32_e32 v63, s58, v63
	s_delay_alu instid0(VALU_DEP_1)
	v_lshlrev_b32_e32 v63, 2, v63
	ds_load_b32 v63, v63
	s_wait_dscnt 0x0
	v_add_nc_u32_e32 v63, v63, v75
	global_store_b8 v63, v62, s[40:41]
	s_wait_xcnt 0x0
	s_or_b32 exec_lo, exec_lo, s26
	v_cmp_lt_u32_e64 s26, v76, v137
	s_and_saveexec_b32 s27, s26
	s_cbranch_execz .LBB391_1112
.LBB391_1184:                           ;   in Loop: Header=BB391_1032 Depth=2
	ds_load_u8 v62, v2 offset:3072
	s_wait_dscnt 0x0
	v_and_b32_e32 v63, 0xff, v62
	v_xor_b32_e32 v62, 0x80, v62
	s_delay_alu instid0(VALU_DEP_2) | instskip(NEXT) | instid1(VALU_DEP_1)
	v_lshrrev_b32_e32 v63, s49, v63
	v_and_b32_e32 v63, s58, v63
	s_delay_alu instid0(VALU_DEP_1)
	v_lshlrev_b32_e32 v63, 2, v63
	ds_load_b32 v63, v63
	s_wait_dscnt 0x0
	v_add_nc_u32_e32 v63, v63, v76
	global_store_b8 v63, v62, s[40:41]
	s_wait_xcnt 0x0
	s_or_b32 exec_lo, exec_lo, s27
	v_cmp_lt_u32_e64 s27, v77, v137
	s_and_saveexec_b32 s28, s27
	s_cbranch_execz .LBB391_1113
.LBB391_1185:                           ;   in Loop: Header=BB391_1032 Depth=2
	ds_load_u8 v62, v2 offset:3328
	s_wait_dscnt 0x0
	v_and_b32_e32 v63, 0xff, v62
	v_xor_b32_e32 v62, 0x80, v62
	s_delay_alu instid0(VALU_DEP_2) | instskip(NEXT) | instid1(VALU_DEP_1)
	v_lshrrev_b32_e32 v63, s49, v63
	v_and_b32_e32 v63, s58, v63
	s_delay_alu instid0(VALU_DEP_1)
	v_lshlrev_b32_e32 v63, 2, v63
	ds_load_b32 v63, v63
	s_wait_dscnt 0x0
	v_add_nc_u32_e32 v63, v63, v77
	global_store_b8 v63, v62, s[40:41]
	s_wait_xcnt 0x0
	s_or_b32 exec_lo, exec_lo, s28
	v_cmp_lt_u32_e64 s28, v78, v137
	s_and_saveexec_b32 s29, s28
	s_cbranch_execz .LBB391_1114
.LBB391_1186:                           ;   in Loop: Header=BB391_1032 Depth=2
	ds_load_u8 v62, v2 offset:3584
	s_wait_dscnt 0x0
	v_and_b32_e32 v63, 0xff, v62
	v_xor_b32_e32 v62, 0x80, v62
	s_delay_alu instid0(VALU_DEP_2) | instskip(NEXT) | instid1(VALU_DEP_1)
	v_lshrrev_b32_e32 v63, s49, v63
	v_and_b32_e32 v63, s58, v63
	s_delay_alu instid0(VALU_DEP_1)
	v_lshlrev_b32_e32 v63, 2, v63
	ds_load_b32 v63, v63
	s_wait_dscnt 0x0
	v_add_nc_u32_e32 v63, v63, v78
	global_store_b8 v63, v62, s[40:41]
	s_wait_xcnt 0x0
	s_or_b32 exec_lo, exec_lo, s29
	v_cmp_lt_u32_e64 s29, v79, v137
	s_and_saveexec_b32 s30, s29
	s_cbranch_execz .LBB391_1115
.LBB391_1187:                           ;   in Loop: Header=BB391_1032 Depth=2
	ds_load_u8 v62, v2 offset:3840
	s_wait_dscnt 0x0
	v_and_b32_e32 v63, 0xff, v62
	v_xor_b32_e32 v62, 0x80, v62
	s_delay_alu instid0(VALU_DEP_2) | instskip(NEXT) | instid1(VALU_DEP_1)
	v_lshrrev_b32_e32 v63, s49, v63
	v_and_b32_e32 v63, s58, v63
	s_delay_alu instid0(VALU_DEP_1)
	v_lshlrev_b32_e32 v63, 2, v63
	ds_load_b32 v63, v63
	s_wait_dscnt 0x0
	v_add_nc_u32_e32 v63, v63, v79
	global_store_b8 v63, v62, s[40:41]
	s_wait_xcnt 0x0
	s_or_b32 exec_lo, exec_lo, s30
	v_cmp_lt_u32_e64 s30, v80, v137
	s_and_saveexec_b32 s31, s30
	s_cbranch_execz .LBB391_1116
.LBB391_1188:                           ;   in Loop: Header=BB391_1032 Depth=2
	ds_load_u8 v62, v2 offset:4096
	s_wait_dscnt 0x0
	v_and_b32_e32 v63, 0xff, v62
	v_xor_b32_e32 v62, 0x80, v62
	s_delay_alu instid0(VALU_DEP_2) | instskip(NEXT) | instid1(VALU_DEP_1)
	v_lshrrev_b32_e32 v63, s49, v63
	v_and_b32_e32 v63, s58, v63
	s_delay_alu instid0(VALU_DEP_1)
	v_lshlrev_b32_e32 v63, 2, v63
	ds_load_b32 v63, v63
	s_wait_dscnt 0x0
	v_add_nc_u32_e32 v63, v63, v80
	global_store_b8 v63, v62, s[40:41]
	s_wait_xcnt 0x0
	s_or_b32 exec_lo, exec_lo, s31
	v_cmp_lt_u32_e64 s31, v81, v137
	s_and_saveexec_b32 s33, s31
	s_cbranch_execz .LBB391_1117
.LBB391_1189:                           ;   in Loop: Header=BB391_1032 Depth=2
	ds_load_u8 v62, v2 offset:4352
	s_wait_dscnt 0x0
	v_and_b32_e32 v63, 0xff, v62
	v_xor_b32_e32 v62, 0x80, v62
	s_delay_alu instid0(VALU_DEP_2) | instskip(NEXT) | instid1(VALU_DEP_1)
	v_lshrrev_b32_e32 v63, s49, v63
	v_and_b32_e32 v63, s58, v63
	s_delay_alu instid0(VALU_DEP_1)
	v_lshlrev_b32_e32 v63, 2, v63
	ds_load_b32 v63, v63
	s_wait_dscnt 0x0
	v_add_nc_u32_e32 v63, v63, v81
	global_store_b8 v63, v62, s[40:41]
	s_wait_xcnt 0x0
	s_or_b32 exec_lo, exec_lo, s33
	v_cmp_lt_u32_e64 s33, v82, v137
	s_and_saveexec_b32 s61, s33
	s_cbranch_execnz .LBB391_1118
	s_branch .LBB391_1119
.LBB391_1190:                           ;   in Loop: Header=BB391_1032 Depth=2
	global_load_b64 v[60:61], v[62:63], off
	s_wait_xcnt 0x0
	s_or_b32 exec_lo, exec_lo, s34
	s_delay_alu instid0(SALU_CYCLE_1)
	s_mov_b32 s61, exec_lo
	v_cmpx_lt_u32_e64 v98, v137
	s_cbranch_execz .LBB391_1121
.LBB391_1191:                           ;   in Loop: Header=BB391_1032 Depth=2
	global_load_b64 v[58:59], v[62:63], off offset:256
	s_wait_xcnt 0x0
	s_or_b32 exec_lo, exec_lo, s61
	s_delay_alu instid0(SALU_CYCLE_1)
	s_mov_b32 s61, exec_lo
	v_cmpx_lt_u32_e64 v99, v137
	s_cbranch_execz .LBB391_1122
.LBB391_1192:                           ;   in Loop: Header=BB391_1032 Depth=2
	global_load_b64 v[56:57], v[62:63], off offset:512
	s_wait_xcnt 0x0
	s_or_b32 exec_lo, exec_lo, s61
	s_delay_alu instid0(SALU_CYCLE_1)
	s_mov_b32 s61, exec_lo
	v_cmpx_lt_u32_e64 v100, v137
	s_cbranch_execz .LBB391_1123
.LBB391_1193:                           ;   in Loop: Header=BB391_1032 Depth=2
	global_load_b64 v[54:55], v[62:63], off offset:768
	s_wait_xcnt 0x0
	s_or_b32 exec_lo, exec_lo, s61
	s_delay_alu instid0(SALU_CYCLE_1)
	s_mov_b32 s61, exec_lo
	v_cmpx_lt_u32_e64 v101, v137
	s_cbranch_execz .LBB391_1124
.LBB391_1194:                           ;   in Loop: Header=BB391_1032 Depth=2
	global_load_b64 v[52:53], v[62:63], off offset:1024
	s_wait_xcnt 0x0
	s_or_b32 exec_lo, exec_lo, s61
	s_delay_alu instid0(SALU_CYCLE_1)
	s_mov_b32 s61, exec_lo
	v_cmpx_lt_u32_e64 v102, v137
	s_cbranch_execz .LBB391_1125
.LBB391_1195:                           ;   in Loop: Header=BB391_1032 Depth=2
	global_load_b64 v[50:51], v[62:63], off offset:1280
	s_wait_xcnt 0x0
	s_or_b32 exec_lo, exec_lo, s61
	s_delay_alu instid0(SALU_CYCLE_1)
	s_mov_b32 s61, exec_lo
	v_cmpx_lt_u32_e64 v103, v137
	s_cbranch_execz .LBB391_1126
.LBB391_1196:                           ;   in Loop: Header=BB391_1032 Depth=2
	global_load_b64 v[48:49], v[62:63], off offset:1536
	s_wait_xcnt 0x0
	s_or_b32 exec_lo, exec_lo, s61
	s_delay_alu instid0(SALU_CYCLE_1)
	s_mov_b32 s61, exec_lo
	v_cmpx_lt_u32_e64 v104, v137
	s_cbranch_execz .LBB391_1127
.LBB391_1197:                           ;   in Loop: Header=BB391_1032 Depth=2
	global_load_b64 v[46:47], v[62:63], off offset:1792
	s_wait_xcnt 0x0
	s_or_b32 exec_lo, exec_lo, s61
	s_delay_alu instid0(SALU_CYCLE_1)
	s_mov_b32 s61, exec_lo
	v_cmpx_lt_u32_e64 v105, v137
	s_cbranch_execz .LBB391_1128
.LBB391_1198:                           ;   in Loop: Header=BB391_1032 Depth=2
	global_load_b64 v[44:45], v[62:63], off offset:2048
	s_wait_xcnt 0x0
	s_or_b32 exec_lo, exec_lo, s61
	s_delay_alu instid0(SALU_CYCLE_1)
	s_mov_b32 s61, exec_lo
	v_cmpx_lt_u32_e64 v106, v137
	s_cbranch_execz .LBB391_1129
.LBB391_1199:                           ;   in Loop: Header=BB391_1032 Depth=2
	global_load_b64 v[42:43], v[62:63], off offset:2304
	s_wait_xcnt 0x0
	s_or_b32 exec_lo, exec_lo, s61
	s_delay_alu instid0(SALU_CYCLE_1)
	s_mov_b32 s61, exec_lo
	v_cmpx_lt_u32_e64 v107, v137
	s_cbranch_execz .LBB391_1130
.LBB391_1200:                           ;   in Loop: Header=BB391_1032 Depth=2
	global_load_b64 v[40:41], v[62:63], off offset:2560
	s_wait_xcnt 0x0
	s_or_b32 exec_lo, exec_lo, s61
	s_delay_alu instid0(SALU_CYCLE_1)
	s_mov_b32 s61, exec_lo
	v_cmpx_lt_u32_e64 v108, v137
	s_cbranch_execz .LBB391_1131
.LBB391_1201:                           ;   in Loop: Header=BB391_1032 Depth=2
	global_load_b64 v[38:39], v[62:63], off offset:2816
	s_wait_xcnt 0x0
	s_or_b32 exec_lo, exec_lo, s61
	s_delay_alu instid0(SALU_CYCLE_1)
	s_mov_b32 s61, exec_lo
	v_cmpx_lt_u32_e64 v109, v137
	s_cbranch_execz .LBB391_1132
.LBB391_1202:                           ;   in Loop: Header=BB391_1032 Depth=2
	global_load_b64 v[36:37], v[62:63], off offset:3072
	s_wait_xcnt 0x0
	s_or_b32 exec_lo, exec_lo, s61
	s_delay_alu instid0(SALU_CYCLE_1)
	s_mov_b32 s61, exec_lo
	v_cmpx_lt_u32_e64 v110, v137
	s_cbranch_execz .LBB391_1133
.LBB391_1203:                           ;   in Loop: Header=BB391_1032 Depth=2
	global_load_b64 v[34:35], v[62:63], off offset:3328
	s_wait_xcnt 0x0
	s_or_b32 exec_lo, exec_lo, s61
	s_delay_alu instid0(SALU_CYCLE_1)
	s_mov_b32 s61, exec_lo
	v_cmpx_lt_u32_e64 v111, v137
	s_cbranch_execz .LBB391_1134
.LBB391_1204:                           ;   in Loop: Header=BB391_1032 Depth=2
	global_load_b64 v[32:33], v[62:63], off offset:3584
	s_wait_xcnt 0x0
	s_or_b32 exec_lo, exec_lo, s61
	s_delay_alu instid0(SALU_CYCLE_1)
	s_mov_b32 s61, exec_lo
	v_cmpx_lt_u32_e64 v112, v137
	s_cbranch_execz .LBB391_1135
.LBB391_1205:                           ;   in Loop: Header=BB391_1032 Depth=2
	global_load_b64 v[30:31], v[62:63], off offset:3840
	s_wait_xcnt 0x0
	s_or_b32 exec_lo, exec_lo, s61
	s_delay_alu instid0(SALU_CYCLE_1)
	s_mov_b32 s61, exec_lo
	v_cmpx_lt_u32_e64 v113, v137
	s_cbranch_execz .LBB391_1136
.LBB391_1206:                           ;   in Loop: Header=BB391_1032 Depth=2
	global_load_b64 v[28:29], v[62:63], off offset:4096
	s_wait_xcnt 0x0
	s_or_b32 exec_lo, exec_lo, s61
	s_and_saveexec_b32 s34, vcc_lo
	s_cbranch_execz .LBB391_1137
.LBB391_1207:                           ;   in Loop: Header=BB391_1032 Depth=2
	ds_load_u8 v62, v2 offset:512
	s_wait_dscnt 0x0
	v_lshrrev_b32_e32 v62, s49, v62
	s_delay_alu instid0(VALU_DEP_1)
	v_and_b32_e32 v132, s58, v62
	s_or_b32 exec_lo, exec_lo, s34
	s_and_saveexec_b32 s34, s17
	s_cbranch_execz .LBB391_1138
.LBB391_1208:                           ;   in Loop: Header=BB391_1032 Depth=2
	ds_load_u8 v62, v2 offset:768
	s_wait_dscnt 0x0
	v_lshrrev_b32_e32 v62, s49, v62
	s_delay_alu instid0(VALU_DEP_1)
	v_and_b32_e32 v131, s58, v62
	s_or_b32 exec_lo, exec_lo, s34
	s_and_saveexec_b32 s34, s18
	s_cbranch_execz .LBB391_1139
.LBB391_1209:                           ;   in Loop: Header=BB391_1032 Depth=2
	ds_load_u8 v62, v2 offset:1024
	s_wait_dscnt 0x0
	v_lshrrev_b32_e32 v62, s49, v62
	s_delay_alu instid0(VALU_DEP_1)
	v_and_b32_e32 v130, s58, v62
	s_or_b32 exec_lo, exec_lo, s34
	s_and_saveexec_b32 s34, s19
	s_cbranch_execz .LBB391_1140
.LBB391_1210:                           ;   in Loop: Header=BB391_1032 Depth=2
	ds_load_u8 v62, v2 offset:1280
	s_wait_dscnt 0x0
	v_lshrrev_b32_e32 v62, s49, v62
	s_delay_alu instid0(VALU_DEP_1)
	v_and_b32_e32 v129, s58, v62
	s_or_b32 exec_lo, exec_lo, s34
	s_and_saveexec_b32 s34, s20
	s_cbranch_execz .LBB391_1141
.LBB391_1211:                           ;   in Loop: Header=BB391_1032 Depth=2
	ds_load_u8 v62, v2 offset:1536
	s_wait_dscnt 0x0
	v_lshrrev_b32_e32 v62, s49, v62
	s_delay_alu instid0(VALU_DEP_1)
	v_and_b32_e32 v128, s58, v62
	s_or_b32 exec_lo, exec_lo, s34
	s_and_saveexec_b32 s34, s21
	s_cbranch_execz .LBB391_1142
.LBB391_1212:                           ;   in Loop: Header=BB391_1032 Depth=2
	ds_load_u8 v62, v2 offset:1792
	s_wait_dscnt 0x0
	v_lshrrev_b32_e32 v62, s49, v62
	s_delay_alu instid0(VALU_DEP_1)
	v_and_b32_e32 v127, s58, v62
	s_or_b32 exec_lo, exec_lo, s34
	s_and_saveexec_b32 s34, s22
	s_cbranch_execz .LBB391_1143
.LBB391_1213:                           ;   in Loop: Header=BB391_1032 Depth=2
	ds_load_u8 v62, v2 offset:2048
	s_wait_dscnt 0x0
	v_lshrrev_b32_e32 v62, s49, v62
	s_delay_alu instid0(VALU_DEP_1)
	v_and_b32_e32 v126, s58, v62
	s_or_b32 exec_lo, exec_lo, s34
	s_and_saveexec_b32 s34, s23
	s_cbranch_execz .LBB391_1144
.LBB391_1214:                           ;   in Loop: Header=BB391_1032 Depth=2
	ds_load_u8 v62, v2 offset:2304
	s_wait_dscnt 0x0
	v_lshrrev_b32_e32 v62, s49, v62
	s_delay_alu instid0(VALU_DEP_1)
	v_and_b32_e32 v125, s58, v62
	s_or_b32 exec_lo, exec_lo, s34
	s_and_saveexec_b32 s34, s24
	s_cbranch_execz .LBB391_1145
.LBB391_1215:                           ;   in Loop: Header=BB391_1032 Depth=2
	ds_load_u8 v62, v2 offset:2560
	s_wait_dscnt 0x0
	v_lshrrev_b32_e32 v62, s49, v62
	s_delay_alu instid0(VALU_DEP_1)
	v_and_b32_e32 v124, s58, v62
	s_or_b32 exec_lo, exec_lo, s34
	s_and_saveexec_b32 s34, s25
	s_cbranch_execz .LBB391_1146
.LBB391_1216:                           ;   in Loop: Header=BB391_1032 Depth=2
	ds_load_u8 v62, v2 offset:2816
	s_wait_dscnt 0x0
	v_lshrrev_b32_e32 v62, s49, v62
	s_delay_alu instid0(VALU_DEP_1)
	v_and_b32_e32 v123, s58, v62
	s_or_b32 exec_lo, exec_lo, s34
	s_and_saveexec_b32 s34, s26
	s_cbranch_execz .LBB391_1147
.LBB391_1217:                           ;   in Loop: Header=BB391_1032 Depth=2
	ds_load_u8 v62, v2 offset:3072
	s_wait_dscnt 0x0
	v_lshrrev_b32_e32 v62, s49, v62
	s_delay_alu instid0(VALU_DEP_1)
	v_and_b32_e32 v122, s58, v62
	s_or_b32 exec_lo, exec_lo, s34
	s_and_saveexec_b32 s34, s27
	s_cbranch_execz .LBB391_1148
.LBB391_1218:                           ;   in Loop: Header=BB391_1032 Depth=2
	ds_load_u8 v62, v2 offset:3328
	s_wait_dscnt 0x0
	v_lshrrev_b32_e32 v62, s49, v62
	s_delay_alu instid0(VALU_DEP_1)
	v_and_b32_e32 v121, s58, v62
	s_or_b32 exec_lo, exec_lo, s34
	s_and_saveexec_b32 s34, s28
	s_cbranch_execz .LBB391_1149
.LBB391_1219:                           ;   in Loop: Header=BB391_1032 Depth=2
	ds_load_u8 v62, v2 offset:3584
	s_wait_dscnt 0x0
	v_lshrrev_b32_e32 v62, s49, v62
	s_delay_alu instid0(VALU_DEP_1)
	v_and_b32_e32 v120, s58, v62
	s_or_b32 exec_lo, exec_lo, s34
	s_and_saveexec_b32 s34, s29
	s_cbranch_execz .LBB391_1150
.LBB391_1220:                           ;   in Loop: Header=BB391_1032 Depth=2
	ds_load_u8 v62, v2 offset:3840
	s_wait_dscnt 0x0
	v_lshrrev_b32_e32 v62, s49, v62
	s_delay_alu instid0(VALU_DEP_1)
	v_and_b32_e32 v119, s58, v62
	s_or_b32 exec_lo, exec_lo, s34
	s_and_saveexec_b32 s34, s30
	s_cbranch_execz .LBB391_1151
.LBB391_1221:                           ;   in Loop: Header=BB391_1032 Depth=2
	ds_load_u8 v62, v2 offset:4096
	s_wait_dscnt 0x0
	v_lshrrev_b32_e32 v62, s49, v62
	s_delay_alu instid0(VALU_DEP_1)
	v_and_b32_e32 v118, s58, v62
	s_or_b32 exec_lo, exec_lo, s34
	s_and_saveexec_b32 s34, s31
	s_cbranch_execz .LBB391_1152
.LBB391_1222:                           ;   in Loop: Header=BB391_1032 Depth=2
	ds_load_u8 v62, v2 offset:4352
	s_wait_dscnt 0x0
	v_lshrrev_b32_e32 v62, s49, v62
	s_delay_alu instid0(VALU_DEP_1)
	v_and_b32_e32 v117, s58, v62
	s_or_b32 exec_lo, exec_lo, s34
	s_and_saveexec_b32 s34, s33
	s_cbranch_execnz .LBB391_1153
	s_branch .LBB391_1154
.LBB391_1223:                           ;   in Loop: Header=BB391_1032 Depth=2
	v_lshlrev_b32_e32 v63, 2, v132
	ds_load_b32 v63, v63
	ds_load_b64 v[64:65], v62 offset:512
	s_wait_dscnt 0x1
	v_add_nc_u32_e32 v63, v63, v2
	s_wait_dscnt 0x0
	global_store_b64 v63, v[64:65], s[46:47] scale_offset
	s_wait_xcnt 0x0
	s_or_b32 exec_lo, exec_lo, s34
	s_and_saveexec_b32 s34, s17
	s_cbranch_execz .LBB391_1156
.LBB391_1224:                           ;   in Loop: Header=BB391_1032 Depth=2
	v_lshlrev_b32_e32 v63, 2, v131
	ds_load_b32 v63, v63
	ds_load_b64 v[64:65], v62 offset:2560
	s_wait_dscnt 0x1
	v_add_nc_u32_e32 v63, v63, v67
	s_wait_dscnt 0x0
	global_store_b64 v63, v[64:65], s[46:47] scale_offset
	s_wait_xcnt 0x0
	s_or_b32 exec_lo, exec_lo, s34
	s_and_saveexec_b32 s17, s18
	s_cbranch_execz .LBB391_1157
.LBB391_1225:                           ;   in Loop: Header=BB391_1032 Depth=2
	v_lshlrev_b32_e32 v63, 2, v130
	ds_load_b32 v63, v63
	ds_load_b64 v[64:65], v62 offset:4608
	s_wait_dscnt 0x1
	v_add_nc_u32_e32 v63, v63, v68
	s_wait_dscnt 0x0
	global_store_b64 v63, v[64:65], s[46:47] scale_offset
	s_wait_xcnt 0x0
	s_or_b32 exec_lo, exec_lo, s17
	s_and_saveexec_b32 s17, s19
	s_cbranch_execz .LBB391_1158
.LBB391_1226:                           ;   in Loop: Header=BB391_1032 Depth=2
	v_lshlrev_b32_e32 v63, 2, v129
	ds_load_b32 v63, v63
	ds_load_b64 v[64:65], v62 offset:6656
	s_wait_dscnt 0x1
	v_add_nc_u32_e32 v63, v63, v69
	s_wait_dscnt 0x0
	global_store_b64 v63, v[64:65], s[46:47] scale_offset
	s_wait_xcnt 0x0
	s_or_b32 exec_lo, exec_lo, s17
	s_and_saveexec_b32 s17, s20
	s_cbranch_execz .LBB391_1159
.LBB391_1227:                           ;   in Loop: Header=BB391_1032 Depth=2
	v_lshlrev_b32_e32 v63, 2, v128
	ds_load_b32 v63, v63
	ds_load_b64 v[64:65], v62 offset:8704
	s_wait_dscnt 0x1
	v_add_nc_u32_e32 v63, v63, v70
	s_wait_dscnt 0x0
	global_store_b64 v63, v[64:65], s[46:47] scale_offset
	s_wait_xcnt 0x0
	s_or_b32 exec_lo, exec_lo, s17
	s_and_saveexec_b32 s17, s21
	s_cbranch_execz .LBB391_1160
.LBB391_1228:                           ;   in Loop: Header=BB391_1032 Depth=2
	v_lshlrev_b32_e32 v63, 2, v127
	ds_load_b32 v63, v63
	ds_load_b64 v[64:65], v62 offset:10752
	s_wait_dscnt 0x1
	v_add_nc_u32_e32 v63, v63, v71
	s_wait_dscnt 0x0
	global_store_b64 v63, v[64:65], s[46:47] scale_offset
	s_wait_xcnt 0x0
	s_or_b32 exec_lo, exec_lo, s17
	s_and_saveexec_b32 s17, s22
	s_cbranch_execz .LBB391_1161
.LBB391_1229:                           ;   in Loop: Header=BB391_1032 Depth=2
	v_lshlrev_b32_e32 v63, 2, v126
	ds_load_b32 v63, v63
	ds_load_b64 v[64:65], v62 offset:12800
	s_wait_dscnt 0x1
	v_add_nc_u32_e32 v63, v63, v72
	s_wait_dscnt 0x0
	global_store_b64 v63, v[64:65], s[46:47] scale_offset
	s_wait_xcnt 0x0
	s_or_b32 exec_lo, exec_lo, s17
	s_and_saveexec_b32 s17, s23
	s_cbranch_execz .LBB391_1162
.LBB391_1230:                           ;   in Loop: Header=BB391_1032 Depth=2
	v_lshlrev_b32_e32 v63, 2, v125
	ds_load_b32 v63, v63
	ds_load_b64 v[64:65], v62 offset:14848
	s_wait_dscnt 0x1
	v_add_nc_u32_e32 v63, v63, v73
	s_wait_dscnt 0x0
	global_store_b64 v63, v[64:65], s[46:47] scale_offset
	s_wait_xcnt 0x0
	s_or_b32 exec_lo, exec_lo, s17
	s_and_saveexec_b32 s17, s24
	s_cbranch_execz .LBB391_1163
.LBB391_1231:                           ;   in Loop: Header=BB391_1032 Depth=2
	v_lshlrev_b32_e32 v63, 2, v124
	ds_load_b32 v63, v63
	ds_load_b64 v[64:65], v62 offset:16896
	s_wait_dscnt 0x1
	v_add_nc_u32_e32 v63, v63, v74
	s_wait_dscnt 0x0
	global_store_b64 v63, v[64:65], s[46:47] scale_offset
	s_wait_xcnt 0x0
	s_or_b32 exec_lo, exec_lo, s17
	s_and_saveexec_b32 s17, s25
	s_cbranch_execz .LBB391_1164
.LBB391_1232:                           ;   in Loop: Header=BB391_1032 Depth=2
	v_lshlrev_b32_e32 v63, 2, v123
	ds_load_b32 v63, v63
	ds_load_b64 v[64:65], v62 offset:18944
	s_wait_dscnt 0x1
	v_add_nc_u32_e32 v63, v63, v75
	s_wait_dscnt 0x0
	global_store_b64 v63, v[64:65], s[46:47] scale_offset
	s_wait_xcnt 0x0
	s_or_b32 exec_lo, exec_lo, s17
	s_and_saveexec_b32 s17, s26
	s_cbranch_execz .LBB391_1165
.LBB391_1233:                           ;   in Loop: Header=BB391_1032 Depth=2
	v_lshlrev_b32_e32 v63, 2, v122
	ds_load_b32 v63, v63
	ds_load_b64 v[64:65], v62 offset:20992
	s_wait_dscnt 0x1
	v_add_nc_u32_e32 v63, v63, v76
	s_wait_dscnt 0x0
	global_store_b64 v63, v[64:65], s[46:47] scale_offset
	s_wait_xcnt 0x0
	s_or_b32 exec_lo, exec_lo, s17
	s_and_saveexec_b32 s17, s27
	s_cbranch_execz .LBB391_1166
.LBB391_1234:                           ;   in Loop: Header=BB391_1032 Depth=2
	v_lshlrev_b32_e32 v63, 2, v121
	ds_load_b32 v63, v63
	ds_load_b64 v[64:65], v62 offset:23040
	s_wait_dscnt 0x1
	v_add_nc_u32_e32 v63, v63, v77
	s_wait_dscnt 0x0
	global_store_b64 v63, v[64:65], s[46:47] scale_offset
	s_wait_xcnt 0x0
	s_or_b32 exec_lo, exec_lo, s17
	s_and_saveexec_b32 s17, s28
	s_cbranch_execz .LBB391_1167
.LBB391_1235:                           ;   in Loop: Header=BB391_1032 Depth=2
	v_lshlrev_b32_e32 v63, 2, v120
	ds_load_b32 v63, v63
	ds_load_b64 v[64:65], v62 offset:25088
	s_wait_dscnt 0x1
	v_add_nc_u32_e32 v63, v63, v78
	s_wait_dscnt 0x0
	global_store_b64 v63, v[64:65], s[46:47] scale_offset
	s_wait_xcnt 0x0
	s_or_b32 exec_lo, exec_lo, s17
	s_and_saveexec_b32 s17, s29
	s_cbranch_execz .LBB391_1168
.LBB391_1236:                           ;   in Loop: Header=BB391_1032 Depth=2
	v_lshlrev_b32_e32 v63, 2, v119
	ds_load_b32 v63, v63
	ds_load_b64 v[64:65], v62 offset:27136
	s_wait_dscnt 0x1
	v_add_nc_u32_e32 v63, v63, v79
	s_wait_dscnt 0x0
	global_store_b64 v63, v[64:65], s[46:47] scale_offset
	s_wait_xcnt 0x0
	s_or_b32 exec_lo, exec_lo, s17
	s_and_saveexec_b32 s17, s30
	s_cbranch_execz .LBB391_1169
.LBB391_1237:                           ;   in Loop: Header=BB391_1032 Depth=2
	v_lshlrev_b32_e32 v63, 2, v118
	ds_load_b32 v63, v63
	ds_load_b64 v[64:65], v62 offset:29184
	s_wait_dscnt 0x1
	v_add_nc_u32_e32 v63, v63, v80
	s_wait_dscnt 0x0
	global_store_b64 v63, v[64:65], s[46:47] scale_offset
	s_wait_xcnt 0x0
	s_or_b32 exec_lo, exec_lo, s17
	s_and_saveexec_b32 s17, s31
	s_cbranch_execz .LBB391_1170
.LBB391_1238:                           ;   in Loop: Header=BB391_1032 Depth=2
	v_lshlrev_b32_e32 v63, 2, v117
	ds_load_b32 v63, v63
	ds_load_b64 v[64:65], v62 offset:31232
	s_wait_dscnt 0x1
	v_add_nc_u32_e32 v63, v63, v81
	s_wait_dscnt 0x0
	global_store_b64 v63, v[64:65], s[46:47] scale_offset
	s_wait_xcnt 0x0
	s_or_b32 exec_lo, exec_lo, s17
	s_and_saveexec_b32 s17, s33
	s_cbranch_execnz .LBB391_1171
	s_branch .LBB391_1172
.LBB391_1239:                           ;   in Loop: Header=BB391_1032 Depth=2
	global_load_u8 v147, v[62:63], off
	v_dual_mov_b32 v115, 0x7f :: v_dual_mov_b32 v150, 0x7f
	v_dual_mov_b32 v148, 0x7f :: v_dual_mov_b32 v151, 0x7f
	;; [unrolled: 1-line block ×8, first 2 shown]
	s_wait_xcnt 0x0
	s_or_b32 exec_lo, exec_lo, s17
	s_delay_alu instid0(SALU_CYCLE_1)
	s_mov_b32 s17, exec_lo
	v_cmpx_gt_u32_e64 s59, v98
	s_cbranch_execz .LBB391_1037
.LBB391_1240:                           ;   in Loop: Header=BB391_1032 Depth=2
	global_load_u8 v150, v[62:63], off offset:32
	s_wait_xcnt 0x0
	s_or_b32 exec_lo, exec_lo, s17
	s_delay_alu instid0(SALU_CYCLE_1)
	s_mov_b32 s17, exec_lo
	v_cmpx_gt_u32_e64 s59, v99
	s_cbranch_execz .LBB391_1038
.LBB391_1241:                           ;   in Loop: Header=BB391_1032 Depth=2
	global_load_u8 v148, v[62:63], off offset:64
	s_wait_xcnt 0x0
	s_or_b32 exec_lo, exec_lo, s17
	s_delay_alu instid0(SALU_CYCLE_1)
	s_mov_b32 s17, exec_lo
	v_cmpx_gt_u32_e64 s59, v100
	s_cbranch_execz .LBB391_1039
.LBB391_1242:                           ;   in Loop: Header=BB391_1032 Depth=2
	global_load_u8 v151, v[62:63], off offset:96
	s_wait_xcnt 0x0
	s_or_b32 exec_lo, exec_lo, s17
	s_delay_alu instid0(SALU_CYCLE_1)
	s_mov_b32 s17, exec_lo
	v_cmpx_gt_u32_e64 s59, v101
	s_cbranch_execz .LBB391_1040
.LBB391_1243:                           ;   in Loop: Header=BB391_1032 Depth=2
	global_load_u8 v142, v[62:63], off offset:128
	s_wait_xcnt 0x0
	s_or_b32 exec_lo, exec_lo, s17
	s_delay_alu instid0(SALU_CYCLE_1)
	s_mov_b32 s17, exec_lo
	v_cmpx_gt_u32_e64 s59, v102
	s_cbranch_execz .LBB391_1041
.LBB391_1244:                           ;   in Loop: Header=BB391_1032 Depth=2
	global_load_u8 v145, v[62:63], off offset:160
	s_wait_xcnt 0x0
	s_or_b32 exec_lo, exec_lo, s17
	s_delay_alu instid0(SALU_CYCLE_1)
	s_mov_b32 s17, exec_lo
	v_cmpx_gt_u32_e64 s59, v103
	s_cbranch_execz .LBB391_1042
.LBB391_1245:                           ;   in Loop: Header=BB391_1032 Depth=2
	global_load_u8 v143, v[62:63], off offset:192
	s_wait_xcnt 0x0
	s_or_b32 exec_lo, exec_lo, s17
	s_delay_alu instid0(SALU_CYCLE_1)
	s_mov_b32 s17, exec_lo
	v_cmpx_gt_u32_e64 s59, v104
	s_cbranch_execz .LBB391_1043
.LBB391_1246:                           ;   in Loop: Header=BB391_1032 Depth=2
	global_load_u8 v144, v[62:63], off offset:224
	s_wait_xcnt 0x0
	s_or_b32 exec_lo, exec_lo, s17
	s_delay_alu instid0(SALU_CYCLE_1)
	s_mov_b32 s17, exec_lo
	v_cmpx_gt_u32_e64 s59, v105
	s_cbranch_execz .LBB391_1044
.LBB391_1247:                           ;   in Loop: Header=BB391_1032 Depth=2
	global_load_u8 v138, v[62:63], off offset:256
	s_wait_xcnt 0x0
	s_or_b32 exec_lo, exec_lo, s17
	s_delay_alu instid0(SALU_CYCLE_1)
	s_mov_b32 s17, exec_lo
	v_cmpx_gt_u32_e64 s59, v106
	s_cbranch_execz .LBB391_1045
.LBB391_1248:                           ;   in Loop: Header=BB391_1032 Depth=2
	global_load_u8 v141, v[62:63], off offset:288
	s_wait_xcnt 0x0
	s_or_b32 exec_lo, exec_lo, s17
	s_delay_alu instid0(SALU_CYCLE_1)
	s_mov_b32 s17, exec_lo
	v_cmpx_gt_u32_e64 s59, v107
	s_cbranch_execz .LBB391_1046
.LBB391_1249:                           ;   in Loop: Header=BB391_1032 Depth=2
	global_load_u8 v139, v[62:63], off offset:320
	s_wait_xcnt 0x0
	s_or_b32 exec_lo, exec_lo, s17
	s_delay_alu instid0(SALU_CYCLE_1)
	s_mov_b32 s17, exec_lo
	v_cmpx_gt_u32_e64 s59, v108
	s_cbranch_execz .LBB391_1047
.LBB391_1250:                           ;   in Loop: Header=BB391_1032 Depth=2
	global_load_u8 v140, v[62:63], off offset:352
	s_wait_xcnt 0x0
	s_or_b32 exec_lo, exec_lo, s17
	s_delay_alu instid0(SALU_CYCLE_1)
	s_mov_b32 s17, exec_lo
	v_cmpx_gt_u32_e64 s59, v109
	s_cbranch_execz .LBB391_1048
.LBB391_1251:                           ;   in Loop: Header=BB391_1032 Depth=2
	global_load_u8 v64, v[62:63], off offset:384
	s_wait_xcnt 0x0
	s_or_b32 exec_lo, exec_lo, s17
	s_delay_alu instid0(SALU_CYCLE_1)
	s_mov_b32 s17, exec_lo
	v_cmpx_gt_u32_e64 s59, v110
	s_cbranch_execz .LBB391_1049
.LBB391_1252:                           ;   in Loop: Header=BB391_1032 Depth=2
	global_load_u8 v136, v[62:63], off offset:416
	s_wait_xcnt 0x0
	s_or_b32 exec_lo, exec_lo, s17
	s_delay_alu instid0(SALU_CYCLE_1)
	s_mov_b32 s17, exec_lo
	v_cmpx_gt_u32_e64 s59, v111
	s_cbranch_execz .LBB391_1050
.LBB391_1253:                           ;   in Loop: Header=BB391_1032 Depth=2
	global_load_u8 v65, v[62:63], off offset:448
	s_wait_xcnt 0x0
	s_or_b32 exec_lo, exec_lo, s17
	s_delay_alu instid0(SALU_CYCLE_1)
	s_mov_b32 s17, exec_lo
	v_cmpx_gt_u32_e64 s59, v112
	s_cbranch_execnz .LBB391_1051
	s_branch .LBB391_1052
.LBB391_1254:
	s_endpgm
	.section	.rodata,"a",@progbits
	.p2align	6, 0x0
	.amdhsa_kernel _ZN7rocprim17ROCPRIM_400000_NS6detail17trampoline_kernelINS0_14default_configENS1_36segmented_radix_sort_config_selectorIalEEZNS1_25segmented_radix_sort_implIS3_Lb0EPKaPaPKlPlN2at6native12_GLOBAL__N_18offset_tEEE10hipError_tPvRmT1_PNSt15iterator_traitsISK_E10value_typeET2_T3_PNSL_ISQ_E10value_typeET4_jRbjT5_SW_jjP12ihipStream_tbEUlT_E_NS1_11comp_targetILNS1_3genE0ELNS1_11target_archE4294967295ELNS1_3gpuE0ELNS1_3repE0EEENS1_30default_config_static_selectorELNS0_4arch9wavefront6targetE0EEEvSK_
		.amdhsa_group_segment_fixed_size 35344
		.amdhsa_private_segment_fixed_size 0
		.amdhsa_kernarg_size 352
		.amdhsa_user_sgpr_count 4
		.amdhsa_user_sgpr_dispatch_ptr 0
		.amdhsa_user_sgpr_queue_ptr 1
		.amdhsa_user_sgpr_kernarg_segment_ptr 1
		.amdhsa_user_sgpr_dispatch_id 0
		.amdhsa_user_sgpr_kernarg_preload_length 0
		.amdhsa_user_sgpr_kernarg_preload_offset 0
		.amdhsa_user_sgpr_private_segment_size 0
		.amdhsa_wavefront_size32 1
		.amdhsa_uses_dynamic_stack 0
		.amdhsa_enable_private_segment 0
		.amdhsa_system_sgpr_workgroup_id_x 1
		.amdhsa_system_sgpr_workgroup_id_y 1
		.amdhsa_system_sgpr_workgroup_id_z 0
		.amdhsa_system_sgpr_workgroup_info 0
		.amdhsa_system_vgpr_workitem_id 2
		.amdhsa_next_free_vgpr 315
		.amdhsa_next_free_sgpr 62
		.amdhsa_named_barrier_count 0
		.amdhsa_reserve_vcc 1
		.amdhsa_float_round_mode_32 0
		.amdhsa_float_round_mode_16_64 0
		.amdhsa_float_denorm_mode_32 3
		.amdhsa_float_denorm_mode_16_64 3
		.amdhsa_fp16_overflow 0
		.amdhsa_memory_ordered 1
		.amdhsa_forward_progress 1
		.amdhsa_inst_pref_size 255
		.amdhsa_round_robin_scheduling 0
		.amdhsa_exception_fp_ieee_invalid_op 0
		.amdhsa_exception_fp_denorm_src 0
		.amdhsa_exception_fp_ieee_div_zero 0
		.amdhsa_exception_fp_ieee_overflow 0
		.amdhsa_exception_fp_ieee_underflow 0
		.amdhsa_exception_fp_ieee_inexact 0
		.amdhsa_exception_int_div_zero 0
	.end_amdhsa_kernel
	.section	.text._ZN7rocprim17ROCPRIM_400000_NS6detail17trampoline_kernelINS0_14default_configENS1_36segmented_radix_sort_config_selectorIalEEZNS1_25segmented_radix_sort_implIS3_Lb0EPKaPaPKlPlN2at6native12_GLOBAL__N_18offset_tEEE10hipError_tPvRmT1_PNSt15iterator_traitsISK_E10value_typeET2_T3_PNSL_ISQ_E10value_typeET4_jRbjT5_SW_jjP12ihipStream_tbEUlT_E_NS1_11comp_targetILNS1_3genE0ELNS1_11target_archE4294967295ELNS1_3gpuE0ELNS1_3repE0EEENS1_30default_config_static_selectorELNS0_4arch9wavefront6targetE0EEEvSK_,"axG",@progbits,_ZN7rocprim17ROCPRIM_400000_NS6detail17trampoline_kernelINS0_14default_configENS1_36segmented_radix_sort_config_selectorIalEEZNS1_25segmented_radix_sort_implIS3_Lb0EPKaPaPKlPlN2at6native12_GLOBAL__N_18offset_tEEE10hipError_tPvRmT1_PNSt15iterator_traitsISK_E10value_typeET2_T3_PNSL_ISQ_E10value_typeET4_jRbjT5_SW_jjP12ihipStream_tbEUlT_E_NS1_11comp_targetILNS1_3genE0ELNS1_11target_archE4294967295ELNS1_3gpuE0ELNS1_3repE0EEENS1_30default_config_static_selectorELNS0_4arch9wavefront6targetE0EEEvSK_,comdat
.Lfunc_end391:
	.size	_ZN7rocprim17ROCPRIM_400000_NS6detail17trampoline_kernelINS0_14default_configENS1_36segmented_radix_sort_config_selectorIalEEZNS1_25segmented_radix_sort_implIS3_Lb0EPKaPaPKlPlN2at6native12_GLOBAL__N_18offset_tEEE10hipError_tPvRmT1_PNSt15iterator_traitsISK_E10value_typeET2_T3_PNSL_ISQ_E10value_typeET4_jRbjT5_SW_jjP12ihipStream_tbEUlT_E_NS1_11comp_targetILNS1_3genE0ELNS1_11target_archE4294967295ELNS1_3gpuE0ELNS1_3repE0EEENS1_30default_config_static_selectorELNS0_4arch9wavefront6targetE0EEEvSK_, .Lfunc_end391-_ZN7rocprim17ROCPRIM_400000_NS6detail17trampoline_kernelINS0_14default_configENS1_36segmented_radix_sort_config_selectorIalEEZNS1_25segmented_radix_sort_implIS3_Lb0EPKaPaPKlPlN2at6native12_GLOBAL__N_18offset_tEEE10hipError_tPvRmT1_PNSt15iterator_traitsISK_E10value_typeET2_T3_PNSL_ISQ_E10value_typeET4_jRbjT5_SW_jjP12ihipStream_tbEUlT_E_NS1_11comp_targetILNS1_3genE0ELNS1_11target_archE4294967295ELNS1_3gpuE0ELNS1_3repE0EEENS1_30default_config_static_selectorELNS0_4arch9wavefront6targetE0EEEvSK_
                                        ; -- End function
	.set _ZN7rocprim17ROCPRIM_400000_NS6detail17trampoline_kernelINS0_14default_configENS1_36segmented_radix_sort_config_selectorIalEEZNS1_25segmented_radix_sort_implIS3_Lb0EPKaPaPKlPlN2at6native12_GLOBAL__N_18offset_tEEE10hipError_tPvRmT1_PNSt15iterator_traitsISK_E10value_typeET2_T3_PNSL_ISQ_E10value_typeET4_jRbjT5_SW_jjP12ihipStream_tbEUlT_E_NS1_11comp_targetILNS1_3genE0ELNS1_11target_archE4294967295ELNS1_3gpuE0ELNS1_3repE0EEENS1_30default_config_static_selectorELNS0_4arch9wavefront6targetE0EEEvSK_.num_vgpr, max(204, .L_ZN7rocprim17ROCPRIM_400000_NS6detail40segmented_radix_sort_single_block_helperIalLj256ELj17ELb0EE4sortIPKaPaPKlPlEEbT_T0_T1_T2_jjjjRNS3_12storage_typeE.num_vgpr)
	.set _ZN7rocprim17ROCPRIM_400000_NS6detail17trampoline_kernelINS0_14default_configENS1_36segmented_radix_sort_config_selectorIalEEZNS1_25segmented_radix_sort_implIS3_Lb0EPKaPaPKlPlN2at6native12_GLOBAL__N_18offset_tEEE10hipError_tPvRmT1_PNSt15iterator_traitsISK_E10value_typeET2_T3_PNSL_ISQ_E10value_typeET4_jRbjT5_SW_jjP12ihipStream_tbEUlT_E_NS1_11comp_targetILNS1_3genE0ELNS1_11target_archE4294967295ELNS1_3gpuE0ELNS1_3repE0EEENS1_30default_config_static_selectorELNS0_4arch9wavefront6targetE0EEEvSK_.num_agpr, max(0, .L_ZN7rocprim17ROCPRIM_400000_NS6detail40segmented_radix_sort_single_block_helperIalLj256ELj17ELb0EE4sortIPKaPaPKlPlEEbT_T0_T1_T2_jjjjRNS3_12storage_typeE.num_agpr)
	.set _ZN7rocprim17ROCPRIM_400000_NS6detail17trampoline_kernelINS0_14default_configENS1_36segmented_radix_sort_config_selectorIalEEZNS1_25segmented_radix_sort_implIS3_Lb0EPKaPaPKlPlN2at6native12_GLOBAL__N_18offset_tEEE10hipError_tPvRmT1_PNSt15iterator_traitsISK_E10value_typeET2_T3_PNSL_ISQ_E10value_typeET4_jRbjT5_SW_jjP12ihipStream_tbEUlT_E_NS1_11comp_targetILNS1_3genE0ELNS1_11target_archE4294967295ELNS1_3gpuE0ELNS1_3repE0EEENS1_30default_config_static_selectorELNS0_4arch9wavefront6targetE0EEEvSK_.numbered_sgpr, max(62, .L_ZN7rocprim17ROCPRIM_400000_NS6detail40segmented_radix_sort_single_block_helperIalLj256ELj17ELb0EE4sortIPKaPaPKlPlEEbT_T0_T1_T2_jjjjRNS3_12storage_typeE.numbered_sgpr)
	.set _ZN7rocprim17ROCPRIM_400000_NS6detail17trampoline_kernelINS0_14default_configENS1_36segmented_radix_sort_config_selectorIalEEZNS1_25segmented_radix_sort_implIS3_Lb0EPKaPaPKlPlN2at6native12_GLOBAL__N_18offset_tEEE10hipError_tPvRmT1_PNSt15iterator_traitsISK_E10value_typeET2_T3_PNSL_ISQ_E10value_typeET4_jRbjT5_SW_jjP12ihipStream_tbEUlT_E_NS1_11comp_targetILNS1_3genE0ELNS1_11target_archE4294967295ELNS1_3gpuE0ELNS1_3repE0EEENS1_30default_config_static_selectorELNS0_4arch9wavefront6targetE0EEEvSK_.num_named_barrier, max(0, .L_ZN7rocprim17ROCPRIM_400000_NS6detail40segmented_radix_sort_single_block_helperIalLj256ELj17ELb0EE4sortIPKaPaPKlPlEEbT_T0_T1_T2_jjjjRNS3_12storage_typeE.num_named_barrier)
	.set _ZN7rocprim17ROCPRIM_400000_NS6detail17trampoline_kernelINS0_14default_configENS1_36segmented_radix_sort_config_selectorIalEEZNS1_25segmented_radix_sort_implIS3_Lb0EPKaPaPKlPlN2at6native12_GLOBAL__N_18offset_tEEE10hipError_tPvRmT1_PNSt15iterator_traitsISK_E10value_typeET2_T3_PNSL_ISQ_E10value_typeET4_jRbjT5_SW_jjP12ihipStream_tbEUlT_E_NS1_11comp_targetILNS1_3genE0ELNS1_11target_archE4294967295ELNS1_3gpuE0ELNS1_3repE0EEENS1_30default_config_static_selectorELNS0_4arch9wavefront6targetE0EEEvSK_.private_seg_size, 0+max(.L_ZN7rocprim17ROCPRIM_400000_NS6detail40segmented_radix_sort_single_block_helperIalLj256ELj17ELb0EE4sortIPKaPaPKlPlEEbT_T0_T1_T2_jjjjRNS3_12storage_typeE.private_seg_size)
	.set _ZN7rocprim17ROCPRIM_400000_NS6detail17trampoline_kernelINS0_14default_configENS1_36segmented_radix_sort_config_selectorIalEEZNS1_25segmented_radix_sort_implIS3_Lb0EPKaPaPKlPlN2at6native12_GLOBAL__N_18offset_tEEE10hipError_tPvRmT1_PNSt15iterator_traitsISK_E10value_typeET2_T3_PNSL_ISQ_E10value_typeET4_jRbjT5_SW_jjP12ihipStream_tbEUlT_E_NS1_11comp_targetILNS1_3genE0ELNS1_11target_archE4294967295ELNS1_3gpuE0ELNS1_3repE0EEENS1_30default_config_static_selectorELNS0_4arch9wavefront6targetE0EEEvSK_.uses_vcc, or(1, .L_ZN7rocprim17ROCPRIM_400000_NS6detail40segmented_radix_sort_single_block_helperIalLj256ELj17ELb0EE4sortIPKaPaPKlPlEEbT_T0_T1_T2_jjjjRNS3_12storage_typeE.uses_vcc)
	.set _ZN7rocprim17ROCPRIM_400000_NS6detail17trampoline_kernelINS0_14default_configENS1_36segmented_radix_sort_config_selectorIalEEZNS1_25segmented_radix_sort_implIS3_Lb0EPKaPaPKlPlN2at6native12_GLOBAL__N_18offset_tEEE10hipError_tPvRmT1_PNSt15iterator_traitsISK_E10value_typeET2_T3_PNSL_ISQ_E10value_typeET4_jRbjT5_SW_jjP12ihipStream_tbEUlT_E_NS1_11comp_targetILNS1_3genE0ELNS1_11target_archE4294967295ELNS1_3gpuE0ELNS1_3repE0EEENS1_30default_config_static_selectorELNS0_4arch9wavefront6targetE0EEEvSK_.uses_flat_scratch, or(0, .L_ZN7rocprim17ROCPRIM_400000_NS6detail40segmented_radix_sort_single_block_helperIalLj256ELj17ELb0EE4sortIPKaPaPKlPlEEbT_T0_T1_T2_jjjjRNS3_12storage_typeE.uses_flat_scratch)
	.set _ZN7rocprim17ROCPRIM_400000_NS6detail17trampoline_kernelINS0_14default_configENS1_36segmented_radix_sort_config_selectorIalEEZNS1_25segmented_radix_sort_implIS3_Lb0EPKaPaPKlPlN2at6native12_GLOBAL__N_18offset_tEEE10hipError_tPvRmT1_PNSt15iterator_traitsISK_E10value_typeET2_T3_PNSL_ISQ_E10value_typeET4_jRbjT5_SW_jjP12ihipStream_tbEUlT_E_NS1_11comp_targetILNS1_3genE0ELNS1_11target_archE4294967295ELNS1_3gpuE0ELNS1_3repE0EEENS1_30default_config_static_selectorELNS0_4arch9wavefront6targetE0EEEvSK_.has_dyn_sized_stack, or(0, .L_ZN7rocprim17ROCPRIM_400000_NS6detail40segmented_radix_sort_single_block_helperIalLj256ELj17ELb0EE4sortIPKaPaPKlPlEEbT_T0_T1_T2_jjjjRNS3_12storage_typeE.has_dyn_sized_stack)
	.set _ZN7rocprim17ROCPRIM_400000_NS6detail17trampoline_kernelINS0_14default_configENS1_36segmented_radix_sort_config_selectorIalEEZNS1_25segmented_radix_sort_implIS3_Lb0EPKaPaPKlPlN2at6native12_GLOBAL__N_18offset_tEEE10hipError_tPvRmT1_PNSt15iterator_traitsISK_E10value_typeET2_T3_PNSL_ISQ_E10value_typeET4_jRbjT5_SW_jjP12ihipStream_tbEUlT_E_NS1_11comp_targetILNS1_3genE0ELNS1_11target_archE4294967295ELNS1_3gpuE0ELNS1_3repE0EEENS1_30default_config_static_selectorELNS0_4arch9wavefront6targetE0EEEvSK_.has_recursion, or(0, .L_ZN7rocprim17ROCPRIM_400000_NS6detail40segmented_radix_sort_single_block_helperIalLj256ELj17ELb0EE4sortIPKaPaPKlPlEEbT_T0_T1_T2_jjjjRNS3_12storage_typeE.has_recursion)
	.set _ZN7rocprim17ROCPRIM_400000_NS6detail17trampoline_kernelINS0_14default_configENS1_36segmented_radix_sort_config_selectorIalEEZNS1_25segmented_radix_sort_implIS3_Lb0EPKaPaPKlPlN2at6native12_GLOBAL__N_18offset_tEEE10hipError_tPvRmT1_PNSt15iterator_traitsISK_E10value_typeET2_T3_PNSL_ISQ_E10value_typeET4_jRbjT5_SW_jjP12ihipStream_tbEUlT_E_NS1_11comp_targetILNS1_3genE0ELNS1_11target_archE4294967295ELNS1_3gpuE0ELNS1_3repE0EEENS1_30default_config_static_selectorELNS0_4arch9wavefront6targetE0EEEvSK_.has_indirect_call, or(0, .L_ZN7rocprim17ROCPRIM_400000_NS6detail40segmented_radix_sort_single_block_helperIalLj256ELj17ELb0EE4sortIPKaPaPKlPlEEbT_T0_T1_T2_jjjjRNS3_12storage_typeE.has_indirect_call)
	.section	.AMDGPU.csdata,"",@progbits
; Kernel info:
; codeLenInByte = 75668
; TotalNumSgprs: 64
; NumVgprs: 315
; ScratchSize: 0
; MemoryBound: 0
; FloatMode: 240
; IeeeMode: 1
; LDSByteSize: 35344 bytes/workgroup (compile time only)
; SGPRBlocks: 0
; VGPRBlocks: 19
; NumSGPRsForWavesPerEU: 64
; NumVGPRsForWavesPerEU: 315
; NamedBarCnt: 0
; Occupancy: 3
; WaveLimiterHint : 1
; COMPUTE_PGM_RSRC2:SCRATCH_EN: 0
; COMPUTE_PGM_RSRC2:USER_SGPR: 4
; COMPUTE_PGM_RSRC2:TRAP_HANDLER: 0
; COMPUTE_PGM_RSRC2:TGID_X_EN: 1
; COMPUTE_PGM_RSRC2:TGID_Y_EN: 1
; COMPUTE_PGM_RSRC2:TGID_Z_EN: 0
; COMPUTE_PGM_RSRC2:TIDIG_COMP_CNT: 2
	.section	.text._ZN7rocprim17ROCPRIM_400000_NS6detail17trampoline_kernelINS0_14default_configENS1_36segmented_radix_sort_config_selectorIalEEZNS1_25segmented_radix_sort_implIS3_Lb0EPKaPaPKlPlN2at6native12_GLOBAL__N_18offset_tEEE10hipError_tPvRmT1_PNSt15iterator_traitsISK_E10value_typeET2_T3_PNSL_ISQ_E10value_typeET4_jRbjT5_SW_jjP12ihipStream_tbEUlT_E_NS1_11comp_targetILNS1_3genE5ELNS1_11target_archE942ELNS1_3gpuE9ELNS1_3repE0EEENS1_30default_config_static_selectorELNS0_4arch9wavefront6targetE0EEEvSK_,"axG",@progbits,_ZN7rocprim17ROCPRIM_400000_NS6detail17trampoline_kernelINS0_14default_configENS1_36segmented_radix_sort_config_selectorIalEEZNS1_25segmented_radix_sort_implIS3_Lb0EPKaPaPKlPlN2at6native12_GLOBAL__N_18offset_tEEE10hipError_tPvRmT1_PNSt15iterator_traitsISK_E10value_typeET2_T3_PNSL_ISQ_E10value_typeET4_jRbjT5_SW_jjP12ihipStream_tbEUlT_E_NS1_11comp_targetILNS1_3genE5ELNS1_11target_archE942ELNS1_3gpuE9ELNS1_3repE0EEENS1_30default_config_static_selectorELNS0_4arch9wavefront6targetE0EEEvSK_,comdat
	.globl	_ZN7rocprim17ROCPRIM_400000_NS6detail17trampoline_kernelINS0_14default_configENS1_36segmented_radix_sort_config_selectorIalEEZNS1_25segmented_radix_sort_implIS3_Lb0EPKaPaPKlPlN2at6native12_GLOBAL__N_18offset_tEEE10hipError_tPvRmT1_PNSt15iterator_traitsISK_E10value_typeET2_T3_PNSL_ISQ_E10value_typeET4_jRbjT5_SW_jjP12ihipStream_tbEUlT_E_NS1_11comp_targetILNS1_3genE5ELNS1_11target_archE942ELNS1_3gpuE9ELNS1_3repE0EEENS1_30default_config_static_selectorELNS0_4arch9wavefront6targetE0EEEvSK_ ; -- Begin function _ZN7rocprim17ROCPRIM_400000_NS6detail17trampoline_kernelINS0_14default_configENS1_36segmented_radix_sort_config_selectorIalEEZNS1_25segmented_radix_sort_implIS3_Lb0EPKaPaPKlPlN2at6native12_GLOBAL__N_18offset_tEEE10hipError_tPvRmT1_PNSt15iterator_traitsISK_E10value_typeET2_T3_PNSL_ISQ_E10value_typeET4_jRbjT5_SW_jjP12ihipStream_tbEUlT_E_NS1_11comp_targetILNS1_3genE5ELNS1_11target_archE942ELNS1_3gpuE9ELNS1_3repE0EEENS1_30default_config_static_selectorELNS0_4arch9wavefront6targetE0EEEvSK_
	.p2align	8
	.type	_ZN7rocprim17ROCPRIM_400000_NS6detail17trampoline_kernelINS0_14default_configENS1_36segmented_radix_sort_config_selectorIalEEZNS1_25segmented_radix_sort_implIS3_Lb0EPKaPaPKlPlN2at6native12_GLOBAL__N_18offset_tEEE10hipError_tPvRmT1_PNSt15iterator_traitsISK_E10value_typeET2_T3_PNSL_ISQ_E10value_typeET4_jRbjT5_SW_jjP12ihipStream_tbEUlT_E_NS1_11comp_targetILNS1_3genE5ELNS1_11target_archE942ELNS1_3gpuE9ELNS1_3repE0EEENS1_30default_config_static_selectorELNS0_4arch9wavefront6targetE0EEEvSK_,@function
_ZN7rocprim17ROCPRIM_400000_NS6detail17trampoline_kernelINS0_14default_configENS1_36segmented_radix_sort_config_selectorIalEEZNS1_25segmented_radix_sort_implIS3_Lb0EPKaPaPKlPlN2at6native12_GLOBAL__N_18offset_tEEE10hipError_tPvRmT1_PNSt15iterator_traitsISK_E10value_typeET2_T3_PNSL_ISQ_E10value_typeET4_jRbjT5_SW_jjP12ihipStream_tbEUlT_E_NS1_11comp_targetILNS1_3genE5ELNS1_11target_archE942ELNS1_3gpuE9ELNS1_3repE0EEENS1_30default_config_static_selectorELNS0_4arch9wavefront6targetE0EEEvSK_: ; @_ZN7rocprim17ROCPRIM_400000_NS6detail17trampoline_kernelINS0_14default_configENS1_36segmented_radix_sort_config_selectorIalEEZNS1_25segmented_radix_sort_implIS3_Lb0EPKaPaPKlPlN2at6native12_GLOBAL__N_18offset_tEEE10hipError_tPvRmT1_PNSt15iterator_traitsISK_E10value_typeET2_T3_PNSL_ISQ_E10value_typeET4_jRbjT5_SW_jjP12ihipStream_tbEUlT_E_NS1_11comp_targetILNS1_3genE5ELNS1_11target_archE942ELNS1_3gpuE9ELNS1_3repE0EEENS1_30default_config_static_selectorELNS0_4arch9wavefront6targetE0EEEvSK_
; %bb.0:
	.section	.rodata,"a",@progbits
	.p2align	6, 0x0
	.amdhsa_kernel _ZN7rocprim17ROCPRIM_400000_NS6detail17trampoline_kernelINS0_14default_configENS1_36segmented_radix_sort_config_selectorIalEEZNS1_25segmented_radix_sort_implIS3_Lb0EPKaPaPKlPlN2at6native12_GLOBAL__N_18offset_tEEE10hipError_tPvRmT1_PNSt15iterator_traitsISK_E10value_typeET2_T3_PNSL_ISQ_E10value_typeET4_jRbjT5_SW_jjP12ihipStream_tbEUlT_E_NS1_11comp_targetILNS1_3genE5ELNS1_11target_archE942ELNS1_3gpuE9ELNS1_3repE0EEENS1_30default_config_static_selectorELNS0_4arch9wavefront6targetE0EEEvSK_
		.amdhsa_group_segment_fixed_size 0
		.amdhsa_private_segment_fixed_size 0
		.amdhsa_kernarg_size 96
		.amdhsa_user_sgpr_count 2
		.amdhsa_user_sgpr_dispatch_ptr 0
		.amdhsa_user_sgpr_queue_ptr 0
		.amdhsa_user_sgpr_kernarg_segment_ptr 1
		.amdhsa_user_sgpr_dispatch_id 0
		.amdhsa_user_sgpr_kernarg_preload_length 0
		.amdhsa_user_sgpr_kernarg_preload_offset 0
		.amdhsa_user_sgpr_private_segment_size 0
		.amdhsa_wavefront_size32 1
		.amdhsa_uses_dynamic_stack 0
		.amdhsa_enable_private_segment 0
		.amdhsa_system_sgpr_workgroup_id_x 1
		.amdhsa_system_sgpr_workgroup_id_y 0
		.amdhsa_system_sgpr_workgroup_id_z 0
		.amdhsa_system_sgpr_workgroup_info 0
		.amdhsa_system_vgpr_workitem_id 0
		.amdhsa_next_free_vgpr 1
		.amdhsa_next_free_sgpr 1
		.amdhsa_named_barrier_count 0
		.amdhsa_reserve_vcc 0
		.amdhsa_float_round_mode_32 0
		.amdhsa_float_round_mode_16_64 0
		.amdhsa_float_denorm_mode_32 3
		.amdhsa_float_denorm_mode_16_64 3
		.amdhsa_fp16_overflow 0
		.amdhsa_memory_ordered 1
		.amdhsa_forward_progress 1
		.amdhsa_inst_pref_size 0
		.amdhsa_round_robin_scheduling 0
		.amdhsa_exception_fp_ieee_invalid_op 0
		.amdhsa_exception_fp_denorm_src 0
		.amdhsa_exception_fp_ieee_div_zero 0
		.amdhsa_exception_fp_ieee_overflow 0
		.amdhsa_exception_fp_ieee_underflow 0
		.amdhsa_exception_fp_ieee_inexact 0
		.amdhsa_exception_int_div_zero 0
	.end_amdhsa_kernel
	.section	.text._ZN7rocprim17ROCPRIM_400000_NS6detail17trampoline_kernelINS0_14default_configENS1_36segmented_radix_sort_config_selectorIalEEZNS1_25segmented_radix_sort_implIS3_Lb0EPKaPaPKlPlN2at6native12_GLOBAL__N_18offset_tEEE10hipError_tPvRmT1_PNSt15iterator_traitsISK_E10value_typeET2_T3_PNSL_ISQ_E10value_typeET4_jRbjT5_SW_jjP12ihipStream_tbEUlT_E_NS1_11comp_targetILNS1_3genE5ELNS1_11target_archE942ELNS1_3gpuE9ELNS1_3repE0EEENS1_30default_config_static_selectorELNS0_4arch9wavefront6targetE0EEEvSK_,"axG",@progbits,_ZN7rocprim17ROCPRIM_400000_NS6detail17trampoline_kernelINS0_14default_configENS1_36segmented_radix_sort_config_selectorIalEEZNS1_25segmented_radix_sort_implIS3_Lb0EPKaPaPKlPlN2at6native12_GLOBAL__N_18offset_tEEE10hipError_tPvRmT1_PNSt15iterator_traitsISK_E10value_typeET2_T3_PNSL_ISQ_E10value_typeET4_jRbjT5_SW_jjP12ihipStream_tbEUlT_E_NS1_11comp_targetILNS1_3genE5ELNS1_11target_archE942ELNS1_3gpuE9ELNS1_3repE0EEENS1_30default_config_static_selectorELNS0_4arch9wavefront6targetE0EEEvSK_,comdat
.Lfunc_end392:
	.size	_ZN7rocprim17ROCPRIM_400000_NS6detail17trampoline_kernelINS0_14default_configENS1_36segmented_radix_sort_config_selectorIalEEZNS1_25segmented_radix_sort_implIS3_Lb0EPKaPaPKlPlN2at6native12_GLOBAL__N_18offset_tEEE10hipError_tPvRmT1_PNSt15iterator_traitsISK_E10value_typeET2_T3_PNSL_ISQ_E10value_typeET4_jRbjT5_SW_jjP12ihipStream_tbEUlT_E_NS1_11comp_targetILNS1_3genE5ELNS1_11target_archE942ELNS1_3gpuE9ELNS1_3repE0EEENS1_30default_config_static_selectorELNS0_4arch9wavefront6targetE0EEEvSK_, .Lfunc_end392-_ZN7rocprim17ROCPRIM_400000_NS6detail17trampoline_kernelINS0_14default_configENS1_36segmented_radix_sort_config_selectorIalEEZNS1_25segmented_radix_sort_implIS3_Lb0EPKaPaPKlPlN2at6native12_GLOBAL__N_18offset_tEEE10hipError_tPvRmT1_PNSt15iterator_traitsISK_E10value_typeET2_T3_PNSL_ISQ_E10value_typeET4_jRbjT5_SW_jjP12ihipStream_tbEUlT_E_NS1_11comp_targetILNS1_3genE5ELNS1_11target_archE942ELNS1_3gpuE9ELNS1_3repE0EEENS1_30default_config_static_selectorELNS0_4arch9wavefront6targetE0EEEvSK_
                                        ; -- End function
	.set _ZN7rocprim17ROCPRIM_400000_NS6detail17trampoline_kernelINS0_14default_configENS1_36segmented_radix_sort_config_selectorIalEEZNS1_25segmented_radix_sort_implIS3_Lb0EPKaPaPKlPlN2at6native12_GLOBAL__N_18offset_tEEE10hipError_tPvRmT1_PNSt15iterator_traitsISK_E10value_typeET2_T3_PNSL_ISQ_E10value_typeET4_jRbjT5_SW_jjP12ihipStream_tbEUlT_E_NS1_11comp_targetILNS1_3genE5ELNS1_11target_archE942ELNS1_3gpuE9ELNS1_3repE0EEENS1_30default_config_static_selectorELNS0_4arch9wavefront6targetE0EEEvSK_.num_vgpr, 0
	.set _ZN7rocprim17ROCPRIM_400000_NS6detail17trampoline_kernelINS0_14default_configENS1_36segmented_radix_sort_config_selectorIalEEZNS1_25segmented_radix_sort_implIS3_Lb0EPKaPaPKlPlN2at6native12_GLOBAL__N_18offset_tEEE10hipError_tPvRmT1_PNSt15iterator_traitsISK_E10value_typeET2_T3_PNSL_ISQ_E10value_typeET4_jRbjT5_SW_jjP12ihipStream_tbEUlT_E_NS1_11comp_targetILNS1_3genE5ELNS1_11target_archE942ELNS1_3gpuE9ELNS1_3repE0EEENS1_30default_config_static_selectorELNS0_4arch9wavefront6targetE0EEEvSK_.num_agpr, 0
	.set _ZN7rocprim17ROCPRIM_400000_NS6detail17trampoline_kernelINS0_14default_configENS1_36segmented_radix_sort_config_selectorIalEEZNS1_25segmented_radix_sort_implIS3_Lb0EPKaPaPKlPlN2at6native12_GLOBAL__N_18offset_tEEE10hipError_tPvRmT1_PNSt15iterator_traitsISK_E10value_typeET2_T3_PNSL_ISQ_E10value_typeET4_jRbjT5_SW_jjP12ihipStream_tbEUlT_E_NS1_11comp_targetILNS1_3genE5ELNS1_11target_archE942ELNS1_3gpuE9ELNS1_3repE0EEENS1_30default_config_static_selectorELNS0_4arch9wavefront6targetE0EEEvSK_.numbered_sgpr, 0
	.set _ZN7rocprim17ROCPRIM_400000_NS6detail17trampoline_kernelINS0_14default_configENS1_36segmented_radix_sort_config_selectorIalEEZNS1_25segmented_radix_sort_implIS3_Lb0EPKaPaPKlPlN2at6native12_GLOBAL__N_18offset_tEEE10hipError_tPvRmT1_PNSt15iterator_traitsISK_E10value_typeET2_T3_PNSL_ISQ_E10value_typeET4_jRbjT5_SW_jjP12ihipStream_tbEUlT_E_NS1_11comp_targetILNS1_3genE5ELNS1_11target_archE942ELNS1_3gpuE9ELNS1_3repE0EEENS1_30default_config_static_selectorELNS0_4arch9wavefront6targetE0EEEvSK_.num_named_barrier, 0
	.set _ZN7rocprim17ROCPRIM_400000_NS6detail17trampoline_kernelINS0_14default_configENS1_36segmented_radix_sort_config_selectorIalEEZNS1_25segmented_radix_sort_implIS3_Lb0EPKaPaPKlPlN2at6native12_GLOBAL__N_18offset_tEEE10hipError_tPvRmT1_PNSt15iterator_traitsISK_E10value_typeET2_T3_PNSL_ISQ_E10value_typeET4_jRbjT5_SW_jjP12ihipStream_tbEUlT_E_NS1_11comp_targetILNS1_3genE5ELNS1_11target_archE942ELNS1_3gpuE9ELNS1_3repE0EEENS1_30default_config_static_selectorELNS0_4arch9wavefront6targetE0EEEvSK_.private_seg_size, 0
	.set _ZN7rocprim17ROCPRIM_400000_NS6detail17trampoline_kernelINS0_14default_configENS1_36segmented_radix_sort_config_selectorIalEEZNS1_25segmented_radix_sort_implIS3_Lb0EPKaPaPKlPlN2at6native12_GLOBAL__N_18offset_tEEE10hipError_tPvRmT1_PNSt15iterator_traitsISK_E10value_typeET2_T3_PNSL_ISQ_E10value_typeET4_jRbjT5_SW_jjP12ihipStream_tbEUlT_E_NS1_11comp_targetILNS1_3genE5ELNS1_11target_archE942ELNS1_3gpuE9ELNS1_3repE0EEENS1_30default_config_static_selectorELNS0_4arch9wavefront6targetE0EEEvSK_.uses_vcc, 0
	.set _ZN7rocprim17ROCPRIM_400000_NS6detail17trampoline_kernelINS0_14default_configENS1_36segmented_radix_sort_config_selectorIalEEZNS1_25segmented_radix_sort_implIS3_Lb0EPKaPaPKlPlN2at6native12_GLOBAL__N_18offset_tEEE10hipError_tPvRmT1_PNSt15iterator_traitsISK_E10value_typeET2_T3_PNSL_ISQ_E10value_typeET4_jRbjT5_SW_jjP12ihipStream_tbEUlT_E_NS1_11comp_targetILNS1_3genE5ELNS1_11target_archE942ELNS1_3gpuE9ELNS1_3repE0EEENS1_30default_config_static_selectorELNS0_4arch9wavefront6targetE0EEEvSK_.uses_flat_scratch, 0
	.set _ZN7rocprim17ROCPRIM_400000_NS6detail17trampoline_kernelINS0_14default_configENS1_36segmented_radix_sort_config_selectorIalEEZNS1_25segmented_radix_sort_implIS3_Lb0EPKaPaPKlPlN2at6native12_GLOBAL__N_18offset_tEEE10hipError_tPvRmT1_PNSt15iterator_traitsISK_E10value_typeET2_T3_PNSL_ISQ_E10value_typeET4_jRbjT5_SW_jjP12ihipStream_tbEUlT_E_NS1_11comp_targetILNS1_3genE5ELNS1_11target_archE942ELNS1_3gpuE9ELNS1_3repE0EEENS1_30default_config_static_selectorELNS0_4arch9wavefront6targetE0EEEvSK_.has_dyn_sized_stack, 0
	.set _ZN7rocprim17ROCPRIM_400000_NS6detail17trampoline_kernelINS0_14default_configENS1_36segmented_radix_sort_config_selectorIalEEZNS1_25segmented_radix_sort_implIS3_Lb0EPKaPaPKlPlN2at6native12_GLOBAL__N_18offset_tEEE10hipError_tPvRmT1_PNSt15iterator_traitsISK_E10value_typeET2_T3_PNSL_ISQ_E10value_typeET4_jRbjT5_SW_jjP12ihipStream_tbEUlT_E_NS1_11comp_targetILNS1_3genE5ELNS1_11target_archE942ELNS1_3gpuE9ELNS1_3repE0EEENS1_30default_config_static_selectorELNS0_4arch9wavefront6targetE0EEEvSK_.has_recursion, 0
	.set _ZN7rocprim17ROCPRIM_400000_NS6detail17trampoline_kernelINS0_14default_configENS1_36segmented_radix_sort_config_selectorIalEEZNS1_25segmented_radix_sort_implIS3_Lb0EPKaPaPKlPlN2at6native12_GLOBAL__N_18offset_tEEE10hipError_tPvRmT1_PNSt15iterator_traitsISK_E10value_typeET2_T3_PNSL_ISQ_E10value_typeET4_jRbjT5_SW_jjP12ihipStream_tbEUlT_E_NS1_11comp_targetILNS1_3genE5ELNS1_11target_archE942ELNS1_3gpuE9ELNS1_3repE0EEENS1_30default_config_static_selectorELNS0_4arch9wavefront6targetE0EEEvSK_.has_indirect_call, 0
	.section	.AMDGPU.csdata,"",@progbits
; Kernel info:
; codeLenInByte = 0
; TotalNumSgprs: 0
; NumVgprs: 0
; ScratchSize: 0
; MemoryBound: 0
; FloatMode: 240
; IeeeMode: 1
; LDSByteSize: 0 bytes/workgroup (compile time only)
; SGPRBlocks: 0
; VGPRBlocks: 0
; NumSGPRsForWavesPerEU: 1
; NumVGPRsForWavesPerEU: 1
; NamedBarCnt: 0
; Occupancy: 16
; WaveLimiterHint : 0
; COMPUTE_PGM_RSRC2:SCRATCH_EN: 0
; COMPUTE_PGM_RSRC2:USER_SGPR: 2
; COMPUTE_PGM_RSRC2:TRAP_HANDLER: 0
; COMPUTE_PGM_RSRC2:TGID_X_EN: 1
; COMPUTE_PGM_RSRC2:TGID_Y_EN: 0
; COMPUTE_PGM_RSRC2:TGID_Z_EN: 0
; COMPUTE_PGM_RSRC2:TIDIG_COMP_CNT: 0
	.section	.text._ZN7rocprim17ROCPRIM_400000_NS6detail17trampoline_kernelINS0_14default_configENS1_36segmented_radix_sort_config_selectorIalEEZNS1_25segmented_radix_sort_implIS3_Lb0EPKaPaPKlPlN2at6native12_GLOBAL__N_18offset_tEEE10hipError_tPvRmT1_PNSt15iterator_traitsISK_E10value_typeET2_T3_PNSL_ISQ_E10value_typeET4_jRbjT5_SW_jjP12ihipStream_tbEUlT_E_NS1_11comp_targetILNS1_3genE4ELNS1_11target_archE910ELNS1_3gpuE8ELNS1_3repE0EEENS1_30default_config_static_selectorELNS0_4arch9wavefront6targetE0EEEvSK_,"axG",@progbits,_ZN7rocprim17ROCPRIM_400000_NS6detail17trampoline_kernelINS0_14default_configENS1_36segmented_radix_sort_config_selectorIalEEZNS1_25segmented_radix_sort_implIS3_Lb0EPKaPaPKlPlN2at6native12_GLOBAL__N_18offset_tEEE10hipError_tPvRmT1_PNSt15iterator_traitsISK_E10value_typeET2_T3_PNSL_ISQ_E10value_typeET4_jRbjT5_SW_jjP12ihipStream_tbEUlT_E_NS1_11comp_targetILNS1_3genE4ELNS1_11target_archE910ELNS1_3gpuE8ELNS1_3repE0EEENS1_30default_config_static_selectorELNS0_4arch9wavefront6targetE0EEEvSK_,comdat
	.globl	_ZN7rocprim17ROCPRIM_400000_NS6detail17trampoline_kernelINS0_14default_configENS1_36segmented_radix_sort_config_selectorIalEEZNS1_25segmented_radix_sort_implIS3_Lb0EPKaPaPKlPlN2at6native12_GLOBAL__N_18offset_tEEE10hipError_tPvRmT1_PNSt15iterator_traitsISK_E10value_typeET2_T3_PNSL_ISQ_E10value_typeET4_jRbjT5_SW_jjP12ihipStream_tbEUlT_E_NS1_11comp_targetILNS1_3genE4ELNS1_11target_archE910ELNS1_3gpuE8ELNS1_3repE0EEENS1_30default_config_static_selectorELNS0_4arch9wavefront6targetE0EEEvSK_ ; -- Begin function _ZN7rocprim17ROCPRIM_400000_NS6detail17trampoline_kernelINS0_14default_configENS1_36segmented_radix_sort_config_selectorIalEEZNS1_25segmented_radix_sort_implIS3_Lb0EPKaPaPKlPlN2at6native12_GLOBAL__N_18offset_tEEE10hipError_tPvRmT1_PNSt15iterator_traitsISK_E10value_typeET2_T3_PNSL_ISQ_E10value_typeET4_jRbjT5_SW_jjP12ihipStream_tbEUlT_E_NS1_11comp_targetILNS1_3genE4ELNS1_11target_archE910ELNS1_3gpuE8ELNS1_3repE0EEENS1_30default_config_static_selectorELNS0_4arch9wavefront6targetE0EEEvSK_
	.p2align	8
	.type	_ZN7rocprim17ROCPRIM_400000_NS6detail17trampoline_kernelINS0_14default_configENS1_36segmented_radix_sort_config_selectorIalEEZNS1_25segmented_radix_sort_implIS3_Lb0EPKaPaPKlPlN2at6native12_GLOBAL__N_18offset_tEEE10hipError_tPvRmT1_PNSt15iterator_traitsISK_E10value_typeET2_T3_PNSL_ISQ_E10value_typeET4_jRbjT5_SW_jjP12ihipStream_tbEUlT_E_NS1_11comp_targetILNS1_3genE4ELNS1_11target_archE910ELNS1_3gpuE8ELNS1_3repE0EEENS1_30default_config_static_selectorELNS0_4arch9wavefront6targetE0EEEvSK_,@function
_ZN7rocprim17ROCPRIM_400000_NS6detail17trampoline_kernelINS0_14default_configENS1_36segmented_radix_sort_config_selectorIalEEZNS1_25segmented_radix_sort_implIS3_Lb0EPKaPaPKlPlN2at6native12_GLOBAL__N_18offset_tEEE10hipError_tPvRmT1_PNSt15iterator_traitsISK_E10value_typeET2_T3_PNSL_ISQ_E10value_typeET4_jRbjT5_SW_jjP12ihipStream_tbEUlT_E_NS1_11comp_targetILNS1_3genE4ELNS1_11target_archE910ELNS1_3gpuE8ELNS1_3repE0EEENS1_30default_config_static_selectorELNS0_4arch9wavefront6targetE0EEEvSK_: ; @_ZN7rocprim17ROCPRIM_400000_NS6detail17trampoline_kernelINS0_14default_configENS1_36segmented_radix_sort_config_selectorIalEEZNS1_25segmented_radix_sort_implIS3_Lb0EPKaPaPKlPlN2at6native12_GLOBAL__N_18offset_tEEE10hipError_tPvRmT1_PNSt15iterator_traitsISK_E10value_typeET2_T3_PNSL_ISQ_E10value_typeET4_jRbjT5_SW_jjP12ihipStream_tbEUlT_E_NS1_11comp_targetILNS1_3genE4ELNS1_11target_archE910ELNS1_3gpuE8ELNS1_3repE0EEENS1_30default_config_static_selectorELNS0_4arch9wavefront6targetE0EEEvSK_
; %bb.0:
	.section	.rodata,"a",@progbits
	.p2align	6, 0x0
	.amdhsa_kernel _ZN7rocprim17ROCPRIM_400000_NS6detail17trampoline_kernelINS0_14default_configENS1_36segmented_radix_sort_config_selectorIalEEZNS1_25segmented_radix_sort_implIS3_Lb0EPKaPaPKlPlN2at6native12_GLOBAL__N_18offset_tEEE10hipError_tPvRmT1_PNSt15iterator_traitsISK_E10value_typeET2_T3_PNSL_ISQ_E10value_typeET4_jRbjT5_SW_jjP12ihipStream_tbEUlT_E_NS1_11comp_targetILNS1_3genE4ELNS1_11target_archE910ELNS1_3gpuE8ELNS1_3repE0EEENS1_30default_config_static_selectorELNS0_4arch9wavefront6targetE0EEEvSK_
		.amdhsa_group_segment_fixed_size 0
		.amdhsa_private_segment_fixed_size 0
		.amdhsa_kernarg_size 96
		.amdhsa_user_sgpr_count 2
		.amdhsa_user_sgpr_dispatch_ptr 0
		.amdhsa_user_sgpr_queue_ptr 0
		.amdhsa_user_sgpr_kernarg_segment_ptr 1
		.amdhsa_user_sgpr_dispatch_id 0
		.amdhsa_user_sgpr_kernarg_preload_length 0
		.amdhsa_user_sgpr_kernarg_preload_offset 0
		.amdhsa_user_sgpr_private_segment_size 0
		.amdhsa_wavefront_size32 1
		.amdhsa_uses_dynamic_stack 0
		.amdhsa_enable_private_segment 0
		.amdhsa_system_sgpr_workgroup_id_x 1
		.amdhsa_system_sgpr_workgroup_id_y 0
		.amdhsa_system_sgpr_workgroup_id_z 0
		.amdhsa_system_sgpr_workgroup_info 0
		.amdhsa_system_vgpr_workitem_id 0
		.amdhsa_next_free_vgpr 1
		.amdhsa_next_free_sgpr 1
		.amdhsa_named_barrier_count 0
		.amdhsa_reserve_vcc 0
		.amdhsa_float_round_mode_32 0
		.amdhsa_float_round_mode_16_64 0
		.amdhsa_float_denorm_mode_32 3
		.amdhsa_float_denorm_mode_16_64 3
		.amdhsa_fp16_overflow 0
		.amdhsa_memory_ordered 1
		.amdhsa_forward_progress 1
		.amdhsa_inst_pref_size 0
		.amdhsa_round_robin_scheduling 0
		.amdhsa_exception_fp_ieee_invalid_op 0
		.amdhsa_exception_fp_denorm_src 0
		.amdhsa_exception_fp_ieee_div_zero 0
		.amdhsa_exception_fp_ieee_overflow 0
		.amdhsa_exception_fp_ieee_underflow 0
		.amdhsa_exception_fp_ieee_inexact 0
		.amdhsa_exception_int_div_zero 0
	.end_amdhsa_kernel
	.section	.text._ZN7rocprim17ROCPRIM_400000_NS6detail17trampoline_kernelINS0_14default_configENS1_36segmented_radix_sort_config_selectorIalEEZNS1_25segmented_radix_sort_implIS3_Lb0EPKaPaPKlPlN2at6native12_GLOBAL__N_18offset_tEEE10hipError_tPvRmT1_PNSt15iterator_traitsISK_E10value_typeET2_T3_PNSL_ISQ_E10value_typeET4_jRbjT5_SW_jjP12ihipStream_tbEUlT_E_NS1_11comp_targetILNS1_3genE4ELNS1_11target_archE910ELNS1_3gpuE8ELNS1_3repE0EEENS1_30default_config_static_selectorELNS0_4arch9wavefront6targetE0EEEvSK_,"axG",@progbits,_ZN7rocprim17ROCPRIM_400000_NS6detail17trampoline_kernelINS0_14default_configENS1_36segmented_radix_sort_config_selectorIalEEZNS1_25segmented_radix_sort_implIS3_Lb0EPKaPaPKlPlN2at6native12_GLOBAL__N_18offset_tEEE10hipError_tPvRmT1_PNSt15iterator_traitsISK_E10value_typeET2_T3_PNSL_ISQ_E10value_typeET4_jRbjT5_SW_jjP12ihipStream_tbEUlT_E_NS1_11comp_targetILNS1_3genE4ELNS1_11target_archE910ELNS1_3gpuE8ELNS1_3repE0EEENS1_30default_config_static_selectorELNS0_4arch9wavefront6targetE0EEEvSK_,comdat
.Lfunc_end393:
	.size	_ZN7rocprim17ROCPRIM_400000_NS6detail17trampoline_kernelINS0_14default_configENS1_36segmented_radix_sort_config_selectorIalEEZNS1_25segmented_radix_sort_implIS3_Lb0EPKaPaPKlPlN2at6native12_GLOBAL__N_18offset_tEEE10hipError_tPvRmT1_PNSt15iterator_traitsISK_E10value_typeET2_T3_PNSL_ISQ_E10value_typeET4_jRbjT5_SW_jjP12ihipStream_tbEUlT_E_NS1_11comp_targetILNS1_3genE4ELNS1_11target_archE910ELNS1_3gpuE8ELNS1_3repE0EEENS1_30default_config_static_selectorELNS0_4arch9wavefront6targetE0EEEvSK_, .Lfunc_end393-_ZN7rocprim17ROCPRIM_400000_NS6detail17trampoline_kernelINS0_14default_configENS1_36segmented_radix_sort_config_selectorIalEEZNS1_25segmented_radix_sort_implIS3_Lb0EPKaPaPKlPlN2at6native12_GLOBAL__N_18offset_tEEE10hipError_tPvRmT1_PNSt15iterator_traitsISK_E10value_typeET2_T3_PNSL_ISQ_E10value_typeET4_jRbjT5_SW_jjP12ihipStream_tbEUlT_E_NS1_11comp_targetILNS1_3genE4ELNS1_11target_archE910ELNS1_3gpuE8ELNS1_3repE0EEENS1_30default_config_static_selectorELNS0_4arch9wavefront6targetE0EEEvSK_
                                        ; -- End function
	.set _ZN7rocprim17ROCPRIM_400000_NS6detail17trampoline_kernelINS0_14default_configENS1_36segmented_radix_sort_config_selectorIalEEZNS1_25segmented_radix_sort_implIS3_Lb0EPKaPaPKlPlN2at6native12_GLOBAL__N_18offset_tEEE10hipError_tPvRmT1_PNSt15iterator_traitsISK_E10value_typeET2_T3_PNSL_ISQ_E10value_typeET4_jRbjT5_SW_jjP12ihipStream_tbEUlT_E_NS1_11comp_targetILNS1_3genE4ELNS1_11target_archE910ELNS1_3gpuE8ELNS1_3repE0EEENS1_30default_config_static_selectorELNS0_4arch9wavefront6targetE0EEEvSK_.num_vgpr, 0
	.set _ZN7rocprim17ROCPRIM_400000_NS6detail17trampoline_kernelINS0_14default_configENS1_36segmented_radix_sort_config_selectorIalEEZNS1_25segmented_radix_sort_implIS3_Lb0EPKaPaPKlPlN2at6native12_GLOBAL__N_18offset_tEEE10hipError_tPvRmT1_PNSt15iterator_traitsISK_E10value_typeET2_T3_PNSL_ISQ_E10value_typeET4_jRbjT5_SW_jjP12ihipStream_tbEUlT_E_NS1_11comp_targetILNS1_3genE4ELNS1_11target_archE910ELNS1_3gpuE8ELNS1_3repE0EEENS1_30default_config_static_selectorELNS0_4arch9wavefront6targetE0EEEvSK_.num_agpr, 0
	.set _ZN7rocprim17ROCPRIM_400000_NS6detail17trampoline_kernelINS0_14default_configENS1_36segmented_radix_sort_config_selectorIalEEZNS1_25segmented_radix_sort_implIS3_Lb0EPKaPaPKlPlN2at6native12_GLOBAL__N_18offset_tEEE10hipError_tPvRmT1_PNSt15iterator_traitsISK_E10value_typeET2_T3_PNSL_ISQ_E10value_typeET4_jRbjT5_SW_jjP12ihipStream_tbEUlT_E_NS1_11comp_targetILNS1_3genE4ELNS1_11target_archE910ELNS1_3gpuE8ELNS1_3repE0EEENS1_30default_config_static_selectorELNS0_4arch9wavefront6targetE0EEEvSK_.numbered_sgpr, 0
	.set _ZN7rocprim17ROCPRIM_400000_NS6detail17trampoline_kernelINS0_14default_configENS1_36segmented_radix_sort_config_selectorIalEEZNS1_25segmented_radix_sort_implIS3_Lb0EPKaPaPKlPlN2at6native12_GLOBAL__N_18offset_tEEE10hipError_tPvRmT1_PNSt15iterator_traitsISK_E10value_typeET2_T3_PNSL_ISQ_E10value_typeET4_jRbjT5_SW_jjP12ihipStream_tbEUlT_E_NS1_11comp_targetILNS1_3genE4ELNS1_11target_archE910ELNS1_3gpuE8ELNS1_3repE0EEENS1_30default_config_static_selectorELNS0_4arch9wavefront6targetE0EEEvSK_.num_named_barrier, 0
	.set _ZN7rocprim17ROCPRIM_400000_NS6detail17trampoline_kernelINS0_14default_configENS1_36segmented_radix_sort_config_selectorIalEEZNS1_25segmented_radix_sort_implIS3_Lb0EPKaPaPKlPlN2at6native12_GLOBAL__N_18offset_tEEE10hipError_tPvRmT1_PNSt15iterator_traitsISK_E10value_typeET2_T3_PNSL_ISQ_E10value_typeET4_jRbjT5_SW_jjP12ihipStream_tbEUlT_E_NS1_11comp_targetILNS1_3genE4ELNS1_11target_archE910ELNS1_3gpuE8ELNS1_3repE0EEENS1_30default_config_static_selectorELNS0_4arch9wavefront6targetE0EEEvSK_.private_seg_size, 0
	.set _ZN7rocprim17ROCPRIM_400000_NS6detail17trampoline_kernelINS0_14default_configENS1_36segmented_radix_sort_config_selectorIalEEZNS1_25segmented_radix_sort_implIS3_Lb0EPKaPaPKlPlN2at6native12_GLOBAL__N_18offset_tEEE10hipError_tPvRmT1_PNSt15iterator_traitsISK_E10value_typeET2_T3_PNSL_ISQ_E10value_typeET4_jRbjT5_SW_jjP12ihipStream_tbEUlT_E_NS1_11comp_targetILNS1_3genE4ELNS1_11target_archE910ELNS1_3gpuE8ELNS1_3repE0EEENS1_30default_config_static_selectorELNS0_4arch9wavefront6targetE0EEEvSK_.uses_vcc, 0
	.set _ZN7rocprim17ROCPRIM_400000_NS6detail17trampoline_kernelINS0_14default_configENS1_36segmented_radix_sort_config_selectorIalEEZNS1_25segmented_radix_sort_implIS3_Lb0EPKaPaPKlPlN2at6native12_GLOBAL__N_18offset_tEEE10hipError_tPvRmT1_PNSt15iterator_traitsISK_E10value_typeET2_T3_PNSL_ISQ_E10value_typeET4_jRbjT5_SW_jjP12ihipStream_tbEUlT_E_NS1_11comp_targetILNS1_3genE4ELNS1_11target_archE910ELNS1_3gpuE8ELNS1_3repE0EEENS1_30default_config_static_selectorELNS0_4arch9wavefront6targetE0EEEvSK_.uses_flat_scratch, 0
	.set _ZN7rocprim17ROCPRIM_400000_NS6detail17trampoline_kernelINS0_14default_configENS1_36segmented_radix_sort_config_selectorIalEEZNS1_25segmented_radix_sort_implIS3_Lb0EPKaPaPKlPlN2at6native12_GLOBAL__N_18offset_tEEE10hipError_tPvRmT1_PNSt15iterator_traitsISK_E10value_typeET2_T3_PNSL_ISQ_E10value_typeET4_jRbjT5_SW_jjP12ihipStream_tbEUlT_E_NS1_11comp_targetILNS1_3genE4ELNS1_11target_archE910ELNS1_3gpuE8ELNS1_3repE0EEENS1_30default_config_static_selectorELNS0_4arch9wavefront6targetE0EEEvSK_.has_dyn_sized_stack, 0
	.set _ZN7rocprim17ROCPRIM_400000_NS6detail17trampoline_kernelINS0_14default_configENS1_36segmented_radix_sort_config_selectorIalEEZNS1_25segmented_radix_sort_implIS3_Lb0EPKaPaPKlPlN2at6native12_GLOBAL__N_18offset_tEEE10hipError_tPvRmT1_PNSt15iterator_traitsISK_E10value_typeET2_T3_PNSL_ISQ_E10value_typeET4_jRbjT5_SW_jjP12ihipStream_tbEUlT_E_NS1_11comp_targetILNS1_3genE4ELNS1_11target_archE910ELNS1_3gpuE8ELNS1_3repE0EEENS1_30default_config_static_selectorELNS0_4arch9wavefront6targetE0EEEvSK_.has_recursion, 0
	.set _ZN7rocprim17ROCPRIM_400000_NS6detail17trampoline_kernelINS0_14default_configENS1_36segmented_radix_sort_config_selectorIalEEZNS1_25segmented_radix_sort_implIS3_Lb0EPKaPaPKlPlN2at6native12_GLOBAL__N_18offset_tEEE10hipError_tPvRmT1_PNSt15iterator_traitsISK_E10value_typeET2_T3_PNSL_ISQ_E10value_typeET4_jRbjT5_SW_jjP12ihipStream_tbEUlT_E_NS1_11comp_targetILNS1_3genE4ELNS1_11target_archE910ELNS1_3gpuE8ELNS1_3repE0EEENS1_30default_config_static_selectorELNS0_4arch9wavefront6targetE0EEEvSK_.has_indirect_call, 0
	.section	.AMDGPU.csdata,"",@progbits
; Kernel info:
; codeLenInByte = 0
; TotalNumSgprs: 0
; NumVgprs: 0
; ScratchSize: 0
; MemoryBound: 0
; FloatMode: 240
; IeeeMode: 1
; LDSByteSize: 0 bytes/workgroup (compile time only)
; SGPRBlocks: 0
; VGPRBlocks: 0
; NumSGPRsForWavesPerEU: 1
; NumVGPRsForWavesPerEU: 1
; NamedBarCnt: 0
; Occupancy: 16
; WaveLimiterHint : 0
; COMPUTE_PGM_RSRC2:SCRATCH_EN: 0
; COMPUTE_PGM_RSRC2:USER_SGPR: 2
; COMPUTE_PGM_RSRC2:TRAP_HANDLER: 0
; COMPUTE_PGM_RSRC2:TGID_X_EN: 1
; COMPUTE_PGM_RSRC2:TGID_Y_EN: 0
; COMPUTE_PGM_RSRC2:TGID_Z_EN: 0
; COMPUTE_PGM_RSRC2:TIDIG_COMP_CNT: 0
	.section	.text._ZN7rocprim17ROCPRIM_400000_NS6detail17trampoline_kernelINS0_14default_configENS1_36segmented_radix_sort_config_selectorIalEEZNS1_25segmented_radix_sort_implIS3_Lb0EPKaPaPKlPlN2at6native12_GLOBAL__N_18offset_tEEE10hipError_tPvRmT1_PNSt15iterator_traitsISK_E10value_typeET2_T3_PNSL_ISQ_E10value_typeET4_jRbjT5_SW_jjP12ihipStream_tbEUlT_E_NS1_11comp_targetILNS1_3genE3ELNS1_11target_archE908ELNS1_3gpuE7ELNS1_3repE0EEENS1_30default_config_static_selectorELNS0_4arch9wavefront6targetE0EEEvSK_,"axG",@progbits,_ZN7rocprim17ROCPRIM_400000_NS6detail17trampoline_kernelINS0_14default_configENS1_36segmented_radix_sort_config_selectorIalEEZNS1_25segmented_radix_sort_implIS3_Lb0EPKaPaPKlPlN2at6native12_GLOBAL__N_18offset_tEEE10hipError_tPvRmT1_PNSt15iterator_traitsISK_E10value_typeET2_T3_PNSL_ISQ_E10value_typeET4_jRbjT5_SW_jjP12ihipStream_tbEUlT_E_NS1_11comp_targetILNS1_3genE3ELNS1_11target_archE908ELNS1_3gpuE7ELNS1_3repE0EEENS1_30default_config_static_selectorELNS0_4arch9wavefront6targetE0EEEvSK_,comdat
	.globl	_ZN7rocprim17ROCPRIM_400000_NS6detail17trampoline_kernelINS0_14default_configENS1_36segmented_radix_sort_config_selectorIalEEZNS1_25segmented_radix_sort_implIS3_Lb0EPKaPaPKlPlN2at6native12_GLOBAL__N_18offset_tEEE10hipError_tPvRmT1_PNSt15iterator_traitsISK_E10value_typeET2_T3_PNSL_ISQ_E10value_typeET4_jRbjT5_SW_jjP12ihipStream_tbEUlT_E_NS1_11comp_targetILNS1_3genE3ELNS1_11target_archE908ELNS1_3gpuE7ELNS1_3repE0EEENS1_30default_config_static_selectorELNS0_4arch9wavefront6targetE0EEEvSK_ ; -- Begin function _ZN7rocprim17ROCPRIM_400000_NS6detail17trampoline_kernelINS0_14default_configENS1_36segmented_radix_sort_config_selectorIalEEZNS1_25segmented_radix_sort_implIS3_Lb0EPKaPaPKlPlN2at6native12_GLOBAL__N_18offset_tEEE10hipError_tPvRmT1_PNSt15iterator_traitsISK_E10value_typeET2_T3_PNSL_ISQ_E10value_typeET4_jRbjT5_SW_jjP12ihipStream_tbEUlT_E_NS1_11comp_targetILNS1_3genE3ELNS1_11target_archE908ELNS1_3gpuE7ELNS1_3repE0EEENS1_30default_config_static_selectorELNS0_4arch9wavefront6targetE0EEEvSK_
	.p2align	8
	.type	_ZN7rocprim17ROCPRIM_400000_NS6detail17trampoline_kernelINS0_14default_configENS1_36segmented_radix_sort_config_selectorIalEEZNS1_25segmented_radix_sort_implIS3_Lb0EPKaPaPKlPlN2at6native12_GLOBAL__N_18offset_tEEE10hipError_tPvRmT1_PNSt15iterator_traitsISK_E10value_typeET2_T3_PNSL_ISQ_E10value_typeET4_jRbjT5_SW_jjP12ihipStream_tbEUlT_E_NS1_11comp_targetILNS1_3genE3ELNS1_11target_archE908ELNS1_3gpuE7ELNS1_3repE0EEENS1_30default_config_static_selectorELNS0_4arch9wavefront6targetE0EEEvSK_,@function
_ZN7rocprim17ROCPRIM_400000_NS6detail17trampoline_kernelINS0_14default_configENS1_36segmented_radix_sort_config_selectorIalEEZNS1_25segmented_radix_sort_implIS3_Lb0EPKaPaPKlPlN2at6native12_GLOBAL__N_18offset_tEEE10hipError_tPvRmT1_PNSt15iterator_traitsISK_E10value_typeET2_T3_PNSL_ISQ_E10value_typeET4_jRbjT5_SW_jjP12ihipStream_tbEUlT_E_NS1_11comp_targetILNS1_3genE3ELNS1_11target_archE908ELNS1_3gpuE7ELNS1_3repE0EEENS1_30default_config_static_selectorELNS0_4arch9wavefront6targetE0EEEvSK_: ; @_ZN7rocprim17ROCPRIM_400000_NS6detail17trampoline_kernelINS0_14default_configENS1_36segmented_radix_sort_config_selectorIalEEZNS1_25segmented_radix_sort_implIS3_Lb0EPKaPaPKlPlN2at6native12_GLOBAL__N_18offset_tEEE10hipError_tPvRmT1_PNSt15iterator_traitsISK_E10value_typeET2_T3_PNSL_ISQ_E10value_typeET4_jRbjT5_SW_jjP12ihipStream_tbEUlT_E_NS1_11comp_targetILNS1_3genE3ELNS1_11target_archE908ELNS1_3gpuE7ELNS1_3repE0EEENS1_30default_config_static_selectorELNS0_4arch9wavefront6targetE0EEEvSK_
; %bb.0:
	.section	.rodata,"a",@progbits
	.p2align	6, 0x0
	.amdhsa_kernel _ZN7rocprim17ROCPRIM_400000_NS6detail17trampoline_kernelINS0_14default_configENS1_36segmented_radix_sort_config_selectorIalEEZNS1_25segmented_radix_sort_implIS3_Lb0EPKaPaPKlPlN2at6native12_GLOBAL__N_18offset_tEEE10hipError_tPvRmT1_PNSt15iterator_traitsISK_E10value_typeET2_T3_PNSL_ISQ_E10value_typeET4_jRbjT5_SW_jjP12ihipStream_tbEUlT_E_NS1_11comp_targetILNS1_3genE3ELNS1_11target_archE908ELNS1_3gpuE7ELNS1_3repE0EEENS1_30default_config_static_selectorELNS0_4arch9wavefront6targetE0EEEvSK_
		.amdhsa_group_segment_fixed_size 0
		.amdhsa_private_segment_fixed_size 0
		.amdhsa_kernarg_size 96
		.amdhsa_user_sgpr_count 2
		.amdhsa_user_sgpr_dispatch_ptr 0
		.amdhsa_user_sgpr_queue_ptr 0
		.amdhsa_user_sgpr_kernarg_segment_ptr 1
		.amdhsa_user_sgpr_dispatch_id 0
		.amdhsa_user_sgpr_kernarg_preload_length 0
		.amdhsa_user_sgpr_kernarg_preload_offset 0
		.amdhsa_user_sgpr_private_segment_size 0
		.amdhsa_wavefront_size32 1
		.amdhsa_uses_dynamic_stack 0
		.amdhsa_enable_private_segment 0
		.amdhsa_system_sgpr_workgroup_id_x 1
		.amdhsa_system_sgpr_workgroup_id_y 0
		.amdhsa_system_sgpr_workgroup_id_z 0
		.amdhsa_system_sgpr_workgroup_info 0
		.amdhsa_system_vgpr_workitem_id 0
		.amdhsa_next_free_vgpr 1
		.amdhsa_next_free_sgpr 1
		.amdhsa_named_barrier_count 0
		.amdhsa_reserve_vcc 0
		.amdhsa_float_round_mode_32 0
		.amdhsa_float_round_mode_16_64 0
		.amdhsa_float_denorm_mode_32 3
		.amdhsa_float_denorm_mode_16_64 3
		.amdhsa_fp16_overflow 0
		.amdhsa_memory_ordered 1
		.amdhsa_forward_progress 1
		.amdhsa_inst_pref_size 0
		.amdhsa_round_robin_scheduling 0
		.amdhsa_exception_fp_ieee_invalid_op 0
		.amdhsa_exception_fp_denorm_src 0
		.amdhsa_exception_fp_ieee_div_zero 0
		.amdhsa_exception_fp_ieee_overflow 0
		.amdhsa_exception_fp_ieee_underflow 0
		.amdhsa_exception_fp_ieee_inexact 0
		.amdhsa_exception_int_div_zero 0
	.end_amdhsa_kernel
	.section	.text._ZN7rocprim17ROCPRIM_400000_NS6detail17trampoline_kernelINS0_14default_configENS1_36segmented_radix_sort_config_selectorIalEEZNS1_25segmented_radix_sort_implIS3_Lb0EPKaPaPKlPlN2at6native12_GLOBAL__N_18offset_tEEE10hipError_tPvRmT1_PNSt15iterator_traitsISK_E10value_typeET2_T3_PNSL_ISQ_E10value_typeET4_jRbjT5_SW_jjP12ihipStream_tbEUlT_E_NS1_11comp_targetILNS1_3genE3ELNS1_11target_archE908ELNS1_3gpuE7ELNS1_3repE0EEENS1_30default_config_static_selectorELNS0_4arch9wavefront6targetE0EEEvSK_,"axG",@progbits,_ZN7rocprim17ROCPRIM_400000_NS6detail17trampoline_kernelINS0_14default_configENS1_36segmented_radix_sort_config_selectorIalEEZNS1_25segmented_radix_sort_implIS3_Lb0EPKaPaPKlPlN2at6native12_GLOBAL__N_18offset_tEEE10hipError_tPvRmT1_PNSt15iterator_traitsISK_E10value_typeET2_T3_PNSL_ISQ_E10value_typeET4_jRbjT5_SW_jjP12ihipStream_tbEUlT_E_NS1_11comp_targetILNS1_3genE3ELNS1_11target_archE908ELNS1_3gpuE7ELNS1_3repE0EEENS1_30default_config_static_selectorELNS0_4arch9wavefront6targetE0EEEvSK_,comdat
.Lfunc_end394:
	.size	_ZN7rocprim17ROCPRIM_400000_NS6detail17trampoline_kernelINS0_14default_configENS1_36segmented_radix_sort_config_selectorIalEEZNS1_25segmented_radix_sort_implIS3_Lb0EPKaPaPKlPlN2at6native12_GLOBAL__N_18offset_tEEE10hipError_tPvRmT1_PNSt15iterator_traitsISK_E10value_typeET2_T3_PNSL_ISQ_E10value_typeET4_jRbjT5_SW_jjP12ihipStream_tbEUlT_E_NS1_11comp_targetILNS1_3genE3ELNS1_11target_archE908ELNS1_3gpuE7ELNS1_3repE0EEENS1_30default_config_static_selectorELNS0_4arch9wavefront6targetE0EEEvSK_, .Lfunc_end394-_ZN7rocprim17ROCPRIM_400000_NS6detail17trampoline_kernelINS0_14default_configENS1_36segmented_radix_sort_config_selectorIalEEZNS1_25segmented_radix_sort_implIS3_Lb0EPKaPaPKlPlN2at6native12_GLOBAL__N_18offset_tEEE10hipError_tPvRmT1_PNSt15iterator_traitsISK_E10value_typeET2_T3_PNSL_ISQ_E10value_typeET4_jRbjT5_SW_jjP12ihipStream_tbEUlT_E_NS1_11comp_targetILNS1_3genE3ELNS1_11target_archE908ELNS1_3gpuE7ELNS1_3repE0EEENS1_30default_config_static_selectorELNS0_4arch9wavefront6targetE0EEEvSK_
                                        ; -- End function
	.set _ZN7rocprim17ROCPRIM_400000_NS6detail17trampoline_kernelINS0_14default_configENS1_36segmented_radix_sort_config_selectorIalEEZNS1_25segmented_radix_sort_implIS3_Lb0EPKaPaPKlPlN2at6native12_GLOBAL__N_18offset_tEEE10hipError_tPvRmT1_PNSt15iterator_traitsISK_E10value_typeET2_T3_PNSL_ISQ_E10value_typeET4_jRbjT5_SW_jjP12ihipStream_tbEUlT_E_NS1_11comp_targetILNS1_3genE3ELNS1_11target_archE908ELNS1_3gpuE7ELNS1_3repE0EEENS1_30default_config_static_selectorELNS0_4arch9wavefront6targetE0EEEvSK_.num_vgpr, 0
	.set _ZN7rocprim17ROCPRIM_400000_NS6detail17trampoline_kernelINS0_14default_configENS1_36segmented_radix_sort_config_selectorIalEEZNS1_25segmented_radix_sort_implIS3_Lb0EPKaPaPKlPlN2at6native12_GLOBAL__N_18offset_tEEE10hipError_tPvRmT1_PNSt15iterator_traitsISK_E10value_typeET2_T3_PNSL_ISQ_E10value_typeET4_jRbjT5_SW_jjP12ihipStream_tbEUlT_E_NS1_11comp_targetILNS1_3genE3ELNS1_11target_archE908ELNS1_3gpuE7ELNS1_3repE0EEENS1_30default_config_static_selectorELNS0_4arch9wavefront6targetE0EEEvSK_.num_agpr, 0
	.set _ZN7rocprim17ROCPRIM_400000_NS6detail17trampoline_kernelINS0_14default_configENS1_36segmented_radix_sort_config_selectorIalEEZNS1_25segmented_radix_sort_implIS3_Lb0EPKaPaPKlPlN2at6native12_GLOBAL__N_18offset_tEEE10hipError_tPvRmT1_PNSt15iterator_traitsISK_E10value_typeET2_T3_PNSL_ISQ_E10value_typeET4_jRbjT5_SW_jjP12ihipStream_tbEUlT_E_NS1_11comp_targetILNS1_3genE3ELNS1_11target_archE908ELNS1_3gpuE7ELNS1_3repE0EEENS1_30default_config_static_selectorELNS0_4arch9wavefront6targetE0EEEvSK_.numbered_sgpr, 0
	.set _ZN7rocprim17ROCPRIM_400000_NS6detail17trampoline_kernelINS0_14default_configENS1_36segmented_radix_sort_config_selectorIalEEZNS1_25segmented_radix_sort_implIS3_Lb0EPKaPaPKlPlN2at6native12_GLOBAL__N_18offset_tEEE10hipError_tPvRmT1_PNSt15iterator_traitsISK_E10value_typeET2_T3_PNSL_ISQ_E10value_typeET4_jRbjT5_SW_jjP12ihipStream_tbEUlT_E_NS1_11comp_targetILNS1_3genE3ELNS1_11target_archE908ELNS1_3gpuE7ELNS1_3repE0EEENS1_30default_config_static_selectorELNS0_4arch9wavefront6targetE0EEEvSK_.num_named_barrier, 0
	.set _ZN7rocprim17ROCPRIM_400000_NS6detail17trampoline_kernelINS0_14default_configENS1_36segmented_radix_sort_config_selectorIalEEZNS1_25segmented_radix_sort_implIS3_Lb0EPKaPaPKlPlN2at6native12_GLOBAL__N_18offset_tEEE10hipError_tPvRmT1_PNSt15iterator_traitsISK_E10value_typeET2_T3_PNSL_ISQ_E10value_typeET4_jRbjT5_SW_jjP12ihipStream_tbEUlT_E_NS1_11comp_targetILNS1_3genE3ELNS1_11target_archE908ELNS1_3gpuE7ELNS1_3repE0EEENS1_30default_config_static_selectorELNS0_4arch9wavefront6targetE0EEEvSK_.private_seg_size, 0
	.set _ZN7rocprim17ROCPRIM_400000_NS6detail17trampoline_kernelINS0_14default_configENS1_36segmented_radix_sort_config_selectorIalEEZNS1_25segmented_radix_sort_implIS3_Lb0EPKaPaPKlPlN2at6native12_GLOBAL__N_18offset_tEEE10hipError_tPvRmT1_PNSt15iterator_traitsISK_E10value_typeET2_T3_PNSL_ISQ_E10value_typeET4_jRbjT5_SW_jjP12ihipStream_tbEUlT_E_NS1_11comp_targetILNS1_3genE3ELNS1_11target_archE908ELNS1_3gpuE7ELNS1_3repE0EEENS1_30default_config_static_selectorELNS0_4arch9wavefront6targetE0EEEvSK_.uses_vcc, 0
	.set _ZN7rocprim17ROCPRIM_400000_NS6detail17trampoline_kernelINS0_14default_configENS1_36segmented_radix_sort_config_selectorIalEEZNS1_25segmented_radix_sort_implIS3_Lb0EPKaPaPKlPlN2at6native12_GLOBAL__N_18offset_tEEE10hipError_tPvRmT1_PNSt15iterator_traitsISK_E10value_typeET2_T3_PNSL_ISQ_E10value_typeET4_jRbjT5_SW_jjP12ihipStream_tbEUlT_E_NS1_11comp_targetILNS1_3genE3ELNS1_11target_archE908ELNS1_3gpuE7ELNS1_3repE0EEENS1_30default_config_static_selectorELNS0_4arch9wavefront6targetE0EEEvSK_.uses_flat_scratch, 0
	.set _ZN7rocprim17ROCPRIM_400000_NS6detail17trampoline_kernelINS0_14default_configENS1_36segmented_radix_sort_config_selectorIalEEZNS1_25segmented_radix_sort_implIS3_Lb0EPKaPaPKlPlN2at6native12_GLOBAL__N_18offset_tEEE10hipError_tPvRmT1_PNSt15iterator_traitsISK_E10value_typeET2_T3_PNSL_ISQ_E10value_typeET4_jRbjT5_SW_jjP12ihipStream_tbEUlT_E_NS1_11comp_targetILNS1_3genE3ELNS1_11target_archE908ELNS1_3gpuE7ELNS1_3repE0EEENS1_30default_config_static_selectorELNS0_4arch9wavefront6targetE0EEEvSK_.has_dyn_sized_stack, 0
	.set _ZN7rocprim17ROCPRIM_400000_NS6detail17trampoline_kernelINS0_14default_configENS1_36segmented_radix_sort_config_selectorIalEEZNS1_25segmented_radix_sort_implIS3_Lb0EPKaPaPKlPlN2at6native12_GLOBAL__N_18offset_tEEE10hipError_tPvRmT1_PNSt15iterator_traitsISK_E10value_typeET2_T3_PNSL_ISQ_E10value_typeET4_jRbjT5_SW_jjP12ihipStream_tbEUlT_E_NS1_11comp_targetILNS1_3genE3ELNS1_11target_archE908ELNS1_3gpuE7ELNS1_3repE0EEENS1_30default_config_static_selectorELNS0_4arch9wavefront6targetE0EEEvSK_.has_recursion, 0
	.set _ZN7rocprim17ROCPRIM_400000_NS6detail17trampoline_kernelINS0_14default_configENS1_36segmented_radix_sort_config_selectorIalEEZNS1_25segmented_radix_sort_implIS3_Lb0EPKaPaPKlPlN2at6native12_GLOBAL__N_18offset_tEEE10hipError_tPvRmT1_PNSt15iterator_traitsISK_E10value_typeET2_T3_PNSL_ISQ_E10value_typeET4_jRbjT5_SW_jjP12ihipStream_tbEUlT_E_NS1_11comp_targetILNS1_3genE3ELNS1_11target_archE908ELNS1_3gpuE7ELNS1_3repE0EEENS1_30default_config_static_selectorELNS0_4arch9wavefront6targetE0EEEvSK_.has_indirect_call, 0
	.section	.AMDGPU.csdata,"",@progbits
; Kernel info:
; codeLenInByte = 0
; TotalNumSgprs: 0
; NumVgprs: 0
; ScratchSize: 0
; MemoryBound: 0
; FloatMode: 240
; IeeeMode: 1
; LDSByteSize: 0 bytes/workgroup (compile time only)
; SGPRBlocks: 0
; VGPRBlocks: 0
; NumSGPRsForWavesPerEU: 1
; NumVGPRsForWavesPerEU: 1
; NamedBarCnt: 0
; Occupancy: 16
; WaveLimiterHint : 0
; COMPUTE_PGM_RSRC2:SCRATCH_EN: 0
; COMPUTE_PGM_RSRC2:USER_SGPR: 2
; COMPUTE_PGM_RSRC2:TRAP_HANDLER: 0
; COMPUTE_PGM_RSRC2:TGID_X_EN: 1
; COMPUTE_PGM_RSRC2:TGID_Y_EN: 0
; COMPUTE_PGM_RSRC2:TGID_Z_EN: 0
; COMPUTE_PGM_RSRC2:TIDIG_COMP_CNT: 0
	.section	.text._ZN7rocprim17ROCPRIM_400000_NS6detail17trampoline_kernelINS0_14default_configENS1_36segmented_radix_sort_config_selectorIalEEZNS1_25segmented_radix_sort_implIS3_Lb0EPKaPaPKlPlN2at6native12_GLOBAL__N_18offset_tEEE10hipError_tPvRmT1_PNSt15iterator_traitsISK_E10value_typeET2_T3_PNSL_ISQ_E10value_typeET4_jRbjT5_SW_jjP12ihipStream_tbEUlT_E_NS1_11comp_targetILNS1_3genE2ELNS1_11target_archE906ELNS1_3gpuE6ELNS1_3repE0EEENS1_30default_config_static_selectorELNS0_4arch9wavefront6targetE0EEEvSK_,"axG",@progbits,_ZN7rocprim17ROCPRIM_400000_NS6detail17trampoline_kernelINS0_14default_configENS1_36segmented_radix_sort_config_selectorIalEEZNS1_25segmented_radix_sort_implIS3_Lb0EPKaPaPKlPlN2at6native12_GLOBAL__N_18offset_tEEE10hipError_tPvRmT1_PNSt15iterator_traitsISK_E10value_typeET2_T3_PNSL_ISQ_E10value_typeET4_jRbjT5_SW_jjP12ihipStream_tbEUlT_E_NS1_11comp_targetILNS1_3genE2ELNS1_11target_archE906ELNS1_3gpuE6ELNS1_3repE0EEENS1_30default_config_static_selectorELNS0_4arch9wavefront6targetE0EEEvSK_,comdat
	.globl	_ZN7rocprim17ROCPRIM_400000_NS6detail17trampoline_kernelINS0_14default_configENS1_36segmented_radix_sort_config_selectorIalEEZNS1_25segmented_radix_sort_implIS3_Lb0EPKaPaPKlPlN2at6native12_GLOBAL__N_18offset_tEEE10hipError_tPvRmT1_PNSt15iterator_traitsISK_E10value_typeET2_T3_PNSL_ISQ_E10value_typeET4_jRbjT5_SW_jjP12ihipStream_tbEUlT_E_NS1_11comp_targetILNS1_3genE2ELNS1_11target_archE906ELNS1_3gpuE6ELNS1_3repE0EEENS1_30default_config_static_selectorELNS0_4arch9wavefront6targetE0EEEvSK_ ; -- Begin function _ZN7rocprim17ROCPRIM_400000_NS6detail17trampoline_kernelINS0_14default_configENS1_36segmented_radix_sort_config_selectorIalEEZNS1_25segmented_radix_sort_implIS3_Lb0EPKaPaPKlPlN2at6native12_GLOBAL__N_18offset_tEEE10hipError_tPvRmT1_PNSt15iterator_traitsISK_E10value_typeET2_T3_PNSL_ISQ_E10value_typeET4_jRbjT5_SW_jjP12ihipStream_tbEUlT_E_NS1_11comp_targetILNS1_3genE2ELNS1_11target_archE906ELNS1_3gpuE6ELNS1_3repE0EEENS1_30default_config_static_selectorELNS0_4arch9wavefront6targetE0EEEvSK_
	.p2align	8
	.type	_ZN7rocprim17ROCPRIM_400000_NS6detail17trampoline_kernelINS0_14default_configENS1_36segmented_radix_sort_config_selectorIalEEZNS1_25segmented_radix_sort_implIS3_Lb0EPKaPaPKlPlN2at6native12_GLOBAL__N_18offset_tEEE10hipError_tPvRmT1_PNSt15iterator_traitsISK_E10value_typeET2_T3_PNSL_ISQ_E10value_typeET4_jRbjT5_SW_jjP12ihipStream_tbEUlT_E_NS1_11comp_targetILNS1_3genE2ELNS1_11target_archE906ELNS1_3gpuE6ELNS1_3repE0EEENS1_30default_config_static_selectorELNS0_4arch9wavefront6targetE0EEEvSK_,@function
_ZN7rocprim17ROCPRIM_400000_NS6detail17trampoline_kernelINS0_14default_configENS1_36segmented_radix_sort_config_selectorIalEEZNS1_25segmented_radix_sort_implIS3_Lb0EPKaPaPKlPlN2at6native12_GLOBAL__N_18offset_tEEE10hipError_tPvRmT1_PNSt15iterator_traitsISK_E10value_typeET2_T3_PNSL_ISQ_E10value_typeET4_jRbjT5_SW_jjP12ihipStream_tbEUlT_E_NS1_11comp_targetILNS1_3genE2ELNS1_11target_archE906ELNS1_3gpuE6ELNS1_3repE0EEENS1_30default_config_static_selectorELNS0_4arch9wavefront6targetE0EEEvSK_: ; @_ZN7rocprim17ROCPRIM_400000_NS6detail17trampoline_kernelINS0_14default_configENS1_36segmented_radix_sort_config_selectorIalEEZNS1_25segmented_radix_sort_implIS3_Lb0EPKaPaPKlPlN2at6native12_GLOBAL__N_18offset_tEEE10hipError_tPvRmT1_PNSt15iterator_traitsISK_E10value_typeET2_T3_PNSL_ISQ_E10value_typeET4_jRbjT5_SW_jjP12ihipStream_tbEUlT_E_NS1_11comp_targetILNS1_3genE2ELNS1_11target_archE906ELNS1_3gpuE6ELNS1_3repE0EEENS1_30default_config_static_selectorELNS0_4arch9wavefront6targetE0EEEvSK_
; %bb.0:
	.section	.rodata,"a",@progbits
	.p2align	6, 0x0
	.amdhsa_kernel _ZN7rocprim17ROCPRIM_400000_NS6detail17trampoline_kernelINS0_14default_configENS1_36segmented_radix_sort_config_selectorIalEEZNS1_25segmented_radix_sort_implIS3_Lb0EPKaPaPKlPlN2at6native12_GLOBAL__N_18offset_tEEE10hipError_tPvRmT1_PNSt15iterator_traitsISK_E10value_typeET2_T3_PNSL_ISQ_E10value_typeET4_jRbjT5_SW_jjP12ihipStream_tbEUlT_E_NS1_11comp_targetILNS1_3genE2ELNS1_11target_archE906ELNS1_3gpuE6ELNS1_3repE0EEENS1_30default_config_static_selectorELNS0_4arch9wavefront6targetE0EEEvSK_
		.amdhsa_group_segment_fixed_size 0
		.amdhsa_private_segment_fixed_size 0
		.amdhsa_kernarg_size 96
		.amdhsa_user_sgpr_count 2
		.amdhsa_user_sgpr_dispatch_ptr 0
		.amdhsa_user_sgpr_queue_ptr 0
		.amdhsa_user_sgpr_kernarg_segment_ptr 1
		.amdhsa_user_sgpr_dispatch_id 0
		.amdhsa_user_sgpr_kernarg_preload_length 0
		.amdhsa_user_sgpr_kernarg_preload_offset 0
		.amdhsa_user_sgpr_private_segment_size 0
		.amdhsa_wavefront_size32 1
		.amdhsa_uses_dynamic_stack 0
		.amdhsa_enable_private_segment 0
		.amdhsa_system_sgpr_workgroup_id_x 1
		.amdhsa_system_sgpr_workgroup_id_y 0
		.amdhsa_system_sgpr_workgroup_id_z 0
		.amdhsa_system_sgpr_workgroup_info 0
		.amdhsa_system_vgpr_workitem_id 0
		.amdhsa_next_free_vgpr 1
		.amdhsa_next_free_sgpr 1
		.amdhsa_named_barrier_count 0
		.amdhsa_reserve_vcc 0
		.amdhsa_float_round_mode_32 0
		.amdhsa_float_round_mode_16_64 0
		.amdhsa_float_denorm_mode_32 3
		.amdhsa_float_denorm_mode_16_64 3
		.amdhsa_fp16_overflow 0
		.amdhsa_memory_ordered 1
		.amdhsa_forward_progress 1
		.amdhsa_inst_pref_size 0
		.amdhsa_round_robin_scheduling 0
		.amdhsa_exception_fp_ieee_invalid_op 0
		.amdhsa_exception_fp_denorm_src 0
		.amdhsa_exception_fp_ieee_div_zero 0
		.amdhsa_exception_fp_ieee_overflow 0
		.amdhsa_exception_fp_ieee_underflow 0
		.amdhsa_exception_fp_ieee_inexact 0
		.amdhsa_exception_int_div_zero 0
	.end_amdhsa_kernel
	.section	.text._ZN7rocprim17ROCPRIM_400000_NS6detail17trampoline_kernelINS0_14default_configENS1_36segmented_radix_sort_config_selectorIalEEZNS1_25segmented_radix_sort_implIS3_Lb0EPKaPaPKlPlN2at6native12_GLOBAL__N_18offset_tEEE10hipError_tPvRmT1_PNSt15iterator_traitsISK_E10value_typeET2_T3_PNSL_ISQ_E10value_typeET4_jRbjT5_SW_jjP12ihipStream_tbEUlT_E_NS1_11comp_targetILNS1_3genE2ELNS1_11target_archE906ELNS1_3gpuE6ELNS1_3repE0EEENS1_30default_config_static_selectorELNS0_4arch9wavefront6targetE0EEEvSK_,"axG",@progbits,_ZN7rocprim17ROCPRIM_400000_NS6detail17trampoline_kernelINS0_14default_configENS1_36segmented_radix_sort_config_selectorIalEEZNS1_25segmented_radix_sort_implIS3_Lb0EPKaPaPKlPlN2at6native12_GLOBAL__N_18offset_tEEE10hipError_tPvRmT1_PNSt15iterator_traitsISK_E10value_typeET2_T3_PNSL_ISQ_E10value_typeET4_jRbjT5_SW_jjP12ihipStream_tbEUlT_E_NS1_11comp_targetILNS1_3genE2ELNS1_11target_archE906ELNS1_3gpuE6ELNS1_3repE0EEENS1_30default_config_static_selectorELNS0_4arch9wavefront6targetE0EEEvSK_,comdat
.Lfunc_end395:
	.size	_ZN7rocprim17ROCPRIM_400000_NS6detail17trampoline_kernelINS0_14default_configENS1_36segmented_radix_sort_config_selectorIalEEZNS1_25segmented_radix_sort_implIS3_Lb0EPKaPaPKlPlN2at6native12_GLOBAL__N_18offset_tEEE10hipError_tPvRmT1_PNSt15iterator_traitsISK_E10value_typeET2_T3_PNSL_ISQ_E10value_typeET4_jRbjT5_SW_jjP12ihipStream_tbEUlT_E_NS1_11comp_targetILNS1_3genE2ELNS1_11target_archE906ELNS1_3gpuE6ELNS1_3repE0EEENS1_30default_config_static_selectorELNS0_4arch9wavefront6targetE0EEEvSK_, .Lfunc_end395-_ZN7rocprim17ROCPRIM_400000_NS6detail17trampoline_kernelINS0_14default_configENS1_36segmented_radix_sort_config_selectorIalEEZNS1_25segmented_radix_sort_implIS3_Lb0EPKaPaPKlPlN2at6native12_GLOBAL__N_18offset_tEEE10hipError_tPvRmT1_PNSt15iterator_traitsISK_E10value_typeET2_T3_PNSL_ISQ_E10value_typeET4_jRbjT5_SW_jjP12ihipStream_tbEUlT_E_NS1_11comp_targetILNS1_3genE2ELNS1_11target_archE906ELNS1_3gpuE6ELNS1_3repE0EEENS1_30default_config_static_selectorELNS0_4arch9wavefront6targetE0EEEvSK_
                                        ; -- End function
	.set _ZN7rocprim17ROCPRIM_400000_NS6detail17trampoline_kernelINS0_14default_configENS1_36segmented_radix_sort_config_selectorIalEEZNS1_25segmented_radix_sort_implIS3_Lb0EPKaPaPKlPlN2at6native12_GLOBAL__N_18offset_tEEE10hipError_tPvRmT1_PNSt15iterator_traitsISK_E10value_typeET2_T3_PNSL_ISQ_E10value_typeET4_jRbjT5_SW_jjP12ihipStream_tbEUlT_E_NS1_11comp_targetILNS1_3genE2ELNS1_11target_archE906ELNS1_3gpuE6ELNS1_3repE0EEENS1_30default_config_static_selectorELNS0_4arch9wavefront6targetE0EEEvSK_.num_vgpr, 0
	.set _ZN7rocprim17ROCPRIM_400000_NS6detail17trampoline_kernelINS0_14default_configENS1_36segmented_radix_sort_config_selectorIalEEZNS1_25segmented_radix_sort_implIS3_Lb0EPKaPaPKlPlN2at6native12_GLOBAL__N_18offset_tEEE10hipError_tPvRmT1_PNSt15iterator_traitsISK_E10value_typeET2_T3_PNSL_ISQ_E10value_typeET4_jRbjT5_SW_jjP12ihipStream_tbEUlT_E_NS1_11comp_targetILNS1_3genE2ELNS1_11target_archE906ELNS1_3gpuE6ELNS1_3repE0EEENS1_30default_config_static_selectorELNS0_4arch9wavefront6targetE0EEEvSK_.num_agpr, 0
	.set _ZN7rocprim17ROCPRIM_400000_NS6detail17trampoline_kernelINS0_14default_configENS1_36segmented_radix_sort_config_selectorIalEEZNS1_25segmented_radix_sort_implIS3_Lb0EPKaPaPKlPlN2at6native12_GLOBAL__N_18offset_tEEE10hipError_tPvRmT1_PNSt15iterator_traitsISK_E10value_typeET2_T3_PNSL_ISQ_E10value_typeET4_jRbjT5_SW_jjP12ihipStream_tbEUlT_E_NS1_11comp_targetILNS1_3genE2ELNS1_11target_archE906ELNS1_3gpuE6ELNS1_3repE0EEENS1_30default_config_static_selectorELNS0_4arch9wavefront6targetE0EEEvSK_.numbered_sgpr, 0
	.set _ZN7rocprim17ROCPRIM_400000_NS6detail17trampoline_kernelINS0_14default_configENS1_36segmented_radix_sort_config_selectorIalEEZNS1_25segmented_radix_sort_implIS3_Lb0EPKaPaPKlPlN2at6native12_GLOBAL__N_18offset_tEEE10hipError_tPvRmT1_PNSt15iterator_traitsISK_E10value_typeET2_T3_PNSL_ISQ_E10value_typeET4_jRbjT5_SW_jjP12ihipStream_tbEUlT_E_NS1_11comp_targetILNS1_3genE2ELNS1_11target_archE906ELNS1_3gpuE6ELNS1_3repE0EEENS1_30default_config_static_selectorELNS0_4arch9wavefront6targetE0EEEvSK_.num_named_barrier, 0
	.set _ZN7rocprim17ROCPRIM_400000_NS6detail17trampoline_kernelINS0_14default_configENS1_36segmented_radix_sort_config_selectorIalEEZNS1_25segmented_radix_sort_implIS3_Lb0EPKaPaPKlPlN2at6native12_GLOBAL__N_18offset_tEEE10hipError_tPvRmT1_PNSt15iterator_traitsISK_E10value_typeET2_T3_PNSL_ISQ_E10value_typeET4_jRbjT5_SW_jjP12ihipStream_tbEUlT_E_NS1_11comp_targetILNS1_3genE2ELNS1_11target_archE906ELNS1_3gpuE6ELNS1_3repE0EEENS1_30default_config_static_selectorELNS0_4arch9wavefront6targetE0EEEvSK_.private_seg_size, 0
	.set _ZN7rocprim17ROCPRIM_400000_NS6detail17trampoline_kernelINS0_14default_configENS1_36segmented_radix_sort_config_selectorIalEEZNS1_25segmented_radix_sort_implIS3_Lb0EPKaPaPKlPlN2at6native12_GLOBAL__N_18offset_tEEE10hipError_tPvRmT1_PNSt15iterator_traitsISK_E10value_typeET2_T3_PNSL_ISQ_E10value_typeET4_jRbjT5_SW_jjP12ihipStream_tbEUlT_E_NS1_11comp_targetILNS1_3genE2ELNS1_11target_archE906ELNS1_3gpuE6ELNS1_3repE0EEENS1_30default_config_static_selectorELNS0_4arch9wavefront6targetE0EEEvSK_.uses_vcc, 0
	.set _ZN7rocprim17ROCPRIM_400000_NS6detail17trampoline_kernelINS0_14default_configENS1_36segmented_radix_sort_config_selectorIalEEZNS1_25segmented_radix_sort_implIS3_Lb0EPKaPaPKlPlN2at6native12_GLOBAL__N_18offset_tEEE10hipError_tPvRmT1_PNSt15iterator_traitsISK_E10value_typeET2_T3_PNSL_ISQ_E10value_typeET4_jRbjT5_SW_jjP12ihipStream_tbEUlT_E_NS1_11comp_targetILNS1_3genE2ELNS1_11target_archE906ELNS1_3gpuE6ELNS1_3repE0EEENS1_30default_config_static_selectorELNS0_4arch9wavefront6targetE0EEEvSK_.uses_flat_scratch, 0
	.set _ZN7rocprim17ROCPRIM_400000_NS6detail17trampoline_kernelINS0_14default_configENS1_36segmented_radix_sort_config_selectorIalEEZNS1_25segmented_radix_sort_implIS3_Lb0EPKaPaPKlPlN2at6native12_GLOBAL__N_18offset_tEEE10hipError_tPvRmT1_PNSt15iterator_traitsISK_E10value_typeET2_T3_PNSL_ISQ_E10value_typeET4_jRbjT5_SW_jjP12ihipStream_tbEUlT_E_NS1_11comp_targetILNS1_3genE2ELNS1_11target_archE906ELNS1_3gpuE6ELNS1_3repE0EEENS1_30default_config_static_selectorELNS0_4arch9wavefront6targetE0EEEvSK_.has_dyn_sized_stack, 0
	.set _ZN7rocprim17ROCPRIM_400000_NS6detail17trampoline_kernelINS0_14default_configENS1_36segmented_radix_sort_config_selectorIalEEZNS1_25segmented_radix_sort_implIS3_Lb0EPKaPaPKlPlN2at6native12_GLOBAL__N_18offset_tEEE10hipError_tPvRmT1_PNSt15iterator_traitsISK_E10value_typeET2_T3_PNSL_ISQ_E10value_typeET4_jRbjT5_SW_jjP12ihipStream_tbEUlT_E_NS1_11comp_targetILNS1_3genE2ELNS1_11target_archE906ELNS1_3gpuE6ELNS1_3repE0EEENS1_30default_config_static_selectorELNS0_4arch9wavefront6targetE0EEEvSK_.has_recursion, 0
	.set _ZN7rocprim17ROCPRIM_400000_NS6detail17trampoline_kernelINS0_14default_configENS1_36segmented_radix_sort_config_selectorIalEEZNS1_25segmented_radix_sort_implIS3_Lb0EPKaPaPKlPlN2at6native12_GLOBAL__N_18offset_tEEE10hipError_tPvRmT1_PNSt15iterator_traitsISK_E10value_typeET2_T3_PNSL_ISQ_E10value_typeET4_jRbjT5_SW_jjP12ihipStream_tbEUlT_E_NS1_11comp_targetILNS1_3genE2ELNS1_11target_archE906ELNS1_3gpuE6ELNS1_3repE0EEENS1_30default_config_static_selectorELNS0_4arch9wavefront6targetE0EEEvSK_.has_indirect_call, 0
	.section	.AMDGPU.csdata,"",@progbits
; Kernel info:
; codeLenInByte = 0
; TotalNumSgprs: 0
; NumVgprs: 0
; ScratchSize: 0
; MemoryBound: 0
; FloatMode: 240
; IeeeMode: 1
; LDSByteSize: 0 bytes/workgroup (compile time only)
; SGPRBlocks: 0
; VGPRBlocks: 0
; NumSGPRsForWavesPerEU: 1
; NumVGPRsForWavesPerEU: 1
; NamedBarCnt: 0
; Occupancy: 16
; WaveLimiterHint : 0
; COMPUTE_PGM_RSRC2:SCRATCH_EN: 0
; COMPUTE_PGM_RSRC2:USER_SGPR: 2
; COMPUTE_PGM_RSRC2:TRAP_HANDLER: 0
; COMPUTE_PGM_RSRC2:TGID_X_EN: 1
; COMPUTE_PGM_RSRC2:TGID_Y_EN: 0
; COMPUTE_PGM_RSRC2:TGID_Z_EN: 0
; COMPUTE_PGM_RSRC2:TIDIG_COMP_CNT: 0
	.section	.text._ZN7rocprim17ROCPRIM_400000_NS6detail17trampoline_kernelINS0_14default_configENS1_36segmented_radix_sort_config_selectorIalEEZNS1_25segmented_radix_sort_implIS3_Lb0EPKaPaPKlPlN2at6native12_GLOBAL__N_18offset_tEEE10hipError_tPvRmT1_PNSt15iterator_traitsISK_E10value_typeET2_T3_PNSL_ISQ_E10value_typeET4_jRbjT5_SW_jjP12ihipStream_tbEUlT_E_NS1_11comp_targetILNS1_3genE10ELNS1_11target_archE1201ELNS1_3gpuE5ELNS1_3repE0EEENS1_30default_config_static_selectorELNS0_4arch9wavefront6targetE0EEEvSK_,"axG",@progbits,_ZN7rocprim17ROCPRIM_400000_NS6detail17trampoline_kernelINS0_14default_configENS1_36segmented_radix_sort_config_selectorIalEEZNS1_25segmented_radix_sort_implIS3_Lb0EPKaPaPKlPlN2at6native12_GLOBAL__N_18offset_tEEE10hipError_tPvRmT1_PNSt15iterator_traitsISK_E10value_typeET2_T3_PNSL_ISQ_E10value_typeET4_jRbjT5_SW_jjP12ihipStream_tbEUlT_E_NS1_11comp_targetILNS1_3genE10ELNS1_11target_archE1201ELNS1_3gpuE5ELNS1_3repE0EEENS1_30default_config_static_selectorELNS0_4arch9wavefront6targetE0EEEvSK_,comdat
	.globl	_ZN7rocprim17ROCPRIM_400000_NS6detail17trampoline_kernelINS0_14default_configENS1_36segmented_radix_sort_config_selectorIalEEZNS1_25segmented_radix_sort_implIS3_Lb0EPKaPaPKlPlN2at6native12_GLOBAL__N_18offset_tEEE10hipError_tPvRmT1_PNSt15iterator_traitsISK_E10value_typeET2_T3_PNSL_ISQ_E10value_typeET4_jRbjT5_SW_jjP12ihipStream_tbEUlT_E_NS1_11comp_targetILNS1_3genE10ELNS1_11target_archE1201ELNS1_3gpuE5ELNS1_3repE0EEENS1_30default_config_static_selectorELNS0_4arch9wavefront6targetE0EEEvSK_ ; -- Begin function _ZN7rocprim17ROCPRIM_400000_NS6detail17trampoline_kernelINS0_14default_configENS1_36segmented_radix_sort_config_selectorIalEEZNS1_25segmented_radix_sort_implIS3_Lb0EPKaPaPKlPlN2at6native12_GLOBAL__N_18offset_tEEE10hipError_tPvRmT1_PNSt15iterator_traitsISK_E10value_typeET2_T3_PNSL_ISQ_E10value_typeET4_jRbjT5_SW_jjP12ihipStream_tbEUlT_E_NS1_11comp_targetILNS1_3genE10ELNS1_11target_archE1201ELNS1_3gpuE5ELNS1_3repE0EEENS1_30default_config_static_selectorELNS0_4arch9wavefront6targetE0EEEvSK_
	.p2align	8
	.type	_ZN7rocprim17ROCPRIM_400000_NS6detail17trampoline_kernelINS0_14default_configENS1_36segmented_radix_sort_config_selectorIalEEZNS1_25segmented_radix_sort_implIS3_Lb0EPKaPaPKlPlN2at6native12_GLOBAL__N_18offset_tEEE10hipError_tPvRmT1_PNSt15iterator_traitsISK_E10value_typeET2_T3_PNSL_ISQ_E10value_typeET4_jRbjT5_SW_jjP12ihipStream_tbEUlT_E_NS1_11comp_targetILNS1_3genE10ELNS1_11target_archE1201ELNS1_3gpuE5ELNS1_3repE0EEENS1_30default_config_static_selectorELNS0_4arch9wavefront6targetE0EEEvSK_,@function
_ZN7rocprim17ROCPRIM_400000_NS6detail17trampoline_kernelINS0_14default_configENS1_36segmented_radix_sort_config_selectorIalEEZNS1_25segmented_radix_sort_implIS3_Lb0EPKaPaPKlPlN2at6native12_GLOBAL__N_18offset_tEEE10hipError_tPvRmT1_PNSt15iterator_traitsISK_E10value_typeET2_T3_PNSL_ISQ_E10value_typeET4_jRbjT5_SW_jjP12ihipStream_tbEUlT_E_NS1_11comp_targetILNS1_3genE10ELNS1_11target_archE1201ELNS1_3gpuE5ELNS1_3repE0EEENS1_30default_config_static_selectorELNS0_4arch9wavefront6targetE0EEEvSK_: ; @_ZN7rocprim17ROCPRIM_400000_NS6detail17trampoline_kernelINS0_14default_configENS1_36segmented_radix_sort_config_selectorIalEEZNS1_25segmented_radix_sort_implIS3_Lb0EPKaPaPKlPlN2at6native12_GLOBAL__N_18offset_tEEE10hipError_tPvRmT1_PNSt15iterator_traitsISK_E10value_typeET2_T3_PNSL_ISQ_E10value_typeET4_jRbjT5_SW_jjP12ihipStream_tbEUlT_E_NS1_11comp_targetILNS1_3genE10ELNS1_11target_archE1201ELNS1_3gpuE5ELNS1_3repE0EEENS1_30default_config_static_selectorELNS0_4arch9wavefront6targetE0EEEvSK_
; %bb.0:
	.section	.rodata,"a",@progbits
	.p2align	6, 0x0
	.amdhsa_kernel _ZN7rocprim17ROCPRIM_400000_NS6detail17trampoline_kernelINS0_14default_configENS1_36segmented_radix_sort_config_selectorIalEEZNS1_25segmented_radix_sort_implIS3_Lb0EPKaPaPKlPlN2at6native12_GLOBAL__N_18offset_tEEE10hipError_tPvRmT1_PNSt15iterator_traitsISK_E10value_typeET2_T3_PNSL_ISQ_E10value_typeET4_jRbjT5_SW_jjP12ihipStream_tbEUlT_E_NS1_11comp_targetILNS1_3genE10ELNS1_11target_archE1201ELNS1_3gpuE5ELNS1_3repE0EEENS1_30default_config_static_selectorELNS0_4arch9wavefront6targetE0EEEvSK_
		.amdhsa_group_segment_fixed_size 0
		.amdhsa_private_segment_fixed_size 0
		.amdhsa_kernarg_size 96
		.amdhsa_user_sgpr_count 2
		.amdhsa_user_sgpr_dispatch_ptr 0
		.amdhsa_user_sgpr_queue_ptr 0
		.amdhsa_user_sgpr_kernarg_segment_ptr 1
		.amdhsa_user_sgpr_dispatch_id 0
		.amdhsa_user_sgpr_kernarg_preload_length 0
		.amdhsa_user_sgpr_kernarg_preload_offset 0
		.amdhsa_user_sgpr_private_segment_size 0
		.amdhsa_wavefront_size32 1
		.amdhsa_uses_dynamic_stack 0
		.amdhsa_enable_private_segment 0
		.amdhsa_system_sgpr_workgroup_id_x 1
		.amdhsa_system_sgpr_workgroup_id_y 0
		.amdhsa_system_sgpr_workgroup_id_z 0
		.amdhsa_system_sgpr_workgroup_info 0
		.amdhsa_system_vgpr_workitem_id 0
		.amdhsa_next_free_vgpr 1
		.amdhsa_next_free_sgpr 1
		.amdhsa_named_barrier_count 0
		.amdhsa_reserve_vcc 0
		.amdhsa_float_round_mode_32 0
		.amdhsa_float_round_mode_16_64 0
		.amdhsa_float_denorm_mode_32 3
		.amdhsa_float_denorm_mode_16_64 3
		.amdhsa_fp16_overflow 0
		.amdhsa_memory_ordered 1
		.amdhsa_forward_progress 1
		.amdhsa_inst_pref_size 0
		.amdhsa_round_robin_scheduling 0
		.amdhsa_exception_fp_ieee_invalid_op 0
		.amdhsa_exception_fp_denorm_src 0
		.amdhsa_exception_fp_ieee_div_zero 0
		.amdhsa_exception_fp_ieee_overflow 0
		.amdhsa_exception_fp_ieee_underflow 0
		.amdhsa_exception_fp_ieee_inexact 0
		.amdhsa_exception_int_div_zero 0
	.end_amdhsa_kernel
	.section	.text._ZN7rocprim17ROCPRIM_400000_NS6detail17trampoline_kernelINS0_14default_configENS1_36segmented_radix_sort_config_selectorIalEEZNS1_25segmented_radix_sort_implIS3_Lb0EPKaPaPKlPlN2at6native12_GLOBAL__N_18offset_tEEE10hipError_tPvRmT1_PNSt15iterator_traitsISK_E10value_typeET2_T3_PNSL_ISQ_E10value_typeET4_jRbjT5_SW_jjP12ihipStream_tbEUlT_E_NS1_11comp_targetILNS1_3genE10ELNS1_11target_archE1201ELNS1_3gpuE5ELNS1_3repE0EEENS1_30default_config_static_selectorELNS0_4arch9wavefront6targetE0EEEvSK_,"axG",@progbits,_ZN7rocprim17ROCPRIM_400000_NS6detail17trampoline_kernelINS0_14default_configENS1_36segmented_radix_sort_config_selectorIalEEZNS1_25segmented_radix_sort_implIS3_Lb0EPKaPaPKlPlN2at6native12_GLOBAL__N_18offset_tEEE10hipError_tPvRmT1_PNSt15iterator_traitsISK_E10value_typeET2_T3_PNSL_ISQ_E10value_typeET4_jRbjT5_SW_jjP12ihipStream_tbEUlT_E_NS1_11comp_targetILNS1_3genE10ELNS1_11target_archE1201ELNS1_3gpuE5ELNS1_3repE0EEENS1_30default_config_static_selectorELNS0_4arch9wavefront6targetE0EEEvSK_,comdat
.Lfunc_end396:
	.size	_ZN7rocprim17ROCPRIM_400000_NS6detail17trampoline_kernelINS0_14default_configENS1_36segmented_radix_sort_config_selectorIalEEZNS1_25segmented_radix_sort_implIS3_Lb0EPKaPaPKlPlN2at6native12_GLOBAL__N_18offset_tEEE10hipError_tPvRmT1_PNSt15iterator_traitsISK_E10value_typeET2_T3_PNSL_ISQ_E10value_typeET4_jRbjT5_SW_jjP12ihipStream_tbEUlT_E_NS1_11comp_targetILNS1_3genE10ELNS1_11target_archE1201ELNS1_3gpuE5ELNS1_3repE0EEENS1_30default_config_static_selectorELNS0_4arch9wavefront6targetE0EEEvSK_, .Lfunc_end396-_ZN7rocprim17ROCPRIM_400000_NS6detail17trampoline_kernelINS0_14default_configENS1_36segmented_radix_sort_config_selectorIalEEZNS1_25segmented_radix_sort_implIS3_Lb0EPKaPaPKlPlN2at6native12_GLOBAL__N_18offset_tEEE10hipError_tPvRmT1_PNSt15iterator_traitsISK_E10value_typeET2_T3_PNSL_ISQ_E10value_typeET4_jRbjT5_SW_jjP12ihipStream_tbEUlT_E_NS1_11comp_targetILNS1_3genE10ELNS1_11target_archE1201ELNS1_3gpuE5ELNS1_3repE0EEENS1_30default_config_static_selectorELNS0_4arch9wavefront6targetE0EEEvSK_
                                        ; -- End function
	.set _ZN7rocprim17ROCPRIM_400000_NS6detail17trampoline_kernelINS0_14default_configENS1_36segmented_radix_sort_config_selectorIalEEZNS1_25segmented_radix_sort_implIS3_Lb0EPKaPaPKlPlN2at6native12_GLOBAL__N_18offset_tEEE10hipError_tPvRmT1_PNSt15iterator_traitsISK_E10value_typeET2_T3_PNSL_ISQ_E10value_typeET4_jRbjT5_SW_jjP12ihipStream_tbEUlT_E_NS1_11comp_targetILNS1_3genE10ELNS1_11target_archE1201ELNS1_3gpuE5ELNS1_3repE0EEENS1_30default_config_static_selectorELNS0_4arch9wavefront6targetE0EEEvSK_.num_vgpr, 0
	.set _ZN7rocprim17ROCPRIM_400000_NS6detail17trampoline_kernelINS0_14default_configENS1_36segmented_radix_sort_config_selectorIalEEZNS1_25segmented_radix_sort_implIS3_Lb0EPKaPaPKlPlN2at6native12_GLOBAL__N_18offset_tEEE10hipError_tPvRmT1_PNSt15iterator_traitsISK_E10value_typeET2_T3_PNSL_ISQ_E10value_typeET4_jRbjT5_SW_jjP12ihipStream_tbEUlT_E_NS1_11comp_targetILNS1_3genE10ELNS1_11target_archE1201ELNS1_3gpuE5ELNS1_3repE0EEENS1_30default_config_static_selectorELNS0_4arch9wavefront6targetE0EEEvSK_.num_agpr, 0
	.set _ZN7rocprim17ROCPRIM_400000_NS6detail17trampoline_kernelINS0_14default_configENS1_36segmented_radix_sort_config_selectorIalEEZNS1_25segmented_radix_sort_implIS3_Lb0EPKaPaPKlPlN2at6native12_GLOBAL__N_18offset_tEEE10hipError_tPvRmT1_PNSt15iterator_traitsISK_E10value_typeET2_T3_PNSL_ISQ_E10value_typeET4_jRbjT5_SW_jjP12ihipStream_tbEUlT_E_NS1_11comp_targetILNS1_3genE10ELNS1_11target_archE1201ELNS1_3gpuE5ELNS1_3repE0EEENS1_30default_config_static_selectorELNS0_4arch9wavefront6targetE0EEEvSK_.numbered_sgpr, 0
	.set _ZN7rocprim17ROCPRIM_400000_NS6detail17trampoline_kernelINS0_14default_configENS1_36segmented_radix_sort_config_selectorIalEEZNS1_25segmented_radix_sort_implIS3_Lb0EPKaPaPKlPlN2at6native12_GLOBAL__N_18offset_tEEE10hipError_tPvRmT1_PNSt15iterator_traitsISK_E10value_typeET2_T3_PNSL_ISQ_E10value_typeET4_jRbjT5_SW_jjP12ihipStream_tbEUlT_E_NS1_11comp_targetILNS1_3genE10ELNS1_11target_archE1201ELNS1_3gpuE5ELNS1_3repE0EEENS1_30default_config_static_selectorELNS0_4arch9wavefront6targetE0EEEvSK_.num_named_barrier, 0
	.set _ZN7rocprim17ROCPRIM_400000_NS6detail17trampoline_kernelINS0_14default_configENS1_36segmented_radix_sort_config_selectorIalEEZNS1_25segmented_radix_sort_implIS3_Lb0EPKaPaPKlPlN2at6native12_GLOBAL__N_18offset_tEEE10hipError_tPvRmT1_PNSt15iterator_traitsISK_E10value_typeET2_T3_PNSL_ISQ_E10value_typeET4_jRbjT5_SW_jjP12ihipStream_tbEUlT_E_NS1_11comp_targetILNS1_3genE10ELNS1_11target_archE1201ELNS1_3gpuE5ELNS1_3repE0EEENS1_30default_config_static_selectorELNS0_4arch9wavefront6targetE0EEEvSK_.private_seg_size, 0
	.set _ZN7rocprim17ROCPRIM_400000_NS6detail17trampoline_kernelINS0_14default_configENS1_36segmented_radix_sort_config_selectorIalEEZNS1_25segmented_radix_sort_implIS3_Lb0EPKaPaPKlPlN2at6native12_GLOBAL__N_18offset_tEEE10hipError_tPvRmT1_PNSt15iterator_traitsISK_E10value_typeET2_T3_PNSL_ISQ_E10value_typeET4_jRbjT5_SW_jjP12ihipStream_tbEUlT_E_NS1_11comp_targetILNS1_3genE10ELNS1_11target_archE1201ELNS1_3gpuE5ELNS1_3repE0EEENS1_30default_config_static_selectorELNS0_4arch9wavefront6targetE0EEEvSK_.uses_vcc, 0
	.set _ZN7rocprim17ROCPRIM_400000_NS6detail17trampoline_kernelINS0_14default_configENS1_36segmented_radix_sort_config_selectorIalEEZNS1_25segmented_radix_sort_implIS3_Lb0EPKaPaPKlPlN2at6native12_GLOBAL__N_18offset_tEEE10hipError_tPvRmT1_PNSt15iterator_traitsISK_E10value_typeET2_T3_PNSL_ISQ_E10value_typeET4_jRbjT5_SW_jjP12ihipStream_tbEUlT_E_NS1_11comp_targetILNS1_3genE10ELNS1_11target_archE1201ELNS1_3gpuE5ELNS1_3repE0EEENS1_30default_config_static_selectorELNS0_4arch9wavefront6targetE0EEEvSK_.uses_flat_scratch, 0
	.set _ZN7rocprim17ROCPRIM_400000_NS6detail17trampoline_kernelINS0_14default_configENS1_36segmented_radix_sort_config_selectorIalEEZNS1_25segmented_radix_sort_implIS3_Lb0EPKaPaPKlPlN2at6native12_GLOBAL__N_18offset_tEEE10hipError_tPvRmT1_PNSt15iterator_traitsISK_E10value_typeET2_T3_PNSL_ISQ_E10value_typeET4_jRbjT5_SW_jjP12ihipStream_tbEUlT_E_NS1_11comp_targetILNS1_3genE10ELNS1_11target_archE1201ELNS1_3gpuE5ELNS1_3repE0EEENS1_30default_config_static_selectorELNS0_4arch9wavefront6targetE0EEEvSK_.has_dyn_sized_stack, 0
	.set _ZN7rocprim17ROCPRIM_400000_NS6detail17trampoline_kernelINS0_14default_configENS1_36segmented_radix_sort_config_selectorIalEEZNS1_25segmented_radix_sort_implIS3_Lb0EPKaPaPKlPlN2at6native12_GLOBAL__N_18offset_tEEE10hipError_tPvRmT1_PNSt15iterator_traitsISK_E10value_typeET2_T3_PNSL_ISQ_E10value_typeET4_jRbjT5_SW_jjP12ihipStream_tbEUlT_E_NS1_11comp_targetILNS1_3genE10ELNS1_11target_archE1201ELNS1_3gpuE5ELNS1_3repE0EEENS1_30default_config_static_selectorELNS0_4arch9wavefront6targetE0EEEvSK_.has_recursion, 0
	.set _ZN7rocprim17ROCPRIM_400000_NS6detail17trampoline_kernelINS0_14default_configENS1_36segmented_radix_sort_config_selectorIalEEZNS1_25segmented_radix_sort_implIS3_Lb0EPKaPaPKlPlN2at6native12_GLOBAL__N_18offset_tEEE10hipError_tPvRmT1_PNSt15iterator_traitsISK_E10value_typeET2_T3_PNSL_ISQ_E10value_typeET4_jRbjT5_SW_jjP12ihipStream_tbEUlT_E_NS1_11comp_targetILNS1_3genE10ELNS1_11target_archE1201ELNS1_3gpuE5ELNS1_3repE0EEENS1_30default_config_static_selectorELNS0_4arch9wavefront6targetE0EEEvSK_.has_indirect_call, 0
	.section	.AMDGPU.csdata,"",@progbits
; Kernel info:
; codeLenInByte = 0
; TotalNumSgprs: 0
; NumVgprs: 0
; ScratchSize: 0
; MemoryBound: 0
; FloatMode: 240
; IeeeMode: 1
; LDSByteSize: 0 bytes/workgroup (compile time only)
; SGPRBlocks: 0
; VGPRBlocks: 0
; NumSGPRsForWavesPerEU: 1
; NumVGPRsForWavesPerEU: 1
; NamedBarCnt: 0
; Occupancy: 16
; WaveLimiterHint : 0
; COMPUTE_PGM_RSRC2:SCRATCH_EN: 0
; COMPUTE_PGM_RSRC2:USER_SGPR: 2
; COMPUTE_PGM_RSRC2:TRAP_HANDLER: 0
; COMPUTE_PGM_RSRC2:TGID_X_EN: 1
; COMPUTE_PGM_RSRC2:TGID_Y_EN: 0
; COMPUTE_PGM_RSRC2:TGID_Z_EN: 0
; COMPUTE_PGM_RSRC2:TIDIG_COMP_CNT: 0
	.section	.text._ZN7rocprim17ROCPRIM_400000_NS6detail17trampoline_kernelINS0_14default_configENS1_36segmented_radix_sort_config_selectorIalEEZNS1_25segmented_radix_sort_implIS3_Lb0EPKaPaPKlPlN2at6native12_GLOBAL__N_18offset_tEEE10hipError_tPvRmT1_PNSt15iterator_traitsISK_E10value_typeET2_T3_PNSL_ISQ_E10value_typeET4_jRbjT5_SW_jjP12ihipStream_tbEUlT_E_NS1_11comp_targetILNS1_3genE10ELNS1_11target_archE1200ELNS1_3gpuE4ELNS1_3repE0EEENS1_30default_config_static_selectorELNS0_4arch9wavefront6targetE0EEEvSK_,"axG",@progbits,_ZN7rocprim17ROCPRIM_400000_NS6detail17trampoline_kernelINS0_14default_configENS1_36segmented_radix_sort_config_selectorIalEEZNS1_25segmented_radix_sort_implIS3_Lb0EPKaPaPKlPlN2at6native12_GLOBAL__N_18offset_tEEE10hipError_tPvRmT1_PNSt15iterator_traitsISK_E10value_typeET2_T3_PNSL_ISQ_E10value_typeET4_jRbjT5_SW_jjP12ihipStream_tbEUlT_E_NS1_11comp_targetILNS1_3genE10ELNS1_11target_archE1200ELNS1_3gpuE4ELNS1_3repE0EEENS1_30default_config_static_selectorELNS0_4arch9wavefront6targetE0EEEvSK_,comdat
	.globl	_ZN7rocprim17ROCPRIM_400000_NS6detail17trampoline_kernelINS0_14default_configENS1_36segmented_radix_sort_config_selectorIalEEZNS1_25segmented_radix_sort_implIS3_Lb0EPKaPaPKlPlN2at6native12_GLOBAL__N_18offset_tEEE10hipError_tPvRmT1_PNSt15iterator_traitsISK_E10value_typeET2_T3_PNSL_ISQ_E10value_typeET4_jRbjT5_SW_jjP12ihipStream_tbEUlT_E_NS1_11comp_targetILNS1_3genE10ELNS1_11target_archE1200ELNS1_3gpuE4ELNS1_3repE0EEENS1_30default_config_static_selectorELNS0_4arch9wavefront6targetE0EEEvSK_ ; -- Begin function _ZN7rocprim17ROCPRIM_400000_NS6detail17trampoline_kernelINS0_14default_configENS1_36segmented_radix_sort_config_selectorIalEEZNS1_25segmented_radix_sort_implIS3_Lb0EPKaPaPKlPlN2at6native12_GLOBAL__N_18offset_tEEE10hipError_tPvRmT1_PNSt15iterator_traitsISK_E10value_typeET2_T3_PNSL_ISQ_E10value_typeET4_jRbjT5_SW_jjP12ihipStream_tbEUlT_E_NS1_11comp_targetILNS1_3genE10ELNS1_11target_archE1200ELNS1_3gpuE4ELNS1_3repE0EEENS1_30default_config_static_selectorELNS0_4arch9wavefront6targetE0EEEvSK_
	.p2align	8
	.type	_ZN7rocprim17ROCPRIM_400000_NS6detail17trampoline_kernelINS0_14default_configENS1_36segmented_radix_sort_config_selectorIalEEZNS1_25segmented_radix_sort_implIS3_Lb0EPKaPaPKlPlN2at6native12_GLOBAL__N_18offset_tEEE10hipError_tPvRmT1_PNSt15iterator_traitsISK_E10value_typeET2_T3_PNSL_ISQ_E10value_typeET4_jRbjT5_SW_jjP12ihipStream_tbEUlT_E_NS1_11comp_targetILNS1_3genE10ELNS1_11target_archE1200ELNS1_3gpuE4ELNS1_3repE0EEENS1_30default_config_static_selectorELNS0_4arch9wavefront6targetE0EEEvSK_,@function
_ZN7rocprim17ROCPRIM_400000_NS6detail17trampoline_kernelINS0_14default_configENS1_36segmented_radix_sort_config_selectorIalEEZNS1_25segmented_radix_sort_implIS3_Lb0EPKaPaPKlPlN2at6native12_GLOBAL__N_18offset_tEEE10hipError_tPvRmT1_PNSt15iterator_traitsISK_E10value_typeET2_T3_PNSL_ISQ_E10value_typeET4_jRbjT5_SW_jjP12ihipStream_tbEUlT_E_NS1_11comp_targetILNS1_3genE10ELNS1_11target_archE1200ELNS1_3gpuE4ELNS1_3repE0EEENS1_30default_config_static_selectorELNS0_4arch9wavefront6targetE0EEEvSK_: ; @_ZN7rocprim17ROCPRIM_400000_NS6detail17trampoline_kernelINS0_14default_configENS1_36segmented_radix_sort_config_selectorIalEEZNS1_25segmented_radix_sort_implIS3_Lb0EPKaPaPKlPlN2at6native12_GLOBAL__N_18offset_tEEE10hipError_tPvRmT1_PNSt15iterator_traitsISK_E10value_typeET2_T3_PNSL_ISQ_E10value_typeET4_jRbjT5_SW_jjP12ihipStream_tbEUlT_E_NS1_11comp_targetILNS1_3genE10ELNS1_11target_archE1200ELNS1_3gpuE4ELNS1_3repE0EEENS1_30default_config_static_selectorELNS0_4arch9wavefront6targetE0EEEvSK_
; %bb.0:
	.section	.rodata,"a",@progbits
	.p2align	6, 0x0
	.amdhsa_kernel _ZN7rocprim17ROCPRIM_400000_NS6detail17trampoline_kernelINS0_14default_configENS1_36segmented_radix_sort_config_selectorIalEEZNS1_25segmented_radix_sort_implIS3_Lb0EPKaPaPKlPlN2at6native12_GLOBAL__N_18offset_tEEE10hipError_tPvRmT1_PNSt15iterator_traitsISK_E10value_typeET2_T3_PNSL_ISQ_E10value_typeET4_jRbjT5_SW_jjP12ihipStream_tbEUlT_E_NS1_11comp_targetILNS1_3genE10ELNS1_11target_archE1200ELNS1_3gpuE4ELNS1_3repE0EEENS1_30default_config_static_selectorELNS0_4arch9wavefront6targetE0EEEvSK_
		.amdhsa_group_segment_fixed_size 0
		.amdhsa_private_segment_fixed_size 0
		.amdhsa_kernarg_size 96
		.amdhsa_user_sgpr_count 2
		.amdhsa_user_sgpr_dispatch_ptr 0
		.amdhsa_user_sgpr_queue_ptr 0
		.amdhsa_user_sgpr_kernarg_segment_ptr 1
		.amdhsa_user_sgpr_dispatch_id 0
		.amdhsa_user_sgpr_kernarg_preload_length 0
		.amdhsa_user_sgpr_kernarg_preload_offset 0
		.amdhsa_user_sgpr_private_segment_size 0
		.amdhsa_wavefront_size32 1
		.amdhsa_uses_dynamic_stack 0
		.amdhsa_enable_private_segment 0
		.amdhsa_system_sgpr_workgroup_id_x 1
		.amdhsa_system_sgpr_workgroup_id_y 0
		.amdhsa_system_sgpr_workgroup_id_z 0
		.amdhsa_system_sgpr_workgroup_info 0
		.amdhsa_system_vgpr_workitem_id 0
		.amdhsa_next_free_vgpr 1
		.amdhsa_next_free_sgpr 1
		.amdhsa_named_barrier_count 0
		.amdhsa_reserve_vcc 0
		.amdhsa_float_round_mode_32 0
		.amdhsa_float_round_mode_16_64 0
		.amdhsa_float_denorm_mode_32 3
		.amdhsa_float_denorm_mode_16_64 3
		.amdhsa_fp16_overflow 0
		.amdhsa_memory_ordered 1
		.amdhsa_forward_progress 1
		.amdhsa_inst_pref_size 0
		.amdhsa_round_robin_scheduling 0
		.amdhsa_exception_fp_ieee_invalid_op 0
		.amdhsa_exception_fp_denorm_src 0
		.amdhsa_exception_fp_ieee_div_zero 0
		.amdhsa_exception_fp_ieee_overflow 0
		.amdhsa_exception_fp_ieee_underflow 0
		.amdhsa_exception_fp_ieee_inexact 0
		.amdhsa_exception_int_div_zero 0
	.end_amdhsa_kernel
	.section	.text._ZN7rocprim17ROCPRIM_400000_NS6detail17trampoline_kernelINS0_14default_configENS1_36segmented_radix_sort_config_selectorIalEEZNS1_25segmented_radix_sort_implIS3_Lb0EPKaPaPKlPlN2at6native12_GLOBAL__N_18offset_tEEE10hipError_tPvRmT1_PNSt15iterator_traitsISK_E10value_typeET2_T3_PNSL_ISQ_E10value_typeET4_jRbjT5_SW_jjP12ihipStream_tbEUlT_E_NS1_11comp_targetILNS1_3genE10ELNS1_11target_archE1200ELNS1_3gpuE4ELNS1_3repE0EEENS1_30default_config_static_selectorELNS0_4arch9wavefront6targetE0EEEvSK_,"axG",@progbits,_ZN7rocprim17ROCPRIM_400000_NS6detail17trampoline_kernelINS0_14default_configENS1_36segmented_radix_sort_config_selectorIalEEZNS1_25segmented_radix_sort_implIS3_Lb0EPKaPaPKlPlN2at6native12_GLOBAL__N_18offset_tEEE10hipError_tPvRmT1_PNSt15iterator_traitsISK_E10value_typeET2_T3_PNSL_ISQ_E10value_typeET4_jRbjT5_SW_jjP12ihipStream_tbEUlT_E_NS1_11comp_targetILNS1_3genE10ELNS1_11target_archE1200ELNS1_3gpuE4ELNS1_3repE0EEENS1_30default_config_static_selectorELNS0_4arch9wavefront6targetE0EEEvSK_,comdat
.Lfunc_end397:
	.size	_ZN7rocprim17ROCPRIM_400000_NS6detail17trampoline_kernelINS0_14default_configENS1_36segmented_radix_sort_config_selectorIalEEZNS1_25segmented_radix_sort_implIS3_Lb0EPKaPaPKlPlN2at6native12_GLOBAL__N_18offset_tEEE10hipError_tPvRmT1_PNSt15iterator_traitsISK_E10value_typeET2_T3_PNSL_ISQ_E10value_typeET4_jRbjT5_SW_jjP12ihipStream_tbEUlT_E_NS1_11comp_targetILNS1_3genE10ELNS1_11target_archE1200ELNS1_3gpuE4ELNS1_3repE0EEENS1_30default_config_static_selectorELNS0_4arch9wavefront6targetE0EEEvSK_, .Lfunc_end397-_ZN7rocprim17ROCPRIM_400000_NS6detail17trampoline_kernelINS0_14default_configENS1_36segmented_radix_sort_config_selectorIalEEZNS1_25segmented_radix_sort_implIS3_Lb0EPKaPaPKlPlN2at6native12_GLOBAL__N_18offset_tEEE10hipError_tPvRmT1_PNSt15iterator_traitsISK_E10value_typeET2_T3_PNSL_ISQ_E10value_typeET4_jRbjT5_SW_jjP12ihipStream_tbEUlT_E_NS1_11comp_targetILNS1_3genE10ELNS1_11target_archE1200ELNS1_3gpuE4ELNS1_3repE0EEENS1_30default_config_static_selectorELNS0_4arch9wavefront6targetE0EEEvSK_
                                        ; -- End function
	.set _ZN7rocprim17ROCPRIM_400000_NS6detail17trampoline_kernelINS0_14default_configENS1_36segmented_radix_sort_config_selectorIalEEZNS1_25segmented_radix_sort_implIS3_Lb0EPKaPaPKlPlN2at6native12_GLOBAL__N_18offset_tEEE10hipError_tPvRmT1_PNSt15iterator_traitsISK_E10value_typeET2_T3_PNSL_ISQ_E10value_typeET4_jRbjT5_SW_jjP12ihipStream_tbEUlT_E_NS1_11comp_targetILNS1_3genE10ELNS1_11target_archE1200ELNS1_3gpuE4ELNS1_3repE0EEENS1_30default_config_static_selectorELNS0_4arch9wavefront6targetE0EEEvSK_.num_vgpr, 0
	.set _ZN7rocprim17ROCPRIM_400000_NS6detail17trampoline_kernelINS0_14default_configENS1_36segmented_radix_sort_config_selectorIalEEZNS1_25segmented_radix_sort_implIS3_Lb0EPKaPaPKlPlN2at6native12_GLOBAL__N_18offset_tEEE10hipError_tPvRmT1_PNSt15iterator_traitsISK_E10value_typeET2_T3_PNSL_ISQ_E10value_typeET4_jRbjT5_SW_jjP12ihipStream_tbEUlT_E_NS1_11comp_targetILNS1_3genE10ELNS1_11target_archE1200ELNS1_3gpuE4ELNS1_3repE0EEENS1_30default_config_static_selectorELNS0_4arch9wavefront6targetE0EEEvSK_.num_agpr, 0
	.set _ZN7rocprim17ROCPRIM_400000_NS6detail17trampoline_kernelINS0_14default_configENS1_36segmented_radix_sort_config_selectorIalEEZNS1_25segmented_radix_sort_implIS3_Lb0EPKaPaPKlPlN2at6native12_GLOBAL__N_18offset_tEEE10hipError_tPvRmT1_PNSt15iterator_traitsISK_E10value_typeET2_T3_PNSL_ISQ_E10value_typeET4_jRbjT5_SW_jjP12ihipStream_tbEUlT_E_NS1_11comp_targetILNS1_3genE10ELNS1_11target_archE1200ELNS1_3gpuE4ELNS1_3repE0EEENS1_30default_config_static_selectorELNS0_4arch9wavefront6targetE0EEEvSK_.numbered_sgpr, 0
	.set _ZN7rocprim17ROCPRIM_400000_NS6detail17trampoline_kernelINS0_14default_configENS1_36segmented_radix_sort_config_selectorIalEEZNS1_25segmented_radix_sort_implIS3_Lb0EPKaPaPKlPlN2at6native12_GLOBAL__N_18offset_tEEE10hipError_tPvRmT1_PNSt15iterator_traitsISK_E10value_typeET2_T3_PNSL_ISQ_E10value_typeET4_jRbjT5_SW_jjP12ihipStream_tbEUlT_E_NS1_11comp_targetILNS1_3genE10ELNS1_11target_archE1200ELNS1_3gpuE4ELNS1_3repE0EEENS1_30default_config_static_selectorELNS0_4arch9wavefront6targetE0EEEvSK_.num_named_barrier, 0
	.set _ZN7rocprim17ROCPRIM_400000_NS6detail17trampoline_kernelINS0_14default_configENS1_36segmented_radix_sort_config_selectorIalEEZNS1_25segmented_radix_sort_implIS3_Lb0EPKaPaPKlPlN2at6native12_GLOBAL__N_18offset_tEEE10hipError_tPvRmT1_PNSt15iterator_traitsISK_E10value_typeET2_T3_PNSL_ISQ_E10value_typeET4_jRbjT5_SW_jjP12ihipStream_tbEUlT_E_NS1_11comp_targetILNS1_3genE10ELNS1_11target_archE1200ELNS1_3gpuE4ELNS1_3repE0EEENS1_30default_config_static_selectorELNS0_4arch9wavefront6targetE0EEEvSK_.private_seg_size, 0
	.set _ZN7rocprim17ROCPRIM_400000_NS6detail17trampoline_kernelINS0_14default_configENS1_36segmented_radix_sort_config_selectorIalEEZNS1_25segmented_radix_sort_implIS3_Lb0EPKaPaPKlPlN2at6native12_GLOBAL__N_18offset_tEEE10hipError_tPvRmT1_PNSt15iterator_traitsISK_E10value_typeET2_T3_PNSL_ISQ_E10value_typeET4_jRbjT5_SW_jjP12ihipStream_tbEUlT_E_NS1_11comp_targetILNS1_3genE10ELNS1_11target_archE1200ELNS1_3gpuE4ELNS1_3repE0EEENS1_30default_config_static_selectorELNS0_4arch9wavefront6targetE0EEEvSK_.uses_vcc, 0
	.set _ZN7rocprim17ROCPRIM_400000_NS6detail17trampoline_kernelINS0_14default_configENS1_36segmented_radix_sort_config_selectorIalEEZNS1_25segmented_radix_sort_implIS3_Lb0EPKaPaPKlPlN2at6native12_GLOBAL__N_18offset_tEEE10hipError_tPvRmT1_PNSt15iterator_traitsISK_E10value_typeET2_T3_PNSL_ISQ_E10value_typeET4_jRbjT5_SW_jjP12ihipStream_tbEUlT_E_NS1_11comp_targetILNS1_3genE10ELNS1_11target_archE1200ELNS1_3gpuE4ELNS1_3repE0EEENS1_30default_config_static_selectorELNS0_4arch9wavefront6targetE0EEEvSK_.uses_flat_scratch, 0
	.set _ZN7rocprim17ROCPRIM_400000_NS6detail17trampoline_kernelINS0_14default_configENS1_36segmented_radix_sort_config_selectorIalEEZNS1_25segmented_radix_sort_implIS3_Lb0EPKaPaPKlPlN2at6native12_GLOBAL__N_18offset_tEEE10hipError_tPvRmT1_PNSt15iterator_traitsISK_E10value_typeET2_T3_PNSL_ISQ_E10value_typeET4_jRbjT5_SW_jjP12ihipStream_tbEUlT_E_NS1_11comp_targetILNS1_3genE10ELNS1_11target_archE1200ELNS1_3gpuE4ELNS1_3repE0EEENS1_30default_config_static_selectorELNS0_4arch9wavefront6targetE0EEEvSK_.has_dyn_sized_stack, 0
	.set _ZN7rocprim17ROCPRIM_400000_NS6detail17trampoline_kernelINS0_14default_configENS1_36segmented_radix_sort_config_selectorIalEEZNS1_25segmented_radix_sort_implIS3_Lb0EPKaPaPKlPlN2at6native12_GLOBAL__N_18offset_tEEE10hipError_tPvRmT1_PNSt15iterator_traitsISK_E10value_typeET2_T3_PNSL_ISQ_E10value_typeET4_jRbjT5_SW_jjP12ihipStream_tbEUlT_E_NS1_11comp_targetILNS1_3genE10ELNS1_11target_archE1200ELNS1_3gpuE4ELNS1_3repE0EEENS1_30default_config_static_selectorELNS0_4arch9wavefront6targetE0EEEvSK_.has_recursion, 0
	.set _ZN7rocprim17ROCPRIM_400000_NS6detail17trampoline_kernelINS0_14default_configENS1_36segmented_radix_sort_config_selectorIalEEZNS1_25segmented_radix_sort_implIS3_Lb0EPKaPaPKlPlN2at6native12_GLOBAL__N_18offset_tEEE10hipError_tPvRmT1_PNSt15iterator_traitsISK_E10value_typeET2_T3_PNSL_ISQ_E10value_typeET4_jRbjT5_SW_jjP12ihipStream_tbEUlT_E_NS1_11comp_targetILNS1_3genE10ELNS1_11target_archE1200ELNS1_3gpuE4ELNS1_3repE0EEENS1_30default_config_static_selectorELNS0_4arch9wavefront6targetE0EEEvSK_.has_indirect_call, 0
	.section	.AMDGPU.csdata,"",@progbits
; Kernel info:
; codeLenInByte = 0
; TotalNumSgprs: 0
; NumVgprs: 0
; ScratchSize: 0
; MemoryBound: 0
; FloatMode: 240
; IeeeMode: 1
; LDSByteSize: 0 bytes/workgroup (compile time only)
; SGPRBlocks: 0
; VGPRBlocks: 0
; NumSGPRsForWavesPerEU: 1
; NumVGPRsForWavesPerEU: 1
; NamedBarCnt: 0
; Occupancy: 16
; WaveLimiterHint : 0
; COMPUTE_PGM_RSRC2:SCRATCH_EN: 0
; COMPUTE_PGM_RSRC2:USER_SGPR: 2
; COMPUTE_PGM_RSRC2:TRAP_HANDLER: 0
; COMPUTE_PGM_RSRC2:TGID_X_EN: 1
; COMPUTE_PGM_RSRC2:TGID_Y_EN: 0
; COMPUTE_PGM_RSRC2:TGID_Z_EN: 0
; COMPUTE_PGM_RSRC2:TIDIG_COMP_CNT: 0
	.section	.text._ZN7rocprim17ROCPRIM_400000_NS6detail17trampoline_kernelINS0_14default_configENS1_36segmented_radix_sort_config_selectorIalEEZNS1_25segmented_radix_sort_implIS3_Lb0EPKaPaPKlPlN2at6native12_GLOBAL__N_18offset_tEEE10hipError_tPvRmT1_PNSt15iterator_traitsISK_E10value_typeET2_T3_PNSL_ISQ_E10value_typeET4_jRbjT5_SW_jjP12ihipStream_tbEUlT_E_NS1_11comp_targetILNS1_3genE9ELNS1_11target_archE1100ELNS1_3gpuE3ELNS1_3repE0EEENS1_30default_config_static_selectorELNS0_4arch9wavefront6targetE0EEEvSK_,"axG",@progbits,_ZN7rocprim17ROCPRIM_400000_NS6detail17trampoline_kernelINS0_14default_configENS1_36segmented_radix_sort_config_selectorIalEEZNS1_25segmented_radix_sort_implIS3_Lb0EPKaPaPKlPlN2at6native12_GLOBAL__N_18offset_tEEE10hipError_tPvRmT1_PNSt15iterator_traitsISK_E10value_typeET2_T3_PNSL_ISQ_E10value_typeET4_jRbjT5_SW_jjP12ihipStream_tbEUlT_E_NS1_11comp_targetILNS1_3genE9ELNS1_11target_archE1100ELNS1_3gpuE3ELNS1_3repE0EEENS1_30default_config_static_selectorELNS0_4arch9wavefront6targetE0EEEvSK_,comdat
	.globl	_ZN7rocprim17ROCPRIM_400000_NS6detail17trampoline_kernelINS0_14default_configENS1_36segmented_radix_sort_config_selectorIalEEZNS1_25segmented_radix_sort_implIS3_Lb0EPKaPaPKlPlN2at6native12_GLOBAL__N_18offset_tEEE10hipError_tPvRmT1_PNSt15iterator_traitsISK_E10value_typeET2_T3_PNSL_ISQ_E10value_typeET4_jRbjT5_SW_jjP12ihipStream_tbEUlT_E_NS1_11comp_targetILNS1_3genE9ELNS1_11target_archE1100ELNS1_3gpuE3ELNS1_3repE0EEENS1_30default_config_static_selectorELNS0_4arch9wavefront6targetE0EEEvSK_ ; -- Begin function _ZN7rocprim17ROCPRIM_400000_NS6detail17trampoline_kernelINS0_14default_configENS1_36segmented_radix_sort_config_selectorIalEEZNS1_25segmented_radix_sort_implIS3_Lb0EPKaPaPKlPlN2at6native12_GLOBAL__N_18offset_tEEE10hipError_tPvRmT1_PNSt15iterator_traitsISK_E10value_typeET2_T3_PNSL_ISQ_E10value_typeET4_jRbjT5_SW_jjP12ihipStream_tbEUlT_E_NS1_11comp_targetILNS1_3genE9ELNS1_11target_archE1100ELNS1_3gpuE3ELNS1_3repE0EEENS1_30default_config_static_selectorELNS0_4arch9wavefront6targetE0EEEvSK_
	.p2align	8
	.type	_ZN7rocprim17ROCPRIM_400000_NS6detail17trampoline_kernelINS0_14default_configENS1_36segmented_radix_sort_config_selectorIalEEZNS1_25segmented_radix_sort_implIS3_Lb0EPKaPaPKlPlN2at6native12_GLOBAL__N_18offset_tEEE10hipError_tPvRmT1_PNSt15iterator_traitsISK_E10value_typeET2_T3_PNSL_ISQ_E10value_typeET4_jRbjT5_SW_jjP12ihipStream_tbEUlT_E_NS1_11comp_targetILNS1_3genE9ELNS1_11target_archE1100ELNS1_3gpuE3ELNS1_3repE0EEENS1_30default_config_static_selectorELNS0_4arch9wavefront6targetE0EEEvSK_,@function
_ZN7rocprim17ROCPRIM_400000_NS6detail17trampoline_kernelINS0_14default_configENS1_36segmented_radix_sort_config_selectorIalEEZNS1_25segmented_radix_sort_implIS3_Lb0EPKaPaPKlPlN2at6native12_GLOBAL__N_18offset_tEEE10hipError_tPvRmT1_PNSt15iterator_traitsISK_E10value_typeET2_T3_PNSL_ISQ_E10value_typeET4_jRbjT5_SW_jjP12ihipStream_tbEUlT_E_NS1_11comp_targetILNS1_3genE9ELNS1_11target_archE1100ELNS1_3gpuE3ELNS1_3repE0EEENS1_30default_config_static_selectorELNS0_4arch9wavefront6targetE0EEEvSK_: ; @_ZN7rocprim17ROCPRIM_400000_NS6detail17trampoline_kernelINS0_14default_configENS1_36segmented_radix_sort_config_selectorIalEEZNS1_25segmented_radix_sort_implIS3_Lb0EPKaPaPKlPlN2at6native12_GLOBAL__N_18offset_tEEE10hipError_tPvRmT1_PNSt15iterator_traitsISK_E10value_typeET2_T3_PNSL_ISQ_E10value_typeET4_jRbjT5_SW_jjP12ihipStream_tbEUlT_E_NS1_11comp_targetILNS1_3genE9ELNS1_11target_archE1100ELNS1_3gpuE3ELNS1_3repE0EEENS1_30default_config_static_selectorELNS0_4arch9wavefront6targetE0EEEvSK_
; %bb.0:
	.section	.rodata,"a",@progbits
	.p2align	6, 0x0
	.amdhsa_kernel _ZN7rocprim17ROCPRIM_400000_NS6detail17trampoline_kernelINS0_14default_configENS1_36segmented_radix_sort_config_selectorIalEEZNS1_25segmented_radix_sort_implIS3_Lb0EPKaPaPKlPlN2at6native12_GLOBAL__N_18offset_tEEE10hipError_tPvRmT1_PNSt15iterator_traitsISK_E10value_typeET2_T3_PNSL_ISQ_E10value_typeET4_jRbjT5_SW_jjP12ihipStream_tbEUlT_E_NS1_11comp_targetILNS1_3genE9ELNS1_11target_archE1100ELNS1_3gpuE3ELNS1_3repE0EEENS1_30default_config_static_selectorELNS0_4arch9wavefront6targetE0EEEvSK_
		.amdhsa_group_segment_fixed_size 0
		.amdhsa_private_segment_fixed_size 0
		.amdhsa_kernarg_size 96
		.amdhsa_user_sgpr_count 2
		.amdhsa_user_sgpr_dispatch_ptr 0
		.amdhsa_user_sgpr_queue_ptr 0
		.amdhsa_user_sgpr_kernarg_segment_ptr 1
		.amdhsa_user_sgpr_dispatch_id 0
		.amdhsa_user_sgpr_kernarg_preload_length 0
		.amdhsa_user_sgpr_kernarg_preload_offset 0
		.amdhsa_user_sgpr_private_segment_size 0
		.amdhsa_wavefront_size32 1
		.amdhsa_uses_dynamic_stack 0
		.amdhsa_enable_private_segment 0
		.amdhsa_system_sgpr_workgroup_id_x 1
		.amdhsa_system_sgpr_workgroup_id_y 0
		.amdhsa_system_sgpr_workgroup_id_z 0
		.amdhsa_system_sgpr_workgroup_info 0
		.amdhsa_system_vgpr_workitem_id 0
		.amdhsa_next_free_vgpr 1
		.amdhsa_next_free_sgpr 1
		.amdhsa_named_barrier_count 0
		.amdhsa_reserve_vcc 0
		.amdhsa_float_round_mode_32 0
		.amdhsa_float_round_mode_16_64 0
		.amdhsa_float_denorm_mode_32 3
		.amdhsa_float_denorm_mode_16_64 3
		.amdhsa_fp16_overflow 0
		.amdhsa_memory_ordered 1
		.amdhsa_forward_progress 1
		.amdhsa_inst_pref_size 0
		.amdhsa_round_robin_scheduling 0
		.amdhsa_exception_fp_ieee_invalid_op 0
		.amdhsa_exception_fp_denorm_src 0
		.amdhsa_exception_fp_ieee_div_zero 0
		.amdhsa_exception_fp_ieee_overflow 0
		.amdhsa_exception_fp_ieee_underflow 0
		.amdhsa_exception_fp_ieee_inexact 0
		.amdhsa_exception_int_div_zero 0
	.end_amdhsa_kernel
	.section	.text._ZN7rocprim17ROCPRIM_400000_NS6detail17trampoline_kernelINS0_14default_configENS1_36segmented_radix_sort_config_selectorIalEEZNS1_25segmented_radix_sort_implIS3_Lb0EPKaPaPKlPlN2at6native12_GLOBAL__N_18offset_tEEE10hipError_tPvRmT1_PNSt15iterator_traitsISK_E10value_typeET2_T3_PNSL_ISQ_E10value_typeET4_jRbjT5_SW_jjP12ihipStream_tbEUlT_E_NS1_11comp_targetILNS1_3genE9ELNS1_11target_archE1100ELNS1_3gpuE3ELNS1_3repE0EEENS1_30default_config_static_selectorELNS0_4arch9wavefront6targetE0EEEvSK_,"axG",@progbits,_ZN7rocprim17ROCPRIM_400000_NS6detail17trampoline_kernelINS0_14default_configENS1_36segmented_radix_sort_config_selectorIalEEZNS1_25segmented_radix_sort_implIS3_Lb0EPKaPaPKlPlN2at6native12_GLOBAL__N_18offset_tEEE10hipError_tPvRmT1_PNSt15iterator_traitsISK_E10value_typeET2_T3_PNSL_ISQ_E10value_typeET4_jRbjT5_SW_jjP12ihipStream_tbEUlT_E_NS1_11comp_targetILNS1_3genE9ELNS1_11target_archE1100ELNS1_3gpuE3ELNS1_3repE0EEENS1_30default_config_static_selectorELNS0_4arch9wavefront6targetE0EEEvSK_,comdat
.Lfunc_end398:
	.size	_ZN7rocprim17ROCPRIM_400000_NS6detail17trampoline_kernelINS0_14default_configENS1_36segmented_radix_sort_config_selectorIalEEZNS1_25segmented_radix_sort_implIS3_Lb0EPKaPaPKlPlN2at6native12_GLOBAL__N_18offset_tEEE10hipError_tPvRmT1_PNSt15iterator_traitsISK_E10value_typeET2_T3_PNSL_ISQ_E10value_typeET4_jRbjT5_SW_jjP12ihipStream_tbEUlT_E_NS1_11comp_targetILNS1_3genE9ELNS1_11target_archE1100ELNS1_3gpuE3ELNS1_3repE0EEENS1_30default_config_static_selectorELNS0_4arch9wavefront6targetE0EEEvSK_, .Lfunc_end398-_ZN7rocprim17ROCPRIM_400000_NS6detail17trampoline_kernelINS0_14default_configENS1_36segmented_radix_sort_config_selectorIalEEZNS1_25segmented_radix_sort_implIS3_Lb0EPKaPaPKlPlN2at6native12_GLOBAL__N_18offset_tEEE10hipError_tPvRmT1_PNSt15iterator_traitsISK_E10value_typeET2_T3_PNSL_ISQ_E10value_typeET4_jRbjT5_SW_jjP12ihipStream_tbEUlT_E_NS1_11comp_targetILNS1_3genE9ELNS1_11target_archE1100ELNS1_3gpuE3ELNS1_3repE0EEENS1_30default_config_static_selectorELNS0_4arch9wavefront6targetE0EEEvSK_
                                        ; -- End function
	.set _ZN7rocprim17ROCPRIM_400000_NS6detail17trampoline_kernelINS0_14default_configENS1_36segmented_radix_sort_config_selectorIalEEZNS1_25segmented_radix_sort_implIS3_Lb0EPKaPaPKlPlN2at6native12_GLOBAL__N_18offset_tEEE10hipError_tPvRmT1_PNSt15iterator_traitsISK_E10value_typeET2_T3_PNSL_ISQ_E10value_typeET4_jRbjT5_SW_jjP12ihipStream_tbEUlT_E_NS1_11comp_targetILNS1_3genE9ELNS1_11target_archE1100ELNS1_3gpuE3ELNS1_3repE0EEENS1_30default_config_static_selectorELNS0_4arch9wavefront6targetE0EEEvSK_.num_vgpr, 0
	.set _ZN7rocprim17ROCPRIM_400000_NS6detail17trampoline_kernelINS0_14default_configENS1_36segmented_radix_sort_config_selectorIalEEZNS1_25segmented_radix_sort_implIS3_Lb0EPKaPaPKlPlN2at6native12_GLOBAL__N_18offset_tEEE10hipError_tPvRmT1_PNSt15iterator_traitsISK_E10value_typeET2_T3_PNSL_ISQ_E10value_typeET4_jRbjT5_SW_jjP12ihipStream_tbEUlT_E_NS1_11comp_targetILNS1_3genE9ELNS1_11target_archE1100ELNS1_3gpuE3ELNS1_3repE0EEENS1_30default_config_static_selectorELNS0_4arch9wavefront6targetE0EEEvSK_.num_agpr, 0
	.set _ZN7rocprim17ROCPRIM_400000_NS6detail17trampoline_kernelINS0_14default_configENS1_36segmented_radix_sort_config_selectorIalEEZNS1_25segmented_radix_sort_implIS3_Lb0EPKaPaPKlPlN2at6native12_GLOBAL__N_18offset_tEEE10hipError_tPvRmT1_PNSt15iterator_traitsISK_E10value_typeET2_T3_PNSL_ISQ_E10value_typeET4_jRbjT5_SW_jjP12ihipStream_tbEUlT_E_NS1_11comp_targetILNS1_3genE9ELNS1_11target_archE1100ELNS1_3gpuE3ELNS1_3repE0EEENS1_30default_config_static_selectorELNS0_4arch9wavefront6targetE0EEEvSK_.numbered_sgpr, 0
	.set _ZN7rocprim17ROCPRIM_400000_NS6detail17trampoline_kernelINS0_14default_configENS1_36segmented_radix_sort_config_selectorIalEEZNS1_25segmented_radix_sort_implIS3_Lb0EPKaPaPKlPlN2at6native12_GLOBAL__N_18offset_tEEE10hipError_tPvRmT1_PNSt15iterator_traitsISK_E10value_typeET2_T3_PNSL_ISQ_E10value_typeET4_jRbjT5_SW_jjP12ihipStream_tbEUlT_E_NS1_11comp_targetILNS1_3genE9ELNS1_11target_archE1100ELNS1_3gpuE3ELNS1_3repE0EEENS1_30default_config_static_selectorELNS0_4arch9wavefront6targetE0EEEvSK_.num_named_barrier, 0
	.set _ZN7rocprim17ROCPRIM_400000_NS6detail17trampoline_kernelINS0_14default_configENS1_36segmented_radix_sort_config_selectorIalEEZNS1_25segmented_radix_sort_implIS3_Lb0EPKaPaPKlPlN2at6native12_GLOBAL__N_18offset_tEEE10hipError_tPvRmT1_PNSt15iterator_traitsISK_E10value_typeET2_T3_PNSL_ISQ_E10value_typeET4_jRbjT5_SW_jjP12ihipStream_tbEUlT_E_NS1_11comp_targetILNS1_3genE9ELNS1_11target_archE1100ELNS1_3gpuE3ELNS1_3repE0EEENS1_30default_config_static_selectorELNS0_4arch9wavefront6targetE0EEEvSK_.private_seg_size, 0
	.set _ZN7rocprim17ROCPRIM_400000_NS6detail17trampoline_kernelINS0_14default_configENS1_36segmented_radix_sort_config_selectorIalEEZNS1_25segmented_radix_sort_implIS3_Lb0EPKaPaPKlPlN2at6native12_GLOBAL__N_18offset_tEEE10hipError_tPvRmT1_PNSt15iterator_traitsISK_E10value_typeET2_T3_PNSL_ISQ_E10value_typeET4_jRbjT5_SW_jjP12ihipStream_tbEUlT_E_NS1_11comp_targetILNS1_3genE9ELNS1_11target_archE1100ELNS1_3gpuE3ELNS1_3repE0EEENS1_30default_config_static_selectorELNS0_4arch9wavefront6targetE0EEEvSK_.uses_vcc, 0
	.set _ZN7rocprim17ROCPRIM_400000_NS6detail17trampoline_kernelINS0_14default_configENS1_36segmented_radix_sort_config_selectorIalEEZNS1_25segmented_radix_sort_implIS3_Lb0EPKaPaPKlPlN2at6native12_GLOBAL__N_18offset_tEEE10hipError_tPvRmT1_PNSt15iterator_traitsISK_E10value_typeET2_T3_PNSL_ISQ_E10value_typeET4_jRbjT5_SW_jjP12ihipStream_tbEUlT_E_NS1_11comp_targetILNS1_3genE9ELNS1_11target_archE1100ELNS1_3gpuE3ELNS1_3repE0EEENS1_30default_config_static_selectorELNS0_4arch9wavefront6targetE0EEEvSK_.uses_flat_scratch, 0
	.set _ZN7rocprim17ROCPRIM_400000_NS6detail17trampoline_kernelINS0_14default_configENS1_36segmented_radix_sort_config_selectorIalEEZNS1_25segmented_radix_sort_implIS3_Lb0EPKaPaPKlPlN2at6native12_GLOBAL__N_18offset_tEEE10hipError_tPvRmT1_PNSt15iterator_traitsISK_E10value_typeET2_T3_PNSL_ISQ_E10value_typeET4_jRbjT5_SW_jjP12ihipStream_tbEUlT_E_NS1_11comp_targetILNS1_3genE9ELNS1_11target_archE1100ELNS1_3gpuE3ELNS1_3repE0EEENS1_30default_config_static_selectorELNS0_4arch9wavefront6targetE0EEEvSK_.has_dyn_sized_stack, 0
	.set _ZN7rocprim17ROCPRIM_400000_NS6detail17trampoline_kernelINS0_14default_configENS1_36segmented_radix_sort_config_selectorIalEEZNS1_25segmented_radix_sort_implIS3_Lb0EPKaPaPKlPlN2at6native12_GLOBAL__N_18offset_tEEE10hipError_tPvRmT1_PNSt15iterator_traitsISK_E10value_typeET2_T3_PNSL_ISQ_E10value_typeET4_jRbjT5_SW_jjP12ihipStream_tbEUlT_E_NS1_11comp_targetILNS1_3genE9ELNS1_11target_archE1100ELNS1_3gpuE3ELNS1_3repE0EEENS1_30default_config_static_selectorELNS0_4arch9wavefront6targetE0EEEvSK_.has_recursion, 0
	.set _ZN7rocprim17ROCPRIM_400000_NS6detail17trampoline_kernelINS0_14default_configENS1_36segmented_radix_sort_config_selectorIalEEZNS1_25segmented_radix_sort_implIS3_Lb0EPKaPaPKlPlN2at6native12_GLOBAL__N_18offset_tEEE10hipError_tPvRmT1_PNSt15iterator_traitsISK_E10value_typeET2_T3_PNSL_ISQ_E10value_typeET4_jRbjT5_SW_jjP12ihipStream_tbEUlT_E_NS1_11comp_targetILNS1_3genE9ELNS1_11target_archE1100ELNS1_3gpuE3ELNS1_3repE0EEENS1_30default_config_static_selectorELNS0_4arch9wavefront6targetE0EEEvSK_.has_indirect_call, 0
	.section	.AMDGPU.csdata,"",@progbits
; Kernel info:
; codeLenInByte = 0
; TotalNumSgprs: 0
; NumVgprs: 0
; ScratchSize: 0
; MemoryBound: 0
; FloatMode: 240
; IeeeMode: 1
; LDSByteSize: 0 bytes/workgroup (compile time only)
; SGPRBlocks: 0
; VGPRBlocks: 0
; NumSGPRsForWavesPerEU: 1
; NumVGPRsForWavesPerEU: 1
; NamedBarCnt: 0
; Occupancy: 16
; WaveLimiterHint : 0
; COMPUTE_PGM_RSRC2:SCRATCH_EN: 0
; COMPUTE_PGM_RSRC2:USER_SGPR: 2
; COMPUTE_PGM_RSRC2:TRAP_HANDLER: 0
; COMPUTE_PGM_RSRC2:TGID_X_EN: 1
; COMPUTE_PGM_RSRC2:TGID_Y_EN: 0
; COMPUTE_PGM_RSRC2:TGID_Z_EN: 0
; COMPUTE_PGM_RSRC2:TIDIG_COMP_CNT: 0
	.section	.text._ZN7rocprim17ROCPRIM_400000_NS6detail17trampoline_kernelINS0_14default_configENS1_36segmented_radix_sort_config_selectorIalEEZNS1_25segmented_radix_sort_implIS3_Lb0EPKaPaPKlPlN2at6native12_GLOBAL__N_18offset_tEEE10hipError_tPvRmT1_PNSt15iterator_traitsISK_E10value_typeET2_T3_PNSL_ISQ_E10value_typeET4_jRbjT5_SW_jjP12ihipStream_tbEUlT_E_NS1_11comp_targetILNS1_3genE8ELNS1_11target_archE1030ELNS1_3gpuE2ELNS1_3repE0EEENS1_30default_config_static_selectorELNS0_4arch9wavefront6targetE0EEEvSK_,"axG",@progbits,_ZN7rocprim17ROCPRIM_400000_NS6detail17trampoline_kernelINS0_14default_configENS1_36segmented_radix_sort_config_selectorIalEEZNS1_25segmented_radix_sort_implIS3_Lb0EPKaPaPKlPlN2at6native12_GLOBAL__N_18offset_tEEE10hipError_tPvRmT1_PNSt15iterator_traitsISK_E10value_typeET2_T3_PNSL_ISQ_E10value_typeET4_jRbjT5_SW_jjP12ihipStream_tbEUlT_E_NS1_11comp_targetILNS1_3genE8ELNS1_11target_archE1030ELNS1_3gpuE2ELNS1_3repE0EEENS1_30default_config_static_selectorELNS0_4arch9wavefront6targetE0EEEvSK_,comdat
	.globl	_ZN7rocprim17ROCPRIM_400000_NS6detail17trampoline_kernelINS0_14default_configENS1_36segmented_radix_sort_config_selectorIalEEZNS1_25segmented_radix_sort_implIS3_Lb0EPKaPaPKlPlN2at6native12_GLOBAL__N_18offset_tEEE10hipError_tPvRmT1_PNSt15iterator_traitsISK_E10value_typeET2_T3_PNSL_ISQ_E10value_typeET4_jRbjT5_SW_jjP12ihipStream_tbEUlT_E_NS1_11comp_targetILNS1_3genE8ELNS1_11target_archE1030ELNS1_3gpuE2ELNS1_3repE0EEENS1_30default_config_static_selectorELNS0_4arch9wavefront6targetE0EEEvSK_ ; -- Begin function _ZN7rocprim17ROCPRIM_400000_NS6detail17trampoline_kernelINS0_14default_configENS1_36segmented_radix_sort_config_selectorIalEEZNS1_25segmented_radix_sort_implIS3_Lb0EPKaPaPKlPlN2at6native12_GLOBAL__N_18offset_tEEE10hipError_tPvRmT1_PNSt15iterator_traitsISK_E10value_typeET2_T3_PNSL_ISQ_E10value_typeET4_jRbjT5_SW_jjP12ihipStream_tbEUlT_E_NS1_11comp_targetILNS1_3genE8ELNS1_11target_archE1030ELNS1_3gpuE2ELNS1_3repE0EEENS1_30default_config_static_selectorELNS0_4arch9wavefront6targetE0EEEvSK_
	.p2align	8
	.type	_ZN7rocprim17ROCPRIM_400000_NS6detail17trampoline_kernelINS0_14default_configENS1_36segmented_radix_sort_config_selectorIalEEZNS1_25segmented_radix_sort_implIS3_Lb0EPKaPaPKlPlN2at6native12_GLOBAL__N_18offset_tEEE10hipError_tPvRmT1_PNSt15iterator_traitsISK_E10value_typeET2_T3_PNSL_ISQ_E10value_typeET4_jRbjT5_SW_jjP12ihipStream_tbEUlT_E_NS1_11comp_targetILNS1_3genE8ELNS1_11target_archE1030ELNS1_3gpuE2ELNS1_3repE0EEENS1_30default_config_static_selectorELNS0_4arch9wavefront6targetE0EEEvSK_,@function
_ZN7rocprim17ROCPRIM_400000_NS6detail17trampoline_kernelINS0_14default_configENS1_36segmented_radix_sort_config_selectorIalEEZNS1_25segmented_radix_sort_implIS3_Lb0EPKaPaPKlPlN2at6native12_GLOBAL__N_18offset_tEEE10hipError_tPvRmT1_PNSt15iterator_traitsISK_E10value_typeET2_T3_PNSL_ISQ_E10value_typeET4_jRbjT5_SW_jjP12ihipStream_tbEUlT_E_NS1_11comp_targetILNS1_3genE8ELNS1_11target_archE1030ELNS1_3gpuE2ELNS1_3repE0EEENS1_30default_config_static_selectorELNS0_4arch9wavefront6targetE0EEEvSK_: ; @_ZN7rocprim17ROCPRIM_400000_NS6detail17trampoline_kernelINS0_14default_configENS1_36segmented_radix_sort_config_selectorIalEEZNS1_25segmented_radix_sort_implIS3_Lb0EPKaPaPKlPlN2at6native12_GLOBAL__N_18offset_tEEE10hipError_tPvRmT1_PNSt15iterator_traitsISK_E10value_typeET2_T3_PNSL_ISQ_E10value_typeET4_jRbjT5_SW_jjP12ihipStream_tbEUlT_E_NS1_11comp_targetILNS1_3genE8ELNS1_11target_archE1030ELNS1_3gpuE2ELNS1_3repE0EEENS1_30default_config_static_selectorELNS0_4arch9wavefront6targetE0EEEvSK_
; %bb.0:
	.section	.rodata,"a",@progbits
	.p2align	6, 0x0
	.amdhsa_kernel _ZN7rocprim17ROCPRIM_400000_NS6detail17trampoline_kernelINS0_14default_configENS1_36segmented_radix_sort_config_selectorIalEEZNS1_25segmented_radix_sort_implIS3_Lb0EPKaPaPKlPlN2at6native12_GLOBAL__N_18offset_tEEE10hipError_tPvRmT1_PNSt15iterator_traitsISK_E10value_typeET2_T3_PNSL_ISQ_E10value_typeET4_jRbjT5_SW_jjP12ihipStream_tbEUlT_E_NS1_11comp_targetILNS1_3genE8ELNS1_11target_archE1030ELNS1_3gpuE2ELNS1_3repE0EEENS1_30default_config_static_selectorELNS0_4arch9wavefront6targetE0EEEvSK_
		.amdhsa_group_segment_fixed_size 0
		.amdhsa_private_segment_fixed_size 0
		.amdhsa_kernarg_size 96
		.amdhsa_user_sgpr_count 2
		.amdhsa_user_sgpr_dispatch_ptr 0
		.amdhsa_user_sgpr_queue_ptr 0
		.amdhsa_user_sgpr_kernarg_segment_ptr 1
		.amdhsa_user_sgpr_dispatch_id 0
		.amdhsa_user_sgpr_kernarg_preload_length 0
		.amdhsa_user_sgpr_kernarg_preload_offset 0
		.amdhsa_user_sgpr_private_segment_size 0
		.amdhsa_wavefront_size32 1
		.amdhsa_uses_dynamic_stack 0
		.amdhsa_enable_private_segment 0
		.amdhsa_system_sgpr_workgroup_id_x 1
		.amdhsa_system_sgpr_workgroup_id_y 0
		.amdhsa_system_sgpr_workgroup_id_z 0
		.amdhsa_system_sgpr_workgroup_info 0
		.amdhsa_system_vgpr_workitem_id 0
		.amdhsa_next_free_vgpr 1
		.amdhsa_next_free_sgpr 1
		.amdhsa_named_barrier_count 0
		.amdhsa_reserve_vcc 0
		.amdhsa_float_round_mode_32 0
		.amdhsa_float_round_mode_16_64 0
		.amdhsa_float_denorm_mode_32 3
		.amdhsa_float_denorm_mode_16_64 3
		.amdhsa_fp16_overflow 0
		.amdhsa_memory_ordered 1
		.amdhsa_forward_progress 1
		.amdhsa_inst_pref_size 0
		.amdhsa_round_robin_scheduling 0
		.amdhsa_exception_fp_ieee_invalid_op 0
		.amdhsa_exception_fp_denorm_src 0
		.amdhsa_exception_fp_ieee_div_zero 0
		.amdhsa_exception_fp_ieee_overflow 0
		.amdhsa_exception_fp_ieee_underflow 0
		.amdhsa_exception_fp_ieee_inexact 0
		.amdhsa_exception_int_div_zero 0
	.end_amdhsa_kernel
	.section	.text._ZN7rocprim17ROCPRIM_400000_NS6detail17trampoline_kernelINS0_14default_configENS1_36segmented_radix_sort_config_selectorIalEEZNS1_25segmented_radix_sort_implIS3_Lb0EPKaPaPKlPlN2at6native12_GLOBAL__N_18offset_tEEE10hipError_tPvRmT1_PNSt15iterator_traitsISK_E10value_typeET2_T3_PNSL_ISQ_E10value_typeET4_jRbjT5_SW_jjP12ihipStream_tbEUlT_E_NS1_11comp_targetILNS1_3genE8ELNS1_11target_archE1030ELNS1_3gpuE2ELNS1_3repE0EEENS1_30default_config_static_selectorELNS0_4arch9wavefront6targetE0EEEvSK_,"axG",@progbits,_ZN7rocprim17ROCPRIM_400000_NS6detail17trampoline_kernelINS0_14default_configENS1_36segmented_radix_sort_config_selectorIalEEZNS1_25segmented_radix_sort_implIS3_Lb0EPKaPaPKlPlN2at6native12_GLOBAL__N_18offset_tEEE10hipError_tPvRmT1_PNSt15iterator_traitsISK_E10value_typeET2_T3_PNSL_ISQ_E10value_typeET4_jRbjT5_SW_jjP12ihipStream_tbEUlT_E_NS1_11comp_targetILNS1_3genE8ELNS1_11target_archE1030ELNS1_3gpuE2ELNS1_3repE0EEENS1_30default_config_static_selectorELNS0_4arch9wavefront6targetE0EEEvSK_,comdat
.Lfunc_end399:
	.size	_ZN7rocprim17ROCPRIM_400000_NS6detail17trampoline_kernelINS0_14default_configENS1_36segmented_radix_sort_config_selectorIalEEZNS1_25segmented_radix_sort_implIS3_Lb0EPKaPaPKlPlN2at6native12_GLOBAL__N_18offset_tEEE10hipError_tPvRmT1_PNSt15iterator_traitsISK_E10value_typeET2_T3_PNSL_ISQ_E10value_typeET4_jRbjT5_SW_jjP12ihipStream_tbEUlT_E_NS1_11comp_targetILNS1_3genE8ELNS1_11target_archE1030ELNS1_3gpuE2ELNS1_3repE0EEENS1_30default_config_static_selectorELNS0_4arch9wavefront6targetE0EEEvSK_, .Lfunc_end399-_ZN7rocprim17ROCPRIM_400000_NS6detail17trampoline_kernelINS0_14default_configENS1_36segmented_radix_sort_config_selectorIalEEZNS1_25segmented_radix_sort_implIS3_Lb0EPKaPaPKlPlN2at6native12_GLOBAL__N_18offset_tEEE10hipError_tPvRmT1_PNSt15iterator_traitsISK_E10value_typeET2_T3_PNSL_ISQ_E10value_typeET4_jRbjT5_SW_jjP12ihipStream_tbEUlT_E_NS1_11comp_targetILNS1_3genE8ELNS1_11target_archE1030ELNS1_3gpuE2ELNS1_3repE0EEENS1_30default_config_static_selectorELNS0_4arch9wavefront6targetE0EEEvSK_
                                        ; -- End function
	.set _ZN7rocprim17ROCPRIM_400000_NS6detail17trampoline_kernelINS0_14default_configENS1_36segmented_radix_sort_config_selectorIalEEZNS1_25segmented_radix_sort_implIS3_Lb0EPKaPaPKlPlN2at6native12_GLOBAL__N_18offset_tEEE10hipError_tPvRmT1_PNSt15iterator_traitsISK_E10value_typeET2_T3_PNSL_ISQ_E10value_typeET4_jRbjT5_SW_jjP12ihipStream_tbEUlT_E_NS1_11comp_targetILNS1_3genE8ELNS1_11target_archE1030ELNS1_3gpuE2ELNS1_3repE0EEENS1_30default_config_static_selectorELNS0_4arch9wavefront6targetE0EEEvSK_.num_vgpr, 0
	.set _ZN7rocprim17ROCPRIM_400000_NS6detail17trampoline_kernelINS0_14default_configENS1_36segmented_radix_sort_config_selectorIalEEZNS1_25segmented_radix_sort_implIS3_Lb0EPKaPaPKlPlN2at6native12_GLOBAL__N_18offset_tEEE10hipError_tPvRmT1_PNSt15iterator_traitsISK_E10value_typeET2_T3_PNSL_ISQ_E10value_typeET4_jRbjT5_SW_jjP12ihipStream_tbEUlT_E_NS1_11comp_targetILNS1_3genE8ELNS1_11target_archE1030ELNS1_3gpuE2ELNS1_3repE0EEENS1_30default_config_static_selectorELNS0_4arch9wavefront6targetE0EEEvSK_.num_agpr, 0
	.set _ZN7rocprim17ROCPRIM_400000_NS6detail17trampoline_kernelINS0_14default_configENS1_36segmented_radix_sort_config_selectorIalEEZNS1_25segmented_radix_sort_implIS3_Lb0EPKaPaPKlPlN2at6native12_GLOBAL__N_18offset_tEEE10hipError_tPvRmT1_PNSt15iterator_traitsISK_E10value_typeET2_T3_PNSL_ISQ_E10value_typeET4_jRbjT5_SW_jjP12ihipStream_tbEUlT_E_NS1_11comp_targetILNS1_3genE8ELNS1_11target_archE1030ELNS1_3gpuE2ELNS1_3repE0EEENS1_30default_config_static_selectorELNS0_4arch9wavefront6targetE0EEEvSK_.numbered_sgpr, 0
	.set _ZN7rocprim17ROCPRIM_400000_NS6detail17trampoline_kernelINS0_14default_configENS1_36segmented_radix_sort_config_selectorIalEEZNS1_25segmented_radix_sort_implIS3_Lb0EPKaPaPKlPlN2at6native12_GLOBAL__N_18offset_tEEE10hipError_tPvRmT1_PNSt15iterator_traitsISK_E10value_typeET2_T3_PNSL_ISQ_E10value_typeET4_jRbjT5_SW_jjP12ihipStream_tbEUlT_E_NS1_11comp_targetILNS1_3genE8ELNS1_11target_archE1030ELNS1_3gpuE2ELNS1_3repE0EEENS1_30default_config_static_selectorELNS0_4arch9wavefront6targetE0EEEvSK_.num_named_barrier, 0
	.set _ZN7rocprim17ROCPRIM_400000_NS6detail17trampoline_kernelINS0_14default_configENS1_36segmented_radix_sort_config_selectorIalEEZNS1_25segmented_radix_sort_implIS3_Lb0EPKaPaPKlPlN2at6native12_GLOBAL__N_18offset_tEEE10hipError_tPvRmT1_PNSt15iterator_traitsISK_E10value_typeET2_T3_PNSL_ISQ_E10value_typeET4_jRbjT5_SW_jjP12ihipStream_tbEUlT_E_NS1_11comp_targetILNS1_3genE8ELNS1_11target_archE1030ELNS1_3gpuE2ELNS1_3repE0EEENS1_30default_config_static_selectorELNS0_4arch9wavefront6targetE0EEEvSK_.private_seg_size, 0
	.set _ZN7rocprim17ROCPRIM_400000_NS6detail17trampoline_kernelINS0_14default_configENS1_36segmented_radix_sort_config_selectorIalEEZNS1_25segmented_radix_sort_implIS3_Lb0EPKaPaPKlPlN2at6native12_GLOBAL__N_18offset_tEEE10hipError_tPvRmT1_PNSt15iterator_traitsISK_E10value_typeET2_T3_PNSL_ISQ_E10value_typeET4_jRbjT5_SW_jjP12ihipStream_tbEUlT_E_NS1_11comp_targetILNS1_3genE8ELNS1_11target_archE1030ELNS1_3gpuE2ELNS1_3repE0EEENS1_30default_config_static_selectorELNS0_4arch9wavefront6targetE0EEEvSK_.uses_vcc, 0
	.set _ZN7rocprim17ROCPRIM_400000_NS6detail17trampoline_kernelINS0_14default_configENS1_36segmented_radix_sort_config_selectorIalEEZNS1_25segmented_radix_sort_implIS3_Lb0EPKaPaPKlPlN2at6native12_GLOBAL__N_18offset_tEEE10hipError_tPvRmT1_PNSt15iterator_traitsISK_E10value_typeET2_T3_PNSL_ISQ_E10value_typeET4_jRbjT5_SW_jjP12ihipStream_tbEUlT_E_NS1_11comp_targetILNS1_3genE8ELNS1_11target_archE1030ELNS1_3gpuE2ELNS1_3repE0EEENS1_30default_config_static_selectorELNS0_4arch9wavefront6targetE0EEEvSK_.uses_flat_scratch, 0
	.set _ZN7rocprim17ROCPRIM_400000_NS6detail17trampoline_kernelINS0_14default_configENS1_36segmented_radix_sort_config_selectorIalEEZNS1_25segmented_radix_sort_implIS3_Lb0EPKaPaPKlPlN2at6native12_GLOBAL__N_18offset_tEEE10hipError_tPvRmT1_PNSt15iterator_traitsISK_E10value_typeET2_T3_PNSL_ISQ_E10value_typeET4_jRbjT5_SW_jjP12ihipStream_tbEUlT_E_NS1_11comp_targetILNS1_3genE8ELNS1_11target_archE1030ELNS1_3gpuE2ELNS1_3repE0EEENS1_30default_config_static_selectorELNS0_4arch9wavefront6targetE0EEEvSK_.has_dyn_sized_stack, 0
	.set _ZN7rocprim17ROCPRIM_400000_NS6detail17trampoline_kernelINS0_14default_configENS1_36segmented_radix_sort_config_selectorIalEEZNS1_25segmented_radix_sort_implIS3_Lb0EPKaPaPKlPlN2at6native12_GLOBAL__N_18offset_tEEE10hipError_tPvRmT1_PNSt15iterator_traitsISK_E10value_typeET2_T3_PNSL_ISQ_E10value_typeET4_jRbjT5_SW_jjP12ihipStream_tbEUlT_E_NS1_11comp_targetILNS1_3genE8ELNS1_11target_archE1030ELNS1_3gpuE2ELNS1_3repE0EEENS1_30default_config_static_selectorELNS0_4arch9wavefront6targetE0EEEvSK_.has_recursion, 0
	.set _ZN7rocprim17ROCPRIM_400000_NS6detail17trampoline_kernelINS0_14default_configENS1_36segmented_radix_sort_config_selectorIalEEZNS1_25segmented_radix_sort_implIS3_Lb0EPKaPaPKlPlN2at6native12_GLOBAL__N_18offset_tEEE10hipError_tPvRmT1_PNSt15iterator_traitsISK_E10value_typeET2_T3_PNSL_ISQ_E10value_typeET4_jRbjT5_SW_jjP12ihipStream_tbEUlT_E_NS1_11comp_targetILNS1_3genE8ELNS1_11target_archE1030ELNS1_3gpuE2ELNS1_3repE0EEENS1_30default_config_static_selectorELNS0_4arch9wavefront6targetE0EEEvSK_.has_indirect_call, 0
	.section	.AMDGPU.csdata,"",@progbits
; Kernel info:
; codeLenInByte = 0
; TotalNumSgprs: 0
; NumVgprs: 0
; ScratchSize: 0
; MemoryBound: 0
; FloatMode: 240
; IeeeMode: 1
; LDSByteSize: 0 bytes/workgroup (compile time only)
; SGPRBlocks: 0
; VGPRBlocks: 0
; NumSGPRsForWavesPerEU: 1
; NumVGPRsForWavesPerEU: 1
; NamedBarCnt: 0
; Occupancy: 16
; WaveLimiterHint : 0
; COMPUTE_PGM_RSRC2:SCRATCH_EN: 0
; COMPUTE_PGM_RSRC2:USER_SGPR: 2
; COMPUTE_PGM_RSRC2:TRAP_HANDLER: 0
; COMPUTE_PGM_RSRC2:TGID_X_EN: 1
; COMPUTE_PGM_RSRC2:TGID_Y_EN: 0
; COMPUTE_PGM_RSRC2:TGID_Z_EN: 0
; COMPUTE_PGM_RSRC2:TIDIG_COMP_CNT: 0
	.text
	.p2align	2                               ; -- Begin function _ZN7rocprim17ROCPRIM_400000_NS6detail26segmented_warp_sort_helperINS1_20WarpSortHelperConfigILj32ELj4ELj256EEEalLi256ELb0EvE4sortIPKaPaPKlPlEEvT_T0_T1_T2_jjjjRNS5_12storage_typeE
	.type	_ZN7rocprim17ROCPRIM_400000_NS6detail26segmented_warp_sort_helperINS1_20WarpSortHelperConfigILj32ELj4ELj256EEEalLi256ELb0EvE4sortIPKaPaPKlPlEEvT_T0_T1_T2_jjjjRNS5_12storage_typeE,@function
_ZN7rocprim17ROCPRIM_400000_NS6detail26segmented_warp_sort_helperINS1_20WarpSortHelperConfigILj32ELj4ELj256EEEalLi256ELb0EvE4sortIPKaPaPKlPlEEvT_T0_T1_T2_jjjjRNS5_12storage_typeE: ; @_ZN7rocprim17ROCPRIM_400000_NS6detail26segmented_warp_sort_helperINS1_20WarpSortHelperConfigILj32ELj4ELj256EEEalLi256ELb0EvE4sortIPKaPaPKlPlEEvT_T0_T1_T2_jjjjRNS5_12storage_typeE
; %bb.0:
	s_wait_loadcnt_dscnt 0x0
	s_wait_kmcnt 0x0
	v_dual_mov_b32 v14, v9 :: v_dual_mov_b32 v9, 0
	v_mbcnt_lo_u32_b32 v15, -1, 0
	v_dual_mov_b32 v34, 0x7f :: v_dual_mov_b32 v35, 0x7f
	s_delay_alu instid0(VALU_DEP_3) | instskip(NEXT) | instid1(VALU_DEP_4)
	v_dual_mov_b32 v33, 0x7f :: v_dual_sub_nc_u32 v16, v14, v8
	v_add_nc_u64_e32 v[18:19], v[0:1], v[8:9]
	s_delay_alu instid0(VALU_DEP_4) | instskip(SKIP_1) | instid1(VALU_DEP_2)
	v_dual_mov_b32 v1, v9 :: v_dual_lshlrev_b32 v0, 2, v15
	v_mov_b32_e32 v32, 0x7f
	v_cmp_lt_u32_e32 vcc_lo, v0, v16
	s_delay_alu instid0(VALU_DEP_3)
	v_add_nc_u64_e32 v[14:15], v[18:19], v[0:1]
	s_and_saveexec_b32 s0, vcc_lo
	s_cbranch_execz .LBB400_2
; %bb.1:
	flat_load_u8 v32, v[14:15]
	v_dual_mov_b32 v34, 0x7f :: v_dual_mov_b32 v33, 0x7f
	v_mov_b32_e32 v35, 0x7f
.LBB400_2:
	s_wait_xcnt 0x0
	s_or_b32 exec_lo, exec_lo, s0
	v_or_b32_e32 v17, 1, v0
	s_delay_alu instid0(VALU_DEP_1)
	v_cmp_lt_u32_e64 s0, v17, v16
	s_and_saveexec_b32 s1, s0
	s_cbranch_execz .LBB400_4
; %bb.3:
	flat_load_u8 v33, v[14:15] offset:1
.LBB400_4:
	s_wait_xcnt 0x0
	s_or_b32 exec_lo, exec_lo, s1
	v_or_b32_e32 v17, 2, v0
	s_delay_alu instid0(VALU_DEP_1)
	v_cmp_lt_u32_e64 s1, v17, v16
	s_and_saveexec_b32 s2, s1
	s_cbranch_execz .LBB400_6
; %bb.5:
	flat_load_u8 v35, v[14:15] offset:2
.LBB400_6:
	;; [unrolled: 10-line block ×3, first 2 shown]
	s_wait_xcnt 0x0
	s_or_b32 exec_lo, exec_lo, s3
	v_lshl_add_u64 v[14:15], v[8:9], 3, v[4:5]
	v_dual_mov_b32 v5, 0 :: v_dual_lshlrev_b32 v4, 3, v0
	; wave barrier
	s_delay_alu instid0(VALU_DEP_1)
	v_add_nc_u64_e32 v[22:23], v[14:15], v[4:5]
                                        ; implicit-def: $vgpr14_vgpr15
	s_and_saveexec_b32 s3, vcc_lo
	s_cbranch_execnz .LBB400_147
; %bb.9:
	s_or_b32 exec_lo, exec_lo, s3
                                        ; implicit-def: $vgpr16_vgpr17
	s_and_saveexec_b32 s3, s0
	s_cbranch_execnz .LBB400_148
.LBB400_10:
	s_or_b32 exec_lo, exec_lo, s3
                                        ; implicit-def: $vgpr20_vgpr21
	s_and_saveexec_b32 s3, s1
	s_cbranch_execnz .LBB400_149
.LBB400_11:
	s_or_b32 exec_lo, exec_lo, s3
                                        ; implicit-def: $vgpr18_vgpr19
	s_and_saveexec_b32 s3, s2
	s_cbranch_execz .LBB400_13
.LBB400_12:
	flat_load_b64 v[18:19], v[22:23] offset:24
.LBB400_13:
	s_wait_xcnt 0x0
	s_or_b32 exec_lo, exec_lo, s3
	v_cmp_ne_u32_e64 s3, 0, v10
	v_cmp_ne_u32_e64 s4, 8, v11
	v_bfe_u32 v22, v31, 10, 10
	v_bfe_u32 v23, v31, 20, 10
	v_and_b32_e32 v5, 0x3ff, v31
	s_mov_b32 s5, 0
	s_or_b32 s3, s3, s4
	s_getreg_b32 s11, hwreg(HW_REG_IB_STS2, 6, 4)
	; wave barrier
	s_and_saveexec_b32 s4, s3
	s_delay_alu instid0(SALU_CYCLE_1)
	s_xor_b32 s12, exec_lo, s4
	s_cbranch_execz .LBB400_75
; %bb.14:
	s_load_b64 s[6:7], s[8:9], 0x0
	s_bfe_u32 s4, ttmp6, 0x4000c
	s_bfe_u32 s13, ttmp6, 0x40010
	s_and_b32 s10, ttmp7, 0xffff
	s_add_co_i32 s4, s4, 1
	s_add_co_i32 s13, s13, 1
	s_and_b32 s3, ttmp6, 15
	s_bfe_u32 s14, ttmp6, 0x40004
	s_mul_i32 s4, ttmp9, s4
	s_mul_i32 s13, s10, s13
	s_add_co_i32 s3, s3, s4
	s_add_co_i32 s14, s14, s13
	s_cmp_eq_u32 s11, 0
	v_lshlrev_b32_e64 v11, v11, -1
	s_cselect_b32 s3, ttmp9, s3
	s_cselect_b32 s10, s10, s14
	v_lshlrev_b32_e64 v10, v10, -1
	s_wait_kmcnt 0x0
	s_cmp_lt_u32 s3, s6
	s_cselect_b32 s4, 12, 18
	s_cmp_lt_u32 s10, s7
	s_mov_b32 s7, s5
	s_cselect_b32 s6, 14, 20
	s_add_nc_u64 s[4:5], s[8:9], s[4:5]
	s_add_nc_u64 s[6:7], s[8:9], s[6:7]
	s_clause 0x1
	s_load_u16 s4, s[4:5], 0x0
	s_nop 0
	s_load_u16 s3, s[6:7], 0x0
	s_wait_xcnt 0x0
	s_mov_b32 s6, exec_lo
	s_wait_kmcnt 0x0
	v_mad_u32_u24 v22, v23, s3, v22
	s_delay_alu instid0(VALU_DEP_1) | instskip(NEXT) | instid1(VALU_DEP_1)
	v_mul_lo_u32 v22, v22, s4
	v_add_lshl_u32 v24, v22, v5, 2
	v_xor_b32_e32 v5, v11, v10
	s_delay_alu instid0(VALU_DEP_2)
	v_cmpx_gt_u32_e32 0x400, v24
	s_cbranch_execz .LBB400_24
; %bb.15:
	s_wait_loadcnt_dscnt 0x0
	v_perm_b32 v10, v35, v34, 0xc0c0004
	v_perm_b32 v11, v33, v32, 0xc0c0004
	v_and_b32_e32 v22, v33, v5
	v_perm_b32 v25, v32, v33, 0xc0c0004
	s_mov_b32 s5, exec_lo
	v_lshlrev_b32_e32 v10, 16, v10
	s_delay_alu instid0(VALU_DEP_3) | instskip(NEXT) | instid1(VALU_DEP_2)
	v_bfe_i32 v22, v22, 0, 8
	v_or_b32_e32 v11, v11, v10
	v_or_b32_e32 v10, v25, v10
	v_and_b32_e32 v23, v32, v5
	s_delay_alu instid0(VALU_DEP_1) | instskip(NEXT) | instid1(VALU_DEP_1)
	v_bfe_i32 v23, v23, 0, 8
	v_cmp_gt_i16_e64 s3, v23, v22
	s_delay_alu instid0(VALU_DEP_1) | instskip(NEXT) | instid1(VALU_DEP_1)
	v_cndmask_b32_e64 v25, v10, v11, s3
	v_dual_lshrrev_b32 v22, 24, v25 :: v_dual_lshrrev_b32 v26, 16, v25
	v_lshrrev_b32_e32 v27, 8, v25
	s_delay_alu instid0(VALU_DEP_2) | instskip(NEXT) | instid1(VALU_DEP_3)
	v_dual_mov_b32 v28, v22 :: v_dual_bitop2_b32 v10, v22, v5 bitop3:0x40
	v_and_b32_e32 v11, v26, v5
	s_delay_alu instid0(VALU_DEP_2) | instskip(NEXT) | instid1(VALU_DEP_2)
	v_bfe_i32 v23, v10, 0, 8
	v_bfe_i32 v30, v11, 0, 8
	v_mov_b64_e32 v[10:11], v[20:21]
	s_delay_alu instid0(VALU_DEP_2)
	v_cmpx_gt_i16_e64 v30, v23
; %bb.16:
	v_mov_b64_e32 v[10:11], v[18:19]
	v_mov_b64_e32 v[18:19], v[20:21]
	v_dual_mov_b32 v28, v26 :: v_dual_mov_b32 v26, v22
	v_mov_b32_e32 v30, v23
; %bb.17:
	s_or_b32 exec_lo, exec_lo, s5
	v_dual_cndmask_b32 v23, v17, v15, s3 :: v_dual_bitop2_b32 v20, v27, v5 bitop3:0x40
	v_cndmask_b32_e64 v22, v16, v14, s3
	s_delay_alu instid0(VALU_DEP_2) | instskip(NEXT) | instid1(VALU_DEP_2)
	v_bfe_i32 v29, v20, 0, 8
	v_mov_b64_e32 v[20:21], v[22:23]
	s_delay_alu instid0(VALU_DEP_2) | instskip(SKIP_1) | instid1(SALU_CYCLE_1)
	v_cmp_gt_i16_e64 s4, v29, v30
	s_and_saveexec_b32 s5, s4
	s_xor_b32 s4, exec_lo, s5
; %bb.18:
	v_dual_mov_b32 v30, v27 :: v_dual_bitop2_b32 v29, v26, v5 bitop3:0x40
	v_mov_b64_e32 v[20:21], v[10:11]
	v_mov_b64_e32 v[10:11], v[22:23]
	s_delay_alu instid0(VALU_DEP_3)
	v_dual_mov_b32 v27, v26 :: v_dual_mov_b32 v26, v30
; %bb.19:
	s_or_b32 exec_lo, exec_lo, s4
	s_delay_alu instid0(VALU_DEP_1) | instskip(SKIP_1) | instid1(VALU_DEP_3)
	v_perm_b32 v22, v26, v28, 0xc0c0004
	v_and_b32_e32 v26, v25, v5
	v_perm_b32 v23, v27, v25, 0xc0c0004
	v_perm_b32 v25, v25, v27, 0xc0c0004
	v_bfe_i32 v27, v29, 0, 8
	v_lshlrev_b32_e32 v22, 16, v22
	v_bfe_i32 v26, v26, 0, 8
	s_mov_b32 s7, exec_lo
	s_delay_alu instid0(VALU_DEP_2) | instskip(SKIP_1) | instid1(VALU_DEP_3)
	v_or_b32_e32 v23, v23, v22
	v_or_b32_e32 v22, v25, v22
	v_cmp_gt_i16_e64 s4, v26, v27
	s_delay_alu instid0(VALU_DEP_1) | instskip(NEXT) | instid1(VALU_DEP_1)
	v_cndmask_b32_e64 v32, v22, v23, s4
	v_lshrrev_b32_e32 v35, 16, v32
	s_delay_alu instid0(VALU_DEP_1) | instskip(SKIP_1) | instid1(VALU_DEP_2)
	v_dual_lshrrev_b32 v26, 24, v32 :: v_dual_bitop2_b32 v23, v35, v5 bitop3:0x40
	v_lshrrev_b32_e32 v33, 8, v32
	v_bfe_i32 v25, v23, 0, 8
	s_delay_alu instid0(VALU_DEP_3) | instskip(NEXT) | instid1(VALU_DEP_1)
	v_dual_mov_b32 v34, v26 :: v_dual_bitop2_b32 v22, v26, v5 bitop3:0x40
	v_bfe_i32 v27, v22, 0, 8
	v_mov_b64_e32 v[22:23], v[10:11]
	s_delay_alu instid0(VALU_DEP_2)
	v_cmpx_gt_i16_e64 v25, v27
; %bb.20:
	v_mov_b64_e32 v[22:23], v[18:19]
	v_mov_b64_e32 v[18:19], v[10:11]
	v_dual_mov_b32 v34, v35 :: v_dual_mov_b32 v35, v26
	v_mov_b32_e32 v25, v27
; %bb.21:
	s_or_b32 exec_lo, exec_lo, s7
	v_dual_cndmask_b32 v16, v14, v16, s3 :: v_dual_bitop2_b32 v10, v33, v5 bitop3:0x40
	v_cndmask_b32_e64 v11, v15, v17, s3
	s_delay_alu instid0(VALU_DEP_2) | instskip(NEXT) | instid1(VALU_DEP_2)
	v_bfe_i32 v10, v10, 0, 8
	v_dual_cndmask_b32 v14, v16, v20, s4 :: v_dual_cndmask_b32 v15, v11, v21, s4
	v_dual_cndmask_b32 v17, v21, v11, s4 :: v_dual_cndmask_b32 v16, v20, v16, s4
	v_mov_b64_e32 v[20:21], v[22:23]
	s_mov_b32 s4, exec_lo
	v_cmpx_gt_i16_e64 v10, v25
; %bb.22:
	v_mov_b32_e32 v10, v33
	v_swap_b32 v33, v35
	v_mov_b64_e32 v[20:21], v[16:17]
	v_mov_b64_e32 v[16:17], v[22:23]
; %bb.23:
	s_or_b32 exec_lo, exec_lo, s4
.LBB400_24:
	s_delay_alu instid0(SALU_CYCLE_1)
	s_or_b32 exec_lo, exec_lo, s6
	v_and_b32_e32 v26, 0xffffff80, v24
	v_dual_mov_b32 v27, 0 :: v_dual_bitop2_b32 v10, 4, v0 bitop3:0x54
	s_wait_loadcnt_dscnt 0x0
	v_perm_b32 v25, v32, v33, 0xc0c0004
	v_perm_b32 v29, v35, v34, 0xc0c0004
	v_sub_nc_u32_e64 v36, 0x400, v26 clamp
	v_add_nc_u64_e32 v[12:13], v[12:13], v[26:27]
	s_mov_b32 s4, exec_lo
	s_delay_alu instid0(VALU_DEP_3) | instskip(NEXT) | instid1(VALU_DEP_3)
	v_lshl_or_b32 v25, v29, 16, v25
	v_min_u32_e32 v24, v36, v10
	s_delay_alu instid0(VALU_DEP_3) | instskip(SKIP_1) | instid1(VALU_DEP_3)
	v_mad_nc_u64_u32 v[10:11], v26, 7, v[12:13]
	v_dual_mov_b32 v26, v0 :: v_dual_bitop2_b32 v11, 4, v0 bitop3:0x40
	v_add_min_u32_e64 v39, v24, 4, v36
	s_delay_alu instid0(VALU_DEP_2) | instskip(SKIP_1) | instid1(VALU_DEP_4)
	v_add_nc_u64_e32 v[22:23], v[12:13], v[26:27]
	v_and_b32_e32 v26, 0x78, v0
	v_min_u32_e32 v48, v36, v11
	s_delay_alu instid0(VALU_DEP_4) | instskip(SKIP_1) | instid1(VALU_DEP_4)
	v_sub_nc_u32_e32 v23, v39, v24
	v_lshl_add_u32 v11, v0, 3, v10
	v_sub_nc_u32_e32 v28, v24, v26
	ds_store_2addr_b64 v11, v[14:15], v[16:17] offset0:128 offset1:129
	ds_store_b64 v11, v[20:21] offset:1040
	ds_store_b32 v22, v25
	ds_store_b64 v11, v[18:19] offset:1048
	v_sub_nc_u32_e64 v49, v48, v23 clamp
	v_min_u32_e32 v23, v48, v28
	; wave barrier
	s_delay_alu instid0(VALU_DEP_1)
	v_cmpx_lt_u32_e64 v49, v23
	s_cbranch_execz .LBB400_28
; %bb.25:
	v_mov_b32_e32 v25, v27
	v_add_nc_u64_e32 v[28:29], v[12:13], v[26:27]
	s_mov_b32 s5, 0
	s_delay_alu instid0(VALU_DEP_2)
	v_add_nc_u64_e32 v[30:31], v[12:13], v[24:25]
.LBB400_26:                             ; =>This Inner Loop Header: Depth=1
	v_add_nc_u32_e32 v25, v23, v49
	s_delay_alu instid0(VALU_DEP_1) | instskip(NEXT) | instid1(VALU_DEP_1)
	v_lshrrev_b32_e32 v25, 1, v25
	v_not_b32_e32 v27, v25
	v_dual_add_nc_u32 v29, v28, v25 :: v_dual_add_nc_u32 v31, 1, v25
	s_delay_alu instid0(VALU_DEP_2)
	v_add3_u32 v27, v48, v27, v30
	ds_load_u8 v29, v29
	ds_load_u8 v27, v27
	s_wait_dscnt 0x1
	v_and_b32_e32 v29, v29, v5
	s_wait_dscnt 0x0
	v_and_b32_e32 v27, v27, v5
	s_delay_alu instid0(VALU_DEP_2) | instskip(NEXT) | instid1(VALU_DEP_2)
	v_bfe_i32 v29, v29, 0, 8
	v_bfe_i32 v27, v27, 0, 8
	s_delay_alu instid0(VALU_DEP_1) | instskip(NEXT) | instid1(VALU_DEP_1)
	v_cmp_gt_i16_e64 s3, v29, v27
	v_cndmask_b32_e64 v23, v23, v25, s3
	v_cndmask_b32_e64 v49, v31, v49, s3
	s_delay_alu instid0(VALU_DEP_1) | instskip(SKIP_1) | instid1(SALU_CYCLE_1)
	v_cmp_ge_u32_e64 s3, v49, v23
	s_or_b32 s5, s3, s5
	s_and_not1_b32 exec_lo, exec_lo, s5
	s_cbranch_execnz .LBB400_26
; %bb.27:
	s_or_b32 exec_lo, exec_lo, s5
.LBB400_28:
	s_delay_alu instid0(SALU_CYCLE_1) | instskip(SKIP_4) | instid1(VALU_DEP_4)
	s_or_b32 exec_lo, exec_lo, s4
	v_dual_add_nc_u32 v25, v24, v48 :: v_dual_add_nc_u32 v28, v49, v26
	v_add_nc_u32_e32 v38, 0x400, v11
	v_add_nc_u32_e32 v37, 0x408, v11
	;; [unrolled: 1-line block ×3, first 2 shown]
	v_sub_nc_u32_e32 v27, v25, v49
	v_cmp_le_u32_e64 s3, v28, v24
	v_add_nc_u32_e32 v11, 0x418, v11
	s_delay_alu instid0(VALU_DEP_3) | instskip(SKIP_1) | instid1(SALU_CYCLE_1)
	v_cmp_le_u32_e64 s4, v27, v39
	s_or_b32 s3, s3, s4
	s_and_saveexec_b32 s13, s3
	s_cbranch_execz .LBB400_34
; %bb.29:
	v_cmp_lt_u32_e64 s3, v28, v24
                                        ; implicit-def: $vgpr25
	s_and_saveexec_b32 s4, s3
; %bb.30:
	v_add_nc_u32_e32 v14, v12, v28
	ds_load_u8 v25, v14
; %bb.31:
	s_or_b32 exec_lo, exec_lo, s4
	v_cmp_ge_u32_e64 s4, v27, v39
	s_mov_b32 s6, exec_lo
                                        ; implicit-def: $vgpr26
	v_cmpx_lt_u32_e64 v27, v39
; %bb.32:
	v_add_nc_u32_e32 v14, v12, v27
	ds_load_u8 v26, v14
; %bb.33:
	s_or_b32 exec_lo, exec_lo, s6
	s_wait_dscnt 0x0
	v_and_b32_e32 v14, v26, v5
	v_and_b32_e32 v15, v25, v5
	s_delay_alu instid0(VALU_DEP_2) | instskip(NEXT) | instid1(VALU_DEP_2)
	v_bfe_i32 v14, v14, 0, 8
	v_bfe_i32 v15, v15, 0, 8
	s_delay_alu instid0(VALU_DEP_1) | instskip(SKIP_1) | instid1(SALU_CYCLE_1)
	v_cmp_le_i16_e64 s5, v15, v14
	s_and_b32 s3, s3, s5
	s_or_b32 s3, s4, s3
	s_delay_alu instid0(SALU_CYCLE_1) | instskip(SKIP_1) | instid1(VALU_DEP_2)
	v_cndmask_b32_e64 v14, v27, v28, s3
	v_dual_cndmask_b32 v15, v39, v24, s3 :: v_dual_cndmask_b32 v32, v26, v25, s3
	v_add_nc_u32_e32 v16, 1, v14
	v_lshl_add_u32 v14, v14, 3, v10
	s_delay_alu instid0(VALU_DEP_2) | instskip(NEXT) | instid1(VALU_DEP_1)
	v_add_min_u32_e64 v15, v15, -1, v16
	v_add_nc_u32_e32 v15, v12, v15
	v_cndmask_b32_e64 v18, v28, v16, s3
	v_cndmask_b32_e64 v16, v16, v27, s3
	ds_load_u8 v15, v15
	v_cmp_lt_u32_e64 s4, v18, v24
	v_cmp_ge_u32_e64 s6, v16, v39
	s_wait_dscnt 0x0
	v_dual_cndmask_b32 v29, v15, v26, s3 :: v_dual_cndmask_b32 v30, v25, v15, s3
	s_delay_alu instid0(VALU_DEP_1) | instskip(NEXT) | instid1(VALU_DEP_2)
	v_and_b32_e32 v15, v29, v5
	v_and_b32_e32 v17, v30, v5
	s_delay_alu instid0(VALU_DEP_2) | instskip(NEXT) | instid1(VALU_DEP_2)
	v_bfe_i32 v15, v15, 0, 8
	v_bfe_i32 v17, v17, 0, 8
	s_delay_alu instid0(VALU_DEP_1) | instskip(SKIP_1) | instid1(SALU_CYCLE_1)
	v_cmp_le_i16_e64 s5, v17, v15
	s_and_b32 s4, s4, s5
	s_or_b32 s4, s6, s4
	s_delay_alu instid0(SALU_CYCLE_1) | instskip(NEXT) | instid1(VALU_DEP_1)
	v_dual_cndmask_b32 v15, v16, v18, s4 :: v_dual_cndmask_b32 v17, v39, v24, s4
	v_add_nc_u32_e32 v19, 1, v15
	s_delay_alu instid0(VALU_DEP_1) | instskip(NEXT) | instid1(VALU_DEP_1)
	v_add_min_u32_e64 v17, v17, -1, v19
	v_dual_add_nc_u32 v17, v12, v17 :: v_dual_cndmask_b32 v18, v18, v19, s4
	v_cndmask_b32_e64 v16, v19, v16, s4
	ds_load_u8 v17, v17
	v_cmp_lt_u32_e64 s5, v18, v24
	v_cmp_ge_u32_e64 s7, v16, v39
	s_wait_dscnt 0x0
	v_cndmask_b32_e64 v27, v17, v29, s4
	v_cndmask_b32_e64 v28, v30, v17, s4
	s_delay_alu instid0(VALU_DEP_2) | instskip(NEXT) | instid1(VALU_DEP_2)
	v_and_b32_e32 v17, v27, v5
	v_and_b32_e32 v20, v28, v5
	s_delay_alu instid0(VALU_DEP_2) | instskip(NEXT) | instid1(VALU_DEP_2)
	v_bfe_i32 v17, v17, 0, 8
	v_bfe_i32 v20, v20, 0, 8
	s_delay_alu instid0(VALU_DEP_1) | instskip(SKIP_1) | instid1(SALU_CYCLE_1)
	v_cmp_le_i16_e64 s6, v20, v17
	s_and_b32 s5, s5, s6
	s_or_b32 s5, s7, s5
	s_delay_alu instid0(SALU_CYCLE_1) | instskip(SKIP_1) | instid1(VALU_DEP_1)
	v_dual_cndmask_b32 v33, v29, v30, s4 :: v_dual_cndmask_b32 v35, v27, v28, s5
	v_dual_cndmask_b32 v17, v16, v18, s5 :: v_dual_cndmask_b32 v19, v39, v24, s5
	v_add_nc_u32_e32 v20, 1, v17
	s_delay_alu instid0(VALU_DEP_1) | instskip(NEXT) | instid1(VALU_DEP_1)
	v_add_min_u32_e64 v19, v19, -1, v20
	v_add_nc_u32_e32 v19, v12, v19
	ds_load_u8 v19, v19
	s_wait_dscnt 0x0
	v_cndmask_b32_e64 v31, v19, v27, s5
	v_dual_cndmask_b32 v34, v28, v19, s5 :: v_dual_cndmask_b32 v18, v18, v20, s5
	s_delay_alu instid0(VALU_DEP_2) | instskip(NEXT) | instid1(VALU_DEP_2)
	v_dual_cndmask_b32 v16, v20, v16, s5 :: v_dual_bitop2_b32 v19, v31, v5 bitop3:0x40
	v_and_b32_e32 v21, v34, v5
	s_delay_alu instid0(VALU_DEP_3) | instskip(NEXT) | instid1(VALU_DEP_3)
	v_cmp_lt_u32_e64 s6, v18, v24
	v_cmp_ge_u32_e64 s10, v16, v39
	s_delay_alu instid0(VALU_DEP_4) | instskip(NEXT) | instid1(VALU_DEP_4)
	v_bfe_i32 v19, v19, 0, 8
	v_bfe_i32 v21, v21, 0, 8
	s_delay_alu instid0(VALU_DEP_1) | instskip(SKIP_2) | instid1(SALU_CYCLE_1)
	v_cmp_le_i16_e64 s7, v21, v19
	v_lshl_add_u32 v19, v17, 3, v10
	s_and_b32 s6, s6, s7
	s_or_b32 s6, s10, s6
	s_delay_alu instid0(SALU_CYCLE_1) | instskip(SKIP_2) | instid1(VALU_DEP_3)
	v_cndmask_b32_e64 v16, v16, v18, s6
	v_lshl_add_u32 v18, v15, 3, v10
	v_cndmask_b32_e64 v34, v31, v34, s6
	v_lshl_add_u32 v24, v16, 3, v10
	ds_load_b64 v[14:15], v14 offset:1024
	ds_load_b64 v[16:17], v18 offset:1024
	;; [unrolled: 1-line block ×4, first 2 shown]
.LBB400_34:
	s_or_b32 exec_lo, exec_lo, s13
	v_and_b32_e32 v26, 0x70, v0
	s_mov_b32 s4, exec_lo
	; wave barrier
	ds_store_b8 v22, v32
	s_wait_dscnt 0x4
	ds_store_b64 v38, v[14:15]
	v_or_b32_e32 v24, 8, v26
	ds_store_b8 v22, v33 offset:1
	s_wait_dscnt 0x5
	ds_store_b64 v37, v[16:17]
	ds_store_b8 v22, v35 offset:2
	s_wait_dscnt 0x6
	ds_store_b64 v23, v[20:21]
	;; [unrolled: 3-line block ×3, first 2 shown]
	; wave barrier
	v_min_u32_e32 v24, v36, v24
	s_delay_alu instid0(VALU_DEP_1) | instskip(SKIP_1) | instid1(VALU_DEP_2)
	v_dual_sub_nc_u32 v27, v24, v26 :: v_dual_bitop2_b32 v25, 12, v0 bitop3:0x40
	v_add_min_u32_e64 v50, v24, 8, v36
	v_min_u32_e32 v51, v36, v25
	s_delay_alu instid0(VALU_DEP_2) | instskip(NEXT) | instid1(VALU_DEP_2)
	v_sub_nc_u32_e32 v25, v50, v24
	v_min_u32_e32 v39, v51, v27
	s_delay_alu instid0(VALU_DEP_2) | instskip(NEXT) | instid1(VALU_DEP_1)
	v_sub_nc_u32_e64 v52, v51, v25 clamp
	v_cmpx_lt_u32_e64 v52, v39
	s_cbranch_execz .LBB400_38
; %bb.35:
	v_mov_b32_e32 v27, 0
	s_mov_b32 s5, 0
	s_delay_alu instid0(VALU_DEP_1) | instskip(SKIP_1) | instid1(VALU_DEP_2)
	v_mov_b32_e32 v25, v27
	v_add_nc_u64_e32 v[28:29], v[12:13], v[26:27]
	v_add_nc_u64_e32 v[30:31], v[12:13], v[24:25]
.LBB400_36:                             ; =>This Inner Loop Header: Depth=1
	v_add_nc_u32_e32 v25, v39, v52
	s_delay_alu instid0(VALU_DEP_1) | instskip(NEXT) | instid1(VALU_DEP_1)
	v_lshrrev_b32_e32 v25, 1, v25
	v_not_b32_e32 v27, v25
	v_dual_add_nc_u32 v29, v28, v25 :: v_dual_add_nc_u32 v31, 1, v25
	s_delay_alu instid0(VALU_DEP_2)
	v_add3_u32 v27, v51, v27, v30
	ds_load_u8 v29, v29
	ds_load_u8 v27, v27
	s_wait_dscnt 0x1
	v_and_b32_e32 v29, v29, v5
	s_wait_dscnt 0x0
	v_and_b32_e32 v27, v27, v5
	s_delay_alu instid0(VALU_DEP_2) | instskip(NEXT) | instid1(VALU_DEP_2)
	v_bfe_i32 v29, v29, 0, 8
	v_bfe_i32 v27, v27, 0, 8
	s_delay_alu instid0(VALU_DEP_1) | instskip(NEXT) | instid1(VALU_DEP_1)
	v_cmp_gt_i16_e64 s3, v29, v27
	v_cndmask_b32_e64 v52, v31, v52, s3
	v_cndmask_b32_e64 v39, v39, v25, s3
	s_delay_alu instid0(VALU_DEP_1) | instskip(SKIP_1) | instid1(SALU_CYCLE_1)
	v_cmp_ge_u32_e64 s3, v52, v39
	s_or_b32 s5, s3, s5
	s_and_not1_b32 exec_lo, exec_lo, s5
	s_cbranch_execnz .LBB400_36
; %bb.37:
	s_or_b32 exec_lo, exec_lo, s5
.LBB400_38:
	s_delay_alu instid0(SALU_CYCLE_1) | instskip(SKIP_3) | instid1(VALU_DEP_3)
	s_or_b32 exec_lo, exec_lo, s4
	v_dual_add_nc_u32 v39, 3, v22 :: v_dual_add_nc_u32 v25, v24, v51
	v_add_nc_u32_e32 v28, v52, v26
	v_dual_add_nc_u32 v49, 1, v22 :: v_dual_add_nc_u32 v48, 2, v22
	v_sub_nc_u32_e32 v27, v25, v52
	s_delay_alu instid0(VALU_DEP_3) | instskip(NEXT) | instid1(VALU_DEP_2)
	v_cmp_le_u32_e64 s3, v28, v24
	v_cmp_le_u32_e64 s4, v27, v50
	s_or_b32 s3, s3, s4
	s_delay_alu instid0(SALU_CYCLE_1)
	s_and_saveexec_b32 s13, s3
	s_cbranch_execz .LBB400_44
; %bb.39:
	v_cmp_lt_u32_e64 s3, v28, v24
                                        ; implicit-def: $vgpr25
	s_and_saveexec_b32 s4, s3
; %bb.40:
	v_add_nc_u32_e32 v14, v12, v28
	ds_load_u8 v25, v14
; %bb.41:
	s_or_b32 exec_lo, exec_lo, s4
	v_cmp_ge_u32_e64 s4, v27, v50
	s_mov_b32 s6, exec_lo
                                        ; implicit-def: $vgpr26
	v_cmpx_lt_u32_e64 v27, v50
; %bb.42:
	v_add_nc_u32_e32 v14, v12, v27
	ds_load_u8 v26, v14
; %bb.43:
	s_or_b32 exec_lo, exec_lo, s6
	s_wait_dscnt 0x0
	v_and_b32_e32 v14, v26, v5
	v_and_b32_e32 v15, v25, v5
	s_delay_alu instid0(VALU_DEP_2) | instskip(NEXT) | instid1(VALU_DEP_2)
	v_bfe_i32 v14, v14, 0, 8
	v_bfe_i32 v15, v15, 0, 8
	s_delay_alu instid0(VALU_DEP_1) | instskip(SKIP_1) | instid1(SALU_CYCLE_1)
	v_cmp_le_i16_e64 s5, v15, v14
	s_and_b32 s3, s3, s5
	s_or_b32 s3, s4, s3
	s_delay_alu instid0(SALU_CYCLE_1) | instskip(SKIP_1) | instid1(VALU_DEP_2)
	v_cndmask_b32_e64 v14, v27, v28, s3
	v_cndmask_b32_e64 v15, v50, v24, s3
	v_dual_cndmask_b32 v32, v26, v25, s3 :: v_dual_add_nc_u32 v16, 1, v14
	v_lshl_add_u32 v14, v14, 3, v10
	s_delay_alu instid0(VALU_DEP_2) | instskip(SKIP_2) | instid1(VALU_DEP_3)
	v_add_min_u32_e64 v15, v15, -1, v16
	v_cndmask_b32_e64 v18, v28, v16, s3
	v_cndmask_b32_e64 v16, v16, v27, s3
	v_add_nc_u32_e32 v15, v12, v15
	s_delay_alu instid0(VALU_DEP_3) | instskip(NEXT) | instid1(VALU_DEP_3)
	v_cmp_lt_u32_e64 s4, v18, v24
	v_cmp_ge_u32_e64 s6, v16, v50
	ds_load_u8 v15, v15
	s_wait_dscnt 0x0
	v_dual_cndmask_b32 v29, v15, v26, s3 :: v_dual_cndmask_b32 v30, v25, v15, s3
	s_delay_alu instid0(VALU_DEP_1) | instskip(NEXT) | instid1(VALU_DEP_2)
	v_and_b32_e32 v15, v29, v5
	v_and_b32_e32 v17, v30, v5
	s_delay_alu instid0(VALU_DEP_2) | instskip(NEXT) | instid1(VALU_DEP_2)
	v_bfe_i32 v15, v15, 0, 8
	v_bfe_i32 v17, v17, 0, 8
	s_delay_alu instid0(VALU_DEP_1) | instskip(SKIP_1) | instid1(SALU_CYCLE_1)
	v_cmp_le_i16_e64 s5, v17, v15
	s_and_b32 s4, s4, s5
	s_or_b32 s4, s6, s4
	s_delay_alu instid0(SALU_CYCLE_1) | instskip(NEXT) | instid1(VALU_DEP_1)
	v_dual_cndmask_b32 v15, v16, v18, s4 :: v_dual_cndmask_b32 v17, v50, v24, s4
	v_add_nc_u32_e32 v19, 1, v15
	s_delay_alu instid0(VALU_DEP_1) | instskip(NEXT) | instid1(VALU_DEP_1)
	v_add_min_u32_e64 v17, v17, -1, v19
	v_dual_add_nc_u32 v17, v12, v17 :: v_dual_cndmask_b32 v18, v18, v19, s4
	v_cndmask_b32_e64 v16, v19, v16, s4
	ds_load_u8 v17, v17
	v_cmp_lt_u32_e64 s5, v18, v24
	v_cmp_ge_u32_e64 s7, v16, v50
	s_wait_dscnt 0x0
	v_cndmask_b32_e64 v27, v17, v29, s4
	v_cndmask_b32_e64 v28, v30, v17, s4
	s_delay_alu instid0(VALU_DEP_2) | instskip(NEXT) | instid1(VALU_DEP_2)
	v_and_b32_e32 v17, v27, v5
	v_and_b32_e32 v20, v28, v5
	s_delay_alu instid0(VALU_DEP_2) | instskip(NEXT) | instid1(VALU_DEP_2)
	v_bfe_i32 v17, v17, 0, 8
	v_bfe_i32 v20, v20, 0, 8
	s_delay_alu instid0(VALU_DEP_1) | instskip(SKIP_1) | instid1(SALU_CYCLE_1)
	v_cmp_le_i16_e64 s6, v20, v17
	s_and_b32 s5, s5, s6
	s_or_b32 s5, s7, s5
	s_delay_alu instid0(SALU_CYCLE_1) | instskip(SKIP_1) | instid1(VALU_DEP_1)
	v_dual_cndmask_b32 v33, v29, v30, s4 :: v_dual_cndmask_b32 v35, v27, v28, s5
	v_dual_cndmask_b32 v17, v16, v18, s5 :: v_dual_cndmask_b32 v19, v50, v24, s5
	v_add_nc_u32_e32 v20, 1, v17
	s_delay_alu instid0(VALU_DEP_1) | instskip(NEXT) | instid1(VALU_DEP_1)
	v_add_min_u32_e64 v19, v19, -1, v20
	v_dual_add_nc_u32 v19, v12, v19 :: v_dual_cndmask_b32 v18, v18, v20, s5
	v_cndmask_b32_e64 v16, v20, v16, s5
	ds_load_u8 v19, v19
	v_cmp_lt_u32_e64 s6, v18, v24
	v_cmp_ge_u32_e64 s10, v16, v50
	s_wait_dscnt 0x0
	v_cndmask_b32_e64 v31, v19, v27, s5
	s_delay_alu instid0(VALU_DEP_1) | instskip(NEXT) | instid1(VALU_DEP_1)
	v_dual_cndmask_b32 v34, v28, v19, s5 :: v_dual_bitop2_b32 v19, v31, v5 bitop3:0x40
	v_and_b32_e32 v21, v34, v5
	s_delay_alu instid0(VALU_DEP_2) | instskip(NEXT) | instid1(VALU_DEP_2)
	v_bfe_i32 v19, v19, 0, 8
	v_bfe_i32 v21, v21, 0, 8
	s_delay_alu instid0(VALU_DEP_1) | instskip(SKIP_2) | instid1(SALU_CYCLE_1)
	v_cmp_le_i16_e64 s7, v21, v19
	v_lshl_add_u32 v19, v17, 3, v10
	s_and_b32 s6, s6, s7
	s_or_b32 s6, s10, s6
	s_delay_alu instid0(SALU_CYCLE_1) | instskip(SKIP_2) | instid1(VALU_DEP_3)
	v_cndmask_b32_e64 v16, v16, v18, s6
	v_lshl_add_u32 v18, v15, 3, v10
	v_cndmask_b32_e64 v34, v31, v34, s6
	v_lshl_add_u32 v24, v16, 3, v10
	ds_load_b64 v[14:15], v14 offset:1024
	ds_load_b64 v[16:17], v18 offset:1024
	;; [unrolled: 1-line block ×4, first 2 shown]
.LBB400_44:
	s_or_b32 exec_lo, exec_lo, s13
	v_and_b32_e32 v26, 0x60, v0
	s_mov_b32 s4, exec_lo
	; wave barrier
	ds_store_b8 v22, v32
	s_wait_dscnt 0x4
	ds_store_b64 v38, v[14:15]
	v_or_b32_e32 v24, 16, v26
	ds_store_b8 v49, v33
	s_wait_dscnt 0x5
	ds_store_b64 v37, v[16:17]
	ds_store_b8 v48, v35
	s_wait_dscnt 0x6
	ds_store_b64 v23, v[20:21]
	;; [unrolled: 3-line block ×3, first 2 shown]
	; wave barrier
	v_min_u32_e32 v24, v36, v24
	s_delay_alu instid0(VALU_DEP_1) | instskip(SKIP_1) | instid1(VALU_DEP_2)
	v_dual_sub_nc_u32 v27, v24, v26 :: v_dual_bitop2_b32 v25, 28, v0 bitop3:0x40
	v_add_min_u32_e64 v50, v24, 16, v36
	v_min_u32_e32 v51, v36, v25
	s_delay_alu instid0(VALU_DEP_2) | instskip(NEXT) | instid1(VALU_DEP_2)
	v_sub_nc_u32_e32 v25, v50, v24
	v_min_u32_e32 v53, v51, v27
	s_delay_alu instid0(VALU_DEP_2) | instskip(NEXT) | instid1(VALU_DEP_1)
	v_sub_nc_u32_e64 v52, v51, v25 clamp
	v_cmpx_lt_u32_e64 v52, v53
	s_cbranch_execz .LBB400_48
; %bb.45:
	v_mov_b32_e32 v27, 0
	s_mov_b32 s5, 0
	s_delay_alu instid0(VALU_DEP_1) | instskip(SKIP_1) | instid1(VALU_DEP_2)
	v_mov_b32_e32 v25, v27
	v_add_nc_u64_e32 v[28:29], v[12:13], v[26:27]
	v_add_nc_u64_e32 v[30:31], v[12:13], v[24:25]
.LBB400_46:                             ; =>This Inner Loop Header: Depth=1
	v_add_nc_u32_e32 v25, v53, v52
	s_delay_alu instid0(VALU_DEP_1) | instskip(NEXT) | instid1(VALU_DEP_1)
	v_lshrrev_b32_e32 v25, 1, v25
	v_not_b32_e32 v27, v25
	v_dual_add_nc_u32 v29, v28, v25 :: v_dual_add_nc_u32 v31, 1, v25
	s_delay_alu instid0(VALU_DEP_2)
	v_add3_u32 v27, v51, v27, v30
	ds_load_u8 v29, v29
	ds_load_u8 v27, v27
	s_wait_dscnt 0x1
	v_and_b32_e32 v29, v29, v5
	s_wait_dscnt 0x0
	v_and_b32_e32 v27, v27, v5
	s_delay_alu instid0(VALU_DEP_2) | instskip(NEXT) | instid1(VALU_DEP_2)
	v_bfe_i32 v29, v29, 0, 8
	v_bfe_i32 v27, v27, 0, 8
	s_delay_alu instid0(VALU_DEP_1) | instskip(NEXT) | instid1(VALU_DEP_1)
	v_cmp_gt_i16_e64 s3, v29, v27
	v_dual_cndmask_b32 v52, v31, v52, s3 :: v_dual_cndmask_b32 v53, v53, v25, s3
	s_delay_alu instid0(VALU_DEP_1) | instskip(SKIP_1) | instid1(SALU_CYCLE_1)
	v_cmp_ge_u32_e64 s3, v52, v53
	s_or_b32 s5, s3, s5
	s_and_not1_b32 exec_lo, exec_lo, s5
	s_cbranch_execnz .LBB400_46
; %bb.47:
	s_or_b32 exec_lo, exec_lo, s5
.LBB400_48:
	s_delay_alu instid0(SALU_CYCLE_1) | instskip(SKIP_1) | instid1(VALU_DEP_1)
	s_or_b32 exec_lo, exec_lo, s4
	v_add_nc_u32_e32 v25, v24, v51
	v_dual_add_nc_u32 v28, v52, v26 :: v_dual_sub_nc_u32 v27, v25, v52
	s_delay_alu instid0(VALU_DEP_1) | instskip(NEXT) | instid1(VALU_DEP_2)
	v_cmp_le_u32_e64 s3, v28, v24
	v_cmp_le_u32_e64 s4, v27, v50
	s_or_b32 s3, s3, s4
	s_delay_alu instid0(SALU_CYCLE_1)
	s_and_saveexec_b32 s13, s3
	s_cbranch_execz .LBB400_54
; %bb.49:
	v_cmp_lt_u32_e64 s3, v28, v24
                                        ; implicit-def: $vgpr25
	s_and_saveexec_b32 s4, s3
; %bb.50:
	v_add_nc_u32_e32 v14, v12, v28
	ds_load_u8 v25, v14
; %bb.51:
	s_or_b32 exec_lo, exec_lo, s4
	v_cmp_ge_u32_e64 s4, v27, v50
	s_mov_b32 s6, exec_lo
                                        ; implicit-def: $vgpr26
	v_cmpx_lt_u32_e64 v27, v50
; %bb.52:
	v_add_nc_u32_e32 v14, v12, v27
	ds_load_u8 v26, v14
; %bb.53:
	s_or_b32 exec_lo, exec_lo, s6
	s_wait_dscnt 0x0
	v_and_b32_e32 v14, v26, v5
	v_and_b32_e32 v15, v25, v5
	s_delay_alu instid0(VALU_DEP_2) | instskip(NEXT) | instid1(VALU_DEP_2)
	v_bfe_i32 v14, v14, 0, 8
	v_bfe_i32 v15, v15, 0, 8
	s_delay_alu instid0(VALU_DEP_1) | instskip(SKIP_1) | instid1(SALU_CYCLE_1)
	v_cmp_le_i16_e64 s5, v15, v14
	s_and_b32 s3, s3, s5
	s_or_b32 s3, s4, s3
	s_delay_alu instid0(SALU_CYCLE_1) | instskip(SKIP_1) | instid1(VALU_DEP_2)
	v_cndmask_b32_e64 v14, v27, v28, s3
	v_cndmask_b32_e64 v15, v50, v24, s3
	v_dual_cndmask_b32 v32, v26, v25, s3 :: v_dual_add_nc_u32 v16, 1, v14
	v_lshl_add_u32 v14, v14, 3, v10
	s_delay_alu instid0(VALU_DEP_2) | instskip(SKIP_2) | instid1(VALU_DEP_3)
	v_add_min_u32_e64 v15, v15, -1, v16
	v_cndmask_b32_e64 v18, v28, v16, s3
	v_cndmask_b32_e64 v16, v16, v27, s3
	v_add_nc_u32_e32 v15, v12, v15
	s_delay_alu instid0(VALU_DEP_3) | instskip(NEXT) | instid1(VALU_DEP_3)
	v_cmp_lt_u32_e64 s4, v18, v24
	v_cmp_ge_u32_e64 s6, v16, v50
	ds_load_u8 v15, v15
	s_wait_dscnt 0x0
	v_dual_cndmask_b32 v29, v15, v26, s3 :: v_dual_cndmask_b32 v30, v25, v15, s3
	s_delay_alu instid0(VALU_DEP_1) | instskip(NEXT) | instid1(VALU_DEP_2)
	v_and_b32_e32 v15, v29, v5
	v_and_b32_e32 v17, v30, v5
	s_delay_alu instid0(VALU_DEP_2) | instskip(NEXT) | instid1(VALU_DEP_2)
	v_bfe_i32 v15, v15, 0, 8
	v_bfe_i32 v17, v17, 0, 8
	s_delay_alu instid0(VALU_DEP_1) | instskip(SKIP_1) | instid1(SALU_CYCLE_1)
	v_cmp_le_i16_e64 s5, v17, v15
	s_and_b32 s4, s4, s5
	s_or_b32 s4, s6, s4
	s_delay_alu instid0(SALU_CYCLE_1) | instskip(NEXT) | instid1(VALU_DEP_1)
	v_dual_cndmask_b32 v15, v16, v18, s4 :: v_dual_cndmask_b32 v17, v50, v24, s4
	v_add_nc_u32_e32 v19, 1, v15
	s_delay_alu instid0(VALU_DEP_1) | instskip(NEXT) | instid1(VALU_DEP_1)
	v_add_min_u32_e64 v17, v17, -1, v19
	v_dual_add_nc_u32 v17, v12, v17 :: v_dual_cndmask_b32 v18, v18, v19, s4
	v_cndmask_b32_e64 v16, v19, v16, s4
	ds_load_u8 v17, v17
	v_cmp_lt_u32_e64 s5, v18, v24
	v_cmp_ge_u32_e64 s7, v16, v50
	s_wait_dscnt 0x0
	v_cndmask_b32_e64 v27, v17, v29, s4
	v_cndmask_b32_e64 v28, v30, v17, s4
	s_delay_alu instid0(VALU_DEP_2) | instskip(NEXT) | instid1(VALU_DEP_2)
	v_and_b32_e32 v17, v27, v5
	v_and_b32_e32 v20, v28, v5
	s_delay_alu instid0(VALU_DEP_2) | instskip(NEXT) | instid1(VALU_DEP_2)
	v_bfe_i32 v17, v17, 0, 8
	v_bfe_i32 v20, v20, 0, 8
	s_delay_alu instid0(VALU_DEP_1) | instskip(SKIP_1) | instid1(SALU_CYCLE_1)
	v_cmp_le_i16_e64 s6, v20, v17
	s_and_b32 s5, s5, s6
	s_or_b32 s5, s7, s5
	s_delay_alu instid0(SALU_CYCLE_1) | instskip(SKIP_1) | instid1(VALU_DEP_1)
	v_dual_cndmask_b32 v33, v29, v30, s4 :: v_dual_cndmask_b32 v35, v27, v28, s5
	v_dual_cndmask_b32 v17, v16, v18, s5 :: v_dual_cndmask_b32 v19, v50, v24, s5
	v_add_nc_u32_e32 v20, 1, v17
	s_delay_alu instid0(VALU_DEP_1) | instskip(NEXT) | instid1(VALU_DEP_1)
	v_add_min_u32_e64 v19, v19, -1, v20
	v_dual_add_nc_u32 v19, v12, v19 :: v_dual_cndmask_b32 v18, v18, v20, s5
	v_cndmask_b32_e64 v16, v20, v16, s5
	ds_load_u8 v19, v19
	v_cmp_lt_u32_e64 s6, v18, v24
	v_cmp_ge_u32_e64 s10, v16, v50
	s_wait_dscnt 0x0
	v_cndmask_b32_e64 v31, v19, v27, s5
	s_delay_alu instid0(VALU_DEP_1) | instskip(NEXT) | instid1(VALU_DEP_1)
	v_dual_cndmask_b32 v34, v28, v19, s5 :: v_dual_bitop2_b32 v19, v31, v5 bitop3:0x40
	v_and_b32_e32 v21, v34, v5
	s_delay_alu instid0(VALU_DEP_2) | instskip(NEXT) | instid1(VALU_DEP_2)
	v_bfe_i32 v19, v19, 0, 8
	v_bfe_i32 v21, v21, 0, 8
	s_delay_alu instid0(VALU_DEP_1) | instskip(SKIP_2) | instid1(SALU_CYCLE_1)
	v_cmp_le_i16_e64 s7, v21, v19
	v_lshl_add_u32 v19, v17, 3, v10
	s_and_b32 s6, s6, s7
	s_or_b32 s6, s10, s6
	s_delay_alu instid0(SALU_CYCLE_1) | instskip(SKIP_2) | instid1(VALU_DEP_3)
	v_cndmask_b32_e64 v16, v16, v18, s6
	v_lshl_add_u32 v18, v15, 3, v10
	v_cndmask_b32_e64 v34, v31, v34, s6
	v_lshl_add_u32 v24, v16, 3, v10
	ds_load_b64 v[14:15], v14 offset:1024
	ds_load_b64 v[16:17], v18 offset:1024
	;; [unrolled: 1-line block ×4, first 2 shown]
.LBB400_54:
	s_or_b32 exec_lo, exec_lo, s13
	v_and_b32_e32 v26, 64, v0
	s_mov_b32 s4, exec_lo
	; wave barrier
	ds_store_b8 v22, v32
	s_wait_dscnt 0x4
	ds_store_b64 v38, v[14:15]
	v_or_b32_e32 v24, 32, v26
	ds_store_b8 v49, v33
	s_wait_dscnt 0x5
	ds_store_b64 v37, v[16:17]
	ds_store_b8 v48, v35
	s_wait_dscnt 0x6
	ds_store_b64 v23, v[20:21]
	;; [unrolled: 3-line block ×3, first 2 shown]
	; wave barrier
	v_min_u32_e32 v24, v36, v24
	s_delay_alu instid0(VALU_DEP_1) | instskip(SKIP_1) | instid1(VALU_DEP_2)
	v_dual_sub_nc_u32 v27, v24, v26 :: v_dual_bitop2_b32 v25, 60, v0 bitop3:0x40
	v_add_min_u32_e64 v50, v24, 32, v36
	v_min_u32_e32 v51, v36, v25
	s_delay_alu instid0(VALU_DEP_2) | instskip(NEXT) | instid1(VALU_DEP_2)
	v_sub_nc_u32_e32 v25, v50, v24
	v_min_u32_e32 v53, v51, v27
	s_delay_alu instid0(VALU_DEP_2) | instskip(NEXT) | instid1(VALU_DEP_1)
	v_sub_nc_u32_e64 v52, v51, v25 clamp
	v_cmpx_lt_u32_e64 v52, v53
	s_cbranch_execz .LBB400_58
; %bb.55:
	v_mov_b32_e32 v27, 0
	s_mov_b32 s5, 0
	s_delay_alu instid0(VALU_DEP_1) | instskip(SKIP_1) | instid1(VALU_DEP_2)
	v_mov_b32_e32 v25, v27
	v_add_nc_u64_e32 v[28:29], v[12:13], v[26:27]
	v_add_nc_u64_e32 v[30:31], v[12:13], v[24:25]
.LBB400_56:                             ; =>This Inner Loop Header: Depth=1
	v_add_nc_u32_e32 v25, v53, v52
	s_delay_alu instid0(VALU_DEP_1) | instskip(NEXT) | instid1(VALU_DEP_1)
	v_lshrrev_b32_e32 v25, 1, v25
	v_not_b32_e32 v27, v25
	v_dual_add_nc_u32 v29, v28, v25 :: v_dual_add_nc_u32 v31, 1, v25
	s_delay_alu instid0(VALU_DEP_2)
	v_add3_u32 v27, v51, v27, v30
	ds_load_u8 v29, v29
	ds_load_u8 v27, v27
	s_wait_dscnt 0x1
	v_and_b32_e32 v29, v29, v5
	s_wait_dscnt 0x0
	v_and_b32_e32 v27, v27, v5
	s_delay_alu instid0(VALU_DEP_2) | instskip(NEXT) | instid1(VALU_DEP_2)
	v_bfe_i32 v29, v29, 0, 8
	v_bfe_i32 v27, v27, 0, 8
	s_delay_alu instid0(VALU_DEP_1) | instskip(NEXT) | instid1(VALU_DEP_1)
	v_cmp_gt_i16_e64 s3, v29, v27
	v_dual_cndmask_b32 v52, v31, v52, s3 :: v_dual_cndmask_b32 v53, v53, v25, s3
	s_delay_alu instid0(VALU_DEP_1) | instskip(SKIP_1) | instid1(SALU_CYCLE_1)
	v_cmp_ge_u32_e64 s3, v52, v53
	s_or_b32 s5, s3, s5
	s_and_not1_b32 exec_lo, exec_lo, s5
	s_cbranch_execnz .LBB400_56
; %bb.57:
	s_or_b32 exec_lo, exec_lo, s5
.LBB400_58:
	s_delay_alu instid0(SALU_CYCLE_1) | instskip(SKIP_1) | instid1(VALU_DEP_1)
	s_or_b32 exec_lo, exec_lo, s4
	v_add_nc_u32_e32 v25, v24, v51
	v_dual_add_nc_u32 v28, v52, v26 :: v_dual_sub_nc_u32 v27, v25, v52
	s_delay_alu instid0(VALU_DEP_1) | instskip(NEXT) | instid1(VALU_DEP_2)
	v_cmp_le_u32_e64 s3, v28, v24
	v_cmp_le_u32_e64 s4, v27, v50
	s_or_b32 s3, s3, s4
	s_delay_alu instid0(SALU_CYCLE_1)
	s_and_saveexec_b32 s13, s3
	s_cbranch_execz .LBB400_64
; %bb.59:
	v_cmp_lt_u32_e64 s3, v28, v24
                                        ; implicit-def: $vgpr25
	s_and_saveexec_b32 s4, s3
; %bb.60:
	v_add_nc_u32_e32 v14, v12, v28
	ds_load_u8 v25, v14
; %bb.61:
	s_or_b32 exec_lo, exec_lo, s4
	v_cmp_ge_u32_e64 s4, v27, v50
	s_mov_b32 s6, exec_lo
                                        ; implicit-def: $vgpr26
	v_cmpx_lt_u32_e64 v27, v50
; %bb.62:
	v_add_nc_u32_e32 v14, v12, v27
	ds_load_u8 v26, v14
; %bb.63:
	s_or_b32 exec_lo, exec_lo, s6
	s_wait_dscnt 0x0
	v_and_b32_e32 v14, v26, v5
	v_and_b32_e32 v15, v25, v5
	s_delay_alu instid0(VALU_DEP_2) | instskip(NEXT) | instid1(VALU_DEP_2)
	v_bfe_i32 v14, v14, 0, 8
	v_bfe_i32 v15, v15, 0, 8
	s_delay_alu instid0(VALU_DEP_1) | instskip(SKIP_1) | instid1(SALU_CYCLE_1)
	v_cmp_le_i16_e64 s5, v15, v14
	s_and_b32 s3, s3, s5
	s_or_b32 s3, s4, s3
	s_delay_alu instid0(SALU_CYCLE_1) | instskip(SKIP_1) | instid1(VALU_DEP_2)
	v_cndmask_b32_e64 v14, v27, v28, s3
	v_cndmask_b32_e64 v15, v50, v24, s3
	v_dual_cndmask_b32 v32, v26, v25, s3 :: v_dual_add_nc_u32 v16, 1, v14
	v_lshl_add_u32 v14, v14, 3, v10
	s_delay_alu instid0(VALU_DEP_2) | instskip(SKIP_2) | instid1(VALU_DEP_3)
	v_add_min_u32_e64 v15, v15, -1, v16
	v_cndmask_b32_e64 v18, v28, v16, s3
	v_cndmask_b32_e64 v16, v16, v27, s3
	v_add_nc_u32_e32 v15, v12, v15
	s_delay_alu instid0(VALU_DEP_3) | instskip(NEXT) | instid1(VALU_DEP_3)
	v_cmp_lt_u32_e64 s4, v18, v24
	v_cmp_ge_u32_e64 s6, v16, v50
	ds_load_u8 v15, v15
	s_wait_dscnt 0x0
	v_dual_cndmask_b32 v29, v15, v26, s3 :: v_dual_cndmask_b32 v30, v25, v15, s3
	s_delay_alu instid0(VALU_DEP_1) | instskip(NEXT) | instid1(VALU_DEP_2)
	v_and_b32_e32 v15, v29, v5
	v_and_b32_e32 v17, v30, v5
	s_delay_alu instid0(VALU_DEP_2) | instskip(NEXT) | instid1(VALU_DEP_2)
	v_bfe_i32 v15, v15, 0, 8
	v_bfe_i32 v17, v17, 0, 8
	s_delay_alu instid0(VALU_DEP_1) | instskip(SKIP_1) | instid1(SALU_CYCLE_1)
	v_cmp_le_i16_e64 s5, v17, v15
	s_and_b32 s4, s4, s5
	s_or_b32 s4, s6, s4
	s_delay_alu instid0(SALU_CYCLE_1) | instskip(NEXT) | instid1(VALU_DEP_1)
	v_dual_cndmask_b32 v15, v16, v18, s4 :: v_dual_cndmask_b32 v17, v50, v24, s4
	v_add_nc_u32_e32 v19, 1, v15
	s_delay_alu instid0(VALU_DEP_1) | instskip(NEXT) | instid1(VALU_DEP_1)
	v_add_min_u32_e64 v17, v17, -1, v19
	v_dual_add_nc_u32 v17, v12, v17 :: v_dual_cndmask_b32 v18, v18, v19, s4
	v_cndmask_b32_e64 v16, v19, v16, s4
	ds_load_u8 v17, v17
	v_cmp_lt_u32_e64 s5, v18, v24
	v_cmp_ge_u32_e64 s7, v16, v50
	s_wait_dscnt 0x0
	v_cndmask_b32_e64 v27, v17, v29, s4
	v_cndmask_b32_e64 v28, v30, v17, s4
	s_delay_alu instid0(VALU_DEP_2) | instskip(NEXT) | instid1(VALU_DEP_2)
	v_and_b32_e32 v17, v27, v5
	v_and_b32_e32 v20, v28, v5
	s_delay_alu instid0(VALU_DEP_2) | instskip(NEXT) | instid1(VALU_DEP_2)
	v_bfe_i32 v17, v17, 0, 8
	v_bfe_i32 v20, v20, 0, 8
	s_delay_alu instid0(VALU_DEP_1) | instskip(SKIP_1) | instid1(SALU_CYCLE_1)
	v_cmp_le_i16_e64 s6, v20, v17
	s_and_b32 s5, s5, s6
	s_or_b32 s5, s7, s5
	s_delay_alu instid0(SALU_CYCLE_1) | instskip(SKIP_1) | instid1(VALU_DEP_1)
	v_dual_cndmask_b32 v33, v29, v30, s4 :: v_dual_cndmask_b32 v35, v27, v28, s5
	v_dual_cndmask_b32 v17, v16, v18, s5 :: v_dual_cndmask_b32 v19, v50, v24, s5
	v_add_nc_u32_e32 v20, 1, v17
	s_delay_alu instid0(VALU_DEP_1) | instskip(NEXT) | instid1(VALU_DEP_1)
	v_add_min_u32_e64 v19, v19, -1, v20
	v_dual_add_nc_u32 v19, v12, v19 :: v_dual_cndmask_b32 v18, v18, v20, s5
	v_cndmask_b32_e64 v16, v20, v16, s5
	ds_load_u8 v19, v19
	v_cmp_lt_u32_e64 s6, v18, v24
	v_cmp_ge_u32_e64 s10, v16, v50
	s_wait_dscnt 0x0
	v_cndmask_b32_e64 v31, v19, v27, s5
	s_delay_alu instid0(VALU_DEP_1) | instskip(NEXT) | instid1(VALU_DEP_1)
	v_dual_cndmask_b32 v34, v28, v19, s5 :: v_dual_bitop2_b32 v19, v31, v5 bitop3:0x40
	v_and_b32_e32 v21, v34, v5
	s_delay_alu instid0(VALU_DEP_2) | instskip(NEXT) | instid1(VALU_DEP_2)
	v_bfe_i32 v19, v19, 0, 8
	v_bfe_i32 v21, v21, 0, 8
	s_delay_alu instid0(VALU_DEP_1) | instskip(SKIP_2) | instid1(SALU_CYCLE_1)
	v_cmp_le_i16_e64 s7, v21, v19
	v_lshl_add_u32 v19, v17, 3, v10
	s_and_b32 s6, s6, s7
	s_or_b32 s6, s10, s6
	s_delay_alu instid0(SALU_CYCLE_1) | instskip(SKIP_2) | instid1(VALU_DEP_3)
	v_cndmask_b32_e64 v16, v16, v18, s6
	v_lshl_add_u32 v18, v15, 3, v10
	v_cndmask_b32_e64 v34, v31, v34, s6
	v_lshl_add_u32 v24, v16, 3, v10
	ds_load_b64 v[14:15], v14 offset:1024
	ds_load_b64 v[16:17], v18 offset:1024
	;; [unrolled: 1-line block ×4, first 2 shown]
.LBB400_64:
	s_or_b32 exec_lo, exec_lo, s13
	v_min_u32_e32 v24, 64, v36
	v_min_u32_e32 v28, v36, v0
	s_mov_b32 s4, exec_lo
	; wave barrier
	s_delay_alu instid0(VALU_DEP_2) | instskip(NEXT) | instid1(VALU_DEP_2)
	v_add_min_u32_e64 v26, v24, 64, v36
	v_min_u32_e32 v29, v28, v24
	ds_store_b8 v22, v32
	s_wait_dscnt 0x4
	ds_store_b64 v38, v[14:15]
	ds_store_b8 v49, v33
	s_wait_dscnt 0x5
	ds_store_b64 v37, v[16:17]
	;; [unrolled: 3-line block ×4, first 2 shown]
	v_sub_nc_u32_e32 v25, v26, v24
	; wave barrier
	s_delay_alu instid0(VALU_DEP_1) | instskip(NEXT) | instid1(VALU_DEP_1)
	v_sub_nc_u32_e64 v27, v28, v25 clamp
	v_cmpx_lt_u32_e64 v27, v29
	s_cbranch_execz .LBB400_68
; %bb.65:
	v_mov_b32_e32 v25, 0
	s_mov_b32 s5, 0
	s_delay_alu instid0(VALU_DEP_1)
	v_add_nc_u64_e32 v[22:23], v[12:13], v[24:25]
.LBB400_66:                             ; =>This Inner Loop Header: Depth=1
	v_add_nc_u32_e32 v11, v29, v27
	s_delay_alu instid0(VALU_DEP_1) | instskip(NEXT) | instid1(VALU_DEP_1)
	v_lshrrev_b32_e32 v11, 1, v11
	v_not_b32_e32 v13, v11
	v_add_nc_u32_e32 v23, v12, v11
	s_delay_alu instid0(VALU_DEP_2)
	v_add3_u32 v13, v28, v13, v22
	ds_load_u8 v23, v23
	ds_load_u8 v13, v13
	s_wait_dscnt 0x1
	v_and_b32_e32 v23, v23, v5
	s_wait_dscnt 0x0
	v_dual_add_nc_u32 v25, 1, v11 :: v_dual_bitop2_b32 v13, v13, v5 bitop3:0x40
	s_delay_alu instid0(VALU_DEP_2) | instskip(NEXT) | instid1(VALU_DEP_2)
	v_bfe_i32 v23, v23, 0, 8
	v_bfe_i32 v13, v13, 0, 8
	s_delay_alu instid0(VALU_DEP_1) | instskip(NEXT) | instid1(VALU_DEP_1)
	v_cmp_gt_i16_e64 s3, v23, v13
	v_cndmask_b32_e64 v29, v29, v11, s3
	v_cndmask_b32_e64 v27, v25, v27, s3
	s_delay_alu instid0(VALU_DEP_1) | instskip(SKIP_1) | instid1(SALU_CYCLE_1)
	v_cmp_ge_u32_e64 s3, v27, v29
	s_or_b32 s5, s3, s5
	s_and_not1_b32 exec_lo, exec_lo, s5
	s_cbranch_execnz .LBB400_66
; %bb.67:
	s_or_b32 exec_lo, exec_lo, s5
.LBB400_68:
	s_delay_alu instid0(SALU_CYCLE_1) | instskip(SKIP_2) | instid1(VALU_DEP_2)
	s_or_b32 exec_lo, exec_lo, s4
	v_add_nc_u32_e32 v11, v24, v28
	v_cmp_le_u32_e64 s3, v27, v24
	v_sub_nc_u32_e32 v22, v11, v27
	s_delay_alu instid0(VALU_DEP_1) | instskip(SKIP_1) | instid1(SALU_CYCLE_1)
	v_cmp_le_u32_e64 s4, v22, v26
	s_or_b32 s3, s3, s4
	s_and_saveexec_b32 s13, s3
	s_cbranch_execz .LBB400_74
; %bb.69:
	v_cmp_lt_u32_e64 s3, v27, v24
                                        ; implicit-def: $vgpr11
	s_and_saveexec_b32 s4, s3
; %bb.70:
	v_add_nc_u32_e32 v11, v12, v27
	ds_load_u8 v11, v11
; %bb.71:
	s_or_b32 exec_lo, exec_lo, s4
	v_cmp_ge_u32_e64 s4, v22, v26
	s_mov_b32 s6, exec_lo
                                        ; implicit-def: $vgpr13
	v_cmpx_lt_u32_e64 v22, v26
; %bb.72:
	v_add_nc_u32_e32 v13, v12, v22
	ds_load_u8 v13, v13
; %bb.73:
	s_or_b32 exec_lo, exec_lo, s6
	s_wait_dscnt 0x0
	v_and_b32_e32 v14, v13, v5
	v_and_b32_e32 v15, v11, v5
	s_delay_alu instid0(VALU_DEP_2) | instskip(NEXT) | instid1(VALU_DEP_2)
	v_bfe_i32 v14, v14, 0, 8
	v_bfe_i32 v15, v15, 0, 8
	s_delay_alu instid0(VALU_DEP_1) | instskip(SKIP_1) | instid1(SALU_CYCLE_1)
	v_cmp_le_i16_e64 s5, v15, v14
	s_and_b32 s3, s3, s5
	s_or_b32 s3, s4, s3
	s_delay_alu instid0(SALU_CYCLE_1) | instskip(SKIP_1) | instid1(VALU_DEP_2)
	v_cndmask_b32_e64 v14, v22, v27, s3
	v_dual_cndmask_b32 v15, v26, v24, s3 :: v_dual_cndmask_b32 v32, v13, v11, s3
	v_add_nc_u32_e32 v16, 1, v14
	v_lshl_add_u32 v14, v14, 3, v10
	s_delay_alu instid0(VALU_DEP_2) | instskip(NEXT) | instid1(VALU_DEP_1)
	v_add_min_u32_e64 v15, v15, -1, v16
	v_dual_add_nc_u32 v15, v12, v15 :: v_dual_cndmask_b32 v18, v27, v16, s3
	v_cndmask_b32_e64 v16, v16, v22, s3
	ds_load_u8 v15, v15
	v_cmp_lt_u32_e64 s4, v18, v24
	v_cmp_ge_u32_e64 s6, v16, v26
	s_wait_dscnt 0x0
	v_cndmask_b32_e64 v23, v15, v13, s3
	v_cndmask_b32_e64 v25, v11, v15, s3
	s_delay_alu instid0(VALU_DEP_2) | instskip(NEXT) | instid1(VALU_DEP_2)
	v_and_b32_e32 v15, v23, v5
	v_and_b32_e32 v17, v25, v5
	s_delay_alu instid0(VALU_DEP_2) | instskip(NEXT) | instid1(VALU_DEP_2)
	v_bfe_i32 v15, v15, 0, 8
	v_bfe_i32 v17, v17, 0, 8
	s_delay_alu instid0(VALU_DEP_1) | instskip(SKIP_1) | instid1(SALU_CYCLE_1)
	v_cmp_le_i16_e64 s5, v17, v15
	s_and_b32 s4, s4, s5
	s_or_b32 s4, s6, s4
	s_delay_alu instid0(SALU_CYCLE_1) | instskip(NEXT) | instid1(VALU_DEP_1)
	v_dual_cndmask_b32 v15, v16, v18, s4 :: v_dual_cndmask_b32 v17, v26, v24, s4
	v_dual_cndmask_b32 v33, v23, v25, s4 :: v_dual_add_nc_u32 v19, 1, v15
	s_delay_alu instid0(VALU_DEP_1) | instskip(NEXT) | instid1(VALU_DEP_1)
	v_add_min_u32_e64 v17, v17, -1, v19
	v_dual_cndmask_b32 v16, v19, v16, s4 :: v_dual_add_nc_u32 v17, v12, v17
	v_cndmask_b32_e64 v18, v18, v19, s4
	s_delay_alu instid0(VALU_DEP_2) | instskip(SKIP_4) | instid1(VALU_DEP_1)
	v_cmp_ge_u32_e64 s7, v16, v26
	ds_load_u8 v17, v17
	v_cmp_lt_u32_e64 s5, v18, v24
	s_wait_dscnt 0x0
	v_cndmask_b32_e64 v27, v25, v17, s4
	v_dual_cndmask_b32 v22, v17, v23, s4 :: v_dual_bitop2_b32 v20, v27, v5 bitop3:0x40
	s_delay_alu instid0(VALU_DEP_1) | instskip(NEXT) | instid1(VALU_DEP_2)
	v_and_b32_e32 v17, v22, v5
	v_bfe_i32 v20, v20, 0, 8
	s_delay_alu instid0(VALU_DEP_2) | instskip(NEXT) | instid1(VALU_DEP_1)
	v_bfe_i32 v17, v17, 0, 8
	v_cmp_le_i16_e64 s6, v20, v17
	s_and_b32 s5, s5, s6
	s_delay_alu instid0(SALU_CYCLE_1) | instskip(NEXT) | instid1(SALU_CYCLE_1)
	s_or_b32 s5, s7, s5
	v_dual_cndmask_b32 v17, v16, v18, s5 :: v_dual_cndmask_b32 v19, v26, v24, s5
	s_delay_alu instid0(VALU_DEP_1) | instskip(NEXT) | instid1(VALU_DEP_1)
	v_dual_cndmask_b32 v35, v22, v27, s5 :: v_dual_add_nc_u32 v20, 1, v17
	v_add_min_u32_e64 v19, v19, -1, v20
	s_delay_alu instid0(VALU_DEP_1)
	v_dual_add_nc_u32 v12, v12, v19 :: v_dual_cndmask_b32 v18, v18, v20, s5
	v_cndmask_b32_e64 v16, v20, v16, s5
	ds_load_u8 v12, v12
	v_cmp_lt_u32_e64 s6, v18, v24
	v_cmp_ge_u32_e64 s10, v16, v26
	s_wait_dscnt 0x0
	v_dual_cndmask_b32 v28, v12, v22, s5 :: v_dual_cndmask_b32 v12, v27, v12, s5
	s_delay_alu instid0(VALU_DEP_1) | instskip(NEXT) | instid1(VALU_DEP_2)
	v_and_b32_e32 v19, v28, v5
	v_and_b32_e32 v5, v12, v5
	s_delay_alu instid0(VALU_DEP_2) | instskip(NEXT) | instid1(VALU_DEP_2)
	v_bfe_i32 v19, v19, 0, 8
	v_bfe_i32 v5, v5, 0, 8
	s_delay_alu instid0(VALU_DEP_1) | instskip(SKIP_1) | instid1(SALU_CYCLE_1)
	v_cmp_le_i16_e64 s7, v5, v19
	s_and_b32 s6, s6, s7
	s_or_b32 s6, s10, s6
	s_delay_alu instid0(SALU_CYCLE_1) | instskip(SKIP_3) | instid1(VALU_DEP_4)
	v_cndmask_b32_e64 v5, v16, v18, s6
	v_lshl_add_u32 v16, v15, 3, v10
	v_lshl_add_u32 v18, v17, 3, v10
	v_cndmask_b32_e64 v34, v28, v12, s6
	v_lshl_add_u32 v5, v5, 3, v10
	ds_load_b64 v[14:15], v14 offset:1024
	ds_load_b64 v[16:17], v16 offset:1024
	;; [unrolled: 1-line block ×4, first 2 shown]
.LBB400_74:
	s_or_b32 exec_lo, exec_lo, s13
	; wave barrier
	s_wait_storecnt_dscnt 0x0
	s_barrier_signal -1
	s_barrier_wait -1
                                        ; implicit-def: $vgpr12_vgpr13
                                        ; implicit-def: $vgpr22
                                        ; implicit-def: $vgpr23
                                        ; implicit-def: $vgpr5
.LBB400_75:
	s_and_not1_saveexec_b32 s10, s12
	s_cbranch_execz .LBB400_137
; %bb.76:
	s_load_b64 s[4:5], s[8:9], 0x0
	s_bfe_u32 s6, ttmp6, 0x4000c
	s_bfe_u32 s12, ttmp6, 0x40010
	s_and_b32 s7, ttmp7, 0xffff
	s_add_co_i32 s6, s6, 1
	s_add_co_i32 s12, s12, 1
	s_and_b32 s3, ttmp6, 15
	s_bfe_u32 s13, ttmp6, 0x40004
	s_mul_i32 s6, ttmp9, s6
	s_mul_i32 s12, s7, s12
	s_add_co_i32 s3, s3, s6
	s_add_co_i32 s13, s13, s12
	s_cmp_eq_u32 s11, 0
	s_cselect_b32 s3, ttmp9, s3
	s_cselect_b32 s6, s7, s13
	s_wait_kmcnt 0x0
	s_cmp_lt_u32 s3, s4
	s_cselect_b32 s4, 12, 18
	s_cmp_lt_u32 s6, s5
	s_mov_b32 s5, 0
	s_cselect_b32 s6, 14, 20
	s_mov_b32 s7, s5
	s_add_nc_u64 s[4:5], s[8:9], s[4:5]
	s_add_nc_u64 s[6:7], s[8:9], s[6:7]
	s_clause 0x1
	s_load_u16 s4, s[4:5], 0x0
	s_nop 0
	s_load_u16 s3, s[6:7], 0x0
	s_wait_xcnt 0x0
	s_mov_b32 s6, exec_lo
	s_wait_kmcnt 0x0
	v_mad_u32_u24 v10, v23, s3, v22
	s_delay_alu instid0(VALU_DEP_1) | instskip(NEXT) | instid1(VALU_DEP_1)
	v_mul_lo_u32 v10, v10, s4
	v_add_lshl_u32 v5, v10, v5, 2
	s_delay_alu instid0(VALU_DEP_1)
	v_cmpx_gt_u32_e32 0x400, v5
	s_cbranch_execz .LBB400_86
; %bb.77:
	s_wait_loadcnt_dscnt 0x0
	v_perm_b32 v10, v35, v34, 0xc0c0004
	v_perm_b32 v11, v33, v32, 0xc0c0004
	;; [unrolled: 1-line block ×3, first 2 shown]
	v_bfe_i32 v23, v32, 0, 8
	v_bfe_i32 v24, v33, 0, 8
	v_lshlrev_b32_e32 v10, 16, v10
	s_mov_b32 s5, exec_lo
	s_delay_alu instid0(VALU_DEP_2) | instskip(NEXT) | instid1(VALU_DEP_2)
	v_cmp_gt_i16_e64 s3, v23, v24
	v_or_b32_e32 v11, v11, v10
	v_or_b32_e32 v10, v22, v10
	s_delay_alu instid0(VALU_DEP_1) | instskip(SKIP_1) | instid1(VALU_DEP_2)
	v_cndmask_b32_e64 v24, v10, v11, s3
	v_mov_b64_e32 v[10:11], v[20:21]
	v_dual_lshrrev_b32 v25, 24, v24 :: v_dual_lshrrev_b32 v27, 16, v24
	v_lshrrev_b32_e32 v26, 8, v24
	s_delay_alu instid0(VALU_DEP_2) | instskip(NEXT) | instid1(VALU_DEP_3)
	v_bfe_i32 v22, v25, 0, 8
	v_bfe_i32 v28, v27, 0, 8
	s_delay_alu instid0(VALU_DEP_1)
	v_cmpx_gt_i16_e64 v28, v22
; %bb.78:
	v_dual_mov_b32 v23, v27 :: v_dual_mov_b32 v28, v22
	v_mov_b64_e32 v[10:11], v[18:19]
	v_mov_b64_e32 v[18:19], v[20:21]
	v_swap_b32 v27, v25
; %bb.79:
	s_or_b32 exec_lo, exec_lo, s5
	v_dual_cndmask_b32 v23, v17, v15, s3 :: v_dual_cndmask_b32 v22, v16, v14, s3
	v_bfe_i32 v29, v26, 0, 8
	s_delay_alu instid0(VALU_DEP_2) | instskip(NEXT) | instid1(VALU_DEP_2)
	v_mov_b64_e32 v[20:21], v[22:23]
	v_cmp_gt_i16_e64 s4, v29, v28
	s_and_saveexec_b32 s5, s4
	s_delay_alu instid0(SALU_CYCLE_1)
	s_xor_b32 s4, exec_lo, s5
; %bb.80:
	v_mov_b64_e32 v[20:21], v[10:11]
	v_mov_b64_e32 v[10:11], v[22:23]
	v_dual_mov_b32 v27, v26 :: v_dual_mov_b32 v26, v28
	v_mov_b32_e32 v29, v28
; %bb.81:
	s_or_b32 exec_lo, exec_lo, s4
	s_delay_alu instid0(VALU_DEP_2) | instskip(NEXT) | instid1(VALU_DEP_2)
	v_perm_b32 v22, v27, v25, 0xc0c0004
	v_perm_b32 v23, v29, v24, 0xc0c0004
	;; [unrolled: 1-line block ×3, first 2 shown]
	v_bfe_i32 v24, v24, 0, 8
	s_mov_b32 s7, exec_lo
	v_lshlrev_b32_e32 v22, 16, v22
	s_delay_alu instid0(VALU_DEP_2) | instskip(NEXT) | instid1(VALU_DEP_2)
	v_cmp_gt_i16_e64 s4, v24, v29
	v_or_b32_e32 v23, v23, v22
	v_or_b32_e32 v22, v25, v22
	s_delay_alu instid0(VALU_DEP_1) | instskip(SKIP_1) | instid1(VALU_DEP_2)
	v_cndmask_b32_e64 v32, v22, v23, s4
	v_mov_b64_e32 v[22:23], v[10:11]
	v_dual_lshrrev_b32 v34, 24, v32 :: v_dual_lshrrev_b32 v35, 16, v32
	v_lshrrev_b32_e32 v33, 8, v32
	s_delay_alu instid0(VALU_DEP_2) | instskip(NEXT) | instid1(VALU_DEP_3)
	v_bfe_i32 v25, v34, 0, 8
	v_bfe_i32 v24, v35, 0, 8
	s_delay_alu instid0(VALU_DEP_1)
	v_cmpx_gt_i16_e64 v24, v25
; %bb.82:
	v_mov_b32_e32 v24, v35
	v_mov_b64_e32 v[22:23], v[18:19]
	v_mov_b64_e32 v[18:19], v[10:11]
	v_swap_b32 v35, v34
	v_mov_b32_e32 v24, v25
; %bb.83:
	s_or_b32 exec_lo, exec_lo, s7
	v_dual_cndmask_b32 v10, v15, v17, s3 :: v_dual_cndmask_b32 v11, v14, v16, s3
	v_bfe_i32 v25, v33, 0, 8
	s_delay_alu instid0(VALU_DEP_2)
	v_dual_cndmask_b32 v15, v10, v21, s4 :: v_dual_cndmask_b32 v14, v11, v20, s4
	v_dual_cndmask_b32 v17, v21, v10, s4 :: v_dual_cndmask_b32 v16, v20, v11, s4
	v_mov_b64_e32 v[20:21], v[22:23]
	s_mov_b32 s4, exec_lo
	v_cmpx_gt_i16_e64 v25, v24
; %bb.84:
	s_delay_alu instid0(VALU_DEP_3)
	v_mov_b64_e32 v[20:21], v[16:17]
	v_mov_b64_e32 v[16:17], v[22:23]
	v_dual_mov_b32 v35, v33 :: v_dual_mov_b32 v33, v24
; %bb.85:
	s_or_b32 exec_lo, exec_lo, s4
.LBB400_86:
	s_delay_alu instid0(SALU_CYCLE_1)
	s_or_b32 exec_lo, exec_lo, s6
	v_and_b32_e32 v26, 0xffffff80, v5
	v_dual_mov_b32 v27, 0 :: v_dual_bitop2_b32 v10, 4, v0 bitop3:0x54
	s_wait_loadcnt_dscnt 0x0
	v_perm_b32 v25, v32, v33, 0xc0c0004
	v_perm_b32 v29, v35, v34, 0xc0c0004
	v_sub_nc_u32_e64 v5, 0x400, v26 clamp
	v_add_nc_u64_e32 v[12:13], v[12:13], v[26:27]
	s_mov_b32 s4, exec_lo
	s_delay_alu instid0(VALU_DEP_3) | instskip(NEXT) | instid1(VALU_DEP_3)
	v_lshl_or_b32 v25, v29, 16, v25
	v_min_u32_e32 v24, v5, v10
	s_delay_alu instid0(VALU_DEP_3) | instskip(SKIP_1) | instid1(VALU_DEP_3)
	v_mad_nc_u64_u32 v[10:11], v26, 7, v[12:13]
	v_dual_mov_b32 v26, v0 :: v_dual_bitop2_b32 v11, 4, v0 bitop3:0x40
	v_add_min_u32_e64 v38, v24, 4, v5
	s_delay_alu instid0(VALU_DEP_2) | instskip(SKIP_1) | instid1(VALU_DEP_4)
	v_add_nc_u64_e32 v[22:23], v[12:13], v[26:27]
	v_and_b32_e32 v26, 0x78, v0
	v_min_u32_e32 v39, v5, v11
	s_delay_alu instid0(VALU_DEP_4) | instskip(SKIP_1) | instid1(VALU_DEP_4)
	v_sub_nc_u32_e32 v23, v38, v24
	v_lshl_add_u32 v11, v0, 3, v10
	v_sub_nc_u32_e32 v28, v24, v26
	ds_store_2addr_b64 v11, v[14:15], v[16:17] offset0:128 offset1:129
	ds_store_b64 v11, v[20:21] offset:1040
	ds_store_b32 v22, v25
	ds_store_b64 v11, v[18:19] offset:1048
	v_sub_nc_u32_e64 v48, v39, v23 clamp
	v_min_u32_e32 v23, v39, v28
	; wave barrier
	s_delay_alu instid0(VALU_DEP_1)
	v_cmpx_lt_u32_e64 v48, v23
	s_cbranch_execz .LBB400_90
; %bb.87:
	v_mov_b32_e32 v25, v27
	v_add_nc_u64_e32 v[28:29], v[12:13], v[26:27]
	s_mov_b32 s5, 0
	s_delay_alu instid0(VALU_DEP_2)
	v_add_nc_u64_e32 v[30:31], v[12:13], v[24:25]
.LBB400_88:                             ; =>This Inner Loop Header: Depth=1
	v_add_nc_u32_e32 v25, v23, v48
	s_delay_alu instid0(VALU_DEP_1) | instskip(NEXT) | instid1(VALU_DEP_1)
	v_lshrrev_b32_e32 v25, 1, v25
	v_not_b32_e32 v27, v25
	v_dual_add_nc_u32 v29, v28, v25 :: v_dual_add_nc_u32 v31, 1, v25
	s_delay_alu instid0(VALU_DEP_2) | instskip(SKIP_4) | instid1(VALU_DEP_1)
	v_add3_u32 v27, v39, v27, v30
	ds_load_i8 v29, v29
	ds_load_i8 v27, v27
	s_wait_dscnt 0x0
	v_cmp_gt_i16_e64 s3, v29, v27
	v_cndmask_b32_e64 v48, v31, v48, s3
	v_cndmask_b32_e64 v23, v23, v25, s3
	s_delay_alu instid0(VALU_DEP_1) | instskip(SKIP_1) | instid1(SALU_CYCLE_1)
	v_cmp_ge_u32_e64 s3, v48, v23
	s_or_b32 s5, s3, s5
	s_and_not1_b32 exec_lo, exec_lo, s5
	s_cbranch_execnz .LBB400_88
; %bb.89:
	s_or_b32 exec_lo, exec_lo, s5
.LBB400_90:
	s_delay_alu instid0(SALU_CYCLE_1)
	s_or_b32 exec_lo, exec_lo, s4
	v_add_nc_u32_e32 v25, v24, v39
	v_add_nc_u32_e32 v28, v48, v26
	;; [unrolled: 1-line block ×5, first 2 shown]
	v_sub_nc_u32_e32 v27, v25, v48
	v_cmp_le_u32_e64 s3, v28, v24
	v_add_nc_u32_e32 v11, 0x418, v11
	s_delay_alu instid0(VALU_DEP_3) | instskip(SKIP_1) | instid1(SALU_CYCLE_1)
	v_cmp_le_u32_e64 s4, v27, v38
	s_or_b32 s3, s3, s4
	s_and_saveexec_b32 s9, s3
	s_cbranch_execz .LBB400_96
; %bb.91:
	v_cmp_lt_u32_e64 s3, v28, v24
                                        ; implicit-def: $vgpr25
	s_and_saveexec_b32 s4, s3
; %bb.92:
	v_add_nc_u32_e32 v14, v12, v28
	ds_load_u8 v25, v14
; %bb.93:
	s_or_b32 exec_lo, exec_lo, s4
	v_cmp_ge_u32_e64 s4, v27, v38
	s_mov_b32 s6, exec_lo
                                        ; implicit-def: $vgpr26
	v_cmpx_lt_u32_e64 v27, v38
; %bb.94:
	v_add_nc_u32_e32 v14, v12, v27
	ds_load_u8 v26, v14
; %bb.95:
	s_or_b32 exec_lo, exec_lo, s6
	s_wait_dscnt 0x0
	v_bfe_i32 v14, v26, 0, 8
	v_bfe_i32 v15, v25, 0, 8
	s_delay_alu instid0(VALU_DEP_1) | instskip(SKIP_1) | instid1(SALU_CYCLE_1)
	v_cmp_le_i16_e64 s5, v15, v14
	s_and_b32 s3, s3, s5
	s_or_b32 s3, s4, s3
	s_delay_alu instid0(SALU_CYCLE_1) | instskip(SKIP_1) | instid1(VALU_DEP_2)
	v_cndmask_b32_e64 v14, v27, v28, s3
	v_cndmask_b32_e64 v15, v38, v24, s3
	v_dual_cndmask_b32 v32, v26, v25, s3 :: v_dual_add_nc_u32 v16, 1, v14
	s_delay_alu instid0(VALU_DEP_1) | instskip(NEXT) | instid1(VALU_DEP_1)
	v_add_min_u32_e64 v15, v15, -1, v16
	v_add_nc_u32_e32 v15, v12, v15
	v_lshl_add_u32 v14, v14, 3, v10
	ds_load_u8 v15, v15
	s_wait_dscnt 0x0
	v_dual_cndmask_b32 v29, v15, v26, s3 :: v_dual_cndmask_b32 v30, v25, v15, s3
	v_cndmask_b32_e64 v15, v28, v16, s3
	v_cndmask_b32_e64 v16, v16, v27, s3
	s_delay_alu instid0(VALU_DEP_3) | instskip(NEXT) | instid1(VALU_DEP_4)
	v_bfe_i32 v17, v29, 0, 8
	v_bfe_i32 v18, v30, 0, 8
	s_delay_alu instid0(VALU_DEP_4) | instskip(NEXT) | instid1(VALU_DEP_4)
	v_cmp_lt_u32_e64 s4, v15, v24
	v_cmp_ge_u32_e64 s6, v16, v38
	s_delay_alu instid0(VALU_DEP_3) | instskip(SKIP_1) | instid1(SALU_CYCLE_1)
	v_cmp_le_i16_e64 s5, v18, v17
	s_and_b32 s4, s4, s5
	s_or_b32 s4, s6, s4
	s_delay_alu instid0(SALU_CYCLE_1) | instskip(NEXT) | instid1(VALU_DEP_1)
	v_dual_cndmask_b32 v18, v38, v24, s4 :: v_dual_cndmask_b32 v17, v16, v15, s4
	v_add_nc_u32_e32 v19, 1, v17
	s_delay_alu instid0(VALU_DEP_1) | instskip(SKIP_1) | instid1(VALU_DEP_2)
	v_add_min_u32_e64 v18, v18, -1, v19
	v_cndmask_b32_e64 v15, v15, v19, s4
	v_dual_cndmask_b32 v16, v19, v16, s4 :: v_dual_add_nc_u32 v18, v12, v18
	s_delay_alu instid0(VALU_DEP_2) | instskip(NEXT) | instid1(VALU_DEP_2)
	v_cmp_lt_u32_e64 s5, v15, v24
	v_cmp_ge_u32_e64 s7, v16, v38
	ds_load_u8 v18, v18
	s_wait_dscnt 0x0
	v_cndmask_b32_e64 v27, v18, v29, s4
	v_cndmask_b32_e64 v28, v30, v18, s4
	s_delay_alu instid0(VALU_DEP_2) | instskip(NEXT) | instid1(VALU_DEP_2)
	v_bfe_i32 v18, v27, 0, 8
	v_bfe_i32 v20, v28, 0, 8
	s_delay_alu instid0(VALU_DEP_1) | instskip(SKIP_1) | instid1(SALU_CYCLE_1)
	v_cmp_le_i16_e64 s6, v20, v18
	s_and_b32 s5, s5, s6
	s_or_b32 s5, s7, s5
	s_delay_alu instid0(SALU_CYCLE_1) | instskip(SKIP_1) | instid1(VALU_DEP_1)
	v_dual_cndmask_b32 v33, v29, v30, s4 :: v_dual_cndmask_b32 v35, v27, v28, s5
	v_dual_cndmask_b32 v18, v16, v15, s5 :: v_dual_cndmask_b32 v19, v38, v24, s5
	v_add_nc_u32_e32 v20, 1, v18
	v_lshl_add_u32 v18, v18, 3, v10
	s_delay_alu instid0(VALU_DEP_2) | instskip(NEXT) | instid1(VALU_DEP_1)
	v_add_min_u32_e64 v19, v19, -1, v20
	v_dual_add_nc_u32 v19, v12, v19 :: v_dual_cndmask_b32 v15, v15, v20, s5
	v_cndmask_b32_e64 v16, v20, v16, s5
	ds_load_u8 v19, v19
	v_cmp_lt_u32_e64 s6, v15, v24
	v_cmp_ge_u32_e64 s8, v16, v38
	s_wait_dscnt 0x0
	v_cndmask_b32_e64 v31, v19, v27, s5
	v_cndmask_b32_e64 v34, v28, v19, s5
	s_delay_alu instid0(VALU_DEP_2) | instskip(NEXT) | instid1(VALU_DEP_2)
	v_bfe_i32 v19, v31, 0, 8
	v_bfe_i32 v21, v34, 0, 8
	s_delay_alu instid0(VALU_DEP_1) | instskip(SKIP_1) | instid1(SALU_CYCLE_1)
	v_cmp_le_i16_e64 s7, v21, v19
	s_and_b32 s6, s6, s7
	s_or_b32 s6, s8, s6
	s_delay_alu instid0(SALU_CYCLE_1) | instskip(SKIP_2) | instid1(VALU_DEP_3)
	v_cndmask_b32_e64 v15, v16, v15, s6
	v_lshl_add_u32 v16, v17, 3, v10
	v_cndmask_b32_e64 v34, v31, v34, s6
	v_lshl_add_u32 v19, v15, 3, v10
	ds_load_b64 v[14:15], v14 offset:1024
	ds_load_b64 v[16:17], v16 offset:1024
	;; [unrolled: 1-line block ×4, first 2 shown]
.LBB400_96:
	s_or_b32 exec_lo, exec_lo, s9
	v_and_b32_e32 v26, 0x70, v0
	s_mov_b32 s4, exec_lo
	; wave barrier
	ds_store_b8 v22, v32
	s_wait_dscnt 0x4
	ds_store_b64 v37, v[14:15]
	v_or_b32_e32 v24, 8, v26
	ds_store_b8 v22, v33 offset:1
	s_wait_dscnt 0x5
	ds_store_b64 v36, v[16:17]
	ds_store_b8 v22, v35 offset:2
	s_wait_dscnt 0x6
	ds_store_b64 v23, v[20:21]
	;; [unrolled: 3-line block ×3, first 2 shown]
	; wave barrier
	v_min_u32_e32 v24, v5, v24
	s_delay_alu instid0(VALU_DEP_1) | instskip(SKIP_1) | instid1(VALU_DEP_2)
	v_dual_sub_nc_u32 v27, v24, v26 :: v_dual_bitop2_b32 v25, 12, v0 bitop3:0x40
	v_add_min_u32_e64 v49, v24, 8, v5
	v_min_u32_e32 v50, v5, v25
	s_delay_alu instid0(VALU_DEP_2) | instskip(NEXT) | instid1(VALU_DEP_2)
	v_sub_nc_u32_e32 v25, v49, v24
	v_min_u32_e32 v38, v50, v27
	s_delay_alu instid0(VALU_DEP_2) | instskip(NEXT) | instid1(VALU_DEP_1)
	v_sub_nc_u32_e64 v51, v50, v25 clamp
	v_cmpx_lt_u32_e64 v51, v38
	s_cbranch_execz .LBB400_100
; %bb.97:
	v_mov_b32_e32 v27, 0
	s_mov_b32 s5, 0
	s_delay_alu instid0(VALU_DEP_1) | instskip(SKIP_1) | instid1(VALU_DEP_2)
	v_mov_b32_e32 v25, v27
	v_add_nc_u64_e32 v[28:29], v[12:13], v[26:27]
	v_add_nc_u64_e32 v[30:31], v[12:13], v[24:25]
.LBB400_98:                             ; =>This Inner Loop Header: Depth=1
	v_add_nc_u32_e32 v25, v38, v51
	s_delay_alu instid0(VALU_DEP_1) | instskip(NEXT) | instid1(VALU_DEP_1)
	v_lshrrev_b32_e32 v25, 1, v25
	v_not_b32_e32 v27, v25
	v_dual_add_nc_u32 v29, v28, v25 :: v_dual_add_nc_u32 v31, 1, v25
	s_delay_alu instid0(VALU_DEP_2) | instskip(SKIP_4) | instid1(VALU_DEP_1)
	v_add3_u32 v27, v50, v27, v30
	ds_load_i8 v29, v29
	ds_load_i8 v27, v27
	s_wait_dscnt 0x0
	v_cmp_gt_i16_e64 s3, v29, v27
	v_dual_cndmask_b32 v38, v38, v25, s3 :: v_dual_cndmask_b32 v51, v31, v51, s3
	s_delay_alu instid0(VALU_DEP_1) | instskip(SKIP_1) | instid1(SALU_CYCLE_1)
	v_cmp_ge_u32_e64 s3, v51, v38
	s_or_b32 s5, s3, s5
	s_and_not1_b32 exec_lo, exec_lo, s5
	s_cbranch_execnz .LBB400_98
; %bb.99:
	s_or_b32 exec_lo, exec_lo, s5
.LBB400_100:
	s_delay_alu instid0(SALU_CYCLE_1) | instskip(SKIP_4) | instid1(VALU_DEP_4)
	s_or_b32 exec_lo, exec_lo, s4
	v_add_nc_u32_e32 v25, v24, v50
	v_add_nc_u32_e32 v38, 3, v22
	;; [unrolled: 1-line block ×3, first 2 shown]
	v_dual_add_nc_u32 v48, 1, v22 :: v_dual_add_nc_u32 v39, 2, v22
	v_sub_nc_u32_e32 v27, v25, v51
	s_delay_alu instid0(VALU_DEP_3) | instskip(NEXT) | instid1(VALU_DEP_2)
	v_cmp_le_u32_e64 s3, v28, v24
	v_cmp_le_u32_e64 s4, v27, v49
	s_or_b32 s3, s3, s4
	s_delay_alu instid0(SALU_CYCLE_1)
	s_and_saveexec_b32 s9, s3
	s_cbranch_execz .LBB400_106
; %bb.101:
	v_cmp_lt_u32_e64 s3, v28, v24
                                        ; implicit-def: $vgpr25
	s_and_saveexec_b32 s4, s3
; %bb.102:
	v_add_nc_u32_e32 v14, v12, v28
	ds_load_u8 v25, v14
; %bb.103:
	s_or_b32 exec_lo, exec_lo, s4
	v_cmp_ge_u32_e64 s4, v27, v49
	s_mov_b32 s6, exec_lo
                                        ; implicit-def: $vgpr26
	v_cmpx_lt_u32_e64 v27, v49
; %bb.104:
	v_add_nc_u32_e32 v14, v12, v27
	ds_load_u8 v26, v14
; %bb.105:
	s_or_b32 exec_lo, exec_lo, s6
	s_wait_dscnt 0x0
	v_bfe_i32 v14, v26, 0, 8
	v_bfe_i32 v15, v25, 0, 8
	s_delay_alu instid0(VALU_DEP_1) | instskip(SKIP_1) | instid1(SALU_CYCLE_1)
	v_cmp_le_i16_e64 s5, v15, v14
	s_and_b32 s3, s3, s5
	s_or_b32 s3, s4, s3
	s_delay_alu instid0(SALU_CYCLE_1) | instskip(SKIP_1) | instid1(VALU_DEP_2)
	v_cndmask_b32_e64 v14, v27, v28, s3
	v_dual_cndmask_b32 v15, v49, v24, s3 :: v_dual_cndmask_b32 v32, v26, v25, s3
	v_add_nc_u32_e32 v16, 1, v14
	s_delay_alu instid0(VALU_DEP_1) | instskip(NEXT) | instid1(VALU_DEP_1)
	v_add_min_u32_e64 v15, v15, -1, v16
	v_add_nc_u32_e32 v15, v12, v15
	v_lshl_add_u32 v14, v14, 3, v10
	ds_load_u8 v15, v15
	s_wait_dscnt 0x0
	v_dual_cndmask_b32 v29, v15, v26, s3 :: v_dual_cndmask_b32 v30, v25, v15, s3
	v_cndmask_b32_e64 v15, v28, v16, s3
	v_cndmask_b32_e64 v16, v16, v27, s3
	s_delay_alu instid0(VALU_DEP_3) | instskip(NEXT) | instid1(VALU_DEP_4)
	v_bfe_i32 v17, v29, 0, 8
	v_bfe_i32 v18, v30, 0, 8
	s_delay_alu instid0(VALU_DEP_4) | instskip(NEXT) | instid1(VALU_DEP_4)
	v_cmp_lt_u32_e64 s4, v15, v24
	v_cmp_ge_u32_e64 s6, v16, v49
	s_delay_alu instid0(VALU_DEP_3) | instskip(SKIP_1) | instid1(SALU_CYCLE_1)
	v_cmp_le_i16_e64 s5, v18, v17
	s_and_b32 s4, s4, s5
	s_or_b32 s4, s6, s4
	s_delay_alu instid0(SALU_CYCLE_1) | instskip(NEXT) | instid1(VALU_DEP_1)
	v_dual_cndmask_b32 v18, v49, v24, s4 :: v_dual_cndmask_b32 v17, v16, v15, s4
	v_add_nc_u32_e32 v19, 1, v17
	s_delay_alu instid0(VALU_DEP_1) | instskip(SKIP_1) | instid1(VALU_DEP_2)
	v_add_min_u32_e64 v18, v18, -1, v19
	v_cndmask_b32_e64 v15, v15, v19, s4
	v_dual_cndmask_b32 v16, v19, v16, s4 :: v_dual_add_nc_u32 v18, v12, v18
	s_delay_alu instid0(VALU_DEP_2) | instskip(NEXT) | instid1(VALU_DEP_2)
	v_cmp_lt_u32_e64 s5, v15, v24
	v_cmp_ge_u32_e64 s7, v16, v49
	ds_load_u8 v18, v18
	s_wait_dscnt 0x0
	v_cndmask_b32_e64 v27, v18, v29, s4
	v_cndmask_b32_e64 v28, v30, v18, s4
	s_delay_alu instid0(VALU_DEP_2) | instskip(NEXT) | instid1(VALU_DEP_2)
	v_bfe_i32 v18, v27, 0, 8
	v_bfe_i32 v20, v28, 0, 8
	s_delay_alu instid0(VALU_DEP_1) | instskip(SKIP_1) | instid1(SALU_CYCLE_1)
	v_cmp_le_i16_e64 s6, v20, v18
	s_and_b32 s5, s5, s6
	s_or_b32 s5, s7, s5
	s_delay_alu instid0(SALU_CYCLE_1) | instskip(SKIP_1) | instid1(VALU_DEP_1)
	v_dual_cndmask_b32 v33, v29, v30, s4 :: v_dual_cndmask_b32 v35, v27, v28, s5
	v_dual_cndmask_b32 v18, v16, v15, s5 :: v_dual_cndmask_b32 v19, v49, v24, s5
	v_add_nc_u32_e32 v20, 1, v18
	v_lshl_add_u32 v18, v18, 3, v10
	s_delay_alu instid0(VALU_DEP_2) | instskip(NEXT) | instid1(VALU_DEP_1)
	v_add_min_u32_e64 v19, v19, -1, v20
	v_dual_add_nc_u32 v19, v12, v19 :: v_dual_cndmask_b32 v15, v15, v20, s5
	v_cndmask_b32_e64 v16, v20, v16, s5
	ds_load_u8 v19, v19
	v_cmp_lt_u32_e64 s6, v15, v24
	v_cmp_ge_u32_e64 s8, v16, v49
	s_wait_dscnt 0x0
	v_cndmask_b32_e64 v31, v19, v27, s5
	v_cndmask_b32_e64 v34, v28, v19, s5
	s_delay_alu instid0(VALU_DEP_2) | instskip(NEXT) | instid1(VALU_DEP_2)
	v_bfe_i32 v19, v31, 0, 8
	v_bfe_i32 v21, v34, 0, 8
	s_delay_alu instid0(VALU_DEP_1) | instskip(SKIP_1) | instid1(SALU_CYCLE_1)
	v_cmp_le_i16_e64 s7, v21, v19
	s_and_b32 s6, s6, s7
	s_or_b32 s6, s8, s6
	s_delay_alu instid0(SALU_CYCLE_1) | instskip(SKIP_2) | instid1(VALU_DEP_3)
	v_cndmask_b32_e64 v15, v16, v15, s6
	v_lshl_add_u32 v16, v17, 3, v10
	v_cndmask_b32_e64 v34, v31, v34, s6
	v_lshl_add_u32 v19, v15, 3, v10
	ds_load_b64 v[14:15], v14 offset:1024
	ds_load_b64 v[16:17], v16 offset:1024
	;; [unrolled: 1-line block ×4, first 2 shown]
.LBB400_106:
	s_or_b32 exec_lo, exec_lo, s9
	v_and_b32_e32 v26, 0x60, v0
	s_mov_b32 s4, exec_lo
	; wave barrier
	ds_store_b8 v22, v32
	s_wait_dscnt 0x4
	ds_store_b64 v37, v[14:15]
	v_or_b32_e32 v24, 16, v26
	ds_store_b8 v48, v33
	s_wait_dscnt 0x5
	ds_store_b64 v36, v[16:17]
	ds_store_b8 v39, v35
	s_wait_dscnt 0x6
	ds_store_b64 v23, v[20:21]
	;; [unrolled: 3-line block ×3, first 2 shown]
	; wave barrier
	v_min_u32_e32 v24, v5, v24
	s_delay_alu instid0(VALU_DEP_1) | instskip(SKIP_1) | instid1(VALU_DEP_2)
	v_dual_sub_nc_u32 v27, v24, v26 :: v_dual_bitop2_b32 v25, 28, v0 bitop3:0x40
	v_add_min_u32_e64 v49, v24, 16, v5
	v_min_u32_e32 v50, v5, v25
	s_delay_alu instid0(VALU_DEP_2) | instskip(NEXT) | instid1(VALU_DEP_2)
	v_sub_nc_u32_e32 v25, v49, v24
	v_min_u32_e32 v52, v50, v27
	s_delay_alu instid0(VALU_DEP_2) | instskip(NEXT) | instid1(VALU_DEP_1)
	v_sub_nc_u32_e64 v51, v50, v25 clamp
	v_cmpx_lt_u32_e64 v51, v52
	s_cbranch_execz .LBB400_110
; %bb.107:
	v_mov_b32_e32 v27, 0
	s_mov_b32 s5, 0
	s_delay_alu instid0(VALU_DEP_1) | instskip(SKIP_1) | instid1(VALU_DEP_2)
	v_mov_b32_e32 v25, v27
	v_add_nc_u64_e32 v[28:29], v[12:13], v[26:27]
	v_add_nc_u64_e32 v[30:31], v[12:13], v[24:25]
.LBB400_108:                            ; =>This Inner Loop Header: Depth=1
	v_add_nc_u32_e32 v25, v52, v51
	s_delay_alu instid0(VALU_DEP_1) | instskip(NEXT) | instid1(VALU_DEP_1)
	v_lshrrev_b32_e32 v25, 1, v25
	v_not_b32_e32 v27, v25
	v_dual_add_nc_u32 v29, v28, v25 :: v_dual_add_nc_u32 v31, 1, v25
	s_delay_alu instid0(VALU_DEP_2) | instskip(SKIP_4) | instid1(VALU_DEP_1)
	v_add3_u32 v27, v50, v27, v30
	ds_load_i8 v29, v29
	ds_load_i8 v27, v27
	s_wait_dscnt 0x0
	v_cmp_gt_i16_e64 s3, v29, v27
	v_dual_cndmask_b32 v52, v52, v25, s3 :: v_dual_cndmask_b32 v51, v31, v51, s3
	s_delay_alu instid0(VALU_DEP_1) | instskip(SKIP_1) | instid1(SALU_CYCLE_1)
	v_cmp_ge_u32_e64 s3, v51, v52
	s_or_b32 s5, s3, s5
	s_and_not1_b32 exec_lo, exec_lo, s5
	s_cbranch_execnz .LBB400_108
; %bb.109:
	s_or_b32 exec_lo, exec_lo, s5
.LBB400_110:
	s_delay_alu instid0(SALU_CYCLE_1) | instskip(SKIP_1) | instid1(VALU_DEP_1)
	s_or_b32 exec_lo, exec_lo, s4
	v_add_nc_u32_e32 v25, v24, v50
	v_dual_add_nc_u32 v28, v51, v26 :: v_dual_sub_nc_u32 v27, v25, v51
	s_delay_alu instid0(VALU_DEP_1) | instskip(NEXT) | instid1(VALU_DEP_2)
	v_cmp_le_u32_e64 s3, v28, v24
	v_cmp_le_u32_e64 s4, v27, v49
	s_or_b32 s3, s3, s4
	s_delay_alu instid0(SALU_CYCLE_1)
	s_and_saveexec_b32 s9, s3
	s_cbranch_execz .LBB400_116
; %bb.111:
	v_cmp_lt_u32_e64 s3, v28, v24
                                        ; implicit-def: $vgpr25
	s_and_saveexec_b32 s4, s3
; %bb.112:
	v_add_nc_u32_e32 v14, v12, v28
	ds_load_u8 v25, v14
; %bb.113:
	s_or_b32 exec_lo, exec_lo, s4
	v_cmp_ge_u32_e64 s4, v27, v49
	s_mov_b32 s6, exec_lo
                                        ; implicit-def: $vgpr26
	v_cmpx_lt_u32_e64 v27, v49
; %bb.114:
	v_add_nc_u32_e32 v14, v12, v27
	ds_load_u8 v26, v14
; %bb.115:
	s_or_b32 exec_lo, exec_lo, s6
	s_wait_dscnt 0x0
	v_bfe_i32 v14, v26, 0, 8
	v_bfe_i32 v15, v25, 0, 8
	s_delay_alu instid0(VALU_DEP_1) | instskip(SKIP_1) | instid1(SALU_CYCLE_1)
	v_cmp_le_i16_e64 s5, v15, v14
	s_and_b32 s3, s3, s5
	s_or_b32 s3, s4, s3
	s_delay_alu instid0(SALU_CYCLE_1) | instskip(SKIP_1) | instid1(VALU_DEP_2)
	v_cndmask_b32_e64 v14, v27, v28, s3
	v_dual_cndmask_b32 v15, v49, v24, s3 :: v_dual_cndmask_b32 v32, v26, v25, s3
	v_add_nc_u32_e32 v16, 1, v14
	s_delay_alu instid0(VALU_DEP_1) | instskip(NEXT) | instid1(VALU_DEP_1)
	v_add_min_u32_e64 v15, v15, -1, v16
	v_add_nc_u32_e32 v15, v12, v15
	v_lshl_add_u32 v14, v14, 3, v10
	ds_load_u8 v15, v15
	s_wait_dscnt 0x0
	v_dual_cndmask_b32 v29, v15, v26, s3 :: v_dual_cndmask_b32 v30, v25, v15, s3
	v_cndmask_b32_e64 v15, v28, v16, s3
	v_cndmask_b32_e64 v16, v16, v27, s3
	s_delay_alu instid0(VALU_DEP_3) | instskip(NEXT) | instid1(VALU_DEP_4)
	v_bfe_i32 v17, v29, 0, 8
	v_bfe_i32 v18, v30, 0, 8
	s_delay_alu instid0(VALU_DEP_4) | instskip(NEXT) | instid1(VALU_DEP_4)
	v_cmp_lt_u32_e64 s4, v15, v24
	v_cmp_ge_u32_e64 s6, v16, v49
	s_delay_alu instid0(VALU_DEP_3) | instskip(SKIP_1) | instid1(SALU_CYCLE_1)
	v_cmp_le_i16_e64 s5, v18, v17
	s_and_b32 s4, s4, s5
	s_or_b32 s4, s6, s4
	s_delay_alu instid0(SALU_CYCLE_1) | instskip(NEXT) | instid1(VALU_DEP_1)
	v_dual_cndmask_b32 v18, v49, v24, s4 :: v_dual_cndmask_b32 v17, v16, v15, s4
	v_add_nc_u32_e32 v19, 1, v17
	s_delay_alu instid0(VALU_DEP_1) | instskip(SKIP_1) | instid1(VALU_DEP_2)
	v_add_min_u32_e64 v18, v18, -1, v19
	v_cndmask_b32_e64 v15, v15, v19, s4
	v_dual_cndmask_b32 v16, v19, v16, s4 :: v_dual_add_nc_u32 v18, v12, v18
	s_delay_alu instid0(VALU_DEP_2) | instskip(NEXT) | instid1(VALU_DEP_2)
	v_cmp_lt_u32_e64 s5, v15, v24
	v_cmp_ge_u32_e64 s7, v16, v49
	ds_load_u8 v18, v18
	s_wait_dscnt 0x0
	v_cndmask_b32_e64 v27, v18, v29, s4
	v_cndmask_b32_e64 v28, v30, v18, s4
	s_delay_alu instid0(VALU_DEP_2) | instskip(NEXT) | instid1(VALU_DEP_2)
	v_bfe_i32 v18, v27, 0, 8
	v_bfe_i32 v20, v28, 0, 8
	s_delay_alu instid0(VALU_DEP_1) | instskip(SKIP_1) | instid1(SALU_CYCLE_1)
	v_cmp_le_i16_e64 s6, v20, v18
	s_and_b32 s5, s5, s6
	s_or_b32 s5, s7, s5
	s_delay_alu instid0(SALU_CYCLE_1) | instskip(SKIP_1) | instid1(VALU_DEP_1)
	v_dual_cndmask_b32 v33, v29, v30, s4 :: v_dual_cndmask_b32 v35, v27, v28, s5
	v_dual_cndmask_b32 v18, v16, v15, s5 :: v_dual_cndmask_b32 v19, v49, v24, s5
	v_add_nc_u32_e32 v20, 1, v18
	v_lshl_add_u32 v18, v18, 3, v10
	s_delay_alu instid0(VALU_DEP_2) | instskip(NEXT) | instid1(VALU_DEP_1)
	v_add_min_u32_e64 v19, v19, -1, v20
	v_dual_add_nc_u32 v19, v12, v19 :: v_dual_cndmask_b32 v15, v15, v20, s5
	v_cndmask_b32_e64 v16, v20, v16, s5
	ds_load_u8 v19, v19
	v_cmp_lt_u32_e64 s6, v15, v24
	v_cmp_ge_u32_e64 s8, v16, v49
	s_wait_dscnt 0x0
	v_cndmask_b32_e64 v31, v19, v27, s5
	v_cndmask_b32_e64 v34, v28, v19, s5
	s_delay_alu instid0(VALU_DEP_2) | instskip(NEXT) | instid1(VALU_DEP_2)
	v_bfe_i32 v19, v31, 0, 8
	v_bfe_i32 v21, v34, 0, 8
	s_delay_alu instid0(VALU_DEP_1) | instskip(SKIP_1) | instid1(SALU_CYCLE_1)
	v_cmp_le_i16_e64 s7, v21, v19
	s_and_b32 s6, s6, s7
	s_or_b32 s6, s8, s6
	s_delay_alu instid0(SALU_CYCLE_1) | instskip(SKIP_2) | instid1(VALU_DEP_3)
	v_cndmask_b32_e64 v15, v16, v15, s6
	v_lshl_add_u32 v16, v17, 3, v10
	v_cndmask_b32_e64 v34, v31, v34, s6
	v_lshl_add_u32 v19, v15, 3, v10
	ds_load_b64 v[14:15], v14 offset:1024
	ds_load_b64 v[16:17], v16 offset:1024
	;; [unrolled: 1-line block ×4, first 2 shown]
.LBB400_116:
	s_or_b32 exec_lo, exec_lo, s9
	v_and_b32_e32 v26, 64, v0
	s_mov_b32 s4, exec_lo
	; wave barrier
	ds_store_b8 v22, v32
	s_wait_dscnt 0x4
	ds_store_b64 v37, v[14:15]
	v_or_b32_e32 v24, 32, v26
	ds_store_b8 v48, v33
	s_wait_dscnt 0x5
	ds_store_b64 v36, v[16:17]
	ds_store_b8 v39, v35
	s_wait_dscnt 0x6
	ds_store_b64 v23, v[20:21]
	;; [unrolled: 3-line block ×3, first 2 shown]
	; wave barrier
	v_min_u32_e32 v24, v5, v24
	s_delay_alu instid0(VALU_DEP_1) | instskip(SKIP_1) | instid1(VALU_DEP_2)
	v_dual_sub_nc_u32 v27, v24, v26 :: v_dual_bitop2_b32 v25, 60, v0 bitop3:0x40
	v_add_min_u32_e64 v49, v24, 32, v5
	v_min_u32_e32 v50, v5, v25
	s_delay_alu instid0(VALU_DEP_2) | instskip(NEXT) | instid1(VALU_DEP_2)
	v_sub_nc_u32_e32 v25, v49, v24
	v_min_u32_e32 v52, v50, v27
	s_delay_alu instid0(VALU_DEP_2) | instskip(NEXT) | instid1(VALU_DEP_1)
	v_sub_nc_u32_e64 v51, v50, v25 clamp
	v_cmpx_lt_u32_e64 v51, v52
	s_cbranch_execz .LBB400_120
; %bb.117:
	v_mov_b32_e32 v27, 0
	s_mov_b32 s5, 0
	s_delay_alu instid0(VALU_DEP_1) | instskip(SKIP_1) | instid1(VALU_DEP_2)
	v_mov_b32_e32 v25, v27
	v_add_nc_u64_e32 v[28:29], v[12:13], v[26:27]
	v_add_nc_u64_e32 v[30:31], v[12:13], v[24:25]
.LBB400_118:                            ; =>This Inner Loop Header: Depth=1
	v_add_nc_u32_e32 v25, v52, v51
	s_delay_alu instid0(VALU_DEP_1) | instskip(NEXT) | instid1(VALU_DEP_1)
	v_lshrrev_b32_e32 v25, 1, v25
	v_not_b32_e32 v27, v25
	v_dual_add_nc_u32 v29, v28, v25 :: v_dual_add_nc_u32 v31, 1, v25
	s_delay_alu instid0(VALU_DEP_2) | instskip(SKIP_4) | instid1(VALU_DEP_1)
	v_add3_u32 v27, v50, v27, v30
	ds_load_i8 v29, v29
	ds_load_i8 v27, v27
	s_wait_dscnt 0x0
	v_cmp_gt_i16_e64 s3, v29, v27
	v_dual_cndmask_b32 v52, v52, v25, s3 :: v_dual_cndmask_b32 v51, v31, v51, s3
	s_delay_alu instid0(VALU_DEP_1) | instskip(SKIP_1) | instid1(SALU_CYCLE_1)
	v_cmp_ge_u32_e64 s3, v51, v52
	s_or_b32 s5, s3, s5
	s_and_not1_b32 exec_lo, exec_lo, s5
	s_cbranch_execnz .LBB400_118
; %bb.119:
	s_or_b32 exec_lo, exec_lo, s5
.LBB400_120:
	s_delay_alu instid0(SALU_CYCLE_1) | instskip(SKIP_1) | instid1(VALU_DEP_1)
	s_or_b32 exec_lo, exec_lo, s4
	v_add_nc_u32_e32 v25, v24, v50
	v_dual_add_nc_u32 v28, v51, v26 :: v_dual_sub_nc_u32 v27, v25, v51
	s_delay_alu instid0(VALU_DEP_1) | instskip(NEXT) | instid1(VALU_DEP_2)
	v_cmp_le_u32_e64 s3, v28, v24
	v_cmp_le_u32_e64 s4, v27, v49
	s_or_b32 s3, s3, s4
	s_delay_alu instid0(SALU_CYCLE_1)
	s_and_saveexec_b32 s9, s3
	s_cbranch_execz .LBB400_126
; %bb.121:
	v_cmp_lt_u32_e64 s3, v28, v24
                                        ; implicit-def: $vgpr25
	s_and_saveexec_b32 s4, s3
; %bb.122:
	v_add_nc_u32_e32 v14, v12, v28
	ds_load_u8 v25, v14
; %bb.123:
	s_or_b32 exec_lo, exec_lo, s4
	v_cmp_ge_u32_e64 s4, v27, v49
	s_mov_b32 s6, exec_lo
                                        ; implicit-def: $vgpr26
	v_cmpx_lt_u32_e64 v27, v49
; %bb.124:
	v_add_nc_u32_e32 v14, v12, v27
	ds_load_u8 v26, v14
; %bb.125:
	s_or_b32 exec_lo, exec_lo, s6
	s_wait_dscnt 0x0
	v_bfe_i32 v14, v26, 0, 8
	v_bfe_i32 v15, v25, 0, 8
	s_delay_alu instid0(VALU_DEP_1) | instskip(SKIP_1) | instid1(SALU_CYCLE_1)
	v_cmp_le_i16_e64 s5, v15, v14
	s_and_b32 s3, s3, s5
	s_or_b32 s3, s4, s3
	s_delay_alu instid0(SALU_CYCLE_1) | instskip(SKIP_1) | instid1(VALU_DEP_2)
	v_cndmask_b32_e64 v14, v27, v28, s3
	v_dual_cndmask_b32 v15, v49, v24, s3 :: v_dual_cndmask_b32 v32, v26, v25, s3
	v_add_nc_u32_e32 v16, 1, v14
	s_delay_alu instid0(VALU_DEP_1) | instskip(NEXT) | instid1(VALU_DEP_1)
	v_add_min_u32_e64 v15, v15, -1, v16
	v_add_nc_u32_e32 v15, v12, v15
	v_lshl_add_u32 v14, v14, 3, v10
	ds_load_u8 v15, v15
	s_wait_dscnt 0x0
	v_dual_cndmask_b32 v29, v15, v26, s3 :: v_dual_cndmask_b32 v30, v25, v15, s3
	v_cndmask_b32_e64 v15, v28, v16, s3
	v_cndmask_b32_e64 v16, v16, v27, s3
	s_delay_alu instid0(VALU_DEP_3) | instskip(NEXT) | instid1(VALU_DEP_4)
	v_bfe_i32 v17, v29, 0, 8
	v_bfe_i32 v18, v30, 0, 8
	s_delay_alu instid0(VALU_DEP_4) | instskip(NEXT) | instid1(VALU_DEP_4)
	v_cmp_lt_u32_e64 s4, v15, v24
	v_cmp_ge_u32_e64 s6, v16, v49
	s_delay_alu instid0(VALU_DEP_3) | instskip(SKIP_1) | instid1(SALU_CYCLE_1)
	v_cmp_le_i16_e64 s5, v18, v17
	s_and_b32 s4, s4, s5
	s_or_b32 s4, s6, s4
	s_delay_alu instid0(SALU_CYCLE_1) | instskip(NEXT) | instid1(VALU_DEP_1)
	v_dual_cndmask_b32 v18, v49, v24, s4 :: v_dual_cndmask_b32 v17, v16, v15, s4
	v_add_nc_u32_e32 v19, 1, v17
	s_delay_alu instid0(VALU_DEP_1) | instskip(SKIP_1) | instid1(VALU_DEP_2)
	v_add_min_u32_e64 v18, v18, -1, v19
	v_cndmask_b32_e64 v15, v15, v19, s4
	v_dual_cndmask_b32 v16, v19, v16, s4 :: v_dual_add_nc_u32 v18, v12, v18
	s_delay_alu instid0(VALU_DEP_2) | instskip(NEXT) | instid1(VALU_DEP_2)
	v_cmp_lt_u32_e64 s5, v15, v24
	v_cmp_ge_u32_e64 s7, v16, v49
	ds_load_u8 v18, v18
	s_wait_dscnt 0x0
	v_cndmask_b32_e64 v27, v18, v29, s4
	v_cndmask_b32_e64 v28, v30, v18, s4
	s_delay_alu instid0(VALU_DEP_2) | instskip(NEXT) | instid1(VALU_DEP_2)
	v_bfe_i32 v18, v27, 0, 8
	v_bfe_i32 v20, v28, 0, 8
	s_delay_alu instid0(VALU_DEP_1) | instskip(SKIP_1) | instid1(SALU_CYCLE_1)
	v_cmp_le_i16_e64 s6, v20, v18
	s_and_b32 s5, s5, s6
	s_or_b32 s5, s7, s5
	s_delay_alu instid0(SALU_CYCLE_1) | instskip(SKIP_1) | instid1(VALU_DEP_1)
	v_dual_cndmask_b32 v33, v29, v30, s4 :: v_dual_cndmask_b32 v35, v27, v28, s5
	v_dual_cndmask_b32 v18, v16, v15, s5 :: v_dual_cndmask_b32 v19, v49, v24, s5
	v_add_nc_u32_e32 v20, 1, v18
	v_lshl_add_u32 v18, v18, 3, v10
	s_delay_alu instid0(VALU_DEP_2) | instskip(NEXT) | instid1(VALU_DEP_1)
	v_add_min_u32_e64 v19, v19, -1, v20
	v_dual_add_nc_u32 v19, v12, v19 :: v_dual_cndmask_b32 v15, v15, v20, s5
	v_cndmask_b32_e64 v16, v20, v16, s5
	ds_load_u8 v19, v19
	v_cmp_lt_u32_e64 s6, v15, v24
	v_cmp_ge_u32_e64 s8, v16, v49
	s_wait_dscnt 0x0
	v_cndmask_b32_e64 v31, v19, v27, s5
	v_cndmask_b32_e64 v34, v28, v19, s5
	s_delay_alu instid0(VALU_DEP_2) | instskip(NEXT) | instid1(VALU_DEP_2)
	v_bfe_i32 v19, v31, 0, 8
	v_bfe_i32 v21, v34, 0, 8
	s_delay_alu instid0(VALU_DEP_1) | instskip(SKIP_1) | instid1(SALU_CYCLE_1)
	v_cmp_le_i16_e64 s7, v21, v19
	s_and_b32 s6, s6, s7
	s_or_b32 s6, s8, s6
	s_delay_alu instid0(SALU_CYCLE_1) | instskip(SKIP_2) | instid1(VALU_DEP_3)
	v_cndmask_b32_e64 v15, v16, v15, s6
	v_lshl_add_u32 v16, v17, 3, v10
	v_cndmask_b32_e64 v34, v31, v34, s6
	v_lshl_add_u32 v19, v15, 3, v10
	ds_load_b64 v[14:15], v14 offset:1024
	ds_load_b64 v[16:17], v16 offset:1024
	;; [unrolled: 1-line block ×4, first 2 shown]
.LBB400_126:
	s_or_b32 exec_lo, exec_lo, s9
	v_min_u32_e32 v24, 64, v5
	v_min_u32_e32 v27, v5, v0
	s_mov_b32 s4, exec_lo
	; wave barrier
	s_delay_alu instid0(VALU_DEP_2) | instskip(NEXT) | instid1(VALU_DEP_2)
	v_add_min_u32_e64 v26, v24, 64, v5
	v_min_u32_e32 v28, v27, v24
	ds_store_b8 v22, v32
	s_wait_dscnt 0x4
	ds_store_b64 v37, v[14:15]
	ds_store_b8 v48, v33
	s_wait_dscnt 0x5
	ds_store_b64 v36, v[16:17]
	;; [unrolled: 3-line block ×4, first 2 shown]
	v_sub_nc_u32_e32 v5, v26, v24
	; wave barrier
	s_delay_alu instid0(VALU_DEP_1) | instskip(NEXT) | instid1(VALU_DEP_1)
	v_sub_nc_u32_e64 v5, v27, v5 clamp
	v_cmpx_lt_u32_e64 v5, v28
	s_cbranch_execz .LBB400_130
; %bb.127:
	v_mov_b32_e32 v25, 0
	s_mov_b32 s5, 0
	s_delay_alu instid0(VALU_DEP_1)
	v_add_nc_u64_e32 v[22:23], v[12:13], v[24:25]
.LBB400_128:                            ; =>This Inner Loop Header: Depth=1
	v_add_nc_u32_e32 v11, v28, v5
	s_delay_alu instid0(VALU_DEP_1) | instskip(NEXT) | instid1(VALU_DEP_1)
	v_lshrrev_b32_e32 v11, 1, v11
	v_not_b32_e32 v13, v11
	v_dual_add_nc_u32 v23, v12, v11 :: v_dual_add_nc_u32 v25, 1, v11
	s_delay_alu instid0(VALU_DEP_2) | instskip(SKIP_4) | instid1(VALU_DEP_1)
	v_add3_u32 v13, v27, v13, v22
	ds_load_i8 v23, v23
	ds_load_i8 v13, v13
	s_wait_dscnt 0x0
	v_cmp_gt_i16_e64 s3, v23, v13
	v_dual_cndmask_b32 v28, v28, v11, s3 :: v_dual_cndmask_b32 v5, v25, v5, s3
	s_delay_alu instid0(VALU_DEP_1) | instskip(SKIP_1) | instid1(SALU_CYCLE_1)
	v_cmp_ge_u32_e64 s3, v5, v28
	s_or_b32 s5, s3, s5
	s_and_not1_b32 exec_lo, exec_lo, s5
	s_cbranch_execnz .LBB400_128
; %bb.129:
	s_or_b32 exec_lo, exec_lo, s5
.LBB400_130:
	s_delay_alu instid0(SALU_CYCLE_1) | instskip(SKIP_2) | instid1(VALU_DEP_2)
	s_or_b32 exec_lo, exec_lo, s4
	v_add_nc_u32_e32 v11, v24, v27
	v_cmp_le_u32_e64 s3, v5, v24
	v_sub_nc_u32_e32 v22, v11, v5
	s_delay_alu instid0(VALU_DEP_1) | instskip(SKIP_1) | instid1(SALU_CYCLE_1)
	v_cmp_le_u32_e64 s4, v22, v26
	s_or_b32 s3, s3, s4
	s_and_saveexec_b32 s9, s3
	s_cbranch_execz .LBB400_136
; %bb.131:
	v_cmp_lt_u32_e64 s3, v5, v24
                                        ; implicit-def: $vgpr11
	s_and_saveexec_b32 s4, s3
; %bb.132:
	v_add_nc_u32_e32 v11, v12, v5
	ds_load_u8 v11, v11
; %bb.133:
	s_or_b32 exec_lo, exec_lo, s4
	v_cmp_ge_u32_e64 s4, v22, v26
	s_mov_b32 s6, exec_lo
                                        ; implicit-def: $vgpr13
	v_cmpx_lt_u32_e64 v22, v26
; %bb.134:
	v_add_nc_u32_e32 v13, v12, v22
	ds_load_u8 v13, v13
; %bb.135:
	s_or_b32 exec_lo, exec_lo, s6
	s_wait_dscnt 0x0
	v_bfe_i32 v14, v13, 0, 8
	v_bfe_i32 v15, v11, 0, 8
	s_delay_alu instid0(VALU_DEP_1) | instskip(SKIP_1) | instid1(SALU_CYCLE_1)
	v_cmp_le_i16_e64 s5, v15, v14
	s_and_b32 s3, s3, s5
	s_or_b32 s3, s4, s3
	s_delay_alu instid0(SALU_CYCLE_1) | instskip(SKIP_1) | instid1(VALU_DEP_2)
	v_cndmask_b32_e64 v14, v22, v5, s3
	v_dual_cndmask_b32 v15, v26, v24, s3 :: v_dual_cndmask_b32 v32, v13, v11, s3
	v_add_nc_u32_e32 v16, 1, v14
	s_delay_alu instid0(VALU_DEP_1) | instskip(SKIP_1) | instid1(VALU_DEP_2)
	v_add_min_u32_e64 v15, v15, -1, v16
	v_dual_cndmask_b32 v5, v5, v16, s3 :: v_dual_cndmask_b32 v16, v16, v22, s3
	v_add_nc_u32_e32 v15, v12, v15
	s_delay_alu instid0(VALU_DEP_2) | instskip(NEXT) | instid1(VALU_DEP_3)
	v_cmp_lt_u32_e64 s4, v5, v24
	v_cmp_ge_u32_e64 s6, v16, v26
	v_lshl_add_u32 v14, v14, 3, v10
	ds_load_u8 v15, v15
	s_wait_dscnt 0x0
	v_cndmask_b32_e64 v23, v15, v13, s3
	v_cndmask_b32_e64 v25, v11, v15, s3
	s_delay_alu instid0(VALU_DEP_2) | instskip(NEXT) | instid1(VALU_DEP_2)
	v_bfe_i32 v15, v23, 0, 8
	v_bfe_i32 v17, v25, 0, 8
	s_delay_alu instid0(VALU_DEP_1) | instskip(SKIP_1) | instid1(SALU_CYCLE_1)
	v_cmp_le_i16_e64 s5, v17, v15
	s_and_b32 s4, s4, s5
	s_or_b32 s4, s6, s4
	s_delay_alu instid0(SALU_CYCLE_1) | instskip(NEXT) | instid1(VALU_DEP_1)
	v_dual_cndmask_b32 v15, v16, v5, s4 :: v_dual_cndmask_b32 v17, v26, v24, s4
	v_add_nc_u32_e32 v18, 1, v15
	s_delay_alu instid0(VALU_DEP_1) | instskip(NEXT) | instid1(VALU_DEP_1)
	v_add_min_u32_e64 v17, v17, -1, v18
	v_dual_add_nc_u32 v17, v12, v17 :: v_dual_cndmask_b32 v5, v5, v18, s4
	v_cndmask_b32_e64 v16, v18, v16, s4
	ds_load_u8 v17, v17
	v_cmp_lt_u32_e64 s5, v5, v24
	v_cmp_ge_u32_e64 s7, v16, v26
	s_wait_dscnt 0x0
	v_cndmask_b32_e64 v22, v17, v23, s4
	v_cndmask_b32_e64 v27, v25, v17, s4
	s_delay_alu instid0(VALU_DEP_2) | instskip(NEXT) | instid1(VALU_DEP_2)
	v_bfe_i32 v17, v22, 0, 8
	v_bfe_i32 v19, v27, 0, 8
	s_delay_alu instid0(VALU_DEP_1) | instskip(SKIP_1) | instid1(SALU_CYCLE_1)
	v_cmp_le_i16_e64 s6, v19, v17
	s_and_b32 s5, s5, s6
	s_or_b32 s5, s7, s5
	s_delay_alu instid0(SALU_CYCLE_1) | instskip(SKIP_1) | instid1(VALU_DEP_2)
	v_dual_cndmask_b32 v18, v26, v24, s5 :: v_dual_cndmask_b32 v17, v16, v5, s5
	v_dual_cndmask_b32 v33, v23, v25, s4 :: v_dual_cndmask_b32 v35, v22, v27, s5
	v_add_nc_u32_e32 v19, 1, v17
	s_delay_alu instid0(VALU_DEP_1) | instskip(SKIP_1) | instid1(VALU_DEP_2)
	v_add_min_u32_e64 v18, v18, -1, v19
	v_dual_cndmask_b32 v5, v5, v19, s5 :: v_dual_cndmask_b32 v16, v19, v16, s5
	v_add_nc_u32_e32 v12, v12, v18
	s_delay_alu instid0(VALU_DEP_2) | instskip(NEXT) | instid1(VALU_DEP_3)
	v_cmp_lt_u32_e64 s6, v5, v24
	v_cmp_ge_u32_e64 s8, v16, v26
	ds_load_u8 v12, v12
	s_wait_dscnt 0x0
	v_dual_cndmask_b32 v28, v12, v22, s5 :: v_dual_cndmask_b32 v12, v27, v12, s5
	s_delay_alu instid0(VALU_DEP_1) | instskip(NEXT) | instid1(VALU_DEP_2)
	v_bfe_i32 v18, v28, 0, 8
	v_bfe_i32 v20, v12, 0, 8
	s_delay_alu instid0(VALU_DEP_1) | instskip(SKIP_2) | instid1(SALU_CYCLE_1)
	v_cmp_le_i16_e64 s7, v20, v18
	v_lshl_add_u32 v18, v17, 3, v10
	s_and_b32 s6, s6, s7
	s_or_b32 s6, s8, s6
	s_delay_alu instid0(SALU_CYCLE_1) | instskip(SKIP_2) | instid1(VALU_DEP_3)
	v_cndmask_b32_e64 v5, v16, v5, s6
	v_lshl_add_u32 v16, v15, 3, v10
	v_cndmask_b32_e64 v34, v28, v12, s6
	v_lshl_add_u32 v5, v5, 3, v10
	ds_load_b64 v[14:15], v14 offset:1024
	ds_load_b64 v[16:17], v16 offset:1024
	;; [unrolled: 1-line block ×4, first 2 shown]
.LBB400_136:
	s_or_b32 exec_lo, exec_lo, s9
	; wave barrier
	s_wait_storecnt_dscnt 0x0
	s_barrier_signal -1
	s_barrier_wait -1
.LBB400_137:
	s_or_b32 exec_lo, exec_lo, s10
	v_add_nc_u64_e32 v[2:3], v[2:3], v[8:9]
	s_wait_storecnt 0x0
	; wave barrier
	s_wait_loadcnt_dscnt 0x0
	s_delay_alu instid0(VALU_DEP_1)
	v_add_nc_u64_e32 v[0:1], v[2:3], v[0:1]
	s_and_saveexec_b32 s3, vcc_lo
	s_cbranch_execnz .LBB400_150
; %bb.138:
	s_or_b32 exec_lo, exec_lo, s3
	s_and_saveexec_b32 s3, s0
	s_cbranch_execnz .LBB400_151
.LBB400_139:
	s_or_b32 exec_lo, exec_lo, s3
	s_and_saveexec_b32 s3, s1
	s_cbranch_execnz .LBB400_152
.LBB400_140:
	s_or_b32 exec_lo, exec_lo, s3
	s_and_saveexec_b32 s3, s2
	s_cbranch_execz .LBB400_142
.LBB400_141:
	flat_store_b8 v[0:1], v34 offset:3
.LBB400_142:
	s_wait_xcnt 0x0
	s_or_b32 exec_lo, exec_lo, s3
	v_lshl_add_u64 v[0:1], v[8:9], 3, v[6:7]
	v_mov_b32_e32 v5, 0
	; wave barrier
	s_delay_alu instid0(VALU_DEP_1)
	v_add_nc_u64_e32 v[0:1], v[0:1], v[4:5]
	s_and_saveexec_b32 s3, vcc_lo
	s_cbranch_execnz .LBB400_153
; %bb.143:
	s_or_b32 exec_lo, exec_lo, s3
	s_and_saveexec_b32 s3, s0
	s_cbranch_execnz .LBB400_154
.LBB400_144:
	s_or_b32 exec_lo, exec_lo, s3
	s_and_saveexec_b32 s0, s1
	s_cbranch_execnz .LBB400_155
.LBB400_145:
	s_or_b32 exec_lo, exec_lo, s0
	s_and_saveexec_b32 s0, s2
	s_cbranch_execnz .LBB400_156
.LBB400_146:
	s_or_b32 exec_lo, exec_lo, s0
	s_wait_dscnt 0x0
	s_set_pc_i64 s[30:31]
.LBB400_147:
	flat_load_b64 v[14:15], v[22:23]
	s_wait_xcnt 0x0
	s_or_b32 exec_lo, exec_lo, s3
                                        ; implicit-def: $vgpr16_vgpr17
	s_and_saveexec_b32 s3, s0
	s_cbranch_execz .LBB400_10
.LBB400_148:
	flat_load_b64 v[16:17], v[22:23] offset:8
	s_wait_xcnt 0x0
	s_or_b32 exec_lo, exec_lo, s3
                                        ; implicit-def: $vgpr20_vgpr21
	s_and_saveexec_b32 s3, s1
	s_cbranch_execz .LBB400_11
.LBB400_149:
	flat_load_b64 v[20:21], v[22:23] offset:16
	s_wait_xcnt 0x0
	s_or_b32 exec_lo, exec_lo, s3
                                        ; implicit-def: $vgpr18_vgpr19
	s_and_saveexec_b32 s3, s2
	s_cbranch_execnz .LBB400_12
	s_branch .LBB400_13
.LBB400_150:
	flat_store_b8 v[0:1], v32
	s_wait_xcnt 0x0
	s_or_b32 exec_lo, exec_lo, s3
	s_and_saveexec_b32 s3, s0
	s_cbranch_execz .LBB400_139
.LBB400_151:
	flat_store_b8 v[0:1], v33 offset:1
	s_wait_xcnt 0x0
	s_or_b32 exec_lo, exec_lo, s3
	s_and_saveexec_b32 s3, s1
	s_cbranch_execz .LBB400_140
.LBB400_152:
	flat_store_b8 v[0:1], v35 offset:2
	s_wait_xcnt 0x0
	s_or_b32 exec_lo, exec_lo, s3
	s_and_saveexec_b32 s3, s2
	s_cbranch_execnz .LBB400_141
	s_branch .LBB400_142
.LBB400_153:
	flat_store_b64 v[0:1], v[14:15]
	s_wait_xcnt 0x0
	s_or_b32 exec_lo, exec_lo, s3
	s_and_saveexec_b32 s3, s0
	s_cbranch_execz .LBB400_144
.LBB400_154:
	flat_store_b64 v[0:1], v[16:17] offset:8
	s_wait_xcnt 0x0
	s_or_b32 exec_lo, exec_lo, s3
	s_and_saveexec_b32 s0, s1
	s_cbranch_execz .LBB400_145
.LBB400_155:
	flat_store_b64 v[0:1], v[20:21] offset:16
	s_wait_xcnt 0x0
	s_or_b32 exec_lo, exec_lo, s0
	s_and_saveexec_b32 s0, s2
	s_cbranch_execz .LBB400_146
.LBB400_156:
	flat_store_b64 v[0:1], v[18:19] offset:24
	s_wait_xcnt 0x0
	s_or_b32 exec_lo, exec_lo, s0
	s_wait_dscnt 0x0
	s_set_pc_i64 s[30:31]
.Lfunc_end400:
	.size	_ZN7rocprim17ROCPRIM_400000_NS6detail26segmented_warp_sort_helperINS1_20WarpSortHelperConfigILj32ELj4ELj256EEEalLi256ELb0EvE4sortIPKaPaPKlPlEEvT_T0_T1_T2_jjjjRNS5_12storage_typeE, .Lfunc_end400-_ZN7rocprim17ROCPRIM_400000_NS6detail26segmented_warp_sort_helperINS1_20WarpSortHelperConfigILj32ELj4ELj256EEEalLi256ELb0EvE4sortIPKaPaPKlPlEEvT_T0_T1_T2_jjjjRNS5_12storage_typeE
                                        ; -- End function
	.set .L_ZN7rocprim17ROCPRIM_400000_NS6detail26segmented_warp_sort_helperINS1_20WarpSortHelperConfigILj32ELj4ELj256EEEalLi256ELb0EvE4sortIPKaPaPKlPlEEvT_T0_T1_T2_jjjjRNS5_12storage_typeE.num_vgpr, 54
	.set .L_ZN7rocprim17ROCPRIM_400000_NS6detail26segmented_warp_sort_helperINS1_20WarpSortHelperConfigILj32ELj4ELj256EEEalLi256ELb0EvE4sortIPKaPaPKlPlEEvT_T0_T1_T2_jjjjRNS5_12storage_typeE.num_agpr, 0
	.set .L_ZN7rocprim17ROCPRIM_400000_NS6detail26segmented_warp_sort_helperINS1_20WarpSortHelperConfigILj32ELj4ELj256EEEalLi256ELb0EvE4sortIPKaPaPKlPlEEvT_T0_T1_T2_jjjjRNS5_12storage_typeE.numbered_sgpr, 32
	.set .L_ZN7rocprim17ROCPRIM_400000_NS6detail26segmented_warp_sort_helperINS1_20WarpSortHelperConfigILj32ELj4ELj256EEEalLi256ELb0EvE4sortIPKaPaPKlPlEEvT_T0_T1_T2_jjjjRNS5_12storage_typeE.num_named_barrier, 0
	.set .L_ZN7rocprim17ROCPRIM_400000_NS6detail26segmented_warp_sort_helperINS1_20WarpSortHelperConfigILj32ELj4ELj256EEEalLi256ELb0EvE4sortIPKaPaPKlPlEEvT_T0_T1_T2_jjjjRNS5_12storage_typeE.private_seg_size, 0
	.set .L_ZN7rocprim17ROCPRIM_400000_NS6detail26segmented_warp_sort_helperINS1_20WarpSortHelperConfigILj32ELj4ELj256EEEalLi256ELb0EvE4sortIPKaPaPKlPlEEvT_T0_T1_T2_jjjjRNS5_12storage_typeE.uses_vcc, 1
	.set .L_ZN7rocprim17ROCPRIM_400000_NS6detail26segmented_warp_sort_helperINS1_20WarpSortHelperConfigILj32ELj4ELj256EEEalLi256ELb0EvE4sortIPKaPaPKlPlEEvT_T0_T1_T2_jjjjRNS5_12storage_typeE.uses_flat_scratch, 0
	.set .L_ZN7rocprim17ROCPRIM_400000_NS6detail26segmented_warp_sort_helperINS1_20WarpSortHelperConfigILj32ELj4ELj256EEEalLi256ELb0EvE4sortIPKaPaPKlPlEEvT_T0_T1_T2_jjjjRNS5_12storage_typeE.has_dyn_sized_stack, 0
	.set .L_ZN7rocprim17ROCPRIM_400000_NS6detail26segmented_warp_sort_helperINS1_20WarpSortHelperConfigILj32ELj4ELj256EEEalLi256ELb0EvE4sortIPKaPaPKlPlEEvT_T0_T1_T2_jjjjRNS5_12storage_typeE.has_recursion, 0
	.set .L_ZN7rocprim17ROCPRIM_400000_NS6detail26segmented_warp_sort_helperINS1_20WarpSortHelperConfigILj32ELj4ELj256EEEalLi256ELb0EvE4sortIPKaPaPKlPlEEvT_T0_T1_T2_jjjjRNS5_12storage_typeE.has_indirect_call, 0
	.section	.AMDGPU.csdata,"",@progbits
; Function info:
; codeLenInByte = 12716
; TotalNumSgprs: 34
; NumVgprs: 54
; ScratchSize: 0
; MemoryBound: 0
	.section	.text._ZN7rocprim17ROCPRIM_400000_NS6detail17trampoline_kernelINS0_14default_configENS1_36segmented_radix_sort_config_selectorIalEEZNS1_25segmented_radix_sort_implIS3_Lb0EPKaPaPKlPlN2at6native12_GLOBAL__N_18offset_tEEE10hipError_tPvRmT1_PNSt15iterator_traitsISK_E10value_typeET2_T3_PNSL_ISQ_E10value_typeET4_jRbjT5_SW_jjP12ihipStream_tbEUlT_E0_NS1_11comp_targetILNS1_3genE0ELNS1_11target_archE4294967295ELNS1_3gpuE0ELNS1_3repE0EEENS1_60segmented_radix_sort_warp_sort_medium_config_static_selectorELNS0_4arch9wavefront6targetE0EEEvSK_,"axG",@progbits,_ZN7rocprim17ROCPRIM_400000_NS6detail17trampoline_kernelINS0_14default_configENS1_36segmented_radix_sort_config_selectorIalEEZNS1_25segmented_radix_sort_implIS3_Lb0EPKaPaPKlPlN2at6native12_GLOBAL__N_18offset_tEEE10hipError_tPvRmT1_PNSt15iterator_traitsISK_E10value_typeET2_T3_PNSL_ISQ_E10value_typeET4_jRbjT5_SW_jjP12ihipStream_tbEUlT_E0_NS1_11comp_targetILNS1_3genE0ELNS1_11target_archE4294967295ELNS1_3gpuE0ELNS1_3repE0EEENS1_60segmented_radix_sort_warp_sort_medium_config_static_selectorELNS0_4arch9wavefront6targetE0EEEvSK_,comdat
	.globl	_ZN7rocprim17ROCPRIM_400000_NS6detail17trampoline_kernelINS0_14default_configENS1_36segmented_radix_sort_config_selectorIalEEZNS1_25segmented_radix_sort_implIS3_Lb0EPKaPaPKlPlN2at6native12_GLOBAL__N_18offset_tEEE10hipError_tPvRmT1_PNSt15iterator_traitsISK_E10value_typeET2_T3_PNSL_ISQ_E10value_typeET4_jRbjT5_SW_jjP12ihipStream_tbEUlT_E0_NS1_11comp_targetILNS1_3genE0ELNS1_11target_archE4294967295ELNS1_3gpuE0ELNS1_3repE0EEENS1_60segmented_radix_sort_warp_sort_medium_config_static_selectorELNS0_4arch9wavefront6targetE0EEEvSK_ ; -- Begin function _ZN7rocprim17ROCPRIM_400000_NS6detail17trampoline_kernelINS0_14default_configENS1_36segmented_radix_sort_config_selectorIalEEZNS1_25segmented_radix_sort_implIS3_Lb0EPKaPaPKlPlN2at6native12_GLOBAL__N_18offset_tEEE10hipError_tPvRmT1_PNSt15iterator_traitsISK_E10value_typeET2_T3_PNSL_ISQ_E10value_typeET4_jRbjT5_SW_jjP12ihipStream_tbEUlT_E0_NS1_11comp_targetILNS1_3genE0ELNS1_11target_archE4294967295ELNS1_3gpuE0ELNS1_3repE0EEENS1_60segmented_radix_sort_warp_sort_medium_config_static_selectorELNS0_4arch9wavefront6targetE0EEEvSK_
	.p2align	8
	.type	_ZN7rocprim17ROCPRIM_400000_NS6detail17trampoline_kernelINS0_14default_configENS1_36segmented_radix_sort_config_selectorIalEEZNS1_25segmented_radix_sort_implIS3_Lb0EPKaPaPKlPlN2at6native12_GLOBAL__N_18offset_tEEE10hipError_tPvRmT1_PNSt15iterator_traitsISK_E10value_typeET2_T3_PNSL_ISQ_E10value_typeET4_jRbjT5_SW_jjP12ihipStream_tbEUlT_E0_NS1_11comp_targetILNS1_3genE0ELNS1_11target_archE4294967295ELNS1_3gpuE0ELNS1_3repE0EEENS1_60segmented_radix_sort_warp_sort_medium_config_static_selectorELNS0_4arch9wavefront6targetE0EEEvSK_,@function
_ZN7rocprim17ROCPRIM_400000_NS6detail17trampoline_kernelINS0_14default_configENS1_36segmented_radix_sort_config_selectorIalEEZNS1_25segmented_radix_sort_implIS3_Lb0EPKaPaPKlPlN2at6native12_GLOBAL__N_18offset_tEEE10hipError_tPvRmT1_PNSt15iterator_traitsISK_E10value_typeET2_T3_PNSL_ISQ_E10value_typeET4_jRbjT5_SW_jjP12ihipStream_tbEUlT_E0_NS1_11comp_targetILNS1_3genE0ELNS1_11target_archE4294967295ELNS1_3gpuE0ELNS1_3repE0EEENS1_60segmented_radix_sort_warp_sort_medium_config_static_selectorELNS0_4arch9wavefront6targetE0EEEvSK_: ; @_ZN7rocprim17ROCPRIM_400000_NS6detail17trampoline_kernelINS0_14default_configENS1_36segmented_radix_sort_config_selectorIalEEZNS1_25segmented_radix_sort_implIS3_Lb0EPKaPaPKlPlN2at6native12_GLOBAL__N_18offset_tEEE10hipError_tPvRmT1_PNSt15iterator_traitsISK_E10value_typeET2_T3_PNSL_ISQ_E10value_typeET4_jRbjT5_SW_jjP12ihipStream_tbEUlT_E0_NS1_11comp_targetILNS1_3genE0ELNS1_11target_archE4294967295ELNS1_3gpuE0ELNS1_3repE0EEENS1_60segmented_radix_sort_warp_sort_medium_config_static_selectorELNS0_4arch9wavefront6targetE0EEEvSK_
; %bb.0:
	s_load_b32 s4, s[2:3], 0x64
	v_bfe_u32 v1, v0, 10, 10
	v_bfe_u32 v2, v0, 20, 10
	v_and_b32_e32 v3, 0x3ff, v0
	s_and_b32 s6, ttmp6, 15
	s_getreg_b32 s7, hwreg(HW_REG_IB_STS2, 6, 4)
	s_mov_b32 s32, 0
	s_wait_kmcnt 0x0
	s_lshr_b32 s5, s4, 16
	s_and_b32 s4, s4, 0xffff
	v_mad_u32_u24 v1, v2, s5, v1
	s_bfe_u32 s5, ttmp6, 0x4000c
	s_delay_alu instid0(SALU_CYCLE_1) | instskip(NEXT) | instid1(SALU_CYCLE_1)
	s_add_co_i32 s5, s5, 1
	s_mul_i32 s5, ttmp9, s5
	s_delay_alu instid0(VALU_DEP_1) | instskip(SKIP_4) | instid1(VALU_DEP_1)
	v_mad_u32 v1, v1, s4, v3
	s_load_b32 s4, s[2:3], 0x34
	s_add_co_i32 s6, s6, s5
	s_cmp_eq_u32 s7, 0
	s_cselect_b32 s5, ttmp9, s6
	v_lshrrev_b32_e32 v1, 5, v1
	s_delay_alu instid0(VALU_DEP_1) | instskip(SKIP_1) | instid1(VALU_DEP_1)
	v_lshl_add_u32 v1, s5, 3, v1
	s_wait_kmcnt 0x0
	v_cmp_gt_u32_e32 vcc_lo, s4, v1
	s_and_saveexec_b32 s4, vcc_lo
	s_cbranch_execz .LBB401_6
; %bb.1:
	s_clause 0x1
	s_load_b64 s[8:9], s[2:3], 0x38
	s_load_b128 s[4:7], s[2:3], 0x40
	s_wait_kmcnt 0x0
	global_load_b32 v1, v1, s[8:9] scale_offset
	s_wait_loadcnt 0x0
	v_dual_add_nc_u32 v2, s5, v1 :: v_dual_add_nc_u32 v1, s7, v1
	s_delay_alu instid0(VALU_DEP_1) | instskip(NEXT) | instid1(VALU_DEP_2)
	v_mul_lo_u32 v8, v2, s4
	v_mul_lo_u32 v40, v1, s6
	s_delay_alu instid0(VALU_DEP_1)
	v_cmp_gt_u32_e32 vcc_lo, v40, v8
	s_and_b32 exec_lo, exec_lo, vcc_lo
	s_cbranch_execz .LBB401_6
; %bb.2:
	s_clause 0x3
	s_load_b32 s4, s[2:3], 0x30
	s_load_b128 s[36:39], s[2:3], 0x20
	s_load_b256 s[20:27], s[2:3], 0x0
	s_load_b64 s[18:19], s[2:3], 0x50
	s_add_nc_u64 s[16:17], s[2:3], 0x58
	s_get_pc_i64 s[28:29]
	s_add_nc_u64 s[28:29], s[28:29], _ZN7rocprim17ROCPRIM_400000_NS6detail26segmented_warp_sort_helperINS1_20WarpSortHelperConfigILj32ELj4ELj256EEEalLi256ELb0EvE4sortIPKaPaPKlPlEEvT_T0_T1_T2_jjjjRNS5_12storage_typeE@rel64+4
	s_wait_kmcnt 0x0
	s_bitcmp0_b32 s4, 0
	s_mov_b32 s4, -1
	s_cbranch_scc0 .LBB401_4
; %bb.3:
	s_mov_b64 s[2:3], src_shared_base
	v_dual_mov_b32 v31, v0 :: v_dual_mov_b32 v41, v0
	v_dual_mov_b32 v0, s20 :: v_dual_mov_b32 v1, s21
	;; [unrolled: 1-line block ×7, first 2 shown]
	v_mov_b32_e32 v13, s3
	s_mov_b64 s[6:7], s[0:1]
	s_mov_b64 s[8:9], s[16:17]
	;; [unrolled: 1-line block ×3, first 2 shown]
	s_swap_pc_i64 s[30:31], s[28:29]
	v_mov_b32_e32 v0, v41
	s_mov_b64 s[0:1], s[22:23]
	s_mov_b32 s4, 0
.LBB401_4:
	s_delay_alu instid0(SALU_CYCLE_1)
	s_and_not1_b32 vcc_lo, exec_lo, s4
	s_cbranch_vccnz .LBB401_6
; %bb.5:
	s_mov_b64 s[2:3], src_shared_base
	v_dual_mov_b32 v31, v0 :: v_dual_mov_b32 v0, s20
	v_dual_mov_b32 v1, s21 :: v_dual_mov_b32 v2, s24
	;; [unrolled: 1-line block ×7, first 2 shown]
	s_mov_b64 s[6:7], s[0:1]
	s_mov_b64 s[8:9], s[16:17]
	s_swap_pc_i64 s[30:31], s[28:29]
.LBB401_6:
	s_endpgm
	.section	.rodata,"a",@progbits
	.p2align	6, 0x0
	.amdhsa_kernel _ZN7rocprim17ROCPRIM_400000_NS6detail17trampoline_kernelINS0_14default_configENS1_36segmented_radix_sort_config_selectorIalEEZNS1_25segmented_radix_sort_implIS3_Lb0EPKaPaPKlPlN2at6native12_GLOBAL__N_18offset_tEEE10hipError_tPvRmT1_PNSt15iterator_traitsISK_E10value_typeET2_T3_PNSL_ISQ_E10value_typeET4_jRbjT5_SW_jjP12ihipStream_tbEUlT_E0_NS1_11comp_targetILNS1_3genE0ELNS1_11target_archE4294967295ELNS1_3gpuE0ELNS1_3repE0EEENS1_60segmented_radix_sort_warp_sort_medium_config_static_selectorELNS0_4arch9wavefront6targetE0EEEvSK_
		.amdhsa_group_segment_fixed_size 9216
		.amdhsa_private_segment_fixed_size 0
		.amdhsa_kernarg_size 344
		.amdhsa_user_sgpr_count 4
		.amdhsa_user_sgpr_dispatch_ptr 0
		.amdhsa_user_sgpr_queue_ptr 1
		.amdhsa_user_sgpr_kernarg_segment_ptr 1
		.amdhsa_user_sgpr_dispatch_id 0
		.amdhsa_user_sgpr_kernarg_preload_length 0
		.amdhsa_user_sgpr_kernarg_preload_offset 0
		.amdhsa_user_sgpr_private_segment_size 0
		.amdhsa_wavefront_size32 1
		.amdhsa_uses_dynamic_stack 0
		.amdhsa_enable_private_segment 0
		.amdhsa_system_sgpr_workgroup_id_x 1
		.amdhsa_system_sgpr_workgroup_id_y 1
		.amdhsa_system_sgpr_workgroup_id_z 0
		.amdhsa_system_sgpr_workgroup_info 0
		.amdhsa_system_vgpr_workitem_id 2
		.amdhsa_next_free_vgpr 54
		.amdhsa_next_free_sgpr 40
		.amdhsa_named_barrier_count 0
		.amdhsa_reserve_vcc 1
		.amdhsa_float_round_mode_32 0
		.amdhsa_float_round_mode_16_64 0
		.amdhsa_float_denorm_mode_32 3
		.amdhsa_float_denorm_mode_16_64 3
		.amdhsa_fp16_overflow 0
		.amdhsa_memory_ordered 1
		.amdhsa_forward_progress 1
		.amdhsa_inst_pref_size 4
		.amdhsa_round_robin_scheduling 0
		.amdhsa_exception_fp_ieee_invalid_op 0
		.amdhsa_exception_fp_denorm_src 0
		.amdhsa_exception_fp_ieee_div_zero 0
		.amdhsa_exception_fp_ieee_overflow 0
		.amdhsa_exception_fp_ieee_underflow 0
		.amdhsa_exception_fp_ieee_inexact 0
		.amdhsa_exception_int_div_zero 0
	.end_amdhsa_kernel
	.section	.text._ZN7rocprim17ROCPRIM_400000_NS6detail17trampoline_kernelINS0_14default_configENS1_36segmented_radix_sort_config_selectorIalEEZNS1_25segmented_radix_sort_implIS3_Lb0EPKaPaPKlPlN2at6native12_GLOBAL__N_18offset_tEEE10hipError_tPvRmT1_PNSt15iterator_traitsISK_E10value_typeET2_T3_PNSL_ISQ_E10value_typeET4_jRbjT5_SW_jjP12ihipStream_tbEUlT_E0_NS1_11comp_targetILNS1_3genE0ELNS1_11target_archE4294967295ELNS1_3gpuE0ELNS1_3repE0EEENS1_60segmented_radix_sort_warp_sort_medium_config_static_selectorELNS0_4arch9wavefront6targetE0EEEvSK_,"axG",@progbits,_ZN7rocprim17ROCPRIM_400000_NS6detail17trampoline_kernelINS0_14default_configENS1_36segmented_radix_sort_config_selectorIalEEZNS1_25segmented_radix_sort_implIS3_Lb0EPKaPaPKlPlN2at6native12_GLOBAL__N_18offset_tEEE10hipError_tPvRmT1_PNSt15iterator_traitsISK_E10value_typeET2_T3_PNSL_ISQ_E10value_typeET4_jRbjT5_SW_jjP12ihipStream_tbEUlT_E0_NS1_11comp_targetILNS1_3genE0ELNS1_11target_archE4294967295ELNS1_3gpuE0ELNS1_3repE0EEENS1_60segmented_radix_sort_warp_sort_medium_config_static_selectorELNS0_4arch9wavefront6targetE0EEEvSK_,comdat
.Lfunc_end401:
	.size	_ZN7rocprim17ROCPRIM_400000_NS6detail17trampoline_kernelINS0_14default_configENS1_36segmented_radix_sort_config_selectorIalEEZNS1_25segmented_radix_sort_implIS3_Lb0EPKaPaPKlPlN2at6native12_GLOBAL__N_18offset_tEEE10hipError_tPvRmT1_PNSt15iterator_traitsISK_E10value_typeET2_T3_PNSL_ISQ_E10value_typeET4_jRbjT5_SW_jjP12ihipStream_tbEUlT_E0_NS1_11comp_targetILNS1_3genE0ELNS1_11target_archE4294967295ELNS1_3gpuE0ELNS1_3repE0EEENS1_60segmented_radix_sort_warp_sort_medium_config_static_selectorELNS0_4arch9wavefront6targetE0EEEvSK_, .Lfunc_end401-_ZN7rocprim17ROCPRIM_400000_NS6detail17trampoline_kernelINS0_14default_configENS1_36segmented_radix_sort_config_selectorIalEEZNS1_25segmented_radix_sort_implIS3_Lb0EPKaPaPKlPlN2at6native12_GLOBAL__N_18offset_tEEE10hipError_tPvRmT1_PNSt15iterator_traitsISK_E10value_typeET2_T3_PNSL_ISQ_E10value_typeET4_jRbjT5_SW_jjP12ihipStream_tbEUlT_E0_NS1_11comp_targetILNS1_3genE0ELNS1_11target_archE4294967295ELNS1_3gpuE0ELNS1_3repE0EEENS1_60segmented_radix_sort_warp_sort_medium_config_static_selectorELNS0_4arch9wavefront6targetE0EEEvSK_
                                        ; -- End function
	.set _ZN7rocprim17ROCPRIM_400000_NS6detail17trampoline_kernelINS0_14default_configENS1_36segmented_radix_sort_config_selectorIalEEZNS1_25segmented_radix_sort_implIS3_Lb0EPKaPaPKlPlN2at6native12_GLOBAL__N_18offset_tEEE10hipError_tPvRmT1_PNSt15iterator_traitsISK_E10value_typeET2_T3_PNSL_ISQ_E10value_typeET4_jRbjT5_SW_jjP12ihipStream_tbEUlT_E0_NS1_11comp_targetILNS1_3genE0ELNS1_11target_archE4294967295ELNS1_3gpuE0ELNS1_3repE0EEENS1_60segmented_radix_sort_warp_sort_medium_config_static_selectorELNS0_4arch9wavefront6targetE0EEEvSK_.num_vgpr, max(42, .L_ZN7rocprim17ROCPRIM_400000_NS6detail26segmented_warp_sort_helperINS1_20WarpSortHelperConfigILj32ELj4ELj256EEEalLi256ELb0EvE4sortIPKaPaPKlPlEEvT_T0_T1_T2_jjjjRNS5_12storage_typeE.num_vgpr)
	.set _ZN7rocprim17ROCPRIM_400000_NS6detail17trampoline_kernelINS0_14default_configENS1_36segmented_radix_sort_config_selectorIalEEZNS1_25segmented_radix_sort_implIS3_Lb0EPKaPaPKlPlN2at6native12_GLOBAL__N_18offset_tEEE10hipError_tPvRmT1_PNSt15iterator_traitsISK_E10value_typeET2_T3_PNSL_ISQ_E10value_typeET4_jRbjT5_SW_jjP12ihipStream_tbEUlT_E0_NS1_11comp_targetILNS1_3genE0ELNS1_11target_archE4294967295ELNS1_3gpuE0ELNS1_3repE0EEENS1_60segmented_radix_sort_warp_sort_medium_config_static_selectorELNS0_4arch9wavefront6targetE0EEEvSK_.num_agpr, max(0, .L_ZN7rocprim17ROCPRIM_400000_NS6detail26segmented_warp_sort_helperINS1_20WarpSortHelperConfigILj32ELj4ELj256EEEalLi256ELb0EvE4sortIPKaPaPKlPlEEvT_T0_T1_T2_jjjjRNS5_12storage_typeE.num_agpr)
	.set _ZN7rocprim17ROCPRIM_400000_NS6detail17trampoline_kernelINS0_14default_configENS1_36segmented_radix_sort_config_selectorIalEEZNS1_25segmented_radix_sort_implIS3_Lb0EPKaPaPKlPlN2at6native12_GLOBAL__N_18offset_tEEE10hipError_tPvRmT1_PNSt15iterator_traitsISK_E10value_typeET2_T3_PNSL_ISQ_E10value_typeET4_jRbjT5_SW_jjP12ihipStream_tbEUlT_E0_NS1_11comp_targetILNS1_3genE0ELNS1_11target_archE4294967295ELNS1_3gpuE0ELNS1_3repE0EEENS1_60segmented_radix_sort_warp_sort_medium_config_static_selectorELNS0_4arch9wavefront6targetE0EEEvSK_.numbered_sgpr, max(40, .L_ZN7rocprim17ROCPRIM_400000_NS6detail26segmented_warp_sort_helperINS1_20WarpSortHelperConfigILj32ELj4ELj256EEEalLi256ELb0EvE4sortIPKaPaPKlPlEEvT_T0_T1_T2_jjjjRNS5_12storage_typeE.numbered_sgpr)
	.set _ZN7rocprim17ROCPRIM_400000_NS6detail17trampoline_kernelINS0_14default_configENS1_36segmented_radix_sort_config_selectorIalEEZNS1_25segmented_radix_sort_implIS3_Lb0EPKaPaPKlPlN2at6native12_GLOBAL__N_18offset_tEEE10hipError_tPvRmT1_PNSt15iterator_traitsISK_E10value_typeET2_T3_PNSL_ISQ_E10value_typeET4_jRbjT5_SW_jjP12ihipStream_tbEUlT_E0_NS1_11comp_targetILNS1_3genE0ELNS1_11target_archE4294967295ELNS1_3gpuE0ELNS1_3repE0EEENS1_60segmented_radix_sort_warp_sort_medium_config_static_selectorELNS0_4arch9wavefront6targetE0EEEvSK_.num_named_barrier, max(0, .L_ZN7rocprim17ROCPRIM_400000_NS6detail26segmented_warp_sort_helperINS1_20WarpSortHelperConfigILj32ELj4ELj256EEEalLi256ELb0EvE4sortIPKaPaPKlPlEEvT_T0_T1_T2_jjjjRNS5_12storage_typeE.num_named_barrier)
	.set _ZN7rocprim17ROCPRIM_400000_NS6detail17trampoline_kernelINS0_14default_configENS1_36segmented_radix_sort_config_selectorIalEEZNS1_25segmented_radix_sort_implIS3_Lb0EPKaPaPKlPlN2at6native12_GLOBAL__N_18offset_tEEE10hipError_tPvRmT1_PNSt15iterator_traitsISK_E10value_typeET2_T3_PNSL_ISQ_E10value_typeET4_jRbjT5_SW_jjP12ihipStream_tbEUlT_E0_NS1_11comp_targetILNS1_3genE0ELNS1_11target_archE4294967295ELNS1_3gpuE0ELNS1_3repE0EEENS1_60segmented_radix_sort_warp_sort_medium_config_static_selectorELNS0_4arch9wavefront6targetE0EEEvSK_.private_seg_size, 0+max(.L_ZN7rocprim17ROCPRIM_400000_NS6detail26segmented_warp_sort_helperINS1_20WarpSortHelperConfigILj32ELj4ELj256EEEalLi256ELb0EvE4sortIPKaPaPKlPlEEvT_T0_T1_T2_jjjjRNS5_12storage_typeE.private_seg_size)
	.set _ZN7rocprim17ROCPRIM_400000_NS6detail17trampoline_kernelINS0_14default_configENS1_36segmented_radix_sort_config_selectorIalEEZNS1_25segmented_radix_sort_implIS3_Lb0EPKaPaPKlPlN2at6native12_GLOBAL__N_18offset_tEEE10hipError_tPvRmT1_PNSt15iterator_traitsISK_E10value_typeET2_T3_PNSL_ISQ_E10value_typeET4_jRbjT5_SW_jjP12ihipStream_tbEUlT_E0_NS1_11comp_targetILNS1_3genE0ELNS1_11target_archE4294967295ELNS1_3gpuE0ELNS1_3repE0EEENS1_60segmented_radix_sort_warp_sort_medium_config_static_selectorELNS0_4arch9wavefront6targetE0EEEvSK_.uses_vcc, or(1, .L_ZN7rocprim17ROCPRIM_400000_NS6detail26segmented_warp_sort_helperINS1_20WarpSortHelperConfigILj32ELj4ELj256EEEalLi256ELb0EvE4sortIPKaPaPKlPlEEvT_T0_T1_T2_jjjjRNS5_12storage_typeE.uses_vcc)
	.set _ZN7rocprim17ROCPRIM_400000_NS6detail17trampoline_kernelINS0_14default_configENS1_36segmented_radix_sort_config_selectorIalEEZNS1_25segmented_radix_sort_implIS3_Lb0EPKaPaPKlPlN2at6native12_GLOBAL__N_18offset_tEEE10hipError_tPvRmT1_PNSt15iterator_traitsISK_E10value_typeET2_T3_PNSL_ISQ_E10value_typeET4_jRbjT5_SW_jjP12ihipStream_tbEUlT_E0_NS1_11comp_targetILNS1_3genE0ELNS1_11target_archE4294967295ELNS1_3gpuE0ELNS1_3repE0EEENS1_60segmented_radix_sort_warp_sort_medium_config_static_selectorELNS0_4arch9wavefront6targetE0EEEvSK_.uses_flat_scratch, or(0, .L_ZN7rocprim17ROCPRIM_400000_NS6detail26segmented_warp_sort_helperINS1_20WarpSortHelperConfigILj32ELj4ELj256EEEalLi256ELb0EvE4sortIPKaPaPKlPlEEvT_T0_T1_T2_jjjjRNS5_12storage_typeE.uses_flat_scratch)
	.set _ZN7rocprim17ROCPRIM_400000_NS6detail17trampoline_kernelINS0_14default_configENS1_36segmented_radix_sort_config_selectorIalEEZNS1_25segmented_radix_sort_implIS3_Lb0EPKaPaPKlPlN2at6native12_GLOBAL__N_18offset_tEEE10hipError_tPvRmT1_PNSt15iterator_traitsISK_E10value_typeET2_T3_PNSL_ISQ_E10value_typeET4_jRbjT5_SW_jjP12ihipStream_tbEUlT_E0_NS1_11comp_targetILNS1_3genE0ELNS1_11target_archE4294967295ELNS1_3gpuE0ELNS1_3repE0EEENS1_60segmented_radix_sort_warp_sort_medium_config_static_selectorELNS0_4arch9wavefront6targetE0EEEvSK_.has_dyn_sized_stack, or(0, .L_ZN7rocprim17ROCPRIM_400000_NS6detail26segmented_warp_sort_helperINS1_20WarpSortHelperConfigILj32ELj4ELj256EEEalLi256ELb0EvE4sortIPKaPaPKlPlEEvT_T0_T1_T2_jjjjRNS5_12storage_typeE.has_dyn_sized_stack)
	.set _ZN7rocprim17ROCPRIM_400000_NS6detail17trampoline_kernelINS0_14default_configENS1_36segmented_radix_sort_config_selectorIalEEZNS1_25segmented_radix_sort_implIS3_Lb0EPKaPaPKlPlN2at6native12_GLOBAL__N_18offset_tEEE10hipError_tPvRmT1_PNSt15iterator_traitsISK_E10value_typeET2_T3_PNSL_ISQ_E10value_typeET4_jRbjT5_SW_jjP12ihipStream_tbEUlT_E0_NS1_11comp_targetILNS1_3genE0ELNS1_11target_archE4294967295ELNS1_3gpuE0ELNS1_3repE0EEENS1_60segmented_radix_sort_warp_sort_medium_config_static_selectorELNS0_4arch9wavefront6targetE0EEEvSK_.has_recursion, or(0, .L_ZN7rocprim17ROCPRIM_400000_NS6detail26segmented_warp_sort_helperINS1_20WarpSortHelperConfigILj32ELj4ELj256EEEalLi256ELb0EvE4sortIPKaPaPKlPlEEvT_T0_T1_T2_jjjjRNS5_12storage_typeE.has_recursion)
	.set _ZN7rocprim17ROCPRIM_400000_NS6detail17trampoline_kernelINS0_14default_configENS1_36segmented_radix_sort_config_selectorIalEEZNS1_25segmented_radix_sort_implIS3_Lb0EPKaPaPKlPlN2at6native12_GLOBAL__N_18offset_tEEE10hipError_tPvRmT1_PNSt15iterator_traitsISK_E10value_typeET2_T3_PNSL_ISQ_E10value_typeET4_jRbjT5_SW_jjP12ihipStream_tbEUlT_E0_NS1_11comp_targetILNS1_3genE0ELNS1_11target_archE4294967295ELNS1_3gpuE0ELNS1_3repE0EEENS1_60segmented_radix_sort_warp_sort_medium_config_static_selectorELNS0_4arch9wavefront6targetE0EEEvSK_.has_indirect_call, or(0, .L_ZN7rocprim17ROCPRIM_400000_NS6detail26segmented_warp_sort_helperINS1_20WarpSortHelperConfigILj32ELj4ELj256EEEalLi256ELb0EvE4sortIPKaPaPKlPlEEvT_T0_T1_T2_jjjjRNS5_12storage_typeE.has_indirect_call)
	.section	.AMDGPU.csdata,"",@progbits
; Kernel info:
; codeLenInByte = 504
; TotalNumSgprs: 42
; NumVgprs: 54
; ScratchSize: 0
; MemoryBound: 0
; FloatMode: 240
; IeeeMode: 1
; LDSByteSize: 9216 bytes/workgroup (compile time only)
; SGPRBlocks: 0
; VGPRBlocks: 3
; NumSGPRsForWavesPerEU: 42
; NumVGPRsForWavesPerEU: 54
; NamedBarCnt: 0
; Occupancy: 16
; WaveLimiterHint : 0
; COMPUTE_PGM_RSRC2:SCRATCH_EN: 0
; COMPUTE_PGM_RSRC2:USER_SGPR: 4
; COMPUTE_PGM_RSRC2:TRAP_HANDLER: 0
; COMPUTE_PGM_RSRC2:TGID_X_EN: 1
; COMPUTE_PGM_RSRC2:TGID_Y_EN: 1
; COMPUTE_PGM_RSRC2:TGID_Z_EN: 0
; COMPUTE_PGM_RSRC2:TIDIG_COMP_CNT: 2
	.section	.text._ZN7rocprim17ROCPRIM_400000_NS6detail17trampoline_kernelINS0_14default_configENS1_36segmented_radix_sort_config_selectorIalEEZNS1_25segmented_radix_sort_implIS3_Lb0EPKaPaPKlPlN2at6native12_GLOBAL__N_18offset_tEEE10hipError_tPvRmT1_PNSt15iterator_traitsISK_E10value_typeET2_T3_PNSL_ISQ_E10value_typeET4_jRbjT5_SW_jjP12ihipStream_tbEUlT_E0_NS1_11comp_targetILNS1_3genE5ELNS1_11target_archE942ELNS1_3gpuE9ELNS1_3repE0EEENS1_60segmented_radix_sort_warp_sort_medium_config_static_selectorELNS0_4arch9wavefront6targetE0EEEvSK_,"axG",@progbits,_ZN7rocprim17ROCPRIM_400000_NS6detail17trampoline_kernelINS0_14default_configENS1_36segmented_radix_sort_config_selectorIalEEZNS1_25segmented_radix_sort_implIS3_Lb0EPKaPaPKlPlN2at6native12_GLOBAL__N_18offset_tEEE10hipError_tPvRmT1_PNSt15iterator_traitsISK_E10value_typeET2_T3_PNSL_ISQ_E10value_typeET4_jRbjT5_SW_jjP12ihipStream_tbEUlT_E0_NS1_11comp_targetILNS1_3genE5ELNS1_11target_archE942ELNS1_3gpuE9ELNS1_3repE0EEENS1_60segmented_radix_sort_warp_sort_medium_config_static_selectorELNS0_4arch9wavefront6targetE0EEEvSK_,comdat
	.globl	_ZN7rocprim17ROCPRIM_400000_NS6detail17trampoline_kernelINS0_14default_configENS1_36segmented_radix_sort_config_selectorIalEEZNS1_25segmented_radix_sort_implIS3_Lb0EPKaPaPKlPlN2at6native12_GLOBAL__N_18offset_tEEE10hipError_tPvRmT1_PNSt15iterator_traitsISK_E10value_typeET2_T3_PNSL_ISQ_E10value_typeET4_jRbjT5_SW_jjP12ihipStream_tbEUlT_E0_NS1_11comp_targetILNS1_3genE5ELNS1_11target_archE942ELNS1_3gpuE9ELNS1_3repE0EEENS1_60segmented_radix_sort_warp_sort_medium_config_static_selectorELNS0_4arch9wavefront6targetE0EEEvSK_ ; -- Begin function _ZN7rocprim17ROCPRIM_400000_NS6detail17trampoline_kernelINS0_14default_configENS1_36segmented_radix_sort_config_selectorIalEEZNS1_25segmented_radix_sort_implIS3_Lb0EPKaPaPKlPlN2at6native12_GLOBAL__N_18offset_tEEE10hipError_tPvRmT1_PNSt15iterator_traitsISK_E10value_typeET2_T3_PNSL_ISQ_E10value_typeET4_jRbjT5_SW_jjP12ihipStream_tbEUlT_E0_NS1_11comp_targetILNS1_3genE5ELNS1_11target_archE942ELNS1_3gpuE9ELNS1_3repE0EEENS1_60segmented_radix_sort_warp_sort_medium_config_static_selectorELNS0_4arch9wavefront6targetE0EEEvSK_
	.p2align	8
	.type	_ZN7rocprim17ROCPRIM_400000_NS6detail17trampoline_kernelINS0_14default_configENS1_36segmented_radix_sort_config_selectorIalEEZNS1_25segmented_radix_sort_implIS3_Lb0EPKaPaPKlPlN2at6native12_GLOBAL__N_18offset_tEEE10hipError_tPvRmT1_PNSt15iterator_traitsISK_E10value_typeET2_T3_PNSL_ISQ_E10value_typeET4_jRbjT5_SW_jjP12ihipStream_tbEUlT_E0_NS1_11comp_targetILNS1_3genE5ELNS1_11target_archE942ELNS1_3gpuE9ELNS1_3repE0EEENS1_60segmented_radix_sort_warp_sort_medium_config_static_selectorELNS0_4arch9wavefront6targetE0EEEvSK_,@function
_ZN7rocprim17ROCPRIM_400000_NS6detail17trampoline_kernelINS0_14default_configENS1_36segmented_radix_sort_config_selectorIalEEZNS1_25segmented_radix_sort_implIS3_Lb0EPKaPaPKlPlN2at6native12_GLOBAL__N_18offset_tEEE10hipError_tPvRmT1_PNSt15iterator_traitsISK_E10value_typeET2_T3_PNSL_ISQ_E10value_typeET4_jRbjT5_SW_jjP12ihipStream_tbEUlT_E0_NS1_11comp_targetILNS1_3genE5ELNS1_11target_archE942ELNS1_3gpuE9ELNS1_3repE0EEENS1_60segmented_radix_sort_warp_sort_medium_config_static_selectorELNS0_4arch9wavefront6targetE0EEEvSK_: ; @_ZN7rocprim17ROCPRIM_400000_NS6detail17trampoline_kernelINS0_14default_configENS1_36segmented_radix_sort_config_selectorIalEEZNS1_25segmented_radix_sort_implIS3_Lb0EPKaPaPKlPlN2at6native12_GLOBAL__N_18offset_tEEE10hipError_tPvRmT1_PNSt15iterator_traitsISK_E10value_typeET2_T3_PNSL_ISQ_E10value_typeET4_jRbjT5_SW_jjP12ihipStream_tbEUlT_E0_NS1_11comp_targetILNS1_3genE5ELNS1_11target_archE942ELNS1_3gpuE9ELNS1_3repE0EEENS1_60segmented_radix_sort_warp_sort_medium_config_static_selectorELNS0_4arch9wavefront6targetE0EEEvSK_
; %bb.0:
	.section	.rodata,"a",@progbits
	.p2align	6, 0x0
	.amdhsa_kernel _ZN7rocprim17ROCPRIM_400000_NS6detail17trampoline_kernelINS0_14default_configENS1_36segmented_radix_sort_config_selectorIalEEZNS1_25segmented_radix_sort_implIS3_Lb0EPKaPaPKlPlN2at6native12_GLOBAL__N_18offset_tEEE10hipError_tPvRmT1_PNSt15iterator_traitsISK_E10value_typeET2_T3_PNSL_ISQ_E10value_typeET4_jRbjT5_SW_jjP12ihipStream_tbEUlT_E0_NS1_11comp_targetILNS1_3genE5ELNS1_11target_archE942ELNS1_3gpuE9ELNS1_3repE0EEENS1_60segmented_radix_sort_warp_sort_medium_config_static_selectorELNS0_4arch9wavefront6targetE0EEEvSK_
		.amdhsa_group_segment_fixed_size 0
		.amdhsa_private_segment_fixed_size 0
		.amdhsa_kernarg_size 88
		.amdhsa_user_sgpr_count 2
		.amdhsa_user_sgpr_dispatch_ptr 0
		.amdhsa_user_sgpr_queue_ptr 0
		.amdhsa_user_sgpr_kernarg_segment_ptr 1
		.amdhsa_user_sgpr_dispatch_id 0
		.amdhsa_user_sgpr_kernarg_preload_length 0
		.amdhsa_user_sgpr_kernarg_preload_offset 0
		.amdhsa_user_sgpr_private_segment_size 0
		.amdhsa_wavefront_size32 1
		.amdhsa_uses_dynamic_stack 0
		.amdhsa_enable_private_segment 0
		.amdhsa_system_sgpr_workgroup_id_x 1
		.amdhsa_system_sgpr_workgroup_id_y 0
		.amdhsa_system_sgpr_workgroup_id_z 0
		.amdhsa_system_sgpr_workgroup_info 0
		.amdhsa_system_vgpr_workitem_id 0
		.amdhsa_next_free_vgpr 1
		.amdhsa_next_free_sgpr 1
		.amdhsa_named_barrier_count 0
		.amdhsa_reserve_vcc 0
		.amdhsa_float_round_mode_32 0
		.amdhsa_float_round_mode_16_64 0
		.amdhsa_float_denorm_mode_32 3
		.amdhsa_float_denorm_mode_16_64 3
		.amdhsa_fp16_overflow 0
		.amdhsa_memory_ordered 1
		.amdhsa_forward_progress 1
		.amdhsa_inst_pref_size 0
		.amdhsa_round_robin_scheduling 0
		.amdhsa_exception_fp_ieee_invalid_op 0
		.amdhsa_exception_fp_denorm_src 0
		.amdhsa_exception_fp_ieee_div_zero 0
		.amdhsa_exception_fp_ieee_overflow 0
		.amdhsa_exception_fp_ieee_underflow 0
		.amdhsa_exception_fp_ieee_inexact 0
		.amdhsa_exception_int_div_zero 0
	.end_amdhsa_kernel
	.section	.text._ZN7rocprim17ROCPRIM_400000_NS6detail17trampoline_kernelINS0_14default_configENS1_36segmented_radix_sort_config_selectorIalEEZNS1_25segmented_radix_sort_implIS3_Lb0EPKaPaPKlPlN2at6native12_GLOBAL__N_18offset_tEEE10hipError_tPvRmT1_PNSt15iterator_traitsISK_E10value_typeET2_T3_PNSL_ISQ_E10value_typeET4_jRbjT5_SW_jjP12ihipStream_tbEUlT_E0_NS1_11comp_targetILNS1_3genE5ELNS1_11target_archE942ELNS1_3gpuE9ELNS1_3repE0EEENS1_60segmented_radix_sort_warp_sort_medium_config_static_selectorELNS0_4arch9wavefront6targetE0EEEvSK_,"axG",@progbits,_ZN7rocprim17ROCPRIM_400000_NS6detail17trampoline_kernelINS0_14default_configENS1_36segmented_radix_sort_config_selectorIalEEZNS1_25segmented_radix_sort_implIS3_Lb0EPKaPaPKlPlN2at6native12_GLOBAL__N_18offset_tEEE10hipError_tPvRmT1_PNSt15iterator_traitsISK_E10value_typeET2_T3_PNSL_ISQ_E10value_typeET4_jRbjT5_SW_jjP12ihipStream_tbEUlT_E0_NS1_11comp_targetILNS1_3genE5ELNS1_11target_archE942ELNS1_3gpuE9ELNS1_3repE0EEENS1_60segmented_radix_sort_warp_sort_medium_config_static_selectorELNS0_4arch9wavefront6targetE0EEEvSK_,comdat
.Lfunc_end402:
	.size	_ZN7rocprim17ROCPRIM_400000_NS6detail17trampoline_kernelINS0_14default_configENS1_36segmented_radix_sort_config_selectorIalEEZNS1_25segmented_radix_sort_implIS3_Lb0EPKaPaPKlPlN2at6native12_GLOBAL__N_18offset_tEEE10hipError_tPvRmT1_PNSt15iterator_traitsISK_E10value_typeET2_T3_PNSL_ISQ_E10value_typeET4_jRbjT5_SW_jjP12ihipStream_tbEUlT_E0_NS1_11comp_targetILNS1_3genE5ELNS1_11target_archE942ELNS1_3gpuE9ELNS1_3repE0EEENS1_60segmented_radix_sort_warp_sort_medium_config_static_selectorELNS0_4arch9wavefront6targetE0EEEvSK_, .Lfunc_end402-_ZN7rocprim17ROCPRIM_400000_NS6detail17trampoline_kernelINS0_14default_configENS1_36segmented_radix_sort_config_selectorIalEEZNS1_25segmented_radix_sort_implIS3_Lb0EPKaPaPKlPlN2at6native12_GLOBAL__N_18offset_tEEE10hipError_tPvRmT1_PNSt15iterator_traitsISK_E10value_typeET2_T3_PNSL_ISQ_E10value_typeET4_jRbjT5_SW_jjP12ihipStream_tbEUlT_E0_NS1_11comp_targetILNS1_3genE5ELNS1_11target_archE942ELNS1_3gpuE9ELNS1_3repE0EEENS1_60segmented_radix_sort_warp_sort_medium_config_static_selectorELNS0_4arch9wavefront6targetE0EEEvSK_
                                        ; -- End function
	.set _ZN7rocprim17ROCPRIM_400000_NS6detail17trampoline_kernelINS0_14default_configENS1_36segmented_radix_sort_config_selectorIalEEZNS1_25segmented_radix_sort_implIS3_Lb0EPKaPaPKlPlN2at6native12_GLOBAL__N_18offset_tEEE10hipError_tPvRmT1_PNSt15iterator_traitsISK_E10value_typeET2_T3_PNSL_ISQ_E10value_typeET4_jRbjT5_SW_jjP12ihipStream_tbEUlT_E0_NS1_11comp_targetILNS1_3genE5ELNS1_11target_archE942ELNS1_3gpuE9ELNS1_3repE0EEENS1_60segmented_radix_sort_warp_sort_medium_config_static_selectorELNS0_4arch9wavefront6targetE0EEEvSK_.num_vgpr, 0
	.set _ZN7rocprim17ROCPRIM_400000_NS6detail17trampoline_kernelINS0_14default_configENS1_36segmented_radix_sort_config_selectorIalEEZNS1_25segmented_radix_sort_implIS3_Lb0EPKaPaPKlPlN2at6native12_GLOBAL__N_18offset_tEEE10hipError_tPvRmT1_PNSt15iterator_traitsISK_E10value_typeET2_T3_PNSL_ISQ_E10value_typeET4_jRbjT5_SW_jjP12ihipStream_tbEUlT_E0_NS1_11comp_targetILNS1_3genE5ELNS1_11target_archE942ELNS1_3gpuE9ELNS1_3repE0EEENS1_60segmented_radix_sort_warp_sort_medium_config_static_selectorELNS0_4arch9wavefront6targetE0EEEvSK_.num_agpr, 0
	.set _ZN7rocprim17ROCPRIM_400000_NS6detail17trampoline_kernelINS0_14default_configENS1_36segmented_radix_sort_config_selectorIalEEZNS1_25segmented_radix_sort_implIS3_Lb0EPKaPaPKlPlN2at6native12_GLOBAL__N_18offset_tEEE10hipError_tPvRmT1_PNSt15iterator_traitsISK_E10value_typeET2_T3_PNSL_ISQ_E10value_typeET4_jRbjT5_SW_jjP12ihipStream_tbEUlT_E0_NS1_11comp_targetILNS1_3genE5ELNS1_11target_archE942ELNS1_3gpuE9ELNS1_3repE0EEENS1_60segmented_radix_sort_warp_sort_medium_config_static_selectorELNS0_4arch9wavefront6targetE0EEEvSK_.numbered_sgpr, 0
	.set _ZN7rocprim17ROCPRIM_400000_NS6detail17trampoline_kernelINS0_14default_configENS1_36segmented_radix_sort_config_selectorIalEEZNS1_25segmented_radix_sort_implIS3_Lb0EPKaPaPKlPlN2at6native12_GLOBAL__N_18offset_tEEE10hipError_tPvRmT1_PNSt15iterator_traitsISK_E10value_typeET2_T3_PNSL_ISQ_E10value_typeET4_jRbjT5_SW_jjP12ihipStream_tbEUlT_E0_NS1_11comp_targetILNS1_3genE5ELNS1_11target_archE942ELNS1_3gpuE9ELNS1_3repE0EEENS1_60segmented_radix_sort_warp_sort_medium_config_static_selectorELNS0_4arch9wavefront6targetE0EEEvSK_.num_named_barrier, 0
	.set _ZN7rocprim17ROCPRIM_400000_NS6detail17trampoline_kernelINS0_14default_configENS1_36segmented_radix_sort_config_selectorIalEEZNS1_25segmented_radix_sort_implIS3_Lb0EPKaPaPKlPlN2at6native12_GLOBAL__N_18offset_tEEE10hipError_tPvRmT1_PNSt15iterator_traitsISK_E10value_typeET2_T3_PNSL_ISQ_E10value_typeET4_jRbjT5_SW_jjP12ihipStream_tbEUlT_E0_NS1_11comp_targetILNS1_3genE5ELNS1_11target_archE942ELNS1_3gpuE9ELNS1_3repE0EEENS1_60segmented_radix_sort_warp_sort_medium_config_static_selectorELNS0_4arch9wavefront6targetE0EEEvSK_.private_seg_size, 0
	.set _ZN7rocprim17ROCPRIM_400000_NS6detail17trampoline_kernelINS0_14default_configENS1_36segmented_radix_sort_config_selectorIalEEZNS1_25segmented_radix_sort_implIS3_Lb0EPKaPaPKlPlN2at6native12_GLOBAL__N_18offset_tEEE10hipError_tPvRmT1_PNSt15iterator_traitsISK_E10value_typeET2_T3_PNSL_ISQ_E10value_typeET4_jRbjT5_SW_jjP12ihipStream_tbEUlT_E0_NS1_11comp_targetILNS1_3genE5ELNS1_11target_archE942ELNS1_3gpuE9ELNS1_3repE0EEENS1_60segmented_radix_sort_warp_sort_medium_config_static_selectorELNS0_4arch9wavefront6targetE0EEEvSK_.uses_vcc, 0
	.set _ZN7rocprim17ROCPRIM_400000_NS6detail17trampoline_kernelINS0_14default_configENS1_36segmented_radix_sort_config_selectorIalEEZNS1_25segmented_radix_sort_implIS3_Lb0EPKaPaPKlPlN2at6native12_GLOBAL__N_18offset_tEEE10hipError_tPvRmT1_PNSt15iterator_traitsISK_E10value_typeET2_T3_PNSL_ISQ_E10value_typeET4_jRbjT5_SW_jjP12ihipStream_tbEUlT_E0_NS1_11comp_targetILNS1_3genE5ELNS1_11target_archE942ELNS1_3gpuE9ELNS1_3repE0EEENS1_60segmented_radix_sort_warp_sort_medium_config_static_selectorELNS0_4arch9wavefront6targetE0EEEvSK_.uses_flat_scratch, 0
	.set _ZN7rocprim17ROCPRIM_400000_NS6detail17trampoline_kernelINS0_14default_configENS1_36segmented_radix_sort_config_selectorIalEEZNS1_25segmented_radix_sort_implIS3_Lb0EPKaPaPKlPlN2at6native12_GLOBAL__N_18offset_tEEE10hipError_tPvRmT1_PNSt15iterator_traitsISK_E10value_typeET2_T3_PNSL_ISQ_E10value_typeET4_jRbjT5_SW_jjP12ihipStream_tbEUlT_E0_NS1_11comp_targetILNS1_3genE5ELNS1_11target_archE942ELNS1_3gpuE9ELNS1_3repE0EEENS1_60segmented_radix_sort_warp_sort_medium_config_static_selectorELNS0_4arch9wavefront6targetE0EEEvSK_.has_dyn_sized_stack, 0
	.set _ZN7rocprim17ROCPRIM_400000_NS6detail17trampoline_kernelINS0_14default_configENS1_36segmented_radix_sort_config_selectorIalEEZNS1_25segmented_radix_sort_implIS3_Lb0EPKaPaPKlPlN2at6native12_GLOBAL__N_18offset_tEEE10hipError_tPvRmT1_PNSt15iterator_traitsISK_E10value_typeET2_T3_PNSL_ISQ_E10value_typeET4_jRbjT5_SW_jjP12ihipStream_tbEUlT_E0_NS1_11comp_targetILNS1_3genE5ELNS1_11target_archE942ELNS1_3gpuE9ELNS1_3repE0EEENS1_60segmented_radix_sort_warp_sort_medium_config_static_selectorELNS0_4arch9wavefront6targetE0EEEvSK_.has_recursion, 0
	.set _ZN7rocprim17ROCPRIM_400000_NS6detail17trampoline_kernelINS0_14default_configENS1_36segmented_radix_sort_config_selectorIalEEZNS1_25segmented_radix_sort_implIS3_Lb0EPKaPaPKlPlN2at6native12_GLOBAL__N_18offset_tEEE10hipError_tPvRmT1_PNSt15iterator_traitsISK_E10value_typeET2_T3_PNSL_ISQ_E10value_typeET4_jRbjT5_SW_jjP12ihipStream_tbEUlT_E0_NS1_11comp_targetILNS1_3genE5ELNS1_11target_archE942ELNS1_3gpuE9ELNS1_3repE0EEENS1_60segmented_radix_sort_warp_sort_medium_config_static_selectorELNS0_4arch9wavefront6targetE0EEEvSK_.has_indirect_call, 0
	.section	.AMDGPU.csdata,"",@progbits
; Kernel info:
; codeLenInByte = 0
; TotalNumSgprs: 0
; NumVgprs: 0
; ScratchSize: 0
; MemoryBound: 0
; FloatMode: 240
; IeeeMode: 1
; LDSByteSize: 0 bytes/workgroup (compile time only)
; SGPRBlocks: 0
; VGPRBlocks: 0
; NumSGPRsForWavesPerEU: 1
; NumVGPRsForWavesPerEU: 1
; NamedBarCnt: 0
; Occupancy: 16
; WaveLimiterHint : 0
; COMPUTE_PGM_RSRC2:SCRATCH_EN: 0
; COMPUTE_PGM_RSRC2:USER_SGPR: 2
; COMPUTE_PGM_RSRC2:TRAP_HANDLER: 0
; COMPUTE_PGM_RSRC2:TGID_X_EN: 1
; COMPUTE_PGM_RSRC2:TGID_Y_EN: 0
; COMPUTE_PGM_RSRC2:TGID_Z_EN: 0
; COMPUTE_PGM_RSRC2:TIDIG_COMP_CNT: 0
	.section	.text._ZN7rocprim17ROCPRIM_400000_NS6detail17trampoline_kernelINS0_14default_configENS1_36segmented_radix_sort_config_selectorIalEEZNS1_25segmented_radix_sort_implIS3_Lb0EPKaPaPKlPlN2at6native12_GLOBAL__N_18offset_tEEE10hipError_tPvRmT1_PNSt15iterator_traitsISK_E10value_typeET2_T3_PNSL_ISQ_E10value_typeET4_jRbjT5_SW_jjP12ihipStream_tbEUlT_E0_NS1_11comp_targetILNS1_3genE4ELNS1_11target_archE910ELNS1_3gpuE8ELNS1_3repE0EEENS1_60segmented_radix_sort_warp_sort_medium_config_static_selectorELNS0_4arch9wavefront6targetE0EEEvSK_,"axG",@progbits,_ZN7rocprim17ROCPRIM_400000_NS6detail17trampoline_kernelINS0_14default_configENS1_36segmented_radix_sort_config_selectorIalEEZNS1_25segmented_radix_sort_implIS3_Lb0EPKaPaPKlPlN2at6native12_GLOBAL__N_18offset_tEEE10hipError_tPvRmT1_PNSt15iterator_traitsISK_E10value_typeET2_T3_PNSL_ISQ_E10value_typeET4_jRbjT5_SW_jjP12ihipStream_tbEUlT_E0_NS1_11comp_targetILNS1_3genE4ELNS1_11target_archE910ELNS1_3gpuE8ELNS1_3repE0EEENS1_60segmented_radix_sort_warp_sort_medium_config_static_selectorELNS0_4arch9wavefront6targetE0EEEvSK_,comdat
	.globl	_ZN7rocprim17ROCPRIM_400000_NS6detail17trampoline_kernelINS0_14default_configENS1_36segmented_radix_sort_config_selectorIalEEZNS1_25segmented_radix_sort_implIS3_Lb0EPKaPaPKlPlN2at6native12_GLOBAL__N_18offset_tEEE10hipError_tPvRmT1_PNSt15iterator_traitsISK_E10value_typeET2_T3_PNSL_ISQ_E10value_typeET4_jRbjT5_SW_jjP12ihipStream_tbEUlT_E0_NS1_11comp_targetILNS1_3genE4ELNS1_11target_archE910ELNS1_3gpuE8ELNS1_3repE0EEENS1_60segmented_radix_sort_warp_sort_medium_config_static_selectorELNS0_4arch9wavefront6targetE0EEEvSK_ ; -- Begin function _ZN7rocprim17ROCPRIM_400000_NS6detail17trampoline_kernelINS0_14default_configENS1_36segmented_radix_sort_config_selectorIalEEZNS1_25segmented_radix_sort_implIS3_Lb0EPKaPaPKlPlN2at6native12_GLOBAL__N_18offset_tEEE10hipError_tPvRmT1_PNSt15iterator_traitsISK_E10value_typeET2_T3_PNSL_ISQ_E10value_typeET4_jRbjT5_SW_jjP12ihipStream_tbEUlT_E0_NS1_11comp_targetILNS1_3genE4ELNS1_11target_archE910ELNS1_3gpuE8ELNS1_3repE0EEENS1_60segmented_radix_sort_warp_sort_medium_config_static_selectorELNS0_4arch9wavefront6targetE0EEEvSK_
	.p2align	8
	.type	_ZN7rocprim17ROCPRIM_400000_NS6detail17trampoline_kernelINS0_14default_configENS1_36segmented_radix_sort_config_selectorIalEEZNS1_25segmented_radix_sort_implIS3_Lb0EPKaPaPKlPlN2at6native12_GLOBAL__N_18offset_tEEE10hipError_tPvRmT1_PNSt15iterator_traitsISK_E10value_typeET2_T3_PNSL_ISQ_E10value_typeET4_jRbjT5_SW_jjP12ihipStream_tbEUlT_E0_NS1_11comp_targetILNS1_3genE4ELNS1_11target_archE910ELNS1_3gpuE8ELNS1_3repE0EEENS1_60segmented_radix_sort_warp_sort_medium_config_static_selectorELNS0_4arch9wavefront6targetE0EEEvSK_,@function
_ZN7rocprim17ROCPRIM_400000_NS6detail17trampoline_kernelINS0_14default_configENS1_36segmented_radix_sort_config_selectorIalEEZNS1_25segmented_radix_sort_implIS3_Lb0EPKaPaPKlPlN2at6native12_GLOBAL__N_18offset_tEEE10hipError_tPvRmT1_PNSt15iterator_traitsISK_E10value_typeET2_T3_PNSL_ISQ_E10value_typeET4_jRbjT5_SW_jjP12ihipStream_tbEUlT_E0_NS1_11comp_targetILNS1_3genE4ELNS1_11target_archE910ELNS1_3gpuE8ELNS1_3repE0EEENS1_60segmented_radix_sort_warp_sort_medium_config_static_selectorELNS0_4arch9wavefront6targetE0EEEvSK_: ; @_ZN7rocprim17ROCPRIM_400000_NS6detail17trampoline_kernelINS0_14default_configENS1_36segmented_radix_sort_config_selectorIalEEZNS1_25segmented_radix_sort_implIS3_Lb0EPKaPaPKlPlN2at6native12_GLOBAL__N_18offset_tEEE10hipError_tPvRmT1_PNSt15iterator_traitsISK_E10value_typeET2_T3_PNSL_ISQ_E10value_typeET4_jRbjT5_SW_jjP12ihipStream_tbEUlT_E0_NS1_11comp_targetILNS1_3genE4ELNS1_11target_archE910ELNS1_3gpuE8ELNS1_3repE0EEENS1_60segmented_radix_sort_warp_sort_medium_config_static_selectorELNS0_4arch9wavefront6targetE0EEEvSK_
; %bb.0:
	.section	.rodata,"a",@progbits
	.p2align	6, 0x0
	.amdhsa_kernel _ZN7rocprim17ROCPRIM_400000_NS6detail17trampoline_kernelINS0_14default_configENS1_36segmented_radix_sort_config_selectorIalEEZNS1_25segmented_radix_sort_implIS3_Lb0EPKaPaPKlPlN2at6native12_GLOBAL__N_18offset_tEEE10hipError_tPvRmT1_PNSt15iterator_traitsISK_E10value_typeET2_T3_PNSL_ISQ_E10value_typeET4_jRbjT5_SW_jjP12ihipStream_tbEUlT_E0_NS1_11comp_targetILNS1_3genE4ELNS1_11target_archE910ELNS1_3gpuE8ELNS1_3repE0EEENS1_60segmented_radix_sort_warp_sort_medium_config_static_selectorELNS0_4arch9wavefront6targetE0EEEvSK_
		.amdhsa_group_segment_fixed_size 0
		.amdhsa_private_segment_fixed_size 0
		.amdhsa_kernarg_size 88
		.amdhsa_user_sgpr_count 2
		.amdhsa_user_sgpr_dispatch_ptr 0
		.amdhsa_user_sgpr_queue_ptr 0
		.amdhsa_user_sgpr_kernarg_segment_ptr 1
		.amdhsa_user_sgpr_dispatch_id 0
		.amdhsa_user_sgpr_kernarg_preload_length 0
		.amdhsa_user_sgpr_kernarg_preload_offset 0
		.amdhsa_user_sgpr_private_segment_size 0
		.amdhsa_wavefront_size32 1
		.amdhsa_uses_dynamic_stack 0
		.amdhsa_enable_private_segment 0
		.amdhsa_system_sgpr_workgroup_id_x 1
		.amdhsa_system_sgpr_workgroup_id_y 0
		.amdhsa_system_sgpr_workgroup_id_z 0
		.amdhsa_system_sgpr_workgroup_info 0
		.amdhsa_system_vgpr_workitem_id 0
		.amdhsa_next_free_vgpr 1
		.amdhsa_next_free_sgpr 1
		.amdhsa_named_barrier_count 0
		.amdhsa_reserve_vcc 0
		.amdhsa_float_round_mode_32 0
		.amdhsa_float_round_mode_16_64 0
		.amdhsa_float_denorm_mode_32 3
		.amdhsa_float_denorm_mode_16_64 3
		.amdhsa_fp16_overflow 0
		.amdhsa_memory_ordered 1
		.amdhsa_forward_progress 1
		.amdhsa_inst_pref_size 0
		.amdhsa_round_robin_scheduling 0
		.amdhsa_exception_fp_ieee_invalid_op 0
		.amdhsa_exception_fp_denorm_src 0
		.amdhsa_exception_fp_ieee_div_zero 0
		.amdhsa_exception_fp_ieee_overflow 0
		.amdhsa_exception_fp_ieee_underflow 0
		.amdhsa_exception_fp_ieee_inexact 0
		.amdhsa_exception_int_div_zero 0
	.end_amdhsa_kernel
	.section	.text._ZN7rocprim17ROCPRIM_400000_NS6detail17trampoline_kernelINS0_14default_configENS1_36segmented_radix_sort_config_selectorIalEEZNS1_25segmented_radix_sort_implIS3_Lb0EPKaPaPKlPlN2at6native12_GLOBAL__N_18offset_tEEE10hipError_tPvRmT1_PNSt15iterator_traitsISK_E10value_typeET2_T3_PNSL_ISQ_E10value_typeET4_jRbjT5_SW_jjP12ihipStream_tbEUlT_E0_NS1_11comp_targetILNS1_3genE4ELNS1_11target_archE910ELNS1_3gpuE8ELNS1_3repE0EEENS1_60segmented_radix_sort_warp_sort_medium_config_static_selectorELNS0_4arch9wavefront6targetE0EEEvSK_,"axG",@progbits,_ZN7rocprim17ROCPRIM_400000_NS6detail17trampoline_kernelINS0_14default_configENS1_36segmented_radix_sort_config_selectorIalEEZNS1_25segmented_radix_sort_implIS3_Lb0EPKaPaPKlPlN2at6native12_GLOBAL__N_18offset_tEEE10hipError_tPvRmT1_PNSt15iterator_traitsISK_E10value_typeET2_T3_PNSL_ISQ_E10value_typeET4_jRbjT5_SW_jjP12ihipStream_tbEUlT_E0_NS1_11comp_targetILNS1_3genE4ELNS1_11target_archE910ELNS1_3gpuE8ELNS1_3repE0EEENS1_60segmented_radix_sort_warp_sort_medium_config_static_selectorELNS0_4arch9wavefront6targetE0EEEvSK_,comdat
.Lfunc_end403:
	.size	_ZN7rocprim17ROCPRIM_400000_NS6detail17trampoline_kernelINS0_14default_configENS1_36segmented_radix_sort_config_selectorIalEEZNS1_25segmented_radix_sort_implIS3_Lb0EPKaPaPKlPlN2at6native12_GLOBAL__N_18offset_tEEE10hipError_tPvRmT1_PNSt15iterator_traitsISK_E10value_typeET2_T3_PNSL_ISQ_E10value_typeET4_jRbjT5_SW_jjP12ihipStream_tbEUlT_E0_NS1_11comp_targetILNS1_3genE4ELNS1_11target_archE910ELNS1_3gpuE8ELNS1_3repE0EEENS1_60segmented_radix_sort_warp_sort_medium_config_static_selectorELNS0_4arch9wavefront6targetE0EEEvSK_, .Lfunc_end403-_ZN7rocprim17ROCPRIM_400000_NS6detail17trampoline_kernelINS0_14default_configENS1_36segmented_radix_sort_config_selectorIalEEZNS1_25segmented_radix_sort_implIS3_Lb0EPKaPaPKlPlN2at6native12_GLOBAL__N_18offset_tEEE10hipError_tPvRmT1_PNSt15iterator_traitsISK_E10value_typeET2_T3_PNSL_ISQ_E10value_typeET4_jRbjT5_SW_jjP12ihipStream_tbEUlT_E0_NS1_11comp_targetILNS1_3genE4ELNS1_11target_archE910ELNS1_3gpuE8ELNS1_3repE0EEENS1_60segmented_radix_sort_warp_sort_medium_config_static_selectorELNS0_4arch9wavefront6targetE0EEEvSK_
                                        ; -- End function
	.set _ZN7rocprim17ROCPRIM_400000_NS6detail17trampoline_kernelINS0_14default_configENS1_36segmented_radix_sort_config_selectorIalEEZNS1_25segmented_radix_sort_implIS3_Lb0EPKaPaPKlPlN2at6native12_GLOBAL__N_18offset_tEEE10hipError_tPvRmT1_PNSt15iterator_traitsISK_E10value_typeET2_T3_PNSL_ISQ_E10value_typeET4_jRbjT5_SW_jjP12ihipStream_tbEUlT_E0_NS1_11comp_targetILNS1_3genE4ELNS1_11target_archE910ELNS1_3gpuE8ELNS1_3repE0EEENS1_60segmented_radix_sort_warp_sort_medium_config_static_selectorELNS0_4arch9wavefront6targetE0EEEvSK_.num_vgpr, 0
	.set _ZN7rocprim17ROCPRIM_400000_NS6detail17trampoline_kernelINS0_14default_configENS1_36segmented_radix_sort_config_selectorIalEEZNS1_25segmented_radix_sort_implIS3_Lb0EPKaPaPKlPlN2at6native12_GLOBAL__N_18offset_tEEE10hipError_tPvRmT1_PNSt15iterator_traitsISK_E10value_typeET2_T3_PNSL_ISQ_E10value_typeET4_jRbjT5_SW_jjP12ihipStream_tbEUlT_E0_NS1_11comp_targetILNS1_3genE4ELNS1_11target_archE910ELNS1_3gpuE8ELNS1_3repE0EEENS1_60segmented_radix_sort_warp_sort_medium_config_static_selectorELNS0_4arch9wavefront6targetE0EEEvSK_.num_agpr, 0
	.set _ZN7rocprim17ROCPRIM_400000_NS6detail17trampoline_kernelINS0_14default_configENS1_36segmented_radix_sort_config_selectorIalEEZNS1_25segmented_radix_sort_implIS3_Lb0EPKaPaPKlPlN2at6native12_GLOBAL__N_18offset_tEEE10hipError_tPvRmT1_PNSt15iterator_traitsISK_E10value_typeET2_T3_PNSL_ISQ_E10value_typeET4_jRbjT5_SW_jjP12ihipStream_tbEUlT_E0_NS1_11comp_targetILNS1_3genE4ELNS1_11target_archE910ELNS1_3gpuE8ELNS1_3repE0EEENS1_60segmented_radix_sort_warp_sort_medium_config_static_selectorELNS0_4arch9wavefront6targetE0EEEvSK_.numbered_sgpr, 0
	.set _ZN7rocprim17ROCPRIM_400000_NS6detail17trampoline_kernelINS0_14default_configENS1_36segmented_radix_sort_config_selectorIalEEZNS1_25segmented_radix_sort_implIS3_Lb0EPKaPaPKlPlN2at6native12_GLOBAL__N_18offset_tEEE10hipError_tPvRmT1_PNSt15iterator_traitsISK_E10value_typeET2_T3_PNSL_ISQ_E10value_typeET4_jRbjT5_SW_jjP12ihipStream_tbEUlT_E0_NS1_11comp_targetILNS1_3genE4ELNS1_11target_archE910ELNS1_3gpuE8ELNS1_3repE0EEENS1_60segmented_radix_sort_warp_sort_medium_config_static_selectorELNS0_4arch9wavefront6targetE0EEEvSK_.num_named_barrier, 0
	.set _ZN7rocprim17ROCPRIM_400000_NS6detail17trampoline_kernelINS0_14default_configENS1_36segmented_radix_sort_config_selectorIalEEZNS1_25segmented_radix_sort_implIS3_Lb0EPKaPaPKlPlN2at6native12_GLOBAL__N_18offset_tEEE10hipError_tPvRmT1_PNSt15iterator_traitsISK_E10value_typeET2_T3_PNSL_ISQ_E10value_typeET4_jRbjT5_SW_jjP12ihipStream_tbEUlT_E0_NS1_11comp_targetILNS1_3genE4ELNS1_11target_archE910ELNS1_3gpuE8ELNS1_3repE0EEENS1_60segmented_radix_sort_warp_sort_medium_config_static_selectorELNS0_4arch9wavefront6targetE0EEEvSK_.private_seg_size, 0
	.set _ZN7rocprim17ROCPRIM_400000_NS6detail17trampoline_kernelINS0_14default_configENS1_36segmented_radix_sort_config_selectorIalEEZNS1_25segmented_radix_sort_implIS3_Lb0EPKaPaPKlPlN2at6native12_GLOBAL__N_18offset_tEEE10hipError_tPvRmT1_PNSt15iterator_traitsISK_E10value_typeET2_T3_PNSL_ISQ_E10value_typeET4_jRbjT5_SW_jjP12ihipStream_tbEUlT_E0_NS1_11comp_targetILNS1_3genE4ELNS1_11target_archE910ELNS1_3gpuE8ELNS1_3repE0EEENS1_60segmented_radix_sort_warp_sort_medium_config_static_selectorELNS0_4arch9wavefront6targetE0EEEvSK_.uses_vcc, 0
	.set _ZN7rocprim17ROCPRIM_400000_NS6detail17trampoline_kernelINS0_14default_configENS1_36segmented_radix_sort_config_selectorIalEEZNS1_25segmented_radix_sort_implIS3_Lb0EPKaPaPKlPlN2at6native12_GLOBAL__N_18offset_tEEE10hipError_tPvRmT1_PNSt15iterator_traitsISK_E10value_typeET2_T3_PNSL_ISQ_E10value_typeET4_jRbjT5_SW_jjP12ihipStream_tbEUlT_E0_NS1_11comp_targetILNS1_3genE4ELNS1_11target_archE910ELNS1_3gpuE8ELNS1_3repE0EEENS1_60segmented_radix_sort_warp_sort_medium_config_static_selectorELNS0_4arch9wavefront6targetE0EEEvSK_.uses_flat_scratch, 0
	.set _ZN7rocprim17ROCPRIM_400000_NS6detail17trampoline_kernelINS0_14default_configENS1_36segmented_radix_sort_config_selectorIalEEZNS1_25segmented_radix_sort_implIS3_Lb0EPKaPaPKlPlN2at6native12_GLOBAL__N_18offset_tEEE10hipError_tPvRmT1_PNSt15iterator_traitsISK_E10value_typeET2_T3_PNSL_ISQ_E10value_typeET4_jRbjT5_SW_jjP12ihipStream_tbEUlT_E0_NS1_11comp_targetILNS1_3genE4ELNS1_11target_archE910ELNS1_3gpuE8ELNS1_3repE0EEENS1_60segmented_radix_sort_warp_sort_medium_config_static_selectorELNS0_4arch9wavefront6targetE0EEEvSK_.has_dyn_sized_stack, 0
	.set _ZN7rocprim17ROCPRIM_400000_NS6detail17trampoline_kernelINS0_14default_configENS1_36segmented_radix_sort_config_selectorIalEEZNS1_25segmented_radix_sort_implIS3_Lb0EPKaPaPKlPlN2at6native12_GLOBAL__N_18offset_tEEE10hipError_tPvRmT1_PNSt15iterator_traitsISK_E10value_typeET2_T3_PNSL_ISQ_E10value_typeET4_jRbjT5_SW_jjP12ihipStream_tbEUlT_E0_NS1_11comp_targetILNS1_3genE4ELNS1_11target_archE910ELNS1_3gpuE8ELNS1_3repE0EEENS1_60segmented_radix_sort_warp_sort_medium_config_static_selectorELNS0_4arch9wavefront6targetE0EEEvSK_.has_recursion, 0
	.set _ZN7rocprim17ROCPRIM_400000_NS6detail17trampoline_kernelINS0_14default_configENS1_36segmented_radix_sort_config_selectorIalEEZNS1_25segmented_radix_sort_implIS3_Lb0EPKaPaPKlPlN2at6native12_GLOBAL__N_18offset_tEEE10hipError_tPvRmT1_PNSt15iterator_traitsISK_E10value_typeET2_T3_PNSL_ISQ_E10value_typeET4_jRbjT5_SW_jjP12ihipStream_tbEUlT_E0_NS1_11comp_targetILNS1_3genE4ELNS1_11target_archE910ELNS1_3gpuE8ELNS1_3repE0EEENS1_60segmented_radix_sort_warp_sort_medium_config_static_selectorELNS0_4arch9wavefront6targetE0EEEvSK_.has_indirect_call, 0
	.section	.AMDGPU.csdata,"",@progbits
; Kernel info:
; codeLenInByte = 0
; TotalNumSgprs: 0
; NumVgprs: 0
; ScratchSize: 0
; MemoryBound: 0
; FloatMode: 240
; IeeeMode: 1
; LDSByteSize: 0 bytes/workgroup (compile time only)
; SGPRBlocks: 0
; VGPRBlocks: 0
; NumSGPRsForWavesPerEU: 1
; NumVGPRsForWavesPerEU: 1
; NamedBarCnt: 0
; Occupancy: 16
; WaveLimiterHint : 0
; COMPUTE_PGM_RSRC2:SCRATCH_EN: 0
; COMPUTE_PGM_RSRC2:USER_SGPR: 2
; COMPUTE_PGM_RSRC2:TRAP_HANDLER: 0
; COMPUTE_PGM_RSRC2:TGID_X_EN: 1
; COMPUTE_PGM_RSRC2:TGID_Y_EN: 0
; COMPUTE_PGM_RSRC2:TGID_Z_EN: 0
; COMPUTE_PGM_RSRC2:TIDIG_COMP_CNT: 0
	.section	.text._ZN7rocprim17ROCPRIM_400000_NS6detail17trampoline_kernelINS0_14default_configENS1_36segmented_radix_sort_config_selectorIalEEZNS1_25segmented_radix_sort_implIS3_Lb0EPKaPaPKlPlN2at6native12_GLOBAL__N_18offset_tEEE10hipError_tPvRmT1_PNSt15iterator_traitsISK_E10value_typeET2_T3_PNSL_ISQ_E10value_typeET4_jRbjT5_SW_jjP12ihipStream_tbEUlT_E0_NS1_11comp_targetILNS1_3genE3ELNS1_11target_archE908ELNS1_3gpuE7ELNS1_3repE0EEENS1_60segmented_radix_sort_warp_sort_medium_config_static_selectorELNS0_4arch9wavefront6targetE0EEEvSK_,"axG",@progbits,_ZN7rocprim17ROCPRIM_400000_NS6detail17trampoline_kernelINS0_14default_configENS1_36segmented_radix_sort_config_selectorIalEEZNS1_25segmented_radix_sort_implIS3_Lb0EPKaPaPKlPlN2at6native12_GLOBAL__N_18offset_tEEE10hipError_tPvRmT1_PNSt15iterator_traitsISK_E10value_typeET2_T3_PNSL_ISQ_E10value_typeET4_jRbjT5_SW_jjP12ihipStream_tbEUlT_E0_NS1_11comp_targetILNS1_3genE3ELNS1_11target_archE908ELNS1_3gpuE7ELNS1_3repE0EEENS1_60segmented_radix_sort_warp_sort_medium_config_static_selectorELNS0_4arch9wavefront6targetE0EEEvSK_,comdat
	.globl	_ZN7rocprim17ROCPRIM_400000_NS6detail17trampoline_kernelINS0_14default_configENS1_36segmented_radix_sort_config_selectorIalEEZNS1_25segmented_radix_sort_implIS3_Lb0EPKaPaPKlPlN2at6native12_GLOBAL__N_18offset_tEEE10hipError_tPvRmT1_PNSt15iterator_traitsISK_E10value_typeET2_T3_PNSL_ISQ_E10value_typeET4_jRbjT5_SW_jjP12ihipStream_tbEUlT_E0_NS1_11comp_targetILNS1_3genE3ELNS1_11target_archE908ELNS1_3gpuE7ELNS1_3repE0EEENS1_60segmented_radix_sort_warp_sort_medium_config_static_selectorELNS0_4arch9wavefront6targetE0EEEvSK_ ; -- Begin function _ZN7rocprim17ROCPRIM_400000_NS6detail17trampoline_kernelINS0_14default_configENS1_36segmented_radix_sort_config_selectorIalEEZNS1_25segmented_radix_sort_implIS3_Lb0EPKaPaPKlPlN2at6native12_GLOBAL__N_18offset_tEEE10hipError_tPvRmT1_PNSt15iterator_traitsISK_E10value_typeET2_T3_PNSL_ISQ_E10value_typeET4_jRbjT5_SW_jjP12ihipStream_tbEUlT_E0_NS1_11comp_targetILNS1_3genE3ELNS1_11target_archE908ELNS1_3gpuE7ELNS1_3repE0EEENS1_60segmented_radix_sort_warp_sort_medium_config_static_selectorELNS0_4arch9wavefront6targetE0EEEvSK_
	.p2align	8
	.type	_ZN7rocprim17ROCPRIM_400000_NS6detail17trampoline_kernelINS0_14default_configENS1_36segmented_radix_sort_config_selectorIalEEZNS1_25segmented_radix_sort_implIS3_Lb0EPKaPaPKlPlN2at6native12_GLOBAL__N_18offset_tEEE10hipError_tPvRmT1_PNSt15iterator_traitsISK_E10value_typeET2_T3_PNSL_ISQ_E10value_typeET4_jRbjT5_SW_jjP12ihipStream_tbEUlT_E0_NS1_11comp_targetILNS1_3genE3ELNS1_11target_archE908ELNS1_3gpuE7ELNS1_3repE0EEENS1_60segmented_radix_sort_warp_sort_medium_config_static_selectorELNS0_4arch9wavefront6targetE0EEEvSK_,@function
_ZN7rocprim17ROCPRIM_400000_NS6detail17trampoline_kernelINS0_14default_configENS1_36segmented_radix_sort_config_selectorIalEEZNS1_25segmented_radix_sort_implIS3_Lb0EPKaPaPKlPlN2at6native12_GLOBAL__N_18offset_tEEE10hipError_tPvRmT1_PNSt15iterator_traitsISK_E10value_typeET2_T3_PNSL_ISQ_E10value_typeET4_jRbjT5_SW_jjP12ihipStream_tbEUlT_E0_NS1_11comp_targetILNS1_3genE3ELNS1_11target_archE908ELNS1_3gpuE7ELNS1_3repE0EEENS1_60segmented_radix_sort_warp_sort_medium_config_static_selectorELNS0_4arch9wavefront6targetE0EEEvSK_: ; @_ZN7rocprim17ROCPRIM_400000_NS6detail17trampoline_kernelINS0_14default_configENS1_36segmented_radix_sort_config_selectorIalEEZNS1_25segmented_radix_sort_implIS3_Lb0EPKaPaPKlPlN2at6native12_GLOBAL__N_18offset_tEEE10hipError_tPvRmT1_PNSt15iterator_traitsISK_E10value_typeET2_T3_PNSL_ISQ_E10value_typeET4_jRbjT5_SW_jjP12ihipStream_tbEUlT_E0_NS1_11comp_targetILNS1_3genE3ELNS1_11target_archE908ELNS1_3gpuE7ELNS1_3repE0EEENS1_60segmented_radix_sort_warp_sort_medium_config_static_selectorELNS0_4arch9wavefront6targetE0EEEvSK_
; %bb.0:
	.section	.rodata,"a",@progbits
	.p2align	6, 0x0
	.amdhsa_kernel _ZN7rocprim17ROCPRIM_400000_NS6detail17trampoline_kernelINS0_14default_configENS1_36segmented_radix_sort_config_selectorIalEEZNS1_25segmented_radix_sort_implIS3_Lb0EPKaPaPKlPlN2at6native12_GLOBAL__N_18offset_tEEE10hipError_tPvRmT1_PNSt15iterator_traitsISK_E10value_typeET2_T3_PNSL_ISQ_E10value_typeET4_jRbjT5_SW_jjP12ihipStream_tbEUlT_E0_NS1_11comp_targetILNS1_3genE3ELNS1_11target_archE908ELNS1_3gpuE7ELNS1_3repE0EEENS1_60segmented_radix_sort_warp_sort_medium_config_static_selectorELNS0_4arch9wavefront6targetE0EEEvSK_
		.amdhsa_group_segment_fixed_size 0
		.amdhsa_private_segment_fixed_size 0
		.amdhsa_kernarg_size 88
		.amdhsa_user_sgpr_count 2
		.amdhsa_user_sgpr_dispatch_ptr 0
		.amdhsa_user_sgpr_queue_ptr 0
		.amdhsa_user_sgpr_kernarg_segment_ptr 1
		.amdhsa_user_sgpr_dispatch_id 0
		.amdhsa_user_sgpr_kernarg_preload_length 0
		.amdhsa_user_sgpr_kernarg_preload_offset 0
		.amdhsa_user_sgpr_private_segment_size 0
		.amdhsa_wavefront_size32 1
		.amdhsa_uses_dynamic_stack 0
		.amdhsa_enable_private_segment 0
		.amdhsa_system_sgpr_workgroup_id_x 1
		.amdhsa_system_sgpr_workgroup_id_y 0
		.amdhsa_system_sgpr_workgroup_id_z 0
		.amdhsa_system_sgpr_workgroup_info 0
		.amdhsa_system_vgpr_workitem_id 0
		.amdhsa_next_free_vgpr 1
		.amdhsa_next_free_sgpr 1
		.amdhsa_named_barrier_count 0
		.amdhsa_reserve_vcc 0
		.amdhsa_float_round_mode_32 0
		.amdhsa_float_round_mode_16_64 0
		.amdhsa_float_denorm_mode_32 3
		.amdhsa_float_denorm_mode_16_64 3
		.amdhsa_fp16_overflow 0
		.amdhsa_memory_ordered 1
		.amdhsa_forward_progress 1
		.amdhsa_inst_pref_size 0
		.amdhsa_round_robin_scheduling 0
		.amdhsa_exception_fp_ieee_invalid_op 0
		.amdhsa_exception_fp_denorm_src 0
		.amdhsa_exception_fp_ieee_div_zero 0
		.amdhsa_exception_fp_ieee_overflow 0
		.amdhsa_exception_fp_ieee_underflow 0
		.amdhsa_exception_fp_ieee_inexact 0
		.amdhsa_exception_int_div_zero 0
	.end_amdhsa_kernel
	.section	.text._ZN7rocprim17ROCPRIM_400000_NS6detail17trampoline_kernelINS0_14default_configENS1_36segmented_radix_sort_config_selectorIalEEZNS1_25segmented_radix_sort_implIS3_Lb0EPKaPaPKlPlN2at6native12_GLOBAL__N_18offset_tEEE10hipError_tPvRmT1_PNSt15iterator_traitsISK_E10value_typeET2_T3_PNSL_ISQ_E10value_typeET4_jRbjT5_SW_jjP12ihipStream_tbEUlT_E0_NS1_11comp_targetILNS1_3genE3ELNS1_11target_archE908ELNS1_3gpuE7ELNS1_3repE0EEENS1_60segmented_radix_sort_warp_sort_medium_config_static_selectorELNS0_4arch9wavefront6targetE0EEEvSK_,"axG",@progbits,_ZN7rocprim17ROCPRIM_400000_NS6detail17trampoline_kernelINS0_14default_configENS1_36segmented_radix_sort_config_selectorIalEEZNS1_25segmented_radix_sort_implIS3_Lb0EPKaPaPKlPlN2at6native12_GLOBAL__N_18offset_tEEE10hipError_tPvRmT1_PNSt15iterator_traitsISK_E10value_typeET2_T3_PNSL_ISQ_E10value_typeET4_jRbjT5_SW_jjP12ihipStream_tbEUlT_E0_NS1_11comp_targetILNS1_3genE3ELNS1_11target_archE908ELNS1_3gpuE7ELNS1_3repE0EEENS1_60segmented_radix_sort_warp_sort_medium_config_static_selectorELNS0_4arch9wavefront6targetE0EEEvSK_,comdat
.Lfunc_end404:
	.size	_ZN7rocprim17ROCPRIM_400000_NS6detail17trampoline_kernelINS0_14default_configENS1_36segmented_radix_sort_config_selectorIalEEZNS1_25segmented_radix_sort_implIS3_Lb0EPKaPaPKlPlN2at6native12_GLOBAL__N_18offset_tEEE10hipError_tPvRmT1_PNSt15iterator_traitsISK_E10value_typeET2_T3_PNSL_ISQ_E10value_typeET4_jRbjT5_SW_jjP12ihipStream_tbEUlT_E0_NS1_11comp_targetILNS1_3genE3ELNS1_11target_archE908ELNS1_3gpuE7ELNS1_3repE0EEENS1_60segmented_radix_sort_warp_sort_medium_config_static_selectorELNS0_4arch9wavefront6targetE0EEEvSK_, .Lfunc_end404-_ZN7rocprim17ROCPRIM_400000_NS6detail17trampoline_kernelINS0_14default_configENS1_36segmented_radix_sort_config_selectorIalEEZNS1_25segmented_radix_sort_implIS3_Lb0EPKaPaPKlPlN2at6native12_GLOBAL__N_18offset_tEEE10hipError_tPvRmT1_PNSt15iterator_traitsISK_E10value_typeET2_T3_PNSL_ISQ_E10value_typeET4_jRbjT5_SW_jjP12ihipStream_tbEUlT_E0_NS1_11comp_targetILNS1_3genE3ELNS1_11target_archE908ELNS1_3gpuE7ELNS1_3repE0EEENS1_60segmented_radix_sort_warp_sort_medium_config_static_selectorELNS0_4arch9wavefront6targetE0EEEvSK_
                                        ; -- End function
	.set _ZN7rocprim17ROCPRIM_400000_NS6detail17trampoline_kernelINS0_14default_configENS1_36segmented_radix_sort_config_selectorIalEEZNS1_25segmented_radix_sort_implIS3_Lb0EPKaPaPKlPlN2at6native12_GLOBAL__N_18offset_tEEE10hipError_tPvRmT1_PNSt15iterator_traitsISK_E10value_typeET2_T3_PNSL_ISQ_E10value_typeET4_jRbjT5_SW_jjP12ihipStream_tbEUlT_E0_NS1_11comp_targetILNS1_3genE3ELNS1_11target_archE908ELNS1_3gpuE7ELNS1_3repE0EEENS1_60segmented_radix_sort_warp_sort_medium_config_static_selectorELNS0_4arch9wavefront6targetE0EEEvSK_.num_vgpr, 0
	.set _ZN7rocprim17ROCPRIM_400000_NS6detail17trampoline_kernelINS0_14default_configENS1_36segmented_radix_sort_config_selectorIalEEZNS1_25segmented_radix_sort_implIS3_Lb0EPKaPaPKlPlN2at6native12_GLOBAL__N_18offset_tEEE10hipError_tPvRmT1_PNSt15iterator_traitsISK_E10value_typeET2_T3_PNSL_ISQ_E10value_typeET4_jRbjT5_SW_jjP12ihipStream_tbEUlT_E0_NS1_11comp_targetILNS1_3genE3ELNS1_11target_archE908ELNS1_3gpuE7ELNS1_3repE0EEENS1_60segmented_radix_sort_warp_sort_medium_config_static_selectorELNS0_4arch9wavefront6targetE0EEEvSK_.num_agpr, 0
	.set _ZN7rocprim17ROCPRIM_400000_NS6detail17trampoline_kernelINS0_14default_configENS1_36segmented_radix_sort_config_selectorIalEEZNS1_25segmented_radix_sort_implIS3_Lb0EPKaPaPKlPlN2at6native12_GLOBAL__N_18offset_tEEE10hipError_tPvRmT1_PNSt15iterator_traitsISK_E10value_typeET2_T3_PNSL_ISQ_E10value_typeET4_jRbjT5_SW_jjP12ihipStream_tbEUlT_E0_NS1_11comp_targetILNS1_3genE3ELNS1_11target_archE908ELNS1_3gpuE7ELNS1_3repE0EEENS1_60segmented_radix_sort_warp_sort_medium_config_static_selectorELNS0_4arch9wavefront6targetE0EEEvSK_.numbered_sgpr, 0
	.set _ZN7rocprim17ROCPRIM_400000_NS6detail17trampoline_kernelINS0_14default_configENS1_36segmented_radix_sort_config_selectorIalEEZNS1_25segmented_radix_sort_implIS3_Lb0EPKaPaPKlPlN2at6native12_GLOBAL__N_18offset_tEEE10hipError_tPvRmT1_PNSt15iterator_traitsISK_E10value_typeET2_T3_PNSL_ISQ_E10value_typeET4_jRbjT5_SW_jjP12ihipStream_tbEUlT_E0_NS1_11comp_targetILNS1_3genE3ELNS1_11target_archE908ELNS1_3gpuE7ELNS1_3repE0EEENS1_60segmented_radix_sort_warp_sort_medium_config_static_selectorELNS0_4arch9wavefront6targetE0EEEvSK_.num_named_barrier, 0
	.set _ZN7rocprim17ROCPRIM_400000_NS6detail17trampoline_kernelINS0_14default_configENS1_36segmented_radix_sort_config_selectorIalEEZNS1_25segmented_radix_sort_implIS3_Lb0EPKaPaPKlPlN2at6native12_GLOBAL__N_18offset_tEEE10hipError_tPvRmT1_PNSt15iterator_traitsISK_E10value_typeET2_T3_PNSL_ISQ_E10value_typeET4_jRbjT5_SW_jjP12ihipStream_tbEUlT_E0_NS1_11comp_targetILNS1_3genE3ELNS1_11target_archE908ELNS1_3gpuE7ELNS1_3repE0EEENS1_60segmented_radix_sort_warp_sort_medium_config_static_selectorELNS0_4arch9wavefront6targetE0EEEvSK_.private_seg_size, 0
	.set _ZN7rocprim17ROCPRIM_400000_NS6detail17trampoline_kernelINS0_14default_configENS1_36segmented_radix_sort_config_selectorIalEEZNS1_25segmented_radix_sort_implIS3_Lb0EPKaPaPKlPlN2at6native12_GLOBAL__N_18offset_tEEE10hipError_tPvRmT1_PNSt15iterator_traitsISK_E10value_typeET2_T3_PNSL_ISQ_E10value_typeET4_jRbjT5_SW_jjP12ihipStream_tbEUlT_E0_NS1_11comp_targetILNS1_3genE3ELNS1_11target_archE908ELNS1_3gpuE7ELNS1_3repE0EEENS1_60segmented_radix_sort_warp_sort_medium_config_static_selectorELNS0_4arch9wavefront6targetE0EEEvSK_.uses_vcc, 0
	.set _ZN7rocprim17ROCPRIM_400000_NS6detail17trampoline_kernelINS0_14default_configENS1_36segmented_radix_sort_config_selectorIalEEZNS1_25segmented_radix_sort_implIS3_Lb0EPKaPaPKlPlN2at6native12_GLOBAL__N_18offset_tEEE10hipError_tPvRmT1_PNSt15iterator_traitsISK_E10value_typeET2_T3_PNSL_ISQ_E10value_typeET4_jRbjT5_SW_jjP12ihipStream_tbEUlT_E0_NS1_11comp_targetILNS1_3genE3ELNS1_11target_archE908ELNS1_3gpuE7ELNS1_3repE0EEENS1_60segmented_radix_sort_warp_sort_medium_config_static_selectorELNS0_4arch9wavefront6targetE0EEEvSK_.uses_flat_scratch, 0
	.set _ZN7rocprim17ROCPRIM_400000_NS6detail17trampoline_kernelINS0_14default_configENS1_36segmented_radix_sort_config_selectorIalEEZNS1_25segmented_radix_sort_implIS3_Lb0EPKaPaPKlPlN2at6native12_GLOBAL__N_18offset_tEEE10hipError_tPvRmT1_PNSt15iterator_traitsISK_E10value_typeET2_T3_PNSL_ISQ_E10value_typeET4_jRbjT5_SW_jjP12ihipStream_tbEUlT_E0_NS1_11comp_targetILNS1_3genE3ELNS1_11target_archE908ELNS1_3gpuE7ELNS1_3repE0EEENS1_60segmented_radix_sort_warp_sort_medium_config_static_selectorELNS0_4arch9wavefront6targetE0EEEvSK_.has_dyn_sized_stack, 0
	.set _ZN7rocprim17ROCPRIM_400000_NS6detail17trampoline_kernelINS0_14default_configENS1_36segmented_radix_sort_config_selectorIalEEZNS1_25segmented_radix_sort_implIS3_Lb0EPKaPaPKlPlN2at6native12_GLOBAL__N_18offset_tEEE10hipError_tPvRmT1_PNSt15iterator_traitsISK_E10value_typeET2_T3_PNSL_ISQ_E10value_typeET4_jRbjT5_SW_jjP12ihipStream_tbEUlT_E0_NS1_11comp_targetILNS1_3genE3ELNS1_11target_archE908ELNS1_3gpuE7ELNS1_3repE0EEENS1_60segmented_radix_sort_warp_sort_medium_config_static_selectorELNS0_4arch9wavefront6targetE0EEEvSK_.has_recursion, 0
	.set _ZN7rocprim17ROCPRIM_400000_NS6detail17trampoline_kernelINS0_14default_configENS1_36segmented_radix_sort_config_selectorIalEEZNS1_25segmented_radix_sort_implIS3_Lb0EPKaPaPKlPlN2at6native12_GLOBAL__N_18offset_tEEE10hipError_tPvRmT1_PNSt15iterator_traitsISK_E10value_typeET2_T3_PNSL_ISQ_E10value_typeET4_jRbjT5_SW_jjP12ihipStream_tbEUlT_E0_NS1_11comp_targetILNS1_3genE3ELNS1_11target_archE908ELNS1_3gpuE7ELNS1_3repE0EEENS1_60segmented_radix_sort_warp_sort_medium_config_static_selectorELNS0_4arch9wavefront6targetE0EEEvSK_.has_indirect_call, 0
	.section	.AMDGPU.csdata,"",@progbits
; Kernel info:
; codeLenInByte = 0
; TotalNumSgprs: 0
; NumVgprs: 0
; ScratchSize: 0
; MemoryBound: 0
; FloatMode: 240
; IeeeMode: 1
; LDSByteSize: 0 bytes/workgroup (compile time only)
; SGPRBlocks: 0
; VGPRBlocks: 0
; NumSGPRsForWavesPerEU: 1
; NumVGPRsForWavesPerEU: 1
; NamedBarCnt: 0
; Occupancy: 16
; WaveLimiterHint : 0
; COMPUTE_PGM_RSRC2:SCRATCH_EN: 0
; COMPUTE_PGM_RSRC2:USER_SGPR: 2
; COMPUTE_PGM_RSRC2:TRAP_HANDLER: 0
; COMPUTE_PGM_RSRC2:TGID_X_EN: 1
; COMPUTE_PGM_RSRC2:TGID_Y_EN: 0
; COMPUTE_PGM_RSRC2:TGID_Z_EN: 0
; COMPUTE_PGM_RSRC2:TIDIG_COMP_CNT: 0
	.section	.text._ZN7rocprim17ROCPRIM_400000_NS6detail17trampoline_kernelINS0_14default_configENS1_36segmented_radix_sort_config_selectorIalEEZNS1_25segmented_radix_sort_implIS3_Lb0EPKaPaPKlPlN2at6native12_GLOBAL__N_18offset_tEEE10hipError_tPvRmT1_PNSt15iterator_traitsISK_E10value_typeET2_T3_PNSL_ISQ_E10value_typeET4_jRbjT5_SW_jjP12ihipStream_tbEUlT_E0_NS1_11comp_targetILNS1_3genE2ELNS1_11target_archE906ELNS1_3gpuE6ELNS1_3repE0EEENS1_60segmented_radix_sort_warp_sort_medium_config_static_selectorELNS0_4arch9wavefront6targetE0EEEvSK_,"axG",@progbits,_ZN7rocprim17ROCPRIM_400000_NS6detail17trampoline_kernelINS0_14default_configENS1_36segmented_radix_sort_config_selectorIalEEZNS1_25segmented_radix_sort_implIS3_Lb0EPKaPaPKlPlN2at6native12_GLOBAL__N_18offset_tEEE10hipError_tPvRmT1_PNSt15iterator_traitsISK_E10value_typeET2_T3_PNSL_ISQ_E10value_typeET4_jRbjT5_SW_jjP12ihipStream_tbEUlT_E0_NS1_11comp_targetILNS1_3genE2ELNS1_11target_archE906ELNS1_3gpuE6ELNS1_3repE0EEENS1_60segmented_radix_sort_warp_sort_medium_config_static_selectorELNS0_4arch9wavefront6targetE0EEEvSK_,comdat
	.globl	_ZN7rocprim17ROCPRIM_400000_NS6detail17trampoline_kernelINS0_14default_configENS1_36segmented_radix_sort_config_selectorIalEEZNS1_25segmented_radix_sort_implIS3_Lb0EPKaPaPKlPlN2at6native12_GLOBAL__N_18offset_tEEE10hipError_tPvRmT1_PNSt15iterator_traitsISK_E10value_typeET2_T3_PNSL_ISQ_E10value_typeET4_jRbjT5_SW_jjP12ihipStream_tbEUlT_E0_NS1_11comp_targetILNS1_3genE2ELNS1_11target_archE906ELNS1_3gpuE6ELNS1_3repE0EEENS1_60segmented_radix_sort_warp_sort_medium_config_static_selectorELNS0_4arch9wavefront6targetE0EEEvSK_ ; -- Begin function _ZN7rocprim17ROCPRIM_400000_NS6detail17trampoline_kernelINS0_14default_configENS1_36segmented_radix_sort_config_selectorIalEEZNS1_25segmented_radix_sort_implIS3_Lb0EPKaPaPKlPlN2at6native12_GLOBAL__N_18offset_tEEE10hipError_tPvRmT1_PNSt15iterator_traitsISK_E10value_typeET2_T3_PNSL_ISQ_E10value_typeET4_jRbjT5_SW_jjP12ihipStream_tbEUlT_E0_NS1_11comp_targetILNS1_3genE2ELNS1_11target_archE906ELNS1_3gpuE6ELNS1_3repE0EEENS1_60segmented_radix_sort_warp_sort_medium_config_static_selectorELNS0_4arch9wavefront6targetE0EEEvSK_
	.p2align	8
	.type	_ZN7rocprim17ROCPRIM_400000_NS6detail17trampoline_kernelINS0_14default_configENS1_36segmented_radix_sort_config_selectorIalEEZNS1_25segmented_radix_sort_implIS3_Lb0EPKaPaPKlPlN2at6native12_GLOBAL__N_18offset_tEEE10hipError_tPvRmT1_PNSt15iterator_traitsISK_E10value_typeET2_T3_PNSL_ISQ_E10value_typeET4_jRbjT5_SW_jjP12ihipStream_tbEUlT_E0_NS1_11comp_targetILNS1_3genE2ELNS1_11target_archE906ELNS1_3gpuE6ELNS1_3repE0EEENS1_60segmented_radix_sort_warp_sort_medium_config_static_selectorELNS0_4arch9wavefront6targetE0EEEvSK_,@function
_ZN7rocprim17ROCPRIM_400000_NS6detail17trampoline_kernelINS0_14default_configENS1_36segmented_radix_sort_config_selectorIalEEZNS1_25segmented_radix_sort_implIS3_Lb0EPKaPaPKlPlN2at6native12_GLOBAL__N_18offset_tEEE10hipError_tPvRmT1_PNSt15iterator_traitsISK_E10value_typeET2_T3_PNSL_ISQ_E10value_typeET4_jRbjT5_SW_jjP12ihipStream_tbEUlT_E0_NS1_11comp_targetILNS1_3genE2ELNS1_11target_archE906ELNS1_3gpuE6ELNS1_3repE0EEENS1_60segmented_radix_sort_warp_sort_medium_config_static_selectorELNS0_4arch9wavefront6targetE0EEEvSK_: ; @_ZN7rocprim17ROCPRIM_400000_NS6detail17trampoline_kernelINS0_14default_configENS1_36segmented_radix_sort_config_selectorIalEEZNS1_25segmented_radix_sort_implIS3_Lb0EPKaPaPKlPlN2at6native12_GLOBAL__N_18offset_tEEE10hipError_tPvRmT1_PNSt15iterator_traitsISK_E10value_typeET2_T3_PNSL_ISQ_E10value_typeET4_jRbjT5_SW_jjP12ihipStream_tbEUlT_E0_NS1_11comp_targetILNS1_3genE2ELNS1_11target_archE906ELNS1_3gpuE6ELNS1_3repE0EEENS1_60segmented_radix_sort_warp_sort_medium_config_static_selectorELNS0_4arch9wavefront6targetE0EEEvSK_
; %bb.0:
	.section	.rodata,"a",@progbits
	.p2align	6, 0x0
	.amdhsa_kernel _ZN7rocprim17ROCPRIM_400000_NS6detail17trampoline_kernelINS0_14default_configENS1_36segmented_radix_sort_config_selectorIalEEZNS1_25segmented_radix_sort_implIS3_Lb0EPKaPaPKlPlN2at6native12_GLOBAL__N_18offset_tEEE10hipError_tPvRmT1_PNSt15iterator_traitsISK_E10value_typeET2_T3_PNSL_ISQ_E10value_typeET4_jRbjT5_SW_jjP12ihipStream_tbEUlT_E0_NS1_11comp_targetILNS1_3genE2ELNS1_11target_archE906ELNS1_3gpuE6ELNS1_3repE0EEENS1_60segmented_radix_sort_warp_sort_medium_config_static_selectorELNS0_4arch9wavefront6targetE0EEEvSK_
		.amdhsa_group_segment_fixed_size 0
		.amdhsa_private_segment_fixed_size 0
		.amdhsa_kernarg_size 88
		.amdhsa_user_sgpr_count 2
		.amdhsa_user_sgpr_dispatch_ptr 0
		.amdhsa_user_sgpr_queue_ptr 0
		.amdhsa_user_sgpr_kernarg_segment_ptr 1
		.amdhsa_user_sgpr_dispatch_id 0
		.amdhsa_user_sgpr_kernarg_preload_length 0
		.amdhsa_user_sgpr_kernarg_preload_offset 0
		.amdhsa_user_sgpr_private_segment_size 0
		.amdhsa_wavefront_size32 1
		.amdhsa_uses_dynamic_stack 0
		.amdhsa_enable_private_segment 0
		.amdhsa_system_sgpr_workgroup_id_x 1
		.amdhsa_system_sgpr_workgroup_id_y 0
		.amdhsa_system_sgpr_workgroup_id_z 0
		.amdhsa_system_sgpr_workgroup_info 0
		.amdhsa_system_vgpr_workitem_id 0
		.amdhsa_next_free_vgpr 1
		.amdhsa_next_free_sgpr 1
		.amdhsa_named_barrier_count 0
		.amdhsa_reserve_vcc 0
		.amdhsa_float_round_mode_32 0
		.amdhsa_float_round_mode_16_64 0
		.amdhsa_float_denorm_mode_32 3
		.amdhsa_float_denorm_mode_16_64 3
		.amdhsa_fp16_overflow 0
		.amdhsa_memory_ordered 1
		.amdhsa_forward_progress 1
		.amdhsa_inst_pref_size 0
		.amdhsa_round_robin_scheduling 0
		.amdhsa_exception_fp_ieee_invalid_op 0
		.amdhsa_exception_fp_denorm_src 0
		.amdhsa_exception_fp_ieee_div_zero 0
		.amdhsa_exception_fp_ieee_overflow 0
		.amdhsa_exception_fp_ieee_underflow 0
		.amdhsa_exception_fp_ieee_inexact 0
		.amdhsa_exception_int_div_zero 0
	.end_amdhsa_kernel
	.section	.text._ZN7rocprim17ROCPRIM_400000_NS6detail17trampoline_kernelINS0_14default_configENS1_36segmented_radix_sort_config_selectorIalEEZNS1_25segmented_radix_sort_implIS3_Lb0EPKaPaPKlPlN2at6native12_GLOBAL__N_18offset_tEEE10hipError_tPvRmT1_PNSt15iterator_traitsISK_E10value_typeET2_T3_PNSL_ISQ_E10value_typeET4_jRbjT5_SW_jjP12ihipStream_tbEUlT_E0_NS1_11comp_targetILNS1_3genE2ELNS1_11target_archE906ELNS1_3gpuE6ELNS1_3repE0EEENS1_60segmented_radix_sort_warp_sort_medium_config_static_selectorELNS0_4arch9wavefront6targetE0EEEvSK_,"axG",@progbits,_ZN7rocprim17ROCPRIM_400000_NS6detail17trampoline_kernelINS0_14default_configENS1_36segmented_radix_sort_config_selectorIalEEZNS1_25segmented_radix_sort_implIS3_Lb0EPKaPaPKlPlN2at6native12_GLOBAL__N_18offset_tEEE10hipError_tPvRmT1_PNSt15iterator_traitsISK_E10value_typeET2_T3_PNSL_ISQ_E10value_typeET4_jRbjT5_SW_jjP12ihipStream_tbEUlT_E0_NS1_11comp_targetILNS1_3genE2ELNS1_11target_archE906ELNS1_3gpuE6ELNS1_3repE0EEENS1_60segmented_radix_sort_warp_sort_medium_config_static_selectorELNS0_4arch9wavefront6targetE0EEEvSK_,comdat
.Lfunc_end405:
	.size	_ZN7rocprim17ROCPRIM_400000_NS6detail17trampoline_kernelINS0_14default_configENS1_36segmented_radix_sort_config_selectorIalEEZNS1_25segmented_radix_sort_implIS3_Lb0EPKaPaPKlPlN2at6native12_GLOBAL__N_18offset_tEEE10hipError_tPvRmT1_PNSt15iterator_traitsISK_E10value_typeET2_T3_PNSL_ISQ_E10value_typeET4_jRbjT5_SW_jjP12ihipStream_tbEUlT_E0_NS1_11comp_targetILNS1_3genE2ELNS1_11target_archE906ELNS1_3gpuE6ELNS1_3repE0EEENS1_60segmented_radix_sort_warp_sort_medium_config_static_selectorELNS0_4arch9wavefront6targetE0EEEvSK_, .Lfunc_end405-_ZN7rocprim17ROCPRIM_400000_NS6detail17trampoline_kernelINS0_14default_configENS1_36segmented_radix_sort_config_selectorIalEEZNS1_25segmented_radix_sort_implIS3_Lb0EPKaPaPKlPlN2at6native12_GLOBAL__N_18offset_tEEE10hipError_tPvRmT1_PNSt15iterator_traitsISK_E10value_typeET2_T3_PNSL_ISQ_E10value_typeET4_jRbjT5_SW_jjP12ihipStream_tbEUlT_E0_NS1_11comp_targetILNS1_3genE2ELNS1_11target_archE906ELNS1_3gpuE6ELNS1_3repE0EEENS1_60segmented_radix_sort_warp_sort_medium_config_static_selectorELNS0_4arch9wavefront6targetE0EEEvSK_
                                        ; -- End function
	.set _ZN7rocprim17ROCPRIM_400000_NS6detail17trampoline_kernelINS0_14default_configENS1_36segmented_radix_sort_config_selectorIalEEZNS1_25segmented_radix_sort_implIS3_Lb0EPKaPaPKlPlN2at6native12_GLOBAL__N_18offset_tEEE10hipError_tPvRmT1_PNSt15iterator_traitsISK_E10value_typeET2_T3_PNSL_ISQ_E10value_typeET4_jRbjT5_SW_jjP12ihipStream_tbEUlT_E0_NS1_11comp_targetILNS1_3genE2ELNS1_11target_archE906ELNS1_3gpuE6ELNS1_3repE0EEENS1_60segmented_radix_sort_warp_sort_medium_config_static_selectorELNS0_4arch9wavefront6targetE0EEEvSK_.num_vgpr, 0
	.set _ZN7rocprim17ROCPRIM_400000_NS6detail17trampoline_kernelINS0_14default_configENS1_36segmented_radix_sort_config_selectorIalEEZNS1_25segmented_radix_sort_implIS3_Lb0EPKaPaPKlPlN2at6native12_GLOBAL__N_18offset_tEEE10hipError_tPvRmT1_PNSt15iterator_traitsISK_E10value_typeET2_T3_PNSL_ISQ_E10value_typeET4_jRbjT5_SW_jjP12ihipStream_tbEUlT_E0_NS1_11comp_targetILNS1_3genE2ELNS1_11target_archE906ELNS1_3gpuE6ELNS1_3repE0EEENS1_60segmented_radix_sort_warp_sort_medium_config_static_selectorELNS0_4arch9wavefront6targetE0EEEvSK_.num_agpr, 0
	.set _ZN7rocprim17ROCPRIM_400000_NS6detail17trampoline_kernelINS0_14default_configENS1_36segmented_radix_sort_config_selectorIalEEZNS1_25segmented_radix_sort_implIS3_Lb0EPKaPaPKlPlN2at6native12_GLOBAL__N_18offset_tEEE10hipError_tPvRmT1_PNSt15iterator_traitsISK_E10value_typeET2_T3_PNSL_ISQ_E10value_typeET4_jRbjT5_SW_jjP12ihipStream_tbEUlT_E0_NS1_11comp_targetILNS1_3genE2ELNS1_11target_archE906ELNS1_3gpuE6ELNS1_3repE0EEENS1_60segmented_radix_sort_warp_sort_medium_config_static_selectorELNS0_4arch9wavefront6targetE0EEEvSK_.numbered_sgpr, 0
	.set _ZN7rocprim17ROCPRIM_400000_NS6detail17trampoline_kernelINS0_14default_configENS1_36segmented_radix_sort_config_selectorIalEEZNS1_25segmented_radix_sort_implIS3_Lb0EPKaPaPKlPlN2at6native12_GLOBAL__N_18offset_tEEE10hipError_tPvRmT1_PNSt15iterator_traitsISK_E10value_typeET2_T3_PNSL_ISQ_E10value_typeET4_jRbjT5_SW_jjP12ihipStream_tbEUlT_E0_NS1_11comp_targetILNS1_3genE2ELNS1_11target_archE906ELNS1_3gpuE6ELNS1_3repE0EEENS1_60segmented_radix_sort_warp_sort_medium_config_static_selectorELNS0_4arch9wavefront6targetE0EEEvSK_.num_named_barrier, 0
	.set _ZN7rocprim17ROCPRIM_400000_NS6detail17trampoline_kernelINS0_14default_configENS1_36segmented_radix_sort_config_selectorIalEEZNS1_25segmented_radix_sort_implIS3_Lb0EPKaPaPKlPlN2at6native12_GLOBAL__N_18offset_tEEE10hipError_tPvRmT1_PNSt15iterator_traitsISK_E10value_typeET2_T3_PNSL_ISQ_E10value_typeET4_jRbjT5_SW_jjP12ihipStream_tbEUlT_E0_NS1_11comp_targetILNS1_3genE2ELNS1_11target_archE906ELNS1_3gpuE6ELNS1_3repE0EEENS1_60segmented_radix_sort_warp_sort_medium_config_static_selectorELNS0_4arch9wavefront6targetE0EEEvSK_.private_seg_size, 0
	.set _ZN7rocprim17ROCPRIM_400000_NS6detail17trampoline_kernelINS0_14default_configENS1_36segmented_radix_sort_config_selectorIalEEZNS1_25segmented_radix_sort_implIS3_Lb0EPKaPaPKlPlN2at6native12_GLOBAL__N_18offset_tEEE10hipError_tPvRmT1_PNSt15iterator_traitsISK_E10value_typeET2_T3_PNSL_ISQ_E10value_typeET4_jRbjT5_SW_jjP12ihipStream_tbEUlT_E0_NS1_11comp_targetILNS1_3genE2ELNS1_11target_archE906ELNS1_3gpuE6ELNS1_3repE0EEENS1_60segmented_radix_sort_warp_sort_medium_config_static_selectorELNS0_4arch9wavefront6targetE0EEEvSK_.uses_vcc, 0
	.set _ZN7rocprim17ROCPRIM_400000_NS6detail17trampoline_kernelINS0_14default_configENS1_36segmented_radix_sort_config_selectorIalEEZNS1_25segmented_radix_sort_implIS3_Lb0EPKaPaPKlPlN2at6native12_GLOBAL__N_18offset_tEEE10hipError_tPvRmT1_PNSt15iterator_traitsISK_E10value_typeET2_T3_PNSL_ISQ_E10value_typeET4_jRbjT5_SW_jjP12ihipStream_tbEUlT_E0_NS1_11comp_targetILNS1_3genE2ELNS1_11target_archE906ELNS1_3gpuE6ELNS1_3repE0EEENS1_60segmented_radix_sort_warp_sort_medium_config_static_selectorELNS0_4arch9wavefront6targetE0EEEvSK_.uses_flat_scratch, 0
	.set _ZN7rocprim17ROCPRIM_400000_NS6detail17trampoline_kernelINS0_14default_configENS1_36segmented_radix_sort_config_selectorIalEEZNS1_25segmented_radix_sort_implIS3_Lb0EPKaPaPKlPlN2at6native12_GLOBAL__N_18offset_tEEE10hipError_tPvRmT1_PNSt15iterator_traitsISK_E10value_typeET2_T3_PNSL_ISQ_E10value_typeET4_jRbjT5_SW_jjP12ihipStream_tbEUlT_E0_NS1_11comp_targetILNS1_3genE2ELNS1_11target_archE906ELNS1_3gpuE6ELNS1_3repE0EEENS1_60segmented_radix_sort_warp_sort_medium_config_static_selectorELNS0_4arch9wavefront6targetE0EEEvSK_.has_dyn_sized_stack, 0
	.set _ZN7rocprim17ROCPRIM_400000_NS6detail17trampoline_kernelINS0_14default_configENS1_36segmented_radix_sort_config_selectorIalEEZNS1_25segmented_radix_sort_implIS3_Lb0EPKaPaPKlPlN2at6native12_GLOBAL__N_18offset_tEEE10hipError_tPvRmT1_PNSt15iterator_traitsISK_E10value_typeET2_T3_PNSL_ISQ_E10value_typeET4_jRbjT5_SW_jjP12ihipStream_tbEUlT_E0_NS1_11comp_targetILNS1_3genE2ELNS1_11target_archE906ELNS1_3gpuE6ELNS1_3repE0EEENS1_60segmented_radix_sort_warp_sort_medium_config_static_selectorELNS0_4arch9wavefront6targetE0EEEvSK_.has_recursion, 0
	.set _ZN7rocprim17ROCPRIM_400000_NS6detail17trampoline_kernelINS0_14default_configENS1_36segmented_radix_sort_config_selectorIalEEZNS1_25segmented_radix_sort_implIS3_Lb0EPKaPaPKlPlN2at6native12_GLOBAL__N_18offset_tEEE10hipError_tPvRmT1_PNSt15iterator_traitsISK_E10value_typeET2_T3_PNSL_ISQ_E10value_typeET4_jRbjT5_SW_jjP12ihipStream_tbEUlT_E0_NS1_11comp_targetILNS1_3genE2ELNS1_11target_archE906ELNS1_3gpuE6ELNS1_3repE0EEENS1_60segmented_radix_sort_warp_sort_medium_config_static_selectorELNS0_4arch9wavefront6targetE0EEEvSK_.has_indirect_call, 0
	.section	.AMDGPU.csdata,"",@progbits
; Kernel info:
; codeLenInByte = 0
; TotalNumSgprs: 0
; NumVgprs: 0
; ScratchSize: 0
; MemoryBound: 0
; FloatMode: 240
; IeeeMode: 1
; LDSByteSize: 0 bytes/workgroup (compile time only)
; SGPRBlocks: 0
; VGPRBlocks: 0
; NumSGPRsForWavesPerEU: 1
; NumVGPRsForWavesPerEU: 1
; NamedBarCnt: 0
; Occupancy: 16
; WaveLimiterHint : 0
; COMPUTE_PGM_RSRC2:SCRATCH_EN: 0
; COMPUTE_PGM_RSRC2:USER_SGPR: 2
; COMPUTE_PGM_RSRC2:TRAP_HANDLER: 0
; COMPUTE_PGM_RSRC2:TGID_X_EN: 1
; COMPUTE_PGM_RSRC2:TGID_Y_EN: 0
; COMPUTE_PGM_RSRC2:TGID_Z_EN: 0
; COMPUTE_PGM_RSRC2:TIDIG_COMP_CNT: 0
	.section	.text._ZN7rocprim17ROCPRIM_400000_NS6detail17trampoline_kernelINS0_14default_configENS1_36segmented_radix_sort_config_selectorIalEEZNS1_25segmented_radix_sort_implIS3_Lb0EPKaPaPKlPlN2at6native12_GLOBAL__N_18offset_tEEE10hipError_tPvRmT1_PNSt15iterator_traitsISK_E10value_typeET2_T3_PNSL_ISQ_E10value_typeET4_jRbjT5_SW_jjP12ihipStream_tbEUlT_E0_NS1_11comp_targetILNS1_3genE10ELNS1_11target_archE1201ELNS1_3gpuE5ELNS1_3repE0EEENS1_60segmented_radix_sort_warp_sort_medium_config_static_selectorELNS0_4arch9wavefront6targetE0EEEvSK_,"axG",@progbits,_ZN7rocprim17ROCPRIM_400000_NS6detail17trampoline_kernelINS0_14default_configENS1_36segmented_radix_sort_config_selectorIalEEZNS1_25segmented_radix_sort_implIS3_Lb0EPKaPaPKlPlN2at6native12_GLOBAL__N_18offset_tEEE10hipError_tPvRmT1_PNSt15iterator_traitsISK_E10value_typeET2_T3_PNSL_ISQ_E10value_typeET4_jRbjT5_SW_jjP12ihipStream_tbEUlT_E0_NS1_11comp_targetILNS1_3genE10ELNS1_11target_archE1201ELNS1_3gpuE5ELNS1_3repE0EEENS1_60segmented_radix_sort_warp_sort_medium_config_static_selectorELNS0_4arch9wavefront6targetE0EEEvSK_,comdat
	.globl	_ZN7rocprim17ROCPRIM_400000_NS6detail17trampoline_kernelINS0_14default_configENS1_36segmented_radix_sort_config_selectorIalEEZNS1_25segmented_radix_sort_implIS3_Lb0EPKaPaPKlPlN2at6native12_GLOBAL__N_18offset_tEEE10hipError_tPvRmT1_PNSt15iterator_traitsISK_E10value_typeET2_T3_PNSL_ISQ_E10value_typeET4_jRbjT5_SW_jjP12ihipStream_tbEUlT_E0_NS1_11comp_targetILNS1_3genE10ELNS1_11target_archE1201ELNS1_3gpuE5ELNS1_3repE0EEENS1_60segmented_radix_sort_warp_sort_medium_config_static_selectorELNS0_4arch9wavefront6targetE0EEEvSK_ ; -- Begin function _ZN7rocprim17ROCPRIM_400000_NS6detail17trampoline_kernelINS0_14default_configENS1_36segmented_radix_sort_config_selectorIalEEZNS1_25segmented_radix_sort_implIS3_Lb0EPKaPaPKlPlN2at6native12_GLOBAL__N_18offset_tEEE10hipError_tPvRmT1_PNSt15iterator_traitsISK_E10value_typeET2_T3_PNSL_ISQ_E10value_typeET4_jRbjT5_SW_jjP12ihipStream_tbEUlT_E0_NS1_11comp_targetILNS1_3genE10ELNS1_11target_archE1201ELNS1_3gpuE5ELNS1_3repE0EEENS1_60segmented_radix_sort_warp_sort_medium_config_static_selectorELNS0_4arch9wavefront6targetE0EEEvSK_
	.p2align	8
	.type	_ZN7rocprim17ROCPRIM_400000_NS6detail17trampoline_kernelINS0_14default_configENS1_36segmented_radix_sort_config_selectorIalEEZNS1_25segmented_radix_sort_implIS3_Lb0EPKaPaPKlPlN2at6native12_GLOBAL__N_18offset_tEEE10hipError_tPvRmT1_PNSt15iterator_traitsISK_E10value_typeET2_T3_PNSL_ISQ_E10value_typeET4_jRbjT5_SW_jjP12ihipStream_tbEUlT_E0_NS1_11comp_targetILNS1_3genE10ELNS1_11target_archE1201ELNS1_3gpuE5ELNS1_3repE0EEENS1_60segmented_radix_sort_warp_sort_medium_config_static_selectorELNS0_4arch9wavefront6targetE0EEEvSK_,@function
_ZN7rocprim17ROCPRIM_400000_NS6detail17trampoline_kernelINS0_14default_configENS1_36segmented_radix_sort_config_selectorIalEEZNS1_25segmented_radix_sort_implIS3_Lb0EPKaPaPKlPlN2at6native12_GLOBAL__N_18offset_tEEE10hipError_tPvRmT1_PNSt15iterator_traitsISK_E10value_typeET2_T3_PNSL_ISQ_E10value_typeET4_jRbjT5_SW_jjP12ihipStream_tbEUlT_E0_NS1_11comp_targetILNS1_3genE10ELNS1_11target_archE1201ELNS1_3gpuE5ELNS1_3repE0EEENS1_60segmented_radix_sort_warp_sort_medium_config_static_selectorELNS0_4arch9wavefront6targetE0EEEvSK_: ; @_ZN7rocprim17ROCPRIM_400000_NS6detail17trampoline_kernelINS0_14default_configENS1_36segmented_radix_sort_config_selectorIalEEZNS1_25segmented_radix_sort_implIS3_Lb0EPKaPaPKlPlN2at6native12_GLOBAL__N_18offset_tEEE10hipError_tPvRmT1_PNSt15iterator_traitsISK_E10value_typeET2_T3_PNSL_ISQ_E10value_typeET4_jRbjT5_SW_jjP12ihipStream_tbEUlT_E0_NS1_11comp_targetILNS1_3genE10ELNS1_11target_archE1201ELNS1_3gpuE5ELNS1_3repE0EEENS1_60segmented_radix_sort_warp_sort_medium_config_static_selectorELNS0_4arch9wavefront6targetE0EEEvSK_
; %bb.0:
	.section	.rodata,"a",@progbits
	.p2align	6, 0x0
	.amdhsa_kernel _ZN7rocprim17ROCPRIM_400000_NS6detail17trampoline_kernelINS0_14default_configENS1_36segmented_radix_sort_config_selectorIalEEZNS1_25segmented_radix_sort_implIS3_Lb0EPKaPaPKlPlN2at6native12_GLOBAL__N_18offset_tEEE10hipError_tPvRmT1_PNSt15iterator_traitsISK_E10value_typeET2_T3_PNSL_ISQ_E10value_typeET4_jRbjT5_SW_jjP12ihipStream_tbEUlT_E0_NS1_11comp_targetILNS1_3genE10ELNS1_11target_archE1201ELNS1_3gpuE5ELNS1_3repE0EEENS1_60segmented_radix_sort_warp_sort_medium_config_static_selectorELNS0_4arch9wavefront6targetE0EEEvSK_
		.amdhsa_group_segment_fixed_size 0
		.amdhsa_private_segment_fixed_size 0
		.amdhsa_kernarg_size 88
		.amdhsa_user_sgpr_count 2
		.amdhsa_user_sgpr_dispatch_ptr 0
		.amdhsa_user_sgpr_queue_ptr 0
		.amdhsa_user_sgpr_kernarg_segment_ptr 1
		.amdhsa_user_sgpr_dispatch_id 0
		.amdhsa_user_sgpr_kernarg_preload_length 0
		.amdhsa_user_sgpr_kernarg_preload_offset 0
		.amdhsa_user_sgpr_private_segment_size 0
		.amdhsa_wavefront_size32 1
		.amdhsa_uses_dynamic_stack 0
		.amdhsa_enable_private_segment 0
		.amdhsa_system_sgpr_workgroup_id_x 1
		.amdhsa_system_sgpr_workgroup_id_y 0
		.amdhsa_system_sgpr_workgroup_id_z 0
		.amdhsa_system_sgpr_workgroup_info 0
		.amdhsa_system_vgpr_workitem_id 0
		.amdhsa_next_free_vgpr 1
		.amdhsa_next_free_sgpr 1
		.amdhsa_named_barrier_count 0
		.amdhsa_reserve_vcc 0
		.amdhsa_float_round_mode_32 0
		.amdhsa_float_round_mode_16_64 0
		.amdhsa_float_denorm_mode_32 3
		.amdhsa_float_denorm_mode_16_64 3
		.amdhsa_fp16_overflow 0
		.amdhsa_memory_ordered 1
		.amdhsa_forward_progress 1
		.amdhsa_inst_pref_size 0
		.amdhsa_round_robin_scheduling 0
		.amdhsa_exception_fp_ieee_invalid_op 0
		.amdhsa_exception_fp_denorm_src 0
		.amdhsa_exception_fp_ieee_div_zero 0
		.amdhsa_exception_fp_ieee_overflow 0
		.amdhsa_exception_fp_ieee_underflow 0
		.amdhsa_exception_fp_ieee_inexact 0
		.amdhsa_exception_int_div_zero 0
	.end_amdhsa_kernel
	.section	.text._ZN7rocprim17ROCPRIM_400000_NS6detail17trampoline_kernelINS0_14default_configENS1_36segmented_radix_sort_config_selectorIalEEZNS1_25segmented_radix_sort_implIS3_Lb0EPKaPaPKlPlN2at6native12_GLOBAL__N_18offset_tEEE10hipError_tPvRmT1_PNSt15iterator_traitsISK_E10value_typeET2_T3_PNSL_ISQ_E10value_typeET4_jRbjT5_SW_jjP12ihipStream_tbEUlT_E0_NS1_11comp_targetILNS1_3genE10ELNS1_11target_archE1201ELNS1_3gpuE5ELNS1_3repE0EEENS1_60segmented_radix_sort_warp_sort_medium_config_static_selectorELNS0_4arch9wavefront6targetE0EEEvSK_,"axG",@progbits,_ZN7rocprim17ROCPRIM_400000_NS6detail17trampoline_kernelINS0_14default_configENS1_36segmented_radix_sort_config_selectorIalEEZNS1_25segmented_radix_sort_implIS3_Lb0EPKaPaPKlPlN2at6native12_GLOBAL__N_18offset_tEEE10hipError_tPvRmT1_PNSt15iterator_traitsISK_E10value_typeET2_T3_PNSL_ISQ_E10value_typeET4_jRbjT5_SW_jjP12ihipStream_tbEUlT_E0_NS1_11comp_targetILNS1_3genE10ELNS1_11target_archE1201ELNS1_3gpuE5ELNS1_3repE0EEENS1_60segmented_radix_sort_warp_sort_medium_config_static_selectorELNS0_4arch9wavefront6targetE0EEEvSK_,comdat
.Lfunc_end406:
	.size	_ZN7rocprim17ROCPRIM_400000_NS6detail17trampoline_kernelINS0_14default_configENS1_36segmented_radix_sort_config_selectorIalEEZNS1_25segmented_radix_sort_implIS3_Lb0EPKaPaPKlPlN2at6native12_GLOBAL__N_18offset_tEEE10hipError_tPvRmT1_PNSt15iterator_traitsISK_E10value_typeET2_T3_PNSL_ISQ_E10value_typeET4_jRbjT5_SW_jjP12ihipStream_tbEUlT_E0_NS1_11comp_targetILNS1_3genE10ELNS1_11target_archE1201ELNS1_3gpuE5ELNS1_3repE0EEENS1_60segmented_radix_sort_warp_sort_medium_config_static_selectorELNS0_4arch9wavefront6targetE0EEEvSK_, .Lfunc_end406-_ZN7rocprim17ROCPRIM_400000_NS6detail17trampoline_kernelINS0_14default_configENS1_36segmented_radix_sort_config_selectorIalEEZNS1_25segmented_radix_sort_implIS3_Lb0EPKaPaPKlPlN2at6native12_GLOBAL__N_18offset_tEEE10hipError_tPvRmT1_PNSt15iterator_traitsISK_E10value_typeET2_T3_PNSL_ISQ_E10value_typeET4_jRbjT5_SW_jjP12ihipStream_tbEUlT_E0_NS1_11comp_targetILNS1_3genE10ELNS1_11target_archE1201ELNS1_3gpuE5ELNS1_3repE0EEENS1_60segmented_radix_sort_warp_sort_medium_config_static_selectorELNS0_4arch9wavefront6targetE0EEEvSK_
                                        ; -- End function
	.set _ZN7rocprim17ROCPRIM_400000_NS6detail17trampoline_kernelINS0_14default_configENS1_36segmented_radix_sort_config_selectorIalEEZNS1_25segmented_radix_sort_implIS3_Lb0EPKaPaPKlPlN2at6native12_GLOBAL__N_18offset_tEEE10hipError_tPvRmT1_PNSt15iterator_traitsISK_E10value_typeET2_T3_PNSL_ISQ_E10value_typeET4_jRbjT5_SW_jjP12ihipStream_tbEUlT_E0_NS1_11comp_targetILNS1_3genE10ELNS1_11target_archE1201ELNS1_3gpuE5ELNS1_3repE0EEENS1_60segmented_radix_sort_warp_sort_medium_config_static_selectorELNS0_4arch9wavefront6targetE0EEEvSK_.num_vgpr, 0
	.set _ZN7rocprim17ROCPRIM_400000_NS6detail17trampoline_kernelINS0_14default_configENS1_36segmented_radix_sort_config_selectorIalEEZNS1_25segmented_radix_sort_implIS3_Lb0EPKaPaPKlPlN2at6native12_GLOBAL__N_18offset_tEEE10hipError_tPvRmT1_PNSt15iterator_traitsISK_E10value_typeET2_T3_PNSL_ISQ_E10value_typeET4_jRbjT5_SW_jjP12ihipStream_tbEUlT_E0_NS1_11comp_targetILNS1_3genE10ELNS1_11target_archE1201ELNS1_3gpuE5ELNS1_3repE0EEENS1_60segmented_radix_sort_warp_sort_medium_config_static_selectorELNS0_4arch9wavefront6targetE0EEEvSK_.num_agpr, 0
	.set _ZN7rocprim17ROCPRIM_400000_NS6detail17trampoline_kernelINS0_14default_configENS1_36segmented_radix_sort_config_selectorIalEEZNS1_25segmented_radix_sort_implIS3_Lb0EPKaPaPKlPlN2at6native12_GLOBAL__N_18offset_tEEE10hipError_tPvRmT1_PNSt15iterator_traitsISK_E10value_typeET2_T3_PNSL_ISQ_E10value_typeET4_jRbjT5_SW_jjP12ihipStream_tbEUlT_E0_NS1_11comp_targetILNS1_3genE10ELNS1_11target_archE1201ELNS1_3gpuE5ELNS1_3repE0EEENS1_60segmented_radix_sort_warp_sort_medium_config_static_selectorELNS0_4arch9wavefront6targetE0EEEvSK_.numbered_sgpr, 0
	.set _ZN7rocprim17ROCPRIM_400000_NS6detail17trampoline_kernelINS0_14default_configENS1_36segmented_radix_sort_config_selectorIalEEZNS1_25segmented_radix_sort_implIS3_Lb0EPKaPaPKlPlN2at6native12_GLOBAL__N_18offset_tEEE10hipError_tPvRmT1_PNSt15iterator_traitsISK_E10value_typeET2_T3_PNSL_ISQ_E10value_typeET4_jRbjT5_SW_jjP12ihipStream_tbEUlT_E0_NS1_11comp_targetILNS1_3genE10ELNS1_11target_archE1201ELNS1_3gpuE5ELNS1_3repE0EEENS1_60segmented_radix_sort_warp_sort_medium_config_static_selectorELNS0_4arch9wavefront6targetE0EEEvSK_.num_named_barrier, 0
	.set _ZN7rocprim17ROCPRIM_400000_NS6detail17trampoline_kernelINS0_14default_configENS1_36segmented_radix_sort_config_selectorIalEEZNS1_25segmented_radix_sort_implIS3_Lb0EPKaPaPKlPlN2at6native12_GLOBAL__N_18offset_tEEE10hipError_tPvRmT1_PNSt15iterator_traitsISK_E10value_typeET2_T3_PNSL_ISQ_E10value_typeET4_jRbjT5_SW_jjP12ihipStream_tbEUlT_E0_NS1_11comp_targetILNS1_3genE10ELNS1_11target_archE1201ELNS1_3gpuE5ELNS1_3repE0EEENS1_60segmented_radix_sort_warp_sort_medium_config_static_selectorELNS0_4arch9wavefront6targetE0EEEvSK_.private_seg_size, 0
	.set _ZN7rocprim17ROCPRIM_400000_NS6detail17trampoline_kernelINS0_14default_configENS1_36segmented_radix_sort_config_selectorIalEEZNS1_25segmented_radix_sort_implIS3_Lb0EPKaPaPKlPlN2at6native12_GLOBAL__N_18offset_tEEE10hipError_tPvRmT1_PNSt15iterator_traitsISK_E10value_typeET2_T3_PNSL_ISQ_E10value_typeET4_jRbjT5_SW_jjP12ihipStream_tbEUlT_E0_NS1_11comp_targetILNS1_3genE10ELNS1_11target_archE1201ELNS1_3gpuE5ELNS1_3repE0EEENS1_60segmented_radix_sort_warp_sort_medium_config_static_selectorELNS0_4arch9wavefront6targetE0EEEvSK_.uses_vcc, 0
	.set _ZN7rocprim17ROCPRIM_400000_NS6detail17trampoline_kernelINS0_14default_configENS1_36segmented_radix_sort_config_selectorIalEEZNS1_25segmented_radix_sort_implIS3_Lb0EPKaPaPKlPlN2at6native12_GLOBAL__N_18offset_tEEE10hipError_tPvRmT1_PNSt15iterator_traitsISK_E10value_typeET2_T3_PNSL_ISQ_E10value_typeET4_jRbjT5_SW_jjP12ihipStream_tbEUlT_E0_NS1_11comp_targetILNS1_3genE10ELNS1_11target_archE1201ELNS1_3gpuE5ELNS1_3repE0EEENS1_60segmented_radix_sort_warp_sort_medium_config_static_selectorELNS0_4arch9wavefront6targetE0EEEvSK_.uses_flat_scratch, 0
	.set _ZN7rocprim17ROCPRIM_400000_NS6detail17trampoline_kernelINS0_14default_configENS1_36segmented_radix_sort_config_selectorIalEEZNS1_25segmented_radix_sort_implIS3_Lb0EPKaPaPKlPlN2at6native12_GLOBAL__N_18offset_tEEE10hipError_tPvRmT1_PNSt15iterator_traitsISK_E10value_typeET2_T3_PNSL_ISQ_E10value_typeET4_jRbjT5_SW_jjP12ihipStream_tbEUlT_E0_NS1_11comp_targetILNS1_3genE10ELNS1_11target_archE1201ELNS1_3gpuE5ELNS1_3repE0EEENS1_60segmented_radix_sort_warp_sort_medium_config_static_selectorELNS0_4arch9wavefront6targetE0EEEvSK_.has_dyn_sized_stack, 0
	.set _ZN7rocprim17ROCPRIM_400000_NS6detail17trampoline_kernelINS0_14default_configENS1_36segmented_radix_sort_config_selectorIalEEZNS1_25segmented_radix_sort_implIS3_Lb0EPKaPaPKlPlN2at6native12_GLOBAL__N_18offset_tEEE10hipError_tPvRmT1_PNSt15iterator_traitsISK_E10value_typeET2_T3_PNSL_ISQ_E10value_typeET4_jRbjT5_SW_jjP12ihipStream_tbEUlT_E0_NS1_11comp_targetILNS1_3genE10ELNS1_11target_archE1201ELNS1_3gpuE5ELNS1_3repE0EEENS1_60segmented_radix_sort_warp_sort_medium_config_static_selectorELNS0_4arch9wavefront6targetE0EEEvSK_.has_recursion, 0
	.set _ZN7rocprim17ROCPRIM_400000_NS6detail17trampoline_kernelINS0_14default_configENS1_36segmented_radix_sort_config_selectorIalEEZNS1_25segmented_radix_sort_implIS3_Lb0EPKaPaPKlPlN2at6native12_GLOBAL__N_18offset_tEEE10hipError_tPvRmT1_PNSt15iterator_traitsISK_E10value_typeET2_T3_PNSL_ISQ_E10value_typeET4_jRbjT5_SW_jjP12ihipStream_tbEUlT_E0_NS1_11comp_targetILNS1_3genE10ELNS1_11target_archE1201ELNS1_3gpuE5ELNS1_3repE0EEENS1_60segmented_radix_sort_warp_sort_medium_config_static_selectorELNS0_4arch9wavefront6targetE0EEEvSK_.has_indirect_call, 0
	.section	.AMDGPU.csdata,"",@progbits
; Kernel info:
; codeLenInByte = 0
; TotalNumSgprs: 0
; NumVgprs: 0
; ScratchSize: 0
; MemoryBound: 0
; FloatMode: 240
; IeeeMode: 1
; LDSByteSize: 0 bytes/workgroup (compile time only)
; SGPRBlocks: 0
; VGPRBlocks: 0
; NumSGPRsForWavesPerEU: 1
; NumVGPRsForWavesPerEU: 1
; NamedBarCnt: 0
; Occupancy: 16
; WaveLimiterHint : 0
; COMPUTE_PGM_RSRC2:SCRATCH_EN: 0
; COMPUTE_PGM_RSRC2:USER_SGPR: 2
; COMPUTE_PGM_RSRC2:TRAP_HANDLER: 0
; COMPUTE_PGM_RSRC2:TGID_X_EN: 1
; COMPUTE_PGM_RSRC2:TGID_Y_EN: 0
; COMPUTE_PGM_RSRC2:TGID_Z_EN: 0
; COMPUTE_PGM_RSRC2:TIDIG_COMP_CNT: 0
	.section	.text._ZN7rocprim17ROCPRIM_400000_NS6detail17trampoline_kernelINS0_14default_configENS1_36segmented_radix_sort_config_selectorIalEEZNS1_25segmented_radix_sort_implIS3_Lb0EPKaPaPKlPlN2at6native12_GLOBAL__N_18offset_tEEE10hipError_tPvRmT1_PNSt15iterator_traitsISK_E10value_typeET2_T3_PNSL_ISQ_E10value_typeET4_jRbjT5_SW_jjP12ihipStream_tbEUlT_E0_NS1_11comp_targetILNS1_3genE10ELNS1_11target_archE1200ELNS1_3gpuE4ELNS1_3repE0EEENS1_60segmented_radix_sort_warp_sort_medium_config_static_selectorELNS0_4arch9wavefront6targetE0EEEvSK_,"axG",@progbits,_ZN7rocprim17ROCPRIM_400000_NS6detail17trampoline_kernelINS0_14default_configENS1_36segmented_radix_sort_config_selectorIalEEZNS1_25segmented_radix_sort_implIS3_Lb0EPKaPaPKlPlN2at6native12_GLOBAL__N_18offset_tEEE10hipError_tPvRmT1_PNSt15iterator_traitsISK_E10value_typeET2_T3_PNSL_ISQ_E10value_typeET4_jRbjT5_SW_jjP12ihipStream_tbEUlT_E0_NS1_11comp_targetILNS1_3genE10ELNS1_11target_archE1200ELNS1_3gpuE4ELNS1_3repE0EEENS1_60segmented_radix_sort_warp_sort_medium_config_static_selectorELNS0_4arch9wavefront6targetE0EEEvSK_,comdat
	.globl	_ZN7rocprim17ROCPRIM_400000_NS6detail17trampoline_kernelINS0_14default_configENS1_36segmented_radix_sort_config_selectorIalEEZNS1_25segmented_radix_sort_implIS3_Lb0EPKaPaPKlPlN2at6native12_GLOBAL__N_18offset_tEEE10hipError_tPvRmT1_PNSt15iterator_traitsISK_E10value_typeET2_T3_PNSL_ISQ_E10value_typeET4_jRbjT5_SW_jjP12ihipStream_tbEUlT_E0_NS1_11comp_targetILNS1_3genE10ELNS1_11target_archE1200ELNS1_3gpuE4ELNS1_3repE0EEENS1_60segmented_radix_sort_warp_sort_medium_config_static_selectorELNS0_4arch9wavefront6targetE0EEEvSK_ ; -- Begin function _ZN7rocprim17ROCPRIM_400000_NS6detail17trampoline_kernelINS0_14default_configENS1_36segmented_radix_sort_config_selectorIalEEZNS1_25segmented_radix_sort_implIS3_Lb0EPKaPaPKlPlN2at6native12_GLOBAL__N_18offset_tEEE10hipError_tPvRmT1_PNSt15iterator_traitsISK_E10value_typeET2_T3_PNSL_ISQ_E10value_typeET4_jRbjT5_SW_jjP12ihipStream_tbEUlT_E0_NS1_11comp_targetILNS1_3genE10ELNS1_11target_archE1200ELNS1_3gpuE4ELNS1_3repE0EEENS1_60segmented_radix_sort_warp_sort_medium_config_static_selectorELNS0_4arch9wavefront6targetE0EEEvSK_
	.p2align	8
	.type	_ZN7rocprim17ROCPRIM_400000_NS6detail17trampoline_kernelINS0_14default_configENS1_36segmented_radix_sort_config_selectorIalEEZNS1_25segmented_radix_sort_implIS3_Lb0EPKaPaPKlPlN2at6native12_GLOBAL__N_18offset_tEEE10hipError_tPvRmT1_PNSt15iterator_traitsISK_E10value_typeET2_T3_PNSL_ISQ_E10value_typeET4_jRbjT5_SW_jjP12ihipStream_tbEUlT_E0_NS1_11comp_targetILNS1_3genE10ELNS1_11target_archE1200ELNS1_3gpuE4ELNS1_3repE0EEENS1_60segmented_radix_sort_warp_sort_medium_config_static_selectorELNS0_4arch9wavefront6targetE0EEEvSK_,@function
_ZN7rocprim17ROCPRIM_400000_NS6detail17trampoline_kernelINS0_14default_configENS1_36segmented_radix_sort_config_selectorIalEEZNS1_25segmented_radix_sort_implIS3_Lb0EPKaPaPKlPlN2at6native12_GLOBAL__N_18offset_tEEE10hipError_tPvRmT1_PNSt15iterator_traitsISK_E10value_typeET2_T3_PNSL_ISQ_E10value_typeET4_jRbjT5_SW_jjP12ihipStream_tbEUlT_E0_NS1_11comp_targetILNS1_3genE10ELNS1_11target_archE1200ELNS1_3gpuE4ELNS1_3repE0EEENS1_60segmented_radix_sort_warp_sort_medium_config_static_selectorELNS0_4arch9wavefront6targetE0EEEvSK_: ; @_ZN7rocprim17ROCPRIM_400000_NS6detail17trampoline_kernelINS0_14default_configENS1_36segmented_radix_sort_config_selectorIalEEZNS1_25segmented_radix_sort_implIS3_Lb0EPKaPaPKlPlN2at6native12_GLOBAL__N_18offset_tEEE10hipError_tPvRmT1_PNSt15iterator_traitsISK_E10value_typeET2_T3_PNSL_ISQ_E10value_typeET4_jRbjT5_SW_jjP12ihipStream_tbEUlT_E0_NS1_11comp_targetILNS1_3genE10ELNS1_11target_archE1200ELNS1_3gpuE4ELNS1_3repE0EEENS1_60segmented_radix_sort_warp_sort_medium_config_static_selectorELNS0_4arch9wavefront6targetE0EEEvSK_
; %bb.0:
	.section	.rodata,"a",@progbits
	.p2align	6, 0x0
	.amdhsa_kernel _ZN7rocprim17ROCPRIM_400000_NS6detail17trampoline_kernelINS0_14default_configENS1_36segmented_radix_sort_config_selectorIalEEZNS1_25segmented_radix_sort_implIS3_Lb0EPKaPaPKlPlN2at6native12_GLOBAL__N_18offset_tEEE10hipError_tPvRmT1_PNSt15iterator_traitsISK_E10value_typeET2_T3_PNSL_ISQ_E10value_typeET4_jRbjT5_SW_jjP12ihipStream_tbEUlT_E0_NS1_11comp_targetILNS1_3genE10ELNS1_11target_archE1200ELNS1_3gpuE4ELNS1_3repE0EEENS1_60segmented_radix_sort_warp_sort_medium_config_static_selectorELNS0_4arch9wavefront6targetE0EEEvSK_
		.amdhsa_group_segment_fixed_size 0
		.amdhsa_private_segment_fixed_size 0
		.amdhsa_kernarg_size 88
		.amdhsa_user_sgpr_count 2
		.amdhsa_user_sgpr_dispatch_ptr 0
		.amdhsa_user_sgpr_queue_ptr 0
		.amdhsa_user_sgpr_kernarg_segment_ptr 1
		.amdhsa_user_sgpr_dispatch_id 0
		.amdhsa_user_sgpr_kernarg_preload_length 0
		.amdhsa_user_sgpr_kernarg_preload_offset 0
		.amdhsa_user_sgpr_private_segment_size 0
		.amdhsa_wavefront_size32 1
		.amdhsa_uses_dynamic_stack 0
		.amdhsa_enable_private_segment 0
		.amdhsa_system_sgpr_workgroup_id_x 1
		.amdhsa_system_sgpr_workgroup_id_y 0
		.amdhsa_system_sgpr_workgroup_id_z 0
		.amdhsa_system_sgpr_workgroup_info 0
		.amdhsa_system_vgpr_workitem_id 0
		.amdhsa_next_free_vgpr 1
		.amdhsa_next_free_sgpr 1
		.amdhsa_named_barrier_count 0
		.amdhsa_reserve_vcc 0
		.amdhsa_float_round_mode_32 0
		.amdhsa_float_round_mode_16_64 0
		.amdhsa_float_denorm_mode_32 3
		.amdhsa_float_denorm_mode_16_64 3
		.amdhsa_fp16_overflow 0
		.amdhsa_memory_ordered 1
		.amdhsa_forward_progress 1
		.amdhsa_inst_pref_size 0
		.amdhsa_round_robin_scheduling 0
		.amdhsa_exception_fp_ieee_invalid_op 0
		.amdhsa_exception_fp_denorm_src 0
		.amdhsa_exception_fp_ieee_div_zero 0
		.amdhsa_exception_fp_ieee_overflow 0
		.amdhsa_exception_fp_ieee_underflow 0
		.amdhsa_exception_fp_ieee_inexact 0
		.amdhsa_exception_int_div_zero 0
	.end_amdhsa_kernel
	.section	.text._ZN7rocprim17ROCPRIM_400000_NS6detail17trampoline_kernelINS0_14default_configENS1_36segmented_radix_sort_config_selectorIalEEZNS1_25segmented_radix_sort_implIS3_Lb0EPKaPaPKlPlN2at6native12_GLOBAL__N_18offset_tEEE10hipError_tPvRmT1_PNSt15iterator_traitsISK_E10value_typeET2_T3_PNSL_ISQ_E10value_typeET4_jRbjT5_SW_jjP12ihipStream_tbEUlT_E0_NS1_11comp_targetILNS1_3genE10ELNS1_11target_archE1200ELNS1_3gpuE4ELNS1_3repE0EEENS1_60segmented_radix_sort_warp_sort_medium_config_static_selectorELNS0_4arch9wavefront6targetE0EEEvSK_,"axG",@progbits,_ZN7rocprim17ROCPRIM_400000_NS6detail17trampoline_kernelINS0_14default_configENS1_36segmented_radix_sort_config_selectorIalEEZNS1_25segmented_radix_sort_implIS3_Lb0EPKaPaPKlPlN2at6native12_GLOBAL__N_18offset_tEEE10hipError_tPvRmT1_PNSt15iterator_traitsISK_E10value_typeET2_T3_PNSL_ISQ_E10value_typeET4_jRbjT5_SW_jjP12ihipStream_tbEUlT_E0_NS1_11comp_targetILNS1_3genE10ELNS1_11target_archE1200ELNS1_3gpuE4ELNS1_3repE0EEENS1_60segmented_radix_sort_warp_sort_medium_config_static_selectorELNS0_4arch9wavefront6targetE0EEEvSK_,comdat
.Lfunc_end407:
	.size	_ZN7rocprim17ROCPRIM_400000_NS6detail17trampoline_kernelINS0_14default_configENS1_36segmented_radix_sort_config_selectorIalEEZNS1_25segmented_radix_sort_implIS3_Lb0EPKaPaPKlPlN2at6native12_GLOBAL__N_18offset_tEEE10hipError_tPvRmT1_PNSt15iterator_traitsISK_E10value_typeET2_T3_PNSL_ISQ_E10value_typeET4_jRbjT5_SW_jjP12ihipStream_tbEUlT_E0_NS1_11comp_targetILNS1_3genE10ELNS1_11target_archE1200ELNS1_3gpuE4ELNS1_3repE0EEENS1_60segmented_radix_sort_warp_sort_medium_config_static_selectorELNS0_4arch9wavefront6targetE0EEEvSK_, .Lfunc_end407-_ZN7rocprim17ROCPRIM_400000_NS6detail17trampoline_kernelINS0_14default_configENS1_36segmented_radix_sort_config_selectorIalEEZNS1_25segmented_radix_sort_implIS3_Lb0EPKaPaPKlPlN2at6native12_GLOBAL__N_18offset_tEEE10hipError_tPvRmT1_PNSt15iterator_traitsISK_E10value_typeET2_T3_PNSL_ISQ_E10value_typeET4_jRbjT5_SW_jjP12ihipStream_tbEUlT_E0_NS1_11comp_targetILNS1_3genE10ELNS1_11target_archE1200ELNS1_3gpuE4ELNS1_3repE0EEENS1_60segmented_radix_sort_warp_sort_medium_config_static_selectorELNS0_4arch9wavefront6targetE0EEEvSK_
                                        ; -- End function
	.set _ZN7rocprim17ROCPRIM_400000_NS6detail17trampoline_kernelINS0_14default_configENS1_36segmented_radix_sort_config_selectorIalEEZNS1_25segmented_radix_sort_implIS3_Lb0EPKaPaPKlPlN2at6native12_GLOBAL__N_18offset_tEEE10hipError_tPvRmT1_PNSt15iterator_traitsISK_E10value_typeET2_T3_PNSL_ISQ_E10value_typeET4_jRbjT5_SW_jjP12ihipStream_tbEUlT_E0_NS1_11comp_targetILNS1_3genE10ELNS1_11target_archE1200ELNS1_3gpuE4ELNS1_3repE0EEENS1_60segmented_radix_sort_warp_sort_medium_config_static_selectorELNS0_4arch9wavefront6targetE0EEEvSK_.num_vgpr, 0
	.set _ZN7rocprim17ROCPRIM_400000_NS6detail17trampoline_kernelINS0_14default_configENS1_36segmented_radix_sort_config_selectorIalEEZNS1_25segmented_radix_sort_implIS3_Lb0EPKaPaPKlPlN2at6native12_GLOBAL__N_18offset_tEEE10hipError_tPvRmT1_PNSt15iterator_traitsISK_E10value_typeET2_T3_PNSL_ISQ_E10value_typeET4_jRbjT5_SW_jjP12ihipStream_tbEUlT_E0_NS1_11comp_targetILNS1_3genE10ELNS1_11target_archE1200ELNS1_3gpuE4ELNS1_3repE0EEENS1_60segmented_radix_sort_warp_sort_medium_config_static_selectorELNS0_4arch9wavefront6targetE0EEEvSK_.num_agpr, 0
	.set _ZN7rocprim17ROCPRIM_400000_NS6detail17trampoline_kernelINS0_14default_configENS1_36segmented_radix_sort_config_selectorIalEEZNS1_25segmented_radix_sort_implIS3_Lb0EPKaPaPKlPlN2at6native12_GLOBAL__N_18offset_tEEE10hipError_tPvRmT1_PNSt15iterator_traitsISK_E10value_typeET2_T3_PNSL_ISQ_E10value_typeET4_jRbjT5_SW_jjP12ihipStream_tbEUlT_E0_NS1_11comp_targetILNS1_3genE10ELNS1_11target_archE1200ELNS1_3gpuE4ELNS1_3repE0EEENS1_60segmented_radix_sort_warp_sort_medium_config_static_selectorELNS0_4arch9wavefront6targetE0EEEvSK_.numbered_sgpr, 0
	.set _ZN7rocprim17ROCPRIM_400000_NS6detail17trampoline_kernelINS0_14default_configENS1_36segmented_radix_sort_config_selectorIalEEZNS1_25segmented_radix_sort_implIS3_Lb0EPKaPaPKlPlN2at6native12_GLOBAL__N_18offset_tEEE10hipError_tPvRmT1_PNSt15iterator_traitsISK_E10value_typeET2_T3_PNSL_ISQ_E10value_typeET4_jRbjT5_SW_jjP12ihipStream_tbEUlT_E0_NS1_11comp_targetILNS1_3genE10ELNS1_11target_archE1200ELNS1_3gpuE4ELNS1_3repE0EEENS1_60segmented_radix_sort_warp_sort_medium_config_static_selectorELNS0_4arch9wavefront6targetE0EEEvSK_.num_named_barrier, 0
	.set _ZN7rocprim17ROCPRIM_400000_NS6detail17trampoline_kernelINS0_14default_configENS1_36segmented_radix_sort_config_selectorIalEEZNS1_25segmented_radix_sort_implIS3_Lb0EPKaPaPKlPlN2at6native12_GLOBAL__N_18offset_tEEE10hipError_tPvRmT1_PNSt15iterator_traitsISK_E10value_typeET2_T3_PNSL_ISQ_E10value_typeET4_jRbjT5_SW_jjP12ihipStream_tbEUlT_E0_NS1_11comp_targetILNS1_3genE10ELNS1_11target_archE1200ELNS1_3gpuE4ELNS1_3repE0EEENS1_60segmented_radix_sort_warp_sort_medium_config_static_selectorELNS0_4arch9wavefront6targetE0EEEvSK_.private_seg_size, 0
	.set _ZN7rocprim17ROCPRIM_400000_NS6detail17trampoline_kernelINS0_14default_configENS1_36segmented_radix_sort_config_selectorIalEEZNS1_25segmented_radix_sort_implIS3_Lb0EPKaPaPKlPlN2at6native12_GLOBAL__N_18offset_tEEE10hipError_tPvRmT1_PNSt15iterator_traitsISK_E10value_typeET2_T3_PNSL_ISQ_E10value_typeET4_jRbjT5_SW_jjP12ihipStream_tbEUlT_E0_NS1_11comp_targetILNS1_3genE10ELNS1_11target_archE1200ELNS1_3gpuE4ELNS1_3repE0EEENS1_60segmented_radix_sort_warp_sort_medium_config_static_selectorELNS0_4arch9wavefront6targetE0EEEvSK_.uses_vcc, 0
	.set _ZN7rocprim17ROCPRIM_400000_NS6detail17trampoline_kernelINS0_14default_configENS1_36segmented_radix_sort_config_selectorIalEEZNS1_25segmented_radix_sort_implIS3_Lb0EPKaPaPKlPlN2at6native12_GLOBAL__N_18offset_tEEE10hipError_tPvRmT1_PNSt15iterator_traitsISK_E10value_typeET2_T3_PNSL_ISQ_E10value_typeET4_jRbjT5_SW_jjP12ihipStream_tbEUlT_E0_NS1_11comp_targetILNS1_3genE10ELNS1_11target_archE1200ELNS1_3gpuE4ELNS1_3repE0EEENS1_60segmented_radix_sort_warp_sort_medium_config_static_selectorELNS0_4arch9wavefront6targetE0EEEvSK_.uses_flat_scratch, 0
	.set _ZN7rocprim17ROCPRIM_400000_NS6detail17trampoline_kernelINS0_14default_configENS1_36segmented_radix_sort_config_selectorIalEEZNS1_25segmented_radix_sort_implIS3_Lb0EPKaPaPKlPlN2at6native12_GLOBAL__N_18offset_tEEE10hipError_tPvRmT1_PNSt15iterator_traitsISK_E10value_typeET2_T3_PNSL_ISQ_E10value_typeET4_jRbjT5_SW_jjP12ihipStream_tbEUlT_E0_NS1_11comp_targetILNS1_3genE10ELNS1_11target_archE1200ELNS1_3gpuE4ELNS1_3repE0EEENS1_60segmented_radix_sort_warp_sort_medium_config_static_selectorELNS0_4arch9wavefront6targetE0EEEvSK_.has_dyn_sized_stack, 0
	.set _ZN7rocprim17ROCPRIM_400000_NS6detail17trampoline_kernelINS0_14default_configENS1_36segmented_radix_sort_config_selectorIalEEZNS1_25segmented_radix_sort_implIS3_Lb0EPKaPaPKlPlN2at6native12_GLOBAL__N_18offset_tEEE10hipError_tPvRmT1_PNSt15iterator_traitsISK_E10value_typeET2_T3_PNSL_ISQ_E10value_typeET4_jRbjT5_SW_jjP12ihipStream_tbEUlT_E0_NS1_11comp_targetILNS1_3genE10ELNS1_11target_archE1200ELNS1_3gpuE4ELNS1_3repE0EEENS1_60segmented_radix_sort_warp_sort_medium_config_static_selectorELNS0_4arch9wavefront6targetE0EEEvSK_.has_recursion, 0
	.set _ZN7rocprim17ROCPRIM_400000_NS6detail17trampoline_kernelINS0_14default_configENS1_36segmented_radix_sort_config_selectorIalEEZNS1_25segmented_radix_sort_implIS3_Lb0EPKaPaPKlPlN2at6native12_GLOBAL__N_18offset_tEEE10hipError_tPvRmT1_PNSt15iterator_traitsISK_E10value_typeET2_T3_PNSL_ISQ_E10value_typeET4_jRbjT5_SW_jjP12ihipStream_tbEUlT_E0_NS1_11comp_targetILNS1_3genE10ELNS1_11target_archE1200ELNS1_3gpuE4ELNS1_3repE0EEENS1_60segmented_radix_sort_warp_sort_medium_config_static_selectorELNS0_4arch9wavefront6targetE0EEEvSK_.has_indirect_call, 0
	.section	.AMDGPU.csdata,"",@progbits
; Kernel info:
; codeLenInByte = 0
; TotalNumSgprs: 0
; NumVgprs: 0
; ScratchSize: 0
; MemoryBound: 0
; FloatMode: 240
; IeeeMode: 1
; LDSByteSize: 0 bytes/workgroup (compile time only)
; SGPRBlocks: 0
; VGPRBlocks: 0
; NumSGPRsForWavesPerEU: 1
; NumVGPRsForWavesPerEU: 1
; NamedBarCnt: 0
; Occupancy: 16
; WaveLimiterHint : 0
; COMPUTE_PGM_RSRC2:SCRATCH_EN: 0
; COMPUTE_PGM_RSRC2:USER_SGPR: 2
; COMPUTE_PGM_RSRC2:TRAP_HANDLER: 0
; COMPUTE_PGM_RSRC2:TGID_X_EN: 1
; COMPUTE_PGM_RSRC2:TGID_Y_EN: 0
; COMPUTE_PGM_RSRC2:TGID_Z_EN: 0
; COMPUTE_PGM_RSRC2:TIDIG_COMP_CNT: 0
	.section	.text._ZN7rocprim17ROCPRIM_400000_NS6detail17trampoline_kernelINS0_14default_configENS1_36segmented_radix_sort_config_selectorIalEEZNS1_25segmented_radix_sort_implIS3_Lb0EPKaPaPKlPlN2at6native12_GLOBAL__N_18offset_tEEE10hipError_tPvRmT1_PNSt15iterator_traitsISK_E10value_typeET2_T3_PNSL_ISQ_E10value_typeET4_jRbjT5_SW_jjP12ihipStream_tbEUlT_E0_NS1_11comp_targetILNS1_3genE9ELNS1_11target_archE1100ELNS1_3gpuE3ELNS1_3repE0EEENS1_60segmented_radix_sort_warp_sort_medium_config_static_selectorELNS0_4arch9wavefront6targetE0EEEvSK_,"axG",@progbits,_ZN7rocprim17ROCPRIM_400000_NS6detail17trampoline_kernelINS0_14default_configENS1_36segmented_radix_sort_config_selectorIalEEZNS1_25segmented_radix_sort_implIS3_Lb0EPKaPaPKlPlN2at6native12_GLOBAL__N_18offset_tEEE10hipError_tPvRmT1_PNSt15iterator_traitsISK_E10value_typeET2_T3_PNSL_ISQ_E10value_typeET4_jRbjT5_SW_jjP12ihipStream_tbEUlT_E0_NS1_11comp_targetILNS1_3genE9ELNS1_11target_archE1100ELNS1_3gpuE3ELNS1_3repE0EEENS1_60segmented_radix_sort_warp_sort_medium_config_static_selectorELNS0_4arch9wavefront6targetE0EEEvSK_,comdat
	.globl	_ZN7rocprim17ROCPRIM_400000_NS6detail17trampoline_kernelINS0_14default_configENS1_36segmented_radix_sort_config_selectorIalEEZNS1_25segmented_radix_sort_implIS3_Lb0EPKaPaPKlPlN2at6native12_GLOBAL__N_18offset_tEEE10hipError_tPvRmT1_PNSt15iterator_traitsISK_E10value_typeET2_T3_PNSL_ISQ_E10value_typeET4_jRbjT5_SW_jjP12ihipStream_tbEUlT_E0_NS1_11comp_targetILNS1_3genE9ELNS1_11target_archE1100ELNS1_3gpuE3ELNS1_3repE0EEENS1_60segmented_radix_sort_warp_sort_medium_config_static_selectorELNS0_4arch9wavefront6targetE0EEEvSK_ ; -- Begin function _ZN7rocprim17ROCPRIM_400000_NS6detail17trampoline_kernelINS0_14default_configENS1_36segmented_radix_sort_config_selectorIalEEZNS1_25segmented_radix_sort_implIS3_Lb0EPKaPaPKlPlN2at6native12_GLOBAL__N_18offset_tEEE10hipError_tPvRmT1_PNSt15iterator_traitsISK_E10value_typeET2_T3_PNSL_ISQ_E10value_typeET4_jRbjT5_SW_jjP12ihipStream_tbEUlT_E0_NS1_11comp_targetILNS1_3genE9ELNS1_11target_archE1100ELNS1_3gpuE3ELNS1_3repE0EEENS1_60segmented_radix_sort_warp_sort_medium_config_static_selectorELNS0_4arch9wavefront6targetE0EEEvSK_
	.p2align	8
	.type	_ZN7rocprim17ROCPRIM_400000_NS6detail17trampoline_kernelINS0_14default_configENS1_36segmented_radix_sort_config_selectorIalEEZNS1_25segmented_radix_sort_implIS3_Lb0EPKaPaPKlPlN2at6native12_GLOBAL__N_18offset_tEEE10hipError_tPvRmT1_PNSt15iterator_traitsISK_E10value_typeET2_T3_PNSL_ISQ_E10value_typeET4_jRbjT5_SW_jjP12ihipStream_tbEUlT_E0_NS1_11comp_targetILNS1_3genE9ELNS1_11target_archE1100ELNS1_3gpuE3ELNS1_3repE0EEENS1_60segmented_radix_sort_warp_sort_medium_config_static_selectorELNS0_4arch9wavefront6targetE0EEEvSK_,@function
_ZN7rocprim17ROCPRIM_400000_NS6detail17trampoline_kernelINS0_14default_configENS1_36segmented_radix_sort_config_selectorIalEEZNS1_25segmented_radix_sort_implIS3_Lb0EPKaPaPKlPlN2at6native12_GLOBAL__N_18offset_tEEE10hipError_tPvRmT1_PNSt15iterator_traitsISK_E10value_typeET2_T3_PNSL_ISQ_E10value_typeET4_jRbjT5_SW_jjP12ihipStream_tbEUlT_E0_NS1_11comp_targetILNS1_3genE9ELNS1_11target_archE1100ELNS1_3gpuE3ELNS1_3repE0EEENS1_60segmented_radix_sort_warp_sort_medium_config_static_selectorELNS0_4arch9wavefront6targetE0EEEvSK_: ; @_ZN7rocprim17ROCPRIM_400000_NS6detail17trampoline_kernelINS0_14default_configENS1_36segmented_radix_sort_config_selectorIalEEZNS1_25segmented_radix_sort_implIS3_Lb0EPKaPaPKlPlN2at6native12_GLOBAL__N_18offset_tEEE10hipError_tPvRmT1_PNSt15iterator_traitsISK_E10value_typeET2_T3_PNSL_ISQ_E10value_typeET4_jRbjT5_SW_jjP12ihipStream_tbEUlT_E0_NS1_11comp_targetILNS1_3genE9ELNS1_11target_archE1100ELNS1_3gpuE3ELNS1_3repE0EEENS1_60segmented_radix_sort_warp_sort_medium_config_static_selectorELNS0_4arch9wavefront6targetE0EEEvSK_
; %bb.0:
	.section	.rodata,"a",@progbits
	.p2align	6, 0x0
	.amdhsa_kernel _ZN7rocprim17ROCPRIM_400000_NS6detail17trampoline_kernelINS0_14default_configENS1_36segmented_radix_sort_config_selectorIalEEZNS1_25segmented_radix_sort_implIS3_Lb0EPKaPaPKlPlN2at6native12_GLOBAL__N_18offset_tEEE10hipError_tPvRmT1_PNSt15iterator_traitsISK_E10value_typeET2_T3_PNSL_ISQ_E10value_typeET4_jRbjT5_SW_jjP12ihipStream_tbEUlT_E0_NS1_11comp_targetILNS1_3genE9ELNS1_11target_archE1100ELNS1_3gpuE3ELNS1_3repE0EEENS1_60segmented_radix_sort_warp_sort_medium_config_static_selectorELNS0_4arch9wavefront6targetE0EEEvSK_
		.amdhsa_group_segment_fixed_size 0
		.amdhsa_private_segment_fixed_size 0
		.amdhsa_kernarg_size 88
		.amdhsa_user_sgpr_count 2
		.amdhsa_user_sgpr_dispatch_ptr 0
		.amdhsa_user_sgpr_queue_ptr 0
		.amdhsa_user_sgpr_kernarg_segment_ptr 1
		.amdhsa_user_sgpr_dispatch_id 0
		.amdhsa_user_sgpr_kernarg_preload_length 0
		.amdhsa_user_sgpr_kernarg_preload_offset 0
		.amdhsa_user_sgpr_private_segment_size 0
		.amdhsa_wavefront_size32 1
		.amdhsa_uses_dynamic_stack 0
		.amdhsa_enable_private_segment 0
		.amdhsa_system_sgpr_workgroup_id_x 1
		.amdhsa_system_sgpr_workgroup_id_y 0
		.amdhsa_system_sgpr_workgroup_id_z 0
		.amdhsa_system_sgpr_workgroup_info 0
		.amdhsa_system_vgpr_workitem_id 0
		.amdhsa_next_free_vgpr 1
		.amdhsa_next_free_sgpr 1
		.amdhsa_named_barrier_count 0
		.amdhsa_reserve_vcc 0
		.amdhsa_float_round_mode_32 0
		.amdhsa_float_round_mode_16_64 0
		.amdhsa_float_denorm_mode_32 3
		.amdhsa_float_denorm_mode_16_64 3
		.amdhsa_fp16_overflow 0
		.amdhsa_memory_ordered 1
		.amdhsa_forward_progress 1
		.amdhsa_inst_pref_size 0
		.amdhsa_round_robin_scheduling 0
		.amdhsa_exception_fp_ieee_invalid_op 0
		.amdhsa_exception_fp_denorm_src 0
		.amdhsa_exception_fp_ieee_div_zero 0
		.amdhsa_exception_fp_ieee_overflow 0
		.amdhsa_exception_fp_ieee_underflow 0
		.amdhsa_exception_fp_ieee_inexact 0
		.amdhsa_exception_int_div_zero 0
	.end_amdhsa_kernel
	.section	.text._ZN7rocprim17ROCPRIM_400000_NS6detail17trampoline_kernelINS0_14default_configENS1_36segmented_radix_sort_config_selectorIalEEZNS1_25segmented_radix_sort_implIS3_Lb0EPKaPaPKlPlN2at6native12_GLOBAL__N_18offset_tEEE10hipError_tPvRmT1_PNSt15iterator_traitsISK_E10value_typeET2_T3_PNSL_ISQ_E10value_typeET4_jRbjT5_SW_jjP12ihipStream_tbEUlT_E0_NS1_11comp_targetILNS1_3genE9ELNS1_11target_archE1100ELNS1_3gpuE3ELNS1_3repE0EEENS1_60segmented_radix_sort_warp_sort_medium_config_static_selectorELNS0_4arch9wavefront6targetE0EEEvSK_,"axG",@progbits,_ZN7rocprim17ROCPRIM_400000_NS6detail17trampoline_kernelINS0_14default_configENS1_36segmented_radix_sort_config_selectorIalEEZNS1_25segmented_radix_sort_implIS3_Lb0EPKaPaPKlPlN2at6native12_GLOBAL__N_18offset_tEEE10hipError_tPvRmT1_PNSt15iterator_traitsISK_E10value_typeET2_T3_PNSL_ISQ_E10value_typeET4_jRbjT5_SW_jjP12ihipStream_tbEUlT_E0_NS1_11comp_targetILNS1_3genE9ELNS1_11target_archE1100ELNS1_3gpuE3ELNS1_3repE0EEENS1_60segmented_radix_sort_warp_sort_medium_config_static_selectorELNS0_4arch9wavefront6targetE0EEEvSK_,comdat
.Lfunc_end408:
	.size	_ZN7rocprim17ROCPRIM_400000_NS6detail17trampoline_kernelINS0_14default_configENS1_36segmented_radix_sort_config_selectorIalEEZNS1_25segmented_radix_sort_implIS3_Lb0EPKaPaPKlPlN2at6native12_GLOBAL__N_18offset_tEEE10hipError_tPvRmT1_PNSt15iterator_traitsISK_E10value_typeET2_T3_PNSL_ISQ_E10value_typeET4_jRbjT5_SW_jjP12ihipStream_tbEUlT_E0_NS1_11comp_targetILNS1_3genE9ELNS1_11target_archE1100ELNS1_3gpuE3ELNS1_3repE0EEENS1_60segmented_radix_sort_warp_sort_medium_config_static_selectorELNS0_4arch9wavefront6targetE0EEEvSK_, .Lfunc_end408-_ZN7rocprim17ROCPRIM_400000_NS6detail17trampoline_kernelINS0_14default_configENS1_36segmented_radix_sort_config_selectorIalEEZNS1_25segmented_radix_sort_implIS3_Lb0EPKaPaPKlPlN2at6native12_GLOBAL__N_18offset_tEEE10hipError_tPvRmT1_PNSt15iterator_traitsISK_E10value_typeET2_T3_PNSL_ISQ_E10value_typeET4_jRbjT5_SW_jjP12ihipStream_tbEUlT_E0_NS1_11comp_targetILNS1_3genE9ELNS1_11target_archE1100ELNS1_3gpuE3ELNS1_3repE0EEENS1_60segmented_radix_sort_warp_sort_medium_config_static_selectorELNS0_4arch9wavefront6targetE0EEEvSK_
                                        ; -- End function
	.set _ZN7rocprim17ROCPRIM_400000_NS6detail17trampoline_kernelINS0_14default_configENS1_36segmented_radix_sort_config_selectorIalEEZNS1_25segmented_radix_sort_implIS3_Lb0EPKaPaPKlPlN2at6native12_GLOBAL__N_18offset_tEEE10hipError_tPvRmT1_PNSt15iterator_traitsISK_E10value_typeET2_T3_PNSL_ISQ_E10value_typeET4_jRbjT5_SW_jjP12ihipStream_tbEUlT_E0_NS1_11comp_targetILNS1_3genE9ELNS1_11target_archE1100ELNS1_3gpuE3ELNS1_3repE0EEENS1_60segmented_radix_sort_warp_sort_medium_config_static_selectorELNS0_4arch9wavefront6targetE0EEEvSK_.num_vgpr, 0
	.set _ZN7rocprim17ROCPRIM_400000_NS6detail17trampoline_kernelINS0_14default_configENS1_36segmented_radix_sort_config_selectorIalEEZNS1_25segmented_radix_sort_implIS3_Lb0EPKaPaPKlPlN2at6native12_GLOBAL__N_18offset_tEEE10hipError_tPvRmT1_PNSt15iterator_traitsISK_E10value_typeET2_T3_PNSL_ISQ_E10value_typeET4_jRbjT5_SW_jjP12ihipStream_tbEUlT_E0_NS1_11comp_targetILNS1_3genE9ELNS1_11target_archE1100ELNS1_3gpuE3ELNS1_3repE0EEENS1_60segmented_radix_sort_warp_sort_medium_config_static_selectorELNS0_4arch9wavefront6targetE0EEEvSK_.num_agpr, 0
	.set _ZN7rocprim17ROCPRIM_400000_NS6detail17trampoline_kernelINS0_14default_configENS1_36segmented_radix_sort_config_selectorIalEEZNS1_25segmented_radix_sort_implIS3_Lb0EPKaPaPKlPlN2at6native12_GLOBAL__N_18offset_tEEE10hipError_tPvRmT1_PNSt15iterator_traitsISK_E10value_typeET2_T3_PNSL_ISQ_E10value_typeET4_jRbjT5_SW_jjP12ihipStream_tbEUlT_E0_NS1_11comp_targetILNS1_3genE9ELNS1_11target_archE1100ELNS1_3gpuE3ELNS1_3repE0EEENS1_60segmented_radix_sort_warp_sort_medium_config_static_selectorELNS0_4arch9wavefront6targetE0EEEvSK_.numbered_sgpr, 0
	.set _ZN7rocprim17ROCPRIM_400000_NS6detail17trampoline_kernelINS0_14default_configENS1_36segmented_radix_sort_config_selectorIalEEZNS1_25segmented_radix_sort_implIS3_Lb0EPKaPaPKlPlN2at6native12_GLOBAL__N_18offset_tEEE10hipError_tPvRmT1_PNSt15iterator_traitsISK_E10value_typeET2_T3_PNSL_ISQ_E10value_typeET4_jRbjT5_SW_jjP12ihipStream_tbEUlT_E0_NS1_11comp_targetILNS1_3genE9ELNS1_11target_archE1100ELNS1_3gpuE3ELNS1_3repE0EEENS1_60segmented_radix_sort_warp_sort_medium_config_static_selectorELNS0_4arch9wavefront6targetE0EEEvSK_.num_named_barrier, 0
	.set _ZN7rocprim17ROCPRIM_400000_NS6detail17trampoline_kernelINS0_14default_configENS1_36segmented_radix_sort_config_selectorIalEEZNS1_25segmented_radix_sort_implIS3_Lb0EPKaPaPKlPlN2at6native12_GLOBAL__N_18offset_tEEE10hipError_tPvRmT1_PNSt15iterator_traitsISK_E10value_typeET2_T3_PNSL_ISQ_E10value_typeET4_jRbjT5_SW_jjP12ihipStream_tbEUlT_E0_NS1_11comp_targetILNS1_3genE9ELNS1_11target_archE1100ELNS1_3gpuE3ELNS1_3repE0EEENS1_60segmented_radix_sort_warp_sort_medium_config_static_selectorELNS0_4arch9wavefront6targetE0EEEvSK_.private_seg_size, 0
	.set _ZN7rocprim17ROCPRIM_400000_NS6detail17trampoline_kernelINS0_14default_configENS1_36segmented_radix_sort_config_selectorIalEEZNS1_25segmented_radix_sort_implIS3_Lb0EPKaPaPKlPlN2at6native12_GLOBAL__N_18offset_tEEE10hipError_tPvRmT1_PNSt15iterator_traitsISK_E10value_typeET2_T3_PNSL_ISQ_E10value_typeET4_jRbjT5_SW_jjP12ihipStream_tbEUlT_E0_NS1_11comp_targetILNS1_3genE9ELNS1_11target_archE1100ELNS1_3gpuE3ELNS1_3repE0EEENS1_60segmented_radix_sort_warp_sort_medium_config_static_selectorELNS0_4arch9wavefront6targetE0EEEvSK_.uses_vcc, 0
	.set _ZN7rocprim17ROCPRIM_400000_NS6detail17trampoline_kernelINS0_14default_configENS1_36segmented_radix_sort_config_selectorIalEEZNS1_25segmented_radix_sort_implIS3_Lb0EPKaPaPKlPlN2at6native12_GLOBAL__N_18offset_tEEE10hipError_tPvRmT1_PNSt15iterator_traitsISK_E10value_typeET2_T3_PNSL_ISQ_E10value_typeET4_jRbjT5_SW_jjP12ihipStream_tbEUlT_E0_NS1_11comp_targetILNS1_3genE9ELNS1_11target_archE1100ELNS1_3gpuE3ELNS1_3repE0EEENS1_60segmented_radix_sort_warp_sort_medium_config_static_selectorELNS0_4arch9wavefront6targetE0EEEvSK_.uses_flat_scratch, 0
	.set _ZN7rocprim17ROCPRIM_400000_NS6detail17trampoline_kernelINS0_14default_configENS1_36segmented_radix_sort_config_selectorIalEEZNS1_25segmented_radix_sort_implIS3_Lb0EPKaPaPKlPlN2at6native12_GLOBAL__N_18offset_tEEE10hipError_tPvRmT1_PNSt15iterator_traitsISK_E10value_typeET2_T3_PNSL_ISQ_E10value_typeET4_jRbjT5_SW_jjP12ihipStream_tbEUlT_E0_NS1_11comp_targetILNS1_3genE9ELNS1_11target_archE1100ELNS1_3gpuE3ELNS1_3repE0EEENS1_60segmented_radix_sort_warp_sort_medium_config_static_selectorELNS0_4arch9wavefront6targetE0EEEvSK_.has_dyn_sized_stack, 0
	.set _ZN7rocprim17ROCPRIM_400000_NS6detail17trampoline_kernelINS0_14default_configENS1_36segmented_radix_sort_config_selectorIalEEZNS1_25segmented_radix_sort_implIS3_Lb0EPKaPaPKlPlN2at6native12_GLOBAL__N_18offset_tEEE10hipError_tPvRmT1_PNSt15iterator_traitsISK_E10value_typeET2_T3_PNSL_ISQ_E10value_typeET4_jRbjT5_SW_jjP12ihipStream_tbEUlT_E0_NS1_11comp_targetILNS1_3genE9ELNS1_11target_archE1100ELNS1_3gpuE3ELNS1_3repE0EEENS1_60segmented_radix_sort_warp_sort_medium_config_static_selectorELNS0_4arch9wavefront6targetE0EEEvSK_.has_recursion, 0
	.set _ZN7rocprim17ROCPRIM_400000_NS6detail17trampoline_kernelINS0_14default_configENS1_36segmented_radix_sort_config_selectorIalEEZNS1_25segmented_radix_sort_implIS3_Lb0EPKaPaPKlPlN2at6native12_GLOBAL__N_18offset_tEEE10hipError_tPvRmT1_PNSt15iterator_traitsISK_E10value_typeET2_T3_PNSL_ISQ_E10value_typeET4_jRbjT5_SW_jjP12ihipStream_tbEUlT_E0_NS1_11comp_targetILNS1_3genE9ELNS1_11target_archE1100ELNS1_3gpuE3ELNS1_3repE0EEENS1_60segmented_radix_sort_warp_sort_medium_config_static_selectorELNS0_4arch9wavefront6targetE0EEEvSK_.has_indirect_call, 0
	.section	.AMDGPU.csdata,"",@progbits
; Kernel info:
; codeLenInByte = 0
; TotalNumSgprs: 0
; NumVgprs: 0
; ScratchSize: 0
; MemoryBound: 0
; FloatMode: 240
; IeeeMode: 1
; LDSByteSize: 0 bytes/workgroup (compile time only)
; SGPRBlocks: 0
; VGPRBlocks: 0
; NumSGPRsForWavesPerEU: 1
; NumVGPRsForWavesPerEU: 1
; NamedBarCnt: 0
; Occupancy: 16
; WaveLimiterHint : 0
; COMPUTE_PGM_RSRC2:SCRATCH_EN: 0
; COMPUTE_PGM_RSRC2:USER_SGPR: 2
; COMPUTE_PGM_RSRC2:TRAP_HANDLER: 0
; COMPUTE_PGM_RSRC2:TGID_X_EN: 1
; COMPUTE_PGM_RSRC2:TGID_Y_EN: 0
; COMPUTE_PGM_RSRC2:TGID_Z_EN: 0
; COMPUTE_PGM_RSRC2:TIDIG_COMP_CNT: 0
	.section	.text._ZN7rocprim17ROCPRIM_400000_NS6detail17trampoline_kernelINS0_14default_configENS1_36segmented_radix_sort_config_selectorIalEEZNS1_25segmented_radix_sort_implIS3_Lb0EPKaPaPKlPlN2at6native12_GLOBAL__N_18offset_tEEE10hipError_tPvRmT1_PNSt15iterator_traitsISK_E10value_typeET2_T3_PNSL_ISQ_E10value_typeET4_jRbjT5_SW_jjP12ihipStream_tbEUlT_E0_NS1_11comp_targetILNS1_3genE8ELNS1_11target_archE1030ELNS1_3gpuE2ELNS1_3repE0EEENS1_60segmented_radix_sort_warp_sort_medium_config_static_selectorELNS0_4arch9wavefront6targetE0EEEvSK_,"axG",@progbits,_ZN7rocprim17ROCPRIM_400000_NS6detail17trampoline_kernelINS0_14default_configENS1_36segmented_radix_sort_config_selectorIalEEZNS1_25segmented_radix_sort_implIS3_Lb0EPKaPaPKlPlN2at6native12_GLOBAL__N_18offset_tEEE10hipError_tPvRmT1_PNSt15iterator_traitsISK_E10value_typeET2_T3_PNSL_ISQ_E10value_typeET4_jRbjT5_SW_jjP12ihipStream_tbEUlT_E0_NS1_11comp_targetILNS1_3genE8ELNS1_11target_archE1030ELNS1_3gpuE2ELNS1_3repE0EEENS1_60segmented_radix_sort_warp_sort_medium_config_static_selectorELNS0_4arch9wavefront6targetE0EEEvSK_,comdat
	.globl	_ZN7rocprim17ROCPRIM_400000_NS6detail17trampoline_kernelINS0_14default_configENS1_36segmented_radix_sort_config_selectorIalEEZNS1_25segmented_radix_sort_implIS3_Lb0EPKaPaPKlPlN2at6native12_GLOBAL__N_18offset_tEEE10hipError_tPvRmT1_PNSt15iterator_traitsISK_E10value_typeET2_T3_PNSL_ISQ_E10value_typeET4_jRbjT5_SW_jjP12ihipStream_tbEUlT_E0_NS1_11comp_targetILNS1_3genE8ELNS1_11target_archE1030ELNS1_3gpuE2ELNS1_3repE0EEENS1_60segmented_radix_sort_warp_sort_medium_config_static_selectorELNS0_4arch9wavefront6targetE0EEEvSK_ ; -- Begin function _ZN7rocprim17ROCPRIM_400000_NS6detail17trampoline_kernelINS0_14default_configENS1_36segmented_radix_sort_config_selectorIalEEZNS1_25segmented_radix_sort_implIS3_Lb0EPKaPaPKlPlN2at6native12_GLOBAL__N_18offset_tEEE10hipError_tPvRmT1_PNSt15iterator_traitsISK_E10value_typeET2_T3_PNSL_ISQ_E10value_typeET4_jRbjT5_SW_jjP12ihipStream_tbEUlT_E0_NS1_11comp_targetILNS1_3genE8ELNS1_11target_archE1030ELNS1_3gpuE2ELNS1_3repE0EEENS1_60segmented_radix_sort_warp_sort_medium_config_static_selectorELNS0_4arch9wavefront6targetE0EEEvSK_
	.p2align	8
	.type	_ZN7rocprim17ROCPRIM_400000_NS6detail17trampoline_kernelINS0_14default_configENS1_36segmented_radix_sort_config_selectorIalEEZNS1_25segmented_radix_sort_implIS3_Lb0EPKaPaPKlPlN2at6native12_GLOBAL__N_18offset_tEEE10hipError_tPvRmT1_PNSt15iterator_traitsISK_E10value_typeET2_T3_PNSL_ISQ_E10value_typeET4_jRbjT5_SW_jjP12ihipStream_tbEUlT_E0_NS1_11comp_targetILNS1_3genE8ELNS1_11target_archE1030ELNS1_3gpuE2ELNS1_3repE0EEENS1_60segmented_radix_sort_warp_sort_medium_config_static_selectorELNS0_4arch9wavefront6targetE0EEEvSK_,@function
_ZN7rocprim17ROCPRIM_400000_NS6detail17trampoline_kernelINS0_14default_configENS1_36segmented_radix_sort_config_selectorIalEEZNS1_25segmented_radix_sort_implIS3_Lb0EPKaPaPKlPlN2at6native12_GLOBAL__N_18offset_tEEE10hipError_tPvRmT1_PNSt15iterator_traitsISK_E10value_typeET2_T3_PNSL_ISQ_E10value_typeET4_jRbjT5_SW_jjP12ihipStream_tbEUlT_E0_NS1_11comp_targetILNS1_3genE8ELNS1_11target_archE1030ELNS1_3gpuE2ELNS1_3repE0EEENS1_60segmented_radix_sort_warp_sort_medium_config_static_selectorELNS0_4arch9wavefront6targetE0EEEvSK_: ; @_ZN7rocprim17ROCPRIM_400000_NS6detail17trampoline_kernelINS0_14default_configENS1_36segmented_radix_sort_config_selectorIalEEZNS1_25segmented_radix_sort_implIS3_Lb0EPKaPaPKlPlN2at6native12_GLOBAL__N_18offset_tEEE10hipError_tPvRmT1_PNSt15iterator_traitsISK_E10value_typeET2_T3_PNSL_ISQ_E10value_typeET4_jRbjT5_SW_jjP12ihipStream_tbEUlT_E0_NS1_11comp_targetILNS1_3genE8ELNS1_11target_archE1030ELNS1_3gpuE2ELNS1_3repE0EEENS1_60segmented_radix_sort_warp_sort_medium_config_static_selectorELNS0_4arch9wavefront6targetE0EEEvSK_
; %bb.0:
	.section	.rodata,"a",@progbits
	.p2align	6, 0x0
	.amdhsa_kernel _ZN7rocprim17ROCPRIM_400000_NS6detail17trampoline_kernelINS0_14default_configENS1_36segmented_radix_sort_config_selectorIalEEZNS1_25segmented_radix_sort_implIS3_Lb0EPKaPaPKlPlN2at6native12_GLOBAL__N_18offset_tEEE10hipError_tPvRmT1_PNSt15iterator_traitsISK_E10value_typeET2_T3_PNSL_ISQ_E10value_typeET4_jRbjT5_SW_jjP12ihipStream_tbEUlT_E0_NS1_11comp_targetILNS1_3genE8ELNS1_11target_archE1030ELNS1_3gpuE2ELNS1_3repE0EEENS1_60segmented_radix_sort_warp_sort_medium_config_static_selectorELNS0_4arch9wavefront6targetE0EEEvSK_
		.amdhsa_group_segment_fixed_size 0
		.amdhsa_private_segment_fixed_size 0
		.amdhsa_kernarg_size 88
		.amdhsa_user_sgpr_count 2
		.amdhsa_user_sgpr_dispatch_ptr 0
		.amdhsa_user_sgpr_queue_ptr 0
		.amdhsa_user_sgpr_kernarg_segment_ptr 1
		.amdhsa_user_sgpr_dispatch_id 0
		.amdhsa_user_sgpr_kernarg_preload_length 0
		.amdhsa_user_sgpr_kernarg_preload_offset 0
		.amdhsa_user_sgpr_private_segment_size 0
		.amdhsa_wavefront_size32 1
		.amdhsa_uses_dynamic_stack 0
		.amdhsa_enable_private_segment 0
		.amdhsa_system_sgpr_workgroup_id_x 1
		.amdhsa_system_sgpr_workgroup_id_y 0
		.amdhsa_system_sgpr_workgroup_id_z 0
		.amdhsa_system_sgpr_workgroup_info 0
		.amdhsa_system_vgpr_workitem_id 0
		.amdhsa_next_free_vgpr 1
		.amdhsa_next_free_sgpr 1
		.amdhsa_named_barrier_count 0
		.amdhsa_reserve_vcc 0
		.amdhsa_float_round_mode_32 0
		.amdhsa_float_round_mode_16_64 0
		.amdhsa_float_denorm_mode_32 3
		.amdhsa_float_denorm_mode_16_64 3
		.amdhsa_fp16_overflow 0
		.amdhsa_memory_ordered 1
		.amdhsa_forward_progress 1
		.amdhsa_inst_pref_size 0
		.amdhsa_round_robin_scheduling 0
		.amdhsa_exception_fp_ieee_invalid_op 0
		.amdhsa_exception_fp_denorm_src 0
		.amdhsa_exception_fp_ieee_div_zero 0
		.amdhsa_exception_fp_ieee_overflow 0
		.amdhsa_exception_fp_ieee_underflow 0
		.amdhsa_exception_fp_ieee_inexact 0
		.amdhsa_exception_int_div_zero 0
	.end_amdhsa_kernel
	.section	.text._ZN7rocprim17ROCPRIM_400000_NS6detail17trampoline_kernelINS0_14default_configENS1_36segmented_radix_sort_config_selectorIalEEZNS1_25segmented_radix_sort_implIS3_Lb0EPKaPaPKlPlN2at6native12_GLOBAL__N_18offset_tEEE10hipError_tPvRmT1_PNSt15iterator_traitsISK_E10value_typeET2_T3_PNSL_ISQ_E10value_typeET4_jRbjT5_SW_jjP12ihipStream_tbEUlT_E0_NS1_11comp_targetILNS1_3genE8ELNS1_11target_archE1030ELNS1_3gpuE2ELNS1_3repE0EEENS1_60segmented_radix_sort_warp_sort_medium_config_static_selectorELNS0_4arch9wavefront6targetE0EEEvSK_,"axG",@progbits,_ZN7rocprim17ROCPRIM_400000_NS6detail17trampoline_kernelINS0_14default_configENS1_36segmented_radix_sort_config_selectorIalEEZNS1_25segmented_radix_sort_implIS3_Lb0EPKaPaPKlPlN2at6native12_GLOBAL__N_18offset_tEEE10hipError_tPvRmT1_PNSt15iterator_traitsISK_E10value_typeET2_T3_PNSL_ISQ_E10value_typeET4_jRbjT5_SW_jjP12ihipStream_tbEUlT_E0_NS1_11comp_targetILNS1_3genE8ELNS1_11target_archE1030ELNS1_3gpuE2ELNS1_3repE0EEENS1_60segmented_radix_sort_warp_sort_medium_config_static_selectorELNS0_4arch9wavefront6targetE0EEEvSK_,comdat
.Lfunc_end409:
	.size	_ZN7rocprim17ROCPRIM_400000_NS6detail17trampoline_kernelINS0_14default_configENS1_36segmented_radix_sort_config_selectorIalEEZNS1_25segmented_radix_sort_implIS3_Lb0EPKaPaPKlPlN2at6native12_GLOBAL__N_18offset_tEEE10hipError_tPvRmT1_PNSt15iterator_traitsISK_E10value_typeET2_T3_PNSL_ISQ_E10value_typeET4_jRbjT5_SW_jjP12ihipStream_tbEUlT_E0_NS1_11comp_targetILNS1_3genE8ELNS1_11target_archE1030ELNS1_3gpuE2ELNS1_3repE0EEENS1_60segmented_radix_sort_warp_sort_medium_config_static_selectorELNS0_4arch9wavefront6targetE0EEEvSK_, .Lfunc_end409-_ZN7rocprim17ROCPRIM_400000_NS6detail17trampoline_kernelINS0_14default_configENS1_36segmented_radix_sort_config_selectorIalEEZNS1_25segmented_radix_sort_implIS3_Lb0EPKaPaPKlPlN2at6native12_GLOBAL__N_18offset_tEEE10hipError_tPvRmT1_PNSt15iterator_traitsISK_E10value_typeET2_T3_PNSL_ISQ_E10value_typeET4_jRbjT5_SW_jjP12ihipStream_tbEUlT_E0_NS1_11comp_targetILNS1_3genE8ELNS1_11target_archE1030ELNS1_3gpuE2ELNS1_3repE0EEENS1_60segmented_radix_sort_warp_sort_medium_config_static_selectorELNS0_4arch9wavefront6targetE0EEEvSK_
                                        ; -- End function
	.set _ZN7rocprim17ROCPRIM_400000_NS6detail17trampoline_kernelINS0_14default_configENS1_36segmented_radix_sort_config_selectorIalEEZNS1_25segmented_radix_sort_implIS3_Lb0EPKaPaPKlPlN2at6native12_GLOBAL__N_18offset_tEEE10hipError_tPvRmT1_PNSt15iterator_traitsISK_E10value_typeET2_T3_PNSL_ISQ_E10value_typeET4_jRbjT5_SW_jjP12ihipStream_tbEUlT_E0_NS1_11comp_targetILNS1_3genE8ELNS1_11target_archE1030ELNS1_3gpuE2ELNS1_3repE0EEENS1_60segmented_radix_sort_warp_sort_medium_config_static_selectorELNS0_4arch9wavefront6targetE0EEEvSK_.num_vgpr, 0
	.set _ZN7rocprim17ROCPRIM_400000_NS6detail17trampoline_kernelINS0_14default_configENS1_36segmented_radix_sort_config_selectorIalEEZNS1_25segmented_radix_sort_implIS3_Lb0EPKaPaPKlPlN2at6native12_GLOBAL__N_18offset_tEEE10hipError_tPvRmT1_PNSt15iterator_traitsISK_E10value_typeET2_T3_PNSL_ISQ_E10value_typeET4_jRbjT5_SW_jjP12ihipStream_tbEUlT_E0_NS1_11comp_targetILNS1_3genE8ELNS1_11target_archE1030ELNS1_3gpuE2ELNS1_3repE0EEENS1_60segmented_radix_sort_warp_sort_medium_config_static_selectorELNS0_4arch9wavefront6targetE0EEEvSK_.num_agpr, 0
	.set _ZN7rocprim17ROCPRIM_400000_NS6detail17trampoline_kernelINS0_14default_configENS1_36segmented_radix_sort_config_selectorIalEEZNS1_25segmented_radix_sort_implIS3_Lb0EPKaPaPKlPlN2at6native12_GLOBAL__N_18offset_tEEE10hipError_tPvRmT1_PNSt15iterator_traitsISK_E10value_typeET2_T3_PNSL_ISQ_E10value_typeET4_jRbjT5_SW_jjP12ihipStream_tbEUlT_E0_NS1_11comp_targetILNS1_3genE8ELNS1_11target_archE1030ELNS1_3gpuE2ELNS1_3repE0EEENS1_60segmented_radix_sort_warp_sort_medium_config_static_selectorELNS0_4arch9wavefront6targetE0EEEvSK_.numbered_sgpr, 0
	.set _ZN7rocprim17ROCPRIM_400000_NS6detail17trampoline_kernelINS0_14default_configENS1_36segmented_radix_sort_config_selectorIalEEZNS1_25segmented_radix_sort_implIS3_Lb0EPKaPaPKlPlN2at6native12_GLOBAL__N_18offset_tEEE10hipError_tPvRmT1_PNSt15iterator_traitsISK_E10value_typeET2_T3_PNSL_ISQ_E10value_typeET4_jRbjT5_SW_jjP12ihipStream_tbEUlT_E0_NS1_11comp_targetILNS1_3genE8ELNS1_11target_archE1030ELNS1_3gpuE2ELNS1_3repE0EEENS1_60segmented_radix_sort_warp_sort_medium_config_static_selectorELNS0_4arch9wavefront6targetE0EEEvSK_.num_named_barrier, 0
	.set _ZN7rocprim17ROCPRIM_400000_NS6detail17trampoline_kernelINS0_14default_configENS1_36segmented_radix_sort_config_selectorIalEEZNS1_25segmented_radix_sort_implIS3_Lb0EPKaPaPKlPlN2at6native12_GLOBAL__N_18offset_tEEE10hipError_tPvRmT1_PNSt15iterator_traitsISK_E10value_typeET2_T3_PNSL_ISQ_E10value_typeET4_jRbjT5_SW_jjP12ihipStream_tbEUlT_E0_NS1_11comp_targetILNS1_3genE8ELNS1_11target_archE1030ELNS1_3gpuE2ELNS1_3repE0EEENS1_60segmented_radix_sort_warp_sort_medium_config_static_selectorELNS0_4arch9wavefront6targetE0EEEvSK_.private_seg_size, 0
	.set _ZN7rocprim17ROCPRIM_400000_NS6detail17trampoline_kernelINS0_14default_configENS1_36segmented_radix_sort_config_selectorIalEEZNS1_25segmented_radix_sort_implIS3_Lb0EPKaPaPKlPlN2at6native12_GLOBAL__N_18offset_tEEE10hipError_tPvRmT1_PNSt15iterator_traitsISK_E10value_typeET2_T3_PNSL_ISQ_E10value_typeET4_jRbjT5_SW_jjP12ihipStream_tbEUlT_E0_NS1_11comp_targetILNS1_3genE8ELNS1_11target_archE1030ELNS1_3gpuE2ELNS1_3repE0EEENS1_60segmented_radix_sort_warp_sort_medium_config_static_selectorELNS0_4arch9wavefront6targetE0EEEvSK_.uses_vcc, 0
	.set _ZN7rocprim17ROCPRIM_400000_NS6detail17trampoline_kernelINS0_14default_configENS1_36segmented_radix_sort_config_selectorIalEEZNS1_25segmented_radix_sort_implIS3_Lb0EPKaPaPKlPlN2at6native12_GLOBAL__N_18offset_tEEE10hipError_tPvRmT1_PNSt15iterator_traitsISK_E10value_typeET2_T3_PNSL_ISQ_E10value_typeET4_jRbjT5_SW_jjP12ihipStream_tbEUlT_E0_NS1_11comp_targetILNS1_3genE8ELNS1_11target_archE1030ELNS1_3gpuE2ELNS1_3repE0EEENS1_60segmented_radix_sort_warp_sort_medium_config_static_selectorELNS0_4arch9wavefront6targetE0EEEvSK_.uses_flat_scratch, 0
	.set _ZN7rocprim17ROCPRIM_400000_NS6detail17trampoline_kernelINS0_14default_configENS1_36segmented_radix_sort_config_selectorIalEEZNS1_25segmented_radix_sort_implIS3_Lb0EPKaPaPKlPlN2at6native12_GLOBAL__N_18offset_tEEE10hipError_tPvRmT1_PNSt15iterator_traitsISK_E10value_typeET2_T3_PNSL_ISQ_E10value_typeET4_jRbjT5_SW_jjP12ihipStream_tbEUlT_E0_NS1_11comp_targetILNS1_3genE8ELNS1_11target_archE1030ELNS1_3gpuE2ELNS1_3repE0EEENS1_60segmented_radix_sort_warp_sort_medium_config_static_selectorELNS0_4arch9wavefront6targetE0EEEvSK_.has_dyn_sized_stack, 0
	.set _ZN7rocprim17ROCPRIM_400000_NS6detail17trampoline_kernelINS0_14default_configENS1_36segmented_radix_sort_config_selectorIalEEZNS1_25segmented_radix_sort_implIS3_Lb0EPKaPaPKlPlN2at6native12_GLOBAL__N_18offset_tEEE10hipError_tPvRmT1_PNSt15iterator_traitsISK_E10value_typeET2_T3_PNSL_ISQ_E10value_typeET4_jRbjT5_SW_jjP12ihipStream_tbEUlT_E0_NS1_11comp_targetILNS1_3genE8ELNS1_11target_archE1030ELNS1_3gpuE2ELNS1_3repE0EEENS1_60segmented_radix_sort_warp_sort_medium_config_static_selectorELNS0_4arch9wavefront6targetE0EEEvSK_.has_recursion, 0
	.set _ZN7rocprim17ROCPRIM_400000_NS6detail17trampoline_kernelINS0_14default_configENS1_36segmented_radix_sort_config_selectorIalEEZNS1_25segmented_radix_sort_implIS3_Lb0EPKaPaPKlPlN2at6native12_GLOBAL__N_18offset_tEEE10hipError_tPvRmT1_PNSt15iterator_traitsISK_E10value_typeET2_T3_PNSL_ISQ_E10value_typeET4_jRbjT5_SW_jjP12ihipStream_tbEUlT_E0_NS1_11comp_targetILNS1_3genE8ELNS1_11target_archE1030ELNS1_3gpuE2ELNS1_3repE0EEENS1_60segmented_radix_sort_warp_sort_medium_config_static_selectorELNS0_4arch9wavefront6targetE0EEEvSK_.has_indirect_call, 0
	.section	.AMDGPU.csdata,"",@progbits
; Kernel info:
; codeLenInByte = 0
; TotalNumSgprs: 0
; NumVgprs: 0
; ScratchSize: 0
; MemoryBound: 0
; FloatMode: 240
; IeeeMode: 1
; LDSByteSize: 0 bytes/workgroup (compile time only)
; SGPRBlocks: 0
; VGPRBlocks: 0
; NumSGPRsForWavesPerEU: 1
; NumVGPRsForWavesPerEU: 1
; NamedBarCnt: 0
; Occupancy: 16
; WaveLimiterHint : 0
; COMPUTE_PGM_RSRC2:SCRATCH_EN: 0
; COMPUTE_PGM_RSRC2:USER_SGPR: 2
; COMPUTE_PGM_RSRC2:TRAP_HANDLER: 0
; COMPUTE_PGM_RSRC2:TGID_X_EN: 1
; COMPUTE_PGM_RSRC2:TGID_Y_EN: 0
; COMPUTE_PGM_RSRC2:TGID_Z_EN: 0
; COMPUTE_PGM_RSRC2:TIDIG_COMP_CNT: 0
	.section	.text._ZN7rocprim17ROCPRIM_400000_NS6detail17trampoline_kernelINS0_14default_configENS1_36segmented_radix_sort_config_selectorIalEEZNS1_25segmented_radix_sort_implIS3_Lb0EPKaPaPKlPlN2at6native12_GLOBAL__N_18offset_tEEE10hipError_tPvRmT1_PNSt15iterator_traitsISK_E10value_typeET2_T3_PNSL_ISQ_E10value_typeET4_jRbjT5_SW_jjP12ihipStream_tbEUlT_E1_NS1_11comp_targetILNS1_3genE0ELNS1_11target_archE4294967295ELNS1_3gpuE0ELNS1_3repE0EEENS1_59segmented_radix_sort_warp_sort_small_config_static_selectorELNS0_4arch9wavefront6targetE0EEEvSK_,"axG",@progbits,_ZN7rocprim17ROCPRIM_400000_NS6detail17trampoline_kernelINS0_14default_configENS1_36segmented_radix_sort_config_selectorIalEEZNS1_25segmented_radix_sort_implIS3_Lb0EPKaPaPKlPlN2at6native12_GLOBAL__N_18offset_tEEE10hipError_tPvRmT1_PNSt15iterator_traitsISK_E10value_typeET2_T3_PNSL_ISQ_E10value_typeET4_jRbjT5_SW_jjP12ihipStream_tbEUlT_E1_NS1_11comp_targetILNS1_3genE0ELNS1_11target_archE4294967295ELNS1_3gpuE0ELNS1_3repE0EEENS1_59segmented_radix_sort_warp_sort_small_config_static_selectorELNS0_4arch9wavefront6targetE0EEEvSK_,comdat
	.globl	_ZN7rocprim17ROCPRIM_400000_NS6detail17trampoline_kernelINS0_14default_configENS1_36segmented_radix_sort_config_selectorIalEEZNS1_25segmented_radix_sort_implIS3_Lb0EPKaPaPKlPlN2at6native12_GLOBAL__N_18offset_tEEE10hipError_tPvRmT1_PNSt15iterator_traitsISK_E10value_typeET2_T3_PNSL_ISQ_E10value_typeET4_jRbjT5_SW_jjP12ihipStream_tbEUlT_E1_NS1_11comp_targetILNS1_3genE0ELNS1_11target_archE4294967295ELNS1_3gpuE0ELNS1_3repE0EEENS1_59segmented_radix_sort_warp_sort_small_config_static_selectorELNS0_4arch9wavefront6targetE0EEEvSK_ ; -- Begin function _ZN7rocprim17ROCPRIM_400000_NS6detail17trampoline_kernelINS0_14default_configENS1_36segmented_radix_sort_config_selectorIalEEZNS1_25segmented_radix_sort_implIS3_Lb0EPKaPaPKlPlN2at6native12_GLOBAL__N_18offset_tEEE10hipError_tPvRmT1_PNSt15iterator_traitsISK_E10value_typeET2_T3_PNSL_ISQ_E10value_typeET4_jRbjT5_SW_jjP12ihipStream_tbEUlT_E1_NS1_11comp_targetILNS1_3genE0ELNS1_11target_archE4294967295ELNS1_3gpuE0ELNS1_3repE0EEENS1_59segmented_radix_sort_warp_sort_small_config_static_selectorELNS0_4arch9wavefront6targetE0EEEvSK_
	.p2align	8
	.type	_ZN7rocprim17ROCPRIM_400000_NS6detail17trampoline_kernelINS0_14default_configENS1_36segmented_radix_sort_config_selectorIalEEZNS1_25segmented_radix_sort_implIS3_Lb0EPKaPaPKlPlN2at6native12_GLOBAL__N_18offset_tEEE10hipError_tPvRmT1_PNSt15iterator_traitsISK_E10value_typeET2_T3_PNSL_ISQ_E10value_typeET4_jRbjT5_SW_jjP12ihipStream_tbEUlT_E1_NS1_11comp_targetILNS1_3genE0ELNS1_11target_archE4294967295ELNS1_3gpuE0ELNS1_3repE0EEENS1_59segmented_radix_sort_warp_sort_small_config_static_selectorELNS0_4arch9wavefront6targetE0EEEvSK_,@function
_ZN7rocprim17ROCPRIM_400000_NS6detail17trampoline_kernelINS0_14default_configENS1_36segmented_radix_sort_config_selectorIalEEZNS1_25segmented_radix_sort_implIS3_Lb0EPKaPaPKlPlN2at6native12_GLOBAL__N_18offset_tEEE10hipError_tPvRmT1_PNSt15iterator_traitsISK_E10value_typeET2_T3_PNSL_ISQ_E10value_typeET4_jRbjT5_SW_jjP12ihipStream_tbEUlT_E1_NS1_11comp_targetILNS1_3genE0ELNS1_11target_archE4294967295ELNS1_3gpuE0ELNS1_3repE0EEENS1_59segmented_radix_sort_warp_sort_small_config_static_selectorELNS0_4arch9wavefront6targetE0EEEvSK_: ; @_ZN7rocprim17ROCPRIM_400000_NS6detail17trampoline_kernelINS0_14default_configENS1_36segmented_radix_sort_config_selectorIalEEZNS1_25segmented_radix_sort_implIS3_Lb0EPKaPaPKlPlN2at6native12_GLOBAL__N_18offset_tEEE10hipError_tPvRmT1_PNSt15iterator_traitsISK_E10value_typeET2_T3_PNSL_ISQ_E10value_typeET4_jRbjT5_SW_jjP12ihipStream_tbEUlT_E1_NS1_11comp_targetILNS1_3genE0ELNS1_11target_archE4294967295ELNS1_3gpuE0ELNS1_3repE0EEENS1_59segmented_radix_sort_warp_sort_small_config_static_selectorELNS0_4arch9wavefront6targetE0EEEvSK_
; %bb.0:
	s_load_b32 s4, s[2:3], 0x64
	v_bfe_u32 v1, v0, 10, 10
	v_bfe_u32 v2, v0, 20, 10
	v_and_b32_e32 v3, 0x3ff, v0
	s_and_b32 s6, ttmp6, 15
	s_getreg_b32 s7, hwreg(HW_REG_IB_STS2, 6, 4)
	s_mov_b32 s32, 0
	s_wait_kmcnt 0x0
	s_lshr_b32 s5, s4, 16
	s_and_b32 s4, s4, 0xffff
	v_mad_u32_u24 v1, v2, s5, v1
	s_bfe_u32 s5, ttmp6, 0x4000c
	s_delay_alu instid0(SALU_CYCLE_1) | instskip(NEXT) | instid1(SALU_CYCLE_1)
	s_add_co_i32 s5, s5, 1
	s_mul_i32 s5, ttmp9, s5
	s_delay_alu instid0(VALU_DEP_1) | instskip(SKIP_4) | instid1(VALU_DEP_1)
	v_mad_u32 v1, v1, s4, v3
	s_load_b32 s4, s[2:3], 0x34
	s_add_co_i32 s6, s6, s5
	s_cmp_eq_u32 s7, 0
	s_cselect_b32 s5, ttmp9, s6
	v_lshrrev_b32_e32 v1, 5, v1
	s_delay_alu instid0(VALU_DEP_1) | instskip(SKIP_1) | instid1(VALU_DEP_1)
	v_lshl_add_u32 v2, s5, 3, v1
	s_wait_kmcnt 0x0
	v_cmp_gt_u32_e32 vcc_lo, s4, v2
	s_and_saveexec_b32 s4, vcc_lo
	s_cbranch_execz .LBB410_6
; %bb.1:
	s_clause 0x1
	s_load_b64 s[8:9], s[2:3], 0x38
	s_load_b128 s[4:7], s[2:3], 0x40
	v_mov_b32_e32 v3, 0
	s_delay_alu instid0(VALU_DEP_1) | instskip(SKIP_1) | instid1(VALU_DEP_1)
	v_lshlrev_b64_e32 v[2:3], 2, v[2:3]
	s_wait_kmcnt 0x0
	v_sub_nc_u64_e32 v[2:3], s[8:9], v[2:3]
	global_load_b32 v1, v[2:3], off offset:-4
	s_wait_loadcnt 0x0
	v_dual_add_nc_u32 v2, s5, v1 :: v_dual_add_nc_u32 v1, s7, v1
	s_delay_alu instid0(VALU_DEP_1) | instskip(NEXT) | instid1(VALU_DEP_2)
	v_mul_lo_u32 v8, v2, s4
	v_mul_lo_u32 v40, v1, s6
	s_delay_alu instid0(VALU_DEP_1)
	v_cmp_gt_u32_e32 vcc_lo, v40, v8
	s_and_b32 exec_lo, exec_lo, vcc_lo
	s_cbranch_execz .LBB410_6
; %bb.2:
	s_clause 0x3
	s_load_b32 s4, s[2:3], 0x30
	s_load_b128 s[36:39], s[2:3], 0x20
	s_load_b256 s[20:27], s[2:3], 0x0
	s_load_b64 s[18:19], s[2:3], 0x50
	s_add_nc_u64 s[16:17], s[2:3], 0x58
	s_get_pc_i64 s[28:29]
	s_add_nc_u64 s[28:29], s[28:29], _ZN7rocprim17ROCPRIM_400000_NS6detail26segmented_warp_sort_helperINS1_20WarpSortHelperConfigILj32ELj4ELj256EEEalLi256ELb0EvE4sortIPKaPaPKlPlEEvT_T0_T1_T2_jjjjRNS5_12storage_typeE@rel64+4
	s_wait_kmcnt 0x0
	s_bitcmp0_b32 s4, 0
	s_mov_b32 s4, -1
	s_cbranch_scc0 .LBB410_4
; %bb.3:
	s_mov_b64 s[2:3], src_shared_base
	v_dual_mov_b32 v31, v0 :: v_dual_mov_b32 v41, v0
	v_dual_mov_b32 v0, s20 :: v_dual_mov_b32 v1, s21
	;; [unrolled: 1-line block ×7, first 2 shown]
	v_mov_b32_e32 v13, s3
	s_mov_b64 s[6:7], s[0:1]
	s_mov_b64 s[8:9], s[16:17]
	s_mov_b64 s[22:23], s[0:1]
	s_swap_pc_i64 s[30:31], s[28:29]
	v_mov_b32_e32 v0, v41
	s_mov_b64 s[0:1], s[22:23]
	s_mov_b32 s4, 0
.LBB410_4:
	s_delay_alu instid0(SALU_CYCLE_1)
	s_and_not1_b32 vcc_lo, exec_lo, s4
	s_cbranch_vccnz .LBB410_6
; %bb.5:
	s_mov_b64 s[2:3], src_shared_base
	v_dual_mov_b32 v31, v0 :: v_dual_mov_b32 v0, s20
	v_dual_mov_b32 v1, s21 :: v_dual_mov_b32 v2, s24
	;; [unrolled: 1-line block ×7, first 2 shown]
	s_mov_b64 s[6:7], s[0:1]
	s_mov_b64 s[8:9], s[16:17]
	s_swap_pc_i64 s[30:31], s[28:29]
.LBB410_6:
	s_endpgm
	.section	.rodata,"a",@progbits
	.p2align	6, 0x0
	.amdhsa_kernel _ZN7rocprim17ROCPRIM_400000_NS6detail17trampoline_kernelINS0_14default_configENS1_36segmented_radix_sort_config_selectorIalEEZNS1_25segmented_radix_sort_implIS3_Lb0EPKaPaPKlPlN2at6native12_GLOBAL__N_18offset_tEEE10hipError_tPvRmT1_PNSt15iterator_traitsISK_E10value_typeET2_T3_PNSL_ISQ_E10value_typeET4_jRbjT5_SW_jjP12ihipStream_tbEUlT_E1_NS1_11comp_targetILNS1_3genE0ELNS1_11target_archE4294967295ELNS1_3gpuE0ELNS1_3repE0EEENS1_59segmented_radix_sort_warp_sort_small_config_static_selectorELNS0_4arch9wavefront6targetE0EEEvSK_
		.amdhsa_group_segment_fixed_size 9216
		.amdhsa_private_segment_fixed_size 0
		.amdhsa_kernarg_size 344
		.amdhsa_user_sgpr_count 4
		.amdhsa_user_sgpr_dispatch_ptr 0
		.amdhsa_user_sgpr_queue_ptr 1
		.amdhsa_user_sgpr_kernarg_segment_ptr 1
		.amdhsa_user_sgpr_dispatch_id 0
		.amdhsa_user_sgpr_kernarg_preload_length 0
		.amdhsa_user_sgpr_kernarg_preload_offset 0
		.amdhsa_user_sgpr_private_segment_size 0
		.amdhsa_wavefront_size32 1
		.amdhsa_uses_dynamic_stack 0
		.amdhsa_enable_private_segment 0
		.amdhsa_system_sgpr_workgroup_id_x 1
		.amdhsa_system_sgpr_workgroup_id_y 1
		.amdhsa_system_sgpr_workgroup_id_z 0
		.amdhsa_system_sgpr_workgroup_info 0
		.amdhsa_system_vgpr_workitem_id 2
		.amdhsa_next_free_vgpr 54
		.amdhsa_next_free_sgpr 40
		.amdhsa_named_barrier_count 0
		.amdhsa_reserve_vcc 1
		.amdhsa_float_round_mode_32 0
		.amdhsa_float_round_mode_16_64 0
		.amdhsa_float_denorm_mode_32 3
		.amdhsa_float_denorm_mode_16_64 3
		.amdhsa_fp16_overflow 0
		.amdhsa_memory_ordered 1
		.amdhsa_forward_progress 1
		.amdhsa_inst_pref_size 5
		.amdhsa_round_robin_scheduling 0
		.amdhsa_exception_fp_ieee_invalid_op 0
		.amdhsa_exception_fp_denorm_src 0
		.amdhsa_exception_fp_ieee_div_zero 0
		.amdhsa_exception_fp_ieee_overflow 0
		.amdhsa_exception_fp_ieee_underflow 0
		.amdhsa_exception_fp_ieee_inexact 0
		.amdhsa_exception_int_div_zero 0
	.end_amdhsa_kernel
	.section	.text._ZN7rocprim17ROCPRIM_400000_NS6detail17trampoline_kernelINS0_14default_configENS1_36segmented_radix_sort_config_selectorIalEEZNS1_25segmented_radix_sort_implIS3_Lb0EPKaPaPKlPlN2at6native12_GLOBAL__N_18offset_tEEE10hipError_tPvRmT1_PNSt15iterator_traitsISK_E10value_typeET2_T3_PNSL_ISQ_E10value_typeET4_jRbjT5_SW_jjP12ihipStream_tbEUlT_E1_NS1_11comp_targetILNS1_3genE0ELNS1_11target_archE4294967295ELNS1_3gpuE0ELNS1_3repE0EEENS1_59segmented_radix_sort_warp_sort_small_config_static_selectorELNS0_4arch9wavefront6targetE0EEEvSK_,"axG",@progbits,_ZN7rocprim17ROCPRIM_400000_NS6detail17trampoline_kernelINS0_14default_configENS1_36segmented_radix_sort_config_selectorIalEEZNS1_25segmented_radix_sort_implIS3_Lb0EPKaPaPKlPlN2at6native12_GLOBAL__N_18offset_tEEE10hipError_tPvRmT1_PNSt15iterator_traitsISK_E10value_typeET2_T3_PNSL_ISQ_E10value_typeET4_jRbjT5_SW_jjP12ihipStream_tbEUlT_E1_NS1_11comp_targetILNS1_3genE0ELNS1_11target_archE4294967295ELNS1_3gpuE0ELNS1_3repE0EEENS1_59segmented_radix_sort_warp_sort_small_config_static_selectorELNS0_4arch9wavefront6targetE0EEEvSK_,comdat
.Lfunc_end410:
	.size	_ZN7rocprim17ROCPRIM_400000_NS6detail17trampoline_kernelINS0_14default_configENS1_36segmented_radix_sort_config_selectorIalEEZNS1_25segmented_radix_sort_implIS3_Lb0EPKaPaPKlPlN2at6native12_GLOBAL__N_18offset_tEEE10hipError_tPvRmT1_PNSt15iterator_traitsISK_E10value_typeET2_T3_PNSL_ISQ_E10value_typeET4_jRbjT5_SW_jjP12ihipStream_tbEUlT_E1_NS1_11comp_targetILNS1_3genE0ELNS1_11target_archE4294967295ELNS1_3gpuE0ELNS1_3repE0EEENS1_59segmented_radix_sort_warp_sort_small_config_static_selectorELNS0_4arch9wavefront6targetE0EEEvSK_, .Lfunc_end410-_ZN7rocprim17ROCPRIM_400000_NS6detail17trampoline_kernelINS0_14default_configENS1_36segmented_radix_sort_config_selectorIalEEZNS1_25segmented_radix_sort_implIS3_Lb0EPKaPaPKlPlN2at6native12_GLOBAL__N_18offset_tEEE10hipError_tPvRmT1_PNSt15iterator_traitsISK_E10value_typeET2_T3_PNSL_ISQ_E10value_typeET4_jRbjT5_SW_jjP12ihipStream_tbEUlT_E1_NS1_11comp_targetILNS1_3genE0ELNS1_11target_archE4294967295ELNS1_3gpuE0ELNS1_3repE0EEENS1_59segmented_radix_sort_warp_sort_small_config_static_selectorELNS0_4arch9wavefront6targetE0EEEvSK_
                                        ; -- End function
	.set _ZN7rocprim17ROCPRIM_400000_NS6detail17trampoline_kernelINS0_14default_configENS1_36segmented_radix_sort_config_selectorIalEEZNS1_25segmented_radix_sort_implIS3_Lb0EPKaPaPKlPlN2at6native12_GLOBAL__N_18offset_tEEE10hipError_tPvRmT1_PNSt15iterator_traitsISK_E10value_typeET2_T3_PNSL_ISQ_E10value_typeET4_jRbjT5_SW_jjP12ihipStream_tbEUlT_E1_NS1_11comp_targetILNS1_3genE0ELNS1_11target_archE4294967295ELNS1_3gpuE0ELNS1_3repE0EEENS1_59segmented_radix_sort_warp_sort_small_config_static_selectorELNS0_4arch9wavefront6targetE0EEEvSK_.num_vgpr, max(42, .L_ZN7rocprim17ROCPRIM_400000_NS6detail26segmented_warp_sort_helperINS1_20WarpSortHelperConfigILj32ELj4ELj256EEEalLi256ELb0EvE4sortIPKaPaPKlPlEEvT_T0_T1_T2_jjjjRNS5_12storage_typeE.num_vgpr)
	.set _ZN7rocprim17ROCPRIM_400000_NS6detail17trampoline_kernelINS0_14default_configENS1_36segmented_radix_sort_config_selectorIalEEZNS1_25segmented_radix_sort_implIS3_Lb0EPKaPaPKlPlN2at6native12_GLOBAL__N_18offset_tEEE10hipError_tPvRmT1_PNSt15iterator_traitsISK_E10value_typeET2_T3_PNSL_ISQ_E10value_typeET4_jRbjT5_SW_jjP12ihipStream_tbEUlT_E1_NS1_11comp_targetILNS1_3genE0ELNS1_11target_archE4294967295ELNS1_3gpuE0ELNS1_3repE0EEENS1_59segmented_radix_sort_warp_sort_small_config_static_selectorELNS0_4arch9wavefront6targetE0EEEvSK_.num_agpr, max(0, .L_ZN7rocprim17ROCPRIM_400000_NS6detail26segmented_warp_sort_helperINS1_20WarpSortHelperConfigILj32ELj4ELj256EEEalLi256ELb0EvE4sortIPKaPaPKlPlEEvT_T0_T1_T2_jjjjRNS5_12storage_typeE.num_agpr)
	.set _ZN7rocprim17ROCPRIM_400000_NS6detail17trampoline_kernelINS0_14default_configENS1_36segmented_radix_sort_config_selectorIalEEZNS1_25segmented_radix_sort_implIS3_Lb0EPKaPaPKlPlN2at6native12_GLOBAL__N_18offset_tEEE10hipError_tPvRmT1_PNSt15iterator_traitsISK_E10value_typeET2_T3_PNSL_ISQ_E10value_typeET4_jRbjT5_SW_jjP12ihipStream_tbEUlT_E1_NS1_11comp_targetILNS1_3genE0ELNS1_11target_archE4294967295ELNS1_3gpuE0ELNS1_3repE0EEENS1_59segmented_radix_sort_warp_sort_small_config_static_selectorELNS0_4arch9wavefront6targetE0EEEvSK_.numbered_sgpr, max(40, .L_ZN7rocprim17ROCPRIM_400000_NS6detail26segmented_warp_sort_helperINS1_20WarpSortHelperConfigILj32ELj4ELj256EEEalLi256ELb0EvE4sortIPKaPaPKlPlEEvT_T0_T1_T2_jjjjRNS5_12storage_typeE.numbered_sgpr)
	.set _ZN7rocprim17ROCPRIM_400000_NS6detail17trampoline_kernelINS0_14default_configENS1_36segmented_radix_sort_config_selectorIalEEZNS1_25segmented_radix_sort_implIS3_Lb0EPKaPaPKlPlN2at6native12_GLOBAL__N_18offset_tEEE10hipError_tPvRmT1_PNSt15iterator_traitsISK_E10value_typeET2_T3_PNSL_ISQ_E10value_typeET4_jRbjT5_SW_jjP12ihipStream_tbEUlT_E1_NS1_11comp_targetILNS1_3genE0ELNS1_11target_archE4294967295ELNS1_3gpuE0ELNS1_3repE0EEENS1_59segmented_radix_sort_warp_sort_small_config_static_selectorELNS0_4arch9wavefront6targetE0EEEvSK_.num_named_barrier, max(0, .L_ZN7rocprim17ROCPRIM_400000_NS6detail26segmented_warp_sort_helperINS1_20WarpSortHelperConfigILj32ELj4ELj256EEEalLi256ELb0EvE4sortIPKaPaPKlPlEEvT_T0_T1_T2_jjjjRNS5_12storage_typeE.num_named_barrier)
	.set _ZN7rocprim17ROCPRIM_400000_NS6detail17trampoline_kernelINS0_14default_configENS1_36segmented_radix_sort_config_selectorIalEEZNS1_25segmented_radix_sort_implIS3_Lb0EPKaPaPKlPlN2at6native12_GLOBAL__N_18offset_tEEE10hipError_tPvRmT1_PNSt15iterator_traitsISK_E10value_typeET2_T3_PNSL_ISQ_E10value_typeET4_jRbjT5_SW_jjP12ihipStream_tbEUlT_E1_NS1_11comp_targetILNS1_3genE0ELNS1_11target_archE4294967295ELNS1_3gpuE0ELNS1_3repE0EEENS1_59segmented_radix_sort_warp_sort_small_config_static_selectorELNS0_4arch9wavefront6targetE0EEEvSK_.private_seg_size, 0+max(.L_ZN7rocprim17ROCPRIM_400000_NS6detail26segmented_warp_sort_helperINS1_20WarpSortHelperConfigILj32ELj4ELj256EEEalLi256ELb0EvE4sortIPKaPaPKlPlEEvT_T0_T1_T2_jjjjRNS5_12storage_typeE.private_seg_size)
	.set _ZN7rocprim17ROCPRIM_400000_NS6detail17trampoline_kernelINS0_14default_configENS1_36segmented_radix_sort_config_selectorIalEEZNS1_25segmented_radix_sort_implIS3_Lb0EPKaPaPKlPlN2at6native12_GLOBAL__N_18offset_tEEE10hipError_tPvRmT1_PNSt15iterator_traitsISK_E10value_typeET2_T3_PNSL_ISQ_E10value_typeET4_jRbjT5_SW_jjP12ihipStream_tbEUlT_E1_NS1_11comp_targetILNS1_3genE0ELNS1_11target_archE4294967295ELNS1_3gpuE0ELNS1_3repE0EEENS1_59segmented_radix_sort_warp_sort_small_config_static_selectorELNS0_4arch9wavefront6targetE0EEEvSK_.uses_vcc, or(1, .L_ZN7rocprim17ROCPRIM_400000_NS6detail26segmented_warp_sort_helperINS1_20WarpSortHelperConfigILj32ELj4ELj256EEEalLi256ELb0EvE4sortIPKaPaPKlPlEEvT_T0_T1_T2_jjjjRNS5_12storage_typeE.uses_vcc)
	.set _ZN7rocprim17ROCPRIM_400000_NS6detail17trampoline_kernelINS0_14default_configENS1_36segmented_radix_sort_config_selectorIalEEZNS1_25segmented_radix_sort_implIS3_Lb0EPKaPaPKlPlN2at6native12_GLOBAL__N_18offset_tEEE10hipError_tPvRmT1_PNSt15iterator_traitsISK_E10value_typeET2_T3_PNSL_ISQ_E10value_typeET4_jRbjT5_SW_jjP12ihipStream_tbEUlT_E1_NS1_11comp_targetILNS1_3genE0ELNS1_11target_archE4294967295ELNS1_3gpuE0ELNS1_3repE0EEENS1_59segmented_radix_sort_warp_sort_small_config_static_selectorELNS0_4arch9wavefront6targetE0EEEvSK_.uses_flat_scratch, or(0, .L_ZN7rocprim17ROCPRIM_400000_NS6detail26segmented_warp_sort_helperINS1_20WarpSortHelperConfigILj32ELj4ELj256EEEalLi256ELb0EvE4sortIPKaPaPKlPlEEvT_T0_T1_T2_jjjjRNS5_12storage_typeE.uses_flat_scratch)
	.set _ZN7rocprim17ROCPRIM_400000_NS6detail17trampoline_kernelINS0_14default_configENS1_36segmented_radix_sort_config_selectorIalEEZNS1_25segmented_radix_sort_implIS3_Lb0EPKaPaPKlPlN2at6native12_GLOBAL__N_18offset_tEEE10hipError_tPvRmT1_PNSt15iterator_traitsISK_E10value_typeET2_T3_PNSL_ISQ_E10value_typeET4_jRbjT5_SW_jjP12ihipStream_tbEUlT_E1_NS1_11comp_targetILNS1_3genE0ELNS1_11target_archE4294967295ELNS1_3gpuE0ELNS1_3repE0EEENS1_59segmented_radix_sort_warp_sort_small_config_static_selectorELNS0_4arch9wavefront6targetE0EEEvSK_.has_dyn_sized_stack, or(0, .L_ZN7rocprim17ROCPRIM_400000_NS6detail26segmented_warp_sort_helperINS1_20WarpSortHelperConfigILj32ELj4ELj256EEEalLi256ELb0EvE4sortIPKaPaPKlPlEEvT_T0_T1_T2_jjjjRNS5_12storage_typeE.has_dyn_sized_stack)
	.set _ZN7rocprim17ROCPRIM_400000_NS6detail17trampoline_kernelINS0_14default_configENS1_36segmented_radix_sort_config_selectorIalEEZNS1_25segmented_radix_sort_implIS3_Lb0EPKaPaPKlPlN2at6native12_GLOBAL__N_18offset_tEEE10hipError_tPvRmT1_PNSt15iterator_traitsISK_E10value_typeET2_T3_PNSL_ISQ_E10value_typeET4_jRbjT5_SW_jjP12ihipStream_tbEUlT_E1_NS1_11comp_targetILNS1_3genE0ELNS1_11target_archE4294967295ELNS1_3gpuE0ELNS1_3repE0EEENS1_59segmented_radix_sort_warp_sort_small_config_static_selectorELNS0_4arch9wavefront6targetE0EEEvSK_.has_recursion, or(0, .L_ZN7rocprim17ROCPRIM_400000_NS6detail26segmented_warp_sort_helperINS1_20WarpSortHelperConfigILj32ELj4ELj256EEEalLi256ELb0EvE4sortIPKaPaPKlPlEEvT_T0_T1_T2_jjjjRNS5_12storage_typeE.has_recursion)
	.set _ZN7rocprim17ROCPRIM_400000_NS6detail17trampoline_kernelINS0_14default_configENS1_36segmented_radix_sort_config_selectorIalEEZNS1_25segmented_radix_sort_implIS3_Lb0EPKaPaPKlPlN2at6native12_GLOBAL__N_18offset_tEEE10hipError_tPvRmT1_PNSt15iterator_traitsISK_E10value_typeET2_T3_PNSL_ISQ_E10value_typeET4_jRbjT5_SW_jjP12ihipStream_tbEUlT_E1_NS1_11comp_targetILNS1_3genE0ELNS1_11target_archE4294967295ELNS1_3gpuE0ELNS1_3repE0EEENS1_59segmented_radix_sort_warp_sort_small_config_static_selectorELNS0_4arch9wavefront6targetE0EEEvSK_.has_indirect_call, or(0, .L_ZN7rocprim17ROCPRIM_400000_NS6detail26segmented_warp_sort_helperINS1_20WarpSortHelperConfigILj32ELj4ELj256EEEalLi256ELb0EvE4sortIPKaPaPKlPlEEvT_T0_T1_T2_jjjjRNS5_12storage_typeE.has_indirect_call)
	.section	.AMDGPU.csdata,"",@progbits
; Kernel info:
; codeLenInByte = 520
; TotalNumSgprs: 42
; NumVgprs: 54
; ScratchSize: 0
; MemoryBound: 0
; FloatMode: 240
; IeeeMode: 1
; LDSByteSize: 9216 bytes/workgroup (compile time only)
; SGPRBlocks: 0
; VGPRBlocks: 3
; NumSGPRsForWavesPerEU: 42
; NumVGPRsForWavesPerEU: 54
; NamedBarCnt: 0
; Occupancy: 16
; WaveLimiterHint : 0
; COMPUTE_PGM_RSRC2:SCRATCH_EN: 0
; COMPUTE_PGM_RSRC2:USER_SGPR: 4
; COMPUTE_PGM_RSRC2:TRAP_HANDLER: 0
; COMPUTE_PGM_RSRC2:TGID_X_EN: 1
; COMPUTE_PGM_RSRC2:TGID_Y_EN: 1
; COMPUTE_PGM_RSRC2:TGID_Z_EN: 0
; COMPUTE_PGM_RSRC2:TIDIG_COMP_CNT: 2
	.section	.text._ZN7rocprim17ROCPRIM_400000_NS6detail17trampoline_kernelINS0_14default_configENS1_36segmented_radix_sort_config_selectorIalEEZNS1_25segmented_radix_sort_implIS3_Lb0EPKaPaPKlPlN2at6native12_GLOBAL__N_18offset_tEEE10hipError_tPvRmT1_PNSt15iterator_traitsISK_E10value_typeET2_T3_PNSL_ISQ_E10value_typeET4_jRbjT5_SW_jjP12ihipStream_tbEUlT_E1_NS1_11comp_targetILNS1_3genE5ELNS1_11target_archE942ELNS1_3gpuE9ELNS1_3repE0EEENS1_59segmented_radix_sort_warp_sort_small_config_static_selectorELNS0_4arch9wavefront6targetE0EEEvSK_,"axG",@progbits,_ZN7rocprim17ROCPRIM_400000_NS6detail17trampoline_kernelINS0_14default_configENS1_36segmented_radix_sort_config_selectorIalEEZNS1_25segmented_radix_sort_implIS3_Lb0EPKaPaPKlPlN2at6native12_GLOBAL__N_18offset_tEEE10hipError_tPvRmT1_PNSt15iterator_traitsISK_E10value_typeET2_T3_PNSL_ISQ_E10value_typeET4_jRbjT5_SW_jjP12ihipStream_tbEUlT_E1_NS1_11comp_targetILNS1_3genE5ELNS1_11target_archE942ELNS1_3gpuE9ELNS1_3repE0EEENS1_59segmented_radix_sort_warp_sort_small_config_static_selectorELNS0_4arch9wavefront6targetE0EEEvSK_,comdat
	.globl	_ZN7rocprim17ROCPRIM_400000_NS6detail17trampoline_kernelINS0_14default_configENS1_36segmented_radix_sort_config_selectorIalEEZNS1_25segmented_radix_sort_implIS3_Lb0EPKaPaPKlPlN2at6native12_GLOBAL__N_18offset_tEEE10hipError_tPvRmT1_PNSt15iterator_traitsISK_E10value_typeET2_T3_PNSL_ISQ_E10value_typeET4_jRbjT5_SW_jjP12ihipStream_tbEUlT_E1_NS1_11comp_targetILNS1_3genE5ELNS1_11target_archE942ELNS1_3gpuE9ELNS1_3repE0EEENS1_59segmented_radix_sort_warp_sort_small_config_static_selectorELNS0_4arch9wavefront6targetE0EEEvSK_ ; -- Begin function _ZN7rocprim17ROCPRIM_400000_NS6detail17trampoline_kernelINS0_14default_configENS1_36segmented_radix_sort_config_selectorIalEEZNS1_25segmented_radix_sort_implIS3_Lb0EPKaPaPKlPlN2at6native12_GLOBAL__N_18offset_tEEE10hipError_tPvRmT1_PNSt15iterator_traitsISK_E10value_typeET2_T3_PNSL_ISQ_E10value_typeET4_jRbjT5_SW_jjP12ihipStream_tbEUlT_E1_NS1_11comp_targetILNS1_3genE5ELNS1_11target_archE942ELNS1_3gpuE9ELNS1_3repE0EEENS1_59segmented_radix_sort_warp_sort_small_config_static_selectorELNS0_4arch9wavefront6targetE0EEEvSK_
	.p2align	8
	.type	_ZN7rocprim17ROCPRIM_400000_NS6detail17trampoline_kernelINS0_14default_configENS1_36segmented_radix_sort_config_selectorIalEEZNS1_25segmented_radix_sort_implIS3_Lb0EPKaPaPKlPlN2at6native12_GLOBAL__N_18offset_tEEE10hipError_tPvRmT1_PNSt15iterator_traitsISK_E10value_typeET2_T3_PNSL_ISQ_E10value_typeET4_jRbjT5_SW_jjP12ihipStream_tbEUlT_E1_NS1_11comp_targetILNS1_3genE5ELNS1_11target_archE942ELNS1_3gpuE9ELNS1_3repE0EEENS1_59segmented_radix_sort_warp_sort_small_config_static_selectorELNS0_4arch9wavefront6targetE0EEEvSK_,@function
_ZN7rocprim17ROCPRIM_400000_NS6detail17trampoline_kernelINS0_14default_configENS1_36segmented_radix_sort_config_selectorIalEEZNS1_25segmented_radix_sort_implIS3_Lb0EPKaPaPKlPlN2at6native12_GLOBAL__N_18offset_tEEE10hipError_tPvRmT1_PNSt15iterator_traitsISK_E10value_typeET2_T3_PNSL_ISQ_E10value_typeET4_jRbjT5_SW_jjP12ihipStream_tbEUlT_E1_NS1_11comp_targetILNS1_3genE5ELNS1_11target_archE942ELNS1_3gpuE9ELNS1_3repE0EEENS1_59segmented_radix_sort_warp_sort_small_config_static_selectorELNS0_4arch9wavefront6targetE0EEEvSK_: ; @_ZN7rocprim17ROCPRIM_400000_NS6detail17trampoline_kernelINS0_14default_configENS1_36segmented_radix_sort_config_selectorIalEEZNS1_25segmented_radix_sort_implIS3_Lb0EPKaPaPKlPlN2at6native12_GLOBAL__N_18offset_tEEE10hipError_tPvRmT1_PNSt15iterator_traitsISK_E10value_typeET2_T3_PNSL_ISQ_E10value_typeET4_jRbjT5_SW_jjP12ihipStream_tbEUlT_E1_NS1_11comp_targetILNS1_3genE5ELNS1_11target_archE942ELNS1_3gpuE9ELNS1_3repE0EEENS1_59segmented_radix_sort_warp_sort_small_config_static_selectorELNS0_4arch9wavefront6targetE0EEEvSK_
; %bb.0:
	.section	.rodata,"a",@progbits
	.p2align	6, 0x0
	.amdhsa_kernel _ZN7rocprim17ROCPRIM_400000_NS6detail17trampoline_kernelINS0_14default_configENS1_36segmented_radix_sort_config_selectorIalEEZNS1_25segmented_radix_sort_implIS3_Lb0EPKaPaPKlPlN2at6native12_GLOBAL__N_18offset_tEEE10hipError_tPvRmT1_PNSt15iterator_traitsISK_E10value_typeET2_T3_PNSL_ISQ_E10value_typeET4_jRbjT5_SW_jjP12ihipStream_tbEUlT_E1_NS1_11comp_targetILNS1_3genE5ELNS1_11target_archE942ELNS1_3gpuE9ELNS1_3repE0EEENS1_59segmented_radix_sort_warp_sort_small_config_static_selectorELNS0_4arch9wavefront6targetE0EEEvSK_
		.amdhsa_group_segment_fixed_size 0
		.amdhsa_private_segment_fixed_size 0
		.amdhsa_kernarg_size 88
		.amdhsa_user_sgpr_count 2
		.amdhsa_user_sgpr_dispatch_ptr 0
		.amdhsa_user_sgpr_queue_ptr 0
		.amdhsa_user_sgpr_kernarg_segment_ptr 1
		.amdhsa_user_sgpr_dispatch_id 0
		.amdhsa_user_sgpr_kernarg_preload_length 0
		.amdhsa_user_sgpr_kernarg_preload_offset 0
		.amdhsa_user_sgpr_private_segment_size 0
		.amdhsa_wavefront_size32 1
		.amdhsa_uses_dynamic_stack 0
		.amdhsa_enable_private_segment 0
		.amdhsa_system_sgpr_workgroup_id_x 1
		.amdhsa_system_sgpr_workgroup_id_y 0
		.amdhsa_system_sgpr_workgroup_id_z 0
		.amdhsa_system_sgpr_workgroup_info 0
		.amdhsa_system_vgpr_workitem_id 0
		.amdhsa_next_free_vgpr 1
		.amdhsa_next_free_sgpr 1
		.amdhsa_named_barrier_count 0
		.amdhsa_reserve_vcc 0
		.amdhsa_float_round_mode_32 0
		.amdhsa_float_round_mode_16_64 0
		.amdhsa_float_denorm_mode_32 3
		.amdhsa_float_denorm_mode_16_64 3
		.amdhsa_fp16_overflow 0
		.amdhsa_memory_ordered 1
		.amdhsa_forward_progress 1
		.amdhsa_inst_pref_size 0
		.amdhsa_round_robin_scheduling 0
		.amdhsa_exception_fp_ieee_invalid_op 0
		.amdhsa_exception_fp_denorm_src 0
		.amdhsa_exception_fp_ieee_div_zero 0
		.amdhsa_exception_fp_ieee_overflow 0
		.amdhsa_exception_fp_ieee_underflow 0
		.amdhsa_exception_fp_ieee_inexact 0
		.amdhsa_exception_int_div_zero 0
	.end_amdhsa_kernel
	.section	.text._ZN7rocprim17ROCPRIM_400000_NS6detail17trampoline_kernelINS0_14default_configENS1_36segmented_radix_sort_config_selectorIalEEZNS1_25segmented_radix_sort_implIS3_Lb0EPKaPaPKlPlN2at6native12_GLOBAL__N_18offset_tEEE10hipError_tPvRmT1_PNSt15iterator_traitsISK_E10value_typeET2_T3_PNSL_ISQ_E10value_typeET4_jRbjT5_SW_jjP12ihipStream_tbEUlT_E1_NS1_11comp_targetILNS1_3genE5ELNS1_11target_archE942ELNS1_3gpuE9ELNS1_3repE0EEENS1_59segmented_radix_sort_warp_sort_small_config_static_selectorELNS0_4arch9wavefront6targetE0EEEvSK_,"axG",@progbits,_ZN7rocprim17ROCPRIM_400000_NS6detail17trampoline_kernelINS0_14default_configENS1_36segmented_radix_sort_config_selectorIalEEZNS1_25segmented_radix_sort_implIS3_Lb0EPKaPaPKlPlN2at6native12_GLOBAL__N_18offset_tEEE10hipError_tPvRmT1_PNSt15iterator_traitsISK_E10value_typeET2_T3_PNSL_ISQ_E10value_typeET4_jRbjT5_SW_jjP12ihipStream_tbEUlT_E1_NS1_11comp_targetILNS1_3genE5ELNS1_11target_archE942ELNS1_3gpuE9ELNS1_3repE0EEENS1_59segmented_radix_sort_warp_sort_small_config_static_selectorELNS0_4arch9wavefront6targetE0EEEvSK_,comdat
.Lfunc_end411:
	.size	_ZN7rocprim17ROCPRIM_400000_NS6detail17trampoline_kernelINS0_14default_configENS1_36segmented_radix_sort_config_selectorIalEEZNS1_25segmented_radix_sort_implIS3_Lb0EPKaPaPKlPlN2at6native12_GLOBAL__N_18offset_tEEE10hipError_tPvRmT1_PNSt15iterator_traitsISK_E10value_typeET2_T3_PNSL_ISQ_E10value_typeET4_jRbjT5_SW_jjP12ihipStream_tbEUlT_E1_NS1_11comp_targetILNS1_3genE5ELNS1_11target_archE942ELNS1_3gpuE9ELNS1_3repE0EEENS1_59segmented_radix_sort_warp_sort_small_config_static_selectorELNS0_4arch9wavefront6targetE0EEEvSK_, .Lfunc_end411-_ZN7rocprim17ROCPRIM_400000_NS6detail17trampoline_kernelINS0_14default_configENS1_36segmented_radix_sort_config_selectorIalEEZNS1_25segmented_radix_sort_implIS3_Lb0EPKaPaPKlPlN2at6native12_GLOBAL__N_18offset_tEEE10hipError_tPvRmT1_PNSt15iterator_traitsISK_E10value_typeET2_T3_PNSL_ISQ_E10value_typeET4_jRbjT5_SW_jjP12ihipStream_tbEUlT_E1_NS1_11comp_targetILNS1_3genE5ELNS1_11target_archE942ELNS1_3gpuE9ELNS1_3repE0EEENS1_59segmented_radix_sort_warp_sort_small_config_static_selectorELNS0_4arch9wavefront6targetE0EEEvSK_
                                        ; -- End function
	.set _ZN7rocprim17ROCPRIM_400000_NS6detail17trampoline_kernelINS0_14default_configENS1_36segmented_radix_sort_config_selectorIalEEZNS1_25segmented_radix_sort_implIS3_Lb0EPKaPaPKlPlN2at6native12_GLOBAL__N_18offset_tEEE10hipError_tPvRmT1_PNSt15iterator_traitsISK_E10value_typeET2_T3_PNSL_ISQ_E10value_typeET4_jRbjT5_SW_jjP12ihipStream_tbEUlT_E1_NS1_11comp_targetILNS1_3genE5ELNS1_11target_archE942ELNS1_3gpuE9ELNS1_3repE0EEENS1_59segmented_radix_sort_warp_sort_small_config_static_selectorELNS0_4arch9wavefront6targetE0EEEvSK_.num_vgpr, 0
	.set _ZN7rocprim17ROCPRIM_400000_NS6detail17trampoline_kernelINS0_14default_configENS1_36segmented_radix_sort_config_selectorIalEEZNS1_25segmented_radix_sort_implIS3_Lb0EPKaPaPKlPlN2at6native12_GLOBAL__N_18offset_tEEE10hipError_tPvRmT1_PNSt15iterator_traitsISK_E10value_typeET2_T3_PNSL_ISQ_E10value_typeET4_jRbjT5_SW_jjP12ihipStream_tbEUlT_E1_NS1_11comp_targetILNS1_3genE5ELNS1_11target_archE942ELNS1_3gpuE9ELNS1_3repE0EEENS1_59segmented_radix_sort_warp_sort_small_config_static_selectorELNS0_4arch9wavefront6targetE0EEEvSK_.num_agpr, 0
	.set _ZN7rocprim17ROCPRIM_400000_NS6detail17trampoline_kernelINS0_14default_configENS1_36segmented_radix_sort_config_selectorIalEEZNS1_25segmented_radix_sort_implIS3_Lb0EPKaPaPKlPlN2at6native12_GLOBAL__N_18offset_tEEE10hipError_tPvRmT1_PNSt15iterator_traitsISK_E10value_typeET2_T3_PNSL_ISQ_E10value_typeET4_jRbjT5_SW_jjP12ihipStream_tbEUlT_E1_NS1_11comp_targetILNS1_3genE5ELNS1_11target_archE942ELNS1_3gpuE9ELNS1_3repE0EEENS1_59segmented_radix_sort_warp_sort_small_config_static_selectorELNS0_4arch9wavefront6targetE0EEEvSK_.numbered_sgpr, 0
	.set _ZN7rocprim17ROCPRIM_400000_NS6detail17trampoline_kernelINS0_14default_configENS1_36segmented_radix_sort_config_selectorIalEEZNS1_25segmented_radix_sort_implIS3_Lb0EPKaPaPKlPlN2at6native12_GLOBAL__N_18offset_tEEE10hipError_tPvRmT1_PNSt15iterator_traitsISK_E10value_typeET2_T3_PNSL_ISQ_E10value_typeET4_jRbjT5_SW_jjP12ihipStream_tbEUlT_E1_NS1_11comp_targetILNS1_3genE5ELNS1_11target_archE942ELNS1_3gpuE9ELNS1_3repE0EEENS1_59segmented_radix_sort_warp_sort_small_config_static_selectorELNS0_4arch9wavefront6targetE0EEEvSK_.num_named_barrier, 0
	.set _ZN7rocprim17ROCPRIM_400000_NS6detail17trampoline_kernelINS0_14default_configENS1_36segmented_radix_sort_config_selectorIalEEZNS1_25segmented_radix_sort_implIS3_Lb0EPKaPaPKlPlN2at6native12_GLOBAL__N_18offset_tEEE10hipError_tPvRmT1_PNSt15iterator_traitsISK_E10value_typeET2_T3_PNSL_ISQ_E10value_typeET4_jRbjT5_SW_jjP12ihipStream_tbEUlT_E1_NS1_11comp_targetILNS1_3genE5ELNS1_11target_archE942ELNS1_3gpuE9ELNS1_3repE0EEENS1_59segmented_radix_sort_warp_sort_small_config_static_selectorELNS0_4arch9wavefront6targetE0EEEvSK_.private_seg_size, 0
	.set _ZN7rocprim17ROCPRIM_400000_NS6detail17trampoline_kernelINS0_14default_configENS1_36segmented_radix_sort_config_selectorIalEEZNS1_25segmented_radix_sort_implIS3_Lb0EPKaPaPKlPlN2at6native12_GLOBAL__N_18offset_tEEE10hipError_tPvRmT1_PNSt15iterator_traitsISK_E10value_typeET2_T3_PNSL_ISQ_E10value_typeET4_jRbjT5_SW_jjP12ihipStream_tbEUlT_E1_NS1_11comp_targetILNS1_3genE5ELNS1_11target_archE942ELNS1_3gpuE9ELNS1_3repE0EEENS1_59segmented_radix_sort_warp_sort_small_config_static_selectorELNS0_4arch9wavefront6targetE0EEEvSK_.uses_vcc, 0
	.set _ZN7rocprim17ROCPRIM_400000_NS6detail17trampoline_kernelINS0_14default_configENS1_36segmented_radix_sort_config_selectorIalEEZNS1_25segmented_radix_sort_implIS3_Lb0EPKaPaPKlPlN2at6native12_GLOBAL__N_18offset_tEEE10hipError_tPvRmT1_PNSt15iterator_traitsISK_E10value_typeET2_T3_PNSL_ISQ_E10value_typeET4_jRbjT5_SW_jjP12ihipStream_tbEUlT_E1_NS1_11comp_targetILNS1_3genE5ELNS1_11target_archE942ELNS1_3gpuE9ELNS1_3repE0EEENS1_59segmented_radix_sort_warp_sort_small_config_static_selectorELNS0_4arch9wavefront6targetE0EEEvSK_.uses_flat_scratch, 0
	.set _ZN7rocprim17ROCPRIM_400000_NS6detail17trampoline_kernelINS0_14default_configENS1_36segmented_radix_sort_config_selectorIalEEZNS1_25segmented_radix_sort_implIS3_Lb0EPKaPaPKlPlN2at6native12_GLOBAL__N_18offset_tEEE10hipError_tPvRmT1_PNSt15iterator_traitsISK_E10value_typeET2_T3_PNSL_ISQ_E10value_typeET4_jRbjT5_SW_jjP12ihipStream_tbEUlT_E1_NS1_11comp_targetILNS1_3genE5ELNS1_11target_archE942ELNS1_3gpuE9ELNS1_3repE0EEENS1_59segmented_radix_sort_warp_sort_small_config_static_selectorELNS0_4arch9wavefront6targetE0EEEvSK_.has_dyn_sized_stack, 0
	.set _ZN7rocprim17ROCPRIM_400000_NS6detail17trampoline_kernelINS0_14default_configENS1_36segmented_radix_sort_config_selectorIalEEZNS1_25segmented_radix_sort_implIS3_Lb0EPKaPaPKlPlN2at6native12_GLOBAL__N_18offset_tEEE10hipError_tPvRmT1_PNSt15iterator_traitsISK_E10value_typeET2_T3_PNSL_ISQ_E10value_typeET4_jRbjT5_SW_jjP12ihipStream_tbEUlT_E1_NS1_11comp_targetILNS1_3genE5ELNS1_11target_archE942ELNS1_3gpuE9ELNS1_3repE0EEENS1_59segmented_radix_sort_warp_sort_small_config_static_selectorELNS0_4arch9wavefront6targetE0EEEvSK_.has_recursion, 0
	.set _ZN7rocprim17ROCPRIM_400000_NS6detail17trampoline_kernelINS0_14default_configENS1_36segmented_radix_sort_config_selectorIalEEZNS1_25segmented_radix_sort_implIS3_Lb0EPKaPaPKlPlN2at6native12_GLOBAL__N_18offset_tEEE10hipError_tPvRmT1_PNSt15iterator_traitsISK_E10value_typeET2_T3_PNSL_ISQ_E10value_typeET4_jRbjT5_SW_jjP12ihipStream_tbEUlT_E1_NS1_11comp_targetILNS1_3genE5ELNS1_11target_archE942ELNS1_3gpuE9ELNS1_3repE0EEENS1_59segmented_radix_sort_warp_sort_small_config_static_selectorELNS0_4arch9wavefront6targetE0EEEvSK_.has_indirect_call, 0
	.section	.AMDGPU.csdata,"",@progbits
; Kernel info:
; codeLenInByte = 0
; TotalNumSgprs: 0
; NumVgprs: 0
; ScratchSize: 0
; MemoryBound: 0
; FloatMode: 240
; IeeeMode: 1
; LDSByteSize: 0 bytes/workgroup (compile time only)
; SGPRBlocks: 0
; VGPRBlocks: 0
; NumSGPRsForWavesPerEU: 1
; NumVGPRsForWavesPerEU: 1
; NamedBarCnt: 0
; Occupancy: 16
; WaveLimiterHint : 0
; COMPUTE_PGM_RSRC2:SCRATCH_EN: 0
; COMPUTE_PGM_RSRC2:USER_SGPR: 2
; COMPUTE_PGM_RSRC2:TRAP_HANDLER: 0
; COMPUTE_PGM_RSRC2:TGID_X_EN: 1
; COMPUTE_PGM_RSRC2:TGID_Y_EN: 0
; COMPUTE_PGM_RSRC2:TGID_Z_EN: 0
; COMPUTE_PGM_RSRC2:TIDIG_COMP_CNT: 0
	.section	.text._ZN7rocprim17ROCPRIM_400000_NS6detail17trampoline_kernelINS0_14default_configENS1_36segmented_radix_sort_config_selectorIalEEZNS1_25segmented_radix_sort_implIS3_Lb0EPKaPaPKlPlN2at6native12_GLOBAL__N_18offset_tEEE10hipError_tPvRmT1_PNSt15iterator_traitsISK_E10value_typeET2_T3_PNSL_ISQ_E10value_typeET4_jRbjT5_SW_jjP12ihipStream_tbEUlT_E1_NS1_11comp_targetILNS1_3genE4ELNS1_11target_archE910ELNS1_3gpuE8ELNS1_3repE0EEENS1_59segmented_radix_sort_warp_sort_small_config_static_selectorELNS0_4arch9wavefront6targetE0EEEvSK_,"axG",@progbits,_ZN7rocprim17ROCPRIM_400000_NS6detail17trampoline_kernelINS0_14default_configENS1_36segmented_radix_sort_config_selectorIalEEZNS1_25segmented_radix_sort_implIS3_Lb0EPKaPaPKlPlN2at6native12_GLOBAL__N_18offset_tEEE10hipError_tPvRmT1_PNSt15iterator_traitsISK_E10value_typeET2_T3_PNSL_ISQ_E10value_typeET4_jRbjT5_SW_jjP12ihipStream_tbEUlT_E1_NS1_11comp_targetILNS1_3genE4ELNS1_11target_archE910ELNS1_3gpuE8ELNS1_3repE0EEENS1_59segmented_radix_sort_warp_sort_small_config_static_selectorELNS0_4arch9wavefront6targetE0EEEvSK_,comdat
	.globl	_ZN7rocprim17ROCPRIM_400000_NS6detail17trampoline_kernelINS0_14default_configENS1_36segmented_radix_sort_config_selectorIalEEZNS1_25segmented_radix_sort_implIS3_Lb0EPKaPaPKlPlN2at6native12_GLOBAL__N_18offset_tEEE10hipError_tPvRmT1_PNSt15iterator_traitsISK_E10value_typeET2_T3_PNSL_ISQ_E10value_typeET4_jRbjT5_SW_jjP12ihipStream_tbEUlT_E1_NS1_11comp_targetILNS1_3genE4ELNS1_11target_archE910ELNS1_3gpuE8ELNS1_3repE0EEENS1_59segmented_radix_sort_warp_sort_small_config_static_selectorELNS0_4arch9wavefront6targetE0EEEvSK_ ; -- Begin function _ZN7rocprim17ROCPRIM_400000_NS6detail17trampoline_kernelINS0_14default_configENS1_36segmented_radix_sort_config_selectorIalEEZNS1_25segmented_radix_sort_implIS3_Lb0EPKaPaPKlPlN2at6native12_GLOBAL__N_18offset_tEEE10hipError_tPvRmT1_PNSt15iterator_traitsISK_E10value_typeET2_T3_PNSL_ISQ_E10value_typeET4_jRbjT5_SW_jjP12ihipStream_tbEUlT_E1_NS1_11comp_targetILNS1_3genE4ELNS1_11target_archE910ELNS1_3gpuE8ELNS1_3repE0EEENS1_59segmented_radix_sort_warp_sort_small_config_static_selectorELNS0_4arch9wavefront6targetE0EEEvSK_
	.p2align	8
	.type	_ZN7rocprim17ROCPRIM_400000_NS6detail17trampoline_kernelINS0_14default_configENS1_36segmented_radix_sort_config_selectorIalEEZNS1_25segmented_radix_sort_implIS3_Lb0EPKaPaPKlPlN2at6native12_GLOBAL__N_18offset_tEEE10hipError_tPvRmT1_PNSt15iterator_traitsISK_E10value_typeET2_T3_PNSL_ISQ_E10value_typeET4_jRbjT5_SW_jjP12ihipStream_tbEUlT_E1_NS1_11comp_targetILNS1_3genE4ELNS1_11target_archE910ELNS1_3gpuE8ELNS1_3repE0EEENS1_59segmented_radix_sort_warp_sort_small_config_static_selectorELNS0_4arch9wavefront6targetE0EEEvSK_,@function
_ZN7rocprim17ROCPRIM_400000_NS6detail17trampoline_kernelINS0_14default_configENS1_36segmented_radix_sort_config_selectorIalEEZNS1_25segmented_radix_sort_implIS3_Lb0EPKaPaPKlPlN2at6native12_GLOBAL__N_18offset_tEEE10hipError_tPvRmT1_PNSt15iterator_traitsISK_E10value_typeET2_T3_PNSL_ISQ_E10value_typeET4_jRbjT5_SW_jjP12ihipStream_tbEUlT_E1_NS1_11comp_targetILNS1_3genE4ELNS1_11target_archE910ELNS1_3gpuE8ELNS1_3repE0EEENS1_59segmented_radix_sort_warp_sort_small_config_static_selectorELNS0_4arch9wavefront6targetE0EEEvSK_: ; @_ZN7rocprim17ROCPRIM_400000_NS6detail17trampoline_kernelINS0_14default_configENS1_36segmented_radix_sort_config_selectorIalEEZNS1_25segmented_radix_sort_implIS3_Lb0EPKaPaPKlPlN2at6native12_GLOBAL__N_18offset_tEEE10hipError_tPvRmT1_PNSt15iterator_traitsISK_E10value_typeET2_T3_PNSL_ISQ_E10value_typeET4_jRbjT5_SW_jjP12ihipStream_tbEUlT_E1_NS1_11comp_targetILNS1_3genE4ELNS1_11target_archE910ELNS1_3gpuE8ELNS1_3repE0EEENS1_59segmented_radix_sort_warp_sort_small_config_static_selectorELNS0_4arch9wavefront6targetE0EEEvSK_
; %bb.0:
	.section	.rodata,"a",@progbits
	.p2align	6, 0x0
	.amdhsa_kernel _ZN7rocprim17ROCPRIM_400000_NS6detail17trampoline_kernelINS0_14default_configENS1_36segmented_radix_sort_config_selectorIalEEZNS1_25segmented_radix_sort_implIS3_Lb0EPKaPaPKlPlN2at6native12_GLOBAL__N_18offset_tEEE10hipError_tPvRmT1_PNSt15iterator_traitsISK_E10value_typeET2_T3_PNSL_ISQ_E10value_typeET4_jRbjT5_SW_jjP12ihipStream_tbEUlT_E1_NS1_11comp_targetILNS1_3genE4ELNS1_11target_archE910ELNS1_3gpuE8ELNS1_3repE0EEENS1_59segmented_radix_sort_warp_sort_small_config_static_selectorELNS0_4arch9wavefront6targetE0EEEvSK_
		.amdhsa_group_segment_fixed_size 0
		.amdhsa_private_segment_fixed_size 0
		.amdhsa_kernarg_size 88
		.amdhsa_user_sgpr_count 2
		.amdhsa_user_sgpr_dispatch_ptr 0
		.amdhsa_user_sgpr_queue_ptr 0
		.amdhsa_user_sgpr_kernarg_segment_ptr 1
		.amdhsa_user_sgpr_dispatch_id 0
		.amdhsa_user_sgpr_kernarg_preload_length 0
		.amdhsa_user_sgpr_kernarg_preload_offset 0
		.amdhsa_user_sgpr_private_segment_size 0
		.amdhsa_wavefront_size32 1
		.amdhsa_uses_dynamic_stack 0
		.amdhsa_enable_private_segment 0
		.amdhsa_system_sgpr_workgroup_id_x 1
		.amdhsa_system_sgpr_workgroup_id_y 0
		.amdhsa_system_sgpr_workgroup_id_z 0
		.amdhsa_system_sgpr_workgroup_info 0
		.amdhsa_system_vgpr_workitem_id 0
		.amdhsa_next_free_vgpr 1
		.amdhsa_next_free_sgpr 1
		.amdhsa_named_barrier_count 0
		.amdhsa_reserve_vcc 0
		.amdhsa_float_round_mode_32 0
		.amdhsa_float_round_mode_16_64 0
		.amdhsa_float_denorm_mode_32 3
		.amdhsa_float_denorm_mode_16_64 3
		.amdhsa_fp16_overflow 0
		.amdhsa_memory_ordered 1
		.amdhsa_forward_progress 1
		.amdhsa_inst_pref_size 0
		.amdhsa_round_robin_scheduling 0
		.amdhsa_exception_fp_ieee_invalid_op 0
		.amdhsa_exception_fp_denorm_src 0
		.amdhsa_exception_fp_ieee_div_zero 0
		.amdhsa_exception_fp_ieee_overflow 0
		.amdhsa_exception_fp_ieee_underflow 0
		.amdhsa_exception_fp_ieee_inexact 0
		.amdhsa_exception_int_div_zero 0
	.end_amdhsa_kernel
	.section	.text._ZN7rocprim17ROCPRIM_400000_NS6detail17trampoline_kernelINS0_14default_configENS1_36segmented_radix_sort_config_selectorIalEEZNS1_25segmented_radix_sort_implIS3_Lb0EPKaPaPKlPlN2at6native12_GLOBAL__N_18offset_tEEE10hipError_tPvRmT1_PNSt15iterator_traitsISK_E10value_typeET2_T3_PNSL_ISQ_E10value_typeET4_jRbjT5_SW_jjP12ihipStream_tbEUlT_E1_NS1_11comp_targetILNS1_3genE4ELNS1_11target_archE910ELNS1_3gpuE8ELNS1_3repE0EEENS1_59segmented_radix_sort_warp_sort_small_config_static_selectorELNS0_4arch9wavefront6targetE0EEEvSK_,"axG",@progbits,_ZN7rocprim17ROCPRIM_400000_NS6detail17trampoline_kernelINS0_14default_configENS1_36segmented_radix_sort_config_selectorIalEEZNS1_25segmented_radix_sort_implIS3_Lb0EPKaPaPKlPlN2at6native12_GLOBAL__N_18offset_tEEE10hipError_tPvRmT1_PNSt15iterator_traitsISK_E10value_typeET2_T3_PNSL_ISQ_E10value_typeET4_jRbjT5_SW_jjP12ihipStream_tbEUlT_E1_NS1_11comp_targetILNS1_3genE4ELNS1_11target_archE910ELNS1_3gpuE8ELNS1_3repE0EEENS1_59segmented_radix_sort_warp_sort_small_config_static_selectorELNS0_4arch9wavefront6targetE0EEEvSK_,comdat
.Lfunc_end412:
	.size	_ZN7rocprim17ROCPRIM_400000_NS6detail17trampoline_kernelINS0_14default_configENS1_36segmented_radix_sort_config_selectorIalEEZNS1_25segmented_radix_sort_implIS3_Lb0EPKaPaPKlPlN2at6native12_GLOBAL__N_18offset_tEEE10hipError_tPvRmT1_PNSt15iterator_traitsISK_E10value_typeET2_T3_PNSL_ISQ_E10value_typeET4_jRbjT5_SW_jjP12ihipStream_tbEUlT_E1_NS1_11comp_targetILNS1_3genE4ELNS1_11target_archE910ELNS1_3gpuE8ELNS1_3repE0EEENS1_59segmented_radix_sort_warp_sort_small_config_static_selectorELNS0_4arch9wavefront6targetE0EEEvSK_, .Lfunc_end412-_ZN7rocprim17ROCPRIM_400000_NS6detail17trampoline_kernelINS0_14default_configENS1_36segmented_radix_sort_config_selectorIalEEZNS1_25segmented_radix_sort_implIS3_Lb0EPKaPaPKlPlN2at6native12_GLOBAL__N_18offset_tEEE10hipError_tPvRmT1_PNSt15iterator_traitsISK_E10value_typeET2_T3_PNSL_ISQ_E10value_typeET4_jRbjT5_SW_jjP12ihipStream_tbEUlT_E1_NS1_11comp_targetILNS1_3genE4ELNS1_11target_archE910ELNS1_3gpuE8ELNS1_3repE0EEENS1_59segmented_radix_sort_warp_sort_small_config_static_selectorELNS0_4arch9wavefront6targetE0EEEvSK_
                                        ; -- End function
	.set _ZN7rocprim17ROCPRIM_400000_NS6detail17trampoline_kernelINS0_14default_configENS1_36segmented_radix_sort_config_selectorIalEEZNS1_25segmented_radix_sort_implIS3_Lb0EPKaPaPKlPlN2at6native12_GLOBAL__N_18offset_tEEE10hipError_tPvRmT1_PNSt15iterator_traitsISK_E10value_typeET2_T3_PNSL_ISQ_E10value_typeET4_jRbjT5_SW_jjP12ihipStream_tbEUlT_E1_NS1_11comp_targetILNS1_3genE4ELNS1_11target_archE910ELNS1_3gpuE8ELNS1_3repE0EEENS1_59segmented_radix_sort_warp_sort_small_config_static_selectorELNS0_4arch9wavefront6targetE0EEEvSK_.num_vgpr, 0
	.set _ZN7rocprim17ROCPRIM_400000_NS6detail17trampoline_kernelINS0_14default_configENS1_36segmented_radix_sort_config_selectorIalEEZNS1_25segmented_radix_sort_implIS3_Lb0EPKaPaPKlPlN2at6native12_GLOBAL__N_18offset_tEEE10hipError_tPvRmT1_PNSt15iterator_traitsISK_E10value_typeET2_T3_PNSL_ISQ_E10value_typeET4_jRbjT5_SW_jjP12ihipStream_tbEUlT_E1_NS1_11comp_targetILNS1_3genE4ELNS1_11target_archE910ELNS1_3gpuE8ELNS1_3repE0EEENS1_59segmented_radix_sort_warp_sort_small_config_static_selectorELNS0_4arch9wavefront6targetE0EEEvSK_.num_agpr, 0
	.set _ZN7rocprim17ROCPRIM_400000_NS6detail17trampoline_kernelINS0_14default_configENS1_36segmented_radix_sort_config_selectorIalEEZNS1_25segmented_radix_sort_implIS3_Lb0EPKaPaPKlPlN2at6native12_GLOBAL__N_18offset_tEEE10hipError_tPvRmT1_PNSt15iterator_traitsISK_E10value_typeET2_T3_PNSL_ISQ_E10value_typeET4_jRbjT5_SW_jjP12ihipStream_tbEUlT_E1_NS1_11comp_targetILNS1_3genE4ELNS1_11target_archE910ELNS1_3gpuE8ELNS1_3repE0EEENS1_59segmented_radix_sort_warp_sort_small_config_static_selectorELNS0_4arch9wavefront6targetE0EEEvSK_.numbered_sgpr, 0
	.set _ZN7rocprim17ROCPRIM_400000_NS6detail17trampoline_kernelINS0_14default_configENS1_36segmented_radix_sort_config_selectorIalEEZNS1_25segmented_radix_sort_implIS3_Lb0EPKaPaPKlPlN2at6native12_GLOBAL__N_18offset_tEEE10hipError_tPvRmT1_PNSt15iterator_traitsISK_E10value_typeET2_T3_PNSL_ISQ_E10value_typeET4_jRbjT5_SW_jjP12ihipStream_tbEUlT_E1_NS1_11comp_targetILNS1_3genE4ELNS1_11target_archE910ELNS1_3gpuE8ELNS1_3repE0EEENS1_59segmented_radix_sort_warp_sort_small_config_static_selectorELNS0_4arch9wavefront6targetE0EEEvSK_.num_named_barrier, 0
	.set _ZN7rocprim17ROCPRIM_400000_NS6detail17trampoline_kernelINS0_14default_configENS1_36segmented_radix_sort_config_selectorIalEEZNS1_25segmented_radix_sort_implIS3_Lb0EPKaPaPKlPlN2at6native12_GLOBAL__N_18offset_tEEE10hipError_tPvRmT1_PNSt15iterator_traitsISK_E10value_typeET2_T3_PNSL_ISQ_E10value_typeET4_jRbjT5_SW_jjP12ihipStream_tbEUlT_E1_NS1_11comp_targetILNS1_3genE4ELNS1_11target_archE910ELNS1_3gpuE8ELNS1_3repE0EEENS1_59segmented_radix_sort_warp_sort_small_config_static_selectorELNS0_4arch9wavefront6targetE0EEEvSK_.private_seg_size, 0
	.set _ZN7rocprim17ROCPRIM_400000_NS6detail17trampoline_kernelINS0_14default_configENS1_36segmented_radix_sort_config_selectorIalEEZNS1_25segmented_radix_sort_implIS3_Lb0EPKaPaPKlPlN2at6native12_GLOBAL__N_18offset_tEEE10hipError_tPvRmT1_PNSt15iterator_traitsISK_E10value_typeET2_T3_PNSL_ISQ_E10value_typeET4_jRbjT5_SW_jjP12ihipStream_tbEUlT_E1_NS1_11comp_targetILNS1_3genE4ELNS1_11target_archE910ELNS1_3gpuE8ELNS1_3repE0EEENS1_59segmented_radix_sort_warp_sort_small_config_static_selectorELNS0_4arch9wavefront6targetE0EEEvSK_.uses_vcc, 0
	.set _ZN7rocprim17ROCPRIM_400000_NS6detail17trampoline_kernelINS0_14default_configENS1_36segmented_radix_sort_config_selectorIalEEZNS1_25segmented_radix_sort_implIS3_Lb0EPKaPaPKlPlN2at6native12_GLOBAL__N_18offset_tEEE10hipError_tPvRmT1_PNSt15iterator_traitsISK_E10value_typeET2_T3_PNSL_ISQ_E10value_typeET4_jRbjT5_SW_jjP12ihipStream_tbEUlT_E1_NS1_11comp_targetILNS1_3genE4ELNS1_11target_archE910ELNS1_3gpuE8ELNS1_3repE0EEENS1_59segmented_radix_sort_warp_sort_small_config_static_selectorELNS0_4arch9wavefront6targetE0EEEvSK_.uses_flat_scratch, 0
	.set _ZN7rocprim17ROCPRIM_400000_NS6detail17trampoline_kernelINS0_14default_configENS1_36segmented_radix_sort_config_selectorIalEEZNS1_25segmented_radix_sort_implIS3_Lb0EPKaPaPKlPlN2at6native12_GLOBAL__N_18offset_tEEE10hipError_tPvRmT1_PNSt15iterator_traitsISK_E10value_typeET2_T3_PNSL_ISQ_E10value_typeET4_jRbjT5_SW_jjP12ihipStream_tbEUlT_E1_NS1_11comp_targetILNS1_3genE4ELNS1_11target_archE910ELNS1_3gpuE8ELNS1_3repE0EEENS1_59segmented_radix_sort_warp_sort_small_config_static_selectorELNS0_4arch9wavefront6targetE0EEEvSK_.has_dyn_sized_stack, 0
	.set _ZN7rocprim17ROCPRIM_400000_NS6detail17trampoline_kernelINS0_14default_configENS1_36segmented_radix_sort_config_selectorIalEEZNS1_25segmented_radix_sort_implIS3_Lb0EPKaPaPKlPlN2at6native12_GLOBAL__N_18offset_tEEE10hipError_tPvRmT1_PNSt15iterator_traitsISK_E10value_typeET2_T3_PNSL_ISQ_E10value_typeET4_jRbjT5_SW_jjP12ihipStream_tbEUlT_E1_NS1_11comp_targetILNS1_3genE4ELNS1_11target_archE910ELNS1_3gpuE8ELNS1_3repE0EEENS1_59segmented_radix_sort_warp_sort_small_config_static_selectorELNS0_4arch9wavefront6targetE0EEEvSK_.has_recursion, 0
	.set _ZN7rocprim17ROCPRIM_400000_NS6detail17trampoline_kernelINS0_14default_configENS1_36segmented_radix_sort_config_selectorIalEEZNS1_25segmented_radix_sort_implIS3_Lb0EPKaPaPKlPlN2at6native12_GLOBAL__N_18offset_tEEE10hipError_tPvRmT1_PNSt15iterator_traitsISK_E10value_typeET2_T3_PNSL_ISQ_E10value_typeET4_jRbjT5_SW_jjP12ihipStream_tbEUlT_E1_NS1_11comp_targetILNS1_3genE4ELNS1_11target_archE910ELNS1_3gpuE8ELNS1_3repE0EEENS1_59segmented_radix_sort_warp_sort_small_config_static_selectorELNS0_4arch9wavefront6targetE0EEEvSK_.has_indirect_call, 0
	.section	.AMDGPU.csdata,"",@progbits
; Kernel info:
; codeLenInByte = 0
; TotalNumSgprs: 0
; NumVgprs: 0
; ScratchSize: 0
; MemoryBound: 0
; FloatMode: 240
; IeeeMode: 1
; LDSByteSize: 0 bytes/workgroup (compile time only)
; SGPRBlocks: 0
; VGPRBlocks: 0
; NumSGPRsForWavesPerEU: 1
; NumVGPRsForWavesPerEU: 1
; NamedBarCnt: 0
; Occupancy: 16
; WaveLimiterHint : 0
; COMPUTE_PGM_RSRC2:SCRATCH_EN: 0
; COMPUTE_PGM_RSRC2:USER_SGPR: 2
; COMPUTE_PGM_RSRC2:TRAP_HANDLER: 0
; COMPUTE_PGM_RSRC2:TGID_X_EN: 1
; COMPUTE_PGM_RSRC2:TGID_Y_EN: 0
; COMPUTE_PGM_RSRC2:TGID_Z_EN: 0
; COMPUTE_PGM_RSRC2:TIDIG_COMP_CNT: 0
	.section	.text._ZN7rocprim17ROCPRIM_400000_NS6detail17trampoline_kernelINS0_14default_configENS1_36segmented_radix_sort_config_selectorIalEEZNS1_25segmented_radix_sort_implIS3_Lb0EPKaPaPKlPlN2at6native12_GLOBAL__N_18offset_tEEE10hipError_tPvRmT1_PNSt15iterator_traitsISK_E10value_typeET2_T3_PNSL_ISQ_E10value_typeET4_jRbjT5_SW_jjP12ihipStream_tbEUlT_E1_NS1_11comp_targetILNS1_3genE3ELNS1_11target_archE908ELNS1_3gpuE7ELNS1_3repE0EEENS1_59segmented_radix_sort_warp_sort_small_config_static_selectorELNS0_4arch9wavefront6targetE0EEEvSK_,"axG",@progbits,_ZN7rocprim17ROCPRIM_400000_NS6detail17trampoline_kernelINS0_14default_configENS1_36segmented_radix_sort_config_selectorIalEEZNS1_25segmented_radix_sort_implIS3_Lb0EPKaPaPKlPlN2at6native12_GLOBAL__N_18offset_tEEE10hipError_tPvRmT1_PNSt15iterator_traitsISK_E10value_typeET2_T3_PNSL_ISQ_E10value_typeET4_jRbjT5_SW_jjP12ihipStream_tbEUlT_E1_NS1_11comp_targetILNS1_3genE3ELNS1_11target_archE908ELNS1_3gpuE7ELNS1_3repE0EEENS1_59segmented_radix_sort_warp_sort_small_config_static_selectorELNS0_4arch9wavefront6targetE0EEEvSK_,comdat
	.globl	_ZN7rocprim17ROCPRIM_400000_NS6detail17trampoline_kernelINS0_14default_configENS1_36segmented_radix_sort_config_selectorIalEEZNS1_25segmented_radix_sort_implIS3_Lb0EPKaPaPKlPlN2at6native12_GLOBAL__N_18offset_tEEE10hipError_tPvRmT1_PNSt15iterator_traitsISK_E10value_typeET2_T3_PNSL_ISQ_E10value_typeET4_jRbjT5_SW_jjP12ihipStream_tbEUlT_E1_NS1_11comp_targetILNS1_3genE3ELNS1_11target_archE908ELNS1_3gpuE7ELNS1_3repE0EEENS1_59segmented_radix_sort_warp_sort_small_config_static_selectorELNS0_4arch9wavefront6targetE0EEEvSK_ ; -- Begin function _ZN7rocprim17ROCPRIM_400000_NS6detail17trampoline_kernelINS0_14default_configENS1_36segmented_radix_sort_config_selectorIalEEZNS1_25segmented_radix_sort_implIS3_Lb0EPKaPaPKlPlN2at6native12_GLOBAL__N_18offset_tEEE10hipError_tPvRmT1_PNSt15iterator_traitsISK_E10value_typeET2_T3_PNSL_ISQ_E10value_typeET4_jRbjT5_SW_jjP12ihipStream_tbEUlT_E1_NS1_11comp_targetILNS1_3genE3ELNS1_11target_archE908ELNS1_3gpuE7ELNS1_3repE0EEENS1_59segmented_radix_sort_warp_sort_small_config_static_selectorELNS0_4arch9wavefront6targetE0EEEvSK_
	.p2align	8
	.type	_ZN7rocprim17ROCPRIM_400000_NS6detail17trampoline_kernelINS0_14default_configENS1_36segmented_radix_sort_config_selectorIalEEZNS1_25segmented_radix_sort_implIS3_Lb0EPKaPaPKlPlN2at6native12_GLOBAL__N_18offset_tEEE10hipError_tPvRmT1_PNSt15iterator_traitsISK_E10value_typeET2_T3_PNSL_ISQ_E10value_typeET4_jRbjT5_SW_jjP12ihipStream_tbEUlT_E1_NS1_11comp_targetILNS1_3genE3ELNS1_11target_archE908ELNS1_3gpuE7ELNS1_3repE0EEENS1_59segmented_radix_sort_warp_sort_small_config_static_selectorELNS0_4arch9wavefront6targetE0EEEvSK_,@function
_ZN7rocprim17ROCPRIM_400000_NS6detail17trampoline_kernelINS0_14default_configENS1_36segmented_radix_sort_config_selectorIalEEZNS1_25segmented_radix_sort_implIS3_Lb0EPKaPaPKlPlN2at6native12_GLOBAL__N_18offset_tEEE10hipError_tPvRmT1_PNSt15iterator_traitsISK_E10value_typeET2_T3_PNSL_ISQ_E10value_typeET4_jRbjT5_SW_jjP12ihipStream_tbEUlT_E1_NS1_11comp_targetILNS1_3genE3ELNS1_11target_archE908ELNS1_3gpuE7ELNS1_3repE0EEENS1_59segmented_radix_sort_warp_sort_small_config_static_selectorELNS0_4arch9wavefront6targetE0EEEvSK_: ; @_ZN7rocprim17ROCPRIM_400000_NS6detail17trampoline_kernelINS0_14default_configENS1_36segmented_radix_sort_config_selectorIalEEZNS1_25segmented_radix_sort_implIS3_Lb0EPKaPaPKlPlN2at6native12_GLOBAL__N_18offset_tEEE10hipError_tPvRmT1_PNSt15iterator_traitsISK_E10value_typeET2_T3_PNSL_ISQ_E10value_typeET4_jRbjT5_SW_jjP12ihipStream_tbEUlT_E1_NS1_11comp_targetILNS1_3genE3ELNS1_11target_archE908ELNS1_3gpuE7ELNS1_3repE0EEENS1_59segmented_radix_sort_warp_sort_small_config_static_selectorELNS0_4arch9wavefront6targetE0EEEvSK_
; %bb.0:
	.section	.rodata,"a",@progbits
	.p2align	6, 0x0
	.amdhsa_kernel _ZN7rocprim17ROCPRIM_400000_NS6detail17trampoline_kernelINS0_14default_configENS1_36segmented_radix_sort_config_selectorIalEEZNS1_25segmented_radix_sort_implIS3_Lb0EPKaPaPKlPlN2at6native12_GLOBAL__N_18offset_tEEE10hipError_tPvRmT1_PNSt15iterator_traitsISK_E10value_typeET2_T3_PNSL_ISQ_E10value_typeET4_jRbjT5_SW_jjP12ihipStream_tbEUlT_E1_NS1_11comp_targetILNS1_3genE3ELNS1_11target_archE908ELNS1_3gpuE7ELNS1_3repE0EEENS1_59segmented_radix_sort_warp_sort_small_config_static_selectorELNS0_4arch9wavefront6targetE0EEEvSK_
		.amdhsa_group_segment_fixed_size 0
		.amdhsa_private_segment_fixed_size 0
		.amdhsa_kernarg_size 88
		.amdhsa_user_sgpr_count 2
		.amdhsa_user_sgpr_dispatch_ptr 0
		.amdhsa_user_sgpr_queue_ptr 0
		.amdhsa_user_sgpr_kernarg_segment_ptr 1
		.amdhsa_user_sgpr_dispatch_id 0
		.amdhsa_user_sgpr_kernarg_preload_length 0
		.amdhsa_user_sgpr_kernarg_preload_offset 0
		.amdhsa_user_sgpr_private_segment_size 0
		.amdhsa_wavefront_size32 1
		.amdhsa_uses_dynamic_stack 0
		.amdhsa_enable_private_segment 0
		.amdhsa_system_sgpr_workgroup_id_x 1
		.amdhsa_system_sgpr_workgroup_id_y 0
		.amdhsa_system_sgpr_workgroup_id_z 0
		.amdhsa_system_sgpr_workgroup_info 0
		.amdhsa_system_vgpr_workitem_id 0
		.amdhsa_next_free_vgpr 1
		.amdhsa_next_free_sgpr 1
		.amdhsa_named_barrier_count 0
		.amdhsa_reserve_vcc 0
		.amdhsa_float_round_mode_32 0
		.amdhsa_float_round_mode_16_64 0
		.amdhsa_float_denorm_mode_32 3
		.amdhsa_float_denorm_mode_16_64 3
		.amdhsa_fp16_overflow 0
		.amdhsa_memory_ordered 1
		.amdhsa_forward_progress 1
		.amdhsa_inst_pref_size 0
		.amdhsa_round_robin_scheduling 0
		.amdhsa_exception_fp_ieee_invalid_op 0
		.amdhsa_exception_fp_denorm_src 0
		.amdhsa_exception_fp_ieee_div_zero 0
		.amdhsa_exception_fp_ieee_overflow 0
		.amdhsa_exception_fp_ieee_underflow 0
		.amdhsa_exception_fp_ieee_inexact 0
		.amdhsa_exception_int_div_zero 0
	.end_amdhsa_kernel
	.section	.text._ZN7rocprim17ROCPRIM_400000_NS6detail17trampoline_kernelINS0_14default_configENS1_36segmented_radix_sort_config_selectorIalEEZNS1_25segmented_radix_sort_implIS3_Lb0EPKaPaPKlPlN2at6native12_GLOBAL__N_18offset_tEEE10hipError_tPvRmT1_PNSt15iterator_traitsISK_E10value_typeET2_T3_PNSL_ISQ_E10value_typeET4_jRbjT5_SW_jjP12ihipStream_tbEUlT_E1_NS1_11comp_targetILNS1_3genE3ELNS1_11target_archE908ELNS1_3gpuE7ELNS1_3repE0EEENS1_59segmented_radix_sort_warp_sort_small_config_static_selectorELNS0_4arch9wavefront6targetE0EEEvSK_,"axG",@progbits,_ZN7rocprim17ROCPRIM_400000_NS6detail17trampoline_kernelINS0_14default_configENS1_36segmented_radix_sort_config_selectorIalEEZNS1_25segmented_radix_sort_implIS3_Lb0EPKaPaPKlPlN2at6native12_GLOBAL__N_18offset_tEEE10hipError_tPvRmT1_PNSt15iterator_traitsISK_E10value_typeET2_T3_PNSL_ISQ_E10value_typeET4_jRbjT5_SW_jjP12ihipStream_tbEUlT_E1_NS1_11comp_targetILNS1_3genE3ELNS1_11target_archE908ELNS1_3gpuE7ELNS1_3repE0EEENS1_59segmented_radix_sort_warp_sort_small_config_static_selectorELNS0_4arch9wavefront6targetE0EEEvSK_,comdat
.Lfunc_end413:
	.size	_ZN7rocprim17ROCPRIM_400000_NS6detail17trampoline_kernelINS0_14default_configENS1_36segmented_radix_sort_config_selectorIalEEZNS1_25segmented_radix_sort_implIS3_Lb0EPKaPaPKlPlN2at6native12_GLOBAL__N_18offset_tEEE10hipError_tPvRmT1_PNSt15iterator_traitsISK_E10value_typeET2_T3_PNSL_ISQ_E10value_typeET4_jRbjT5_SW_jjP12ihipStream_tbEUlT_E1_NS1_11comp_targetILNS1_3genE3ELNS1_11target_archE908ELNS1_3gpuE7ELNS1_3repE0EEENS1_59segmented_radix_sort_warp_sort_small_config_static_selectorELNS0_4arch9wavefront6targetE0EEEvSK_, .Lfunc_end413-_ZN7rocprim17ROCPRIM_400000_NS6detail17trampoline_kernelINS0_14default_configENS1_36segmented_radix_sort_config_selectorIalEEZNS1_25segmented_radix_sort_implIS3_Lb0EPKaPaPKlPlN2at6native12_GLOBAL__N_18offset_tEEE10hipError_tPvRmT1_PNSt15iterator_traitsISK_E10value_typeET2_T3_PNSL_ISQ_E10value_typeET4_jRbjT5_SW_jjP12ihipStream_tbEUlT_E1_NS1_11comp_targetILNS1_3genE3ELNS1_11target_archE908ELNS1_3gpuE7ELNS1_3repE0EEENS1_59segmented_radix_sort_warp_sort_small_config_static_selectorELNS0_4arch9wavefront6targetE0EEEvSK_
                                        ; -- End function
	.set _ZN7rocprim17ROCPRIM_400000_NS6detail17trampoline_kernelINS0_14default_configENS1_36segmented_radix_sort_config_selectorIalEEZNS1_25segmented_radix_sort_implIS3_Lb0EPKaPaPKlPlN2at6native12_GLOBAL__N_18offset_tEEE10hipError_tPvRmT1_PNSt15iterator_traitsISK_E10value_typeET2_T3_PNSL_ISQ_E10value_typeET4_jRbjT5_SW_jjP12ihipStream_tbEUlT_E1_NS1_11comp_targetILNS1_3genE3ELNS1_11target_archE908ELNS1_3gpuE7ELNS1_3repE0EEENS1_59segmented_radix_sort_warp_sort_small_config_static_selectorELNS0_4arch9wavefront6targetE0EEEvSK_.num_vgpr, 0
	.set _ZN7rocprim17ROCPRIM_400000_NS6detail17trampoline_kernelINS0_14default_configENS1_36segmented_radix_sort_config_selectorIalEEZNS1_25segmented_radix_sort_implIS3_Lb0EPKaPaPKlPlN2at6native12_GLOBAL__N_18offset_tEEE10hipError_tPvRmT1_PNSt15iterator_traitsISK_E10value_typeET2_T3_PNSL_ISQ_E10value_typeET4_jRbjT5_SW_jjP12ihipStream_tbEUlT_E1_NS1_11comp_targetILNS1_3genE3ELNS1_11target_archE908ELNS1_3gpuE7ELNS1_3repE0EEENS1_59segmented_radix_sort_warp_sort_small_config_static_selectorELNS0_4arch9wavefront6targetE0EEEvSK_.num_agpr, 0
	.set _ZN7rocprim17ROCPRIM_400000_NS6detail17trampoline_kernelINS0_14default_configENS1_36segmented_radix_sort_config_selectorIalEEZNS1_25segmented_radix_sort_implIS3_Lb0EPKaPaPKlPlN2at6native12_GLOBAL__N_18offset_tEEE10hipError_tPvRmT1_PNSt15iterator_traitsISK_E10value_typeET2_T3_PNSL_ISQ_E10value_typeET4_jRbjT5_SW_jjP12ihipStream_tbEUlT_E1_NS1_11comp_targetILNS1_3genE3ELNS1_11target_archE908ELNS1_3gpuE7ELNS1_3repE0EEENS1_59segmented_radix_sort_warp_sort_small_config_static_selectorELNS0_4arch9wavefront6targetE0EEEvSK_.numbered_sgpr, 0
	.set _ZN7rocprim17ROCPRIM_400000_NS6detail17trampoline_kernelINS0_14default_configENS1_36segmented_radix_sort_config_selectorIalEEZNS1_25segmented_radix_sort_implIS3_Lb0EPKaPaPKlPlN2at6native12_GLOBAL__N_18offset_tEEE10hipError_tPvRmT1_PNSt15iterator_traitsISK_E10value_typeET2_T3_PNSL_ISQ_E10value_typeET4_jRbjT5_SW_jjP12ihipStream_tbEUlT_E1_NS1_11comp_targetILNS1_3genE3ELNS1_11target_archE908ELNS1_3gpuE7ELNS1_3repE0EEENS1_59segmented_radix_sort_warp_sort_small_config_static_selectorELNS0_4arch9wavefront6targetE0EEEvSK_.num_named_barrier, 0
	.set _ZN7rocprim17ROCPRIM_400000_NS6detail17trampoline_kernelINS0_14default_configENS1_36segmented_radix_sort_config_selectorIalEEZNS1_25segmented_radix_sort_implIS3_Lb0EPKaPaPKlPlN2at6native12_GLOBAL__N_18offset_tEEE10hipError_tPvRmT1_PNSt15iterator_traitsISK_E10value_typeET2_T3_PNSL_ISQ_E10value_typeET4_jRbjT5_SW_jjP12ihipStream_tbEUlT_E1_NS1_11comp_targetILNS1_3genE3ELNS1_11target_archE908ELNS1_3gpuE7ELNS1_3repE0EEENS1_59segmented_radix_sort_warp_sort_small_config_static_selectorELNS0_4arch9wavefront6targetE0EEEvSK_.private_seg_size, 0
	.set _ZN7rocprim17ROCPRIM_400000_NS6detail17trampoline_kernelINS0_14default_configENS1_36segmented_radix_sort_config_selectorIalEEZNS1_25segmented_radix_sort_implIS3_Lb0EPKaPaPKlPlN2at6native12_GLOBAL__N_18offset_tEEE10hipError_tPvRmT1_PNSt15iterator_traitsISK_E10value_typeET2_T3_PNSL_ISQ_E10value_typeET4_jRbjT5_SW_jjP12ihipStream_tbEUlT_E1_NS1_11comp_targetILNS1_3genE3ELNS1_11target_archE908ELNS1_3gpuE7ELNS1_3repE0EEENS1_59segmented_radix_sort_warp_sort_small_config_static_selectorELNS0_4arch9wavefront6targetE0EEEvSK_.uses_vcc, 0
	.set _ZN7rocprim17ROCPRIM_400000_NS6detail17trampoline_kernelINS0_14default_configENS1_36segmented_radix_sort_config_selectorIalEEZNS1_25segmented_radix_sort_implIS3_Lb0EPKaPaPKlPlN2at6native12_GLOBAL__N_18offset_tEEE10hipError_tPvRmT1_PNSt15iterator_traitsISK_E10value_typeET2_T3_PNSL_ISQ_E10value_typeET4_jRbjT5_SW_jjP12ihipStream_tbEUlT_E1_NS1_11comp_targetILNS1_3genE3ELNS1_11target_archE908ELNS1_3gpuE7ELNS1_3repE0EEENS1_59segmented_radix_sort_warp_sort_small_config_static_selectorELNS0_4arch9wavefront6targetE0EEEvSK_.uses_flat_scratch, 0
	.set _ZN7rocprim17ROCPRIM_400000_NS6detail17trampoline_kernelINS0_14default_configENS1_36segmented_radix_sort_config_selectorIalEEZNS1_25segmented_radix_sort_implIS3_Lb0EPKaPaPKlPlN2at6native12_GLOBAL__N_18offset_tEEE10hipError_tPvRmT1_PNSt15iterator_traitsISK_E10value_typeET2_T3_PNSL_ISQ_E10value_typeET4_jRbjT5_SW_jjP12ihipStream_tbEUlT_E1_NS1_11comp_targetILNS1_3genE3ELNS1_11target_archE908ELNS1_3gpuE7ELNS1_3repE0EEENS1_59segmented_radix_sort_warp_sort_small_config_static_selectorELNS0_4arch9wavefront6targetE0EEEvSK_.has_dyn_sized_stack, 0
	.set _ZN7rocprim17ROCPRIM_400000_NS6detail17trampoline_kernelINS0_14default_configENS1_36segmented_radix_sort_config_selectorIalEEZNS1_25segmented_radix_sort_implIS3_Lb0EPKaPaPKlPlN2at6native12_GLOBAL__N_18offset_tEEE10hipError_tPvRmT1_PNSt15iterator_traitsISK_E10value_typeET2_T3_PNSL_ISQ_E10value_typeET4_jRbjT5_SW_jjP12ihipStream_tbEUlT_E1_NS1_11comp_targetILNS1_3genE3ELNS1_11target_archE908ELNS1_3gpuE7ELNS1_3repE0EEENS1_59segmented_radix_sort_warp_sort_small_config_static_selectorELNS0_4arch9wavefront6targetE0EEEvSK_.has_recursion, 0
	.set _ZN7rocprim17ROCPRIM_400000_NS6detail17trampoline_kernelINS0_14default_configENS1_36segmented_radix_sort_config_selectorIalEEZNS1_25segmented_radix_sort_implIS3_Lb0EPKaPaPKlPlN2at6native12_GLOBAL__N_18offset_tEEE10hipError_tPvRmT1_PNSt15iterator_traitsISK_E10value_typeET2_T3_PNSL_ISQ_E10value_typeET4_jRbjT5_SW_jjP12ihipStream_tbEUlT_E1_NS1_11comp_targetILNS1_3genE3ELNS1_11target_archE908ELNS1_3gpuE7ELNS1_3repE0EEENS1_59segmented_radix_sort_warp_sort_small_config_static_selectorELNS0_4arch9wavefront6targetE0EEEvSK_.has_indirect_call, 0
	.section	.AMDGPU.csdata,"",@progbits
; Kernel info:
; codeLenInByte = 0
; TotalNumSgprs: 0
; NumVgprs: 0
; ScratchSize: 0
; MemoryBound: 0
; FloatMode: 240
; IeeeMode: 1
; LDSByteSize: 0 bytes/workgroup (compile time only)
; SGPRBlocks: 0
; VGPRBlocks: 0
; NumSGPRsForWavesPerEU: 1
; NumVGPRsForWavesPerEU: 1
; NamedBarCnt: 0
; Occupancy: 16
; WaveLimiterHint : 0
; COMPUTE_PGM_RSRC2:SCRATCH_EN: 0
; COMPUTE_PGM_RSRC2:USER_SGPR: 2
; COMPUTE_PGM_RSRC2:TRAP_HANDLER: 0
; COMPUTE_PGM_RSRC2:TGID_X_EN: 1
; COMPUTE_PGM_RSRC2:TGID_Y_EN: 0
; COMPUTE_PGM_RSRC2:TGID_Z_EN: 0
; COMPUTE_PGM_RSRC2:TIDIG_COMP_CNT: 0
	.section	.text._ZN7rocprim17ROCPRIM_400000_NS6detail17trampoline_kernelINS0_14default_configENS1_36segmented_radix_sort_config_selectorIalEEZNS1_25segmented_radix_sort_implIS3_Lb0EPKaPaPKlPlN2at6native12_GLOBAL__N_18offset_tEEE10hipError_tPvRmT1_PNSt15iterator_traitsISK_E10value_typeET2_T3_PNSL_ISQ_E10value_typeET4_jRbjT5_SW_jjP12ihipStream_tbEUlT_E1_NS1_11comp_targetILNS1_3genE2ELNS1_11target_archE906ELNS1_3gpuE6ELNS1_3repE0EEENS1_59segmented_radix_sort_warp_sort_small_config_static_selectorELNS0_4arch9wavefront6targetE0EEEvSK_,"axG",@progbits,_ZN7rocprim17ROCPRIM_400000_NS6detail17trampoline_kernelINS0_14default_configENS1_36segmented_radix_sort_config_selectorIalEEZNS1_25segmented_radix_sort_implIS3_Lb0EPKaPaPKlPlN2at6native12_GLOBAL__N_18offset_tEEE10hipError_tPvRmT1_PNSt15iterator_traitsISK_E10value_typeET2_T3_PNSL_ISQ_E10value_typeET4_jRbjT5_SW_jjP12ihipStream_tbEUlT_E1_NS1_11comp_targetILNS1_3genE2ELNS1_11target_archE906ELNS1_3gpuE6ELNS1_3repE0EEENS1_59segmented_radix_sort_warp_sort_small_config_static_selectorELNS0_4arch9wavefront6targetE0EEEvSK_,comdat
	.globl	_ZN7rocprim17ROCPRIM_400000_NS6detail17trampoline_kernelINS0_14default_configENS1_36segmented_radix_sort_config_selectorIalEEZNS1_25segmented_radix_sort_implIS3_Lb0EPKaPaPKlPlN2at6native12_GLOBAL__N_18offset_tEEE10hipError_tPvRmT1_PNSt15iterator_traitsISK_E10value_typeET2_T3_PNSL_ISQ_E10value_typeET4_jRbjT5_SW_jjP12ihipStream_tbEUlT_E1_NS1_11comp_targetILNS1_3genE2ELNS1_11target_archE906ELNS1_3gpuE6ELNS1_3repE0EEENS1_59segmented_radix_sort_warp_sort_small_config_static_selectorELNS0_4arch9wavefront6targetE0EEEvSK_ ; -- Begin function _ZN7rocprim17ROCPRIM_400000_NS6detail17trampoline_kernelINS0_14default_configENS1_36segmented_radix_sort_config_selectorIalEEZNS1_25segmented_radix_sort_implIS3_Lb0EPKaPaPKlPlN2at6native12_GLOBAL__N_18offset_tEEE10hipError_tPvRmT1_PNSt15iterator_traitsISK_E10value_typeET2_T3_PNSL_ISQ_E10value_typeET4_jRbjT5_SW_jjP12ihipStream_tbEUlT_E1_NS1_11comp_targetILNS1_3genE2ELNS1_11target_archE906ELNS1_3gpuE6ELNS1_3repE0EEENS1_59segmented_radix_sort_warp_sort_small_config_static_selectorELNS0_4arch9wavefront6targetE0EEEvSK_
	.p2align	8
	.type	_ZN7rocprim17ROCPRIM_400000_NS6detail17trampoline_kernelINS0_14default_configENS1_36segmented_radix_sort_config_selectorIalEEZNS1_25segmented_radix_sort_implIS3_Lb0EPKaPaPKlPlN2at6native12_GLOBAL__N_18offset_tEEE10hipError_tPvRmT1_PNSt15iterator_traitsISK_E10value_typeET2_T3_PNSL_ISQ_E10value_typeET4_jRbjT5_SW_jjP12ihipStream_tbEUlT_E1_NS1_11comp_targetILNS1_3genE2ELNS1_11target_archE906ELNS1_3gpuE6ELNS1_3repE0EEENS1_59segmented_radix_sort_warp_sort_small_config_static_selectorELNS0_4arch9wavefront6targetE0EEEvSK_,@function
_ZN7rocprim17ROCPRIM_400000_NS6detail17trampoline_kernelINS0_14default_configENS1_36segmented_radix_sort_config_selectorIalEEZNS1_25segmented_radix_sort_implIS3_Lb0EPKaPaPKlPlN2at6native12_GLOBAL__N_18offset_tEEE10hipError_tPvRmT1_PNSt15iterator_traitsISK_E10value_typeET2_T3_PNSL_ISQ_E10value_typeET4_jRbjT5_SW_jjP12ihipStream_tbEUlT_E1_NS1_11comp_targetILNS1_3genE2ELNS1_11target_archE906ELNS1_3gpuE6ELNS1_3repE0EEENS1_59segmented_radix_sort_warp_sort_small_config_static_selectorELNS0_4arch9wavefront6targetE0EEEvSK_: ; @_ZN7rocprim17ROCPRIM_400000_NS6detail17trampoline_kernelINS0_14default_configENS1_36segmented_radix_sort_config_selectorIalEEZNS1_25segmented_radix_sort_implIS3_Lb0EPKaPaPKlPlN2at6native12_GLOBAL__N_18offset_tEEE10hipError_tPvRmT1_PNSt15iterator_traitsISK_E10value_typeET2_T3_PNSL_ISQ_E10value_typeET4_jRbjT5_SW_jjP12ihipStream_tbEUlT_E1_NS1_11comp_targetILNS1_3genE2ELNS1_11target_archE906ELNS1_3gpuE6ELNS1_3repE0EEENS1_59segmented_radix_sort_warp_sort_small_config_static_selectorELNS0_4arch9wavefront6targetE0EEEvSK_
; %bb.0:
	.section	.rodata,"a",@progbits
	.p2align	6, 0x0
	.amdhsa_kernel _ZN7rocprim17ROCPRIM_400000_NS6detail17trampoline_kernelINS0_14default_configENS1_36segmented_radix_sort_config_selectorIalEEZNS1_25segmented_radix_sort_implIS3_Lb0EPKaPaPKlPlN2at6native12_GLOBAL__N_18offset_tEEE10hipError_tPvRmT1_PNSt15iterator_traitsISK_E10value_typeET2_T3_PNSL_ISQ_E10value_typeET4_jRbjT5_SW_jjP12ihipStream_tbEUlT_E1_NS1_11comp_targetILNS1_3genE2ELNS1_11target_archE906ELNS1_3gpuE6ELNS1_3repE0EEENS1_59segmented_radix_sort_warp_sort_small_config_static_selectorELNS0_4arch9wavefront6targetE0EEEvSK_
		.amdhsa_group_segment_fixed_size 0
		.amdhsa_private_segment_fixed_size 0
		.amdhsa_kernarg_size 88
		.amdhsa_user_sgpr_count 2
		.amdhsa_user_sgpr_dispatch_ptr 0
		.amdhsa_user_sgpr_queue_ptr 0
		.amdhsa_user_sgpr_kernarg_segment_ptr 1
		.amdhsa_user_sgpr_dispatch_id 0
		.amdhsa_user_sgpr_kernarg_preload_length 0
		.amdhsa_user_sgpr_kernarg_preload_offset 0
		.amdhsa_user_sgpr_private_segment_size 0
		.amdhsa_wavefront_size32 1
		.amdhsa_uses_dynamic_stack 0
		.amdhsa_enable_private_segment 0
		.amdhsa_system_sgpr_workgroup_id_x 1
		.amdhsa_system_sgpr_workgroup_id_y 0
		.amdhsa_system_sgpr_workgroup_id_z 0
		.amdhsa_system_sgpr_workgroup_info 0
		.amdhsa_system_vgpr_workitem_id 0
		.amdhsa_next_free_vgpr 1
		.amdhsa_next_free_sgpr 1
		.amdhsa_named_barrier_count 0
		.amdhsa_reserve_vcc 0
		.amdhsa_float_round_mode_32 0
		.amdhsa_float_round_mode_16_64 0
		.amdhsa_float_denorm_mode_32 3
		.amdhsa_float_denorm_mode_16_64 3
		.amdhsa_fp16_overflow 0
		.amdhsa_memory_ordered 1
		.amdhsa_forward_progress 1
		.amdhsa_inst_pref_size 0
		.amdhsa_round_robin_scheduling 0
		.amdhsa_exception_fp_ieee_invalid_op 0
		.amdhsa_exception_fp_denorm_src 0
		.amdhsa_exception_fp_ieee_div_zero 0
		.amdhsa_exception_fp_ieee_overflow 0
		.amdhsa_exception_fp_ieee_underflow 0
		.amdhsa_exception_fp_ieee_inexact 0
		.amdhsa_exception_int_div_zero 0
	.end_amdhsa_kernel
	.section	.text._ZN7rocprim17ROCPRIM_400000_NS6detail17trampoline_kernelINS0_14default_configENS1_36segmented_radix_sort_config_selectorIalEEZNS1_25segmented_radix_sort_implIS3_Lb0EPKaPaPKlPlN2at6native12_GLOBAL__N_18offset_tEEE10hipError_tPvRmT1_PNSt15iterator_traitsISK_E10value_typeET2_T3_PNSL_ISQ_E10value_typeET4_jRbjT5_SW_jjP12ihipStream_tbEUlT_E1_NS1_11comp_targetILNS1_3genE2ELNS1_11target_archE906ELNS1_3gpuE6ELNS1_3repE0EEENS1_59segmented_radix_sort_warp_sort_small_config_static_selectorELNS0_4arch9wavefront6targetE0EEEvSK_,"axG",@progbits,_ZN7rocprim17ROCPRIM_400000_NS6detail17trampoline_kernelINS0_14default_configENS1_36segmented_radix_sort_config_selectorIalEEZNS1_25segmented_radix_sort_implIS3_Lb0EPKaPaPKlPlN2at6native12_GLOBAL__N_18offset_tEEE10hipError_tPvRmT1_PNSt15iterator_traitsISK_E10value_typeET2_T3_PNSL_ISQ_E10value_typeET4_jRbjT5_SW_jjP12ihipStream_tbEUlT_E1_NS1_11comp_targetILNS1_3genE2ELNS1_11target_archE906ELNS1_3gpuE6ELNS1_3repE0EEENS1_59segmented_radix_sort_warp_sort_small_config_static_selectorELNS0_4arch9wavefront6targetE0EEEvSK_,comdat
.Lfunc_end414:
	.size	_ZN7rocprim17ROCPRIM_400000_NS6detail17trampoline_kernelINS0_14default_configENS1_36segmented_radix_sort_config_selectorIalEEZNS1_25segmented_radix_sort_implIS3_Lb0EPKaPaPKlPlN2at6native12_GLOBAL__N_18offset_tEEE10hipError_tPvRmT1_PNSt15iterator_traitsISK_E10value_typeET2_T3_PNSL_ISQ_E10value_typeET4_jRbjT5_SW_jjP12ihipStream_tbEUlT_E1_NS1_11comp_targetILNS1_3genE2ELNS1_11target_archE906ELNS1_3gpuE6ELNS1_3repE0EEENS1_59segmented_radix_sort_warp_sort_small_config_static_selectorELNS0_4arch9wavefront6targetE0EEEvSK_, .Lfunc_end414-_ZN7rocprim17ROCPRIM_400000_NS6detail17trampoline_kernelINS0_14default_configENS1_36segmented_radix_sort_config_selectorIalEEZNS1_25segmented_radix_sort_implIS3_Lb0EPKaPaPKlPlN2at6native12_GLOBAL__N_18offset_tEEE10hipError_tPvRmT1_PNSt15iterator_traitsISK_E10value_typeET2_T3_PNSL_ISQ_E10value_typeET4_jRbjT5_SW_jjP12ihipStream_tbEUlT_E1_NS1_11comp_targetILNS1_3genE2ELNS1_11target_archE906ELNS1_3gpuE6ELNS1_3repE0EEENS1_59segmented_radix_sort_warp_sort_small_config_static_selectorELNS0_4arch9wavefront6targetE0EEEvSK_
                                        ; -- End function
	.set _ZN7rocprim17ROCPRIM_400000_NS6detail17trampoline_kernelINS0_14default_configENS1_36segmented_radix_sort_config_selectorIalEEZNS1_25segmented_radix_sort_implIS3_Lb0EPKaPaPKlPlN2at6native12_GLOBAL__N_18offset_tEEE10hipError_tPvRmT1_PNSt15iterator_traitsISK_E10value_typeET2_T3_PNSL_ISQ_E10value_typeET4_jRbjT5_SW_jjP12ihipStream_tbEUlT_E1_NS1_11comp_targetILNS1_3genE2ELNS1_11target_archE906ELNS1_3gpuE6ELNS1_3repE0EEENS1_59segmented_radix_sort_warp_sort_small_config_static_selectorELNS0_4arch9wavefront6targetE0EEEvSK_.num_vgpr, 0
	.set _ZN7rocprim17ROCPRIM_400000_NS6detail17trampoline_kernelINS0_14default_configENS1_36segmented_radix_sort_config_selectorIalEEZNS1_25segmented_radix_sort_implIS3_Lb0EPKaPaPKlPlN2at6native12_GLOBAL__N_18offset_tEEE10hipError_tPvRmT1_PNSt15iterator_traitsISK_E10value_typeET2_T3_PNSL_ISQ_E10value_typeET4_jRbjT5_SW_jjP12ihipStream_tbEUlT_E1_NS1_11comp_targetILNS1_3genE2ELNS1_11target_archE906ELNS1_3gpuE6ELNS1_3repE0EEENS1_59segmented_radix_sort_warp_sort_small_config_static_selectorELNS0_4arch9wavefront6targetE0EEEvSK_.num_agpr, 0
	.set _ZN7rocprim17ROCPRIM_400000_NS6detail17trampoline_kernelINS0_14default_configENS1_36segmented_radix_sort_config_selectorIalEEZNS1_25segmented_radix_sort_implIS3_Lb0EPKaPaPKlPlN2at6native12_GLOBAL__N_18offset_tEEE10hipError_tPvRmT1_PNSt15iterator_traitsISK_E10value_typeET2_T3_PNSL_ISQ_E10value_typeET4_jRbjT5_SW_jjP12ihipStream_tbEUlT_E1_NS1_11comp_targetILNS1_3genE2ELNS1_11target_archE906ELNS1_3gpuE6ELNS1_3repE0EEENS1_59segmented_radix_sort_warp_sort_small_config_static_selectorELNS0_4arch9wavefront6targetE0EEEvSK_.numbered_sgpr, 0
	.set _ZN7rocprim17ROCPRIM_400000_NS6detail17trampoline_kernelINS0_14default_configENS1_36segmented_radix_sort_config_selectorIalEEZNS1_25segmented_radix_sort_implIS3_Lb0EPKaPaPKlPlN2at6native12_GLOBAL__N_18offset_tEEE10hipError_tPvRmT1_PNSt15iterator_traitsISK_E10value_typeET2_T3_PNSL_ISQ_E10value_typeET4_jRbjT5_SW_jjP12ihipStream_tbEUlT_E1_NS1_11comp_targetILNS1_3genE2ELNS1_11target_archE906ELNS1_3gpuE6ELNS1_3repE0EEENS1_59segmented_radix_sort_warp_sort_small_config_static_selectorELNS0_4arch9wavefront6targetE0EEEvSK_.num_named_barrier, 0
	.set _ZN7rocprim17ROCPRIM_400000_NS6detail17trampoline_kernelINS0_14default_configENS1_36segmented_radix_sort_config_selectorIalEEZNS1_25segmented_radix_sort_implIS3_Lb0EPKaPaPKlPlN2at6native12_GLOBAL__N_18offset_tEEE10hipError_tPvRmT1_PNSt15iterator_traitsISK_E10value_typeET2_T3_PNSL_ISQ_E10value_typeET4_jRbjT5_SW_jjP12ihipStream_tbEUlT_E1_NS1_11comp_targetILNS1_3genE2ELNS1_11target_archE906ELNS1_3gpuE6ELNS1_3repE0EEENS1_59segmented_radix_sort_warp_sort_small_config_static_selectorELNS0_4arch9wavefront6targetE0EEEvSK_.private_seg_size, 0
	.set _ZN7rocprim17ROCPRIM_400000_NS6detail17trampoline_kernelINS0_14default_configENS1_36segmented_radix_sort_config_selectorIalEEZNS1_25segmented_radix_sort_implIS3_Lb0EPKaPaPKlPlN2at6native12_GLOBAL__N_18offset_tEEE10hipError_tPvRmT1_PNSt15iterator_traitsISK_E10value_typeET2_T3_PNSL_ISQ_E10value_typeET4_jRbjT5_SW_jjP12ihipStream_tbEUlT_E1_NS1_11comp_targetILNS1_3genE2ELNS1_11target_archE906ELNS1_3gpuE6ELNS1_3repE0EEENS1_59segmented_radix_sort_warp_sort_small_config_static_selectorELNS0_4arch9wavefront6targetE0EEEvSK_.uses_vcc, 0
	.set _ZN7rocprim17ROCPRIM_400000_NS6detail17trampoline_kernelINS0_14default_configENS1_36segmented_radix_sort_config_selectorIalEEZNS1_25segmented_radix_sort_implIS3_Lb0EPKaPaPKlPlN2at6native12_GLOBAL__N_18offset_tEEE10hipError_tPvRmT1_PNSt15iterator_traitsISK_E10value_typeET2_T3_PNSL_ISQ_E10value_typeET4_jRbjT5_SW_jjP12ihipStream_tbEUlT_E1_NS1_11comp_targetILNS1_3genE2ELNS1_11target_archE906ELNS1_3gpuE6ELNS1_3repE0EEENS1_59segmented_radix_sort_warp_sort_small_config_static_selectorELNS0_4arch9wavefront6targetE0EEEvSK_.uses_flat_scratch, 0
	.set _ZN7rocprim17ROCPRIM_400000_NS6detail17trampoline_kernelINS0_14default_configENS1_36segmented_radix_sort_config_selectorIalEEZNS1_25segmented_radix_sort_implIS3_Lb0EPKaPaPKlPlN2at6native12_GLOBAL__N_18offset_tEEE10hipError_tPvRmT1_PNSt15iterator_traitsISK_E10value_typeET2_T3_PNSL_ISQ_E10value_typeET4_jRbjT5_SW_jjP12ihipStream_tbEUlT_E1_NS1_11comp_targetILNS1_3genE2ELNS1_11target_archE906ELNS1_3gpuE6ELNS1_3repE0EEENS1_59segmented_radix_sort_warp_sort_small_config_static_selectorELNS0_4arch9wavefront6targetE0EEEvSK_.has_dyn_sized_stack, 0
	.set _ZN7rocprim17ROCPRIM_400000_NS6detail17trampoline_kernelINS0_14default_configENS1_36segmented_radix_sort_config_selectorIalEEZNS1_25segmented_radix_sort_implIS3_Lb0EPKaPaPKlPlN2at6native12_GLOBAL__N_18offset_tEEE10hipError_tPvRmT1_PNSt15iterator_traitsISK_E10value_typeET2_T3_PNSL_ISQ_E10value_typeET4_jRbjT5_SW_jjP12ihipStream_tbEUlT_E1_NS1_11comp_targetILNS1_3genE2ELNS1_11target_archE906ELNS1_3gpuE6ELNS1_3repE0EEENS1_59segmented_radix_sort_warp_sort_small_config_static_selectorELNS0_4arch9wavefront6targetE0EEEvSK_.has_recursion, 0
	.set _ZN7rocprim17ROCPRIM_400000_NS6detail17trampoline_kernelINS0_14default_configENS1_36segmented_radix_sort_config_selectorIalEEZNS1_25segmented_radix_sort_implIS3_Lb0EPKaPaPKlPlN2at6native12_GLOBAL__N_18offset_tEEE10hipError_tPvRmT1_PNSt15iterator_traitsISK_E10value_typeET2_T3_PNSL_ISQ_E10value_typeET4_jRbjT5_SW_jjP12ihipStream_tbEUlT_E1_NS1_11comp_targetILNS1_3genE2ELNS1_11target_archE906ELNS1_3gpuE6ELNS1_3repE0EEENS1_59segmented_radix_sort_warp_sort_small_config_static_selectorELNS0_4arch9wavefront6targetE0EEEvSK_.has_indirect_call, 0
	.section	.AMDGPU.csdata,"",@progbits
; Kernel info:
; codeLenInByte = 0
; TotalNumSgprs: 0
; NumVgprs: 0
; ScratchSize: 0
; MemoryBound: 0
; FloatMode: 240
; IeeeMode: 1
; LDSByteSize: 0 bytes/workgroup (compile time only)
; SGPRBlocks: 0
; VGPRBlocks: 0
; NumSGPRsForWavesPerEU: 1
; NumVGPRsForWavesPerEU: 1
; NamedBarCnt: 0
; Occupancy: 16
; WaveLimiterHint : 0
; COMPUTE_PGM_RSRC2:SCRATCH_EN: 0
; COMPUTE_PGM_RSRC2:USER_SGPR: 2
; COMPUTE_PGM_RSRC2:TRAP_HANDLER: 0
; COMPUTE_PGM_RSRC2:TGID_X_EN: 1
; COMPUTE_PGM_RSRC2:TGID_Y_EN: 0
; COMPUTE_PGM_RSRC2:TGID_Z_EN: 0
; COMPUTE_PGM_RSRC2:TIDIG_COMP_CNT: 0
	.section	.text._ZN7rocprim17ROCPRIM_400000_NS6detail17trampoline_kernelINS0_14default_configENS1_36segmented_radix_sort_config_selectorIalEEZNS1_25segmented_radix_sort_implIS3_Lb0EPKaPaPKlPlN2at6native12_GLOBAL__N_18offset_tEEE10hipError_tPvRmT1_PNSt15iterator_traitsISK_E10value_typeET2_T3_PNSL_ISQ_E10value_typeET4_jRbjT5_SW_jjP12ihipStream_tbEUlT_E1_NS1_11comp_targetILNS1_3genE10ELNS1_11target_archE1201ELNS1_3gpuE5ELNS1_3repE0EEENS1_59segmented_radix_sort_warp_sort_small_config_static_selectorELNS0_4arch9wavefront6targetE0EEEvSK_,"axG",@progbits,_ZN7rocprim17ROCPRIM_400000_NS6detail17trampoline_kernelINS0_14default_configENS1_36segmented_radix_sort_config_selectorIalEEZNS1_25segmented_radix_sort_implIS3_Lb0EPKaPaPKlPlN2at6native12_GLOBAL__N_18offset_tEEE10hipError_tPvRmT1_PNSt15iterator_traitsISK_E10value_typeET2_T3_PNSL_ISQ_E10value_typeET4_jRbjT5_SW_jjP12ihipStream_tbEUlT_E1_NS1_11comp_targetILNS1_3genE10ELNS1_11target_archE1201ELNS1_3gpuE5ELNS1_3repE0EEENS1_59segmented_radix_sort_warp_sort_small_config_static_selectorELNS0_4arch9wavefront6targetE0EEEvSK_,comdat
	.globl	_ZN7rocprim17ROCPRIM_400000_NS6detail17trampoline_kernelINS0_14default_configENS1_36segmented_radix_sort_config_selectorIalEEZNS1_25segmented_radix_sort_implIS3_Lb0EPKaPaPKlPlN2at6native12_GLOBAL__N_18offset_tEEE10hipError_tPvRmT1_PNSt15iterator_traitsISK_E10value_typeET2_T3_PNSL_ISQ_E10value_typeET4_jRbjT5_SW_jjP12ihipStream_tbEUlT_E1_NS1_11comp_targetILNS1_3genE10ELNS1_11target_archE1201ELNS1_3gpuE5ELNS1_3repE0EEENS1_59segmented_radix_sort_warp_sort_small_config_static_selectorELNS0_4arch9wavefront6targetE0EEEvSK_ ; -- Begin function _ZN7rocprim17ROCPRIM_400000_NS6detail17trampoline_kernelINS0_14default_configENS1_36segmented_radix_sort_config_selectorIalEEZNS1_25segmented_radix_sort_implIS3_Lb0EPKaPaPKlPlN2at6native12_GLOBAL__N_18offset_tEEE10hipError_tPvRmT1_PNSt15iterator_traitsISK_E10value_typeET2_T3_PNSL_ISQ_E10value_typeET4_jRbjT5_SW_jjP12ihipStream_tbEUlT_E1_NS1_11comp_targetILNS1_3genE10ELNS1_11target_archE1201ELNS1_3gpuE5ELNS1_3repE0EEENS1_59segmented_radix_sort_warp_sort_small_config_static_selectorELNS0_4arch9wavefront6targetE0EEEvSK_
	.p2align	8
	.type	_ZN7rocprim17ROCPRIM_400000_NS6detail17trampoline_kernelINS0_14default_configENS1_36segmented_radix_sort_config_selectorIalEEZNS1_25segmented_radix_sort_implIS3_Lb0EPKaPaPKlPlN2at6native12_GLOBAL__N_18offset_tEEE10hipError_tPvRmT1_PNSt15iterator_traitsISK_E10value_typeET2_T3_PNSL_ISQ_E10value_typeET4_jRbjT5_SW_jjP12ihipStream_tbEUlT_E1_NS1_11comp_targetILNS1_3genE10ELNS1_11target_archE1201ELNS1_3gpuE5ELNS1_3repE0EEENS1_59segmented_radix_sort_warp_sort_small_config_static_selectorELNS0_4arch9wavefront6targetE0EEEvSK_,@function
_ZN7rocprim17ROCPRIM_400000_NS6detail17trampoline_kernelINS0_14default_configENS1_36segmented_radix_sort_config_selectorIalEEZNS1_25segmented_radix_sort_implIS3_Lb0EPKaPaPKlPlN2at6native12_GLOBAL__N_18offset_tEEE10hipError_tPvRmT1_PNSt15iterator_traitsISK_E10value_typeET2_T3_PNSL_ISQ_E10value_typeET4_jRbjT5_SW_jjP12ihipStream_tbEUlT_E1_NS1_11comp_targetILNS1_3genE10ELNS1_11target_archE1201ELNS1_3gpuE5ELNS1_3repE0EEENS1_59segmented_radix_sort_warp_sort_small_config_static_selectorELNS0_4arch9wavefront6targetE0EEEvSK_: ; @_ZN7rocprim17ROCPRIM_400000_NS6detail17trampoline_kernelINS0_14default_configENS1_36segmented_radix_sort_config_selectorIalEEZNS1_25segmented_radix_sort_implIS3_Lb0EPKaPaPKlPlN2at6native12_GLOBAL__N_18offset_tEEE10hipError_tPvRmT1_PNSt15iterator_traitsISK_E10value_typeET2_T3_PNSL_ISQ_E10value_typeET4_jRbjT5_SW_jjP12ihipStream_tbEUlT_E1_NS1_11comp_targetILNS1_3genE10ELNS1_11target_archE1201ELNS1_3gpuE5ELNS1_3repE0EEENS1_59segmented_radix_sort_warp_sort_small_config_static_selectorELNS0_4arch9wavefront6targetE0EEEvSK_
; %bb.0:
	.section	.rodata,"a",@progbits
	.p2align	6, 0x0
	.amdhsa_kernel _ZN7rocprim17ROCPRIM_400000_NS6detail17trampoline_kernelINS0_14default_configENS1_36segmented_radix_sort_config_selectorIalEEZNS1_25segmented_radix_sort_implIS3_Lb0EPKaPaPKlPlN2at6native12_GLOBAL__N_18offset_tEEE10hipError_tPvRmT1_PNSt15iterator_traitsISK_E10value_typeET2_T3_PNSL_ISQ_E10value_typeET4_jRbjT5_SW_jjP12ihipStream_tbEUlT_E1_NS1_11comp_targetILNS1_3genE10ELNS1_11target_archE1201ELNS1_3gpuE5ELNS1_3repE0EEENS1_59segmented_radix_sort_warp_sort_small_config_static_selectorELNS0_4arch9wavefront6targetE0EEEvSK_
		.amdhsa_group_segment_fixed_size 0
		.amdhsa_private_segment_fixed_size 0
		.amdhsa_kernarg_size 88
		.amdhsa_user_sgpr_count 2
		.amdhsa_user_sgpr_dispatch_ptr 0
		.amdhsa_user_sgpr_queue_ptr 0
		.amdhsa_user_sgpr_kernarg_segment_ptr 1
		.amdhsa_user_sgpr_dispatch_id 0
		.amdhsa_user_sgpr_kernarg_preload_length 0
		.amdhsa_user_sgpr_kernarg_preload_offset 0
		.amdhsa_user_sgpr_private_segment_size 0
		.amdhsa_wavefront_size32 1
		.amdhsa_uses_dynamic_stack 0
		.amdhsa_enable_private_segment 0
		.amdhsa_system_sgpr_workgroup_id_x 1
		.amdhsa_system_sgpr_workgroup_id_y 0
		.amdhsa_system_sgpr_workgroup_id_z 0
		.amdhsa_system_sgpr_workgroup_info 0
		.amdhsa_system_vgpr_workitem_id 0
		.amdhsa_next_free_vgpr 1
		.amdhsa_next_free_sgpr 1
		.amdhsa_named_barrier_count 0
		.amdhsa_reserve_vcc 0
		.amdhsa_float_round_mode_32 0
		.amdhsa_float_round_mode_16_64 0
		.amdhsa_float_denorm_mode_32 3
		.amdhsa_float_denorm_mode_16_64 3
		.amdhsa_fp16_overflow 0
		.amdhsa_memory_ordered 1
		.amdhsa_forward_progress 1
		.amdhsa_inst_pref_size 0
		.amdhsa_round_robin_scheduling 0
		.amdhsa_exception_fp_ieee_invalid_op 0
		.amdhsa_exception_fp_denorm_src 0
		.amdhsa_exception_fp_ieee_div_zero 0
		.amdhsa_exception_fp_ieee_overflow 0
		.amdhsa_exception_fp_ieee_underflow 0
		.amdhsa_exception_fp_ieee_inexact 0
		.amdhsa_exception_int_div_zero 0
	.end_amdhsa_kernel
	.section	.text._ZN7rocprim17ROCPRIM_400000_NS6detail17trampoline_kernelINS0_14default_configENS1_36segmented_radix_sort_config_selectorIalEEZNS1_25segmented_radix_sort_implIS3_Lb0EPKaPaPKlPlN2at6native12_GLOBAL__N_18offset_tEEE10hipError_tPvRmT1_PNSt15iterator_traitsISK_E10value_typeET2_T3_PNSL_ISQ_E10value_typeET4_jRbjT5_SW_jjP12ihipStream_tbEUlT_E1_NS1_11comp_targetILNS1_3genE10ELNS1_11target_archE1201ELNS1_3gpuE5ELNS1_3repE0EEENS1_59segmented_radix_sort_warp_sort_small_config_static_selectorELNS0_4arch9wavefront6targetE0EEEvSK_,"axG",@progbits,_ZN7rocprim17ROCPRIM_400000_NS6detail17trampoline_kernelINS0_14default_configENS1_36segmented_radix_sort_config_selectorIalEEZNS1_25segmented_radix_sort_implIS3_Lb0EPKaPaPKlPlN2at6native12_GLOBAL__N_18offset_tEEE10hipError_tPvRmT1_PNSt15iterator_traitsISK_E10value_typeET2_T3_PNSL_ISQ_E10value_typeET4_jRbjT5_SW_jjP12ihipStream_tbEUlT_E1_NS1_11comp_targetILNS1_3genE10ELNS1_11target_archE1201ELNS1_3gpuE5ELNS1_3repE0EEENS1_59segmented_radix_sort_warp_sort_small_config_static_selectorELNS0_4arch9wavefront6targetE0EEEvSK_,comdat
.Lfunc_end415:
	.size	_ZN7rocprim17ROCPRIM_400000_NS6detail17trampoline_kernelINS0_14default_configENS1_36segmented_radix_sort_config_selectorIalEEZNS1_25segmented_radix_sort_implIS3_Lb0EPKaPaPKlPlN2at6native12_GLOBAL__N_18offset_tEEE10hipError_tPvRmT1_PNSt15iterator_traitsISK_E10value_typeET2_T3_PNSL_ISQ_E10value_typeET4_jRbjT5_SW_jjP12ihipStream_tbEUlT_E1_NS1_11comp_targetILNS1_3genE10ELNS1_11target_archE1201ELNS1_3gpuE5ELNS1_3repE0EEENS1_59segmented_radix_sort_warp_sort_small_config_static_selectorELNS0_4arch9wavefront6targetE0EEEvSK_, .Lfunc_end415-_ZN7rocprim17ROCPRIM_400000_NS6detail17trampoline_kernelINS0_14default_configENS1_36segmented_radix_sort_config_selectorIalEEZNS1_25segmented_radix_sort_implIS3_Lb0EPKaPaPKlPlN2at6native12_GLOBAL__N_18offset_tEEE10hipError_tPvRmT1_PNSt15iterator_traitsISK_E10value_typeET2_T3_PNSL_ISQ_E10value_typeET4_jRbjT5_SW_jjP12ihipStream_tbEUlT_E1_NS1_11comp_targetILNS1_3genE10ELNS1_11target_archE1201ELNS1_3gpuE5ELNS1_3repE0EEENS1_59segmented_radix_sort_warp_sort_small_config_static_selectorELNS0_4arch9wavefront6targetE0EEEvSK_
                                        ; -- End function
	.set _ZN7rocprim17ROCPRIM_400000_NS6detail17trampoline_kernelINS0_14default_configENS1_36segmented_radix_sort_config_selectorIalEEZNS1_25segmented_radix_sort_implIS3_Lb0EPKaPaPKlPlN2at6native12_GLOBAL__N_18offset_tEEE10hipError_tPvRmT1_PNSt15iterator_traitsISK_E10value_typeET2_T3_PNSL_ISQ_E10value_typeET4_jRbjT5_SW_jjP12ihipStream_tbEUlT_E1_NS1_11comp_targetILNS1_3genE10ELNS1_11target_archE1201ELNS1_3gpuE5ELNS1_3repE0EEENS1_59segmented_radix_sort_warp_sort_small_config_static_selectorELNS0_4arch9wavefront6targetE0EEEvSK_.num_vgpr, 0
	.set _ZN7rocprim17ROCPRIM_400000_NS6detail17trampoline_kernelINS0_14default_configENS1_36segmented_radix_sort_config_selectorIalEEZNS1_25segmented_radix_sort_implIS3_Lb0EPKaPaPKlPlN2at6native12_GLOBAL__N_18offset_tEEE10hipError_tPvRmT1_PNSt15iterator_traitsISK_E10value_typeET2_T3_PNSL_ISQ_E10value_typeET4_jRbjT5_SW_jjP12ihipStream_tbEUlT_E1_NS1_11comp_targetILNS1_3genE10ELNS1_11target_archE1201ELNS1_3gpuE5ELNS1_3repE0EEENS1_59segmented_radix_sort_warp_sort_small_config_static_selectorELNS0_4arch9wavefront6targetE0EEEvSK_.num_agpr, 0
	.set _ZN7rocprim17ROCPRIM_400000_NS6detail17trampoline_kernelINS0_14default_configENS1_36segmented_radix_sort_config_selectorIalEEZNS1_25segmented_radix_sort_implIS3_Lb0EPKaPaPKlPlN2at6native12_GLOBAL__N_18offset_tEEE10hipError_tPvRmT1_PNSt15iterator_traitsISK_E10value_typeET2_T3_PNSL_ISQ_E10value_typeET4_jRbjT5_SW_jjP12ihipStream_tbEUlT_E1_NS1_11comp_targetILNS1_3genE10ELNS1_11target_archE1201ELNS1_3gpuE5ELNS1_3repE0EEENS1_59segmented_radix_sort_warp_sort_small_config_static_selectorELNS0_4arch9wavefront6targetE0EEEvSK_.numbered_sgpr, 0
	.set _ZN7rocprim17ROCPRIM_400000_NS6detail17trampoline_kernelINS0_14default_configENS1_36segmented_radix_sort_config_selectorIalEEZNS1_25segmented_radix_sort_implIS3_Lb0EPKaPaPKlPlN2at6native12_GLOBAL__N_18offset_tEEE10hipError_tPvRmT1_PNSt15iterator_traitsISK_E10value_typeET2_T3_PNSL_ISQ_E10value_typeET4_jRbjT5_SW_jjP12ihipStream_tbEUlT_E1_NS1_11comp_targetILNS1_3genE10ELNS1_11target_archE1201ELNS1_3gpuE5ELNS1_3repE0EEENS1_59segmented_radix_sort_warp_sort_small_config_static_selectorELNS0_4arch9wavefront6targetE0EEEvSK_.num_named_barrier, 0
	.set _ZN7rocprim17ROCPRIM_400000_NS6detail17trampoline_kernelINS0_14default_configENS1_36segmented_radix_sort_config_selectorIalEEZNS1_25segmented_radix_sort_implIS3_Lb0EPKaPaPKlPlN2at6native12_GLOBAL__N_18offset_tEEE10hipError_tPvRmT1_PNSt15iterator_traitsISK_E10value_typeET2_T3_PNSL_ISQ_E10value_typeET4_jRbjT5_SW_jjP12ihipStream_tbEUlT_E1_NS1_11comp_targetILNS1_3genE10ELNS1_11target_archE1201ELNS1_3gpuE5ELNS1_3repE0EEENS1_59segmented_radix_sort_warp_sort_small_config_static_selectorELNS0_4arch9wavefront6targetE0EEEvSK_.private_seg_size, 0
	.set _ZN7rocprim17ROCPRIM_400000_NS6detail17trampoline_kernelINS0_14default_configENS1_36segmented_radix_sort_config_selectorIalEEZNS1_25segmented_radix_sort_implIS3_Lb0EPKaPaPKlPlN2at6native12_GLOBAL__N_18offset_tEEE10hipError_tPvRmT1_PNSt15iterator_traitsISK_E10value_typeET2_T3_PNSL_ISQ_E10value_typeET4_jRbjT5_SW_jjP12ihipStream_tbEUlT_E1_NS1_11comp_targetILNS1_3genE10ELNS1_11target_archE1201ELNS1_3gpuE5ELNS1_3repE0EEENS1_59segmented_radix_sort_warp_sort_small_config_static_selectorELNS0_4arch9wavefront6targetE0EEEvSK_.uses_vcc, 0
	.set _ZN7rocprim17ROCPRIM_400000_NS6detail17trampoline_kernelINS0_14default_configENS1_36segmented_radix_sort_config_selectorIalEEZNS1_25segmented_radix_sort_implIS3_Lb0EPKaPaPKlPlN2at6native12_GLOBAL__N_18offset_tEEE10hipError_tPvRmT1_PNSt15iterator_traitsISK_E10value_typeET2_T3_PNSL_ISQ_E10value_typeET4_jRbjT5_SW_jjP12ihipStream_tbEUlT_E1_NS1_11comp_targetILNS1_3genE10ELNS1_11target_archE1201ELNS1_3gpuE5ELNS1_3repE0EEENS1_59segmented_radix_sort_warp_sort_small_config_static_selectorELNS0_4arch9wavefront6targetE0EEEvSK_.uses_flat_scratch, 0
	.set _ZN7rocprim17ROCPRIM_400000_NS6detail17trampoline_kernelINS0_14default_configENS1_36segmented_radix_sort_config_selectorIalEEZNS1_25segmented_radix_sort_implIS3_Lb0EPKaPaPKlPlN2at6native12_GLOBAL__N_18offset_tEEE10hipError_tPvRmT1_PNSt15iterator_traitsISK_E10value_typeET2_T3_PNSL_ISQ_E10value_typeET4_jRbjT5_SW_jjP12ihipStream_tbEUlT_E1_NS1_11comp_targetILNS1_3genE10ELNS1_11target_archE1201ELNS1_3gpuE5ELNS1_3repE0EEENS1_59segmented_radix_sort_warp_sort_small_config_static_selectorELNS0_4arch9wavefront6targetE0EEEvSK_.has_dyn_sized_stack, 0
	.set _ZN7rocprim17ROCPRIM_400000_NS6detail17trampoline_kernelINS0_14default_configENS1_36segmented_radix_sort_config_selectorIalEEZNS1_25segmented_radix_sort_implIS3_Lb0EPKaPaPKlPlN2at6native12_GLOBAL__N_18offset_tEEE10hipError_tPvRmT1_PNSt15iterator_traitsISK_E10value_typeET2_T3_PNSL_ISQ_E10value_typeET4_jRbjT5_SW_jjP12ihipStream_tbEUlT_E1_NS1_11comp_targetILNS1_3genE10ELNS1_11target_archE1201ELNS1_3gpuE5ELNS1_3repE0EEENS1_59segmented_radix_sort_warp_sort_small_config_static_selectorELNS0_4arch9wavefront6targetE0EEEvSK_.has_recursion, 0
	.set _ZN7rocprim17ROCPRIM_400000_NS6detail17trampoline_kernelINS0_14default_configENS1_36segmented_radix_sort_config_selectorIalEEZNS1_25segmented_radix_sort_implIS3_Lb0EPKaPaPKlPlN2at6native12_GLOBAL__N_18offset_tEEE10hipError_tPvRmT1_PNSt15iterator_traitsISK_E10value_typeET2_T3_PNSL_ISQ_E10value_typeET4_jRbjT5_SW_jjP12ihipStream_tbEUlT_E1_NS1_11comp_targetILNS1_3genE10ELNS1_11target_archE1201ELNS1_3gpuE5ELNS1_3repE0EEENS1_59segmented_radix_sort_warp_sort_small_config_static_selectorELNS0_4arch9wavefront6targetE0EEEvSK_.has_indirect_call, 0
	.section	.AMDGPU.csdata,"",@progbits
; Kernel info:
; codeLenInByte = 0
; TotalNumSgprs: 0
; NumVgprs: 0
; ScratchSize: 0
; MemoryBound: 0
; FloatMode: 240
; IeeeMode: 1
; LDSByteSize: 0 bytes/workgroup (compile time only)
; SGPRBlocks: 0
; VGPRBlocks: 0
; NumSGPRsForWavesPerEU: 1
; NumVGPRsForWavesPerEU: 1
; NamedBarCnt: 0
; Occupancy: 16
; WaveLimiterHint : 0
; COMPUTE_PGM_RSRC2:SCRATCH_EN: 0
; COMPUTE_PGM_RSRC2:USER_SGPR: 2
; COMPUTE_PGM_RSRC2:TRAP_HANDLER: 0
; COMPUTE_PGM_RSRC2:TGID_X_EN: 1
; COMPUTE_PGM_RSRC2:TGID_Y_EN: 0
; COMPUTE_PGM_RSRC2:TGID_Z_EN: 0
; COMPUTE_PGM_RSRC2:TIDIG_COMP_CNT: 0
	.section	.text._ZN7rocprim17ROCPRIM_400000_NS6detail17trampoline_kernelINS0_14default_configENS1_36segmented_radix_sort_config_selectorIalEEZNS1_25segmented_radix_sort_implIS3_Lb0EPKaPaPKlPlN2at6native12_GLOBAL__N_18offset_tEEE10hipError_tPvRmT1_PNSt15iterator_traitsISK_E10value_typeET2_T3_PNSL_ISQ_E10value_typeET4_jRbjT5_SW_jjP12ihipStream_tbEUlT_E1_NS1_11comp_targetILNS1_3genE10ELNS1_11target_archE1200ELNS1_3gpuE4ELNS1_3repE0EEENS1_59segmented_radix_sort_warp_sort_small_config_static_selectorELNS0_4arch9wavefront6targetE0EEEvSK_,"axG",@progbits,_ZN7rocprim17ROCPRIM_400000_NS6detail17trampoline_kernelINS0_14default_configENS1_36segmented_radix_sort_config_selectorIalEEZNS1_25segmented_radix_sort_implIS3_Lb0EPKaPaPKlPlN2at6native12_GLOBAL__N_18offset_tEEE10hipError_tPvRmT1_PNSt15iterator_traitsISK_E10value_typeET2_T3_PNSL_ISQ_E10value_typeET4_jRbjT5_SW_jjP12ihipStream_tbEUlT_E1_NS1_11comp_targetILNS1_3genE10ELNS1_11target_archE1200ELNS1_3gpuE4ELNS1_3repE0EEENS1_59segmented_radix_sort_warp_sort_small_config_static_selectorELNS0_4arch9wavefront6targetE0EEEvSK_,comdat
	.globl	_ZN7rocprim17ROCPRIM_400000_NS6detail17trampoline_kernelINS0_14default_configENS1_36segmented_radix_sort_config_selectorIalEEZNS1_25segmented_radix_sort_implIS3_Lb0EPKaPaPKlPlN2at6native12_GLOBAL__N_18offset_tEEE10hipError_tPvRmT1_PNSt15iterator_traitsISK_E10value_typeET2_T3_PNSL_ISQ_E10value_typeET4_jRbjT5_SW_jjP12ihipStream_tbEUlT_E1_NS1_11comp_targetILNS1_3genE10ELNS1_11target_archE1200ELNS1_3gpuE4ELNS1_3repE0EEENS1_59segmented_radix_sort_warp_sort_small_config_static_selectorELNS0_4arch9wavefront6targetE0EEEvSK_ ; -- Begin function _ZN7rocprim17ROCPRIM_400000_NS6detail17trampoline_kernelINS0_14default_configENS1_36segmented_radix_sort_config_selectorIalEEZNS1_25segmented_radix_sort_implIS3_Lb0EPKaPaPKlPlN2at6native12_GLOBAL__N_18offset_tEEE10hipError_tPvRmT1_PNSt15iterator_traitsISK_E10value_typeET2_T3_PNSL_ISQ_E10value_typeET4_jRbjT5_SW_jjP12ihipStream_tbEUlT_E1_NS1_11comp_targetILNS1_3genE10ELNS1_11target_archE1200ELNS1_3gpuE4ELNS1_3repE0EEENS1_59segmented_radix_sort_warp_sort_small_config_static_selectorELNS0_4arch9wavefront6targetE0EEEvSK_
	.p2align	8
	.type	_ZN7rocprim17ROCPRIM_400000_NS6detail17trampoline_kernelINS0_14default_configENS1_36segmented_radix_sort_config_selectorIalEEZNS1_25segmented_radix_sort_implIS3_Lb0EPKaPaPKlPlN2at6native12_GLOBAL__N_18offset_tEEE10hipError_tPvRmT1_PNSt15iterator_traitsISK_E10value_typeET2_T3_PNSL_ISQ_E10value_typeET4_jRbjT5_SW_jjP12ihipStream_tbEUlT_E1_NS1_11comp_targetILNS1_3genE10ELNS1_11target_archE1200ELNS1_3gpuE4ELNS1_3repE0EEENS1_59segmented_radix_sort_warp_sort_small_config_static_selectorELNS0_4arch9wavefront6targetE0EEEvSK_,@function
_ZN7rocprim17ROCPRIM_400000_NS6detail17trampoline_kernelINS0_14default_configENS1_36segmented_radix_sort_config_selectorIalEEZNS1_25segmented_radix_sort_implIS3_Lb0EPKaPaPKlPlN2at6native12_GLOBAL__N_18offset_tEEE10hipError_tPvRmT1_PNSt15iterator_traitsISK_E10value_typeET2_T3_PNSL_ISQ_E10value_typeET4_jRbjT5_SW_jjP12ihipStream_tbEUlT_E1_NS1_11comp_targetILNS1_3genE10ELNS1_11target_archE1200ELNS1_3gpuE4ELNS1_3repE0EEENS1_59segmented_radix_sort_warp_sort_small_config_static_selectorELNS0_4arch9wavefront6targetE0EEEvSK_: ; @_ZN7rocprim17ROCPRIM_400000_NS6detail17trampoline_kernelINS0_14default_configENS1_36segmented_radix_sort_config_selectorIalEEZNS1_25segmented_radix_sort_implIS3_Lb0EPKaPaPKlPlN2at6native12_GLOBAL__N_18offset_tEEE10hipError_tPvRmT1_PNSt15iterator_traitsISK_E10value_typeET2_T3_PNSL_ISQ_E10value_typeET4_jRbjT5_SW_jjP12ihipStream_tbEUlT_E1_NS1_11comp_targetILNS1_3genE10ELNS1_11target_archE1200ELNS1_3gpuE4ELNS1_3repE0EEENS1_59segmented_radix_sort_warp_sort_small_config_static_selectorELNS0_4arch9wavefront6targetE0EEEvSK_
; %bb.0:
	.section	.rodata,"a",@progbits
	.p2align	6, 0x0
	.amdhsa_kernel _ZN7rocprim17ROCPRIM_400000_NS6detail17trampoline_kernelINS0_14default_configENS1_36segmented_radix_sort_config_selectorIalEEZNS1_25segmented_radix_sort_implIS3_Lb0EPKaPaPKlPlN2at6native12_GLOBAL__N_18offset_tEEE10hipError_tPvRmT1_PNSt15iterator_traitsISK_E10value_typeET2_T3_PNSL_ISQ_E10value_typeET4_jRbjT5_SW_jjP12ihipStream_tbEUlT_E1_NS1_11comp_targetILNS1_3genE10ELNS1_11target_archE1200ELNS1_3gpuE4ELNS1_3repE0EEENS1_59segmented_radix_sort_warp_sort_small_config_static_selectorELNS0_4arch9wavefront6targetE0EEEvSK_
		.amdhsa_group_segment_fixed_size 0
		.amdhsa_private_segment_fixed_size 0
		.amdhsa_kernarg_size 88
		.amdhsa_user_sgpr_count 2
		.amdhsa_user_sgpr_dispatch_ptr 0
		.amdhsa_user_sgpr_queue_ptr 0
		.amdhsa_user_sgpr_kernarg_segment_ptr 1
		.amdhsa_user_sgpr_dispatch_id 0
		.amdhsa_user_sgpr_kernarg_preload_length 0
		.amdhsa_user_sgpr_kernarg_preload_offset 0
		.amdhsa_user_sgpr_private_segment_size 0
		.amdhsa_wavefront_size32 1
		.amdhsa_uses_dynamic_stack 0
		.amdhsa_enable_private_segment 0
		.amdhsa_system_sgpr_workgroup_id_x 1
		.amdhsa_system_sgpr_workgroup_id_y 0
		.amdhsa_system_sgpr_workgroup_id_z 0
		.amdhsa_system_sgpr_workgroup_info 0
		.amdhsa_system_vgpr_workitem_id 0
		.amdhsa_next_free_vgpr 1
		.amdhsa_next_free_sgpr 1
		.amdhsa_named_barrier_count 0
		.amdhsa_reserve_vcc 0
		.amdhsa_float_round_mode_32 0
		.amdhsa_float_round_mode_16_64 0
		.amdhsa_float_denorm_mode_32 3
		.amdhsa_float_denorm_mode_16_64 3
		.amdhsa_fp16_overflow 0
		.amdhsa_memory_ordered 1
		.amdhsa_forward_progress 1
		.amdhsa_inst_pref_size 0
		.amdhsa_round_robin_scheduling 0
		.amdhsa_exception_fp_ieee_invalid_op 0
		.amdhsa_exception_fp_denorm_src 0
		.amdhsa_exception_fp_ieee_div_zero 0
		.amdhsa_exception_fp_ieee_overflow 0
		.amdhsa_exception_fp_ieee_underflow 0
		.amdhsa_exception_fp_ieee_inexact 0
		.amdhsa_exception_int_div_zero 0
	.end_amdhsa_kernel
	.section	.text._ZN7rocprim17ROCPRIM_400000_NS6detail17trampoline_kernelINS0_14default_configENS1_36segmented_radix_sort_config_selectorIalEEZNS1_25segmented_radix_sort_implIS3_Lb0EPKaPaPKlPlN2at6native12_GLOBAL__N_18offset_tEEE10hipError_tPvRmT1_PNSt15iterator_traitsISK_E10value_typeET2_T3_PNSL_ISQ_E10value_typeET4_jRbjT5_SW_jjP12ihipStream_tbEUlT_E1_NS1_11comp_targetILNS1_3genE10ELNS1_11target_archE1200ELNS1_3gpuE4ELNS1_3repE0EEENS1_59segmented_radix_sort_warp_sort_small_config_static_selectorELNS0_4arch9wavefront6targetE0EEEvSK_,"axG",@progbits,_ZN7rocprim17ROCPRIM_400000_NS6detail17trampoline_kernelINS0_14default_configENS1_36segmented_radix_sort_config_selectorIalEEZNS1_25segmented_radix_sort_implIS3_Lb0EPKaPaPKlPlN2at6native12_GLOBAL__N_18offset_tEEE10hipError_tPvRmT1_PNSt15iterator_traitsISK_E10value_typeET2_T3_PNSL_ISQ_E10value_typeET4_jRbjT5_SW_jjP12ihipStream_tbEUlT_E1_NS1_11comp_targetILNS1_3genE10ELNS1_11target_archE1200ELNS1_3gpuE4ELNS1_3repE0EEENS1_59segmented_radix_sort_warp_sort_small_config_static_selectorELNS0_4arch9wavefront6targetE0EEEvSK_,comdat
.Lfunc_end416:
	.size	_ZN7rocprim17ROCPRIM_400000_NS6detail17trampoline_kernelINS0_14default_configENS1_36segmented_radix_sort_config_selectorIalEEZNS1_25segmented_radix_sort_implIS3_Lb0EPKaPaPKlPlN2at6native12_GLOBAL__N_18offset_tEEE10hipError_tPvRmT1_PNSt15iterator_traitsISK_E10value_typeET2_T3_PNSL_ISQ_E10value_typeET4_jRbjT5_SW_jjP12ihipStream_tbEUlT_E1_NS1_11comp_targetILNS1_3genE10ELNS1_11target_archE1200ELNS1_3gpuE4ELNS1_3repE0EEENS1_59segmented_radix_sort_warp_sort_small_config_static_selectorELNS0_4arch9wavefront6targetE0EEEvSK_, .Lfunc_end416-_ZN7rocprim17ROCPRIM_400000_NS6detail17trampoline_kernelINS0_14default_configENS1_36segmented_radix_sort_config_selectorIalEEZNS1_25segmented_radix_sort_implIS3_Lb0EPKaPaPKlPlN2at6native12_GLOBAL__N_18offset_tEEE10hipError_tPvRmT1_PNSt15iterator_traitsISK_E10value_typeET2_T3_PNSL_ISQ_E10value_typeET4_jRbjT5_SW_jjP12ihipStream_tbEUlT_E1_NS1_11comp_targetILNS1_3genE10ELNS1_11target_archE1200ELNS1_3gpuE4ELNS1_3repE0EEENS1_59segmented_radix_sort_warp_sort_small_config_static_selectorELNS0_4arch9wavefront6targetE0EEEvSK_
                                        ; -- End function
	.set _ZN7rocprim17ROCPRIM_400000_NS6detail17trampoline_kernelINS0_14default_configENS1_36segmented_radix_sort_config_selectorIalEEZNS1_25segmented_radix_sort_implIS3_Lb0EPKaPaPKlPlN2at6native12_GLOBAL__N_18offset_tEEE10hipError_tPvRmT1_PNSt15iterator_traitsISK_E10value_typeET2_T3_PNSL_ISQ_E10value_typeET4_jRbjT5_SW_jjP12ihipStream_tbEUlT_E1_NS1_11comp_targetILNS1_3genE10ELNS1_11target_archE1200ELNS1_3gpuE4ELNS1_3repE0EEENS1_59segmented_radix_sort_warp_sort_small_config_static_selectorELNS0_4arch9wavefront6targetE0EEEvSK_.num_vgpr, 0
	.set _ZN7rocprim17ROCPRIM_400000_NS6detail17trampoline_kernelINS0_14default_configENS1_36segmented_radix_sort_config_selectorIalEEZNS1_25segmented_radix_sort_implIS3_Lb0EPKaPaPKlPlN2at6native12_GLOBAL__N_18offset_tEEE10hipError_tPvRmT1_PNSt15iterator_traitsISK_E10value_typeET2_T3_PNSL_ISQ_E10value_typeET4_jRbjT5_SW_jjP12ihipStream_tbEUlT_E1_NS1_11comp_targetILNS1_3genE10ELNS1_11target_archE1200ELNS1_3gpuE4ELNS1_3repE0EEENS1_59segmented_radix_sort_warp_sort_small_config_static_selectorELNS0_4arch9wavefront6targetE0EEEvSK_.num_agpr, 0
	.set _ZN7rocprim17ROCPRIM_400000_NS6detail17trampoline_kernelINS0_14default_configENS1_36segmented_radix_sort_config_selectorIalEEZNS1_25segmented_radix_sort_implIS3_Lb0EPKaPaPKlPlN2at6native12_GLOBAL__N_18offset_tEEE10hipError_tPvRmT1_PNSt15iterator_traitsISK_E10value_typeET2_T3_PNSL_ISQ_E10value_typeET4_jRbjT5_SW_jjP12ihipStream_tbEUlT_E1_NS1_11comp_targetILNS1_3genE10ELNS1_11target_archE1200ELNS1_3gpuE4ELNS1_3repE0EEENS1_59segmented_radix_sort_warp_sort_small_config_static_selectorELNS0_4arch9wavefront6targetE0EEEvSK_.numbered_sgpr, 0
	.set _ZN7rocprim17ROCPRIM_400000_NS6detail17trampoline_kernelINS0_14default_configENS1_36segmented_radix_sort_config_selectorIalEEZNS1_25segmented_radix_sort_implIS3_Lb0EPKaPaPKlPlN2at6native12_GLOBAL__N_18offset_tEEE10hipError_tPvRmT1_PNSt15iterator_traitsISK_E10value_typeET2_T3_PNSL_ISQ_E10value_typeET4_jRbjT5_SW_jjP12ihipStream_tbEUlT_E1_NS1_11comp_targetILNS1_3genE10ELNS1_11target_archE1200ELNS1_3gpuE4ELNS1_3repE0EEENS1_59segmented_radix_sort_warp_sort_small_config_static_selectorELNS0_4arch9wavefront6targetE0EEEvSK_.num_named_barrier, 0
	.set _ZN7rocprim17ROCPRIM_400000_NS6detail17trampoline_kernelINS0_14default_configENS1_36segmented_radix_sort_config_selectorIalEEZNS1_25segmented_radix_sort_implIS3_Lb0EPKaPaPKlPlN2at6native12_GLOBAL__N_18offset_tEEE10hipError_tPvRmT1_PNSt15iterator_traitsISK_E10value_typeET2_T3_PNSL_ISQ_E10value_typeET4_jRbjT5_SW_jjP12ihipStream_tbEUlT_E1_NS1_11comp_targetILNS1_3genE10ELNS1_11target_archE1200ELNS1_3gpuE4ELNS1_3repE0EEENS1_59segmented_radix_sort_warp_sort_small_config_static_selectorELNS0_4arch9wavefront6targetE0EEEvSK_.private_seg_size, 0
	.set _ZN7rocprim17ROCPRIM_400000_NS6detail17trampoline_kernelINS0_14default_configENS1_36segmented_radix_sort_config_selectorIalEEZNS1_25segmented_radix_sort_implIS3_Lb0EPKaPaPKlPlN2at6native12_GLOBAL__N_18offset_tEEE10hipError_tPvRmT1_PNSt15iterator_traitsISK_E10value_typeET2_T3_PNSL_ISQ_E10value_typeET4_jRbjT5_SW_jjP12ihipStream_tbEUlT_E1_NS1_11comp_targetILNS1_3genE10ELNS1_11target_archE1200ELNS1_3gpuE4ELNS1_3repE0EEENS1_59segmented_radix_sort_warp_sort_small_config_static_selectorELNS0_4arch9wavefront6targetE0EEEvSK_.uses_vcc, 0
	.set _ZN7rocprim17ROCPRIM_400000_NS6detail17trampoline_kernelINS0_14default_configENS1_36segmented_radix_sort_config_selectorIalEEZNS1_25segmented_radix_sort_implIS3_Lb0EPKaPaPKlPlN2at6native12_GLOBAL__N_18offset_tEEE10hipError_tPvRmT1_PNSt15iterator_traitsISK_E10value_typeET2_T3_PNSL_ISQ_E10value_typeET4_jRbjT5_SW_jjP12ihipStream_tbEUlT_E1_NS1_11comp_targetILNS1_3genE10ELNS1_11target_archE1200ELNS1_3gpuE4ELNS1_3repE0EEENS1_59segmented_radix_sort_warp_sort_small_config_static_selectorELNS0_4arch9wavefront6targetE0EEEvSK_.uses_flat_scratch, 0
	.set _ZN7rocprim17ROCPRIM_400000_NS6detail17trampoline_kernelINS0_14default_configENS1_36segmented_radix_sort_config_selectorIalEEZNS1_25segmented_radix_sort_implIS3_Lb0EPKaPaPKlPlN2at6native12_GLOBAL__N_18offset_tEEE10hipError_tPvRmT1_PNSt15iterator_traitsISK_E10value_typeET2_T3_PNSL_ISQ_E10value_typeET4_jRbjT5_SW_jjP12ihipStream_tbEUlT_E1_NS1_11comp_targetILNS1_3genE10ELNS1_11target_archE1200ELNS1_3gpuE4ELNS1_3repE0EEENS1_59segmented_radix_sort_warp_sort_small_config_static_selectorELNS0_4arch9wavefront6targetE0EEEvSK_.has_dyn_sized_stack, 0
	.set _ZN7rocprim17ROCPRIM_400000_NS6detail17trampoline_kernelINS0_14default_configENS1_36segmented_radix_sort_config_selectorIalEEZNS1_25segmented_radix_sort_implIS3_Lb0EPKaPaPKlPlN2at6native12_GLOBAL__N_18offset_tEEE10hipError_tPvRmT1_PNSt15iterator_traitsISK_E10value_typeET2_T3_PNSL_ISQ_E10value_typeET4_jRbjT5_SW_jjP12ihipStream_tbEUlT_E1_NS1_11comp_targetILNS1_3genE10ELNS1_11target_archE1200ELNS1_3gpuE4ELNS1_3repE0EEENS1_59segmented_radix_sort_warp_sort_small_config_static_selectorELNS0_4arch9wavefront6targetE0EEEvSK_.has_recursion, 0
	.set _ZN7rocprim17ROCPRIM_400000_NS6detail17trampoline_kernelINS0_14default_configENS1_36segmented_radix_sort_config_selectorIalEEZNS1_25segmented_radix_sort_implIS3_Lb0EPKaPaPKlPlN2at6native12_GLOBAL__N_18offset_tEEE10hipError_tPvRmT1_PNSt15iterator_traitsISK_E10value_typeET2_T3_PNSL_ISQ_E10value_typeET4_jRbjT5_SW_jjP12ihipStream_tbEUlT_E1_NS1_11comp_targetILNS1_3genE10ELNS1_11target_archE1200ELNS1_3gpuE4ELNS1_3repE0EEENS1_59segmented_radix_sort_warp_sort_small_config_static_selectorELNS0_4arch9wavefront6targetE0EEEvSK_.has_indirect_call, 0
	.section	.AMDGPU.csdata,"",@progbits
; Kernel info:
; codeLenInByte = 0
; TotalNumSgprs: 0
; NumVgprs: 0
; ScratchSize: 0
; MemoryBound: 0
; FloatMode: 240
; IeeeMode: 1
; LDSByteSize: 0 bytes/workgroup (compile time only)
; SGPRBlocks: 0
; VGPRBlocks: 0
; NumSGPRsForWavesPerEU: 1
; NumVGPRsForWavesPerEU: 1
; NamedBarCnt: 0
; Occupancy: 16
; WaveLimiterHint : 0
; COMPUTE_PGM_RSRC2:SCRATCH_EN: 0
; COMPUTE_PGM_RSRC2:USER_SGPR: 2
; COMPUTE_PGM_RSRC2:TRAP_HANDLER: 0
; COMPUTE_PGM_RSRC2:TGID_X_EN: 1
; COMPUTE_PGM_RSRC2:TGID_Y_EN: 0
; COMPUTE_PGM_RSRC2:TGID_Z_EN: 0
; COMPUTE_PGM_RSRC2:TIDIG_COMP_CNT: 0
	.section	.text._ZN7rocprim17ROCPRIM_400000_NS6detail17trampoline_kernelINS0_14default_configENS1_36segmented_radix_sort_config_selectorIalEEZNS1_25segmented_radix_sort_implIS3_Lb0EPKaPaPKlPlN2at6native12_GLOBAL__N_18offset_tEEE10hipError_tPvRmT1_PNSt15iterator_traitsISK_E10value_typeET2_T3_PNSL_ISQ_E10value_typeET4_jRbjT5_SW_jjP12ihipStream_tbEUlT_E1_NS1_11comp_targetILNS1_3genE9ELNS1_11target_archE1100ELNS1_3gpuE3ELNS1_3repE0EEENS1_59segmented_radix_sort_warp_sort_small_config_static_selectorELNS0_4arch9wavefront6targetE0EEEvSK_,"axG",@progbits,_ZN7rocprim17ROCPRIM_400000_NS6detail17trampoline_kernelINS0_14default_configENS1_36segmented_radix_sort_config_selectorIalEEZNS1_25segmented_radix_sort_implIS3_Lb0EPKaPaPKlPlN2at6native12_GLOBAL__N_18offset_tEEE10hipError_tPvRmT1_PNSt15iterator_traitsISK_E10value_typeET2_T3_PNSL_ISQ_E10value_typeET4_jRbjT5_SW_jjP12ihipStream_tbEUlT_E1_NS1_11comp_targetILNS1_3genE9ELNS1_11target_archE1100ELNS1_3gpuE3ELNS1_3repE0EEENS1_59segmented_radix_sort_warp_sort_small_config_static_selectorELNS0_4arch9wavefront6targetE0EEEvSK_,comdat
	.globl	_ZN7rocprim17ROCPRIM_400000_NS6detail17trampoline_kernelINS0_14default_configENS1_36segmented_radix_sort_config_selectorIalEEZNS1_25segmented_radix_sort_implIS3_Lb0EPKaPaPKlPlN2at6native12_GLOBAL__N_18offset_tEEE10hipError_tPvRmT1_PNSt15iterator_traitsISK_E10value_typeET2_T3_PNSL_ISQ_E10value_typeET4_jRbjT5_SW_jjP12ihipStream_tbEUlT_E1_NS1_11comp_targetILNS1_3genE9ELNS1_11target_archE1100ELNS1_3gpuE3ELNS1_3repE0EEENS1_59segmented_radix_sort_warp_sort_small_config_static_selectorELNS0_4arch9wavefront6targetE0EEEvSK_ ; -- Begin function _ZN7rocprim17ROCPRIM_400000_NS6detail17trampoline_kernelINS0_14default_configENS1_36segmented_radix_sort_config_selectorIalEEZNS1_25segmented_radix_sort_implIS3_Lb0EPKaPaPKlPlN2at6native12_GLOBAL__N_18offset_tEEE10hipError_tPvRmT1_PNSt15iterator_traitsISK_E10value_typeET2_T3_PNSL_ISQ_E10value_typeET4_jRbjT5_SW_jjP12ihipStream_tbEUlT_E1_NS1_11comp_targetILNS1_3genE9ELNS1_11target_archE1100ELNS1_3gpuE3ELNS1_3repE0EEENS1_59segmented_radix_sort_warp_sort_small_config_static_selectorELNS0_4arch9wavefront6targetE0EEEvSK_
	.p2align	8
	.type	_ZN7rocprim17ROCPRIM_400000_NS6detail17trampoline_kernelINS0_14default_configENS1_36segmented_radix_sort_config_selectorIalEEZNS1_25segmented_radix_sort_implIS3_Lb0EPKaPaPKlPlN2at6native12_GLOBAL__N_18offset_tEEE10hipError_tPvRmT1_PNSt15iterator_traitsISK_E10value_typeET2_T3_PNSL_ISQ_E10value_typeET4_jRbjT5_SW_jjP12ihipStream_tbEUlT_E1_NS1_11comp_targetILNS1_3genE9ELNS1_11target_archE1100ELNS1_3gpuE3ELNS1_3repE0EEENS1_59segmented_radix_sort_warp_sort_small_config_static_selectorELNS0_4arch9wavefront6targetE0EEEvSK_,@function
_ZN7rocprim17ROCPRIM_400000_NS6detail17trampoline_kernelINS0_14default_configENS1_36segmented_radix_sort_config_selectorIalEEZNS1_25segmented_radix_sort_implIS3_Lb0EPKaPaPKlPlN2at6native12_GLOBAL__N_18offset_tEEE10hipError_tPvRmT1_PNSt15iterator_traitsISK_E10value_typeET2_T3_PNSL_ISQ_E10value_typeET4_jRbjT5_SW_jjP12ihipStream_tbEUlT_E1_NS1_11comp_targetILNS1_3genE9ELNS1_11target_archE1100ELNS1_3gpuE3ELNS1_3repE0EEENS1_59segmented_radix_sort_warp_sort_small_config_static_selectorELNS0_4arch9wavefront6targetE0EEEvSK_: ; @_ZN7rocprim17ROCPRIM_400000_NS6detail17trampoline_kernelINS0_14default_configENS1_36segmented_radix_sort_config_selectorIalEEZNS1_25segmented_radix_sort_implIS3_Lb0EPKaPaPKlPlN2at6native12_GLOBAL__N_18offset_tEEE10hipError_tPvRmT1_PNSt15iterator_traitsISK_E10value_typeET2_T3_PNSL_ISQ_E10value_typeET4_jRbjT5_SW_jjP12ihipStream_tbEUlT_E1_NS1_11comp_targetILNS1_3genE9ELNS1_11target_archE1100ELNS1_3gpuE3ELNS1_3repE0EEENS1_59segmented_radix_sort_warp_sort_small_config_static_selectorELNS0_4arch9wavefront6targetE0EEEvSK_
; %bb.0:
	.section	.rodata,"a",@progbits
	.p2align	6, 0x0
	.amdhsa_kernel _ZN7rocprim17ROCPRIM_400000_NS6detail17trampoline_kernelINS0_14default_configENS1_36segmented_radix_sort_config_selectorIalEEZNS1_25segmented_radix_sort_implIS3_Lb0EPKaPaPKlPlN2at6native12_GLOBAL__N_18offset_tEEE10hipError_tPvRmT1_PNSt15iterator_traitsISK_E10value_typeET2_T3_PNSL_ISQ_E10value_typeET4_jRbjT5_SW_jjP12ihipStream_tbEUlT_E1_NS1_11comp_targetILNS1_3genE9ELNS1_11target_archE1100ELNS1_3gpuE3ELNS1_3repE0EEENS1_59segmented_radix_sort_warp_sort_small_config_static_selectorELNS0_4arch9wavefront6targetE0EEEvSK_
		.amdhsa_group_segment_fixed_size 0
		.amdhsa_private_segment_fixed_size 0
		.amdhsa_kernarg_size 88
		.amdhsa_user_sgpr_count 2
		.amdhsa_user_sgpr_dispatch_ptr 0
		.amdhsa_user_sgpr_queue_ptr 0
		.amdhsa_user_sgpr_kernarg_segment_ptr 1
		.amdhsa_user_sgpr_dispatch_id 0
		.amdhsa_user_sgpr_kernarg_preload_length 0
		.amdhsa_user_sgpr_kernarg_preload_offset 0
		.amdhsa_user_sgpr_private_segment_size 0
		.amdhsa_wavefront_size32 1
		.amdhsa_uses_dynamic_stack 0
		.amdhsa_enable_private_segment 0
		.amdhsa_system_sgpr_workgroup_id_x 1
		.amdhsa_system_sgpr_workgroup_id_y 0
		.amdhsa_system_sgpr_workgroup_id_z 0
		.amdhsa_system_sgpr_workgroup_info 0
		.amdhsa_system_vgpr_workitem_id 0
		.amdhsa_next_free_vgpr 1
		.amdhsa_next_free_sgpr 1
		.amdhsa_named_barrier_count 0
		.amdhsa_reserve_vcc 0
		.amdhsa_float_round_mode_32 0
		.amdhsa_float_round_mode_16_64 0
		.amdhsa_float_denorm_mode_32 3
		.amdhsa_float_denorm_mode_16_64 3
		.amdhsa_fp16_overflow 0
		.amdhsa_memory_ordered 1
		.amdhsa_forward_progress 1
		.amdhsa_inst_pref_size 0
		.amdhsa_round_robin_scheduling 0
		.amdhsa_exception_fp_ieee_invalid_op 0
		.amdhsa_exception_fp_denorm_src 0
		.amdhsa_exception_fp_ieee_div_zero 0
		.amdhsa_exception_fp_ieee_overflow 0
		.amdhsa_exception_fp_ieee_underflow 0
		.amdhsa_exception_fp_ieee_inexact 0
		.amdhsa_exception_int_div_zero 0
	.end_amdhsa_kernel
	.section	.text._ZN7rocprim17ROCPRIM_400000_NS6detail17trampoline_kernelINS0_14default_configENS1_36segmented_radix_sort_config_selectorIalEEZNS1_25segmented_radix_sort_implIS3_Lb0EPKaPaPKlPlN2at6native12_GLOBAL__N_18offset_tEEE10hipError_tPvRmT1_PNSt15iterator_traitsISK_E10value_typeET2_T3_PNSL_ISQ_E10value_typeET4_jRbjT5_SW_jjP12ihipStream_tbEUlT_E1_NS1_11comp_targetILNS1_3genE9ELNS1_11target_archE1100ELNS1_3gpuE3ELNS1_3repE0EEENS1_59segmented_radix_sort_warp_sort_small_config_static_selectorELNS0_4arch9wavefront6targetE0EEEvSK_,"axG",@progbits,_ZN7rocprim17ROCPRIM_400000_NS6detail17trampoline_kernelINS0_14default_configENS1_36segmented_radix_sort_config_selectorIalEEZNS1_25segmented_radix_sort_implIS3_Lb0EPKaPaPKlPlN2at6native12_GLOBAL__N_18offset_tEEE10hipError_tPvRmT1_PNSt15iterator_traitsISK_E10value_typeET2_T3_PNSL_ISQ_E10value_typeET4_jRbjT5_SW_jjP12ihipStream_tbEUlT_E1_NS1_11comp_targetILNS1_3genE9ELNS1_11target_archE1100ELNS1_3gpuE3ELNS1_3repE0EEENS1_59segmented_radix_sort_warp_sort_small_config_static_selectorELNS0_4arch9wavefront6targetE0EEEvSK_,comdat
.Lfunc_end417:
	.size	_ZN7rocprim17ROCPRIM_400000_NS6detail17trampoline_kernelINS0_14default_configENS1_36segmented_radix_sort_config_selectorIalEEZNS1_25segmented_radix_sort_implIS3_Lb0EPKaPaPKlPlN2at6native12_GLOBAL__N_18offset_tEEE10hipError_tPvRmT1_PNSt15iterator_traitsISK_E10value_typeET2_T3_PNSL_ISQ_E10value_typeET4_jRbjT5_SW_jjP12ihipStream_tbEUlT_E1_NS1_11comp_targetILNS1_3genE9ELNS1_11target_archE1100ELNS1_3gpuE3ELNS1_3repE0EEENS1_59segmented_radix_sort_warp_sort_small_config_static_selectorELNS0_4arch9wavefront6targetE0EEEvSK_, .Lfunc_end417-_ZN7rocprim17ROCPRIM_400000_NS6detail17trampoline_kernelINS0_14default_configENS1_36segmented_radix_sort_config_selectorIalEEZNS1_25segmented_radix_sort_implIS3_Lb0EPKaPaPKlPlN2at6native12_GLOBAL__N_18offset_tEEE10hipError_tPvRmT1_PNSt15iterator_traitsISK_E10value_typeET2_T3_PNSL_ISQ_E10value_typeET4_jRbjT5_SW_jjP12ihipStream_tbEUlT_E1_NS1_11comp_targetILNS1_3genE9ELNS1_11target_archE1100ELNS1_3gpuE3ELNS1_3repE0EEENS1_59segmented_radix_sort_warp_sort_small_config_static_selectorELNS0_4arch9wavefront6targetE0EEEvSK_
                                        ; -- End function
	.set _ZN7rocprim17ROCPRIM_400000_NS6detail17trampoline_kernelINS0_14default_configENS1_36segmented_radix_sort_config_selectorIalEEZNS1_25segmented_radix_sort_implIS3_Lb0EPKaPaPKlPlN2at6native12_GLOBAL__N_18offset_tEEE10hipError_tPvRmT1_PNSt15iterator_traitsISK_E10value_typeET2_T3_PNSL_ISQ_E10value_typeET4_jRbjT5_SW_jjP12ihipStream_tbEUlT_E1_NS1_11comp_targetILNS1_3genE9ELNS1_11target_archE1100ELNS1_3gpuE3ELNS1_3repE0EEENS1_59segmented_radix_sort_warp_sort_small_config_static_selectorELNS0_4arch9wavefront6targetE0EEEvSK_.num_vgpr, 0
	.set _ZN7rocprim17ROCPRIM_400000_NS6detail17trampoline_kernelINS0_14default_configENS1_36segmented_radix_sort_config_selectorIalEEZNS1_25segmented_radix_sort_implIS3_Lb0EPKaPaPKlPlN2at6native12_GLOBAL__N_18offset_tEEE10hipError_tPvRmT1_PNSt15iterator_traitsISK_E10value_typeET2_T3_PNSL_ISQ_E10value_typeET4_jRbjT5_SW_jjP12ihipStream_tbEUlT_E1_NS1_11comp_targetILNS1_3genE9ELNS1_11target_archE1100ELNS1_3gpuE3ELNS1_3repE0EEENS1_59segmented_radix_sort_warp_sort_small_config_static_selectorELNS0_4arch9wavefront6targetE0EEEvSK_.num_agpr, 0
	.set _ZN7rocprim17ROCPRIM_400000_NS6detail17trampoline_kernelINS0_14default_configENS1_36segmented_radix_sort_config_selectorIalEEZNS1_25segmented_radix_sort_implIS3_Lb0EPKaPaPKlPlN2at6native12_GLOBAL__N_18offset_tEEE10hipError_tPvRmT1_PNSt15iterator_traitsISK_E10value_typeET2_T3_PNSL_ISQ_E10value_typeET4_jRbjT5_SW_jjP12ihipStream_tbEUlT_E1_NS1_11comp_targetILNS1_3genE9ELNS1_11target_archE1100ELNS1_3gpuE3ELNS1_3repE0EEENS1_59segmented_radix_sort_warp_sort_small_config_static_selectorELNS0_4arch9wavefront6targetE0EEEvSK_.numbered_sgpr, 0
	.set _ZN7rocprim17ROCPRIM_400000_NS6detail17trampoline_kernelINS0_14default_configENS1_36segmented_radix_sort_config_selectorIalEEZNS1_25segmented_radix_sort_implIS3_Lb0EPKaPaPKlPlN2at6native12_GLOBAL__N_18offset_tEEE10hipError_tPvRmT1_PNSt15iterator_traitsISK_E10value_typeET2_T3_PNSL_ISQ_E10value_typeET4_jRbjT5_SW_jjP12ihipStream_tbEUlT_E1_NS1_11comp_targetILNS1_3genE9ELNS1_11target_archE1100ELNS1_3gpuE3ELNS1_3repE0EEENS1_59segmented_radix_sort_warp_sort_small_config_static_selectorELNS0_4arch9wavefront6targetE0EEEvSK_.num_named_barrier, 0
	.set _ZN7rocprim17ROCPRIM_400000_NS6detail17trampoline_kernelINS0_14default_configENS1_36segmented_radix_sort_config_selectorIalEEZNS1_25segmented_radix_sort_implIS3_Lb0EPKaPaPKlPlN2at6native12_GLOBAL__N_18offset_tEEE10hipError_tPvRmT1_PNSt15iterator_traitsISK_E10value_typeET2_T3_PNSL_ISQ_E10value_typeET4_jRbjT5_SW_jjP12ihipStream_tbEUlT_E1_NS1_11comp_targetILNS1_3genE9ELNS1_11target_archE1100ELNS1_3gpuE3ELNS1_3repE0EEENS1_59segmented_radix_sort_warp_sort_small_config_static_selectorELNS0_4arch9wavefront6targetE0EEEvSK_.private_seg_size, 0
	.set _ZN7rocprim17ROCPRIM_400000_NS6detail17trampoline_kernelINS0_14default_configENS1_36segmented_radix_sort_config_selectorIalEEZNS1_25segmented_radix_sort_implIS3_Lb0EPKaPaPKlPlN2at6native12_GLOBAL__N_18offset_tEEE10hipError_tPvRmT1_PNSt15iterator_traitsISK_E10value_typeET2_T3_PNSL_ISQ_E10value_typeET4_jRbjT5_SW_jjP12ihipStream_tbEUlT_E1_NS1_11comp_targetILNS1_3genE9ELNS1_11target_archE1100ELNS1_3gpuE3ELNS1_3repE0EEENS1_59segmented_radix_sort_warp_sort_small_config_static_selectorELNS0_4arch9wavefront6targetE0EEEvSK_.uses_vcc, 0
	.set _ZN7rocprim17ROCPRIM_400000_NS6detail17trampoline_kernelINS0_14default_configENS1_36segmented_radix_sort_config_selectorIalEEZNS1_25segmented_radix_sort_implIS3_Lb0EPKaPaPKlPlN2at6native12_GLOBAL__N_18offset_tEEE10hipError_tPvRmT1_PNSt15iterator_traitsISK_E10value_typeET2_T3_PNSL_ISQ_E10value_typeET4_jRbjT5_SW_jjP12ihipStream_tbEUlT_E1_NS1_11comp_targetILNS1_3genE9ELNS1_11target_archE1100ELNS1_3gpuE3ELNS1_3repE0EEENS1_59segmented_radix_sort_warp_sort_small_config_static_selectorELNS0_4arch9wavefront6targetE0EEEvSK_.uses_flat_scratch, 0
	.set _ZN7rocprim17ROCPRIM_400000_NS6detail17trampoline_kernelINS0_14default_configENS1_36segmented_radix_sort_config_selectorIalEEZNS1_25segmented_radix_sort_implIS3_Lb0EPKaPaPKlPlN2at6native12_GLOBAL__N_18offset_tEEE10hipError_tPvRmT1_PNSt15iterator_traitsISK_E10value_typeET2_T3_PNSL_ISQ_E10value_typeET4_jRbjT5_SW_jjP12ihipStream_tbEUlT_E1_NS1_11comp_targetILNS1_3genE9ELNS1_11target_archE1100ELNS1_3gpuE3ELNS1_3repE0EEENS1_59segmented_radix_sort_warp_sort_small_config_static_selectorELNS0_4arch9wavefront6targetE0EEEvSK_.has_dyn_sized_stack, 0
	.set _ZN7rocprim17ROCPRIM_400000_NS6detail17trampoline_kernelINS0_14default_configENS1_36segmented_radix_sort_config_selectorIalEEZNS1_25segmented_radix_sort_implIS3_Lb0EPKaPaPKlPlN2at6native12_GLOBAL__N_18offset_tEEE10hipError_tPvRmT1_PNSt15iterator_traitsISK_E10value_typeET2_T3_PNSL_ISQ_E10value_typeET4_jRbjT5_SW_jjP12ihipStream_tbEUlT_E1_NS1_11comp_targetILNS1_3genE9ELNS1_11target_archE1100ELNS1_3gpuE3ELNS1_3repE0EEENS1_59segmented_radix_sort_warp_sort_small_config_static_selectorELNS0_4arch9wavefront6targetE0EEEvSK_.has_recursion, 0
	.set _ZN7rocprim17ROCPRIM_400000_NS6detail17trampoline_kernelINS0_14default_configENS1_36segmented_radix_sort_config_selectorIalEEZNS1_25segmented_radix_sort_implIS3_Lb0EPKaPaPKlPlN2at6native12_GLOBAL__N_18offset_tEEE10hipError_tPvRmT1_PNSt15iterator_traitsISK_E10value_typeET2_T3_PNSL_ISQ_E10value_typeET4_jRbjT5_SW_jjP12ihipStream_tbEUlT_E1_NS1_11comp_targetILNS1_3genE9ELNS1_11target_archE1100ELNS1_3gpuE3ELNS1_3repE0EEENS1_59segmented_radix_sort_warp_sort_small_config_static_selectorELNS0_4arch9wavefront6targetE0EEEvSK_.has_indirect_call, 0
	.section	.AMDGPU.csdata,"",@progbits
; Kernel info:
; codeLenInByte = 0
; TotalNumSgprs: 0
; NumVgprs: 0
; ScratchSize: 0
; MemoryBound: 0
; FloatMode: 240
; IeeeMode: 1
; LDSByteSize: 0 bytes/workgroup (compile time only)
; SGPRBlocks: 0
; VGPRBlocks: 0
; NumSGPRsForWavesPerEU: 1
; NumVGPRsForWavesPerEU: 1
; NamedBarCnt: 0
; Occupancy: 16
; WaveLimiterHint : 0
; COMPUTE_PGM_RSRC2:SCRATCH_EN: 0
; COMPUTE_PGM_RSRC2:USER_SGPR: 2
; COMPUTE_PGM_RSRC2:TRAP_HANDLER: 0
; COMPUTE_PGM_RSRC2:TGID_X_EN: 1
; COMPUTE_PGM_RSRC2:TGID_Y_EN: 0
; COMPUTE_PGM_RSRC2:TGID_Z_EN: 0
; COMPUTE_PGM_RSRC2:TIDIG_COMP_CNT: 0
	.section	.text._ZN7rocprim17ROCPRIM_400000_NS6detail17trampoline_kernelINS0_14default_configENS1_36segmented_radix_sort_config_selectorIalEEZNS1_25segmented_radix_sort_implIS3_Lb0EPKaPaPKlPlN2at6native12_GLOBAL__N_18offset_tEEE10hipError_tPvRmT1_PNSt15iterator_traitsISK_E10value_typeET2_T3_PNSL_ISQ_E10value_typeET4_jRbjT5_SW_jjP12ihipStream_tbEUlT_E1_NS1_11comp_targetILNS1_3genE8ELNS1_11target_archE1030ELNS1_3gpuE2ELNS1_3repE0EEENS1_59segmented_radix_sort_warp_sort_small_config_static_selectorELNS0_4arch9wavefront6targetE0EEEvSK_,"axG",@progbits,_ZN7rocprim17ROCPRIM_400000_NS6detail17trampoline_kernelINS0_14default_configENS1_36segmented_radix_sort_config_selectorIalEEZNS1_25segmented_radix_sort_implIS3_Lb0EPKaPaPKlPlN2at6native12_GLOBAL__N_18offset_tEEE10hipError_tPvRmT1_PNSt15iterator_traitsISK_E10value_typeET2_T3_PNSL_ISQ_E10value_typeET4_jRbjT5_SW_jjP12ihipStream_tbEUlT_E1_NS1_11comp_targetILNS1_3genE8ELNS1_11target_archE1030ELNS1_3gpuE2ELNS1_3repE0EEENS1_59segmented_radix_sort_warp_sort_small_config_static_selectorELNS0_4arch9wavefront6targetE0EEEvSK_,comdat
	.globl	_ZN7rocprim17ROCPRIM_400000_NS6detail17trampoline_kernelINS0_14default_configENS1_36segmented_radix_sort_config_selectorIalEEZNS1_25segmented_radix_sort_implIS3_Lb0EPKaPaPKlPlN2at6native12_GLOBAL__N_18offset_tEEE10hipError_tPvRmT1_PNSt15iterator_traitsISK_E10value_typeET2_T3_PNSL_ISQ_E10value_typeET4_jRbjT5_SW_jjP12ihipStream_tbEUlT_E1_NS1_11comp_targetILNS1_3genE8ELNS1_11target_archE1030ELNS1_3gpuE2ELNS1_3repE0EEENS1_59segmented_radix_sort_warp_sort_small_config_static_selectorELNS0_4arch9wavefront6targetE0EEEvSK_ ; -- Begin function _ZN7rocprim17ROCPRIM_400000_NS6detail17trampoline_kernelINS0_14default_configENS1_36segmented_radix_sort_config_selectorIalEEZNS1_25segmented_radix_sort_implIS3_Lb0EPKaPaPKlPlN2at6native12_GLOBAL__N_18offset_tEEE10hipError_tPvRmT1_PNSt15iterator_traitsISK_E10value_typeET2_T3_PNSL_ISQ_E10value_typeET4_jRbjT5_SW_jjP12ihipStream_tbEUlT_E1_NS1_11comp_targetILNS1_3genE8ELNS1_11target_archE1030ELNS1_3gpuE2ELNS1_3repE0EEENS1_59segmented_radix_sort_warp_sort_small_config_static_selectorELNS0_4arch9wavefront6targetE0EEEvSK_
	.p2align	8
	.type	_ZN7rocprim17ROCPRIM_400000_NS6detail17trampoline_kernelINS0_14default_configENS1_36segmented_radix_sort_config_selectorIalEEZNS1_25segmented_radix_sort_implIS3_Lb0EPKaPaPKlPlN2at6native12_GLOBAL__N_18offset_tEEE10hipError_tPvRmT1_PNSt15iterator_traitsISK_E10value_typeET2_T3_PNSL_ISQ_E10value_typeET4_jRbjT5_SW_jjP12ihipStream_tbEUlT_E1_NS1_11comp_targetILNS1_3genE8ELNS1_11target_archE1030ELNS1_3gpuE2ELNS1_3repE0EEENS1_59segmented_radix_sort_warp_sort_small_config_static_selectorELNS0_4arch9wavefront6targetE0EEEvSK_,@function
_ZN7rocprim17ROCPRIM_400000_NS6detail17trampoline_kernelINS0_14default_configENS1_36segmented_radix_sort_config_selectorIalEEZNS1_25segmented_radix_sort_implIS3_Lb0EPKaPaPKlPlN2at6native12_GLOBAL__N_18offset_tEEE10hipError_tPvRmT1_PNSt15iterator_traitsISK_E10value_typeET2_T3_PNSL_ISQ_E10value_typeET4_jRbjT5_SW_jjP12ihipStream_tbEUlT_E1_NS1_11comp_targetILNS1_3genE8ELNS1_11target_archE1030ELNS1_3gpuE2ELNS1_3repE0EEENS1_59segmented_radix_sort_warp_sort_small_config_static_selectorELNS0_4arch9wavefront6targetE0EEEvSK_: ; @_ZN7rocprim17ROCPRIM_400000_NS6detail17trampoline_kernelINS0_14default_configENS1_36segmented_radix_sort_config_selectorIalEEZNS1_25segmented_radix_sort_implIS3_Lb0EPKaPaPKlPlN2at6native12_GLOBAL__N_18offset_tEEE10hipError_tPvRmT1_PNSt15iterator_traitsISK_E10value_typeET2_T3_PNSL_ISQ_E10value_typeET4_jRbjT5_SW_jjP12ihipStream_tbEUlT_E1_NS1_11comp_targetILNS1_3genE8ELNS1_11target_archE1030ELNS1_3gpuE2ELNS1_3repE0EEENS1_59segmented_radix_sort_warp_sort_small_config_static_selectorELNS0_4arch9wavefront6targetE0EEEvSK_
; %bb.0:
	.section	.rodata,"a",@progbits
	.p2align	6, 0x0
	.amdhsa_kernel _ZN7rocprim17ROCPRIM_400000_NS6detail17trampoline_kernelINS0_14default_configENS1_36segmented_radix_sort_config_selectorIalEEZNS1_25segmented_radix_sort_implIS3_Lb0EPKaPaPKlPlN2at6native12_GLOBAL__N_18offset_tEEE10hipError_tPvRmT1_PNSt15iterator_traitsISK_E10value_typeET2_T3_PNSL_ISQ_E10value_typeET4_jRbjT5_SW_jjP12ihipStream_tbEUlT_E1_NS1_11comp_targetILNS1_3genE8ELNS1_11target_archE1030ELNS1_3gpuE2ELNS1_3repE0EEENS1_59segmented_radix_sort_warp_sort_small_config_static_selectorELNS0_4arch9wavefront6targetE0EEEvSK_
		.amdhsa_group_segment_fixed_size 0
		.amdhsa_private_segment_fixed_size 0
		.amdhsa_kernarg_size 88
		.amdhsa_user_sgpr_count 2
		.amdhsa_user_sgpr_dispatch_ptr 0
		.amdhsa_user_sgpr_queue_ptr 0
		.amdhsa_user_sgpr_kernarg_segment_ptr 1
		.amdhsa_user_sgpr_dispatch_id 0
		.amdhsa_user_sgpr_kernarg_preload_length 0
		.amdhsa_user_sgpr_kernarg_preload_offset 0
		.amdhsa_user_sgpr_private_segment_size 0
		.amdhsa_wavefront_size32 1
		.amdhsa_uses_dynamic_stack 0
		.amdhsa_enable_private_segment 0
		.amdhsa_system_sgpr_workgroup_id_x 1
		.amdhsa_system_sgpr_workgroup_id_y 0
		.amdhsa_system_sgpr_workgroup_id_z 0
		.amdhsa_system_sgpr_workgroup_info 0
		.amdhsa_system_vgpr_workitem_id 0
		.amdhsa_next_free_vgpr 1
		.amdhsa_next_free_sgpr 1
		.amdhsa_named_barrier_count 0
		.amdhsa_reserve_vcc 0
		.amdhsa_float_round_mode_32 0
		.amdhsa_float_round_mode_16_64 0
		.amdhsa_float_denorm_mode_32 3
		.amdhsa_float_denorm_mode_16_64 3
		.amdhsa_fp16_overflow 0
		.amdhsa_memory_ordered 1
		.amdhsa_forward_progress 1
		.amdhsa_inst_pref_size 0
		.amdhsa_round_robin_scheduling 0
		.amdhsa_exception_fp_ieee_invalid_op 0
		.amdhsa_exception_fp_denorm_src 0
		.amdhsa_exception_fp_ieee_div_zero 0
		.amdhsa_exception_fp_ieee_overflow 0
		.amdhsa_exception_fp_ieee_underflow 0
		.amdhsa_exception_fp_ieee_inexact 0
		.amdhsa_exception_int_div_zero 0
	.end_amdhsa_kernel
	.section	.text._ZN7rocprim17ROCPRIM_400000_NS6detail17trampoline_kernelINS0_14default_configENS1_36segmented_radix_sort_config_selectorIalEEZNS1_25segmented_radix_sort_implIS3_Lb0EPKaPaPKlPlN2at6native12_GLOBAL__N_18offset_tEEE10hipError_tPvRmT1_PNSt15iterator_traitsISK_E10value_typeET2_T3_PNSL_ISQ_E10value_typeET4_jRbjT5_SW_jjP12ihipStream_tbEUlT_E1_NS1_11comp_targetILNS1_3genE8ELNS1_11target_archE1030ELNS1_3gpuE2ELNS1_3repE0EEENS1_59segmented_radix_sort_warp_sort_small_config_static_selectorELNS0_4arch9wavefront6targetE0EEEvSK_,"axG",@progbits,_ZN7rocprim17ROCPRIM_400000_NS6detail17trampoline_kernelINS0_14default_configENS1_36segmented_radix_sort_config_selectorIalEEZNS1_25segmented_radix_sort_implIS3_Lb0EPKaPaPKlPlN2at6native12_GLOBAL__N_18offset_tEEE10hipError_tPvRmT1_PNSt15iterator_traitsISK_E10value_typeET2_T3_PNSL_ISQ_E10value_typeET4_jRbjT5_SW_jjP12ihipStream_tbEUlT_E1_NS1_11comp_targetILNS1_3genE8ELNS1_11target_archE1030ELNS1_3gpuE2ELNS1_3repE0EEENS1_59segmented_radix_sort_warp_sort_small_config_static_selectorELNS0_4arch9wavefront6targetE0EEEvSK_,comdat
.Lfunc_end418:
	.size	_ZN7rocprim17ROCPRIM_400000_NS6detail17trampoline_kernelINS0_14default_configENS1_36segmented_radix_sort_config_selectorIalEEZNS1_25segmented_radix_sort_implIS3_Lb0EPKaPaPKlPlN2at6native12_GLOBAL__N_18offset_tEEE10hipError_tPvRmT1_PNSt15iterator_traitsISK_E10value_typeET2_T3_PNSL_ISQ_E10value_typeET4_jRbjT5_SW_jjP12ihipStream_tbEUlT_E1_NS1_11comp_targetILNS1_3genE8ELNS1_11target_archE1030ELNS1_3gpuE2ELNS1_3repE0EEENS1_59segmented_radix_sort_warp_sort_small_config_static_selectorELNS0_4arch9wavefront6targetE0EEEvSK_, .Lfunc_end418-_ZN7rocprim17ROCPRIM_400000_NS6detail17trampoline_kernelINS0_14default_configENS1_36segmented_radix_sort_config_selectorIalEEZNS1_25segmented_radix_sort_implIS3_Lb0EPKaPaPKlPlN2at6native12_GLOBAL__N_18offset_tEEE10hipError_tPvRmT1_PNSt15iterator_traitsISK_E10value_typeET2_T3_PNSL_ISQ_E10value_typeET4_jRbjT5_SW_jjP12ihipStream_tbEUlT_E1_NS1_11comp_targetILNS1_3genE8ELNS1_11target_archE1030ELNS1_3gpuE2ELNS1_3repE0EEENS1_59segmented_radix_sort_warp_sort_small_config_static_selectorELNS0_4arch9wavefront6targetE0EEEvSK_
                                        ; -- End function
	.set _ZN7rocprim17ROCPRIM_400000_NS6detail17trampoline_kernelINS0_14default_configENS1_36segmented_radix_sort_config_selectorIalEEZNS1_25segmented_radix_sort_implIS3_Lb0EPKaPaPKlPlN2at6native12_GLOBAL__N_18offset_tEEE10hipError_tPvRmT1_PNSt15iterator_traitsISK_E10value_typeET2_T3_PNSL_ISQ_E10value_typeET4_jRbjT5_SW_jjP12ihipStream_tbEUlT_E1_NS1_11comp_targetILNS1_3genE8ELNS1_11target_archE1030ELNS1_3gpuE2ELNS1_3repE0EEENS1_59segmented_radix_sort_warp_sort_small_config_static_selectorELNS0_4arch9wavefront6targetE0EEEvSK_.num_vgpr, 0
	.set _ZN7rocprim17ROCPRIM_400000_NS6detail17trampoline_kernelINS0_14default_configENS1_36segmented_radix_sort_config_selectorIalEEZNS1_25segmented_radix_sort_implIS3_Lb0EPKaPaPKlPlN2at6native12_GLOBAL__N_18offset_tEEE10hipError_tPvRmT1_PNSt15iterator_traitsISK_E10value_typeET2_T3_PNSL_ISQ_E10value_typeET4_jRbjT5_SW_jjP12ihipStream_tbEUlT_E1_NS1_11comp_targetILNS1_3genE8ELNS1_11target_archE1030ELNS1_3gpuE2ELNS1_3repE0EEENS1_59segmented_radix_sort_warp_sort_small_config_static_selectorELNS0_4arch9wavefront6targetE0EEEvSK_.num_agpr, 0
	.set _ZN7rocprim17ROCPRIM_400000_NS6detail17trampoline_kernelINS0_14default_configENS1_36segmented_radix_sort_config_selectorIalEEZNS1_25segmented_radix_sort_implIS3_Lb0EPKaPaPKlPlN2at6native12_GLOBAL__N_18offset_tEEE10hipError_tPvRmT1_PNSt15iterator_traitsISK_E10value_typeET2_T3_PNSL_ISQ_E10value_typeET4_jRbjT5_SW_jjP12ihipStream_tbEUlT_E1_NS1_11comp_targetILNS1_3genE8ELNS1_11target_archE1030ELNS1_3gpuE2ELNS1_3repE0EEENS1_59segmented_radix_sort_warp_sort_small_config_static_selectorELNS0_4arch9wavefront6targetE0EEEvSK_.numbered_sgpr, 0
	.set _ZN7rocprim17ROCPRIM_400000_NS6detail17trampoline_kernelINS0_14default_configENS1_36segmented_radix_sort_config_selectorIalEEZNS1_25segmented_radix_sort_implIS3_Lb0EPKaPaPKlPlN2at6native12_GLOBAL__N_18offset_tEEE10hipError_tPvRmT1_PNSt15iterator_traitsISK_E10value_typeET2_T3_PNSL_ISQ_E10value_typeET4_jRbjT5_SW_jjP12ihipStream_tbEUlT_E1_NS1_11comp_targetILNS1_3genE8ELNS1_11target_archE1030ELNS1_3gpuE2ELNS1_3repE0EEENS1_59segmented_radix_sort_warp_sort_small_config_static_selectorELNS0_4arch9wavefront6targetE0EEEvSK_.num_named_barrier, 0
	.set _ZN7rocprim17ROCPRIM_400000_NS6detail17trampoline_kernelINS0_14default_configENS1_36segmented_radix_sort_config_selectorIalEEZNS1_25segmented_radix_sort_implIS3_Lb0EPKaPaPKlPlN2at6native12_GLOBAL__N_18offset_tEEE10hipError_tPvRmT1_PNSt15iterator_traitsISK_E10value_typeET2_T3_PNSL_ISQ_E10value_typeET4_jRbjT5_SW_jjP12ihipStream_tbEUlT_E1_NS1_11comp_targetILNS1_3genE8ELNS1_11target_archE1030ELNS1_3gpuE2ELNS1_3repE0EEENS1_59segmented_radix_sort_warp_sort_small_config_static_selectorELNS0_4arch9wavefront6targetE0EEEvSK_.private_seg_size, 0
	.set _ZN7rocprim17ROCPRIM_400000_NS6detail17trampoline_kernelINS0_14default_configENS1_36segmented_radix_sort_config_selectorIalEEZNS1_25segmented_radix_sort_implIS3_Lb0EPKaPaPKlPlN2at6native12_GLOBAL__N_18offset_tEEE10hipError_tPvRmT1_PNSt15iterator_traitsISK_E10value_typeET2_T3_PNSL_ISQ_E10value_typeET4_jRbjT5_SW_jjP12ihipStream_tbEUlT_E1_NS1_11comp_targetILNS1_3genE8ELNS1_11target_archE1030ELNS1_3gpuE2ELNS1_3repE0EEENS1_59segmented_radix_sort_warp_sort_small_config_static_selectorELNS0_4arch9wavefront6targetE0EEEvSK_.uses_vcc, 0
	.set _ZN7rocprim17ROCPRIM_400000_NS6detail17trampoline_kernelINS0_14default_configENS1_36segmented_radix_sort_config_selectorIalEEZNS1_25segmented_radix_sort_implIS3_Lb0EPKaPaPKlPlN2at6native12_GLOBAL__N_18offset_tEEE10hipError_tPvRmT1_PNSt15iterator_traitsISK_E10value_typeET2_T3_PNSL_ISQ_E10value_typeET4_jRbjT5_SW_jjP12ihipStream_tbEUlT_E1_NS1_11comp_targetILNS1_3genE8ELNS1_11target_archE1030ELNS1_3gpuE2ELNS1_3repE0EEENS1_59segmented_radix_sort_warp_sort_small_config_static_selectorELNS0_4arch9wavefront6targetE0EEEvSK_.uses_flat_scratch, 0
	.set _ZN7rocprim17ROCPRIM_400000_NS6detail17trampoline_kernelINS0_14default_configENS1_36segmented_radix_sort_config_selectorIalEEZNS1_25segmented_radix_sort_implIS3_Lb0EPKaPaPKlPlN2at6native12_GLOBAL__N_18offset_tEEE10hipError_tPvRmT1_PNSt15iterator_traitsISK_E10value_typeET2_T3_PNSL_ISQ_E10value_typeET4_jRbjT5_SW_jjP12ihipStream_tbEUlT_E1_NS1_11comp_targetILNS1_3genE8ELNS1_11target_archE1030ELNS1_3gpuE2ELNS1_3repE0EEENS1_59segmented_radix_sort_warp_sort_small_config_static_selectorELNS0_4arch9wavefront6targetE0EEEvSK_.has_dyn_sized_stack, 0
	.set _ZN7rocprim17ROCPRIM_400000_NS6detail17trampoline_kernelINS0_14default_configENS1_36segmented_radix_sort_config_selectorIalEEZNS1_25segmented_radix_sort_implIS3_Lb0EPKaPaPKlPlN2at6native12_GLOBAL__N_18offset_tEEE10hipError_tPvRmT1_PNSt15iterator_traitsISK_E10value_typeET2_T3_PNSL_ISQ_E10value_typeET4_jRbjT5_SW_jjP12ihipStream_tbEUlT_E1_NS1_11comp_targetILNS1_3genE8ELNS1_11target_archE1030ELNS1_3gpuE2ELNS1_3repE0EEENS1_59segmented_radix_sort_warp_sort_small_config_static_selectorELNS0_4arch9wavefront6targetE0EEEvSK_.has_recursion, 0
	.set _ZN7rocprim17ROCPRIM_400000_NS6detail17trampoline_kernelINS0_14default_configENS1_36segmented_radix_sort_config_selectorIalEEZNS1_25segmented_radix_sort_implIS3_Lb0EPKaPaPKlPlN2at6native12_GLOBAL__N_18offset_tEEE10hipError_tPvRmT1_PNSt15iterator_traitsISK_E10value_typeET2_T3_PNSL_ISQ_E10value_typeET4_jRbjT5_SW_jjP12ihipStream_tbEUlT_E1_NS1_11comp_targetILNS1_3genE8ELNS1_11target_archE1030ELNS1_3gpuE2ELNS1_3repE0EEENS1_59segmented_radix_sort_warp_sort_small_config_static_selectorELNS0_4arch9wavefront6targetE0EEEvSK_.has_indirect_call, 0
	.section	.AMDGPU.csdata,"",@progbits
; Kernel info:
; codeLenInByte = 0
; TotalNumSgprs: 0
; NumVgprs: 0
; ScratchSize: 0
; MemoryBound: 0
; FloatMode: 240
; IeeeMode: 1
; LDSByteSize: 0 bytes/workgroup (compile time only)
; SGPRBlocks: 0
; VGPRBlocks: 0
; NumSGPRsForWavesPerEU: 1
; NumVGPRsForWavesPerEU: 1
; NamedBarCnt: 0
; Occupancy: 16
; WaveLimiterHint : 0
; COMPUTE_PGM_RSRC2:SCRATCH_EN: 0
; COMPUTE_PGM_RSRC2:USER_SGPR: 2
; COMPUTE_PGM_RSRC2:TRAP_HANDLER: 0
; COMPUTE_PGM_RSRC2:TGID_X_EN: 1
; COMPUTE_PGM_RSRC2:TGID_Y_EN: 0
; COMPUTE_PGM_RSRC2:TGID_Z_EN: 0
; COMPUTE_PGM_RSRC2:TIDIG_COMP_CNT: 0
	.section	.text._ZN7rocprim17ROCPRIM_400000_NS6detail17trampoline_kernelINS0_14default_configENS1_36segmented_radix_sort_config_selectorIalEEZNS1_25segmented_radix_sort_implIS3_Lb0EPKaPaPKlPlN2at6native12_GLOBAL__N_18offset_tEEE10hipError_tPvRmT1_PNSt15iterator_traitsISK_E10value_typeET2_T3_PNSL_ISQ_E10value_typeET4_jRbjT5_SW_jjP12ihipStream_tbEUlT_E2_NS1_11comp_targetILNS1_3genE0ELNS1_11target_archE4294967295ELNS1_3gpuE0ELNS1_3repE0EEENS1_30default_config_static_selectorELNS0_4arch9wavefront6targetE0EEEvSK_,"axG",@progbits,_ZN7rocprim17ROCPRIM_400000_NS6detail17trampoline_kernelINS0_14default_configENS1_36segmented_radix_sort_config_selectorIalEEZNS1_25segmented_radix_sort_implIS3_Lb0EPKaPaPKlPlN2at6native12_GLOBAL__N_18offset_tEEE10hipError_tPvRmT1_PNSt15iterator_traitsISK_E10value_typeET2_T3_PNSL_ISQ_E10value_typeET4_jRbjT5_SW_jjP12ihipStream_tbEUlT_E2_NS1_11comp_targetILNS1_3genE0ELNS1_11target_archE4294967295ELNS1_3gpuE0ELNS1_3repE0EEENS1_30default_config_static_selectorELNS0_4arch9wavefront6targetE0EEEvSK_,comdat
	.globl	_ZN7rocprim17ROCPRIM_400000_NS6detail17trampoline_kernelINS0_14default_configENS1_36segmented_radix_sort_config_selectorIalEEZNS1_25segmented_radix_sort_implIS3_Lb0EPKaPaPKlPlN2at6native12_GLOBAL__N_18offset_tEEE10hipError_tPvRmT1_PNSt15iterator_traitsISK_E10value_typeET2_T3_PNSL_ISQ_E10value_typeET4_jRbjT5_SW_jjP12ihipStream_tbEUlT_E2_NS1_11comp_targetILNS1_3genE0ELNS1_11target_archE4294967295ELNS1_3gpuE0ELNS1_3repE0EEENS1_30default_config_static_selectorELNS0_4arch9wavefront6targetE0EEEvSK_ ; -- Begin function _ZN7rocprim17ROCPRIM_400000_NS6detail17trampoline_kernelINS0_14default_configENS1_36segmented_radix_sort_config_selectorIalEEZNS1_25segmented_radix_sort_implIS3_Lb0EPKaPaPKlPlN2at6native12_GLOBAL__N_18offset_tEEE10hipError_tPvRmT1_PNSt15iterator_traitsISK_E10value_typeET2_T3_PNSL_ISQ_E10value_typeET4_jRbjT5_SW_jjP12ihipStream_tbEUlT_E2_NS1_11comp_targetILNS1_3genE0ELNS1_11target_archE4294967295ELNS1_3gpuE0ELNS1_3repE0EEENS1_30default_config_static_selectorELNS0_4arch9wavefront6targetE0EEEvSK_
	.p2align	8
	.type	_ZN7rocprim17ROCPRIM_400000_NS6detail17trampoline_kernelINS0_14default_configENS1_36segmented_radix_sort_config_selectorIalEEZNS1_25segmented_radix_sort_implIS3_Lb0EPKaPaPKlPlN2at6native12_GLOBAL__N_18offset_tEEE10hipError_tPvRmT1_PNSt15iterator_traitsISK_E10value_typeET2_T3_PNSL_ISQ_E10value_typeET4_jRbjT5_SW_jjP12ihipStream_tbEUlT_E2_NS1_11comp_targetILNS1_3genE0ELNS1_11target_archE4294967295ELNS1_3gpuE0ELNS1_3repE0EEENS1_30default_config_static_selectorELNS0_4arch9wavefront6targetE0EEEvSK_,@function
_ZN7rocprim17ROCPRIM_400000_NS6detail17trampoline_kernelINS0_14default_configENS1_36segmented_radix_sort_config_selectorIalEEZNS1_25segmented_radix_sort_implIS3_Lb0EPKaPaPKlPlN2at6native12_GLOBAL__N_18offset_tEEE10hipError_tPvRmT1_PNSt15iterator_traitsISK_E10value_typeET2_T3_PNSL_ISQ_E10value_typeET4_jRbjT5_SW_jjP12ihipStream_tbEUlT_E2_NS1_11comp_targetILNS1_3genE0ELNS1_11target_archE4294967295ELNS1_3gpuE0ELNS1_3repE0EEENS1_30default_config_static_selectorELNS0_4arch9wavefront6targetE0EEEvSK_: ; @_ZN7rocprim17ROCPRIM_400000_NS6detail17trampoline_kernelINS0_14default_configENS1_36segmented_radix_sort_config_selectorIalEEZNS1_25segmented_radix_sort_implIS3_Lb0EPKaPaPKlPlN2at6native12_GLOBAL__N_18offset_tEEE10hipError_tPvRmT1_PNSt15iterator_traitsISK_E10value_typeET2_T3_PNSL_ISQ_E10value_typeET4_jRbjT5_SW_jjP12ihipStream_tbEUlT_E2_NS1_11comp_targetILNS1_3genE0ELNS1_11target_archE4294967295ELNS1_3gpuE0ELNS1_3repE0EEENS1_30default_config_static_selectorELNS0_4arch9wavefront6targetE0EEEvSK_
; %bb.0:
	s_load_b128 s[4:7], s[2:3], 0x34
	s_bfe_u32 s8, ttmp6, 0x4000c
	s_and_b32 s9, ttmp6, 15
	s_add_co_i32 s8, s8, 1
	s_getreg_b32 s27, hwreg(HW_REG_IB_STS2, 6, 4)
	s_mul_i32 s8, ttmp9, s8
	s_mov_b32 s32, 0
	s_add_co_i32 s9, s9, s8
	s_cmp_eq_u32 s27, 0
	s_cselect_b32 s51, ttmp9, s9
	s_wait_kmcnt 0x0
	s_add_co_i32 s54, s7, s51
	s_add_co_i32 s55, s5, s51
	s_mul_i32 s54, s54, s6
	s_mul_i32 s55, s55, s4
	s_delay_alu instid0(SALU_CYCLE_1)
	s_cmp_le_u32 s54, s55
	s_cbranch_scc1 .LBB419_1262
; %bb.1:
	s_clause 0x3
	s_load_b32 s4, s[2:3], 0x30
	s_load_b128 s[44:47], s[2:3], 0x20
	s_load_b96 s[48:50], s[2:3], 0x44
	s_load_b256 s[36:43], s[2:3], 0x0
	s_wait_kmcnt 0x0
	s_bitcmp1_b32 s4, 0
	s_mov_b32 s4, -1
	s_cselect_b32 s56, -1, 0
	s_sub_co_i32 s57, s54, s55
	s_delay_alu instid0(SALU_CYCLE_1)
	s_cmp_lt_u32 s57, 0x1101
	s_cbranch_scc0 .LBB419_15
; %bb.2:
	s_cmp_lt_u32 s57, 0x81
	s_cbranch_scc0 .LBB419_9
; %bb.3:
	s_load_b32 s4, s[2:3], 0x5c
	v_bfe_u32 v1, v0, 10, 10
	v_bfe_u32 v2, v0, 20, 10
	s_mov_b32 s15, exec_lo
	s_wait_kmcnt 0x0
	s_lshr_b32 s5, s4, 16
	s_and_b32 s4, s4, 0xffff
	v_mad_u32_u24 v1, v2, s5, v1
	v_and_b32_e32 v2, 0x3ff, v0
	s_delay_alu instid0(VALU_DEP_1) | instskip(NEXT) | instid1(VALU_DEP_1)
	v_mad_u32 v1, v1, s4, v2
	v_cmpx_gt_u32_e32 32, v1
	s_cbranch_execz .LBB419_8
; %bb.4:
	v_cndmask_b32_e64 v1, 0, 1, s56
	s_and_b32 s4, s48, 1
	s_get_pc_i64 s[16:17]
	s_add_nc_u64 s[16:17], s[16:17], _ZN7rocprim17ROCPRIM_400000_NS6detail26segmented_warp_sort_helperINS1_20WarpSortHelperConfigILj32ELj4ELj256EEEalLi256ELb0EvE4sortIPKaPaPKlPlEEvT_T0_T1_T2_jjjjRNS5_12storage_typeE@rel64+4
	s_delay_alu instid0(VALU_DEP_1)
	v_cmp_ne_u32_e32 vcc_lo, s4, v1
	s_mov_b32 s4, -1
	s_cbranch_vccnz .LBB419_6
; %bb.5:
	s_mov_b64 s[4:5], src_shared_base
	v_dual_mov_b32 v31, v0 :: v_dual_mov_b32 v40, v0
	v_dual_mov_b32 v0, s36 :: v_dual_mov_b32 v1, s37
	;; [unrolled: 1-line block ×8, first 2 shown]
	s_add_nc_u64 s[8:9], s[2:3], 0x50
	s_mov_b64 s[6:7], s[0:1]
	s_mov_b64 s[18:19], s[2:3]
	;; [unrolled: 1-line block ×3, first 2 shown]
	s_swap_pc_i64 s[30:31], s[16:17]
	v_mov_b32_e32 v0, v40
	s_mov_b64 s[0:1], s[20:21]
	s_mov_b64 s[2:3], s[18:19]
	s_mov_b32 s4, 0
.LBB419_6:
	s_delay_alu instid0(SALU_CYCLE_1)
	s_and_not1_b32 vcc_lo, exec_lo, s4
	s_cbranch_vccnz .LBB419_8
; %bb.7:
	s_mov_b64 s[4:5], src_shared_base
	v_dual_mov_b32 v31, v0 :: v_dual_mov_b32 v40, v0
	v_dual_mov_b32 v0, s36 :: v_dual_mov_b32 v1, s37
	;; [unrolled: 1-line block ×8, first 2 shown]
	s_add_nc_u64 s[8:9], s[2:3], 0x50
	s_mov_b64 s[6:7], s[0:1]
	s_mov_b64 s[18:19], s[2:3]
	;; [unrolled: 1-line block ×3, first 2 shown]
	s_swap_pc_i64 s[30:31], s[16:17]
	v_mov_b32_e32 v0, v40
	s_mov_b64 s[0:1], s[20:21]
	s_mov_b64 s[2:3], s[18:19]
.LBB419_8:
	s_or_b32 exec_lo, exec_lo, s15
	s_mov_b32 s4, 0
.LBB419_9:
	s_delay_alu instid0(SALU_CYCLE_1)
	s_and_not1_b32 vcc_lo, exec_lo, s4
	s_cbranch_vccnz .LBB419_14
; %bb.10:
	v_cndmask_b32_e64 v1, 0, 1, s56
	s_and_b32 s4, s48, 1
	s_get_pc_i64 s[28:29]
	s_add_nc_u64 s[28:29], s[28:29], _ZN7rocprim17ROCPRIM_400000_NS6detail40segmented_radix_sort_single_block_helperIalLj256ELj17ELb0EE4sortIPKaPaPKlPlEEbT_T0_T1_T2_jjjjRNS3_12storage_typeE@rel64+4
	s_delay_alu instid0(VALU_DEP_1)
	v_cmp_ne_u32_e32 vcc_lo, s4, v1
	s_mov_b32 s4, -1
	s_cbranch_vccnz .LBB419_12
; %bb.11:
	s_mov_b64 s[4:5], src_shared_base
	v_dual_mov_b32 v31, v0 :: v_dual_mov_b32 v40, v0
	v_dual_mov_b32 v0, s36 :: v_dual_mov_b32 v1, s37
	v_dual_mov_b32 v2, s40 :: v_dual_mov_b32 v3, s41
	v_dual_mov_b32 v4, s42 :: v_dual_mov_b32 v5, s43
	v_dual_mov_b32 v6, s46 :: v_dual_mov_b32 v7, s47
	v_dual_mov_b32 v8, s55 :: v_dual_mov_b32 v9, s54
	v_dual_mov_b32 v10, s49 :: v_dual_mov_b32 v11, s50
	v_dual_mov_b32 v12, 0 :: v_dual_mov_b32 v13, s5
	s_add_nc_u64 s[8:9], s[2:3], 0x50
	s_mov_b64 s[6:7], s[0:1]
	s_mov_b64 s[34:35], s[2:3]
	;; [unrolled: 1-line block ×3, first 2 shown]
	s_swap_pc_i64 s[30:31], s[28:29]
	v_mov_b32_e32 v0, v40
	s_mov_b64 s[0:1], s[52:53]
	s_mov_b64 s[2:3], s[34:35]
	s_mov_b32 s4, 0
.LBB419_12:
	s_delay_alu instid0(SALU_CYCLE_1)
	s_and_not1_b32 vcc_lo, exec_lo, s4
	s_cbranch_vccnz .LBB419_14
; %bb.13:
	s_mov_b64 s[4:5], src_shared_base
	v_dual_mov_b32 v31, v0 :: v_dual_mov_b32 v40, v0
	v_dual_mov_b32 v0, s36 :: v_dual_mov_b32 v1, s37
	;; [unrolled: 1-line block ×8, first 2 shown]
	s_add_nc_u64 s[8:9], s[2:3], 0x50
	s_mov_b64 s[6:7], s[0:1]
	s_mov_b64 s[34:35], s[2:3]
	s_swap_pc_i64 s[30:31], s[28:29]
	v_mov_b32_e32 v0, v40
	s_mov_b64 s[2:3], s[34:35]
.LBB419_14:
	s_mov_b32 s4, 0
.LBB419_15:
	s_delay_alu instid0(SALU_CYCLE_1)
	s_and_not1_b32 vcc_lo, exec_lo, s4
	s_cbranch_vccnz .LBB419_1262
; %bb.16:
	s_cmp_ge_u32 s49, s50
	s_cbranch_scc1 .LBB419_1262
; %bb.17:
	v_dual_mov_b32 v1, 0 :: v_dual_bitop2_b32 v6, 3, v0 bitop3:0x40
	v_and_b32_e32 v2, 0x3ff, v0
	v_and_b32_e32 v8, 0xe0, v0
	s_bfe_u32 s6, ttmp6, 0x40010
	s_delay_alu instid0(VALU_DEP_3)
	v_mov_b32_e32 v3, v1
	v_bfe_u32 v89, v0, 20, 10
	v_lshlrev_b32_e32 v66, 2, v2
	v_min_u32_e32 v7, 0x60, v8
	v_dual_lshrrev_b32 v9, 3, v0 :: v_dual_lshlrev_b32 v84, 2, v6
	v_mul_u32_u24_e32 v6, 17, v8
	s_delay_alu instid0(VALU_DEP_4) | instskip(NEXT) | instid1(VALU_DEP_4)
	v_mad_u32_u24 v85, v2, 12, v66
	v_or_b32_e32 v7, 31, v7
	s_delay_alu instid0(VALU_DEP_4) | instskip(SKIP_1) | instid1(VALU_DEP_4)
	v_and_b32_e32 v83, 28, v9
	v_dual_lshlrev_b32 v9, 4, v2 :: v_dual_bitop2_b32 v8, 31, v8 bitop3:0x54
	v_add_nc_u32_e32 v90, v85, v66
	s_delay_alu instid0(VALU_DEP_4) | instskip(NEXT) | instid1(VALU_DEP_4)
	v_cmp_eq_u32_e64 s1, v2, v7
	v_dual_mov_b32 v7, v1 :: v_dual_add_nc_u32 v88, 0x89fc, v83
	s_add_nc_u64 s[52:53], s[2:3], 0x50
	v_bfe_u32 v91, v0, 10, 10
	v_cmp_eq_u32_e64 s2, v2, v8
	v_dual_add_nc_u32 v8, 1, v2 :: v_dual_sub_nc_u32 v92, v90, v9
	v_lshlrev_b32_e32 v0, 3, v6
	s_add_co_i32 s6, s6, 1
	s_bfe_u32 s7, ttmp6, 0x40004
	s_mul_i32 s6, ttmp7, s6
	v_add_nc_u64_e32 v[4:5], s[40:41], v[2:3]
	s_add_co_i32 s8, s7, s6
	v_mul_u32_u24_e32 v93, 36, v8
	v_cmp_ne_u32_e64 s7, 0x80, v8
	v_add_nc_u64_e32 v[8:9], s[46:47], v[0:1]
	v_add_nc_u64_e32 v[10:11], s[40:41], v[6:7]
	;; [unrolled: 1-line block ×8, first 2 shown]
	v_or_b32_e32 v67, 0x100, v2
	v_or_b32_e32 v68, 0x200, v2
	;; [unrolled: 1-line block ×16, first 2 shown]
	v_cmp_gt_u32_e64 s0, 0x80, v2
	v_or_b32_e32 v86, 0x8a00, v83
	v_cmp_gt_u32_e64 s4, 4, v2
	v_add_nc_u32_e32 v87, 0x8a00, v66
	v_cmp_lt_u32_e64 s5, 31, v2
	v_cmp_gt_u32_e64 s3, 8, v2
	v_cmp_eq_u32_e64 s6, 0, v2
	v_dual_mov_b32 v7, 1 :: v_dual_lshlrev_b32 v94, 5, v2
	v_mul_u32_u24_e32 v95, 7, v2
	v_mbcnt_lo_u32_b32 v0, -1, 0
	s_cmp_eq_u32 s27, 0
	s_mov_b32 s35, 0
	s_cselect_b32 s42, ttmp7, s8
	s_movk_i32 s43, 0xff
	s_mov_b32 s48, s49
	s_branch .LBB419_20
.LBB419_18:                             ;   in Loop: Header=BB419_20 Depth=1
	s_wait_dscnt 0x0
	s_barrier_signal -1
	s_barrier_wait -1
.LBB419_19:                             ;   in Loop: Header=BB419_20 Depth=1
	s_add_co_i32 s48, s48, 7
	s_delay_alu instid0(SALU_CYCLE_1)
	s_cmp_ge_u32 s48, s50
	s_cbranch_scc1 .LBB419_1262
.LBB419_20:                             ; =>This Loop Header: Depth=1
                                        ;     Child Loop BB419_24 Depth 2
                                        ;     Child Loop BB419_108 Depth 2
	;; [unrolled: 1-line block ×8, first 2 shown]
	s_sub_co_i32 s8, s50, s48
	s_xor_b32 s56, s56, -1
	s_min_u32 s8, s8, 7
	ds_store_2addr_stride64_b32 v66, v1, v1 offset1:4
	s_lshl_b32 s8, -1, s8
	s_wait_storecnt_dscnt 0x0
	s_not_b32 s58, s8
	s_cmp_lg_u32 s48, s49
	s_mov_b32 s8, -1
	s_cbranch_scc0 .LBB419_642
; %bb.21:                               ;   in Loop: Header=BB419_20 Depth=1
	s_and_b32 vcc_lo, exec_lo, s56
	s_cbranch_vccz .LBB419_331
; %bb.22:                               ;   in Loop: Header=BB419_20 Depth=1
	v_dual_mov_b32 v39, 0 :: v_dual_mov_b32 v42, 0
	v_dual_mov_b32 v41, 0 :: v_dual_mov_b32 v40, 0
	v_dual_mov_b32 v38, 0 :: v_dual_mov_b32 v37, 0
	v_dual_mov_b32 v36, 0 :: v_dual_mov_b32 v35, 0
	v_dual_mov_b32 v34, 0 :: v_dual_mov_b32 v33, 0
	v_dual_mov_b32 v32, 0 :: v_dual_mov_b32 v31, 0
	v_dual_mov_b32 v30, 0 :: v_dual_mov_b32 v29, 0
	v_dual_mov_b32 v28, 0 :: v_dual_mov_b32 v27, 0
	v_mov_b32_e32 v26, 0
	s_mov_b32 s8, s57
	s_mov_b32 s34, s55
	s_barrier_signal -1
	s_barrier_wait -1
	s_branch .LBB419_24
.LBB419_23:                             ;   in Loop: Header=BB419_24 Depth=2
	s_or_b32 exec_lo, exec_lo, s10
	s_addk_co_i32 s8, 0xef00
	s_cmp_ge_u32 s9, s54
	s_mov_b32 s34, s9
	s_cbranch_scc1 .LBB419_96
.LBB419_24:                             ;   Parent Loop BB419_20 Depth=1
                                        ; =>  This Inner Loop Header: Depth=2
	s_add_co_i32 s9, s34, 0x1100
	s_mov_b32 s10, -1
	s_cmp_gt_u32 s9, s54
                                        ; implicit-def: $vgpr24
                                        ; implicit-def: $vgpr25
                                        ; implicit-def: $vgpr43
                                        ; implicit-def: $vgpr44
                                        ; implicit-def: $vgpr45
                                        ; implicit-def: $vgpr46
                                        ; implicit-def: $vgpr47
                                        ; implicit-def: $vgpr48
                                        ; implicit-def: $vgpr49
                                        ; implicit-def: $vgpr50
                                        ; implicit-def: $vgpr51
                                        ; implicit-def: $vgpr52
                                        ; implicit-def: $vgpr53
                                        ; implicit-def: $vgpr54
                                        ; implicit-def: $vgpr55
                                        ; implicit-def: $vgpr56
                                        ; implicit-def: $vgpr57
	s_cbranch_scc1 .LBB419_26
; %bb.25:                               ;   in Loop: Header=BB419_24 Depth=2
	v_add_nc_u64_e32 v[58:59], s[34:35], v[4:5]
	s_mov_b32 s10, 0
	s_clause 0x10
	global_load_u8 v57, v[58:59], off offset:4096
	global_load_u8 v56, v[58:59], off offset:3840
	;; [unrolled: 1-line block ×16, first 2 shown]
	global_load_u8 v24, v[58:59], off
.LBB419_26:                             ;   in Loop: Header=BB419_24 Depth=2
	s_and_not1_b32 vcc_lo, exec_lo, s10
	s_movk_i32 s10, 0x1100
	s_cbranch_vccnz .LBB419_46
; %bb.27:                               ;   in Loop: Header=BB419_24 Depth=2
	s_add_nc_u64 s[10:11], s[40:41], s[34:35]
	s_wait_loadcnt 0x0
	v_add_nc_u64_e32 v[24:25], s[10:11], v[2:3]
	s_mov_b32 s10, exec_lo
	s_wait_xcnt 0x0
	v_cmpx_gt_u32_e64 s8, v2
	s_cbranch_execnz .LBB419_80
; %bb.28:                               ;   in Loop: Header=BB419_24 Depth=2
	s_or_b32 exec_lo, exec_lo, s10
	s_delay_alu instid0(SALU_CYCLE_1)
	s_mov_b32 s10, exec_lo
	v_cmpx_gt_u32_e64 s8, v67
	s_cbranch_execnz .LBB419_81
.LBB419_29:                             ;   in Loop: Header=BB419_24 Depth=2
	s_or_b32 exec_lo, exec_lo, s10
	s_delay_alu instid0(SALU_CYCLE_1)
	s_mov_b32 s10, exec_lo
	v_cmpx_gt_u32_e64 s8, v68
	s_cbranch_execnz .LBB419_82
.LBB419_30:                             ;   in Loop: Header=BB419_24 Depth=2
	s_or_b32 exec_lo, exec_lo, s10
	s_delay_alu instid0(SALU_CYCLE_1)
	s_mov_b32 s10, exec_lo
	v_cmpx_gt_u32_e64 s8, v69
	s_cbranch_execnz .LBB419_83
.LBB419_31:                             ;   in Loop: Header=BB419_24 Depth=2
	s_or_b32 exec_lo, exec_lo, s10
	s_delay_alu instid0(SALU_CYCLE_1)
	s_mov_b32 s10, exec_lo
	v_cmpx_gt_u32_e64 s8, v70
	s_cbranch_execnz .LBB419_84
.LBB419_32:                             ;   in Loop: Header=BB419_24 Depth=2
	s_or_b32 exec_lo, exec_lo, s10
	s_delay_alu instid0(SALU_CYCLE_1)
	s_mov_b32 s10, exec_lo
	v_cmpx_gt_u32_e64 s8, v71
	s_cbranch_execnz .LBB419_85
.LBB419_33:                             ;   in Loop: Header=BB419_24 Depth=2
	s_or_b32 exec_lo, exec_lo, s10
	s_delay_alu instid0(SALU_CYCLE_1)
	s_mov_b32 s10, exec_lo
	v_cmpx_gt_u32_e64 s8, v72
	s_cbranch_execnz .LBB419_86
.LBB419_34:                             ;   in Loop: Header=BB419_24 Depth=2
	s_or_b32 exec_lo, exec_lo, s10
	s_delay_alu instid0(SALU_CYCLE_1)
	s_mov_b32 s10, exec_lo
	v_cmpx_gt_u32_e64 s8, v73
	s_cbranch_execnz .LBB419_87
.LBB419_35:                             ;   in Loop: Header=BB419_24 Depth=2
	s_or_b32 exec_lo, exec_lo, s10
	s_delay_alu instid0(SALU_CYCLE_1)
	s_mov_b32 s10, exec_lo
	v_cmpx_gt_u32_e64 s8, v74
	s_cbranch_execnz .LBB419_88
.LBB419_36:                             ;   in Loop: Header=BB419_24 Depth=2
	s_or_b32 exec_lo, exec_lo, s10
	s_delay_alu instid0(SALU_CYCLE_1)
	s_mov_b32 s10, exec_lo
	v_cmpx_gt_u32_e64 s8, v75
	s_cbranch_execnz .LBB419_89
.LBB419_37:                             ;   in Loop: Header=BB419_24 Depth=2
	s_or_b32 exec_lo, exec_lo, s10
	s_delay_alu instid0(SALU_CYCLE_1)
	s_mov_b32 s10, exec_lo
	v_cmpx_gt_u32_e64 s8, v76
	s_cbranch_execnz .LBB419_90
.LBB419_38:                             ;   in Loop: Header=BB419_24 Depth=2
	s_or_b32 exec_lo, exec_lo, s10
	s_delay_alu instid0(SALU_CYCLE_1)
	s_mov_b32 s10, exec_lo
	v_cmpx_gt_u32_e64 s8, v77
	s_cbranch_execnz .LBB419_91
.LBB419_39:                             ;   in Loop: Header=BB419_24 Depth=2
	s_or_b32 exec_lo, exec_lo, s10
	s_delay_alu instid0(SALU_CYCLE_1)
	s_mov_b32 s10, exec_lo
	v_cmpx_gt_u32_e64 s8, v78
	s_cbranch_execnz .LBB419_92
.LBB419_40:                             ;   in Loop: Header=BB419_24 Depth=2
	s_or_b32 exec_lo, exec_lo, s10
	s_delay_alu instid0(SALU_CYCLE_1)
	s_mov_b32 s10, exec_lo
	v_cmpx_gt_u32_e64 s8, v79
	s_cbranch_execnz .LBB419_93
.LBB419_41:                             ;   in Loop: Header=BB419_24 Depth=2
	s_or_b32 exec_lo, exec_lo, s10
	s_delay_alu instid0(SALU_CYCLE_1)
	s_mov_b32 s10, exec_lo
	v_cmpx_gt_u32_e64 s8, v80
	s_cbranch_execnz .LBB419_94
.LBB419_42:                             ;   in Loop: Header=BB419_24 Depth=2
	s_or_b32 exec_lo, exec_lo, s10
	s_delay_alu instid0(SALU_CYCLE_1)
	s_mov_b32 s10, exec_lo
	v_cmpx_gt_u32_e64 s8, v81
	s_cbranch_execnz .LBB419_95
.LBB419_43:                             ;   in Loop: Header=BB419_24 Depth=2
	s_or_b32 exec_lo, exec_lo, s10
	s_delay_alu instid0(SALU_CYCLE_1)
	s_mov_b32 s10, exec_lo
	v_cmpx_gt_u32_e64 s8, v82
	s_cbranch_execz .LBB419_45
.LBB419_44:                             ;   in Loop: Header=BB419_24 Depth=2
	global_load_u8 v26, v[24:25], off offset:4096
.LBB419_45:                             ;   in Loop: Header=BB419_24 Depth=2
	s_wait_xcnt 0x0
	s_or_b32 exec_lo, exec_lo, s10
	s_wait_loadcnt 0x0
	v_dual_mov_b32 v24, v39 :: v_dual_mov_b32 v25, v42
	v_dual_mov_b32 v43, v41 :: v_dual_mov_b32 v44, v40
	;; [unrolled: 1-line block ×8, first 2 shown]
	v_mov_b32_e32 v57, v26
	s_mov_b32 s10, s8
.LBB419_46:                             ;   in Loop: Header=BB419_24 Depth=2
	s_wait_loadcnt 0xf
	s_delay_alu instid0(VALU_DEP_1)
	v_dual_mov_b32 v26, v57 :: v_dual_mov_b32 v27, v56
	s_wait_loadcnt 0xd
	v_dual_mov_b32 v28, v55 :: v_dual_mov_b32 v29, v54
	s_wait_loadcnt 0xb
	;; [unrolled: 2-line block ×8, first 2 shown]
	v_mov_b32_e32 v39, v24
	s_mov_b32 s11, exec_lo
	s_wait_xcnt 0x0
	v_cmpx_gt_u32_e64 s10, v2
	s_cbranch_execnz .LBB419_63
; %bb.47:                               ;   in Loop: Header=BB419_24 Depth=2
	s_or_b32 exec_lo, exec_lo, s11
	s_delay_alu instid0(SALU_CYCLE_1)
	s_mov_b32 s11, exec_lo
	v_cmpx_gt_u32_e64 s10, v67
	s_cbranch_execnz .LBB419_64
.LBB419_48:                             ;   in Loop: Header=BB419_24 Depth=2
	s_or_b32 exec_lo, exec_lo, s11
	s_delay_alu instid0(SALU_CYCLE_1)
	s_mov_b32 s11, exec_lo
	v_cmpx_gt_u32_e64 s10, v68
	s_cbranch_execnz .LBB419_65
.LBB419_49:                             ;   in Loop: Header=BB419_24 Depth=2
	s_or_b32 exec_lo, exec_lo, s11
	s_delay_alu instid0(SALU_CYCLE_1)
	s_mov_b32 s11, exec_lo
	v_cmpx_gt_u32_e64 s10, v69
	s_cbranch_execnz .LBB419_66
.LBB419_50:                             ;   in Loop: Header=BB419_24 Depth=2
	s_or_b32 exec_lo, exec_lo, s11
	s_delay_alu instid0(SALU_CYCLE_1)
	s_mov_b32 s11, exec_lo
	v_cmpx_gt_u32_e64 s10, v70
	s_cbranch_execnz .LBB419_67
.LBB419_51:                             ;   in Loop: Header=BB419_24 Depth=2
	s_or_b32 exec_lo, exec_lo, s11
	s_delay_alu instid0(SALU_CYCLE_1)
	s_mov_b32 s11, exec_lo
	v_cmpx_gt_u32_e64 s10, v71
	s_cbranch_execnz .LBB419_68
.LBB419_52:                             ;   in Loop: Header=BB419_24 Depth=2
	s_or_b32 exec_lo, exec_lo, s11
	s_delay_alu instid0(SALU_CYCLE_1)
	s_mov_b32 s11, exec_lo
	v_cmpx_gt_u32_e64 s10, v72
	s_cbranch_execnz .LBB419_69
.LBB419_53:                             ;   in Loop: Header=BB419_24 Depth=2
	s_or_b32 exec_lo, exec_lo, s11
	s_delay_alu instid0(SALU_CYCLE_1)
	s_mov_b32 s11, exec_lo
	v_cmpx_gt_u32_e64 s10, v73
	s_cbranch_execnz .LBB419_70
.LBB419_54:                             ;   in Loop: Header=BB419_24 Depth=2
	s_or_b32 exec_lo, exec_lo, s11
	s_delay_alu instid0(SALU_CYCLE_1)
	s_mov_b32 s11, exec_lo
	v_cmpx_gt_u32_e64 s10, v74
	s_cbranch_execnz .LBB419_71
.LBB419_55:                             ;   in Loop: Header=BB419_24 Depth=2
	s_or_b32 exec_lo, exec_lo, s11
	s_delay_alu instid0(SALU_CYCLE_1)
	s_mov_b32 s11, exec_lo
	v_cmpx_gt_u32_e64 s10, v75
	s_cbranch_execnz .LBB419_72
.LBB419_56:                             ;   in Loop: Header=BB419_24 Depth=2
	s_or_b32 exec_lo, exec_lo, s11
	s_delay_alu instid0(SALU_CYCLE_1)
	s_mov_b32 s11, exec_lo
	v_cmpx_gt_u32_e64 s10, v76
	s_cbranch_execnz .LBB419_73
.LBB419_57:                             ;   in Loop: Header=BB419_24 Depth=2
	s_or_b32 exec_lo, exec_lo, s11
	s_delay_alu instid0(SALU_CYCLE_1)
	s_mov_b32 s11, exec_lo
	v_cmpx_gt_u32_e64 s10, v77
	s_cbranch_execnz .LBB419_74
.LBB419_58:                             ;   in Loop: Header=BB419_24 Depth=2
	s_or_b32 exec_lo, exec_lo, s11
	s_delay_alu instid0(SALU_CYCLE_1)
	s_mov_b32 s11, exec_lo
	v_cmpx_gt_u32_e64 s10, v78
	s_cbranch_execnz .LBB419_75
.LBB419_59:                             ;   in Loop: Header=BB419_24 Depth=2
	s_or_b32 exec_lo, exec_lo, s11
	s_delay_alu instid0(SALU_CYCLE_1)
	s_mov_b32 s11, exec_lo
	v_cmpx_gt_u32_e64 s10, v79
	s_cbranch_execnz .LBB419_76
.LBB419_60:                             ;   in Loop: Header=BB419_24 Depth=2
	s_or_b32 exec_lo, exec_lo, s11
	s_delay_alu instid0(SALU_CYCLE_1)
	s_mov_b32 s11, exec_lo
	v_cmpx_gt_u32_e64 s10, v80
	s_cbranch_execnz .LBB419_77
.LBB419_61:                             ;   in Loop: Header=BB419_24 Depth=2
	s_or_b32 exec_lo, exec_lo, s11
	s_delay_alu instid0(SALU_CYCLE_1)
	s_mov_b32 s11, exec_lo
	v_cmpx_gt_u32_e64 s10, v81
	s_cbranch_execnz .LBB419_78
.LBB419_62:                             ;   in Loop: Header=BB419_24 Depth=2
	s_or_b32 exec_lo, exec_lo, s11
	v_cmp_gt_u32_e32 vcc_lo, s10, v82
	s_and_saveexec_b32 s10, vcc_lo
	s_cbranch_execz .LBB419_23
	s_branch .LBB419_79
.LBB419_63:                             ;   in Loop: Header=BB419_24 Depth=2
	v_xor_b32_e32 v24, 0x80, v39
	s_delay_alu instid0(VALU_DEP_1) | instskip(NEXT) | instid1(VALU_DEP_1)
	v_and_b32_e32 v24, 0xff, v24
	v_lshrrev_b32_e32 v24, s48, v24
	s_delay_alu instid0(VALU_DEP_1) | instskip(NEXT) | instid1(VALU_DEP_1)
	v_and_b32_e32 v24, s58, v24
	v_lshl_or_b32 v24, v24, 4, v84
	ds_add_u32 v24, v7
	s_or_b32 exec_lo, exec_lo, s11
	s_delay_alu instid0(SALU_CYCLE_1)
	s_mov_b32 s11, exec_lo
	v_cmpx_gt_u32_e64 s10, v67
	s_cbranch_execz .LBB419_48
.LBB419_64:                             ;   in Loop: Header=BB419_24 Depth=2
	v_xor_b32_e32 v24, 0x80, v42
	s_delay_alu instid0(VALU_DEP_1) | instskip(NEXT) | instid1(VALU_DEP_1)
	v_and_b32_e32 v24, 0xff, v24
	v_lshrrev_b32_e32 v24, s48, v24
	s_delay_alu instid0(VALU_DEP_1) | instskip(NEXT) | instid1(VALU_DEP_1)
	v_and_b32_e32 v24, s58, v24
	v_lshl_or_b32 v24, v24, 4, v84
	ds_add_u32 v24, v7
	s_or_b32 exec_lo, exec_lo, s11
	s_delay_alu instid0(SALU_CYCLE_1)
	s_mov_b32 s11, exec_lo
	v_cmpx_gt_u32_e64 s10, v68
	s_cbranch_execz .LBB419_49
.LBB419_65:                             ;   in Loop: Header=BB419_24 Depth=2
	v_xor_b32_e32 v24, 0x80, v41
	s_delay_alu instid0(VALU_DEP_1) | instskip(NEXT) | instid1(VALU_DEP_1)
	v_and_b32_e32 v24, 0xff, v24
	v_lshrrev_b32_e32 v24, s48, v24
	s_delay_alu instid0(VALU_DEP_1) | instskip(NEXT) | instid1(VALU_DEP_1)
	v_and_b32_e32 v24, s58, v24
	v_lshl_or_b32 v24, v24, 4, v84
	ds_add_u32 v24, v7
	s_or_b32 exec_lo, exec_lo, s11
	s_delay_alu instid0(SALU_CYCLE_1)
	s_mov_b32 s11, exec_lo
	v_cmpx_gt_u32_e64 s10, v69
	s_cbranch_execz .LBB419_50
.LBB419_66:                             ;   in Loop: Header=BB419_24 Depth=2
	v_xor_b32_e32 v24, 0x80, v40
	s_delay_alu instid0(VALU_DEP_1) | instskip(NEXT) | instid1(VALU_DEP_1)
	v_and_b32_e32 v24, 0xff, v24
	v_lshrrev_b32_e32 v24, s48, v24
	s_delay_alu instid0(VALU_DEP_1) | instskip(NEXT) | instid1(VALU_DEP_1)
	v_and_b32_e32 v24, s58, v24
	v_lshl_or_b32 v24, v24, 4, v84
	ds_add_u32 v24, v7
	s_or_b32 exec_lo, exec_lo, s11
	s_delay_alu instid0(SALU_CYCLE_1)
	s_mov_b32 s11, exec_lo
	v_cmpx_gt_u32_e64 s10, v70
	s_cbranch_execz .LBB419_51
.LBB419_67:                             ;   in Loop: Header=BB419_24 Depth=2
	v_xor_b32_e32 v24, 0x80, v38
	s_delay_alu instid0(VALU_DEP_1) | instskip(NEXT) | instid1(VALU_DEP_1)
	v_and_b32_e32 v24, 0xff, v24
	v_lshrrev_b32_e32 v24, s48, v24
	s_delay_alu instid0(VALU_DEP_1) | instskip(NEXT) | instid1(VALU_DEP_1)
	v_and_b32_e32 v24, s58, v24
	v_lshl_or_b32 v24, v24, 4, v84
	ds_add_u32 v24, v7
	s_or_b32 exec_lo, exec_lo, s11
	s_delay_alu instid0(SALU_CYCLE_1)
	s_mov_b32 s11, exec_lo
	v_cmpx_gt_u32_e64 s10, v71
	s_cbranch_execz .LBB419_52
.LBB419_68:                             ;   in Loop: Header=BB419_24 Depth=2
	v_xor_b32_e32 v24, 0x80, v37
	s_delay_alu instid0(VALU_DEP_1) | instskip(NEXT) | instid1(VALU_DEP_1)
	v_and_b32_e32 v24, 0xff, v24
	v_lshrrev_b32_e32 v24, s48, v24
	s_delay_alu instid0(VALU_DEP_1) | instskip(NEXT) | instid1(VALU_DEP_1)
	v_and_b32_e32 v24, s58, v24
	v_lshl_or_b32 v24, v24, 4, v84
	ds_add_u32 v24, v7
	s_or_b32 exec_lo, exec_lo, s11
	s_delay_alu instid0(SALU_CYCLE_1)
	s_mov_b32 s11, exec_lo
	v_cmpx_gt_u32_e64 s10, v72
	s_cbranch_execz .LBB419_53
.LBB419_69:                             ;   in Loop: Header=BB419_24 Depth=2
	v_xor_b32_e32 v24, 0x80, v36
	s_delay_alu instid0(VALU_DEP_1) | instskip(NEXT) | instid1(VALU_DEP_1)
	v_and_b32_e32 v24, 0xff, v24
	v_lshrrev_b32_e32 v24, s48, v24
	s_delay_alu instid0(VALU_DEP_1) | instskip(NEXT) | instid1(VALU_DEP_1)
	v_and_b32_e32 v24, s58, v24
	v_lshl_or_b32 v24, v24, 4, v84
	ds_add_u32 v24, v7
	s_or_b32 exec_lo, exec_lo, s11
	s_delay_alu instid0(SALU_CYCLE_1)
	s_mov_b32 s11, exec_lo
	v_cmpx_gt_u32_e64 s10, v73
	s_cbranch_execz .LBB419_54
.LBB419_70:                             ;   in Loop: Header=BB419_24 Depth=2
	v_xor_b32_e32 v24, 0x80, v35
	s_delay_alu instid0(VALU_DEP_1) | instskip(NEXT) | instid1(VALU_DEP_1)
	v_and_b32_e32 v24, 0xff, v24
	v_lshrrev_b32_e32 v24, s48, v24
	s_delay_alu instid0(VALU_DEP_1) | instskip(NEXT) | instid1(VALU_DEP_1)
	v_and_b32_e32 v24, s58, v24
	v_lshl_or_b32 v24, v24, 4, v84
	ds_add_u32 v24, v7
	s_or_b32 exec_lo, exec_lo, s11
	s_delay_alu instid0(SALU_CYCLE_1)
	s_mov_b32 s11, exec_lo
	v_cmpx_gt_u32_e64 s10, v74
	s_cbranch_execz .LBB419_55
.LBB419_71:                             ;   in Loop: Header=BB419_24 Depth=2
	v_xor_b32_e32 v24, 0x80, v34
	s_delay_alu instid0(VALU_DEP_1) | instskip(NEXT) | instid1(VALU_DEP_1)
	v_and_b32_e32 v24, 0xff, v24
	v_lshrrev_b32_e32 v24, s48, v24
	s_delay_alu instid0(VALU_DEP_1) | instskip(NEXT) | instid1(VALU_DEP_1)
	v_and_b32_e32 v24, s58, v24
	v_lshl_or_b32 v24, v24, 4, v84
	ds_add_u32 v24, v7
	s_or_b32 exec_lo, exec_lo, s11
	s_delay_alu instid0(SALU_CYCLE_1)
	s_mov_b32 s11, exec_lo
	v_cmpx_gt_u32_e64 s10, v75
	s_cbranch_execz .LBB419_56
.LBB419_72:                             ;   in Loop: Header=BB419_24 Depth=2
	v_xor_b32_e32 v24, 0x80, v33
	s_delay_alu instid0(VALU_DEP_1) | instskip(NEXT) | instid1(VALU_DEP_1)
	v_and_b32_e32 v24, 0xff, v24
	v_lshrrev_b32_e32 v24, s48, v24
	s_delay_alu instid0(VALU_DEP_1) | instskip(NEXT) | instid1(VALU_DEP_1)
	v_and_b32_e32 v24, s58, v24
	v_lshl_or_b32 v24, v24, 4, v84
	ds_add_u32 v24, v7
	s_or_b32 exec_lo, exec_lo, s11
	s_delay_alu instid0(SALU_CYCLE_1)
	s_mov_b32 s11, exec_lo
	v_cmpx_gt_u32_e64 s10, v76
	s_cbranch_execz .LBB419_57
.LBB419_73:                             ;   in Loop: Header=BB419_24 Depth=2
	v_xor_b32_e32 v24, 0x80, v32
	s_delay_alu instid0(VALU_DEP_1) | instskip(NEXT) | instid1(VALU_DEP_1)
	v_and_b32_e32 v24, 0xff, v24
	v_lshrrev_b32_e32 v24, s48, v24
	s_delay_alu instid0(VALU_DEP_1) | instskip(NEXT) | instid1(VALU_DEP_1)
	v_and_b32_e32 v24, s58, v24
	v_lshl_or_b32 v24, v24, 4, v84
	ds_add_u32 v24, v7
	s_or_b32 exec_lo, exec_lo, s11
	s_delay_alu instid0(SALU_CYCLE_1)
	s_mov_b32 s11, exec_lo
	v_cmpx_gt_u32_e64 s10, v77
	s_cbranch_execz .LBB419_58
.LBB419_74:                             ;   in Loop: Header=BB419_24 Depth=2
	v_xor_b32_e32 v24, 0x80, v31
	s_delay_alu instid0(VALU_DEP_1) | instskip(NEXT) | instid1(VALU_DEP_1)
	v_and_b32_e32 v24, 0xff, v24
	v_lshrrev_b32_e32 v24, s48, v24
	s_delay_alu instid0(VALU_DEP_1) | instskip(NEXT) | instid1(VALU_DEP_1)
	v_and_b32_e32 v24, s58, v24
	v_lshl_or_b32 v24, v24, 4, v84
	ds_add_u32 v24, v7
	s_or_b32 exec_lo, exec_lo, s11
	s_delay_alu instid0(SALU_CYCLE_1)
	s_mov_b32 s11, exec_lo
	v_cmpx_gt_u32_e64 s10, v78
	s_cbranch_execz .LBB419_59
.LBB419_75:                             ;   in Loop: Header=BB419_24 Depth=2
	v_xor_b32_e32 v24, 0x80, v30
	s_delay_alu instid0(VALU_DEP_1) | instskip(NEXT) | instid1(VALU_DEP_1)
	v_and_b32_e32 v24, 0xff, v24
	v_lshrrev_b32_e32 v24, s48, v24
	s_delay_alu instid0(VALU_DEP_1) | instskip(NEXT) | instid1(VALU_DEP_1)
	v_and_b32_e32 v24, s58, v24
	v_lshl_or_b32 v24, v24, 4, v84
	ds_add_u32 v24, v7
	s_or_b32 exec_lo, exec_lo, s11
	s_delay_alu instid0(SALU_CYCLE_1)
	s_mov_b32 s11, exec_lo
	v_cmpx_gt_u32_e64 s10, v79
	s_cbranch_execz .LBB419_60
.LBB419_76:                             ;   in Loop: Header=BB419_24 Depth=2
	v_xor_b32_e32 v24, 0x80, v29
	s_delay_alu instid0(VALU_DEP_1) | instskip(NEXT) | instid1(VALU_DEP_1)
	v_and_b32_e32 v24, 0xff, v24
	v_lshrrev_b32_e32 v24, s48, v24
	s_delay_alu instid0(VALU_DEP_1) | instskip(NEXT) | instid1(VALU_DEP_1)
	v_and_b32_e32 v24, s58, v24
	v_lshl_or_b32 v24, v24, 4, v84
	ds_add_u32 v24, v7
	s_or_b32 exec_lo, exec_lo, s11
	s_delay_alu instid0(SALU_CYCLE_1)
	s_mov_b32 s11, exec_lo
	v_cmpx_gt_u32_e64 s10, v80
	s_cbranch_execz .LBB419_61
.LBB419_77:                             ;   in Loop: Header=BB419_24 Depth=2
	v_xor_b32_e32 v24, 0x80, v28
	s_delay_alu instid0(VALU_DEP_1) | instskip(NEXT) | instid1(VALU_DEP_1)
	v_and_b32_e32 v24, 0xff, v24
	v_lshrrev_b32_e32 v24, s48, v24
	s_delay_alu instid0(VALU_DEP_1) | instskip(NEXT) | instid1(VALU_DEP_1)
	v_and_b32_e32 v24, s58, v24
	v_lshl_or_b32 v24, v24, 4, v84
	ds_add_u32 v24, v7
	s_or_b32 exec_lo, exec_lo, s11
	s_delay_alu instid0(SALU_CYCLE_1)
	s_mov_b32 s11, exec_lo
	v_cmpx_gt_u32_e64 s10, v81
	s_cbranch_execz .LBB419_62
.LBB419_78:                             ;   in Loop: Header=BB419_24 Depth=2
	v_xor_b32_e32 v24, 0x80, v27
	s_delay_alu instid0(VALU_DEP_1) | instskip(NEXT) | instid1(VALU_DEP_1)
	v_and_b32_e32 v24, 0xff, v24
	v_lshrrev_b32_e32 v24, s48, v24
	s_delay_alu instid0(VALU_DEP_1) | instskip(NEXT) | instid1(VALU_DEP_1)
	v_and_b32_e32 v24, s58, v24
	v_lshl_or_b32 v24, v24, 4, v84
	ds_add_u32 v24, v7
	s_or_b32 exec_lo, exec_lo, s11
	v_cmp_gt_u32_e32 vcc_lo, s10, v82
	s_and_saveexec_b32 s10, vcc_lo
	s_cbranch_execz .LBB419_23
.LBB419_79:                             ;   in Loop: Header=BB419_24 Depth=2
	v_xor_b32_e32 v24, 0x80, v26
	s_delay_alu instid0(VALU_DEP_1) | instskip(NEXT) | instid1(VALU_DEP_1)
	v_and_b32_e32 v24, 0xff, v24
	v_lshrrev_b32_e32 v24, s48, v24
	s_delay_alu instid0(VALU_DEP_1) | instskip(NEXT) | instid1(VALU_DEP_1)
	v_and_b32_e32 v24, s58, v24
	v_lshl_or_b32 v24, v24, 4, v84
	ds_add_u32 v24, v7
	s_branch .LBB419_23
.LBB419_80:                             ;   in Loop: Header=BB419_24 Depth=2
	global_load_u8 v39, v[24:25], off
	s_wait_xcnt 0x0
	s_or_b32 exec_lo, exec_lo, s10
	s_delay_alu instid0(SALU_CYCLE_1)
	s_mov_b32 s10, exec_lo
	v_cmpx_gt_u32_e64 s8, v67
	s_cbranch_execz .LBB419_29
.LBB419_81:                             ;   in Loop: Header=BB419_24 Depth=2
	global_load_u8 v42, v[24:25], off offset:256
	s_wait_xcnt 0x0
	s_or_b32 exec_lo, exec_lo, s10
	s_delay_alu instid0(SALU_CYCLE_1)
	s_mov_b32 s10, exec_lo
	v_cmpx_gt_u32_e64 s8, v68
	s_cbranch_execz .LBB419_30
.LBB419_82:                             ;   in Loop: Header=BB419_24 Depth=2
	global_load_u8 v41, v[24:25], off offset:512
	s_wait_xcnt 0x0
	s_or_b32 exec_lo, exec_lo, s10
	s_delay_alu instid0(SALU_CYCLE_1)
	s_mov_b32 s10, exec_lo
	v_cmpx_gt_u32_e64 s8, v69
	s_cbranch_execz .LBB419_31
.LBB419_83:                             ;   in Loop: Header=BB419_24 Depth=2
	global_load_u8 v40, v[24:25], off offset:768
	s_wait_xcnt 0x0
	s_or_b32 exec_lo, exec_lo, s10
	s_delay_alu instid0(SALU_CYCLE_1)
	s_mov_b32 s10, exec_lo
	v_cmpx_gt_u32_e64 s8, v70
	s_cbranch_execz .LBB419_32
.LBB419_84:                             ;   in Loop: Header=BB419_24 Depth=2
	global_load_u8 v38, v[24:25], off offset:1024
	s_wait_xcnt 0x0
	s_or_b32 exec_lo, exec_lo, s10
	s_delay_alu instid0(SALU_CYCLE_1)
	s_mov_b32 s10, exec_lo
	v_cmpx_gt_u32_e64 s8, v71
	s_cbranch_execz .LBB419_33
.LBB419_85:                             ;   in Loop: Header=BB419_24 Depth=2
	global_load_u8 v37, v[24:25], off offset:1280
	s_wait_xcnt 0x0
	s_or_b32 exec_lo, exec_lo, s10
	s_delay_alu instid0(SALU_CYCLE_1)
	s_mov_b32 s10, exec_lo
	v_cmpx_gt_u32_e64 s8, v72
	s_cbranch_execz .LBB419_34
.LBB419_86:                             ;   in Loop: Header=BB419_24 Depth=2
	global_load_u8 v36, v[24:25], off offset:1536
	s_wait_xcnt 0x0
	s_or_b32 exec_lo, exec_lo, s10
	s_delay_alu instid0(SALU_CYCLE_1)
	s_mov_b32 s10, exec_lo
	v_cmpx_gt_u32_e64 s8, v73
	s_cbranch_execz .LBB419_35
.LBB419_87:                             ;   in Loop: Header=BB419_24 Depth=2
	global_load_u8 v35, v[24:25], off offset:1792
	s_wait_xcnt 0x0
	s_or_b32 exec_lo, exec_lo, s10
	s_delay_alu instid0(SALU_CYCLE_1)
	s_mov_b32 s10, exec_lo
	v_cmpx_gt_u32_e64 s8, v74
	s_cbranch_execz .LBB419_36
.LBB419_88:                             ;   in Loop: Header=BB419_24 Depth=2
	global_load_u8 v34, v[24:25], off offset:2048
	s_wait_xcnt 0x0
	s_or_b32 exec_lo, exec_lo, s10
	s_delay_alu instid0(SALU_CYCLE_1)
	s_mov_b32 s10, exec_lo
	v_cmpx_gt_u32_e64 s8, v75
	s_cbranch_execz .LBB419_37
.LBB419_89:                             ;   in Loop: Header=BB419_24 Depth=2
	global_load_u8 v33, v[24:25], off offset:2304
	s_wait_xcnt 0x0
	s_or_b32 exec_lo, exec_lo, s10
	s_delay_alu instid0(SALU_CYCLE_1)
	s_mov_b32 s10, exec_lo
	v_cmpx_gt_u32_e64 s8, v76
	s_cbranch_execz .LBB419_38
.LBB419_90:                             ;   in Loop: Header=BB419_24 Depth=2
	global_load_u8 v32, v[24:25], off offset:2560
	s_wait_xcnt 0x0
	s_or_b32 exec_lo, exec_lo, s10
	s_delay_alu instid0(SALU_CYCLE_1)
	s_mov_b32 s10, exec_lo
	v_cmpx_gt_u32_e64 s8, v77
	s_cbranch_execz .LBB419_39
.LBB419_91:                             ;   in Loop: Header=BB419_24 Depth=2
	global_load_u8 v31, v[24:25], off offset:2816
	s_wait_xcnt 0x0
	s_or_b32 exec_lo, exec_lo, s10
	s_delay_alu instid0(SALU_CYCLE_1)
	s_mov_b32 s10, exec_lo
	v_cmpx_gt_u32_e64 s8, v78
	s_cbranch_execz .LBB419_40
.LBB419_92:                             ;   in Loop: Header=BB419_24 Depth=2
	global_load_u8 v30, v[24:25], off offset:3072
	s_wait_xcnt 0x0
	s_or_b32 exec_lo, exec_lo, s10
	s_delay_alu instid0(SALU_CYCLE_1)
	s_mov_b32 s10, exec_lo
	v_cmpx_gt_u32_e64 s8, v79
	s_cbranch_execz .LBB419_41
.LBB419_93:                             ;   in Loop: Header=BB419_24 Depth=2
	global_load_u8 v29, v[24:25], off offset:3328
	s_wait_xcnt 0x0
	s_or_b32 exec_lo, exec_lo, s10
	s_delay_alu instid0(SALU_CYCLE_1)
	s_mov_b32 s10, exec_lo
	v_cmpx_gt_u32_e64 s8, v80
	s_cbranch_execz .LBB419_42
.LBB419_94:                             ;   in Loop: Header=BB419_24 Depth=2
	global_load_u8 v28, v[24:25], off offset:3584
	s_wait_xcnt 0x0
	s_or_b32 exec_lo, exec_lo, s10
	s_delay_alu instid0(SALU_CYCLE_1)
	s_mov_b32 s10, exec_lo
	v_cmpx_gt_u32_e64 s8, v81
	s_cbranch_execz .LBB419_43
.LBB419_95:                             ;   in Loop: Header=BB419_24 Depth=2
	global_load_u8 v27, v[24:25], off offset:3840
	s_wait_xcnt 0x0
	s_or_b32 exec_lo, exec_lo, s10
	s_delay_alu instid0(SALU_CYCLE_1)
	s_mov_b32 s10, exec_lo
	v_cmpx_gt_u32_e64 s8, v82
	s_cbranch_execnz .LBB419_44
	s_branch .LBB419_45
.LBB419_96:                             ;   in Loop: Header=BB419_20 Depth=1
	v_mov_b32_e32 v24, 0
	s_wait_dscnt 0x0
	s_barrier_signal -1
	s_barrier_wait -1
	s_and_saveexec_b32 s8, s0
	s_cbranch_execz .LBB419_98
; %bb.97:                               ;   in Loop: Header=BB419_20 Depth=1
	ds_load_2addr_b64 v[24:27], v85 offset1:1
	s_wait_dscnt 0x0
	v_add_nc_u32_e32 v24, v25, v24
	s_delay_alu instid0(VALU_DEP_1)
	v_add3_u32 v24, v24, v26, v27
.LBB419_98:                             ;   in Loop: Header=BB419_20 Depth=1
	s_or_b32 exec_lo, exec_lo, s8
	v_and_b32_e32 v25, 15, v0
	s_delay_alu instid0(VALU_DEP_2) | instskip(SKIP_1) | instid1(VALU_DEP_3)
	v_mov_b32_dpp v26, v24 row_shr:1 row_mask:0xf bank_mask:0xf
	v_and_b32_e32 v27, 16, v0
	v_cmp_eq_u32_e64 s8, 0, v25
	v_cmp_lt_u32_e64 s9, 1, v25
	s_delay_alu instid0(VALU_DEP_3) | instskip(NEXT) | instid1(VALU_DEP_3)
	v_cmp_eq_u32_e64 s12, 0, v27
	v_cndmask_b32_e64 v26, v26, 0, s8
	s_delay_alu instid0(VALU_DEP_1) | instskip(NEXT) | instid1(VALU_DEP_1)
	v_add_nc_u32_e32 v24, v26, v24
	v_mov_b32_dpp v26, v24 row_shr:2 row_mask:0xf bank_mask:0xf
	s_delay_alu instid0(VALU_DEP_1) | instskip(SKIP_2) | instid1(VALU_DEP_3)
	v_cndmask_b32_e64 v26, 0, v26, s9
	v_cmp_lt_u32_e64 s11, 7, v25
	v_cmp_lt_u32_e64 s10, 3, v25
	v_add_nc_u32_e32 v24, v24, v26
	s_delay_alu instid0(VALU_DEP_1) | instskip(NEXT) | instid1(VALU_DEP_1)
	v_mov_b32_dpp v26, v24 row_shr:4 row_mask:0xf bank_mask:0xf
	v_cndmask_b32_e64 v26, 0, v26, s10
	s_delay_alu instid0(VALU_DEP_1) | instskip(NEXT) | instid1(VALU_DEP_1)
	v_add_nc_u32_e32 v24, v24, v26
	v_mov_b32_dpp v26, v24 row_shr:8 row_mask:0xf bank_mask:0xf
	s_delay_alu instid0(VALU_DEP_1) | instskip(SKIP_1) | instid1(VALU_DEP_2)
	v_cndmask_b32_e64 v25, 0, v26, s11
	v_bfe_i32 v26, v0, 4, 1
	v_add_nc_u32_e32 v24, v24, v25
	ds_swizzle_b32 v25, v24 offset:swizzle(BROADCAST,32,15)
	s_wait_dscnt 0x0
	v_and_b32_e32 v25, v26, v25
	s_delay_alu instid0(VALU_DEP_1)
	v_add_nc_u32_e32 v24, v24, v25
	s_and_saveexec_b32 s13, s1
; %bb.99:                               ;   in Loop: Header=BB419_20 Depth=1
	ds_store_b32 v86, v24
; %bb.100:                              ;   in Loop: Header=BB419_20 Depth=1
	s_or_b32 exec_lo, exec_lo, s13
	s_wait_dscnt 0x0
	s_barrier_signal -1
	s_barrier_wait -1
	s_and_saveexec_b32 s13, s4
	s_cbranch_execz .LBB419_102
; %bb.101:                              ;   in Loop: Header=BB419_20 Depth=1
	ds_load_b32 v25, v87
	s_wait_dscnt 0x0
	v_mov_b32_dpp v27, v25 row_shr:1 row_mask:0xf bank_mask:0xf
	v_and_b32_e32 v26, 3, v0
	s_delay_alu instid0(VALU_DEP_1) | instskip(NEXT) | instid1(VALU_DEP_3)
	v_cmp_ne_u32_e32 vcc_lo, 0, v26
	v_cndmask_b32_e32 v27, 0, v27, vcc_lo
	v_cmp_lt_u32_e32 vcc_lo, 1, v26
	s_delay_alu instid0(VALU_DEP_2) | instskip(NEXT) | instid1(VALU_DEP_1)
	v_add_nc_u32_e32 v25, v27, v25
	v_mov_b32_dpp v27, v25 row_shr:2 row_mask:0xf bank_mask:0xf
	s_delay_alu instid0(VALU_DEP_1) | instskip(NEXT) | instid1(VALU_DEP_1)
	v_cndmask_b32_e32 v26, 0, v27, vcc_lo
	v_add_nc_u32_e32 v25, v25, v26
	ds_store_b32 v87, v25
.LBB419_102:                            ;   in Loop: Header=BB419_20 Depth=1
	s_or_b32 exec_lo, exec_lo, s13
	v_mov_b32_e32 v25, 0
	s_wait_dscnt 0x0
	s_barrier_signal -1
	s_barrier_wait -1
	s_and_saveexec_b32 s13, s5
; %bb.103:                              ;   in Loop: Header=BB419_20 Depth=1
	ds_load_b32 v25, v88
; %bb.104:                              ;   in Loop: Header=BB419_20 Depth=1
	s_or_b32 exec_lo, exec_lo, s13
	v_sub_co_u32 v26, s13, v0, 1
	s_wait_dscnt 0x0
	s_barrier_signal -1
	s_barrier_wait -1
	s_delay_alu instid0(VALU_DEP_1) | instskip(SKIP_1) | instid1(VALU_DEP_1)
	v_cmp_gt_i32_e32 vcc_lo, 0, v26
	v_cndmask_b32_e32 v26, v26, v0, vcc_lo
	v_dual_add_nc_u32 v24, v25, v24 :: v_dual_lshlrev_b32 v96, 2, v26
	ds_bpermute_b32 v24, v96, v24
	s_and_saveexec_b32 s14, s0
	s_cbranch_execz .LBB419_106
; %bb.105:                              ;   in Loop: Header=BB419_20 Depth=1
	s_wait_dscnt 0x0
	v_cndmask_b32_e64 v24, v24, v25, s13
	s_delay_alu instid0(VALU_DEP_1)
	v_add_nc_u32_e32 v24, s55, v24
	ds_store_b32 v66, v24
.LBB419_106:                            ;   in Loop: Header=BB419_20 Depth=1
	s_or_b32 exec_lo, exec_lo, s14
	s_clause 0x1
	s_load_b32 s14, s[52:53], 0x4
	s_load_b32 s17, s[52:53], 0xc
	v_dual_lshlrev_b32 v26, 3, v0 :: v_dual_bitop2_b32 v28, 7, v0 bitop3:0x40
	v_dual_mov_b32 v27, v1 :: v_dual_bitop2_b32 v97, v0, v6 bitop3:0x54
	s_wait_dscnt 0x0
	v_add_nc_u64_e32 v[24:25], v[10:11], v[0:1]
	s_delay_alu instid0(VALU_DEP_3)
	v_cmp_lt_u32_e64 s16, 3, v28
	v_mov_b32_e32 v115, 0
	v_add_nc_u64_e32 v[26:27], v[8:9], v[26:27]
	v_dual_add_nc_u32 v98, 32, v97 :: v_dual_add_nc_u32 v99, 64, v97
	v_add_nc_u32_e32 v100, 0x60, v97
	v_add_nc_u32_e32 v101, 0x80, v97
	;; [unrolled: 1-line block ×8, first 2 shown]
	s_wait_kmcnt 0x0
	s_cmp_lt_u32 s42, s14
	v_add_nc_u32_e32 v108, 0x160, v97
	s_cselect_b32 s34, 14, 20
	s_and_b32 s17, s17, 0xffff
	s_add_nc_u64 s[14:15], s[52:53], s[34:35]
	v_add_nc_u32_e32 v109, 0x180, v97
	s_load_u16 s18, s[14:15], 0x0
	s_wait_xcnt 0x0
	v_cmp_eq_u32_e64 s14, 0, v28
	v_cmp_lt_u32_e64 s15, 1, v28
	v_add_nc_u32_e32 v110, 0x1a0, v97
	v_add_nc_u32_e32 v111, 0x1c0, v97
	;; [unrolled: 1-line block ×4, first 2 shown]
	s_mov_b32 s59, s57
	s_mov_b32 s34, s55
                                        ; implicit-def: $vgpr30_vgpr31
                                        ; implicit-def: $vgpr32_vgpr33
                                        ; implicit-def: $vgpr34_vgpr35
                                        ; implicit-def: $vgpr36_vgpr37
                                        ; implicit-def: $vgpr38_vgpr39
                                        ; implicit-def: $vgpr40_vgpr41
                                        ; implicit-def: $vgpr42_vgpr43
                                        ; implicit-def: $vgpr44_vgpr45
                                        ; implicit-def: $vgpr46_vgpr47
                                        ; implicit-def: $vgpr48_vgpr49
                                        ; implicit-def: $vgpr50_vgpr51
                                        ; implicit-def: $vgpr52_vgpr53
                                        ; implicit-def: $vgpr54_vgpr55
                                        ; implicit-def: $vgpr56_vgpr57
                                        ; implicit-def: $vgpr58_vgpr59
                                        ; implicit-def: $vgpr60_vgpr61
                                        ; implicit-def: $vgpr116
                                        ; implicit-def: $vgpr117
                                        ; implicit-def: $vgpr118
                                        ; implicit-def: $vgpr119
                                        ; implicit-def: $vgpr120
                                        ; implicit-def: $vgpr121
                                        ; implicit-def: $vgpr122
                                        ; implicit-def: $vgpr123
                                        ; implicit-def: $vgpr124
                                        ; implicit-def: $vgpr125
                                        ; implicit-def: $vgpr126
                                        ; implicit-def: $vgpr127
                                        ; implicit-def: $vgpr128
                                        ; implicit-def: $vgpr129
                                        ; implicit-def: $vgpr130
                                        ; implicit-def: $vgpr131
                                        ; implicit-def: $vgpr132
                                        ; implicit-def: $vgpr133
                                        ; implicit-def: $vgpr134
	s_wait_kmcnt 0x0
	v_mad_u32_u24 v28, v89, s18, v91
	s_delay_alu instid0(VALU_DEP_1) | instskip(NEXT) | instid1(VALU_DEP_1)
	v_mad_u32 v28, v28, s17, v2
	v_lshrrev_b32_e32 v28, 3, v28
	s_delay_alu instid0(VALU_DEP_1)
	v_and_b32_e32 v114, 0x1ffffffc, v28
                                        ; implicit-def: $vgpr28_vgpr29
	s_branch .LBB419_108
.LBB419_107:                            ;   in Loop: Header=BB419_108 Depth=2
	s_or_b32 exec_lo, exec_lo, s17
	s_addk_co_i32 s59, 0xef00
	s_cmp_lt_u32 s60, s54
	s_mov_b32 s34, s60
	s_cbranch_scc0 .LBB419_330
.LBB419_108:                            ;   Parent Loop BB419_20 Depth=1
                                        ; =>  This Inner Loop Header: Depth=2
	s_add_co_i32 s60, s34, 0x1100
	s_delay_alu instid0(SALU_CYCLE_1)
	s_cmp_gt_u32 s60, s54
	s_cbranch_scc1 .LBB419_110
; %bb.109:                              ;   in Loop: Header=BB419_108 Depth=2
	v_add_nc_u64_e32 v[62:63], s[34:35], v[24:25]
	s_mov_b32 s17, -1
	s_clause 0xf
	global_load_u8 v135, v[62:63], off offset:480
	global_load_u8 v65, v[62:63], off offset:448
	;; [unrolled: 1-line block ×15, first 2 shown]
	global_load_u8 v147, v[62:63], off
	s_movk_i32 s18, 0x1100
	s_cbranch_execz .LBB419_111
	s_branch .LBB419_129
.LBB419_110:                            ;   in Loop: Header=BB419_108 Depth=2
	s_mov_b32 s17, 0
                                        ; implicit-def: $vgpr147
                                        ; implicit-def: $vgpr150
                                        ; implicit-def: $vgpr148
                                        ; implicit-def: $vgpr151
                                        ; implicit-def: $vgpr142
                                        ; implicit-def: $vgpr145
                                        ; implicit-def: $vgpr143
                                        ; implicit-def: $vgpr144
                                        ; implicit-def: $vgpr138
                                        ; implicit-def: $vgpr141
                                        ; implicit-def: $vgpr139
                                        ; implicit-def: $vgpr140
                                        ; implicit-def: $vgpr64
                                        ; implicit-def: $vgpr136
                                        ; implicit-def: $vgpr65
                                        ; implicit-def: $vgpr135
                                        ; implicit-def: $vgpr115
	s_movk_i32 s18, 0x1100
.LBB419_111:                            ;   in Loop: Header=BB419_108 Depth=2
	s_wait_xcnt 0x0
	v_add_nc_u64_e32 v[62:63], s[34:35], v[24:25]
	s_wait_loadcnt 0x1
	v_dual_mov_b32 v115, 0x7f :: v_dual_mov_b32 v150, 0x7f
	s_wait_loadcnt 0x0
	v_dual_mov_b32 v147, 0x7f :: v_dual_mov_b32 v148, 0x7f
	v_dual_mov_b32 v151, 0x7f :: v_dual_mov_b32 v142, 0x7f
	;; [unrolled: 1-line block ×7, first 2 shown]
	v_mov_b32_e32 v135, 0x7f
	s_mov_b32 s17, exec_lo
	v_cmpx_gt_u32_e64 s59, v97
	s_cbranch_execnz .LBB419_315
; %bb.112:                              ;   in Loop: Header=BB419_108 Depth=2
	s_or_b32 exec_lo, exec_lo, s17
	s_delay_alu instid0(SALU_CYCLE_1)
	s_mov_b32 s17, exec_lo
	v_cmpx_gt_u32_e64 s59, v98
	s_cbranch_execnz .LBB419_316
.LBB419_113:                            ;   in Loop: Header=BB419_108 Depth=2
	s_or_b32 exec_lo, exec_lo, s17
	s_delay_alu instid0(SALU_CYCLE_1)
	s_mov_b32 s17, exec_lo
	v_cmpx_gt_u32_e64 s59, v99
	s_cbranch_execnz .LBB419_317
.LBB419_114:                            ;   in Loop: Header=BB419_108 Depth=2
	s_or_b32 exec_lo, exec_lo, s17
	s_delay_alu instid0(SALU_CYCLE_1)
	s_mov_b32 s17, exec_lo
	v_cmpx_gt_u32_e64 s59, v100
	s_cbranch_execnz .LBB419_318
.LBB419_115:                            ;   in Loop: Header=BB419_108 Depth=2
	s_or_b32 exec_lo, exec_lo, s17
	s_delay_alu instid0(SALU_CYCLE_1)
	s_mov_b32 s17, exec_lo
	v_cmpx_gt_u32_e64 s59, v101
	s_cbranch_execnz .LBB419_319
.LBB419_116:                            ;   in Loop: Header=BB419_108 Depth=2
	s_or_b32 exec_lo, exec_lo, s17
	s_delay_alu instid0(SALU_CYCLE_1)
	s_mov_b32 s17, exec_lo
	v_cmpx_gt_u32_e64 s59, v102
	s_cbranch_execnz .LBB419_320
.LBB419_117:                            ;   in Loop: Header=BB419_108 Depth=2
	s_or_b32 exec_lo, exec_lo, s17
	s_delay_alu instid0(SALU_CYCLE_1)
	s_mov_b32 s17, exec_lo
	v_cmpx_gt_u32_e64 s59, v103
	s_cbranch_execnz .LBB419_321
.LBB419_118:                            ;   in Loop: Header=BB419_108 Depth=2
	s_or_b32 exec_lo, exec_lo, s17
	s_delay_alu instid0(SALU_CYCLE_1)
	s_mov_b32 s17, exec_lo
	v_cmpx_gt_u32_e64 s59, v104
	s_cbranch_execnz .LBB419_322
.LBB419_119:                            ;   in Loop: Header=BB419_108 Depth=2
	s_or_b32 exec_lo, exec_lo, s17
	s_delay_alu instid0(SALU_CYCLE_1)
	s_mov_b32 s17, exec_lo
	v_cmpx_gt_u32_e64 s59, v105
	s_cbranch_execnz .LBB419_323
.LBB419_120:                            ;   in Loop: Header=BB419_108 Depth=2
	s_or_b32 exec_lo, exec_lo, s17
	s_delay_alu instid0(SALU_CYCLE_1)
	s_mov_b32 s17, exec_lo
	v_cmpx_gt_u32_e64 s59, v106
	s_cbranch_execnz .LBB419_324
.LBB419_121:                            ;   in Loop: Header=BB419_108 Depth=2
	s_or_b32 exec_lo, exec_lo, s17
	s_delay_alu instid0(SALU_CYCLE_1)
	s_mov_b32 s17, exec_lo
	v_cmpx_gt_u32_e64 s59, v107
	s_cbranch_execnz .LBB419_325
.LBB419_122:                            ;   in Loop: Header=BB419_108 Depth=2
	s_or_b32 exec_lo, exec_lo, s17
	s_delay_alu instid0(SALU_CYCLE_1)
	s_mov_b32 s17, exec_lo
	v_cmpx_gt_u32_e64 s59, v108
	s_cbranch_execnz .LBB419_326
.LBB419_123:                            ;   in Loop: Header=BB419_108 Depth=2
	s_or_b32 exec_lo, exec_lo, s17
	s_delay_alu instid0(SALU_CYCLE_1)
	s_mov_b32 s17, exec_lo
	v_cmpx_gt_u32_e64 s59, v109
	s_cbranch_execnz .LBB419_327
.LBB419_124:                            ;   in Loop: Header=BB419_108 Depth=2
	s_or_b32 exec_lo, exec_lo, s17
	s_delay_alu instid0(SALU_CYCLE_1)
	s_mov_b32 s17, exec_lo
	v_cmpx_gt_u32_e64 s59, v110
	s_cbranch_execnz .LBB419_328
.LBB419_125:                            ;   in Loop: Header=BB419_108 Depth=2
	s_or_b32 exec_lo, exec_lo, s17
	s_delay_alu instid0(SALU_CYCLE_1)
	s_mov_b32 s17, exec_lo
	v_cmpx_gt_u32_e64 s59, v111
	s_cbranch_execnz .LBB419_329
.LBB419_126:                            ;   in Loop: Header=BB419_108 Depth=2
	s_or_b32 exec_lo, exec_lo, s17
	s_delay_alu instid0(SALU_CYCLE_1)
	s_mov_b32 s17, exec_lo
	v_cmpx_gt_u32_e64 s59, v112
	s_cbranch_execz .LBB419_128
.LBB419_127:                            ;   in Loop: Header=BB419_108 Depth=2
	global_load_u8 v135, v[62:63], off offset:480
.LBB419_128:                            ;   in Loop: Header=BB419_108 Depth=2
	s_wait_xcnt 0x0
	s_or_b32 exec_lo, exec_lo, s17
	v_cmp_gt_u32_e64 s17, s59, v113
	s_sub_co_i32 s18, s54, s34
.LBB419_129:                            ;   in Loop: Header=BB419_108 Depth=2
	v_mov_b32_e32 v137, s59
	s_wait_xcnt 0x0
	s_and_saveexec_b32 s19, s17
	s_cbranch_execz .LBB419_131
; %bb.130:                              ;   in Loop: Header=BB419_108 Depth=2
	v_add_nc_u64_e32 v[62:63], s[34:35], v[24:25]
	v_mov_b32_e32 v137, s18
	global_load_u8 v115, v[62:63], off offset:512
.LBB419_131:                            ;   in Loop: Header=BB419_108 Depth=2
	s_wait_xcnt 0x0
	s_or_b32 exec_lo, exec_lo, s19
	s_wait_loadcnt 0x0
	v_bitop3_b16 v62, v147, s43, 0x80 bitop3:0x48
	ds_store_2addr_b32 v90, v1, v1 offset0:136 offset1:137
	ds_store_2addr_b32 v90, v1, v1 offset0:138 offset1:139
	ds_store_b32 v90, v1 offset:560
	s_wait_dscnt 0x0
	s_barrier_signal -1
	s_barrier_wait -1
	v_and_b32_e32 v62, 0xffff, v62
	; wave barrier
	s_delay_alu instid0(VALU_DEP_1) | instskip(NEXT) | instid1(VALU_DEP_1)
	v_lshrrev_b32_e32 v62, s48, v62
	v_and_b32_e32 v149, s58, v62
	s_delay_alu instid0(VALU_DEP_1) | instskip(SKIP_1) | instid1(VALU_DEP_1)
	v_lshlrev_b32_e32 v146, 30, v149
	v_bitop3_b32 v63, v62, 1, s58 bitop3:0x80
	v_add_co_u32 v62, s17, v63, -1
	s_delay_alu instid0(VALU_DEP_1) | instskip(NEXT) | instid1(VALU_DEP_4)
	v_cndmask_b32_e64 v63, 0, 1, s17
	v_cmp_gt_i32_e64 s17, 0, v146
	s_delay_alu instid0(VALU_DEP_2) | instskip(SKIP_2) | instid1(VALU_DEP_2)
	v_cmp_ne_u32_e32 vcc_lo, 0, v63
	v_not_b32_e32 v63, v146
	v_bitop3_b32 v62, vcc_lo, exec_lo, v62 bitop3:0x48
	v_dual_ashrrev_i32 v63, 31, v63 :: v_dual_lshlrev_b32 v152, 29, v149
	v_dual_lshlrev_b32 v153, 28, v149 :: v_dual_lshlrev_b32 v154, 27, v149
	v_lshlrev_b32_e32 v155, 26, v149
	s_delay_alu instid0(VALU_DEP_3)
	v_not_b32_e32 v146, v152
	v_lshlrev_b32_e32 v156, 25, v149
	v_cmp_gt_i32_e64 s18, 0, v152
	v_cmp_gt_i32_e64 s19, 0, v153
	v_not_b32_e32 v152, v153
	v_not_b32_e32 v153, v154
	v_ashrrev_i32_e32 v146, 31, v146
	v_cmp_gt_i32_e64 s20, 0, v154
	v_cmp_gt_i32_e64 s21, 0, v155
	v_not_b32_e32 v154, v155
	v_not_b32_e32 v155, v156
	v_dual_ashrrev_i32 v152, 31, v152 :: v_dual_ashrrev_i32 v153, 31, v153
	s_delay_alu instid0(VALU_DEP_3) | instskip(NEXT) | instid1(VALU_DEP_3)
	v_dual_ashrrev_i32 v154, 31, v154 :: v_dual_bitop2_b32 v63, s17, v63 bitop3:0x14
	v_dual_ashrrev_i32 v155, 31, v155 :: v_dual_bitop2_b32 v146, s18, v146 bitop3:0x14
	v_cmp_gt_i32_e64 s22, 0, v156
	s_delay_alu instid0(VALU_DEP_4) | instskip(SKIP_1) | instid1(VALU_DEP_4)
	v_xor_b32_e32 v152, s19, v152
	v_xor_b32_e32 v153, s20, v153
	v_bitop3_b32 v62, v62, v146, v63 bitop3:0x80
	v_xor_b32_e32 v63, s21, v154
	v_xor_b32_e32 v146, s22, v155
	s_delay_alu instid0(VALU_DEP_3) | instskip(NEXT) | instid1(VALU_DEP_1)
	v_bitop3_b32 v62, v62, v153, v152 bitop3:0x80
	v_bitop3_b32 v62, v62, v146, v63 bitop3:0x80
	v_mul_u32_u24_e32 v63, 36, v149
	s_delay_alu instid0(VALU_DEP_2) | instskip(SKIP_1) | instid1(VALU_DEP_3)
	v_mbcnt_lo_u32_b32 v146, v62, 0
	v_cmp_ne_u32_e64 s17, 0, v62
	v_add_nc_u32_e32 v149, v114, v63
	s_delay_alu instid0(VALU_DEP_3) | instskip(SKIP_1) | instid1(SALU_CYCLE_1)
	v_cmp_eq_u32_e32 vcc_lo, 0, v146
	s_and_b32 s18, s17, vcc_lo
	s_and_saveexec_b32 s17, s18
; %bb.132:                              ;   in Loop: Header=BB419_108 Depth=2
	v_bcnt_u32_b32 v62, v62, 0
	ds_store_b32 v149, v62 offset:544
; %bb.133:                              ;   in Loop: Header=BB419_108 Depth=2
	s_or_b32 exec_lo, exec_lo, s17
	v_xor_b32_e32 v62, 0x80, v150
	v_xor_b32_e32 v63, 0x80, v151
	;; [unrolled: 1-line block ×4, first 2 shown]
	s_delay_alu instid0(VALU_DEP_4) | instskip(NEXT) | instid1(VALU_DEP_4)
	v_lshlrev_b16 v62, 8, v62
	v_lshlrev_b16 v63, 8, v63
	; wave barrier
	s_delay_alu instid0(VALU_DEP_2) | instskip(NEXT) | instid1(VALU_DEP_2)
	v_bitop3_b16 v147, v147, v62, 0xff bitop3:0xec
	v_bitop3_b16 v62, v148, v63, 0xff bitop3:0xec
	s_delay_alu instid0(VALU_DEP_2) | instskip(NEXT) | instid1(VALU_DEP_2)
	v_and_b32_e32 v63, 0xffff, v147
	v_lshlrev_b32_e32 v62, 16, v62
	s_delay_alu instid0(VALU_DEP_1) | instskip(NEXT) | instid1(VALU_DEP_1)
	v_or_b32_e32 v148, v63, v62
	v_bfe_u32 v62, v148, 8, 8
	s_delay_alu instid0(VALU_DEP_1) | instskip(NEXT) | instid1(VALU_DEP_1)
	v_lshrrev_b32_e32 v62, s48, v62
	v_bitop3_b32 v63, v62, 1, s58 bitop3:0x80
	v_and_b32_e32 v152, s58, v62
	s_delay_alu instid0(VALU_DEP_2) | instskip(NEXT) | instid1(VALU_DEP_1)
	v_add_co_u32 v62, s17, v63, -1
	v_cndmask_b32_e64 v63, 0, 1, s17
	s_delay_alu instid0(VALU_DEP_3) | instskip(NEXT) | instid1(VALU_DEP_2)
	v_lshlrev_b32_e32 v150, 30, v152
	v_cmp_ne_u32_e32 vcc_lo, 0, v63
	s_delay_alu instid0(VALU_DEP_2) | instskip(SKIP_2) | instid1(VALU_DEP_3)
	v_not_b32_e32 v63, v150
	v_cmp_gt_i32_e64 s17, 0, v150
	v_bitop3_b32 v62, vcc_lo, exec_lo, v62 bitop3:0x48
	v_dual_ashrrev_i32 v63, 31, v63 :: v_dual_lshlrev_b32 v151, 29, v152
	v_dual_lshlrev_b32 v153, 28, v152 :: v_dual_lshlrev_b32 v154, 27, v152
	v_lshlrev_b32_e32 v155, 26, v152
	s_delay_alu instid0(VALU_DEP_3)
	v_not_b32_e32 v150, v151
	v_lshlrev_b32_e32 v156, 25, v152
	v_cmp_gt_i32_e64 s18, 0, v151
	v_cmp_gt_i32_e64 s19, 0, v153
	v_not_b32_e32 v151, v153
	v_ashrrev_i32_e32 v150, 31, v150
	v_cmp_gt_i32_e64 s20, 0, v154
	v_not_b32_e32 v153, v154
	v_cmp_gt_i32_e64 s21, 0, v155
	v_not_b32_e32 v154, v155
	v_not_b32_e32 v155, v156
	v_xor_b32_e32 v63, s17, v63
	v_dual_ashrrev_i32 v151, 31, v151 :: v_dual_bitop2_b32 v150, s18, v150 bitop3:0x14
	s_delay_alu instid0(VALU_DEP_4) | instskip(NEXT) | instid1(VALU_DEP_4)
	v_dual_ashrrev_i32 v153, 31, v153 :: v_dual_ashrrev_i32 v154, 31, v154
	v_ashrrev_i32_e32 v155, 31, v155
	s_delay_alu instid0(VALU_DEP_3)
	v_bitop3_b32 v62, v62, v150, v63 bitop3:0x80
	v_mad_u32_u24 v63, v152, 36, v114
	v_cmp_gt_i32_e64 s22, 0, v156
	v_xor_b32_e32 v151, s19, v151
	v_xor_b32_e32 v154, s21, v154
	ds_load_b32 v150, v63 offset:544
	v_mul_u32_u24_e32 v63, 36, v152
	v_xor_b32_e32 v153, s20, v153
	v_xor_b32_e32 v155, s22, v155
	; wave barrier
	s_delay_alu instid0(VALU_DEP_3) | instskip(NEXT) | instid1(VALU_DEP_3)
	v_add_nc_u32_e32 v152, v114, v63
	v_bitop3_b32 v62, v62, v153, v151 bitop3:0x80
	s_delay_alu instid0(VALU_DEP_1) | instskip(NEXT) | instid1(VALU_DEP_1)
	v_bitop3_b32 v62, v62, v155, v154 bitop3:0x80
	v_mbcnt_lo_u32_b32 v151, v62, 0
	v_cmp_ne_u32_e64 s17, 0, v62
	s_delay_alu instid0(VALU_DEP_2) | instskip(SKIP_1) | instid1(SALU_CYCLE_1)
	v_cmp_eq_u32_e32 vcc_lo, 0, v151
	s_and_b32 s18, s17, vcc_lo
	s_and_saveexec_b32 s17, s18
	s_cbranch_execz .LBB419_135
; %bb.134:                              ;   in Loop: Header=BB419_108 Depth=2
	s_wait_dscnt 0x0
	v_bcnt_u32_b32 v62, v62, v150
	ds_store_b32 v152, v62 offset:544
.LBB419_135:                            ;   in Loop: Header=BB419_108 Depth=2
	s_or_b32 exec_lo, exec_lo, s17
	v_bfe_u32 v62, v148, 16, 8
	; wave barrier
	s_delay_alu instid0(VALU_DEP_1) | instskip(NEXT) | instid1(VALU_DEP_1)
	v_lshrrev_b32_e32 v62, s48, v62
	v_and_b32_e32 v155, s58, v62
	s_delay_alu instid0(VALU_DEP_1) | instskip(SKIP_1) | instid1(VALU_DEP_1)
	v_lshlrev_b32_e32 v153, 30, v155
	v_bitop3_b32 v63, v62, 1, s58 bitop3:0x80
	v_add_co_u32 v62, s17, v63, -1
	s_delay_alu instid0(VALU_DEP_1) | instskip(NEXT) | instid1(VALU_DEP_4)
	v_cndmask_b32_e64 v63, 0, 1, s17
	v_cmp_gt_i32_e64 s17, 0, v153
	s_delay_alu instid0(VALU_DEP_2) | instskip(SKIP_2) | instid1(VALU_DEP_2)
	v_cmp_ne_u32_e32 vcc_lo, 0, v63
	v_not_b32_e32 v63, v153
	v_bitop3_b32 v62, vcc_lo, exec_lo, v62 bitop3:0x48
	v_ashrrev_i32_e32 v63, 31, v63
	v_dual_lshlrev_b32 v154, 29, v155 :: v_dual_lshlrev_b32 v156, 28, v155
	v_dual_lshlrev_b32 v157, 27, v155 :: v_dual_lshlrev_b32 v158, 26, v155
	s_delay_alu instid0(VALU_DEP_2)
	v_not_b32_e32 v153, v154
	v_lshlrev_b32_e32 v159, 25, v155
	v_cmp_gt_i32_e64 s18, 0, v154
	v_cmp_gt_i32_e64 s19, 0, v156
	v_not_b32_e32 v154, v156
	v_not_b32_e32 v156, v157
	v_ashrrev_i32_e32 v153, 31, v153
	v_cmp_gt_i32_e64 s20, 0, v157
	v_cmp_gt_i32_e64 s21, 0, v158
	v_not_b32_e32 v157, v158
	v_dual_ashrrev_i32 v154, 31, v154 :: v_dual_ashrrev_i32 v156, 31, v156
	v_xor_b32_e32 v63, s17, v63
	v_not_b32_e32 v158, v159
	v_xor_b32_e32 v153, s18, v153
	s_delay_alu instid0(VALU_DEP_4) | instskip(SKIP_2) | instid1(VALU_DEP_4)
	v_dual_ashrrev_i32 v157, 31, v157 :: v_dual_bitop2_b32 v154, s19, v154 bitop3:0x14
	v_xor_b32_e32 v156, s20, v156
	v_cmp_gt_i32_e32 vcc_lo, 0, v159
	v_bitop3_b32 v62, v62, v153, v63 bitop3:0x80
	v_ashrrev_i32_e32 v63, 31, v158
	v_mad_u32_u24 v153, v155, 36, v114
	v_xor_b32_e32 v157, s21, v157
	s_delay_alu instid0(VALU_DEP_4) | instskip(NEXT) | instid1(VALU_DEP_4)
	v_bitop3_b32 v62, v62, v156, v154 bitop3:0x80
	v_xor_b32_e32 v63, vcc_lo, v63
	ds_load_b32 v153, v153 offset:544
	; wave barrier
	v_bitop3_b32 v62, v62, v63, v157 bitop3:0x80
	v_mul_u32_u24_e32 v63, 36, v155
	s_delay_alu instid0(VALU_DEP_2) | instskip(SKIP_1) | instid1(VALU_DEP_3)
	v_mbcnt_lo_u32_b32 v154, v62, 0
	v_cmp_ne_u32_e64 s17, 0, v62
	v_add_nc_u32_e32 v156, v114, v63
	s_delay_alu instid0(VALU_DEP_3) | instskip(SKIP_1) | instid1(SALU_CYCLE_1)
	v_cmp_eq_u32_e32 vcc_lo, 0, v154
	s_and_b32 s18, s17, vcc_lo
	s_and_saveexec_b32 s17, s18
	s_cbranch_execz .LBB419_137
; %bb.136:                              ;   in Loop: Header=BB419_108 Depth=2
	s_wait_dscnt 0x0
	v_bcnt_u32_b32 v62, v62, v153
	ds_store_b32 v156, v62 offset:544
.LBB419_137:                            ;   in Loop: Header=BB419_108 Depth=2
	s_or_b32 exec_lo, exec_lo, s17
	v_lshrrev_b32_e32 v155, 24, v148
	; wave barrier
	s_delay_alu instid0(VALU_DEP_1) | instskip(NEXT) | instid1(VALU_DEP_1)
	v_lshrrev_b32_e32 v62, s48, v155
	v_bitop3_b32 v63, v62, 1, s58 bitop3:0x80
	v_and_b32_e32 v159, s58, v62
	s_delay_alu instid0(VALU_DEP_2) | instskip(NEXT) | instid1(VALU_DEP_1)
	v_add_co_u32 v62, s17, v63, -1
	v_cndmask_b32_e64 v63, 0, 1, s17
	s_delay_alu instid0(VALU_DEP_3) | instskip(SKIP_1) | instid1(VALU_DEP_3)
	v_dual_lshlrev_b32 v157, 30, v159 :: v_dual_lshlrev_b32 v158, 29, v159
	v_dual_lshlrev_b32 v160, 28, v159 :: v_dual_lshlrev_b32 v161, 27, v159
	v_cmp_ne_u32_e32 vcc_lo, 0, v63
	s_delay_alu instid0(VALU_DEP_3)
	v_cmp_gt_i32_e64 s17, 0, v157
	v_not_b32_e32 v63, v157
	v_not_b32_e32 v157, v158
	v_dual_lshlrev_b32 v162, 26, v159 :: v_dual_lshlrev_b32 v163, 25, v159
	v_cmp_gt_i32_e64 s18, 0, v158
	v_cmp_gt_i32_e64 s19, 0, v160
	v_not_b32_e32 v158, v160
	v_not_b32_e32 v160, v161
	v_dual_ashrrev_i32 v63, 31, v63 :: v_dual_ashrrev_i32 v157, 31, v157
	v_cmp_gt_i32_e64 s20, 0, v161
	v_cmp_gt_i32_e64 s21, 0, v162
	v_not_b32_e32 v161, v162
	v_bitop3_b32 v62, vcc_lo, exec_lo, v62 bitop3:0x48
	v_dual_ashrrev_i32 v158, 31, v158 :: v_dual_ashrrev_i32 v160, 31, v160
	v_xor_b32_e32 v63, s17, v63
	v_not_b32_e32 v162, v163
	v_xor_b32_e32 v157, s18, v157
	s_delay_alu instid0(VALU_DEP_4) | instskip(SKIP_2) | instid1(VALU_DEP_4)
	v_dual_ashrrev_i32 v161, 31, v161 :: v_dual_bitop2_b32 v158, s19, v158 bitop3:0x14
	v_xor_b32_e32 v160, s20, v160
	v_cmp_gt_i32_e32 vcc_lo, 0, v163
	v_bitop3_b32 v62, v62, v157, v63 bitop3:0x80
	v_ashrrev_i32_e32 v63, 31, v162
	v_mad_u32_u24 v157, v159, 36, v114
	v_xor_b32_e32 v161, s21, v161
	s_delay_alu instid0(VALU_DEP_4) | instskip(NEXT) | instid1(VALU_DEP_4)
	v_bitop3_b32 v62, v62, v160, v158 bitop3:0x80
	v_xor_b32_e32 v63, vcc_lo, v63
	ds_load_b32 v157, v157 offset:544
	; wave barrier
	v_bitop3_b32 v62, v62, v63, v161 bitop3:0x80
	v_mul_u32_u24_e32 v63, 36, v159
	s_delay_alu instid0(VALU_DEP_2) | instskip(SKIP_1) | instid1(VALU_DEP_3)
	v_mbcnt_lo_u32_b32 v158, v62, 0
	v_cmp_ne_u32_e64 s17, 0, v62
	v_add_nc_u32_e32 v159, v114, v63
	s_delay_alu instid0(VALU_DEP_3) | instskip(SKIP_1) | instid1(SALU_CYCLE_1)
	v_cmp_eq_u32_e32 vcc_lo, 0, v158
	s_and_b32 s18, s17, vcc_lo
	s_and_saveexec_b32 s17, s18
	s_cbranch_execz .LBB419_139
; %bb.138:                              ;   in Loop: Header=BB419_108 Depth=2
	s_wait_dscnt 0x0
	v_bcnt_u32_b32 v62, v62, v157
	ds_store_b32 v159, v62 offset:544
.LBB419_139:                            ;   in Loop: Header=BB419_108 Depth=2
	s_or_b32 exec_lo, exec_lo, s17
	v_bitop3_b16 v62, v142, s43, 0x80 bitop3:0x48
	; wave barrier
	s_delay_alu instid0(VALU_DEP_1) | instskip(NEXT) | instid1(VALU_DEP_1)
	v_and_b32_e32 v62, 0xffff, v62
	v_lshrrev_b32_e32 v62, s48, v62
	s_delay_alu instid0(VALU_DEP_1) | instskip(SKIP_1) | instid1(VALU_DEP_2)
	v_bitop3_b32 v63, v62, 1, s58 bitop3:0x80
	v_and_b32_e32 v162, s58, v62
	v_add_co_u32 v62, s17, v63, -1
	s_delay_alu instid0(VALU_DEP_1) | instskip(NEXT) | instid1(VALU_DEP_3)
	v_cndmask_b32_e64 v63, 0, 1, s17
	v_dual_lshlrev_b32 v160, 30, v162 :: v_dual_lshlrev_b32 v161, 29, v162
	s_delay_alu instid0(VALU_DEP_2) | instskip(NEXT) | instid1(VALU_DEP_2)
	v_cmp_ne_u32_e32 vcc_lo, 0, v63
	v_cmp_gt_i32_e64 s17, 0, v160
	v_not_b32_e32 v63, v160
	s_delay_alu instid0(VALU_DEP_4) | instskip(SKIP_2) | instid1(VALU_DEP_3)
	v_not_b32_e32 v160, v161
	v_cmp_gt_i32_e64 s18, 0, v161
	v_bitop3_b32 v62, vcc_lo, exec_lo, v62 bitop3:0x48
	v_dual_ashrrev_i32 v63, 31, v63 :: v_dual_ashrrev_i32 v160, 31, v160
	v_dual_lshlrev_b32 v163, 28, v162 :: v_dual_lshlrev_b32 v164, 27, v162
	v_dual_lshlrev_b32 v165, 26, v162 :: v_dual_lshlrev_b32 v166, 25, v162
	s_delay_alu instid0(VALU_DEP_2) | instskip(SKIP_1) | instid1(VALU_DEP_4)
	v_cmp_gt_i32_e64 s19, 0, v163
	v_not_b32_e32 v161, v163
	v_cmp_gt_i32_e64 s20, 0, v164
	v_not_b32_e32 v163, v164
	v_cmp_gt_i32_e64 s21, 0, v165
	v_not_b32_e32 v164, v165
	v_not_b32_e32 v165, v166
	v_xor_b32_e32 v63, s17, v63
	v_dual_ashrrev_i32 v161, 31, v161 :: v_dual_bitop2_b32 v160, s18, v160 bitop3:0x14
	s_delay_alu instid0(VALU_DEP_4) | instskip(NEXT) | instid1(VALU_DEP_4)
	v_dual_ashrrev_i32 v163, 31, v163 :: v_dual_ashrrev_i32 v164, 31, v164
	v_ashrrev_i32_e32 v165, 31, v165
	s_delay_alu instid0(VALU_DEP_3)
	v_bitop3_b32 v62, v62, v160, v63 bitop3:0x80
	v_mad_u32_u24 v63, v162, 36, v114
	v_cmp_gt_i32_e64 s22, 0, v166
	v_xor_b32_e32 v163, s20, v163
	v_xor_b32_e32 v164, s21, v164
	ds_load_b32 v160, v63 offset:544
	v_mul_u32_u24_e32 v63, 36, v162
	v_xor_b32_e32 v161, s19, v161
	v_xor_b32_e32 v165, s22, v165
	; wave barrier
	s_delay_alu instid0(VALU_DEP_3) | instskip(NEXT) | instid1(VALU_DEP_3)
	v_add_nc_u32_e32 v162, v114, v63
	v_bitop3_b32 v62, v62, v163, v161 bitop3:0x80
	s_delay_alu instid0(VALU_DEP_1) | instskip(NEXT) | instid1(VALU_DEP_1)
	v_bitop3_b32 v62, v62, v165, v164 bitop3:0x80
	v_mbcnt_lo_u32_b32 v161, v62, 0
	v_cmp_ne_u32_e64 s17, 0, v62
	s_delay_alu instid0(VALU_DEP_2) | instskip(SKIP_1) | instid1(SALU_CYCLE_1)
	v_cmp_eq_u32_e32 vcc_lo, 0, v161
	s_and_b32 s18, s17, vcc_lo
	s_and_saveexec_b32 s17, s18
	s_cbranch_execz .LBB419_141
; %bb.140:                              ;   in Loop: Header=BB419_108 Depth=2
	s_wait_dscnt 0x0
	v_bcnt_u32_b32 v62, v62, v160
	ds_store_b32 v162, v62 offset:544
.LBB419_141:                            ;   in Loop: Header=BB419_108 Depth=2
	s_or_b32 exec_lo, exec_lo, s17
	v_xor_b32_e32 v62, 0x80, v145
	v_xor_b32_e32 v63, 0x80, v144
	;; [unrolled: 1-line block ×4, first 2 shown]
	s_delay_alu instid0(VALU_DEP_4) | instskip(NEXT) | instid1(VALU_DEP_4)
	v_lshlrev_b16 v62, 8, v62
	v_lshlrev_b16 v63, 8, v63
	; wave barrier
	s_delay_alu instid0(VALU_DEP_2) | instskip(NEXT) | instid1(VALU_DEP_2)
	v_bitop3_b16 v142, v142, v62, 0xff bitop3:0xec
	v_bitop3_b16 v62, v143, v63, 0xff bitop3:0xec
	s_delay_alu instid0(VALU_DEP_2) | instskip(NEXT) | instid1(VALU_DEP_2)
	v_and_b32_e32 v63, 0xffff, v142
	v_lshlrev_b32_e32 v62, 16, v62
	s_delay_alu instid0(VALU_DEP_1) | instskip(NEXT) | instid1(VALU_DEP_1)
	v_or_b32_e32 v143, v63, v62
	v_bfe_u32 v62, v143, 8, 8
	s_delay_alu instid0(VALU_DEP_1) | instskip(NEXT) | instid1(VALU_DEP_1)
	v_lshrrev_b32_e32 v62, s48, v62
	v_bitop3_b32 v63, v62, 1, s58 bitop3:0x80
	v_and_b32_e32 v163, s58, v62
	s_delay_alu instid0(VALU_DEP_2) | instskip(NEXT) | instid1(VALU_DEP_1)
	v_add_co_u32 v62, s17, v63, -1
	v_cndmask_b32_e64 v63, 0, 1, s17
	s_delay_alu instid0(VALU_DEP_3) | instskip(NEXT) | instid1(VALU_DEP_2)
	v_lshlrev_b32_e32 v144, 30, v163
	v_cmp_ne_u32_e32 vcc_lo, 0, v63
	s_delay_alu instid0(VALU_DEP_2) | instskip(SKIP_2) | instid1(VALU_DEP_3)
	v_not_b32_e32 v63, v144
	v_cmp_gt_i32_e64 s17, 0, v144
	v_bitop3_b32 v62, vcc_lo, exec_lo, v62 bitop3:0x48
	v_ashrrev_i32_e32 v63, 31, v63
	v_dual_lshlrev_b32 v145, 29, v163 :: v_dual_lshlrev_b32 v164, 28, v163
	v_dual_lshlrev_b32 v165, 27, v163 :: v_dual_lshlrev_b32 v166, 26, v163
	s_delay_alu instid0(VALU_DEP_2)
	v_not_b32_e32 v144, v145
	v_lshlrev_b32_e32 v167, 25, v163
	v_cmp_gt_i32_e64 s18, 0, v145
	v_cmp_gt_i32_e64 s19, 0, v164
	v_not_b32_e32 v145, v164
	v_ashrrev_i32_e32 v144, 31, v144
	v_cmp_gt_i32_e64 s20, 0, v165
	v_not_b32_e32 v164, v165
	v_cmp_gt_i32_e64 s21, 0, v166
	v_not_b32_e32 v165, v166
	v_not_b32_e32 v166, v167
	v_xor_b32_e32 v63, s17, v63
	v_dual_ashrrev_i32 v145, 31, v145 :: v_dual_bitop2_b32 v144, s18, v144 bitop3:0x14
	s_delay_alu instid0(VALU_DEP_4) | instskip(NEXT) | instid1(VALU_DEP_4)
	v_dual_ashrrev_i32 v164, 31, v164 :: v_dual_ashrrev_i32 v165, 31, v165
	v_ashrrev_i32_e32 v166, 31, v166
	s_delay_alu instid0(VALU_DEP_3)
	v_bitop3_b32 v62, v62, v144, v63 bitop3:0x80
	v_mad_u32_u24 v63, v163, 36, v114
	v_cmp_gt_i32_e64 s22, 0, v167
	v_xor_b32_e32 v164, s20, v164
	v_xor_b32_e32 v165, s21, v165
	ds_load_b32 v144, v63 offset:544
	v_mul_u32_u24_e32 v63, 36, v163
	v_xor_b32_e32 v145, s19, v145
	v_xor_b32_e32 v166, s22, v166
	; wave barrier
	s_delay_alu instid0(VALU_DEP_3) | instskip(NEXT) | instid1(VALU_DEP_3)
	v_add_nc_u32_e32 v163, v114, v63
	v_bitop3_b32 v62, v62, v164, v145 bitop3:0x80
	s_delay_alu instid0(VALU_DEP_1) | instskip(NEXT) | instid1(VALU_DEP_1)
	v_bitop3_b32 v62, v62, v166, v165 bitop3:0x80
	v_mbcnt_lo_u32_b32 v145, v62, 0
	v_cmp_ne_u32_e64 s17, 0, v62
	s_delay_alu instid0(VALU_DEP_2) | instskip(SKIP_1) | instid1(SALU_CYCLE_1)
	v_cmp_eq_u32_e32 vcc_lo, 0, v145
	s_and_b32 s18, s17, vcc_lo
	s_and_saveexec_b32 s17, s18
	s_cbranch_execz .LBB419_143
; %bb.142:                              ;   in Loop: Header=BB419_108 Depth=2
	s_wait_dscnt 0x0
	v_bcnt_u32_b32 v62, v62, v144
	ds_store_b32 v163, v62 offset:544
.LBB419_143:                            ;   in Loop: Header=BB419_108 Depth=2
	s_or_b32 exec_lo, exec_lo, s17
	v_bfe_u32 v62, v143, 16, 8
	; wave barrier
	s_delay_alu instid0(VALU_DEP_1) | instskip(NEXT) | instid1(VALU_DEP_1)
	v_lshrrev_b32_e32 v62, s48, v62
	v_bitop3_b32 v63, v62, 1, s58 bitop3:0x80
	v_and_b32_e32 v166, s58, v62
	s_delay_alu instid0(VALU_DEP_2) | instskip(NEXT) | instid1(VALU_DEP_1)
	v_add_co_u32 v62, s17, v63, -1
	v_cndmask_b32_e64 v63, 0, 1, s17
	s_delay_alu instid0(VALU_DEP_3) | instskip(NEXT) | instid1(VALU_DEP_2)
	v_dual_lshlrev_b32 v164, 30, v166 :: v_dual_lshlrev_b32 v165, 29, v166
	v_cmp_ne_u32_e32 vcc_lo, 0, v63
	s_delay_alu instid0(VALU_DEP_2) | instskip(SKIP_1) | instid1(VALU_DEP_4)
	v_cmp_gt_i32_e64 s17, 0, v164
	v_not_b32_e32 v63, v164
	v_not_b32_e32 v164, v165
	v_cmp_gt_i32_e64 s18, 0, v165
	v_bitop3_b32 v62, vcc_lo, exec_lo, v62 bitop3:0x48
	s_delay_alu instid0(VALU_DEP_3) | instskip(SKIP_2) | instid1(VALU_DEP_2)
	v_dual_ashrrev_i32 v63, 31, v63 :: v_dual_ashrrev_i32 v164, 31, v164
	v_dual_lshlrev_b32 v167, 28, v166 :: v_dual_lshlrev_b32 v168, 27, v166
	v_dual_lshlrev_b32 v169, 26, v166 :: v_dual_lshlrev_b32 v170, 25, v166
	v_cmp_gt_i32_e64 s19, 0, v167
	v_not_b32_e32 v165, v167
	s_delay_alu instid0(VALU_DEP_4) | instskip(SKIP_3) | instid1(VALU_DEP_4)
	v_not_b32_e32 v167, v168
	v_cmp_gt_i32_e64 s20, 0, v168
	v_cmp_gt_i32_e64 s21, 0, v169
	v_not_b32_e32 v168, v169
	v_dual_ashrrev_i32 v165, 31, v165 :: v_dual_ashrrev_i32 v167, 31, v167
	v_xor_b32_e32 v63, s17, v63
	v_not_b32_e32 v169, v170
	v_xor_b32_e32 v164, s18, v164
	s_delay_alu instid0(VALU_DEP_4) | instskip(SKIP_2) | instid1(VALU_DEP_4)
	v_dual_ashrrev_i32 v168, 31, v168 :: v_dual_bitop2_b32 v165, s19, v165 bitop3:0x14
	v_xor_b32_e32 v167, s20, v167
	v_cmp_gt_i32_e32 vcc_lo, 0, v170
	v_bitop3_b32 v62, v62, v164, v63 bitop3:0x80
	v_ashrrev_i32_e32 v63, 31, v169
	v_mad_u32_u24 v164, v166, 36, v114
	v_xor_b32_e32 v168, s21, v168
	s_delay_alu instid0(VALU_DEP_4) | instskip(NEXT) | instid1(VALU_DEP_4)
	v_bitop3_b32 v62, v62, v167, v165 bitop3:0x80
	v_xor_b32_e32 v63, vcc_lo, v63
	ds_load_b32 v164, v164 offset:544
	; wave barrier
	v_bitop3_b32 v62, v62, v63, v168 bitop3:0x80
	v_mul_u32_u24_e32 v63, 36, v166
	s_delay_alu instid0(VALU_DEP_2) | instskip(SKIP_1) | instid1(VALU_DEP_3)
	v_mbcnt_lo_u32_b32 v165, v62, 0
	v_cmp_ne_u32_e64 s17, 0, v62
	v_add_nc_u32_e32 v167, v114, v63
	s_delay_alu instid0(VALU_DEP_3) | instskip(SKIP_1) | instid1(SALU_CYCLE_1)
	v_cmp_eq_u32_e32 vcc_lo, 0, v165
	s_and_b32 s18, s17, vcc_lo
	s_and_saveexec_b32 s17, s18
	s_cbranch_execz .LBB419_145
; %bb.144:                              ;   in Loop: Header=BB419_108 Depth=2
	s_wait_dscnt 0x0
	v_bcnt_u32_b32 v62, v62, v164
	ds_store_b32 v167, v62 offset:544
.LBB419_145:                            ;   in Loop: Header=BB419_108 Depth=2
	s_or_b32 exec_lo, exec_lo, s17
	v_lshrrev_b32_e32 v166, 24, v143
	; wave barrier
	s_delay_alu instid0(VALU_DEP_1) | instskip(NEXT) | instid1(VALU_DEP_1)
	v_lshrrev_b32_e32 v62, s48, v166
	v_bitop3_b32 v63, v62, 1, s58 bitop3:0x80
	v_and_b32_e32 v170, s58, v62
	s_delay_alu instid0(VALU_DEP_2) | instskip(NEXT) | instid1(VALU_DEP_1)
	v_add_co_u32 v62, s17, v63, -1
	v_cndmask_b32_e64 v63, 0, 1, s17
	s_delay_alu instid0(VALU_DEP_3) | instskip(SKIP_1) | instid1(VALU_DEP_3)
	v_dual_lshlrev_b32 v168, 30, v170 :: v_dual_lshlrev_b32 v169, 29, v170
	v_dual_lshlrev_b32 v171, 28, v170 :: v_dual_lshlrev_b32 v172, 27, v170
	v_cmp_ne_u32_e32 vcc_lo, 0, v63
	s_delay_alu instid0(VALU_DEP_3)
	v_cmp_gt_i32_e64 s17, 0, v168
	v_not_b32_e32 v63, v168
	v_not_b32_e32 v168, v169
	v_dual_lshlrev_b32 v173, 26, v170 :: v_dual_lshlrev_b32 v174, 25, v170
	v_cmp_gt_i32_e64 s18, 0, v169
	v_cmp_gt_i32_e64 s19, 0, v171
	v_not_b32_e32 v169, v171
	v_not_b32_e32 v171, v172
	v_dual_ashrrev_i32 v63, 31, v63 :: v_dual_ashrrev_i32 v168, 31, v168
	v_cmp_gt_i32_e64 s20, 0, v172
	v_cmp_gt_i32_e64 s21, 0, v173
	v_not_b32_e32 v172, v173
	v_bitop3_b32 v62, vcc_lo, exec_lo, v62 bitop3:0x48
	v_dual_ashrrev_i32 v169, 31, v169 :: v_dual_ashrrev_i32 v171, 31, v171
	v_xor_b32_e32 v168, s18, v168
	s_delay_alu instid0(VALU_DEP_4) | instskip(SKIP_1) | instid1(VALU_DEP_4)
	v_dual_ashrrev_i32 v172, 31, v172 :: v_dual_bitop2_b32 v63, s17, v63 bitop3:0x14
	v_not_b32_e32 v173, v174
	v_xor_b32_e32 v169, s19, v169
	v_xor_b32_e32 v171, s20, v171
	s_delay_alu instid0(VALU_DEP_4)
	v_bitop3_b32 v62, v62, v168, v63 bitop3:0x80
	v_cmp_gt_i32_e32 vcc_lo, 0, v174
	v_ashrrev_i32_e32 v63, 31, v173
	v_mad_u32_u24 v168, v170, 36, v114
	v_xor_b32_e32 v172, s21, v172
	v_bitop3_b32 v62, v62, v171, v169 bitop3:0x80
	s_delay_alu instid0(VALU_DEP_4) | instskip(SKIP_3) | instid1(VALU_DEP_2)
	v_xor_b32_e32 v63, vcc_lo, v63
	ds_load_b32 v168, v168 offset:544
	; wave barrier
	v_bitop3_b32 v62, v62, v63, v172 bitop3:0x80
	v_mul_u32_u24_e32 v63, 36, v170
	v_mbcnt_lo_u32_b32 v169, v62, 0
	v_cmp_ne_u32_e64 s17, 0, v62
	s_delay_alu instid0(VALU_DEP_3) | instskip(NEXT) | instid1(VALU_DEP_3)
	v_add_nc_u32_e32 v170, v114, v63
	v_cmp_eq_u32_e32 vcc_lo, 0, v169
	s_and_b32 s18, s17, vcc_lo
	s_delay_alu instid0(SALU_CYCLE_1)
	s_and_saveexec_b32 s17, s18
	s_cbranch_execz .LBB419_147
; %bb.146:                              ;   in Loop: Header=BB419_108 Depth=2
	s_wait_dscnt 0x0
	v_bcnt_u32_b32 v62, v62, v168
	ds_store_b32 v170, v62 offset:544
.LBB419_147:                            ;   in Loop: Header=BB419_108 Depth=2
	s_or_b32 exec_lo, exec_lo, s17
	v_bitop3_b16 v62, v138, s43, 0x80 bitop3:0x48
	; wave barrier
	s_delay_alu instid0(VALU_DEP_1) | instskip(NEXT) | instid1(VALU_DEP_1)
	v_and_b32_e32 v62, 0xffff, v62
	v_lshrrev_b32_e32 v62, s48, v62
	s_delay_alu instid0(VALU_DEP_1) | instskip(NEXT) | instid1(VALU_DEP_1)
	v_and_b32_e32 v173, s58, v62
	v_lshlrev_b32_e32 v171, 30, v173
	v_bitop3_b32 v63, v62, 1, s58 bitop3:0x80
	s_delay_alu instid0(VALU_DEP_1) | instskip(NEXT) | instid1(VALU_DEP_1)
	v_add_co_u32 v62, s17, v63, -1
	v_cndmask_b32_e64 v63, 0, 1, s17
	s_delay_alu instid0(VALU_DEP_4) | instskip(NEXT) | instid1(VALU_DEP_2)
	v_cmp_gt_i32_e64 s17, 0, v171
	v_cmp_ne_u32_e32 vcc_lo, 0, v63
	v_not_b32_e32 v63, v171
	v_bitop3_b32 v62, vcc_lo, exec_lo, v62 bitop3:0x48
	s_delay_alu instid0(VALU_DEP_2) | instskip(SKIP_2) | instid1(VALU_DEP_3)
	v_dual_ashrrev_i32 v63, 31, v63 :: v_dual_lshlrev_b32 v172, 29, v173
	v_dual_lshlrev_b32 v174, 28, v173 :: v_dual_lshlrev_b32 v175, 27, v173
	v_lshlrev_b32_e32 v176, 26, v173
	v_not_b32_e32 v171, v172
	v_lshlrev_b32_e32 v177, 25, v173
	v_cmp_gt_i32_e64 s18, 0, v172
	v_cmp_gt_i32_e64 s19, 0, v174
	v_not_b32_e32 v172, v174
	v_ashrrev_i32_e32 v171, 31, v171
	v_cmp_gt_i32_e64 s20, 0, v175
	v_not_b32_e32 v174, v175
	v_cmp_gt_i32_e64 s21, 0, v176
	v_not_b32_e32 v175, v176
	v_not_b32_e32 v176, v177
	v_xor_b32_e32 v63, s17, v63
	v_dual_ashrrev_i32 v172, 31, v172 :: v_dual_bitop2_b32 v171, s18, v171 bitop3:0x14
	s_delay_alu instid0(VALU_DEP_3) | instskip(SKIP_1) | instid1(VALU_DEP_3)
	v_dual_ashrrev_i32 v174, 31, v174 :: v_dual_ashrrev_i32 v176, 31, v176
	v_cmp_gt_i32_e64 s22, 0, v177
	v_bitop3_b32 v62, v62, v171, v63 bitop3:0x80
	v_mad_u32_u24 v63, v173, 36, v114
	v_dual_ashrrev_i32 v175, 31, v175 :: v_dual_bitop2_b32 v172, s19, v172 bitop3:0x14
	s_delay_alu instid0(VALU_DEP_4) | instskip(SKIP_4) | instid1(VALU_DEP_3)
	v_xor_b32_e32 v176, s22, v176
	ds_load_b32 v171, v63 offset:544
	v_mul_u32_u24_e32 v63, 36, v173
	v_xor_b32_e32 v174, s20, v174
	v_xor_b32_e32 v175, s21, v175
	; wave barrier
	v_add_nc_u32_e32 v173, v114, v63
	s_delay_alu instid0(VALU_DEP_3) | instskip(NEXT) | instid1(VALU_DEP_1)
	v_bitop3_b32 v62, v62, v174, v172 bitop3:0x80
	v_bitop3_b32 v62, v62, v176, v175 bitop3:0x80
	s_delay_alu instid0(VALU_DEP_1) | instskip(SKIP_1) | instid1(VALU_DEP_2)
	v_mbcnt_lo_u32_b32 v172, v62, 0
	v_cmp_ne_u32_e64 s17, 0, v62
	v_cmp_eq_u32_e32 vcc_lo, 0, v172
	s_and_b32 s18, s17, vcc_lo
	s_delay_alu instid0(SALU_CYCLE_1)
	s_and_saveexec_b32 s17, s18
	s_cbranch_execz .LBB419_149
; %bb.148:                              ;   in Loop: Header=BB419_108 Depth=2
	s_wait_dscnt 0x0
	v_bcnt_u32_b32 v62, v62, v171
	ds_store_b32 v173, v62 offset:544
.LBB419_149:                            ;   in Loop: Header=BB419_108 Depth=2
	s_or_b32 exec_lo, exec_lo, s17
	v_xor_b32_e32 v62, 0x80, v141
	v_xor_b32_e32 v63, 0x80, v140
	;; [unrolled: 1-line block ×4, first 2 shown]
	s_delay_alu instid0(VALU_DEP_4) | instskip(NEXT) | instid1(VALU_DEP_4)
	v_lshlrev_b16 v62, 8, v62
	v_lshlrev_b16 v63, 8, v63
	; wave barrier
	s_delay_alu instid0(VALU_DEP_2) | instskip(NEXT) | instid1(VALU_DEP_2)
	v_bitop3_b16 v138, v138, v62, 0xff bitop3:0xec
	v_bitop3_b16 v62, v139, v63, 0xff bitop3:0xec
	s_delay_alu instid0(VALU_DEP_2) | instskip(NEXT) | instid1(VALU_DEP_2)
	v_and_b32_e32 v63, 0xffff, v138
	v_lshlrev_b32_e32 v62, 16, v62
	s_delay_alu instid0(VALU_DEP_1) | instskip(NEXT) | instid1(VALU_DEP_1)
	v_or_b32_e32 v139, v63, v62
	v_bfe_u32 v62, v139, 8, 8
	s_delay_alu instid0(VALU_DEP_1) | instskip(NEXT) | instid1(VALU_DEP_1)
	v_lshrrev_b32_e32 v62, s48, v62
	v_bitop3_b32 v63, v62, 1, s58 bitop3:0x80
	v_and_b32_e32 v174, s58, v62
	s_delay_alu instid0(VALU_DEP_2) | instskip(NEXT) | instid1(VALU_DEP_1)
	v_add_co_u32 v62, s17, v63, -1
	v_cndmask_b32_e64 v63, 0, 1, s17
	s_delay_alu instid0(VALU_DEP_3) | instskip(NEXT) | instid1(VALU_DEP_2)
	v_dual_lshlrev_b32 v140, 30, v174 :: v_dual_lshlrev_b32 v141, 29, v174
	v_cmp_ne_u32_e32 vcc_lo, 0, v63
	s_delay_alu instid0(VALU_DEP_2) | instskip(SKIP_1) | instid1(VALU_DEP_4)
	v_cmp_gt_i32_e64 s17, 0, v140
	v_not_b32_e32 v63, v140
	v_not_b32_e32 v140, v141
	v_cmp_gt_i32_e64 s18, 0, v141
	v_bitop3_b32 v62, vcc_lo, exec_lo, v62 bitop3:0x48
	s_delay_alu instid0(VALU_DEP_3) | instskip(SKIP_2) | instid1(VALU_DEP_2)
	v_dual_ashrrev_i32 v63, 31, v63 :: v_dual_ashrrev_i32 v140, 31, v140
	v_dual_lshlrev_b32 v175, 28, v174 :: v_dual_lshlrev_b32 v176, 27, v174
	v_dual_lshlrev_b32 v177, 26, v174 :: v_dual_lshlrev_b32 v178, 25, v174
	v_cmp_gt_i32_e64 s19, 0, v175
	v_not_b32_e32 v141, v175
	s_delay_alu instid0(VALU_DEP_4)
	v_cmp_gt_i32_e64 s20, 0, v176
	v_not_b32_e32 v175, v176
	v_cmp_gt_i32_e64 s21, 0, v177
	v_not_b32_e32 v176, v177
	v_not_b32_e32 v177, v178
	v_xor_b32_e32 v63, s17, v63
	v_dual_ashrrev_i32 v141, 31, v141 :: v_dual_bitop2_b32 v140, s18, v140 bitop3:0x14
	s_delay_alu instid0(VALU_DEP_4) | instskip(NEXT) | instid1(VALU_DEP_4)
	v_dual_ashrrev_i32 v175, 31, v175 :: v_dual_ashrrev_i32 v176, 31, v176
	v_ashrrev_i32_e32 v177, 31, v177
	s_delay_alu instid0(VALU_DEP_3)
	v_bitop3_b32 v62, v62, v140, v63 bitop3:0x80
	v_mad_u32_u24 v63, v174, 36, v114
	v_cmp_gt_i32_e64 s22, 0, v178
	v_xor_b32_e32 v175, s20, v175
	v_xor_b32_e32 v176, s21, v176
	ds_load_b32 v140, v63 offset:544
	v_mul_u32_u24_e32 v63, 36, v174
	v_xor_b32_e32 v141, s19, v141
	v_xor_b32_e32 v177, s22, v177
	; wave barrier
	s_delay_alu instid0(VALU_DEP_3) | instskip(NEXT) | instid1(VALU_DEP_3)
	v_add_nc_u32_e32 v174, v114, v63
	v_bitop3_b32 v62, v62, v175, v141 bitop3:0x80
	s_delay_alu instid0(VALU_DEP_1) | instskip(NEXT) | instid1(VALU_DEP_1)
	v_bitop3_b32 v62, v62, v177, v176 bitop3:0x80
	v_mbcnt_lo_u32_b32 v141, v62, 0
	v_cmp_ne_u32_e64 s17, 0, v62
	s_delay_alu instid0(VALU_DEP_2) | instskip(SKIP_1) | instid1(SALU_CYCLE_1)
	v_cmp_eq_u32_e32 vcc_lo, 0, v141
	s_and_b32 s18, s17, vcc_lo
	s_and_saveexec_b32 s17, s18
	s_cbranch_execz .LBB419_151
; %bb.150:                              ;   in Loop: Header=BB419_108 Depth=2
	s_wait_dscnt 0x0
	v_bcnt_u32_b32 v62, v62, v140
	ds_store_b32 v174, v62 offset:544
.LBB419_151:                            ;   in Loop: Header=BB419_108 Depth=2
	s_or_b32 exec_lo, exec_lo, s17
	v_bfe_u32 v62, v139, 16, 8
	; wave barrier
	s_delay_alu instid0(VALU_DEP_1) | instskip(NEXT) | instid1(VALU_DEP_1)
	v_lshrrev_b32_e32 v62, s48, v62
	v_and_b32_e32 v177, s58, v62
	s_delay_alu instid0(VALU_DEP_1) | instskip(SKIP_1) | instid1(VALU_DEP_1)
	v_lshlrev_b32_e32 v175, 30, v177
	v_bitop3_b32 v63, v62, 1, s58 bitop3:0x80
	v_add_co_u32 v62, s17, v63, -1
	s_delay_alu instid0(VALU_DEP_1) | instskip(NEXT) | instid1(VALU_DEP_4)
	v_cndmask_b32_e64 v63, 0, 1, s17
	v_cmp_gt_i32_e64 s17, 0, v175
	s_delay_alu instid0(VALU_DEP_2) | instskip(SKIP_2) | instid1(VALU_DEP_2)
	v_cmp_ne_u32_e32 vcc_lo, 0, v63
	v_not_b32_e32 v63, v175
	v_bitop3_b32 v62, vcc_lo, exec_lo, v62 bitop3:0x48
	v_dual_ashrrev_i32 v63, 31, v63 :: v_dual_lshlrev_b32 v176, 29, v177
	v_dual_lshlrev_b32 v178, 28, v177 :: v_dual_lshlrev_b32 v179, 27, v177
	s_delay_alu instid0(VALU_DEP_2) | instskip(NEXT) | instid1(VALU_DEP_3)
	v_dual_lshlrev_b32 v180, 26, v177 :: v_dual_bitop2_b32 v63, s17, v63 bitop3:0x14
	v_not_b32_e32 v175, v176
	v_lshlrev_b32_e32 v181, 25, v177
	v_cmp_gt_i32_e64 s18, 0, v176
	v_cmp_gt_i32_e64 s19, 0, v178
	v_not_b32_e32 v176, v178
	v_not_b32_e32 v178, v179
	v_ashrrev_i32_e32 v175, 31, v175
	v_cmp_gt_i32_e64 s20, 0, v179
	v_cmp_gt_i32_e64 s21, 0, v180
	v_not_b32_e32 v179, v180
	v_dual_ashrrev_i32 v176, 31, v176 :: v_dual_ashrrev_i32 v178, 31, v178
	v_not_b32_e32 v180, v181
	v_xor_b32_e32 v175, s18, v175
	s_delay_alu instid0(VALU_DEP_3) | instskip(NEXT) | instid1(VALU_DEP_4)
	v_dual_ashrrev_i32 v179, 31, v179 :: v_dual_bitop2_b32 v176, s19, v176 bitop3:0x14
	v_xor_b32_e32 v178, s20, v178
	v_cmp_gt_i32_e32 vcc_lo, 0, v181
	s_delay_alu instid0(VALU_DEP_4) | instskip(SKIP_3) | instid1(VALU_DEP_4)
	v_bitop3_b32 v62, v62, v175, v63 bitop3:0x80
	v_ashrrev_i32_e32 v63, 31, v180
	v_mad_u32_u24 v175, v177, 36, v114
	v_xor_b32_e32 v179, s21, v179
	v_bitop3_b32 v62, v62, v178, v176 bitop3:0x80
	s_delay_alu instid0(VALU_DEP_4) | instskip(SKIP_3) | instid1(VALU_DEP_2)
	v_xor_b32_e32 v63, vcc_lo, v63
	ds_load_b32 v175, v175 offset:544
	; wave barrier
	v_bitop3_b32 v62, v62, v63, v179 bitop3:0x80
	v_mul_u32_u24_e32 v63, 36, v177
	v_mbcnt_lo_u32_b32 v176, v62, 0
	v_cmp_ne_u32_e64 s17, 0, v62
	s_delay_alu instid0(VALU_DEP_3) | instskip(NEXT) | instid1(VALU_DEP_3)
	v_add_nc_u32_e32 v178, v114, v63
	v_cmp_eq_u32_e32 vcc_lo, 0, v176
	s_and_b32 s18, s17, vcc_lo
	s_delay_alu instid0(SALU_CYCLE_1)
	s_and_saveexec_b32 s17, s18
	s_cbranch_execz .LBB419_153
; %bb.152:                              ;   in Loop: Header=BB419_108 Depth=2
	s_wait_dscnt 0x0
	v_bcnt_u32_b32 v62, v62, v175
	ds_store_b32 v178, v62 offset:544
.LBB419_153:                            ;   in Loop: Header=BB419_108 Depth=2
	s_or_b32 exec_lo, exec_lo, s17
	v_lshrrev_b32_e32 v177, 24, v139
	; wave barrier
	s_delay_alu instid0(VALU_DEP_1) | instskip(NEXT) | instid1(VALU_DEP_1)
	v_lshrrev_b32_e32 v62, s48, v177
	v_bitop3_b32 v63, v62, 1, s58 bitop3:0x80
	v_and_b32_e32 v181, s58, v62
	s_delay_alu instid0(VALU_DEP_2) | instskip(NEXT) | instid1(VALU_DEP_1)
	v_add_co_u32 v62, s17, v63, -1
	v_cndmask_b32_e64 v63, 0, 1, s17
	s_delay_alu instid0(VALU_DEP_3) | instskip(SKIP_1) | instid1(VALU_DEP_3)
	v_dual_lshlrev_b32 v179, 30, v181 :: v_dual_lshlrev_b32 v180, 29, v181
	v_dual_lshlrev_b32 v182, 28, v181 :: v_dual_lshlrev_b32 v183, 27, v181
	v_cmp_ne_u32_e32 vcc_lo, 0, v63
	s_delay_alu instid0(VALU_DEP_3)
	v_cmp_gt_i32_e64 s17, 0, v179
	v_not_b32_e32 v63, v179
	v_not_b32_e32 v179, v180
	v_dual_lshlrev_b32 v184, 26, v181 :: v_dual_lshlrev_b32 v185, 25, v181
	v_cmp_gt_i32_e64 s18, 0, v180
	v_cmp_gt_i32_e64 s19, 0, v182
	v_not_b32_e32 v180, v182
	v_not_b32_e32 v182, v183
	v_ashrrev_i32_e32 v63, 31, v63
	v_ashrrev_i32_e32 v179, 31, v179
	v_cmp_gt_i32_e64 s20, 0, v183
	v_cmp_gt_i32_e64 s21, 0, v184
	v_not_b32_e32 v183, v184
	v_bitop3_b32 v62, vcc_lo, exec_lo, v62 bitop3:0x48
	v_dual_ashrrev_i32 v180, 31, v180 :: v_dual_ashrrev_i32 v182, 31, v182
	v_xor_b32_e32 v63, s17, v63
	v_not_b32_e32 v184, v185
	v_xor_b32_e32 v179, s18, v179
	s_delay_alu instid0(VALU_DEP_4) | instskip(SKIP_2) | instid1(VALU_DEP_4)
	v_dual_ashrrev_i32 v183, 31, v183 :: v_dual_bitop2_b32 v180, s19, v180 bitop3:0x14
	v_xor_b32_e32 v182, s20, v182
	v_cmp_gt_i32_e32 vcc_lo, 0, v185
	v_bitop3_b32 v62, v62, v179, v63 bitop3:0x80
	v_ashrrev_i32_e32 v63, 31, v184
	v_mad_u32_u24 v179, v181, 36, v114
	v_xor_b32_e32 v183, s21, v183
	s_delay_alu instid0(VALU_DEP_4) | instskip(NEXT) | instid1(VALU_DEP_4)
	v_bitop3_b32 v62, v62, v182, v180 bitop3:0x80
	v_xor_b32_e32 v63, vcc_lo, v63
	ds_load_b32 v179, v179 offset:544
	; wave barrier
	v_bitop3_b32 v62, v62, v63, v183 bitop3:0x80
	v_mul_u32_u24_e32 v63, 36, v181
	s_delay_alu instid0(VALU_DEP_2) | instskip(SKIP_1) | instid1(VALU_DEP_3)
	v_mbcnt_lo_u32_b32 v180, v62, 0
	v_cmp_ne_u32_e64 s17, 0, v62
	v_add_nc_u32_e32 v181, v114, v63
	s_delay_alu instid0(VALU_DEP_3) | instskip(SKIP_1) | instid1(SALU_CYCLE_1)
	v_cmp_eq_u32_e32 vcc_lo, 0, v180
	s_and_b32 s18, s17, vcc_lo
	s_and_saveexec_b32 s17, s18
	s_cbranch_execz .LBB419_155
; %bb.154:                              ;   in Loop: Header=BB419_108 Depth=2
	s_wait_dscnt 0x0
	v_bcnt_u32_b32 v62, v62, v179
	ds_store_b32 v181, v62 offset:544
.LBB419_155:                            ;   in Loop: Header=BB419_108 Depth=2
	s_or_b32 exec_lo, exec_lo, s17
	v_bitop3_b16 v62, v64, s43, 0x80 bitop3:0x48
	; wave barrier
	s_delay_alu instid0(VALU_DEP_1) | instskip(NEXT) | instid1(VALU_DEP_1)
	v_and_b32_e32 v62, 0xffff, v62
	v_lshrrev_b32_e32 v62, s48, v62
	s_delay_alu instid0(VALU_DEP_1) | instskip(NEXT) | instid1(VALU_DEP_1)
	v_and_b32_e32 v184, s58, v62
	v_lshlrev_b32_e32 v182, 30, v184
	v_bitop3_b32 v63, v62, 1, s58 bitop3:0x80
	s_delay_alu instid0(VALU_DEP_1) | instskip(NEXT) | instid1(VALU_DEP_1)
	v_add_co_u32 v62, s17, v63, -1
	v_cndmask_b32_e64 v63, 0, 1, s17
	s_delay_alu instid0(VALU_DEP_4) | instskip(NEXT) | instid1(VALU_DEP_2)
	v_cmp_gt_i32_e64 s17, 0, v182
	v_cmp_ne_u32_e32 vcc_lo, 0, v63
	v_not_b32_e32 v63, v182
	v_bitop3_b32 v62, vcc_lo, exec_lo, v62 bitop3:0x48
	s_delay_alu instid0(VALU_DEP_2) | instskip(SKIP_2) | instid1(VALU_DEP_3)
	v_dual_ashrrev_i32 v63, 31, v63 :: v_dual_lshlrev_b32 v183, 29, v184
	v_dual_lshlrev_b32 v185, 28, v184 :: v_dual_lshlrev_b32 v186, 27, v184
	v_lshlrev_b32_e32 v187, 26, v184
	v_not_b32_e32 v182, v183
	v_lshlrev_b32_e32 v188, 25, v184
	v_cmp_gt_i32_e64 s18, 0, v183
	v_cmp_gt_i32_e64 s19, 0, v185
	v_not_b32_e32 v183, v185
	v_not_b32_e32 v185, v186
	v_ashrrev_i32_e32 v182, 31, v182
	v_cmp_gt_i32_e64 s20, 0, v186
	v_cmp_gt_i32_e64 s21, 0, v187
	v_not_b32_e32 v186, v187
	v_not_b32_e32 v187, v188
	v_dual_ashrrev_i32 v183, 31, v183 :: v_dual_ashrrev_i32 v185, 31, v185
	s_delay_alu instid0(VALU_DEP_3) | instskip(NEXT) | instid1(VALU_DEP_3)
	v_dual_ashrrev_i32 v186, 31, v186 :: v_dual_bitop2_b32 v63, s17, v63 bitop3:0x14
	v_dual_ashrrev_i32 v187, 31, v187 :: v_dual_bitop2_b32 v182, s18, v182 bitop3:0x14
	v_cmp_gt_i32_e64 s22, 0, v188
	s_delay_alu instid0(VALU_DEP_4) | instskip(SKIP_1) | instid1(VALU_DEP_4)
	v_xor_b32_e32 v183, s19, v183
	v_xor_b32_e32 v185, s20, v185
	v_bitop3_b32 v62, v62, v182, v63 bitop3:0x80
	v_mad_u32_u24 v63, v184, 36, v114
	v_xor_b32_e32 v187, s22, v187
	s_delay_alu instid0(VALU_DEP_3) | instskip(SKIP_3) | instid1(VALU_DEP_2)
	v_bitop3_b32 v62, v62, v185, v183 bitop3:0x80
	ds_load_b32 v182, v63 offset:544
	v_mul_u32_u24_e32 v63, 36, v184
	v_xor_b32_e32 v186, s21, v186
	; wave barrier
	v_add_nc_u32_e32 v185, v114, v63
	s_delay_alu instid0(VALU_DEP_2) | instskip(NEXT) | instid1(VALU_DEP_1)
	v_bitop3_b32 v62, v62, v187, v186 bitop3:0x80
	v_mbcnt_lo_u32_b32 v183, v62, 0
	v_cmp_ne_u32_e64 s17, 0, v62
	s_delay_alu instid0(VALU_DEP_2) | instskip(SKIP_1) | instid1(SALU_CYCLE_1)
	v_cmp_eq_u32_e32 vcc_lo, 0, v183
	s_and_b32 s18, s17, vcc_lo
	s_and_saveexec_b32 s17, s18
	s_cbranch_execz .LBB419_157
; %bb.156:                              ;   in Loop: Header=BB419_108 Depth=2
	s_wait_dscnt 0x0
	v_bcnt_u32_b32 v62, v62, v182
	ds_store_b32 v185, v62 offset:544
.LBB419_157:                            ;   in Loop: Header=BB419_108 Depth=2
	s_or_b32 exec_lo, exec_lo, s17
	v_xor_b32_e32 v62, 0x80, v136
	v_xor_b32_e32 v63, 0x80, v135
	;; [unrolled: 1-line block ×4, first 2 shown]
	s_delay_alu instid0(VALU_DEP_4) | instskip(NEXT) | instid1(VALU_DEP_4)
	v_lshlrev_b16 v62, 8, v62
	v_lshlrev_b16 v63, 8, v63
	; wave barrier
	s_delay_alu instid0(VALU_DEP_2) | instskip(NEXT) | instid1(VALU_DEP_2)
	v_bitop3_b16 v184, v64, v62, 0xff bitop3:0xec
	v_bitop3_b16 v62, v65, v63, 0xff bitop3:0xec
	s_delay_alu instid0(VALU_DEP_2) | instskip(NEXT) | instid1(VALU_DEP_2)
	v_and_b32_e32 v63, 0xffff, v184
	v_lshlrev_b32_e32 v62, 16, v62
	s_delay_alu instid0(VALU_DEP_1) | instskip(NEXT) | instid1(VALU_DEP_1)
	v_or_b32_e32 v135, v63, v62
	v_bfe_u32 v62, v135, 8, 8
	s_delay_alu instid0(VALU_DEP_1) | instskip(NEXT) | instid1(VALU_DEP_1)
	v_lshrrev_b32_e32 v62, s48, v62
	v_bitop3_b32 v63, v62, 1, s58 bitop3:0x80
	v_and_b32_e32 v64, s58, v62
	s_delay_alu instid0(VALU_DEP_2) | instskip(NEXT) | instid1(VALU_DEP_1)
	v_add_co_u32 v62, s17, v63, -1
	v_cndmask_b32_e64 v63, 0, 1, s17
	s_delay_alu instid0(VALU_DEP_3) | instskip(NEXT) | instid1(VALU_DEP_2)
	v_lshlrev_b32_e32 v65, 30, v64
	v_cmp_ne_u32_e32 vcc_lo, 0, v63
	s_delay_alu instid0(VALU_DEP_2) | instskip(SKIP_2) | instid1(VALU_DEP_3)
	v_not_b32_e32 v63, v65
	v_cmp_gt_i32_e64 s17, 0, v65
	v_bitop3_b32 v62, vcc_lo, exec_lo, v62 bitop3:0x48
	v_dual_ashrrev_i32 v63, 31, v63 :: v_dual_lshlrev_b32 v136, 29, v64
	v_dual_lshlrev_b32 v186, 28, v64 :: v_dual_lshlrev_b32 v187, 27, v64
	v_lshlrev_b32_e32 v188, 26, v64
	s_delay_alu instid0(VALU_DEP_3)
	v_not_b32_e32 v65, v136
	v_lshlrev_b32_e32 v189, 25, v64
	v_cmp_gt_i32_e64 s18, 0, v136
	v_cmp_gt_i32_e64 s19, 0, v186
	v_not_b32_e32 v136, v186
	v_not_b32_e32 v186, v187
	v_ashrrev_i32_e32 v65, 31, v65
	v_cmp_gt_i32_e64 s20, 0, v187
	v_cmp_gt_i32_e64 s21, 0, v188
	v_not_b32_e32 v187, v188
	v_not_b32_e32 v188, v189
	v_dual_ashrrev_i32 v136, 31, v136 :: v_dual_ashrrev_i32 v186, 31, v186
	v_xor_b32_e32 v63, s17, v63
	s_delay_alu instid0(VALU_DEP_4)
	v_dual_ashrrev_i32 v187, 31, v187 :: v_dual_bitop2_b32 v65, s18, v65 bitop3:0x14
	v_cmp_gt_i32_e64 s22, 0, v189
	v_ashrrev_i32_e32 v188, 31, v188
	v_xor_b32_e32 v136, s19, v136
	v_xor_b32_e32 v186, s20, v186
	v_bitop3_b32 v62, v62, v65, v63 bitop3:0x80
	v_mad_u32_u24 v63, v64, 36, v114
	v_xor_b32_e32 v65, s21, v187
	v_xor_b32_e32 v187, s22, v188
	s_delay_alu instid0(VALU_DEP_4) | instskip(SKIP_3) | instid1(VALU_DEP_2)
	v_bitop3_b32 v62, v62, v186, v136 bitop3:0x80
	ds_load_b32 v136, v63 offset:544
	v_mul_u32_u24_e32 v63, 36, v64
	; wave barrier
	v_bitop3_b32 v62, v62, v187, v65 bitop3:0x80
	v_add_nc_u32_e32 v187, v114, v63
	s_delay_alu instid0(VALU_DEP_2) | instskip(SKIP_1) | instid1(VALU_DEP_2)
	v_mbcnt_lo_u32_b32 v186, v62, 0
	v_cmp_ne_u32_e64 s17, 0, v62
	v_cmp_eq_u32_e32 vcc_lo, 0, v186
	s_and_b32 s18, s17, vcc_lo
	s_delay_alu instid0(SALU_CYCLE_1)
	s_and_saveexec_b32 s17, s18
	s_cbranch_execz .LBB419_159
; %bb.158:                              ;   in Loop: Header=BB419_108 Depth=2
	s_wait_dscnt 0x0
	v_bcnt_u32_b32 v62, v62, v136
	ds_store_b32 v187, v62 offset:544
.LBB419_159:                            ;   in Loop: Header=BB419_108 Depth=2
	s_or_b32 exec_lo, exec_lo, s17
	v_bfe_u32 v62, v135, 16, 8
	; wave barrier
	s_delay_alu instid0(VALU_DEP_1) | instskip(NEXT) | instid1(VALU_DEP_1)
	v_lshrrev_b32_e32 v62, s48, v62
	v_and_b32_e32 v64, s58, v62
	s_delay_alu instid0(VALU_DEP_1) | instskip(SKIP_1) | instid1(VALU_DEP_1)
	v_lshlrev_b32_e32 v65, 30, v64
	v_bitop3_b32 v63, v62, 1, s58 bitop3:0x80
	v_add_co_u32 v62, s17, v63, -1
	s_delay_alu instid0(VALU_DEP_1) | instskip(NEXT) | instid1(VALU_DEP_4)
	v_cndmask_b32_e64 v63, 0, 1, s17
	v_cmp_gt_i32_e64 s17, 0, v65
	s_delay_alu instid0(VALU_DEP_2) | instskip(SKIP_2) | instid1(VALU_DEP_2)
	v_cmp_ne_u32_e32 vcc_lo, 0, v63
	v_not_b32_e32 v63, v65
	v_bitop3_b32 v62, vcc_lo, exec_lo, v62 bitop3:0x48
	v_dual_ashrrev_i32 v63, 31, v63 :: v_dual_lshlrev_b32 v188, 29, v64
	v_dual_lshlrev_b32 v189, 28, v64 :: v_dual_lshlrev_b32 v190, 27, v64
	v_lshlrev_b32_e32 v191, 26, v64
	s_delay_alu instid0(VALU_DEP_3)
	v_not_b32_e32 v65, v188
	v_lshlrev_b32_e32 v192, 25, v64
	v_cmp_gt_i32_e64 s18, 0, v188
	v_cmp_gt_i32_e64 s19, 0, v189
	v_not_b32_e32 v188, v189
	v_not_b32_e32 v189, v190
	v_ashrrev_i32_e32 v65, 31, v65
	v_cmp_gt_i32_e64 s20, 0, v190
	v_cmp_gt_i32_e64 s21, 0, v191
	v_not_b32_e32 v190, v191
	v_dual_ashrrev_i32 v188, 31, v188 :: v_dual_ashrrev_i32 v189, 31, v189
	v_xor_b32_e32 v63, s17, v63
	v_not_b32_e32 v191, v192
	s_delay_alu instid0(VALU_DEP_4) | instskip(NEXT) | instid1(VALU_DEP_4)
	v_dual_ashrrev_i32 v190, 31, v190 :: v_dual_bitop2_b32 v65, s18, v65 bitop3:0x14
	v_xor_b32_e32 v188, s19, v188
	v_xor_b32_e32 v189, s20, v189
	v_cmp_gt_i32_e32 vcc_lo, 0, v192
	s_delay_alu instid0(VALU_DEP_4) | instskip(SKIP_3) | instid1(VALU_DEP_4)
	v_bitop3_b32 v62, v62, v65, v63 bitop3:0x80
	v_ashrrev_i32_e32 v63, 31, v191
	v_mad_u32_u24 v65, v64, 36, v114
	v_xor_b32_e32 v190, s21, v190
	v_bitop3_b32 v62, v62, v189, v188 bitop3:0x80
	s_delay_alu instid0(VALU_DEP_4) | instskip(SKIP_3) | instid1(VALU_DEP_2)
	v_xor_b32_e32 v63, vcc_lo, v63
	ds_load_b32 v188, v65 offset:544
	; wave barrier
	v_bitop3_b32 v62, v62, v63, v190 bitop3:0x80
	v_mul_u32_u24_e32 v63, 36, v64
	v_mbcnt_lo_u32_b32 v189, v62, 0
	v_cmp_ne_u32_e64 s17, 0, v62
	s_delay_alu instid0(VALU_DEP_3) | instskip(NEXT) | instid1(VALU_DEP_3)
	v_add_nc_u32_e32 v191, v114, v63
	v_cmp_eq_u32_e32 vcc_lo, 0, v189
	s_and_b32 s18, s17, vcc_lo
	s_delay_alu instid0(SALU_CYCLE_1)
	s_and_saveexec_b32 s17, s18
	s_cbranch_execz .LBB419_161
; %bb.160:                              ;   in Loop: Header=BB419_108 Depth=2
	s_wait_dscnt 0x0
	v_bcnt_u32_b32 v62, v62, v188
	ds_store_b32 v191, v62 offset:544
.LBB419_161:                            ;   in Loop: Header=BB419_108 Depth=2
	s_or_b32 exec_lo, exec_lo, s17
	v_lshrrev_b32_e32 v190, 24, v135
	; wave barrier
	s_delay_alu instid0(VALU_DEP_1) | instskip(NEXT) | instid1(VALU_DEP_1)
	v_lshrrev_b32_e32 v62, s48, v190
	v_and_b32_e32 v64, s58, v62
	s_delay_alu instid0(VALU_DEP_1) | instskip(SKIP_3) | instid1(VALU_DEP_3)
	v_lshlrev_b32_e32 v65, 30, v64
	v_bitop3_b32 v63, v62, 1, s58 bitop3:0x80
	v_dual_lshlrev_b32 v192, 29, v64 :: v_dual_lshlrev_b32 v193, 28, v64
	v_dual_lshlrev_b32 v194, 27, v64 :: v_dual_lshlrev_b32 v195, 26, v64
	v_add_co_u32 v62, s17, v63, -1
	s_delay_alu instid0(VALU_DEP_1)
	v_cndmask_b32_e64 v63, 0, 1, s17
	v_cmp_gt_i32_e64 s17, 0, v65
	v_cmp_gt_i32_e64 s18, 0, v192
	v_cmp_gt_i32_e64 s19, 0, v193
	v_cmp_gt_i32_e64 s20, 0, v194
	v_cmp_ne_u32_e32 vcc_lo, 0, v63
	v_not_b32_e32 v63, v65
	v_not_b32_e32 v65, v192
	v_lshlrev_b32_e32 v196, 25, v64
	v_not_b32_e32 v192, v193
	v_not_b32_e32 v193, v194
	s_delay_alu instid0(VALU_DEP_4)
	v_dual_ashrrev_i32 v63, 31, v63 :: v_dual_ashrrev_i32 v65, 31, v65
	v_cmp_gt_i32_e64 s21, 0, v195
	v_not_b32_e32 v194, v195
	v_bitop3_b32 v62, vcc_lo, exec_lo, v62 bitop3:0x48
	v_dual_ashrrev_i32 v192, 31, v192 :: v_dual_ashrrev_i32 v193, 31, v193
	v_xor_b32_e32 v63, s17, v63
	s_delay_alu instid0(VALU_DEP_4) | instskip(SKIP_1) | instid1(VALU_DEP_4)
	v_dual_ashrrev_i32 v194, 31, v194 :: v_dual_bitop2_b32 v65, s18, v65 bitop3:0x14
	v_not_b32_e32 v195, v196
	v_xor_b32_e32 v192, s19, v192
	v_xor_b32_e32 v193, s20, v193
	s_delay_alu instid0(VALU_DEP_4)
	v_bitop3_b32 v62, v62, v65, v63 bitop3:0x80
	v_cmp_gt_i32_e32 vcc_lo, 0, v196
	v_ashrrev_i32_e32 v63, 31, v195
	v_mad_u32_u24 v65, v64, 36, v114
	v_xor_b32_e32 v194, s21, v194
	v_bitop3_b32 v62, v62, v193, v192 bitop3:0x80
	s_delay_alu instid0(VALU_DEP_4) | instskip(SKIP_3) | instid1(VALU_DEP_2)
	v_xor_b32_e32 v63, vcc_lo, v63
	ds_load_b32 v192, v65 offset:544
	; wave barrier
	v_bitop3_b32 v62, v62, v63, v194 bitop3:0x80
	v_mul_u32_u24_e32 v63, 36, v64
	v_mbcnt_lo_u32_b32 v193, v62, 0
	v_cmp_ne_u32_e64 s17, 0, v62
	s_delay_alu instid0(VALU_DEP_3) | instskip(NEXT) | instid1(VALU_DEP_3)
	v_add_nc_u32_e32 v194, v114, v63
	v_cmp_eq_u32_e32 vcc_lo, 0, v193
	s_and_b32 s18, s17, vcc_lo
	s_delay_alu instid0(SALU_CYCLE_1)
	s_and_saveexec_b32 s17, s18
	s_cbranch_execz .LBB419_163
; %bb.162:                              ;   in Loop: Header=BB419_108 Depth=2
	s_wait_dscnt 0x0
	v_bcnt_u32_b32 v62, v62, v192
	ds_store_b32 v194, v62 offset:544
.LBB419_163:                            ;   in Loop: Header=BB419_108 Depth=2
	s_or_b32 exec_lo, exec_lo, s17
	v_xor_b32_e32 v115, 0xffffff80, v115
	; wave barrier
	s_delay_alu instid0(VALU_DEP_1) | instskip(NEXT) | instid1(VALU_DEP_1)
	v_and_b32_e32 v62, 0xff, v115
	v_lshrrev_b32_e32 v62, s48, v62
	s_delay_alu instid0(VALU_DEP_1) | instskip(NEXT) | instid1(VALU_DEP_1)
	v_and_b32_e32 v64, s58, v62
	v_lshlrev_b32_e32 v65, 30, v64
	v_bitop3_b32 v63, v62, 1, s58 bitop3:0x80
	s_delay_alu instid0(VALU_DEP_1) | instskip(NEXT) | instid1(VALU_DEP_1)
	v_add_co_u32 v62, s17, v63, -1
	v_cndmask_b32_e64 v63, 0, 1, s17
	s_delay_alu instid0(VALU_DEP_4) | instskip(NEXT) | instid1(VALU_DEP_2)
	v_cmp_gt_i32_e64 s17, 0, v65
	v_cmp_ne_u32_e32 vcc_lo, 0, v63
	v_not_b32_e32 v63, v65
	v_bitop3_b32 v62, vcc_lo, exec_lo, v62 bitop3:0x48
	s_delay_alu instid0(VALU_DEP_2) | instskip(SKIP_2) | instid1(VALU_DEP_3)
	v_dual_ashrrev_i32 v63, 31, v63 :: v_dual_lshlrev_b32 v195, 29, v64
	v_dual_lshlrev_b32 v196, 28, v64 :: v_dual_lshlrev_b32 v197, 27, v64
	v_lshlrev_b32_e32 v198, 26, v64
	v_not_b32_e32 v65, v195
	v_lshlrev_b32_e32 v199, 25, v64
	v_cmp_gt_i32_e64 s18, 0, v195
	v_cmp_gt_i32_e64 s19, 0, v196
	v_not_b32_e32 v195, v196
	v_not_b32_e32 v196, v197
	v_ashrrev_i32_e32 v65, 31, v65
	v_cmp_gt_i32_e64 s20, 0, v197
	v_cmp_gt_i32_e64 s21, 0, v198
	v_not_b32_e32 v197, v198
	v_not_b32_e32 v198, v199
	v_dual_ashrrev_i32 v195, 31, v195 :: v_dual_ashrrev_i32 v196, 31, v196
	s_delay_alu instid0(VALU_DEP_3) | instskip(NEXT) | instid1(VALU_DEP_3)
	v_dual_ashrrev_i32 v197, 31, v197 :: v_dual_bitop2_b32 v63, s17, v63 bitop3:0x14
	v_dual_ashrrev_i32 v198, 31, v198 :: v_dual_bitop2_b32 v65, s18, v65 bitop3:0x14
	v_cmp_gt_i32_e64 s22, 0, v199
	s_delay_alu instid0(VALU_DEP_4) | instskip(SKIP_1) | instid1(VALU_DEP_4)
	v_xor_b32_e32 v195, s19, v195
	v_xor_b32_e32 v196, s20, v196
	v_bitop3_b32 v62, v62, v65, v63 bitop3:0x80
	v_mad_u32_u24 v63, v64, 36, v114
	v_xor_b32_e32 v65, s21, v197
	v_xor_b32_e32 v197, s22, v198
	s_delay_alu instid0(VALU_DEP_4) | instskip(SKIP_3) | instid1(VALU_DEP_2)
	v_bitop3_b32 v62, v62, v196, v195 bitop3:0x80
	ds_load_b32 v195, v63 offset:544
	v_mul_u32_u24_e32 v63, 36, v64
	; wave barrier
	v_bitop3_b32 v62, v62, v197, v65 bitop3:0x80
	v_add_nc_u32_e32 v197, v114, v63
	s_delay_alu instid0(VALU_DEP_2) | instskip(SKIP_1) | instid1(VALU_DEP_2)
	v_mbcnt_lo_u32_b32 v196, v62, 0
	v_cmp_ne_u32_e64 s17, 0, v62
	v_cmp_eq_u32_e32 vcc_lo, 0, v196
	s_and_b32 s18, s17, vcc_lo
	s_delay_alu instid0(SALU_CYCLE_1)
	s_and_saveexec_b32 s17, s18
	s_cbranch_execz .LBB419_165
; %bb.164:                              ;   in Loop: Header=BB419_108 Depth=2
	s_wait_dscnt 0x0
	v_bcnt_u32_b32 v62, v62, v195
	ds_store_b32 v197, v62 offset:544
.LBB419_165:                            ;   in Loop: Header=BB419_108 Depth=2
	s_or_b32 exec_lo, exec_lo, s17
	; wave barrier
	s_wait_dscnt 0x0
	s_barrier_signal -1
	s_barrier_wait -1
	ds_load_2addr_b32 v[64:65], v90 offset0:136 offset1:137
	ds_load_2addr_b32 v[62:63], v90 offset0:138 offset1:139
	ds_load_b32 v198, v90 offset:560
	s_wait_dscnt 0x1
	v_add3_u32 v199, v65, v64, v62
	s_wait_dscnt 0x0
	s_delay_alu instid0(VALU_DEP_1) | instskip(NEXT) | instid1(VALU_DEP_1)
	v_add3_u32 v198, v199, v63, v198
	v_mov_b32_dpp v199, v198 row_shr:1 row_mask:0xf bank_mask:0xf
	s_delay_alu instid0(VALU_DEP_1) | instskip(NEXT) | instid1(VALU_DEP_1)
	v_cndmask_b32_e64 v199, v199, 0, s8
	v_add_nc_u32_e32 v198, v199, v198
	s_delay_alu instid0(VALU_DEP_1) | instskip(NEXT) | instid1(VALU_DEP_1)
	v_mov_b32_dpp v199, v198 row_shr:2 row_mask:0xf bank_mask:0xf
	v_cndmask_b32_e64 v199, 0, v199, s9
	s_delay_alu instid0(VALU_DEP_1) | instskip(NEXT) | instid1(VALU_DEP_1)
	v_add_nc_u32_e32 v198, v198, v199
	v_mov_b32_dpp v199, v198 row_shr:4 row_mask:0xf bank_mask:0xf
	s_delay_alu instid0(VALU_DEP_1) | instskip(NEXT) | instid1(VALU_DEP_1)
	v_cndmask_b32_e64 v199, 0, v199, s10
	v_add_nc_u32_e32 v198, v198, v199
	s_delay_alu instid0(VALU_DEP_1) | instskip(NEXT) | instid1(VALU_DEP_1)
	v_mov_b32_dpp v199, v198 row_shr:8 row_mask:0xf bank_mask:0xf
	v_cndmask_b32_e64 v199, 0, v199, s11
	s_delay_alu instid0(VALU_DEP_1) | instskip(SKIP_3) | instid1(VALU_DEP_1)
	v_add_nc_u32_e32 v198, v198, v199
	ds_swizzle_b32 v199, v198 offset:swizzle(BROADCAST,32,15)
	s_wait_dscnt 0x0
	v_cndmask_b32_e64 v199, v199, 0, s12
	v_add_nc_u32_e32 v198, v198, v199
	s_and_saveexec_b32 s17, s2
; %bb.166:                              ;   in Loop: Header=BB419_108 Depth=2
	ds_store_b32 v83, v198 offset:512
; %bb.167:                              ;   in Loop: Header=BB419_108 Depth=2
	s_or_b32 exec_lo, exec_lo, s17
	s_wait_dscnt 0x0
	s_barrier_signal -1
	s_barrier_wait -1
	s_and_saveexec_b32 s17, s3
	s_cbranch_execz .LBB419_169
; %bb.168:                              ;   in Loop: Header=BB419_108 Depth=2
	ds_load_b32 v199, v92 offset:512
	s_wait_dscnt 0x0
	v_mov_b32_dpp v200, v199 row_shr:1 row_mask:0xf bank_mask:0xf
	s_delay_alu instid0(VALU_DEP_1) | instskip(NEXT) | instid1(VALU_DEP_1)
	v_cndmask_b32_e64 v200, v200, 0, s14
	v_add_nc_u32_e32 v199, v200, v199
	s_delay_alu instid0(VALU_DEP_1) | instskip(NEXT) | instid1(VALU_DEP_1)
	v_mov_b32_dpp v200, v199 row_shr:2 row_mask:0xf bank_mask:0xf
	v_cndmask_b32_e64 v200, 0, v200, s15
	s_delay_alu instid0(VALU_DEP_1) | instskip(NEXT) | instid1(VALU_DEP_1)
	v_add_nc_u32_e32 v199, v199, v200
	v_mov_b32_dpp v200, v199 row_shr:4 row_mask:0xf bank_mask:0xf
	s_delay_alu instid0(VALU_DEP_1) | instskip(NEXT) | instid1(VALU_DEP_1)
	v_cndmask_b32_e64 v200, 0, v200, s16
	v_add_nc_u32_e32 v199, v199, v200
	ds_store_b32 v92, v199 offset:512
.LBB419_169:                            ;   in Loop: Header=BB419_108 Depth=2
	s_or_b32 exec_lo, exec_lo, s17
	v_mov_b32_e32 v199, 0
	s_wait_dscnt 0x0
	s_barrier_signal -1
	s_barrier_wait -1
	s_and_saveexec_b32 s17, s5
; %bb.170:                              ;   in Loop: Header=BB419_108 Depth=2
	ds_load_b32 v199, v83 offset:508
; %bb.171:                              ;   in Loop: Header=BB419_108 Depth=2
	s_or_b32 exec_lo, exec_lo, s17
	s_wait_dscnt 0x0
	v_add_nc_u32_e32 v198, v199, v198
	ds_bpermute_b32 v198, v96, v198
	s_wait_dscnt 0x0
	v_cndmask_b32_e64 v198, v198, v199, s13
	s_delay_alu instid0(VALU_DEP_1) | instskip(NEXT) | instid1(VALU_DEP_1)
	v_cndmask_b32_e64 v198, v198, 0, s6
	v_add_nc_u32_e32 v64, v198, v64
	s_delay_alu instid0(VALU_DEP_1) | instskip(NEXT) | instid1(VALU_DEP_1)
	v_add_nc_u32_e32 v65, v64, v65
	v_add_nc_u32_e32 v62, v65, v62
	s_delay_alu instid0(VALU_DEP_1)
	v_add_nc_u32_e32 v63, v62, v63
	ds_store_2addr_b32 v90, v198, v64 offset0:136 offset1:137
	ds_store_2addr_b32 v90, v65, v62 offset0:138 offset1:139
	ds_store_b32 v90, v63 offset:560
	s_wait_dscnt 0x0
	s_barrier_signal -1
	s_barrier_wait -1
	ds_load_b32 v62, v149 offset:544
	ds_load_b32 v63, v152 offset:544
	;; [unrolled: 1-line block ×17, first 2 shown]
	s_and_saveexec_b32 s17, s0
	s_cbranch_execz .LBB419_175
; %bb.172:                              ;   in Loop: Header=BB419_108 Depth=2
	v_dual_mov_b32 v134, 0x1100 :: v_dual_add_nc_u32 v133, v92, v94
	ds_load_b32 v133, v133 offset:544
	s_and_saveexec_b32 s18, s7
; %bb.173:                              ;   in Loop: Header=BB419_108 Depth=2
	ds_load_b32 v134, v93 offset:544
; %bb.174:                              ;   in Loop: Header=BB419_108 Depth=2
	s_or_b32 exec_lo, exec_lo, s18
	s_wait_dscnt 0x0
	v_sub_nc_u32_e32 v134, v134, v133
.LBB419_175:                            ;   in Loop: Header=BB419_108 Depth=2
	s_or_b32 exec_lo, exec_lo, s17
	v_dual_lshrrev_b32 v202, 8, v148 :: v_dual_lshrrev_b32 v203, 16, v148
	v_dual_lshrrev_b32 v200, 8, v143 :: v_dual_lshrrev_b32 v201, 16, v143
	;; [unrolled: 1-line block ×4, first 2 shown]
	s_wait_dscnt 0x0
	s_barrier_signal -1
	s_barrier_wait -1
	s_and_saveexec_b32 s17, s0
	s_cbranch_execz .LBB419_177
; %bb.176:                              ;   in Loop: Header=BB419_108 Depth=2
	ds_load_b32 v135, v66
	s_wait_dscnt 0x0
	v_sub_nc_u32_e32 v135, v135, v133
	ds_store_b32 v66, v135
.LBB419_177:                            ;   in Loop: Header=BB419_108 Depth=2
	s_or_b32 exec_lo, exec_lo, s17
	v_add_nc_u32_e32 v156, v62, v146
	v_add3_u32 v152, v151, v150, v63
	v_add3_u32 v151, v154, v153, v64
	;; [unrolled: 1-line block ×16, first 2 shown]
	v_cmp_lt_u32_e32 vcc_lo, v2, v137
	ds_store_b8 v156, v147 offset:512
	ds_store_b8 v152, v202 offset:512
	;; [unrolled: 1-line block ×17, first 2 shown]
	s_wait_dscnt 0x0
	s_barrier_signal -1
	s_barrier_wait -1
	s_and_saveexec_b32 s17, vcc_lo
	s_cbranch_execnz .LBB419_250
; %bb.178:                              ;   in Loop: Header=BB419_108 Depth=2
	s_or_b32 exec_lo, exec_lo, s17
	v_cmp_lt_u32_e64 s17, v67, v137
	s_and_saveexec_b32 s18, s17
	s_cbranch_execnz .LBB419_251
.LBB419_179:                            ;   in Loop: Header=BB419_108 Depth=2
	s_or_b32 exec_lo, exec_lo, s18
	v_cmp_lt_u32_e64 s18, v68, v137
	s_and_saveexec_b32 s19, s18
	s_cbranch_execnz .LBB419_252
.LBB419_180:                            ;   in Loop: Header=BB419_108 Depth=2
	s_or_b32 exec_lo, exec_lo, s19
	v_cmp_lt_u32_e64 s19, v69, v137
	s_and_saveexec_b32 s20, s19
	s_cbranch_execnz .LBB419_253
.LBB419_181:                            ;   in Loop: Header=BB419_108 Depth=2
	s_or_b32 exec_lo, exec_lo, s20
	v_cmp_lt_u32_e64 s20, v70, v137
	s_and_saveexec_b32 s21, s20
	s_cbranch_execnz .LBB419_254
.LBB419_182:                            ;   in Loop: Header=BB419_108 Depth=2
	s_or_b32 exec_lo, exec_lo, s21
	v_cmp_lt_u32_e64 s21, v71, v137
	s_and_saveexec_b32 s22, s21
	s_cbranch_execnz .LBB419_255
.LBB419_183:                            ;   in Loop: Header=BB419_108 Depth=2
	s_or_b32 exec_lo, exec_lo, s22
	v_cmp_lt_u32_e64 s22, v72, v137
	s_and_saveexec_b32 s23, s22
	s_cbranch_execnz .LBB419_256
.LBB419_184:                            ;   in Loop: Header=BB419_108 Depth=2
	s_or_b32 exec_lo, exec_lo, s23
	v_cmp_lt_u32_e64 s23, v73, v137
	s_and_saveexec_b32 s24, s23
	s_cbranch_execnz .LBB419_257
.LBB419_185:                            ;   in Loop: Header=BB419_108 Depth=2
	s_or_b32 exec_lo, exec_lo, s24
	v_cmp_lt_u32_e64 s24, v74, v137
	s_and_saveexec_b32 s25, s24
	s_cbranch_execnz .LBB419_258
.LBB419_186:                            ;   in Loop: Header=BB419_108 Depth=2
	s_or_b32 exec_lo, exec_lo, s25
	v_cmp_lt_u32_e64 s25, v75, v137
	s_and_saveexec_b32 s26, s25
	s_cbranch_execnz .LBB419_259
.LBB419_187:                            ;   in Loop: Header=BB419_108 Depth=2
	s_or_b32 exec_lo, exec_lo, s26
	v_cmp_lt_u32_e64 s26, v76, v137
	s_and_saveexec_b32 s27, s26
	s_cbranch_execnz .LBB419_260
.LBB419_188:                            ;   in Loop: Header=BB419_108 Depth=2
	s_or_b32 exec_lo, exec_lo, s27
	v_cmp_lt_u32_e64 s27, v77, v137
	s_and_saveexec_b32 s28, s27
	s_cbranch_execnz .LBB419_261
.LBB419_189:                            ;   in Loop: Header=BB419_108 Depth=2
	s_or_b32 exec_lo, exec_lo, s28
	v_cmp_lt_u32_e64 s28, v78, v137
	s_and_saveexec_b32 s29, s28
	s_cbranch_execnz .LBB419_262
.LBB419_190:                            ;   in Loop: Header=BB419_108 Depth=2
	s_or_b32 exec_lo, exec_lo, s29
	v_cmp_lt_u32_e64 s29, v79, v137
	s_and_saveexec_b32 s30, s29
	s_cbranch_execnz .LBB419_263
.LBB419_191:                            ;   in Loop: Header=BB419_108 Depth=2
	s_or_b32 exec_lo, exec_lo, s30
	v_cmp_lt_u32_e64 s30, v80, v137
	s_and_saveexec_b32 s31, s30
	s_cbranch_execnz .LBB419_264
.LBB419_192:                            ;   in Loop: Header=BB419_108 Depth=2
	s_or_b32 exec_lo, exec_lo, s31
	v_cmp_lt_u32_e64 s31, v81, v137
	s_and_saveexec_b32 s33, s31
	s_cbranch_execnz .LBB419_265
.LBB419_193:                            ;   in Loop: Header=BB419_108 Depth=2
	s_or_b32 exec_lo, exec_lo, s33
	v_cmp_lt_u32_e64 s33, v82, v137
	s_and_saveexec_b32 s61, s33
	s_cbranch_execz .LBB419_195
.LBB419_194:                            ;   in Loop: Header=BB419_108 Depth=2
	ds_load_u8 v62, v2 offset:4608
	s_wait_dscnt 0x0
	v_and_b32_e32 v63, 0xff, v62
	v_xor_b32_e32 v62, 0x80, v62
	s_delay_alu instid0(VALU_DEP_2) | instskip(NEXT) | instid1(VALU_DEP_1)
	v_lshrrev_b32_e32 v63, s48, v63
	v_and_b32_e32 v63, s58, v63
	s_delay_alu instid0(VALU_DEP_1)
	v_lshlrev_b32_e32 v63, 2, v63
	ds_load_b32 v63, v63
	s_wait_dscnt 0x0
	v_add_nc_u32_e32 v63, v63, v82
	global_store_b8 v63, v62, s[38:39]
.LBB419_195:                            ;   in Loop: Header=BB419_108 Depth=2
	s_wait_xcnt 0x0
	s_or_b32 exec_lo, exec_lo, s61
	v_lshl_add_u64 v[62:63], s[34:35], 3, v[26:27]
	v_cmp_lt_u32_e64 s34, v97, v137
	s_and_saveexec_b32 s61, s34
	s_delay_alu instid0(SALU_CYCLE_1)
	s_xor_b32 s34, exec_lo, s61
	s_cbranch_execnz .LBB419_266
; %bb.196:                              ;   in Loop: Header=BB419_108 Depth=2
	s_or_b32 exec_lo, exec_lo, s34
	s_delay_alu instid0(SALU_CYCLE_1)
	s_mov_b32 s61, exec_lo
	v_cmpx_lt_u32_e64 v98, v137
	s_cbranch_execnz .LBB419_267
.LBB419_197:                            ;   in Loop: Header=BB419_108 Depth=2
	s_or_b32 exec_lo, exec_lo, s61
	s_delay_alu instid0(SALU_CYCLE_1)
	s_mov_b32 s61, exec_lo
	v_cmpx_lt_u32_e64 v99, v137
	s_cbranch_execnz .LBB419_268
.LBB419_198:                            ;   in Loop: Header=BB419_108 Depth=2
	s_or_b32 exec_lo, exec_lo, s61
	s_delay_alu instid0(SALU_CYCLE_1)
	s_mov_b32 s61, exec_lo
	v_cmpx_lt_u32_e64 v100, v137
	s_cbranch_execnz .LBB419_269
.LBB419_199:                            ;   in Loop: Header=BB419_108 Depth=2
	s_or_b32 exec_lo, exec_lo, s61
	s_delay_alu instid0(SALU_CYCLE_1)
	s_mov_b32 s61, exec_lo
	v_cmpx_lt_u32_e64 v101, v137
	s_cbranch_execnz .LBB419_270
.LBB419_200:                            ;   in Loop: Header=BB419_108 Depth=2
	s_or_b32 exec_lo, exec_lo, s61
	s_delay_alu instid0(SALU_CYCLE_1)
	s_mov_b32 s61, exec_lo
	v_cmpx_lt_u32_e64 v102, v137
	s_cbranch_execnz .LBB419_271
.LBB419_201:                            ;   in Loop: Header=BB419_108 Depth=2
	s_or_b32 exec_lo, exec_lo, s61
	s_delay_alu instid0(SALU_CYCLE_1)
	s_mov_b32 s61, exec_lo
	v_cmpx_lt_u32_e64 v103, v137
	s_cbranch_execnz .LBB419_272
.LBB419_202:                            ;   in Loop: Header=BB419_108 Depth=2
	s_or_b32 exec_lo, exec_lo, s61
	s_delay_alu instid0(SALU_CYCLE_1)
	s_mov_b32 s61, exec_lo
	v_cmpx_lt_u32_e64 v104, v137
	s_cbranch_execnz .LBB419_273
.LBB419_203:                            ;   in Loop: Header=BB419_108 Depth=2
	s_or_b32 exec_lo, exec_lo, s61
	s_delay_alu instid0(SALU_CYCLE_1)
	s_mov_b32 s61, exec_lo
	v_cmpx_lt_u32_e64 v105, v137
	s_cbranch_execnz .LBB419_274
.LBB419_204:                            ;   in Loop: Header=BB419_108 Depth=2
	s_or_b32 exec_lo, exec_lo, s61
	s_delay_alu instid0(SALU_CYCLE_1)
	s_mov_b32 s61, exec_lo
	v_cmpx_lt_u32_e64 v106, v137
	s_cbranch_execnz .LBB419_275
.LBB419_205:                            ;   in Loop: Header=BB419_108 Depth=2
	s_or_b32 exec_lo, exec_lo, s61
	s_delay_alu instid0(SALU_CYCLE_1)
	s_mov_b32 s61, exec_lo
	v_cmpx_lt_u32_e64 v107, v137
	s_cbranch_execnz .LBB419_276
.LBB419_206:                            ;   in Loop: Header=BB419_108 Depth=2
	s_or_b32 exec_lo, exec_lo, s61
	s_delay_alu instid0(SALU_CYCLE_1)
	s_mov_b32 s61, exec_lo
	v_cmpx_lt_u32_e64 v108, v137
	s_cbranch_execnz .LBB419_277
.LBB419_207:                            ;   in Loop: Header=BB419_108 Depth=2
	s_or_b32 exec_lo, exec_lo, s61
	s_delay_alu instid0(SALU_CYCLE_1)
	s_mov_b32 s61, exec_lo
	v_cmpx_lt_u32_e64 v109, v137
	s_cbranch_execnz .LBB419_278
.LBB419_208:                            ;   in Loop: Header=BB419_108 Depth=2
	s_or_b32 exec_lo, exec_lo, s61
	s_delay_alu instid0(SALU_CYCLE_1)
	s_mov_b32 s61, exec_lo
	v_cmpx_lt_u32_e64 v110, v137
	s_cbranch_execnz .LBB419_279
.LBB419_209:                            ;   in Loop: Header=BB419_108 Depth=2
	s_or_b32 exec_lo, exec_lo, s61
	s_delay_alu instid0(SALU_CYCLE_1)
	s_mov_b32 s61, exec_lo
	v_cmpx_lt_u32_e64 v111, v137
	s_cbranch_execnz .LBB419_280
.LBB419_210:                            ;   in Loop: Header=BB419_108 Depth=2
	s_or_b32 exec_lo, exec_lo, s61
	s_delay_alu instid0(SALU_CYCLE_1)
	s_mov_b32 s61, exec_lo
	v_cmpx_lt_u32_e64 v112, v137
	s_cbranch_execnz .LBB419_281
.LBB419_211:                            ;   in Loop: Header=BB419_108 Depth=2
	s_or_b32 exec_lo, exec_lo, s61
	s_delay_alu instid0(SALU_CYCLE_1)
	s_mov_b32 s61, exec_lo
	v_cmpx_lt_u32_e64 v113, v137
	s_cbranch_execnz .LBB419_282
.LBB419_212:                            ;   in Loop: Header=BB419_108 Depth=2
	s_or_b32 exec_lo, exec_lo, s61
	s_and_saveexec_b32 s34, vcc_lo
	s_cbranch_execnz .LBB419_283
.LBB419_213:                            ;   in Loop: Header=BB419_108 Depth=2
	s_or_b32 exec_lo, exec_lo, s34
	s_and_saveexec_b32 s34, s17
	s_cbranch_execnz .LBB419_284
.LBB419_214:                            ;   in Loop: Header=BB419_108 Depth=2
	s_or_b32 exec_lo, exec_lo, s34
	s_and_saveexec_b32 s34, s18
	s_cbranch_execnz .LBB419_285
.LBB419_215:                            ;   in Loop: Header=BB419_108 Depth=2
	s_or_b32 exec_lo, exec_lo, s34
	s_and_saveexec_b32 s34, s19
	s_cbranch_execnz .LBB419_286
.LBB419_216:                            ;   in Loop: Header=BB419_108 Depth=2
	s_or_b32 exec_lo, exec_lo, s34
	s_and_saveexec_b32 s34, s20
	s_cbranch_execnz .LBB419_287
.LBB419_217:                            ;   in Loop: Header=BB419_108 Depth=2
	s_or_b32 exec_lo, exec_lo, s34
	s_and_saveexec_b32 s34, s21
	s_cbranch_execnz .LBB419_288
.LBB419_218:                            ;   in Loop: Header=BB419_108 Depth=2
	s_or_b32 exec_lo, exec_lo, s34
	s_and_saveexec_b32 s34, s22
	s_cbranch_execnz .LBB419_289
.LBB419_219:                            ;   in Loop: Header=BB419_108 Depth=2
	s_or_b32 exec_lo, exec_lo, s34
	s_and_saveexec_b32 s34, s23
	s_cbranch_execnz .LBB419_290
.LBB419_220:                            ;   in Loop: Header=BB419_108 Depth=2
	s_or_b32 exec_lo, exec_lo, s34
	s_and_saveexec_b32 s34, s24
	s_cbranch_execnz .LBB419_291
.LBB419_221:                            ;   in Loop: Header=BB419_108 Depth=2
	s_or_b32 exec_lo, exec_lo, s34
	s_and_saveexec_b32 s34, s25
	s_cbranch_execnz .LBB419_292
.LBB419_222:                            ;   in Loop: Header=BB419_108 Depth=2
	s_or_b32 exec_lo, exec_lo, s34
	s_and_saveexec_b32 s34, s26
	s_cbranch_execnz .LBB419_293
.LBB419_223:                            ;   in Loop: Header=BB419_108 Depth=2
	s_or_b32 exec_lo, exec_lo, s34
	s_and_saveexec_b32 s34, s27
	s_cbranch_execnz .LBB419_294
.LBB419_224:                            ;   in Loop: Header=BB419_108 Depth=2
	s_or_b32 exec_lo, exec_lo, s34
	s_and_saveexec_b32 s34, s28
	s_cbranch_execnz .LBB419_295
.LBB419_225:                            ;   in Loop: Header=BB419_108 Depth=2
	s_or_b32 exec_lo, exec_lo, s34
	s_and_saveexec_b32 s34, s29
	s_cbranch_execnz .LBB419_296
.LBB419_226:                            ;   in Loop: Header=BB419_108 Depth=2
	s_or_b32 exec_lo, exec_lo, s34
	s_and_saveexec_b32 s34, s30
	s_cbranch_execnz .LBB419_297
.LBB419_227:                            ;   in Loop: Header=BB419_108 Depth=2
	s_or_b32 exec_lo, exec_lo, s34
	s_and_saveexec_b32 s34, s31
	s_cbranch_execnz .LBB419_298
.LBB419_228:                            ;   in Loop: Header=BB419_108 Depth=2
	s_or_b32 exec_lo, exec_lo, s34
	s_and_saveexec_b32 s34, s33
	s_cbranch_execz .LBB419_230
.LBB419_229:                            ;   in Loop: Header=BB419_108 Depth=2
	ds_load_u8 v62, v2 offset:4608
	s_wait_dscnt 0x0
	v_lshrrev_b32_e32 v62, s48, v62
	s_delay_alu instid0(VALU_DEP_1)
	v_and_b32_e32 v116, s58, v62
.LBB419_230:                            ;   in Loop: Header=BB419_108 Depth=2
	s_or_b32 exec_lo, exec_lo, s34
	v_lshlrev_b32_e32 v62, 3, v156
	v_lshlrev_b32_e32 v63, 3, v152
	s_wait_loadcnt 0x0
	s_wait_storecnt 0x0
	s_barrier_signal -1
	s_barrier_wait -1
	ds_store_b64 v62, v[60:61] offset:512
	ds_store_b64 v63, v[58:59] offset:512
	v_dual_lshlrev_b32 v62, 3, v151 :: v_dual_lshlrev_b32 v63, 3, v150
	v_dual_lshlrev_b32 v137, 3, v149 :: v_dual_lshlrev_b32 v138, 3, v148
	v_lshlrev_b32_e32 v142, 3, v146
	ds_store_b64 v62, v[56:57] offset:512
	ds_store_b64 v63, v[54:55] offset:512
	ds_store_b64 v137, v[52:53] offset:512
	ds_store_b64 v138, v[50:51] offset:512
	ds_store_b64 v142, v[48:49] offset:512
	v_dual_lshlrev_b32 v62, 3, v145 :: v_dual_lshlrev_b32 v63, 3, v144
	v_dual_lshlrev_b32 v137, 3, v143 :: v_dual_lshlrev_b32 v138, 3, v141
	v_lshlrev_b32_e32 v140, 3, v140
	ds_store_b64 v62, v[46:47] offset:512
	ds_store_b64 v63, v[44:45] offset:512
	ds_store_b64 v137, v[42:43] offset:512
	;; [unrolled: 8-line block ×3, first 2 shown]
	ds_store_b64 v65, v[30:31] offset:512
	ds_store_b64 v64, v[28:29] offset:512
	s_wait_dscnt 0x0
	s_barrier_signal -1
	s_barrier_wait -1
	s_and_saveexec_b32 s34, vcc_lo
	s_cbranch_execnz .LBB419_299
; %bb.231:                              ;   in Loop: Header=BB419_108 Depth=2
	s_or_b32 exec_lo, exec_lo, s34
	s_and_saveexec_b32 s34, s17
	s_cbranch_execnz .LBB419_300
.LBB419_232:                            ;   in Loop: Header=BB419_108 Depth=2
	s_or_b32 exec_lo, exec_lo, s34
	s_and_saveexec_b32 s17, s18
	s_cbranch_execnz .LBB419_301
.LBB419_233:                            ;   in Loop: Header=BB419_108 Depth=2
	s_or_b32 exec_lo, exec_lo, s17
	s_and_saveexec_b32 s17, s19
	s_cbranch_execnz .LBB419_302
.LBB419_234:                            ;   in Loop: Header=BB419_108 Depth=2
	s_or_b32 exec_lo, exec_lo, s17
	s_and_saveexec_b32 s17, s20
	s_cbranch_execnz .LBB419_303
.LBB419_235:                            ;   in Loop: Header=BB419_108 Depth=2
	s_or_b32 exec_lo, exec_lo, s17
	s_and_saveexec_b32 s17, s21
	s_cbranch_execnz .LBB419_304
.LBB419_236:                            ;   in Loop: Header=BB419_108 Depth=2
	s_or_b32 exec_lo, exec_lo, s17
	s_and_saveexec_b32 s17, s22
	s_cbranch_execnz .LBB419_305
.LBB419_237:                            ;   in Loop: Header=BB419_108 Depth=2
	s_or_b32 exec_lo, exec_lo, s17
	s_and_saveexec_b32 s17, s23
	s_cbranch_execnz .LBB419_306
.LBB419_238:                            ;   in Loop: Header=BB419_108 Depth=2
	s_or_b32 exec_lo, exec_lo, s17
	s_and_saveexec_b32 s17, s24
	s_cbranch_execnz .LBB419_307
.LBB419_239:                            ;   in Loop: Header=BB419_108 Depth=2
	s_or_b32 exec_lo, exec_lo, s17
	s_and_saveexec_b32 s17, s25
	s_cbranch_execnz .LBB419_308
.LBB419_240:                            ;   in Loop: Header=BB419_108 Depth=2
	s_or_b32 exec_lo, exec_lo, s17
	s_and_saveexec_b32 s17, s26
	s_cbranch_execnz .LBB419_309
.LBB419_241:                            ;   in Loop: Header=BB419_108 Depth=2
	s_or_b32 exec_lo, exec_lo, s17
	s_and_saveexec_b32 s17, s27
	s_cbranch_execnz .LBB419_310
.LBB419_242:                            ;   in Loop: Header=BB419_108 Depth=2
	s_or_b32 exec_lo, exec_lo, s17
	s_and_saveexec_b32 s17, s28
	s_cbranch_execnz .LBB419_311
.LBB419_243:                            ;   in Loop: Header=BB419_108 Depth=2
	s_or_b32 exec_lo, exec_lo, s17
	s_and_saveexec_b32 s17, s29
	s_cbranch_execnz .LBB419_312
.LBB419_244:                            ;   in Loop: Header=BB419_108 Depth=2
	s_or_b32 exec_lo, exec_lo, s17
	s_and_saveexec_b32 s17, s30
	s_cbranch_execnz .LBB419_313
.LBB419_245:                            ;   in Loop: Header=BB419_108 Depth=2
	s_or_b32 exec_lo, exec_lo, s17
	s_and_saveexec_b32 s17, s31
	s_cbranch_execnz .LBB419_314
.LBB419_246:                            ;   in Loop: Header=BB419_108 Depth=2
	s_or_b32 exec_lo, exec_lo, s17
	s_and_saveexec_b32 s17, s33
	s_cbranch_execz .LBB419_248
.LBB419_247:                            ;   in Loop: Header=BB419_108 Depth=2
	v_dual_lshlrev_b32 v62, 2, v116 :: v_dual_add_nc_u32 v63, v2, v95
	ds_load_b32 v64, v62
	ds_load_b64 v[62:63], v63 offset:33280
	s_wait_dscnt 0x1
	v_add_nc_u32_e32 v64, v64, v82
	s_wait_dscnt 0x0
	global_store_b64 v64, v[62:63], s[44:45] scale_offset
.LBB419_248:                            ;   in Loop: Header=BB419_108 Depth=2
	s_wait_xcnt 0x0
	s_or_b32 exec_lo, exec_lo, s17
	s_wait_storecnt 0x0
	s_barrier_signal -1
	s_barrier_wait -1
	s_and_saveexec_b32 s17, s0
	s_cbranch_execz .LBB419_107
; %bb.249:                              ;   in Loop: Header=BB419_108 Depth=2
	ds_load_b32 v62, v66
	s_wait_dscnt 0x0
	v_add3_u32 v62, v133, v134, v62
	ds_store_b32 v66, v62
	s_branch .LBB419_107
.LBB419_250:                            ;   in Loop: Header=BB419_108 Depth=2
	ds_load_u8 v62, v2 offset:512
	s_wait_dscnt 0x0
	v_and_b32_e32 v63, 0xff, v62
	v_xor_b32_e32 v62, 0x80, v62
	s_delay_alu instid0(VALU_DEP_2) | instskip(NEXT) | instid1(VALU_DEP_1)
	v_lshrrev_b32_e32 v63, s48, v63
	v_and_b32_e32 v63, s58, v63
	s_delay_alu instid0(VALU_DEP_1)
	v_lshlrev_b32_e32 v63, 2, v63
	ds_load_b32 v63, v63
	s_wait_dscnt 0x0
	v_add_nc_u32_e32 v63, v63, v2
	global_store_b8 v63, v62, s[38:39]
	s_wait_xcnt 0x0
	s_or_b32 exec_lo, exec_lo, s17
	v_cmp_lt_u32_e64 s17, v67, v137
	s_and_saveexec_b32 s18, s17
	s_cbranch_execz .LBB419_179
.LBB419_251:                            ;   in Loop: Header=BB419_108 Depth=2
	ds_load_u8 v62, v2 offset:768
	s_wait_dscnt 0x0
	v_and_b32_e32 v63, 0xff, v62
	v_xor_b32_e32 v62, 0x80, v62
	s_delay_alu instid0(VALU_DEP_2) | instskip(NEXT) | instid1(VALU_DEP_1)
	v_lshrrev_b32_e32 v63, s48, v63
	v_and_b32_e32 v63, s58, v63
	s_delay_alu instid0(VALU_DEP_1)
	v_lshlrev_b32_e32 v63, 2, v63
	ds_load_b32 v63, v63
	s_wait_dscnt 0x0
	v_add_nc_u32_e32 v63, v63, v67
	global_store_b8 v63, v62, s[38:39]
	s_wait_xcnt 0x0
	s_or_b32 exec_lo, exec_lo, s18
	v_cmp_lt_u32_e64 s18, v68, v137
	s_and_saveexec_b32 s19, s18
	s_cbranch_execz .LBB419_180
.LBB419_252:                            ;   in Loop: Header=BB419_108 Depth=2
	ds_load_u8 v62, v2 offset:1024
	s_wait_dscnt 0x0
	v_and_b32_e32 v63, 0xff, v62
	v_xor_b32_e32 v62, 0x80, v62
	s_delay_alu instid0(VALU_DEP_2) | instskip(NEXT) | instid1(VALU_DEP_1)
	v_lshrrev_b32_e32 v63, s48, v63
	v_and_b32_e32 v63, s58, v63
	s_delay_alu instid0(VALU_DEP_1)
	v_lshlrev_b32_e32 v63, 2, v63
	ds_load_b32 v63, v63
	s_wait_dscnt 0x0
	v_add_nc_u32_e32 v63, v63, v68
	global_store_b8 v63, v62, s[38:39]
	s_wait_xcnt 0x0
	s_or_b32 exec_lo, exec_lo, s19
	v_cmp_lt_u32_e64 s19, v69, v137
	s_and_saveexec_b32 s20, s19
	s_cbranch_execz .LBB419_181
.LBB419_253:                            ;   in Loop: Header=BB419_108 Depth=2
	ds_load_u8 v62, v2 offset:1280
	s_wait_dscnt 0x0
	v_and_b32_e32 v63, 0xff, v62
	v_xor_b32_e32 v62, 0x80, v62
	s_delay_alu instid0(VALU_DEP_2) | instskip(NEXT) | instid1(VALU_DEP_1)
	v_lshrrev_b32_e32 v63, s48, v63
	v_and_b32_e32 v63, s58, v63
	s_delay_alu instid0(VALU_DEP_1)
	v_lshlrev_b32_e32 v63, 2, v63
	ds_load_b32 v63, v63
	s_wait_dscnt 0x0
	v_add_nc_u32_e32 v63, v63, v69
	global_store_b8 v63, v62, s[38:39]
	s_wait_xcnt 0x0
	s_or_b32 exec_lo, exec_lo, s20
	v_cmp_lt_u32_e64 s20, v70, v137
	s_and_saveexec_b32 s21, s20
	s_cbranch_execz .LBB419_182
.LBB419_254:                            ;   in Loop: Header=BB419_108 Depth=2
	ds_load_u8 v62, v2 offset:1536
	s_wait_dscnt 0x0
	v_and_b32_e32 v63, 0xff, v62
	v_xor_b32_e32 v62, 0x80, v62
	s_delay_alu instid0(VALU_DEP_2) | instskip(NEXT) | instid1(VALU_DEP_1)
	v_lshrrev_b32_e32 v63, s48, v63
	v_and_b32_e32 v63, s58, v63
	s_delay_alu instid0(VALU_DEP_1)
	v_lshlrev_b32_e32 v63, 2, v63
	ds_load_b32 v63, v63
	s_wait_dscnt 0x0
	v_add_nc_u32_e32 v63, v63, v70
	global_store_b8 v63, v62, s[38:39]
	s_wait_xcnt 0x0
	s_or_b32 exec_lo, exec_lo, s21
	v_cmp_lt_u32_e64 s21, v71, v137
	s_and_saveexec_b32 s22, s21
	s_cbranch_execz .LBB419_183
.LBB419_255:                            ;   in Loop: Header=BB419_108 Depth=2
	ds_load_u8 v62, v2 offset:1792
	s_wait_dscnt 0x0
	v_and_b32_e32 v63, 0xff, v62
	v_xor_b32_e32 v62, 0x80, v62
	s_delay_alu instid0(VALU_DEP_2) | instskip(NEXT) | instid1(VALU_DEP_1)
	v_lshrrev_b32_e32 v63, s48, v63
	v_and_b32_e32 v63, s58, v63
	s_delay_alu instid0(VALU_DEP_1)
	v_lshlrev_b32_e32 v63, 2, v63
	ds_load_b32 v63, v63
	s_wait_dscnt 0x0
	v_add_nc_u32_e32 v63, v63, v71
	global_store_b8 v63, v62, s[38:39]
	s_wait_xcnt 0x0
	s_or_b32 exec_lo, exec_lo, s22
	v_cmp_lt_u32_e64 s22, v72, v137
	s_and_saveexec_b32 s23, s22
	s_cbranch_execz .LBB419_184
.LBB419_256:                            ;   in Loop: Header=BB419_108 Depth=2
	ds_load_u8 v62, v2 offset:2048
	s_wait_dscnt 0x0
	v_and_b32_e32 v63, 0xff, v62
	v_xor_b32_e32 v62, 0x80, v62
	s_delay_alu instid0(VALU_DEP_2) | instskip(NEXT) | instid1(VALU_DEP_1)
	v_lshrrev_b32_e32 v63, s48, v63
	v_and_b32_e32 v63, s58, v63
	s_delay_alu instid0(VALU_DEP_1)
	v_lshlrev_b32_e32 v63, 2, v63
	ds_load_b32 v63, v63
	s_wait_dscnt 0x0
	v_add_nc_u32_e32 v63, v63, v72
	global_store_b8 v63, v62, s[38:39]
	s_wait_xcnt 0x0
	s_or_b32 exec_lo, exec_lo, s23
	v_cmp_lt_u32_e64 s23, v73, v137
	s_and_saveexec_b32 s24, s23
	s_cbranch_execz .LBB419_185
.LBB419_257:                            ;   in Loop: Header=BB419_108 Depth=2
	ds_load_u8 v62, v2 offset:2304
	s_wait_dscnt 0x0
	v_and_b32_e32 v63, 0xff, v62
	v_xor_b32_e32 v62, 0x80, v62
	s_delay_alu instid0(VALU_DEP_2) | instskip(NEXT) | instid1(VALU_DEP_1)
	v_lshrrev_b32_e32 v63, s48, v63
	v_and_b32_e32 v63, s58, v63
	s_delay_alu instid0(VALU_DEP_1)
	v_lshlrev_b32_e32 v63, 2, v63
	ds_load_b32 v63, v63
	s_wait_dscnt 0x0
	v_add_nc_u32_e32 v63, v63, v73
	global_store_b8 v63, v62, s[38:39]
	s_wait_xcnt 0x0
	s_or_b32 exec_lo, exec_lo, s24
	v_cmp_lt_u32_e64 s24, v74, v137
	s_and_saveexec_b32 s25, s24
	s_cbranch_execz .LBB419_186
.LBB419_258:                            ;   in Loop: Header=BB419_108 Depth=2
	ds_load_u8 v62, v2 offset:2560
	s_wait_dscnt 0x0
	v_and_b32_e32 v63, 0xff, v62
	v_xor_b32_e32 v62, 0x80, v62
	s_delay_alu instid0(VALU_DEP_2) | instskip(NEXT) | instid1(VALU_DEP_1)
	v_lshrrev_b32_e32 v63, s48, v63
	v_and_b32_e32 v63, s58, v63
	s_delay_alu instid0(VALU_DEP_1)
	v_lshlrev_b32_e32 v63, 2, v63
	ds_load_b32 v63, v63
	s_wait_dscnt 0x0
	v_add_nc_u32_e32 v63, v63, v74
	global_store_b8 v63, v62, s[38:39]
	s_wait_xcnt 0x0
	s_or_b32 exec_lo, exec_lo, s25
	v_cmp_lt_u32_e64 s25, v75, v137
	s_and_saveexec_b32 s26, s25
	s_cbranch_execz .LBB419_187
.LBB419_259:                            ;   in Loop: Header=BB419_108 Depth=2
	ds_load_u8 v62, v2 offset:2816
	s_wait_dscnt 0x0
	v_and_b32_e32 v63, 0xff, v62
	v_xor_b32_e32 v62, 0x80, v62
	s_delay_alu instid0(VALU_DEP_2) | instskip(NEXT) | instid1(VALU_DEP_1)
	v_lshrrev_b32_e32 v63, s48, v63
	v_and_b32_e32 v63, s58, v63
	s_delay_alu instid0(VALU_DEP_1)
	v_lshlrev_b32_e32 v63, 2, v63
	ds_load_b32 v63, v63
	s_wait_dscnt 0x0
	v_add_nc_u32_e32 v63, v63, v75
	global_store_b8 v63, v62, s[38:39]
	s_wait_xcnt 0x0
	s_or_b32 exec_lo, exec_lo, s26
	v_cmp_lt_u32_e64 s26, v76, v137
	s_and_saveexec_b32 s27, s26
	s_cbranch_execz .LBB419_188
.LBB419_260:                            ;   in Loop: Header=BB419_108 Depth=2
	ds_load_u8 v62, v2 offset:3072
	s_wait_dscnt 0x0
	v_and_b32_e32 v63, 0xff, v62
	v_xor_b32_e32 v62, 0x80, v62
	s_delay_alu instid0(VALU_DEP_2) | instskip(NEXT) | instid1(VALU_DEP_1)
	v_lshrrev_b32_e32 v63, s48, v63
	v_and_b32_e32 v63, s58, v63
	s_delay_alu instid0(VALU_DEP_1)
	v_lshlrev_b32_e32 v63, 2, v63
	ds_load_b32 v63, v63
	s_wait_dscnt 0x0
	v_add_nc_u32_e32 v63, v63, v76
	global_store_b8 v63, v62, s[38:39]
	s_wait_xcnt 0x0
	s_or_b32 exec_lo, exec_lo, s27
	v_cmp_lt_u32_e64 s27, v77, v137
	s_and_saveexec_b32 s28, s27
	s_cbranch_execz .LBB419_189
.LBB419_261:                            ;   in Loop: Header=BB419_108 Depth=2
	ds_load_u8 v62, v2 offset:3328
	s_wait_dscnt 0x0
	v_and_b32_e32 v63, 0xff, v62
	v_xor_b32_e32 v62, 0x80, v62
	s_delay_alu instid0(VALU_DEP_2) | instskip(NEXT) | instid1(VALU_DEP_1)
	v_lshrrev_b32_e32 v63, s48, v63
	v_and_b32_e32 v63, s58, v63
	s_delay_alu instid0(VALU_DEP_1)
	v_lshlrev_b32_e32 v63, 2, v63
	ds_load_b32 v63, v63
	s_wait_dscnt 0x0
	v_add_nc_u32_e32 v63, v63, v77
	global_store_b8 v63, v62, s[38:39]
	s_wait_xcnt 0x0
	s_or_b32 exec_lo, exec_lo, s28
	v_cmp_lt_u32_e64 s28, v78, v137
	s_and_saveexec_b32 s29, s28
	s_cbranch_execz .LBB419_190
.LBB419_262:                            ;   in Loop: Header=BB419_108 Depth=2
	ds_load_u8 v62, v2 offset:3584
	s_wait_dscnt 0x0
	v_and_b32_e32 v63, 0xff, v62
	v_xor_b32_e32 v62, 0x80, v62
	s_delay_alu instid0(VALU_DEP_2) | instskip(NEXT) | instid1(VALU_DEP_1)
	v_lshrrev_b32_e32 v63, s48, v63
	v_and_b32_e32 v63, s58, v63
	s_delay_alu instid0(VALU_DEP_1)
	v_lshlrev_b32_e32 v63, 2, v63
	ds_load_b32 v63, v63
	s_wait_dscnt 0x0
	v_add_nc_u32_e32 v63, v63, v78
	global_store_b8 v63, v62, s[38:39]
	s_wait_xcnt 0x0
	s_or_b32 exec_lo, exec_lo, s29
	v_cmp_lt_u32_e64 s29, v79, v137
	s_and_saveexec_b32 s30, s29
	s_cbranch_execz .LBB419_191
.LBB419_263:                            ;   in Loop: Header=BB419_108 Depth=2
	ds_load_u8 v62, v2 offset:3840
	s_wait_dscnt 0x0
	v_and_b32_e32 v63, 0xff, v62
	v_xor_b32_e32 v62, 0x80, v62
	s_delay_alu instid0(VALU_DEP_2) | instskip(NEXT) | instid1(VALU_DEP_1)
	v_lshrrev_b32_e32 v63, s48, v63
	v_and_b32_e32 v63, s58, v63
	s_delay_alu instid0(VALU_DEP_1)
	v_lshlrev_b32_e32 v63, 2, v63
	ds_load_b32 v63, v63
	s_wait_dscnt 0x0
	v_add_nc_u32_e32 v63, v63, v79
	global_store_b8 v63, v62, s[38:39]
	s_wait_xcnt 0x0
	s_or_b32 exec_lo, exec_lo, s30
	v_cmp_lt_u32_e64 s30, v80, v137
	s_and_saveexec_b32 s31, s30
	s_cbranch_execz .LBB419_192
.LBB419_264:                            ;   in Loop: Header=BB419_108 Depth=2
	ds_load_u8 v62, v2 offset:4096
	s_wait_dscnt 0x0
	v_and_b32_e32 v63, 0xff, v62
	v_xor_b32_e32 v62, 0x80, v62
	s_delay_alu instid0(VALU_DEP_2) | instskip(NEXT) | instid1(VALU_DEP_1)
	v_lshrrev_b32_e32 v63, s48, v63
	v_and_b32_e32 v63, s58, v63
	s_delay_alu instid0(VALU_DEP_1)
	v_lshlrev_b32_e32 v63, 2, v63
	ds_load_b32 v63, v63
	s_wait_dscnt 0x0
	v_add_nc_u32_e32 v63, v63, v80
	global_store_b8 v63, v62, s[38:39]
	s_wait_xcnt 0x0
	s_or_b32 exec_lo, exec_lo, s31
	v_cmp_lt_u32_e64 s31, v81, v137
	s_and_saveexec_b32 s33, s31
	s_cbranch_execz .LBB419_193
.LBB419_265:                            ;   in Loop: Header=BB419_108 Depth=2
	ds_load_u8 v62, v2 offset:4352
	s_wait_dscnt 0x0
	v_and_b32_e32 v63, 0xff, v62
	v_xor_b32_e32 v62, 0x80, v62
	s_delay_alu instid0(VALU_DEP_2) | instskip(NEXT) | instid1(VALU_DEP_1)
	v_lshrrev_b32_e32 v63, s48, v63
	v_and_b32_e32 v63, s58, v63
	s_delay_alu instid0(VALU_DEP_1)
	v_lshlrev_b32_e32 v63, 2, v63
	ds_load_b32 v63, v63
	s_wait_dscnt 0x0
	v_add_nc_u32_e32 v63, v63, v81
	global_store_b8 v63, v62, s[38:39]
	s_wait_xcnt 0x0
	s_or_b32 exec_lo, exec_lo, s33
	v_cmp_lt_u32_e64 s33, v82, v137
	s_and_saveexec_b32 s61, s33
	s_cbranch_execnz .LBB419_194
	s_branch .LBB419_195
.LBB419_266:                            ;   in Loop: Header=BB419_108 Depth=2
	global_load_b64 v[60:61], v[62:63], off
	s_wait_xcnt 0x0
	s_or_b32 exec_lo, exec_lo, s34
	s_delay_alu instid0(SALU_CYCLE_1)
	s_mov_b32 s61, exec_lo
	v_cmpx_lt_u32_e64 v98, v137
	s_cbranch_execz .LBB419_197
.LBB419_267:                            ;   in Loop: Header=BB419_108 Depth=2
	global_load_b64 v[58:59], v[62:63], off offset:256
	s_wait_xcnt 0x0
	s_or_b32 exec_lo, exec_lo, s61
	s_delay_alu instid0(SALU_CYCLE_1)
	s_mov_b32 s61, exec_lo
	v_cmpx_lt_u32_e64 v99, v137
	s_cbranch_execz .LBB419_198
.LBB419_268:                            ;   in Loop: Header=BB419_108 Depth=2
	global_load_b64 v[56:57], v[62:63], off offset:512
	s_wait_xcnt 0x0
	s_or_b32 exec_lo, exec_lo, s61
	s_delay_alu instid0(SALU_CYCLE_1)
	s_mov_b32 s61, exec_lo
	v_cmpx_lt_u32_e64 v100, v137
	s_cbranch_execz .LBB419_199
.LBB419_269:                            ;   in Loop: Header=BB419_108 Depth=2
	global_load_b64 v[54:55], v[62:63], off offset:768
	s_wait_xcnt 0x0
	s_or_b32 exec_lo, exec_lo, s61
	s_delay_alu instid0(SALU_CYCLE_1)
	s_mov_b32 s61, exec_lo
	v_cmpx_lt_u32_e64 v101, v137
	s_cbranch_execz .LBB419_200
.LBB419_270:                            ;   in Loop: Header=BB419_108 Depth=2
	global_load_b64 v[52:53], v[62:63], off offset:1024
	s_wait_xcnt 0x0
	s_or_b32 exec_lo, exec_lo, s61
	s_delay_alu instid0(SALU_CYCLE_1)
	s_mov_b32 s61, exec_lo
	v_cmpx_lt_u32_e64 v102, v137
	s_cbranch_execz .LBB419_201
.LBB419_271:                            ;   in Loop: Header=BB419_108 Depth=2
	global_load_b64 v[50:51], v[62:63], off offset:1280
	s_wait_xcnt 0x0
	s_or_b32 exec_lo, exec_lo, s61
	s_delay_alu instid0(SALU_CYCLE_1)
	s_mov_b32 s61, exec_lo
	v_cmpx_lt_u32_e64 v103, v137
	s_cbranch_execz .LBB419_202
.LBB419_272:                            ;   in Loop: Header=BB419_108 Depth=2
	global_load_b64 v[48:49], v[62:63], off offset:1536
	s_wait_xcnt 0x0
	s_or_b32 exec_lo, exec_lo, s61
	s_delay_alu instid0(SALU_CYCLE_1)
	s_mov_b32 s61, exec_lo
	v_cmpx_lt_u32_e64 v104, v137
	s_cbranch_execz .LBB419_203
.LBB419_273:                            ;   in Loop: Header=BB419_108 Depth=2
	global_load_b64 v[46:47], v[62:63], off offset:1792
	s_wait_xcnt 0x0
	s_or_b32 exec_lo, exec_lo, s61
	s_delay_alu instid0(SALU_CYCLE_1)
	s_mov_b32 s61, exec_lo
	v_cmpx_lt_u32_e64 v105, v137
	s_cbranch_execz .LBB419_204
.LBB419_274:                            ;   in Loop: Header=BB419_108 Depth=2
	global_load_b64 v[44:45], v[62:63], off offset:2048
	s_wait_xcnt 0x0
	s_or_b32 exec_lo, exec_lo, s61
	s_delay_alu instid0(SALU_CYCLE_1)
	s_mov_b32 s61, exec_lo
	v_cmpx_lt_u32_e64 v106, v137
	s_cbranch_execz .LBB419_205
.LBB419_275:                            ;   in Loop: Header=BB419_108 Depth=2
	global_load_b64 v[42:43], v[62:63], off offset:2304
	s_wait_xcnt 0x0
	s_or_b32 exec_lo, exec_lo, s61
	s_delay_alu instid0(SALU_CYCLE_1)
	s_mov_b32 s61, exec_lo
	v_cmpx_lt_u32_e64 v107, v137
	s_cbranch_execz .LBB419_206
.LBB419_276:                            ;   in Loop: Header=BB419_108 Depth=2
	global_load_b64 v[40:41], v[62:63], off offset:2560
	s_wait_xcnt 0x0
	s_or_b32 exec_lo, exec_lo, s61
	s_delay_alu instid0(SALU_CYCLE_1)
	s_mov_b32 s61, exec_lo
	v_cmpx_lt_u32_e64 v108, v137
	s_cbranch_execz .LBB419_207
.LBB419_277:                            ;   in Loop: Header=BB419_108 Depth=2
	global_load_b64 v[38:39], v[62:63], off offset:2816
	s_wait_xcnt 0x0
	s_or_b32 exec_lo, exec_lo, s61
	s_delay_alu instid0(SALU_CYCLE_1)
	s_mov_b32 s61, exec_lo
	v_cmpx_lt_u32_e64 v109, v137
	s_cbranch_execz .LBB419_208
.LBB419_278:                            ;   in Loop: Header=BB419_108 Depth=2
	global_load_b64 v[36:37], v[62:63], off offset:3072
	s_wait_xcnt 0x0
	s_or_b32 exec_lo, exec_lo, s61
	s_delay_alu instid0(SALU_CYCLE_1)
	s_mov_b32 s61, exec_lo
	v_cmpx_lt_u32_e64 v110, v137
	s_cbranch_execz .LBB419_209
.LBB419_279:                            ;   in Loop: Header=BB419_108 Depth=2
	global_load_b64 v[34:35], v[62:63], off offset:3328
	s_wait_xcnt 0x0
	s_or_b32 exec_lo, exec_lo, s61
	s_delay_alu instid0(SALU_CYCLE_1)
	s_mov_b32 s61, exec_lo
	v_cmpx_lt_u32_e64 v111, v137
	s_cbranch_execz .LBB419_210
.LBB419_280:                            ;   in Loop: Header=BB419_108 Depth=2
	global_load_b64 v[32:33], v[62:63], off offset:3584
	s_wait_xcnt 0x0
	s_or_b32 exec_lo, exec_lo, s61
	s_delay_alu instid0(SALU_CYCLE_1)
	s_mov_b32 s61, exec_lo
	v_cmpx_lt_u32_e64 v112, v137
	s_cbranch_execz .LBB419_211
.LBB419_281:                            ;   in Loop: Header=BB419_108 Depth=2
	global_load_b64 v[30:31], v[62:63], off offset:3840
	s_wait_xcnt 0x0
	s_or_b32 exec_lo, exec_lo, s61
	s_delay_alu instid0(SALU_CYCLE_1)
	s_mov_b32 s61, exec_lo
	v_cmpx_lt_u32_e64 v113, v137
	s_cbranch_execz .LBB419_212
.LBB419_282:                            ;   in Loop: Header=BB419_108 Depth=2
	global_load_b64 v[28:29], v[62:63], off offset:4096
	s_wait_xcnt 0x0
	s_or_b32 exec_lo, exec_lo, s61
	s_and_saveexec_b32 s34, vcc_lo
	s_cbranch_execz .LBB419_213
.LBB419_283:                            ;   in Loop: Header=BB419_108 Depth=2
	ds_load_u8 v62, v2 offset:512
	s_wait_dscnt 0x0
	v_lshrrev_b32_e32 v62, s48, v62
	s_delay_alu instid0(VALU_DEP_1)
	v_and_b32_e32 v132, s58, v62
	s_or_b32 exec_lo, exec_lo, s34
	s_and_saveexec_b32 s34, s17
	s_cbranch_execz .LBB419_214
.LBB419_284:                            ;   in Loop: Header=BB419_108 Depth=2
	ds_load_u8 v62, v2 offset:768
	s_wait_dscnt 0x0
	v_lshrrev_b32_e32 v62, s48, v62
	s_delay_alu instid0(VALU_DEP_1)
	v_and_b32_e32 v131, s58, v62
	s_or_b32 exec_lo, exec_lo, s34
	s_and_saveexec_b32 s34, s18
	s_cbranch_execz .LBB419_215
.LBB419_285:                            ;   in Loop: Header=BB419_108 Depth=2
	ds_load_u8 v62, v2 offset:1024
	s_wait_dscnt 0x0
	v_lshrrev_b32_e32 v62, s48, v62
	s_delay_alu instid0(VALU_DEP_1)
	v_and_b32_e32 v130, s58, v62
	s_or_b32 exec_lo, exec_lo, s34
	s_and_saveexec_b32 s34, s19
	s_cbranch_execz .LBB419_216
.LBB419_286:                            ;   in Loop: Header=BB419_108 Depth=2
	ds_load_u8 v62, v2 offset:1280
	s_wait_dscnt 0x0
	v_lshrrev_b32_e32 v62, s48, v62
	s_delay_alu instid0(VALU_DEP_1)
	v_and_b32_e32 v129, s58, v62
	s_or_b32 exec_lo, exec_lo, s34
	s_and_saveexec_b32 s34, s20
	s_cbranch_execz .LBB419_217
.LBB419_287:                            ;   in Loop: Header=BB419_108 Depth=2
	ds_load_u8 v62, v2 offset:1536
	s_wait_dscnt 0x0
	v_lshrrev_b32_e32 v62, s48, v62
	s_delay_alu instid0(VALU_DEP_1)
	v_and_b32_e32 v128, s58, v62
	s_or_b32 exec_lo, exec_lo, s34
	s_and_saveexec_b32 s34, s21
	s_cbranch_execz .LBB419_218
.LBB419_288:                            ;   in Loop: Header=BB419_108 Depth=2
	ds_load_u8 v62, v2 offset:1792
	s_wait_dscnt 0x0
	v_lshrrev_b32_e32 v62, s48, v62
	s_delay_alu instid0(VALU_DEP_1)
	v_and_b32_e32 v127, s58, v62
	s_or_b32 exec_lo, exec_lo, s34
	s_and_saveexec_b32 s34, s22
	s_cbranch_execz .LBB419_219
.LBB419_289:                            ;   in Loop: Header=BB419_108 Depth=2
	ds_load_u8 v62, v2 offset:2048
	s_wait_dscnt 0x0
	v_lshrrev_b32_e32 v62, s48, v62
	s_delay_alu instid0(VALU_DEP_1)
	v_and_b32_e32 v126, s58, v62
	s_or_b32 exec_lo, exec_lo, s34
	s_and_saveexec_b32 s34, s23
	s_cbranch_execz .LBB419_220
.LBB419_290:                            ;   in Loop: Header=BB419_108 Depth=2
	ds_load_u8 v62, v2 offset:2304
	s_wait_dscnt 0x0
	v_lshrrev_b32_e32 v62, s48, v62
	s_delay_alu instid0(VALU_DEP_1)
	v_and_b32_e32 v125, s58, v62
	s_or_b32 exec_lo, exec_lo, s34
	s_and_saveexec_b32 s34, s24
	s_cbranch_execz .LBB419_221
.LBB419_291:                            ;   in Loop: Header=BB419_108 Depth=2
	ds_load_u8 v62, v2 offset:2560
	s_wait_dscnt 0x0
	v_lshrrev_b32_e32 v62, s48, v62
	s_delay_alu instid0(VALU_DEP_1)
	v_and_b32_e32 v124, s58, v62
	s_or_b32 exec_lo, exec_lo, s34
	s_and_saveexec_b32 s34, s25
	s_cbranch_execz .LBB419_222
.LBB419_292:                            ;   in Loop: Header=BB419_108 Depth=2
	ds_load_u8 v62, v2 offset:2816
	s_wait_dscnt 0x0
	v_lshrrev_b32_e32 v62, s48, v62
	s_delay_alu instid0(VALU_DEP_1)
	v_and_b32_e32 v123, s58, v62
	s_or_b32 exec_lo, exec_lo, s34
	s_and_saveexec_b32 s34, s26
	s_cbranch_execz .LBB419_223
.LBB419_293:                            ;   in Loop: Header=BB419_108 Depth=2
	ds_load_u8 v62, v2 offset:3072
	s_wait_dscnt 0x0
	v_lshrrev_b32_e32 v62, s48, v62
	s_delay_alu instid0(VALU_DEP_1)
	v_and_b32_e32 v122, s58, v62
	s_or_b32 exec_lo, exec_lo, s34
	s_and_saveexec_b32 s34, s27
	s_cbranch_execz .LBB419_224
.LBB419_294:                            ;   in Loop: Header=BB419_108 Depth=2
	ds_load_u8 v62, v2 offset:3328
	s_wait_dscnt 0x0
	v_lshrrev_b32_e32 v62, s48, v62
	s_delay_alu instid0(VALU_DEP_1)
	v_and_b32_e32 v121, s58, v62
	s_or_b32 exec_lo, exec_lo, s34
	s_and_saveexec_b32 s34, s28
	s_cbranch_execz .LBB419_225
.LBB419_295:                            ;   in Loop: Header=BB419_108 Depth=2
	ds_load_u8 v62, v2 offset:3584
	s_wait_dscnt 0x0
	v_lshrrev_b32_e32 v62, s48, v62
	s_delay_alu instid0(VALU_DEP_1)
	v_and_b32_e32 v120, s58, v62
	s_or_b32 exec_lo, exec_lo, s34
	s_and_saveexec_b32 s34, s29
	s_cbranch_execz .LBB419_226
.LBB419_296:                            ;   in Loop: Header=BB419_108 Depth=2
	ds_load_u8 v62, v2 offset:3840
	s_wait_dscnt 0x0
	v_lshrrev_b32_e32 v62, s48, v62
	s_delay_alu instid0(VALU_DEP_1)
	v_and_b32_e32 v119, s58, v62
	s_or_b32 exec_lo, exec_lo, s34
	s_and_saveexec_b32 s34, s30
	s_cbranch_execz .LBB419_227
.LBB419_297:                            ;   in Loop: Header=BB419_108 Depth=2
	ds_load_u8 v62, v2 offset:4096
	s_wait_dscnt 0x0
	v_lshrrev_b32_e32 v62, s48, v62
	s_delay_alu instid0(VALU_DEP_1)
	v_and_b32_e32 v118, s58, v62
	s_or_b32 exec_lo, exec_lo, s34
	s_and_saveexec_b32 s34, s31
	s_cbranch_execz .LBB419_228
.LBB419_298:                            ;   in Loop: Header=BB419_108 Depth=2
	ds_load_u8 v62, v2 offset:4352
	s_wait_dscnt 0x0
	v_lshrrev_b32_e32 v62, s48, v62
	s_delay_alu instid0(VALU_DEP_1)
	v_and_b32_e32 v117, s58, v62
	s_or_b32 exec_lo, exec_lo, s34
	s_and_saveexec_b32 s34, s33
	s_cbranch_execnz .LBB419_229
	s_branch .LBB419_230
.LBB419_299:                            ;   in Loop: Header=BB419_108 Depth=2
	v_dual_lshlrev_b32 v62, 2, v132 :: v_dual_add_nc_u32 v63, v2, v95
	ds_load_b32 v64, v62
	ds_load_b64 v[62:63], v63 offset:512
	s_wait_dscnt 0x1
	v_add_nc_u32_e32 v64, v64, v2
	s_wait_dscnt 0x0
	global_store_b64 v64, v[62:63], s[44:45] scale_offset
	s_wait_xcnt 0x0
	s_or_b32 exec_lo, exec_lo, s34
	s_and_saveexec_b32 s34, s17
	s_cbranch_execz .LBB419_232
.LBB419_300:                            ;   in Loop: Header=BB419_108 Depth=2
	v_lshlrev_b32_e32 v62, 2, v131
	v_add_nc_u32_e32 v63, v2, v95
	ds_load_b32 v64, v62
	ds_load_b64 v[62:63], v63 offset:2560
	s_wait_dscnt 0x1
	v_add_nc_u32_e32 v64, v64, v67
	s_wait_dscnt 0x0
	global_store_b64 v64, v[62:63], s[44:45] scale_offset
	s_wait_xcnt 0x0
	s_or_b32 exec_lo, exec_lo, s34
	s_and_saveexec_b32 s17, s18
	s_cbranch_execz .LBB419_233
.LBB419_301:                            ;   in Loop: Header=BB419_108 Depth=2
	v_dual_lshlrev_b32 v62, 2, v130 :: v_dual_add_nc_u32 v63, v2, v95
	ds_load_b32 v64, v62
	ds_load_b64 v[62:63], v63 offset:4608
	s_wait_dscnt 0x1
	v_add_nc_u32_e32 v64, v64, v68
	s_wait_dscnt 0x0
	global_store_b64 v64, v[62:63], s[44:45] scale_offset
	s_wait_xcnt 0x0
	s_or_b32 exec_lo, exec_lo, s17
	s_and_saveexec_b32 s17, s19
	s_cbranch_execz .LBB419_234
.LBB419_302:                            ;   in Loop: Header=BB419_108 Depth=2
	v_dual_lshlrev_b32 v62, 2, v129 :: v_dual_add_nc_u32 v63, v2, v95
	ds_load_b32 v64, v62
	ds_load_b64 v[62:63], v63 offset:6656
	s_wait_dscnt 0x1
	v_add_nc_u32_e32 v64, v64, v69
	s_wait_dscnt 0x0
	global_store_b64 v64, v[62:63], s[44:45] scale_offset
	s_wait_xcnt 0x0
	s_or_b32 exec_lo, exec_lo, s17
	s_and_saveexec_b32 s17, s20
	s_cbranch_execz .LBB419_235
.LBB419_303:                            ;   in Loop: Header=BB419_108 Depth=2
	v_dual_lshlrev_b32 v62, 2, v128 :: v_dual_add_nc_u32 v63, v2, v95
	ds_load_b32 v64, v62
	ds_load_b64 v[62:63], v63 offset:8704
	s_wait_dscnt 0x1
	v_add_nc_u32_e32 v64, v64, v70
	s_wait_dscnt 0x0
	global_store_b64 v64, v[62:63], s[44:45] scale_offset
	s_wait_xcnt 0x0
	s_or_b32 exec_lo, exec_lo, s17
	s_and_saveexec_b32 s17, s21
	s_cbranch_execz .LBB419_236
.LBB419_304:                            ;   in Loop: Header=BB419_108 Depth=2
	v_lshlrev_b32_e32 v62, 2, v127
	v_add_nc_u32_e32 v63, v2, v95
	ds_load_b32 v64, v62
	ds_load_b64 v[62:63], v63 offset:10752
	s_wait_dscnt 0x1
	v_add_nc_u32_e32 v64, v64, v71
	s_wait_dscnt 0x0
	global_store_b64 v64, v[62:63], s[44:45] scale_offset
	s_wait_xcnt 0x0
	s_or_b32 exec_lo, exec_lo, s17
	s_and_saveexec_b32 s17, s22
	s_cbranch_execz .LBB419_237
.LBB419_305:                            ;   in Loop: Header=BB419_108 Depth=2
	v_dual_lshlrev_b32 v62, 2, v126 :: v_dual_add_nc_u32 v63, v2, v95
	ds_load_b32 v64, v62
	ds_load_b64 v[62:63], v63 offset:12800
	s_wait_dscnt 0x1
	v_add_nc_u32_e32 v64, v64, v72
	s_wait_dscnt 0x0
	global_store_b64 v64, v[62:63], s[44:45] scale_offset
	s_wait_xcnt 0x0
	s_or_b32 exec_lo, exec_lo, s17
	s_and_saveexec_b32 s17, s23
	s_cbranch_execz .LBB419_238
.LBB419_306:                            ;   in Loop: Header=BB419_108 Depth=2
	v_dual_lshlrev_b32 v62, 2, v125 :: v_dual_add_nc_u32 v63, v2, v95
	ds_load_b32 v64, v62
	ds_load_b64 v[62:63], v63 offset:14848
	s_wait_dscnt 0x1
	v_add_nc_u32_e32 v64, v64, v73
	s_wait_dscnt 0x0
	global_store_b64 v64, v[62:63], s[44:45] scale_offset
	s_wait_xcnt 0x0
	s_or_b32 exec_lo, exec_lo, s17
	s_and_saveexec_b32 s17, s24
	s_cbranch_execz .LBB419_239
.LBB419_307:                            ;   in Loop: Header=BB419_108 Depth=2
	v_dual_lshlrev_b32 v62, 2, v124 :: v_dual_add_nc_u32 v63, v2, v95
	ds_load_b32 v64, v62
	ds_load_b64 v[62:63], v63 offset:16896
	s_wait_dscnt 0x1
	v_add_nc_u32_e32 v64, v64, v74
	s_wait_dscnt 0x0
	global_store_b64 v64, v[62:63], s[44:45] scale_offset
	s_wait_xcnt 0x0
	s_or_b32 exec_lo, exec_lo, s17
	s_and_saveexec_b32 s17, s25
	s_cbranch_execz .LBB419_240
.LBB419_308:                            ;   in Loop: Header=BB419_108 Depth=2
	v_lshlrev_b32_e32 v62, 2, v123
	v_add_nc_u32_e32 v63, v2, v95
	ds_load_b32 v64, v62
	ds_load_b64 v[62:63], v63 offset:18944
	s_wait_dscnt 0x1
	v_add_nc_u32_e32 v64, v64, v75
	s_wait_dscnt 0x0
	global_store_b64 v64, v[62:63], s[44:45] scale_offset
	s_wait_xcnt 0x0
	s_or_b32 exec_lo, exec_lo, s17
	s_and_saveexec_b32 s17, s26
	s_cbranch_execz .LBB419_241
.LBB419_309:                            ;   in Loop: Header=BB419_108 Depth=2
	v_dual_lshlrev_b32 v62, 2, v122 :: v_dual_add_nc_u32 v63, v2, v95
	ds_load_b32 v64, v62
	ds_load_b64 v[62:63], v63 offset:20992
	s_wait_dscnt 0x1
	v_add_nc_u32_e32 v64, v64, v76
	s_wait_dscnt 0x0
	global_store_b64 v64, v[62:63], s[44:45] scale_offset
	s_wait_xcnt 0x0
	s_or_b32 exec_lo, exec_lo, s17
	s_and_saveexec_b32 s17, s27
	s_cbranch_execz .LBB419_242
.LBB419_310:                            ;   in Loop: Header=BB419_108 Depth=2
	v_dual_lshlrev_b32 v62, 2, v121 :: v_dual_add_nc_u32 v63, v2, v95
	ds_load_b32 v64, v62
	ds_load_b64 v[62:63], v63 offset:23040
	s_wait_dscnt 0x1
	v_add_nc_u32_e32 v64, v64, v77
	s_wait_dscnt 0x0
	global_store_b64 v64, v[62:63], s[44:45] scale_offset
	s_wait_xcnt 0x0
	s_or_b32 exec_lo, exec_lo, s17
	s_and_saveexec_b32 s17, s28
	s_cbranch_execz .LBB419_243
.LBB419_311:                            ;   in Loop: Header=BB419_108 Depth=2
	v_dual_lshlrev_b32 v62, 2, v120 :: v_dual_add_nc_u32 v63, v2, v95
	ds_load_b32 v64, v62
	ds_load_b64 v[62:63], v63 offset:25088
	s_wait_dscnt 0x1
	v_add_nc_u32_e32 v64, v64, v78
	s_wait_dscnt 0x0
	global_store_b64 v64, v[62:63], s[44:45] scale_offset
	s_wait_xcnt 0x0
	s_or_b32 exec_lo, exec_lo, s17
	s_and_saveexec_b32 s17, s29
	s_cbranch_execz .LBB419_244
.LBB419_312:                            ;   in Loop: Header=BB419_108 Depth=2
	v_lshlrev_b32_e32 v62, 2, v119
	v_add_nc_u32_e32 v63, v2, v95
	ds_load_b32 v64, v62
	ds_load_b64 v[62:63], v63 offset:27136
	s_wait_dscnt 0x1
	v_add_nc_u32_e32 v64, v64, v79
	s_wait_dscnt 0x0
	global_store_b64 v64, v[62:63], s[44:45] scale_offset
	s_wait_xcnt 0x0
	s_or_b32 exec_lo, exec_lo, s17
	s_and_saveexec_b32 s17, s30
	s_cbranch_execz .LBB419_245
.LBB419_313:                            ;   in Loop: Header=BB419_108 Depth=2
	v_dual_lshlrev_b32 v62, 2, v118 :: v_dual_add_nc_u32 v63, v2, v95
	ds_load_b32 v64, v62
	ds_load_b64 v[62:63], v63 offset:29184
	s_wait_dscnt 0x1
	v_add_nc_u32_e32 v64, v64, v80
	s_wait_dscnt 0x0
	global_store_b64 v64, v[62:63], s[44:45] scale_offset
	s_wait_xcnt 0x0
	s_or_b32 exec_lo, exec_lo, s17
	s_and_saveexec_b32 s17, s31
	s_cbranch_execz .LBB419_246
.LBB419_314:                            ;   in Loop: Header=BB419_108 Depth=2
	v_dual_lshlrev_b32 v62, 2, v117 :: v_dual_add_nc_u32 v63, v2, v95
	ds_load_b32 v64, v62
	ds_load_b64 v[62:63], v63 offset:31232
	s_wait_dscnt 0x1
	v_add_nc_u32_e32 v64, v64, v81
	s_wait_dscnt 0x0
	global_store_b64 v64, v[62:63], s[44:45] scale_offset
	s_wait_xcnt 0x0
	s_or_b32 exec_lo, exec_lo, s17
	s_and_saveexec_b32 s17, s33
	s_cbranch_execnz .LBB419_247
	s_branch .LBB419_248
.LBB419_315:                            ;   in Loop: Header=BB419_108 Depth=2
	global_load_u8 v147, v[62:63], off
	v_dual_mov_b32 v115, 0x7f :: v_dual_mov_b32 v150, 0x7f
	v_dual_mov_b32 v148, 0x7f :: v_dual_mov_b32 v151, 0x7f
	;; [unrolled: 1-line block ×8, first 2 shown]
	s_wait_xcnt 0x0
	s_or_b32 exec_lo, exec_lo, s17
	s_delay_alu instid0(SALU_CYCLE_1)
	s_mov_b32 s17, exec_lo
	v_cmpx_gt_u32_e64 s59, v98
	s_cbranch_execz .LBB419_113
.LBB419_316:                            ;   in Loop: Header=BB419_108 Depth=2
	global_load_u8 v150, v[62:63], off offset:32
	s_wait_xcnt 0x0
	s_or_b32 exec_lo, exec_lo, s17
	s_delay_alu instid0(SALU_CYCLE_1)
	s_mov_b32 s17, exec_lo
	v_cmpx_gt_u32_e64 s59, v99
	s_cbranch_execz .LBB419_114
.LBB419_317:                            ;   in Loop: Header=BB419_108 Depth=2
	global_load_u8 v148, v[62:63], off offset:64
	s_wait_xcnt 0x0
	s_or_b32 exec_lo, exec_lo, s17
	s_delay_alu instid0(SALU_CYCLE_1)
	s_mov_b32 s17, exec_lo
	v_cmpx_gt_u32_e64 s59, v100
	s_cbranch_execz .LBB419_115
.LBB419_318:                            ;   in Loop: Header=BB419_108 Depth=2
	global_load_u8 v151, v[62:63], off offset:96
	s_wait_xcnt 0x0
	s_or_b32 exec_lo, exec_lo, s17
	s_delay_alu instid0(SALU_CYCLE_1)
	s_mov_b32 s17, exec_lo
	v_cmpx_gt_u32_e64 s59, v101
	s_cbranch_execz .LBB419_116
.LBB419_319:                            ;   in Loop: Header=BB419_108 Depth=2
	global_load_u8 v142, v[62:63], off offset:128
	s_wait_xcnt 0x0
	s_or_b32 exec_lo, exec_lo, s17
	s_delay_alu instid0(SALU_CYCLE_1)
	s_mov_b32 s17, exec_lo
	v_cmpx_gt_u32_e64 s59, v102
	s_cbranch_execz .LBB419_117
.LBB419_320:                            ;   in Loop: Header=BB419_108 Depth=2
	global_load_u8 v145, v[62:63], off offset:160
	s_wait_xcnt 0x0
	s_or_b32 exec_lo, exec_lo, s17
	s_delay_alu instid0(SALU_CYCLE_1)
	s_mov_b32 s17, exec_lo
	v_cmpx_gt_u32_e64 s59, v103
	s_cbranch_execz .LBB419_118
.LBB419_321:                            ;   in Loop: Header=BB419_108 Depth=2
	global_load_u8 v143, v[62:63], off offset:192
	s_wait_xcnt 0x0
	s_or_b32 exec_lo, exec_lo, s17
	s_delay_alu instid0(SALU_CYCLE_1)
	s_mov_b32 s17, exec_lo
	v_cmpx_gt_u32_e64 s59, v104
	s_cbranch_execz .LBB419_119
.LBB419_322:                            ;   in Loop: Header=BB419_108 Depth=2
	global_load_u8 v144, v[62:63], off offset:224
	s_wait_xcnt 0x0
	s_or_b32 exec_lo, exec_lo, s17
	s_delay_alu instid0(SALU_CYCLE_1)
	s_mov_b32 s17, exec_lo
	v_cmpx_gt_u32_e64 s59, v105
	s_cbranch_execz .LBB419_120
.LBB419_323:                            ;   in Loop: Header=BB419_108 Depth=2
	global_load_u8 v138, v[62:63], off offset:256
	s_wait_xcnt 0x0
	s_or_b32 exec_lo, exec_lo, s17
	s_delay_alu instid0(SALU_CYCLE_1)
	s_mov_b32 s17, exec_lo
	v_cmpx_gt_u32_e64 s59, v106
	s_cbranch_execz .LBB419_121
.LBB419_324:                            ;   in Loop: Header=BB419_108 Depth=2
	global_load_u8 v141, v[62:63], off offset:288
	s_wait_xcnt 0x0
	s_or_b32 exec_lo, exec_lo, s17
	s_delay_alu instid0(SALU_CYCLE_1)
	s_mov_b32 s17, exec_lo
	v_cmpx_gt_u32_e64 s59, v107
	s_cbranch_execz .LBB419_122
.LBB419_325:                            ;   in Loop: Header=BB419_108 Depth=2
	global_load_u8 v139, v[62:63], off offset:320
	s_wait_xcnt 0x0
	s_or_b32 exec_lo, exec_lo, s17
	s_delay_alu instid0(SALU_CYCLE_1)
	s_mov_b32 s17, exec_lo
	v_cmpx_gt_u32_e64 s59, v108
	s_cbranch_execz .LBB419_123
.LBB419_326:                            ;   in Loop: Header=BB419_108 Depth=2
	global_load_u8 v140, v[62:63], off offset:352
	s_wait_xcnt 0x0
	s_or_b32 exec_lo, exec_lo, s17
	s_delay_alu instid0(SALU_CYCLE_1)
	s_mov_b32 s17, exec_lo
	v_cmpx_gt_u32_e64 s59, v109
	s_cbranch_execz .LBB419_124
.LBB419_327:                            ;   in Loop: Header=BB419_108 Depth=2
	global_load_u8 v64, v[62:63], off offset:384
	s_wait_xcnt 0x0
	s_or_b32 exec_lo, exec_lo, s17
	s_delay_alu instid0(SALU_CYCLE_1)
	s_mov_b32 s17, exec_lo
	v_cmpx_gt_u32_e64 s59, v110
	s_cbranch_execz .LBB419_125
.LBB419_328:                            ;   in Loop: Header=BB419_108 Depth=2
	global_load_u8 v136, v[62:63], off offset:416
	s_wait_xcnt 0x0
	s_or_b32 exec_lo, exec_lo, s17
	s_delay_alu instid0(SALU_CYCLE_1)
	s_mov_b32 s17, exec_lo
	v_cmpx_gt_u32_e64 s59, v111
	s_cbranch_execz .LBB419_126
.LBB419_329:                            ;   in Loop: Header=BB419_108 Depth=2
	global_load_u8 v65, v[62:63], off offset:448
	s_wait_xcnt 0x0
	s_or_b32 exec_lo, exec_lo, s17
	s_delay_alu instid0(SALU_CYCLE_1)
	s_mov_b32 s17, exec_lo
	v_cmpx_gt_u32_e64 s59, v112
	s_cbranch_execnz .LBB419_127
	s_branch .LBB419_128
.LBB419_330:                            ;   in Loop: Header=BB419_20 Depth=1
	s_wait_dscnt 0x0
	s_barrier_signal -1
	s_mov_b32 s8, 0
	s_barrier_wait -1
.LBB419_331:                            ;   in Loop: Header=BB419_20 Depth=1
	s_and_b32 vcc_lo, exec_lo, s8
	s_cbranch_vccz .LBB419_641
; %bb.332:                              ;   in Loop: Header=BB419_20 Depth=1
	v_dual_mov_b32 v39, 0 :: v_dual_mov_b32 v42, 0
	v_dual_mov_b32 v41, 0 :: v_dual_mov_b32 v40, 0
	;; [unrolled: 1-line block ×8, first 2 shown]
	v_mov_b32_e32 v26, 0
	s_mov_b32 s8, s57
	s_mov_b32 s34, s55
	s_barrier_signal -1
	s_barrier_wait -1
	s_branch .LBB419_334
.LBB419_333:                            ;   in Loop: Header=BB419_334 Depth=2
	s_or_b32 exec_lo, exec_lo, s10
	s_addk_co_i32 s8, 0xef00
	s_cmp_ge_u32 s9, s54
	s_mov_b32 s34, s9
	s_cbranch_scc1 .LBB419_406
.LBB419_334:                            ;   Parent Loop BB419_20 Depth=1
                                        ; =>  This Inner Loop Header: Depth=2
	s_add_co_i32 s9, s34, 0x1100
	s_mov_b32 s10, -1
	s_cmp_gt_u32 s9, s54
                                        ; implicit-def: $vgpr24
                                        ; implicit-def: $vgpr25
                                        ; implicit-def: $vgpr43
                                        ; implicit-def: $vgpr44
                                        ; implicit-def: $vgpr45
                                        ; implicit-def: $vgpr46
                                        ; implicit-def: $vgpr47
                                        ; implicit-def: $vgpr48
                                        ; implicit-def: $vgpr49
                                        ; implicit-def: $vgpr50
                                        ; implicit-def: $vgpr51
                                        ; implicit-def: $vgpr52
                                        ; implicit-def: $vgpr53
                                        ; implicit-def: $vgpr54
                                        ; implicit-def: $vgpr55
                                        ; implicit-def: $vgpr56
                                        ; implicit-def: $vgpr57
	s_cbranch_scc1 .LBB419_336
; %bb.335:                              ;   in Loop: Header=BB419_334 Depth=2
	v_add_nc_u64_e32 v[58:59], s[34:35], v[12:13]
	s_mov_b32 s10, 0
	s_clause 0x10
	global_load_u8 v57, v[58:59], off offset:4096
	global_load_u8 v56, v[58:59], off offset:3840
	;; [unrolled: 1-line block ×16, first 2 shown]
	global_load_u8 v24, v[58:59], off
.LBB419_336:                            ;   in Loop: Header=BB419_334 Depth=2
	s_and_not1_b32 vcc_lo, exec_lo, s10
	s_movk_i32 s10, 0x1100
	s_cbranch_vccnz .LBB419_356
; %bb.337:                              ;   in Loop: Header=BB419_334 Depth=2
	s_add_nc_u64 s[10:11], s[38:39], s[34:35]
	s_wait_loadcnt 0x0
	v_add_nc_u64_e32 v[24:25], s[10:11], v[2:3]
	s_mov_b32 s10, exec_lo
	s_wait_xcnt 0x0
	v_cmpx_gt_u32_e64 s8, v2
	s_cbranch_execnz .LBB419_390
; %bb.338:                              ;   in Loop: Header=BB419_334 Depth=2
	s_or_b32 exec_lo, exec_lo, s10
	s_delay_alu instid0(SALU_CYCLE_1)
	s_mov_b32 s10, exec_lo
	v_cmpx_gt_u32_e64 s8, v67
	s_cbranch_execnz .LBB419_391
.LBB419_339:                            ;   in Loop: Header=BB419_334 Depth=2
	s_or_b32 exec_lo, exec_lo, s10
	s_delay_alu instid0(SALU_CYCLE_1)
	s_mov_b32 s10, exec_lo
	v_cmpx_gt_u32_e64 s8, v68
	s_cbranch_execnz .LBB419_392
.LBB419_340:                            ;   in Loop: Header=BB419_334 Depth=2
	s_or_b32 exec_lo, exec_lo, s10
	s_delay_alu instid0(SALU_CYCLE_1)
	s_mov_b32 s10, exec_lo
	v_cmpx_gt_u32_e64 s8, v69
	s_cbranch_execnz .LBB419_393
.LBB419_341:                            ;   in Loop: Header=BB419_334 Depth=2
	s_or_b32 exec_lo, exec_lo, s10
	s_delay_alu instid0(SALU_CYCLE_1)
	s_mov_b32 s10, exec_lo
	v_cmpx_gt_u32_e64 s8, v70
	s_cbranch_execnz .LBB419_394
.LBB419_342:                            ;   in Loop: Header=BB419_334 Depth=2
	s_or_b32 exec_lo, exec_lo, s10
	s_delay_alu instid0(SALU_CYCLE_1)
	s_mov_b32 s10, exec_lo
	v_cmpx_gt_u32_e64 s8, v71
	s_cbranch_execnz .LBB419_395
.LBB419_343:                            ;   in Loop: Header=BB419_334 Depth=2
	s_or_b32 exec_lo, exec_lo, s10
	s_delay_alu instid0(SALU_CYCLE_1)
	s_mov_b32 s10, exec_lo
	v_cmpx_gt_u32_e64 s8, v72
	s_cbranch_execnz .LBB419_396
.LBB419_344:                            ;   in Loop: Header=BB419_334 Depth=2
	s_or_b32 exec_lo, exec_lo, s10
	s_delay_alu instid0(SALU_CYCLE_1)
	s_mov_b32 s10, exec_lo
	v_cmpx_gt_u32_e64 s8, v73
	s_cbranch_execnz .LBB419_397
.LBB419_345:                            ;   in Loop: Header=BB419_334 Depth=2
	s_or_b32 exec_lo, exec_lo, s10
	s_delay_alu instid0(SALU_CYCLE_1)
	s_mov_b32 s10, exec_lo
	v_cmpx_gt_u32_e64 s8, v74
	s_cbranch_execnz .LBB419_398
.LBB419_346:                            ;   in Loop: Header=BB419_334 Depth=2
	s_or_b32 exec_lo, exec_lo, s10
	s_delay_alu instid0(SALU_CYCLE_1)
	s_mov_b32 s10, exec_lo
	v_cmpx_gt_u32_e64 s8, v75
	s_cbranch_execnz .LBB419_399
.LBB419_347:                            ;   in Loop: Header=BB419_334 Depth=2
	s_or_b32 exec_lo, exec_lo, s10
	s_delay_alu instid0(SALU_CYCLE_1)
	s_mov_b32 s10, exec_lo
	v_cmpx_gt_u32_e64 s8, v76
	s_cbranch_execnz .LBB419_400
.LBB419_348:                            ;   in Loop: Header=BB419_334 Depth=2
	s_or_b32 exec_lo, exec_lo, s10
	s_delay_alu instid0(SALU_CYCLE_1)
	s_mov_b32 s10, exec_lo
	v_cmpx_gt_u32_e64 s8, v77
	s_cbranch_execnz .LBB419_401
.LBB419_349:                            ;   in Loop: Header=BB419_334 Depth=2
	s_or_b32 exec_lo, exec_lo, s10
	s_delay_alu instid0(SALU_CYCLE_1)
	s_mov_b32 s10, exec_lo
	v_cmpx_gt_u32_e64 s8, v78
	s_cbranch_execnz .LBB419_402
.LBB419_350:                            ;   in Loop: Header=BB419_334 Depth=2
	s_or_b32 exec_lo, exec_lo, s10
	s_delay_alu instid0(SALU_CYCLE_1)
	s_mov_b32 s10, exec_lo
	v_cmpx_gt_u32_e64 s8, v79
	s_cbranch_execnz .LBB419_403
.LBB419_351:                            ;   in Loop: Header=BB419_334 Depth=2
	s_or_b32 exec_lo, exec_lo, s10
	s_delay_alu instid0(SALU_CYCLE_1)
	s_mov_b32 s10, exec_lo
	v_cmpx_gt_u32_e64 s8, v80
	s_cbranch_execnz .LBB419_404
.LBB419_352:                            ;   in Loop: Header=BB419_334 Depth=2
	s_or_b32 exec_lo, exec_lo, s10
	s_delay_alu instid0(SALU_CYCLE_1)
	s_mov_b32 s10, exec_lo
	v_cmpx_gt_u32_e64 s8, v81
	s_cbranch_execnz .LBB419_405
.LBB419_353:                            ;   in Loop: Header=BB419_334 Depth=2
	s_or_b32 exec_lo, exec_lo, s10
	s_delay_alu instid0(SALU_CYCLE_1)
	s_mov_b32 s10, exec_lo
	v_cmpx_gt_u32_e64 s8, v82
	s_cbranch_execz .LBB419_355
.LBB419_354:                            ;   in Loop: Header=BB419_334 Depth=2
	global_load_u8 v26, v[24:25], off offset:4096
.LBB419_355:                            ;   in Loop: Header=BB419_334 Depth=2
	s_wait_xcnt 0x0
	s_or_b32 exec_lo, exec_lo, s10
	s_wait_loadcnt 0x0
	v_dual_mov_b32 v24, v39 :: v_dual_mov_b32 v25, v42
	v_dual_mov_b32 v43, v41 :: v_dual_mov_b32 v44, v40
	v_dual_mov_b32 v45, v38 :: v_dual_mov_b32 v46, v37
	v_dual_mov_b32 v47, v36 :: v_dual_mov_b32 v48, v35
	v_dual_mov_b32 v49, v34 :: v_dual_mov_b32 v50, v33
	v_dual_mov_b32 v51, v32 :: v_dual_mov_b32 v52, v31
	v_dual_mov_b32 v53, v30 :: v_dual_mov_b32 v54, v29
	v_dual_mov_b32 v55, v28 :: v_dual_mov_b32 v56, v27
	v_mov_b32_e32 v57, v26
	s_mov_b32 s10, s8
.LBB419_356:                            ;   in Loop: Header=BB419_334 Depth=2
	s_wait_loadcnt 0xf
	s_delay_alu instid0(VALU_DEP_1)
	v_dual_mov_b32 v26, v57 :: v_dual_mov_b32 v27, v56
	s_wait_loadcnt 0xd
	v_dual_mov_b32 v28, v55 :: v_dual_mov_b32 v29, v54
	s_wait_loadcnt 0xb
	;; [unrolled: 2-line block ×8, first 2 shown]
	v_mov_b32_e32 v39, v24
	s_mov_b32 s11, exec_lo
	s_wait_xcnt 0x0
	v_cmpx_gt_u32_e64 s10, v2
	s_cbranch_execnz .LBB419_373
; %bb.357:                              ;   in Loop: Header=BB419_334 Depth=2
	s_or_b32 exec_lo, exec_lo, s11
	s_delay_alu instid0(SALU_CYCLE_1)
	s_mov_b32 s11, exec_lo
	v_cmpx_gt_u32_e64 s10, v67
	s_cbranch_execnz .LBB419_374
.LBB419_358:                            ;   in Loop: Header=BB419_334 Depth=2
	s_or_b32 exec_lo, exec_lo, s11
	s_delay_alu instid0(SALU_CYCLE_1)
	s_mov_b32 s11, exec_lo
	v_cmpx_gt_u32_e64 s10, v68
	s_cbranch_execnz .LBB419_375
.LBB419_359:                            ;   in Loop: Header=BB419_334 Depth=2
	s_or_b32 exec_lo, exec_lo, s11
	s_delay_alu instid0(SALU_CYCLE_1)
	s_mov_b32 s11, exec_lo
	v_cmpx_gt_u32_e64 s10, v69
	s_cbranch_execnz .LBB419_376
.LBB419_360:                            ;   in Loop: Header=BB419_334 Depth=2
	s_or_b32 exec_lo, exec_lo, s11
	s_delay_alu instid0(SALU_CYCLE_1)
	s_mov_b32 s11, exec_lo
	v_cmpx_gt_u32_e64 s10, v70
	s_cbranch_execnz .LBB419_377
.LBB419_361:                            ;   in Loop: Header=BB419_334 Depth=2
	s_or_b32 exec_lo, exec_lo, s11
	s_delay_alu instid0(SALU_CYCLE_1)
	s_mov_b32 s11, exec_lo
	v_cmpx_gt_u32_e64 s10, v71
	s_cbranch_execnz .LBB419_378
.LBB419_362:                            ;   in Loop: Header=BB419_334 Depth=2
	s_or_b32 exec_lo, exec_lo, s11
	s_delay_alu instid0(SALU_CYCLE_1)
	s_mov_b32 s11, exec_lo
	v_cmpx_gt_u32_e64 s10, v72
	s_cbranch_execnz .LBB419_379
.LBB419_363:                            ;   in Loop: Header=BB419_334 Depth=2
	s_or_b32 exec_lo, exec_lo, s11
	s_delay_alu instid0(SALU_CYCLE_1)
	s_mov_b32 s11, exec_lo
	v_cmpx_gt_u32_e64 s10, v73
	s_cbranch_execnz .LBB419_380
.LBB419_364:                            ;   in Loop: Header=BB419_334 Depth=2
	s_or_b32 exec_lo, exec_lo, s11
	s_delay_alu instid0(SALU_CYCLE_1)
	s_mov_b32 s11, exec_lo
	v_cmpx_gt_u32_e64 s10, v74
	s_cbranch_execnz .LBB419_381
.LBB419_365:                            ;   in Loop: Header=BB419_334 Depth=2
	s_or_b32 exec_lo, exec_lo, s11
	s_delay_alu instid0(SALU_CYCLE_1)
	s_mov_b32 s11, exec_lo
	v_cmpx_gt_u32_e64 s10, v75
	s_cbranch_execnz .LBB419_382
.LBB419_366:                            ;   in Loop: Header=BB419_334 Depth=2
	s_or_b32 exec_lo, exec_lo, s11
	s_delay_alu instid0(SALU_CYCLE_1)
	s_mov_b32 s11, exec_lo
	v_cmpx_gt_u32_e64 s10, v76
	s_cbranch_execnz .LBB419_383
.LBB419_367:                            ;   in Loop: Header=BB419_334 Depth=2
	s_or_b32 exec_lo, exec_lo, s11
	s_delay_alu instid0(SALU_CYCLE_1)
	s_mov_b32 s11, exec_lo
	v_cmpx_gt_u32_e64 s10, v77
	s_cbranch_execnz .LBB419_384
.LBB419_368:                            ;   in Loop: Header=BB419_334 Depth=2
	s_or_b32 exec_lo, exec_lo, s11
	s_delay_alu instid0(SALU_CYCLE_1)
	s_mov_b32 s11, exec_lo
	v_cmpx_gt_u32_e64 s10, v78
	s_cbranch_execnz .LBB419_385
.LBB419_369:                            ;   in Loop: Header=BB419_334 Depth=2
	s_or_b32 exec_lo, exec_lo, s11
	s_delay_alu instid0(SALU_CYCLE_1)
	s_mov_b32 s11, exec_lo
	v_cmpx_gt_u32_e64 s10, v79
	s_cbranch_execnz .LBB419_386
.LBB419_370:                            ;   in Loop: Header=BB419_334 Depth=2
	s_or_b32 exec_lo, exec_lo, s11
	s_delay_alu instid0(SALU_CYCLE_1)
	s_mov_b32 s11, exec_lo
	v_cmpx_gt_u32_e64 s10, v80
	s_cbranch_execnz .LBB419_387
.LBB419_371:                            ;   in Loop: Header=BB419_334 Depth=2
	s_or_b32 exec_lo, exec_lo, s11
	s_delay_alu instid0(SALU_CYCLE_1)
	s_mov_b32 s11, exec_lo
	v_cmpx_gt_u32_e64 s10, v81
	s_cbranch_execnz .LBB419_388
.LBB419_372:                            ;   in Loop: Header=BB419_334 Depth=2
	s_or_b32 exec_lo, exec_lo, s11
	v_cmp_gt_u32_e32 vcc_lo, s10, v82
	s_and_saveexec_b32 s10, vcc_lo
	s_cbranch_execz .LBB419_333
	s_branch .LBB419_389
.LBB419_373:                            ;   in Loop: Header=BB419_334 Depth=2
	v_xor_b32_e32 v24, 0x80, v39
	s_delay_alu instid0(VALU_DEP_1) | instskip(NEXT) | instid1(VALU_DEP_1)
	v_and_b32_e32 v24, 0xff, v24
	v_lshrrev_b32_e32 v24, s48, v24
	s_delay_alu instid0(VALU_DEP_1) | instskip(NEXT) | instid1(VALU_DEP_1)
	v_and_b32_e32 v24, s58, v24
	v_lshl_or_b32 v24, v24, 4, v84
	ds_add_u32 v24, v7
	s_or_b32 exec_lo, exec_lo, s11
	s_delay_alu instid0(SALU_CYCLE_1)
	s_mov_b32 s11, exec_lo
	v_cmpx_gt_u32_e64 s10, v67
	s_cbranch_execz .LBB419_358
.LBB419_374:                            ;   in Loop: Header=BB419_334 Depth=2
	v_xor_b32_e32 v24, 0x80, v42
	s_delay_alu instid0(VALU_DEP_1) | instskip(NEXT) | instid1(VALU_DEP_1)
	v_and_b32_e32 v24, 0xff, v24
	v_lshrrev_b32_e32 v24, s48, v24
	s_delay_alu instid0(VALU_DEP_1) | instskip(NEXT) | instid1(VALU_DEP_1)
	v_and_b32_e32 v24, s58, v24
	v_lshl_or_b32 v24, v24, 4, v84
	ds_add_u32 v24, v7
	s_or_b32 exec_lo, exec_lo, s11
	s_delay_alu instid0(SALU_CYCLE_1)
	s_mov_b32 s11, exec_lo
	v_cmpx_gt_u32_e64 s10, v68
	s_cbranch_execz .LBB419_359
.LBB419_375:                            ;   in Loop: Header=BB419_334 Depth=2
	v_xor_b32_e32 v24, 0x80, v41
	s_delay_alu instid0(VALU_DEP_1) | instskip(NEXT) | instid1(VALU_DEP_1)
	v_and_b32_e32 v24, 0xff, v24
	v_lshrrev_b32_e32 v24, s48, v24
	s_delay_alu instid0(VALU_DEP_1) | instskip(NEXT) | instid1(VALU_DEP_1)
	v_and_b32_e32 v24, s58, v24
	v_lshl_or_b32 v24, v24, 4, v84
	ds_add_u32 v24, v7
	s_or_b32 exec_lo, exec_lo, s11
	s_delay_alu instid0(SALU_CYCLE_1)
	s_mov_b32 s11, exec_lo
	v_cmpx_gt_u32_e64 s10, v69
	s_cbranch_execz .LBB419_360
.LBB419_376:                            ;   in Loop: Header=BB419_334 Depth=2
	v_xor_b32_e32 v24, 0x80, v40
	s_delay_alu instid0(VALU_DEP_1) | instskip(NEXT) | instid1(VALU_DEP_1)
	v_and_b32_e32 v24, 0xff, v24
	v_lshrrev_b32_e32 v24, s48, v24
	s_delay_alu instid0(VALU_DEP_1) | instskip(NEXT) | instid1(VALU_DEP_1)
	v_and_b32_e32 v24, s58, v24
	v_lshl_or_b32 v24, v24, 4, v84
	ds_add_u32 v24, v7
	s_or_b32 exec_lo, exec_lo, s11
	s_delay_alu instid0(SALU_CYCLE_1)
	s_mov_b32 s11, exec_lo
	v_cmpx_gt_u32_e64 s10, v70
	s_cbranch_execz .LBB419_361
.LBB419_377:                            ;   in Loop: Header=BB419_334 Depth=2
	v_xor_b32_e32 v24, 0x80, v38
	s_delay_alu instid0(VALU_DEP_1) | instskip(NEXT) | instid1(VALU_DEP_1)
	v_and_b32_e32 v24, 0xff, v24
	v_lshrrev_b32_e32 v24, s48, v24
	s_delay_alu instid0(VALU_DEP_1) | instskip(NEXT) | instid1(VALU_DEP_1)
	v_and_b32_e32 v24, s58, v24
	v_lshl_or_b32 v24, v24, 4, v84
	ds_add_u32 v24, v7
	s_or_b32 exec_lo, exec_lo, s11
	s_delay_alu instid0(SALU_CYCLE_1)
	s_mov_b32 s11, exec_lo
	v_cmpx_gt_u32_e64 s10, v71
	s_cbranch_execz .LBB419_362
.LBB419_378:                            ;   in Loop: Header=BB419_334 Depth=2
	v_xor_b32_e32 v24, 0x80, v37
	s_delay_alu instid0(VALU_DEP_1) | instskip(NEXT) | instid1(VALU_DEP_1)
	v_and_b32_e32 v24, 0xff, v24
	v_lshrrev_b32_e32 v24, s48, v24
	s_delay_alu instid0(VALU_DEP_1) | instskip(NEXT) | instid1(VALU_DEP_1)
	v_and_b32_e32 v24, s58, v24
	v_lshl_or_b32 v24, v24, 4, v84
	ds_add_u32 v24, v7
	s_or_b32 exec_lo, exec_lo, s11
	s_delay_alu instid0(SALU_CYCLE_1)
	s_mov_b32 s11, exec_lo
	v_cmpx_gt_u32_e64 s10, v72
	s_cbranch_execz .LBB419_363
.LBB419_379:                            ;   in Loop: Header=BB419_334 Depth=2
	v_xor_b32_e32 v24, 0x80, v36
	s_delay_alu instid0(VALU_DEP_1) | instskip(NEXT) | instid1(VALU_DEP_1)
	v_and_b32_e32 v24, 0xff, v24
	v_lshrrev_b32_e32 v24, s48, v24
	s_delay_alu instid0(VALU_DEP_1) | instskip(NEXT) | instid1(VALU_DEP_1)
	v_and_b32_e32 v24, s58, v24
	v_lshl_or_b32 v24, v24, 4, v84
	ds_add_u32 v24, v7
	s_or_b32 exec_lo, exec_lo, s11
	s_delay_alu instid0(SALU_CYCLE_1)
	s_mov_b32 s11, exec_lo
	v_cmpx_gt_u32_e64 s10, v73
	s_cbranch_execz .LBB419_364
.LBB419_380:                            ;   in Loop: Header=BB419_334 Depth=2
	v_xor_b32_e32 v24, 0x80, v35
	s_delay_alu instid0(VALU_DEP_1) | instskip(NEXT) | instid1(VALU_DEP_1)
	v_and_b32_e32 v24, 0xff, v24
	v_lshrrev_b32_e32 v24, s48, v24
	s_delay_alu instid0(VALU_DEP_1) | instskip(NEXT) | instid1(VALU_DEP_1)
	v_and_b32_e32 v24, s58, v24
	v_lshl_or_b32 v24, v24, 4, v84
	ds_add_u32 v24, v7
	s_or_b32 exec_lo, exec_lo, s11
	s_delay_alu instid0(SALU_CYCLE_1)
	s_mov_b32 s11, exec_lo
	v_cmpx_gt_u32_e64 s10, v74
	s_cbranch_execz .LBB419_365
.LBB419_381:                            ;   in Loop: Header=BB419_334 Depth=2
	v_xor_b32_e32 v24, 0x80, v34
	s_delay_alu instid0(VALU_DEP_1) | instskip(NEXT) | instid1(VALU_DEP_1)
	v_and_b32_e32 v24, 0xff, v24
	v_lshrrev_b32_e32 v24, s48, v24
	s_delay_alu instid0(VALU_DEP_1) | instskip(NEXT) | instid1(VALU_DEP_1)
	v_and_b32_e32 v24, s58, v24
	v_lshl_or_b32 v24, v24, 4, v84
	ds_add_u32 v24, v7
	s_or_b32 exec_lo, exec_lo, s11
	s_delay_alu instid0(SALU_CYCLE_1)
	s_mov_b32 s11, exec_lo
	v_cmpx_gt_u32_e64 s10, v75
	s_cbranch_execz .LBB419_366
.LBB419_382:                            ;   in Loop: Header=BB419_334 Depth=2
	v_xor_b32_e32 v24, 0x80, v33
	s_delay_alu instid0(VALU_DEP_1) | instskip(NEXT) | instid1(VALU_DEP_1)
	v_and_b32_e32 v24, 0xff, v24
	v_lshrrev_b32_e32 v24, s48, v24
	s_delay_alu instid0(VALU_DEP_1) | instskip(NEXT) | instid1(VALU_DEP_1)
	v_and_b32_e32 v24, s58, v24
	v_lshl_or_b32 v24, v24, 4, v84
	ds_add_u32 v24, v7
	s_or_b32 exec_lo, exec_lo, s11
	s_delay_alu instid0(SALU_CYCLE_1)
	s_mov_b32 s11, exec_lo
	v_cmpx_gt_u32_e64 s10, v76
	s_cbranch_execz .LBB419_367
.LBB419_383:                            ;   in Loop: Header=BB419_334 Depth=2
	v_xor_b32_e32 v24, 0x80, v32
	s_delay_alu instid0(VALU_DEP_1) | instskip(NEXT) | instid1(VALU_DEP_1)
	v_and_b32_e32 v24, 0xff, v24
	v_lshrrev_b32_e32 v24, s48, v24
	s_delay_alu instid0(VALU_DEP_1) | instskip(NEXT) | instid1(VALU_DEP_1)
	v_and_b32_e32 v24, s58, v24
	v_lshl_or_b32 v24, v24, 4, v84
	ds_add_u32 v24, v7
	s_or_b32 exec_lo, exec_lo, s11
	s_delay_alu instid0(SALU_CYCLE_1)
	s_mov_b32 s11, exec_lo
	v_cmpx_gt_u32_e64 s10, v77
	s_cbranch_execz .LBB419_368
.LBB419_384:                            ;   in Loop: Header=BB419_334 Depth=2
	v_xor_b32_e32 v24, 0x80, v31
	s_delay_alu instid0(VALU_DEP_1) | instskip(NEXT) | instid1(VALU_DEP_1)
	v_and_b32_e32 v24, 0xff, v24
	v_lshrrev_b32_e32 v24, s48, v24
	s_delay_alu instid0(VALU_DEP_1) | instskip(NEXT) | instid1(VALU_DEP_1)
	v_and_b32_e32 v24, s58, v24
	v_lshl_or_b32 v24, v24, 4, v84
	ds_add_u32 v24, v7
	s_or_b32 exec_lo, exec_lo, s11
	s_delay_alu instid0(SALU_CYCLE_1)
	s_mov_b32 s11, exec_lo
	v_cmpx_gt_u32_e64 s10, v78
	s_cbranch_execz .LBB419_369
.LBB419_385:                            ;   in Loop: Header=BB419_334 Depth=2
	v_xor_b32_e32 v24, 0x80, v30
	s_delay_alu instid0(VALU_DEP_1) | instskip(NEXT) | instid1(VALU_DEP_1)
	v_and_b32_e32 v24, 0xff, v24
	v_lshrrev_b32_e32 v24, s48, v24
	s_delay_alu instid0(VALU_DEP_1) | instskip(NEXT) | instid1(VALU_DEP_1)
	v_and_b32_e32 v24, s58, v24
	v_lshl_or_b32 v24, v24, 4, v84
	ds_add_u32 v24, v7
	s_or_b32 exec_lo, exec_lo, s11
	s_delay_alu instid0(SALU_CYCLE_1)
	s_mov_b32 s11, exec_lo
	v_cmpx_gt_u32_e64 s10, v79
	s_cbranch_execz .LBB419_370
.LBB419_386:                            ;   in Loop: Header=BB419_334 Depth=2
	v_xor_b32_e32 v24, 0x80, v29
	s_delay_alu instid0(VALU_DEP_1) | instskip(NEXT) | instid1(VALU_DEP_1)
	v_and_b32_e32 v24, 0xff, v24
	v_lshrrev_b32_e32 v24, s48, v24
	s_delay_alu instid0(VALU_DEP_1) | instskip(NEXT) | instid1(VALU_DEP_1)
	v_and_b32_e32 v24, s58, v24
	v_lshl_or_b32 v24, v24, 4, v84
	ds_add_u32 v24, v7
	s_or_b32 exec_lo, exec_lo, s11
	s_delay_alu instid0(SALU_CYCLE_1)
	s_mov_b32 s11, exec_lo
	v_cmpx_gt_u32_e64 s10, v80
	s_cbranch_execz .LBB419_371
.LBB419_387:                            ;   in Loop: Header=BB419_334 Depth=2
	v_xor_b32_e32 v24, 0x80, v28
	s_delay_alu instid0(VALU_DEP_1) | instskip(NEXT) | instid1(VALU_DEP_1)
	v_and_b32_e32 v24, 0xff, v24
	v_lshrrev_b32_e32 v24, s48, v24
	s_delay_alu instid0(VALU_DEP_1) | instskip(NEXT) | instid1(VALU_DEP_1)
	v_and_b32_e32 v24, s58, v24
	v_lshl_or_b32 v24, v24, 4, v84
	ds_add_u32 v24, v7
	s_or_b32 exec_lo, exec_lo, s11
	s_delay_alu instid0(SALU_CYCLE_1)
	s_mov_b32 s11, exec_lo
	v_cmpx_gt_u32_e64 s10, v81
	s_cbranch_execz .LBB419_372
.LBB419_388:                            ;   in Loop: Header=BB419_334 Depth=2
	v_xor_b32_e32 v24, 0x80, v27
	s_delay_alu instid0(VALU_DEP_1) | instskip(NEXT) | instid1(VALU_DEP_1)
	v_and_b32_e32 v24, 0xff, v24
	v_lshrrev_b32_e32 v24, s48, v24
	s_delay_alu instid0(VALU_DEP_1) | instskip(NEXT) | instid1(VALU_DEP_1)
	v_and_b32_e32 v24, s58, v24
	v_lshl_or_b32 v24, v24, 4, v84
	ds_add_u32 v24, v7
	s_or_b32 exec_lo, exec_lo, s11
	v_cmp_gt_u32_e32 vcc_lo, s10, v82
	s_and_saveexec_b32 s10, vcc_lo
	s_cbranch_execz .LBB419_333
.LBB419_389:                            ;   in Loop: Header=BB419_334 Depth=2
	v_xor_b32_e32 v24, 0x80, v26
	s_delay_alu instid0(VALU_DEP_1) | instskip(NEXT) | instid1(VALU_DEP_1)
	v_and_b32_e32 v24, 0xff, v24
	v_lshrrev_b32_e32 v24, s48, v24
	s_delay_alu instid0(VALU_DEP_1) | instskip(NEXT) | instid1(VALU_DEP_1)
	v_and_b32_e32 v24, s58, v24
	v_lshl_or_b32 v24, v24, 4, v84
	ds_add_u32 v24, v7
	s_branch .LBB419_333
.LBB419_390:                            ;   in Loop: Header=BB419_334 Depth=2
	global_load_u8 v39, v[24:25], off
	s_wait_xcnt 0x0
	s_or_b32 exec_lo, exec_lo, s10
	s_delay_alu instid0(SALU_CYCLE_1)
	s_mov_b32 s10, exec_lo
	v_cmpx_gt_u32_e64 s8, v67
	s_cbranch_execz .LBB419_339
.LBB419_391:                            ;   in Loop: Header=BB419_334 Depth=2
	global_load_u8 v42, v[24:25], off offset:256
	s_wait_xcnt 0x0
	s_or_b32 exec_lo, exec_lo, s10
	s_delay_alu instid0(SALU_CYCLE_1)
	s_mov_b32 s10, exec_lo
	v_cmpx_gt_u32_e64 s8, v68
	s_cbranch_execz .LBB419_340
.LBB419_392:                            ;   in Loop: Header=BB419_334 Depth=2
	global_load_u8 v41, v[24:25], off offset:512
	s_wait_xcnt 0x0
	s_or_b32 exec_lo, exec_lo, s10
	s_delay_alu instid0(SALU_CYCLE_1)
	s_mov_b32 s10, exec_lo
	v_cmpx_gt_u32_e64 s8, v69
	s_cbranch_execz .LBB419_341
.LBB419_393:                            ;   in Loop: Header=BB419_334 Depth=2
	global_load_u8 v40, v[24:25], off offset:768
	s_wait_xcnt 0x0
	s_or_b32 exec_lo, exec_lo, s10
	s_delay_alu instid0(SALU_CYCLE_1)
	s_mov_b32 s10, exec_lo
	v_cmpx_gt_u32_e64 s8, v70
	s_cbranch_execz .LBB419_342
.LBB419_394:                            ;   in Loop: Header=BB419_334 Depth=2
	global_load_u8 v38, v[24:25], off offset:1024
	s_wait_xcnt 0x0
	s_or_b32 exec_lo, exec_lo, s10
	s_delay_alu instid0(SALU_CYCLE_1)
	s_mov_b32 s10, exec_lo
	v_cmpx_gt_u32_e64 s8, v71
	s_cbranch_execz .LBB419_343
.LBB419_395:                            ;   in Loop: Header=BB419_334 Depth=2
	global_load_u8 v37, v[24:25], off offset:1280
	s_wait_xcnt 0x0
	s_or_b32 exec_lo, exec_lo, s10
	s_delay_alu instid0(SALU_CYCLE_1)
	s_mov_b32 s10, exec_lo
	v_cmpx_gt_u32_e64 s8, v72
	s_cbranch_execz .LBB419_344
.LBB419_396:                            ;   in Loop: Header=BB419_334 Depth=2
	global_load_u8 v36, v[24:25], off offset:1536
	s_wait_xcnt 0x0
	s_or_b32 exec_lo, exec_lo, s10
	s_delay_alu instid0(SALU_CYCLE_1)
	s_mov_b32 s10, exec_lo
	v_cmpx_gt_u32_e64 s8, v73
	s_cbranch_execz .LBB419_345
.LBB419_397:                            ;   in Loop: Header=BB419_334 Depth=2
	global_load_u8 v35, v[24:25], off offset:1792
	s_wait_xcnt 0x0
	s_or_b32 exec_lo, exec_lo, s10
	s_delay_alu instid0(SALU_CYCLE_1)
	s_mov_b32 s10, exec_lo
	v_cmpx_gt_u32_e64 s8, v74
	s_cbranch_execz .LBB419_346
.LBB419_398:                            ;   in Loop: Header=BB419_334 Depth=2
	global_load_u8 v34, v[24:25], off offset:2048
	s_wait_xcnt 0x0
	s_or_b32 exec_lo, exec_lo, s10
	s_delay_alu instid0(SALU_CYCLE_1)
	s_mov_b32 s10, exec_lo
	v_cmpx_gt_u32_e64 s8, v75
	s_cbranch_execz .LBB419_347
.LBB419_399:                            ;   in Loop: Header=BB419_334 Depth=2
	global_load_u8 v33, v[24:25], off offset:2304
	s_wait_xcnt 0x0
	s_or_b32 exec_lo, exec_lo, s10
	s_delay_alu instid0(SALU_CYCLE_1)
	s_mov_b32 s10, exec_lo
	v_cmpx_gt_u32_e64 s8, v76
	s_cbranch_execz .LBB419_348
.LBB419_400:                            ;   in Loop: Header=BB419_334 Depth=2
	global_load_u8 v32, v[24:25], off offset:2560
	s_wait_xcnt 0x0
	s_or_b32 exec_lo, exec_lo, s10
	s_delay_alu instid0(SALU_CYCLE_1)
	s_mov_b32 s10, exec_lo
	v_cmpx_gt_u32_e64 s8, v77
	s_cbranch_execz .LBB419_349
.LBB419_401:                            ;   in Loop: Header=BB419_334 Depth=2
	global_load_u8 v31, v[24:25], off offset:2816
	s_wait_xcnt 0x0
	s_or_b32 exec_lo, exec_lo, s10
	s_delay_alu instid0(SALU_CYCLE_1)
	s_mov_b32 s10, exec_lo
	v_cmpx_gt_u32_e64 s8, v78
	s_cbranch_execz .LBB419_350
.LBB419_402:                            ;   in Loop: Header=BB419_334 Depth=2
	global_load_u8 v30, v[24:25], off offset:3072
	s_wait_xcnt 0x0
	s_or_b32 exec_lo, exec_lo, s10
	s_delay_alu instid0(SALU_CYCLE_1)
	s_mov_b32 s10, exec_lo
	v_cmpx_gt_u32_e64 s8, v79
	s_cbranch_execz .LBB419_351
.LBB419_403:                            ;   in Loop: Header=BB419_334 Depth=2
	global_load_u8 v29, v[24:25], off offset:3328
	s_wait_xcnt 0x0
	s_or_b32 exec_lo, exec_lo, s10
	s_delay_alu instid0(SALU_CYCLE_1)
	s_mov_b32 s10, exec_lo
	v_cmpx_gt_u32_e64 s8, v80
	s_cbranch_execz .LBB419_352
.LBB419_404:                            ;   in Loop: Header=BB419_334 Depth=2
	global_load_u8 v28, v[24:25], off offset:3584
	s_wait_xcnt 0x0
	s_or_b32 exec_lo, exec_lo, s10
	s_delay_alu instid0(SALU_CYCLE_1)
	s_mov_b32 s10, exec_lo
	v_cmpx_gt_u32_e64 s8, v81
	s_cbranch_execz .LBB419_353
.LBB419_405:                            ;   in Loop: Header=BB419_334 Depth=2
	global_load_u8 v27, v[24:25], off offset:3840
	s_wait_xcnt 0x0
	s_or_b32 exec_lo, exec_lo, s10
	s_delay_alu instid0(SALU_CYCLE_1)
	s_mov_b32 s10, exec_lo
	v_cmpx_gt_u32_e64 s8, v82
	s_cbranch_execnz .LBB419_354
	s_branch .LBB419_355
.LBB419_406:                            ;   in Loop: Header=BB419_20 Depth=1
	v_mov_b32_e32 v24, 0
	s_wait_dscnt 0x0
	s_barrier_signal -1
	s_barrier_wait -1
	s_and_saveexec_b32 s8, s0
	s_cbranch_execz .LBB419_408
; %bb.407:                              ;   in Loop: Header=BB419_20 Depth=1
	ds_load_2addr_b64 v[24:27], v85 offset1:1
	s_wait_dscnt 0x0
	v_add_nc_u32_e32 v24, v25, v24
	s_delay_alu instid0(VALU_DEP_1)
	v_add3_u32 v24, v24, v26, v27
.LBB419_408:                            ;   in Loop: Header=BB419_20 Depth=1
	s_or_b32 exec_lo, exec_lo, s8
	v_and_b32_e32 v25, 15, v0
	s_delay_alu instid0(VALU_DEP_2) | instskip(SKIP_1) | instid1(VALU_DEP_3)
	v_mov_b32_dpp v26, v24 row_shr:1 row_mask:0xf bank_mask:0xf
	v_and_b32_e32 v27, 16, v0
	v_cmp_eq_u32_e64 s8, 0, v25
	v_cmp_lt_u32_e64 s9, 1, v25
	s_delay_alu instid0(VALU_DEP_3) | instskip(NEXT) | instid1(VALU_DEP_3)
	v_cmp_eq_u32_e64 s12, 0, v27
	v_cndmask_b32_e64 v26, v26, 0, s8
	s_delay_alu instid0(VALU_DEP_1) | instskip(NEXT) | instid1(VALU_DEP_1)
	v_add_nc_u32_e32 v24, v26, v24
	v_mov_b32_dpp v26, v24 row_shr:2 row_mask:0xf bank_mask:0xf
	s_delay_alu instid0(VALU_DEP_1) | instskip(SKIP_2) | instid1(VALU_DEP_3)
	v_cndmask_b32_e64 v26, 0, v26, s9
	v_cmp_lt_u32_e64 s11, 7, v25
	v_cmp_lt_u32_e64 s10, 3, v25
	v_add_nc_u32_e32 v24, v24, v26
	s_delay_alu instid0(VALU_DEP_1) | instskip(NEXT) | instid1(VALU_DEP_1)
	v_mov_b32_dpp v26, v24 row_shr:4 row_mask:0xf bank_mask:0xf
	v_cndmask_b32_e64 v26, 0, v26, s10
	s_delay_alu instid0(VALU_DEP_1) | instskip(NEXT) | instid1(VALU_DEP_1)
	v_add_nc_u32_e32 v24, v24, v26
	v_mov_b32_dpp v26, v24 row_shr:8 row_mask:0xf bank_mask:0xf
	s_delay_alu instid0(VALU_DEP_1) | instskip(SKIP_1) | instid1(VALU_DEP_2)
	v_cndmask_b32_e64 v25, 0, v26, s11
	v_bfe_i32 v26, v0, 4, 1
	v_add_nc_u32_e32 v24, v24, v25
	ds_swizzle_b32 v25, v24 offset:swizzle(BROADCAST,32,15)
	s_wait_dscnt 0x0
	v_and_b32_e32 v25, v26, v25
	s_delay_alu instid0(VALU_DEP_1)
	v_add_nc_u32_e32 v24, v24, v25
	s_and_saveexec_b32 s13, s1
; %bb.409:                              ;   in Loop: Header=BB419_20 Depth=1
	ds_store_b32 v86, v24
; %bb.410:                              ;   in Loop: Header=BB419_20 Depth=1
	s_or_b32 exec_lo, exec_lo, s13
	s_wait_dscnt 0x0
	s_barrier_signal -1
	s_barrier_wait -1
	s_and_saveexec_b32 s13, s4
	s_cbranch_execz .LBB419_412
; %bb.411:                              ;   in Loop: Header=BB419_20 Depth=1
	ds_load_b32 v25, v87
	s_wait_dscnt 0x0
	v_mov_b32_dpp v27, v25 row_shr:1 row_mask:0xf bank_mask:0xf
	v_and_b32_e32 v26, 3, v0
	s_delay_alu instid0(VALU_DEP_1) | instskip(NEXT) | instid1(VALU_DEP_3)
	v_cmp_ne_u32_e32 vcc_lo, 0, v26
	v_cndmask_b32_e32 v27, 0, v27, vcc_lo
	v_cmp_lt_u32_e32 vcc_lo, 1, v26
	s_delay_alu instid0(VALU_DEP_2) | instskip(NEXT) | instid1(VALU_DEP_1)
	v_add_nc_u32_e32 v25, v27, v25
	v_mov_b32_dpp v27, v25 row_shr:2 row_mask:0xf bank_mask:0xf
	s_delay_alu instid0(VALU_DEP_1) | instskip(NEXT) | instid1(VALU_DEP_1)
	v_cndmask_b32_e32 v26, 0, v27, vcc_lo
	v_add_nc_u32_e32 v25, v25, v26
	ds_store_b32 v87, v25
.LBB419_412:                            ;   in Loop: Header=BB419_20 Depth=1
	s_or_b32 exec_lo, exec_lo, s13
	v_mov_b32_e32 v25, 0
	s_wait_dscnt 0x0
	s_barrier_signal -1
	s_barrier_wait -1
	s_and_saveexec_b32 s13, s5
; %bb.413:                              ;   in Loop: Header=BB419_20 Depth=1
	ds_load_b32 v25, v88
; %bb.414:                              ;   in Loop: Header=BB419_20 Depth=1
	s_or_b32 exec_lo, exec_lo, s13
	v_sub_co_u32 v26, s13, v0, 1
	s_wait_dscnt 0x0
	s_barrier_signal -1
	s_barrier_wait -1
	s_delay_alu instid0(VALU_DEP_1) | instskip(SKIP_1) | instid1(VALU_DEP_1)
	v_cmp_gt_i32_e32 vcc_lo, 0, v26
	v_cndmask_b32_e32 v26, v26, v0, vcc_lo
	v_dual_add_nc_u32 v24, v25, v24 :: v_dual_lshlrev_b32 v96, 2, v26
	ds_bpermute_b32 v24, v96, v24
	s_and_saveexec_b32 s14, s0
	s_cbranch_execz .LBB419_416
; %bb.415:                              ;   in Loop: Header=BB419_20 Depth=1
	s_wait_dscnt 0x0
	v_cndmask_b32_e64 v24, v24, v25, s13
	s_delay_alu instid0(VALU_DEP_1)
	v_add_nc_u32_e32 v24, s55, v24
	ds_store_b32 v66, v24
.LBB419_416:                            ;   in Loop: Header=BB419_20 Depth=1
	s_or_b32 exec_lo, exec_lo, s14
	s_load_b64 s[14:15], s[52:53], 0x0
	v_dual_lshlrev_b32 v26, 3, v0 :: v_dual_bitop2_b32 v28, 7, v0 bitop3:0x40
	v_dual_mov_b32 v27, v1 :: v_dual_bitop2_b32 v97, v0, v6 bitop3:0x54
	s_wait_dscnt 0x0
	v_add_nc_u64_e32 v[24:25], v[16:17], v[0:1]
	v_mov_b32_e32 v115, 0
	s_mov_b32 s59, s57
	v_add_nc_u64_e32 v[26:27], v[14:15], v[26:27]
	v_dual_add_nc_u32 v98, 32, v97 :: v_dual_add_nc_u32 v99, 64, v97
	v_add_nc_u32_e32 v100, 0x60, v97
	v_add_nc_u32_e32 v101, 0x80, v97
	;; [unrolled: 1-line block ×9, first 2 shown]
	s_wait_kmcnt 0x0
	s_cmp_lt_u32 s51, s14
	v_add_nc_u32_e32 v109, 0x180, v97
	s_cselect_b32 s34, 12, 18
	s_cmp_lt_u32 s42, s15
	s_mov_b32 s15, s35
	s_cselect_b32 s14, 14, 20
	v_add_nc_u32_e32 v110, 0x1a0, v97
	s_add_nc_u64 s[14:15], s[52:53], s[14:15]
	v_add_nc_u32_e32 v111, 0x1c0, v97
	s_load_u16 s16, s[14:15], 0x0
	s_wait_xcnt 0x0
	s_add_nc_u64 s[14:15], s[52:53], s[34:35]
	v_add_nc_u32_e32 v112, 0x1e0, v97
	s_load_u16 s17, s[14:15], 0x0
	s_wait_xcnt 0x0
	v_cmp_eq_u32_e64 s14, 0, v28
	v_cmp_lt_u32_e64 s15, 1, v28
	v_add_nc_u32_e32 v113, 0x200, v97
	s_mov_b32 s34, s55
                                        ; implicit-def: $vgpr30_vgpr31
                                        ; implicit-def: $vgpr32_vgpr33
                                        ; implicit-def: $vgpr34_vgpr35
                                        ; implicit-def: $vgpr36_vgpr37
                                        ; implicit-def: $vgpr38_vgpr39
                                        ; implicit-def: $vgpr40_vgpr41
                                        ; implicit-def: $vgpr42_vgpr43
                                        ; implicit-def: $vgpr44_vgpr45
                                        ; implicit-def: $vgpr46_vgpr47
                                        ; implicit-def: $vgpr48_vgpr49
                                        ; implicit-def: $vgpr50_vgpr51
                                        ; implicit-def: $vgpr52_vgpr53
                                        ; implicit-def: $vgpr54_vgpr55
                                        ; implicit-def: $vgpr56_vgpr57
                                        ; implicit-def: $vgpr58_vgpr59
                                        ; implicit-def: $vgpr60_vgpr61
                                        ; implicit-def: $vgpr116
                                        ; implicit-def: $vgpr117
                                        ; implicit-def: $vgpr118
                                        ; implicit-def: $vgpr119
                                        ; implicit-def: $vgpr120
                                        ; implicit-def: $vgpr121
                                        ; implicit-def: $vgpr122
                                        ; implicit-def: $vgpr123
                                        ; implicit-def: $vgpr124
                                        ; implicit-def: $vgpr125
                                        ; implicit-def: $vgpr126
                                        ; implicit-def: $vgpr127
                                        ; implicit-def: $vgpr128
                                        ; implicit-def: $vgpr129
                                        ; implicit-def: $vgpr130
                                        ; implicit-def: $vgpr131
                                        ; implicit-def: $vgpr132
                                        ; implicit-def: $vgpr133
                                        ; implicit-def: $vgpr134
	s_wait_kmcnt 0x0
	v_mad_u32_u24 v29, v89, s16, v91
	v_cmp_lt_u32_e64 s16, 3, v28
	s_delay_alu instid0(VALU_DEP_2) | instskip(NEXT) | instid1(VALU_DEP_1)
	v_mad_u32 v28, v29, s17, v2
	v_lshrrev_b32_e32 v28, 3, v28
	s_delay_alu instid0(VALU_DEP_1)
	v_and_b32_e32 v114, 0x1ffffffc, v28
                                        ; implicit-def: $vgpr28_vgpr29
	s_branch .LBB419_418
.LBB419_417:                            ;   in Loop: Header=BB419_418 Depth=2
	s_or_b32 exec_lo, exec_lo, s17
	s_addk_co_i32 s59, 0xef00
	s_cmp_lt_u32 s60, s54
	s_mov_b32 s34, s60
	s_cbranch_scc0 .LBB419_640
.LBB419_418:                            ;   Parent Loop BB419_20 Depth=1
                                        ; =>  This Inner Loop Header: Depth=2
	s_add_co_i32 s60, s34, 0x1100
	s_delay_alu instid0(SALU_CYCLE_1)
	s_cmp_gt_u32 s60, s54
	s_cbranch_scc1 .LBB419_420
; %bb.419:                              ;   in Loop: Header=BB419_418 Depth=2
	v_add_nc_u64_e32 v[62:63], s[34:35], v[24:25]
	s_mov_b32 s17, -1
	s_clause 0xf
	global_load_u8 v135, v[62:63], off offset:480
	global_load_u8 v65, v[62:63], off offset:448
	;; [unrolled: 1-line block ×15, first 2 shown]
	global_load_u8 v147, v[62:63], off
	s_movk_i32 s18, 0x1100
	s_cbranch_execz .LBB419_421
	s_branch .LBB419_439
.LBB419_420:                            ;   in Loop: Header=BB419_418 Depth=2
	s_mov_b32 s17, 0
                                        ; implicit-def: $vgpr147
                                        ; implicit-def: $vgpr150
                                        ; implicit-def: $vgpr148
                                        ; implicit-def: $vgpr151
                                        ; implicit-def: $vgpr142
                                        ; implicit-def: $vgpr145
                                        ; implicit-def: $vgpr143
                                        ; implicit-def: $vgpr144
                                        ; implicit-def: $vgpr138
                                        ; implicit-def: $vgpr141
                                        ; implicit-def: $vgpr139
                                        ; implicit-def: $vgpr140
                                        ; implicit-def: $vgpr64
                                        ; implicit-def: $vgpr136
                                        ; implicit-def: $vgpr65
                                        ; implicit-def: $vgpr135
                                        ; implicit-def: $vgpr115
	s_movk_i32 s18, 0x1100
.LBB419_421:                            ;   in Loop: Header=BB419_418 Depth=2
	s_wait_xcnt 0x0
	v_add_nc_u64_e32 v[62:63], s[34:35], v[24:25]
	s_wait_loadcnt 0x1
	v_dual_mov_b32 v115, 0x7f :: v_dual_mov_b32 v150, 0x7f
	s_wait_loadcnt 0x0
	v_dual_mov_b32 v147, 0x7f :: v_dual_mov_b32 v148, 0x7f
	v_dual_mov_b32 v151, 0x7f :: v_dual_mov_b32 v142, 0x7f
	;; [unrolled: 1-line block ×7, first 2 shown]
	v_mov_b32_e32 v135, 0x7f
	s_mov_b32 s17, exec_lo
	v_cmpx_gt_u32_e64 s59, v97
	s_cbranch_execnz .LBB419_625
; %bb.422:                              ;   in Loop: Header=BB419_418 Depth=2
	s_or_b32 exec_lo, exec_lo, s17
	s_delay_alu instid0(SALU_CYCLE_1)
	s_mov_b32 s17, exec_lo
	v_cmpx_gt_u32_e64 s59, v98
	s_cbranch_execnz .LBB419_626
.LBB419_423:                            ;   in Loop: Header=BB419_418 Depth=2
	s_or_b32 exec_lo, exec_lo, s17
	s_delay_alu instid0(SALU_CYCLE_1)
	s_mov_b32 s17, exec_lo
	v_cmpx_gt_u32_e64 s59, v99
	s_cbranch_execnz .LBB419_627
.LBB419_424:                            ;   in Loop: Header=BB419_418 Depth=2
	s_or_b32 exec_lo, exec_lo, s17
	s_delay_alu instid0(SALU_CYCLE_1)
	s_mov_b32 s17, exec_lo
	v_cmpx_gt_u32_e64 s59, v100
	s_cbranch_execnz .LBB419_628
.LBB419_425:                            ;   in Loop: Header=BB419_418 Depth=2
	s_or_b32 exec_lo, exec_lo, s17
	s_delay_alu instid0(SALU_CYCLE_1)
	s_mov_b32 s17, exec_lo
	v_cmpx_gt_u32_e64 s59, v101
	s_cbranch_execnz .LBB419_629
.LBB419_426:                            ;   in Loop: Header=BB419_418 Depth=2
	s_or_b32 exec_lo, exec_lo, s17
	s_delay_alu instid0(SALU_CYCLE_1)
	s_mov_b32 s17, exec_lo
	v_cmpx_gt_u32_e64 s59, v102
	s_cbranch_execnz .LBB419_630
.LBB419_427:                            ;   in Loop: Header=BB419_418 Depth=2
	s_or_b32 exec_lo, exec_lo, s17
	s_delay_alu instid0(SALU_CYCLE_1)
	s_mov_b32 s17, exec_lo
	v_cmpx_gt_u32_e64 s59, v103
	s_cbranch_execnz .LBB419_631
.LBB419_428:                            ;   in Loop: Header=BB419_418 Depth=2
	s_or_b32 exec_lo, exec_lo, s17
	s_delay_alu instid0(SALU_CYCLE_1)
	s_mov_b32 s17, exec_lo
	v_cmpx_gt_u32_e64 s59, v104
	s_cbranch_execnz .LBB419_632
.LBB419_429:                            ;   in Loop: Header=BB419_418 Depth=2
	s_or_b32 exec_lo, exec_lo, s17
	s_delay_alu instid0(SALU_CYCLE_1)
	s_mov_b32 s17, exec_lo
	v_cmpx_gt_u32_e64 s59, v105
	s_cbranch_execnz .LBB419_633
.LBB419_430:                            ;   in Loop: Header=BB419_418 Depth=2
	s_or_b32 exec_lo, exec_lo, s17
	s_delay_alu instid0(SALU_CYCLE_1)
	s_mov_b32 s17, exec_lo
	v_cmpx_gt_u32_e64 s59, v106
	s_cbranch_execnz .LBB419_634
.LBB419_431:                            ;   in Loop: Header=BB419_418 Depth=2
	s_or_b32 exec_lo, exec_lo, s17
	s_delay_alu instid0(SALU_CYCLE_1)
	s_mov_b32 s17, exec_lo
	v_cmpx_gt_u32_e64 s59, v107
	s_cbranch_execnz .LBB419_635
.LBB419_432:                            ;   in Loop: Header=BB419_418 Depth=2
	s_or_b32 exec_lo, exec_lo, s17
	s_delay_alu instid0(SALU_CYCLE_1)
	s_mov_b32 s17, exec_lo
	v_cmpx_gt_u32_e64 s59, v108
	s_cbranch_execnz .LBB419_636
.LBB419_433:                            ;   in Loop: Header=BB419_418 Depth=2
	s_or_b32 exec_lo, exec_lo, s17
	s_delay_alu instid0(SALU_CYCLE_1)
	s_mov_b32 s17, exec_lo
	v_cmpx_gt_u32_e64 s59, v109
	s_cbranch_execnz .LBB419_637
.LBB419_434:                            ;   in Loop: Header=BB419_418 Depth=2
	s_or_b32 exec_lo, exec_lo, s17
	s_delay_alu instid0(SALU_CYCLE_1)
	s_mov_b32 s17, exec_lo
	v_cmpx_gt_u32_e64 s59, v110
	s_cbranch_execnz .LBB419_638
.LBB419_435:                            ;   in Loop: Header=BB419_418 Depth=2
	s_or_b32 exec_lo, exec_lo, s17
	s_delay_alu instid0(SALU_CYCLE_1)
	s_mov_b32 s17, exec_lo
	v_cmpx_gt_u32_e64 s59, v111
	s_cbranch_execnz .LBB419_639
.LBB419_436:                            ;   in Loop: Header=BB419_418 Depth=2
	s_or_b32 exec_lo, exec_lo, s17
	s_delay_alu instid0(SALU_CYCLE_1)
	s_mov_b32 s17, exec_lo
	v_cmpx_gt_u32_e64 s59, v112
	s_cbranch_execz .LBB419_438
.LBB419_437:                            ;   in Loop: Header=BB419_418 Depth=2
	global_load_u8 v135, v[62:63], off offset:480
.LBB419_438:                            ;   in Loop: Header=BB419_418 Depth=2
	s_wait_xcnt 0x0
	s_or_b32 exec_lo, exec_lo, s17
	v_cmp_gt_u32_e64 s17, s59, v113
	s_sub_co_i32 s18, s54, s34
.LBB419_439:                            ;   in Loop: Header=BB419_418 Depth=2
	v_mov_b32_e32 v137, s59
	s_wait_xcnt 0x0
	s_and_saveexec_b32 s19, s17
	s_cbranch_execz .LBB419_441
; %bb.440:                              ;   in Loop: Header=BB419_418 Depth=2
	v_add_nc_u64_e32 v[62:63], s[34:35], v[24:25]
	v_mov_b32_e32 v137, s18
	global_load_u8 v115, v[62:63], off offset:512
.LBB419_441:                            ;   in Loop: Header=BB419_418 Depth=2
	s_wait_xcnt 0x0
	s_or_b32 exec_lo, exec_lo, s19
	s_wait_loadcnt 0x0
	v_bitop3_b16 v62, v147, s43, 0x80 bitop3:0x48
	ds_store_2addr_b32 v90, v1, v1 offset0:136 offset1:137
	ds_store_2addr_b32 v90, v1, v1 offset0:138 offset1:139
	ds_store_b32 v90, v1 offset:560
	s_wait_dscnt 0x0
	s_barrier_signal -1
	s_barrier_wait -1
	v_and_b32_e32 v62, 0xffff, v62
	; wave barrier
	s_delay_alu instid0(VALU_DEP_1) | instskip(NEXT) | instid1(VALU_DEP_1)
	v_lshrrev_b32_e32 v62, s48, v62
	v_and_b32_e32 v149, s58, v62
	s_delay_alu instid0(VALU_DEP_1) | instskip(SKIP_1) | instid1(VALU_DEP_1)
	v_lshlrev_b32_e32 v146, 30, v149
	v_bitop3_b32 v63, v62, 1, s58 bitop3:0x80
	v_add_co_u32 v62, s17, v63, -1
	s_delay_alu instid0(VALU_DEP_1) | instskip(NEXT) | instid1(VALU_DEP_4)
	v_cndmask_b32_e64 v63, 0, 1, s17
	v_cmp_gt_i32_e64 s17, 0, v146
	s_delay_alu instid0(VALU_DEP_2) | instskip(SKIP_2) | instid1(VALU_DEP_2)
	v_cmp_ne_u32_e32 vcc_lo, 0, v63
	v_not_b32_e32 v63, v146
	v_bitop3_b32 v62, vcc_lo, exec_lo, v62 bitop3:0x48
	v_dual_ashrrev_i32 v63, 31, v63 :: v_dual_lshlrev_b32 v152, 29, v149
	v_dual_lshlrev_b32 v153, 28, v149 :: v_dual_lshlrev_b32 v154, 27, v149
	v_lshlrev_b32_e32 v155, 26, v149
	s_delay_alu instid0(VALU_DEP_3)
	v_not_b32_e32 v146, v152
	v_lshlrev_b32_e32 v156, 25, v149
	v_cmp_gt_i32_e64 s18, 0, v152
	v_cmp_gt_i32_e64 s19, 0, v153
	v_not_b32_e32 v152, v153
	v_not_b32_e32 v153, v154
	v_ashrrev_i32_e32 v146, 31, v146
	v_cmp_gt_i32_e64 s20, 0, v154
	v_cmp_gt_i32_e64 s21, 0, v155
	v_not_b32_e32 v154, v155
	v_not_b32_e32 v155, v156
	v_dual_ashrrev_i32 v152, 31, v152 :: v_dual_ashrrev_i32 v153, 31, v153
	s_delay_alu instid0(VALU_DEP_3) | instskip(NEXT) | instid1(VALU_DEP_3)
	v_dual_ashrrev_i32 v154, 31, v154 :: v_dual_bitop2_b32 v63, s17, v63 bitop3:0x14
	v_dual_ashrrev_i32 v155, 31, v155 :: v_dual_bitop2_b32 v146, s18, v146 bitop3:0x14
	v_cmp_gt_i32_e64 s22, 0, v156
	s_delay_alu instid0(VALU_DEP_4) | instskip(SKIP_1) | instid1(VALU_DEP_4)
	v_xor_b32_e32 v152, s19, v152
	v_xor_b32_e32 v153, s20, v153
	v_bitop3_b32 v62, v62, v146, v63 bitop3:0x80
	v_xor_b32_e32 v63, s21, v154
	v_xor_b32_e32 v146, s22, v155
	s_delay_alu instid0(VALU_DEP_3) | instskip(NEXT) | instid1(VALU_DEP_1)
	v_bitop3_b32 v62, v62, v153, v152 bitop3:0x80
	v_bitop3_b32 v62, v62, v146, v63 bitop3:0x80
	v_mul_u32_u24_e32 v63, 36, v149
	s_delay_alu instid0(VALU_DEP_2) | instskip(SKIP_1) | instid1(VALU_DEP_3)
	v_mbcnt_lo_u32_b32 v146, v62, 0
	v_cmp_ne_u32_e64 s17, 0, v62
	v_add_nc_u32_e32 v149, v114, v63
	s_delay_alu instid0(VALU_DEP_3) | instskip(SKIP_1) | instid1(SALU_CYCLE_1)
	v_cmp_eq_u32_e32 vcc_lo, 0, v146
	s_and_b32 s18, s17, vcc_lo
	s_and_saveexec_b32 s17, s18
; %bb.442:                              ;   in Loop: Header=BB419_418 Depth=2
	v_bcnt_u32_b32 v62, v62, 0
	ds_store_b32 v149, v62 offset:544
; %bb.443:                              ;   in Loop: Header=BB419_418 Depth=2
	s_or_b32 exec_lo, exec_lo, s17
	v_xor_b32_e32 v62, 0x80, v150
	v_xor_b32_e32 v63, 0x80, v151
	;; [unrolled: 1-line block ×4, first 2 shown]
	s_delay_alu instid0(VALU_DEP_4) | instskip(NEXT) | instid1(VALU_DEP_4)
	v_lshlrev_b16 v62, 8, v62
	v_lshlrev_b16 v63, 8, v63
	; wave barrier
	s_delay_alu instid0(VALU_DEP_2) | instskip(NEXT) | instid1(VALU_DEP_2)
	v_bitop3_b16 v147, v147, v62, 0xff bitop3:0xec
	v_bitop3_b16 v62, v148, v63, 0xff bitop3:0xec
	s_delay_alu instid0(VALU_DEP_2) | instskip(NEXT) | instid1(VALU_DEP_2)
	v_and_b32_e32 v63, 0xffff, v147
	v_lshlrev_b32_e32 v62, 16, v62
	s_delay_alu instid0(VALU_DEP_1) | instskip(NEXT) | instid1(VALU_DEP_1)
	v_or_b32_e32 v148, v63, v62
	v_bfe_u32 v62, v148, 8, 8
	s_delay_alu instid0(VALU_DEP_1) | instskip(NEXT) | instid1(VALU_DEP_1)
	v_lshrrev_b32_e32 v62, s48, v62
	v_bitop3_b32 v63, v62, 1, s58 bitop3:0x80
	v_and_b32_e32 v152, s58, v62
	s_delay_alu instid0(VALU_DEP_2) | instskip(NEXT) | instid1(VALU_DEP_1)
	v_add_co_u32 v62, s17, v63, -1
	v_cndmask_b32_e64 v63, 0, 1, s17
	s_delay_alu instid0(VALU_DEP_3) | instskip(NEXT) | instid1(VALU_DEP_2)
	v_lshlrev_b32_e32 v150, 30, v152
	v_cmp_ne_u32_e32 vcc_lo, 0, v63
	s_delay_alu instid0(VALU_DEP_2) | instskip(SKIP_2) | instid1(VALU_DEP_3)
	v_not_b32_e32 v63, v150
	v_cmp_gt_i32_e64 s17, 0, v150
	v_bitop3_b32 v62, vcc_lo, exec_lo, v62 bitop3:0x48
	v_dual_ashrrev_i32 v63, 31, v63 :: v_dual_lshlrev_b32 v151, 29, v152
	v_dual_lshlrev_b32 v153, 28, v152 :: v_dual_lshlrev_b32 v154, 27, v152
	v_lshlrev_b32_e32 v155, 26, v152
	s_delay_alu instid0(VALU_DEP_3)
	v_not_b32_e32 v150, v151
	v_lshlrev_b32_e32 v156, 25, v152
	v_cmp_gt_i32_e64 s18, 0, v151
	v_cmp_gt_i32_e64 s19, 0, v153
	v_not_b32_e32 v151, v153
	v_ashrrev_i32_e32 v150, 31, v150
	v_cmp_gt_i32_e64 s20, 0, v154
	v_not_b32_e32 v153, v154
	v_cmp_gt_i32_e64 s21, 0, v155
	v_not_b32_e32 v154, v155
	v_not_b32_e32 v155, v156
	v_xor_b32_e32 v63, s17, v63
	v_dual_ashrrev_i32 v151, 31, v151 :: v_dual_bitop2_b32 v150, s18, v150 bitop3:0x14
	s_delay_alu instid0(VALU_DEP_4) | instskip(NEXT) | instid1(VALU_DEP_4)
	v_dual_ashrrev_i32 v153, 31, v153 :: v_dual_ashrrev_i32 v154, 31, v154
	v_ashrrev_i32_e32 v155, 31, v155
	s_delay_alu instid0(VALU_DEP_3)
	v_bitop3_b32 v62, v62, v150, v63 bitop3:0x80
	v_mad_u32_u24 v63, v152, 36, v114
	v_cmp_gt_i32_e64 s22, 0, v156
	v_xor_b32_e32 v151, s19, v151
	v_xor_b32_e32 v154, s21, v154
	ds_load_b32 v150, v63 offset:544
	v_mul_u32_u24_e32 v63, 36, v152
	v_xor_b32_e32 v153, s20, v153
	v_xor_b32_e32 v155, s22, v155
	; wave barrier
	s_delay_alu instid0(VALU_DEP_3) | instskip(NEXT) | instid1(VALU_DEP_3)
	v_add_nc_u32_e32 v152, v114, v63
	v_bitop3_b32 v62, v62, v153, v151 bitop3:0x80
	s_delay_alu instid0(VALU_DEP_1) | instskip(NEXT) | instid1(VALU_DEP_1)
	v_bitop3_b32 v62, v62, v155, v154 bitop3:0x80
	v_mbcnt_lo_u32_b32 v151, v62, 0
	v_cmp_ne_u32_e64 s17, 0, v62
	s_delay_alu instid0(VALU_DEP_2) | instskip(SKIP_1) | instid1(SALU_CYCLE_1)
	v_cmp_eq_u32_e32 vcc_lo, 0, v151
	s_and_b32 s18, s17, vcc_lo
	s_and_saveexec_b32 s17, s18
	s_cbranch_execz .LBB419_445
; %bb.444:                              ;   in Loop: Header=BB419_418 Depth=2
	s_wait_dscnt 0x0
	v_bcnt_u32_b32 v62, v62, v150
	ds_store_b32 v152, v62 offset:544
.LBB419_445:                            ;   in Loop: Header=BB419_418 Depth=2
	s_or_b32 exec_lo, exec_lo, s17
	v_bfe_u32 v62, v148, 16, 8
	; wave barrier
	s_delay_alu instid0(VALU_DEP_1) | instskip(NEXT) | instid1(VALU_DEP_1)
	v_lshrrev_b32_e32 v62, s48, v62
	v_and_b32_e32 v155, s58, v62
	s_delay_alu instid0(VALU_DEP_1) | instskip(SKIP_1) | instid1(VALU_DEP_1)
	v_lshlrev_b32_e32 v153, 30, v155
	v_bitop3_b32 v63, v62, 1, s58 bitop3:0x80
	v_add_co_u32 v62, s17, v63, -1
	s_delay_alu instid0(VALU_DEP_1) | instskip(NEXT) | instid1(VALU_DEP_4)
	v_cndmask_b32_e64 v63, 0, 1, s17
	v_cmp_gt_i32_e64 s17, 0, v153
	s_delay_alu instid0(VALU_DEP_2) | instskip(SKIP_2) | instid1(VALU_DEP_2)
	v_cmp_ne_u32_e32 vcc_lo, 0, v63
	v_not_b32_e32 v63, v153
	v_bitop3_b32 v62, vcc_lo, exec_lo, v62 bitop3:0x48
	v_ashrrev_i32_e32 v63, 31, v63
	v_dual_lshlrev_b32 v154, 29, v155 :: v_dual_lshlrev_b32 v156, 28, v155
	v_dual_lshlrev_b32 v157, 27, v155 :: v_dual_lshlrev_b32 v158, 26, v155
	s_delay_alu instid0(VALU_DEP_2)
	v_not_b32_e32 v153, v154
	v_lshlrev_b32_e32 v159, 25, v155
	v_cmp_gt_i32_e64 s18, 0, v154
	v_cmp_gt_i32_e64 s19, 0, v156
	v_not_b32_e32 v154, v156
	v_not_b32_e32 v156, v157
	v_ashrrev_i32_e32 v153, 31, v153
	v_cmp_gt_i32_e64 s20, 0, v157
	v_cmp_gt_i32_e64 s21, 0, v158
	v_not_b32_e32 v157, v158
	v_dual_ashrrev_i32 v154, 31, v154 :: v_dual_ashrrev_i32 v156, 31, v156
	v_xor_b32_e32 v63, s17, v63
	v_not_b32_e32 v158, v159
	v_xor_b32_e32 v153, s18, v153
	s_delay_alu instid0(VALU_DEP_4) | instskip(SKIP_2) | instid1(VALU_DEP_4)
	v_dual_ashrrev_i32 v157, 31, v157 :: v_dual_bitop2_b32 v154, s19, v154 bitop3:0x14
	v_xor_b32_e32 v156, s20, v156
	v_cmp_gt_i32_e32 vcc_lo, 0, v159
	v_bitop3_b32 v62, v62, v153, v63 bitop3:0x80
	v_ashrrev_i32_e32 v63, 31, v158
	v_mad_u32_u24 v153, v155, 36, v114
	v_xor_b32_e32 v157, s21, v157
	s_delay_alu instid0(VALU_DEP_4) | instskip(NEXT) | instid1(VALU_DEP_4)
	v_bitop3_b32 v62, v62, v156, v154 bitop3:0x80
	v_xor_b32_e32 v63, vcc_lo, v63
	ds_load_b32 v153, v153 offset:544
	; wave barrier
	v_bitop3_b32 v62, v62, v63, v157 bitop3:0x80
	v_mul_u32_u24_e32 v63, 36, v155
	s_delay_alu instid0(VALU_DEP_2) | instskip(SKIP_1) | instid1(VALU_DEP_3)
	v_mbcnt_lo_u32_b32 v154, v62, 0
	v_cmp_ne_u32_e64 s17, 0, v62
	v_add_nc_u32_e32 v156, v114, v63
	s_delay_alu instid0(VALU_DEP_3) | instskip(SKIP_1) | instid1(SALU_CYCLE_1)
	v_cmp_eq_u32_e32 vcc_lo, 0, v154
	s_and_b32 s18, s17, vcc_lo
	s_and_saveexec_b32 s17, s18
	s_cbranch_execz .LBB419_447
; %bb.446:                              ;   in Loop: Header=BB419_418 Depth=2
	s_wait_dscnt 0x0
	v_bcnt_u32_b32 v62, v62, v153
	ds_store_b32 v156, v62 offset:544
.LBB419_447:                            ;   in Loop: Header=BB419_418 Depth=2
	s_or_b32 exec_lo, exec_lo, s17
	v_lshrrev_b32_e32 v155, 24, v148
	; wave barrier
	s_delay_alu instid0(VALU_DEP_1) | instskip(NEXT) | instid1(VALU_DEP_1)
	v_lshrrev_b32_e32 v62, s48, v155
	v_bitop3_b32 v63, v62, 1, s58 bitop3:0x80
	v_and_b32_e32 v159, s58, v62
	s_delay_alu instid0(VALU_DEP_2) | instskip(NEXT) | instid1(VALU_DEP_1)
	v_add_co_u32 v62, s17, v63, -1
	v_cndmask_b32_e64 v63, 0, 1, s17
	s_delay_alu instid0(VALU_DEP_3) | instskip(SKIP_1) | instid1(VALU_DEP_3)
	v_dual_lshlrev_b32 v157, 30, v159 :: v_dual_lshlrev_b32 v158, 29, v159
	v_dual_lshlrev_b32 v160, 28, v159 :: v_dual_lshlrev_b32 v161, 27, v159
	v_cmp_ne_u32_e32 vcc_lo, 0, v63
	s_delay_alu instid0(VALU_DEP_3)
	v_cmp_gt_i32_e64 s17, 0, v157
	v_not_b32_e32 v63, v157
	v_not_b32_e32 v157, v158
	v_dual_lshlrev_b32 v162, 26, v159 :: v_dual_lshlrev_b32 v163, 25, v159
	v_cmp_gt_i32_e64 s18, 0, v158
	v_cmp_gt_i32_e64 s19, 0, v160
	v_not_b32_e32 v158, v160
	v_not_b32_e32 v160, v161
	v_dual_ashrrev_i32 v63, 31, v63 :: v_dual_ashrrev_i32 v157, 31, v157
	v_cmp_gt_i32_e64 s20, 0, v161
	v_cmp_gt_i32_e64 s21, 0, v162
	v_not_b32_e32 v161, v162
	v_bitop3_b32 v62, vcc_lo, exec_lo, v62 bitop3:0x48
	v_dual_ashrrev_i32 v158, 31, v158 :: v_dual_ashrrev_i32 v160, 31, v160
	v_xor_b32_e32 v63, s17, v63
	v_not_b32_e32 v162, v163
	v_xor_b32_e32 v157, s18, v157
	s_delay_alu instid0(VALU_DEP_4) | instskip(SKIP_2) | instid1(VALU_DEP_4)
	v_dual_ashrrev_i32 v161, 31, v161 :: v_dual_bitop2_b32 v158, s19, v158 bitop3:0x14
	v_xor_b32_e32 v160, s20, v160
	v_cmp_gt_i32_e32 vcc_lo, 0, v163
	v_bitop3_b32 v62, v62, v157, v63 bitop3:0x80
	v_ashrrev_i32_e32 v63, 31, v162
	v_mad_u32_u24 v157, v159, 36, v114
	v_xor_b32_e32 v161, s21, v161
	s_delay_alu instid0(VALU_DEP_4) | instskip(NEXT) | instid1(VALU_DEP_4)
	v_bitop3_b32 v62, v62, v160, v158 bitop3:0x80
	v_xor_b32_e32 v63, vcc_lo, v63
	ds_load_b32 v157, v157 offset:544
	; wave barrier
	v_bitop3_b32 v62, v62, v63, v161 bitop3:0x80
	v_mul_u32_u24_e32 v63, 36, v159
	s_delay_alu instid0(VALU_DEP_2) | instskip(SKIP_1) | instid1(VALU_DEP_3)
	v_mbcnt_lo_u32_b32 v158, v62, 0
	v_cmp_ne_u32_e64 s17, 0, v62
	v_add_nc_u32_e32 v159, v114, v63
	s_delay_alu instid0(VALU_DEP_3) | instskip(SKIP_1) | instid1(SALU_CYCLE_1)
	v_cmp_eq_u32_e32 vcc_lo, 0, v158
	s_and_b32 s18, s17, vcc_lo
	s_and_saveexec_b32 s17, s18
	s_cbranch_execz .LBB419_449
; %bb.448:                              ;   in Loop: Header=BB419_418 Depth=2
	s_wait_dscnt 0x0
	v_bcnt_u32_b32 v62, v62, v157
	ds_store_b32 v159, v62 offset:544
.LBB419_449:                            ;   in Loop: Header=BB419_418 Depth=2
	s_or_b32 exec_lo, exec_lo, s17
	v_bitop3_b16 v62, v142, s43, 0x80 bitop3:0x48
	; wave barrier
	s_delay_alu instid0(VALU_DEP_1) | instskip(NEXT) | instid1(VALU_DEP_1)
	v_and_b32_e32 v62, 0xffff, v62
	v_lshrrev_b32_e32 v62, s48, v62
	s_delay_alu instid0(VALU_DEP_1) | instskip(SKIP_1) | instid1(VALU_DEP_2)
	v_bitop3_b32 v63, v62, 1, s58 bitop3:0x80
	v_and_b32_e32 v162, s58, v62
	v_add_co_u32 v62, s17, v63, -1
	s_delay_alu instid0(VALU_DEP_1) | instskip(NEXT) | instid1(VALU_DEP_3)
	v_cndmask_b32_e64 v63, 0, 1, s17
	v_dual_lshlrev_b32 v160, 30, v162 :: v_dual_lshlrev_b32 v161, 29, v162
	s_delay_alu instid0(VALU_DEP_2) | instskip(NEXT) | instid1(VALU_DEP_2)
	v_cmp_ne_u32_e32 vcc_lo, 0, v63
	v_cmp_gt_i32_e64 s17, 0, v160
	v_not_b32_e32 v63, v160
	s_delay_alu instid0(VALU_DEP_4) | instskip(SKIP_2) | instid1(VALU_DEP_3)
	v_not_b32_e32 v160, v161
	v_cmp_gt_i32_e64 s18, 0, v161
	v_bitop3_b32 v62, vcc_lo, exec_lo, v62 bitop3:0x48
	v_dual_ashrrev_i32 v63, 31, v63 :: v_dual_ashrrev_i32 v160, 31, v160
	v_dual_lshlrev_b32 v163, 28, v162 :: v_dual_lshlrev_b32 v164, 27, v162
	v_dual_lshlrev_b32 v165, 26, v162 :: v_dual_lshlrev_b32 v166, 25, v162
	s_delay_alu instid0(VALU_DEP_2) | instskip(SKIP_1) | instid1(VALU_DEP_4)
	v_cmp_gt_i32_e64 s19, 0, v163
	v_not_b32_e32 v161, v163
	v_cmp_gt_i32_e64 s20, 0, v164
	v_not_b32_e32 v163, v164
	;; [unrolled: 2-line block ×3, first 2 shown]
	v_not_b32_e32 v165, v166
	v_xor_b32_e32 v63, s17, v63
	v_dual_ashrrev_i32 v161, 31, v161 :: v_dual_bitop2_b32 v160, s18, v160 bitop3:0x14
	s_delay_alu instid0(VALU_DEP_4) | instskip(NEXT) | instid1(VALU_DEP_4)
	v_dual_ashrrev_i32 v163, 31, v163 :: v_dual_ashrrev_i32 v164, 31, v164
	v_ashrrev_i32_e32 v165, 31, v165
	s_delay_alu instid0(VALU_DEP_3)
	v_bitop3_b32 v62, v62, v160, v63 bitop3:0x80
	v_mad_u32_u24 v63, v162, 36, v114
	v_cmp_gt_i32_e64 s22, 0, v166
	v_xor_b32_e32 v163, s20, v163
	v_xor_b32_e32 v164, s21, v164
	ds_load_b32 v160, v63 offset:544
	v_mul_u32_u24_e32 v63, 36, v162
	v_xor_b32_e32 v161, s19, v161
	v_xor_b32_e32 v165, s22, v165
	; wave barrier
	s_delay_alu instid0(VALU_DEP_3) | instskip(NEXT) | instid1(VALU_DEP_3)
	v_add_nc_u32_e32 v162, v114, v63
	v_bitop3_b32 v62, v62, v163, v161 bitop3:0x80
	s_delay_alu instid0(VALU_DEP_1) | instskip(NEXT) | instid1(VALU_DEP_1)
	v_bitop3_b32 v62, v62, v165, v164 bitop3:0x80
	v_mbcnt_lo_u32_b32 v161, v62, 0
	v_cmp_ne_u32_e64 s17, 0, v62
	s_delay_alu instid0(VALU_DEP_2) | instskip(SKIP_1) | instid1(SALU_CYCLE_1)
	v_cmp_eq_u32_e32 vcc_lo, 0, v161
	s_and_b32 s18, s17, vcc_lo
	s_and_saveexec_b32 s17, s18
	s_cbranch_execz .LBB419_451
; %bb.450:                              ;   in Loop: Header=BB419_418 Depth=2
	s_wait_dscnt 0x0
	v_bcnt_u32_b32 v62, v62, v160
	ds_store_b32 v162, v62 offset:544
.LBB419_451:                            ;   in Loop: Header=BB419_418 Depth=2
	s_or_b32 exec_lo, exec_lo, s17
	v_xor_b32_e32 v62, 0x80, v145
	v_xor_b32_e32 v63, 0x80, v144
	;; [unrolled: 1-line block ×4, first 2 shown]
	s_delay_alu instid0(VALU_DEP_4) | instskip(NEXT) | instid1(VALU_DEP_4)
	v_lshlrev_b16 v62, 8, v62
	v_lshlrev_b16 v63, 8, v63
	; wave barrier
	s_delay_alu instid0(VALU_DEP_2) | instskip(NEXT) | instid1(VALU_DEP_2)
	v_bitop3_b16 v142, v142, v62, 0xff bitop3:0xec
	v_bitop3_b16 v62, v143, v63, 0xff bitop3:0xec
	s_delay_alu instid0(VALU_DEP_2) | instskip(NEXT) | instid1(VALU_DEP_2)
	v_and_b32_e32 v63, 0xffff, v142
	v_lshlrev_b32_e32 v62, 16, v62
	s_delay_alu instid0(VALU_DEP_1) | instskip(NEXT) | instid1(VALU_DEP_1)
	v_or_b32_e32 v143, v63, v62
	v_bfe_u32 v62, v143, 8, 8
	s_delay_alu instid0(VALU_DEP_1) | instskip(NEXT) | instid1(VALU_DEP_1)
	v_lshrrev_b32_e32 v62, s48, v62
	v_bitop3_b32 v63, v62, 1, s58 bitop3:0x80
	v_and_b32_e32 v163, s58, v62
	s_delay_alu instid0(VALU_DEP_2) | instskip(NEXT) | instid1(VALU_DEP_1)
	v_add_co_u32 v62, s17, v63, -1
	v_cndmask_b32_e64 v63, 0, 1, s17
	s_delay_alu instid0(VALU_DEP_3) | instskip(NEXT) | instid1(VALU_DEP_2)
	v_lshlrev_b32_e32 v144, 30, v163
	v_cmp_ne_u32_e32 vcc_lo, 0, v63
	s_delay_alu instid0(VALU_DEP_2) | instskip(SKIP_2) | instid1(VALU_DEP_3)
	v_not_b32_e32 v63, v144
	v_cmp_gt_i32_e64 s17, 0, v144
	v_bitop3_b32 v62, vcc_lo, exec_lo, v62 bitop3:0x48
	v_ashrrev_i32_e32 v63, 31, v63
	v_dual_lshlrev_b32 v145, 29, v163 :: v_dual_lshlrev_b32 v164, 28, v163
	v_dual_lshlrev_b32 v165, 27, v163 :: v_dual_lshlrev_b32 v166, 26, v163
	s_delay_alu instid0(VALU_DEP_2)
	v_not_b32_e32 v144, v145
	v_lshlrev_b32_e32 v167, 25, v163
	v_cmp_gt_i32_e64 s18, 0, v145
	v_cmp_gt_i32_e64 s19, 0, v164
	v_not_b32_e32 v145, v164
	v_ashrrev_i32_e32 v144, 31, v144
	v_cmp_gt_i32_e64 s20, 0, v165
	v_not_b32_e32 v164, v165
	v_cmp_gt_i32_e64 s21, 0, v166
	v_not_b32_e32 v165, v166
	v_not_b32_e32 v166, v167
	v_xor_b32_e32 v63, s17, v63
	v_dual_ashrrev_i32 v145, 31, v145 :: v_dual_bitop2_b32 v144, s18, v144 bitop3:0x14
	s_delay_alu instid0(VALU_DEP_4) | instskip(NEXT) | instid1(VALU_DEP_4)
	v_dual_ashrrev_i32 v164, 31, v164 :: v_dual_ashrrev_i32 v165, 31, v165
	v_ashrrev_i32_e32 v166, 31, v166
	s_delay_alu instid0(VALU_DEP_3)
	v_bitop3_b32 v62, v62, v144, v63 bitop3:0x80
	v_mad_u32_u24 v63, v163, 36, v114
	v_cmp_gt_i32_e64 s22, 0, v167
	v_xor_b32_e32 v164, s20, v164
	v_xor_b32_e32 v165, s21, v165
	ds_load_b32 v144, v63 offset:544
	v_mul_u32_u24_e32 v63, 36, v163
	v_xor_b32_e32 v145, s19, v145
	v_xor_b32_e32 v166, s22, v166
	; wave barrier
	s_delay_alu instid0(VALU_DEP_3) | instskip(NEXT) | instid1(VALU_DEP_3)
	v_add_nc_u32_e32 v163, v114, v63
	v_bitop3_b32 v62, v62, v164, v145 bitop3:0x80
	s_delay_alu instid0(VALU_DEP_1) | instskip(NEXT) | instid1(VALU_DEP_1)
	v_bitop3_b32 v62, v62, v166, v165 bitop3:0x80
	v_mbcnt_lo_u32_b32 v145, v62, 0
	v_cmp_ne_u32_e64 s17, 0, v62
	s_delay_alu instid0(VALU_DEP_2) | instskip(SKIP_1) | instid1(SALU_CYCLE_1)
	v_cmp_eq_u32_e32 vcc_lo, 0, v145
	s_and_b32 s18, s17, vcc_lo
	s_and_saveexec_b32 s17, s18
	s_cbranch_execz .LBB419_453
; %bb.452:                              ;   in Loop: Header=BB419_418 Depth=2
	s_wait_dscnt 0x0
	v_bcnt_u32_b32 v62, v62, v144
	ds_store_b32 v163, v62 offset:544
.LBB419_453:                            ;   in Loop: Header=BB419_418 Depth=2
	s_or_b32 exec_lo, exec_lo, s17
	v_bfe_u32 v62, v143, 16, 8
	; wave barrier
	s_delay_alu instid0(VALU_DEP_1) | instskip(NEXT) | instid1(VALU_DEP_1)
	v_lshrrev_b32_e32 v62, s48, v62
	v_bitop3_b32 v63, v62, 1, s58 bitop3:0x80
	v_and_b32_e32 v166, s58, v62
	s_delay_alu instid0(VALU_DEP_2) | instskip(NEXT) | instid1(VALU_DEP_1)
	v_add_co_u32 v62, s17, v63, -1
	v_cndmask_b32_e64 v63, 0, 1, s17
	s_delay_alu instid0(VALU_DEP_3) | instskip(NEXT) | instid1(VALU_DEP_2)
	v_dual_lshlrev_b32 v164, 30, v166 :: v_dual_lshlrev_b32 v165, 29, v166
	v_cmp_ne_u32_e32 vcc_lo, 0, v63
	s_delay_alu instid0(VALU_DEP_2) | instskip(SKIP_1) | instid1(VALU_DEP_4)
	v_cmp_gt_i32_e64 s17, 0, v164
	v_not_b32_e32 v63, v164
	v_not_b32_e32 v164, v165
	v_cmp_gt_i32_e64 s18, 0, v165
	v_bitop3_b32 v62, vcc_lo, exec_lo, v62 bitop3:0x48
	s_delay_alu instid0(VALU_DEP_3) | instskip(SKIP_2) | instid1(VALU_DEP_2)
	v_dual_ashrrev_i32 v63, 31, v63 :: v_dual_ashrrev_i32 v164, 31, v164
	v_dual_lshlrev_b32 v167, 28, v166 :: v_dual_lshlrev_b32 v168, 27, v166
	v_dual_lshlrev_b32 v169, 26, v166 :: v_dual_lshlrev_b32 v170, 25, v166
	v_cmp_gt_i32_e64 s19, 0, v167
	v_not_b32_e32 v165, v167
	s_delay_alu instid0(VALU_DEP_4) | instskip(SKIP_3) | instid1(VALU_DEP_4)
	v_not_b32_e32 v167, v168
	v_cmp_gt_i32_e64 s20, 0, v168
	v_cmp_gt_i32_e64 s21, 0, v169
	v_not_b32_e32 v168, v169
	v_dual_ashrrev_i32 v165, 31, v165 :: v_dual_ashrrev_i32 v167, 31, v167
	v_xor_b32_e32 v63, s17, v63
	v_not_b32_e32 v169, v170
	v_xor_b32_e32 v164, s18, v164
	s_delay_alu instid0(VALU_DEP_4) | instskip(SKIP_2) | instid1(VALU_DEP_4)
	v_dual_ashrrev_i32 v168, 31, v168 :: v_dual_bitop2_b32 v165, s19, v165 bitop3:0x14
	v_xor_b32_e32 v167, s20, v167
	v_cmp_gt_i32_e32 vcc_lo, 0, v170
	v_bitop3_b32 v62, v62, v164, v63 bitop3:0x80
	v_ashrrev_i32_e32 v63, 31, v169
	v_mad_u32_u24 v164, v166, 36, v114
	v_xor_b32_e32 v168, s21, v168
	s_delay_alu instid0(VALU_DEP_4) | instskip(NEXT) | instid1(VALU_DEP_4)
	v_bitop3_b32 v62, v62, v167, v165 bitop3:0x80
	v_xor_b32_e32 v63, vcc_lo, v63
	ds_load_b32 v164, v164 offset:544
	; wave barrier
	v_bitop3_b32 v62, v62, v63, v168 bitop3:0x80
	v_mul_u32_u24_e32 v63, 36, v166
	s_delay_alu instid0(VALU_DEP_2) | instskip(SKIP_1) | instid1(VALU_DEP_3)
	v_mbcnt_lo_u32_b32 v165, v62, 0
	v_cmp_ne_u32_e64 s17, 0, v62
	v_add_nc_u32_e32 v167, v114, v63
	s_delay_alu instid0(VALU_DEP_3) | instskip(SKIP_1) | instid1(SALU_CYCLE_1)
	v_cmp_eq_u32_e32 vcc_lo, 0, v165
	s_and_b32 s18, s17, vcc_lo
	s_and_saveexec_b32 s17, s18
	s_cbranch_execz .LBB419_455
; %bb.454:                              ;   in Loop: Header=BB419_418 Depth=2
	s_wait_dscnt 0x0
	v_bcnt_u32_b32 v62, v62, v164
	ds_store_b32 v167, v62 offset:544
.LBB419_455:                            ;   in Loop: Header=BB419_418 Depth=2
	s_or_b32 exec_lo, exec_lo, s17
	v_lshrrev_b32_e32 v166, 24, v143
	; wave barrier
	s_delay_alu instid0(VALU_DEP_1) | instskip(NEXT) | instid1(VALU_DEP_1)
	v_lshrrev_b32_e32 v62, s48, v166
	v_bitop3_b32 v63, v62, 1, s58 bitop3:0x80
	v_and_b32_e32 v170, s58, v62
	s_delay_alu instid0(VALU_DEP_2) | instskip(NEXT) | instid1(VALU_DEP_1)
	v_add_co_u32 v62, s17, v63, -1
	v_cndmask_b32_e64 v63, 0, 1, s17
	s_delay_alu instid0(VALU_DEP_3) | instskip(SKIP_1) | instid1(VALU_DEP_3)
	v_dual_lshlrev_b32 v168, 30, v170 :: v_dual_lshlrev_b32 v169, 29, v170
	v_dual_lshlrev_b32 v171, 28, v170 :: v_dual_lshlrev_b32 v172, 27, v170
	v_cmp_ne_u32_e32 vcc_lo, 0, v63
	s_delay_alu instid0(VALU_DEP_3)
	v_cmp_gt_i32_e64 s17, 0, v168
	v_not_b32_e32 v63, v168
	v_not_b32_e32 v168, v169
	v_dual_lshlrev_b32 v173, 26, v170 :: v_dual_lshlrev_b32 v174, 25, v170
	v_cmp_gt_i32_e64 s18, 0, v169
	v_cmp_gt_i32_e64 s19, 0, v171
	v_not_b32_e32 v169, v171
	v_not_b32_e32 v171, v172
	v_dual_ashrrev_i32 v63, 31, v63 :: v_dual_ashrrev_i32 v168, 31, v168
	v_cmp_gt_i32_e64 s20, 0, v172
	v_cmp_gt_i32_e64 s21, 0, v173
	v_not_b32_e32 v172, v173
	v_bitop3_b32 v62, vcc_lo, exec_lo, v62 bitop3:0x48
	v_dual_ashrrev_i32 v169, 31, v169 :: v_dual_ashrrev_i32 v171, 31, v171
	v_xor_b32_e32 v168, s18, v168
	s_delay_alu instid0(VALU_DEP_4) | instskip(SKIP_1) | instid1(VALU_DEP_4)
	v_dual_ashrrev_i32 v172, 31, v172 :: v_dual_bitop2_b32 v63, s17, v63 bitop3:0x14
	v_not_b32_e32 v173, v174
	v_xor_b32_e32 v169, s19, v169
	v_xor_b32_e32 v171, s20, v171
	s_delay_alu instid0(VALU_DEP_4)
	v_bitop3_b32 v62, v62, v168, v63 bitop3:0x80
	v_cmp_gt_i32_e32 vcc_lo, 0, v174
	v_ashrrev_i32_e32 v63, 31, v173
	v_mad_u32_u24 v168, v170, 36, v114
	v_xor_b32_e32 v172, s21, v172
	v_bitop3_b32 v62, v62, v171, v169 bitop3:0x80
	s_delay_alu instid0(VALU_DEP_4) | instskip(SKIP_3) | instid1(VALU_DEP_2)
	v_xor_b32_e32 v63, vcc_lo, v63
	ds_load_b32 v168, v168 offset:544
	; wave barrier
	v_bitop3_b32 v62, v62, v63, v172 bitop3:0x80
	v_mul_u32_u24_e32 v63, 36, v170
	v_mbcnt_lo_u32_b32 v169, v62, 0
	v_cmp_ne_u32_e64 s17, 0, v62
	s_delay_alu instid0(VALU_DEP_3) | instskip(NEXT) | instid1(VALU_DEP_3)
	v_add_nc_u32_e32 v170, v114, v63
	v_cmp_eq_u32_e32 vcc_lo, 0, v169
	s_and_b32 s18, s17, vcc_lo
	s_delay_alu instid0(SALU_CYCLE_1)
	s_and_saveexec_b32 s17, s18
	s_cbranch_execz .LBB419_457
; %bb.456:                              ;   in Loop: Header=BB419_418 Depth=2
	s_wait_dscnt 0x0
	v_bcnt_u32_b32 v62, v62, v168
	ds_store_b32 v170, v62 offset:544
.LBB419_457:                            ;   in Loop: Header=BB419_418 Depth=2
	s_or_b32 exec_lo, exec_lo, s17
	v_bitop3_b16 v62, v138, s43, 0x80 bitop3:0x48
	; wave barrier
	s_delay_alu instid0(VALU_DEP_1) | instskip(NEXT) | instid1(VALU_DEP_1)
	v_and_b32_e32 v62, 0xffff, v62
	v_lshrrev_b32_e32 v62, s48, v62
	s_delay_alu instid0(VALU_DEP_1) | instskip(NEXT) | instid1(VALU_DEP_1)
	v_and_b32_e32 v173, s58, v62
	v_lshlrev_b32_e32 v171, 30, v173
	v_bitop3_b32 v63, v62, 1, s58 bitop3:0x80
	s_delay_alu instid0(VALU_DEP_1) | instskip(NEXT) | instid1(VALU_DEP_1)
	v_add_co_u32 v62, s17, v63, -1
	v_cndmask_b32_e64 v63, 0, 1, s17
	s_delay_alu instid0(VALU_DEP_4) | instskip(NEXT) | instid1(VALU_DEP_2)
	v_cmp_gt_i32_e64 s17, 0, v171
	v_cmp_ne_u32_e32 vcc_lo, 0, v63
	v_not_b32_e32 v63, v171
	v_bitop3_b32 v62, vcc_lo, exec_lo, v62 bitop3:0x48
	s_delay_alu instid0(VALU_DEP_2) | instskip(SKIP_2) | instid1(VALU_DEP_3)
	v_dual_ashrrev_i32 v63, 31, v63 :: v_dual_lshlrev_b32 v172, 29, v173
	v_dual_lshlrev_b32 v174, 28, v173 :: v_dual_lshlrev_b32 v175, 27, v173
	v_lshlrev_b32_e32 v176, 26, v173
	v_not_b32_e32 v171, v172
	v_lshlrev_b32_e32 v177, 25, v173
	v_cmp_gt_i32_e64 s18, 0, v172
	v_cmp_gt_i32_e64 s19, 0, v174
	v_not_b32_e32 v172, v174
	v_ashrrev_i32_e32 v171, 31, v171
	v_cmp_gt_i32_e64 s20, 0, v175
	v_not_b32_e32 v174, v175
	v_cmp_gt_i32_e64 s21, 0, v176
	v_not_b32_e32 v175, v176
	v_not_b32_e32 v176, v177
	v_xor_b32_e32 v63, s17, v63
	v_dual_ashrrev_i32 v172, 31, v172 :: v_dual_bitop2_b32 v171, s18, v171 bitop3:0x14
	s_delay_alu instid0(VALU_DEP_3) | instskip(SKIP_1) | instid1(VALU_DEP_3)
	v_dual_ashrrev_i32 v174, 31, v174 :: v_dual_ashrrev_i32 v176, 31, v176
	v_cmp_gt_i32_e64 s22, 0, v177
	v_bitop3_b32 v62, v62, v171, v63 bitop3:0x80
	v_mad_u32_u24 v63, v173, 36, v114
	v_dual_ashrrev_i32 v175, 31, v175 :: v_dual_bitop2_b32 v172, s19, v172 bitop3:0x14
	s_delay_alu instid0(VALU_DEP_4) | instskip(SKIP_4) | instid1(VALU_DEP_3)
	v_xor_b32_e32 v176, s22, v176
	ds_load_b32 v171, v63 offset:544
	v_mul_u32_u24_e32 v63, 36, v173
	v_xor_b32_e32 v174, s20, v174
	v_xor_b32_e32 v175, s21, v175
	; wave barrier
	v_add_nc_u32_e32 v173, v114, v63
	s_delay_alu instid0(VALU_DEP_3) | instskip(NEXT) | instid1(VALU_DEP_1)
	v_bitop3_b32 v62, v62, v174, v172 bitop3:0x80
	v_bitop3_b32 v62, v62, v176, v175 bitop3:0x80
	s_delay_alu instid0(VALU_DEP_1) | instskip(SKIP_1) | instid1(VALU_DEP_2)
	v_mbcnt_lo_u32_b32 v172, v62, 0
	v_cmp_ne_u32_e64 s17, 0, v62
	v_cmp_eq_u32_e32 vcc_lo, 0, v172
	s_and_b32 s18, s17, vcc_lo
	s_delay_alu instid0(SALU_CYCLE_1)
	s_and_saveexec_b32 s17, s18
	s_cbranch_execz .LBB419_459
; %bb.458:                              ;   in Loop: Header=BB419_418 Depth=2
	s_wait_dscnt 0x0
	v_bcnt_u32_b32 v62, v62, v171
	ds_store_b32 v173, v62 offset:544
.LBB419_459:                            ;   in Loop: Header=BB419_418 Depth=2
	s_or_b32 exec_lo, exec_lo, s17
	v_xor_b32_e32 v62, 0x80, v141
	v_xor_b32_e32 v63, 0x80, v140
	;; [unrolled: 1-line block ×4, first 2 shown]
	s_delay_alu instid0(VALU_DEP_4) | instskip(NEXT) | instid1(VALU_DEP_4)
	v_lshlrev_b16 v62, 8, v62
	v_lshlrev_b16 v63, 8, v63
	; wave barrier
	s_delay_alu instid0(VALU_DEP_2) | instskip(NEXT) | instid1(VALU_DEP_2)
	v_bitop3_b16 v138, v138, v62, 0xff bitop3:0xec
	v_bitop3_b16 v62, v139, v63, 0xff bitop3:0xec
	s_delay_alu instid0(VALU_DEP_2) | instskip(NEXT) | instid1(VALU_DEP_2)
	v_and_b32_e32 v63, 0xffff, v138
	v_lshlrev_b32_e32 v62, 16, v62
	s_delay_alu instid0(VALU_DEP_1) | instskip(NEXT) | instid1(VALU_DEP_1)
	v_or_b32_e32 v139, v63, v62
	v_bfe_u32 v62, v139, 8, 8
	s_delay_alu instid0(VALU_DEP_1) | instskip(NEXT) | instid1(VALU_DEP_1)
	v_lshrrev_b32_e32 v62, s48, v62
	v_bitop3_b32 v63, v62, 1, s58 bitop3:0x80
	v_and_b32_e32 v174, s58, v62
	s_delay_alu instid0(VALU_DEP_2) | instskip(NEXT) | instid1(VALU_DEP_1)
	v_add_co_u32 v62, s17, v63, -1
	v_cndmask_b32_e64 v63, 0, 1, s17
	s_delay_alu instid0(VALU_DEP_3) | instskip(NEXT) | instid1(VALU_DEP_2)
	v_dual_lshlrev_b32 v140, 30, v174 :: v_dual_lshlrev_b32 v141, 29, v174
	v_cmp_ne_u32_e32 vcc_lo, 0, v63
	s_delay_alu instid0(VALU_DEP_2) | instskip(SKIP_1) | instid1(VALU_DEP_4)
	v_cmp_gt_i32_e64 s17, 0, v140
	v_not_b32_e32 v63, v140
	v_not_b32_e32 v140, v141
	v_cmp_gt_i32_e64 s18, 0, v141
	v_bitop3_b32 v62, vcc_lo, exec_lo, v62 bitop3:0x48
	s_delay_alu instid0(VALU_DEP_3) | instskip(SKIP_2) | instid1(VALU_DEP_2)
	v_dual_ashrrev_i32 v63, 31, v63 :: v_dual_ashrrev_i32 v140, 31, v140
	v_dual_lshlrev_b32 v175, 28, v174 :: v_dual_lshlrev_b32 v176, 27, v174
	v_dual_lshlrev_b32 v177, 26, v174 :: v_dual_lshlrev_b32 v178, 25, v174
	v_cmp_gt_i32_e64 s19, 0, v175
	v_not_b32_e32 v141, v175
	s_delay_alu instid0(VALU_DEP_4)
	v_cmp_gt_i32_e64 s20, 0, v176
	v_not_b32_e32 v175, v176
	v_cmp_gt_i32_e64 s21, 0, v177
	v_not_b32_e32 v176, v177
	v_not_b32_e32 v177, v178
	v_xor_b32_e32 v63, s17, v63
	v_dual_ashrrev_i32 v141, 31, v141 :: v_dual_bitop2_b32 v140, s18, v140 bitop3:0x14
	s_delay_alu instid0(VALU_DEP_4) | instskip(NEXT) | instid1(VALU_DEP_4)
	v_dual_ashrrev_i32 v175, 31, v175 :: v_dual_ashrrev_i32 v176, 31, v176
	v_ashrrev_i32_e32 v177, 31, v177
	s_delay_alu instid0(VALU_DEP_3)
	v_bitop3_b32 v62, v62, v140, v63 bitop3:0x80
	v_mad_u32_u24 v63, v174, 36, v114
	v_cmp_gt_i32_e64 s22, 0, v178
	v_xor_b32_e32 v175, s20, v175
	v_xor_b32_e32 v176, s21, v176
	ds_load_b32 v140, v63 offset:544
	v_mul_u32_u24_e32 v63, 36, v174
	v_xor_b32_e32 v141, s19, v141
	v_xor_b32_e32 v177, s22, v177
	; wave barrier
	s_delay_alu instid0(VALU_DEP_3) | instskip(NEXT) | instid1(VALU_DEP_3)
	v_add_nc_u32_e32 v174, v114, v63
	v_bitop3_b32 v62, v62, v175, v141 bitop3:0x80
	s_delay_alu instid0(VALU_DEP_1) | instskip(NEXT) | instid1(VALU_DEP_1)
	v_bitop3_b32 v62, v62, v177, v176 bitop3:0x80
	v_mbcnt_lo_u32_b32 v141, v62, 0
	v_cmp_ne_u32_e64 s17, 0, v62
	s_delay_alu instid0(VALU_DEP_2) | instskip(SKIP_1) | instid1(SALU_CYCLE_1)
	v_cmp_eq_u32_e32 vcc_lo, 0, v141
	s_and_b32 s18, s17, vcc_lo
	s_and_saveexec_b32 s17, s18
	s_cbranch_execz .LBB419_461
; %bb.460:                              ;   in Loop: Header=BB419_418 Depth=2
	s_wait_dscnt 0x0
	v_bcnt_u32_b32 v62, v62, v140
	ds_store_b32 v174, v62 offset:544
.LBB419_461:                            ;   in Loop: Header=BB419_418 Depth=2
	s_or_b32 exec_lo, exec_lo, s17
	v_bfe_u32 v62, v139, 16, 8
	; wave barrier
	s_delay_alu instid0(VALU_DEP_1) | instskip(NEXT) | instid1(VALU_DEP_1)
	v_lshrrev_b32_e32 v62, s48, v62
	v_and_b32_e32 v177, s58, v62
	s_delay_alu instid0(VALU_DEP_1) | instskip(SKIP_1) | instid1(VALU_DEP_1)
	v_lshlrev_b32_e32 v175, 30, v177
	v_bitop3_b32 v63, v62, 1, s58 bitop3:0x80
	v_add_co_u32 v62, s17, v63, -1
	s_delay_alu instid0(VALU_DEP_1) | instskip(NEXT) | instid1(VALU_DEP_4)
	v_cndmask_b32_e64 v63, 0, 1, s17
	v_cmp_gt_i32_e64 s17, 0, v175
	s_delay_alu instid0(VALU_DEP_2) | instskip(SKIP_2) | instid1(VALU_DEP_2)
	v_cmp_ne_u32_e32 vcc_lo, 0, v63
	v_not_b32_e32 v63, v175
	v_bitop3_b32 v62, vcc_lo, exec_lo, v62 bitop3:0x48
	v_dual_ashrrev_i32 v63, 31, v63 :: v_dual_lshlrev_b32 v176, 29, v177
	v_dual_lshlrev_b32 v178, 28, v177 :: v_dual_lshlrev_b32 v179, 27, v177
	s_delay_alu instid0(VALU_DEP_2) | instskip(NEXT) | instid1(VALU_DEP_3)
	v_dual_lshlrev_b32 v180, 26, v177 :: v_dual_bitop2_b32 v63, s17, v63 bitop3:0x14
	v_not_b32_e32 v175, v176
	v_lshlrev_b32_e32 v181, 25, v177
	v_cmp_gt_i32_e64 s18, 0, v176
	v_cmp_gt_i32_e64 s19, 0, v178
	v_not_b32_e32 v176, v178
	v_not_b32_e32 v178, v179
	v_ashrrev_i32_e32 v175, 31, v175
	v_cmp_gt_i32_e64 s20, 0, v179
	v_cmp_gt_i32_e64 s21, 0, v180
	v_not_b32_e32 v179, v180
	v_dual_ashrrev_i32 v176, 31, v176 :: v_dual_ashrrev_i32 v178, 31, v178
	v_not_b32_e32 v180, v181
	v_xor_b32_e32 v175, s18, v175
	s_delay_alu instid0(VALU_DEP_3) | instskip(NEXT) | instid1(VALU_DEP_4)
	v_dual_ashrrev_i32 v179, 31, v179 :: v_dual_bitop2_b32 v176, s19, v176 bitop3:0x14
	v_xor_b32_e32 v178, s20, v178
	v_cmp_gt_i32_e32 vcc_lo, 0, v181
	s_delay_alu instid0(VALU_DEP_4) | instskip(SKIP_3) | instid1(VALU_DEP_4)
	v_bitop3_b32 v62, v62, v175, v63 bitop3:0x80
	v_ashrrev_i32_e32 v63, 31, v180
	v_mad_u32_u24 v175, v177, 36, v114
	v_xor_b32_e32 v179, s21, v179
	v_bitop3_b32 v62, v62, v178, v176 bitop3:0x80
	s_delay_alu instid0(VALU_DEP_4) | instskip(SKIP_3) | instid1(VALU_DEP_2)
	v_xor_b32_e32 v63, vcc_lo, v63
	ds_load_b32 v175, v175 offset:544
	; wave barrier
	v_bitop3_b32 v62, v62, v63, v179 bitop3:0x80
	v_mul_u32_u24_e32 v63, 36, v177
	v_mbcnt_lo_u32_b32 v176, v62, 0
	v_cmp_ne_u32_e64 s17, 0, v62
	s_delay_alu instid0(VALU_DEP_3) | instskip(NEXT) | instid1(VALU_DEP_3)
	v_add_nc_u32_e32 v178, v114, v63
	v_cmp_eq_u32_e32 vcc_lo, 0, v176
	s_and_b32 s18, s17, vcc_lo
	s_delay_alu instid0(SALU_CYCLE_1)
	s_and_saveexec_b32 s17, s18
	s_cbranch_execz .LBB419_463
; %bb.462:                              ;   in Loop: Header=BB419_418 Depth=2
	s_wait_dscnt 0x0
	v_bcnt_u32_b32 v62, v62, v175
	ds_store_b32 v178, v62 offset:544
.LBB419_463:                            ;   in Loop: Header=BB419_418 Depth=2
	s_or_b32 exec_lo, exec_lo, s17
	v_lshrrev_b32_e32 v177, 24, v139
	; wave barrier
	s_delay_alu instid0(VALU_DEP_1) | instskip(NEXT) | instid1(VALU_DEP_1)
	v_lshrrev_b32_e32 v62, s48, v177
	v_bitop3_b32 v63, v62, 1, s58 bitop3:0x80
	v_and_b32_e32 v181, s58, v62
	s_delay_alu instid0(VALU_DEP_2) | instskip(NEXT) | instid1(VALU_DEP_1)
	v_add_co_u32 v62, s17, v63, -1
	v_cndmask_b32_e64 v63, 0, 1, s17
	s_delay_alu instid0(VALU_DEP_3) | instskip(SKIP_1) | instid1(VALU_DEP_3)
	v_dual_lshlrev_b32 v179, 30, v181 :: v_dual_lshlrev_b32 v180, 29, v181
	v_dual_lshlrev_b32 v182, 28, v181 :: v_dual_lshlrev_b32 v183, 27, v181
	v_cmp_ne_u32_e32 vcc_lo, 0, v63
	s_delay_alu instid0(VALU_DEP_3)
	v_cmp_gt_i32_e64 s17, 0, v179
	v_not_b32_e32 v63, v179
	v_not_b32_e32 v179, v180
	v_dual_lshlrev_b32 v184, 26, v181 :: v_dual_lshlrev_b32 v185, 25, v181
	v_cmp_gt_i32_e64 s18, 0, v180
	v_cmp_gt_i32_e64 s19, 0, v182
	v_not_b32_e32 v180, v182
	v_not_b32_e32 v182, v183
	v_ashrrev_i32_e32 v63, 31, v63
	v_ashrrev_i32_e32 v179, 31, v179
	v_cmp_gt_i32_e64 s20, 0, v183
	v_cmp_gt_i32_e64 s21, 0, v184
	v_not_b32_e32 v183, v184
	v_bitop3_b32 v62, vcc_lo, exec_lo, v62 bitop3:0x48
	v_dual_ashrrev_i32 v180, 31, v180 :: v_dual_ashrrev_i32 v182, 31, v182
	v_xor_b32_e32 v63, s17, v63
	v_not_b32_e32 v184, v185
	v_xor_b32_e32 v179, s18, v179
	s_delay_alu instid0(VALU_DEP_4) | instskip(SKIP_2) | instid1(VALU_DEP_4)
	v_dual_ashrrev_i32 v183, 31, v183 :: v_dual_bitop2_b32 v180, s19, v180 bitop3:0x14
	v_xor_b32_e32 v182, s20, v182
	v_cmp_gt_i32_e32 vcc_lo, 0, v185
	v_bitop3_b32 v62, v62, v179, v63 bitop3:0x80
	v_ashrrev_i32_e32 v63, 31, v184
	v_mad_u32_u24 v179, v181, 36, v114
	v_xor_b32_e32 v183, s21, v183
	s_delay_alu instid0(VALU_DEP_4) | instskip(NEXT) | instid1(VALU_DEP_4)
	v_bitop3_b32 v62, v62, v182, v180 bitop3:0x80
	v_xor_b32_e32 v63, vcc_lo, v63
	ds_load_b32 v179, v179 offset:544
	; wave barrier
	v_bitop3_b32 v62, v62, v63, v183 bitop3:0x80
	v_mul_u32_u24_e32 v63, 36, v181
	s_delay_alu instid0(VALU_DEP_2) | instskip(SKIP_1) | instid1(VALU_DEP_3)
	v_mbcnt_lo_u32_b32 v180, v62, 0
	v_cmp_ne_u32_e64 s17, 0, v62
	v_add_nc_u32_e32 v181, v114, v63
	s_delay_alu instid0(VALU_DEP_3) | instskip(SKIP_1) | instid1(SALU_CYCLE_1)
	v_cmp_eq_u32_e32 vcc_lo, 0, v180
	s_and_b32 s18, s17, vcc_lo
	s_and_saveexec_b32 s17, s18
	s_cbranch_execz .LBB419_465
; %bb.464:                              ;   in Loop: Header=BB419_418 Depth=2
	s_wait_dscnt 0x0
	v_bcnt_u32_b32 v62, v62, v179
	ds_store_b32 v181, v62 offset:544
.LBB419_465:                            ;   in Loop: Header=BB419_418 Depth=2
	s_or_b32 exec_lo, exec_lo, s17
	v_bitop3_b16 v62, v64, s43, 0x80 bitop3:0x48
	; wave barrier
	s_delay_alu instid0(VALU_DEP_1) | instskip(NEXT) | instid1(VALU_DEP_1)
	v_and_b32_e32 v62, 0xffff, v62
	v_lshrrev_b32_e32 v62, s48, v62
	s_delay_alu instid0(VALU_DEP_1) | instskip(NEXT) | instid1(VALU_DEP_1)
	v_and_b32_e32 v184, s58, v62
	v_lshlrev_b32_e32 v182, 30, v184
	v_bitop3_b32 v63, v62, 1, s58 bitop3:0x80
	s_delay_alu instid0(VALU_DEP_1) | instskip(NEXT) | instid1(VALU_DEP_1)
	v_add_co_u32 v62, s17, v63, -1
	v_cndmask_b32_e64 v63, 0, 1, s17
	s_delay_alu instid0(VALU_DEP_4) | instskip(NEXT) | instid1(VALU_DEP_2)
	v_cmp_gt_i32_e64 s17, 0, v182
	v_cmp_ne_u32_e32 vcc_lo, 0, v63
	v_not_b32_e32 v63, v182
	v_bitop3_b32 v62, vcc_lo, exec_lo, v62 bitop3:0x48
	s_delay_alu instid0(VALU_DEP_2) | instskip(SKIP_2) | instid1(VALU_DEP_3)
	v_dual_ashrrev_i32 v63, 31, v63 :: v_dual_lshlrev_b32 v183, 29, v184
	v_dual_lshlrev_b32 v185, 28, v184 :: v_dual_lshlrev_b32 v186, 27, v184
	v_lshlrev_b32_e32 v187, 26, v184
	v_not_b32_e32 v182, v183
	v_lshlrev_b32_e32 v188, 25, v184
	v_cmp_gt_i32_e64 s18, 0, v183
	v_cmp_gt_i32_e64 s19, 0, v185
	v_not_b32_e32 v183, v185
	v_not_b32_e32 v185, v186
	v_ashrrev_i32_e32 v182, 31, v182
	v_cmp_gt_i32_e64 s20, 0, v186
	v_cmp_gt_i32_e64 s21, 0, v187
	v_not_b32_e32 v186, v187
	v_not_b32_e32 v187, v188
	v_dual_ashrrev_i32 v183, 31, v183 :: v_dual_ashrrev_i32 v185, 31, v185
	s_delay_alu instid0(VALU_DEP_3) | instskip(NEXT) | instid1(VALU_DEP_3)
	v_dual_ashrrev_i32 v186, 31, v186 :: v_dual_bitop2_b32 v63, s17, v63 bitop3:0x14
	v_dual_ashrrev_i32 v187, 31, v187 :: v_dual_bitop2_b32 v182, s18, v182 bitop3:0x14
	v_cmp_gt_i32_e64 s22, 0, v188
	s_delay_alu instid0(VALU_DEP_4) | instskip(SKIP_1) | instid1(VALU_DEP_4)
	v_xor_b32_e32 v183, s19, v183
	v_xor_b32_e32 v185, s20, v185
	v_bitop3_b32 v62, v62, v182, v63 bitop3:0x80
	v_mad_u32_u24 v63, v184, 36, v114
	v_xor_b32_e32 v187, s22, v187
	s_delay_alu instid0(VALU_DEP_3) | instskip(SKIP_3) | instid1(VALU_DEP_2)
	v_bitop3_b32 v62, v62, v185, v183 bitop3:0x80
	ds_load_b32 v182, v63 offset:544
	v_mul_u32_u24_e32 v63, 36, v184
	v_xor_b32_e32 v186, s21, v186
	; wave barrier
	v_add_nc_u32_e32 v185, v114, v63
	s_delay_alu instid0(VALU_DEP_2) | instskip(NEXT) | instid1(VALU_DEP_1)
	v_bitop3_b32 v62, v62, v187, v186 bitop3:0x80
	v_mbcnt_lo_u32_b32 v183, v62, 0
	v_cmp_ne_u32_e64 s17, 0, v62
	s_delay_alu instid0(VALU_DEP_2) | instskip(SKIP_1) | instid1(SALU_CYCLE_1)
	v_cmp_eq_u32_e32 vcc_lo, 0, v183
	s_and_b32 s18, s17, vcc_lo
	s_and_saveexec_b32 s17, s18
	s_cbranch_execz .LBB419_467
; %bb.466:                              ;   in Loop: Header=BB419_418 Depth=2
	s_wait_dscnt 0x0
	v_bcnt_u32_b32 v62, v62, v182
	ds_store_b32 v185, v62 offset:544
.LBB419_467:                            ;   in Loop: Header=BB419_418 Depth=2
	s_or_b32 exec_lo, exec_lo, s17
	v_xor_b32_e32 v62, 0x80, v136
	v_xor_b32_e32 v63, 0x80, v135
	;; [unrolled: 1-line block ×4, first 2 shown]
	s_delay_alu instid0(VALU_DEP_4) | instskip(NEXT) | instid1(VALU_DEP_4)
	v_lshlrev_b16 v62, 8, v62
	v_lshlrev_b16 v63, 8, v63
	; wave barrier
	s_delay_alu instid0(VALU_DEP_2) | instskip(NEXT) | instid1(VALU_DEP_2)
	v_bitop3_b16 v184, v64, v62, 0xff bitop3:0xec
	v_bitop3_b16 v62, v65, v63, 0xff bitop3:0xec
	s_delay_alu instid0(VALU_DEP_2) | instskip(NEXT) | instid1(VALU_DEP_2)
	v_and_b32_e32 v63, 0xffff, v184
	v_lshlrev_b32_e32 v62, 16, v62
	s_delay_alu instid0(VALU_DEP_1) | instskip(NEXT) | instid1(VALU_DEP_1)
	v_or_b32_e32 v135, v63, v62
	v_bfe_u32 v62, v135, 8, 8
	s_delay_alu instid0(VALU_DEP_1) | instskip(NEXT) | instid1(VALU_DEP_1)
	v_lshrrev_b32_e32 v62, s48, v62
	v_bitop3_b32 v63, v62, 1, s58 bitop3:0x80
	v_and_b32_e32 v64, s58, v62
	s_delay_alu instid0(VALU_DEP_2) | instskip(NEXT) | instid1(VALU_DEP_1)
	v_add_co_u32 v62, s17, v63, -1
	v_cndmask_b32_e64 v63, 0, 1, s17
	s_delay_alu instid0(VALU_DEP_3) | instskip(NEXT) | instid1(VALU_DEP_2)
	v_lshlrev_b32_e32 v65, 30, v64
	v_cmp_ne_u32_e32 vcc_lo, 0, v63
	s_delay_alu instid0(VALU_DEP_2) | instskip(SKIP_2) | instid1(VALU_DEP_3)
	v_not_b32_e32 v63, v65
	v_cmp_gt_i32_e64 s17, 0, v65
	v_bitop3_b32 v62, vcc_lo, exec_lo, v62 bitop3:0x48
	v_dual_ashrrev_i32 v63, 31, v63 :: v_dual_lshlrev_b32 v136, 29, v64
	v_dual_lshlrev_b32 v186, 28, v64 :: v_dual_lshlrev_b32 v187, 27, v64
	v_lshlrev_b32_e32 v188, 26, v64
	s_delay_alu instid0(VALU_DEP_3)
	v_not_b32_e32 v65, v136
	v_lshlrev_b32_e32 v189, 25, v64
	v_cmp_gt_i32_e64 s18, 0, v136
	v_cmp_gt_i32_e64 s19, 0, v186
	v_not_b32_e32 v136, v186
	v_not_b32_e32 v186, v187
	v_ashrrev_i32_e32 v65, 31, v65
	v_cmp_gt_i32_e64 s20, 0, v187
	v_cmp_gt_i32_e64 s21, 0, v188
	v_not_b32_e32 v187, v188
	v_not_b32_e32 v188, v189
	v_dual_ashrrev_i32 v136, 31, v136 :: v_dual_ashrrev_i32 v186, 31, v186
	v_xor_b32_e32 v63, s17, v63
	s_delay_alu instid0(VALU_DEP_4)
	v_dual_ashrrev_i32 v187, 31, v187 :: v_dual_bitop2_b32 v65, s18, v65 bitop3:0x14
	v_cmp_gt_i32_e64 s22, 0, v189
	v_ashrrev_i32_e32 v188, 31, v188
	v_xor_b32_e32 v136, s19, v136
	v_xor_b32_e32 v186, s20, v186
	v_bitop3_b32 v62, v62, v65, v63 bitop3:0x80
	v_mad_u32_u24 v63, v64, 36, v114
	v_xor_b32_e32 v65, s21, v187
	v_xor_b32_e32 v187, s22, v188
	s_delay_alu instid0(VALU_DEP_4) | instskip(SKIP_3) | instid1(VALU_DEP_2)
	v_bitop3_b32 v62, v62, v186, v136 bitop3:0x80
	ds_load_b32 v136, v63 offset:544
	v_mul_u32_u24_e32 v63, 36, v64
	; wave barrier
	v_bitop3_b32 v62, v62, v187, v65 bitop3:0x80
	v_add_nc_u32_e32 v187, v114, v63
	s_delay_alu instid0(VALU_DEP_2) | instskip(SKIP_1) | instid1(VALU_DEP_2)
	v_mbcnt_lo_u32_b32 v186, v62, 0
	v_cmp_ne_u32_e64 s17, 0, v62
	v_cmp_eq_u32_e32 vcc_lo, 0, v186
	s_and_b32 s18, s17, vcc_lo
	s_delay_alu instid0(SALU_CYCLE_1)
	s_and_saveexec_b32 s17, s18
	s_cbranch_execz .LBB419_469
; %bb.468:                              ;   in Loop: Header=BB419_418 Depth=2
	s_wait_dscnt 0x0
	v_bcnt_u32_b32 v62, v62, v136
	ds_store_b32 v187, v62 offset:544
.LBB419_469:                            ;   in Loop: Header=BB419_418 Depth=2
	s_or_b32 exec_lo, exec_lo, s17
	v_bfe_u32 v62, v135, 16, 8
	; wave barrier
	s_delay_alu instid0(VALU_DEP_1) | instskip(NEXT) | instid1(VALU_DEP_1)
	v_lshrrev_b32_e32 v62, s48, v62
	v_and_b32_e32 v64, s58, v62
	s_delay_alu instid0(VALU_DEP_1) | instskip(SKIP_1) | instid1(VALU_DEP_1)
	v_lshlrev_b32_e32 v65, 30, v64
	v_bitop3_b32 v63, v62, 1, s58 bitop3:0x80
	v_add_co_u32 v62, s17, v63, -1
	s_delay_alu instid0(VALU_DEP_1) | instskip(NEXT) | instid1(VALU_DEP_4)
	v_cndmask_b32_e64 v63, 0, 1, s17
	v_cmp_gt_i32_e64 s17, 0, v65
	s_delay_alu instid0(VALU_DEP_2) | instskip(SKIP_2) | instid1(VALU_DEP_2)
	v_cmp_ne_u32_e32 vcc_lo, 0, v63
	v_not_b32_e32 v63, v65
	v_bitop3_b32 v62, vcc_lo, exec_lo, v62 bitop3:0x48
	v_dual_ashrrev_i32 v63, 31, v63 :: v_dual_lshlrev_b32 v188, 29, v64
	v_dual_lshlrev_b32 v189, 28, v64 :: v_dual_lshlrev_b32 v190, 27, v64
	v_lshlrev_b32_e32 v191, 26, v64
	s_delay_alu instid0(VALU_DEP_3)
	v_not_b32_e32 v65, v188
	v_lshlrev_b32_e32 v192, 25, v64
	v_cmp_gt_i32_e64 s18, 0, v188
	v_cmp_gt_i32_e64 s19, 0, v189
	v_not_b32_e32 v188, v189
	v_not_b32_e32 v189, v190
	v_ashrrev_i32_e32 v65, 31, v65
	v_cmp_gt_i32_e64 s20, 0, v190
	v_cmp_gt_i32_e64 s21, 0, v191
	v_not_b32_e32 v190, v191
	v_dual_ashrrev_i32 v188, 31, v188 :: v_dual_ashrrev_i32 v189, 31, v189
	v_xor_b32_e32 v63, s17, v63
	v_not_b32_e32 v191, v192
	s_delay_alu instid0(VALU_DEP_4) | instskip(NEXT) | instid1(VALU_DEP_4)
	v_dual_ashrrev_i32 v190, 31, v190 :: v_dual_bitop2_b32 v65, s18, v65 bitop3:0x14
	v_xor_b32_e32 v188, s19, v188
	v_xor_b32_e32 v189, s20, v189
	v_cmp_gt_i32_e32 vcc_lo, 0, v192
	s_delay_alu instid0(VALU_DEP_4) | instskip(SKIP_3) | instid1(VALU_DEP_4)
	v_bitop3_b32 v62, v62, v65, v63 bitop3:0x80
	v_ashrrev_i32_e32 v63, 31, v191
	v_mad_u32_u24 v65, v64, 36, v114
	v_xor_b32_e32 v190, s21, v190
	v_bitop3_b32 v62, v62, v189, v188 bitop3:0x80
	s_delay_alu instid0(VALU_DEP_4) | instskip(SKIP_3) | instid1(VALU_DEP_2)
	v_xor_b32_e32 v63, vcc_lo, v63
	ds_load_b32 v188, v65 offset:544
	; wave barrier
	v_bitop3_b32 v62, v62, v63, v190 bitop3:0x80
	v_mul_u32_u24_e32 v63, 36, v64
	v_mbcnt_lo_u32_b32 v189, v62, 0
	v_cmp_ne_u32_e64 s17, 0, v62
	s_delay_alu instid0(VALU_DEP_3) | instskip(NEXT) | instid1(VALU_DEP_3)
	v_add_nc_u32_e32 v191, v114, v63
	v_cmp_eq_u32_e32 vcc_lo, 0, v189
	s_and_b32 s18, s17, vcc_lo
	s_delay_alu instid0(SALU_CYCLE_1)
	s_and_saveexec_b32 s17, s18
	s_cbranch_execz .LBB419_471
; %bb.470:                              ;   in Loop: Header=BB419_418 Depth=2
	s_wait_dscnt 0x0
	v_bcnt_u32_b32 v62, v62, v188
	ds_store_b32 v191, v62 offset:544
.LBB419_471:                            ;   in Loop: Header=BB419_418 Depth=2
	s_or_b32 exec_lo, exec_lo, s17
	v_lshrrev_b32_e32 v190, 24, v135
	; wave barrier
	s_delay_alu instid0(VALU_DEP_1) | instskip(NEXT) | instid1(VALU_DEP_1)
	v_lshrrev_b32_e32 v62, s48, v190
	v_and_b32_e32 v64, s58, v62
	s_delay_alu instid0(VALU_DEP_1) | instskip(SKIP_3) | instid1(VALU_DEP_3)
	v_lshlrev_b32_e32 v65, 30, v64
	v_bitop3_b32 v63, v62, 1, s58 bitop3:0x80
	v_dual_lshlrev_b32 v192, 29, v64 :: v_dual_lshlrev_b32 v193, 28, v64
	v_dual_lshlrev_b32 v194, 27, v64 :: v_dual_lshlrev_b32 v195, 26, v64
	v_add_co_u32 v62, s17, v63, -1
	s_delay_alu instid0(VALU_DEP_1)
	v_cndmask_b32_e64 v63, 0, 1, s17
	v_cmp_gt_i32_e64 s17, 0, v65
	v_cmp_gt_i32_e64 s18, 0, v192
	;; [unrolled: 1-line block ×4, first 2 shown]
	v_cmp_ne_u32_e32 vcc_lo, 0, v63
	v_not_b32_e32 v63, v65
	v_not_b32_e32 v65, v192
	v_lshlrev_b32_e32 v196, 25, v64
	v_not_b32_e32 v192, v193
	v_not_b32_e32 v193, v194
	s_delay_alu instid0(VALU_DEP_4)
	v_dual_ashrrev_i32 v63, 31, v63 :: v_dual_ashrrev_i32 v65, 31, v65
	v_cmp_gt_i32_e64 s21, 0, v195
	v_not_b32_e32 v194, v195
	v_bitop3_b32 v62, vcc_lo, exec_lo, v62 bitop3:0x48
	v_dual_ashrrev_i32 v192, 31, v192 :: v_dual_ashrrev_i32 v193, 31, v193
	v_xor_b32_e32 v63, s17, v63
	s_delay_alu instid0(VALU_DEP_4) | instskip(SKIP_1) | instid1(VALU_DEP_4)
	v_dual_ashrrev_i32 v194, 31, v194 :: v_dual_bitop2_b32 v65, s18, v65 bitop3:0x14
	v_not_b32_e32 v195, v196
	v_xor_b32_e32 v192, s19, v192
	v_xor_b32_e32 v193, s20, v193
	s_delay_alu instid0(VALU_DEP_4)
	v_bitop3_b32 v62, v62, v65, v63 bitop3:0x80
	v_cmp_gt_i32_e32 vcc_lo, 0, v196
	v_ashrrev_i32_e32 v63, 31, v195
	v_mad_u32_u24 v65, v64, 36, v114
	v_xor_b32_e32 v194, s21, v194
	v_bitop3_b32 v62, v62, v193, v192 bitop3:0x80
	s_delay_alu instid0(VALU_DEP_4) | instskip(SKIP_3) | instid1(VALU_DEP_2)
	v_xor_b32_e32 v63, vcc_lo, v63
	ds_load_b32 v192, v65 offset:544
	; wave barrier
	v_bitop3_b32 v62, v62, v63, v194 bitop3:0x80
	v_mul_u32_u24_e32 v63, 36, v64
	v_mbcnt_lo_u32_b32 v193, v62, 0
	v_cmp_ne_u32_e64 s17, 0, v62
	s_delay_alu instid0(VALU_DEP_3) | instskip(NEXT) | instid1(VALU_DEP_3)
	v_add_nc_u32_e32 v194, v114, v63
	v_cmp_eq_u32_e32 vcc_lo, 0, v193
	s_and_b32 s18, s17, vcc_lo
	s_delay_alu instid0(SALU_CYCLE_1)
	s_and_saveexec_b32 s17, s18
	s_cbranch_execz .LBB419_473
; %bb.472:                              ;   in Loop: Header=BB419_418 Depth=2
	s_wait_dscnt 0x0
	v_bcnt_u32_b32 v62, v62, v192
	ds_store_b32 v194, v62 offset:544
.LBB419_473:                            ;   in Loop: Header=BB419_418 Depth=2
	s_or_b32 exec_lo, exec_lo, s17
	v_xor_b32_e32 v115, 0xffffff80, v115
	; wave barrier
	s_delay_alu instid0(VALU_DEP_1) | instskip(NEXT) | instid1(VALU_DEP_1)
	v_and_b32_e32 v62, 0xff, v115
	v_lshrrev_b32_e32 v62, s48, v62
	s_delay_alu instid0(VALU_DEP_1) | instskip(NEXT) | instid1(VALU_DEP_1)
	v_and_b32_e32 v64, s58, v62
	v_lshlrev_b32_e32 v65, 30, v64
	v_bitop3_b32 v63, v62, 1, s58 bitop3:0x80
	s_delay_alu instid0(VALU_DEP_1) | instskip(NEXT) | instid1(VALU_DEP_1)
	v_add_co_u32 v62, s17, v63, -1
	v_cndmask_b32_e64 v63, 0, 1, s17
	s_delay_alu instid0(VALU_DEP_4) | instskip(NEXT) | instid1(VALU_DEP_2)
	v_cmp_gt_i32_e64 s17, 0, v65
	v_cmp_ne_u32_e32 vcc_lo, 0, v63
	v_not_b32_e32 v63, v65
	v_bitop3_b32 v62, vcc_lo, exec_lo, v62 bitop3:0x48
	s_delay_alu instid0(VALU_DEP_2) | instskip(SKIP_2) | instid1(VALU_DEP_3)
	v_dual_ashrrev_i32 v63, 31, v63 :: v_dual_lshlrev_b32 v195, 29, v64
	v_dual_lshlrev_b32 v196, 28, v64 :: v_dual_lshlrev_b32 v197, 27, v64
	v_lshlrev_b32_e32 v198, 26, v64
	v_not_b32_e32 v65, v195
	v_lshlrev_b32_e32 v199, 25, v64
	v_cmp_gt_i32_e64 s18, 0, v195
	v_cmp_gt_i32_e64 s19, 0, v196
	v_not_b32_e32 v195, v196
	v_not_b32_e32 v196, v197
	v_ashrrev_i32_e32 v65, 31, v65
	v_cmp_gt_i32_e64 s20, 0, v197
	v_cmp_gt_i32_e64 s21, 0, v198
	v_not_b32_e32 v197, v198
	v_not_b32_e32 v198, v199
	v_dual_ashrrev_i32 v195, 31, v195 :: v_dual_ashrrev_i32 v196, 31, v196
	s_delay_alu instid0(VALU_DEP_3) | instskip(NEXT) | instid1(VALU_DEP_3)
	v_dual_ashrrev_i32 v197, 31, v197 :: v_dual_bitop2_b32 v63, s17, v63 bitop3:0x14
	v_dual_ashrrev_i32 v198, 31, v198 :: v_dual_bitop2_b32 v65, s18, v65 bitop3:0x14
	v_cmp_gt_i32_e64 s22, 0, v199
	s_delay_alu instid0(VALU_DEP_4) | instskip(SKIP_1) | instid1(VALU_DEP_4)
	v_xor_b32_e32 v195, s19, v195
	v_xor_b32_e32 v196, s20, v196
	v_bitop3_b32 v62, v62, v65, v63 bitop3:0x80
	v_mad_u32_u24 v63, v64, 36, v114
	v_xor_b32_e32 v65, s21, v197
	v_xor_b32_e32 v197, s22, v198
	s_delay_alu instid0(VALU_DEP_4) | instskip(SKIP_3) | instid1(VALU_DEP_2)
	v_bitop3_b32 v62, v62, v196, v195 bitop3:0x80
	ds_load_b32 v195, v63 offset:544
	v_mul_u32_u24_e32 v63, 36, v64
	; wave barrier
	v_bitop3_b32 v62, v62, v197, v65 bitop3:0x80
	v_add_nc_u32_e32 v197, v114, v63
	s_delay_alu instid0(VALU_DEP_2) | instskip(SKIP_1) | instid1(VALU_DEP_2)
	v_mbcnt_lo_u32_b32 v196, v62, 0
	v_cmp_ne_u32_e64 s17, 0, v62
	v_cmp_eq_u32_e32 vcc_lo, 0, v196
	s_and_b32 s18, s17, vcc_lo
	s_delay_alu instid0(SALU_CYCLE_1)
	s_and_saveexec_b32 s17, s18
	s_cbranch_execz .LBB419_475
; %bb.474:                              ;   in Loop: Header=BB419_418 Depth=2
	s_wait_dscnt 0x0
	v_bcnt_u32_b32 v62, v62, v195
	ds_store_b32 v197, v62 offset:544
.LBB419_475:                            ;   in Loop: Header=BB419_418 Depth=2
	s_or_b32 exec_lo, exec_lo, s17
	; wave barrier
	s_wait_dscnt 0x0
	s_barrier_signal -1
	s_barrier_wait -1
	ds_load_2addr_b32 v[64:65], v90 offset0:136 offset1:137
	ds_load_2addr_b32 v[62:63], v90 offset0:138 offset1:139
	ds_load_b32 v198, v90 offset:560
	s_wait_dscnt 0x1
	v_add3_u32 v199, v65, v64, v62
	s_wait_dscnt 0x0
	s_delay_alu instid0(VALU_DEP_1) | instskip(NEXT) | instid1(VALU_DEP_1)
	v_add3_u32 v198, v199, v63, v198
	v_mov_b32_dpp v199, v198 row_shr:1 row_mask:0xf bank_mask:0xf
	s_delay_alu instid0(VALU_DEP_1) | instskip(NEXT) | instid1(VALU_DEP_1)
	v_cndmask_b32_e64 v199, v199, 0, s8
	v_add_nc_u32_e32 v198, v199, v198
	s_delay_alu instid0(VALU_DEP_1) | instskip(NEXT) | instid1(VALU_DEP_1)
	v_mov_b32_dpp v199, v198 row_shr:2 row_mask:0xf bank_mask:0xf
	v_cndmask_b32_e64 v199, 0, v199, s9
	s_delay_alu instid0(VALU_DEP_1) | instskip(NEXT) | instid1(VALU_DEP_1)
	v_add_nc_u32_e32 v198, v198, v199
	v_mov_b32_dpp v199, v198 row_shr:4 row_mask:0xf bank_mask:0xf
	s_delay_alu instid0(VALU_DEP_1) | instskip(NEXT) | instid1(VALU_DEP_1)
	v_cndmask_b32_e64 v199, 0, v199, s10
	v_add_nc_u32_e32 v198, v198, v199
	s_delay_alu instid0(VALU_DEP_1) | instskip(NEXT) | instid1(VALU_DEP_1)
	v_mov_b32_dpp v199, v198 row_shr:8 row_mask:0xf bank_mask:0xf
	v_cndmask_b32_e64 v199, 0, v199, s11
	s_delay_alu instid0(VALU_DEP_1) | instskip(SKIP_3) | instid1(VALU_DEP_1)
	v_add_nc_u32_e32 v198, v198, v199
	ds_swizzle_b32 v199, v198 offset:swizzle(BROADCAST,32,15)
	s_wait_dscnt 0x0
	v_cndmask_b32_e64 v199, v199, 0, s12
	v_add_nc_u32_e32 v198, v198, v199
	s_and_saveexec_b32 s17, s2
; %bb.476:                              ;   in Loop: Header=BB419_418 Depth=2
	ds_store_b32 v83, v198 offset:512
; %bb.477:                              ;   in Loop: Header=BB419_418 Depth=2
	s_or_b32 exec_lo, exec_lo, s17
	s_wait_dscnt 0x0
	s_barrier_signal -1
	s_barrier_wait -1
	s_and_saveexec_b32 s17, s3
	s_cbranch_execz .LBB419_479
; %bb.478:                              ;   in Loop: Header=BB419_418 Depth=2
	ds_load_b32 v199, v92 offset:512
	s_wait_dscnt 0x0
	v_mov_b32_dpp v200, v199 row_shr:1 row_mask:0xf bank_mask:0xf
	s_delay_alu instid0(VALU_DEP_1) | instskip(NEXT) | instid1(VALU_DEP_1)
	v_cndmask_b32_e64 v200, v200, 0, s14
	v_add_nc_u32_e32 v199, v200, v199
	s_delay_alu instid0(VALU_DEP_1) | instskip(NEXT) | instid1(VALU_DEP_1)
	v_mov_b32_dpp v200, v199 row_shr:2 row_mask:0xf bank_mask:0xf
	v_cndmask_b32_e64 v200, 0, v200, s15
	s_delay_alu instid0(VALU_DEP_1) | instskip(NEXT) | instid1(VALU_DEP_1)
	v_add_nc_u32_e32 v199, v199, v200
	v_mov_b32_dpp v200, v199 row_shr:4 row_mask:0xf bank_mask:0xf
	s_delay_alu instid0(VALU_DEP_1) | instskip(NEXT) | instid1(VALU_DEP_1)
	v_cndmask_b32_e64 v200, 0, v200, s16
	v_add_nc_u32_e32 v199, v199, v200
	ds_store_b32 v92, v199 offset:512
.LBB419_479:                            ;   in Loop: Header=BB419_418 Depth=2
	s_or_b32 exec_lo, exec_lo, s17
	v_mov_b32_e32 v199, 0
	s_wait_dscnt 0x0
	s_barrier_signal -1
	s_barrier_wait -1
	s_and_saveexec_b32 s17, s5
; %bb.480:                              ;   in Loop: Header=BB419_418 Depth=2
	ds_load_b32 v199, v83 offset:508
; %bb.481:                              ;   in Loop: Header=BB419_418 Depth=2
	s_or_b32 exec_lo, exec_lo, s17
	s_wait_dscnt 0x0
	v_add_nc_u32_e32 v198, v199, v198
	ds_bpermute_b32 v198, v96, v198
	s_wait_dscnt 0x0
	v_cndmask_b32_e64 v198, v198, v199, s13
	s_delay_alu instid0(VALU_DEP_1) | instskip(NEXT) | instid1(VALU_DEP_1)
	v_cndmask_b32_e64 v198, v198, 0, s6
	v_add_nc_u32_e32 v64, v198, v64
	s_delay_alu instid0(VALU_DEP_1) | instskip(NEXT) | instid1(VALU_DEP_1)
	v_add_nc_u32_e32 v65, v64, v65
	v_add_nc_u32_e32 v62, v65, v62
	s_delay_alu instid0(VALU_DEP_1)
	v_add_nc_u32_e32 v63, v62, v63
	ds_store_2addr_b32 v90, v198, v64 offset0:136 offset1:137
	ds_store_2addr_b32 v90, v65, v62 offset0:138 offset1:139
	ds_store_b32 v90, v63 offset:560
	s_wait_dscnt 0x0
	s_barrier_signal -1
	s_barrier_wait -1
	ds_load_b32 v62, v149 offset:544
	ds_load_b32 v63, v152 offset:544
	;; [unrolled: 1-line block ×17, first 2 shown]
	s_and_saveexec_b32 s17, s0
	s_cbranch_execz .LBB419_485
; %bb.482:                              ;   in Loop: Header=BB419_418 Depth=2
	v_dual_mov_b32 v134, 0x1100 :: v_dual_add_nc_u32 v133, v92, v94
	ds_load_b32 v133, v133 offset:544
	s_and_saveexec_b32 s18, s7
; %bb.483:                              ;   in Loop: Header=BB419_418 Depth=2
	ds_load_b32 v134, v93 offset:544
; %bb.484:                              ;   in Loop: Header=BB419_418 Depth=2
	s_or_b32 exec_lo, exec_lo, s18
	s_wait_dscnt 0x0
	v_sub_nc_u32_e32 v134, v134, v133
.LBB419_485:                            ;   in Loop: Header=BB419_418 Depth=2
	s_or_b32 exec_lo, exec_lo, s17
	v_dual_lshrrev_b32 v202, 8, v148 :: v_dual_lshrrev_b32 v203, 16, v148
	v_dual_lshrrev_b32 v200, 8, v143 :: v_dual_lshrrev_b32 v201, 16, v143
	;; [unrolled: 1-line block ×4, first 2 shown]
	s_wait_dscnt 0x0
	s_barrier_signal -1
	s_barrier_wait -1
	s_and_saveexec_b32 s17, s0
	s_cbranch_execz .LBB419_487
; %bb.486:                              ;   in Loop: Header=BB419_418 Depth=2
	ds_load_b32 v135, v66
	s_wait_dscnt 0x0
	v_sub_nc_u32_e32 v135, v135, v133
	ds_store_b32 v66, v135
.LBB419_487:                            ;   in Loop: Header=BB419_418 Depth=2
	s_or_b32 exec_lo, exec_lo, s17
	v_add_nc_u32_e32 v156, v62, v146
	v_add3_u32 v152, v151, v150, v63
	v_add3_u32 v151, v154, v153, v64
	;; [unrolled: 1-line block ×16, first 2 shown]
	v_cmp_lt_u32_e32 vcc_lo, v2, v137
	ds_store_b8 v156, v147 offset:512
	ds_store_b8 v152, v202 offset:512
	ds_store_b8 v151, v203 offset:512
	ds_store_b8 v150, v155 offset:512
	ds_store_b8 v149, v142 offset:512
	ds_store_b8 v148, v200 offset:512
	ds_store_b8 v146, v201 offset:512
	ds_store_b8 v145, v166 offset:512
	ds_store_b8 v144, v138 offset:512
	ds_store_b8 v143, v198 offset:512
	ds_store_b8 v141, v199 offset:512
	ds_store_b8 v140, v177 offset:512
	ds_store_b8 v139, v184 offset:512
	ds_store_b8 v136, v194 offset:512
	ds_store_b8 v135, v197 offset:512
	ds_store_b8 v65, v190 offset:512
	ds_store_b8 v64, v115 offset:512
	s_wait_dscnt 0x0
	s_barrier_signal -1
	s_barrier_wait -1
	s_and_saveexec_b32 s17, vcc_lo
	s_cbranch_execnz .LBB419_560
; %bb.488:                              ;   in Loop: Header=BB419_418 Depth=2
	s_or_b32 exec_lo, exec_lo, s17
	v_cmp_lt_u32_e64 s17, v67, v137
	s_and_saveexec_b32 s18, s17
	s_cbranch_execnz .LBB419_561
.LBB419_489:                            ;   in Loop: Header=BB419_418 Depth=2
	s_or_b32 exec_lo, exec_lo, s18
	v_cmp_lt_u32_e64 s18, v68, v137
	s_and_saveexec_b32 s19, s18
	s_cbranch_execnz .LBB419_562
.LBB419_490:                            ;   in Loop: Header=BB419_418 Depth=2
	s_or_b32 exec_lo, exec_lo, s19
	v_cmp_lt_u32_e64 s19, v69, v137
	s_and_saveexec_b32 s20, s19
	s_cbranch_execnz .LBB419_563
.LBB419_491:                            ;   in Loop: Header=BB419_418 Depth=2
	s_or_b32 exec_lo, exec_lo, s20
	v_cmp_lt_u32_e64 s20, v70, v137
	s_and_saveexec_b32 s21, s20
	s_cbranch_execnz .LBB419_564
.LBB419_492:                            ;   in Loop: Header=BB419_418 Depth=2
	s_or_b32 exec_lo, exec_lo, s21
	v_cmp_lt_u32_e64 s21, v71, v137
	s_and_saveexec_b32 s22, s21
	s_cbranch_execnz .LBB419_565
.LBB419_493:                            ;   in Loop: Header=BB419_418 Depth=2
	s_or_b32 exec_lo, exec_lo, s22
	v_cmp_lt_u32_e64 s22, v72, v137
	s_and_saveexec_b32 s23, s22
	s_cbranch_execnz .LBB419_566
.LBB419_494:                            ;   in Loop: Header=BB419_418 Depth=2
	s_or_b32 exec_lo, exec_lo, s23
	v_cmp_lt_u32_e64 s23, v73, v137
	s_and_saveexec_b32 s24, s23
	s_cbranch_execnz .LBB419_567
.LBB419_495:                            ;   in Loop: Header=BB419_418 Depth=2
	s_or_b32 exec_lo, exec_lo, s24
	v_cmp_lt_u32_e64 s24, v74, v137
	s_and_saveexec_b32 s25, s24
	s_cbranch_execnz .LBB419_568
.LBB419_496:                            ;   in Loop: Header=BB419_418 Depth=2
	s_or_b32 exec_lo, exec_lo, s25
	v_cmp_lt_u32_e64 s25, v75, v137
	s_and_saveexec_b32 s26, s25
	s_cbranch_execnz .LBB419_569
.LBB419_497:                            ;   in Loop: Header=BB419_418 Depth=2
	s_or_b32 exec_lo, exec_lo, s26
	v_cmp_lt_u32_e64 s26, v76, v137
	s_and_saveexec_b32 s27, s26
	s_cbranch_execnz .LBB419_570
.LBB419_498:                            ;   in Loop: Header=BB419_418 Depth=2
	s_or_b32 exec_lo, exec_lo, s27
	v_cmp_lt_u32_e64 s27, v77, v137
	s_and_saveexec_b32 s28, s27
	s_cbranch_execnz .LBB419_571
.LBB419_499:                            ;   in Loop: Header=BB419_418 Depth=2
	s_or_b32 exec_lo, exec_lo, s28
	v_cmp_lt_u32_e64 s28, v78, v137
	s_and_saveexec_b32 s29, s28
	s_cbranch_execnz .LBB419_572
.LBB419_500:                            ;   in Loop: Header=BB419_418 Depth=2
	s_or_b32 exec_lo, exec_lo, s29
	v_cmp_lt_u32_e64 s29, v79, v137
	s_and_saveexec_b32 s30, s29
	s_cbranch_execnz .LBB419_573
.LBB419_501:                            ;   in Loop: Header=BB419_418 Depth=2
	s_or_b32 exec_lo, exec_lo, s30
	v_cmp_lt_u32_e64 s30, v80, v137
	s_and_saveexec_b32 s31, s30
	s_cbranch_execnz .LBB419_574
.LBB419_502:                            ;   in Loop: Header=BB419_418 Depth=2
	s_or_b32 exec_lo, exec_lo, s31
	v_cmp_lt_u32_e64 s31, v81, v137
	s_and_saveexec_b32 s33, s31
	s_cbranch_execnz .LBB419_575
.LBB419_503:                            ;   in Loop: Header=BB419_418 Depth=2
	s_or_b32 exec_lo, exec_lo, s33
	v_cmp_lt_u32_e64 s33, v82, v137
	s_and_saveexec_b32 s61, s33
	s_cbranch_execz .LBB419_505
.LBB419_504:                            ;   in Loop: Header=BB419_418 Depth=2
	ds_load_u8 v62, v2 offset:4608
	s_wait_dscnt 0x0
	v_and_b32_e32 v63, 0xff, v62
	v_xor_b32_e32 v62, 0x80, v62
	s_delay_alu instid0(VALU_DEP_2) | instskip(NEXT) | instid1(VALU_DEP_1)
	v_lshrrev_b32_e32 v63, s48, v63
	v_and_b32_e32 v63, s58, v63
	s_delay_alu instid0(VALU_DEP_1)
	v_lshlrev_b32_e32 v63, 2, v63
	ds_load_b32 v63, v63
	s_wait_dscnt 0x0
	v_add_nc_u32_e32 v63, v63, v82
	global_store_b8 v63, v62, s[40:41]
.LBB419_505:                            ;   in Loop: Header=BB419_418 Depth=2
	s_wait_xcnt 0x0
	s_or_b32 exec_lo, exec_lo, s61
	v_lshl_add_u64 v[62:63], s[34:35], 3, v[26:27]
	v_cmp_lt_u32_e64 s34, v97, v137
	s_and_saveexec_b32 s61, s34
	s_delay_alu instid0(SALU_CYCLE_1)
	s_xor_b32 s34, exec_lo, s61
	s_cbranch_execnz .LBB419_576
; %bb.506:                              ;   in Loop: Header=BB419_418 Depth=2
	s_or_b32 exec_lo, exec_lo, s34
	s_delay_alu instid0(SALU_CYCLE_1)
	s_mov_b32 s61, exec_lo
	v_cmpx_lt_u32_e64 v98, v137
	s_cbranch_execnz .LBB419_577
.LBB419_507:                            ;   in Loop: Header=BB419_418 Depth=2
	s_or_b32 exec_lo, exec_lo, s61
	s_delay_alu instid0(SALU_CYCLE_1)
	s_mov_b32 s61, exec_lo
	v_cmpx_lt_u32_e64 v99, v137
	s_cbranch_execnz .LBB419_578
.LBB419_508:                            ;   in Loop: Header=BB419_418 Depth=2
	s_or_b32 exec_lo, exec_lo, s61
	s_delay_alu instid0(SALU_CYCLE_1)
	s_mov_b32 s61, exec_lo
	v_cmpx_lt_u32_e64 v100, v137
	s_cbranch_execnz .LBB419_579
.LBB419_509:                            ;   in Loop: Header=BB419_418 Depth=2
	s_or_b32 exec_lo, exec_lo, s61
	s_delay_alu instid0(SALU_CYCLE_1)
	s_mov_b32 s61, exec_lo
	v_cmpx_lt_u32_e64 v101, v137
	s_cbranch_execnz .LBB419_580
.LBB419_510:                            ;   in Loop: Header=BB419_418 Depth=2
	s_or_b32 exec_lo, exec_lo, s61
	s_delay_alu instid0(SALU_CYCLE_1)
	s_mov_b32 s61, exec_lo
	v_cmpx_lt_u32_e64 v102, v137
	s_cbranch_execnz .LBB419_581
.LBB419_511:                            ;   in Loop: Header=BB419_418 Depth=2
	s_or_b32 exec_lo, exec_lo, s61
	s_delay_alu instid0(SALU_CYCLE_1)
	s_mov_b32 s61, exec_lo
	v_cmpx_lt_u32_e64 v103, v137
	s_cbranch_execnz .LBB419_582
.LBB419_512:                            ;   in Loop: Header=BB419_418 Depth=2
	s_or_b32 exec_lo, exec_lo, s61
	s_delay_alu instid0(SALU_CYCLE_1)
	s_mov_b32 s61, exec_lo
	v_cmpx_lt_u32_e64 v104, v137
	s_cbranch_execnz .LBB419_583
.LBB419_513:                            ;   in Loop: Header=BB419_418 Depth=2
	s_or_b32 exec_lo, exec_lo, s61
	s_delay_alu instid0(SALU_CYCLE_1)
	s_mov_b32 s61, exec_lo
	v_cmpx_lt_u32_e64 v105, v137
	s_cbranch_execnz .LBB419_584
.LBB419_514:                            ;   in Loop: Header=BB419_418 Depth=2
	s_or_b32 exec_lo, exec_lo, s61
	s_delay_alu instid0(SALU_CYCLE_1)
	s_mov_b32 s61, exec_lo
	v_cmpx_lt_u32_e64 v106, v137
	s_cbranch_execnz .LBB419_585
.LBB419_515:                            ;   in Loop: Header=BB419_418 Depth=2
	s_or_b32 exec_lo, exec_lo, s61
	s_delay_alu instid0(SALU_CYCLE_1)
	s_mov_b32 s61, exec_lo
	v_cmpx_lt_u32_e64 v107, v137
	s_cbranch_execnz .LBB419_586
.LBB419_516:                            ;   in Loop: Header=BB419_418 Depth=2
	s_or_b32 exec_lo, exec_lo, s61
	s_delay_alu instid0(SALU_CYCLE_1)
	s_mov_b32 s61, exec_lo
	v_cmpx_lt_u32_e64 v108, v137
	s_cbranch_execnz .LBB419_587
.LBB419_517:                            ;   in Loop: Header=BB419_418 Depth=2
	s_or_b32 exec_lo, exec_lo, s61
	s_delay_alu instid0(SALU_CYCLE_1)
	s_mov_b32 s61, exec_lo
	v_cmpx_lt_u32_e64 v109, v137
	s_cbranch_execnz .LBB419_588
.LBB419_518:                            ;   in Loop: Header=BB419_418 Depth=2
	s_or_b32 exec_lo, exec_lo, s61
	s_delay_alu instid0(SALU_CYCLE_1)
	s_mov_b32 s61, exec_lo
	v_cmpx_lt_u32_e64 v110, v137
	s_cbranch_execnz .LBB419_589
.LBB419_519:                            ;   in Loop: Header=BB419_418 Depth=2
	s_or_b32 exec_lo, exec_lo, s61
	s_delay_alu instid0(SALU_CYCLE_1)
	s_mov_b32 s61, exec_lo
	v_cmpx_lt_u32_e64 v111, v137
	s_cbranch_execnz .LBB419_590
.LBB419_520:                            ;   in Loop: Header=BB419_418 Depth=2
	s_or_b32 exec_lo, exec_lo, s61
	s_delay_alu instid0(SALU_CYCLE_1)
	s_mov_b32 s61, exec_lo
	v_cmpx_lt_u32_e64 v112, v137
	s_cbranch_execnz .LBB419_591
.LBB419_521:                            ;   in Loop: Header=BB419_418 Depth=2
	s_or_b32 exec_lo, exec_lo, s61
	s_delay_alu instid0(SALU_CYCLE_1)
	s_mov_b32 s61, exec_lo
	v_cmpx_lt_u32_e64 v113, v137
	s_cbranch_execnz .LBB419_592
.LBB419_522:                            ;   in Loop: Header=BB419_418 Depth=2
	s_or_b32 exec_lo, exec_lo, s61
	s_and_saveexec_b32 s34, vcc_lo
	s_cbranch_execnz .LBB419_593
.LBB419_523:                            ;   in Loop: Header=BB419_418 Depth=2
	s_or_b32 exec_lo, exec_lo, s34
	s_and_saveexec_b32 s34, s17
	s_cbranch_execnz .LBB419_594
.LBB419_524:                            ;   in Loop: Header=BB419_418 Depth=2
	s_or_b32 exec_lo, exec_lo, s34
	s_and_saveexec_b32 s34, s18
	s_cbranch_execnz .LBB419_595
.LBB419_525:                            ;   in Loop: Header=BB419_418 Depth=2
	s_or_b32 exec_lo, exec_lo, s34
	s_and_saveexec_b32 s34, s19
	s_cbranch_execnz .LBB419_596
.LBB419_526:                            ;   in Loop: Header=BB419_418 Depth=2
	s_or_b32 exec_lo, exec_lo, s34
	s_and_saveexec_b32 s34, s20
	s_cbranch_execnz .LBB419_597
.LBB419_527:                            ;   in Loop: Header=BB419_418 Depth=2
	s_or_b32 exec_lo, exec_lo, s34
	s_and_saveexec_b32 s34, s21
	s_cbranch_execnz .LBB419_598
.LBB419_528:                            ;   in Loop: Header=BB419_418 Depth=2
	s_or_b32 exec_lo, exec_lo, s34
	s_and_saveexec_b32 s34, s22
	s_cbranch_execnz .LBB419_599
.LBB419_529:                            ;   in Loop: Header=BB419_418 Depth=2
	s_or_b32 exec_lo, exec_lo, s34
	s_and_saveexec_b32 s34, s23
	s_cbranch_execnz .LBB419_600
.LBB419_530:                            ;   in Loop: Header=BB419_418 Depth=2
	s_or_b32 exec_lo, exec_lo, s34
	s_and_saveexec_b32 s34, s24
	s_cbranch_execnz .LBB419_601
.LBB419_531:                            ;   in Loop: Header=BB419_418 Depth=2
	s_or_b32 exec_lo, exec_lo, s34
	s_and_saveexec_b32 s34, s25
	s_cbranch_execnz .LBB419_602
.LBB419_532:                            ;   in Loop: Header=BB419_418 Depth=2
	s_or_b32 exec_lo, exec_lo, s34
	s_and_saveexec_b32 s34, s26
	s_cbranch_execnz .LBB419_603
.LBB419_533:                            ;   in Loop: Header=BB419_418 Depth=2
	s_or_b32 exec_lo, exec_lo, s34
	s_and_saveexec_b32 s34, s27
	s_cbranch_execnz .LBB419_604
.LBB419_534:                            ;   in Loop: Header=BB419_418 Depth=2
	s_or_b32 exec_lo, exec_lo, s34
	s_and_saveexec_b32 s34, s28
	s_cbranch_execnz .LBB419_605
.LBB419_535:                            ;   in Loop: Header=BB419_418 Depth=2
	s_or_b32 exec_lo, exec_lo, s34
	s_and_saveexec_b32 s34, s29
	s_cbranch_execnz .LBB419_606
.LBB419_536:                            ;   in Loop: Header=BB419_418 Depth=2
	s_or_b32 exec_lo, exec_lo, s34
	s_and_saveexec_b32 s34, s30
	s_cbranch_execnz .LBB419_607
.LBB419_537:                            ;   in Loop: Header=BB419_418 Depth=2
	s_or_b32 exec_lo, exec_lo, s34
	s_and_saveexec_b32 s34, s31
	s_cbranch_execnz .LBB419_608
.LBB419_538:                            ;   in Loop: Header=BB419_418 Depth=2
	s_or_b32 exec_lo, exec_lo, s34
	s_and_saveexec_b32 s34, s33
	s_cbranch_execz .LBB419_540
.LBB419_539:                            ;   in Loop: Header=BB419_418 Depth=2
	ds_load_u8 v62, v2 offset:4608
	s_wait_dscnt 0x0
	v_lshrrev_b32_e32 v62, s48, v62
	s_delay_alu instid0(VALU_DEP_1)
	v_and_b32_e32 v116, s58, v62
.LBB419_540:                            ;   in Loop: Header=BB419_418 Depth=2
	s_or_b32 exec_lo, exec_lo, s34
	v_lshlrev_b32_e32 v62, 3, v156
	v_lshlrev_b32_e32 v63, 3, v152
	s_wait_loadcnt 0x0
	s_wait_storecnt 0x0
	s_barrier_signal -1
	s_barrier_wait -1
	ds_store_b64 v62, v[60:61] offset:512
	ds_store_b64 v63, v[58:59] offset:512
	v_dual_lshlrev_b32 v62, 3, v151 :: v_dual_lshlrev_b32 v63, 3, v150
	v_dual_lshlrev_b32 v137, 3, v149 :: v_dual_lshlrev_b32 v138, 3, v148
	v_lshlrev_b32_e32 v142, 3, v146
	ds_store_b64 v62, v[56:57] offset:512
	ds_store_b64 v63, v[54:55] offset:512
	ds_store_b64 v137, v[52:53] offset:512
	ds_store_b64 v138, v[50:51] offset:512
	ds_store_b64 v142, v[48:49] offset:512
	v_dual_lshlrev_b32 v62, 3, v145 :: v_dual_lshlrev_b32 v63, 3, v144
	v_dual_lshlrev_b32 v137, 3, v143 :: v_dual_lshlrev_b32 v138, 3, v141
	v_lshlrev_b32_e32 v140, 3, v140
	ds_store_b64 v62, v[46:47] offset:512
	ds_store_b64 v63, v[44:45] offset:512
	ds_store_b64 v137, v[42:43] offset:512
	;; [unrolled: 8-line block ×3, first 2 shown]
	ds_store_b64 v65, v[30:31] offset:512
	ds_store_b64 v64, v[28:29] offset:512
	s_wait_dscnt 0x0
	s_barrier_signal -1
	s_barrier_wait -1
	s_and_saveexec_b32 s34, vcc_lo
	s_cbranch_execnz .LBB419_609
; %bb.541:                              ;   in Loop: Header=BB419_418 Depth=2
	s_or_b32 exec_lo, exec_lo, s34
	s_and_saveexec_b32 s34, s17
	s_cbranch_execnz .LBB419_610
.LBB419_542:                            ;   in Loop: Header=BB419_418 Depth=2
	s_or_b32 exec_lo, exec_lo, s34
	s_and_saveexec_b32 s17, s18
	s_cbranch_execnz .LBB419_611
.LBB419_543:                            ;   in Loop: Header=BB419_418 Depth=2
	s_or_b32 exec_lo, exec_lo, s17
	s_and_saveexec_b32 s17, s19
	s_cbranch_execnz .LBB419_612
.LBB419_544:                            ;   in Loop: Header=BB419_418 Depth=2
	s_or_b32 exec_lo, exec_lo, s17
	s_and_saveexec_b32 s17, s20
	s_cbranch_execnz .LBB419_613
.LBB419_545:                            ;   in Loop: Header=BB419_418 Depth=2
	s_or_b32 exec_lo, exec_lo, s17
	s_and_saveexec_b32 s17, s21
	s_cbranch_execnz .LBB419_614
.LBB419_546:                            ;   in Loop: Header=BB419_418 Depth=2
	s_or_b32 exec_lo, exec_lo, s17
	s_and_saveexec_b32 s17, s22
	s_cbranch_execnz .LBB419_615
.LBB419_547:                            ;   in Loop: Header=BB419_418 Depth=2
	s_or_b32 exec_lo, exec_lo, s17
	s_and_saveexec_b32 s17, s23
	s_cbranch_execnz .LBB419_616
.LBB419_548:                            ;   in Loop: Header=BB419_418 Depth=2
	s_or_b32 exec_lo, exec_lo, s17
	s_and_saveexec_b32 s17, s24
	s_cbranch_execnz .LBB419_617
.LBB419_549:                            ;   in Loop: Header=BB419_418 Depth=2
	s_or_b32 exec_lo, exec_lo, s17
	s_and_saveexec_b32 s17, s25
	s_cbranch_execnz .LBB419_618
.LBB419_550:                            ;   in Loop: Header=BB419_418 Depth=2
	s_or_b32 exec_lo, exec_lo, s17
	s_and_saveexec_b32 s17, s26
	s_cbranch_execnz .LBB419_619
.LBB419_551:                            ;   in Loop: Header=BB419_418 Depth=2
	s_or_b32 exec_lo, exec_lo, s17
	s_and_saveexec_b32 s17, s27
	s_cbranch_execnz .LBB419_620
.LBB419_552:                            ;   in Loop: Header=BB419_418 Depth=2
	s_or_b32 exec_lo, exec_lo, s17
	s_and_saveexec_b32 s17, s28
	s_cbranch_execnz .LBB419_621
.LBB419_553:                            ;   in Loop: Header=BB419_418 Depth=2
	s_or_b32 exec_lo, exec_lo, s17
	s_and_saveexec_b32 s17, s29
	s_cbranch_execnz .LBB419_622
.LBB419_554:                            ;   in Loop: Header=BB419_418 Depth=2
	s_or_b32 exec_lo, exec_lo, s17
	s_and_saveexec_b32 s17, s30
	s_cbranch_execnz .LBB419_623
.LBB419_555:                            ;   in Loop: Header=BB419_418 Depth=2
	s_or_b32 exec_lo, exec_lo, s17
	s_and_saveexec_b32 s17, s31
	s_cbranch_execnz .LBB419_624
.LBB419_556:                            ;   in Loop: Header=BB419_418 Depth=2
	s_or_b32 exec_lo, exec_lo, s17
	s_and_saveexec_b32 s17, s33
	s_cbranch_execz .LBB419_558
.LBB419_557:                            ;   in Loop: Header=BB419_418 Depth=2
	v_dual_lshlrev_b32 v62, 2, v116 :: v_dual_add_nc_u32 v63, v2, v95
	ds_load_b32 v64, v62
	ds_load_b64 v[62:63], v63 offset:33280
	s_wait_dscnt 0x1
	v_add_nc_u32_e32 v64, v64, v82
	s_wait_dscnt 0x0
	global_store_b64 v64, v[62:63], s[46:47] scale_offset
.LBB419_558:                            ;   in Loop: Header=BB419_418 Depth=2
	s_wait_xcnt 0x0
	s_or_b32 exec_lo, exec_lo, s17
	s_wait_storecnt 0x0
	s_barrier_signal -1
	s_barrier_wait -1
	s_and_saveexec_b32 s17, s0
	s_cbranch_execz .LBB419_417
; %bb.559:                              ;   in Loop: Header=BB419_418 Depth=2
	ds_load_b32 v62, v66
	s_wait_dscnt 0x0
	v_add3_u32 v62, v133, v134, v62
	ds_store_b32 v66, v62
	s_branch .LBB419_417
.LBB419_560:                            ;   in Loop: Header=BB419_418 Depth=2
	ds_load_u8 v62, v2 offset:512
	s_wait_dscnt 0x0
	v_and_b32_e32 v63, 0xff, v62
	v_xor_b32_e32 v62, 0x80, v62
	s_delay_alu instid0(VALU_DEP_2) | instskip(NEXT) | instid1(VALU_DEP_1)
	v_lshrrev_b32_e32 v63, s48, v63
	v_and_b32_e32 v63, s58, v63
	s_delay_alu instid0(VALU_DEP_1)
	v_lshlrev_b32_e32 v63, 2, v63
	ds_load_b32 v63, v63
	s_wait_dscnt 0x0
	v_add_nc_u32_e32 v63, v63, v2
	global_store_b8 v63, v62, s[40:41]
	s_wait_xcnt 0x0
	s_or_b32 exec_lo, exec_lo, s17
	v_cmp_lt_u32_e64 s17, v67, v137
	s_and_saveexec_b32 s18, s17
	s_cbranch_execz .LBB419_489
.LBB419_561:                            ;   in Loop: Header=BB419_418 Depth=2
	ds_load_u8 v62, v2 offset:768
	s_wait_dscnt 0x0
	v_and_b32_e32 v63, 0xff, v62
	v_xor_b32_e32 v62, 0x80, v62
	s_delay_alu instid0(VALU_DEP_2) | instskip(NEXT) | instid1(VALU_DEP_1)
	v_lshrrev_b32_e32 v63, s48, v63
	v_and_b32_e32 v63, s58, v63
	s_delay_alu instid0(VALU_DEP_1)
	v_lshlrev_b32_e32 v63, 2, v63
	ds_load_b32 v63, v63
	s_wait_dscnt 0x0
	v_add_nc_u32_e32 v63, v63, v67
	global_store_b8 v63, v62, s[40:41]
	s_wait_xcnt 0x0
	s_or_b32 exec_lo, exec_lo, s18
	v_cmp_lt_u32_e64 s18, v68, v137
	s_and_saveexec_b32 s19, s18
	s_cbranch_execz .LBB419_490
.LBB419_562:                            ;   in Loop: Header=BB419_418 Depth=2
	ds_load_u8 v62, v2 offset:1024
	s_wait_dscnt 0x0
	v_and_b32_e32 v63, 0xff, v62
	v_xor_b32_e32 v62, 0x80, v62
	s_delay_alu instid0(VALU_DEP_2) | instskip(NEXT) | instid1(VALU_DEP_1)
	v_lshrrev_b32_e32 v63, s48, v63
	v_and_b32_e32 v63, s58, v63
	s_delay_alu instid0(VALU_DEP_1)
	v_lshlrev_b32_e32 v63, 2, v63
	ds_load_b32 v63, v63
	s_wait_dscnt 0x0
	v_add_nc_u32_e32 v63, v63, v68
	global_store_b8 v63, v62, s[40:41]
	s_wait_xcnt 0x0
	s_or_b32 exec_lo, exec_lo, s19
	v_cmp_lt_u32_e64 s19, v69, v137
	s_and_saveexec_b32 s20, s19
	s_cbranch_execz .LBB419_491
.LBB419_563:                            ;   in Loop: Header=BB419_418 Depth=2
	ds_load_u8 v62, v2 offset:1280
	s_wait_dscnt 0x0
	v_and_b32_e32 v63, 0xff, v62
	v_xor_b32_e32 v62, 0x80, v62
	s_delay_alu instid0(VALU_DEP_2) | instskip(NEXT) | instid1(VALU_DEP_1)
	v_lshrrev_b32_e32 v63, s48, v63
	v_and_b32_e32 v63, s58, v63
	s_delay_alu instid0(VALU_DEP_1)
	v_lshlrev_b32_e32 v63, 2, v63
	ds_load_b32 v63, v63
	s_wait_dscnt 0x0
	v_add_nc_u32_e32 v63, v63, v69
	global_store_b8 v63, v62, s[40:41]
	s_wait_xcnt 0x0
	s_or_b32 exec_lo, exec_lo, s20
	v_cmp_lt_u32_e64 s20, v70, v137
	s_and_saveexec_b32 s21, s20
	s_cbranch_execz .LBB419_492
.LBB419_564:                            ;   in Loop: Header=BB419_418 Depth=2
	ds_load_u8 v62, v2 offset:1536
	s_wait_dscnt 0x0
	v_and_b32_e32 v63, 0xff, v62
	v_xor_b32_e32 v62, 0x80, v62
	s_delay_alu instid0(VALU_DEP_2) | instskip(NEXT) | instid1(VALU_DEP_1)
	v_lshrrev_b32_e32 v63, s48, v63
	v_and_b32_e32 v63, s58, v63
	s_delay_alu instid0(VALU_DEP_1)
	v_lshlrev_b32_e32 v63, 2, v63
	ds_load_b32 v63, v63
	s_wait_dscnt 0x0
	v_add_nc_u32_e32 v63, v63, v70
	global_store_b8 v63, v62, s[40:41]
	s_wait_xcnt 0x0
	s_or_b32 exec_lo, exec_lo, s21
	v_cmp_lt_u32_e64 s21, v71, v137
	s_and_saveexec_b32 s22, s21
	s_cbranch_execz .LBB419_493
.LBB419_565:                            ;   in Loop: Header=BB419_418 Depth=2
	ds_load_u8 v62, v2 offset:1792
	s_wait_dscnt 0x0
	v_and_b32_e32 v63, 0xff, v62
	v_xor_b32_e32 v62, 0x80, v62
	s_delay_alu instid0(VALU_DEP_2) | instskip(NEXT) | instid1(VALU_DEP_1)
	v_lshrrev_b32_e32 v63, s48, v63
	v_and_b32_e32 v63, s58, v63
	s_delay_alu instid0(VALU_DEP_1)
	v_lshlrev_b32_e32 v63, 2, v63
	ds_load_b32 v63, v63
	s_wait_dscnt 0x0
	v_add_nc_u32_e32 v63, v63, v71
	global_store_b8 v63, v62, s[40:41]
	s_wait_xcnt 0x0
	s_or_b32 exec_lo, exec_lo, s22
	v_cmp_lt_u32_e64 s22, v72, v137
	s_and_saveexec_b32 s23, s22
	s_cbranch_execz .LBB419_494
.LBB419_566:                            ;   in Loop: Header=BB419_418 Depth=2
	ds_load_u8 v62, v2 offset:2048
	s_wait_dscnt 0x0
	v_and_b32_e32 v63, 0xff, v62
	v_xor_b32_e32 v62, 0x80, v62
	s_delay_alu instid0(VALU_DEP_2) | instskip(NEXT) | instid1(VALU_DEP_1)
	v_lshrrev_b32_e32 v63, s48, v63
	v_and_b32_e32 v63, s58, v63
	s_delay_alu instid0(VALU_DEP_1)
	v_lshlrev_b32_e32 v63, 2, v63
	ds_load_b32 v63, v63
	s_wait_dscnt 0x0
	v_add_nc_u32_e32 v63, v63, v72
	global_store_b8 v63, v62, s[40:41]
	s_wait_xcnt 0x0
	s_or_b32 exec_lo, exec_lo, s23
	v_cmp_lt_u32_e64 s23, v73, v137
	s_and_saveexec_b32 s24, s23
	s_cbranch_execz .LBB419_495
.LBB419_567:                            ;   in Loop: Header=BB419_418 Depth=2
	ds_load_u8 v62, v2 offset:2304
	s_wait_dscnt 0x0
	v_and_b32_e32 v63, 0xff, v62
	v_xor_b32_e32 v62, 0x80, v62
	s_delay_alu instid0(VALU_DEP_2) | instskip(NEXT) | instid1(VALU_DEP_1)
	v_lshrrev_b32_e32 v63, s48, v63
	v_and_b32_e32 v63, s58, v63
	s_delay_alu instid0(VALU_DEP_1)
	v_lshlrev_b32_e32 v63, 2, v63
	ds_load_b32 v63, v63
	s_wait_dscnt 0x0
	v_add_nc_u32_e32 v63, v63, v73
	global_store_b8 v63, v62, s[40:41]
	s_wait_xcnt 0x0
	s_or_b32 exec_lo, exec_lo, s24
	v_cmp_lt_u32_e64 s24, v74, v137
	s_and_saveexec_b32 s25, s24
	s_cbranch_execz .LBB419_496
.LBB419_568:                            ;   in Loop: Header=BB419_418 Depth=2
	ds_load_u8 v62, v2 offset:2560
	s_wait_dscnt 0x0
	v_and_b32_e32 v63, 0xff, v62
	v_xor_b32_e32 v62, 0x80, v62
	s_delay_alu instid0(VALU_DEP_2) | instskip(NEXT) | instid1(VALU_DEP_1)
	v_lshrrev_b32_e32 v63, s48, v63
	v_and_b32_e32 v63, s58, v63
	s_delay_alu instid0(VALU_DEP_1)
	v_lshlrev_b32_e32 v63, 2, v63
	ds_load_b32 v63, v63
	s_wait_dscnt 0x0
	v_add_nc_u32_e32 v63, v63, v74
	global_store_b8 v63, v62, s[40:41]
	s_wait_xcnt 0x0
	s_or_b32 exec_lo, exec_lo, s25
	v_cmp_lt_u32_e64 s25, v75, v137
	s_and_saveexec_b32 s26, s25
	s_cbranch_execz .LBB419_497
.LBB419_569:                            ;   in Loop: Header=BB419_418 Depth=2
	ds_load_u8 v62, v2 offset:2816
	s_wait_dscnt 0x0
	v_and_b32_e32 v63, 0xff, v62
	v_xor_b32_e32 v62, 0x80, v62
	s_delay_alu instid0(VALU_DEP_2) | instskip(NEXT) | instid1(VALU_DEP_1)
	v_lshrrev_b32_e32 v63, s48, v63
	v_and_b32_e32 v63, s58, v63
	s_delay_alu instid0(VALU_DEP_1)
	v_lshlrev_b32_e32 v63, 2, v63
	ds_load_b32 v63, v63
	s_wait_dscnt 0x0
	v_add_nc_u32_e32 v63, v63, v75
	global_store_b8 v63, v62, s[40:41]
	s_wait_xcnt 0x0
	s_or_b32 exec_lo, exec_lo, s26
	v_cmp_lt_u32_e64 s26, v76, v137
	s_and_saveexec_b32 s27, s26
	s_cbranch_execz .LBB419_498
.LBB419_570:                            ;   in Loop: Header=BB419_418 Depth=2
	ds_load_u8 v62, v2 offset:3072
	s_wait_dscnt 0x0
	v_and_b32_e32 v63, 0xff, v62
	v_xor_b32_e32 v62, 0x80, v62
	s_delay_alu instid0(VALU_DEP_2) | instskip(NEXT) | instid1(VALU_DEP_1)
	v_lshrrev_b32_e32 v63, s48, v63
	v_and_b32_e32 v63, s58, v63
	s_delay_alu instid0(VALU_DEP_1)
	v_lshlrev_b32_e32 v63, 2, v63
	ds_load_b32 v63, v63
	s_wait_dscnt 0x0
	v_add_nc_u32_e32 v63, v63, v76
	global_store_b8 v63, v62, s[40:41]
	s_wait_xcnt 0x0
	s_or_b32 exec_lo, exec_lo, s27
	v_cmp_lt_u32_e64 s27, v77, v137
	s_and_saveexec_b32 s28, s27
	s_cbranch_execz .LBB419_499
.LBB419_571:                            ;   in Loop: Header=BB419_418 Depth=2
	ds_load_u8 v62, v2 offset:3328
	s_wait_dscnt 0x0
	v_and_b32_e32 v63, 0xff, v62
	v_xor_b32_e32 v62, 0x80, v62
	s_delay_alu instid0(VALU_DEP_2) | instskip(NEXT) | instid1(VALU_DEP_1)
	v_lshrrev_b32_e32 v63, s48, v63
	v_and_b32_e32 v63, s58, v63
	s_delay_alu instid0(VALU_DEP_1)
	v_lshlrev_b32_e32 v63, 2, v63
	ds_load_b32 v63, v63
	s_wait_dscnt 0x0
	v_add_nc_u32_e32 v63, v63, v77
	global_store_b8 v63, v62, s[40:41]
	s_wait_xcnt 0x0
	s_or_b32 exec_lo, exec_lo, s28
	v_cmp_lt_u32_e64 s28, v78, v137
	s_and_saveexec_b32 s29, s28
	s_cbranch_execz .LBB419_500
.LBB419_572:                            ;   in Loop: Header=BB419_418 Depth=2
	ds_load_u8 v62, v2 offset:3584
	s_wait_dscnt 0x0
	v_and_b32_e32 v63, 0xff, v62
	v_xor_b32_e32 v62, 0x80, v62
	s_delay_alu instid0(VALU_DEP_2) | instskip(NEXT) | instid1(VALU_DEP_1)
	v_lshrrev_b32_e32 v63, s48, v63
	v_and_b32_e32 v63, s58, v63
	s_delay_alu instid0(VALU_DEP_1)
	v_lshlrev_b32_e32 v63, 2, v63
	ds_load_b32 v63, v63
	s_wait_dscnt 0x0
	v_add_nc_u32_e32 v63, v63, v78
	global_store_b8 v63, v62, s[40:41]
	s_wait_xcnt 0x0
	s_or_b32 exec_lo, exec_lo, s29
	v_cmp_lt_u32_e64 s29, v79, v137
	s_and_saveexec_b32 s30, s29
	s_cbranch_execz .LBB419_501
.LBB419_573:                            ;   in Loop: Header=BB419_418 Depth=2
	ds_load_u8 v62, v2 offset:3840
	s_wait_dscnt 0x0
	v_and_b32_e32 v63, 0xff, v62
	v_xor_b32_e32 v62, 0x80, v62
	s_delay_alu instid0(VALU_DEP_2) | instskip(NEXT) | instid1(VALU_DEP_1)
	v_lshrrev_b32_e32 v63, s48, v63
	v_and_b32_e32 v63, s58, v63
	s_delay_alu instid0(VALU_DEP_1)
	v_lshlrev_b32_e32 v63, 2, v63
	ds_load_b32 v63, v63
	s_wait_dscnt 0x0
	v_add_nc_u32_e32 v63, v63, v79
	global_store_b8 v63, v62, s[40:41]
	s_wait_xcnt 0x0
	s_or_b32 exec_lo, exec_lo, s30
	v_cmp_lt_u32_e64 s30, v80, v137
	s_and_saveexec_b32 s31, s30
	s_cbranch_execz .LBB419_502
.LBB419_574:                            ;   in Loop: Header=BB419_418 Depth=2
	ds_load_u8 v62, v2 offset:4096
	s_wait_dscnt 0x0
	v_and_b32_e32 v63, 0xff, v62
	v_xor_b32_e32 v62, 0x80, v62
	s_delay_alu instid0(VALU_DEP_2) | instskip(NEXT) | instid1(VALU_DEP_1)
	v_lshrrev_b32_e32 v63, s48, v63
	v_and_b32_e32 v63, s58, v63
	s_delay_alu instid0(VALU_DEP_1)
	v_lshlrev_b32_e32 v63, 2, v63
	ds_load_b32 v63, v63
	s_wait_dscnt 0x0
	v_add_nc_u32_e32 v63, v63, v80
	global_store_b8 v63, v62, s[40:41]
	s_wait_xcnt 0x0
	s_or_b32 exec_lo, exec_lo, s31
	v_cmp_lt_u32_e64 s31, v81, v137
	s_and_saveexec_b32 s33, s31
	s_cbranch_execz .LBB419_503
.LBB419_575:                            ;   in Loop: Header=BB419_418 Depth=2
	ds_load_u8 v62, v2 offset:4352
	s_wait_dscnt 0x0
	v_and_b32_e32 v63, 0xff, v62
	v_xor_b32_e32 v62, 0x80, v62
	s_delay_alu instid0(VALU_DEP_2) | instskip(NEXT) | instid1(VALU_DEP_1)
	v_lshrrev_b32_e32 v63, s48, v63
	v_and_b32_e32 v63, s58, v63
	s_delay_alu instid0(VALU_DEP_1)
	v_lshlrev_b32_e32 v63, 2, v63
	ds_load_b32 v63, v63
	s_wait_dscnt 0x0
	v_add_nc_u32_e32 v63, v63, v81
	global_store_b8 v63, v62, s[40:41]
	s_wait_xcnt 0x0
	s_or_b32 exec_lo, exec_lo, s33
	v_cmp_lt_u32_e64 s33, v82, v137
	s_and_saveexec_b32 s61, s33
	s_cbranch_execnz .LBB419_504
	s_branch .LBB419_505
.LBB419_576:                            ;   in Loop: Header=BB419_418 Depth=2
	global_load_b64 v[60:61], v[62:63], off
	s_wait_xcnt 0x0
	s_or_b32 exec_lo, exec_lo, s34
	s_delay_alu instid0(SALU_CYCLE_1)
	s_mov_b32 s61, exec_lo
	v_cmpx_lt_u32_e64 v98, v137
	s_cbranch_execz .LBB419_507
.LBB419_577:                            ;   in Loop: Header=BB419_418 Depth=2
	global_load_b64 v[58:59], v[62:63], off offset:256
	s_wait_xcnt 0x0
	s_or_b32 exec_lo, exec_lo, s61
	s_delay_alu instid0(SALU_CYCLE_1)
	s_mov_b32 s61, exec_lo
	v_cmpx_lt_u32_e64 v99, v137
	s_cbranch_execz .LBB419_508
.LBB419_578:                            ;   in Loop: Header=BB419_418 Depth=2
	global_load_b64 v[56:57], v[62:63], off offset:512
	s_wait_xcnt 0x0
	s_or_b32 exec_lo, exec_lo, s61
	s_delay_alu instid0(SALU_CYCLE_1)
	s_mov_b32 s61, exec_lo
	v_cmpx_lt_u32_e64 v100, v137
	s_cbranch_execz .LBB419_509
.LBB419_579:                            ;   in Loop: Header=BB419_418 Depth=2
	global_load_b64 v[54:55], v[62:63], off offset:768
	s_wait_xcnt 0x0
	s_or_b32 exec_lo, exec_lo, s61
	s_delay_alu instid0(SALU_CYCLE_1)
	s_mov_b32 s61, exec_lo
	v_cmpx_lt_u32_e64 v101, v137
	s_cbranch_execz .LBB419_510
.LBB419_580:                            ;   in Loop: Header=BB419_418 Depth=2
	global_load_b64 v[52:53], v[62:63], off offset:1024
	s_wait_xcnt 0x0
	s_or_b32 exec_lo, exec_lo, s61
	s_delay_alu instid0(SALU_CYCLE_1)
	s_mov_b32 s61, exec_lo
	v_cmpx_lt_u32_e64 v102, v137
	s_cbranch_execz .LBB419_511
.LBB419_581:                            ;   in Loop: Header=BB419_418 Depth=2
	global_load_b64 v[50:51], v[62:63], off offset:1280
	s_wait_xcnt 0x0
	s_or_b32 exec_lo, exec_lo, s61
	s_delay_alu instid0(SALU_CYCLE_1)
	s_mov_b32 s61, exec_lo
	v_cmpx_lt_u32_e64 v103, v137
	s_cbranch_execz .LBB419_512
.LBB419_582:                            ;   in Loop: Header=BB419_418 Depth=2
	global_load_b64 v[48:49], v[62:63], off offset:1536
	s_wait_xcnt 0x0
	s_or_b32 exec_lo, exec_lo, s61
	s_delay_alu instid0(SALU_CYCLE_1)
	s_mov_b32 s61, exec_lo
	v_cmpx_lt_u32_e64 v104, v137
	s_cbranch_execz .LBB419_513
.LBB419_583:                            ;   in Loop: Header=BB419_418 Depth=2
	global_load_b64 v[46:47], v[62:63], off offset:1792
	s_wait_xcnt 0x0
	s_or_b32 exec_lo, exec_lo, s61
	s_delay_alu instid0(SALU_CYCLE_1)
	s_mov_b32 s61, exec_lo
	v_cmpx_lt_u32_e64 v105, v137
	s_cbranch_execz .LBB419_514
.LBB419_584:                            ;   in Loop: Header=BB419_418 Depth=2
	global_load_b64 v[44:45], v[62:63], off offset:2048
	s_wait_xcnt 0x0
	s_or_b32 exec_lo, exec_lo, s61
	s_delay_alu instid0(SALU_CYCLE_1)
	s_mov_b32 s61, exec_lo
	v_cmpx_lt_u32_e64 v106, v137
	s_cbranch_execz .LBB419_515
.LBB419_585:                            ;   in Loop: Header=BB419_418 Depth=2
	global_load_b64 v[42:43], v[62:63], off offset:2304
	s_wait_xcnt 0x0
	s_or_b32 exec_lo, exec_lo, s61
	s_delay_alu instid0(SALU_CYCLE_1)
	s_mov_b32 s61, exec_lo
	v_cmpx_lt_u32_e64 v107, v137
	s_cbranch_execz .LBB419_516
.LBB419_586:                            ;   in Loop: Header=BB419_418 Depth=2
	global_load_b64 v[40:41], v[62:63], off offset:2560
	s_wait_xcnt 0x0
	s_or_b32 exec_lo, exec_lo, s61
	s_delay_alu instid0(SALU_CYCLE_1)
	s_mov_b32 s61, exec_lo
	v_cmpx_lt_u32_e64 v108, v137
	s_cbranch_execz .LBB419_517
.LBB419_587:                            ;   in Loop: Header=BB419_418 Depth=2
	global_load_b64 v[38:39], v[62:63], off offset:2816
	s_wait_xcnt 0x0
	s_or_b32 exec_lo, exec_lo, s61
	s_delay_alu instid0(SALU_CYCLE_1)
	s_mov_b32 s61, exec_lo
	v_cmpx_lt_u32_e64 v109, v137
	s_cbranch_execz .LBB419_518
.LBB419_588:                            ;   in Loop: Header=BB419_418 Depth=2
	global_load_b64 v[36:37], v[62:63], off offset:3072
	s_wait_xcnt 0x0
	s_or_b32 exec_lo, exec_lo, s61
	s_delay_alu instid0(SALU_CYCLE_1)
	s_mov_b32 s61, exec_lo
	v_cmpx_lt_u32_e64 v110, v137
	s_cbranch_execz .LBB419_519
.LBB419_589:                            ;   in Loop: Header=BB419_418 Depth=2
	global_load_b64 v[34:35], v[62:63], off offset:3328
	s_wait_xcnt 0x0
	s_or_b32 exec_lo, exec_lo, s61
	s_delay_alu instid0(SALU_CYCLE_1)
	s_mov_b32 s61, exec_lo
	v_cmpx_lt_u32_e64 v111, v137
	s_cbranch_execz .LBB419_520
.LBB419_590:                            ;   in Loop: Header=BB419_418 Depth=2
	global_load_b64 v[32:33], v[62:63], off offset:3584
	s_wait_xcnt 0x0
	s_or_b32 exec_lo, exec_lo, s61
	s_delay_alu instid0(SALU_CYCLE_1)
	s_mov_b32 s61, exec_lo
	v_cmpx_lt_u32_e64 v112, v137
	s_cbranch_execz .LBB419_521
.LBB419_591:                            ;   in Loop: Header=BB419_418 Depth=2
	global_load_b64 v[30:31], v[62:63], off offset:3840
	s_wait_xcnt 0x0
	s_or_b32 exec_lo, exec_lo, s61
	s_delay_alu instid0(SALU_CYCLE_1)
	s_mov_b32 s61, exec_lo
	v_cmpx_lt_u32_e64 v113, v137
	s_cbranch_execz .LBB419_522
.LBB419_592:                            ;   in Loop: Header=BB419_418 Depth=2
	global_load_b64 v[28:29], v[62:63], off offset:4096
	s_wait_xcnt 0x0
	s_or_b32 exec_lo, exec_lo, s61
	s_and_saveexec_b32 s34, vcc_lo
	s_cbranch_execz .LBB419_523
.LBB419_593:                            ;   in Loop: Header=BB419_418 Depth=2
	ds_load_u8 v62, v2 offset:512
	s_wait_dscnt 0x0
	v_lshrrev_b32_e32 v62, s48, v62
	s_delay_alu instid0(VALU_DEP_1)
	v_and_b32_e32 v132, s58, v62
	s_or_b32 exec_lo, exec_lo, s34
	s_and_saveexec_b32 s34, s17
	s_cbranch_execz .LBB419_524
.LBB419_594:                            ;   in Loop: Header=BB419_418 Depth=2
	ds_load_u8 v62, v2 offset:768
	s_wait_dscnt 0x0
	v_lshrrev_b32_e32 v62, s48, v62
	s_delay_alu instid0(VALU_DEP_1)
	v_and_b32_e32 v131, s58, v62
	s_or_b32 exec_lo, exec_lo, s34
	s_and_saveexec_b32 s34, s18
	s_cbranch_execz .LBB419_525
.LBB419_595:                            ;   in Loop: Header=BB419_418 Depth=2
	ds_load_u8 v62, v2 offset:1024
	s_wait_dscnt 0x0
	v_lshrrev_b32_e32 v62, s48, v62
	s_delay_alu instid0(VALU_DEP_1)
	v_and_b32_e32 v130, s58, v62
	s_or_b32 exec_lo, exec_lo, s34
	s_and_saveexec_b32 s34, s19
	s_cbranch_execz .LBB419_526
.LBB419_596:                            ;   in Loop: Header=BB419_418 Depth=2
	ds_load_u8 v62, v2 offset:1280
	s_wait_dscnt 0x0
	v_lshrrev_b32_e32 v62, s48, v62
	s_delay_alu instid0(VALU_DEP_1)
	v_and_b32_e32 v129, s58, v62
	s_or_b32 exec_lo, exec_lo, s34
	s_and_saveexec_b32 s34, s20
	s_cbranch_execz .LBB419_527
.LBB419_597:                            ;   in Loop: Header=BB419_418 Depth=2
	ds_load_u8 v62, v2 offset:1536
	s_wait_dscnt 0x0
	v_lshrrev_b32_e32 v62, s48, v62
	s_delay_alu instid0(VALU_DEP_1)
	v_and_b32_e32 v128, s58, v62
	s_or_b32 exec_lo, exec_lo, s34
	s_and_saveexec_b32 s34, s21
	s_cbranch_execz .LBB419_528
.LBB419_598:                            ;   in Loop: Header=BB419_418 Depth=2
	ds_load_u8 v62, v2 offset:1792
	s_wait_dscnt 0x0
	v_lshrrev_b32_e32 v62, s48, v62
	s_delay_alu instid0(VALU_DEP_1)
	v_and_b32_e32 v127, s58, v62
	s_or_b32 exec_lo, exec_lo, s34
	s_and_saveexec_b32 s34, s22
	s_cbranch_execz .LBB419_529
.LBB419_599:                            ;   in Loop: Header=BB419_418 Depth=2
	ds_load_u8 v62, v2 offset:2048
	s_wait_dscnt 0x0
	v_lshrrev_b32_e32 v62, s48, v62
	s_delay_alu instid0(VALU_DEP_1)
	v_and_b32_e32 v126, s58, v62
	s_or_b32 exec_lo, exec_lo, s34
	s_and_saveexec_b32 s34, s23
	s_cbranch_execz .LBB419_530
.LBB419_600:                            ;   in Loop: Header=BB419_418 Depth=2
	ds_load_u8 v62, v2 offset:2304
	s_wait_dscnt 0x0
	v_lshrrev_b32_e32 v62, s48, v62
	s_delay_alu instid0(VALU_DEP_1)
	v_and_b32_e32 v125, s58, v62
	s_or_b32 exec_lo, exec_lo, s34
	s_and_saveexec_b32 s34, s24
	s_cbranch_execz .LBB419_531
.LBB419_601:                            ;   in Loop: Header=BB419_418 Depth=2
	ds_load_u8 v62, v2 offset:2560
	s_wait_dscnt 0x0
	v_lshrrev_b32_e32 v62, s48, v62
	s_delay_alu instid0(VALU_DEP_1)
	v_and_b32_e32 v124, s58, v62
	s_or_b32 exec_lo, exec_lo, s34
	s_and_saveexec_b32 s34, s25
	s_cbranch_execz .LBB419_532
.LBB419_602:                            ;   in Loop: Header=BB419_418 Depth=2
	ds_load_u8 v62, v2 offset:2816
	s_wait_dscnt 0x0
	v_lshrrev_b32_e32 v62, s48, v62
	s_delay_alu instid0(VALU_DEP_1)
	v_and_b32_e32 v123, s58, v62
	s_or_b32 exec_lo, exec_lo, s34
	s_and_saveexec_b32 s34, s26
	s_cbranch_execz .LBB419_533
.LBB419_603:                            ;   in Loop: Header=BB419_418 Depth=2
	ds_load_u8 v62, v2 offset:3072
	s_wait_dscnt 0x0
	v_lshrrev_b32_e32 v62, s48, v62
	s_delay_alu instid0(VALU_DEP_1)
	v_and_b32_e32 v122, s58, v62
	s_or_b32 exec_lo, exec_lo, s34
	s_and_saveexec_b32 s34, s27
	s_cbranch_execz .LBB419_534
.LBB419_604:                            ;   in Loop: Header=BB419_418 Depth=2
	ds_load_u8 v62, v2 offset:3328
	s_wait_dscnt 0x0
	v_lshrrev_b32_e32 v62, s48, v62
	s_delay_alu instid0(VALU_DEP_1)
	v_and_b32_e32 v121, s58, v62
	s_or_b32 exec_lo, exec_lo, s34
	s_and_saveexec_b32 s34, s28
	s_cbranch_execz .LBB419_535
.LBB419_605:                            ;   in Loop: Header=BB419_418 Depth=2
	ds_load_u8 v62, v2 offset:3584
	s_wait_dscnt 0x0
	v_lshrrev_b32_e32 v62, s48, v62
	s_delay_alu instid0(VALU_DEP_1)
	v_and_b32_e32 v120, s58, v62
	s_or_b32 exec_lo, exec_lo, s34
	s_and_saveexec_b32 s34, s29
	s_cbranch_execz .LBB419_536
.LBB419_606:                            ;   in Loop: Header=BB419_418 Depth=2
	ds_load_u8 v62, v2 offset:3840
	s_wait_dscnt 0x0
	v_lshrrev_b32_e32 v62, s48, v62
	s_delay_alu instid0(VALU_DEP_1)
	v_and_b32_e32 v119, s58, v62
	s_or_b32 exec_lo, exec_lo, s34
	s_and_saveexec_b32 s34, s30
	s_cbranch_execz .LBB419_537
.LBB419_607:                            ;   in Loop: Header=BB419_418 Depth=2
	ds_load_u8 v62, v2 offset:4096
	s_wait_dscnt 0x0
	v_lshrrev_b32_e32 v62, s48, v62
	s_delay_alu instid0(VALU_DEP_1)
	v_and_b32_e32 v118, s58, v62
	s_or_b32 exec_lo, exec_lo, s34
	s_and_saveexec_b32 s34, s31
	s_cbranch_execz .LBB419_538
.LBB419_608:                            ;   in Loop: Header=BB419_418 Depth=2
	ds_load_u8 v62, v2 offset:4352
	s_wait_dscnt 0x0
	v_lshrrev_b32_e32 v62, s48, v62
	s_delay_alu instid0(VALU_DEP_1)
	v_and_b32_e32 v117, s58, v62
	s_or_b32 exec_lo, exec_lo, s34
	s_and_saveexec_b32 s34, s33
	s_cbranch_execnz .LBB419_539
	s_branch .LBB419_540
.LBB419_609:                            ;   in Loop: Header=BB419_418 Depth=2
	v_dual_lshlrev_b32 v62, 2, v132 :: v_dual_add_nc_u32 v63, v2, v95
	ds_load_b32 v64, v62
	ds_load_b64 v[62:63], v63 offset:512
	s_wait_dscnt 0x1
	v_add_nc_u32_e32 v64, v64, v2
	s_wait_dscnt 0x0
	global_store_b64 v64, v[62:63], s[46:47] scale_offset
	s_wait_xcnt 0x0
	s_or_b32 exec_lo, exec_lo, s34
	s_and_saveexec_b32 s34, s17
	s_cbranch_execz .LBB419_542
.LBB419_610:                            ;   in Loop: Header=BB419_418 Depth=2
	v_lshlrev_b32_e32 v62, 2, v131
	v_add_nc_u32_e32 v63, v2, v95
	ds_load_b32 v64, v62
	ds_load_b64 v[62:63], v63 offset:2560
	s_wait_dscnt 0x1
	v_add_nc_u32_e32 v64, v64, v67
	s_wait_dscnt 0x0
	global_store_b64 v64, v[62:63], s[46:47] scale_offset
	s_wait_xcnt 0x0
	s_or_b32 exec_lo, exec_lo, s34
	s_and_saveexec_b32 s17, s18
	s_cbranch_execz .LBB419_543
.LBB419_611:                            ;   in Loop: Header=BB419_418 Depth=2
	v_dual_lshlrev_b32 v62, 2, v130 :: v_dual_add_nc_u32 v63, v2, v95
	ds_load_b32 v64, v62
	ds_load_b64 v[62:63], v63 offset:4608
	s_wait_dscnt 0x1
	v_add_nc_u32_e32 v64, v64, v68
	s_wait_dscnt 0x0
	global_store_b64 v64, v[62:63], s[46:47] scale_offset
	s_wait_xcnt 0x0
	s_or_b32 exec_lo, exec_lo, s17
	s_and_saveexec_b32 s17, s19
	s_cbranch_execz .LBB419_544
.LBB419_612:                            ;   in Loop: Header=BB419_418 Depth=2
	v_dual_lshlrev_b32 v62, 2, v129 :: v_dual_add_nc_u32 v63, v2, v95
	ds_load_b32 v64, v62
	ds_load_b64 v[62:63], v63 offset:6656
	s_wait_dscnt 0x1
	v_add_nc_u32_e32 v64, v64, v69
	s_wait_dscnt 0x0
	global_store_b64 v64, v[62:63], s[46:47] scale_offset
	s_wait_xcnt 0x0
	s_or_b32 exec_lo, exec_lo, s17
	s_and_saveexec_b32 s17, s20
	s_cbranch_execz .LBB419_545
.LBB419_613:                            ;   in Loop: Header=BB419_418 Depth=2
	v_dual_lshlrev_b32 v62, 2, v128 :: v_dual_add_nc_u32 v63, v2, v95
	ds_load_b32 v64, v62
	ds_load_b64 v[62:63], v63 offset:8704
	s_wait_dscnt 0x1
	v_add_nc_u32_e32 v64, v64, v70
	s_wait_dscnt 0x0
	global_store_b64 v64, v[62:63], s[46:47] scale_offset
	s_wait_xcnt 0x0
	s_or_b32 exec_lo, exec_lo, s17
	s_and_saveexec_b32 s17, s21
	s_cbranch_execz .LBB419_546
.LBB419_614:                            ;   in Loop: Header=BB419_418 Depth=2
	v_lshlrev_b32_e32 v62, 2, v127
	v_add_nc_u32_e32 v63, v2, v95
	ds_load_b32 v64, v62
	ds_load_b64 v[62:63], v63 offset:10752
	s_wait_dscnt 0x1
	v_add_nc_u32_e32 v64, v64, v71
	s_wait_dscnt 0x0
	global_store_b64 v64, v[62:63], s[46:47] scale_offset
	s_wait_xcnt 0x0
	s_or_b32 exec_lo, exec_lo, s17
	s_and_saveexec_b32 s17, s22
	s_cbranch_execz .LBB419_547
.LBB419_615:                            ;   in Loop: Header=BB419_418 Depth=2
	v_dual_lshlrev_b32 v62, 2, v126 :: v_dual_add_nc_u32 v63, v2, v95
	ds_load_b32 v64, v62
	ds_load_b64 v[62:63], v63 offset:12800
	s_wait_dscnt 0x1
	v_add_nc_u32_e32 v64, v64, v72
	s_wait_dscnt 0x0
	global_store_b64 v64, v[62:63], s[46:47] scale_offset
	s_wait_xcnt 0x0
	s_or_b32 exec_lo, exec_lo, s17
	s_and_saveexec_b32 s17, s23
	s_cbranch_execz .LBB419_548
.LBB419_616:                            ;   in Loop: Header=BB419_418 Depth=2
	v_dual_lshlrev_b32 v62, 2, v125 :: v_dual_add_nc_u32 v63, v2, v95
	ds_load_b32 v64, v62
	ds_load_b64 v[62:63], v63 offset:14848
	s_wait_dscnt 0x1
	v_add_nc_u32_e32 v64, v64, v73
	s_wait_dscnt 0x0
	global_store_b64 v64, v[62:63], s[46:47] scale_offset
	s_wait_xcnt 0x0
	s_or_b32 exec_lo, exec_lo, s17
	s_and_saveexec_b32 s17, s24
	s_cbranch_execz .LBB419_549
.LBB419_617:                            ;   in Loop: Header=BB419_418 Depth=2
	v_dual_lshlrev_b32 v62, 2, v124 :: v_dual_add_nc_u32 v63, v2, v95
	ds_load_b32 v64, v62
	ds_load_b64 v[62:63], v63 offset:16896
	s_wait_dscnt 0x1
	v_add_nc_u32_e32 v64, v64, v74
	s_wait_dscnt 0x0
	global_store_b64 v64, v[62:63], s[46:47] scale_offset
	s_wait_xcnt 0x0
	s_or_b32 exec_lo, exec_lo, s17
	s_and_saveexec_b32 s17, s25
	s_cbranch_execz .LBB419_550
.LBB419_618:                            ;   in Loop: Header=BB419_418 Depth=2
	v_lshlrev_b32_e32 v62, 2, v123
	v_add_nc_u32_e32 v63, v2, v95
	ds_load_b32 v64, v62
	ds_load_b64 v[62:63], v63 offset:18944
	s_wait_dscnt 0x1
	v_add_nc_u32_e32 v64, v64, v75
	s_wait_dscnt 0x0
	global_store_b64 v64, v[62:63], s[46:47] scale_offset
	s_wait_xcnt 0x0
	s_or_b32 exec_lo, exec_lo, s17
	s_and_saveexec_b32 s17, s26
	s_cbranch_execz .LBB419_551
.LBB419_619:                            ;   in Loop: Header=BB419_418 Depth=2
	v_dual_lshlrev_b32 v62, 2, v122 :: v_dual_add_nc_u32 v63, v2, v95
	ds_load_b32 v64, v62
	ds_load_b64 v[62:63], v63 offset:20992
	s_wait_dscnt 0x1
	v_add_nc_u32_e32 v64, v64, v76
	s_wait_dscnt 0x0
	global_store_b64 v64, v[62:63], s[46:47] scale_offset
	s_wait_xcnt 0x0
	s_or_b32 exec_lo, exec_lo, s17
	s_and_saveexec_b32 s17, s27
	s_cbranch_execz .LBB419_552
.LBB419_620:                            ;   in Loop: Header=BB419_418 Depth=2
	v_dual_lshlrev_b32 v62, 2, v121 :: v_dual_add_nc_u32 v63, v2, v95
	ds_load_b32 v64, v62
	ds_load_b64 v[62:63], v63 offset:23040
	s_wait_dscnt 0x1
	v_add_nc_u32_e32 v64, v64, v77
	s_wait_dscnt 0x0
	global_store_b64 v64, v[62:63], s[46:47] scale_offset
	s_wait_xcnt 0x0
	s_or_b32 exec_lo, exec_lo, s17
	s_and_saveexec_b32 s17, s28
	s_cbranch_execz .LBB419_553
.LBB419_621:                            ;   in Loop: Header=BB419_418 Depth=2
	v_dual_lshlrev_b32 v62, 2, v120 :: v_dual_add_nc_u32 v63, v2, v95
	ds_load_b32 v64, v62
	ds_load_b64 v[62:63], v63 offset:25088
	s_wait_dscnt 0x1
	v_add_nc_u32_e32 v64, v64, v78
	s_wait_dscnt 0x0
	global_store_b64 v64, v[62:63], s[46:47] scale_offset
	s_wait_xcnt 0x0
	s_or_b32 exec_lo, exec_lo, s17
	s_and_saveexec_b32 s17, s29
	s_cbranch_execz .LBB419_554
.LBB419_622:                            ;   in Loop: Header=BB419_418 Depth=2
	v_lshlrev_b32_e32 v62, 2, v119
	v_add_nc_u32_e32 v63, v2, v95
	ds_load_b32 v64, v62
	ds_load_b64 v[62:63], v63 offset:27136
	s_wait_dscnt 0x1
	v_add_nc_u32_e32 v64, v64, v79
	s_wait_dscnt 0x0
	global_store_b64 v64, v[62:63], s[46:47] scale_offset
	s_wait_xcnt 0x0
	s_or_b32 exec_lo, exec_lo, s17
	s_and_saveexec_b32 s17, s30
	s_cbranch_execz .LBB419_555
.LBB419_623:                            ;   in Loop: Header=BB419_418 Depth=2
	v_dual_lshlrev_b32 v62, 2, v118 :: v_dual_add_nc_u32 v63, v2, v95
	ds_load_b32 v64, v62
	ds_load_b64 v[62:63], v63 offset:29184
	s_wait_dscnt 0x1
	v_add_nc_u32_e32 v64, v64, v80
	s_wait_dscnt 0x0
	global_store_b64 v64, v[62:63], s[46:47] scale_offset
	s_wait_xcnt 0x0
	s_or_b32 exec_lo, exec_lo, s17
	s_and_saveexec_b32 s17, s31
	s_cbranch_execz .LBB419_556
.LBB419_624:                            ;   in Loop: Header=BB419_418 Depth=2
	v_dual_lshlrev_b32 v62, 2, v117 :: v_dual_add_nc_u32 v63, v2, v95
	ds_load_b32 v64, v62
	ds_load_b64 v[62:63], v63 offset:31232
	s_wait_dscnt 0x1
	v_add_nc_u32_e32 v64, v64, v81
	s_wait_dscnt 0x0
	global_store_b64 v64, v[62:63], s[46:47] scale_offset
	s_wait_xcnt 0x0
	s_or_b32 exec_lo, exec_lo, s17
	s_and_saveexec_b32 s17, s33
	s_cbranch_execnz .LBB419_557
	s_branch .LBB419_558
.LBB419_625:                            ;   in Loop: Header=BB419_418 Depth=2
	global_load_u8 v147, v[62:63], off
	v_dual_mov_b32 v115, 0x7f :: v_dual_mov_b32 v150, 0x7f
	v_dual_mov_b32 v148, 0x7f :: v_dual_mov_b32 v151, 0x7f
	;; [unrolled: 1-line block ×8, first 2 shown]
	s_wait_xcnt 0x0
	s_or_b32 exec_lo, exec_lo, s17
	s_delay_alu instid0(SALU_CYCLE_1)
	s_mov_b32 s17, exec_lo
	v_cmpx_gt_u32_e64 s59, v98
	s_cbranch_execz .LBB419_423
.LBB419_626:                            ;   in Loop: Header=BB419_418 Depth=2
	global_load_u8 v150, v[62:63], off offset:32
	s_wait_xcnt 0x0
	s_or_b32 exec_lo, exec_lo, s17
	s_delay_alu instid0(SALU_CYCLE_1)
	s_mov_b32 s17, exec_lo
	v_cmpx_gt_u32_e64 s59, v99
	s_cbranch_execz .LBB419_424
.LBB419_627:                            ;   in Loop: Header=BB419_418 Depth=2
	global_load_u8 v148, v[62:63], off offset:64
	s_wait_xcnt 0x0
	s_or_b32 exec_lo, exec_lo, s17
	s_delay_alu instid0(SALU_CYCLE_1)
	s_mov_b32 s17, exec_lo
	v_cmpx_gt_u32_e64 s59, v100
	s_cbranch_execz .LBB419_425
.LBB419_628:                            ;   in Loop: Header=BB419_418 Depth=2
	global_load_u8 v151, v[62:63], off offset:96
	s_wait_xcnt 0x0
	s_or_b32 exec_lo, exec_lo, s17
	s_delay_alu instid0(SALU_CYCLE_1)
	s_mov_b32 s17, exec_lo
	v_cmpx_gt_u32_e64 s59, v101
	s_cbranch_execz .LBB419_426
.LBB419_629:                            ;   in Loop: Header=BB419_418 Depth=2
	global_load_u8 v142, v[62:63], off offset:128
	s_wait_xcnt 0x0
	s_or_b32 exec_lo, exec_lo, s17
	s_delay_alu instid0(SALU_CYCLE_1)
	s_mov_b32 s17, exec_lo
	v_cmpx_gt_u32_e64 s59, v102
	s_cbranch_execz .LBB419_427
.LBB419_630:                            ;   in Loop: Header=BB419_418 Depth=2
	global_load_u8 v145, v[62:63], off offset:160
	s_wait_xcnt 0x0
	s_or_b32 exec_lo, exec_lo, s17
	s_delay_alu instid0(SALU_CYCLE_1)
	s_mov_b32 s17, exec_lo
	v_cmpx_gt_u32_e64 s59, v103
	s_cbranch_execz .LBB419_428
.LBB419_631:                            ;   in Loop: Header=BB419_418 Depth=2
	global_load_u8 v143, v[62:63], off offset:192
	s_wait_xcnt 0x0
	s_or_b32 exec_lo, exec_lo, s17
	s_delay_alu instid0(SALU_CYCLE_1)
	s_mov_b32 s17, exec_lo
	v_cmpx_gt_u32_e64 s59, v104
	s_cbranch_execz .LBB419_429
.LBB419_632:                            ;   in Loop: Header=BB419_418 Depth=2
	global_load_u8 v144, v[62:63], off offset:224
	s_wait_xcnt 0x0
	s_or_b32 exec_lo, exec_lo, s17
	s_delay_alu instid0(SALU_CYCLE_1)
	s_mov_b32 s17, exec_lo
	v_cmpx_gt_u32_e64 s59, v105
	s_cbranch_execz .LBB419_430
.LBB419_633:                            ;   in Loop: Header=BB419_418 Depth=2
	global_load_u8 v138, v[62:63], off offset:256
	s_wait_xcnt 0x0
	s_or_b32 exec_lo, exec_lo, s17
	s_delay_alu instid0(SALU_CYCLE_1)
	s_mov_b32 s17, exec_lo
	v_cmpx_gt_u32_e64 s59, v106
	s_cbranch_execz .LBB419_431
.LBB419_634:                            ;   in Loop: Header=BB419_418 Depth=2
	global_load_u8 v141, v[62:63], off offset:288
	s_wait_xcnt 0x0
	s_or_b32 exec_lo, exec_lo, s17
	s_delay_alu instid0(SALU_CYCLE_1)
	s_mov_b32 s17, exec_lo
	v_cmpx_gt_u32_e64 s59, v107
	s_cbranch_execz .LBB419_432
.LBB419_635:                            ;   in Loop: Header=BB419_418 Depth=2
	global_load_u8 v139, v[62:63], off offset:320
	s_wait_xcnt 0x0
	s_or_b32 exec_lo, exec_lo, s17
	s_delay_alu instid0(SALU_CYCLE_1)
	s_mov_b32 s17, exec_lo
	v_cmpx_gt_u32_e64 s59, v108
	s_cbranch_execz .LBB419_433
.LBB419_636:                            ;   in Loop: Header=BB419_418 Depth=2
	global_load_u8 v140, v[62:63], off offset:352
	s_wait_xcnt 0x0
	s_or_b32 exec_lo, exec_lo, s17
	s_delay_alu instid0(SALU_CYCLE_1)
	s_mov_b32 s17, exec_lo
	v_cmpx_gt_u32_e64 s59, v109
	s_cbranch_execz .LBB419_434
.LBB419_637:                            ;   in Loop: Header=BB419_418 Depth=2
	global_load_u8 v64, v[62:63], off offset:384
	s_wait_xcnt 0x0
	s_or_b32 exec_lo, exec_lo, s17
	s_delay_alu instid0(SALU_CYCLE_1)
	s_mov_b32 s17, exec_lo
	v_cmpx_gt_u32_e64 s59, v110
	s_cbranch_execz .LBB419_435
.LBB419_638:                            ;   in Loop: Header=BB419_418 Depth=2
	global_load_u8 v136, v[62:63], off offset:416
	s_wait_xcnt 0x0
	s_or_b32 exec_lo, exec_lo, s17
	s_delay_alu instid0(SALU_CYCLE_1)
	s_mov_b32 s17, exec_lo
	v_cmpx_gt_u32_e64 s59, v111
	s_cbranch_execz .LBB419_436
.LBB419_639:                            ;   in Loop: Header=BB419_418 Depth=2
	global_load_u8 v65, v[62:63], off offset:448
	s_wait_xcnt 0x0
	s_or_b32 exec_lo, exec_lo, s17
	s_delay_alu instid0(SALU_CYCLE_1)
	s_mov_b32 s17, exec_lo
	v_cmpx_gt_u32_e64 s59, v112
	s_cbranch_execnz .LBB419_437
	s_branch .LBB419_438
.LBB419_640:                            ;   in Loop: Header=BB419_20 Depth=1
	s_wait_dscnt 0x0
	s_barrier_signal -1
	s_barrier_wait -1
.LBB419_641:                            ;   in Loop: Header=BB419_20 Depth=1
	s_mov_b32 s8, 0
.LBB419_642:                            ;   in Loop: Header=BB419_20 Depth=1
	s_delay_alu instid0(SALU_CYCLE_1)
	s_and_not1_b32 vcc_lo, exec_lo, s8
	s_cbranch_vccnz .LBB419_19
; %bb.643:                              ;   in Loop: Header=BB419_20 Depth=1
	s_and_b32 vcc_lo, exec_lo, s56
	s_mov_b32 s8, -1
	s_cbranch_vccz .LBB419_953
; %bb.644:                              ;   in Loop: Header=BB419_20 Depth=1
	v_dual_mov_b32 v39, 0 :: v_dual_mov_b32 v42, 0
	v_dual_mov_b32 v41, 0 :: v_dual_mov_b32 v40, 0
	;; [unrolled: 1-line block ×8, first 2 shown]
	v_mov_b32_e32 v26, 0
	s_mov_b32 s8, s57
	s_mov_b32 s34, s55
	s_barrier_signal -1
	s_barrier_wait -1
	s_branch .LBB419_646
.LBB419_645:                            ;   in Loop: Header=BB419_646 Depth=2
	s_or_b32 exec_lo, exec_lo, s10
	s_addk_co_i32 s8, 0xef00
	s_cmp_ge_u32 s9, s54
	s_mov_b32 s34, s9
	s_cbranch_scc1 .LBB419_718
.LBB419_646:                            ;   Parent Loop BB419_20 Depth=1
                                        ; =>  This Inner Loop Header: Depth=2
	s_add_co_i32 s9, s34, 0x1100
	s_mov_b32 s10, -1
	s_cmp_gt_u32 s9, s54
                                        ; implicit-def: $vgpr24
                                        ; implicit-def: $vgpr25
                                        ; implicit-def: $vgpr43
                                        ; implicit-def: $vgpr44
                                        ; implicit-def: $vgpr45
                                        ; implicit-def: $vgpr46
                                        ; implicit-def: $vgpr47
                                        ; implicit-def: $vgpr48
                                        ; implicit-def: $vgpr49
                                        ; implicit-def: $vgpr50
                                        ; implicit-def: $vgpr51
                                        ; implicit-def: $vgpr52
                                        ; implicit-def: $vgpr53
                                        ; implicit-def: $vgpr54
                                        ; implicit-def: $vgpr55
                                        ; implicit-def: $vgpr56
                                        ; implicit-def: $vgpr57
	s_cbranch_scc1 .LBB419_648
; %bb.647:                              ;   in Loop: Header=BB419_646 Depth=2
	v_add_nc_u64_e32 v[58:59], s[34:35], v[18:19]
	s_mov_b32 s10, 0
	s_clause 0x10
	global_load_u8 v57, v[58:59], off offset:4096
	global_load_u8 v56, v[58:59], off offset:3840
	;; [unrolled: 1-line block ×16, first 2 shown]
	global_load_u8 v24, v[58:59], off
.LBB419_648:                            ;   in Loop: Header=BB419_646 Depth=2
	s_and_not1_b32 vcc_lo, exec_lo, s10
	s_movk_i32 s10, 0x1100
	s_cbranch_vccnz .LBB419_668
; %bb.649:                              ;   in Loop: Header=BB419_646 Depth=2
	s_add_nc_u64 s[10:11], s[36:37], s[34:35]
	s_wait_loadcnt 0x0
	v_add_nc_u64_e32 v[24:25], s[10:11], v[2:3]
	s_mov_b32 s10, exec_lo
	s_wait_xcnt 0x0
	v_cmpx_gt_u32_e64 s8, v2
	s_cbranch_execnz .LBB419_702
; %bb.650:                              ;   in Loop: Header=BB419_646 Depth=2
	s_or_b32 exec_lo, exec_lo, s10
	s_delay_alu instid0(SALU_CYCLE_1)
	s_mov_b32 s10, exec_lo
	v_cmpx_gt_u32_e64 s8, v67
	s_cbranch_execnz .LBB419_703
.LBB419_651:                            ;   in Loop: Header=BB419_646 Depth=2
	s_or_b32 exec_lo, exec_lo, s10
	s_delay_alu instid0(SALU_CYCLE_1)
	s_mov_b32 s10, exec_lo
	v_cmpx_gt_u32_e64 s8, v68
	s_cbranch_execnz .LBB419_704
.LBB419_652:                            ;   in Loop: Header=BB419_646 Depth=2
	s_or_b32 exec_lo, exec_lo, s10
	s_delay_alu instid0(SALU_CYCLE_1)
	s_mov_b32 s10, exec_lo
	v_cmpx_gt_u32_e64 s8, v69
	s_cbranch_execnz .LBB419_705
.LBB419_653:                            ;   in Loop: Header=BB419_646 Depth=2
	s_or_b32 exec_lo, exec_lo, s10
	s_delay_alu instid0(SALU_CYCLE_1)
	s_mov_b32 s10, exec_lo
	v_cmpx_gt_u32_e64 s8, v70
	s_cbranch_execnz .LBB419_706
.LBB419_654:                            ;   in Loop: Header=BB419_646 Depth=2
	s_or_b32 exec_lo, exec_lo, s10
	s_delay_alu instid0(SALU_CYCLE_1)
	s_mov_b32 s10, exec_lo
	v_cmpx_gt_u32_e64 s8, v71
	s_cbranch_execnz .LBB419_707
.LBB419_655:                            ;   in Loop: Header=BB419_646 Depth=2
	s_or_b32 exec_lo, exec_lo, s10
	s_delay_alu instid0(SALU_CYCLE_1)
	s_mov_b32 s10, exec_lo
	v_cmpx_gt_u32_e64 s8, v72
	s_cbranch_execnz .LBB419_708
.LBB419_656:                            ;   in Loop: Header=BB419_646 Depth=2
	s_or_b32 exec_lo, exec_lo, s10
	s_delay_alu instid0(SALU_CYCLE_1)
	s_mov_b32 s10, exec_lo
	v_cmpx_gt_u32_e64 s8, v73
	s_cbranch_execnz .LBB419_709
.LBB419_657:                            ;   in Loop: Header=BB419_646 Depth=2
	s_or_b32 exec_lo, exec_lo, s10
	s_delay_alu instid0(SALU_CYCLE_1)
	s_mov_b32 s10, exec_lo
	v_cmpx_gt_u32_e64 s8, v74
	s_cbranch_execnz .LBB419_710
.LBB419_658:                            ;   in Loop: Header=BB419_646 Depth=2
	s_or_b32 exec_lo, exec_lo, s10
	s_delay_alu instid0(SALU_CYCLE_1)
	s_mov_b32 s10, exec_lo
	v_cmpx_gt_u32_e64 s8, v75
	s_cbranch_execnz .LBB419_711
.LBB419_659:                            ;   in Loop: Header=BB419_646 Depth=2
	s_or_b32 exec_lo, exec_lo, s10
	s_delay_alu instid0(SALU_CYCLE_1)
	s_mov_b32 s10, exec_lo
	v_cmpx_gt_u32_e64 s8, v76
	s_cbranch_execnz .LBB419_712
.LBB419_660:                            ;   in Loop: Header=BB419_646 Depth=2
	s_or_b32 exec_lo, exec_lo, s10
	s_delay_alu instid0(SALU_CYCLE_1)
	s_mov_b32 s10, exec_lo
	v_cmpx_gt_u32_e64 s8, v77
	s_cbranch_execnz .LBB419_713
.LBB419_661:                            ;   in Loop: Header=BB419_646 Depth=2
	s_or_b32 exec_lo, exec_lo, s10
	s_delay_alu instid0(SALU_CYCLE_1)
	s_mov_b32 s10, exec_lo
	v_cmpx_gt_u32_e64 s8, v78
	s_cbranch_execnz .LBB419_714
.LBB419_662:                            ;   in Loop: Header=BB419_646 Depth=2
	s_or_b32 exec_lo, exec_lo, s10
	s_delay_alu instid0(SALU_CYCLE_1)
	s_mov_b32 s10, exec_lo
	v_cmpx_gt_u32_e64 s8, v79
	s_cbranch_execnz .LBB419_715
.LBB419_663:                            ;   in Loop: Header=BB419_646 Depth=2
	s_or_b32 exec_lo, exec_lo, s10
	s_delay_alu instid0(SALU_CYCLE_1)
	s_mov_b32 s10, exec_lo
	v_cmpx_gt_u32_e64 s8, v80
	s_cbranch_execnz .LBB419_716
.LBB419_664:                            ;   in Loop: Header=BB419_646 Depth=2
	s_or_b32 exec_lo, exec_lo, s10
	s_delay_alu instid0(SALU_CYCLE_1)
	s_mov_b32 s10, exec_lo
	v_cmpx_gt_u32_e64 s8, v81
	s_cbranch_execnz .LBB419_717
.LBB419_665:                            ;   in Loop: Header=BB419_646 Depth=2
	s_or_b32 exec_lo, exec_lo, s10
	s_delay_alu instid0(SALU_CYCLE_1)
	s_mov_b32 s10, exec_lo
	v_cmpx_gt_u32_e64 s8, v82
	s_cbranch_execz .LBB419_667
.LBB419_666:                            ;   in Loop: Header=BB419_646 Depth=2
	global_load_u8 v26, v[24:25], off offset:4096
.LBB419_667:                            ;   in Loop: Header=BB419_646 Depth=2
	s_wait_xcnt 0x0
	s_or_b32 exec_lo, exec_lo, s10
	s_wait_loadcnt 0x0
	v_dual_mov_b32 v24, v39 :: v_dual_mov_b32 v25, v42
	v_dual_mov_b32 v43, v41 :: v_dual_mov_b32 v44, v40
	;; [unrolled: 1-line block ×8, first 2 shown]
	v_mov_b32_e32 v57, v26
	s_mov_b32 s10, s8
.LBB419_668:                            ;   in Loop: Header=BB419_646 Depth=2
	s_wait_loadcnt 0xf
	s_delay_alu instid0(VALU_DEP_1)
	v_dual_mov_b32 v26, v57 :: v_dual_mov_b32 v27, v56
	s_wait_loadcnt 0xd
	v_dual_mov_b32 v28, v55 :: v_dual_mov_b32 v29, v54
	s_wait_loadcnt 0xb
	;; [unrolled: 2-line block ×8, first 2 shown]
	v_mov_b32_e32 v39, v24
	s_mov_b32 s11, exec_lo
	s_wait_xcnt 0x0
	v_cmpx_gt_u32_e64 s10, v2
	s_cbranch_execnz .LBB419_685
; %bb.669:                              ;   in Loop: Header=BB419_646 Depth=2
	s_or_b32 exec_lo, exec_lo, s11
	s_delay_alu instid0(SALU_CYCLE_1)
	s_mov_b32 s11, exec_lo
	v_cmpx_gt_u32_e64 s10, v67
	s_cbranch_execnz .LBB419_686
.LBB419_670:                            ;   in Loop: Header=BB419_646 Depth=2
	s_or_b32 exec_lo, exec_lo, s11
	s_delay_alu instid0(SALU_CYCLE_1)
	s_mov_b32 s11, exec_lo
	v_cmpx_gt_u32_e64 s10, v68
	s_cbranch_execnz .LBB419_687
.LBB419_671:                            ;   in Loop: Header=BB419_646 Depth=2
	s_or_b32 exec_lo, exec_lo, s11
	s_delay_alu instid0(SALU_CYCLE_1)
	s_mov_b32 s11, exec_lo
	v_cmpx_gt_u32_e64 s10, v69
	s_cbranch_execnz .LBB419_688
.LBB419_672:                            ;   in Loop: Header=BB419_646 Depth=2
	s_or_b32 exec_lo, exec_lo, s11
	s_delay_alu instid0(SALU_CYCLE_1)
	s_mov_b32 s11, exec_lo
	v_cmpx_gt_u32_e64 s10, v70
	s_cbranch_execnz .LBB419_689
.LBB419_673:                            ;   in Loop: Header=BB419_646 Depth=2
	s_or_b32 exec_lo, exec_lo, s11
	s_delay_alu instid0(SALU_CYCLE_1)
	s_mov_b32 s11, exec_lo
	v_cmpx_gt_u32_e64 s10, v71
	s_cbranch_execnz .LBB419_690
.LBB419_674:                            ;   in Loop: Header=BB419_646 Depth=2
	s_or_b32 exec_lo, exec_lo, s11
	s_delay_alu instid0(SALU_CYCLE_1)
	s_mov_b32 s11, exec_lo
	v_cmpx_gt_u32_e64 s10, v72
	s_cbranch_execnz .LBB419_691
.LBB419_675:                            ;   in Loop: Header=BB419_646 Depth=2
	s_or_b32 exec_lo, exec_lo, s11
	s_delay_alu instid0(SALU_CYCLE_1)
	s_mov_b32 s11, exec_lo
	v_cmpx_gt_u32_e64 s10, v73
	s_cbranch_execnz .LBB419_692
.LBB419_676:                            ;   in Loop: Header=BB419_646 Depth=2
	s_or_b32 exec_lo, exec_lo, s11
	s_delay_alu instid0(SALU_CYCLE_1)
	s_mov_b32 s11, exec_lo
	v_cmpx_gt_u32_e64 s10, v74
	s_cbranch_execnz .LBB419_693
.LBB419_677:                            ;   in Loop: Header=BB419_646 Depth=2
	s_or_b32 exec_lo, exec_lo, s11
	s_delay_alu instid0(SALU_CYCLE_1)
	s_mov_b32 s11, exec_lo
	v_cmpx_gt_u32_e64 s10, v75
	s_cbranch_execnz .LBB419_694
.LBB419_678:                            ;   in Loop: Header=BB419_646 Depth=2
	s_or_b32 exec_lo, exec_lo, s11
	s_delay_alu instid0(SALU_CYCLE_1)
	s_mov_b32 s11, exec_lo
	v_cmpx_gt_u32_e64 s10, v76
	s_cbranch_execnz .LBB419_695
.LBB419_679:                            ;   in Loop: Header=BB419_646 Depth=2
	s_or_b32 exec_lo, exec_lo, s11
	s_delay_alu instid0(SALU_CYCLE_1)
	s_mov_b32 s11, exec_lo
	v_cmpx_gt_u32_e64 s10, v77
	s_cbranch_execnz .LBB419_696
.LBB419_680:                            ;   in Loop: Header=BB419_646 Depth=2
	s_or_b32 exec_lo, exec_lo, s11
	s_delay_alu instid0(SALU_CYCLE_1)
	s_mov_b32 s11, exec_lo
	v_cmpx_gt_u32_e64 s10, v78
	s_cbranch_execnz .LBB419_697
.LBB419_681:                            ;   in Loop: Header=BB419_646 Depth=2
	s_or_b32 exec_lo, exec_lo, s11
	s_delay_alu instid0(SALU_CYCLE_1)
	s_mov_b32 s11, exec_lo
	v_cmpx_gt_u32_e64 s10, v79
	s_cbranch_execnz .LBB419_698
.LBB419_682:                            ;   in Loop: Header=BB419_646 Depth=2
	s_or_b32 exec_lo, exec_lo, s11
	s_delay_alu instid0(SALU_CYCLE_1)
	s_mov_b32 s11, exec_lo
	v_cmpx_gt_u32_e64 s10, v80
	s_cbranch_execnz .LBB419_699
.LBB419_683:                            ;   in Loop: Header=BB419_646 Depth=2
	s_or_b32 exec_lo, exec_lo, s11
	s_delay_alu instid0(SALU_CYCLE_1)
	s_mov_b32 s11, exec_lo
	v_cmpx_gt_u32_e64 s10, v81
	s_cbranch_execnz .LBB419_700
.LBB419_684:                            ;   in Loop: Header=BB419_646 Depth=2
	s_or_b32 exec_lo, exec_lo, s11
	v_cmp_gt_u32_e32 vcc_lo, s10, v82
	s_and_saveexec_b32 s10, vcc_lo
	s_cbranch_execz .LBB419_645
	s_branch .LBB419_701
.LBB419_685:                            ;   in Loop: Header=BB419_646 Depth=2
	v_xor_b32_e32 v24, 0x80, v39
	s_delay_alu instid0(VALU_DEP_1) | instskip(NEXT) | instid1(VALU_DEP_1)
	v_and_b32_e32 v24, 0xff, v24
	v_lshrrev_b32_e32 v24, s49, v24
	s_delay_alu instid0(VALU_DEP_1) | instskip(NEXT) | instid1(VALU_DEP_1)
	v_and_b32_e32 v24, s58, v24
	v_lshl_or_b32 v24, v24, 4, v84
	ds_add_u32 v24, v7
	s_or_b32 exec_lo, exec_lo, s11
	s_delay_alu instid0(SALU_CYCLE_1)
	s_mov_b32 s11, exec_lo
	v_cmpx_gt_u32_e64 s10, v67
	s_cbranch_execz .LBB419_670
.LBB419_686:                            ;   in Loop: Header=BB419_646 Depth=2
	v_xor_b32_e32 v24, 0x80, v42
	s_delay_alu instid0(VALU_DEP_1) | instskip(NEXT) | instid1(VALU_DEP_1)
	v_and_b32_e32 v24, 0xff, v24
	v_lshrrev_b32_e32 v24, s49, v24
	s_delay_alu instid0(VALU_DEP_1) | instskip(NEXT) | instid1(VALU_DEP_1)
	v_and_b32_e32 v24, s58, v24
	v_lshl_or_b32 v24, v24, 4, v84
	ds_add_u32 v24, v7
	s_or_b32 exec_lo, exec_lo, s11
	s_delay_alu instid0(SALU_CYCLE_1)
	s_mov_b32 s11, exec_lo
	v_cmpx_gt_u32_e64 s10, v68
	s_cbranch_execz .LBB419_671
.LBB419_687:                            ;   in Loop: Header=BB419_646 Depth=2
	v_xor_b32_e32 v24, 0x80, v41
	s_delay_alu instid0(VALU_DEP_1) | instskip(NEXT) | instid1(VALU_DEP_1)
	v_and_b32_e32 v24, 0xff, v24
	v_lshrrev_b32_e32 v24, s49, v24
	s_delay_alu instid0(VALU_DEP_1) | instskip(NEXT) | instid1(VALU_DEP_1)
	v_and_b32_e32 v24, s58, v24
	v_lshl_or_b32 v24, v24, 4, v84
	ds_add_u32 v24, v7
	s_or_b32 exec_lo, exec_lo, s11
	s_delay_alu instid0(SALU_CYCLE_1)
	s_mov_b32 s11, exec_lo
	v_cmpx_gt_u32_e64 s10, v69
	s_cbranch_execz .LBB419_672
.LBB419_688:                            ;   in Loop: Header=BB419_646 Depth=2
	v_xor_b32_e32 v24, 0x80, v40
	s_delay_alu instid0(VALU_DEP_1) | instskip(NEXT) | instid1(VALU_DEP_1)
	v_and_b32_e32 v24, 0xff, v24
	v_lshrrev_b32_e32 v24, s49, v24
	s_delay_alu instid0(VALU_DEP_1) | instskip(NEXT) | instid1(VALU_DEP_1)
	v_and_b32_e32 v24, s58, v24
	v_lshl_or_b32 v24, v24, 4, v84
	ds_add_u32 v24, v7
	s_or_b32 exec_lo, exec_lo, s11
	s_delay_alu instid0(SALU_CYCLE_1)
	s_mov_b32 s11, exec_lo
	v_cmpx_gt_u32_e64 s10, v70
	s_cbranch_execz .LBB419_673
.LBB419_689:                            ;   in Loop: Header=BB419_646 Depth=2
	v_xor_b32_e32 v24, 0x80, v38
	s_delay_alu instid0(VALU_DEP_1) | instskip(NEXT) | instid1(VALU_DEP_1)
	v_and_b32_e32 v24, 0xff, v24
	v_lshrrev_b32_e32 v24, s49, v24
	s_delay_alu instid0(VALU_DEP_1) | instskip(NEXT) | instid1(VALU_DEP_1)
	v_and_b32_e32 v24, s58, v24
	v_lshl_or_b32 v24, v24, 4, v84
	ds_add_u32 v24, v7
	s_or_b32 exec_lo, exec_lo, s11
	s_delay_alu instid0(SALU_CYCLE_1)
	s_mov_b32 s11, exec_lo
	v_cmpx_gt_u32_e64 s10, v71
	s_cbranch_execz .LBB419_674
.LBB419_690:                            ;   in Loop: Header=BB419_646 Depth=2
	v_xor_b32_e32 v24, 0x80, v37
	s_delay_alu instid0(VALU_DEP_1) | instskip(NEXT) | instid1(VALU_DEP_1)
	v_and_b32_e32 v24, 0xff, v24
	v_lshrrev_b32_e32 v24, s49, v24
	s_delay_alu instid0(VALU_DEP_1) | instskip(NEXT) | instid1(VALU_DEP_1)
	v_and_b32_e32 v24, s58, v24
	v_lshl_or_b32 v24, v24, 4, v84
	ds_add_u32 v24, v7
	s_or_b32 exec_lo, exec_lo, s11
	s_delay_alu instid0(SALU_CYCLE_1)
	s_mov_b32 s11, exec_lo
	v_cmpx_gt_u32_e64 s10, v72
	s_cbranch_execz .LBB419_675
.LBB419_691:                            ;   in Loop: Header=BB419_646 Depth=2
	v_xor_b32_e32 v24, 0x80, v36
	s_delay_alu instid0(VALU_DEP_1) | instskip(NEXT) | instid1(VALU_DEP_1)
	v_and_b32_e32 v24, 0xff, v24
	v_lshrrev_b32_e32 v24, s49, v24
	s_delay_alu instid0(VALU_DEP_1) | instskip(NEXT) | instid1(VALU_DEP_1)
	v_and_b32_e32 v24, s58, v24
	v_lshl_or_b32 v24, v24, 4, v84
	ds_add_u32 v24, v7
	s_or_b32 exec_lo, exec_lo, s11
	s_delay_alu instid0(SALU_CYCLE_1)
	s_mov_b32 s11, exec_lo
	v_cmpx_gt_u32_e64 s10, v73
	s_cbranch_execz .LBB419_676
.LBB419_692:                            ;   in Loop: Header=BB419_646 Depth=2
	v_xor_b32_e32 v24, 0x80, v35
	s_delay_alu instid0(VALU_DEP_1) | instskip(NEXT) | instid1(VALU_DEP_1)
	v_and_b32_e32 v24, 0xff, v24
	v_lshrrev_b32_e32 v24, s49, v24
	s_delay_alu instid0(VALU_DEP_1) | instskip(NEXT) | instid1(VALU_DEP_1)
	v_and_b32_e32 v24, s58, v24
	v_lshl_or_b32 v24, v24, 4, v84
	ds_add_u32 v24, v7
	s_or_b32 exec_lo, exec_lo, s11
	s_delay_alu instid0(SALU_CYCLE_1)
	s_mov_b32 s11, exec_lo
	v_cmpx_gt_u32_e64 s10, v74
	s_cbranch_execz .LBB419_677
.LBB419_693:                            ;   in Loop: Header=BB419_646 Depth=2
	v_xor_b32_e32 v24, 0x80, v34
	s_delay_alu instid0(VALU_DEP_1) | instskip(NEXT) | instid1(VALU_DEP_1)
	v_and_b32_e32 v24, 0xff, v24
	v_lshrrev_b32_e32 v24, s49, v24
	s_delay_alu instid0(VALU_DEP_1) | instskip(NEXT) | instid1(VALU_DEP_1)
	v_and_b32_e32 v24, s58, v24
	v_lshl_or_b32 v24, v24, 4, v84
	ds_add_u32 v24, v7
	s_or_b32 exec_lo, exec_lo, s11
	s_delay_alu instid0(SALU_CYCLE_1)
	s_mov_b32 s11, exec_lo
	v_cmpx_gt_u32_e64 s10, v75
	s_cbranch_execz .LBB419_678
.LBB419_694:                            ;   in Loop: Header=BB419_646 Depth=2
	v_xor_b32_e32 v24, 0x80, v33
	s_delay_alu instid0(VALU_DEP_1) | instskip(NEXT) | instid1(VALU_DEP_1)
	v_and_b32_e32 v24, 0xff, v24
	v_lshrrev_b32_e32 v24, s49, v24
	s_delay_alu instid0(VALU_DEP_1) | instskip(NEXT) | instid1(VALU_DEP_1)
	v_and_b32_e32 v24, s58, v24
	v_lshl_or_b32 v24, v24, 4, v84
	ds_add_u32 v24, v7
	s_or_b32 exec_lo, exec_lo, s11
	s_delay_alu instid0(SALU_CYCLE_1)
	s_mov_b32 s11, exec_lo
	v_cmpx_gt_u32_e64 s10, v76
	s_cbranch_execz .LBB419_679
.LBB419_695:                            ;   in Loop: Header=BB419_646 Depth=2
	v_xor_b32_e32 v24, 0x80, v32
	s_delay_alu instid0(VALU_DEP_1) | instskip(NEXT) | instid1(VALU_DEP_1)
	v_and_b32_e32 v24, 0xff, v24
	v_lshrrev_b32_e32 v24, s49, v24
	s_delay_alu instid0(VALU_DEP_1) | instskip(NEXT) | instid1(VALU_DEP_1)
	v_and_b32_e32 v24, s58, v24
	v_lshl_or_b32 v24, v24, 4, v84
	ds_add_u32 v24, v7
	s_or_b32 exec_lo, exec_lo, s11
	s_delay_alu instid0(SALU_CYCLE_1)
	s_mov_b32 s11, exec_lo
	v_cmpx_gt_u32_e64 s10, v77
	s_cbranch_execz .LBB419_680
.LBB419_696:                            ;   in Loop: Header=BB419_646 Depth=2
	v_xor_b32_e32 v24, 0x80, v31
	s_delay_alu instid0(VALU_DEP_1) | instskip(NEXT) | instid1(VALU_DEP_1)
	v_and_b32_e32 v24, 0xff, v24
	v_lshrrev_b32_e32 v24, s49, v24
	s_delay_alu instid0(VALU_DEP_1) | instskip(NEXT) | instid1(VALU_DEP_1)
	v_and_b32_e32 v24, s58, v24
	v_lshl_or_b32 v24, v24, 4, v84
	ds_add_u32 v24, v7
	s_or_b32 exec_lo, exec_lo, s11
	s_delay_alu instid0(SALU_CYCLE_1)
	s_mov_b32 s11, exec_lo
	v_cmpx_gt_u32_e64 s10, v78
	s_cbranch_execz .LBB419_681
.LBB419_697:                            ;   in Loop: Header=BB419_646 Depth=2
	v_xor_b32_e32 v24, 0x80, v30
	s_delay_alu instid0(VALU_DEP_1) | instskip(NEXT) | instid1(VALU_DEP_1)
	v_and_b32_e32 v24, 0xff, v24
	v_lshrrev_b32_e32 v24, s49, v24
	s_delay_alu instid0(VALU_DEP_1) | instskip(NEXT) | instid1(VALU_DEP_1)
	v_and_b32_e32 v24, s58, v24
	v_lshl_or_b32 v24, v24, 4, v84
	ds_add_u32 v24, v7
	s_or_b32 exec_lo, exec_lo, s11
	s_delay_alu instid0(SALU_CYCLE_1)
	s_mov_b32 s11, exec_lo
	v_cmpx_gt_u32_e64 s10, v79
	s_cbranch_execz .LBB419_682
.LBB419_698:                            ;   in Loop: Header=BB419_646 Depth=2
	v_xor_b32_e32 v24, 0x80, v29
	s_delay_alu instid0(VALU_DEP_1) | instskip(NEXT) | instid1(VALU_DEP_1)
	v_and_b32_e32 v24, 0xff, v24
	v_lshrrev_b32_e32 v24, s49, v24
	s_delay_alu instid0(VALU_DEP_1) | instskip(NEXT) | instid1(VALU_DEP_1)
	v_and_b32_e32 v24, s58, v24
	v_lshl_or_b32 v24, v24, 4, v84
	ds_add_u32 v24, v7
	s_or_b32 exec_lo, exec_lo, s11
	s_delay_alu instid0(SALU_CYCLE_1)
	s_mov_b32 s11, exec_lo
	v_cmpx_gt_u32_e64 s10, v80
	s_cbranch_execz .LBB419_683
.LBB419_699:                            ;   in Loop: Header=BB419_646 Depth=2
	v_xor_b32_e32 v24, 0x80, v28
	s_delay_alu instid0(VALU_DEP_1) | instskip(NEXT) | instid1(VALU_DEP_1)
	v_and_b32_e32 v24, 0xff, v24
	v_lshrrev_b32_e32 v24, s49, v24
	s_delay_alu instid0(VALU_DEP_1) | instskip(NEXT) | instid1(VALU_DEP_1)
	v_and_b32_e32 v24, s58, v24
	v_lshl_or_b32 v24, v24, 4, v84
	ds_add_u32 v24, v7
	s_or_b32 exec_lo, exec_lo, s11
	s_delay_alu instid0(SALU_CYCLE_1)
	s_mov_b32 s11, exec_lo
	v_cmpx_gt_u32_e64 s10, v81
	s_cbranch_execz .LBB419_684
.LBB419_700:                            ;   in Loop: Header=BB419_646 Depth=2
	v_xor_b32_e32 v24, 0x80, v27
	s_delay_alu instid0(VALU_DEP_1) | instskip(NEXT) | instid1(VALU_DEP_1)
	v_and_b32_e32 v24, 0xff, v24
	v_lshrrev_b32_e32 v24, s49, v24
	s_delay_alu instid0(VALU_DEP_1) | instskip(NEXT) | instid1(VALU_DEP_1)
	v_and_b32_e32 v24, s58, v24
	v_lshl_or_b32 v24, v24, 4, v84
	ds_add_u32 v24, v7
	s_or_b32 exec_lo, exec_lo, s11
	v_cmp_gt_u32_e32 vcc_lo, s10, v82
	s_and_saveexec_b32 s10, vcc_lo
	s_cbranch_execz .LBB419_645
.LBB419_701:                            ;   in Loop: Header=BB419_646 Depth=2
	v_xor_b32_e32 v24, 0x80, v26
	s_delay_alu instid0(VALU_DEP_1) | instskip(NEXT) | instid1(VALU_DEP_1)
	v_and_b32_e32 v24, 0xff, v24
	v_lshrrev_b32_e32 v24, s49, v24
	s_delay_alu instid0(VALU_DEP_1) | instskip(NEXT) | instid1(VALU_DEP_1)
	v_and_b32_e32 v24, s58, v24
	v_lshl_or_b32 v24, v24, 4, v84
	ds_add_u32 v24, v7
	s_branch .LBB419_645
.LBB419_702:                            ;   in Loop: Header=BB419_646 Depth=2
	global_load_u8 v39, v[24:25], off
	s_wait_xcnt 0x0
	s_or_b32 exec_lo, exec_lo, s10
	s_delay_alu instid0(SALU_CYCLE_1)
	s_mov_b32 s10, exec_lo
	v_cmpx_gt_u32_e64 s8, v67
	s_cbranch_execz .LBB419_651
.LBB419_703:                            ;   in Loop: Header=BB419_646 Depth=2
	global_load_u8 v42, v[24:25], off offset:256
	s_wait_xcnt 0x0
	s_or_b32 exec_lo, exec_lo, s10
	s_delay_alu instid0(SALU_CYCLE_1)
	s_mov_b32 s10, exec_lo
	v_cmpx_gt_u32_e64 s8, v68
	s_cbranch_execz .LBB419_652
.LBB419_704:                            ;   in Loop: Header=BB419_646 Depth=2
	global_load_u8 v41, v[24:25], off offset:512
	s_wait_xcnt 0x0
	s_or_b32 exec_lo, exec_lo, s10
	s_delay_alu instid0(SALU_CYCLE_1)
	s_mov_b32 s10, exec_lo
	v_cmpx_gt_u32_e64 s8, v69
	s_cbranch_execz .LBB419_653
.LBB419_705:                            ;   in Loop: Header=BB419_646 Depth=2
	global_load_u8 v40, v[24:25], off offset:768
	s_wait_xcnt 0x0
	s_or_b32 exec_lo, exec_lo, s10
	s_delay_alu instid0(SALU_CYCLE_1)
	s_mov_b32 s10, exec_lo
	v_cmpx_gt_u32_e64 s8, v70
	s_cbranch_execz .LBB419_654
.LBB419_706:                            ;   in Loop: Header=BB419_646 Depth=2
	global_load_u8 v38, v[24:25], off offset:1024
	s_wait_xcnt 0x0
	s_or_b32 exec_lo, exec_lo, s10
	s_delay_alu instid0(SALU_CYCLE_1)
	s_mov_b32 s10, exec_lo
	v_cmpx_gt_u32_e64 s8, v71
	s_cbranch_execz .LBB419_655
.LBB419_707:                            ;   in Loop: Header=BB419_646 Depth=2
	global_load_u8 v37, v[24:25], off offset:1280
	s_wait_xcnt 0x0
	s_or_b32 exec_lo, exec_lo, s10
	s_delay_alu instid0(SALU_CYCLE_1)
	s_mov_b32 s10, exec_lo
	v_cmpx_gt_u32_e64 s8, v72
	s_cbranch_execz .LBB419_656
.LBB419_708:                            ;   in Loop: Header=BB419_646 Depth=2
	global_load_u8 v36, v[24:25], off offset:1536
	s_wait_xcnt 0x0
	s_or_b32 exec_lo, exec_lo, s10
	s_delay_alu instid0(SALU_CYCLE_1)
	s_mov_b32 s10, exec_lo
	v_cmpx_gt_u32_e64 s8, v73
	s_cbranch_execz .LBB419_657
.LBB419_709:                            ;   in Loop: Header=BB419_646 Depth=2
	global_load_u8 v35, v[24:25], off offset:1792
	s_wait_xcnt 0x0
	s_or_b32 exec_lo, exec_lo, s10
	s_delay_alu instid0(SALU_CYCLE_1)
	s_mov_b32 s10, exec_lo
	v_cmpx_gt_u32_e64 s8, v74
	s_cbranch_execz .LBB419_658
.LBB419_710:                            ;   in Loop: Header=BB419_646 Depth=2
	global_load_u8 v34, v[24:25], off offset:2048
	s_wait_xcnt 0x0
	s_or_b32 exec_lo, exec_lo, s10
	s_delay_alu instid0(SALU_CYCLE_1)
	s_mov_b32 s10, exec_lo
	v_cmpx_gt_u32_e64 s8, v75
	s_cbranch_execz .LBB419_659
.LBB419_711:                            ;   in Loop: Header=BB419_646 Depth=2
	global_load_u8 v33, v[24:25], off offset:2304
	s_wait_xcnt 0x0
	s_or_b32 exec_lo, exec_lo, s10
	s_delay_alu instid0(SALU_CYCLE_1)
	s_mov_b32 s10, exec_lo
	v_cmpx_gt_u32_e64 s8, v76
	s_cbranch_execz .LBB419_660
.LBB419_712:                            ;   in Loop: Header=BB419_646 Depth=2
	global_load_u8 v32, v[24:25], off offset:2560
	s_wait_xcnt 0x0
	s_or_b32 exec_lo, exec_lo, s10
	s_delay_alu instid0(SALU_CYCLE_1)
	s_mov_b32 s10, exec_lo
	v_cmpx_gt_u32_e64 s8, v77
	s_cbranch_execz .LBB419_661
.LBB419_713:                            ;   in Loop: Header=BB419_646 Depth=2
	global_load_u8 v31, v[24:25], off offset:2816
	s_wait_xcnt 0x0
	s_or_b32 exec_lo, exec_lo, s10
	s_delay_alu instid0(SALU_CYCLE_1)
	s_mov_b32 s10, exec_lo
	v_cmpx_gt_u32_e64 s8, v78
	s_cbranch_execz .LBB419_662
.LBB419_714:                            ;   in Loop: Header=BB419_646 Depth=2
	global_load_u8 v30, v[24:25], off offset:3072
	s_wait_xcnt 0x0
	s_or_b32 exec_lo, exec_lo, s10
	s_delay_alu instid0(SALU_CYCLE_1)
	s_mov_b32 s10, exec_lo
	v_cmpx_gt_u32_e64 s8, v79
	s_cbranch_execz .LBB419_663
.LBB419_715:                            ;   in Loop: Header=BB419_646 Depth=2
	global_load_u8 v29, v[24:25], off offset:3328
	s_wait_xcnt 0x0
	s_or_b32 exec_lo, exec_lo, s10
	s_delay_alu instid0(SALU_CYCLE_1)
	s_mov_b32 s10, exec_lo
	v_cmpx_gt_u32_e64 s8, v80
	s_cbranch_execz .LBB419_664
.LBB419_716:                            ;   in Loop: Header=BB419_646 Depth=2
	global_load_u8 v28, v[24:25], off offset:3584
	s_wait_xcnt 0x0
	s_or_b32 exec_lo, exec_lo, s10
	s_delay_alu instid0(SALU_CYCLE_1)
	s_mov_b32 s10, exec_lo
	v_cmpx_gt_u32_e64 s8, v81
	s_cbranch_execz .LBB419_665
.LBB419_717:                            ;   in Loop: Header=BB419_646 Depth=2
	global_load_u8 v27, v[24:25], off offset:3840
	s_wait_xcnt 0x0
	s_or_b32 exec_lo, exec_lo, s10
	s_delay_alu instid0(SALU_CYCLE_1)
	s_mov_b32 s10, exec_lo
	v_cmpx_gt_u32_e64 s8, v82
	s_cbranch_execnz .LBB419_666
	s_branch .LBB419_667
.LBB419_718:                            ;   in Loop: Header=BB419_20 Depth=1
	v_mov_b32_e32 v24, 0
	s_wait_dscnt 0x0
	s_barrier_signal -1
	s_barrier_wait -1
	s_and_saveexec_b32 s8, s0
	s_cbranch_execz .LBB419_720
; %bb.719:                              ;   in Loop: Header=BB419_20 Depth=1
	ds_load_2addr_b64 v[24:27], v85 offset1:1
	s_wait_dscnt 0x0
	v_add_nc_u32_e32 v24, v25, v24
	s_delay_alu instid0(VALU_DEP_1)
	v_add3_u32 v24, v24, v26, v27
.LBB419_720:                            ;   in Loop: Header=BB419_20 Depth=1
	s_or_b32 exec_lo, exec_lo, s8
	v_and_b32_e32 v25, 15, v0
	s_delay_alu instid0(VALU_DEP_2) | instskip(SKIP_1) | instid1(VALU_DEP_3)
	v_mov_b32_dpp v26, v24 row_shr:1 row_mask:0xf bank_mask:0xf
	v_and_b32_e32 v27, 16, v0
	v_cmp_eq_u32_e64 s8, 0, v25
	v_cmp_lt_u32_e64 s9, 1, v25
	s_delay_alu instid0(VALU_DEP_3) | instskip(NEXT) | instid1(VALU_DEP_3)
	v_cmp_eq_u32_e64 s12, 0, v27
	v_cndmask_b32_e64 v26, v26, 0, s8
	s_delay_alu instid0(VALU_DEP_1) | instskip(NEXT) | instid1(VALU_DEP_1)
	v_add_nc_u32_e32 v24, v26, v24
	v_mov_b32_dpp v26, v24 row_shr:2 row_mask:0xf bank_mask:0xf
	s_delay_alu instid0(VALU_DEP_1) | instskip(SKIP_2) | instid1(VALU_DEP_3)
	v_cndmask_b32_e64 v26, 0, v26, s9
	v_cmp_lt_u32_e64 s11, 7, v25
	v_cmp_lt_u32_e64 s10, 3, v25
	v_add_nc_u32_e32 v24, v24, v26
	s_delay_alu instid0(VALU_DEP_1) | instskip(NEXT) | instid1(VALU_DEP_1)
	v_mov_b32_dpp v26, v24 row_shr:4 row_mask:0xf bank_mask:0xf
	v_cndmask_b32_e64 v26, 0, v26, s10
	s_delay_alu instid0(VALU_DEP_1) | instskip(NEXT) | instid1(VALU_DEP_1)
	v_add_nc_u32_e32 v24, v24, v26
	v_mov_b32_dpp v26, v24 row_shr:8 row_mask:0xf bank_mask:0xf
	s_delay_alu instid0(VALU_DEP_1) | instskip(SKIP_1) | instid1(VALU_DEP_2)
	v_cndmask_b32_e64 v25, 0, v26, s11
	v_bfe_i32 v26, v0, 4, 1
	v_add_nc_u32_e32 v24, v24, v25
	ds_swizzle_b32 v25, v24 offset:swizzle(BROADCAST,32,15)
	s_wait_dscnt 0x0
	v_and_b32_e32 v25, v26, v25
	s_delay_alu instid0(VALU_DEP_1)
	v_add_nc_u32_e32 v24, v24, v25
	s_and_saveexec_b32 s13, s1
; %bb.721:                              ;   in Loop: Header=BB419_20 Depth=1
	ds_store_b32 v86, v24
; %bb.722:                              ;   in Loop: Header=BB419_20 Depth=1
	s_or_b32 exec_lo, exec_lo, s13
	s_wait_dscnt 0x0
	s_barrier_signal -1
	s_barrier_wait -1
	s_and_saveexec_b32 s13, s4
	s_cbranch_execz .LBB419_724
; %bb.723:                              ;   in Loop: Header=BB419_20 Depth=1
	ds_load_b32 v25, v87
	s_wait_dscnt 0x0
	v_mov_b32_dpp v27, v25 row_shr:1 row_mask:0xf bank_mask:0xf
	v_and_b32_e32 v26, 3, v0
	s_delay_alu instid0(VALU_DEP_1) | instskip(NEXT) | instid1(VALU_DEP_3)
	v_cmp_ne_u32_e32 vcc_lo, 0, v26
	v_cndmask_b32_e32 v27, 0, v27, vcc_lo
	v_cmp_lt_u32_e32 vcc_lo, 1, v26
	s_delay_alu instid0(VALU_DEP_2) | instskip(NEXT) | instid1(VALU_DEP_1)
	v_add_nc_u32_e32 v25, v27, v25
	v_mov_b32_dpp v27, v25 row_shr:2 row_mask:0xf bank_mask:0xf
	s_delay_alu instid0(VALU_DEP_1) | instskip(NEXT) | instid1(VALU_DEP_1)
	v_cndmask_b32_e32 v26, 0, v27, vcc_lo
	v_add_nc_u32_e32 v25, v25, v26
	ds_store_b32 v87, v25
.LBB419_724:                            ;   in Loop: Header=BB419_20 Depth=1
	s_or_b32 exec_lo, exec_lo, s13
	v_mov_b32_e32 v25, 0
	s_wait_dscnt 0x0
	s_barrier_signal -1
	s_barrier_wait -1
	s_and_saveexec_b32 s13, s5
; %bb.725:                              ;   in Loop: Header=BB419_20 Depth=1
	ds_load_b32 v25, v88
; %bb.726:                              ;   in Loop: Header=BB419_20 Depth=1
	s_or_b32 exec_lo, exec_lo, s13
	v_sub_co_u32 v26, s13, v0, 1
	s_wait_dscnt 0x0
	s_barrier_signal -1
	s_barrier_wait -1
	s_delay_alu instid0(VALU_DEP_1) | instskip(SKIP_1) | instid1(VALU_DEP_1)
	v_cmp_gt_i32_e32 vcc_lo, 0, v26
	v_cndmask_b32_e32 v26, v26, v0, vcc_lo
	v_dual_add_nc_u32 v24, v25, v24 :: v_dual_lshlrev_b32 v96, 2, v26
	ds_bpermute_b32 v24, v96, v24
	s_and_saveexec_b32 s14, s0
	s_cbranch_execz .LBB419_728
; %bb.727:                              ;   in Loop: Header=BB419_20 Depth=1
	s_wait_dscnt 0x0
	v_cndmask_b32_e64 v24, v24, v25, s13
	s_delay_alu instid0(VALU_DEP_1)
	v_add_nc_u32_e32 v24, s55, v24
	ds_store_b32 v66, v24
.LBB419_728:                            ;   in Loop: Header=BB419_20 Depth=1
	s_or_b32 exec_lo, exec_lo, s14
	s_load_b64 s[14:15], s[52:53], 0x0
	v_dual_lshlrev_b32 v26, 3, v0 :: v_dual_bitop2_b32 v28, 7, v0 bitop3:0x40
	v_dual_mov_b32 v27, v1 :: v_dual_bitop2_b32 v97, v0, v6 bitop3:0x54
	s_wait_dscnt 0x0
	v_add_nc_u64_e32 v[24:25], v[22:23], v[0:1]
	v_mov_b32_e32 v115, 0
	s_mov_b32 s59, s57
	v_add_nc_u64_e32 v[26:27], v[20:21], v[26:27]
	v_dual_add_nc_u32 v98, 32, v97 :: v_dual_add_nc_u32 v99, 64, v97
	v_add_nc_u32_e32 v100, 0x60, v97
	v_add_nc_u32_e32 v101, 0x80, v97
	;; [unrolled: 1-line block ×9, first 2 shown]
	s_wait_kmcnt 0x0
	s_cmp_lt_u32 s51, s14
	v_add_nc_u32_e32 v109, 0x180, v97
	s_cselect_b32 s34, 12, 18
	s_cmp_lt_u32 s42, s15
	s_mov_b32 s15, s35
	s_cselect_b32 s14, 14, 20
	v_add_nc_u32_e32 v110, 0x1a0, v97
	s_add_nc_u64 s[14:15], s[52:53], s[14:15]
	v_add_nc_u32_e32 v111, 0x1c0, v97
	s_load_u16 s16, s[14:15], 0x0
	s_wait_xcnt 0x0
	s_add_nc_u64 s[14:15], s[52:53], s[34:35]
	v_add_nc_u32_e32 v112, 0x1e0, v97
	s_load_u16 s17, s[14:15], 0x0
	s_wait_xcnt 0x0
	v_cmp_eq_u32_e64 s14, 0, v28
	v_cmp_lt_u32_e64 s15, 1, v28
	v_add_nc_u32_e32 v113, 0x200, v97
	s_mov_b32 s34, s55
                                        ; implicit-def: $vgpr30_vgpr31
                                        ; implicit-def: $vgpr32_vgpr33
                                        ; implicit-def: $vgpr34_vgpr35
                                        ; implicit-def: $vgpr36_vgpr37
                                        ; implicit-def: $vgpr38_vgpr39
                                        ; implicit-def: $vgpr40_vgpr41
                                        ; implicit-def: $vgpr42_vgpr43
                                        ; implicit-def: $vgpr44_vgpr45
                                        ; implicit-def: $vgpr46_vgpr47
                                        ; implicit-def: $vgpr48_vgpr49
                                        ; implicit-def: $vgpr50_vgpr51
                                        ; implicit-def: $vgpr52_vgpr53
                                        ; implicit-def: $vgpr54_vgpr55
                                        ; implicit-def: $vgpr56_vgpr57
                                        ; implicit-def: $vgpr58_vgpr59
                                        ; implicit-def: $vgpr60_vgpr61
                                        ; implicit-def: $vgpr116
                                        ; implicit-def: $vgpr117
                                        ; implicit-def: $vgpr118
                                        ; implicit-def: $vgpr119
                                        ; implicit-def: $vgpr120
                                        ; implicit-def: $vgpr121
                                        ; implicit-def: $vgpr122
                                        ; implicit-def: $vgpr123
                                        ; implicit-def: $vgpr124
                                        ; implicit-def: $vgpr125
                                        ; implicit-def: $vgpr126
                                        ; implicit-def: $vgpr127
                                        ; implicit-def: $vgpr128
                                        ; implicit-def: $vgpr129
                                        ; implicit-def: $vgpr130
                                        ; implicit-def: $vgpr131
                                        ; implicit-def: $vgpr132
                                        ; implicit-def: $vgpr133
                                        ; implicit-def: $vgpr134
	s_wait_kmcnt 0x0
	v_mad_u32_u24 v29, v89, s16, v91
	v_cmp_lt_u32_e64 s16, 3, v28
	s_delay_alu instid0(VALU_DEP_2) | instskip(NEXT) | instid1(VALU_DEP_1)
	v_mad_u32 v28, v29, s17, v2
	v_lshrrev_b32_e32 v28, 3, v28
	s_delay_alu instid0(VALU_DEP_1)
	v_and_b32_e32 v114, 0x1ffffffc, v28
                                        ; implicit-def: $vgpr28_vgpr29
	s_branch .LBB419_730
.LBB419_729:                            ;   in Loop: Header=BB419_730 Depth=2
	s_or_b32 exec_lo, exec_lo, s17
	s_addk_co_i32 s59, 0xef00
	s_cmp_lt_u32 s60, s54
	s_mov_b32 s34, s60
	s_cbranch_scc0 .LBB419_952
.LBB419_730:                            ;   Parent Loop BB419_20 Depth=1
                                        ; =>  This Inner Loop Header: Depth=2
	s_add_co_i32 s60, s34, 0x1100
	s_delay_alu instid0(SALU_CYCLE_1)
	s_cmp_gt_u32 s60, s54
	s_cbranch_scc1 .LBB419_732
; %bb.731:                              ;   in Loop: Header=BB419_730 Depth=2
	v_add_nc_u64_e32 v[62:63], s[34:35], v[24:25]
	s_mov_b32 s17, -1
	s_clause 0xf
	global_load_u8 v135, v[62:63], off offset:480
	global_load_u8 v65, v[62:63], off offset:448
	;; [unrolled: 1-line block ×15, first 2 shown]
	global_load_u8 v147, v[62:63], off
	s_movk_i32 s18, 0x1100
	s_cbranch_execz .LBB419_733
	s_branch .LBB419_751
.LBB419_732:                            ;   in Loop: Header=BB419_730 Depth=2
	s_mov_b32 s17, 0
                                        ; implicit-def: $vgpr147
                                        ; implicit-def: $vgpr150
                                        ; implicit-def: $vgpr148
                                        ; implicit-def: $vgpr151
                                        ; implicit-def: $vgpr142
                                        ; implicit-def: $vgpr145
                                        ; implicit-def: $vgpr143
                                        ; implicit-def: $vgpr144
                                        ; implicit-def: $vgpr138
                                        ; implicit-def: $vgpr141
                                        ; implicit-def: $vgpr139
                                        ; implicit-def: $vgpr140
                                        ; implicit-def: $vgpr64
                                        ; implicit-def: $vgpr136
                                        ; implicit-def: $vgpr65
                                        ; implicit-def: $vgpr135
                                        ; implicit-def: $vgpr115
	s_movk_i32 s18, 0x1100
.LBB419_733:                            ;   in Loop: Header=BB419_730 Depth=2
	s_wait_xcnt 0x0
	v_add_nc_u64_e32 v[62:63], s[34:35], v[24:25]
	s_wait_loadcnt 0x1
	v_dual_mov_b32 v115, 0x7f :: v_dual_mov_b32 v150, 0x7f
	s_wait_loadcnt 0x0
	v_dual_mov_b32 v147, 0x7f :: v_dual_mov_b32 v148, 0x7f
	v_dual_mov_b32 v151, 0x7f :: v_dual_mov_b32 v142, 0x7f
	;; [unrolled: 1-line block ×7, first 2 shown]
	v_mov_b32_e32 v135, 0x7f
	s_mov_b32 s17, exec_lo
	v_cmpx_gt_u32_e64 s59, v97
	s_cbranch_execnz .LBB419_937
; %bb.734:                              ;   in Loop: Header=BB419_730 Depth=2
	s_or_b32 exec_lo, exec_lo, s17
	s_delay_alu instid0(SALU_CYCLE_1)
	s_mov_b32 s17, exec_lo
	v_cmpx_gt_u32_e64 s59, v98
	s_cbranch_execnz .LBB419_938
.LBB419_735:                            ;   in Loop: Header=BB419_730 Depth=2
	s_or_b32 exec_lo, exec_lo, s17
	s_delay_alu instid0(SALU_CYCLE_1)
	s_mov_b32 s17, exec_lo
	v_cmpx_gt_u32_e64 s59, v99
	s_cbranch_execnz .LBB419_939
.LBB419_736:                            ;   in Loop: Header=BB419_730 Depth=2
	s_or_b32 exec_lo, exec_lo, s17
	s_delay_alu instid0(SALU_CYCLE_1)
	s_mov_b32 s17, exec_lo
	v_cmpx_gt_u32_e64 s59, v100
	s_cbranch_execnz .LBB419_940
.LBB419_737:                            ;   in Loop: Header=BB419_730 Depth=2
	s_or_b32 exec_lo, exec_lo, s17
	s_delay_alu instid0(SALU_CYCLE_1)
	s_mov_b32 s17, exec_lo
	v_cmpx_gt_u32_e64 s59, v101
	s_cbranch_execnz .LBB419_941
.LBB419_738:                            ;   in Loop: Header=BB419_730 Depth=2
	s_or_b32 exec_lo, exec_lo, s17
	s_delay_alu instid0(SALU_CYCLE_1)
	s_mov_b32 s17, exec_lo
	v_cmpx_gt_u32_e64 s59, v102
	s_cbranch_execnz .LBB419_942
.LBB419_739:                            ;   in Loop: Header=BB419_730 Depth=2
	s_or_b32 exec_lo, exec_lo, s17
	s_delay_alu instid0(SALU_CYCLE_1)
	s_mov_b32 s17, exec_lo
	v_cmpx_gt_u32_e64 s59, v103
	s_cbranch_execnz .LBB419_943
.LBB419_740:                            ;   in Loop: Header=BB419_730 Depth=2
	s_or_b32 exec_lo, exec_lo, s17
	s_delay_alu instid0(SALU_CYCLE_1)
	s_mov_b32 s17, exec_lo
	v_cmpx_gt_u32_e64 s59, v104
	s_cbranch_execnz .LBB419_944
.LBB419_741:                            ;   in Loop: Header=BB419_730 Depth=2
	s_or_b32 exec_lo, exec_lo, s17
	s_delay_alu instid0(SALU_CYCLE_1)
	s_mov_b32 s17, exec_lo
	v_cmpx_gt_u32_e64 s59, v105
	s_cbranch_execnz .LBB419_945
.LBB419_742:                            ;   in Loop: Header=BB419_730 Depth=2
	s_or_b32 exec_lo, exec_lo, s17
	s_delay_alu instid0(SALU_CYCLE_1)
	s_mov_b32 s17, exec_lo
	v_cmpx_gt_u32_e64 s59, v106
	s_cbranch_execnz .LBB419_946
.LBB419_743:                            ;   in Loop: Header=BB419_730 Depth=2
	s_or_b32 exec_lo, exec_lo, s17
	s_delay_alu instid0(SALU_CYCLE_1)
	s_mov_b32 s17, exec_lo
	v_cmpx_gt_u32_e64 s59, v107
	s_cbranch_execnz .LBB419_947
.LBB419_744:                            ;   in Loop: Header=BB419_730 Depth=2
	s_or_b32 exec_lo, exec_lo, s17
	s_delay_alu instid0(SALU_CYCLE_1)
	s_mov_b32 s17, exec_lo
	v_cmpx_gt_u32_e64 s59, v108
	s_cbranch_execnz .LBB419_948
.LBB419_745:                            ;   in Loop: Header=BB419_730 Depth=2
	s_or_b32 exec_lo, exec_lo, s17
	s_delay_alu instid0(SALU_CYCLE_1)
	s_mov_b32 s17, exec_lo
	v_cmpx_gt_u32_e64 s59, v109
	s_cbranch_execnz .LBB419_949
.LBB419_746:                            ;   in Loop: Header=BB419_730 Depth=2
	s_or_b32 exec_lo, exec_lo, s17
	s_delay_alu instid0(SALU_CYCLE_1)
	s_mov_b32 s17, exec_lo
	v_cmpx_gt_u32_e64 s59, v110
	s_cbranch_execnz .LBB419_950
.LBB419_747:                            ;   in Loop: Header=BB419_730 Depth=2
	s_or_b32 exec_lo, exec_lo, s17
	s_delay_alu instid0(SALU_CYCLE_1)
	s_mov_b32 s17, exec_lo
	v_cmpx_gt_u32_e64 s59, v111
	s_cbranch_execnz .LBB419_951
.LBB419_748:                            ;   in Loop: Header=BB419_730 Depth=2
	s_or_b32 exec_lo, exec_lo, s17
	s_delay_alu instid0(SALU_CYCLE_1)
	s_mov_b32 s17, exec_lo
	v_cmpx_gt_u32_e64 s59, v112
	s_cbranch_execz .LBB419_750
.LBB419_749:                            ;   in Loop: Header=BB419_730 Depth=2
	global_load_u8 v135, v[62:63], off offset:480
.LBB419_750:                            ;   in Loop: Header=BB419_730 Depth=2
	s_wait_xcnt 0x0
	s_or_b32 exec_lo, exec_lo, s17
	v_cmp_gt_u32_e64 s17, s59, v113
	s_sub_co_i32 s18, s54, s34
.LBB419_751:                            ;   in Loop: Header=BB419_730 Depth=2
	v_mov_b32_e32 v137, s59
	s_wait_xcnt 0x0
	s_and_saveexec_b32 s19, s17
	s_cbranch_execz .LBB419_753
; %bb.752:                              ;   in Loop: Header=BB419_730 Depth=2
	v_add_nc_u64_e32 v[62:63], s[34:35], v[24:25]
	v_mov_b32_e32 v137, s18
	global_load_u8 v115, v[62:63], off offset:512
.LBB419_753:                            ;   in Loop: Header=BB419_730 Depth=2
	s_wait_xcnt 0x0
	s_or_b32 exec_lo, exec_lo, s19
	s_wait_loadcnt 0x0
	v_bitop3_b16 v62, v147, s43, 0x80 bitop3:0x48
	ds_store_2addr_b32 v90, v1, v1 offset0:136 offset1:137
	ds_store_2addr_b32 v90, v1, v1 offset0:138 offset1:139
	ds_store_b32 v90, v1 offset:560
	s_wait_dscnt 0x0
	s_barrier_signal -1
	s_barrier_wait -1
	v_and_b32_e32 v62, 0xffff, v62
	; wave barrier
	s_delay_alu instid0(VALU_DEP_1) | instskip(NEXT) | instid1(VALU_DEP_1)
	v_lshrrev_b32_e32 v62, s49, v62
	v_and_b32_e32 v149, s58, v62
	s_delay_alu instid0(VALU_DEP_1) | instskip(SKIP_1) | instid1(VALU_DEP_1)
	v_lshlrev_b32_e32 v146, 30, v149
	v_bitop3_b32 v63, v62, 1, s58 bitop3:0x80
	v_add_co_u32 v62, s17, v63, -1
	s_delay_alu instid0(VALU_DEP_1) | instskip(NEXT) | instid1(VALU_DEP_4)
	v_cndmask_b32_e64 v63, 0, 1, s17
	v_cmp_gt_i32_e64 s17, 0, v146
	s_delay_alu instid0(VALU_DEP_2) | instskip(SKIP_2) | instid1(VALU_DEP_2)
	v_cmp_ne_u32_e32 vcc_lo, 0, v63
	v_not_b32_e32 v63, v146
	v_bitop3_b32 v62, vcc_lo, exec_lo, v62 bitop3:0x48
	v_dual_ashrrev_i32 v63, 31, v63 :: v_dual_lshlrev_b32 v152, 29, v149
	v_dual_lshlrev_b32 v153, 28, v149 :: v_dual_lshlrev_b32 v154, 27, v149
	v_lshlrev_b32_e32 v155, 26, v149
	s_delay_alu instid0(VALU_DEP_3)
	v_not_b32_e32 v146, v152
	v_lshlrev_b32_e32 v156, 25, v149
	v_cmp_gt_i32_e64 s18, 0, v152
	v_cmp_gt_i32_e64 s19, 0, v153
	v_not_b32_e32 v152, v153
	v_not_b32_e32 v153, v154
	v_ashrrev_i32_e32 v146, 31, v146
	v_cmp_gt_i32_e64 s20, 0, v154
	v_cmp_gt_i32_e64 s21, 0, v155
	v_not_b32_e32 v154, v155
	v_not_b32_e32 v155, v156
	v_dual_ashrrev_i32 v152, 31, v152 :: v_dual_ashrrev_i32 v153, 31, v153
	s_delay_alu instid0(VALU_DEP_3) | instskip(NEXT) | instid1(VALU_DEP_3)
	v_dual_ashrrev_i32 v154, 31, v154 :: v_dual_bitop2_b32 v63, s17, v63 bitop3:0x14
	v_dual_ashrrev_i32 v155, 31, v155 :: v_dual_bitop2_b32 v146, s18, v146 bitop3:0x14
	v_cmp_gt_i32_e64 s22, 0, v156
	s_delay_alu instid0(VALU_DEP_4) | instskip(SKIP_1) | instid1(VALU_DEP_4)
	v_xor_b32_e32 v152, s19, v152
	v_xor_b32_e32 v153, s20, v153
	v_bitop3_b32 v62, v62, v146, v63 bitop3:0x80
	v_xor_b32_e32 v63, s21, v154
	v_xor_b32_e32 v146, s22, v155
	s_delay_alu instid0(VALU_DEP_3) | instskip(NEXT) | instid1(VALU_DEP_1)
	v_bitop3_b32 v62, v62, v153, v152 bitop3:0x80
	v_bitop3_b32 v62, v62, v146, v63 bitop3:0x80
	v_mul_u32_u24_e32 v63, 36, v149
	s_delay_alu instid0(VALU_DEP_2) | instskip(SKIP_1) | instid1(VALU_DEP_3)
	v_mbcnt_lo_u32_b32 v146, v62, 0
	v_cmp_ne_u32_e64 s17, 0, v62
	v_add_nc_u32_e32 v149, v114, v63
	s_delay_alu instid0(VALU_DEP_3) | instskip(SKIP_1) | instid1(SALU_CYCLE_1)
	v_cmp_eq_u32_e32 vcc_lo, 0, v146
	s_and_b32 s18, s17, vcc_lo
	s_and_saveexec_b32 s17, s18
; %bb.754:                              ;   in Loop: Header=BB419_730 Depth=2
	v_bcnt_u32_b32 v62, v62, 0
	ds_store_b32 v149, v62 offset:544
; %bb.755:                              ;   in Loop: Header=BB419_730 Depth=2
	s_or_b32 exec_lo, exec_lo, s17
	v_xor_b32_e32 v62, 0x80, v150
	v_xor_b32_e32 v63, 0x80, v151
	;; [unrolled: 1-line block ×4, first 2 shown]
	s_delay_alu instid0(VALU_DEP_4) | instskip(NEXT) | instid1(VALU_DEP_4)
	v_lshlrev_b16 v62, 8, v62
	v_lshlrev_b16 v63, 8, v63
	; wave barrier
	s_delay_alu instid0(VALU_DEP_2) | instskip(NEXT) | instid1(VALU_DEP_2)
	v_bitop3_b16 v147, v147, v62, 0xff bitop3:0xec
	v_bitop3_b16 v62, v148, v63, 0xff bitop3:0xec
	s_delay_alu instid0(VALU_DEP_2) | instskip(NEXT) | instid1(VALU_DEP_2)
	v_and_b32_e32 v63, 0xffff, v147
	v_lshlrev_b32_e32 v62, 16, v62
	s_delay_alu instid0(VALU_DEP_1) | instskip(NEXT) | instid1(VALU_DEP_1)
	v_or_b32_e32 v148, v63, v62
	v_bfe_u32 v62, v148, 8, 8
	s_delay_alu instid0(VALU_DEP_1) | instskip(NEXT) | instid1(VALU_DEP_1)
	v_lshrrev_b32_e32 v62, s49, v62
	v_bitop3_b32 v63, v62, 1, s58 bitop3:0x80
	v_and_b32_e32 v152, s58, v62
	s_delay_alu instid0(VALU_DEP_2) | instskip(NEXT) | instid1(VALU_DEP_1)
	v_add_co_u32 v62, s17, v63, -1
	v_cndmask_b32_e64 v63, 0, 1, s17
	s_delay_alu instid0(VALU_DEP_3) | instskip(NEXT) | instid1(VALU_DEP_2)
	v_lshlrev_b32_e32 v150, 30, v152
	v_cmp_ne_u32_e32 vcc_lo, 0, v63
	s_delay_alu instid0(VALU_DEP_2) | instskip(SKIP_2) | instid1(VALU_DEP_3)
	v_not_b32_e32 v63, v150
	v_cmp_gt_i32_e64 s17, 0, v150
	v_bitop3_b32 v62, vcc_lo, exec_lo, v62 bitop3:0x48
	v_dual_ashrrev_i32 v63, 31, v63 :: v_dual_lshlrev_b32 v151, 29, v152
	v_dual_lshlrev_b32 v153, 28, v152 :: v_dual_lshlrev_b32 v154, 27, v152
	v_lshlrev_b32_e32 v155, 26, v152
	s_delay_alu instid0(VALU_DEP_3)
	v_not_b32_e32 v150, v151
	v_lshlrev_b32_e32 v156, 25, v152
	v_cmp_gt_i32_e64 s18, 0, v151
	v_cmp_gt_i32_e64 s19, 0, v153
	v_not_b32_e32 v151, v153
	v_ashrrev_i32_e32 v150, 31, v150
	v_cmp_gt_i32_e64 s20, 0, v154
	v_not_b32_e32 v153, v154
	v_cmp_gt_i32_e64 s21, 0, v155
	v_not_b32_e32 v154, v155
	v_not_b32_e32 v155, v156
	v_xor_b32_e32 v63, s17, v63
	v_dual_ashrrev_i32 v151, 31, v151 :: v_dual_bitop2_b32 v150, s18, v150 bitop3:0x14
	s_delay_alu instid0(VALU_DEP_4) | instskip(NEXT) | instid1(VALU_DEP_4)
	v_dual_ashrrev_i32 v153, 31, v153 :: v_dual_ashrrev_i32 v154, 31, v154
	v_ashrrev_i32_e32 v155, 31, v155
	s_delay_alu instid0(VALU_DEP_3)
	v_bitop3_b32 v62, v62, v150, v63 bitop3:0x80
	v_mad_u32_u24 v63, v152, 36, v114
	v_cmp_gt_i32_e64 s22, 0, v156
	v_xor_b32_e32 v151, s19, v151
	v_xor_b32_e32 v154, s21, v154
	ds_load_b32 v150, v63 offset:544
	v_mul_u32_u24_e32 v63, 36, v152
	v_xor_b32_e32 v153, s20, v153
	v_xor_b32_e32 v155, s22, v155
	; wave barrier
	s_delay_alu instid0(VALU_DEP_3) | instskip(NEXT) | instid1(VALU_DEP_3)
	v_add_nc_u32_e32 v152, v114, v63
	v_bitop3_b32 v62, v62, v153, v151 bitop3:0x80
	s_delay_alu instid0(VALU_DEP_1) | instskip(NEXT) | instid1(VALU_DEP_1)
	v_bitop3_b32 v62, v62, v155, v154 bitop3:0x80
	v_mbcnt_lo_u32_b32 v151, v62, 0
	v_cmp_ne_u32_e64 s17, 0, v62
	s_delay_alu instid0(VALU_DEP_2) | instskip(SKIP_1) | instid1(SALU_CYCLE_1)
	v_cmp_eq_u32_e32 vcc_lo, 0, v151
	s_and_b32 s18, s17, vcc_lo
	s_and_saveexec_b32 s17, s18
	s_cbranch_execz .LBB419_757
; %bb.756:                              ;   in Loop: Header=BB419_730 Depth=2
	s_wait_dscnt 0x0
	v_bcnt_u32_b32 v62, v62, v150
	ds_store_b32 v152, v62 offset:544
.LBB419_757:                            ;   in Loop: Header=BB419_730 Depth=2
	s_or_b32 exec_lo, exec_lo, s17
	v_bfe_u32 v62, v148, 16, 8
	; wave barrier
	s_delay_alu instid0(VALU_DEP_1) | instskip(NEXT) | instid1(VALU_DEP_1)
	v_lshrrev_b32_e32 v62, s49, v62
	v_and_b32_e32 v155, s58, v62
	s_delay_alu instid0(VALU_DEP_1) | instskip(SKIP_1) | instid1(VALU_DEP_1)
	v_lshlrev_b32_e32 v153, 30, v155
	v_bitop3_b32 v63, v62, 1, s58 bitop3:0x80
	v_add_co_u32 v62, s17, v63, -1
	s_delay_alu instid0(VALU_DEP_1) | instskip(NEXT) | instid1(VALU_DEP_4)
	v_cndmask_b32_e64 v63, 0, 1, s17
	v_cmp_gt_i32_e64 s17, 0, v153
	s_delay_alu instid0(VALU_DEP_2) | instskip(SKIP_2) | instid1(VALU_DEP_2)
	v_cmp_ne_u32_e32 vcc_lo, 0, v63
	v_not_b32_e32 v63, v153
	v_bitop3_b32 v62, vcc_lo, exec_lo, v62 bitop3:0x48
	v_ashrrev_i32_e32 v63, 31, v63
	v_dual_lshlrev_b32 v154, 29, v155 :: v_dual_lshlrev_b32 v156, 28, v155
	v_dual_lshlrev_b32 v157, 27, v155 :: v_dual_lshlrev_b32 v158, 26, v155
	s_delay_alu instid0(VALU_DEP_2)
	v_not_b32_e32 v153, v154
	v_lshlrev_b32_e32 v159, 25, v155
	v_cmp_gt_i32_e64 s18, 0, v154
	v_cmp_gt_i32_e64 s19, 0, v156
	v_not_b32_e32 v154, v156
	v_not_b32_e32 v156, v157
	v_ashrrev_i32_e32 v153, 31, v153
	v_cmp_gt_i32_e64 s20, 0, v157
	v_cmp_gt_i32_e64 s21, 0, v158
	v_not_b32_e32 v157, v158
	v_dual_ashrrev_i32 v154, 31, v154 :: v_dual_ashrrev_i32 v156, 31, v156
	v_xor_b32_e32 v63, s17, v63
	v_not_b32_e32 v158, v159
	v_xor_b32_e32 v153, s18, v153
	s_delay_alu instid0(VALU_DEP_4) | instskip(SKIP_2) | instid1(VALU_DEP_4)
	v_dual_ashrrev_i32 v157, 31, v157 :: v_dual_bitop2_b32 v154, s19, v154 bitop3:0x14
	v_xor_b32_e32 v156, s20, v156
	v_cmp_gt_i32_e32 vcc_lo, 0, v159
	v_bitop3_b32 v62, v62, v153, v63 bitop3:0x80
	v_ashrrev_i32_e32 v63, 31, v158
	v_mad_u32_u24 v153, v155, 36, v114
	v_xor_b32_e32 v157, s21, v157
	s_delay_alu instid0(VALU_DEP_4) | instskip(NEXT) | instid1(VALU_DEP_4)
	v_bitop3_b32 v62, v62, v156, v154 bitop3:0x80
	v_xor_b32_e32 v63, vcc_lo, v63
	ds_load_b32 v153, v153 offset:544
	; wave barrier
	v_bitop3_b32 v62, v62, v63, v157 bitop3:0x80
	v_mul_u32_u24_e32 v63, 36, v155
	s_delay_alu instid0(VALU_DEP_2) | instskip(SKIP_1) | instid1(VALU_DEP_3)
	v_mbcnt_lo_u32_b32 v154, v62, 0
	v_cmp_ne_u32_e64 s17, 0, v62
	v_add_nc_u32_e32 v156, v114, v63
	s_delay_alu instid0(VALU_DEP_3) | instskip(SKIP_1) | instid1(SALU_CYCLE_1)
	v_cmp_eq_u32_e32 vcc_lo, 0, v154
	s_and_b32 s18, s17, vcc_lo
	s_and_saveexec_b32 s17, s18
	s_cbranch_execz .LBB419_759
; %bb.758:                              ;   in Loop: Header=BB419_730 Depth=2
	s_wait_dscnt 0x0
	v_bcnt_u32_b32 v62, v62, v153
	ds_store_b32 v156, v62 offset:544
.LBB419_759:                            ;   in Loop: Header=BB419_730 Depth=2
	s_or_b32 exec_lo, exec_lo, s17
	v_lshrrev_b32_e32 v155, 24, v148
	; wave barrier
	s_delay_alu instid0(VALU_DEP_1) | instskip(NEXT) | instid1(VALU_DEP_1)
	v_lshrrev_b32_e32 v62, s49, v155
	v_bitop3_b32 v63, v62, 1, s58 bitop3:0x80
	v_and_b32_e32 v159, s58, v62
	s_delay_alu instid0(VALU_DEP_2) | instskip(NEXT) | instid1(VALU_DEP_1)
	v_add_co_u32 v62, s17, v63, -1
	v_cndmask_b32_e64 v63, 0, 1, s17
	s_delay_alu instid0(VALU_DEP_3) | instskip(SKIP_1) | instid1(VALU_DEP_3)
	v_dual_lshlrev_b32 v157, 30, v159 :: v_dual_lshlrev_b32 v158, 29, v159
	v_dual_lshlrev_b32 v160, 28, v159 :: v_dual_lshlrev_b32 v161, 27, v159
	v_cmp_ne_u32_e32 vcc_lo, 0, v63
	s_delay_alu instid0(VALU_DEP_3)
	v_cmp_gt_i32_e64 s17, 0, v157
	v_not_b32_e32 v63, v157
	v_not_b32_e32 v157, v158
	v_dual_lshlrev_b32 v162, 26, v159 :: v_dual_lshlrev_b32 v163, 25, v159
	v_cmp_gt_i32_e64 s18, 0, v158
	v_cmp_gt_i32_e64 s19, 0, v160
	v_not_b32_e32 v158, v160
	v_not_b32_e32 v160, v161
	v_dual_ashrrev_i32 v63, 31, v63 :: v_dual_ashrrev_i32 v157, 31, v157
	v_cmp_gt_i32_e64 s20, 0, v161
	v_cmp_gt_i32_e64 s21, 0, v162
	v_not_b32_e32 v161, v162
	v_bitop3_b32 v62, vcc_lo, exec_lo, v62 bitop3:0x48
	v_dual_ashrrev_i32 v158, 31, v158 :: v_dual_ashrrev_i32 v160, 31, v160
	v_xor_b32_e32 v63, s17, v63
	v_not_b32_e32 v162, v163
	v_xor_b32_e32 v157, s18, v157
	s_delay_alu instid0(VALU_DEP_4) | instskip(SKIP_2) | instid1(VALU_DEP_4)
	v_dual_ashrrev_i32 v161, 31, v161 :: v_dual_bitop2_b32 v158, s19, v158 bitop3:0x14
	v_xor_b32_e32 v160, s20, v160
	v_cmp_gt_i32_e32 vcc_lo, 0, v163
	v_bitop3_b32 v62, v62, v157, v63 bitop3:0x80
	v_ashrrev_i32_e32 v63, 31, v162
	v_mad_u32_u24 v157, v159, 36, v114
	v_xor_b32_e32 v161, s21, v161
	s_delay_alu instid0(VALU_DEP_4) | instskip(NEXT) | instid1(VALU_DEP_4)
	v_bitop3_b32 v62, v62, v160, v158 bitop3:0x80
	v_xor_b32_e32 v63, vcc_lo, v63
	ds_load_b32 v157, v157 offset:544
	; wave barrier
	v_bitop3_b32 v62, v62, v63, v161 bitop3:0x80
	v_mul_u32_u24_e32 v63, 36, v159
	s_delay_alu instid0(VALU_DEP_2) | instskip(SKIP_1) | instid1(VALU_DEP_3)
	v_mbcnt_lo_u32_b32 v158, v62, 0
	v_cmp_ne_u32_e64 s17, 0, v62
	v_add_nc_u32_e32 v159, v114, v63
	s_delay_alu instid0(VALU_DEP_3) | instskip(SKIP_1) | instid1(SALU_CYCLE_1)
	v_cmp_eq_u32_e32 vcc_lo, 0, v158
	s_and_b32 s18, s17, vcc_lo
	s_and_saveexec_b32 s17, s18
	s_cbranch_execz .LBB419_761
; %bb.760:                              ;   in Loop: Header=BB419_730 Depth=2
	s_wait_dscnt 0x0
	v_bcnt_u32_b32 v62, v62, v157
	ds_store_b32 v159, v62 offset:544
.LBB419_761:                            ;   in Loop: Header=BB419_730 Depth=2
	s_or_b32 exec_lo, exec_lo, s17
	v_bitop3_b16 v62, v142, s43, 0x80 bitop3:0x48
	; wave barrier
	s_delay_alu instid0(VALU_DEP_1) | instskip(NEXT) | instid1(VALU_DEP_1)
	v_and_b32_e32 v62, 0xffff, v62
	v_lshrrev_b32_e32 v62, s49, v62
	s_delay_alu instid0(VALU_DEP_1) | instskip(SKIP_1) | instid1(VALU_DEP_2)
	v_bitop3_b32 v63, v62, 1, s58 bitop3:0x80
	v_and_b32_e32 v162, s58, v62
	v_add_co_u32 v62, s17, v63, -1
	s_delay_alu instid0(VALU_DEP_1) | instskip(NEXT) | instid1(VALU_DEP_3)
	v_cndmask_b32_e64 v63, 0, 1, s17
	v_dual_lshlrev_b32 v160, 30, v162 :: v_dual_lshlrev_b32 v161, 29, v162
	s_delay_alu instid0(VALU_DEP_2) | instskip(NEXT) | instid1(VALU_DEP_2)
	v_cmp_ne_u32_e32 vcc_lo, 0, v63
	v_cmp_gt_i32_e64 s17, 0, v160
	v_not_b32_e32 v63, v160
	s_delay_alu instid0(VALU_DEP_4) | instskip(SKIP_2) | instid1(VALU_DEP_3)
	v_not_b32_e32 v160, v161
	v_cmp_gt_i32_e64 s18, 0, v161
	v_bitop3_b32 v62, vcc_lo, exec_lo, v62 bitop3:0x48
	v_dual_ashrrev_i32 v63, 31, v63 :: v_dual_ashrrev_i32 v160, 31, v160
	v_dual_lshlrev_b32 v163, 28, v162 :: v_dual_lshlrev_b32 v164, 27, v162
	v_dual_lshlrev_b32 v165, 26, v162 :: v_dual_lshlrev_b32 v166, 25, v162
	s_delay_alu instid0(VALU_DEP_2) | instskip(SKIP_1) | instid1(VALU_DEP_4)
	v_cmp_gt_i32_e64 s19, 0, v163
	v_not_b32_e32 v161, v163
	v_cmp_gt_i32_e64 s20, 0, v164
	v_not_b32_e32 v163, v164
	;; [unrolled: 2-line block ×3, first 2 shown]
	v_not_b32_e32 v165, v166
	v_xor_b32_e32 v63, s17, v63
	v_dual_ashrrev_i32 v161, 31, v161 :: v_dual_bitop2_b32 v160, s18, v160 bitop3:0x14
	s_delay_alu instid0(VALU_DEP_4) | instskip(NEXT) | instid1(VALU_DEP_4)
	v_dual_ashrrev_i32 v163, 31, v163 :: v_dual_ashrrev_i32 v164, 31, v164
	v_ashrrev_i32_e32 v165, 31, v165
	s_delay_alu instid0(VALU_DEP_3)
	v_bitop3_b32 v62, v62, v160, v63 bitop3:0x80
	v_mad_u32_u24 v63, v162, 36, v114
	v_cmp_gt_i32_e64 s22, 0, v166
	v_xor_b32_e32 v163, s20, v163
	v_xor_b32_e32 v164, s21, v164
	ds_load_b32 v160, v63 offset:544
	v_mul_u32_u24_e32 v63, 36, v162
	v_xor_b32_e32 v161, s19, v161
	v_xor_b32_e32 v165, s22, v165
	; wave barrier
	s_delay_alu instid0(VALU_DEP_3) | instskip(NEXT) | instid1(VALU_DEP_3)
	v_add_nc_u32_e32 v162, v114, v63
	v_bitop3_b32 v62, v62, v163, v161 bitop3:0x80
	s_delay_alu instid0(VALU_DEP_1) | instskip(NEXT) | instid1(VALU_DEP_1)
	v_bitop3_b32 v62, v62, v165, v164 bitop3:0x80
	v_mbcnt_lo_u32_b32 v161, v62, 0
	v_cmp_ne_u32_e64 s17, 0, v62
	s_delay_alu instid0(VALU_DEP_2) | instskip(SKIP_1) | instid1(SALU_CYCLE_1)
	v_cmp_eq_u32_e32 vcc_lo, 0, v161
	s_and_b32 s18, s17, vcc_lo
	s_and_saveexec_b32 s17, s18
	s_cbranch_execz .LBB419_763
; %bb.762:                              ;   in Loop: Header=BB419_730 Depth=2
	s_wait_dscnt 0x0
	v_bcnt_u32_b32 v62, v62, v160
	ds_store_b32 v162, v62 offset:544
.LBB419_763:                            ;   in Loop: Header=BB419_730 Depth=2
	s_or_b32 exec_lo, exec_lo, s17
	v_xor_b32_e32 v62, 0x80, v145
	v_xor_b32_e32 v63, 0x80, v144
	;; [unrolled: 1-line block ×4, first 2 shown]
	s_delay_alu instid0(VALU_DEP_4) | instskip(NEXT) | instid1(VALU_DEP_4)
	v_lshlrev_b16 v62, 8, v62
	v_lshlrev_b16 v63, 8, v63
	; wave barrier
	s_delay_alu instid0(VALU_DEP_2) | instskip(NEXT) | instid1(VALU_DEP_2)
	v_bitop3_b16 v142, v142, v62, 0xff bitop3:0xec
	v_bitop3_b16 v62, v143, v63, 0xff bitop3:0xec
	s_delay_alu instid0(VALU_DEP_2) | instskip(NEXT) | instid1(VALU_DEP_2)
	v_and_b32_e32 v63, 0xffff, v142
	v_lshlrev_b32_e32 v62, 16, v62
	s_delay_alu instid0(VALU_DEP_1) | instskip(NEXT) | instid1(VALU_DEP_1)
	v_or_b32_e32 v143, v63, v62
	v_bfe_u32 v62, v143, 8, 8
	s_delay_alu instid0(VALU_DEP_1) | instskip(NEXT) | instid1(VALU_DEP_1)
	v_lshrrev_b32_e32 v62, s49, v62
	v_bitop3_b32 v63, v62, 1, s58 bitop3:0x80
	v_and_b32_e32 v163, s58, v62
	s_delay_alu instid0(VALU_DEP_2) | instskip(NEXT) | instid1(VALU_DEP_1)
	v_add_co_u32 v62, s17, v63, -1
	v_cndmask_b32_e64 v63, 0, 1, s17
	s_delay_alu instid0(VALU_DEP_3) | instskip(NEXT) | instid1(VALU_DEP_2)
	v_lshlrev_b32_e32 v144, 30, v163
	v_cmp_ne_u32_e32 vcc_lo, 0, v63
	s_delay_alu instid0(VALU_DEP_2) | instskip(SKIP_2) | instid1(VALU_DEP_3)
	v_not_b32_e32 v63, v144
	v_cmp_gt_i32_e64 s17, 0, v144
	v_bitop3_b32 v62, vcc_lo, exec_lo, v62 bitop3:0x48
	v_ashrrev_i32_e32 v63, 31, v63
	v_dual_lshlrev_b32 v145, 29, v163 :: v_dual_lshlrev_b32 v164, 28, v163
	v_dual_lshlrev_b32 v165, 27, v163 :: v_dual_lshlrev_b32 v166, 26, v163
	s_delay_alu instid0(VALU_DEP_2)
	v_not_b32_e32 v144, v145
	v_lshlrev_b32_e32 v167, 25, v163
	v_cmp_gt_i32_e64 s18, 0, v145
	v_cmp_gt_i32_e64 s19, 0, v164
	v_not_b32_e32 v145, v164
	v_ashrrev_i32_e32 v144, 31, v144
	v_cmp_gt_i32_e64 s20, 0, v165
	v_not_b32_e32 v164, v165
	v_cmp_gt_i32_e64 s21, 0, v166
	v_not_b32_e32 v165, v166
	v_not_b32_e32 v166, v167
	v_xor_b32_e32 v63, s17, v63
	v_dual_ashrrev_i32 v145, 31, v145 :: v_dual_bitop2_b32 v144, s18, v144 bitop3:0x14
	s_delay_alu instid0(VALU_DEP_4) | instskip(NEXT) | instid1(VALU_DEP_4)
	v_dual_ashrrev_i32 v164, 31, v164 :: v_dual_ashrrev_i32 v165, 31, v165
	v_ashrrev_i32_e32 v166, 31, v166
	s_delay_alu instid0(VALU_DEP_3)
	v_bitop3_b32 v62, v62, v144, v63 bitop3:0x80
	v_mad_u32_u24 v63, v163, 36, v114
	v_cmp_gt_i32_e64 s22, 0, v167
	v_xor_b32_e32 v164, s20, v164
	v_xor_b32_e32 v165, s21, v165
	ds_load_b32 v144, v63 offset:544
	v_mul_u32_u24_e32 v63, 36, v163
	v_xor_b32_e32 v145, s19, v145
	v_xor_b32_e32 v166, s22, v166
	; wave barrier
	s_delay_alu instid0(VALU_DEP_3) | instskip(NEXT) | instid1(VALU_DEP_3)
	v_add_nc_u32_e32 v163, v114, v63
	v_bitop3_b32 v62, v62, v164, v145 bitop3:0x80
	s_delay_alu instid0(VALU_DEP_1) | instskip(NEXT) | instid1(VALU_DEP_1)
	v_bitop3_b32 v62, v62, v166, v165 bitop3:0x80
	v_mbcnt_lo_u32_b32 v145, v62, 0
	v_cmp_ne_u32_e64 s17, 0, v62
	s_delay_alu instid0(VALU_DEP_2) | instskip(SKIP_1) | instid1(SALU_CYCLE_1)
	v_cmp_eq_u32_e32 vcc_lo, 0, v145
	s_and_b32 s18, s17, vcc_lo
	s_and_saveexec_b32 s17, s18
	s_cbranch_execz .LBB419_765
; %bb.764:                              ;   in Loop: Header=BB419_730 Depth=2
	s_wait_dscnt 0x0
	v_bcnt_u32_b32 v62, v62, v144
	ds_store_b32 v163, v62 offset:544
.LBB419_765:                            ;   in Loop: Header=BB419_730 Depth=2
	s_or_b32 exec_lo, exec_lo, s17
	v_bfe_u32 v62, v143, 16, 8
	; wave barrier
	s_delay_alu instid0(VALU_DEP_1) | instskip(NEXT) | instid1(VALU_DEP_1)
	v_lshrrev_b32_e32 v62, s49, v62
	v_bitop3_b32 v63, v62, 1, s58 bitop3:0x80
	v_and_b32_e32 v166, s58, v62
	s_delay_alu instid0(VALU_DEP_2) | instskip(NEXT) | instid1(VALU_DEP_1)
	v_add_co_u32 v62, s17, v63, -1
	v_cndmask_b32_e64 v63, 0, 1, s17
	s_delay_alu instid0(VALU_DEP_3) | instskip(NEXT) | instid1(VALU_DEP_2)
	v_dual_lshlrev_b32 v164, 30, v166 :: v_dual_lshlrev_b32 v165, 29, v166
	v_cmp_ne_u32_e32 vcc_lo, 0, v63
	s_delay_alu instid0(VALU_DEP_2) | instskip(SKIP_1) | instid1(VALU_DEP_4)
	v_cmp_gt_i32_e64 s17, 0, v164
	v_not_b32_e32 v63, v164
	v_not_b32_e32 v164, v165
	v_cmp_gt_i32_e64 s18, 0, v165
	v_bitop3_b32 v62, vcc_lo, exec_lo, v62 bitop3:0x48
	s_delay_alu instid0(VALU_DEP_3) | instskip(SKIP_2) | instid1(VALU_DEP_2)
	v_dual_ashrrev_i32 v63, 31, v63 :: v_dual_ashrrev_i32 v164, 31, v164
	v_dual_lshlrev_b32 v167, 28, v166 :: v_dual_lshlrev_b32 v168, 27, v166
	v_dual_lshlrev_b32 v169, 26, v166 :: v_dual_lshlrev_b32 v170, 25, v166
	v_cmp_gt_i32_e64 s19, 0, v167
	v_not_b32_e32 v165, v167
	s_delay_alu instid0(VALU_DEP_4) | instskip(SKIP_3) | instid1(VALU_DEP_4)
	v_not_b32_e32 v167, v168
	v_cmp_gt_i32_e64 s20, 0, v168
	v_cmp_gt_i32_e64 s21, 0, v169
	v_not_b32_e32 v168, v169
	v_dual_ashrrev_i32 v165, 31, v165 :: v_dual_ashrrev_i32 v167, 31, v167
	v_xor_b32_e32 v63, s17, v63
	v_not_b32_e32 v169, v170
	v_xor_b32_e32 v164, s18, v164
	s_delay_alu instid0(VALU_DEP_4) | instskip(SKIP_2) | instid1(VALU_DEP_4)
	v_dual_ashrrev_i32 v168, 31, v168 :: v_dual_bitop2_b32 v165, s19, v165 bitop3:0x14
	v_xor_b32_e32 v167, s20, v167
	v_cmp_gt_i32_e32 vcc_lo, 0, v170
	v_bitop3_b32 v62, v62, v164, v63 bitop3:0x80
	v_ashrrev_i32_e32 v63, 31, v169
	v_mad_u32_u24 v164, v166, 36, v114
	v_xor_b32_e32 v168, s21, v168
	s_delay_alu instid0(VALU_DEP_4) | instskip(NEXT) | instid1(VALU_DEP_4)
	v_bitop3_b32 v62, v62, v167, v165 bitop3:0x80
	v_xor_b32_e32 v63, vcc_lo, v63
	ds_load_b32 v164, v164 offset:544
	; wave barrier
	v_bitop3_b32 v62, v62, v63, v168 bitop3:0x80
	v_mul_u32_u24_e32 v63, 36, v166
	s_delay_alu instid0(VALU_DEP_2) | instskip(SKIP_1) | instid1(VALU_DEP_3)
	v_mbcnt_lo_u32_b32 v165, v62, 0
	v_cmp_ne_u32_e64 s17, 0, v62
	v_add_nc_u32_e32 v167, v114, v63
	s_delay_alu instid0(VALU_DEP_3) | instskip(SKIP_1) | instid1(SALU_CYCLE_1)
	v_cmp_eq_u32_e32 vcc_lo, 0, v165
	s_and_b32 s18, s17, vcc_lo
	s_and_saveexec_b32 s17, s18
	s_cbranch_execz .LBB419_767
; %bb.766:                              ;   in Loop: Header=BB419_730 Depth=2
	s_wait_dscnt 0x0
	v_bcnt_u32_b32 v62, v62, v164
	ds_store_b32 v167, v62 offset:544
.LBB419_767:                            ;   in Loop: Header=BB419_730 Depth=2
	s_or_b32 exec_lo, exec_lo, s17
	v_lshrrev_b32_e32 v166, 24, v143
	; wave barrier
	s_delay_alu instid0(VALU_DEP_1) | instskip(NEXT) | instid1(VALU_DEP_1)
	v_lshrrev_b32_e32 v62, s49, v166
	v_bitop3_b32 v63, v62, 1, s58 bitop3:0x80
	v_and_b32_e32 v170, s58, v62
	s_delay_alu instid0(VALU_DEP_2) | instskip(NEXT) | instid1(VALU_DEP_1)
	v_add_co_u32 v62, s17, v63, -1
	v_cndmask_b32_e64 v63, 0, 1, s17
	s_delay_alu instid0(VALU_DEP_3) | instskip(SKIP_1) | instid1(VALU_DEP_3)
	v_dual_lshlrev_b32 v168, 30, v170 :: v_dual_lshlrev_b32 v169, 29, v170
	v_dual_lshlrev_b32 v171, 28, v170 :: v_dual_lshlrev_b32 v172, 27, v170
	v_cmp_ne_u32_e32 vcc_lo, 0, v63
	s_delay_alu instid0(VALU_DEP_3)
	v_cmp_gt_i32_e64 s17, 0, v168
	v_not_b32_e32 v63, v168
	v_not_b32_e32 v168, v169
	v_dual_lshlrev_b32 v173, 26, v170 :: v_dual_lshlrev_b32 v174, 25, v170
	v_cmp_gt_i32_e64 s18, 0, v169
	v_cmp_gt_i32_e64 s19, 0, v171
	v_not_b32_e32 v169, v171
	v_not_b32_e32 v171, v172
	v_dual_ashrrev_i32 v63, 31, v63 :: v_dual_ashrrev_i32 v168, 31, v168
	v_cmp_gt_i32_e64 s20, 0, v172
	v_cmp_gt_i32_e64 s21, 0, v173
	v_not_b32_e32 v172, v173
	v_bitop3_b32 v62, vcc_lo, exec_lo, v62 bitop3:0x48
	v_dual_ashrrev_i32 v169, 31, v169 :: v_dual_ashrrev_i32 v171, 31, v171
	v_xor_b32_e32 v168, s18, v168
	s_delay_alu instid0(VALU_DEP_4) | instskip(SKIP_1) | instid1(VALU_DEP_4)
	v_dual_ashrrev_i32 v172, 31, v172 :: v_dual_bitop2_b32 v63, s17, v63 bitop3:0x14
	v_not_b32_e32 v173, v174
	v_xor_b32_e32 v169, s19, v169
	v_xor_b32_e32 v171, s20, v171
	s_delay_alu instid0(VALU_DEP_4)
	v_bitop3_b32 v62, v62, v168, v63 bitop3:0x80
	v_cmp_gt_i32_e32 vcc_lo, 0, v174
	v_ashrrev_i32_e32 v63, 31, v173
	v_mad_u32_u24 v168, v170, 36, v114
	v_xor_b32_e32 v172, s21, v172
	v_bitop3_b32 v62, v62, v171, v169 bitop3:0x80
	s_delay_alu instid0(VALU_DEP_4) | instskip(SKIP_3) | instid1(VALU_DEP_2)
	v_xor_b32_e32 v63, vcc_lo, v63
	ds_load_b32 v168, v168 offset:544
	; wave barrier
	v_bitop3_b32 v62, v62, v63, v172 bitop3:0x80
	v_mul_u32_u24_e32 v63, 36, v170
	v_mbcnt_lo_u32_b32 v169, v62, 0
	v_cmp_ne_u32_e64 s17, 0, v62
	s_delay_alu instid0(VALU_DEP_3) | instskip(NEXT) | instid1(VALU_DEP_3)
	v_add_nc_u32_e32 v170, v114, v63
	v_cmp_eq_u32_e32 vcc_lo, 0, v169
	s_and_b32 s18, s17, vcc_lo
	s_delay_alu instid0(SALU_CYCLE_1)
	s_and_saveexec_b32 s17, s18
	s_cbranch_execz .LBB419_769
; %bb.768:                              ;   in Loop: Header=BB419_730 Depth=2
	s_wait_dscnt 0x0
	v_bcnt_u32_b32 v62, v62, v168
	ds_store_b32 v170, v62 offset:544
.LBB419_769:                            ;   in Loop: Header=BB419_730 Depth=2
	s_or_b32 exec_lo, exec_lo, s17
	v_bitop3_b16 v62, v138, s43, 0x80 bitop3:0x48
	; wave barrier
	s_delay_alu instid0(VALU_DEP_1) | instskip(NEXT) | instid1(VALU_DEP_1)
	v_and_b32_e32 v62, 0xffff, v62
	v_lshrrev_b32_e32 v62, s49, v62
	s_delay_alu instid0(VALU_DEP_1) | instskip(NEXT) | instid1(VALU_DEP_1)
	v_and_b32_e32 v173, s58, v62
	v_lshlrev_b32_e32 v171, 30, v173
	v_bitop3_b32 v63, v62, 1, s58 bitop3:0x80
	s_delay_alu instid0(VALU_DEP_1) | instskip(NEXT) | instid1(VALU_DEP_1)
	v_add_co_u32 v62, s17, v63, -1
	v_cndmask_b32_e64 v63, 0, 1, s17
	s_delay_alu instid0(VALU_DEP_4) | instskip(NEXT) | instid1(VALU_DEP_2)
	v_cmp_gt_i32_e64 s17, 0, v171
	v_cmp_ne_u32_e32 vcc_lo, 0, v63
	v_not_b32_e32 v63, v171
	v_bitop3_b32 v62, vcc_lo, exec_lo, v62 bitop3:0x48
	s_delay_alu instid0(VALU_DEP_2) | instskip(SKIP_2) | instid1(VALU_DEP_3)
	v_dual_ashrrev_i32 v63, 31, v63 :: v_dual_lshlrev_b32 v172, 29, v173
	v_dual_lshlrev_b32 v174, 28, v173 :: v_dual_lshlrev_b32 v175, 27, v173
	v_lshlrev_b32_e32 v176, 26, v173
	v_not_b32_e32 v171, v172
	v_lshlrev_b32_e32 v177, 25, v173
	v_cmp_gt_i32_e64 s18, 0, v172
	v_cmp_gt_i32_e64 s19, 0, v174
	v_not_b32_e32 v172, v174
	v_ashrrev_i32_e32 v171, 31, v171
	v_cmp_gt_i32_e64 s20, 0, v175
	v_not_b32_e32 v174, v175
	v_cmp_gt_i32_e64 s21, 0, v176
	v_not_b32_e32 v175, v176
	v_not_b32_e32 v176, v177
	v_xor_b32_e32 v63, s17, v63
	v_dual_ashrrev_i32 v172, 31, v172 :: v_dual_bitop2_b32 v171, s18, v171 bitop3:0x14
	s_delay_alu instid0(VALU_DEP_3) | instskip(SKIP_1) | instid1(VALU_DEP_3)
	v_dual_ashrrev_i32 v174, 31, v174 :: v_dual_ashrrev_i32 v176, 31, v176
	v_cmp_gt_i32_e64 s22, 0, v177
	v_bitop3_b32 v62, v62, v171, v63 bitop3:0x80
	v_mad_u32_u24 v63, v173, 36, v114
	v_dual_ashrrev_i32 v175, 31, v175 :: v_dual_bitop2_b32 v172, s19, v172 bitop3:0x14
	s_delay_alu instid0(VALU_DEP_4) | instskip(SKIP_4) | instid1(VALU_DEP_3)
	v_xor_b32_e32 v176, s22, v176
	ds_load_b32 v171, v63 offset:544
	v_mul_u32_u24_e32 v63, 36, v173
	v_xor_b32_e32 v174, s20, v174
	v_xor_b32_e32 v175, s21, v175
	; wave barrier
	v_add_nc_u32_e32 v173, v114, v63
	s_delay_alu instid0(VALU_DEP_3) | instskip(NEXT) | instid1(VALU_DEP_1)
	v_bitop3_b32 v62, v62, v174, v172 bitop3:0x80
	v_bitop3_b32 v62, v62, v176, v175 bitop3:0x80
	s_delay_alu instid0(VALU_DEP_1) | instskip(SKIP_1) | instid1(VALU_DEP_2)
	v_mbcnt_lo_u32_b32 v172, v62, 0
	v_cmp_ne_u32_e64 s17, 0, v62
	v_cmp_eq_u32_e32 vcc_lo, 0, v172
	s_and_b32 s18, s17, vcc_lo
	s_delay_alu instid0(SALU_CYCLE_1)
	s_and_saveexec_b32 s17, s18
	s_cbranch_execz .LBB419_771
; %bb.770:                              ;   in Loop: Header=BB419_730 Depth=2
	s_wait_dscnt 0x0
	v_bcnt_u32_b32 v62, v62, v171
	ds_store_b32 v173, v62 offset:544
.LBB419_771:                            ;   in Loop: Header=BB419_730 Depth=2
	s_or_b32 exec_lo, exec_lo, s17
	v_xor_b32_e32 v62, 0x80, v141
	v_xor_b32_e32 v63, 0x80, v140
	;; [unrolled: 1-line block ×4, first 2 shown]
	s_delay_alu instid0(VALU_DEP_4) | instskip(NEXT) | instid1(VALU_DEP_4)
	v_lshlrev_b16 v62, 8, v62
	v_lshlrev_b16 v63, 8, v63
	; wave barrier
	s_delay_alu instid0(VALU_DEP_2) | instskip(NEXT) | instid1(VALU_DEP_2)
	v_bitop3_b16 v138, v138, v62, 0xff bitop3:0xec
	v_bitop3_b16 v62, v139, v63, 0xff bitop3:0xec
	s_delay_alu instid0(VALU_DEP_2) | instskip(NEXT) | instid1(VALU_DEP_2)
	v_and_b32_e32 v63, 0xffff, v138
	v_lshlrev_b32_e32 v62, 16, v62
	s_delay_alu instid0(VALU_DEP_1) | instskip(NEXT) | instid1(VALU_DEP_1)
	v_or_b32_e32 v139, v63, v62
	v_bfe_u32 v62, v139, 8, 8
	s_delay_alu instid0(VALU_DEP_1) | instskip(NEXT) | instid1(VALU_DEP_1)
	v_lshrrev_b32_e32 v62, s49, v62
	v_bitop3_b32 v63, v62, 1, s58 bitop3:0x80
	v_and_b32_e32 v174, s58, v62
	s_delay_alu instid0(VALU_DEP_2) | instskip(NEXT) | instid1(VALU_DEP_1)
	v_add_co_u32 v62, s17, v63, -1
	v_cndmask_b32_e64 v63, 0, 1, s17
	s_delay_alu instid0(VALU_DEP_3) | instskip(NEXT) | instid1(VALU_DEP_2)
	v_dual_lshlrev_b32 v140, 30, v174 :: v_dual_lshlrev_b32 v141, 29, v174
	v_cmp_ne_u32_e32 vcc_lo, 0, v63
	s_delay_alu instid0(VALU_DEP_2) | instskip(SKIP_1) | instid1(VALU_DEP_4)
	v_cmp_gt_i32_e64 s17, 0, v140
	v_not_b32_e32 v63, v140
	v_not_b32_e32 v140, v141
	v_cmp_gt_i32_e64 s18, 0, v141
	v_bitop3_b32 v62, vcc_lo, exec_lo, v62 bitop3:0x48
	s_delay_alu instid0(VALU_DEP_3) | instskip(SKIP_2) | instid1(VALU_DEP_2)
	v_dual_ashrrev_i32 v63, 31, v63 :: v_dual_ashrrev_i32 v140, 31, v140
	v_dual_lshlrev_b32 v175, 28, v174 :: v_dual_lshlrev_b32 v176, 27, v174
	v_dual_lshlrev_b32 v177, 26, v174 :: v_dual_lshlrev_b32 v178, 25, v174
	v_cmp_gt_i32_e64 s19, 0, v175
	v_not_b32_e32 v141, v175
	s_delay_alu instid0(VALU_DEP_4)
	v_cmp_gt_i32_e64 s20, 0, v176
	v_not_b32_e32 v175, v176
	v_cmp_gt_i32_e64 s21, 0, v177
	v_not_b32_e32 v176, v177
	v_not_b32_e32 v177, v178
	v_xor_b32_e32 v63, s17, v63
	v_dual_ashrrev_i32 v141, 31, v141 :: v_dual_bitop2_b32 v140, s18, v140 bitop3:0x14
	s_delay_alu instid0(VALU_DEP_4) | instskip(NEXT) | instid1(VALU_DEP_4)
	v_dual_ashrrev_i32 v175, 31, v175 :: v_dual_ashrrev_i32 v176, 31, v176
	v_ashrrev_i32_e32 v177, 31, v177
	s_delay_alu instid0(VALU_DEP_3)
	v_bitop3_b32 v62, v62, v140, v63 bitop3:0x80
	v_mad_u32_u24 v63, v174, 36, v114
	v_cmp_gt_i32_e64 s22, 0, v178
	v_xor_b32_e32 v175, s20, v175
	v_xor_b32_e32 v176, s21, v176
	ds_load_b32 v140, v63 offset:544
	v_mul_u32_u24_e32 v63, 36, v174
	v_xor_b32_e32 v141, s19, v141
	v_xor_b32_e32 v177, s22, v177
	; wave barrier
	s_delay_alu instid0(VALU_DEP_3) | instskip(NEXT) | instid1(VALU_DEP_3)
	v_add_nc_u32_e32 v174, v114, v63
	v_bitop3_b32 v62, v62, v175, v141 bitop3:0x80
	s_delay_alu instid0(VALU_DEP_1) | instskip(NEXT) | instid1(VALU_DEP_1)
	v_bitop3_b32 v62, v62, v177, v176 bitop3:0x80
	v_mbcnt_lo_u32_b32 v141, v62, 0
	v_cmp_ne_u32_e64 s17, 0, v62
	s_delay_alu instid0(VALU_DEP_2) | instskip(SKIP_1) | instid1(SALU_CYCLE_1)
	v_cmp_eq_u32_e32 vcc_lo, 0, v141
	s_and_b32 s18, s17, vcc_lo
	s_and_saveexec_b32 s17, s18
	s_cbranch_execz .LBB419_773
; %bb.772:                              ;   in Loop: Header=BB419_730 Depth=2
	s_wait_dscnt 0x0
	v_bcnt_u32_b32 v62, v62, v140
	ds_store_b32 v174, v62 offset:544
.LBB419_773:                            ;   in Loop: Header=BB419_730 Depth=2
	s_or_b32 exec_lo, exec_lo, s17
	v_bfe_u32 v62, v139, 16, 8
	; wave barrier
	s_delay_alu instid0(VALU_DEP_1) | instskip(NEXT) | instid1(VALU_DEP_1)
	v_lshrrev_b32_e32 v62, s49, v62
	v_and_b32_e32 v177, s58, v62
	s_delay_alu instid0(VALU_DEP_1) | instskip(SKIP_1) | instid1(VALU_DEP_1)
	v_lshlrev_b32_e32 v175, 30, v177
	v_bitop3_b32 v63, v62, 1, s58 bitop3:0x80
	v_add_co_u32 v62, s17, v63, -1
	s_delay_alu instid0(VALU_DEP_1) | instskip(NEXT) | instid1(VALU_DEP_4)
	v_cndmask_b32_e64 v63, 0, 1, s17
	v_cmp_gt_i32_e64 s17, 0, v175
	s_delay_alu instid0(VALU_DEP_2) | instskip(SKIP_2) | instid1(VALU_DEP_2)
	v_cmp_ne_u32_e32 vcc_lo, 0, v63
	v_not_b32_e32 v63, v175
	v_bitop3_b32 v62, vcc_lo, exec_lo, v62 bitop3:0x48
	v_dual_ashrrev_i32 v63, 31, v63 :: v_dual_lshlrev_b32 v176, 29, v177
	v_dual_lshlrev_b32 v178, 28, v177 :: v_dual_lshlrev_b32 v179, 27, v177
	s_delay_alu instid0(VALU_DEP_2) | instskip(NEXT) | instid1(VALU_DEP_3)
	v_dual_lshlrev_b32 v180, 26, v177 :: v_dual_bitop2_b32 v63, s17, v63 bitop3:0x14
	v_not_b32_e32 v175, v176
	v_lshlrev_b32_e32 v181, 25, v177
	v_cmp_gt_i32_e64 s18, 0, v176
	v_cmp_gt_i32_e64 s19, 0, v178
	v_not_b32_e32 v176, v178
	v_not_b32_e32 v178, v179
	v_ashrrev_i32_e32 v175, 31, v175
	v_cmp_gt_i32_e64 s20, 0, v179
	v_cmp_gt_i32_e64 s21, 0, v180
	v_not_b32_e32 v179, v180
	v_dual_ashrrev_i32 v176, 31, v176 :: v_dual_ashrrev_i32 v178, 31, v178
	v_not_b32_e32 v180, v181
	v_xor_b32_e32 v175, s18, v175
	s_delay_alu instid0(VALU_DEP_3) | instskip(NEXT) | instid1(VALU_DEP_4)
	v_dual_ashrrev_i32 v179, 31, v179 :: v_dual_bitop2_b32 v176, s19, v176 bitop3:0x14
	v_xor_b32_e32 v178, s20, v178
	v_cmp_gt_i32_e32 vcc_lo, 0, v181
	s_delay_alu instid0(VALU_DEP_4) | instskip(SKIP_3) | instid1(VALU_DEP_4)
	v_bitop3_b32 v62, v62, v175, v63 bitop3:0x80
	v_ashrrev_i32_e32 v63, 31, v180
	v_mad_u32_u24 v175, v177, 36, v114
	v_xor_b32_e32 v179, s21, v179
	v_bitop3_b32 v62, v62, v178, v176 bitop3:0x80
	s_delay_alu instid0(VALU_DEP_4) | instskip(SKIP_3) | instid1(VALU_DEP_2)
	v_xor_b32_e32 v63, vcc_lo, v63
	ds_load_b32 v175, v175 offset:544
	; wave barrier
	v_bitop3_b32 v62, v62, v63, v179 bitop3:0x80
	v_mul_u32_u24_e32 v63, 36, v177
	v_mbcnt_lo_u32_b32 v176, v62, 0
	v_cmp_ne_u32_e64 s17, 0, v62
	s_delay_alu instid0(VALU_DEP_3) | instskip(NEXT) | instid1(VALU_DEP_3)
	v_add_nc_u32_e32 v178, v114, v63
	v_cmp_eq_u32_e32 vcc_lo, 0, v176
	s_and_b32 s18, s17, vcc_lo
	s_delay_alu instid0(SALU_CYCLE_1)
	s_and_saveexec_b32 s17, s18
	s_cbranch_execz .LBB419_775
; %bb.774:                              ;   in Loop: Header=BB419_730 Depth=2
	s_wait_dscnt 0x0
	v_bcnt_u32_b32 v62, v62, v175
	ds_store_b32 v178, v62 offset:544
.LBB419_775:                            ;   in Loop: Header=BB419_730 Depth=2
	s_or_b32 exec_lo, exec_lo, s17
	v_lshrrev_b32_e32 v177, 24, v139
	; wave barrier
	s_delay_alu instid0(VALU_DEP_1) | instskip(NEXT) | instid1(VALU_DEP_1)
	v_lshrrev_b32_e32 v62, s49, v177
	v_bitop3_b32 v63, v62, 1, s58 bitop3:0x80
	v_and_b32_e32 v181, s58, v62
	s_delay_alu instid0(VALU_DEP_2) | instskip(NEXT) | instid1(VALU_DEP_1)
	v_add_co_u32 v62, s17, v63, -1
	v_cndmask_b32_e64 v63, 0, 1, s17
	s_delay_alu instid0(VALU_DEP_3) | instskip(SKIP_1) | instid1(VALU_DEP_3)
	v_dual_lshlrev_b32 v179, 30, v181 :: v_dual_lshlrev_b32 v180, 29, v181
	v_dual_lshlrev_b32 v182, 28, v181 :: v_dual_lshlrev_b32 v183, 27, v181
	v_cmp_ne_u32_e32 vcc_lo, 0, v63
	s_delay_alu instid0(VALU_DEP_3)
	v_cmp_gt_i32_e64 s17, 0, v179
	v_not_b32_e32 v63, v179
	v_not_b32_e32 v179, v180
	v_dual_lshlrev_b32 v184, 26, v181 :: v_dual_lshlrev_b32 v185, 25, v181
	v_cmp_gt_i32_e64 s18, 0, v180
	v_cmp_gt_i32_e64 s19, 0, v182
	v_not_b32_e32 v180, v182
	v_not_b32_e32 v182, v183
	v_ashrrev_i32_e32 v63, 31, v63
	v_ashrrev_i32_e32 v179, 31, v179
	v_cmp_gt_i32_e64 s20, 0, v183
	v_cmp_gt_i32_e64 s21, 0, v184
	v_not_b32_e32 v183, v184
	v_bitop3_b32 v62, vcc_lo, exec_lo, v62 bitop3:0x48
	v_dual_ashrrev_i32 v180, 31, v180 :: v_dual_ashrrev_i32 v182, 31, v182
	v_xor_b32_e32 v63, s17, v63
	v_not_b32_e32 v184, v185
	v_xor_b32_e32 v179, s18, v179
	s_delay_alu instid0(VALU_DEP_4) | instskip(SKIP_2) | instid1(VALU_DEP_4)
	v_dual_ashrrev_i32 v183, 31, v183 :: v_dual_bitop2_b32 v180, s19, v180 bitop3:0x14
	v_xor_b32_e32 v182, s20, v182
	v_cmp_gt_i32_e32 vcc_lo, 0, v185
	v_bitop3_b32 v62, v62, v179, v63 bitop3:0x80
	v_ashrrev_i32_e32 v63, 31, v184
	v_mad_u32_u24 v179, v181, 36, v114
	v_xor_b32_e32 v183, s21, v183
	s_delay_alu instid0(VALU_DEP_4) | instskip(NEXT) | instid1(VALU_DEP_4)
	v_bitop3_b32 v62, v62, v182, v180 bitop3:0x80
	v_xor_b32_e32 v63, vcc_lo, v63
	ds_load_b32 v179, v179 offset:544
	; wave barrier
	v_bitop3_b32 v62, v62, v63, v183 bitop3:0x80
	v_mul_u32_u24_e32 v63, 36, v181
	s_delay_alu instid0(VALU_DEP_2) | instskip(SKIP_1) | instid1(VALU_DEP_3)
	v_mbcnt_lo_u32_b32 v180, v62, 0
	v_cmp_ne_u32_e64 s17, 0, v62
	v_add_nc_u32_e32 v181, v114, v63
	s_delay_alu instid0(VALU_DEP_3) | instskip(SKIP_1) | instid1(SALU_CYCLE_1)
	v_cmp_eq_u32_e32 vcc_lo, 0, v180
	s_and_b32 s18, s17, vcc_lo
	s_and_saveexec_b32 s17, s18
	s_cbranch_execz .LBB419_777
; %bb.776:                              ;   in Loop: Header=BB419_730 Depth=2
	s_wait_dscnt 0x0
	v_bcnt_u32_b32 v62, v62, v179
	ds_store_b32 v181, v62 offset:544
.LBB419_777:                            ;   in Loop: Header=BB419_730 Depth=2
	s_or_b32 exec_lo, exec_lo, s17
	v_bitop3_b16 v62, v64, s43, 0x80 bitop3:0x48
	; wave barrier
	s_delay_alu instid0(VALU_DEP_1) | instskip(NEXT) | instid1(VALU_DEP_1)
	v_and_b32_e32 v62, 0xffff, v62
	v_lshrrev_b32_e32 v62, s49, v62
	s_delay_alu instid0(VALU_DEP_1) | instskip(NEXT) | instid1(VALU_DEP_1)
	v_and_b32_e32 v184, s58, v62
	v_lshlrev_b32_e32 v182, 30, v184
	v_bitop3_b32 v63, v62, 1, s58 bitop3:0x80
	s_delay_alu instid0(VALU_DEP_1) | instskip(NEXT) | instid1(VALU_DEP_1)
	v_add_co_u32 v62, s17, v63, -1
	v_cndmask_b32_e64 v63, 0, 1, s17
	s_delay_alu instid0(VALU_DEP_4) | instskip(NEXT) | instid1(VALU_DEP_2)
	v_cmp_gt_i32_e64 s17, 0, v182
	v_cmp_ne_u32_e32 vcc_lo, 0, v63
	v_not_b32_e32 v63, v182
	v_bitop3_b32 v62, vcc_lo, exec_lo, v62 bitop3:0x48
	s_delay_alu instid0(VALU_DEP_2) | instskip(SKIP_2) | instid1(VALU_DEP_3)
	v_dual_ashrrev_i32 v63, 31, v63 :: v_dual_lshlrev_b32 v183, 29, v184
	v_dual_lshlrev_b32 v185, 28, v184 :: v_dual_lshlrev_b32 v186, 27, v184
	v_lshlrev_b32_e32 v187, 26, v184
	v_not_b32_e32 v182, v183
	v_lshlrev_b32_e32 v188, 25, v184
	v_cmp_gt_i32_e64 s18, 0, v183
	v_cmp_gt_i32_e64 s19, 0, v185
	v_not_b32_e32 v183, v185
	v_not_b32_e32 v185, v186
	v_ashrrev_i32_e32 v182, 31, v182
	v_cmp_gt_i32_e64 s20, 0, v186
	v_cmp_gt_i32_e64 s21, 0, v187
	v_not_b32_e32 v186, v187
	v_not_b32_e32 v187, v188
	v_dual_ashrrev_i32 v183, 31, v183 :: v_dual_ashrrev_i32 v185, 31, v185
	s_delay_alu instid0(VALU_DEP_3) | instskip(NEXT) | instid1(VALU_DEP_3)
	v_dual_ashrrev_i32 v186, 31, v186 :: v_dual_bitop2_b32 v63, s17, v63 bitop3:0x14
	v_dual_ashrrev_i32 v187, 31, v187 :: v_dual_bitop2_b32 v182, s18, v182 bitop3:0x14
	v_cmp_gt_i32_e64 s22, 0, v188
	s_delay_alu instid0(VALU_DEP_4) | instskip(SKIP_1) | instid1(VALU_DEP_4)
	v_xor_b32_e32 v183, s19, v183
	v_xor_b32_e32 v185, s20, v185
	v_bitop3_b32 v62, v62, v182, v63 bitop3:0x80
	v_mad_u32_u24 v63, v184, 36, v114
	v_xor_b32_e32 v187, s22, v187
	s_delay_alu instid0(VALU_DEP_3) | instskip(SKIP_3) | instid1(VALU_DEP_2)
	v_bitop3_b32 v62, v62, v185, v183 bitop3:0x80
	ds_load_b32 v182, v63 offset:544
	v_mul_u32_u24_e32 v63, 36, v184
	v_xor_b32_e32 v186, s21, v186
	; wave barrier
	v_add_nc_u32_e32 v185, v114, v63
	s_delay_alu instid0(VALU_DEP_2) | instskip(NEXT) | instid1(VALU_DEP_1)
	v_bitop3_b32 v62, v62, v187, v186 bitop3:0x80
	v_mbcnt_lo_u32_b32 v183, v62, 0
	v_cmp_ne_u32_e64 s17, 0, v62
	s_delay_alu instid0(VALU_DEP_2) | instskip(SKIP_1) | instid1(SALU_CYCLE_1)
	v_cmp_eq_u32_e32 vcc_lo, 0, v183
	s_and_b32 s18, s17, vcc_lo
	s_and_saveexec_b32 s17, s18
	s_cbranch_execz .LBB419_779
; %bb.778:                              ;   in Loop: Header=BB419_730 Depth=2
	s_wait_dscnt 0x0
	v_bcnt_u32_b32 v62, v62, v182
	ds_store_b32 v185, v62 offset:544
.LBB419_779:                            ;   in Loop: Header=BB419_730 Depth=2
	s_or_b32 exec_lo, exec_lo, s17
	v_xor_b32_e32 v62, 0x80, v136
	v_xor_b32_e32 v63, 0x80, v135
	;; [unrolled: 1-line block ×4, first 2 shown]
	s_delay_alu instid0(VALU_DEP_4) | instskip(NEXT) | instid1(VALU_DEP_4)
	v_lshlrev_b16 v62, 8, v62
	v_lshlrev_b16 v63, 8, v63
	; wave barrier
	s_delay_alu instid0(VALU_DEP_2) | instskip(NEXT) | instid1(VALU_DEP_2)
	v_bitop3_b16 v184, v64, v62, 0xff bitop3:0xec
	v_bitop3_b16 v62, v65, v63, 0xff bitop3:0xec
	s_delay_alu instid0(VALU_DEP_2) | instskip(NEXT) | instid1(VALU_DEP_2)
	v_and_b32_e32 v63, 0xffff, v184
	v_lshlrev_b32_e32 v62, 16, v62
	s_delay_alu instid0(VALU_DEP_1) | instskip(NEXT) | instid1(VALU_DEP_1)
	v_or_b32_e32 v135, v63, v62
	v_bfe_u32 v62, v135, 8, 8
	s_delay_alu instid0(VALU_DEP_1) | instskip(NEXT) | instid1(VALU_DEP_1)
	v_lshrrev_b32_e32 v62, s49, v62
	v_bitop3_b32 v63, v62, 1, s58 bitop3:0x80
	v_and_b32_e32 v64, s58, v62
	s_delay_alu instid0(VALU_DEP_2) | instskip(NEXT) | instid1(VALU_DEP_1)
	v_add_co_u32 v62, s17, v63, -1
	v_cndmask_b32_e64 v63, 0, 1, s17
	s_delay_alu instid0(VALU_DEP_3) | instskip(NEXT) | instid1(VALU_DEP_2)
	v_lshlrev_b32_e32 v65, 30, v64
	v_cmp_ne_u32_e32 vcc_lo, 0, v63
	s_delay_alu instid0(VALU_DEP_2) | instskip(SKIP_2) | instid1(VALU_DEP_3)
	v_not_b32_e32 v63, v65
	v_cmp_gt_i32_e64 s17, 0, v65
	v_bitop3_b32 v62, vcc_lo, exec_lo, v62 bitop3:0x48
	v_dual_ashrrev_i32 v63, 31, v63 :: v_dual_lshlrev_b32 v136, 29, v64
	v_dual_lshlrev_b32 v186, 28, v64 :: v_dual_lshlrev_b32 v187, 27, v64
	v_lshlrev_b32_e32 v188, 26, v64
	s_delay_alu instid0(VALU_DEP_3)
	v_not_b32_e32 v65, v136
	v_lshlrev_b32_e32 v189, 25, v64
	v_cmp_gt_i32_e64 s18, 0, v136
	v_cmp_gt_i32_e64 s19, 0, v186
	v_not_b32_e32 v136, v186
	v_not_b32_e32 v186, v187
	v_ashrrev_i32_e32 v65, 31, v65
	v_cmp_gt_i32_e64 s20, 0, v187
	v_cmp_gt_i32_e64 s21, 0, v188
	v_not_b32_e32 v187, v188
	v_not_b32_e32 v188, v189
	v_dual_ashrrev_i32 v136, 31, v136 :: v_dual_ashrrev_i32 v186, 31, v186
	v_xor_b32_e32 v63, s17, v63
	s_delay_alu instid0(VALU_DEP_4)
	v_dual_ashrrev_i32 v187, 31, v187 :: v_dual_bitop2_b32 v65, s18, v65 bitop3:0x14
	v_cmp_gt_i32_e64 s22, 0, v189
	v_ashrrev_i32_e32 v188, 31, v188
	v_xor_b32_e32 v136, s19, v136
	v_xor_b32_e32 v186, s20, v186
	v_bitop3_b32 v62, v62, v65, v63 bitop3:0x80
	v_mad_u32_u24 v63, v64, 36, v114
	v_xor_b32_e32 v65, s21, v187
	v_xor_b32_e32 v187, s22, v188
	s_delay_alu instid0(VALU_DEP_4) | instskip(SKIP_3) | instid1(VALU_DEP_2)
	v_bitop3_b32 v62, v62, v186, v136 bitop3:0x80
	ds_load_b32 v136, v63 offset:544
	v_mul_u32_u24_e32 v63, 36, v64
	; wave barrier
	v_bitop3_b32 v62, v62, v187, v65 bitop3:0x80
	v_add_nc_u32_e32 v187, v114, v63
	s_delay_alu instid0(VALU_DEP_2) | instskip(SKIP_1) | instid1(VALU_DEP_2)
	v_mbcnt_lo_u32_b32 v186, v62, 0
	v_cmp_ne_u32_e64 s17, 0, v62
	v_cmp_eq_u32_e32 vcc_lo, 0, v186
	s_and_b32 s18, s17, vcc_lo
	s_delay_alu instid0(SALU_CYCLE_1)
	s_and_saveexec_b32 s17, s18
	s_cbranch_execz .LBB419_781
; %bb.780:                              ;   in Loop: Header=BB419_730 Depth=2
	s_wait_dscnt 0x0
	v_bcnt_u32_b32 v62, v62, v136
	ds_store_b32 v187, v62 offset:544
.LBB419_781:                            ;   in Loop: Header=BB419_730 Depth=2
	s_or_b32 exec_lo, exec_lo, s17
	v_bfe_u32 v62, v135, 16, 8
	; wave barrier
	s_delay_alu instid0(VALU_DEP_1) | instskip(NEXT) | instid1(VALU_DEP_1)
	v_lshrrev_b32_e32 v62, s49, v62
	v_and_b32_e32 v64, s58, v62
	s_delay_alu instid0(VALU_DEP_1) | instskip(SKIP_1) | instid1(VALU_DEP_1)
	v_lshlrev_b32_e32 v65, 30, v64
	v_bitop3_b32 v63, v62, 1, s58 bitop3:0x80
	v_add_co_u32 v62, s17, v63, -1
	s_delay_alu instid0(VALU_DEP_1) | instskip(NEXT) | instid1(VALU_DEP_4)
	v_cndmask_b32_e64 v63, 0, 1, s17
	v_cmp_gt_i32_e64 s17, 0, v65
	s_delay_alu instid0(VALU_DEP_2) | instskip(SKIP_2) | instid1(VALU_DEP_2)
	v_cmp_ne_u32_e32 vcc_lo, 0, v63
	v_not_b32_e32 v63, v65
	v_bitop3_b32 v62, vcc_lo, exec_lo, v62 bitop3:0x48
	v_dual_ashrrev_i32 v63, 31, v63 :: v_dual_lshlrev_b32 v188, 29, v64
	v_dual_lshlrev_b32 v189, 28, v64 :: v_dual_lshlrev_b32 v190, 27, v64
	v_lshlrev_b32_e32 v191, 26, v64
	s_delay_alu instid0(VALU_DEP_3)
	v_not_b32_e32 v65, v188
	v_lshlrev_b32_e32 v192, 25, v64
	v_cmp_gt_i32_e64 s18, 0, v188
	v_cmp_gt_i32_e64 s19, 0, v189
	v_not_b32_e32 v188, v189
	v_not_b32_e32 v189, v190
	v_ashrrev_i32_e32 v65, 31, v65
	v_cmp_gt_i32_e64 s20, 0, v190
	v_cmp_gt_i32_e64 s21, 0, v191
	v_not_b32_e32 v190, v191
	v_dual_ashrrev_i32 v188, 31, v188 :: v_dual_ashrrev_i32 v189, 31, v189
	v_xor_b32_e32 v63, s17, v63
	v_not_b32_e32 v191, v192
	s_delay_alu instid0(VALU_DEP_4) | instskip(NEXT) | instid1(VALU_DEP_4)
	v_dual_ashrrev_i32 v190, 31, v190 :: v_dual_bitop2_b32 v65, s18, v65 bitop3:0x14
	v_xor_b32_e32 v188, s19, v188
	v_xor_b32_e32 v189, s20, v189
	v_cmp_gt_i32_e32 vcc_lo, 0, v192
	s_delay_alu instid0(VALU_DEP_4) | instskip(SKIP_3) | instid1(VALU_DEP_4)
	v_bitop3_b32 v62, v62, v65, v63 bitop3:0x80
	v_ashrrev_i32_e32 v63, 31, v191
	v_mad_u32_u24 v65, v64, 36, v114
	v_xor_b32_e32 v190, s21, v190
	v_bitop3_b32 v62, v62, v189, v188 bitop3:0x80
	s_delay_alu instid0(VALU_DEP_4) | instskip(SKIP_3) | instid1(VALU_DEP_2)
	v_xor_b32_e32 v63, vcc_lo, v63
	ds_load_b32 v188, v65 offset:544
	; wave barrier
	v_bitop3_b32 v62, v62, v63, v190 bitop3:0x80
	v_mul_u32_u24_e32 v63, 36, v64
	v_mbcnt_lo_u32_b32 v189, v62, 0
	v_cmp_ne_u32_e64 s17, 0, v62
	s_delay_alu instid0(VALU_DEP_3) | instskip(NEXT) | instid1(VALU_DEP_3)
	v_add_nc_u32_e32 v191, v114, v63
	v_cmp_eq_u32_e32 vcc_lo, 0, v189
	s_and_b32 s18, s17, vcc_lo
	s_delay_alu instid0(SALU_CYCLE_1)
	s_and_saveexec_b32 s17, s18
	s_cbranch_execz .LBB419_783
; %bb.782:                              ;   in Loop: Header=BB419_730 Depth=2
	s_wait_dscnt 0x0
	v_bcnt_u32_b32 v62, v62, v188
	ds_store_b32 v191, v62 offset:544
.LBB419_783:                            ;   in Loop: Header=BB419_730 Depth=2
	s_or_b32 exec_lo, exec_lo, s17
	v_lshrrev_b32_e32 v190, 24, v135
	; wave barrier
	s_delay_alu instid0(VALU_DEP_1) | instskip(NEXT) | instid1(VALU_DEP_1)
	v_lshrrev_b32_e32 v62, s49, v190
	v_and_b32_e32 v64, s58, v62
	s_delay_alu instid0(VALU_DEP_1) | instskip(SKIP_3) | instid1(VALU_DEP_3)
	v_lshlrev_b32_e32 v65, 30, v64
	v_bitop3_b32 v63, v62, 1, s58 bitop3:0x80
	v_dual_lshlrev_b32 v192, 29, v64 :: v_dual_lshlrev_b32 v193, 28, v64
	v_dual_lshlrev_b32 v194, 27, v64 :: v_dual_lshlrev_b32 v195, 26, v64
	v_add_co_u32 v62, s17, v63, -1
	s_delay_alu instid0(VALU_DEP_1)
	v_cndmask_b32_e64 v63, 0, 1, s17
	v_cmp_gt_i32_e64 s17, 0, v65
	v_cmp_gt_i32_e64 s18, 0, v192
	;; [unrolled: 1-line block ×4, first 2 shown]
	v_cmp_ne_u32_e32 vcc_lo, 0, v63
	v_not_b32_e32 v63, v65
	v_not_b32_e32 v65, v192
	v_lshlrev_b32_e32 v196, 25, v64
	v_not_b32_e32 v192, v193
	v_not_b32_e32 v193, v194
	s_delay_alu instid0(VALU_DEP_4)
	v_dual_ashrrev_i32 v63, 31, v63 :: v_dual_ashrrev_i32 v65, 31, v65
	v_cmp_gt_i32_e64 s21, 0, v195
	v_not_b32_e32 v194, v195
	v_bitop3_b32 v62, vcc_lo, exec_lo, v62 bitop3:0x48
	v_dual_ashrrev_i32 v192, 31, v192 :: v_dual_ashrrev_i32 v193, 31, v193
	v_xor_b32_e32 v63, s17, v63
	s_delay_alu instid0(VALU_DEP_4) | instskip(SKIP_1) | instid1(VALU_DEP_4)
	v_dual_ashrrev_i32 v194, 31, v194 :: v_dual_bitop2_b32 v65, s18, v65 bitop3:0x14
	v_not_b32_e32 v195, v196
	v_xor_b32_e32 v192, s19, v192
	v_xor_b32_e32 v193, s20, v193
	s_delay_alu instid0(VALU_DEP_4)
	v_bitop3_b32 v62, v62, v65, v63 bitop3:0x80
	v_cmp_gt_i32_e32 vcc_lo, 0, v196
	v_ashrrev_i32_e32 v63, 31, v195
	v_mad_u32_u24 v65, v64, 36, v114
	v_xor_b32_e32 v194, s21, v194
	v_bitop3_b32 v62, v62, v193, v192 bitop3:0x80
	s_delay_alu instid0(VALU_DEP_4) | instskip(SKIP_3) | instid1(VALU_DEP_2)
	v_xor_b32_e32 v63, vcc_lo, v63
	ds_load_b32 v192, v65 offset:544
	; wave barrier
	v_bitop3_b32 v62, v62, v63, v194 bitop3:0x80
	v_mul_u32_u24_e32 v63, 36, v64
	v_mbcnt_lo_u32_b32 v193, v62, 0
	v_cmp_ne_u32_e64 s17, 0, v62
	s_delay_alu instid0(VALU_DEP_3) | instskip(NEXT) | instid1(VALU_DEP_3)
	v_add_nc_u32_e32 v194, v114, v63
	v_cmp_eq_u32_e32 vcc_lo, 0, v193
	s_and_b32 s18, s17, vcc_lo
	s_delay_alu instid0(SALU_CYCLE_1)
	s_and_saveexec_b32 s17, s18
	s_cbranch_execz .LBB419_785
; %bb.784:                              ;   in Loop: Header=BB419_730 Depth=2
	s_wait_dscnt 0x0
	v_bcnt_u32_b32 v62, v62, v192
	ds_store_b32 v194, v62 offset:544
.LBB419_785:                            ;   in Loop: Header=BB419_730 Depth=2
	s_or_b32 exec_lo, exec_lo, s17
	v_xor_b32_e32 v115, 0xffffff80, v115
	; wave barrier
	s_delay_alu instid0(VALU_DEP_1) | instskip(NEXT) | instid1(VALU_DEP_1)
	v_and_b32_e32 v62, 0xff, v115
	v_lshrrev_b32_e32 v62, s49, v62
	s_delay_alu instid0(VALU_DEP_1) | instskip(NEXT) | instid1(VALU_DEP_1)
	v_and_b32_e32 v64, s58, v62
	v_lshlrev_b32_e32 v65, 30, v64
	v_bitop3_b32 v63, v62, 1, s58 bitop3:0x80
	s_delay_alu instid0(VALU_DEP_1) | instskip(NEXT) | instid1(VALU_DEP_1)
	v_add_co_u32 v62, s17, v63, -1
	v_cndmask_b32_e64 v63, 0, 1, s17
	s_delay_alu instid0(VALU_DEP_4) | instskip(NEXT) | instid1(VALU_DEP_2)
	v_cmp_gt_i32_e64 s17, 0, v65
	v_cmp_ne_u32_e32 vcc_lo, 0, v63
	v_not_b32_e32 v63, v65
	v_bitop3_b32 v62, vcc_lo, exec_lo, v62 bitop3:0x48
	s_delay_alu instid0(VALU_DEP_2) | instskip(SKIP_2) | instid1(VALU_DEP_3)
	v_dual_ashrrev_i32 v63, 31, v63 :: v_dual_lshlrev_b32 v195, 29, v64
	v_dual_lshlrev_b32 v196, 28, v64 :: v_dual_lshlrev_b32 v197, 27, v64
	v_lshlrev_b32_e32 v198, 26, v64
	v_not_b32_e32 v65, v195
	v_lshlrev_b32_e32 v199, 25, v64
	v_cmp_gt_i32_e64 s18, 0, v195
	v_cmp_gt_i32_e64 s19, 0, v196
	v_not_b32_e32 v195, v196
	v_not_b32_e32 v196, v197
	v_ashrrev_i32_e32 v65, 31, v65
	v_cmp_gt_i32_e64 s20, 0, v197
	v_cmp_gt_i32_e64 s21, 0, v198
	v_not_b32_e32 v197, v198
	v_not_b32_e32 v198, v199
	v_dual_ashrrev_i32 v195, 31, v195 :: v_dual_ashrrev_i32 v196, 31, v196
	s_delay_alu instid0(VALU_DEP_3) | instskip(NEXT) | instid1(VALU_DEP_3)
	v_dual_ashrrev_i32 v197, 31, v197 :: v_dual_bitop2_b32 v63, s17, v63 bitop3:0x14
	v_dual_ashrrev_i32 v198, 31, v198 :: v_dual_bitop2_b32 v65, s18, v65 bitop3:0x14
	v_cmp_gt_i32_e64 s22, 0, v199
	s_delay_alu instid0(VALU_DEP_4) | instskip(SKIP_1) | instid1(VALU_DEP_4)
	v_xor_b32_e32 v195, s19, v195
	v_xor_b32_e32 v196, s20, v196
	v_bitop3_b32 v62, v62, v65, v63 bitop3:0x80
	v_mad_u32_u24 v63, v64, 36, v114
	v_xor_b32_e32 v65, s21, v197
	v_xor_b32_e32 v197, s22, v198
	s_delay_alu instid0(VALU_DEP_4) | instskip(SKIP_3) | instid1(VALU_DEP_2)
	v_bitop3_b32 v62, v62, v196, v195 bitop3:0x80
	ds_load_b32 v195, v63 offset:544
	v_mul_u32_u24_e32 v63, 36, v64
	; wave barrier
	v_bitop3_b32 v62, v62, v197, v65 bitop3:0x80
	v_add_nc_u32_e32 v197, v114, v63
	s_delay_alu instid0(VALU_DEP_2) | instskip(SKIP_1) | instid1(VALU_DEP_2)
	v_mbcnt_lo_u32_b32 v196, v62, 0
	v_cmp_ne_u32_e64 s17, 0, v62
	v_cmp_eq_u32_e32 vcc_lo, 0, v196
	s_and_b32 s18, s17, vcc_lo
	s_delay_alu instid0(SALU_CYCLE_1)
	s_and_saveexec_b32 s17, s18
	s_cbranch_execz .LBB419_787
; %bb.786:                              ;   in Loop: Header=BB419_730 Depth=2
	s_wait_dscnt 0x0
	v_bcnt_u32_b32 v62, v62, v195
	ds_store_b32 v197, v62 offset:544
.LBB419_787:                            ;   in Loop: Header=BB419_730 Depth=2
	s_or_b32 exec_lo, exec_lo, s17
	; wave barrier
	s_wait_dscnt 0x0
	s_barrier_signal -1
	s_barrier_wait -1
	ds_load_2addr_b32 v[64:65], v90 offset0:136 offset1:137
	ds_load_2addr_b32 v[62:63], v90 offset0:138 offset1:139
	ds_load_b32 v198, v90 offset:560
	s_wait_dscnt 0x1
	v_add3_u32 v199, v65, v64, v62
	s_wait_dscnt 0x0
	s_delay_alu instid0(VALU_DEP_1) | instskip(NEXT) | instid1(VALU_DEP_1)
	v_add3_u32 v198, v199, v63, v198
	v_mov_b32_dpp v199, v198 row_shr:1 row_mask:0xf bank_mask:0xf
	s_delay_alu instid0(VALU_DEP_1) | instskip(NEXT) | instid1(VALU_DEP_1)
	v_cndmask_b32_e64 v199, v199, 0, s8
	v_add_nc_u32_e32 v198, v199, v198
	s_delay_alu instid0(VALU_DEP_1) | instskip(NEXT) | instid1(VALU_DEP_1)
	v_mov_b32_dpp v199, v198 row_shr:2 row_mask:0xf bank_mask:0xf
	v_cndmask_b32_e64 v199, 0, v199, s9
	s_delay_alu instid0(VALU_DEP_1) | instskip(NEXT) | instid1(VALU_DEP_1)
	v_add_nc_u32_e32 v198, v198, v199
	v_mov_b32_dpp v199, v198 row_shr:4 row_mask:0xf bank_mask:0xf
	s_delay_alu instid0(VALU_DEP_1) | instskip(NEXT) | instid1(VALU_DEP_1)
	v_cndmask_b32_e64 v199, 0, v199, s10
	v_add_nc_u32_e32 v198, v198, v199
	s_delay_alu instid0(VALU_DEP_1) | instskip(NEXT) | instid1(VALU_DEP_1)
	v_mov_b32_dpp v199, v198 row_shr:8 row_mask:0xf bank_mask:0xf
	v_cndmask_b32_e64 v199, 0, v199, s11
	s_delay_alu instid0(VALU_DEP_1) | instskip(SKIP_3) | instid1(VALU_DEP_1)
	v_add_nc_u32_e32 v198, v198, v199
	ds_swizzle_b32 v199, v198 offset:swizzle(BROADCAST,32,15)
	s_wait_dscnt 0x0
	v_cndmask_b32_e64 v199, v199, 0, s12
	v_add_nc_u32_e32 v198, v198, v199
	s_and_saveexec_b32 s17, s2
; %bb.788:                              ;   in Loop: Header=BB419_730 Depth=2
	ds_store_b32 v83, v198 offset:512
; %bb.789:                              ;   in Loop: Header=BB419_730 Depth=2
	s_or_b32 exec_lo, exec_lo, s17
	s_wait_dscnt 0x0
	s_barrier_signal -1
	s_barrier_wait -1
	s_and_saveexec_b32 s17, s3
	s_cbranch_execz .LBB419_791
; %bb.790:                              ;   in Loop: Header=BB419_730 Depth=2
	ds_load_b32 v199, v92 offset:512
	s_wait_dscnt 0x0
	v_mov_b32_dpp v200, v199 row_shr:1 row_mask:0xf bank_mask:0xf
	s_delay_alu instid0(VALU_DEP_1) | instskip(NEXT) | instid1(VALU_DEP_1)
	v_cndmask_b32_e64 v200, v200, 0, s14
	v_add_nc_u32_e32 v199, v200, v199
	s_delay_alu instid0(VALU_DEP_1) | instskip(NEXT) | instid1(VALU_DEP_1)
	v_mov_b32_dpp v200, v199 row_shr:2 row_mask:0xf bank_mask:0xf
	v_cndmask_b32_e64 v200, 0, v200, s15
	s_delay_alu instid0(VALU_DEP_1) | instskip(NEXT) | instid1(VALU_DEP_1)
	v_add_nc_u32_e32 v199, v199, v200
	v_mov_b32_dpp v200, v199 row_shr:4 row_mask:0xf bank_mask:0xf
	s_delay_alu instid0(VALU_DEP_1) | instskip(NEXT) | instid1(VALU_DEP_1)
	v_cndmask_b32_e64 v200, 0, v200, s16
	v_add_nc_u32_e32 v199, v199, v200
	ds_store_b32 v92, v199 offset:512
.LBB419_791:                            ;   in Loop: Header=BB419_730 Depth=2
	s_or_b32 exec_lo, exec_lo, s17
	v_mov_b32_e32 v199, 0
	s_wait_dscnt 0x0
	s_barrier_signal -1
	s_barrier_wait -1
	s_and_saveexec_b32 s17, s5
; %bb.792:                              ;   in Loop: Header=BB419_730 Depth=2
	ds_load_b32 v199, v83 offset:508
; %bb.793:                              ;   in Loop: Header=BB419_730 Depth=2
	s_or_b32 exec_lo, exec_lo, s17
	s_wait_dscnt 0x0
	v_add_nc_u32_e32 v198, v199, v198
	ds_bpermute_b32 v198, v96, v198
	s_wait_dscnt 0x0
	v_cndmask_b32_e64 v198, v198, v199, s13
	s_delay_alu instid0(VALU_DEP_1) | instskip(NEXT) | instid1(VALU_DEP_1)
	v_cndmask_b32_e64 v198, v198, 0, s6
	v_add_nc_u32_e32 v64, v198, v64
	s_delay_alu instid0(VALU_DEP_1) | instskip(NEXT) | instid1(VALU_DEP_1)
	v_add_nc_u32_e32 v65, v64, v65
	v_add_nc_u32_e32 v62, v65, v62
	s_delay_alu instid0(VALU_DEP_1)
	v_add_nc_u32_e32 v63, v62, v63
	ds_store_2addr_b32 v90, v198, v64 offset0:136 offset1:137
	ds_store_2addr_b32 v90, v65, v62 offset0:138 offset1:139
	ds_store_b32 v90, v63 offset:560
	s_wait_dscnt 0x0
	s_barrier_signal -1
	s_barrier_wait -1
	ds_load_b32 v62, v149 offset:544
	ds_load_b32 v63, v152 offset:544
	;; [unrolled: 1-line block ×17, first 2 shown]
	s_and_saveexec_b32 s17, s0
	s_cbranch_execz .LBB419_797
; %bb.794:                              ;   in Loop: Header=BB419_730 Depth=2
	v_dual_mov_b32 v134, 0x1100 :: v_dual_add_nc_u32 v133, v92, v94
	ds_load_b32 v133, v133 offset:544
	s_and_saveexec_b32 s18, s7
; %bb.795:                              ;   in Loop: Header=BB419_730 Depth=2
	ds_load_b32 v134, v93 offset:544
; %bb.796:                              ;   in Loop: Header=BB419_730 Depth=2
	s_or_b32 exec_lo, exec_lo, s18
	s_wait_dscnt 0x0
	v_sub_nc_u32_e32 v134, v134, v133
.LBB419_797:                            ;   in Loop: Header=BB419_730 Depth=2
	s_or_b32 exec_lo, exec_lo, s17
	v_dual_lshrrev_b32 v202, 8, v148 :: v_dual_lshrrev_b32 v203, 16, v148
	v_dual_lshrrev_b32 v200, 8, v143 :: v_dual_lshrrev_b32 v201, 16, v143
	;; [unrolled: 1-line block ×4, first 2 shown]
	s_wait_dscnt 0x0
	s_barrier_signal -1
	s_barrier_wait -1
	s_and_saveexec_b32 s17, s0
	s_cbranch_execz .LBB419_799
; %bb.798:                              ;   in Loop: Header=BB419_730 Depth=2
	ds_load_b32 v135, v66
	s_wait_dscnt 0x0
	v_sub_nc_u32_e32 v135, v135, v133
	ds_store_b32 v66, v135
.LBB419_799:                            ;   in Loop: Header=BB419_730 Depth=2
	s_or_b32 exec_lo, exec_lo, s17
	v_add_nc_u32_e32 v156, v62, v146
	v_add3_u32 v152, v151, v150, v63
	v_add3_u32 v151, v154, v153, v64
	;; [unrolled: 1-line block ×16, first 2 shown]
	v_cmp_lt_u32_e32 vcc_lo, v2, v137
	ds_store_b8 v156, v147 offset:512
	ds_store_b8 v152, v202 offset:512
	;; [unrolled: 1-line block ×17, first 2 shown]
	s_wait_dscnt 0x0
	s_barrier_signal -1
	s_barrier_wait -1
	s_and_saveexec_b32 s17, vcc_lo
	s_cbranch_execnz .LBB419_872
; %bb.800:                              ;   in Loop: Header=BB419_730 Depth=2
	s_or_b32 exec_lo, exec_lo, s17
	v_cmp_lt_u32_e64 s17, v67, v137
	s_and_saveexec_b32 s18, s17
	s_cbranch_execnz .LBB419_873
.LBB419_801:                            ;   in Loop: Header=BB419_730 Depth=2
	s_or_b32 exec_lo, exec_lo, s18
	v_cmp_lt_u32_e64 s18, v68, v137
	s_and_saveexec_b32 s19, s18
	s_cbranch_execnz .LBB419_874
.LBB419_802:                            ;   in Loop: Header=BB419_730 Depth=2
	s_or_b32 exec_lo, exec_lo, s19
	v_cmp_lt_u32_e64 s19, v69, v137
	s_and_saveexec_b32 s20, s19
	s_cbranch_execnz .LBB419_875
.LBB419_803:                            ;   in Loop: Header=BB419_730 Depth=2
	s_or_b32 exec_lo, exec_lo, s20
	v_cmp_lt_u32_e64 s20, v70, v137
	s_and_saveexec_b32 s21, s20
	s_cbranch_execnz .LBB419_876
.LBB419_804:                            ;   in Loop: Header=BB419_730 Depth=2
	s_or_b32 exec_lo, exec_lo, s21
	v_cmp_lt_u32_e64 s21, v71, v137
	s_and_saveexec_b32 s22, s21
	s_cbranch_execnz .LBB419_877
.LBB419_805:                            ;   in Loop: Header=BB419_730 Depth=2
	s_or_b32 exec_lo, exec_lo, s22
	v_cmp_lt_u32_e64 s22, v72, v137
	s_and_saveexec_b32 s23, s22
	s_cbranch_execnz .LBB419_878
.LBB419_806:                            ;   in Loop: Header=BB419_730 Depth=2
	s_or_b32 exec_lo, exec_lo, s23
	v_cmp_lt_u32_e64 s23, v73, v137
	s_and_saveexec_b32 s24, s23
	s_cbranch_execnz .LBB419_879
.LBB419_807:                            ;   in Loop: Header=BB419_730 Depth=2
	s_or_b32 exec_lo, exec_lo, s24
	v_cmp_lt_u32_e64 s24, v74, v137
	s_and_saveexec_b32 s25, s24
	s_cbranch_execnz .LBB419_880
.LBB419_808:                            ;   in Loop: Header=BB419_730 Depth=2
	s_or_b32 exec_lo, exec_lo, s25
	v_cmp_lt_u32_e64 s25, v75, v137
	s_and_saveexec_b32 s26, s25
	s_cbranch_execnz .LBB419_881
.LBB419_809:                            ;   in Loop: Header=BB419_730 Depth=2
	s_or_b32 exec_lo, exec_lo, s26
	v_cmp_lt_u32_e64 s26, v76, v137
	s_and_saveexec_b32 s27, s26
	s_cbranch_execnz .LBB419_882
.LBB419_810:                            ;   in Loop: Header=BB419_730 Depth=2
	s_or_b32 exec_lo, exec_lo, s27
	v_cmp_lt_u32_e64 s27, v77, v137
	s_and_saveexec_b32 s28, s27
	s_cbranch_execnz .LBB419_883
.LBB419_811:                            ;   in Loop: Header=BB419_730 Depth=2
	s_or_b32 exec_lo, exec_lo, s28
	v_cmp_lt_u32_e64 s28, v78, v137
	s_and_saveexec_b32 s29, s28
	s_cbranch_execnz .LBB419_884
.LBB419_812:                            ;   in Loop: Header=BB419_730 Depth=2
	s_or_b32 exec_lo, exec_lo, s29
	v_cmp_lt_u32_e64 s29, v79, v137
	s_and_saveexec_b32 s30, s29
	s_cbranch_execnz .LBB419_885
.LBB419_813:                            ;   in Loop: Header=BB419_730 Depth=2
	s_or_b32 exec_lo, exec_lo, s30
	v_cmp_lt_u32_e64 s30, v80, v137
	s_and_saveexec_b32 s31, s30
	s_cbranch_execnz .LBB419_886
.LBB419_814:                            ;   in Loop: Header=BB419_730 Depth=2
	s_or_b32 exec_lo, exec_lo, s31
	v_cmp_lt_u32_e64 s31, v81, v137
	s_and_saveexec_b32 s33, s31
	s_cbranch_execnz .LBB419_887
.LBB419_815:                            ;   in Loop: Header=BB419_730 Depth=2
	s_or_b32 exec_lo, exec_lo, s33
	v_cmp_lt_u32_e64 s33, v82, v137
	s_and_saveexec_b32 s61, s33
	s_cbranch_execz .LBB419_817
.LBB419_816:                            ;   in Loop: Header=BB419_730 Depth=2
	ds_load_u8 v62, v2 offset:4608
	s_wait_dscnt 0x0
	v_and_b32_e32 v63, 0xff, v62
	v_xor_b32_e32 v62, 0x80, v62
	s_delay_alu instid0(VALU_DEP_2) | instskip(NEXT) | instid1(VALU_DEP_1)
	v_lshrrev_b32_e32 v63, s49, v63
	v_and_b32_e32 v63, s58, v63
	s_delay_alu instid0(VALU_DEP_1)
	v_lshlrev_b32_e32 v63, 2, v63
	ds_load_b32 v63, v63
	s_wait_dscnt 0x0
	v_add_nc_u32_e32 v63, v63, v82
	global_store_b8 v63, v62, s[38:39]
.LBB419_817:                            ;   in Loop: Header=BB419_730 Depth=2
	s_wait_xcnt 0x0
	s_or_b32 exec_lo, exec_lo, s61
	v_lshl_add_u64 v[62:63], s[34:35], 3, v[26:27]
	v_cmp_lt_u32_e64 s34, v97, v137
	s_and_saveexec_b32 s61, s34
	s_delay_alu instid0(SALU_CYCLE_1)
	s_xor_b32 s34, exec_lo, s61
	s_cbranch_execnz .LBB419_888
; %bb.818:                              ;   in Loop: Header=BB419_730 Depth=2
	s_or_b32 exec_lo, exec_lo, s34
	s_delay_alu instid0(SALU_CYCLE_1)
	s_mov_b32 s61, exec_lo
	v_cmpx_lt_u32_e64 v98, v137
	s_cbranch_execnz .LBB419_889
.LBB419_819:                            ;   in Loop: Header=BB419_730 Depth=2
	s_or_b32 exec_lo, exec_lo, s61
	s_delay_alu instid0(SALU_CYCLE_1)
	s_mov_b32 s61, exec_lo
	v_cmpx_lt_u32_e64 v99, v137
	s_cbranch_execnz .LBB419_890
.LBB419_820:                            ;   in Loop: Header=BB419_730 Depth=2
	s_or_b32 exec_lo, exec_lo, s61
	s_delay_alu instid0(SALU_CYCLE_1)
	s_mov_b32 s61, exec_lo
	v_cmpx_lt_u32_e64 v100, v137
	s_cbranch_execnz .LBB419_891
.LBB419_821:                            ;   in Loop: Header=BB419_730 Depth=2
	s_or_b32 exec_lo, exec_lo, s61
	s_delay_alu instid0(SALU_CYCLE_1)
	s_mov_b32 s61, exec_lo
	v_cmpx_lt_u32_e64 v101, v137
	s_cbranch_execnz .LBB419_892
.LBB419_822:                            ;   in Loop: Header=BB419_730 Depth=2
	s_or_b32 exec_lo, exec_lo, s61
	s_delay_alu instid0(SALU_CYCLE_1)
	s_mov_b32 s61, exec_lo
	v_cmpx_lt_u32_e64 v102, v137
	s_cbranch_execnz .LBB419_893
.LBB419_823:                            ;   in Loop: Header=BB419_730 Depth=2
	s_or_b32 exec_lo, exec_lo, s61
	s_delay_alu instid0(SALU_CYCLE_1)
	s_mov_b32 s61, exec_lo
	v_cmpx_lt_u32_e64 v103, v137
	s_cbranch_execnz .LBB419_894
.LBB419_824:                            ;   in Loop: Header=BB419_730 Depth=2
	s_or_b32 exec_lo, exec_lo, s61
	s_delay_alu instid0(SALU_CYCLE_1)
	s_mov_b32 s61, exec_lo
	v_cmpx_lt_u32_e64 v104, v137
	s_cbranch_execnz .LBB419_895
.LBB419_825:                            ;   in Loop: Header=BB419_730 Depth=2
	s_or_b32 exec_lo, exec_lo, s61
	s_delay_alu instid0(SALU_CYCLE_1)
	s_mov_b32 s61, exec_lo
	v_cmpx_lt_u32_e64 v105, v137
	s_cbranch_execnz .LBB419_896
.LBB419_826:                            ;   in Loop: Header=BB419_730 Depth=2
	s_or_b32 exec_lo, exec_lo, s61
	s_delay_alu instid0(SALU_CYCLE_1)
	s_mov_b32 s61, exec_lo
	v_cmpx_lt_u32_e64 v106, v137
	s_cbranch_execnz .LBB419_897
.LBB419_827:                            ;   in Loop: Header=BB419_730 Depth=2
	s_or_b32 exec_lo, exec_lo, s61
	s_delay_alu instid0(SALU_CYCLE_1)
	s_mov_b32 s61, exec_lo
	v_cmpx_lt_u32_e64 v107, v137
	s_cbranch_execnz .LBB419_898
.LBB419_828:                            ;   in Loop: Header=BB419_730 Depth=2
	s_or_b32 exec_lo, exec_lo, s61
	s_delay_alu instid0(SALU_CYCLE_1)
	s_mov_b32 s61, exec_lo
	v_cmpx_lt_u32_e64 v108, v137
	s_cbranch_execnz .LBB419_899
.LBB419_829:                            ;   in Loop: Header=BB419_730 Depth=2
	s_or_b32 exec_lo, exec_lo, s61
	s_delay_alu instid0(SALU_CYCLE_1)
	s_mov_b32 s61, exec_lo
	v_cmpx_lt_u32_e64 v109, v137
	s_cbranch_execnz .LBB419_900
.LBB419_830:                            ;   in Loop: Header=BB419_730 Depth=2
	s_or_b32 exec_lo, exec_lo, s61
	s_delay_alu instid0(SALU_CYCLE_1)
	s_mov_b32 s61, exec_lo
	v_cmpx_lt_u32_e64 v110, v137
	s_cbranch_execnz .LBB419_901
.LBB419_831:                            ;   in Loop: Header=BB419_730 Depth=2
	s_or_b32 exec_lo, exec_lo, s61
	s_delay_alu instid0(SALU_CYCLE_1)
	s_mov_b32 s61, exec_lo
	v_cmpx_lt_u32_e64 v111, v137
	s_cbranch_execnz .LBB419_902
.LBB419_832:                            ;   in Loop: Header=BB419_730 Depth=2
	s_or_b32 exec_lo, exec_lo, s61
	s_delay_alu instid0(SALU_CYCLE_1)
	s_mov_b32 s61, exec_lo
	v_cmpx_lt_u32_e64 v112, v137
	s_cbranch_execnz .LBB419_903
.LBB419_833:                            ;   in Loop: Header=BB419_730 Depth=2
	s_or_b32 exec_lo, exec_lo, s61
	s_delay_alu instid0(SALU_CYCLE_1)
	s_mov_b32 s61, exec_lo
	v_cmpx_lt_u32_e64 v113, v137
	s_cbranch_execnz .LBB419_904
.LBB419_834:                            ;   in Loop: Header=BB419_730 Depth=2
	s_or_b32 exec_lo, exec_lo, s61
	s_and_saveexec_b32 s34, vcc_lo
	s_cbranch_execnz .LBB419_905
.LBB419_835:                            ;   in Loop: Header=BB419_730 Depth=2
	s_or_b32 exec_lo, exec_lo, s34
	s_and_saveexec_b32 s34, s17
	s_cbranch_execnz .LBB419_906
.LBB419_836:                            ;   in Loop: Header=BB419_730 Depth=2
	s_or_b32 exec_lo, exec_lo, s34
	s_and_saveexec_b32 s34, s18
	s_cbranch_execnz .LBB419_907
.LBB419_837:                            ;   in Loop: Header=BB419_730 Depth=2
	s_or_b32 exec_lo, exec_lo, s34
	s_and_saveexec_b32 s34, s19
	s_cbranch_execnz .LBB419_908
.LBB419_838:                            ;   in Loop: Header=BB419_730 Depth=2
	s_or_b32 exec_lo, exec_lo, s34
	s_and_saveexec_b32 s34, s20
	s_cbranch_execnz .LBB419_909
.LBB419_839:                            ;   in Loop: Header=BB419_730 Depth=2
	s_or_b32 exec_lo, exec_lo, s34
	s_and_saveexec_b32 s34, s21
	s_cbranch_execnz .LBB419_910
.LBB419_840:                            ;   in Loop: Header=BB419_730 Depth=2
	s_or_b32 exec_lo, exec_lo, s34
	s_and_saveexec_b32 s34, s22
	s_cbranch_execnz .LBB419_911
.LBB419_841:                            ;   in Loop: Header=BB419_730 Depth=2
	s_or_b32 exec_lo, exec_lo, s34
	s_and_saveexec_b32 s34, s23
	s_cbranch_execnz .LBB419_912
.LBB419_842:                            ;   in Loop: Header=BB419_730 Depth=2
	s_or_b32 exec_lo, exec_lo, s34
	s_and_saveexec_b32 s34, s24
	s_cbranch_execnz .LBB419_913
.LBB419_843:                            ;   in Loop: Header=BB419_730 Depth=2
	s_or_b32 exec_lo, exec_lo, s34
	s_and_saveexec_b32 s34, s25
	s_cbranch_execnz .LBB419_914
.LBB419_844:                            ;   in Loop: Header=BB419_730 Depth=2
	s_or_b32 exec_lo, exec_lo, s34
	s_and_saveexec_b32 s34, s26
	s_cbranch_execnz .LBB419_915
.LBB419_845:                            ;   in Loop: Header=BB419_730 Depth=2
	s_or_b32 exec_lo, exec_lo, s34
	s_and_saveexec_b32 s34, s27
	s_cbranch_execnz .LBB419_916
.LBB419_846:                            ;   in Loop: Header=BB419_730 Depth=2
	s_or_b32 exec_lo, exec_lo, s34
	s_and_saveexec_b32 s34, s28
	s_cbranch_execnz .LBB419_917
.LBB419_847:                            ;   in Loop: Header=BB419_730 Depth=2
	s_or_b32 exec_lo, exec_lo, s34
	s_and_saveexec_b32 s34, s29
	s_cbranch_execnz .LBB419_918
.LBB419_848:                            ;   in Loop: Header=BB419_730 Depth=2
	s_or_b32 exec_lo, exec_lo, s34
	s_and_saveexec_b32 s34, s30
	s_cbranch_execnz .LBB419_919
.LBB419_849:                            ;   in Loop: Header=BB419_730 Depth=2
	s_or_b32 exec_lo, exec_lo, s34
	s_and_saveexec_b32 s34, s31
	s_cbranch_execnz .LBB419_920
.LBB419_850:                            ;   in Loop: Header=BB419_730 Depth=2
	s_or_b32 exec_lo, exec_lo, s34
	s_and_saveexec_b32 s34, s33
	s_cbranch_execz .LBB419_852
.LBB419_851:                            ;   in Loop: Header=BB419_730 Depth=2
	ds_load_u8 v62, v2 offset:4608
	s_wait_dscnt 0x0
	v_lshrrev_b32_e32 v62, s49, v62
	s_delay_alu instid0(VALU_DEP_1)
	v_and_b32_e32 v116, s58, v62
.LBB419_852:                            ;   in Loop: Header=BB419_730 Depth=2
	s_or_b32 exec_lo, exec_lo, s34
	v_lshlrev_b32_e32 v62, 3, v156
	v_lshlrev_b32_e32 v63, 3, v152
	s_wait_loadcnt 0x0
	s_wait_storecnt 0x0
	s_barrier_signal -1
	s_barrier_wait -1
	ds_store_b64 v62, v[60:61] offset:512
	ds_store_b64 v63, v[58:59] offset:512
	v_dual_lshlrev_b32 v62, 3, v151 :: v_dual_lshlrev_b32 v63, 3, v150
	v_dual_lshlrev_b32 v137, 3, v149 :: v_dual_lshlrev_b32 v138, 3, v148
	v_lshlrev_b32_e32 v142, 3, v146
	ds_store_b64 v62, v[56:57] offset:512
	ds_store_b64 v63, v[54:55] offset:512
	ds_store_b64 v137, v[52:53] offset:512
	ds_store_b64 v138, v[50:51] offset:512
	ds_store_b64 v142, v[48:49] offset:512
	v_dual_lshlrev_b32 v62, 3, v145 :: v_dual_lshlrev_b32 v63, 3, v144
	v_dual_lshlrev_b32 v137, 3, v143 :: v_dual_lshlrev_b32 v138, 3, v141
	v_lshlrev_b32_e32 v140, 3, v140
	ds_store_b64 v62, v[46:47] offset:512
	ds_store_b64 v63, v[44:45] offset:512
	ds_store_b64 v137, v[42:43] offset:512
	ds_store_b64 v138, v[40:41] offset:512
	ds_store_b64 v140, v[38:39] offset:512
	v_dual_lshlrev_b32 v62, 3, v139 :: v_dual_lshlrev_b32 v63, 3, v136
	v_dual_lshlrev_b32 v135, 3, v135 :: v_dual_lshlrev_b32 v65, 3, v65
	v_lshlrev_b32_e32 v64, 3, v64
	ds_store_b64 v62, v[36:37] offset:512
	ds_store_b64 v63, v[34:35] offset:512
	ds_store_b64 v135, v[32:33] offset:512
	ds_store_b64 v65, v[30:31] offset:512
	ds_store_b64 v64, v[28:29] offset:512
	s_wait_dscnt 0x0
	s_barrier_signal -1
	s_barrier_wait -1
	s_and_saveexec_b32 s34, vcc_lo
	s_cbranch_execnz .LBB419_921
; %bb.853:                              ;   in Loop: Header=BB419_730 Depth=2
	s_or_b32 exec_lo, exec_lo, s34
	s_and_saveexec_b32 s34, s17
	s_cbranch_execnz .LBB419_922
.LBB419_854:                            ;   in Loop: Header=BB419_730 Depth=2
	s_or_b32 exec_lo, exec_lo, s34
	s_and_saveexec_b32 s17, s18
	s_cbranch_execnz .LBB419_923
.LBB419_855:                            ;   in Loop: Header=BB419_730 Depth=2
	s_or_b32 exec_lo, exec_lo, s17
	s_and_saveexec_b32 s17, s19
	s_cbranch_execnz .LBB419_924
.LBB419_856:                            ;   in Loop: Header=BB419_730 Depth=2
	s_or_b32 exec_lo, exec_lo, s17
	s_and_saveexec_b32 s17, s20
	s_cbranch_execnz .LBB419_925
.LBB419_857:                            ;   in Loop: Header=BB419_730 Depth=2
	s_or_b32 exec_lo, exec_lo, s17
	s_and_saveexec_b32 s17, s21
	s_cbranch_execnz .LBB419_926
.LBB419_858:                            ;   in Loop: Header=BB419_730 Depth=2
	s_or_b32 exec_lo, exec_lo, s17
	s_and_saveexec_b32 s17, s22
	s_cbranch_execnz .LBB419_927
.LBB419_859:                            ;   in Loop: Header=BB419_730 Depth=2
	s_or_b32 exec_lo, exec_lo, s17
	s_and_saveexec_b32 s17, s23
	s_cbranch_execnz .LBB419_928
.LBB419_860:                            ;   in Loop: Header=BB419_730 Depth=2
	s_or_b32 exec_lo, exec_lo, s17
	s_and_saveexec_b32 s17, s24
	s_cbranch_execnz .LBB419_929
.LBB419_861:                            ;   in Loop: Header=BB419_730 Depth=2
	s_or_b32 exec_lo, exec_lo, s17
	s_and_saveexec_b32 s17, s25
	s_cbranch_execnz .LBB419_930
.LBB419_862:                            ;   in Loop: Header=BB419_730 Depth=2
	s_or_b32 exec_lo, exec_lo, s17
	s_and_saveexec_b32 s17, s26
	s_cbranch_execnz .LBB419_931
.LBB419_863:                            ;   in Loop: Header=BB419_730 Depth=2
	s_or_b32 exec_lo, exec_lo, s17
	s_and_saveexec_b32 s17, s27
	s_cbranch_execnz .LBB419_932
.LBB419_864:                            ;   in Loop: Header=BB419_730 Depth=2
	s_or_b32 exec_lo, exec_lo, s17
	s_and_saveexec_b32 s17, s28
	s_cbranch_execnz .LBB419_933
.LBB419_865:                            ;   in Loop: Header=BB419_730 Depth=2
	s_or_b32 exec_lo, exec_lo, s17
	s_and_saveexec_b32 s17, s29
	s_cbranch_execnz .LBB419_934
.LBB419_866:                            ;   in Loop: Header=BB419_730 Depth=2
	s_or_b32 exec_lo, exec_lo, s17
	s_and_saveexec_b32 s17, s30
	s_cbranch_execnz .LBB419_935
.LBB419_867:                            ;   in Loop: Header=BB419_730 Depth=2
	s_or_b32 exec_lo, exec_lo, s17
	s_and_saveexec_b32 s17, s31
	s_cbranch_execnz .LBB419_936
.LBB419_868:                            ;   in Loop: Header=BB419_730 Depth=2
	s_or_b32 exec_lo, exec_lo, s17
	s_and_saveexec_b32 s17, s33
	s_cbranch_execz .LBB419_870
.LBB419_869:                            ;   in Loop: Header=BB419_730 Depth=2
	v_dual_lshlrev_b32 v62, 2, v116 :: v_dual_add_nc_u32 v63, v2, v95
	ds_load_b32 v64, v62
	ds_load_b64 v[62:63], v63 offset:33280
	s_wait_dscnt 0x1
	v_add_nc_u32_e32 v64, v64, v82
	s_wait_dscnt 0x0
	global_store_b64 v64, v[62:63], s[44:45] scale_offset
.LBB419_870:                            ;   in Loop: Header=BB419_730 Depth=2
	s_wait_xcnt 0x0
	s_or_b32 exec_lo, exec_lo, s17
	s_wait_storecnt 0x0
	s_barrier_signal -1
	s_barrier_wait -1
	s_and_saveexec_b32 s17, s0
	s_cbranch_execz .LBB419_729
; %bb.871:                              ;   in Loop: Header=BB419_730 Depth=2
	ds_load_b32 v62, v66
	s_wait_dscnt 0x0
	v_add3_u32 v62, v133, v134, v62
	ds_store_b32 v66, v62
	s_branch .LBB419_729
.LBB419_872:                            ;   in Loop: Header=BB419_730 Depth=2
	ds_load_u8 v62, v2 offset:512
	s_wait_dscnt 0x0
	v_and_b32_e32 v63, 0xff, v62
	v_xor_b32_e32 v62, 0x80, v62
	s_delay_alu instid0(VALU_DEP_2) | instskip(NEXT) | instid1(VALU_DEP_1)
	v_lshrrev_b32_e32 v63, s49, v63
	v_and_b32_e32 v63, s58, v63
	s_delay_alu instid0(VALU_DEP_1)
	v_lshlrev_b32_e32 v63, 2, v63
	ds_load_b32 v63, v63
	s_wait_dscnt 0x0
	v_add_nc_u32_e32 v63, v63, v2
	global_store_b8 v63, v62, s[38:39]
	s_wait_xcnt 0x0
	s_or_b32 exec_lo, exec_lo, s17
	v_cmp_lt_u32_e64 s17, v67, v137
	s_and_saveexec_b32 s18, s17
	s_cbranch_execz .LBB419_801
.LBB419_873:                            ;   in Loop: Header=BB419_730 Depth=2
	ds_load_u8 v62, v2 offset:768
	s_wait_dscnt 0x0
	v_and_b32_e32 v63, 0xff, v62
	v_xor_b32_e32 v62, 0x80, v62
	s_delay_alu instid0(VALU_DEP_2) | instskip(NEXT) | instid1(VALU_DEP_1)
	v_lshrrev_b32_e32 v63, s49, v63
	v_and_b32_e32 v63, s58, v63
	s_delay_alu instid0(VALU_DEP_1)
	v_lshlrev_b32_e32 v63, 2, v63
	ds_load_b32 v63, v63
	s_wait_dscnt 0x0
	v_add_nc_u32_e32 v63, v63, v67
	global_store_b8 v63, v62, s[38:39]
	s_wait_xcnt 0x0
	s_or_b32 exec_lo, exec_lo, s18
	v_cmp_lt_u32_e64 s18, v68, v137
	s_and_saveexec_b32 s19, s18
	s_cbranch_execz .LBB419_802
.LBB419_874:                            ;   in Loop: Header=BB419_730 Depth=2
	ds_load_u8 v62, v2 offset:1024
	s_wait_dscnt 0x0
	v_and_b32_e32 v63, 0xff, v62
	v_xor_b32_e32 v62, 0x80, v62
	s_delay_alu instid0(VALU_DEP_2) | instskip(NEXT) | instid1(VALU_DEP_1)
	v_lshrrev_b32_e32 v63, s49, v63
	v_and_b32_e32 v63, s58, v63
	s_delay_alu instid0(VALU_DEP_1)
	v_lshlrev_b32_e32 v63, 2, v63
	ds_load_b32 v63, v63
	s_wait_dscnt 0x0
	v_add_nc_u32_e32 v63, v63, v68
	global_store_b8 v63, v62, s[38:39]
	s_wait_xcnt 0x0
	s_or_b32 exec_lo, exec_lo, s19
	v_cmp_lt_u32_e64 s19, v69, v137
	s_and_saveexec_b32 s20, s19
	s_cbranch_execz .LBB419_803
.LBB419_875:                            ;   in Loop: Header=BB419_730 Depth=2
	ds_load_u8 v62, v2 offset:1280
	s_wait_dscnt 0x0
	v_and_b32_e32 v63, 0xff, v62
	v_xor_b32_e32 v62, 0x80, v62
	s_delay_alu instid0(VALU_DEP_2) | instskip(NEXT) | instid1(VALU_DEP_1)
	v_lshrrev_b32_e32 v63, s49, v63
	v_and_b32_e32 v63, s58, v63
	s_delay_alu instid0(VALU_DEP_1)
	v_lshlrev_b32_e32 v63, 2, v63
	ds_load_b32 v63, v63
	s_wait_dscnt 0x0
	v_add_nc_u32_e32 v63, v63, v69
	global_store_b8 v63, v62, s[38:39]
	s_wait_xcnt 0x0
	s_or_b32 exec_lo, exec_lo, s20
	v_cmp_lt_u32_e64 s20, v70, v137
	s_and_saveexec_b32 s21, s20
	s_cbranch_execz .LBB419_804
.LBB419_876:                            ;   in Loop: Header=BB419_730 Depth=2
	ds_load_u8 v62, v2 offset:1536
	s_wait_dscnt 0x0
	v_and_b32_e32 v63, 0xff, v62
	v_xor_b32_e32 v62, 0x80, v62
	s_delay_alu instid0(VALU_DEP_2) | instskip(NEXT) | instid1(VALU_DEP_1)
	v_lshrrev_b32_e32 v63, s49, v63
	v_and_b32_e32 v63, s58, v63
	s_delay_alu instid0(VALU_DEP_1)
	v_lshlrev_b32_e32 v63, 2, v63
	ds_load_b32 v63, v63
	s_wait_dscnt 0x0
	v_add_nc_u32_e32 v63, v63, v70
	global_store_b8 v63, v62, s[38:39]
	s_wait_xcnt 0x0
	s_or_b32 exec_lo, exec_lo, s21
	v_cmp_lt_u32_e64 s21, v71, v137
	s_and_saveexec_b32 s22, s21
	s_cbranch_execz .LBB419_805
.LBB419_877:                            ;   in Loop: Header=BB419_730 Depth=2
	ds_load_u8 v62, v2 offset:1792
	s_wait_dscnt 0x0
	v_and_b32_e32 v63, 0xff, v62
	v_xor_b32_e32 v62, 0x80, v62
	s_delay_alu instid0(VALU_DEP_2) | instskip(NEXT) | instid1(VALU_DEP_1)
	v_lshrrev_b32_e32 v63, s49, v63
	v_and_b32_e32 v63, s58, v63
	s_delay_alu instid0(VALU_DEP_1)
	v_lshlrev_b32_e32 v63, 2, v63
	ds_load_b32 v63, v63
	s_wait_dscnt 0x0
	v_add_nc_u32_e32 v63, v63, v71
	global_store_b8 v63, v62, s[38:39]
	s_wait_xcnt 0x0
	s_or_b32 exec_lo, exec_lo, s22
	v_cmp_lt_u32_e64 s22, v72, v137
	s_and_saveexec_b32 s23, s22
	s_cbranch_execz .LBB419_806
.LBB419_878:                            ;   in Loop: Header=BB419_730 Depth=2
	ds_load_u8 v62, v2 offset:2048
	s_wait_dscnt 0x0
	v_and_b32_e32 v63, 0xff, v62
	v_xor_b32_e32 v62, 0x80, v62
	s_delay_alu instid0(VALU_DEP_2) | instskip(NEXT) | instid1(VALU_DEP_1)
	v_lshrrev_b32_e32 v63, s49, v63
	v_and_b32_e32 v63, s58, v63
	s_delay_alu instid0(VALU_DEP_1)
	v_lshlrev_b32_e32 v63, 2, v63
	ds_load_b32 v63, v63
	s_wait_dscnt 0x0
	v_add_nc_u32_e32 v63, v63, v72
	global_store_b8 v63, v62, s[38:39]
	s_wait_xcnt 0x0
	s_or_b32 exec_lo, exec_lo, s23
	v_cmp_lt_u32_e64 s23, v73, v137
	s_and_saveexec_b32 s24, s23
	s_cbranch_execz .LBB419_807
.LBB419_879:                            ;   in Loop: Header=BB419_730 Depth=2
	ds_load_u8 v62, v2 offset:2304
	s_wait_dscnt 0x0
	v_and_b32_e32 v63, 0xff, v62
	v_xor_b32_e32 v62, 0x80, v62
	s_delay_alu instid0(VALU_DEP_2) | instskip(NEXT) | instid1(VALU_DEP_1)
	v_lshrrev_b32_e32 v63, s49, v63
	v_and_b32_e32 v63, s58, v63
	s_delay_alu instid0(VALU_DEP_1)
	v_lshlrev_b32_e32 v63, 2, v63
	ds_load_b32 v63, v63
	s_wait_dscnt 0x0
	v_add_nc_u32_e32 v63, v63, v73
	global_store_b8 v63, v62, s[38:39]
	s_wait_xcnt 0x0
	s_or_b32 exec_lo, exec_lo, s24
	v_cmp_lt_u32_e64 s24, v74, v137
	s_and_saveexec_b32 s25, s24
	s_cbranch_execz .LBB419_808
.LBB419_880:                            ;   in Loop: Header=BB419_730 Depth=2
	ds_load_u8 v62, v2 offset:2560
	s_wait_dscnt 0x0
	v_and_b32_e32 v63, 0xff, v62
	v_xor_b32_e32 v62, 0x80, v62
	s_delay_alu instid0(VALU_DEP_2) | instskip(NEXT) | instid1(VALU_DEP_1)
	v_lshrrev_b32_e32 v63, s49, v63
	v_and_b32_e32 v63, s58, v63
	s_delay_alu instid0(VALU_DEP_1)
	v_lshlrev_b32_e32 v63, 2, v63
	ds_load_b32 v63, v63
	s_wait_dscnt 0x0
	v_add_nc_u32_e32 v63, v63, v74
	global_store_b8 v63, v62, s[38:39]
	s_wait_xcnt 0x0
	s_or_b32 exec_lo, exec_lo, s25
	v_cmp_lt_u32_e64 s25, v75, v137
	s_and_saveexec_b32 s26, s25
	s_cbranch_execz .LBB419_809
.LBB419_881:                            ;   in Loop: Header=BB419_730 Depth=2
	ds_load_u8 v62, v2 offset:2816
	s_wait_dscnt 0x0
	v_and_b32_e32 v63, 0xff, v62
	v_xor_b32_e32 v62, 0x80, v62
	s_delay_alu instid0(VALU_DEP_2) | instskip(NEXT) | instid1(VALU_DEP_1)
	v_lshrrev_b32_e32 v63, s49, v63
	v_and_b32_e32 v63, s58, v63
	s_delay_alu instid0(VALU_DEP_1)
	v_lshlrev_b32_e32 v63, 2, v63
	ds_load_b32 v63, v63
	s_wait_dscnt 0x0
	v_add_nc_u32_e32 v63, v63, v75
	global_store_b8 v63, v62, s[38:39]
	s_wait_xcnt 0x0
	s_or_b32 exec_lo, exec_lo, s26
	v_cmp_lt_u32_e64 s26, v76, v137
	s_and_saveexec_b32 s27, s26
	s_cbranch_execz .LBB419_810
.LBB419_882:                            ;   in Loop: Header=BB419_730 Depth=2
	ds_load_u8 v62, v2 offset:3072
	s_wait_dscnt 0x0
	v_and_b32_e32 v63, 0xff, v62
	v_xor_b32_e32 v62, 0x80, v62
	s_delay_alu instid0(VALU_DEP_2) | instskip(NEXT) | instid1(VALU_DEP_1)
	v_lshrrev_b32_e32 v63, s49, v63
	v_and_b32_e32 v63, s58, v63
	s_delay_alu instid0(VALU_DEP_1)
	v_lshlrev_b32_e32 v63, 2, v63
	ds_load_b32 v63, v63
	s_wait_dscnt 0x0
	v_add_nc_u32_e32 v63, v63, v76
	global_store_b8 v63, v62, s[38:39]
	s_wait_xcnt 0x0
	s_or_b32 exec_lo, exec_lo, s27
	v_cmp_lt_u32_e64 s27, v77, v137
	s_and_saveexec_b32 s28, s27
	s_cbranch_execz .LBB419_811
.LBB419_883:                            ;   in Loop: Header=BB419_730 Depth=2
	ds_load_u8 v62, v2 offset:3328
	s_wait_dscnt 0x0
	v_and_b32_e32 v63, 0xff, v62
	v_xor_b32_e32 v62, 0x80, v62
	s_delay_alu instid0(VALU_DEP_2) | instskip(NEXT) | instid1(VALU_DEP_1)
	v_lshrrev_b32_e32 v63, s49, v63
	v_and_b32_e32 v63, s58, v63
	s_delay_alu instid0(VALU_DEP_1)
	v_lshlrev_b32_e32 v63, 2, v63
	ds_load_b32 v63, v63
	s_wait_dscnt 0x0
	v_add_nc_u32_e32 v63, v63, v77
	global_store_b8 v63, v62, s[38:39]
	s_wait_xcnt 0x0
	s_or_b32 exec_lo, exec_lo, s28
	v_cmp_lt_u32_e64 s28, v78, v137
	s_and_saveexec_b32 s29, s28
	s_cbranch_execz .LBB419_812
.LBB419_884:                            ;   in Loop: Header=BB419_730 Depth=2
	ds_load_u8 v62, v2 offset:3584
	s_wait_dscnt 0x0
	v_and_b32_e32 v63, 0xff, v62
	v_xor_b32_e32 v62, 0x80, v62
	s_delay_alu instid0(VALU_DEP_2) | instskip(NEXT) | instid1(VALU_DEP_1)
	v_lshrrev_b32_e32 v63, s49, v63
	v_and_b32_e32 v63, s58, v63
	s_delay_alu instid0(VALU_DEP_1)
	v_lshlrev_b32_e32 v63, 2, v63
	ds_load_b32 v63, v63
	s_wait_dscnt 0x0
	v_add_nc_u32_e32 v63, v63, v78
	global_store_b8 v63, v62, s[38:39]
	s_wait_xcnt 0x0
	s_or_b32 exec_lo, exec_lo, s29
	v_cmp_lt_u32_e64 s29, v79, v137
	s_and_saveexec_b32 s30, s29
	s_cbranch_execz .LBB419_813
.LBB419_885:                            ;   in Loop: Header=BB419_730 Depth=2
	ds_load_u8 v62, v2 offset:3840
	s_wait_dscnt 0x0
	v_and_b32_e32 v63, 0xff, v62
	v_xor_b32_e32 v62, 0x80, v62
	s_delay_alu instid0(VALU_DEP_2) | instskip(NEXT) | instid1(VALU_DEP_1)
	v_lshrrev_b32_e32 v63, s49, v63
	v_and_b32_e32 v63, s58, v63
	s_delay_alu instid0(VALU_DEP_1)
	v_lshlrev_b32_e32 v63, 2, v63
	ds_load_b32 v63, v63
	s_wait_dscnt 0x0
	v_add_nc_u32_e32 v63, v63, v79
	global_store_b8 v63, v62, s[38:39]
	s_wait_xcnt 0x0
	s_or_b32 exec_lo, exec_lo, s30
	v_cmp_lt_u32_e64 s30, v80, v137
	s_and_saveexec_b32 s31, s30
	s_cbranch_execz .LBB419_814
.LBB419_886:                            ;   in Loop: Header=BB419_730 Depth=2
	ds_load_u8 v62, v2 offset:4096
	s_wait_dscnt 0x0
	v_and_b32_e32 v63, 0xff, v62
	v_xor_b32_e32 v62, 0x80, v62
	s_delay_alu instid0(VALU_DEP_2) | instskip(NEXT) | instid1(VALU_DEP_1)
	v_lshrrev_b32_e32 v63, s49, v63
	v_and_b32_e32 v63, s58, v63
	s_delay_alu instid0(VALU_DEP_1)
	v_lshlrev_b32_e32 v63, 2, v63
	ds_load_b32 v63, v63
	s_wait_dscnt 0x0
	v_add_nc_u32_e32 v63, v63, v80
	global_store_b8 v63, v62, s[38:39]
	s_wait_xcnt 0x0
	s_or_b32 exec_lo, exec_lo, s31
	v_cmp_lt_u32_e64 s31, v81, v137
	s_and_saveexec_b32 s33, s31
	s_cbranch_execz .LBB419_815
.LBB419_887:                            ;   in Loop: Header=BB419_730 Depth=2
	ds_load_u8 v62, v2 offset:4352
	s_wait_dscnt 0x0
	v_and_b32_e32 v63, 0xff, v62
	v_xor_b32_e32 v62, 0x80, v62
	s_delay_alu instid0(VALU_DEP_2) | instskip(NEXT) | instid1(VALU_DEP_1)
	v_lshrrev_b32_e32 v63, s49, v63
	v_and_b32_e32 v63, s58, v63
	s_delay_alu instid0(VALU_DEP_1)
	v_lshlrev_b32_e32 v63, 2, v63
	ds_load_b32 v63, v63
	s_wait_dscnt 0x0
	v_add_nc_u32_e32 v63, v63, v81
	global_store_b8 v63, v62, s[38:39]
	s_wait_xcnt 0x0
	s_or_b32 exec_lo, exec_lo, s33
	v_cmp_lt_u32_e64 s33, v82, v137
	s_and_saveexec_b32 s61, s33
	s_cbranch_execnz .LBB419_816
	s_branch .LBB419_817
.LBB419_888:                            ;   in Loop: Header=BB419_730 Depth=2
	global_load_b64 v[60:61], v[62:63], off
	s_wait_xcnt 0x0
	s_or_b32 exec_lo, exec_lo, s34
	s_delay_alu instid0(SALU_CYCLE_1)
	s_mov_b32 s61, exec_lo
	v_cmpx_lt_u32_e64 v98, v137
	s_cbranch_execz .LBB419_819
.LBB419_889:                            ;   in Loop: Header=BB419_730 Depth=2
	global_load_b64 v[58:59], v[62:63], off offset:256
	s_wait_xcnt 0x0
	s_or_b32 exec_lo, exec_lo, s61
	s_delay_alu instid0(SALU_CYCLE_1)
	s_mov_b32 s61, exec_lo
	v_cmpx_lt_u32_e64 v99, v137
	s_cbranch_execz .LBB419_820
.LBB419_890:                            ;   in Loop: Header=BB419_730 Depth=2
	global_load_b64 v[56:57], v[62:63], off offset:512
	s_wait_xcnt 0x0
	s_or_b32 exec_lo, exec_lo, s61
	s_delay_alu instid0(SALU_CYCLE_1)
	s_mov_b32 s61, exec_lo
	v_cmpx_lt_u32_e64 v100, v137
	s_cbranch_execz .LBB419_821
.LBB419_891:                            ;   in Loop: Header=BB419_730 Depth=2
	global_load_b64 v[54:55], v[62:63], off offset:768
	s_wait_xcnt 0x0
	s_or_b32 exec_lo, exec_lo, s61
	s_delay_alu instid0(SALU_CYCLE_1)
	s_mov_b32 s61, exec_lo
	v_cmpx_lt_u32_e64 v101, v137
	s_cbranch_execz .LBB419_822
.LBB419_892:                            ;   in Loop: Header=BB419_730 Depth=2
	global_load_b64 v[52:53], v[62:63], off offset:1024
	s_wait_xcnt 0x0
	s_or_b32 exec_lo, exec_lo, s61
	s_delay_alu instid0(SALU_CYCLE_1)
	s_mov_b32 s61, exec_lo
	v_cmpx_lt_u32_e64 v102, v137
	s_cbranch_execz .LBB419_823
.LBB419_893:                            ;   in Loop: Header=BB419_730 Depth=2
	global_load_b64 v[50:51], v[62:63], off offset:1280
	s_wait_xcnt 0x0
	s_or_b32 exec_lo, exec_lo, s61
	s_delay_alu instid0(SALU_CYCLE_1)
	s_mov_b32 s61, exec_lo
	v_cmpx_lt_u32_e64 v103, v137
	s_cbranch_execz .LBB419_824
.LBB419_894:                            ;   in Loop: Header=BB419_730 Depth=2
	global_load_b64 v[48:49], v[62:63], off offset:1536
	s_wait_xcnt 0x0
	s_or_b32 exec_lo, exec_lo, s61
	s_delay_alu instid0(SALU_CYCLE_1)
	s_mov_b32 s61, exec_lo
	v_cmpx_lt_u32_e64 v104, v137
	s_cbranch_execz .LBB419_825
.LBB419_895:                            ;   in Loop: Header=BB419_730 Depth=2
	global_load_b64 v[46:47], v[62:63], off offset:1792
	s_wait_xcnt 0x0
	s_or_b32 exec_lo, exec_lo, s61
	s_delay_alu instid0(SALU_CYCLE_1)
	s_mov_b32 s61, exec_lo
	v_cmpx_lt_u32_e64 v105, v137
	s_cbranch_execz .LBB419_826
.LBB419_896:                            ;   in Loop: Header=BB419_730 Depth=2
	global_load_b64 v[44:45], v[62:63], off offset:2048
	s_wait_xcnt 0x0
	s_or_b32 exec_lo, exec_lo, s61
	s_delay_alu instid0(SALU_CYCLE_1)
	s_mov_b32 s61, exec_lo
	v_cmpx_lt_u32_e64 v106, v137
	s_cbranch_execz .LBB419_827
.LBB419_897:                            ;   in Loop: Header=BB419_730 Depth=2
	global_load_b64 v[42:43], v[62:63], off offset:2304
	s_wait_xcnt 0x0
	s_or_b32 exec_lo, exec_lo, s61
	s_delay_alu instid0(SALU_CYCLE_1)
	s_mov_b32 s61, exec_lo
	v_cmpx_lt_u32_e64 v107, v137
	s_cbranch_execz .LBB419_828
.LBB419_898:                            ;   in Loop: Header=BB419_730 Depth=2
	global_load_b64 v[40:41], v[62:63], off offset:2560
	s_wait_xcnt 0x0
	s_or_b32 exec_lo, exec_lo, s61
	s_delay_alu instid0(SALU_CYCLE_1)
	s_mov_b32 s61, exec_lo
	v_cmpx_lt_u32_e64 v108, v137
	s_cbranch_execz .LBB419_829
.LBB419_899:                            ;   in Loop: Header=BB419_730 Depth=2
	global_load_b64 v[38:39], v[62:63], off offset:2816
	s_wait_xcnt 0x0
	s_or_b32 exec_lo, exec_lo, s61
	s_delay_alu instid0(SALU_CYCLE_1)
	s_mov_b32 s61, exec_lo
	v_cmpx_lt_u32_e64 v109, v137
	s_cbranch_execz .LBB419_830
.LBB419_900:                            ;   in Loop: Header=BB419_730 Depth=2
	global_load_b64 v[36:37], v[62:63], off offset:3072
	s_wait_xcnt 0x0
	s_or_b32 exec_lo, exec_lo, s61
	s_delay_alu instid0(SALU_CYCLE_1)
	s_mov_b32 s61, exec_lo
	v_cmpx_lt_u32_e64 v110, v137
	s_cbranch_execz .LBB419_831
.LBB419_901:                            ;   in Loop: Header=BB419_730 Depth=2
	global_load_b64 v[34:35], v[62:63], off offset:3328
	s_wait_xcnt 0x0
	s_or_b32 exec_lo, exec_lo, s61
	s_delay_alu instid0(SALU_CYCLE_1)
	s_mov_b32 s61, exec_lo
	v_cmpx_lt_u32_e64 v111, v137
	s_cbranch_execz .LBB419_832
.LBB419_902:                            ;   in Loop: Header=BB419_730 Depth=2
	global_load_b64 v[32:33], v[62:63], off offset:3584
	s_wait_xcnt 0x0
	s_or_b32 exec_lo, exec_lo, s61
	s_delay_alu instid0(SALU_CYCLE_1)
	s_mov_b32 s61, exec_lo
	v_cmpx_lt_u32_e64 v112, v137
	s_cbranch_execz .LBB419_833
.LBB419_903:                            ;   in Loop: Header=BB419_730 Depth=2
	global_load_b64 v[30:31], v[62:63], off offset:3840
	s_wait_xcnt 0x0
	s_or_b32 exec_lo, exec_lo, s61
	s_delay_alu instid0(SALU_CYCLE_1)
	s_mov_b32 s61, exec_lo
	v_cmpx_lt_u32_e64 v113, v137
	s_cbranch_execz .LBB419_834
.LBB419_904:                            ;   in Loop: Header=BB419_730 Depth=2
	global_load_b64 v[28:29], v[62:63], off offset:4096
	s_wait_xcnt 0x0
	s_or_b32 exec_lo, exec_lo, s61
	s_and_saveexec_b32 s34, vcc_lo
	s_cbranch_execz .LBB419_835
.LBB419_905:                            ;   in Loop: Header=BB419_730 Depth=2
	ds_load_u8 v62, v2 offset:512
	s_wait_dscnt 0x0
	v_lshrrev_b32_e32 v62, s49, v62
	s_delay_alu instid0(VALU_DEP_1)
	v_and_b32_e32 v132, s58, v62
	s_or_b32 exec_lo, exec_lo, s34
	s_and_saveexec_b32 s34, s17
	s_cbranch_execz .LBB419_836
.LBB419_906:                            ;   in Loop: Header=BB419_730 Depth=2
	ds_load_u8 v62, v2 offset:768
	s_wait_dscnt 0x0
	v_lshrrev_b32_e32 v62, s49, v62
	s_delay_alu instid0(VALU_DEP_1)
	v_and_b32_e32 v131, s58, v62
	s_or_b32 exec_lo, exec_lo, s34
	s_and_saveexec_b32 s34, s18
	s_cbranch_execz .LBB419_837
.LBB419_907:                            ;   in Loop: Header=BB419_730 Depth=2
	ds_load_u8 v62, v2 offset:1024
	s_wait_dscnt 0x0
	v_lshrrev_b32_e32 v62, s49, v62
	s_delay_alu instid0(VALU_DEP_1)
	v_and_b32_e32 v130, s58, v62
	s_or_b32 exec_lo, exec_lo, s34
	s_and_saveexec_b32 s34, s19
	s_cbranch_execz .LBB419_838
.LBB419_908:                            ;   in Loop: Header=BB419_730 Depth=2
	ds_load_u8 v62, v2 offset:1280
	s_wait_dscnt 0x0
	v_lshrrev_b32_e32 v62, s49, v62
	s_delay_alu instid0(VALU_DEP_1)
	v_and_b32_e32 v129, s58, v62
	s_or_b32 exec_lo, exec_lo, s34
	s_and_saveexec_b32 s34, s20
	s_cbranch_execz .LBB419_839
.LBB419_909:                            ;   in Loop: Header=BB419_730 Depth=2
	ds_load_u8 v62, v2 offset:1536
	s_wait_dscnt 0x0
	v_lshrrev_b32_e32 v62, s49, v62
	s_delay_alu instid0(VALU_DEP_1)
	v_and_b32_e32 v128, s58, v62
	s_or_b32 exec_lo, exec_lo, s34
	s_and_saveexec_b32 s34, s21
	s_cbranch_execz .LBB419_840
.LBB419_910:                            ;   in Loop: Header=BB419_730 Depth=2
	ds_load_u8 v62, v2 offset:1792
	s_wait_dscnt 0x0
	v_lshrrev_b32_e32 v62, s49, v62
	s_delay_alu instid0(VALU_DEP_1)
	v_and_b32_e32 v127, s58, v62
	s_or_b32 exec_lo, exec_lo, s34
	s_and_saveexec_b32 s34, s22
	s_cbranch_execz .LBB419_841
.LBB419_911:                            ;   in Loop: Header=BB419_730 Depth=2
	ds_load_u8 v62, v2 offset:2048
	s_wait_dscnt 0x0
	v_lshrrev_b32_e32 v62, s49, v62
	s_delay_alu instid0(VALU_DEP_1)
	v_and_b32_e32 v126, s58, v62
	s_or_b32 exec_lo, exec_lo, s34
	s_and_saveexec_b32 s34, s23
	s_cbranch_execz .LBB419_842
.LBB419_912:                            ;   in Loop: Header=BB419_730 Depth=2
	ds_load_u8 v62, v2 offset:2304
	s_wait_dscnt 0x0
	v_lshrrev_b32_e32 v62, s49, v62
	s_delay_alu instid0(VALU_DEP_1)
	v_and_b32_e32 v125, s58, v62
	s_or_b32 exec_lo, exec_lo, s34
	s_and_saveexec_b32 s34, s24
	s_cbranch_execz .LBB419_843
.LBB419_913:                            ;   in Loop: Header=BB419_730 Depth=2
	ds_load_u8 v62, v2 offset:2560
	s_wait_dscnt 0x0
	v_lshrrev_b32_e32 v62, s49, v62
	s_delay_alu instid0(VALU_DEP_1)
	v_and_b32_e32 v124, s58, v62
	s_or_b32 exec_lo, exec_lo, s34
	s_and_saveexec_b32 s34, s25
	s_cbranch_execz .LBB419_844
.LBB419_914:                            ;   in Loop: Header=BB419_730 Depth=2
	ds_load_u8 v62, v2 offset:2816
	s_wait_dscnt 0x0
	v_lshrrev_b32_e32 v62, s49, v62
	s_delay_alu instid0(VALU_DEP_1)
	v_and_b32_e32 v123, s58, v62
	s_or_b32 exec_lo, exec_lo, s34
	s_and_saveexec_b32 s34, s26
	s_cbranch_execz .LBB419_845
.LBB419_915:                            ;   in Loop: Header=BB419_730 Depth=2
	ds_load_u8 v62, v2 offset:3072
	s_wait_dscnt 0x0
	v_lshrrev_b32_e32 v62, s49, v62
	s_delay_alu instid0(VALU_DEP_1)
	v_and_b32_e32 v122, s58, v62
	s_or_b32 exec_lo, exec_lo, s34
	s_and_saveexec_b32 s34, s27
	s_cbranch_execz .LBB419_846
.LBB419_916:                            ;   in Loop: Header=BB419_730 Depth=2
	ds_load_u8 v62, v2 offset:3328
	s_wait_dscnt 0x0
	v_lshrrev_b32_e32 v62, s49, v62
	s_delay_alu instid0(VALU_DEP_1)
	v_and_b32_e32 v121, s58, v62
	s_or_b32 exec_lo, exec_lo, s34
	s_and_saveexec_b32 s34, s28
	s_cbranch_execz .LBB419_847
.LBB419_917:                            ;   in Loop: Header=BB419_730 Depth=2
	ds_load_u8 v62, v2 offset:3584
	s_wait_dscnt 0x0
	v_lshrrev_b32_e32 v62, s49, v62
	s_delay_alu instid0(VALU_DEP_1)
	v_and_b32_e32 v120, s58, v62
	s_or_b32 exec_lo, exec_lo, s34
	s_and_saveexec_b32 s34, s29
	s_cbranch_execz .LBB419_848
.LBB419_918:                            ;   in Loop: Header=BB419_730 Depth=2
	ds_load_u8 v62, v2 offset:3840
	s_wait_dscnt 0x0
	v_lshrrev_b32_e32 v62, s49, v62
	s_delay_alu instid0(VALU_DEP_1)
	v_and_b32_e32 v119, s58, v62
	s_or_b32 exec_lo, exec_lo, s34
	s_and_saveexec_b32 s34, s30
	s_cbranch_execz .LBB419_849
.LBB419_919:                            ;   in Loop: Header=BB419_730 Depth=2
	ds_load_u8 v62, v2 offset:4096
	s_wait_dscnt 0x0
	v_lshrrev_b32_e32 v62, s49, v62
	s_delay_alu instid0(VALU_DEP_1)
	v_and_b32_e32 v118, s58, v62
	s_or_b32 exec_lo, exec_lo, s34
	s_and_saveexec_b32 s34, s31
	s_cbranch_execz .LBB419_850
.LBB419_920:                            ;   in Loop: Header=BB419_730 Depth=2
	ds_load_u8 v62, v2 offset:4352
	s_wait_dscnt 0x0
	v_lshrrev_b32_e32 v62, s49, v62
	s_delay_alu instid0(VALU_DEP_1)
	v_and_b32_e32 v117, s58, v62
	s_or_b32 exec_lo, exec_lo, s34
	s_and_saveexec_b32 s34, s33
	s_cbranch_execnz .LBB419_851
	s_branch .LBB419_852
.LBB419_921:                            ;   in Loop: Header=BB419_730 Depth=2
	v_dual_lshlrev_b32 v62, 2, v132 :: v_dual_add_nc_u32 v63, v2, v95
	ds_load_b32 v64, v62
	ds_load_b64 v[62:63], v63 offset:512
	s_wait_dscnt 0x1
	v_add_nc_u32_e32 v64, v64, v2
	s_wait_dscnt 0x0
	global_store_b64 v64, v[62:63], s[44:45] scale_offset
	s_wait_xcnt 0x0
	s_or_b32 exec_lo, exec_lo, s34
	s_and_saveexec_b32 s34, s17
	s_cbranch_execz .LBB419_854
.LBB419_922:                            ;   in Loop: Header=BB419_730 Depth=2
	v_lshlrev_b32_e32 v62, 2, v131
	v_add_nc_u32_e32 v63, v2, v95
	ds_load_b32 v64, v62
	ds_load_b64 v[62:63], v63 offset:2560
	s_wait_dscnt 0x1
	v_add_nc_u32_e32 v64, v64, v67
	s_wait_dscnt 0x0
	global_store_b64 v64, v[62:63], s[44:45] scale_offset
	s_wait_xcnt 0x0
	s_or_b32 exec_lo, exec_lo, s34
	s_and_saveexec_b32 s17, s18
	s_cbranch_execz .LBB419_855
.LBB419_923:                            ;   in Loop: Header=BB419_730 Depth=2
	v_dual_lshlrev_b32 v62, 2, v130 :: v_dual_add_nc_u32 v63, v2, v95
	ds_load_b32 v64, v62
	ds_load_b64 v[62:63], v63 offset:4608
	s_wait_dscnt 0x1
	v_add_nc_u32_e32 v64, v64, v68
	s_wait_dscnt 0x0
	global_store_b64 v64, v[62:63], s[44:45] scale_offset
	s_wait_xcnt 0x0
	s_or_b32 exec_lo, exec_lo, s17
	s_and_saveexec_b32 s17, s19
	s_cbranch_execz .LBB419_856
.LBB419_924:                            ;   in Loop: Header=BB419_730 Depth=2
	v_dual_lshlrev_b32 v62, 2, v129 :: v_dual_add_nc_u32 v63, v2, v95
	ds_load_b32 v64, v62
	ds_load_b64 v[62:63], v63 offset:6656
	s_wait_dscnt 0x1
	v_add_nc_u32_e32 v64, v64, v69
	s_wait_dscnt 0x0
	global_store_b64 v64, v[62:63], s[44:45] scale_offset
	s_wait_xcnt 0x0
	s_or_b32 exec_lo, exec_lo, s17
	s_and_saveexec_b32 s17, s20
	s_cbranch_execz .LBB419_857
.LBB419_925:                            ;   in Loop: Header=BB419_730 Depth=2
	v_dual_lshlrev_b32 v62, 2, v128 :: v_dual_add_nc_u32 v63, v2, v95
	ds_load_b32 v64, v62
	ds_load_b64 v[62:63], v63 offset:8704
	s_wait_dscnt 0x1
	v_add_nc_u32_e32 v64, v64, v70
	s_wait_dscnt 0x0
	global_store_b64 v64, v[62:63], s[44:45] scale_offset
	s_wait_xcnt 0x0
	s_or_b32 exec_lo, exec_lo, s17
	s_and_saveexec_b32 s17, s21
	s_cbranch_execz .LBB419_858
.LBB419_926:                            ;   in Loop: Header=BB419_730 Depth=2
	v_lshlrev_b32_e32 v62, 2, v127
	v_add_nc_u32_e32 v63, v2, v95
	ds_load_b32 v64, v62
	ds_load_b64 v[62:63], v63 offset:10752
	s_wait_dscnt 0x1
	v_add_nc_u32_e32 v64, v64, v71
	s_wait_dscnt 0x0
	global_store_b64 v64, v[62:63], s[44:45] scale_offset
	s_wait_xcnt 0x0
	s_or_b32 exec_lo, exec_lo, s17
	s_and_saveexec_b32 s17, s22
	s_cbranch_execz .LBB419_859
.LBB419_927:                            ;   in Loop: Header=BB419_730 Depth=2
	v_dual_lshlrev_b32 v62, 2, v126 :: v_dual_add_nc_u32 v63, v2, v95
	ds_load_b32 v64, v62
	ds_load_b64 v[62:63], v63 offset:12800
	s_wait_dscnt 0x1
	v_add_nc_u32_e32 v64, v64, v72
	s_wait_dscnt 0x0
	global_store_b64 v64, v[62:63], s[44:45] scale_offset
	s_wait_xcnt 0x0
	s_or_b32 exec_lo, exec_lo, s17
	s_and_saveexec_b32 s17, s23
	s_cbranch_execz .LBB419_860
.LBB419_928:                            ;   in Loop: Header=BB419_730 Depth=2
	v_dual_lshlrev_b32 v62, 2, v125 :: v_dual_add_nc_u32 v63, v2, v95
	ds_load_b32 v64, v62
	ds_load_b64 v[62:63], v63 offset:14848
	s_wait_dscnt 0x1
	v_add_nc_u32_e32 v64, v64, v73
	s_wait_dscnt 0x0
	global_store_b64 v64, v[62:63], s[44:45] scale_offset
	s_wait_xcnt 0x0
	s_or_b32 exec_lo, exec_lo, s17
	s_and_saveexec_b32 s17, s24
	s_cbranch_execz .LBB419_861
.LBB419_929:                            ;   in Loop: Header=BB419_730 Depth=2
	v_dual_lshlrev_b32 v62, 2, v124 :: v_dual_add_nc_u32 v63, v2, v95
	ds_load_b32 v64, v62
	ds_load_b64 v[62:63], v63 offset:16896
	s_wait_dscnt 0x1
	v_add_nc_u32_e32 v64, v64, v74
	s_wait_dscnt 0x0
	global_store_b64 v64, v[62:63], s[44:45] scale_offset
	s_wait_xcnt 0x0
	s_or_b32 exec_lo, exec_lo, s17
	s_and_saveexec_b32 s17, s25
	s_cbranch_execz .LBB419_862
.LBB419_930:                            ;   in Loop: Header=BB419_730 Depth=2
	v_lshlrev_b32_e32 v62, 2, v123
	v_add_nc_u32_e32 v63, v2, v95
	ds_load_b32 v64, v62
	ds_load_b64 v[62:63], v63 offset:18944
	s_wait_dscnt 0x1
	v_add_nc_u32_e32 v64, v64, v75
	s_wait_dscnt 0x0
	global_store_b64 v64, v[62:63], s[44:45] scale_offset
	s_wait_xcnt 0x0
	s_or_b32 exec_lo, exec_lo, s17
	s_and_saveexec_b32 s17, s26
	s_cbranch_execz .LBB419_863
.LBB419_931:                            ;   in Loop: Header=BB419_730 Depth=2
	v_dual_lshlrev_b32 v62, 2, v122 :: v_dual_add_nc_u32 v63, v2, v95
	ds_load_b32 v64, v62
	ds_load_b64 v[62:63], v63 offset:20992
	s_wait_dscnt 0x1
	v_add_nc_u32_e32 v64, v64, v76
	s_wait_dscnt 0x0
	global_store_b64 v64, v[62:63], s[44:45] scale_offset
	s_wait_xcnt 0x0
	s_or_b32 exec_lo, exec_lo, s17
	s_and_saveexec_b32 s17, s27
	s_cbranch_execz .LBB419_864
.LBB419_932:                            ;   in Loop: Header=BB419_730 Depth=2
	v_dual_lshlrev_b32 v62, 2, v121 :: v_dual_add_nc_u32 v63, v2, v95
	ds_load_b32 v64, v62
	ds_load_b64 v[62:63], v63 offset:23040
	s_wait_dscnt 0x1
	v_add_nc_u32_e32 v64, v64, v77
	s_wait_dscnt 0x0
	global_store_b64 v64, v[62:63], s[44:45] scale_offset
	s_wait_xcnt 0x0
	s_or_b32 exec_lo, exec_lo, s17
	s_and_saveexec_b32 s17, s28
	s_cbranch_execz .LBB419_865
.LBB419_933:                            ;   in Loop: Header=BB419_730 Depth=2
	v_dual_lshlrev_b32 v62, 2, v120 :: v_dual_add_nc_u32 v63, v2, v95
	ds_load_b32 v64, v62
	ds_load_b64 v[62:63], v63 offset:25088
	s_wait_dscnt 0x1
	v_add_nc_u32_e32 v64, v64, v78
	s_wait_dscnt 0x0
	global_store_b64 v64, v[62:63], s[44:45] scale_offset
	s_wait_xcnt 0x0
	s_or_b32 exec_lo, exec_lo, s17
	s_and_saveexec_b32 s17, s29
	s_cbranch_execz .LBB419_866
.LBB419_934:                            ;   in Loop: Header=BB419_730 Depth=2
	v_lshlrev_b32_e32 v62, 2, v119
	v_add_nc_u32_e32 v63, v2, v95
	ds_load_b32 v64, v62
	ds_load_b64 v[62:63], v63 offset:27136
	s_wait_dscnt 0x1
	v_add_nc_u32_e32 v64, v64, v79
	s_wait_dscnt 0x0
	global_store_b64 v64, v[62:63], s[44:45] scale_offset
	s_wait_xcnt 0x0
	s_or_b32 exec_lo, exec_lo, s17
	s_and_saveexec_b32 s17, s30
	s_cbranch_execz .LBB419_867
.LBB419_935:                            ;   in Loop: Header=BB419_730 Depth=2
	v_dual_lshlrev_b32 v62, 2, v118 :: v_dual_add_nc_u32 v63, v2, v95
	ds_load_b32 v64, v62
	ds_load_b64 v[62:63], v63 offset:29184
	s_wait_dscnt 0x1
	v_add_nc_u32_e32 v64, v64, v80
	s_wait_dscnt 0x0
	global_store_b64 v64, v[62:63], s[44:45] scale_offset
	s_wait_xcnt 0x0
	s_or_b32 exec_lo, exec_lo, s17
	s_and_saveexec_b32 s17, s31
	s_cbranch_execz .LBB419_868
.LBB419_936:                            ;   in Loop: Header=BB419_730 Depth=2
	v_dual_lshlrev_b32 v62, 2, v117 :: v_dual_add_nc_u32 v63, v2, v95
	ds_load_b32 v64, v62
	ds_load_b64 v[62:63], v63 offset:31232
	s_wait_dscnt 0x1
	v_add_nc_u32_e32 v64, v64, v81
	s_wait_dscnt 0x0
	global_store_b64 v64, v[62:63], s[44:45] scale_offset
	s_wait_xcnt 0x0
	s_or_b32 exec_lo, exec_lo, s17
	s_and_saveexec_b32 s17, s33
	s_cbranch_execnz .LBB419_869
	s_branch .LBB419_870
.LBB419_937:                            ;   in Loop: Header=BB419_730 Depth=2
	global_load_u8 v147, v[62:63], off
	v_dual_mov_b32 v115, 0x7f :: v_dual_mov_b32 v150, 0x7f
	v_dual_mov_b32 v148, 0x7f :: v_dual_mov_b32 v151, 0x7f
	;; [unrolled: 1-line block ×8, first 2 shown]
	s_wait_xcnt 0x0
	s_or_b32 exec_lo, exec_lo, s17
	s_delay_alu instid0(SALU_CYCLE_1)
	s_mov_b32 s17, exec_lo
	v_cmpx_gt_u32_e64 s59, v98
	s_cbranch_execz .LBB419_735
.LBB419_938:                            ;   in Loop: Header=BB419_730 Depth=2
	global_load_u8 v150, v[62:63], off offset:32
	s_wait_xcnt 0x0
	s_or_b32 exec_lo, exec_lo, s17
	s_delay_alu instid0(SALU_CYCLE_1)
	s_mov_b32 s17, exec_lo
	v_cmpx_gt_u32_e64 s59, v99
	s_cbranch_execz .LBB419_736
.LBB419_939:                            ;   in Loop: Header=BB419_730 Depth=2
	global_load_u8 v148, v[62:63], off offset:64
	s_wait_xcnt 0x0
	s_or_b32 exec_lo, exec_lo, s17
	s_delay_alu instid0(SALU_CYCLE_1)
	s_mov_b32 s17, exec_lo
	v_cmpx_gt_u32_e64 s59, v100
	s_cbranch_execz .LBB419_737
.LBB419_940:                            ;   in Loop: Header=BB419_730 Depth=2
	global_load_u8 v151, v[62:63], off offset:96
	s_wait_xcnt 0x0
	s_or_b32 exec_lo, exec_lo, s17
	s_delay_alu instid0(SALU_CYCLE_1)
	s_mov_b32 s17, exec_lo
	v_cmpx_gt_u32_e64 s59, v101
	s_cbranch_execz .LBB419_738
.LBB419_941:                            ;   in Loop: Header=BB419_730 Depth=2
	global_load_u8 v142, v[62:63], off offset:128
	s_wait_xcnt 0x0
	s_or_b32 exec_lo, exec_lo, s17
	s_delay_alu instid0(SALU_CYCLE_1)
	s_mov_b32 s17, exec_lo
	v_cmpx_gt_u32_e64 s59, v102
	s_cbranch_execz .LBB419_739
.LBB419_942:                            ;   in Loop: Header=BB419_730 Depth=2
	global_load_u8 v145, v[62:63], off offset:160
	s_wait_xcnt 0x0
	s_or_b32 exec_lo, exec_lo, s17
	s_delay_alu instid0(SALU_CYCLE_1)
	s_mov_b32 s17, exec_lo
	v_cmpx_gt_u32_e64 s59, v103
	s_cbranch_execz .LBB419_740
.LBB419_943:                            ;   in Loop: Header=BB419_730 Depth=2
	global_load_u8 v143, v[62:63], off offset:192
	s_wait_xcnt 0x0
	s_or_b32 exec_lo, exec_lo, s17
	s_delay_alu instid0(SALU_CYCLE_1)
	s_mov_b32 s17, exec_lo
	v_cmpx_gt_u32_e64 s59, v104
	s_cbranch_execz .LBB419_741
.LBB419_944:                            ;   in Loop: Header=BB419_730 Depth=2
	global_load_u8 v144, v[62:63], off offset:224
	s_wait_xcnt 0x0
	s_or_b32 exec_lo, exec_lo, s17
	s_delay_alu instid0(SALU_CYCLE_1)
	s_mov_b32 s17, exec_lo
	v_cmpx_gt_u32_e64 s59, v105
	s_cbranch_execz .LBB419_742
.LBB419_945:                            ;   in Loop: Header=BB419_730 Depth=2
	global_load_u8 v138, v[62:63], off offset:256
	s_wait_xcnt 0x0
	s_or_b32 exec_lo, exec_lo, s17
	s_delay_alu instid0(SALU_CYCLE_1)
	s_mov_b32 s17, exec_lo
	v_cmpx_gt_u32_e64 s59, v106
	s_cbranch_execz .LBB419_743
.LBB419_946:                            ;   in Loop: Header=BB419_730 Depth=2
	global_load_u8 v141, v[62:63], off offset:288
	s_wait_xcnt 0x0
	s_or_b32 exec_lo, exec_lo, s17
	s_delay_alu instid0(SALU_CYCLE_1)
	s_mov_b32 s17, exec_lo
	v_cmpx_gt_u32_e64 s59, v107
	s_cbranch_execz .LBB419_744
.LBB419_947:                            ;   in Loop: Header=BB419_730 Depth=2
	global_load_u8 v139, v[62:63], off offset:320
	s_wait_xcnt 0x0
	s_or_b32 exec_lo, exec_lo, s17
	s_delay_alu instid0(SALU_CYCLE_1)
	s_mov_b32 s17, exec_lo
	v_cmpx_gt_u32_e64 s59, v108
	s_cbranch_execz .LBB419_745
.LBB419_948:                            ;   in Loop: Header=BB419_730 Depth=2
	global_load_u8 v140, v[62:63], off offset:352
	s_wait_xcnt 0x0
	s_or_b32 exec_lo, exec_lo, s17
	s_delay_alu instid0(SALU_CYCLE_1)
	s_mov_b32 s17, exec_lo
	v_cmpx_gt_u32_e64 s59, v109
	s_cbranch_execz .LBB419_746
.LBB419_949:                            ;   in Loop: Header=BB419_730 Depth=2
	global_load_u8 v64, v[62:63], off offset:384
	s_wait_xcnt 0x0
	s_or_b32 exec_lo, exec_lo, s17
	s_delay_alu instid0(SALU_CYCLE_1)
	s_mov_b32 s17, exec_lo
	v_cmpx_gt_u32_e64 s59, v110
	s_cbranch_execz .LBB419_747
.LBB419_950:                            ;   in Loop: Header=BB419_730 Depth=2
	global_load_u8 v136, v[62:63], off offset:416
	s_wait_xcnt 0x0
	s_or_b32 exec_lo, exec_lo, s17
	s_delay_alu instid0(SALU_CYCLE_1)
	s_mov_b32 s17, exec_lo
	v_cmpx_gt_u32_e64 s59, v111
	s_cbranch_execz .LBB419_748
.LBB419_951:                            ;   in Loop: Header=BB419_730 Depth=2
	global_load_u8 v65, v[62:63], off offset:448
	s_wait_xcnt 0x0
	s_or_b32 exec_lo, exec_lo, s17
	s_delay_alu instid0(SALU_CYCLE_1)
	s_mov_b32 s17, exec_lo
	v_cmpx_gt_u32_e64 s59, v112
	s_cbranch_execnz .LBB419_749
	s_branch .LBB419_750
.LBB419_952:                            ;   in Loop: Header=BB419_20 Depth=1
	s_wait_dscnt 0x0
	s_barrier_signal -1
	s_mov_b32 s8, 0
	s_barrier_wait -1
.LBB419_953:                            ;   in Loop: Header=BB419_20 Depth=1
	s_and_b32 vcc_lo, exec_lo, s8
	s_cbranch_vccz .LBB419_19
; %bb.954:                              ;   in Loop: Header=BB419_20 Depth=1
	v_dual_mov_b32 v39, 0 :: v_dual_mov_b32 v42, 0
	v_dual_mov_b32 v41, 0 :: v_dual_mov_b32 v40, 0
	;; [unrolled: 1-line block ×8, first 2 shown]
	v_mov_b32_e32 v26, 0
	s_mov_b32 s8, s57
	s_mov_b32 s34, s55
	s_barrier_signal -1
	s_barrier_wait -1
	s_branch .LBB419_956
.LBB419_955:                            ;   in Loop: Header=BB419_956 Depth=2
	s_or_b32 exec_lo, exec_lo, s10
	s_addk_co_i32 s8, 0xef00
	s_cmp_ge_u32 s9, s54
	s_mov_b32 s34, s9
	s_cbranch_scc1 .LBB419_1028
.LBB419_956:                            ;   Parent Loop BB419_20 Depth=1
                                        ; =>  This Inner Loop Header: Depth=2
	s_add_co_i32 s9, s34, 0x1100
	s_mov_b32 s10, -1
	s_cmp_gt_u32 s9, s54
                                        ; implicit-def: $vgpr24
                                        ; implicit-def: $vgpr25
                                        ; implicit-def: $vgpr43
                                        ; implicit-def: $vgpr44
                                        ; implicit-def: $vgpr45
                                        ; implicit-def: $vgpr46
                                        ; implicit-def: $vgpr47
                                        ; implicit-def: $vgpr48
                                        ; implicit-def: $vgpr49
                                        ; implicit-def: $vgpr50
                                        ; implicit-def: $vgpr51
                                        ; implicit-def: $vgpr52
                                        ; implicit-def: $vgpr53
                                        ; implicit-def: $vgpr54
                                        ; implicit-def: $vgpr55
                                        ; implicit-def: $vgpr56
                                        ; implicit-def: $vgpr57
	s_cbranch_scc1 .LBB419_958
; %bb.957:                              ;   in Loop: Header=BB419_956 Depth=2
	v_add_nc_u64_e32 v[58:59], s[34:35], v[18:19]
	s_mov_b32 s10, 0
	s_clause 0x10
	global_load_u8 v57, v[58:59], off offset:4096
	global_load_u8 v56, v[58:59], off offset:3840
	;; [unrolled: 1-line block ×16, first 2 shown]
	global_load_u8 v24, v[58:59], off
.LBB419_958:                            ;   in Loop: Header=BB419_956 Depth=2
	s_and_not1_b32 vcc_lo, exec_lo, s10
	s_movk_i32 s10, 0x1100
	s_cbranch_vccnz .LBB419_978
; %bb.959:                              ;   in Loop: Header=BB419_956 Depth=2
	s_add_nc_u64 s[10:11], s[36:37], s[34:35]
	s_wait_loadcnt 0x0
	v_add_nc_u64_e32 v[24:25], s[10:11], v[2:3]
	s_mov_b32 s10, exec_lo
	s_wait_xcnt 0x0
	v_cmpx_gt_u32_e64 s8, v2
	s_cbranch_execnz .LBB419_1012
; %bb.960:                              ;   in Loop: Header=BB419_956 Depth=2
	s_or_b32 exec_lo, exec_lo, s10
	s_delay_alu instid0(SALU_CYCLE_1)
	s_mov_b32 s10, exec_lo
	v_cmpx_gt_u32_e64 s8, v67
	s_cbranch_execnz .LBB419_1013
.LBB419_961:                            ;   in Loop: Header=BB419_956 Depth=2
	s_or_b32 exec_lo, exec_lo, s10
	s_delay_alu instid0(SALU_CYCLE_1)
	s_mov_b32 s10, exec_lo
	v_cmpx_gt_u32_e64 s8, v68
	s_cbranch_execnz .LBB419_1014
.LBB419_962:                            ;   in Loop: Header=BB419_956 Depth=2
	s_or_b32 exec_lo, exec_lo, s10
	s_delay_alu instid0(SALU_CYCLE_1)
	s_mov_b32 s10, exec_lo
	v_cmpx_gt_u32_e64 s8, v69
	s_cbranch_execnz .LBB419_1015
.LBB419_963:                            ;   in Loop: Header=BB419_956 Depth=2
	s_or_b32 exec_lo, exec_lo, s10
	s_delay_alu instid0(SALU_CYCLE_1)
	s_mov_b32 s10, exec_lo
	v_cmpx_gt_u32_e64 s8, v70
	s_cbranch_execnz .LBB419_1016
.LBB419_964:                            ;   in Loop: Header=BB419_956 Depth=2
	s_or_b32 exec_lo, exec_lo, s10
	s_delay_alu instid0(SALU_CYCLE_1)
	s_mov_b32 s10, exec_lo
	v_cmpx_gt_u32_e64 s8, v71
	s_cbranch_execnz .LBB419_1017
.LBB419_965:                            ;   in Loop: Header=BB419_956 Depth=2
	s_or_b32 exec_lo, exec_lo, s10
	s_delay_alu instid0(SALU_CYCLE_1)
	s_mov_b32 s10, exec_lo
	v_cmpx_gt_u32_e64 s8, v72
	s_cbranch_execnz .LBB419_1018
.LBB419_966:                            ;   in Loop: Header=BB419_956 Depth=2
	s_or_b32 exec_lo, exec_lo, s10
	s_delay_alu instid0(SALU_CYCLE_1)
	s_mov_b32 s10, exec_lo
	v_cmpx_gt_u32_e64 s8, v73
	s_cbranch_execnz .LBB419_1019
.LBB419_967:                            ;   in Loop: Header=BB419_956 Depth=2
	s_or_b32 exec_lo, exec_lo, s10
	s_delay_alu instid0(SALU_CYCLE_1)
	s_mov_b32 s10, exec_lo
	v_cmpx_gt_u32_e64 s8, v74
	s_cbranch_execnz .LBB419_1020
.LBB419_968:                            ;   in Loop: Header=BB419_956 Depth=2
	s_or_b32 exec_lo, exec_lo, s10
	s_delay_alu instid0(SALU_CYCLE_1)
	s_mov_b32 s10, exec_lo
	v_cmpx_gt_u32_e64 s8, v75
	s_cbranch_execnz .LBB419_1021
.LBB419_969:                            ;   in Loop: Header=BB419_956 Depth=2
	s_or_b32 exec_lo, exec_lo, s10
	s_delay_alu instid0(SALU_CYCLE_1)
	s_mov_b32 s10, exec_lo
	v_cmpx_gt_u32_e64 s8, v76
	s_cbranch_execnz .LBB419_1022
.LBB419_970:                            ;   in Loop: Header=BB419_956 Depth=2
	s_or_b32 exec_lo, exec_lo, s10
	s_delay_alu instid0(SALU_CYCLE_1)
	s_mov_b32 s10, exec_lo
	v_cmpx_gt_u32_e64 s8, v77
	s_cbranch_execnz .LBB419_1023
.LBB419_971:                            ;   in Loop: Header=BB419_956 Depth=2
	s_or_b32 exec_lo, exec_lo, s10
	s_delay_alu instid0(SALU_CYCLE_1)
	s_mov_b32 s10, exec_lo
	v_cmpx_gt_u32_e64 s8, v78
	s_cbranch_execnz .LBB419_1024
.LBB419_972:                            ;   in Loop: Header=BB419_956 Depth=2
	s_or_b32 exec_lo, exec_lo, s10
	s_delay_alu instid0(SALU_CYCLE_1)
	s_mov_b32 s10, exec_lo
	v_cmpx_gt_u32_e64 s8, v79
	s_cbranch_execnz .LBB419_1025
.LBB419_973:                            ;   in Loop: Header=BB419_956 Depth=2
	s_or_b32 exec_lo, exec_lo, s10
	s_delay_alu instid0(SALU_CYCLE_1)
	s_mov_b32 s10, exec_lo
	v_cmpx_gt_u32_e64 s8, v80
	s_cbranch_execnz .LBB419_1026
.LBB419_974:                            ;   in Loop: Header=BB419_956 Depth=2
	s_or_b32 exec_lo, exec_lo, s10
	s_delay_alu instid0(SALU_CYCLE_1)
	s_mov_b32 s10, exec_lo
	v_cmpx_gt_u32_e64 s8, v81
	s_cbranch_execnz .LBB419_1027
.LBB419_975:                            ;   in Loop: Header=BB419_956 Depth=2
	s_or_b32 exec_lo, exec_lo, s10
	s_delay_alu instid0(SALU_CYCLE_1)
	s_mov_b32 s10, exec_lo
	v_cmpx_gt_u32_e64 s8, v82
	s_cbranch_execz .LBB419_977
.LBB419_976:                            ;   in Loop: Header=BB419_956 Depth=2
	global_load_u8 v26, v[24:25], off offset:4096
.LBB419_977:                            ;   in Loop: Header=BB419_956 Depth=2
	s_wait_xcnt 0x0
	s_or_b32 exec_lo, exec_lo, s10
	s_wait_loadcnt 0x0
	v_dual_mov_b32 v24, v39 :: v_dual_mov_b32 v25, v42
	v_dual_mov_b32 v43, v41 :: v_dual_mov_b32 v44, v40
	;; [unrolled: 1-line block ×8, first 2 shown]
	v_mov_b32_e32 v57, v26
	s_mov_b32 s10, s8
.LBB419_978:                            ;   in Loop: Header=BB419_956 Depth=2
	s_wait_loadcnt 0xf
	s_delay_alu instid0(VALU_DEP_1)
	v_dual_mov_b32 v26, v57 :: v_dual_mov_b32 v27, v56
	s_wait_loadcnt 0xd
	v_dual_mov_b32 v28, v55 :: v_dual_mov_b32 v29, v54
	s_wait_loadcnt 0xb
	;; [unrolled: 2-line block ×8, first 2 shown]
	v_mov_b32_e32 v39, v24
	s_mov_b32 s11, exec_lo
	s_wait_xcnt 0x0
	v_cmpx_gt_u32_e64 s10, v2
	s_cbranch_execnz .LBB419_995
; %bb.979:                              ;   in Loop: Header=BB419_956 Depth=2
	s_or_b32 exec_lo, exec_lo, s11
	s_delay_alu instid0(SALU_CYCLE_1)
	s_mov_b32 s11, exec_lo
	v_cmpx_gt_u32_e64 s10, v67
	s_cbranch_execnz .LBB419_996
.LBB419_980:                            ;   in Loop: Header=BB419_956 Depth=2
	s_or_b32 exec_lo, exec_lo, s11
	s_delay_alu instid0(SALU_CYCLE_1)
	s_mov_b32 s11, exec_lo
	v_cmpx_gt_u32_e64 s10, v68
	s_cbranch_execnz .LBB419_997
.LBB419_981:                            ;   in Loop: Header=BB419_956 Depth=2
	s_or_b32 exec_lo, exec_lo, s11
	s_delay_alu instid0(SALU_CYCLE_1)
	s_mov_b32 s11, exec_lo
	v_cmpx_gt_u32_e64 s10, v69
	s_cbranch_execnz .LBB419_998
.LBB419_982:                            ;   in Loop: Header=BB419_956 Depth=2
	s_or_b32 exec_lo, exec_lo, s11
	s_delay_alu instid0(SALU_CYCLE_1)
	s_mov_b32 s11, exec_lo
	v_cmpx_gt_u32_e64 s10, v70
	s_cbranch_execnz .LBB419_999
.LBB419_983:                            ;   in Loop: Header=BB419_956 Depth=2
	s_or_b32 exec_lo, exec_lo, s11
	s_delay_alu instid0(SALU_CYCLE_1)
	s_mov_b32 s11, exec_lo
	v_cmpx_gt_u32_e64 s10, v71
	s_cbranch_execnz .LBB419_1000
.LBB419_984:                            ;   in Loop: Header=BB419_956 Depth=2
	s_or_b32 exec_lo, exec_lo, s11
	s_delay_alu instid0(SALU_CYCLE_1)
	s_mov_b32 s11, exec_lo
	v_cmpx_gt_u32_e64 s10, v72
	s_cbranch_execnz .LBB419_1001
.LBB419_985:                            ;   in Loop: Header=BB419_956 Depth=2
	s_or_b32 exec_lo, exec_lo, s11
	s_delay_alu instid0(SALU_CYCLE_1)
	s_mov_b32 s11, exec_lo
	v_cmpx_gt_u32_e64 s10, v73
	s_cbranch_execnz .LBB419_1002
.LBB419_986:                            ;   in Loop: Header=BB419_956 Depth=2
	s_or_b32 exec_lo, exec_lo, s11
	s_delay_alu instid0(SALU_CYCLE_1)
	s_mov_b32 s11, exec_lo
	v_cmpx_gt_u32_e64 s10, v74
	s_cbranch_execnz .LBB419_1003
.LBB419_987:                            ;   in Loop: Header=BB419_956 Depth=2
	s_or_b32 exec_lo, exec_lo, s11
	s_delay_alu instid0(SALU_CYCLE_1)
	s_mov_b32 s11, exec_lo
	v_cmpx_gt_u32_e64 s10, v75
	s_cbranch_execnz .LBB419_1004
.LBB419_988:                            ;   in Loop: Header=BB419_956 Depth=2
	s_or_b32 exec_lo, exec_lo, s11
	s_delay_alu instid0(SALU_CYCLE_1)
	s_mov_b32 s11, exec_lo
	v_cmpx_gt_u32_e64 s10, v76
	s_cbranch_execnz .LBB419_1005
.LBB419_989:                            ;   in Loop: Header=BB419_956 Depth=2
	s_or_b32 exec_lo, exec_lo, s11
	s_delay_alu instid0(SALU_CYCLE_1)
	s_mov_b32 s11, exec_lo
	v_cmpx_gt_u32_e64 s10, v77
	s_cbranch_execnz .LBB419_1006
.LBB419_990:                            ;   in Loop: Header=BB419_956 Depth=2
	s_or_b32 exec_lo, exec_lo, s11
	s_delay_alu instid0(SALU_CYCLE_1)
	s_mov_b32 s11, exec_lo
	v_cmpx_gt_u32_e64 s10, v78
	s_cbranch_execnz .LBB419_1007
.LBB419_991:                            ;   in Loop: Header=BB419_956 Depth=2
	s_or_b32 exec_lo, exec_lo, s11
	s_delay_alu instid0(SALU_CYCLE_1)
	s_mov_b32 s11, exec_lo
	v_cmpx_gt_u32_e64 s10, v79
	s_cbranch_execnz .LBB419_1008
.LBB419_992:                            ;   in Loop: Header=BB419_956 Depth=2
	s_or_b32 exec_lo, exec_lo, s11
	s_delay_alu instid0(SALU_CYCLE_1)
	s_mov_b32 s11, exec_lo
	v_cmpx_gt_u32_e64 s10, v80
	s_cbranch_execnz .LBB419_1009
.LBB419_993:                            ;   in Loop: Header=BB419_956 Depth=2
	s_or_b32 exec_lo, exec_lo, s11
	s_delay_alu instid0(SALU_CYCLE_1)
	s_mov_b32 s11, exec_lo
	v_cmpx_gt_u32_e64 s10, v81
	s_cbranch_execnz .LBB419_1010
.LBB419_994:                            ;   in Loop: Header=BB419_956 Depth=2
	s_or_b32 exec_lo, exec_lo, s11
	v_cmp_gt_u32_e32 vcc_lo, s10, v82
	s_and_saveexec_b32 s10, vcc_lo
	s_cbranch_execz .LBB419_955
	s_branch .LBB419_1011
.LBB419_995:                            ;   in Loop: Header=BB419_956 Depth=2
	v_xor_b32_e32 v24, 0x80, v39
	s_delay_alu instid0(VALU_DEP_1) | instskip(NEXT) | instid1(VALU_DEP_1)
	v_and_b32_e32 v24, 0xff, v24
	v_lshrrev_b32_e32 v24, s49, v24
	s_delay_alu instid0(VALU_DEP_1) | instskip(NEXT) | instid1(VALU_DEP_1)
	v_and_b32_e32 v24, s58, v24
	v_lshl_or_b32 v24, v24, 4, v84
	ds_add_u32 v24, v7
	s_or_b32 exec_lo, exec_lo, s11
	s_delay_alu instid0(SALU_CYCLE_1)
	s_mov_b32 s11, exec_lo
	v_cmpx_gt_u32_e64 s10, v67
	s_cbranch_execz .LBB419_980
.LBB419_996:                            ;   in Loop: Header=BB419_956 Depth=2
	v_xor_b32_e32 v24, 0x80, v42
	s_delay_alu instid0(VALU_DEP_1) | instskip(NEXT) | instid1(VALU_DEP_1)
	v_and_b32_e32 v24, 0xff, v24
	v_lshrrev_b32_e32 v24, s49, v24
	s_delay_alu instid0(VALU_DEP_1) | instskip(NEXT) | instid1(VALU_DEP_1)
	v_and_b32_e32 v24, s58, v24
	v_lshl_or_b32 v24, v24, 4, v84
	ds_add_u32 v24, v7
	s_or_b32 exec_lo, exec_lo, s11
	s_delay_alu instid0(SALU_CYCLE_1)
	s_mov_b32 s11, exec_lo
	v_cmpx_gt_u32_e64 s10, v68
	s_cbranch_execz .LBB419_981
.LBB419_997:                            ;   in Loop: Header=BB419_956 Depth=2
	v_xor_b32_e32 v24, 0x80, v41
	s_delay_alu instid0(VALU_DEP_1) | instskip(NEXT) | instid1(VALU_DEP_1)
	v_and_b32_e32 v24, 0xff, v24
	v_lshrrev_b32_e32 v24, s49, v24
	s_delay_alu instid0(VALU_DEP_1) | instskip(NEXT) | instid1(VALU_DEP_1)
	v_and_b32_e32 v24, s58, v24
	v_lshl_or_b32 v24, v24, 4, v84
	ds_add_u32 v24, v7
	s_or_b32 exec_lo, exec_lo, s11
	s_delay_alu instid0(SALU_CYCLE_1)
	s_mov_b32 s11, exec_lo
	v_cmpx_gt_u32_e64 s10, v69
	s_cbranch_execz .LBB419_982
.LBB419_998:                            ;   in Loop: Header=BB419_956 Depth=2
	v_xor_b32_e32 v24, 0x80, v40
	s_delay_alu instid0(VALU_DEP_1) | instskip(NEXT) | instid1(VALU_DEP_1)
	v_and_b32_e32 v24, 0xff, v24
	v_lshrrev_b32_e32 v24, s49, v24
	s_delay_alu instid0(VALU_DEP_1) | instskip(NEXT) | instid1(VALU_DEP_1)
	v_and_b32_e32 v24, s58, v24
	v_lshl_or_b32 v24, v24, 4, v84
	ds_add_u32 v24, v7
	s_or_b32 exec_lo, exec_lo, s11
	s_delay_alu instid0(SALU_CYCLE_1)
	s_mov_b32 s11, exec_lo
	v_cmpx_gt_u32_e64 s10, v70
	s_cbranch_execz .LBB419_983
.LBB419_999:                            ;   in Loop: Header=BB419_956 Depth=2
	v_xor_b32_e32 v24, 0x80, v38
	s_delay_alu instid0(VALU_DEP_1) | instskip(NEXT) | instid1(VALU_DEP_1)
	v_and_b32_e32 v24, 0xff, v24
	v_lshrrev_b32_e32 v24, s49, v24
	s_delay_alu instid0(VALU_DEP_1) | instskip(NEXT) | instid1(VALU_DEP_1)
	v_and_b32_e32 v24, s58, v24
	v_lshl_or_b32 v24, v24, 4, v84
	ds_add_u32 v24, v7
	s_or_b32 exec_lo, exec_lo, s11
	s_delay_alu instid0(SALU_CYCLE_1)
	s_mov_b32 s11, exec_lo
	v_cmpx_gt_u32_e64 s10, v71
	s_cbranch_execz .LBB419_984
.LBB419_1000:                           ;   in Loop: Header=BB419_956 Depth=2
	v_xor_b32_e32 v24, 0x80, v37
	s_delay_alu instid0(VALU_DEP_1) | instskip(NEXT) | instid1(VALU_DEP_1)
	v_and_b32_e32 v24, 0xff, v24
	v_lshrrev_b32_e32 v24, s49, v24
	s_delay_alu instid0(VALU_DEP_1) | instskip(NEXT) | instid1(VALU_DEP_1)
	v_and_b32_e32 v24, s58, v24
	v_lshl_or_b32 v24, v24, 4, v84
	ds_add_u32 v24, v7
	s_or_b32 exec_lo, exec_lo, s11
	s_delay_alu instid0(SALU_CYCLE_1)
	s_mov_b32 s11, exec_lo
	v_cmpx_gt_u32_e64 s10, v72
	s_cbranch_execz .LBB419_985
.LBB419_1001:                           ;   in Loop: Header=BB419_956 Depth=2
	v_xor_b32_e32 v24, 0x80, v36
	s_delay_alu instid0(VALU_DEP_1) | instskip(NEXT) | instid1(VALU_DEP_1)
	v_and_b32_e32 v24, 0xff, v24
	v_lshrrev_b32_e32 v24, s49, v24
	s_delay_alu instid0(VALU_DEP_1) | instskip(NEXT) | instid1(VALU_DEP_1)
	v_and_b32_e32 v24, s58, v24
	v_lshl_or_b32 v24, v24, 4, v84
	ds_add_u32 v24, v7
	s_or_b32 exec_lo, exec_lo, s11
	s_delay_alu instid0(SALU_CYCLE_1)
	s_mov_b32 s11, exec_lo
	v_cmpx_gt_u32_e64 s10, v73
	s_cbranch_execz .LBB419_986
.LBB419_1002:                           ;   in Loop: Header=BB419_956 Depth=2
	v_xor_b32_e32 v24, 0x80, v35
	s_delay_alu instid0(VALU_DEP_1) | instskip(NEXT) | instid1(VALU_DEP_1)
	v_and_b32_e32 v24, 0xff, v24
	v_lshrrev_b32_e32 v24, s49, v24
	s_delay_alu instid0(VALU_DEP_1) | instskip(NEXT) | instid1(VALU_DEP_1)
	v_and_b32_e32 v24, s58, v24
	v_lshl_or_b32 v24, v24, 4, v84
	ds_add_u32 v24, v7
	s_or_b32 exec_lo, exec_lo, s11
	s_delay_alu instid0(SALU_CYCLE_1)
	s_mov_b32 s11, exec_lo
	v_cmpx_gt_u32_e64 s10, v74
	s_cbranch_execz .LBB419_987
.LBB419_1003:                           ;   in Loop: Header=BB419_956 Depth=2
	v_xor_b32_e32 v24, 0x80, v34
	s_delay_alu instid0(VALU_DEP_1) | instskip(NEXT) | instid1(VALU_DEP_1)
	v_and_b32_e32 v24, 0xff, v24
	v_lshrrev_b32_e32 v24, s49, v24
	s_delay_alu instid0(VALU_DEP_1) | instskip(NEXT) | instid1(VALU_DEP_1)
	v_and_b32_e32 v24, s58, v24
	v_lshl_or_b32 v24, v24, 4, v84
	ds_add_u32 v24, v7
	s_or_b32 exec_lo, exec_lo, s11
	s_delay_alu instid0(SALU_CYCLE_1)
	s_mov_b32 s11, exec_lo
	v_cmpx_gt_u32_e64 s10, v75
	s_cbranch_execz .LBB419_988
.LBB419_1004:                           ;   in Loop: Header=BB419_956 Depth=2
	v_xor_b32_e32 v24, 0x80, v33
	s_delay_alu instid0(VALU_DEP_1) | instskip(NEXT) | instid1(VALU_DEP_1)
	v_and_b32_e32 v24, 0xff, v24
	v_lshrrev_b32_e32 v24, s49, v24
	s_delay_alu instid0(VALU_DEP_1) | instskip(NEXT) | instid1(VALU_DEP_1)
	v_and_b32_e32 v24, s58, v24
	v_lshl_or_b32 v24, v24, 4, v84
	ds_add_u32 v24, v7
	s_or_b32 exec_lo, exec_lo, s11
	s_delay_alu instid0(SALU_CYCLE_1)
	s_mov_b32 s11, exec_lo
	v_cmpx_gt_u32_e64 s10, v76
	s_cbranch_execz .LBB419_989
.LBB419_1005:                           ;   in Loop: Header=BB419_956 Depth=2
	v_xor_b32_e32 v24, 0x80, v32
	s_delay_alu instid0(VALU_DEP_1) | instskip(NEXT) | instid1(VALU_DEP_1)
	v_and_b32_e32 v24, 0xff, v24
	v_lshrrev_b32_e32 v24, s49, v24
	s_delay_alu instid0(VALU_DEP_1) | instskip(NEXT) | instid1(VALU_DEP_1)
	v_and_b32_e32 v24, s58, v24
	v_lshl_or_b32 v24, v24, 4, v84
	ds_add_u32 v24, v7
	s_or_b32 exec_lo, exec_lo, s11
	s_delay_alu instid0(SALU_CYCLE_1)
	s_mov_b32 s11, exec_lo
	v_cmpx_gt_u32_e64 s10, v77
	s_cbranch_execz .LBB419_990
.LBB419_1006:                           ;   in Loop: Header=BB419_956 Depth=2
	v_xor_b32_e32 v24, 0x80, v31
	s_delay_alu instid0(VALU_DEP_1) | instskip(NEXT) | instid1(VALU_DEP_1)
	v_and_b32_e32 v24, 0xff, v24
	v_lshrrev_b32_e32 v24, s49, v24
	s_delay_alu instid0(VALU_DEP_1) | instskip(NEXT) | instid1(VALU_DEP_1)
	v_and_b32_e32 v24, s58, v24
	v_lshl_or_b32 v24, v24, 4, v84
	ds_add_u32 v24, v7
	s_or_b32 exec_lo, exec_lo, s11
	s_delay_alu instid0(SALU_CYCLE_1)
	s_mov_b32 s11, exec_lo
	v_cmpx_gt_u32_e64 s10, v78
	s_cbranch_execz .LBB419_991
.LBB419_1007:                           ;   in Loop: Header=BB419_956 Depth=2
	v_xor_b32_e32 v24, 0x80, v30
	s_delay_alu instid0(VALU_DEP_1) | instskip(NEXT) | instid1(VALU_DEP_1)
	v_and_b32_e32 v24, 0xff, v24
	v_lshrrev_b32_e32 v24, s49, v24
	s_delay_alu instid0(VALU_DEP_1) | instskip(NEXT) | instid1(VALU_DEP_1)
	v_and_b32_e32 v24, s58, v24
	v_lshl_or_b32 v24, v24, 4, v84
	ds_add_u32 v24, v7
	s_or_b32 exec_lo, exec_lo, s11
	s_delay_alu instid0(SALU_CYCLE_1)
	s_mov_b32 s11, exec_lo
	v_cmpx_gt_u32_e64 s10, v79
	s_cbranch_execz .LBB419_992
.LBB419_1008:                           ;   in Loop: Header=BB419_956 Depth=2
	v_xor_b32_e32 v24, 0x80, v29
	s_delay_alu instid0(VALU_DEP_1) | instskip(NEXT) | instid1(VALU_DEP_1)
	v_and_b32_e32 v24, 0xff, v24
	v_lshrrev_b32_e32 v24, s49, v24
	s_delay_alu instid0(VALU_DEP_1) | instskip(NEXT) | instid1(VALU_DEP_1)
	v_and_b32_e32 v24, s58, v24
	v_lshl_or_b32 v24, v24, 4, v84
	ds_add_u32 v24, v7
	s_or_b32 exec_lo, exec_lo, s11
	s_delay_alu instid0(SALU_CYCLE_1)
	s_mov_b32 s11, exec_lo
	v_cmpx_gt_u32_e64 s10, v80
	s_cbranch_execz .LBB419_993
.LBB419_1009:                           ;   in Loop: Header=BB419_956 Depth=2
	v_xor_b32_e32 v24, 0x80, v28
	s_delay_alu instid0(VALU_DEP_1) | instskip(NEXT) | instid1(VALU_DEP_1)
	v_and_b32_e32 v24, 0xff, v24
	v_lshrrev_b32_e32 v24, s49, v24
	s_delay_alu instid0(VALU_DEP_1) | instskip(NEXT) | instid1(VALU_DEP_1)
	v_and_b32_e32 v24, s58, v24
	v_lshl_or_b32 v24, v24, 4, v84
	ds_add_u32 v24, v7
	s_or_b32 exec_lo, exec_lo, s11
	s_delay_alu instid0(SALU_CYCLE_1)
	s_mov_b32 s11, exec_lo
	v_cmpx_gt_u32_e64 s10, v81
	s_cbranch_execz .LBB419_994
.LBB419_1010:                           ;   in Loop: Header=BB419_956 Depth=2
	v_xor_b32_e32 v24, 0x80, v27
	s_delay_alu instid0(VALU_DEP_1) | instskip(NEXT) | instid1(VALU_DEP_1)
	v_and_b32_e32 v24, 0xff, v24
	v_lshrrev_b32_e32 v24, s49, v24
	s_delay_alu instid0(VALU_DEP_1) | instskip(NEXT) | instid1(VALU_DEP_1)
	v_and_b32_e32 v24, s58, v24
	v_lshl_or_b32 v24, v24, 4, v84
	ds_add_u32 v24, v7
	s_or_b32 exec_lo, exec_lo, s11
	v_cmp_gt_u32_e32 vcc_lo, s10, v82
	s_and_saveexec_b32 s10, vcc_lo
	s_cbranch_execz .LBB419_955
.LBB419_1011:                           ;   in Loop: Header=BB419_956 Depth=2
	v_xor_b32_e32 v24, 0x80, v26
	s_delay_alu instid0(VALU_DEP_1) | instskip(NEXT) | instid1(VALU_DEP_1)
	v_and_b32_e32 v24, 0xff, v24
	v_lshrrev_b32_e32 v24, s49, v24
	s_delay_alu instid0(VALU_DEP_1) | instskip(NEXT) | instid1(VALU_DEP_1)
	v_and_b32_e32 v24, s58, v24
	v_lshl_or_b32 v24, v24, 4, v84
	ds_add_u32 v24, v7
	s_branch .LBB419_955
.LBB419_1012:                           ;   in Loop: Header=BB419_956 Depth=2
	global_load_u8 v39, v[24:25], off
	s_wait_xcnt 0x0
	s_or_b32 exec_lo, exec_lo, s10
	s_delay_alu instid0(SALU_CYCLE_1)
	s_mov_b32 s10, exec_lo
	v_cmpx_gt_u32_e64 s8, v67
	s_cbranch_execz .LBB419_961
.LBB419_1013:                           ;   in Loop: Header=BB419_956 Depth=2
	global_load_u8 v42, v[24:25], off offset:256
	s_wait_xcnt 0x0
	s_or_b32 exec_lo, exec_lo, s10
	s_delay_alu instid0(SALU_CYCLE_1)
	s_mov_b32 s10, exec_lo
	v_cmpx_gt_u32_e64 s8, v68
	s_cbranch_execz .LBB419_962
.LBB419_1014:                           ;   in Loop: Header=BB419_956 Depth=2
	global_load_u8 v41, v[24:25], off offset:512
	s_wait_xcnt 0x0
	s_or_b32 exec_lo, exec_lo, s10
	s_delay_alu instid0(SALU_CYCLE_1)
	s_mov_b32 s10, exec_lo
	v_cmpx_gt_u32_e64 s8, v69
	s_cbranch_execz .LBB419_963
.LBB419_1015:                           ;   in Loop: Header=BB419_956 Depth=2
	global_load_u8 v40, v[24:25], off offset:768
	s_wait_xcnt 0x0
	s_or_b32 exec_lo, exec_lo, s10
	s_delay_alu instid0(SALU_CYCLE_1)
	s_mov_b32 s10, exec_lo
	v_cmpx_gt_u32_e64 s8, v70
	s_cbranch_execz .LBB419_964
.LBB419_1016:                           ;   in Loop: Header=BB419_956 Depth=2
	global_load_u8 v38, v[24:25], off offset:1024
	s_wait_xcnt 0x0
	s_or_b32 exec_lo, exec_lo, s10
	s_delay_alu instid0(SALU_CYCLE_1)
	s_mov_b32 s10, exec_lo
	v_cmpx_gt_u32_e64 s8, v71
	s_cbranch_execz .LBB419_965
.LBB419_1017:                           ;   in Loop: Header=BB419_956 Depth=2
	global_load_u8 v37, v[24:25], off offset:1280
	s_wait_xcnt 0x0
	s_or_b32 exec_lo, exec_lo, s10
	s_delay_alu instid0(SALU_CYCLE_1)
	s_mov_b32 s10, exec_lo
	v_cmpx_gt_u32_e64 s8, v72
	s_cbranch_execz .LBB419_966
.LBB419_1018:                           ;   in Loop: Header=BB419_956 Depth=2
	global_load_u8 v36, v[24:25], off offset:1536
	s_wait_xcnt 0x0
	s_or_b32 exec_lo, exec_lo, s10
	s_delay_alu instid0(SALU_CYCLE_1)
	s_mov_b32 s10, exec_lo
	v_cmpx_gt_u32_e64 s8, v73
	s_cbranch_execz .LBB419_967
.LBB419_1019:                           ;   in Loop: Header=BB419_956 Depth=2
	global_load_u8 v35, v[24:25], off offset:1792
	s_wait_xcnt 0x0
	s_or_b32 exec_lo, exec_lo, s10
	s_delay_alu instid0(SALU_CYCLE_1)
	s_mov_b32 s10, exec_lo
	v_cmpx_gt_u32_e64 s8, v74
	s_cbranch_execz .LBB419_968
.LBB419_1020:                           ;   in Loop: Header=BB419_956 Depth=2
	global_load_u8 v34, v[24:25], off offset:2048
	s_wait_xcnt 0x0
	s_or_b32 exec_lo, exec_lo, s10
	s_delay_alu instid0(SALU_CYCLE_1)
	s_mov_b32 s10, exec_lo
	v_cmpx_gt_u32_e64 s8, v75
	s_cbranch_execz .LBB419_969
.LBB419_1021:                           ;   in Loop: Header=BB419_956 Depth=2
	global_load_u8 v33, v[24:25], off offset:2304
	s_wait_xcnt 0x0
	s_or_b32 exec_lo, exec_lo, s10
	s_delay_alu instid0(SALU_CYCLE_1)
	s_mov_b32 s10, exec_lo
	v_cmpx_gt_u32_e64 s8, v76
	s_cbranch_execz .LBB419_970
.LBB419_1022:                           ;   in Loop: Header=BB419_956 Depth=2
	global_load_u8 v32, v[24:25], off offset:2560
	s_wait_xcnt 0x0
	s_or_b32 exec_lo, exec_lo, s10
	s_delay_alu instid0(SALU_CYCLE_1)
	s_mov_b32 s10, exec_lo
	v_cmpx_gt_u32_e64 s8, v77
	s_cbranch_execz .LBB419_971
.LBB419_1023:                           ;   in Loop: Header=BB419_956 Depth=2
	global_load_u8 v31, v[24:25], off offset:2816
	s_wait_xcnt 0x0
	s_or_b32 exec_lo, exec_lo, s10
	s_delay_alu instid0(SALU_CYCLE_1)
	s_mov_b32 s10, exec_lo
	v_cmpx_gt_u32_e64 s8, v78
	s_cbranch_execz .LBB419_972
.LBB419_1024:                           ;   in Loop: Header=BB419_956 Depth=2
	global_load_u8 v30, v[24:25], off offset:3072
	s_wait_xcnt 0x0
	s_or_b32 exec_lo, exec_lo, s10
	s_delay_alu instid0(SALU_CYCLE_1)
	s_mov_b32 s10, exec_lo
	v_cmpx_gt_u32_e64 s8, v79
	s_cbranch_execz .LBB419_973
.LBB419_1025:                           ;   in Loop: Header=BB419_956 Depth=2
	global_load_u8 v29, v[24:25], off offset:3328
	s_wait_xcnt 0x0
	s_or_b32 exec_lo, exec_lo, s10
	s_delay_alu instid0(SALU_CYCLE_1)
	s_mov_b32 s10, exec_lo
	v_cmpx_gt_u32_e64 s8, v80
	s_cbranch_execz .LBB419_974
.LBB419_1026:                           ;   in Loop: Header=BB419_956 Depth=2
	global_load_u8 v28, v[24:25], off offset:3584
	s_wait_xcnt 0x0
	s_or_b32 exec_lo, exec_lo, s10
	s_delay_alu instid0(SALU_CYCLE_1)
	s_mov_b32 s10, exec_lo
	v_cmpx_gt_u32_e64 s8, v81
	s_cbranch_execz .LBB419_975
.LBB419_1027:                           ;   in Loop: Header=BB419_956 Depth=2
	global_load_u8 v27, v[24:25], off offset:3840
	s_wait_xcnt 0x0
	s_or_b32 exec_lo, exec_lo, s10
	s_delay_alu instid0(SALU_CYCLE_1)
	s_mov_b32 s10, exec_lo
	v_cmpx_gt_u32_e64 s8, v82
	s_cbranch_execnz .LBB419_976
	s_branch .LBB419_977
.LBB419_1028:                           ;   in Loop: Header=BB419_20 Depth=1
	v_mov_b32_e32 v24, 0
	s_wait_dscnt 0x0
	s_barrier_signal -1
	s_barrier_wait -1
	s_and_saveexec_b32 s8, s0
	s_cbranch_execz .LBB419_1030
; %bb.1029:                             ;   in Loop: Header=BB419_20 Depth=1
	ds_load_2addr_b64 v[24:27], v85 offset1:1
	s_wait_dscnt 0x0
	v_add_nc_u32_e32 v24, v25, v24
	s_delay_alu instid0(VALU_DEP_1)
	v_add3_u32 v24, v24, v26, v27
.LBB419_1030:                           ;   in Loop: Header=BB419_20 Depth=1
	s_or_b32 exec_lo, exec_lo, s8
	v_and_b32_e32 v25, 15, v0
	s_delay_alu instid0(VALU_DEP_2) | instskip(SKIP_1) | instid1(VALU_DEP_3)
	v_mov_b32_dpp v26, v24 row_shr:1 row_mask:0xf bank_mask:0xf
	v_and_b32_e32 v27, 16, v0
	v_cmp_eq_u32_e64 s8, 0, v25
	v_cmp_lt_u32_e64 s9, 1, v25
	s_delay_alu instid0(VALU_DEP_3) | instskip(NEXT) | instid1(VALU_DEP_3)
	v_cmp_eq_u32_e64 s12, 0, v27
	v_cndmask_b32_e64 v26, v26, 0, s8
	s_delay_alu instid0(VALU_DEP_1) | instskip(NEXT) | instid1(VALU_DEP_1)
	v_add_nc_u32_e32 v24, v26, v24
	v_mov_b32_dpp v26, v24 row_shr:2 row_mask:0xf bank_mask:0xf
	s_delay_alu instid0(VALU_DEP_1) | instskip(SKIP_2) | instid1(VALU_DEP_3)
	v_cndmask_b32_e64 v26, 0, v26, s9
	v_cmp_lt_u32_e64 s11, 7, v25
	v_cmp_lt_u32_e64 s10, 3, v25
	v_add_nc_u32_e32 v24, v24, v26
	s_delay_alu instid0(VALU_DEP_1) | instskip(NEXT) | instid1(VALU_DEP_1)
	v_mov_b32_dpp v26, v24 row_shr:4 row_mask:0xf bank_mask:0xf
	v_cndmask_b32_e64 v26, 0, v26, s10
	s_delay_alu instid0(VALU_DEP_1) | instskip(NEXT) | instid1(VALU_DEP_1)
	v_add_nc_u32_e32 v24, v24, v26
	v_mov_b32_dpp v26, v24 row_shr:8 row_mask:0xf bank_mask:0xf
	s_delay_alu instid0(VALU_DEP_1) | instskip(SKIP_1) | instid1(VALU_DEP_2)
	v_cndmask_b32_e64 v25, 0, v26, s11
	v_bfe_i32 v26, v0, 4, 1
	v_add_nc_u32_e32 v24, v24, v25
	ds_swizzle_b32 v25, v24 offset:swizzle(BROADCAST,32,15)
	s_wait_dscnt 0x0
	v_and_b32_e32 v25, v26, v25
	s_delay_alu instid0(VALU_DEP_1)
	v_add_nc_u32_e32 v24, v24, v25
	s_and_saveexec_b32 s13, s1
; %bb.1031:                             ;   in Loop: Header=BB419_20 Depth=1
	ds_store_b32 v86, v24
; %bb.1032:                             ;   in Loop: Header=BB419_20 Depth=1
	s_or_b32 exec_lo, exec_lo, s13
	s_wait_dscnt 0x0
	s_barrier_signal -1
	s_barrier_wait -1
	s_and_saveexec_b32 s13, s4
	s_cbranch_execz .LBB419_1034
; %bb.1033:                             ;   in Loop: Header=BB419_20 Depth=1
	ds_load_b32 v25, v87
	s_wait_dscnt 0x0
	v_mov_b32_dpp v27, v25 row_shr:1 row_mask:0xf bank_mask:0xf
	v_and_b32_e32 v26, 3, v0
	s_delay_alu instid0(VALU_DEP_1) | instskip(NEXT) | instid1(VALU_DEP_3)
	v_cmp_ne_u32_e32 vcc_lo, 0, v26
	v_cndmask_b32_e32 v27, 0, v27, vcc_lo
	v_cmp_lt_u32_e32 vcc_lo, 1, v26
	s_delay_alu instid0(VALU_DEP_2) | instskip(NEXT) | instid1(VALU_DEP_1)
	v_add_nc_u32_e32 v25, v27, v25
	v_mov_b32_dpp v27, v25 row_shr:2 row_mask:0xf bank_mask:0xf
	s_delay_alu instid0(VALU_DEP_1) | instskip(NEXT) | instid1(VALU_DEP_1)
	v_cndmask_b32_e32 v26, 0, v27, vcc_lo
	v_add_nc_u32_e32 v25, v25, v26
	ds_store_b32 v87, v25
.LBB419_1034:                           ;   in Loop: Header=BB419_20 Depth=1
	s_or_b32 exec_lo, exec_lo, s13
	v_mov_b32_e32 v25, 0
	s_wait_dscnt 0x0
	s_barrier_signal -1
	s_barrier_wait -1
	s_and_saveexec_b32 s13, s5
; %bb.1035:                             ;   in Loop: Header=BB419_20 Depth=1
	ds_load_b32 v25, v88
; %bb.1036:                             ;   in Loop: Header=BB419_20 Depth=1
	s_or_b32 exec_lo, exec_lo, s13
	v_sub_co_u32 v26, s13, v0, 1
	s_wait_dscnt 0x0
	s_barrier_signal -1
	s_barrier_wait -1
	s_delay_alu instid0(VALU_DEP_1) | instskip(SKIP_1) | instid1(VALU_DEP_1)
	v_cmp_gt_i32_e32 vcc_lo, 0, v26
	v_cndmask_b32_e32 v26, v26, v0, vcc_lo
	v_dual_add_nc_u32 v24, v25, v24 :: v_dual_lshlrev_b32 v96, 2, v26
	ds_bpermute_b32 v24, v96, v24
	s_and_saveexec_b32 s14, s0
	s_cbranch_execz .LBB419_1038
; %bb.1037:                             ;   in Loop: Header=BB419_20 Depth=1
	s_wait_dscnt 0x0
	v_cndmask_b32_e64 v24, v24, v25, s13
	s_delay_alu instid0(VALU_DEP_1)
	v_add_nc_u32_e32 v24, s55, v24
	ds_store_b32 v66, v24
.LBB419_1038:                           ;   in Loop: Header=BB419_20 Depth=1
	s_or_b32 exec_lo, exec_lo, s14
	s_load_b64 s[14:15], s[52:53], 0x0
	v_dual_lshlrev_b32 v26, 3, v0 :: v_dual_bitop2_b32 v28, 7, v0 bitop3:0x40
	v_dual_mov_b32 v27, v1 :: v_dual_bitop2_b32 v97, v0, v6 bitop3:0x54
	s_wait_dscnt 0x0
	v_add_nc_u64_e32 v[24:25], v[22:23], v[0:1]
	v_mov_b32_e32 v115, 0
	s_mov_b32 s59, s57
	v_add_nc_u64_e32 v[26:27], v[20:21], v[26:27]
	v_dual_add_nc_u32 v98, 32, v97 :: v_dual_add_nc_u32 v99, 64, v97
	v_add_nc_u32_e32 v100, 0x60, v97
	v_add_nc_u32_e32 v101, 0x80, v97
	;; [unrolled: 1-line block ×9, first 2 shown]
	s_wait_kmcnt 0x0
	s_cmp_lt_u32 s51, s14
	v_add_nc_u32_e32 v109, 0x180, v97
	s_cselect_b32 s34, 12, 18
	s_cmp_lt_u32 s42, s15
	s_mov_b32 s15, s35
	s_cselect_b32 s14, 14, 20
	v_add_nc_u32_e32 v110, 0x1a0, v97
	s_add_nc_u64 s[14:15], s[52:53], s[14:15]
	v_add_nc_u32_e32 v111, 0x1c0, v97
	s_load_u16 s16, s[14:15], 0x0
	s_wait_xcnt 0x0
	s_add_nc_u64 s[14:15], s[52:53], s[34:35]
	v_add_nc_u32_e32 v112, 0x1e0, v97
	s_load_u16 s17, s[14:15], 0x0
	s_wait_xcnt 0x0
	v_cmp_eq_u32_e64 s14, 0, v28
	v_cmp_lt_u32_e64 s15, 1, v28
	v_add_nc_u32_e32 v113, 0x200, v97
	s_mov_b32 s34, s55
                                        ; implicit-def: $vgpr30_vgpr31
                                        ; implicit-def: $vgpr32_vgpr33
                                        ; implicit-def: $vgpr34_vgpr35
                                        ; implicit-def: $vgpr36_vgpr37
                                        ; implicit-def: $vgpr38_vgpr39
                                        ; implicit-def: $vgpr40_vgpr41
                                        ; implicit-def: $vgpr42_vgpr43
                                        ; implicit-def: $vgpr44_vgpr45
                                        ; implicit-def: $vgpr46_vgpr47
                                        ; implicit-def: $vgpr48_vgpr49
                                        ; implicit-def: $vgpr50_vgpr51
                                        ; implicit-def: $vgpr52_vgpr53
                                        ; implicit-def: $vgpr54_vgpr55
                                        ; implicit-def: $vgpr56_vgpr57
                                        ; implicit-def: $vgpr58_vgpr59
                                        ; implicit-def: $vgpr60_vgpr61
                                        ; implicit-def: $vgpr116
                                        ; implicit-def: $vgpr117
                                        ; implicit-def: $vgpr118
                                        ; implicit-def: $vgpr119
                                        ; implicit-def: $vgpr120
                                        ; implicit-def: $vgpr121
                                        ; implicit-def: $vgpr122
                                        ; implicit-def: $vgpr123
                                        ; implicit-def: $vgpr124
                                        ; implicit-def: $vgpr125
                                        ; implicit-def: $vgpr126
                                        ; implicit-def: $vgpr127
                                        ; implicit-def: $vgpr128
                                        ; implicit-def: $vgpr129
                                        ; implicit-def: $vgpr130
                                        ; implicit-def: $vgpr131
                                        ; implicit-def: $vgpr132
                                        ; implicit-def: $vgpr133
                                        ; implicit-def: $vgpr134
	s_wait_kmcnt 0x0
	v_mad_u32_u24 v29, v89, s16, v91
	v_cmp_lt_u32_e64 s16, 3, v28
	s_delay_alu instid0(VALU_DEP_2) | instskip(NEXT) | instid1(VALU_DEP_1)
	v_mad_u32 v28, v29, s17, v2
	v_lshrrev_b32_e32 v28, 3, v28
	s_delay_alu instid0(VALU_DEP_1)
	v_and_b32_e32 v114, 0x1ffffffc, v28
                                        ; implicit-def: $vgpr28_vgpr29
	s_branch .LBB419_1040
.LBB419_1039:                           ;   in Loop: Header=BB419_1040 Depth=2
	s_or_b32 exec_lo, exec_lo, s17
	s_addk_co_i32 s59, 0xef00
	s_cmp_lt_u32 s60, s54
	s_mov_b32 s34, s60
	s_cbranch_scc0 .LBB419_18
.LBB419_1040:                           ;   Parent Loop BB419_20 Depth=1
                                        ; =>  This Inner Loop Header: Depth=2
	s_add_co_i32 s60, s34, 0x1100
	s_delay_alu instid0(SALU_CYCLE_1)
	s_cmp_gt_u32 s60, s54
	s_cbranch_scc1 .LBB419_1042
; %bb.1041:                             ;   in Loop: Header=BB419_1040 Depth=2
	v_add_nc_u64_e32 v[62:63], s[34:35], v[24:25]
	s_mov_b32 s17, -1
	s_clause 0xf
	global_load_u8 v135, v[62:63], off offset:480
	global_load_u8 v65, v[62:63], off offset:448
	;; [unrolled: 1-line block ×15, first 2 shown]
	global_load_u8 v147, v[62:63], off
	s_movk_i32 s18, 0x1100
	s_cbranch_execz .LBB419_1043
	s_branch .LBB419_1061
.LBB419_1042:                           ;   in Loop: Header=BB419_1040 Depth=2
	s_mov_b32 s17, 0
                                        ; implicit-def: $vgpr147
                                        ; implicit-def: $vgpr150
                                        ; implicit-def: $vgpr148
                                        ; implicit-def: $vgpr151
                                        ; implicit-def: $vgpr142
                                        ; implicit-def: $vgpr145
                                        ; implicit-def: $vgpr143
                                        ; implicit-def: $vgpr144
                                        ; implicit-def: $vgpr138
                                        ; implicit-def: $vgpr141
                                        ; implicit-def: $vgpr139
                                        ; implicit-def: $vgpr140
                                        ; implicit-def: $vgpr64
                                        ; implicit-def: $vgpr136
                                        ; implicit-def: $vgpr65
                                        ; implicit-def: $vgpr135
                                        ; implicit-def: $vgpr115
	s_movk_i32 s18, 0x1100
.LBB419_1043:                           ;   in Loop: Header=BB419_1040 Depth=2
	s_wait_xcnt 0x0
	v_add_nc_u64_e32 v[62:63], s[34:35], v[24:25]
	s_wait_loadcnt 0x1
	v_dual_mov_b32 v115, 0x7f :: v_dual_mov_b32 v150, 0x7f
	s_wait_loadcnt 0x0
	v_dual_mov_b32 v147, 0x7f :: v_dual_mov_b32 v148, 0x7f
	v_dual_mov_b32 v151, 0x7f :: v_dual_mov_b32 v142, 0x7f
	;; [unrolled: 1-line block ×7, first 2 shown]
	v_mov_b32_e32 v135, 0x7f
	s_mov_b32 s17, exec_lo
	v_cmpx_gt_u32_e64 s59, v97
	s_cbranch_execnz .LBB419_1247
; %bb.1044:                             ;   in Loop: Header=BB419_1040 Depth=2
	s_or_b32 exec_lo, exec_lo, s17
	s_delay_alu instid0(SALU_CYCLE_1)
	s_mov_b32 s17, exec_lo
	v_cmpx_gt_u32_e64 s59, v98
	s_cbranch_execnz .LBB419_1248
.LBB419_1045:                           ;   in Loop: Header=BB419_1040 Depth=2
	s_or_b32 exec_lo, exec_lo, s17
	s_delay_alu instid0(SALU_CYCLE_1)
	s_mov_b32 s17, exec_lo
	v_cmpx_gt_u32_e64 s59, v99
	s_cbranch_execnz .LBB419_1249
.LBB419_1046:                           ;   in Loop: Header=BB419_1040 Depth=2
	s_or_b32 exec_lo, exec_lo, s17
	s_delay_alu instid0(SALU_CYCLE_1)
	s_mov_b32 s17, exec_lo
	v_cmpx_gt_u32_e64 s59, v100
	s_cbranch_execnz .LBB419_1250
.LBB419_1047:                           ;   in Loop: Header=BB419_1040 Depth=2
	s_or_b32 exec_lo, exec_lo, s17
	s_delay_alu instid0(SALU_CYCLE_1)
	s_mov_b32 s17, exec_lo
	v_cmpx_gt_u32_e64 s59, v101
	s_cbranch_execnz .LBB419_1251
.LBB419_1048:                           ;   in Loop: Header=BB419_1040 Depth=2
	s_or_b32 exec_lo, exec_lo, s17
	s_delay_alu instid0(SALU_CYCLE_1)
	s_mov_b32 s17, exec_lo
	v_cmpx_gt_u32_e64 s59, v102
	s_cbranch_execnz .LBB419_1252
.LBB419_1049:                           ;   in Loop: Header=BB419_1040 Depth=2
	s_or_b32 exec_lo, exec_lo, s17
	s_delay_alu instid0(SALU_CYCLE_1)
	s_mov_b32 s17, exec_lo
	v_cmpx_gt_u32_e64 s59, v103
	s_cbranch_execnz .LBB419_1253
.LBB419_1050:                           ;   in Loop: Header=BB419_1040 Depth=2
	s_or_b32 exec_lo, exec_lo, s17
	s_delay_alu instid0(SALU_CYCLE_1)
	s_mov_b32 s17, exec_lo
	v_cmpx_gt_u32_e64 s59, v104
	s_cbranch_execnz .LBB419_1254
.LBB419_1051:                           ;   in Loop: Header=BB419_1040 Depth=2
	s_or_b32 exec_lo, exec_lo, s17
	s_delay_alu instid0(SALU_CYCLE_1)
	s_mov_b32 s17, exec_lo
	v_cmpx_gt_u32_e64 s59, v105
	s_cbranch_execnz .LBB419_1255
.LBB419_1052:                           ;   in Loop: Header=BB419_1040 Depth=2
	s_or_b32 exec_lo, exec_lo, s17
	s_delay_alu instid0(SALU_CYCLE_1)
	s_mov_b32 s17, exec_lo
	v_cmpx_gt_u32_e64 s59, v106
	s_cbranch_execnz .LBB419_1256
.LBB419_1053:                           ;   in Loop: Header=BB419_1040 Depth=2
	s_or_b32 exec_lo, exec_lo, s17
	s_delay_alu instid0(SALU_CYCLE_1)
	s_mov_b32 s17, exec_lo
	v_cmpx_gt_u32_e64 s59, v107
	s_cbranch_execnz .LBB419_1257
.LBB419_1054:                           ;   in Loop: Header=BB419_1040 Depth=2
	s_or_b32 exec_lo, exec_lo, s17
	s_delay_alu instid0(SALU_CYCLE_1)
	s_mov_b32 s17, exec_lo
	v_cmpx_gt_u32_e64 s59, v108
	s_cbranch_execnz .LBB419_1258
.LBB419_1055:                           ;   in Loop: Header=BB419_1040 Depth=2
	s_or_b32 exec_lo, exec_lo, s17
	s_delay_alu instid0(SALU_CYCLE_1)
	s_mov_b32 s17, exec_lo
	v_cmpx_gt_u32_e64 s59, v109
	s_cbranch_execnz .LBB419_1259
.LBB419_1056:                           ;   in Loop: Header=BB419_1040 Depth=2
	s_or_b32 exec_lo, exec_lo, s17
	s_delay_alu instid0(SALU_CYCLE_1)
	s_mov_b32 s17, exec_lo
	v_cmpx_gt_u32_e64 s59, v110
	s_cbranch_execnz .LBB419_1260
.LBB419_1057:                           ;   in Loop: Header=BB419_1040 Depth=2
	s_or_b32 exec_lo, exec_lo, s17
	s_delay_alu instid0(SALU_CYCLE_1)
	s_mov_b32 s17, exec_lo
	v_cmpx_gt_u32_e64 s59, v111
	s_cbranch_execnz .LBB419_1261
.LBB419_1058:                           ;   in Loop: Header=BB419_1040 Depth=2
	s_or_b32 exec_lo, exec_lo, s17
	s_delay_alu instid0(SALU_CYCLE_1)
	s_mov_b32 s17, exec_lo
	v_cmpx_gt_u32_e64 s59, v112
	s_cbranch_execz .LBB419_1060
.LBB419_1059:                           ;   in Loop: Header=BB419_1040 Depth=2
	global_load_u8 v135, v[62:63], off offset:480
.LBB419_1060:                           ;   in Loop: Header=BB419_1040 Depth=2
	s_wait_xcnt 0x0
	s_or_b32 exec_lo, exec_lo, s17
	v_cmp_gt_u32_e64 s17, s59, v113
	s_sub_co_i32 s18, s54, s34
.LBB419_1061:                           ;   in Loop: Header=BB419_1040 Depth=2
	v_mov_b32_e32 v137, s59
	s_wait_xcnt 0x0
	s_and_saveexec_b32 s19, s17
	s_cbranch_execz .LBB419_1063
; %bb.1062:                             ;   in Loop: Header=BB419_1040 Depth=2
	v_add_nc_u64_e32 v[62:63], s[34:35], v[24:25]
	v_mov_b32_e32 v137, s18
	global_load_u8 v115, v[62:63], off offset:512
.LBB419_1063:                           ;   in Loop: Header=BB419_1040 Depth=2
	s_wait_xcnt 0x0
	s_or_b32 exec_lo, exec_lo, s19
	s_wait_loadcnt 0x0
	v_bitop3_b16 v62, v147, s43, 0x80 bitop3:0x48
	ds_store_2addr_b32 v90, v1, v1 offset0:136 offset1:137
	ds_store_2addr_b32 v90, v1, v1 offset0:138 offset1:139
	ds_store_b32 v90, v1 offset:560
	s_wait_dscnt 0x0
	s_barrier_signal -1
	s_barrier_wait -1
	v_and_b32_e32 v62, 0xffff, v62
	; wave barrier
	s_delay_alu instid0(VALU_DEP_1) | instskip(NEXT) | instid1(VALU_DEP_1)
	v_lshrrev_b32_e32 v62, s49, v62
	v_and_b32_e32 v149, s58, v62
	s_delay_alu instid0(VALU_DEP_1) | instskip(SKIP_1) | instid1(VALU_DEP_1)
	v_lshlrev_b32_e32 v146, 30, v149
	v_bitop3_b32 v63, v62, 1, s58 bitop3:0x80
	v_add_co_u32 v62, s17, v63, -1
	s_delay_alu instid0(VALU_DEP_1) | instskip(NEXT) | instid1(VALU_DEP_4)
	v_cndmask_b32_e64 v63, 0, 1, s17
	v_cmp_gt_i32_e64 s17, 0, v146
	s_delay_alu instid0(VALU_DEP_2) | instskip(SKIP_2) | instid1(VALU_DEP_2)
	v_cmp_ne_u32_e32 vcc_lo, 0, v63
	v_not_b32_e32 v63, v146
	v_bitop3_b32 v62, vcc_lo, exec_lo, v62 bitop3:0x48
	v_dual_ashrrev_i32 v63, 31, v63 :: v_dual_lshlrev_b32 v152, 29, v149
	v_dual_lshlrev_b32 v153, 28, v149 :: v_dual_lshlrev_b32 v154, 27, v149
	v_lshlrev_b32_e32 v155, 26, v149
	s_delay_alu instid0(VALU_DEP_3)
	v_not_b32_e32 v146, v152
	v_lshlrev_b32_e32 v156, 25, v149
	v_cmp_gt_i32_e64 s18, 0, v152
	v_cmp_gt_i32_e64 s19, 0, v153
	v_not_b32_e32 v152, v153
	v_not_b32_e32 v153, v154
	v_ashrrev_i32_e32 v146, 31, v146
	v_cmp_gt_i32_e64 s20, 0, v154
	v_cmp_gt_i32_e64 s21, 0, v155
	v_not_b32_e32 v154, v155
	v_not_b32_e32 v155, v156
	v_dual_ashrrev_i32 v152, 31, v152 :: v_dual_ashrrev_i32 v153, 31, v153
	s_delay_alu instid0(VALU_DEP_3) | instskip(NEXT) | instid1(VALU_DEP_3)
	v_dual_ashrrev_i32 v154, 31, v154 :: v_dual_bitop2_b32 v63, s17, v63 bitop3:0x14
	v_dual_ashrrev_i32 v155, 31, v155 :: v_dual_bitop2_b32 v146, s18, v146 bitop3:0x14
	v_cmp_gt_i32_e64 s22, 0, v156
	s_delay_alu instid0(VALU_DEP_4) | instskip(SKIP_1) | instid1(VALU_DEP_4)
	v_xor_b32_e32 v152, s19, v152
	v_xor_b32_e32 v153, s20, v153
	v_bitop3_b32 v62, v62, v146, v63 bitop3:0x80
	v_xor_b32_e32 v63, s21, v154
	v_xor_b32_e32 v146, s22, v155
	s_delay_alu instid0(VALU_DEP_3) | instskip(NEXT) | instid1(VALU_DEP_1)
	v_bitop3_b32 v62, v62, v153, v152 bitop3:0x80
	v_bitop3_b32 v62, v62, v146, v63 bitop3:0x80
	v_mul_u32_u24_e32 v63, 36, v149
	s_delay_alu instid0(VALU_DEP_2) | instskip(SKIP_1) | instid1(VALU_DEP_3)
	v_mbcnt_lo_u32_b32 v146, v62, 0
	v_cmp_ne_u32_e64 s17, 0, v62
	v_add_nc_u32_e32 v149, v114, v63
	s_delay_alu instid0(VALU_DEP_3) | instskip(SKIP_1) | instid1(SALU_CYCLE_1)
	v_cmp_eq_u32_e32 vcc_lo, 0, v146
	s_and_b32 s18, s17, vcc_lo
	s_and_saveexec_b32 s17, s18
; %bb.1064:                             ;   in Loop: Header=BB419_1040 Depth=2
	v_bcnt_u32_b32 v62, v62, 0
	ds_store_b32 v149, v62 offset:544
; %bb.1065:                             ;   in Loop: Header=BB419_1040 Depth=2
	s_or_b32 exec_lo, exec_lo, s17
	v_xor_b32_e32 v62, 0x80, v150
	v_xor_b32_e32 v63, 0x80, v151
	;; [unrolled: 1-line block ×4, first 2 shown]
	s_delay_alu instid0(VALU_DEP_4) | instskip(NEXT) | instid1(VALU_DEP_4)
	v_lshlrev_b16 v62, 8, v62
	v_lshlrev_b16 v63, 8, v63
	; wave barrier
	s_delay_alu instid0(VALU_DEP_2) | instskip(NEXT) | instid1(VALU_DEP_2)
	v_bitop3_b16 v147, v147, v62, 0xff bitop3:0xec
	v_bitop3_b16 v62, v148, v63, 0xff bitop3:0xec
	s_delay_alu instid0(VALU_DEP_2) | instskip(NEXT) | instid1(VALU_DEP_2)
	v_and_b32_e32 v63, 0xffff, v147
	v_lshlrev_b32_e32 v62, 16, v62
	s_delay_alu instid0(VALU_DEP_1) | instskip(NEXT) | instid1(VALU_DEP_1)
	v_or_b32_e32 v148, v63, v62
	v_bfe_u32 v62, v148, 8, 8
	s_delay_alu instid0(VALU_DEP_1) | instskip(NEXT) | instid1(VALU_DEP_1)
	v_lshrrev_b32_e32 v62, s49, v62
	v_bitop3_b32 v63, v62, 1, s58 bitop3:0x80
	v_and_b32_e32 v152, s58, v62
	s_delay_alu instid0(VALU_DEP_2) | instskip(NEXT) | instid1(VALU_DEP_1)
	v_add_co_u32 v62, s17, v63, -1
	v_cndmask_b32_e64 v63, 0, 1, s17
	s_delay_alu instid0(VALU_DEP_3) | instskip(NEXT) | instid1(VALU_DEP_2)
	v_lshlrev_b32_e32 v150, 30, v152
	v_cmp_ne_u32_e32 vcc_lo, 0, v63
	s_delay_alu instid0(VALU_DEP_2) | instskip(SKIP_2) | instid1(VALU_DEP_3)
	v_not_b32_e32 v63, v150
	v_cmp_gt_i32_e64 s17, 0, v150
	v_bitop3_b32 v62, vcc_lo, exec_lo, v62 bitop3:0x48
	v_dual_ashrrev_i32 v63, 31, v63 :: v_dual_lshlrev_b32 v151, 29, v152
	v_dual_lshlrev_b32 v153, 28, v152 :: v_dual_lshlrev_b32 v154, 27, v152
	v_lshlrev_b32_e32 v155, 26, v152
	s_delay_alu instid0(VALU_DEP_3)
	v_not_b32_e32 v150, v151
	v_lshlrev_b32_e32 v156, 25, v152
	v_cmp_gt_i32_e64 s18, 0, v151
	v_cmp_gt_i32_e64 s19, 0, v153
	v_not_b32_e32 v151, v153
	v_ashrrev_i32_e32 v150, 31, v150
	v_cmp_gt_i32_e64 s20, 0, v154
	v_not_b32_e32 v153, v154
	v_cmp_gt_i32_e64 s21, 0, v155
	v_not_b32_e32 v154, v155
	v_not_b32_e32 v155, v156
	v_xor_b32_e32 v63, s17, v63
	v_dual_ashrrev_i32 v151, 31, v151 :: v_dual_bitop2_b32 v150, s18, v150 bitop3:0x14
	s_delay_alu instid0(VALU_DEP_4) | instskip(NEXT) | instid1(VALU_DEP_4)
	v_dual_ashrrev_i32 v153, 31, v153 :: v_dual_ashrrev_i32 v154, 31, v154
	v_ashrrev_i32_e32 v155, 31, v155
	s_delay_alu instid0(VALU_DEP_3)
	v_bitop3_b32 v62, v62, v150, v63 bitop3:0x80
	v_mad_u32_u24 v63, v152, 36, v114
	v_cmp_gt_i32_e64 s22, 0, v156
	v_xor_b32_e32 v151, s19, v151
	v_xor_b32_e32 v154, s21, v154
	ds_load_b32 v150, v63 offset:544
	v_mul_u32_u24_e32 v63, 36, v152
	v_xor_b32_e32 v153, s20, v153
	v_xor_b32_e32 v155, s22, v155
	; wave barrier
	s_delay_alu instid0(VALU_DEP_3) | instskip(NEXT) | instid1(VALU_DEP_3)
	v_add_nc_u32_e32 v152, v114, v63
	v_bitop3_b32 v62, v62, v153, v151 bitop3:0x80
	s_delay_alu instid0(VALU_DEP_1) | instskip(NEXT) | instid1(VALU_DEP_1)
	v_bitop3_b32 v62, v62, v155, v154 bitop3:0x80
	v_mbcnt_lo_u32_b32 v151, v62, 0
	v_cmp_ne_u32_e64 s17, 0, v62
	s_delay_alu instid0(VALU_DEP_2) | instskip(SKIP_1) | instid1(SALU_CYCLE_1)
	v_cmp_eq_u32_e32 vcc_lo, 0, v151
	s_and_b32 s18, s17, vcc_lo
	s_and_saveexec_b32 s17, s18
	s_cbranch_execz .LBB419_1067
; %bb.1066:                             ;   in Loop: Header=BB419_1040 Depth=2
	s_wait_dscnt 0x0
	v_bcnt_u32_b32 v62, v62, v150
	ds_store_b32 v152, v62 offset:544
.LBB419_1067:                           ;   in Loop: Header=BB419_1040 Depth=2
	s_or_b32 exec_lo, exec_lo, s17
	v_bfe_u32 v62, v148, 16, 8
	; wave barrier
	s_delay_alu instid0(VALU_DEP_1) | instskip(NEXT) | instid1(VALU_DEP_1)
	v_lshrrev_b32_e32 v62, s49, v62
	v_and_b32_e32 v155, s58, v62
	s_delay_alu instid0(VALU_DEP_1) | instskip(SKIP_1) | instid1(VALU_DEP_1)
	v_lshlrev_b32_e32 v153, 30, v155
	v_bitop3_b32 v63, v62, 1, s58 bitop3:0x80
	v_add_co_u32 v62, s17, v63, -1
	s_delay_alu instid0(VALU_DEP_1) | instskip(NEXT) | instid1(VALU_DEP_4)
	v_cndmask_b32_e64 v63, 0, 1, s17
	v_cmp_gt_i32_e64 s17, 0, v153
	s_delay_alu instid0(VALU_DEP_2) | instskip(SKIP_2) | instid1(VALU_DEP_2)
	v_cmp_ne_u32_e32 vcc_lo, 0, v63
	v_not_b32_e32 v63, v153
	v_bitop3_b32 v62, vcc_lo, exec_lo, v62 bitop3:0x48
	v_ashrrev_i32_e32 v63, 31, v63
	v_dual_lshlrev_b32 v154, 29, v155 :: v_dual_lshlrev_b32 v156, 28, v155
	v_dual_lshlrev_b32 v157, 27, v155 :: v_dual_lshlrev_b32 v158, 26, v155
	s_delay_alu instid0(VALU_DEP_2)
	v_not_b32_e32 v153, v154
	v_lshlrev_b32_e32 v159, 25, v155
	v_cmp_gt_i32_e64 s18, 0, v154
	v_cmp_gt_i32_e64 s19, 0, v156
	v_not_b32_e32 v154, v156
	v_not_b32_e32 v156, v157
	v_ashrrev_i32_e32 v153, 31, v153
	v_cmp_gt_i32_e64 s20, 0, v157
	v_cmp_gt_i32_e64 s21, 0, v158
	v_not_b32_e32 v157, v158
	v_dual_ashrrev_i32 v154, 31, v154 :: v_dual_ashrrev_i32 v156, 31, v156
	v_xor_b32_e32 v63, s17, v63
	v_not_b32_e32 v158, v159
	v_xor_b32_e32 v153, s18, v153
	s_delay_alu instid0(VALU_DEP_4) | instskip(SKIP_2) | instid1(VALU_DEP_4)
	v_dual_ashrrev_i32 v157, 31, v157 :: v_dual_bitop2_b32 v154, s19, v154 bitop3:0x14
	v_xor_b32_e32 v156, s20, v156
	v_cmp_gt_i32_e32 vcc_lo, 0, v159
	v_bitop3_b32 v62, v62, v153, v63 bitop3:0x80
	v_ashrrev_i32_e32 v63, 31, v158
	v_mad_u32_u24 v153, v155, 36, v114
	v_xor_b32_e32 v157, s21, v157
	s_delay_alu instid0(VALU_DEP_4) | instskip(NEXT) | instid1(VALU_DEP_4)
	v_bitop3_b32 v62, v62, v156, v154 bitop3:0x80
	v_xor_b32_e32 v63, vcc_lo, v63
	ds_load_b32 v153, v153 offset:544
	; wave barrier
	v_bitop3_b32 v62, v62, v63, v157 bitop3:0x80
	v_mul_u32_u24_e32 v63, 36, v155
	s_delay_alu instid0(VALU_DEP_2) | instskip(SKIP_1) | instid1(VALU_DEP_3)
	v_mbcnt_lo_u32_b32 v154, v62, 0
	v_cmp_ne_u32_e64 s17, 0, v62
	v_add_nc_u32_e32 v156, v114, v63
	s_delay_alu instid0(VALU_DEP_3) | instskip(SKIP_1) | instid1(SALU_CYCLE_1)
	v_cmp_eq_u32_e32 vcc_lo, 0, v154
	s_and_b32 s18, s17, vcc_lo
	s_and_saveexec_b32 s17, s18
	s_cbranch_execz .LBB419_1069
; %bb.1068:                             ;   in Loop: Header=BB419_1040 Depth=2
	s_wait_dscnt 0x0
	v_bcnt_u32_b32 v62, v62, v153
	ds_store_b32 v156, v62 offset:544
.LBB419_1069:                           ;   in Loop: Header=BB419_1040 Depth=2
	s_or_b32 exec_lo, exec_lo, s17
	v_lshrrev_b32_e32 v155, 24, v148
	; wave barrier
	s_delay_alu instid0(VALU_DEP_1) | instskip(NEXT) | instid1(VALU_DEP_1)
	v_lshrrev_b32_e32 v62, s49, v155
	v_bitop3_b32 v63, v62, 1, s58 bitop3:0x80
	v_and_b32_e32 v159, s58, v62
	s_delay_alu instid0(VALU_DEP_2) | instskip(NEXT) | instid1(VALU_DEP_1)
	v_add_co_u32 v62, s17, v63, -1
	v_cndmask_b32_e64 v63, 0, 1, s17
	s_delay_alu instid0(VALU_DEP_3) | instskip(SKIP_1) | instid1(VALU_DEP_3)
	v_dual_lshlrev_b32 v157, 30, v159 :: v_dual_lshlrev_b32 v158, 29, v159
	v_dual_lshlrev_b32 v160, 28, v159 :: v_dual_lshlrev_b32 v161, 27, v159
	v_cmp_ne_u32_e32 vcc_lo, 0, v63
	s_delay_alu instid0(VALU_DEP_3)
	v_cmp_gt_i32_e64 s17, 0, v157
	v_not_b32_e32 v63, v157
	v_not_b32_e32 v157, v158
	v_dual_lshlrev_b32 v162, 26, v159 :: v_dual_lshlrev_b32 v163, 25, v159
	v_cmp_gt_i32_e64 s18, 0, v158
	v_cmp_gt_i32_e64 s19, 0, v160
	v_not_b32_e32 v158, v160
	v_not_b32_e32 v160, v161
	v_dual_ashrrev_i32 v63, 31, v63 :: v_dual_ashrrev_i32 v157, 31, v157
	v_cmp_gt_i32_e64 s20, 0, v161
	v_cmp_gt_i32_e64 s21, 0, v162
	v_not_b32_e32 v161, v162
	v_bitop3_b32 v62, vcc_lo, exec_lo, v62 bitop3:0x48
	v_dual_ashrrev_i32 v158, 31, v158 :: v_dual_ashrrev_i32 v160, 31, v160
	v_xor_b32_e32 v63, s17, v63
	v_not_b32_e32 v162, v163
	v_xor_b32_e32 v157, s18, v157
	s_delay_alu instid0(VALU_DEP_4) | instskip(SKIP_2) | instid1(VALU_DEP_4)
	v_dual_ashrrev_i32 v161, 31, v161 :: v_dual_bitop2_b32 v158, s19, v158 bitop3:0x14
	v_xor_b32_e32 v160, s20, v160
	v_cmp_gt_i32_e32 vcc_lo, 0, v163
	v_bitop3_b32 v62, v62, v157, v63 bitop3:0x80
	v_ashrrev_i32_e32 v63, 31, v162
	v_mad_u32_u24 v157, v159, 36, v114
	v_xor_b32_e32 v161, s21, v161
	s_delay_alu instid0(VALU_DEP_4) | instskip(NEXT) | instid1(VALU_DEP_4)
	v_bitop3_b32 v62, v62, v160, v158 bitop3:0x80
	v_xor_b32_e32 v63, vcc_lo, v63
	ds_load_b32 v157, v157 offset:544
	; wave barrier
	v_bitop3_b32 v62, v62, v63, v161 bitop3:0x80
	v_mul_u32_u24_e32 v63, 36, v159
	s_delay_alu instid0(VALU_DEP_2) | instskip(SKIP_1) | instid1(VALU_DEP_3)
	v_mbcnt_lo_u32_b32 v158, v62, 0
	v_cmp_ne_u32_e64 s17, 0, v62
	v_add_nc_u32_e32 v159, v114, v63
	s_delay_alu instid0(VALU_DEP_3) | instskip(SKIP_1) | instid1(SALU_CYCLE_1)
	v_cmp_eq_u32_e32 vcc_lo, 0, v158
	s_and_b32 s18, s17, vcc_lo
	s_and_saveexec_b32 s17, s18
	s_cbranch_execz .LBB419_1071
; %bb.1070:                             ;   in Loop: Header=BB419_1040 Depth=2
	s_wait_dscnt 0x0
	v_bcnt_u32_b32 v62, v62, v157
	ds_store_b32 v159, v62 offset:544
.LBB419_1071:                           ;   in Loop: Header=BB419_1040 Depth=2
	s_or_b32 exec_lo, exec_lo, s17
	v_bitop3_b16 v62, v142, s43, 0x80 bitop3:0x48
	; wave barrier
	s_delay_alu instid0(VALU_DEP_1) | instskip(NEXT) | instid1(VALU_DEP_1)
	v_and_b32_e32 v62, 0xffff, v62
	v_lshrrev_b32_e32 v62, s49, v62
	s_delay_alu instid0(VALU_DEP_1) | instskip(SKIP_1) | instid1(VALU_DEP_2)
	v_bitop3_b32 v63, v62, 1, s58 bitop3:0x80
	v_and_b32_e32 v162, s58, v62
	v_add_co_u32 v62, s17, v63, -1
	s_delay_alu instid0(VALU_DEP_1) | instskip(NEXT) | instid1(VALU_DEP_3)
	v_cndmask_b32_e64 v63, 0, 1, s17
	v_dual_lshlrev_b32 v160, 30, v162 :: v_dual_lshlrev_b32 v161, 29, v162
	s_delay_alu instid0(VALU_DEP_2) | instskip(NEXT) | instid1(VALU_DEP_2)
	v_cmp_ne_u32_e32 vcc_lo, 0, v63
	v_cmp_gt_i32_e64 s17, 0, v160
	v_not_b32_e32 v63, v160
	s_delay_alu instid0(VALU_DEP_4) | instskip(SKIP_2) | instid1(VALU_DEP_3)
	v_not_b32_e32 v160, v161
	v_cmp_gt_i32_e64 s18, 0, v161
	v_bitop3_b32 v62, vcc_lo, exec_lo, v62 bitop3:0x48
	v_dual_ashrrev_i32 v63, 31, v63 :: v_dual_ashrrev_i32 v160, 31, v160
	v_dual_lshlrev_b32 v163, 28, v162 :: v_dual_lshlrev_b32 v164, 27, v162
	v_dual_lshlrev_b32 v165, 26, v162 :: v_dual_lshlrev_b32 v166, 25, v162
	s_delay_alu instid0(VALU_DEP_2) | instskip(SKIP_1) | instid1(VALU_DEP_4)
	v_cmp_gt_i32_e64 s19, 0, v163
	v_not_b32_e32 v161, v163
	v_cmp_gt_i32_e64 s20, 0, v164
	v_not_b32_e32 v163, v164
	;; [unrolled: 2-line block ×3, first 2 shown]
	v_not_b32_e32 v165, v166
	v_xor_b32_e32 v63, s17, v63
	v_dual_ashrrev_i32 v161, 31, v161 :: v_dual_bitop2_b32 v160, s18, v160 bitop3:0x14
	s_delay_alu instid0(VALU_DEP_4) | instskip(NEXT) | instid1(VALU_DEP_4)
	v_dual_ashrrev_i32 v163, 31, v163 :: v_dual_ashrrev_i32 v164, 31, v164
	v_ashrrev_i32_e32 v165, 31, v165
	s_delay_alu instid0(VALU_DEP_3)
	v_bitop3_b32 v62, v62, v160, v63 bitop3:0x80
	v_mad_u32_u24 v63, v162, 36, v114
	v_cmp_gt_i32_e64 s22, 0, v166
	v_xor_b32_e32 v163, s20, v163
	v_xor_b32_e32 v164, s21, v164
	ds_load_b32 v160, v63 offset:544
	v_mul_u32_u24_e32 v63, 36, v162
	v_xor_b32_e32 v161, s19, v161
	v_xor_b32_e32 v165, s22, v165
	; wave barrier
	s_delay_alu instid0(VALU_DEP_3) | instskip(NEXT) | instid1(VALU_DEP_3)
	v_add_nc_u32_e32 v162, v114, v63
	v_bitop3_b32 v62, v62, v163, v161 bitop3:0x80
	s_delay_alu instid0(VALU_DEP_1) | instskip(NEXT) | instid1(VALU_DEP_1)
	v_bitop3_b32 v62, v62, v165, v164 bitop3:0x80
	v_mbcnt_lo_u32_b32 v161, v62, 0
	v_cmp_ne_u32_e64 s17, 0, v62
	s_delay_alu instid0(VALU_DEP_2) | instskip(SKIP_1) | instid1(SALU_CYCLE_1)
	v_cmp_eq_u32_e32 vcc_lo, 0, v161
	s_and_b32 s18, s17, vcc_lo
	s_and_saveexec_b32 s17, s18
	s_cbranch_execz .LBB419_1073
; %bb.1072:                             ;   in Loop: Header=BB419_1040 Depth=2
	s_wait_dscnt 0x0
	v_bcnt_u32_b32 v62, v62, v160
	ds_store_b32 v162, v62 offset:544
.LBB419_1073:                           ;   in Loop: Header=BB419_1040 Depth=2
	s_or_b32 exec_lo, exec_lo, s17
	v_xor_b32_e32 v62, 0x80, v145
	v_xor_b32_e32 v63, 0x80, v144
	;; [unrolled: 1-line block ×4, first 2 shown]
	s_delay_alu instid0(VALU_DEP_4) | instskip(NEXT) | instid1(VALU_DEP_4)
	v_lshlrev_b16 v62, 8, v62
	v_lshlrev_b16 v63, 8, v63
	; wave barrier
	s_delay_alu instid0(VALU_DEP_2) | instskip(NEXT) | instid1(VALU_DEP_2)
	v_bitop3_b16 v142, v142, v62, 0xff bitop3:0xec
	v_bitop3_b16 v62, v143, v63, 0xff bitop3:0xec
	s_delay_alu instid0(VALU_DEP_2) | instskip(NEXT) | instid1(VALU_DEP_2)
	v_and_b32_e32 v63, 0xffff, v142
	v_lshlrev_b32_e32 v62, 16, v62
	s_delay_alu instid0(VALU_DEP_1) | instskip(NEXT) | instid1(VALU_DEP_1)
	v_or_b32_e32 v143, v63, v62
	v_bfe_u32 v62, v143, 8, 8
	s_delay_alu instid0(VALU_DEP_1) | instskip(NEXT) | instid1(VALU_DEP_1)
	v_lshrrev_b32_e32 v62, s49, v62
	v_bitop3_b32 v63, v62, 1, s58 bitop3:0x80
	v_and_b32_e32 v163, s58, v62
	s_delay_alu instid0(VALU_DEP_2) | instskip(NEXT) | instid1(VALU_DEP_1)
	v_add_co_u32 v62, s17, v63, -1
	v_cndmask_b32_e64 v63, 0, 1, s17
	s_delay_alu instid0(VALU_DEP_3) | instskip(NEXT) | instid1(VALU_DEP_2)
	v_lshlrev_b32_e32 v144, 30, v163
	v_cmp_ne_u32_e32 vcc_lo, 0, v63
	s_delay_alu instid0(VALU_DEP_2) | instskip(SKIP_2) | instid1(VALU_DEP_3)
	v_not_b32_e32 v63, v144
	v_cmp_gt_i32_e64 s17, 0, v144
	v_bitop3_b32 v62, vcc_lo, exec_lo, v62 bitop3:0x48
	v_ashrrev_i32_e32 v63, 31, v63
	v_dual_lshlrev_b32 v145, 29, v163 :: v_dual_lshlrev_b32 v164, 28, v163
	v_dual_lshlrev_b32 v165, 27, v163 :: v_dual_lshlrev_b32 v166, 26, v163
	s_delay_alu instid0(VALU_DEP_2)
	v_not_b32_e32 v144, v145
	v_lshlrev_b32_e32 v167, 25, v163
	v_cmp_gt_i32_e64 s18, 0, v145
	v_cmp_gt_i32_e64 s19, 0, v164
	v_not_b32_e32 v145, v164
	v_ashrrev_i32_e32 v144, 31, v144
	v_cmp_gt_i32_e64 s20, 0, v165
	v_not_b32_e32 v164, v165
	v_cmp_gt_i32_e64 s21, 0, v166
	v_not_b32_e32 v165, v166
	v_not_b32_e32 v166, v167
	v_xor_b32_e32 v63, s17, v63
	v_dual_ashrrev_i32 v145, 31, v145 :: v_dual_bitop2_b32 v144, s18, v144 bitop3:0x14
	s_delay_alu instid0(VALU_DEP_4) | instskip(NEXT) | instid1(VALU_DEP_4)
	v_dual_ashrrev_i32 v164, 31, v164 :: v_dual_ashrrev_i32 v165, 31, v165
	v_ashrrev_i32_e32 v166, 31, v166
	s_delay_alu instid0(VALU_DEP_3)
	v_bitop3_b32 v62, v62, v144, v63 bitop3:0x80
	v_mad_u32_u24 v63, v163, 36, v114
	v_cmp_gt_i32_e64 s22, 0, v167
	v_xor_b32_e32 v164, s20, v164
	v_xor_b32_e32 v165, s21, v165
	ds_load_b32 v144, v63 offset:544
	v_mul_u32_u24_e32 v63, 36, v163
	v_xor_b32_e32 v145, s19, v145
	v_xor_b32_e32 v166, s22, v166
	; wave barrier
	s_delay_alu instid0(VALU_DEP_3) | instskip(NEXT) | instid1(VALU_DEP_3)
	v_add_nc_u32_e32 v163, v114, v63
	v_bitop3_b32 v62, v62, v164, v145 bitop3:0x80
	s_delay_alu instid0(VALU_DEP_1) | instskip(NEXT) | instid1(VALU_DEP_1)
	v_bitop3_b32 v62, v62, v166, v165 bitop3:0x80
	v_mbcnt_lo_u32_b32 v145, v62, 0
	v_cmp_ne_u32_e64 s17, 0, v62
	s_delay_alu instid0(VALU_DEP_2) | instskip(SKIP_1) | instid1(SALU_CYCLE_1)
	v_cmp_eq_u32_e32 vcc_lo, 0, v145
	s_and_b32 s18, s17, vcc_lo
	s_and_saveexec_b32 s17, s18
	s_cbranch_execz .LBB419_1075
; %bb.1074:                             ;   in Loop: Header=BB419_1040 Depth=2
	s_wait_dscnt 0x0
	v_bcnt_u32_b32 v62, v62, v144
	ds_store_b32 v163, v62 offset:544
.LBB419_1075:                           ;   in Loop: Header=BB419_1040 Depth=2
	s_or_b32 exec_lo, exec_lo, s17
	v_bfe_u32 v62, v143, 16, 8
	; wave barrier
	s_delay_alu instid0(VALU_DEP_1) | instskip(NEXT) | instid1(VALU_DEP_1)
	v_lshrrev_b32_e32 v62, s49, v62
	v_bitop3_b32 v63, v62, 1, s58 bitop3:0x80
	v_and_b32_e32 v166, s58, v62
	s_delay_alu instid0(VALU_DEP_2) | instskip(NEXT) | instid1(VALU_DEP_1)
	v_add_co_u32 v62, s17, v63, -1
	v_cndmask_b32_e64 v63, 0, 1, s17
	s_delay_alu instid0(VALU_DEP_3) | instskip(NEXT) | instid1(VALU_DEP_2)
	v_dual_lshlrev_b32 v164, 30, v166 :: v_dual_lshlrev_b32 v165, 29, v166
	v_cmp_ne_u32_e32 vcc_lo, 0, v63
	s_delay_alu instid0(VALU_DEP_2) | instskip(SKIP_1) | instid1(VALU_DEP_4)
	v_cmp_gt_i32_e64 s17, 0, v164
	v_not_b32_e32 v63, v164
	v_not_b32_e32 v164, v165
	v_cmp_gt_i32_e64 s18, 0, v165
	v_bitop3_b32 v62, vcc_lo, exec_lo, v62 bitop3:0x48
	s_delay_alu instid0(VALU_DEP_3) | instskip(SKIP_2) | instid1(VALU_DEP_2)
	v_dual_ashrrev_i32 v63, 31, v63 :: v_dual_ashrrev_i32 v164, 31, v164
	v_dual_lshlrev_b32 v167, 28, v166 :: v_dual_lshlrev_b32 v168, 27, v166
	v_dual_lshlrev_b32 v169, 26, v166 :: v_dual_lshlrev_b32 v170, 25, v166
	v_cmp_gt_i32_e64 s19, 0, v167
	v_not_b32_e32 v165, v167
	s_delay_alu instid0(VALU_DEP_4) | instskip(SKIP_3) | instid1(VALU_DEP_4)
	v_not_b32_e32 v167, v168
	v_cmp_gt_i32_e64 s20, 0, v168
	v_cmp_gt_i32_e64 s21, 0, v169
	v_not_b32_e32 v168, v169
	v_dual_ashrrev_i32 v165, 31, v165 :: v_dual_ashrrev_i32 v167, 31, v167
	v_xor_b32_e32 v63, s17, v63
	v_not_b32_e32 v169, v170
	v_xor_b32_e32 v164, s18, v164
	s_delay_alu instid0(VALU_DEP_4) | instskip(SKIP_2) | instid1(VALU_DEP_4)
	v_dual_ashrrev_i32 v168, 31, v168 :: v_dual_bitop2_b32 v165, s19, v165 bitop3:0x14
	v_xor_b32_e32 v167, s20, v167
	v_cmp_gt_i32_e32 vcc_lo, 0, v170
	v_bitop3_b32 v62, v62, v164, v63 bitop3:0x80
	v_ashrrev_i32_e32 v63, 31, v169
	v_mad_u32_u24 v164, v166, 36, v114
	v_xor_b32_e32 v168, s21, v168
	s_delay_alu instid0(VALU_DEP_4) | instskip(NEXT) | instid1(VALU_DEP_4)
	v_bitop3_b32 v62, v62, v167, v165 bitop3:0x80
	v_xor_b32_e32 v63, vcc_lo, v63
	ds_load_b32 v164, v164 offset:544
	; wave barrier
	v_bitop3_b32 v62, v62, v63, v168 bitop3:0x80
	v_mul_u32_u24_e32 v63, 36, v166
	s_delay_alu instid0(VALU_DEP_2) | instskip(SKIP_1) | instid1(VALU_DEP_3)
	v_mbcnt_lo_u32_b32 v165, v62, 0
	v_cmp_ne_u32_e64 s17, 0, v62
	v_add_nc_u32_e32 v167, v114, v63
	s_delay_alu instid0(VALU_DEP_3) | instskip(SKIP_1) | instid1(SALU_CYCLE_1)
	v_cmp_eq_u32_e32 vcc_lo, 0, v165
	s_and_b32 s18, s17, vcc_lo
	s_and_saveexec_b32 s17, s18
	s_cbranch_execz .LBB419_1077
; %bb.1076:                             ;   in Loop: Header=BB419_1040 Depth=2
	s_wait_dscnt 0x0
	v_bcnt_u32_b32 v62, v62, v164
	ds_store_b32 v167, v62 offset:544
.LBB419_1077:                           ;   in Loop: Header=BB419_1040 Depth=2
	s_or_b32 exec_lo, exec_lo, s17
	v_lshrrev_b32_e32 v166, 24, v143
	; wave barrier
	s_delay_alu instid0(VALU_DEP_1) | instskip(NEXT) | instid1(VALU_DEP_1)
	v_lshrrev_b32_e32 v62, s49, v166
	v_bitop3_b32 v63, v62, 1, s58 bitop3:0x80
	v_and_b32_e32 v170, s58, v62
	s_delay_alu instid0(VALU_DEP_2) | instskip(NEXT) | instid1(VALU_DEP_1)
	v_add_co_u32 v62, s17, v63, -1
	v_cndmask_b32_e64 v63, 0, 1, s17
	s_delay_alu instid0(VALU_DEP_3) | instskip(SKIP_1) | instid1(VALU_DEP_3)
	v_dual_lshlrev_b32 v168, 30, v170 :: v_dual_lshlrev_b32 v169, 29, v170
	v_dual_lshlrev_b32 v171, 28, v170 :: v_dual_lshlrev_b32 v172, 27, v170
	v_cmp_ne_u32_e32 vcc_lo, 0, v63
	s_delay_alu instid0(VALU_DEP_3)
	v_cmp_gt_i32_e64 s17, 0, v168
	v_not_b32_e32 v63, v168
	v_not_b32_e32 v168, v169
	v_dual_lshlrev_b32 v173, 26, v170 :: v_dual_lshlrev_b32 v174, 25, v170
	v_cmp_gt_i32_e64 s18, 0, v169
	v_cmp_gt_i32_e64 s19, 0, v171
	v_not_b32_e32 v169, v171
	v_not_b32_e32 v171, v172
	v_dual_ashrrev_i32 v63, 31, v63 :: v_dual_ashrrev_i32 v168, 31, v168
	v_cmp_gt_i32_e64 s20, 0, v172
	v_cmp_gt_i32_e64 s21, 0, v173
	v_not_b32_e32 v172, v173
	v_bitop3_b32 v62, vcc_lo, exec_lo, v62 bitop3:0x48
	v_dual_ashrrev_i32 v169, 31, v169 :: v_dual_ashrrev_i32 v171, 31, v171
	v_xor_b32_e32 v168, s18, v168
	s_delay_alu instid0(VALU_DEP_4) | instskip(SKIP_1) | instid1(VALU_DEP_4)
	v_dual_ashrrev_i32 v172, 31, v172 :: v_dual_bitop2_b32 v63, s17, v63 bitop3:0x14
	v_not_b32_e32 v173, v174
	v_xor_b32_e32 v169, s19, v169
	v_xor_b32_e32 v171, s20, v171
	s_delay_alu instid0(VALU_DEP_4)
	v_bitop3_b32 v62, v62, v168, v63 bitop3:0x80
	v_cmp_gt_i32_e32 vcc_lo, 0, v174
	v_ashrrev_i32_e32 v63, 31, v173
	v_mad_u32_u24 v168, v170, 36, v114
	v_xor_b32_e32 v172, s21, v172
	v_bitop3_b32 v62, v62, v171, v169 bitop3:0x80
	s_delay_alu instid0(VALU_DEP_4) | instskip(SKIP_3) | instid1(VALU_DEP_2)
	v_xor_b32_e32 v63, vcc_lo, v63
	ds_load_b32 v168, v168 offset:544
	; wave barrier
	v_bitop3_b32 v62, v62, v63, v172 bitop3:0x80
	v_mul_u32_u24_e32 v63, 36, v170
	v_mbcnt_lo_u32_b32 v169, v62, 0
	v_cmp_ne_u32_e64 s17, 0, v62
	s_delay_alu instid0(VALU_DEP_3) | instskip(NEXT) | instid1(VALU_DEP_3)
	v_add_nc_u32_e32 v170, v114, v63
	v_cmp_eq_u32_e32 vcc_lo, 0, v169
	s_and_b32 s18, s17, vcc_lo
	s_delay_alu instid0(SALU_CYCLE_1)
	s_and_saveexec_b32 s17, s18
	s_cbranch_execz .LBB419_1079
; %bb.1078:                             ;   in Loop: Header=BB419_1040 Depth=2
	s_wait_dscnt 0x0
	v_bcnt_u32_b32 v62, v62, v168
	ds_store_b32 v170, v62 offset:544
.LBB419_1079:                           ;   in Loop: Header=BB419_1040 Depth=2
	s_or_b32 exec_lo, exec_lo, s17
	v_bitop3_b16 v62, v138, s43, 0x80 bitop3:0x48
	; wave barrier
	s_delay_alu instid0(VALU_DEP_1) | instskip(NEXT) | instid1(VALU_DEP_1)
	v_and_b32_e32 v62, 0xffff, v62
	v_lshrrev_b32_e32 v62, s49, v62
	s_delay_alu instid0(VALU_DEP_1) | instskip(NEXT) | instid1(VALU_DEP_1)
	v_and_b32_e32 v173, s58, v62
	v_lshlrev_b32_e32 v171, 30, v173
	v_bitop3_b32 v63, v62, 1, s58 bitop3:0x80
	s_delay_alu instid0(VALU_DEP_1) | instskip(NEXT) | instid1(VALU_DEP_1)
	v_add_co_u32 v62, s17, v63, -1
	v_cndmask_b32_e64 v63, 0, 1, s17
	s_delay_alu instid0(VALU_DEP_4) | instskip(NEXT) | instid1(VALU_DEP_2)
	v_cmp_gt_i32_e64 s17, 0, v171
	v_cmp_ne_u32_e32 vcc_lo, 0, v63
	v_not_b32_e32 v63, v171
	v_bitop3_b32 v62, vcc_lo, exec_lo, v62 bitop3:0x48
	s_delay_alu instid0(VALU_DEP_2) | instskip(SKIP_2) | instid1(VALU_DEP_3)
	v_dual_ashrrev_i32 v63, 31, v63 :: v_dual_lshlrev_b32 v172, 29, v173
	v_dual_lshlrev_b32 v174, 28, v173 :: v_dual_lshlrev_b32 v175, 27, v173
	v_lshlrev_b32_e32 v176, 26, v173
	v_not_b32_e32 v171, v172
	v_lshlrev_b32_e32 v177, 25, v173
	v_cmp_gt_i32_e64 s18, 0, v172
	v_cmp_gt_i32_e64 s19, 0, v174
	v_not_b32_e32 v172, v174
	v_ashrrev_i32_e32 v171, 31, v171
	v_cmp_gt_i32_e64 s20, 0, v175
	v_not_b32_e32 v174, v175
	v_cmp_gt_i32_e64 s21, 0, v176
	v_not_b32_e32 v175, v176
	v_not_b32_e32 v176, v177
	v_xor_b32_e32 v63, s17, v63
	v_dual_ashrrev_i32 v172, 31, v172 :: v_dual_bitop2_b32 v171, s18, v171 bitop3:0x14
	s_delay_alu instid0(VALU_DEP_3) | instskip(SKIP_1) | instid1(VALU_DEP_3)
	v_dual_ashrrev_i32 v174, 31, v174 :: v_dual_ashrrev_i32 v176, 31, v176
	v_cmp_gt_i32_e64 s22, 0, v177
	v_bitop3_b32 v62, v62, v171, v63 bitop3:0x80
	v_mad_u32_u24 v63, v173, 36, v114
	v_dual_ashrrev_i32 v175, 31, v175 :: v_dual_bitop2_b32 v172, s19, v172 bitop3:0x14
	s_delay_alu instid0(VALU_DEP_4) | instskip(SKIP_4) | instid1(VALU_DEP_3)
	v_xor_b32_e32 v176, s22, v176
	ds_load_b32 v171, v63 offset:544
	v_mul_u32_u24_e32 v63, 36, v173
	v_xor_b32_e32 v174, s20, v174
	v_xor_b32_e32 v175, s21, v175
	; wave barrier
	v_add_nc_u32_e32 v173, v114, v63
	s_delay_alu instid0(VALU_DEP_3) | instskip(NEXT) | instid1(VALU_DEP_1)
	v_bitop3_b32 v62, v62, v174, v172 bitop3:0x80
	v_bitop3_b32 v62, v62, v176, v175 bitop3:0x80
	s_delay_alu instid0(VALU_DEP_1) | instskip(SKIP_1) | instid1(VALU_DEP_2)
	v_mbcnt_lo_u32_b32 v172, v62, 0
	v_cmp_ne_u32_e64 s17, 0, v62
	v_cmp_eq_u32_e32 vcc_lo, 0, v172
	s_and_b32 s18, s17, vcc_lo
	s_delay_alu instid0(SALU_CYCLE_1)
	s_and_saveexec_b32 s17, s18
	s_cbranch_execz .LBB419_1081
; %bb.1080:                             ;   in Loop: Header=BB419_1040 Depth=2
	s_wait_dscnt 0x0
	v_bcnt_u32_b32 v62, v62, v171
	ds_store_b32 v173, v62 offset:544
.LBB419_1081:                           ;   in Loop: Header=BB419_1040 Depth=2
	s_or_b32 exec_lo, exec_lo, s17
	v_xor_b32_e32 v62, 0x80, v141
	v_xor_b32_e32 v63, 0x80, v140
	;; [unrolled: 1-line block ×4, first 2 shown]
	s_delay_alu instid0(VALU_DEP_4) | instskip(NEXT) | instid1(VALU_DEP_4)
	v_lshlrev_b16 v62, 8, v62
	v_lshlrev_b16 v63, 8, v63
	; wave barrier
	s_delay_alu instid0(VALU_DEP_2) | instskip(NEXT) | instid1(VALU_DEP_2)
	v_bitop3_b16 v138, v138, v62, 0xff bitop3:0xec
	v_bitop3_b16 v62, v139, v63, 0xff bitop3:0xec
	s_delay_alu instid0(VALU_DEP_2) | instskip(NEXT) | instid1(VALU_DEP_2)
	v_and_b32_e32 v63, 0xffff, v138
	v_lshlrev_b32_e32 v62, 16, v62
	s_delay_alu instid0(VALU_DEP_1) | instskip(NEXT) | instid1(VALU_DEP_1)
	v_or_b32_e32 v139, v63, v62
	v_bfe_u32 v62, v139, 8, 8
	s_delay_alu instid0(VALU_DEP_1) | instskip(NEXT) | instid1(VALU_DEP_1)
	v_lshrrev_b32_e32 v62, s49, v62
	v_bitop3_b32 v63, v62, 1, s58 bitop3:0x80
	v_and_b32_e32 v174, s58, v62
	s_delay_alu instid0(VALU_DEP_2) | instskip(NEXT) | instid1(VALU_DEP_1)
	v_add_co_u32 v62, s17, v63, -1
	v_cndmask_b32_e64 v63, 0, 1, s17
	s_delay_alu instid0(VALU_DEP_3) | instskip(NEXT) | instid1(VALU_DEP_2)
	v_dual_lshlrev_b32 v140, 30, v174 :: v_dual_lshlrev_b32 v141, 29, v174
	v_cmp_ne_u32_e32 vcc_lo, 0, v63
	s_delay_alu instid0(VALU_DEP_2) | instskip(SKIP_1) | instid1(VALU_DEP_4)
	v_cmp_gt_i32_e64 s17, 0, v140
	v_not_b32_e32 v63, v140
	v_not_b32_e32 v140, v141
	v_cmp_gt_i32_e64 s18, 0, v141
	v_bitop3_b32 v62, vcc_lo, exec_lo, v62 bitop3:0x48
	s_delay_alu instid0(VALU_DEP_3) | instskip(SKIP_2) | instid1(VALU_DEP_2)
	v_dual_ashrrev_i32 v63, 31, v63 :: v_dual_ashrrev_i32 v140, 31, v140
	v_dual_lshlrev_b32 v175, 28, v174 :: v_dual_lshlrev_b32 v176, 27, v174
	v_dual_lshlrev_b32 v177, 26, v174 :: v_dual_lshlrev_b32 v178, 25, v174
	v_cmp_gt_i32_e64 s19, 0, v175
	v_not_b32_e32 v141, v175
	s_delay_alu instid0(VALU_DEP_4)
	v_cmp_gt_i32_e64 s20, 0, v176
	v_not_b32_e32 v175, v176
	v_cmp_gt_i32_e64 s21, 0, v177
	v_not_b32_e32 v176, v177
	v_not_b32_e32 v177, v178
	v_xor_b32_e32 v63, s17, v63
	v_dual_ashrrev_i32 v141, 31, v141 :: v_dual_bitop2_b32 v140, s18, v140 bitop3:0x14
	s_delay_alu instid0(VALU_DEP_4) | instskip(NEXT) | instid1(VALU_DEP_4)
	v_dual_ashrrev_i32 v175, 31, v175 :: v_dual_ashrrev_i32 v176, 31, v176
	v_ashrrev_i32_e32 v177, 31, v177
	s_delay_alu instid0(VALU_DEP_3)
	v_bitop3_b32 v62, v62, v140, v63 bitop3:0x80
	v_mad_u32_u24 v63, v174, 36, v114
	v_cmp_gt_i32_e64 s22, 0, v178
	v_xor_b32_e32 v175, s20, v175
	v_xor_b32_e32 v176, s21, v176
	ds_load_b32 v140, v63 offset:544
	v_mul_u32_u24_e32 v63, 36, v174
	v_xor_b32_e32 v141, s19, v141
	v_xor_b32_e32 v177, s22, v177
	; wave barrier
	s_delay_alu instid0(VALU_DEP_3) | instskip(NEXT) | instid1(VALU_DEP_3)
	v_add_nc_u32_e32 v174, v114, v63
	v_bitop3_b32 v62, v62, v175, v141 bitop3:0x80
	s_delay_alu instid0(VALU_DEP_1) | instskip(NEXT) | instid1(VALU_DEP_1)
	v_bitop3_b32 v62, v62, v177, v176 bitop3:0x80
	v_mbcnt_lo_u32_b32 v141, v62, 0
	v_cmp_ne_u32_e64 s17, 0, v62
	s_delay_alu instid0(VALU_DEP_2) | instskip(SKIP_1) | instid1(SALU_CYCLE_1)
	v_cmp_eq_u32_e32 vcc_lo, 0, v141
	s_and_b32 s18, s17, vcc_lo
	s_and_saveexec_b32 s17, s18
	s_cbranch_execz .LBB419_1083
; %bb.1082:                             ;   in Loop: Header=BB419_1040 Depth=2
	s_wait_dscnt 0x0
	v_bcnt_u32_b32 v62, v62, v140
	ds_store_b32 v174, v62 offset:544
.LBB419_1083:                           ;   in Loop: Header=BB419_1040 Depth=2
	s_or_b32 exec_lo, exec_lo, s17
	v_bfe_u32 v62, v139, 16, 8
	; wave barrier
	s_delay_alu instid0(VALU_DEP_1) | instskip(NEXT) | instid1(VALU_DEP_1)
	v_lshrrev_b32_e32 v62, s49, v62
	v_and_b32_e32 v177, s58, v62
	s_delay_alu instid0(VALU_DEP_1) | instskip(SKIP_1) | instid1(VALU_DEP_1)
	v_lshlrev_b32_e32 v175, 30, v177
	v_bitop3_b32 v63, v62, 1, s58 bitop3:0x80
	v_add_co_u32 v62, s17, v63, -1
	s_delay_alu instid0(VALU_DEP_1) | instskip(NEXT) | instid1(VALU_DEP_4)
	v_cndmask_b32_e64 v63, 0, 1, s17
	v_cmp_gt_i32_e64 s17, 0, v175
	s_delay_alu instid0(VALU_DEP_2) | instskip(SKIP_2) | instid1(VALU_DEP_2)
	v_cmp_ne_u32_e32 vcc_lo, 0, v63
	v_not_b32_e32 v63, v175
	v_bitop3_b32 v62, vcc_lo, exec_lo, v62 bitop3:0x48
	v_dual_ashrrev_i32 v63, 31, v63 :: v_dual_lshlrev_b32 v176, 29, v177
	v_dual_lshlrev_b32 v178, 28, v177 :: v_dual_lshlrev_b32 v179, 27, v177
	s_delay_alu instid0(VALU_DEP_2) | instskip(NEXT) | instid1(VALU_DEP_3)
	v_dual_lshlrev_b32 v180, 26, v177 :: v_dual_bitop2_b32 v63, s17, v63 bitop3:0x14
	v_not_b32_e32 v175, v176
	v_lshlrev_b32_e32 v181, 25, v177
	v_cmp_gt_i32_e64 s18, 0, v176
	v_cmp_gt_i32_e64 s19, 0, v178
	v_not_b32_e32 v176, v178
	v_not_b32_e32 v178, v179
	v_ashrrev_i32_e32 v175, 31, v175
	v_cmp_gt_i32_e64 s20, 0, v179
	v_cmp_gt_i32_e64 s21, 0, v180
	v_not_b32_e32 v179, v180
	v_dual_ashrrev_i32 v176, 31, v176 :: v_dual_ashrrev_i32 v178, 31, v178
	v_not_b32_e32 v180, v181
	v_xor_b32_e32 v175, s18, v175
	s_delay_alu instid0(VALU_DEP_3) | instskip(NEXT) | instid1(VALU_DEP_4)
	v_dual_ashrrev_i32 v179, 31, v179 :: v_dual_bitop2_b32 v176, s19, v176 bitop3:0x14
	v_xor_b32_e32 v178, s20, v178
	v_cmp_gt_i32_e32 vcc_lo, 0, v181
	s_delay_alu instid0(VALU_DEP_4) | instskip(SKIP_3) | instid1(VALU_DEP_4)
	v_bitop3_b32 v62, v62, v175, v63 bitop3:0x80
	v_ashrrev_i32_e32 v63, 31, v180
	v_mad_u32_u24 v175, v177, 36, v114
	v_xor_b32_e32 v179, s21, v179
	v_bitop3_b32 v62, v62, v178, v176 bitop3:0x80
	s_delay_alu instid0(VALU_DEP_4) | instskip(SKIP_3) | instid1(VALU_DEP_2)
	v_xor_b32_e32 v63, vcc_lo, v63
	ds_load_b32 v175, v175 offset:544
	; wave barrier
	v_bitop3_b32 v62, v62, v63, v179 bitop3:0x80
	v_mul_u32_u24_e32 v63, 36, v177
	v_mbcnt_lo_u32_b32 v176, v62, 0
	v_cmp_ne_u32_e64 s17, 0, v62
	s_delay_alu instid0(VALU_DEP_3) | instskip(NEXT) | instid1(VALU_DEP_3)
	v_add_nc_u32_e32 v178, v114, v63
	v_cmp_eq_u32_e32 vcc_lo, 0, v176
	s_and_b32 s18, s17, vcc_lo
	s_delay_alu instid0(SALU_CYCLE_1)
	s_and_saveexec_b32 s17, s18
	s_cbranch_execz .LBB419_1085
; %bb.1084:                             ;   in Loop: Header=BB419_1040 Depth=2
	s_wait_dscnt 0x0
	v_bcnt_u32_b32 v62, v62, v175
	ds_store_b32 v178, v62 offset:544
.LBB419_1085:                           ;   in Loop: Header=BB419_1040 Depth=2
	s_or_b32 exec_lo, exec_lo, s17
	v_lshrrev_b32_e32 v177, 24, v139
	; wave barrier
	s_delay_alu instid0(VALU_DEP_1) | instskip(NEXT) | instid1(VALU_DEP_1)
	v_lshrrev_b32_e32 v62, s49, v177
	v_bitop3_b32 v63, v62, 1, s58 bitop3:0x80
	v_and_b32_e32 v181, s58, v62
	s_delay_alu instid0(VALU_DEP_2) | instskip(NEXT) | instid1(VALU_DEP_1)
	v_add_co_u32 v62, s17, v63, -1
	v_cndmask_b32_e64 v63, 0, 1, s17
	s_delay_alu instid0(VALU_DEP_3) | instskip(SKIP_1) | instid1(VALU_DEP_3)
	v_dual_lshlrev_b32 v179, 30, v181 :: v_dual_lshlrev_b32 v180, 29, v181
	v_dual_lshlrev_b32 v182, 28, v181 :: v_dual_lshlrev_b32 v183, 27, v181
	v_cmp_ne_u32_e32 vcc_lo, 0, v63
	s_delay_alu instid0(VALU_DEP_3)
	v_cmp_gt_i32_e64 s17, 0, v179
	v_not_b32_e32 v63, v179
	v_not_b32_e32 v179, v180
	v_dual_lshlrev_b32 v184, 26, v181 :: v_dual_lshlrev_b32 v185, 25, v181
	v_cmp_gt_i32_e64 s18, 0, v180
	v_cmp_gt_i32_e64 s19, 0, v182
	v_not_b32_e32 v180, v182
	v_not_b32_e32 v182, v183
	v_ashrrev_i32_e32 v63, 31, v63
	v_ashrrev_i32_e32 v179, 31, v179
	v_cmp_gt_i32_e64 s20, 0, v183
	v_cmp_gt_i32_e64 s21, 0, v184
	v_not_b32_e32 v183, v184
	v_bitop3_b32 v62, vcc_lo, exec_lo, v62 bitop3:0x48
	v_dual_ashrrev_i32 v180, 31, v180 :: v_dual_ashrrev_i32 v182, 31, v182
	v_xor_b32_e32 v63, s17, v63
	v_not_b32_e32 v184, v185
	v_xor_b32_e32 v179, s18, v179
	s_delay_alu instid0(VALU_DEP_4) | instskip(SKIP_2) | instid1(VALU_DEP_4)
	v_dual_ashrrev_i32 v183, 31, v183 :: v_dual_bitop2_b32 v180, s19, v180 bitop3:0x14
	v_xor_b32_e32 v182, s20, v182
	v_cmp_gt_i32_e32 vcc_lo, 0, v185
	v_bitop3_b32 v62, v62, v179, v63 bitop3:0x80
	v_ashrrev_i32_e32 v63, 31, v184
	v_mad_u32_u24 v179, v181, 36, v114
	v_xor_b32_e32 v183, s21, v183
	s_delay_alu instid0(VALU_DEP_4) | instskip(NEXT) | instid1(VALU_DEP_4)
	v_bitop3_b32 v62, v62, v182, v180 bitop3:0x80
	v_xor_b32_e32 v63, vcc_lo, v63
	ds_load_b32 v179, v179 offset:544
	; wave barrier
	v_bitop3_b32 v62, v62, v63, v183 bitop3:0x80
	v_mul_u32_u24_e32 v63, 36, v181
	s_delay_alu instid0(VALU_DEP_2) | instskip(SKIP_1) | instid1(VALU_DEP_3)
	v_mbcnt_lo_u32_b32 v180, v62, 0
	v_cmp_ne_u32_e64 s17, 0, v62
	v_add_nc_u32_e32 v181, v114, v63
	s_delay_alu instid0(VALU_DEP_3) | instskip(SKIP_1) | instid1(SALU_CYCLE_1)
	v_cmp_eq_u32_e32 vcc_lo, 0, v180
	s_and_b32 s18, s17, vcc_lo
	s_and_saveexec_b32 s17, s18
	s_cbranch_execz .LBB419_1087
; %bb.1086:                             ;   in Loop: Header=BB419_1040 Depth=2
	s_wait_dscnt 0x0
	v_bcnt_u32_b32 v62, v62, v179
	ds_store_b32 v181, v62 offset:544
.LBB419_1087:                           ;   in Loop: Header=BB419_1040 Depth=2
	s_or_b32 exec_lo, exec_lo, s17
	v_bitop3_b16 v62, v64, s43, 0x80 bitop3:0x48
	; wave barrier
	s_delay_alu instid0(VALU_DEP_1) | instskip(NEXT) | instid1(VALU_DEP_1)
	v_and_b32_e32 v62, 0xffff, v62
	v_lshrrev_b32_e32 v62, s49, v62
	s_delay_alu instid0(VALU_DEP_1) | instskip(NEXT) | instid1(VALU_DEP_1)
	v_and_b32_e32 v184, s58, v62
	v_lshlrev_b32_e32 v182, 30, v184
	v_bitop3_b32 v63, v62, 1, s58 bitop3:0x80
	s_delay_alu instid0(VALU_DEP_1) | instskip(NEXT) | instid1(VALU_DEP_1)
	v_add_co_u32 v62, s17, v63, -1
	v_cndmask_b32_e64 v63, 0, 1, s17
	s_delay_alu instid0(VALU_DEP_4) | instskip(NEXT) | instid1(VALU_DEP_2)
	v_cmp_gt_i32_e64 s17, 0, v182
	v_cmp_ne_u32_e32 vcc_lo, 0, v63
	v_not_b32_e32 v63, v182
	v_bitop3_b32 v62, vcc_lo, exec_lo, v62 bitop3:0x48
	s_delay_alu instid0(VALU_DEP_2) | instskip(SKIP_2) | instid1(VALU_DEP_3)
	v_dual_ashrrev_i32 v63, 31, v63 :: v_dual_lshlrev_b32 v183, 29, v184
	v_dual_lshlrev_b32 v185, 28, v184 :: v_dual_lshlrev_b32 v186, 27, v184
	v_lshlrev_b32_e32 v187, 26, v184
	v_not_b32_e32 v182, v183
	v_lshlrev_b32_e32 v188, 25, v184
	v_cmp_gt_i32_e64 s18, 0, v183
	v_cmp_gt_i32_e64 s19, 0, v185
	v_not_b32_e32 v183, v185
	v_not_b32_e32 v185, v186
	v_ashrrev_i32_e32 v182, 31, v182
	v_cmp_gt_i32_e64 s20, 0, v186
	v_cmp_gt_i32_e64 s21, 0, v187
	v_not_b32_e32 v186, v187
	v_not_b32_e32 v187, v188
	v_dual_ashrrev_i32 v183, 31, v183 :: v_dual_ashrrev_i32 v185, 31, v185
	s_delay_alu instid0(VALU_DEP_3) | instskip(NEXT) | instid1(VALU_DEP_3)
	v_dual_ashrrev_i32 v186, 31, v186 :: v_dual_bitop2_b32 v63, s17, v63 bitop3:0x14
	v_dual_ashrrev_i32 v187, 31, v187 :: v_dual_bitop2_b32 v182, s18, v182 bitop3:0x14
	v_cmp_gt_i32_e64 s22, 0, v188
	s_delay_alu instid0(VALU_DEP_4) | instskip(SKIP_1) | instid1(VALU_DEP_4)
	v_xor_b32_e32 v183, s19, v183
	v_xor_b32_e32 v185, s20, v185
	v_bitop3_b32 v62, v62, v182, v63 bitop3:0x80
	v_mad_u32_u24 v63, v184, 36, v114
	v_xor_b32_e32 v187, s22, v187
	s_delay_alu instid0(VALU_DEP_3) | instskip(SKIP_3) | instid1(VALU_DEP_2)
	v_bitop3_b32 v62, v62, v185, v183 bitop3:0x80
	ds_load_b32 v182, v63 offset:544
	v_mul_u32_u24_e32 v63, 36, v184
	v_xor_b32_e32 v186, s21, v186
	; wave barrier
	v_add_nc_u32_e32 v185, v114, v63
	s_delay_alu instid0(VALU_DEP_2) | instskip(NEXT) | instid1(VALU_DEP_1)
	v_bitop3_b32 v62, v62, v187, v186 bitop3:0x80
	v_mbcnt_lo_u32_b32 v183, v62, 0
	v_cmp_ne_u32_e64 s17, 0, v62
	s_delay_alu instid0(VALU_DEP_2) | instskip(SKIP_1) | instid1(SALU_CYCLE_1)
	v_cmp_eq_u32_e32 vcc_lo, 0, v183
	s_and_b32 s18, s17, vcc_lo
	s_and_saveexec_b32 s17, s18
	s_cbranch_execz .LBB419_1089
; %bb.1088:                             ;   in Loop: Header=BB419_1040 Depth=2
	s_wait_dscnt 0x0
	v_bcnt_u32_b32 v62, v62, v182
	ds_store_b32 v185, v62 offset:544
.LBB419_1089:                           ;   in Loop: Header=BB419_1040 Depth=2
	s_or_b32 exec_lo, exec_lo, s17
	v_xor_b32_e32 v62, 0x80, v136
	v_xor_b32_e32 v63, 0x80, v135
	;; [unrolled: 1-line block ×4, first 2 shown]
	s_delay_alu instid0(VALU_DEP_4) | instskip(NEXT) | instid1(VALU_DEP_4)
	v_lshlrev_b16 v62, 8, v62
	v_lshlrev_b16 v63, 8, v63
	; wave barrier
	s_delay_alu instid0(VALU_DEP_2) | instskip(NEXT) | instid1(VALU_DEP_2)
	v_bitop3_b16 v184, v64, v62, 0xff bitop3:0xec
	v_bitop3_b16 v62, v65, v63, 0xff bitop3:0xec
	s_delay_alu instid0(VALU_DEP_2) | instskip(NEXT) | instid1(VALU_DEP_2)
	v_and_b32_e32 v63, 0xffff, v184
	v_lshlrev_b32_e32 v62, 16, v62
	s_delay_alu instid0(VALU_DEP_1) | instskip(NEXT) | instid1(VALU_DEP_1)
	v_or_b32_e32 v135, v63, v62
	v_bfe_u32 v62, v135, 8, 8
	s_delay_alu instid0(VALU_DEP_1) | instskip(NEXT) | instid1(VALU_DEP_1)
	v_lshrrev_b32_e32 v62, s49, v62
	v_bitop3_b32 v63, v62, 1, s58 bitop3:0x80
	v_and_b32_e32 v64, s58, v62
	s_delay_alu instid0(VALU_DEP_2) | instskip(NEXT) | instid1(VALU_DEP_1)
	v_add_co_u32 v62, s17, v63, -1
	v_cndmask_b32_e64 v63, 0, 1, s17
	s_delay_alu instid0(VALU_DEP_3) | instskip(NEXT) | instid1(VALU_DEP_2)
	v_lshlrev_b32_e32 v65, 30, v64
	v_cmp_ne_u32_e32 vcc_lo, 0, v63
	s_delay_alu instid0(VALU_DEP_2) | instskip(SKIP_2) | instid1(VALU_DEP_3)
	v_not_b32_e32 v63, v65
	v_cmp_gt_i32_e64 s17, 0, v65
	v_bitop3_b32 v62, vcc_lo, exec_lo, v62 bitop3:0x48
	v_dual_ashrrev_i32 v63, 31, v63 :: v_dual_lshlrev_b32 v136, 29, v64
	v_dual_lshlrev_b32 v186, 28, v64 :: v_dual_lshlrev_b32 v187, 27, v64
	v_lshlrev_b32_e32 v188, 26, v64
	s_delay_alu instid0(VALU_DEP_3)
	v_not_b32_e32 v65, v136
	v_lshlrev_b32_e32 v189, 25, v64
	v_cmp_gt_i32_e64 s18, 0, v136
	v_cmp_gt_i32_e64 s19, 0, v186
	v_not_b32_e32 v136, v186
	v_not_b32_e32 v186, v187
	v_ashrrev_i32_e32 v65, 31, v65
	v_cmp_gt_i32_e64 s20, 0, v187
	v_cmp_gt_i32_e64 s21, 0, v188
	v_not_b32_e32 v187, v188
	v_not_b32_e32 v188, v189
	v_dual_ashrrev_i32 v136, 31, v136 :: v_dual_ashrrev_i32 v186, 31, v186
	v_xor_b32_e32 v63, s17, v63
	s_delay_alu instid0(VALU_DEP_4)
	v_dual_ashrrev_i32 v187, 31, v187 :: v_dual_bitop2_b32 v65, s18, v65 bitop3:0x14
	v_cmp_gt_i32_e64 s22, 0, v189
	v_ashrrev_i32_e32 v188, 31, v188
	v_xor_b32_e32 v136, s19, v136
	v_xor_b32_e32 v186, s20, v186
	v_bitop3_b32 v62, v62, v65, v63 bitop3:0x80
	v_mad_u32_u24 v63, v64, 36, v114
	v_xor_b32_e32 v65, s21, v187
	v_xor_b32_e32 v187, s22, v188
	s_delay_alu instid0(VALU_DEP_4) | instskip(SKIP_3) | instid1(VALU_DEP_2)
	v_bitop3_b32 v62, v62, v186, v136 bitop3:0x80
	ds_load_b32 v136, v63 offset:544
	v_mul_u32_u24_e32 v63, 36, v64
	; wave barrier
	v_bitop3_b32 v62, v62, v187, v65 bitop3:0x80
	v_add_nc_u32_e32 v187, v114, v63
	s_delay_alu instid0(VALU_DEP_2) | instskip(SKIP_1) | instid1(VALU_DEP_2)
	v_mbcnt_lo_u32_b32 v186, v62, 0
	v_cmp_ne_u32_e64 s17, 0, v62
	v_cmp_eq_u32_e32 vcc_lo, 0, v186
	s_and_b32 s18, s17, vcc_lo
	s_delay_alu instid0(SALU_CYCLE_1)
	s_and_saveexec_b32 s17, s18
	s_cbranch_execz .LBB419_1091
; %bb.1090:                             ;   in Loop: Header=BB419_1040 Depth=2
	s_wait_dscnt 0x0
	v_bcnt_u32_b32 v62, v62, v136
	ds_store_b32 v187, v62 offset:544
.LBB419_1091:                           ;   in Loop: Header=BB419_1040 Depth=2
	s_or_b32 exec_lo, exec_lo, s17
	v_bfe_u32 v62, v135, 16, 8
	; wave barrier
	s_delay_alu instid0(VALU_DEP_1) | instskip(NEXT) | instid1(VALU_DEP_1)
	v_lshrrev_b32_e32 v62, s49, v62
	v_and_b32_e32 v64, s58, v62
	s_delay_alu instid0(VALU_DEP_1) | instskip(SKIP_1) | instid1(VALU_DEP_1)
	v_lshlrev_b32_e32 v65, 30, v64
	v_bitop3_b32 v63, v62, 1, s58 bitop3:0x80
	v_add_co_u32 v62, s17, v63, -1
	s_delay_alu instid0(VALU_DEP_1) | instskip(NEXT) | instid1(VALU_DEP_4)
	v_cndmask_b32_e64 v63, 0, 1, s17
	v_cmp_gt_i32_e64 s17, 0, v65
	s_delay_alu instid0(VALU_DEP_2) | instskip(SKIP_2) | instid1(VALU_DEP_2)
	v_cmp_ne_u32_e32 vcc_lo, 0, v63
	v_not_b32_e32 v63, v65
	v_bitop3_b32 v62, vcc_lo, exec_lo, v62 bitop3:0x48
	v_dual_ashrrev_i32 v63, 31, v63 :: v_dual_lshlrev_b32 v188, 29, v64
	v_dual_lshlrev_b32 v189, 28, v64 :: v_dual_lshlrev_b32 v190, 27, v64
	v_lshlrev_b32_e32 v191, 26, v64
	s_delay_alu instid0(VALU_DEP_3)
	v_not_b32_e32 v65, v188
	v_lshlrev_b32_e32 v192, 25, v64
	v_cmp_gt_i32_e64 s18, 0, v188
	v_cmp_gt_i32_e64 s19, 0, v189
	v_not_b32_e32 v188, v189
	v_not_b32_e32 v189, v190
	v_ashrrev_i32_e32 v65, 31, v65
	v_cmp_gt_i32_e64 s20, 0, v190
	v_cmp_gt_i32_e64 s21, 0, v191
	v_not_b32_e32 v190, v191
	v_dual_ashrrev_i32 v188, 31, v188 :: v_dual_ashrrev_i32 v189, 31, v189
	v_xor_b32_e32 v63, s17, v63
	v_not_b32_e32 v191, v192
	s_delay_alu instid0(VALU_DEP_4) | instskip(NEXT) | instid1(VALU_DEP_4)
	v_dual_ashrrev_i32 v190, 31, v190 :: v_dual_bitop2_b32 v65, s18, v65 bitop3:0x14
	v_xor_b32_e32 v188, s19, v188
	v_xor_b32_e32 v189, s20, v189
	v_cmp_gt_i32_e32 vcc_lo, 0, v192
	s_delay_alu instid0(VALU_DEP_4) | instskip(SKIP_3) | instid1(VALU_DEP_4)
	v_bitop3_b32 v62, v62, v65, v63 bitop3:0x80
	v_ashrrev_i32_e32 v63, 31, v191
	v_mad_u32_u24 v65, v64, 36, v114
	v_xor_b32_e32 v190, s21, v190
	v_bitop3_b32 v62, v62, v189, v188 bitop3:0x80
	s_delay_alu instid0(VALU_DEP_4) | instskip(SKIP_3) | instid1(VALU_DEP_2)
	v_xor_b32_e32 v63, vcc_lo, v63
	ds_load_b32 v188, v65 offset:544
	; wave barrier
	v_bitop3_b32 v62, v62, v63, v190 bitop3:0x80
	v_mul_u32_u24_e32 v63, 36, v64
	v_mbcnt_lo_u32_b32 v189, v62, 0
	v_cmp_ne_u32_e64 s17, 0, v62
	s_delay_alu instid0(VALU_DEP_3) | instskip(NEXT) | instid1(VALU_DEP_3)
	v_add_nc_u32_e32 v191, v114, v63
	v_cmp_eq_u32_e32 vcc_lo, 0, v189
	s_and_b32 s18, s17, vcc_lo
	s_delay_alu instid0(SALU_CYCLE_1)
	s_and_saveexec_b32 s17, s18
	s_cbranch_execz .LBB419_1093
; %bb.1092:                             ;   in Loop: Header=BB419_1040 Depth=2
	s_wait_dscnt 0x0
	v_bcnt_u32_b32 v62, v62, v188
	ds_store_b32 v191, v62 offset:544
.LBB419_1093:                           ;   in Loop: Header=BB419_1040 Depth=2
	s_or_b32 exec_lo, exec_lo, s17
	v_lshrrev_b32_e32 v190, 24, v135
	; wave barrier
	s_delay_alu instid0(VALU_DEP_1) | instskip(NEXT) | instid1(VALU_DEP_1)
	v_lshrrev_b32_e32 v62, s49, v190
	v_and_b32_e32 v64, s58, v62
	s_delay_alu instid0(VALU_DEP_1) | instskip(SKIP_3) | instid1(VALU_DEP_3)
	v_lshlrev_b32_e32 v65, 30, v64
	v_bitop3_b32 v63, v62, 1, s58 bitop3:0x80
	v_dual_lshlrev_b32 v192, 29, v64 :: v_dual_lshlrev_b32 v193, 28, v64
	v_dual_lshlrev_b32 v194, 27, v64 :: v_dual_lshlrev_b32 v195, 26, v64
	v_add_co_u32 v62, s17, v63, -1
	s_delay_alu instid0(VALU_DEP_1)
	v_cndmask_b32_e64 v63, 0, 1, s17
	v_cmp_gt_i32_e64 s17, 0, v65
	v_cmp_gt_i32_e64 s18, 0, v192
	;; [unrolled: 1-line block ×4, first 2 shown]
	v_cmp_ne_u32_e32 vcc_lo, 0, v63
	v_not_b32_e32 v63, v65
	v_not_b32_e32 v65, v192
	v_lshlrev_b32_e32 v196, 25, v64
	v_not_b32_e32 v192, v193
	v_not_b32_e32 v193, v194
	s_delay_alu instid0(VALU_DEP_4)
	v_dual_ashrrev_i32 v63, 31, v63 :: v_dual_ashrrev_i32 v65, 31, v65
	v_cmp_gt_i32_e64 s21, 0, v195
	v_not_b32_e32 v194, v195
	v_bitop3_b32 v62, vcc_lo, exec_lo, v62 bitop3:0x48
	v_dual_ashrrev_i32 v192, 31, v192 :: v_dual_ashrrev_i32 v193, 31, v193
	v_xor_b32_e32 v63, s17, v63
	s_delay_alu instid0(VALU_DEP_4) | instskip(SKIP_1) | instid1(VALU_DEP_4)
	v_dual_ashrrev_i32 v194, 31, v194 :: v_dual_bitop2_b32 v65, s18, v65 bitop3:0x14
	v_not_b32_e32 v195, v196
	v_xor_b32_e32 v192, s19, v192
	v_xor_b32_e32 v193, s20, v193
	s_delay_alu instid0(VALU_DEP_4)
	v_bitop3_b32 v62, v62, v65, v63 bitop3:0x80
	v_cmp_gt_i32_e32 vcc_lo, 0, v196
	v_ashrrev_i32_e32 v63, 31, v195
	v_mad_u32_u24 v65, v64, 36, v114
	v_xor_b32_e32 v194, s21, v194
	v_bitop3_b32 v62, v62, v193, v192 bitop3:0x80
	s_delay_alu instid0(VALU_DEP_4) | instskip(SKIP_3) | instid1(VALU_DEP_2)
	v_xor_b32_e32 v63, vcc_lo, v63
	ds_load_b32 v192, v65 offset:544
	; wave barrier
	v_bitop3_b32 v62, v62, v63, v194 bitop3:0x80
	v_mul_u32_u24_e32 v63, 36, v64
	v_mbcnt_lo_u32_b32 v193, v62, 0
	v_cmp_ne_u32_e64 s17, 0, v62
	s_delay_alu instid0(VALU_DEP_3) | instskip(NEXT) | instid1(VALU_DEP_3)
	v_add_nc_u32_e32 v194, v114, v63
	v_cmp_eq_u32_e32 vcc_lo, 0, v193
	s_and_b32 s18, s17, vcc_lo
	s_delay_alu instid0(SALU_CYCLE_1)
	s_and_saveexec_b32 s17, s18
	s_cbranch_execz .LBB419_1095
; %bb.1094:                             ;   in Loop: Header=BB419_1040 Depth=2
	s_wait_dscnt 0x0
	v_bcnt_u32_b32 v62, v62, v192
	ds_store_b32 v194, v62 offset:544
.LBB419_1095:                           ;   in Loop: Header=BB419_1040 Depth=2
	s_or_b32 exec_lo, exec_lo, s17
	v_xor_b32_e32 v115, 0xffffff80, v115
	; wave barrier
	s_delay_alu instid0(VALU_DEP_1) | instskip(NEXT) | instid1(VALU_DEP_1)
	v_and_b32_e32 v62, 0xff, v115
	v_lshrrev_b32_e32 v62, s49, v62
	s_delay_alu instid0(VALU_DEP_1) | instskip(NEXT) | instid1(VALU_DEP_1)
	v_and_b32_e32 v64, s58, v62
	v_lshlrev_b32_e32 v65, 30, v64
	v_bitop3_b32 v63, v62, 1, s58 bitop3:0x80
	s_delay_alu instid0(VALU_DEP_1) | instskip(NEXT) | instid1(VALU_DEP_1)
	v_add_co_u32 v62, s17, v63, -1
	v_cndmask_b32_e64 v63, 0, 1, s17
	s_delay_alu instid0(VALU_DEP_4) | instskip(NEXT) | instid1(VALU_DEP_2)
	v_cmp_gt_i32_e64 s17, 0, v65
	v_cmp_ne_u32_e32 vcc_lo, 0, v63
	v_not_b32_e32 v63, v65
	v_bitop3_b32 v62, vcc_lo, exec_lo, v62 bitop3:0x48
	s_delay_alu instid0(VALU_DEP_2) | instskip(SKIP_2) | instid1(VALU_DEP_3)
	v_dual_ashrrev_i32 v63, 31, v63 :: v_dual_lshlrev_b32 v195, 29, v64
	v_dual_lshlrev_b32 v196, 28, v64 :: v_dual_lshlrev_b32 v197, 27, v64
	v_lshlrev_b32_e32 v198, 26, v64
	v_not_b32_e32 v65, v195
	v_lshlrev_b32_e32 v199, 25, v64
	v_cmp_gt_i32_e64 s18, 0, v195
	v_cmp_gt_i32_e64 s19, 0, v196
	v_not_b32_e32 v195, v196
	v_not_b32_e32 v196, v197
	v_ashrrev_i32_e32 v65, 31, v65
	v_cmp_gt_i32_e64 s20, 0, v197
	v_cmp_gt_i32_e64 s21, 0, v198
	v_not_b32_e32 v197, v198
	v_not_b32_e32 v198, v199
	v_dual_ashrrev_i32 v195, 31, v195 :: v_dual_ashrrev_i32 v196, 31, v196
	s_delay_alu instid0(VALU_DEP_3) | instskip(NEXT) | instid1(VALU_DEP_3)
	v_dual_ashrrev_i32 v197, 31, v197 :: v_dual_bitop2_b32 v63, s17, v63 bitop3:0x14
	v_dual_ashrrev_i32 v198, 31, v198 :: v_dual_bitop2_b32 v65, s18, v65 bitop3:0x14
	v_cmp_gt_i32_e64 s22, 0, v199
	s_delay_alu instid0(VALU_DEP_4) | instskip(SKIP_1) | instid1(VALU_DEP_4)
	v_xor_b32_e32 v195, s19, v195
	v_xor_b32_e32 v196, s20, v196
	v_bitop3_b32 v62, v62, v65, v63 bitop3:0x80
	v_mad_u32_u24 v63, v64, 36, v114
	v_xor_b32_e32 v65, s21, v197
	v_xor_b32_e32 v197, s22, v198
	s_delay_alu instid0(VALU_DEP_4) | instskip(SKIP_3) | instid1(VALU_DEP_2)
	v_bitop3_b32 v62, v62, v196, v195 bitop3:0x80
	ds_load_b32 v195, v63 offset:544
	v_mul_u32_u24_e32 v63, 36, v64
	; wave barrier
	v_bitop3_b32 v62, v62, v197, v65 bitop3:0x80
	v_add_nc_u32_e32 v197, v114, v63
	s_delay_alu instid0(VALU_DEP_2) | instskip(SKIP_1) | instid1(VALU_DEP_2)
	v_mbcnt_lo_u32_b32 v196, v62, 0
	v_cmp_ne_u32_e64 s17, 0, v62
	v_cmp_eq_u32_e32 vcc_lo, 0, v196
	s_and_b32 s18, s17, vcc_lo
	s_delay_alu instid0(SALU_CYCLE_1)
	s_and_saveexec_b32 s17, s18
	s_cbranch_execz .LBB419_1097
; %bb.1096:                             ;   in Loop: Header=BB419_1040 Depth=2
	s_wait_dscnt 0x0
	v_bcnt_u32_b32 v62, v62, v195
	ds_store_b32 v197, v62 offset:544
.LBB419_1097:                           ;   in Loop: Header=BB419_1040 Depth=2
	s_or_b32 exec_lo, exec_lo, s17
	; wave barrier
	s_wait_dscnt 0x0
	s_barrier_signal -1
	s_barrier_wait -1
	ds_load_2addr_b32 v[64:65], v90 offset0:136 offset1:137
	ds_load_2addr_b32 v[62:63], v90 offset0:138 offset1:139
	ds_load_b32 v198, v90 offset:560
	s_wait_dscnt 0x1
	v_add3_u32 v199, v65, v64, v62
	s_wait_dscnt 0x0
	s_delay_alu instid0(VALU_DEP_1) | instskip(NEXT) | instid1(VALU_DEP_1)
	v_add3_u32 v198, v199, v63, v198
	v_mov_b32_dpp v199, v198 row_shr:1 row_mask:0xf bank_mask:0xf
	s_delay_alu instid0(VALU_DEP_1) | instskip(NEXT) | instid1(VALU_DEP_1)
	v_cndmask_b32_e64 v199, v199, 0, s8
	v_add_nc_u32_e32 v198, v199, v198
	s_delay_alu instid0(VALU_DEP_1) | instskip(NEXT) | instid1(VALU_DEP_1)
	v_mov_b32_dpp v199, v198 row_shr:2 row_mask:0xf bank_mask:0xf
	v_cndmask_b32_e64 v199, 0, v199, s9
	s_delay_alu instid0(VALU_DEP_1) | instskip(NEXT) | instid1(VALU_DEP_1)
	v_add_nc_u32_e32 v198, v198, v199
	v_mov_b32_dpp v199, v198 row_shr:4 row_mask:0xf bank_mask:0xf
	s_delay_alu instid0(VALU_DEP_1) | instskip(NEXT) | instid1(VALU_DEP_1)
	v_cndmask_b32_e64 v199, 0, v199, s10
	v_add_nc_u32_e32 v198, v198, v199
	s_delay_alu instid0(VALU_DEP_1) | instskip(NEXT) | instid1(VALU_DEP_1)
	v_mov_b32_dpp v199, v198 row_shr:8 row_mask:0xf bank_mask:0xf
	v_cndmask_b32_e64 v199, 0, v199, s11
	s_delay_alu instid0(VALU_DEP_1) | instskip(SKIP_3) | instid1(VALU_DEP_1)
	v_add_nc_u32_e32 v198, v198, v199
	ds_swizzle_b32 v199, v198 offset:swizzle(BROADCAST,32,15)
	s_wait_dscnt 0x0
	v_cndmask_b32_e64 v199, v199, 0, s12
	v_add_nc_u32_e32 v198, v198, v199
	s_and_saveexec_b32 s17, s2
; %bb.1098:                             ;   in Loop: Header=BB419_1040 Depth=2
	ds_store_b32 v83, v198 offset:512
; %bb.1099:                             ;   in Loop: Header=BB419_1040 Depth=2
	s_or_b32 exec_lo, exec_lo, s17
	s_wait_dscnt 0x0
	s_barrier_signal -1
	s_barrier_wait -1
	s_and_saveexec_b32 s17, s3
	s_cbranch_execz .LBB419_1101
; %bb.1100:                             ;   in Loop: Header=BB419_1040 Depth=2
	ds_load_b32 v199, v92 offset:512
	s_wait_dscnt 0x0
	v_mov_b32_dpp v200, v199 row_shr:1 row_mask:0xf bank_mask:0xf
	s_delay_alu instid0(VALU_DEP_1) | instskip(NEXT) | instid1(VALU_DEP_1)
	v_cndmask_b32_e64 v200, v200, 0, s14
	v_add_nc_u32_e32 v199, v200, v199
	s_delay_alu instid0(VALU_DEP_1) | instskip(NEXT) | instid1(VALU_DEP_1)
	v_mov_b32_dpp v200, v199 row_shr:2 row_mask:0xf bank_mask:0xf
	v_cndmask_b32_e64 v200, 0, v200, s15
	s_delay_alu instid0(VALU_DEP_1) | instskip(NEXT) | instid1(VALU_DEP_1)
	v_add_nc_u32_e32 v199, v199, v200
	v_mov_b32_dpp v200, v199 row_shr:4 row_mask:0xf bank_mask:0xf
	s_delay_alu instid0(VALU_DEP_1) | instskip(NEXT) | instid1(VALU_DEP_1)
	v_cndmask_b32_e64 v200, 0, v200, s16
	v_add_nc_u32_e32 v199, v199, v200
	ds_store_b32 v92, v199 offset:512
.LBB419_1101:                           ;   in Loop: Header=BB419_1040 Depth=2
	s_or_b32 exec_lo, exec_lo, s17
	v_mov_b32_e32 v199, 0
	s_wait_dscnt 0x0
	s_barrier_signal -1
	s_barrier_wait -1
	s_and_saveexec_b32 s17, s5
; %bb.1102:                             ;   in Loop: Header=BB419_1040 Depth=2
	ds_load_b32 v199, v83 offset:508
; %bb.1103:                             ;   in Loop: Header=BB419_1040 Depth=2
	s_or_b32 exec_lo, exec_lo, s17
	s_wait_dscnt 0x0
	v_add_nc_u32_e32 v198, v199, v198
	ds_bpermute_b32 v198, v96, v198
	s_wait_dscnt 0x0
	v_cndmask_b32_e64 v198, v198, v199, s13
	s_delay_alu instid0(VALU_DEP_1) | instskip(NEXT) | instid1(VALU_DEP_1)
	v_cndmask_b32_e64 v198, v198, 0, s6
	v_add_nc_u32_e32 v64, v198, v64
	s_delay_alu instid0(VALU_DEP_1) | instskip(NEXT) | instid1(VALU_DEP_1)
	v_add_nc_u32_e32 v65, v64, v65
	v_add_nc_u32_e32 v62, v65, v62
	s_delay_alu instid0(VALU_DEP_1)
	v_add_nc_u32_e32 v63, v62, v63
	ds_store_2addr_b32 v90, v198, v64 offset0:136 offset1:137
	ds_store_2addr_b32 v90, v65, v62 offset0:138 offset1:139
	ds_store_b32 v90, v63 offset:560
	s_wait_dscnt 0x0
	s_barrier_signal -1
	s_barrier_wait -1
	ds_load_b32 v62, v149 offset:544
	ds_load_b32 v63, v152 offset:544
	ds_load_b32 v64, v156 offset:544
	ds_load_b32 v65, v159 offset:544
	ds_load_b32 v149, v162 offset:544
	ds_load_b32 v159, v163 offset:544
	ds_load_b32 v162, v167 offset:544
	ds_load_b32 v163, v170 offset:544
	ds_load_b32 v167, v173 offset:544
	ds_load_b32 v170, v174 offset:544
	ds_load_b32 v173, v178 offset:544
	ds_load_b32 v174, v181 offset:544
	ds_load_b32 v178, v185 offset:544
	ds_load_b32 v181, v187 offset:544
	ds_load_b32 v185, v191 offset:544
	ds_load_b32 v187, v194 offset:544
	ds_load_b32 v191, v197 offset:544
	s_and_saveexec_b32 s17, s0
	s_cbranch_execz .LBB419_1107
; %bb.1104:                             ;   in Loop: Header=BB419_1040 Depth=2
	v_dual_mov_b32 v134, 0x1100 :: v_dual_add_nc_u32 v133, v92, v94
	ds_load_b32 v133, v133 offset:544
	s_and_saveexec_b32 s18, s7
; %bb.1105:                             ;   in Loop: Header=BB419_1040 Depth=2
	ds_load_b32 v134, v93 offset:544
; %bb.1106:                             ;   in Loop: Header=BB419_1040 Depth=2
	s_or_b32 exec_lo, exec_lo, s18
	s_wait_dscnt 0x0
	v_sub_nc_u32_e32 v134, v134, v133
.LBB419_1107:                           ;   in Loop: Header=BB419_1040 Depth=2
	s_or_b32 exec_lo, exec_lo, s17
	v_dual_lshrrev_b32 v202, 8, v148 :: v_dual_lshrrev_b32 v203, 16, v148
	v_dual_lshrrev_b32 v200, 8, v143 :: v_dual_lshrrev_b32 v201, 16, v143
	;; [unrolled: 1-line block ×4, first 2 shown]
	s_wait_dscnt 0x0
	s_barrier_signal -1
	s_barrier_wait -1
	s_and_saveexec_b32 s17, s0
	s_cbranch_execz .LBB419_1109
; %bb.1108:                             ;   in Loop: Header=BB419_1040 Depth=2
	ds_load_b32 v135, v66
	s_wait_dscnt 0x0
	v_sub_nc_u32_e32 v135, v135, v133
	ds_store_b32 v66, v135
.LBB419_1109:                           ;   in Loop: Header=BB419_1040 Depth=2
	s_or_b32 exec_lo, exec_lo, s17
	v_add_nc_u32_e32 v156, v62, v146
	v_add3_u32 v152, v151, v150, v63
	v_add3_u32 v151, v154, v153, v64
	;; [unrolled: 1-line block ×16, first 2 shown]
	v_cmp_lt_u32_e32 vcc_lo, v2, v137
	ds_store_b8 v156, v147 offset:512
	ds_store_b8 v152, v202 offset:512
	ds_store_b8 v151, v203 offset:512
	ds_store_b8 v150, v155 offset:512
	ds_store_b8 v149, v142 offset:512
	ds_store_b8 v148, v200 offset:512
	ds_store_b8 v146, v201 offset:512
	ds_store_b8 v145, v166 offset:512
	ds_store_b8 v144, v138 offset:512
	ds_store_b8 v143, v198 offset:512
	ds_store_b8 v141, v199 offset:512
	ds_store_b8 v140, v177 offset:512
	ds_store_b8 v139, v184 offset:512
	ds_store_b8 v136, v194 offset:512
	ds_store_b8 v135, v197 offset:512
	ds_store_b8 v65, v190 offset:512
	ds_store_b8 v64, v115 offset:512
	s_wait_dscnt 0x0
	s_barrier_signal -1
	s_barrier_wait -1
	s_and_saveexec_b32 s17, vcc_lo
	s_cbranch_execnz .LBB419_1182
; %bb.1110:                             ;   in Loop: Header=BB419_1040 Depth=2
	s_or_b32 exec_lo, exec_lo, s17
	v_cmp_lt_u32_e64 s17, v67, v137
	s_and_saveexec_b32 s18, s17
	s_cbranch_execnz .LBB419_1183
.LBB419_1111:                           ;   in Loop: Header=BB419_1040 Depth=2
	s_or_b32 exec_lo, exec_lo, s18
	v_cmp_lt_u32_e64 s18, v68, v137
	s_and_saveexec_b32 s19, s18
	s_cbranch_execnz .LBB419_1184
.LBB419_1112:                           ;   in Loop: Header=BB419_1040 Depth=2
	s_or_b32 exec_lo, exec_lo, s19
	v_cmp_lt_u32_e64 s19, v69, v137
	s_and_saveexec_b32 s20, s19
	s_cbranch_execnz .LBB419_1185
.LBB419_1113:                           ;   in Loop: Header=BB419_1040 Depth=2
	s_or_b32 exec_lo, exec_lo, s20
	v_cmp_lt_u32_e64 s20, v70, v137
	s_and_saveexec_b32 s21, s20
	s_cbranch_execnz .LBB419_1186
.LBB419_1114:                           ;   in Loop: Header=BB419_1040 Depth=2
	s_or_b32 exec_lo, exec_lo, s21
	v_cmp_lt_u32_e64 s21, v71, v137
	s_and_saveexec_b32 s22, s21
	s_cbranch_execnz .LBB419_1187
.LBB419_1115:                           ;   in Loop: Header=BB419_1040 Depth=2
	s_or_b32 exec_lo, exec_lo, s22
	v_cmp_lt_u32_e64 s22, v72, v137
	s_and_saveexec_b32 s23, s22
	s_cbranch_execnz .LBB419_1188
.LBB419_1116:                           ;   in Loop: Header=BB419_1040 Depth=2
	s_or_b32 exec_lo, exec_lo, s23
	v_cmp_lt_u32_e64 s23, v73, v137
	s_and_saveexec_b32 s24, s23
	s_cbranch_execnz .LBB419_1189
.LBB419_1117:                           ;   in Loop: Header=BB419_1040 Depth=2
	s_or_b32 exec_lo, exec_lo, s24
	v_cmp_lt_u32_e64 s24, v74, v137
	s_and_saveexec_b32 s25, s24
	s_cbranch_execnz .LBB419_1190
.LBB419_1118:                           ;   in Loop: Header=BB419_1040 Depth=2
	s_or_b32 exec_lo, exec_lo, s25
	v_cmp_lt_u32_e64 s25, v75, v137
	s_and_saveexec_b32 s26, s25
	s_cbranch_execnz .LBB419_1191
.LBB419_1119:                           ;   in Loop: Header=BB419_1040 Depth=2
	s_or_b32 exec_lo, exec_lo, s26
	v_cmp_lt_u32_e64 s26, v76, v137
	s_and_saveexec_b32 s27, s26
	s_cbranch_execnz .LBB419_1192
.LBB419_1120:                           ;   in Loop: Header=BB419_1040 Depth=2
	s_or_b32 exec_lo, exec_lo, s27
	v_cmp_lt_u32_e64 s27, v77, v137
	s_and_saveexec_b32 s28, s27
	s_cbranch_execnz .LBB419_1193
.LBB419_1121:                           ;   in Loop: Header=BB419_1040 Depth=2
	s_or_b32 exec_lo, exec_lo, s28
	v_cmp_lt_u32_e64 s28, v78, v137
	s_and_saveexec_b32 s29, s28
	s_cbranch_execnz .LBB419_1194
.LBB419_1122:                           ;   in Loop: Header=BB419_1040 Depth=2
	s_or_b32 exec_lo, exec_lo, s29
	v_cmp_lt_u32_e64 s29, v79, v137
	s_and_saveexec_b32 s30, s29
	s_cbranch_execnz .LBB419_1195
.LBB419_1123:                           ;   in Loop: Header=BB419_1040 Depth=2
	s_or_b32 exec_lo, exec_lo, s30
	v_cmp_lt_u32_e64 s30, v80, v137
	s_and_saveexec_b32 s31, s30
	s_cbranch_execnz .LBB419_1196
.LBB419_1124:                           ;   in Loop: Header=BB419_1040 Depth=2
	s_or_b32 exec_lo, exec_lo, s31
	v_cmp_lt_u32_e64 s31, v81, v137
	s_and_saveexec_b32 s33, s31
	s_cbranch_execnz .LBB419_1197
.LBB419_1125:                           ;   in Loop: Header=BB419_1040 Depth=2
	s_or_b32 exec_lo, exec_lo, s33
	v_cmp_lt_u32_e64 s33, v82, v137
	s_and_saveexec_b32 s61, s33
	s_cbranch_execz .LBB419_1127
.LBB419_1126:                           ;   in Loop: Header=BB419_1040 Depth=2
	ds_load_u8 v62, v2 offset:4608
	s_wait_dscnt 0x0
	v_and_b32_e32 v63, 0xff, v62
	v_xor_b32_e32 v62, 0x80, v62
	s_delay_alu instid0(VALU_DEP_2) | instskip(NEXT) | instid1(VALU_DEP_1)
	v_lshrrev_b32_e32 v63, s49, v63
	v_and_b32_e32 v63, s58, v63
	s_delay_alu instid0(VALU_DEP_1)
	v_lshlrev_b32_e32 v63, 2, v63
	ds_load_b32 v63, v63
	s_wait_dscnt 0x0
	v_add_nc_u32_e32 v63, v63, v82
	global_store_b8 v63, v62, s[40:41]
.LBB419_1127:                           ;   in Loop: Header=BB419_1040 Depth=2
	s_wait_xcnt 0x0
	s_or_b32 exec_lo, exec_lo, s61
	v_lshl_add_u64 v[62:63], s[34:35], 3, v[26:27]
	v_cmp_lt_u32_e64 s34, v97, v137
	s_and_saveexec_b32 s61, s34
	s_delay_alu instid0(SALU_CYCLE_1)
	s_xor_b32 s34, exec_lo, s61
	s_cbranch_execnz .LBB419_1198
; %bb.1128:                             ;   in Loop: Header=BB419_1040 Depth=2
	s_or_b32 exec_lo, exec_lo, s34
	s_delay_alu instid0(SALU_CYCLE_1)
	s_mov_b32 s61, exec_lo
	v_cmpx_lt_u32_e64 v98, v137
	s_cbranch_execnz .LBB419_1199
.LBB419_1129:                           ;   in Loop: Header=BB419_1040 Depth=2
	s_or_b32 exec_lo, exec_lo, s61
	s_delay_alu instid0(SALU_CYCLE_1)
	s_mov_b32 s61, exec_lo
	v_cmpx_lt_u32_e64 v99, v137
	s_cbranch_execnz .LBB419_1200
.LBB419_1130:                           ;   in Loop: Header=BB419_1040 Depth=2
	s_or_b32 exec_lo, exec_lo, s61
	s_delay_alu instid0(SALU_CYCLE_1)
	s_mov_b32 s61, exec_lo
	v_cmpx_lt_u32_e64 v100, v137
	s_cbranch_execnz .LBB419_1201
.LBB419_1131:                           ;   in Loop: Header=BB419_1040 Depth=2
	s_or_b32 exec_lo, exec_lo, s61
	s_delay_alu instid0(SALU_CYCLE_1)
	s_mov_b32 s61, exec_lo
	v_cmpx_lt_u32_e64 v101, v137
	s_cbranch_execnz .LBB419_1202
.LBB419_1132:                           ;   in Loop: Header=BB419_1040 Depth=2
	s_or_b32 exec_lo, exec_lo, s61
	s_delay_alu instid0(SALU_CYCLE_1)
	s_mov_b32 s61, exec_lo
	v_cmpx_lt_u32_e64 v102, v137
	s_cbranch_execnz .LBB419_1203
.LBB419_1133:                           ;   in Loop: Header=BB419_1040 Depth=2
	s_or_b32 exec_lo, exec_lo, s61
	s_delay_alu instid0(SALU_CYCLE_1)
	s_mov_b32 s61, exec_lo
	v_cmpx_lt_u32_e64 v103, v137
	s_cbranch_execnz .LBB419_1204
.LBB419_1134:                           ;   in Loop: Header=BB419_1040 Depth=2
	s_or_b32 exec_lo, exec_lo, s61
	s_delay_alu instid0(SALU_CYCLE_1)
	s_mov_b32 s61, exec_lo
	v_cmpx_lt_u32_e64 v104, v137
	s_cbranch_execnz .LBB419_1205
.LBB419_1135:                           ;   in Loop: Header=BB419_1040 Depth=2
	s_or_b32 exec_lo, exec_lo, s61
	s_delay_alu instid0(SALU_CYCLE_1)
	s_mov_b32 s61, exec_lo
	v_cmpx_lt_u32_e64 v105, v137
	s_cbranch_execnz .LBB419_1206
.LBB419_1136:                           ;   in Loop: Header=BB419_1040 Depth=2
	s_or_b32 exec_lo, exec_lo, s61
	s_delay_alu instid0(SALU_CYCLE_1)
	s_mov_b32 s61, exec_lo
	v_cmpx_lt_u32_e64 v106, v137
	s_cbranch_execnz .LBB419_1207
.LBB419_1137:                           ;   in Loop: Header=BB419_1040 Depth=2
	s_or_b32 exec_lo, exec_lo, s61
	s_delay_alu instid0(SALU_CYCLE_1)
	s_mov_b32 s61, exec_lo
	v_cmpx_lt_u32_e64 v107, v137
	s_cbranch_execnz .LBB419_1208
.LBB419_1138:                           ;   in Loop: Header=BB419_1040 Depth=2
	s_or_b32 exec_lo, exec_lo, s61
	s_delay_alu instid0(SALU_CYCLE_1)
	s_mov_b32 s61, exec_lo
	v_cmpx_lt_u32_e64 v108, v137
	s_cbranch_execnz .LBB419_1209
.LBB419_1139:                           ;   in Loop: Header=BB419_1040 Depth=2
	s_or_b32 exec_lo, exec_lo, s61
	s_delay_alu instid0(SALU_CYCLE_1)
	s_mov_b32 s61, exec_lo
	v_cmpx_lt_u32_e64 v109, v137
	s_cbranch_execnz .LBB419_1210
.LBB419_1140:                           ;   in Loop: Header=BB419_1040 Depth=2
	s_or_b32 exec_lo, exec_lo, s61
	s_delay_alu instid0(SALU_CYCLE_1)
	s_mov_b32 s61, exec_lo
	v_cmpx_lt_u32_e64 v110, v137
	s_cbranch_execnz .LBB419_1211
.LBB419_1141:                           ;   in Loop: Header=BB419_1040 Depth=2
	s_or_b32 exec_lo, exec_lo, s61
	s_delay_alu instid0(SALU_CYCLE_1)
	s_mov_b32 s61, exec_lo
	v_cmpx_lt_u32_e64 v111, v137
	s_cbranch_execnz .LBB419_1212
.LBB419_1142:                           ;   in Loop: Header=BB419_1040 Depth=2
	s_or_b32 exec_lo, exec_lo, s61
	s_delay_alu instid0(SALU_CYCLE_1)
	s_mov_b32 s61, exec_lo
	v_cmpx_lt_u32_e64 v112, v137
	s_cbranch_execnz .LBB419_1213
.LBB419_1143:                           ;   in Loop: Header=BB419_1040 Depth=2
	s_or_b32 exec_lo, exec_lo, s61
	s_delay_alu instid0(SALU_CYCLE_1)
	s_mov_b32 s61, exec_lo
	v_cmpx_lt_u32_e64 v113, v137
	s_cbranch_execnz .LBB419_1214
.LBB419_1144:                           ;   in Loop: Header=BB419_1040 Depth=2
	s_or_b32 exec_lo, exec_lo, s61
	s_and_saveexec_b32 s34, vcc_lo
	s_cbranch_execnz .LBB419_1215
.LBB419_1145:                           ;   in Loop: Header=BB419_1040 Depth=2
	s_or_b32 exec_lo, exec_lo, s34
	s_and_saveexec_b32 s34, s17
	s_cbranch_execnz .LBB419_1216
.LBB419_1146:                           ;   in Loop: Header=BB419_1040 Depth=2
	s_or_b32 exec_lo, exec_lo, s34
	s_and_saveexec_b32 s34, s18
	s_cbranch_execnz .LBB419_1217
.LBB419_1147:                           ;   in Loop: Header=BB419_1040 Depth=2
	s_or_b32 exec_lo, exec_lo, s34
	s_and_saveexec_b32 s34, s19
	s_cbranch_execnz .LBB419_1218
.LBB419_1148:                           ;   in Loop: Header=BB419_1040 Depth=2
	s_or_b32 exec_lo, exec_lo, s34
	s_and_saveexec_b32 s34, s20
	s_cbranch_execnz .LBB419_1219
.LBB419_1149:                           ;   in Loop: Header=BB419_1040 Depth=2
	s_or_b32 exec_lo, exec_lo, s34
	s_and_saveexec_b32 s34, s21
	s_cbranch_execnz .LBB419_1220
.LBB419_1150:                           ;   in Loop: Header=BB419_1040 Depth=2
	s_or_b32 exec_lo, exec_lo, s34
	s_and_saveexec_b32 s34, s22
	s_cbranch_execnz .LBB419_1221
.LBB419_1151:                           ;   in Loop: Header=BB419_1040 Depth=2
	s_or_b32 exec_lo, exec_lo, s34
	s_and_saveexec_b32 s34, s23
	s_cbranch_execnz .LBB419_1222
.LBB419_1152:                           ;   in Loop: Header=BB419_1040 Depth=2
	s_or_b32 exec_lo, exec_lo, s34
	s_and_saveexec_b32 s34, s24
	s_cbranch_execnz .LBB419_1223
.LBB419_1153:                           ;   in Loop: Header=BB419_1040 Depth=2
	s_or_b32 exec_lo, exec_lo, s34
	s_and_saveexec_b32 s34, s25
	s_cbranch_execnz .LBB419_1224
.LBB419_1154:                           ;   in Loop: Header=BB419_1040 Depth=2
	s_or_b32 exec_lo, exec_lo, s34
	s_and_saveexec_b32 s34, s26
	s_cbranch_execnz .LBB419_1225
.LBB419_1155:                           ;   in Loop: Header=BB419_1040 Depth=2
	s_or_b32 exec_lo, exec_lo, s34
	s_and_saveexec_b32 s34, s27
	s_cbranch_execnz .LBB419_1226
.LBB419_1156:                           ;   in Loop: Header=BB419_1040 Depth=2
	s_or_b32 exec_lo, exec_lo, s34
	s_and_saveexec_b32 s34, s28
	s_cbranch_execnz .LBB419_1227
.LBB419_1157:                           ;   in Loop: Header=BB419_1040 Depth=2
	s_or_b32 exec_lo, exec_lo, s34
	s_and_saveexec_b32 s34, s29
	s_cbranch_execnz .LBB419_1228
.LBB419_1158:                           ;   in Loop: Header=BB419_1040 Depth=2
	s_or_b32 exec_lo, exec_lo, s34
	s_and_saveexec_b32 s34, s30
	s_cbranch_execnz .LBB419_1229
.LBB419_1159:                           ;   in Loop: Header=BB419_1040 Depth=2
	s_or_b32 exec_lo, exec_lo, s34
	s_and_saveexec_b32 s34, s31
	s_cbranch_execnz .LBB419_1230
.LBB419_1160:                           ;   in Loop: Header=BB419_1040 Depth=2
	s_or_b32 exec_lo, exec_lo, s34
	s_and_saveexec_b32 s34, s33
	s_cbranch_execz .LBB419_1162
.LBB419_1161:                           ;   in Loop: Header=BB419_1040 Depth=2
	ds_load_u8 v62, v2 offset:4608
	s_wait_dscnt 0x0
	v_lshrrev_b32_e32 v62, s49, v62
	s_delay_alu instid0(VALU_DEP_1)
	v_and_b32_e32 v116, s58, v62
.LBB419_1162:                           ;   in Loop: Header=BB419_1040 Depth=2
	s_or_b32 exec_lo, exec_lo, s34
	v_lshlrev_b32_e32 v62, 3, v156
	v_lshlrev_b32_e32 v63, 3, v152
	s_wait_loadcnt 0x0
	s_wait_storecnt 0x0
	s_barrier_signal -1
	s_barrier_wait -1
	ds_store_b64 v62, v[60:61] offset:512
	ds_store_b64 v63, v[58:59] offset:512
	v_dual_lshlrev_b32 v62, 3, v151 :: v_dual_lshlrev_b32 v63, 3, v150
	v_dual_lshlrev_b32 v137, 3, v149 :: v_dual_lshlrev_b32 v138, 3, v148
	v_lshlrev_b32_e32 v142, 3, v146
	ds_store_b64 v62, v[56:57] offset:512
	ds_store_b64 v63, v[54:55] offset:512
	ds_store_b64 v137, v[52:53] offset:512
	ds_store_b64 v138, v[50:51] offset:512
	ds_store_b64 v142, v[48:49] offset:512
	v_dual_lshlrev_b32 v62, 3, v145 :: v_dual_lshlrev_b32 v63, 3, v144
	v_dual_lshlrev_b32 v137, 3, v143 :: v_dual_lshlrev_b32 v138, 3, v141
	v_lshlrev_b32_e32 v140, 3, v140
	ds_store_b64 v62, v[46:47] offset:512
	ds_store_b64 v63, v[44:45] offset:512
	ds_store_b64 v137, v[42:43] offset:512
	;; [unrolled: 8-line block ×3, first 2 shown]
	ds_store_b64 v65, v[30:31] offset:512
	ds_store_b64 v64, v[28:29] offset:512
	v_add_nc_u32_e32 v62, v2, v95
	s_wait_dscnt 0x0
	s_barrier_signal -1
	s_barrier_wait -1
	s_and_saveexec_b32 s34, vcc_lo
	s_cbranch_execnz .LBB419_1231
; %bb.1163:                             ;   in Loop: Header=BB419_1040 Depth=2
	s_or_b32 exec_lo, exec_lo, s34
	s_and_saveexec_b32 s34, s17
	s_cbranch_execnz .LBB419_1232
.LBB419_1164:                           ;   in Loop: Header=BB419_1040 Depth=2
	s_or_b32 exec_lo, exec_lo, s34
	s_and_saveexec_b32 s17, s18
	s_cbranch_execnz .LBB419_1233
.LBB419_1165:                           ;   in Loop: Header=BB419_1040 Depth=2
	s_or_b32 exec_lo, exec_lo, s17
	s_and_saveexec_b32 s17, s19
	s_cbranch_execnz .LBB419_1234
.LBB419_1166:                           ;   in Loop: Header=BB419_1040 Depth=2
	s_or_b32 exec_lo, exec_lo, s17
	s_and_saveexec_b32 s17, s20
	s_cbranch_execnz .LBB419_1235
.LBB419_1167:                           ;   in Loop: Header=BB419_1040 Depth=2
	s_or_b32 exec_lo, exec_lo, s17
	s_and_saveexec_b32 s17, s21
	s_cbranch_execnz .LBB419_1236
.LBB419_1168:                           ;   in Loop: Header=BB419_1040 Depth=2
	s_or_b32 exec_lo, exec_lo, s17
	s_and_saveexec_b32 s17, s22
	s_cbranch_execnz .LBB419_1237
.LBB419_1169:                           ;   in Loop: Header=BB419_1040 Depth=2
	s_or_b32 exec_lo, exec_lo, s17
	s_and_saveexec_b32 s17, s23
	s_cbranch_execnz .LBB419_1238
.LBB419_1170:                           ;   in Loop: Header=BB419_1040 Depth=2
	s_or_b32 exec_lo, exec_lo, s17
	s_and_saveexec_b32 s17, s24
	s_cbranch_execnz .LBB419_1239
.LBB419_1171:                           ;   in Loop: Header=BB419_1040 Depth=2
	s_or_b32 exec_lo, exec_lo, s17
	s_and_saveexec_b32 s17, s25
	s_cbranch_execnz .LBB419_1240
.LBB419_1172:                           ;   in Loop: Header=BB419_1040 Depth=2
	s_or_b32 exec_lo, exec_lo, s17
	s_and_saveexec_b32 s17, s26
	s_cbranch_execnz .LBB419_1241
.LBB419_1173:                           ;   in Loop: Header=BB419_1040 Depth=2
	s_or_b32 exec_lo, exec_lo, s17
	s_and_saveexec_b32 s17, s27
	s_cbranch_execnz .LBB419_1242
.LBB419_1174:                           ;   in Loop: Header=BB419_1040 Depth=2
	s_or_b32 exec_lo, exec_lo, s17
	s_and_saveexec_b32 s17, s28
	s_cbranch_execnz .LBB419_1243
.LBB419_1175:                           ;   in Loop: Header=BB419_1040 Depth=2
	s_or_b32 exec_lo, exec_lo, s17
	s_and_saveexec_b32 s17, s29
	s_cbranch_execnz .LBB419_1244
.LBB419_1176:                           ;   in Loop: Header=BB419_1040 Depth=2
	s_or_b32 exec_lo, exec_lo, s17
	s_and_saveexec_b32 s17, s30
	s_cbranch_execnz .LBB419_1245
.LBB419_1177:                           ;   in Loop: Header=BB419_1040 Depth=2
	s_or_b32 exec_lo, exec_lo, s17
	s_and_saveexec_b32 s17, s31
	s_cbranch_execnz .LBB419_1246
.LBB419_1178:                           ;   in Loop: Header=BB419_1040 Depth=2
	s_or_b32 exec_lo, exec_lo, s17
	s_and_saveexec_b32 s17, s33
	s_cbranch_execz .LBB419_1180
.LBB419_1179:                           ;   in Loop: Header=BB419_1040 Depth=2
	v_lshlrev_b32_e32 v63, 2, v116
	ds_load_b32 v64, v63
	ds_load_b64 v[62:63], v62 offset:33280
	s_wait_dscnt 0x1
	v_add_nc_u32_e32 v64, v64, v82
	s_wait_dscnt 0x0
	global_store_b64 v64, v[62:63], s[46:47] scale_offset
.LBB419_1180:                           ;   in Loop: Header=BB419_1040 Depth=2
	s_wait_xcnt 0x0
	s_or_b32 exec_lo, exec_lo, s17
	s_wait_storecnt 0x0
	s_barrier_signal -1
	s_barrier_wait -1
	s_and_saveexec_b32 s17, s0
	s_cbranch_execz .LBB419_1039
; %bb.1181:                             ;   in Loop: Header=BB419_1040 Depth=2
	ds_load_b32 v62, v66
	s_wait_dscnt 0x0
	v_add3_u32 v62, v133, v134, v62
	ds_store_b32 v66, v62
	s_branch .LBB419_1039
.LBB419_1182:                           ;   in Loop: Header=BB419_1040 Depth=2
	ds_load_u8 v62, v2 offset:512
	s_wait_dscnt 0x0
	v_and_b32_e32 v63, 0xff, v62
	v_xor_b32_e32 v62, 0x80, v62
	s_delay_alu instid0(VALU_DEP_2) | instskip(NEXT) | instid1(VALU_DEP_1)
	v_lshrrev_b32_e32 v63, s49, v63
	v_and_b32_e32 v63, s58, v63
	s_delay_alu instid0(VALU_DEP_1)
	v_lshlrev_b32_e32 v63, 2, v63
	ds_load_b32 v63, v63
	s_wait_dscnt 0x0
	v_add_nc_u32_e32 v63, v63, v2
	global_store_b8 v63, v62, s[40:41]
	s_wait_xcnt 0x0
	s_or_b32 exec_lo, exec_lo, s17
	v_cmp_lt_u32_e64 s17, v67, v137
	s_and_saveexec_b32 s18, s17
	s_cbranch_execz .LBB419_1111
.LBB419_1183:                           ;   in Loop: Header=BB419_1040 Depth=2
	ds_load_u8 v62, v2 offset:768
	s_wait_dscnt 0x0
	v_and_b32_e32 v63, 0xff, v62
	v_xor_b32_e32 v62, 0x80, v62
	s_delay_alu instid0(VALU_DEP_2) | instskip(NEXT) | instid1(VALU_DEP_1)
	v_lshrrev_b32_e32 v63, s49, v63
	v_and_b32_e32 v63, s58, v63
	s_delay_alu instid0(VALU_DEP_1)
	v_lshlrev_b32_e32 v63, 2, v63
	ds_load_b32 v63, v63
	s_wait_dscnt 0x0
	v_add_nc_u32_e32 v63, v63, v67
	global_store_b8 v63, v62, s[40:41]
	s_wait_xcnt 0x0
	s_or_b32 exec_lo, exec_lo, s18
	v_cmp_lt_u32_e64 s18, v68, v137
	s_and_saveexec_b32 s19, s18
	s_cbranch_execz .LBB419_1112
.LBB419_1184:                           ;   in Loop: Header=BB419_1040 Depth=2
	ds_load_u8 v62, v2 offset:1024
	s_wait_dscnt 0x0
	v_and_b32_e32 v63, 0xff, v62
	v_xor_b32_e32 v62, 0x80, v62
	s_delay_alu instid0(VALU_DEP_2) | instskip(NEXT) | instid1(VALU_DEP_1)
	v_lshrrev_b32_e32 v63, s49, v63
	v_and_b32_e32 v63, s58, v63
	s_delay_alu instid0(VALU_DEP_1)
	v_lshlrev_b32_e32 v63, 2, v63
	ds_load_b32 v63, v63
	s_wait_dscnt 0x0
	v_add_nc_u32_e32 v63, v63, v68
	global_store_b8 v63, v62, s[40:41]
	s_wait_xcnt 0x0
	s_or_b32 exec_lo, exec_lo, s19
	v_cmp_lt_u32_e64 s19, v69, v137
	s_and_saveexec_b32 s20, s19
	s_cbranch_execz .LBB419_1113
.LBB419_1185:                           ;   in Loop: Header=BB419_1040 Depth=2
	ds_load_u8 v62, v2 offset:1280
	s_wait_dscnt 0x0
	v_and_b32_e32 v63, 0xff, v62
	v_xor_b32_e32 v62, 0x80, v62
	s_delay_alu instid0(VALU_DEP_2) | instskip(NEXT) | instid1(VALU_DEP_1)
	v_lshrrev_b32_e32 v63, s49, v63
	v_and_b32_e32 v63, s58, v63
	s_delay_alu instid0(VALU_DEP_1)
	v_lshlrev_b32_e32 v63, 2, v63
	ds_load_b32 v63, v63
	s_wait_dscnt 0x0
	v_add_nc_u32_e32 v63, v63, v69
	global_store_b8 v63, v62, s[40:41]
	s_wait_xcnt 0x0
	s_or_b32 exec_lo, exec_lo, s20
	v_cmp_lt_u32_e64 s20, v70, v137
	s_and_saveexec_b32 s21, s20
	s_cbranch_execz .LBB419_1114
.LBB419_1186:                           ;   in Loop: Header=BB419_1040 Depth=2
	ds_load_u8 v62, v2 offset:1536
	s_wait_dscnt 0x0
	v_and_b32_e32 v63, 0xff, v62
	v_xor_b32_e32 v62, 0x80, v62
	s_delay_alu instid0(VALU_DEP_2) | instskip(NEXT) | instid1(VALU_DEP_1)
	v_lshrrev_b32_e32 v63, s49, v63
	v_and_b32_e32 v63, s58, v63
	s_delay_alu instid0(VALU_DEP_1)
	v_lshlrev_b32_e32 v63, 2, v63
	ds_load_b32 v63, v63
	s_wait_dscnt 0x0
	v_add_nc_u32_e32 v63, v63, v70
	global_store_b8 v63, v62, s[40:41]
	s_wait_xcnt 0x0
	s_or_b32 exec_lo, exec_lo, s21
	v_cmp_lt_u32_e64 s21, v71, v137
	s_and_saveexec_b32 s22, s21
	s_cbranch_execz .LBB419_1115
.LBB419_1187:                           ;   in Loop: Header=BB419_1040 Depth=2
	ds_load_u8 v62, v2 offset:1792
	s_wait_dscnt 0x0
	v_and_b32_e32 v63, 0xff, v62
	v_xor_b32_e32 v62, 0x80, v62
	s_delay_alu instid0(VALU_DEP_2) | instskip(NEXT) | instid1(VALU_DEP_1)
	v_lshrrev_b32_e32 v63, s49, v63
	v_and_b32_e32 v63, s58, v63
	s_delay_alu instid0(VALU_DEP_1)
	v_lshlrev_b32_e32 v63, 2, v63
	ds_load_b32 v63, v63
	s_wait_dscnt 0x0
	v_add_nc_u32_e32 v63, v63, v71
	global_store_b8 v63, v62, s[40:41]
	s_wait_xcnt 0x0
	s_or_b32 exec_lo, exec_lo, s22
	v_cmp_lt_u32_e64 s22, v72, v137
	s_and_saveexec_b32 s23, s22
	s_cbranch_execz .LBB419_1116
.LBB419_1188:                           ;   in Loop: Header=BB419_1040 Depth=2
	ds_load_u8 v62, v2 offset:2048
	s_wait_dscnt 0x0
	v_and_b32_e32 v63, 0xff, v62
	v_xor_b32_e32 v62, 0x80, v62
	s_delay_alu instid0(VALU_DEP_2) | instskip(NEXT) | instid1(VALU_DEP_1)
	v_lshrrev_b32_e32 v63, s49, v63
	v_and_b32_e32 v63, s58, v63
	s_delay_alu instid0(VALU_DEP_1)
	v_lshlrev_b32_e32 v63, 2, v63
	ds_load_b32 v63, v63
	s_wait_dscnt 0x0
	v_add_nc_u32_e32 v63, v63, v72
	global_store_b8 v63, v62, s[40:41]
	s_wait_xcnt 0x0
	s_or_b32 exec_lo, exec_lo, s23
	v_cmp_lt_u32_e64 s23, v73, v137
	s_and_saveexec_b32 s24, s23
	s_cbranch_execz .LBB419_1117
.LBB419_1189:                           ;   in Loop: Header=BB419_1040 Depth=2
	ds_load_u8 v62, v2 offset:2304
	s_wait_dscnt 0x0
	v_and_b32_e32 v63, 0xff, v62
	v_xor_b32_e32 v62, 0x80, v62
	s_delay_alu instid0(VALU_DEP_2) | instskip(NEXT) | instid1(VALU_DEP_1)
	v_lshrrev_b32_e32 v63, s49, v63
	v_and_b32_e32 v63, s58, v63
	s_delay_alu instid0(VALU_DEP_1)
	v_lshlrev_b32_e32 v63, 2, v63
	ds_load_b32 v63, v63
	s_wait_dscnt 0x0
	v_add_nc_u32_e32 v63, v63, v73
	global_store_b8 v63, v62, s[40:41]
	s_wait_xcnt 0x0
	s_or_b32 exec_lo, exec_lo, s24
	v_cmp_lt_u32_e64 s24, v74, v137
	s_and_saveexec_b32 s25, s24
	s_cbranch_execz .LBB419_1118
.LBB419_1190:                           ;   in Loop: Header=BB419_1040 Depth=2
	ds_load_u8 v62, v2 offset:2560
	s_wait_dscnt 0x0
	v_and_b32_e32 v63, 0xff, v62
	v_xor_b32_e32 v62, 0x80, v62
	s_delay_alu instid0(VALU_DEP_2) | instskip(NEXT) | instid1(VALU_DEP_1)
	v_lshrrev_b32_e32 v63, s49, v63
	v_and_b32_e32 v63, s58, v63
	s_delay_alu instid0(VALU_DEP_1)
	v_lshlrev_b32_e32 v63, 2, v63
	ds_load_b32 v63, v63
	s_wait_dscnt 0x0
	v_add_nc_u32_e32 v63, v63, v74
	global_store_b8 v63, v62, s[40:41]
	s_wait_xcnt 0x0
	s_or_b32 exec_lo, exec_lo, s25
	v_cmp_lt_u32_e64 s25, v75, v137
	s_and_saveexec_b32 s26, s25
	s_cbranch_execz .LBB419_1119
.LBB419_1191:                           ;   in Loop: Header=BB419_1040 Depth=2
	ds_load_u8 v62, v2 offset:2816
	s_wait_dscnt 0x0
	v_and_b32_e32 v63, 0xff, v62
	v_xor_b32_e32 v62, 0x80, v62
	s_delay_alu instid0(VALU_DEP_2) | instskip(NEXT) | instid1(VALU_DEP_1)
	v_lshrrev_b32_e32 v63, s49, v63
	v_and_b32_e32 v63, s58, v63
	s_delay_alu instid0(VALU_DEP_1)
	v_lshlrev_b32_e32 v63, 2, v63
	ds_load_b32 v63, v63
	s_wait_dscnt 0x0
	v_add_nc_u32_e32 v63, v63, v75
	global_store_b8 v63, v62, s[40:41]
	s_wait_xcnt 0x0
	s_or_b32 exec_lo, exec_lo, s26
	v_cmp_lt_u32_e64 s26, v76, v137
	s_and_saveexec_b32 s27, s26
	s_cbranch_execz .LBB419_1120
.LBB419_1192:                           ;   in Loop: Header=BB419_1040 Depth=2
	ds_load_u8 v62, v2 offset:3072
	s_wait_dscnt 0x0
	v_and_b32_e32 v63, 0xff, v62
	v_xor_b32_e32 v62, 0x80, v62
	s_delay_alu instid0(VALU_DEP_2) | instskip(NEXT) | instid1(VALU_DEP_1)
	v_lshrrev_b32_e32 v63, s49, v63
	v_and_b32_e32 v63, s58, v63
	s_delay_alu instid0(VALU_DEP_1)
	v_lshlrev_b32_e32 v63, 2, v63
	ds_load_b32 v63, v63
	s_wait_dscnt 0x0
	v_add_nc_u32_e32 v63, v63, v76
	global_store_b8 v63, v62, s[40:41]
	s_wait_xcnt 0x0
	s_or_b32 exec_lo, exec_lo, s27
	v_cmp_lt_u32_e64 s27, v77, v137
	s_and_saveexec_b32 s28, s27
	s_cbranch_execz .LBB419_1121
.LBB419_1193:                           ;   in Loop: Header=BB419_1040 Depth=2
	ds_load_u8 v62, v2 offset:3328
	s_wait_dscnt 0x0
	v_and_b32_e32 v63, 0xff, v62
	v_xor_b32_e32 v62, 0x80, v62
	s_delay_alu instid0(VALU_DEP_2) | instskip(NEXT) | instid1(VALU_DEP_1)
	v_lshrrev_b32_e32 v63, s49, v63
	v_and_b32_e32 v63, s58, v63
	s_delay_alu instid0(VALU_DEP_1)
	v_lshlrev_b32_e32 v63, 2, v63
	ds_load_b32 v63, v63
	s_wait_dscnt 0x0
	v_add_nc_u32_e32 v63, v63, v77
	global_store_b8 v63, v62, s[40:41]
	s_wait_xcnt 0x0
	s_or_b32 exec_lo, exec_lo, s28
	v_cmp_lt_u32_e64 s28, v78, v137
	s_and_saveexec_b32 s29, s28
	s_cbranch_execz .LBB419_1122
.LBB419_1194:                           ;   in Loop: Header=BB419_1040 Depth=2
	ds_load_u8 v62, v2 offset:3584
	s_wait_dscnt 0x0
	v_and_b32_e32 v63, 0xff, v62
	v_xor_b32_e32 v62, 0x80, v62
	s_delay_alu instid0(VALU_DEP_2) | instskip(NEXT) | instid1(VALU_DEP_1)
	v_lshrrev_b32_e32 v63, s49, v63
	v_and_b32_e32 v63, s58, v63
	s_delay_alu instid0(VALU_DEP_1)
	v_lshlrev_b32_e32 v63, 2, v63
	ds_load_b32 v63, v63
	s_wait_dscnt 0x0
	v_add_nc_u32_e32 v63, v63, v78
	global_store_b8 v63, v62, s[40:41]
	s_wait_xcnt 0x0
	s_or_b32 exec_lo, exec_lo, s29
	v_cmp_lt_u32_e64 s29, v79, v137
	s_and_saveexec_b32 s30, s29
	s_cbranch_execz .LBB419_1123
.LBB419_1195:                           ;   in Loop: Header=BB419_1040 Depth=2
	ds_load_u8 v62, v2 offset:3840
	s_wait_dscnt 0x0
	v_and_b32_e32 v63, 0xff, v62
	v_xor_b32_e32 v62, 0x80, v62
	s_delay_alu instid0(VALU_DEP_2) | instskip(NEXT) | instid1(VALU_DEP_1)
	v_lshrrev_b32_e32 v63, s49, v63
	v_and_b32_e32 v63, s58, v63
	s_delay_alu instid0(VALU_DEP_1)
	v_lshlrev_b32_e32 v63, 2, v63
	ds_load_b32 v63, v63
	s_wait_dscnt 0x0
	v_add_nc_u32_e32 v63, v63, v79
	global_store_b8 v63, v62, s[40:41]
	s_wait_xcnt 0x0
	s_or_b32 exec_lo, exec_lo, s30
	v_cmp_lt_u32_e64 s30, v80, v137
	s_and_saveexec_b32 s31, s30
	s_cbranch_execz .LBB419_1124
.LBB419_1196:                           ;   in Loop: Header=BB419_1040 Depth=2
	ds_load_u8 v62, v2 offset:4096
	s_wait_dscnt 0x0
	v_and_b32_e32 v63, 0xff, v62
	v_xor_b32_e32 v62, 0x80, v62
	s_delay_alu instid0(VALU_DEP_2) | instskip(NEXT) | instid1(VALU_DEP_1)
	v_lshrrev_b32_e32 v63, s49, v63
	v_and_b32_e32 v63, s58, v63
	s_delay_alu instid0(VALU_DEP_1)
	v_lshlrev_b32_e32 v63, 2, v63
	ds_load_b32 v63, v63
	s_wait_dscnt 0x0
	v_add_nc_u32_e32 v63, v63, v80
	global_store_b8 v63, v62, s[40:41]
	s_wait_xcnt 0x0
	s_or_b32 exec_lo, exec_lo, s31
	v_cmp_lt_u32_e64 s31, v81, v137
	s_and_saveexec_b32 s33, s31
	s_cbranch_execz .LBB419_1125
.LBB419_1197:                           ;   in Loop: Header=BB419_1040 Depth=2
	ds_load_u8 v62, v2 offset:4352
	s_wait_dscnt 0x0
	v_and_b32_e32 v63, 0xff, v62
	v_xor_b32_e32 v62, 0x80, v62
	s_delay_alu instid0(VALU_DEP_2) | instskip(NEXT) | instid1(VALU_DEP_1)
	v_lshrrev_b32_e32 v63, s49, v63
	v_and_b32_e32 v63, s58, v63
	s_delay_alu instid0(VALU_DEP_1)
	v_lshlrev_b32_e32 v63, 2, v63
	ds_load_b32 v63, v63
	s_wait_dscnt 0x0
	v_add_nc_u32_e32 v63, v63, v81
	global_store_b8 v63, v62, s[40:41]
	s_wait_xcnt 0x0
	s_or_b32 exec_lo, exec_lo, s33
	v_cmp_lt_u32_e64 s33, v82, v137
	s_and_saveexec_b32 s61, s33
	s_cbranch_execnz .LBB419_1126
	s_branch .LBB419_1127
.LBB419_1198:                           ;   in Loop: Header=BB419_1040 Depth=2
	global_load_b64 v[60:61], v[62:63], off
	s_wait_xcnt 0x0
	s_or_b32 exec_lo, exec_lo, s34
	s_delay_alu instid0(SALU_CYCLE_1)
	s_mov_b32 s61, exec_lo
	v_cmpx_lt_u32_e64 v98, v137
	s_cbranch_execz .LBB419_1129
.LBB419_1199:                           ;   in Loop: Header=BB419_1040 Depth=2
	global_load_b64 v[58:59], v[62:63], off offset:256
	s_wait_xcnt 0x0
	s_or_b32 exec_lo, exec_lo, s61
	s_delay_alu instid0(SALU_CYCLE_1)
	s_mov_b32 s61, exec_lo
	v_cmpx_lt_u32_e64 v99, v137
	s_cbranch_execz .LBB419_1130
.LBB419_1200:                           ;   in Loop: Header=BB419_1040 Depth=2
	global_load_b64 v[56:57], v[62:63], off offset:512
	s_wait_xcnt 0x0
	s_or_b32 exec_lo, exec_lo, s61
	s_delay_alu instid0(SALU_CYCLE_1)
	s_mov_b32 s61, exec_lo
	v_cmpx_lt_u32_e64 v100, v137
	s_cbranch_execz .LBB419_1131
.LBB419_1201:                           ;   in Loop: Header=BB419_1040 Depth=2
	global_load_b64 v[54:55], v[62:63], off offset:768
	s_wait_xcnt 0x0
	s_or_b32 exec_lo, exec_lo, s61
	s_delay_alu instid0(SALU_CYCLE_1)
	s_mov_b32 s61, exec_lo
	v_cmpx_lt_u32_e64 v101, v137
	s_cbranch_execz .LBB419_1132
.LBB419_1202:                           ;   in Loop: Header=BB419_1040 Depth=2
	global_load_b64 v[52:53], v[62:63], off offset:1024
	s_wait_xcnt 0x0
	s_or_b32 exec_lo, exec_lo, s61
	s_delay_alu instid0(SALU_CYCLE_1)
	s_mov_b32 s61, exec_lo
	v_cmpx_lt_u32_e64 v102, v137
	s_cbranch_execz .LBB419_1133
.LBB419_1203:                           ;   in Loop: Header=BB419_1040 Depth=2
	global_load_b64 v[50:51], v[62:63], off offset:1280
	s_wait_xcnt 0x0
	s_or_b32 exec_lo, exec_lo, s61
	s_delay_alu instid0(SALU_CYCLE_1)
	s_mov_b32 s61, exec_lo
	v_cmpx_lt_u32_e64 v103, v137
	s_cbranch_execz .LBB419_1134
.LBB419_1204:                           ;   in Loop: Header=BB419_1040 Depth=2
	global_load_b64 v[48:49], v[62:63], off offset:1536
	s_wait_xcnt 0x0
	s_or_b32 exec_lo, exec_lo, s61
	s_delay_alu instid0(SALU_CYCLE_1)
	s_mov_b32 s61, exec_lo
	v_cmpx_lt_u32_e64 v104, v137
	s_cbranch_execz .LBB419_1135
.LBB419_1205:                           ;   in Loop: Header=BB419_1040 Depth=2
	global_load_b64 v[46:47], v[62:63], off offset:1792
	s_wait_xcnt 0x0
	s_or_b32 exec_lo, exec_lo, s61
	s_delay_alu instid0(SALU_CYCLE_1)
	s_mov_b32 s61, exec_lo
	v_cmpx_lt_u32_e64 v105, v137
	s_cbranch_execz .LBB419_1136
.LBB419_1206:                           ;   in Loop: Header=BB419_1040 Depth=2
	global_load_b64 v[44:45], v[62:63], off offset:2048
	s_wait_xcnt 0x0
	s_or_b32 exec_lo, exec_lo, s61
	s_delay_alu instid0(SALU_CYCLE_1)
	s_mov_b32 s61, exec_lo
	v_cmpx_lt_u32_e64 v106, v137
	s_cbranch_execz .LBB419_1137
.LBB419_1207:                           ;   in Loop: Header=BB419_1040 Depth=2
	global_load_b64 v[42:43], v[62:63], off offset:2304
	s_wait_xcnt 0x0
	s_or_b32 exec_lo, exec_lo, s61
	s_delay_alu instid0(SALU_CYCLE_1)
	s_mov_b32 s61, exec_lo
	v_cmpx_lt_u32_e64 v107, v137
	s_cbranch_execz .LBB419_1138
.LBB419_1208:                           ;   in Loop: Header=BB419_1040 Depth=2
	global_load_b64 v[40:41], v[62:63], off offset:2560
	s_wait_xcnt 0x0
	s_or_b32 exec_lo, exec_lo, s61
	s_delay_alu instid0(SALU_CYCLE_1)
	s_mov_b32 s61, exec_lo
	v_cmpx_lt_u32_e64 v108, v137
	s_cbranch_execz .LBB419_1139
.LBB419_1209:                           ;   in Loop: Header=BB419_1040 Depth=2
	global_load_b64 v[38:39], v[62:63], off offset:2816
	s_wait_xcnt 0x0
	s_or_b32 exec_lo, exec_lo, s61
	s_delay_alu instid0(SALU_CYCLE_1)
	s_mov_b32 s61, exec_lo
	v_cmpx_lt_u32_e64 v109, v137
	s_cbranch_execz .LBB419_1140
.LBB419_1210:                           ;   in Loop: Header=BB419_1040 Depth=2
	global_load_b64 v[36:37], v[62:63], off offset:3072
	s_wait_xcnt 0x0
	s_or_b32 exec_lo, exec_lo, s61
	s_delay_alu instid0(SALU_CYCLE_1)
	s_mov_b32 s61, exec_lo
	v_cmpx_lt_u32_e64 v110, v137
	s_cbranch_execz .LBB419_1141
.LBB419_1211:                           ;   in Loop: Header=BB419_1040 Depth=2
	global_load_b64 v[34:35], v[62:63], off offset:3328
	s_wait_xcnt 0x0
	s_or_b32 exec_lo, exec_lo, s61
	s_delay_alu instid0(SALU_CYCLE_1)
	s_mov_b32 s61, exec_lo
	v_cmpx_lt_u32_e64 v111, v137
	s_cbranch_execz .LBB419_1142
.LBB419_1212:                           ;   in Loop: Header=BB419_1040 Depth=2
	global_load_b64 v[32:33], v[62:63], off offset:3584
	s_wait_xcnt 0x0
	s_or_b32 exec_lo, exec_lo, s61
	s_delay_alu instid0(SALU_CYCLE_1)
	s_mov_b32 s61, exec_lo
	v_cmpx_lt_u32_e64 v112, v137
	s_cbranch_execz .LBB419_1143
.LBB419_1213:                           ;   in Loop: Header=BB419_1040 Depth=2
	global_load_b64 v[30:31], v[62:63], off offset:3840
	s_wait_xcnt 0x0
	s_or_b32 exec_lo, exec_lo, s61
	s_delay_alu instid0(SALU_CYCLE_1)
	s_mov_b32 s61, exec_lo
	v_cmpx_lt_u32_e64 v113, v137
	s_cbranch_execz .LBB419_1144
.LBB419_1214:                           ;   in Loop: Header=BB419_1040 Depth=2
	global_load_b64 v[28:29], v[62:63], off offset:4096
	s_wait_xcnt 0x0
	s_or_b32 exec_lo, exec_lo, s61
	s_and_saveexec_b32 s34, vcc_lo
	s_cbranch_execz .LBB419_1145
.LBB419_1215:                           ;   in Loop: Header=BB419_1040 Depth=2
	ds_load_u8 v62, v2 offset:512
	s_wait_dscnt 0x0
	v_lshrrev_b32_e32 v62, s49, v62
	s_delay_alu instid0(VALU_DEP_1)
	v_and_b32_e32 v132, s58, v62
	s_or_b32 exec_lo, exec_lo, s34
	s_and_saveexec_b32 s34, s17
	s_cbranch_execz .LBB419_1146
.LBB419_1216:                           ;   in Loop: Header=BB419_1040 Depth=2
	ds_load_u8 v62, v2 offset:768
	s_wait_dscnt 0x0
	v_lshrrev_b32_e32 v62, s49, v62
	s_delay_alu instid0(VALU_DEP_1)
	v_and_b32_e32 v131, s58, v62
	s_or_b32 exec_lo, exec_lo, s34
	s_and_saveexec_b32 s34, s18
	s_cbranch_execz .LBB419_1147
.LBB419_1217:                           ;   in Loop: Header=BB419_1040 Depth=2
	ds_load_u8 v62, v2 offset:1024
	s_wait_dscnt 0x0
	v_lshrrev_b32_e32 v62, s49, v62
	s_delay_alu instid0(VALU_DEP_1)
	v_and_b32_e32 v130, s58, v62
	s_or_b32 exec_lo, exec_lo, s34
	s_and_saveexec_b32 s34, s19
	s_cbranch_execz .LBB419_1148
.LBB419_1218:                           ;   in Loop: Header=BB419_1040 Depth=2
	ds_load_u8 v62, v2 offset:1280
	s_wait_dscnt 0x0
	v_lshrrev_b32_e32 v62, s49, v62
	s_delay_alu instid0(VALU_DEP_1)
	v_and_b32_e32 v129, s58, v62
	s_or_b32 exec_lo, exec_lo, s34
	s_and_saveexec_b32 s34, s20
	s_cbranch_execz .LBB419_1149
.LBB419_1219:                           ;   in Loop: Header=BB419_1040 Depth=2
	ds_load_u8 v62, v2 offset:1536
	s_wait_dscnt 0x0
	v_lshrrev_b32_e32 v62, s49, v62
	s_delay_alu instid0(VALU_DEP_1)
	v_and_b32_e32 v128, s58, v62
	s_or_b32 exec_lo, exec_lo, s34
	s_and_saveexec_b32 s34, s21
	s_cbranch_execz .LBB419_1150
.LBB419_1220:                           ;   in Loop: Header=BB419_1040 Depth=2
	ds_load_u8 v62, v2 offset:1792
	s_wait_dscnt 0x0
	v_lshrrev_b32_e32 v62, s49, v62
	s_delay_alu instid0(VALU_DEP_1)
	v_and_b32_e32 v127, s58, v62
	s_or_b32 exec_lo, exec_lo, s34
	s_and_saveexec_b32 s34, s22
	s_cbranch_execz .LBB419_1151
.LBB419_1221:                           ;   in Loop: Header=BB419_1040 Depth=2
	ds_load_u8 v62, v2 offset:2048
	s_wait_dscnt 0x0
	v_lshrrev_b32_e32 v62, s49, v62
	s_delay_alu instid0(VALU_DEP_1)
	v_and_b32_e32 v126, s58, v62
	s_or_b32 exec_lo, exec_lo, s34
	s_and_saveexec_b32 s34, s23
	s_cbranch_execz .LBB419_1152
.LBB419_1222:                           ;   in Loop: Header=BB419_1040 Depth=2
	ds_load_u8 v62, v2 offset:2304
	s_wait_dscnt 0x0
	v_lshrrev_b32_e32 v62, s49, v62
	s_delay_alu instid0(VALU_DEP_1)
	v_and_b32_e32 v125, s58, v62
	s_or_b32 exec_lo, exec_lo, s34
	s_and_saveexec_b32 s34, s24
	s_cbranch_execz .LBB419_1153
.LBB419_1223:                           ;   in Loop: Header=BB419_1040 Depth=2
	ds_load_u8 v62, v2 offset:2560
	s_wait_dscnt 0x0
	v_lshrrev_b32_e32 v62, s49, v62
	s_delay_alu instid0(VALU_DEP_1)
	v_and_b32_e32 v124, s58, v62
	s_or_b32 exec_lo, exec_lo, s34
	s_and_saveexec_b32 s34, s25
	s_cbranch_execz .LBB419_1154
.LBB419_1224:                           ;   in Loop: Header=BB419_1040 Depth=2
	ds_load_u8 v62, v2 offset:2816
	s_wait_dscnt 0x0
	v_lshrrev_b32_e32 v62, s49, v62
	s_delay_alu instid0(VALU_DEP_1)
	v_and_b32_e32 v123, s58, v62
	s_or_b32 exec_lo, exec_lo, s34
	s_and_saveexec_b32 s34, s26
	s_cbranch_execz .LBB419_1155
.LBB419_1225:                           ;   in Loop: Header=BB419_1040 Depth=2
	ds_load_u8 v62, v2 offset:3072
	s_wait_dscnt 0x0
	v_lshrrev_b32_e32 v62, s49, v62
	s_delay_alu instid0(VALU_DEP_1)
	v_and_b32_e32 v122, s58, v62
	s_or_b32 exec_lo, exec_lo, s34
	s_and_saveexec_b32 s34, s27
	s_cbranch_execz .LBB419_1156
.LBB419_1226:                           ;   in Loop: Header=BB419_1040 Depth=2
	ds_load_u8 v62, v2 offset:3328
	s_wait_dscnt 0x0
	v_lshrrev_b32_e32 v62, s49, v62
	s_delay_alu instid0(VALU_DEP_1)
	v_and_b32_e32 v121, s58, v62
	s_or_b32 exec_lo, exec_lo, s34
	s_and_saveexec_b32 s34, s28
	s_cbranch_execz .LBB419_1157
.LBB419_1227:                           ;   in Loop: Header=BB419_1040 Depth=2
	ds_load_u8 v62, v2 offset:3584
	s_wait_dscnt 0x0
	v_lshrrev_b32_e32 v62, s49, v62
	s_delay_alu instid0(VALU_DEP_1)
	v_and_b32_e32 v120, s58, v62
	s_or_b32 exec_lo, exec_lo, s34
	s_and_saveexec_b32 s34, s29
	s_cbranch_execz .LBB419_1158
.LBB419_1228:                           ;   in Loop: Header=BB419_1040 Depth=2
	ds_load_u8 v62, v2 offset:3840
	s_wait_dscnt 0x0
	v_lshrrev_b32_e32 v62, s49, v62
	s_delay_alu instid0(VALU_DEP_1)
	v_and_b32_e32 v119, s58, v62
	s_or_b32 exec_lo, exec_lo, s34
	s_and_saveexec_b32 s34, s30
	s_cbranch_execz .LBB419_1159
.LBB419_1229:                           ;   in Loop: Header=BB419_1040 Depth=2
	ds_load_u8 v62, v2 offset:4096
	s_wait_dscnt 0x0
	v_lshrrev_b32_e32 v62, s49, v62
	s_delay_alu instid0(VALU_DEP_1)
	v_and_b32_e32 v118, s58, v62
	s_or_b32 exec_lo, exec_lo, s34
	s_and_saveexec_b32 s34, s31
	s_cbranch_execz .LBB419_1160
.LBB419_1230:                           ;   in Loop: Header=BB419_1040 Depth=2
	ds_load_u8 v62, v2 offset:4352
	s_wait_dscnt 0x0
	v_lshrrev_b32_e32 v62, s49, v62
	s_delay_alu instid0(VALU_DEP_1)
	v_and_b32_e32 v117, s58, v62
	s_or_b32 exec_lo, exec_lo, s34
	s_and_saveexec_b32 s34, s33
	s_cbranch_execnz .LBB419_1161
	s_branch .LBB419_1162
.LBB419_1231:                           ;   in Loop: Header=BB419_1040 Depth=2
	v_lshlrev_b32_e32 v63, 2, v132
	ds_load_b32 v63, v63
	ds_load_b64 v[64:65], v62 offset:512
	s_wait_dscnt 0x1
	v_add_nc_u32_e32 v63, v63, v2
	s_wait_dscnt 0x0
	global_store_b64 v63, v[64:65], s[46:47] scale_offset
	s_wait_xcnt 0x0
	s_or_b32 exec_lo, exec_lo, s34
	s_and_saveexec_b32 s34, s17
	s_cbranch_execz .LBB419_1164
.LBB419_1232:                           ;   in Loop: Header=BB419_1040 Depth=2
	v_lshlrev_b32_e32 v63, 2, v131
	ds_load_b32 v63, v63
	ds_load_b64 v[64:65], v62 offset:2560
	s_wait_dscnt 0x1
	v_add_nc_u32_e32 v63, v63, v67
	s_wait_dscnt 0x0
	global_store_b64 v63, v[64:65], s[46:47] scale_offset
	s_wait_xcnt 0x0
	s_or_b32 exec_lo, exec_lo, s34
	s_and_saveexec_b32 s17, s18
	s_cbranch_execz .LBB419_1165
.LBB419_1233:                           ;   in Loop: Header=BB419_1040 Depth=2
	v_lshlrev_b32_e32 v63, 2, v130
	ds_load_b32 v63, v63
	ds_load_b64 v[64:65], v62 offset:4608
	s_wait_dscnt 0x1
	v_add_nc_u32_e32 v63, v63, v68
	s_wait_dscnt 0x0
	global_store_b64 v63, v[64:65], s[46:47] scale_offset
	s_wait_xcnt 0x0
	s_or_b32 exec_lo, exec_lo, s17
	s_and_saveexec_b32 s17, s19
	s_cbranch_execz .LBB419_1166
.LBB419_1234:                           ;   in Loop: Header=BB419_1040 Depth=2
	v_lshlrev_b32_e32 v63, 2, v129
	ds_load_b32 v63, v63
	ds_load_b64 v[64:65], v62 offset:6656
	s_wait_dscnt 0x1
	v_add_nc_u32_e32 v63, v63, v69
	s_wait_dscnt 0x0
	global_store_b64 v63, v[64:65], s[46:47] scale_offset
	s_wait_xcnt 0x0
	s_or_b32 exec_lo, exec_lo, s17
	s_and_saveexec_b32 s17, s20
	s_cbranch_execz .LBB419_1167
.LBB419_1235:                           ;   in Loop: Header=BB419_1040 Depth=2
	v_lshlrev_b32_e32 v63, 2, v128
	ds_load_b32 v63, v63
	ds_load_b64 v[64:65], v62 offset:8704
	s_wait_dscnt 0x1
	v_add_nc_u32_e32 v63, v63, v70
	s_wait_dscnt 0x0
	global_store_b64 v63, v[64:65], s[46:47] scale_offset
	s_wait_xcnt 0x0
	s_or_b32 exec_lo, exec_lo, s17
	s_and_saveexec_b32 s17, s21
	s_cbranch_execz .LBB419_1168
.LBB419_1236:                           ;   in Loop: Header=BB419_1040 Depth=2
	v_lshlrev_b32_e32 v63, 2, v127
	ds_load_b32 v63, v63
	ds_load_b64 v[64:65], v62 offset:10752
	s_wait_dscnt 0x1
	v_add_nc_u32_e32 v63, v63, v71
	s_wait_dscnt 0x0
	global_store_b64 v63, v[64:65], s[46:47] scale_offset
	s_wait_xcnt 0x0
	s_or_b32 exec_lo, exec_lo, s17
	s_and_saveexec_b32 s17, s22
	s_cbranch_execz .LBB419_1169
.LBB419_1237:                           ;   in Loop: Header=BB419_1040 Depth=2
	v_lshlrev_b32_e32 v63, 2, v126
	ds_load_b32 v63, v63
	ds_load_b64 v[64:65], v62 offset:12800
	s_wait_dscnt 0x1
	v_add_nc_u32_e32 v63, v63, v72
	s_wait_dscnt 0x0
	global_store_b64 v63, v[64:65], s[46:47] scale_offset
	s_wait_xcnt 0x0
	s_or_b32 exec_lo, exec_lo, s17
	s_and_saveexec_b32 s17, s23
	s_cbranch_execz .LBB419_1170
.LBB419_1238:                           ;   in Loop: Header=BB419_1040 Depth=2
	v_lshlrev_b32_e32 v63, 2, v125
	ds_load_b32 v63, v63
	ds_load_b64 v[64:65], v62 offset:14848
	s_wait_dscnt 0x1
	v_add_nc_u32_e32 v63, v63, v73
	s_wait_dscnt 0x0
	global_store_b64 v63, v[64:65], s[46:47] scale_offset
	s_wait_xcnt 0x0
	s_or_b32 exec_lo, exec_lo, s17
	s_and_saveexec_b32 s17, s24
	s_cbranch_execz .LBB419_1171
.LBB419_1239:                           ;   in Loop: Header=BB419_1040 Depth=2
	v_lshlrev_b32_e32 v63, 2, v124
	ds_load_b32 v63, v63
	ds_load_b64 v[64:65], v62 offset:16896
	s_wait_dscnt 0x1
	v_add_nc_u32_e32 v63, v63, v74
	s_wait_dscnt 0x0
	global_store_b64 v63, v[64:65], s[46:47] scale_offset
	s_wait_xcnt 0x0
	s_or_b32 exec_lo, exec_lo, s17
	s_and_saveexec_b32 s17, s25
	s_cbranch_execz .LBB419_1172
.LBB419_1240:                           ;   in Loop: Header=BB419_1040 Depth=2
	v_lshlrev_b32_e32 v63, 2, v123
	ds_load_b32 v63, v63
	ds_load_b64 v[64:65], v62 offset:18944
	s_wait_dscnt 0x1
	v_add_nc_u32_e32 v63, v63, v75
	s_wait_dscnt 0x0
	global_store_b64 v63, v[64:65], s[46:47] scale_offset
	s_wait_xcnt 0x0
	s_or_b32 exec_lo, exec_lo, s17
	s_and_saveexec_b32 s17, s26
	s_cbranch_execz .LBB419_1173
.LBB419_1241:                           ;   in Loop: Header=BB419_1040 Depth=2
	v_lshlrev_b32_e32 v63, 2, v122
	ds_load_b32 v63, v63
	ds_load_b64 v[64:65], v62 offset:20992
	s_wait_dscnt 0x1
	v_add_nc_u32_e32 v63, v63, v76
	s_wait_dscnt 0x0
	global_store_b64 v63, v[64:65], s[46:47] scale_offset
	s_wait_xcnt 0x0
	s_or_b32 exec_lo, exec_lo, s17
	s_and_saveexec_b32 s17, s27
	s_cbranch_execz .LBB419_1174
.LBB419_1242:                           ;   in Loop: Header=BB419_1040 Depth=2
	v_lshlrev_b32_e32 v63, 2, v121
	ds_load_b32 v63, v63
	ds_load_b64 v[64:65], v62 offset:23040
	s_wait_dscnt 0x1
	v_add_nc_u32_e32 v63, v63, v77
	s_wait_dscnt 0x0
	global_store_b64 v63, v[64:65], s[46:47] scale_offset
	s_wait_xcnt 0x0
	s_or_b32 exec_lo, exec_lo, s17
	s_and_saveexec_b32 s17, s28
	s_cbranch_execz .LBB419_1175
.LBB419_1243:                           ;   in Loop: Header=BB419_1040 Depth=2
	v_lshlrev_b32_e32 v63, 2, v120
	ds_load_b32 v63, v63
	ds_load_b64 v[64:65], v62 offset:25088
	s_wait_dscnt 0x1
	v_add_nc_u32_e32 v63, v63, v78
	s_wait_dscnt 0x0
	global_store_b64 v63, v[64:65], s[46:47] scale_offset
	s_wait_xcnt 0x0
	s_or_b32 exec_lo, exec_lo, s17
	s_and_saveexec_b32 s17, s29
	s_cbranch_execz .LBB419_1176
.LBB419_1244:                           ;   in Loop: Header=BB419_1040 Depth=2
	v_lshlrev_b32_e32 v63, 2, v119
	ds_load_b32 v63, v63
	ds_load_b64 v[64:65], v62 offset:27136
	s_wait_dscnt 0x1
	v_add_nc_u32_e32 v63, v63, v79
	s_wait_dscnt 0x0
	global_store_b64 v63, v[64:65], s[46:47] scale_offset
	s_wait_xcnt 0x0
	s_or_b32 exec_lo, exec_lo, s17
	s_and_saveexec_b32 s17, s30
	s_cbranch_execz .LBB419_1177
.LBB419_1245:                           ;   in Loop: Header=BB419_1040 Depth=2
	v_lshlrev_b32_e32 v63, 2, v118
	ds_load_b32 v63, v63
	ds_load_b64 v[64:65], v62 offset:29184
	s_wait_dscnt 0x1
	v_add_nc_u32_e32 v63, v63, v80
	s_wait_dscnt 0x0
	global_store_b64 v63, v[64:65], s[46:47] scale_offset
	s_wait_xcnt 0x0
	s_or_b32 exec_lo, exec_lo, s17
	s_and_saveexec_b32 s17, s31
	s_cbranch_execz .LBB419_1178
.LBB419_1246:                           ;   in Loop: Header=BB419_1040 Depth=2
	v_lshlrev_b32_e32 v63, 2, v117
	ds_load_b32 v63, v63
	ds_load_b64 v[64:65], v62 offset:31232
	s_wait_dscnt 0x1
	v_add_nc_u32_e32 v63, v63, v81
	s_wait_dscnt 0x0
	global_store_b64 v63, v[64:65], s[46:47] scale_offset
	s_wait_xcnt 0x0
	s_or_b32 exec_lo, exec_lo, s17
	s_and_saveexec_b32 s17, s33
	s_cbranch_execnz .LBB419_1179
	s_branch .LBB419_1180
.LBB419_1247:                           ;   in Loop: Header=BB419_1040 Depth=2
	global_load_u8 v147, v[62:63], off
	v_dual_mov_b32 v115, 0x7f :: v_dual_mov_b32 v150, 0x7f
	v_dual_mov_b32 v148, 0x7f :: v_dual_mov_b32 v151, 0x7f
	;; [unrolled: 1-line block ×8, first 2 shown]
	s_wait_xcnt 0x0
	s_or_b32 exec_lo, exec_lo, s17
	s_delay_alu instid0(SALU_CYCLE_1)
	s_mov_b32 s17, exec_lo
	v_cmpx_gt_u32_e64 s59, v98
	s_cbranch_execz .LBB419_1045
.LBB419_1248:                           ;   in Loop: Header=BB419_1040 Depth=2
	global_load_u8 v150, v[62:63], off offset:32
	s_wait_xcnt 0x0
	s_or_b32 exec_lo, exec_lo, s17
	s_delay_alu instid0(SALU_CYCLE_1)
	s_mov_b32 s17, exec_lo
	v_cmpx_gt_u32_e64 s59, v99
	s_cbranch_execz .LBB419_1046
.LBB419_1249:                           ;   in Loop: Header=BB419_1040 Depth=2
	global_load_u8 v148, v[62:63], off offset:64
	s_wait_xcnt 0x0
	s_or_b32 exec_lo, exec_lo, s17
	s_delay_alu instid0(SALU_CYCLE_1)
	s_mov_b32 s17, exec_lo
	v_cmpx_gt_u32_e64 s59, v100
	s_cbranch_execz .LBB419_1047
.LBB419_1250:                           ;   in Loop: Header=BB419_1040 Depth=2
	global_load_u8 v151, v[62:63], off offset:96
	s_wait_xcnt 0x0
	s_or_b32 exec_lo, exec_lo, s17
	s_delay_alu instid0(SALU_CYCLE_1)
	s_mov_b32 s17, exec_lo
	v_cmpx_gt_u32_e64 s59, v101
	s_cbranch_execz .LBB419_1048
.LBB419_1251:                           ;   in Loop: Header=BB419_1040 Depth=2
	global_load_u8 v142, v[62:63], off offset:128
	s_wait_xcnt 0x0
	s_or_b32 exec_lo, exec_lo, s17
	s_delay_alu instid0(SALU_CYCLE_1)
	s_mov_b32 s17, exec_lo
	v_cmpx_gt_u32_e64 s59, v102
	s_cbranch_execz .LBB419_1049
.LBB419_1252:                           ;   in Loop: Header=BB419_1040 Depth=2
	global_load_u8 v145, v[62:63], off offset:160
	s_wait_xcnt 0x0
	s_or_b32 exec_lo, exec_lo, s17
	s_delay_alu instid0(SALU_CYCLE_1)
	s_mov_b32 s17, exec_lo
	v_cmpx_gt_u32_e64 s59, v103
	s_cbranch_execz .LBB419_1050
.LBB419_1253:                           ;   in Loop: Header=BB419_1040 Depth=2
	global_load_u8 v143, v[62:63], off offset:192
	s_wait_xcnt 0x0
	s_or_b32 exec_lo, exec_lo, s17
	s_delay_alu instid0(SALU_CYCLE_1)
	s_mov_b32 s17, exec_lo
	v_cmpx_gt_u32_e64 s59, v104
	s_cbranch_execz .LBB419_1051
.LBB419_1254:                           ;   in Loop: Header=BB419_1040 Depth=2
	global_load_u8 v144, v[62:63], off offset:224
	s_wait_xcnt 0x0
	s_or_b32 exec_lo, exec_lo, s17
	s_delay_alu instid0(SALU_CYCLE_1)
	s_mov_b32 s17, exec_lo
	v_cmpx_gt_u32_e64 s59, v105
	s_cbranch_execz .LBB419_1052
.LBB419_1255:                           ;   in Loop: Header=BB419_1040 Depth=2
	global_load_u8 v138, v[62:63], off offset:256
	s_wait_xcnt 0x0
	s_or_b32 exec_lo, exec_lo, s17
	s_delay_alu instid0(SALU_CYCLE_1)
	s_mov_b32 s17, exec_lo
	v_cmpx_gt_u32_e64 s59, v106
	s_cbranch_execz .LBB419_1053
.LBB419_1256:                           ;   in Loop: Header=BB419_1040 Depth=2
	global_load_u8 v141, v[62:63], off offset:288
	s_wait_xcnt 0x0
	s_or_b32 exec_lo, exec_lo, s17
	s_delay_alu instid0(SALU_CYCLE_1)
	s_mov_b32 s17, exec_lo
	v_cmpx_gt_u32_e64 s59, v107
	s_cbranch_execz .LBB419_1054
.LBB419_1257:                           ;   in Loop: Header=BB419_1040 Depth=2
	global_load_u8 v139, v[62:63], off offset:320
	s_wait_xcnt 0x0
	s_or_b32 exec_lo, exec_lo, s17
	s_delay_alu instid0(SALU_CYCLE_1)
	s_mov_b32 s17, exec_lo
	v_cmpx_gt_u32_e64 s59, v108
	s_cbranch_execz .LBB419_1055
.LBB419_1258:                           ;   in Loop: Header=BB419_1040 Depth=2
	global_load_u8 v140, v[62:63], off offset:352
	s_wait_xcnt 0x0
	s_or_b32 exec_lo, exec_lo, s17
	s_delay_alu instid0(SALU_CYCLE_1)
	s_mov_b32 s17, exec_lo
	v_cmpx_gt_u32_e64 s59, v109
	s_cbranch_execz .LBB419_1056
.LBB419_1259:                           ;   in Loop: Header=BB419_1040 Depth=2
	global_load_u8 v64, v[62:63], off offset:384
	s_wait_xcnt 0x0
	s_or_b32 exec_lo, exec_lo, s17
	s_delay_alu instid0(SALU_CYCLE_1)
	s_mov_b32 s17, exec_lo
	v_cmpx_gt_u32_e64 s59, v110
	s_cbranch_execz .LBB419_1057
.LBB419_1260:                           ;   in Loop: Header=BB419_1040 Depth=2
	global_load_u8 v136, v[62:63], off offset:416
	s_wait_xcnt 0x0
	s_or_b32 exec_lo, exec_lo, s17
	s_delay_alu instid0(SALU_CYCLE_1)
	s_mov_b32 s17, exec_lo
	v_cmpx_gt_u32_e64 s59, v111
	s_cbranch_execz .LBB419_1058
.LBB419_1261:                           ;   in Loop: Header=BB419_1040 Depth=2
	global_load_u8 v65, v[62:63], off offset:448
	s_wait_xcnt 0x0
	s_or_b32 exec_lo, exec_lo, s17
	s_delay_alu instid0(SALU_CYCLE_1)
	s_mov_b32 s17, exec_lo
	v_cmpx_gt_u32_e64 s59, v112
	s_cbranch_execnz .LBB419_1059
	s_branch .LBB419_1060
.LBB419_1262:
	s_endpgm
	.section	.rodata,"a",@progbits
	.p2align	6, 0x0
	.amdhsa_kernel _ZN7rocprim17ROCPRIM_400000_NS6detail17trampoline_kernelINS0_14default_configENS1_36segmented_radix_sort_config_selectorIalEEZNS1_25segmented_radix_sort_implIS3_Lb0EPKaPaPKlPlN2at6native12_GLOBAL__N_18offset_tEEE10hipError_tPvRmT1_PNSt15iterator_traitsISK_E10value_typeET2_T3_PNSL_ISQ_E10value_typeET4_jRbjT5_SW_jjP12ihipStream_tbEUlT_E2_NS1_11comp_targetILNS1_3genE0ELNS1_11target_archE4294967295ELNS1_3gpuE0ELNS1_3repE0EEENS1_30default_config_static_selectorELNS0_4arch9wavefront6targetE0EEEvSK_
		.amdhsa_group_segment_fixed_size 35344
		.amdhsa_private_segment_fixed_size 0
		.amdhsa_kernarg_size 336
		.amdhsa_user_sgpr_count 4
		.amdhsa_user_sgpr_dispatch_ptr 0
		.amdhsa_user_sgpr_queue_ptr 1
		.amdhsa_user_sgpr_kernarg_segment_ptr 1
		.amdhsa_user_sgpr_dispatch_id 0
		.amdhsa_user_sgpr_kernarg_preload_length 0
		.amdhsa_user_sgpr_kernarg_preload_offset 0
		.amdhsa_user_sgpr_private_segment_size 0
		.amdhsa_wavefront_size32 1
		.amdhsa_uses_dynamic_stack 0
		.amdhsa_enable_private_segment 0
		.amdhsa_system_sgpr_workgroup_id_x 1
		.amdhsa_system_sgpr_workgroup_id_y 1
		.amdhsa_system_sgpr_workgroup_id_z 0
		.amdhsa_system_sgpr_workgroup_info 0
		.amdhsa_system_vgpr_workitem_id 2
		.amdhsa_next_free_vgpr 315
		.amdhsa_next_free_sgpr 62
		.amdhsa_named_barrier_count 0
		.amdhsa_reserve_vcc 1
		.amdhsa_float_round_mode_32 0
		.amdhsa_float_round_mode_16_64 0
		.amdhsa_float_denorm_mode_32 3
		.amdhsa_float_denorm_mode_16_64 3
		.amdhsa_fp16_overflow 0
		.amdhsa_memory_ordered 1
		.amdhsa_forward_progress 1
		.amdhsa_inst_pref_size 255
		.amdhsa_round_robin_scheduling 0
		.amdhsa_exception_fp_ieee_invalid_op 0
		.amdhsa_exception_fp_denorm_src 0
		.amdhsa_exception_fp_ieee_div_zero 0
		.amdhsa_exception_fp_ieee_overflow 0
		.amdhsa_exception_fp_ieee_underflow 0
		.amdhsa_exception_fp_ieee_inexact 0
		.amdhsa_exception_int_div_zero 0
	.end_amdhsa_kernel
	.section	.text._ZN7rocprim17ROCPRIM_400000_NS6detail17trampoline_kernelINS0_14default_configENS1_36segmented_radix_sort_config_selectorIalEEZNS1_25segmented_radix_sort_implIS3_Lb0EPKaPaPKlPlN2at6native12_GLOBAL__N_18offset_tEEE10hipError_tPvRmT1_PNSt15iterator_traitsISK_E10value_typeET2_T3_PNSL_ISQ_E10value_typeET4_jRbjT5_SW_jjP12ihipStream_tbEUlT_E2_NS1_11comp_targetILNS1_3genE0ELNS1_11target_archE4294967295ELNS1_3gpuE0ELNS1_3repE0EEENS1_30default_config_static_selectorELNS0_4arch9wavefront6targetE0EEEvSK_,"axG",@progbits,_ZN7rocprim17ROCPRIM_400000_NS6detail17trampoline_kernelINS0_14default_configENS1_36segmented_radix_sort_config_selectorIalEEZNS1_25segmented_radix_sort_implIS3_Lb0EPKaPaPKlPlN2at6native12_GLOBAL__N_18offset_tEEE10hipError_tPvRmT1_PNSt15iterator_traitsISK_E10value_typeET2_T3_PNSL_ISQ_E10value_typeET4_jRbjT5_SW_jjP12ihipStream_tbEUlT_E2_NS1_11comp_targetILNS1_3genE0ELNS1_11target_archE4294967295ELNS1_3gpuE0ELNS1_3repE0EEENS1_30default_config_static_selectorELNS0_4arch9wavefront6targetE0EEEvSK_,comdat
.Lfunc_end419:
	.size	_ZN7rocprim17ROCPRIM_400000_NS6detail17trampoline_kernelINS0_14default_configENS1_36segmented_radix_sort_config_selectorIalEEZNS1_25segmented_radix_sort_implIS3_Lb0EPKaPaPKlPlN2at6native12_GLOBAL__N_18offset_tEEE10hipError_tPvRmT1_PNSt15iterator_traitsISK_E10value_typeET2_T3_PNSL_ISQ_E10value_typeET4_jRbjT5_SW_jjP12ihipStream_tbEUlT_E2_NS1_11comp_targetILNS1_3genE0ELNS1_11target_archE4294967295ELNS1_3gpuE0ELNS1_3repE0EEENS1_30default_config_static_selectorELNS0_4arch9wavefront6targetE0EEEvSK_, .Lfunc_end419-_ZN7rocprim17ROCPRIM_400000_NS6detail17trampoline_kernelINS0_14default_configENS1_36segmented_radix_sort_config_selectorIalEEZNS1_25segmented_radix_sort_implIS3_Lb0EPKaPaPKlPlN2at6native12_GLOBAL__N_18offset_tEEE10hipError_tPvRmT1_PNSt15iterator_traitsISK_E10value_typeET2_T3_PNSL_ISQ_E10value_typeET4_jRbjT5_SW_jjP12ihipStream_tbEUlT_E2_NS1_11comp_targetILNS1_3genE0ELNS1_11target_archE4294967295ELNS1_3gpuE0ELNS1_3repE0EEENS1_30default_config_static_selectorELNS0_4arch9wavefront6targetE0EEEvSK_
                                        ; -- End function
	.set _ZN7rocprim17ROCPRIM_400000_NS6detail17trampoline_kernelINS0_14default_configENS1_36segmented_radix_sort_config_selectorIalEEZNS1_25segmented_radix_sort_implIS3_Lb0EPKaPaPKlPlN2at6native12_GLOBAL__N_18offset_tEEE10hipError_tPvRmT1_PNSt15iterator_traitsISK_E10value_typeET2_T3_PNSL_ISQ_E10value_typeET4_jRbjT5_SW_jjP12ihipStream_tbEUlT_E2_NS1_11comp_targetILNS1_3genE0ELNS1_11target_archE4294967295ELNS1_3gpuE0ELNS1_3repE0EEENS1_30default_config_static_selectorELNS0_4arch9wavefront6targetE0EEEvSK_.num_vgpr, max(204, .L_ZN7rocprim17ROCPRIM_400000_NS6detail26segmented_warp_sort_helperINS1_20WarpSortHelperConfigILj32ELj4ELj256EEEalLi256ELb0EvE4sortIPKaPaPKlPlEEvT_T0_T1_T2_jjjjRNS5_12storage_typeE.num_vgpr, .L_ZN7rocprim17ROCPRIM_400000_NS6detail40segmented_radix_sort_single_block_helperIalLj256ELj17ELb0EE4sortIPKaPaPKlPlEEbT_T0_T1_T2_jjjjRNS3_12storage_typeE.num_vgpr)
	.set _ZN7rocprim17ROCPRIM_400000_NS6detail17trampoline_kernelINS0_14default_configENS1_36segmented_radix_sort_config_selectorIalEEZNS1_25segmented_radix_sort_implIS3_Lb0EPKaPaPKlPlN2at6native12_GLOBAL__N_18offset_tEEE10hipError_tPvRmT1_PNSt15iterator_traitsISK_E10value_typeET2_T3_PNSL_ISQ_E10value_typeET4_jRbjT5_SW_jjP12ihipStream_tbEUlT_E2_NS1_11comp_targetILNS1_3genE0ELNS1_11target_archE4294967295ELNS1_3gpuE0ELNS1_3repE0EEENS1_30default_config_static_selectorELNS0_4arch9wavefront6targetE0EEEvSK_.num_agpr, max(0, .L_ZN7rocprim17ROCPRIM_400000_NS6detail26segmented_warp_sort_helperINS1_20WarpSortHelperConfigILj32ELj4ELj256EEEalLi256ELb0EvE4sortIPKaPaPKlPlEEvT_T0_T1_T2_jjjjRNS5_12storage_typeE.num_agpr, .L_ZN7rocprim17ROCPRIM_400000_NS6detail40segmented_radix_sort_single_block_helperIalLj256ELj17ELb0EE4sortIPKaPaPKlPlEEbT_T0_T1_T2_jjjjRNS3_12storage_typeE.num_agpr)
	.set _ZN7rocprim17ROCPRIM_400000_NS6detail17trampoline_kernelINS0_14default_configENS1_36segmented_radix_sort_config_selectorIalEEZNS1_25segmented_radix_sort_implIS3_Lb0EPKaPaPKlPlN2at6native12_GLOBAL__N_18offset_tEEE10hipError_tPvRmT1_PNSt15iterator_traitsISK_E10value_typeET2_T3_PNSL_ISQ_E10value_typeET4_jRbjT5_SW_jjP12ihipStream_tbEUlT_E2_NS1_11comp_targetILNS1_3genE0ELNS1_11target_archE4294967295ELNS1_3gpuE0ELNS1_3repE0EEENS1_30default_config_static_selectorELNS0_4arch9wavefront6targetE0EEEvSK_.numbered_sgpr, max(62, .L_ZN7rocprim17ROCPRIM_400000_NS6detail26segmented_warp_sort_helperINS1_20WarpSortHelperConfigILj32ELj4ELj256EEEalLi256ELb0EvE4sortIPKaPaPKlPlEEvT_T0_T1_T2_jjjjRNS5_12storage_typeE.numbered_sgpr, .L_ZN7rocprim17ROCPRIM_400000_NS6detail40segmented_radix_sort_single_block_helperIalLj256ELj17ELb0EE4sortIPKaPaPKlPlEEbT_T0_T1_T2_jjjjRNS3_12storage_typeE.numbered_sgpr)
	.set _ZN7rocprim17ROCPRIM_400000_NS6detail17trampoline_kernelINS0_14default_configENS1_36segmented_radix_sort_config_selectorIalEEZNS1_25segmented_radix_sort_implIS3_Lb0EPKaPaPKlPlN2at6native12_GLOBAL__N_18offset_tEEE10hipError_tPvRmT1_PNSt15iterator_traitsISK_E10value_typeET2_T3_PNSL_ISQ_E10value_typeET4_jRbjT5_SW_jjP12ihipStream_tbEUlT_E2_NS1_11comp_targetILNS1_3genE0ELNS1_11target_archE4294967295ELNS1_3gpuE0ELNS1_3repE0EEENS1_30default_config_static_selectorELNS0_4arch9wavefront6targetE0EEEvSK_.num_named_barrier, max(0, .L_ZN7rocprim17ROCPRIM_400000_NS6detail26segmented_warp_sort_helperINS1_20WarpSortHelperConfigILj32ELj4ELj256EEEalLi256ELb0EvE4sortIPKaPaPKlPlEEvT_T0_T1_T2_jjjjRNS5_12storage_typeE.num_named_barrier, .L_ZN7rocprim17ROCPRIM_400000_NS6detail40segmented_radix_sort_single_block_helperIalLj256ELj17ELb0EE4sortIPKaPaPKlPlEEbT_T0_T1_T2_jjjjRNS3_12storage_typeE.num_named_barrier)
	.set _ZN7rocprim17ROCPRIM_400000_NS6detail17trampoline_kernelINS0_14default_configENS1_36segmented_radix_sort_config_selectorIalEEZNS1_25segmented_radix_sort_implIS3_Lb0EPKaPaPKlPlN2at6native12_GLOBAL__N_18offset_tEEE10hipError_tPvRmT1_PNSt15iterator_traitsISK_E10value_typeET2_T3_PNSL_ISQ_E10value_typeET4_jRbjT5_SW_jjP12ihipStream_tbEUlT_E2_NS1_11comp_targetILNS1_3genE0ELNS1_11target_archE4294967295ELNS1_3gpuE0ELNS1_3repE0EEENS1_30default_config_static_selectorELNS0_4arch9wavefront6targetE0EEEvSK_.private_seg_size, 0+max(.L_ZN7rocprim17ROCPRIM_400000_NS6detail26segmented_warp_sort_helperINS1_20WarpSortHelperConfigILj32ELj4ELj256EEEalLi256ELb0EvE4sortIPKaPaPKlPlEEvT_T0_T1_T2_jjjjRNS5_12storage_typeE.private_seg_size, .L_ZN7rocprim17ROCPRIM_400000_NS6detail40segmented_radix_sort_single_block_helperIalLj256ELj17ELb0EE4sortIPKaPaPKlPlEEbT_T0_T1_T2_jjjjRNS3_12storage_typeE.private_seg_size)
	.set _ZN7rocprim17ROCPRIM_400000_NS6detail17trampoline_kernelINS0_14default_configENS1_36segmented_radix_sort_config_selectorIalEEZNS1_25segmented_radix_sort_implIS3_Lb0EPKaPaPKlPlN2at6native12_GLOBAL__N_18offset_tEEE10hipError_tPvRmT1_PNSt15iterator_traitsISK_E10value_typeET2_T3_PNSL_ISQ_E10value_typeET4_jRbjT5_SW_jjP12ihipStream_tbEUlT_E2_NS1_11comp_targetILNS1_3genE0ELNS1_11target_archE4294967295ELNS1_3gpuE0ELNS1_3repE0EEENS1_30default_config_static_selectorELNS0_4arch9wavefront6targetE0EEEvSK_.uses_vcc, or(1, .L_ZN7rocprim17ROCPRIM_400000_NS6detail26segmented_warp_sort_helperINS1_20WarpSortHelperConfigILj32ELj4ELj256EEEalLi256ELb0EvE4sortIPKaPaPKlPlEEvT_T0_T1_T2_jjjjRNS5_12storage_typeE.uses_vcc, .L_ZN7rocprim17ROCPRIM_400000_NS6detail40segmented_radix_sort_single_block_helperIalLj256ELj17ELb0EE4sortIPKaPaPKlPlEEbT_T0_T1_T2_jjjjRNS3_12storage_typeE.uses_vcc)
	.set _ZN7rocprim17ROCPRIM_400000_NS6detail17trampoline_kernelINS0_14default_configENS1_36segmented_radix_sort_config_selectorIalEEZNS1_25segmented_radix_sort_implIS3_Lb0EPKaPaPKlPlN2at6native12_GLOBAL__N_18offset_tEEE10hipError_tPvRmT1_PNSt15iterator_traitsISK_E10value_typeET2_T3_PNSL_ISQ_E10value_typeET4_jRbjT5_SW_jjP12ihipStream_tbEUlT_E2_NS1_11comp_targetILNS1_3genE0ELNS1_11target_archE4294967295ELNS1_3gpuE0ELNS1_3repE0EEENS1_30default_config_static_selectorELNS0_4arch9wavefront6targetE0EEEvSK_.uses_flat_scratch, or(0, .L_ZN7rocprim17ROCPRIM_400000_NS6detail26segmented_warp_sort_helperINS1_20WarpSortHelperConfigILj32ELj4ELj256EEEalLi256ELb0EvE4sortIPKaPaPKlPlEEvT_T0_T1_T2_jjjjRNS5_12storage_typeE.uses_flat_scratch, .L_ZN7rocprim17ROCPRIM_400000_NS6detail40segmented_radix_sort_single_block_helperIalLj256ELj17ELb0EE4sortIPKaPaPKlPlEEbT_T0_T1_T2_jjjjRNS3_12storage_typeE.uses_flat_scratch)
	.set _ZN7rocprim17ROCPRIM_400000_NS6detail17trampoline_kernelINS0_14default_configENS1_36segmented_radix_sort_config_selectorIalEEZNS1_25segmented_radix_sort_implIS3_Lb0EPKaPaPKlPlN2at6native12_GLOBAL__N_18offset_tEEE10hipError_tPvRmT1_PNSt15iterator_traitsISK_E10value_typeET2_T3_PNSL_ISQ_E10value_typeET4_jRbjT5_SW_jjP12ihipStream_tbEUlT_E2_NS1_11comp_targetILNS1_3genE0ELNS1_11target_archE4294967295ELNS1_3gpuE0ELNS1_3repE0EEENS1_30default_config_static_selectorELNS0_4arch9wavefront6targetE0EEEvSK_.has_dyn_sized_stack, or(0, .L_ZN7rocprim17ROCPRIM_400000_NS6detail26segmented_warp_sort_helperINS1_20WarpSortHelperConfigILj32ELj4ELj256EEEalLi256ELb0EvE4sortIPKaPaPKlPlEEvT_T0_T1_T2_jjjjRNS5_12storage_typeE.has_dyn_sized_stack, .L_ZN7rocprim17ROCPRIM_400000_NS6detail40segmented_radix_sort_single_block_helperIalLj256ELj17ELb0EE4sortIPKaPaPKlPlEEbT_T0_T1_T2_jjjjRNS3_12storage_typeE.has_dyn_sized_stack)
	.set _ZN7rocprim17ROCPRIM_400000_NS6detail17trampoline_kernelINS0_14default_configENS1_36segmented_radix_sort_config_selectorIalEEZNS1_25segmented_radix_sort_implIS3_Lb0EPKaPaPKlPlN2at6native12_GLOBAL__N_18offset_tEEE10hipError_tPvRmT1_PNSt15iterator_traitsISK_E10value_typeET2_T3_PNSL_ISQ_E10value_typeET4_jRbjT5_SW_jjP12ihipStream_tbEUlT_E2_NS1_11comp_targetILNS1_3genE0ELNS1_11target_archE4294967295ELNS1_3gpuE0ELNS1_3repE0EEENS1_30default_config_static_selectorELNS0_4arch9wavefront6targetE0EEEvSK_.has_recursion, or(0, .L_ZN7rocprim17ROCPRIM_400000_NS6detail26segmented_warp_sort_helperINS1_20WarpSortHelperConfigILj32ELj4ELj256EEEalLi256ELb0EvE4sortIPKaPaPKlPlEEvT_T0_T1_T2_jjjjRNS5_12storage_typeE.has_recursion, .L_ZN7rocprim17ROCPRIM_400000_NS6detail40segmented_radix_sort_single_block_helperIalLj256ELj17ELb0EE4sortIPKaPaPKlPlEEbT_T0_T1_T2_jjjjRNS3_12storage_typeE.has_recursion)
	.set _ZN7rocprim17ROCPRIM_400000_NS6detail17trampoline_kernelINS0_14default_configENS1_36segmented_radix_sort_config_selectorIalEEZNS1_25segmented_radix_sort_implIS3_Lb0EPKaPaPKlPlN2at6native12_GLOBAL__N_18offset_tEEE10hipError_tPvRmT1_PNSt15iterator_traitsISK_E10value_typeET2_T3_PNSL_ISQ_E10value_typeET4_jRbjT5_SW_jjP12ihipStream_tbEUlT_E2_NS1_11comp_targetILNS1_3genE0ELNS1_11target_archE4294967295ELNS1_3gpuE0ELNS1_3repE0EEENS1_30default_config_static_selectorELNS0_4arch9wavefront6targetE0EEEvSK_.has_indirect_call, or(0, .L_ZN7rocprim17ROCPRIM_400000_NS6detail26segmented_warp_sort_helperINS1_20WarpSortHelperConfigILj32ELj4ELj256EEEalLi256ELb0EvE4sortIPKaPaPKlPlEEvT_T0_T1_T2_jjjjRNS5_12storage_typeE.has_indirect_call, .L_ZN7rocprim17ROCPRIM_400000_NS6detail40segmented_radix_sort_single_block_helperIalLj256ELj17ELb0EE4sortIPKaPaPKlPlEEbT_T0_T1_T2_jjjjRNS3_12storage_typeE.has_indirect_call)
	.section	.AMDGPU.csdata,"",@progbits
; Kernel info:
; codeLenInByte = 76028
; TotalNumSgprs: 64
; NumVgprs: 315
; ScratchSize: 0
; MemoryBound: 0
; FloatMode: 240
; IeeeMode: 1
; LDSByteSize: 35344 bytes/workgroup (compile time only)
; SGPRBlocks: 0
; VGPRBlocks: 19
; NumSGPRsForWavesPerEU: 64
; NumVGPRsForWavesPerEU: 315
; NamedBarCnt: 0
; Occupancy: 3
; WaveLimiterHint : 1
; COMPUTE_PGM_RSRC2:SCRATCH_EN: 0
; COMPUTE_PGM_RSRC2:USER_SGPR: 4
; COMPUTE_PGM_RSRC2:TRAP_HANDLER: 0
; COMPUTE_PGM_RSRC2:TGID_X_EN: 1
; COMPUTE_PGM_RSRC2:TGID_Y_EN: 1
; COMPUTE_PGM_RSRC2:TGID_Z_EN: 0
; COMPUTE_PGM_RSRC2:TIDIG_COMP_CNT: 2
	.section	.text._ZN7rocprim17ROCPRIM_400000_NS6detail17trampoline_kernelINS0_14default_configENS1_36segmented_radix_sort_config_selectorIalEEZNS1_25segmented_radix_sort_implIS3_Lb0EPKaPaPKlPlN2at6native12_GLOBAL__N_18offset_tEEE10hipError_tPvRmT1_PNSt15iterator_traitsISK_E10value_typeET2_T3_PNSL_ISQ_E10value_typeET4_jRbjT5_SW_jjP12ihipStream_tbEUlT_E2_NS1_11comp_targetILNS1_3genE5ELNS1_11target_archE942ELNS1_3gpuE9ELNS1_3repE0EEENS1_30default_config_static_selectorELNS0_4arch9wavefront6targetE0EEEvSK_,"axG",@progbits,_ZN7rocprim17ROCPRIM_400000_NS6detail17trampoline_kernelINS0_14default_configENS1_36segmented_radix_sort_config_selectorIalEEZNS1_25segmented_radix_sort_implIS3_Lb0EPKaPaPKlPlN2at6native12_GLOBAL__N_18offset_tEEE10hipError_tPvRmT1_PNSt15iterator_traitsISK_E10value_typeET2_T3_PNSL_ISQ_E10value_typeET4_jRbjT5_SW_jjP12ihipStream_tbEUlT_E2_NS1_11comp_targetILNS1_3genE5ELNS1_11target_archE942ELNS1_3gpuE9ELNS1_3repE0EEENS1_30default_config_static_selectorELNS0_4arch9wavefront6targetE0EEEvSK_,comdat
	.globl	_ZN7rocprim17ROCPRIM_400000_NS6detail17trampoline_kernelINS0_14default_configENS1_36segmented_radix_sort_config_selectorIalEEZNS1_25segmented_radix_sort_implIS3_Lb0EPKaPaPKlPlN2at6native12_GLOBAL__N_18offset_tEEE10hipError_tPvRmT1_PNSt15iterator_traitsISK_E10value_typeET2_T3_PNSL_ISQ_E10value_typeET4_jRbjT5_SW_jjP12ihipStream_tbEUlT_E2_NS1_11comp_targetILNS1_3genE5ELNS1_11target_archE942ELNS1_3gpuE9ELNS1_3repE0EEENS1_30default_config_static_selectorELNS0_4arch9wavefront6targetE0EEEvSK_ ; -- Begin function _ZN7rocprim17ROCPRIM_400000_NS6detail17trampoline_kernelINS0_14default_configENS1_36segmented_radix_sort_config_selectorIalEEZNS1_25segmented_radix_sort_implIS3_Lb0EPKaPaPKlPlN2at6native12_GLOBAL__N_18offset_tEEE10hipError_tPvRmT1_PNSt15iterator_traitsISK_E10value_typeET2_T3_PNSL_ISQ_E10value_typeET4_jRbjT5_SW_jjP12ihipStream_tbEUlT_E2_NS1_11comp_targetILNS1_3genE5ELNS1_11target_archE942ELNS1_3gpuE9ELNS1_3repE0EEENS1_30default_config_static_selectorELNS0_4arch9wavefront6targetE0EEEvSK_
	.p2align	8
	.type	_ZN7rocprim17ROCPRIM_400000_NS6detail17trampoline_kernelINS0_14default_configENS1_36segmented_radix_sort_config_selectorIalEEZNS1_25segmented_radix_sort_implIS3_Lb0EPKaPaPKlPlN2at6native12_GLOBAL__N_18offset_tEEE10hipError_tPvRmT1_PNSt15iterator_traitsISK_E10value_typeET2_T3_PNSL_ISQ_E10value_typeET4_jRbjT5_SW_jjP12ihipStream_tbEUlT_E2_NS1_11comp_targetILNS1_3genE5ELNS1_11target_archE942ELNS1_3gpuE9ELNS1_3repE0EEENS1_30default_config_static_selectorELNS0_4arch9wavefront6targetE0EEEvSK_,@function
_ZN7rocprim17ROCPRIM_400000_NS6detail17trampoline_kernelINS0_14default_configENS1_36segmented_radix_sort_config_selectorIalEEZNS1_25segmented_radix_sort_implIS3_Lb0EPKaPaPKlPlN2at6native12_GLOBAL__N_18offset_tEEE10hipError_tPvRmT1_PNSt15iterator_traitsISK_E10value_typeET2_T3_PNSL_ISQ_E10value_typeET4_jRbjT5_SW_jjP12ihipStream_tbEUlT_E2_NS1_11comp_targetILNS1_3genE5ELNS1_11target_archE942ELNS1_3gpuE9ELNS1_3repE0EEENS1_30default_config_static_selectorELNS0_4arch9wavefront6targetE0EEEvSK_: ; @_ZN7rocprim17ROCPRIM_400000_NS6detail17trampoline_kernelINS0_14default_configENS1_36segmented_radix_sort_config_selectorIalEEZNS1_25segmented_radix_sort_implIS3_Lb0EPKaPaPKlPlN2at6native12_GLOBAL__N_18offset_tEEE10hipError_tPvRmT1_PNSt15iterator_traitsISK_E10value_typeET2_T3_PNSL_ISQ_E10value_typeET4_jRbjT5_SW_jjP12ihipStream_tbEUlT_E2_NS1_11comp_targetILNS1_3genE5ELNS1_11target_archE942ELNS1_3gpuE9ELNS1_3repE0EEENS1_30default_config_static_selectorELNS0_4arch9wavefront6targetE0EEEvSK_
; %bb.0:
	.section	.rodata,"a",@progbits
	.p2align	6, 0x0
	.amdhsa_kernel _ZN7rocprim17ROCPRIM_400000_NS6detail17trampoline_kernelINS0_14default_configENS1_36segmented_radix_sort_config_selectorIalEEZNS1_25segmented_radix_sort_implIS3_Lb0EPKaPaPKlPlN2at6native12_GLOBAL__N_18offset_tEEE10hipError_tPvRmT1_PNSt15iterator_traitsISK_E10value_typeET2_T3_PNSL_ISQ_E10value_typeET4_jRbjT5_SW_jjP12ihipStream_tbEUlT_E2_NS1_11comp_targetILNS1_3genE5ELNS1_11target_archE942ELNS1_3gpuE9ELNS1_3repE0EEENS1_30default_config_static_selectorELNS0_4arch9wavefront6targetE0EEEvSK_
		.amdhsa_group_segment_fixed_size 0
		.amdhsa_private_segment_fixed_size 0
		.amdhsa_kernarg_size 80
		.amdhsa_user_sgpr_count 2
		.amdhsa_user_sgpr_dispatch_ptr 0
		.amdhsa_user_sgpr_queue_ptr 0
		.amdhsa_user_sgpr_kernarg_segment_ptr 1
		.amdhsa_user_sgpr_dispatch_id 0
		.amdhsa_user_sgpr_kernarg_preload_length 0
		.amdhsa_user_sgpr_kernarg_preload_offset 0
		.amdhsa_user_sgpr_private_segment_size 0
		.amdhsa_wavefront_size32 1
		.amdhsa_uses_dynamic_stack 0
		.amdhsa_enable_private_segment 0
		.amdhsa_system_sgpr_workgroup_id_x 1
		.amdhsa_system_sgpr_workgroup_id_y 0
		.amdhsa_system_sgpr_workgroup_id_z 0
		.amdhsa_system_sgpr_workgroup_info 0
		.amdhsa_system_vgpr_workitem_id 0
		.amdhsa_next_free_vgpr 1
		.amdhsa_next_free_sgpr 1
		.amdhsa_named_barrier_count 0
		.amdhsa_reserve_vcc 0
		.amdhsa_float_round_mode_32 0
		.amdhsa_float_round_mode_16_64 0
		.amdhsa_float_denorm_mode_32 3
		.amdhsa_float_denorm_mode_16_64 3
		.amdhsa_fp16_overflow 0
		.amdhsa_memory_ordered 1
		.amdhsa_forward_progress 1
		.amdhsa_inst_pref_size 0
		.amdhsa_round_robin_scheduling 0
		.amdhsa_exception_fp_ieee_invalid_op 0
		.amdhsa_exception_fp_denorm_src 0
		.amdhsa_exception_fp_ieee_div_zero 0
		.amdhsa_exception_fp_ieee_overflow 0
		.amdhsa_exception_fp_ieee_underflow 0
		.amdhsa_exception_fp_ieee_inexact 0
		.amdhsa_exception_int_div_zero 0
	.end_amdhsa_kernel
	.section	.text._ZN7rocprim17ROCPRIM_400000_NS6detail17trampoline_kernelINS0_14default_configENS1_36segmented_radix_sort_config_selectorIalEEZNS1_25segmented_radix_sort_implIS3_Lb0EPKaPaPKlPlN2at6native12_GLOBAL__N_18offset_tEEE10hipError_tPvRmT1_PNSt15iterator_traitsISK_E10value_typeET2_T3_PNSL_ISQ_E10value_typeET4_jRbjT5_SW_jjP12ihipStream_tbEUlT_E2_NS1_11comp_targetILNS1_3genE5ELNS1_11target_archE942ELNS1_3gpuE9ELNS1_3repE0EEENS1_30default_config_static_selectorELNS0_4arch9wavefront6targetE0EEEvSK_,"axG",@progbits,_ZN7rocprim17ROCPRIM_400000_NS6detail17trampoline_kernelINS0_14default_configENS1_36segmented_radix_sort_config_selectorIalEEZNS1_25segmented_radix_sort_implIS3_Lb0EPKaPaPKlPlN2at6native12_GLOBAL__N_18offset_tEEE10hipError_tPvRmT1_PNSt15iterator_traitsISK_E10value_typeET2_T3_PNSL_ISQ_E10value_typeET4_jRbjT5_SW_jjP12ihipStream_tbEUlT_E2_NS1_11comp_targetILNS1_3genE5ELNS1_11target_archE942ELNS1_3gpuE9ELNS1_3repE0EEENS1_30default_config_static_selectorELNS0_4arch9wavefront6targetE0EEEvSK_,comdat
.Lfunc_end420:
	.size	_ZN7rocprim17ROCPRIM_400000_NS6detail17trampoline_kernelINS0_14default_configENS1_36segmented_radix_sort_config_selectorIalEEZNS1_25segmented_radix_sort_implIS3_Lb0EPKaPaPKlPlN2at6native12_GLOBAL__N_18offset_tEEE10hipError_tPvRmT1_PNSt15iterator_traitsISK_E10value_typeET2_T3_PNSL_ISQ_E10value_typeET4_jRbjT5_SW_jjP12ihipStream_tbEUlT_E2_NS1_11comp_targetILNS1_3genE5ELNS1_11target_archE942ELNS1_3gpuE9ELNS1_3repE0EEENS1_30default_config_static_selectorELNS0_4arch9wavefront6targetE0EEEvSK_, .Lfunc_end420-_ZN7rocprim17ROCPRIM_400000_NS6detail17trampoline_kernelINS0_14default_configENS1_36segmented_radix_sort_config_selectorIalEEZNS1_25segmented_radix_sort_implIS3_Lb0EPKaPaPKlPlN2at6native12_GLOBAL__N_18offset_tEEE10hipError_tPvRmT1_PNSt15iterator_traitsISK_E10value_typeET2_T3_PNSL_ISQ_E10value_typeET4_jRbjT5_SW_jjP12ihipStream_tbEUlT_E2_NS1_11comp_targetILNS1_3genE5ELNS1_11target_archE942ELNS1_3gpuE9ELNS1_3repE0EEENS1_30default_config_static_selectorELNS0_4arch9wavefront6targetE0EEEvSK_
                                        ; -- End function
	.set _ZN7rocprim17ROCPRIM_400000_NS6detail17trampoline_kernelINS0_14default_configENS1_36segmented_radix_sort_config_selectorIalEEZNS1_25segmented_radix_sort_implIS3_Lb0EPKaPaPKlPlN2at6native12_GLOBAL__N_18offset_tEEE10hipError_tPvRmT1_PNSt15iterator_traitsISK_E10value_typeET2_T3_PNSL_ISQ_E10value_typeET4_jRbjT5_SW_jjP12ihipStream_tbEUlT_E2_NS1_11comp_targetILNS1_3genE5ELNS1_11target_archE942ELNS1_3gpuE9ELNS1_3repE0EEENS1_30default_config_static_selectorELNS0_4arch9wavefront6targetE0EEEvSK_.num_vgpr, 0
	.set _ZN7rocprim17ROCPRIM_400000_NS6detail17trampoline_kernelINS0_14default_configENS1_36segmented_radix_sort_config_selectorIalEEZNS1_25segmented_radix_sort_implIS3_Lb0EPKaPaPKlPlN2at6native12_GLOBAL__N_18offset_tEEE10hipError_tPvRmT1_PNSt15iterator_traitsISK_E10value_typeET2_T3_PNSL_ISQ_E10value_typeET4_jRbjT5_SW_jjP12ihipStream_tbEUlT_E2_NS1_11comp_targetILNS1_3genE5ELNS1_11target_archE942ELNS1_3gpuE9ELNS1_3repE0EEENS1_30default_config_static_selectorELNS0_4arch9wavefront6targetE0EEEvSK_.num_agpr, 0
	.set _ZN7rocprim17ROCPRIM_400000_NS6detail17trampoline_kernelINS0_14default_configENS1_36segmented_radix_sort_config_selectorIalEEZNS1_25segmented_radix_sort_implIS3_Lb0EPKaPaPKlPlN2at6native12_GLOBAL__N_18offset_tEEE10hipError_tPvRmT1_PNSt15iterator_traitsISK_E10value_typeET2_T3_PNSL_ISQ_E10value_typeET4_jRbjT5_SW_jjP12ihipStream_tbEUlT_E2_NS1_11comp_targetILNS1_3genE5ELNS1_11target_archE942ELNS1_3gpuE9ELNS1_3repE0EEENS1_30default_config_static_selectorELNS0_4arch9wavefront6targetE0EEEvSK_.numbered_sgpr, 0
	.set _ZN7rocprim17ROCPRIM_400000_NS6detail17trampoline_kernelINS0_14default_configENS1_36segmented_radix_sort_config_selectorIalEEZNS1_25segmented_radix_sort_implIS3_Lb0EPKaPaPKlPlN2at6native12_GLOBAL__N_18offset_tEEE10hipError_tPvRmT1_PNSt15iterator_traitsISK_E10value_typeET2_T3_PNSL_ISQ_E10value_typeET4_jRbjT5_SW_jjP12ihipStream_tbEUlT_E2_NS1_11comp_targetILNS1_3genE5ELNS1_11target_archE942ELNS1_3gpuE9ELNS1_3repE0EEENS1_30default_config_static_selectorELNS0_4arch9wavefront6targetE0EEEvSK_.num_named_barrier, 0
	.set _ZN7rocprim17ROCPRIM_400000_NS6detail17trampoline_kernelINS0_14default_configENS1_36segmented_radix_sort_config_selectorIalEEZNS1_25segmented_radix_sort_implIS3_Lb0EPKaPaPKlPlN2at6native12_GLOBAL__N_18offset_tEEE10hipError_tPvRmT1_PNSt15iterator_traitsISK_E10value_typeET2_T3_PNSL_ISQ_E10value_typeET4_jRbjT5_SW_jjP12ihipStream_tbEUlT_E2_NS1_11comp_targetILNS1_3genE5ELNS1_11target_archE942ELNS1_3gpuE9ELNS1_3repE0EEENS1_30default_config_static_selectorELNS0_4arch9wavefront6targetE0EEEvSK_.private_seg_size, 0
	.set _ZN7rocprim17ROCPRIM_400000_NS6detail17trampoline_kernelINS0_14default_configENS1_36segmented_radix_sort_config_selectorIalEEZNS1_25segmented_radix_sort_implIS3_Lb0EPKaPaPKlPlN2at6native12_GLOBAL__N_18offset_tEEE10hipError_tPvRmT1_PNSt15iterator_traitsISK_E10value_typeET2_T3_PNSL_ISQ_E10value_typeET4_jRbjT5_SW_jjP12ihipStream_tbEUlT_E2_NS1_11comp_targetILNS1_3genE5ELNS1_11target_archE942ELNS1_3gpuE9ELNS1_3repE0EEENS1_30default_config_static_selectorELNS0_4arch9wavefront6targetE0EEEvSK_.uses_vcc, 0
	.set _ZN7rocprim17ROCPRIM_400000_NS6detail17trampoline_kernelINS0_14default_configENS1_36segmented_radix_sort_config_selectorIalEEZNS1_25segmented_radix_sort_implIS3_Lb0EPKaPaPKlPlN2at6native12_GLOBAL__N_18offset_tEEE10hipError_tPvRmT1_PNSt15iterator_traitsISK_E10value_typeET2_T3_PNSL_ISQ_E10value_typeET4_jRbjT5_SW_jjP12ihipStream_tbEUlT_E2_NS1_11comp_targetILNS1_3genE5ELNS1_11target_archE942ELNS1_3gpuE9ELNS1_3repE0EEENS1_30default_config_static_selectorELNS0_4arch9wavefront6targetE0EEEvSK_.uses_flat_scratch, 0
	.set _ZN7rocprim17ROCPRIM_400000_NS6detail17trampoline_kernelINS0_14default_configENS1_36segmented_radix_sort_config_selectorIalEEZNS1_25segmented_radix_sort_implIS3_Lb0EPKaPaPKlPlN2at6native12_GLOBAL__N_18offset_tEEE10hipError_tPvRmT1_PNSt15iterator_traitsISK_E10value_typeET2_T3_PNSL_ISQ_E10value_typeET4_jRbjT5_SW_jjP12ihipStream_tbEUlT_E2_NS1_11comp_targetILNS1_3genE5ELNS1_11target_archE942ELNS1_3gpuE9ELNS1_3repE0EEENS1_30default_config_static_selectorELNS0_4arch9wavefront6targetE0EEEvSK_.has_dyn_sized_stack, 0
	.set _ZN7rocprim17ROCPRIM_400000_NS6detail17trampoline_kernelINS0_14default_configENS1_36segmented_radix_sort_config_selectorIalEEZNS1_25segmented_radix_sort_implIS3_Lb0EPKaPaPKlPlN2at6native12_GLOBAL__N_18offset_tEEE10hipError_tPvRmT1_PNSt15iterator_traitsISK_E10value_typeET2_T3_PNSL_ISQ_E10value_typeET4_jRbjT5_SW_jjP12ihipStream_tbEUlT_E2_NS1_11comp_targetILNS1_3genE5ELNS1_11target_archE942ELNS1_3gpuE9ELNS1_3repE0EEENS1_30default_config_static_selectorELNS0_4arch9wavefront6targetE0EEEvSK_.has_recursion, 0
	.set _ZN7rocprim17ROCPRIM_400000_NS6detail17trampoline_kernelINS0_14default_configENS1_36segmented_radix_sort_config_selectorIalEEZNS1_25segmented_radix_sort_implIS3_Lb0EPKaPaPKlPlN2at6native12_GLOBAL__N_18offset_tEEE10hipError_tPvRmT1_PNSt15iterator_traitsISK_E10value_typeET2_T3_PNSL_ISQ_E10value_typeET4_jRbjT5_SW_jjP12ihipStream_tbEUlT_E2_NS1_11comp_targetILNS1_3genE5ELNS1_11target_archE942ELNS1_3gpuE9ELNS1_3repE0EEENS1_30default_config_static_selectorELNS0_4arch9wavefront6targetE0EEEvSK_.has_indirect_call, 0
	.section	.AMDGPU.csdata,"",@progbits
; Kernel info:
; codeLenInByte = 0
; TotalNumSgprs: 0
; NumVgprs: 0
; ScratchSize: 0
; MemoryBound: 0
; FloatMode: 240
; IeeeMode: 1
; LDSByteSize: 0 bytes/workgroup (compile time only)
; SGPRBlocks: 0
; VGPRBlocks: 0
; NumSGPRsForWavesPerEU: 1
; NumVGPRsForWavesPerEU: 1
; NamedBarCnt: 0
; Occupancy: 16
; WaveLimiterHint : 0
; COMPUTE_PGM_RSRC2:SCRATCH_EN: 0
; COMPUTE_PGM_RSRC2:USER_SGPR: 2
; COMPUTE_PGM_RSRC2:TRAP_HANDLER: 0
; COMPUTE_PGM_RSRC2:TGID_X_EN: 1
; COMPUTE_PGM_RSRC2:TGID_Y_EN: 0
; COMPUTE_PGM_RSRC2:TGID_Z_EN: 0
; COMPUTE_PGM_RSRC2:TIDIG_COMP_CNT: 0
	.section	.text._ZN7rocprim17ROCPRIM_400000_NS6detail17trampoline_kernelINS0_14default_configENS1_36segmented_radix_sort_config_selectorIalEEZNS1_25segmented_radix_sort_implIS3_Lb0EPKaPaPKlPlN2at6native12_GLOBAL__N_18offset_tEEE10hipError_tPvRmT1_PNSt15iterator_traitsISK_E10value_typeET2_T3_PNSL_ISQ_E10value_typeET4_jRbjT5_SW_jjP12ihipStream_tbEUlT_E2_NS1_11comp_targetILNS1_3genE4ELNS1_11target_archE910ELNS1_3gpuE8ELNS1_3repE0EEENS1_30default_config_static_selectorELNS0_4arch9wavefront6targetE0EEEvSK_,"axG",@progbits,_ZN7rocprim17ROCPRIM_400000_NS6detail17trampoline_kernelINS0_14default_configENS1_36segmented_radix_sort_config_selectorIalEEZNS1_25segmented_radix_sort_implIS3_Lb0EPKaPaPKlPlN2at6native12_GLOBAL__N_18offset_tEEE10hipError_tPvRmT1_PNSt15iterator_traitsISK_E10value_typeET2_T3_PNSL_ISQ_E10value_typeET4_jRbjT5_SW_jjP12ihipStream_tbEUlT_E2_NS1_11comp_targetILNS1_3genE4ELNS1_11target_archE910ELNS1_3gpuE8ELNS1_3repE0EEENS1_30default_config_static_selectorELNS0_4arch9wavefront6targetE0EEEvSK_,comdat
	.globl	_ZN7rocprim17ROCPRIM_400000_NS6detail17trampoline_kernelINS0_14default_configENS1_36segmented_radix_sort_config_selectorIalEEZNS1_25segmented_radix_sort_implIS3_Lb0EPKaPaPKlPlN2at6native12_GLOBAL__N_18offset_tEEE10hipError_tPvRmT1_PNSt15iterator_traitsISK_E10value_typeET2_T3_PNSL_ISQ_E10value_typeET4_jRbjT5_SW_jjP12ihipStream_tbEUlT_E2_NS1_11comp_targetILNS1_3genE4ELNS1_11target_archE910ELNS1_3gpuE8ELNS1_3repE0EEENS1_30default_config_static_selectorELNS0_4arch9wavefront6targetE0EEEvSK_ ; -- Begin function _ZN7rocprim17ROCPRIM_400000_NS6detail17trampoline_kernelINS0_14default_configENS1_36segmented_radix_sort_config_selectorIalEEZNS1_25segmented_radix_sort_implIS3_Lb0EPKaPaPKlPlN2at6native12_GLOBAL__N_18offset_tEEE10hipError_tPvRmT1_PNSt15iterator_traitsISK_E10value_typeET2_T3_PNSL_ISQ_E10value_typeET4_jRbjT5_SW_jjP12ihipStream_tbEUlT_E2_NS1_11comp_targetILNS1_3genE4ELNS1_11target_archE910ELNS1_3gpuE8ELNS1_3repE0EEENS1_30default_config_static_selectorELNS0_4arch9wavefront6targetE0EEEvSK_
	.p2align	8
	.type	_ZN7rocprim17ROCPRIM_400000_NS6detail17trampoline_kernelINS0_14default_configENS1_36segmented_radix_sort_config_selectorIalEEZNS1_25segmented_radix_sort_implIS3_Lb0EPKaPaPKlPlN2at6native12_GLOBAL__N_18offset_tEEE10hipError_tPvRmT1_PNSt15iterator_traitsISK_E10value_typeET2_T3_PNSL_ISQ_E10value_typeET4_jRbjT5_SW_jjP12ihipStream_tbEUlT_E2_NS1_11comp_targetILNS1_3genE4ELNS1_11target_archE910ELNS1_3gpuE8ELNS1_3repE0EEENS1_30default_config_static_selectorELNS0_4arch9wavefront6targetE0EEEvSK_,@function
_ZN7rocprim17ROCPRIM_400000_NS6detail17trampoline_kernelINS0_14default_configENS1_36segmented_radix_sort_config_selectorIalEEZNS1_25segmented_radix_sort_implIS3_Lb0EPKaPaPKlPlN2at6native12_GLOBAL__N_18offset_tEEE10hipError_tPvRmT1_PNSt15iterator_traitsISK_E10value_typeET2_T3_PNSL_ISQ_E10value_typeET4_jRbjT5_SW_jjP12ihipStream_tbEUlT_E2_NS1_11comp_targetILNS1_3genE4ELNS1_11target_archE910ELNS1_3gpuE8ELNS1_3repE0EEENS1_30default_config_static_selectorELNS0_4arch9wavefront6targetE0EEEvSK_: ; @_ZN7rocprim17ROCPRIM_400000_NS6detail17trampoline_kernelINS0_14default_configENS1_36segmented_radix_sort_config_selectorIalEEZNS1_25segmented_radix_sort_implIS3_Lb0EPKaPaPKlPlN2at6native12_GLOBAL__N_18offset_tEEE10hipError_tPvRmT1_PNSt15iterator_traitsISK_E10value_typeET2_T3_PNSL_ISQ_E10value_typeET4_jRbjT5_SW_jjP12ihipStream_tbEUlT_E2_NS1_11comp_targetILNS1_3genE4ELNS1_11target_archE910ELNS1_3gpuE8ELNS1_3repE0EEENS1_30default_config_static_selectorELNS0_4arch9wavefront6targetE0EEEvSK_
; %bb.0:
	.section	.rodata,"a",@progbits
	.p2align	6, 0x0
	.amdhsa_kernel _ZN7rocprim17ROCPRIM_400000_NS6detail17trampoline_kernelINS0_14default_configENS1_36segmented_radix_sort_config_selectorIalEEZNS1_25segmented_radix_sort_implIS3_Lb0EPKaPaPKlPlN2at6native12_GLOBAL__N_18offset_tEEE10hipError_tPvRmT1_PNSt15iterator_traitsISK_E10value_typeET2_T3_PNSL_ISQ_E10value_typeET4_jRbjT5_SW_jjP12ihipStream_tbEUlT_E2_NS1_11comp_targetILNS1_3genE4ELNS1_11target_archE910ELNS1_3gpuE8ELNS1_3repE0EEENS1_30default_config_static_selectorELNS0_4arch9wavefront6targetE0EEEvSK_
		.amdhsa_group_segment_fixed_size 0
		.amdhsa_private_segment_fixed_size 0
		.amdhsa_kernarg_size 80
		.amdhsa_user_sgpr_count 2
		.amdhsa_user_sgpr_dispatch_ptr 0
		.amdhsa_user_sgpr_queue_ptr 0
		.amdhsa_user_sgpr_kernarg_segment_ptr 1
		.amdhsa_user_sgpr_dispatch_id 0
		.amdhsa_user_sgpr_kernarg_preload_length 0
		.amdhsa_user_sgpr_kernarg_preload_offset 0
		.amdhsa_user_sgpr_private_segment_size 0
		.amdhsa_wavefront_size32 1
		.amdhsa_uses_dynamic_stack 0
		.amdhsa_enable_private_segment 0
		.amdhsa_system_sgpr_workgroup_id_x 1
		.amdhsa_system_sgpr_workgroup_id_y 0
		.amdhsa_system_sgpr_workgroup_id_z 0
		.amdhsa_system_sgpr_workgroup_info 0
		.amdhsa_system_vgpr_workitem_id 0
		.amdhsa_next_free_vgpr 1
		.amdhsa_next_free_sgpr 1
		.amdhsa_named_barrier_count 0
		.amdhsa_reserve_vcc 0
		.amdhsa_float_round_mode_32 0
		.amdhsa_float_round_mode_16_64 0
		.amdhsa_float_denorm_mode_32 3
		.amdhsa_float_denorm_mode_16_64 3
		.amdhsa_fp16_overflow 0
		.amdhsa_memory_ordered 1
		.amdhsa_forward_progress 1
		.amdhsa_inst_pref_size 0
		.amdhsa_round_robin_scheduling 0
		.amdhsa_exception_fp_ieee_invalid_op 0
		.amdhsa_exception_fp_denorm_src 0
		.amdhsa_exception_fp_ieee_div_zero 0
		.amdhsa_exception_fp_ieee_overflow 0
		.amdhsa_exception_fp_ieee_underflow 0
		.amdhsa_exception_fp_ieee_inexact 0
		.amdhsa_exception_int_div_zero 0
	.end_amdhsa_kernel
	.section	.text._ZN7rocprim17ROCPRIM_400000_NS6detail17trampoline_kernelINS0_14default_configENS1_36segmented_radix_sort_config_selectorIalEEZNS1_25segmented_radix_sort_implIS3_Lb0EPKaPaPKlPlN2at6native12_GLOBAL__N_18offset_tEEE10hipError_tPvRmT1_PNSt15iterator_traitsISK_E10value_typeET2_T3_PNSL_ISQ_E10value_typeET4_jRbjT5_SW_jjP12ihipStream_tbEUlT_E2_NS1_11comp_targetILNS1_3genE4ELNS1_11target_archE910ELNS1_3gpuE8ELNS1_3repE0EEENS1_30default_config_static_selectorELNS0_4arch9wavefront6targetE0EEEvSK_,"axG",@progbits,_ZN7rocprim17ROCPRIM_400000_NS6detail17trampoline_kernelINS0_14default_configENS1_36segmented_radix_sort_config_selectorIalEEZNS1_25segmented_radix_sort_implIS3_Lb0EPKaPaPKlPlN2at6native12_GLOBAL__N_18offset_tEEE10hipError_tPvRmT1_PNSt15iterator_traitsISK_E10value_typeET2_T3_PNSL_ISQ_E10value_typeET4_jRbjT5_SW_jjP12ihipStream_tbEUlT_E2_NS1_11comp_targetILNS1_3genE4ELNS1_11target_archE910ELNS1_3gpuE8ELNS1_3repE0EEENS1_30default_config_static_selectorELNS0_4arch9wavefront6targetE0EEEvSK_,comdat
.Lfunc_end421:
	.size	_ZN7rocprim17ROCPRIM_400000_NS6detail17trampoline_kernelINS0_14default_configENS1_36segmented_radix_sort_config_selectorIalEEZNS1_25segmented_radix_sort_implIS3_Lb0EPKaPaPKlPlN2at6native12_GLOBAL__N_18offset_tEEE10hipError_tPvRmT1_PNSt15iterator_traitsISK_E10value_typeET2_T3_PNSL_ISQ_E10value_typeET4_jRbjT5_SW_jjP12ihipStream_tbEUlT_E2_NS1_11comp_targetILNS1_3genE4ELNS1_11target_archE910ELNS1_3gpuE8ELNS1_3repE0EEENS1_30default_config_static_selectorELNS0_4arch9wavefront6targetE0EEEvSK_, .Lfunc_end421-_ZN7rocprim17ROCPRIM_400000_NS6detail17trampoline_kernelINS0_14default_configENS1_36segmented_radix_sort_config_selectorIalEEZNS1_25segmented_radix_sort_implIS3_Lb0EPKaPaPKlPlN2at6native12_GLOBAL__N_18offset_tEEE10hipError_tPvRmT1_PNSt15iterator_traitsISK_E10value_typeET2_T3_PNSL_ISQ_E10value_typeET4_jRbjT5_SW_jjP12ihipStream_tbEUlT_E2_NS1_11comp_targetILNS1_3genE4ELNS1_11target_archE910ELNS1_3gpuE8ELNS1_3repE0EEENS1_30default_config_static_selectorELNS0_4arch9wavefront6targetE0EEEvSK_
                                        ; -- End function
	.set _ZN7rocprim17ROCPRIM_400000_NS6detail17trampoline_kernelINS0_14default_configENS1_36segmented_radix_sort_config_selectorIalEEZNS1_25segmented_radix_sort_implIS3_Lb0EPKaPaPKlPlN2at6native12_GLOBAL__N_18offset_tEEE10hipError_tPvRmT1_PNSt15iterator_traitsISK_E10value_typeET2_T3_PNSL_ISQ_E10value_typeET4_jRbjT5_SW_jjP12ihipStream_tbEUlT_E2_NS1_11comp_targetILNS1_3genE4ELNS1_11target_archE910ELNS1_3gpuE8ELNS1_3repE0EEENS1_30default_config_static_selectorELNS0_4arch9wavefront6targetE0EEEvSK_.num_vgpr, 0
	.set _ZN7rocprim17ROCPRIM_400000_NS6detail17trampoline_kernelINS0_14default_configENS1_36segmented_radix_sort_config_selectorIalEEZNS1_25segmented_radix_sort_implIS3_Lb0EPKaPaPKlPlN2at6native12_GLOBAL__N_18offset_tEEE10hipError_tPvRmT1_PNSt15iterator_traitsISK_E10value_typeET2_T3_PNSL_ISQ_E10value_typeET4_jRbjT5_SW_jjP12ihipStream_tbEUlT_E2_NS1_11comp_targetILNS1_3genE4ELNS1_11target_archE910ELNS1_3gpuE8ELNS1_3repE0EEENS1_30default_config_static_selectorELNS0_4arch9wavefront6targetE0EEEvSK_.num_agpr, 0
	.set _ZN7rocprim17ROCPRIM_400000_NS6detail17trampoline_kernelINS0_14default_configENS1_36segmented_radix_sort_config_selectorIalEEZNS1_25segmented_radix_sort_implIS3_Lb0EPKaPaPKlPlN2at6native12_GLOBAL__N_18offset_tEEE10hipError_tPvRmT1_PNSt15iterator_traitsISK_E10value_typeET2_T3_PNSL_ISQ_E10value_typeET4_jRbjT5_SW_jjP12ihipStream_tbEUlT_E2_NS1_11comp_targetILNS1_3genE4ELNS1_11target_archE910ELNS1_3gpuE8ELNS1_3repE0EEENS1_30default_config_static_selectorELNS0_4arch9wavefront6targetE0EEEvSK_.numbered_sgpr, 0
	.set _ZN7rocprim17ROCPRIM_400000_NS6detail17trampoline_kernelINS0_14default_configENS1_36segmented_radix_sort_config_selectorIalEEZNS1_25segmented_radix_sort_implIS3_Lb0EPKaPaPKlPlN2at6native12_GLOBAL__N_18offset_tEEE10hipError_tPvRmT1_PNSt15iterator_traitsISK_E10value_typeET2_T3_PNSL_ISQ_E10value_typeET4_jRbjT5_SW_jjP12ihipStream_tbEUlT_E2_NS1_11comp_targetILNS1_3genE4ELNS1_11target_archE910ELNS1_3gpuE8ELNS1_3repE0EEENS1_30default_config_static_selectorELNS0_4arch9wavefront6targetE0EEEvSK_.num_named_barrier, 0
	.set _ZN7rocprim17ROCPRIM_400000_NS6detail17trampoline_kernelINS0_14default_configENS1_36segmented_radix_sort_config_selectorIalEEZNS1_25segmented_radix_sort_implIS3_Lb0EPKaPaPKlPlN2at6native12_GLOBAL__N_18offset_tEEE10hipError_tPvRmT1_PNSt15iterator_traitsISK_E10value_typeET2_T3_PNSL_ISQ_E10value_typeET4_jRbjT5_SW_jjP12ihipStream_tbEUlT_E2_NS1_11comp_targetILNS1_3genE4ELNS1_11target_archE910ELNS1_3gpuE8ELNS1_3repE0EEENS1_30default_config_static_selectorELNS0_4arch9wavefront6targetE0EEEvSK_.private_seg_size, 0
	.set _ZN7rocprim17ROCPRIM_400000_NS6detail17trampoline_kernelINS0_14default_configENS1_36segmented_radix_sort_config_selectorIalEEZNS1_25segmented_radix_sort_implIS3_Lb0EPKaPaPKlPlN2at6native12_GLOBAL__N_18offset_tEEE10hipError_tPvRmT1_PNSt15iterator_traitsISK_E10value_typeET2_T3_PNSL_ISQ_E10value_typeET4_jRbjT5_SW_jjP12ihipStream_tbEUlT_E2_NS1_11comp_targetILNS1_3genE4ELNS1_11target_archE910ELNS1_3gpuE8ELNS1_3repE0EEENS1_30default_config_static_selectorELNS0_4arch9wavefront6targetE0EEEvSK_.uses_vcc, 0
	.set _ZN7rocprim17ROCPRIM_400000_NS6detail17trampoline_kernelINS0_14default_configENS1_36segmented_radix_sort_config_selectorIalEEZNS1_25segmented_radix_sort_implIS3_Lb0EPKaPaPKlPlN2at6native12_GLOBAL__N_18offset_tEEE10hipError_tPvRmT1_PNSt15iterator_traitsISK_E10value_typeET2_T3_PNSL_ISQ_E10value_typeET4_jRbjT5_SW_jjP12ihipStream_tbEUlT_E2_NS1_11comp_targetILNS1_3genE4ELNS1_11target_archE910ELNS1_3gpuE8ELNS1_3repE0EEENS1_30default_config_static_selectorELNS0_4arch9wavefront6targetE0EEEvSK_.uses_flat_scratch, 0
	.set _ZN7rocprim17ROCPRIM_400000_NS6detail17trampoline_kernelINS0_14default_configENS1_36segmented_radix_sort_config_selectorIalEEZNS1_25segmented_radix_sort_implIS3_Lb0EPKaPaPKlPlN2at6native12_GLOBAL__N_18offset_tEEE10hipError_tPvRmT1_PNSt15iterator_traitsISK_E10value_typeET2_T3_PNSL_ISQ_E10value_typeET4_jRbjT5_SW_jjP12ihipStream_tbEUlT_E2_NS1_11comp_targetILNS1_3genE4ELNS1_11target_archE910ELNS1_3gpuE8ELNS1_3repE0EEENS1_30default_config_static_selectorELNS0_4arch9wavefront6targetE0EEEvSK_.has_dyn_sized_stack, 0
	.set _ZN7rocprim17ROCPRIM_400000_NS6detail17trampoline_kernelINS0_14default_configENS1_36segmented_radix_sort_config_selectorIalEEZNS1_25segmented_radix_sort_implIS3_Lb0EPKaPaPKlPlN2at6native12_GLOBAL__N_18offset_tEEE10hipError_tPvRmT1_PNSt15iterator_traitsISK_E10value_typeET2_T3_PNSL_ISQ_E10value_typeET4_jRbjT5_SW_jjP12ihipStream_tbEUlT_E2_NS1_11comp_targetILNS1_3genE4ELNS1_11target_archE910ELNS1_3gpuE8ELNS1_3repE0EEENS1_30default_config_static_selectorELNS0_4arch9wavefront6targetE0EEEvSK_.has_recursion, 0
	.set _ZN7rocprim17ROCPRIM_400000_NS6detail17trampoline_kernelINS0_14default_configENS1_36segmented_radix_sort_config_selectorIalEEZNS1_25segmented_radix_sort_implIS3_Lb0EPKaPaPKlPlN2at6native12_GLOBAL__N_18offset_tEEE10hipError_tPvRmT1_PNSt15iterator_traitsISK_E10value_typeET2_T3_PNSL_ISQ_E10value_typeET4_jRbjT5_SW_jjP12ihipStream_tbEUlT_E2_NS1_11comp_targetILNS1_3genE4ELNS1_11target_archE910ELNS1_3gpuE8ELNS1_3repE0EEENS1_30default_config_static_selectorELNS0_4arch9wavefront6targetE0EEEvSK_.has_indirect_call, 0
	.section	.AMDGPU.csdata,"",@progbits
; Kernel info:
; codeLenInByte = 0
; TotalNumSgprs: 0
; NumVgprs: 0
; ScratchSize: 0
; MemoryBound: 0
; FloatMode: 240
; IeeeMode: 1
; LDSByteSize: 0 bytes/workgroup (compile time only)
; SGPRBlocks: 0
; VGPRBlocks: 0
; NumSGPRsForWavesPerEU: 1
; NumVGPRsForWavesPerEU: 1
; NamedBarCnt: 0
; Occupancy: 16
; WaveLimiterHint : 0
; COMPUTE_PGM_RSRC2:SCRATCH_EN: 0
; COMPUTE_PGM_RSRC2:USER_SGPR: 2
; COMPUTE_PGM_RSRC2:TRAP_HANDLER: 0
; COMPUTE_PGM_RSRC2:TGID_X_EN: 1
; COMPUTE_PGM_RSRC2:TGID_Y_EN: 0
; COMPUTE_PGM_RSRC2:TGID_Z_EN: 0
; COMPUTE_PGM_RSRC2:TIDIG_COMP_CNT: 0
	.section	.text._ZN7rocprim17ROCPRIM_400000_NS6detail17trampoline_kernelINS0_14default_configENS1_36segmented_radix_sort_config_selectorIalEEZNS1_25segmented_radix_sort_implIS3_Lb0EPKaPaPKlPlN2at6native12_GLOBAL__N_18offset_tEEE10hipError_tPvRmT1_PNSt15iterator_traitsISK_E10value_typeET2_T3_PNSL_ISQ_E10value_typeET4_jRbjT5_SW_jjP12ihipStream_tbEUlT_E2_NS1_11comp_targetILNS1_3genE3ELNS1_11target_archE908ELNS1_3gpuE7ELNS1_3repE0EEENS1_30default_config_static_selectorELNS0_4arch9wavefront6targetE0EEEvSK_,"axG",@progbits,_ZN7rocprim17ROCPRIM_400000_NS6detail17trampoline_kernelINS0_14default_configENS1_36segmented_radix_sort_config_selectorIalEEZNS1_25segmented_radix_sort_implIS3_Lb0EPKaPaPKlPlN2at6native12_GLOBAL__N_18offset_tEEE10hipError_tPvRmT1_PNSt15iterator_traitsISK_E10value_typeET2_T3_PNSL_ISQ_E10value_typeET4_jRbjT5_SW_jjP12ihipStream_tbEUlT_E2_NS1_11comp_targetILNS1_3genE3ELNS1_11target_archE908ELNS1_3gpuE7ELNS1_3repE0EEENS1_30default_config_static_selectorELNS0_4arch9wavefront6targetE0EEEvSK_,comdat
	.globl	_ZN7rocprim17ROCPRIM_400000_NS6detail17trampoline_kernelINS0_14default_configENS1_36segmented_radix_sort_config_selectorIalEEZNS1_25segmented_radix_sort_implIS3_Lb0EPKaPaPKlPlN2at6native12_GLOBAL__N_18offset_tEEE10hipError_tPvRmT1_PNSt15iterator_traitsISK_E10value_typeET2_T3_PNSL_ISQ_E10value_typeET4_jRbjT5_SW_jjP12ihipStream_tbEUlT_E2_NS1_11comp_targetILNS1_3genE3ELNS1_11target_archE908ELNS1_3gpuE7ELNS1_3repE0EEENS1_30default_config_static_selectorELNS0_4arch9wavefront6targetE0EEEvSK_ ; -- Begin function _ZN7rocprim17ROCPRIM_400000_NS6detail17trampoline_kernelINS0_14default_configENS1_36segmented_radix_sort_config_selectorIalEEZNS1_25segmented_radix_sort_implIS3_Lb0EPKaPaPKlPlN2at6native12_GLOBAL__N_18offset_tEEE10hipError_tPvRmT1_PNSt15iterator_traitsISK_E10value_typeET2_T3_PNSL_ISQ_E10value_typeET4_jRbjT5_SW_jjP12ihipStream_tbEUlT_E2_NS1_11comp_targetILNS1_3genE3ELNS1_11target_archE908ELNS1_3gpuE7ELNS1_3repE0EEENS1_30default_config_static_selectorELNS0_4arch9wavefront6targetE0EEEvSK_
	.p2align	8
	.type	_ZN7rocprim17ROCPRIM_400000_NS6detail17trampoline_kernelINS0_14default_configENS1_36segmented_radix_sort_config_selectorIalEEZNS1_25segmented_radix_sort_implIS3_Lb0EPKaPaPKlPlN2at6native12_GLOBAL__N_18offset_tEEE10hipError_tPvRmT1_PNSt15iterator_traitsISK_E10value_typeET2_T3_PNSL_ISQ_E10value_typeET4_jRbjT5_SW_jjP12ihipStream_tbEUlT_E2_NS1_11comp_targetILNS1_3genE3ELNS1_11target_archE908ELNS1_3gpuE7ELNS1_3repE0EEENS1_30default_config_static_selectorELNS0_4arch9wavefront6targetE0EEEvSK_,@function
_ZN7rocprim17ROCPRIM_400000_NS6detail17trampoline_kernelINS0_14default_configENS1_36segmented_radix_sort_config_selectorIalEEZNS1_25segmented_radix_sort_implIS3_Lb0EPKaPaPKlPlN2at6native12_GLOBAL__N_18offset_tEEE10hipError_tPvRmT1_PNSt15iterator_traitsISK_E10value_typeET2_T3_PNSL_ISQ_E10value_typeET4_jRbjT5_SW_jjP12ihipStream_tbEUlT_E2_NS1_11comp_targetILNS1_3genE3ELNS1_11target_archE908ELNS1_3gpuE7ELNS1_3repE0EEENS1_30default_config_static_selectorELNS0_4arch9wavefront6targetE0EEEvSK_: ; @_ZN7rocprim17ROCPRIM_400000_NS6detail17trampoline_kernelINS0_14default_configENS1_36segmented_radix_sort_config_selectorIalEEZNS1_25segmented_radix_sort_implIS3_Lb0EPKaPaPKlPlN2at6native12_GLOBAL__N_18offset_tEEE10hipError_tPvRmT1_PNSt15iterator_traitsISK_E10value_typeET2_T3_PNSL_ISQ_E10value_typeET4_jRbjT5_SW_jjP12ihipStream_tbEUlT_E2_NS1_11comp_targetILNS1_3genE3ELNS1_11target_archE908ELNS1_3gpuE7ELNS1_3repE0EEENS1_30default_config_static_selectorELNS0_4arch9wavefront6targetE0EEEvSK_
; %bb.0:
	.section	.rodata,"a",@progbits
	.p2align	6, 0x0
	.amdhsa_kernel _ZN7rocprim17ROCPRIM_400000_NS6detail17trampoline_kernelINS0_14default_configENS1_36segmented_radix_sort_config_selectorIalEEZNS1_25segmented_radix_sort_implIS3_Lb0EPKaPaPKlPlN2at6native12_GLOBAL__N_18offset_tEEE10hipError_tPvRmT1_PNSt15iterator_traitsISK_E10value_typeET2_T3_PNSL_ISQ_E10value_typeET4_jRbjT5_SW_jjP12ihipStream_tbEUlT_E2_NS1_11comp_targetILNS1_3genE3ELNS1_11target_archE908ELNS1_3gpuE7ELNS1_3repE0EEENS1_30default_config_static_selectorELNS0_4arch9wavefront6targetE0EEEvSK_
		.amdhsa_group_segment_fixed_size 0
		.amdhsa_private_segment_fixed_size 0
		.amdhsa_kernarg_size 80
		.amdhsa_user_sgpr_count 2
		.amdhsa_user_sgpr_dispatch_ptr 0
		.amdhsa_user_sgpr_queue_ptr 0
		.amdhsa_user_sgpr_kernarg_segment_ptr 1
		.amdhsa_user_sgpr_dispatch_id 0
		.amdhsa_user_sgpr_kernarg_preload_length 0
		.amdhsa_user_sgpr_kernarg_preload_offset 0
		.amdhsa_user_sgpr_private_segment_size 0
		.amdhsa_wavefront_size32 1
		.amdhsa_uses_dynamic_stack 0
		.amdhsa_enable_private_segment 0
		.amdhsa_system_sgpr_workgroup_id_x 1
		.amdhsa_system_sgpr_workgroup_id_y 0
		.amdhsa_system_sgpr_workgroup_id_z 0
		.amdhsa_system_sgpr_workgroup_info 0
		.amdhsa_system_vgpr_workitem_id 0
		.amdhsa_next_free_vgpr 1
		.amdhsa_next_free_sgpr 1
		.amdhsa_named_barrier_count 0
		.amdhsa_reserve_vcc 0
		.amdhsa_float_round_mode_32 0
		.amdhsa_float_round_mode_16_64 0
		.amdhsa_float_denorm_mode_32 3
		.amdhsa_float_denorm_mode_16_64 3
		.amdhsa_fp16_overflow 0
		.amdhsa_memory_ordered 1
		.amdhsa_forward_progress 1
		.amdhsa_inst_pref_size 0
		.amdhsa_round_robin_scheduling 0
		.amdhsa_exception_fp_ieee_invalid_op 0
		.amdhsa_exception_fp_denorm_src 0
		.amdhsa_exception_fp_ieee_div_zero 0
		.amdhsa_exception_fp_ieee_overflow 0
		.amdhsa_exception_fp_ieee_underflow 0
		.amdhsa_exception_fp_ieee_inexact 0
		.amdhsa_exception_int_div_zero 0
	.end_amdhsa_kernel
	.section	.text._ZN7rocprim17ROCPRIM_400000_NS6detail17trampoline_kernelINS0_14default_configENS1_36segmented_radix_sort_config_selectorIalEEZNS1_25segmented_radix_sort_implIS3_Lb0EPKaPaPKlPlN2at6native12_GLOBAL__N_18offset_tEEE10hipError_tPvRmT1_PNSt15iterator_traitsISK_E10value_typeET2_T3_PNSL_ISQ_E10value_typeET4_jRbjT5_SW_jjP12ihipStream_tbEUlT_E2_NS1_11comp_targetILNS1_3genE3ELNS1_11target_archE908ELNS1_3gpuE7ELNS1_3repE0EEENS1_30default_config_static_selectorELNS0_4arch9wavefront6targetE0EEEvSK_,"axG",@progbits,_ZN7rocprim17ROCPRIM_400000_NS6detail17trampoline_kernelINS0_14default_configENS1_36segmented_radix_sort_config_selectorIalEEZNS1_25segmented_radix_sort_implIS3_Lb0EPKaPaPKlPlN2at6native12_GLOBAL__N_18offset_tEEE10hipError_tPvRmT1_PNSt15iterator_traitsISK_E10value_typeET2_T3_PNSL_ISQ_E10value_typeET4_jRbjT5_SW_jjP12ihipStream_tbEUlT_E2_NS1_11comp_targetILNS1_3genE3ELNS1_11target_archE908ELNS1_3gpuE7ELNS1_3repE0EEENS1_30default_config_static_selectorELNS0_4arch9wavefront6targetE0EEEvSK_,comdat
.Lfunc_end422:
	.size	_ZN7rocprim17ROCPRIM_400000_NS6detail17trampoline_kernelINS0_14default_configENS1_36segmented_radix_sort_config_selectorIalEEZNS1_25segmented_radix_sort_implIS3_Lb0EPKaPaPKlPlN2at6native12_GLOBAL__N_18offset_tEEE10hipError_tPvRmT1_PNSt15iterator_traitsISK_E10value_typeET2_T3_PNSL_ISQ_E10value_typeET4_jRbjT5_SW_jjP12ihipStream_tbEUlT_E2_NS1_11comp_targetILNS1_3genE3ELNS1_11target_archE908ELNS1_3gpuE7ELNS1_3repE0EEENS1_30default_config_static_selectorELNS0_4arch9wavefront6targetE0EEEvSK_, .Lfunc_end422-_ZN7rocprim17ROCPRIM_400000_NS6detail17trampoline_kernelINS0_14default_configENS1_36segmented_radix_sort_config_selectorIalEEZNS1_25segmented_radix_sort_implIS3_Lb0EPKaPaPKlPlN2at6native12_GLOBAL__N_18offset_tEEE10hipError_tPvRmT1_PNSt15iterator_traitsISK_E10value_typeET2_T3_PNSL_ISQ_E10value_typeET4_jRbjT5_SW_jjP12ihipStream_tbEUlT_E2_NS1_11comp_targetILNS1_3genE3ELNS1_11target_archE908ELNS1_3gpuE7ELNS1_3repE0EEENS1_30default_config_static_selectorELNS0_4arch9wavefront6targetE0EEEvSK_
                                        ; -- End function
	.set _ZN7rocprim17ROCPRIM_400000_NS6detail17trampoline_kernelINS0_14default_configENS1_36segmented_radix_sort_config_selectorIalEEZNS1_25segmented_radix_sort_implIS3_Lb0EPKaPaPKlPlN2at6native12_GLOBAL__N_18offset_tEEE10hipError_tPvRmT1_PNSt15iterator_traitsISK_E10value_typeET2_T3_PNSL_ISQ_E10value_typeET4_jRbjT5_SW_jjP12ihipStream_tbEUlT_E2_NS1_11comp_targetILNS1_3genE3ELNS1_11target_archE908ELNS1_3gpuE7ELNS1_3repE0EEENS1_30default_config_static_selectorELNS0_4arch9wavefront6targetE0EEEvSK_.num_vgpr, 0
	.set _ZN7rocprim17ROCPRIM_400000_NS6detail17trampoline_kernelINS0_14default_configENS1_36segmented_radix_sort_config_selectorIalEEZNS1_25segmented_radix_sort_implIS3_Lb0EPKaPaPKlPlN2at6native12_GLOBAL__N_18offset_tEEE10hipError_tPvRmT1_PNSt15iterator_traitsISK_E10value_typeET2_T3_PNSL_ISQ_E10value_typeET4_jRbjT5_SW_jjP12ihipStream_tbEUlT_E2_NS1_11comp_targetILNS1_3genE3ELNS1_11target_archE908ELNS1_3gpuE7ELNS1_3repE0EEENS1_30default_config_static_selectorELNS0_4arch9wavefront6targetE0EEEvSK_.num_agpr, 0
	.set _ZN7rocprim17ROCPRIM_400000_NS6detail17trampoline_kernelINS0_14default_configENS1_36segmented_radix_sort_config_selectorIalEEZNS1_25segmented_radix_sort_implIS3_Lb0EPKaPaPKlPlN2at6native12_GLOBAL__N_18offset_tEEE10hipError_tPvRmT1_PNSt15iterator_traitsISK_E10value_typeET2_T3_PNSL_ISQ_E10value_typeET4_jRbjT5_SW_jjP12ihipStream_tbEUlT_E2_NS1_11comp_targetILNS1_3genE3ELNS1_11target_archE908ELNS1_3gpuE7ELNS1_3repE0EEENS1_30default_config_static_selectorELNS0_4arch9wavefront6targetE0EEEvSK_.numbered_sgpr, 0
	.set _ZN7rocprim17ROCPRIM_400000_NS6detail17trampoline_kernelINS0_14default_configENS1_36segmented_radix_sort_config_selectorIalEEZNS1_25segmented_radix_sort_implIS3_Lb0EPKaPaPKlPlN2at6native12_GLOBAL__N_18offset_tEEE10hipError_tPvRmT1_PNSt15iterator_traitsISK_E10value_typeET2_T3_PNSL_ISQ_E10value_typeET4_jRbjT5_SW_jjP12ihipStream_tbEUlT_E2_NS1_11comp_targetILNS1_3genE3ELNS1_11target_archE908ELNS1_3gpuE7ELNS1_3repE0EEENS1_30default_config_static_selectorELNS0_4arch9wavefront6targetE0EEEvSK_.num_named_barrier, 0
	.set _ZN7rocprim17ROCPRIM_400000_NS6detail17trampoline_kernelINS0_14default_configENS1_36segmented_radix_sort_config_selectorIalEEZNS1_25segmented_radix_sort_implIS3_Lb0EPKaPaPKlPlN2at6native12_GLOBAL__N_18offset_tEEE10hipError_tPvRmT1_PNSt15iterator_traitsISK_E10value_typeET2_T3_PNSL_ISQ_E10value_typeET4_jRbjT5_SW_jjP12ihipStream_tbEUlT_E2_NS1_11comp_targetILNS1_3genE3ELNS1_11target_archE908ELNS1_3gpuE7ELNS1_3repE0EEENS1_30default_config_static_selectorELNS0_4arch9wavefront6targetE0EEEvSK_.private_seg_size, 0
	.set _ZN7rocprim17ROCPRIM_400000_NS6detail17trampoline_kernelINS0_14default_configENS1_36segmented_radix_sort_config_selectorIalEEZNS1_25segmented_radix_sort_implIS3_Lb0EPKaPaPKlPlN2at6native12_GLOBAL__N_18offset_tEEE10hipError_tPvRmT1_PNSt15iterator_traitsISK_E10value_typeET2_T3_PNSL_ISQ_E10value_typeET4_jRbjT5_SW_jjP12ihipStream_tbEUlT_E2_NS1_11comp_targetILNS1_3genE3ELNS1_11target_archE908ELNS1_3gpuE7ELNS1_3repE0EEENS1_30default_config_static_selectorELNS0_4arch9wavefront6targetE0EEEvSK_.uses_vcc, 0
	.set _ZN7rocprim17ROCPRIM_400000_NS6detail17trampoline_kernelINS0_14default_configENS1_36segmented_radix_sort_config_selectorIalEEZNS1_25segmented_radix_sort_implIS3_Lb0EPKaPaPKlPlN2at6native12_GLOBAL__N_18offset_tEEE10hipError_tPvRmT1_PNSt15iterator_traitsISK_E10value_typeET2_T3_PNSL_ISQ_E10value_typeET4_jRbjT5_SW_jjP12ihipStream_tbEUlT_E2_NS1_11comp_targetILNS1_3genE3ELNS1_11target_archE908ELNS1_3gpuE7ELNS1_3repE0EEENS1_30default_config_static_selectorELNS0_4arch9wavefront6targetE0EEEvSK_.uses_flat_scratch, 0
	.set _ZN7rocprim17ROCPRIM_400000_NS6detail17trampoline_kernelINS0_14default_configENS1_36segmented_radix_sort_config_selectorIalEEZNS1_25segmented_radix_sort_implIS3_Lb0EPKaPaPKlPlN2at6native12_GLOBAL__N_18offset_tEEE10hipError_tPvRmT1_PNSt15iterator_traitsISK_E10value_typeET2_T3_PNSL_ISQ_E10value_typeET4_jRbjT5_SW_jjP12ihipStream_tbEUlT_E2_NS1_11comp_targetILNS1_3genE3ELNS1_11target_archE908ELNS1_3gpuE7ELNS1_3repE0EEENS1_30default_config_static_selectorELNS0_4arch9wavefront6targetE0EEEvSK_.has_dyn_sized_stack, 0
	.set _ZN7rocprim17ROCPRIM_400000_NS6detail17trampoline_kernelINS0_14default_configENS1_36segmented_radix_sort_config_selectorIalEEZNS1_25segmented_radix_sort_implIS3_Lb0EPKaPaPKlPlN2at6native12_GLOBAL__N_18offset_tEEE10hipError_tPvRmT1_PNSt15iterator_traitsISK_E10value_typeET2_T3_PNSL_ISQ_E10value_typeET4_jRbjT5_SW_jjP12ihipStream_tbEUlT_E2_NS1_11comp_targetILNS1_3genE3ELNS1_11target_archE908ELNS1_3gpuE7ELNS1_3repE0EEENS1_30default_config_static_selectorELNS0_4arch9wavefront6targetE0EEEvSK_.has_recursion, 0
	.set _ZN7rocprim17ROCPRIM_400000_NS6detail17trampoline_kernelINS0_14default_configENS1_36segmented_radix_sort_config_selectorIalEEZNS1_25segmented_radix_sort_implIS3_Lb0EPKaPaPKlPlN2at6native12_GLOBAL__N_18offset_tEEE10hipError_tPvRmT1_PNSt15iterator_traitsISK_E10value_typeET2_T3_PNSL_ISQ_E10value_typeET4_jRbjT5_SW_jjP12ihipStream_tbEUlT_E2_NS1_11comp_targetILNS1_3genE3ELNS1_11target_archE908ELNS1_3gpuE7ELNS1_3repE0EEENS1_30default_config_static_selectorELNS0_4arch9wavefront6targetE0EEEvSK_.has_indirect_call, 0
	.section	.AMDGPU.csdata,"",@progbits
; Kernel info:
; codeLenInByte = 0
; TotalNumSgprs: 0
; NumVgprs: 0
; ScratchSize: 0
; MemoryBound: 0
; FloatMode: 240
; IeeeMode: 1
; LDSByteSize: 0 bytes/workgroup (compile time only)
; SGPRBlocks: 0
; VGPRBlocks: 0
; NumSGPRsForWavesPerEU: 1
; NumVGPRsForWavesPerEU: 1
; NamedBarCnt: 0
; Occupancy: 16
; WaveLimiterHint : 0
; COMPUTE_PGM_RSRC2:SCRATCH_EN: 0
; COMPUTE_PGM_RSRC2:USER_SGPR: 2
; COMPUTE_PGM_RSRC2:TRAP_HANDLER: 0
; COMPUTE_PGM_RSRC2:TGID_X_EN: 1
; COMPUTE_PGM_RSRC2:TGID_Y_EN: 0
; COMPUTE_PGM_RSRC2:TGID_Z_EN: 0
; COMPUTE_PGM_RSRC2:TIDIG_COMP_CNT: 0
	.section	.text._ZN7rocprim17ROCPRIM_400000_NS6detail17trampoline_kernelINS0_14default_configENS1_36segmented_radix_sort_config_selectorIalEEZNS1_25segmented_radix_sort_implIS3_Lb0EPKaPaPKlPlN2at6native12_GLOBAL__N_18offset_tEEE10hipError_tPvRmT1_PNSt15iterator_traitsISK_E10value_typeET2_T3_PNSL_ISQ_E10value_typeET4_jRbjT5_SW_jjP12ihipStream_tbEUlT_E2_NS1_11comp_targetILNS1_3genE2ELNS1_11target_archE906ELNS1_3gpuE6ELNS1_3repE0EEENS1_30default_config_static_selectorELNS0_4arch9wavefront6targetE0EEEvSK_,"axG",@progbits,_ZN7rocprim17ROCPRIM_400000_NS6detail17trampoline_kernelINS0_14default_configENS1_36segmented_radix_sort_config_selectorIalEEZNS1_25segmented_radix_sort_implIS3_Lb0EPKaPaPKlPlN2at6native12_GLOBAL__N_18offset_tEEE10hipError_tPvRmT1_PNSt15iterator_traitsISK_E10value_typeET2_T3_PNSL_ISQ_E10value_typeET4_jRbjT5_SW_jjP12ihipStream_tbEUlT_E2_NS1_11comp_targetILNS1_3genE2ELNS1_11target_archE906ELNS1_3gpuE6ELNS1_3repE0EEENS1_30default_config_static_selectorELNS0_4arch9wavefront6targetE0EEEvSK_,comdat
	.globl	_ZN7rocprim17ROCPRIM_400000_NS6detail17trampoline_kernelINS0_14default_configENS1_36segmented_radix_sort_config_selectorIalEEZNS1_25segmented_radix_sort_implIS3_Lb0EPKaPaPKlPlN2at6native12_GLOBAL__N_18offset_tEEE10hipError_tPvRmT1_PNSt15iterator_traitsISK_E10value_typeET2_T3_PNSL_ISQ_E10value_typeET4_jRbjT5_SW_jjP12ihipStream_tbEUlT_E2_NS1_11comp_targetILNS1_3genE2ELNS1_11target_archE906ELNS1_3gpuE6ELNS1_3repE0EEENS1_30default_config_static_selectorELNS0_4arch9wavefront6targetE0EEEvSK_ ; -- Begin function _ZN7rocprim17ROCPRIM_400000_NS6detail17trampoline_kernelINS0_14default_configENS1_36segmented_radix_sort_config_selectorIalEEZNS1_25segmented_radix_sort_implIS3_Lb0EPKaPaPKlPlN2at6native12_GLOBAL__N_18offset_tEEE10hipError_tPvRmT1_PNSt15iterator_traitsISK_E10value_typeET2_T3_PNSL_ISQ_E10value_typeET4_jRbjT5_SW_jjP12ihipStream_tbEUlT_E2_NS1_11comp_targetILNS1_3genE2ELNS1_11target_archE906ELNS1_3gpuE6ELNS1_3repE0EEENS1_30default_config_static_selectorELNS0_4arch9wavefront6targetE0EEEvSK_
	.p2align	8
	.type	_ZN7rocprim17ROCPRIM_400000_NS6detail17trampoline_kernelINS0_14default_configENS1_36segmented_radix_sort_config_selectorIalEEZNS1_25segmented_radix_sort_implIS3_Lb0EPKaPaPKlPlN2at6native12_GLOBAL__N_18offset_tEEE10hipError_tPvRmT1_PNSt15iterator_traitsISK_E10value_typeET2_T3_PNSL_ISQ_E10value_typeET4_jRbjT5_SW_jjP12ihipStream_tbEUlT_E2_NS1_11comp_targetILNS1_3genE2ELNS1_11target_archE906ELNS1_3gpuE6ELNS1_3repE0EEENS1_30default_config_static_selectorELNS0_4arch9wavefront6targetE0EEEvSK_,@function
_ZN7rocprim17ROCPRIM_400000_NS6detail17trampoline_kernelINS0_14default_configENS1_36segmented_radix_sort_config_selectorIalEEZNS1_25segmented_radix_sort_implIS3_Lb0EPKaPaPKlPlN2at6native12_GLOBAL__N_18offset_tEEE10hipError_tPvRmT1_PNSt15iterator_traitsISK_E10value_typeET2_T3_PNSL_ISQ_E10value_typeET4_jRbjT5_SW_jjP12ihipStream_tbEUlT_E2_NS1_11comp_targetILNS1_3genE2ELNS1_11target_archE906ELNS1_3gpuE6ELNS1_3repE0EEENS1_30default_config_static_selectorELNS0_4arch9wavefront6targetE0EEEvSK_: ; @_ZN7rocprim17ROCPRIM_400000_NS6detail17trampoline_kernelINS0_14default_configENS1_36segmented_radix_sort_config_selectorIalEEZNS1_25segmented_radix_sort_implIS3_Lb0EPKaPaPKlPlN2at6native12_GLOBAL__N_18offset_tEEE10hipError_tPvRmT1_PNSt15iterator_traitsISK_E10value_typeET2_T3_PNSL_ISQ_E10value_typeET4_jRbjT5_SW_jjP12ihipStream_tbEUlT_E2_NS1_11comp_targetILNS1_3genE2ELNS1_11target_archE906ELNS1_3gpuE6ELNS1_3repE0EEENS1_30default_config_static_selectorELNS0_4arch9wavefront6targetE0EEEvSK_
; %bb.0:
	.section	.rodata,"a",@progbits
	.p2align	6, 0x0
	.amdhsa_kernel _ZN7rocprim17ROCPRIM_400000_NS6detail17trampoline_kernelINS0_14default_configENS1_36segmented_radix_sort_config_selectorIalEEZNS1_25segmented_radix_sort_implIS3_Lb0EPKaPaPKlPlN2at6native12_GLOBAL__N_18offset_tEEE10hipError_tPvRmT1_PNSt15iterator_traitsISK_E10value_typeET2_T3_PNSL_ISQ_E10value_typeET4_jRbjT5_SW_jjP12ihipStream_tbEUlT_E2_NS1_11comp_targetILNS1_3genE2ELNS1_11target_archE906ELNS1_3gpuE6ELNS1_3repE0EEENS1_30default_config_static_selectorELNS0_4arch9wavefront6targetE0EEEvSK_
		.amdhsa_group_segment_fixed_size 0
		.amdhsa_private_segment_fixed_size 0
		.amdhsa_kernarg_size 80
		.amdhsa_user_sgpr_count 2
		.amdhsa_user_sgpr_dispatch_ptr 0
		.amdhsa_user_sgpr_queue_ptr 0
		.amdhsa_user_sgpr_kernarg_segment_ptr 1
		.amdhsa_user_sgpr_dispatch_id 0
		.amdhsa_user_sgpr_kernarg_preload_length 0
		.amdhsa_user_sgpr_kernarg_preload_offset 0
		.amdhsa_user_sgpr_private_segment_size 0
		.amdhsa_wavefront_size32 1
		.amdhsa_uses_dynamic_stack 0
		.amdhsa_enable_private_segment 0
		.amdhsa_system_sgpr_workgroup_id_x 1
		.amdhsa_system_sgpr_workgroup_id_y 0
		.amdhsa_system_sgpr_workgroup_id_z 0
		.amdhsa_system_sgpr_workgroup_info 0
		.amdhsa_system_vgpr_workitem_id 0
		.amdhsa_next_free_vgpr 1
		.amdhsa_next_free_sgpr 1
		.amdhsa_named_barrier_count 0
		.amdhsa_reserve_vcc 0
		.amdhsa_float_round_mode_32 0
		.amdhsa_float_round_mode_16_64 0
		.amdhsa_float_denorm_mode_32 3
		.amdhsa_float_denorm_mode_16_64 3
		.amdhsa_fp16_overflow 0
		.amdhsa_memory_ordered 1
		.amdhsa_forward_progress 1
		.amdhsa_inst_pref_size 0
		.amdhsa_round_robin_scheduling 0
		.amdhsa_exception_fp_ieee_invalid_op 0
		.amdhsa_exception_fp_denorm_src 0
		.amdhsa_exception_fp_ieee_div_zero 0
		.amdhsa_exception_fp_ieee_overflow 0
		.amdhsa_exception_fp_ieee_underflow 0
		.amdhsa_exception_fp_ieee_inexact 0
		.amdhsa_exception_int_div_zero 0
	.end_amdhsa_kernel
	.section	.text._ZN7rocprim17ROCPRIM_400000_NS6detail17trampoline_kernelINS0_14default_configENS1_36segmented_radix_sort_config_selectorIalEEZNS1_25segmented_radix_sort_implIS3_Lb0EPKaPaPKlPlN2at6native12_GLOBAL__N_18offset_tEEE10hipError_tPvRmT1_PNSt15iterator_traitsISK_E10value_typeET2_T3_PNSL_ISQ_E10value_typeET4_jRbjT5_SW_jjP12ihipStream_tbEUlT_E2_NS1_11comp_targetILNS1_3genE2ELNS1_11target_archE906ELNS1_3gpuE6ELNS1_3repE0EEENS1_30default_config_static_selectorELNS0_4arch9wavefront6targetE0EEEvSK_,"axG",@progbits,_ZN7rocprim17ROCPRIM_400000_NS6detail17trampoline_kernelINS0_14default_configENS1_36segmented_radix_sort_config_selectorIalEEZNS1_25segmented_radix_sort_implIS3_Lb0EPKaPaPKlPlN2at6native12_GLOBAL__N_18offset_tEEE10hipError_tPvRmT1_PNSt15iterator_traitsISK_E10value_typeET2_T3_PNSL_ISQ_E10value_typeET4_jRbjT5_SW_jjP12ihipStream_tbEUlT_E2_NS1_11comp_targetILNS1_3genE2ELNS1_11target_archE906ELNS1_3gpuE6ELNS1_3repE0EEENS1_30default_config_static_selectorELNS0_4arch9wavefront6targetE0EEEvSK_,comdat
.Lfunc_end423:
	.size	_ZN7rocprim17ROCPRIM_400000_NS6detail17trampoline_kernelINS0_14default_configENS1_36segmented_radix_sort_config_selectorIalEEZNS1_25segmented_radix_sort_implIS3_Lb0EPKaPaPKlPlN2at6native12_GLOBAL__N_18offset_tEEE10hipError_tPvRmT1_PNSt15iterator_traitsISK_E10value_typeET2_T3_PNSL_ISQ_E10value_typeET4_jRbjT5_SW_jjP12ihipStream_tbEUlT_E2_NS1_11comp_targetILNS1_3genE2ELNS1_11target_archE906ELNS1_3gpuE6ELNS1_3repE0EEENS1_30default_config_static_selectorELNS0_4arch9wavefront6targetE0EEEvSK_, .Lfunc_end423-_ZN7rocprim17ROCPRIM_400000_NS6detail17trampoline_kernelINS0_14default_configENS1_36segmented_radix_sort_config_selectorIalEEZNS1_25segmented_radix_sort_implIS3_Lb0EPKaPaPKlPlN2at6native12_GLOBAL__N_18offset_tEEE10hipError_tPvRmT1_PNSt15iterator_traitsISK_E10value_typeET2_T3_PNSL_ISQ_E10value_typeET4_jRbjT5_SW_jjP12ihipStream_tbEUlT_E2_NS1_11comp_targetILNS1_3genE2ELNS1_11target_archE906ELNS1_3gpuE6ELNS1_3repE0EEENS1_30default_config_static_selectorELNS0_4arch9wavefront6targetE0EEEvSK_
                                        ; -- End function
	.set _ZN7rocprim17ROCPRIM_400000_NS6detail17trampoline_kernelINS0_14default_configENS1_36segmented_radix_sort_config_selectorIalEEZNS1_25segmented_radix_sort_implIS3_Lb0EPKaPaPKlPlN2at6native12_GLOBAL__N_18offset_tEEE10hipError_tPvRmT1_PNSt15iterator_traitsISK_E10value_typeET2_T3_PNSL_ISQ_E10value_typeET4_jRbjT5_SW_jjP12ihipStream_tbEUlT_E2_NS1_11comp_targetILNS1_3genE2ELNS1_11target_archE906ELNS1_3gpuE6ELNS1_3repE0EEENS1_30default_config_static_selectorELNS0_4arch9wavefront6targetE0EEEvSK_.num_vgpr, 0
	.set _ZN7rocprim17ROCPRIM_400000_NS6detail17trampoline_kernelINS0_14default_configENS1_36segmented_radix_sort_config_selectorIalEEZNS1_25segmented_radix_sort_implIS3_Lb0EPKaPaPKlPlN2at6native12_GLOBAL__N_18offset_tEEE10hipError_tPvRmT1_PNSt15iterator_traitsISK_E10value_typeET2_T3_PNSL_ISQ_E10value_typeET4_jRbjT5_SW_jjP12ihipStream_tbEUlT_E2_NS1_11comp_targetILNS1_3genE2ELNS1_11target_archE906ELNS1_3gpuE6ELNS1_3repE0EEENS1_30default_config_static_selectorELNS0_4arch9wavefront6targetE0EEEvSK_.num_agpr, 0
	.set _ZN7rocprim17ROCPRIM_400000_NS6detail17trampoline_kernelINS0_14default_configENS1_36segmented_radix_sort_config_selectorIalEEZNS1_25segmented_radix_sort_implIS3_Lb0EPKaPaPKlPlN2at6native12_GLOBAL__N_18offset_tEEE10hipError_tPvRmT1_PNSt15iterator_traitsISK_E10value_typeET2_T3_PNSL_ISQ_E10value_typeET4_jRbjT5_SW_jjP12ihipStream_tbEUlT_E2_NS1_11comp_targetILNS1_3genE2ELNS1_11target_archE906ELNS1_3gpuE6ELNS1_3repE0EEENS1_30default_config_static_selectorELNS0_4arch9wavefront6targetE0EEEvSK_.numbered_sgpr, 0
	.set _ZN7rocprim17ROCPRIM_400000_NS6detail17trampoline_kernelINS0_14default_configENS1_36segmented_radix_sort_config_selectorIalEEZNS1_25segmented_radix_sort_implIS3_Lb0EPKaPaPKlPlN2at6native12_GLOBAL__N_18offset_tEEE10hipError_tPvRmT1_PNSt15iterator_traitsISK_E10value_typeET2_T3_PNSL_ISQ_E10value_typeET4_jRbjT5_SW_jjP12ihipStream_tbEUlT_E2_NS1_11comp_targetILNS1_3genE2ELNS1_11target_archE906ELNS1_3gpuE6ELNS1_3repE0EEENS1_30default_config_static_selectorELNS0_4arch9wavefront6targetE0EEEvSK_.num_named_barrier, 0
	.set _ZN7rocprim17ROCPRIM_400000_NS6detail17trampoline_kernelINS0_14default_configENS1_36segmented_radix_sort_config_selectorIalEEZNS1_25segmented_radix_sort_implIS3_Lb0EPKaPaPKlPlN2at6native12_GLOBAL__N_18offset_tEEE10hipError_tPvRmT1_PNSt15iterator_traitsISK_E10value_typeET2_T3_PNSL_ISQ_E10value_typeET4_jRbjT5_SW_jjP12ihipStream_tbEUlT_E2_NS1_11comp_targetILNS1_3genE2ELNS1_11target_archE906ELNS1_3gpuE6ELNS1_3repE0EEENS1_30default_config_static_selectorELNS0_4arch9wavefront6targetE0EEEvSK_.private_seg_size, 0
	.set _ZN7rocprim17ROCPRIM_400000_NS6detail17trampoline_kernelINS0_14default_configENS1_36segmented_radix_sort_config_selectorIalEEZNS1_25segmented_radix_sort_implIS3_Lb0EPKaPaPKlPlN2at6native12_GLOBAL__N_18offset_tEEE10hipError_tPvRmT1_PNSt15iterator_traitsISK_E10value_typeET2_T3_PNSL_ISQ_E10value_typeET4_jRbjT5_SW_jjP12ihipStream_tbEUlT_E2_NS1_11comp_targetILNS1_3genE2ELNS1_11target_archE906ELNS1_3gpuE6ELNS1_3repE0EEENS1_30default_config_static_selectorELNS0_4arch9wavefront6targetE0EEEvSK_.uses_vcc, 0
	.set _ZN7rocprim17ROCPRIM_400000_NS6detail17trampoline_kernelINS0_14default_configENS1_36segmented_radix_sort_config_selectorIalEEZNS1_25segmented_radix_sort_implIS3_Lb0EPKaPaPKlPlN2at6native12_GLOBAL__N_18offset_tEEE10hipError_tPvRmT1_PNSt15iterator_traitsISK_E10value_typeET2_T3_PNSL_ISQ_E10value_typeET4_jRbjT5_SW_jjP12ihipStream_tbEUlT_E2_NS1_11comp_targetILNS1_3genE2ELNS1_11target_archE906ELNS1_3gpuE6ELNS1_3repE0EEENS1_30default_config_static_selectorELNS0_4arch9wavefront6targetE0EEEvSK_.uses_flat_scratch, 0
	.set _ZN7rocprim17ROCPRIM_400000_NS6detail17trampoline_kernelINS0_14default_configENS1_36segmented_radix_sort_config_selectorIalEEZNS1_25segmented_radix_sort_implIS3_Lb0EPKaPaPKlPlN2at6native12_GLOBAL__N_18offset_tEEE10hipError_tPvRmT1_PNSt15iterator_traitsISK_E10value_typeET2_T3_PNSL_ISQ_E10value_typeET4_jRbjT5_SW_jjP12ihipStream_tbEUlT_E2_NS1_11comp_targetILNS1_3genE2ELNS1_11target_archE906ELNS1_3gpuE6ELNS1_3repE0EEENS1_30default_config_static_selectorELNS0_4arch9wavefront6targetE0EEEvSK_.has_dyn_sized_stack, 0
	.set _ZN7rocprim17ROCPRIM_400000_NS6detail17trampoline_kernelINS0_14default_configENS1_36segmented_radix_sort_config_selectorIalEEZNS1_25segmented_radix_sort_implIS3_Lb0EPKaPaPKlPlN2at6native12_GLOBAL__N_18offset_tEEE10hipError_tPvRmT1_PNSt15iterator_traitsISK_E10value_typeET2_T3_PNSL_ISQ_E10value_typeET4_jRbjT5_SW_jjP12ihipStream_tbEUlT_E2_NS1_11comp_targetILNS1_3genE2ELNS1_11target_archE906ELNS1_3gpuE6ELNS1_3repE0EEENS1_30default_config_static_selectorELNS0_4arch9wavefront6targetE0EEEvSK_.has_recursion, 0
	.set _ZN7rocprim17ROCPRIM_400000_NS6detail17trampoline_kernelINS0_14default_configENS1_36segmented_radix_sort_config_selectorIalEEZNS1_25segmented_radix_sort_implIS3_Lb0EPKaPaPKlPlN2at6native12_GLOBAL__N_18offset_tEEE10hipError_tPvRmT1_PNSt15iterator_traitsISK_E10value_typeET2_T3_PNSL_ISQ_E10value_typeET4_jRbjT5_SW_jjP12ihipStream_tbEUlT_E2_NS1_11comp_targetILNS1_3genE2ELNS1_11target_archE906ELNS1_3gpuE6ELNS1_3repE0EEENS1_30default_config_static_selectorELNS0_4arch9wavefront6targetE0EEEvSK_.has_indirect_call, 0
	.section	.AMDGPU.csdata,"",@progbits
; Kernel info:
; codeLenInByte = 0
; TotalNumSgprs: 0
; NumVgprs: 0
; ScratchSize: 0
; MemoryBound: 0
; FloatMode: 240
; IeeeMode: 1
; LDSByteSize: 0 bytes/workgroup (compile time only)
; SGPRBlocks: 0
; VGPRBlocks: 0
; NumSGPRsForWavesPerEU: 1
; NumVGPRsForWavesPerEU: 1
; NamedBarCnt: 0
; Occupancy: 16
; WaveLimiterHint : 0
; COMPUTE_PGM_RSRC2:SCRATCH_EN: 0
; COMPUTE_PGM_RSRC2:USER_SGPR: 2
; COMPUTE_PGM_RSRC2:TRAP_HANDLER: 0
; COMPUTE_PGM_RSRC2:TGID_X_EN: 1
; COMPUTE_PGM_RSRC2:TGID_Y_EN: 0
; COMPUTE_PGM_RSRC2:TGID_Z_EN: 0
; COMPUTE_PGM_RSRC2:TIDIG_COMP_CNT: 0
	.section	.text._ZN7rocprim17ROCPRIM_400000_NS6detail17trampoline_kernelINS0_14default_configENS1_36segmented_radix_sort_config_selectorIalEEZNS1_25segmented_radix_sort_implIS3_Lb0EPKaPaPKlPlN2at6native12_GLOBAL__N_18offset_tEEE10hipError_tPvRmT1_PNSt15iterator_traitsISK_E10value_typeET2_T3_PNSL_ISQ_E10value_typeET4_jRbjT5_SW_jjP12ihipStream_tbEUlT_E2_NS1_11comp_targetILNS1_3genE10ELNS1_11target_archE1201ELNS1_3gpuE5ELNS1_3repE0EEENS1_30default_config_static_selectorELNS0_4arch9wavefront6targetE0EEEvSK_,"axG",@progbits,_ZN7rocprim17ROCPRIM_400000_NS6detail17trampoline_kernelINS0_14default_configENS1_36segmented_radix_sort_config_selectorIalEEZNS1_25segmented_radix_sort_implIS3_Lb0EPKaPaPKlPlN2at6native12_GLOBAL__N_18offset_tEEE10hipError_tPvRmT1_PNSt15iterator_traitsISK_E10value_typeET2_T3_PNSL_ISQ_E10value_typeET4_jRbjT5_SW_jjP12ihipStream_tbEUlT_E2_NS1_11comp_targetILNS1_3genE10ELNS1_11target_archE1201ELNS1_3gpuE5ELNS1_3repE0EEENS1_30default_config_static_selectorELNS0_4arch9wavefront6targetE0EEEvSK_,comdat
	.globl	_ZN7rocprim17ROCPRIM_400000_NS6detail17trampoline_kernelINS0_14default_configENS1_36segmented_radix_sort_config_selectorIalEEZNS1_25segmented_radix_sort_implIS3_Lb0EPKaPaPKlPlN2at6native12_GLOBAL__N_18offset_tEEE10hipError_tPvRmT1_PNSt15iterator_traitsISK_E10value_typeET2_T3_PNSL_ISQ_E10value_typeET4_jRbjT5_SW_jjP12ihipStream_tbEUlT_E2_NS1_11comp_targetILNS1_3genE10ELNS1_11target_archE1201ELNS1_3gpuE5ELNS1_3repE0EEENS1_30default_config_static_selectorELNS0_4arch9wavefront6targetE0EEEvSK_ ; -- Begin function _ZN7rocprim17ROCPRIM_400000_NS6detail17trampoline_kernelINS0_14default_configENS1_36segmented_radix_sort_config_selectorIalEEZNS1_25segmented_radix_sort_implIS3_Lb0EPKaPaPKlPlN2at6native12_GLOBAL__N_18offset_tEEE10hipError_tPvRmT1_PNSt15iterator_traitsISK_E10value_typeET2_T3_PNSL_ISQ_E10value_typeET4_jRbjT5_SW_jjP12ihipStream_tbEUlT_E2_NS1_11comp_targetILNS1_3genE10ELNS1_11target_archE1201ELNS1_3gpuE5ELNS1_3repE0EEENS1_30default_config_static_selectorELNS0_4arch9wavefront6targetE0EEEvSK_
	.p2align	8
	.type	_ZN7rocprim17ROCPRIM_400000_NS6detail17trampoline_kernelINS0_14default_configENS1_36segmented_radix_sort_config_selectorIalEEZNS1_25segmented_radix_sort_implIS3_Lb0EPKaPaPKlPlN2at6native12_GLOBAL__N_18offset_tEEE10hipError_tPvRmT1_PNSt15iterator_traitsISK_E10value_typeET2_T3_PNSL_ISQ_E10value_typeET4_jRbjT5_SW_jjP12ihipStream_tbEUlT_E2_NS1_11comp_targetILNS1_3genE10ELNS1_11target_archE1201ELNS1_3gpuE5ELNS1_3repE0EEENS1_30default_config_static_selectorELNS0_4arch9wavefront6targetE0EEEvSK_,@function
_ZN7rocprim17ROCPRIM_400000_NS6detail17trampoline_kernelINS0_14default_configENS1_36segmented_radix_sort_config_selectorIalEEZNS1_25segmented_radix_sort_implIS3_Lb0EPKaPaPKlPlN2at6native12_GLOBAL__N_18offset_tEEE10hipError_tPvRmT1_PNSt15iterator_traitsISK_E10value_typeET2_T3_PNSL_ISQ_E10value_typeET4_jRbjT5_SW_jjP12ihipStream_tbEUlT_E2_NS1_11comp_targetILNS1_3genE10ELNS1_11target_archE1201ELNS1_3gpuE5ELNS1_3repE0EEENS1_30default_config_static_selectorELNS0_4arch9wavefront6targetE0EEEvSK_: ; @_ZN7rocprim17ROCPRIM_400000_NS6detail17trampoline_kernelINS0_14default_configENS1_36segmented_radix_sort_config_selectorIalEEZNS1_25segmented_radix_sort_implIS3_Lb0EPKaPaPKlPlN2at6native12_GLOBAL__N_18offset_tEEE10hipError_tPvRmT1_PNSt15iterator_traitsISK_E10value_typeET2_T3_PNSL_ISQ_E10value_typeET4_jRbjT5_SW_jjP12ihipStream_tbEUlT_E2_NS1_11comp_targetILNS1_3genE10ELNS1_11target_archE1201ELNS1_3gpuE5ELNS1_3repE0EEENS1_30default_config_static_selectorELNS0_4arch9wavefront6targetE0EEEvSK_
; %bb.0:
	.section	.rodata,"a",@progbits
	.p2align	6, 0x0
	.amdhsa_kernel _ZN7rocprim17ROCPRIM_400000_NS6detail17trampoline_kernelINS0_14default_configENS1_36segmented_radix_sort_config_selectorIalEEZNS1_25segmented_radix_sort_implIS3_Lb0EPKaPaPKlPlN2at6native12_GLOBAL__N_18offset_tEEE10hipError_tPvRmT1_PNSt15iterator_traitsISK_E10value_typeET2_T3_PNSL_ISQ_E10value_typeET4_jRbjT5_SW_jjP12ihipStream_tbEUlT_E2_NS1_11comp_targetILNS1_3genE10ELNS1_11target_archE1201ELNS1_3gpuE5ELNS1_3repE0EEENS1_30default_config_static_selectorELNS0_4arch9wavefront6targetE0EEEvSK_
		.amdhsa_group_segment_fixed_size 0
		.amdhsa_private_segment_fixed_size 0
		.amdhsa_kernarg_size 80
		.amdhsa_user_sgpr_count 2
		.amdhsa_user_sgpr_dispatch_ptr 0
		.amdhsa_user_sgpr_queue_ptr 0
		.amdhsa_user_sgpr_kernarg_segment_ptr 1
		.amdhsa_user_sgpr_dispatch_id 0
		.amdhsa_user_sgpr_kernarg_preload_length 0
		.amdhsa_user_sgpr_kernarg_preload_offset 0
		.amdhsa_user_sgpr_private_segment_size 0
		.amdhsa_wavefront_size32 1
		.amdhsa_uses_dynamic_stack 0
		.amdhsa_enable_private_segment 0
		.amdhsa_system_sgpr_workgroup_id_x 1
		.amdhsa_system_sgpr_workgroup_id_y 0
		.amdhsa_system_sgpr_workgroup_id_z 0
		.amdhsa_system_sgpr_workgroup_info 0
		.amdhsa_system_vgpr_workitem_id 0
		.amdhsa_next_free_vgpr 1
		.amdhsa_next_free_sgpr 1
		.amdhsa_named_barrier_count 0
		.amdhsa_reserve_vcc 0
		.amdhsa_float_round_mode_32 0
		.amdhsa_float_round_mode_16_64 0
		.amdhsa_float_denorm_mode_32 3
		.amdhsa_float_denorm_mode_16_64 3
		.amdhsa_fp16_overflow 0
		.amdhsa_memory_ordered 1
		.amdhsa_forward_progress 1
		.amdhsa_inst_pref_size 0
		.amdhsa_round_robin_scheduling 0
		.amdhsa_exception_fp_ieee_invalid_op 0
		.amdhsa_exception_fp_denorm_src 0
		.amdhsa_exception_fp_ieee_div_zero 0
		.amdhsa_exception_fp_ieee_overflow 0
		.amdhsa_exception_fp_ieee_underflow 0
		.amdhsa_exception_fp_ieee_inexact 0
		.amdhsa_exception_int_div_zero 0
	.end_amdhsa_kernel
	.section	.text._ZN7rocprim17ROCPRIM_400000_NS6detail17trampoline_kernelINS0_14default_configENS1_36segmented_radix_sort_config_selectorIalEEZNS1_25segmented_radix_sort_implIS3_Lb0EPKaPaPKlPlN2at6native12_GLOBAL__N_18offset_tEEE10hipError_tPvRmT1_PNSt15iterator_traitsISK_E10value_typeET2_T3_PNSL_ISQ_E10value_typeET4_jRbjT5_SW_jjP12ihipStream_tbEUlT_E2_NS1_11comp_targetILNS1_3genE10ELNS1_11target_archE1201ELNS1_3gpuE5ELNS1_3repE0EEENS1_30default_config_static_selectorELNS0_4arch9wavefront6targetE0EEEvSK_,"axG",@progbits,_ZN7rocprim17ROCPRIM_400000_NS6detail17trampoline_kernelINS0_14default_configENS1_36segmented_radix_sort_config_selectorIalEEZNS1_25segmented_radix_sort_implIS3_Lb0EPKaPaPKlPlN2at6native12_GLOBAL__N_18offset_tEEE10hipError_tPvRmT1_PNSt15iterator_traitsISK_E10value_typeET2_T3_PNSL_ISQ_E10value_typeET4_jRbjT5_SW_jjP12ihipStream_tbEUlT_E2_NS1_11comp_targetILNS1_3genE10ELNS1_11target_archE1201ELNS1_3gpuE5ELNS1_3repE0EEENS1_30default_config_static_selectorELNS0_4arch9wavefront6targetE0EEEvSK_,comdat
.Lfunc_end424:
	.size	_ZN7rocprim17ROCPRIM_400000_NS6detail17trampoline_kernelINS0_14default_configENS1_36segmented_radix_sort_config_selectorIalEEZNS1_25segmented_radix_sort_implIS3_Lb0EPKaPaPKlPlN2at6native12_GLOBAL__N_18offset_tEEE10hipError_tPvRmT1_PNSt15iterator_traitsISK_E10value_typeET2_T3_PNSL_ISQ_E10value_typeET4_jRbjT5_SW_jjP12ihipStream_tbEUlT_E2_NS1_11comp_targetILNS1_3genE10ELNS1_11target_archE1201ELNS1_3gpuE5ELNS1_3repE0EEENS1_30default_config_static_selectorELNS0_4arch9wavefront6targetE0EEEvSK_, .Lfunc_end424-_ZN7rocprim17ROCPRIM_400000_NS6detail17trampoline_kernelINS0_14default_configENS1_36segmented_radix_sort_config_selectorIalEEZNS1_25segmented_radix_sort_implIS3_Lb0EPKaPaPKlPlN2at6native12_GLOBAL__N_18offset_tEEE10hipError_tPvRmT1_PNSt15iterator_traitsISK_E10value_typeET2_T3_PNSL_ISQ_E10value_typeET4_jRbjT5_SW_jjP12ihipStream_tbEUlT_E2_NS1_11comp_targetILNS1_3genE10ELNS1_11target_archE1201ELNS1_3gpuE5ELNS1_3repE0EEENS1_30default_config_static_selectorELNS0_4arch9wavefront6targetE0EEEvSK_
                                        ; -- End function
	.set _ZN7rocprim17ROCPRIM_400000_NS6detail17trampoline_kernelINS0_14default_configENS1_36segmented_radix_sort_config_selectorIalEEZNS1_25segmented_radix_sort_implIS3_Lb0EPKaPaPKlPlN2at6native12_GLOBAL__N_18offset_tEEE10hipError_tPvRmT1_PNSt15iterator_traitsISK_E10value_typeET2_T3_PNSL_ISQ_E10value_typeET4_jRbjT5_SW_jjP12ihipStream_tbEUlT_E2_NS1_11comp_targetILNS1_3genE10ELNS1_11target_archE1201ELNS1_3gpuE5ELNS1_3repE0EEENS1_30default_config_static_selectorELNS0_4arch9wavefront6targetE0EEEvSK_.num_vgpr, 0
	.set _ZN7rocprim17ROCPRIM_400000_NS6detail17trampoline_kernelINS0_14default_configENS1_36segmented_radix_sort_config_selectorIalEEZNS1_25segmented_radix_sort_implIS3_Lb0EPKaPaPKlPlN2at6native12_GLOBAL__N_18offset_tEEE10hipError_tPvRmT1_PNSt15iterator_traitsISK_E10value_typeET2_T3_PNSL_ISQ_E10value_typeET4_jRbjT5_SW_jjP12ihipStream_tbEUlT_E2_NS1_11comp_targetILNS1_3genE10ELNS1_11target_archE1201ELNS1_3gpuE5ELNS1_3repE0EEENS1_30default_config_static_selectorELNS0_4arch9wavefront6targetE0EEEvSK_.num_agpr, 0
	.set _ZN7rocprim17ROCPRIM_400000_NS6detail17trampoline_kernelINS0_14default_configENS1_36segmented_radix_sort_config_selectorIalEEZNS1_25segmented_radix_sort_implIS3_Lb0EPKaPaPKlPlN2at6native12_GLOBAL__N_18offset_tEEE10hipError_tPvRmT1_PNSt15iterator_traitsISK_E10value_typeET2_T3_PNSL_ISQ_E10value_typeET4_jRbjT5_SW_jjP12ihipStream_tbEUlT_E2_NS1_11comp_targetILNS1_3genE10ELNS1_11target_archE1201ELNS1_3gpuE5ELNS1_3repE0EEENS1_30default_config_static_selectorELNS0_4arch9wavefront6targetE0EEEvSK_.numbered_sgpr, 0
	.set _ZN7rocprim17ROCPRIM_400000_NS6detail17trampoline_kernelINS0_14default_configENS1_36segmented_radix_sort_config_selectorIalEEZNS1_25segmented_radix_sort_implIS3_Lb0EPKaPaPKlPlN2at6native12_GLOBAL__N_18offset_tEEE10hipError_tPvRmT1_PNSt15iterator_traitsISK_E10value_typeET2_T3_PNSL_ISQ_E10value_typeET4_jRbjT5_SW_jjP12ihipStream_tbEUlT_E2_NS1_11comp_targetILNS1_3genE10ELNS1_11target_archE1201ELNS1_3gpuE5ELNS1_3repE0EEENS1_30default_config_static_selectorELNS0_4arch9wavefront6targetE0EEEvSK_.num_named_barrier, 0
	.set _ZN7rocprim17ROCPRIM_400000_NS6detail17trampoline_kernelINS0_14default_configENS1_36segmented_radix_sort_config_selectorIalEEZNS1_25segmented_radix_sort_implIS3_Lb0EPKaPaPKlPlN2at6native12_GLOBAL__N_18offset_tEEE10hipError_tPvRmT1_PNSt15iterator_traitsISK_E10value_typeET2_T3_PNSL_ISQ_E10value_typeET4_jRbjT5_SW_jjP12ihipStream_tbEUlT_E2_NS1_11comp_targetILNS1_3genE10ELNS1_11target_archE1201ELNS1_3gpuE5ELNS1_3repE0EEENS1_30default_config_static_selectorELNS0_4arch9wavefront6targetE0EEEvSK_.private_seg_size, 0
	.set _ZN7rocprim17ROCPRIM_400000_NS6detail17trampoline_kernelINS0_14default_configENS1_36segmented_radix_sort_config_selectorIalEEZNS1_25segmented_radix_sort_implIS3_Lb0EPKaPaPKlPlN2at6native12_GLOBAL__N_18offset_tEEE10hipError_tPvRmT1_PNSt15iterator_traitsISK_E10value_typeET2_T3_PNSL_ISQ_E10value_typeET4_jRbjT5_SW_jjP12ihipStream_tbEUlT_E2_NS1_11comp_targetILNS1_3genE10ELNS1_11target_archE1201ELNS1_3gpuE5ELNS1_3repE0EEENS1_30default_config_static_selectorELNS0_4arch9wavefront6targetE0EEEvSK_.uses_vcc, 0
	.set _ZN7rocprim17ROCPRIM_400000_NS6detail17trampoline_kernelINS0_14default_configENS1_36segmented_radix_sort_config_selectorIalEEZNS1_25segmented_radix_sort_implIS3_Lb0EPKaPaPKlPlN2at6native12_GLOBAL__N_18offset_tEEE10hipError_tPvRmT1_PNSt15iterator_traitsISK_E10value_typeET2_T3_PNSL_ISQ_E10value_typeET4_jRbjT5_SW_jjP12ihipStream_tbEUlT_E2_NS1_11comp_targetILNS1_3genE10ELNS1_11target_archE1201ELNS1_3gpuE5ELNS1_3repE0EEENS1_30default_config_static_selectorELNS0_4arch9wavefront6targetE0EEEvSK_.uses_flat_scratch, 0
	.set _ZN7rocprim17ROCPRIM_400000_NS6detail17trampoline_kernelINS0_14default_configENS1_36segmented_radix_sort_config_selectorIalEEZNS1_25segmented_radix_sort_implIS3_Lb0EPKaPaPKlPlN2at6native12_GLOBAL__N_18offset_tEEE10hipError_tPvRmT1_PNSt15iterator_traitsISK_E10value_typeET2_T3_PNSL_ISQ_E10value_typeET4_jRbjT5_SW_jjP12ihipStream_tbEUlT_E2_NS1_11comp_targetILNS1_3genE10ELNS1_11target_archE1201ELNS1_3gpuE5ELNS1_3repE0EEENS1_30default_config_static_selectorELNS0_4arch9wavefront6targetE0EEEvSK_.has_dyn_sized_stack, 0
	.set _ZN7rocprim17ROCPRIM_400000_NS6detail17trampoline_kernelINS0_14default_configENS1_36segmented_radix_sort_config_selectorIalEEZNS1_25segmented_radix_sort_implIS3_Lb0EPKaPaPKlPlN2at6native12_GLOBAL__N_18offset_tEEE10hipError_tPvRmT1_PNSt15iterator_traitsISK_E10value_typeET2_T3_PNSL_ISQ_E10value_typeET4_jRbjT5_SW_jjP12ihipStream_tbEUlT_E2_NS1_11comp_targetILNS1_3genE10ELNS1_11target_archE1201ELNS1_3gpuE5ELNS1_3repE0EEENS1_30default_config_static_selectorELNS0_4arch9wavefront6targetE0EEEvSK_.has_recursion, 0
	.set _ZN7rocprim17ROCPRIM_400000_NS6detail17trampoline_kernelINS0_14default_configENS1_36segmented_radix_sort_config_selectorIalEEZNS1_25segmented_radix_sort_implIS3_Lb0EPKaPaPKlPlN2at6native12_GLOBAL__N_18offset_tEEE10hipError_tPvRmT1_PNSt15iterator_traitsISK_E10value_typeET2_T3_PNSL_ISQ_E10value_typeET4_jRbjT5_SW_jjP12ihipStream_tbEUlT_E2_NS1_11comp_targetILNS1_3genE10ELNS1_11target_archE1201ELNS1_3gpuE5ELNS1_3repE0EEENS1_30default_config_static_selectorELNS0_4arch9wavefront6targetE0EEEvSK_.has_indirect_call, 0
	.section	.AMDGPU.csdata,"",@progbits
; Kernel info:
; codeLenInByte = 0
; TotalNumSgprs: 0
; NumVgprs: 0
; ScratchSize: 0
; MemoryBound: 0
; FloatMode: 240
; IeeeMode: 1
; LDSByteSize: 0 bytes/workgroup (compile time only)
; SGPRBlocks: 0
; VGPRBlocks: 0
; NumSGPRsForWavesPerEU: 1
; NumVGPRsForWavesPerEU: 1
; NamedBarCnt: 0
; Occupancy: 16
; WaveLimiterHint : 0
; COMPUTE_PGM_RSRC2:SCRATCH_EN: 0
; COMPUTE_PGM_RSRC2:USER_SGPR: 2
; COMPUTE_PGM_RSRC2:TRAP_HANDLER: 0
; COMPUTE_PGM_RSRC2:TGID_X_EN: 1
; COMPUTE_PGM_RSRC2:TGID_Y_EN: 0
; COMPUTE_PGM_RSRC2:TGID_Z_EN: 0
; COMPUTE_PGM_RSRC2:TIDIG_COMP_CNT: 0
	.section	.text._ZN7rocprim17ROCPRIM_400000_NS6detail17trampoline_kernelINS0_14default_configENS1_36segmented_radix_sort_config_selectorIalEEZNS1_25segmented_radix_sort_implIS3_Lb0EPKaPaPKlPlN2at6native12_GLOBAL__N_18offset_tEEE10hipError_tPvRmT1_PNSt15iterator_traitsISK_E10value_typeET2_T3_PNSL_ISQ_E10value_typeET4_jRbjT5_SW_jjP12ihipStream_tbEUlT_E2_NS1_11comp_targetILNS1_3genE10ELNS1_11target_archE1200ELNS1_3gpuE4ELNS1_3repE0EEENS1_30default_config_static_selectorELNS0_4arch9wavefront6targetE0EEEvSK_,"axG",@progbits,_ZN7rocprim17ROCPRIM_400000_NS6detail17trampoline_kernelINS0_14default_configENS1_36segmented_radix_sort_config_selectorIalEEZNS1_25segmented_radix_sort_implIS3_Lb0EPKaPaPKlPlN2at6native12_GLOBAL__N_18offset_tEEE10hipError_tPvRmT1_PNSt15iterator_traitsISK_E10value_typeET2_T3_PNSL_ISQ_E10value_typeET4_jRbjT5_SW_jjP12ihipStream_tbEUlT_E2_NS1_11comp_targetILNS1_3genE10ELNS1_11target_archE1200ELNS1_3gpuE4ELNS1_3repE0EEENS1_30default_config_static_selectorELNS0_4arch9wavefront6targetE0EEEvSK_,comdat
	.globl	_ZN7rocprim17ROCPRIM_400000_NS6detail17trampoline_kernelINS0_14default_configENS1_36segmented_radix_sort_config_selectorIalEEZNS1_25segmented_radix_sort_implIS3_Lb0EPKaPaPKlPlN2at6native12_GLOBAL__N_18offset_tEEE10hipError_tPvRmT1_PNSt15iterator_traitsISK_E10value_typeET2_T3_PNSL_ISQ_E10value_typeET4_jRbjT5_SW_jjP12ihipStream_tbEUlT_E2_NS1_11comp_targetILNS1_3genE10ELNS1_11target_archE1200ELNS1_3gpuE4ELNS1_3repE0EEENS1_30default_config_static_selectorELNS0_4arch9wavefront6targetE0EEEvSK_ ; -- Begin function _ZN7rocprim17ROCPRIM_400000_NS6detail17trampoline_kernelINS0_14default_configENS1_36segmented_radix_sort_config_selectorIalEEZNS1_25segmented_radix_sort_implIS3_Lb0EPKaPaPKlPlN2at6native12_GLOBAL__N_18offset_tEEE10hipError_tPvRmT1_PNSt15iterator_traitsISK_E10value_typeET2_T3_PNSL_ISQ_E10value_typeET4_jRbjT5_SW_jjP12ihipStream_tbEUlT_E2_NS1_11comp_targetILNS1_3genE10ELNS1_11target_archE1200ELNS1_3gpuE4ELNS1_3repE0EEENS1_30default_config_static_selectorELNS0_4arch9wavefront6targetE0EEEvSK_
	.p2align	8
	.type	_ZN7rocprim17ROCPRIM_400000_NS6detail17trampoline_kernelINS0_14default_configENS1_36segmented_radix_sort_config_selectorIalEEZNS1_25segmented_radix_sort_implIS3_Lb0EPKaPaPKlPlN2at6native12_GLOBAL__N_18offset_tEEE10hipError_tPvRmT1_PNSt15iterator_traitsISK_E10value_typeET2_T3_PNSL_ISQ_E10value_typeET4_jRbjT5_SW_jjP12ihipStream_tbEUlT_E2_NS1_11comp_targetILNS1_3genE10ELNS1_11target_archE1200ELNS1_3gpuE4ELNS1_3repE0EEENS1_30default_config_static_selectorELNS0_4arch9wavefront6targetE0EEEvSK_,@function
_ZN7rocprim17ROCPRIM_400000_NS6detail17trampoline_kernelINS0_14default_configENS1_36segmented_radix_sort_config_selectorIalEEZNS1_25segmented_radix_sort_implIS3_Lb0EPKaPaPKlPlN2at6native12_GLOBAL__N_18offset_tEEE10hipError_tPvRmT1_PNSt15iterator_traitsISK_E10value_typeET2_T3_PNSL_ISQ_E10value_typeET4_jRbjT5_SW_jjP12ihipStream_tbEUlT_E2_NS1_11comp_targetILNS1_3genE10ELNS1_11target_archE1200ELNS1_3gpuE4ELNS1_3repE0EEENS1_30default_config_static_selectorELNS0_4arch9wavefront6targetE0EEEvSK_: ; @_ZN7rocprim17ROCPRIM_400000_NS6detail17trampoline_kernelINS0_14default_configENS1_36segmented_radix_sort_config_selectorIalEEZNS1_25segmented_radix_sort_implIS3_Lb0EPKaPaPKlPlN2at6native12_GLOBAL__N_18offset_tEEE10hipError_tPvRmT1_PNSt15iterator_traitsISK_E10value_typeET2_T3_PNSL_ISQ_E10value_typeET4_jRbjT5_SW_jjP12ihipStream_tbEUlT_E2_NS1_11comp_targetILNS1_3genE10ELNS1_11target_archE1200ELNS1_3gpuE4ELNS1_3repE0EEENS1_30default_config_static_selectorELNS0_4arch9wavefront6targetE0EEEvSK_
; %bb.0:
	.section	.rodata,"a",@progbits
	.p2align	6, 0x0
	.amdhsa_kernel _ZN7rocprim17ROCPRIM_400000_NS6detail17trampoline_kernelINS0_14default_configENS1_36segmented_radix_sort_config_selectorIalEEZNS1_25segmented_radix_sort_implIS3_Lb0EPKaPaPKlPlN2at6native12_GLOBAL__N_18offset_tEEE10hipError_tPvRmT1_PNSt15iterator_traitsISK_E10value_typeET2_T3_PNSL_ISQ_E10value_typeET4_jRbjT5_SW_jjP12ihipStream_tbEUlT_E2_NS1_11comp_targetILNS1_3genE10ELNS1_11target_archE1200ELNS1_3gpuE4ELNS1_3repE0EEENS1_30default_config_static_selectorELNS0_4arch9wavefront6targetE0EEEvSK_
		.amdhsa_group_segment_fixed_size 0
		.amdhsa_private_segment_fixed_size 0
		.amdhsa_kernarg_size 80
		.amdhsa_user_sgpr_count 2
		.amdhsa_user_sgpr_dispatch_ptr 0
		.amdhsa_user_sgpr_queue_ptr 0
		.amdhsa_user_sgpr_kernarg_segment_ptr 1
		.amdhsa_user_sgpr_dispatch_id 0
		.amdhsa_user_sgpr_kernarg_preload_length 0
		.amdhsa_user_sgpr_kernarg_preload_offset 0
		.amdhsa_user_sgpr_private_segment_size 0
		.amdhsa_wavefront_size32 1
		.amdhsa_uses_dynamic_stack 0
		.amdhsa_enable_private_segment 0
		.amdhsa_system_sgpr_workgroup_id_x 1
		.amdhsa_system_sgpr_workgroup_id_y 0
		.amdhsa_system_sgpr_workgroup_id_z 0
		.amdhsa_system_sgpr_workgroup_info 0
		.amdhsa_system_vgpr_workitem_id 0
		.amdhsa_next_free_vgpr 1
		.amdhsa_next_free_sgpr 1
		.amdhsa_named_barrier_count 0
		.amdhsa_reserve_vcc 0
		.amdhsa_float_round_mode_32 0
		.amdhsa_float_round_mode_16_64 0
		.amdhsa_float_denorm_mode_32 3
		.amdhsa_float_denorm_mode_16_64 3
		.amdhsa_fp16_overflow 0
		.amdhsa_memory_ordered 1
		.amdhsa_forward_progress 1
		.amdhsa_inst_pref_size 0
		.amdhsa_round_robin_scheduling 0
		.amdhsa_exception_fp_ieee_invalid_op 0
		.amdhsa_exception_fp_denorm_src 0
		.amdhsa_exception_fp_ieee_div_zero 0
		.amdhsa_exception_fp_ieee_overflow 0
		.amdhsa_exception_fp_ieee_underflow 0
		.amdhsa_exception_fp_ieee_inexact 0
		.amdhsa_exception_int_div_zero 0
	.end_amdhsa_kernel
	.section	.text._ZN7rocprim17ROCPRIM_400000_NS6detail17trampoline_kernelINS0_14default_configENS1_36segmented_radix_sort_config_selectorIalEEZNS1_25segmented_radix_sort_implIS3_Lb0EPKaPaPKlPlN2at6native12_GLOBAL__N_18offset_tEEE10hipError_tPvRmT1_PNSt15iterator_traitsISK_E10value_typeET2_T3_PNSL_ISQ_E10value_typeET4_jRbjT5_SW_jjP12ihipStream_tbEUlT_E2_NS1_11comp_targetILNS1_3genE10ELNS1_11target_archE1200ELNS1_3gpuE4ELNS1_3repE0EEENS1_30default_config_static_selectorELNS0_4arch9wavefront6targetE0EEEvSK_,"axG",@progbits,_ZN7rocprim17ROCPRIM_400000_NS6detail17trampoline_kernelINS0_14default_configENS1_36segmented_radix_sort_config_selectorIalEEZNS1_25segmented_radix_sort_implIS3_Lb0EPKaPaPKlPlN2at6native12_GLOBAL__N_18offset_tEEE10hipError_tPvRmT1_PNSt15iterator_traitsISK_E10value_typeET2_T3_PNSL_ISQ_E10value_typeET4_jRbjT5_SW_jjP12ihipStream_tbEUlT_E2_NS1_11comp_targetILNS1_3genE10ELNS1_11target_archE1200ELNS1_3gpuE4ELNS1_3repE0EEENS1_30default_config_static_selectorELNS0_4arch9wavefront6targetE0EEEvSK_,comdat
.Lfunc_end425:
	.size	_ZN7rocprim17ROCPRIM_400000_NS6detail17trampoline_kernelINS0_14default_configENS1_36segmented_radix_sort_config_selectorIalEEZNS1_25segmented_radix_sort_implIS3_Lb0EPKaPaPKlPlN2at6native12_GLOBAL__N_18offset_tEEE10hipError_tPvRmT1_PNSt15iterator_traitsISK_E10value_typeET2_T3_PNSL_ISQ_E10value_typeET4_jRbjT5_SW_jjP12ihipStream_tbEUlT_E2_NS1_11comp_targetILNS1_3genE10ELNS1_11target_archE1200ELNS1_3gpuE4ELNS1_3repE0EEENS1_30default_config_static_selectorELNS0_4arch9wavefront6targetE0EEEvSK_, .Lfunc_end425-_ZN7rocprim17ROCPRIM_400000_NS6detail17trampoline_kernelINS0_14default_configENS1_36segmented_radix_sort_config_selectorIalEEZNS1_25segmented_radix_sort_implIS3_Lb0EPKaPaPKlPlN2at6native12_GLOBAL__N_18offset_tEEE10hipError_tPvRmT1_PNSt15iterator_traitsISK_E10value_typeET2_T3_PNSL_ISQ_E10value_typeET4_jRbjT5_SW_jjP12ihipStream_tbEUlT_E2_NS1_11comp_targetILNS1_3genE10ELNS1_11target_archE1200ELNS1_3gpuE4ELNS1_3repE0EEENS1_30default_config_static_selectorELNS0_4arch9wavefront6targetE0EEEvSK_
                                        ; -- End function
	.set _ZN7rocprim17ROCPRIM_400000_NS6detail17trampoline_kernelINS0_14default_configENS1_36segmented_radix_sort_config_selectorIalEEZNS1_25segmented_radix_sort_implIS3_Lb0EPKaPaPKlPlN2at6native12_GLOBAL__N_18offset_tEEE10hipError_tPvRmT1_PNSt15iterator_traitsISK_E10value_typeET2_T3_PNSL_ISQ_E10value_typeET4_jRbjT5_SW_jjP12ihipStream_tbEUlT_E2_NS1_11comp_targetILNS1_3genE10ELNS1_11target_archE1200ELNS1_3gpuE4ELNS1_3repE0EEENS1_30default_config_static_selectorELNS0_4arch9wavefront6targetE0EEEvSK_.num_vgpr, 0
	.set _ZN7rocprim17ROCPRIM_400000_NS6detail17trampoline_kernelINS0_14default_configENS1_36segmented_radix_sort_config_selectorIalEEZNS1_25segmented_radix_sort_implIS3_Lb0EPKaPaPKlPlN2at6native12_GLOBAL__N_18offset_tEEE10hipError_tPvRmT1_PNSt15iterator_traitsISK_E10value_typeET2_T3_PNSL_ISQ_E10value_typeET4_jRbjT5_SW_jjP12ihipStream_tbEUlT_E2_NS1_11comp_targetILNS1_3genE10ELNS1_11target_archE1200ELNS1_3gpuE4ELNS1_3repE0EEENS1_30default_config_static_selectorELNS0_4arch9wavefront6targetE0EEEvSK_.num_agpr, 0
	.set _ZN7rocprim17ROCPRIM_400000_NS6detail17trampoline_kernelINS0_14default_configENS1_36segmented_radix_sort_config_selectorIalEEZNS1_25segmented_radix_sort_implIS3_Lb0EPKaPaPKlPlN2at6native12_GLOBAL__N_18offset_tEEE10hipError_tPvRmT1_PNSt15iterator_traitsISK_E10value_typeET2_T3_PNSL_ISQ_E10value_typeET4_jRbjT5_SW_jjP12ihipStream_tbEUlT_E2_NS1_11comp_targetILNS1_3genE10ELNS1_11target_archE1200ELNS1_3gpuE4ELNS1_3repE0EEENS1_30default_config_static_selectorELNS0_4arch9wavefront6targetE0EEEvSK_.numbered_sgpr, 0
	.set _ZN7rocprim17ROCPRIM_400000_NS6detail17trampoline_kernelINS0_14default_configENS1_36segmented_radix_sort_config_selectorIalEEZNS1_25segmented_radix_sort_implIS3_Lb0EPKaPaPKlPlN2at6native12_GLOBAL__N_18offset_tEEE10hipError_tPvRmT1_PNSt15iterator_traitsISK_E10value_typeET2_T3_PNSL_ISQ_E10value_typeET4_jRbjT5_SW_jjP12ihipStream_tbEUlT_E2_NS1_11comp_targetILNS1_3genE10ELNS1_11target_archE1200ELNS1_3gpuE4ELNS1_3repE0EEENS1_30default_config_static_selectorELNS0_4arch9wavefront6targetE0EEEvSK_.num_named_barrier, 0
	.set _ZN7rocprim17ROCPRIM_400000_NS6detail17trampoline_kernelINS0_14default_configENS1_36segmented_radix_sort_config_selectorIalEEZNS1_25segmented_radix_sort_implIS3_Lb0EPKaPaPKlPlN2at6native12_GLOBAL__N_18offset_tEEE10hipError_tPvRmT1_PNSt15iterator_traitsISK_E10value_typeET2_T3_PNSL_ISQ_E10value_typeET4_jRbjT5_SW_jjP12ihipStream_tbEUlT_E2_NS1_11comp_targetILNS1_3genE10ELNS1_11target_archE1200ELNS1_3gpuE4ELNS1_3repE0EEENS1_30default_config_static_selectorELNS0_4arch9wavefront6targetE0EEEvSK_.private_seg_size, 0
	.set _ZN7rocprim17ROCPRIM_400000_NS6detail17trampoline_kernelINS0_14default_configENS1_36segmented_radix_sort_config_selectorIalEEZNS1_25segmented_radix_sort_implIS3_Lb0EPKaPaPKlPlN2at6native12_GLOBAL__N_18offset_tEEE10hipError_tPvRmT1_PNSt15iterator_traitsISK_E10value_typeET2_T3_PNSL_ISQ_E10value_typeET4_jRbjT5_SW_jjP12ihipStream_tbEUlT_E2_NS1_11comp_targetILNS1_3genE10ELNS1_11target_archE1200ELNS1_3gpuE4ELNS1_3repE0EEENS1_30default_config_static_selectorELNS0_4arch9wavefront6targetE0EEEvSK_.uses_vcc, 0
	.set _ZN7rocprim17ROCPRIM_400000_NS6detail17trampoline_kernelINS0_14default_configENS1_36segmented_radix_sort_config_selectorIalEEZNS1_25segmented_radix_sort_implIS3_Lb0EPKaPaPKlPlN2at6native12_GLOBAL__N_18offset_tEEE10hipError_tPvRmT1_PNSt15iterator_traitsISK_E10value_typeET2_T3_PNSL_ISQ_E10value_typeET4_jRbjT5_SW_jjP12ihipStream_tbEUlT_E2_NS1_11comp_targetILNS1_3genE10ELNS1_11target_archE1200ELNS1_3gpuE4ELNS1_3repE0EEENS1_30default_config_static_selectorELNS0_4arch9wavefront6targetE0EEEvSK_.uses_flat_scratch, 0
	.set _ZN7rocprim17ROCPRIM_400000_NS6detail17trampoline_kernelINS0_14default_configENS1_36segmented_radix_sort_config_selectorIalEEZNS1_25segmented_radix_sort_implIS3_Lb0EPKaPaPKlPlN2at6native12_GLOBAL__N_18offset_tEEE10hipError_tPvRmT1_PNSt15iterator_traitsISK_E10value_typeET2_T3_PNSL_ISQ_E10value_typeET4_jRbjT5_SW_jjP12ihipStream_tbEUlT_E2_NS1_11comp_targetILNS1_3genE10ELNS1_11target_archE1200ELNS1_3gpuE4ELNS1_3repE0EEENS1_30default_config_static_selectorELNS0_4arch9wavefront6targetE0EEEvSK_.has_dyn_sized_stack, 0
	.set _ZN7rocprim17ROCPRIM_400000_NS6detail17trampoline_kernelINS0_14default_configENS1_36segmented_radix_sort_config_selectorIalEEZNS1_25segmented_radix_sort_implIS3_Lb0EPKaPaPKlPlN2at6native12_GLOBAL__N_18offset_tEEE10hipError_tPvRmT1_PNSt15iterator_traitsISK_E10value_typeET2_T3_PNSL_ISQ_E10value_typeET4_jRbjT5_SW_jjP12ihipStream_tbEUlT_E2_NS1_11comp_targetILNS1_3genE10ELNS1_11target_archE1200ELNS1_3gpuE4ELNS1_3repE0EEENS1_30default_config_static_selectorELNS0_4arch9wavefront6targetE0EEEvSK_.has_recursion, 0
	.set _ZN7rocprim17ROCPRIM_400000_NS6detail17trampoline_kernelINS0_14default_configENS1_36segmented_radix_sort_config_selectorIalEEZNS1_25segmented_radix_sort_implIS3_Lb0EPKaPaPKlPlN2at6native12_GLOBAL__N_18offset_tEEE10hipError_tPvRmT1_PNSt15iterator_traitsISK_E10value_typeET2_T3_PNSL_ISQ_E10value_typeET4_jRbjT5_SW_jjP12ihipStream_tbEUlT_E2_NS1_11comp_targetILNS1_3genE10ELNS1_11target_archE1200ELNS1_3gpuE4ELNS1_3repE0EEENS1_30default_config_static_selectorELNS0_4arch9wavefront6targetE0EEEvSK_.has_indirect_call, 0
	.section	.AMDGPU.csdata,"",@progbits
; Kernel info:
; codeLenInByte = 0
; TotalNumSgprs: 0
; NumVgprs: 0
; ScratchSize: 0
; MemoryBound: 0
; FloatMode: 240
; IeeeMode: 1
; LDSByteSize: 0 bytes/workgroup (compile time only)
; SGPRBlocks: 0
; VGPRBlocks: 0
; NumSGPRsForWavesPerEU: 1
; NumVGPRsForWavesPerEU: 1
; NamedBarCnt: 0
; Occupancy: 16
; WaveLimiterHint : 0
; COMPUTE_PGM_RSRC2:SCRATCH_EN: 0
; COMPUTE_PGM_RSRC2:USER_SGPR: 2
; COMPUTE_PGM_RSRC2:TRAP_HANDLER: 0
; COMPUTE_PGM_RSRC2:TGID_X_EN: 1
; COMPUTE_PGM_RSRC2:TGID_Y_EN: 0
; COMPUTE_PGM_RSRC2:TGID_Z_EN: 0
; COMPUTE_PGM_RSRC2:TIDIG_COMP_CNT: 0
	.section	.text._ZN7rocprim17ROCPRIM_400000_NS6detail17trampoline_kernelINS0_14default_configENS1_36segmented_radix_sort_config_selectorIalEEZNS1_25segmented_radix_sort_implIS3_Lb0EPKaPaPKlPlN2at6native12_GLOBAL__N_18offset_tEEE10hipError_tPvRmT1_PNSt15iterator_traitsISK_E10value_typeET2_T3_PNSL_ISQ_E10value_typeET4_jRbjT5_SW_jjP12ihipStream_tbEUlT_E2_NS1_11comp_targetILNS1_3genE9ELNS1_11target_archE1100ELNS1_3gpuE3ELNS1_3repE0EEENS1_30default_config_static_selectorELNS0_4arch9wavefront6targetE0EEEvSK_,"axG",@progbits,_ZN7rocprim17ROCPRIM_400000_NS6detail17trampoline_kernelINS0_14default_configENS1_36segmented_radix_sort_config_selectorIalEEZNS1_25segmented_radix_sort_implIS3_Lb0EPKaPaPKlPlN2at6native12_GLOBAL__N_18offset_tEEE10hipError_tPvRmT1_PNSt15iterator_traitsISK_E10value_typeET2_T3_PNSL_ISQ_E10value_typeET4_jRbjT5_SW_jjP12ihipStream_tbEUlT_E2_NS1_11comp_targetILNS1_3genE9ELNS1_11target_archE1100ELNS1_3gpuE3ELNS1_3repE0EEENS1_30default_config_static_selectorELNS0_4arch9wavefront6targetE0EEEvSK_,comdat
	.globl	_ZN7rocprim17ROCPRIM_400000_NS6detail17trampoline_kernelINS0_14default_configENS1_36segmented_radix_sort_config_selectorIalEEZNS1_25segmented_radix_sort_implIS3_Lb0EPKaPaPKlPlN2at6native12_GLOBAL__N_18offset_tEEE10hipError_tPvRmT1_PNSt15iterator_traitsISK_E10value_typeET2_T3_PNSL_ISQ_E10value_typeET4_jRbjT5_SW_jjP12ihipStream_tbEUlT_E2_NS1_11comp_targetILNS1_3genE9ELNS1_11target_archE1100ELNS1_3gpuE3ELNS1_3repE0EEENS1_30default_config_static_selectorELNS0_4arch9wavefront6targetE0EEEvSK_ ; -- Begin function _ZN7rocprim17ROCPRIM_400000_NS6detail17trampoline_kernelINS0_14default_configENS1_36segmented_radix_sort_config_selectorIalEEZNS1_25segmented_radix_sort_implIS3_Lb0EPKaPaPKlPlN2at6native12_GLOBAL__N_18offset_tEEE10hipError_tPvRmT1_PNSt15iterator_traitsISK_E10value_typeET2_T3_PNSL_ISQ_E10value_typeET4_jRbjT5_SW_jjP12ihipStream_tbEUlT_E2_NS1_11comp_targetILNS1_3genE9ELNS1_11target_archE1100ELNS1_3gpuE3ELNS1_3repE0EEENS1_30default_config_static_selectorELNS0_4arch9wavefront6targetE0EEEvSK_
	.p2align	8
	.type	_ZN7rocprim17ROCPRIM_400000_NS6detail17trampoline_kernelINS0_14default_configENS1_36segmented_radix_sort_config_selectorIalEEZNS1_25segmented_radix_sort_implIS3_Lb0EPKaPaPKlPlN2at6native12_GLOBAL__N_18offset_tEEE10hipError_tPvRmT1_PNSt15iterator_traitsISK_E10value_typeET2_T3_PNSL_ISQ_E10value_typeET4_jRbjT5_SW_jjP12ihipStream_tbEUlT_E2_NS1_11comp_targetILNS1_3genE9ELNS1_11target_archE1100ELNS1_3gpuE3ELNS1_3repE0EEENS1_30default_config_static_selectorELNS0_4arch9wavefront6targetE0EEEvSK_,@function
_ZN7rocprim17ROCPRIM_400000_NS6detail17trampoline_kernelINS0_14default_configENS1_36segmented_radix_sort_config_selectorIalEEZNS1_25segmented_radix_sort_implIS3_Lb0EPKaPaPKlPlN2at6native12_GLOBAL__N_18offset_tEEE10hipError_tPvRmT1_PNSt15iterator_traitsISK_E10value_typeET2_T3_PNSL_ISQ_E10value_typeET4_jRbjT5_SW_jjP12ihipStream_tbEUlT_E2_NS1_11comp_targetILNS1_3genE9ELNS1_11target_archE1100ELNS1_3gpuE3ELNS1_3repE0EEENS1_30default_config_static_selectorELNS0_4arch9wavefront6targetE0EEEvSK_: ; @_ZN7rocprim17ROCPRIM_400000_NS6detail17trampoline_kernelINS0_14default_configENS1_36segmented_radix_sort_config_selectorIalEEZNS1_25segmented_radix_sort_implIS3_Lb0EPKaPaPKlPlN2at6native12_GLOBAL__N_18offset_tEEE10hipError_tPvRmT1_PNSt15iterator_traitsISK_E10value_typeET2_T3_PNSL_ISQ_E10value_typeET4_jRbjT5_SW_jjP12ihipStream_tbEUlT_E2_NS1_11comp_targetILNS1_3genE9ELNS1_11target_archE1100ELNS1_3gpuE3ELNS1_3repE0EEENS1_30default_config_static_selectorELNS0_4arch9wavefront6targetE0EEEvSK_
; %bb.0:
	.section	.rodata,"a",@progbits
	.p2align	6, 0x0
	.amdhsa_kernel _ZN7rocprim17ROCPRIM_400000_NS6detail17trampoline_kernelINS0_14default_configENS1_36segmented_radix_sort_config_selectorIalEEZNS1_25segmented_radix_sort_implIS3_Lb0EPKaPaPKlPlN2at6native12_GLOBAL__N_18offset_tEEE10hipError_tPvRmT1_PNSt15iterator_traitsISK_E10value_typeET2_T3_PNSL_ISQ_E10value_typeET4_jRbjT5_SW_jjP12ihipStream_tbEUlT_E2_NS1_11comp_targetILNS1_3genE9ELNS1_11target_archE1100ELNS1_3gpuE3ELNS1_3repE0EEENS1_30default_config_static_selectorELNS0_4arch9wavefront6targetE0EEEvSK_
		.amdhsa_group_segment_fixed_size 0
		.amdhsa_private_segment_fixed_size 0
		.amdhsa_kernarg_size 80
		.amdhsa_user_sgpr_count 2
		.amdhsa_user_sgpr_dispatch_ptr 0
		.amdhsa_user_sgpr_queue_ptr 0
		.amdhsa_user_sgpr_kernarg_segment_ptr 1
		.amdhsa_user_sgpr_dispatch_id 0
		.amdhsa_user_sgpr_kernarg_preload_length 0
		.amdhsa_user_sgpr_kernarg_preload_offset 0
		.amdhsa_user_sgpr_private_segment_size 0
		.amdhsa_wavefront_size32 1
		.amdhsa_uses_dynamic_stack 0
		.amdhsa_enable_private_segment 0
		.amdhsa_system_sgpr_workgroup_id_x 1
		.amdhsa_system_sgpr_workgroup_id_y 0
		.amdhsa_system_sgpr_workgroup_id_z 0
		.amdhsa_system_sgpr_workgroup_info 0
		.amdhsa_system_vgpr_workitem_id 0
		.amdhsa_next_free_vgpr 1
		.amdhsa_next_free_sgpr 1
		.amdhsa_named_barrier_count 0
		.amdhsa_reserve_vcc 0
		.amdhsa_float_round_mode_32 0
		.amdhsa_float_round_mode_16_64 0
		.amdhsa_float_denorm_mode_32 3
		.amdhsa_float_denorm_mode_16_64 3
		.amdhsa_fp16_overflow 0
		.amdhsa_memory_ordered 1
		.amdhsa_forward_progress 1
		.amdhsa_inst_pref_size 0
		.amdhsa_round_robin_scheduling 0
		.amdhsa_exception_fp_ieee_invalid_op 0
		.amdhsa_exception_fp_denorm_src 0
		.amdhsa_exception_fp_ieee_div_zero 0
		.amdhsa_exception_fp_ieee_overflow 0
		.amdhsa_exception_fp_ieee_underflow 0
		.amdhsa_exception_fp_ieee_inexact 0
		.amdhsa_exception_int_div_zero 0
	.end_amdhsa_kernel
	.section	.text._ZN7rocprim17ROCPRIM_400000_NS6detail17trampoline_kernelINS0_14default_configENS1_36segmented_radix_sort_config_selectorIalEEZNS1_25segmented_radix_sort_implIS3_Lb0EPKaPaPKlPlN2at6native12_GLOBAL__N_18offset_tEEE10hipError_tPvRmT1_PNSt15iterator_traitsISK_E10value_typeET2_T3_PNSL_ISQ_E10value_typeET4_jRbjT5_SW_jjP12ihipStream_tbEUlT_E2_NS1_11comp_targetILNS1_3genE9ELNS1_11target_archE1100ELNS1_3gpuE3ELNS1_3repE0EEENS1_30default_config_static_selectorELNS0_4arch9wavefront6targetE0EEEvSK_,"axG",@progbits,_ZN7rocprim17ROCPRIM_400000_NS6detail17trampoline_kernelINS0_14default_configENS1_36segmented_radix_sort_config_selectorIalEEZNS1_25segmented_radix_sort_implIS3_Lb0EPKaPaPKlPlN2at6native12_GLOBAL__N_18offset_tEEE10hipError_tPvRmT1_PNSt15iterator_traitsISK_E10value_typeET2_T3_PNSL_ISQ_E10value_typeET4_jRbjT5_SW_jjP12ihipStream_tbEUlT_E2_NS1_11comp_targetILNS1_3genE9ELNS1_11target_archE1100ELNS1_3gpuE3ELNS1_3repE0EEENS1_30default_config_static_selectorELNS0_4arch9wavefront6targetE0EEEvSK_,comdat
.Lfunc_end426:
	.size	_ZN7rocprim17ROCPRIM_400000_NS6detail17trampoline_kernelINS0_14default_configENS1_36segmented_radix_sort_config_selectorIalEEZNS1_25segmented_radix_sort_implIS3_Lb0EPKaPaPKlPlN2at6native12_GLOBAL__N_18offset_tEEE10hipError_tPvRmT1_PNSt15iterator_traitsISK_E10value_typeET2_T3_PNSL_ISQ_E10value_typeET4_jRbjT5_SW_jjP12ihipStream_tbEUlT_E2_NS1_11comp_targetILNS1_3genE9ELNS1_11target_archE1100ELNS1_3gpuE3ELNS1_3repE0EEENS1_30default_config_static_selectorELNS0_4arch9wavefront6targetE0EEEvSK_, .Lfunc_end426-_ZN7rocprim17ROCPRIM_400000_NS6detail17trampoline_kernelINS0_14default_configENS1_36segmented_radix_sort_config_selectorIalEEZNS1_25segmented_radix_sort_implIS3_Lb0EPKaPaPKlPlN2at6native12_GLOBAL__N_18offset_tEEE10hipError_tPvRmT1_PNSt15iterator_traitsISK_E10value_typeET2_T3_PNSL_ISQ_E10value_typeET4_jRbjT5_SW_jjP12ihipStream_tbEUlT_E2_NS1_11comp_targetILNS1_3genE9ELNS1_11target_archE1100ELNS1_3gpuE3ELNS1_3repE0EEENS1_30default_config_static_selectorELNS0_4arch9wavefront6targetE0EEEvSK_
                                        ; -- End function
	.set _ZN7rocprim17ROCPRIM_400000_NS6detail17trampoline_kernelINS0_14default_configENS1_36segmented_radix_sort_config_selectorIalEEZNS1_25segmented_radix_sort_implIS3_Lb0EPKaPaPKlPlN2at6native12_GLOBAL__N_18offset_tEEE10hipError_tPvRmT1_PNSt15iterator_traitsISK_E10value_typeET2_T3_PNSL_ISQ_E10value_typeET4_jRbjT5_SW_jjP12ihipStream_tbEUlT_E2_NS1_11comp_targetILNS1_3genE9ELNS1_11target_archE1100ELNS1_3gpuE3ELNS1_3repE0EEENS1_30default_config_static_selectorELNS0_4arch9wavefront6targetE0EEEvSK_.num_vgpr, 0
	.set _ZN7rocprim17ROCPRIM_400000_NS6detail17trampoline_kernelINS0_14default_configENS1_36segmented_radix_sort_config_selectorIalEEZNS1_25segmented_radix_sort_implIS3_Lb0EPKaPaPKlPlN2at6native12_GLOBAL__N_18offset_tEEE10hipError_tPvRmT1_PNSt15iterator_traitsISK_E10value_typeET2_T3_PNSL_ISQ_E10value_typeET4_jRbjT5_SW_jjP12ihipStream_tbEUlT_E2_NS1_11comp_targetILNS1_3genE9ELNS1_11target_archE1100ELNS1_3gpuE3ELNS1_3repE0EEENS1_30default_config_static_selectorELNS0_4arch9wavefront6targetE0EEEvSK_.num_agpr, 0
	.set _ZN7rocprim17ROCPRIM_400000_NS6detail17trampoline_kernelINS0_14default_configENS1_36segmented_radix_sort_config_selectorIalEEZNS1_25segmented_radix_sort_implIS3_Lb0EPKaPaPKlPlN2at6native12_GLOBAL__N_18offset_tEEE10hipError_tPvRmT1_PNSt15iterator_traitsISK_E10value_typeET2_T3_PNSL_ISQ_E10value_typeET4_jRbjT5_SW_jjP12ihipStream_tbEUlT_E2_NS1_11comp_targetILNS1_3genE9ELNS1_11target_archE1100ELNS1_3gpuE3ELNS1_3repE0EEENS1_30default_config_static_selectorELNS0_4arch9wavefront6targetE0EEEvSK_.numbered_sgpr, 0
	.set _ZN7rocprim17ROCPRIM_400000_NS6detail17trampoline_kernelINS0_14default_configENS1_36segmented_radix_sort_config_selectorIalEEZNS1_25segmented_radix_sort_implIS3_Lb0EPKaPaPKlPlN2at6native12_GLOBAL__N_18offset_tEEE10hipError_tPvRmT1_PNSt15iterator_traitsISK_E10value_typeET2_T3_PNSL_ISQ_E10value_typeET4_jRbjT5_SW_jjP12ihipStream_tbEUlT_E2_NS1_11comp_targetILNS1_3genE9ELNS1_11target_archE1100ELNS1_3gpuE3ELNS1_3repE0EEENS1_30default_config_static_selectorELNS0_4arch9wavefront6targetE0EEEvSK_.num_named_barrier, 0
	.set _ZN7rocprim17ROCPRIM_400000_NS6detail17trampoline_kernelINS0_14default_configENS1_36segmented_radix_sort_config_selectorIalEEZNS1_25segmented_radix_sort_implIS3_Lb0EPKaPaPKlPlN2at6native12_GLOBAL__N_18offset_tEEE10hipError_tPvRmT1_PNSt15iterator_traitsISK_E10value_typeET2_T3_PNSL_ISQ_E10value_typeET4_jRbjT5_SW_jjP12ihipStream_tbEUlT_E2_NS1_11comp_targetILNS1_3genE9ELNS1_11target_archE1100ELNS1_3gpuE3ELNS1_3repE0EEENS1_30default_config_static_selectorELNS0_4arch9wavefront6targetE0EEEvSK_.private_seg_size, 0
	.set _ZN7rocprim17ROCPRIM_400000_NS6detail17trampoline_kernelINS0_14default_configENS1_36segmented_radix_sort_config_selectorIalEEZNS1_25segmented_radix_sort_implIS3_Lb0EPKaPaPKlPlN2at6native12_GLOBAL__N_18offset_tEEE10hipError_tPvRmT1_PNSt15iterator_traitsISK_E10value_typeET2_T3_PNSL_ISQ_E10value_typeET4_jRbjT5_SW_jjP12ihipStream_tbEUlT_E2_NS1_11comp_targetILNS1_3genE9ELNS1_11target_archE1100ELNS1_3gpuE3ELNS1_3repE0EEENS1_30default_config_static_selectorELNS0_4arch9wavefront6targetE0EEEvSK_.uses_vcc, 0
	.set _ZN7rocprim17ROCPRIM_400000_NS6detail17trampoline_kernelINS0_14default_configENS1_36segmented_radix_sort_config_selectorIalEEZNS1_25segmented_radix_sort_implIS3_Lb0EPKaPaPKlPlN2at6native12_GLOBAL__N_18offset_tEEE10hipError_tPvRmT1_PNSt15iterator_traitsISK_E10value_typeET2_T3_PNSL_ISQ_E10value_typeET4_jRbjT5_SW_jjP12ihipStream_tbEUlT_E2_NS1_11comp_targetILNS1_3genE9ELNS1_11target_archE1100ELNS1_3gpuE3ELNS1_3repE0EEENS1_30default_config_static_selectorELNS0_4arch9wavefront6targetE0EEEvSK_.uses_flat_scratch, 0
	.set _ZN7rocprim17ROCPRIM_400000_NS6detail17trampoline_kernelINS0_14default_configENS1_36segmented_radix_sort_config_selectorIalEEZNS1_25segmented_radix_sort_implIS3_Lb0EPKaPaPKlPlN2at6native12_GLOBAL__N_18offset_tEEE10hipError_tPvRmT1_PNSt15iterator_traitsISK_E10value_typeET2_T3_PNSL_ISQ_E10value_typeET4_jRbjT5_SW_jjP12ihipStream_tbEUlT_E2_NS1_11comp_targetILNS1_3genE9ELNS1_11target_archE1100ELNS1_3gpuE3ELNS1_3repE0EEENS1_30default_config_static_selectorELNS0_4arch9wavefront6targetE0EEEvSK_.has_dyn_sized_stack, 0
	.set _ZN7rocprim17ROCPRIM_400000_NS6detail17trampoline_kernelINS0_14default_configENS1_36segmented_radix_sort_config_selectorIalEEZNS1_25segmented_radix_sort_implIS3_Lb0EPKaPaPKlPlN2at6native12_GLOBAL__N_18offset_tEEE10hipError_tPvRmT1_PNSt15iterator_traitsISK_E10value_typeET2_T3_PNSL_ISQ_E10value_typeET4_jRbjT5_SW_jjP12ihipStream_tbEUlT_E2_NS1_11comp_targetILNS1_3genE9ELNS1_11target_archE1100ELNS1_3gpuE3ELNS1_3repE0EEENS1_30default_config_static_selectorELNS0_4arch9wavefront6targetE0EEEvSK_.has_recursion, 0
	.set _ZN7rocprim17ROCPRIM_400000_NS6detail17trampoline_kernelINS0_14default_configENS1_36segmented_radix_sort_config_selectorIalEEZNS1_25segmented_radix_sort_implIS3_Lb0EPKaPaPKlPlN2at6native12_GLOBAL__N_18offset_tEEE10hipError_tPvRmT1_PNSt15iterator_traitsISK_E10value_typeET2_T3_PNSL_ISQ_E10value_typeET4_jRbjT5_SW_jjP12ihipStream_tbEUlT_E2_NS1_11comp_targetILNS1_3genE9ELNS1_11target_archE1100ELNS1_3gpuE3ELNS1_3repE0EEENS1_30default_config_static_selectorELNS0_4arch9wavefront6targetE0EEEvSK_.has_indirect_call, 0
	.section	.AMDGPU.csdata,"",@progbits
; Kernel info:
; codeLenInByte = 0
; TotalNumSgprs: 0
; NumVgprs: 0
; ScratchSize: 0
; MemoryBound: 0
; FloatMode: 240
; IeeeMode: 1
; LDSByteSize: 0 bytes/workgroup (compile time only)
; SGPRBlocks: 0
; VGPRBlocks: 0
; NumSGPRsForWavesPerEU: 1
; NumVGPRsForWavesPerEU: 1
; NamedBarCnt: 0
; Occupancy: 16
; WaveLimiterHint : 0
; COMPUTE_PGM_RSRC2:SCRATCH_EN: 0
; COMPUTE_PGM_RSRC2:USER_SGPR: 2
; COMPUTE_PGM_RSRC2:TRAP_HANDLER: 0
; COMPUTE_PGM_RSRC2:TGID_X_EN: 1
; COMPUTE_PGM_RSRC2:TGID_Y_EN: 0
; COMPUTE_PGM_RSRC2:TGID_Z_EN: 0
; COMPUTE_PGM_RSRC2:TIDIG_COMP_CNT: 0
	.section	.text._ZN7rocprim17ROCPRIM_400000_NS6detail17trampoline_kernelINS0_14default_configENS1_36segmented_radix_sort_config_selectorIalEEZNS1_25segmented_radix_sort_implIS3_Lb0EPKaPaPKlPlN2at6native12_GLOBAL__N_18offset_tEEE10hipError_tPvRmT1_PNSt15iterator_traitsISK_E10value_typeET2_T3_PNSL_ISQ_E10value_typeET4_jRbjT5_SW_jjP12ihipStream_tbEUlT_E2_NS1_11comp_targetILNS1_3genE8ELNS1_11target_archE1030ELNS1_3gpuE2ELNS1_3repE0EEENS1_30default_config_static_selectorELNS0_4arch9wavefront6targetE0EEEvSK_,"axG",@progbits,_ZN7rocprim17ROCPRIM_400000_NS6detail17trampoline_kernelINS0_14default_configENS1_36segmented_radix_sort_config_selectorIalEEZNS1_25segmented_radix_sort_implIS3_Lb0EPKaPaPKlPlN2at6native12_GLOBAL__N_18offset_tEEE10hipError_tPvRmT1_PNSt15iterator_traitsISK_E10value_typeET2_T3_PNSL_ISQ_E10value_typeET4_jRbjT5_SW_jjP12ihipStream_tbEUlT_E2_NS1_11comp_targetILNS1_3genE8ELNS1_11target_archE1030ELNS1_3gpuE2ELNS1_3repE0EEENS1_30default_config_static_selectorELNS0_4arch9wavefront6targetE0EEEvSK_,comdat
	.globl	_ZN7rocprim17ROCPRIM_400000_NS6detail17trampoline_kernelINS0_14default_configENS1_36segmented_radix_sort_config_selectorIalEEZNS1_25segmented_radix_sort_implIS3_Lb0EPKaPaPKlPlN2at6native12_GLOBAL__N_18offset_tEEE10hipError_tPvRmT1_PNSt15iterator_traitsISK_E10value_typeET2_T3_PNSL_ISQ_E10value_typeET4_jRbjT5_SW_jjP12ihipStream_tbEUlT_E2_NS1_11comp_targetILNS1_3genE8ELNS1_11target_archE1030ELNS1_3gpuE2ELNS1_3repE0EEENS1_30default_config_static_selectorELNS0_4arch9wavefront6targetE0EEEvSK_ ; -- Begin function _ZN7rocprim17ROCPRIM_400000_NS6detail17trampoline_kernelINS0_14default_configENS1_36segmented_radix_sort_config_selectorIalEEZNS1_25segmented_radix_sort_implIS3_Lb0EPKaPaPKlPlN2at6native12_GLOBAL__N_18offset_tEEE10hipError_tPvRmT1_PNSt15iterator_traitsISK_E10value_typeET2_T3_PNSL_ISQ_E10value_typeET4_jRbjT5_SW_jjP12ihipStream_tbEUlT_E2_NS1_11comp_targetILNS1_3genE8ELNS1_11target_archE1030ELNS1_3gpuE2ELNS1_3repE0EEENS1_30default_config_static_selectorELNS0_4arch9wavefront6targetE0EEEvSK_
	.p2align	8
	.type	_ZN7rocprim17ROCPRIM_400000_NS6detail17trampoline_kernelINS0_14default_configENS1_36segmented_radix_sort_config_selectorIalEEZNS1_25segmented_radix_sort_implIS3_Lb0EPKaPaPKlPlN2at6native12_GLOBAL__N_18offset_tEEE10hipError_tPvRmT1_PNSt15iterator_traitsISK_E10value_typeET2_T3_PNSL_ISQ_E10value_typeET4_jRbjT5_SW_jjP12ihipStream_tbEUlT_E2_NS1_11comp_targetILNS1_3genE8ELNS1_11target_archE1030ELNS1_3gpuE2ELNS1_3repE0EEENS1_30default_config_static_selectorELNS0_4arch9wavefront6targetE0EEEvSK_,@function
_ZN7rocprim17ROCPRIM_400000_NS6detail17trampoline_kernelINS0_14default_configENS1_36segmented_radix_sort_config_selectorIalEEZNS1_25segmented_radix_sort_implIS3_Lb0EPKaPaPKlPlN2at6native12_GLOBAL__N_18offset_tEEE10hipError_tPvRmT1_PNSt15iterator_traitsISK_E10value_typeET2_T3_PNSL_ISQ_E10value_typeET4_jRbjT5_SW_jjP12ihipStream_tbEUlT_E2_NS1_11comp_targetILNS1_3genE8ELNS1_11target_archE1030ELNS1_3gpuE2ELNS1_3repE0EEENS1_30default_config_static_selectorELNS0_4arch9wavefront6targetE0EEEvSK_: ; @_ZN7rocprim17ROCPRIM_400000_NS6detail17trampoline_kernelINS0_14default_configENS1_36segmented_radix_sort_config_selectorIalEEZNS1_25segmented_radix_sort_implIS3_Lb0EPKaPaPKlPlN2at6native12_GLOBAL__N_18offset_tEEE10hipError_tPvRmT1_PNSt15iterator_traitsISK_E10value_typeET2_T3_PNSL_ISQ_E10value_typeET4_jRbjT5_SW_jjP12ihipStream_tbEUlT_E2_NS1_11comp_targetILNS1_3genE8ELNS1_11target_archE1030ELNS1_3gpuE2ELNS1_3repE0EEENS1_30default_config_static_selectorELNS0_4arch9wavefront6targetE0EEEvSK_
; %bb.0:
	.section	.rodata,"a",@progbits
	.p2align	6, 0x0
	.amdhsa_kernel _ZN7rocprim17ROCPRIM_400000_NS6detail17trampoline_kernelINS0_14default_configENS1_36segmented_radix_sort_config_selectorIalEEZNS1_25segmented_radix_sort_implIS3_Lb0EPKaPaPKlPlN2at6native12_GLOBAL__N_18offset_tEEE10hipError_tPvRmT1_PNSt15iterator_traitsISK_E10value_typeET2_T3_PNSL_ISQ_E10value_typeET4_jRbjT5_SW_jjP12ihipStream_tbEUlT_E2_NS1_11comp_targetILNS1_3genE8ELNS1_11target_archE1030ELNS1_3gpuE2ELNS1_3repE0EEENS1_30default_config_static_selectorELNS0_4arch9wavefront6targetE0EEEvSK_
		.amdhsa_group_segment_fixed_size 0
		.amdhsa_private_segment_fixed_size 0
		.amdhsa_kernarg_size 80
		.amdhsa_user_sgpr_count 2
		.amdhsa_user_sgpr_dispatch_ptr 0
		.amdhsa_user_sgpr_queue_ptr 0
		.amdhsa_user_sgpr_kernarg_segment_ptr 1
		.amdhsa_user_sgpr_dispatch_id 0
		.amdhsa_user_sgpr_kernarg_preload_length 0
		.amdhsa_user_sgpr_kernarg_preload_offset 0
		.amdhsa_user_sgpr_private_segment_size 0
		.amdhsa_wavefront_size32 1
		.amdhsa_uses_dynamic_stack 0
		.amdhsa_enable_private_segment 0
		.amdhsa_system_sgpr_workgroup_id_x 1
		.amdhsa_system_sgpr_workgroup_id_y 0
		.amdhsa_system_sgpr_workgroup_id_z 0
		.amdhsa_system_sgpr_workgroup_info 0
		.amdhsa_system_vgpr_workitem_id 0
		.amdhsa_next_free_vgpr 1
		.amdhsa_next_free_sgpr 1
		.amdhsa_named_barrier_count 0
		.amdhsa_reserve_vcc 0
		.amdhsa_float_round_mode_32 0
		.amdhsa_float_round_mode_16_64 0
		.amdhsa_float_denorm_mode_32 3
		.amdhsa_float_denorm_mode_16_64 3
		.amdhsa_fp16_overflow 0
		.amdhsa_memory_ordered 1
		.amdhsa_forward_progress 1
		.amdhsa_inst_pref_size 0
		.amdhsa_round_robin_scheduling 0
		.amdhsa_exception_fp_ieee_invalid_op 0
		.amdhsa_exception_fp_denorm_src 0
		.amdhsa_exception_fp_ieee_div_zero 0
		.amdhsa_exception_fp_ieee_overflow 0
		.amdhsa_exception_fp_ieee_underflow 0
		.amdhsa_exception_fp_ieee_inexact 0
		.amdhsa_exception_int_div_zero 0
	.end_amdhsa_kernel
	.section	.text._ZN7rocprim17ROCPRIM_400000_NS6detail17trampoline_kernelINS0_14default_configENS1_36segmented_radix_sort_config_selectorIalEEZNS1_25segmented_radix_sort_implIS3_Lb0EPKaPaPKlPlN2at6native12_GLOBAL__N_18offset_tEEE10hipError_tPvRmT1_PNSt15iterator_traitsISK_E10value_typeET2_T3_PNSL_ISQ_E10value_typeET4_jRbjT5_SW_jjP12ihipStream_tbEUlT_E2_NS1_11comp_targetILNS1_3genE8ELNS1_11target_archE1030ELNS1_3gpuE2ELNS1_3repE0EEENS1_30default_config_static_selectorELNS0_4arch9wavefront6targetE0EEEvSK_,"axG",@progbits,_ZN7rocprim17ROCPRIM_400000_NS6detail17trampoline_kernelINS0_14default_configENS1_36segmented_radix_sort_config_selectorIalEEZNS1_25segmented_radix_sort_implIS3_Lb0EPKaPaPKlPlN2at6native12_GLOBAL__N_18offset_tEEE10hipError_tPvRmT1_PNSt15iterator_traitsISK_E10value_typeET2_T3_PNSL_ISQ_E10value_typeET4_jRbjT5_SW_jjP12ihipStream_tbEUlT_E2_NS1_11comp_targetILNS1_3genE8ELNS1_11target_archE1030ELNS1_3gpuE2ELNS1_3repE0EEENS1_30default_config_static_selectorELNS0_4arch9wavefront6targetE0EEEvSK_,comdat
.Lfunc_end427:
	.size	_ZN7rocprim17ROCPRIM_400000_NS6detail17trampoline_kernelINS0_14default_configENS1_36segmented_radix_sort_config_selectorIalEEZNS1_25segmented_radix_sort_implIS3_Lb0EPKaPaPKlPlN2at6native12_GLOBAL__N_18offset_tEEE10hipError_tPvRmT1_PNSt15iterator_traitsISK_E10value_typeET2_T3_PNSL_ISQ_E10value_typeET4_jRbjT5_SW_jjP12ihipStream_tbEUlT_E2_NS1_11comp_targetILNS1_3genE8ELNS1_11target_archE1030ELNS1_3gpuE2ELNS1_3repE0EEENS1_30default_config_static_selectorELNS0_4arch9wavefront6targetE0EEEvSK_, .Lfunc_end427-_ZN7rocprim17ROCPRIM_400000_NS6detail17trampoline_kernelINS0_14default_configENS1_36segmented_radix_sort_config_selectorIalEEZNS1_25segmented_radix_sort_implIS3_Lb0EPKaPaPKlPlN2at6native12_GLOBAL__N_18offset_tEEE10hipError_tPvRmT1_PNSt15iterator_traitsISK_E10value_typeET2_T3_PNSL_ISQ_E10value_typeET4_jRbjT5_SW_jjP12ihipStream_tbEUlT_E2_NS1_11comp_targetILNS1_3genE8ELNS1_11target_archE1030ELNS1_3gpuE2ELNS1_3repE0EEENS1_30default_config_static_selectorELNS0_4arch9wavefront6targetE0EEEvSK_
                                        ; -- End function
	.set _ZN7rocprim17ROCPRIM_400000_NS6detail17trampoline_kernelINS0_14default_configENS1_36segmented_radix_sort_config_selectorIalEEZNS1_25segmented_radix_sort_implIS3_Lb0EPKaPaPKlPlN2at6native12_GLOBAL__N_18offset_tEEE10hipError_tPvRmT1_PNSt15iterator_traitsISK_E10value_typeET2_T3_PNSL_ISQ_E10value_typeET4_jRbjT5_SW_jjP12ihipStream_tbEUlT_E2_NS1_11comp_targetILNS1_3genE8ELNS1_11target_archE1030ELNS1_3gpuE2ELNS1_3repE0EEENS1_30default_config_static_selectorELNS0_4arch9wavefront6targetE0EEEvSK_.num_vgpr, 0
	.set _ZN7rocprim17ROCPRIM_400000_NS6detail17trampoline_kernelINS0_14default_configENS1_36segmented_radix_sort_config_selectorIalEEZNS1_25segmented_radix_sort_implIS3_Lb0EPKaPaPKlPlN2at6native12_GLOBAL__N_18offset_tEEE10hipError_tPvRmT1_PNSt15iterator_traitsISK_E10value_typeET2_T3_PNSL_ISQ_E10value_typeET4_jRbjT5_SW_jjP12ihipStream_tbEUlT_E2_NS1_11comp_targetILNS1_3genE8ELNS1_11target_archE1030ELNS1_3gpuE2ELNS1_3repE0EEENS1_30default_config_static_selectorELNS0_4arch9wavefront6targetE0EEEvSK_.num_agpr, 0
	.set _ZN7rocprim17ROCPRIM_400000_NS6detail17trampoline_kernelINS0_14default_configENS1_36segmented_radix_sort_config_selectorIalEEZNS1_25segmented_radix_sort_implIS3_Lb0EPKaPaPKlPlN2at6native12_GLOBAL__N_18offset_tEEE10hipError_tPvRmT1_PNSt15iterator_traitsISK_E10value_typeET2_T3_PNSL_ISQ_E10value_typeET4_jRbjT5_SW_jjP12ihipStream_tbEUlT_E2_NS1_11comp_targetILNS1_3genE8ELNS1_11target_archE1030ELNS1_3gpuE2ELNS1_3repE0EEENS1_30default_config_static_selectorELNS0_4arch9wavefront6targetE0EEEvSK_.numbered_sgpr, 0
	.set _ZN7rocprim17ROCPRIM_400000_NS6detail17trampoline_kernelINS0_14default_configENS1_36segmented_radix_sort_config_selectorIalEEZNS1_25segmented_radix_sort_implIS3_Lb0EPKaPaPKlPlN2at6native12_GLOBAL__N_18offset_tEEE10hipError_tPvRmT1_PNSt15iterator_traitsISK_E10value_typeET2_T3_PNSL_ISQ_E10value_typeET4_jRbjT5_SW_jjP12ihipStream_tbEUlT_E2_NS1_11comp_targetILNS1_3genE8ELNS1_11target_archE1030ELNS1_3gpuE2ELNS1_3repE0EEENS1_30default_config_static_selectorELNS0_4arch9wavefront6targetE0EEEvSK_.num_named_barrier, 0
	.set _ZN7rocprim17ROCPRIM_400000_NS6detail17trampoline_kernelINS0_14default_configENS1_36segmented_radix_sort_config_selectorIalEEZNS1_25segmented_radix_sort_implIS3_Lb0EPKaPaPKlPlN2at6native12_GLOBAL__N_18offset_tEEE10hipError_tPvRmT1_PNSt15iterator_traitsISK_E10value_typeET2_T3_PNSL_ISQ_E10value_typeET4_jRbjT5_SW_jjP12ihipStream_tbEUlT_E2_NS1_11comp_targetILNS1_3genE8ELNS1_11target_archE1030ELNS1_3gpuE2ELNS1_3repE0EEENS1_30default_config_static_selectorELNS0_4arch9wavefront6targetE0EEEvSK_.private_seg_size, 0
	.set _ZN7rocprim17ROCPRIM_400000_NS6detail17trampoline_kernelINS0_14default_configENS1_36segmented_radix_sort_config_selectorIalEEZNS1_25segmented_radix_sort_implIS3_Lb0EPKaPaPKlPlN2at6native12_GLOBAL__N_18offset_tEEE10hipError_tPvRmT1_PNSt15iterator_traitsISK_E10value_typeET2_T3_PNSL_ISQ_E10value_typeET4_jRbjT5_SW_jjP12ihipStream_tbEUlT_E2_NS1_11comp_targetILNS1_3genE8ELNS1_11target_archE1030ELNS1_3gpuE2ELNS1_3repE0EEENS1_30default_config_static_selectorELNS0_4arch9wavefront6targetE0EEEvSK_.uses_vcc, 0
	.set _ZN7rocprim17ROCPRIM_400000_NS6detail17trampoline_kernelINS0_14default_configENS1_36segmented_radix_sort_config_selectorIalEEZNS1_25segmented_radix_sort_implIS3_Lb0EPKaPaPKlPlN2at6native12_GLOBAL__N_18offset_tEEE10hipError_tPvRmT1_PNSt15iterator_traitsISK_E10value_typeET2_T3_PNSL_ISQ_E10value_typeET4_jRbjT5_SW_jjP12ihipStream_tbEUlT_E2_NS1_11comp_targetILNS1_3genE8ELNS1_11target_archE1030ELNS1_3gpuE2ELNS1_3repE0EEENS1_30default_config_static_selectorELNS0_4arch9wavefront6targetE0EEEvSK_.uses_flat_scratch, 0
	.set _ZN7rocprim17ROCPRIM_400000_NS6detail17trampoline_kernelINS0_14default_configENS1_36segmented_radix_sort_config_selectorIalEEZNS1_25segmented_radix_sort_implIS3_Lb0EPKaPaPKlPlN2at6native12_GLOBAL__N_18offset_tEEE10hipError_tPvRmT1_PNSt15iterator_traitsISK_E10value_typeET2_T3_PNSL_ISQ_E10value_typeET4_jRbjT5_SW_jjP12ihipStream_tbEUlT_E2_NS1_11comp_targetILNS1_3genE8ELNS1_11target_archE1030ELNS1_3gpuE2ELNS1_3repE0EEENS1_30default_config_static_selectorELNS0_4arch9wavefront6targetE0EEEvSK_.has_dyn_sized_stack, 0
	.set _ZN7rocprim17ROCPRIM_400000_NS6detail17trampoline_kernelINS0_14default_configENS1_36segmented_radix_sort_config_selectorIalEEZNS1_25segmented_radix_sort_implIS3_Lb0EPKaPaPKlPlN2at6native12_GLOBAL__N_18offset_tEEE10hipError_tPvRmT1_PNSt15iterator_traitsISK_E10value_typeET2_T3_PNSL_ISQ_E10value_typeET4_jRbjT5_SW_jjP12ihipStream_tbEUlT_E2_NS1_11comp_targetILNS1_3genE8ELNS1_11target_archE1030ELNS1_3gpuE2ELNS1_3repE0EEENS1_30default_config_static_selectorELNS0_4arch9wavefront6targetE0EEEvSK_.has_recursion, 0
	.set _ZN7rocprim17ROCPRIM_400000_NS6detail17trampoline_kernelINS0_14default_configENS1_36segmented_radix_sort_config_selectorIalEEZNS1_25segmented_radix_sort_implIS3_Lb0EPKaPaPKlPlN2at6native12_GLOBAL__N_18offset_tEEE10hipError_tPvRmT1_PNSt15iterator_traitsISK_E10value_typeET2_T3_PNSL_ISQ_E10value_typeET4_jRbjT5_SW_jjP12ihipStream_tbEUlT_E2_NS1_11comp_targetILNS1_3genE8ELNS1_11target_archE1030ELNS1_3gpuE2ELNS1_3repE0EEENS1_30default_config_static_selectorELNS0_4arch9wavefront6targetE0EEEvSK_.has_indirect_call, 0
	.section	.AMDGPU.csdata,"",@progbits
; Kernel info:
; codeLenInByte = 0
; TotalNumSgprs: 0
; NumVgprs: 0
; ScratchSize: 0
; MemoryBound: 0
; FloatMode: 240
; IeeeMode: 1
; LDSByteSize: 0 bytes/workgroup (compile time only)
; SGPRBlocks: 0
; VGPRBlocks: 0
; NumSGPRsForWavesPerEU: 1
; NumVGPRsForWavesPerEU: 1
; NamedBarCnt: 0
; Occupancy: 16
; WaveLimiterHint : 0
; COMPUTE_PGM_RSRC2:SCRATCH_EN: 0
; COMPUTE_PGM_RSRC2:USER_SGPR: 2
; COMPUTE_PGM_RSRC2:TRAP_HANDLER: 0
; COMPUTE_PGM_RSRC2:TGID_X_EN: 1
; COMPUTE_PGM_RSRC2:TGID_Y_EN: 0
; COMPUTE_PGM_RSRC2:TGID_Z_EN: 0
; COMPUTE_PGM_RSRC2:TIDIG_COMP_CNT: 0
	.section	.text._ZN2at6native12_GLOBAL__N_123sort_postprocess_kernelIiEEvPKT_PS3_PlPK15HIP_vector_typeIiLj2EEii,"axG",@progbits,_ZN2at6native12_GLOBAL__N_123sort_postprocess_kernelIiEEvPKT_PS3_PlPK15HIP_vector_typeIiLj2EEii,comdat
	.globl	_ZN2at6native12_GLOBAL__N_123sort_postprocess_kernelIiEEvPKT_PS3_PlPK15HIP_vector_typeIiLj2EEii ; -- Begin function _ZN2at6native12_GLOBAL__N_123sort_postprocess_kernelIiEEvPKT_PS3_PlPK15HIP_vector_typeIiLj2EEii
	.p2align	8
	.type	_ZN2at6native12_GLOBAL__N_123sort_postprocess_kernelIiEEvPKT_PS3_PlPK15HIP_vector_typeIiLj2EEii,@function
_ZN2at6native12_GLOBAL__N_123sort_postprocess_kernelIiEEvPKT_PS3_PlPK15HIP_vector_typeIiLj2EEii: ; @_ZN2at6native12_GLOBAL__N_123sort_postprocess_kernelIiEEvPKT_PS3_PlPK15HIP_vector_typeIiLj2EEii
; %bb.0:
	s_clause 0x1
	s_load_b32 s2, s[0:1], 0x34
	s_load_b64 s[4:5], s[0:1], 0x20
	s_bfe_u32 s7, ttmp6, 0x4000c
	s_and_b32 s6, ttmp6, 15
	s_add_co_i32 s7, s7, 1
	s_getreg_b32 s8, hwreg(HW_REG_IB_STS2, 6, 4)
	s_mul_i32 s7, ttmp9, s7
	s_mov_b32 s3, 0
	s_add_co_i32 s6, s6, s7
	s_cmp_eq_u32 s8, 0
	v_mov_b32_e32 v1, 0
	s_mov_b32 s19, s3
	s_cselect_b32 s18, ttmp9, s6
	s_mov_b32 s17, s3
	s_wait_kmcnt 0x0
	s_and_b32 s16, s2, 0xffff
	s_mul_i32 s14, s5, s4
	s_mul_u64 s[12:13], s[16:17], s[18:19]
	s_ashr_i32 s15, s14, 31
	v_add_nc_u64_e32 v[2:3], s[12:13], v[0:1]
	s_mov_b32 s2, exec_lo
	s_delay_alu instid0(VALU_DEP_1)
	v_cmpx_gt_i64_e64 s[14:15], v[2:3]
	s_cbranch_execz .LBB428_3
; %bb.1:
	s_abs_i32 s17, s5
	s_add_nc_u64 s[20:21], s[0:1], 40
	s_cvt_f32_u32 s2, s17
	s_sub_co_i32 s19, 0, s17
	s_mul_i32 s18, s18, s16
	s_delay_alu instid0(SALU_CYCLE_1)
	v_rcp_iflag_f32_e32 v2, s2
	s_load_b32 s2, s[20:21], 0x0
	s_load_b256 s[4:11], s[0:1], 0x0
	s_wait_xcnt 0x0
	s_mov_b32 s1, s3
	v_nop
	s_delay_alu instid0(TRANS32_DEP_1) | instskip(SKIP_2) | instid1(SALU_CYCLE_3)
	v_readfirstlane_b32 s0, v2
	v_mov_b64_e32 v[2:3], v[0:1]
	s_mul_f32 s0, s0, 0x4f7ffffe
	s_cvt_u32_f32 s0, s0
	s_wait_kmcnt 0x0
	s_mul_i32 s2, s2, s16
	s_delay_alu instid0(SALU_CYCLE_1) | instskip(SKIP_2) | instid1(SALU_CYCLE_1)
	s_mul_i32 s19, s19, s0
	s_mov_b32 s16, s3
	s_mul_hi_u32 s19, s0, s19
	s_add_co_i32 s0, s0, s19
.LBB428_2:                              ; =>This Inner Loop Header: Depth=1
	v_add_nc_u32_e32 v6, s18, v2
	v_add_nc_u64_e32 v[2:3], s[2:3], v[2:3]
	s_delay_alu instid0(VALU_DEP_2) | instskip(NEXT) | instid1(VALU_DEP_1)
	v_sub_nc_u32_e32 v0, 0, v6
	v_max_i32_e32 v0, v6, v0
	s_delay_alu instid0(VALU_DEP_1) | instskip(NEXT) | instid1(VALU_DEP_1)
	v_mul_u64_e32 v[4:5], s[0:1], v[0:1]
	v_mul_lo_u32 v4, v5, s17
	s_delay_alu instid0(VALU_DEP_1) | instskip(NEXT) | instid1(VALU_DEP_1)
	v_dual_sub_nc_u32 v0, v0, v4 :: v_dual_ashrrev_i32 v7, 31, v6
	v_subrev_nc_u32_e32 v4, s17, v0
	v_cmp_le_u32_e32 vcc_lo, s17, v0
	s_delay_alu instid0(VALU_DEP_2) | instskip(NEXT) | instid1(VALU_DEP_1)
	v_cndmask_b32_e32 v0, v0, v4, vcc_lo
	v_subrev_nc_u32_e32 v4, s17, v0
	v_cmp_le_u32_e32 vcc_lo, s17, v0
	s_delay_alu instid0(VALU_DEP_2) | instskip(NEXT) | instid1(VALU_DEP_1)
	v_dual_cndmask_b32 v0, v0, v4, vcc_lo :: v_dual_add_nc_u32 v4, v6, v7
	v_xor_b32_e32 v0, v0, v7
	s_delay_alu instid0(VALU_DEP_1) | instskip(NEXT) | instid1(VALU_DEP_1)
	v_sub_nc_u32_e32 v4, v4, v0
	v_dual_sub_nc_u32 v6, v0, v7 :: v_dual_ashrrev_i32 v5, 31, v4
	s_delay_alu instid0(VALU_DEP_1) | instskip(NEXT) | instid1(VALU_DEP_2)
	v_ashrrev_i32_e32 v7, 31, v6
	v_lshlrev_b64_e32 v[8:9], 3, v[4:5]
	s_delay_alu instid0(VALU_DEP_2) | instskip(SKIP_1) | instid1(VALU_DEP_3)
	v_lshlrev_b64_e32 v[10:11], 3, v[6:7]
	v_lshlrev_b64_e32 v[4:5], 2, v[4:5]
	v_add_nc_u64_e32 v[12:13], s[10:11], v[8:9]
	v_add_nc_u64_e32 v[8:9], s[8:9], v[8:9]
	s_delay_alu instid0(VALU_DEP_3) | instskip(SKIP_1) | instid1(VALU_DEP_4)
	v_add_nc_u64_e32 v[14:15], s[4:5], v[4:5]
	v_add_nc_u64_e32 v[4:5], s[6:7], v[4:5]
	;; [unrolled: 1-line block ×3, first 2 shown]
	s_delay_alu instid0(VALU_DEP_4) | instskip(NEXT) | instid1(VALU_DEP_3)
	v_add_nc_u64_e32 v[8:9], v[8:9], v[10:11]
	v_lshl_add_u64 v[4:5], v[6:7], 2, v[4:5]
	global_load_b32 v12, v[12:13], off offset:4
	s_wait_loadcnt 0x0
	s_wait_xcnt 0x0
	v_ashrrev_i32_e32 v13, 31, v12
	s_delay_alu instid0(VALU_DEP_1)
	v_lshl_add_u64 v[14:15], v[12:13], 2, v[14:15]
	global_load_b32 v0, v[14:15], off
	s_wait_xcnt 0x0
	v_add_nc_u64_e32 v[14:15], s[12:13], v[2:3]
	global_store_b64 v[8:9], v[12:13], off
	s_wait_loadcnt 0x0
	global_store_b32 v[4:5], v0, off
	v_cmp_le_i64_e32 vcc_lo, s[14:15], v[14:15]
	s_or_b32 s16, vcc_lo, s16
	s_wait_xcnt 0x0
	s_and_not1_b32 exec_lo, exec_lo, s16
	s_cbranch_execnz .LBB428_2
.LBB428_3:
	s_endpgm
	.section	.rodata,"a",@progbits
	.p2align	6, 0x0
	.amdhsa_kernel _ZN2at6native12_GLOBAL__N_123sort_postprocess_kernelIiEEvPKT_PS3_PlPK15HIP_vector_typeIiLj2EEii
		.amdhsa_group_segment_fixed_size 0
		.amdhsa_private_segment_fixed_size 0
		.amdhsa_kernarg_size 296
		.amdhsa_user_sgpr_count 2
		.amdhsa_user_sgpr_dispatch_ptr 0
		.amdhsa_user_sgpr_queue_ptr 0
		.amdhsa_user_sgpr_kernarg_segment_ptr 1
		.amdhsa_user_sgpr_dispatch_id 0
		.amdhsa_user_sgpr_kernarg_preload_length 0
		.amdhsa_user_sgpr_kernarg_preload_offset 0
		.amdhsa_user_sgpr_private_segment_size 0
		.amdhsa_wavefront_size32 1
		.amdhsa_uses_dynamic_stack 0
		.amdhsa_enable_private_segment 0
		.amdhsa_system_sgpr_workgroup_id_x 1
		.amdhsa_system_sgpr_workgroup_id_y 0
		.amdhsa_system_sgpr_workgroup_id_z 0
		.amdhsa_system_sgpr_workgroup_info 0
		.amdhsa_system_vgpr_workitem_id 0
		.amdhsa_next_free_vgpr 16
		.amdhsa_next_free_sgpr 22
		.amdhsa_named_barrier_count 0
		.amdhsa_reserve_vcc 1
		.amdhsa_float_round_mode_32 0
		.amdhsa_float_round_mode_16_64 0
		.amdhsa_float_denorm_mode_32 3
		.amdhsa_float_denorm_mode_16_64 3
		.amdhsa_fp16_overflow 0
		.amdhsa_memory_ordered 1
		.amdhsa_forward_progress 1
		.amdhsa_inst_pref_size 5
		.amdhsa_round_robin_scheduling 0
		.amdhsa_exception_fp_ieee_invalid_op 0
		.amdhsa_exception_fp_denorm_src 0
		.amdhsa_exception_fp_ieee_div_zero 0
		.amdhsa_exception_fp_ieee_overflow 0
		.amdhsa_exception_fp_ieee_underflow 0
		.amdhsa_exception_fp_ieee_inexact 0
		.amdhsa_exception_int_div_zero 0
	.end_amdhsa_kernel
	.section	.text._ZN2at6native12_GLOBAL__N_123sort_postprocess_kernelIiEEvPKT_PS3_PlPK15HIP_vector_typeIiLj2EEii,"axG",@progbits,_ZN2at6native12_GLOBAL__N_123sort_postprocess_kernelIiEEvPKT_PS3_PlPK15HIP_vector_typeIiLj2EEii,comdat
.Lfunc_end428:
	.size	_ZN2at6native12_GLOBAL__N_123sort_postprocess_kernelIiEEvPKT_PS3_PlPK15HIP_vector_typeIiLj2EEii, .Lfunc_end428-_ZN2at6native12_GLOBAL__N_123sort_postprocess_kernelIiEEvPKT_PS3_PlPK15HIP_vector_typeIiLj2EEii
                                        ; -- End function
	.set _ZN2at6native12_GLOBAL__N_123sort_postprocess_kernelIiEEvPKT_PS3_PlPK15HIP_vector_typeIiLj2EEii.num_vgpr, 16
	.set _ZN2at6native12_GLOBAL__N_123sort_postprocess_kernelIiEEvPKT_PS3_PlPK15HIP_vector_typeIiLj2EEii.num_agpr, 0
	.set _ZN2at6native12_GLOBAL__N_123sort_postprocess_kernelIiEEvPKT_PS3_PlPK15HIP_vector_typeIiLj2EEii.numbered_sgpr, 22
	.set _ZN2at6native12_GLOBAL__N_123sort_postprocess_kernelIiEEvPKT_PS3_PlPK15HIP_vector_typeIiLj2EEii.num_named_barrier, 0
	.set _ZN2at6native12_GLOBAL__N_123sort_postprocess_kernelIiEEvPKT_PS3_PlPK15HIP_vector_typeIiLj2EEii.private_seg_size, 0
	.set _ZN2at6native12_GLOBAL__N_123sort_postprocess_kernelIiEEvPKT_PS3_PlPK15HIP_vector_typeIiLj2EEii.uses_vcc, 1
	.set _ZN2at6native12_GLOBAL__N_123sort_postprocess_kernelIiEEvPKT_PS3_PlPK15HIP_vector_typeIiLj2EEii.uses_flat_scratch, 0
	.set _ZN2at6native12_GLOBAL__N_123sort_postprocess_kernelIiEEvPKT_PS3_PlPK15HIP_vector_typeIiLj2EEii.has_dyn_sized_stack, 0
	.set _ZN2at6native12_GLOBAL__N_123sort_postprocess_kernelIiEEvPKT_PS3_PlPK15HIP_vector_typeIiLj2EEii.has_recursion, 0
	.set _ZN2at6native12_GLOBAL__N_123sort_postprocess_kernelIiEEvPKT_PS3_PlPK15HIP_vector_typeIiLj2EEii.has_indirect_call, 0
	.section	.AMDGPU.csdata,"",@progbits
; Kernel info:
; codeLenInByte = 516
; TotalNumSgprs: 24
; NumVgprs: 16
; ScratchSize: 0
; MemoryBound: 0
; FloatMode: 240
; IeeeMode: 1
; LDSByteSize: 0 bytes/workgroup (compile time only)
; SGPRBlocks: 0
; VGPRBlocks: 0
; NumSGPRsForWavesPerEU: 24
; NumVGPRsForWavesPerEU: 16
; NamedBarCnt: 0
; Occupancy: 16
; WaveLimiterHint : 1
; COMPUTE_PGM_RSRC2:SCRATCH_EN: 0
; COMPUTE_PGM_RSRC2:USER_SGPR: 2
; COMPUTE_PGM_RSRC2:TRAP_HANDLER: 0
; COMPUTE_PGM_RSRC2:TGID_X_EN: 1
; COMPUTE_PGM_RSRC2:TGID_Y_EN: 0
; COMPUTE_PGM_RSRC2:TGID_Z_EN: 0
; COMPUTE_PGM_RSRC2:TIDIG_COMP_CNT: 0
	.section	.text._ZN7rocprim17ROCPRIM_400000_NS6detail17trampoline_kernelINS0_13select_configILj256ELj13ELNS0_17block_load_methodE3ELS4_3ELS4_3ELNS0_20block_scan_algorithmE0ELj4294967295EEENS1_25partition_config_selectorILNS1_17partition_subalgoE4EjNS0_10empty_typeEbEEZZNS1_14partition_implILS8_4ELb0ES6_15HIP_vector_typeIjLj2EENS0_17counting_iteratorIjlEEPS9_SG_NS0_5tupleIJPjSI_NS0_16reverse_iteratorISI_EEEEENSH_IJSG_SG_SG_EEES9_SI_JZNS1_25segmented_radix_sort_implINS0_14default_configELb1EPKiPiPKlPlN2at6native12_GLOBAL__N_18offset_tEEE10hipError_tPvRmT1_PNSt15iterator_traitsIS12_E10value_typeET2_T3_PNS13_IS18_E10value_typeET4_jRbjT5_S1E_jjP12ihipStream_tbEUljE_ZNSN_ISO_Lb1ESQ_SR_ST_SU_SY_EESZ_S10_S11_S12_S16_S17_S18_S1B_S1C_jS1D_jS1E_S1E_jjS1G_bEUljE0_EEESZ_S10_S11_S18_S1C_S1E_T6_T7_T9_mT8_S1G_bDpT10_ENKUlT_T0_E_clISt17integral_constantIbLb0EES1U_EEDaS1P_S1Q_EUlS1P_E_NS1_11comp_targetILNS1_3genE0ELNS1_11target_archE4294967295ELNS1_3gpuE0ELNS1_3repE0EEENS1_30default_config_static_selectorELNS0_4arch9wavefront6targetE0EEEvS12_,"axG",@progbits,_ZN7rocprim17ROCPRIM_400000_NS6detail17trampoline_kernelINS0_13select_configILj256ELj13ELNS0_17block_load_methodE3ELS4_3ELS4_3ELNS0_20block_scan_algorithmE0ELj4294967295EEENS1_25partition_config_selectorILNS1_17partition_subalgoE4EjNS0_10empty_typeEbEEZZNS1_14partition_implILS8_4ELb0ES6_15HIP_vector_typeIjLj2EENS0_17counting_iteratorIjlEEPS9_SG_NS0_5tupleIJPjSI_NS0_16reverse_iteratorISI_EEEEENSH_IJSG_SG_SG_EEES9_SI_JZNS1_25segmented_radix_sort_implINS0_14default_configELb1EPKiPiPKlPlN2at6native12_GLOBAL__N_18offset_tEEE10hipError_tPvRmT1_PNSt15iterator_traitsIS12_E10value_typeET2_T3_PNS13_IS18_E10value_typeET4_jRbjT5_S1E_jjP12ihipStream_tbEUljE_ZNSN_ISO_Lb1ESQ_SR_ST_SU_SY_EESZ_S10_S11_S12_S16_S17_S18_S1B_S1C_jS1D_jS1E_S1E_jjS1G_bEUljE0_EEESZ_S10_S11_S18_S1C_S1E_T6_T7_T9_mT8_S1G_bDpT10_ENKUlT_T0_E_clISt17integral_constantIbLb0EES1U_EEDaS1P_S1Q_EUlS1P_E_NS1_11comp_targetILNS1_3genE0ELNS1_11target_archE4294967295ELNS1_3gpuE0ELNS1_3repE0EEENS1_30default_config_static_selectorELNS0_4arch9wavefront6targetE0EEEvS12_,comdat
	.globl	_ZN7rocprim17ROCPRIM_400000_NS6detail17trampoline_kernelINS0_13select_configILj256ELj13ELNS0_17block_load_methodE3ELS4_3ELS4_3ELNS0_20block_scan_algorithmE0ELj4294967295EEENS1_25partition_config_selectorILNS1_17partition_subalgoE4EjNS0_10empty_typeEbEEZZNS1_14partition_implILS8_4ELb0ES6_15HIP_vector_typeIjLj2EENS0_17counting_iteratorIjlEEPS9_SG_NS0_5tupleIJPjSI_NS0_16reverse_iteratorISI_EEEEENSH_IJSG_SG_SG_EEES9_SI_JZNS1_25segmented_radix_sort_implINS0_14default_configELb1EPKiPiPKlPlN2at6native12_GLOBAL__N_18offset_tEEE10hipError_tPvRmT1_PNSt15iterator_traitsIS12_E10value_typeET2_T3_PNS13_IS18_E10value_typeET4_jRbjT5_S1E_jjP12ihipStream_tbEUljE_ZNSN_ISO_Lb1ESQ_SR_ST_SU_SY_EESZ_S10_S11_S12_S16_S17_S18_S1B_S1C_jS1D_jS1E_S1E_jjS1G_bEUljE0_EEESZ_S10_S11_S18_S1C_S1E_T6_T7_T9_mT8_S1G_bDpT10_ENKUlT_T0_E_clISt17integral_constantIbLb0EES1U_EEDaS1P_S1Q_EUlS1P_E_NS1_11comp_targetILNS1_3genE0ELNS1_11target_archE4294967295ELNS1_3gpuE0ELNS1_3repE0EEENS1_30default_config_static_selectorELNS0_4arch9wavefront6targetE0EEEvS12_ ; -- Begin function _ZN7rocprim17ROCPRIM_400000_NS6detail17trampoline_kernelINS0_13select_configILj256ELj13ELNS0_17block_load_methodE3ELS4_3ELS4_3ELNS0_20block_scan_algorithmE0ELj4294967295EEENS1_25partition_config_selectorILNS1_17partition_subalgoE4EjNS0_10empty_typeEbEEZZNS1_14partition_implILS8_4ELb0ES6_15HIP_vector_typeIjLj2EENS0_17counting_iteratorIjlEEPS9_SG_NS0_5tupleIJPjSI_NS0_16reverse_iteratorISI_EEEEENSH_IJSG_SG_SG_EEES9_SI_JZNS1_25segmented_radix_sort_implINS0_14default_configELb1EPKiPiPKlPlN2at6native12_GLOBAL__N_18offset_tEEE10hipError_tPvRmT1_PNSt15iterator_traitsIS12_E10value_typeET2_T3_PNS13_IS18_E10value_typeET4_jRbjT5_S1E_jjP12ihipStream_tbEUljE_ZNSN_ISO_Lb1ESQ_SR_ST_SU_SY_EESZ_S10_S11_S12_S16_S17_S18_S1B_S1C_jS1D_jS1E_S1E_jjS1G_bEUljE0_EEESZ_S10_S11_S18_S1C_S1E_T6_T7_T9_mT8_S1G_bDpT10_ENKUlT_T0_E_clISt17integral_constantIbLb0EES1U_EEDaS1P_S1Q_EUlS1P_E_NS1_11comp_targetILNS1_3genE0ELNS1_11target_archE4294967295ELNS1_3gpuE0ELNS1_3repE0EEENS1_30default_config_static_selectorELNS0_4arch9wavefront6targetE0EEEvS12_
	.p2align	8
	.type	_ZN7rocprim17ROCPRIM_400000_NS6detail17trampoline_kernelINS0_13select_configILj256ELj13ELNS0_17block_load_methodE3ELS4_3ELS4_3ELNS0_20block_scan_algorithmE0ELj4294967295EEENS1_25partition_config_selectorILNS1_17partition_subalgoE4EjNS0_10empty_typeEbEEZZNS1_14partition_implILS8_4ELb0ES6_15HIP_vector_typeIjLj2EENS0_17counting_iteratorIjlEEPS9_SG_NS0_5tupleIJPjSI_NS0_16reverse_iteratorISI_EEEEENSH_IJSG_SG_SG_EEES9_SI_JZNS1_25segmented_radix_sort_implINS0_14default_configELb1EPKiPiPKlPlN2at6native12_GLOBAL__N_18offset_tEEE10hipError_tPvRmT1_PNSt15iterator_traitsIS12_E10value_typeET2_T3_PNS13_IS18_E10value_typeET4_jRbjT5_S1E_jjP12ihipStream_tbEUljE_ZNSN_ISO_Lb1ESQ_SR_ST_SU_SY_EESZ_S10_S11_S12_S16_S17_S18_S1B_S1C_jS1D_jS1E_S1E_jjS1G_bEUljE0_EEESZ_S10_S11_S18_S1C_S1E_T6_T7_T9_mT8_S1G_bDpT10_ENKUlT_T0_E_clISt17integral_constantIbLb0EES1U_EEDaS1P_S1Q_EUlS1P_E_NS1_11comp_targetILNS1_3genE0ELNS1_11target_archE4294967295ELNS1_3gpuE0ELNS1_3repE0EEENS1_30default_config_static_selectorELNS0_4arch9wavefront6targetE0EEEvS12_,@function
_ZN7rocprim17ROCPRIM_400000_NS6detail17trampoline_kernelINS0_13select_configILj256ELj13ELNS0_17block_load_methodE3ELS4_3ELS4_3ELNS0_20block_scan_algorithmE0ELj4294967295EEENS1_25partition_config_selectorILNS1_17partition_subalgoE4EjNS0_10empty_typeEbEEZZNS1_14partition_implILS8_4ELb0ES6_15HIP_vector_typeIjLj2EENS0_17counting_iteratorIjlEEPS9_SG_NS0_5tupleIJPjSI_NS0_16reverse_iteratorISI_EEEEENSH_IJSG_SG_SG_EEES9_SI_JZNS1_25segmented_radix_sort_implINS0_14default_configELb1EPKiPiPKlPlN2at6native12_GLOBAL__N_18offset_tEEE10hipError_tPvRmT1_PNSt15iterator_traitsIS12_E10value_typeET2_T3_PNS13_IS18_E10value_typeET4_jRbjT5_S1E_jjP12ihipStream_tbEUljE_ZNSN_ISO_Lb1ESQ_SR_ST_SU_SY_EESZ_S10_S11_S12_S16_S17_S18_S1B_S1C_jS1D_jS1E_S1E_jjS1G_bEUljE0_EEESZ_S10_S11_S18_S1C_S1E_T6_T7_T9_mT8_S1G_bDpT10_ENKUlT_T0_E_clISt17integral_constantIbLb0EES1U_EEDaS1P_S1Q_EUlS1P_E_NS1_11comp_targetILNS1_3genE0ELNS1_11target_archE4294967295ELNS1_3gpuE0ELNS1_3repE0EEENS1_30default_config_static_selectorELNS0_4arch9wavefront6targetE0EEEvS12_: ; @_ZN7rocprim17ROCPRIM_400000_NS6detail17trampoline_kernelINS0_13select_configILj256ELj13ELNS0_17block_load_methodE3ELS4_3ELS4_3ELNS0_20block_scan_algorithmE0ELj4294967295EEENS1_25partition_config_selectorILNS1_17partition_subalgoE4EjNS0_10empty_typeEbEEZZNS1_14partition_implILS8_4ELb0ES6_15HIP_vector_typeIjLj2EENS0_17counting_iteratorIjlEEPS9_SG_NS0_5tupleIJPjSI_NS0_16reverse_iteratorISI_EEEEENSH_IJSG_SG_SG_EEES9_SI_JZNS1_25segmented_radix_sort_implINS0_14default_configELb1EPKiPiPKlPlN2at6native12_GLOBAL__N_18offset_tEEE10hipError_tPvRmT1_PNSt15iterator_traitsIS12_E10value_typeET2_T3_PNS13_IS18_E10value_typeET4_jRbjT5_S1E_jjP12ihipStream_tbEUljE_ZNSN_ISO_Lb1ESQ_SR_ST_SU_SY_EESZ_S10_S11_S12_S16_S17_S18_S1B_S1C_jS1D_jS1E_S1E_jjS1G_bEUljE0_EEESZ_S10_S11_S18_S1C_S1E_T6_T7_T9_mT8_S1G_bDpT10_ENKUlT_T0_E_clISt17integral_constantIbLb0EES1U_EEDaS1P_S1Q_EUlS1P_E_NS1_11comp_targetILNS1_3genE0ELNS1_11target_archE4294967295ELNS1_3gpuE0ELNS1_3repE0EEENS1_30default_config_static_selectorELNS0_4arch9wavefront6targetE0EEEvS12_
; %bb.0:
	s_clause 0x4
	s_load_b128 s[24:27], s[0:1], 0x58
	s_load_b32 s4, s[0:1], 0x80
	s_load_b64 s[34:35], s[0:1], 0x10
	s_load_b64 s[2:3], s[0:1], 0x68
	s_load_b32 s8, s[0:1], 0x8
	s_bfe_u32 s5, ttmp6, 0x4000c
	s_and_b32 s6, ttmp6, 15
	s_add_co_i32 s5, s5, 1
	s_getreg_b32 s7, hwreg(HW_REG_IB_STS2, 6, 4)
	s_mul_i32 s5, ttmp9, s5
	s_load_b64 s[42:43], s[0:1], 0xa8
	s_add_co_i32 s6, s6, s5
	s_cmp_eq_u32 s7, 0
	s_load_b256 s[16:23], s[0:1], 0x88
	s_cselect_b32 s33, ttmp9, s6
	s_mov_b32 s5, 0
	s_mul_i32 s40, s33, 0xd00
	s_wait_kmcnt 0x0
	s_add_co_i32 s9, s4, -1
	s_mulk_i32 s4, 0xd00
	s_load_b128 s[28:31], s[26:27], 0x0
	s_cmp_eq_u32 s33, s9
	s_add_nc_u64 s[6:7], s[34:35], s[4:5]
	s_cselect_b32 s15, -1, 0
	s_cmp_lg_u32 s33, s9
	v_cmp_gt_u64_e64 s3, s[2:3], s[6:7]
	s_cselect_b32 s5, -1, 0
	s_add_co_i32 s6, s8, s40
	s_delay_alu instid0(SALU_CYCLE_1) | instskip(NEXT) | instid1(SALU_CYCLE_1)
	s_add_co_i32 s6, s6, s34
	v_add_nc_u32_e32 v1, s6, v0
	s_or_b32 s3, s5, s3
	s_mov_b32 s5, -1
	s_and_b32 vcc_lo, exec_lo, s3
	s_delay_alu instid0(VALU_DEP_1)
	v_add_nc_u32_e32 v2, 0x100, v1
	v_add_nc_u32_e32 v3, 0x200, v1
	;; [unrolled: 1-line block ×12, first 2 shown]
	s_cbranch_vccz .LBB429_2
; %bb.1:
	v_lshlrev_b32_e32 v14, 2, v0
	s_mov_b32 s5, 0
	ds_store_2addr_stride64_b32 v14, v1, v2 offset1:4
	ds_store_2addr_stride64_b32 v14, v3, v4 offset0:8 offset1:12
	ds_store_2addr_stride64_b32 v14, v5, v6 offset0:16 offset1:20
	;; [unrolled: 1-line block ×5, first 2 shown]
	ds_store_b32 v14, v13 offset:12288
	s_wait_dscnt 0x0
	s_barrier_signal -1
	s_barrier_wait -1
.LBB429_2:
	s_and_not1_b32 vcc_lo, exec_lo, s5
	s_add_co_i32 s4, s4, s34
	s_cbranch_vccnz .LBB429_4
; %bb.3:
	v_lshlrev_b32_e32 v14, 2, v0
	ds_store_2addr_stride64_b32 v14, v1, v2 offset1:4
	ds_store_2addr_stride64_b32 v14, v3, v4 offset0:8 offset1:12
	ds_store_2addr_stride64_b32 v14, v5, v6 offset0:16 offset1:20
	;; [unrolled: 1-line block ×5, first 2 shown]
	ds_store_b32 v14, v13 offset:12288
	s_wait_dscnt 0x0
	s_barrier_signal -1
	s_barrier_wait -1
.LBB429_4:
	v_mul_u32_u24_e32 v30, 13, v0
	s_load_b128 s[36:39], s[0:1], 0x28
	s_wait_xcnt 0x0
	s_load_b64 s[26:27], s[0:1], 0x38
	v_cndmask_b32_e64 v29, 0, 1, s3
	s_sub_co_i32 s41, s2, s4
	v_lshlrev_b32_e32 v1, 2, v30
	s_and_not1_b32 vcc_lo, exec_lo, s3
	ds_load_b32 v28, v1 offset:48
	ds_load_2addr_b32 v[10:11], v1 offset0:10 offset1:11
	ds_load_2addr_b32 v[12:13], v1 offset0:8 offset1:9
	;; [unrolled: 1-line block ×4, first 2 shown]
	ds_load_2addr_b32 v[20:21], v1 offset1:1
	ds_load_2addr_b32 v[18:19], v1 offset0:2 offset1:3
	s_wait_dscnt 0x0
	s_barrier_signal -1
	s_barrier_wait -1
	s_cbranch_vccnz .LBB429_32
; %bb.5:
	v_dual_add_nc_u32 v1, s17, v20 :: v_dual_add_nc_u32 v2, s19, v20
	s_mov_b32 s45, 0
	s_mov_b32 s44, 0
	s_mov_b32 s3, exec_lo
	s_delay_alu instid0(VALU_DEP_1) | instskip(SKIP_1) | instid1(VALU_DEP_1)
	v_mul_lo_u32 v1, v1, s16
	v_mul_lo_u32 v2, v2, s18
	v_sub_nc_u32_e32 v1, v1, v2
	s_delay_alu instid0(VALU_DEP_1)
	v_cmp_lt_u32_e32 vcc_lo, s20, v1
	v_cmpx_ge_u32_e64 s20, v1
	s_cbranch_execz .LBB429_7
; %bb.6:
	v_dual_add_nc_u32 v1, s22, v20 :: v_dual_add_nc_u32 v2, s42, v20
	s_delay_alu instid0(VALU_DEP_1) | instskip(NEXT) | instid1(VALU_DEP_2)
	v_mul_lo_u32 v1, v1, s21
	v_mul_lo_u32 v2, v2, s23
	s_delay_alu instid0(VALU_DEP_1) | instskip(NEXT) | instid1(VALU_DEP_1)
	v_sub_nc_u32_e32 v1, v1, v2
	v_cmp_lt_u32_e64 s2, s43, v1
	s_and_b32 s44, s2, exec_lo
.LBB429_7:
	s_or_b32 exec_lo, exec_lo, s3
	v_dual_add_nc_u32 v1, s17, v21 :: v_dual_add_nc_u32 v2, s19, v21
	s_mov_b32 s4, exec_lo
	s_delay_alu instid0(VALU_DEP_1) | instskip(NEXT) | instid1(VALU_DEP_2)
	v_mul_lo_u32 v1, v1, s16
	v_mul_lo_u32 v2, v2, s18
	s_delay_alu instid0(VALU_DEP_1) | instskip(NEXT) | instid1(VALU_DEP_1)
	v_sub_nc_u32_e32 v1, v1, v2
	v_cmp_lt_u32_e64 s2, s20, v1
	v_cmpx_ge_u32_e64 s20, v1
	s_cbranch_execz .LBB429_9
; %bb.8:
	v_dual_add_nc_u32 v1, s22, v21 :: v_dual_add_nc_u32 v2, s42, v21
	s_delay_alu instid0(VALU_DEP_1) | instskip(NEXT) | instid1(VALU_DEP_2)
	v_mul_lo_u32 v1, v1, s21
	v_mul_lo_u32 v2, v2, s23
	s_delay_alu instid0(VALU_DEP_1) | instskip(NEXT) | instid1(VALU_DEP_1)
	v_sub_nc_u32_e32 v1, v1, v2
	v_cmp_lt_u32_e64 s3, s43, v1
	s_and_b32 s45, s3, exec_lo
.LBB429_9:
	s_or_b32 exec_lo, exec_lo, s4
	v_dual_add_nc_u32 v1, s17, v18 :: v_dual_add_nc_u32 v2, s19, v18
	s_mov_b32 s47, 0
	s_mov_b32 s46, 0
	s_mov_b32 s5, exec_lo
	s_delay_alu instid0(VALU_DEP_1) | instskip(SKIP_1) | instid1(VALU_DEP_1)
	v_mul_lo_u32 v1, v1, s16
	v_mul_lo_u32 v2, v2, s18
	v_sub_nc_u32_e32 v1, v1, v2
	s_delay_alu instid0(VALU_DEP_1)
	v_cmp_lt_u32_e64 s3, s20, v1
	v_cmpx_ge_u32_e64 s20, v1
	s_cbranch_execz .LBB429_11
; %bb.10:
	v_dual_add_nc_u32 v1, s22, v18 :: v_dual_add_nc_u32 v2, s42, v18
	s_delay_alu instid0(VALU_DEP_1) | instskip(NEXT) | instid1(VALU_DEP_2)
	v_mul_lo_u32 v1, v1, s21
	v_mul_lo_u32 v2, v2, s23
	s_delay_alu instid0(VALU_DEP_1) | instskip(NEXT) | instid1(VALU_DEP_1)
	v_sub_nc_u32_e32 v1, v1, v2
	v_cmp_lt_u32_e64 s4, s43, v1
	s_and_b32 s46, s4, exec_lo
.LBB429_11:
	s_or_b32 exec_lo, exec_lo, s5
	v_dual_add_nc_u32 v1, s17, v19 :: v_dual_add_nc_u32 v2, s19, v19
	s_mov_b32 s6, exec_lo
	s_delay_alu instid0(VALU_DEP_1) | instskip(NEXT) | instid1(VALU_DEP_2)
	v_mul_lo_u32 v1, v1, s16
	v_mul_lo_u32 v2, v2, s18
	s_delay_alu instid0(VALU_DEP_1) | instskip(NEXT) | instid1(VALU_DEP_1)
	v_sub_nc_u32_e32 v1, v1, v2
	v_cmp_lt_u32_e64 s4, s20, v1
	v_cmpx_ge_u32_e64 s20, v1
	s_cbranch_execz .LBB429_13
; %bb.12:
	v_dual_add_nc_u32 v1, s22, v19 :: v_dual_add_nc_u32 v2, s42, v19
	s_delay_alu instid0(VALU_DEP_1) | instskip(NEXT) | instid1(VALU_DEP_2)
	v_mul_lo_u32 v1, v1, s21
	v_mul_lo_u32 v2, v2, s23
	s_delay_alu instid0(VALU_DEP_1) | instskip(NEXT) | instid1(VALU_DEP_1)
	v_sub_nc_u32_e32 v1, v1, v2
	v_cmp_lt_u32_e64 s5, s43, v1
	s_and_b32 s47, s5, exec_lo
.LBB429_13:
	s_or_b32 exec_lo, exec_lo, s6
	v_dual_add_nc_u32 v1, s17, v16 :: v_dual_add_nc_u32 v2, s19, v16
	s_mov_b32 s49, 0
	s_mov_b32 s48, 0
	s_mov_b32 s7, exec_lo
	s_delay_alu instid0(VALU_DEP_1) | instskip(SKIP_1) | instid1(VALU_DEP_1)
	v_mul_lo_u32 v1, v1, s16
	v_mul_lo_u32 v2, v2, s18
	v_sub_nc_u32_e32 v1, v1, v2
	s_delay_alu instid0(VALU_DEP_1)
	v_cmp_lt_u32_e64 s5, s20, v1
	;; [unrolled: 44-line block ×6, first 2 shown]
	v_cmpx_ge_u32_e64 s20, v1
	s_cbranch_execz .LBB429_31
; %bb.30:
	v_dual_add_nc_u32 v1, s22, v28 :: v_dual_add_nc_u32 v2, s42, v28
	s_delay_alu instid0(VALU_DEP_1) | instskip(NEXT) | instid1(VALU_DEP_2)
	v_mul_lo_u32 v1, v1, s21
	v_mul_lo_u32 v2, v2, s23
	s_delay_alu instid0(VALU_DEP_1) | instskip(NEXT) | instid1(VALU_DEP_1)
	v_sub_nc_u32_e32 v1, v1, v2
	v_cmp_lt_u32_e64 s14, s43, v1
	s_and_b32 s57, s14, exec_lo
.LBB429_31:
	s_or_b32 exec_lo, exec_lo, s58
	v_cndmask_b32_e64 v2, 0, 1, s2
	v_cndmask_b32_e64 v4, 0, 1, s4
	v_cndmask_b32_e64 v1, 0, 1, vcc_lo
	v_cndmask_b32_e64 v3, 0, 1, s3
	v_cndmask_b32_e64 v6, 0, 1, s6
	v_lshlrev_b16 v2, 8, v2
	v_lshlrev_b16 v4, 8, v4
	v_cndmask_b32_e64 v8, 0, 1, s8
	v_cndmask_b32_e64 v22, 0, 1, s10
	;; [unrolled: 1-line block ×3, first 2 shown]
	v_or_b32_e32 v1, v1, v2
	v_or_b32_e32 v2, v3, v4
	v_cndmask_b32_e64 v4, 0, 1, s46
	v_cndmask_b32_e64 v5, 0, 1, s5
	;; [unrolled: 1-line block ×4, first 2 shown]
	v_lshlrev_b32_e32 v2, 16, v2
	v_and_b32_e32 v1, 0xffff, v1
	v_cndmask_b32_e64 v33, 0, 1, s50
	v_cndmask_b32_e64 v36, 0, 1, s48
	;; [unrolled: 1-line block ×4, first 2 shown]
	v_or_b32_e32 v31, v1, v2
	v_lshlrev_b16 v1, 8, v6
	v_lshlrev_b16 v2, 8, v8
	;; [unrolled: 1-line block ×5, first 2 shown]
	v_cndmask_b32_e64 v7, 0, 1, s7
	v_cndmask_b32_e64 v24, 0, 1, s56
	;; [unrolled: 1-line block ×6, first 2 shown]
	v_lshlrev_b16 v22, 8, v39
	v_or_b32_e32 v4, v37, v4
	v_or_b32_e32 v1, v5, v1
	v_or_b32_e32 v5, v9, v6
	v_or_b32_e32 v6, v23, v8
	v_lshlrev_b16 v8, 8, v36
	v_lshlrev_b16 v9, 8, v33
	v_cndmask_b32_e64 v26, 0, 1, s54
	v_cndmask_b32_e64 v32, 0, 1, s51
	v_lshlrev_b16 v23, 8, v24
	v_or_b32_e32 v3, v3, v8
	v_or_b32_e32 v8, v35, v9
	;; [unrolled: 1-line block ×4, first 2 shown]
	v_lshlrev_b16 v22, 8, v27
	v_and_b32_e32 v5, 0xffff, v5
	v_lshlrev_b32_e32 v4, 16, v4
	v_and_b32_e32 v1, 0xffff, v1
	v_and_b32_e32 v7, 0xffff, v7
	v_or_b32_e32 v9, v32, v22
	v_or_b32_e32 v22, v26, v23
	v_and_b32_e32 v3, 0xffff, v3
	v_dual_lshlrev_b32 v8, 16, v8 :: v_dual_lshlrev_b32 v2, 16, v2
	s_delay_alu instid0(VALU_DEP_4) | instskip(NEXT) | instid1(VALU_DEP_4)
	v_and_b32_e32 v9, 0xffff, v9
	v_lshlrev_b32_e32 v22, 16, v22
	v_lshlrev_b32_e32 v6, 16, v6
	v_cndmask_b32_e64 v34, 0, 1, s55
	v_cndmask_b32_e64 v38, 0, 1, s57
	v_or_b32_e32 v33, v1, v2
	v_or_b32_e32 v37, v7, v4
	v_or_b32_e32 v36, v5, v6
	v_or_b32_e32 v32, v3, v8
	v_or_b32_e32 v35, v9, v22
	s_load_b64 s[4:5], s[0:1], 0x78
	s_and_b32 vcc_lo, exec_lo, s52
	s_add_co_i32 s6, s41, 0xd00
	s_cbranch_vccnz .LBB429_33
	s_branch .LBB429_110
.LBB429_32:
                                        ; implicit-def: $vgpr38
                                        ; implicit-def: $vgpr34
                                        ; implicit-def: $vgpr35
                                        ; implicit-def: $vgpr32
                                        ; implicit-def: $vgpr37
                                        ; implicit-def: $vgpr36
                                        ; implicit-def: $vgpr33
                                        ; implicit-def: $vgpr31
	s_load_b64 s[4:5], s[0:1], 0x78
	s_add_co_i32 s6, s41, 0xd00
	s_cbranch_execz .LBB429_110
.LBB429_33:
	v_dual_mov_b32 v2, 0 :: v_dual_mov_b32 v1, 0
	s_wait_xcnt 0x0
	s_mov_b32 s1, exec_lo
	v_cmpx_gt_u32_e64 s6, v30
	s_cbranch_execz .LBB429_37
; %bb.34:
	v_dual_add_nc_u32 v1, s17, v20 :: v_dual_add_nc_u32 v2, s19, v20
	s_mov_b32 s3, 0
	s_mov_b32 s2, exec_lo
	s_delay_alu instid0(VALU_DEP_1) | instskip(NEXT) | instid1(VALU_DEP_2)
	v_mul_lo_u32 v1, v1, s16
	v_mul_lo_u32 v2, v2, s18
	s_delay_alu instid0(VALU_DEP_1) | instskip(NEXT) | instid1(VALU_DEP_1)
	v_sub_nc_u32_e32 v1, v1, v2
	v_cmp_lt_u32_e32 vcc_lo, s20, v1
	v_cmpx_ge_u32_e64 s20, v1
	s_cbranch_execz .LBB429_36
; %bb.35:
	v_dual_add_nc_u32 v1, s22, v20 :: v_dual_add_nc_u32 v2, s42, v20
	s_delay_alu instid0(VALU_DEP_1) | instskip(NEXT) | instid1(VALU_DEP_2)
	v_mul_lo_u32 v1, v1, s21
	v_mul_lo_u32 v2, v2, s23
	s_delay_alu instid0(VALU_DEP_1) | instskip(NEXT) | instid1(VALU_DEP_1)
	v_sub_nc_u32_e32 v1, v1, v2
	v_cmp_lt_u32_e64 s0, s43, v1
	s_and_b32 s3, s0, exec_lo
.LBB429_36:
	s_or_b32 exec_lo, exec_lo, s2
	v_cndmask_b32_e64 v2, 0, 1, s3
	v_cndmask_b32_e64 v1, 0, 1, vcc_lo
.LBB429_37:
	s_or_b32 exec_lo, exec_lo, s1
	s_delay_alu instid0(VALU_DEP_2) | instskip(SKIP_2) | instid1(VALU_DEP_3)
	v_lshlrev_b16 v2, 8, v2
	v_add_nc_u32_e32 v3, 1, v30
	v_lshlrev_b16 v9, 8, 0
                                        ; implicit-def: $vgpr5
                                        ; implicit-def: $vgpr7
                                        ; implicit-def: $vgpr4
                                        ; implicit-def: $vgpr8
	v_and_b32_e32 v6, 0xffff, v2
	s_delay_alu instid0(VALU_DEP_3) | instskip(NEXT) | instid1(VALU_DEP_2)
	v_cmp_le_u32_e32 vcc_lo, s6, v3
                                        ; implicit-def: $vgpr3
                                        ; implicit-def: $vgpr2
	v_lshrrev_b32_e32 v22, 8, v6
	s_and_saveexec_b32 s0, vcc_lo
	s_delay_alu instid0(SALU_CYCLE_1)
	s_xor_b32 s0, exec_lo, s0
	s_cbranch_execz .LBB429_39
; %bb.38:
	s_delay_alu instid0(VALU_DEP_1) | instskip(SKIP_3) | instid1(VALU_DEP_4)
	v_lshlrev_b16 v2, 8, v22
	v_bitop3_b16 v3, 0, v9, 0xff bitop3:0xec
	v_and_b32_e32 v8, 0xff, v1
                                        ; implicit-def: $vgpr1
                                        ; implicit-def: $vgpr9
                                        ; implicit-def: $vgpr22
	v_mov_b32_e32 v5, 0
	v_bitop3_b16 v6, v6, v2, 0xff bitop3:0xec
	v_mov_b32_e32 v2, 0
	v_and_b32_e32 v4, 0xffff, v3
	v_and_b32_e32 v3, 0xffff, v3
	s_delay_alu instid0(VALU_DEP_4)
	v_and_b32_e32 v7, 0xffff, v6
                                        ; implicit-def: $vgpr6
.LBB429_39:
	s_and_not1_saveexec_b32 s1, s0
	s_cbranch_execz .LBB429_43
; %bb.40:
	v_dual_add_nc_u32 v2, s17, v21 :: v_dual_add_nc_u32 v3, s19, v21
	s_mov_b32 s2, 0
	s_mov_b32 s3, exec_lo
	s_delay_alu instid0(VALU_DEP_1) | instskip(NEXT) | instid1(VALU_DEP_2)
	v_mul_lo_u32 v2, v2, s16
	v_mul_lo_u32 v3, v3, s18
	s_delay_alu instid0(VALU_DEP_1) | instskip(NEXT) | instid1(VALU_DEP_1)
	v_sub_nc_u32_e32 v2, v2, v3
	v_cmp_lt_u32_e32 vcc_lo, s20, v2
	v_cmpx_ge_u32_e64 s20, v2
	s_cbranch_execz .LBB429_42
; %bb.41:
	v_dual_add_nc_u32 v2, s22, v21 :: v_dual_add_nc_u32 v3, s42, v21
	s_delay_alu instid0(VALU_DEP_1) | instskip(NEXT) | instid1(VALU_DEP_2)
	v_mul_lo_u32 v2, v2, s21
	v_mul_lo_u32 v3, v3, s23
	s_delay_alu instid0(VALU_DEP_1) | instskip(NEXT) | instid1(VALU_DEP_1)
	v_sub_nc_u32_e32 v2, v2, v3
	v_cmp_lt_u32_e64 s0, s43, v2
	s_and_b32 s2, s0, exec_lo
.LBB429_42:
	s_or_b32 exec_lo, exec_lo, s3
	v_cndmask_b32_e64 v2, 0, 1, vcc_lo
	v_lshlrev_b16 v3, 8, v22
	v_cndmask_b32_e64 v7, 0, 1, s2
	v_mov_b32_e32 v5, 0
	s_delay_alu instid0(VALU_DEP_4) | instskip(NEXT) | instid1(VALU_DEP_4)
	v_lshlrev_b16 v2, 8, v2
	v_bitop3_b16 v3, v6, v3, 0xff bitop3:0xec
	v_bitop3_b16 v6, 0, v9, 0xff bitop3:0xec
	s_delay_alu instid0(VALU_DEP_3) | instskip(NEXT) | instid1(VALU_DEP_3)
	v_bitop3_b16 v1, v1, v2, 0xff bitop3:0xec
	v_and_b32_e32 v3, 0xffff, v3
	v_mov_b32_e32 v2, 0
	s_delay_alu instid0(VALU_DEP_4) | instskip(NEXT) | instid1(VALU_DEP_4)
	v_and_b32_e32 v4, 0xffff, v6
	v_and_b32_e32 v8, 0xffff, v1
	s_delay_alu instid0(VALU_DEP_4)
	v_lshl_or_b32 v7, v7, 16, v3
	v_and_b32_e32 v3, 0xffff, v6
.LBB429_43:
	s_or_b32 exec_lo, exec_lo, s1
	s_delay_alu instid0(VALU_DEP_3) | instskip(NEXT) | instid1(VALU_DEP_1)
	v_dual_add_nc_u32 v1, 2, v30 :: v_dual_lshrrev_b32 v9, 8, v8
                                        ; implicit-def: $vgpr6
	v_cmp_le_u32_e32 vcc_lo, s6, v1
                                        ; implicit-def: $vgpr1
	s_and_saveexec_b32 s0, vcc_lo
	s_delay_alu instid0(SALU_CYCLE_1)
	s_xor_b32 s0, exec_lo, s0
	s_cbranch_execz .LBB429_45
; %bb.44:
	v_lshlrev_b16 v1, 8, v9
	v_and_b32_e32 v9, 0xff0000, v7
	v_perm_b32 v4, v4, v4, 0x3060504
	s_delay_alu instid0(VALU_DEP_3) | instskip(NEXT) | instid1(VALU_DEP_1)
	v_bitop3_b16 v1, v8, v1, 0xff bitop3:0xec
	v_and_b32_e32 v1, 0xffff, v1
	s_delay_alu instid0(VALU_DEP_1)
	v_and_or_b32 v6, 0xff000000, v8, v1
	v_perm_b32 v1, v7, v9, 0x3020504
                                        ; implicit-def: $vgpr9
                                        ; implicit-def: $vgpr8
                                        ; implicit-def: $vgpr7
.LBB429_45:
	s_and_not1_saveexec_b32 s1, s0
	s_cbranch_execz .LBB429_49
; %bb.46:
	v_dual_add_nc_u32 v1, s17, v18 :: v_dual_add_nc_u32 v6, s19, v18
	s_mov_b32 s2, 0
	s_mov_b32 s3, exec_lo
	s_delay_alu instid0(VALU_DEP_1) | instskip(NEXT) | instid1(VALU_DEP_2)
	v_mul_lo_u32 v1, v1, s16
	v_mul_lo_u32 v6, v6, s18
	s_delay_alu instid0(VALU_DEP_1) | instskip(NEXT) | instid1(VALU_DEP_1)
	v_sub_nc_u32_e32 v1, v1, v6
	v_cmp_lt_u32_e32 vcc_lo, s20, v1
	v_cmpx_ge_u32_e64 s20, v1
	s_cbranch_execz .LBB429_48
; %bb.47:
	v_dual_add_nc_u32 v1, s22, v18 :: v_dual_add_nc_u32 v6, s42, v18
	s_delay_alu instid0(VALU_DEP_1) | instskip(NEXT) | instid1(VALU_DEP_2)
	v_mul_lo_u32 v1, v1, s21
	v_mul_lo_u32 v6, v6, s23
	s_delay_alu instid0(VALU_DEP_1) | instskip(NEXT) | instid1(VALU_DEP_1)
	v_sub_nc_u32_e32 v1, v1, v6
	v_cmp_lt_u32_e64 s0, s43, v1
	s_and_b32 s2, s0, exec_lo
.LBB429_48:
	s_or_b32 exec_lo, exec_lo, s3
	v_dual_lshrrev_b32 v1, 24, v8 :: v_dual_lshrrev_b32 v23, 8, v7
	v_cndmask_b32_e64 v6, 0, 1, s2
	v_cndmask_b32_e64 v22, 0, 1, vcc_lo
	v_lshlrev_b16 v9, 8, v9
	s_delay_alu instid0(VALU_DEP_4)
	v_lshlrev_b16 v1, 8, v1
	v_lshrrev_b32_e32 v24, 16, v7
	v_lshlrev_b16 v6, 8, v6
	v_lshlrev_b16 v23, 8, v23
	v_bitop3_b16 v8, v8, v9, 0xff bitop3:0xec
	v_or_b32_e32 v1, v22, v1
	s_delay_alu instid0(VALU_DEP_4) | instskip(NEXT) | instid1(VALU_DEP_4)
	v_bitop3_b16 v6, v24, v6, 0xff bitop3:0xec
	v_bitop3_b16 v7, v7, v23, 0xff bitop3:0xec
	s_delay_alu instid0(VALU_DEP_4) | instskip(NEXT) | instid1(VALU_DEP_3)
	v_and_b32_e32 v8, 0xffff, v8
	v_dual_lshlrev_b32 v1, 16, v1 :: v_dual_lshlrev_b32 v9, 16, v6
	s_delay_alu instid0(VALU_DEP_3) | instskip(NEXT) | instid1(VALU_DEP_2)
	v_and_b32_e32 v7, 0xffff, v7
	v_or_b32_e32 v6, v8, v1
	s_delay_alu instid0(VALU_DEP_2)
	v_or_b32_e32 v1, v7, v9
.LBB429_49:
	s_or_b32 exec_lo, exec_lo, s1
	v_dual_add_nc_u32 v8, 3, v30 :: v_dual_lshrrev_b32 v9, 24, v5
	v_lshrrev_b32_e32 v7, 16, v5
                                        ; implicit-def: $vgpr31
	s_delay_alu instid0(VALU_DEP_2) | instskip(SKIP_2) | instid1(SALU_CYCLE_1)
	v_cmp_le_u32_e32 vcc_lo, s6, v8
	v_lshrrev_b32_e32 v8, 8, v5
                                        ; implicit-def: $vgpr5
	s_and_saveexec_b32 s0, vcc_lo
	s_xor_b32 s0, exec_lo, s0
	s_cbranch_execz .LBB429_51
; %bb.50:
	v_lshlrev_b16 v5, 8, v9
	v_lshlrev_b16 v8, 8, v8
	v_perm_b32 v4, v4, v4, 0x3060504
	v_perm_b32 v3, v3, v3, 0x3060504
                                        ; implicit-def: $vgpr9
	s_delay_alu instid0(VALU_DEP_4) | instskip(SKIP_2) | instid1(VALU_DEP_3)
	v_bitop3_b16 v5, v7, v5, 0xff bitop3:0xec
	v_and_b32_e32 v7, 0xff0000, v6
	v_and_b32_e32 v8, 0xffff, v8
	v_lshlrev_b32_e32 v5, 16, v5
	s_delay_alu instid0(VALU_DEP_3) | instskip(NEXT) | instid1(VALU_DEP_2)
	v_perm_b32 v31, v6, v7, 0x3020504
                                        ; implicit-def: $vgpr6
                                        ; implicit-def: $vgpr7
	v_or_b32_e32 v5, v8, v5
                                        ; implicit-def: $vgpr8
.LBB429_51:
	s_and_not1_saveexec_b32 s1, s0
	s_cbranch_execz .LBB429_55
; %bb.52:
	v_dual_add_nc_u32 v5, s17, v19 :: v_dual_add_nc_u32 v22, s19, v19
	s_mov_b32 s2, 0
	s_mov_b32 s3, exec_lo
	s_delay_alu instid0(VALU_DEP_1) | instskip(NEXT) | instid1(VALU_DEP_2)
	v_mul_lo_u32 v5, v5, s16
	v_mul_lo_u32 v22, v22, s18
	s_delay_alu instid0(VALU_DEP_1) | instskip(NEXT) | instid1(VALU_DEP_1)
	v_sub_nc_u32_e32 v5, v5, v22
	v_cmp_lt_u32_e32 vcc_lo, s20, v5
	v_cmpx_ge_u32_e64 s20, v5
	s_cbranch_execz .LBB429_54
; %bb.53:
	v_dual_add_nc_u32 v5, s22, v19 :: v_dual_add_nc_u32 v22, s42, v19
	s_delay_alu instid0(VALU_DEP_1) | instskip(NEXT) | instid1(VALU_DEP_2)
	v_mul_lo_u32 v5, v5, s21
	v_mul_lo_u32 v22, v22, s23
	s_delay_alu instid0(VALU_DEP_1) | instskip(NEXT) | instid1(VALU_DEP_1)
	v_sub_nc_u32_e32 v5, v5, v22
	v_cmp_lt_u32_e64 s0, s43, v5
	s_and_b32 s2, s0, exec_lo
.LBB429_54:
	s_or_b32 exec_lo, exec_lo, s3
	v_cndmask_b32_e64 v5, 0, 1, vcc_lo
	v_dual_lshrrev_b32 v22, 8, v6 :: v_dual_lshrrev_b32 v24, 16, v6
	v_cndmask_b32_e64 v23, 0, 1, s2
	v_lshlrev_b16 v9, 8, v9
	s_delay_alu instid0(VALU_DEP_4) | instskip(NEXT) | instid1(VALU_DEP_4)
	v_lshlrev_b16 v5, 8, v5
	v_lshlrev_b16 v22, 8, v22
	v_lshlrev_b16 v8, 8, v8
	s_delay_alu instid0(VALU_DEP_4) | instskip(NEXT) | instid1(VALU_DEP_4)
	v_bitop3_b16 v7, v7, v9, 0xff bitop3:0xec
	v_bitop3_b16 v5, v24, v5, 0xff bitop3:0xec
	s_delay_alu instid0(VALU_DEP_4) | instskip(NEXT) | instid1(VALU_DEP_3)
	v_bitop3_b16 v6, v6, v22, 0xff bitop3:0xec
	v_dual_lshlrev_b32 v7, 16, v7 :: v_dual_bitop2_b32 v8, v23, v8 bitop3:0x54
	s_delay_alu instid0(VALU_DEP_3) | instskip(NEXT) | instid1(VALU_DEP_3)
	v_lshlrev_b32_e32 v5, 16, v5
	v_and_b32_e32 v6, 0xffff, v6
	s_delay_alu instid0(VALU_DEP_3) | instskip(NEXT) | instid1(VALU_DEP_2)
	v_and_b32_e32 v8, 0xffff, v8
	v_or_b32_e32 v31, v6, v5
	s_delay_alu instid0(VALU_DEP_2)
	v_or_b32_e32 v5, v8, v7
.LBB429_55:
	s_or_b32 exec_lo, exec_lo, s1
	v_dual_add_nc_u32 v6, 4, v30 :: v_dual_lshrrev_b32 v22, 8, v4
	v_dual_lshrrev_b32 v7, 16, v4 :: v_dual_lshrrev_b32 v23, 24, v4
	s_delay_alu instid0(VALU_DEP_3) | instskip(NEXT) | instid1(VALU_DEP_3)
	v_dual_lshrrev_b32 v9, 24, v5 :: v_dual_lshrrev_b32 v8, 16, v5
	v_cmp_le_u32_e32 vcc_lo, s6, v6
                                        ; implicit-def: $vgpr4
                                        ; implicit-def: $vgpr6
	s_and_saveexec_b32 s0, vcc_lo
	s_delay_alu instid0(SALU_CYCLE_1)
	s_xor_b32 s0, exec_lo, s0
	s_cbranch_execz .LBB429_57
; %bb.56:
	v_lshlrev_b16 v4, 8, v23
	v_lshlrev_b16 v6, 8, v22
	;; [unrolled: 1-line block ×3, first 2 shown]
	v_perm_b32 v3, v3, v3, 0x3060504
                                        ; implicit-def: $vgpr22
                                        ; implicit-def: $vgpr23
	s_delay_alu instid0(VALU_DEP_4) | instskip(NEXT) | instid1(VALU_DEP_4)
	v_bitop3_b16 v4, v7, v4, 0xff bitop3:0xec
	v_and_b32_e32 v6, 0xffff, v6
	s_delay_alu instid0(VALU_DEP_4) | instskip(NEXT) | instid1(VALU_DEP_3)
	v_bitop3_b16 v7, v8, v9, 0xff bitop3:0xec
                                        ; implicit-def: $vgpr9
	v_lshlrev_b32_e32 v8, 16, v4
	s_delay_alu instid0(VALU_DEP_2) | instskip(NEXT) | instid1(VALU_DEP_2)
	v_perm_b32 v4, v7, v5, 0x5040c00
                                        ; implicit-def: $vgpr5
                                        ; implicit-def: $vgpr7
	v_or_b32_e32 v6, v6, v8
                                        ; implicit-def: $vgpr8
.LBB429_57:
	s_and_not1_saveexec_b32 s1, s0
	s_cbranch_execz .LBB429_61
; %bb.58:
	v_dual_add_nc_u32 v4, s17, v16 :: v_dual_add_nc_u32 v6, s19, v16
	s_mov_b32 s2, 0
	s_mov_b32 s3, exec_lo
	s_delay_alu instid0(VALU_DEP_1) | instskip(NEXT) | instid1(VALU_DEP_2)
	v_mul_lo_u32 v4, v4, s16
	v_mul_lo_u32 v6, v6, s18
	s_delay_alu instid0(VALU_DEP_1) | instskip(NEXT) | instid1(VALU_DEP_1)
	v_sub_nc_u32_e32 v4, v4, v6
	v_cmp_lt_u32_e32 vcc_lo, s20, v4
	v_cmpx_ge_u32_e64 s20, v4
	s_cbranch_execz .LBB429_60
; %bb.59:
	v_dual_add_nc_u32 v4, s22, v16 :: v_dual_add_nc_u32 v6, s42, v16
	s_delay_alu instid0(VALU_DEP_1) | instskip(NEXT) | instid1(VALU_DEP_2)
	v_mul_lo_u32 v4, v4, s21
	v_mul_lo_u32 v6, v6, s23
	s_delay_alu instid0(VALU_DEP_1) | instskip(NEXT) | instid1(VALU_DEP_1)
	v_sub_nc_u32_e32 v4, v4, v6
	v_cmp_lt_u32_e64 s0, s43, v4
	s_and_b32 s2, s0, exec_lo
.LBB429_60:
	s_or_b32 exec_lo, exec_lo, s3
	v_cndmask_b32_e64 v4, 0, 1, s2
	v_cndmask_b32_e64 v6, 0, 1, vcc_lo
	v_lshlrev_b16 v23, 8, v23
	v_lshlrev_b16 v22, 8, v22
	;; [unrolled: 1-line block ×4, first 2 shown]
	s_delay_alu instid0(VALU_DEP_4) | instskip(NEXT) | instid1(VALU_DEP_4)
	v_bitop3_b16 v7, v7, v23, 0xff bitop3:0xec
	v_or_b32_e32 v6, v6, v22
	s_delay_alu instid0(VALU_DEP_4) | instskip(NEXT) | instid1(VALU_DEP_4)
	v_bitop3_b16 v8, v8, v9, 0xff bitop3:0xec
	v_bitop3_b16 v4, v5, v4, 0xff bitop3:0xec
	s_delay_alu instid0(VALU_DEP_4) | instskip(NEXT) | instid1(VALU_DEP_4)
	v_lshlrev_b32_e32 v5, 16, v7
	v_and_b32_e32 v6, 0xffff, v6
	s_delay_alu instid0(VALU_DEP_4) | instskip(NEXT) | instid1(VALU_DEP_4)
	v_lshlrev_b32_e32 v7, 16, v8
	v_and_b32_e32 v4, 0xffff, v4
	s_delay_alu instid0(VALU_DEP_3) | instskip(NEXT) | instid1(VALU_DEP_2)
	v_or_b32_e32 v6, v6, v5
	v_or_b32_e32 v4, v4, v7
.LBB429_61:
	s_or_b32 exec_lo, exec_lo, s1
	s_delay_alu instid0(VALU_DEP_1) | instskip(NEXT) | instid1(VALU_DEP_2)
	v_dual_add_nc_u32 v5, 5, v30 :: v_dual_lshrrev_b32 v22, 8, v4
	v_dual_lshrrev_b32 v8, 16, v6 :: v_dual_lshrrev_b32 v9, 24, v6
                                        ; implicit-def: $vgpr7
	s_delay_alu instid0(VALU_DEP_2) | instskip(SKIP_1) | instid1(SALU_CYCLE_1)
	v_cmp_le_u32_e32 vcc_lo, s6, v5
                                        ; implicit-def: $vgpr5
	s_and_saveexec_b32 s0, vcc_lo
	s_xor_b32 s0, exec_lo, s0
	s_cbranch_execz .LBB429_63
; %bb.62:
	v_lshlrev_b16 v5, 8, v22
	v_lshlrev_b16 v7, 8, v9
	v_perm_b32 v3, v3, v3, 0x3060504
                                        ; implicit-def: $vgpr9
                                        ; implicit-def: $vgpr22
	s_delay_alu instid0(VALU_DEP_3) | instskip(NEXT) | instid1(VALU_DEP_3)
	v_bitop3_b16 v5, v4, v5, 0xff bitop3:0xec
	v_bitop3_b16 v7, v8, v7, 0xff bitop3:0xec
                                        ; implicit-def: $vgpr8
	s_delay_alu instid0(VALU_DEP_2) | instskip(NEXT) | instid1(VALU_DEP_2)
	v_and_b32_e32 v5, 0xffff, v5
	v_perm_b32 v7, v7, v6, 0x5040c00
                                        ; implicit-def: $vgpr6
	s_delay_alu instid0(VALU_DEP_2)
	v_and_or_b32 v5, 0xff000000, v4, v5
                                        ; implicit-def: $vgpr4
.LBB429_63:
	s_and_not1_saveexec_b32 s1, s0
	s_cbranch_execz .LBB429_67
; %bb.64:
	v_dual_add_nc_u32 v5, s17, v17 :: v_dual_add_nc_u32 v7, s19, v17
	s_mov_b32 s2, 0
	s_mov_b32 s3, exec_lo
	s_delay_alu instid0(VALU_DEP_1) | instskip(NEXT) | instid1(VALU_DEP_2)
	v_mul_lo_u32 v5, v5, s16
	v_mul_lo_u32 v7, v7, s18
	s_delay_alu instid0(VALU_DEP_1) | instskip(NEXT) | instid1(VALU_DEP_1)
	v_sub_nc_u32_e32 v5, v5, v7
	v_cmp_lt_u32_e32 vcc_lo, s20, v5
	v_cmpx_ge_u32_e64 s20, v5
	s_cbranch_execz .LBB429_66
; %bb.65:
	v_dual_add_nc_u32 v5, s22, v17 :: v_dual_add_nc_u32 v7, s42, v17
	s_delay_alu instid0(VALU_DEP_1) | instskip(NEXT) | instid1(VALU_DEP_2)
	v_mul_lo_u32 v5, v5, s21
	v_mul_lo_u32 v7, v7, s23
	s_delay_alu instid0(VALU_DEP_1) | instskip(NEXT) | instid1(VALU_DEP_1)
	v_sub_nc_u32_e32 v5, v5, v7
	v_cmp_lt_u32_e64 s0, s43, v5
	s_and_b32 s2, s0, exec_lo
.LBB429_66:
	s_or_b32 exec_lo, exec_lo, s3
	v_cndmask_b32_e64 v5, 0, 1, vcc_lo
	v_lshrrev_b32_e32 v7, 24, v4
	v_cndmask_b32_e64 v23, 0, 1, s2
	v_lshlrev_b16 v9, 8, v9
	v_lshlrev_b16 v22, 8, v22
	;; [unrolled: 1-line block ×4, first 2 shown]
	s_delay_alu instid0(VALU_DEP_4) | instskip(NEXT) | instid1(VALU_DEP_4)
	v_bitop3_b16 v8, v8, v9, 0xff bitop3:0xec
	v_bitop3_b16 v4, v4, v22, 0xff bitop3:0xec
	s_delay_alu instid0(VALU_DEP_4) | instskip(NEXT) | instid1(VALU_DEP_3)
	v_bitop3_b16 v5, v6, v5, 0xff bitop3:0xec
	v_dual_lshlrev_b32 v7, 16, v8 :: v_dual_bitop2_b32 v6, v23, v7 bitop3:0x54
	s_delay_alu instid0(VALU_DEP_3) | instskip(NEXT) | instid1(VALU_DEP_3)
	v_and_b32_e32 v4, 0xffff, v4
	v_and_b32_e32 v5, 0xffff, v5
	s_delay_alu instid0(VALU_DEP_1) | instskip(NEXT) | instid1(VALU_DEP_1)
	v_dual_lshlrev_b32 v6, 16, v6 :: v_dual_bitop2_b32 v7, v5, v7 bitop3:0x54
	v_or_b32_e32 v5, v4, v6
.LBB429_67:
	s_or_b32 exec_lo, exec_lo, s1
	s_delay_alu instid0(VALU_DEP_2) | instskip(NEXT) | instid1(VALU_DEP_1)
	v_dual_add_nc_u32 v4, 6, v30 :: v_dual_lshrrev_b32 v6, 8, v7
                                        ; implicit-def: $vgpr32
	v_cmp_le_u32_e32 vcc_lo, s6, v4
                                        ; implicit-def: $vgpr4
	s_and_saveexec_b32 s0, vcc_lo
	s_delay_alu instid0(SALU_CYCLE_1)
	s_xor_b32 s0, exec_lo, s0
	s_cbranch_execz .LBB429_69
; %bb.68:
	v_lshlrev_b16 v4, 8, v6
	v_and_b32_e32 v6, 0xff0000, v5
	v_perm_b32 v3, v3, v3, 0x3060504
	s_delay_alu instid0(VALU_DEP_3) | instskip(NEXT) | instid1(VALU_DEP_3)
	v_bitop3_b16 v4, v7, v4, 0xff bitop3:0xec
	v_perm_b32 v32, v5, v6, 0x3020504
                                        ; implicit-def: $vgpr6
                                        ; implicit-def: $vgpr5
	s_delay_alu instid0(VALU_DEP_2) | instskip(NEXT) | instid1(VALU_DEP_1)
	v_and_b32_e32 v4, 0xffff, v4
	v_and_or_b32 v4, 0xff000000, v7, v4
                                        ; implicit-def: $vgpr7
.LBB429_69:
	s_and_not1_saveexec_b32 s1, s0
	s_cbranch_execz .LBB429_73
; %bb.70:
	v_dual_add_nc_u32 v4, s17, v14 :: v_dual_add_nc_u32 v8, s19, v14
	s_mov_b32 s2, 0
	s_mov_b32 s3, exec_lo
	s_delay_alu instid0(VALU_DEP_1) | instskip(NEXT) | instid1(VALU_DEP_2)
	v_mul_lo_u32 v4, v4, s16
	v_mul_lo_u32 v8, v8, s18
	s_delay_alu instid0(VALU_DEP_1) | instskip(NEXT) | instid1(VALU_DEP_1)
	v_sub_nc_u32_e32 v4, v4, v8
	v_cmp_lt_u32_e32 vcc_lo, s20, v4
	v_cmpx_ge_u32_e64 s20, v4
	s_cbranch_execz .LBB429_72
; %bb.71:
	v_dual_add_nc_u32 v4, s22, v14 :: v_dual_add_nc_u32 v8, s42, v14
	s_delay_alu instid0(VALU_DEP_1) | instskip(NEXT) | instid1(VALU_DEP_2)
	v_mul_lo_u32 v4, v4, s21
	v_mul_lo_u32 v8, v8, s23
	s_delay_alu instid0(VALU_DEP_1) | instskip(NEXT) | instid1(VALU_DEP_1)
	v_sub_nc_u32_e32 v4, v4, v8
	v_cmp_lt_u32_e64 s0, s43, v4
	s_and_b32 s2, s0, exec_lo
.LBB429_72:
	s_or_b32 exec_lo, exec_lo, s3
	v_dual_lshrrev_b32 v4, 24, v7 :: v_dual_lshrrev_b32 v22, 8, v5
	v_cndmask_b32_e64 v8, 0, 1, s2
	v_cndmask_b32_e64 v9, 0, 1, vcc_lo
	v_lshlrev_b16 v6, 8, v6
	s_delay_alu instid0(VALU_DEP_4)
	v_lshlrev_b16 v4, 8, v4
	v_lshrrev_b32_e32 v23, 16, v5
	v_lshlrev_b16 v8, 8, v8
	v_lshlrev_b16 v22, 8, v22
	v_bitop3_b16 v6, v7, v6, 0xff bitop3:0xec
	v_or_b32_e32 v4, v9, v4
	s_delay_alu instid0(VALU_DEP_4) | instskip(NEXT) | instid1(VALU_DEP_4)
	v_bitop3_b16 v7, v23, v8, 0xff bitop3:0xec
	v_bitop3_b16 v5, v5, v22, 0xff bitop3:0xec
	s_delay_alu instid0(VALU_DEP_4) | instskip(NEXT) | instid1(VALU_DEP_3)
	v_and_b32_e32 v6, 0xffff, v6
	v_dual_lshlrev_b32 v4, 16, v4 :: v_dual_lshlrev_b32 v7, 16, v7
	s_delay_alu instid0(VALU_DEP_3) | instskip(NEXT) | instid1(VALU_DEP_2)
	v_and_b32_e32 v5, 0xffff, v5
	v_or_b32_e32 v4, v6, v4
	s_delay_alu instid0(VALU_DEP_2)
	v_or_b32_e32 v32, v5, v7
.LBB429_73:
	s_or_b32 exec_lo, exec_lo, s1
	v_dual_add_nc_u32 v7, 7, v30 :: v_dual_lshrrev_b32 v5, 8, v3
	v_lshrrev_b32_e32 v6, 16, v3
                                        ; implicit-def: $vgpr33
	s_delay_alu instid0(VALU_DEP_2) | instskip(SKIP_2) | instid1(SALU_CYCLE_1)
	v_cmp_le_u32_e32 vcc_lo, s6, v7
	v_lshrrev_b32_e32 v7, 24, v3
                                        ; implicit-def: $vgpr3
	s_and_saveexec_b32 s0, vcc_lo
	s_xor_b32 s0, exec_lo, s0
	s_cbranch_execz .LBB429_75
; %bb.74:
	s_delay_alu instid0(VALU_DEP_1) | instskip(SKIP_1) | instid1(VALU_DEP_2)
	v_lshlrev_b16 v3, 8, v7
	v_lshlrev_b16 v5, 8, v5
                                        ; implicit-def: $vgpr7
	v_bitop3_b16 v3, v6, v3, 0xff bitop3:0xec
	v_and_b32_e32 v6, 0xff0000, v4
	s_delay_alu instid0(VALU_DEP_3) | instskip(NEXT) | instid1(VALU_DEP_3)
	v_and_b32_e32 v5, 0xffff, v5
	v_lshlrev_b32_e32 v3, 16, v3
	s_delay_alu instid0(VALU_DEP_3) | instskip(NEXT) | instid1(VALU_DEP_2)
	v_perm_b32 v33, v4, v6, 0x3020504
                                        ; implicit-def: $vgpr4
                                        ; implicit-def: $vgpr6
	v_or_b32_e32 v3, v5, v3
                                        ; implicit-def: $vgpr5
.LBB429_75:
	s_and_not1_saveexec_b32 s1, s0
	s_cbranch_execz .LBB429_79
; %bb.76:
	v_dual_add_nc_u32 v3, s17, v15 :: v_dual_add_nc_u32 v8, s19, v15
	s_mov_b32 s2, 0
	s_mov_b32 s3, exec_lo
	s_delay_alu instid0(VALU_DEP_1) | instskip(NEXT) | instid1(VALU_DEP_2)
	v_mul_lo_u32 v3, v3, s16
	v_mul_lo_u32 v8, v8, s18
	s_delay_alu instid0(VALU_DEP_1) | instskip(NEXT) | instid1(VALU_DEP_1)
	v_sub_nc_u32_e32 v3, v3, v8
	v_cmp_lt_u32_e32 vcc_lo, s20, v3
	v_cmpx_ge_u32_e64 s20, v3
	s_cbranch_execz .LBB429_78
; %bb.77:
	v_dual_add_nc_u32 v3, s22, v15 :: v_dual_add_nc_u32 v8, s42, v15
	s_delay_alu instid0(VALU_DEP_1) | instskip(NEXT) | instid1(VALU_DEP_2)
	v_mul_lo_u32 v3, v3, s21
	v_mul_lo_u32 v8, v8, s23
	s_delay_alu instid0(VALU_DEP_1) | instskip(NEXT) | instid1(VALU_DEP_1)
	v_sub_nc_u32_e32 v3, v3, v8
	v_cmp_lt_u32_e64 s0, s43, v3
	s_and_b32 s2, s0, exec_lo
.LBB429_78:
	s_or_b32 exec_lo, exec_lo, s3
	v_cndmask_b32_e64 v3, 0, 1, vcc_lo
	v_dual_lshrrev_b32 v8, 8, v4 :: v_dual_lshrrev_b32 v22, 16, v4
	v_cndmask_b32_e64 v9, 0, 1, s2
	v_lshlrev_b16 v7, 8, v7
	s_delay_alu instid0(VALU_DEP_4) | instskip(NEXT) | instid1(VALU_DEP_4)
	v_lshlrev_b16 v3, 8, v3
	v_lshlrev_b16 v8, 8, v8
	;; [unrolled: 1-line block ×3, first 2 shown]
	s_delay_alu instid0(VALU_DEP_4) | instskip(NEXT) | instid1(VALU_DEP_4)
	v_bitop3_b16 v6, v6, v7, 0xff bitop3:0xec
	v_bitop3_b16 v3, v22, v3, 0xff bitop3:0xec
	s_delay_alu instid0(VALU_DEP_4) | instskip(NEXT) | instid1(VALU_DEP_3)
	v_bitop3_b16 v4, v4, v8, 0xff bitop3:0xec
	v_dual_lshlrev_b32 v6, 16, v6 :: v_dual_bitop2_b32 v5, v9, v5 bitop3:0x54
	s_delay_alu instid0(VALU_DEP_3) | instskip(NEXT) | instid1(VALU_DEP_3)
	v_lshlrev_b32_e32 v3, 16, v3
	v_and_b32_e32 v4, 0xffff, v4
	s_delay_alu instid0(VALU_DEP_3) | instskip(NEXT) | instid1(VALU_DEP_2)
	v_and_b32_e32 v5, 0xffff, v5
	v_or_b32_e32 v33, v4, v3
	s_delay_alu instid0(VALU_DEP_2)
	v_or_b32_e32 v3, v5, v6
.LBB429_79:
	s_or_b32 exec_lo, exec_lo, s1
	s_delay_alu instid0(VALU_DEP_1) | instskip(SKIP_2) | instid1(VALU_DEP_3)
	v_dual_add_nc_u32 v4, 8, v30 :: v_dual_lshrrev_b32 v5, 16, v3
	v_dual_lshrrev_b32 v6, 24, v3 :: v_dual_lshrrev_b32 v9, 24, v2
	v_dual_lshrrev_b32 v7, 16, v2 :: v_dual_lshrrev_b32 v8, 8, v2
	v_cmp_le_u32_e32 vcc_lo, s6, v4
                                        ; implicit-def: $vgpr2
                                        ; implicit-def: $vgpr4
	s_and_saveexec_b32 s0, vcc_lo
	s_delay_alu instid0(SALU_CYCLE_1)
	s_xor_b32 s0, exec_lo, s0
	s_cbranch_execz .LBB429_81
; %bb.80:
	v_lshlrev_b16 v2, 8, v9
	v_lshlrev_b16 v4, 8, v8
	;; [unrolled: 1-line block ×3, first 2 shown]
	v_perm_b32 v1, v1, v1, 0x3060504
                                        ; implicit-def: $vgpr9
                                        ; implicit-def: $vgpr8
	s_delay_alu instid0(VALU_DEP_4) | instskip(NEXT) | instid1(VALU_DEP_4)
	v_bitop3_b16 v2, v7, v2, 0xff bitop3:0xec
	v_and_b32_e32 v4, 0xffff, v4
	s_delay_alu instid0(VALU_DEP_4) | instskip(NEXT) | instid1(VALU_DEP_3)
	v_bitop3_b16 v5, v5, v6, 0xff bitop3:0xec
                                        ; implicit-def: $vgpr6
                                        ; implicit-def: $vgpr7
	v_lshlrev_b32_e32 v2, 16, v2
	s_delay_alu instid0(VALU_DEP_1) | instskip(NEXT) | instid1(VALU_DEP_3)
	v_or_b32_e32 v4, v4, v2
	v_perm_b32 v2, v5, v3, 0x5040c00
                                        ; implicit-def: $vgpr3
                                        ; implicit-def: $vgpr5
.LBB429_81:
	s_and_not1_saveexec_b32 s1, s0
	s_cbranch_execz .LBB429_85
; %bb.82:
	v_dual_add_nc_u32 v2, s17, v12 :: v_dual_add_nc_u32 v4, s19, v12
	s_mov_b32 s2, 0
	s_mov_b32 s3, exec_lo
	s_delay_alu instid0(VALU_DEP_1) | instskip(NEXT) | instid1(VALU_DEP_2)
	v_mul_lo_u32 v2, v2, s16
	v_mul_lo_u32 v4, v4, s18
	s_delay_alu instid0(VALU_DEP_1) | instskip(NEXT) | instid1(VALU_DEP_1)
	v_sub_nc_u32_e32 v2, v2, v4
	v_cmp_lt_u32_e32 vcc_lo, s20, v2
	v_cmpx_ge_u32_e64 s20, v2
	s_cbranch_execz .LBB429_84
; %bb.83:
	v_dual_add_nc_u32 v2, s22, v12 :: v_dual_add_nc_u32 v4, s42, v12
	s_delay_alu instid0(VALU_DEP_1) | instskip(NEXT) | instid1(VALU_DEP_2)
	v_mul_lo_u32 v2, v2, s21
	v_mul_lo_u32 v4, v4, s23
	s_delay_alu instid0(VALU_DEP_1) | instskip(NEXT) | instid1(VALU_DEP_1)
	v_sub_nc_u32_e32 v2, v2, v4
	v_cmp_lt_u32_e64 s0, s43, v2
	s_and_b32 s2, s0, exec_lo
.LBB429_84:
	s_or_b32 exec_lo, exec_lo, s3
	v_cndmask_b32_e64 v2, 0, 1, s2
	v_cndmask_b32_e64 v4, 0, 1, vcc_lo
	v_lshlrev_b16 v9, 8, v9
	v_lshlrev_b16 v8, 8, v8
	;; [unrolled: 1-line block ×4, first 2 shown]
	s_delay_alu instid0(VALU_DEP_4) | instskip(NEXT) | instid1(VALU_DEP_4)
	v_bitop3_b16 v7, v7, v9, 0xff bitop3:0xec
	v_or_b32_e32 v4, v4, v8
	s_delay_alu instid0(VALU_DEP_4) | instskip(NEXT) | instid1(VALU_DEP_4)
	v_bitop3_b16 v5, v5, v6, 0xff bitop3:0xec
	v_bitop3_b16 v2, v3, v2, 0xff bitop3:0xec
	s_delay_alu instid0(VALU_DEP_4) | instskip(NEXT) | instid1(VALU_DEP_4)
	v_lshlrev_b32_e32 v3, 16, v7
	v_and_b32_e32 v4, 0xffff, v4
	s_delay_alu instid0(VALU_DEP_4) | instskip(NEXT) | instid1(VALU_DEP_4)
	v_lshlrev_b32_e32 v5, 16, v5
	v_and_b32_e32 v2, 0xffff, v2
	s_delay_alu instid0(VALU_DEP_3) | instskip(NEXT) | instid1(VALU_DEP_2)
	v_or_b32_e32 v4, v4, v3
	v_or_b32_e32 v2, v2, v5
.LBB429_85:
	s_or_b32 exec_lo, exec_lo, s1
	s_delay_alu instid0(VALU_DEP_2) | instskip(NEXT) | instid1(VALU_DEP_2)
	v_dual_add_nc_u32 v3, 9, v30 :: v_dual_lshrrev_b32 v8, 24, v4
	v_dual_lshrrev_b32 v7, 8, v2 :: v_dual_lshrrev_b32 v6, 16, v4
                                        ; implicit-def: $vgpr5
	s_delay_alu instid0(VALU_DEP_2) | instskip(SKIP_1) | instid1(SALU_CYCLE_1)
	v_cmp_le_u32_e32 vcc_lo, s6, v3
                                        ; implicit-def: $vgpr3
	s_and_saveexec_b32 s0, vcc_lo
	s_xor_b32 s0, exec_lo, s0
	s_cbranch_execz .LBB429_87
; %bb.86:
	v_lshlrev_b16 v3, 8, v7
	v_lshlrev_b16 v5, 8, v8
	v_perm_b32 v1, v1, v1, 0x3060504
                                        ; implicit-def: $vgpr7
                                        ; implicit-def: $vgpr8
	s_delay_alu instid0(VALU_DEP_3) | instskip(NEXT) | instid1(VALU_DEP_3)
	v_bitop3_b16 v3, v2, v3, 0xff bitop3:0xec
	v_bitop3_b16 v5, v6, v5, 0xff bitop3:0xec
                                        ; implicit-def: $vgpr6
	s_delay_alu instid0(VALU_DEP_2) | instskip(NEXT) | instid1(VALU_DEP_2)
	v_and_b32_e32 v3, 0xffff, v3
	v_perm_b32 v5, v5, v4, 0x5040c00
                                        ; implicit-def: $vgpr4
	s_delay_alu instid0(VALU_DEP_2)
	v_and_or_b32 v3, 0xff000000, v2, v3
                                        ; implicit-def: $vgpr2
.LBB429_87:
	s_and_not1_saveexec_b32 s1, s0
	s_cbranch_execz .LBB429_91
; %bb.88:
	v_dual_add_nc_u32 v3, s17, v13 :: v_dual_add_nc_u32 v5, s19, v13
	s_mov_b32 s2, 0
	s_mov_b32 s3, exec_lo
	s_delay_alu instid0(VALU_DEP_1) | instskip(NEXT) | instid1(VALU_DEP_2)
	v_mul_lo_u32 v3, v3, s16
	v_mul_lo_u32 v5, v5, s18
	s_delay_alu instid0(VALU_DEP_1) | instskip(NEXT) | instid1(VALU_DEP_1)
	v_sub_nc_u32_e32 v3, v3, v5
	v_cmp_lt_u32_e32 vcc_lo, s20, v3
	v_cmpx_ge_u32_e64 s20, v3
	s_cbranch_execz .LBB429_90
; %bb.89:
	v_dual_add_nc_u32 v3, s22, v13 :: v_dual_add_nc_u32 v5, s42, v13
	s_delay_alu instid0(VALU_DEP_1) | instskip(NEXT) | instid1(VALU_DEP_2)
	v_mul_lo_u32 v3, v3, s21
	v_mul_lo_u32 v5, v5, s23
	s_delay_alu instid0(VALU_DEP_1) | instskip(NEXT) | instid1(VALU_DEP_1)
	v_sub_nc_u32_e32 v3, v3, v5
	v_cmp_lt_u32_e64 s0, s43, v3
	s_and_b32 s2, s0, exec_lo
.LBB429_90:
	s_or_b32 exec_lo, exec_lo, s3
	v_cndmask_b32_e64 v3, 0, 1, vcc_lo
	v_lshrrev_b32_e32 v5, 24, v2
	v_cndmask_b32_e64 v9, 0, 1, s2
	v_lshlrev_b16 v8, 8, v8
	v_lshlrev_b16 v7, 8, v7
	;; [unrolled: 1-line block ×4, first 2 shown]
	s_delay_alu instid0(VALU_DEP_4) | instskip(NEXT) | instid1(VALU_DEP_4)
	v_bitop3_b16 v6, v6, v8, 0xff bitop3:0xec
	v_bitop3_b16 v2, v2, v7, 0xff bitop3:0xec
	s_delay_alu instid0(VALU_DEP_4) | instskip(NEXT) | instid1(VALU_DEP_3)
	v_bitop3_b16 v3, v4, v3, 0xff bitop3:0xec
	v_dual_lshlrev_b32 v5, 16, v6 :: v_dual_bitop2_b32 v4, v9, v5 bitop3:0x54
	s_delay_alu instid0(VALU_DEP_3) | instskip(NEXT) | instid1(VALU_DEP_3)
	v_and_b32_e32 v2, 0xffff, v2
	v_and_b32_e32 v3, 0xffff, v3
	s_delay_alu instid0(VALU_DEP_1) | instskip(NEXT) | instid1(VALU_DEP_1)
	v_dual_lshlrev_b32 v4, 16, v4 :: v_dual_bitop2_b32 v5, v3, v5 bitop3:0x54
	v_or_b32_e32 v3, v2, v4
.LBB429_91:
	s_or_b32 exec_lo, exec_lo, s1
	s_delay_alu instid0(VALU_DEP_2) | instskip(NEXT) | instid1(VALU_DEP_1)
	v_dual_add_nc_u32 v2, 10, v30 :: v_dual_lshrrev_b32 v4, 8, v5
                                        ; implicit-def: $vgpr35
	v_cmp_le_u32_e32 vcc_lo, s6, v2
                                        ; implicit-def: $vgpr2
	s_and_saveexec_b32 s0, vcc_lo
	s_delay_alu instid0(SALU_CYCLE_1)
	s_xor_b32 s0, exec_lo, s0
	s_cbranch_execz .LBB429_93
; %bb.92:
	v_lshlrev_b16 v2, 8, v4
	v_and_b32_e32 v4, 0xff0000, v3
	v_perm_b32 v1, v1, v1, 0x3060504
	s_delay_alu instid0(VALU_DEP_3) | instskip(NEXT) | instid1(VALU_DEP_3)
	v_bitop3_b16 v2, v5, v2, 0xff bitop3:0xec
	v_perm_b32 v35, v3, v4, 0x3020504
                                        ; implicit-def: $vgpr4
                                        ; implicit-def: $vgpr3
	s_delay_alu instid0(VALU_DEP_2) | instskip(NEXT) | instid1(VALU_DEP_1)
	v_and_b32_e32 v2, 0xffff, v2
	v_and_or_b32 v2, 0xff000000, v5, v2
                                        ; implicit-def: $vgpr5
.LBB429_93:
	s_and_not1_saveexec_b32 s1, s0
	s_cbranch_execz .LBB429_97
; %bb.94:
	v_dual_add_nc_u32 v2, s17, v10 :: v_dual_add_nc_u32 v6, s19, v10
	s_mov_b32 s2, 0
	s_mov_b32 s3, exec_lo
	s_delay_alu instid0(VALU_DEP_1) | instskip(NEXT) | instid1(VALU_DEP_2)
	v_mul_lo_u32 v2, v2, s16
	v_mul_lo_u32 v6, v6, s18
	s_delay_alu instid0(VALU_DEP_1) | instskip(NEXT) | instid1(VALU_DEP_1)
	v_sub_nc_u32_e32 v2, v2, v6
	v_cmp_lt_u32_e32 vcc_lo, s20, v2
	v_cmpx_ge_u32_e64 s20, v2
	s_cbranch_execz .LBB429_96
; %bb.95:
	v_dual_add_nc_u32 v2, s22, v10 :: v_dual_add_nc_u32 v6, s42, v10
	s_delay_alu instid0(VALU_DEP_1) | instskip(NEXT) | instid1(VALU_DEP_2)
	v_mul_lo_u32 v2, v2, s21
	v_mul_lo_u32 v6, v6, s23
	s_delay_alu instid0(VALU_DEP_1) | instskip(NEXT) | instid1(VALU_DEP_1)
	v_sub_nc_u32_e32 v2, v2, v6
	v_cmp_lt_u32_e64 s0, s43, v2
	s_and_b32 s2, s0, exec_lo
.LBB429_96:
	s_or_b32 exec_lo, exec_lo, s3
	v_dual_lshrrev_b32 v2, 24, v5 :: v_dual_lshrrev_b32 v8, 8, v3
	v_cndmask_b32_e64 v6, 0, 1, s2
	v_cndmask_b32_e64 v7, 0, 1, vcc_lo
	v_lshlrev_b16 v4, 8, v4
	s_delay_alu instid0(VALU_DEP_4)
	v_lshlrev_b16 v2, 8, v2
	v_lshrrev_b32_e32 v9, 16, v3
	v_lshlrev_b16 v6, 8, v6
	v_lshlrev_b16 v8, 8, v8
	v_bitop3_b16 v4, v5, v4, 0xff bitop3:0xec
	v_or_b32_e32 v2, v7, v2
	s_delay_alu instid0(VALU_DEP_4) | instskip(NEXT) | instid1(VALU_DEP_4)
	v_bitop3_b16 v5, v9, v6, 0xff bitop3:0xec
	v_bitop3_b16 v3, v3, v8, 0xff bitop3:0xec
	s_delay_alu instid0(VALU_DEP_4) | instskip(NEXT) | instid1(VALU_DEP_3)
	v_and_b32_e32 v4, 0xffff, v4
	v_dual_lshlrev_b32 v2, 16, v2 :: v_dual_lshlrev_b32 v5, 16, v5
	s_delay_alu instid0(VALU_DEP_3) | instskip(NEXT) | instid1(VALU_DEP_2)
	v_and_b32_e32 v3, 0xffff, v3
	v_or_b32_e32 v2, v4, v2
	s_delay_alu instid0(VALU_DEP_2)
	v_or_b32_e32 v35, v3, v5
.LBB429_97:
	s_or_b32 exec_lo, exec_lo, s1
	v_dual_mov_b32 v34, 0 :: v_dual_add_nc_u32 v3, 11, v30
	s_mov_b32 s0, exec_lo
                                        ; implicit-def: $vgpr36
	s_delay_alu instid0(VALU_DEP_1)
	v_cmpx_le_u32_e64 s6, v3
	s_xor_b32 s0, exec_lo, s0
; %bb.98:
	v_and_b32_e32 v3, 0xff0000, v2
	v_perm_b32 v1, v1, v1, 0x3060504
	s_delay_alu instid0(VALU_DEP_2)
	v_perm_b32 v36, v2, v3, 0x3020504
                                        ; implicit-def: $vgpr2
; %bb.99:
	s_and_not1_saveexec_b32 s1, s0
	s_cbranch_execz .LBB429_103
; %bb.100:
	v_dual_add_nc_u32 v3, s17, v11 :: v_dual_add_nc_u32 v4, s19, v11
	s_mov_b32 s2, 0
	s_mov_b32 s3, exec_lo
	s_delay_alu instid0(VALU_DEP_1) | instskip(NEXT) | instid1(VALU_DEP_2)
	v_mul_lo_u32 v3, v3, s16
	v_mul_lo_u32 v4, v4, s18
	s_delay_alu instid0(VALU_DEP_1) | instskip(NEXT) | instid1(VALU_DEP_1)
	v_sub_nc_u32_e32 v3, v3, v4
	v_cmp_lt_u32_e32 vcc_lo, s20, v3
	v_cmpx_ge_u32_e64 s20, v3
	s_cbranch_execz .LBB429_102
; %bb.101:
	v_dual_add_nc_u32 v3, s22, v11 :: v_dual_add_nc_u32 v4, s42, v11
	s_delay_alu instid0(VALU_DEP_1) | instskip(NEXT) | instid1(VALU_DEP_2)
	v_mul_lo_u32 v3, v3, s21
	v_mul_lo_u32 v4, v4, s23
	s_delay_alu instid0(VALU_DEP_1) | instskip(NEXT) | instid1(VALU_DEP_1)
	v_sub_nc_u32_e32 v3, v3, v4
	v_cmp_lt_u32_e64 s0, s43, v3
	s_and_b32 s2, s0, exec_lo
.LBB429_102:
	s_or_b32 exec_lo, exec_lo, s3
	v_cndmask_b32_e64 v3, 0, 1, vcc_lo
	v_dual_lshrrev_b32 v4, 8, v2 :: v_dual_lshrrev_b32 v5, 16, v2
	v_cndmask_b32_e64 v34, 0, 1, s2
	s_delay_alu instid0(VALU_DEP_3) | instskip(NEXT) | instid1(VALU_DEP_3)
	v_lshlrev_b16 v3, 8, v3
	v_lshlrev_b16 v4, 8, v4
	s_delay_alu instid0(VALU_DEP_2) | instskip(NEXT) | instid1(VALU_DEP_2)
	v_bitop3_b16 v3, v5, v3, 0xff bitop3:0xec
	v_bitop3_b16 v2, v2, v4, 0xff bitop3:0xec
	s_delay_alu instid0(VALU_DEP_2) | instskip(NEXT) | instid1(VALU_DEP_2)
	v_lshlrev_b32_e32 v3, 16, v3
	v_and_b32_e32 v2, 0xffff, v2
	s_delay_alu instid0(VALU_DEP_1)
	v_or_b32_e32 v36, v2, v3
.LBB429_103:
	s_or_b32 exec_lo, exec_lo, s1
	v_dual_add_nc_u32 v4, 12, v30 :: v_dual_lshrrev_b32 v2, 8, v1
	v_dual_lshrrev_b32 v3, 16, v1 :: v_dual_lshrrev_b32 v1, 24, v1
	s_mov_b32 s0, exec_lo
                                        ; implicit-def: $vgpr37
	s_delay_alu instid0(VALU_DEP_2)
	v_cmpx_le_u32_e64 s6, v4
	s_xor_b32 s0, exec_lo, s0
; %bb.104:
	s_delay_alu instid0(VALU_DEP_2) | instskip(SKIP_1) | instid1(VALU_DEP_2)
	v_lshlrev_b16 v1, 8, v1
	v_lshlrev_b16 v2, 8, v2
	v_bitop3_b16 v1, v3, v1, 0xff bitop3:0xec
	s_delay_alu instid0(VALU_DEP_2) | instskip(NEXT) | instid1(VALU_DEP_2)
	v_and_b32_e32 v2, 0xffff, v2
                                        ; implicit-def: $vgpr3
	v_lshlrev_b32_e32 v1, 16, v1
	s_delay_alu instid0(VALU_DEP_1)
	v_or_b32_e32 v37, v2, v1
                                        ; implicit-def: $vgpr1
                                        ; implicit-def: $vgpr2
; %bb.105:
	s_or_saveexec_b32 s1, s0
	v_mov_b32_e32 v38, 0
	s_xor_b32 exec_lo, exec_lo, s1
	s_cbranch_execz .LBB429_109
; %bb.106:
	v_dual_add_nc_u32 v4, s19, v28 :: v_dual_add_nc_u32 v5, s17, v28
	s_mov_b32 s2, 0
	s_mov_b32 s3, exec_lo
	s_delay_alu instid0(VALU_DEP_1) | instskip(NEXT) | instid1(VALU_DEP_2)
	v_mul_lo_u32 v4, v4, s18
	v_mul_lo_u32 v5, v5, s16
	s_delay_alu instid0(VALU_DEP_1) | instskip(NEXT) | instid1(VALU_DEP_1)
	v_sub_nc_u32_e32 v4, v5, v4
	v_cmp_lt_u32_e32 vcc_lo, s20, v4
	v_cmpx_ge_u32_e64 s20, v4
	s_cbranch_execz .LBB429_108
; %bb.107:
	v_dual_add_nc_u32 v4, s42, v28 :: v_dual_add_nc_u32 v5, s22, v28
	s_delay_alu instid0(VALU_DEP_1) | instskip(NEXT) | instid1(VALU_DEP_2)
	v_mul_lo_u32 v4, v4, s23
	v_mul_lo_u32 v5, v5, s21
	s_delay_alu instid0(VALU_DEP_1) | instskip(NEXT) | instid1(VALU_DEP_1)
	v_sub_nc_u32_e32 v4, v5, v4
	v_cmp_lt_u32_e64 s0, s43, v4
	s_and_b32 s2, s0, exec_lo
.LBB429_108:
	s_or_b32 exec_lo, exec_lo, s3
	v_cndmask_b32_e64 v4, 0, 1, vcc_lo
	v_lshlrev_b16 v1, 8, v1
	v_lshlrev_b16 v2, 8, v2
	v_cndmask_b32_e64 v38, 0, 1, s2
	s_delay_alu instid0(VALU_DEP_3) | instskip(NEXT) | instid1(VALU_DEP_1)
	v_bitop3_b16 v1, v3, v1, 0xff bitop3:0xec
	v_dual_lshlrev_b32 v1, 16, v1 :: v_dual_bitop2_b32 v2, v4, v2 bitop3:0x54
	s_delay_alu instid0(VALU_DEP_1) | instskip(NEXT) | instid1(VALU_DEP_1)
	v_and_b32_e32 v2, 0xffff, v2
	v_or_b32_e32 v37, v2, v1
.LBB429_109:
	s_or_b32 exec_lo, exec_lo, s1
.LBB429_110:
	v_and_b32_e32 v61, 0xff, v31
	s_delay_alu instid0(VALU_DEP_2)
	v_bfe_u32 v62, v37, 8, 8
	v_bfe_u32 v59, v31, 8, 8
	v_bfe_u32 v60, v37, 16, 8
	v_bfe_u32 v58, v31, 16, 8
	v_dual_lshrrev_b32 v44, 24, v37 :: v_dual_lshrrev_b32 v43, 24, v31
	v_and_b32_e32 v57, 0xff, v32
	v_and_b32_e32 v55, 0xff, v33
	v_bfe_u32 v56, v32, 8, 8
	v_add3_u32 v1, v59, v61, v58
	v_add3_u32 v2, v60, v62, v44
	v_bfe_u32 v53, v33, 8, 8
	v_bfe_u32 v54, v32, 16, 8
	;; [unrolled: 1-line block ×3, first 2 shown]
	v_dual_lshrrev_b32 v42, 24, v32 :: v_dual_lshrrev_b32 v41, 24, v33
	v_add3_u32 v1, v1, v43, v55
	v_add3_u32 v2, v2, v57, v56
	v_and_b32_e32 v52, 0xff, v35
	v_and_b32_e32 v48, 0xff, v36
	v_bfe_u32 v50, v35, 8, 8
	v_add3_u32 v1, v1, v53, v51
	v_add3_u32 v2, v2, v54, v42
	v_bfe_u32 v47, v36, 8, 8
	v_bfe_u32 v49, v35, 16, 8
	;; [unrolled: 1-line block ×3, first 2 shown]
	v_dual_lshrrev_b32 v40, 24, v35 :: v_dual_lshrrev_b32 v39, 24, v36
	v_add3_u32 v1, v1, v41, v48
	v_add3_u32 v2, v2, v52, v50
	v_mbcnt_lo_u32_b32 v63, -1, 0
	v_and_b32_e32 v45, 0xff, v34
	v_and_b32_e32 v3, 0xff, v37
	;; [unrolled: 1-line block ×3, first 2 shown]
	v_add3_u32 v1, v1, v47, v46
	v_add3_u32 v2, v2, v49, v40
	v_dual_lshrrev_b32 v64, 5, v0 :: v_dual_bitop2_b32 v65, 15, v63 bitop3:0x40
	v_and_b32_e32 v67, 16, v63
	s_delay_alu instid0(VALU_DEP_4) | instskip(NEXT) | instid1(VALU_DEP_4)
	v_add3_u32 v68, v1, v39, v3
	v_add3_u32 v69, v2, v45, v4
	s_wait_xcnt 0x0
	v_cmp_eq_u32_e64 s1, 0, v65
	v_cmp_lt_u32_e64 s0, 1, v65
	v_cmp_lt_u32_e64 s2, 3, v65
	v_or_b32_e32 v66, 31, v0
	s_cmp_lg_u32 s33, 0
	s_mov_b32 s3, -1
	v_cmp_lt_u32_e32 vcc_lo, 7, v65
	s_cbranch_scc0 .LBB429_131
; %bb.111:
	v_mov_b32_dpp v1, v69 row_shr:1 row_mask:0xf bank_mask:0xf
	v_mov_b32_dpp v2, v68 row_shr:1 row_mask:0xf bank_mask:0xf
	s_mov_b32 s3, exec_lo
	s_delay_alu instid0(VALU_DEP_1) | instskip(NEXT) | instid1(VALU_DEP_1)
	v_dual_add_nc_u32 v1, v1, v69 :: v_dual_add_nc_u32 v2, v2, v68
	v_dual_cndmask_b32 v1, v1, v69, s1 :: v_dual_cndmask_b32 v2, v2, v68, s1
	s_delay_alu instid0(VALU_DEP_1) | instskip(NEXT) | instid1(VALU_DEP_2)
	v_mov_b32_dpp v3, v1 row_shr:2 row_mask:0xf bank_mask:0xf
	v_mov_b32_dpp v4, v2 row_shr:2 row_mask:0xf bank_mask:0xf
	s_delay_alu instid0(VALU_DEP_1) | instskip(NEXT) | instid1(VALU_DEP_1)
	v_dual_add_nc_u32 v3, v1, v3 :: v_dual_add_nc_u32 v4, v2, v4
	v_dual_cndmask_b32 v1, v1, v3, s0 :: v_dual_cndmask_b32 v2, v2, v4, s0
	s_delay_alu instid0(VALU_DEP_1) | instskip(NEXT) | instid1(VALU_DEP_2)
	v_mov_b32_dpp v3, v1 row_shr:4 row_mask:0xf bank_mask:0xf
	v_mov_b32_dpp v4, v2 row_shr:4 row_mask:0xf bank_mask:0xf
	;; [unrolled: 6-line block ×3, first 2 shown]
	s_delay_alu instid0(VALU_DEP_1) | instskip(NEXT) | instid1(VALU_DEP_1)
	v_dual_add_nc_u32 v3, v1, v3 :: v_dual_add_nc_u32 v4, v2, v4
	v_dual_cndmask_b32 v1, v1, v3 :: v_dual_cndmask_b32 v2, v2, v4
	v_cmp_eq_u32_e32 vcc_lo, 0, v67
	ds_swizzle_b32 v3, v1 offset:swizzle(BROADCAST,32,15)
	ds_swizzle_b32 v4, v2 offset:swizzle(BROADCAST,32,15)
	s_wait_dscnt 0x0
	v_dual_add_nc_u32 v3, v1, v3 :: v_dual_add_nc_u32 v4, v2, v4
	v_cmpx_eq_u32_e64 v0, v66
; %bb.112:
	s_delay_alu instid0(VALU_DEP_2) | instskip(NEXT) | instid1(VALU_DEP_3)
	v_dual_lshlrev_b32 v5, 3, v64 :: v_dual_cndmask_b32 v7, v3, v1, vcc_lo
	v_cndmask_b32_e32 v6, v4, v2, vcc_lo
	ds_store_b64 v5, v[6:7]
; %bb.113:
	s_or_b32 exec_lo, exec_lo, s3
	s_delay_alu instid0(SALU_CYCLE_1)
	s_mov_b32 s3, exec_lo
	s_wait_dscnt 0x0
	s_barrier_signal -1
	s_barrier_wait -1
	v_cmpx_gt_u32_e32 8, v0
	s_cbranch_execz .LBB429_115
; %bb.114:
	v_dual_lshlrev_b32 v5, 3, v0 :: v_dual_bitop2_b32 v22, 7, v63 bitop3:0x40
	ds_load_b64 v[6:7], v5
	v_cmp_eq_u32_e64 s2, 0, v22
	s_wait_dscnt 0x0
	v_mov_b32_dpp v8, v6 row_shr:1 row_mask:0xf bank_mask:0xf
	v_mov_b32_dpp v9, v7 row_shr:1 row_mask:0xf bank_mask:0xf
	s_delay_alu instid0(VALU_DEP_1) | instskip(NEXT) | instid1(VALU_DEP_1)
	v_dual_add_nc_u32 v8, v8, v6 :: v_dual_add_nc_u32 v9, v9, v7
	v_dual_cndmask_b32 v6, v8, v6, s2 :: v_dual_cndmask_b32 v7, v9, v7, s2
	v_cmp_lt_u32_e64 s2, 1, v22
	s_delay_alu instid0(VALU_DEP_2) | instskip(NEXT) | instid1(VALU_DEP_3)
	v_mov_b32_dpp v8, v6 row_shr:2 row_mask:0xf bank_mask:0xf
	v_mov_b32_dpp v9, v7 row_shr:2 row_mask:0xf bank_mask:0xf
	s_delay_alu instid0(VALU_DEP_1) | instskip(NEXT) | instid1(VALU_DEP_1)
	v_dual_add_nc_u32 v8, v6, v8 :: v_dual_add_nc_u32 v9, v7, v9
	v_dual_cndmask_b32 v6, v6, v8, s2 :: v_dual_cndmask_b32 v7, v7, v9, s2
	v_cmp_lt_u32_e64 s2, 3, v22
	s_delay_alu instid0(VALU_DEP_2) | instskip(NEXT) | instid1(VALU_DEP_3)
	v_mov_b32_dpp v8, v6 row_shr:4 row_mask:0xf bank_mask:0xf
	v_mov_b32_dpp v9, v7 row_shr:4 row_mask:0xf bank_mask:0xf
	s_delay_alu instid0(VALU_DEP_1) | instskip(NEXT) | instid1(VALU_DEP_1)
	v_dual_cndmask_b32 v8, 0, v8, s2 :: v_dual_cndmask_b32 v9, 0, v9, s2
	v_dual_add_nc_u32 v6, v8, v6 :: v_dual_add_nc_u32 v7, v9, v7
	ds_store_b64 v5, v[6:7]
.LBB429_115:
	s_or_b32 exec_lo, exec_lo, s3
	v_dual_cndmask_b32 v1, v3, v1 :: v_dual_cndmask_b32 v2, v4, v2
	s_mov_b32 s3, exec_lo
	v_cmp_gt_u32_e32 vcc_lo, 32, v0
	s_wait_dscnt 0x0
	s_barrier_signal -1
	s_barrier_wait -1
                                        ; implicit-def: $vgpr22
	v_cmpx_lt_u32_e32 31, v0
	s_cbranch_execz .LBB429_117
; %bb.116:
	v_lshl_add_u32 v3, v64, 3, -8
	ds_load_b64 v[22:23], v3
	s_wait_dscnt 0x0
	v_dual_add_nc_u32 v1, v23, v1 :: v_dual_add_nc_u32 v2, v22, v2
.LBB429_117:
	s_or_b32 exec_lo, exec_lo, s3
	v_sub_co_u32 v3, s2, v63, 1
	s_delay_alu instid0(VALU_DEP_1) | instskip(NEXT) | instid1(VALU_DEP_1)
	v_cmp_gt_i32_e64 s3, 0, v3
	v_cndmask_b32_e64 v3, v3, v63, s3
	s_delay_alu instid0(VALU_DEP_1)
	v_lshlrev_b32_e32 v3, 2, v3
	ds_bpermute_b32 v70, v3, v2
	ds_bpermute_b32 v1, v3, v1
	s_and_saveexec_b32 s3, vcc_lo
	s_cbranch_execz .LBB429_136
; %bb.118:
	v_mov_b32_e32 v5, 0
	ds_load_b64 v[2:3], v5 offset:56
	s_and_saveexec_b32 s7, s2
	s_cbranch_execz .LBB429_120
; %bb.119:
	s_add_co_i32 s8, s33, 32
	s_mov_b32 s9, 0
	v_mov_b32_e32 v4, 1
	s_lshl_b64 s[8:9], s[8:9], 4
	s_wait_kmcnt 0x0
	s_add_nc_u64 s[8:9], s[4:5], s[8:9]
	s_delay_alu instid0(SALU_CYCLE_1)
	v_mov_b64_e32 v[6:7], s[8:9]
	s_wait_dscnt 0x0
	;;#ASMSTART
	global_store_b128 v[6:7], v[2:5] off scope:SCOPE_DEV	
s_wait_storecnt 0x0
	;;#ASMEND
.LBB429_120:
	s_or_b32 exec_lo, exec_lo, s7
	v_xad_u32 v24, v63, -1, s33
	s_mov_b32 s8, 0
	s_mov_b32 s7, exec_lo
	s_delay_alu instid0(VALU_DEP_1) | instskip(SKIP_1) | instid1(VALU_DEP_1)
	v_add_nc_u32_e32 v4, 32, v24
	s_wait_kmcnt 0x0
	v_lshl_add_u64 v[4:5], v[4:5], 4, s[4:5]
	;;#ASMSTART
	global_load_b128 v[6:9], v[4:5] off scope:SCOPE_DEV	
s_wait_loadcnt 0x0
	;;#ASMEND
	v_and_b32_e32 v9, 0xff, v8
	s_delay_alu instid0(VALU_DEP_1)
	v_cmpx_eq_u16_e32 0, v9
	s_cbranch_execz .LBB429_123
.LBB429_121:                            ; =>This Inner Loop Header: Depth=1
	;;#ASMSTART
	global_load_b128 v[6:9], v[4:5] off scope:SCOPE_DEV	
s_wait_loadcnt 0x0
	;;#ASMEND
	v_and_b32_e32 v9, 0xff, v8
	s_delay_alu instid0(VALU_DEP_1) | instskip(SKIP_1) | instid1(SALU_CYCLE_1)
	v_cmp_ne_u16_e32 vcc_lo, 0, v9
	s_or_b32 s8, vcc_lo, s8
	s_and_not1_b32 exec_lo, exec_lo, s8
	s_cbranch_execnz .LBB429_121
; %bb.122:
	s_or_b32 exec_lo, exec_lo, s8
.LBB429_123:
	s_delay_alu instid0(SALU_CYCLE_1)
	s_or_b32 exec_lo, exec_lo, s7
	v_cmp_ne_u32_e32 vcc_lo, 31, v63
	v_lshlrev_b32_e64 v72, v63, -1
	v_lshl_or_b32 v79, v63, 2, 64
	v_dual_add_nc_u32 v76, 4, v63 :: v_dual_add_nc_u32 v80, 16, v63
	v_add_co_ci_u32_e64 v4, null, 0, v63, vcc_lo
	s_delay_alu instid0(VALU_DEP_1)
	v_lshlrev_b32_e32 v71, 2, v4
	v_and_b32_e32 v4, 0xff, v8
	ds_bpermute_b32 v5, v71, v7
	v_cmp_eq_u16_e32 vcc_lo, 2, v4
	s_wait_dscnt 0x0
	v_add_nc_u32_e32 v5, v5, v7
	ds_bpermute_b32 v4, v71, v6
	v_and_b32_e32 v9, vcc_lo, v72
	v_cmp_gt_u32_e32 vcc_lo, 30, v63
	v_cndmask_b32_e64 v25, 0, 2, vcc_lo
	s_delay_alu instid0(VALU_DEP_1) | instskip(SKIP_3) | instid1(VALU_DEP_1)
	v_add_lshl_u32 v73, v25, v63, 2
	s_wait_dscnt 0x0
	v_add_nc_u32_e32 v4, v4, v6
	v_or_b32_e32 v9, 0x80000000, v9
	v_ctz_i32_b32_e32 v9, v9
	s_delay_alu instid0(VALU_DEP_1) | instskip(NEXT) | instid1(VALU_DEP_4)
	v_cmp_lt_u32_e32 vcc_lo, v63, v9
	v_dual_cndmask_b32 v5, v7, v5 :: v_dual_cndmask_b32 v4, v6, v4
	v_cmp_gt_u32_e32 vcc_lo, 28, v63
	ds_bpermute_b32 v6, v73, v5
	ds_bpermute_b32 v7, v73, v4
	v_add_nc_u32_e32 v74, 2, v63
	v_cndmask_b32_e64 v25, 0, 4, vcc_lo
	s_delay_alu instid0(VALU_DEP_1) | instskip(SKIP_4) | instid1(VALU_DEP_2)
	v_add_lshl_u32 v75, v25, v63, 2
	s_wait_dscnt 0x1
	v_add_nc_u32_e32 v6, v5, v6
	v_cmp_gt_u32_e32 vcc_lo, v74, v9
	s_wait_dscnt 0x0
	v_dual_add_nc_u32 v7, v4, v7 :: v_dual_cndmask_b32 v5, v6, v5, vcc_lo
	s_delay_alu instid0(VALU_DEP_1)
	v_cndmask_b32_e32 v4, v7, v4, vcc_lo
	v_cmp_gt_u32_e32 vcc_lo, 24, v63
	ds_bpermute_b32 v6, v75, v5
	ds_bpermute_b32 v7, v75, v4
	v_cndmask_b32_e64 v25, 0, 8, vcc_lo
	v_cmp_gt_u32_e32 vcc_lo, v76, v9
	s_delay_alu instid0(VALU_DEP_2) | instskip(SKIP_3) | instid1(VALU_DEP_1)
	v_add_lshl_u32 v77, v25, v63, 2
	s_wait_dscnt 0x1
	v_dual_mov_b32 v25, 0 :: v_dual_add_nc_u32 v6, v5, v6
	s_wait_dscnt 0x0
	v_dual_add_nc_u32 v7, v4, v7 :: v_dual_cndmask_b32 v5, v6, v5, vcc_lo
	s_delay_alu instid0(VALU_DEP_1) | instskip(SKIP_4) | instid1(VALU_DEP_1)
	v_cndmask_b32_e32 v4, v7, v4, vcc_lo
	ds_bpermute_b32 v6, v77, v5
	ds_bpermute_b32 v7, v77, v4
	s_wait_dscnt 0x1
	v_dual_add_nc_u32 v78, 8, v63 :: v_dual_add_nc_u32 v6, v5, v6
	v_cmp_gt_u32_e32 vcc_lo, v78, v9
	s_wait_dscnt 0x0
	s_delay_alu instid0(VALU_DEP_2) | instskip(NEXT) | instid1(VALU_DEP_1)
	v_dual_add_nc_u32 v7, v4, v7 :: v_dual_cndmask_b32 v5, v6, v5, vcc_lo
	v_cndmask_b32_e32 v4, v7, v4, vcc_lo
	v_cmp_le_u32_e32 vcc_lo, v80, v9
	ds_bpermute_b32 v7, v79, v5
	ds_bpermute_b32 v6, v79, v4
	s_wait_dscnt 0x0
	v_dual_cndmask_b32 v7, 0, v7 :: v_dual_cndmask_b32 v6, 0, v6
	s_delay_alu instid0(VALU_DEP_1)
	v_dual_add_nc_u32 v7, v7, v5 :: v_dual_add_nc_u32 v6, v6, v4
	s_branch .LBB429_127
.LBB429_124:                            ;   in Loop: Header=BB429_127 Depth=1
	s_or_b32 exec_lo, exec_lo, s8
.LBB429_125:                            ;   in Loop: Header=BB429_127 Depth=1
	s_delay_alu instid0(SALU_CYCLE_1)
	s_or_b32 exec_lo, exec_lo, s7
	ds_bpermute_b32 v9, v71, v6
	ds_bpermute_b32 v26, v71, v7
	v_and_b32_e32 v27, 0xff, v8
	v_subrev_nc_u32_e32 v24, 32, v24
	s_mov_b32 s7, 0
	s_delay_alu instid0(VALU_DEP_2) | instskip(SKIP_1) | instid1(VALU_DEP_1)
	v_cmp_eq_u16_e32 vcc_lo, 2, v27
	v_and_or_b32 v27, vcc_lo, v72, 0x80000000
	v_ctz_i32_b32_e32 v27, v27
	s_wait_dscnt 0x0
	v_dual_add_nc_u32 v9, v9, v6 :: v_dual_add_nc_u32 v26, v26, v7
	s_delay_alu instid0(VALU_DEP_2) | instskip(NEXT) | instid1(VALU_DEP_2)
	v_cmp_lt_u32_e32 vcc_lo, v63, v27
	v_dual_cndmask_b32 v7, v7, v26 :: v_dual_cndmask_b32 v6, v6, v9
	v_cmp_gt_u32_e32 vcc_lo, v74, v27
	ds_bpermute_b32 v26, v73, v7
	ds_bpermute_b32 v9, v73, v6
	s_wait_dscnt 0x0
	v_dual_add_nc_u32 v26, v7, v26 :: v_dual_add_nc_u32 v9, v6, v9
	s_delay_alu instid0(VALU_DEP_1)
	v_dual_cndmask_b32 v7, v26, v7 :: v_dual_cndmask_b32 v6, v9, v6
	v_cmp_gt_u32_e32 vcc_lo, v76, v27
	ds_bpermute_b32 v26, v75, v7
	ds_bpermute_b32 v9, v75, v6
	s_wait_dscnt 0x0
	v_dual_add_nc_u32 v26, v7, v26 :: v_dual_add_nc_u32 v9, v6, v9
	s_delay_alu instid0(VALU_DEP_1)
	;; [unrolled: 7-line block ×3, first 2 shown]
	v_dual_cndmask_b32 v7, v26, v7 :: v_dual_cndmask_b32 v6, v9, v6
	v_cmp_le_u32_e32 vcc_lo, v80, v27
	ds_bpermute_b32 v26, v79, v7
	ds_bpermute_b32 v9, v79, v6
	s_wait_dscnt 0x0
	v_dual_cndmask_b32 v26, 0, v26 :: v_dual_cndmask_b32 v9, 0, v9
	s_delay_alu instid0(VALU_DEP_1) | instskip(NEXT) | instid1(VALU_DEP_2)
	v_add3_u32 v7, v7, v5, v26
	v_add3_u32 v6, v6, v4, v9
.LBB429_126:                            ;   in Loop: Header=BB429_127 Depth=1
	s_and_b32 vcc_lo, exec_lo, s7
	s_cbranch_vccnz .LBB429_132
.LBB429_127:                            ; =>This Loop Header: Depth=1
                                        ;     Child Loop BB429_130 Depth 2
	v_and_b32_e32 v4, 0xff, v8
	s_mov_b32 s7, -1
                                        ; implicit-def: $vgpr8
	s_delay_alu instid0(VALU_DEP_1)
	v_cmp_ne_u16_e32 vcc_lo, 2, v4
	v_mov_b64_e32 v[4:5], v[6:7]
                                        ; implicit-def: $vgpr6_vgpr7
	s_cmp_lg_u32 vcc_lo, exec_lo
	s_cbranch_scc1 .LBB429_126
; %bb.128:                              ;   in Loop: Header=BB429_127 Depth=1
	v_lshl_add_u64 v[26:27], v[24:25], 4, s[4:5]
	;;#ASMSTART
	global_load_b128 v[6:9], v[26:27] off scope:SCOPE_DEV	
s_wait_loadcnt 0x0
	;;#ASMEND
	v_and_b32_e32 v9, 0xff, v8
	s_mov_b32 s7, exec_lo
	s_delay_alu instid0(VALU_DEP_1)
	v_cmpx_eq_u16_e32 0, v9
	s_cbranch_execz .LBB429_125
; %bb.129:                              ;   in Loop: Header=BB429_127 Depth=1
	s_mov_b32 s8, 0
.LBB429_130:                            ;   Parent Loop BB429_127 Depth=1
                                        ; =>  This Inner Loop Header: Depth=2
	;;#ASMSTART
	global_load_b128 v[6:9], v[26:27] off scope:SCOPE_DEV	
s_wait_loadcnt 0x0
	;;#ASMEND
	v_and_b32_e32 v9, 0xff, v8
	s_delay_alu instid0(VALU_DEP_1) | instskip(SKIP_1) | instid1(SALU_CYCLE_1)
	v_cmp_ne_u16_e32 vcc_lo, 0, v9
	s_or_b32 s8, vcc_lo, s8
	s_and_not1_b32 exec_lo, exec_lo, s8
	s_cbranch_execnz .LBB429_130
	s_branch .LBB429_124
.LBB429_131:
                                        ; implicit-def: $vgpr1
                                        ; implicit-def: $vgpr4
                                        ; implicit-def: $vgpr6
                                        ; implicit-def: $vgpr8
                                        ; implicit-def: $vgpr22
	s_and_b32 vcc_lo, exec_lo, s3
	s_cbranch_vccnz .LBB429_137
	s_branch .LBB429_146
.LBB429_132:
	s_and_saveexec_b32 s7, s2
	s_cbranch_execz .LBB429_134
; %bb.133:
	s_add_co_i32 s8, s33, 32
	s_mov_b32 s9, 0
	v_dual_mov_b32 v8, 2 :: v_dual_mov_b32 v9, 0
	s_lshl_b64 s[8:9], s[8:9], 4
	v_dual_add_nc_u32 v7, v5, v3 :: v_dual_add_nc_u32 v6, v4, v2
	s_add_nc_u64 s[8:9], s[4:5], s[8:9]
	s_delay_alu instid0(SALU_CYCLE_1)
	v_mov_b64_e32 v[24:25], s[8:9]
	;;#ASMSTART
	global_store_b128 v[24:25], v[6:9] off scope:SCOPE_DEV	
s_wait_storecnt 0x0
	;;#ASMEND
	ds_store_b128 v9, v[2:5] offset:13312
.LBB429_134:
	s_or_b32 exec_lo, exec_lo, s7
	v_cmp_eq_u32_e32 vcc_lo, 0, v0
	s_and_b32 exec_lo, exec_lo, vcc_lo
; %bb.135:
	v_mov_b32_e32 v2, 0
	ds_store_b64 v2, v[4:5] offset:56
.LBB429_136:
	s_or_b32 exec_lo, exec_lo, s3
	s_wait_dscnt 0x0
	v_dual_mov_b32 v2, 0 :: v_dual_cndmask_b32 v1, v1, v23, s2
	s_barrier_signal -1
	s_barrier_wait -1
	ds_load_b64 v[8:9], v2 offset:56
	s_wait_dscnt 0x0
	s_barrier_signal -1
	s_barrier_wait -1
	ds_load_b128 v[2:5], v2 offset:13312
	v_cndmask_b32_e64 v6, v70, v22, s2
	v_cmp_eq_u32_e32 vcc_lo, 0, v0
	s_delay_alu instid0(VALU_DEP_2) | instskip(SKIP_2) | instid1(VALU_DEP_2)
	v_dual_add_nc_u32 v1, v9, v1 :: v_dual_add_nc_u32 v7, v8, v6
	s_wait_dscnt 0x0
	v_mov_b32_e32 v6, v5
	v_dual_cndmask_b32 v1, v1, v9 :: v_dual_cndmask_b32 v22, v7, v8
	v_mov_b32_e32 v8, v3
	s_branch .LBB429_146
.LBB429_137:
	v_mov_b32_dpp v1, v68 row_shr:1 row_mask:0xf bank_mask:0xf
	v_mov_b32_dpp v2, v69 row_shr:1 row_mask:0xf bank_mask:0xf
	v_cmp_lt_u32_e32 vcc_lo, 3, v65
	s_delay_alu instid0(VALU_DEP_2) | instskip(NEXT) | instid1(VALU_DEP_1)
	v_dual_add_nc_u32 v1, v1, v68 :: v_dual_add_nc_u32 v2, v2, v69
	v_dual_cndmask_b32 v1, v1, v68, s1 :: v_dual_cndmask_b32 v2, v2, v69, s1
	s_mov_b32 s1, exec_lo
	s_delay_alu instid0(VALU_DEP_1) | instskip(NEXT) | instid1(VALU_DEP_2)
	v_mov_b32_dpp v3, v1 row_shr:2 row_mask:0xf bank_mask:0xf
	v_mov_b32_dpp v4, v2 row_shr:2 row_mask:0xf bank_mask:0xf
	s_delay_alu instid0(VALU_DEP_1) | instskip(NEXT) | instid1(VALU_DEP_1)
	v_dual_add_nc_u32 v3, v1, v3 :: v_dual_add_nc_u32 v4, v2, v4
	v_dual_cndmask_b32 v1, v1, v3, s0 :: v_dual_cndmask_b32 v2, v2, v4, s0
	s_delay_alu instid0(VALU_DEP_1) | instskip(NEXT) | instid1(VALU_DEP_2)
	v_mov_b32_dpp v3, v1 row_shr:4 row_mask:0xf bank_mask:0xf
	v_mov_b32_dpp v4, v2 row_shr:4 row_mask:0xf bank_mask:0xf
	s_delay_alu instid0(VALU_DEP_1) | instskip(NEXT) | instid1(VALU_DEP_1)
	v_dual_add_nc_u32 v3, v1, v3 :: v_dual_add_nc_u32 v4, v2, v4
	v_dual_cndmask_b32 v3, v1, v3 :: v_dual_cndmask_b32 v2, v2, v4
	v_cmp_lt_u32_e32 vcc_lo, 7, v65
	s_delay_alu instid0(VALU_DEP_2) | instskip(NEXT) | instid1(VALU_DEP_3)
	v_mov_b32_dpp v1, v3 row_shr:8 row_mask:0xf bank_mask:0xf
	v_mov_b32_dpp v4, v2 row_shr:8 row_mask:0xf bank_mask:0xf
	s_delay_alu instid0(VALU_DEP_1) | instskip(NEXT) | instid1(VALU_DEP_1)
	v_dual_add_nc_u32 v5, v3, v1 :: v_dual_add_nc_u32 v1, v2, v4
	v_cndmask_b32_e32 v1, v2, v1, vcc_lo
	s_delay_alu instid0(VALU_DEP_2)
	v_cndmask_b32_e32 v2, v3, v5, vcc_lo
	v_cmp_eq_u32_e32 vcc_lo, 0, v67
	ds_swizzle_b32 v4, v2 offset:swizzle(BROADCAST,32,15)
	s_wait_dscnt 0x0
	v_add_nc_u32_e32 v4, v2, v4
	ds_swizzle_b32 v3, v1 offset:swizzle(BROADCAST,32,15)
	s_wait_dscnt 0x0
	v_add_nc_u32_e32 v3, v1, v3
	v_cmpx_eq_u32_e64 v0, v66
; %bb.138:
	s_delay_alu instid0(VALU_DEP_2)
	v_dual_cndmask_b32 v6, v4, v2 :: v_dual_cndmask_b32 v7, v3, v1
	v_lshlrev_b32_e32 v5, 3, v64
	ds_store_b64 v5, v[6:7]
; %bb.139:
	s_or_b32 exec_lo, exec_lo, s1
	s_delay_alu instid0(SALU_CYCLE_1)
	s_mov_b32 s1, exec_lo
	s_wait_dscnt 0x0
	s_barrier_signal -1
	s_barrier_wait -1
	v_cmpx_gt_u32_e32 8, v0
	s_cbranch_execz .LBB429_141
; %bb.140:
	v_dual_lshlrev_b32 v5, 3, v0 :: v_dual_bitop2_b32 v22, 7, v63 bitop3:0x40
	ds_load_b64 v[6:7], v5
	v_cmp_eq_u32_e64 s0, 0, v22
	s_wait_dscnt 0x0
	v_mov_b32_dpp v8, v6 row_shr:1 row_mask:0xf bank_mask:0xf
	v_mov_b32_dpp v9, v7 row_shr:1 row_mask:0xf bank_mask:0xf
	s_delay_alu instid0(VALU_DEP_1) | instskip(NEXT) | instid1(VALU_DEP_1)
	v_dual_add_nc_u32 v8, v8, v6 :: v_dual_add_nc_u32 v9, v9, v7
	v_dual_cndmask_b32 v6, v8, v6, s0 :: v_dual_cndmask_b32 v7, v9, v7, s0
	v_cmp_lt_u32_e64 s0, 1, v22
	s_delay_alu instid0(VALU_DEP_2) | instskip(NEXT) | instid1(VALU_DEP_3)
	v_mov_b32_dpp v8, v6 row_shr:2 row_mask:0xf bank_mask:0xf
	v_mov_b32_dpp v9, v7 row_shr:2 row_mask:0xf bank_mask:0xf
	s_delay_alu instid0(VALU_DEP_1) | instskip(NEXT) | instid1(VALU_DEP_1)
	v_dual_add_nc_u32 v8, v6, v8 :: v_dual_add_nc_u32 v9, v7, v9
	v_dual_cndmask_b32 v6, v6, v8, s0 :: v_dual_cndmask_b32 v7, v7, v9, s0
	v_cmp_lt_u32_e64 s0, 3, v22
	s_delay_alu instid0(VALU_DEP_2) | instskip(NEXT) | instid1(VALU_DEP_3)
	v_mov_b32_dpp v8, v6 row_shr:4 row_mask:0xf bank_mask:0xf
	v_mov_b32_dpp v9, v7 row_shr:4 row_mask:0xf bank_mask:0xf
	s_delay_alu instid0(VALU_DEP_1) | instskip(NEXT) | instid1(VALU_DEP_1)
	v_dual_cndmask_b32 v8, 0, v8, s0 :: v_dual_cndmask_b32 v9, 0, v9, s0
	v_dual_add_nc_u32 v6, v8, v6 :: v_dual_add_nc_u32 v7, v9, v7
	ds_store_b64 v5, v[6:7]
.LBB429_141:
	s_or_b32 exec_lo, exec_lo, s1
	v_dual_mov_b32 v5, 0 :: v_dual_mov_b32 v6, 0
	v_mov_b32_e32 v7, 0
	s_mov_b32 s1, exec_lo
	s_wait_dscnt 0x0
	s_barrier_signal -1
	s_barrier_wait -1
	v_cmpx_lt_u32_e32 31, v0
; %bb.142:
	v_lshl_add_u32 v6, v64, 3, -8
	ds_load_b64 v[6:7], v6
; %bb.143:
	s_or_b32 exec_lo, exec_lo, s1
	v_sub_co_u32 v8, s0, v63, 1
	v_dual_cndmask_b32 v2, v4, v2 :: v_dual_cndmask_b32 v1, v3, v1
	v_cmp_eq_u32_e32 vcc_lo, 0, v0
	s_delay_alu instid0(VALU_DEP_3) | instskip(SKIP_1) | instid1(VALU_DEP_1)
	v_cmp_gt_i32_e64 s1, 0, v8
	s_wait_dscnt 0x0
	v_dual_add_nc_u32 v2, v6, v2 :: v_dual_cndmask_b32 v4, v8, v63, s1
	s_delay_alu instid0(VALU_DEP_1)
	v_dual_lshlrev_b32 v3, 2, v4 :: v_dual_add_nc_u32 v4, v7, v1
	ds_bpermute_b32 v1, v3, v2
	ds_bpermute_b32 v8, v3, v4
	ds_load_b64 v[2:3], v5 offset:56
	s_and_saveexec_b32 s1, vcc_lo
	s_cbranch_execz .LBB429_145
; %bb.144:
	s_wait_kmcnt 0x0
	s_add_nc_u64 s[2:3], s[4:5], 0x200
	v_dual_mov_b32 v4, 2 :: v_dual_mov_b32 v5, 0
	v_mov_b64_e32 v[22:23], s[2:3]
	s_wait_dscnt 0x0
	;;#ASMSTART
	global_store_b128 v[22:23], v[2:5] off scope:SCOPE_DEV	
s_wait_storecnt 0x0
	;;#ASMEND
.LBB429_145:
	s_or_b32 exec_lo, exec_lo, s1
	s_wait_dscnt 0x1
	v_dual_cndmask_b32 v5, v8, v7, s0 :: v_dual_cndmask_b32 v7, v1, v6, s0
	v_dual_mov_b32 v6, 0 :: v_dual_mov_b32 v4, 0
	s_wait_dscnt 0x0
	v_mov_b32_e32 v8, v3
	s_delay_alu instid0(VALU_DEP_3)
	v_cndmask_b32_e64 v1, v5, 0, vcc_lo
	v_cndmask_b32_e64 v22, v7, 0, vcc_lo
	s_barrier_signal -1
	s_barrier_wait -1
.LBB429_146:
	s_delay_alu instid0(VALU_DEP_1) | instskip(SKIP_1) | instid1(VALU_DEP_2)
	v_dual_add_nc_u32 v62, v1, v62 :: v_dual_add_nc_u32 v70, v22, v61
	v_dual_mov_b32 v5, 0 :: v_dual_lshrrev_b32 v68, 16, v37
	v_dual_lshrrev_b32 v3, 8, v37 :: v_dual_add_nc_u32 v71, v62, v60
	s_delay_alu instid0(VALU_DEP_3) | instskip(SKIP_1) | instid1(VALU_DEP_3)
	v_dual_add_nc_u32 v59, v70, v59 :: v_dual_lshlrev_b32 v60, 1, v2
	v_dual_sub_nc_u32 v72, v22, v4 :: v_dual_sub_nc_u32 v1, v1, v6
	v_dual_add_nc_u32 v73, v71, v44 :: v_dual_bitop2_b32 v74, 1, v31 bitop3:0x40
	s_delay_alu instid0(VALU_DEP_3) | instskip(NEXT) | instid1(VALU_DEP_3)
	v_dual_add_nc_u32 v58, v59, v58 :: v_dual_bitop2_b32 v75, 1, v3 bitop3:0x40
	v_dual_add_nc_u32 v1, v1, v2 :: v_dual_sub_nc_u32 v70, v70, v4
	s_delay_alu instid0(VALU_DEP_2)
	v_dual_add_nc_u32 v57, v73, v57 :: v_dual_add_nc_u32 v76, v58, v43
	v_mov_b32_e32 v61, v5
	s_wait_kmcnt 0x0
	v_add_nc_u64_e32 v[22:23], s[28:29], v[4:5]
	v_dual_mov_b32 v3, v5 :: v_dual_mov_b32 v7, v5
	v_dual_add_nc_u32 v55, v76, v55 :: v_dual_add_nc_u32 v56, v57, v56
	v_cmp_eq_u32_e32 vcc_lo, 1, v75
	v_dual_lshrrev_b32 v69, 8, v31 :: v_dual_lshrrev_b32 v67, 16, v31
	s_delay_alu instid0(VALU_DEP_3) | instskip(NEXT) | instid1(VALU_DEP_4)
	v_dual_add_nc_u32 v53, v55, v53 :: v_dual_mov_b32 v9, v5
	v_add_nc_u32_e32 v54, v56, v54
	v_add3_u32 v5, v60, v8, v30
	s_delay_alu instid0(VALU_DEP_3) | instskip(NEXT) | instid1(VALU_DEP_3)
	v_dual_sub_nc_u32 v62, v62, v6 :: v_dual_add_nc_u32 v51, v53, v51
	v_dual_add_nc_u32 v78, v72, v1 :: v_dual_add_nc_u32 v77, v54, v42
	s_delay_alu instid0(VALU_DEP_2) | instskip(NEXT) | instid1(VALU_DEP_2)
	v_dual_sub_nc_u32 v59, v59, v4 :: v_dual_add_nc_u32 v62, v62, v2
	v_dual_add_nc_u32 v79, v51, v41 :: v_dual_sub_nc_u32 v78, v5, v78
	s_delay_alu instid0(VALU_DEP_3) | instskip(SKIP_1) | instid1(VALU_DEP_3)
	v_add_nc_u32_e32 v52, v77, v52
	v_dual_sub_nc_u32 v73, v73, v6 :: v_dual_sub_nc_u32 v58, v58, v4
	v_add_nc_u32_e32 v48, v79, v48
	s_delay_alu instid0(VALU_DEP_4) | instskip(SKIP_2) | instid1(VALU_DEP_4)
	v_dual_sub_nc_u32 v71, v71, v6 :: v_dual_cndmask_b32 v1, v78, v1, vcc_lo
	v_cmp_eq_u32_e32 vcc_lo, 1, v74
	v_add_nc_u32_e32 v50, v52, v50
	v_dual_add_nc_u32 v80, v62, v70 :: v_dual_add_nc_u32 v47, v48, v47
	v_dual_lshrrev_b32 v66, 8, v32 :: v_dual_lshrrev_b32 v65, 16, v32
	v_dual_cndmask_b32 v1, v1, v72, vcc_lo :: v_dual_add_nc_u32 v71, v71, v2
	s_delay_alu instid0(VALU_DEP_3) | instskip(NEXT) | instid1(VALU_DEP_4)
	v_dual_add_nc_u32 v49, v50, v49 :: v_dual_add_nc_u32 v46, v47, v46
	v_sub_nc_u32_e32 v74, v5, v80
	s_delay_alu instid0(VALU_DEP_3) | instskip(NEXT) | instid1(VALU_DEP_3)
	v_dual_add_nc_u32 v75, v71, v59 :: v_dual_bitop2_b32 v68, 1, v68 bitop3:0x40
	v_dual_add_nc_u32 v72, v49, v40 :: v_dual_bitop2_b32 v69, 1, v69 bitop3:0x40
	s_delay_alu instid0(VALU_DEP_3) | instskip(NEXT) | instid1(VALU_DEP_3)
	v_add_nc_u32_e32 v74, 1, v74
	v_cmp_eq_u32_e32 vcc_lo, 1, v68
	s_delay_alu instid0(VALU_DEP_3) | instskip(SKIP_1) | instid1(VALU_DEP_4)
	v_dual_sub_nc_u32 v75, v5, v75 :: v_dual_add_nc_u32 v45, v72, v45
	v_dual_add_nc_u32 v68, v73, v2 :: v_dual_bitop2_b32 v44, 1, v44 bitop3:0x40
	v_cndmask_b32_e32 v62, v74, v62, vcc_lo
	v_cmp_eq_u32_e32 vcc_lo, 1, v69
	s_delay_alu instid0(VALU_DEP_3)
	v_dual_add_nc_u32 v73, 2, v75 :: v_dual_add_nc_u32 v69, v58, v68
	v_dual_lshlrev_b32 v1, 2, v1 :: v_dual_bitop2_b32 v67, 1, v67 bitop3:0x40
	v_add_nc_u32_e32 v78, v46, v39
	v_cndmask_b32_e32 v62, v62, v70, vcc_lo
	v_cmp_eq_u32_e32 vcc_lo, 1, v44
	v_dual_sub_nc_u32 v57, v57, v6 :: v_dual_bitop2_b32 v43, 1, v43 bitop3:0x40
	ds_store_b32 v1, v20
	v_dual_lshlrev_b32 v20, 2, v62 :: v_dual_cndmask_b32 v44, v73, v71, vcc_lo
	v_cmp_eq_u32_e32 vcc_lo, 1, v67
	v_sub_nc_u32_e32 v1, v5, v69
	v_dual_lshrrev_b32 v63, 16, v33 :: v_dual_lshrrev_b32 v64, 8, v33
	ds_store_b32 v20, v21
	v_dual_cndmask_b32 v44, v44, v59, vcc_lo :: v_dual_bitop2_b32 v32, 1, v32 bitop3:0x40
	v_dual_add_nc_u32 v1, 3, v1 :: v_dual_add_nc_u32 v57, v57, v2
	v_dual_sub_nc_u32 v54, v54, v6 :: v_dual_lshrrev_b32 v25, 16, v35
	v_lshrrev_b32_e32 v27, 8, v35
	s_delay_alu instid0(VALU_DEP_4)
	v_cmp_eq_u32_e32 vcc_lo, 1, v32
	v_sub_nc_u32_e32 v56, v56, v6
	v_sub_nc_u32_e32 v32, v76, v4
	v_dual_lshrrev_b32 v26, 8, v36 :: v_dual_lshrrev_b32 v24, 16, v36
	v_cndmask_b32_e32 v1, v1, v68, vcc_lo
	v_cmp_eq_u32_e32 vcc_lo, 1, v43
	v_dual_sub_nc_u32 v55, v55, v4 :: v_dual_add_nc_u32 v56, v56, v2
	v_dual_add_nc_u32 v43, v32, v57 :: v_dual_lshlrev_b32 v21, 2, v44
	s_delay_alu instid0(VALU_DEP_4) | instskip(NEXT) | instid1(VALU_DEP_2)
	v_dual_cndmask_b32 v1, v1, v58, vcc_lo :: v_dual_bitop2_b32 v58, 1, v65 bitop3:0x40
	v_dual_add_nc_u32 v20, v55, v56 :: v_dual_sub_nc_u32 v43, v5, v43
	s_delay_alu instid0(VALU_DEP_2) | instskip(NEXT) | instid1(VALU_DEP_2)
	v_dual_lshlrev_b32 v1, 2, v1 :: v_dual_bitop2_b32 v44, 1, v66 bitop3:0x40
	v_dual_sub_nc_u32 v20, v5, v20 :: v_dual_bitop2_b32 v33, 1, v33 bitop3:0x40
	s_delay_alu instid0(VALU_DEP_3) | instskip(NEXT) | instid1(VALU_DEP_3)
	v_add_nc_u32_e32 v43, 4, v43
	v_cmp_eq_u32_e32 vcc_lo, 1, v44
	v_dual_sub_nc_u32 v53, v53, v4 :: v_dual_add_nc_u32 v54, v54, v2
	s_delay_alu instid0(VALU_DEP_4)
	v_add_nc_u32_e32 v20, 5, v20
	ds_store_b32 v21, v18
	v_cndmask_b32_e32 v43, v43, v57, vcc_lo
	v_cmp_eq_u32_e32 vcc_lo, 1, v58
	v_and_b32_e32 v44, 1, v64
	ds_store_b32 v1, v19
	v_and_b32_e32 v21, 1, v63
	v_sub_nc_u64_e32 v[30:31], s[30:31], v[2:3]
	v_dual_cndmask_b32 v20, v20, v56, vcc_lo :: v_dual_add_nc_u32 v56, v53, v54
	v_cmp_eq_u32_e32 vcc_lo, 1, v33
	v_sub_nc_u32_e32 v33, v52, v6
	s_mov_b32 s41, 0
	s_delay_alu instid0(VALU_DEP_3)
	v_dual_sub_nc_u32 v18, v5, v56 :: v_dual_bitop2_b32 v27, 1, v27 bitop3:0x40
	v_cndmask_b32_e32 v32, v43, v32, vcc_lo
	v_cmp_eq_u32_e32 vcc_lo, 1, v44
	v_add_nc_u64_e32 v[30:31], v[30:31], v[6:7]
	s_add_nc_u64 s[0:1], s[34:35], s[40:41]
	v_dual_add_nc_u32 v18, 6, v18 :: v_dual_cndmask_b32 v20, v20, v55, vcc_lo
	v_dual_lshlrev_b32 v1, 2, v32 :: v_dual_sub_nc_u32 v32, v77, v6
	s_delay_alu instid0(VALU_DEP_2)
	v_dual_lshlrev_b32 v19, 2, v20 :: v_dual_bitop2_b32 v20, 1, v42 bitop3:0x40
	v_sub_nc_u32_e32 v42, v79, v4
	ds_store_b32 v1, v16
	ds_store_b32 v19, v17
	v_cmp_eq_u32_e32 vcc_lo, 1, v20
	v_dual_sub_nc_u32 v20, v51, v4 :: v_dual_add_nc_u32 v32, v32, v2
	v_dual_add_nc_u32 v33, v33, v2 :: v_dual_bitop2_b32 v19, 1, v35 bitop3:0x40
	v_cndmask_b32_e32 v18, v18, v54, vcc_lo
	v_cmp_eq_u32_e32 vcc_lo, 1, v21
	s_delay_alu instid0(VALU_DEP_4) | instskip(NEXT) | instid1(VALU_DEP_3)
	v_add_nc_u32_e32 v21, v20, v32
	v_dual_cndmask_b32 v18, v18, v53 :: v_dual_sub_nc_u32 v35, v48, v4
	v_add_nc_u32_e32 v1, v42, v33
	s_delay_alu instid0(VALU_DEP_3) | instskip(SKIP_1) | instid1(VALU_DEP_4)
	v_dual_sub_nc_u32 v17, v5, v21 :: v_dual_sub_nc_u32 v21, v50, v6
	v_cmp_eq_u32_e32 vcc_lo, 1, v19
	v_dual_lshlrev_b32 v16, 2, v18 :: v_dual_bitop2_b32 v18, 1, v41 bitop3:0x40
	s_delay_alu instid0(VALU_DEP_4) | instskip(NEXT) | instid1(VALU_DEP_4)
	v_sub_nc_u32_e32 v1, v5, v1
	v_dual_add_nc_u32 v17, 7, v17 :: v_dual_add_nc_u32 v21, v21, v2
	ds_store_b32 v16, v14
	v_dual_add_nc_u32 v1, 8, v1 :: v_dual_cndmask_b32 v17, v17, v32, vcc_lo
	v_cmp_eq_u32_e32 vcc_lo, 1, v27
	v_dual_add_nc_u32 v27, v35, v21 :: v_dual_bitop2_b32 v19, 1, v36 bitop3:0x40
	s_delay_alu instid0(VALU_DEP_3) | instskip(SKIP_1) | instid1(VALU_DEP_3)
	v_cndmask_b32_e32 v1, v1, v33, vcc_lo
	v_cmp_eq_u32_e32 vcc_lo, 1, v18
	v_dual_sub_nc_u32 v14, v5, v27 :: v_dual_bitop2_b32 v18, 1, v25 bitop3:0x40
	v_cndmask_b32_e32 v17, v17, v20, vcc_lo
	v_cmp_eq_u32_e32 vcc_lo, 1, v19
	v_dual_sub_nc_u32 v19, v47, v4 :: v_dual_cndmask_b32 v1, v1, v42, vcc_lo
	s_delay_alu instid0(VALU_DEP_4) | instskip(NEXT) | instid1(VALU_DEP_2)
	v_cmp_eq_u32_e32 vcc_lo, 1, v18
	v_lshlrev_b32_e32 v1, 2, v1
	v_dual_lshlrev_b32 v16, 2, v17 :: v_dual_sub_nc_u32 v17, v49, v6
	ds_store_b32 v16, v15
	v_add_nc_u32_e32 v17, v17, v2
	v_add_nc_u32_e32 v14, 9, v14
	ds_store_b32 v1, v12
	v_dual_sub_nc_u32 v16, v45, v6 :: v_dual_add_nc_u32 v15, v19, v17
	v_dual_cndmask_b32 v14, v14, v21, vcc_lo :: v_dual_bitop2_b32 v20, 1, v26 bitop3:0x40
	v_sub_nc_u32_e32 v12, v72, v6
	s_delay_alu instid0(VALU_DEP_3) | instskip(NEXT) | instid1(VALU_DEP_3)
	v_add_nc_u32_e32 v16, v16, v2
	v_cmp_eq_u32_e32 vcc_lo, 1, v20
	v_sub_nc_u32_e32 v20, v78, v4
	v_cndmask_b32_e32 v1, v14, v35, vcc_lo
	v_dual_sub_nc_u32 v14, v5, v15 :: v_dual_bitop2_b32 v15, 1, v40 bitop3:0x40
	v_dual_sub_nc_u32 v18, v46, v4 :: v_dual_add_nc_u32 v12, v12, v2
	s_delay_alu instid0(VALU_DEP_2) | instskip(NEXT) | instid1(VALU_DEP_3)
	v_dual_add_nc_u32 v14, 10, v14 :: v_dual_bitop2_b32 v4, 1, v24 bitop3:0x40
	v_cmp_eq_u32_e32 vcc_lo, 1, v15
	v_add_nc_u32_e32 v15, v20, v16
	s_delay_alu instid0(VALU_DEP_4) | instskip(NEXT) | instid1(VALU_DEP_4)
	v_dual_add_nc_u32 v21, v18, v12 :: v_dual_lshlrev_b32 v1, 2, v1
	v_cndmask_b32_e32 v14, v14, v17, vcc_lo
	v_cmp_eq_u32_e32 vcc_lo, 1, v4
	s_delay_alu instid0(VALU_DEP_3) | instskip(SKIP_4) | instid1(VALU_DEP_3)
	v_dual_sub_nc_u32 v17, v5, v21 :: v_dual_sub_nc_u32 v4, v5, v15
	ds_store_b32 v1, v13
	v_dual_cndmask_b32 v14, v14, v19, vcc_lo :: v_dual_bitop2_b32 v19, 1, v34 bitop3:0x40
	v_dual_add_nc_u32 v17, 11, v17 :: v_dual_bitop2_b32 v15, 1, v39 bitop3:0x40
	v_dual_add_nc_u32 v24, 12, v4 :: v_dual_bitop2_b32 v21, 1, v38 bitop3:0x40
	v_cmp_eq_u32_e32 vcc_lo, 1, v19
	v_add_nc_u64_e32 v[4:5], v[8:9], v[60:61]
	s_delay_alu instid0(VALU_DEP_4) | instskip(SKIP_2) | instid1(VALU_DEP_4)
	v_dual_lshlrev_b32 v14, 2, v14 :: v_dual_cndmask_b32 v12, v17, v12, vcc_lo
	v_and_b32_e32 v17, 1, v37
	v_cmp_eq_u32_e32 vcc_lo, 1, v21
	v_add_nc_u64_e32 v[4:5], v[4:5], v[30:31]
	ds_store_b32 v14, v10
	v_cndmask_b32_e32 v16, v24, v16, vcc_lo
	v_cmp_eq_u32_e32 vcc_lo, 1, v15
	v_add_nc_u64_e32 v[4:5], v[4:5], v[22:23]
	v_cndmask_b32_e32 v12, v12, v18, vcc_lo
	v_cmp_eq_u32_e32 vcc_lo, 1, v17
	v_cndmask_b32_e32 v15, v16, v20, vcc_lo
	v_cmp_ne_u32_e32 vcc_lo, 1, v29
	s_delay_alu instid0(VALU_DEP_2)
	v_dual_lshlrev_b32 v10, 2, v15 :: v_dual_lshlrev_b32 v1, 2, v12
	v_lshlrev_b64_e32 v[12:13], 2, v[30:31]
	v_lshlrev_b64_e32 v[14:15], 2, v[22:23]
	s_and_b32 vcc_lo, exec_lo, vcc_lo
	ds_store_b32 v1, v11
	ds_store_b32 v10, v28
	v_sub_nc_u64_e32 v[10:11], s[0:1], v[4:5]
	v_add_nc_u64_e32 v[4:5], s[38:39], v[12:13]
	v_add_nc_u64_e32 v[12:13], s[36:37], v[14:15]
	v_add_nc_u32_e32 v14, v2, v8
	s_mov_b32 s0, -1
	s_wait_dscnt 0x0
	s_barrier_signal -1
	s_barrier_wait -1
	s_cbranch_vccz .LBB429_150
; %bb.147:
	s_and_b32 vcc_lo, exec_lo, s0
	s_cbranch_vccnz .LBB429_255
.LBB429_148:
	v_cmp_eq_u32_e32 vcc_lo, 0, v0
	s_and_b32 s0, vcc_lo, s15
	s_delay_alu instid0(SALU_CYCLE_1)
	s_and_saveexec_b32 s1, s0
	s_cbranch_execnz .LBB429_373
.LBB429_149:
	s_sendmsg sendmsg(MSG_DEALLOC_VGPRS)
	s_endpgm
.LBB429_150:
	s_mov_b32 s0, exec_lo
	v_cmpx_ge_u32_e64 v0, v2
	s_xor_b32 s0, exec_lo, s0
	s_cbranch_execz .LBB429_156
; %bb.151:
	v_mov_b32_e32 v1, 0
	s_mov_b32 s1, exec_lo
	v_cmpx_ge_u32_e64 v0, v14
	s_xor_b32 s1, exec_lo, s1
	s_cbranch_execz .LBB429_153
; %bb.152:
	v_lshlrev_b32_e32 v15, 2, v0
	v_add_nc_u64_e32 v[16:17], v[10:11], v[0:1]
	ds_load_b32 v1, v15
	v_lshlrev_b64_e32 v[16:17], 2, v[16:17]
	s_delay_alu instid0(VALU_DEP_1)
	v_sub_nc_u64_e32 v[16:17], s[26:27], v[16:17]
	s_wait_dscnt 0x0
	global_store_b32 v[16:17], v1, off offset:-4
.LBB429_153:
	s_wait_xcnt 0x0
	s_and_not1_saveexec_b32 s1, s1
	s_cbranch_execz .LBB429_155
; %bb.154:
	v_lshlrev_b32_e32 v1, 2, v0
	v_readfirstlane_b32 s2, v4
	v_readfirstlane_b32 s3, v5
	ds_load_b32 v1, v1
	s_wait_dscnt 0x0
	global_store_b32 v0, v1, s[2:3] scale_offset
.LBB429_155:
	s_wait_xcnt 0x0
	s_or_b32 exec_lo, exec_lo, s1
.LBB429_156:
	s_and_not1_saveexec_b32 s0, s0
	s_cbranch_execz .LBB429_158
; %bb.157:
	v_lshlrev_b32_e32 v1, 2, v0
	v_readfirstlane_b32 s2, v12
	v_readfirstlane_b32 s3, v13
	ds_load_b32 v1, v1
	s_wait_dscnt 0x0
	global_store_b32 v0, v1, s[2:3] scale_offset
.LBB429_158:
	s_wait_xcnt 0x0
	s_or_b32 exec_lo, exec_lo, s0
	v_or_b32_e32 v1, 0x100, v0
	s_mov_b32 s0, exec_lo
	s_delay_alu instid0(VALU_DEP_1)
	v_cmpx_ge_u32_e64 v1, v2
	s_xor_b32 s0, exec_lo, s0
	s_cbranch_execz .LBB429_164
; %bb.159:
	s_mov_b32 s1, exec_lo
	v_cmpx_ge_u32_e64 v1, v14
	s_xor_b32 s1, exec_lo, s1
	s_cbranch_execz .LBB429_161
; %bb.160:
	v_dual_mov_b32 v1, 0 :: v_dual_lshlrev_b32 v15, 2, v0
	s_delay_alu instid0(VALU_DEP_1) | instskip(SKIP_2) | instid1(VALU_DEP_1)
	v_add_nc_u64_e32 v[16:17], v[10:11], v[0:1]
	ds_load_b32 v1, v15 offset:1024
	v_lshlrev_b64_e32 v[16:17], 2, v[16:17]
	v_sub_nc_u64_e32 v[16:17], s[26:27], v[16:17]
	s_wait_dscnt 0x0
	global_store_b32 v[16:17], v1, off offset:-1028
.LBB429_161:
	s_wait_xcnt 0x0
	s_and_not1_saveexec_b32 s1, s1
	s_cbranch_execz .LBB429_163
; %bb.162:
	v_lshlrev_b32_e32 v1, 2, v0
	v_readfirstlane_b32 s2, v4
	v_readfirstlane_b32 s3, v5
	ds_load_b32 v1, v1 offset:1024
	s_wait_dscnt 0x0
	global_store_b32 v0, v1, s[2:3] offset:1024 scale_offset
.LBB429_163:
	s_wait_xcnt 0x0
	s_or_b32 exec_lo, exec_lo, s1
.LBB429_164:
	s_and_not1_saveexec_b32 s0, s0
	s_cbranch_execz .LBB429_166
; %bb.165:
	v_lshlrev_b32_e32 v1, 2, v0
	v_readfirstlane_b32 s2, v12
	v_readfirstlane_b32 s3, v13
	ds_load_b32 v1, v1 offset:1024
	s_wait_dscnt 0x0
	global_store_b32 v0, v1, s[2:3] offset:1024 scale_offset
.LBB429_166:
	s_wait_xcnt 0x0
	s_or_b32 exec_lo, exec_lo, s0
	v_or_b32_e32 v1, 0x200, v0
	s_mov_b32 s0, exec_lo
	s_delay_alu instid0(VALU_DEP_1)
	v_cmpx_ge_u32_e64 v1, v2
	s_xor_b32 s0, exec_lo, s0
	s_cbranch_execz .LBB429_172
; %bb.167:
	s_mov_b32 s1, exec_lo
	v_cmpx_ge_u32_e64 v1, v14
	s_xor_b32 s1, exec_lo, s1
	s_cbranch_execz .LBB429_169
; %bb.168:
	v_dual_mov_b32 v1, 0 :: v_dual_lshlrev_b32 v15, 2, v0
	s_delay_alu instid0(VALU_DEP_1) | instskip(SKIP_2) | instid1(VALU_DEP_1)
	v_add_nc_u64_e32 v[16:17], v[10:11], v[0:1]
	ds_load_b32 v1, v15 offset:2048
	v_lshlrev_b64_e32 v[16:17], 2, v[16:17]
	v_sub_nc_u64_e32 v[16:17], s[26:27], v[16:17]
	s_wait_dscnt 0x0
	global_store_b32 v[16:17], v1, off offset:-2052
.LBB429_169:
	s_wait_xcnt 0x0
	s_and_not1_saveexec_b32 s1, s1
	s_cbranch_execz .LBB429_171
; %bb.170:
	v_lshlrev_b32_e32 v1, 2, v0
	v_readfirstlane_b32 s2, v4
	v_readfirstlane_b32 s3, v5
	ds_load_b32 v1, v1 offset:2048
	s_wait_dscnt 0x0
	global_store_b32 v0, v1, s[2:3] offset:2048 scale_offset
.LBB429_171:
	s_wait_xcnt 0x0
	s_or_b32 exec_lo, exec_lo, s1
.LBB429_172:
	s_and_not1_saveexec_b32 s0, s0
	s_cbranch_execz .LBB429_174
; %bb.173:
	v_lshlrev_b32_e32 v1, 2, v0
	v_readfirstlane_b32 s2, v12
	v_readfirstlane_b32 s3, v13
	ds_load_b32 v1, v1 offset:2048
	s_wait_dscnt 0x0
	global_store_b32 v0, v1, s[2:3] offset:2048 scale_offset
.LBB429_174:
	;; [unrolled: 47-line block ×12, first 2 shown]
	s_wait_xcnt 0x0
	s_or_b32 exec_lo, exec_lo, s0
	s_branch .LBB429_148
.LBB429_255:
	s_mov_b32 s0, exec_lo
	v_cmpx_gt_u32_e64 s6, v0
	s_cbranch_execz .LBB429_264
; %bb.256:
	s_mov_b32 s1, exec_lo
	v_cmpx_ge_u32_e64 v0, v2
	s_xor_b32 s1, exec_lo, s1
	s_cbranch_execz .LBB429_262
; %bb.257:
	v_mov_b32_e32 v1, 0
	s_mov_b32 s2, exec_lo
	v_cmpx_ge_u32_e64 v0, v14
	s_xor_b32 s2, exec_lo, s2
	s_cbranch_execz .LBB429_259
; %bb.258:
	v_lshlrev_b32_e32 v15, 2, v0
	v_add_nc_u64_e32 v[16:17], v[10:11], v[0:1]
	ds_load_b32 v1, v15
	v_lshlrev_b64_e32 v[16:17], 2, v[16:17]
	s_delay_alu instid0(VALU_DEP_1)
	v_sub_nc_u64_e32 v[16:17], s[26:27], v[16:17]
	s_wait_dscnt 0x0
	global_store_b32 v[16:17], v1, off offset:-4
.LBB429_259:
	s_wait_xcnt 0x0
	s_and_not1_saveexec_b32 s2, s2
	s_cbranch_execz .LBB429_261
; %bb.260:
	v_lshlrev_b32_e32 v1, 2, v0
	v_readfirstlane_b32 s4, v4
	v_readfirstlane_b32 s5, v5
	ds_load_b32 v1, v1
	s_wait_dscnt 0x0
	global_store_b32 v0, v1, s[4:5] scale_offset
.LBB429_261:
	s_wait_xcnt 0x0
	s_or_b32 exec_lo, exec_lo, s2
.LBB429_262:
	s_and_not1_saveexec_b32 s1, s1
	s_cbranch_execz .LBB429_264
; %bb.263:
	v_lshlrev_b32_e32 v1, 2, v0
	v_readfirstlane_b32 s2, v12
	v_readfirstlane_b32 s3, v13
	ds_load_b32 v1, v1
	s_wait_dscnt 0x0
	global_store_b32 v0, v1, s[2:3] scale_offset
.LBB429_264:
	s_wait_xcnt 0x0
	s_or_b32 exec_lo, exec_lo, s0
	v_or_b32_e32 v1, 0x100, v0
	s_mov_b32 s0, exec_lo
	s_delay_alu instid0(VALU_DEP_1)
	v_cmpx_gt_u32_e64 s6, v1
	s_cbranch_execz .LBB429_273
; %bb.265:
	s_mov_b32 s1, exec_lo
	v_cmpx_ge_u32_e64 v1, v2
	s_xor_b32 s1, exec_lo, s1
	s_cbranch_execz .LBB429_271
; %bb.266:
	s_mov_b32 s2, exec_lo
	v_cmpx_ge_u32_e64 v1, v14
	s_xor_b32 s2, exec_lo, s2
	s_cbranch_execz .LBB429_268
; %bb.267:
	v_dual_mov_b32 v1, 0 :: v_dual_lshlrev_b32 v15, 2, v0
	s_delay_alu instid0(VALU_DEP_1) | instskip(SKIP_2) | instid1(VALU_DEP_1)
	v_add_nc_u64_e32 v[16:17], v[10:11], v[0:1]
	ds_load_b32 v1, v15 offset:1024
	v_lshlrev_b64_e32 v[16:17], 2, v[16:17]
	v_sub_nc_u64_e32 v[16:17], s[26:27], v[16:17]
	s_wait_dscnt 0x0
	global_store_b32 v[16:17], v1, off offset:-1028
.LBB429_268:
	s_wait_xcnt 0x0
	s_and_not1_saveexec_b32 s2, s2
	s_cbranch_execz .LBB429_270
; %bb.269:
	v_lshlrev_b32_e32 v1, 2, v0
	v_readfirstlane_b32 s4, v4
	v_readfirstlane_b32 s5, v5
	ds_load_b32 v1, v1 offset:1024
	s_wait_dscnt 0x0
	global_store_b32 v0, v1, s[4:5] offset:1024 scale_offset
.LBB429_270:
	s_wait_xcnt 0x0
	s_or_b32 exec_lo, exec_lo, s2
.LBB429_271:
	s_and_not1_saveexec_b32 s1, s1
	s_cbranch_execz .LBB429_273
; %bb.272:
	v_lshlrev_b32_e32 v1, 2, v0
	v_readfirstlane_b32 s2, v12
	v_readfirstlane_b32 s3, v13
	ds_load_b32 v1, v1 offset:1024
	s_wait_dscnt 0x0
	global_store_b32 v0, v1, s[2:3] offset:1024 scale_offset
.LBB429_273:
	s_wait_xcnt 0x0
	s_or_b32 exec_lo, exec_lo, s0
	v_or_b32_e32 v1, 0x200, v0
	s_mov_b32 s0, exec_lo
	s_delay_alu instid0(VALU_DEP_1)
	v_cmpx_gt_u32_e64 s6, v1
	s_cbranch_execz .LBB429_282
; %bb.274:
	s_mov_b32 s1, exec_lo
	v_cmpx_ge_u32_e64 v1, v2
	s_xor_b32 s1, exec_lo, s1
	s_cbranch_execz .LBB429_280
; %bb.275:
	s_mov_b32 s2, exec_lo
	v_cmpx_ge_u32_e64 v1, v14
	s_xor_b32 s2, exec_lo, s2
	s_cbranch_execz .LBB429_277
; %bb.276:
	v_dual_mov_b32 v1, 0 :: v_dual_lshlrev_b32 v15, 2, v0
	s_delay_alu instid0(VALU_DEP_1) | instskip(SKIP_2) | instid1(VALU_DEP_1)
	v_add_nc_u64_e32 v[16:17], v[10:11], v[0:1]
	ds_load_b32 v1, v15 offset:2048
	v_lshlrev_b64_e32 v[16:17], 2, v[16:17]
	v_sub_nc_u64_e32 v[16:17], s[26:27], v[16:17]
	s_wait_dscnt 0x0
	global_store_b32 v[16:17], v1, off offset:-2052
.LBB429_277:
	s_wait_xcnt 0x0
	s_and_not1_saveexec_b32 s2, s2
	s_cbranch_execz .LBB429_279
; %bb.278:
	v_lshlrev_b32_e32 v1, 2, v0
	v_readfirstlane_b32 s4, v4
	v_readfirstlane_b32 s5, v5
	ds_load_b32 v1, v1 offset:2048
	s_wait_dscnt 0x0
	global_store_b32 v0, v1, s[4:5] offset:2048 scale_offset
.LBB429_279:
	s_wait_xcnt 0x0
	s_or_b32 exec_lo, exec_lo, s2
.LBB429_280:
	s_and_not1_saveexec_b32 s1, s1
	s_cbranch_execz .LBB429_282
; %bb.281:
	v_lshlrev_b32_e32 v1, 2, v0
	v_readfirstlane_b32 s2, v12
	v_readfirstlane_b32 s3, v13
	ds_load_b32 v1, v1 offset:2048
	s_wait_dscnt 0x0
	global_store_b32 v0, v1, s[2:3] offset:2048 scale_offset
.LBB429_282:
	;; [unrolled: 51-line block ×11, first 2 shown]
	s_wait_xcnt 0x0
	s_or_b32 exec_lo, exec_lo, s0
	v_or_b32_e32 v1, 0xc00, v0
	s_mov_b32 s0, exec_lo
	s_delay_alu instid0(VALU_DEP_1)
	v_cmpx_gt_u32_e64 s6, v1
	s_cbranch_execz .LBB429_372
; %bb.364:
	s_mov_b32 s1, exec_lo
	v_cmpx_ge_u32_e64 v1, v2
	s_xor_b32 s1, exec_lo, s1
	s_cbranch_execz .LBB429_370
; %bb.365:
	s_mov_b32 s2, exec_lo
	v_cmpx_ge_u32_e64 v1, v14
	s_xor_b32 s2, exec_lo, s2
	s_cbranch_execz .LBB429_367
; %bb.366:
	v_dual_mov_b32 v1, 0 :: v_dual_lshlrev_b32 v12, 2, v0
	s_delay_alu instid0(VALU_DEP_1) | instskip(SKIP_2) | instid1(VALU_DEP_1)
	v_add_nc_u64_e32 v[4:5], v[10:11], v[0:1]
	ds_load_b32 v1, v12 offset:12288
	v_lshlrev_b64_e32 v[4:5], 2, v[4:5]
	v_sub_nc_u64_e32 v[4:5], s[26:27], v[4:5]
	s_wait_dscnt 0x0
	global_store_b32 v[4:5], v1, off offset:-12292
                                        ; implicit-def: $vgpr4_vgpr5
.LBB429_367:
	s_wait_xcnt 0x0
	s_and_not1_saveexec_b32 s2, s2
	s_cbranch_execz .LBB429_369
; %bb.368:
	v_lshlrev_b32_e32 v1, 2, v0
	v_readfirstlane_b32 s4, v4
	v_readfirstlane_b32 s5, v5
	ds_load_b32 v1, v1 offset:12288
	s_wait_dscnt 0x0
	global_store_b32 v0, v1, s[4:5] offset:12288 scale_offset
.LBB429_369:
	s_wait_xcnt 0x0
	s_or_b32 exec_lo, exec_lo, s2
                                        ; implicit-def: $vgpr12_vgpr13
.LBB429_370:
	s_and_not1_saveexec_b32 s1, s1
	s_cbranch_execz .LBB429_372
; %bb.371:
	v_lshlrev_b32_e32 v1, 2, v0
	v_readfirstlane_b32 s2, v12
	v_readfirstlane_b32 s3, v13
	ds_load_b32 v1, v1 offset:12288
	s_wait_dscnt 0x0
	global_store_b32 v0, v1, s[2:3] offset:12288 scale_offset
.LBB429_372:
	s_wait_xcnt 0x0
	s_or_b32 exec_lo, exec_lo, s0
	v_cmp_eq_u32_e32 vcc_lo, 0, v0
	s_and_b32 s0, vcc_lo, s15
	s_delay_alu instid0(SALU_CYCLE_1)
	s_and_saveexec_b32 s1, s0
	s_cbranch_execz .LBB429_149
.LBB429_373:
	v_add_nc_u64_e32 v[0:1], s[30:31], v[8:9]
	v_add_nc_u64_e32 v[2:3], v[22:23], v[2:3]
	s_delay_alu instid0(VALU_DEP_2)
	v_add_nc_u64_e32 v[4:5], v[0:1], v[6:7]
	v_mov_b32_e32 v0, 0
	global_store_b128 v0, v[2:5], s[24:25]
	s_sendmsg sendmsg(MSG_DEALLOC_VGPRS)
	s_endpgm
	.section	.rodata,"a",@progbits
	.p2align	6, 0x0
	.amdhsa_kernel _ZN7rocprim17ROCPRIM_400000_NS6detail17trampoline_kernelINS0_13select_configILj256ELj13ELNS0_17block_load_methodE3ELS4_3ELS4_3ELNS0_20block_scan_algorithmE0ELj4294967295EEENS1_25partition_config_selectorILNS1_17partition_subalgoE4EjNS0_10empty_typeEbEEZZNS1_14partition_implILS8_4ELb0ES6_15HIP_vector_typeIjLj2EENS0_17counting_iteratorIjlEEPS9_SG_NS0_5tupleIJPjSI_NS0_16reverse_iteratorISI_EEEEENSH_IJSG_SG_SG_EEES9_SI_JZNS1_25segmented_radix_sort_implINS0_14default_configELb1EPKiPiPKlPlN2at6native12_GLOBAL__N_18offset_tEEE10hipError_tPvRmT1_PNSt15iterator_traitsIS12_E10value_typeET2_T3_PNS13_IS18_E10value_typeET4_jRbjT5_S1E_jjP12ihipStream_tbEUljE_ZNSN_ISO_Lb1ESQ_SR_ST_SU_SY_EESZ_S10_S11_S12_S16_S17_S18_S1B_S1C_jS1D_jS1E_S1E_jjS1G_bEUljE0_EEESZ_S10_S11_S18_S1C_S1E_T6_T7_T9_mT8_S1G_bDpT10_ENKUlT_T0_E_clISt17integral_constantIbLb0EES1U_EEDaS1P_S1Q_EUlS1P_E_NS1_11comp_targetILNS1_3genE0ELNS1_11target_archE4294967295ELNS1_3gpuE0ELNS1_3repE0EEENS1_30default_config_static_selectorELNS0_4arch9wavefront6targetE0EEEvS12_
		.amdhsa_group_segment_fixed_size 13328
		.amdhsa_private_segment_fixed_size 0
		.amdhsa_kernarg_size 176
		.amdhsa_user_sgpr_count 2
		.amdhsa_user_sgpr_dispatch_ptr 0
		.amdhsa_user_sgpr_queue_ptr 0
		.amdhsa_user_sgpr_kernarg_segment_ptr 1
		.amdhsa_user_sgpr_dispatch_id 0
		.amdhsa_user_sgpr_kernarg_preload_length 0
		.amdhsa_user_sgpr_kernarg_preload_offset 0
		.amdhsa_user_sgpr_private_segment_size 0
		.amdhsa_wavefront_size32 1
		.amdhsa_uses_dynamic_stack 0
		.amdhsa_enable_private_segment 0
		.amdhsa_system_sgpr_workgroup_id_x 1
		.amdhsa_system_sgpr_workgroup_id_y 0
		.amdhsa_system_sgpr_workgroup_id_z 0
		.amdhsa_system_sgpr_workgroup_info 0
		.amdhsa_system_vgpr_workitem_id 0
		.amdhsa_next_free_vgpr 81
		.amdhsa_next_free_sgpr 59
		.amdhsa_named_barrier_count 0
		.amdhsa_reserve_vcc 1
		.amdhsa_float_round_mode_32 0
		.amdhsa_float_round_mode_16_64 0
		.amdhsa_float_denorm_mode_32 3
		.amdhsa_float_denorm_mode_16_64 3
		.amdhsa_fp16_overflow 0
		.amdhsa_memory_ordered 1
		.amdhsa_forward_progress 1
		.amdhsa_inst_pref_size 139
		.amdhsa_round_robin_scheduling 0
		.amdhsa_exception_fp_ieee_invalid_op 0
		.amdhsa_exception_fp_denorm_src 0
		.amdhsa_exception_fp_ieee_div_zero 0
		.amdhsa_exception_fp_ieee_overflow 0
		.amdhsa_exception_fp_ieee_underflow 0
		.amdhsa_exception_fp_ieee_inexact 0
		.amdhsa_exception_int_div_zero 0
	.end_amdhsa_kernel
	.section	.text._ZN7rocprim17ROCPRIM_400000_NS6detail17trampoline_kernelINS0_13select_configILj256ELj13ELNS0_17block_load_methodE3ELS4_3ELS4_3ELNS0_20block_scan_algorithmE0ELj4294967295EEENS1_25partition_config_selectorILNS1_17partition_subalgoE4EjNS0_10empty_typeEbEEZZNS1_14partition_implILS8_4ELb0ES6_15HIP_vector_typeIjLj2EENS0_17counting_iteratorIjlEEPS9_SG_NS0_5tupleIJPjSI_NS0_16reverse_iteratorISI_EEEEENSH_IJSG_SG_SG_EEES9_SI_JZNS1_25segmented_radix_sort_implINS0_14default_configELb1EPKiPiPKlPlN2at6native12_GLOBAL__N_18offset_tEEE10hipError_tPvRmT1_PNSt15iterator_traitsIS12_E10value_typeET2_T3_PNS13_IS18_E10value_typeET4_jRbjT5_S1E_jjP12ihipStream_tbEUljE_ZNSN_ISO_Lb1ESQ_SR_ST_SU_SY_EESZ_S10_S11_S12_S16_S17_S18_S1B_S1C_jS1D_jS1E_S1E_jjS1G_bEUljE0_EEESZ_S10_S11_S18_S1C_S1E_T6_T7_T9_mT8_S1G_bDpT10_ENKUlT_T0_E_clISt17integral_constantIbLb0EES1U_EEDaS1P_S1Q_EUlS1P_E_NS1_11comp_targetILNS1_3genE0ELNS1_11target_archE4294967295ELNS1_3gpuE0ELNS1_3repE0EEENS1_30default_config_static_selectorELNS0_4arch9wavefront6targetE0EEEvS12_,"axG",@progbits,_ZN7rocprim17ROCPRIM_400000_NS6detail17trampoline_kernelINS0_13select_configILj256ELj13ELNS0_17block_load_methodE3ELS4_3ELS4_3ELNS0_20block_scan_algorithmE0ELj4294967295EEENS1_25partition_config_selectorILNS1_17partition_subalgoE4EjNS0_10empty_typeEbEEZZNS1_14partition_implILS8_4ELb0ES6_15HIP_vector_typeIjLj2EENS0_17counting_iteratorIjlEEPS9_SG_NS0_5tupleIJPjSI_NS0_16reverse_iteratorISI_EEEEENSH_IJSG_SG_SG_EEES9_SI_JZNS1_25segmented_radix_sort_implINS0_14default_configELb1EPKiPiPKlPlN2at6native12_GLOBAL__N_18offset_tEEE10hipError_tPvRmT1_PNSt15iterator_traitsIS12_E10value_typeET2_T3_PNS13_IS18_E10value_typeET4_jRbjT5_S1E_jjP12ihipStream_tbEUljE_ZNSN_ISO_Lb1ESQ_SR_ST_SU_SY_EESZ_S10_S11_S12_S16_S17_S18_S1B_S1C_jS1D_jS1E_S1E_jjS1G_bEUljE0_EEESZ_S10_S11_S18_S1C_S1E_T6_T7_T9_mT8_S1G_bDpT10_ENKUlT_T0_E_clISt17integral_constantIbLb0EES1U_EEDaS1P_S1Q_EUlS1P_E_NS1_11comp_targetILNS1_3genE0ELNS1_11target_archE4294967295ELNS1_3gpuE0ELNS1_3repE0EEENS1_30default_config_static_selectorELNS0_4arch9wavefront6targetE0EEEvS12_,comdat
.Lfunc_end429:
	.size	_ZN7rocprim17ROCPRIM_400000_NS6detail17trampoline_kernelINS0_13select_configILj256ELj13ELNS0_17block_load_methodE3ELS4_3ELS4_3ELNS0_20block_scan_algorithmE0ELj4294967295EEENS1_25partition_config_selectorILNS1_17partition_subalgoE4EjNS0_10empty_typeEbEEZZNS1_14partition_implILS8_4ELb0ES6_15HIP_vector_typeIjLj2EENS0_17counting_iteratorIjlEEPS9_SG_NS0_5tupleIJPjSI_NS0_16reverse_iteratorISI_EEEEENSH_IJSG_SG_SG_EEES9_SI_JZNS1_25segmented_radix_sort_implINS0_14default_configELb1EPKiPiPKlPlN2at6native12_GLOBAL__N_18offset_tEEE10hipError_tPvRmT1_PNSt15iterator_traitsIS12_E10value_typeET2_T3_PNS13_IS18_E10value_typeET4_jRbjT5_S1E_jjP12ihipStream_tbEUljE_ZNSN_ISO_Lb1ESQ_SR_ST_SU_SY_EESZ_S10_S11_S12_S16_S17_S18_S1B_S1C_jS1D_jS1E_S1E_jjS1G_bEUljE0_EEESZ_S10_S11_S18_S1C_S1E_T6_T7_T9_mT8_S1G_bDpT10_ENKUlT_T0_E_clISt17integral_constantIbLb0EES1U_EEDaS1P_S1Q_EUlS1P_E_NS1_11comp_targetILNS1_3genE0ELNS1_11target_archE4294967295ELNS1_3gpuE0ELNS1_3repE0EEENS1_30default_config_static_selectorELNS0_4arch9wavefront6targetE0EEEvS12_, .Lfunc_end429-_ZN7rocprim17ROCPRIM_400000_NS6detail17trampoline_kernelINS0_13select_configILj256ELj13ELNS0_17block_load_methodE3ELS4_3ELS4_3ELNS0_20block_scan_algorithmE0ELj4294967295EEENS1_25partition_config_selectorILNS1_17partition_subalgoE4EjNS0_10empty_typeEbEEZZNS1_14partition_implILS8_4ELb0ES6_15HIP_vector_typeIjLj2EENS0_17counting_iteratorIjlEEPS9_SG_NS0_5tupleIJPjSI_NS0_16reverse_iteratorISI_EEEEENSH_IJSG_SG_SG_EEES9_SI_JZNS1_25segmented_radix_sort_implINS0_14default_configELb1EPKiPiPKlPlN2at6native12_GLOBAL__N_18offset_tEEE10hipError_tPvRmT1_PNSt15iterator_traitsIS12_E10value_typeET2_T3_PNS13_IS18_E10value_typeET4_jRbjT5_S1E_jjP12ihipStream_tbEUljE_ZNSN_ISO_Lb1ESQ_SR_ST_SU_SY_EESZ_S10_S11_S12_S16_S17_S18_S1B_S1C_jS1D_jS1E_S1E_jjS1G_bEUljE0_EEESZ_S10_S11_S18_S1C_S1E_T6_T7_T9_mT8_S1G_bDpT10_ENKUlT_T0_E_clISt17integral_constantIbLb0EES1U_EEDaS1P_S1Q_EUlS1P_E_NS1_11comp_targetILNS1_3genE0ELNS1_11target_archE4294967295ELNS1_3gpuE0ELNS1_3repE0EEENS1_30default_config_static_selectorELNS0_4arch9wavefront6targetE0EEEvS12_
                                        ; -- End function
	.set _ZN7rocprim17ROCPRIM_400000_NS6detail17trampoline_kernelINS0_13select_configILj256ELj13ELNS0_17block_load_methodE3ELS4_3ELS4_3ELNS0_20block_scan_algorithmE0ELj4294967295EEENS1_25partition_config_selectorILNS1_17partition_subalgoE4EjNS0_10empty_typeEbEEZZNS1_14partition_implILS8_4ELb0ES6_15HIP_vector_typeIjLj2EENS0_17counting_iteratorIjlEEPS9_SG_NS0_5tupleIJPjSI_NS0_16reverse_iteratorISI_EEEEENSH_IJSG_SG_SG_EEES9_SI_JZNS1_25segmented_radix_sort_implINS0_14default_configELb1EPKiPiPKlPlN2at6native12_GLOBAL__N_18offset_tEEE10hipError_tPvRmT1_PNSt15iterator_traitsIS12_E10value_typeET2_T3_PNS13_IS18_E10value_typeET4_jRbjT5_S1E_jjP12ihipStream_tbEUljE_ZNSN_ISO_Lb1ESQ_SR_ST_SU_SY_EESZ_S10_S11_S12_S16_S17_S18_S1B_S1C_jS1D_jS1E_S1E_jjS1G_bEUljE0_EEESZ_S10_S11_S18_S1C_S1E_T6_T7_T9_mT8_S1G_bDpT10_ENKUlT_T0_E_clISt17integral_constantIbLb0EES1U_EEDaS1P_S1Q_EUlS1P_E_NS1_11comp_targetILNS1_3genE0ELNS1_11target_archE4294967295ELNS1_3gpuE0ELNS1_3repE0EEENS1_30default_config_static_selectorELNS0_4arch9wavefront6targetE0EEEvS12_.num_vgpr, 81
	.set _ZN7rocprim17ROCPRIM_400000_NS6detail17trampoline_kernelINS0_13select_configILj256ELj13ELNS0_17block_load_methodE3ELS4_3ELS4_3ELNS0_20block_scan_algorithmE0ELj4294967295EEENS1_25partition_config_selectorILNS1_17partition_subalgoE4EjNS0_10empty_typeEbEEZZNS1_14partition_implILS8_4ELb0ES6_15HIP_vector_typeIjLj2EENS0_17counting_iteratorIjlEEPS9_SG_NS0_5tupleIJPjSI_NS0_16reverse_iteratorISI_EEEEENSH_IJSG_SG_SG_EEES9_SI_JZNS1_25segmented_radix_sort_implINS0_14default_configELb1EPKiPiPKlPlN2at6native12_GLOBAL__N_18offset_tEEE10hipError_tPvRmT1_PNSt15iterator_traitsIS12_E10value_typeET2_T3_PNS13_IS18_E10value_typeET4_jRbjT5_S1E_jjP12ihipStream_tbEUljE_ZNSN_ISO_Lb1ESQ_SR_ST_SU_SY_EESZ_S10_S11_S12_S16_S17_S18_S1B_S1C_jS1D_jS1E_S1E_jjS1G_bEUljE0_EEESZ_S10_S11_S18_S1C_S1E_T6_T7_T9_mT8_S1G_bDpT10_ENKUlT_T0_E_clISt17integral_constantIbLb0EES1U_EEDaS1P_S1Q_EUlS1P_E_NS1_11comp_targetILNS1_3genE0ELNS1_11target_archE4294967295ELNS1_3gpuE0ELNS1_3repE0EEENS1_30default_config_static_selectorELNS0_4arch9wavefront6targetE0EEEvS12_.num_agpr, 0
	.set _ZN7rocprim17ROCPRIM_400000_NS6detail17trampoline_kernelINS0_13select_configILj256ELj13ELNS0_17block_load_methodE3ELS4_3ELS4_3ELNS0_20block_scan_algorithmE0ELj4294967295EEENS1_25partition_config_selectorILNS1_17partition_subalgoE4EjNS0_10empty_typeEbEEZZNS1_14partition_implILS8_4ELb0ES6_15HIP_vector_typeIjLj2EENS0_17counting_iteratorIjlEEPS9_SG_NS0_5tupleIJPjSI_NS0_16reverse_iteratorISI_EEEEENSH_IJSG_SG_SG_EEES9_SI_JZNS1_25segmented_radix_sort_implINS0_14default_configELb1EPKiPiPKlPlN2at6native12_GLOBAL__N_18offset_tEEE10hipError_tPvRmT1_PNSt15iterator_traitsIS12_E10value_typeET2_T3_PNS13_IS18_E10value_typeET4_jRbjT5_S1E_jjP12ihipStream_tbEUljE_ZNSN_ISO_Lb1ESQ_SR_ST_SU_SY_EESZ_S10_S11_S12_S16_S17_S18_S1B_S1C_jS1D_jS1E_S1E_jjS1G_bEUljE0_EEESZ_S10_S11_S18_S1C_S1E_T6_T7_T9_mT8_S1G_bDpT10_ENKUlT_T0_E_clISt17integral_constantIbLb0EES1U_EEDaS1P_S1Q_EUlS1P_E_NS1_11comp_targetILNS1_3genE0ELNS1_11target_archE4294967295ELNS1_3gpuE0ELNS1_3repE0EEENS1_30default_config_static_selectorELNS0_4arch9wavefront6targetE0EEEvS12_.numbered_sgpr, 59
	.set _ZN7rocprim17ROCPRIM_400000_NS6detail17trampoline_kernelINS0_13select_configILj256ELj13ELNS0_17block_load_methodE3ELS4_3ELS4_3ELNS0_20block_scan_algorithmE0ELj4294967295EEENS1_25partition_config_selectorILNS1_17partition_subalgoE4EjNS0_10empty_typeEbEEZZNS1_14partition_implILS8_4ELb0ES6_15HIP_vector_typeIjLj2EENS0_17counting_iteratorIjlEEPS9_SG_NS0_5tupleIJPjSI_NS0_16reverse_iteratorISI_EEEEENSH_IJSG_SG_SG_EEES9_SI_JZNS1_25segmented_radix_sort_implINS0_14default_configELb1EPKiPiPKlPlN2at6native12_GLOBAL__N_18offset_tEEE10hipError_tPvRmT1_PNSt15iterator_traitsIS12_E10value_typeET2_T3_PNS13_IS18_E10value_typeET4_jRbjT5_S1E_jjP12ihipStream_tbEUljE_ZNSN_ISO_Lb1ESQ_SR_ST_SU_SY_EESZ_S10_S11_S12_S16_S17_S18_S1B_S1C_jS1D_jS1E_S1E_jjS1G_bEUljE0_EEESZ_S10_S11_S18_S1C_S1E_T6_T7_T9_mT8_S1G_bDpT10_ENKUlT_T0_E_clISt17integral_constantIbLb0EES1U_EEDaS1P_S1Q_EUlS1P_E_NS1_11comp_targetILNS1_3genE0ELNS1_11target_archE4294967295ELNS1_3gpuE0ELNS1_3repE0EEENS1_30default_config_static_selectorELNS0_4arch9wavefront6targetE0EEEvS12_.num_named_barrier, 0
	.set _ZN7rocprim17ROCPRIM_400000_NS6detail17trampoline_kernelINS0_13select_configILj256ELj13ELNS0_17block_load_methodE3ELS4_3ELS4_3ELNS0_20block_scan_algorithmE0ELj4294967295EEENS1_25partition_config_selectorILNS1_17partition_subalgoE4EjNS0_10empty_typeEbEEZZNS1_14partition_implILS8_4ELb0ES6_15HIP_vector_typeIjLj2EENS0_17counting_iteratorIjlEEPS9_SG_NS0_5tupleIJPjSI_NS0_16reverse_iteratorISI_EEEEENSH_IJSG_SG_SG_EEES9_SI_JZNS1_25segmented_radix_sort_implINS0_14default_configELb1EPKiPiPKlPlN2at6native12_GLOBAL__N_18offset_tEEE10hipError_tPvRmT1_PNSt15iterator_traitsIS12_E10value_typeET2_T3_PNS13_IS18_E10value_typeET4_jRbjT5_S1E_jjP12ihipStream_tbEUljE_ZNSN_ISO_Lb1ESQ_SR_ST_SU_SY_EESZ_S10_S11_S12_S16_S17_S18_S1B_S1C_jS1D_jS1E_S1E_jjS1G_bEUljE0_EEESZ_S10_S11_S18_S1C_S1E_T6_T7_T9_mT8_S1G_bDpT10_ENKUlT_T0_E_clISt17integral_constantIbLb0EES1U_EEDaS1P_S1Q_EUlS1P_E_NS1_11comp_targetILNS1_3genE0ELNS1_11target_archE4294967295ELNS1_3gpuE0ELNS1_3repE0EEENS1_30default_config_static_selectorELNS0_4arch9wavefront6targetE0EEEvS12_.private_seg_size, 0
	.set _ZN7rocprim17ROCPRIM_400000_NS6detail17trampoline_kernelINS0_13select_configILj256ELj13ELNS0_17block_load_methodE3ELS4_3ELS4_3ELNS0_20block_scan_algorithmE0ELj4294967295EEENS1_25partition_config_selectorILNS1_17partition_subalgoE4EjNS0_10empty_typeEbEEZZNS1_14partition_implILS8_4ELb0ES6_15HIP_vector_typeIjLj2EENS0_17counting_iteratorIjlEEPS9_SG_NS0_5tupleIJPjSI_NS0_16reverse_iteratorISI_EEEEENSH_IJSG_SG_SG_EEES9_SI_JZNS1_25segmented_radix_sort_implINS0_14default_configELb1EPKiPiPKlPlN2at6native12_GLOBAL__N_18offset_tEEE10hipError_tPvRmT1_PNSt15iterator_traitsIS12_E10value_typeET2_T3_PNS13_IS18_E10value_typeET4_jRbjT5_S1E_jjP12ihipStream_tbEUljE_ZNSN_ISO_Lb1ESQ_SR_ST_SU_SY_EESZ_S10_S11_S12_S16_S17_S18_S1B_S1C_jS1D_jS1E_S1E_jjS1G_bEUljE0_EEESZ_S10_S11_S18_S1C_S1E_T6_T7_T9_mT8_S1G_bDpT10_ENKUlT_T0_E_clISt17integral_constantIbLb0EES1U_EEDaS1P_S1Q_EUlS1P_E_NS1_11comp_targetILNS1_3genE0ELNS1_11target_archE4294967295ELNS1_3gpuE0ELNS1_3repE0EEENS1_30default_config_static_selectorELNS0_4arch9wavefront6targetE0EEEvS12_.uses_vcc, 1
	.set _ZN7rocprim17ROCPRIM_400000_NS6detail17trampoline_kernelINS0_13select_configILj256ELj13ELNS0_17block_load_methodE3ELS4_3ELS4_3ELNS0_20block_scan_algorithmE0ELj4294967295EEENS1_25partition_config_selectorILNS1_17partition_subalgoE4EjNS0_10empty_typeEbEEZZNS1_14partition_implILS8_4ELb0ES6_15HIP_vector_typeIjLj2EENS0_17counting_iteratorIjlEEPS9_SG_NS0_5tupleIJPjSI_NS0_16reverse_iteratorISI_EEEEENSH_IJSG_SG_SG_EEES9_SI_JZNS1_25segmented_radix_sort_implINS0_14default_configELb1EPKiPiPKlPlN2at6native12_GLOBAL__N_18offset_tEEE10hipError_tPvRmT1_PNSt15iterator_traitsIS12_E10value_typeET2_T3_PNS13_IS18_E10value_typeET4_jRbjT5_S1E_jjP12ihipStream_tbEUljE_ZNSN_ISO_Lb1ESQ_SR_ST_SU_SY_EESZ_S10_S11_S12_S16_S17_S18_S1B_S1C_jS1D_jS1E_S1E_jjS1G_bEUljE0_EEESZ_S10_S11_S18_S1C_S1E_T6_T7_T9_mT8_S1G_bDpT10_ENKUlT_T0_E_clISt17integral_constantIbLb0EES1U_EEDaS1P_S1Q_EUlS1P_E_NS1_11comp_targetILNS1_3genE0ELNS1_11target_archE4294967295ELNS1_3gpuE0ELNS1_3repE0EEENS1_30default_config_static_selectorELNS0_4arch9wavefront6targetE0EEEvS12_.uses_flat_scratch, 0
	.set _ZN7rocprim17ROCPRIM_400000_NS6detail17trampoline_kernelINS0_13select_configILj256ELj13ELNS0_17block_load_methodE3ELS4_3ELS4_3ELNS0_20block_scan_algorithmE0ELj4294967295EEENS1_25partition_config_selectorILNS1_17partition_subalgoE4EjNS0_10empty_typeEbEEZZNS1_14partition_implILS8_4ELb0ES6_15HIP_vector_typeIjLj2EENS0_17counting_iteratorIjlEEPS9_SG_NS0_5tupleIJPjSI_NS0_16reverse_iteratorISI_EEEEENSH_IJSG_SG_SG_EEES9_SI_JZNS1_25segmented_radix_sort_implINS0_14default_configELb1EPKiPiPKlPlN2at6native12_GLOBAL__N_18offset_tEEE10hipError_tPvRmT1_PNSt15iterator_traitsIS12_E10value_typeET2_T3_PNS13_IS18_E10value_typeET4_jRbjT5_S1E_jjP12ihipStream_tbEUljE_ZNSN_ISO_Lb1ESQ_SR_ST_SU_SY_EESZ_S10_S11_S12_S16_S17_S18_S1B_S1C_jS1D_jS1E_S1E_jjS1G_bEUljE0_EEESZ_S10_S11_S18_S1C_S1E_T6_T7_T9_mT8_S1G_bDpT10_ENKUlT_T0_E_clISt17integral_constantIbLb0EES1U_EEDaS1P_S1Q_EUlS1P_E_NS1_11comp_targetILNS1_3genE0ELNS1_11target_archE4294967295ELNS1_3gpuE0ELNS1_3repE0EEENS1_30default_config_static_selectorELNS0_4arch9wavefront6targetE0EEEvS12_.has_dyn_sized_stack, 0
	.set _ZN7rocprim17ROCPRIM_400000_NS6detail17trampoline_kernelINS0_13select_configILj256ELj13ELNS0_17block_load_methodE3ELS4_3ELS4_3ELNS0_20block_scan_algorithmE0ELj4294967295EEENS1_25partition_config_selectorILNS1_17partition_subalgoE4EjNS0_10empty_typeEbEEZZNS1_14partition_implILS8_4ELb0ES6_15HIP_vector_typeIjLj2EENS0_17counting_iteratorIjlEEPS9_SG_NS0_5tupleIJPjSI_NS0_16reverse_iteratorISI_EEEEENSH_IJSG_SG_SG_EEES9_SI_JZNS1_25segmented_radix_sort_implINS0_14default_configELb1EPKiPiPKlPlN2at6native12_GLOBAL__N_18offset_tEEE10hipError_tPvRmT1_PNSt15iterator_traitsIS12_E10value_typeET2_T3_PNS13_IS18_E10value_typeET4_jRbjT5_S1E_jjP12ihipStream_tbEUljE_ZNSN_ISO_Lb1ESQ_SR_ST_SU_SY_EESZ_S10_S11_S12_S16_S17_S18_S1B_S1C_jS1D_jS1E_S1E_jjS1G_bEUljE0_EEESZ_S10_S11_S18_S1C_S1E_T6_T7_T9_mT8_S1G_bDpT10_ENKUlT_T0_E_clISt17integral_constantIbLb0EES1U_EEDaS1P_S1Q_EUlS1P_E_NS1_11comp_targetILNS1_3genE0ELNS1_11target_archE4294967295ELNS1_3gpuE0ELNS1_3repE0EEENS1_30default_config_static_selectorELNS0_4arch9wavefront6targetE0EEEvS12_.has_recursion, 0
	.set _ZN7rocprim17ROCPRIM_400000_NS6detail17trampoline_kernelINS0_13select_configILj256ELj13ELNS0_17block_load_methodE3ELS4_3ELS4_3ELNS0_20block_scan_algorithmE0ELj4294967295EEENS1_25partition_config_selectorILNS1_17partition_subalgoE4EjNS0_10empty_typeEbEEZZNS1_14partition_implILS8_4ELb0ES6_15HIP_vector_typeIjLj2EENS0_17counting_iteratorIjlEEPS9_SG_NS0_5tupleIJPjSI_NS0_16reverse_iteratorISI_EEEEENSH_IJSG_SG_SG_EEES9_SI_JZNS1_25segmented_radix_sort_implINS0_14default_configELb1EPKiPiPKlPlN2at6native12_GLOBAL__N_18offset_tEEE10hipError_tPvRmT1_PNSt15iterator_traitsIS12_E10value_typeET2_T3_PNS13_IS18_E10value_typeET4_jRbjT5_S1E_jjP12ihipStream_tbEUljE_ZNSN_ISO_Lb1ESQ_SR_ST_SU_SY_EESZ_S10_S11_S12_S16_S17_S18_S1B_S1C_jS1D_jS1E_S1E_jjS1G_bEUljE0_EEESZ_S10_S11_S18_S1C_S1E_T6_T7_T9_mT8_S1G_bDpT10_ENKUlT_T0_E_clISt17integral_constantIbLb0EES1U_EEDaS1P_S1Q_EUlS1P_E_NS1_11comp_targetILNS1_3genE0ELNS1_11target_archE4294967295ELNS1_3gpuE0ELNS1_3repE0EEENS1_30default_config_static_selectorELNS0_4arch9wavefront6targetE0EEEvS12_.has_indirect_call, 0
	.section	.AMDGPU.csdata,"",@progbits
; Kernel info:
; codeLenInByte = 17784
; TotalNumSgprs: 61
; NumVgprs: 81
; ScratchSize: 0
; MemoryBound: 0
; FloatMode: 240
; IeeeMode: 1
; LDSByteSize: 13328 bytes/workgroup (compile time only)
; SGPRBlocks: 0
; VGPRBlocks: 5
; NumSGPRsForWavesPerEU: 61
; NumVGPRsForWavesPerEU: 81
; NamedBarCnt: 0
; Occupancy: 10
; WaveLimiterHint : 1
; COMPUTE_PGM_RSRC2:SCRATCH_EN: 0
; COMPUTE_PGM_RSRC2:USER_SGPR: 2
; COMPUTE_PGM_RSRC2:TRAP_HANDLER: 0
; COMPUTE_PGM_RSRC2:TGID_X_EN: 1
; COMPUTE_PGM_RSRC2:TGID_Y_EN: 0
; COMPUTE_PGM_RSRC2:TGID_Z_EN: 0
; COMPUTE_PGM_RSRC2:TIDIG_COMP_CNT: 0
	.section	.text._ZN7rocprim17ROCPRIM_400000_NS6detail17trampoline_kernelINS0_13select_configILj256ELj13ELNS0_17block_load_methodE3ELS4_3ELS4_3ELNS0_20block_scan_algorithmE0ELj4294967295EEENS1_25partition_config_selectorILNS1_17partition_subalgoE4EjNS0_10empty_typeEbEEZZNS1_14partition_implILS8_4ELb0ES6_15HIP_vector_typeIjLj2EENS0_17counting_iteratorIjlEEPS9_SG_NS0_5tupleIJPjSI_NS0_16reverse_iteratorISI_EEEEENSH_IJSG_SG_SG_EEES9_SI_JZNS1_25segmented_radix_sort_implINS0_14default_configELb1EPKiPiPKlPlN2at6native12_GLOBAL__N_18offset_tEEE10hipError_tPvRmT1_PNSt15iterator_traitsIS12_E10value_typeET2_T3_PNS13_IS18_E10value_typeET4_jRbjT5_S1E_jjP12ihipStream_tbEUljE_ZNSN_ISO_Lb1ESQ_SR_ST_SU_SY_EESZ_S10_S11_S12_S16_S17_S18_S1B_S1C_jS1D_jS1E_S1E_jjS1G_bEUljE0_EEESZ_S10_S11_S18_S1C_S1E_T6_T7_T9_mT8_S1G_bDpT10_ENKUlT_T0_E_clISt17integral_constantIbLb0EES1U_EEDaS1P_S1Q_EUlS1P_E_NS1_11comp_targetILNS1_3genE5ELNS1_11target_archE942ELNS1_3gpuE9ELNS1_3repE0EEENS1_30default_config_static_selectorELNS0_4arch9wavefront6targetE0EEEvS12_,"axG",@progbits,_ZN7rocprim17ROCPRIM_400000_NS6detail17trampoline_kernelINS0_13select_configILj256ELj13ELNS0_17block_load_methodE3ELS4_3ELS4_3ELNS0_20block_scan_algorithmE0ELj4294967295EEENS1_25partition_config_selectorILNS1_17partition_subalgoE4EjNS0_10empty_typeEbEEZZNS1_14partition_implILS8_4ELb0ES6_15HIP_vector_typeIjLj2EENS0_17counting_iteratorIjlEEPS9_SG_NS0_5tupleIJPjSI_NS0_16reverse_iteratorISI_EEEEENSH_IJSG_SG_SG_EEES9_SI_JZNS1_25segmented_radix_sort_implINS0_14default_configELb1EPKiPiPKlPlN2at6native12_GLOBAL__N_18offset_tEEE10hipError_tPvRmT1_PNSt15iterator_traitsIS12_E10value_typeET2_T3_PNS13_IS18_E10value_typeET4_jRbjT5_S1E_jjP12ihipStream_tbEUljE_ZNSN_ISO_Lb1ESQ_SR_ST_SU_SY_EESZ_S10_S11_S12_S16_S17_S18_S1B_S1C_jS1D_jS1E_S1E_jjS1G_bEUljE0_EEESZ_S10_S11_S18_S1C_S1E_T6_T7_T9_mT8_S1G_bDpT10_ENKUlT_T0_E_clISt17integral_constantIbLb0EES1U_EEDaS1P_S1Q_EUlS1P_E_NS1_11comp_targetILNS1_3genE5ELNS1_11target_archE942ELNS1_3gpuE9ELNS1_3repE0EEENS1_30default_config_static_selectorELNS0_4arch9wavefront6targetE0EEEvS12_,comdat
	.globl	_ZN7rocprim17ROCPRIM_400000_NS6detail17trampoline_kernelINS0_13select_configILj256ELj13ELNS0_17block_load_methodE3ELS4_3ELS4_3ELNS0_20block_scan_algorithmE0ELj4294967295EEENS1_25partition_config_selectorILNS1_17partition_subalgoE4EjNS0_10empty_typeEbEEZZNS1_14partition_implILS8_4ELb0ES6_15HIP_vector_typeIjLj2EENS0_17counting_iteratorIjlEEPS9_SG_NS0_5tupleIJPjSI_NS0_16reverse_iteratorISI_EEEEENSH_IJSG_SG_SG_EEES9_SI_JZNS1_25segmented_radix_sort_implINS0_14default_configELb1EPKiPiPKlPlN2at6native12_GLOBAL__N_18offset_tEEE10hipError_tPvRmT1_PNSt15iterator_traitsIS12_E10value_typeET2_T3_PNS13_IS18_E10value_typeET4_jRbjT5_S1E_jjP12ihipStream_tbEUljE_ZNSN_ISO_Lb1ESQ_SR_ST_SU_SY_EESZ_S10_S11_S12_S16_S17_S18_S1B_S1C_jS1D_jS1E_S1E_jjS1G_bEUljE0_EEESZ_S10_S11_S18_S1C_S1E_T6_T7_T9_mT8_S1G_bDpT10_ENKUlT_T0_E_clISt17integral_constantIbLb0EES1U_EEDaS1P_S1Q_EUlS1P_E_NS1_11comp_targetILNS1_3genE5ELNS1_11target_archE942ELNS1_3gpuE9ELNS1_3repE0EEENS1_30default_config_static_selectorELNS0_4arch9wavefront6targetE0EEEvS12_ ; -- Begin function _ZN7rocprim17ROCPRIM_400000_NS6detail17trampoline_kernelINS0_13select_configILj256ELj13ELNS0_17block_load_methodE3ELS4_3ELS4_3ELNS0_20block_scan_algorithmE0ELj4294967295EEENS1_25partition_config_selectorILNS1_17partition_subalgoE4EjNS0_10empty_typeEbEEZZNS1_14partition_implILS8_4ELb0ES6_15HIP_vector_typeIjLj2EENS0_17counting_iteratorIjlEEPS9_SG_NS0_5tupleIJPjSI_NS0_16reverse_iteratorISI_EEEEENSH_IJSG_SG_SG_EEES9_SI_JZNS1_25segmented_radix_sort_implINS0_14default_configELb1EPKiPiPKlPlN2at6native12_GLOBAL__N_18offset_tEEE10hipError_tPvRmT1_PNSt15iterator_traitsIS12_E10value_typeET2_T3_PNS13_IS18_E10value_typeET4_jRbjT5_S1E_jjP12ihipStream_tbEUljE_ZNSN_ISO_Lb1ESQ_SR_ST_SU_SY_EESZ_S10_S11_S12_S16_S17_S18_S1B_S1C_jS1D_jS1E_S1E_jjS1G_bEUljE0_EEESZ_S10_S11_S18_S1C_S1E_T6_T7_T9_mT8_S1G_bDpT10_ENKUlT_T0_E_clISt17integral_constantIbLb0EES1U_EEDaS1P_S1Q_EUlS1P_E_NS1_11comp_targetILNS1_3genE5ELNS1_11target_archE942ELNS1_3gpuE9ELNS1_3repE0EEENS1_30default_config_static_selectorELNS0_4arch9wavefront6targetE0EEEvS12_
	.p2align	8
	.type	_ZN7rocprim17ROCPRIM_400000_NS6detail17trampoline_kernelINS0_13select_configILj256ELj13ELNS0_17block_load_methodE3ELS4_3ELS4_3ELNS0_20block_scan_algorithmE0ELj4294967295EEENS1_25partition_config_selectorILNS1_17partition_subalgoE4EjNS0_10empty_typeEbEEZZNS1_14partition_implILS8_4ELb0ES6_15HIP_vector_typeIjLj2EENS0_17counting_iteratorIjlEEPS9_SG_NS0_5tupleIJPjSI_NS0_16reverse_iteratorISI_EEEEENSH_IJSG_SG_SG_EEES9_SI_JZNS1_25segmented_radix_sort_implINS0_14default_configELb1EPKiPiPKlPlN2at6native12_GLOBAL__N_18offset_tEEE10hipError_tPvRmT1_PNSt15iterator_traitsIS12_E10value_typeET2_T3_PNS13_IS18_E10value_typeET4_jRbjT5_S1E_jjP12ihipStream_tbEUljE_ZNSN_ISO_Lb1ESQ_SR_ST_SU_SY_EESZ_S10_S11_S12_S16_S17_S18_S1B_S1C_jS1D_jS1E_S1E_jjS1G_bEUljE0_EEESZ_S10_S11_S18_S1C_S1E_T6_T7_T9_mT8_S1G_bDpT10_ENKUlT_T0_E_clISt17integral_constantIbLb0EES1U_EEDaS1P_S1Q_EUlS1P_E_NS1_11comp_targetILNS1_3genE5ELNS1_11target_archE942ELNS1_3gpuE9ELNS1_3repE0EEENS1_30default_config_static_selectorELNS0_4arch9wavefront6targetE0EEEvS12_,@function
_ZN7rocprim17ROCPRIM_400000_NS6detail17trampoline_kernelINS0_13select_configILj256ELj13ELNS0_17block_load_methodE3ELS4_3ELS4_3ELNS0_20block_scan_algorithmE0ELj4294967295EEENS1_25partition_config_selectorILNS1_17partition_subalgoE4EjNS0_10empty_typeEbEEZZNS1_14partition_implILS8_4ELb0ES6_15HIP_vector_typeIjLj2EENS0_17counting_iteratorIjlEEPS9_SG_NS0_5tupleIJPjSI_NS0_16reverse_iteratorISI_EEEEENSH_IJSG_SG_SG_EEES9_SI_JZNS1_25segmented_radix_sort_implINS0_14default_configELb1EPKiPiPKlPlN2at6native12_GLOBAL__N_18offset_tEEE10hipError_tPvRmT1_PNSt15iterator_traitsIS12_E10value_typeET2_T3_PNS13_IS18_E10value_typeET4_jRbjT5_S1E_jjP12ihipStream_tbEUljE_ZNSN_ISO_Lb1ESQ_SR_ST_SU_SY_EESZ_S10_S11_S12_S16_S17_S18_S1B_S1C_jS1D_jS1E_S1E_jjS1G_bEUljE0_EEESZ_S10_S11_S18_S1C_S1E_T6_T7_T9_mT8_S1G_bDpT10_ENKUlT_T0_E_clISt17integral_constantIbLb0EES1U_EEDaS1P_S1Q_EUlS1P_E_NS1_11comp_targetILNS1_3genE5ELNS1_11target_archE942ELNS1_3gpuE9ELNS1_3repE0EEENS1_30default_config_static_selectorELNS0_4arch9wavefront6targetE0EEEvS12_: ; @_ZN7rocprim17ROCPRIM_400000_NS6detail17trampoline_kernelINS0_13select_configILj256ELj13ELNS0_17block_load_methodE3ELS4_3ELS4_3ELNS0_20block_scan_algorithmE0ELj4294967295EEENS1_25partition_config_selectorILNS1_17partition_subalgoE4EjNS0_10empty_typeEbEEZZNS1_14partition_implILS8_4ELb0ES6_15HIP_vector_typeIjLj2EENS0_17counting_iteratorIjlEEPS9_SG_NS0_5tupleIJPjSI_NS0_16reverse_iteratorISI_EEEEENSH_IJSG_SG_SG_EEES9_SI_JZNS1_25segmented_radix_sort_implINS0_14default_configELb1EPKiPiPKlPlN2at6native12_GLOBAL__N_18offset_tEEE10hipError_tPvRmT1_PNSt15iterator_traitsIS12_E10value_typeET2_T3_PNS13_IS18_E10value_typeET4_jRbjT5_S1E_jjP12ihipStream_tbEUljE_ZNSN_ISO_Lb1ESQ_SR_ST_SU_SY_EESZ_S10_S11_S12_S16_S17_S18_S1B_S1C_jS1D_jS1E_S1E_jjS1G_bEUljE0_EEESZ_S10_S11_S18_S1C_S1E_T6_T7_T9_mT8_S1G_bDpT10_ENKUlT_T0_E_clISt17integral_constantIbLb0EES1U_EEDaS1P_S1Q_EUlS1P_E_NS1_11comp_targetILNS1_3genE5ELNS1_11target_archE942ELNS1_3gpuE9ELNS1_3repE0EEENS1_30default_config_static_selectorELNS0_4arch9wavefront6targetE0EEEvS12_
; %bb.0:
	.section	.rodata,"a",@progbits
	.p2align	6, 0x0
	.amdhsa_kernel _ZN7rocprim17ROCPRIM_400000_NS6detail17trampoline_kernelINS0_13select_configILj256ELj13ELNS0_17block_load_methodE3ELS4_3ELS4_3ELNS0_20block_scan_algorithmE0ELj4294967295EEENS1_25partition_config_selectorILNS1_17partition_subalgoE4EjNS0_10empty_typeEbEEZZNS1_14partition_implILS8_4ELb0ES6_15HIP_vector_typeIjLj2EENS0_17counting_iteratorIjlEEPS9_SG_NS0_5tupleIJPjSI_NS0_16reverse_iteratorISI_EEEEENSH_IJSG_SG_SG_EEES9_SI_JZNS1_25segmented_radix_sort_implINS0_14default_configELb1EPKiPiPKlPlN2at6native12_GLOBAL__N_18offset_tEEE10hipError_tPvRmT1_PNSt15iterator_traitsIS12_E10value_typeET2_T3_PNS13_IS18_E10value_typeET4_jRbjT5_S1E_jjP12ihipStream_tbEUljE_ZNSN_ISO_Lb1ESQ_SR_ST_SU_SY_EESZ_S10_S11_S12_S16_S17_S18_S1B_S1C_jS1D_jS1E_S1E_jjS1G_bEUljE0_EEESZ_S10_S11_S18_S1C_S1E_T6_T7_T9_mT8_S1G_bDpT10_ENKUlT_T0_E_clISt17integral_constantIbLb0EES1U_EEDaS1P_S1Q_EUlS1P_E_NS1_11comp_targetILNS1_3genE5ELNS1_11target_archE942ELNS1_3gpuE9ELNS1_3repE0EEENS1_30default_config_static_selectorELNS0_4arch9wavefront6targetE0EEEvS12_
		.amdhsa_group_segment_fixed_size 0
		.amdhsa_private_segment_fixed_size 0
		.amdhsa_kernarg_size 176
		.amdhsa_user_sgpr_count 2
		.amdhsa_user_sgpr_dispatch_ptr 0
		.amdhsa_user_sgpr_queue_ptr 0
		.amdhsa_user_sgpr_kernarg_segment_ptr 1
		.amdhsa_user_sgpr_dispatch_id 0
		.amdhsa_user_sgpr_kernarg_preload_length 0
		.amdhsa_user_sgpr_kernarg_preload_offset 0
		.amdhsa_user_sgpr_private_segment_size 0
		.amdhsa_wavefront_size32 1
		.amdhsa_uses_dynamic_stack 0
		.amdhsa_enable_private_segment 0
		.amdhsa_system_sgpr_workgroup_id_x 1
		.amdhsa_system_sgpr_workgroup_id_y 0
		.amdhsa_system_sgpr_workgroup_id_z 0
		.amdhsa_system_sgpr_workgroup_info 0
		.amdhsa_system_vgpr_workitem_id 0
		.amdhsa_next_free_vgpr 1
		.amdhsa_next_free_sgpr 1
		.amdhsa_named_barrier_count 0
		.amdhsa_reserve_vcc 0
		.amdhsa_float_round_mode_32 0
		.amdhsa_float_round_mode_16_64 0
		.amdhsa_float_denorm_mode_32 3
		.amdhsa_float_denorm_mode_16_64 3
		.amdhsa_fp16_overflow 0
		.amdhsa_memory_ordered 1
		.amdhsa_forward_progress 1
		.amdhsa_inst_pref_size 0
		.amdhsa_round_robin_scheduling 0
		.amdhsa_exception_fp_ieee_invalid_op 0
		.amdhsa_exception_fp_denorm_src 0
		.amdhsa_exception_fp_ieee_div_zero 0
		.amdhsa_exception_fp_ieee_overflow 0
		.amdhsa_exception_fp_ieee_underflow 0
		.amdhsa_exception_fp_ieee_inexact 0
		.amdhsa_exception_int_div_zero 0
	.end_amdhsa_kernel
	.section	.text._ZN7rocprim17ROCPRIM_400000_NS6detail17trampoline_kernelINS0_13select_configILj256ELj13ELNS0_17block_load_methodE3ELS4_3ELS4_3ELNS0_20block_scan_algorithmE0ELj4294967295EEENS1_25partition_config_selectorILNS1_17partition_subalgoE4EjNS0_10empty_typeEbEEZZNS1_14partition_implILS8_4ELb0ES6_15HIP_vector_typeIjLj2EENS0_17counting_iteratorIjlEEPS9_SG_NS0_5tupleIJPjSI_NS0_16reverse_iteratorISI_EEEEENSH_IJSG_SG_SG_EEES9_SI_JZNS1_25segmented_radix_sort_implINS0_14default_configELb1EPKiPiPKlPlN2at6native12_GLOBAL__N_18offset_tEEE10hipError_tPvRmT1_PNSt15iterator_traitsIS12_E10value_typeET2_T3_PNS13_IS18_E10value_typeET4_jRbjT5_S1E_jjP12ihipStream_tbEUljE_ZNSN_ISO_Lb1ESQ_SR_ST_SU_SY_EESZ_S10_S11_S12_S16_S17_S18_S1B_S1C_jS1D_jS1E_S1E_jjS1G_bEUljE0_EEESZ_S10_S11_S18_S1C_S1E_T6_T7_T9_mT8_S1G_bDpT10_ENKUlT_T0_E_clISt17integral_constantIbLb0EES1U_EEDaS1P_S1Q_EUlS1P_E_NS1_11comp_targetILNS1_3genE5ELNS1_11target_archE942ELNS1_3gpuE9ELNS1_3repE0EEENS1_30default_config_static_selectorELNS0_4arch9wavefront6targetE0EEEvS12_,"axG",@progbits,_ZN7rocprim17ROCPRIM_400000_NS6detail17trampoline_kernelINS0_13select_configILj256ELj13ELNS0_17block_load_methodE3ELS4_3ELS4_3ELNS0_20block_scan_algorithmE0ELj4294967295EEENS1_25partition_config_selectorILNS1_17partition_subalgoE4EjNS0_10empty_typeEbEEZZNS1_14partition_implILS8_4ELb0ES6_15HIP_vector_typeIjLj2EENS0_17counting_iteratorIjlEEPS9_SG_NS0_5tupleIJPjSI_NS0_16reverse_iteratorISI_EEEEENSH_IJSG_SG_SG_EEES9_SI_JZNS1_25segmented_radix_sort_implINS0_14default_configELb1EPKiPiPKlPlN2at6native12_GLOBAL__N_18offset_tEEE10hipError_tPvRmT1_PNSt15iterator_traitsIS12_E10value_typeET2_T3_PNS13_IS18_E10value_typeET4_jRbjT5_S1E_jjP12ihipStream_tbEUljE_ZNSN_ISO_Lb1ESQ_SR_ST_SU_SY_EESZ_S10_S11_S12_S16_S17_S18_S1B_S1C_jS1D_jS1E_S1E_jjS1G_bEUljE0_EEESZ_S10_S11_S18_S1C_S1E_T6_T7_T9_mT8_S1G_bDpT10_ENKUlT_T0_E_clISt17integral_constantIbLb0EES1U_EEDaS1P_S1Q_EUlS1P_E_NS1_11comp_targetILNS1_3genE5ELNS1_11target_archE942ELNS1_3gpuE9ELNS1_3repE0EEENS1_30default_config_static_selectorELNS0_4arch9wavefront6targetE0EEEvS12_,comdat
.Lfunc_end430:
	.size	_ZN7rocprim17ROCPRIM_400000_NS6detail17trampoline_kernelINS0_13select_configILj256ELj13ELNS0_17block_load_methodE3ELS4_3ELS4_3ELNS0_20block_scan_algorithmE0ELj4294967295EEENS1_25partition_config_selectorILNS1_17partition_subalgoE4EjNS0_10empty_typeEbEEZZNS1_14partition_implILS8_4ELb0ES6_15HIP_vector_typeIjLj2EENS0_17counting_iteratorIjlEEPS9_SG_NS0_5tupleIJPjSI_NS0_16reverse_iteratorISI_EEEEENSH_IJSG_SG_SG_EEES9_SI_JZNS1_25segmented_radix_sort_implINS0_14default_configELb1EPKiPiPKlPlN2at6native12_GLOBAL__N_18offset_tEEE10hipError_tPvRmT1_PNSt15iterator_traitsIS12_E10value_typeET2_T3_PNS13_IS18_E10value_typeET4_jRbjT5_S1E_jjP12ihipStream_tbEUljE_ZNSN_ISO_Lb1ESQ_SR_ST_SU_SY_EESZ_S10_S11_S12_S16_S17_S18_S1B_S1C_jS1D_jS1E_S1E_jjS1G_bEUljE0_EEESZ_S10_S11_S18_S1C_S1E_T6_T7_T9_mT8_S1G_bDpT10_ENKUlT_T0_E_clISt17integral_constantIbLb0EES1U_EEDaS1P_S1Q_EUlS1P_E_NS1_11comp_targetILNS1_3genE5ELNS1_11target_archE942ELNS1_3gpuE9ELNS1_3repE0EEENS1_30default_config_static_selectorELNS0_4arch9wavefront6targetE0EEEvS12_, .Lfunc_end430-_ZN7rocprim17ROCPRIM_400000_NS6detail17trampoline_kernelINS0_13select_configILj256ELj13ELNS0_17block_load_methodE3ELS4_3ELS4_3ELNS0_20block_scan_algorithmE0ELj4294967295EEENS1_25partition_config_selectorILNS1_17partition_subalgoE4EjNS0_10empty_typeEbEEZZNS1_14partition_implILS8_4ELb0ES6_15HIP_vector_typeIjLj2EENS0_17counting_iteratorIjlEEPS9_SG_NS0_5tupleIJPjSI_NS0_16reverse_iteratorISI_EEEEENSH_IJSG_SG_SG_EEES9_SI_JZNS1_25segmented_radix_sort_implINS0_14default_configELb1EPKiPiPKlPlN2at6native12_GLOBAL__N_18offset_tEEE10hipError_tPvRmT1_PNSt15iterator_traitsIS12_E10value_typeET2_T3_PNS13_IS18_E10value_typeET4_jRbjT5_S1E_jjP12ihipStream_tbEUljE_ZNSN_ISO_Lb1ESQ_SR_ST_SU_SY_EESZ_S10_S11_S12_S16_S17_S18_S1B_S1C_jS1D_jS1E_S1E_jjS1G_bEUljE0_EEESZ_S10_S11_S18_S1C_S1E_T6_T7_T9_mT8_S1G_bDpT10_ENKUlT_T0_E_clISt17integral_constantIbLb0EES1U_EEDaS1P_S1Q_EUlS1P_E_NS1_11comp_targetILNS1_3genE5ELNS1_11target_archE942ELNS1_3gpuE9ELNS1_3repE0EEENS1_30default_config_static_selectorELNS0_4arch9wavefront6targetE0EEEvS12_
                                        ; -- End function
	.set _ZN7rocprim17ROCPRIM_400000_NS6detail17trampoline_kernelINS0_13select_configILj256ELj13ELNS0_17block_load_methodE3ELS4_3ELS4_3ELNS0_20block_scan_algorithmE0ELj4294967295EEENS1_25partition_config_selectorILNS1_17partition_subalgoE4EjNS0_10empty_typeEbEEZZNS1_14partition_implILS8_4ELb0ES6_15HIP_vector_typeIjLj2EENS0_17counting_iteratorIjlEEPS9_SG_NS0_5tupleIJPjSI_NS0_16reverse_iteratorISI_EEEEENSH_IJSG_SG_SG_EEES9_SI_JZNS1_25segmented_radix_sort_implINS0_14default_configELb1EPKiPiPKlPlN2at6native12_GLOBAL__N_18offset_tEEE10hipError_tPvRmT1_PNSt15iterator_traitsIS12_E10value_typeET2_T3_PNS13_IS18_E10value_typeET4_jRbjT5_S1E_jjP12ihipStream_tbEUljE_ZNSN_ISO_Lb1ESQ_SR_ST_SU_SY_EESZ_S10_S11_S12_S16_S17_S18_S1B_S1C_jS1D_jS1E_S1E_jjS1G_bEUljE0_EEESZ_S10_S11_S18_S1C_S1E_T6_T7_T9_mT8_S1G_bDpT10_ENKUlT_T0_E_clISt17integral_constantIbLb0EES1U_EEDaS1P_S1Q_EUlS1P_E_NS1_11comp_targetILNS1_3genE5ELNS1_11target_archE942ELNS1_3gpuE9ELNS1_3repE0EEENS1_30default_config_static_selectorELNS0_4arch9wavefront6targetE0EEEvS12_.num_vgpr, 0
	.set _ZN7rocprim17ROCPRIM_400000_NS6detail17trampoline_kernelINS0_13select_configILj256ELj13ELNS0_17block_load_methodE3ELS4_3ELS4_3ELNS0_20block_scan_algorithmE0ELj4294967295EEENS1_25partition_config_selectorILNS1_17partition_subalgoE4EjNS0_10empty_typeEbEEZZNS1_14partition_implILS8_4ELb0ES6_15HIP_vector_typeIjLj2EENS0_17counting_iteratorIjlEEPS9_SG_NS0_5tupleIJPjSI_NS0_16reverse_iteratorISI_EEEEENSH_IJSG_SG_SG_EEES9_SI_JZNS1_25segmented_radix_sort_implINS0_14default_configELb1EPKiPiPKlPlN2at6native12_GLOBAL__N_18offset_tEEE10hipError_tPvRmT1_PNSt15iterator_traitsIS12_E10value_typeET2_T3_PNS13_IS18_E10value_typeET4_jRbjT5_S1E_jjP12ihipStream_tbEUljE_ZNSN_ISO_Lb1ESQ_SR_ST_SU_SY_EESZ_S10_S11_S12_S16_S17_S18_S1B_S1C_jS1D_jS1E_S1E_jjS1G_bEUljE0_EEESZ_S10_S11_S18_S1C_S1E_T6_T7_T9_mT8_S1G_bDpT10_ENKUlT_T0_E_clISt17integral_constantIbLb0EES1U_EEDaS1P_S1Q_EUlS1P_E_NS1_11comp_targetILNS1_3genE5ELNS1_11target_archE942ELNS1_3gpuE9ELNS1_3repE0EEENS1_30default_config_static_selectorELNS0_4arch9wavefront6targetE0EEEvS12_.num_agpr, 0
	.set _ZN7rocprim17ROCPRIM_400000_NS6detail17trampoline_kernelINS0_13select_configILj256ELj13ELNS0_17block_load_methodE3ELS4_3ELS4_3ELNS0_20block_scan_algorithmE0ELj4294967295EEENS1_25partition_config_selectorILNS1_17partition_subalgoE4EjNS0_10empty_typeEbEEZZNS1_14partition_implILS8_4ELb0ES6_15HIP_vector_typeIjLj2EENS0_17counting_iteratorIjlEEPS9_SG_NS0_5tupleIJPjSI_NS0_16reverse_iteratorISI_EEEEENSH_IJSG_SG_SG_EEES9_SI_JZNS1_25segmented_radix_sort_implINS0_14default_configELb1EPKiPiPKlPlN2at6native12_GLOBAL__N_18offset_tEEE10hipError_tPvRmT1_PNSt15iterator_traitsIS12_E10value_typeET2_T3_PNS13_IS18_E10value_typeET4_jRbjT5_S1E_jjP12ihipStream_tbEUljE_ZNSN_ISO_Lb1ESQ_SR_ST_SU_SY_EESZ_S10_S11_S12_S16_S17_S18_S1B_S1C_jS1D_jS1E_S1E_jjS1G_bEUljE0_EEESZ_S10_S11_S18_S1C_S1E_T6_T7_T9_mT8_S1G_bDpT10_ENKUlT_T0_E_clISt17integral_constantIbLb0EES1U_EEDaS1P_S1Q_EUlS1P_E_NS1_11comp_targetILNS1_3genE5ELNS1_11target_archE942ELNS1_3gpuE9ELNS1_3repE0EEENS1_30default_config_static_selectorELNS0_4arch9wavefront6targetE0EEEvS12_.numbered_sgpr, 0
	.set _ZN7rocprim17ROCPRIM_400000_NS6detail17trampoline_kernelINS0_13select_configILj256ELj13ELNS0_17block_load_methodE3ELS4_3ELS4_3ELNS0_20block_scan_algorithmE0ELj4294967295EEENS1_25partition_config_selectorILNS1_17partition_subalgoE4EjNS0_10empty_typeEbEEZZNS1_14partition_implILS8_4ELb0ES6_15HIP_vector_typeIjLj2EENS0_17counting_iteratorIjlEEPS9_SG_NS0_5tupleIJPjSI_NS0_16reverse_iteratorISI_EEEEENSH_IJSG_SG_SG_EEES9_SI_JZNS1_25segmented_radix_sort_implINS0_14default_configELb1EPKiPiPKlPlN2at6native12_GLOBAL__N_18offset_tEEE10hipError_tPvRmT1_PNSt15iterator_traitsIS12_E10value_typeET2_T3_PNS13_IS18_E10value_typeET4_jRbjT5_S1E_jjP12ihipStream_tbEUljE_ZNSN_ISO_Lb1ESQ_SR_ST_SU_SY_EESZ_S10_S11_S12_S16_S17_S18_S1B_S1C_jS1D_jS1E_S1E_jjS1G_bEUljE0_EEESZ_S10_S11_S18_S1C_S1E_T6_T7_T9_mT8_S1G_bDpT10_ENKUlT_T0_E_clISt17integral_constantIbLb0EES1U_EEDaS1P_S1Q_EUlS1P_E_NS1_11comp_targetILNS1_3genE5ELNS1_11target_archE942ELNS1_3gpuE9ELNS1_3repE0EEENS1_30default_config_static_selectorELNS0_4arch9wavefront6targetE0EEEvS12_.num_named_barrier, 0
	.set _ZN7rocprim17ROCPRIM_400000_NS6detail17trampoline_kernelINS0_13select_configILj256ELj13ELNS0_17block_load_methodE3ELS4_3ELS4_3ELNS0_20block_scan_algorithmE0ELj4294967295EEENS1_25partition_config_selectorILNS1_17partition_subalgoE4EjNS0_10empty_typeEbEEZZNS1_14partition_implILS8_4ELb0ES6_15HIP_vector_typeIjLj2EENS0_17counting_iteratorIjlEEPS9_SG_NS0_5tupleIJPjSI_NS0_16reverse_iteratorISI_EEEEENSH_IJSG_SG_SG_EEES9_SI_JZNS1_25segmented_radix_sort_implINS0_14default_configELb1EPKiPiPKlPlN2at6native12_GLOBAL__N_18offset_tEEE10hipError_tPvRmT1_PNSt15iterator_traitsIS12_E10value_typeET2_T3_PNS13_IS18_E10value_typeET4_jRbjT5_S1E_jjP12ihipStream_tbEUljE_ZNSN_ISO_Lb1ESQ_SR_ST_SU_SY_EESZ_S10_S11_S12_S16_S17_S18_S1B_S1C_jS1D_jS1E_S1E_jjS1G_bEUljE0_EEESZ_S10_S11_S18_S1C_S1E_T6_T7_T9_mT8_S1G_bDpT10_ENKUlT_T0_E_clISt17integral_constantIbLb0EES1U_EEDaS1P_S1Q_EUlS1P_E_NS1_11comp_targetILNS1_3genE5ELNS1_11target_archE942ELNS1_3gpuE9ELNS1_3repE0EEENS1_30default_config_static_selectorELNS0_4arch9wavefront6targetE0EEEvS12_.private_seg_size, 0
	.set _ZN7rocprim17ROCPRIM_400000_NS6detail17trampoline_kernelINS0_13select_configILj256ELj13ELNS0_17block_load_methodE3ELS4_3ELS4_3ELNS0_20block_scan_algorithmE0ELj4294967295EEENS1_25partition_config_selectorILNS1_17partition_subalgoE4EjNS0_10empty_typeEbEEZZNS1_14partition_implILS8_4ELb0ES6_15HIP_vector_typeIjLj2EENS0_17counting_iteratorIjlEEPS9_SG_NS0_5tupleIJPjSI_NS0_16reverse_iteratorISI_EEEEENSH_IJSG_SG_SG_EEES9_SI_JZNS1_25segmented_radix_sort_implINS0_14default_configELb1EPKiPiPKlPlN2at6native12_GLOBAL__N_18offset_tEEE10hipError_tPvRmT1_PNSt15iterator_traitsIS12_E10value_typeET2_T3_PNS13_IS18_E10value_typeET4_jRbjT5_S1E_jjP12ihipStream_tbEUljE_ZNSN_ISO_Lb1ESQ_SR_ST_SU_SY_EESZ_S10_S11_S12_S16_S17_S18_S1B_S1C_jS1D_jS1E_S1E_jjS1G_bEUljE0_EEESZ_S10_S11_S18_S1C_S1E_T6_T7_T9_mT8_S1G_bDpT10_ENKUlT_T0_E_clISt17integral_constantIbLb0EES1U_EEDaS1P_S1Q_EUlS1P_E_NS1_11comp_targetILNS1_3genE5ELNS1_11target_archE942ELNS1_3gpuE9ELNS1_3repE0EEENS1_30default_config_static_selectorELNS0_4arch9wavefront6targetE0EEEvS12_.uses_vcc, 0
	.set _ZN7rocprim17ROCPRIM_400000_NS6detail17trampoline_kernelINS0_13select_configILj256ELj13ELNS0_17block_load_methodE3ELS4_3ELS4_3ELNS0_20block_scan_algorithmE0ELj4294967295EEENS1_25partition_config_selectorILNS1_17partition_subalgoE4EjNS0_10empty_typeEbEEZZNS1_14partition_implILS8_4ELb0ES6_15HIP_vector_typeIjLj2EENS0_17counting_iteratorIjlEEPS9_SG_NS0_5tupleIJPjSI_NS0_16reverse_iteratorISI_EEEEENSH_IJSG_SG_SG_EEES9_SI_JZNS1_25segmented_radix_sort_implINS0_14default_configELb1EPKiPiPKlPlN2at6native12_GLOBAL__N_18offset_tEEE10hipError_tPvRmT1_PNSt15iterator_traitsIS12_E10value_typeET2_T3_PNS13_IS18_E10value_typeET4_jRbjT5_S1E_jjP12ihipStream_tbEUljE_ZNSN_ISO_Lb1ESQ_SR_ST_SU_SY_EESZ_S10_S11_S12_S16_S17_S18_S1B_S1C_jS1D_jS1E_S1E_jjS1G_bEUljE0_EEESZ_S10_S11_S18_S1C_S1E_T6_T7_T9_mT8_S1G_bDpT10_ENKUlT_T0_E_clISt17integral_constantIbLb0EES1U_EEDaS1P_S1Q_EUlS1P_E_NS1_11comp_targetILNS1_3genE5ELNS1_11target_archE942ELNS1_3gpuE9ELNS1_3repE0EEENS1_30default_config_static_selectorELNS0_4arch9wavefront6targetE0EEEvS12_.uses_flat_scratch, 0
	.set _ZN7rocprim17ROCPRIM_400000_NS6detail17trampoline_kernelINS0_13select_configILj256ELj13ELNS0_17block_load_methodE3ELS4_3ELS4_3ELNS0_20block_scan_algorithmE0ELj4294967295EEENS1_25partition_config_selectorILNS1_17partition_subalgoE4EjNS0_10empty_typeEbEEZZNS1_14partition_implILS8_4ELb0ES6_15HIP_vector_typeIjLj2EENS0_17counting_iteratorIjlEEPS9_SG_NS0_5tupleIJPjSI_NS0_16reverse_iteratorISI_EEEEENSH_IJSG_SG_SG_EEES9_SI_JZNS1_25segmented_radix_sort_implINS0_14default_configELb1EPKiPiPKlPlN2at6native12_GLOBAL__N_18offset_tEEE10hipError_tPvRmT1_PNSt15iterator_traitsIS12_E10value_typeET2_T3_PNS13_IS18_E10value_typeET4_jRbjT5_S1E_jjP12ihipStream_tbEUljE_ZNSN_ISO_Lb1ESQ_SR_ST_SU_SY_EESZ_S10_S11_S12_S16_S17_S18_S1B_S1C_jS1D_jS1E_S1E_jjS1G_bEUljE0_EEESZ_S10_S11_S18_S1C_S1E_T6_T7_T9_mT8_S1G_bDpT10_ENKUlT_T0_E_clISt17integral_constantIbLb0EES1U_EEDaS1P_S1Q_EUlS1P_E_NS1_11comp_targetILNS1_3genE5ELNS1_11target_archE942ELNS1_3gpuE9ELNS1_3repE0EEENS1_30default_config_static_selectorELNS0_4arch9wavefront6targetE0EEEvS12_.has_dyn_sized_stack, 0
	.set _ZN7rocprim17ROCPRIM_400000_NS6detail17trampoline_kernelINS0_13select_configILj256ELj13ELNS0_17block_load_methodE3ELS4_3ELS4_3ELNS0_20block_scan_algorithmE0ELj4294967295EEENS1_25partition_config_selectorILNS1_17partition_subalgoE4EjNS0_10empty_typeEbEEZZNS1_14partition_implILS8_4ELb0ES6_15HIP_vector_typeIjLj2EENS0_17counting_iteratorIjlEEPS9_SG_NS0_5tupleIJPjSI_NS0_16reverse_iteratorISI_EEEEENSH_IJSG_SG_SG_EEES9_SI_JZNS1_25segmented_radix_sort_implINS0_14default_configELb1EPKiPiPKlPlN2at6native12_GLOBAL__N_18offset_tEEE10hipError_tPvRmT1_PNSt15iterator_traitsIS12_E10value_typeET2_T3_PNS13_IS18_E10value_typeET4_jRbjT5_S1E_jjP12ihipStream_tbEUljE_ZNSN_ISO_Lb1ESQ_SR_ST_SU_SY_EESZ_S10_S11_S12_S16_S17_S18_S1B_S1C_jS1D_jS1E_S1E_jjS1G_bEUljE0_EEESZ_S10_S11_S18_S1C_S1E_T6_T7_T9_mT8_S1G_bDpT10_ENKUlT_T0_E_clISt17integral_constantIbLb0EES1U_EEDaS1P_S1Q_EUlS1P_E_NS1_11comp_targetILNS1_3genE5ELNS1_11target_archE942ELNS1_3gpuE9ELNS1_3repE0EEENS1_30default_config_static_selectorELNS0_4arch9wavefront6targetE0EEEvS12_.has_recursion, 0
	.set _ZN7rocprim17ROCPRIM_400000_NS6detail17trampoline_kernelINS0_13select_configILj256ELj13ELNS0_17block_load_methodE3ELS4_3ELS4_3ELNS0_20block_scan_algorithmE0ELj4294967295EEENS1_25partition_config_selectorILNS1_17partition_subalgoE4EjNS0_10empty_typeEbEEZZNS1_14partition_implILS8_4ELb0ES6_15HIP_vector_typeIjLj2EENS0_17counting_iteratorIjlEEPS9_SG_NS0_5tupleIJPjSI_NS0_16reverse_iteratorISI_EEEEENSH_IJSG_SG_SG_EEES9_SI_JZNS1_25segmented_radix_sort_implINS0_14default_configELb1EPKiPiPKlPlN2at6native12_GLOBAL__N_18offset_tEEE10hipError_tPvRmT1_PNSt15iterator_traitsIS12_E10value_typeET2_T3_PNS13_IS18_E10value_typeET4_jRbjT5_S1E_jjP12ihipStream_tbEUljE_ZNSN_ISO_Lb1ESQ_SR_ST_SU_SY_EESZ_S10_S11_S12_S16_S17_S18_S1B_S1C_jS1D_jS1E_S1E_jjS1G_bEUljE0_EEESZ_S10_S11_S18_S1C_S1E_T6_T7_T9_mT8_S1G_bDpT10_ENKUlT_T0_E_clISt17integral_constantIbLb0EES1U_EEDaS1P_S1Q_EUlS1P_E_NS1_11comp_targetILNS1_3genE5ELNS1_11target_archE942ELNS1_3gpuE9ELNS1_3repE0EEENS1_30default_config_static_selectorELNS0_4arch9wavefront6targetE0EEEvS12_.has_indirect_call, 0
	.section	.AMDGPU.csdata,"",@progbits
; Kernel info:
; codeLenInByte = 0
; TotalNumSgprs: 0
; NumVgprs: 0
; ScratchSize: 0
; MemoryBound: 0
; FloatMode: 240
; IeeeMode: 1
; LDSByteSize: 0 bytes/workgroup (compile time only)
; SGPRBlocks: 0
; VGPRBlocks: 0
; NumSGPRsForWavesPerEU: 1
; NumVGPRsForWavesPerEU: 1
; NamedBarCnt: 0
; Occupancy: 16
; WaveLimiterHint : 0
; COMPUTE_PGM_RSRC2:SCRATCH_EN: 0
; COMPUTE_PGM_RSRC2:USER_SGPR: 2
; COMPUTE_PGM_RSRC2:TRAP_HANDLER: 0
; COMPUTE_PGM_RSRC2:TGID_X_EN: 1
; COMPUTE_PGM_RSRC2:TGID_Y_EN: 0
; COMPUTE_PGM_RSRC2:TGID_Z_EN: 0
; COMPUTE_PGM_RSRC2:TIDIG_COMP_CNT: 0
	.section	.text._ZN7rocprim17ROCPRIM_400000_NS6detail17trampoline_kernelINS0_13select_configILj256ELj13ELNS0_17block_load_methodE3ELS4_3ELS4_3ELNS0_20block_scan_algorithmE0ELj4294967295EEENS1_25partition_config_selectorILNS1_17partition_subalgoE4EjNS0_10empty_typeEbEEZZNS1_14partition_implILS8_4ELb0ES6_15HIP_vector_typeIjLj2EENS0_17counting_iteratorIjlEEPS9_SG_NS0_5tupleIJPjSI_NS0_16reverse_iteratorISI_EEEEENSH_IJSG_SG_SG_EEES9_SI_JZNS1_25segmented_radix_sort_implINS0_14default_configELb1EPKiPiPKlPlN2at6native12_GLOBAL__N_18offset_tEEE10hipError_tPvRmT1_PNSt15iterator_traitsIS12_E10value_typeET2_T3_PNS13_IS18_E10value_typeET4_jRbjT5_S1E_jjP12ihipStream_tbEUljE_ZNSN_ISO_Lb1ESQ_SR_ST_SU_SY_EESZ_S10_S11_S12_S16_S17_S18_S1B_S1C_jS1D_jS1E_S1E_jjS1G_bEUljE0_EEESZ_S10_S11_S18_S1C_S1E_T6_T7_T9_mT8_S1G_bDpT10_ENKUlT_T0_E_clISt17integral_constantIbLb0EES1U_EEDaS1P_S1Q_EUlS1P_E_NS1_11comp_targetILNS1_3genE4ELNS1_11target_archE910ELNS1_3gpuE8ELNS1_3repE0EEENS1_30default_config_static_selectorELNS0_4arch9wavefront6targetE0EEEvS12_,"axG",@progbits,_ZN7rocprim17ROCPRIM_400000_NS6detail17trampoline_kernelINS0_13select_configILj256ELj13ELNS0_17block_load_methodE3ELS4_3ELS4_3ELNS0_20block_scan_algorithmE0ELj4294967295EEENS1_25partition_config_selectorILNS1_17partition_subalgoE4EjNS0_10empty_typeEbEEZZNS1_14partition_implILS8_4ELb0ES6_15HIP_vector_typeIjLj2EENS0_17counting_iteratorIjlEEPS9_SG_NS0_5tupleIJPjSI_NS0_16reverse_iteratorISI_EEEEENSH_IJSG_SG_SG_EEES9_SI_JZNS1_25segmented_radix_sort_implINS0_14default_configELb1EPKiPiPKlPlN2at6native12_GLOBAL__N_18offset_tEEE10hipError_tPvRmT1_PNSt15iterator_traitsIS12_E10value_typeET2_T3_PNS13_IS18_E10value_typeET4_jRbjT5_S1E_jjP12ihipStream_tbEUljE_ZNSN_ISO_Lb1ESQ_SR_ST_SU_SY_EESZ_S10_S11_S12_S16_S17_S18_S1B_S1C_jS1D_jS1E_S1E_jjS1G_bEUljE0_EEESZ_S10_S11_S18_S1C_S1E_T6_T7_T9_mT8_S1G_bDpT10_ENKUlT_T0_E_clISt17integral_constantIbLb0EES1U_EEDaS1P_S1Q_EUlS1P_E_NS1_11comp_targetILNS1_3genE4ELNS1_11target_archE910ELNS1_3gpuE8ELNS1_3repE0EEENS1_30default_config_static_selectorELNS0_4arch9wavefront6targetE0EEEvS12_,comdat
	.globl	_ZN7rocprim17ROCPRIM_400000_NS6detail17trampoline_kernelINS0_13select_configILj256ELj13ELNS0_17block_load_methodE3ELS4_3ELS4_3ELNS0_20block_scan_algorithmE0ELj4294967295EEENS1_25partition_config_selectorILNS1_17partition_subalgoE4EjNS0_10empty_typeEbEEZZNS1_14partition_implILS8_4ELb0ES6_15HIP_vector_typeIjLj2EENS0_17counting_iteratorIjlEEPS9_SG_NS0_5tupleIJPjSI_NS0_16reverse_iteratorISI_EEEEENSH_IJSG_SG_SG_EEES9_SI_JZNS1_25segmented_radix_sort_implINS0_14default_configELb1EPKiPiPKlPlN2at6native12_GLOBAL__N_18offset_tEEE10hipError_tPvRmT1_PNSt15iterator_traitsIS12_E10value_typeET2_T3_PNS13_IS18_E10value_typeET4_jRbjT5_S1E_jjP12ihipStream_tbEUljE_ZNSN_ISO_Lb1ESQ_SR_ST_SU_SY_EESZ_S10_S11_S12_S16_S17_S18_S1B_S1C_jS1D_jS1E_S1E_jjS1G_bEUljE0_EEESZ_S10_S11_S18_S1C_S1E_T6_T7_T9_mT8_S1G_bDpT10_ENKUlT_T0_E_clISt17integral_constantIbLb0EES1U_EEDaS1P_S1Q_EUlS1P_E_NS1_11comp_targetILNS1_3genE4ELNS1_11target_archE910ELNS1_3gpuE8ELNS1_3repE0EEENS1_30default_config_static_selectorELNS0_4arch9wavefront6targetE0EEEvS12_ ; -- Begin function _ZN7rocprim17ROCPRIM_400000_NS6detail17trampoline_kernelINS0_13select_configILj256ELj13ELNS0_17block_load_methodE3ELS4_3ELS4_3ELNS0_20block_scan_algorithmE0ELj4294967295EEENS1_25partition_config_selectorILNS1_17partition_subalgoE4EjNS0_10empty_typeEbEEZZNS1_14partition_implILS8_4ELb0ES6_15HIP_vector_typeIjLj2EENS0_17counting_iteratorIjlEEPS9_SG_NS0_5tupleIJPjSI_NS0_16reverse_iteratorISI_EEEEENSH_IJSG_SG_SG_EEES9_SI_JZNS1_25segmented_radix_sort_implINS0_14default_configELb1EPKiPiPKlPlN2at6native12_GLOBAL__N_18offset_tEEE10hipError_tPvRmT1_PNSt15iterator_traitsIS12_E10value_typeET2_T3_PNS13_IS18_E10value_typeET4_jRbjT5_S1E_jjP12ihipStream_tbEUljE_ZNSN_ISO_Lb1ESQ_SR_ST_SU_SY_EESZ_S10_S11_S12_S16_S17_S18_S1B_S1C_jS1D_jS1E_S1E_jjS1G_bEUljE0_EEESZ_S10_S11_S18_S1C_S1E_T6_T7_T9_mT8_S1G_bDpT10_ENKUlT_T0_E_clISt17integral_constantIbLb0EES1U_EEDaS1P_S1Q_EUlS1P_E_NS1_11comp_targetILNS1_3genE4ELNS1_11target_archE910ELNS1_3gpuE8ELNS1_3repE0EEENS1_30default_config_static_selectorELNS0_4arch9wavefront6targetE0EEEvS12_
	.p2align	8
	.type	_ZN7rocprim17ROCPRIM_400000_NS6detail17trampoline_kernelINS0_13select_configILj256ELj13ELNS0_17block_load_methodE3ELS4_3ELS4_3ELNS0_20block_scan_algorithmE0ELj4294967295EEENS1_25partition_config_selectorILNS1_17partition_subalgoE4EjNS0_10empty_typeEbEEZZNS1_14partition_implILS8_4ELb0ES6_15HIP_vector_typeIjLj2EENS0_17counting_iteratorIjlEEPS9_SG_NS0_5tupleIJPjSI_NS0_16reverse_iteratorISI_EEEEENSH_IJSG_SG_SG_EEES9_SI_JZNS1_25segmented_radix_sort_implINS0_14default_configELb1EPKiPiPKlPlN2at6native12_GLOBAL__N_18offset_tEEE10hipError_tPvRmT1_PNSt15iterator_traitsIS12_E10value_typeET2_T3_PNS13_IS18_E10value_typeET4_jRbjT5_S1E_jjP12ihipStream_tbEUljE_ZNSN_ISO_Lb1ESQ_SR_ST_SU_SY_EESZ_S10_S11_S12_S16_S17_S18_S1B_S1C_jS1D_jS1E_S1E_jjS1G_bEUljE0_EEESZ_S10_S11_S18_S1C_S1E_T6_T7_T9_mT8_S1G_bDpT10_ENKUlT_T0_E_clISt17integral_constantIbLb0EES1U_EEDaS1P_S1Q_EUlS1P_E_NS1_11comp_targetILNS1_3genE4ELNS1_11target_archE910ELNS1_3gpuE8ELNS1_3repE0EEENS1_30default_config_static_selectorELNS0_4arch9wavefront6targetE0EEEvS12_,@function
_ZN7rocprim17ROCPRIM_400000_NS6detail17trampoline_kernelINS0_13select_configILj256ELj13ELNS0_17block_load_methodE3ELS4_3ELS4_3ELNS0_20block_scan_algorithmE0ELj4294967295EEENS1_25partition_config_selectorILNS1_17partition_subalgoE4EjNS0_10empty_typeEbEEZZNS1_14partition_implILS8_4ELb0ES6_15HIP_vector_typeIjLj2EENS0_17counting_iteratorIjlEEPS9_SG_NS0_5tupleIJPjSI_NS0_16reverse_iteratorISI_EEEEENSH_IJSG_SG_SG_EEES9_SI_JZNS1_25segmented_radix_sort_implINS0_14default_configELb1EPKiPiPKlPlN2at6native12_GLOBAL__N_18offset_tEEE10hipError_tPvRmT1_PNSt15iterator_traitsIS12_E10value_typeET2_T3_PNS13_IS18_E10value_typeET4_jRbjT5_S1E_jjP12ihipStream_tbEUljE_ZNSN_ISO_Lb1ESQ_SR_ST_SU_SY_EESZ_S10_S11_S12_S16_S17_S18_S1B_S1C_jS1D_jS1E_S1E_jjS1G_bEUljE0_EEESZ_S10_S11_S18_S1C_S1E_T6_T7_T9_mT8_S1G_bDpT10_ENKUlT_T0_E_clISt17integral_constantIbLb0EES1U_EEDaS1P_S1Q_EUlS1P_E_NS1_11comp_targetILNS1_3genE4ELNS1_11target_archE910ELNS1_3gpuE8ELNS1_3repE0EEENS1_30default_config_static_selectorELNS0_4arch9wavefront6targetE0EEEvS12_: ; @_ZN7rocprim17ROCPRIM_400000_NS6detail17trampoline_kernelINS0_13select_configILj256ELj13ELNS0_17block_load_methodE3ELS4_3ELS4_3ELNS0_20block_scan_algorithmE0ELj4294967295EEENS1_25partition_config_selectorILNS1_17partition_subalgoE4EjNS0_10empty_typeEbEEZZNS1_14partition_implILS8_4ELb0ES6_15HIP_vector_typeIjLj2EENS0_17counting_iteratorIjlEEPS9_SG_NS0_5tupleIJPjSI_NS0_16reverse_iteratorISI_EEEEENSH_IJSG_SG_SG_EEES9_SI_JZNS1_25segmented_radix_sort_implINS0_14default_configELb1EPKiPiPKlPlN2at6native12_GLOBAL__N_18offset_tEEE10hipError_tPvRmT1_PNSt15iterator_traitsIS12_E10value_typeET2_T3_PNS13_IS18_E10value_typeET4_jRbjT5_S1E_jjP12ihipStream_tbEUljE_ZNSN_ISO_Lb1ESQ_SR_ST_SU_SY_EESZ_S10_S11_S12_S16_S17_S18_S1B_S1C_jS1D_jS1E_S1E_jjS1G_bEUljE0_EEESZ_S10_S11_S18_S1C_S1E_T6_T7_T9_mT8_S1G_bDpT10_ENKUlT_T0_E_clISt17integral_constantIbLb0EES1U_EEDaS1P_S1Q_EUlS1P_E_NS1_11comp_targetILNS1_3genE4ELNS1_11target_archE910ELNS1_3gpuE8ELNS1_3repE0EEENS1_30default_config_static_selectorELNS0_4arch9wavefront6targetE0EEEvS12_
; %bb.0:
	.section	.rodata,"a",@progbits
	.p2align	6, 0x0
	.amdhsa_kernel _ZN7rocprim17ROCPRIM_400000_NS6detail17trampoline_kernelINS0_13select_configILj256ELj13ELNS0_17block_load_methodE3ELS4_3ELS4_3ELNS0_20block_scan_algorithmE0ELj4294967295EEENS1_25partition_config_selectorILNS1_17partition_subalgoE4EjNS0_10empty_typeEbEEZZNS1_14partition_implILS8_4ELb0ES6_15HIP_vector_typeIjLj2EENS0_17counting_iteratorIjlEEPS9_SG_NS0_5tupleIJPjSI_NS0_16reverse_iteratorISI_EEEEENSH_IJSG_SG_SG_EEES9_SI_JZNS1_25segmented_radix_sort_implINS0_14default_configELb1EPKiPiPKlPlN2at6native12_GLOBAL__N_18offset_tEEE10hipError_tPvRmT1_PNSt15iterator_traitsIS12_E10value_typeET2_T3_PNS13_IS18_E10value_typeET4_jRbjT5_S1E_jjP12ihipStream_tbEUljE_ZNSN_ISO_Lb1ESQ_SR_ST_SU_SY_EESZ_S10_S11_S12_S16_S17_S18_S1B_S1C_jS1D_jS1E_S1E_jjS1G_bEUljE0_EEESZ_S10_S11_S18_S1C_S1E_T6_T7_T9_mT8_S1G_bDpT10_ENKUlT_T0_E_clISt17integral_constantIbLb0EES1U_EEDaS1P_S1Q_EUlS1P_E_NS1_11comp_targetILNS1_3genE4ELNS1_11target_archE910ELNS1_3gpuE8ELNS1_3repE0EEENS1_30default_config_static_selectorELNS0_4arch9wavefront6targetE0EEEvS12_
		.amdhsa_group_segment_fixed_size 0
		.amdhsa_private_segment_fixed_size 0
		.amdhsa_kernarg_size 176
		.amdhsa_user_sgpr_count 2
		.amdhsa_user_sgpr_dispatch_ptr 0
		.amdhsa_user_sgpr_queue_ptr 0
		.amdhsa_user_sgpr_kernarg_segment_ptr 1
		.amdhsa_user_sgpr_dispatch_id 0
		.amdhsa_user_sgpr_kernarg_preload_length 0
		.amdhsa_user_sgpr_kernarg_preload_offset 0
		.amdhsa_user_sgpr_private_segment_size 0
		.amdhsa_wavefront_size32 1
		.amdhsa_uses_dynamic_stack 0
		.amdhsa_enable_private_segment 0
		.amdhsa_system_sgpr_workgroup_id_x 1
		.amdhsa_system_sgpr_workgroup_id_y 0
		.amdhsa_system_sgpr_workgroup_id_z 0
		.amdhsa_system_sgpr_workgroup_info 0
		.amdhsa_system_vgpr_workitem_id 0
		.amdhsa_next_free_vgpr 1
		.amdhsa_next_free_sgpr 1
		.amdhsa_named_barrier_count 0
		.amdhsa_reserve_vcc 0
		.amdhsa_float_round_mode_32 0
		.amdhsa_float_round_mode_16_64 0
		.amdhsa_float_denorm_mode_32 3
		.amdhsa_float_denorm_mode_16_64 3
		.amdhsa_fp16_overflow 0
		.amdhsa_memory_ordered 1
		.amdhsa_forward_progress 1
		.amdhsa_inst_pref_size 0
		.amdhsa_round_robin_scheduling 0
		.amdhsa_exception_fp_ieee_invalid_op 0
		.amdhsa_exception_fp_denorm_src 0
		.amdhsa_exception_fp_ieee_div_zero 0
		.amdhsa_exception_fp_ieee_overflow 0
		.amdhsa_exception_fp_ieee_underflow 0
		.amdhsa_exception_fp_ieee_inexact 0
		.amdhsa_exception_int_div_zero 0
	.end_amdhsa_kernel
	.section	.text._ZN7rocprim17ROCPRIM_400000_NS6detail17trampoline_kernelINS0_13select_configILj256ELj13ELNS0_17block_load_methodE3ELS4_3ELS4_3ELNS0_20block_scan_algorithmE0ELj4294967295EEENS1_25partition_config_selectorILNS1_17partition_subalgoE4EjNS0_10empty_typeEbEEZZNS1_14partition_implILS8_4ELb0ES6_15HIP_vector_typeIjLj2EENS0_17counting_iteratorIjlEEPS9_SG_NS0_5tupleIJPjSI_NS0_16reverse_iteratorISI_EEEEENSH_IJSG_SG_SG_EEES9_SI_JZNS1_25segmented_radix_sort_implINS0_14default_configELb1EPKiPiPKlPlN2at6native12_GLOBAL__N_18offset_tEEE10hipError_tPvRmT1_PNSt15iterator_traitsIS12_E10value_typeET2_T3_PNS13_IS18_E10value_typeET4_jRbjT5_S1E_jjP12ihipStream_tbEUljE_ZNSN_ISO_Lb1ESQ_SR_ST_SU_SY_EESZ_S10_S11_S12_S16_S17_S18_S1B_S1C_jS1D_jS1E_S1E_jjS1G_bEUljE0_EEESZ_S10_S11_S18_S1C_S1E_T6_T7_T9_mT8_S1G_bDpT10_ENKUlT_T0_E_clISt17integral_constantIbLb0EES1U_EEDaS1P_S1Q_EUlS1P_E_NS1_11comp_targetILNS1_3genE4ELNS1_11target_archE910ELNS1_3gpuE8ELNS1_3repE0EEENS1_30default_config_static_selectorELNS0_4arch9wavefront6targetE0EEEvS12_,"axG",@progbits,_ZN7rocprim17ROCPRIM_400000_NS6detail17trampoline_kernelINS0_13select_configILj256ELj13ELNS0_17block_load_methodE3ELS4_3ELS4_3ELNS0_20block_scan_algorithmE0ELj4294967295EEENS1_25partition_config_selectorILNS1_17partition_subalgoE4EjNS0_10empty_typeEbEEZZNS1_14partition_implILS8_4ELb0ES6_15HIP_vector_typeIjLj2EENS0_17counting_iteratorIjlEEPS9_SG_NS0_5tupleIJPjSI_NS0_16reverse_iteratorISI_EEEEENSH_IJSG_SG_SG_EEES9_SI_JZNS1_25segmented_radix_sort_implINS0_14default_configELb1EPKiPiPKlPlN2at6native12_GLOBAL__N_18offset_tEEE10hipError_tPvRmT1_PNSt15iterator_traitsIS12_E10value_typeET2_T3_PNS13_IS18_E10value_typeET4_jRbjT5_S1E_jjP12ihipStream_tbEUljE_ZNSN_ISO_Lb1ESQ_SR_ST_SU_SY_EESZ_S10_S11_S12_S16_S17_S18_S1B_S1C_jS1D_jS1E_S1E_jjS1G_bEUljE0_EEESZ_S10_S11_S18_S1C_S1E_T6_T7_T9_mT8_S1G_bDpT10_ENKUlT_T0_E_clISt17integral_constantIbLb0EES1U_EEDaS1P_S1Q_EUlS1P_E_NS1_11comp_targetILNS1_3genE4ELNS1_11target_archE910ELNS1_3gpuE8ELNS1_3repE0EEENS1_30default_config_static_selectorELNS0_4arch9wavefront6targetE0EEEvS12_,comdat
.Lfunc_end431:
	.size	_ZN7rocprim17ROCPRIM_400000_NS6detail17trampoline_kernelINS0_13select_configILj256ELj13ELNS0_17block_load_methodE3ELS4_3ELS4_3ELNS0_20block_scan_algorithmE0ELj4294967295EEENS1_25partition_config_selectorILNS1_17partition_subalgoE4EjNS0_10empty_typeEbEEZZNS1_14partition_implILS8_4ELb0ES6_15HIP_vector_typeIjLj2EENS0_17counting_iteratorIjlEEPS9_SG_NS0_5tupleIJPjSI_NS0_16reverse_iteratorISI_EEEEENSH_IJSG_SG_SG_EEES9_SI_JZNS1_25segmented_radix_sort_implINS0_14default_configELb1EPKiPiPKlPlN2at6native12_GLOBAL__N_18offset_tEEE10hipError_tPvRmT1_PNSt15iterator_traitsIS12_E10value_typeET2_T3_PNS13_IS18_E10value_typeET4_jRbjT5_S1E_jjP12ihipStream_tbEUljE_ZNSN_ISO_Lb1ESQ_SR_ST_SU_SY_EESZ_S10_S11_S12_S16_S17_S18_S1B_S1C_jS1D_jS1E_S1E_jjS1G_bEUljE0_EEESZ_S10_S11_S18_S1C_S1E_T6_T7_T9_mT8_S1G_bDpT10_ENKUlT_T0_E_clISt17integral_constantIbLb0EES1U_EEDaS1P_S1Q_EUlS1P_E_NS1_11comp_targetILNS1_3genE4ELNS1_11target_archE910ELNS1_3gpuE8ELNS1_3repE0EEENS1_30default_config_static_selectorELNS0_4arch9wavefront6targetE0EEEvS12_, .Lfunc_end431-_ZN7rocprim17ROCPRIM_400000_NS6detail17trampoline_kernelINS0_13select_configILj256ELj13ELNS0_17block_load_methodE3ELS4_3ELS4_3ELNS0_20block_scan_algorithmE0ELj4294967295EEENS1_25partition_config_selectorILNS1_17partition_subalgoE4EjNS0_10empty_typeEbEEZZNS1_14partition_implILS8_4ELb0ES6_15HIP_vector_typeIjLj2EENS0_17counting_iteratorIjlEEPS9_SG_NS0_5tupleIJPjSI_NS0_16reverse_iteratorISI_EEEEENSH_IJSG_SG_SG_EEES9_SI_JZNS1_25segmented_radix_sort_implINS0_14default_configELb1EPKiPiPKlPlN2at6native12_GLOBAL__N_18offset_tEEE10hipError_tPvRmT1_PNSt15iterator_traitsIS12_E10value_typeET2_T3_PNS13_IS18_E10value_typeET4_jRbjT5_S1E_jjP12ihipStream_tbEUljE_ZNSN_ISO_Lb1ESQ_SR_ST_SU_SY_EESZ_S10_S11_S12_S16_S17_S18_S1B_S1C_jS1D_jS1E_S1E_jjS1G_bEUljE0_EEESZ_S10_S11_S18_S1C_S1E_T6_T7_T9_mT8_S1G_bDpT10_ENKUlT_T0_E_clISt17integral_constantIbLb0EES1U_EEDaS1P_S1Q_EUlS1P_E_NS1_11comp_targetILNS1_3genE4ELNS1_11target_archE910ELNS1_3gpuE8ELNS1_3repE0EEENS1_30default_config_static_selectorELNS0_4arch9wavefront6targetE0EEEvS12_
                                        ; -- End function
	.set _ZN7rocprim17ROCPRIM_400000_NS6detail17trampoline_kernelINS0_13select_configILj256ELj13ELNS0_17block_load_methodE3ELS4_3ELS4_3ELNS0_20block_scan_algorithmE0ELj4294967295EEENS1_25partition_config_selectorILNS1_17partition_subalgoE4EjNS0_10empty_typeEbEEZZNS1_14partition_implILS8_4ELb0ES6_15HIP_vector_typeIjLj2EENS0_17counting_iteratorIjlEEPS9_SG_NS0_5tupleIJPjSI_NS0_16reverse_iteratorISI_EEEEENSH_IJSG_SG_SG_EEES9_SI_JZNS1_25segmented_radix_sort_implINS0_14default_configELb1EPKiPiPKlPlN2at6native12_GLOBAL__N_18offset_tEEE10hipError_tPvRmT1_PNSt15iterator_traitsIS12_E10value_typeET2_T3_PNS13_IS18_E10value_typeET4_jRbjT5_S1E_jjP12ihipStream_tbEUljE_ZNSN_ISO_Lb1ESQ_SR_ST_SU_SY_EESZ_S10_S11_S12_S16_S17_S18_S1B_S1C_jS1D_jS1E_S1E_jjS1G_bEUljE0_EEESZ_S10_S11_S18_S1C_S1E_T6_T7_T9_mT8_S1G_bDpT10_ENKUlT_T0_E_clISt17integral_constantIbLb0EES1U_EEDaS1P_S1Q_EUlS1P_E_NS1_11comp_targetILNS1_3genE4ELNS1_11target_archE910ELNS1_3gpuE8ELNS1_3repE0EEENS1_30default_config_static_selectorELNS0_4arch9wavefront6targetE0EEEvS12_.num_vgpr, 0
	.set _ZN7rocprim17ROCPRIM_400000_NS6detail17trampoline_kernelINS0_13select_configILj256ELj13ELNS0_17block_load_methodE3ELS4_3ELS4_3ELNS0_20block_scan_algorithmE0ELj4294967295EEENS1_25partition_config_selectorILNS1_17partition_subalgoE4EjNS0_10empty_typeEbEEZZNS1_14partition_implILS8_4ELb0ES6_15HIP_vector_typeIjLj2EENS0_17counting_iteratorIjlEEPS9_SG_NS0_5tupleIJPjSI_NS0_16reverse_iteratorISI_EEEEENSH_IJSG_SG_SG_EEES9_SI_JZNS1_25segmented_radix_sort_implINS0_14default_configELb1EPKiPiPKlPlN2at6native12_GLOBAL__N_18offset_tEEE10hipError_tPvRmT1_PNSt15iterator_traitsIS12_E10value_typeET2_T3_PNS13_IS18_E10value_typeET4_jRbjT5_S1E_jjP12ihipStream_tbEUljE_ZNSN_ISO_Lb1ESQ_SR_ST_SU_SY_EESZ_S10_S11_S12_S16_S17_S18_S1B_S1C_jS1D_jS1E_S1E_jjS1G_bEUljE0_EEESZ_S10_S11_S18_S1C_S1E_T6_T7_T9_mT8_S1G_bDpT10_ENKUlT_T0_E_clISt17integral_constantIbLb0EES1U_EEDaS1P_S1Q_EUlS1P_E_NS1_11comp_targetILNS1_3genE4ELNS1_11target_archE910ELNS1_3gpuE8ELNS1_3repE0EEENS1_30default_config_static_selectorELNS0_4arch9wavefront6targetE0EEEvS12_.num_agpr, 0
	.set _ZN7rocprim17ROCPRIM_400000_NS6detail17trampoline_kernelINS0_13select_configILj256ELj13ELNS0_17block_load_methodE3ELS4_3ELS4_3ELNS0_20block_scan_algorithmE0ELj4294967295EEENS1_25partition_config_selectorILNS1_17partition_subalgoE4EjNS0_10empty_typeEbEEZZNS1_14partition_implILS8_4ELb0ES6_15HIP_vector_typeIjLj2EENS0_17counting_iteratorIjlEEPS9_SG_NS0_5tupleIJPjSI_NS0_16reverse_iteratorISI_EEEEENSH_IJSG_SG_SG_EEES9_SI_JZNS1_25segmented_radix_sort_implINS0_14default_configELb1EPKiPiPKlPlN2at6native12_GLOBAL__N_18offset_tEEE10hipError_tPvRmT1_PNSt15iterator_traitsIS12_E10value_typeET2_T3_PNS13_IS18_E10value_typeET4_jRbjT5_S1E_jjP12ihipStream_tbEUljE_ZNSN_ISO_Lb1ESQ_SR_ST_SU_SY_EESZ_S10_S11_S12_S16_S17_S18_S1B_S1C_jS1D_jS1E_S1E_jjS1G_bEUljE0_EEESZ_S10_S11_S18_S1C_S1E_T6_T7_T9_mT8_S1G_bDpT10_ENKUlT_T0_E_clISt17integral_constantIbLb0EES1U_EEDaS1P_S1Q_EUlS1P_E_NS1_11comp_targetILNS1_3genE4ELNS1_11target_archE910ELNS1_3gpuE8ELNS1_3repE0EEENS1_30default_config_static_selectorELNS0_4arch9wavefront6targetE0EEEvS12_.numbered_sgpr, 0
	.set _ZN7rocprim17ROCPRIM_400000_NS6detail17trampoline_kernelINS0_13select_configILj256ELj13ELNS0_17block_load_methodE3ELS4_3ELS4_3ELNS0_20block_scan_algorithmE0ELj4294967295EEENS1_25partition_config_selectorILNS1_17partition_subalgoE4EjNS0_10empty_typeEbEEZZNS1_14partition_implILS8_4ELb0ES6_15HIP_vector_typeIjLj2EENS0_17counting_iteratorIjlEEPS9_SG_NS0_5tupleIJPjSI_NS0_16reverse_iteratorISI_EEEEENSH_IJSG_SG_SG_EEES9_SI_JZNS1_25segmented_radix_sort_implINS0_14default_configELb1EPKiPiPKlPlN2at6native12_GLOBAL__N_18offset_tEEE10hipError_tPvRmT1_PNSt15iterator_traitsIS12_E10value_typeET2_T3_PNS13_IS18_E10value_typeET4_jRbjT5_S1E_jjP12ihipStream_tbEUljE_ZNSN_ISO_Lb1ESQ_SR_ST_SU_SY_EESZ_S10_S11_S12_S16_S17_S18_S1B_S1C_jS1D_jS1E_S1E_jjS1G_bEUljE0_EEESZ_S10_S11_S18_S1C_S1E_T6_T7_T9_mT8_S1G_bDpT10_ENKUlT_T0_E_clISt17integral_constantIbLb0EES1U_EEDaS1P_S1Q_EUlS1P_E_NS1_11comp_targetILNS1_3genE4ELNS1_11target_archE910ELNS1_3gpuE8ELNS1_3repE0EEENS1_30default_config_static_selectorELNS0_4arch9wavefront6targetE0EEEvS12_.num_named_barrier, 0
	.set _ZN7rocprim17ROCPRIM_400000_NS6detail17trampoline_kernelINS0_13select_configILj256ELj13ELNS0_17block_load_methodE3ELS4_3ELS4_3ELNS0_20block_scan_algorithmE0ELj4294967295EEENS1_25partition_config_selectorILNS1_17partition_subalgoE4EjNS0_10empty_typeEbEEZZNS1_14partition_implILS8_4ELb0ES6_15HIP_vector_typeIjLj2EENS0_17counting_iteratorIjlEEPS9_SG_NS0_5tupleIJPjSI_NS0_16reverse_iteratorISI_EEEEENSH_IJSG_SG_SG_EEES9_SI_JZNS1_25segmented_radix_sort_implINS0_14default_configELb1EPKiPiPKlPlN2at6native12_GLOBAL__N_18offset_tEEE10hipError_tPvRmT1_PNSt15iterator_traitsIS12_E10value_typeET2_T3_PNS13_IS18_E10value_typeET4_jRbjT5_S1E_jjP12ihipStream_tbEUljE_ZNSN_ISO_Lb1ESQ_SR_ST_SU_SY_EESZ_S10_S11_S12_S16_S17_S18_S1B_S1C_jS1D_jS1E_S1E_jjS1G_bEUljE0_EEESZ_S10_S11_S18_S1C_S1E_T6_T7_T9_mT8_S1G_bDpT10_ENKUlT_T0_E_clISt17integral_constantIbLb0EES1U_EEDaS1P_S1Q_EUlS1P_E_NS1_11comp_targetILNS1_3genE4ELNS1_11target_archE910ELNS1_3gpuE8ELNS1_3repE0EEENS1_30default_config_static_selectorELNS0_4arch9wavefront6targetE0EEEvS12_.private_seg_size, 0
	.set _ZN7rocprim17ROCPRIM_400000_NS6detail17trampoline_kernelINS0_13select_configILj256ELj13ELNS0_17block_load_methodE3ELS4_3ELS4_3ELNS0_20block_scan_algorithmE0ELj4294967295EEENS1_25partition_config_selectorILNS1_17partition_subalgoE4EjNS0_10empty_typeEbEEZZNS1_14partition_implILS8_4ELb0ES6_15HIP_vector_typeIjLj2EENS0_17counting_iteratorIjlEEPS9_SG_NS0_5tupleIJPjSI_NS0_16reverse_iteratorISI_EEEEENSH_IJSG_SG_SG_EEES9_SI_JZNS1_25segmented_radix_sort_implINS0_14default_configELb1EPKiPiPKlPlN2at6native12_GLOBAL__N_18offset_tEEE10hipError_tPvRmT1_PNSt15iterator_traitsIS12_E10value_typeET2_T3_PNS13_IS18_E10value_typeET4_jRbjT5_S1E_jjP12ihipStream_tbEUljE_ZNSN_ISO_Lb1ESQ_SR_ST_SU_SY_EESZ_S10_S11_S12_S16_S17_S18_S1B_S1C_jS1D_jS1E_S1E_jjS1G_bEUljE0_EEESZ_S10_S11_S18_S1C_S1E_T6_T7_T9_mT8_S1G_bDpT10_ENKUlT_T0_E_clISt17integral_constantIbLb0EES1U_EEDaS1P_S1Q_EUlS1P_E_NS1_11comp_targetILNS1_3genE4ELNS1_11target_archE910ELNS1_3gpuE8ELNS1_3repE0EEENS1_30default_config_static_selectorELNS0_4arch9wavefront6targetE0EEEvS12_.uses_vcc, 0
	.set _ZN7rocprim17ROCPRIM_400000_NS6detail17trampoline_kernelINS0_13select_configILj256ELj13ELNS0_17block_load_methodE3ELS4_3ELS4_3ELNS0_20block_scan_algorithmE0ELj4294967295EEENS1_25partition_config_selectorILNS1_17partition_subalgoE4EjNS0_10empty_typeEbEEZZNS1_14partition_implILS8_4ELb0ES6_15HIP_vector_typeIjLj2EENS0_17counting_iteratorIjlEEPS9_SG_NS0_5tupleIJPjSI_NS0_16reverse_iteratorISI_EEEEENSH_IJSG_SG_SG_EEES9_SI_JZNS1_25segmented_radix_sort_implINS0_14default_configELb1EPKiPiPKlPlN2at6native12_GLOBAL__N_18offset_tEEE10hipError_tPvRmT1_PNSt15iterator_traitsIS12_E10value_typeET2_T3_PNS13_IS18_E10value_typeET4_jRbjT5_S1E_jjP12ihipStream_tbEUljE_ZNSN_ISO_Lb1ESQ_SR_ST_SU_SY_EESZ_S10_S11_S12_S16_S17_S18_S1B_S1C_jS1D_jS1E_S1E_jjS1G_bEUljE0_EEESZ_S10_S11_S18_S1C_S1E_T6_T7_T9_mT8_S1G_bDpT10_ENKUlT_T0_E_clISt17integral_constantIbLb0EES1U_EEDaS1P_S1Q_EUlS1P_E_NS1_11comp_targetILNS1_3genE4ELNS1_11target_archE910ELNS1_3gpuE8ELNS1_3repE0EEENS1_30default_config_static_selectorELNS0_4arch9wavefront6targetE0EEEvS12_.uses_flat_scratch, 0
	.set _ZN7rocprim17ROCPRIM_400000_NS6detail17trampoline_kernelINS0_13select_configILj256ELj13ELNS0_17block_load_methodE3ELS4_3ELS4_3ELNS0_20block_scan_algorithmE0ELj4294967295EEENS1_25partition_config_selectorILNS1_17partition_subalgoE4EjNS0_10empty_typeEbEEZZNS1_14partition_implILS8_4ELb0ES6_15HIP_vector_typeIjLj2EENS0_17counting_iteratorIjlEEPS9_SG_NS0_5tupleIJPjSI_NS0_16reverse_iteratorISI_EEEEENSH_IJSG_SG_SG_EEES9_SI_JZNS1_25segmented_radix_sort_implINS0_14default_configELb1EPKiPiPKlPlN2at6native12_GLOBAL__N_18offset_tEEE10hipError_tPvRmT1_PNSt15iterator_traitsIS12_E10value_typeET2_T3_PNS13_IS18_E10value_typeET4_jRbjT5_S1E_jjP12ihipStream_tbEUljE_ZNSN_ISO_Lb1ESQ_SR_ST_SU_SY_EESZ_S10_S11_S12_S16_S17_S18_S1B_S1C_jS1D_jS1E_S1E_jjS1G_bEUljE0_EEESZ_S10_S11_S18_S1C_S1E_T6_T7_T9_mT8_S1G_bDpT10_ENKUlT_T0_E_clISt17integral_constantIbLb0EES1U_EEDaS1P_S1Q_EUlS1P_E_NS1_11comp_targetILNS1_3genE4ELNS1_11target_archE910ELNS1_3gpuE8ELNS1_3repE0EEENS1_30default_config_static_selectorELNS0_4arch9wavefront6targetE0EEEvS12_.has_dyn_sized_stack, 0
	.set _ZN7rocprim17ROCPRIM_400000_NS6detail17trampoline_kernelINS0_13select_configILj256ELj13ELNS0_17block_load_methodE3ELS4_3ELS4_3ELNS0_20block_scan_algorithmE0ELj4294967295EEENS1_25partition_config_selectorILNS1_17partition_subalgoE4EjNS0_10empty_typeEbEEZZNS1_14partition_implILS8_4ELb0ES6_15HIP_vector_typeIjLj2EENS0_17counting_iteratorIjlEEPS9_SG_NS0_5tupleIJPjSI_NS0_16reverse_iteratorISI_EEEEENSH_IJSG_SG_SG_EEES9_SI_JZNS1_25segmented_radix_sort_implINS0_14default_configELb1EPKiPiPKlPlN2at6native12_GLOBAL__N_18offset_tEEE10hipError_tPvRmT1_PNSt15iterator_traitsIS12_E10value_typeET2_T3_PNS13_IS18_E10value_typeET4_jRbjT5_S1E_jjP12ihipStream_tbEUljE_ZNSN_ISO_Lb1ESQ_SR_ST_SU_SY_EESZ_S10_S11_S12_S16_S17_S18_S1B_S1C_jS1D_jS1E_S1E_jjS1G_bEUljE0_EEESZ_S10_S11_S18_S1C_S1E_T6_T7_T9_mT8_S1G_bDpT10_ENKUlT_T0_E_clISt17integral_constantIbLb0EES1U_EEDaS1P_S1Q_EUlS1P_E_NS1_11comp_targetILNS1_3genE4ELNS1_11target_archE910ELNS1_3gpuE8ELNS1_3repE0EEENS1_30default_config_static_selectorELNS0_4arch9wavefront6targetE0EEEvS12_.has_recursion, 0
	.set _ZN7rocprim17ROCPRIM_400000_NS6detail17trampoline_kernelINS0_13select_configILj256ELj13ELNS0_17block_load_methodE3ELS4_3ELS4_3ELNS0_20block_scan_algorithmE0ELj4294967295EEENS1_25partition_config_selectorILNS1_17partition_subalgoE4EjNS0_10empty_typeEbEEZZNS1_14partition_implILS8_4ELb0ES6_15HIP_vector_typeIjLj2EENS0_17counting_iteratorIjlEEPS9_SG_NS0_5tupleIJPjSI_NS0_16reverse_iteratorISI_EEEEENSH_IJSG_SG_SG_EEES9_SI_JZNS1_25segmented_radix_sort_implINS0_14default_configELb1EPKiPiPKlPlN2at6native12_GLOBAL__N_18offset_tEEE10hipError_tPvRmT1_PNSt15iterator_traitsIS12_E10value_typeET2_T3_PNS13_IS18_E10value_typeET4_jRbjT5_S1E_jjP12ihipStream_tbEUljE_ZNSN_ISO_Lb1ESQ_SR_ST_SU_SY_EESZ_S10_S11_S12_S16_S17_S18_S1B_S1C_jS1D_jS1E_S1E_jjS1G_bEUljE0_EEESZ_S10_S11_S18_S1C_S1E_T6_T7_T9_mT8_S1G_bDpT10_ENKUlT_T0_E_clISt17integral_constantIbLb0EES1U_EEDaS1P_S1Q_EUlS1P_E_NS1_11comp_targetILNS1_3genE4ELNS1_11target_archE910ELNS1_3gpuE8ELNS1_3repE0EEENS1_30default_config_static_selectorELNS0_4arch9wavefront6targetE0EEEvS12_.has_indirect_call, 0
	.section	.AMDGPU.csdata,"",@progbits
; Kernel info:
; codeLenInByte = 0
; TotalNumSgprs: 0
; NumVgprs: 0
; ScratchSize: 0
; MemoryBound: 0
; FloatMode: 240
; IeeeMode: 1
; LDSByteSize: 0 bytes/workgroup (compile time only)
; SGPRBlocks: 0
; VGPRBlocks: 0
; NumSGPRsForWavesPerEU: 1
; NumVGPRsForWavesPerEU: 1
; NamedBarCnt: 0
; Occupancy: 16
; WaveLimiterHint : 0
; COMPUTE_PGM_RSRC2:SCRATCH_EN: 0
; COMPUTE_PGM_RSRC2:USER_SGPR: 2
; COMPUTE_PGM_RSRC2:TRAP_HANDLER: 0
; COMPUTE_PGM_RSRC2:TGID_X_EN: 1
; COMPUTE_PGM_RSRC2:TGID_Y_EN: 0
; COMPUTE_PGM_RSRC2:TGID_Z_EN: 0
; COMPUTE_PGM_RSRC2:TIDIG_COMP_CNT: 0
	.section	.text._ZN7rocprim17ROCPRIM_400000_NS6detail17trampoline_kernelINS0_13select_configILj256ELj13ELNS0_17block_load_methodE3ELS4_3ELS4_3ELNS0_20block_scan_algorithmE0ELj4294967295EEENS1_25partition_config_selectorILNS1_17partition_subalgoE4EjNS0_10empty_typeEbEEZZNS1_14partition_implILS8_4ELb0ES6_15HIP_vector_typeIjLj2EENS0_17counting_iteratorIjlEEPS9_SG_NS0_5tupleIJPjSI_NS0_16reverse_iteratorISI_EEEEENSH_IJSG_SG_SG_EEES9_SI_JZNS1_25segmented_radix_sort_implINS0_14default_configELb1EPKiPiPKlPlN2at6native12_GLOBAL__N_18offset_tEEE10hipError_tPvRmT1_PNSt15iterator_traitsIS12_E10value_typeET2_T3_PNS13_IS18_E10value_typeET4_jRbjT5_S1E_jjP12ihipStream_tbEUljE_ZNSN_ISO_Lb1ESQ_SR_ST_SU_SY_EESZ_S10_S11_S12_S16_S17_S18_S1B_S1C_jS1D_jS1E_S1E_jjS1G_bEUljE0_EEESZ_S10_S11_S18_S1C_S1E_T6_T7_T9_mT8_S1G_bDpT10_ENKUlT_T0_E_clISt17integral_constantIbLb0EES1U_EEDaS1P_S1Q_EUlS1P_E_NS1_11comp_targetILNS1_3genE3ELNS1_11target_archE908ELNS1_3gpuE7ELNS1_3repE0EEENS1_30default_config_static_selectorELNS0_4arch9wavefront6targetE0EEEvS12_,"axG",@progbits,_ZN7rocprim17ROCPRIM_400000_NS6detail17trampoline_kernelINS0_13select_configILj256ELj13ELNS0_17block_load_methodE3ELS4_3ELS4_3ELNS0_20block_scan_algorithmE0ELj4294967295EEENS1_25partition_config_selectorILNS1_17partition_subalgoE4EjNS0_10empty_typeEbEEZZNS1_14partition_implILS8_4ELb0ES6_15HIP_vector_typeIjLj2EENS0_17counting_iteratorIjlEEPS9_SG_NS0_5tupleIJPjSI_NS0_16reverse_iteratorISI_EEEEENSH_IJSG_SG_SG_EEES9_SI_JZNS1_25segmented_radix_sort_implINS0_14default_configELb1EPKiPiPKlPlN2at6native12_GLOBAL__N_18offset_tEEE10hipError_tPvRmT1_PNSt15iterator_traitsIS12_E10value_typeET2_T3_PNS13_IS18_E10value_typeET4_jRbjT5_S1E_jjP12ihipStream_tbEUljE_ZNSN_ISO_Lb1ESQ_SR_ST_SU_SY_EESZ_S10_S11_S12_S16_S17_S18_S1B_S1C_jS1D_jS1E_S1E_jjS1G_bEUljE0_EEESZ_S10_S11_S18_S1C_S1E_T6_T7_T9_mT8_S1G_bDpT10_ENKUlT_T0_E_clISt17integral_constantIbLb0EES1U_EEDaS1P_S1Q_EUlS1P_E_NS1_11comp_targetILNS1_3genE3ELNS1_11target_archE908ELNS1_3gpuE7ELNS1_3repE0EEENS1_30default_config_static_selectorELNS0_4arch9wavefront6targetE0EEEvS12_,comdat
	.globl	_ZN7rocprim17ROCPRIM_400000_NS6detail17trampoline_kernelINS0_13select_configILj256ELj13ELNS0_17block_load_methodE3ELS4_3ELS4_3ELNS0_20block_scan_algorithmE0ELj4294967295EEENS1_25partition_config_selectorILNS1_17partition_subalgoE4EjNS0_10empty_typeEbEEZZNS1_14partition_implILS8_4ELb0ES6_15HIP_vector_typeIjLj2EENS0_17counting_iteratorIjlEEPS9_SG_NS0_5tupleIJPjSI_NS0_16reverse_iteratorISI_EEEEENSH_IJSG_SG_SG_EEES9_SI_JZNS1_25segmented_radix_sort_implINS0_14default_configELb1EPKiPiPKlPlN2at6native12_GLOBAL__N_18offset_tEEE10hipError_tPvRmT1_PNSt15iterator_traitsIS12_E10value_typeET2_T3_PNS13_IS18_E10value_typeET4_jRbjT5_S1E_jjP12ihipStream_tbEUljE_ZNSN_ISO_Lb1ESQ_SR_ST_SU_SY_EESZ_S10_S11_S12_S16_S17_S18_S1B_S1C_jS1D_jS1E_S1E_jjS1G_bEUljE0_EEESZ_S10_S11_S18_S1C_S1E_T6_T7_T9_mT8_S1G_bDpT10_ENKUlT_T0_E_clISt17integral_constantIbLb0EES1U_EEDaS1P_S1Q_EUlS1P_E_NS1_11comp_targetILNS1_3genE3ELNS1_11target_archE908ELNS1_3gpuE7ELNS1_3repE0EEENS1_30default_config_static_selectorELNS0_4arch9wavefront6targetE0EEEvS12_ ; -- Begin function _ZN7rocprim17ROCPRIM_400000_NS6detail17trampoline_kernelINS0_13select_configILj256ELj13ELNS0_17block_load_methodE3ELS4_3ELS4_3ELNS0_20block_scan_algorithmE0ELj4294967295EEENS1_25partition_config_selectorILNS1_17partition_subalgoE4EjNS0_10empty_typeEbEEZZNS1_14partition_implILS8_4ELb0ES6_15HIP_vector_typeIjLj2EENS0_17counting_iteratorIjlEEPS9_SG_NS0_5tupleIJPjSI_NS0_16reverse_iteratorISI_EEEEENSH_IJSG_SG_SG_EEES9_SI_JZNS1_25segmented_radix_sort_implINS0_14default_configELb1EPKiPiPKlPlN2at6native12_GLOBAL__N_18offset_tEEE10hipError_tPvRmT1_PNSt15iterator_traitsIS12_E10value_typeET2_T3_PNS13_IS18_E10value_typeET4_jRbjT5_S1E_jjP12ihipStream_tbEUljE_ZNSN_ISO_Lb1ESQ_SR_ST_SU_SY_EESZ_S10_S11_S12_S16_S17_S18_S1B_S1C_jS1D_jS1E_S1E_jjS1G_bEUljE0_EEESZ_S10_S11_S18_S1C_S1E_T6_T7_T9_mT8_S1G_bDpT10_ENKUlT_T0_E_clISt17integral_constantIbLb0EES1U_EEDaS1P_S1Q_EUlS1P_E_NS1_11comp_targetILNS1_3genE3ELNS1_11target_archE908ELNS1_3gpuE7ELNS1_3repE0EEENS1_30default_config_static_selectorELNS0_4arch9wavefront6targetE0EEEvS12_
	.p2align	8
	.type	_ZN7rocprim17ROCPRIM_400000_NS6detail17trampoline_kernelINS0_13select_configILj256ELj13ELNS0_17block_load_methodE3ELS4_3ELS4_3ELNS0_20block_scan_algorithmE0ELj4294967295EEENS1_25partition_config_selectorILNS1_17partition_subalgoE4EjNS0_10empty_typeEbEEZZNS1_14partition_implILS8_4ELb0ES6_15HIP_vector_typeIjLj2EENS0_17counting_iteratorIjlEEPS9_SG_NS0_5tupleIJPjSI_NS0_16reverse_iteratorISI_EEEEENSH_IJSG_SG_SG_EEES9_SI_JZNS1_25segmented_radix_sort_implINS0_14default_configELb1EPKiPiPKlPlN2at6native12_GLOBAL__N_18offset_tEEE10hipError_tPvRmT1_PNSt15iterator_traitsIS12_E10value_typeET2_T3_PNS13_IS18_E10value_typeET4_jRbjT5_S1E_jjP12ihipStream_tbEUljE_ZNSN_ISO_Lb1ESQ_SR_ST_SU_SY_EESZ_S10_S11_S12_S16_S17_S18_S1B_S1C_jS1D_jS1E_S1E_jjS1G_bEUljE0_EEESZ_S10_S11_S18_S1C_S1E_T6_T7_T9_mT8_S1G_bDpT10_ENKUlT_T0_E_clISt17integral_constantIbLb0EES1U_EEDaS1P_S1Q_EUlS1P_E_NS1_11comp_targetILNS1_3genE3ELNS1_11target_archE908ELNS1_3gpuE7ELNS1_3repE0EEENS1_30default_config_static_selectorELNS0_4arch9wavefront6targetE0EEEvS12_,@function
_ZN7rocprim17ROCPRIM_400000_NS6detail17trampoline_kernelINS0_13select_configILj256ELj13ELNS0_17block_load_methodE3ELS4_3ELS4_3ELNS0_20block_scan_algorithmE0ELj4294967295EEENS1_25partition_config_selectorILNS1_17partition_subalgoE4EjNS0_10empty_typeEbEEZZNS1_14partition_implILS8_4ELb0ES6_15HIP_vector_typeIjLj2EENS0_17counting_iteratorIjlEEPS9_SG_NS0_5tupleIJPjSI_NS0_16reverse_iteratorISI_EEEEENSH_IJSG_SG_SG_EEES9_SI_JZNS1_25segmented_radix_sort_implINS0_14default_configELb1EPKiPiPKlPlN2at6native12_GLOBAL__N_18offset_tEEE10hipError_tPvRmT1_PNSt15iterator_traitsIS12_E10value_typeET2_T3_PNS13_IS18_E10value_typeET4_jRbjT5_S1E_jjP12ihipStream_tbEUljE_ZNSN_ISO_Lb1ESQ_SR_ST_SU_SY_EESZ_S10_S11_S12_S16_S17_S18_S1B_S1C_jS1D_jS1E_S1E_jjS1G_bEUljE0_EEESZ_S10_S11_S18_S1C_S1E_T6_T7_T9_mT8_S1G_bDpT10_ENKUlT_T0_E_clISt17integral_constantIbLb0EES1U_EEDaS1P_S1Q_EUlS1P_E_NS1_11comp_targetILNS1_3genE3ELNS1_11target_archE908ELNS1_3gpuE7ELNS1_3repE0EEENS1_30default_config_static_selectorELNS0_4arch9wavefront6targetE0EEEvS12_: ; @_ZN7rocprim17ROCPRIM_400000_NS6detail17trampoline_kernelINS0_13select_configILj256ELj13ELNS0_17block_load_methodE3ELS4_3ELS4_3ELNS0_20block_scan_algorithmE0ELj4294967295EEENS1_25partition_config_selectorILNS1_17partition_subalgoE4EjNS0_10empty_typeEbEEZZNS1_14partition_implILS8_4ELb0ES6_15HIP_vector_typeIjLj2EENS0_17counting_iteratorIjlEEPS9_SG_NS0_5tupleIJPjSI_NS0_16reverse_iteratorISI_EEEEENSH_IJSG_SG_SG_EEES9_SI_JZNS1_25segmented_radix_sort_implINS0_14default_configELb1EPKiPiPKlPlN2at6native12_GLOBAL__N_18offset_tEEE10hipError_tPvRmT1_PNSt15iterator_traitsIS12_E10value_typeET2_T3_PNS13_IS18_E10value_typeET4_jRbjT5_S1E_jjP12ihipStream_tbEUljE_ZNSN_ISO_Lb1ESQ_SR_ST_SU_SY_EESZ_S10_S11_S12_S16_S17_S18_S1B_S1C_jS1D_jS1E_S1E_jjS1G_bEUljE0_EEESZ_S10_S11_S18_S1C_S1E_T6_T7_T9_mT8_S1G_bDpT10_ENKUlT_T0_E_clISt17integral_constantIbLb0EES1U_EEDaS1P_S1Q_EUlS1P_E_NS1_11comp_targetILNS1_3genE3ELNS1_11target_archE908ELNS1_3gpuE7ELNS1_3repE0EEENS1_30default_config_static_selectorELNS0_4arch9wavefront6targetE0EEEvS12_
; %bb.0:
	.section	.rodata,"a",@progbits
	.p2align	6, 0x0
	.amdhsa_kernel _ZN7rocprim17ROCPRIM_400000_NS6detail17trampoline_kernelINS0_13select_configILj256ELj13ELNS0_17block_load_methodE3ELS4_3ELS4_3ELNS0_20block_scan_algorithmE0ELj4294967295EEENS1_25partition_config_selectorILNS1_17partition_subalgoE4EjNS0_10empty_typeEbEEZZNS1_14partition_implILS8_4ELb0ES6_15HIP_vector_typeIjLj2EENS0_17counting_iteratorIjlEEPS9_SG_NS0_5tupleIJPjSI_NS0_16reverse_iteratorISI_EEEEENSH_IJSG_SG_SG_EEES9_SI_JZNS1_25segmented_radix_sort_implINS0_14default_configELb1EPKiPiPKlPlN2at6native12_GLOBAL__N_18offset_tEEE10hipError_tPvRmT1_PNSt15iterator_traitsIS12_E10value_typeET2_T3_PNS13_IS18_E10value_typeET4_jRbjT5_S1E_jjP12ihipStream_tbEUljE_ZNSN_ISO_Lb1ESQ_SR_ST_SU_SY_EESZ_S10_S11_S12_S16_S17_S18_S1B_S1C_jS1D_jS1E_S1E_jjS1G_bEUljE0_EEESZ_S10_S11_S18_S1C_S1E_T6_T7_T9_mT8_S1G_bDpT10_ENKUlT_T0_E_clISt17integral_constantIbLb0EES1U_EEDaS1P_S1Q_EUlS1P_E_NS1_11comp_targetILNS1_3genE3ELNS1_11target_archE908ELNS1_3gpuE7ELNS1_3repE0EEENS1_30default_config_static_selectorELNS0_4arch9wavefront6targetE0EEEvS12_
		.amdhsa_group_segment_fixed_size 0
		.amdhsa_private_segment_fixed_size 0
		.amdhsa_kernarg_size 176
		.amdhsa_user_sgpr_count 2
		.amdhsa_user_sgpr_dispatch_ptr 0
		.amdhsa_user_sgpr_queue_ptr 0
		.amdhsa_user_sgpr_kernarg_segment_ptr 1
		.amdhsa_user_sgpr_dispatch_id 0
		.amdhsa_user_sgpr_kernarg_preload_length 0
		.amdhsa_user_sgpr_kernarg_preload_offset 0
		.amdhsa_user_sgpr_private_segment_size 0
		.amdhsa_wavefront_size32 1
		.amdhsa_uses_dynamic_stack 0
		.amdhsa_enable_private_segment 0
		.amdhsa_system_sgpr_workgroup_id_x 1
		.amdhsa_system_sgpr_workgroup_id_y 0
		.amdhsa_system_sgpr_workgroup_id_z 0
		.amdhsa_system_sgpr_workgroup_info 0
		.amdhsa_system_vgpr_workitem_id 0
		.amdhsa_next_free_vgpr 1
		.amdhsa_next_free_sgpr 1
		.amdhsa_named_barrier_count 0
		.amdhsa_reserve_vcc 0
		.amdhsa_float_round_mode_32 0
		.amdhsa_float_round_mode_16_64 0
		.amdhsa_float_denorm_mode_32 3
		.amdhsa_float_denorm_mode_16_64 3
		.amdhsa_fp16_overflow 0
		.amdhsa_memory_ordered 1
		.amdhsa_forward_progress 1
		.amdhsa_inst_pref_size 0
		.amdhsa_round_robin_scheduling 0
		.amdhsa_exception_fp_ieee_invalid_op 0
		.amdhsa_exception_fp_denorm_src 0
		.amdhsa_exception_fp_ieee_div_zero 0
		.amdhsa_exception_fp_ieee_overflow 0
		.amdhsa_exception_fp_ieee_underflow 0
		.amdhsa_exception_fp_ieee_inexact 0
		.amdhsa_exception_int_div_zero 0
	.end_amdhsa_kernel
	.section	.text._ZN7rocprim17ROCPRIM_400000_NS6detail17trampoline_kernelINS0_13select_configILj256ELj13ELNS0_17block_load_methodE3ELS4_3ELS4_3ELNS0_20block_scan_algorithmE0ELj4294967295EEENS1_25partition_config_selectorILNS1_17partition_subalgoE4EjNS0_10empty_typeEbEEZZNS1_14partition_implILS8_4ELb0ES6_15HIP_vector_typeIjLj2EENS0_17counting_iteratorIjlEEPS9_SG_NS0_5tupleIJPjSI_NS0_16reverse_iteratorISI_EEEEENSH_IJSG_SG_SG_EEES9_SI_JZNS1_25segmented_radix_sort_implINS0_14default_configELb1EPKiPiPKlPlN2at6native12_GLOBAL__N_18offset_tEEE10hipError_tPvRmT1_PNSt15iterator_traitsIS12_E10value_typeET2_T3_PNS13_IS18_E10value_typeET4_jRbjT5_S1E_jjP12ihipStream_tbEUljE_ZNSN_ISO_Lb1ESQ_SR_ST_SU_SY_EESZ_S10_S11_S12_S16_S17_S18_S1B_S1C_jS1D_jS1E_S1E_jjS1G_bEUljE0_EEESZ_S10_S11_S18_S1C_S1E_T6_T7_T9_mT8_S1G_bDpT10_ENKUlT_T0_E_clISt17integral_constantIbLb0EES1U_EEDaS1P_S1Q_EUlS1P_E_NS1_11comp_targetILNS1_3genE3ELNS1_11target_archE908ELNS1_3gpuE7ELNS1_3repE0EEENS1_30default_config_static_selectorELNS0_4arch9wavefront6targetE0EEEvS12_,"axG",@progbits,_ZN7rocprim17ROCPRIM_400000_NS6detail17trampoline_kernelINS0_13select_configILj256ELj13ELNS0_17block_load_methodE3ELS4_3ELS4_3ELNS0_20block_scan_algorithmE0ELj4294967295EEENS1_25partition_config_selectorILNS1_17partition_subalgoE4EjNS0_10empty_typeEbEEZZNS1_14partition_implILS8_4ELb0ES6_15HIP_vector_typeIjLj2EENS0_17counting_iteratorIjlEEPS9_SG_NS0_5tupleIJPjSI_NS0_16reverse_iteratorISI_EEEEENSH_IJSG_SG_SG_EEES9_SI_JZNS1_25segmented_radix_sort_implINS0_14default_configELb1EPKiPiPKlPlN2at6native12_GLOBAL__N_18offset_tEEE10hipError_tPvRmT1_PNSt15iterator_traitsIS12_E10value_typeET2_T3_PNS13_IS18_E10value_typeET4_jRbjT5_S1E_jjP12ihipStream_tbEUljE_ZNSN_ISO_Lb1ESQ_SR_ST_SU_SY_EESZ_S10_S11_S12_S16_S17_S18_S1B_S1C_jS1D_jS1E_S1E_jjS1G_bEUljE0_EEESZ_S10_S11_S18_S1C_S1E_T6_T7_T9_mT8_S1G_bDpT10_ENKUlT_T0_E_clISt17integral_constantIbLb0EES1U_EEDaS1P_S1Q_EUlS1P_E_NS1_11comp_targetILNS1_3genE3ELNS1_11target_archE908ELNS1_3gpuE7ELNS1_3repE0EEENS1_30default_config_static_selectorELNS0_4arch9wavefront6targetE0EEEvS12_,comdat
.Lfunc_end432:
	.size	_ZN7rocprim17ROCPRIM_400000_NS6detail17trampoline_kernelINS0_13select_configILj256ELj13ELNS0_17block_load_methodE3ELS4_3ELS4_3ELNS0_20block_scan_algorithmE0ELj4294967295EEENS1_25partition_config_selectorILNS1_17partition_subalgoE4EjNS0_10empty_typeEbEEZZNS1_14partition_implILS8_4ELb0ES6_15HIP_vector_typeIjLj2EENS0_17counting_iteratorIjlEEPS9_SG_NS0_5tupleIJPjSI_NS0_16reverse_iteratorISI_EEEEENSH_IJSG_SG_SG_EEES9_SI_JZNS1_25segmented_radix_sort_implINS0_14default_configELb1EPKiPiPKlPlN2at6native12_GLOBAL__N_18offset_tEEE10hipError_tPvRmT1_PNSt15iterator_traitsIS12_E10value_typeET2_T3_PNS13_IS18_E10value_typeET4_jRbjT5_S1E_jjP12ihipStream_tbEUljE_ZNSN_ISO_Lb1ESQ_SR_ST_SU_SY_EESZ_S10_S11_S12_S16_S17_S18_S1B_S1C_jS1D_jS1E_S1E_jjS1G_bEUljE0_EEESZ_S10_S11_S18_S1C_S1E_T6_T7_T9_mT8_S1G_bDpT10_ENKUlT_T0_E_clISt17integral_constantIbLb0EES1U_EEDaS1P_S1Q_EUlS1P_E_NS1_11comp_targetILNS1_3genE3ELNS1_11target_archE908ELNS1_3gpuE7ELNS1_3repE0EEENS1_30default_config_static_selectorELNS0_4arch9wavefront6targetE0EEEvS12_, .Lfunc_end432-_ZN7rocprim17ROCPRIM_400000_NS6detail17trampoline_kernelINS0_13select_configILj256ELj13ELNS0_17block_load_methodE3ELS4_3ELS4_3ELNS0_20block_scan_algorithmE0ELj4294967295EEENS1_25partition_config_selectorILNS1_17partition_subalgoE4EjNS0_10empty_typeEbEEZZNS1_14partition_implILS8_4ELb0ES6_15HIP_vector_typeIjLj2EENS0_17counting_iteratorIjlEEPS9_SG_NS0_5tupleIJPjSI_NS0_16reverse_iteratorISI_EEEEENSH_IJSG_SG_SG_EEES9_SI_JZNS1_25segmented_radix_sort_implINS0_14default_configELb1EPKiPiPKlPlN2at6native12_GLOBAL__N_18offset_tEEE10hipError_tPvRmT1_PNSt15iterator_traitsIS12_E10value_typeET2_T3_PNS13_IS18_E10value_typeET4_jRbjT5_S1E_jjP12ihipStream_tbEUljE_ZNSN_ISO_Lb1ESQ_SR_ST_SU_SY_EESZ_S10_S11_S12_S16_S17_S18_S1B_S1C_jS1D_jS1E_S1E_jjS1G_bEUljE0_EEESZ_S10_S11_S18_S1C_S1E_T6_T7_T9_mT8_S1G_bDpT10_ENKUlT_T0_E_clISt17integral_constantIbLb0EES1U_EEDaS1P_S1Q_EUlS1P_E_NS1_11comp_targetILNS1_3genE3ELNS1_11target_archE908ELNS1_3gpuE7ELNS1_3repE0EEENS1_30default_config_static_selectorELNS0_4arch9wavefront6targetE0EEEvS12_
                                        ; -- End function
	.set _ZN7rocprim17ROCPRIM_400000_NS6detail17trampoline_kernelINS0_13select_configILj256ELj13ELNS0_17block_load_methodE3ELS4_3ELS4_3ELNS0_20block_scan_algorithmE0ELj4294967295EEENS1_25partition_config_selectorILNS1_17partition_subalgoE4EjNS0_10empty_typeEbEEZZNS1_14partition_implILS8_4ELb0ES6_15HIP_vector_typeIjLj2EENS0_17counting_iteratorIjlEEPS9_SG_NS0_5tupleIJPjSI_NS0_16reverse_iteratorISI_EEEEENSH_IJSG_SG_SG_EEES9_SI_JZNS1_25segmented_radix_sort_implINS0_14default_configELb1EPKiPiPKlPlN2at6native12_GLOBAL__N_18offset_tEEE10hipError_tPvRmT1_PNSt15iterator_traitsIS12_E10value_typeET2_T3_PNS13_IS18_E10value_typeET4_jRbjT5_S1E_jjP12ihipStream_tbEUljE_ZNSN_ISO_Lb1ESQ_SR_ST_SU_SY_EESZ_S10_S11_S12_S16_S17_S18_S1B_S1C_jS1D_jS1E_S1E_jjS1G_bEUljE0_EEESZ_S10_S11_S18_S1C_S1E_T6_T7_T9_mT8_S1G_bDpT10_ENKUlT_T0_E_clISt17integral_constantIbLb0EES1U_EEDaS1P_S1Q_EUlS1P_E_NS1_11comp_targetILNS1_3genE3ELNS1_11target_archE908ELNS1_3gpuE7ELNS1_3repE0EEENS1_30default_config_static_selectorELNS0_4arch9wavefront6targetE0EEEvS12_.num_vgpr, 0
	.set _ZN7rocprim17ROCPRIM_400000_NS6detail17trampoline_kernelINS0_13select_configILj256ELj13ELNS0_17block_load_methodE3ELS4_3ELS4_3ELNS0_20block_scan_algorithmE0ELj4294967295EEENS1_25partition_config_selectorILNS1_17partition_subalgoE4EjNS0_10empty_typeEbEEZZNS1_14partition_implILS8_4ELb0ES6_15HIP_vector_typeIjLj2EENS0_17counting_iteratorIjlEEPS9_SG_NS0_5tupleIJPjSI_NS0_16reverse_iteratorISI_EEEEENSH_IJSG_SG_SG_EEES9_SI_JZNS1_25segmented_radix_sort_implINS0_14default_configELb1EPKiPiPKlPlN2at6native12_GLOBAL__N_18offset_tEEE10hipError_tPvRmT1_PNSt15iterator_traitsIS12_E10value_typeET2_T3_PNS13_IS18_E10value_typeET4_jRbjT5_S1E_jjP12ihipStream_tbEUljE_ZNSN_ISO_Lb1ESQ_SR_ST_SU_SY_EESZ_S10_S11_S12_S16_S17_S18_S1B_S1C_jS1D_jS1E_S1E_jjS1G_bEUljE0_EEESZ_S10_S11_S18_S1C_S1E_T6_T7_T9_mT8_S1G_bDpT10_ENKUlT_T0_E_clISt17integral_constantIbLb0EES1U_EEDaS1P_S1Q_EUlS1P_E_NS1_11comp_targetILNS1_3genE3ELNS1_11target_archE908ELNS1_3gpuE7ELNS1_3repE0EEENS1_30default_config_static_selectorELNS0_4arch9wavefront6targetE0EEEvS12_.num_agpr, 0
	.set _ZN7rocprim17ROCPRIM_400000_NS6detail17trampoline_kernelINS0_13select_configILj256ELj13ELNS0_17block_load_methodE3ELS4_3ELS4_3ELNS0_20block_scan_algorithmE0ELj4294967295EEENS1_25partition_config_selectorILNS1_17partition_subalgoE4EjNS0_10empty_typeEbEEZZNS1_14partition_implILS8_4ELb0ES6_15HIP_vector_typeIjLj2EENS0_17counting_iteratorIjlEEPS9_SG_NS0_5tupleIJPjSI_NS0_16reverse_iteratorISI_EEEEENSH_IJSG_SG_SG_EEES9_SI_JZNS1_25segmented_radix_sort_implINS0_14default_configELb1EPKiPiPKlPlN2at6native12_GLOBAL__N_18offset_tEEE10hipError_tPvRmT1_PNSt15iterator_traitsIS12_E10value_typeET2_T3_PNS13_IS18_E10value_typeET4_jRbjT5_S1E_jjP12ihipStream_tbEUljE_ZNSN_ISO_Lb1ESQ_SR_ST_SU_SY_EESZ_S10_S11_S12_S16_S17_S18_S1B_S1C_jS1D_jS1E_S1E_jjS1G_bEUljE0_EEESZ_S10_S11_S18_S1C_S1E_T6_T7_T9_mT8_S1G_bDpT10_ENKUlT_T0_E_clISt17integral_constantIbLb0EES1U_EEDaS1P_S1Q_EUlS1P_E_NS1_11comp_targetILNS1_3genE3ELNS1_11target_archE908ELNS1_3gpuE7ELNS1_3repE0EEENS1_30default_config_static_selectorELNS0_4arch9wavefront6targetE0EEEvS12_.numbered_sgpr, 0
	.set _ZN7rocprim17ROCPRIM_400000_NS6detail17trampoline_kernelINS0_13select_configILj256ELj13ELNS0_17block_load_methodE3ELS4_3ELS4_3ELNS0_20block_scan_algorithmE0ELj4294967295EEENS1_25partition_config_selectorILNS1_17partition_subalgoE4EjNS0_10empty_typeEbEEZZNS1_14partition_implILS8_4ELb0ES6_15HIP_vector_typeIjLj2EENS0_17counting_iteratorIjlEEPS9_SG_NS0_5tupleIJPjSI_NS0_16reverse_iteratorISI_EEEEENSH_IJSG_SG_SG_EEES9_SI_JZNS1_25segmented_radix_sort_implINS0_14default_configELb1EPKiPiPKlPlN2at6native12_GLOBAL__N_18offset_tEEE10hipError_tPvRmT1_PNSt15iterator_traitsIS12_E10value_typeET2_T3_PNS13_IS18_E10value_typeET4_jRbjT5_S1E_jjP12ihipStream_tbEUljE_ZNSN_ISO_Lb1ESQ_SR_ST_SU_SY_EESZ_S10_S11_S12_S16_S17_S18_S1B_S1C_jS1D_jS1E_S1E_jjS1G_bEUljE0_EEESZ_S10_S11_S18_S1C_S1E_T6_T7_T9_mT8_S1G_bDpT10_ENKUlT_T0_E_clISt17integral_constantIbLb0EES1U_EEDaS1P_S1Q_EUlS1P_E_NS1_11comp_targetILNS1_3genE3ELNS1_11target_archE908ELNS1_3gpuE7ELNS1_3repE0EEENS1_30default_config_static_selectorELNS0_4arch9wavefront6targetE0EEEvS12_.num_named_barrier, 0
	.set _ZN7rocprim17ROCPRIM_400000_NS6detail17trampoline_kernelINS0_13select_configILj256ELj13ELNS0_17block_load_methodE3ELS4_3ELS4_3ELNS0_20block_scan_algorithmE0ELj4294967295EEENS1_25partition_config_selectorILNS1_17partition_subalgoE4EjNS0_10empty_typeEbEEZZNS1_14partition_implILS8_4ELb0ES6_15HIP_vector_typeIjLj2EENS0_17counting_iteratorIjlEEPS9_SG_NS0_5tupleIJPjSI_NS0_16reverse_iteratorISI_EEEEENSH_IJSG_SG_SG_EEES9_SI_JZNS1_25segmented_radix_sort_implINS0_14default_configELb1EPKiPiPKlPlN2at6native12_GLOBAL__N_18offset_tEEE10hipError_tPvRmT1_PNSt15iterator_traitsIS12_E10value_typeET2_T3_PNS13_IS18_E10value_typeET4_jRbjT5_S1E_jjP12ihipStream_tbEUljE_ZNSN_ISO_Lb1ESQ_SR_ST_SU_SY_EESZ_S10_S11_S12_S16_S17_S18_S1B_S1C_jS1D_jS1E_S1E_jjS1G_bEUljE0_EEESZ_S10_S11_S18_S1C_S1E_T6_T7_T9_mT8_S1G_bDpT10_ENKUlT_T0_E_clISt17integral_constantIbLb0EES1U_EEDaS1P_S1Q_EUlS1P_E_NS1_11comp_targetILNS1_3genE3ELNS1_11target_archE908ELNS1_3gpuE7ELNS1_3repE0EEENS1_30default_config_static_selectorELNS0_4arch9wavefront6targetE0EEEvS12_.private_seg_size, 0
	.set _ZN7rocprim17ROCPRIM_400000_NS6detail17trampoline_kernelINS0_13select_configILj256ELj13ELNS0_17block_load_methodE3ELS4_3ELS4_3ELNS0_20block_scan_algorithmE0ELj4294967295EEENS1_25partition_config_selectorILNS1_17partition_subalgoE4EjNS0_10empty_typeEbEEZZNS1_14partition_implILS8_4ELb0ES6_15HIP_vector_typeIjLj2EENS0_17counting_iteratorIjlEEPS9_SG_NS0_5tupleIJPjSI_NS0_16reverse_iteratorISI_EEEEENSH_IJSG_SG_SG_EEES9_SI_JZNS1_25segmented_radix_sort_implINS0_14default_configELb1EPKiPiPKlPlN2at6native12_GLOBAL__N_18offset_tEEE10hipError_tPvRmT1_PNSt15iterator_traitsIS12_E10value_typeET2_T3_PNS13_IS18_E10value_typeET4_jRbjT5_S1E_jjP12ihipStream_tbEUljE_ZNSN_ISO_Lb1ESQ_SR_ST_SU_SY_EESZ_S10_S11_S12_S16_S17_S18_S1B_S1C_jS1D_jS1E_S1E_jjS1G_bEUljE0_EEESZ_S10_S11_S18_S1C_S1E_T6_T7_T9_mT8_S1G_bDpT10_ENKUlT_T0_E_clISt17integral_constantIbLb0EES1U_EEDaS1P_S1Q_EUlS1P_E_NS1_11comp_targetILNS1_3genE3ELNS1_11target_archE908ELNS1_3gpuE7ELNS1_3repE0EEENS1_30default_config_static_selectorELNS0_4arch9wavefront6targetE0EEEvS12_.uses_vcc, 0
	.set _ZN7rocprim17ROCPRIM_400000_NS6detail17trampoline_kernelINS0_13select_configILj256ELj13ELNS0_17block_load_methodE3ELS4_3ELS4_3ELNS0_20block_scan_algorithmE0ELj4294967295EEENS1_25partition_config_selectorILNS1_17partition_subalgoE4EjNS0_10empty_typeEbEEZZNS1_14partition_implILS8_4ELb0ES6_15HIP_vector_typeIjLj2EENS0_17counting_iteratorIjlEEPS9_SG_NS0_5tupleIJPjSI_NS0_16reverse_iteratorISI_EEEEENSH_IJSG_SG_SG_EEES9_SI_JZNS1_25segmented_radix_sort_implINS0_14default_configELb1EPKiPiPKlPlN2at6native12_GLOBAL__N_18offset_tEEE10hipError_tPvRmT1_PNSt15iterator_traitsIS12_E10value_typeET2_T3_PNS13_IS18_E10value_typeET4_jRbjT5_S1E_jjP12ihipStream_tbEUljE_ZNSN_ISO_Lb1ESQ_SR_ST_SU_SY_EESZ_S10_S11_S12_S16_S17_S18_S1B_S1C_jS1D_jS1E_S1E_jjS1G_bEUljE0_EEESZ_S10_S11_S18_S1C_S1E_T6_T7_T9_mT8_S1G_bDpT10_ENKUlT_T0_E_clISt17integral_constantIbLb0EES1U_EEDaS1P_S1Q_EUlS1P_E_NS1_11comp_targetILNS1_3genE3ELNS1_11target_archE908ELNS1_3gpuE7ELNS1_3repE0EEENS1_30default_config_static_selectorELNS0_4arch9wavefront6targetE0EEEvS12_.uses_flat_scratch, 0
	.set _ZN7rocprim17ROCPRIM_400000_NS6detail17trampoline_kernelINS0_13select_configILj256ELj13ELNS0_17block_load_methodE3ELS4_3ELS4_3ELNS0_20block_scan_algorithmE0ELj4294967295EEENS1_25partition_config_selectorILNS1_17partition_subalgoE4EjNS0_10empty_typeEbEEZZNS1_14partition_implILS8_4ELb0ES6_15HIP_vector_typeIjLj2EENS0_17counting_iteratorIjlEEPS9_SG_NS0_5tupleIJPjSI_NS0_16reverse_iteratorISI_EEEEENSH_IJSG_SG_SG_EEES9_SI_JZNS1_25segmented_radix_sort_implINS0_14default_configELb1EPKiPiPKlPlN2at6native12_GLOBAL__N_18offset_tEEE10hipError_tPvRmT1_PNSt15iterator_traitsIS12_E10value_typeET2_T3_PNS13_IS18_E10value_typeET4_jRbjT5_S1E_jjP12ihipStream_tbEUljE_ZNSN_ISO_Lb1ESQ_SR_ST_SU_SY_EESZ_S10_S11_S12_S16_S17_S18_S1B_S1C_jS1D_jS1E_S1E_jjS1G_bEUljE0_EEESZ_S10_S11_S18_S1C_S1E_T6_T7_T9_mT8_S1G_bDpT10_ENKUlT_T0_E_clISt17integral_constantIbLb0EES1U_EEDaS1P_S1Q_EUlS1P_E_NS1_11comp_targetILNS1_3genE3ELNS1_11target_archE908ELNS1_3gpuE7ELNS1_3repE0EEENS1_30default_config_static_selectorELNS0_4arch9wavefront6targetE0EEEvS12_.has_dyn_sized_stack, 0
	.set _ZN7rocprim17ROCPRIM_400000_NS6detail17trampoline_kernelINS0_13select_configILj256ELj13ELNS0_17block_load_methodE3ELS4_3ELS4_3ELNS0_20block_scan_algorithmE0ELj4294967295EEENS1_25partition_config_selectorILNS1_17partition_subalgoE4EjNS0_10empty_typeEbEEZZNS1_14partition_implILS8_4ELb0ES6_15HIP_vector_typeIjLj2EENS0_17counting_iteratorIjlEEPS9_SG_NS0_5tupleIJPjSI_NS0_16reverse_iteratorISI_EEEEENSH_IJSG_SG_SG_EEES9_SI_JZNS1_25segmented_radix_sort_implINS0_14default_configELb1EPKiPiPKlPlN2at6native12_GLOBAL__N_18offset_tEEE10hipError_tPvRmT1_PNSt15iterator_traitsIS12_E10value_typeET2_T3_PNS13_IS18_E10value_typeET4_jRbjT5_S1E_jjP12ihipStream_tbEUljE_ZNSN_ISO_Lb1ESQ_SR_ST_SU_SY_EESZ_S10_S11_S12_S16_S17_S18_S1B_S1C_jS1D_jS1E_S1E_jjS1G_bEUljE0_EEESZ_S10_S11_S18_S1C_S1E_T6_T7_T9_mT8_S1G_bDpT10_ENKUlT_T0_E_clISt17integral_constantIbLb0EES1U_EEDaS1P_S1Q_EUlS1P_E_NS1_11comp_targetILNS1_3genE3ELNS1_11target_archE908ELNS1_3gpuE7ELNS1_3repE0EEENS1_30default_config_static_selectorELNS0_4arch9wavefront6targetE0EEEvS12_.has_recursion, 0
	.set _ZN7rocprim17ROCPRIM_400000_NS6detail17trampoline_kernelINS0_13select_configILj256ELj13ELNS0_17block_load_methodE3ELS4_3ELS4_3ELNS0_20block_scan_algorithmE0ELj4294967295EEENS1_25partition_config_selectorILNS1_17partition_subalgoE4EjNS0_10empty_typeEbEEZZNS1_14partition_implILS8_4ELb0ES6_15HIP_vector_typeIjLj2EENS0_17counting_iteratorIjlEEPS9_SG_NS0_5tupleIJPjSI_NS0_16reverse_iteratorISI_EEEEENSH_IJSG_SG_SG_EEES9_SI_JZNS1_25segmented_radix_sort_implINS0_14default_configELb1EPKiPiPKlPlN2at6native12_GLOBAL__N_18offset_tEEE10hipError_tPvRmT1_PNSt15iterator_traitsIS12_E10value_typeET2_T3_PNS13_IS18_E10value_typeET4_jRbjT5_S1E_jjP12ihipStream_tbEUljE_ZNSN_ISO_Lb1ESQ_SR_ST_SU_SY_EESZ_S10_S11_S12_S16_S17_S18_S1B_S1C_jS1D_jS1E_S1E_jjS1G_bEUljE0_EEESZ_S10_S11_S18_S1C_S1E_T6_T7_T9_mT8_S1G_bDpT10_ENKUlT_T0_E_clISt17integral_constantIbLb0EES1U_EEDaS1P_S1Q_EUlS1P_E_NS1_11comp_targetILNS1_3genE3ELNS1_11target_archE908ELNS1_3gpuE7ELNS1_3repE0EEENS1_30default_config_static_selectorELNS0_4arch9wavefront6targetE0EEEvS12_.has_indirect_call, 0
	.section	.AMDGPU.csdata,"",@progbits
; Kernel info:
; codeLenInByte = 0
; TotalNumSgprs: 0
; NumVgprs: 0
; ScratchSize: 0
; MemoryBound: 0
; FloatMode: 240
; IeeeMode: 1
; LDSByteSize: 0 bytes/workgroup (compile time only)
; SGPRBlocks: 0
; VGPRBlocks: 0
; NumSGPRsForWavesPerEU: 1
; NumVGPRsForWavesPerEU: 1
; NamedBarCnt: 0
; Occupancy: 16
; WaveLimiterHint : 0
; COMPUTE_PGM_RSRC2:SCRATCH_EN: 0
; COMPUTE_PGM_RSRC2:USER_SGPR: 2
; COMPUTE_PGM_RSRC2:TRAP_HANDLER: 0
; COMPUTE_PGM_RSRC2:TGID_X_EN: 1
; COMPUTE_PGM_RSRC2:TGID_Y_EN: 0
; COMPUTE_PGM_RSRC2:TGID_Z_EN: 0
; COMPUTE_PGM_RSRC2:TIDIG_COMP_CNT: 0
	.section	.text._ZN7rocprim17ROCPRIM_400000_NS6detail17trampoline_kernelINS0_13select_configILj256ELj13ELNS0_17block_load_methodE3ELS4_3ELS4_3ELNS0_20block_scan_algorithmE0ELj4294967295EEENS1_25partition_config_selectorILNS1_17partition_subalgoE4EjNS0_10empty_typeEbEEZZNS1_14partition_implILS8_4ELb0ES6_15HIP_vector_typeIjLj2EENS0_17counting_iteratorIjlEEPS9_SG_NS0_5tupleIJPjSI_NS0_16reverse_iteratorISI_EEEEENSH_IJSG_SG_SG_EEES9_SI_JZNS1_25segmented_radix_sort_implINS0_14default_configELb1EPKiPiPKlPlN2at6native12_GLOBAL__N_18offset_tEEE10hipError_tPvRmT1_PNSt15iterator_traitsIS12_E10value_typeET2_T3_PNS13_IS18_E10value_typeET4_jRbjT5_S1E_jjP12ihipStream_tbEUljE_ZNSN_ISO_Lb1ESQ_SR_ST_SU_SY_EESZ_S10_S11_S12_S16_S17_S18_S1B_S1C_jS1D_jS1E_S1E_jjS1G_bEUljE0_EEESZ_S10_S11_S18_S1C_S1E_T6_T7_T9_mT8_S1G_bDpT10_ENKUlT_T0_E_clISt17integral_constantIbLb0EES1U_EEDaS1P_S1Q_EUlS1P_E_NS1_11comp_targetILNS1_3genE2ELNS1_11target_archE906ELNS1_3gpuE6ELNS1_3repE0EEENS1_30default_config_static_selectorELNS0_4arch9wavefront6targetE0EEEvS12_,"axG",@progbits,_ZN7rocprim17ROCPRIM_400000_NS6detail17trampoline_kernelINS0_13select_configILj256ELj13ELNS0_17block_load_methodE3ELS4_3ELS4_3ELNS0_20block_scan_algorithmE0ELj4294967295EEENS1_25partition_config_selectorILNS1_17partition_subalgoE4EjNS0_10empty_typeEbEEZZNS1_14partition_implILS8_4ELb0ES6_15HIP_vector_typeIjLj2EENS0_17counting_iteratorIjlEEPS9_SG_NS0_5tupleIJPjSI_NS0_16reverse_iteratorISI_EEEEENSH_IJSG_SG_SG_EEES9_SI_JZNS1_25segmented_radix_sort_implINS0_14default_configELb1EPKiPiPKlPlN2at6native12_GLOBAL__N_18offset_tEEE10hipError_tPvRmT1_PNSt15iterator_traitsIS12_E10value_typeET2_T3_PNS13_IS18_E10value_typeET4_jRbjT5_S1E_jjP12ihipStream_tbEUljE_ZNSN_ISO_Lb1ESQ_SR_ST_SU_SY_EESZ_S10_S11_S12_S16_S17_S18_S1B_S1C_jS1D_jS1E_S1E_jjS1G_bEUljE0_EEESZ_S10_S11_S18_S1C_S1E_T6_T7_T9_mT8_S1G_bDpT10_ENKUlT_T0_E_clISt17integral_constantIbLb0EES1U_EEDaS1P_S1Q_EUlS1P_E_NS1_11comp_targetILNS1_3genE2ELNS1_11target_archE906ELNS1_3gpuE6ELNS1_3repE0EEENS1_30default_config_static_selectorELNS0_4arch9wavefront6targetE0EEEvS12_,comdat
	.globl	_ZN7rocprim17ROCPRIM_400000_NS6detail17trampoline_kernelINS0_13select_configILj256ELj13ELNS0_17block_load_methodE3ELS4_3ELS4_3ELNS0_20block_scan_algorithmE0ELj4294967295EEENS1_25partition_config_selectorILNS1_17partition_subalgoE4EjNS0_10empty_typeEbEEZZNS1_14partition_implILS8_4ELb0ES6_15HIP_vector_typeIjLj2EENS0_17counting_iteratorIjlEEPS9_SG_NS0_5tupleIJPjSI_NS0_16reverse_iteratorISI_EEEEENSH_IJSG_SG_SG_EEES9_SI_JZNS1_25segmented_radix_sort_implINS0_14default_configELb1EPKiPiPKlPlN2at6native12_GLOBAL__N_18offset_tEEE10hipError_tPvRmT1_PNSt15iterator_traitsIS12_E10value_typeET2_T3_PNS13_IS18_E10value_typeET4_jRbjT5_S1E_jjP12ihipStream_tbEUljE_ZNSN_ISO_Lb1ESQ_SR_ST_SU_SY_EESZ_S10_S11_S12_S16_S17_S18_S1B_S1C_jS1D_jS1E_S1E_jjS1G_bEUljE0_EEESZ_S10_S11_S18_S1C_S1E_T6_T7_T9_mT8_S1G_bDpT10_ENKUlT_T0_E_clISt17integral_constantIbLb0EES1U_EEDaS1P_S1Q_EUlS1P_E_NS1_11comp_targetILNS1_3genE2ELNS1_11target_archE906ELNS1_3gpuE6ELNS1_3repE0EEENS1_30default_config_static_selectorELNS0_4arch9wavefront6targetE0EEEvS12_ ; -- Begin function _ZN7rocprim17ROCPRIM_400000_NS6detail17trampoline_kernelINS0_13select_configILj256ELj13ELNS0_17block_load_methodE3ELS4_3ELS4_3ELNS0_20block_scan_algorithmE0ELj4294967295EEENS1_25partition_config_selectorILNS1_17partition_subalgoE4EjNS0_10empty_typeEbEEZZNS1_14partition_implILS8_4ELb0ES6_15HIP_vector_typeIjLj2EENS0_17counting_iteratorIjlEEPS9_SG_NS0_5tupleIJPjSI_NS0_16reverse_iteratorISI_EEEEENSH_IJSG_SG_SG_EEES9_SI_JZNS1_25segmented_radix_sort_implINS0_14default_configELb1EPKiPiPKlPlN2at6native12_GLOBAL__N_18offset_tEEE10hipError_tPvRmT1_PNSt15iterator_traitsIS12_E10value_typeET2_T3_PNS13_IS18_E10value_typeET4_jRbjT5_S1E_jjP12ihipStream_tbEUljE_ZNSN_ISO_Lb1ESQ_SR_ST_SU_SY_EESZ_S10_S11_S12_S16_S17_S18_S1B_S1C_jS1D_jS1E_S1E_jjS1G_bEUljE0_EEESZ_S10_S11_S18_S1C_S1E_T6_T7_T9_mT8_S1G_bDpT10_ENKUlT_T0_E_clISt17integral_constantIbLb0EES1U_EEDaS1P_S1Q_EUlS1P_E_NS1_11comp_targetILNS1_3genE2ELNS1_11target_archE906ELNS1_3gpuE6ELNS1_3repE0EEENS1_30default_config_static_selectorELNS0_4arch9wavefront6targetE0EEEvS12_
	.p2align	8
	.type	_ZN7rocprim17ROCPRIM_400000_NS6detail17trampoline_kernelINS0_13select_configILj256ELj13ELNS0_17block_load_methodE3ELS4_3ELS4_3ELNS0_20block_scan_algorithmE0ELj4294967295EEENS1_25partition_config_selectorILNS1_17partition_subalgoE4EjNS0_10empty_typeEbEEZZNS1_14partition_implILS8_4ELb0ES6_15HIP_vector_typeIjLj2EENS0_17counting_iteratorIjlEEPS9_SG_NS0_5tupleIJPjSI_NS0_16reverse_iteratorISI_EEEEENSH_IJSG_SG_SG_EEES9_SI_JZNS1_25segmented_radix_sort_implINS0_14default_configELb1EPKiPiPKlPlN2at6native12_GLOBAL__N_18offset_tEEE10hipError_tPvRmT1_PNSt15iterator_traitsIS12_E10value_typeET2_T3_PNS13_IS18_E10value_typeET4_jRbjT5_S1E_jjP12ihipStream_tbEUljE_ZNSN_ISO_Lb1ESQ_SR_ST_SU_SY_EESZ_S10_S11_S12_S16_S17_S18_S1B_S1C_jS1D_jS1E_S1E_jjS1G_bEUljE0_EEESZ_S10_S11_S18_S1C_S1E_T6_T7_T9_mT8_S1G_bDpT10_ENKUlT_T0_E_clISt17integral_constantIbLb0EES1U_EEDaS1P_S1Q_EUlS1P_E_NS1_11comp_targetILNS1_3genE2ELNS1_11target_archE906ELNS1_3gpuE6ELNS1_3repE0EEENS1_30default_config_static_selectorELNS0_4arch9wavefront6targetE0EEEvS12_,@function
_ZN7rocprim17ROCPRIM_400000_NS6detail17trampoline_kernelINS0_13select_configILj256ELj13ELNS0_17block_load_methodE3ELS4_3ELS4_3ELNS0_20block_scan_algorithmE0ELj4294967295EEENS1_25partition_config_selectorILNS1_17partition_subalgoE4EjNS0_10empty_typeEbEEZZNS1_14partition_implILS8_4ELb0ES6_15HIP_vector_typeIjLj2EENS0_17counting_iteratorIjlEEPS9_SG_NS0_5tupleIJPjSI_NS0_16reverse_iteratorISI_EEEEENSH_IJSG_SG_SG_EEES9_SI_JZNS1_25segmented_radix_sort_implINS0_14default_configELb1EPKiPiPKlPlN2at6native12_GLOBAL__N_18offset_tEEE10hipError_tPvRmT1_PNSt15iterator_traitsIS12_E10value_typeET2_T3_PNS13_IS18_E10value_typeET4_jRbjT5_S1E_jjP12ihipStream_tbEUljE_ZNSN_ISO_Lb1ESQ_SR_ST_SU_SY_EESZ_S10_S11_S12_S16_S17_S18_S1B_S1C_jS1D_jS1E_S1E_jjS1G_bEUljE0_EEESZ_S10_S11_S18_S1C_S1E_T6_T7_T9_mT8_S1G_bDpT10_ENKUlT_T0_E_clISt17integral_constantIbLb0EES1U_EEDaS1P_S1Q_EUlS1P_E_NS1_11comp_targetILNS1_3genE2ELNS1_11target_archE906ELNS1_3gpuE6ELNS1_3repE0EEENS1_30default_config_static_selectorELNS0_4arch9wavefront6targetE0EEEvS12_: ; @_ZN7rocprim17ROCPRIM_400000_NS6detail17trampoline_kernelINS0_13select_configILj256ELj13ELNS0_17block_load_methodE3ELS4_3ELS4_3ELNS0_20block_scan_algorithmE0ELj4294967295EEENS1_25partition_config_selectorILNS1_17partition_subalgoE4EjNS0_10empty_typeEbEEZZNS1_14partition_implILS8_4ELb0ES6_15HIP_vector_typeIjLj2EENS0_17counting_iteratorIjlEEPS9_SG_NS0_5tupleIJPjSI_NS0_16reverse_iteratorISI_EEEEENSH_IJSG_SG_SG_EEES9_SI_JZNS1_25segmented_radix_sort_implINS0_14default_configELb1EPKiPiPKlPlN2at6native12_GLOBAL__N_18offset_tEEE10hipError_tPvRmT1_PNSt15iterator_traitsIS12_E10value_typeET2_T3_PNS13_IS18_E10value_typeET4_jRbjT5_S1E_jjP12ihipStream_tbEUljE_ZNSN_ISO_Lb1ESQ_SR_ST_SU_SY_EESZ_S10_S11_S12_S16_S17_S18_S1B_S1C_jS1D_jS1E_S1E_jjS1G_bEUljE0_EEESZ_S10_S11_S18_S1C_S1E_T6_T7_T9_mT8_S1G_bDpT10_ENKUlT_T0_E_clISt17integral_constantIbLb0EES1U_EEDaS1P_S1Q_EUlS1P_E_NS1_11comp_targetILNS1_3genE2ELNS1_11target_archE906ELNS1_3gpuE6ELNS1_3repE0EEENS1_30default_config_static_selectorELNS0_4arch9wavefront6targetE0EEEvS12_
; %bb.0:
	.section	.rodata,"a",@progbits
	.p2align	6, 0x0
	.amdhsa_kernel _ZN7rocprim17ROCPRIM_400000_NS6detail17trampoline_kernelINS0_13select_configILj256ELj13ELNS0_17block_load_methodE3ELS4_3ELS4_3ELNS0_20block_scan_algorithmE0ELj4294967295EEENS1_25partition_config_selectorILNS1_17partition_subalgoE4EjNS0_10empty_typeEbEEZZNS1_14partition_implILS8_4ELb0ES6_15HIP_vector_typeIjLj2EENS0_17counting_iteratorIjlEEPS9_SG_NS0_5tupleIJPjSI_NS0_16reverse_iteratorISI_EEEEENSH_IJSG_SG_SG_EEES9_SI_JZNS1_25segmented_radix_sort_implINS0_14default_configELb1EPKiPiPKlPlN2at6native12_GLOBAL__N_18offset_tEEE10hipError_tPvRmT1_PNSt15iterator_traitsIS12_E10value_typeET2_T3_PNS13_IS18_E10value_typeET4_jRbjT5_S1E_jjP12ihipStream_tbEUljE_ZNSN_ISO_Lb1ESQ_SR_ST_SU_SY_EESZ_S10_S11_S12_S16_S17_S18_S1B_S1C_jS1D_jS1E_S1E_jjS1G_bEUljE0_EEESZ_S10_S11_S18_S1C_S1E_T6_T7_T9_mT8_S1G_bDpT10_ENKUlT_T0_E_clISt17integral_constantIbLb0EES1U_EEDaS1P_S1Q_EUlS1P_E_NS1_11comp_targetILNS1_3genE2ELNS1_11target_archE906ELNS1_3gpuE6ELNS1_3repE0EEENS1_30default_config_static_selectorELNS0_4arch9wavefront6targetE0EEEvS12_
		.amdhsa_group_segment_fixed_size 0
		.amdhsa_private_segment_fixed_size 0
		.amdhsa_kernarg_size 176
		.amdhsa_user_sgpr_count 2
		.amdhsa_user_sgpr_dispatch_ptr 0
		.amdhsa_user_sgpr_queue_ptr 0
		.amdhsa_user_sgpr_kernarg_segment_ptr 1
		.amdhsa_user_sgpr_dispatch_id 0
		.amdhsa_user_sgpr_kernarg_preload_length 0
		.amdhsa_user_sgpr_kernarg_preload_offset 0
		.amdhsa_user_sgpr_private_segment_size 0
		.amdhsa_wavefront_size32 1
		.amdhsa_uses_dynamic_stack 0
		.amdhsa_enable_private_segment 0
		.amdhsa_system_sgpr_workgroup_id_x 1
		.amdhsa_system_sgpr_workgroup_id_y 0
		.amdhsa_system_sgpr_workgroup_id_z 0
		.amdhsa_system_sgpr_workgroup_info 0
		.amdhsa_system_vgpr_workitem_id 0
		.amdhsa_next_free_vgpr 1
		.amdhsa_next_free_sgpr 1
		.amdhsa_named_barrier_count 0
		.amdhsa_reserve_vcc 0
		.amdhsa_float_round_mode_32 0
		.amdhsa_float_round_mode_16_64 0
		.amdhsa_float_denorm_mode_32 3
		.amdhsa_float_denorm_mode_16_64 3
		.amdhsa_fp16_overflow 0
		.amdhsa_memory_ordered 1
		.amdhsa_forward_progress 1
		.amdhsa_inst_pref_size 0
		.amdhsa_round_robin_scheduling 0
		.amdhsa_exception_fp_ieee_invalid_op 0
		.amdhsa_exception_fp_denorm_src 0
		.amdhsa_exception_fp_ieee_div_zero 0
		.amdhsa_exception_fp_ieee_overflow 0
		.amdhsa_exception_fp_ieee_underflow 0
		.amdhsa_exception_fp_ieee_inexact 0
		.amdhsa_exception_int_div_zero 0
	.end_amdhsa_kernel
	.section	.text._ZN7rocprim17ROCPRIM_400000_NS6detail17trampoline_kernelINS0_13select_configILj256ELj13ELNS0_17block_load_methodE3ELS4_3ELS4_3ELNS0_20block_scan_algorithmE0ELj4294967295EEENS1_25partition_config_selectorILNS1_17partition_subalgoE4EjNS0_10empty_typeEbEEZZNS1_14partition_implILS8_4ELb0ES6_15HIP_vector_typeIjLj2EENS0_17counting_iteratorIjlEEPS9_SG_NS0_5tupleIJPjSI_NS0_16reverse_iteratorISI_EEEEENSH_IJSG_SG_SG_EEES9_SI_JZNS1_25segmented_radix_sort_implINS0_14default_configELb1EPKiPiPKlPlN2at6native12_GLOBAL__N_18offset_tEEE10hipError_tPvRmT1_PNSt15iterator_traitsIS12_E10value_typeET2_T3_PNS13_IS18_E10value_typeET4_jRbjT5_S1E_jjP12ihipStream_tbEUljE_ZNSN_ISO_Lb1ESQ_SR_ST_SU_SY_EESZ_S10_S11_S12_S16_S17_S18_S1B_S1C_jS1D_jS1E_S1E_jjS1G_bEUljE0_EEESZ_S10_S11_S18_S1C_S1E_T6_T7_T9_mT8_S1G_bDpT10_ENKUlT_T0_E_clISt17integral_constantIbLb0EES1U_EEDaS1P_S1Q_EUlS1P_E_NS1_11comp_targetILNS1_3genE2ELNS1_11target_archE906ELNS1_3gpuE6ELNS1_3repE0EEENS1_30default_config_static_selectorELNS0_4arch9wavefront6targetE0EEEvS12_,"axG",@progbits,_ZN7rocprim17ROCPRIM_400000_NS6detail17trampoline_kernelINS0_13select_configILj256ELj13ELNS0_17block_load_methodE3ELS4_3ELS4_3ELNS0_20block_scan_algorithmE0ELj4294967295EEENS1_25partition_config_selectorILNS1_17partition_subalgoE4EjNS0_10empty_typeEbEEZZNS1_14partition_implILS8_4ELb0ES6_15HIP_vector_typeIjLj2EENS0_17counting_iteratorIjlEEPS9_SG_NS0_5tupleIJPjSI_NS0_16reverse_iteratorISI_EEEEENSH_IJSG_SG_SG_EEES9_SI_JZNS1_25segmented_radix_sort_implINS0_14default_configELb1EPKiPiPKlPlN2at6native12_GLOBAL__N_18offset_tEEE10hipError_tPvRmT1_PNSt15iterator_traitsIS12_E10value_typeET2_T3_PNS13_IS18_E10value_typeET4_jRbjT5_S1E_jjP12ihipStream_tbEUljE_ZNSN_ISO_Lb1ESQ_SR_ST_SU_SY_EESZ_S10_S11_S12_S16_S17_S18_S1B_S1C_jS1D_jS1E_S1E_jjS1G_bEUljE0_EEESZ_S10_S11_S18_S1C_S1E_T6_T7_T9_mT8_S1G_bDpT10_ENKUlT_T0_E_clISt17integral_constantIbLb0EES1U_EEDaS1P_S1Q_EUlS1P_E_NS1_11comp_targetILNS1_3genE2ELNS1_11target_archE906ELNS1_3gpuE6ELNS1_3repE0EEENS1_30default_config_static_selectorELNS0_4arch9wavefront6targetE0EEEvS12_,comdat
.Lfunc_end433:
	.size	_ZN7rocprim17ROCPRIM_400000_NS6detail17trampoline_kernelINS0_13select_configILj256ELj13ELNS0_17block_load_methodE3ELS4_3ELS4_3ELNS0_20block_scan_algorithmE0ELj4294967295EEENS1_25partition_config_selectorILNS1_17partition_subalgoE4EjNS0_10empty_typeEbEEZZNS1_14partition_implILS8_4ELb0ES6_15HIP_vector_typeIjLj2EENS0_17counting_iteratorIjlEEPS9_SG_NS0_5tupleIJPjSI_NS0_16reverse_iteratorISI_EEEEENSH_IJSG_SG_SG_EEES9_SI_JZNS1_25segmented_radix_sort_implINS0_14default_configELb1EPKiPiPKlPlN2at6native12_GLOBAL__N_18offset_tEEE10hipError_tPvRmT1_PNSt15iterator_traitsIS12_E10value_typeET2_T3_PNS13_IS18_E10value_typeET4_jRbjT5_S1E_jjP12ihipStream_tbEUljE_ZNSN_ISO_Lb1ESQ_SR_ST_SU_SY_EESZ_S10_S11_S12_S16_S17_S18_S1B_S1C_jS1D_jS1E_S1E_jjS1G_bEUljE0_EEESZ_S10_S11_S18_S1C_S1E_T6_T7_T9_mT8_S1G_bDpT10_ENKUlT_T0_E_clISt17integral_constantIbLb0EES1U_EEDaS1P_S1Q_EUlS1P_E_NS1_11comp_targetILNS1_3genE2ELNS1_11target_archE906ELNS1_3gpuE6ELNS1_3repE0EEENS1_30default_config_static_selectorELNS0_4arch9wavefront6targetE0EEEvS12_, .Lfunc_end433-_ZN7rocprim17ROCPRIM_400000_NS6detail17trampoline_kernelINS0_13select_configILj256ELj13ELNS0_17block_load_methodE3ELS4_3ELS4_3ELNS0_20block_scan_algorithmE0ELj4294967295EEENS1_25partition_config_selectorILNS1_17partition_subalgoE4EjNS0_10empty_typeEbEEZZNS1_14partition_implILS8_4ELb0ES6_15HIP_vector_typeIjLj2EENS0_17counting_iteratorIjlEEPS9_SG_NS0_5tupleIJPjSI_NS0_16reverse_iteratorISI_EEEEENSH_IJSG_SG_SG_EEES9_SI_JZNS1_25segmented_radix_sort_implINS0_14default_configELb1EPKiPiPKlPlN2at6native12_GLOBAL__N_18offset_tEEE10hipError_tPvRmT1_PNSt15iterator_traitsIS12_E10value_typeET2_T3_PNS13_IS18_E10value_typeET4_jRbjT5_S1E_jjP12ihipStream_tbEUljE_ZNSN_ISO_Lb1ESQ_SR_ST_SU_SY_EESZ_S10_S11_S12_S16_S17_S18_S1B_S1C_jS1D_jS1E_S1E_jjS1G_bEUljE0_EEESZ_S10_S11_S18_S1C_S1E_T6_T7_T9_mT8_S1G_bDpT10_ENKUlT_T0_E_clISt17integral_constantIbLb0EES1U_EEDaS1P_S1Q_EUlS1P_E_NS1_11comp_targetILNS1_3genE2ELNS1_11target_archE906ELNS1_3gpuE6ELNS1_3repE0EEENS1_30default_config_static_selectorELNS0_4arch9wavefront6targetE0EEEvS12_
                                        ; -- End function
	.set _ZN7rocprim17ROCPRIM_400000_NS6detail17trampoline_kernelINS0_13select_configILj256ELj13ELNS0_17block_load_methodE3ELS4_3ELS4_3ELNS0_20block_scan_algorithmE0ELj4294967295EEENS1_25partition_config_selectorILNS1_17partition_subalgoE4EjNS0_10empty_typeEbEEZZNS1_14partition_implILS8_4ELb0ES6_15HIP_vector_typeIjLj2EENS0_17counting_iteratorIjlEEPS9_SG_NS0_5tupleIJPjSI_NS0_16reverse_iteratorISI_EEEEENSH_IJSG_SG_SG_EEES9_SI_JZNS1_25segmented_radix_sort_implINS0_14default_configELb1EPKiPiPKlPlN2at6native12_GLOBAL__N_18offset_tEEE10hipError_tPvRmT1_PNSt15iterator_traitsIS12_E10value_typeET2_T3_PNS13_IS18_E10value_typeET4_jRbjT5_S1E_jjP12ihipStream_tbEUljE_ZNSN_ISO_Lb1ESQ_SR_ST_SU_SY_EESZ_S10_S11_S12_S16_S17_S18_S1B_S1C_jS1D_jS1E_S1E_jjS1G_bEUljE0_EEESZ_S10_S11_S18_S1C_S1E_T6_T7_T9_mT8_S1G_bDpT10_ENKUlT_T0_E_clISt17integral_constantIbLb0EES1U_EEDaS1P_S1Q_EUlS1P_E_NS1_11comp_targetILNS1_3genE2ELNS1_11target_archE906ELNS1_3gpuE6ELNS1_3repE0EEENS1_30default_config_static_selectorELNS0_4arch9wavefront6targetE0EEEvS12_.num_vgpr, 0
	.set _ZN7rocprim17ROCPRIM_400000_NS6detail17trampoline_kernelINS0_13select_configILj256ELj13ELNS0_17block_load_methodE3ELS4_3ELS4_3ELNS0_20block_scan_algorithmE0ELj4294967295EEENS1_25partition_config_selectorILNS1_17partition_subalgoE4EjNS0_10empty_typeEbEEZZNS1_14partition_implILS8_4ELb0ES6_15HIP_vector_typeIjLj2EENS0_17counting_iteratorIjlEEPS9_SG_NS0_5tupleIJPjSI_NS0_16reverse_iteratorISI_EEEEENSH_IJSG_SG_SG_EEES9_SI_JZNS1_25segmented_radix_sort_implINS0_14default_configELb1EPKiPiPKlPlN2at6native12_GLOBAL__N_18offset_tEEE10hipError_tPvRmT1_PNSt15iterator_traitsIS12_E10value_typeET2_T3_PNS13_IS18_E10value_typeET4_jRbjT5_S1E_jjP12ihipStream_tbEUljE_ZNSN_ISO_Lb1ESQ_SR_ST_SU_SY_EESZ_S10_S11_S12_S16_S17_S18_S1B_S1C_jS1D_jS1E_S1E_jjS1G_bEUljE0_EEESZ_S10_S11_S18_S1C_S1E_T6_T7_T9_mT8_S1G_bDpT10_ENKUlT_T0_E_clISt17integral_constantIbLb0EES1U_EEDaS1P_S1Q_EUlS1P_E_NS1_11comp_targetILNS1_3genE2ELNS1_11target_archE906ELNS1_3gpuE6ELNS1_3repE0EEENS1_30default_config_static_selectorELNS0_4arch9wavefront6targetE0EEEvS12_.num_agpr, 0
	.set _ZN7rocprim17ROCPRIM_400000_NS6detail17trampoline_kernelINS0_13select_configILj256ELj13ELNS0_17block_load_methodE3ELS4_3ELS4_3ELNS0_20block_scan_algorithmE0ELj4294967295EEENS1_25partition_config_selectorILNS1_17partition_subalgoE4EjNS0_10empty_typeEbEEZZNS1_14partition_implILS8_4ELb0ES6_15HIP_vector_typeIjLj2EENS0_17counting_iteratorIjlEEPS9_SG_NS0_5tupleIJPjSI_NS0_16reverse_iteratorISI_EEEEENSH_IJSG_SG_SG_EEES9_SI_JZNS1_25segmented_radix_sort_implINS0_14default_configELb1EPKiPiPKlPlN2at6native12_GLOBAL__N_18offset_tEEE10hipError_tPvRmT1_PNSt15iterator_traitsIS12_E10value_typeET2_T3_PNS13_IS18_E10value_typeET4_jRbjT5_S1E_jjP12ihipStream_tbEUljE_ZNSN_ISO_Lb1ESQ_SR_ST_SU_SY_EESZ_S10_S11_S12_S16_S17_S18_S1B_S1C_jS1D_jS1E_S1E_jjS1G_bEUljE0_EEESZ_S10_S11_S18_S1C_S1E_T6_T7_T9_mT8_S1G_bDpT10_ENKUlT_T0_E_clISt17integral_constantIbLb0EES1U_EEDaS1P_S1Q_EUlS1P_E_NS1_11comp_targetILNS1_3genE2ELNS1_11target_archE906ELNS1_3gpuE6ELNS1_3repE0EEENS1_30default_config_static_selectorELNS0_4arch9wavefront6targetE0EEEvS12_.numbered_sgpr, 0
	.set _ZN7rocprim17ROCPRIM_400000_NS6detail17trampoline_kernelINS0_13select_configILj256ELj13ELNS0_17block_load_methodE3ELS4_3ELS4_3ELNS0_20block_scan_algorithmE0ELj4294967295EEENS1_25partition_config_selectorILNS1_17partition_subalgoE4EjNS0_10empty_typeEbEEZZNS1_14partition_implILS8_4ELb0ES6_15HIP_vector_typeIjLj2EENS0_17counting_iteratorIjlEEPS9_SG_NS0_5tupleIJPjSI_NS0_16reverse_iteratorISI_EEEEENSH_IJSG_SG_SG_EEES9_SI_JZNS1_25segmented_radix_sort_implINS0_14default_configELb1EPKiPiPKlPlN2at6native12_GLOBAL__N_18offset_tEEE10hipError_tPvRmT1_PNSt15iterator_traitsIS12_E10value_typeET2_T3_PNS13_IS18_E10value_typeET4_jRbjT5_S1E_jjP12ihipStream_tbEUljE_ZNSN_ISO_Lb1ESQ_SR_ST_SU_SY_EESZ_S10_S11_S12_S16_S17_S18_S1B_S1C_jS1D_jS1E_S1E_jjS1G_bEUljE0_EEESZ_S10_S11_S18_S1C_S1E_T6_T7_T9_mT8_S1G_bDpT10_ENKUlT_T0_E_clISt17integral_constantIbLb0EES1U_EEDaS1P_S1Q_EUlS1P_E_NS1_11comp_targetILNS1_3genE2ELNS1_11target_archE906ELNS1_3gpuE6ELNS1_3repE0EEENS1_30default_config_static_selectorELNS0_4arch9wavefront6targetE0EEEvS12_.num_named_barrier, 0
	.set _ZN7rocprim17ROCPRIM_400000_NS6detail17trampoline_kernelINS0_13select_configILj256ELj13ELNS0_17block_load_methodE3ELS4_3ELS4_3ELNS0_20block_scan_algorithmE0ELj4294967295EEENS1_25partition_config_selectorILNS1_17partition_subalgoE4EjNS0_10empty_typeEbEEZZNS1_14partition_implILS8_4ELb0ES6_15HIP_vector_typeIjLj2EENS0_17counting_iteratorIjlEEPS9_SG_NS0_5tupleIJPjSI_NS0_16reverse_iteratorISI_EEEEENSH_IJSG_SG_SG_EEES9_SI_JZNS1_25segmented_radix_sort_implINS0_14default_configELb1EPKiPiPKlPlN2at6native12_GLOBAL__N_18offset_tEEE10hipError_tPvRmT1_PNSt15iterator_traitsIS12_E10value_typeET2_T3_PNS13_IS18_E10value_typeET4_jRbjT5_S1E_jjP12ihipStream_tbEUljE_ZNSN_ISO_Lb1ESQ_SR_ST_SU_SY_EESZ_S10_S11_S12_S16_S17_S18_S1B_S1C_jS1D_jS1E_S1E_jjS1G_bEUljE0_EEESZ_S10_S11_S18_S1C_S1E_T6_T7_T9_mT8_S1G_bDpT10_ENKUlT_T0_E_clISt17integral_constantIbLb0EES1U_EEDaS1P_S1Q_EUlS1P_E_NS1_11comp_targetILNS1_3genE2ELNS1_11target_archE906ELNS1_3gpuE6ELNS1_3repE0EEENS1_30default_config_static_selectorELNS0_4arch9wavefront6targetE0EEEvS12_.private_seg_size, 0
	.set _ZN7rocprim17ROCPRIM_400000_NS6detail17trampoline_kernelINS0_13select_configILj256ELj13ELNS0_17block_load_methodE3ELS4_3ELS4_3ELNS0_20block_scan_algorithmE0ELj4294967295EEENS1_25partition_config_selectorILNS1_17partition_subalgoE4EjNS0_10empty_typeEbEEZZNS1_14partition_implILS8_4ELb0ES6_15HIP_vector_typeIjLj2EENS0_17counting_iteratorIjlEEPS9_SG_NS0_5tupleIJPjSI_NS0_16reverse_iteratorISI_EEEEENSH_IJSG_SG_SG_EEES9_SI_JZNS1_25segmented_radix_sort_implINS0_14default_configELb1EPKiPiPKlPlN2at6native12_GLOBAL__N_18offset_tEEE10hipError_tPvRmT1_PNSt15iterator_traitsIS12_E10value_typeET2_T3_PNS13_IS18_E10value_typeET4_jRbjT5_S1E_jjP12ihipStream_tbEUljE_ZNSN_ISO_Lb1ESQ_SR_ST_SU_SY_EESZ_S10_S11_S12_S16_S17_S18_S1B_S1C_jS1D_jS1E_S1E_jjS1G_bEUljE0_EEESZ_S10_S11_S18_S1C_S1E_T6_T7_T9_mT8_S1G_bDpT10_ENKUlT_T0_E_clISt17integral_constantIbLb0EES1U_EEDaS1P_S1Q_EUlS1P_E_NS1_11comp_targetILNS1_3genE2ELNS1_11target_archE906ELNS1_3gpuE6ELNS1_3repE0EEENS1_30default_config_static_selectorELNS0_4arch9wavefront6targetE0EEEvS12_.uses_vcc, 0
	.set _ZN7rocprim17ROCPRIM_400000_NS6detail17trampoline_kernelINS0_13select_configILj256ELj13ELNS0_17block_load_methodE3ELS4_3ELS4_3ELNS0_20block_scan_algorithmE0ELj4294967295EEENS1_25partition_config_selectorILNS1_17partition_subalgoE4EjNS0_10empty_typeEbEEZZNS1_14partition_implILS8_4ELb0ES6_15HIP_vector_typeIjLj2EENS0_17counting_iteratorIjlEEPS9_SG_NS0_5tupleIJPjSI_NS0_16reverse_iteratorISI_EEEEENSH_IJSG_SG_SG_EEES9_SI_JZNS1_25segmented_radix_sort_implINS0_14default_configELb1EPKiPiPKlPlN2at6native12_GLOBAL__N_18offset_tEEE10hipError_tPvRmT1_PNSt15iterator_traitsIS12_E10value_typeET2_T3_PNS13_IS18_E10value_typeET4_jRbjT5_S1E_jjP12ihipStream_tbEUljE_ZNSN_ISO_Lb1ESQ_SR_ST_SU_SY_EESZ_S10_S11_S12_S16_S17_S18_S1B_S1C_jS1D_jS1E_S1E_jjS1G_bEUljE0_EEESZ_S10_S11_S18_S1C_S1E_T6_T7_T9_mT8_S1G_bDpT10_ENKUlT_T0_E_clISt17integral_constantIbLb0EES1U_EEDaS1P_S1Q_EUlS1P_E_NS1_11comp_targetILNS1_3genE2ELNS1_11target_archE906ELNS1_3gpuE6ELNS1_3repE0EEENS1_30default_config_static_selectorELNS0_4arch9wavefront6targetE0EEEvS12_.uses_flat_scratch, 0
	.set _ZN7rocprim17ROCPRIM_400000_NS6detail17trampoline_kernelINS0_13select_configILj256ELj13ELNS0_17block_load_methodE3ELS4_3ELS4_3ELNS0_20block_scan_algorithmE0ELj4294967295EEENS1_25partition_config_selectorILNS1_17partition_subalgoE4EjNS0_10empty_typeEbEEZZNS1_14partition_implILS8_4ELb0ES6_15HIP_vector_typeIjLj2EENS0_17counting_iteratorIjlEEPS9_SG_NS0_5tupleIJPjSI_NS0_16reverse_iteratorISI_EEEEENSH_IJSG_SG_SG_EEES9_SI_JZNS1_25segmented_radix_sort_implINS0_14default_configELb1EPKiPiPKlPlN2at6native12_GLOBAL__N_18offset_tEEE10hipError_tPvRmT1_PNSt15iterator_traitsIS12_E10value_typeET2_T3_PNS13_IS18_E10value_typeET4_jRbjT5_S1E_jjP12ihipStream_tbEUljE_ZNSN_ISO_Lb1ESQ_SR_ST_SU_SY_EESZ_S10_S11_S12_S16_S17_S18_S1B_S1C_jS1D_jS1E_S1E_jjS1G_bEUljE0_EEESZ_S10_S11_S18_S1C_S1E_T6_T7_T9_mT8_S1G_bDpT10_ENKUlT_T0_E_clISt17integral_constantIbLb0EES1U_EEDaS1P_S1Q_EUlS1P_E_NS1_11comp_targetILNS1_3genE2ELNS1_11target_archE906ELNS1_3gpuE6ELNS1_3repE0EEENS1_30default_config_static_selectorELNS0_4arch9wavefront6targetE0EEEvS12_.has_dyn_sized_stack, 0
	.set _ZN7rocprim17ROCPRIM_400000_NS6detail17trampoline_kernelINS0_13select_configILj256ELj13ELNS0_17block_load_methodE3ELS4_3ELS4_3ELNS0_20block_scan_algorithmE0ELj4294967295EEENS1_25partition_config_selectorILNS1_17partition_subalgoE4EjNS0_10empty_typeEbEEZZNS1_14partition_implILS8_4ELb0ES6_15HIP_vector_typeIjLj2EENS0_17counting_iteratorIjlEEPS9_SG_NS0_5tupleIJPjSI_NS0_16reverse_iteratorISI_EEEEENSH_IJSG_SG_SG_EEES9_SI_JZNS1_25segmented_radix_sort_implINS0_14default_configELb1EPKiPiPKlPlN2at6native12_GLOBAL__N_18offset_tEEE10hipError_tPvRmT1_PNSt15iterator_traitsIS12_E10value_typeET2_T3_PNS13_IS18_E10value_typeET4_jRbjT5_S1E_jjP12ihipStream_tbEUljE_ZNSN_ISO_Lb1ESQ_SR_ST_SU_SY_EESZ_S10_S11_S12_S16_S17_S18_S1B_S1C_jS1D_jS1E_S1E_jjS1G_bEUljE0_EEESZ_S10_S11_S18_S1C_S1E_T6_T7_T9_mT8_S1G_bDpT10_ENKUlT_T0_E_clISt17integral_constantIbLb0EES1U_EEDaS1P_S1Q_EUlS1P_E_NS1_11comp_targetILNS1_3genE2ELNS1_11target_archE906ELNS1_3gpuE6ELNS1_3repE0EEENS1_30default_config_static_selectorELNS0_4arch9wavefront6targetE0EEEvS12_.has_recursion, 0
	.set _ZN7rocprim17ROCPRIM_400000_NS6detail17trampoline_kernelINS0_13select_configILj256ELj13ELNS0_17block_load_methodE3ELS4_3ELS4_3ELNS0_20block_scan_algorithmE0ELj4294967295EEENS1_25partition_config_selectorILNS1_17partition_subalgoE4EjNS0_10empty_typeEbEEZZNS1_14partition_implILS8_4ELb0ES6_15HIP_vector_typeIjLj2EENS0_17counting_iteratorIjlEEPS9_SG_NS0_5tupleIJPjSI_NS0_16reverse_iteratorISI_EEEEENSH_IJSG_SG_SG_EEES9_SI_JZNS1_25segmented_radix_sort_implINS0_14default_configELb1EPKiPiPKlPlN2at6native12_GLOBAL__N_18offset_tEEE10hipError_tPvRmT1_PNSt15iterator_traitsIS12_E10value_typeET2_T3_PNS13_IS18_E10value_typeET4_jRbjT5_S1E_jjP12ihipStream_tbEUljE_ZNSN_ISO_Lb1ESQ_SR_ST_SU_SY_EESZ_S10_S11_S12_S16_S17_S18_S1B_S1C_jS1D_jS1E_S1E_jjS1G_bEUljE0_EEESZ_S10_S11_S18_S1C_S1E_T6_T7_T9_mT8_S1G_bDpT10_ENKUlT_T0_E_clISt17integral_constantIbLb0EES1U_EEDaS1P_S1Q_EUlS1P_E_NS1_11comp_targetILNS1_3genE2ELNS1_11target_archE906ELNS1_3gpuE6ELNS1_3repE0EEENS1_30default_config_static_selectorELNS0_4arch9wavefront6targetE0EEEvS12_.has_indirect_call, 0
	.section	.AMDGPU.csdata,"",@progbits
; Kernel info:
; codeLenInByte = 0
; TotalNumSgprs: 0
; NumVgprs: 0
; ScratchSize: 0
; MemoryBound: 0
; FloatMode: 240
; IeeeMode: 1
; LDSByteSize: 0 bytes/workgroup (compile time only)
; SGPRBlocks: 0
; VGPRBlocks: 0
; NumSGPRsForWavesPerEU: 1
; NumVGPRsForWavesPerEU: 1
; NamedBarCnt: 0
; Occupancy: 16
; WaveLimiterHint : 0
; COMPUTE_PGM_RSRC2:SCRATCH_EN: 0
; COMPUTE_PGM_RSRC2:USER_SGPR: 2
; COMPUTE_PGM_RSRC2:TRAP_HANDLER: 0
; COMPUTE_PGM_RSRC2:TGID_X_EN: 1
; COMPUTE_PGM_RSRC2:TGID_Y_EN: 0
; COMPUTE_PGM_RSRC2:TGID_Z_EN: 0
; COMPUTE_PGM_RSRC2:TIDIG_COMP_CNT: 0
	.section	.text._ZN7rocprim17ROCPRIM_400000_NS6detail17trampoline_kernelINS0_13select_configILj256ELj13ELNS0_17block_load_methodE3ELS4_3ELS4_3ELNS0_20block_scan_algorithmE0ELj4294967295EEENS1_25partition_config_selectorILNS1_17partition_subalgoE4EjNS0_10empty_typeEbEEZZNS1_14partition_implILS8_4ELb0ES6_15HIP_vector_typeIjLj2EENS0_17counting_iteratorIjlEEPS9_SG_NS0_5tupleIJPjSI_NS0_16reverse_iteratorISI_EEEEENSH_IJSG_SG_SG_EEES9_SI_JZNS1_25segmented_radix_sort_implINS0_14default_configELb1EPKiPiPKlPlN2at6native12_GLOBAL__N_18offset_tEEE10hipError_tPvRmT1_PNSt15iterator_traitsIS12_E10value_typeET2_T3_PNS13_IS18_E10value_typeET4_jRbjT5_S1E_jjP12ihipStream_tbEUljE_ZNSN_ISO_Lb1ESQ_SR_ST_SU_SY_EESZ_S10_S11_S12_S16_S17_S18_S1B_S1C_jS1D_jS1E_S1E_jjS1G_bEUljE0_EEESZ_S10_S11_S18_S1C_S1E_T6_T7_T9_mT8_S1G_bDpT10_ENKUlT_T0_E_clISt17integral_constantIbLb0EES1U_EEDaS1P_S1Q_EUlS1P_E_NS1_11comp_targetILNS1_3genE10ELNS1_11target_archE1200ELNS1_3gpuE4ELNS1_3repE0EEENS1_30default_config_static_selectorELNS0_4arch9wavefront6targetE0EEEvS12_,"axG",@progbits,_ZN7rocprim17ROCPRIM_400000_NS6detail17trampoline_kernelINS0_13select_configILj256ELj13ELNS0_17block_load_methodE3ELS4_3ELS4_3ELNS0_20block_scan_algorithmE0ELj4294967295EEENS1_25partition_config_selectorILNS1_17partition_subalgoE4EjNS0_10empty_typeEbEEZZNS1_14partition_implILS8_4ELb0ES6_15HIP_vector_typeIjLj2EENS0_17counting_iteratorIjlEEPS9_SG_NS0_5tupleIJPjSI_NS0_16reverse_iteratorISI_EEEEENSH_IJSG_SG_SG_EEES9_SI_JZNS1_25segmented_radix_sort_implINS0_14default_configELb1EPKiPiPKlPlN2at6native12_GLOBAL__N_18offset_tEEE10hipError_tPvRmT1_PNSt15iterator_traitsIS12_E10value_typeET2_T3_PNS13_IS18_E10value_typeET4_jRbjT5_S1E_jjP12ihipStream_tbEUljE_ZNSN_ISO_Lb1ESQ_SR_ST_SU_SY_EESZ_S10_S11_S12_S16_S17_S18_S1B_S1C_jS1D_jS1E_S1E_jjS1G_bEUljE0_EEESZ_S10_S11_S18_S1C_S1E_T6_T7_T9_mT8_S1G_bDpT10_ENKUlT_T0_E_clISt17integral_constantIbLb0EES1U_EEDaS1P_S1Q_EUlS1P_E_NS1_11comp_targetILNS1_3genE10ELNS1_11target_archE1200ELNS1_3gpuE4ELNS1_3repE0EEENS1_30default_config_static_selectorELNS0_4arch9wavefront6targetE0EEEvS12_,comdat
	.globl	_ZN7rocprim17ROCPRIM_400000_NS6detail17trampoline_kernelINS0_13select_configILj256ELj13ELNS0_17block_load_methodE3ELS4_3ELS4_3ELNS0_20block_scan_algorithmE0ELj4294967295EEENS1_25partition_config_selectorILNS1_17partition_subalgoE4EjNS0_10empty_typeEbEEZZNS1_14partition_implILS8_4ELb0ES6_15HIP_vector_typeIjLj2EENS0_17counting_iteratorIjlEEPS9_SG_NS0_5tupleIJPjSI_NS0_16reverse_iteratorISI_EEEEENSH_IJSG_SG_SG_EEES9_SI_JZNS1_25segmented_radix_sort_implINS0_14default_configELb1EPKiPiPKlPlN2at6native12_GLOBAL__N_18offset_tEEE10hipError_tPvRmT1_PNSt15iterator_traitsIS12_E10value_typeET2_T3_PNS13_IS18_E10value_typeET4_jRbjT5_S1E_jjP12ihipStream_tbEUljE_ZNSN_ISO_Lb1ESQ_SR_ST_SU_SY_EESZ_S10_S11_S12_S16_S17_S18_S1B_S1C_jS1D_jS1E_S1E_jjS1G_bEUljE0_EEESZ_S10_S11_S18_S1C_S1E_T6_T7_T9_mT8_S1G_bDpT10_ENKUlT_T0_E_clISt17integral_constantIbLb0EES1U_EEDaS1P_S1Q_EUlS1P_E_NS1_11comp_targetILNS1_3genE10ELNS1_11target_archE1200ELNS1_3gpuE4ELNS1_3repE0EEENS1_30default_config_static_selectorELNS0_4arch9wavefront6targetE0EEEvS12_ ; -- Begin function _ZN7rocprim17ROCPRIM_400000_NS6detail17trampoline_kernelINS0_13select_configILj256ELj13ELNS0_17block_load_methodE3ELS4_3ELS4_3ELNS0_20block_scan_algorithmE0ELj4294967295EEENS1_25partition_config_selectorILNS1_17partition_subalgoE4EjNS0_10empty_typeEbEEZZNS1_14partition_implILS8_4ELb0ES6_15HIP_vector_typeIjLj2EENS0_17counting_iteratorIjlEEPS9_SG_NS0_5tupleIJPjSI_NS0_16reverse_iteratorISI_EEEEENSH_IJSG_SG_SG_EEES9_SI_JZNS1_25segmented_radix_sort_implINS0_14default_configELb1EPKiPiPKlPlN2at6native12_GLOBAL__N_18offset_tEEE10hipError_tPvRmT1_PNSt15iterator_traitsIS12_E10value_typeET2_T3_PNS13_IS18_E10value_typeET4_jRbjT5_S1E_jjP12ihipStream_tbEUljE_ZNSN_ISO_Lb1ESQ_SR_ST_SU_SY_EESZ_S10_S11_S12_S16_S17_S18_S1B_S1C_jS1D_jS1E_S1E_jjS1G_bEUljE0_EEESZ_S10_S11_S18_S1C_S1E_T6_T7_T9_mT8_S1G_bDpT10_ENKUlT_T0_E_clISt17integral_constantIbLb0EES1U_EEDaS1P_S1Q_EUlS1P_E_NS1_11comp_targetILNS1_3genE10ELNS1_11target_archE1200ELNS1_3gpuE4ELNS1_3repE0EEENS1_30default_config_static_selectorELNS0_4arch9wavefront6targetE0EEEvS12_
	.p2align	8
	.type	_ZN7rocprim17ROCPRIM_400000_NS6detail17trampoline_kernelINS0_13select_configILj256ELj13ELNS0_17block_load_methodE3ELS4_3ELS4_3ELNS0_20block_scan_algorithmE0ELj4294967295EEENS1_25partition_config_selectorILNS1_17partition_subalgoE4EjNS0_10empty_typeEbEEZZNS1_14partition_implILS8_4ELb0ES6_15HIP_vector_typeIjLj2EENS0_17counting_iteratorIjlEEPS9_SG_NS0_5tupleIJPjSI_NS0_16reverse_iteratorISI_EEEEENSH_IJSG_SG_SG_EEES9_SI_JZNS1_25segmented_radix_sort_implINS0_14default_configELb1EPKiPiPKlPlN2at6native12_GLOBAL__N_18offset_tEEE10hipError_tPvRmT1_PNSt15iterator_traitsIS12_E10value_typeET2_T3_PNS13_IS18_E10value_typeET4_jRbjT5_S1E_jjP12ihipStream_tbEUljE_ZNSN_ISO_Lb1ESQ_SR_ST_SU_SY_EESZ_S10_S11_S12_S16_S17_S18_S1B_S1C_jS1D_jS1E_S1E_jjS1G_bEUljE0_EEESZ_S10_S11_S18_S1C_S1E_T6_T7_T9_mT8_S1G_bDpT10_ENKUlT_T0_E_clISt17integral_constantIbLb0EES1U_EEDaS1P_S1Q_EUlS1P_E_NS1_11comp_targetILNS1_3genE10ELNS1_11target_archE1200ELNS1_3gpuE4ELNS1_3repE0EEENS1_30default_config_static_selectorELNS0_4arch9wavefront6targetE0EEEvS12_,@function
_ZN7rocprim17ROCPRIM_400000_NS6detail17trampoline_kernelINS0_13select_configILj256ELj13ELNS0_17block_load_methodE3ELS4_3ELS4_3ELNS0_20block_scan_algorithmE0ELj4294967295EEENS1_25partition_config_selectorILNS1_17partition_subalgoE4EjNS0_10empty_typeEbEEZZNS1_14partition_implILS8_4ELb0ES6_15HIP_vector_typeIjLj2EENS0_17counting_iteratorIjlEEPS9_SG_NS0_5tupleIJPjSI_NS0_16reverse_iteratorISI_EEEEENSH_IJSG_SG_SG_EEES9_SI_JZNS1_25segmented_radix_sort_implINS0_14default_configELb1EPKiPiPKlPlN2at6native12_GLOBAL__N_18offset_tEEE10hipError_tPvRmT1_PNSt15iterator_traitsIS12_E10value_typeET2_T3_PNS13_IS18_E10value_typeET4_jRbjT5_S1E_jjP12ihipStream_tbEUljE_ZNSN_ISO_Lb1ESQ_SR_ST_SU_SY_EESZ_S10_S11_S12_S16_S17_S18_S1B_S1C_jS1D_jS1E_S1E_jjS1G_bEUljE0_EEESZ_S10_S11_S18_S1C_S1E_T6_T7_T9_mT8_S1G_bDpT10_ENKUlT_T0_E_clISt17integral_constantIbLb0EES1U_EEDaS1P_S1Q_EUlS1P_E_NS1_11comp_targetILNS1_3genE10ELNS1_11target_archE1200ELNS1_3gpuE4ELNS1_3repE0EEENS1_30default_config_static_selectorELNS0_4arch9wavefront6targetE0EEEvS12_: ; @_ZN7rocprim17ROCPRIM_400000_NS6detail17trampoline_kernelINS0_13select_configILj256ELj13ELNS0_17block_load_methodE3ELS4_3ELS4_3ELNS0_20block_scan_algorithmE0ELj4294967295EEENS1_25partition_config_selectorILNS1_17partition_subalgoE4EjNS0_10empty_typeEbEEZZNS1_14partition_implILS8_4ELb0ES6_15HIP_vector_typeIjLj2EENS0_17counting_iteratorIjlEEPS9_SG_NS0_5tupleIJPjSI_NS0_16reverse_iteratorISI_EEEEENSH_IJSG_SG_SG_EEES9_SI_JZNS1_25segmented_radix_sort_implINS0_14default_configELb1EPKiPiPKlPlN2at6native12_GLOBAL__N_18offset_tEEE10hipError_tPvRmT1_PNSt15iterator_traitsIS12_E10value_typeET2_T3_PNS13_IS18_E10value_typeET4_jRbjT5_S1E_jjP12ihipStream_tbEUljE_ZNSN_ISO_Lb1ESQ_SR_ST_SU_SY_EESZ_S10_S11_S12_S16_S17_S18_S1B_S1C_jS1D_jS1E_S1E_jjS1G_bEUljE0_EEESZ_S10_S11_S18_S1C_S1E_T6_T7_T9_mT8_S1G_bDpT10_ENKUlT_T0_E_clISt17integral_constantIbLb0EES1U_EEDaS1P_S1Q_EUlS1P_E_NS1_11comp_targetILNS1_3genE10ELNS1_11target_archE1200ELNS1_3gpuE4ELNS1_3repE0EEENS1_30default_config_static_selectorELNS0_4arch9wavefront6targetE0EEEvS12_
; %bb.0:
	.section	.rodata,"a",@progbits
	.p2align	6, 0x0
	.amdhsa_kernel _ZN7rocprim17ROCPRIM_400000_NS6detail17trampoline_kernelINS0_13select_configILj256ELj13ELNS0_17block_load_methodE3ELS4_3ELS4_3ELNS0_20block_scan_algorithmE0ELj4294967295EEENS1_25partition_config_selectorILNS1_17partition_subalgoE4EjNS0_10empty_typeEbEEZZNS1_14partition_implILS8_4ELb0ES6_15HIP_vector_typeIjLj2EENS0_17counting_iteratorIjlEEPS9_SG_NS0_5tupleIJPjSI_NS0_16reverse_iteratorISI_EEEEENSH_IJSG_SG_SG_EEES9_SI_JZNS1_25segmented_radix_sort_implINS0_14default_configELb1EPKiPiPKlPlN2at6native12_GLOBAL__N_18offset_tEEE10hipError_tPvRmT1_PNSt15iterator_traitsIS12_E10value_typeET2_T3_PNS13_IS18_E10value_typeET4_jRbjT5_S1E_jjP12ihipStream_tbEUljE_ZNSN_ISO_Lb1ESQ_SR_ST_SU_SY_EESZ_S10_S11_S12_S16_S17_S18_S1B_S1C_jS1D_jS1E_S1E_jjS1G_bEUljE0_EEESZ_S10_S11_S18_S1C_S1E_T6_T7_T9_mT8_S1G_bDpT10_ENKUlT_T0_E_clISt17integral_constantIbLb0EES1U_EEDaS1P_S1Q_EUlS1P_E_NS1_11comp_targetILNS1_3genE10ELNS1_11target_archE1200ELNS1_3gpuE4ELNS1_3repE0EEENS1_30default_config_static_selectorELNS0_4arch9wavefront6targetE0EEEvS12_
		.amdhsa_group_segment_fixed_size 0
		.amdhsa_private_segment_fixed_size 0
		.amdhsa_kernarg_size 176
		.amdhsa_user_sgpr_count 2
		.amdhsa_user_sgpr_dispatch_ptr 0
		.amdhsa_user_sgpr_queue_ptr 0
		.amdhsa_user_sgpr_kernarg_segment_ptr 1
		.amdhsa_user_sgpr_dispatch_id 0
		.amdhsa_user_sgpr_kernarg_preload_length 0
		.amdhsa_user_sgpr_kernarg_preload_offset 0
		.amdhsa_user_sgpr_private_segment_size 0
		.amdhsa_wavefront_size32 1
		.amdhsa_uses_dynamic_stack 0
		.amdhsa_enable_private_segment 0
		.amdhsa_system_sgpr_workgroup_id_x 1
		.amdhsa_system_sgpr_workgroup_id_y 0
		.amdhsa_system_sgpr_workgroup_id_z 0
		.amdhsa_system_sgpr_workgroup_info 0
		.amdhsa_system_vgpr_workitem_id 0
		.amdhsa_next_free_vgpr 1
		.amdhsa_next_free_sgpr 1
		.amdhsa_named_barrier_count 0
		.amdhsa_reserve_vcc 0
		.amdhsa_float_round_mode_32 0
		.amdhsa_float_round_mode_16_64 0
		.amdhsa_float_denorm_mode_32 3
		.amdhsa_float_denorm_mode_16_64 3
		.amdhsa_fp16_overflow 0
		.amdhsa_memory_ordered 1
		.amdhsa_forward_progress 1
		.amdhsa_inst_pref_size 0
		.amdhsa_round_robin_scheduling 0
		.amdhsa_exception_fp_ieee_invalid_op 0
		.amdhsa_exception_fp_denorm_src 0
		.amdhsa_exception_fp_ieee_div_zero 0
		.amdhsa_exception_fp_ieee_overflow 0
		.amdhsa_exception_fp_ieee_underflow 0
		.amdhsa_exception_fp_ieee_inexact 0
		.amdhsa_exception_int_div_zero 0
	.end_amdhsa_kernel
	.section	.text._ZN7rocprim17ROCPRIM_400000_NS6detail17trampoline_kernelINS0_13select_configILj256ELj13ELNS0_17block_load_methodE3ELS4_3ELS4_3ELNS0_20block_scan_algorithmE0ELj4294967295EEENS1_25partition_config_selectorILNS1_17partition_subalgoE4EjNS0_10empty_typeEbEEZZNS1_14partition_implILS8_4ELb0ES6_15HIP_vector_typeIjLj2EENS0_17counting_iteratorIjlEEPS9_SG_NS0_5tupleIJPjSI_NS0_16reverse_iteratorISI_EEEEENSH_IJSG_SG_SG_EEES9_SI_JZNS1_25segmented_radix_sort_implINS0_14default_configELb1EPKiPiPKlPlN2at6native12_GLOBAL__N_18offset_tEEE10hipError_tPvRmT1_PNSt15iterator_traitsIS12_E10value_typeET2_T3_PNS13_IS18_E10value_typeET4_jRbjT5_S1E_jjP12ihipStream_tbEUljE_ZNSN_ISO_Lb1ESQ_SR_ST_SU_SY_EESZ_S10_S11_S12_S16_S17_S18_S1B_S1C_jS1D_jS1E_S1E_jjS1G_bEUljE0_EEESZ_S10_S11_S18_S1C_S1E_T6_T7_T9_mT8_S1G_bDpT10_ENKUlT_T0_E_clISt17integral_constantIbLb0EES1U_EEDaS1P_S1Q_EUlS1P_E_NS1_11comp_targetILNS1_3genE10ELNS1_11target_archE1200ELNS1_3gpuE4ELNS1_3repE0EEENS1_30default_config_static_selectorELNS0_4arch9wavefront6targetE0EEEvS12_,"axG",@progbits,_ZN7rocprim17ROCPRIM_400000_NS6detail17trampoline_kernelINS0_13select_configILj256ELj13ELNS0_17block_load_methodE3ELS4_3ELS4_3ELNS0_20block_scan_algorithmE0ELj4294967295EEENS1_25partition_config_selectorILNS1_17partition_subalgoE4EjNS0_10empty_typeEbEEZZNS1_14partition_implILS8_4ELb0ES6_15HIP_vector_typeIjLj2EENS0_17counting_iteratorIjlEEPS9_SG_NS0_5tupleIJPjSI_NS0_16reverse_iteratorISI_EEEEENSH_IJSG_SG_SG_EEES9_SI_JZNS1_25segmented_radix_sort_implINS0_14default_configELb1EPKiPiPKlPlN2at6native12_GLOBAL__N_18offset_tEEE10hipError_tPvRmT1_PNSt15iterator_traitsIS12_E10value_typeET2_T3_PNS13_IS18_E10value_typeET4_jRbjT5_S1E_jjP12ihipStream_tbEUljE_ZNSN_ISO_Lb1ESQ_SR_ST_SU_SY_EESZ_S10_S11_S12_S16_S17_S18_S1B_S1C_jS1D_jS1E_S1E_jjS1G_bEUljE0_EEESZ_S10_S11_S18_S1C_S1E_T6_T7_T9_mT8_S1G_bDpT10_ENKUlT_T0_E_clISt17integral_constantIbLb0EES1U_EEDaS1P_S1Q_EUlS1P_E_NS1_11comp_targetILNS1_3genE10ELNS1_11target_archE1200ELNS1_3gpuE4ELNS1_3repE0EEENS1_30default_config_static_selectorELNS0_4arch9wavefront6targetE0EEEvS12_,comdat
.Lfunc_end434:
	.size	_ZN7rocprim17ROCPRIM_400000_NS6detail17trampoline_kernelINS0_13select_configILj256ELj13ELNS0_17block_load_methodE3ELS4_3ELS4_3ELNS0_20block_scan_algorithmE0ELj4294967295EEENS1_25partition_config_selectorILNS1_17partition_subalgoE4EjNS0_10empty_typeEbEEZZNS1_14partition_implILS8_4ELb0ES6_15HIP_vector_typeIjLj2EENS0_17counting_iteratorIjlEEPS9_SG_NS0_5tupleIJPjSI_NS0_16reverse_iteratorISI_EEEEENSH_IJSG_SG_SG_EEES9_SI_JZNS1_25segmented_radix_sort_implINS0_14default_configELb1EPKiPiPKlPlN2at6native12_GLOBAL__N_18offset_tEEE10hipError_tPvRmT1_PNSt15iterator_traitsIS12_E10value_typeET2_T3_PNS13_IS18_E10value_typeET4_jRbjT5_S1E_jjP12ihipStream_tbEUljE_ZNSN_ISO_Lb1ESQ_SR_ST_SU_SY_EESZ_S10_S11_S12_S16_S17_S18_S1B_S1C_jS1D_jS1E_S1E_jjS1G_bEUljE0_EEESZ_S10_S11_S18_S1C_S1E_T6_T7_T9_mT8_S1G_bDpT10_ENKUlT_T0_E_clISt17integral_constantIbLb0EES1U_EEDaS1P_S1Q_EUlS1P_E_NS1_11comp_targetILNS1_3genE10ELNS1_11target_archE1200ELNS1_3gpuE4ELNS1_3repE0EEENS1_30default_config_static_selectorELNS0_4arch9wavefront6targetE0EEEvS12_, .Lfunc_end434-_ZN7rocprim17ROCPRIM_400000_NS6detail17trampoline_kernelINS0_13select_configILj256ELj13ELNS0_17block_load_methodE3ELS4_3ELS4_3ELNS0_20block_scan_algorithmE0ELj4294967295EEENS1_25partition_config_selectorILNS1_17partition_subalgoE4EjNS0_10empty_typeEbEEZZNS1_14partition_implILS8_4ELb0ES6_15HIP_vector_typeIjLj2EENS0_17counting_iteratorIjlEEPS9_SG_NS0_5tupleIJPjSI_NS0_16reverse_iteratorISI_EEEEENSH_IJSG_SG_SG_EEES9_SI_JZNS1_25segmented_radix_sort_implINS0_14default_configELb1EPKiPiPKlPlN2at6native12_GLOBAL__N_18offset_tEEE10hipError_tPvRmT1_PNSt15iterator_traitsIS12_E10value_typeET2_T3_PNS13_IS18_E10value_typeET4_jRbjT5_S1E_jjP12ihipStream_tbEUljE_ZNSN_ISO_Lb1ESQ_SR_ST_SU_SY_EESZ_S10_S11_S12_S16_S17_S18_S1B_S1C_jS1D_jS1E_S1E_jjS1G_bEUljE0_EEESZ_S10_S11_S18_S1C_S1E_T6_T7_T9_mT8_S1G_bDpT10_ENKUlT_T0_E_clISt17integral_constantIbLb0EES1U_EEDaS1P_S1Q_EUlS1P_E_NS1_11comp_targetILNS1_3genE10ELNS1_11target_archE1200ELNS1_3gpuE4ELNS1_3repE0EEENS1_30default_config_static_selectorELNS0_4arch9wavefront6targetE0EEEvS12_
                                        ; -- End function
	.set _ZN7rocprim17ROCPRIM_400000_NS6detail17trampoline_kernelINS0_13select_configILj256ELj13ELNS0_17block_load_methodE3ELS4_3ELS4_3ELNS0_20block_scan_algorithmE0ELj4294967295EEENS1_25partition_config_selectorILNS1_17partition_subalgoE4EjNS0_10empty_typeEbEEZZNS1_14partition_implILS8_4ELb0ES6_15HIP_vector_typeIjLj2EENS0_17counting_iteratorIjlEEPS9_SG_NS0_5tupleIJPjSI_NS0_16reverse_iteratorISI_EEEEENSH_IJSG_SG_SG_EEES9_SI_JZNS1_25segmented_radix_sort_implINS0_14default_configELb1EPKiPiPKlPlN2at6native12_GLOBAL__N_18offset_tEEE10hipError_tPvRmT1_PNSt15iterator_traitsIS12_E10value_typeET2_T3_PNS13_IS18_E10value_typeET4_jRbjT5_S1E_jjP12ihipStream_tbEUljE_ZNSN_ISO_Lb1ESQ_SR_ST_SU_SY_EESZ_S10_S11_S12_S16_S17_S18_S1B_S1C_jS1D_jS1E_S1E_jjS1G_bEUljE0_EEESZ_S10_S11_S18_S1C_S1E_T6_T7_T9_mT8_S1G_bDpT10_ENKUlT_T0_E_clISt17integral_constantIbLb0EES1U_EEDaS1P_S1Q_EUlS1P_E_NS1_11comp_targetILNS1_3genE10ELNS1_11target_archE1200ELNS1_3gpuE4ELNS1_3repE0EEENS1_30default_config_static_selectorELNS0_4arch9wavefront6targetE0EEEvS12_.num_vgpr, 0
	.set _ZN7rocprim17ROCPRIM_400000_NS6detail17trampoline_kernelINS0_13select_configILj256ELj13ELNS0_17block_load_methodE3ELS4_3ELS4_3ELNS0_20block_scan_algorithmE0ELj4294967295EEENS1_25partition_config_selectorILNS1_17partition_subalgoE4EjNS0_10empty_typeEbEEZZNS1_14partition_implILS8_4ELb0ES6_15HIP_vector_typeIjLj2EENS0_17counting_iteratorIjlEEPS9_SG_NS0_5tupleIJPjSI_NS0_16reverse_iteratorISI_EEEEENSH_IJSG_SG_SG_EEES9_SI_JZNS1_25segmented_radix_sort_implINS0_14default_configELb1EPKiPiPKlPlN2at6native12_GLOBAL__N_18offset_tEEE10hipError_tPvRmT1_PNSt15iterator_traitsIS12_E10value_typeET2_T3_PNS13_IS18_E10value_typeET4_jRbjT5_S1E_jjP12ihipStream_tbEUljE_ZNSN_ISO_Lb1ESQ_SR_ST_SU_SY_EESZ_S10_S11_S12_S16_S17_S18_S1B_S1C_jS1D_jS1E_S1E_jjS1G_bEUljE0_EEESZ_S10_S11_S18_S1C_S1E_T6_T7_T9_mT8_S1G_bDpT10_ENKUlT_T0_E_clISt17integral_constantIbLb0EES1U_EEDaS1P_S1Q_EUlS1P_E_NS1_11comp_targetILNS1_3genE10ELNS1_11target_archE1200ELNS1_3gpuE4ELNS1_3repE0EEENS1_30default_config_static_selectorELNS0_4arch9wavefront6targetE0EEEvS12_.num_agpr, 0
	.set _ZN7rocprim17ROCPRIM_400000_NS6detail17trampoline_kernelINS0_13select_configILj256ELj13ELNS0_17block_load_methodE3ELS4_3ELS4_3ELNS0_20block_scan_algorithmE0ELj4294967295EEENS1_25partition_config_selectorILNS1_17partition_subalgoE4EjNS0_10empty_typeEbEEZZNS1_14partition_implILS8_4ELb0ES6_15HIP_vector_typeIjLj2EENS0_17counting_iteratorIjlEEPS9_SG_NS0_5tupleIJPjSI_NS0_16reverse_iteratorISI_EEEEENSH_IJSG_SG_SG_EEES9_SI_JZNS1_25segmented_radix_sort_implINS0_14default_configELb1EPKiPiPKlPlN2at6native12_GLOBAL__N_18offset_tEEE10hipError_tPvRmT1_PNSt15iterator_traitsIS12_E10value_typeET2_T3_PNS13_IS18_E10value_typeET4_jRbjT5_S1E_jjP12ihipStream_tbEUljE_ZNSN_ISO_Lb1ESQ_SR_ST_SU_SY_EESZ_S10_S11_S12_S16_S17_S18_S1B_S1C_jS1D_jS1E_S1E_jjS1G_bEUljE0_EEESZ_S10_S11_S18_S1C_S1E_T6_T7_T9_mT8_S1G_bDpT10_ENKUlT_T0_E_clISt17integral_constantIbLb0EES1U_EEDaS1P_S1Q_EUlS1P_E_NS1_11comp_targetILNS1_3genE10ELNS1_11target_archE1200ELNS1_3gpuE4ELNS1_3repE0EEENS1_30default_config_static_selectorELNS0_4arch9wavefront6targetE0EEEvS12_.numbered_sgpr, 0
	.set _ZN7rocprim17ROCPRIM_400000_NS6detail17trampoline_kernelINS0_13select_configILj256ELj13ELNS0_17block_load_methodE3ELS4_3ELS4_3ELNS0_20block_scan_algorithmE0ELj4294967295EEENS1_25partition_config_selectorILNS1_17partition_subalgoE4EjNS0_10empty_typeEbEEZZNS1_14partition_implILS8_4ELb0ES6_15HIP_vector_typeIjLj2EENS0_17counting_iteratorIjlEEPS9_SG_NS0_5tupleIJPjSI_NS0_16reverse_iteratorISI_EEEEENSH_IJSG_SG_SG_EEES9_SI_JZNS1_25segmented_radix_sort_implINS0_14default_configELb1EPKiPiPKlPlN2at6native12_GLOBAL__N_18offset_tEEE10hipError_tPvRmT1_PNSt15iterator_traitsIS12_E10value_typeET2_T3_PNS13_IS18_E10value_typeET4_jRbjT5_S1E_jjP12ihipStream_tbEUljE_ZNSN_ISO_Lb1ESQ_SR_ST_SU_SY_EESZ_S10_S11_S12_S16_S17_S18_S1B_S1C_jS1D_jS1E_S1E_jjS1G_bEUljE0_EEESZ_S10_S11_S18_S1C_S1E_T6_T7_T9_mT8_S1G_bDpT10_ENKUlT_T0_E_clISt17integral_constantIbLb0EES1U_EEDaS1P_S1Q_EUlS1P_E_NS1_11comp_targetILNS1_3genE10ELNS1_11target_archE1200ELNS1_3gpuE4ELNS1_3repE0EEENS1_30default_config_static_selectorELNS0_4arch9wavefront6targetE0EEEvS12_.num_named_barrier, 0
	.set _ZN7rocprim17ROCPRIM_400000_NS6detail17trampoline_kernelINS0_13select_configILj256ELj13ELNS0_17block_load_methodE3ELS4_3ELS4_3ELNS0_20block_scan_algorithmE0ELj4294967295EEENS1_25partition_config_selectorILNS1_17partition_subalgoE4EjNS0_10empty_typeEbEEZZNS1_14partition_implILS8_4ELb0ES6_15HIP_vector_typeIjLj2EENS0_17counting_iteratorIjlEEPS9_SG_NS0_5tupleIJPjSI_NS0_16reverse_iteratorISI_EEEEENSH_IJSG_SG_SG_EEES9_SI_JZNS1_25segmented_radix_sort_implINS0_14default_configELb1EPKiPiPKlPlN2at6native12_GLOBAL__N_18offset_tEEE10hipError_tPvRmT1_PNSt15iterator_traitsIS12_E10value_typeET2_T3_PNS13_IS18_E10value_typeET4_jRbjT5_S1E_jjP12ihipStream_tbEUljE_ZNSN_ISO_Lb1ESQ_SR_ST_SU_SY_EESZ_S10_S11_S12_S16_S17_S18_S1B_S1C_jS1D_jS1E_S1E_jjS1G_bEUljE0_EEESZ_S10_S11_S18_S1C_S1E_T6_T7_T9_mT8_S1G_bDpT10_ENKUlT_T0_E_clISt17integral_constantIbLb0EES1U_EEDaS1P_S1Q_EUlS1P_E_NS1_11comp_targetILNS1_3genE10ELNS1_11target_archE1200ELNS1_3gpuE4ELNS1_3repE0EEENS1_30default_config_static_selectorELNS0_4arch9wavefront6targetE0EEEvS12_.private_seg_size, 0
	.set _ZN7rocprim17ROCPRIM_400000_NS6detail17trampoline_kernelINS0_13select_configILj256ELj13ELNS0_17block_load_methodE3ELS4_3ELS4_3ELNS0_20block_scan_algorithmE0ELj4294967295EEENS1_25partition_config_selectorILNS1_17partition_subalgoE4EjNS0_10empty_typeEbEEZZNS1_14partition_implILS8_4ELb0ES6_15HIP_vector_typeIjLj2EENS0_17counting_iteratorIjlEEPS9_SG_NS0_5tupleIJPjSI_NS0_16reverse_iteratorISI_EEEEENSH_IJSG_SG_SG_EEES9_SI_JZNS1_25segmented_radix_sort_implINS0_14default_configELb1EPKiPiPKlPlN2at6native12_GLOBAL__N_18offset_tEEE10hipError_tPvRmT1_PNSt15iterator_traitsIS12_E10value_typeET2_T3_PNS13_IS18_E10value_typeET4_jRbjT5_S1E_jjP12ihipStream_tbEUljE_ZNSN_ISO_Lb1ESQ_SR_ST_SU_SY_EESZ_S10_S11_S12_S16_S17_S18_S1B_S1C_jS1D_jS1E_S1E_jjS1G_bEUljE0_EEESZ_S10_S11_S18_S1C_S1E_T6_T7_T9_mT8_S1G_bDpT10_ENKUlT_T0_E_clISt17integral_constantIbLb0EES1U_EEDaS1P_S1Q_EUlS1P_E_NS1_11comp_targetILNS1_3genE10ELNS1_11target_archE1200ELNS1_3gpuE4ELNS1_3repE0EEENS1_30default_config_static_selectorELNS0_4arch9wavefront6targetE0EEEvS12_.uses_vcc, 0
	.set _ZN7rocprim17ROCPRIM_400000_NS6detail17trampoline_kernelINS0_13select_configILj256ELj13ELNS0_17block_load_methodE3ELS4_3ELS4_3ELNS0_20block_scan_algorithmE0ELj4294967295EEENS1_25partition_config_selectorILNS1_17partition_subalgoE4EjNS0_10empty_typeEbEEZZNS1_14partition_implILS8_4ELb0ES6_15HIP_vector_typeIjLj2EENS0_17counting_iteratorIjlEEPS9_SG_NS0_5tupleIJPjSI_NS0_16reverse_iteratorISI_EEEEENSH_IJSG_SG_SG_EEES9_SI_JZNS1_25segmented_radix_sort_implINS0_14default_configELb1EPKiPiPKlPlN2at6native12_GLOBAL__N_18offset_tEEE10hipError_tPvRmT1_PNSt15iterator_traitsIS12_E10value_typeET2_T3_PNS13_IS18_E10value_typeET4_jRbjT5_S1E_jjP12ihipStream_tbEUljE_ZNSN_ISO_Lb1ESQ_SR_ST_SU_SY_EESZ_S10_S11_S12_S16_S17_S18_S1B_S1C_jS1D_jS1E_S1E_jjS1G_bEUljE0_EEESZ_S10_S11_S18_S1C_S1E_T6_T7_T9_mT8_S1G_bDpT10_ENKUlT_T0_E_clISt17integral_constantIbLb0EES1U_EEDaS1P_S1Q_EUlS1P_E_NS1_11comp_targetILNS1_3genE10ELNS1_11target_archE1200ELNS1_3gpuE4ELNS1_3repE0EEENS1_30default_config_static_selectorELNS0_4arch9wavefront6targetE0EEEvS12_.uses_flat_scratch, 0
	.set _ZN7rocprim17ROCPRIM_400000_NS6detail17trampoline_kernelINS0_13select_configILj256ELj13ELNS0_17block_load_methodE3ELS4_3ELS4_3ELNS0_20block_scan_algorithmE0ELj4294967295EEENS1_25partition_config_selectorILNS1_17partition_subalgoE4EjNS0_10empty_typeEbEEZZNS1_14partition_implILS8_4ELb0ES6_15HIP_vector_typeIjLj2EENS0_17counting_iteratorIjlEEPS9_SG_NS0_5tupleIJPjSI_NS0_16reverse_iteratorISI_EEEEENSH_IJSG_SG_SG_EEES9_SI_JZNS1_25segmented_radix_sort_implINS0_14default_configELb1EPKiPiPKlPlN2at6native12_GLOBAL__N_18offset_tEEE10hipError_tPvRmT1_PNSt15iterator_traitsIS12_E10value_typeET2_T3_PNS13_IS18_E10value_typeET4_jRbjT5_S1E_jjP12ihipStream_tbEUljE_ZNSN_ISO_Lb1ESQ_SR_ST_SU_SY_EESZ_S10_S11_S12_S16_S17_S18_S1B_S1C_jS1D_jS1E_S1E_jjS1G_bEUljE0_EEESZ_S10_S11_S18_S1C_S1E_T6_T7_T9_mT8_S1G_bDpT10_ENKUlT_T0_E_clISt17integral_constantIbLb0EES1U_EEDaS1P_S1Q_EUlS1P_E_NS1_11comp_targetILNS1_3genE10ELNS1_11target_archE1200ELNS1_3gpuE4ELNS1_3repE0EEENS1_30default_config_static_selectorELNS0_4arch9wavefront6targetE0EEEvS12_.has_dyn_sized_stack, 0
	.set _ZN7rocprim17ROCPRIM_400000_NS6detail17trampoline_kernelINS0_13select_configILj256ELj13ELNS0_17block_load_methodE3ELS4_3ELS4_3ELNS0_20block_scan_algorithmE0ELj4294967295EEENS1_25partition_config_selectorILNS1_17partition_subalgoE4EjNS0_10empty_typeEbEEZZNS1_14partition_implILS8_4ELb0ES6_15HIP_vector_typeIjLj2EENS0_17counting_iteratorIjlEEPS9_SG_NS0_5tupleIJPjSI_NS0_16reverse_iteratorISI_EEEEENSH_IJSG_SG_SG_EEES9_SI_JZNS1_25segmented_radix_sort_implINS0_14default_configELb1EPKiPiPKlPlN2at6native12_GLOBAL__N_18offset_tEEE10hipError_tPvRmT1_PNSt15iterator_traitsIS12_E10value_typeET2_T3_PNS13_IS18_E10value_typeET4_jRbjT5_S1E_jjP12ihipStream_tbEUljE_ZNSN_ISO_Lb1ESQ_SR_ST_SU_SY_EESZ_S10_S11_S12_S16_S17_S18_S1B_S1C_jS1D_jS1E_S1E_jjS1G_bEUljE0_EEESZ_S10_S11_S18_S1C_S1E_T6_T7_T9_mT8_S1G_bDpT10_ENKUlT_T0_E_clISt17integral_constantIbLb0EES1U_EEDaS1P_S1Q_EUlS1P_E_NS1_11comp_targetILNS1_3genE10ELNS1_11target_archE1200ELNS1_3gpuE4ELNS1_3repE0EEENS1_30default_config_static_selectorELNS0_4arch9wavefront6targetE0EEEvS12_.has_recursion, 0
	.set _ZN7rocprim17ROCPRIM_400000_NS6detail17trampoline_kernelINS0_13select_configILj256ELj13ELNS0_17block_load_methodE3ELS4_3ELS4_3ELNS0_20block_scan_algorithmE0ELj4294967295EEENS1_25partition_config_selectorILNS1_17partition_subalgoE4EjNS0_10empty_typeEbEEZZNS1_14partition_implILS8_4ELb0ES6_15HIP_vector_typeIjLj2EENS0_17counting_iteratorIjlEEPS9_SG_NS0_5tupleIJPjSI_NS0_16reverse_iteratorISI_EEEEENSH_IJSG_SG_SG_EEES9_SI_JZNS1_25segmented_radix_sort_implINS0_14default_configELb1EPKiPiPKlPlN2at6native12_GLOBAL__N_18offset_tEEE10hipError_tPvRmT1_PNSt15iterator_traitsIS12_E10value_typeET2_T3_PNS13_IS18_E10value_typeET4_jRbjT5_S1E_jjP12ihipStream_tbEUljE_ZNSN_ISO_Lb1ESQ_SR_ST_SU_SY_EESZ_S10_S11_S12_S16_S17_S18_S1B_S1C_jS1D_jS1E_S1E_jjS1G_bEUljE0_EEESZ_S10_S11_S18_S1C_S1E_T6_T7_T9_mT8_S1G_bDpT10_ENKUlT_T0_E_clISt17integral_constantIbLb0EES1U_EEDaS1P_S1Q_EUlS1P_E_NS1_11comp_targetILNS1_3genE10ELNS1_11target_archE1200ELNS1_3gpuE4ELNS1_3repE0EEENS1_30default_config_static_selectorELNS0_4arch9wavefront6targetE0EEEvS12_.has_indirect_call, 0
	.section	.AMDGPU.csdata,"",@progbits
; Kernel info:
; codeLenInByte = 0
; TotalNumSgprs: 0
; NumVgprs: 0
; ScratchSize: 0
; MemoryBound: 0
; FloatMode: 240
; IeeeMode: 1
; LDSByteSize: 0 bytes/workgroup (compile time only)
; SGPRBlocks: 0
; VGPRBlocks: 0
; NumSGPRsForWavesPerEU: 1
; NumVGPRsForWavesPerEU: 1
; NamedBarCnt: 0
; Occupancy: 16
; WaveLimiterHint : 0
; COMPUTE_PGM_RSRC2:SCRATCH_EN: 0
; COMPUTE_PGM_RSRC2:USER_SGPR: 2
; COMPUTE_PGM_RSRC2:TRAP_HANDLER: 0
; COMPUTE_PGM_RSRC2:TGID_X_EN: 1
; COMPUTE_PGM_RSRC2:TGID_Y_EN: 0
; COMPUTE_PGM_RSRC2:TGID_Z_EN: 0
; COMPUTE_PGM_RSRC2:TIDIG_COMP_CNT: 0
	.section	.text._ZN7rocprim17ROCPRIM_400000_NS6detail17trampoline_kernelINS0_13select_configILj256ELj13ELNS0_17block_load_methodE3ELS4_3ELS4_3ELNS0_20block_scan_algorithmE0ELj4294967295EEENS1_25partition_config_selectorILNS1_17partition_subalgoE4EjNS0_10empty_typeEbEEZZNS1_14partition_implILS8_4ELb0ES6_15HIP_vector_typeIjLj2EENS0_17counting_iteratorIjlEEPS9_SG_NS0_5tupleIJPjSI_NS0_16reverse_iteratorISI_EEEEENSH_IJSG_SG_SG_EEES9_SI_JZNS1_25segmented_radix_sort_implINS0_14default_configELb1EPKiPiPKlPlN2at6native12_GLOBAL__N_18offset_tEEE10hipError_tPvRmT1_PNSt15iterator_traitsIS12_E10value_typeET2_T3_PNS13_IS18_E10value_typeET4_jRbjT5_S1E_jjP12ihipStream_tbEUljE_ZNSN_ISO_Lb1ESQ_SR_ST_SU_SY_EESZ_S10_S11_S12_S16_S17_S18_S1B_S1C_jS1D_jS1E_S1E_jjS1G_bEUljE0_EEESZ_S10_S11_S18_S1C_S1E_T6_T7_T9_mT8_S1G_bDpT10_ENKUlT_T0_E_clISt17integral_constantIbLb0EES1U_EEDaS1P_S1Q_EUlS1P_E_NS1_11comp_targetILNS1_3genE9ELNS1_11target_archE1100ELNS1_3gpuE3ELNS1_3repE0EEENS1_30default_config_static_selectorELNS0_4arch9wavefront6targetE0EEEvS12_,"axG",@progbits,_ZN7rocprim17ROCPRIM_400000_NS6detail17trampoline_kernelINS0_13select_configILj256ELj13ELNS0_17block_load_methodE3ELS4_3ELS4_3ELNS0_20block_scan_algorithmE0ELj4294967295EEENS1_25partition_config_selectorILNS1_17partition_subalgoE4EjNS0_10empty_typeEbEEZZNS1_14partition_implILS8_4ELb0ES6_15HIP_vector_typeIjLj2EENS0_17counting_iteratorIjlEEPS9_SG_NS0_5tupleIJPjSI_NS0_16reverse_iteratorISI_EEEEENSH_IJSG_SG_SG_EEES9_SI_JZNS1_25segmented_radix_sort_implINS0_14default_configELb1EPKiPiPKlPlN2at6native12_GLOBAL__N_18offset_tEEE10hipError_tPvRmT1_PNSt15iterator_traitsIS12_E10value_typeET2_T3_PNS13_IS18_E10value_typeET4_jRbjT5_S1E_jjP12ihipStream_tbEUljE_ZNSN_ISO_Lb1ESQ_SR_ST_SU_SY_EESZ_S10_S11_S12_S16_S17_S18_S1B_S1C_jS1D_jS1E_S1E_jjS1G_bEUljE0_EEESZ_S10_S11_S18_S1C_S1E_T6_T7_T9_mT8_S1G_bDpT10_ENKUlT_T0_E_clISt17integral_constantIbLb0EES1U_EEDaS1P_S1Q_EUlS1P_E_NS1_11comp_targetILNS1_3genE9ELNS1_11target_archE1100ELNS1_3gpuE3ELNS1_3repE0EEENS1_30default_config_static_selectorELNS0_4arch9wavefront6targetE0EEEvS12_,comdat
	.globl	_ZN7rocprim17ROCPRIM_400000_NS6detail17trampoline_kernelINS0_13select_configILj256ELj13ELNS0_17block_load_methodE3ELS4_3ELS4_3ELNS0_20block_scan_algorithmE0ELj4294967295EEENS1_25partition_config_selectorILNS1_17partition_subalgoE4EjNS0_10empty_typeEbEEZZNS1_14partition_implILS8_4ELb0ES6_15HIP_vector_typeIjLj2EENS0_17counting_iteratorIjlEEPS9_SG_NS0_5tupleIJPjSI_NS0_16reverse_iteratorISI_EEEEENSH_IJSG_SG_SG_EEES9_SI_JZNS1_25segmented_radix_sort_implINS0_14default_configELb1EPKiPiPKlPlN2at6native12_GLOBAL__N_18offset_tEEE10hipError_tPvRmT1_PNSt15iterator_traitsIS12_E10value_typeET2_T3_PNS13_IS18_E10value_typeET4_jRbjT5_S1E_jjP12ihipStream_tbEUljE_ZNSN_ISO_Lb1ESQ_SR_ST_SU_SY_EESZ_S10_S11_S12_S16_S17_S18_S1B_S1C_jS1D_jS1E_S1E_jjS1G_bEUljE0_EEESZ_S10_S11_S18_S1C_S1E_T6_T7_T9_mT8_S1G_bDpT10_ENKUlT_T0_E_clISt17integral_constantIbLb0EES1U_EEDaS1P_S1Q_EUlS1P_E_NS1_11comp_targetILNS1_3genE9ELNS1_11target_archE1100ELNS1_3gpuE3ELNS1_3repE0EEENS1_30default_config_static_selectorELNS0_4arch9wavefront6targetE0EEEvS12_ ; -- Begin function _ZN7rocprim17ROCPRIM_400000_NS6detail17trampoline_kernelINS0_13select_configILj256ELj13ELNS0_17block_load_methodE3ELS4_3ELS4_3ELNS0_20block_scan_algorithmE0ELj4294967295EEENS1_25partition_config_selectorILNS1_17partition_subalgoE4EjNS0_10empty_typeEbEEZZNS1_14partition_implILS8_4ELb0ES6_15HIP_vector_typeIjLj2EENS0_17counting_iteratorIjlEEPS9_SG_NS0_5tupleIJPjSI_NS0_16reverse_iteratorISI_EEEEENSH_IJSG_SG_SG_EEES9_SI_JZNS1_25segmented_radix_sort_implINS0_14default_configELb1EPKiPiPKlPlN2at6native12_GLOBAL__N_18offset_tEEE10hipError_tPvRmT1_PNSt15iterator_traitsIS12_E10value_typeET2_T3_PNS13_IS18_E10value_typeET4_jRbjT5_S1E_jjP12ihipStream_tbEUljE_ZNSN_ISO_Lb1ESQ_SR_ST_SU_SY_EESZ_S10_S11_S12_S16_S17_S18_S1B_S1C_jS1D_jS1E_S1E_jjS1G_bEUljE0_EEESZ_S10_S11_S18_S1C_S1E_T6_T7_T9_mT8_S1G_bDpT10_ENKUlT_T0_E_clISt17integral_constantIbLb0EES1U_EEDaS1P_S1Q_EUlS1P_E_NS1_11comp_targetILNS1_3genE9ELNS1_11target_archE1100ELNS1_3gpuE3ELNS1_3repE0EEENS1_30default_config_static_selectorELNS0_4arch9wavefront6targetE0EEEvS12_
	.p2align	8
	.type	_ZN7rocprim17ROCPRIM_400000_NS6detail17trampoline_kernelINS0_13select_configILj256ELj13ELNS0_17block_load_methodE3ELS4_3ELS4_3ELNS0_20block_scan_algorithmE0ELj4294967295EEENS1_25partition_config_selectorILNS1_17partition_subalgoE4EjNS0_10empty_typeEbEEZZNS1_14partition_implILS8_4ELb0ES6_15HIP_vector_typeIjLj2EENS0_17counting_iteratorIjlEEPS9_SG_NS0_5tupleIJPjSI_NS0_16reverse_iteratorISI_EEEEENSH_IJSG_SG_SG_EEES9_SI_JZNS1_25segmented_radix_sort_implINS0_14default_configELb1EPKiPiPKlPlN2at6native12_GLOBAL__N_18offset_tEEE10hipError_tPvRmT1_PNSt15iterator_traitsIS12_E10value_typeET2_T3_PNS13_IS18_E10value_typeET4_jRbjT5_S1E_jjP12ihipStream_tbEUljE_ZNSN_ISO_Lb1ESQ_SR_ST_SU_SY_EESZ_S10_S11_S12_S16_S17_S18_S1B_S1C_jS1D_jS1E_S1E_jjS1G_bEUljE0_EEESZ_S10_S11_S18_S1C_S1E_T6_T7_T9_mT8_S1G_bDpT10_ENKUlT_T0_E_clISt17integral_constantIbLb0EES1U_EEDaS1P_S1Q_EUlS1P_E_NS1_11comp_targetILNS1_3genE9ELNS1_11target_archE1100ELNS1_3gpuE3ELNS1_3repE0EEENS1_30default_config_static_selectorELNS0_4arch9wavefront6targetE0EEEvS12_,@function
_ZN7rocprim17ROCPRIM_400000_NS6detail17trampoline_kernelINS0_13select_configILj256ELj13ELNS0_17block_load_methodE3ELS4_3ELS4_3ELNS0_20block_scan_algorithmE0ELj4294967295EEENS1_25partition_config_selectorILNS1_17partition_subalgoE4EjNS0_10empty_typeEbEEZZNS1_14partition_implILS8_4ELb0ES6_15HIP_vector_typeIjLj2EENS0_17counting_iteratorIjlEEPS9_SG_NS0_5tupleIJPjSI_NS0_16reverse_iteratorISI_EEEEENSH_IJSG_SG_SG_EEES9_SI_JZNS1_25segmented_radix_sort_implINS0_14default_configELb1EPKiPiPKlPlN2at6native12_GLOBAL__N_18offset_tEEE10hipError_tPvRmT1_PNSt15iterator_traitsIS12_E10value_typeET2_T3_PNS13_IS18_E10value_typeET4_jRbjT5_S1E_jjP12ihipStream_tbEUljE_ZNSN_ISO_Lb1ESQ_SR_ST_SU_SY_EESZ_S10_S11_S12_S16_S17_S18_S1B_S1C_jS1D_jS1E_S1E_jjS1G_bEUljE0_EEESZ_S10_S11_S18_S1C_S1E_T6_T7_T9_mT8_S1G_bDpT10_ENKUlT_T0_E_clISt17integral_constantIbLb0EES1U_EEDaS1P_S1Q_EUlS1P_E_NS1_11comp_targetILNS1_3genE9ELNS1_11target_archE1100ELNS1_3gpuE3ELNS1_3repE0EEENS1_30default_config_static_selectorELNS0_4arch9wavefront6targetE0EEEvS12_: ; @_ZN7rocprim17ROCPRIM_400000_NS6detail17trampoline_kernelINS0_13select_configILj256ELj13ELNS0_17block_load_methodE3ELS4_3ELS4_3ELNS0_20block_scan_algorithmE0ELj4294967295EEENS1_25partition_config_selectorILNS1_17partition_subalgoE4EjNS0_10empty_typeEbEEZZNS1_14partition_implILS8_4ELb0ES6_15HIP_vector_typeIjLj2EENS0_17counting_iteratorIjlEEPS9_SG_NS0_5tupleIJPjSI_NS0_16reverse_iteratorISI_EEEEENSH_IJSG_SG_SG_EEES9_SI_JZNS1_25segmented_radix_sort_implINS0_14default_configELb1EPKiPiPKlPlN2at6native12_GLOBAL__N_18offset_tEEE10hipError_tPvRmT1_PNSt15iterator_traitsIS12_E10value_typeET2_T3_PNS13_IS18_E10value_typeET4_jRbjT5_S1E_jjP12ihipStream_tbEUljE_ZNSN_ISO_Lb1ESQ_SR_ST_SU_SY_EESZ_S10_S11_S12_S16_S17_S18_S1B_S1C_jS1D_jS1E_S1E_jjS1G_bEUljE0_EEESZ_S10_S11_S18_S1C_S1E_T6_T7_T9_mT8_S1G_bDpT10_ENKUlT_T0_E_clISt17integral_constantIbLb0EES1U_EEDaS1P_S1Q_EUlS1P_E_NS1_11comp_targetILNS1_3genE9ELNS1_11target_archE1100ELNS1_3gpuE3ELNS1_3repE0EEENS1_30default_config_static_selectorELNS0_4arch9wavefront6targetE0EEEvS12_
; %bb.0:
	.section	.rodata,"a",@progbits
	.p2align	6, 0x0
	.amdhsa_kernel _ZN7rocprim17ROCPRIM_400000_NS6detail17trampoline_kernelINS0_13select_configILj256ELj13ELNS0_17block_load_methodE3ELS4_3ELS4_3ELNS0_20block_scan_algorithmE0ELj4294967295EEENS1_25partition_config_selectorILNS1_17partition_subalgoE4EjNS0_10empty_typeEbEEZZNS1_14partition_implILS8_4ELb0ES6_15HIP_vector_typeIjLj2EENS0_17counting_iteratorIjlEEPS9_SG_NS0_5tupleIJPjSI_NS0_16reverse_iteratorISI_EEEEENSH_IJSG_SG_SG_EEES9_SI_JZNS1_25segmented_radix_sort_implINS0_14default_configELb1EPKiPiPKlPlN2at6native12_GLOBAL__N_18offset_tEEE10hipError_tPvRmT1_PNSt15iterator_traitsIS12_E10value_typeET2_T3_PNS13_IS18_E10value_typeET4_jRbjT5_S1E_jjP12ihipStream_tbEUljE_ZNSN_ISO_Lb1ESQ_SR_ST_SU_SY_EESZ_S10_S11_S12_S16_S17_S18_S1B_S1C_jS1D_jS1E_S1E_jjS1G_bEUljE0_EEESZ_S10_S11_S18_S1C_S1E_T6_T7_T9_mT8_S1G_bDpT10_ENKUlT_T0_E_clISt17integral_constantIbLb0EES1U_EEDaS1P_S1Q_EUlS1P_E_NS1_11comp_targetILNS1_3genE9ELNS1_11target_archE1100ELNS1_3gpuE3ELNS1_3repE0EEENS1_30default_config_static_selectorELNS0_4arch9wavefront6targetE0EEEvS12_
		.amdhsa_group_segment_fixed_size 0
		.amdhsa_private_segment_fixed_size 0
		.amdhsa_kernarg_size 176
		.amdhsa_user_sgpr_count 2
		.amdhsa_user_sgpr_dispatch_ptr 0
		.amdhsa_user_sgpr_queue_ptr 0
		.amdhsa_user_sgpr_kernarg_segment_ptr 1
		.amdhsa_user_sgpr_dispatch_id 0
		.amdhsa_user_sgpr_kernarg_preload_length 0
		.amdhsa_user_sgpr_kernarg_preload_offset 0
		.amdhsa_user_sgpr_private_segment_size 0
		.amdhsa_wavefront_size32 1
		.amdhsa_uses_dynamic_stack 0
		.amdhsa_enable_private_segment 0
		.amdhsa_system_sgpr_workgroup_id_x 1
		.amdhsa_system_sgpr_workgroup_id_y 0
		.amdhsa_system_sgpr_workgroup_id_z 0
		.amdhsa_system_sgpr_workgroup_info 0
		.amdhsa_system_vgpr_workitem_id 0
		.amdhsa_next_free_vgpr 1
		.amdhsa_next_free_sgpr 1
		.amdhsa_named_barrier_count 0
		.amdhsa_reserve_vcc 0
		.amdhsa_float_round_mode_32 0
		.amdhsa_float_round_mode_16_64 0
		.amdhsa_float_denorm_mode_32 3
		.amdhsa_float_denorm_mode_16_64 3
		.amdhsa_fp16_overflow 0
		.amdhsa_memory_ordered 1
		.amdhsa_forward_progress 1
		.amdhsa_inst_pref_size 0
		.amdhsa_round_robin_scheduling 0
		.amdhsa_exception_fp_ieee_invalid_op 0
		.amdhsa_exception_fp_denorm_src 0
		.amdhsa_exception_fp_ieee_div_zero 0
		.amdhsa_exception_fp_ieee_overflow 0
		.amdhsa_exception_fp_ieee_underflow 0
		.amdhsa_exception_fp_ieee_inexact 0
		.amdhsa_exception_int_div_zero 0
	.end_amdhsa_kernel
	.section	.text._ZN7rocprim17ROCPRIM_400000_NS6detail17trampoline_kernelINS0_13select_configILj256ELj13ELNS0_17block_load_methodE3ELS4_3ELS4_3ELNS0_20block_scan_algorithmE0ELj4294967295EEENS1_25partition_config_selectorILNS1_17partition_subalgoE4EjNS0_10empty_typeEbEEZZNS1_14partition_implILS8_4ELb0ES6_15HIP_vector_typeIjLj2EENS0_17counting_iteratorIjlEEPS9_SG_NS0_5tupleIJPjSI_NS0_16reverse_iteratorISI_EEEEENSH_IJSG_SG_SG_EEES9_SI_JZNS1_25segmented_radix_sort_implINS0_14default_configELb1EPKiPiPKlPlN2at6native12_GLOBAL__N_18offset_tEEE10hipError_tPvRmT1_PNSt15iterator_traitsIS12_E10value_typeET2_T3_PNS13_IS18_E10value_typeET4_jRbjT5_S1E_jjP12ihipStream_tbEUljE_ZNSN_ISO_Lb1ESQ_SR_ST_SU_SY_EESZ_S10_S11_S12_S16_S17_S18_S1B_S1C_jS1D_jS1E_S1E_jjS1G_bEUljE0_EEESZ_S10_S11_S18_S1C_S1E_T6_T7_T9_mT8_S1G_bDpT10_ENKUlT_T0_E_clISt17integral_constantIbLb0EES1U_EEDaS1P_S1Q_EUlS1P_E_NS1_11comp_targetILNS1_3genE9ELNS1_11target_archE1100ELNS1_3gpuE3ELNS1_3repE0EEENS1_30default_config_static_selectorELNS0_4arch9wavefront6targetE0EEEvS12_,"axG",@progbits,_ZN7rocprim17ROCPRIM_400000_NS6detail17trampoline_kernelINS0_13select_configILj256ELj13ELNS0_17block_load_methodE3ELS4_3ELS4_3ELNS0_20block_scan_algorithmE0ELj4294967295EEENS1_25partition_config_selectorILNS1_17partition_subalgoE4EjNS0_10empty_typeEbEEZZNS1_14partition_implILS8_4ELb0ES6_15HIP_vector_typeIjLj2EENS0_17counting_iteratorIjlEEPS9_SG_NS0_5tupleIJPjSI_NS0_16reverse_iteratorISI_EEEEENSH_IJSG_SG_SG_EEES9_SI_JZNS1_25segmented_radix_sort_implINS0_14default_configELb1EPKiPiPKlPlN2at6native12_GLOBAL__N_18offset_tEEE10hipError_tPvRmT1_PNSt15iterator_traitsIS12_E10value_typeET2_T3_PNS13_IS18_E10value_typeET4_jRbjT5_S1E_jjP12ihipStream_tbEUljE_ZNSN_ISO_Lb1ESQ_SR_ST_SU_SY_EESZ_S10_S11_S12_S16_S17_S18_S1B_S1C_jS1D_jS1E_S1E_jjS1G_bEUljE0_EEESZ_S10_S11_S18_S1C_S1E_T6_T7_T9_mT8_S1G_bDpT10_ENKUlT_T0_E_clISt17integral_constantIbLb0EES1U_EEDaS1P_S1Q_EUlS1P_E_NS1_11comp_targetILNS1_3genE9ELNS1_11target_archE1100ELNS1_3gpuE3ELNS1_3repE0EEENS1_30default_config_static_selectorELNS0_4arch9wavefront6targetE0EEEvS12_,comdat
.Lfunc_end435:
	.size	_ZN7rocprim17ROCPRIM_400000_NS6detail17trampoline_kernelINS0_13select_configILj256ELj13ELNS0_17block_load_methodE3ELS4_3ELS4_3ELNS0_20block_scan_algorithmE0ELj4294967295EEENS1_25partition_config_selectorILNS1_17partition_subalgoE4EjNS0_10empty_typeEbEEZZNS1_14partition_implILS8_4ELb0ES6_15HIP_vector_typeIjLj2EENS0_17counting_iteratorIjlEEPS9_SG_NS0_5tupleIJPjSI_NS0_16reverse_iteratorISI_EEEEENSH_IJSG_SG_SG_EEES9_SI_JZNS1_25segmented_radix_sort_implINS0_14default_configELb1EPKiPiPKlPlN2at6native12_GLOBAL__N_18offset_tEEE10hipError_tPvRmT1_PNSt15iterator_traitsIS12_E10value_typeET2_T3_PNS13_IS18_E10value_typeET4_jRbjT5_S1E_jjP12ihipStream_tbEUljE_ZNSN_ISO_Lb1ESQ_SR_ST_SU_SY_EESZ_S10_S11_S12_S16_S17_S18_S1B_S1C_jS1D_jS1E_S1E_jjS1G_bEUljE0_EEESZ_S10_S11_S18_S1C_S1E_T6_T7_T9_mT8_S1G_bDpT10_ENKUlT_T0_E_clISt17integral_constantIbLb0EES1U_EEDaS1P_S1Q_EUlS1P_E_NS1_11comp_targetILNS1_3genE9ELNS1_11target_archE1100ELNS1_3gpuE3ELNS1_3repE0EEENS1_30default_config_static_selectorELNS0_4arch9wavefront6targetE0EEEvS12_, .Lfunc_end435-_ZN7rocprim17ROCPRIM_400000_NS6detail17trampoline_kernelINS0_13select_configILj256ELj13ELNS0_17block_load_methodE3ELS4_3ELS4_3ELNS0_20block_scan_algorithmE0ELj4294967295EEENS1_25partition_config_selectorILNS1_17partition_subalgoE4EjNS0_10empty_typeEbEEZZNS1_14partition_implILS8_4ELb0ES6_15HIP_vector_typeIjLj2EENS0_17counting_iteratorIjlEEPS9_SG_NS0_5tupleIJPjSI_NS0_16reverse_iteratorISI_EEEEENSH_IJSG_SG_SG_EEES9_SI_JZNS1_25segmented_radix_sort_implINS0_14default_configELb1EPKiPiPKlPlN2at6native12_GLOBAL__N_18offset_tEEE10hipError_tPvRmT1_PNSt15iterator_traitsIS12_E10value_typeET2_T3_PNS13_IS18_E10value_typeET4_jRbjT5_S1E_jjP12ihipStream_tbEUljE_ZNSN_ISO_Lb1ESQ_SR_ST_SU_SY_EESZ_S10_S11_S12_S16_S17_S18_S1B_S1C_jS1D_jS1E_S1E_jjS1G_bEUljE0_EEESZ_S10_S11_S18_S1C_S1E_T6_T7_T9_mT8_S1G_bDpT10_ENKUlT_T0_E_clISt17integral_constantIbLb0EES1U_EEDaS1P_S1Q_EUlS1P_E_NS1_11comp_targetILNS1_3genE9ELNS1_11target_archE1100ELNS1_3gpuE3ELNS1_3repE0EEENS1_30default_config_static_selectorELNS0_4arch9wavefront6targetE0EEEvS12_
                                        ; -- End function
	.set _ZN7rocprim17ROCPRIM_400000_NS6detail17trampoline_kernelINS0_13select_configILj256ELj13ELNS0_17block_load_methodE3ELS4_3ELS4_3ELNS0_20block_scan_algorithmE0ELj4294967295EEENS1_25partition_config_selectorILNS1_17partition_subalgoE4EjNS0_10empty_typeEbEEZZNS1_14partition_implILS8_4ELb0ES6_15HIP_vector_typeIjLj2EENS0_17counting_iteratorIjlEEPS9_SG_NS0_5tupleIJPjSI_NS0_16reverse_iteratorISI_EEEEENSH_IJSG_SG_SG_EEES9_SI_JZNS1_25segmented_radix_sort_implINS0_14default_configELb1EPKiPiPKlPlN2at6native12_GLOBAL__N_18offset_tEEE10hipError_tPvRmT1_PNSt15iterator_traitsIS12_E10value_typeET2_T3_PNS13_IS18_E10value_typeET4_jRbjT5_S1E_jjP12ihipStream_tbEUljE_ZNSN_ISO_Lb1ESQ_SR_ST_SU_SY_EESZ_S10_S11_S12_S16_S17_S18_S1B_S1C_jS1D_jS1E_S1E_jjS1G_bEUljE0_EEESZ_S10_S11_S18_S1C_S1E_T6_T7_T9_mT8_S1G_bDpT10_ENKUlT_T0_E_clISt17integral_constantIbLb0EES1U_EEDaS1P_S1Q_EUlS1P_E_NS1_11comp_targetILNS1_3genE9ELNS1_11target_archE1100ELNS1_3gpuE3ELNS1_3repE0EEENS1_30default_config_static_selectorELNS0_4arch9wavefront6targetE0EEEvS12_.num_vgpr, 0
	.set _ZN7rocprim17ROCPRIM_400000_NS6detail17trampoline_kernelINS0_13select_configILj256ELj13ELNS0_17block_load_methodE3ELS4_3ELS4_3ELNS0_20block_scan_algorithmE0ELj4294967295EEENS1_25partition_config_selectorILNS1_17partition_subalgoE4EjNS0_10empty_typeEbEEZZNS1_14partition_implILS8_4ELb0ES6_15HIP_vector_typeIjLj2EENS0_17counting_iteratorIjlEEPS9_SG_NS0_5tupleIJPjSI_NS0_16reverse_iteratorISI_EEEEENSH_IJSG_SG_SG_EEES9_SI_JZNS1_25segmented_radix_sort_implINS0_14default_configELb1EPKiPiPKlPlN2at6native12_GLOBAL__N_18offset_tEEE10hipError_tPvRmT1_PNSt15iterator_traitsIS12_E10value_typeET2_T3_PNS13_IS18_E10value_typeET4_jRbjT5_S1E_jjP12ihipStream_tbEUljE_ZNSN_ISO_Lb1ESQ_SR_ST_SU_SY_EESZ_S10_S11_S12_S16_S17_S18_S1B_S1C_jS1D_jS1E_S1E_jjS1G_bEUljE0_EEESZ_S10_S11_S18_S1C_S1E_T6_T7_T9_mT8_S1G_bDpT10_ENKUlT_T0_E_clISt17integral_constantIbLb0EES1U_EEDaS1P_S1Q_EUlS1P_E_NS1_11comp_targetILNS1_3genE9ELNS1_11target_archE1100ELNS1_3gpuE3ELNS1_3repE0EEENS1_30default_config_static_selectorELNS0_4arch9wavefront6targetE0EEEvS12_.num_agpr, 0
	.set _ZN7rocprim17ROCPRIM_400000_NS6detail17trampoline_kernelINS0_13select_configILj256ELj13ELNS0_17block_load_methodE3ELS4_3ELS4_3ELNS0_20block_scan_algorithmE0ELj4294967295EEENS1_25partition_config_selectorILNS1_17partition_subalgoE4EjNS0_10empty_typeEbEEZZNS1_14partition_implILS8_4ELb0ES6_15HIP_vector_typeIjLj2EENS0_17counting_iteratorIjlEEPS9_SG_NS0_5tupleIJPjSI_NS0_16reverse_iteratorISI_EEEEENSH_IJSG_SG_SG_EEES9_SI_JZNS1_25segmented_radix_sort_implINS0_14default_configELb1EPKiPiPKlPlN2at6native12_GLOBAL__N_18offset_tEEE10hipError_tPvRmT1_PNSt15iterator_traitsIS12_E10value_typeET2_T3_PNS13_IS18_E10value_typeET4_jRbjT5_S1E_jjP12ihipStream_tbEUljE_ZNSN_ISO_Lb1ESQ_SR_ST_SU_SY_EESZ_S10_S11_S12_S16_S17_S18_S1B_S1C_jS1D_jS1E_S1E_jjS1G_bEUljE0_EEESZ_S10_S11_S18_S1C_S1E_T6_T7_T9_mT8_S1G_bDpT10_ENKUlT_T0_E_clISt17integral_constantIbLb0EES1U_EEDaS1P_S1Q_EUlS1P_E_NS1_11comp_targetILNS1_3genE9ELNS1_11target_archE1100ELNS1_3gpuE3ELNS1_3repE0EEENS1_30default_config_static_selectorELNS0_4arch9wavefront6targetE0EEEvS12_.numbered_sgpr, 0
	.set _ZN7rocprim17ROCPRIM_400000_NS6detail17trampoline_kernelINS0_13select_configILj256ELj13ELNS0_17block_load_methodE3ELS4_3ELS4_3ELNS0_20block_scan_algorithmE0ELj4294967295EEENS1_25partition_config_selectorILNS1_17partition_subalgoE4EjNS0_10empty_typeEbEEZZNS1_14partition_implILS8_4ELb0ES6_15HIP_vector_typeIjLj2EENS0_17counting_iteratorIjlEEPS9_SG_NS0_5tupleIJPjSI_NS0_16reverse_iteratorISI_EEEEENSH_IJSG_SG_SG_EEES9_SI_JZNS1_25segmented_radix_sort_implINS0_14default_configELb1EPKiPiPKlPlN2at6native12_GLOBAL__N_18offset_tEEE10hipError_tPvRmT1_PNSt15iterator_traitsIS12_E10value_typeET2_T3_PNS13_IS18_E10value_typeET4_jRbjT5_S1E_jjP12ihipStream_tbEUljE_ZNSN_ISO_Lb1ESQ_SR_ST_SU_SY_EESZ_S10_S11_S12_S16_S17_S18_S1B_S1C_jS1D_jS1E_S1E_jjS1G_bEUljE0_EEESZ_S10_S11_S18_S1C_S1E_T6_T7_T9_mT8_S1G_bDpT10_ENKUlT_T0_E_clISt17integral_constantIbLb0EES1U_EEDaS1P_S1Q_EUlS1P_E_NS1_11comp_targetILNS1_3genE9ELNS1_11target_archE1100ELNS1_3gpuE3ELNS1_3repE0EEENS1_30default_config_static_selectorELNS0_4arch9wavefront6targetE0EEEvS12_.num_named_barrier, 0
	.set _ZN7rocprim17ROCPRIM_400000_NS6detail17trampoline_kernelINS0_13select_configILj256ELj13ELNS0_17block_load_methodE3ELS4_3ELS4_3ELNS0_20block_scan_algorithmE0ELj4294967295EEENS1_25partition_config_selectorILNS1_17partition_subalgoE4EjNS0_10empty_typeEbEEZZNS1_14partition_implILS8_4ELb0ES6_15HIP_vector_typeIjLj2EENS0_17counting_iteratorIjlEEPS9_SG_NS0_5tupleIJPjSI_NS0_16reverse_iteratorISI_EEEEENSH_IJSG_SG_SG_EEES9_SI_JZNS1_25segmented_radix_sort_implINS0_14default_configELb1EPKiPiPKlPlN2at6native12_GLOBAL__N_18offset_tEEE10hipError_tPvRmT1_PNSt15iterator_traitsIS12_E10value_typeET2_T3_PNS13_IS18_E10value_typeET4_jRbjT5_S1E_jjP12ihipStream_tbEUljE_ZNSN_ISO_Lb1ESQ_SR_ST_SU_SY_EESZ_S10_S11_S12_S16_S17_S18_S1B_S1C_jS1D_jS1E_S1E_jjS1G_bEUljE0_EEESZ_S10_S11_S18_S1C_S1E_T6_T7_T9_mT8_S1G_bDpT10_ENKUlT_T0_E_clISt17integral_constantIbLb0EES1U_EEDaS1P_S1Q_EUlS1P_E_NS1_11comp_targetILNS1_3genE9ELNS1_11target_archE1100ELNS1_3gpuE3ELNS1_3repE0EEENS1_30default_config_static_selectorELNS0_4arch9wavefront6targetE0EEEvS12_.private_seg_size, 0
	.set _ZN7rocprim17ROCPRIM_400000_NS6detail17trampoline_kernelINS0_13select_configILj256ELj13ELNS0_17block_load_methodE3ELS4_3ELS4_3ELNS0_20block_scan_algorithmE0ELj4294967295EEENS1_25partition_config_selectorILNS1_17partition_subalgoE4EjNS0_10empty_typeEbEEZZNS1_14partition_implILS8_4ELb0ES6_15HIP_vector_typeIjLj2EENS0_17counting_iteratorIjlEEPS9_SG_NS0_5tupleIJPjSI_NS0_16reverse_iteratorISI_EEEEENSH_IJSG_SG_SG_EEES9_SI_JZNS1_25segmented_radix_sort_implINS0_14default_configELb1EPKiPiPKlPlN2at6native12_GLOBAL__N_18offset_tEEE10hipError_tPvRmT1_PNSt15iterator_traitsIS12_E10value_typeET2_T3_PNS13_IS18_E10value_typeET4_jRbjT5_S1E_jjP12ihipStream_tbEUljE_ZNSN_ISO_Lb1ESQ_SR_ST_SU_SY_EESZ_S10_S11_S12_S16_S17_S18_S1B_S1C_jS1D_jS1E_S1E_jjS1G_bEUljE0_EEESZ_S10_S11_S18_S1C_S1E_T6_T7_T9_mT8_S1G_bDpT10_ENKUlT_T0_E_clISt17integral_constantIbLb0EES1U_EEDaS1P_S1Q_EUlS1P_E_NS1_11comp_targetILNS1_3genE9ELNS1_11target_archE1100ELNS1_3gpuE3ELNS1_3repE0EEENS1_30default_config_static_selectorELNS0_4arch9wavefront6targetE0EEEvS12_.uses_vcc, 0
	.set _ZN7rocprim17ROCPRIM_400000_NS6detail17trampoline_kernelINS0_13select_configILj256ELj13ELNS0_17block_load_methodE3ELS4_3ELS4_3ELNS0_20block_scan_algorithmE0ELj4294967295EEENS1_25partition_config_selectorILNS1_17partition_subalgoE4EjNS0_10empty_typeEbEEZZNS1_14partition_implILS8_4ELb0ES6_15HIP_vector_typeIjLj2EENS0_17counting_iteratorIjlEEPS9_SG_NS0_5tupleIJPjSI_NS0_16reverse_iteratorISI_EEEEENSH_IJSG_SG_SG_EEES9_SI_JZNS1_25segmented_radix_sort_implINS0_14default_configELb1EPKiPiPKlPlN2at6native12_GLOBAL__N_18offset_tEEE10hipError_tPvRmT1_PNSt15iterator_traitsIS12_E10value_typeET2_T3_PNS13_IS18_E10value_typeET4_jRbjT5_S1E_jjP12ihipStream_tbEUljE_ZNSN_ISO_Lb1ESQ_SR_ST_SU_SY_EESZ_S10_S11_S12_S16_S17_S18_S1B_S1C_jS1D_jS1E_S1E_jjS1G_bEUljE0_EEESZ_S10_S11_S18_S1C_S1E_T6_T7_T9_mT8_S1G_bDpT10_ENKUlT_T0_E_clISt17integral_constantIbLb0EES1U_EEDaS1P_S1Q_EUlS1P_E_NS1_11comp_targetILNS1_3genE9ELNS1_11target_archE1100ELNS1_3gpuE3ELNS1_3repE0EEENS1_30default_config_static_selectorELNS0_4arch9wavefront6targetE0EEEvS12_.uses_flat_scratch, 0
	.set _ZN7rocprim17ROCPRIM_400000_NS6detail17trampoline_kernelINS0_13select_configILj256ELj13ELNS0_17block_load_methodE3ELS4_3ELS4_3ELNS0_20block_scan_algorithmE0ELj4294967295EEENS1_25partition_config_selectorILNS1_17partition_subalgoE4EjNS0_10empty_typeEbEEZZNS1_14partition_implILS8_4ELb0ES6_15HIP_vector_typeIjLj2EENS0_17counting_iteratorIjlEEPS9_SG_NS0_5tupleIJPjSI_NS0_16reverse_iteratorISI_EEEEENSH_IJSG_SG_SG_EEES9_SI_JZNS1_25segmented_radix_sort_implINS0_14default_configELb1EPKiPiPKlPlN2at6native12_GLOBAL__N_18offset_tEEE10hipError_tPvRmT1_PNSt15iterator_traitsIS12_E10value_typeET2_T3_PNS13_IS18_E10value_typeET4_jRbjT5_S1E_jjP12ihipStream_tbEUljE_ZNSN_ISO_Lb1ESQ_SR_ST_SU_SY_EESZ_S10_S11_S12_S16_S17_S18_S1B_S1C_jS1D_jS1E_S1E_jjS1G_bEUljE0_EEESZ_S10_S11_S18_S1C_S1E_T6_T7_T9_mT8_S1G_bDpT10_ENKUlT_T0_E_clISt17integral_constantIbLb0EES1U_EEDaS1P_S1Q_EUlS1P_E_NS1_11comp_targetILNS1_3genE9ELNS1_11target_archE1100ELNS1_3gpuE3ELNS1_3repE0EEENS1_30default_config_static_selectorELNS0_4arch9wavefront6targetE0EEEvS12_.has_dyn_sized_stack, 0
	.set _ZN7rocprim17ROCPRIM_400000_NS6detail17trampoline_kernelINS0_13select_configILj256ELj13ELNS0_17block_load_methodE3ELS4_3ELS4_3ELNS0_20block_scan_algorithmE0ELj4294967295EEENS1_25partition_config_selectorILNS1_17partition_subalgoE4EjNS0_10empty_typeEbEEZZNS1_14partition_implILS8_4ELb0ES6_15HIP_vector_typeIjLj2EENS0_17counting_iteratorIjlEEPS9_SG_NS0_5tupleIJPjSI_NS0_16reverse_iteratorISI_EEEEENSH_IJSG_SG_SG_EEES9_SI_JZNS1_25segmented_radix_sort_implINS0_14default_configELb1EPKiPiPKlPlN2at6native12_GLOBAL__N_18offset_tEEE10hipError_tPvRmT1_PNSt15iterator_traitsIS12_E10value_typeET2_T3_PNS13_IS18_E10value_typeET4_jRbjT5_S1E_jjP12ihipStream_tbEUljE_ZNSN_ISO_Lb1ESQ_SR_ST_SU_SY_EESZ_S10_S11_S12_S16_S17_S18_S1B_S1C_jS1D_jS1E_S1E_jjS1G_bEUljE0_EEESZ_S10_S11_S18_S1C_S1E_T6_T7_T9_mT8_S1G_bDpT10_ENKUlT_T0_E_clISt17integral_constantIbLb0EES1U_EEDaS1P_S1Q_EUlS1P_E_NS1_11comp_targetILNS1_3genE9ELNS1_11target_archE1100ELNS1_3gpuE3ELNS1_3repE0EEENS1_30default_config_static_selectorELNS0_4arch9wavefront6targetE0EEEvS12_.has_recursion, 0
	.set _ZN7rocprim17ROCPRIM_400000_NS6detail17trampoline_kernelINS0_13select_configILj256ELj13ELNS0_17block_load_methodE3ELS4_3ELS4_3ELNS0_20block_scan_algorithmE0ELj4294967295EEENS1_25partition_config_selectorILNS1_17partition_subalgoE4EjNS0_10empty_typeEbEEZZNS1_14partition_implILS8_4ELb0ES6_15HIP_vector_typeIjLj2EENS0_17counting_iteratorIjlEEPS9_SG_NS0_5tupleIJPjSI_NS0_16reverse_iteratorISI_EEEEENSH_IJSG_SG_SG_EEES9_SI_JZNS1_25segmented_radix_sort_implINS0_14default_configELb1EPKiPiPKlPlN2at6native12_GLOBAL__N_18offset_tEEE10hipError_tPvRmT1_PNSt15iterator_traitsIS12_E10value_typeET2_T3_PNS13_IS18_E10value_typeET4_jRbjT5_S1E_jjP12ihipStream_tbEUljE_ZNSN_ISO_Lb1ESQ_SR_ST_SU_SY_EESZ_S10_S11_S12_S16_S17_S18_S1B_S1C_jS1D_jS1E_S1E_jjS1G_bEUljE0_EEESZ_S10_S11_S18_S1C_S1E_T6_T7_T9_mT8_S1G_bDpT10_ENKUlT_T0_E_clISt17integral_constantIbLb0EES1U_EEDaS1P_S1Q_EUlS1P_E_NS1_11comp_targetILNS1_3genE9ELNS1_11target_archE1100ELNS1_3gpuE3ELNS1_3repE0EEENS1_30default_config_static_selectorELNS0_4arch9wavefront6targetE0EEEvS12_.has_indirect_call, 0
	.section	.AMDGPU.csdata,"",@progbits
; Kernel info:
; codeLenInByte = 0
; TotalNumSgprs: 0
; NumVgprs: 0
; ScratchSize: 0
; MemoryBound: 0
; FloatMode: 240
; IeeeMode: 1
; LDSByteSize: 0 bytes/workgroup (compile time only)
; SGPRBlocks: 0
; VGPRBlocks: 0
; NumSGPRsForWavesPerEU: 1
; NumVGPRsForWavesPerEU: 1
; NamedBarCnt: 0
; Occupancy: 16
; WaveLimiterHint : 0
; COMPUTE_PGM_RSRC2:SCRATCH_EN: 0
; COMPUTE_PGM_RSRC2:USER_SGPR: 2
; COMPUTE_PGM_RSRC2:TRAP_HANDLER: 0
; COMPUTE_PGM_RSRC2:TGID_X_EN: 1
; COMPUTE_PGM_RSRC2:TGID_Y_EN: 0
; COMPUTE_PGM_RSRC2:TGID_Z_EN: 0
; COMPUTE_PGM_RSRC2:TIDIG_COMP_CNT: 0
	.section	.text._ZN7rocprim17ROCPRIM_400000_NS6detail17trampoline_kernelINS0_13select_configILj256ELj13ELNS0_17block_load_methodE3ELS4_3ELS4_3ELNS0_20block_scan_algorithmE0ELj4294967295EEENS1_25partition_config_selectorILNS1_17partition_subalgoE4EjNS0_10empty_typeEbEEZZNS1_14partition_implILS8_4ELb0ES6_15HIP_vector_typeIjLj2EENS0_17counting_iteratorIjlEEPS9_SG_NS0_5tupleIJPjSI_NS0_16reverse_iteratorISI_EEEEENSH_IJSG_SG_SG_EEES9_SI_JZNS1_25segmented_radix_sort_implINS0_14default_configELb1EPKiPiPKlPlN2at6native12_GLOBAL__N_18offset_tEEE10hipError_tPvRmT1_PNSt15iterator_traitsIS12_E10value_typeET2_T3_PNS13_IS18_E10value_typeET4_jRbjT5_S1E_jjP12ihipStream_tbEUljE_ZNSN_ISO_Lb1ESQ_SR_ST_SU_SY_EESZ_S10_S11_S12_S16_S17_S18_S1B_S1C_jS1D_jS1E_S1E_jjS1G_bEUljE0_EEESZ_S10_S11_S18_S1C_S1E_T6_T7_T9_mT8_S1G_bDpT10_ENKUlT_T0_E_clISt17integral_constantIbLb0EES1U_EEDaS1P_S1Q_EUlS1P_E_NS1_11comp_targetILNS1_3genE8ELNS1_11target_archE1030ELNS1_3gpuE2ELNS1_3repE0EEENS1_30default_config_static_selectorELNS0_4arch9wavefront6targetE0EEEvS12_,"axG",@progbits,_ZN7rocprim17ROCPRIM_400000_NS6detail17trampoline_kernelINS0_13select_configILj256ELj13ELNS0_17block_load_methodE3ELS4_3ELS4_3ELNS0_20block_scan_algorithmE0ELj4294967295EEENS1_25partition_config_selectorILNS1_17partition_subalgoE4EjNS0_10empty_typeEbEEZZNS1_14partition_implILS8_4ELb0ES6_15HIP_vector_typeIjLj2EENS0_17counting_iteratorIjlEEPS9_SG_NS0_5tupleIJPjSI_NS0_16reverse_iteratorISI_EEEEENSH_IJSG_SG_SG_EEES9_SI_JZNS1_25segmented_radix_sort_implINS0_14default_configELb1EPKiPiPKlPlN2at6native12_GLOBAL__N_18offset_tEEE10hipError_tPvRmT1_PNSt15iterator_traitsIS12_E10value_typeET2_T3_PNS13_IS18_E10value_typeET4_jRbjT5_S1E_jjP12ihipStream_tbEUljE_ZNSN_ISO_Lb1ESQ_SR_ST_SU_SY_EESZ_S10_S11_S12_S16_S17_S18_S1B_S1C_jS1D_jS1E_S1E_jjS1G_bEUljE0_EEESZ_S10_S11_S18_S1C_S1E_T6_T7_T9_mT8_S1G_bDpT10_ENKUlT_T0_E_clISt17integral_constantIbLb0EES1U_EEDaS1P_S1Q_EUlS1P_E_NS1_11comp_targetILNS1_3genE8ELNS1_11target_archE1030ELNS1_3gpuE2ELNS1_3repE0EEENS1_30default_config_static_selectorELNS0_4arch9wavefront6targetE0EEEvS12_,comdat
	.globl	_ZN7rocprim17ROCPRIM_400000_NS6detail17trampoline_kernelINS0_13select_configILj256ELj13ELNS0_17block_load_methodE3ELS4_3ELS4_3ELNS0_20block_scan_algorithmE0ELj4294967295EEENS1_25partition_config_selectorILNS1_17partition_subalgoE4EjNS0_10empty_typeEbEEZZNS1_14partition_implILS8_4ELb0ES6_15HIP_vector_typeIjLj2EENS0_17counting_iteratorIjlEEPS9_SG_NS0_5tupleIJPjSI_NS0_16reverse_iteratorISI_EEEEENSH_IJSG_SG_SG_EEES9_SI_JZNS1_25segmented_radix_sort_implINS0_14default_configELb1EPKiPiPKlPlN2at6native12_GLOBAL__N_18offset_tEEE10hipError_tPvRmT1_PNSt15iterator_traitsIS12_E10value_typeET2_T3_PNS13_IS18_E10value_typeET4_jRbjT5_S1E_jjP12ihipStream_tbEUljE_ZNSN_ISO_Lb1ESQ_SR_ST_SU_SY_EESZ_S10_S11_S12_S16_S17_S18_S1B_S1C_jS1D_jS1E_S1E_jjS1G_bEUljE0_EEESZ_S10_S11_S18_S1C_S1E_T6_T7_T9_mT8_S1G_bDpT10_ENKUlT_T0_E_clISt17integral_constantIbLb0EES1U_EEDaS1P_S1Q_EUlS1P_E_NS1_11comp_targetILNS1_3genE8ELNS1_11target_archE1030ELNS1_3gpuE2ELNS1_3repE0EEENS1_30default_config_static_selectorELNS0_4arch9wavefront6targetE0EEEvS12_ ; -- Begin function _ZN7rocprim17ROCPRIM_400000_NS6detail17trampoline_kernelINS0_13select_configILj256ELj13ELNS0_17block_load_methodE3ELS4_3ELS4_3ELNS0_20block_scan_algorithmE0ELj4294967295EEENS1_25partition_config_selectorILNS1_17partition_subalgoE4EjNS0_10empty_typeEbEEZZNS1_14partition_implILS8_4ELb0ES6_15HIP_vector_typeIjLj2EENS0_17counting_iteratorIjlEEPS9_SG_NS0_5tupleIJPjSI_NS0_16reverse_iteratorISI_EEEEENSH_IJSG_SG_SG_EEES9_SI_JZNS1_25segmented_radix_sort_implINS0_14default_configELb1EPKiPiPKlPlN2at6native12_GLOBAL__N_18offset_tEEE10hipError_tPvRmT1_PNSt15iterator_traitsIS12_E10value_typeET2_T3_PNS13_IS18_E10value_typeET4_jRbjT5_S1E_jjP12ihipStream_tbEUljE_ZNSN_ISO_Lb1ESQ_SR_ST_SU_SY_EESZ_S10_S11_S12_S16_S17_S18_S1B_S1C_jS1D_jS1E_S1E_jjS1G_bEUljE0_EEESZ_S10_S11_S18_S1C_S1E_T6_T7_T9_mT8_S1G_bDpT10_ENKUlT_T0_E_clISt17integral_constantIbLb0EES1U_EEDaS1P_S1Q_EUlS1P_E_NS1_11comp_targetILNS1_3genE8ELNS1_11target_archE1030ELNS1_3gpuE2ELNS1_3repE0EEENS1_30default_config_static_selectorELNS0_4arch9wavefront6targetE0EEEvS12_
	.p2align	8
	.type	_ZN7rocprim17ROCPRIM_400000_NS6detail17trampoline_kernelINS0_13select_configILj256ELj13ELNS0_17block_load_methodE3ELS4_3ELS4_3ELNS0_20block_scan_algorithmE0ELj4294967295EEENS1_25partition_config_selectorILNS1_17partition_subalgoE4EjNS0_10empty_typeEbEEZZNS1_14partition_implILS8_4ELb0ES6_15HIP_vector_typeIjLj2EENS0_17counting_iteratorIjlEEPS9_SG_NS0_5tupleIJPjSI_NS0_16reverse_iteratorISI_EEEEENSH_IJSG_SG_SG_EEES9_SI_JZNS1_25segmented_radix_sort_implINS0_14default_configELb1EPKiPiPKlPlN2at6native12_GLOBAL__N_18offset_tEEE10hipError_tPvRmT1_PNSt15iterator_traitsIS12_E10value_typeET2_T3_PNS13_IS18_E10value_typeET4_jRbjT5_S1E_jjP12ihipStream_tbEUljE_ZNSN_ISO_Lb1ESQ_SR_ST_SU_SY_EESZ_S10_S11_S12_S16_S17_S18_S1B_S1C_jS1D_jS1E_S1E_jjS1G_bEUljE0_EEESZ_S10_S11_S18_S1C_S1E_T6_T7_T9_mT8_S1G_bDpT10_ENKUlT_T0_E_clISt17integral_constantIbLb0EES1U_EEDaS1P_S1Q_EUlS1P_E_NS1_11comp_targetILNS1_3genE8ELNS1_11target_archE1030ELNS1_3gpuE2ELNS1_3repE0EEENS1_30default_config_static_selectorELNS0_4arch9wavefront6targetE0EEEvS12_,@function
_ZN7rocprim17ROCPRIM_400000_NS6detail17trampoline_kernelINS0_13select_configILj256ELj13ELNS0_17block_load_methodE3ELS4_3ELS4_3ELNS0_20block_scan_algorithmE0ELj4294967295EEENS1_25partition_config_selectorILNS1_17partition_subalgoE4EjNS0_10empty_typeEbEEZZNS1_14partition_implILS8_4ELb0ES6_15HIP_vector_typeIjLj2EENS0_17counting_iteratorIjlEEPS9_SG_NS0_5tupleIJPjSI_NS0_16reverse_iteratorISI_EEEEENSH_IJSG_SG_SG_EEES9_SI_JZNS1_25segmented_radix_sort_implINS0_14default_configELb1EPKiPiPKlPlN2at6native12_GLOBAL__N_18offset_tEEE10hipError_tPvRmT1_PNSt15iterator_traitsIS12_E10value_typeET2_T3_PNS13_IS18_E10value_typeET4_jRbjT5_S1E_jjP12ihipStream_tbEUljE_ZNSN_ISO_Lb1ESQ_SR_ST_SU_SY_EESZ_S10_S11_S12_S16_S17_S18_S1B_S1C_jS1D_jS1E_S1E_jjS1G_bEUljE0_EEESZ_S10_S11_S18_S1C_S1E_T6_T7_T9_mT8_S1G_bDpT10_ENKUlT_T0_E_clISt17integral_constantIbLb0EES1U_EEDaS1P_S1Q_EUlS1P_E_NS1_11comp_targetILNS1_3genE8ELNS1_11target_archE1030ELNS1_3gpuE2ELNS1_3repE0EEENS1_30default_config_static_selectorELNS0_4arch9wavefront6targetE0EEEvS12_: ; @_ZN7rocprim17ROCPRIM_400000_NS6detail17trampoline_kernelINS0_13select_configILj256ELj13ELNS0_17block_load_methodE3ELS4_3ELS4_3ELNS0_20block_scan_algorithmE0ELj4294967295EEENS1_25partition_config_selectorILNS1_17partition_subalgoE4EjNS0_10empty_typeEbEEZZNS1_14partition_implILS8_4ELb0ES6_15HIP_vector_typeIjLj2EENS0_17counting_iteratorIjlEEPS9_SG_NS0_5tupleIJPjSI_NS0_16reverse_iteratorISI_EEEEENSH_IJSG_SG_SG_EEES9_SI_JZNS1_25segmented_radix_sort_implINS0_14default_configELb1EPKiPiPKlPlN2at6native12_GLOBAL__N_18offset_tEEE10hipError_tPvRmT1_PNSt15iterator_traitsIS12_E10value_typeET2_T3_PNS13_IS18_E10value_typeET4_jRbjT5_S1E_jjP12ihipStream_tbEUljE_ZNSN_ISO_Lb1ESQ_SR_ST_SU_SY_EESZ_S10_S11_S12_S16_S17_S18_S1B_S1C_jS1D_jS1E_S1E_jjS1G_bEUljE0_EEESZ_S10_S11_S18_S1C_S1E_T6_T7_T9_mT8_S1G_bDpT10_ENKUlT_T0_E_clISt17integral_constantIbLb0EES1U_EEDaS1P_S1Q_EUlS1P_E_NS1_11comp_targetILNS1_3genE8ELNS1_11target_archE1030ELNS1_3gpuE2ELNS1_3repE0EEENS1_30default_config_static_selectorELNS0_4arch9wavefront6targetE0EEEvS12_
; %bb.0:
	.section	.rodata,"a",@progbits
	.p2align	6, 0x0
	.amdhsa_kernel _ZN7rocprim17ROCPRIM_400000_NS6detail17trampoline_kernelINS0_13select_configILj256ELj13ELNS0_17block_load_methodE3ELS4_3ELS4_3ELNS0_20block_scan_algorithmE0ELj4294967295EEENS1_25partition_config_selectorILNS1_17partition_subalgoE4EjNS0_10empty_typeEbEEZZNS1_14partition_implILS8_4ELb0ES6_15HIP_vector_typeIjLj2EENS0_17counting_iteratorIjlEEPS9_SG_NS0_5tupleIJPjSI_NS0_16reverse_iteratorISI_EEEEENSH_IJSG_SG_SG_EEES9_SI_JZNS1_25segmented_radix_sort_implINS0_14default_configELb1EPKiPiPKlPlN2at6native12_GLOBAL__N_18offset_tEEE10hipError_tPvRmT1_PNSt15iterator_traitsIS12_E10value_typeET2_T3_PNS13_IS18_E10value_typeET4_jRbjT5_S1E_jjP12ihipStream_tbEUljE_ZNSN_ISO_Lb1ESQ_SR_ST_SU_SY_EESZ_S10_S11_S12_S16_S17_S18_S1B_S1C_jS1D_jS1E_S1E_jjS1G_bEUljE0_EEESZ_S10_S11_S18_S1C_S1E_T6_T7_T9_mT8_S1G_bDpT10_ENKUlT_T0_E_clISt17integral_constantIbLb0EES1U_EEDaS1P_S1Q_EUlS1P_E_NS1_11comp_targetILNS1_3genE8ELNS1_11target_archE1030ELNS1_3gpuE2ELNS1_3repE0EEENS1_30default_config_static_selectorELNS0_4arch9wavefront6targetE0EEEvS12_
		.amdhsa_group_segment_fixed_size 0
		.amdhsa_private_segment_fixed_size 0
		.amdhsa_kernarg_size 176
		.amdhsa_user_sgpr_count 2
		.amdhsa_user_sgpr_dispatch_ptr 0
		.amdhsa_user_sgpr_queue_ptr 0
		.amdhsa_user_sgpr_kernarg_segment_ptr 1
		.amdhsa_user_sgpr_dispatch_id 0
		.amdhsa_user_sgpr_kernarg_preload_length 0
		.amdhsa_user_sgpr_kernarg_preload_offset 0
		.amdhsa_user_sgpr_private_segment_size 0
		.amdhsa_wavefront_size32 1
		.amdhsa_uses_dynamic_stack 0
		.amdhsa_enable_private_segment 0
		.amdhsa_system_sgpr_workgroup_id_x 1
		.amdhsa_system_sgpr_workgroup_id_y 0
		.amdhsa_system_sgpr_workgroup_id_z 0
		.amdhsa_system_sgpr_workgroup_info 0
		.amdhsa_system_vgpr_workitem_id 0
		.amdhsa_next_free_vgpr 1
		.amdhsa_next_free_sgpr 1
		.amdhsa_named_barrier_count 0
		.amdhsa_reserve_vcc 0
		.amdhsa_float_round_mode_32 0
		.amdhsa_float_round_mode_16_64 0
		.amdhsa_float_denorm_mode_32 3
		.amdhsa_float_denorm_mode_16_64 3
		.amdhsa_fp16_overflow 0
		.amdhsa_memory_ordered 1
		.amdhsa_forward_progress 1
		.amdhsa_inst_pref_size 0
		.amdhsa_round_robin_scheduling 0
		.amdhsa_exception_fp_ieee_invalid_op 0
		.amdhsa_exception_fp_denorm_src 0
		.amdhsa_exception_fp_ieee_div_zero 0
		.amdhsa_exception_fp_ieee_overflow 0
		.amdhsa_exception_fp_ieee_underflow 0
		.amdhsa_exception_fp_ieee_inexact 0
		.amdhsa_exception_int_div_zero 0
	.end_amdhsa_kernel
	.section	.text._ZN7rocprim17ROCPRIM_400000_NS6detail17trampoline_kernelINS0_13select_configILj256ELj13ELNS0_17block_load_methodE3ELS4_3ELS4_3ELNS0_20block_scan_algorithmE0ELj4294967295EEENS1_25partition_config_selectorILNS1_17partition_subalgoE4EjNS0_10empty_typeEbEEZZNS1_14partition_implILS8_4ELb0ES6_15HIP_vector_typeIjLj2EENS0_17counting_iteratorIjlEEPS9_SG_NS0_5tupleIJPjSI_NS0_16reverse_iteratorISI_EEEEENSH_IJSG_SG_SG_EEES9_SI_JZNS1_25segmented_radix_sort_implINS0_14default_configELb1EPKiPiPKlPlN2at6native12_GLOBAL__N_18offset_tEEE10hipError_tPvRmT1_PNSt15iterator_traitsIS12_E10value_typeET2_T3_PNS13_IS18_E10value_typeET4_jRbjT5_S1E_jjP12ihipStream_tbEUljE_ZNSN_ISO_Lb1ESQ_SR_ST_SU_SY_EESZ_S10_S11_S12_S16_S17_S18_S1B_S1C_jS1D_jS1E_S1E_jjS1G_bEUljE0_EEESZ_S10_S11_S18_S1C_S1E_T6_T7_T9_mT8_S1G_bDpT10_ENKUlT_T0_E_clISt17integral_constantIbLb0EES1U_EEDaS1P_S1Q_EUlS1P_E_NS1_11comp_targetILNS1_3genE8ELNS1_11target_archE1030ELNS1_3gpuE2ELNS1_3repE0EEENS1_30default_config_static_selectorELNS0_4arch9wavefront6targetE0EEEvS12_,"axG",@progbits,_ZN7rocprim17ROCPRIM_400000_NS6detail17trampoline_kernelINS0_13select_configILj256ELj13ELNS0_17block_load_methodE3ELS4_3ELS4_3ELNS0_20block_scan_algorithmE0ELj4294967295EEENS1_25partition_config_selectorILNS1_17partition_subalgoE4EjNS0_10empty_typeEbEEZZNS1_14partition_implILS8_4ELb0ES6_15HIP_vector_typeIjLj2EENS0_17counting_iteratorIjlEEPS9_SG_NS0_5tupleIJPjSI_NS0_16reverse_iteratorISI_EEEEENSH_IJSG_SG_SG_EEES9_SI_JZNS1_25segmented_radix_sort_implINS0_14default_configELb1EPKiPiPKlPlN2at6native12_GLOBAL__N_18offset_tEEE10hipError_tPvRmT1_PNSt15iterator_traitsIS12_E10value_typeET2_T3_PNS13_IS18_E10value_typeET4_jRbjT5_S1E_jjP12ihipStream_tbEUljE_ZNSN_ISO_Lb1ESQ_SR_ST_SU_SY_EESZ_S10_S11_S12_S16_S17_S18_S1B_S1C_jS1D_jS1E_S1E_jjS1G_bEUljE0_EEESZ_S10_S11_S18_S1C_S1E_T6_T7_T9_mT8_S1G_bDpT10_ENKUlT_T0_E_clISt17integral_constantIbLb0EES1U_EEDaS1P_S1Q_EUlS1P_E_NS1_11comp_targetILNS1_3genE8ELNS1_11target_archE1030ELNS1_3gpuE2ELNS1_3repE0EEENS1_30default_config_static_selectorELNS0_4arch9wavefront6targetE0EEEvS12_,comdat
.Lfunc_end436:
	.size	_ZN7rocprim17ROCPRIM_400000_NS6detail17trampoline_kernelINS0_13select_configILj256ELj13ELNS0_17block_load_methodE3ELS4_3ELS4_3ELNS0_20block_scan_algorithmE0ELj4294967295EEENS1_25partition_config_selectorILNS1_17partition_subalgoE4EjNS0_10empty_typeEbEEZZNS1_14partition_implILS8_4ELb0ES6_15HIP_vector_typeIjLj2EENS0_17counting_iteratorIjlEEPS9_SG_NS0_5tupleIJPjSI_NS0_16reverse_iteratorISI_EEEEENSH_IJSG_SG_SG_EEES9_SI_JZNS1_25segmented_radix_sort_implINS0_14default_configELb1EPKiPiPKlPlN2at6native12_GLOBAL__N_18offset_tEEE10hipError_tPvRmT1_PNSt15iterator_traitsIS12_E10value_typeET2_T3_PNS13_IS18_E10value_typeET4_jRbjT5_S1E_jjP12ihipStream_tbEUljE_ZNSN_ISO_Lb1ESQ_SR_ST_SU_SY_EESZ_S10_S11_S12_S16_S17_S18_S1B_S1C_jS1D_jS1E_S1E_jjS1G_bEUljE0_EEESZ_S10_S11_S18_S1C_S1E_T6_T7_T9_mT8_S1G_bDpT10_ENKUlT_T0_E_clISt17integral_constantIbLb0EES1U_EEDaS1P_S1Q_EUlS1P_E_NS1_11comp_targetILNS1_3genE8ELNS1_11target_archE1030ELNS1_3gpuE2ELNS1_3repE0EEENS1_30default_config_static_selectorELNS0_4arch9wavefront6targetE0EEEvS12_, .Lfunc_end436-_ZN7rocprim17ROCPRIM_400000_NS6detail17trampoline_kernelINS0_13select_configILj256ELj13ELNS0_17block_load_methodE3ELS4_3ELS4_3ELNS0_20block_scan_algorithmE0ELj4294967295EEENS1_25partition_config_selectorILNS1_17partition_subalgoE4EjNS0_10empty_typeEbEEZZNS1_14partition_implILS8_4ELb0ES6_15HIP_vector_typeIjLj2EENS0_17counting_iteratorIjlEEPS9_SG_NS0_5tupleIJPjSI_NS0_16reverse_iteratorISI_EEEEENSH_IJSG_SG_SG_EEES9_SI_JZNS1_25segmented_radix_sort_implINS0_14default_configELb1EPKiPiPKlPlN2at6native12_GLOBAL__N_18offset_tEEE10hipError_tPvRmT1_PNSt15iterator_traitsIS12_E10value_typeET2_T3_PNS13_IS18_E10value_typeET4_jRbjT5_S1E_jjP12ihipStream_tbEUljE_ZNSN_ISO_Lb1ESQ_SR_ST_SU_SY_EESZ_S10_S11_S12_S16_S17_S18_S1B_S1C_jS1D_jS1E_S1E_jjS1G_bEUljE0_EEESZ_S10_S11_S18_S1C_S1E_T6_T7_T9_mT8_S1G_bDpT10_ENKUlT_T0_E_clISt17integral_constantIbLb0EES1U_EEDaS1P_S1Q_EUlS1P_E_NS1_11comp_targetILNS1_3genE8ELNS1_11target_archE1030ELNS1_3gpuE2ELNS1_3repE0EEENS1_30default_config_static_selectorELNS0_4arch9wavefront6targetE0EEEvS12_
                                        ; -- End function
	.set _ZN7rocprim17ROCPRIM_400000_NS6detail17trampoline_kernelINS0_13select_configILj256ELj13ELNS0_17block_load_methodE3ELS4_3ELS4_3ELNS0_20block_scan_algorithmE0ELj4294967295EEENS1_25partition_config_selectorILNS1_17partition_subalgoE4EjNS0_10empty_typeEbEEZZNS1_14partition_implILS8_4ELb0ES6_15HIP_vector_typeIjLj2EENS0_17counting_iteratorIjlEEPS9_SG_NS0_5tupleIJPjSI_NS0_16reverse_iteratorISI_EEEEENSH_IJSG_SG_SG_EEES9_SI_JZNS1_25segmented_radix_sort_implINS0_14default_configELb1EPKiPiPKlPlN2at6native12_GLOBAL__N_18offset_tEEE10hipError_tPvRmT1_PNSt15iterator_traitsIS12_E10value_typeET2_T3_PNS13_IS18_E10value_typeET4_jRbjT5_S1E_jjP12ihipStream_tbEUljE_ZNSN_ISO_Lb1ESQ_SR_ST_SU_SY_EESZ_S10_S11_S12_S16_S17_S18_S1B_S1C_jS1D_jS1E_S1E_jjS1G_bEUljE0_EEESZ_S10_S11_S18_S1C_S1E_T6_T7_T9_mT8_S1G_bDpT10_ENKUlT_T0_E_clISt17integral_constantIbLb0EES1U_EEDaS1P_S1Q_EUlS1P_E_NS1_11comp_targetILNS1_3genE8ELNS1_11target_archE1030ELNS1_3gpuE2ELNS1_3repE0EEENS1_30default_config_static_selectorELNS0_4arch9wavefront6targetE0EEEvS12_.num_vgpr, 0
	.set _ZN7rocprim17ROCPRIM_400000_NS6detail17trampoline_kernelINS0_13select_configILj256ELj13ELNS0_17block_load_methodE3ELS4_3ELS4_3ELNS0_20block_scan_algorithmE0ELj4294967295EEENS1_25partition_config_selectorILNS1_17partition_subalgoE4EjNS0_10empty_typeEbEEZZNS1_14partition_implILS8_4ELb0ES6_15HIP_vector_typeIjLj2EENS0_17counting_iteratorIjlEEPS9_SG_NS0_5tupleIJPjSI_NS0_16reverse_iteratorISI_EEEEENSH_IJSG_SG_SG_EEES9_SI_JZNS1_25segmented_radix_sort_implINS0_14default_configELb1EPKiPiPKlPlN2at6native12_GLOBAL__N_18offset_tEEE10hipError_tPvRmT1_PNSt15iterator_traitsIS12_E10value_typeET2_T3_PNS13_IS18_E10value_typeET4_jRbjT5_S1E_jjP12ihipStream_tbEUljE_ZNSN_ISO_Lb1ESQ_SR_ST_SU_SY_EESZ_S10_S11_S12_S16_S17_S18_S1B_S1C_jS1D_jS1E_S1E_jjS1G_bEUljE0_EEESZ_S10_S11_S18_S1C_S1E_T6_T7_T9_mT8_S1G_bDpT10_ENKUlT_T0_E_clISt17integral_constantIbLb0EES1U_EEDaS1P_S1Q_EUlS1P_E_NS1_11comp_targetILNS1_3genE8ELNS1_11target_archE1030ELNS1_3gpuE2ELNS1_3repE0EEENS1_30default_config_static_selectorELNS0_4arch9wavefront6targetE0EEEvS12_.num_agpr, 0
	.set _ZN7rocprim17ROCPRIM_400000_NS6detail17trampoline_kernelINS0_13select_configILj256ELj13ELNS0_17block_load_methodE3ELS4_3ELS4_3ELNS0_20block_scan_algorithmE0ELj4294967295EEENS1_25partition_config_selectorILNS1_17partition_subalgoE4EjNS0_10empty_typeEbEEZZNS1_14partition_implILS8_4ELb0ES6_15HIP_vector_typeIjLj2EENS0_17counting_iteratorIjlEEPS9_SG_NS0_5tupleIJPjSI_NS0_16reverse_iteratorISI_EEEEENSH_IJSG_SG_SG_EEES9_SI_JZNS1_25segmented_radix_sort_implINS0_14default_configELb1EPKiPiPKlPlN2at6native12_GLOBAL__N_18offset_tEEE10hipError_tPvRmT1_PNSt15iterator_traitsIS12_E10value_typeET2_T3_PNS13_IS18_E10value_typeET4_jRbjT5_S1E_jjP12ihipStream_tbEUljE_ZNSN_ISO_Lb1ESQ_SR_ST_SU_SY_EESZ_S10_S11_S12_S16_S17_S18_S1B_S1C_jS1D_jS1E_S1E_jjS1G_bEUljE0_EEESZ_S10_S11_S18_S1C_S1E_T6_T7_T9_mT8_S1G_bDpT10_ENKUlT_T0_E_clISt17integral_constantIbLb0EES1U_EEDaS1P_S1Q_EUlS1P_E_NS1_11comp_targetILNS1_3genE8ELNS1_11target_archE1030ELNS1_3gpuE2ELNS1_3repE0EEENS1_30default_config_static_selectorELNS0_4arch9wavefront6targetE0EEEvS12_.numbered_sgpr, 0
	.set _ZN7rocprim17ROCPRIM_400000_NS6detail17trampoline_kernelINS0_13select_configILj256ELj13ELNS0_17block_load_methodE3ELS4_3ELS4_3ELNS0_20block_scan_algorithmE0ELj4294967295EEENS1_25partition_config_selectorILNS1_17partition_subalgoE4EjNS0_10empty_typeEbEEZZNS1_14partition_implILS8_4ELb0ES6_15HIP_vector_typeIjLj2EENS0_17counting_iteratorIjlEEPS9_SG_NS0_5tupleIJPjSI_NS0_16reverse_iteratorISI_EEEEENSH_IJSG_SG_SG_EEES9_SI_JZNS1_25segmented_radix_sort_implINS0_14default_configELb1EPKiPiPKlPlN2at6native12_GLOBAL__N_18offset_tEEE10hipError_tPvRmT1_PNSt15iterator_traitsIS12_E10value_typeET2_T3_PNS13_IS18_E10value_typeET4_jRbjT5_S1E_jjP12ihipStream_tbEUljE_ZNSN_ISO_Lb1ESQ_SR_ST_SU_SY_EESZ_S10_S11_S12_S16_S17_S18_S1B_S1C_jS1D_jS1E_S1E_jjS1G_bEUljE0_EEESZ_S10_S11_S18_S1C_S1E_T6_T7_T9_mT8_S1G_bDpT10_ENKUlT_T0_E_clISt17integral_constantIbLb0EES1U_EEDaS1P_S1Q_EUlS1P_E_NS1_11comp_targetILNS1_3genE8ELNS1_11target_archE1030ELNS1_3gpuE2ELNS1_3repE0EEENS1_30default_config_static_selectorELNS0_4arch9wavefront6targetE0EEEvS12_.num_named_barrier, 0
	.set _ZN7rocprim17ROCPRIM_400000_NS6detail17trampoline_kernelINS0_13select_configILj256ELj13ELNS0_17block_load_methodE3ELS4_3ELS4_3ELNS0_20block_scan_algorithmE0ELj4294967295EEENS1_25partition_config_selectorILNS1_17partition_subalgoE4EjNS0_10empty_typeEbEEZZNS1_14partition_implILS8_4ELb0ES6_15HIP_vector_typeIjLj2EENS0_17counting_iteratorIjlEEPS9_SG_NS0_5tupleIJPjSI_NS0_16reverse_iteratorISI_EEEEENSH_IJSG_SG_SG_EEES9_SI_JZNS1_25segmented_radix_sort_implINS0_14default_configELb1EPKiPiPKlPlN2at6native12_GLOBAL__N_18offset_tEEE10hipError_tPvRmT1_PNSt15iterator_traitsIS12_E10value_typeET2_T3_PNS13_IS18_E10value_typeET4_jRbjT5_S1E_jjP12ihipStream_tbEUljE_ZNSN_ISO_Lb1ESQ_SR_ST_SU_SY_EESZ_S10_S11_S12_S16_S17_S18_S1B_S1C_jS1D_jS1E_S1E_jjS1G_bEUljE0_EEESZ_S10_S11_S18_S1C_S1E_T6_T7_T9_mT8_S1G_bDpT10_ENKUlT_T0_E_clISt17integral_constantIbLb0EES1U_EEDaS1P_S1Q_EUlS1P_E_NS1_11comp_targetILNS1_3genE8ELNS1_11target_archE1030ELNS1_3gpuE2ELNS1_3repE0EEENS1_30default_config_static_selectorELNS0_4arch9wavefront6targetE0EEEvS12_.private_seg_size, 0
	.set _ZN7rocprim17ROCPRIM_400000_NS6detail17trampoline_kernelINS0_13select_configILj256ELj13ELNS0_17block_load_methodE3ELS4_3ELS4_3ELNS0_20block_scan_algorithmE0ELj4294967295EEENS1_25partition_config_selectorILNS1_17partition_subalgoE4EjNS0_10empty_typeEbEEZZNS1_14partition_implILS8_4ELb0ES6_15HIP_vector_typeIjLj2EENS0_17counting_iteratorIjlEEPS9_SG_NS0_5tupleIJPjSI_NS0_16reverse_iteratorISI_EEEEENSH_IJSG_SG_SG_EEES9_SI_JZNS1_25segmented_radix_sort_implINS0_14default_configELb1EPKiPiPKlPlN2at6native12_GLOBAL__N_18offset_tEEE10hipError_tPvRmT1_PNSt15iterator_traitsIS12_E10value_typeET2_T3_PNS13_IS18_E10value_typeET4_jRbjT5_S1E_jjP12ihipStream_tbEUljE_ZNSN_ISO_Lb1ESQ_SR_ST_SU_SY_EESZ_S10_S11_S12_S16_S17_S18_S1B_S1C_jS1D_jS1E_S1E_jjS1G_bEUljE0_EEESZ_S10_S11_S18_S1C_S1E_T6_T7_T9_mT8_S1G_bDpT10_ENKUlT_T0_E_clISt17integral_constantIbLb0EES1U_EEDaS1P_S1Q_EUlS1P_E_NS1_11comp_targetILNS1_3genE8ELNS1_11target_archE1030ELNS1_3gpuE2ELNS1_3repE0EEENS1_30default_config_static_selectorELNS0_4arch9wavefront6targetE0EEEvS12_.uses_vcc, 0
	.set _ZN7rocprim17ROCPRIM_400000_NS6detail17trampoline_kernelINS0_13select_configILj256ELj13ELNS0_17block_load_methodE3ELS4_3ELS4_3ELNS0_20block_scan_algorithmE0ELj4294967295EEENS1_25partition_config_selectorILNS1_17partition_subalgoE4EjNS0_10empty_typeEbEEZZNS1_14partition_implILS8_4ELb0ES6_15HIP_vector_typeIjLj2EENS0_17counting_iteratorIjlEEPS9_SG_NS0_5tupleIJPjSI_NS0_16reverse_iteratorISI_EEEEENSH_IJSG_SG_SG_EEES9_SI_JZNS1_25segmented_radix_sort_implINS0_14default_configELb1EPKiPiPKlPlN2at6native12_GLOBAL__N_18offset_tEEE10hipError_tPvRmT1_PNSt15iterator_traitsIS12_E10value_typeET2_T3_PNS13_IS18_E10value_typeET4_jRbjT5_S1E_jjP12ihipStream_tbEUljE_ZNSN_ISO_Lb1ESQ_SR_ST_SU_SY_EESZ_S10_S11_S12_S16_S17_S18_S1B_S1C_jS1D_jS1E_S1E_jjS1G_bEUljE0_EEESZ_S10_S11_S18_S1C_S1E_T6_T7_T9_mT8_S1G_bDpT10_ENKUlT_T0_E_clISt17integral_constantIbLb0EES1U_EEDaS1P_S1Q_EUlS1P_E_NS1_11comp_targetILNS1_3genE8ELNS1_11target_archE1030ELNS1_3gpuE2ELNS1_3repE0EEENS1_30default_config_static_selectorELNS0_4arch9wavefront6targetE0EEEvS12_.uses_flat_scratch, 0
	.set _ZN7rocprim17ROCPRIM_400000_NS6detail17trampoline_kernelINS0_13select_configILj256ELj13ELNS0_17block_load_methodE3ELS4_3ELS4_3ELNS0_20block_scan_algorithmE0ELj4294967295EEENS1_25partition_config_selectorILNS1_17partition_subalgoE4EjNS0_10empty_typeEbEEZZNS1_14partition_implILS8_4ELb0ES6_15HIP_vector_typeIjLj2EENS0_17counting_iteratorIjlEEPS9_SG_NS0_5tupleIJPjSI_NS0_16reverse_iteratorISI_EEEEENSH_IJSG_SG_SG_EEES9_SI_JZNS1_25segmented_radix_sort_implINS0_14default_configELb1EPKiPiPKlPlN2at6native12_GLOBAL__N_18offset_tEEE10hipError_tPvRmT1_PNSt15iterator_traitsIS12_E10value_typeET2_T3_PNS13_IS18_E10value_typeET4_jRbjT5_S1E_jjP12ihipStream_tbEUljE_ZNSN_ISO_Lb1ESQ_SR_ST_SU_SY_EESZ_S10_S11_S12_S16_S17_S18_S1B_S1C_jS1D_jS1E_S1E_jjS1G_bEUljE0_EEESZ_S10_S11_S18_S1C_S1E_T6_T7_T9_mT8_S1G_bDpT10_ENKUlT_T0_E_clISt17integral_constantIbLb0EES1U_EEDaS1P_S1Q_EUlS1P_E_NS1_11comp_targetILNS1_3genE8ELNS1_11target_archE1030ELNS1_3gpuE2ELNS1_3repE0EEENS1_30default_config_static_selectorELNS0_4arch9wavefront6targetE0EEEvS12_.has_dyn_sized_stack, 0
	.set _ZN7rocprim17ROCPRIM_400000_NS6detail17trampoline_kernelINS0_13select_configILj256ELj13ELNS0_17block_load_methodE3ELS4_3ELS4_3ELNS0_20block_scan_algorithmE0ELj4294967295EEENS1_25partition_config_selectorILNS1_17partition_subalgoE4EjNS0_10empty_typeEbEEZZNS1_14partition_implILS8_4ELb0ES6_15HIP_vector_typeIjLj2EENS0_17counting_iteratorIjlEEPS9_SG_NS0_5tupleIJPjSI_NS0_16reverse_iteratorISI_EEEEENSH_IJSG_SG_SG_EEES9_SI_JZNS1_25segmented_radix_sort_implINS0_14default_configELb1EPKiPiPKlPlN2at6native12_GLOBAL__N_18offset_tEEE10hipError_tPvRmT1_PNSt15iterator_traitsIS12_E10value_typeET2_T3_PNS13_IS18_E10value_typeET4_jRbjT5_S1E_jjP12ihipStream_tbEUljE_ZNSN_ISO_Lb1ESQ_SR_ST_SU_SY_EESZ_S10_S11_S12_S16_S17_S18_S1B_S1C_jS1D_jS1E_S1E_jjS1G_bEUljE0_EEESZ_S10_S11_S18_S1C_S1E_T6_T7_T9_mT8_S1G_bDpT10_ENKUlT_T0_E_clISt17integral_constantIbLb0EES1U_EEDaS1P_S1Q_EUlS1P_E_NS1_11comp_targetILNS1_3genE8ELNS1_11target_archE1030ELNS1_3gpuE2ELNS1_3repE0EEENS1_30default_config_static_selectorELNS0_4arch9wavefront6targetE0EEEvS12_.has_recursion, 0
	.set _ZN7rocprim17ROCPRIM_400000_NS6detail17trampoline_kernelINS0_13select_configILj256ELj13ELNS0_17block_load_methodE3ELS4_3ELS4_3ELNS0_20block_scan_algorithmE0ELj4294967295EEENS1_25partition_config_selectorILNS1_17partition_subalgoE4EjNS0_10empty_typeEbEEZZNS1_14partition_implILS8_4ELb0ES6_15HIP_vector_typeIjLj2EENS0_17counting_iteratorIjlEEPS9_SG_NS0_5tupleIJPjSI_NS0_16reverse_iteratorISI_EEEEENSH_IJSG_SG_SG_EEES9_SI_JZNS1_25segmented_radix_sort_implINS0_14default_configELb1EPKiPiPKlPlN2at6native12_GLOBAL__N_18offset_tEEE10hipError_tPvRmT1_PNSt15iterator_traitsIS12_E10value_typeET2_T3_PNS13_IS18_E10value_typeET4_jRbjT5_S1E_jjP12ihipStream_tbEUljE_ZNSN_ISO_Lb1ESQ_SR_ST_SU_SY_EESZ_S10_S11_S12_S16_S17_S18_S1B_S1C_jS1D_jS1E_S1E_jjS1G_bEUljE0_EEESZ_S10_S11_S18_S1C_S1E_T6_T7_T9_mT8_S1G_bDpT10_ENKUlT_T0_E_clISt17integral_constantIbLb0EES1U_EEDaS1P_S1Q_EUlS1P_E_NS1_11comp_targetILNS1_3genE8ELNS1_11target_archE1030ELNS1_3gpuE2ELNS1_3repE0EEENS1_30default_config_static_selectorELNS0_4arch9wavefront6targetE0EEEvS12_.has_indirect_call, 0
	.section	.AMDGPU.csdata,"",@progbits
; Kernel info:
; codeLenInByte = 0
; TotalNumSgprs: 0
; NumVgprs: 0
; ScratchSize: 0
; MemoryBound: 0
; FloatMode: 240
; IeeeMode: 1
; LDSByteSize: 0 bytes/workgroup (compile time only)
; SGPRBlocks: 0
; VGPRBlocks: 0
; NumSGPRsForWavesPerEU: 1
; NumVGPRsForWavesPerEU: 1
; NamedBarCnt: 0
; Occupancy: 16
; WaveLimiterHint : 0
; COMPUTE_PGM_RSRC2:SCRATCH_EN: 0
; COMPUTE_PGM_RSRC2:USER_SGPR: 2
; COMPUTE_PGM_RSRC2:TRAP_HANDLER: 0
; COMPUTE_PGM_RSRC2:TGID_X_EN: 1
; COMPUTE_PGM_RSRC2:TGID_Y_EN: 0
; COMPUTE_PGM_RSRC2:TGID_Z_EN: 0
; COMPUTE_PGM_RSRC2:TIDIG_COMP_CNT: 0
	.section	.text._ZN7rocprim17ROCPRIM_400000_NS6detail17trampoline_kernelINS0_13select_configILj256ELj13ELNS0_17block_load_methodE3ELS4_3ELS4_3ELNS0_20block_scan_algorithmE0ELj4294967295EEENS1_25partition_config_selectorILNS1_17partition_subalgoE4EjNS0_10empty_typeEbEEZZNS1_14partition_implILS8_4ELb0ES6_15HIP_vector_typeIjLj2EENS0_17counting_iteratorIjlEEPS9_SG_NS0_5tupleIJPjSI_NS0_16reverse_iteratorISI_EEEEENSH_IJSG_SG_SG_EEES9_SI_JZNS1_25segmented_radix_sort_implINS0_14default_configELb1EPKiPiPKlPlN2at6native12_GLOBAL__N_18offset_tEEE10hipError_tPvRmT1_PNSt15iterator_traitsIS12_E10value_typeET2_T3_PNS13_IS18_E10value_typeET4_jRbjT5_S1E_jjP12ihipStream_tbEUljE_ZNSN_ISO_Lb1ESQ_SR_ST_SU_SY_EESZ_S10_S11_S12_S16_S17_S18_S1B_S1C_jS1D_jS1E_S1E_jjS1G_bEUljE0_EEESZ_S10_S11_S18_S1C_S1E_T6_T7_T9_mT8_S1G_bDpT10_ENKUlT_T0_E_clISt17integral_constantIbLb1EES1U_EEDaS1P_S1Q_EUlS1P_E_NS1_11comp_targetILNS1_3genE0ELNS1_11target_archE4294967295ELNS1_3gpuE0ELNS1_3repE0EEENS1_30default_config_static_selectorELNS0_4arch9wavefront6targetE0EEEvS12_,"axG",@progbits,_ZN7rocprim17ROCPRIM_400000_NS6detail17trampoline_kernelINS0_13select_configILj256ELj13ELNS0_17block_load_methodE3ELS4_3ELS4_3ELNS0_20block_scan_algorithmE0ELj4294967295EEENS1_25partition_config_selectorILNS1_17partition_subalgoE4EjNS0_10empty_typeEbEEZZNS1_14partition_implILS8_4ELb0ES6_15HIP_vector_typeIjLj2EENS0_17counting_iteratorIjlEEPS9_SG_NS0_5tupleIJPjSI_NS0_16reverse_iteratorISI_EEEEENSH_IJSG_SG_SG_EEES9_SI_JZNS1_25segmented_radix_sort_implINS0_14default_configELb1EPKiPiPKlPlN2at6native12_GLOBAL__N_18offset_tEEE10hipError_tPvRmT1_PNSt15iterator_traitsIS12_E10value_typeET2_T3_PNS13_IS18_E10value_typeET4_jRbjT5_S1E_jjP12ihipStream_tbEUljE_ZNSN_ISO_Lb1ESQ_SR_ST_SU_SY_EESZ_S10_S11_S12_S16_S17_S18_S1B_S1C_jS1D_jS1E_S1E_jjS1G_bEUljE0_EEESZ_S10_S11_S18_S1C_S1E_T6_T7_T9_mT8_S1G_bDpT10_ENKUlT_T0_E_clISt17integral_constantIbLb1EES1U_EEDaS1P_S1Q_EUlS1P_E_NS1_11comp_targetILNS1_3genE0ELNS1_11target_archE4294967295ELNS1_3gpuE0ELNS1_3repE0EEENS1_30default_config_static_selectorELNS0_4arch9wavefront6targetE0EEEvS12_,comdat
	.globl	_ZN7rocprim17ROCPRIM_400000_NS6detail17trampoline_kernelINS0_13select_configILj256ELj13ELNS0_17block_load_methodE3ELS4_3ELS4_3ELNS0_20block_scan_algorithmE0ELj4294967295EEENS1_25partition_config_selectorILNS1_17partition_subalgoE4EjNS0_10empty_typeEbEEZZNS1_14partition_implILS8_4ELb0ES6_15HIP_vector_typeIjLj2EENS0_17counting_iteratorIjlEEPS9_SG_NS0_5tupleIJPjSI_NS0_16reverse_iteratorISI_EEEEENSH_IJSG_SG_SG_EEES9_SI_JZNS1_25segmented_radix_sort_implINS0_14default_configELb1EPKiPiPKlPlN2at6native12_GLOBAL__N_18offset_tEEE10hipError_tPvRmT1_PNSt15iterator_traitsIS12_E10value_typeET2_T3_PNS13_IS18_E10value_typeET4_jRbjT5_S1E_jjP12ihipStream_tbEUljE_ZNSN_ISO_Lb1ESQ_SR_ST_SU_SY_EESZ_S10_S11_S12_S16_S17_S18_S1B_S1C_jS1D_jS1E_S1E_jjS1G_bEUljE0_EEESZ_S10_S11_S18_S1C_S1E_T6_T7_T9_mT8_S1G_bDpT10_ENKUlT_T0_E_clISt17integral_constantIbLb1EES1U_EEDaS1P_S1Q_EUlS1P_E_NS1_11comp_targetILNS1_3genE0ELNS1_11target_archE4294967295ELNS1_3gpuE0ELNS1_3repE0EEENS1_30default_config_static_selectorELNS0_4arch9wavefront6targetE0EEEvS12_ ; -- Begin function _ZN7rocprim17ROCPRIM_400000_NS6detail17trampoline_kernelINS0_13select_configILj256ELj13ELNS0_17block_load_methodE3ELS4_3ELS4_3ELNS0_20block_scan_algorithmE0ELj4294967295EEENS1_25partition_config_selectorILNS1_17partition_subalgoE4EjNS0_10empty_typeEbEEZZNS1_14partition_implILS8_4ELb0ES6_15HIP_vector_typeIjLj2EENS0_17counting_iteratorIjlEEPS9_SG_NS0_5tupleIJPjSI_NS0_16reverse_iteratorISI_EEEEENSH_IJSG_SG_SG_EEES9_SI_JZNS1_25segmented_radix_sort_implINS0_14default_configELb1EPKiPiPKlPlN2at6native12_GLOBAL__N_18offset_tEEE10hipError_tPvRmT1_PNSt15iterator_traitsIS12_E10value_typeET2_T3_PNS13_IS18_E10value_typeET4_jRbjT5_S1E_jjP12ihipStream_tbEUljE_ZNSN_ISO_Lb1ESQ_SR_ST_SU_SY_EESZ_S10_S11_S12_S16_S17_S18_S1B_S1C_jS1D_jS1E_S1E_jjS1G_bEUljE0_EEESZ_S10_S11_S18_S1C_S1E_T6_T7_T9_mT8_S1G_bDpT10_ENKUlT_T0_E_clISt17integral_constantIbLb1EES1U_EEDaS1P_S1Q_EUlS1P_E_NS1_11comp_targetILNS1_3genE0ELNS1_11target_archE4294967295ELNS1_3gpuE0ELNS1_3repE0EEENS1_30default_config_static_selectorELNS0_4arch9wavefront6targetE0EEEvS12_
	.p2align	8
	.type	_ZN7rocprim17ROCPRIM_400000_NS6detail17trampoline_kernelINS0_13select_configILj256ELj13ELNS0_17block_load_methodE3ELS4_3ELS4_3ELNS0_20block_scan_algorithmE0ELj4294967295EEENS1_25partition_config_selectorILNS1_17partition_subalgoE4EjNS0_10empty_typeEbEEZZNS1_14partition_implILS8_4ELb0ES6_15HIP_vector_typeIjLj2EENS0_17counting_iteratorIjlEEPS9_SG_NS0_5tupleIJPjSI_NS0_16reverse_iteratorISI_EEEEENSH_IJSG_SG_SG_EEES9_SI_JZNS1_25segmented_radix_sort_implINS0_14default_configELb1EPKiPiPKlPlN2at6native12_GLOBAL__N_18offset_tEEE10hipError_tPvRmT1_PNSt15iterator_traitsIS12_E10value_typeET2_T3_PNS13_IS18_E10value_typeET4_jRbjT5_S1E_jjP12ihipStream_tbEUljE_ZNSN_ISO_Lb1ESQ_SR_ST_SU_SY_EESZ_S10_S11_S12_S16_S17_S18_S1B_S1C_jS1D_jS1E_S1E_jjS1G_bEUljE0_EEESZ_S10_S11_S18_S1C_S1E_T6_T7_T9_mT8_S1G_bDpT10_ENKUlT_T0_E_clISt17integral_constantIbLb1EES1U_EEDaS1P_S1Q_EUlS1P_E_NS1_11comp_targetILNS1_3genE0ELNS1_11target_archE4294967295ELNS1_3gpuE0ELNS1_3repE0EEENS1_30default_config_static_selectorELNS0_4arch9wavefront6targetE0EEEvS12_,@function
_ZN7rocprim17ROCPRIM_400000_NS6detail17trampoline_kernelINS0_13select_configILj256ELj13ELNS0_17block_load_methodE3ELS4_3ELS4_3ELNS0_20block_scan_algorithmE0ELj4294967295EEENS1_25partition_config_selectorILNS1_17partition_subalgoE4EjNS0_10empty_typeEbEEZZNS1_14partition_implILS8_4ELb0ES6_15HIP_vector_typeIjLj2EENS0_17counting_iteratorIjlEEPS9_SG_NS0_5tupleIJPjSI_NS0_16reverse_iteratorISI_EEEEENSH_IJSG_SG_SG_EEES9_SI_JZNS1_25segmented_radix_sort_implINS0_14default_configELb1EPKiPiPKlPlN2at6native12_GLOBAL__N_18offset_tEEE10hipError_tPvRmT1_PNSt15iterator_traitsIS12_E10value_typeET2_T3_PNS13_IS18_E10value_typeET4_jRbjT5_S1E_jjP12ihipStream_tbEUljE_ZNSN_ISO_Lb1ESQ_SR_ST_SU_SY_EESZ_S10_S11_S12_S16_S17_S18_S1B_S1C_jS1D_jS1E_S1E_jjS1G_bEUljE0_EEESZ_S10_S11_S18_S1C_S1E_T6_T7_T9_mT8_S1G_bDpT10_ENKUlT_T0_E_clISt17integral_constantIbLb1EES1U_EEDaS1P_S1Q_EUlS1P_E_NS1_11comp_targetILNS1_3genE0ELNS1_11target_archE4294967295ELNS1_3gpuE0ELNS1_3repE0EEENS1_30default_config_static_selectorELNS0_4arch9wavefront6targetE0EEEvS12_: ; @_ZN7rocprim17ROCPRIM_400000_NS6detail17trampoline_kernelINS0_13select_configILj256ELj13ELNS0_17block_load_methodE3ELS4_3ELS4_3ELNS0_20block_scan_algorithmE0ELj4294967295EEENS1_25partition_config_selectorILNS1_17partition_subalgoE4EjNS0_10empty_typeEbEEZZNS1_14partition_implILS8_4ELb0ES6_15HIP_vector_typeIjLj2EENS0_17counting_iteratorIjlEEPS9_SG_NS0_5tupleIJPjSI_NS0_16reverse_iteratorISI_EEEEENSH_IJSG_SG_SG_EEES9_SI_JZNS1_25segmented_radix_sort_implINS0_14default_configELb1EPKiPiPKlPlN2at6native12_GLOBAL__N_18offset_tEEE10hipError_tPvRmT1_PNSt15iterator_traitsIS12_E10value_typeET2_T3_PNS13_IS18_E10value_typeET4_jRbjT5_S1E_jjP12ihipStream_tbEUljE_ZNSN_ISO_Lb1ESQ_SR_ST_SU_SY_EESZ_S10_S11_S12_S16_S17_S18_S1B_S1C_jS1D_jS1E_S1E_jjS1G_bEUljE0_EEESZ_S10_S11_S18_S1C_S1E_T6_T7_T9_mT8_S1G_bDpT10_ENKUlT_T0_E_clISt17integral_constantIbLb1EES1U_EEDaS1P_S1Q_EUlS1P_E_NS1_11comp_targetILNS1_3genE0ELNS1_11target_archE4294967295ELNS1_3gpuE0ELNS1_3repE0EEENS1_30default_config_static_selectorELNS0_4arch9wavefront6targetE0EEEvS12_
; %bb.0:
	s_endpgm
	.section	.rodata,"a",@progbits
	.p2align	6, 0x0
	.amdhsa_kernel _ZN7rocprim17ROCPRIM_400000_NS6detail17trampoline_kernelINS0_13select_configILj256ELj13ELNS0_17block_load_methodE3ELS4_3ELS4_3ELNS0_20block_scan_algorithmE0ELj4294967295EEENS1_25partition_config_selectorILNS1_17partition_subalgoE4EjNS0_10empty_typeEbEEZZNS1_14partition_implILS8_4ELb0ES6_15HIP_vector_typeIjLj2EENS0_17counting_iteratorIjlEEPS9_SG_NS0_5tupleIJPjSI_NS0_16reverse_iteratorISI_EEEEENSH_IJSG_SG_SG_EEES9_SI_JZNS1_25segmented_radix_sort_implINS0_14default_configELb1EPKiPiPKlPlN2at6native12_GLOBAL__N_18offset_tEEE10hipError_tPvRmT1_PNSt15iterator_traitsIS12_E10value_typeET2_T3_PNS13_IS18_E10value_typeET4_jRbjT5_S1E_jjP12ihipStream_tbEUljE_ZNSN_ISO_Lb1ESQ_SR_ST_SU_SY_EESZ_S10_S11_S12_S16_S17_S18_S1B_S1C_jS1D_jS1E_S1E_jjS1G_bEUljE0_EEESZ_S10_S11_S18_S1C_S1E_T6_T7_T9_mT8_S1G_bDpT10_ENKUlT_T0_E_clISt17integral_constantIbLb1EES1U_EEDaS1P_S1Q_EUlS1P_E_NS1_11comp_targetILNS1_3genE0ELNS1_11target_archE4294967295ELNS1_3gpuE0ELNS1_3repE0EEENS1_30default_config_static_selectorELNS0_4arch9wavefront6targetE0EEEvS12_
		.amdhsa_group_segment_fixed_size 0
		.amdhsa_private_segment_fixed_size 0
		.amdhsa_kernarg_size 184
		.amdhsa_user_sgpr_count 2
		.amdhsa_user_sgpr_dispatch_ptr 0
		.amdhsa_user_sgpr_queue_ptr 0
		.amdhsa_user_sgpr_kernarg_segment_ptr 1
		.amdhsa_user_sgpr_dispatch_id 0
		.amdhsa_user_sgpr_kernarg_preload_length 0
		.amdhsa_user_sgpr_kernarg_preload_offset 0
		.amdhsa_user_sgpr_private_segment_size 0
		.amdhsa_wavefront_size32 1
		.amdhsa_uses_dynamic_stack 0
		.amdhsa_enable_private_segment 0
		.amdhsa_system_sgpr_workgroup_id_x 1
		.amdhsa_system_sgpr_workgroup_id_y 0
		.amdhsa_system_sgpr_workgroup_id_z 0
		.amdhsa_system_sgpr_workgroup_info 0
		.amdhsa_system_vgpr_workitem_id 0
		.amdhsa_next_free_vgpr 1
		.amdhsa_next_free_sgpr 1
		.amdhsa_named_barrier_count 0
		.amdhsa_reserve_vcc 0
		.amdhsa_float_round_mode_32 0
		.amdhsa_float_round_mode_16_64 0
		.amdhsa_float_denorm_mode_32 3
		.amdhsa_float_denorm_mode_16_64 3
		.amdhsa_fp16_overflow 0
		.amdhsa_memory_ordered 1
		.amdhsa_forward_progress 1
		.amdhsa_inst_pref_size 1
		.amdhsa_round_robin_scheduling 0
		.amdhsa_exception_fp_ieee_invalid_op 0
		.amdhsa_exception_fp_denorm_src 0
		.amdhsa_exception_fp_ieee_div_zero 0
		.amdhsa_exception_fp_ieee_overflow 0
		.amdhsa_exception_fp_ieee_underflow 0
		.amdhsa_exception_fp_ieee_inexact 0
		.amdhsa_exception_int_div_zero 0
	.end_amdhsa_kernel
	.section	.text._ZN7rocprim17ROCPRIM_400000_NS6detail17trampoline_kernelINS0_13select_configILj256ELj13ELNS0_17block_load_methodE3ELS4_3ELS4_3ELNS0_20block_scan_algorithmE0ELj4294967295EEENS1_25partition_config_selectorILNS1_17partition_subalgoE4EjNS0_10empty_typeEbEEZZNS1_14partition_implILS8_4ELb0ES6_15HIP_vector_typeIjLj2EENS0_17counting_iteratorIjlEEPS9_SG_NS0_5tupleIJPjSI_NS0_16reverse_iteratorISI_EEEEENSH_IJSG_SG_SG_EEES9_SI_JZNS1_25segmented_radix_sort_implINS0_14default_configELb1EPKiPiPKlPlN2at6native12_GLOBAL__N_18offset_tEEE10hipError_tPvRmT1_PNSt15iterator_traitsIS12_E10value_typeET2_T3_PNS13_IS18_E10value_typeET4_jRbjT5_S1E_jjP12ihipStream_tbEUljE_ZNSN_ISO_Lb1ESQ_SR_ST_SU_SY_EESZ_S10_S11_S12_S16_S17_S18_S1B_S1C_jS1D_jS1E_S1E_jjS1G_bEUljE0_EEESZ_S10_S11_S18_S1C_S1E_T6_T7_T9_mT8_S1G_bDpT10_ENKUlT_T0_E_clISt17integral_constantIbLb1EES1U_EEDaS1P_S1Q_EUlS1P_E_NS1_11comp_targetILNS1_3genE0ELNS1_11target_archE4294967295ELNS1_3gpuE0ELNS1_3repE0EEENS1_30default_config_static_selectorELNS0_4arch9wavefront6targetE0EEEvS12_,"axG",@progbits,_ZN7rocprim17ROCPRIM_400000_NS6detail17trampoline_kernelINS0_13select_configILj256ELj13ELNS0_17block_load_methodE3ELS4_3ELS4_3ELNS0_20block_scan_algorithmE0ELj4294967295EEENS1_25partition_config_selectorILNS1_17partition_subalgoE4EjNS0_10empty_typeEbEEZZNS1_14partition_implILS8_4ELb0ES6_15HIP_vector_typeIjLj2EENS0_17counting_iteratorIjlEEPS9_SG_NS0_5tupleIJPjSI_NS0_16reverse_iteratorISI_EEEEENSH_IJSG_SG_SG_EEES9_SI_JZNS1_25segmented_radix_sort_implINS0_14default_configELb1EPKiPiPKlPlN2at6native12_GLOBAL__N_18offset_tEEE10hipError_tPvRmT1_PNSt15iterator_traitsIS12_E10value_typeET2_T3_PNS13_IS18_E10value_typeET4_jRbjT5_S1E_jjP12ihipStream_tbEUljE_ZNSN_ISO_Lb1ESQ_SR_ST_SU_SY_EESZ_S10_S11_S12_S16_S17_S18_S1B_S1C_jS1D_jS1E_S1E_jjS1G_bEUljE0_EEESZ_S10_S11_S18_S1C_S1E_T6_T7_T9_mT8_S1G_bDpT10_ENKUlT_T0_E_clISt17integral_constantIbLb1EES1U_EEDaS1P_S1Q_EUlS1P_E_NS1_11comp_targetILNS1_3genE0ELNS1_11target_archE4294967295ELNS1_3gpuE0ELNS1_3repE0EEENS1_30default_config_static_selectorELNS0_4arch9wavefront6targetE0EEEvS12_,comdat
.Lfunc_end437:
	.size	_ZN7rocprim17ROCPRIM_400000_NS6detail17trampoline_kernelINS0_13select_configILj256ELj13ELNS0_17block_load_methodE3ELS4_3ELS4_3ELNS0_20block_scan_algorithmE0ELj4294967295EEENS1_25partition_config_selectorILNS1_17partition_subalgoE4EjNS0_10empty_typeEbEEZZNS1_14partition_implILS8_4ELb0ES6_15HIP_vector_typeIjLj2EENS0_17counting_iteratorIjlEEPS9_SG_NS0_5tupleIJPjSI_NS0_16reverse_iteratorISI_EEEEENSH_IJSG_SG_SG_EEES9_SI_JZNS1_25segmented_radix_sort_implINS0_14default_configELb1EPKiPiPKlPlN2at6native12_GLOBAL__N_18offset_tEEE10hipError_tPvRmT1_PNSt15iterator_traitsIS12_E10value_typeET2_T3_PNS13_IS18_E10value_typeET4_jRbjT5_S1E_jjP12ihipStream_tbEUljE_ZNSN_ISO_Lb1ESQ_SR_ST_SU_SY_EESZ_S10_S11_S12_S16_S17_S18_S1B_S1C_jS1D_jS1E_S1E_jjS1G_bEUljE0_EEESZ_S10_S11_S18_S1C_S1E_T6_T7_T9_mT8_S1G_bDpT10_ENKUlT_T0_E_clISt17integral_constantIbLb1EES1U_EEDaS1P_S1Q_EUlS1P_E_NS1_11comp_targetILNS1_3genE0ELNS1_11target_archE4294967295ELNS1_3gpuE0ELNS1_3repE0EEENS1_30default_config_static_selectorELNS0_4arch9wavefront6targetE0EEEvS12_, .Lfunc_end437-_ZN7rocprim17ROCPRIM_400000_NS6detail17trampoline_kernelINS0_13select_configILj256ELj13ELNS0_17block_load_methodE3ELS4_3ELS4_3ELNS0_20block_scan_algorithmE0ELj4294967295EEENS1_25partition_config_selectorILNS1_17partition_subalgoE4EjNS0_10empty_typeEbEEZZNS1_14partition_implILS8_4ELb0ES6_15HIP_vector_typeIjLj2EENS0_17counting_iteratorIjlEEPS9_SG_NS0_5tupleIJPjSI_NS0_16reverse_iteratorISI_EEEEENSH_IJSG_SG_SG_EEES9_SI_JZNS1_25segmented_radix_sort_implINS0_14default_configELb1EPKiPiPKlPlN2at6native12_GLOBAL__N_18offset_tEEE10hipError_tPvRmT1_PNSt15iterator_traitsIS12_E10value_typeET2_T3_PNS13_IS18_E10value_typeET4_jRbjT5_S1E_jjP12ihipStream_tbEUljE_ZNSN_ISO_Lb1ESQ_SR_ST_SU_SY_EESZ_S10_S11_S12_S16_S17_S18_S1B_S1C_jS1D_jS1E_S1E_jjS1G_bEUljE0_EEESZ_S10_S11_S18_S1C_S1E_T6_T7_T9_mT8_S1G_bDpT10_ENKUlT_T0_E_clISt17integral_constantIbLb1EES1U_EEDaS1P_S1Q_EUlS1P_E_NS1_11comp_targetILNS1_3genE0ELNS1_11target_archE4294967295ELNS1_3gpuE0ELNS1_3repE0EEENS1_30default_config_static_selectorELNS0_4arch9wavefront6targetE0EEEvS12_
                                        ; -- End function
	.set _ZN7rocprim17ROCPRIM_400000_NS6detail17trampoline_kernelINS0_13select_configILj256ELj13ELNS0_17block_load_methodE3ELS4_3ELS4_3ELNS0_20block_scan_algorithmE0ELj4294967295EEENS1_25partition_config_selectorILNS1_17partition_subalgoE4EjNS0_10empty_typeEbEEZZNS1_14partition_implILS8_4ELb0ES6_15HIP_vector_typeIjLj2EENS0_17counting_iteratorIjlEEPS9_SG_NS0_5tupleIJPjSI_NS0_16reverse_iteratorISI_EEEEENSH_IJSG_SG_SG_EEES9_SI_JZNS1_25segmented_radix_sort_implINS0_14default_configELb1EPKiPiPKlPlN2at6native12_GLOBAL__N_18offset_tEEE10hipError_tPvRmT1_PNSt15iterator_traitsIS12_E10value_typeET2_T3_PNS13_IS18_E10value_typeET4_jRbjT5_S1E_jjP12ihipStream_tbEUljE_ZNSN_ISO_Lb1ESQ_SR_ST_SU_SY_EESZ_S10_S11_S12_S16_S17_S18_S1B_S1C_jS1D_jS1E_S1E_jjS1G_bEUljE0_EEESZ_S10_S11_S18_S1C_S1E_T6_T7_T9_mT8_S1G_bDpT10_ENKUlT_T0_E_clISt17integral_constantIbLb1EES1U_EEDaS1P_S1Q_EUlS1P_E_NS1_11comp_targetILNS1_3genE0ELNS1_11target_archE4294967295ELNS1_3gpuE0ELNS1_3repE0EEENS1_30default_config_static_selectorELNS0_4arch9wavefront6targetE0EEEvS12_.num_vgpr, 0
	.set _ZN7rocprim17ROCPRIM_400000_NS6detail17trampoline_kernelINS0_13select_configILj256ELj13ELNS0_17block_load_methodE3ELS4_3ELS4_3ELNS0_20block_scan_algorithmE0ELj4294967295EEENS1_25partition_config_selectorILNS1_17partition_subalgoE4EjNS0_10empty_typeEbEEZZNS1_14partition_implILS8_4ELb0ES6_15HIP_vector_typeIjLj2EENS0_17counting_iteratorIjlEEPS9_SG_NS0_5tupleIJPjSI_NS0_16reverse_iteratorISI_EEEEENSH_IJSG_SG_SG_EEES9_SI_JZNS1_25segmented_radix_sort_implINS0_14default_configELb1EPKiPiPKlPlN2at6native12_GLOBAL__N_18offset_tEEE10hipError_tPvRmT1_PNSt15iterator_traitsIS12_E10value_typeET2_T3_PNS13_IS18_E10value_typeET4_jRbjT5_S1E_jjP12ihipStream_tbEUljE_ZNSN_ISO_Lb1ESQ_SR_ST_SU_SY_EESZ_S10_S11_S12_S16_S17_S18_S1B_S1C_jS1D_jS1E_S1E_jjS1G_bEUljE0_EEESZ_S10_S11_S18_S1C_S1E_T6_T7_T9_mT8_S1G_bDpT10_ENKUlT_T0_E_clISt17integral_constantIbLb1EES1U_EEDaS1P_S1Q_EUlS1P_E_NS1_11comp_targetILNS1_3genE0ELNS1_11target_archE4294967295ELNS1_3gpuE0ELNS1_3repE0EEENS1_30default_config_static_selectorELNS0_4arch9wavefront6targetE0EEEvS12_.num_agpr, 0
	.set _ZN7rocprim17ROCPRIM_400000_NS6detail17trampoline_kernelINS0_13select_configILj256ELj13ELNS0_17block_load_methodE3ELS4_3ELS4_3ELNS0_20block_scan_algorithmE0ELj4294967295EEENS1_25partition_config_selectorILNS1_17partition_subalgoE4EjNS0_10empty_typeEbEEZZNS1_14partition_implILS8_4ELb0ES6_15HIP_vector_typeIjLj2EENS0_17counting_iteratorIjlEEPS9_SG_NS0_5tupleIJPjSI_NS0_16reverse_iteratorISI_EEEEENSH_IJSG_SG_SG_EEES9_SI_JZNS1_25segmented_radix_sort_implINS0_14default_configELb1EPKiPiPKlPlN2at6native12_GLOBAL__N_18offset_tEEE10hipError_tPvRmT1_PNSt15iterator_traitsIS12_E10value_typeET2_T3_PNS13_IS18_E10value_typeET4_jRbjT5_S1E_jjP12ihipStream_tbEUljE_ZNSN_ISO_Lb1ESQ_SR_ST_SU_SY_EESZ_S10_S11_S12_S16_S17_S18_S1B_S1C_jS1D_jS1E_S1E_jjS1G_bEUljE0_EEESZ_S10_S11_S18_S1C_S1E_T6_T7_T9_mT8_S1G_bDpT10_ENKUlT_T0_E_clISt17integral_constantIbLb1EES1U_EEDaS1P_S1Q_EUlS1P_E_NS1_11comp_targetILNS1_3genE0ELNS1_11target_archE4294967295ELNS1_3gpuE0ELNS1_3repE0EEENS1_30default_config_static_selectorELNS0_4arch9wavefront6targetE0EEEvS12_.numbered_sgpr, 0
	.set _ZN7rocprim17ROCPRIM_400000_NS6detail17trampoline_kernelINS0_13select_configILj256ELj13ELNS0_17block_load_methodE3ELS4_3ELS4_3ELNS0_20block_scan_algorithmE0ELj4294967295EEENS1_25partition_config_selectorILNS1_17partition_subalgoE4EjNS0_10empty_typeEbEEZZNS1_14partition_implILS8_4ELb0ES6_15HIP_vector_typeIjLj2EENS0_17counting_iteratorIjlEEPS9_SG_NS0_5tupleIJPjSI_NS0_16reverse_iteratorISI_EEEEENSH_IJSG_SG_SG_EEES9_SI_JZNS1_25segmented_radix_sort_implINS0_14default_configELb1EPKiPiPKlPlN2at6native12_GLOBAL__N_18offset_tEEE10hipError_tPvRmT1_PNSt15iterator_traitsIS12_E10value_typeET2_T3_PNS13_IS18_E10value_typeET4_jRbjT5_S1E_jjP12ihipStream_tbEUljE_ZNSN_ISO_Lb1ESQ_SR_ST_SU_SY_EESZ_S10_S11_S12_S16_S17_S18_S1B_S1C_jS1D_jS1E_S1E_jjS1G_bEUljE0_EEESZ_S10_S11_S18_S1C_S1E_T6_T7_T9_mT8_S1G_bDpT10_ENKUlT_T0_E_clISt17integral_constantIbLb1EES1U_EEDaS1P_S1Q_EUlS1P_E_NS1_11comp_targetILNS1_3genE0ELNS1_11target_archE4294967295ELNS1_3gpuE0ELNS1_3repE0EEENS1_30default_config_static_selectorELNS0_4arch9wavefront6targetE0EEEvS12_.num_named_barrier, 0
	.set _ZN7rocprim17ROCPRIM_400000_NS6detail17trampoline_kernelINS0_13select_configILj256ELj13ELNS0_17block_load_methodE3ELS4_3ELS4_3ELNS0_20block_scan_algorithmE0ELj4294967295EEENS1_25partition_config_selectorILNS1_17partition_subalgoE4EjNS0_10empty_typeEbEEZZNS1_14partition_implILS8_4ELb0ES6_15HIP_vector_typeIjLj2EENS0_17counting_iteratorIjlEEPS9_SG_NS0_5tupleIJPjSI_NS0_16reverse_iteratorISI_EEEEENSH_IJSG_SG_SG_EEES9_SI_JZNS1_25segmented_radix_sort_implINS0_14default_configELb1EPKiPiPKlPlN2at6native12_GLOBAL__N_18offset_tEEE10hipError_tPvRmT1_PNSt15iterator_traitsIS12_E10value_typeET2_T3_PNS13_IS18_E10value_typeET4_jRbjT5_S1E_jjP12ihipStream_tbEUljE_ZNSN_ISO_Lb1ESQ_SR_ST_SU_SY_EESZ_S10_S11_S12_S16_S17_S18_S1B_S1C_jS1D_jS1E_S1E_jjS1G_bEUljE0_EEESZ_S10_S11_S18_S1C_S1E_T6_T7_T9_mT8_S1G_bDpT10_ENKUlT_T0_E_clISt17integral_constantIbLb1EES1U_EEDaS1P_S1Q_EUlS1P_E_NS1_11comp_targetILNS1_3genE0ELNS1_11target_archE4294967295ELNS1_3gpuE0ELNS1_3repE0EEENS1_30default_config_static_selectorELNS0_4arch9wavefront6targetE0EEEvS12_.private_seg_size, 0
	.set _ZN7rocprim17ROCPRIM_400000_NS6detail17trampoline_kernelINS0_13select_configILj256ELj13ELNS0_17block_load_methodE3ELS4_3ELS4_3ELNS0_20block_scan_algorithmE0ELj4294967295EEENS1_25partition_config_selectorILNS1_17partition_subalgoE4EjNS0_10empty_typeEbEEZZNS1_14partition_implILS8_4ELb0ES6_15HIP_vector_typeIjLj2EENS0_17counting_iteratorIjlEEPS9_SG_NS0_5tupleIJPjSI_NS0_16reverse_iteratorISI_EEEEENSH_IJSG_SG_SG_EEES9_SI_JZNS1_25segmented_radix_sort_implINS0_14default_configELb1EPKiPiPKlPlN2at6native12_GLOBAL__N_18offset_tEEE10hipError_tPvRmT1_PNSt15iterator_traitsIS12_E10value_typeET2_T3_PNS13_IS18_E10value_typeET4_jRbjT5_S1E_jjP12ihipStream_tbEUljE_ZNSN_ISO_Lb1ESQ_SR_ST_SU_SY_EESZ_S10_S11_S12_S16_S17_S18_S1B_S1C_jS1D_jS1E_S1E_jjS1G_bEUljE0_EEESZ_S10_S11_S18_S1C_S1E_T6_T7_T9_mT8_S1G_bDpT10_ENKUlT_T0_E_clISt17integral_constantIbLb1EES1U_EEDaS1P_S1Q_EUlS1P_E_NS1_11comp_targetILNS1_3genE0ELNS1_11target_archE4294967295ELNS1_3gpuE0ELNS1_3repE0EEENS1_30default_config_static_selectorELNS0_4arch9wavefront6targetE0EEEvS12_.uses_vcc, 0
	.set _ZN7rocprim17ROCPRIM_400000_NS6detail17trampoline_kernelINS0_13select_configILj256ELj13ELNS0_17block_load_methodE3ELS4_3ELS4_3ELNS0_20block_scan_algorithmE0ELj4294967295EEENS1_25partition_config_selectorILNS1_17partition_subalgoE4EjNS0_10empty_typeEbEEZZNS1_14partition_implILS8_4ELb0ES6_15HIP_vector_typeIjLj2EENS0_17counting_iteratorIjlEEPS9_SG_NS0_5tupleIJPjSI_NS0_16reverse_iteratorISI_EEEEENSH_IJSG_SG_SG_EEES9_SI_JZNS1_25segmented_radix_sort_implINS0_14default_configELb1EPKiPiPKlPlN2at6native12_GLOBAL__N_18offset_tEEE10hipError_tPvRmT1_PNSt15iterator_traitsIS12_E10value_typeET2_T3_PNS13_IS18_E10value_typeET4_jRbjT5_S1E_jjP12ihipStream_tbEUljE_ZNSN_ISO_Lb1ESQ_SR_ST_SU_SY_EESZ_S10_S11_S12_S16_S17_S18_S1B_S1C_jS1D_jS1E_S1E_jjS1G_bEUljE0_EEESZ_S10_S11_S18_S1C_S1E_T6_T7_T9_mT8_S1G_bDpT10_ENKUlT_T0_E_clISt17integral_constantIbLb1EES1U_EEDaS1P_S1Q_EUlS1P_E_NS1_11comp_targetILNS1_3genE0ELNS1_11target_archE4294967295ELNS1_3gpuE0ELNS1_3repE0EEENS1_30default_config_static_selectorELNS0_4arch9wavefront6targetE0EEEvS12_.uses_flat_scratch, 0
	.set _ZN7rocprim17ROCPRIM_400000_NS6detail17trampoline_kernelINS0_13select_configILj256ELj13ELNS0_17block_load_methodE3ELS4_3ELS4_3ELNS0_20block_scan_algorithmE0ELj4294967295EEENS1_25partition_config_selectorILNS1_17partition_subalgoE4EjNS0_10empty_typeEbEEZZNS1_14partition_implILS8_4ELb0ES6_15HIP_vector_typeIjLj2EENS0_17counting_iteratorIjlEEPS9_SG_NS0_5tupleIJPjSI_NS0_16reverse_iteratorISI_EEEEENSH_IJSG_SG_SG_EEES9_SI_JZNS1_25segmented_radix_sort_implINS0_14default_configELb1EPKiPiPKlPlN2at6native12_GLOBAL__N_18offset_tEEE10hipError_tPvRmT1_PNSt15iterator_traitsIS12_E10value_typeET2_T3_PNS13_IS18_E10value_typeET4_jRbjT5_S1E_jjP12ihipStream_tbEUljE_ZNSN_ISO_Lb1ESQ_SR_ST_SU_SY_EESZ_S10_S11_S12_S16_S17_S18_S1B_S1C_jS1D_jS1E_S1E_jjS1G_bEUljE0_EEESZ_S10_S11_S18_S1C_S1E_T6_T7_T9_mT8_S1G_bDpT10_ENKUlT_T0_E_clISt17integral_constantIbLb1EES1U_EEDaS1P_S1Q_EUlS1P_E_NS1_11comp_targetILNS1_3genE0ELNS1_11target_archE4294967295ELNS1_3gpuE0ELNS1_3repE0EEENS1_30default_config_static_selectorELNS0_4arch9wavefront6targetE0EEEvS12_.has_dyn_sized_stack, 0
	.set _ZN7rocprim17ROCPRIM_400000_NS6detail17trampoline_kernelINS0_13select_configILj256ELj13ELNS0_17block_load_methodE3ELS4_3ELS4_3ELNS0_20block_scan_algorithmE0ELj4294967295EEENS1_25partition_config_selectorILNS1_17partition_subalgoE4EjNS0_10empty_typeEbEEZZNS1_14partition_implILS8_4ELb0ES6_15HIP_vector_typeIjLj2EENS0_17counting_iteratorIjlEEPS9_SG_NS0_5tupleIJPjSI_NS0_16reverse_iteratorISI_EEEEENSH_IJSG_SG_SG_EEES9_SI_JZNS1_25segmented_radix_sort_implINS0_14default_configELb1EPKiPiPKlPlN2at6native12_GLOBAL__N_18offset_tEEE10hipError_tPvRmT1_PNSt15iterator_traitsIS12_E10value_typeET2_T3_PNS13_IS18_E10value_typeET4_jRbjT5_S1E_jjP12ihipStream_tbEUljE_ZNSN_ISO_Lb1ESQ_SR_ST_SU_SY_EESZ_S10_S11_S12_S16_S17_S18_S1B_S1C_jS1D_jS1E_S1E_jjS1G_bEUljE0_EEESZ_S10_S11_S18_S1C_S1E_T6_T7_T9_mT8_S1G_bDpT10_ENKUlT_T0_E_clISt17integral_constantIbLb1EES1U_EEDaS1P_S1Q_EUlS1P_E_NS1_11comp_targetILNS1_3genE0ELNS1_11target_archE4294967295ELNS1_3gpuE0ELNS1_3repE0EEENS1_30default_config_static_selectorELNS0_4arch9wavefront6targetE0EEEvS12_.has_recursion, 0
	.set _ZN7rocprim17ROCPRIM_400000_NS6detail17trampoline_kernelINS0_13select_configILj256ELj13ELNS0_17block_load_methodE3ELS4_3ELS4_3ELNS0_20block_scan_algorithmE0ELj4294967295EEENS1_25partition_config_selectorILNS1_17partition_subalgoE4EjNS0_10empty_typeEbEEZZNS1_14partition_implILS8_4ELb0ES6_15HIP_vector_typeIjLj2EENS0_17counting_iteratorIjlEEPS9_SG_NS0_5tupleIJPjSI_NS0_16reverse_iteratorISI_EEEEENSH_IJSG_SG_SG_EEES9_SI_JZNS1_25segmented_radix_sort_implINS0_14default_configELb1EPKiPiPKlPlN2at6native12_GLOBAL__N_18offset_tEEE10hipError_tPvRmT1_PNSt15iterator_traitsIS12_E10value_typeET2_T3_PNS13_IS18_E10value_typeET4_jRbjT5_S1E_jjP12ihipStream_tbEUljE_ZNSN_ISO_Lb1ESQ_SR_ST_SU_SY_EESZ_S10_S11_S12_S16_S17_S18_S1B_S1C_jS1D_jS1E_S1E_jjS1G_bEUljE0_EEESZ_S10_S11_S18_S1C_S1E_T6_T7_T9_mT8_S1G_bDpT10_ENKUlT_T0_E_clISt17integral_constantIbLb1EES1U_EEDaS1P_S1Q_EUlS1P_E_NS1_11comp_targetILNS1_3genE0ELNS1_11target_archE4294967295ELNS1_3gpuE0ELNS1_3repE0EEENS1_30default_config_static_selectorELNS0_4arch9wavefront6targetE0EEEvS12_.has_indirect_call, 0
	.section	.AMDGPU.csdata,"",@progbits
; Kernel info:
; codeLenInByte = 4
; TotalNumSgprs: 0
; NumVgprs: 0
; ScratchSize: 0
; MemoryBound: 0
; FloatMode: 240
; IeeeMode: 1
; LDSByteSize: 0 bytes/workgroup (compile time only)
; SGPRBlocks: 0
; VGPRBlocks: 0
; NumSGPRsForWavesPerEU: 1
; NumVGPRsForWavesPerEU: 1
; NamedBarCnt: 0
; Occupancy: 16
; WaveLimiterHint : 0
; COMPUTE_PGM_RSRC2:SCRATCH_EN: 0
; COMPUTE_PGM_RSRC2:USER_SGPR: 2
; COMPUTE_PGM_RSRC2:TRAP_HANDLER: 0
; COMPUTE_PGM_RSRC2:TGID_X_EN: 1
; COMPUTE_PGM_RSRC2:TGID_Y_EN: 0
; COMPUTE_PGM_RSRC2:TGID_Z_EN: 0
; COMPUTE_PGM_RSRC2:TIDIG_COMP_CNT: 0
	.section	.text._ZN7rocprim17ROCPRIM_400000_NS6detail17trampoline_kernelINS0_13select_configILj256ELj13ELNS0_17block_load_methodE3ELS4_3ELS4_3ELNS0_20block_scan_algorithmE0ELj4294967295EEENS1_25partition_config_selectorILNS1_17partition_subalgoE4EjNS0_10empty_typeEbEEZZNS1_14partition_implILS8_4ELb0ES6_15HIP_vector_typeIjLj2EENS0_17counting_iteratorIjlEEPS9_SG_NS0_5tupleIJPjSI_NS0_16reverse_iteratorISI_EEEEENSH_IJSG_SG_SG_EEES9_SI_JZNS1_25segmented_radix_sort_implINS0_14default_configELb1EPKiPiPKlPlN2at6native12_GLOBAL__N_18offset_tEEE10hipError_tPvRmT1_PNSt15iterator_traitsIS12_E10value_typeET2_T3_PNS13_IS18_E10value_typeET4_jRbjT5_S1E_jjP12ihipStream_tbEUljE_ZNSN_ISO_Lb1ESQ_SR_ST_SU_SY_EESZ_S10_S11_S12_S16_S17_S18_S1B_S1C_jS1D_jS1E_S1E_jjS1G_bEUljE0_EEESZ_S10_S11_S18_S1C_S1E_T6_T7_T9_mT8_S1G_bDpT10_ENKUlT_T0_E_clISt17integral_constantIbLb1EES1U_EEDaS1P_S1Q_EUlS1P_E_NS1_11comp_targetILNS1_3genE5ELNS1_11target_archE942ELNS1_3gpuE9ELNS1_3repE0EEENS1_30default_config_static_selectorELNS0_4arch9wavefront6targetE0EEEvS12_,"axG",@progbits,_ZN7rocprim17ROCPRIM_400000_NS6detail17trampoline_kernelINS0_13select_configILj256ELj13ELNS0_17block_load_methodE3ELS4_3ELS4_3ELNS0_20block_scan_algorithmE0ELj4294967295EEENS1_25partition_config_selectorILNS1_17partition_subalgoE4EjNS0_10empty_typeEbEEZZNS1_14partition_implILS8_4ELb0ES6_15HIP_vector_typeIjLj2EENS0_17counting_iteratorIjlEEPS9_SG_NS0_5tupleIJPjSI_NS0_16reverse_iteratorISI_EEEEENSH_IJSG_SG_SG_EEES9_SI_JZNS1_25segmented_radix_sort_implINS0_14default_configELb1EPKiPiPKlPlN2at6native12_GLOBAL__N_18offset_tEEE10hipError_tPvRmT1_PNSt15iterator_traitsIS12_E10value_typeET2_T3_PNS13_IS18_E10value_typeET4_jRbjT5_S1E_jjP12ihipStream_tbEUljE_ZNSN_ISO_Lb1ESQ_SR_ST_SU_SY_EESZ_S10_S11_S12_S16_S17_S18_S1B_S1C_jS1D_jS1E_S1E_jjS1G_bEUljE0_EEESZ_S10_S11_S18_S1C_S1E_T6_T7_T9_mT8_S1G_bDpT10_ENKUlT_T0_E_clISt17integral_constantIbLb1EES1U_EEDaS1P_S1Q_EUlS1P_E_NS1_11comp_targetILNS1_3genE5ELNS1_11target_archE942ELNS1_3gpuE9ELNS1_3repE0EEENS1_30default_config_static_selectorELNS0_4arch9wavefront6targetE0EEEvS12_,comdat
	.globl	_ZN7rocprim17ROCPRIM_400000_NS6detail17trampoline_kernelINS0_13select_configILj256ELj13ELNS0_17block_load_methodE3ELS4_3ELS4_3ELNS0_20block_scan_algorithmE0ELj4294967295EEENS1_25partition_config_selectorILNS1_17partition_subalgoE4EjNS0_10empty_typeEbEEZZNS1_14partition_implILS8_4ELb0ES6_15HIP_vector_typeIjLj2EENS0_17counting_iteratorIjlEEPS9_SG_NS0_5tupleIJPjSI_NS0_16reverse_iteratorISI_EEEEENSH_IJSG_SG_SG_EEES9_SI_JZNS1_25segmented_radix_sort_implINS0_14default_configELb1EPKiPiPKlPlN2at6native12_GLOBAL__N_18offset_tEEE10hipError_tPvRmT1_PNSt15iterator_traitsIS12_E10value_typeET2_T3_PNS13_IS18_E10value_typeET4_jRbjT5_S1E_jjP12ihipStream_tbEUljE_ZNSN_ISO_Lb1ESQ_SR_ST_SU_SY_EESZ_S10_S11_S12_S16_S17_S18_S1B_S1C_jS1D_jS1E_S1E_jjS1G_bEUljE0_EEESZ_S10_S11_S18_S1C_S1E_T6_T7_T9_mT8_S1G_bDpT10_ENKUlT_T0_E_clISt17integral_constantIbLb1EES1U_EEDaS1P_S1Q_EUlS1P_E_NS1_11comp_targetILNS1_3genE5ELNS1_11target_archE942ELNS1_3gpuE9ELNS1_3repE0EEENS1_30default_config_static_selectorELNS0_4arch9wavefront6targetE0EEEvS12_ ; -- Begin function _ZN7rocprim17ROCPRIM_400000_NS6detail17trampoline_kernelINS0_13select_configILj256ELj13ELNS0_17block_load_methodE3ELS4_3ELS4_3ELNS0_20block_scan_algorithmE0ELj4294967295EEENS1_25partition_config_selectorILNS1_17partition_subalgoE4EjNS0_10empty_typeEbEEZZNS1_14partition_implILS8_4ELb0ES6_15HIP_vector_typeIjLj2EENS0_17counting_iteratorIjlEEPS9_SG_NS0_5tupleIJPjSI_NS0_16reverse_iteratorISI_EEEEENSH_IJSG_SG_SG_EEES9_SI_JZNS1_25segmented_radix_sort_implINS0_14default_configELb1EPKiPiPKlPlN2at6native12_GLOBAL__N_18offset_tEEE10hipError_tPvRmT1_PNSt15iterator_traitsIS12_E10value_typeET2_T3_PNS13_IS18_E10value_typeET4_jRbjT5_S1E_jjP12ihipStream_tbEUljE_ZNSN_ISO_Lb1ESQ_SR_ST_SU_SY_EESZ_S10_S11_S12_S16_S17_S18_S1B_S1C_jS1D_jS1E_S1E_jjS1G_bEUljE0_EEESZ_S10_S11_S18_S1C_S1E_T6_T7_T9_mT8_S1G_bDpT10_ENKUlT_T0_E_clISt17integral_constantIbLb1EES1U_EEDaS1P_S1Q_EUlS1P_E_NS1_11comp_targetILNS1_3genE5ELNS1_11target_archE942ELNS1_3gpuE9ELNS1_3repE0EEENS1_30default_config_static_selectorELNS0_4arch9wavefront6targetE0EEEvS12_
	.p2align	8
	.type	_ZN7rocprim17ROCPRIM_400000_NS6detail17trampoline_kernelINS0_13select_configILj256ELj13ELNS0_17block_load_methodE3ELS4_3ELS4_3ELNS0_20block_scan_algorithmE0ELj4294967295EEENS1_25partition_config_selectorILNS1_17partition_subalgoE4EjNS0_10empty_typeEbEEZZNS1_14partition_implILS8_4ELb0ES6_15HIP_vector_typeIjLj2EENS0_17counting_iteratorIjlEEPS9_SG_NS0_5tupleIJPjSI_NS0_16reverse_iteratorISI_EEEEENSH_IJSG_SG_SG_EEES9_SI_JZNS1_25segmented_radix_sort_implINS0_14default_configELb1EPKiPiPKlPlN2at6native12_GLOBAL__N_18offset_tEEE10hipError_tPvRmT1_PNSt15iterator_traitsIS12_E10value_typeET2_T3_PNS13_IS18_E10value_typeET4_jRbjT5_S1E_jjP12ihipStream_tbEUljE_ZNSN_ISO_Lb1ESQ_SR_ST_SU_SY_EESZ_S10_S11_S12_S16_S17_S18_S1B_S1C_jS1D_jS1E_S1E_jjS1G_bEUljE0_EEESZ_S10_S11_S18_S1C_S1E_T6_T7_T9_mT8_S1G_bDpT10_ENKUlT_T0_E_clISt17integral_constantIbLb1EES1U_EEDaS1P_S1Q_EUlS1P_E_NS1_11comp_targetILNS1_3genE5ELNS1_11target_archE942ELNS1_3gpuE9ELNS1_3repE0EEENS1_30default_config_static_selectorELNS0_4arch9wavefront6targetE0EEEvS12_,@function
_ZN7rocprim17ROCPRIM_400000_NS6detail17trampoline_kernelINS0_13select_configILj256ELj13ELNS0_17block_load_methodE3ELS4_3ELS4_3ELNS0_20block_scan_algorithmE0ELj4294967295EEENS1_25partition_config_selectorILNS1_17partition_subalgoE4EjNS0_10empty_typeEbEEZZNS1_14partition_implILS8_4ELb0ES6_15HIP_vector_typeIjLj2EENS0_17counting_iteratorIjlEEPS9_SG_NS0_5tupleIJPjSI_NS0_16reverse_iteratorISI_EEEEENSH_IJSG_SG_SG_EEES9_SI_JZNS1_25segmented_radix_sort_implINS0_14default_configELb1EPKiPiPKlPlN2at6native12_GLOBAL__N_18offset_tEEE10hipError_tPvRmT1_PNSt15iterator_traitsIS12_E10value_typeET2_T3_PNS13_IS18_E10value_typeET4_jRbjT5_S1E_jjP12ihipStream_tbEUljE_ZNSN_ISO_Lb1ESQ_SR_ST_SU_SY_EESZ_S10_S11_S12_S16_S17_S18_S1B_S1C_jS1D_jS1E_S1E_jjS1G_bEUljE0_EEESZ_S10_S11_S18_S1C_S1E_T6_T7_T9_mT8_S1G_bDpT10_ENKUlT_T0_E_clISt17integral_constantIbLb1EES1U_EEDaS1P_S1Q_EUlS1P_E_NS1_11comp_targetILNS1_3genE5ELNS1_11target_archE942ELNS1_3gpuE9ELNS1_3repE0EEENS1_30default_config_static_selectorELNS0_4arch9wavefront6targetE0EEEvS12_: ; @_ZN7rocprim17ROCPRIM_400000_NS6detail17trampoline_kernelINS0_13select_configILj256ELj13ELNS0_17block_load_methodE3ELS4_3ELS4_3ELNS0_20block_scan_algorithmE0ELj4294967295EEENS1_25partition_config_selectorILNS1_17partition_subalgoE4EjNS0_10empty_typeEbEEZZNS1_14partition_implILS8_4ELb0ES6_15HIP_vector_typeIjLj2EENS0_17counting_iteratorIjlEEPS9_SG_NS0_5tupleIJPjSI_NS0_16reverse_iteratorISI_EEEEENSH_IJSG_SG_SG_EEES9_SI_JZNS1_25segmented_radix_sort_implINS0_14default_configELb1EPKiPiPKlPlN2at6native12_GLOBAL__N_18offset_tEEE10hipError_tPvRmT1_PNSt15iterator_traitsIS12_E10value_typeET2_T3_PNS13_IS18_E10value_typeET4_jRbjT5_S1E_jjP12ihipStream_tbEUljE_ZNSN_ISO_Lb1ESQ_SR_ST_SU_SY_EESZ_S10_S11_S12_S16_S17_S18_S1B_S1C_jS1D_jS1E_S1E_jjS1G_bEUljE0_EEESZ_S10_S11_S18_S1C_S1E_T6_T7_T9_mT8_S1G_bDpT10_ENKUlT_T0_E_clISt17integral_constantIbLb1EES1U_EEDaS1P_S1Q_EUlS1P_E_NS1_11comp_targetILNS1_3genE5ELNS1_11target_archE942ELNS1_3gpuE9ELNS1_3repE0EEENS1_30default_config_static_selectorELNS0_4arch9wavefront6targetE0EEEvS12_
; %bb.0:
	.section	.rodata,"a",@progbits
	.p2align	6, 0x0
	.amdhsa_kernel _ZN7rocprim17ROCPRIM_400000_NS6detail17trampoline_kernelINS0_13select_configILj256ELj13ELNS0_17block_load_methodE3ELS4_3ELS4_3ELNS0_20block_scan_algorithmE0ELj4294967295EEENS1_25partition_config_selectorILNS1_17partition_subalgoE4EjNS0_10empty_typeEbEEZZNS1_14partition_implILS8_4ELb0ES6_15HIP_vector_typeIjLj2EENS0_17counting_iteratorIjlEEPS9_SG_NS0_5tupleIJPjSI_NS0_16reverse_iteratorISI_EEEEENSH_IJSG_SG_SG_EEES9_SI_JZNS1_25segmented_radix_sort_implINS0_14default_configELb1EPKiPiPKlPlN2at6native12_GLOBAL__N_18offset_tEEE10hipError_tPvRmT1_PNSt15iterator_traitsIS12_E10value_typeET2_T3_PNS13_IS18_E10value_typeET4_jRbjT5_S1E_jjP12ihipStream_tbEUljE_ZNSN_ISO_Lb1ESQ_SR_ST_SU_SY_EESZ_S10_S11_S12_S16_S17_S18_S1B_S1C_jS1D_jS1E_S1E_jjS1G_bEUljE0_EEESZ_S10_S11_S18_S1C_S1E_T6_T7_T9_mT8_S1G_bDpT10_ENKUlT_T0_E_clISt17integral_constantIbLb1EES1U_EEDaS1P_S1Q_EUlS1P_E_NS1_11comp_targetILNS1_3genE5ELNS1_11target_archE942ELNS1_3gpuE9ELNS1_3repE0EEENS1_30default_config_static_selectorELNS0_4arch9wavefront6targetE0EEEvS12_
		.amdhsa_group_segment_fixed_size 0
		.amdhsa_private_segment_fixed_size 0
		.amdhsa_kernarg_size 184
		.amdhsa_user_sgpr_count 2
		.amdhsa_user_sgpr_dispatch_ptr 0
		.amdhsa_user_sgpr_queue_ptr 0
		.amdhsa_user_sgpr_kernarg_segment_ptr 1
		.amdhsa_user_sgpr_dispatch_id 0
		.amdhsa_user_sgpr_kernarg_preload_length 0
		.amdhsa_user_sgpr_kernarg_preload_offset 0
		.amdhsa_user_sgpr_private_segment_size 0
		.amdhsa_wavefront_size32 1
		.amdhsa_uses_dynamic_stack 0
		.amdhsa_enable_private_segment 0
		.amdhsa_system_sgpr_workgroup_id_x 1
		.amdhsa_system_sgpr_workgroup_id_y 0
		.amdhsa_system_sgpr_workgroup_id_z 0
		.amdhsa_system_sgpr_workgroup_info 0
		.amdhsa_system_vgpr_workitem_id 0
		.amdhsa_next_free_vgpr 1
		.amdhsa_next_free_sgpr 1
		.amdhsa_named_barrier_count 0
		.amdhsa_reserve_vcc 0
		.amdhsa_float_round_mode_32 0
		.amdhsa_float_round_mode_16_64 0
		.amdhsa_float_denorm_mode_32 3
		.amdhsa_float_denorm_mode_16_64 3
		.amdhsa_fp16_overflow 0
		.amdhsa_memory_ordered 1
		.amdhsa_forward_progress 1
		.amdhsa_inst_pref_size 0
		.amdhsa_round_robin_scheduling 0
		.amdhsa_exception_fp_ieee_invalid_op 0
		.amdhsa_exception_fp_denorm_src 0
		.amdhsa_exception_fp_ieee_div_zero 0
		.amdhsa_exception_fp_ieee_overflow 0
		.amdhsa_exception_fp_ieee_underflow 0
		.amdhsa_exception_fp_ieee_inexact 0
		.amdhsa_exception_int_div_zero 0
	.end_amdhsa_kernel
	.section	.text._ZN7rocprim17ROCPRIM_400000_NS6detail17trampoline_kernelINS0_13select_configILj256ELj13ELNS0_17block_load_methodE3ELS4_3ELS4_3ELNS0_20block_scan_algorithmE0ELj4294967295EEENS1_25partition_config_selectorILNS1_17partition_subalgoE4EjNS0_10empty_typeEbEEZZNS1_14partition_implILS8_4ELb0ES6_15HIP_vector_typeIjLj2EENS0_17counting_iteratorIjlEEPS9_SG_NS0_5tupleIJPjSI_NS0_16reverse_iteratorISI_EEEEENSH_IJSG_SG_SG_EEES9_SI_JZNS1_25segmented_radix_sort_implINS0_14default_configELb1EPKiPiPKlPlN2at6native12_GLOBAL__N_18offset_tEEE10hipError_tPvRmT1_PNSt15iterator_traitsIS12_E10value_typeET2_T3_PNS13_IS18_E10value_typeET4_jRbjT5_S1E_jjP12ihipStream_tbEUljE_ZNSN_ISO_Lb1ESQ_SR_ST_SU_SY_EESZ_S10_S11_S12_S16_S17_S18_S1B_S1C_jS1D_jS1E_S1E_jjS1G_bEUljE0_EEESZ_S10_S11_S18_S1C_S1E_T6_T7_T9_mT8_S1G_bDpT10_ENKUlT_T0_E_clISt17integral_constantIbLb1EES1U_EEDaS1P_S1Q_EUlS1P_E_NS1_11comp_targetILNS1_3genE5ELNS1_11target_archE942ELNS1_3gpuE9ELNS1_3repE0EEENS1_30default_config_static_selectorELNS0_4arch9wavefront6targetE0EEEvS12_,"axG",@progbits,_ZN7rocprim17ROCPRIM_400000_NS6detail17trampoline_kernelINS0_13select_configILj256ELj13ELNS0_17block_load_methodE3ELS4_3ELS4_3ELNS0_20block_scan_algorithmE0ELj4294967295EEENS1_25partition_config_selectorILNS1_17partition_subalgoE4EjNS0_10empty_typeEbEEZZNS1_14partition_implILS8_4ELb0ES6_15HIP_vector_typeIjLj2EENS0_17counting_iteratorIjlEEPS9_SG_NS0_5tupleIJPjSI_NS0_16reverse_iteratorISI_EEEEENSH_IJSG_SG_SG_EEES9_SI_JZNS1_25segmented_radix_sort_implINS0_14default_configELb1EPKiPiPKlPlN2at6native12_GLOBAL__N_18offset_tEEE10hipError_tPvRmT1_PNSt15iterator_traitsIS12_E10value_typeET2_T3_PNS13_IS18_E10value_typeET4_jRbjT5_S1E_jjP12ihipStream_tbEUljE_ZNSN_ISO_Lb1ESQ_SR_ST_SU_SY_EESZ_S10_S11_S12_S16_S17_S18_S1B_S1C_jS1D_jS1E_S1E_jjS1G_bEUljE0_EEESZ_S10_S11_S18_S1C_S1E_T6_T7_T9_mT8_S1G_bDpT10_ENKUlT_T0_E_clISt17integral_constantIbLb1EES1U_EEDaS1P_S1Q_EUlS1P_E_NS1_11comp_targetILNS1_3genE5ELNS1_11target_archE942ELNS1_3gpuE9ELNS1_3repE0EEENS1_30default_config_static_selectorELNS0_4arch9wavefront6targetE0EEEvS12_,comdat
.Lfunc_end438:
	.size	_ZN7rocprim17ROCPRIM_400000_NS6detail17trampoline_kernelINS0_13select_configILj256ELj13ELNS0_17block_load_methodE3ELS4_3ELS4_3ELNS0_20block_scan_algorithmE0ELj4294967295EEENS1_25partition_config_selectorILNS1_17partition_subalgoE4EjNS0_10empty_typeEbEEZZNS1_14partition_implILS8_4ELb0ES6_15HIP_vector_typeIjLj2EENS0_17counting_iteratorIjlEEPS9_SG_NS0_5tupleIJPjSI_NS0_16reverse_iteratorISI_EEEEENSH_IJSG_SG_SG_EEES9_SI_JZNS1_25segmented_radix_sort_implINS0_14default_configELb1EPKiPiPKlPlN2at6native12_GLOBAL__N_18offset_tEEE10hipError_tPvRmT1_PNSt15iterator_traitsIS12_E10value_typeET2_T3_PNS13_IS18_E10value_typeET4_jRbjT5_S1E_jjP12ihipStream_tbEUljE_ZNSN_ISO_Lb1ESQ_SR_ST_SU_SY_EESZ_S10_S11_S12_S16_S17_S18_S1B_S1C_jS1D_jS1E_S1E_jjS1G_bEUljE0_EEESZ_S10_S11_S18_S1C_S1E_T6_T7_T9_mT8_S1G_bDpT10_ENKUlT_T0_E_clISt17integral_constantIbLb1EES1U_EEDaS1P_S1Q_EUlS1P_E_NS1_11comp_targetILNS1_3genE5ELNS1_11target_archE942ELNS1_3gpuE9ELNS1_3repE0EEENS1_30default_config_static_selectorELNS0_4arch9wavefront6targetE0EEEvS12_, .Lfunc_end438-_ZN7rocprim17ROCPRIM_400000_NS6detail17trampoline_kernelINS0_13select_configILj256ELj13ELNS0_17block_load_methodE3ELS4_3ELS4_3ELNS0_20block_scan_algorithmE0ELj4294967295EEENS1_25partition_config_selectorILNS1_17partition_subalgoE4EjNS0_10empty_typeEbEEZZNS1_14partition_implILS8_4ELb0ES6_15HIP_vector_typeIjLj2EENS0_17counting_iteratorIjlEEPS9_SG_NS0_5tupleIJPjSI_NS0_16reverse_iteratorISI_EEEEENSH_IJSG_SG_SG_EEES9_SI_JZNS1_25segmented_radix_sort_implINS0_14default_configELb1EPKiPiPKlPlN2at6native12_GLOBAL__N_18offset_tEEE10hipError_tPvRmT1_PNSt15iterator_traitsIS12_E10value_typeET2_T3_PNS13_IS18_E10value_typeET4_jRbjT5_S1E_jjP12ihipStream_tbEUljE_ZNSN_ISO_Lb1ESQ_SR_ST_SU_SY_EESZ_S10_S11_S12_S16_S17_S18_S1B_S1C_jS1D_jS1E_S1E_jjS1G_bEUljE0_EEESZ_S10_S11_S18_S1C_S1E_T6_T7_T9_mT8_S1G_bDpT10_ENKUlT_T0_E_clISt17integral_constantIbLb1EES1U_EEDaS1P_S1Q_EUlS1P_E_NS1_11comp_targetILNS1_3genE5ELNS1_11target_archE942ELNS1_3gpuE9ELNS1_3repE0EEENS1_30default_config_static_selectorELNS0_4arch9wavefront6targetE0EEEvS12_
                                        ; -- End function
	.set _ZN7rocprim17ROCPRIM_400000_NS6detail17trampoline_kernelINS0_13select_configILj256ELj13ELNS0_17block_load_methodE3ELS4_3ELS4_3ELNS0_20block_scan_algorithmE0ELj4294967295EEENS1_25partition_config_selectorILNS1_17partition_subalgoE4EjNS0_10empty_typeEbEEZZNS1_14partition_implILS8_4ELb0ES6_15HIP_vector_typeIjLj2EENS0_17counting_iteratorIjlEEPS9_SG_NS0_5tupleIJPjSI_NS0_16reverse_iteratorISI_EEEEENSH_IJSG_SG_SG_EEES9_SI_JZNS1_25segmented_radix_sort_implINS0_14default_configELb1EPKiPiPKlPlN2at6native12_GLOBAL__N_18offset_tEEE10hipError_tPvRmT1_PNSt15iterator_traitsIS12_E10value_typeET2_T3_PNS13_IS18_E10value_typeET4_jRbjT5_S1E_jjP12ihipStream_tbEUljE_ZNSN_ISO_Lb1ESQ_SR_ST_SU_SY_EESZ_S10_S11_S12_S16_S17_S18_S1B_S1C_jS1D_jS1E_S1E_jjS1G_bEUljE0_EEESZ_S10_S11_S18_S1C_S1E_T6_T7_T9_mT8_S1G_bDpT10_ENKUlT_T0_E_clISt17integral_constantIbLb1EES1U_EEDaS1P_S1Q_EUlS1P_E_NS1_11comp_targetILNS1_3genE5ELNS1_11target_archE942ELNS1_3gpuE9ELNS1_3repE0EEENS1_30default_config_static_selectorELNS0_4arch9wavefront6targetE0EEEvS12_.num_vgpr, 0
	.set _ZN7rocprim17ROCPRIM_400000_NS6detail17trampoline_kernelINS0_13select_configILj256ELj13ELNS0_17block_load_methodE3ELS4_3ELS4_3ELNS0_20block_scan_algorithmE0ELj4294967295EEENS1_25partition_config_selectorILNS1_17partition_subalgoE4EjNS0_10empty_typeEbEEZZNS1_14partition_implILS8_4ELb0ES6_15HIP_vector_typeIjLj2EENS0_17counting_iteratorIjlEEPS9_SG_NS0_5tupleIJPjSI_NS0_16reverse_iteratorISI_EEEEENSH_IJSG_SG_SG_EEES9_SI_JZNS1_25segmented_radix_sort_implINS0_14default_configELb1EPKiPiPKlPlN2at6native12_GLOBAL__N_18offset_tEEE10hipError_tPvRmT1_PNSt15iterator_traitsIS12_E10value_typeET2_T3_PNS13_IS18_E10value_typeET4_jRbjT5_S1E_jjP12ihipStream_tbEUljE_ZNSN_ISO_Lb1ESQ_SR_ST_SU_SY_EESZ_S10_S11_S12_S16_S17_S18_S1B_S1C_jS1D_jS1E_S1E_jjS1G_bEUljE0_EEESZ_S10_S11_S18_S1C_S1E_T6_T7_T9_mT8_S1G_bDpT10_ENKUlT_T0_E_clISt17integral_constantIbLb1EES1U_EEDaS1P_S1Q_EUlS1P_E_NS1_11comp_targetILNS1_3genE5ELNS1_11target_archE942ELNS1_3gpuE9ELNS1_3repE0EEENS1_30default_config_static_selectorELNS0_4arch9wavefront6targetE0EEEvS12_.num_agpr, 0
	.set _ZN7rocprim17ROCPRIM_400000_NS6detail17trampoline_kernelINS0_13select_configILj256ELj13ELNS0_17block_load_methodE3ELS4_3ELS4_3ELNS0_20block_scan_algorithmE0ELj4294967295EEENS1_25partition_config_selectorILNS1_17partition_subalgoE4EjNS0_10empty_typeEbEEZZNS1_14partition_implILS8_4ELb0ES6_15HIP_vector_typeIjLj2EENS0_17counting_iteratorIjlEEPS9_SG_NS0_5tupleIJPjSI_NS0_16reverse_iteratorISI_EEEEENSH_IJSG_SG_SG_EEES9_SI_JZNS1_25segmented_radix_sort_implINS0_14default_configELb1EPKiPiPKlPlN2at6native12_GLOBAL__N_18offset_tEEE10hipError_tPvRmT1_PNSt15iterator_traitsIS12_E10value_typeET2_T3_PNS13_IS18_E10value_typeET4_jRbjT5_S1E_jjP12ihipStream_tbEUljE_ZNSN_ISO_Lb1ESQ_SR_ST_SU_SY_EESZ_S10_S11_S12_S16_S17_S18_S1B_S1C_jS1D_jS1E_S1E_jjS1G_bEUljE0_EEESZ_S10_S11_S18_S1C_S1E_T6_T7_T9_mT8_S1G_bDpT10_ENKUlT_T0_E_clISt17integral_constantIbLb1EES1U_EEDaS1P_S1Q_EUlS1P_E_NS1_11comp_targetILNS1_3genE5ELNS1_11target_archE942ELNS1_3gpuE9ELNS1_3repE0EEENS1_30default_config_static_selectorELNS0_4arch9wavefront6targetE0EEEvS12_.numbered_sgpr, 0
	.set _ZN7rocprim17ROCPRIM_400000_NS6detail17trampoline_kernelINS0_13select_configILj256ELj13ELNS0_17block_load_methodE3ELS4_3ELS4_3ELNS0_20block_scan_algorithmE0ELj4294967295EEENS1_25partition_config_selectorILNS1_17partition_subalgoE4EjNS0_10empty_typeEbEEZZNS1_14partition_implILS8_4ELb0ES6_15HIP_vector_typeIjLj2EENS0_17counting_iteratorIjlEEPS9_SG_NS0_5tupleIJPjSI_NS0_16reverse_iteratorISI_EEEEENSH_IJSG_SG_SG_EEES9_SI_JZNS1_25segmented_radix_sort_implINS0_14default_configELb1EPKiPiPKlPlN2at6native12_GLOBAL__N_18offset_tEEE10hipError_tPvRmT1_PNSt15iterator_traitsIS12_E10value_typeET2_T3_PNS13_IS18_E10value_typeET4_jRbjT5_S1E_jjP12ihipStream_tbEUljE_ZNSN_ISO_Lb1ESQ_SR_ST_SU_SY_EESZ_S10_S11_S12_S16_S17_S18_S1B_S1C_jS1D_jS1E_S1E_jjS1G_bEUljE0_EEESZ_S10_S11_S18_S1C_S1E_T6_T7_T9_mT8_S1G_bDpT10_ENKUlT_T0_E_clISt17integral_constantIbLb1EES1U_EEDaS1P_S1Q_EUlS1P_E_NS1_11comp_targetILNS1_3genE5ELNS1_11target_archE942ELNS1_3gpuE9ELNS1_3repE0EEENS1_30default_config_static_selectorELNS0_4arch9wavefront6targetE0EEEvS12_.num_named_barrier, 0
	.set _ZN7rocprim17ROCPRIM_400000_NS6detail17trampoline_kernelINS0_13select_configILj256ELj13ELNS0_17block_load_methodE3ELS4_3ELS4_3ELNS0_20block_scan_algorithmE0ELj4294967295EEENS1_25partition_config_selectorILNS1_17partition_subalgoE4EjNS0_10empty_typeEbEEZZNS1_14partition_implILS8_4ELb0ES6_15HIP_vector_typeIjLj2EENS0_17counting_iteratorIjlEEPS9_SG_NS0_5tupleIJPjSI_NS0_16reverse_iteratorISI_EEEEENSH_IJSG_SG_SG_EEES9_SI_JZNS1_25segmented_radix_sort_implINS0_14default_configELb1EPKiPiPKlPlN2at6native12_GLOBAL__N_18offset_tEEE10hipError_tPvRmT1_PNSt15iterator_traitsIS12_E10value_typeET2_T3_PNS13_IS18_E10value_typeET4_jRbjT5_S1E_jjP12ihipStream_tbEUljE_ZNSN_ISO_Lb1ESQ_SR_ST_SU_SY_EESZ_S10_S11_S12_S16_S17_S18_S1B_S1C_jS1D_jS1E_S1E_jjS1G_bEUljE0_EEESZ_S10_S11_S18_S1C_S1E_T6_T7_T9_mT8_S1G_bDpT10_ENKUlT_T0_E_clISt17integral_constantIbLb1EES1U_EEDaS1P_S1Q_EUlS1P_E_NS1_11comp_targetILNS1_3genE5ELNS1_11target_archE942ELNS1_3gpuE9ELNS1_3repE0EEENS1_30default_config_static_selectorELNS0_4arch9wavefront6targetE0EEEvS12_.private_seg_size, 0
	.set _ZN7rocprim17ROCPRIM_400000_NS6detail17trampoline_kernelINS0_13select_configILj256ELj13ELNS0_17block_load_methodE3ELS4_3ELS4_3ELNS0_20block_scan_algorithmE0ELj4294967295EEENS1_25partition_config_selectorILNS1_17partition_subalgoE4EjNS0_10empty_typeEbEEZZNS1_14partition_implILS8_4ELb0ES6_15HIP_vector_typeIjLj2EENS0_17counting_iteratorIjlEEPS9_SG_NS0_5tupleIJPjSI_NS0_16reverse_iteratorISI_EEEEENSH_IJSG_SG_SG_EEES9_SI_JZNS1_25segmented_radix_sort_implINS0_14default_configELb1EPKiPiPKlPlN2at6native12_GLOBAL__N_18offset_tEEE10hipError_tPvRmT1_PNSt15iterator_traitsIS12_E10value_typeET2_T3_PNS13_IS18_E10value_typeET4_jRbjT5_S1E_jjP12ihipStream_tbEUljE_ZNSN_ISO_Lb1ESQ_SR_ST_SU_SY_EESZ_S10_S11_S12_S16_S17_S18_S1B_S1C_jS1D_jS1E_S1E_jjS1G_bEUljE0_EEESZ_S10_S11_S18_S1C_S1E_T6_T7_T9_mT8_S1G_bDpT10_ENKUlT_T0_E_clISt17integral_constantIbLb1EES1U_EEDaS1P_S1Q_EUlS1P_E_NS1_11comp_targetILNS1_3genE5ELNS1_11target_archE942ELNS1_3gpuE9ELNS1_3repE0EEENS1_30default_config_static_selectorELNS0_4arch9wavefront6targetE0EEEvS12_.uses_vcc, 0
	.set _ZN7rocprim17ROCPRIM_400000_NS6detail17trampoline_kernelINS0_13select_configILj256ELj13ELNS0_17block_load_methodE3ELS4_3ELS4_3ELNS0_20block_scan_algorithmE0ELj4294967295EEENS1_25partition_config_selectorILNS1_17partition_subalgoE4EjNS0_10empty_typeEbEEZZNS1_14partition_implILS8_4ELb0ES6_15HIP_vector_typeIjLj2EENS0_17counting_iteratorIjlEEPS9_SG_NS0_5tupleIJPjSI_NS0_16reverse_iteratorISI_EEEEENSH_IJSG_SG_SG_EEES9_SI_JZNS1_25segmented_radix_sort_implINS0_14default_configELb1EPKiPiPKlPlN2at6native12_GLOBAL__N_18offset_tEEE10hipError_tPvRmT1_PNSt15iterator_traitsIS12_E10value_typeET2_T3_PNS13_IS18_E10value_typeET4_jRbjT5_S1E_jjP12ihipStream_tbEUljE_ZNSN_ISO_Lb1ESQ_SR_ST_SU_SY_EESZ_S10_S11_S12_S16_S17_S18_S1B_S1C_jS1D_jS1E_S1E_jjS1G_bEUljE0_EEESZ_S10_S11_S18_S1C_S1E_T6_T7_T9_mT8_S1G_bDpT10_ENKUlT_T0_E_clISt17integral_constantIbLb1EES1U_EEDaS1P_S1Q_EUlS1P_E_NS1_11comp_targetILNS1_3genE5ELNS1_11target_archE942ELNS1_3gpuE9ELNS1_3repE0EEENS1_30default_config_static_selectorELNS0_4arch9wavefront6targetE0EEEvS12_.uses_flat_scratch, 0
	.set _ZN7rocprim17ROCPRIM_400000_NS6detail17trampoline_kernelINS0_13select_configILj256ELj13ELNS0_17block_load_methodE3ELS4_3ELS4_3ELNS0_20block_scan_algorithmE0ELj4294967295EEENS1_25partition_config_selectorILNS1_17partition_subalgoE4EjNS0_10empty_typeEbEEZZNS1_14partition_implILS8_4ELb0ES6_15HIP_vector_typeIjLj2EENS0_17counting_iteratorIjlEEPS9_SG_NS0_5tupleIJPjSI_NS0_16reverse_iteratorISI_EEEEENSH_IJSG_SG_SG_EEES9_SI_JZNS1_25segmented_radix_sort_implINS0_14default_configELb1EPKiPiPKlPlN2at6native12_GLOBAL__N_18offset_tEEE10hipError_tPvRmT1_PNSt15iterator_traitsIS12_E10value_typeET2_T3_PNS13_IS18_E10value_typeET4_jRbjT5_S1E_jjP12ihipStream_tbEUljE_ZNSN_ISO_Lb1ESQ_SR_ST_SU_SY_EESZ_S10_S11_S12_S16_S17_S18_S1B_S1C_jS1D_jS1E_S1E_jjS1G_bEUljE0_EEESZ_S10_S11_S18_S1C_S1E_T6_T7_T9_mT8_S1G_bDpT10_ENKUlT_T0_E_clISt17integral_constantIbLb1EES1U_EEDaS1P_S1Q_EUlS1P_E_NS1_11comp_targetILNS1_3genE5ELNS1_11target_archE942ELNS1_3gpuE9ELNS1_3repE0EEENS1_30default_config_static_selectorELNS0_4arch9wavefront6targetE0EEEvS12_.has_dyn_sized_stack, 0
	.set _ZN7rocprim17ROCPRIM_400000_NS6detail17trampoline_kernelINS0_13select_configILj256ELj13ELNS0_17block_load_methodE3ELS4_3ELS4_3ELNS0_20block_scan_algorithmE0ELj4294967295EEENS1_25partition_config_selectorILNS1_17partition_subalgoE4EjNS0_10empty_typeEbEEZZNS1_14partition_implILS8_4ELb0ES6_15HIP_vector_typeIjLj2EENS0_17counting_iteratorIjlEEPS9_SG_NS0_5tupleIJPjSI_NS0_16reverse_iteratorISI_EEEEENSH_IJSG_SG_SG_EEES9_SI_JZNS1_25segmented_radix_sort_implINS0_14default_configELb1EPKiPiPKlPlN2at6native12_GLOBAL__N_18offset_tEEE10hipError_tPvRmT1_PNSt15iterator_traitsIS12_E10value_typeET2_T3_PNS13_IS18_E10value_typeET4_jRbjT5_S1E_jjP12ihipStream_tbEUljE_ZNSN_ISO_Lb1ESQ_SR_ST_SU_SY_EESZ_S10_S11_S12_S16_S17_S18_S1B_S1C_jS1D_jS1E_S1E_jjS1G_bEUljE0_EEESZ_S10_S11_S18_S1C_S1E_T6_T7_T9_mT8_S1G_bDpT10_ENKUlT_T0_E_clISt17integral_constantIbLb1EES1U_EEDaS1P_S1Q_EUlS1P_E_NS1_11comp_targetILNS1_3genE5ELNS1_11target_archE942ELNS1_3gpuE9ELNS1_3repE0EEENS1_30default_config_static_selectorELNS0_4arch9wavefront6targetE0EEEvS12_.has_recursion, 0
	.set _ZN7rocprim17ROCPRIM_400000_NS6detail17trampoline_kernelINS0_13select_configILj256ELj13ELNS0_17block_load_methodE3ELS4_3ELS4_3ELNS0_20block_scan_algorithmE0ELj4294967295EEENS1_25partition_config_selectorILNS1_17partition_subalgoE4EjNS0_10empty_typeEbEEZZNS1_14partition_implILS8_4ELb0ES6_15HIP_vector_typeIjLj2EENS0_17counting_iteratorIjlEEPS9_SG_NS0_5tupleIJPjSI_NS0_16reverse_iteratorISI_EEEEENSH_IJSG_SG_SG_EEES9_SI_JZNS1_25segmented_radix_sort_implINS0_14default_configELb1EPKiPiPKlPlN2at6native12_GLOBAL__N_18offset_tEEE10hipError_tPvRmT1_PNSt15iterator_traitsIS12_E10value_typeET2_T3_PNS13_IS18_E10value_typeET4_jRbjT5_S1E_jjP12ihipStream_tbEUljE_ZNSN_ISO_Lb1ESQ_SR_ST_SU_SY_EESZ_S10_S11_S12_S16_S17_S18_S1B_S1C_jS1D_jS1E_S1E_jjS1G_bEUljE0_EEESZ_S10_S11_S18_S1C_S1E_T6_T7_T9_mT8_S1G_bDpT10_ENKUlT_T0_E_clISt17integral_constantIbLb1EES1U_EEDaS1P_S1Q_EUlS1P_E_NS1_11comp_targetILNS1_3genE5ELNS1_11target_archE942ELNS1_3gpuE9ELNS1_3repE0EEENS1_30default_config_static_selectorELNS0_4arch9wavefront6targetE0EEEvS12_.has_indirect_call, 0
	.section	.AMDGPU.csdata,"",@progbits
; Kernel info:
; codeLenInByte = 0
; TotalNumSgprs: 0
; NumVgprs: 0
; ScratchSize: 0
; MemoryBound: 0
; FloatMode: 240
; IeeeMode: 1
; LDSByteSize: 0 bytes/workgroup (compile time only)
; SGPRBlocks: 0
; VGPRBlocks: 0
; NumSGPRsForWavesPerEU: 1
; NumVGPRsForWavesPerEU: 1
; NamedBarCnt: 0
; Occupancy: 16
; WaveLimiterHint : 0
; COMPUTE_PGM_RSRC2:SCRATCH_EN: 0
; COMPUTE_PGM_RSRC2:USER_SGPR: 2
; COMPUTE_PGM_RSRC2:TRAP_HANDLER: 0
; COMPUTE_PGM_RSRC2:TGID_X_EN: 1
; COMPUTE_PGM_RSRC2:TGID_Y_EN: 0
; COMPUTE_PGM_RSRC2:TGID_Z_EN: 0
; COMPUTE_PGM_RSRC2:TIDIG_COMP_CNT: 0
	.section	.text._ZN7rocprim17ROCPRIM_400000_NS6detail17trampoline_kernelINS0_13select_configILj256ELj13ELNS0_17block_load_methodE3ELS4_3ELS4_3ELNS0_20block_scan_algorithmE0ELj4294967295EEENS1_25partition_config_selectorILNS1_17partition_subalgoE4EjNS0_10empty_typeEbEEZZNS1_14partition_implILS8_4ELb0ES6_15HIP_vector_typeIjLj2EENS0_17counting_iteratorIjlEEPS9_SG_NS0_5tupleIJPjSI_NS0_16reverse_iteratorISI_EEEEENSH_IJSG_SG_SG_EEES9_SI_JZNS1_25segmented_radix_sort_implINS0_14default_configELb1EPKiPiPKlPlN2at6native12_GLOBAL__N_18offset_tEEE10hipError_tPvRmT1_PNSt15iterator_traitsIS12_E10value_typeET2_T3_PNS13_IS18_E10value_typeET4_jRbjT5_S1E_jjP12ihipStream_tbEUljE_ZNSN_ISO_Lb1ESQ_SR_ST_SU_SY_EESZ_S10_S11_S12_S16_S17_S18_S1B_S1C_jS1D_jS1E_S1E_jjS1G_bEUljE0_EEESZ_S10_S11_S18_S1C_S1E_T6_T7_T9_mT8_S1G_bDpT10_ENKUlT_T0_E_clISt17integral_constantIbLb1EES1U_EEDaS1P_S1Q_EUlS1P_E_NS1_11comp_targetILNS1_3genE4ELNS1_11target_archE910ELNS1_3gpuE8ELNS1_3repE0EEENS1_30default_config_static_selectorELNS0_4arch9wavefront6targetE0EEEvS12_,"axG",@progbits,_ZN7rocprim17ROCPRIM_400000_NS6detail17trampoline_kernelINS0_13select_configILj256ELj13ELNS0_17block_load_methodE3ELS4_3ELS4_3ELNS0_20block_scan_algorithmE0ELj4294967295EEENS1_25partition_config_selectorILNS1_17partition_subalgoE4EjNS0_10empty_typeEbEEZZNS1_14partition_implILS8_4ELb0ES6_15HIP_vector_typeIjLj2EENS0_17counting_iteratorIjlEEPS9_SG_NS0_5tupleIJPjSI_NS0_16reverse_iteratorISI_EEEEENSH_IJSG_SG_SG_EEES9_SI_JZNS1_25segmented_radix_sort_implINS0_14default_configELb1EPKiPiPKlPlN2at6native12_GLOBAL__N_18offset_tEEE10hipError_tPvRmT1_PNSt15iterator_traitsIS12_E10value_typeET2_T3_PNS13_IS18_E10value_typeET4_jRbjT5_S1E_jjP12ihipStream_tbEUljE_ZNSN_ISO_Lb1ESQ_SR_ST_SU_SY_EESZ_S10_S11_S12_S16_S17_S18_S1B_S1C_jS1D_jS1E_S1E_jjS1G_bEUljE0_EEESZ_S10_S11_S18_S1C_S1E_T6_T7_T9_mT8_S1G_bDpT10_ENKUlT_T0_E_clISt17integral_constantIbLb1EES1U_EEDaS1P_S1Q_EUlS1P_E_NS1_11comp_targetILNS1_3genE4ELNS1_11target_archE910ELNS1_3gpuE8ELNS1_3repE0EEENS1_30default_config_static_selectorELNS0_4arch9wavefront6targetE0EEEvS12_,comdat
	.globl	_ZN7rocprim17ROCPRIM_400000_NS6detail17trampoline_kernelINS0_13select_configILj256ELj13ELNS0_17block_load_methodE3ELS4_3ELS4_3ELNS0_20block_scan_algorithmE0ELj4294967295EEENS1_25partition_config_selectorILNS1_17partition_subalgoE4EjNS0_10empty_typeEbEEZZNS1_14partition_implILS8_4ELb0ES6_15HIP_vector_typeIjLj2EENS0_17counting_iteratorIjlEEPS9_SG_NS0_5tupleIJPjSI_NS0_16reverse_iteratorISI_EEEEENSH_IJSG_SG_SG_EEES9_SI_JZNS1_25segmented_radix_sort_implINS0_14default_configELb1EPKiPiPKlPlN2at6native12_GLOBAL__N_18offset_tEEE10hipError_tPvRmT1_PNSt15iterator_traitsIS12_E10value_typeET2_T3_PNS13_IS18_E10value_typeET4_jRbjT5_S1E_jjP12ihipStream_tbEUljE_ZNSN_ISO_Lb1ESQ_SR_ST_SU_SY_EESZ_S10_S11_S12_S16_S17_S18_S1B_S1C_jS1D_jS1E_S1E_jjS1G_bEUljE0_EEESZ_S10_S11_S18_S1C_S1E_T6_T7_T9_mT8_S1G_bDpT10_ENKUlT_T0_E_clISt17integral_constantIbLb1EES1U_EEDaS1P_S1Q_EUlS1P_E_NS1_11comp_targetILNS1_3genE4ELNS1_11target_archE910ELNS1_3gpuE8ELNS1_3repE0EEENS1_30default_config_static_selectorELNS0_4arch9wavefront6targetE0EEEvS12_ ; -- Begin function _ZN7rocprim17ROCPRIM_400000_NS6detail17trampoline_kernelINS0_13select_configILj256ELj13ELNS0_17block_load_methodE3ELS4_3ELS4_3ELNS0_20block_scan_algorithmE0ELj4294967295EEENS1_25partition_config_selectorILNS1_17partition_subalgoE4EjNS0_10empty_typeEbEEZZNS1_14partition_implILS8_4ELb0ES6_15HIP_vector_typeIjLj2EENS0_17counting_iteratorIjlEEPS9_SG_NS0_5tupleIJPjSI_NS0_16reverse_iteratorISI_EEEEENSH_IJSG_SG_SG_EEES9_SI_JZNS1_25segmented_radix_sort_implINS0_14default_configELb1EPKiPiPKlPlN2at6native12_GLOBAL__N_18offset_tEEE10hipError_tPvRmT1_PNSt15iterator_traitsIS12_E10value_typeET2_T3_PNS13_IS18_E10value_typeET4_jRbjT5_S1E_jjP12ihipStream_tbEUljE_ZNSN_ISO_Lb1ESQ_SR_ST_SU_SY_EESZ_S10_S11_S12_S16_S17_S18_S1B_S1C_jS1D_jS1E_S1E_jjS1G_bEUljE0_EEESZ_S10_S11_S18_S1C_S1E_T6_T7_T9_mT8_S1G_bDpT10_ENKUlT_T0_E_clISt17integral_constantIbLb1EES1U_EEDaS1P_S1Q_EUlS1P_E_NS1_11comp_targetILNS1_3genE4ELNS1_11target_archE910ELNS1_3gpuE8ELNS1_3repE0EEENS1_30default_config_static_selectorELNS0_4arch9wavefront6targetE0EEEvS12_
	.p2align	8
	.type	_ZN7rocprim17ROCPRIM_400000_NS6detail17trampoline_kernelINS0_13select_configILj256ELj13ELNS0_17block_load_methodE3ELS4_3ELS4_3ELNS0_20block_scan_algorithmE0ELj4294967295EEENS1_25partition_config_selectorILNS1_17partition_subalgoE4EjNS0_10empty_typeEbEEZZNS1_14partition_implILS8_4ELb0ES6_15HIP_vector_typeIjLj2EENS0_17counting_iteratorIjlEEPS9_SG_NS0_5tupleIJPjSI_NS0_16reverse_iteratorISI_EEEEENSH_IJSG_SG_SG_EEES9_SI_JZNS1_25segmented_radix_sort_implINS0_14default_configELb1EPKiPiPKlPlN2at6native12_GLOBAL__N_18offset_tEEE10hipError_tPvRmT1_PNSt15iterator_traitsIS12_E10value_typeET2_T3_PNS13_IS18_E10value_typeET4_jRbjT5_S1E_jjP12ihipStream_tbEUljE_ZNSN_ISO_Lb1ESQ_SR_ST_SU_SY_EESZ_S10_S11_S12_S16_S17_S18_S1B_S1C_jS1D_jS1E_S1E_jjS1G_bEUljE0_EEESZ_S10_S11_S18_S1C_S1E_T6_T7_T9_mT8_S1G_bDpT10_ENKUlT_T0_E_clISt17integral_constantIbLb1EES1U_EEDaS1P_S1Q_EUlS1P_E_NS1_11comp_targetILNS1_3genE4ELNS1_11target_archE910ELNS1_3gpuE8ELNS1_3repE0EEENS1_30default_config_static_selectorELNS0_4arch9wavefront6targetE0EEEvS12_,@function
_ZN7rocprim17ROCPRIM_400000_NS6detail17trampoline_kernelINS0_13select_configILj256ELj13ELNS0_17block_load_methodE3ELS4_3ELS4_3ELNS0_20block_scan_algorithmE0ELj4294967295EEENS1_25partition_config_selectorILNS1_17partition_subalgoE4EjNS0_10empty_typeEbEEZZNS1_14partition_implILS8_4ELb0ES6_15HIP_vector_typeIjLj2EENS0_17counting_iteratorIjlEEPS9_SG_NS0_5tupleIJPjSI_NS0_16reverse_iteratorISI_EEEEENSH_IJSG_SG_SG_EEES9_SI_JZNS1_25segmented_radix_sort_implINS0_14default_configELb1EPKiPiPKlPlN2at6native12_GLOBAL__N_18offset_tEEE10hipError_tPvRmT1_PNSt15iterator_traitsIS12_E10value_typeET2_T3_PNS13_IS18_E10value_typeET4_jRbjT5_S1E_jjP12ihipStream_tbEUljE_ZNSN_ISO_Lb1ESQ_SR_ST_SU_SY_EESZ_S10_S11_S12_S16_S17_S18_S1B_S1C_jS1D_jS1E_S1E_jjS1G_bEUljE0_EEESZ_S10_S11_S18_S1C_S1E_T6_T7_T9_mT8_S1G_bDpT10_ENKUlT_T0_E_clISt17integral_constantIbLb1EES1U_EEDaS1P_S1Q_EUlS1P_E_NS1_11comp_targetILNS1_3genE4ELNS1_11target_archE910ELNS1_3gpuE8ELNS1_3repE0EEENS1_30default_config_static_selectorELNS0_4arch9wavefront6targetE0EEEvS12_: ; @_ZN7rocprim17ROCPRIM_400000_NS6detail17trampoline_kernelINS0_13select_configILj256ELj13ELNS0_17block_load_methodE3ELS4_3ELS4_3ELNS0_20block_scan_algorithmE0ELj4294967295EEENS1_25partition_config_selectorILNS1_17partition_subalgoE4EjNS0_10empty_typeEbEEZZNS1_14partition_implILS8_4ELb0ES6_15HIP_vector_typeIjLj2EENS0_17counting_iteratorIjlEEPS9_SG_NS0_5tupleIJPjSI_NS0_16reverse_iteratorISI_EEEEENSH_IJSG_SG_SG_EEES9_SI_JZNS1_25segmented_radix_sort_implINS0_14default_configELb1EPKiPiPKlPlN2at6native12_GLOBAL__N_18offset_tEEE10hipError_tPvRmT1_PNSt15iterator_traitsIS12_E10value_typeET2_T3_PNS13_IS18_E10value_typeET4_jRbjT5_S1E_jjP12ihipStream_tbEUljE_ZNSN_ISO_Lb1ESQ_SR_ST_SU_SY_EESZ_S10_S11_S12_S16_S17_S18_S1B_S1C_jS1D_jS1E_S1E_jjS1G_bEUljE0_EEESZ_S10_S11_S18_S1C_S1E_T6_T7_T9_mT8_S1G_bDpT10_ENKUlT_T0_E_clISt17integral_constantIbLb1EES1U_EEDaS1P_S1Q_EUlS1P_E_NS1_11comp_targetILNS1_3genE4ELNS1_11target_archE910ELNS1_3gpuE8ELNS1_3repE0EEENS1_30default_config_static_selectorELNS0_4arch9wavefront6targetE0EEEvS12_
; %bb.0:
	.section	.rodata,"a",@progbits
	.p2align	6, 0x0
	.amdhsa_kernel _ZN7rocprim17ROCPRIM_400000_NS6detail17trampoline_kernelINS0_13select_configILj256ELj13ELNS0_17block_load_methodE3ELS4_3ELS4_3ELNS0_20block_scan_algorithmE0ELj4294967295EEENS1_25partition_config_selectorILNS1_17partition_subalgoE4EjNS0_10empty_typeEbEEZZNS1_14partition_implILS8_4ELb0ES6_15HIP_vector_typeIjLj2EENS0_17counting_iteratorIjlEEPS9_SG_NS0_5tupleIJPjSI_NS0_16reverse_iteratorISI_EEEEENSH_IJSG_SG_SG_EEES9_SI_JZNS1_25segmented_radix_sort_implINS0_14default_configELb1EPKiPiPKlPlN2at6native12_GLOBAL__N_18offset_tEEE10hipError_tPvRmT1_PNSt15iterator_traitsIS12_E10value_typeET2_T3_PNS13_IS18_E10value_typeET4_jRbjT5_S1E_jjP12ihipStream_tbEUljE_ZNSN_ISO_Lb1ESQ_SR_ST_SU_SY_EESZ_S10_S11_S12_S16_S17_S18_S1B_S1C_jS1D_jS1E_S1E_jjS1G_bEUljE0_EEESZ_S10_S11_S18_S1C_S1E_T6_T7_T9_mT8_S1G_bDpT10_ENKUlT_T0_E_clISt17integral_constantIbLb1EES1U_EEDaS1P_S1Q_EUlS1P_E_NS1_11comp_targetILNS1_3genE4ELNS1_11target_archE910ELNS1_3gpuE8ELNS1_3repE0EEENS1_30default_config_static_selectorELNS0_4arch9wavefront6targetE0EEEvS12_
		.amdhsa_group_segment_fixed_size 0
		.amdhsa_private_segment_fixed_size 0
		.amdhsa_kernarg_size 184
		.amdhsa_user_sgpr_count 2
		.amdhsa_user_sgpr_dispatch_ptr 0
		.amdhsa_user_sgpr_queue_ptr 0
		.amdhsa_user_sgpr_kernarg_segment_ptr 1
		.amdhsa_user_sgpr_dispatch_id 0
		.amdhsa_user_sgpr_kernarg_preload_length 0
		.amdhsa_user_sgpr_kernarg_preload_offset 0
		.amdhsa_user_sgpr_private_segment_size 0
		.amdhsa_wavefront_size32 1
		.amdhsa_uses_dynamic_stack 0
		.amdhsa_enable_private_segment 0
		.amdhsa_system_sgpr_workgroup_id_x 1
		.amdhsa_system_sgpr_workgroup_id_y 0
		.amdhsa_system_sgpr_workgroup_id_z 0
		.amdhsa_system_sgpr_workgroup_info 0
		.amdhsa_system_vgpr_workitem_id 0
		.amdhsa_next_free_vgpr 1
		.amdhsa_next_free_sgpr 1
		.amdhsa_named_barrier_count 0
		.amdhsa_reserve_vcc 0
		.amdhsa_float_round_mode_32 0
		.amdhsa_float_round_mode_16_64 0
		.amdhsa_float_denorm_mode_32 3
		.amdhsa_float_denorm_mode_16_64 3
		.amdhsa_fp16_overflow 0
		.amdhsa_memory_ordered 1
		.amdhsa_forward_progress 1
		.amdhsa_inst_pref_size 0
		.amdhsa_round_robin_scheduling 0
		.amdhsa_exception_fp_ieee_invalid_op 0
		.amdhsa_exception_fp_denorm_src 0
		.amdhsa_exception_fp_ieee_div_zero 0
		.amdhsa_exception_fp_ieee_overflow 0
		.amdhsa_exception_fp_ieee_underflow 0
		.amdhsa_exception_fp_ieee_inexact 0
		.amdhsa_exception_int_div_zero 0
	.end_amdhsa_kernel
	.section	.text._ZN7rocprim17ROCPRIM_400000_NS6detail17trampoline_kernelINS0_13select_configILj256ELj13ELNS0_17block_load_methodE3ELS4_3ELS4_3ELNS0_20block_scan_algorithmE0ELj4294967295EEENS1_25partition_config_selectorILNS1_17partition_subalgoE4EjNS0_10empty_typeEbEEZZNS1_14partition_implILS8_4ELb0ES6_15HIP_vector_typeIjLj2EENS0_17counting_iteratorIjlEEPS9_SG_NS0_5tupleIJPjSI_NS0_16reverse_iteratorISI_EEEEENSH_IJSG_SG_SG_EEES9_SI_JZNS1_25segmented_radix_sort_implINS0_14default_configELb1EPKiPiPKlPlN2at6native12_GLOBAL__N_18offset_tEEE10hipError_tPvRmT1_PNSt15iterator_traitsIS12_E10value_typeET2_T3_PNS13_IS18_E10value_typeET4_jRbjT5_S1E_jjP12ihipStream_tbEUljE_ZNSN_ISO_Lb1ESQ_SR_ST_SU_SY_EESZ_S10_S11_S12_S16_S17_S18_S1B_S1C_jS1D_jS1E_S1E_jjS1G_bEUljE0_EEESZ_S10_S11_S18_S1C_S1E_T6_T7_T9_mT8_S1G_bDpT10_ENKUlT_T0_E_clISt17integral_constantIbLb1EES1U_EEDaS1P_S1Q_EUlS1P_E_NS1_11comp_targetILNS1_3genE4ELNS1_11target_archE910ELNS1_3gpuE8ELNS1_3repE0EEENS1_30default_config_static_selectorELNS0_4arch9wavefront6targetE0EEEvS12_,"axG",@progbits,_ZN7rocprim17ROCPRIM_400000_NS6detail17trampoline_kernelINS0_13select_configILj256ELj13ELNS0_17block_load_methodE3ELS4_3ELS4_3ELNS0_20block_scan_algorithmE0ELj4294967295EEENS1_25partition_config_selectorILNS1_17partition_subalgoE4EjNS0_10empty_typeEbEEZZNS1_14partition_implILS8_4ELb0ES6_15HIP_vector_typeIjLj2EENS0_17counting_iteratorIjlEEPS9_SG_NS0_5tupleIJPjSI_NS0_16reverse_iteratorISI_EEEEENSH_IJSG_SG_SG_EEES9_SI_JZNS1_25segmented_radix_sort_implINS0_14default_configELb1EPKiPiPKlPlN2at6native12_GLOBAL__N_18offset_tEEE10hipError_tPvRmT1_PNSt15iterator_traitsIS12_E10value_typeET2_T3_PNS13_IS18_E10value_typeET4_jRbjT5_S1E_jjP12ihipStream_tbEUljE_ZNSN_ISO_Lb1ESQ_SR_ST_SU_SY_EESZ_S10_S11_S12_S16_S17_S18_S1B_S1C_jS1D_jS1E_S1E_jjS1G_bEUljE0_EEESZ_S10_S11_S18_S1C_S1E_T6_T7_T9_mT8_S1G_bDpT10_ENKUlT_T0_E_clISt17integral_constantIbLb1EES1U_EEDaS1P_S1Q_EUlS1P_E_NS1_11comp_targetILNS1_3genE4ELNS1_11target_archE910ELNS1_3gpuE8ELNS1_3repE0EEENS1_30default_config_static_selectorELNS0_4arch9wavefront6targetE0EEEvS12_,comdat
.Lfunc_end439:
	.size	_ZN7rocprim17ROCPRIM_400000_NS6detail17trampoline_kernelINS0_13select_configILj256ELj13ELNS0_17block_load_methodE3ELS4_3ELS4_3ELNS0_20block_scan_algorithmE0ELj4294967295EEENS1_25partition_config_selectorILNS1_17partition_subalgoE4EjNS0_10empty_typeEbEEZZNS1_14partition_implILS8_4ELb0ES6_15HIP_vector_typeIjLj2EENS0_17counting_iteratorIjlEEPS9_SG_NS0_5tupleIJPjSI_NS0_16reverse_iteratorISI_EEEEENSH_IJSG_SG_SG_EEES9_SI_JZNS1_25segmented_radix_sort_implINS0_14default_configELb1EPKiPiPKlPlN2at6native12_GLOBAL__N_18offset_tEEE10hipError_tPvRmT1_PNSt15iterator_traitsIS12_E10value_typeET2_T3_PNS13_IS18_E10value_typeET4_jRbjT5_S1E_jjP12ihipStream_tbEUljE_ZNSN_ISO_Lb1ESQ_SR_ST_SU_SY_EESZ_S10_S11_S12_S16_S17_S18_S1B_S1C_jS1D_jS1E_S1E_jjS1G_bEUljE0_EEESZ_S10_S11_S18_S1C_S1E_T6_T7_T9_mT8_S1G_bDpT10_ENKUlT_T0_E_clISt17integral_constantIbLb1EES1U_EEDaS1P_S1Q_EUlS1P_E_NS1_11comp_targetILNS1_3genE4ELNS1_11target_archE910ELNS1_3gpuE8ELNS1_3repE0EEENS1_30default_config_static_selectorELNS0_4arch9wavefront6targetE0EEEvS12_, .Lfunc_end439-_ZN7rocprim17ROCPRIM_400000_NS6detail17trampoline_kernelINS0_13select_configILj256ELj13ELNS0_17block_load_methodE3ELS4_3ELS4_3ELNS0_20block_scan_algorithmE0ELj4294967295EEENS1_25partition_config_selectorILNS1_17partition_subalgoE4EjNS0_10empty_typeEbEEZZNS1_14partition_implILS8_4ELb0ES6_15HIP_vector_typeIjLj2EENS0_17counting_iteratorIjlEEPS9_SG_NS0_5tupleIJPjSI_NS0_16reverse_iteratorISI_EEEEENSH_IJSG_SG_SG_EEES9_SI_JZNS1_25segmented_radix_sort_implINS0_14default_configELb1EPKiPiPKlPlN2at6native12_GLOBAL__N_18offset_tEEE10hipError_tPvRmT1_PNSt15iterator_traitsIS12_E10value_typeET2_T3_PNS13_IS18_E10value_typeET4_jRbjT5_S1E_jjP12ihipStream_tbEUljE_ZNSN_ISO_Lb1ESQ_SR_ST_SU_SY_EESZ_S10_S11_S12_S16_S17_S18_S1B_S1C_jS1D_jS1E_S1E_jjS1G_bEUljE0_EEESZ_S10_S11_S18_S1C_S1E_T6_T7_T9_mT8_S1G_bDpT10_ENKUlT_T0_E_clISt17integral_constantIbLb1EES1U_EEDaS1P_S1Q_EUlS1P_E_NS1_11comp_targetILNS1_3genE4ELNS1_11target_archE910ELNS1_3gpuE8ELNS1_3repE0EEENS1_30default_config_static_selectorELNS0_4arch9wavefront6targetE0EEEvS12_
                                        ; -- End function
	.set _ZN7rocprim17ROCPRIM_400000_NS6detail17trampoline_kernelINS0_13select_configILj256ELj13ELNS0_17block_load_methodE3ELS4_3ELS4_3ELNS0_20block_scan_algorithmE0ELj4294967295EEENS1_25partition_config_selectorILNS1_17partition_subalgoE4EjNS0_10empty_typeEbEEZZNS1_14partition_implILS8_4ELb0ES6_15HIP_vector_typeIjLj2EENS0_17counting_iteratorIjlEEPS9_SG_NS0_5tupleIJPjSI_NS0_16reverse_iteratorISI_EEEEENSH_IJSG_SG_SG_EEES9_SI_JZNS1_25segmented_radix_sort_implINS0_14default_configELb1EPKiPiPKlPlN2at6native12_GLOBAL__N_18offset_tEEE10hipError_tPvRmT1_PNSt15iterator_traitsIS12_E10value_typeET2_T3_PNS13_IS18_E10value_typeET4_jRbjT5_S1E_jjP12ihipStream_tbEUljE_ZNSN_ISO_Lb1ESQ_SR_ST_SU_SY_EESZ_S10_S11_S12_S16_S17_S18_S1B_S1C_jS1D_jS1E_S1E_jjS1G_bEUljE0_EEESZ_S10_S11_S18_S1C_S1E_T6_T7_T9_mT8_S1G_bDpT10_ENKUlT_T0_E_clISt17integral_constantIbLb1EES1U_EEDaS1P_S1Q_EUlS1P_E_NS1_11comp_targetILNS1_3genE4ELNS1_11target_archE910ELNS1_3gpuE8ELNS1_3repE0EEENS1_30default_config_static_selectorELNS0_4arch9wavefront6targetE0EEEvS12_.num_vgpr, 0
	.set _ZN7rocprim17ROCPRIM_400000_NS6detail17trampoline_kernelINS0_13select_configILj256ELj13ELNS0_17block_load_methodE3ELS4_3ELS4_3ELNS0_20block_scan_algorithmE0ELj4294967295EEENS1_25partition_config_selectorILNS1_17partition_subalgoE4EjNS0_10empty_typeEbEEZZNS1_14partition_implILS8_4ELb0ES6_15HIP_vector_typeIjLj2EENS0_17counting_iteratorIjlEEPS9_SG_NS0_5tupleIJPjSI_NS0_16reverse_iteratorISI_EEEEENSH_IJSG_SG_SG_EEES9_SI_JZNS1_25segmented_radix_sort_implINS0_14default_configELb1EPKiPiPKlPlN2at6native12_GLOBAL__N_18offset_tEEE10hipError_tPvRmT1_PNSt15iterator_traitsIS12_E10value_typeET2_T3_PNS13_IS18_E10value_typeET4_jRbjT5_S1E_jjP12ihipStream_tbEUljE_ZNSN_ISO_Lb1ESQ_SR_ST_SU_SY_EESZ_S10_S11_S12_S16_S17_S18_S1B_S1C_jS1D_jS1E_S1E_jjS1G_bEUljE0_EEESZ_S10_S11_S18_S1C_S1E_T6_T7_T9_mT8_S1G_bDpT10_ENKUlT_T0_E_clISt17integral_constantIbLb1EES1U_EEDaS1P_S1Q_EUlS1P_E_NS1_11comp_targetILNS1_3genE4ELNS1_11target_archE910ELNS1_3gpuE8ELNS1_3repE0EEENS1_30default_config_static_selectorELNS0_4arch9wavefront6targetE0EEEvS12_.num_agpr, 0
	.set _ZN7rocprim17ROCPRIM_400000_NS6detail17trampoline_kernelINS0_13select_configILj256ELj13ELNS0_17block_load_methodE3ELS4_3ELS4_3ELNS0_20block_scan_algorithmE0ELj4294967295EEENS1_25partition_config_selectorILNS1_17partition_subalgoE4EjNS0_10empty_typeEbEEZZNS1_14partition_implILS8_4ELb0ES6_15HIP_vector_typeIjLj2EENS0_17counting_iteratorIjlEEPS9_SG_NS0_5tupleIJPjSI_NS0_16reverse_iteratorISI_EEEEENSH_IJSG_SG_SG_EEES9_SI_JZNS1_25segmented_radix_sort_implINS0_14default_configELb1EPKiPiPKlPlN2at6native12_GLOBAL__N_18offset_tEEE10hipError_tPvRmT1_PNSt15iterator_traitsIS12_E10value_typeET2_T3_PNS13_IS18_E10value_typeET4_jRbjT5_S1E_jjP12ihipStream_tbEUljE_ZNSN_ISO_Lb1ESQ_SR_ST_SU_SY_EESZ_S10_S11_S12_S16_S17_S18_S1B_S1C_jS1D_jS1E_S1E_jjS1G_bEUljE0_EEESZ_S10_S11_S18_S1C_S1E_T6_T7_T9_mT8_S1G_bDpT10_ENKUlT_T0_E_clISt17integral_constantIbLb1EES1U_EEDaS1P_S1Q_EUlS1P_E_NS1_11comp_targetILNS1_3genE4ELNS1_11target_archE910ELNS1_3gpuE8ELNS1_3repE0EEENS1_30default_config_static_selectorELNS0_4arch9wavefront6targetE0EEEvS12_.numbered_sgpr, 0
	.set _ZN7rocprim17ROCPRIM_400000_NS6detail17trampoline_kernelINS0_13select_configILj256ELj13ELNS0_17block_load_methodE3ELS4_3ELS4_3ELNS0_20block_scan_algorithmE0ELj4294967295EEENS1_25partition_config_selectorILNS1_17partition_subalgoE4EjNS0_10empty_typeEbEEZZNS1_14partition_implILS8_4ELb0ES6_15HIP_vector_typeIjLj2EENS0_17counting_iteratorIjlEEPS9_SG_NS0_5tupleIJPjSI_NS0_16reverse_iteratorISI_EEEEENSH_IJSG_SG_SG_EEES9_SI_JZNS1_25segmented_radix_sort_implINS0_14default_configELb1EPKiPiPKlPlN2at6native12_GLOBAL__N_18offset_tEEE10hipError_tPvRmT1_PNSt15iterator_traitsIS12_E10value_typeET2_T3_PNS13_IS18_E10value_typeET4_jRbjT5_S1E_jjP12ihipStream_tbEUljE_ZNSN_ISO_Lb1ESQ_SR_ST_SU_SY_EESZ_S10_S11_S12_S16_S17_S18_S1B_S1C_jS1D_jS1E_S1E_jjS1G_bEUljE0_EEESZ_S10_S11_S18_S1C_S1E_T6_T7_T9_mT8_S1G_bDpT10_ENKUlT_T0_E_clISt17integral_constantIbLb1EES1U_EEDaS1P_S1Q_EUlS1P_E_NS1_11comp_targetILNS1_3genE4ELNS1_11target_archE910ELNS1_3gpuE8ELNS1_3repE0EEENS1_30default_config_static_selectorELNS0_4arch9wavefront6targetE0EEEvS12_.num_named_barrier, 0
	.set _ZN7rocprim17ROCPRIM_400000_NS6detail17trampoline_kernelINS0_13select_configILj256ELj13ELNS0_17block_load_methodE3ELS4_3ELS4_3ELNS0_20block_scan_algorithmE0ELj4294967295EEENS1_25partition_config_selectorILNS1_17partition_subalgoE4EjNS0_10empty_typeEbEEZZNS1_14partition_implILS8_4ELb0ES6_15HIP_vector_typeIjLj2EENS0_17counting_iteratorIjlEEPS9_SG_NS0_5tupleIJPjSI_NS0_16reverse_iteratorISI_EEEEENSH_IJSG_SG_SG_EEES9_SI_JZNS1_25segmented_radix_sort_implINS0_14default_configELb1EPKiPiPKlPlN2at6native12_GLOBAL__N_18offset_tEEE10hipError_tPvRmT1_PNSt15iterator_traitsIS12_E10value_typeET2_T3_PNS13_IS18_E10value_typeET4_jRbjT5_S1E_jjP12ihipStream_tbEUljE_ZNSN_ISO_Lb1ESQ_SR_ST_SU_SY_EESZ_S10_S11_S12_S16_S17_S18_S1B_S1C_jS1D_jS1E_S1E_jjS1G_bEUljE0_EEESZ_S10_S11_S18_S1C_S1E_T6_T7_T9_mT8_S1G_bDpT10_ENKUlT_T0_E_clISt17integral_constantIbLb1EES1U_EEDaS1P_S1Q_EUlS1P_E_NS1_11comp_targetILNS1_3genE4ELNS1_11target_archE910ELNS1_3gpuE8ELNS1_3repE0EEENS1_30default_config_static_selectorELNS0_4arch9wavefront6targetE0EEEvS12_.private_seg_size, 0
	.set _ZN7rocprim17ROCPRIM_400000_NS6detail17trampoline_kernelINS0_13select_configILj256ELj13ELNS0_17block_load_methodE3ELS4_3ELS4_3ELNS0_20block_scan_algorithmE0ELj4294967295EEENS1_25partition_config_selectorILNS1_17partition_subalgoE4EjNS0_10empty_typeEbEEZZNS1_14partition_implILS8_4ELb0ES6_15HIP_vector_typeIjLj2EENS0_17counting_iteratorIjlEEPS9_SG_NS0_5tupleIJPjSI_NS0_16reverse_iteratorISI_EEEEENSH_IJSG_SG_SG_EEES9_SI_JZNS1_25segmented_radix_sort_implINS0_14default_configELb1EPKiPiPKlPlN2at6native12_GLOBAL__N_18offset_tEEE10hipError_tPvRmT1_PNSt15iterator_traitsIS12_E10value_typeET2_T3_PNS13_IS18_E10value_typeET4_jRbjT5_S1E_jjP12ihipStream_tbEUljE_ZNSN_ISO_Lb1ESQ_SR_ST_SU_SY_EESZ_S10_S11_S12_S16_S17_S18_S1B_S1C_jS1D_jS1E_S1E_jjS1G_bEUljE0_EEESZ_S10_S11_S18_S1C_S1E_T6_T7_T9_mT8_S1G_bDpT10_ENKUlT_T0_E_clISt17integral_constantIbLb1EES1U_EEDaS1P_S1Q_EUlS1P_E_NS1_11comp_targetILNS1_3genE4ELNS1_11target_archE910ELNS1_3gpuE8ELNS1_3repE0EEENS1_30default_config_static_selectorELNS0_4arch9wavefront6targetE0EEEvS12_.uses_vcc, 0
	.set _ZN7rocprim17ROCPRIM_400000_NS6detail17trampoline_kernelINS0_13select_configILj256ELj13ELNS0_17block_load_methodE3ELS4_3ELS4_3ELNS0_20block_scan_algorithmE0ELj4294967295EEENS1_25partition_config_selectorILNS1_17partition_subalgoE4EjNS0_10empty_typeEbEEZZNS1_14partition_implILS8_4ELb0ES6_15HIP_vector_typeIjLj2EENS0_17counting_iteratorIjlEEPS9_SG_NS0_5tupleIJPjSI_NS0_16reverse_iteratorISI_EEEEENSH_IJSG_SG_SG_EEES9_SI_JZNS1_25segmented_radix_sort_implINS0_14default_configELb1EPKiPiPKlPlN2at6native12_GLOBAL__N_18offset_tEEE10hipError_tPvRmT1_PNSt15iterator_traitsIS12_E10value_typeET2_T3_PNS13_IS18_E10value_typeET4_jRbjT5_S1E_jjP12ihipStream_tbEUljE_ZNSN_ISO_Lb1ESQ_SR_ST_SU_SY_EESZ_S10_S11_S12_S16_S17_S18_S1B_S1C_jS1D_jS1E_S1E_jjS1G_bEUljE0_EEESZ_S10_S11_S18_S1C_S1E_T6_T7_T9_mT8_S1G_bDpT10_ENKUlT_T0_E_clISt17integral_constantIbLb1EES1U_EEDaS1P_S1Q_EUlS1P_E_NS1_11comp_targetILNS1_3genE4ELNS1_11target_archE910ELNS1_3gpuE8ELNS1_3repE0EEENS1_30default_config_static_selectorELNS0_4arch9wavefront6targetE0EEEvS12_.uses_flat_scratch, 0
	.set _ZN7rocprim17ROCPRIM_400000_NS6detail17trampoline_kernelINS0_13select_configILj256ELj13ELNS0_17block_load_methodE3ELS4_3ELS4_3ELNS0_20block_scan_algorithmE0ELj4294967295EEENS1_25partition_config_selectorILNS1_17partition_subalgoE4EjNS0_10empty_typeEbEEZZNS1_14partition_implILS8_4ELb0ES6_15HIP_vector_typeIjLj2EENS0_17counting_iteratorIjlEEPS9_SG_NS0_5tupleIJPjSI_NS0_16reverse_iteratorISI_EEEEENSH_IJSG_SG_SG_EEES9_SI_JZNS1_25segmented_radix_sort_implINS0_14default_configELb1EPKiPiPKlPlN2at6native12_GLOBAL__N_18offset_tEEE10hipError_tPvRmT1_PNSt15iterator_traitsIS12_E10value_typeET2_T3_PNS13_IS18_E10value_typeET4_jRbjT5_S1E_jjP12ihipStream_tbEUljE_ZNSN_ISO_Lb1ESQ_SR_ST_SU_SY_EESZ_S10_S11_S12_S16_S17_S18_S1B_S1C_jS1D_jS1E_S1E_jjS1G_bEUljE0_EEESZ_S10_S11_S18_S1C_S1E_T6_T7_T9_mT8_S1G_bDpT10_ENKUlT_T0_E_clISt17integral_constantIbLb1EES1U_EEDaS1P_S1Q_EUlS1P_E_NS1_11comp_targetILNS1_3genE4ELNS1_11target_archE910ELNS1_3gpuE8ELNS1_3repE0EEENS1_30default_config_static_selectorELNS0_4arch9wavefront6targetE0EEEvS12_.has_dyn_sized_stack, 0
	.set _ZN7rocprim17ROCPRIM_400000_NS6detail17trampoline_kernelINS0_13select_configILj256ELj13ELNS0_17block_load_methodE3ELS4_3ELS4_3ELNS0_20block_scan_algorithmE0ELj4294967295EEENS1_25partition_config_selectorILNS1_17partition_subalgoE4EjNS0_10empty_typeEbEEZZNS1_14partition_implILS8_4ELb0ES6_15HIP_vector_typeIjLj2EENS0_17counting_iteratorIjlEEPS9_SG_NS0_5tupleIJPjSI_NS0_16reverse_iteratorISI_EEEEENSH_IJSG_SG_SG_EEES9_SI_JZNS1_25segmented_radix_sort_implINS0_14default_configELb1EPKiPiPKlPlN2at6native12_GLOBAL__N_18offset_tEEE10hipError_tPvRmT1_PNSt15iterator_traitsIS12_E10value_typeET2_T3_PNS13_IS18_E10value_typeET4_jRbjT5_S1E_jjP12ihipStream_tbEUljE_ZNSN_ISO_Lb1ESQ_SR_ST_SU_SY_EESZ_S10_S11_S12_S16_S17_S18_S1B_S1C_jS1D_jS1E_S1E_jjS1G_bEUljE0_EEESZ_S10_S11_S18_S1C_S1E_T6_T7_T9_mT8_S1G_bDpT10_ENKUlT_T0_E_clISt17integral_constantIbLb1EES1U_EEDaS1P_S1Q_EUlS1P_E_NS1_11comp_targetILNS1_3genE4ELNS1_11target_archE910ELNS1_3gpuE8ELNS1_3repE0EEENS1_30default_config_static_selectorELNS0_4arch9wavefront6targetE0EEEvS12_.has_recursion, 0
	.set _ZN7rocprim17ROCPRIM_400000_NS6detail17trampoline_kernelINS0_13select_configILj256ELj13ELNS0_17block_load_methodE3ELS4_3ELS4_3ELNS0_20block_scan_algorithmE0ELj4294967295EEENS1_25partition_config_selectorILNS1_17partition_subalgoE4EjNS0_10empty_typeEbEEZZNS1_14partition_implILS8_4ELb0ES6_15HIP_vector_typeIjLj2EENS0_17counting_iteratorIjlEEPS9_SG_NS0_5tupleIJPjSI_NS0_16reverse_iteratorISI_EEEEENSH_IJSG_SG_SG_EEES9_SI_JZNS1_25segmented_radix_sort_implINS0_14default_configELb1EPKiPiPKlPlN2at6native12_GLOBAL__N_18offset_tEEE10hipError_tPvRmT1_PNSt15iterator_traitsIS12_E10value_typeET2_T3_PNS13_IS18_E10value_typeET4_jRbjT5_S1E_jjP12ihipStream_tbEUljE_ZNSN_ISO_Lb1ESQ_SR_ST_SU_SY_EESZ_S10_S11_S12_S16_S17_S18_S1B_S1C_jS1D_jS1E_S1E_jjS1G_bEUljE0_EEESZ_S10_S11_S18_S1C_S1E_T6_T7_T9_mT8_S1G_bDpT10_ENKUlT_T0_E_clISt17integral_constantIbLb1EES1U_EEDaS1P_S1Q_EUlS1P_E_NS1_11comp_targetILNS1_3genE4ELNS1_11target_archE910ELNS1_3gpuE8ELNS1_3repE0EEENS1_30default_config_static_selectorELNS0_4arch9wavefront6targetE0EEEvS12_.has_indirect_call, 0
	.section	.AMDGPU.csdata,"",@progbits
; Kernel info:
; codeLenInByte = 0
; TotalNumSgprs: 0
; NumVgprs: 0
; ScratchSize: 0
; MemoryBound: 0
; FloatMode: 240
; IeeeMode: 1
; LDSByteSize: 0 bytes/workgroup (compile time only)
; SGPRBlocks: 0
; VGPRBlocks: 0
; NumSGPRsForWavesPerEU: 1
; NumVGPRsForWavesPerEU: 1
; NamedBarCnt: 0
; Occupancy: 16
; WaveLimiterHint : 0
; COMPUTE_PGM_RSRC2:SCRATCH_EN: 0
; COMPUTE_PGM_RSRC2:USER_SGPR: 2
; COMPUTE_PGM_RSRC2:TRAP_HANDLER: 0
; COMPUTE_PGM_RSRC2:TGID_X_EN: 1
; COMPUTE_PGM_RSRC2:TGID_Y_EN: 0
; COMPUTE_PGM_RSRC2:TGID_Z_EN: 0
; COMPUTE_PGM_RSRC2:TIDIG_COMP_CNT: 0
	.section	.text._ZN7rocprim17ROCPRIM_400000_NS6detail17trampoline_kernelINS0_13select_configILj256ELj13ELNS0_17block_load_methodE3ELS4_3ELS4_3ELNS0_20block_scan_algorithmE0ELj4294967295EEENS1_25partition_config_selectorILNS1_17partition_subalgoE4EjNS0_10empty_typeEbEEZZNS1_14partition_implILS8_4ELb0ES6_15HIP_vector_typeIjLj2EENS0_17counting_iteratorIjlEEPS9_SG_NS0_5tupleIJPjSI_NS0_16reverse_iteratorISI_EEEEENSH_IJSG_SG_SG_EEES9_SI_JZNS1_25segmented_radix_sort_implINS0_14default_configELb1EPKiPiPKlPlN2at6native12_GLOBAL__N_18offset_tEEE10hipError_tPvRmT1_PNSt15iterator_traitsIS12_E10value_typeET2_T3_PNS13_IS18_E10value_typeET4_jRbjT5_S1E_jjP12ihipStream_tbEUljE_ZNSN_ISO_Lb1ESQ_SR_ST_SU_SY_EESZ_S10_S11_S12_S16_S17_S18_S1B_S1C_jS1D_jS1E_S1E_jjS1G_bEUljE0_EEESZ_S10_S11_S18_S1C_S1E_T6_T7_T9_mT8_S1G_bDpT10_ENKUlT_T0_E_clISt17integral_constantIbLb1EES1U_EEDaS1P_S1Q_EUlS1P_E_NS1_11comp_targetILNS1_3genE3ELNS1_11target_archE908ELNS1_3gpuE7ELNS1_3repE0EEENS1_30default_config_static_selectorELNS0_4arch9wavefront6targetE0EEEvS12_,"axG",@progbits,_ZN7rocprim17ROCPRIM_400000_NS6detail17trampoline_kernelINS0_13select_configILj256ELj13ELNS0_17block_load_methodE3ELS4_3ELS4_3ELNS0_20block_scan_algorithmE0ELj4294967295EEENS1_25partition_config_selectorILNS1_17partition_subalgoE4EjNS0_10empty_typeEbEEZZNS1_14partition_implILS8_4ELb0ES6_15HIP_vector_typeIjLj2EENS0_17counting_iteratorIjlEEPS9_SG_NS0_5tupleIJPjSI_NS0_16reverse_iteratorISI_EEEEENSH_IJSG_SG_SG_EEES9_SI_JZNS1_25segmented_radix_sort_implINS0_14default_configELb1EPKiPiPKlPlN2at6native12_GLOBAL__N_18offset_tEEE10hipError_tPvRmT1_PNSt15iterator_traitsIS12_E10value_typeET2_T3_PNS13_IS18_E10value_typeET4_jRbjT5_S1E_jjP12ihipStream_tbEUljE_ZNSN_ISO_Lb1ESQ_SR_ST_SU_SY_EESZ_S10_S11_S12_S16_S17_S18_S1B_S1C_jS1D_jS1E_S1E_jjS1G_bEUljE0_EEESZ_S10_S11_S18_S1C_S1E_T6_T7_T9_mT8_S1G_bDpT10_ENKUlT_T0_E_clISt17integral_constantIbLb1EES1U_EEDaS1P_S1Q_EUlS1P_E_NS1_11comp_targetILNS1_3genE3ELNS1_11target_archE908ELNS1_3gpuE7ELNS1_3repE0EEENS1_30default_config_static_selectorELNS0_4arch9wavefront6targetE0EEEvS12_,comdat
	.globl	_ZN7rocprim17ROCPRIM_400000_NS6detail17trampoline_kernelINS0_13select_configILj256ELj13ELNS0_17block_load_methodE3ELS4_3ELS4_3ELNS0_20block_scan_algorithmE0ELj4294967295EEENS1_25partition_config_selectorILNS1_17partition_subalgoE4EjNS0_10empty_typeEbEEZZNS1_14partition_implILS8_4ELb0ES6_15HIP_vector_typeIjLj2EENS0_17counting_iteratorIjlEEPS9_SG_NS0_5tupleIJPjSI_NS0_16reverse_iteratorISI_EEEEENSH_IJSG_SG_SG_EEES9_SI_JZNS1_25segmented_radix_sort_implINS0_14default_configELb1EPKiPiPKlPlN2at6native12_GLOBAL__N_18offset_tEEE10hipError_tPvRmT1_PNSt15iterator_traitsIS12_E10value_typeET2_T3_PNS13_IS18_E10value_typeET4_jRbjT5_S1E_jjP12ihipStream_tbEUljE_ZNSN_ISO_Lb1ESQ_SR_ST_SU_SY_EESZ_S10_S11_S12_S16_S17_S18_S1B_S1C_jS1D_jS1E_S1E_jjS1G_bEUljE0_EEESZ_S10_S11_S18_S1C_S1E_T6_T7_T9_mT8_S1G_bDpT10_ENKUlT_T0_E_clISt17integral_constantIbLb1EES1U_EEDaS1P_S1Q_EUlS1P_E_NS1_11comp_targetILNS1_3genE3ELNS1_11target_archE908ELNS1_3gpuE7ELNS1_3repE0EEENS1_30default_config_static_selectorELNS0_4arch9wavefront6targetE0EEEvS12_ ; -- Begin function _ZN7rocprim17ROCPRIM_400000_NS6detail17trampoline_kernelINS0_13select_configILj256ELj13ELNS0_17block_load_methodE3ELS4_3ELS4_3ELNS0_20block_scan_algorithmE0ELj4294967295EEENS1_25partition_config_selectorILNS1_17partition_subalgoE4EjNS0_10empty_typeEbEEZZNS1_14partition_implILS8_4ELb0ES6_15HIP_vector_typeIjLj2EENS0_17counting_iteratorIjlEEPS9_SG_NS0_5tupleIJPjSI_NS0_16reverse_iteratorISI_EEEEENSH_IJSG_SG_SG_EEES9_SI_JZNS1_25segmented_radix_sort_implINS0_14default_configELb1EPKiPiPKlPlN2at6native12_GLOBAL__N_18offset_tEEE10hipError_tPvRmT1_PNSt15iterator_traitsIS12_E10value_typeET2_T3_PNS13_IS18_E10value_typeET4_jRbjT5_S1E_jjP12ihipStream_tbEUljE_ZNSN_ISO_Lb1ESQ_SR_ST_SU_SY_EESZ_S10_S11_S12_S16_S17_S18_S1B_S1C_jS1D_jS1E_S1E_jjS1G_bEUljE0_EEESZ_S10_S11_S18_S1C_S1E_T6_T7_T9_mT8_S1G_bDpT10_ENKUlT_T0_E_clISt17integral_constantIbLb1EES1U_EEDaS1P_S1Q_EUlS1P_E_NS1_11comp_targetILNS1_3genE3ELNS1_11target_archE908ELNS1_3gpuE7ELNS1_3repE0EEENS1_30default_config_static_selectorELNS0_4arch9wavefront6targetE0EEEvS12_
	.p2align	8
	.type	_ZN7rocprim17ROCPRIM_400000_NS6detail17trampoline_kernelINS0_13select_configILj256ELj13ELNS0_17block_load_methodE3ELS4_3ELS4_3ELNS0_20block_scan_algorithmE0ELj4294967295EEENS1_25partition_config_selectorILNS1_17partition_subalgoE4EjNS0_10empty_typeEbEEZZNS1_14partition_implILS8_4ELb0ES6_15HIP_vector_typeIjLj2EENS0_17counting_iteratorIjlEEPS9_SG_NS0_5tupleIJPjSI_NS0_16reverse_iteratorISI_EEEEENSH_IJSG_SG_SG_EEES9_SI_JZNS1_25segmented_radix_sort_implINS0_14default_configELb1EPKiPiPKlPlN2at6native12_GLOBAL__N_18offset_tEEE10hipError_tPvRmT1_PNSt15iterator_traitsIS12_E10value_typeET2_T3_PNS13_IS18_E10value_typeET4_jRbjT5_S1E_jjP12ihipStream_tbEUljE_ZNSN_ISO_Lb1ESQ_SR_ST_SU_SY_EESZ_S10_S11_S12_S16_S17_S18_S1B_S1C_jS1D_jS1E_S1E_jjS1G_bEUljE0_EEESZ_S10_S11_S18_S1C_S1E_T6_T7_T9_mT8_S1G_bDpT10_ENKUlT_T0_E_clISt17integral_constantIbLb1EES1U_EEDaS1P_S1Q_EUlS1P_E_NS1_11comp_targetILNS1_3genE3ELNS1_11target_archE908ELNS1_3gpuE7ELNS1_3repE0EEENS1_30default_config_static_selectorELNS0_4arch9wavefront6targetE0EEEvS12_,@function
_ZN7rocprim17ROCPRIM_400000_NS6detail17trampoline_kernelINS0_13select_configILj256ELj13ELNS0_17block_load_methodE3ELS4_3ELS4_3ELNS0_20block_scan_algorithmE0ELj4294967295EEENS1_25partition_config_selectorILNS1_17partition_subalgoE4EjNS0_10empty_typeEbEEZZNS1_14partition_implILS8_4ELb0ES6_15HIP_vector_typeIjLj2EENS0_17counting_iteratorIjlEEPS9_SG_NS0_5tupleIJPjSI_NS0_16reverse_iteratorISI_EEEEENSH_IJSG_SG_SG_EEES9_SI_JZNS1_25segmented_radix_sort_implINS0_14default_configELb1EPKiPiPKlPlN2at6native12_GLOBAL__N_18offset_tEEE10hipError_tPvRmT1_PNSt15iterator_traitsIS12_E10value_typeET2_T3_PNS13_IS18_E10value_typeET4_jRbjT5_S1E_jjP12ihipStream_tbEUljE_ZNSN_ISO_Lb1ESQ_SR_ST_SU_SY_EESZ_S10_S11_S12_S16_S17_S18_S1B_S1C_jS1D_jS1E_S1E_jjS1G_bEUljE0_EEESZ_S10_S11_S18_S1C_S1E_T6_T7_T9_mT8_S1G_bDpT10_ENKUlT_T0_E_clISt17integral_constantIbLb1EES1U_EEDaS1P_S1Q_EUlS1P_E_NS1_11comp_targetILNS1_3genE3ELNS1_11target_archE908ELNS1_3gpuE7ELNS1_3repE0EEENS1_30default_config_static_selectorELNS0_4arch9wavefront6targetE0EEEvS12_: ; @_ZN7rocprim17ROCPRIM_400000_NS6detail17trampoline_kernelINS0_13select_configILj256ELj13ELNS0_17block_load_methodE3ELS4_3ELS4_3ELNS0_20block_scan_algorithmE0ELj4294967295EEENS1_25partition_config_selectorILNS1_17partition_subalgoE4EjNS0_10empty_typeEbEEZZNS1_14partition_implILS8_4ELb0ES6_15HIP_vector_typeIjLj2EENS0_17counting_iteratorIjlEEPS9_SG_NS0_5tupleIJPjSI_NS0_16reverse_iteratorISI_EEEEENSH_IJSG_SG_SG_EEES9_SI_JZNS1_25segmented_radix_sort_implINS0_14default_configELb1EPKiPiPKlPlN2at6native12_GLOBAL__N_18offset_tEEE10hipError_tPvRmT1_PNSt15iterator_traitsIS12_E10value_typeET2_T3_PNS13_IS18_E10value_typeET4_jRbjT5_S1E_jjP12ihipStream_tbEUljE_ZNSN_ISO_Lb1ESQ_SR_ST_SU_SY_EESZ_S10_S11_S12_S16_S17_S18_S1B_S1C_jS1D_jS1E_S1E_jjS1G_bEUljE0_EEESZ_S10_S11_S18_S1C_S1E_T6_T7_T9_mT8_S1G_bDpT10_ENKUlT_T0_E_clISt17integral_constantIbLb1EES1U_EEDaS1P_S1Q_EUlS1P_E_NS1_11comp_targetILNS1_3genE3ELNS1_11target_archE908ELNS1_3gpuE7ELNS1_3repE0EEENS1_30default_config_static_selectorELNS0_4arch9wavefront6targetE0EEEvS12_
; %bb.0:
	.section	.rodata,"a",@progbits
	.p2align	6, 0x0
	.amdhsa_kernel _ZN7rocprim17ROCPRIM_400000_NS6detail17trampoline_kernelINS0_13select_configILj256ELj13ELNS0_17block_load_methodE3ELS4_3ELS4_3ELNS0_20block_scan_algorithmE0ELj4294967295EEENS1_25partition_config_selectorILNS1_17partition_subalgoE4EjNS0_10empty_typeEbEEZZNS1_14partition_implILS8_4ELb0ES6_15HIP_vector_typeIjLj2EENS0_17counting_iteratorIjlEEPS9_SG_NS0_5tupleIJPjSI_NS0_16reverse_iteratorISI_EEEEENSH_IJSG_SG_SG_EEES9_SI_JZNS1_25segmented_radix_sort_implINS0_14default_configELb1EPKiPiPKlPlN2at6native12_GLOBAL__N_18offset_tEEE10hipError_tPvRmT1_PNSt15iterator_traitsIS12_E10value_typeET2_T3_PNS13_IS18_E10value_typeET4_jRbjT5_S1E_jjP12ihipStream_tbEUljE_ZNSN_ISO_Lb1ESQ_SR_ST_SU_SY_EESZ_S10_S11_S12_S16_S17_S18_S1B_S1C_jS1D_jS1E_S1E_jjS1G_bEUljE0_EEESZ_S10_S11_S18_S1C_S1E_T6_T7_T9_mT8_S1G_bDpT10_ENKUlT_T0_E_clISt17integral_constantIbLb1EES1U_EEDaS1P_S1Q_EUlS1P_E_NS1_11comp_targetILNS1_3genE3ELNS1_11target_archE908ELNS1_3gpuE7ELNS1_3repE0EEENS1_30default_config_static_selectorELNS0_4arch9wavefront6targetE0EEEvS12_
		.amdhsa_group_segment_fixed_size 0
		.amdhsa_private_segment_fixed_size 0
		.amdhsa_kernarg_size 184
		.amdhsa_user_sgpr_count 2
		.amdhsa_user_sgpr_dispatch_ptr 0
		.amdhsa_user_sgpr_queue_ptr 0
		.amdhsa_user_sgpr_kernarg_segment_ptr 1
		.amdhsa_user_sgpr_dispatch_id 0
		.amdhsa_user_sgpr_kernarg_preload_length 0
		.amdhsa_user_sgpr_kernarg_preload_offset 0
		.amdhsa_user_sgpr_private_segment_size 0
		.amdhsa_wavefront_size32 1
		.amdhsa_uses_dynamic_stack 0
		.amdhsa_enable_private_segment 0
		.amdhsa_system_sgpr_workgroup_id_x 1
		.amdhsa_system_sgpr_workgroup_id_y 0
		.amdhsa_system_sgpr_workgroup_id_z 0
		.amdhsa_system_sgpr_workgroup_info 0
		.amdhsa_system_vgpr_workitem_id 0
		.amdhsa_next_free_vgpr 1
		.amdhsa_next_free_sgpr 1
		.amdhsa_named_barrier_count 0
		.amdhsa_reserve_vcc 0
		.amdhsa_float_round_mode_32 0
		.amdhsa_float_round_mode_16_64 0
		.amdhsa_float_denorm_mode_32 3
		.amdhsa_float_denorm_mode_16_64 3
		.amdhsa_fp16_overflow 0
		.amdhsa_memory_ordered 1
		.amdhsa_forward_progress 1
		.amdhsa_inst_pref_size 0
		.amdhsa_round_robin_scheduling 0
		.amdhsa_exception_fp_ieee_invalid_op 0
		.amdhsa_exception_fp_denorm_src 0
		.amdhsa_exception_fp_ieee_div_zero 0
		.amdhsa_exception_fp_ieee_overflow 0
		.amdhsa_exception_fp_ieee_underflow 0
		.amdhsa_exception_fp_ieee_inexact 0
		.amdhsa_exception_int_div_zero 0
	.end_amdhsa_kernel
	.section	.text._ZN7rocprim17ROCPRIM_400000_NS6detail17trampoline_kernelINS0_13select_configILj256ELj13ELNS0_17block_load_methodE3ELS4_3ELS4_3ELNS0_20block_scan_algorithmE0ELj4294967295EEENS1_25partition_config_selectorILNS1_17partition_subalgoE4EjNS0_10empty_typeEbEEZZNS1_14partition_implILS8_4ELb0ES6_15HIP_vector_typeIjLj2EENS0_17counting_iteratorIjlEEPS9_SG_NS0_5tupleIJPjSI_NS0_16reverse_iteratorISI_EEEEENSH_IJSG_SG_SG_EEES9_SI_JZNS1_25segmented_radix_sort_implINS0_14default_configELb1EPKiPiPKlPlN2at6native12_GLOBAL__N_18offset_tEEE10hipError_tPvRmT1_PNSt15iterator_traitsIS12_E10value_typeET2_T3_PNS13_IS18_E10value_typeET4_jRbjT5_S1E_jjP12ihipStream_tbEUljE_ZNSN_ISO_Lb1ESQ_SR_ST_SU_SY_EESZ_S10_S11_S12_S16_S17_S18_S1B_S1C_jS1D_jS1E_S1E_jjS1G_bEUljE0_EEESZ_S10_S11_S18_S1C_S1E_T6_T7_T9_mT8_S1G_bDpT10_ENKUlT_T0_E_clISt17integral_constantIbLb1EES1U_EEDaS1P_S1Q_EUlS1P_E_NS1_11comp_targetILNS1_3genE3ELNS1_11target_archE908ELNS1_3gpuE7ELNS1_3repE0EEENS1_30default_config_static_selectorELNS0_4arch9wavefront6targetE0EEEvS12_,"axG",@progbits,_ZN7rocprim17ROCPRIM_400000_NS6detail17trampoline_kernelINS0_13select_configILj256ELj13ELNS0_17block_load_methodE3ELS4_3ELS4_3ELNS0_20block_scan_algorithmE0ELj4294967295EEENS1_25partition_config_selectorILNS1_17partition_subalgoE4EjNS0_10empty_typeEbEEZZNS1_14partition_implILS8_4ELb0ES6_15HIP_vector_typeIjLj2EENS0_17counting_iteratorIjlEEPS9_SG_NS0_5tupleIJPjSI_NS0_16reverse_iteratorISI_EEEEENSH_IJSG_SG_SG_EEES9_SI_JZNS1_25segmented_radix_sort_implINS0_14default_configELb1EPKiPiPKlPlN2at6native12_GLOBAL__N_18offset_tEEE10hipError_tPvRmT1_PNSt15iterator_traitsIS12_E10value_typeET2_T3_PNS13_IS18_E10value_typeET4_jRbjT5_S1E_jjP12ihipStream_tbEUljE_ZNSN_ISO_Lb1ESQ_SR_ST_SU_SY_EESZ_S10_S11_S12_S16_S17_S18_S1B_S1C_jS1D_jS1E_S1E_jjS1G_bEUljE0_EEESZ_S10_S11_S18_S1C_S1E_T6_T7_T9_mT8_S1G_bDpT10_ENKUlT_T0_E_clISt17integral_constantIbLb1EES1U_EEDaS1P_S1Q_EUlS1P_E_NS1_11comp_targetILNS1_3genE3ELNS1_11target_archE908ELNS1_3gpuE7ELNS1_3repE0EEENS1_30default_config_static_selectorELNS0_4arch9wavefront6targetE0EEEvS12_,comdat
.Lfunc_end440:
	.size	_ZN7rocprim17ROCPRIM_400000_NS6detail17trampoline_kernelINS0_13select_configILj256ELj13ELNS0_17block_load_methodE3ELS4_3ELS4_3ELNS0_20block_scan_algorithmE0ELj4294967295EEENS1_25partition_config_selectorILNS1_17partition_subalgoE4EjNS0_10empty_typeEbEEZZNS1_14partition_implILS8_4ELb0ES6_15HIP_vector_typeIjLj2EENS0_17counting_iteratorIjlEEPS9_SG_NS0_5tupleIJPjSI_NS0_16reverse_iteratorISI_EEEEENSH_IJSG_SG_SG_EEES9_SI_JZNS1_25segmented_radix_sort_implINS0_14default_configELb1EPKiPiPKlPlN2at6native12_GLOBAL__N_18offset_tEEE10hipError_tPvRmT1_PNSt15iterator_traitsIS12_E10value_typeET2_T3_PNS13_IS18_E10value_typeET4_jRbjT5_S1E_jjP12ihipStream_tbEUljE_ZNSN_ISO_Lb1ESQ_SR_ST_SU_SY_EESZ_S10_S11_S12_S16_S17_S18_S1B_S1C_jS1D_jS1E_S1E_jjS1G_bEUljE0_EEESZ_S10_S11_S18_S1C_S1E_T6_T7_T9_mT8_S1G_bDpT10_ENKUlT_T0_E_clISt17integral_constantIbLb1EES1U_EEDaS1P_S1Q_EUlS1P_E_NS1_11comp_targetILNS1_3genE3ELNS1_11target_archE908ELNS1_3gpuE7ELNS1_3repE0EEENS1_30default_config_static_selectorELNS0_4arch9wavefront6targetE0EEEvS12_, .Lfunc_end440-_ZN7rocprim17ROCPRIM_400000_NS6detail17trampoline_kernelINS0_13select_configILj256ELj13ELNS0_17block_load_methodE3ELS4_3ELS4_3ELNS0_20block_scan_algorithmE0ELj4294967295EEENS1_25partition_config_selectorILNS1_17partition_subalgoE4EjNS0_10empty_typeEbEEZZNS1_14partition_implILS8_4ELb0ES6_15HIP_vector_typeIjLj2EENS0_17counting_iteratorIjlEEPS9_SG_NS0_5tupleIJPjSI_NS0_16reverse_iteratorISI_EEEEENSH_IJSG_SG_SG_EEES9_SI_JZNS1_25segmented_radix_sort_implINS0_14default_configELb1EPKiPiPKlPlN2at6native12_GLOBAL__N_18offset_tEEE10hipError_tPvRmT1_PNSt15iterator_traitsIS12_E10value_typeET2_T3_PNS13_IS18_E10value_typeET4_jRbjT5_S1E_jjP12ihipStream_tbEUljE_ZNSN_ISO_Lb1ESQ_SR_ST_SU_SY_EESZ_S10_S11_S12_S16_S17_S18_S1B_S1C_jS1D_jS1E_S1E_jjS1G_bEUljE0_EEESZ_S10_S11_S18_S1C_S1E_T6_T7_T9_mT8_S1G_bDpT10_ENKUlT_T0_E_clISt17integral_constantIbLb1EES1U_EEDaS1P_S1Q_EUlS1P_E_NS1_11comp_targetILNS1_3genE3ELNS1_11target_archE908ELNS1_3gpuE7ELNS1_3repE0EEENS1_30default_config_static_selectorELNS0_4arch9wavefront6targetE0EEEvS12_
                                        ; -- End function
	.set _ZN7rocprim17ROCPRIM_400000_NS6detail17trampoline_kernelINS0_13select_configILj256ELj13ELNS0_17block_load_methodE3ELS4_3ELS4_3ELNS0_20block_scan_algorithmE0ELj4294967295EEENS1_25partition_config_selectorILNS1_17partition_subalgoE4EjNS0_10empty_typeEbEEZZNS1_14partition_implILS8_4ELb0ES6_15HIP_vector_typeIjLj2EENS0_17counting_iteratorIjlEEPS9_SG_NS0_5tupleIJPjSI_NS0_16reverse_iteratorISI_EEEEENSH_IJSG_SG_SG_EEES9_SI_JZNS1_25segmented_radix_sort_implINS0_14default_configELb1EPKiPiPKlPlN2at6native12_GLOBAL__N_18offset_tEEE10hipError_tPvRmT1_PNSt15iterator_traitsIS12_E10value_typeET2_T3_PNS13_IS18_E10value_typeET4_jRbjT5_S1E_jjP12ihipStream_tbEUljE_ZNSN_ISO_Lb1ESQ_SR_ST_SU_SY_EESZ_S10_S11_S12_S16_S17_S18_S1B_S1C_jS1D_jS1E_S1E_jjS1G_bEUljE0_EEESZ_S10_S11_S18_S1C_S1E_T6_T7_T9_mT8_S1G_bDpT10_ENKUlT_T0_E_clISt17integral_constantIbLb1EES1U_EEDaS1P_S1Q_EUlS1P_E_NS1_11comp_targetILNS1_3genE3ELNS1_11target_archE908ELNS1_3gpuE7ELNS1_3repE0EEENS1_30default_config_static_selectorELNS0_4arch9wavefront6targetE0EEEvS12_.num_vgpr, 0
	.set _ZN7rocprim17ROCPRIM_400000_NS6detail17trampoline_kernelINS0_13select_configILj256ELj13ELNS0_17block_load_methodE3ELS4_3ELS4_3ELNS0_20block_scan_algorithmE0ELj4294967295EEENS1_25partition_config_selectorILNS1_17partition_subalgoE4EjNS0_10empty_typeEbEEZZNS1_14partition_implILS8_4ELb0ES6_15HIP_vector_typeIjLj2EENS0_17counting_iteratorIjlEEPS9_SG_NS0_5tupleIJPjSI_NS0_16reverse_iteratorISI_EEEEENSH_IJSG_SG_SG_EEES9_SI_JZNS1_25segmented_radix_sort_implINS0_14default_configELb1EPKiPiPKlPlN2at6native12_GLOBAL__N_18offset_tEEE10hipError_tPvRmT1_PNSt15iterator_traitsIS12_E10value_typeET2_T3_PNS13_IS18_E10value_typeET4_jRbjT5_S1E_jjP12ihipStream_tbEUljE_ZNSN_ISO_Lb1ESQ_SR_ST_SU_SY_EESZ_S10_S11_S12_S16_S17_S18_S1B_S1C_jS1D_jS1E_S1E_jjS1G_bEUljE0_EEESZ_S10_S11_S18_S1C_S1E_T6_T7_T9_mT8_S1G_bDpT10_ENKUlT_T0_E_clISt17integral_constantIbLb1EES1U_EEDaS1P_S1Q_EUlS1P_E_NS1_11comp_targetILNS1_3genE3ELNS1_11target_archE908ELNS1_3gpuE7ELNS1_3repE0EEENS1_30default_config_static_selectorELNS0_4arch9wavefront6targetE0EEEvS12_.num_agpr, 0
	.set _ZN7rocprim17ROCPRIM_400000_NS6detail17trampoline_kernelINS0_13select_configILj256ELj13ELNS0_17block_load_methodE3ELS4_3ELS4_3ELNS0_20block_scan_algorithmE0ELj4294967295EEENS1_25partition_config_selectorILNS1_17partition_subalgoE4EjNS0_10empty_typeEbEEZZNS1_14partition_implILS8_4ELb0ES6_15HIP_vector_typeIjLj2EENS0_17counting_iteratorIjlEEPS9_SG_NS0_5tupleIJPjSI_NS0_16reverse_iteratorISI_EEEEENSH_IJSG_SG_SG_EEES9_SI_JZNS1_25segmented_radix_sort_implINS0_14default_configELb1EPKiPiPKlPlN2at6native12_GLOBAL__N_18offset_tEEE10hipError_tPvRmT1_PNSt15iterator_traitsIS12_E10value_typeET2_T3_PNS13_IS18_E10value_typeET4_jRbjT5_S1E_jjP12ihipStream_tbEUljE_ZNSN_ISO_Lb1ESQ_SR_ST_SU_SY_EESZ_S10_S11_S12_S16_S17_S18_S1B_S1C_jS1D_jS1E_S1E_jjS1G_bEUljE0_EEESZ_S10_S11_S18_S1C_S1E_T6_T7_T9_mT8_S1G_bDpT10_ENKUlT_T0_E_clISt17integral_constantIbLb1EES1U_EEDaS1P_S1Q_EUlS1P_E_NS1_11comp_targetILNS1_3genE3ELNS1_11target_archE908ELNS1_3gpuE7ELNS1_3repE0EEENS1_30default_config_static_selectorELNS0_4arch9wavefront6targetE0EEEvS12_.numbered_sgpr, 0
	.set _ZN7rocprim17ROCPRIM_400000_NS6detail17trampoline_kernelINS0_13select_configILj256ELj13ELNS0_17block_load_methodE3ELS4_3ELS4_3ELNS0_20block_scan_algorithmE0ELj4294967295EEENS1_25partition_config_selectorILNS1_17partition_subalgoE4EjNS0_10empty_typeEbEEZZNS1_14partition_implILS8_4ELb0ES6_15HIP_vector_typeIjLj2EENS0_17counting_iteratorIjlEEPS9_SG_NS0_5tupleIJPjSI_NS0_16reverse_iteratorISI_EEEEENSH_IJSG_SG_SG_EEES9_SI_JZNS1_25segmented_radix_sort_implINS0_14default_configELb1EPKiPiPKlPlN2at6native12_GLOBAL__N_18offset_tEEE10hipError_tPvRmT1_PNSt15iterator_traitsIS12_E10value_typeET2_T3_PNS13_IS18_E10value_typeET4_jRbjT5_S1E_jjP12ihipStream_tbEUljE_ZNSN_ISO_Lb1ESQ_SR_ST_SU_SY_EESZ_S10_S11_S12_S16_S17_S18_S1B_S1C_jS1D_jS1E_S1E_jjS1G_bEUljE0_EEESZ_S10_S11_S18_S1C_S1E_T6_T7_T9_mT8_S1G_bDpT10_ENKUlT_T0_E_clISt17integral_constantIbLb1EES1U_EEDaS1P_S1Q_EUlS1P_E_NS1_11comp_targetILNS1_3genE3ELNS1_11target_archE908ELNS1_3gpuE7ELNS1_3repE0EEENS1_30default_config_static_selectorELNS0_4arch9wavefront6targetE0EEEvS12_.num_named_barrier, 0
	.set _ZN7rocprim17ROCPRIM_400000_NS6detail17trampoline_kernelINS0_13select_configILj256ELj13ELNS0_17block_load_methodE3ELS4_3ELS4_3ELNS0_20block_scan_algorithmE0ELj4294967295EEENS1_25partition_config_selectorILNS1_17partition_subalgoE4EjNS0_10empty_typeEbEEZZNS1_14partition_implILS8_4ELb0ES6_15HIP_vector_typeIjLj2EENS0_17counting_iteratorIjlEEPS9_SG_NS0_5tupleIJPjSI_NS0_16reverse_iteratorISI_EEEEENSH_IJSG_SG_SG_EEES9_SI_JZNS1_25segmented_radix_sort_implINS0_14default_configELb1EPKiPiPKlPlN2at6native12_GLOBAL__N_18offset_tEEE10hipError_tPvRmT1_PNSt15iterator_traitsIS12_E10value_typeET2_T3_PNS13_IS18_E10value_typeET4_jRbjT5_S1E_jjP12ihipStream_tbEUljE_ZNSN_ISO_Lb1ESQ_SR_ST_SU_SY_EESZ_S10_S11_S12_S16_S17_S18_S1B_S1C_jS1D_jS1E_S1E_jjS1G_bEUljE0_EEESZ_S10_S11_S18_S1C_S1E_T6_T7_T9_mT8_S1G_bDpT10_ENKUlT_T0_E_clISt17integral_constantIbLb1EES1U_EEDaS1P_S1Q_EUlS1P_E_NS1_11comp_targetILNS1_3genE3ELNS1_11target_archE908ELNS1_3gpuE7ELNS1_3repE0EEENS1_30default_config_static_selectorELNS0_4arch9wavefront6targetE0EEEvS12_.private_seg_size, 0
	.set _ZN7rocprim17ROCPRIM_400000_NS6detail17trampoline_kernelINS0_13select_configILj256ELj13ELNS0_17block_load_methodE3ELS4_3ELS4_3ELNS0_20block_scan_algorithmE0ELj4294967295EEENS1_25partition_config_selectorILNS1_17partition_subalgoE4EjNS0_10empty_typeEbEEZZNS1_14partition_implILS8_4ELb0ES6_15HIP_vector_typeIjLj2EENS0_17counting_iteratorIjlEEPS9_SG_NS0_5tupleIJPjSI_NS0_16reverse_iteratorISI_EEEEENSH_IJSG_SG_SG_EEES9_SI_JZNS1_25segmented_radix_sort_implINS0_14default_configELb1EPKiPiPKlPlN2at6native12_GLOBAL__N_18offset_tEEE10hipError_tPvRmT1_PNSt15iterator_traitsIS12_E10value_typeET2_T3_PNS13_IS18_E10value_typeET4_jRbjT5_S1E_jjP12ihipStream_tbEUljE_ZNSN_ISO_Lb1ESQ_SR_ST_SU_SY_EESZ_S10_S11_S12_S16_S17_S18_S1B_S1C_jS1D_jS1E_S1E_jjS1G_bEUljE0_EEESZ_S10_S11_S18_S1C_S1E_T6_T7_T9_mT8_S1G_bDpT10_ENKUlT_T0_E_clISt17integral_constantIbLb1EES1U_EEDaS1P_S1Q_EUlS1P_E_NS1_11comp_targetILNS1_3genE3ELNS1_11target_archE908ELNS1_3gpuE7ELNS1_3repE0EEENS1_30default_config_static_selectorELNS0_4arch9wavefront6targetE0EEEvS12_.uses_vcc, 0
	.set _ZN7rocprim17ROCPRIM_400000_NS6detail17trampoline_kernelINS0_13select_configILj256ELj13ELNS0_17block_load_methodE3ELS4_3ELS4_3ELNS0_20block_scan_algorithmE0ELj4294967295EEENS1_25partition_config_selectorILNS1_17partition_subalgoE4EjNS0_10empty_typeEbEEZZNS1_14partition_implILS8_4ELb0ES6_15HIP_vector_typeIjLj2EENS0_17counting_iteratorIjlEEPS9_SG_NS0_5tupleIJPjSI_NS0_16reverse_iteratorISI_EEEEENSH_IJSG_SG_SG_EEES9_SI_JZNS1_25segmented_radix_sort_implINS0_14default_configELb1EPKiPiPKlPlN2at6native12_GLOBAL__N_18offset_tEEE10hipError_tPvRmT1_PNSt15iterator_traitsIS12_E10value_typeET2_T3_PNS13_IS18_E10value_typeET4_jRbjT5_S1E_jjP12ihipStream_tbEUljE_ZNSN_ISO_Lb1ESQ_SR_ST_SU_SY_EESZ_S10_S11_S12_S16_S17_S18_S1B_S1C_jS1D_jS1E_S1E_jjS1G_bEUljE0_EEESZ_S10_S11_S18_S1C_S1E_T6_T7_T9_mT8_S1G_bDpT10_ENKUlT_T0_E_clISt17integral_constantIbLb1EES1U_EEDaS1P_S1Q_EUlS1P_E_NS1_11comp_targetILNS1_3genE3ELNS1_11target_archE908ELNS1_3gpuE7ELNS1_3repE0EEENS1_30default_config_static_selectorELNS0_4arch9wavefront6targetE0EEEvS12_.uses_flat_scratch, 0
	.set _ZN7rocprim17ROCPRIM_400000_NS6detail17trampoline_kernelINS0_13select_configILj256ELj13ELNS0_17block_load_methodE3ELS4_3ELS4_3ELNS0_20block_scan_algorithmE0ELj4294967295EEENS1_25partition_config_selectorILNS1_17partition_subalgoE4EjNS0_10empty_typeEbEEZZNS1_14partition_implILS8_4ELb0ES6_15HIP_vector_typeIjLj2EENS0_17counting_iteratorIjlEEPS9_SG_NS0_5tupleIJPjSI_NS0_16reverse_iteratorISI_EEEEENSH_IJSG_SG_SG_EEES9_SI_JZNS1_25segmented_radix_sort_implINS0_14default_configELb1EPKiPiPKlPlN2at6native12_GLOBAL__N_18offset_tEEE10hipError_tPvRmT1_PNSt15iterator_traitsIS12_E10value_typeET2_T3_PNS13_IS18_E10value_typeET4_jRbjT5_S1E_jjP12ihipStream_tbEUljE_ZNSN_ISO_Lb1ESQ_SR_ST_SU_SY_EESZ_S10_S11_S12_S16_S17_S18_S1B_S1C_jS1D_jS1E_S1E_jjS1G_bEUljE0_EEESZ_S10_S11_S18_S1C_S1E_T6_T7_T9_mT8_S1G_bDpT10_ENKUlT_T0_E_clISt17integral_constantIbLb1EES1U_EEDaS1P_S1Q_EUlS1P_E_NS1_11comp_targetILNS1_3genE3ELNS1_11target_archE908ELNS1_3gpuE7ELNS1_3repE0EEENS1_30default_config_static_selectorELNS0_4arch9wavefront6targetE0EEEvS12_.has_dyn_sized_stack, 0
	.set _ZN7rocprim17ROCPRIM_400000_NS6detail17trampoline_kernelINS0_13select_configILj256ELj13ELNS0_17block_load_methodE3ELS4_3ELS4_3ELNS0_20block_scan_algorithmE0ELj4294967295EEENS1_25partition_config_selectorILNS1_17partition_subalgoE4EjNS0_10empty_typeEbEEZZNS1_14partition_implILS8_4ELb0ES6_15HIP_vector_typeIjLj2EENS0_17counting_iteratorIjlEEPS9_SG_NS0_5tupleIJPjSI_NS0_16reverse_iteratorISI_EEEEENSH_IJSG_SG_SG_EEES9_SI_JZNS1_25segmented_radix_sort_implINS0_14default_configELb1EPKiPiPKlPlN2at6native12_GLOBAL__N_18offset_tEEE10hipError_tPvRmT1_PNSt15iterator_traitsIS12_E10value_typeET2_T3_PNS13_IS18_E10value_typeET4_jRbjT5_S1E_jjP12ihipStream_tbEUljE_ZNSN_ISO_Lb1ESQ_SR_ST_SU_SY_EESZ_S10_S11_S12_S16_S17_S18_S1B_S1C_jS1D_jS1E_S1E_jjS1G_bEUljE0_EEESZ_S10_S11_S18_S1C_S1E_T6_T7_T9_mT8_S1G_bDpT10_ENKUlT_T0_E_clISt17integral_constantIbLb1EES1U_EEDaS1P_S1Q_EUlS1P_E_NS1_11comp_targetILNS1_3genE3ELNS1_11target_archE908ELNS1_3gpuE7ELNS1_3repE0EEENS1_30default_config_static_selectorELNS0_4arch9wavefront6targetE0EEEvS12_.has_recursion, 0
	.set _ZN7rocprim17ROCPRIM_400000_NS6detail17trampoline_kernelINS0_13select_configILj256ELj13ELNS0_17block_load_methodE3ELS4_3ELS4_3ELNS0_20block_scan_algorithmE0ELj4294967295EEENS1_25partition_config_selectorILNS1_17partition_subalgoE4EjNS0_10empty_typeEbEEZZNS1_14partition_implILS8_4ELb0ES6_15HIP_vector_typeIjLj2EENS0_17counting_iteratorIjlEEPS9_SG_NS0_5tupleIJPjSI_NS0_16reverse_iteratorISI_EEEEENSH_IJSG_SG_SG_EEES9_SI_JZNS1_25segmented_radix_sort_implINS0_14default_configELb1EPKiPiPKlPlN2at6native12_GLOBAL__N_18offset_tEEE10hipError_tPvRmT1_PNSt15iterator_traitsIS12_E10value_typeET2_T3_PNS13_IS18_E10value_typeET4_jRbjT5_S1E_jjP12ihipStream_tbEUljE_ZNSN_ISO_Lb1ESQ_SR_ST_SU_SY_EESZ_S10_S11_S12_S16_S17_S18_S1B_S1C_jS1D_jS1E_S1E_jjS1G_bEUljE0_EEESZ_S10_S11_S18_S1C_S1E_T6_T7_T9_mT8_S1G_bDpT10_ENKUlT_T0_E_clISt17integral_constantIbLb1EES1U_EEDaS1P_S1Q_EUlS1P_E_NS1_11comp_targetILNS1_3genE3ELNS1_11target_archE908ELNS1_3gpuE7ELNS1_3repE0EEENS1_30default_config_static_selectorELNS0_4arch9wavefront6targetE0EEEvS12_.has_indirect_call, 0
	.section	.AMDGPU.csdata,"",@progbits
; Kernel info:
; codeLenInByte = 0
; TotalNumSgprs: 0
; NumVgprs: 0
; ScratchSize: 0
; MemoryBound: 0
; FloatMode: 240
; IeeeMode: 1
; LDSByteSize: 0 bytes/workgroup (compile time only)
; SGPRBlocks: 0
; VGPRBlocks: 0
; NumSGPRsForWavesPerEU: 1
; NumVGPRsForWavesPerEU: 1
; NamedBarCnt: 0
; Occupancy: 16
; WaveLimiterHint : 0
; COMPUTE_PGM_RSRC2:SCRATCH_EN: 0
; COMPUTE_PGM_RSRC2:USER_SGPR: 2
; COMPUTE_PGM_RSRC2:TRAP_HANDLER: 0
; COMPUTE_PGM_RSRC2:TGID_X_EN: 1
; COMPUTE_PGM_RSRC2:TGID_Y_EN: 0
; COMPUTE_PGM_RSRC2:TGID_Z_EN: 0
; COMPUTE_PGM_RSRC2:TIDIG_COMP_CNT: 0
	.section	.text._ZN7rocprim17ROCPRIM_400000_NS6detail17trampoline_kernelINS0_13select_configILj256ELj13ELNS0_17block_load_methodE3ELS4_3ELS4_3ELNS0_20block_scan_algorithmE0ELj4294967295EEENS1_25partition_config_selectorILNS1_17partition_subalgoE4EjNS0_10empty_typeEbEEZZNS1_14partition_implILS8_4ELb0ES6_15HIP_vector_typeIjLj2EENS0_17counting_iteratorIjlEEPS9_SG_NS0_5tupleIJPjSI_NS0_16reverse_iteratorISI_EEEEENSH_IJSG_SG_SG_EEES9_SI_JZNS1_25segmented_radix_sort_implINS0_14default_configELb1EPKiPiPKlPlN2at6native12_GLOBAL__N_18offset_tEEE10hipError_tPvRmT1_PNSt15iterator_traitsIS12_E10value_typeET2_T3_PNS13_IS18_E10value_typeET4_jRbjT5_S1E_jjP12ihipStream_tbEUljE_ZNSN_ISO_Lb1ESQ_SR_ST_SU_SY_EESZ_S10_S11_S12_S16_S17_S18_S1B_S1C_jS1D_jS1E_S1E_jjS1G_bEUljE0_EEESZ_S10_S11_S18_S1C_S1E_T6_T7_T9_mT8_S1G_bDpT10_ENKUlT_T0_E_clISt17integral_constantIbLb1EES1U_EEDaS1P_S1Q_EUlS1P_E_NS1_11comp_targetILNS1_3genE2ELNS1_11target_archE906ELNS1_3gpuE6ELNS1_3repE0EEENS1_30default_config_static_selectorELNS0_4arch9wavefront6targetE0EEEvS12_,"axG",@progbits,_ZN7rocprim17ROCPRIM_400000_NS6detail17trampoline_kernelINS0_13select_configILj256ELj13ELNS0_17block_load_methodE3ELS4_3ELS4_3ELNS0_20block_scan_algorithmE0ELj4294967295EEENS1_25partition_config_selectorILNS1_17partition_subalgoE4EjNS0_10empty_typeEbEEZZNS1_14partition_implILS8_4ELb0ES6_15HIP_vector_typeIjLj2EENS0_17counting_iteratorIjlEEPS9_SG_NS0_5tupleIJPjSI_NS0_16reverse_iteratorISI_EEEEENSH_IJSG_SG_SG_EEES9_SI_JZNS1_25segmented_radix_sort_implINS0_14default_configELb1EPKiPiPKlPlN2at6native12_GLOBAL__N_18offset_tEEE10hipError_tPvRmT1_PNSt15iterator_traitsIS12_E10value_typeET2_T3_PNS13_IS18_E10value_typeET4_jRbjT5_S1E_jjP12ihipStream_tbEUljE_ZNSN_ISO_Lb1ESQ_SR_ST_SU_SY_EESZ_S10_S11_S12_S16_S17_S18_S1B_S1C_jS1D_jS1E_S1E_jjS1G_bEUljE0_EEESZ_S10_S11_S18_S1C_S1E_T6_T7_T9_mT8_S1G_bDpT10_ENKUlT_T0_E_clISt17integral_constantIbLb1EES1U_EEDaS1P_S1Q_EUlS1P_E_NS1_11comp_targetILNS1_3genE2ELNS1_11target_archE906ELNS1_3gpuE6ELNS1_3repE0EEENS1_30default_config_static_selectorELNS0_4arch9wavefront6targetE0EEEvS12_,comdat
	.globl	_ZN7rocprim17ROCPRIM_400000_NS6detail17trampoline_kernelINS0_13select_configILj256ELj13ELNS0_17block_load_methodE3ELS4_3ELS4_3ELNS0_20block_scan_algorithmE0ELj4294967295EEENS1_25partition_config_selectorILNS1_17partition_subalgoE4EjNS0_10empty_typeEbEEZZNS1_14partition_implILS8_4ELb0ES6_15HIP_vector_typeIjLj2EENS0_17counting_iteratorIjlEEPS9_SG_NS0_5tupleIJPjSI_NS0_16reverse_iteratorISI_EEEEENSH_IJSG_SG_SG_EEES9_SI_JZNS1_25segmented_radix_sort_implINS0_14default_configELb1EPKiPiPKlPlN2at6native12_GLOBAL__N_18offset_tEEE10hipError_tPvRmT1_PNSt15iterator_traitsIS12_E10value_typeET2_T3_PNS13_IS18_E10value_typeET4_jRbjT5_S1E_jjP12ihipStream_tbEUljE_ZNSN_ISO_Lb1ESQ_SR_ST_SU_SY_EESZ_S10_S11_S12_S16_S17_S18_S1B_S1C_jS1D_jS1E_S1E_jjS1G_bEUljE0_EEESZ_S10_S11_S18_S1C_S1E_T6_T7_T9_mT8_S1G_bDpT10_ENKUlT_T0_E_clISt17integral_constantIbLb1EES1U_EEDaS1P_S1Q_EUlS1P_E_NS1_11comp_targetILNS1_3genE2ELNS1_11target_archE906ELNS1_3gpuE6ELNS1_3repE0EEENS1_30default_config_static_selectorELNS0_4arch9wavefront6targetE0EEEvS12_ ; -- Begin function _ZN7rocprim17ROCPRIM_400000_NS6detail17trampoline_kernelINS0_13select_configILj256ELj13ELNS0_17block_load_methodE3ELS4_3ELS4_3ELNS0_20block_scan_algorithmE0ELj4294967295EEENS1_25partition_config_selectorILNS1_17partition_subalgoE4EjNS0_10empty_typeEbEEZZNS1_14partition_implILS8_4ELb0ES6_15HIP_vector_typeIjLj2EENS0_17counting_iteratorIjlEEPS9_SG_NS0_5tupleIJPjSI_NS0_16reverse_iteratorISI_EEEEENSH_IJSG_SG_SG_EEES9_SI_JZNS1_25segmented_radix_sort_implINS0_14default_configELb1EPKiPiPKlPlN2at6native12_GLOBAL__N_18offset_tEEE10hipError_tPvRmT1_PNSt15iterator_traitsIS12_E10value_typeET2_T3_PNS13_IS18_E10value_typeET4_jRbjT5_S1E_jjP12ihipStream_tbEUljE_ZNSN_ISO_Lb1ESQ_SR_ST_SU_SY_EESZ_S10_S11_S12_S16_S17_S18_S1B_S1C_jS1D_jS1E_S1E_jjS1G_bEUljE0_EEESZ_S10_S11_S18_S1C_S1E_T6_T7_T9_mT8_S1G_bDpT10_ENKUlT_T0_E_clISt17integral_constantIbLb1EES1U_EEDaS1P_S1Q_EUlS1P_E_NS1_11comp_targetILNS1_3genE2ELNS1_11target_archE906ELNS1_3gpuE6ELNS1_3repE0EEENS1_30default_config_static_selectorELNS0_4arch9wavefront6targetE0EEEvS12_
	.p2align	8
	.type	_ZN7rocprim17ROCPRIM_400000_NS6detail17trampoline_kernelINS0_13select_configILj256ELj13ELNS0_17block_load_methodE3ELS4_3ELS4_3ELNS0_20block_scan_algorithmE0ELj4294967295EEENS1_25partition_config_selectorILNS1_17partition_subalgoE4EjNS0_10empty_typeEbEEZZNS1_14partition_implILS8_4ELb0ES6_15HIP_vector_typeIjLj2EENS0_17counting_iteratorIjlEEPS9_SG_NS0_5tupleIJPjSI_NS0_16reverse_iteratorISI_EEEEENSH_IJSG_SG_SG_EEES9_SI_JZNS1_25segmented_radix_sort_implINS0_14default_configELb1EPKiPiPKlPlN2at6native12_GLOBAL__N_18offset_tEEE10hipError_tPvRmT1_PNSt15iterator_traitsIS12_E10value_typeET2_T3_PNS13_IS18_E10value_typeET4_jRbjT5_S1E_jjP12ihipStream_tbEUljE_ZNSN_ISO_Lb1ESQ_SR_ST_SU_SY_EESZ_S10_S11_S12_S16_S17_S18_S1B_S1C_jS1D_jS1E_S1E_jjS1G_bEUljE0_EEESZ_S10_S11_S18_S1C_S1E_T6_T7_T9_mT8_S1G_bDpT10_ENKUlT_T0_E_clISt17integral_constantIbLb1EES1U_EEDaS1P_S1Q_EUlS1P_E_NS1_11comp_targetILNS1_3genE2ELNS1_11target_archE906ELNS1_3gpuE6ELNS1_3repE0EEENS1_30default_config_static_selectorELNS0_4arch9wavefront6targetE0EEEvS12_,@function
_ZN7rocprim17ROCPRIM_400000_NS6detail17trampoline_kernelINS0_13select_configILj256ELj13ELNS0_17block_load_methodE3ELS4_3ELS4_3ELNS0_20block_scan_algorithmE0ELj4294967295EEENS1_25partition_config_selectorILNS1_17partition_subalgoE4EjNS0_10empty_typeEbEEZZNS1_14partition_implILS8_4ELb0ES6_15HIP_vector_typeIjLj2EENS0_17counting_iteratorIjlEEPS9_SG_NS0_5tupleIJPjSI_NS0_16reverse_iteratorISI_EEEEENSH_IJSG_SG_SG_EEES9_SI_JZNS1_25segmented_radix_sort_implINS0_14default_configELb1EPKiPiPKlPlN2at6native12_GLOBAL__N_18offset_tEEE10hipError_tPvRmT1_PNSt15iterator_traitsIS12_E10value_typeET2_T3_PNS13_IS18_E10value_typeET4_jRbjT5_S1E_jjP12ihipStream_tbEUljE_ZNSN_ISO_Lb1ESQ_SR_ST_SU_SY_EESZ_S10_S11_S12_S16_S17_S18_S1B_S1C_jS1D_jS1E_S1E_jjS1G_bEUljE0_EEESZ_S10_S11_S18_S1C_S1E_T6_T7_T9_mT8_S1G_bDpT10_ENKUlT_T0_E_clISt17integral_constantIbLb1EES1U_EEDaS1P_S1Q_EUlS1P_E_NS1_11comp_targetILNS1_3genE2ELNS1_11target_archE906ELNS1_3gpuE6ELNS1_3repE0EEENS1_30default_config_static_selectorELNS0_4arch9wavefront6targetE0EEEvS12_: ; @_ZN7rocprim17ROCPRIM_400000_NS6detail17trampoline_kernelINS0_13select_configILj256ELj13ELNS0_17block_load_methodE3ELS4_3ELS4_3ELNS0_20block_scan_algorithmE0ELj4294967295EEENS1_25partition_config_selectorILNS1_17partition_subalgoE4EjNS0_10empty_typeEbEEZZNS1_14partition_implILS8_4ELb0ES6_15HIP_vector_typeIjLj2EENS0_17counting_iteratorIjlEEPS9_SG_NS0_5tupleIJPjSI_NS0_16reverse_iteratorISI_EEEEENSH_IJSG_SG_SG_EEES9_SI_JZNS1_25segmented_radix_sort_implINS0_14default_configELb1EPKiPiPKlPlN2at6native12_GLOBAL__N_18offset_tEEE10hipError_tPvRmT1_PNSt15iterator_traitsIS12_E10value_typeET2_T3_PNS13_IS18_E10value_typeET4_jRbjT5_S1E_jjP12ihipStream_tbEUljE_ZNSN_ISO_Lb1ESQ_SR_ST_SU_SY_EESZ_S10_S11_S12_S16_S17_S18_S1B_S1C_jS1D_jS1E_S1E_jjS1G_bEUljE0_EEESZ_S10_S11_S18_S1C_S1E_T6_T7_T9_mT8_S1G_bDpT10_ENKUlT_T0_E_clISt17integral_constantIbLb1EES1U_EEDaS1P_S1Q_EUlS1P_E_NS1_11comp_targetILNS1_3genE2ELNS1_11target_archE906ELNS1_3gpuE6ELNS1_3repE0EEENS1_30default_config_static_selectorELNS0_4arch9wavefront6targetE0EEEvS12_
; %bb.0:
	.section	.rodata,"a",@progbits
	.p2align	6, 0x0
	.amdhsa_kernel _ZN7rocprim17ROCPRIM_400000_NS6detail17trampoline_kernelINS0_13select_configILj256ELj13ELNS0_17block_load_methodE3ELS4_3ELS4_3ELNS0_20block_scan_algorithmE0ELj4294967295EEENS1_25partition_config_selectorILNS1_17partition_subalgoE4EjNS0_10empty_typeEbEEZZNS1_14partition_implILS8_4ELb0ES6_15HIP_vector_typeIjLj2EENS0_17counting_iteratorIjlEEPS9_SG_NS0_5tupleIJPjSI_NS0_16reverse_iteratorISI_EEEEENSH_IJSG_SG_SG_EEES9_SI_JZNS1_25segmented_radix_sort_implINS0_14default_configELb1EPKiPiPKlPlN2at6native12_GLOBAL__N_18offset_tEEE10hipError_tPvRmT1_PNSt15iterator_traitsIS12_E10value_typeET2_T3_PNS13_IS18_E10value_typeET4_jRbjT5_S1E_jjP12ihipStream_tbEUljE_ZNSN_ISO_Lb1ESQ_SR_ST_SU_SY_EESZ_S10_S11_S12_S16_S17_S18_S1B_S1C_jS1D_jS1E_S1E_jjS1G_bEUljE0_EEESZ_S10_S11_S18_S1C_S1E_T6_T7_T9_mT8_S1G_bDpT10_ENKUlT_T0_E_clISt17integral_constantIbLb1EES1U_EEDaS1P_S1Q_EUlS1P_E_NS1_11comp_targetILNS1_3genE2ELNS1_11target_archE906ELNS1_3gpuE6ELNS1_3repE0EEENS1_30default_config_static_selectorELNS0_4arch9wavefront6targetE0EEEvS12_
		.amdhsa_group_segment_fixed_size 0
		.amdhsa_private_segment_fixed_size 0
		.amdhsa_kernarg_size 184
		.amdhsa_user_sgpr_count 2
		.amdhsa_user_sgpr_dispatch_ptr 0
		.amdhsa_user_sgpr_queue_ptr 0
		.amdhsa_user_sgpr_kernarg_segment_ptr 1
		.amdhsa_user_sgpr_dispatch_id 0
		.amdhsa_user_sgpr_kernarg_preload_length 0
		.amdhsa_user_sgpr_kernarg_preload_offset 0
		.amdhsa_user_sgpr_private_segment_size 0
		.amdhsa_wavefront_size32 1
		.amdhsa_uses_dynamic_stack 0
		.amdhsa_enable_private_segment 0
		.amdhsa_system_sgpr_workgroup_id_x 1
		.amdhsa_system_sgpr_workgroup_id_y 0
		.amdhsa_system_sgpr_workgroup_id_z 0
		.amdhsa_system_sgpr_workgroup_info 0
		.amdhsa_system_vgpr_workitem_id 0
		.amdhsa_next_free_vgpr 1
		.amdhsa_next_free_sgpr 1
		.amdhsa_named_barrier_count 0
		.amdhsa_reserve_vcc 0
		.amdhsa_float_round_mode_32 0
		.amdhsa_float_round_mode_16_64 0
		.amdhsa_float_denorm_mode_32 3
		.amdhsa_float_denorm_mode_16_64 3
		.amdhsa_fp16_overflow 0
		.amdhsa_memory_ordered 1
		.amdhsa_forward_progress 1
		.amdhsa_inst_pref_size 0
		.amdhsa_round_robin_scheduling 0
		.amdhsa_exception_fp_ieee_invalid_op 0
		.amdhsa_exception_fp_denorm_src 0
		.amdhsa_exception_fp_ieee_div_zero 0
		.amdhsa_exception_fp_ieee_overflow 0
		.amdhsa_exception_fp_ieee_underflow 0
		.amdhsa_exception_fp_ieee_inexact 0
		.amdhsa_exception_int_div_zero 0
	.end_amdhsa_kernel
	.section	.text._ZN7rocprim17ROCPRIM_400000_NS6detail17trampoline_kernelINS0_13select_configILj256ELj13ELNS0_17block_load_methodE3ELS4_3ELS4_3ELNS0_20block_scan_algorithmE0ELj4294967295EEENS1_25partition_config_selectorILNS1_17partition_subalgoE4EjNS0_10empty_typeEbEEZZNS1_14partition_implILS8_4ELb0ES6_15HIP_vector_typeIjLj2EENS0_17counting_iteratorIjlEEPS9_SG_NS0_5tupleIJPjSI_NS0_16reverse_iteratorISI_EEEEENSH_IJSG_SG_SG_EEES9_SI_JZNS1_25segmented_radix_sort_implINS0_14default_configELb1EPKiPiPKlPlN2at6native12_GLOBAL__N_18offset_tEEE10hipError_tPvRmT1_PNSt15iterator_traitsIS12_E10value_typeET2_T3_PNS13_IS18_E10value_typeET4_jRbjT5_S1E_jjP12ihipStream_tbEUljE_ZNSN_ISO_Lb1ESQ_SR_ST_SU_SY_EESZ_S10_S11_S12_S16_S17_S18_S1B_S1C_jS1D_jS1E_S1E_jjS1G_bEUljE0_EEESZ_S10_S11_S18_S1C_S1E_T6_T7_T9_mT8_S1G_bDpT10_ENKUlT_T0_E_clISt17integral_constantIbLb1EES1U_EEDaS1P_S1Q_EUlS1P_E_NS1_11comp_targetILNS1_3genE2ELNS1_11target_archE906ELNS1_3gpuE6ELNS1_3repE0EEENS1_30default_config_static_selectorELNS0_4arch9wavefront6targetE0EEEvS12_,"axG",@progbits,_ZN7rocprim17ROCPRIM_400000_NS6detail17trampoline_kernelINS0_13select_configILj256ELj13ELNS0_17block_load_methodE3ELS4_3ELS4_3ELNS0_20block_scan_algorithmE0ELj4294967295EEENS1_25partition_config_selectorILNS1_17partition_subalgoE4EjNS0_10empty_typeEbEEZZNS1_14partition_implILS8_4ELb0ES6_15HIP_vector_typeIjLj2EENS0_17counting_iteratorIjlEEPS9_SG_NS0_5tupleIJPjSI_NS0_16reverse_iteratorISI_EEEEENSH_IJSG_SG_SG_EEES9_SI_JZNS1_25segmented_radix_sort_implINS0_14default_configELb1EPKiPiPKlPlN2at6native12_GLOBAL__N_18offset_tEEE10hipError_tPvRmT1_PNSt15iterator_traitsIS12_E10value_typeET2_T3_PNS13_IS18_E10value_typeET4_jRbjT5_S1E_jjP12ihipStream_tbEUljE_ZNSN_ISO_Lb1ESQ_SR_ST_SU_SY_EESZ_S10_S11_S12_S16_S17_S18_S1B_S1C_jS1D_jS1E_S1E_jjS1G_bEUljE0_EEESZ_S10_S11_S18_S1C_S1E_T6_T7_T9_mT8_S1G_bDpT10_ENKUlT_T0_E_clISt17integral_constantIbLb1EES1U_EEDaS1P_S1Q_EUlS1P_E_NS1_11comp_targetILNS1_3genE2ELNS1_11target_archE906ELNS1_3gpuE6ELNS1_3repE0EEENS1_30default_config_static_selectorELNS0_4arch9wavefront6targetE0EEEvS12_,comdat
.Lfunc_end441:
	.size	_ZN7rocprim17ROCPRIM_400000_NS6detail17trampoline_kernelINS0_13select_configILj256ELj13ELNS0_17block_load_methodE3ELS4_3ELS4_3ELNS0_20block_scan_algorithmE0ELj4294967295EEENS1_25partition_config_selectorILNS1_17partition_subalgoE4EjNS0_10empty_typeEbEEZZNS1_14partition_implILS8_4ELb0ES6_15HIP_vector_typeIjLj2EENS0_17counting_iteratorIjlEEPS9_SG_NS0_5tupleIJPjSI_NS0_16reverse_iteratorISI_EEEEENSH_IJSG_SG_SG_EEES9_SI_JZNS1_25segmented_radix_sort_implINS0_14default_configELb1EPKiPiPKlPlN2at6native12_GLOBAL__N_18offset_tEEE10hipError_tPvRmT1_PNSt15iterator_traitsIS12_E10value_typeET2_T3_PNS13_IS18_E10value_typeET4_jRbjT5_S1E_jjP12ihipStream_tbEUljE_ZNSN_ISO_Lb1ESQ_SR_ST_SU_SY_EESZ_S10_S11_S12_S16_S17_S18_S1B_S1C_jS1D_jS1E_S1E_jjS1G_bEUljE0_EEESZ_S10_S11_S18_S1C_S1E_T6_T7_T9_mT8_S1G_bDpT10_ENKUlT_T0_E_clISt17integral_constantIbLb1EES1U_EEDaS1P_S1Q_EUlS1P_E_NS1_11comp_targetILNS1_3genE2ELNS1_11target_archE906ELNS1_3gpuE6ELNS1_3repE0EEENS1_30default_config_static_selectorELNS0_4arch9wavefront6targetE0EEEvS12_, .Lfunc_end441-_ZN7rocprim17ROCPRIM_400000_NS6detail17trampoline_kernelINS0_13select_configILj256ELj13ELNS0_17block_load_methodE3ELS4_3ELS4_3ELNS0_20block_scan_algorithmE0ELj4294967295EEENS1_25partition_config_selectorILNS1_17partition_subalgoE4EjNS0_10empty_typeEbEEZZNS1_14partition_implILS8_4ELb0ES6_15HIP_vector_typeIjLj2EENS0_17counting_iteratorIjlEEPS9_SG_NS0_5tupleIJPjSI_NS0_16reverse_iteratorISI_EEEEENSH_IJSG_SG_SG_EEES9_SI_JZNS1_25segmented_radix_sort_implINS0_14default_configELb1EPKiPiPKlPlN2at6native12_GLOBAL__N_18offset_tEEE10hipError_tPvRmT1_PNSt15iterator_traitsIS12_E10value_typeET2_T3_PNS13_IS18_E10value_typeET4_jRbjT5_S1E_jjP12ihipStream_tbEUljE_ZNSN_ISO_Lb1ESQ_SR_ST_SU_SY_EESZ_S10_S11_S12_S16_S17_S18_S1B_S1C_jS1D_jS1E_S1E_jjS1G_bEUljE0_EEESZ_S10_S11_S18_S1C_S1E_T6_T7_T9_mT8_S1G_bDpT10_ENKUlT_T0_E_clISt17integral_constantIbLb1EES1U_EEDaS1P_S1Q_EUlS1P_E_NS1_11comp_targetILNS1_3genE2ELNS1_11target_archE906ELNS1_3gpuE6ELNS1_3repE0EEENS1_30default_config_static_selectorELNS0_4arch9wavefront6targetE0EEEvS12_
                                        ; -- End function
	.set _ZN7rocprim17ROCPRIM_400000_NS6detail17trampoline_kernelINS0_13select_configILj256ELj13ELNS0_17block_load_methodE3ELS4_3ELS4_3ELNS0_20block_scan_algorithmE0ELj4294967295EEENS1_25partition_config_selectorILNS1_17partition_subalgoE4EjNS0_10empty_typeEbEEZZNS1_14partition_implILS8_4ELb0ES6_15HIP_vector_typeIjLj2EENS0_17counting_iteratorIjlEEPS9_SG_NS0_5tupleIJPjSI_NS0_16reverse_iteratorISI_EEEEENSH_IJSG_SG_SG_EEES9_SI_JZNS1_25segmented_radix_sort_implINS0_14default_configELb1EPKiPiPKlPlN2at6native12_GLOBAL__N_18offset_tEEE10hipError_tPvRmT1_PNSt15iterator_traitsIS12_E10value_typeET2_T3_PNS13_IS18_E10value_typeET4_jRbjT5_S1E_jjP12ihipStream_tbEUljE_ZNSN_ISO_Lb1ESQ_SR_ST_SU_SY_EESZ_S10_S11_S12_S16_S17_S18_S1B_S1C_jS1D_jS1E_S1E_jjS1G_bEUljE0_EEESZ_S10_S11_S18_S1C_S1E_T6_T7_T9_mT8_S1G_bDpT10_ENKUlT_T0_E_clISt17integral_constantIbLb1EES1U_EEDaS1P_S1Q_EUlS1P_E_NS1_11comp_targetILNS1_3genE2ELNS1_11target_archE906ELNS1_3gpuE6ELNS1_3repE0EEENS1_30default_config_static_selectorELNS0_4arch9wavefront6targetE0EEEvS12_.num_vgpr, 0
	.set _ZN7rocprim17ROCPRIM_400000_NS6detail17trampoline_kernelINS0_13select_configILj256ELj13ELNS0_17block_load_methodE3ELS4_3ELS4_3ELNS0_20block_scan_algorithmE0ELj4294967295EEENS1_25partition_config_selectorILNS1_17partition_subalgoE4EjNS0_10empty_typeEbEEZZNS1_14partition_implILS8_4ELb0ES6_15HIP_vector_typeIjLj2EENS0_17counting_iteratorIjlEEPS9_SG_NS0_5tupleIJPjSI_NS0_16reverse_iteratorISI_EEEEENSH_IJSG_SG_SG_EEES9_SI_JZNS1_25segmented_radix_sort_implINS0_14default_configELb1EPKiPiPKlPlN2at6native12_GLOBAL__N_18offset_tEEE10hipError_tPvRmT1_PNSt15iterator_traitsIS12_E10value_typeET2_T3_PNS13_IS18_E10value_typeET4_jRbjT5_S1E_jjP12ihipStream_tbEUljE_ZNSN_ISO_Lb1ESQ_SR_ST_SU_SY_EESZ_S10_S11_S12_S16_S17_S18_S1B_S1C_jS1D_jS1E_S1E_jjS1G_bEUljE0_EEESZ_S10_S11_S18_S1C_S1E_T6_T7_T9_mT8_S1G_bDpT10_ENKUlT_T0_E_clISt17integral_constantIbLb1EES1U_EEDaS1P_S1Q_EUlS1P_E_NS1_11comp_targetILNS1_3genE2ELNS1_11target_archE906ELNS1_3gpuE6ELNS1_3repE0EEENS1_30default_config_static_selectorELNS0_4arch9wavefront6targetE0EEEvS12_.num_agpr, 0
	.set _ZN7rocprim17ROCPRIM_400000_NS6detail17trampoline_kernelINS0_13select_configILj256ELj13ELNS0_17block_load_methodE3ELS4_3ELS4_3ELNS0_20block_scan_algorithmE0ELj4294967295EEENS1_25partition_config_selectorILNS1_17partition_subalgoE4EjNS0_10empty_typeEbEEZZNS1_14partition_implILS8_4ELb0ES6_15HIP_vector_typeIjLj2EENS0_17counting_iteratorIjlEEPS9_SG_NS0_5tupleIJPjSI_NS0_16reverse_iteratorISI_EEEEENSH_IJSG_SG_SG_EEES9_SI_JZNS1_25segmented_radix_sort_implINS0_14default_configELb1EPKiPiPKlPlN2at6native12_GLOBAL__N_18offset_tEEE10hipError_tPvRmT1_PNSt15iterator_traitsIS12_E10value_typeET2_T3_PNS13_IS18_E10value_typeET4_jRbjT5_S1E_jjP12ihipStream_tbEUljE_ZNSN_ISO_Lb1ESQ_SR_ST_SU_SY_EESZ_S10_S11_S12_S16_S17_S18_S1B_S1C_jS1D_jS1E_S1E_jjS1G_bEUljE0_EEESZ_S10_S11_S18_S1C_S1E_T6_T7_T9_mT8_S1G_bDpT10_ENKUlT_T0_E_clISt17integral_constantIbLb1EES1U_EEDaS1P_S1Q_EUlS1P_E_NS1_11comp_targetILNS1_3genE2ELNS1_11target_archE906ELNS1_3gpuE6ELNS1_3repE0EEENS1_30default_config_static_selectorELNS0_4arch9wavefront6targetE0EEEvS12_.numbered_sgpr, 0
	.set _ZN7rocprim17ROCPRIM_400000_NS6detail17trampoline_kernelINS0_13select_configILj256ELj13ELNS0_17block_load_methodE3ELS4_3ELS4_3ELNS0_20block_scan_algorithmE0ELj4294967295EEENS1_25partition_config_selectorILNS1_17partition_subalgoE4EjNS0_10empty_typeEbEEZZNS1_14partition_implILS8_4ELb0ES6_15HIP_vector_typeIjLj2EENS0_17counting_iteratorIjlEEPS9_SG_NS0_5tupleIJPjSI_NS0_16reverse_iteratorISI_EEEEENSH_IJSG_SG_SG_EEES9_SI_JZNS1_25segmented_radix_sort_implINS0_14default_configELb1EPKiPiPKlPlN2at6native12_GLOBAL__N_18offset_tEEE10hipError_tPvRmT1_PNSt15iterator_traitsIS12_E10value_typeET2_T3_PNS13_IS18_E10value_typeET4_jRbjT5_S1E_jjP12ihipStream_tbEUljE_ZNSN_ISO_Lb1ESQ_SR_ST_SU_SY_EESZ_S10_S11_S12_S16_S17_S18_S1B_S1C_jS1D_jS1E_S1E_jjS1G_bEUljE0_EEESZ_S10_S11_S18_S1C_S1E_T6_T7_T9_mT8_S1G_bDpT10_ENKUlT_T0_E_clISt17integral_constantIbLb1EES1U_EEDaS1P_S1Q_EUlS1P_E_NS1_11comp_targetILNS1_3genE2ELNS1_11target_archE906ELNS1_3gpuE6ELNS1_3repE0EEENS1_30default_config_static_selectorELNS0_4arch9wavefront6targetE0EEEvS12_.num_named_barrier, 0
	.set _ZN7rocprim17ROCPRIM_400000_NS6detail17trampoline_kernelINS0_13select_configILj256ELj13ELNS0_17block_load_methodE3ELS4_3ELS4_3ELNS0_20block_scan_algorithmE0ELj4294967295EEENS1_25partition_config_selectorILNS1_17partition_subalgoE4EjNS0_10empty_typeEbEEZZNS1_14partition_implILS8_4ELb0ES6_15HIP_vector_typeIjLj2EENS0_17counting_iteratorIjlEEPS9_SG_NS0_5tupleIJPjSI_NS0_16reverse_iteratorISI_EEEEENSH_IJSG_SG_SG_EEES9_SI_JZNS1_25segmented_radix_sort_implINS0_14default_configELb1EPKiPiPKlPlN2at6native12_GLOBAL__N_18offset_tEEE10hipError_tPvRmT1_PNSt15iterator_traitsIS12_E10value_typeET2_T3_PNS13_IS18_E10value_typeET4_jRbjT5_S1E_jjP12ihipStream_tbEUljE_ZNSN_ISO_Lb1ESQ_SR_ST_SU_SY_EESZ_S10_S11_S12_S16_S17_S18_S1B_S1C_jS1D_jS1E_S1E_jjS1G_bEUljE0_EEESZ_S10_S11_S18_S1C_S1E_T6_T7_T9_mT8_S1G_bDpT10_ENKUlT_T0_E_clISt17integral_constantIbLb1EES1U_EEDaS1P_S1Q_EUlS1P_E_NS1_11comp_targetILNS1_3genE2ELNS1_11target_archE906ELNS1_3gpuE6ELNS1_3repE0EEENS1_30default_config_static_selectorELNS0_4arch9wavefront6targetE0EEEvS12_.private_seg_size, 0
	.set _ZN7rocprim17ROCPRIM_400000_NS6detail17trampoline_kernelINS0_13select_configILj256ELj13ELNS0_17block_load_methodE3ELS4_3ELS4_3ELNS0_20block_scan_algorithmE0ELj4294967295EEENS1_25partition_config_selectorILNS1_17partition_subalgoE4EjNS0_10empty_typeEbEEZZNS1_14partition_implILS8_4ELb0ES6_15HIP_vector_typeIjLj2EENS0_17counting_iteratorIjlEEPS9_SG_NS0_5tupleIJPjSI_NS0_16reverse_iteratorISI_EEEEENSH_IJSG_SG_SG_EEES9_SI_JZNS1_25segmented_radix_sort_implINS0_14default_configELb1EPKiPiPKlPlN2at6native12_GLOBAL__N_18offset_tEEE10hipError_tPvRmT1_PNSt15iterator_traitsIS12_E10value_typeET2_T3_PNS13_IS18_E10value_typeET4_jRbjT5_S1E_jjP12ihipStream_tbEUljE_ZNSN_ISO_Lb1ESQ_SR_ST_SU_SY_EESZ_S10_S11_S12_S16_S17_S18_S1B_S1C_jS1D_jS1E_S1E_jjS1G_bEUljE0_EEESZ_S10_S11_S18_S1C_S1E_T6_T7_T9_mT8_S1G_bDpT10_ENKUlT_T0_E_clISt17integral_constantIbLb1EES1U_EEDaS1P_S1Q_EUlS1P_E_NS1_11comp_targetILNS1_3genE2ELNS1_11target_archE906ELNS1_3gpuE6ELNS1_3repE0EEENS1_30default_config_static_selectorELNS0_4arch9wavefront6targetE0EEEvS12_.uses_vcc, 0
	.set _ZN7rocprim17ROCPRIM_400000_NS6detail17trampoline_kernelINS0_13select_configILj256ELj13ELNS0_17block_load_methodE3ELS4_3ELS4_3ELNS0_20block_scan_algorithmE0ELj4294967295EEENS1_25partition_config_selectorILNS1_17partition_subalgoE4EjNS0_10empty_typeEbEEZZNS1_14partition_implILS8_4ELb0ES6_15HIP_vector_typeIjLj2EENS0_17counting_iteratorIjlEEPS9_SG_NS0_5tupleIJPjSI_NS0_16reverse_iteratorISI_EEEEENSH_IJSG_SG_SG_EEES9_SI_JZNS1_25segmented_radix_sort_implINS0_14default_configELb1EPKiPiPKlPlN2at6native12_GLOBAL__N_18offset_tEEE10hipError_tPvRmT1_PNSt15iterator_traitsIS12_E10value_typeET2_T3_PNS13_IS18_E10value_typeET4_jRbjT5_S1E_jjP12ihipStream_tbEUljE_ZNSN_ISO_Lb1ESQ_SR_ST_SU_SY_EESZ_S10_S11_S12_S16_S17_S18_S1B_S1C_jS1D_jS1E_S1E_jjS1G_bEUljE0_EEESZ_S10_S11_S18_S1C_S1E_T6_T7_T9_mT8_S1G_bDpT10_ENKUlT_T0_E_clISt17integral_constantIbLb1EES1U_EEDaS1P_S1Q_EUlS1P_E_NS1_11comp_targetILNS1_3genE2ELNS1_11target_archE906ELNS1_3gpuE6ELNS1_3repE0EEENS1_30default_config_static_selectorELNS0_4arch9wavefront6targetE0EEEvS12_.uses_flat_scratch, 0
	.set _ZN7rocprim17ROCPRIM_400000_NS6detail17trampoline_kernelINS0_13select_configILj256ELj13ELNS0_17block_load_methodE3ELS4_3ELS4_3ELNS0_20block_scan_algorithmE0ELj4294967295EEENS1_25partition_config_selectorILNS1_17partition_subalgoE4EjNS0_10empty_typeEbEEZZNS1_14partition_implILS8_4ELb0ES6_15HIP_vector_typeIjLj2EENS0_17counting_iteratorIjlEEPS9_SG_NS0_5tupleIJPjSI_NS0_16reverse_iteratorISI_EEEEENSH_IJSG_SG_SG_EEES9_SI_JZNS1_25segmented_radix_sort_implINS0_14default_configELb1EPKiPiPKlPlN2at6native12_GLOBAL__N_18offset_tEEE10hipError_tPvRmT1_PNSt15iterator_traitsIS12_E10value_typeET2_T3_PNS13_IS18_E10value_typeET4_jRbjT5_S1E_jjP12ihipStream_tbEUljE_ZNSN_ISO_Lb1ESQ_SR_ST_SU_SY_EESZ_S10_S11_S12_S16_S17_S18_S1B_S1C_jS1D_jS1E_S1E_jjS1G_bEUljE0_EEESZ_S10_S11_S18_S1C_S1E_T6_T7_T9_mT8_S1G_bDpT10_ENKUlT_T0_E_clISt17integral_constantIbLb1EES1U_EEDaS1P_S1Q_EUlS1P_E_NS1_11comp_targetILNS1_3genE2ELNS1_11target_archE906ELNS1_3gpuE6ELNS1_3repE0EEENS1_30default_config_static_selectorELNS0_4arch9wavefront6targetE0EEEvS12_.has_dyn_sized_stack, 0
	.set _ZN7rocprim17ROCPRIM_400000_NS6detail17trampoline_kernelINS0_13select_configILj256ELj13ELNS0_17block_load_methodE3ELS4_3ELS4_3ELNS0_20block_scan_algorithmE0ELj4294967295EEENS1_25partition_config_selectorILNS1_17partition_subalgoE4EjNS0_10empty_typeEbEEZZNS1_14partition_implILS8_4ELb0ES6_15HIP_vector_typeIjLj2EENS0_17counting_iteratorIjlEEPS9_SG_NS0_5tupleIJPjSI_NS0_16reverse_iteratorISI_EEEEENSH_IJSG_SG_SG_EEES9_SI_JZNS1_25segmented_radix_sort_implINS0_14default_configELb1EPKiPiPKlPlN2at6native12_GLOBAL__N_18offset_tEEE10hipError_tPvRmT1_PNSt15iterator_traitsIS12_E10value_typeET2_T3_PNS13_IS18_E10value_typeET4_jRbjT5_S1E_jjP12ihipStream_tbEUljE_ZNSN_ISO_Lb1ESQ_SR_ST_SU_SY_EESZ_S10_S11_S12_S16_S17_S18_S1B_S1C_jS1D_jS1E_S1E_jjS1G_bEUljE0_EEESZ_S10_S11_S18_S1C_S1E_T6_T7_T9_mT8_S1G_bDpT10_ENKUlT_T0_E_clISt17integral_constantIbLb1EES1U_EEDaS1P_S1Q_EUlS1P_E_NS1_11comp_targetILNS1_3genE2ELNS1_11target_archE906ELNS1_3gpuE6ELNS1_3repE0EEENS1_30default_config_static_selectorELNS0_4arch9wavefront6targetE0EEEvS12_.has_recursion, 0
	.set _ZN7rocprim17ROCPRIM_400000_NS6detail17trampoline_kernelINS0_13select_configILj256ELj13ELNS0_17block_load_methodE3ELS4_3ELS4_3ELNS0_20block_scan_algorithmE0ELj4294967295EEENS1_25partition_config_selectorILNS1_17partition_subalgoE4EjNS0_10empty_typeEbEEZZNS1_14partition_implILS8_4ELb0ES6_15HIP_vector_typeIjLj2EENS0_17counting_iteratorIjlEEPS9_SG_NS0_5tupleIJPjSI_NS0_16reverse_iteratorISI_EEEEENSH_IJSG_SG_SG_EEES9_SI_JZNS1_25segmented_radix_sort_implINS0_14default_configELb1EPKiPiPKlPlN2at6native12_GLOBAL__N_18offset_tEEE10hipError_tPvRmT1_PNSt15iterator_traitsIS12_E10value_typeET2_T3_PNS13_IS18_E10value_typeET4_jRbjT5_S1E_jjP12ihipStream_tbEUljE_ZNSN_ISO_Lb1ESQ_SR_ST_SU_SY_EESZ_S10_S11_S12_S16_S17_S18_S1B_S1C_jS1D_jS1E_S1E_jjS1G_bEUljE0_EEESZ_S10_S11_S18_S1C_S1E_T6_T7_T9_mT8_S1G_bDpT10_ENKUlT_T0_E_clISt17integral_constantIbLb1EES1U_EEDaS1P_S1Q_EUlS1P_E_NS1_11comp_targetILNS1_3genE2ELNS1_11target_archE906ELNS1_3gpuE6ELNS1_3repE0EEENS1_30default_config_static_selectorELNS0_4arch9wavefront6targetE0EEEvS12_.has_indirect_call, 0
	.section	.AMDGPU.csdata,"",@progbits
; Kernel info:
; codeLenInByte = 0
; TotalNumSgprs: 0
; NumVgprs: 0
; ScratchSize: 0
; MemoryBound: 0
; FloatMode: 240
; IeeeMode: 1
; LDSByteSize: 0 bytes/workgroup (compile time only)
; SGPRBlocks: 0
; VGPRBlocks: 0
; NumSGPRsForWavesPerEU: 1
; NumVGPRsForWavesPerEU: 1
; NamedBarCnt: 0
; Occupancy: 16
; WaveLimiterHint : 0
; COMPUTE_PGM_RSRC2:SCRATCH_EN: 0
; COMPUTE_PGM_RSRC2:USER_SGPR: 2
; COMPUTE_PGM_RSRC2:TRAP_HANDLER: 0
; COMPUTE_PGM_RSRC2:TGID_X_EN: 1
; COMPUTE_PGM_RSRC2:TGID_Y_EN: 0
; COMPUTE_PGM_RSRC2:TGID_Z_EN: 0
; COMPUTE_PGM_RSRC2:TIDIG_COMP_CNT: 0
	.section	.text._ZN7rocprim17ROCPRIM_400000_NS6detail17trampoline_kernelINS0_13select_configILj256ELj13ELNS0_17block_load_methodE3ELS4_3ELS4_3ELNS0_20block_scan_algorithmE0ELj4294967295EEENS1_25partition_config_selectorILNS1_17partition_subalgoE4EjNS0_10empty_typeEbEEZZNS1_14partition_implILS8_4ELb0ES6_15HIP_vector_typeIjLj2EENS0_17counting_iteratorIjlEEPS9_SG_NS0_5tupleIJPjSI_NS0_16reverse_iteratorISI_EEEEENSH_IJSG_SG_SG_EEES9_SI_JZNS1_25segmented_radix_sort_implINS0_14default_configELb1EPKiPiPKlPlN2at6native12_GLOBAL__N_18offset_tEEE10hipError_tPvRmT1_PNSt15iterator_traitsIS12_E10value_typeET2_T3_PNS13_IS18_E10value_typeET4_jRbjT5_S1E_jjP12ihipStream_tbEUljE_ZNSN_ISO_Lb1ESQ_SR_ST_SU_SY_EESZ_S10_S11_S12_S16_S17_S18_S1B_S1C_jS1D_jS1E_S1E_jjS1G_bEUljE0_EEESZ_S10_S11_S18_S1C_S1E_T6_T7_T9_mT8_S1G_bDpT10_ENKUlT_T0_E_clISt17integral_constantIbLb1EES1U_EEDaS1P_S1Q_EUlS1P_E_NS1_11comp_targetILNS1_3genE10ELNS1_11target_archE1200ELNS1_3gpuE4ELNS1_3repE0EEENS1_30default_config_static_selectorELNS0_4arch9wavefront6targetE0EEEvS12_,"axG",@progbits,_ZN7rocprim17ROCPRIM_400000_NS6detail17trampoline_kernelINS0_13select_configILj256ELj13ELNS0_17block_load_methodE3ELS4_3ELS4_3ELNS0_20block_scan_algorithmE0ELj4294967295EEENS1_25partition_config_selectorILNS1_17partition_subalgoE4EjNS0_10empty_typeEbEEZZNS1_14partition_implILS8_4ELb0ES6_15HIP_vector_typeIjLj2EENS0_17counting_iteratorIjlEEPS9_SG_NS0_5tupleIJPjSI_NS0_16reverse_iteratorISI_EEEEENSH_IJSG_SG_SG_EEES9_SI_JZNS1_25segmented_radix_sort_implINS0_14default_configELb1EPKiPiPKlPlN2at6native12_GLOBAL__N_18offset_tEEE10hipError_tPvRmT1_PNSt15iterator_traitsIS12_E10value_typeET2_T3_PNS13_IS18_E10value_typeET4_jRbjT5_S1E_jjP12ihipStream_tbEUljE_ZNSN_ISO_Lb1ESQ_SR_ST_SU_SY_EESZ_S10_S11_S12_S16_S17_S18_S1B_S1C_jS1D_jS1E_S1E_jjS1G_bEUljE0_EEESZ_S10_S11_S18_S1C_S1E_T6_T7_T9_mT8_S1G_bDpT10_ENKUlT_T0_E_clISt17integral_constantIbLb1EES1U_EEDaS1P_S1Q_EUlS1P_E_NS1_11comp_targetILNS1_3genE10ELNS1_11target_archE1200ELNS1_3gpuE4ELNS1_3repE0EEENS1_30default_config_static_selectorELNS0_4arch9wavefront6targetE0EEEvS12_,comdat
	.globl	_ZN7rocprim17ROCPRIM_400000_NS6detail17trampoline_kernelINS0_13select_configILj256ELj13ELNS0_17block_load_methodE3ELS4_3ELS4_3ELNS0_20block_scan_algorithmE0ELj4294967295EEENS1_25partition_config_selectorILNS1_17partition_subalgoE4EjNS0_10empty_typeEbEEZZNS1_14partition_implILS8_4ELb0ES6_15HIP_vector_typeIjLj2EENS0_17counting_iteratorIjlEEPS9_SG_NS0_5tupleIJPjSI_NS0_16reverse_iteratorISI_EEEEENSH_IJSG_SG_SG_EEES9_SI_JZNS1_25segmented_radix_sort_implINS0_14default_configELb1EPKiPiPKlPlN2at6native12_GLOBAL__N_18offset_tEEE10hipError_tPvRmT1_PNSt15iterator_traitsIS12_E10value_typeET2_T3_PNS13_IS18_E10value_typeET4_jRbjT5_S1E_jjP12ihipStream_tbEUljE_ZNSN_ISO_Lb1ESQ_SR_ST_SU_SY_EESZ_S10_S11_S12_S16_S17_S18_S1B_S1C_jS1D_jS1E_S1E_jjS1G_bEUljE0_EEESZ_S10_S11_S18_S1C_S1E_T6_T7_T9_mT8_S1G_bDpT10_ENKUlT_T0_E_clISt17integral_constantIbLb1EES1U_EEDaS1P_S1Q_EUlS1P_E_NS1_11comp_targetILNS1_3genE10ELNS1_11target_archE1200ELNS1_3gpuE4ELNS1_3repE0EEENS1_30default_config_static_selectorELNS0_4arch9wavefront6targetE0EEEvS12_ ; -- Begin function _ZN7rocprim17ROCPRIM_400000_NS6detail17trampoline_kernelINS0_13select_configILj256ELj13ELNS0_17block_load_methodE3ELS4_3ELS4_3ELNS0_20block_scan_algorithmE0ELj4294967295EEENS1_25partition_config_selectorILNS1_17partition_subalgoE4EjNS0_10empty_typeEbEEZZNS1_14partition_implILS8_4ELb0ES6_15HIP_vector_typeIjLj2EENS0_17counting_iteratorIjlEEPS9_SG_NS0_5tupleIJPjSI_NS0_16reverse_iteratorISI_EEEEENSH_IJSG_SG_SG_EEES9_SI_JZNS1_25segmented_radix_sort_implINS0_14default_configELb1EPKiPiPKlPlN2at6native12_GLOBAL__N_18offset_tEEE10hipError_tPvRmT1_PNSt15iterator_traitsIS12_E10value_typeET2_T3_PNS13_IS18_E10value_typeET4_jRbjT5_S1E_jjP12ihipStream_tbEUljE_ZNSN_ISO_Lb1ESQ_SR_ST_SU_SY_EESZ_S10_S11_S12_S16_S17_S18_S1B_S1C_jS1D_jS1E_S1E_jjS1G_bEUljE0_EEESZ_S10_S11_S18_S1C_S1E_T6_T7_T9_mT8_S1G_bDpT10_ENKUlT_T0_E_clISt17integral_constantIbLb1EES1U_EEDaS1P_S1Q_EUlS1P_E_NS1_11comp_targetILNS1_3genE10ELNS1_11target_archE1200ELNS1_3gpuE4ELNS1_3repE0EEENS1_30default_config_static_selectorELNS0_4arch9wavefront6targetE0EEEvS12_
	.p2align	8
	.type	_ZN7rocprim17ROCPRIM_400000_NS6detail17trampoline_kernelINS0_13select_configILj256ELj13ELNS0_17block_load_methodE3ELS4_3ELS4_3ELNS0_20block_scan_algorithmE0ELj4294967295EEENS1_25partition_config_selectorILNS1_17partition_subalgoE4EjNS0_10empty_typeEbEEZZNS1_14partition_implILS8_4ELb0ES6_15HIP_vector_typeIjLj2EENS0_17counting_iteratorIjlEEPS9_SG_NS0_5tupleIJPjSI_NS0_16reverse_iteratorISI_EEEEENSH_IJSG_SG_SG_EEES9_SI_JZNS1_25segmented_radix_sort_implINS0_14default_configELb1EPKiPiPKlPlN2at6native12_GLOBAL__N_18offset_tEEE10hipError_tPvRmT1_PNSt15iterator_traitsIS12_E10value_typeET2_T3_PNS13_IS18_E10value_typeET4_jRbjT5_S1E_jjP12ihipStream_tbEUljE_ZNSN_ISO_Lb1ESQ_SR_ST_SU_SY_EESZ_S10_S11_S12_S16_S17_S18_S1B_S1C_jS1D_jS1E_S1E_jjS1G_bEUljE0_EEESZ_S10_S11_S18_S1C_S1E_T6_T7_T9_mT8_S1G_bDpT10_ENKUlT_T0_E_clISt17integral_constantIbLb1EES1U_EEDaS1P_S1Q_EUlS1P_E_NS1_11comp_targetILNS1_3genE10ELNS1_11target_archE1200ELNS1_3gpuE4ELNS1_3repE0EEENS1_30default_config_static_selectorELNS0_4arch9wavefront6targetE0EEEvS12_,@function
_ZN7rocprim17ROCPRIM_400000_NS6detail17trampoline_kernelINS0_13select_configILj256ELj13ELNS0_17block_load_methodE3ELS4_3ELS4_3ELNS0_20block_scan_algorithmE0ELj4294967295EEENS1_25partition_config_selectorILNS1_17partition_subalgoE4EjNS0_10empty_typeEbEEZZNS1_14partition_implILS8_4ELb0ES6_15HIP_vector_typeIjLj2EENS0_17counting_iteratorIjlEEPS9_SG_NS0_5tupleIJPjSI_NS0_16reverse_iteratorISI_EEEEENSH_IJSG_SG_SG_EEES9_SI_JZNS1_25segmented_radix_sort_implINS0_14default_configELb1EPKiPiPKlPlN2at6native12_GLOBAL__N_18offset_tEEE10hipError_tPvRmT1_PNSt15iterator_traitsIS12_E10value_typeET2_T3_PNS13_IS18_E10value_typeET4_jRbjT5_S1E_jjP12ihipStream_tbEUljE_ZNSN_ISO_Lb1ESQ_SR_ST_SU_SY_EESZ_S10_S11_S12_S16_S17_S18_S1B_S1C_jS1D_jS1E_S1E_jjS1G_bEUljE0_EEESZ_S10_S11_S18_S1C_S1E_T6_T7_T9_mT8_S1G_bDpT10_ENKUlT_T0_E_clISt17integral_constantIbLb1EES1U_EEDaS1P_S1Q_EUlS1P_E_NS1_11comp_targetILNS1_3genE10ELNS1_11target_archE1200ELNS1_3gpuE4ELNS1_3repE0EEENS1_30default_config_static_selectorELNS0_4arch9wavefront6targetE0EEEvS12_: ; @_ZN7rocprim17ROCPRIM_400000_NS6detail17trampoline_kernelINS0_13select_configILj256ELj13ELNS0_17block_load_methodE3ELS4_3ELS4_3ELNS0_20block_scan_algorithmE0ELj4294967295EEENS1_25partition_config_selectorILNS1_17partition_subalgoE4EjNS0_10empty_typeEbEEZZNS1_14partition_implILS8_4ELb0ES6_15HIP_vector_typeIjLj2EENS0_17counting_iteratorIjlEEPS9_SG_NS0_5tupleIJPjSI_NS0_16reverse_iteratorISI_EEEEENSH_IJSG_SG_SG_EEES9_SI_JZNS1_25segmented_radix_sort_implINS0_14default_configELb1EPKiPiPKlPlN2at6native12_GLOBAL__N_18offset_tEEE10hipError_tPvRmT1_PNSt15iterator_traitsIS12_E10value_typeET2_T3_PNS13_IS18_E10value_typeET4_jRbjT5_S1E_jjP12ihipStream_tbEUljE_ZNSN_ISO_Lb1ESQ_SR_ST_SU_SY_EESZ_S10_S11_S12_S16_S17_S18_S1B_S1C_jS1D_jS1E_S1E_jjS1G_bEUljE0_EEESZ_S10_S11_S18_S1C_S1E_T6_T7_T9_mT8_S1G_bDpT10_ENKUlT_T0_E_clISt17integral_constantIbLb1EES1U_EEDaS1P_S1Q_EUlS1P_E_NS1_11comp_targetILNS1_3genE10ELNS1_11target_archE1200ELNS1_3gpuE4ELNS1_3repE0EEENS1_30default_config_static_selectorELNS0_4arch9wavefront6targetE0EEEvS12_
; %bb.0:
	.section	.rodata,"a",@progbits
	.p2align	6, 0x0
	.amdhsa_kernel _ZN7rocprim17ROCPRIM_400000_NS6detail17trampoline_kernelINS0_13select_configILj256ELj13ELNS0_17block_load_methodE3ELS4_3ELS4_3ELNS0_20block_scan_algorithmE0ELj4294967295EEENS1_25partition_config_selectorILNS1_17partition_subalgoE4EjNS0_10empty_typeEbEEZZNS1_14partition_implILS8_4ELb0ES6_15HIP_vector_typeIjLj2EENS0_17counting_iteratorIjlEEPS9_SG_NS0_5tupleIJPjSI_NS0_16reverse_iteratorISI_EEEEENSH_IJSG_SG_SG_EEES9_SI_JZNS1_25segmented_radix_sort_implINS0_14default_configELb1EPKiPiPKlPlN2at6native12_GLOBAL__N_18offset_tEEE10hipError_tPvRmT1_PNSt15iterator_traitsIS12_E10value_typeET2_T3_PNS13_IS18_E10value_typeET4_jRbjT5_S1E_jjP12ihipStream_tbEUljE_ZNSN_ISO_Lb1ESQ_SR_ST_SU_SY_EESZ_S10_S11_S12_S16_S17_S18_S1B_S1C_jS1D_jS1E_S1E_jjS1G_bEUljE0_EEESZ_S10_S11_S18_S1C_S1E_T6_T7_T9_mT8_S1G_bDpT10_ENKUlT_T0_E_clISt17integral_constantIbLb1EES1U_EEDaS1P_S1Q_EUlS1P_E_NS1_11comp_targetILNS1_3genE10ELNS1_11target_archE1200ELNS1_3gpuE4ELNS1_3repE0EEENS1_30default_config_static_selectorELNS0_4arch9wavefront6targetE0EEEvS12_
		.amdhsa_group_segment_fixed_size 0
		.amdhsa_private_segment_fixed_size 0
		.amdhsa_kernarg_size 184
		.amdhsa_user_sgpr_count 2
		.amdhsa_user_sgpr_dispatch_ptr 0
		.amdhsa_user_sgpr_queue_ptr 0
		.amdhsa_user_sgpr_kernarg_segment_ptr 1
		.amdhsa_user_sgpr_dispatch_id 0
		.amdhsa_user_sgpr_kernarg_preload_length 0
		.amdhsa_user_sgpr_kernarg_preload_offset 0
		.amdhsa_user_sgpr_private_segment_size 0
		.amdhsa_wavefront_size32 1
		.amdhsa_uses_dynamic_stack 0
		.amdhsa_enable_private_segment 0
		.amdhsa_system_sgpr_workgroup_id_x 1
		.amdhsa_system_sgpr_workgroup_id_y 0
		.amdhsa_system_sgpr_workgroup_id_z 0
		.amdhsa_system_sgpr_workgroup_info 0
		.amdhsa_system_vgpr_workitem_id 0
		.amdhsa_next_free_vgpr 1
		.amdhsa_next_free_sgpr 1
		.amdhsa_named_barrier_count 0
		.amdhsa_reserve_vcc 0
		.amdhsa_float_round_mode_32 0
		.amdhsa_float_round_mode_16_64 0
		.amdhsa_float_denorm_mode_32 3
		.amdhsa_float_denorm_mode_16_64 3
		.amdhsa_fp16_overflow 0
		.amdhsa_memory_ordered 1
		.amdhsa_forward_progress 1
		.amdhsa_inst_pref_size 0
		.amdhsa_round_robin_scheduling 0
		.amdhsa_exception_fp_ieee_invalid_op 0
		.amdhsa_exception_fp_denorm_src 0
		.amdhsa_exception_fp_ieee_div_zero 0
		.amdhsa_exception_fp_ieee_overflow 0
		.amdhsa_exception_fp_ieee_underflow 0
		.amdhsa_exception_fp_ieee_inexact 0
		.amdhsa_exception_int_div_zero 0
	.end_amdhsa_kernel
	.section	.text._ZN7rocprim17ROCPRIM_400000_NS6detail17trampoline_kernelINS0_13select_configILj256ELj13ELNS0_17block_load_methodE3ELS4_3ELS4_3ELNS0_20block_scan_algorithmE0ELj4294967295EEENS1_25partition_config_selectorILNS1_17partition_subalgoE4EjNS0_10empty_typeEbEEZZNS1_14partition_implILS8_4ELb0ES6_15HIP_vector_typeIjLj2EENS0_17counting_iteratorIjlEEPS9_SG_NS0_5tupleIJPjSI_NS0_16reverse_iteratorISI_EEEEENSH_IJSG_SG_SG_EEES9_SI_JZNS1_25segmented_radix_sort_implINS0_14default_configELb1EPKiPiPKlPlN2at6native12_GLOBAL__N_18offset_tEEE10hipError_tPvRmT1_PNSt15iterator_traitsIS12_E10value_typeET2_T3_PNS13_IS18_E10value_typeET4_jRbjT5_S1E_jjP12ihipStream_tbEUljE_ZNSN_ISO_Lb1ESQ_SR_ST_SU_SY_EESZ_S10_S11_S12_S16_S17_S18_S1B_S1C_jS1D_jS1E_S1E_jjS1G_bEUljE0_EEESZ_S10_S11_S18_S1C_S1E_T6_T7_T9_mT8_S1G_bDpT10_ENKUlT_T0_E_clISt17integral_constantIbLb1EES1U_EEDaS1P_S1Q_EUlS1P_E_NS1_11comp_targetILNS1_3genE10ELNS1_11target_archE1200ELNS1_3gpuE4ELNS1_3repE0EEENS1_30default_config_static_selectorELNS0_4arch9wavefront6targetE0EEEvS12_,"axG",@progbits,_ZN7rocprim17ROCPRIM_400000_NS6detail17trampoline_kernelINS0_13select_configILj256ELj13ELNS0_17block_load_methodE3ELS4_3ELS4_3ELNS0_20block_scan_algorithmE0ELj4294967295EEENS1_25partition_config_selectorILNS1_17partition_subalgoE4EjNS0_10empty_typeEbEEZZNS1_14partition_implILS8_4ELb0ES6_15HIP_vector_typeIjLj2EENS0_17counting_iteratorIjlEEPS9_SG_NS0_5tupleIJPjSI_NS0_16reverse_iteratorISI_EEEEENSH_IJSG_SG_SG_EEES9_SI_JZNS1_25segmented_radix_sort_implINS0_14default_configELb1EPKiPiPKlPlN2at6native12_GLOBAL__N_18offset_tEEE10hipError_tPvRmT1_PNSt15iterator_traitsIS12_E10value_typeET2_T3_PNS13_IS18_E10value_typeET4_jRbjT5_S1E_jjP12ihipStream_tbEUljE_ZNSN_ISO_Lb1ESQ_SR_ST_SU_SY_EESZ_S10_S11_S12_S16_S17_S18_S1B_S1C_jS1D_jS1E_S1E_jjS1G_bEUljE0_EEESZ_S10_S11_S18_S1C_S1E_T6_T7_T9_mT8_S1G_bDpT10_ENKUlT_T0_E_clISt17integral_constantIbLb1EES1U_EEDaS1P_S1Q_EUlS1P_E_NS1_11comp_targetILNS1_3genE10ELNS1_11target_archE1200ELNS1_3gpuE4ELNS1_3repE0EEENS1_30default_config_static_selectorELNS0_4arch9wavefront6targetE0EEEvS12_,comdat
.Lfunc_end442:
	.size	_ZN7rocprim17ROCPRIM_400000_NS6detail17trampoline_kernelINS0_13select_configILj256ELj13ELNS0_17block_load_methodE3ELS4_3ELS4_3ELNS0_20block_scan_algorithmE0ELj4294967295EEENS1_25partition_config_selectorILNS1_17partition_subalgoE4EjNS0_10empty_typeEbEEZZNS1_14partition_implILS8_4ELb0ES6_15HIP_vector_typeIjLj2EENS0_17counting_iteratorIjlEEPS9_SG_NS0_5tupleIJPjSI_NS0_16reverse_iteratorISI_EEEEENSH_IJSG_SG_SG_EEES9_SI_JZNS1_25segmented_radix_sort_implINS0_14default_configELb1EPKiPiPKlPlN2at6native12_GLOBAL__N_18offset_tEEE10hipError_tPvRmT1_PNSt15iterator_traitsIS12_E10value_typeET2_T3_PNS13_IS18_E10value_typeET4_jRbjT5_S1E_jjP12ihipStream_tbEUljE_ZNSN_ISO_Lb1ESQ_SR_ST_SU_SY_EESZ_S10_S11_S12_S16_S17_S18_S1B_S1C_jS1D_jS1E_S1E_jjS1G_bEUljE0_EEESZ_S10_S11_S18_S1C_S1E_T6_T7_T9_mT8_S1G_bDpT10_ENKUlT_T0_E_clISt17integral_constantIbLb1EES1U_EEDaS1P_S1Q_EUlS1P_E_NS1_11comp_targetILNS1_3genE10ELNS1_11target_archE1200ELNS1_3gpuE4ELNS1_3repE0EEENS1_30default_config_static_selectorELNS0_4arch9wavefront6targetE0EEEvS12_, .Lfunc_end442-_ZN7rocprim17ROCPRIM_400000_NS6detail17trampoline_kernelINS0_13select_configILj256ELj13ELNS0_17block_load_methodE3ELS4_3ELS4_3ELNS0_20block_scan_algorithmE0ELj4294967295EEENS1_25partition_config_selectorILNS1_17partition_subalgoE4EjNS0_10empty_typeEbEEZZNS1_14partition_implILS8_4ELb0ES6_15HIP_vector_typeIjLj2EENS0_17counting_iteratorIjlEEPS9_SG_NS0_5tupleIJPjSI_NS0_16reverse_iteratorISI_EEEEENSH_IJSG_SG_SG_EEES9_SI_JZNS1_25segmented_radix_sort_implINS0_14default_configELb1EPKiPiPKlPlN2at6native12_GLOBAL__N_18offset_tEEE10hipError_tPvRmT1_PNSt15iterator_traitsIS12_E10value_typeET2_T3_PNS13_IS18_E10value_typeET4_jRbjT5_S1E_jjP12ihipStream_tbEUljE_ZNSN_ISO_Lb1ESQ_SR_ST_SU_SY_EESZ_S10_S11_S12_S16_S17_S18_S1B_S1C_jS1D_jS1E_S1E_jjS1G_bEUljE0_EEESZ_S10_S11_S18_S1C_S1E_T6_T7_T9_mT8_S1G_bDpT10_ENKUlT_T0_E_clISt17integral_constantIbLb1EES1U_EEDaS1P_S1Q_EUlS1P_E_NS1_11comp_targetILNS1_3genE10ELNS1_11target_archE1200ELNS1_3gpuE4ELNS1_3repE0EEENS1_30default_config_static_selectorELNS0_4arch9wavefront6targetE0EEEvS12_
                                        ; -- End function
	.set _ZN7rocprim17ROCPRIM_400000_NS6detail17trampoline_kernelINS0_13select_configILj256ELj13ELNS0_17block_load_methodE3ELS4_3ELS4_3ELNS0_20block_scan_algorithmE0ELj4294967295EEENS1_25partition_config_selectorILNS1_17partition_subalgoE4EjNS0_10empty_typeEbEEZZNS1_14partition_implILS8_4ELb0ES6_15HIP_vector_typeIjLj2EENS0_17counting_iteratorIjlEEPS9_SG_NS0_5tupleIJPjSI_NS0_16reverse_iteratorISI_EEEEENSH_IJSG_SG_SG_EEES9_SI_JZNS1_25segmented_radix_sort_implINS0_14default_configELb1EPKiPiPKlPlN2at6native12_GLOBAL__N_18offset_tEEE10hipError_tPvRmT1_PNSt15iterator_traitsIS12_E10value_typeET2_T3_PNS13_IS18_E10value_typeET4_jRbjT5_S1E_jjP12ihipStream_tbEUljE_ZNSN_ISO_Lb1ESQ_SR_ST_SU_SY_EESZ_S10_S11_S12_S16_S17_S18_S1B_S1C_jS1D_jS1E_S1E_jjS1G_bEUljE0_EEESZ_S10_S11_S18_S1C_S1E_T6_T7_T9_mT8_S1G_bDpT10_ENKUlT_T0_E_clISt17integral_constantIbLb1EES1U_EEDaS1P_S1Q_EUlS1P_E_NS1_11comp_targetILNS1_3genE10ELNS1_11target_archE1200ELNS1_3gpuE4ELNS1_3repE0EEENS1_30default_config_static_selectorELNS0_4arch9wavefront6targetE0EEEvS12_.num_vgpr, 0
	.set _ZN7rocprim17ROCPRIM_400000_NS6detail17trampoline_kernelINS0_13select_configILj256ELj13ELNS0_17block_load_methodE3ELS4_3ELS4_3ELNS0_20block_scan_algorithmE0ELj4294967295EEENS1_25partition_config_selectorILNS1_17partition_subalgoE4EjNS0_10empty_typeEbEEZZNS1_14partition_implILS8_4ELb0ES6_15HIP_vector_typeIjLj2EENS0_17counting_iteratorIjlEEPS9_SG_NS0_5tupleIJPjSI_NS0_16reverse_iteratorISI_EEEEENSH_IJSG_SG_SG_EEES9_SI_JZNS1_25segmented_radix_sort_implINS0_14default_configELb1EPKiPiPKlPlN2at6native12_GLOBAL__N_18offset_tEEE10hipError_tPvRmT1_PNSt15iterator_traitsIS12_E10value_typeET2_T3_PNS13_IS18_E10value_typeET4_jRbjT5_S1E_jjP12ihipStream_tbEUljE_ZNSN_ISO_Lb1ESQ_SR_ST_SU_SY_EESZ_S10_S11_S12_S16_S17_S18_S1B_S1C_jS1D_jS1E_S1E_jjS1G_bEUljE0_EEESZ_S10_S11_S18_S1C_S1E_T6_T7_T9_mT8_S1G_bDpT10_ENKUlT_T0_E_clISt17integral_constantIbLb1EES1U_EEDaS1P_S1Q_EUlS1P_E_NS1_11comp_targetILNS1_3genE10ELNS1_11target_archE1200ELNS1_3gpuE4ELNS1_3repE0EEENS1_30default_config_static_selectorELNS0_4arch9wavefront6targetE0EEEvS12_.num_agpr, 0
	.set _ZN7rocprim17ROCPRIM_400000_NS6detail17trampoline_kernelINS0_13select_configILj256ELj13ELNS0_17block_load_methodE3ELS4_3ELS4_3ELNS0_20block_scan_algorithmE0ELj4294967295EEENS1_25partition_config_selectorILNS1_17partition_subalgoE4EjNS0_10empty_typeEbEEZZNS1_14partition_implILS8_4ELb0ES6_15HIP_vector_typeIjLj2EENS0_17counting_iteratorIjlEEPS9_SG_NS0_5tupleIJPjSI_NS0_16reverse_iteratorISI_EEEEENSH_IJSG_SG_SG_EEES9_SI_JZNS1_25segmented_radix_sort_implINS0_14default_configELb1EPKiPiPKlPlN2at6native12_GLOBAL__N_18offset_tEEE10hipError_tPvRmT1_PNSt15iterator_traitsIS12_E10value_typeET2_T3_PNS13_IS18_E10value_typeET4_jRbjT5_S1E_jjP12ihipStream_tbEUljE_ZNSN_ISO_Lb1ESQ_SR_ST_SU_SY_EESZ_S10_S11_S12_S16_S17_S18_S1B_S1C_jS1D_jS1E_S1E_jjS1G_bEUljE0_EEESZ_S10_S11_S18_S1C_S1E_T6_T7_T9_mT8_S1G_bDpT10_ENKUlT_T0_E_clISt17integral_constantIbLb1EES1U_EEDaS1P_S1Q_EUlS1P_E_NS1_11comp_targetILNS1_3genE10ELNS1_11target_archE1200ELNS1_3gpuE4ELNS1_3repE0EEENS1_30default_config_static_selectorELNS0_4arch9wavefront6targetE0EEEvS12_.numbered_sgpr, 0
	.set _ZN7rocprim17ROCPRIM_400000_NS6detail17trampoline_kernelINS0_13select_configILj256ELj13ELNS0_17block_load_methodE3ELS4_3ELS4_3ELNS0_20block_scan_algorithmE0ELj4294967295EEENS1_25partition_config_selectorILNS1_17partition_subalgoE4EjNS0_10empty_typeEbEEZZNS1_14partition_implILS8_4ELb0ES6_15HIP_vector_typeIjLj2EENS0_17counting_iteratorIjlEEPS9_SG_NS0_5tupleIJPjSI_NS0_16reverse_iteratorISI_EEEEENSH_IJSG_SG_SG_EEES9_SI_JZNS1_25segmented_radix_sort_implINS0_14default_configELb1EPKiPiPKlPlN2at6native12_GLOBAL__N_18offset_tEEE10hipError_tPvRmT1_PNSt15iterator_traitsIS12_E10value_typeET2_T3_PNS13_IS18_E10value_typeET4_jRbjT5_S1E_jjP12ihipStream_tbEUljE_ZNSN_ISO_Lb1ESQ_SR_ST_SU_SY_EESZ_S10_S11_S12_S16_S17_S18_S1B_S1C_jS1D_jS1E_S1E_jjS1G_bEUljE0_EEESZ_S10_S11_S18_S1C_S1E_T6_T7_T9_mT8_S1G_bDpT10_ENKUlT_T0_E_clISt17integral_constantIbLb1EES1U_EEDaS1P_S1Q_EUlS1P_E_NS1_11comp_targetILNS1_3genE10ELNS1_11target_archE1200ELNS1_3gpuE4ELNS1_3repE0EEENS1_30default_config_static_selectorELNS0_4arch9wavefront6targetE0EEEvS12_.num_named_barrier, 0
	.set _ZN7rocprim17ROCPRIM_400000_NS6detail17trampoline_kernelINS0_13select_configILj256ELj13ELNS0_17block_load_methodE3ELS4_3ELS4_3ELNS0_20block_scan_algorithmE0ELj4294967295EEENS1_25partition_config_selectorILNS1_17partition_subalgoE4EjNS0_10empty_typeEbEEZZNS1_14partition_implILS8_4ELb0ES6_15HIP_vector_typeIjLj2EENS0_17counting_iteratorIjlEEPS9_SG_NS0_5tupleIJPjSI_NS0_16reverse_iteratorISI_EEEEENSH_IJSG_SG_SG_EEES9_SI_JZNS1_25segmented_radix_sort_implINS0_14default_configELb1EPKiPiPKlPlN2at6native12_GLOBAL__N_18offset_tEEE10hipError_tPvRmT1_PNSt15iterator_traitsIS12_E10value_typeET2_T3_PNS13_IS18_E10value_typeET4_jRbjT5_S1E_jjP12ihipStream_tbEUljE_ZNSN_ISO_Lb1ESQ_SR_ST_SU_SY_EESZ_S10_S11_S12_S16_S17_S18_S1B_S1C_jS1D_jS1E_S1E_jjS1G_bEUljE0_EEESZ_S10_S11_S18_S1C_S1E_T6_T7_T9_mT8_S1G_bDpT10_ENKUlT_T0_E_clISt17integral_constantIbLb1EES1U_EEDaS1P_S1Q_EUlS1P_E_NS1_11comp_targetILNS1_3genE10ELNS1_11target_archE1200ELNS1_3gpuE4ELNS1_3repE0EEENS1_30default_config_static_selectorELNS0_4arch9wavefront6targetE0EEEvS12_.private_seg_size, 0
	.set _ZN7rocprim17ROCPRIM_400000_NS6detail17trampoline_kernelINS0_13select_configILj256ELj13ELNS0_17block_load_methodE3ELS4_3ELS4_3ELNS0_20block_scan_algorithmE0ELj4294967295EEENS1_25partition_config_selectorILNS1_17partition_subalgoE4EjNS0_10empty_typeEbEEZZNS1_14partition_implILS8_4ELb0ES6_15HIP_vector_typeIjLj2EENS0_17counting_iteratorIjlEEPS9_SG_NS0_5tupleIJPjSI_NS0_16reverse_iteratorISI_EEEEENSH_IJSG_SG_SG_EEES9_SI_JZNS1_25segmented_radix_sort_implINS0_14default_configELb1EPKiPiPKlPlN2at6native12_GLOBAL__N_18offset_tEEE10hipError_tPvRmT1_PNSt15iterator_traitsIS12_E10value_typeET2_T3_PNS13_IS18_E10value_typeET4_jRbjT5_S1E_jjP12ihipStream_tbEUljE_ZNSN_ISO_Lb1ESQ_SR_ST_SU_SY_EESZ_S10_S11_S12_S16_S17_S18_S1B_S1C_jS1D_jS1E_S1E_jjS1G_bEUljE0_EEESZ_S10_S11_S18_S1C_S1E_T6_T7_T9_mT8_S1G_bDpT10_ENKUlT_T0_E_clISt17integral_constantIbLb1EES1U_EEDaS1P_S1Q_EUlS1P_E_NS1_11comp_targetILNS1_3genE10ELNS1_11target_archE1200ELNS1_3gpuE4ELNS1_3repE0EEENS1_30default_config_static_selectorELNS0_4arch9wavefront6targetE0EEEvS12_.uses_vcc, 0
	.set _ZN7rocprim17ROCPRIM_400000_NS6detail17trampoline_kernelINS0_13select_configILj256ELj13ELNS0_17block_load_methodE3ELS4_3ELS4_3ELNS0_20block_scan_algorithmE0ELj4294967295EEENS1_25partition_config_selectorILNS1_17partition_subalgoE4EjNS0_10empty_typeEbEEZZNS1_14partition_implILS8_4ELb0ES6_15HIP_vector_typeIjLj2EENS0_17counting_iteratorIjlEEPS9_SG_NS0_5tupleIJPjSI_NS0_16reverse_iteratorISI_EEEEENSH_IJSG_SG_SG_EEES9_SI_JZNS1_25segmented_radix_sort_implINS0_14default_configELb1EPKiPiPKlPlN2at6native12_GLOBAL__N_18offset_tEEE10hipError_tPvRmT1_PNSt15iterator_traitsIS12_E10value_typeET2_T3_PNS13_IS18_E10value_typeET4_jRbjT5_S1E_jjP12ihipStream_tbEUljE_ZNSN_ISO_Lb1ESQ_SR_ST_SU_SY_EESZ_S10_S11_S12_S16_S17_S18_S1B_S1C_jS1D_jS1E_S1E_jjS1G_bEUljE0_EEESZ_S10_S11_S18_S1C_S1E_T6_T7_T9_mT8_S1G_bDpT10_ENKUlT_T0_E_clISt17integral_constantIbLb1EES1U_EEDaS1P_S1Q_EUlS1P_E_NS1_11comp_targetILNS1_3genE10ELNS1_11target_archE1200ELNS1_3gpuE4ELNS1_3repE0EEENS1_30default_config_static_selectorELNS0_4arch9wavefront6targetE0EEEvS12_.uses_flat_scratch, 0
	.set _ZN7rocprim17ROCPRIM_400000_NS6detail17trampoline_kernelINS0_13select_configILj256ELj13ELNS0_17block_load_methodE3ELS4_3ELS4_3ELNS0_20block_scan_algorithmE0ELj4294967295EEENS1_25partition_config_selectorILNS1_17partition_subalgoE4EjNS0_10empty_typeEbEEZZNS1_14partition_implILS8_4ELb0ES6_15HIP_vector_typeIjLj2EENS0_17counting_iteratorIjlEEPS9_SG_NS0_5tupleIJPjSI_NS0_16reverse_iteratorISI_EEEEENSH_IJSG_SG_SG_EEES9_SI_JZNS1_25segmented_radix_sort_implINS0_14default_configELb1EPKiPiPKlPlN2at6native12_GLOBAL__N_18offset_tEEE10hipError_tPvRmT1_PNSt15iterator_traitsIS12_E10value_typeET2_T3_PNS13_IS18_E10value_typeET4_jRbjT5_S1E_jjP12ihipStream_tbEUljE_ZNSN_ISO_Lb1ESQ_SR_ST_SU_SY_EESZ_S10_S11_S12_S16_S17_S18_S1B_S1C_jS1D_jS1E_S1E_jjS1G_bEUljE0_EEESZ_S10_S11_S18_S1C_S1E_T6_T7_T9_mT8_S1G_bDpT10_ENKUlT_T0_E_clISt17integral_constantIbLb1EES1U_EEDaS1P_S1Q_EUlS1P_E_NS1_11comp_targetILNS1_3genE10ELNS1_11target_archE1200ELNS1_3gpuE4ELNS1_3repE0EEENS1_30default_config_static_selectorELNS0_4arch9wavefront6targetE0EEEvS12_.has_dyn_sized_stack, 0
	.set _ZN7rocprim17ROCPRIM_400000_NS6detail17trampoline_kernelINS0_13select_configILj256ELj13ELNS0_17block_load_methodE3ELS4_3ELS4_3ELNS0_20block_scan_algorithmE0ELj4294967295EEENS1_25partition_config_selectorILNS1_17partition_subalgoE4EjNS0_10empty_typeEbEEZZNS1_14partition_implILS8_4ELb0ES6_15HIP_vector_typeIjLj2EENS0_17counting_iteratorIjlEEPS9_SG_NS0_5tupleIJPjSI_NS0_16reverse_iteratorISI_EEEEENSH_IJSG_SG_SG_EEES9_SI_JZNS1_25segmented_radix_sort_implINS0_14default_configELb1EPKiPiPKlPlN2at6native12_GLOBAL__N_18offset_tEEE10hipError_tPvRmT1_PNSt15iterator_traitsIS12_E10value_typeET2_T3_PNS13_IS18_E10value_typeET4_jRbjT5_S1E_jjP12ihipStream_tbEUljE_ZNSN_ISO_Lb1ESQ_SR_ST_SU_SY_EESZ_S10_S11_S12_S16_S17_S18_S1B_S1C_jS1D_jS1E_S1E_jjS1G_bEUljE0_EEESZ_S10_S11_S18_S1C_S1E_T6_T7_T9_mT8_S1G_bDpT10_ENKUlT_T0_E_clISt17integral_constantIbLb1EES1U_EEDaS1P_S1Q_EUlS1P_E_NS1_11comp_targetILNS1_3genE10ELNS1_11target_archE1200ELNS1_3gpuE4ELNS1_3repE0EEENS1_30default_config_static_selectorELNS0_4arch9wavefront6targetE0EEEvS12_.has_recursion, 0
	.set _ZN7rocprim17ROCPRIM_400000_NS6detail17trampoline_kernelINS0_13select_configILj256ELj13ELNS0_17block_load_methodE3ELS4_3ELS4_3ELNS0_20block_scan_algorithmE0ELj4294967295EEENS1_25partition_config_selectorILNS1_17partition_subalgoE4EjNS0_10empty_typeEbEEZZNS1_14partition_implILS8_4ELb0ES6_15HIP_vector_typeIjLj2EENS0_17counting_iteratorIjlEEPS9_SG_NS0_5tupleIJPjSI_NS0_16reverse_iteratorISI_EEEEENSH_IJSG_SG_SG_EEES9_SI_JZNS1_25segmented_radix_sort_implINS0_14default_configELb1EPKiPiPKlPlN2at6native12_GLOBAL__N_18offset_tEEE10hipError_tPvRmT1_PNSt15iterator_traitsIS12_E10value_typeET2_T3_PNS13_IS18_E10value_typeET4_jRbjT5_S1E_jjP12ihipStream_tbEUljE_ZNSN_ISO_Lb1ESQ_SR_ST_SU_SY_EESZ_S10_S11_S12_S16_S17_S18_S1B_S1C_jS1D_jS1E_S1E_jjS1G_bEUljE0_EEESZ_S10_S11_S18_S1C_S1E_T6_T7_T9_mT8_S1G_bDpT10_ENKUlT_T0_E_clISt17integral_constantIbLb1EES1U_EEDaS1P_S1Q_EUlS1P_E_NS1_11comp_targetILNS1_3genE10ELNS1_11target_archE1200ELNS1_3gpuE4ELNS1_3repE0EEENS1_30default_config_static_selectorELNS0_4arch9wavefront6targetE0EEEvS12_.has_indirect_call, 0
	.section	.AMDGPU.csdata,"",@progbits
; Kernel info:
; codeLenInByte = 0
; TotalNumSgprs: 0
; NumVgprs: 0
; ScratchSize: 0
; MemoryBound: 0
; FloatMode: 240
; IeeeMode: 1
; LDSByteSize: 0 bytes/workgroup (compile time only)
; SGPRBlocks: 0
; VGPRBlocks: 0
; NumSGPRsForWavesPerEU: 1
; NumVGPRsForWavesPerEU: 1
; NamedBarCnt: 0
; Occupancy: 16
; WaveLimiterHint : 0
; COMPUTE_PGM_RSRC2:SCRATCH_EN: 0
; COMPUTE_PGM_RSRC2:USER_SGPR: 2
; COMPUTE_PGM_RSRC2:TRAP_HANDLER: 0
; COMPUTE_PGM_RSRC2:TGID_X_EN: 1
; COMPUTE_PGM_RSRC2:TGID_Y_EN: 0
; COMPUTE_PGM_RSRC2:TGID_Z_EN: 0
; COMPUTE_PGM_RSRC2:TIDIG_COMP_CNT: 0
	.section	.text._ZN7rocprim17ROCPRIM_400000_NS6detail17trampoline_kernelINS0_13select_configILj256ELj13ELNS0_17block_load_methodE3ELS4_3ELS4_3ELNS0_20block_scan_algorithmE0ELj4294967295EEENS1_25partition_config_selectorILNS1_17partition_subalgoE4EjNS0_10empty_typeEbEEZZNS1_14partition_implILS8_4ELb0ES6_15HIP_vector_typeIjLj2EENS0_17counting_iteratorIjlEEPS9_SG_NS0_5tupleIJPjSI_NS0_16reverse_iteratorISI_EEEEENSH_IJSG_SG_SG_EEES9_SI_JZNS1_25segmented_radix_sort_implINS0_14default_configELb1EPKiPiPKlPlN2at6native12_GLOBAL__N_18offset_tEEE10hipError_tPvRmT1_PNSt15iterator_traitsIS12_E10value_typeET2_T3_PNS13_IS18_E10value_typeET4_jRbjT5_S1E_jjP12ihipStream_tbEUljE_ZNSN_ISO_Lb1ESQ_SR_ST_SU_SY_EESZ_S10_S11_S12_S16_S17_S18_S1B_S1C_jS1D_jS1E_S1E_jjS1G_bEUljE0_EEESZ_S10_S11_S18_S1C_S1E_T6_T7_T9_mT8_S1G_bDpT10_ENKUlT_T0_E_clISt17integral_constantIbLb1EES1U_EEDaS1P_S1Q_EUlS1P_E_NS1_11comp_targetILNS1_3genE9ELNS1_11target_archE1100ELNS1_3gpuE3ELNS1_3repE0EEENS1_30default_config_static_selectorELNS0_4arch9wavefront6targetE0EEEvS12_,"axG",@progbits,_ZN7rocprim17ROCPRIM_400000_NS6detail17trampoline_kernelINS0_13select_configILj256ELj13ELNS0_17block_load_methodE3ELS4_3ELS4_3ELNS0_20block_scan_algorithmE0ELj4294967295EEENS1_25partition_config_selectorILNS1_17partition_subalgoE4EjNS0_10empty_typeEbEEZZNS1_14partition_implILS8_4ELb0ES6_15HIP_vector_typeIjLj2EENS0_17counting_iteratorIjlEEPS9_SG_NS0_5tupleIJPjSI_NS0_16reverse_iteratorISI_EEEEENSH_IJSG_SG_SG_EEES9_SI_JZNS1_25segmented_radix_sort_implINS0_14default_configELb1EPKiPiPKlPlN2at6native12_GLOBAL__N_18offset_tEEE10hipError_tPvRmT1_PNSt15iterator_traitsIS12_E10value_typeET2_T3_PNS13_IS18_E10value_typeET4_jRbjT5_S1E_jjP12ihipStream_tbEUljE_ZNSN_ISO_Lb1ESQ_SR_ST_SU_SY_EESZ_S10_S11_S12_S16_S17_S18_S1B_S1C_jS1D_jS1E_S1E_jjS1G_bEUljE0_EEESZ_S10_S11_S18_S1C_S1E_T6_T7_T9_mT8_S1G_bDpT10_ENKUlT_T0_E_clISt17integral_constantIbLb1EES1U_EEDaS1P_S1Q_EUlS1P_E_NS1_11comp_targetILNS1_3genE9ELNS1_11target_archE1100ELNS1_3gpuE3ELNS1_3repE0EEENS1_30default_config_static_selectorELNS0_4arch9wavefront6targetE0EEEvS12_,comdat
	.globl	_ZN7rocprim17ROCPRIM_400000_NS6detail17trampoline_kernelINS0_13select_configILj256ELj13ELNS0_17block_load_methodE3ELS4_3ELS4_3ELNS0_20block_scan_algorithmE0ELj4294967295EEENS1_25partition_config_selectorILNS1_17partition_subalgoE4EjNS0_10empty_typeEbEEZZNS1_14partition_implILS8_4ELb0ES6_15HIP_vector_typeIjLj2EENS0_17counting_iteratorIjlEEPS9_SG_NS0_5tupleIJPjSI_NS0_16reverse_iteratorISI_EEEEENSH_IJSG_SG_SG_EEES9_SI_JZNS1_25segmented_radix_sort_implINS0_14default_configELb1EPKiPiPKlPlN2at6native12_GLOBAL__N_18offset_tEEE10hipError_tPvRmT1_PNSt15iterator_traitsIS12_E10value_typeET2_T3_PNS13_IS18_E10value_typeET4_jRbjT5_S1E_jjP12ihipStream_tbEUljE_ZNSN_ISO_Lb1ESQ_SR_ST_SU_SY_EESZ_S10_S11_S12_S16_S17_S18_S1B_S1C_jS1D_jS1E_S1E_jjS1G_bEUljE0_EEESZ_S10_S11_S18_S1C_S1E_T6_T7_T9_mT8_S1G_bDpT10_ENKUlT_T0_E_clISt17integral_constantIbLb1EES1U_EEDaS1P_S1Q_EUlS1P_E_NS1_11comp_targetILNS1_3genE9ELNS1_11target_archE1100ELNS1_3gpuE3ELNS1_3repE0EEENS1_30default_config_static_selectorELNS0_4arch9wavefront6targetE0EEEvS12_ ; -- Begin function _ZN7rocprim17ROCPRIM_400000_NS6detail17trampoline_kernelINS0_13select_configILj256ELj13ELNS0_17block_load_methodE3ELS4_3ELS4_3ELNS0_20block_scan_algorithmE0ELj4294967295EEENS1_25partition_config_selectorILNS1_17partition_subalgoE4EjNS0_10empty_typeEbEEZZNS1_14partition_implILS8_4ELb0ES6_15HIP_vector_typeIjLj2EENS0_17counting_iteratorIjlEEPS9_SG_NS0_5tupleIJPjSI_NS0_16reverse_iteratorISI_EEEEENSH_IJSG_SG_SG_EEES9_SI_JZNS1_25segmented_radix_sort_implINS0_14default_configELb1EPKiPiPKlPlN2at6native12_GLOBAL__N_18offset_tEEE10hipError_tPvRmT1_PNSt15iterator_traitsIS12_E10value_typeET2_T3_PNS13_IS18_E10value_typeET4_jRbjT5_S1E_jjP12ihipStream_tbEUljE_ZNSN_ISO_Lb1ESQ_SR_ST_SU_SY_EESZ_S10_S11_S12_S16_S17_S18_S1B_S1C_jS1D_jS1E_S1E_jjS1G_bEUljE0_EEESZ_S10_S11_S18_S1C_S1E_T6_T7_T9_mT8_S1G_bDpT10_ENKUlT_T0_E_clISt17integral_constantIbLb1EES1U_EEDaS1P_S1Q_EUlS1P_E_NS1_11comp_targetILNS1_3genE9ELNS1_11target_archE1100ELNS1_3gpuE3ELNS1_3repE0EEENS1_30default_config_static_selectorELNS0_4arch9wavefront6targetE0EEEvS12_
	.p2align	8
	.type	_ZN7rocprim17ROCPRIM_400000_NS6detail17trampoline_kernelINS0_13select_configILj256ELj13ELNS0_17block_load_methodE3ELS4_3ELS4_3ELNS0_20block_scan_algorithmE0ELj4294967295EEENS1_25partition_config_selectorILNS1_17partition_subalgoE4EjNS0_10empty_typeEbEEZZNS1_14partition_implILS8_4ELb0ES6_15HIP_vector_typeIjLj2EENS0_17counting_iteratorIjlEEPS9_SG_NS0_5tupleIJPjSI_NS0_16reverse_iteratorISI_EEEEENSH_IJSG_SG_SG_EEES9_SI_JZNS1_25segmented_radix_sort_implINS0_14default_configELb1EPKiPiPKlPlN2at6native12_GLOBAL__N_18offset_tEEE10hipError_tPvRmT1_PNSt15iterator_traitsIS12_E10value_typeET2_T3_PNS13_IS18_E10value_typeET4_jRbjT5_S1E_jjP12ihipStream_tbEUljE_ZNSN_ISO_Lb1ESQ_SR_ST_SU_SY_EESZ_S10_S11_S12_S16_S17_S18_S1B_S1C_jS1D_jS1E_S1E_jjS1G_bEUljE0_EEESZ_S10_S11_S18_S1C_S1E_T6_T7_T9_mT8_S1G_bDpT10_ENKUlT_T0_E_clISt17integral_constantIbLb1EES1U_EEDaS1P_S1Q_EUlS1P_E_NS1_11comp_targetILNS1_3genE9ELNS1_11target_archE1100ELNS1_3gpuE3ELNS1_3repE0EEENS1_30default_config_static_selectorELNS0_4arch9wavefront6targetE0EEEvS12_,@function
_ZN7rocprim17ROCPRIM_400000_NS6detail17trampoline_kernelINS0_13select_configILj256ELj13ELNS0_17block_load_methodE3ELS4_3ELS4_3ELNS0_20block_scan_algorithmE0ELj4294967295EEENS1_25partition_config_selectorILNS1_17partition_subalgoE4EjNS0_10empty_typeEbEEZZNS1_14partition_implILS8_4ELb0ES6_15HIP_vector_typeIjLj2EENS0_17counting_iteratorIjlEEPS9_SG_NS0_5tupleIJPjSI_NS0_16reverse_iteratorISI_EEEEENSH_IJSG_SG_SG_EEES9_SI_JZNS1_25segmented_radix_sort_implINS0_14default_configELb1EPKiPiPKlPlN2at6native12_GLOBAL__N_18offset_tEEE10hipError_tPvRmT1_PNSt15iterator_traitsIS12_E10value_typeET2_T3_PNS13_IS18_E10value_typeET4_jRbjT5_S1E_jjP12ihipStream_tbEUljE_ZNSN_ISO_Lb1ESQ_SR_ST_SU_SY_EESZ_S10_S11_S12_S16_S17_S18_S1B_S1C_jS1D_jS1E_S1E_jjS1G_bEUljE0_EEESZ_S10_S11_S18_S1C_S1E_T6_T7_T9_mT8_S1G_bDpT10_ENKUlT_T0_E_clISt17integral_constantIbLb1EES1U_EEDaS1P_S1Q_EUlS1P_E_NS1_11comp_targetILNS1_3genE9ELNS1_11target_archE1100ELNS1_3gpuE3ELNS1_3repE0EEENS1_30default_config_static_selectorELNS0_4arch9wavefront6targetE0EEEvS12_: ; @_ZN7rocprim17ROCPRIM_400000_NS6detail17trampoline_kernelINS0_13select_configILj256ELj13ELNS0_17block_load_methodE3ELS4_3ELS4_3ELNS0_20block_scan_algorithmE0ELj4294967295EEENS1_25partition_config_selectorILNS1_17partition_subalgoE4EjNS0_10empty_typeEbEEZZNS1_14partition_implILS8_4ELb0ES6_15HIP_vector_typeIjLj2EENS0_17counting_iteratorIjlEEPS9_SG_NS0_5tupleIJPjSI_NS0_16reverse_iteratorISI_EEEEENSH_IJSG_SG_SG_EEES9_SI_JZNS1_25segmented_radix_sort_implINS0_14default_configELb1EPKiPiPKlPlN2at6native12_GLOBAL__N_18offset_tEEE10hipError_tPvRmT1_PNSt15iterator_traitsIS12_E10value_typeET2_T3_PNS13_IS18_E10value_typeET4_jRbjT5_S1E_jjP12ihipStream_tbEUljE_ZNSN_ISO_Lb1ESQ_SR_ST_SU_SY_EESZ_S10_S11_S12_S16_S17_S18_S1B_S1C_jS1D_jS1E_S1E_jjS1G_bEUljE0_EEESZ_S10_S11_S18_S1C_S1E_T6_T7_T9_mT8_S1G_bDpT10_ENKUlT_T0_E_clISt17integral_constantIbLb1EES1U_EEDaS1P_S1Q_EUlS1P_E_NS1_11comp_targetILNS1_3genE9ELNS1_11target_archE1100ELNS1_3gpuE3ELNS1_3repE0EEENS1_30default_config_static_selectorELNS0_4arch9wavefront6targetE0EEEvS12_
; %bb.0:
	.section	.rodata,"a",@progbits
	.p2align	6, 0x0
	.amdhsa_kernel _ZN7rocprim17ROCPRIM_400000_NS6detail17trampoline_kernelINS0_13select_configILj256ELj13ELNS0_17block_load_methodE3ELS4_3ELS4_3ELNS0_20block_scan_algorithmE0ELj4294967295EEENS1_25partition_config_selectorILNS1_17partition_subalgoE4EjNS0_10empty_typeEbEEZZNS1_14partition_implILS8_4ELb0ES6_15HIP_vector_typeIjLj2EENS0_17counting_iteratorIjlEEPS9_SG_NS0_5tupleIJPjSI_NS0_16reverse_iteratorISI_EEEEENSH_IJSG_SG_SG_EEES9_SI_JZNS1_25segmented_radix_sort_implINS0_14default_configELb1EPKiPiPKlPlN2at6native12_GLOBAL__N_18offset_tEEE10hipError_tPvRmT1_PNSt15iterator_traitsIS12_E10value_typeET2_T3_PNS13_IS18_E10value_typeET4_jRbjT5_S1E_jjP12ihipStream_tbEUljE_ZNSN_ISO_Lb1ESQ_SR_ST_SU_SY_EESZ_S10_S11_S12_S16_S17_S18_S1B_S1C_jS1D_jS1E_S1E_jjS1G_bEUljE0_EEESZ_S10_S11_S18_S1C_S1E_T6_T7_T9_mT8_S1G_bDpT10_ENKUlT_T0_E_clISt17integral_constantIbLb1EES1U_EEDaS1P_S1Q_EUlS1P_E_NS1_11comp_targetILNS1_3genE9ELNS1_11target_archE1100ELNS1_3gpuE3ELNS1_3repE0EEENS1_30default_config_static_selectorELNS0_4arch9wavefront6targetE0EEEvS12_
		.amdhsa_group_segment_fixed_size 0
		.amdhsa_private_segment_fixed_size 0
		.amdhsa_kernarg_size 184
		.amdhsa_user_sgpr_count 2
		.amdhsa_user_sgpr_dispatch_ptr 0
		.amdhsa_user_sgpr_queue_ptr 0
		.amdhsa_user_sgpr_kernarg_segment_ptr 1
		.amdhsa_user_sgpr_dispatch_id 0
		.amdhsa_user_sgpr_kernarg_preload_length 0
		.amdhsa_user_sgpr_kernarg_preload_offset 0
		.amdhsa_user_sgpr_private_segment_size 0
		.amdhsa_wavefront_size32 1
		.amdhsa_uses_dynamic_stack 0
		.amdhsa_enable_private_segment 0
		.amdhsa_system_sgpr_workgroup_id_x 1
		.amdhsa_system_sgpr_workgroup_id_y 0
		.amdhsa_system_sgpr_workgroup_id_z 0
		.amdhsa_system_sgpr_workgroup_info 0
		.amdhsa_system_vgpr_workitem_id 0
		.amdhsa_next_free_vgpr 1
		.amdhsa_next_free_sgpr 1
		.amdhsa_named_barrier_count 0
		.amdhsa_reserve_vcc 0
		.amdhsa_float_round_mode_32 0
		.amdhsa_float_round_mode_16_64 0
		.amdhsa_float_denorm_mode_32 3
		.amdhsa_float_denorm_mode_16_64 3
		.amdhsa_fp16_overflow 0
		.amdhsa_memory_ordered 1
		.amdhsa_forward_progress 1
		.amdhsa_inst_pref_size 0
		.amdhsa_round_robin_scheduling 0
		.amdhsa_exception_fp_ieee_invalid_op 0
		.amdhsa_exception_fp_denorm_src 0
		.amdhsa_exception_fp_ieee_div_zero 0
		.amdhsa_exception_fp_ieee_overflow 0
		.amdhsa_exception_fp_ieee_underflow 0
		.amdhsa_exception_fp_ieee_inexact 0
		.amdhsa_exception_int_div_zero 0
	.end_amdhsa_kernel
	.section	.text._ZN7rocprim17ROCPRIM_400000_NS6detail17trampoline_kernelINS0_13select_configILj256ELj13ELNS0_17block_load_methodE3ELS4_3ELS4_3ELNS0_20block_scan_algorithmE0ELj4294967295EEENS1_25partition_config_selectorILNS1_17partition_subalgoE4EjNS0_10empty_typeEbEEZZNS1_14partition_implILS8_4ELb0ES6_15HIP_vector_typeIjLj2EENS0_17counting_iteratorIjlEEPS9_SG_NS0_5tupleIJPjSI_NS0_16reverse_iteratorISI_EEEEENSH_IJSG_SG_SG_EEES9_SI_JZNS1_25segmented_radix_sort_implINS0_14default_configELb1EPKiPiPKlPlN2at6native12_GLOBAL__N_18offset_tEEE10hipError_tPvRmT1_PNSt15iterator_traitsIS12_E10value_typeET2_T3_PNS13_IS18_E10value_typeET4_jRbjT5_S1E_jjP12ihipStream_tbEUljE_ZNSN_ISO_Lb1ESQ_SR_ST_SU_SY_EESZ_S10_S11_S12_S16_S17_S18_S1B_S1C_jS1D_jS1E_S1E_jjS1G_bEUljE0_EEESZ_S10_S11_S18_S1C_S1E_T6_T7_T9_mT8_S1G_bDpT10_ENKUlT_T0_E_clISt17integral_constantIbLb1EES1U_EEDaS1P_S1Q_EUlS1P_E_NS1_11comp_targetILNS1_3genE9ELNS1_11target_archE1100ELNS1_3gpuE3ELNS1_3repE0EEENS1_30default_config_static_selectorELNS0_4arch9wavefront6targetE0EEEvS12_,"axG",@progbits,_ZN7rocprim17ROCPRIM_400000_NS6detail17trampoline_kernelINS0_13select_configILj256ELj13ELNS0_17block_load_methodE3ELS4_3ELS4_3ELNS0_20block_scan_algorithmE0ELj4294967295EEENS1_25partition_config_selectorILNS1_17partition_subalgoE4EjNS0_10empty_typeEbEEZZNS1_14partition_implILS8_4ELb0ES6_15HIP_vector_typeIjLj2EENS0_17counting_iteratorIjlEEPS9_SG_NS0_5tupleIJPjSI_NS0_16reverse_iteratorISI_EEEEENSH_IJSG_SG_SG_EEES9_SI_JZNS1_25segmented_radix_sort_implINS0_14default_configELb1EPKiPiPKlPlN2at6native12_GLOBAL__N_18offset_tEEE10hipError_tPvRmT1_PNSt15iterator_traitsIS12_E10value_typeET2_T3_PNS13_IS18_E10value_typeET4_jRbjT5_S1E_jjP12ihipStream_tbEUljE_ZNSN_ISO_Lb1ESQ_SR_ST_SU_SY_EESZ_S10_S11_S12_S16_S17_S18_S1B_S1C_jS1D_jS1E_S1E_jjS1G_bEUljE0_EEESZ_S10_S11_S18_S1C_S1E_T6_T7_T9_mT8_S1G_bDpT10_ENKUlT_T0_E_clISt17integral_constantIbLb1EES1U_EEDaS1P_S1Q_EUlS1P_E_NS1_11comp_targetILNS1_3genE9ELNS1_11target_archE1100ELNS1_3gpuE3ELNS1_3repE0EEENS1_30default_config_static_selectorELNS0_4arch9wavefront6targetE0EEEvS12_,comdat
.Lfunc_end443:
	.size	_ZN7rocprim17ROCPRIM_400000_NS6detail17trampoline_kernelINS0_13select_configILj256ELj13ELNS0_17block_load_methodE3ELS4_3ELS4_3ELNS0_20block_scan_algorithmE0ELj4294967295EEENS1_25partition_config_selectorILNS1_17partition_subalgoE4EjNS0_10empty_typeEbEEZZNS1_14partition_implILS8_4ELb0ES6_15HIP_vector_typeIjLj2EENS0_17counting_iteratorIjlEEPS9_SG_NS0_5tupleIJPjSI_NS0_16reverse_iteratorISI_EEEEENSH_IJSG_SG_SG_EEES9_SI_JZNS1_25segmented_radix_sort_implINS0_14default_configELb1EPKiPiPKlPlN2at6native12_GLOBAL__N_18offset_tEEE10hipError_tPvRmT1_PNSt15iterator_traitsIS12_E10value_typeET2_T3_PNS13_IS18_E10value_typeET4_jRbjT5_S1E_jjP12ihipStream_tbEUljE_ZNSN_ISO_Lb1ESQ_SR_ST_SU_SY_EESZ_S10_S11_S12_S16_S17_S18_S1B_S1C_jS1D_jS1E_S1E_jjS1G_bEUljE0_EEESZ_S10_S11_S18_S1C_S1E_T6_T7_T9_mT8_S1G_bDpT10_ENKUlT_T0_E_clISt17integral_constantIbLb1EES1U_EEDaS1P_S1Q_EUlS1P_E_NS1_11comp_targetILNS1_3genE9ELNS1_11target_archE1100ELNS1_3gpuE3ELNS1_3repE0EEENS1_30default_config_static_selectorELNS0_4arch9wavefront6targetE0EEEvS12_, .Lfunc_end443-_ZN7rocprim17ROCPRIM_400000_NS6detail17trampoline_kernelINS0_13select_configILj256ELj13ELNS0_17block_load_methodE3ELS4_3ELS4_3ELNS0_20block_scan_algorithmE0ELj4294967295EEENS1_25partition_config_selectorILNS1_17partition_subalgoE4EjNS0_10empty_typeEbEEZZNS1_14partition_implILS8_4ELb0ES6_15HIP_vector_typeIjLj2EENS0_17counting_iteratorIjlEEPS9_SG_NS0_5tupleIJPjSI_NS0_16reverse_iteratorISI_EEEEENSH_IJSG_SG_SG_EEES9_SI_JZNS1_25segmented_radix_sort_implINS0_14default_configELb1EPKiPiPKlPlN2at6native12_GLOBAL__N_18offset_tEEE10hipError_tPvRmT1_PNSt15iterator_traitsIS12_E10value_typeET2_T3_PNS13_IS18_E10value_typeET4_jRbjT5_S1E_jjP12ihipStream_tbEUljE_ZNSN_ISO_Lb1ESQ_SR_ST_SU_SY_EESZ_S10_S11_S12_S16_S17_S18_S1B_S1C_jS1D_jS1E_S1E_jjS1G_bEUljE0_EEESZ_S10_S11_S18_S1C_S1E_T6_T7_T9_mT8_S1G_bDpT10_ENKUlT_T0_E_clISt17integral_constantIbLb1EES1U_EEDaS1P_S1Q_EUlS1P_E_NS1_11comp_targetILNS1_3genE9ELNS1_11target_archE1100ELNS1_3gpuE3ELNS1_3repE0EEENS1_30default_config_static_selectorELNS0_4arch9wavefront6targetE0EEEvS12_
                                        ; -- End function
	.set _ZN7rocprim17ROCPRIM_400000_NS6detail17trampoline_kernelINS0_13select_configILj256ELj13ELNS0_17block_load_methodE3ELS4_3ELS4_3ELNS0_20block_scan_algorithmE0ELj4294967295EEENS1_25partition_config_selectorILNS1_17partition_subalgoE4EjNS0_10empty_typeEbEEZZNS1_14partition_implILS8_4ELb0ES6_15HIP_vector_typeIjLj2EENS0_17counting_iteratorIjlEEPS9_SG_NS0_5tupleIJPjSI_NS0_16reverse_iteratorISI_EEEEENSH_IJSG_SG_SG_EEES9_SI_JZNS1_25segmented_radix_sort_implINS0_14default_configELb1EPKiPiPKlPlN2at6native12_GLOBAL__N_18offset_tEEE10hipError_tPvRmT1_PNSt15iterator_traitsIS12_E10value_typeET2_T3_PNS13_IS18_E10value_typeET4_jRbjT5_S1E_jjP12ihipStream_tbEUljE_ZNSN_ISO_Lb1ESQ_SR_ST_SU_SY_EESZ_S10_S11_S12_S16_S17_S18_S1B_S1C_jS1D_jS1E_S1E_jjS1G_bEUljE0_EEESZ_S10_S11_S18_S1C_S1E_T6_T7_T9_mT8_S1G_bDpT10_ENKUlT_T0_E_clISt17integral_constantIbLb1EES1U_EEDaS1P_S1Q_EUlS1P_E_NS1_11comp_targetILNS1_3genE9ELNS1_11target_archE1100ELNS1_3gpuE3ELNS1_3repE0EEENS1_30default_config_static_selectorELNS0_4arch9wavefront6targetE0EEEvS12_.num_vgpr, 0
	.set _ZN7rocprim17ROCPRIM_400000_NS6detail17trampoline_kernelINS0_13select_configILj256ELj13ELNS0_17block_load_methodE3ELS4_3ELS4_3ELNS0_20block_scan_algorithmE0ELj4294967295EEENS1_25partition_config_selectorILNS1_17partition_subalgoE4EjNS0_10empty_typeEbEEZZNS1_14partition_implILS8_4ELb0ES6_15HIP_vector_typeIjLj2EENS0_17counting_iteratorIjlEEPS9_SG_NS0_5tupleIJPjSI_NS0_16reverse_iteratorISI_EEEEENSH_IJSG_SG_SG_EEES9_SI_JZNS1_25segmented_radix_sort_implINS0_14default_configELb1EPKiPiPKlPlN2at6native12_GLOBAL__N_18offset_tEEE10hipError_tPvRmT1_PNSt15iterator_traitsIS12_E10value_typeET2_T3_PNS13_IS18_E10value_typeET4_jRbjT5_S1E_jjP12ihipStream_tbEUljE_ZNSN_ISO_Lb1ESQ_SR_ST_SU_SY_EESZ_S10_S11_S12_S16_S17_S18_S1B_S1C_jS1D_jS1E_S1E_jjS1G_bEUljE0_EEESZ_S10_S11_S18_S1C_S1E_T6_T7_T9_mT8_S1G_bDpT10_ENKUlT_T0_E_clISt17integral_constantIbLb1EES1U_EEDaS1P_S1Q_EUlS1P_E_NS1_11comp_targetILNS1_3genE9ELNS1_11target_archE1100ELNS1_3gpuE3ELNS1_3repE0EEENS1_30default_config_static_selectorELNS0_4arch9wavefront6targetE0EEEvS12_.num_agpr, 0
	.set _ZN7rocprim17ROCPRIM_400000_NS6detail17trampoline_kernelINS0_13select_configILj256ELj13ELNS0_17block_load_methodE3ELS4_3ELS4_3ELNS0_20block_scan_algorithmE0ELj4294967295EEENS1_25partition_config_selectorILNS1_17partition_subalgoE4EjNS0_10empty_typeEbEEZZNS1_14partition_implILS8_4ELb0ES6_15HIP_vector_typeIjLj2EENS0_17counting_iteratorIjlEEPS9_SG_NS0_5tupleIJPjSI_NS0_16reverse_iteratorISI_EEEEENSH_IJSG_SG_SG_EEES9_SI_JZNS1_25segmented_radix_sort_implINS0_14default_configELb1EPKiPiPKlPlN2at6native12_GLOBAL__N_18offset_tEEE10hipError_tPvRmT1_PNSt15iterator_traitsIS12_E10value_typeET2_T3_PNS13_IS18_E10value_typeET4_jRbjT5_S1E_jjP12ihipStream_tbEUljE_ZNSN_ISO_Lb1ESQ_SR_ST_SU_SY_EESZ_S10_S11_S12_S16_S17_S18_S1B_S1C_jS1D_jS1E_S1E_jjS1G_bEUljE0_EEESZ_S10_S11_S18_S1C_S1E_T6_T7_T9_mT8_S1G_bDpT10_ENKUlT_T0_E_clISt17integral_constantIbLb1EES1U_EEDaS1P_S1Q_EUlS1P_E_NS1_11comp_targetILNS1_3genE9ELNS1_11target_archE1100ELNS1_3gpuE3ELNS1_3repE0EEENS1_30default_config_static_selectorELNS0_4arch9wavefront6targetE0EEEvS12_.numbered_sgpr, 0
	.set _ZN7rocprim17ROCPRIM_400000_NS6detail17trampoline_kernelINS0_13select_configILj256ELj13ELNS0_17block_load_methodE3ELS4_3ELS4_3ELNS0_20block_scan_algorithmE0ELj4294967295EEENS1_25partition_config_selectorILNS1_17partition_subalgoE4EjNS0_10empty_typeEbEEZZNS1_14partition_implILS8_4ELb0ES6_15HIP_vector_typeIjLj2EENS0_17counting_iteratorIjlEEPS9_SG_NS0_5tupleIJPjSI_NS0_16reverse_iteratorISI_EEEEENSH_IJSG_SG_SG_EEES9_SI_JZNS1_25segmented_radix_sort_implINS0_14default_configELb1EPKiPiPKlPlN2at6native12_GLOBAL__N_18offset_tEEE10hipError_tPvRmT1_PNSt15iterator_traitsIS12_E10value_typeET2_T3_PNS13_IS18_E10value_typeET4_jRbjT5_S1E_jjP12ihipStream_tbEUljE_ZNSN_ISO_Lb1ESQ_SR_ST_SU_SY_EESZ_S10_S11_S12_S16_S17_S18_S1B_S1C_jS1D_jS1E_S1E_jjS1G_bEUljE0_EEESZ_S10_S11_S18_S1C_S1E_T6_T7_T9_mT8_S1G_bDpT10_ENKUlT_T0_E_clISt17integral_constantIbLb1EES1U_EEDaS1P_S1Q_EUlS1P_E_NS1_11comp_targetILNS1_3genE9ELNS1_11target_archE1100ELNS1_3gpuE3ELNS1_3repE0EEENS1_30default_config_static_selectorELNS0_4arch9wavefront6targetE0EEEvS12_.num_named_barrier, 0
	.set _ZN7rocprim17ROCPRIM_400000_NS6detail17trampoline_kernelINS0_13select_configILj256ELj13ELNS0_17block_load_methodE3ELS4_3ELS4_3ELNS0_20block_scan_algorithmE0ELj4294967295EEENS1_25partition_config_selectorILNS1_17partition_subalgoE4EjNS0_10empty_typeEbEEZZNS1_14partition_implILS8_4ELb0ES6_15HIP_vector_typeIjLj2EENS0_17counting_iteratorIjlEEPS9_SG_NS0_5tupleIJPjSI_NS0_16reverse_iteratorISI_EEEEENSH_IJSG_SG_SG_EEES9_SI_JZNS1_25segmented_radix_sort_implINS0_14default_configELb1EPKiPiPKlPlN2at6native12_GLOBAL__N_18offset_tEEE10hipError_tPvRmT1_PNSt15iterator_traitsIS12_E10value_typeET2_T3_PNS13_IS18_E10value_typeET4_jRbjT5_S1E_jjP12ihipStream_tbEUljE_ZNSN_ISO_Lb1ESQ_SR_ST_SU_SY_EESZ_S10_S11_S12_S16_S17_S18_S1B_S1C_jS1D_jS1E_S1E_jjS1G_bEUljE0_EEESZ_S10_S11_S18_S1C_S1E_T6_T7_T9_mT8_S1G_bDpT10_ENKUlT_T0_E_clISt17integral_constantIbLb1EES1U_EEDaS1P_S1Q_EUlS1P_E_NS1_11comp_targetILNS1_3genE9ELNS1_11target_archE1100ELNS1_3gpuE3ELNS1_3repE0EEENS1_30default_config_static_selectorELNS0_4arch9wavefront6targetE0EEEvS12_.private_seg_size, 0
	.set _ZN7rocprim17ROCPRIM_400000_NS6detail17trampoline_kernelINS0_13select_configILj256ELj13ELNS0_17block_load_methodE3ELS4_3ELS4_3ELNS0_20block_scan_algorithmE0ELj4294967295EEENS1_25partition_config_selectorILNS1_17partition_subalgoE4EjNS0_10empty_typeEbEEZZNS1_14partition_implILS8_4ELb0ES6_15HIP_vector_typeIjLj2EENS0_17counting_iteratorIjlEEPS9_SG_NS0_5tupleIJPjSI_NS0_16reverse_iteratorISI_EEEEENSH_IJSG_SG_SG_EEES9_SI_JZNS1_25segmented_radix_sort_implINS0_14default_configELb1EPKiPiPKlPlN2at6native12_GLOBAL__N_18offset_tEEE10hipError_tPvRmT1_PNSt15iterator_traitsIS12_E10value_typeET2_T3_PNS13_IS18_E10value_typeET4_jRbjT5_S1E_jjP12ihipStream_tbEUljE_ZNSN_ISO_Lb1ESQ_SR_ST_SU_SY_EESZ_S10_S11_S12_S16_S17_S18_S1B_S1C_jS1D_jS1E_S1E_jjS1G_bEUljE0_EEESZ_S10_S11_S18_S1C_S1E_T6_T7_T9_mT8_S1G_bDpT10_ENKUlT_T0_E_clISt17integral_constantIbLb1EES1U_EEDaS1P_S1Q_EUlS1P_E_NS1_11comp_targetILNS1_3genE9ELNS1_11target_archE1100ELNS1_3gpuE3ELNS1_3repE0EEENS1_30default_config_static_selectorELNS0_4arch9wavefront6targetE0EEEvS12_.uses_vcc, 0
	.set _ZN7rocprim17ROCPRIM_400000_NS6detail17trampoline_kernelINS0_13select_configILj256ELj13ELNS0_17block_load_methodE3ELS4_3ELS4_3ELNS0_20block_scan_algorithmE0ELj4294967295EEENS1_25partition_config_selectorILNS1_17partition_subalgoE4EjNS0_10empty_typeEbEEZZNS1_14partition_implILS8_4ELb0ES6_15HIP_vector_typeIjLj2EENS0_17counting_iteratorIjlEEPS9_SG_NS0_5tupleIJPjSI_NS0_16reverse_iteratorISI_EEEEENSH_IJSG_SG_SG_EEES9_SI_JZNS1_25segmented_radix_sort_implINS0_14default_configELb1EPKiPiPKlPlN2at6native12_GLOBAL__N_18offset_tEEE10hipError_tPvRmT1_PNSt15iterator_traitsIS12_E10value_typeET2_T3_PNS13_IS18_E10value_typeET4_jRbjT5_S1E_jjP12ihipStream_tbEUljE_ZNSN_ISO_Lb1ESQ_SR_ST_SU_SY_EESZ_S10_S11_S12_S16_S17_S18_S1B_S1C_jS1D_jS1E_S1E_jjS1G_bEUljE0_EEESZ_S10_S11_S18_S1C_S1E_T6_T7_T9_mT8_S1G_bDpT10_ENKUlT_T0_E_clISt17integral_constantIbLb1EES1U_EEDaS1P_S1Q_EUlS1P_E_NS1_11comp_targetILNS1_3genE9ELNS1_11target_archE1100ELNS1_3gpuE3ELNS1_3repE0EEENS1_30default_config_static_selectorELNS0_4arch9wavefront6targetE0EEEvS12_.uses_flat_scratch, 0
	.set _ZN7rocprim17ROCPRIM_400000_NS6detail17trampoline_kernelINS0_13select_configILj256ELj13ELNS0_17block_load_methodE3ELS4_3ELS4_3ELNS0_20block_scan_algorithmE0ELj4294967295EEENS1_25partition_config_selectorILNS1_17partition_subalgoE4EjNS0_10empty_typeEbEEZZNS1_14partition_implILS8_4ELb0ES6_15HIP_vector_typeIjLj2EENS0_17counting_iteratorIjlEEPS9_SG_NS0_5tupleIJPjSI_NS0_16reverse_iteratorISI_EEEEENSH_IJSG_SG_SG_EEES9_SI_JZNS1_25segmented_radix_sort_implINS0_14default_configELb1EPKiPiPKlPlN2at6native12_GLOBAL__N_18offset_tEEE10hipError_tPvRmT1_PNSt15iterator_traitsIS12_E10value_typeET2_T3_PNS13_IS18_E10value_typeET4_jRbjT5_S1E_jjP12ihipStream_tbEUljE_ZNSN_ISO_Lb1ESQ_SR_ST_SU_SY_EESZ_S10_S11_S12_S16_S17_S18_S1B_S1C_jS1D_jS1E_S1E_jjS1G_bEUljE0_EEESZ_S10_S11_S18_S1C_S1E_T6_T7_T9_mT8_S1G_bDpT10_ENKUlT_T0_E_clISt17integral_constantIbLb1EES1U_EEDaS1P_S1Q_EUlS1P_E_NS1_11comp_targetILNS1_3genE9ELNS1_11target_archE1100ELNS1_3gpuE3ELNS1_3repE0EEENS1_30default_config_static_selectorELNS0_4arch9wavefront6targetE0EEEvS12_.has_dyn_sized_stack, 0
	.set _ZN7rocprim17ROCPRIM_400000_NS6detail17trampoline_kernelINS0_13select_configILj256ELj13ELNS0_17block_load_methodE3ELS4_3ELS4_3ELNS0_20block_scan_algorithmE0ELj4294967295EEENS1_25partition_config_selectorILNS1_17partition_subalgoE4EjNS0_10empty_typeEbEEZZNS1_14partition_implILS8_4ELb0ES6_15HIP_vector_typeIjLj2EENS0_17counting_iteratorIjlEEPS9_SG_NS0_5tupleIJPjSI_NS0_16reverse_iteratorISI_EEEEENSH_IJSG_SG_SG_EEES9_SI_JZNS1_25segmented_radix_sort_implINS0_14default_configELb1EPKiPiPKlPlN2at6native12_GLOBAL__N_18offset_tEEE10hipError_tPvRmT1_PNSt15iterator_traitsIS12_E10value_typeET2_T3_PNS13_IS18_E10value_typeET4_jRbjT5_S1E_jjP12ihipStream_tbEUljE_ZNSN_ISO_Lb1ESQ_SR_ST_SU_SY_EESZ_S10_S11_S12_S16_S17_S18_S1B_S1C_jS1D_jS1E_S1E_jjS1G_bEUljE0_EEESZ_S10_S11_S18_S1C_S1E_T6_T7_T9_mT8_S1G_bDpT10_ENKUlT_T0_E_clISt17integral_constantIbLb1EES1U_EEDaS1P_S1Q_EUlS1P_E_NS1_11comp_targetILNS1_3genE9ELNS1_11target_archE1100ELNS1_3gpuE3ELNS1_3repE0EEENS1_30default_config_static_selectorELNS0_4arch9wavefront6targetE0EEEvS12_.has_recursion, 0
	.set _ZN7rocprim17ROCPRIM_400000_NS6detail17trampoline_kernelINS0_13select_configILj256ELj13ELNS0_17block_load_methodE3ELS4_3ELS4_3ELNS0_20block_scan_algorithmE0ELj4294967295EEENS1_25partition_config_selectorILNS1_17partition_subalgoE4EjNS0_10empty_typeEbEEZZNS1_14partition_implILS8_4ELb0ES6_15HIP_vector_typeIjLj2EENS0_17counting_iteratorIjlEEPS9_SG_NS0_5tupleIJPjSI_NS0_16reverse_iteratorISI_EEEEENSH_IJSG_SG_SG_EEES9_SI_JZNS1_25segmented_radix_sort_implINS0_14default_configELb1EPKiPiPKlPlN2at6native12_GLOBAL__N_18offset_tEEE10hipError_tPvRmT1_PNSt15iterator_traitsIS12_E10value_typeET2_T3_PNS13_IS18_E10value_typeET4_jRbjT5_S1E_jjP12ihipStream_tbEUljE_ZNSN_ISO_Lb1ESQ_SR_ST_SU_SY_EESZ_S10_S11_S12_S16_S17_S18_S1B_S1C_jS1D_jS1E_S1E_jjS1G_bEUljE0_EEESZ_S10_S11_S18_S1C_S1E_T6_T7_T9_mT8_S1G_bDpT10_ENKUlT_T0_E_clISt17integral_constantIbLb1EES1U_EEDaS1P_S1Q_EUlS1P_E_NS1_11comp_targetILNS1_3genE9ELNS1_11target_archE1100ELNS1_3gpuE3ELNS1_3repE0EEENS1_30default_config_static_selectorELNS0_4arch9wavefront6targetE0EEEvS12_.has_indirect_call, 0
	.section	.AMDGPU.csdata,"",@progbits
; Kernel info:
; codeLenInByte = 0
; TotalNumSgprs: 0
; NumVgprs: 0
; ScratchSize: 0
; MemoryBound: 0
; FloatMode: 240
; IeeeMode: 1
; LDSByteSize: 0 bytes/workgroup (compile time only)
; SGPRBlocks: 0
; VGPRBlocks: 0
; NumSGPRsForWavesPerEU: 1
; NumVGPRsForWavesPerEU: 1
; NamedBarCnt: 0
; Occupancy: 16
; WaveLimiterHint : 0
; COMPUTE_PGM_RSRC2:SCRATCH_EN: 0
; COMPUTE_PGM_RSRC2:USER_SGPR: 2
; COMPUTE_PGM_RSRC2:TRAP_HANDLER: 0
; COMPUTE_PGM_RSRC2:TGID_X_EN: 1
; COMPUTE_PGM_RSRC2:TGID_Y_EN: 0
; COMPUTE_PGM_RSRC2:TGID_Z_EN: 0
; COMPUTE_PGM_RSRC2:TIDIG_COMP_CNT: 0
	.section	.text._ZN7rocprim17ROCPRIM_400000_NS6detail17trampoline_kernelINS0_13select_configILj256ELj13ELNS0_17block_load_methodE3ELS4_3ELS4_3ELNS0_20block_scan_algorithmE0ELj4294967295EEENS1_25partition_config_selectorILNS1_17partition_subalgoE4EjNS0_10empty_typeEbEEZZNS1_14partition_implILS8_4ELb0ES6_15HIP_vector_typeIjLj2EENS0_17counting_iteratorIjlEEPS9_SG_NS0_5tupleIJPjSI_NS0_16reverse_iteratorISI_EEEEENSH_IJSG_SG_SG_EEES9_SI_JZNS1_25segmented_radix_sort_implINS0_14default_configELb1EPKiPiPKlPlN2at6native12_GLOBAL__N_18offset_tEEE10hipError_tPvRmT1_PNSt15iterator_traitsIS12_E10value_typeET2_T3_PNS13_IS18_E10value_typeET4_jRbjT5_S1E_jjP12ihipStream_tbEUljE_ZNSN_ISO_Lb1ESQ_SR_ST_SU_SY_EESZ_S10_S11_S12_S16_S17_S18_S1B_S1C_jS1D_jS1E_S1E_jjS1G_bEUljE0_EEESZ_S10_S11_S18_S1C_S1E_T6_T7_T9_mT8_S1G_bDpT10_ENKUlT_T0_E_clISt17integral_constantIbLb1EES1U_EEDaS1P_S1Q_EUlS1P_E_NS1_11comp_targetILNS1_3genE8ELNS1_11target_archE1030ELNS1_3gpuE2ELNS1_3repE0EEENS1_30default_config_static_selectorELNS0_4arch9wavefront6targetE0EEEvS12_,"axG",@progbits,_ZN7rocprim17ROCPRIM_400000_NS6detail17trampoline_kernelINS0_13select_configILj256ELj13ELNS0_17block_load_methodE3ELS4_3ELS4_3ELNS0_20block_scan_algorithmE0ELj4294967295EEENS1_25partition_config_selectorILNS1_17partition_subalgoE4EjNS0_10empty_typeEbEEZZNS1_14partition_implILS8_4ELb0ES6_15HIP_vector_typeIjLj2EENS0_17counting_iteratorIjlEEPS9_SG_NS0_5tupleIJPjSI_NS0_16reverse_iteratorISI_EEEEENSH_IJSG_SG_SG_EEES9_SI_JZNS1_25segmented_radix_sort_implINS0_14default_configELb1EPKiPiPKlPlN2at6native12_GLOBAL__N_18offset_tEEE10hipError_tPvRmT1_PNSt15iterator_traitsIS12_E10value_typeET2_T3_PNS13_IS18_E10value_typeET4_jRbjT5_S1E_jjP12ihipStream_tbEUljE_ZNSN_ISO_Lb1ESQ_SR_ST_SU_SY_EESZ_S10_S11_S12_S16_S17_S18_S1B_S1C_jS1D_jS1E_S1E_jjS1G_bEUljE0_EEESZ_S10_S11_S18_S1C_S1E_T6_T7_T9_mT8_S1G_bDpT10_ENKUlT_T0_E_clISt17integral_constantIbLb1EES1U_EEDaS1P_S1Q_EUlS1P_E_NS1_11comp_targetILNS1_3genE8ELNS1_11target_archE1030ELNS1_3gpuE2ELNS1_3repE0EEENS1_30default_config_static_selectorELNS0_4arch9wavefront6targetE0EEEvS12_,comdat
	.globl	_ZN7rocprim17ROCPRIM_400000_NS6detail17trampoline_kernelINS0_13select_configILj256ELj13ELNS0_17block_load_methodE3ELS4_3ELS4_3ELNS0_20block_scan_algorithmE0ELj4294967295EEENS1_25partition_config_selectorILNS1_17partition_subalgoE4EjNS0_10empty_typeEbEEZZNS1_14partition_implILS8_4ELb0ES6_15HIP_vector_typeIjLj2EENS0_17counting_iteratorIjlEEPS9_SG_NS0_5tupleIJPjSI_NS0_16reverse_iteratorISI_EEEEENSH_IJSG_SG_SG_EEES9_SI_JZNS1_25segmented_radix_sort_implINS0_14default_configELb1EPKiPiPKlPlN2at6native12_GLOBAL__N_18offset_tEEE10hipError_tPvRmT1_PNSt15iterator_traitsIS12_E10value_typeET2_T3_PNS13_IS18_E10value_typeET4_jRbjT5_S1E_jjP12ihipStream_tbEUljE_ZNSN_ISO_Lb1ESQ_SR_ST_SU_SY_EESZ_S10_S11_S12_S16_S17_S18_S1B_S1C_jS1D_jS1E_S1E_jjS1G_bEUljE0_EEESZ_S10_S11_S18_S1C_S1E_T6_T7_T9_mT8_S1G_bDpT10_ENKUlT_T0_E_clISt17integral_constantIbLb1EES1U_EEDaS1P_S1Q_EUlS1P_E_NS1_11comp_targetILNS1_3genE8ELNS1_11target_archE1030ELNS1_3gpuE2ELNS1_3repE0EEENS1_30default_config_static_selectorELNS0_4arch9wavefront6targetE0EEEvS12_ ; -- Begin function _ZN7rocprim17ROCPRIM_400000_NS6detail17trampoline_kernelINS0_13select_configILj256ELj13ELNS0_17block_load_methodE3ELS4_3ELS4_3ELNS0_20block_scan_algorithmE0ELj4294967295EEENS1_25partition_config_selectorILNS1_17partition_subalgoE4EjNS0_10empty_typeEbEEZZNS1_14partition_implILS8_4ELb0ES6_15HIP_vector_typeIjLj2EENS0_17counting_iteratorIjlEEPS9_SG_NS0_5tupleIJPjSI_NS0_16reverse_iteratorISI_EEEEENSH_IJSG_SG_SG_EEES9_SI_JZNS1_25segmented_radix_sort_implINS0_14default_configELb1EPKiPiPKlPlN2at6native12_GLOBAL__N_18offset_tEEE10hipError_tPvRmT1_PNSt15iterator_traitsIS12_E10value_typeET2_T3_PNS13_IS18_E10value_typeET4_jRbjT5_S1E_jjP12ihipStream_tbEUljE_ZNSN_ISO_Lb1ESQ_SR_ST_SU_SY_EESZ_S10_S11_S12_S16_S17_S18_S1B_S1C_jS1D_jS1E_S1E_jjS1G_bEUljE0_EEESZ_S10_S11_S18_S1C_S1E_T6_T7_T9_mT8_S1G_bDpT10_ENKUlT_T0_E_clISt17integral_constantIbLb1EES1U_EEDaS1P_S1Q_EUlS1P_E_NS1_11comp_targetILNS1_3genE8ELNS1_11target_archE1030ELNS1_3gpuE2ELNS1_3repE0EEENS1_30default_config_static_selectorELNS0_4arch9wavefront6targetE0EEEvS12_
	.p2align	8
	.type	_ZN7rocprim17ROCPRIM_400000_NS6detail17trampoline_kernelINS0_13select_configILj256ELj13ELNS0_17block_load_methodE3ELS4_3ELS4_3ELNS0_20block_scan_algorithmE0ELj4294967295EEENS1_25partition_config_selectorILNS1_17partition_subalgoE4EjNS0_10empty_typeEbEEZZNS1_14partition_implILS8_4ELb0ES6_15HIP_vector_typeIjLj2EENS0_17counting_iteratorIjlEEPS9_SG_NS0_5tupleIJPjSI_NS0_16reverse_iteratorISI_EEEEENSH_IJSG_SG_SG_EEES9_SI_JZNS1_25segmented_radix_sort_implINS0_14default_configELb1EPKiPiPKlPlN2at6native12_GLOBAL__N_18offset_tEEE10hipError_tPvRmT1_PNSt15iterator_traitsIS12_E10value_typeET2_T3_PNS13_IS18_E10value_typeET4_jRbjT5_S1E_jjP12ihipStream_tbEUljE_ZNSN_ISO_Lb1ESQ_SR_ST_SU_SY_EESZ_S10_S11_S12_S16_S17_S18_S1B_S1C_jS1D_jS1E_S1E_jjS1G_bEUljE0_EEESZ_S10_S11_S18_S1C_S1E_T6_T7_T9_mT8_S1G_bDpT10_ENKUlT_T0_E_clISt17integral_constantIbLb1EES1U_EEDaS1P_S1Q_EUlS1P_E_NS1_11comp_targetILNS1_3genE8ELNS1_11target_archE1030ELNS1_3gpuE2ELNS1_3repE0EEENS1_30default_config_static_selectorELNS0_4arch9wavefront6targetE0EEEvS12_,@function
_ZN7rocprim17ROCPRIM_400000_NS6detail17trampoline_kernelINS0_13select_configILj256ELj13ELNS0_17block_load_methodE3ELS4_3ELS4_3ELNS0_20block_scan_algorithmE0ELj4294967295EEENS1_25partition_config_selectorILNS1_17partition_subalgoE4EjNS0_10empty_typeEbEEZZNS1_14partition_implILS8_4ELb0ES6_15HIP_vector_typeIjLj2EENS0_17counting_iteratorIjlEEPS9_SG_NS0_5tupleIJPjSI_NS0_16reverse_iteratorISI_EEEEENSH_IJSG_SG_SG_EEES9_SI_JZNS1_25segmented_radix_sort_implINS0_14default_configELb1EPKiPiPKlPlN2at6native12_GLOBAL__N_18offset_tEEE10hipError_tPvRmT1_PNSt15iterator_traitsIS12_E10value_typeET2_T3_PNS13_IS18_E10value_typeET4_jRbjT5_S1E_jjP12ihipStream_tbEUljE_ZNSN_ISO_Lb1ESQ_SR_ST_SU_SY_EESZ_S10_S11_S12_S16_S17_S18_S1B_S1C_jS1D_jS1E_S1E_jjS1G_bEUljE0_EEESZ_S10_S11_S18_S1C_S1E_T6_T7_T9_mT8_S1G_bDpT10_ENKUlT_T0_E_clISt17integral_constantIbLb1EES1U_EEDaS1P_S1Q_EUlS1P_E_NS1_11comp_targetILNS1_3genE8ELNS1_11target_archE1030ELNS1_3gpuE2ELNS1_3repE0EEENS1_30default_config_static_selectorELNS0_4arch9wavefront6targetE0EEEvS12_: ; @_ZN7rocprim17ROCPRIM_400000_NS6detail17trampoline_kernelINS0_13select_configILj256ELj13ELNS0_17block_load_methodE3ELS4_3ELS4_3ELNS0_20block_scan_algorithmE0ELj4294967295EEENS1_25partition_config_selectorILNS1_17partition_subalgoE4EjNS0_10empty_typeEbEEZZNS1_14partition_implILS8_4ELb0ES6_15HIP_vector_typeIjLj2EENS0_17counting_iteratorIjlEEPS9_SG_NS0_5tupleIJPjSI_NS0_16reverse_iteratorISI_EEEEENSH_IJSG_SG_SG_EEES9_SI_JZNS1_25segmented_radix_sort_implINS0_14default_configELb1EPKiPiPKlPlN2at6native12_GLOBAL__N_18offset_tEEE10hipError_tPvRmT1_PNSt15iterator_traitsIS12_E10value_typeET2_T3_PNS13_IS18_E10value_typeET4_jRbjT5_S1E_jjP12ihipStream_tbEUljE_ZNSN_ISO_Lb1ESQ_SR_ST_SU_SY_EESZ_S10_S11_S12_S16_S17_S18_S1B_S1C_jS1D_jS1E_S1E_jjS1G_bEUljE0_EEESZ_S10_S11_S18_S1C_S1E_T6_T7_T9_mT8_S1G_bDpT10_ENKUlT_T0_E_clISt17integral_constantIbLb1EES1U_EEDaS1P_S1Q_EUlS1P_E_NS1_11comp_targetILNS1_3genE8ELNS1_11target_archE1030ELNS1_3gpuE2ELNS1_3repE0EEENS1_30default_config_static_selectorELNS0_4arch9wavefront6targetE0EEEvS12_
; %bb.0:
	.section	.rodata,"a",@progbits
	.p2align	6, 0x0
	.amdhsa_kernel _ZN7rocprim17ROCPRIM_400000_NS6detail17trampoline_kernelINS0_13select_configILj256ELj13ELNS0_17block_load_methodE3ELS4_3ELS4_3ELNS0_20block_scan_algorithmE0ELj4294967295EEENS1_25partition_config_selectorILNS1_17partition_subalgoE4EjNS0_10empty_typeEbEEZZNS1_14partition_implILS8_4ELb0ES6_15HIP_vector_typeIjLj2EENS0_17counting_iteratorIjlEEPS9_SG_NS0_5tupleIJPjSI_NS0_16reverse_iteratorISI_EEEEENSH_IJSG_SG_SG_EEES9_SI_JZNS1_25segmented_radix_sort_implINS0_14default_configELb1EPKiPiPKlPlN2at6native12_GLOBAL__N_18offset_tEEE10hipError_tPvRmT1_PNSt15iterator_traitsIS12_E10value_typeET2_T3_PNS13_IS18_E10value_typeET4_jRbjT5_S1E_jjP12ihipStream_tbEUljE_ZNSN_ISO_Lb1ESQ_SR_ST_SU_SY_EESZ_S10_S11_S12_S16_S17_S18_S1B_S1C_jS1D_jS1E_S1E_jjS1G_bEUljE0_EEESZ_S10_S11_S18_S1C_S1E_T6_T7_T9_mT8_S1G_bDpT10_ENKUlT_T0_E_clISt17integral_constantIbLb1EES1U_EEDaS1P_S1Q_EUlS1P_E_NS1_11comp_targetILNS1_3genE8ELNS1_11target_archE1030ELNS1_3gpuE2ELNS1_3repE0EEENS1_30default_config_static_selectorELNS0_4arch9wavefront6targetE0EEEvS12_
		.amdhsa_group_segment_fixed_size 0
		.amdhsa_private_segment_fixed_size 0
		.amdhsa_kernarg_size 184
		.amdhsa_user_sgpr_count 2
		.amdhsa_user_sgpr_dispatch_ptr 0
		.amdhsa_user_sgpr_queue_ptr 0
		.amdhsa_user_sgpr_kernarg_segment_ptr 1
		.amdhsa_user_sgpr_dispatch_id 0
		.amdhsa_user_sgpr_kernarg_preload_length 0
		.amdhsa_user_sgpr_kernarg_preload_offset 0
		.amdhsa_user_sgpr_private_segment_size 0
		.amdhsa_wavefront_size32 1
		.amdhsa_uses_dynamic_stack 0
		.amdhsa_enable_private_segment 0
		.amdhsa_system_sgpr_workgroup_id_x 1
		.amdhsa_system_sgpr_workgroup_id_y 0
		.amdhsa_system_sgpr_workgroup_id_z 0
		.amdhsa_system_sgpr_workgroup_info 0
		.amdhsa_system_vgpr_workitem_id 0
		.amdhsa_next_free_vgpr 1
		.amdhsa_next_free_sgpr 1
		.amdhsa_named_barrier_count 0
		.amdhsa_reserve_vcc 0
		.amdhsa_float_round_mode_32 0
		.amdhsa_float_round_mode_16_64 0
		.amdhsa_float_denorm_mode_32 3
		.amdhsa_float_denorm_mode_16_64 3
		.amdhsa_fp16_overflow 0
		.amdhsa_memory_ordered 1
		.amdhsa_forward_progress 1
		.amdhsa_inst_pref_size 0
		.amdhsa_round_robin_scheduling 0
		.amdhsa_exception_fp_ieee_invalid_op 0
		.amdhsa_exception_fp_denorm_src 0
		.amdhsa_exception_fp_ieee_div_zero 0
		.amdhsa_exception_fp_ieee_overflow 0
		.amdhsa_exception_fp_ieee_underflow 0
		.amdhsa_exception_fp_ieee_inexact 0
		.amdhsa_exception_int_div_zero 0
	.end_amdhsa_kernel
	.section	.text._ZN7rocprim17ROCPRIM_400000_NS6detail17trampoline_kernelINS0_13select_configILj256ELj13ELNS0_17block_load_methodE3ELS4_3ELS4_3ELNS0_20block_scan_algorithmE0ELj4294967295EEENS1_25partition_config_selectorILNS1_17partition_subalgoE4EjNS0_10empty_typeEbEEZZNS1_14partition_implILS8_4ELb0ES6_15HIP_vector_typeIjLj2EENS0_17counting_iteratorIjlEEPS9_SG_NS0_5tupleIJPjSI_NS0_16reverse_iteratorISI_EEEEENSH_IJSG_SG_SG_EEES9_SI_JZNS1_25segmented_radix_sort_implINS0_14default_configELb1EPKiPiPKlPlN2at6native12_GLOBAL__N_18offset_tEEE10hipError_tPvRmT1_PNSt15iterator_traitsIS12_E10value_typeET2_T3_PNS13_IS18_E10value_typeET4_jRbjT5_S1E_jjP12ihipStream_tbEUljE_ZNSN_ISO_Lb1ESQ_SR_ST_SU_SY_EESZ_S10_S11_S12_S16_S17_S18_S1B_S1C_jS1D_jS1E_S1E_jjS1G_bEUljE0_EEESZ_S10_S11_S18_S1C_S1E_T6_T7_T9_mT8_S1G_bDpT10_ENKUlT_T0_E_clISt17integral_constantIbLb1EES1U_EEDaS1P_S1Q_EUlS1P_E_NS1_11comp_targetILNS1_3genE8ELNS1_11target_archE1030ELNS1_3gpuE2ELNS1_3repE0EEENS1_30default_config_static_selectorELNS0_4arch9wavefront6targetE0EEEvS12_,"axG",@progbits,_ZN7rocprim17ROCPRIM_400000_NS6detail17trampoline_kernelINS0_13select_configILj256ELj13ELNS0_17block_load_methodE3ELS4_3ELS4_3ELNS0_20block_scan_algorithmE0ELj4294967295EEENS1_25partition_config_selectorILNS1_17partition_subalgoE4EjNS0_10empty_typeEbEEZZNS1_14partition_implILS8_4ELb0ES6_15HIP_vector_typeIjLj2EENS0_17counting_iteratorIjlEEPS9_SG_NS0_5tupleIJPjSI_NS0_16reverse_iteratorISI_EEEEENSH_IJSG_SG_SG_EEES9_SI_JZNS1_25segmented_radix_sort_implINS0_14default_configELb1EPKiPiPKlPlN2at6native12_GLOBAL__N_18offset_tEEE10hipError_tPvRmT1_PNSt15iterator_traitsIS12_E10value_typeET2_T3_PNS13_IS18_E10value_typeET4_jRbjT5_S1E_jjP12ihipStream_tbEUljE_ZNSN_ISO_Lb1ESQ_SR_ST_SU_SY_EESZ_S10_S11_S12_S16_S17_S18_S1B_S1C_jS1D_jS1E_S1E_jjS1G_bEUljE0_EEESZ_S10_S11_S18_S1C_S1E_T6_T7_T9_mT8_S1G_bDpT10_ENKUlT_T0_E_clISt17integral_constantIbLb1EES1U_EEDaS1P_S1Q_EUlS1P_E_NS1_11comp_targetILNS1_3genE8ELNS1_11target_archE1030ELNS1_3gpuE2ELNS1_3repE0EEENS1_30default_config_static_selectorELNS0_4arch9wavefront6targetE0EEEvS12_,comdat
.Lfunc_end444:
	.size	_ZN7rocprim17ROCPRIM_400000_NS6detail17trampoline_kernelINS0_13select_configILj256ELj13ELNS0_17block_load_methodE3ELS4_3ELS4_3ELNS0_20block_scan_algorithmE0ELj4294967295EEENS1_25partition_config_selectorILNS1_17partition_subalgoE4EjNS0_10empty_typeEbEEZZNS1_14partition_implILS8_4ELb0ES6_15HIP_vector_typeIjLj2EENS0_17counting_iteratorIjlEEPS9_SG_NS0_5tupleIJPjSI_NS0_16reverse_iteratorISI_EEEEENSH_IJSG_SG_SG_EEES9_SI_JZNS1_25segmented_radix_sort_implINS0_14default_configELb1EPKiPiPKlPlN2at6native12_GLOBAL__N_18offset_tEEE10hipError_tPvRmT1_PNSt15iterator_traitsIS12_E10value_typeET2_T3_PNS13_IS18_E10value_typeET4_jRbjT5_S1E_jjP12ihipStream_tbEUljE_ZNSN_ISO_Lb1ESQ_SR_ST_SU_SY_EESZ_S10_S11_S12_S16_S17_S18_S1B_S1C_jS1D_jS1E_S1E_jjS1G_bEUljE0_EEESZ_S10_S11_S18_S1C_S1E_T6_T7_T9_mT8_S1G_bDpT10_ENKUlT_T0_E_clISt17integral_constantIbLb1EES1U_EEDaS1P_S1Q_EUlS1P_E_NS1_11comp_targetILNS1_3genE8ELNS1_11target_archE1030ELNS1_3gpuE2ELNS1_3repE0EEENS1_30default_config_static_selectorELNS0_4arch9wavefront6targetE0EEEvS12_, .Lfunc_end444-_ZN7rocprim17ROCPRIM_400000_NS6detail17trampoline_kernelINS0_13select_configILj256ELj13ELNS0_17block_load_methodE3ELS4_3ELS4_3ELNS0_20block_scan_algorithmE0ELj4294967295EEENS1_25partition_config_selectorILNS1_17partition_subalgoE4EjNS0_10empty_typeEbEEZZNS1_14partition_implILS8_4ELb0ES6_15HIP_vector_typeIjLj2EENS0_17counting_iteratorIjlEEPS9_SG_NS0_5tupleIJPjSI_NS0_16reverse_iteratorISI_EEEEENSH_IJSG_SG_SG_EEES9_SI_JZNS1_25segmented_radix_sort_implINS0_14default_configELb1EPKiPiPKlPlN2at6native12_GLOBAL__N_18offset_tEEE10hipError_tPvRmT1_PNSt15iterator_traitsIS12_E10value_typeET2_T3_PNS13_IS18_E10value_typeET4_jRbjT5_S1E_jjP12ihipStream_tbEUljE_ZNSN_ISO_Lb1ESQ_SR_ST_SU_SY_EESZ_S10_S11_S12_S16_S17_S18_S1B_S1C_jS1D_jS1E_S1E_jjS1G_bEUljE0_EEESZ_S10_S11_S18_S1C_S1E_T6_T7_T9_mT8_S1G_bDpT10_ENKUlT_T0_E_clISt17integral_constantIbLb1EES1U_EEDaS1P_S1Q_EUlS1P_E_NS1_11comp_targetILNS1_3genE8ELNS1_11target_archE1030ELNS1_3gpuE2ELNS1_3repE0EEENS1_30default_config_static_selectorELNS0_4arch9wavefront6targetE0EEEvS12_
                                        ; -- End function
	.set _ZN7rocprim17ROCPRIM_400000_NS6detail17trampoline_kernelINS0_13select_configILj256ELj13ELNS0_17block_load_methodE3ELS4_3ELS4_3ELNS0_20block_scan_algorithmE0ELj4294967295EEENS1_25partition_config_selectorILNS1_17partition_subalgoE4EjNS0_10empty_typeEbEEZZNS1_14partition_implILS8_4ELb0ES6_15HIP_vector_typeIjLj2EENS0_17counting_iteratorIjlEEPS9_SG_NS0_5tupleIJPjSI_NS0_16reverse_iteratorISI_EEEEENSH_IJSG_SG_SG_EEES9_SI_JZNS1_25segmented_radix_sort_implINS0_14default_configELb1EPKiPiPKlPlN2at6native12_GLOBAL__N_18offset_tEEE10hipError_tPvRmT1_PNSt15iterator_traitsIS12_E10value_typeET2_T3_PNS13_IS18_E10value_typeET4_jRbjT5_S1E_jjP12ihipStream_tbEUljE_ZNSN_ISO_Lb1ESQ_SR_ST_SU_SY_EESZ_S10_S11_S12_S16_S17_S18_S1B_S1C_jS1D_jS1E_S1E_jjS1G_bEUljE0_EEESZ_S10_S11_S18_S1C_S1E_T6_T7_T9_mT8_S1G_bDpT10_ENKUlT_T0_E_clISt17integral_constantIbLb1EES1U_EEDaS1P_S1Q_EUlS1P_E_NS1_11comp_targetILNS1_3genE8ELNS1_11target_archE1030ELNS1_3gpuE2ELNS1_3repE0EEENS1_30default_config_static_selectorELNS0_4arch9wavefront6targetE0EEEvS12_.num_vgpr, 0
	.set _ZN7rocprim17ROCPRIM_400000_NS6detail17trampoline_kernelINS0_13select_configILj256ELj13ELNS0_17block_load_methodE3ELS4_3ELS4_3ELNS0_20block_scan_algorithmE0ELj4294967295EEENS1_25partition_config_selectorILNS1_17partition_subalgoE4EjNS0_10empty_typeEbEEZZNS1_14partition_implILS8_4ELb0ES6_15HIP_vector_typeIjLj2EENS0_17counting_iteratorIjlEEPS9_SG_NS0_5tupleIJPjSI_NS0_16reverse_iteratorISI_EEEEENSH_IJSG_SG_SG_EEES9_SI_JZNS1_25segmented_radix_sort_implINS0_14default_configELb1EPKiPiPKlPlN2at6native12_GLOBAL__N_18offset_tEEE10hipError_tPvRmT1_PNSt15iterator_traitsIS12_E10value_typeET2_T3_PNS13_IS18_E10value_typeET4_jRbjT5_S1E_jjP12ihipStream_tbEUljE_ZNSN_ISO_Lb1ESQ_SR_ST_SU_SY_EESZ_S10_S11_S12_S16_S17_S18_S1B_S1C_jS1D_jS1E_S1E_jjS1G_bEUljE0_EEESZ_S10_S11_S18_S1C_S1E_T6_T7_T9_mT8_S1G_bDpT10_ENKUlT_T0_E_clISt17integral_constantIbLb1EES1U_EEDaS1P_S1Q_EUlS1P_E_NS1_11comp_targetILNS1_3genE8ELNS1_11target_archE1030ELNS1_3gpuE2ELNS1_3repE0EEENS1_30default_config_static_selectorELNS0_4arch9wavefront6targetE0EEEvS12_.num_agpr, 0
	.set _ZN7rocprim17ROCPRIM_400000_NS6detail17trampoline_kernelINS0_13select_configILj256ELj13ELNS0_17block_load_methodE3ELS4_3ELS4_3ELNS0_20block_scan_algorithmE0ELj4294967295EEENS1_25partition_config_selectorILNS1_17partition_subalgoE4EjNS0_10empty_typeEbEEZZNS1_14partition_implILS8_4ELb0ES6_15HIP_vector_typeIjLj2EENS0_17counting_iteratorIjlEEPS9_SG_NS0_5tupleIJPjSI_NS0_16reverse_iteratorISI_EEEEENSH_IJSG_SG_SG_EEES9_SI_JZNS1_25segmented_radix_sort_implINS0_14default_configELb1EPKiPiPKlPlN2at6native12_GLOBAL__N_18offset_tEEE10hipError_tPvRmT1_PNSt15iterator_traitsIS12_E10value_typeET2_T3_PNS13_IS18_E10value_typeET4_jRbjT5_S1E_jjP12ihipStream_tbEUljE_ZNSN_ISO_Lb1ESQ_SR_ST_SU_SY_EESZ_S10_S11_S12_S16_S17_S18_S1B_S1C_jS1D_jS1E_S1E_jjS1G_bEUljE0_EEESZ_S10_S11_S18_S1C_S1E_T6_T7_T9_mT8_S1G_bDpT10_ENKUlT_T0_E_clISt17integral_constantIbLb1EES1U_EEDaS1P_S1Q_EUlS1P_E_NS1_11comp_targetILNS1_3genE8ELNS1_11target_archE1030ELNS1_3gpuE2ELNS1_3repE0EEENS1_30default_config_static_selectorELNS0_4arch9wavefront6targetE0EEEvS12_.numbered_sgpr, 0
	.set _ZN7rocprim17ROCPRIM_400000_NS6detail17trampoline_kernelINS0_13select_configILj256ELj13ELNS0_17block_load_methodE3ELS4_3ELS4_3ELNS0_20block_scan_algorithmE0ELj4294967295EEENS1_25partition_config_selectorILNS1_17partition_subalgoE4EjNS0_10empty_typeEbEEZZNS1_14partition_implILS8_4ELb0ES6_15HIP_vector_typeIjLj2EENS0_17counting_iteratorIjlEEPS9_SG_NS0_5tupleIJPjSI_NS0_16reverse_iteratorISI_EEEEENSH_IJSG_SG_SG_EEES9_SI_JZNS1_25segmented_radix_sort_implINS0_14default_configELb1EPKiPiPKlPlN2at6native12_GLOBAL__N_18offset_tEEE10hipError_tPvRmT1_PNSt15iterator_traitsIS12_E10value_typeET2_T3_PNS13_IS18_E10value_typeET4_jRbjT5_S1E_jjP12ihipStream_tbEUljE_ZNSN_ISO_Lb1ESQ_SR_ST_SU_SY_EESZ_S10_S11_S12_S16_S17_S18_S1B_S1C_jS1D_jS1E_S1E_jjS1G_bEUljE0_EEESZ_S10_S11_S18_S1C_S1E_T6_T7_T9_mT8_S1G_bDpT10_ENKUlT_T0_E_clISt17integral_constantIbLb1EES1U_EEDaS1P_S1Q_EUlS1P_E_NS1_11comp_targetILNS1_3genE8ELNS1_11target_archE1030ELNS1_3gpuE2ELNS1_3repE0EEENS1_30default_config_static_selectorELNS0_4arch9wavefront6targetE0EEEvS12_.num_named_barrier, 0
	.set _ZN7rocprim17ROCPRIM_400000_NS6detail17trampoline_kernelINS0_13select_configILj256ELj13ELNS0_17block_load_methodE3ELS4_3ELS4_3ELNS0_20block_scan_algorithmE0ELj4294967295EEENS1_25partition_config_selectorILNS1_17partition_subalgoE4EjNS0_10empty_typeEbEEZZNS1_14partition_implILS8_4ELb0ES6_15HIP_vector_typeIjLj2EENS0_17counting_iteratorIjlEEPS9_SG_NS0_5tupleIJPjSI_NS0_16reverse_iteratorISI_EEEEENSH_IJSG_SG_SG_EEES9_SI_JZNS1_25segmented_radix_sort_implINS0_14default_configELb1EPKiPiPKlPlN2at6native12_GLOBAL__N_18offset_tEEE10hipError_tPvRmT1_PNSt15iterator_traitsIS12_E10value_typeET2_T3_PNS13_IS18_E10value_typeET4_jRbjT5_S1E_jjP12ihipStream_tbEUljE_ZNSN_ISO_Lb1ESQ_SR_ST_SU_SY_EESZ_S10_S11_S12_S16_S17_S18_S1B_S1C_jS1D_jS1E_S1E_jjS1G_bEUljE0_EEESZ_S10_S11_S18_S1C_S1E_T6_T7_T9_mT8_S1G_bDpT10_ENKUlT_T0_E_clISt17integral_constantIbLb1EES1U_EEDaS1P_S1Q_EUlS1P_E_NS1_11comp_targetILNS1_3genE8ELNS1_11target_archE1030ELNS1_3gpuE2ELNS1_3repE0EEENS1_30default_config_static_selectorELNS0_4arch9wavefront6targetE0EEEvS12_.private_seg_size, 0
	.set _ZN7rocprim17ROCPRIM_400000_NS6detail17trampoline_kernelINS0_13select_configILj256ELj13ELNS0_17block_load_methodE3ELS4_3ELS4_3ELNS0_20block_scan_algorithmE0ELj4294967295EEENS1_25partition_config_selectorILNS1_17partition_subalgoE4EjNS0_10empty_typeEbEEZZNS1_14partition_implILS8_4ELb0ES6_15HIP_vector_typeIjLj2EENS0_17counting_iteratorIjlEEPS9_SG_NS0_5tupleIJPjSI_NS0_16reverse_iteratorISI_EEEEENSH_IJSG_SG_SG_EEES9_SI_JZNS1_25segmented_radix_sort_implINS0_14default_configELb1EPKiPiPKlPlN2at6native12_GLOBAL__N_18offset_tEEE10hipError_tPvRmT1_PNSt15iterator_traitsIS12_E10value_typeET2_T3_PNS13_IS18_E10value_typeET4_jRbjT5_S1E_jjP12ihipStream_tbEUljE_ZNSN_ISO_Lb1ESQ_SR_ST_SU_SY_EESZ_S10_S11_S12_S16_S17_S18_S1B_S1C_jS1D_jS1E_S1E_jjS1G_bEUljE0_EEESZ_S10_S11_S18_S1C_S1E_T6_T7_T9_mT8_S1G_bDpT10_ENKUlT_T0_E_clISt17integral_constantIbLb1EES1U_EEDaS1P_S1Q_EUlS1P_E_NS1_11comp_targetILNS1_3genE8ELNS1_11target_archE1030ELNS1_3gpuE2ELNS1_3repE0EEENS1_30default_config_static_selectorELNS0_4arch9wavefront6targetE0EEEvS12_.uses_vcc, 0
	.set _ZN7rocprim17ROCPRIM_400000_NS6detail17trampoline_kernelINS0_13select_configILj256ELj13ELNS0_17block_load_methodE3ELS4_3ELS4_3ELNS0_20block_scan_algorithmE0ELj4294967295EEENS1_25partition_config_selectorILNS1_17partition_subalgoE4EjNS0_10empty_typeEbEEZZNS1_14partition_implILS8_4ELb0ES6_15HIP_vector_typeIjLj2EENS0_17counting_iteratorIjlEEPS9_SG_NS0_5tupleIJPjSI_NS0_16reverse_iteratorISI_EEEEENSH_IJSG_SG_SG_EEES9_SI_JZNS1_25segmented_radix_sort_implINS0_14default_configELb1EPKiPiPKlPlN2at6native12_GLOBAL__N_18offset_tEEE10hipError_tPvRmT1_PNSt15iterator_traitsIS12_E10value_typeET2_T3_PNS13_IS18_E10value_typeET4_jRbjT5_S1E_jjP12ihipStream_tbEUljE_ZNSN_ISO_Lb1ESQ_SR_ST_SU_SY_EESZ_S10_S11_S12_S16_S17_S18_S1B_S1C_jS1D_jS1E_S1E_jjS1G_bEUljE0_EEESZ_S10_S11_S18_S1C_S1E_T6_T7_T9_mT8_S1G_bDpT10_ENKUlT_T0_E_clISt17integral_constantIbLb1EES1U_EEDaS1P_S1Q_EUlS1P_E_NS1_11comp_targetILNS1_3genE8ELNS1_11target_archE1030ELNS1_3gpuE2ELNS1_3repE0EEENS1_30default_config_static_selectorELNS0_4arch9wavefront6targetE0EEEvS12_.uses_flat_scratch, 0
	.set _ZN7rocprim17ROCPRIM_400000_NS6detail17trampoline_kernelINS0_13select_configILj256ELj13ELNS0_17block_load_methodE3ELS4_3ELS4_3ELNS0_20block_scan_algorithmE0ELj4294967295EEENS1_25partition_config_selectorILNS1_17partition_subalgoE4EjNS0_10empty_typeEbEEZZNS1_14partition_implILS8_4ELb0ES6_15HIP_vector_typeIjLj2EENS0_17counting_iteratorIjlEEPS9_SG_NS0_5tupleIJPjSI_NS0_16reverse_iteratorISI_EEEEENSH_IJSG_SG_SG_EEES9_SI_JZNS1_25segmented_radix_sort_implINS0_14default_configELb1EPKiPiPKlPlN2at6native12_GLOBAL__N_18offset_tEEE10hipError_tPvRmT1_PNSt15iterator_traitsIS12_E10value_typeET2_T3_PNS13_IS18_E10value_typeET4_jRbjT5_S1E_jjP12ihipStream_tbEUljE_ZNSN_ISO_Lb1ESQ_SR_ST_SU_SY_EESZ_S10_S11_S12_S16_S17_S18_S1B_S1C_jS1D_jS1E_S1E_jjS1G_bEUljE0_EEESZ_S10_S11_S18_S1C_S1E_T6_T7_T9_mT8_S1G_bDpT10_ENKUlT_T0_E_clISt17integral_constantIbLb1EES1U_EEDaS1P_S1Q_EUlS1P_E_NS1_11comp_targetILNS1_3genE8ELNS1_11target_archE1030ELNS1_3gpuE2ELNS1_3repE0EEENS1_30default_config_static_selectorELNS0_4arch9wavefront6targetE0EEEvS12_.has_dyn_sized_stack, 0
	.set _ZN7rocprim17ROCPRIM_400000_NS6detail17trampoline_kernelINS0_13select_configILj256ELj13ELNS0_17block_load_methodE3ELS4_3ELS4_3ELNS0_20block_scan_algorithmE0ELj4294967295EEENS1_25partition_config_selectorILNS1_17partition_subalgoE4EjNS0_10empty_typeEbEEZZNS1_14partition_implILS8_4ELb0ES6_15HIP_vector_typeIjLj2EENS0_17counting_iteratorIjlEEPS9_SG_NS0_5tupleIJPjSI_NS0_16reverse_iteratorISI_EEEEENSH_IJSG_SG_SG_EEES9_SI_JZNS1_25segmented_radix_sort_implINS0_14default_configELb1EPKiPiPKlPlN2at6native12_GLOBAL__N_18offset_tEEE10hipError_tPvRmT1_PNSt15iterator_traitsIS12_E10value_typeET2_T3_PNS13_IS18_E10value_typeET4_jRbjT5_S1E_jjP12ihipStream_tbEUljE_ZNSN_ISO_Lb1ESQ_SR_ST_SU_SY_EESZ_S10_S11_S12_S16_S17_S18_S1B_S1C_jS1D_jS1E_S1E_jjS1G_bEUljE0_EEESZ_S10_S11_S18_S1C_S1E_T6_T7_T9_mT8_S1G_bDpT10_ENKUlT_T0_E_clISt17integral_constantIbLb1EES1U_EEDaS1P_S1Q_EUlS1P_E_NS1_11comp_targetILNS1_3genE8ELNS1_11target_archE1030ELNS1_3gpuE2ELNS1_3repE0EEENS1_30default_config_static_selectorELNS0_4arch9wavefront6targetE0EEEvS12_.has_recursion, 0
	.set _ZN7rocprim17ROCPRIM_400000_NS6detail17trampoline_kernelINS0_13select_configILj256ELj13ELNS0_17block_load_methodE3ELS4_3ELS4_3ELNS0_20block_scan_algorithmE0ELj4294967295EEENS1_25partition_config_selectorILNS1_17partition_subalgoE4EjNS0_10empty_typeEbEEZZNS1_14partition_implILS8_4ELb0ES6_15HIP_vector_typeIjLj2EENS0_17counting_iteratorIjlEEPS9_SG_NS0_5tupleIJPjSI_NS0_16reverse_iteratorISI_EEEEENSH_IJSG_SG_SG_EEES9_SI_JZNS1_25segmented_radix_sort_implINS0_14default_configELb1EPKiPiPKlPlN2at6native12_GLOBAL__N_18offset_tEEE10hipError_tPvRmT1_PNSt15iterator_traitsIS12_E10value_typeET2_T3_PNS13_IS18_E10value_typeET4_jRbjT5_S1E_jjP12ihipStream_tbEUljE_ZNSN_ISO_Lb1ESQ_SR_ST_SU_SY_EESZ_S10_S11_S12_S16_S17_S18_S1B_S1C_jS1D_jS1E_S1E_jjS1G_bEUljE0_EEESZ_S10_S11_S18_S1C_S1E_T6_T7_T9_mT8_S1G_bDpT10_ENKUlT_T0_E_clISt17integral_constantIbLb1EES1U_EEDaS1P_S1Q_EUlS1P_E_NS1_11comp_targetILNS1_3genE8ELNS1_11target_archE1030ELNS1_3gpuE2ELNS1_3repE0EEENS1_30default_config_static_selectorELNS0_4arch9wavefront6targetE0EEEvS12_.has_indirect_call, 0
	.section	.AMDGPU.csdata,"",@progbits
; Kernel info:
; codeLenInByte = 0
; TotalNumSgprs: 0
; NumVgprs: 0
; ScratchSize: 0
; MemoryBound: 0
; FloatMode: 240
; IeeeMode: 1
; LDSByteSize: 0 bytes/workgroup (compile time only)
; SGPRBlocks: 0
; VGPRBlocks: 0
; NumSGPRsForWavesPerEU: 1
; NumVGPRsForWavesPerEU: 1
; NamedBarCnt: 0
; Occupancy: 16
; WaveLimiterHint : 0
; COMPUTE_PGM_RSRC2:SCRATCH_EN: 0
; COMPUTE_PGM_RSRC2:USER_SGPR: 2
; COMPUTE_PGM_RSRC2:TRAP_HANDLER: 0
; COMPUTE_PGM_RSRC2:TGID_X_EN: 1
; COMPUTE_PGM_RSRC2:TGID_Y_EN: 0
; COMPUTE_PGM_RSRC2:TGID_Z_EN: 0
; COMPUTE_PGM_RSRC2:TIDIG_COMP_CNT: 0
	.section	.text._ZN7rocprim17ROCPRIM_400000_NS6detail17trampoline_kernelINS0_13select_configILj256ELj13ELNS0_17block_load_methodE3ELS4_3ELS4_3ELNS0_20block_scan_algorithmE0ELj4294967295EEENS1_25partition_config_selectorILNS1_17partition_subalgoE4EjNS0_10empty_typeEbEEZZNS1_14partition_implILS8_4ELb0ES6_15HIP_vector_typeIjLj2EENS0_17counting_iteratorIjlEEPS9_SG_NS0_5tupleIJPjSI_NS0_16reverse_iteratorISI_EEEEENSH_IJSG_SG_SG_EEES9_SI_JZNS1_25segmented_radix_sort_implINS0_14default_configELb1EPKiPiPKlPlN2at6native12_GLOBAL__N_18offset_tEEE10hipError_tPvRmT1_PNSt15iterator_traitsIS12_E10value_typeET2_T3_PNS13_IS18_E10value_typeET4_jRbjT5_S1E_jjP12ihipStream_tbEUljE_ZNSN_ISO_Lb1ESQ_SR_ST_SU_SY_EESZ_S10_S11_S12_S16_S17_S18_S1B_S1C_jS1D_jS1E_S1E_jjS1G_bEUljE0_EEESZ_S10_S11_S18_S1C_S1E_T6_T7_T9_mT8_S1G_bDpT10_ENKUlT_T0_E_clISt17integral_constantIbLb1EES1T_IbLb0EEEEDaS1P_S1Q_EUlS1P_E_NS1_11comp_targetILNS1_3genE0ELNS1_11target_archE4294967295ELNS1_3gpuE0ELNS1_3repE0EEENS1_30default_config_static_selectorELNS0_4arch9wavefront6targetE0EEEvS12_,"axG",@progbits,_ZN7rocprim17ROCPRIM_400000_NS6detail17trampoline_kernelINS0_13select_configILj256ELj13ELNS0_17block_load_methodE3ELS4_3ELS4_3ELNS0_20block_scan_algorithmE0ELj4294967295EEENS1_25partition_config_selectorILNS1_17partition_subalgoE4EjNS0_10empty_typeEbEEZZNS1_14partition_implILS8_4ELb0ES6_15HIP_vector_typeIjLj2EENS0_17counting_iteratorIjlEEPS9_SG_NS0_5tupleIJPjSI_NS0_16reverse_iteratorISI_EEEEENSH_IJSG_SG_SG_EEES9_SI_JZNS1_25segmented_radix_sort_implINS0_14default_configELb1EPKiPiPKlPlN2at6native12_GLOBAL__N_18offset_tEEE10hipError_tPvRmT1_PNSt15iterator_traitsIS12_E10value_typeET2_T3_PNS13_IS18_E10value_typeET4_jRbjT5_S1E_jjP12ihipStream_tbEUljE_ZNSN_ISO_Lb1ESQ_SR_ST_SU_SY_EESZ_S10_S11_S12_S16_S17_S18_S1B_S1C_jS1D_jS1E_S1E_jjS1G_bEUljE0_EEESZ_S10_S11_S18_S1C_S1E_T6_T7_T9_mT8_S1G_bDpT10_ENKUlT_T0_E_clISt17integral_constantIbLb1EES1T_IbLb0EEEEDaS1P_S1Q_EUlS1P_E_NS1_11comp_targetILNS1_3genE0ELNS1_11target_archE4294967295ELNS1_3gpuE0ELNS1_3repE0EEENS1_30default_config_static_selectorELNS0_4arch9wavefront6targetE0EEEvS12_,comdat
	.globl	_ZN7rocprim17ROCPRIM_400000_NS6detail17trampoline_kernelINS0_13select_configILj256ELj13ELNS0_17block_load_methodE3ELS4_3ELS4_3ELNS0_20block_scan_algorithmE0ELj4294967295EEENS1_25partition_config_selectorILNS1_17partition_subalgoE4EjNS0_10empty_typeEbEEZZNS1_14partition_implILS8_4ELb0ES6_15HIP_vector_typeIjLj2EENS0_17counting_iteratorIjlEEPS9_SG_NS0_5tupleIJPjSI_NS0_16reverse_iteratorISI_EEEEENSH_IJSG_SG_SG_EEES9_SI_JZNS1_25segmented_radix_sort_implINS0_14default_configELb1EPKiPiPKlPlN2at6native12_GLOBAL__N_18offset_tEEE10hipError_tPvRmT1_PNSt15iterator_traitsIS12_E10value_typeET2_T3_PNS13_IS18_E10value_typeET4_jRbjT5_S1E_jjP12ihipStream_tbEUljE_ZNSN_ISO_Lb1ESQ_SR_ST_SU_SY_EESZ_S10_S11_S12_S16_S17_S18_S1B_S1C_jS1D_jS1E_S1E_jjS1G_bEUljE0_EEESZ_S10_S11_S18_S1C_S1E_T6_T7_T9_mT8_S1G_bDpT10_ENKUlT_T0_E_clISt17integral_constantIbLb1EES1T_IbLb0EEEEDaS1P_S1Q_EUlS1P_E_NS1_11comp_targetILNS1_3genE0ELNS1_11target_archE4294967295ELNS1_3gpuE0ELNS1_3repE0EEENS1_30default_config_static_selectorELNS0_4arch9wavefront6targetE0EEEvS12_ ; -- Begin function _ZN7rocprim17ROCPRIM_400000_NS6detail17trampoline_kernelINS0_13select_configILj256ELj13ELNS0_17block_load_methodE3ELS4_3ELS4_3ELNS0_20block_scan_algorithmE0ELj4294967295EEENS1_25partition_config_selectorILNS1_17partition_subalgoE4EjNS0_10empty_typeEbEEZZNS1_14partition_implILS8_4ELb0ES6_15HIP_vector_typeIjLj2EENS0_17counting_iteratorIjlEEPS9_SG_NS0_5tupleIJPjSI_NS0_16reverse_iteratorISI_EEEEENSH_IJSG_SG_SG_EEES9_SI_JZNS1_25segmented_radix_sort_implINS0_14default_configELb1EPKiPiPKlPlN2at6native12_GLOBAL__N_18offset_tEEE10hipError_tPvRmT1_PNSt15iterator_traitsIS12_E10value_typeET2_T3_PNS13_IS18_E10value_typeET4_jRbjT5_S1E_jjP12ihipStream_tbEUljE_ZNSN_ISO_Lb1ESQ_SR_ST_SU_SY_EESZ_S10_S11_S12_S16_S17_S18_S1B_S1C_jS1D_jS1E_S1E_jjS1G_bEUljE0_EEESZ_S10_S11_S18_S1C_S1E_T6_T7_T9_mT8_S1G_bDpT10_ENKUlT_T0_E_clISt17integral_constantIbLb1EES1T_IbLb0EEEEDaS1P_S1Q_EUlS1P_E_NS1_11comp_targetILNS1_3genE0ELNS1_11target_archE4294967295ELNS1_3gpuE0ELNS1_3repE0EEENS1_30default_config_static_selectorELNS0_4arch9wavefront6targetE0EEEvS12_
	.p2align	8
	.type	_ZN7rocprim17ROCPRIM_400000_NS6detail17trampoline_kernelINS0_13select_configILj256ELj13ELNS0_17block_load_methodE3ELS4_3ELS4_3ELNS0_20block_scan_algorithmE0ELj4294967295EEENS1_25partition_config_selectorILNS1_17partition_subalgoE4EjNS0_10empty_typeEbEEZZNS1_14partition_implILS8_4ELb0ES6_15HIP_vector_typeIjLj2EENS0_17counting_iteratorIjlEEPS9_SG_NS0_5tupleIJPjSI_NS0_16reverse_iteratorISI_EEEEENSH_IJSG_SG_SG_EEES9_SI_JZNS1_25segmented_radix_sort_implINS0_14default_configELb1EPKiPiPKlPlN2at6native12_GLOBAL__N_18offset_tEEE10hipError_tPvRmT1_PNSt15iterator_traitsIS12_E10value_typeET2_T3_PNS13_IS18_E10value_typeET4_jRbjT5_S1E_jjP12ihipStream_tbEUljE_ZNSN_ISO_Lb1ESQ_SR_ST_SU_SY_EESZ_S10_S11_S12_S16_S17_S18_S1B_S1C_jS1D_jS1E_S1E_jjS1G_bEUljE0_EEESZ_S10_S11_S18_S1C_S1E_T6_T7_T9_mT8_S1G_bDpT10_ENKUlT_T0_E_clISt17integral_constantIbLb1EES1T_IbLb0EEEEDaS1P_S1Q_EUlS1P_E_NS1_11comp_targetILNS1_3genE0ELNS1_11target_archE4294967295ELNS1_3gpuE0ELNS1_3repE0EEENS1_30default_config_static_selectorELNS0_4arch9wavefront6targetE0EEEvS12_,@function
_ZN7rocprim17ROCPRIM_400000_NS6detail17trampoline_kernelINS0_13select_configILj256ELj13ELNS0_17block_load_methodE3ELS4_3ELS4_3ELNS0_20block_scan_algorithmE0ELj4294967295EEENS1_25partition_config_selectorILNS1_17partition_subalgoE4EjNS0_10empty_typeEbEEZZNS1_14partition_implILS8_4ELb0ES6_15HIP_vector_typeIjLj2EENS0_17counting_iteratorIjlEEPS9_SG_NS0_5tupleIJPjSI_NS0_16reverse_iteratorISI_EEEEENSH_IJSG_SG_SG_EEES9_SI_JZNS1_25segmented_radix_sort_implINS0_14default_configELb1EPKiPiPKlPlN2at6native12_GLOBAL__N_18offset_tEEE10hipError_tPvRmT1_PNSt15iterator_traitsIS12_E10value_typeET2_T3_PNS13_IS18_E10value_typeET4_jRbjT5_S1E_jjP12ihipStream_tbEUljE_ZNSN_ISO_Lb1ESQ_SR_ST_SU_SY_EESZ_S10_S11_S12_S16_S17_S18_S1B_S1C_jS1D_jS1E_S1E_jjS1G_bEUljE0_EEESZ_S10_S11_S18_S1C_S1E_T6_T7_T9_mT8_S1G_bDpT10_ENKUlT_T0_E_clISt17integral_constantIbLb1EES1T_IbLb0EEEEDaS1P_S1Q_EUlS1P_E_NS1_11comp_targetILNS1_3genE0ELNS1_11target_archE4294967295ELNS1_3gpuE0ELNS1_3repE0EEENS1_30default_config_static_selectorELNS0_4arch9wavefront6targetE0EEEvS12_: ; @_ZN7rocprim17ROCPRIM_400000_NS6detail17trampoline_kernelINS0_13select_configILj256ELj13ELNS0_17block_load_methodE3ELS4_3ELS4_3ELNS0_20block_scan_algorithmE0ELj4294967295EEENS1_25partition_config_selectorILNS1_17partition_subalgoE4EjNS0_10empty_typeEbEEZZNS1_14partition_implILS8_4ELb0ES6_15HIP_vector_typeIjLj2EENS0_17counting_iteratorIjlEEPS9_SG_NS0_5tupleIJPjSI_NS0_16reverse_iteratorISI_EEEEENSH_IJSG_SG_SG_EEES9_SI_JZNS1_25segmented_radix_sort_implINS0_14default_configELb1EPKiPiPKlPlN2at6native12_GLOBAL__N_18offset_tEEE10hipError_tPvRmT1_PNSt15iterator_traitsIS12_E10value_typeET2_T3_PNS13_IS18_E10value_typeET4_jRbjT5_S1E_jjP12ihipStream_tbEUljE_ZNSN_ISO_Lb1ESQ_SR_ST_SU_SY_EESZ_S10_S11_S12_S16_S17_S18_S1B_S1C_jS1D_jS1E_S1E_jjS1G_bEUljE0_EEESZ_S10_S11_S18_S1C_S1E_T6_T7_T9_mT8_S1G_bDpT10_ENKUlT_T0_E_clISt17integral_constantIbLb1EES1T_IbLb0EEEEDaS1P_S1Q_EUlS1P_E_NS1_11comp_targetILNS1_3genE0ELNS1_11target_archE4294967295ELNS1_3gpuE0ELNS1_3repE0EEENS1_30default_config_static_selectorELNS0_4arch9wavefront6targetE0EEEvS12_
; %bb.0:
	s_endpgm
	.section	.rodata,"a",@progbits
	.p2align	6, 0x0
	.amdhsa_kernel _ZN7rocprim17ROCPRIM_400000_NS6detail17trampoline_kernelINS0_13select_configILj256ELj13ELNS0_17block_load_methodE3ELS4_3ELS4_3ELNS0_20block_scan_algorithmE0ELj4294967295EEENS1_25partition_config_selectorILNS1_17partition_subalgoE4EjNS0_10empty_typeEbEEZZNS1_14partition_implILS8_4ELb0ES6_15HIP_vector_typeIjLj2EENS0_17counting_iteratorIjlEEPS9_SG_NS0_5tupleIJPjSI_NS0_16reverse_iteratorISI_EEEEENSH_IJSG_SG_SG_EEES9_SI_JZNS1_25segmented_radix_sort_implINS0_14default_configELb1EPKiPiPKlPlN2at6native12_GLOBAL__N_18offset_tEEE10hipError_tPvRmT1_PNSt15iterator_traitsIS12_E10value_typeET2_T3_PNS13_IS18_E10value_typeET4_jRbjT5_S1E_jjP12ihipStream_tbEUljE_ZNSN_ISO_Lb1ESQ_SR_ST_SU_SY_EESZ_S10_S11_S12_S16_S17_S18_S1B_S1C_jS1D_jS1E_S1E_jjS1G_bEUljE0_EEESZ_S10_S11_S18_S1C_S1E_T6_T7_T9_mT8_S1G_bDpT10_ENKUlT_T0_E_clISt17integral_constantIbLb1EES1T_IbLb0EEEEDaS1P_S1Q_EUlS1P_E_NS1_11comp_targetILNS1_3genE0ELNS1_11target_archE4294967295ELNS1_3gpuE0ELNS1_3repE0EEENS1_30default_config_static_selectorELNS0_4arch9wavefront6targetE0EEEvS12_
		.amdhsa_group_segment_fixed_size 0
		.amdhsa_private_segment_fixed_size 0
		.amdhsa_kernarg_size 176
		.amdhsa_user_sgpr_count 2
		.amdhsa_user_sgpr_dispatch_ptr 0
		.amdhsa_user_sgpr_queue_ptr 0
		.amdhsa_user_sgpr_kernarg_segment_ptr 1
		.amdhsa_user_sgpr_dispatch_id 0
		.amdhsa_user_sgpr_kernarg_preload_length 0
		.amdhsa_user_sgpr_kernarg_preload_offset 0
		.amdhsa_user_sgpr_private_segment_size 0
		.amdhsa_wavefront_size32 1
		.amdhsa_uses_dynamic_stack 0
		.amdhsa_enable_private_segment 0
		.amdhsa_system_sgpr_workgroup_id_x 1
		.amdhsa_system_sgpr_workgroup_id_y 0
		.amdhsa_system_sgpr_workgroup_id_z 0
		.amdhsa_system_sgpr_workgroup_info 0
		.amdhsa_system_vgpr_workitem_id 0
		.amdhsa_next_free_vgpr 1
		.amdhsa_next_free_sgpr 1
		.amdhsa_named_barrier_count 0
		.amdhsa_reserve_vcc 0
		.amdhsa_float_round_mode_32 0
		.amdhsa_float_round_mode_16_64 0
		.amdhsa_float_denorm_mode_32 3
		.amdhsa_float_denorm_mode_16_64 3
		.amdhsa_fp16_overflow 0
		.amdhsa_memory_ordered 1
		.amdhsa_forward_progress 1
		.amdhsa_inst_pref_size 1
		.amdhsa_round_robin_scheduling 0
		.amdhsa_exception_fp_ieee_invalid_op 0
		.amdhsa_exception_fp_denorm_src 0
		.amdhsa_exception_fp_ieee_div_zero 0
		.amdhsa_exception_fp_ieee_overflow 0
		.amdhsa_exception_fp_ieee_underflow 0
		.amdhsa_exception_fp_ieee_inexact 0
		.amdhsa_exception_int_div_zero 0
	.end_amdhsa_kernel
	.section	.text._ZN7rocprim17ROCPRIM_400000_NS6detail17trampoline_kernelINS0_13select_configILj256ELj13ELNS0_17block_load_methodE3ELS4_3ELS4_3ELNS0_20block_scan_algorithmE0ELj4294967295EEENS1_25partition_config_selectorILNS1_17partition_subalgoE4EjNS0_10empty_typeEbEEZZNS1_14partition_implILS8_4ELb0ES6_15HIP_vector_typeIjLj2EENS0_17counting_iteratorIjlEEPS9_SG_NS0_5tupleIJPjSI_NS0_16reverse_iteratorISI_EEEEENSH_IJSG_SG_SG_EEES9_SI_JZNS1_25segmented_radix_sort_implINS0_14default_configELb1EPKiPiPKlPlN2at6native12_GLOBAL__N_18offset_tEEE10hipError_tPvRmT1_PNSt15iterator_traitsIS12_E10value_typeET2_T3_PNS13_IS18_E10value_typeET4_jRbjT5_S1E_jjP12ihipStream_tbEUljE_ZNSN_ISO_Lb1ESQ_SR_ST_SU_SY_EESZ_S10_S11_S12_S16_S17_S18_S1B_S1C_jS1D_jS1E_S1E_jjS1G_bEUljE0_EEESZ_S10_S11_S18_S1C_S1E_T6_T7_T9_mT8_S1G_bDpT10_ENKUlT_T0_E_clISt17integral_constantIbLb1EES1T_IbLb0EEEEDaS1P_S1Q_EUlS1P_E_NS1_11comp_targetILNS1_3genE0ELNS1_11target_archE4294967295ELNS1_3gpuE0ELNS1_3repE0EEENS1_30default_config_static_selectorELNS0_4arch9wavefront6targetE0EEEvS12_,"axG",@progbits,_ZN7rocprim17ROCPRIM_400000_NS6detail17trampoline_kernelINS0_13select_configILj256ELj13ELNS0_17block_load_methodE3ELS4_3ELS4_3ELNS0_20block_scan_algorithmE0ELj4294967295EEENS1_25partition_config_selectorILNS1_17partition_subalgoE4EjNS0_10empty_typeEbEEZZNS1_14partition_implILS8_4ELb0ES6_15HIP_vector_typeIjLj2EENS0_17counting_iteratorIjlEEPS9_SG_NS0_5tupleIJPjSI_NS0_16reverse_iteratorISI_EEEEENSH_IJSG_SG_SG_EEES9_SI_JZNS1_25segmented_radix_sort_implINS0_14default_configELb1EPKiPiPKlPlN2at6native12_GLOBAL__N_18offset_tEEE10hipError_tPvRmT1_PNSt15iterator_traitsIS12_E10value_typeET2_T3_PNS13_IS18_E10value_typeET4_jRbjT5_S1E_jjP12ihipStream_tbEUljE_ZNSN_ISO_Lb1ESQ_SR_ST_SU_SY_EESZ_S10_S11_S12_S16_S17_S18_S1B_S1C_jS1D_jS1E_S1E_jjS1G_bEUljE0_EEESZ_S10_S11_S18_S1C_S1E_T6_T7_T9_mT8_S1G_bDpT10_ENKUlT_T0_E_clISt17integral_constantIbLb1EES1T_IbLb0EEEEDaS1P_S1Q_EUlS1P_E_NS1_11comp_targetILNS1_3genE0ELNS1_11target_archE4294967295ELNS1_3gpuE0ELNS1_3repE0EEENS1_30default_config_static_selectorELNS0_4arch9wavefront6targetE0EEEvS12_,comdat
.Lfunc_end445:
	.size	_ZN7rocprim17ROCPRIM_400000_NS6detail17trampoline_kernelINS0_13select_configILj256ELj13ELNS0_17block_load_methodE3ELS4_3ELS4_3ELNS0_20block_scan_algorithmE0ELj4294967295EEENS1_25partition_config_selectorILNS1_17partition_subalgoE4EjNS0_10empty_typeEbEEZZNS1_14partition_implILS8_4ELb0ES6_15HIP_vector_typeIjLj2EENS0_17counting_iteratorIjlEEPS9_SG_NS0_5tupleIJPjSI_NS0_16reverse_iteratorISI_EEEEENSH_IJSG_SG_SG_EEES9_SI_JZNS1_25segmented_radix_sort_implINS0_14default_configELb1EPKiPiPKlPlN2at6native12_GLOBAL__N_18offset_tEEE10hipError_tPvRmT1_PNSt15iterator_traitsIS12_E10value_typeET2_T3_PNS13_IS18_E10value_typeET4_jRbjT5_S1E_jjP12ihipStream_tbEUljE_ZNSN_ISO_Lb1ESQ_SR_ST_SU_SY_EESZ_S10_S11_S12_S16_S17_S18_S1B_S1C_jS1D_jS1E_S1E_jjS1G_bEUljE0_EEESZ_S10_S11_S18_S1C_S1E_T6_T7_T9_mT8_S1G_bDpT10_ENKUlT_T0_E_clISt17integral_constantIbLb1EES1T_IbLb0EEEEDaS1P_S1Q_EUlS1P_E_NS1_11comp_targetILNS1_3genE0ELNS1_11target_archE4294967295ELNS1_3gpuE0ELNS1_3repE0EEENS1_30default_config_static_selectorELNS0_4arch9wavefront6targetE0EEEvS12_, .Lfunc_end445-_ZN7rocprim17ROCPRIM_400000_NS6detail17trampoline_kernelINS0_13select_configILj256ELj13ELNS0_17block_load_methodE3ELS4_3ELS4_3ELNS0_20block_scan_algorithmE0ELj4294967295EEENS1_25partition_config_selectorILNS1_17partition_subalgoE4EjNS0_10empty_typeEbEEZZNS1_14partition_implILS8_4ELb0ES6_15HIP_vector_typeIjLj2EENS0_17counting_iteratorIjlEEPS9_SG_NS0_5tupleIJPjSI_NS0_16reverse_iteratorISI_EEEEENSH_IJSG_SG_SG_EEES9_SI_JZNS1_25segmented_radix_sort_implINS0_14default_configELb1EPKiPiPKlPlN2at6native12_GLOBAL__N_18offset_tEEE10hipError_tPvRmT1_PNSt15iterator_traitsIS12_E10value_typeET2_T3_PNS13_IS18_E10value_typeET4_jRbjT5_S1E_jjP12ihipStream_tbEUljE_ZNSN_ISO_Lb1ESQ_SR_ST_SU_SY_EESZ_S10_S11_S12_S16_S17_S18_S1B_S1C_jS1D_jS1E_S1E_jjS1G_bEUljE0_EEESZ_S10_S11_S18_S1C_S1E_T6_T7_T9_mT8_S1G_bDpT10_ENKUlT_T0_E_clISt17integral_constantIbLb1EES1T_IbLb0EEEEDaS1P_S1Q_EUlS1P_E_NS1_11comp_targetILNS1_3genE0ELNS1_11target_archE4294967295ELNS1_3gpuE0ELNS1_3repE0EEENS1_30default_config_static_selectorELNS0_4arch9wavefront6targetE0EEEvS12_
                                        ; -- End function
	.set _ZN7rocprim17ROCPRIM_400000_NS6detail17trampoline_kernelINS0_13select_configILj256ELj13ELNS0_17block_load_methodE3ELS4_3ELS4_3ELNS0_20block_scan_algorithmE0ELj4294967295EEENS1_25partition_config_selectorILNS1_17partition_subalgoE4EjNS0_10empty_typeEbEEZZNS1_14partition_implILS8_4ELb0ES6_15HIP_vector_typeIjLj2EENS0_17counting_iteratorIjlEEPS9_SG_NS0_5tupleIJPjSI_NS0_16reverse_iteratorISI_EEEEENSH_IJSG_SG_SG_EEES9_SI_JZNS1_25segmented_radix_sort_implINS0_14default_configELb1EPKiPiPKlPlN2at6native12_GLOBAL__N_18offset_tEEE10hipError_tPvRmT1_PNSt15iterator_traitsIS12_E10value_typeET2_T3_PNS13_IS18_E10value_typeET4_jRbjT5_S1E_jjP12ihipStream_tbEUljE_ZNSN_ISO_Lb1ESQ_SR_ST_SU_SY_EESZ_S10_S11_S12_S16_S17_S18_S1B_S1C_jS1D_jS1E_S1E_jjS1G_bEUljE0_EEESZ_S10_S11_S18_S1C_S1E_T6_T7_T9_mT8_S1G_bDpT10_ENKUlT_T0_E_clISt17integral_constantIbLb1EES1T_IbLb0EEEEDaS1P_S1Q_EUlS1P_E_NS1_11comp_targetILNS1_3genE0ELNS1_11target_archE4294967295ELNS1_3gpuE0ELNS1_3repE0EEENS1_30default_config_static_selectorELNS0_4arch9wavefront6targetE0EEEvS12_.num_vgpr, 0
	.set _ZN7rocprim17ROCPRIM_400000_NS6detail17trampoline_kernelINS0_13select_configILj256ELj13ELNS0_17block_load_methodE3ELS4_3ELS4_3ELNS0_20block_scan_algorithmE0ELj4294967295EEENS1_25partition_config_selectorILNS1_17partition_subalgoE4EjNS0_10empty_typeEbEEZZNS1_14partition_implILS8_4ELb0ES6_15HIP_vector_typeIjLj2EENS0_17counting_iteratorIjlEEPS9_SG_NS0_5tupleIJPjSI_NS0_16reverse_iteratorISI_EEEEENSH_IJSG_SG_SG_EEES9_SI_JZNS1_25segmented_radix_sort_implINS0_14default_configELb1EPKiPiPKlPlN2at6native12_GLOBAL__N_18offset_tEEE10hipError_tPvRmT1_PNSt15iterator_traitsIS12_E10value_typeET2_T3_PNS13_IS18_E10value_typeET4_jRbjT5_S1E_jjP12ihipStream_tbEUljE_ZNSN_ISO_Lb1ESQ_SR_ST_SU_SY_EESZ_S10_S11_S12_S16_S17_S18_S1B_S1C_jS1D_jS1E_S1E_jjS1G_bEUljE0_EEESZ_S10_S11_S18_S1C_S1E_T6_T7_T9_mT8_S1G_bDpT10_ENKUlT_T0_E_clISt17integral_constantIbLb1EES1T_IbLb0EEEEDaS1P_S1Q_EUlS1P_E_NS1_11comp_targetILNS1_3genE0ELNS1_11target_archE4294967295ELNS1_3gpuE0ELNS1_3repE0EEENS1_30default_config_static_selectorELNS0_4arch9wavefront6targetE0EEEvS12_.num_agpr, 0
	.set _ZN7rocprim17ROCPRIM_400000_NS6detail17trampoline_kernelINS0_13select_configILj256ELj13ELNS0_17block_load_methodE3ELS4_3ELS4_3ELNS0_20block_scan_algorithmE0ELj4294967295EEENS1_25partition_config_selectorILNS1_17partition_subalgoE4EjNS0_10empty_typeEbEEZZNS1_14partition_implILS8_4ELb0ES6_15HIP_vector_typeIjLj2EENS0_17counting_iteratorIjlEEPS9_SG_NS0_5tupleIJPjSI_NS0_16reverse_iteratorISI_EEEEENSH_IJSG_SG_SG_EEES9_SI_JZNS1_25segmented_radix_sort_implINS0_14default_configELb1EPKiPiPKlPlN2at6native12_GLOBAL__N_18offset_tEEE10hipError_tPvRmT1_PNSt15iterator_traitsIS12_E10value_typeET2_T3_PNS13_IS18_E10value_typeET4_jRbjT5_S1E_jjP12ihipStream_tbEUljE_ZNSN_ISO_Lb1ESQ_SR_ST_SU_SY_EESZ_S10_S11_S12_S16_S17_S18_S1B_S1C_jS1D_jS1E_S1E_jjS1G_bEUljE0_EEESZ_S10_S11_S18_S1C_S1E_T6_T7_T9_mT8_S1G_bDpT10_ENKUlT_T0_E_clISt17integral_constantIbLb1EES1T_IbLb0EEEEDaS1P_S1Q_EUlS1P_E_NS1_11comp_targetILNS1_3genE0ELNS1_11target_archE4294967295ELNS1_3gpuE0ELNS1_3repE0EEENS1_30default_config_static_selectorELNS0_4arch9wavefront6targetE0EEEvS12_.numbered_sgpr, 0
	.set _ZN7rocprim17ROCPRIM_400000_NS6detail17trampoline_kernelINS0_13select_configILj256ELj13ELNS0_17block_load_methodE3ELS4_3ELS4_3ELNS0_20block_scan_algorithmE0ELj4294967295EEENS1_25partition_config_selectorILNS1_17partition_subalgoE4EjNS0_10empty_typeEbEEZZNS1_14partition_implILS8_4ELb0ES6_15HIP_vector_typeIjLj2EENS0_17counting_iteratorIjlEEPS9_SG_NS0_5tupleIJPjSI_NS0_16reverse_iteratorISI_EEEEENSH_IJSG_SG_SG_EEES9_SI_JZNS1_25segmented_radix_sort_implINS0_14default_configELb1EPKiPiPKlPlN2at6native12_GLOBAL__N_18offset_tEEE10hipError_tPvRmT1_PNSt15iterator_traitsIS12_E10value_typeET2_T3_PNS13_IS18_E10value_typeET4_jRbjT5_S1E_jjP12ihipStream_tbEUljE_ZNSN_ISO_Lb1ESQ_SR_ST_SU_SY_EESZ_S10_S11_S12_S16_S17_S18_S1B_S1C_jS1D_jS1E_S1E_jjS1G_bEUljE0_EEESZ_S10_S11_S18_S1C_S1E_T6_T7_T9_mT8_S1G_bDpT10_ENKUlT_T0_E_clISt17integral_constantIbLb1EES1T_IbLb0EEEEDaS1P_S1Q_EUlS1P_E_NS1_11comp_targetILNS1_3genE0ELNS1_11target_archE4294967295ELNS1_3gpuE0ELNS1_3repE0EEENS1_30default_config_static_selectorELNS0_4arch9wavefront6targetE0EEEvS12_.num_named_barrier, 0
	.set _ZN7rocprim17ROCPRIM_400000_NS6detail17trampoline_kernelINS0_13select_configILj256ELj13ELNS0_17block_load_methodE3ELS4_3ELS4_3ELNS0_20block_scan_algorithmE0ELj4294967295EEENS1_25partition_config_selectorILNS1_17partition_subalgoE4EjNS0_10empty_typeEbEEZZNS1_14partition_implILS8_4ELb0ES6_15HIP_vector_typeIjLj2EENS0_17counting_iteratorIjlEEPS9_SG_NS0_5tupleIJPjSI_NS0_16reverse_iteratorISI_EEEEENSH_IJSG_SG_SG_EEES9_SI_JZNS1_25segmented_radix_sort_implINS0_14default_configELb1EPKiPiPKlPlN2at6native12_GLOBAL__N_18offset_tEEE10hipError_tPvRmT1_PNSt15iterator_traitsIS12_E10value_typeET2_T3_PNS13_IS18_E10value_typeET4_jRbjT5_S1E_jjP12ihipStream_tbEUljE_ZNSN_ISO_Lb1ESQ_SR_ST_SU_SY_EESZ_S10_S11_S12_S16_S17_S18_S1B_S1C_jS1D_jS1E_S1E_jjS1G_bEUljE0_EEESZ_S10_S11_S18_S1C_S1E_T6_T7_T9_mT8_S1G_bDpT10_ENKUlT_T0_E_clISt17integral_constantIbLb1EES1T_IbLb0EEEEDaS1P_S1Q_EUlS1P_E_NS1_11comp_targetILNS1_3genE0ELNS1_11target_archE4294967295ELNS1_3gpuE0ELNS1_3repE0EEENS1_30default_config_static_selectorELNS0_4arch9wavefront6targetE0EEEvS12_.private_seg_size, 0
	.set _ZN7rocprim17ROCPRIM_400000_NS6detail17trampoline_kernelINS0_13select_configILj256ELj13ELNS0_17block_load_methodE3ELS4_3ELS4_3ELNS0_20block_scan_algorithmE0ELj4294967295EEENS1_25partition_config_selectorILNS1_17partition_subalgoE4EjNS0_10empty_typeEbEEZZNS1_14partition_implILS8_4ELb0ES6_15HIP_vector_typeIjLj2EENS0_17counting_iteratorIjlEEPS9_SG_NS0_5tupleIJPjSI_NS0_16reverse_iteratorISI_EEEEENSH_IJSG_SG_SG_EEES9_SI_JZNS1_25segmented_radix_sort_implINS0_14default_configELb1EPKiPiPKlPlN2at6native12_GLOBAL__N_18offset_tEEE10hipError_tPvRmT1_PNSt15iterator_traitsIS12_E10value_typeET2_T3_PNS13_IS18_E10value_typeET4_jRbjT5_S1E_jjP12ihipStream_tbEUljE_ZNSN_ISO_Lb1ESQ_SR_ST_SU_SY_EESZ_S10_S11_S12_S16_S17_S18_S1B_S1C_jS1D_jS1E_S1E_jjS1G_bEUljE0_EEESZ_S10_S11_S18_S1C_S1E_T6_T7_T9_mT8_S1G_bDpT10_ENKUlT_T0_E_clISt17integral_constantIbLb1EES1T_IbLb0EEEEDaS1P_S1Q_EUlS1P_E_NS1_11comp_targetILNS1_3genE0ELNS1_11target_archE4294967295ELNS1_3gpuE0ELNS1_3repE0EEENS1_30default_config_static_selectorELNS0_4arch9wavefront6targetE0EEEvS12_.uses_vcc, 0
	.set _ZN7rocprim17ROCPRIM_400000_NS6detail17trampoline_kernelINS0_13select_configILj256ELj13ELNS0_17block_load_methodE3ELS4_3ELS4_3ELNS0_20block_scan_algorithmE0ELj4294967295EEENS1_25partition_config_selectorILNS1_17partition_subalgoE4EjNS0_10empty_typeEbEEZZNS1_14partition_implILS8_4ELb0ES6_15HIP_vector_typeIjLj2EENS0_17counting_iteratorIjlEEPS9_SG_NS0_5tupleIJPjSI_NS0_16reverse_iteratorISI_EEEEENSH_IJSG_SG_SG_EEES9_SI_JZNS1_25segmented_radix_sort_implINS0_14default_configELb1EPKiPiPKlPlN2at6native12_GLOBAL__N_18offset_tEEE10hipError_tPvRmT1_PNSt15iterator_traitsIS12_E10value_typeET2_T3_PNS13_IS18_E10value_typeET4_jRbjT5_S1E_jjP12ihipStream_tbEUljE_ZNSN_ISO_Lb1ESQ_SR_ST_SU_SY_EESZ_S10_S11_S12_S16_S17_S18_S1B_S1C_jS1D_jS1E_S1E_jjS1G_bEUljE0_EEESZ_S10_S11_S18_S1C_S1E_T6_T7_T9_mT8_S1G_bDpT10_ENKUlT_T0_E_clISt17integral_constantIbLb1EES1T_IbLb0EEEEDaS1P_S1Q_EUlS1P_E_NS1_11comp_targetILNS1_3genE0ELNS1_11target_archE4294967295ELNS1_3gpuE0ELNS1_3repE0EEENS1_30default_config_static_selectorELNS0_4arch9wavefront6targetE0EEEvS12_.uses_flat_scratch, 0
	.set _ZN7rocprim17ROCPRIM_400000_NS6detail17trampoline_kernelINS0_13select_configILj256ELj13ELNS0_17block_load_methodE3ELS4_3ELS4_3ELNS0_20block_scan_algorithmE0ELj4294967295EEENS1_25partition_config_selectorILNS1_17partition_subalgoE4EjNS0_10empty_typeEbEEZZNS1_14partition_implILS8_4ELb0ES6_15HIP_vector_typeIjLj2EENS0_17counting_iteratorIjlEEPS9_SG_NS0_5tupleIJPjSI_NS0_16reverse_iteratorISI_EEEEENSH_IJSG_SG_SG_EEES9_SI_JZNS1_25segmented_radix_sort_implINS0_14default_configELb1EPKiPiPKlPlN2at6native12_GLOBAL__N_18offset_tEEE10hipError_tPvRmT1_PNSt15iterator_traitsIS12_E10value_typeET2_T3_PNS13_IS18_E10value_typeET4_jRbjT5_S1E_jjP12ihipStream_tbEUljE_ZNSN_ISO_Lb1ESQ_SR_ST_SU_SY_EESZ_S10_S11_S12_S16_S17_S18_S1B_S1C_jS1D_jS1E_S1E_jjS1G_bEUljE0_EEESZ_S10_S11_S18_S1C_S1E_T6_T7_T9_mT8_S1G_bDpT10_ENKUlT_T0_E_clISt17integral_constantIbLb1EES1T_IbLb0EEEEDaS1P_S1Q_EUlS1P_E_NS1_11comp_targetILNS1_3genE0ELNS1_11target_archE4294967295ELNS1_3gpuE0ELNS1_3repE0EEENS1_30default_config_static_selectorELNS0_4arch9wavefront6targetE0EEEvS12_.has_dyn_sized_stack, 0
	.set _ZN7rocprim17ROCPRIM_400000_NS6detail17trampoline_kernelINS0_13select_configILj256ELj13ELNS0_17block_load_methodE3ELS4_3ELS4_3ELNS0_20block_scan_algorithmE0ELj4294967295EEENS1_25partition_config_selectorILNS1_17partition_subalgoE4EjNS0_10empty_typeEbEEZZNS1_14partition_implILS8_4ELb0ES6_15HIP_vector_typeIjLj2EENS0_17counting_iteratorIjlEEPS9_SG_NS0_5tupleIJPjSI_NS0_16reverse_iteratorISI_EEEEENSH_IJSG_SG_SG_EEES9_SI_JZNS1_25segmented_radix_sort_implINS0_14default_configELb1EPKiPiPKlPlN2at6native12_GLOBAL__N_18offset_tEEE10hipError_tPvRmT1_PNSt15iterator_traitsIS12_E10value_typeET2_T3_PNS13_IS18_E10value_typeET4_jRbjT5_S1E_jjP12ihipStream_tbEUljE_ZNSN_ISO_Lb1ESQ_SR_ST_SU_SY_EESZ_S10_S11_S12_S16_S17_S18_S1B_S1C_jS1D_jS1E_S1E_jjS1G_bEUljE0_EEESZ_S10_S11_S18_S1C_S1E_T6_T7_T9_mT8_S1G_bDpT10_ENKUlT_T0_E_clISt17integral_constantIbLb1EES1T_IbLb0EEEEDaS1P_S1Q_EUlS1P_E_NS1_11comp_targetILNS1_3genE0ELNS1_11target_archE4294967295ELNS1_3gpuE0ELNS1_3repE0EEENS1_30default_config_static_selectorELNS0_4arch9wavefront6targetE0EEEvS12_.has_recursion, 0
	.set _ZN7rocprim17ROCPRIM_400000_NS6detail17trampoline_kernelINS0_13select_configILj256ELj13ELNS0_17block_load_methodE3ELS4_3ELS4_3ELNS0_20block_scan_algorithmE0ELj4294967295EEENS1_25partition_config_selectorILNS1_17partition_subalgoE4EjNS0_10empty_typeEbEEZZNS1_14partition_implILS8_4ELb0ES6_15HIP_vector_typeIjLj2EENS0_17counting_iteratorIjlEEPS9_SG_NS0_5tupleIJPjSI_NS0_16reverse_iteratorISI_EEEEENSH_IJSG_SG_SG_EEES9_SI_JZNS1_25segmented_radix_sort_implINS0_14default_configELb1EPKiPiPKlPlN2at6native12_GLOBAL__N_18offset_tEEE10hipError_tPvRmT1_PNSt15iterator_traitsIS12_E10value_typeET2_T3_PNS13_IS18_E10value_typeET4_jRbjT5_S1E_jjP12ihipStream_tbEUljE_ZNSN_ISO_Lb1ESQ_SR_ST_SU_SY_EESZ_S10_S11_S12_S16_S17_S18_S1B_S1C_jS1D_jS1E_S1E_jjS1G_bEUljE0_EEESZ_S10_S11_S18_S1C_S1E_T6_T7_T9_mT8_S1G_bDpT10_ENKUlT_T0_E_clISt17integral_constantIbLb1EES1T_IbLb0EEEEDaS1P_S1Q_EUlS1P_E_NS1_11comp_targetILNS1_3genE0ELNS1_11target_archE4294967295ELNS1_3gpuE0ELNS1_3repE0EEENS1_30default_config_static_selectorELNS0_4arch9wavefront6targetE0EEEvS12_.has_indirect_call, 0
	.section	.AMDGPU.csdata,"",@progbits
; Kernel info:
; codeLenInByte = 4
; TotalNumSgprs: 0
; NumVgprs: 0
; ScratchSize: 0
; MemoryBound: 0
; FloatMode: 240
; IeeeMode: 1
; LDSByteSize: 0 bytes/workgroup (compile time only)
; SGPRBlocks: 0
; VGPRBlocks: 0
; NumSGPRsForWavesPerEU: 1
; NumVGPRsForWavesPerEU: 1
; NamedBarCnt: 0
; Occupancy: 16
; WaveLimiterHint : 0
; COMPUTE_PGM_RSRC2:SCRATCH_EN: 0
; COMPUTE_PGM_RSRC2:USER_SGPR: 2
; COMPUTE_PGM_RSRC2:TRAP_HANDLER: 0
; COMPUTE_PGM_RSRC2:TGID_X_EN: 1
; COMPUTE_PGM_RSRC2:TGID_Y_EN: 0
; COMPUTE_PGM_RSRC2:TGID_Z_EN: 0
; COMPUTE_PGM_RSRC2:TIDIG_COMP_CNT: 0
	.section	.text._ZN7rocprim17ROCPRIM_400000_NS6detail17trampoline_kernelINS0_13select_configILj256ELj13ELNS0_17block_load_methodE3ELS4_3ELS4_3ELNS0_20block_scan_algorithmE0ELj4294967295EEENS1_25partition_config_selectorILNS1_17partition_subalgoE4EjNS0_10empty_typeEbEEZZNS1_14partition_implILS8_4ELb0ES6_15HIP_vector_typeIjLj2EENS0_17counting_iteratorIjlEEPS9_SG_NS0_5tupleIJPjSI_NS0_16reverse_iteratorISI_EEEEENSH_IJSG_SG_SG_EEES9_SI_JZNS1_25segmented_radix_sort_implINS0_14default_configELb1EPKiPiPKlPlN2at6native12_GLOBAL__N_18offset_tEEE10hipError_tPvRmT1_PNSt15iterator_traitsIS12_E10value_typeET2_T3_PNS13_IS18_E10value_typeET4_jRbjT5_S1E_jjP12ihipStream_tbEUljE_ZNSN_ISO_Lb1ESQ_SR_ST_SU_SY_EESZ_S10_S11_S12_S16_S17_S18_S1B_S1C_jS1D_jS1E_S1E_jjS1G_bEUljE0_EEESZ_S10_S11_S18_S1C_S1E_T6_T7_T9_mT8_S1G_bDpT10_ENKUlT_T0_E_clISt17integral_constantIbLb1EES1T_IbLb0EEEEDaS1P_S1Q_EUlS1P_E_NS1_11comp_targetILNS1_3genE5ELNS1_11target_archE942ELNS1_3gpuE9ELNS1_3repE0EEENS1_30default_config_static_selectorELNS0_4arch9wavefront6targetE0EEEvS12_,"axG",@progbits,_ZN7rocprim17ROCPRIM_400000_NS6detail17trampoline_kernelINS0_13select_configILj256ELj13ELNS0_17block_load_methodE3ELS4_3ELS4_3ELNS0_20block_scan_algorithmE0ELj4294967295EEENS1_25partition_config_selectorILNS1_17partition_subalgoE4EjNS0_10empty_typeEbEEZZNS1_14partition_implILS8_4ELb0ES6_15HIP_vector_typeIjLj2EENS0_17counting_iteratorIjlEEPS9_SG_NS0_5tupleIJPjSI_NS0_16reverse_iteratorISI_EEEEENSH_IJSG_SG_SG_EEES9_SI_JZNS1_25segmented_radix_sort_implINS0_14default_configELb1EPKiPiPKlPlN2at6native12_GLOBAL__N_18offset_tEEE10hipError_tPvRmT1_PNSt15iterator_traitsIS12_E10value_typeET2_T3_PNS13_IS18_E10value_typeET4_jRbjT5_S1E_jjP12ihipStream_tbEUljE_ZNSN_ISO_Lb1ESQ_SR_ST_SU_SY_EESZ_S10_S11_S12_S16_S17_S18_S1B_S1C_jS1D_jS1E_S1E_jjS1G_bEUljE0_EEESZ_S10_S11_S18_S1C_S1E_T6_T7_T9_mT8_S1G_bDpT10_ENKUlT_T0_E_clISt17integral_constantIbLb1EES1T_IbLb0EEEEDaS1P_S1Q_EUlS1P_E_NS1_11comp_targetILNS1_3genE5ELNS1_11target_archE942ELNS1_3gpuE9ELNS1_3repE0EEENS1_30default_config_static_selectorELNS0_4arch9wavefront6targetE0EEEvS12_,comdat
	.globl	_ZN7rocprim17ROCPRIM_400000_NS6detail17trampoline_kernelINS0_13select_configILj256ELj13ELNS0_17block_load_methodE3ELS4_3ELS4_3ELNS0_20block_scan_algorithmE0ELj4294967295EEENS1_25partition_config_selectorILNS1_17partition_subalgoE4EjNS0_10empty_typeEbEEZZNS1_14partition_implILS8_4ELb0ES6_15HIP_vector_typeIjLj2EENS0_17counting_iteratorIjlEEPS9_SG_NS0_5tupleIJPjSI_NS0_16reverse_iteratorISI_EEEEENSH_IJSG_SG_SG_EEES9_SI_JZNS1_25segmented_radix_sort_implINS0_14default_configELb1EPKiPiPKlPlN2at6native12_GLOBAL__N_18offset_tEEE10hipError_tPvRmT1_PNSt15iterator_traitsIS12_E10value_typeET2_T3_PNS13_IS18_E10value_typeET4_jRbjT5_S1E_jjP12ihipStream_tbEUljE_ZNSN_ISO_Lb1ESQ_SR_ST_SU_SY_EESZ_S10_S11_S12_S16_S17_S18_S1B_S1C_jS1D_jS1E_S1E_jjS1G_bEUljE0_EEESZ_S10_S11_S18_S1C_S1E_T6_T7_T9_mT8_S1G_bDpT10_ENKUlT_T0_E_clISt17integral_constantIbLb1EES1T_IbLb0EEEEDaS1P_S1Q_EUlS1P_E_NS1_11comp_targetILNS1_3genE5ELNS1_11target_archE942ELNS1_3gpuE9ELNS1_3repE0EEENS1_30default_config_static_selectorELNS0_4arch9wavefront6targetE0EEEvS12_ ; -- Begin function _ZN7rocprim17ROCPRIM_400000_NS6detail17trampoline_kernelINS0_13select_configILj256ELj13ELNS0_17block_load_methodE3ELS4_3ELS4_3ELNS0_20block_scan_algorithmE0ELj4294967295EEENS1_25partition_config_selectorILNS1_17partition_subalgoE4EjNS0_10empty_typeEbEEZZNS1_14partition_implILS8_4ELb0ES6_15HIP_vector_typeIjLj2EENS0_17counting_iteratorIjlEEPS9_SG_NS0_5tupleIJPjSI_NS0_16reverse_iteratorISI_EEEEENSH_IJSG_SG_SG_EEES9_SI_JZNS1_25segmented_radix_sort_implINS0_14default_configELb1EPKiPiPKlPlN2at6native12_GLOBAL__N_18offset_tEEE10hipError_tPvRmT1_PNSt15iterator_traitsIS12_E10value_typeET2_T3_PNS13_IS18_E10value_typeET4_jRbjT5_S1E_jjP12ihipStream_tbEUljE_ZNSN_ISO_Lb1ESQ_SR_ST_SU_SY_EESZ_S10_S11_S12_S16_S17_S18_S1B_S1C_jS1D_jS1E_S1E_jjS1G_bEUljE0_EEESZ_S10_S11_S18_S1C_S1E_T6_T7_T9_mT8_S1G_bDpT10_ENKUlT_T0_E_clISt17integral_constantIbLb1EES1T_IbLb0EEEEDaS1P_S1Q_EUlS1P_E_NS1_11comp_targetILNS1_3genE5ELNS1_11target_archE942ELNS1_3gpuE9ELNS1_3repE0EEENS1_30default_config_static_selectorELNS0_4arch9wavefront6targetE0EEEvS12_
	.p2align	8
	.type	_ZN7rocprim17ROCPRIM_400000_NS6detail17trampoline_kernelINS0_13select_configILj256ELj13ELNS0_17block_load_methodE3ELS4_3ELS4_3ELNS0_20block_scan_algorithmE0ELj4294967295EEENS1_25partition_config_selectorILNS1_17partition_subalgoE4EjNS0_10empty_typeEbEEZZNS1_14partition_implILS8_4ELb0ES6_15HIP_vector_typeIjLj2EENS0_17counting_iteratorIjlEEPS9_SG_NS0_5tupleIJPjSI_NS0_16reverse_iteratorISI_EEEEENSH_IJSG_SG_SG_EEES9_SI_JZNS1_25segmented_radix_sort_implINS0_14default_configELb1EPKiPiPKlPlN2at6native12_GLOBAL__N_18offset_tEEE10hipError_tPvRmT1_PNSt15iterator_traitsIS12_E10value_typeET2_T3_PNS13_IS18_E10value_typeET4_jRbjT5_S1E_jjP12ihipStream_tbEUljE_ZNSN_ISO_Lb1ESQ_SR_ST_SU_SY_EESZ_S10_S11_S12_S16_S17_S18_S1B_S1C_jS1D_jS1E_S1E_jjS1G_bEUljE0_EEESZ_S10_S11_S18_S1C_S1E_T6_T7_T9_mT8_S1G_bDpT10_ENKUlT_T0_E_clISt17integral_constantIbLb1EES1T_IbLb0EEEEDaS1P_S1Q_EUlS1P_E_NS1_11comp_targetILNS1_3genE5ELNS1_11target_archE942ELNS1_3gpuE9ELNS1_3repE0EEENS1_30default_config_static_selectorELNS0_4arch9wavefront6targetE0EEEvS12_,@function
_ZN7rocprim17ROCPRIM_400000_NS6detail17trampoline_kernelINS0_13select_configILj256ELj13ELNS0_17block_load_methodE3ELS4_3ELS4_3ELNS0_20block_scan_algorithmE0ELj4294967295EEENS1_25partition_config_selectorILNS1_17partition_subalgoE4EjNS0_10empty_typeEbEEZZNS1_14partition_implILS8_4ELb0ES6_15HIP_vector_typeIjLj2EENS0_17counting_iteratorIjlEEPS9_SG_NS0_5tupleIJPjSI_NS0_16reverse_iteratorISI_EEEEENSH_IJSG_SG_SG_EEES9_SI_JZNS1_25segmented_radix_sort_implINS0_14default_configELb1EPKiPiPKlPlN2at6native12_GLOBAL__N_18offset_tEEE10hipError_tPvRmT1_PNSt15iterator_traitsIS12_E10value_typeET2_T3_PNS13_IS18_E10value_typeET4_jRbjT5_S1E_jjP12ihipStream_tbEUljE_ZNSN_ISO_Lb1ESQ_SR_ST_SU_SY_EESZ_S10_S11_S12_S16_S17_S18_S1B_S1C_jS1D_jS1E_S1E_jjS1G_bEUljE0_EEESZ_S10_S11_S18_S1C_S1E_T6_T7_T9_mT8_S1G_bDpT10_ENKUlT_T0_E_clISt17integral_constantIbLb1EES1T_IbLb0EEEEDaS1P_S1Q_EUlS1P_E_NS1_11comp_targetILNS1_3genE5ELNS1_11target_archE942ELNS1_3gpuE9ELNS1_3repE0EEENS1_30default_config_static_selectorELNS0_4arch9wavefront6targetE0EEEvS12_: ; @_ZN7rocprim17ROCPRIM_400000_NS6detail17trampoline_kernelINS0_13select_configILj256ELj13ELNS0_17block_load_methodE3ELS4_3ELS4_3ELNS0_20block_scan_algorithmE0ELj4294967295EEENS1_25partition_config_selectorILNS1_17partition_subalgoE4EjNS0_10empty_typeEbEEZZNS1_14partition_implILS8_4ELb0ES6_15HIP_vector_typeIjLj2EENS0_17counting_iteratorIjlEEPS9_SG_NS0_5tupleIJPjSI_NS0_16reverse_iteratorISI_EEEEENSH_IJSG_SG_SG_EEES9_SI_JZNS1_25segmented_radix_sort_implINS0_14default_configELb1EPKiPiPKlPlN2at6native12_GLOBAL__N_18offset_tEEE10hipError_tPvRmT1_PNSt15iterator_traitsIS12_E10value_typeET2_T3_PNS13_IS18_E10value_typeET4_jRbjT5_S1E_jjP12ihipStream_tbEUljE_ZNSN_ISO_Lb1ESQ_SR_ST_SU_SY_EESZ_S10_S11_S12_S16_S17_S18_S1B_S1C_jS1D_jS1E_S1E_jjS1G_bEUljE0_EEESZ_S10_S11_S18_S1C_S1E_T6_T7_T9_mT8_S1G_bDpT10_ENKUlT_T0_E_clISt17integral_constantIbLb1EES1T_IbLb0EEEEDaS1P_S1Q_EUlS1P_E_NS1_11comp_targetILNS1_3genE5ELNS1_11target_archE942ELNS1_3gpuE9ELNS1_3repE0EEENS1_30default_config_static_selectorELNS0_4arch9wavefront6targetE0EEEvS12_
; %bb.0:
	.section	.rodata,"a",@progbits
	.p2align	6, 0x0
	.amdhsa_kernel _ZN7rocprim17ROCPRIM_400000_NS6detail17trampoline_kernelINS0_13select_configILj256ELj13ELNS0_17block_load_methodE3ELS4_3ELS4_3ELNS0_20block_scan_algorithmE0ELj4294967295EEENS1_25partition_config_selectorILNS1_17partition_subalgoE4EjNS0_10empty_typeEbEEZZNS1_14partition_implILS8_4ELb0ES6_15HIP_vector_typeIjLj2EENS0_17counting_iteratorIjlEEPS9_SG_NS0_5tupleIJPjSI_NS0_16reverse_iteratorISI_EEEEENSH_IJSG_SG_SG_EEES9_SI_JZNS1_25segmented_radix_sort_implINS0_14default_configELb1EPKiPiPKlPlN2at6native12_GLOBAL__N_18offset_tEEE10hipError_tPvRmT1_PNSt15iterator_traitsIS12_E10value_typeET2_T3_PNS13_IS18_E10value_typeET4_jRbjT5_S1E_jjP12ihipStream_tbEUljE_ZNSN_ISO_Lb1ESQ_SR_ST_SU_SY_EESZ_S10_S11_S12_S16_S17_S18_S1B_S1C_jS1D_jS1E_S1E_jjS1G_bEUljE0_EEESZ_S10_S11_S18_S1C_S1E_T6_T7_T9_mT8_S1G_bDpT10_ENKUlT_T0_E_clISt17integral_constantIbLb1EES1T_IbLb0EEEEDaS1P_S1Q_EUlS1P_E_NS1_11comp_targetILNS1_3genE5ELNS1_11target_archE942ELNS1_3gpuE9ELNS1_3repE0EEENS1_30default_config_static_selectorELNS0_4arch9wavefront6targetE0EEEvS12_
		.amdhsa_group_segment_fixed_size 0
		.amdhsa_private_segment_fixed_size 0
		.amdhsa_kernarg_size 176
		.amdhsa_user_sgpr_count 2
		.amdhsa_user_sgpr_dispatch_ptr 0
		.amdhsa_user_sgpr_queue_ptr 0
		.amdhsa_user_sgpr_kernarg_segment_ptr 1
		.amdhsa_user_sgpr_dispatch_id 0
		.amdhsa_user_sgpr_kernarg_preload_length 0
		.amdhsa_user_sgpr_kernarg_preload_offset 0
		.amdhsa_user_sgpr_private_segment_size 0
		.amdhsa_wavefront_size32 1
		.amdhsa_uses_dynamic_stack 0
		.amdhsa_enable_private_segment 0
		.amdhsa_system_sgpr_workgroup_id_x 1
		.amdhsa_system_sgpr_workgroup_id_y 0
		.amdhsa_system_sgpr_workgroup_id_z 0
		.amdhsa_system_sgpr_workgroup_info 0
		.amdhsa_system_vgpr_workitem_id 0
		.amdhsa_next_free_vgpr 1
		.amdhsa_next_free_sgpr 1
		.amdhsa_named_barrier_count 0
		.amdhsa_reserve_vcc 0
		.amdhsa_float_round_mode_32 0
		.amdhsa_float_round_mode_16_64 0
		.amdhsa_float_denorm_mode_32 3
		.amdhsa_float_denorm_mode_16_64 3
		.amdhsa_fp16_overflow 0
		.amdhsa_memory_ordered 1
		.amdhsa_forward_progress 1
		.amdhsa_inst_pref_size 0
		.amdhsa_round_robin_scheduling 0
		.amdhsa_exception_fp_ieee_invalid_op 0
		.amdhsa_exception_fp_denorm_src 0
		.amdhsa_exception_fp_ieee_div_zero 0
		.amdhsa_exception_fp_ieee_overflow 0
		.amdhsa_exception_fp_ieee_underflow 0
		.amdhsa_exception_fp_ieee_inexact 0
		.amdhsa_exception_int_div_zero 0
	.end_amdhsa_kernel
	.section	.text._ZN7rocprim17ROCPRIM_400000_NS6detail17trampoline_kernelINS0_13select_configILj256ELj13ELNS0_17block_load_methodE3ELS4_3ELS4_3ELNS0_20block_scan_algorithmE0ELj4294967295EEENS1_25partition_config_selectorILNS1_17partition_subalgoE4EjNS0_10empty_typeEbEEZZNS1_14partition_implILS8_4ELb0ES6_15HIP_vector_typeIjLj2EENS0_17counting_iteratorIjlEEPS9_SG_NS0_5tupleIJPjSI_NS0_16reverse_iteratorISI_EEEEENSH_IJSG_SG_SG_EEES9_SI_JZNS1_25segmented_radix_sort_implINS0_14default_configELb1EPKiPiPKlPlN2at6native12_GLOBAL__N_18offset_tEEE10hipError_tPvRmT1_PNSt15iterator_traitsIS12_E10value_typeET2_T3_PNS13_IS18_E10value_typeET4_jRbjT5_S1E_jjP12ihipStream_tbEUljE_ZNSN_ISO_Lb1ESQ_SR_ST_SU_SY_EESZ_S10_S11_S12_S16_S17_S18_S1B_S1C_jS1D_jS1E_S1E_jjS1G_bEUljE0_EEESZ_S10_S11_S18_S1C_S1E_T6_T7_T9_mT8_S1G_bDpT10_ENKUlT_T0_E_clISt17integral_constantIbLb1EES1T_IbLb0EEEEDaS1P_S1Q_EUlS1P_E_NS1_11comp_targetILNS1_3genE5ELNS1_11target_archE942ELNS1_3gpuE9ELNS1_3repE0EEENS1_30default_config_static_selectorELNS0_4arch9wavefront6targetE0EEEvS12_,"axG",@progbits,_ZN7rocprim17ROCPRIM_400000_NS6detail17trampoline_kernelINS0_13select_configILj256ELj13ELNS0_17block_load_methodE3ELS4_3ELS4_3ELNS0_20block_scan_algorithmE0ELj4294967295EEENS1_25partition_config_selectorILNS1_17partition_subalgoE4EjNS0_10empty_typeEbEEZZNS1_14partition_implILS8_4ELb0ES6_15HIP_vector_typeIjLj2EENS0_17counting_iteratorIjlEEPS9_SG_NS0_5tupleIJPjSI_NS0_16reverse_iteratorISI_EEEEENSH_IJSG_SG_SG_EEES9_SI_JZNS1_25segmented_radix_sort_implINS0_14default_configELb1EPKiPiPKlPlN2at6native12_GLOBAL__N_18offset_tEEE10hipError_tPvRmT1_PNSt15iterator_traitsIS12_E10value_typeET2_T3_PNS13_IS18_E10value_typeET4_jRbjT5_S1E_jjP12ihipStream_tbEUljE_ZNSN_ISO_Lb1ESQ_SR_ST_SU_SY_EESZ_S10_S11_S12_S16_S17_S18_S1B_S1C_jS1D_jS1E_S1E_jjS1G_bEUljE0_EEESZ_S10_S11_S18_S1C_S1E_T6_T7_T9_mT8_S1G_bDpT10_ENKUlT_T0_E_clISt17integral_constantIbLb1EES1T_IbLb0EEEEDaS1P_S1Q_EUlS1P_E_NS1_11comp_targetILNS1_3genE5ELNS1_11target_archE942ELNS1_3gpuE9ELNS1_3repE0EEENS1_30default_config_static_selectorELNS0_4arch9wavefront6targetE0EEEvS12_,comdat
.Lfunc_end446:
	.size	_ZN7rocprim17ROCPRIM_400000_NS6detail17trampoline_kernelINS0_13select_configILj256ELj13ELNS0_17block_load_methodE3ELS4_3ELS4_3ELNS0_20block_scan_algorithmE0ELj4294967295EEENS1_25partition_config_selectorILNS1_17partition_subalgoE4EjNS0_10empty_typeEbEEZZNS1_14partition_implILS8_4ELb0ES6_15HIP_vector_typeIjLj2EENS0_17counting_iteratorIjlEEPS9_SG_NS0_5tupleIJPjSI_NS0_16reverse_iteratorISI_EEEEENSH_IJSG_SG_SG_EEES9_SI_JZNS1_25segmented_radix_sort_implINS0_14default_configELb1EPKiPiPKlPlN2at6native12_GLOBAL__N_18offset_tEEE10hipError_tPvRmT1_PNSt15iterator_traitsIS12_E10value_typeET2_T3_PNS13_IS18_E10value_typeET4_jRbjT5_S1E_jjP12ihipStream_tbEUljE_ZNSN_ISO_Lb1ESQ_SR_ST_SU_SY_EESZ_S10_S11_S12_S16_S17_S18_S1B_S1C_jS1D_jS1E_S1E_jjS1G_bEUljE0_EEESZ_S10_S11_S18_S1C_S1E_T6_T7_T9_mT8_S1G_bDpT10_ENKUlT_T0_E_clISt17integral_constantIbLb1EES1T_IbLb0EEEEDaS1P_S1Q_EUlS1P_E_NS1_11comp_targetILNS1_3genE5ELNS1_11target_archE942ELNS1_3gpuE9ELNS1_3repE0EEENS1_30default_config_static_selectorELNS0_4arch9wavefront6targetE0EEEvS12_, .Lfunc_end446-_ZN7rocprim17ROCPRIM_400000_NS6detail17trampoline_kernelINS0_13select_configILj256ELj13ELNS0_17block_load_methodE3ELS4_3ELS4_3ELNS0_20block_scan_algorithmE0ELj4294967295EEENS1_25partition_config_selectorILNS1_17partition_subalgoE4EjNS0_10empty_typeEbEEZZNS1_14partition_implILS8_4ELb0ES6_15HIP_vector_typeIjLj2EENS0_17counting_iteratorIjlEEPS9_SG_NS0_5tupleIJPjSI_NS0_16reverse_iteratorISI_EEEEENSH_IJSG_SG_SG_EEES9_SI_JZNS1_25segmented_radix_sort_implINS0_14default_configELb1EPKiPiPKlPlN2at6native12_GLOBAL__N_18offset_tEEE10hipError_tPvRmT1_PNSt15iterator_traitsIS12_E10value_typeET2_T3_PNS13_IS18_E10value_typeET4_jRbjT5_S1E_jjP12ihipStream_tbEUljE_ZNSN_ISO_Lb1ESQ_SR_ST_SU_SY_EESZ_S10_S11_S12_S16_S17_S18_S1B_S1C_jS1D_jS1E_S1E_jjS1G_bEUljE0_EEESZ_S10_S11_S18_S1C_S1E_T6_T7_T9_mT8_S1G_bDpT10_ENKUlT_T0_E_clISt17integral_constantIbLb1EES1T_IbLb0EEEEDaS1P_S1Q_EUlS1P_E_NS1_11comp_targetILNS1_3genE5ELNS1_11target_archE942ELNS1_3gpuE9ELNS1_3repE0EEENS1_30default_config_static_selectorELNS0_4arch9wavefront6targetE0EEEvS12_
                                        ; -- End function
	.set _ZN7rocprim17ROCPRIM_400000_NS6detail17trampoline_kernelINS0_13select_configILj256ELj13ELNS0_17block_load_methodE3ELS4_3ELS4_3ELNS0_20block_scan_algorithmE0ELj4294967295EEENS1_25partition_config_selectorILNS1_17partition_subalgoE4EjNS0_10empty_typeEbEEZZNS1_14partition_implILS8_4ELb0ES6_15HIP_vector_typeIjLj2EENS0_17counting_iteratorIjlEEPS9_SG_NS0_5tupleIJPjSI_NS0_16reverse_iteratorISI_EEEEENSH_IJSG_SG_SG_EEES9_SI_JZNS1_25segmented_radix_sort_implINS0_14default_configELb1EPKiPiPKlPlN2at6native12_GLOBAL__N_18offset_tEEE10hipError_tPvRmT1_PNSt15iterator_traitsIS12_E10value_typeET2_T3_PNS13_IS18_E10value_typeET4_jRbjT5_S1E_jjP12ihipStream_tbEUljE_ZNSN_ISO_Lb1ESQ_SR_ST_SU_SY_EESZ_S10_S11_S12_S16_S17_S18_S1B_S1C_jS1D_jS1E_S1E_jjS1G_bEUljE0_EEESZ_S10_S11_S18_S1C_S1E_T6_T7_T9_mT8_S1G_bDpT10_ENKUlT_T0_E_clISt17integral_constantIbLb1EES1T_IbLb0EEEEDaS1P_S1Q_EUlS1P_E_NS1_11comp_targetILNS1_3genE5ELNS1_11target_archE942ELNS1_3gpuE9ELNS1_3repE0EEENS1_30default_config_static_selectorELNS0_4arch9wavefront6targetE0EEEvS12_.num_vgpr, 0
	.set _ZN7rocprim17ROCPRIM_400000_NS6detail17trampoline_kernelINS0_13select_configILj256ELj13ELNS0_17block_load_methodE3ELS4_3ELS4_3ELNS0_20block_scan_algorithmE0ELj4294967295EEENS1_25partition_config_selectorILNS1_17partition_subalgoE4EjNS0_10empty_typeEbEEZZNS1_14partition_implILS8_4ELb0ES6_15HIP_vector_typeIjLj2EENS0_17counting_iteratorIjlEEPS9_SG_NS0_5tupleIJPjSI_NS0_16reverse_iteratorISI_EEEEENSH_IJSG_SG_SG_EEES9_SI_JZNS1_25segmented_radix_sort_implINS0_14default_configELb1EPKiPiPKlPlN2at6native12_GLOBAL__N_18offset_tEEE10hipError_tPvRmT1_PNSt15iterator_traitsIS12_E10value_typeET2_T3_PNS13_IS18_E10value_typeET4_jRbjT5_S1E_jjP12ihipStream_tbEUljE_ZNSN_ISO_Lb1ESQ_SR_ST_SU_SY_EESZ_S10_S11_S12_S16_S17_S18_S1B_S1C_jS1D_jS1E_S1E_jjS1G_bEUljE0_EEESZ_S10_S11_S18_S1C_S1E_T6_T7_T9_mT8_S1G_bDpT10_ENKUlT_T0_E_clISt17integral_constantIbLb1EES1T_IbLb0EEEEDaS1P_S1Q_EUlS1P_E_NS1_11comp_targetILNS1_3genE5ELNS1_11target_archE942ELNS1_3gpuE9ELNS1_3repE0EEENS1_30default_config_static_selectorELNS0_4arch9wavefront6targetE0EEEvS12_.num_agpr, 0
	.set _ZN7rocprim17ROCPRIM_400000_NS6detail17trampoline_kernelINS0_13select_configILj256ELj13ELNS0_17block_load_methodE3ELS4_3ELS4_3ELNS0_20block_scan_algorithmE0ELj4294967295EEENS1_25partition_config_selectorILNS1_17partition_subalgoE4EjNS0_10empty_typeEbEEZZNS1_14partition_implILS8_4ELb0ES6_15HIP_vector_typeIjLj2EENS0_17counting_iteratorIjlEEPS9_SG_NS0_5tupleIJPjSI_NS0_16reverse_iteratorISI_EEEEENSH_IJSG_SG_SG_EEES9_SI_JZNS1_25segmented_radix_sort_implINS0_14default_configELb1EPKiPiPKlPlN2at6native12_GLOBAL__N_18offset_tEEE10hipError_tPvRmT1_PNSt15iterator_traitsIS12_E10value_typeET2_T3_PNS13_IS18_E10value_typeET4_jRbjT5_S1E_jjP12ihipStream_tbEUljE_ZNSN_ISO_Lb1ESQ_SR_ST_SU_SY_EESZ_S10_S11_S12_S16_S17_S18_S1B_S1C_jS1D_jS1E_S1E_jjS1G_bEUljE0_EEESZ_S10_S11_S18_S1C_S1E_T6_T7_T9_mT8_S1G_bDpT10_ENKUlT_T0_E_clISt17integral_constantIbLb1EES1T_IbLb0EEEEDaS1P_S1Q_EUlS1P_E_NS1_11comp_targetILNS1_3genE5ELNS1_11target_archE942ELNS1_3gpuE9ELNS1_3repE0EEENS1_30default_config_static_selectorELNS0_4arch9wavefront6targetE0EEEvS12_.numbered_sgpr, 0
	.set _ZN7rocprim17ROCPRIM_400000_NS6detail17trampoline_kernelINS0_13select_configILj256ELj13ELNS0_17block_load_methodE3ELS4_3ELS4_3ELNS0_20block_scan_algorithmE0ELj4294967295EEENS1_25partition_config_selectorILNS1_17partition_subalgoE4EjNS0_10empty_typeEbEEZZNS1_14partition_implILS8_4ELb0ES6_15HIP_vector_typeIjLj2EENS0_17counting_iteratorIjlEEPS9_SG_NS0_5tupleIJPjSI_NS0_16reverse_iteratorISI_EEEEENSH_IJSG_SG_SG_EEES9_SI_JZNS1_25segmented_radix_sort_implINS0_14default_configELb1EPKiPiPKlPlN2at6native12_GLOBAL__N_18offset_tEEE10hipError_tPvRmT1_PNSt15iterator_traitsIS12_E10value_typeET2_T3_PNS13_IS18_E10value_typeET4_jRbjT5_S1E_jjP12ihipStream_tbEUljE_ZNSN_ISO_Lb1ESQ_SR_ST_SU_SY_EESZ_S10_S11_S12_S16_S17_S18_S1B_S1C_jS1D_jS1E_S1E_jjS1G_bEUljE0_EEESZ_S10_S11_S18_S1C_S1E_T6_T7_T9_mT8_S1G_bDpT10_ENKUlT_T0_E_clISt17integral_constantIbLb1EES1T_IbLb0EEEEDaS1P_S1Q_EUlS1P_E_NS1_11comp_targetILNS1_3genE5ELNS1_11target_archE942ELNS1_3gpuE9ELNS1_3repE0EEENS1_30default_config_static_selectorELNS0_4arch9wavefront6targetE0EEEvS12_.num_named_barrier, 0
	.set _ZN7rocprim17ROCPRIM_400000_NS6detail17trampoline_kernelINS0_13select_configILj256ELj13ELNS0_17block_load_methodE3ELS4_3ELS4_3ELNS0_20block_scan_algorithmE0ELj4294967295EEENS1_25partition_config_selectorILNS1_17partition_subalgoE4EjNS0_10empty_typeEbEEZZNS1_14partition_implILS8_4ELb0ES6_15HIP_vector_typeIjLj2EENS0_17counting_iteratorIjlEEPS9_SG_NS0_5tupleIJPjSI_NS0_16reverse_iteratorISI_EEEEENSH_IJSG_SG_SG_EEES9_SI_JZNS1_25segmented_radix_sort_implINS0_14default_configELb1EPKiPiPKlPlN2at6native12_GLOBAL__N_18offset_tEEE10hipError_tPvRmT1_PNSt15iterator_traitsIS12_E10value_typeET2_T3_PNS13_IS18_E10value_typeET4_jRbjT5_S1E_jjP12ihipStream_tbEUljE_ZNSN_ISO_Lb1ESQ_SR_ST_SU_SY_EESZ_S10_S11_S12_S16_S17_S18_S1B_S1C_jS1D_jS1E_S1E_jjS1G_bEUljE0_EEESZ_S10_S11_S18_S1C_S1E_T6_T7_T9_mT8_S1G_bDpT10_ENKUlT_T0_E_clISt17integral_constantIbLb1EES1T_IbLb0EEEEDaS1P_S1Q_EUlS1P_E_NS1_11comp_targetILNS1_3genE5ELNS1_11target_archE942ELNS1_3gpuE9ELNS1_3repE0EEENS1_30default_config_static_selectorELNS0_4arch9wavefront6targetE0EEEvS12_.private_seg_size, 0
	.set _ZN7rocprim17ROCPRIM_400000_NS6detail17trampoline_kernelINS0_13select_configILj256ELj13ELNS0_17block_load_methodE3ELS4_3ELS4_3ELNS0_20block_scan_algorithmE0ELj4294967295EEENS1_25partition_config_selectorILNS1_17partition_subalgoE4EjNS0_10empty_typeEbEEZZNS1_14partition_implILS8_4ELb0ES6_15HIP_vector_typeIjLj2EENS0_17counting_iteratorIjlEEPS9_SG_NS0_5tupleIJPjSI_NS0_16reverse_iteratorISI_EEEEENSH_IJSG_SG_SG_EEES9_SI_JZNS1_25segmented_radix_sort_implINS0_14default_configELb1EPKiPiPKlPlN2at6native12_GLOBAL__N_18offset_tEEE10hipError_tPvRmT1_PNSt15iterator_traitsIS12_E10value_typeET2_T3_PNS13_IS18_E10value_typeET4_jRbjT5_S1E_jjP12ihipStream_tbEUljE_ZNSN_ISO_Lb1ESQ_SR_ST_SU_SY_EESZ_S10_S11_S12_S16_S17_S18_S1B_S1C_jS1D_jS1E_S1E_jjS1G_bEUljE0_EEESZ_S10_S11_S18_S1C_S1E_T6_T7_T9_mT8_S1G_bDpT10_ENKUlT_T0_E_clISt17integral_constantIbLb1EES1T_IbLb0EEEEDaS1P_S1Q_EUlS1P_E_NS1_11comp_targetILNS1_3genE5ELNS1_11target_archE942ELNS1_3gpuE9ELNS1_3repE0EEENS1_30default_config_static_selectorELNS0_4arch9wavefront6targetE0EEEvS12_.uses_vcc, 0
	.set _ZN7rocprim17ROCPRIM_400000_NS6detail17trampoline_kernelINS0_13select_configILj256ELj13ELNS0_17block_load_methodE3ELS4_3ELS4_3ELNS0_20block_scan_algorithmE0ELj4294967295EEENS1_25partition_config_selectorILNS1_17partition_subalgoE4EjNS0_10empty_typeEbEEZZNS1_14partition_implILS8_4ELb0ES6_15HIP_vector_typeIjLj2EENS0_17counting_iteratorIjlEEPS9_SG_NS0_5tupleIJPjSI_NS0_16reverse_iteratorISI_EEEEENSH_IJSG_SG_SG_EEES9_SI_JZNS1_25segmented_radix_sort_implINS0_14default_configELb1EPKiPiPKlPlN2at6native12_GLOBAL__N_18offset_tEEE10hipError_tPvRmT1_PNSt15iterator_traitsIS12_E10value_typeET2_T3_PNS13_IS18_E10value_typeET4_jRbjT5_S1E_jjP12ihipStream_tbEUljE_ZNSN_ISO_Lb1ESQ_SR_ST_SU_SY_EESZ_S10_S11_S12_S16_S17_S18_S1B_S1C_jS1D_jS1E_S1E_jjS1G_bEUljE0_EEESZ_S10_S11_S18_S1C_S1E_T6_T7_T9_mT8_S1G_bDpT10_ENKUlT_T0_E_clISt17integral_constantIbLb1EES1T_IbLb0EEEEDaS1P_S1Q_EUlS1P_E_NS1_11comp_targetILNS1_3genE5ELNS1_11target_archE942ELNS1_3gpuE9ELNS1_3repE0EEENS1_30default_config_static_selectorELNS0_4arch9wavefront6targetE0EEEvS12_.uses_flat_scratch, 0
	.set _ZN7rocprim17ROCPRIM_400000_NS6detail17trampoline_kernelINS0_13select_configILj256ELj13ELNS0_17block_load_methodE3ELS4_3ELS4_3ELNS0_20block_scan_algorithmE0ELj4294967295EEENS1_25partition_config_selectorILNS1_17partition_subalgoE4EjNS0_10empty_typeEbEEZZNS1_14partition_implILS8_4ELb0ES6_15HIP_vector_typeIjLj2EENS0_17counting_iteratorIjlEEPS9_SG_NS0_5tupleIJPjSI_NS0_16reverse_iteratorISI_EEEEENSH_IJSG_SG_SG_EEES9_SI_JZNS1_25segmented_radix_sort_implINS0_14default_configELb1EPKiPiPKlPlN2at6native12_GLOBAL__N_18offset_tEEE10hipError_tPvRmT1_PNSt15iterator_traitsIS12_E10value_typeET2_T3_PNS13_IS18_E10value_typeET4_jRbjT5_S1E_jjP12ihipStream_tbEUljE_ZNSN_ISO_Lb1ESQ_SR_ST_SU_SY_EESZ_S10_S11_S12_S16_S17_S18_S1B_S1C_jS1D_jS1E_S1E_jjS1G_bEUljE0_EEESZ_S10_S11_S18_S1C_S1E_T6_T7_T9_mT8_S1G_bDpT10_ENKUlT_T0_E_clISt17integral_constantIbLb1EES1T_IbLb0EEEEDaS1P_S1Q_EUlS1P_E_NS1_11comp_targetILNS1_3genE5ELNS1_11target_archE942ELNS1_3gpuE9ELNS1_3repE0EEENS1_30default_config_static_selectorELNS0_4arch9wavefront6targetE0EEEvS12_.has_dyn_sized_stack, 0
	.set _ZN7rocprim17ROCPRIM_400000_NS6detail17trampoline_kernelINS0_13select_configILj256ELj13ELNS0_17block_load_methodE3ELS4_3ELS4_3ELNS0_20block_scan_algorithmE0ELj4294967295EEENS1_25partition_config_selectorILNS1_17partition_subalgoE4EjNS0_10empty_typeEbEEZZNS1_14partition_implILS8_4ELb0ES6_15HIP_vector_typeIjLj2EENS0_17counting_iteratorIjlEEPS9_SG_NS0_5tupleIJPjSI_NS0_16reverse_iteratorISI_EEEEENSH_IJSG_SG_SG_EEES9_SI_JZNS1_25segmented_radix_sort_implINS0_14default_configELb1EPKiPiPKlPlN2at6native12_GLOBAL__N_18offset_tEEE10hipError_tPvRmT1_PNSt15iterator_traitsIS12_E10value_typeET2_T3_PNS13_IS18_E10value_typeET4_jRbjT5_S1E_jjP12ihipStream_tbEUljE_ZNSN_ISO_Lb1ESQ_SR_ST_SU_SY_EESZ_S10_S11_S12_S16_S17_S18_S1B_S1C_jS1D_jS1E_S1E_jjS1G_bEUljE0_EEESZ_S10_S11_S18_S1C_S1E_T6_T7_T9_mT8_S1G_bDpT10_ENKUlT_T0_E_clISt17integral_constantIbLb1EES1T_IbLb0EEEEDaS1P_S1Q_EUlS1P_E_NS1_11comp_targetILNS1_3genE5ELNS1_11target_archE942ELNS1_3gpuE9ELNS1_3repE0EEENS1_30default_config_static_selectorELNS0_4arch9wavefront6targetE0EEEvS12_.has_recursion, 0
	.set _ZN7rocprim17ROCPRIM_400000_NS6detail17trampoline_kernelINS0_13select_configILj256ELj13ELNS0_17block_load_methodE3ELS4_3ELS4_3ELNS0_20block_scan_algorithmE0ELj4294967295EEENS1_25partition_config_selectorILNS1_17partition_subalgoE4EjNS0_10empty_typeEbEEZZNS1_14partition_implILS8_4ELb0ES6_15HIP_vector_typeIjLj2EENS0_17counting_iteratorIjlEEPS9_SG_NS0_5tupleIJPjSI_NS0_16reverse_iteratorISI_EEEEENSH_IJSG_SG_SG_EEES9_SI_JZNS1_25segmented_radix_sort_implINS0_14default_configELb1EPKiPiPKlPlN2at6native12_GLOBAL__N_18offset_tEEE10hipError_tPvRmT1_PNSt15iterator_traitsIS12_E10value_typeET2_T3_PNS13_IS18_E10value_typeET4_jRbjT5_S1E_jjP12ihipStream_tbEUljE_ZNSN_ISO_Lb1ESQ_SR_ST_SU_SY_EESZ_S10_S11_S12_S16_S17_S18_S1B_S1C_jS1D_jS1E_S1E_jjS1G_bEUljE0_EEESZ_S10_S11_S18_S1C_S1E_T6_T7_T9_mT8_S1G_bDpT10_ENKUlT_T0_E_clISt17integral_constantIbLb1EES1T_IbLb0EEEEDaS1P_S1Q_EUlS1P_E_NS1_11comp_targetILNS1_3genE5ELNS1_11target_archE942ELNS1_3gpuE9ELNS1_3repE0EEENS1_30default_config_static_selectorELNS0_4arch9wavefront6targetE0EEEvS12_.has_indirect_call, 0
	.section	.AMDGPU.csdata,"",@progbits
; Kernel info:
; codeLenInByte = 0
; TotalNumSgprs: 0
; NumVgprs: 0
; ScratchSize: 0
; MemoryBound: 0
; FloatMode: 240
; IeeeMode: 1
; LDSByteSize: 0 bytes/workgroup (compile time only)
; SGPRBlocks: 0
; VGPRBlocks: 0
; NumSGPRsForWavesPerEU: 1
; NumVGPRsForWavesPerEU: 1
; NamedBarCnt: 0
; Occupancy: 16
; WaveLimiterHint : 0
; COMPUTE_PGM_RSRC2:SCRATCH_EN: 0
; COMPUTE_PGM_RSRC2:USER_SGPR: 2
; COMPUTE_PGM_RSRC2:TRAP_HANDLER: 0
; COMPUTE_PGM_RSRC2:TGID_X_EN: 1
; COMPUTE_PGM_RSRC2:TGID_Y_EN: 0
; COMPUTE_PGM_RSRC2:TGID_Z_EN: 0
; COMPUTE_PGM_RSRC2:TIDIG_COMP_CNT: 0
	.section	.text._ZN7rocprim17ROCPRIM_400000_NS6detail17trampoline_kernelINS0_13select_configILj256ELj13ELNS0_17block_load_methodE3ELS4_3ELS4_3ELNS0_20block_scan_algorithmE0ELj4294967295EEENS1_25partition_config_selectorILNS1_17partition_subalgoE4EjNS0_10empty_typeEbEEZZNS1_14partition_implILS8_4ELb0ES6_15HIP_vector_typeIjLj2EENS0_17counting_iteratorIjlEEPS9_SG_NS0_5tupleIJPjSI_NS0_16reverse_iteratorISI_EEEEENSH_IJSG_SG_SG_EEES9_SI_JZNS1_25segmented_radix_sort_implINS0_14default_configELb1EPKiPiPKlPlN2at6native12_GLOBAL__N_18offset_tEEE10hipError_tPvRmT1_PNSt15iterator_traitsIS12_E10value_typeET2_T3_PNS13_IS18_E10value_typeET4_jRbjT5_S1E_jjP12ihipStream_tbEUljE_ZNSN_ISO_Lb1ESQ_SR_ST_SU_SY_EESZ_S10_S11_S12_S16_S17_S18_S1B_S1C_jS1D_jS1E_S1E_jjS1G_bEUljE0_EEESZ_S10_S11_S18_S1C_S1E_T6_T7_T9_mT8_S1G_bDpT10_ENKUlT_T0_E_clISt17integral_constantIbLb1EES1T_IbLb0EEEEDaS1P_S1Q_EUlS1P_E_NS1_11comp_targetILNS1_3genE4ELNS1_11target_archE910ELNS1_3gpuE8ELNS1_3repE0EEENS1_30default_config_static_selectorELNS0_4arch9wavefront6targetE0EEEvS12_,"axG",@progbits,_ZN7rocprim17ROCPRIM_400000_NS6detail17trampoline_kernelINS0_13select_configILj256ELj13ELNS0_17block_load_methodE3ELS4_3ELS4_3ELNS0_20block_scan_algorithmE0ELj4294967295EEENS1_25partition_config_selectorILNS1_17partition_subalgoE4EjNS0_10empty_typeEbEEZZNS1_14partition_implILS8_4ELb0ES6_15HIP_vector_typeIjLj2EENS0_17counting_iteratorIjlEEPS9_SG_NS0_5tupleIJPjSI_NS0_16reverse_iteratorISI_EEEEENSH_IJSG_SG_SG_EEES9_SI_JZNS1_25segmented_radix_sort_implINS0_14default_configELb1EPKiPiPKlPlN2at6native12_GLOBAL__N_18offset_tEEE10hipError_tPvRmT1_PNSt15iterator_traitsIS12_E10value_typeET2_T3_PNS13_IS18_E10value_typeET4_jRbjT5_S1E_jjP12ihipStream_tbEUljE_ZNSN_ISO_Lb1ESQ_SR_ST_SU_SY_EESZ_S10_S11_S12_S16_S17_S18_S1B_S1C_jS1D_jS1E_S1E_jjS1G_bEUljE0_EEESZ_S10_S11_S18_S1C_S1E_T6_T7_T9_mT8_S1G_bDpT10_ENKUlT_T0_E_clISt17integral_constantIbLb1EES1T_IbLb0EEEEDaS1P_S1Q_EUlS1P_E_NS1_11comp_targetILNS1_3genE4ELNS1_11target_archE910ELNS1_3gpuE8ELNS1_3repE0EEENS1_30default_config_static_selectorELNS0_4arch9wavefront6targetE0EEEvS12_,comdat
	.globl	_ZN7rocprim17ROCPRIM_400000_NS6detail17trampoline_kernelINS0_13select_configILj256ELj13ELNS0_17block_load_methodE3ELS4_3ELS4_3ELNS0_20block_scan_algorithmE0ELj4294967295EEENS1_25partition_config_selectorILNS1_17partition_subalgoE4EjNS0_10empty_typeEbEEZZNS1_14partition_implILS8_4ELb0ES6_15HIP_vector_typeIjLj2EENS0_17counting_iteratorIjlEEPS9_SG_NS0_5tupleIJPjSI_NS0_16reverse_iteratorISI_EEEEENSH_IJSG_SG_SG_EEES9_SI_JZNS1_25segmented_radix_sort_implINS0_14default_configELb1EPKiPiPKlPlN2at6native12_GLOBAL__N_18offset_tEEE10hipError_tPvRmT1_PNSt15iterator_traitsIS12_E10value_typeET2_T3_PNS13_IS18_E10value_typeET4_jRbjT5_S1E_jjP12ihipStream_tbEUljE_ZNSN_ISO_Lb1ESQ_SR_ST_SU_SY_EESZ_S10_S11_S12_S16_S17_S18_S1B_S1C_jS1D_jS1E_S1E_jjS1G_bEUljE0_EEESZ_S10_S11_S18_S1C_S1E_T6_T7_T9_mT8_S1G_bDpT10_ENKUlT_T0_E_clISt17integral_constantIbLb1EES1T_IbLb0EEEEDaS1P_S1Q_EUlS1P_E_NS1_11comp_targetILNS1_3genE4ELNS1_11target_archE910ELNS1_3gpuE8ELNS1_3repE0EEENS1_30default_config_static_selectorELNS0_4arch9wavefront6targetE0EEEvS12_ ; -- Begin function _ZN7rocprim17ROCPRIM_400000_NS6detail17trampoline_kernelINS0_13select_configILj256ELj13ELNS0_17block_load_methodE3ELS4_3ELS4_3ELNS0_20block_scan_algorithmE0ELj4294967295EEENS1_25partition_config_selectorILNS1_17partition_subalgoE4EjNS0_10empty_typeEbEEZZNS1_14partition_implILS8_4ELb0ES6_15HIP_vector_typeIjLj2EENS0_17counting_iteratorIjlEEPS9_SG_NS0_5tupleIJPjSI_NS0_16reverse_iteratorISI_EEEEENSH_IJSG_SG_SG_EEES9_SI_JZNS1_25segmented_radix_sort_implINS0_14default_configELb1EPKiPiPKlPlN2at6native12_GLOBAL__N_18offset_tEEE10hipError_tPvRmT1_PNSt15iterator_traitsIS12_E10value_typeET2_T3_PNS13_IS18_E10value_typeET4_jRbjT5_S1E_jjP12ihipStream_tbEUljE_ZNSN_ISO_Lb1ESQ_SR_ST_SU_SY_EESZ_S10_S11_S12_S16_S17_S18_S1B_S1C_jS1D_jS1E_S1E_jjS1G_bEUljE0_EEESZ_S10_S11_S18_S1C_S1E_T6_T7_T9_mT8_S1G_bDpT10_ENKUlT_T0_E_clISt17integral_constantIbLb1EES1T_IbLb0EEEEDaS1P_S1Q_EUlS1P_E_NS1_11comp_targetILNS1_3genE4ELNS1_11target_archE910ELNS1_3gpuE8ELNS1_3repE0EEENS1_30default_config_static_selectorELNS0_4arch9wavefront6targetE0EEEvS12_
	.p2align	8
	.type	_ZN7rocprim17ROCPRIM_400000_NS6detail17trampoline_kernelINS0_13select_configILj256ELj13ELNS0_17block_load_methodE3ELS4_3ELS4_3ELNS0_20block_scan_algorithmE0ELj4294967295EEENS1_25partition_config_selectorILNS1_17partition_subalgoE4EjNS0_10empty_typeEbEEZZNS1_14partition_implILS8_4ELb0ES6_15HIP_vector_typeIjLj2EENS0_17counting_iteratorIjlEEPS9_SG_NS0_5tupleIJPjSI_NS0_16reverse_iteratorISI_EEEEENSH_IJSG_SG_SG_EEES9_SI_JZNS1_25segmented_radix_sort_implINS0_14default_configELb1EPKiPiPKlPlN2at6native12_GLOBAL__N_18offset_tEEE10hipError_tPvRmT1_PNSt15iterator_traitsIS12_E10value_typeET2_T3_PNS13_IS18_E10value_typeET4_jRbjT5_S1E_jjP12ihipStream_tbEUljE_ZNSN_ISO_Lb1ESQ_SR_ST_SU_SY_EESZ_S10_S11_S12_S16_S17_S18_S1B_S1C_jS1D_jS1E_S1E_jjS1G_bEUljE0_EEESZ_S10_S11_S18_S1C_S1E_T6_T7_T9_mT8_S1G_bDpT10_ENKUlT_T0_E_clISt17integral_constantIbLb1EES1T_IbLb0EEEEDaS1P_S1Q_EUlS1P_E_NS1_11comp_targetILNS1_3genE4ELNS1_11target_archE910ELNS1_3gpuE8ELNS1_3repE0EEENS1_30default_config_static_selectorELNS0_4arch9wavefront6targetE0EEEvS12_,@function
_ZN7rocprim17ROCPRIM_400000_NS6detail17trampoline_kernelINS0_13select_configILj256ELj13ELNS0_17block_load_methodE3ELS4_3ELS4_3ELNS0_20block_scan_algorithmE0ELj4294967295EEENS1_25partition_config_selectorILNS1_17partition_subalgoE4EjNS0_10empty_typeEbEEZZNS1_14partition_implILS8_4ELb0ES6_15HIP_vector_typeIjLj2EENS0_17counting_iteratorIjlEEPS9_SG_NS0_5tupleIJPjSI_NS0_16reverse_iteratorISI_EEEEENSH_IJSG_SG_SG_EEES9_SI_JZNS1_25segmented_radix_sort_implINS0_14default_configELb1EPKiPiPKlPlN2at6native12_GLOBAL__N_18offset_tEEE10hipError_tPvRmT1_PNSt15iterator_traitsIS12_E10value_typeET2_T3_PNS13_IS18_E10value_typeET4_jRbjT5_S1E_jjP12ihipStream_tbEUljE_ZNSN_ISO_Lb1ESQ_SR_ST_SU_SY_EESZ_S10_S11_S12_S16_S17_S18_S1B_S1C_jS1D_jS1E_S1E_jjS1G_bEUljE0_EEESZ_S10_S11_S18_S1C_S1E_T6_T7_T9_mT8_S1G_bDpT10_ENKUlT_T0_E_clISt17integral_constantIbLb1EES1T_IbLb0EEEEDaS1P_S1Q_EUlS1P_E_NS1_11comp_targetILNS1_3genE4ELNS1_11target_archE910ELNS1_3gpuE8ELNS1_3repE0EEENS1_30default_config_static_selectorELNS0_4arch9wavefront6targetE0EEEvS12_: ; @_ZN7rocprim17ROCPRIM_400000_NS6detail17trampoline_kernelINS0_13select_configILj256ELj13ELNS0_17block_load_methodE3ELS4_3ELS4_3ELNS0_20block_scan_algorithmE0ELj4294967295EEENS1_25partition_config_selectorILNS1_17partition_subalgoE4EjNS0_10empty_typeEbEEZZNS1_14partition_implILS8_4ELb0ES6_15HIP_vector_typeIjLj2EENS0_17counting_iteratorIjlEEPS9_SG_NS0_5tupleIJPjSI_NS0_16reverse_iteratorISI_EEEEENSH_IJSG_SG_SG_EEES9_SI_JZNS1_25segmented_radix_sort_implINS0_14default_configELb1EPKiPiPKlPlN2at6native12_GLOBAL__N_18offset_tEEE10hipError_tPvRmT1_PNSt15iterator_traitsIS12_E10value_typeET2_T3_PNS13_IS18_E10value_typeET4_jRbjT5_S1E_jjP12ihipStream_tbEUljE_ZNSN_ISO_Lb1ESQ_SR_ST_SU_SY_EESZ_S10_S11_S12_S16_S17_S18_S1B_S1C_jS1D_jS1E_S1E_jjS1G_bEUljE0_EEESZ_S10_S11_S18_S1C_S1E_T6_T7_T9_mT8_S1G_bDpT10_ENKUlT_T0_E_clISt17integral_constantIbLb1EES1T_IbLb0EEEEDaS1P_S1Q_EUlS1P_E_NS1_11comp_targetILNS1_3genE4ELNS1_11target_archE910ELNS1_3gpuE8ELNS1_3repE0EEENS1_30default_config_static_selectorELNS0_4arch9wavefront6targetE0EEEvS12_
; %bb.0:
	.section	.rodata,"a",@progbits
	.p2align	6, 0x0
	.amdhsa_kernel _ZN7rocprim17ROCPRIM_400000_NS6detail17trampoline_kernelINS0_13select_configILj256ELj13ELNS0_17block_load_methodE3ELS4_3ELS4_3ELNS0_20block_scan_algorithmE0ELj4294967295EEENS1_25partition_config_selectorILNS1_17partition_subalgoE4EjNS0_10empty_typeEbEEZZNS1_14partition_implILS8_4ELb0ES6_15HIP_vector_typeIjLj2EENS0_17counting_iteratorIjlEEPS9_SG_NS0_5tupleIJPjSI_NS0_16reverse_iteratorISI_EEEEENSH_IJSG_SG_SG_EEES9_SI_JZNS1_25segmented_radix_sort_implINS0_14default_configELb1EPKiPiPKlPlN2at6native12_GLOBAL__N_18offset_tEEE10hipError_tPvRmT1_PNSt15iterator_traitsIS12_E10value_typeET2_T3_PNS13_IS18_E10value_typeET4_jRbjT5_S1E_jjP12ihipStream_tbEUljE_ZNSN_ISO_Lb1ESQ_SR_ST_SU_SY_EESZ_S10_S11_S12_S16_S17_S18_S1B_S1C_jS1D_jS1E_S1E_jjS1G_bEUljE0_EEESZ_S10_S11_S18_S1C_S1E_T6_T7_T9_mT8_S1G_bDpT10_ENKUlT_T0_E_clISt17integral_constantIbLb1EES1T_IbLb0EEEEDaS1P_S1Q_EUlS1P_E_NS1_11comp_targetILNS1_3genE4ELNS1_11target_archE910ELNS1_3gpuE8ELNS1_3repE0EEENS1_30default_config_static_selectorELNS0_4arch9wavefront6targetE0EEEvS12_
		.amdhsa_group_segment_fixed_size 0
		.amdhsa_private_segment_fixed_size 0
		.amdhsa_kernarg_size 176
		.amdhsa_user_sgpr_count 2
		.amdhsa_user_sgpr_dispatch_ptr 0
		.amdhsa_user_sgpr_queue_ptr 0
		.amdhsa_user_sgpr_kernarg_segment_ptr 1
		.amdhsa_user_sgpr_dispatch_id 0
		.amdhsa_user_sgpr_kernarg_preload_length 0
		.amdhsa_user_sgpr_kernarg_preload_offset 0
		.amdhsa_user_sgpr_private_segment_size 0
		.amdhsa_wavefront_size32 1
		.amdhsa_uses_dynamic_stack 0
		.amdhsa_enable_private_segment 0
		.amdhsa_system_sgpr_workgroup_id_x 1
		.amdhsa_system_sgpr_workgroup_id_y 0
		.amdhsa_system_sgpr_workgroup_id_z 0
		.amdhsa_system_sgpr_workgroup_info 0
		.amdhsa_system_vgpr_workitem_id 0
		.amdhsa_next_free_vgpr 1
		.amdhsa_next_free_sgpr 1
		.amdhsa_named_barrier_count 0
		.amdhsa_reserve_vcc 0
		.amdhsa_float_round_mode_32 0
		.amdhsa_float_round_mode_16_64 0
		.amdhsa_float_denorm_mode_32 3
		.amdhsa_float_denorm_mode_16_64 3
		.amdhsa_fp16_overflow 0
		.amdhsa_memory_ordered 1
		.amdhsa_forward_progress 1
		.amdhsa_inst_pref_size 0
		.amdhsa_round_robin_scheduling 0
		.amdhsa_exception_fp_ieee_invalid_op 0
		.amdhsa_exception_fp_denorm_src 0
		.amdhsa_exception_fp_ieee_div_zero 0
		.amdhsa_exception_fp_ieee_overflow 0
		.amdhsa_exception_fp_ieee_underflow 0
		.amdhsa_exception_fp_ieee_inexact 0
		.amdhsa_exception_int_div_zero 0
	.end_amdhsa_kernel
	.section	.text._ZN7rocprim17ROCPRIM_400000_NS6detail17trampoline_kernelINS0_13select_configILj256ELj13ELNS0_17block_load_methodE3ELS4_3ELS4_3ELNS0_20block_scan_algorithmE0ELj4294967295EEENS1_25partition_config_selectorILNS1_17partition_subalgoE4EjNS0_10empty_typeEbEEZZNS1_14partition_implILS8_4ELb0ES6_15HIP_vector_typeIjLj2EENS0_17counting_iteratorIjlEEPS9_SG_NS0_5tupleIJPjSI_NS0_16reverse_iteratorISI_EEEEENSH_IJSG_SG_SG_EEES9_SI_JZNS1_25segmented_radix_sort_implINS0_14default_configELb1EPKiPiPKlPlN2at6native12_GLOBAL__N_18offset_tEEE10hipError_tPvRmT1_PNSt15iterator_traitsIS12_E10value_typeET2_T3_PNS13_IS18_E10value_typeET4_jRbjT5_S1E_jjP12ihipStream_tbEUljE_ZNSN_ISO_Lb1ESQ_SR_ST_SU_SY_EESZ_S10_S11_S12_S16_S17_S18_S1B_S1C_jS1D_jS1E_S1E_jjS1G_bEUljE0_EEESZ_S10_S11_S18_S1C_S1E_T6_T7_T9_mT8_S1G_bDpT10_ENKUlT_T0_E_clISt17integral_constantIbLb1EES1T_IbLb0EEEEDaS1P_S1Q_EUlS1P_E_NS1_11comp_targetILNS1_3genE4ELNS1_11target_archE910ELNS1_3gpuE8ELNS1_3repE0EEENS1_30default_config_static_selectorELNS0_4arch9wavefront6targetE0EEEvS12_,"axG",@progbits,_ZN7rocprim17ROCPRIM_400000_NS6detail17trampoline_kernelINS0_13select_configILj256ELj13ELNS0_17block_load_methodE3ELS4_3ELS4_3ELNS0_20block_scan_algorithmE0ELj4294967295EEENS1_25partition_config_selectorILNS1_17partition_subalgoE4EjNS0_10empty_typeEbEEZZNS1_14partition_implILS8_4ELb0ES6_15HIP_vector_typeIjLj2EENS0_17counting_iteratorIjlEEPS9_SG_NS0_5tupleIJPjSI_NS0_16reverse_iteratorISI_EEEEENSH_IJSG_SG_SG_EEES9_SI_JZNS1_25segmented_radix_sort_implINS0_14default_configELb1EPKiPiPKlPlN2at6native12_GLOBAL__N_18offset_tEEE10hipError_tPvRmT1_PNSt15iterator_traitsIS12_E10value_typeET2_T3_PNS13_IS18_E10value_typeET4_jRbjT5_S1E_jjP12ihipStream_tbEUljE_ZNSN_ISO_Lb1ESQ_SR_ST_SU_SY_EESZ_S10_S11_S12_S16_S17_S18_S1B_S1C_jS1D_jS1E_S1E_jjS1G_bEUljE0_EEESZ_S10_S11_S18_S1C_S1E_T6_T7_T9_mT8_S1G_bDpT10_ENKUlT_T0_E_clISt17integral_constantIbLb1EES1T_IbLb0EEEEDaS1P_S1Q_EUlS1P_E_NS1_11comp_targetILNS1_3genE4ELNS1_11target_archE910ELNS1_3gpuE8ELNS1_3repE0EEENS1_30default_config_static_selectorELNS0_4arch9wavefront6targetE0EEEvS12_,comdat
.Lfunc_end447:
	.size	_ZN7rocprim17ROCPRIM_400000_NS6detail17trampoline_kernelINS0_13select_configILj256ELj13ELNS0_17block_load_methodE3ELS4_3ELS4_3ELNS0_20block_scan_algorithmE0ELj4294967295EEENS1_25partition_config_selectorILNS1_17partition_subalgoE4EjNS0_10empty_typeEbEEZZNS1_14partition_implILS8_4ELb0ES6_15HIP_vector_typeIjLj2EENS0_17counting_iteratorIjlEEPS9_SG_NS0_5tupleIJPjSI_NS0_16reverse_iteratorISI_EEEEENSH_IJSG_SG_SG_EEES9_SI_JZNS1_25segmented_radix_sort_implINS0_14default_configELb1EPKiPiPKlPlN2at6native12_GLOBAL__N_18offset_tEEE10hipError_tPvRmT1_PNSt15iterator_traitsIS12_E10value_typeET2_T3_PNS13_IS18_E10value_typeET4_jRbjT5_S1E_jjP12ihipStream_tbEUljE_ZNSN_ISO_Lb1ESQ_SR_ST_SU_SY_EESZ_S10_S11_S12_S16_S17_S18_S1B_S1C_jS1D_jS1E_S1E_jjS1G_bEUljE0_EEESZ_S10_S11_S18_S1C_S1E_T6_T7_T9_mT8_S1G_bDpT10_ENKUlT_T0_E_clISt17integral_constantIbLb1EES1T_IbLb0EEEEDaS1P_S1Q_EUlS1P_E_NS1_11comp_targetILNS1_3genE4ELNS1_11target_archE910ELNS1_3gpuE8ELNS1_3repE0EEENS1_30default_config_static_selectorELNS0_4arch9wavefront6targetE0EEEvS12_, .Lfunc_end447-_ZN7rocprim17ROCPRIM_400000_NS6detail17trampoline_kernelINS0_13select_configILj256ELj13ELNS0_17block_load_methodE3ELS4_3ELS4_3ELNS0_20block_scan_algorithmE0ELj4294967295EEENS1_25partition_config_selectorILNS1_17partition_subalgoE4EjNS0_10empty_typeEbEEZZNS1_14partition_implILS8_4ELb0ES6_15HIP_vector_typeIjLj2EENS0_17counting_iteratorIjlEEPS9_SG_NS0_5tupleIJPjSI_NS0_16reverse_iteratorISI_EEEEENSH_IJSG_SG_SG_EEES9_SI_JZNS1_25segmented_radix_sort_implINS0_14default_configELb1EPKiPiPKlPlN2at6native12_GLOBAL__N_18offset_tEEE10hipError_tPvRmT1_PNSt15iterator_traitsIS12_E10value_typeET2_T3_PNS13_IS18_E10value_typeET4_jRbjT5_S1E_jjP12ihipStream_tbEUljE_ZNSN_ISO_Lb1ESQ_SR_ST_SU_SY_EESZ_S10_S11_S12_S16_S17_S18_S1B_S1C_jS1D_jS1E_S1E_jjS1G_bEUljE0_EEESZ_S10_S11_S18_S1C_S1E_T6_T7_T9_mT8_S1G_bDpT10_ENKUlT_T0_E_clISt17integral_constantIbLb1EES1T_IbLb0EEEEDaS1P_S1Q_EUlS1P_E_NS1_11comp_targetILNS1_3genE4ELNS1_11target_archE910ELNS1_3gpuE8ELNS1_3repE0EEENS1_30default_config_static_selectorELNS0_4arch9wavefront6targetE0EEEvS12_
                                        ; -- End function
	.set _ZN7rocprim17ROCPRIM_400000_NS6detail17trampoline_kernelINS0_13select_configILj256ELj13ELNS0_17block_load_methodE3ELS4_3ELS4_3ELNS0_20block_scan_algorithmE0ELj4294967295EEENS1_25partition_config_selectorILNS1_17partition_subalgoE4EjNS0_10empty_typeEbEEZZNS1_14partition_implILS8_4ELb0ES6_15HIP_vector_typeIjLj2EENS0_17counting_iteratorIjlEEPS9_SG_NS0_5tupleIJPjSI_NS0_16reverse_iteratorISI_EEEEENSH_IJSG_SG_SG_EEES9_SI_JZNS1_25segmented_radix_sort_implINS0_14default_configELb1EPKiPiPKlPlN2at6native12_GLOBAL__N_18offset_tEEE10hipError_tPvRmT1_PNSt15iterator_traitsIS12_E10value_typeET2_T3_PNS13_IS18_E10value_typeET4_jRbjT5_S1E_jjP12ihipStream_tbEUljE_ZNSN_ISO_Lb1ESQ_SR_ST_SU_SY_EESZ_S10_S11_S12_S16_S17_S18_S1B_S1C_jS1D_jS1E_S1E_jjS1G_bEUljE0_EEESZ_S10_S11_S18_S1C_S1E_T6_T7_T9_mT8_S1G_bDpT10_ENKUlT_T0_E_clISt17integral_constantIbLb1EES1T_IbLb0EEEEDaS1P_S1Q_EUlS1P_E_NS1_11comp_targetILNS1_3genE4ELNS1_11target_archE910ELNS1_3gpuE8ELNS1_3repE0EEENS1_30default_config_static_selectorELNS0_4arch9wavefront6targetE0EEEvS12_.num_vgpr, 0
	.set _ZN7rocprim17ROCPRIM_400000_NS6detail17trampoline_kernelINS0_13select_configILj256ELj13ELNS0_17block_load_methodE3ELS4_3ELS4_3ELNS0_20block_scan_algorithmE0ELj4294967295EEENS1_25partition_config_selectorILNS1_17partition_subalgoE4EjNS0_10empty_typeEbEEZZNS1_14partition_implILS8_4ELb0ES6_15HIP_vector_typeIjLj2EENS0_17counting_iteratorIjlEEPS9_SG_NS0_5tupleIJPjSI_NS0_16reverse_iteratorISI_EEEEENSH_IJSG_SG_SG_EEES9_SI_JZNS1_25segmented_radix_sort_implINS0_14default_configELb1EPKiPiPKlPlN2at6native12_GLOBAL__N_18offset_tEEE10hipError_tPvRmT1_PNSt15iterator_traitsIS12_E10value_typeET2_T3_PNS13_IS18_E10value_typeET4_jRbjT5_S1E_jjP12ihipStream_tbEUljE_ZNSN_ISO_Lb1ESQ_SR_ST_SU_SY_EESZ_S10_S11_S12_S16_S17_S18_S1B_S1C_jS1D_jS1E_S1E_jjS1G_bEUljE0_EEESZ_S10_S11_S18_S1C_S1E_T6_T7_T9_mT8_S1G_bDpT10_ENKUlT_T0_E_clISt17integral_constantIbLb1EES1T_IbLb0EEEEDaS1P_S1Q_EUlS1P_E_NS1_11comp_targetILNS1_3genE4ELNS1_11target_archE910ELNS1_3gpuE8ELNS1_3repE0EEENS1_30default_config_static_selectorELNS0_4arch9wavefront6targetE0EEEvS12_.num_agpr, 0
	.set _ZN7rocprim17ROCPRIM_400000_NS6detail17trampoline_kernelINS0_13select_configILj256ELj13ELNS0_17block_load_methodE3ELS4_3ELS4_3ELNS0_20block_scan_algorithmE0ELj4294967295EEENS1_25partition_config_selectorILNS1_17partition_subalgoE4EjNS0_10empty_typeEbEEZZNS1_14partition_implILS8_4ELb0ES6_15HIP_vector_typeIjLj2EENS0_17counting_iteratorIjlEEPS9_SG_NS0_5tupleIJPjSI_NS0_16reverse_iteratorISI_EEEEENSH_IJSG_SG_SG_EEES9_SI_JZNS1_25segmented_radix_sort_implINS0_14default_configELb1EPKiPiPKlPlN2at6native12_GLOBAL__N_18offset_tEEE10hipError_tPvRmT1_PNSt15iterator_traitsIS12_E10value_typeET2_T3_PNS13_IS18_E10value_typeET4_jRbjT5_S1E_jjP12ihipStream_tbEUljE_ZNSN_ISO_Lb1ESQ_SR_ST_SU_SY_EESZ_S10_S11_S12_S16_S17_S18_S1B_S1C_jS1D_jS1E_S1E_jjS1G_bEUljE0_EEESZ_S10_S11_S18_S1C_S1E_T6_T7_T9_mT8_S1G_bDpT10_ENKUlT_T0_E_clISt17integral_constantIbLb1EES1T_IbLb0EEEEDaS1P_S1Q_EUlS1P_E_NS1_11comp_targetILNS1_3genE4ELNS1_11target_archE910ELNS1_3gpuE8ELNS1_3repE0EEENS1_30default_config_static_selectorELNS0_4arch9wavefront6targetE0EEEvS12_.numbered_sgpr, 0
	.set _ZN7rocprim17ROCPRIM_400000_NS6detail17trampoline_kernelINS0_13select_configILj256ELj13ELNS0_17block_load_methodE3ELS4_3ELS4_3ELNS0_20block_scan_algorithmE0ELj4294967295EEENS1_25partition_config_selectorILNS1_17partition_subalgoE4EjNS0_10empty_typeEbEEZZNS1_14partition_implILS8_4ELb0ES6_15HIP_vector_typeIjLj2EENS0_17counting_iteratorIjlEEPS9_SG_NS0_5tupleIJPjSI_NS0_16reverse_iteratorISI_EEEEENSH_IJSG_SG_SG_EEES9_SI_JZNS1_25segmented_radix_sort_implINS0_14default_configELb1EPKiPiPKlPlN2at6native12_GLOBAL__N_18offset_tEEE10hipError_tPvRmT1_PNSt15iterator_traitsIS12_E10value_typeET2_T3_PNS13_IS18_E10value_typeET4_jRbjT5_S1E_jjP12ihipStream_tbEUljE_ZNSN_ISO_Lb1ESQ_SR_ST_SU_SY_EESZ_S10_S11_S12_S16_S17_S18_S1B_S1C_jS1D_jS1E_S1E_jjS1G_bEUljE0_EEESZ_S10_S11_S18_S1C_S1E_T6_T7_T9_mT8_S1G_bDpT10_ENKUlT_T0_E_clISt17integral_constantIbLb1EES1T_IbLb0EEEEDaS1P_S1Q_EUlS1P_E_NS1_11comp_targetILNS1_3genE4ELNS1_11target_archE910ELNS1_3gpuE8ELNS1_3repE0EEENS1_30default_config_static_selectorELNS0_4arch9wavefront6targetE0EEEvS12_.num_named_barrier, 0
	.set _ZN7rocprim17ROCPRIM_400000_NS6detail17trampoline_kernelINS0_13select_configILj256ELj13ELNS0_17block_load_methodE3ELS4_3ELS4_3ELNS0_20block_scan_algorithmE0ELj4294967295EEENS1_25partition_config_selectorILNS1_17partition_subalgoE4EjNS0_10empty_typeEbEEZZNS1_14partition_implILS8_4ELb0ES6_15HIP_vector_typeIjLj2EENS0_17counting_iteratorIjlEEPS9_SG_NS0_5tupleIJPjSI_NS0_16reverse_iteratorISI_EEEEENSH_IJSG_SG_SG_EEES9_SI_JZNS1_25segmented_radix_sort_implINS0_14default_configELb1EPKiPiPKlPlN2at6native12_GLOBAL__N_18offset_tEEE10hipError_tPvRmT1_PNSt15iterator_traitsIS12_E10value_typeET2_T3_PNS13_IS18_E10value_typeET4_jRbjT5_S1E_jjP12ihipStream_tbEUljE_ZNSN_ISO_Lb1ESQ_SR_ST_SU_SY_EESZ_S10_S11_S12_S16_S17_S18_S1B_S1C_jS1D_jS1E_S1E_jjS1G_bEUljE0_EEESZ_S10_S11_S18_S1C_S1E_T6_T7_T9_mT8_S1G_bDpT10_ENKUlT_T0_E_clISt17integral_constantIbLb1EES1T_IbLb0EEEEDaS1P_S1Q_EUlS1P_E_NS1_11comp_targetILNS1_3genE4ELNS1_11target_archE910ELNS1_3gpuE8ELNS1_3repE0EEENS1_30default_config_static_selectorELNS0_4arch9wavefront6targetE0EEEvS12_.private_seg_size, 0
	.set _ZN7rocprim17ROCPRIM_400000_NS6detail17trampoline_kernelINS0_13select_configILj256ELj13ELNS0_17block_load_methodE3ELS4_3ELS4_3ELNS0_20block_scan_algorithmE0ELj4294967295EEENS1_25partition_config_selectorILNS1_17partition_subalgoE4EjNS0_10empty_typeEbEEZZNS1_14partition_implILS8_4ELb0ES6_15HIP_vector_typeIjLj2EENS0_17counting_iteratorIjlEEPS9_SG_NS0_5tupleIJPjSI_NS0_16reverse_iteratorISI_EEEEENSH_IJSG_SG_SG_EEES9_SI_JZNS1_25segmented_radix_sort_implINS0_14default_configELb1EPKiPiPKlPlN2at6native12_GLOBAL__N_18offset_tEEE10hipError_tPvRmT1_PNSt15iterator_traitsIS12_E10value_typeET2_T3_PNS13_IS18_E10value_typeET4_jRbjT5_S1E_jjP12ihipStream_tbEUljE_ZNSN_ISO_Lb1ESQ_SR_ST_SU_SY_EESZ_S10_S11_S12_S16_S17_S18_S1B_S1C_jS1D_jS1E_S1E_jjS1G_bEUljE0_EEESZ_S10_S11_S18_S1C_S1E_T6_T7_T9_mT8_S1G_bDpT10_ENKUlT_T0_E_clISt17integral_constantIbLb1EES1T_IbLb0EEEEDaS1P_S1Q_EUlS1P_E_NS1_11comp_targetILNS1_3genE4ELNS1_11target_archE910ELNS1_3gpuE8ELNS1_3repE0EEENS1_30default_config_static_selectorELNS0_4arch9wavefront6targetE0EEEvS12_.uses_vcc, 0
	.set _ZN7rocprim17ROCPRIM_400000_NS6detail17trampoline_kernelINS0_13select_configILj256ELj13ELNS0_17block_load_methodE3ELS4_3ELS4_3ELNS0_20block_scan_algorithmE0ELj4294967295EEENS1_25partition_config_selectorILNS1_17partition_subalgoE4EjNS0_10empty_typeEbEEZZNS1_14partition_implILS8_4ELb0ES6_15HIP_vector_typeIjLj2EENS0_17counting_iteratorIjlEEPS9_SG_NS0_5tupleIJPjSI_NS0_16reverse_iteratorISI_EEEEENSH_IJSG_SG_SG_EEES9_SI_JZNS1_25segmented_radix_sort_implINS0_14default_configELb1EPKiPiPKlPlN2at6native12_GLOBAL__N_18offset_tEEE10hipError_tPvRmT1_PNSt15iterator_traitsIS12_E10value_typeET2_T3_PNS13_IS18_E10value_typeET4_jRbjT5_S1E_jjP12ihipStream_tbEUljE_ZNSN_ISO_Lb1ESQ_SR_ST_SU_SY_EESZ_S10_S11_S12_S16_S17_S18_S1B_S1C_jS1D_jS1E_S1E_jjS1G_bEUljE0_EEESZ_S10_S11_S18_S1C_S1E_T6_T7_T9_mT8_S1G_bDpT10_ENKUlT_T0_E_clISt17integral_constantIbLb1EES1T_IbLb0EEEEDaS1P_S1Q_EUlS1P_E_NS1_11comp_targetILNS1_3genE4ELNS1_11target_archE910ELNS1_3gpuE8ELNS1_3repE0EEENS1_30default_config_static_selectorELNS0_4arch9wavefront6targetE0EEEvS12_.uses_flat_scratch, 0
	.set _ZN7rocprim17ROCPRIM_400000_NS6detail17trampoline_kernelINS0_13select_configILj256ELj13ELNS0_17block_load_methodE3ELS4_3ELS4_3ELNS0_20block_scan_algorithmE0ELj4294967295EEENS1_25partition_config_selectorILNS1_17partition_subalgoE4EjNS0_10empty_typeEbEEZZNS1_14partition_implILS8_4ELb0ES6_15HIP_vector_typeIjLj2EENS0_17counting_iteratorIjlEEPS9_SG_NS0_5tupleIJPjSI_NS0_16reverse_iteratorISI_EEEEENSH_IJSG_SG_SG_EEES9_SI_JZNS1_25segmented_radix_sort_implINS0_14default_configELb1EPKiPiPKlPlN2at6native12_GLOBAL__N_18offset_tEEE10hipError_tPvRmT1_PNSt15iterator_traitsIS12_E10value_typeET2_T3_PNS13_IS18_E10value_typeET4_jRbjT5_S1E_jjP12ihipStream_tbEUljE_ZNSN_ISO_Lb1ESQ_SR_ST_SU_SY_EESZ_S10_S11_S12_S16_S17_S18_S1B_S1C_jS1D_jS1E_S1E_jjS1G_bEUljE0_EEESZ_S10_S11_S18_S1C_S1E_T6_T7_T9_mT8_S1G_bDpT10_ENKUlT_T0_E_clISt17integral_constantIbLb1EES1T_IbLb0EEEEDaS1P_S1Q_EUlS1P_E_NS1_11comp_targetILNS1_3genE4ELNS1_11target_archE910ELNS1_3gpuE8ELNS1_3repE0EEENS1_30default_config_static_selectorELNS0_4arch9wavefront6targetE0EEEvS12_.has_dyn_sized_stack, 0
	.set _ZN7rocprim17ROCPRIM_400000_NS6detail17trampoline_kernelINS0_13select_configILj256ELj13ELNS0_17block_load_methodE3ELS4_3ELS4_3ELNS0_20block_scan_algorithmE0ELj4294967295EEENS1_25partition_config_selectorILNS1_17partition_subalgoE4EjNS0_10empty_typeEbEEZZNS1_14partition_implILS8_4ELb0ES6_15HIP_vector_typeIjLj2EENS0_17counting_iteratorIjlEEPS9_SG_NS0_5tupleIJPjSI_NS0_16reverse_iteratorISI_EEEEENSH_IJSG_SG_SG_EEES9_SI_JZNS1_25segmented_radix_sort_implINS0_14default_configELb1EPKiPiPKlPlN2at6native12_GLOBAL__N_18offset_tEEE10hipError_tPvRmT1_PNSt15iterator_traitsIS12_E10value_typeET2_T3_PNS13_IS18_E10value_typeET4_jRbjT5_S1E_jjP12ihipStream_tbEUljE_ZNSN_ISO_Lb1ESQ_SR_ST_SU_SY_EESZ_S10_S11_S12_S16_S17_S18_S1B_S1C_jS1D_jS1E_S1E_jjS1G_bEUljE0_EEESZ_S10_S11_S18_S1C_S1E_T6_T7_T9_mT8_S1G_bDpT10_ENKUlT_T0_E_clISt17integral_constantIbLb1EES1T_IbLb0EEEEDaS1P_S1Q_EUlS1P_E_NS1_11comp_targetILNS1_3genE4ELNS1_11target_archE910ELNS1_3gpuE8ELNS1_3repE0EEENS1_30default_config_static_selectorELNS0_4arch9wavefront6targetE0EEEvS12_.has_recursion, 0
	.set _ZN7rocprim17ROCPRIM_400000_NS6detail17trampoline_kernelINS0_13select_configILj256ELj13ELNS0_17block_load_methodE3ELS4_3ELS4_3ELNS0_20block_scan_algorithmE0ELj4294967295EEENS1_25partition_config_selectorILNS1_17partition_subalgoE4EjNS0_10empty_typeEbEEZZNS1_14partition_implILS8_4ELb0ES6_15HIP_vector_typeIjLj2EENS0_17counting_iteratorIjlEEPS9_SG_NS0_5tupleIJPjSI_NS0_16reverse_iteratorISI_EEEEENSH_IJSG_SG_SG_EEES9_SI_JZNS1_25segmented_radix_sort_implINS0_14default_configELb1EPKiPiPKlPlN2at6native12_GLOBAL__N_18offset_tEEE10hipError_tPvRmT1_PNSt15iterator_traitsIS12_E10value_typeET2_T3_PNS13_IS18_E10value_typeET4_jRbjT5_S1E_jjP12ihipStream_tbEUljE_ZNSN_ISO_Lb1ESQ_SR_ST_SU_SY_EESZ_S10_S11_S12_S16_S17_S18_S1B_S1C_jS1D_jS1E_S1E_jjS1G_bEUljE0_EEESZ_S10_S11_S18_S1C_S1E_T6_T7_T9_mT8_S1G_bDpT10_ENKUlT_T0_E_clISt17integral_constantIbLb1EES1T_IbLb0EEEEDaS1P_S1Q_EUlS1P_E_NS1_11comp_targetILNS1_3genE4ELNS1_11target_archE910ELNS1_3gpuE8ELNS1_3repE0EEENS1_30default_config_static_selectorELNS0_4arch9wavefront6targetE0EEEvS12_.has_indirect_call, 0
	.section	.AMDGPU.csdata,"",@progbits
; Kernel info:
; codeLenInByte = 0
; TotalNumSgprs: 0
; NumVgprs: 0
; ScratchSize: 0
; MemoryBound: 0
; FloatMode: 240
; IeeeMode: 1
; LDSByteSize: 0 bytes/workgroup (compile time only)
; SGPRBlocks: 0
; VGPRBlocks: 0
; NumSGPRsForWavesPerEU: 1
; NumVGPRsForWavesPerEU: 1
; NamedBarCnt: 0
; Occupancy: 16
; WaveLimiterHint : 0
; COMPUTE_PGM_RSRC2:SCRATCH_EN: 0
; COMPUTE_PGM_RSRC2:USER_SGPR: 2
; COMPUTE_PGM_RSRC2:TRAP_HANDLER: 0
; COMPUTE_PGM_RSRC2:TGID_X_EN: 1
; COMPUTE_PGM_RSRC2:TGID_Y_EN: 0
; COMPUTE_PGM_RSRC2:TGID_Z_EN: 0
; COMPUTE_PGM_RSRC2:TIDIG_COMP_CNT: 0
	.section	.text._ZN7rocprim17ROCPRIM_400000_NS6detail17trampoline_kernelINS0_13select_configILj256ELj13ELNS0_17block_load_methodE3ELS4_3ELS4_3ELNS0_20block_scan_algorithmE0ELj4294967295EEENS1_25partition_config_selectorILNS1_17partition_subalgoE4EjNS0_10empty_typeEbEEZZNS1_14partition_implILS8_4ELb0ES6_15HIP_vector_typeIjLj2EENS0_17counting_iteratorIjlEEPS9_SG_NS0_5tupleIJPjSI_NS0_16reverse_iteratorISI_EEEEENSH_IJSG_SG_SG_EEES9_SI_JZNS1_25segmented_radix_sort_implINS0_14default_configELb1EPKiPiPKlPlN2at6native12_GLOBAL__N_18offset_tEEE10hipError_tPvRmT1_PNSt15iterator_traitsIS12_E10value_typeET2_T3_PNS13_IS18_E10value_typeET4_jRbjT5_S1E_jjP12ihipStream_tbEUljE_ZNSN_ISO_Lb1ESQ_SR_ST_SU_SY_EESZ_S10_S11_S12_S16_S17_S18_S1B_S1C_jS1D_jS1E_S1E_jjS1G_bEUljE0_EEESZ_S10_S11_S18_S1C_S1E_T6_T7_T9_mT8_S1G_bDpT10_ENKUlT_T0_E_clISt17integral_constantIbLb1EES1T_IbLb0EEEEDaS1P_S1Q_EUlS1P_E_NS1_11comp_targetILNS1_3genE3ELNS1_11target_archE908ELNS1_3gpuE7ELNS1_3repE0EEENS1_30default_config_static_selectorELNS0_4arch9wavefront6targetE0EEEvS12_,"axG",@progbits,_ZN7rocprim17ROCPRIM_400000_NS6detail17trampoline_kernelINS0_13select_configILj256ELj13ELNS0_17block_load_methodE3ELS4_3ELS4_3ELNS0_20block_scan_algorithmE0ELj4294967295EEENS1_25partition_config_selectorILNS1_17partition_subalgoE4EjNS0_10empty_typeEbEEZZNS1_14partition_implILS8_4ELb0ES6_15HIP_vector_typeIjLj2EENS0_17counting_iteratorIjlEEPS9_SG_NS0_5tupleIJPjSI_NS0_16reverse_iteratorISI_EEEEENSH_IJSG_SG_SG_EEES9_SI_JZNS1_25segmented_radix_sort_implINS0_14default_configELb1EPKiPiPKlPlN2at6native12_GLOBAL__N_18offset_tEEE10hipError_tPvRmT1_PNSt15iterator_traitsIS12_E10value_typeET2_T3_PNS13_IS18_E10value_typeET4_jRbjT5_S1E_jjP12ihipStream_tbEUljE_ZNSN_ISO_Lb1ESQ_SR_ST_SU_SY_EESZ_S10_S11_S12_S16_S17_S18_S1B_S1C_jS1D_jS1E_S1E_jjS1G_bEUljE0_EEESZ_S10_S11_S18_S1C_S1E_T6_T7_T9_mT8_S1G_bDpT10_ENKUlT_T0_E_clISt17integral_constantIbLb1EES1T_IbLb0EEEEDaS1P_S1Q_EUlS1P_E_NS1_11comp_targetILNS1_3genE3ELNS1_11target_archE908ELNS1_3gpuE7ELNS1_3repE0EEENS1_30default_config_static_selectorELNS0_4arch9wavefront6targetE0EEEvS12_,comdat
	.globl	_ZN7rocprim17ROCPRIM_400000_NS6detail17trampoline_kernelINS0_13select_configILj256ELj13ELNS0_17block_load_methodE3ELS4_3ELS4_3ELNS0_20block_scan_algorithmE0ELj4294967295EEENS1_25partition_config_selectorILNS1_17partition_subalgoE4EjNS0_10empty_typeEbEEZZNS1_14partition_implILS8_4ELb0ES6_15HIP_vector_typeIjLj2EENS0_17counting_iteratorIjlEEPS9_SG_NS0_5tupleIJPjSI_NS0_16reverse_iteratorISI_EEEEENSH_IJSG_SG_SG_EEES9_SI_JZNS1_25segmented_radix_sort_implINS0_14default_configELb1EPKiPiPKlPlN2at6native12_GLOBAL__N_18offset_tEEE10hipError_tPvRmT1_PNSt15iterator_traitsIS12_E10value_typeET2_T3_PNS13_IS18_E10value_typeET4_jRbjT5_S1E_jjP12ihipStream_tbEUljE_ZNSN_ISO_Lb1ESQ_SR_ST_SU_SY_EESZ_S10_S11_S12_S16_S17_S18_S1B_S1C_jS1D_jS1E_S1E_jjS1G_bEUljE0_EEESZ_S10_S11_S18_S1C_S1E_T6_T7_T9_mT8_S1G_bDpT10_ENKUlT_T0_E_clISt17integral_constantIbLb1EES1T_IbLb0EEEEDaS1P_S1Q_EUlS1P_E_NS1_11comp_targetILNS1_3genE3ELNS1_11target_archE908ELNS1_3gpuE7ELNS1_3repE0EEENS1_30default_config_static_selectorELNS0_4arch9wavefront6targetE0EEEvS12_ ; -- Begin function _ZN7rocprim17ROCPRIM_400000_NS6detail17trampoline_kernelINS0_13select_configILj256ELj13ELNS0_17block_load_methodE3ELS4_3ELS4_3ELNS0_20block_scan_algorithmE0ELj4294967295EEENS1_25partition_config_selectorILNS1_17partition_subalgoE4EjNS0_10empty_typeEbEEZZNS1_14partition_implILS8_4ELb0ES6_15HIP_vector_typeIjLj2EENS0_17counting_iteratorIjlEEPS9_SG_NS0_5tupleIJPjSI_NS0_16reverse_iteratorISI_EEEEENSH_IJSG_SG_SG_EEES9_SI_JZNS1_25segmented_radix_sort_implINS0_14default_configELb1EPKiPiPKlPlN2at6native12_GLOBAL__N_18offset_tEEE10hipError_tPvRmT1_PNSt15iterator_traitsIS12_E10value_typeET2_T3_PNS13_IS18_E10value_typeET4_jRbjT5_S1E_jjP12ihipStream_tbEUljE_ZNSN_ISO_Lb1ESQ_SR_ST_SU_SY_EESZ_S10_S11_S12_S16_S17_S18_S1B_S1C_jS1D_jS1E_S1E_jjS1G_bEUljE0_EEESZ_S10_S11_S18_S1C_S1E_T6_T7_T9_mT8_S1G_bDpT10_ENKUlT_T0_E_clISt17integral_constantIbLb1EES1T_IbLb0EEEEDaS1P_S1Q_EUlS1P_E_NS1_11comp_targetILNS1_3genE3ELNS1_11target_archE908ELNS1_3gpuE7ELNS1_3repE0EEENS1_30default_config_static_selectorELNS0_4arch9wavefront6targetE0EEEvS12_
	.p2align	8
	.type	_ZN7rocprim17ROCPRIM_400000_NS6detail17trampoline_kernelINS0_13select_configILj256ELj13ELNS0_17block_load_methodE3ELS4_3ELS4_3ELNS0_20block_scan_algorithmE0ELj4294967295EEENS1_25partition_config_selectorILNS1_17partition_subalgoE4EjNS0_10empty_typeEbEEZZNS1_14partition_implILS8_4ELb0ES6_15HIP_vector_typeIjLj2EENS0_17counting_iteratorIjlEEPS9_SG_NS0_5tupleIJPjSI_NS0_16reverse_iteratorISI_EEEEENSH_IJSG_SG_SG_EEES9_SI_JZNS1_25segmented_radix_sort_implINS0_14default_configELb1EPKiPiPKlPlN2at6native12_GLOBAL__N_18offset_tEEE10hipError_tPvRmT1_PNSt15iterator_traitsIS12_E10value_typeET2_T3_PNS13_IS18_E10value_typeET4_jRbjT5_S1E_jjP12ihipStream_tbEUljE_ZNSN_ISO_Lb1ESQ_SR_ST_SU_SY_EESZ_S10_S11_S12_S16_S17_S18_S1B_S1C_jS1D_jS1E_S1E_jjS1G_bEUljE0_EEESZ_S10_S11_S18_S1C_S1E_T6_T7_T9_mT8_S1G_bDpT10_ENKUlT_T0_E_clISt17integral_constantIbLb1EES1T_IbLb0EEEEDaS1P_S1Q_EUlS1P_E_NS1_11comp_targetILNS1_3genE3ELNS1_11target_archE908ELNS1_3gpuE7ELNS1_3repE0EEENS1_30default_config_static_selectorELNS0_4arch9wavefront6targetE0EEEvS12_,@function
_ZN7rocprim17ROCPRIM_400000_NS6detail17trampoline_kernelINS0_13select_configILj256ELj13ELNS0_17block_load_methodE3ELS4_3ELS4_3ELNS0_20block_scan_algorithmE0ELj4294967295EEENS1_25partition_config_selectorILNS1_17partition_subalgoE4EjNS0_10empty_typeEbEEZZNS1_14partition_implILS8_4ELb0ES6_15HIP_vector_typeIjLj2EENS0_17counting_iteratorIjlEEPS9_SG_NS0_5tupleIJPjSI_NS0_16reverse_iteratorISI_EEEEENSH_IJSG_SG_SG_EEES9_SI_JZNS1_25segmented_radix_sort_implINS0_14default_configELb1EPKiPiPKlPlN2at6native12_GLOBAL__N_18offset_tEEE10hipError_tPvRmT1_PNSt15iterator_traitsIS12_E10value_typeET2_T3_PNS13_IS18_E10value_typeET4_jRbjT5_S1E_jjP12ihipStream_tbEUljE_ZNSN_ISO_Lb1ESQ_SR_ST_SU_SY_EESZ_S10_S11_S12_S16_S17_S18_S1B_S1C_jS1D_jS1E_S1E_jjS1G_bEUljE0_EEESZ_S10_S11_S18_S1C_S1E_T6_T7_T9_mT8_S1G_bDpT10_ENKUlT_T0_E_clISt17integral_constantIbLb1EES1T_IbLb0EEEEDaS1P_S1Q_EUlS1P_E_NS1_11comp_targetILNS1_3genE3ELNS1_11target_archE908ELNS1_3gpuE7ELNS1_3repE0EEENS1_30default_config_static_selectorELNS0_4arch9wavefront6targetE0EEEvS12_: ; @_ZN7rocprim17ROCPRIM_400000_NS6detail17trampoline_kernelINS0_13select_configILj256ELj13ELNS0_17block_load_methodE3ELS4_3ELS4_3ELNS0_20block_scan_algorithmE0ELj4294967295EEENS1_25partition_config_selectorILNS1_17partition_subalgoE4EjNS0_10empty_typeEbEEZZNS1_14partition_implILS8_4ELb0ES6_15HIP_vector_typeIjLj2EENS0_17counting_iteratorIjlEEPS9_SG_NS0_5tupleIJPjSI_NS0_16reverse_iteratorISI_EEEEENSH_IJSG_SG_SG_EEES9_SI_JZNS1_25segmented_radix_sort_implINS0_14default_configELb1EPKiPiPKlPlN2at6native12_GLOBAL__N_18offset_tEEE10hipError_tPvRmT1_PNSt15iterator_traitsIS12_E10value_typeET2_T3_PNS13_IS18_E10value_typeET4_jRbjT5_S1E_jjP12ihipStream_tbEUljE_ZNSN_ISO_Lb1ESQ_SR_ST_SU_SY_EESZ_S10_S11_S12_S16_S17_S18_S1B_S1C_jS1D_jS1E_S1E_jjS1G_bEUljE0_EEESZ_S10_S11_S18_S1C_S1E_T6_T7_T9_mT8_S1G_bDpT10_ENKUlT_T0_E_clISt17integral_constantIbLb1EES1T_IbLb0EEEEDaS1P_S1Q_EUlS1P_E_NS1_11comp_targetILNS1_3genE3ELNS1_11target_archE908ELNS1_3gpuE7ELNS1_3repE0EEENS1_30default_config_static_selectorELNS0_4arch9wavefront6targetE0EEEvS12_
; %bb.0:
	.section	.rodata,"a",@progbits
	.p2align	6, 0x0
	.amdhsa_kernel _ZN7rocprim17ROCPRIM_400000_NS6detail17trampoline_kernelINS0_13select_configILj256ELj13ELNS0_17block_load_methodE3ELS4_3ELS4_3ELNS0_20block_scan_algorithmE0ELj4294967295EEENS1_25partition_config_selectorILNS1_17partition_subalgoE4EjNS0_10empty_typeEbEEZZNS1_14partition_implILS8_4ELb0ES6_15HIP_vector_typeIjLj2EENS0_17counting_iteratorIjlEEPS9_SG_NS0_5tupleIJPjSI_NS0_16reverse_iteratorISI_EEEEENSH_IJSG_SG_SG_EEES9_SI_JZNS1_25segmented_radix_sort_implINS0_14default_configELb1EPKiPiPKlPlN2at6native12_GLOBAL__N_18offset_tEEE10hipError_tPvRmT1_PNSt15iterator_traitsIS12_E10value_typeET2_T3_PNS13_IS18_E10value_typeET4_jRbjT5_S1E_jjP12ihipStream_tbEUljE_ZNSN_ISO_Lb1ESQ_SR_ST_SU_SY_EESZ_S10_S11_S12_S16_S17_S18_S1B_S1C_jS1D_jS1E_S1E_jjS1G_bEUljE0_EEESZ_S10_S11_S18_S1C_S1E_T6_T7_T9_mT8_S1G_bDpT10_ENKUlT_T0_E_clISt17integral_constantIbLb1EES1T_IbLb0EEEEDaS1P_S1Q_EUlS1P_E_NS1_11comp_targetILNS1_3genE3ELNS1_11target_archE908ELNS1_3gpuE7ELNS1_3repE0EEENS1_30default_config_static_selectorELNS0_4arch9wavefront6targetE0EEEvS12_
		.amdhsa_group_segment_fixed_size 0
		.amdhsa_private_segment_fixed_size 0
		.amdhsa_kernarg_size 176
		.amdhsa_user_sgpr_count 2
		.amdhsa_user_sgpr_dispatch_ptr 0
		.amdhsa_user_sgpr_queue_ptr 0
		.amdhsa_user_sgpr_kernarg_segment_ptr 1
		.amdhsa_user_sgpr_dispatch_id 0
		.amdhsa_user_sgpr_kernarg_preload_length 0
		.amdhsa_user_sgpr_kernarg_preload_offset 0
		.amdhsa_user_sgpr_private_segment_size 0
		.amdhsa_wavefront_size32 1
		.amdhsa_uses_dynamic_stack 0
		.amdhsa_enable_private_segment 0
		.amdhsa_system_sgpr_workgroup_id_x 1
		.amdhsa_system_sgpr_workgroup_id_y 0
		.amdhsa_system_sgpr_workgroup_id_z 0
		.amdhsa_system_sgpr_workgroup_info 0
		.amdhsa_system_vgpr_workitem_id 0
		.amdhsa_next_free_vgpr 1
		.amdhsa_next_free_sgpr 1
		.amdhsa_named_barrier_count 0
		.amdhsa_reserve_vcc 0
		.amdhsa_float_round_mode_32 0
		.amdhsa_float_round_mode_16_64 0
		.amdhsa_float_denorm_mode_32 3
		.amdhsa_float_denorm_mode_16_64 3
		.amdhsa_fp16_overflow 0
		.amdhsa_memory_ordered 1
		.amdhsa_forward_progress 1
		.amdhsa_inst_pref_size 0
		.amdhsa_round_robin_scheduling 0
		.amdhsa_exception_fp_ieee_invalid_op 0
		.amdhsa_exception_fp_denorm_src 0
		.amdhsa_exception_fp_ieee_div_zero 0
		.amdhsa_exception_fp_ieee_overflow 0
		.amdhsa_exception_fp_ieee_underflow 0
		.amdhsa_exception_fp_ieee_inexact 0
		.amdhsa_exception_int_div_zero 0
	.end_amdhsa_kernel
	.section	.text._ZN7rocprim17ROCPRIM_400000_NS6detail17trampoline_kernelINS0_13select_configILj256ELj13ELNS0_17block_load_methodE3ELS4_3ELS4_3ELNS0_20block_scan_algorithmE0ELj4294967295EEENS1_25partition_config_selectorILNS1_17partition_subalgoE4EjNS0_10empty_typeEbEEZZNS1_14partition_implILS8_4ELb0ES6_15HIP_vector_typeIjLj2EENS0_17counting_iteratorIjlEEPS9_SG_NS0_5tupleIJPjSI_NS0_16reverse_iteratorISI_EEEEENSH_IJSG_SG_SG_EEES9_SI_JZNS1_25segmented_radix_sort_implINS0_14default_configELb1EPKiPiPKlPlN2at6native12_GLOBAL__N_18offset_tEEE10hipError_tPvRmT1_PNSt15iterator_traitsIS12_E10value_typeET2_T3_PNS13_IS18_E10value_typeET4_jRbjT5_S1E_jjP12ihipStream_tbEUljE_ZNSN_ISO_Lb1ESQ_SR_ST_SU_SY_EESZ_S10_S11_S12_S16_S17_S18_S1B_S1C_jS1D_jS1E_S1E_jjS1G_bEUljE0_EEESZ_S10_S11_S18_S1C_S1E_T6_T7_T9_mT8_S1G_bDpT10_ENKUlT_T0_E_clISt17integral_constantIbLb1EES1T_IbLb0EEEEDaS1P_S1Q_EUlS1P_E_NS1_11comp_targetILNS1_3genE3ELNS1_11target_archE908ELNS1_3gpuE7ELNS1_3repE0EEENS1_30default_config_static_selectorELNS0_4arch9wavefront6targetE0EEEvS12_,"axG",@progbits,_ZN7rocprim17ROCPRIM_400000_NS6detail17trampoline_kernelINS0_13select_configILj256ELj13ELNS0_17block_load_methodE3ELS4_3ELS4_3ELNS0_20block_scan_algorithmE0ELj4294967295EEENS1_25partition_config_selectorILNS1_17partition_subalgoE4EjNS0_10empty_typeEbEEZZNS1_14partition_implILS8_4ELb0ES6_15HIP_vector_typeIjLj2EENS0_17counting_iteratorIjlEEPS9_SG_NS0_5tupleIJPjSI_NS0_16reverse_iteratorISI_EEEEENSH_IJSG_SG_SG_EEES9_SI_JZNS1_25segmented_radix_sort_implINS0_14default_configELb1EPKiPiPKlPlN2at6native12_GLOBAL__N_18offset_tEEE10hipError_tPvRmT1_PNSt15iterator_traitsIS12_E10value_typeET2_T3_PNS13_IS18_E10value_typeET4_jRbjT5_S1E_jjP12ihipStream_tbEUljE_ZNSN_ISO_Lb1ESQ_SR_ST_SU_SY_EESZ_S10_S11_S12_S16_S17_S18_S1B_S1C_jS1D_jS1E_S1E_jjS1G_bEUljE0_EEESZ_S10_S11_S18_S1C_S1E_T6_T7_T9_mT8_S1G_bDpT10_ENKUlT_T0_E_clISt17integral_constantIbLb1EES1T_IbLb0EEEEDaS1P_S1Q_EUlS1P_E_NS1_11comp_targetILNS1_3genE3ELNS1_11target_archE908ELNS1_3gpuE7ELNS1_3repE0EEENS1_30default_config_static_selectorELNS0_4arch9wavefront6targetE0EEEvS12_,comdat
.Lfunc_end448:
	.size	_ZN7rocprim17ROCPRIM_400000_NS6detail17trampoline_kernelINS0_13select_configILj256ELj13ELNS0_17block_load_methodE3ELS4_3ELS4_3ELNS0_20block_scan_algorithmE0ELj4294967295EEENS1_25partition_config_selectorILNS1_17partition_subalgoE4EjNS0_10empty_typeEbEEZZNS1_14partition_implILS8_4ELb0ES6_15HIP_vector_typeIjLj2EENS0_17counting_iteratorIjlEEPS9_SG_NS0_5tupleIJPjSI_NS0_16reverse_iteratorISI_EEEEENSH_IJSG_SG_SG_EEES9_SI_JZNS1_25segmented_radix_sort_implINS0_14default_configELb1EPKiPiPKlPlN2at6native12_GLOBAL__N_18offset_tEEE10hipError_tPvRmT1_PNSt15iterator_traitsIS12_E10value_typeET2_T3_PNS13_IS18_E10value_typeET4_jRbjT5_S1E_jjP12ihipStream_tbEUljE_ZNSN_ISO_Lb1ESQ_SR_ST_SU_SY_EESZ_S10_S11_S12_S16_S17_S18_S1B_S1C_jS1D_jS1E_S1E_jjS1G_bEUljE0_EEESZ_S10_S11_S18_S1C_S1E_T6_T7_T9_mT8_S1G_bDpT10_ENKUlT_T0_E_clISt17integral_constantIbLb1EES1T_IbLb0EEEEDaS1P_S1Q_EUlS1P_E_NS1_11comp_targetILNS1_3genE3ELNS1_11target_archE908ELNS1_3gpuE7ELNS1_3repE0EEENS1_30default_config_static_selectorELNS0_4arch9wavefront6targetE0EEEvS12_, .Lfunc_end448-_ZN7rocprim17ROCPRIM_400000_NS6detail17trampoline_kernelINS0_13select_configILj256ELj13ELNS0_17block_load_methodE3ELS4_3ELS4_3ELNS0_20block_scan_algorithmE0ELj4294967295EEENS1_25partition_config_selectorILNS1_17partition_subalgoE4EjNS0_10empty_typeEbEEZZNS1_14partition_implILS8_4ELb0ES6_15HIP_vector_typeIjLj2EENS0_17counting_iteratorIjlEEPS9_SG_NS0_5tupleIJPjSI_NS0_16reverse_iteratorISI_EEEEENSH_IJSG_SG_SG_EEES9_SI_JZNS1_25segmented_radix_sort_implINS0_14default_configELb1EPKiPiPKlPlN2at6native12_GLOBAL__N_18offset_tEEE10hipError_tPvRmT1_PNSt15iterator_traitsIS12_E10value_typeET2_T3_PNS13_IS18_E10value_typeET4_jRbjT5_S1E_jjP12ihipStream_tbEUljE_ZNSN_ISO_Lb1ESQ_SR_ST_SU_SY_EESZ_S10_S11_S12_S16_S17_S18_S1B_S1C_jS1D_jS1E_S1E_jjS1G_bEUljE0_EEESZ_S10_S11_S18_S1C_S1E_T6_T7_T9_mT8_S1G_bDpT10_ENKUlT_T0_E_clISt17integral_constantIbLb1EES1T_IbLb0EEEEDaS1P_S1Q_EUlS1P_E_NS1_11comp_targetILNS1_3genE3ELNS1_11target_archE908ELNS1_3gpuE7ELNS1_3repE0EEENS1_30default_config_static_selectorELNS0_4arch9wavefront6targetE0EEEvS12_
                                        ; -- End function
	.set _ZN7rocprim17ROCPRIM_400000_NS6detail17trampoline_kernelINS0_13select_configILj256ELj13ELNS0_17block_load_methodE3ELS4_3ELS4_3ELNS0_20block_scan_algorithmE0ELj4294967295EEENS1_25partition_config_selectorILNS1_17partition_subalgoE4EjNS0_10empty_typeEbEEZZNS1_14partition_implILS8_4ELb0ES6_15HIP_vector_typeIjLj2EENS0_17counting_iteratorIjlEEPS9_SG_NS0_5tupleIJPjSI_NS0_16reverse_iteratorISI_EEEEENSH_IJSG_SG_SG_EEES9_SI_JZNS1_25segmented_radix_sort_implINS0_14default_configELb1EPKiPiPKlPlN2at6native12_GLOBAL__N_18offset_tEEE10hipError_tPvRmT1_PNSt15iterator_traitsIS12_E10value_typeET2_T3_PNS13_IS18_E10value_typeET4_jRbjT5_S1E_jjP12ihipStream_tbEUljE_ZNSN_ISO_Lb1ESQ_SR_ST_SU_SY_EESZ_S10_S11_S12_S16_S17_S18_S1B_S1C_jS1D_jS1E_S1E_jjS1G_bEUljE0_EEESZ_S10_S11_S18_S1C_S1E_T6_T7_T9_mT8_S1G_bDpT10_ENKUlT_T0_E_clISt17integral_constantIbLb1EES1T_IbLb0EEEEDaS1P_S1Q_EUlS1P_E_NS1_11comp_targetILNS1_3genE3ELNS1_11target_archE908ELNS1_3gpuE7ELNS1_3repE0EEENS1_30default_config_static_selectorELNS0_4arch9wavefront6targetE0EEEvS12_.num_vgpr, 0
	.set _ZN7rocprim17ROCPRIM_400000_NS6detail17trampoline_kernelINS0_13select_configILj256ELj13ELNS0_17block_load_methodE3ELS4_3ELS4_3ELNS0_20block_scan_algorithmE0ELj4294967295EEENS1_25partition_config_selectorILNS1_17partition_subalgoE4EjNS0_10empty_typeEbEEZZNS1_14partition_implILS8_4ELb0ES6_15HIP_vector_typeIjLj2EENS0_17counting_iteratorIjlEEPS9_SG_NS0_5tupleIJPjSI_NS0_16reverse_iteratorISI_EEEEENSH_IJSG_SG_SG_EEES9_SI_JZNS1_25segmented_radix_sort_implINS0_14default_configELb1EPKiPiPKlPlN2at6native12_GLOBAL__N_18offset_tEEE10hipError_tPvRmT1_PNSt15iterator_traitsIS12_E10value_typeET2_T3_PNS13_IS18_E10value_typeET4_jRbjT5_S1E_jjP12ihipStream_tbEUljE_ZNSN_ISO_Lb1ESQ_SR_ST_SU_SY_EESZ_S10_S11_S12_S16_S17_S18_S1B_S1C_jS1D_jS1E_S1E_jjS1G_bEUljE0_EEESZ_S10_S11_S18_S1C_S1E_T6_T7_T9_mT8_S1G_bDpT10_ENKUlT_T0_E_clISt17integral_constantIbLb1EES1T_IbLb0EEEEDaS1P_S1Q_EUlS1P_E_NS1_11comp_targetILNS1_3genE3ELNS1_11target_archE908ELNS1_3gpuE7ELNS1_3repE0EEENS1_30default_config_static_selectorELNS0_4arch9wavefront6targetE0EEEvS12_.num_agpr, 0
	.set _ZN7rocprim17ROCPRIM_400000_NS6detail17trampoline_kernelINS0_13select_configILj256ELj13ELNS0_17block_load_methodE3ELS4_3ELS4_3ELNS0_20block_scan_algorithmE0ELj4294967295EEENS1_25partition_config_selectorILNS1_17partition_subalgoE4EjNS0_10empty_typeEbEEZZNS1_14partition_implILS8_4ELb0ES6_15HIP_vector_typeIjLj2EENS0_17counting_iteratorIjlEEPS9_SG_NS0_5tupleIJPjSI_NS0_16reverse_iteratorISI_EEEEENSH_IJSG_SG_SG_EEES9_SI_JZNS1_25segmented_radix_sort_implINS0_14default_configELb1EPKiPiPKlPlN2at6native12_GLOBAL__N_18offset_tEEE10hipError_tPvRmT1_PNSt15iterator_traitsIS12_E10value_typeET2_T3_PNS13_IS18_E10value_typeET4_jRbjT5_S1E_jjP12ihipStream_tbEUljE_ZNSN_ISO_Lb1ESQ_SR_ST_SU_SY_EESZ_S10_S11_S12_S16_S17_S18_S1B_S1C_jS1D_jS1E_S1E_jjS1G_bEUljE0_EEESZ_S10_S11_S18_S1C_S1E_T6_T7_T9_mT8_S1G_bDpT10_ENKUlT_T0_E_clISt17integral_constantIbLb1EES1T_IbLb0EEEEDaS1P_S1Q_EUlS1P_E_NS1_11comp_targetILNS1_3genE3ELNS1_11target_archE908ELNS1_3gpuE7ELNS1_3repE0EEENS1_30default_config_static_selectorELNS0_4arch9wavefront6targetE0EEEvS12_.numbered_sgpr, 0
	.set _ZN7rocprim17ROCPRIM_400000_NS6detail17trampoline_kernelINS0_13select_configILj256ELj13ELNS0_17block_load_methodE3ELS4_3ELS4_3ELNS0_20block_scan_algorithmE0ELj4294967295EEENS1_25partition_config_selectorILNS1_17partition_subalgoE4EjNS0_10empty_typeEbEEZZNS1_14partition_implILS8_4ELb0ES6_15HIP_vector_typeIjLj2EENS0_17counting_iteratorIjlEEPS9_SG_NS0_5tupleIJPjSI_NS0_16reverse_iteratorISI_EEEEENSH_IJSG_SG_SG_EEES9_SI_JZNS1_25segmented_radix_sort_implINS0_14default_configELb1EPKiPiPKlPlN2at6native12_GLOBAL__N_18offset_tEEE10hipError_tPvRmT1_PNSt15iterator_traitsIS12_E10value_typeET2_T3_PNS13_IS18_E10value_typeET4_jRbjT5_S1E_jjP12ihipStream_tbEUljE_ZNSN_ISO_Lb1ESQ_SR_ST_SU_SY_EESZ_S10_S11_S12_S16_S17_S18_S1B_S1C_jS1D_jS1E_S1E_jjS1G_bEUljE0_EEESZ_S10_S11_S18_S1C_S1E_T6_T7_T9_mT8_S1G_bDpT10_ENKUlT_T0_E_clISt17integral_constantIbLb1EES1T_IbLb0EEEEDaS1P_S1Q_EUlS1P_E_NS1_11comp_targetILNS1_3genE3ELNS1_11target_archE908ELNS1_3gpuE7ELNS1_3repE0EEENS1_30default_config_static_selectorELNS0_4arch9wavefront6targetE0EEEvS12_.num_named_barrier, 0
	.set _ZN7rocprim17ROCPRIM_400000_NS6detail17trampoline_kernelINS0_13select_configILj256ELj13ELNS0_17block_load_methodE3ELS4_3ELS4_3ELNS0_20block_scan_algorithmE0ELj4294967295EEENS1_25partition_config_selectorILNS1_17partition_subalgoE4EjNS0_10empty_typeEbEEZZNS1_14partition_implILS8_4ELb0ES6_15HIP_vector_typeIjLj2EENS0_17counting_iteratorIjlEEPS9_SG_NS0_5tupleIJPjSI_NS0_16reverse_iteratorISI_EEEEENSH_IJSG_SG_SG_EEES9_SI_JZNS1_25segmented_radix_sort_implINS0_14default_configELb1EPKiPiPKlPlN2at6native12_GLOBAL__N_18offset_tEEE10hipError_tPvRmT1_PNSt15iterator_traitsIS12_E10value_typeET2_T3_PNS13_IS18_E10value_typeET4_jRbjT5_S1E_jjP12ihipStream_tbEUljE_ZNSN_ISO_Lb1ESQ_SR_ST_SU_SY_EESZ_S10_S11_S12_S16_S17_S18_S1B_S1C_jS1D_jS1E_S1E_jjS1G_bEUljE0_EEESZ_S10_S11_S18_S1C_S1E_T6_T7_T9_mT8_S1G_bDpT10_ENKUlT_T0_E_clISt17integral_constantIbLb1EES1T_IbLb0EEEEDaS1P_S1Q_EUlS1P_E_NS1_11comp_targetILNS1_3genE3ELNS1_11target_archE908ELNS1_3gpuE7ELNS1_3repE0EEENS1_30default_config_static_selectorELNS0_4arch9wavefront6targetE0EEEvS12_.private_seg_size, 0
	.set _ZN7rocprim17ROCPRIM_400000_NS6detail17trampoline_kernelINS0_13select_configILj256ELj13ELNS0_17block_load_methodE3ELS4_3ELS4_3ELNS0_20block_scan_algorithmE0ELj4294967295EEENS1_25partition_config_selectorILNS1_17partition_subalgoE4EjNS0_10empty_typeEbEEZZNS1_14partition_implILS8_4ELb0ES6_15HIP_vector_typeIjLj2EENS0_17counting_iteratorIjlEEPS9_SG_NS0_5tupleIJPjSI_NS0_16reverse_iteratorISI_EEEEENSH_IJSG_SG_SG_EEES9_SI_JZNS1_25segmented_radix_sort_implINS0_14default_configELb1EPKiPiPKlPlN2at6native12_GLOBAL__N_18offset_tEEE10hipError_tPvRmT1_PNSt15iterator_traitsIS12_E10value_typeET2_T3_PNS13_IS18_E10value_typeET4_jRbjT5_S1E_jjP12ihipStream_tbEUljE_ZNSN_ISO_Lb1ESQ_SR_ST_SU_SY_EESZ_S10_S11_S12_S16_S17_S18_S1B_S1C_jS1D_jS1E_S1E_jjS1G_bEUljE0_EEESZ_S10_S11_S18_S1C_S1E_T6_T7_T9_mT8_S1G_bDpT10_ENKUlT_T0_E_clISt17integral_constantIbLb1EES1T_IbLb0EEEEDaS1P_S1Q_EUlS1P_E_NS1_11comp_targetILNS1_3genE3ELNS1_11target_archE908ELNS1_3gpuE7ELNS1_3repE0EEENS1_30default_config_static_selectorELNS0_4arch9wavefront6targetE0EEEvS12_.uses_vcc, 0
	.set _ZN7rocprim17ROCPRIM_400000_NS6detail17trampoline_kernelINS0_13select_configILj256ELj13ELNS0_17block_load_methodE3ELS4_3ELS4_3ELNS0_20block_scan_algorithmE0ELj4294967295EEENS1_25partition_config_selectorILNS1_17partition_subalgoE4EjNS0_10empty_typeEbEEZZNS1_14partition_implILS8_4ELb0ES6_15HIP_vector_typeIjLj2EENS0_17counting_iteratorIjlEEPS9_SG_NS0_5tupleIJPjSI_NS0_16reverse_iteratorISI_EEEEENSH_IJSG_SG_SG_EEES9_SI_JZNS1_25segmented_radix_sort_implINS0_14default_configELb1EPKiPiPKlPlN2at6native12_GLOBAL__N_18offset_tEEE10hipError_tPvRmT1_PNSt15iterator_traitsIS12_E10value_typeET2_T3_PNS13_IS18_E10value_typeET4_jRbjT5_S1E_jjP12ihipStream_tbEUljE_ZNSN_ISO_Lb1ESQ_SR_ST_SU_SY_EESZ_S10_S11_S12_S16_S17_S18_S1B_S1C_jS1D_jS1E_S1E_jjS1G_bEUljE0_EEESZ_S10_S11_S18_S1C_S1E_T6_T7_T9_mT8_S1G_bDpT10_ENKUlT_T0_E_clISt17integral_constantIbLb1EES1T_IbLb0EEEEDaS1P_S1Q_EUlS1P_E_NS1_11comp_targetILNS1_3genE3ELNS1_11target_archE908ELNS1_3gpuE7ELNS1_3repE0EEENS1_30default_config_static_selectorELNS0_4arch9wavefront6targetE0EEEvS12_.uses_flat_scratch, 0
	.set _ZN7rocprim17ROCPRIM_400000_NS6detail17trampoline_kernelINS0_13select_configILj256ELj13ELNS0_17block_load_methodE3ELS4_3ELS4_3ELNS0_20block_scan_algorithmE0ELj4294967295EEENS1_25partition_config_selectorILNS1_17partition_subalgoE4EjNS0_10empty_typeEbEEZZNS1_14partition_implILS8_4ELb0ES6_15HIP_vector_typeIjLj2EENS0_17counting_iteratorIjlEEPS9_SG_NS0_5tupleIJPjSI_NS0_16reverse_iteratorISI_EEEEENSH_IJSG_SG_SG_EEES9_SI_JZNS1_25segmented_radix_sort_implINS0_14default_configELb1EPKiPiPKlPlN2at6native12_GLOBAL__N_18offset_tEEE10hipError_tPvRmT1_PNSt15iterator_traitsIS12_E10value_typeET2_T3_PNS13_IS18_E10value_typeET4_jRbjT5_S1E_jjP12ihipStream_tbEUljE_ZNSN_ISO_Lb1ESQ_SR_ST_SU_SY_EESZ_S10_S11_S12_S16_S17_S18_S1B_S1C_jS1D_jS1E_S1E_jjS1G_bEUljE0_EEESZ_S10_S11_S18_S1C_S1E_T6_T7_T9_mT8_S1G_bDpT10_ENKUlT_T0_E_clISt17integral_constantIbLb1EES1T_IbLb0EEEEDaS1P_S1Q_EUlS1P_E_NS1_11comp_targetILNS1_3genE3ELNS1_11target_archE908ELNS1_3gpuE7ELNS1_3repE0EEENS1_30default_config_static_selectorELNS0_4arch9wavefront6targetE0EEEvS12_.has_dyn_sized_stack, 0
	.set _ZN7rocprim17ROCPRIM_400000_NS6detail17trampoline_kernelINS0_13select_configILj256ELj13ELNS0_17block_load_methodE3ELS4_3ELS4_3ELNS0_20block_scan_algorithmE0ELj4294967295EEENS1_25partition_config_selectorILNS1_17partition_subalgoE4EjNS0_10empty_typeEbEEZZNS1_14partition_implILS8_4ELb0ES6_15HIP_vector_typeIjLj2EENS0_17counting_iteratorIjlEEPS9_SG_NS0_5tupleIJPjSI_NS0_16reverse_iteratorISI_EEEEENSH_IJSG_SG_SG_EEES9_SI_JZNS1_25segmented_radix_sort_implINS0_14default_configELb1EPKiPiPKlPlN2at6native12_GLOBAL__N_18offset_tEEE10hipError_tPvRmT1_PNSt15iterator_traitsIS12_E10value_typeET2_T3_PNS13_IS18_E10value_typeET4_jRbjT5_S1E_jjP12ihipStream_tbEUljE_ZNSN_ISO_Lb1ESQ_SR_ST_SU_SY_EESZ_S10_S11_S12_S16_S17_S18_S1B_S1C_jS1D_jS1E_S1E_jjS1G_bEUljE0_EEESZ_S10_S11_S18_S1C_S1E_T6_T7_T9_mT8_S1G_bDpT10_ENKUlT_T0_E_clISt17integral_constantIbLb1EES1T_IbLb0EEEEDaS1P_S1Q_EUlS1P_E_NS1_11comp_targetILNS1_3genE3ELNS1_11target_archE908ELNS1_3gpuE7ELNS1_3repE0EEENS1_30default_config_static_selectorELNS0_4arch9wavefront6targetE0EEEvS12_.has_recursion, 0
	.set _ZN7rocprim17ROCPRIM_400000_NS6detail17trampoline_kernelINS0_13select_configILj256ELj13ELNS0_17block_load_methodE3ELS4_3ELS4_3ELNS0_20block_scan_algorithmE0ELj4294967295EEENS1_25partition_config_selectorILNS1_17partition_subalgoE4EjNS0_10empty_typeEbEEZZNS1_14partition_implILS8_4ELb0ES6_15HIP_vector_typeIjLj2EENS0_17counting_iteratorIjlEEPS9_SG_NS0_5tupleIJPjSI_NS0_16reverse_iteratorISI_EEEEENSH_IJSG_SG_SG_EEES9_SI_JZNS1_25segmented_radix_sort_implINS0_14default_configELb1EPKiPiPKlPlN2at6native12_GLOBAL__N_18offset_tEEE10hipError_tPvRmT1_PNSt15iterator_traitsIS12_E10value_typeET2_T3_PNS13_IS18_E10value_typeET4_jRbjT5_S1E_jjP12ihipStream_tbEUljE_ZNSN_ISO_Lb1ESQ_SR_ST_SU_SY_EESZ_S10_S11_S12_S16_S17_S18_S1B_S1C_jS1D_jS1E_S1E_jjS1G_bEUljE0_EEESZ_S10_S11_S18_S1C_S1E_T6_T7_T9_mT8_S1G_bDpT10_ENKUlT_T0_E_clISt17integral_constantIbLb1EES1T_IbLb0EEEEDaS1P_S1Q_EUlS1P_E_NS1_11comp_targetILNS1_3genE3ELNS1_11target_archE908ELNS1_3gpuE7ELNS1_3repE0EEENS1_30default_config_static_selectorELNS0_4arch9wavefront6targetE0EEEvS12_.has_indirect_call, 0
	.section	.AMDGPU.csdata,"",@progbits
; Kernel info:
; codeLenInByte = 0
; TotalNumSgprs: 0
; NumVgprs: 0
; ScratchSize: 0
; MemoryBound: 0
; FloatMode: 240
; IeeeMode: 1
; LDSByteSize: 0 bytes/workgroup (compile time only)
; SGPRBlocks: 0
; VGPRBlocks: 0
; NumSGPRsForWavesPerEU: 1
; NumVGPRsForWavesPerEU: 1
; NamedBarCnt: 0
; Occupancy: 16
; WaveLimiterHint : 0
; COMPUTE_PGM_RSRC2:SCRATCH_EN: 0
; COMPUTE_PGM_RSRC2:USER_SGPR: 2
; COMPUTE_PGM_RSRC2:TRAP_HANDLER: 0
; COMPUTE_PGM_RSRC2:TGID_X_EN: 1
; COMPUTE_PGM_RSRC2:TGID_Y_EN: 0
; COMPUTE_PGM_RSRC2:TGID_Z_EN: 0
; COMPUTE_PGM_RSRC2:TIDIG_COMP_CNT: 0
	.section	.text._ZN7rocprim17ROCPRIM_400000_NS6detail17trampoline_kernelINS0_13select_configILj256ELj13ELNS0_17block_load_methodE3ELS4_3ELS4_3ELNS0_20block_scan_algorithmE0ELj4294967295EEENS1_25partition_config_selectorILNS1_17partition_subalgoE4EjNS0_10empty_typeEbEEZZNS1_14partition_implILS8_4ELb0ES6_15HIP_vector_typeIjLj2EENS0_17counting_iteratorIjlEEPS9_SG_NS0_5tupleIJPjSI_NS0_16reverse_iteratorISI_EEEEENSH_IJSG_SG_SG_EEES9_SI_JZNS1_25segmented_radix_sort_implINS0_14default_configELb1EPKiPiPKlPlN2at6native12_GLOBAL__N_18offset_tEEE10hipError_tPvRmT1_PNSt15iterator_traitsIS12_E10value_typeET2_T3_PNS13_IS18_E10value_typeET4_jRbjT5_S1E_jjP12ihipStream_tbEUljE_ZNSN_ISO_Lb1ESQ_SR_ST_SU_SY_EESZ_S10_S11_S12_S16_S17_S18_S1B_S1C_jS1D_jS1E_S1E_jjS1G_bEUljE0_EEESZ_S10_S11_S18_S1C_S1E_T6_T7_T9_mT8_S1G_bDpT10_ENKUlT_T0_E_clISt17integral_constantIbLb1EES1T_IbLb0EEEEDaS1P_S1Q_EUlS1P_E_NS1_11comp_targetILNS1_3genE2ELNS1_11target_archE906ELNS1_3gpuE6ELNS1_3repE0EEENS1_30default_config_static_selectorELNS0_4arch9wavefront6targetE0EEEvS12_,"axG",@progbits,_ZN7rocprim17ROCPRIM_400000_NS6detail17trampoline_kernelINS0_13select_configILj256ELj13ELNS0_17block_load_methodE3ELS4_3ELS4_3ELNS0_20block_scan_algorithmE0ELj4294967295EEENS1_25partition_config_selectorILNS1_17partition_subalgoE4EjNS0_10empty_typeEbEEZZNS1_14partition_implILS8_4ELb0ES6_15HIP_vector_typeIjLj2EENS0_17counting_iteratorIjlEEPS9_SG_NS0_5tupleIJPjSI_NS0_16reverse_iteratorISI_EEEEENSH_IJSG_SG_SG_EEES9_SI_JZNS1_25segmented_radix_sort_implINS0_14default_configELb1EPKiPiPKlPlN2at6native12_GLOBAL__N_18offset_tEEE10hipError_tPvRmT1_PNSt15iterator_traitsIS12_E10value_typeET2_T3_PNS13_IS18_E10value_typeET4_jRbjT5_S1E_jjP12ihipStream_tbEUljE_ZNSN_ISO_Lb1ESQ_SR_ST_SU_SY_EESZ_S10_S11_S12_S16_S17_S18_S1B_S1C_jS1D_jS1E_S1E_jjS1G_bEUljE0_EEESZ_S10_S11_S18_S1C_S1E_T6_T7_T9_mT8_S1G_bDpT10_ENKUlT_T0_E_clISt17integral_constantIbLb1EES1T_IbLb0EEEEDaS1P_S1Q_EUlS1P_E_NS1_11comp_targetILNS1_3genE2ELNS1_11target_archE906ELNS1_3gpuE6ELNS1_3repE0EEENS1_30default_config_static_selectorELNS0_4arch9wavefront6targetE0EEEvS12_,comdat
	.globl	_ZN7rocprim17ROCPRIM_400000_NS6detail17trampoline_kernelINS0_13select_configILj256ELj13ELNS0_17block_load_methodE3ELS4_3ELS4_3ELNS0_20block_scan_algorithmE0ELj4294967295EEENS1_25partition_config_selectorILNS1_17partition_subalgoE4EjNS0_10empty_typeEbEEZZNS1_14partition_implILS8_4ELb0ES6_15HIP_vector_typeIjLj2EENS0_17counting_iteratorIjlEEPS9_SG_NS0_5tupleIJPjSI_NS0_16reverse_iteratorISI_EEEEENSH_IJSG_SG_SG_EEES9_SI_JZNS1_25segmented_radix_sort_implINS0_14default_configELb1EPKiPiPKlPlN2at6native12_GLOBAL__N_18offset_tEEE10hipError_tPvRmT1_PNSt15iterator_traitsIS12_E10value_typeET2_T3_PNS13_IS18_E10value_typeET4_jRbjT5_S1E_jjP12ihipStream_tbEUljE_ZNSN_ISO_Lb1ESQ_SR_ST_SU_SY_EESZ_S10_S11_S12_S16_S17_S18_S1B_S1C_jS1D_jS1E_S1E_jjS1G_bEUljE0_EEESZ_S10_S11_S18_S1C_S1E_T6_T7_T9_mT8_S1G_bDpT10_ENKUlT_T0_E_clISt17integral_constantIbLb1EES1T_IbLb0EEEEDaS1P_S1Q_EUlS1P_E_NS1_11comp_targetILNS1_3genE2ELNS1_11target_archE906ELNS1_3gpuE6ELNS1_3repE0EEENS1_30default_config_static_selectorELNS0_4arch9wavefront6targetE0EEEvS12_ ; -- Begin function _ZN7rocprim17ROCPRIM_400000_NS6detail17trampoline_kernelINS0_13select_configILj256ELj13ELNS0_17block_load_methodE3ELS4_3ELS4_3ELNS0_20block_scan_algorithmE0ELj4294967295EEENS1_25partition_config_selectorILNS1_17partition_subalgoE4EjNS0_10empty_typeEbEEZZNS1_14partition_implILS8_4ELb0ES6_15HIP_vector_typeIjLj2EENS0_17counting_iteratorIjlEEPS9_SG_NS0_5tupleIJPjSI_NS0_16reverse_iteratorISI_EEEEENSH_IJSG_SG_SG_EEES9_SI_JZNS1_25segmented_radix_sort_implINS0_14default_configELb1EPKiPiPKlPlN2at6native12_GLOBAL__N_18offset_tEEE10hipError_tPvRmT1_PNSt15iterator_traitsIS12_E10value_typeET2_T3_PNS13_IS18_E10value_typeET4_jRbjT5_S1E_jjP12ihipStream_tbEUljE_ZNSN_ISO_Lb1ESQ_SR_ST_SU_SY_EESZ_S10_S11_S12_S16_S17_S18_S1B_S1C_jS1D_jS1E_S1E_jjS1G_bEUljE0_EEESZ_S10_S11_S18_S1C_S1E_T6_T7_T9_mT8_S1G_bDpT10_ENKUlT_T0_E_clISt17integral_constantIbLb1EES1T_IbLb0EEEEDaS1P_S1Q_EUlS1P_E_NS1_11comp_targetILNS1_3genE2ELNS1_11target_archE906ELNS1_3gpuE6ELNS1_3repE0EEENS1_30default_config_static_selectorELNS0_4arch9wavefront6targetE0EEEvS12_
	.p2align	8
	.type	_ZN7rocprim17ROCPRIM_400000_NS6detail17trampoline_kernelINS0_13select_configILj256ELj13ELNS0_17block_load_methodE3ELS4_3ELS4_3ELNS0_20block_scan_algorithmE0ELj4294967295EEENS1_25partition_config_selectorILNS1_17partition_subalgoE4EjNS0_10empty_typeEbEEZZNS1_14partition_implILS8_4ELb0ES6_15HIP_vector_typeIjLj2EENS0_17counting_iteratorIjlEEPS9_SG_NS0_5tupleIJPjSI_NS0_16reverse_iteratorISI_EEEEENSH_IJSG_SG_SG_EEES9_SI_JZNS1_25segmented_radix_sort_implINS0_14default_configELb1EPKiPiPKlPlN2at6native12_GLOBAL__N_18offset_tEEE10hipError_tPvRmT1_PNSt15iterator_traitsIS12_E10value_typeET2_T3_PNS13_IS18_E10value_typeET4_jRbjT5_S1E_jjP12ihipStream_tbEUljE_ZNSN_ISO_Lb1ESQ_SR_ST_SU_SY_EESZ_S10_S11_S12_S16_S17_S18_S1B_S1C_jS1D_jS1E_S1E_jjS1G_bEUljE0_EEESZ_S10_S11_S18_S1C_S1E_T6_T7_T9_mT8_S1G_bDpT10_ENKUlT_T0_E_clISt17integral_constantIbLb1EES1T_IbLb0EEEEDaS1P_S1Q_EUlS1P_E_NS1_11comp_targetILNS1_3genE2ELNS1_11target_archE906ELNS1_3gpuE6ELNS1_3repE0EEENS1_30default_config_static_selectorELNS0_4arch9wavefront6targetE0EEEvS12_,@function
_ZN7rocprim17ROCPRIM_400000_NS6detail17trampoline_kernelINS0_13select_configILj256ELj13ELNS0_17block_load_methodE3ELS4_3ELS4_3ELNS0_20block_scan_algorithmE0ELj4294967295EEENS1_25partition_config_selectorILNS1_17partition_subalgoE4EjNS0_10empty_typeEbEEZZNS1_14partition_implILS8_4ELb0ES6_15HIP_vector_typeIjLj2EENS0_17counting_iteratorIjlEEPS9_SG_NS0_5tupleIJPjSI_NS0_16reverse_iteratorISI_EEEEENSH_IJSG_SG_SG_EEES9_SI_JZNS1_25segmented_radix_sort_implINS0_14default_configELb1EPKiPiPKlPlN2at6native12_GLOBAL__N_18offset_tEEE10hipError_tPvRmT1_PNSt15iterator_traitsIS12_E10value_typeET2_T3_PNS13_IS18_E10value_typeET4_jRbjT5_S1E_jjP12ihipStream_tbEUljE_ZNSN_ISO_Lb1ESQ_SR_ST_SU_SY_EESZ_S10_S11_S12_S16_S17_S18_S1B_S1C_jS1D_jS1E_S1E_jjS1G_bEUljE0_EEESZ_S10_S11_S18_S1C_S1E_T6_T7_T9_mT8_S1G_bDpT10_ENKUlT_T0_E_clISt17integral_constantIbLb1EES1T_IbLb0EEEEDaS1P_S1Q_EUlS1P_E_NS1_11comp_targetILNS1_3genE2ELNS1_11target_archE906ELNS1_3gpuE6ELNS1_3repE0EEENS1_30default_config_static_selectorELNS0_4arch9wavefront6targetE0EEEvS12_: ; @_ZN7rocprim17ROCPRIM_400000_NS6detail17trampoline_kernelINS0_13select_configILj256ELj13ELNS0_17block_load_methodE3ELS4_3ELS4_3ELNS0_20block_scan_algorithmE0ELj4294967295EEENS1_25partition_config_selectorILNS1_17partition_subalgoE4EjNS0_10empty_typeEbEEZZNS1_14partition_implILS8_4ELb0ES6_15HIP_vector_typeIjLj2EENS0_17counting_iteratorIjlEEPS9_SG_NS0_5tupleIJPjSI_NS0_16reverse_iteratorISI_EEEEENSH_IJSG_SG_SG_EEES9_SI_JZNS1_25segmented_radix_sort_implINS0_14default_configELb1EPKiPiPKlPlN2at6native12_GLOBAL__N_18offset_tEEE10hipError_tPvRmT1_PNSt15iterator_traitsIS12_E10value_typeET2_T3_PNS13_IS18_E10value_typeET4_jRbjT5_S1E_jjP12ihipStream_tbEUljE_ZNSN_ISO_Lb1ESQ_SR_ST_SU_SY_EESZ_S10_S11_S12_S16_S17_S18_S1B_S1C_jS1D_jS1E_S1E_jjS1G_bEUljE0_EEESZ_S10_S11_S18_S1C_S1E_T6_T7_T9_mT8_S1G_bDpT10_ENKUlT_T0_E_clISt17integral_constantIbLb1EES1T_IbLb0EEEEDaS1P_S1Q_EUlS1P_E_NS1_11comp_targetILNS1_3genE2ELNS1_11target_archE906ELNS1_3gpuE6ELNS1_3repE0EEENS1_30default_config_static_selectorELNS0_4arch9wavefront6targetE0EEEvS12_
; %bb.0:
	.section	.rodata,"a",@progbits
	.p2align	6, 0x0
	.amdhsa_kernel _ZN7rocprim17ROCPRIM_400000_NS6detail17trampoline_kernelINS0_13select_configILj256ELj13ELNS0_17block_load_methodE3ELS4_3ELS4_3ELNS0_20block_scan_algorithmE0ELj4294967295EEENS1_25partition_config_selectorILNS1_17partition_subalgoE4EjNS0_10empty_typeEbEEZZNS1_14partition_implILS8_4ELb0ES6_15HIP_vector_typeIjLj2EENS0_17counting_iteratorIjlEEPS9_SG_NS0_5tupleIJPjSI_NS0_16reverse_iteratorISI_EEEEENSH_IJSG_SG_SG_EEES9_SI_JZNS1_25segmented_radix_sort_implINS0_14default_configELb1EPKiPiPKlPlN2at6native12_GLOBAL__N_18offset_tEEE10hipError_tPvRmT1_PNSt15iterator_traitsIS12_E10value_typeET2_T3_PNS13_IS18_E10value_typeET4_jRbjT5_S1E_jjP12ihipStream_tbEUljE_ZNSN_ISO_Lb1ESQ_SR_ST_SU_SY_EESZ_S10_S11_S12_S16_S17_S18_S1B_S1C_jS1D_jS1E_S1E_jjS1G_bEUljE0_EEESZ_S10_S11_S18_S1C_S1E_T6_T7_T9_mT8_S1G_bDpT10_ENKUlT_T0_E_clISt17integral_constantIbLb1EES1T_IbLb0EEEEDaS1P_S1Q_EUlS1P_E_NS1_11comp_targetILNS1_3genE2ELNS1_11target_archE906ELNS1_3gpuE6ELNS1_3repE0EEENS1_30default_config_static_selectorELNS0_4arch9wavefront6targetE0EEEvS12_
		.amdhsa_group_segment_fixed_size 0
		.amdhsa_private_segment_fixed_size 0
		.amdhsa_kernarg_size 176
		.amdhsa_user_sgpr_count 2
		.amdhsa_user_sgpr_dispatch_ptr 0
		.amdhsa_user_sgpr_queue_ptr 0
		.amdhsa_user_sgpr_kernarg_segment_ptr 1
		.amdhsa_user_sgpr_dispatch_id 0
		.amdhsa_user_sgpr_kernarg_preload_length 0
		.amdhsa_user_sgpr_kernarg_preload_offset 0
		.amdhsa_user_sgpr_private_segment_size 0
		.amdhsa_wavefront_size32 1
		.amdhsa_uses_dynamic_stack 0
		.amdhsa_enable_private_segment 0
		.amdhsa_system_sgpr_workgroup_id_x 1
		.amdhsa_system_sgpr_workgroup_id_y 0
		.amdhsa_system_sgpr_workgroup_id_z 0
		.amdhsa_system_sgpr_workgroup_info 0
		.amdhsa_system_vgpr_workitem_id 0
		.amdhsa_next_free_vgpr 1
		.amdhsa_next_free_sgpr 1
		.amdhsa_named_barrier_count 0
		.amdhsa_reserve_vcc 0
		.amdhsa_float_round_mode_32 0
		.amdhsa_float_round_mode_16_64 0
		.amdhsa_float_denorm_mode_32 3
		.amdhsa_float_denorm_mode_16_64 3
		.amdhsa_fp16_overflow 0
		.amdhsa_memory_ordered 1
		.amdhsa_forward_progress 1
		.amdhsa_inst_pref_size 0
		.amdhsa_round_robin_scheduling 0
		.amdhsa_exception_fp_ieee_invalid_op 0
		.amdhsa_exception_fp_denorm_src 0
		.amdhsa_exception_fp_ieee_div_zero 0
		.amdhsa_exception_fp_ieee_overflow 0
		.amdhsa_exception_fp_ieee_underflow 0
		.amdhsa_exception_fp_ieee_inexact 0
		.amdhsa_exception_int_div_zero 0
	.end_amdhsa_kernel
	.section	.text._ZN7rocprim17ROCPRIM_400000_NS6detail17trampoline_kernelINS0_13select_configILj256ELj13ELNS0_17block_load_methodE3ELS4_3ELS4_3ELNS0_20block_scan_algorithmE0ELj4294967295EEENS1_25partition_config_selectorILNS1_17partition_subalgoE4EjNS0_10empty_typeEbEEZZNS1_14partition_implILS8_4ELb0ES6_15HIP_vector_typeIjLj2EENS0_17counting_iteratorIjlEEPS9_SG_NS0_5tupleIJPjSI_NS0_16reverse_iteratorISI_EEEEENSH_IJSG_SG_SG_EEES9_SI_JZNS1_25segmented_radix_sort_implINS0_14default_configELb1EPKiPiPKlPlN2at6native12_GLOBAL__N_18offset_tEEE10hipError_tPvRmT1_PNSt15iterator_traitsIS12_E10value_typeET2_T3_PNS13_IS18_E10value_typeET4_jRbjT5_S1E_jjP12ihipStream_tbEUljE_ZNSN_ISO_Lb1ESQ_SR_ST_SU_SY_EESZ_S10_S11_S12_S16_S17_S18_S1B_S1C_jS1D_jS1E_S1E_jjS1G_bEUljE0_EEESZ_S10_S11_S18_S1C_S1E_T6_T7_T9_mT8_S1G_bDpT10_ENKUlT_T0_E_clISt17integral_constantIbLb1EES1T_IbLb0EEEEDaS1P_S1Q_EUlS1P_E_NS1_11comp_targetILNS1_3genE2ELNS1_11target_archE906ELNS1_3gpuE6ELNS1_3repE0EEENS1_30default_config_static_selectorELNS0_4arch9wavefront6targetE0EEEvS12_,"axG",@progbits,_ZN7rocprim17ROCPRIM_400000_NS6detail17trampoline_kernelINS0_13select_configILj256ELj13ELNS0_17block_load_methodE3ELS4_3ELS4_3ELNS0_20block_scan_algorithmE0ELj4294967295EEENS1_25partition_config_selectorILNS1_17partition_subalgoE4EjNS0_10empty_typeEbEEZZNS1_14partition_implILS8_4ELb0ES6_15HIP_vector_typeIjLj2EENS0_17counting_iteratorIjlEEPS9_SG_NS0_5tupleIJPjSI_NS0_16reverse_iteratorISI_EEEEENSH_IJSG_SG_SG_EEES9_SI_JZNS1_25segmented_radix_sort_implINS0_14default_configELb1EPKiPiPKlPlN2at6native12_GLOBAL__N_18offset_tEEE10hipError_tPvRmT1_PNSt15iterator_traitsIS12_E10value_typeET2_T3_PNS13_IS18_E10value_typeET4_jRbjT5_S1E_jjP12ihipStream_tbEUljE_ZNSN_ISO_Lb1ESQ_SR_ST_SU_SY_EESZ_S10_S11_S12_S16_S17_S18_S1B_S1C_jS1D_jS1E_S1E_jjS1G_bEUljE0_EEESZ_S10_S11_S18_S1C_S1E_T6_T7_T9_mT8_S1G_bDpT10_ENKUlT_T0_E_clISt17integral_constantIbLb1EES1T_IbLb0EEEEDaS1P_S1Q_EUlS1P_E_NS1_11comp_targetILNS1_3genE2ELNS1_11target_archE906ELNS1_3gpuE6ELNS1_3repE0EEENS1_30default_config_static_selectorELNS0_4arch9wavefront6targetE0EEEvS12_,comdat
.Lfunc_end449:
	.size	_ZN7rocprim17ROCPRIM_400000_NS6detail17trampoline_kernelINS0_13select_configILj256ELj13ELNS0_17block_load_methodE3ELS4_3ELS4_3ELNS0_20block_scan_algorithmE0ELj4294967295EEENS1_25partition_config_selectorILNS1_17partition_subalgoE4EjNS0_10empty_typeEbEEZZNS1_14partition_implILS8_4ELb0ES6_15HIP_vector_typeIjLj2EENS0_17counting_iteratorIjlEEPS9_SG_NS0_5tupleIJPjSI_NS0_16reverse_iteratorISI_EEEEENSH_IJSG_SG_SG_EEES9_SI_JZNS1_25segmented_radix_sort_implINS0_14default_configELb1EPKiPiPKlPlN2at6native12_GLOBAL__N_18offset_tEEE10hipError_tPvRmT1_PNSt15iterator_traitsIS12_E10value_typeET2_T3_PNS13_IS18_E10value_typeET4_jRbjT5_S1E_jjP12ihipStream_tbEUljE_ZNSN_ISO_Lb1ESQ_SR_ST_SU_SY_EESZ_S10_S11_S12_S16_S17_S18_S1B_S1C_jS1D_jS1E_S1E_jjS1G_bEUljE0_EEESZ_S10_S11_S18_S1C_S1E_T6_T7_T9_mT8_S1G_bDpT10_ENKUlT_T0_E_clISt17integral_constantIbLb1EES1T_IbLb0EEEEDaS1P_S1Q_EUlS1P_E_NS1_11comp_targetILNS1_3genE2ELNS1_11target_archE906ELNS1_3gpuE6ELNS1_3repE0EEENS1_30default_config_static_selectorELNS0_4arch9wavefront6targetE0EEEvS12_, .Lfunc_end449-_ZN7rocprim17ROCPRIM_400000_NS6detail17trampoline_kernelINS0_13select_configILj256ELj13ELNS0_17block_load_methodE3ELS4_3ELS4_3ELNS0_20block_scan_algorithmE0ELj4294967295EEENS1_25partition_config_selectorILNS1_17partition_subalgoE4EjNS0_10empty_typeEbEEZZNS1_14partition_implILS8_4ELb0ES6_15HIP_vector_typeIjLj2EENS0_17counting_iteratorIjlEEPS9_SG_NS0_5tupleIJPjSI_NS0_16reverse_iteratorISI_EEEEENSH_IJSG_SG_SG_EEES9_SI_JZNS1_25segmented_radix_sort_implINS0_14default_configELb1EPKiPiPKlPlN2at6native12_GLOBAL__N_18offset_tEEE10hipError_tPvRmT1_PNSt15iterator_traitsIS12_E10value_typeET2_T3_PNS13_IS18_E10value_typeET4_jRbjT5_S1E_jjP12ihipStream_tbEUljE_ZNSN_ISO_Lb1ESQ_SR_ST_SU_SY_EESZ_S10_S11_S12_S16_S17_S18_S1B_S1C_jS1D_jS1E_S1E_jjS1G_bEUljE0_EEESZ_S10_S11_S18_S1C_S1E_T6_T7_T9_mT8_S1G_bDpT10_ENKUlT_T0_E_clISt17integral_constantIbLb1EES1T_IbLb0EEEEDaS1P_S1Q_EUlS1P_E_NS1_11comp_targetILNS1_3genE2ELNS1_11target_archE906ELNS1_3gpuE6ELNS1_3repE0EEENS1_30default_config_static_selectorELNS0_4arch9wavefront6targetE0EEEvS12_
                                        ; -- End function
	.set _ZN7rocprim17ROCPRIM_400000_NS6detail17trampoline_kernelINS0_13select_configILj256ELj13ELNS0_17block_load_methodE3ELS4_3ELS4_3ELNS0_20block_scan_algorithmE0ELj4294967295EEENS1_25partition_config_selectorILNS1_17partition_subalgoE4EjNS0_10empty_typeEbEEZZNS1_14partition_implILS8_4ELb0ES6_15HIP_vector_typeIjLj2EENS0_17counting_iteratorIjlEEPS9_SG_NS0_5tupleIJPjSI_NS0_16reverse_iteratorISI_EEEEENSH_IJSG_SG_SG_EEES9_SI_JZNS1_25segmented_radix_sort_implINS0_14default_configELb1EPKiPiPKlPlN2at6native12_GLOBAL__N_18offset_tEEE10hipError_tPvRmT1_PNSt15iterator_traitsIS12_E10value_typeET2_T3_PNS13_IS18_E10value_typeET4_jRbjT5_S1E_jjP12ihipStream_tbEUljE_ZNSN_ISO_Lb1ESQ_SR_ST_SU_SY_EESZ_S10_S11_S12_S16_S17_S18_S1B_S1C_jS1D_jS1E_S1E_jjS1G_bEUljE0_EEESZ_S10_S11_S18_S1C_S1E_T6_T7_T9_mT8_S1G_bDpT10_ENKUlT_T0_E_clISt17integral_constantIbLb1EES1T_IbLb0EEEEDaS1P_S1Q_EUlS1P_E_NS1_11comp_targetILNS1_3genE2ELNS1_11target_archE906ELNS1_3gpuE6ELNS1_3repE0EEENS1_30default_config_static_selectorELNS0_4arch9wavefront6targetE0EEEvS12_.num_vgpr, 0
	.set _ZN7rocprim17ROCPRIM_400000_NS6detail17trampoline_kernelINS0_13select_configILj256ELj13ELNS0_17block_load_methodE3ELS4_3ELS4_3ELNS0_20block_scan_algorithmE0ELj4294967295EEENS1_25partition_config_selectorILNS1_17partition_subalgoE4EjNS0_10empty_typeEbEEZZNS1_14partition_implILS8_4ELb0ES6_15HIP_vector_typeIjLj2EENS0_17counting_iteratorIjlEEPS9_SG_NS0_5tupleIJPjSI_NS0_16reverse_iteratorISI_EEEEENSH_IJSG_SG_SG_EEES9_SI_JZNS1_25segmented_radix_sort_implINS0_14default_configELb1EPKiPiPKlPlN2at6native12_GLOBAL__N_18offset_tEEE10hipError_tPvRmT1_PNSt15iterator_traitsIS12_E10value_typeET2_T3_PNS13_IS18_E10value_typeET4_jRbjT5_S1E_jjP12ihipStream_tbEUljE_ZNSN_ISO_Lb1ESQ_SR_ST_SU_SY_EESZ_S10_S11_S12_S16_S17_S18_S1B_S1C_jS1D_jS1E_S1E_jjS1G_bEUljE0_EEESZ_S10_S11_S18_S1C_S1E_T6_T7_T9_mT8_S1G_bDpT10_ENKUlT_T0_E_clISt17integral_constantIbLb1EES1T_IbLb0EEEEDaS1P_S1Q_EUlS1P_E_NS1_11comp_targetILNS1_3genE2ELNS1_11target_archE906ELNS1_3gpuE6ELNS1_3repE0EEENS1_30default_config_static_selectorELNS0_4arch9wavefront6targetE0EEEvS12_.num_agpr, 0
	.set _ZN7rocprim17ROCPRIM_400000_NS6detail17trampoline_kernelINS0_13select_configILj256ELj13ELNS0_17block_load_methodE3ELS4_3ELS4_3ELNS0_20block_scan_algorithmE0ELj4294967295EEENS1_25partition_config_selectorILNS1_17partition_subalgoE4EjNS0_10empty_typeEbEEZZNS1_14partition_implILS8_4ELb0ES6_15HIP_vector_typeIjLj2EENS0_17counting_iteratorIjlEEPS9_SG_NS0_5tupleIJPjSI_NS0_16reverse_iteratorISI_EEEEENSH_IJSG_SG_SG_EEES9_SI_JZNS1_25segmented_radix_sort_implINS0_14default_configELb1EPKiPiPKlPlN2at6native12_GLOBAL__N_18offset_tEEE10hipError_tPvRmT1_PNSt15iterator_traitsIS12_E10value_typeET2_T3_PNS13_IS18_E10value_typeET4_jRbjT5_S1E_jjP12ihipStream_tbEUljE_ZNSN_ISO_Lb1ESQ_SR_ST_SU_SY_EESZ_S10_S11_S12_S16_S17_S18_S1B_S1C_jS1D_jS1E_S1E_jjS1G_bEUljE0_EEESZ_S10_S11_S18_S1C_S1E_T6_T7_T9_mT8_S1G_bDpT10_ENKUlT_T0_E_clISt17integral_constantIbLb1EES1T_IbLb0EEEEDaS1P_S1Q_EUlS1P_E_NS1_11comp_targetILNS1_3genE2ELNS1_11target_archE906ELNS1_3gpuE6ELNS1_3repE0EEENS1_30default_config_static_selectorELNS0_4arch9wavefront6targetE0EEEvS12_.numbered_sgpr, 0
	.set _ZN7rocprim17ROCPRIM_400000_NS6detail17trampoline_kernelINS0_13select_configILj256ELj13ELNS0_17block_load_methodE3ELS4_3ELS4_3ELNS0_20block_scan_algorithmE0ELj4294967295EEENS1_25partition_config_selectorILNS1_17partition_subalgoE4EjNS0_10empty_typeEbEEZZNS1_14partition_implILS8_4ELb0ES6_15HIP_vector_typeIjLj2EENS0_17counting_iteratorIjlEEPS9_SG_NS0_5tupleIJPjSI_NS0_16reverse_iteratorISI_EEEEENSH_IJSG_SG_SG_EEES9_SI_JZNS1_25segmented_radix_sort_implINS0_14default_configELb1EPKiPiPKlPlN2at6native12_GLOBAL__N_18offset_tEEE10hipError_tPvRmT1_PNSt15iterator_traitsIS12_E10value_typeET2_T3_PNS13_IS18_E10value_typeET4_jRbjT5_S1E_jjP12ihipStream_tbEUljE_ZNSN_ISO_Lb1ESQ_SR_ST_SU_SY_EESZ_S10_S11_S12_S16_S17_S18_S1B_S1C_jS1D_jS1E_S1E_jjS1G_bEUljE0_EEESZ_S10_S11_S18_S1C_S1E_T6_T7_T9_mT8_S1G_bDpT10_ENKUlT_T0_E_clISt17integral_constantIbLb1EES1T_IbLb0EEEEDaS1P_S1Q_EUlS1P_E_NS1_11comp_targetILNS1_3genE2ELNS1_11target_archE906ELNS1_3gpuE6ELNS1_3repE0EEENS1_30default_config_static_selectorELNS0_4arch9wavefront6targetE0EEEvS12_.num_named_barrier, 0
	.set _ZN7rocprim17ROCPRIM_400000_NS6detail17trampoline_kernelINS0_13select_configILj256ELj13ELNS0_17block_load_methodE3ELS4_3ELS4_3ELNS0_20block_scan_algorithmE0ELj4294967295EEENS1_25partition_config_selectorILNS1_17partition_subalgoE4EjNS0_10empty_typeEbEEZZNS1_14partition_implILS8_4ELb0ES6_15HIP_vector_typeIjLj2EENS0_17counting_iteratorIjlEEPS9_SG_NS0_5tupleIJPjSI_NS0_16reverse_iteratorISI_EEEEENSH_IJSG_SG_SG_EEES9_SI_JZNS1_25segmented_radix_sort_implINS0_14default_configELb1EPKiPiPKlPlN2at6native12_GLOBAL__N_18offset_tEEE10hipError_tPvRmT1_PNSt15iterator_traitsIS12_E10value_typeET2_T3_PNS13_IS18_E10value_typeET4_jRbjT5_S1E_jjP12ihipStream_tbEUljE_ZNSN_ISO_Lb1ESQ_SR_ST_SU_SY_EESZ_S10_S11_S12_S16_S17_S18_S1B_S1C_jS1D_jS1E_S1E_jjS1G_bEUljE0_EEESZ_S10_S11_S18_S1C_S1E_T6_T7_T9_mT8_S1G_bDpT10_ENKUlT_T0_E_clISt17integral_constantIbLb1EES1T_IbLb0EEEEDaS1P_S1Q_EUlS1P_E_NS1_11comp_targetILNS1_3genE2ELNS1_11target_archE906ELNS1_3gpuE6ELNS1_3repE0EEENS1_30default_config_static_selectorELNS0_4arch9wavefront6targetE0EEEvS12_.private_seg_size, 0
	.set _ZN7rocprim17ROCPRIM_400000_NS6detail17trampoline_kernelINS0_13select_configILj256ELj13ELNS0_17block_load_methodE3ELS4_3ELS4_3ELNS0_20block_scan_algorithmE0ELj4294967295EEENS1_25partition_config_selectorILNS1_17partition_subalgoE4EjNS0_10empty_typeEbEEZZNS1_14partition_implILS8_4ELb0ES6_15HIP_vector_typeIjLj2EENS0_17counting_iteratorIjlEEPS9_SG_NS0_5tupleIJPjSI_NS0_16reverse_iteratorISI_EEEEENSH_IJSG_SG_SG_EEES9_SI_JZNS1_25segmented_radix_sort_implINS0_14default_configELb1EPKiPiPKlPlN2at6native12_GLOBAL__N_18offset_tEEE10hipError_tPvRmT1_PNSt15iterator_traitsIS12_E10value_typeET2_T3_PNS13_IS18_E10value_typeET4_jRbjT5_S1E_jjP12ihipStream_tbEUljE_ZNSN_ISO_Lb1ESQ_SR_ST_SU_SY_EESZ_S10_S11_S12_S16_S17_S18_S1B_S1C_jS1D_jS1E_S1E_jjS1G_bEUljE0_EEESZ_S10_S11_S18_S1C_S1E_T6_T7_T9_mT8_S1G_bDpT10_ENKUlT_T0_E_clISt17integral_constantIbLb1EES1T_IbLb0EEEEDaS1P_S1Q_EUlS1P_E_NS1_11comp_targetILNS1_3genE2ELNS1_11target_archE906ELNS1_3gpuE6ELNS1_3repE0EEENS1_30default_config_static_selectorELNS0_4arch9wavefront6targetE0EEEvS12_.uses_vcc, 0
	.set _ZN7rocprim17ROCPRIM_400000_NS6detail17trampoline_kernelINS0_13select_configILj256ELj13ELNS0_17block_load_methodE3ELS4_3ELS4_3ELNS0_20block_scan_algorithmE0ELj4294967295EEENS1_25partition_config_selectorILNS1_17partition_subalgoE4EjNS0_10empty_typeEbEEZZNS1_14partition_implILS8_4ELb0ES6_15HIP_vector_typeIjLj2EENS0_17counting_iteratorIjlEEPS9_SG_NS0_5tupleIJPjSI_NS0_16reverse_iteratorISI_EEEEENSH_IJSG_SG_SG_EEES9_SI_JZNS1_25segmented_radix_sort_implINS0_14default_configELb1EPKiPiPKlPlN2at6native12_GLOBAL__N_18offset_tEEE10hipError_tPvRmT1_PNSt15iterator_traitsIS12_E10value_typeET2_T3_PNS13_IS18_E10value_typeET4_jRbjT5_S1E_jjP12ihipStream_tbEUljE_ZNSN_ISO_Lb1ESQ_SR_ST_SU_SY_EESZ_S10_S11_S12_S16_S17_S18_S1B_S1C_jS1D_jS1E_S1E_jjS1G_bEUljE0_EEESZ_S10_S11_S18_S1C_S1E_T6_T7_T9_mT8_S1G_bDpT10_ENKUlT_T0_E_clISt17integral_constantIbLb1EES1T_IbLb0EEEEDaS1P_S1Q_EUlS1P_E_NS1_11comp_targetILNS1_3genE2ELNS1_11target_archE906ELNS1_3gpuE6ELNS1_3repE0EEENS1_30default_config_static_selectorELNS0_4arch9wavefront6targetE0EEEvS12_.uses_flat_scratch, 0
	.set _ZN7rocprim17ROCPRIM_400000_NS6detail17trampoline_kernelINS0_13select_configILj256ELj13ELNS0_17block_load_methodE3ELS4_3ELS4_3ELNS0_20block_scan_algorithmE0ELj4294967295EEENS1_25partition_config_selectorILNS1_17partition_subalgoE4EjNS0_10empty_typeEbEEZZNS1_14partition_implILS8_4ELb0ES6_15HIP_vector_typeIjLj2EENS0_17counting_iteratorIjlEEPS9_SG_NS0_5tupleIJPjSI_NS0_16reverse_iteratorISI_EEEEENSH_IJSG_SG_SG_EEES9_SI_JZNS1_25segmented_radix_sort_implINS0_14default_configELb1EPKiPiPKlPlN2at6native12_GLOBAL__N_18offset_tEEE10hipError_tPvRmT1_PNSt15iterator_traitsIS12_E10value_typeET2_T3_PNS13_IS18_E10value_typeET4_jRbjT5_S1E_jjP12ihipStream_tbEUljE_ZNSN_ISO_Lb1ESQ_SR_ST_SU_SY_EESZ_S10_S11_S12_S16_S17_S18_S1B_S1C_jS1D_jS1E_S1E_jjS1G_bEUljE0_EEESZ_S10_S11_S18_S1C_S1E_T6_T7_T9_mT8_S1G_bDpT10_ENKUlT_T0_E_clISt17integral_constantIbLb1EES1T_IbLb0EEEEDaS1P_S1Q_EUlS1P_E_NS1_11comp_targetILNS1_3genE2ELNS1_11target_archE906ELNS1_3gpuE6ELNS1_3repE0EEENS1_30default_config_static_selectorELNS0_4arch9wavefront6targetE0EEEvS12_.has_dyn_sized_stack, 0
	.set _ZN7rocprim17ROCPRIM_400000_NS6detail17trampoline_kernelINS0_13select_configILj256ELj13ELNS0_17block_load_methodE3ELS4_3ELS4_3ELNS0_20block_scan_algorithmE0ELj4294967295EEENS1_25partition_config_selectorILNS1_17partition_subalgoE4EjNS0_10empty_typeEbEEZZNS1_14partition_implILS8_4ELb0ES6_15HIP_vector_typeIjLj2EENS0_17counting_iteratorIjlEEPS9_SG_NS0_5tupleIJPjSI_NS0_16reverse_iteratorISI_EEEEENSH_IJSG_SG_SG_EEES9_SI_JZNS1_25segmented_radix_sort_implINS0_14default_configELb1EPKiPiPKlPlN2at6native12_GLOBAL__N_18offset_tEEE10hipError_tPvRmT1_PNSt15iterator_traitsIS12_E10value_typeET2_T3_PNS13_IS18_E10value_typeET4_jRbjT5_S1E_jjP12ihipStream_tbEUljE_ZNSN_ISO_Lb1ESQ_SR_ST_SU_SY_EESZ_S10_S11_S12_S16_S17_S18_S1B_S1C_jS1D_jS1E_S1E_jjS1G_bEUljE0_EEESZ_S10_S11_S18_S1C_S1E_T6_T7_T9_mT8_S1G_bDpT10_ENKUlT_T0_E_clISt17integral_constantIbLb1EES1T_IbLb0EEEEDaS1P_S1Q_EUlS1P_E_NS1_11comp_targetILNS1_3genE2ELNS1_11target_archE906ELNS1_3gpuE6ELNS1_3repE0EEENS1_30default_config_static_selectorELNS0_4arch9wavefront6targetE0EEEvS12_.has_recursion, 0
	.set _ZN7rocprim17ROCPRIM_400000_NS6detail17trampoline_kernelINS0_13select_configILj256ELj13ELNS0_17block_load_methodE3ELS4_3ELS4_3ELNS0_20block_scan_algorithmE0ELj4294967295EEENS1_25partition_config_selectorILNS1_17partition_subalgoE4EjNS0_10empty_typeEbEEZZNS1_14partition_implILS8_4ELb0ES6_15HIP_vector_typeIjLj2EENS0_17counting_iteratorIjlEEPS9_SG_NS0_5tupleIJPjSI_NS0_16reverse_iteratorISI_EEEEENSH_IJSG_SG_SG_EEES9_SI_JZNS1_25segmented_radix_sort_implINS0_14default_configELb1EPKiPiPKlPlN2at6native12_GLOBAL__N_18offset_tEEE10hipError_tPvRmT1_PNSt15iterator_traitsIS12_E10value_typeET2_T3_PNS13_IS18_E10value_typeET4_jRbjT5_S1E_jjP12ihipStream_tbEUljE_ZNSN_ISO_Lb1ESQ_SR_ST_SU_SY_EESZ_S10_S11_S12_S16_S17_S18_S1B_S1C_jS1D_jS1E_S1E_jjS1G_bEUljE0_EEESZ_S10_S11_S18_S1C_S1E_T6_T7_T9_mT8_S1G_bDpT10_ENKUlT_T0_E_clISt17integral_constantIbLb1EES1T_IbLb0EEEEDaS1P_S1Q_EUlS1P_E_NS1_11comp_targetILNS1_3genE2ELNS1_11target_archE906ELNS1_3gpuE6ELNS1_3repE0EEENS1_30default_config_static_selectorELNS0_4arch9wavefront6targetE0EEEvS12_.has_indirect_call, 0
	.section	.AMDGPU.csdata,"",@progbits
; Kernel info:
; codeLenInByte = 0
; TotalNumSgprs: 0
; NumVgprs: 0
; ScratchSize: 0
; MemoryBound: 0
; FloatMode: 240
; IeeeMode: 1
; LDSByteSize: 0 bytes/workgroup (compile time only)
; SGPRBlocks: 0
; VGPRBlocks: 0
; NumSGPRsForWavesPerEU: 1
; NumVGPRsForWavesPerEU: 1
; NamedBarCnt: 0
; Occupancy: 16
; WaveLimiterHint : 0
; COMPUTE_PGM_RSRC2:SCRATCH_EN: 0
; COMPUTE_PGM_RSRC2:USER_SGPR: 2
; COMPUTE_PGM_RSRC2:TRAP_HANDLER: 0
; COMPUTE_PGM_RSRC2:TGID_X_EN: 1
; COMPUTE_PGM_RSRC2:TGID_Y_EN: 0
; COMPUTE_PGM_RSRC2:TGID_Z_EN: 0
; COMPUTE_PGM_RSRC2:TIDIG_COMP_CNT: 0
	.section	.text._ZN7rocprim17ROCPRIM_400000_NS6detail17trampoline_kernelINS0_13select_configILj256ELj13ELNS0_17block_load_methodE3ELS4_3ELS4_3ELNS0_20block_scan_algorithmE0ELj4294967295EEENS1_25partition_config_selectorILNS1_17partition_subalgoE4EjNS0_10empty_typeEbEEZZNS1_14partition_implILS8_4ELb0ES6_15HIP_vector_typeIjLj2EENS0_17counting_iteratorIjlEEPS9_SG_NS0_5tupleIJPjSI_NS0_16reverse_iteratorISI_EEEEENSH_IJSG_SG_SG_EEES9_SI_JZNS1_25segmented_radix_sort_implINS0_14default_configELb1EPKiPiPKlPlN2at6native12_GLOBAL__N_18offset_tEEE10hipError_tPvRmT1_PNSt15iterator_traitsIS12_E10value_typeET2_T3_PNS13_IS18_E10value_typeET4_jRbjT5_S1E_jjP12ihipStream_tbEUljE_ZNSN_ISO_Lb1ESQ_SR_ST_SU_SY_EESZ_S10_S11_S12_S16_S17_S18_S1B_S1C_jS1D_jS1E_S1E_jjS1G_bEUljE0_EEESZ_S10_S11_S18_S1C_S1E_T6_T7_T9_mT8_S1G_bDpT10_ENKUlT_T0_E_clISt17integral_constantIbLb1EES1T_IbLb0EEEEDaS1P_S1Q_EUlS1P_E_NS1_11comp_targetILNS1_3genE10ELNS1_11target_archE1200ELNS1_3gpuE4ELNS1_3repE0EEENS1_30default_config_static_selectorELNS0_4arch9wavefront6targetE0EEEvS12_,"axG",@progbits,_ZN7rocprim17ROCPRIM_400000_NS6detail17trampoline_kernelINS0_13select_configILj256ELj13ELNS0_17block_load_methodE3ELS4_3ELS4_3ELNS0_20block_scan_algorithmE0ELj4294967295EEENS1_25partition_config_selectorILNS1_17partition_subalgoE4EjNS0_10empty_typeEbEEZZNS1_14partition_implILS8_4ELb0ES6_15HIP_vector_typeIjLj2EENS0_17counting_iteratorIjlEEPS9_SG_NS0_5tupleIJPjSI_NS0_16reverse_iteratorISI_EEEEENSH_IJSG_SG_SG_EEES9_SI_JZNS1_25segmented_radix_sort_implINS0_14default_configELb1EPKiPiPKlPlN2at6native12_GLOBAL__N_18offset_tEEE10hipError_tPvRmT1_PNSt15iterator_traitsIS12_E10value_typeET2_T3_PNS13_IS18_E10value_typeET4_jRbjT5_S1E_jjP12ihipStream_tbEUljE_ZNSN_ISO_Lb1ESQ_SR_ST_SU_SY_EESZ_S10_S11_S12_S16_S17_S18_S1B_S1C_jS1D_jS1E_S1E_jjS1G_bEUljE0_EEESZ_S10_S11_S18_S1C_S1E_T6_T7_T9_mT8_S1G_bDpT10_ENKUlT_T0_E_clISt17integral_constantIbLb1EES1T_IbLb0EEEEDaS1P_S1Q_EUlS1P_E_NS1_11comp_targetILNS1_3genE10ELNS1_11target_archE1200ELNS1_3gpuE4ELNS1_3repE0EEENS1_30default_config_static_selectorELNS0_4arch9wavefront6targetE0EEEvS12_,comdat
	.globl	_ZN7rocprim17ROCPRIM_400000_NS6detail17trampoline_kernelINS0_13select_configILj256ELj13ELNS0_17block_load_methodE3ELS4_3ELS4_3ELNS0_20block_scan_algorithmE0ELj4294967295EEENS1_25partition_config_selectorILNS1_17partition_subalgoE4EjNS0_10empty_typeEbEEZZNS1_14partition_implILS8_4ELb0ES6_15HIP_vector_typeIjLj2EENS0_17counting_iteratorIjlEEPS9_SG_NS0_5tupleIJPjSI_NS0_16reverse_iteratorISI_EEEEENSH_IJSG_SG_SG_EEES9_SI_JZNS1_25segmented_radix_sort_implINS0_14default_configELb1EPKiPiPKlPlN2at6native12_GLOBAL__N_18offset_tEEE10hipError_tPvRmT1_PNSt15iterator_traitsIS12_E10value_typeET2_T3_PNS13_IS18_E10value_typeET4_jRbjT5_S1E_jjP12ihipStream_tbEUljE_ZNSN_ISO_Lb1ESQ_SR_ST_SU_SY_EESZ_S10_S11_S12_S16_S17_S18_S1B_S1C_jS1D_jS1E_S1E_jjS1G_bEUljE0_EEESZ_S10_S11_S18_S1C_S1E_T6_T7_T9_mT8_S1G_bDpT10_ENKUlT_T0_E_clISt17integral_constantIbLb1EES1T_IbLb0EEEEDaS1P_S1Q_EUlS1P_E_NS1_11comp_targetILNS1_3genE10ELNS1_11target_archE1200ELNS1_3gpuE4ELNS1_3repE0EEENS1_30default_config_static_selectorELNS0_4arch9wavefront6targetE0EEEvS12_ ; -- Begin function _ZN7rocprim17ROCPRIM_400000_NS6detail17trampoline_kernelINS0_13select_configILj256ELj13ELNS0_17block_load_methodE3ELS4_3ELS4_3ELNS0_20block_scan_algorithmE0ELj4294967295EEENS1_25partition_config_selectorILNS1_17partition_subalgoE4EjNS0_10empty_typeEbEEZZNS1_14partition_implILS8_4ELb0ES6_15HIP_vector_typeIjLj2EENS0_17counting_iteratorIjlEEPS9_SG_NS0_5tupleIJPjSI_NS0_16reverse_iteratorISI_EEEEENSH_IJSG_SG_SG_EEES9_SI_JZNS1_25segmented_radix_sort_implINS0_14default_configELb1EPKiPiPKlPlN2at6native12_GLOBAL__N_18offset_tEEE10hipError_tPvRmT1_PNSt15iterator_traitsIS12_E10value_typeET2_T3_PNS13_IS18_E10value_typeET4_jRbjT5_S1E_jjP12ihipStream_tbEUljE_ZNSN_ISO_Lb1ESQ_SR_ST_SU_SY_EESZ_S10_S11_S12_S16_S17_S18_S1B_S1C_jS1D_jS1E_S1E_jjS1G_bEUljE0_EEESZ_S10_S11_S18_S1C_S1E_T6_T7_T9_mT8_S1G_bDpT10_ENKUlT_T0_E_clISt17integral_constantIbLb1EES1T_IbLb0EEEEDaS1P_S1Q_EUlS1P_E_NS1_11comp_targetILNS1_3genE10ELNS1_11target_archE1200ELNS1_3gpuE4ELNS1_3repE0EEENS1_30default_config_static_selectorELNS0_4arch9wavefront6targetE0EEEvS12_
	.p2align	8
	.type	_ZN7rocprim17ROCPRIM_400000_NS6detail17trampoline_kernelINS0_13select_configILj256ELj13ELNS0_17block_load_methodE3ELS4_3ELS4_3ELNS0_20block_scan_algorithmE0ELj4294967295EEENS1_25partition_config_selectorILNS1_17partition_subalgoE4EjNS0_10empty_typeEbEEZZNS1_14partition_implILS8_4ELb0ES6_15HIP_vector_typeIjLj2EENS0_17counting_iteratorIjlEEPS9_SG_NS0_5tupleIJPjSI_NS0_16reverse_iteratorISI_EEEEENSH_IJSG_SG_SG_EEES9_SI_JZNS1_25segmented_radix_sort_implINS0_14default_configELb1EPKiPiPKlPlN2at6native12_GLOBAL__N_18offset_tEEE10hipError_tPvRmT1_PNSt15iterator_traitsIS12_E10value_typeET2_T3_PNS13_IS18_E10value_typeET4_jRbjT5_S1E_jjP12ihipStream_tbEUljE_ZNSN_ISO_Lb1ESQ_SR_ST_SU_SY_EESZ_S10_S11_S12_S16_S17_S18_S1B_S1C_jS1D_jS1E_S1E_jjS1G_bEUljE0_EEESZ_S10_S11_S18_S1C_S1E_T6_T7_T9_mT8_S1G_bDpT10_ENKUlT_T0_E_clISt17integral_constantIbLb1EES1T_IbLb0EEEEDaS1P_S1Q_EUlS1P_E_NS1_11comp_targetILNS1_3genE10ELNS1_11target_archE1200ELNS1_3gpuE4ELNS1_3repE0EEENS1_30default_config_static_selectorELNS0_4arch9wavefront6targetE0EEEvS12_,@function
_ZN7rocprim17ROCPRIM_400000_NS6detail17trampoline_kernelINS0_13select_configILj256ELj13ELNS0_17block_load_methodE3ELS4_3ELS4_3ELNS0_20block_scan_algorithmE0ELj4294967295EEENS1_25partition_config_selectorILNS1_17partition_subalgoE4EjNS0_10empty_typeEbEEZZNS1_14partition_implILS8_4ELb0ES6_15HIP_vector_typeIjLj2EENS0_17counting_iteratorIjlEEPS9_SG_NS0_5tupleIJPjSI_NS0_16reverse_iteratorISI_EEEEENSH_IJSG_SG_SG_EEES9_SI_JZNS1_25segmented_radix_sort_implINS0_14default_configELb1EPKiPiPKlPlN2at6native12_GLOBAL__N_18offset_tEEE10hipError_tPvRmT1_PNSt15iterator_traitsIS12_E10value_typeET2_T3_PNS13_IS18_E10value_typeET4_jRbjT5_S1E_jjP12ihipStream_tbEUljE_ZNSN_ISO_Lb1ESQ_SR_ST_SU_SY_EESZ_S10_S11_S12_S16_S17_S18_S1B_S1C_jS1D_jS1E_S1E_jjS1G_bEUljE0_EEESZ_S10_S11_S18_S1C_S1E_T6_T7_T9_mT8_S1G_bDpT10_ENKUlT_T0_E_clISt17integral_constantIbLb1EES1T_IbLb0EEEEDaS1P_S1Q_EUlS1P_E_NS1_11comp_targetILNS1_3genE10ELNS1_11target_archE1200ELNS1_3gpuE4ELNS1_3repE0EEENS1_30default_config_static_selectorELNS0_4arch9wavefront6targetE0EEEvS12_: ; @_ZN7rocprim17ROCPRIM_400000_NS6detail17trampoline_kernelINS0_13select_configILj256ELj13ELNS0_17block_load_methodE3ELS4_3ELS4_3ELNS0_20block_scan_algorithmE0ELj4294967295EEENS1_25partition_config_selectorILNS1_17partition_subalgoE4EjNS0_10empty_typeEbEEZZNS1_14partition_implILS8_4ELb0ES6_15HIP_vector_typeIjLj2EENS0_17counting_iteratorIjlEEPS9_SG_NS0_5tupleIJPjSI_NS0_16reverse_iteratorISI_EEEEENSH_IJSG_SG_SG_EEES9_SI_JZNS1_25segmented_radix_sort_implINS0_14default_configELb1EPKiPiPKlPlN2at6native12_GLOBAL__N_18offset_tEEE10hipError_tPvRmT1_PNSt15iterator_traitsIS12_E10value_typeET2_T3_PNS13_IS18_E10value_typeET4_jRbjT5_S1E_jjP12ihipStream_tbEUljE_ZNSN_ISO_Lb1ESQ_SR_ST_SU_SY_EESZ_S10_S11_S12_S16_S17_S18_S1B_S1C_jS1D_jS1E_S1E_jjS1G_bEUljE0_EEESZ_S10_S11_S18_S1C_S1E_T6_T7_T9_mT8_S1G_bDpT10_ENKUlT_T0_E_clISt17integral_constantIbLb1EES1T_IbLb0EEEEDaS1P_S1Q_EUlS1P_E_NS1_11comp_targetILNS1_3genE10ELNS1_11target_archE1200ELNS1_3gpuE4ELNS1_3repE0EEENS1_30default_config_static_selectorELNS0_4arch9wavefront6targetE0EEEvS12_
; %bb.0:
	.section	.rodata,"a",@progbits
	.p2align	6, 0x0
	.amdhsa_kernel _ZN7rocprim17ROCPRIM_400000_NS6detail17trampoline_kernelINS0_13select_configILj256ELj13ELNS0_17block_load_methodE3ELS4_3ELS4_3ELNS0_20block_scan_algorithmE0ELj4294967295EEENS1_25partition_config_selectorILNS1_17partition_subalgoE4EjNS0_10empty_typeEbEEZZNS1_14partition_implILS8_4ELb0ES6_15HIP_vector_typeIjLj2EENS0_17counting_iteratorIjlEEPS9_SG_NS0_5tupleIJPjSI_NS0_16reverse_iteratorISI_EEEEENSH_IJSG_SG_SG_EEES9_SI_JZNS1_25segmented_radix_sort_implINS0_14default_configELb1EPKiPiPKlPlN2at6native12_GLOBAL__N_18offset_tEEE10hipError_tPvRmT1_PNSt15iterator_traitsIS12_E10value_typeET2_T3_PNS13_IS18_E10value_typeET4_jRbjT5_S1E_jjP12ihipStream_tbEUljE_ZNSN_ISO_Lb1ESQ_SR_ST_SU_SY_EESZ_S10_S11_S12_S16_S17_S18_S1B_S1C_jS1D_jS1E_S1E_jjS1G_bEUljE0_EEESZ_S10_S11_S18_S1C_S1E_T6_T7_T9_mT8_S1G_bDpT10_ENKUlT_T0_E_clISt17integral_constantIbLb1EES1T_IbLb0EEEEDaS1P_S1Q_EUlS1P_E_NS1_11comp_targetILNS1_3genE10ELNS1_11target_archE1200ELNS1_3gpuE4ELNS1_3repE0EEENS1_30default_config_static_selectorELNS0_4arch9wavefront6targetE0EEEvS12_
		.amdhsa_group_segment_fixed_size 0
		.amdhsa_private_segment_fixed_size 0
		.amdhsa_kernarg_size 176
		.amdhsa_user_sgpr_count 2
		.amdhsa_user_sgpr_dispatch_ptr 0
		.amdhsa_user_sgpr_queue_ptr 0
		.amdhsa_user_sgpr_kernarg_segment_ptr 1
		.amdhsa_user_sgpr_dispatch_id 0
		.amdhsa_user_sgpr_kernarg_preload_length 0
		.amdhsa_user_sgpr_kernarg_preload_offset 0
		.amdhsa_user_sgpr_private_segment_size 0
		.amdhsa_wavefront_size32 1
		.amdhsa_uses_dynamic_stack 0
		.amdhsa_enable_private_segment 0
		.amdhsa_system_sgpr_workgroup_id_x 1
		.amdhsa_system_sgpr_workgroup_id_y 0
		.amdhsa_system_sgpr_workgroup_id_z 0
		.amdhsa_system_sgpr_workgroup_info 0
		.amdhsa_system_vgpr_workitem_id 0
		.amdhsa_next_free_vgpr 1
		.amdhsa_next_free_sgpr 1
		.amdhsa_named_barrier_count 0
		.amdhsa_reserve_vcc 0
		.amdhsa_float_round_mode_32 0
		.amdhsa_float_round_mode_16_64 0
		.amdhsa_float_denorm_mode_32 3
		.amdhsa_float_denorm_mode_16_64 3
		.amdhsa_fp16_overflow 0
		.amdhsa_memory_ordered 1
		.amdhsa_forward_progress 1
		.amdhsa_inst_pref_size 0
		.amdhsa_round_robin_scheduling 0
		.amdhsa_exception_fp_ieee_invalid_op 0
		.amdhsa_exception_fp_denorm_src 0
		.amdhsa_exception_fp_ieee_div_zero 0
		.amdhsa_exception_fp_ieee_overflow 0
		.amdhsa_exception_fp_ieee_underflow 0
		.amdhsa_exception_fp_ieee_inexact 0
		.amdhsa_exception_int_div_zero 0
	.end_amdhsa_kernel
	.section	.text._ZN7rocprim17ROCPRIM_400000_NS6detail17trampoline_kernelINS0_13select_configILj256ELj13ELNS0_17block_load_methodE3ELS4_3ELS4_3ELNS0_20block_scan_algorithmE0ELj4294967295EEENS1_25partition_config_selectorILNS1_17partition_subalgoE4EjNS0_10empty_typeEbEEZZNS1_14partition_implILS8_4ELb0ES6_15HIP_vector_typeIjLj2EENS0_17counting_iteratorIjlEEPS9_SG_NS0_5tupleIJPjSI_NS0_16reverse_iteratorISI_EEEEENSH_IJSG_SG_SG_EEES9_SI_JZNS1_25segmented_radix_sort_implINS0_14default_configELb1EPKiPiPKlPlN2at6native12_GLOBAL__N_18offset_tEEE10hipError_tPvRmT1_PNSt15iterator_traitsIS12_E10value_typeET2_T3_PNS13_IS18_E10value_typeET4_jRbjT5_S1E_jjP12ihipStream_tbEUljE_ZNSN_ISO_Lb1ESQ_SR_ST_SU_SY_EESZ_S10_S11_S12_S16_S17_S18_S1B_S1C_jS1D_jS1E_S1E_jjS1G_bEUljE0_EEESZ_S10_S11_S18_S1C_S1E_T6_T7_T9_mT8_S1G_bDpT10_ENKUlT_T0_E_clISt17integral_constantIbLb1EES1T_IbLb0EEEEDaS1P_S1Q_EUlS1P_E_NS1_11comp_targetILNS1_3genE10ELNS1_11target_archE1200ELNS1_3gpuE4ELNS1_3repE0EEENS1_30default_config_static_selectorELNS0_4arch9wavefront6targetE0EEEvS12_,"axG",@progbits,_ZN7rocprim17ROCPRIM_400000_NS6detail17trampoline_kernelINS0_13select_configILj256ELj13ELNS0_17block_load_methodE3ELS4_3ELS4_3ELNS0_20block_scan_algorithmE0ELj4294967295EEENS1_25partition_config_selectorILNS1_17partition_subalgoE4EjNS0_10empty_typeEbEEZZNS1_14partition_implILS8_4ELb0ES6_15HIP_vector_typeIjLj2EENS0_17counting_iteratorIjlEEPS9_SG_NS0_5tupleIJPjSI_NS0_16reverse_iteratorISI_EEEEENSH_IJSG_SG_SG_EEES9_SI_JZNS1_25segmented_radix_sort_implINS0_14default_configELb1EPKiPiPKlPlN2at6native12_GLOBAL__N_18offset_tEEE10hipError_tPvRmT1_PNSt15iterator_traitsIS12_E10value_typeET2_T3_PNS13_IS18_E10value_typeET4_jRbjT5_S1E_jjP12ihipStream_tbEUljE_ZNSN_ISO_Lb1ESQ_SR_ST_SU_SY_EESZ_S10_S11_S12_S16_S17_S18_S1B_S1C_jS1D_jS1E_S1E_jjS1G_bEUljE0_EEESZ_S10_S11_S18_S1C_S1E_T6_T7_T9_mT8_S1G_bDpT10_ENKUlT_T0_E_clISt17integral_constantIbLb1EES1T_IbLb0EEEEDaS1P_S1Q_EUlS1P_E_NS1_11comp_targetILNS1_3genE10ELNS1_11target_archE1200ELNS1_3gpuE4ELNS1_3repE0EEENS1_30default_config_static_selectorELNS0_4arch9wavefront6targetE0EEEvS12_,comdat
.Lfunc_end450:
	.size	_ZN7rocprim17ROCPRIM_400000_NS6detail17trampoline_kernelINS0_13select_configILj256ELj13ELNS0_17block_load_methodE3ELS4_3ELS4_3ELNS0_20block_scan_algorithmE0ELj4294967295EEENS1_25partition_config_selectorILNS1_17partition_subalgoE4EjNS0_10empty_typeEbEEZZNS1_14partition_implILS8_4ELb0ES6_15HIP_vector_typeIjLj2EENS0_17counting_iteratorIjlEEPS9_SG_NS0_5tupleIJPjSI_NS0_16reverse_iteratorISI_EEEEENSH_IJSG_SG_SG_EEES9_SI_JZNS1_25segmented_radix_sort_implINS0_14default_configELb1EPKiPiPKlPlN2at6native12_GLOBAL__N_18offset_tEEE10hipError_tPvRmT1_PNSt15iterator_traitsIS12_E10value_typeET2_T3_PNS13_IS18_E10value_typeET4_jRbjT5_S1E_jjP12ihipStream_tbEUljE_ZNSN_ISO_Lb1ESQ_SR_ST_SU_SY_EESZ_S10_S11_S12_S16_S17_S18_S1B_S1C_jS1D_jS1E_S1E_jjS1G_bEUljE0_EEESZ_S10_S11_S18_S1C_S1E_T6_T7_T9_mT8_S1G_bDpT10_ENKUlT_T0_E_clISt17integral_constantIbLb1EES1T_IbLb0EEEEDaS1P_S1Q_EUlS1P_E_NS1_11comp_targetILNS1_3genE10ELNS1_11target_archE1200ELNS1_3gpuE4ELNS1_3repE0EEENS1_30default_config_static_selectorELNS0_4arch9wavefront6targetE0EEEvS12_, .Lfunc_end450-_ZN7rocprim17ROCPRIM_400000_NS6detail17trampoline_kernelINS0_13select_configILj256ELj13ELNS0_17block_load_methodE3ELS4_3ELS4_3ELNS0_20block_scan_algorithmE0ELj4294967295EEENS1_25partition_config_selectorILNS1_17partition_subalgoE4EjNS0_10empty_typeEbEEZZNS1_14partition_implILS8_4ELb0ES6_15HIP_vector_typeIjLj2EENS0_17counting_iteratorIjlEEPS9_SG_NS0_5tupleIJPjSI_NS0_16reverse_iteratorISI_EEEEENSH_IJSG_SG_SG_EEES9_SI_JZNS1_25segmented_radix_sort_implINS0_14default_configELb1EPKiPiPKlPlN2at6native12_GLOBAL__N_18offset_tEEE10hipError_tPvRmT1_PNSt15iterator_traitsIS12_E10value_typeET2_T3_PNS13_IS18_E10value_typeET4_jRbjT5_S1E_jjP12ihipStream_tbEUljE_ZNSN_ISO_Lb1ESQ_SR_ST_SU_SY_EESZ_S10_S11_S12_S16_S17_S18_S1B_S1C_jS1D_jS1E_S1E_jjS1G_bEUljE0_EEESZ_S10_S11_S18_S1C_S1E_T6_T7_T9_mT8_S1G_bDpT10_ENKUlT_T0_E_clISt17integral_constantIbLb1EES1T_IbLb0EEEEDaS1P_S1Q_EUlS1P_E_NS1_11comp_targetILNS1_3genE10ELNS1_11target_archE1200ELNS1_3gpuE4ELNS1_3repE0EEENS1_30default_config_static_selectorELNS0_4arch9wavefront6targetE0EEEvS12_
                                        ; -- End function
	.set _ZN7rocprim17ROCPRIM_400000_NS6detail17trampoline_kernelINS0_13select_configILj256ELj13ELNS0_17block_load_methodE3ELS4_3ELS4_3ELNS0_20block_scan_algorithmE0ELj4294967295EEENS1_25partition_config_selectorILNS1_17partition_subalgoE4EjNS0_10empty_typeEbEEZZNS1_14partition_implILS8_4ELb0ES6_15HIP_vector_typeIjLj2EENS0_17counting_iteratorIjlEEPS9_SG_NS0_5tupleIJPjSI_NS0_16reverse_iteratorISI_EEEEENSH_IJSG_SG_SG_EEES9_SI_JZNS1_25segmented_radix_sort_implINS0_14default_configELb1EPKiPiPKlPlN2at6native12_GLOBAL__N_18offset_tEEE10hipError_tPvRmT1_PNSt15iterator_traitsIS12_E10value_typeET2_T3_PNS13_IS18_E10value_typeET4_jRbjT5_S1E_jjP12ihipStream_tbEUljE_ZNSN_ISO_Lb1ESQ_SR_ST_SU_SY_EESZ_S10_S11_S12_S16_S17_S18_S1B_S1C_jS1D_jS1E_S1E_jjS1G_bEUljE0_EEESZ_S10_S11_S18_S1C_S1E_T6_T7_T9_mT8_S1G_bDpT10_ENKUlT_T0_E_clISt17integral_constantIbLb1EES1T_IbLb0EEEEDaS1P_S1Q_EUlS1P_E_NS1_11comp_targetILNS1_3genE10ELNS1_11target_archE1200ELNS1_3gpuE4ELNS1_3repE0EEENS1_30default_config_static_selectorELNS0_4arch9wavefront6targetE0EEEvS12_.num_vgpr, 0
	.set _ZN7rocprim17ROCPRIM_400000_NS6detail17trampoline_kernelINS0_13select_configILj256ELj13ELNS0_17block_load_methodE3ELS4_3ELS4_3ELNS0_20block_scan_algorithmE0ELj4294967295EEENS1_25partition_config_selectorILNS1_17partition_subalgoE4EjNS0_10empty_typeEbEEZZNS1_14partition_implILS8_4ELb0ES6_15HIP_vector_typeIjLj2EENS0_17counting_iteratorIjlEEPS9_SG_NS0_5tupleIJPjSI_NS0_16reverse_iteratorISI_EEEEENSH_IJSG_SG_SG_EEES9_SI_JZNS1_25segmented_radix_sort_implINS0_14default_configELb1EPKiPiPKlPlN2at6native12_GLOBAL__N_18offset_tEEE10hipError_tPvRmT1_PNSt15iterator_traitsIS12_E10value_typeET2_T3_PNS13_IS18_E10value_typeET4_jRbjT5_S1E_jjP12ihipStream_tbEUljE_ZNSN_ISO_Lb1ESQ_SR_ST_SU_SY_EESZ_S10_S11_S12_S16_S17_S18_S1B_S1C_jS1D_jS1E_S1E_jjS1G_bEUljE0_EEESZ_S10_S11_S18_S1C_S1E_T6_T7_T9_mT8_S1G_bDpT10_ENKUlT_T0_E_clISt17integral_constantIbLb1EES1T_IbLb0EEEEDaS1P_S1Q_EUlS1P_E_NS1_11comp_targetILNS1_3genE10ELNS1_11target_archE1200ELNS1_3gpuE4ELNS1_3repE0EEENS1_30default_config_static_selectorELNS0_4arch9wavefront6targetE0EEEvS12_.num_agpr, 0
	.set _ZN7rocprim17ROCPRIM_400000_NS6detail17trampoline_kernelINS0_13select_configILj256ELj13ELNS0_17block_load_methodE3ELS4_3ELS4_3ELNS0_20block_scan_algorithmE0ELj4294967295EEENS1_25partition_config_selectorILNS1_17partition_subalgoE4EjNS0_10empty_typeEbEEZZNS1_14partition_implILS8_4ELb0ES6_15HIP_vector_typeIjLj2EENS0_17counting_iteratorIjlEEPS9_SG_NS0_5tupleIJPjSI_NS0_16reverse_iteratorISI_EEEEENSH_IJSG_SG_SG_EEES9_SI_JZNS1_25segmented_radix_sort_implINS0_14default_configELb1EPKiPiPKlPlN2at6native12_GLOBAL__N_18offset_tEEE10hipError_tPvRmT1_PNSt15iterator_traitsIS12_E10value_typeET2_T3_PNS13_IS18_E10value_typeET4_jRbjT5_S1E_jjP12ihipStream_tbEUljE_ZNSN_ISO_Lb1ESQ_SR_ST_SU_SY_EESZ_S10_S11_S12_S16_S17_S18_S1B_S1C_jS1D_jS1E_S1E_jjS1G_bEUljE0_EEESZ_S10_S11_S18_S1C_S1E_T6_T7_T9_mT8_S1G_bDpT10_ENKUlT_T0_E_clISt17integral_constantIbLb1EES1T_IbLb0EEEEDaS1P_S1Q_EUlS1P_E_NS1_11comp_targetILNS1_3genE10ELNS1_11target_archE1200ELNS1_3gpuE4ELNS1_3repE0EEENS1_30default_config_static_selectorELNS0_4arch9wavefront6targetE0EEEvS12_.numbered_sgpr, 0
	.set _ZN7rocprim17ROCPRIM_400000_NS6detail17trampoline_kernelINS0_13select_configILj256ELj13ELNS0_17block_load_methodE3ELS4_3ELS4_3ELNS0_20block_scan_algorithmE0ELj4294967295EEENS1_25partition_config_selectorILNS1_17partition_subalgoE4EjNS0_10empty_typeEbEEZZNS1_14partition_implILS8_4ELb0ES6_15HIP_vector_typeIjLj2EENS0_17counting_iteratorIjlEEPS9_SG_NS0_5tupleIJPjSI_NS0_16reverse_iteratorISI_EEEEENSH_IJSG_SG_SG_EEES9_SI_JZNS1_25segmented_radix_sort_implINS0_14default_configELb1EPKiPiPKlPlN2at6native12_GLOBAL__N_18offset_tEEE10hipError_tPvRmT1_PNSt15iterator_traitsIS12_E10value_typeET2_T3_PNS13_IS18_E10value_typeET4_jRbjT5_S1E_jjP12ihipStream_tbEUljE_ZNSN_ISO_Lb1ESQ_SR_ST_SU_SY_EESZ_S10_S11_S12_S16_S17_S18_S1B_S1C_jS1D_jS1E_S1E_jjS1G_bEUljE0_EEESZ_S10_S11_S18_S1C_S1E_T6_T7_T9_mT8_S1G_bDpT10_ENKUlT_T0_E_clISt17integral_constantIbLb1EES1T_IbLb0EEEEDaS1P_S1Q_EUlS1P_E_NS1_11comp_targetILNS1_3genE10ELNS1_11target_archE1200ELNS1_3gpuE4ELNS1_3repE0EEENS1_30default_config_static_selectorELNS0_4arch9wavefront6targetE0EEEvS12_.num_named_barrier, 0
	.set _ZN7rocprim17ROCPRIM_400000_NS6detail17trampoline_kernelINS0_13select_configILj256ELj13ELNS0_17block_load_methodE3ELS4_3ELS4_3ELNS0_20block_scan_algorithmE0ELj4294967295EEENS1_25partition_config_selectorILNS1_17partition_subalgoE4EjNS0_10empty_typeEbEEZZNS1_14partition_implILS8_4ELb0ES6_15HIP_vector_typeIjLj2EENS0_17counting_iteratorIjlEEPS9_SG_NS0_5tupleIJPjSI_NS0_16reverse_iteratorISI_EEEEENSH_IJSG_SG_SG_EEES9_SI_JZNS1_25segmented_radix_sort_implINS0_14default_configELb1EPKiPiPKlPlN2at6native12_GLOBAL__N_18offset_tEEE10hipError_tPvRmT1_PNSt15iterator_traitsIS12_E10value_typeET2_T3_PNS13_IS18_E10value_typeET4_jRbjT5_S1E_jjP12ihipStream_tbEUljE_ZNSN_ISO_Lb1ESQ_SR_ST_SU_SY_EESZ_S10_S11_S12_S16_S17_S18_S1B_S1C_jS1D_jS1E_S1E_jjS1G_bEUljE0_EEESZ_S10_S11_S18_S1C_S1E_T6_T7_T9_mT8_S1G_bDpT10_ENKUlT_T0_E_clISt17integral_constantIbLb1EES1T_IbLb0EEEEDaS1P_S1Q_EUlS1P_E_NS1_11comp_targetILNS1_3genE10ELNS1_11target_archE1200ELNS1_3gpuE4ELNS1_3repE0EEENS1_30default_config_static_selectorELNS0_4arch9wavefront6targetE0EEEvS12_.private_seg_size, 0
	.set _ZN7rocprim17ROCPRIM_400000_NS6detail17trampoline_kernelINS0_13select_configILj256ELj13ELNS0_17block_load_methodE3ELS4_3ELS4_3ELNS0_20block_scan_algorithmE0ELj4294967295EEENS1_25partition_config_selectorILNS1_17partition_subalgoE4EjNS0_10empty_typeEbEEZZNS1_14partition_implILS8_4ELb0ES6_15HIP_vector_typeIjLj2EENS0_17counting_iteratorIjlEEPS9_SG_NS0_5tupleIJPjSI_NS0_16reverse_iteratorISI_EEEEENSH_IJSG_SG_SG_EEES9_SI_JZNS1_25segmented_radix_sort_implINS0_14default_configELb1EPKiPiPKlPlN2at6native12_GLOBAL__N_18offset_tEEE10hipError_tPvRmT1_PNSt15iterator_traitsIS12_E10value_typeET2_T3_PNS13_IS18_E10value_typeET4_jRbjT5_S1E_jjP12ihipStream_tbEUljE_ZNSN_ISO_Lb1ESQ_SR_ST_SU_SY_EESZ_S10_S11_S12_S16_S17_S18_S1B_S1C_jS1D_jS1E_S1E_jjS1G_bEUljE0_EEESZ_S10_S11_S18_S1C_S1E_T6_T7_T9_mT8_S1G_bDpT10_ENKUlT_T0_E_clISt17integral_constantIbLb1EES1T_IbLb0EEEEDaS1P_S1Q_EUlS1P_E_NS1_11comp_targetILNS1_3genE10ELNS1_11target_archE1200ELNS1_3gpuE4ELNS1_3repE0EEENS1_30default_config_static_selectorELNS0_4arch9wavefront6targetE0EEEvS12_.uses_vcc, 0
	.set _ZN7rocprim17ROCPRIM_400000_NS6detail17trampoline_kernelINS0_13select_configILj256ELj13ELNS0_17block_load_methodE3ELS4_3ELS4_3ELNS0_20block_scan_algorithmE0ELj4294967295EEENS1_25partition_config_selectorILNS1_17partition_subalgoE4EjNS0_10empty_typeEbEEZZNS1_14partition_implILS8_4ELb0ES6_15HIP_vector_typeIjLj2EENS0_17counting_iteratorIjlEEPS9_SG_NS0_5tupleIJPjSI_NS0_16reverse_iteratorISI_EEEEENSH_IJSG_SG_SG_EEES9_SI_JZNS1_25segmented_radix_sort_implINS0_14default_configELb1EPKiPiPKlPlN2at6native12_GLOBAL__N_18offset_tEEE10hipError_tPvRmT1_PNSt15iterator_traitsIS12_E10value_typeET2_T3_PNS13_IS18_E10value_typeET4_jRbjT5_S1E_jjP12ihipStream_tbEUljE_ZNSN_ISO_Lb1ESQ_SR_ST_SU_SY_EESZ_S10_S11_S12_S16_S17_S18_S1B_S1C_jS1D_jS1E_S1E_jjS1G_bEUljE0_EEESZ_S10_S11_S18_S1C_S1E_T6_T7_T9_mT8_S1G_bDpT10_ENKUlT_T0_E_clISt17integral_constantIbLb1EES1T_IbLb0EEEEDaS1P_S1Q_EUlS1P_E_NS1_11comp_targetILNS1_3genE10ELNS1_11target_archE1200ELNS1_3gpuE4ELNS1_3repE0EEENS1_30default_config_static_selectorELNS0_4arch9wavefront6targetE0EEEvS12_.uses_flat_scratch, 0
	.set _ZN7rocprim17ROCPRIM_400000_NS6detail17trampoline_kernelINS0_13select_configILj256ELj13ELNS0_17block_load_methodE3ELS4_3ELS4_3ELNS0_20block_scan_algorithmE0ELj4294967295EEENS1_25partition_config_selectorILNS1_17partition_subalgoE4EjNS0_10empty_typeEbEEZZNS1_14partition_implILS8_4ELb0ES6_15HIP_vector_typeIjLj2EENS0_17counting_iteratorIjlEEPS9_SG_NS0_5tupleIJPjSI_NS0_16reverse_iteratorISI_EEEEENSH_IJSG_SG_SG_EEES9_SI_JZNS1_25segmented_radix_sort_implINS0_14default_configELb1EPKiPiPKlPlN2at6native12_GLOBAL__N_18offset_tEEE10hipError_tPvRmT1_PNSt15iterator_traitsIS12_E10value_typeET2_T3_PNS13_IS18_E10value_typeET4_jRbjT5_S1E_jjP12ihipStream_tbEUljE_ZNSN_ISO_Lb1ESQ_SR_ST_SU_SY_EESZ_S10_S11_S12_S16_S17_S18_S1B_S1C_jS1D_jS1E_S1E_jjS1G_bEUljE0_EEESZ_S10_S11_S18_S1C_S1E_T6_T7_T9_mT8_S1G_bDpT10_ENKUlT_T0_E_clISt17integral_constantIbLb1EES1T_IbLb0EEEEDaS1P_S1Q_EUlS1P_E_NS1_11comp_targetILNS1_3genE10ELNS1_11target_archE1200ELNS1_3gpuE4ELNS1_3repE0EEENS1_30default_config_static_selectorELNS0_4arch9wavefront6targetE0EEEvS12_.has_dyn_sized_stack, 0
	.set _ZN7rocprim17ROCPRIM_400000_NS6detail17trampoline_kernelINS0_13select_configILj256ELj13ELNS0_17block_load_methodE3ELS4_3ELS4_3ELNS0_20block_scan_algorithmE0ELj4294967295EEENS1_25partition_config_selectorILNS1_17partition_subalgoE4EjNS0_10empty_typeEbEEZZNS1_14partition_implILS8_4ELb0ES6_15HIP_vector_typeIjLj2EENS0_17counting_iteratorIjlEEPS9_SG_NS0_5tupleIJPjSI_NS0_16reverse_iteratorISI_EEEEENSH_IJSG_SG_SG_EEES9_SI_JZNS1_25segmented_radix_sort_implINS0_14default_configELb1EPKiPiPKlPlN2at6native12_GLOBAL__N_18offset_tEEE10hipError_tPvRmT1_PNSt15iterator_traitsIS12_E10value_typeET2_T3_PNS13_IS18_E10value_typeET4_jRbjT5_S1E_jjP12ihipStream_tbEUljE_ZNSN_ISO_Lb1ESQ_SR_ST_SU_SY_EESZ_S10_S11_S12_S16_S17_S18_S1B_S1C_jS1D_jS1E_S1E_jjS1G_bEUljE0_EEESZ_S10_S11_S18_S1C_S1E_T6_T7_T9_mT8_S1G_bDpT10_ENKUlT_T0_E_clISt17integral_constantIbLb1EES1T_IbLb0EEEEDaS1P_S1Q_EUlS1P_E_NS1_11comp_targetILNS1_3genE10ELNS1_11target_archE1200ELNS1_3gpuE4ELNS1_3repE0EEENS1_30default_config_static_selectorELNS0_4arch9wavefront6targetE0EEEvS12_.has_recursion, 0
	.set _ZN7rocprim17ROCPRIM_400000_NS6detail17trampoline_kernelINS0_13select_configILj256ELj13ELNS0_17block_load_methodE3ELS4_3ELS4_3ELNS0_20block_scan_algorithmE0ELj4294967295EEENS1_25partition_config_selectorILNS1_17partition_subalgoE4EjNS0_10empty_typeEbEEZZNS1_14partition_implILS8_4ELb0ES6_15HIP_vector_typeIjLj2EENS0_17counting_iteratorIjlEEPS9_SG_NS0_5tupleIJPjSI_NS0_16reverse_iteratorISI_EEEEENSH_IJSG_SG_SG_EEES9_SI_JZNS1_25segmented_radix_sort_implINS0_14default_configELb1EPKiPiPKlPlN2at6native12_GLOBAL__N_18offset_tEEE10hipError_tPvRmT1_PNSt15iterator_traitsIS12_E10value_typeET2_T3_PNS13_IS18_E10value_typeET4_jRbjT5_S1E_jjP12ihipStream_tbEUljE_ZNSN_ISO_Lb1ESQ_SR_ST_SU_SY_EESZ_S10_S11_S12_S16_S17_S18_S1B_S1C_jS1D_jS1E_S1E_jjS1G_bEUljE0_EEESZ_S10_S11_S18_S1C_S1E_T6_T7_T9_mT8_S1G_bDpT10_ENKUlT_T0_E_clISt17integral_constantIbLb1EES1T_IbLb0EEEEDaS1P_S1Q_EUlS1P_E_NS1_11comp_targetILNS1_3genE10ELNS1_11target_archE1200ELNS1_3gpuE4ELNS1_3repE0EEENS1_30default_config_static_selectorELNS0_4arch9wavefront6targetE0EEEvS12_.has_indirect_call, 0
	.section	.AMDGPU.csdata,"",@progbits
; Kernel info:
; codeLenInByte = 0
; TotalNumSgprs: 0
; NumVgprs: 0
; ScratchSize: 0
; MemoryBound: 0
; FloatMode: 240
; IeeeMode: 1
; LDSByteSize: 0 bytes/workgroup (compile time only)
; SGPRBlocks: 0
; VGPRBlocks: 0
; NumSGPRsForWavesPerEU: 1
; NumVGPRsForWavesPerEU: 1
; NamedBarCnt: 0
; Occupancy: 16
; WaveLimiterHint : 0
; COMPUTE_PGM_RSRC2:SCRATCH_EN: 0
; COMPUTE_PGM_RSRC2:USER_SGPR: 2
; COMPUTE_PGM_RSRC2:TRAP_HANDLER: 0
; COMPUTE_PGM_RSRC2:TGID_X_EN: 1
; COMPUTE_PGM_RSRC2:TGID_Y_EN: 0
; COMPUTE_PGM_RSRC2:TGID_Z_EN: 0
; COMPUTE_PGM_RSRC2:TIDIG_COMP_CNT: 0
	.section	.text._ZN7rocprim17ROCPRIM_400000_NS6detail17trampoline_kernelINS0_13select_configILj256ELj13ELNS0_17block_load_methodE3ELS4_3ELS4_3ELNS0_20block_scan_algorithmE0ELj4294967295EEENS1_25partition_config_selectorILNS1_17partition_subalgoE4EjNS0_10empty_typeEbEEZZNS1_14partition_implILS8_4ELb0ES6_15HIP_vector_typeIjLj2EENS0_17counting_iteratorIjlEEPS9_SG_NS0_5tupleIJPjSI_NS0_16reverse_iteratorISI_EEEEENSH_IJSG_SG_SG_EEES9_SI_JZNS1_25segmented_radix_sort_implINS0_14default_configELb1EPKiPiPKlPlN2at6native12_GLOBAL__N_18offset_tEEE10hipError_tPvRmT1_PNSt15iterator_traitsIS12_E10value_typeET2_T3_PNS13_IS18_E10value_typeET4_jRbjT5_S1E_jjP12ihipStream_tbEUljE_ZNSN_ISO_Lb1ESQ_SR_ST_SU_SY_EESZ_S10_S11_S12_S16_S17_S18_S1B_S1C_jS1D_jS1E_S1E_jjS1G_bEUljE0_EEESZ_S10_S11_S18_S1C_S1E_T6_T7_T9_mT8_S1G_bDpT10_ENKUlT_T0_E_clISt17integral_constantIbLb1EES1T_IbLb0EEEEDaS1P_S1Q_EUlS1P_E_NS1_11comp_targetILNS1_3genE9ELNS1_11target_archE1100ELNS1_3gpuE3ELNS1_3repE0EEENS1_30default_config_static_selectorELNS0_4arch9wavefront6targetE0EEEvS12_,"axG",@progbits,_ZN7rocprim17ROCPRIM_400000_NS6detail17trampoline_kernelINS0_13select_configILj256ELj13ELNS0_17block_load_methodE3ELS4_3ELS4_3ELNS0_20block_scan_algorithmE0ELj4294967295EEENS1_25partition_config_selectorILNS1_17partition_subalgoE4EjNS0_10empty_typeEbEEZZNS1_14partition_implILS8_4ELb0ES6_15HIP_vector_typeIjLj2EENS0_17counting_iteratorIjlEEPS9_SG_NS0_5tupleIJPjSI_NS0_16reverse_iteratorISI_EEEEENSH_IJSG_SG_SG_EEES9_SI_JZNS1_25segmented_radix_sort_implINS0_14default_configELb1EPKiPiPKlPlN2at6native12_GLOBAL__N_18offset_tEEE10hipError_tPvRmT1_PNSt15iterator_traitsIS12_E10value_typeET2_T3_PNS13_IS18_E10value_typeET4_jRbjT5_S1E_jjP12ihipStream_tbEUljE_ZNSN_ISO_Lb1ESQ_SR_ST_SU_SY_EESZ_S10_S11_S12_S16_S17_S18_S1B_S1C_jS1D_jS1E_S1E_jjS1G_bEUljE0_EEESZ_S10_S11_S18_S1C_S1E_T6_T7_T9_mT8_S1G_bDpT10_ENKUlT_T0_E_clISt17integral_constantIbLb1EES1T_IbLb0EEEEDaS1P_S1Q_EUlS1P_E_NS1_11comp_targetILNS1_3genE9ELNS1_11target_archE1100ELNS1_3gpuE3ELNS1_3repE0EEENS1_30default_config_static_selectorELNS0_4arch9wavefront6targetE0EEEvS12_,comdat
	.globl	_ZN7rocprim17ROCPRIM_400000_NS6detail17trampoline_kernelINS0_13select_configILj256ELj13ELNS0_17block_load_methodE3ELS4_3ELS4_3ELNS0_20block_scan_algorithmE0ELj4294967295EEENS1_25partition_config_selectorILNS1_17partition_subalgoE4EjNS0_10empty_typeEbEEZZNS1_14partition_implILS8_4ELb0ES6_15HIP_vector_typeIjLj2EENS0_17counting_iteratorIjlEEPS9_SG_NS0_5tupleIJPjSI_NS0_16reverse_iteratorISI_EEEEENSH_IJSG_SG_SG_EEES9_SI_JZNS1_25segmented_radix_sort_implINS0_14default_configELb1EPKiPiPKlPlN2at6native12_GLOBAL__N_18offset_tEEE10hipError_tPvRmT1_PNSt15iterator_traitsIS12_E10value_typeET2_T3_PNS13_IS18_E10value_typeET4_jRbjT5_S1E_jjP12ihipStream_tbEUljE_ZNSN_ISO_Lb1ESQ_SR_ST_SU_SY_EESZ_S10_S11_S12_S16_S17_S18_S1B_S1C_jS1D_jS1E_S1E_jjS1G_bEUljE0_EEESZ_S10_S11_S18_S1C_S1E_T6_T7_T9_mT8_S1G_bDpT10_ENKUlT_T0_E_clISt17integral_constantIbLb1EES1T_IbLb0EEEEDaS1P_S1Q_EUlS1P_E_NS1_11comp_targetILNS1_3genE9ELNS1_11target_archE1100ELNS1_3gpuE3ELNS1_3repE0EEENS1_30default_config_static_selectorELNS0_4arch9wavefront6targetE0EEEvS12_ ; -- Begin function _ZN7rocprim17ROCPRIM_400000_NS6detail17trampoline_kernelINS0_13select_configILj256ELj13ELNS0_17block_load_methodE3ELS4_3ELS4_3ELNS0_20block_scan_algorithmE0ELj4294967295EEENS1_25partition_config_selectorILNS1_17partition_subalgoE4EjNS0_10empty_typeEbEEZZNS1_14partition_implILS8_4ELb0ES6_15HIP_vector_typeIjLj2EENS0_17counting_iteratorIjlEEPS9_SG_NS0_5tupleIJPjSI_NS0_16reverse_iteratorISI_EEEEENSH_IJSG_SG_SG_EEES9_SI_JZNS1_25segmented_radix_sort_implINS0_14default_configELb1EPKiPiPKlPlN2at6native12_GLOBAL__N_18offset_tEEE10hipError_tPvRmT1_PNSt15iterator_traitsIS12_E10value_typeET2_T3_PNS13_IS18_E10value_typeET4_jRbjT5_S1E_jjP12ihipStream_tbEUljE_ZNSN_ISO_Lb1ESQ_SR_ST_SU_SY_EESZ_S10_S11_S12_S16_S17_S18_S1B_S1C_jS1D_jS1E_S1E_jjS1G_bEUljE0_EEESZ_S10_S11_S18_S1C_S1E_T6_T7_T9_mT8_S1G_bDpT10_ENKUlT_T0_E_clISt17integral_constantIbLb1EES1T_IbLb0EEEEDaS1P_S1Q_EUlS1P_E_NS1_11comp_targetILNS1_3genE9ELNS1_11target_archE1100ELNS1_3gpuE3ELNS1_3repE0EEENS1_30default_config_static_selectorELNS0_4arch9wavefront6targetE0EEEvS12_
	.p2align	8
	.type	_ZN7rocprim17ROCPRIM_400000_NS6detail17trampoline_kernelINS0_13select_configILj256ELj13ELNS0_17block_load_methodE3ELS4_3ELS4_3ELNS0_20block_scan_algorithmE0ELj4294967295EEENS1_25partition_config_selectorILNS1_17partition_subalgoE4EjNS0_10empty_typeEbEEZZNS1_14partition_implILS8_4ELb0ES6_15HIP_vector_typeIjLj2EENS0_17counting_iteratorIjlEEPS9_SG_NS0_5tupleIJPjSI_NS0_16reverse_iteratorISI_EEEEENSH_IJSG_SG_SG_EEES9_SI_JZNS1_25segmented_radix_sort_implINS0_14default_configELb1EPKiPiPKlPlN2at6native12_GLOBAL__N_18offset_tEEE10hipError_tPvRmT1_PNSt15iterator_traitsIS12_E10value_typeET2_T3_PNS13_IS18_E10value_typeET4_jRbjT5_S1E_jjP12ihipStream_tbEUljE_ZNSN_ISO_Lb1ESQ_SR_ST_SU_SY_EESZ_S10_S11_S12_S16_S17_S18_S1B_S1C_jS1D_jS1E_S1E_jjS1G_bEUljE0_EEESZ_S10_S11_S18_S1C_S1E_T6_T7_T9_mT8_S1G_bDpT10_ENKUlT_T0_E_clISt17integral_constantIbLb1EES1T_IbLb0EEEEDaS1P_S1Q_EUlS1P_E_NS1_11comp_targetILNS1_3genE9ELNS1_11target_archE1100ELNS1_3gpuE3ELNS1_3repE0EEENS1_30default_config_static_selectorELNS0_4arch9wavefront6targetE0EEEvS12_,@function
_ZN7rocprim17ROCPRIM_400000_NS6detail17trampoline_kernelINS0_13select_configILj256ELj13ELNS0_17block_load_methodE3ELS4_3ELS4_3ELNS0_20block_scan_algorithmE0ELj4294967295EEENS1_25partition_config_selectorILNS1_17partition_subalgoE4EjNS0_10empty_typeEbEEZZNS1_14partition_implILS8_4ELb0ES6_15HIP_vector_typeIjLj2EENS0_17counting_iteratorIjlEEPS9_SG_NS0_5tupleIJPjSI_NS0_16reverse_iteratorISI_EEEEENSH_IJSG_SG_SG_EEES9_SI_JZNS1_25segmented_radix_sort_implINS0_14default_configELb1EPKiPiPKlPlN2at6native12_GLOBAL__N_18offset_tEEE10hipError_tPvRmT1_PNSt15iterator_traitsIS12_E10value_typeET2_T3_PNS13_IS18_E10value_typeET4_jRbjT5_S1E_jjP12ihipStream_tbEUljE_ZNSN_ISO_Lb1ESQ_SR_ST_SU_SY_EESZ_S10_S11_S12_S16_S17_S18_S1B_S1C_jS1D_jS1E_S1E_jjS1G_bEUljE0_EEESZ_S10_S11_S18_S1C_S1E_T6_T7_T9_mT8_S1G_bDpT10_ENKUlT_T0_E_clISt17integral_constantIbLb1EES1T_IbLb0EEEEDaS1P_S1Q_EUlS1P_E_NS1_11comp_targetILNS1_3genE9ELNS1_11target_archE1100ELNS1_3gpuE3ELNS1_3repE0EEENS1_30default_config_static_selectorELNS0_4arch9wavefront6targetE0EEEvS12_: ; @_ZN7rocprim17ROCPRIM_400000_NS6detail17trampoline_kernelINS0_13select_configILj256ELj13ELNS0_17block_load_methodE3ELS4_3ELS4_3ELNS0_20block_scan_algorithmE0ELj4294967295EEENS1_25partition_config_selectorILNS1_17partition_subalgoE4EjNS0_10empty_typeEbEEZZNS1_14partition_implILS8_4ELb0ES6_15HIP_vector_typeIjLj2EENS0_17counting_iteratorIjlEEPS9_SG_NS0_5tupleIJPjSI_NS0_16reverse_iteratorISI_EEEEENSH_IJSG_SG_SG_EEES9_SI_JZNS1_25segmented_radix_sort_implINS0_14default_configELb1EPKiPiPKlPlN2at6native12_GLOBAL__N_18offset_tEEE10hipError_tPvRmT1_PNSt15iterator_traitsIS12_E10value_typeET2_T3_PNS13_IS18_E10value_typeET4_jRbjT5_S1E_jjP12ihipStream_tbEUljE_ZNSN_ISO_Lb1ESQ_SR_ST_SU_SY_EESZ_S10_S11_S12_S16_S17_S18_S1B_S1C_jS1D_jS1E_S1E_jjS1G_bEUljE0_EEESZ_S10_S11_S18_S1C_S1E_T6_T7_T9_mT8_S1G_bDpT10_ENKUlT_T0_E_clISt17integral_constantIbLb1EES1T_IbLb0EEEEDaS1P_S1Q_EUlS1P_E_NS1_11comp_targetILNS1_3genE9ELNS1_11target_archE1100ELNS1_3gpuE3ELNS1_3repE0EEENS1_30default_config_static_selectorELNS0_4arch9wavefront6targetE0EEEvS12_
; %bb.0:
	.section	.rodata,"a",@progbits
	.p2align	6, 0x0
	.amdhsa_kernel _ZN7rocprim17ROCPRIM_400000_NS6detail17trampoline_kernelINS0_13select_configILj256ELj13ELNS0_17block_load_methodE3ELS4_3ELS4_3ELNS0_20block_scan_algorithmE0ELj4294967295EEENS1_25partition_config_selectorILNS1_17partition_subalgoE4EjNS0_10empty_typeEbEEZZNS1_14partition_implILS8_4ELb0ES6_15HIP_vector_typeIjLj2EENS0_17counting_iteratorIjlEEPS9_SG_NS0_5tupleIJPjSI_NS0_16reverse_iteratorISI_EEEEENSH_IJSG_SG_SG_EEES9_SI_JZNS1_25segmented_radix_sort_implINS0_14default_configELb1EPKiPiPKlPlN2at6native12_GLOBAL__N_18offset_tEEE10hipError_tPvRmT1_PNSt15iterator_traitsIS12_E10value_typeET2_T3_PNS13_IS18_E10value_typeET4_jRbjT5_S1E_jjP12ihipStream_tbEUljE_ZNSN_ISO_Lb1ESQ_SR_ST_SU_SY_EESZ_S10_S11_S12_S16_S17_S18_S1B_S1C_jS1D_jS1E_S1E_jjS1G_bEUljE0_EEESZ_S10_S11_S18_S1C_S1E_T6_T7_T9_mT8_S1G_bDpT10_ENKUlT_T0_E_clISt17integral_constantIbLb1EES1T_IbLb0EEEEDaS1P_S1Q_EUlS1P_E_NS1_11comp_targetILNS1_3genE9ELNS1_11target_archE1100ELNS1_3gpuE3ELNS1_3repE0EEENS1_30default_config_static_selectorELNS0_4arch9wavefront6targetE0EEEvS12_
		.amdhsa_group_segment_fixed_size 0
		.amdhsa_private_segment_fixed_size 0
		.amdhsa_kernarg_size 176
		.amdhsa_user_sgpr_count 2
		.amdhsa_user_sgpr_dispatch_ptr 0
		.amdhsa_user_sgpr_queue_ptr 0
		.amdhsa_user_sgpr_kernarg_segment_ptr 1
		.amdhsa_user_sgpr_dispatch_id 0
		.amdhsa_user_sgpr_kernarg_preload_length 0
		.amdhsa_user_sgpr_kernarg_preload_offset 0
		.amdhsa_user_sgpr_private_segment_size 0
		.amdhsa_wavefront_size32 1
		.amdhsa_uses_dynamic_stack 0
		.amdhsa_enable_private_segment 0
		.amdhsa_system_sgpr_workgroup_id_x 1
		.amdhsa_system_sgpr_workgroup_id_y 0
		.amdhsa_system_sgpr_workgroup_id_z 0
		.amdhsa_system_sgpr_workgroup_info 0
		.amdhsa_system_vgpr_workitem_id 0
		.amdhsa_next_free_vgpr 1
		.amdhsa_next_free_sgpr 1
		.amdhsa_named_barrier_count 0
		.amdhsa_reserve_vcc 0
		.amdhsa_float_round_mode_32 0
		.amdhsa_float_round_mode_16_64 0
		.amdhsa_float_denorm_mode_32 3
		.amdhsa_float_denorm_mode_16_64 3
		.amdhsa_fp16_overflow 0
		.amdhsa_memory_ordered 1
		.amdhsa_forward_progress 1
		.amdhsa_inst_pref_size 0
		.amdhsa_round_robin_scheduling 0
		.amdhsa_exception_fp_ieee_invalid_op 0
		.amdhsa_exception_fp_denorm_src 0
		.amdhsa_exception_fp_ieee_div_zero 0
		.amdhsa_exception_fp_ieee_overflow 0
		.amdhsa_exception_fp_ieee_underflow 0
		.amdhsa_exception_fp_ieee_inexact 0
		.amdhsa_exception_int_div_zero 0
	.end_amdhsa_kernel
	.section	.text._ZN7rocprim17ROCPRIM_400000_NS6detail17trampoline_kernelINS0_13select_configILj256ELj13ELNS0_17block_load_methodE3ELS4_3ELS4_3ELNS0_20block_scan_algorithmE0ELj4294967295EEENS1_25partition_config_selectorILNS1_17partition_subalgoE4EjNS0_10empty_typeEbEEZZNS1_14partition_implILS8_4ELb0ES6_15HIP_vector_typeIjLj2EENS0_17counting_iteratorIjlEEPS9_SG_NS0_5tupleIJPjSI_NS0_16reverse_iteratorISI_EEEEENSH_IJSG_SG_SG_EEES9_SI_JZNS1_25segmented_radix_sort_implINS0_14default_configELb1EPKiPiPKlPlN2at6native12_GLOBAL__N_18offset_tEEE10hipError_tPvRmT1_PNSt15iterator_traitsIS12_E10value_typeET2_T3_PNS13_IS18_E10value_typeET4_jRbjT5_S1E_jjP12ihipStream_tbEUljE_ZNSN_ISO_Lb1ESQ_SR_ST_SU_SY_EESZ_S10_S11_S12_S16_S17_S18_S1B_S1C_jS1D_jS1E_S1E_jjS1G_bEUljE0_EEESZ_S10_S11_S18_S1C_S1E_T6_T7_T9_mT8_S1G_bDpT10_ENKUlT_T0_E_clISt17integral_constantIbLb1EES1T_IbLb0EEEEDaS1P_S1Q_EUlS1P_E_NS1_11comp_targetILNS1_3genE9ELNS1_11target_archE1100ELNS1_3gpuE3ELNS1_3repE0EEENS1_30default_config_static_selectorELNS0_4arch9wavefront6targetE0EEEvS12_,"axG",@progbits,_ZN7rocprim17ROCPRIM_400000_NS6detail17trampoline_kernelINS0_13select_configILj256ELj13ELNS0_17block_load_methodE3ELS4_3ELS4_3ELNS0_20block_scan_algorithmE0ELj4294967295EEENS1_25partition_config_selectorILNS1_17partition_subalgoE4EjNS0_10empty_typeEbEEZZNS1_14partition_implILS8_4ELb0ES6_15HIP_vector_typeIjLj2EENS0_17counting_iteratorIjlEEPS9_SG_NS0_5tupleIJPjSI_NS0_16reverse_iteratorISI_EEEEENSH_IJSG_SG_SG_EEES9_SI_JZNS1_25segmented_radix_sort_implINS0_14default_configELb1EPKiPiPKlPlN2at6native12_GLOBAL__N_18offset_tEEE10hipError_tPvRmT1_PNSt15iterator_traitsIS12_E10value_typeET2_T3_PNS13_IS18_E10value_typeET4_jRbjT5_S1E_jjP12ihipStream_tbEUljE_ZNSN_ISO_Lb1ESQ_SR_ST_SU_SY_EESZ_S10_S11_S12_S16_S17_S18_S1B_S1C_jS1D_jS1E_S1E_jjS1G_bEUljE0_EEESZ_S10_S11_S18_S1C_S1E_T6_T7_T9_mT8_S1G_bDpT10_ENKUlT_T0_E_clISt17integral_constantIbLb1EES1T_IbLb0EEEEDaS1P_S1Q_EUlS1P_E_NS1_11comp_targetILNS1_3genE9ELNS1_11target_archE1100ELNS1_3gpuE3ELNS1_3repE0EEENS1_30default_config_static_selectorELNS0_4arch9wavefront6targetE0EEEvS12_,comdat
.Lfunc_end451:
	.size	_ZN7rocprim17ROCPRIM_400000_NS6detail17trampoline_kernelINS0_13select_configILj256ELj13ELNS0_17block_load_methodE3ELS4_3ELS4_3ELNS0_20block_scan_algorithmE0ELj4294967295EEENS1_25partition_config_selectorILNS1_17partition_subalgoE4EjNS0_10empty_typeEbEEZZNS1_14partition_implILS8_4ELb0ES6_15HIP_vector_typeIjLj2EENS0_17counting_iteratorIjlEEPS9_SG_NS0_5tupleIJPjSI_NS0_16reverse_iteratorISI_EEEEENSH_IJSG_SG_SG_EEES9_SI_JZNS1_25segmented_radix_sort_implINS0_14default_configELb1EPKiPiPKlPlN2at6native12_GLOBAL__N_18offset_tEEE10hipError_tPvRmT1_PNSt15iterator_traitsIS12_E10value_typeET2_T3_PNS13_IS18_E10value_typeET4_jRbjT5_S1E_jjP12ihipStream_tbEUljE_ZNSN_ISO_Lb1ESQ_SR_ST_SU_SY_EESZ_S10_S11_S12_S16_S17_S18_S1B_S1C_jS1D_jS1E_S1E_jjS1G_bEUljE0_EEESZ_S10_S11_S18_S1C_S1E_T6_T7_T9_mT8_S1G_bDpT10_ENKUlT_T0_E_clISt17integral_constantIbLb1EES1T_IbLb0EEEEDaS1P_S1Q_EUlS1P_E_NS1_11comp_targetILNS1_3genE9ELNS1_11target_archE1100ELNS1_3gpuE3ELNS1_3repE0EEENS1_30default_config_static_selectorELNS0_4arch9wavefront6targetE0EEEvS12_, .Lfunc_end451-_ZN7rocprim17ROCPRIM_400000_NS6detail17trampoline_kernelINS0_13select_configILj256ELj13ELNS0_17block_load_methodE3ELS4_3ELS4_3ELNS0_20block_scan_algorithmE0ELj4294967295EEENS1_25partition_config_selectorILNS1_17partition_subalgoE4EjNS0_10empty_typeEbEEZZNS1_14partition_implILS8_4ELb0ES6_15HIP_vector_typeIjLj2EENS0_17counting_iteratorIjlEEPS9_SG_NS0_5tupleIJPjSI_NS0_16reverse_iteratorISI_EEEEENSH_IJSG_SG_SG_EEES9_SI_JZNS1_25segmented_radix_sort_implINS0_14default_configELb1EPKiPiPKlPlN2at6native12_GLOBAL__N_18offset_tEEE10hipError_tPvRmT1_PNSt15iterator_traitsIS12_E10value_typeET2_T3_PNS13_IS18_E10value_typeET4_jRbjT5_S1E_jjP12ihipStream_tbEUljE_ZNSN_ISO_Lb1ESQ_SR_ST_SU_SY_EESZ_S10_S11_S12_S16_S17_S18_S1B_S1C_jS1D_jS1E_S1E_jjS1G_bEUljE0_EEESZ_S10_S11_S18_S1C_S1E_T6_T7_T9_mT8_S1G_bDpT10_ENKUlT_T0_E_clISt17integral_constantIbLb1EES1T_IbLb0EEEEDaS1P_S1Q_EUlS1P_E_NS1_11comp_targetILNS1_3genE9ELNS1_11target_archE1100ELNS1_3gpuE3ELNS1_3repE0EEENS1_30default_config_static_selectorELNS0_4arch9wavefront6targetE0EEEvS12_
                                        ; -- End function
	.set _ZN7rocprim17ROCPRIM_400000_NS6detail17trampoline_kernelINS0_13select_configILj256ELj13ELNS0_17block_load_methodE3ELS4_3ELS4_3ELNS0_20block_scan_algorithmE0ELj4294967295EEENS1_25partition_config_selectorILNS1_17partition_subalgoE4EjNS0_10empty_typeEbEEZZNS1_14partition_implILS8_4ELb0ES6_15HIP_vector_typeIjLj2EENS0_17counting_iteratorIjlEEPS9_SG_NS0_5tupleIJPjSI_NS0_16reverse_iteratorISI_EEEEENSH_IJSG_SG_SG_EEES9_SI_JZNS1_25segmented_radix_sort_implINS0_14default_configELb1EPKiPiPKlPlN2at6native12_GLOBAL__N_18offset_tEEE10hipError_tPvRmT1_PNSt15iterator_traitsIS12_E10value_typeET2_T3_PNS13_IS18_E10value_typeET4_jRbjT5_S1E_jjP12ihipStream_tbEUljE_ZNSN_ISO_Lb1ESQ_SR_ST_SU_SY_EESZ_S10_S11_S12_S16_S17_S18_S1B_S1C_jS1D_jS1E_S1E_jjS1G_bEUljE0_EEESZ_S10_S11_S18_S1C_S1E_T6_T7_T9_mT8_S1G_bDpT10_ENKUlT_T0_E_clISt17integral_constantIbLb1EES1T_IbLb0EEEEDaS1P_S1Q_EUlS1P_E_NS1_11comp_targetILNS1_3genE9ELNS1_11target_archE1100ELNS1_3gpuE3ELNS1_3repE0EEENS1_30default_config_static_selectorELNS0_4arch9wavefront6targetE0EEEvS12_.num_vgpr, 0
	.set _ZN7rocprim17ROCPRIM_400000_NS6detail17trampoline_kernelINS0_13select_configILj256ELj13ELNS0_17block_load_methodE3ELS4_3ELS4_3ELNS0_20block_scan_algorithmE0ELj4294967295EEENS1_25partition_config_selectorILNS1_17partition_subalgoE4EjNS0_10empty_typeEbEEZZNS1_14partition_implILS8_4ELb0ES6_15HIP_vector_typeIjLj2EENS0_17counting_iteratorIjlEEPS9_SG_NS0_5tupleIJPjSI_NS0_16reverse_iteratorISI_EEEEENSH_IJSG_SG_SG_EEES9_SI_JZNS1_25segmented_radix_sort_implINS0_14default_configELb1EPKiPiPKlPlN2at6native12_GLOBAL__N_18offset_tEEE10hipError_tPvRmT1_PNSt15iterator_traitsIS12_E10value_typeET2_T3_PNS13_IS18_E10value_typeET4_jRbjT5_S1E_jjP12ihipStream_tbEUljE_ZNSN_ISO_Lb1ESQ_SR_ST_SU_SY_EESZ_S10_S11_S12_S16_S17_S18_S1B_S1C_jS1D_jS1E_S1E_jjS1G_bEUljE0_EEESZ_S10_S11_S18_S1C_S1E_T6_T7_T9_mT8_S1G_bDpT10_ENKUlT_T0_E_clISt17integral_constantIbLb1EES1T_IbLb0EEEEDaS1P_S1Q_EUlS1P_E_NS1_11comp_targetILNS1_3genE9ELNS1_11target_archE1100ELNS1_3gpuE3ELNS1_3repE0EEENS1_30default_config_static_selectorELNS0_4arch9wavefront6targetE0EEEvS12_.num_agpr, 0
	.set _ZN7rocprim17ROCPRIM_400000_NS6detail17trampoline_kernelINS0_13select_configILj256ELj13ELNS0_17block_load_methodE3ELS4_3ELS4_3ELNS0_20block_scan_algorithmE0ELj4294967295EEENS1_25partition_config_selectorILNS1_17partition_subalgoE4EjNS0_10empty_typeEbEEZZNS1_14partition_implILS8_4ELb0ES6_15HIP_vector_typeIjLj2EENS0_17counting_iteratorIjlEEPS9_SG_NS0_5tupleIJPjSI_NS0_16reverse_iteratorISI_EEEEENSH_IJSG_SG_SG_EEES9_SI_JZNS1_25segmented_radix_sort_implINS0_14default_configELb1EPKiPiPKlPlN2at6native12_GLOBAL__N_18offset_tEEE10hipError_tPvRmT1_PNSt15iterator_traitsIS12_E10value_typeET2_T3_PNS13_IS18_E10value_typeET4_jRbjT5_S1E_jjP12ihipStream_tbEUljE_ZNSN_ISO_Lb1ESQ_SR_ST_SU_SY_EESZ_S10_S11_S12_S16_S17_S18_S1B_S1C_jS1D_jS1E_S1E_jjS1G_bEUljE0_EEESZ_S10_S11_S18_S1C_S1E_T6_T7_T9_mT8_S1G_bDpT10_ENKUlT_T0_E_clISt17integral_constantIbLb1EES1T_IbLb0EEEEDaS1P_S1Q_EUlS1P_E_NS1_11comp_targetILNS1_3genE9ELNS1_11target_archE1100ELNS1_3gpuE3ELNS1_3repE0EEENS1_30default_config_static_selectorELNS0_4arch9wavefront6targetE0EEEvS12_.numbered_sgpr, 0
	.set _ZN7rocprim17ROCPRIM_400000_NS6detail17trampoline_kernelINS0_13select_configILj256ELj13ELNS0_17block_load_methodE3ELS4_3ELS4_3ELNS0_20block_scan_algorithmE0ELj4294967295EEENS1_25partition_config_selectorILNS1_17partition_subalgoE4EjNS0_10empty_typeEbEEZZNS1_14partition_implILS8_4ELb0ES6_15HIP_vector_typeIjLj2EENS0_17counting_iteratorIjlEEPS9_SG_NS0_5tupleIJPjSI_NS0_16reverse_iteratorISI_EEEEENSH_IJSG_SG_SG_EEES9_SI_JZNS1_25segmented_radix_sort_implINS0_14default_configELb1EPKiPiPKlPlN2at6native12_GLOBAL__N_18offset_tEEE10hipError_tPvRmT1_PNSt15iterator_traitsIS12_E10value_typeET2_T3_PNS13_IS18_E10value_typeET4_jRbjT5_S1E_jjP12ihipStream_tbEUljE_ZNSN_ISO_Lb1ESQ_SR_ST_SU_SY_EESZ_S10_S11_S12_S16_S17_S18_S1B_S1C_jS1D_jS1E_S1E_jjS1G_bEUljE0_EEESZ_S10_S11_S18_S1C_S1E_T6_T7_T9_mT8_S1G_bDpT10_ENKUlT_T0_E_clISt17integral_constantIbLb1EES1T_IbLb0EEEEDaS1P_S1Q_EUlS1P_E_NS1_11comp_targetILNS1_3genE9ELNS1_11target_archE1100ELNS1_3gpuE3ELNS1_3repE0EEENS1_30default_config_static_selectorELNS0_4arch9wavefront6targetE0EEEvS12_.num_named_barrier, 0
	.set _ZN7rocprim17ROCPRIM_400000_NS6detail17trampoline_kernelINS0_13select_configILj256ELj13ELNS0_17block_load_methodE3ELS4_3ELS4_3ELNS0_20block_scan_algorithmE0ELj4294967295EEENS1_25partition_config_selectorILNS1_17partition_subalgoE4EjNS0_10empty_typeEbEEZZNS1_14partition_implILS8_4ELb0ES6_15HIP_vector_typeIjLj2EENS0_17counting_iteratorIjlEEPS9_SG_NS0_5tupleIJPjSI_NS0_16reverse_iteratorISI_EEEEENSH_IJSG_SG_SG_EEES9_SI_JZNS1_25segmented_radix_sort_implINS0_14default_configELb1EPKiPiPKlPlN2at6native12_GLOBAL__N_18offset_tEEE10hipError_tPvRmT1_PNSt15iterator_traitsIS12_E10value_typeET2_T3_PNS13_IS18_E10value_typeET4_jRbjT5_S1E_jjP12ihipStream_tbEUljE_ZNSN_ISO_Lb1ESQ_SR_ST_SU_SY_EESZ_S10_S11_S12_S16_S17_S18_S1B_S1C_jS1D_jS1E_S1E_jjS1G_bEUljE0_EEESZ_S10_S11_S18_S1C_S1E_T6_T7_T9_mT8_S1G_bDpT10_ENKUlT_T0_E_clISt17integral_constantIbLb1EES1T_IbLb0EEEEDaS1P_S1Q_EUlS1P_E_NS1_11comp_targetILNS1_3genE9ELNS1_11target_archE1100ELNS1_3gpuE3ELNS1_3repE0EEENS1_30default_config_static_selectorELNS0_4arch9wavefront6targetE0EEEvS12_.private_seg_size, 0
	.set _ZN7rocprim17ROCPRIM_400000_NS6detail17trampoline_kernelINS0_13select_configILj256ELj13ELNS0_17block_load_methodE3ELS4_3ELS4_3ELNS0_20block_scan_algorithmE0ELj4294967295EEENS1_25partition_config_selectorILNS1_17partition_subalgoE4EjNS0_10empty_typeEbEEZZNS1_14partition_implILS8_4ELb0ES6_15HIP_vector_typeIjLj2EENS0_17counting_iteratorIjlEEPS9_SG_NS0_5tupleIJPjSI_NS0_16reverse_iteratorISI_EEEEENSH_IJSG_SG_SG_EEES9_SI_JZNS1_25segmented_radix_sort_implINS0_14default_configELb1EPKiPiPKlPlN2at6native12_GLOBAL__N_18offset_tEEE10hipError_tPvRmT1_PNSt15iterator_traitsIS12_E10value_typeET2_T3_PNS13_IS18_E10value_typeET4_jRbjT5_S1E_jjP12ihipStream_tbEUljE_ZNSN_ISO_Lb1ESQ_SR_ST_SU_SY_EESZ_S10_S11_S12_S16_S17_S18_S1B_S1C_jS1D_jS1E_S1E_jjS1G_bEUljE0_EEESZ_S10_S11_S18_S1C_S1E_T6_T7_T9_mT8_S1G_bDpT10_ENKUlT_T0_E_clISt17integral_constantIbLb1EES1T_IbLb0EEEEDaS1P_S1Q_EUlS1P_E_NS1_11comp_targetILNS1_3genE9ELNS1_11target_archE1100ELNS1_3gpuE3ELNS1_3repE0EEENS1_30default_config_static_selectorELNS0_4arch9wavefront6targetE0EEEvS12_.uses_vcc, 0
	.set _ZN7rocprim17ROCPRIM_400000_NS6detail17trampoline_kernelINS0_13select_configILj256ELj13ELNS0_17block_load_methodE3ELS4_3ELS4_3ELNS0_20block_scan_algorithmE0ELj4294967295EEENS1_25partition_config_selectorILNS1_17partition_subalgoE4EjNS0_10empty_typeEbEEZZNS1_14partition_implILS8_4ELb0ES6_15HIP_vector_typeIjLj2EENS0_17counting_iteratorIjlEEPS9_SG_NS0_5tupleIJPjSI_NS0_16reverse_iteratorISI_EEEEENSH_IJSG_SG_SG_EEES9_SI_JZNS1_25segmented_radix_sort_implINS0_14default_configELb1EPKiPiPKlPlN2at6native12_GLOBAL__N_18offset_tEEE10hipError_tPvRmT1_PNSt15iterator_traitsIS12_E10value_typeET2_T3_PNS13_IS18_E10value_typeET4_jRbjT5_S1E_jjP12ihipStream_tbEUljE_ZNSN_ISO_Lb1ESQ_SR_ST_SU_SY_EESZ_S10_S11_S12_S16_S17_S18_S1B_S1C_jS1D_jS1E_S1E_jjS1G_bEUljE0_EEESZ_S10_S11_S18_S1C_S1E_T6_T7_T9_mT8_S1G_bDpT10_ENKUlT_T0_E_clISt17integral_constantIbLb1EES1T_IbLb0EEEEDaS1P_S1Q_EUlS1P_E_NS1_11comp_targetILNS1_3genE9ELNS1_11target_archE1100ELNS1_3gpuE3ELNS1_3repE0EEENS1_30default_config_static_selectorELNS0_4arch9wavefront6targetE0EEEvS12_.uses_flat_scratch, 0
	.set _ZN7rocprim17ROCPRIM_400000_NS6detail17trampoline_kernelINS0_13select_configILj256ELj13ELNS0_17block_load_methodE3ELS4_3ELS4_3ELNS0_20block_scan_algorithmE0ELj4294967295EEENS1_25partition_config_selectorILNS1_17partition_subalgoE4EjNS0_10empty_typeEbEEZZNS1_14partition_implILS8_4ELb0ES6_15HIP_vector_typeIjLj2EENS0_17counting_iteratorIjlEEPS9_SG_NS0_5tupleIJPjSI_NS0_16reverse_iteratorISI_EEEEENSH_IJSG_SG_SG_EEES9_SI_JZNS1_25segmented_radix_sort_implINS0_14default_configELb1EPKiPiPKlPlN2at6native12_GLOBAL__N_18offset_tEEE10hipError_tPvRmT1_PNSt15iterator_traitsIS12_E10value_typeET2_T3_PNS13_IS18_E10value_typeET4_jRbjT5_S1E_jjP12ihipStream_tbEUljE_ZNSN_ISO_Lb1ESQ_SR_ST_SU_SY_EESZ_S10_S11_S12_S16_S17_S18_S1B_S1C_jS1D_jS1E_S1E_jjS1G_bEUljE0_EEESZ_S10_S11_S18_S1C_S1E_T6_T7_T9_mT8_S1G_bDpT10_ENKUlT_T0_E_clISt17integral_constantIbLb1EES1T_IbLb0EEEEDaS1P_S1Q_EUlS1P_E_NS1_11comp_targetILNS1_3genE9ELNS1_11target_archE1100ELNS1_3gpuE3ELNS1_3repE0EEENS1_30default_config_static_selectorELNS0_4arch9wavefront6targetE0EEEvS12_.has_dyn_sized_stack, 0
	.set _ZN7rocprim17ROCPRIM_400000_NS6detail17trampoline_kernelINS0_13select_configILj256ELj13ELNS0_17block_load_methodE3ELS4_3ELS4_3ELNS0_20block_scan_algorithmE0ELj4294967295EEENS1_25partition_config_selectorILNS1_17partition_subalgoE4EjNS0_10empty_typeEbEEZZNS1_14partition_implILS8_4ELb0ES6_15HIP_vector_typeIjLj2EENS0_17counting_iteratorIjlEEPS9_SG_NS0_5tupleIJPjSI_NS0_16reverse_iteratorISI_EEEEENSH_IJSG_SG_SG_EEES9_SI_JZNS1_25segmented_radix_sort_implINS0_14default_configELb1EPKiPiPKlPlN2at6native12_GLOBAL__N_18offset_tEEE10hipError_tPvRmT1_PNSt15iterator_traitsIS12_E10value_typeET2_T3_PNS13_IS18_E10value_typeET4_jRbjT5_S1E_jjP12ihipStream_tbEUljE_ZNSN_ISO_Lb1ESQ_SR_ST_SU_SY_EESZ_S10_S11_S12_S16_S17_S18_S1B_S1C_jS1D_jS1E_S1E_jjS1G_bEUljE0_EEESZ_S10_S11_S18_S1C_S1E_T6_T7_T9_mT8_S1G_bDpT10_ENKUlT_T0_E_clISt17integral_constantIbLb1EES1T_IbLb0EEEEDaS1P_S1Q_EUlS1P_E_NS1_11comp_targetILNS1_3genE9ELNS1_11target_archE1100ELNS1_3gpuE3ELNS1_3repE0EEENS1_30default_config_static_selectorELNS0_4arch9wavefront6targetE0EEEvS12_.has_recursion, 0
	.set _ZN7rocprim17ROCPRIM_400000_NS6detail17trampoline_kernelINS0_13select_configILj256ELj13ELNS0_17block_load_methodE3ELS4_3ELS4_3ELNS0_20block_scan_algorithmE0ELj4294967295EEENS1_25partition_config_selectorILNS1_17partition_subalgoE4EjNS0_10empty_typeEbEEZZNS1_14partition_implILS8_4ELb0ES6_15HIP_vector_typeIjLj2EENS0_17counting_iteratorIjlEEPS9_SG_NS0_5tupleIJPjSI_NS0_16reverse_iteratorISI_EEEEENSH_IJSG_SG_SG_EEES9_SI_JZNS1_25segmented_radix_sort_implINS0_14default_configELb1EPKiPiPKlPlN2at6native12_GLOBAL__N_18offset_tEEE10hipError_tPvRmT1_PNSt15iterator_traitsIS12_E10value_typeET2_T3_PNS13_IS18_E10value_typeET4_jRbjT5_S1E_jjP12ihipStream_tbEUljE_ZNSN_ISO_Lb1ESQ_SR_ST_SU_SY_EESZ_S10_S11_S12_S16_S17_S18_S1B_S1C_jS1D_jS1E_S1E_jjS1G_bEUljE0_EEESZ_S10_S11_S18_S1C_S1E_T6_T7_T9_mT8_S1G_bDpT10_ENKUlT_T0_E_clISt17integral_constantIbLb1EES1T_IbLb0EEEEDaS1P_S1Q_EUlS1P_E_NS1_11comp_targetILNS1_3genE9ELNS1_11target_archE1100ELNS1_3gpuE3ELNS1_3repE0EEENS1_30default_config_static_selectorELNS0_4arch9wavefront6targetE0EEEvS12_.has_indirect_call, 0
	.section	.AMDGPU.csdata,"",@progbits
; Kernel info:
; codeLenInByte = 0
; TotalNumSgprs: 0
; NumVgprs: 0
; ScratchSize: 0
; MemoryBound: 0
; FloatMode: 240
; IeeeMode: 1
; LDSByteSize: 0 bytes/workgroup (compile time only)
; SGPRBlocks: 0
; VGPRBlocks: 0
; NumSGPRsForWavesPerEU: 1
; NumVGPRsForWavesPerEU: 1
; NamedBarCnt: 0
; Occupancy: 16
; WaveLimiterHint : 0
; COMPUTE_PGM_RSRC2:SCRATCH_EN: 0
; COMPUTE_PGM_RSRC2:USER_SGPR: 2
; COMPUTE_PGM_RSRC2:TRAP_HANDLER: 0
; COMPUTE_PGM_RSRC2:TGID_X_EN: 1
; COMPUTE_PGM_RSRC2:TGID_Y_EN: 0
; COMPUTE_PGM_RSRC2:TGID_Z_EN: 0
; COMPUTE_PGM_RSRC2:TIDIG_COMP_CNT: 0
	.section	.text._ZN7rocprim17ROCPRIM_400000_NS6detail17trampoline_kernelINS0_13select_configILj256ELj13ELNS0_17block_load_methodE3ELS4_3ELS4_3ELNS0_20block_scan_algorithmE0ELj4294967295EEENS1_25partition_config_selectorILNS1_17partition_subalgoE4EjNS0_10empty_typeEbEEZZNS1_14partition_implILS8_4ELb0ES6_15HIP_vector_typeIjLj2EENS0_17counting_iteratorIjlEEPS9_SG_NS0_5tupleIJPjSI_NS0_16reverse_iteratorISI_EEEEENSH_IJSG_SG_SG_EEES9_SI_JZNS1_25segmented_radix_sort_implINS0_14default_configELb1EPKiPiPKlPlN2at6native12_GLOBAL__N_18offset_tEEE10hipError_tPvRmT1_PNSt15iterator_traitsIS12_E10value_typeET2_T3_PNS13_IS18_E10value_typeET4_jRbjT5_S1E_jjP12ihipStream_tbEUljE_ZNSN_ISO_Lb1ESQ_SR_ST_SU_SY_EESZ_S10_S11_S12_S16_S17_S18_S1B_S1C_jS1D_jS1E_S1E_jjS1G_bEUljE0_EEESZ_S10_S11_S18_S1C_S1E_T6_T7_T9_mT8_S1G_bDpT10_ENKUlT_T0_E_clISt17integral_constantIbLb1EES1T_IbLb0EEEEDaS1P_S1Q_EUlS1P_E_NS1_11comp_targetILNS1_3genE8ELNS1_11target_archE1030ELNS1_3gpuE2ELNS1_3repE0EEENS1_30default_config_static_selectorELNS0_4arch9wavefront6targetE0EEEvS12_,"axG",@progbits,_ZN7rocprim17ROCPRIM_400000_NS6detail17trampoline_kernelINS0_13select_configILj256ELj13ELNS0_17block_load_methodE3ELS4_3ELS4_3ELNS0_20block_scan_algorithmE0ELj4294967295EEENS1_25partition_config_selectorILNS1_17partition_subalgoE4EjNS0_10empty_typeEbEEZZNS1_14partition_implILS8_4ELb0ES6_15HIP_vector_typeIjLj2EENS0_17counting_iteratorIjlEEPS9_SG_NS0_5tupleIJPjSI_NS0_16reverse_iteratorISI_EEEEENSH_IJSG_SG_SG_EEES9_SI_JZNS1_25segmented_radix_sort_implINS0_14default_configELb1EPKiPiPKlPlN2at6native12_GLOBAL__N_18offset_tEEE10hipError_tPvRmT1_PNSt15iterator_traitsIS12_E10value_typeET2_T3_PNS13_IS18_E10value_typeET4_jRbjT5_S1E_jjP12ihipStream_tbEUljE_ZNSN_ISO_Lb1ESQ_SR_ST_SU_SY_EESZ_S10_S11_S12_S16_S17_S18_S1B_S1C_jS1D_jS1E_S1E_jjS1G_bEUljE0_EEESZ_S10_S11_S18_S1C_S1E_T6_T7_T9_mT8_S1G_bDpT10_ENKUlT_T0_E_clISt17integral_constantIbLb1EES1T_IbLb0EEEEDaS1P_S1Q_EUlS1P_E_NS1_11comp_targetILNS1_3genE8ELNS1_11target_archE1030ELNS1_3gpuE2ELNS1_3repE0EEENS1_30default_config_static_selectorELNS0_4arch9wavefront6targetE0EEEvS12_,comdat
	.globl	_ZN7rocprim17ROCPRIM_400000_NS6detail17trampoline_kernelINS0_13select_configILj256ELj13ELNS0_17block_load_methodE3ELS4_3ELS4_3ELNS0_20block_scan_algorithmE0ELj4294967295EEENS1_25partition_config_selectorILNS1_17partition_subalgoE4EjNS0_10empty_typeEbEEZZNS1_14partition_implILS8_4ELb0ES6_15HIP_vector_typeIjLj2EENS0_17counting_iteratorIjlEEPS9_SG_NS0_5tupleIJPjSI_NS0_16reverse_iteratorISI_EEEEENSH_IJSG_SG_SG_EEES9_SI_JZNS1_25segmented_radix_sort_implINS0_14default_configELb1EPKiPiPKlPlN2at6native12_GLOBAL__N_18offset_tEEE10hipError_tPvRmT1_PNSt15iterator_traitsIS12_E10value_typeET2_T3_PNS13_IS18_E10value_typeET4_jRbjT5_S1E_jjP12ihipStream_tbEUljE_ZNSN_ISO_Lb1ESQ_SR_ST_SU_SY_EESZ_S10_S11_S12_S16_S17_S18_S1B_S1C_jS1D_jS1E_S1E_jjS1G_bEUljE0_EEESZ_S10_S11_S18_S1C_S1E_T6_T7_T9_mT8_S1G_bDpT10_ENKUlT_T0_E_clISt17integral_constantIbLb1EES1T_IbLb0EEEEDaS1P_S1Q_EUlS1P_E_NS1_11comp_targetILNS1_3genE8ELNS1_11target_archE1030ELNS1_3gpuE2ELNS1_3repE0EEENS1_30default_config_static_selectorELNS0_4arch9wavefront6targetE0EEEvS12_ ; -- Begin function _ZN7rocprim17ROCPRIM_400000_NS6detail17trampoline_kernelINS0_13select_configILj256ELj13ELNS0_17block_load_methodE3ELS4_3ELS4_3ELNS0_20block_scan_algorithmE0ELj4294967295EEENS1_25partition_config_selectorILNS1_17partition_subalgoE4EjNS0_10empty_typeEbEEZZNS1_14partition_implILS8_4ELb0ES6_15HIP_vector_typeIjLj2EENS0_17counting_iteratorIjlEEPS9_SG_NS0_5tupleIJPjSI_NS0_16reverse_iteratorISI_EEEEENSH_IJSG_SG_SG_EEES9_SI_JZNS1_25segmented_radix_sort_implINS0_14default_configELb1EPKiPiPKlPlN2at6native12_GLOBAL__N_18offset_tEEE10hipError_tPvRmT1_PNSt15iterator_traitsIS12_E10value_typeET2_T3_PNS13_IS18_E10value_typeET4_jRbjT5_S1E_jjP12ihipStream_tbEUljE_ZNSN_ISO_Lb1ESQ_SR_ST_SU_SY_EESZ_S10_S11_S12_S16_S17_S18_S1B_S1C_jS1D_jS1E_S1E_jjS1G_bEUljE0_EEESZ_S10_S11_S18_S1C_S1E_T6_T7_T9_mT8_S1G_bDpT10_ENKUlT_T0_E_clISt17integral_constantIbLb1EES1T_IbLb0EEEEDaS1P_S1Q_EUlS1P_E_NS1_11comp_targetILNS1_3genE8ELNS1_11target_archE1030ELNS1_3gpuE2ELNS1_3repE0EEENS1_30default_config_static_selectorELNS0_4arch9wavefront6targetE0EEEvS12_
	.p2align	8
	.type	_ZN7rocprim17ROCPRIM_400000_NS6detail17trampoline_kernelINS0_13select_configILj256ELj13ELNS0_17block_load_methodE3ELS4_3ELS4_3ELNS0_20block_scan_algorithmE0ELj4294967295EEENS1_25partition_config_selectorILNS1_17partition_subalgoE4EjNS0_10empty_typeEbEEZZNS1_14partition_implILS8_4ELb0ES6_15HIP_vector_typeIjLj2EENS0_17counting_iteratorIjlEEPS9_SG_NS0_5tupleIJPjSI_NS0_16reverse_iteratorISI_EEEEENSH_IJSG_SG_SG_EEES9_SI_JZNS1_25segmented_radix_sort_implINS0_14default_configELb1EPKiPiPKlPlN2at6native12_GLOBAL__N_18offset_tEEE10hipError_tPvRmT1_PNSt15iterator_traitsIS12_E10value_typeET2_T3_PNS13_IS18_E10value_typeET4_jRbjT5_S1E_jjP12ihipStream_tbEUljE_ZNSN_ISO_Lb1ESQ_SR_ST_SU_SY_EESZ_S10_S11_S12_S16_S17_S18_S1B_S1C_jS1D_jS1E_S1E_jjS1G_bEUljE0_EEESZ_S10_S11_S18_S1C_S1E_T6_T7_T9_mT8_S1G_bDpT10_ENKUlT_T0_E_clISt17integral_constantIbLb1EES1T_IbLb0EEEEDaS1P_S1Q_EUlS1P_E_NS1_11comp_targetILNS1_3genE8ELNS1_11target_archE1030ELNS1_3gpuE2ELNS1_3repE0EEENS1_30default_config_static_selectorELNS0_4arch9wavefront6targetE0EEEvS12_,@function
_ZN7rocprim17ROCPRIM_400000_NS6detail17trampoline_kernelINS0_13select_configILj256ELj13ELNS0_17block_load_methodE3ELS4_3ELS4_3ELNS0_20block_scan_algorithmE0ELj4294967295EEENS1_25partition_config_selectorILNS1_17partition_subalgoE4EjNS0_10empty_typeEbEEZZNS1_14partition_implILS8_4ELb0ES6_15HIP_vector_typeIjLj2EENS0_17counting_iteratorIjlEEPS9_SG_NS0_5tupleIJPjSI_NS0_16reverse_iteratorISI_EEEEENSH_IJSG_SG_SG_EEES9_SI_JZNS1_25segmented_radix_sort_implINS0_14default_configELb1EPKiPiPKlPlN2at6native12_GLOBAL__N_18offset_tEEE10hipError_tPvRmT1_PNSt15iterator_traitsIS12_E10value_typeET2_T3_PNS13_IS18_E10value_typeET4_jRbjT5_S1E_jjP12ihipStream_tbEUljE_ZNSN_ISO_Lb1ESQ_SR_ST_SU_SY_EESZ_S10_S11_S12_S16_S17_S18_S1B_S1C_jS1D_jS1E_S1E_jjS1G_bEUljE0_EEESZ_S10_S11_S18_S1C_S1E_T6_T7_T9_mT8_S1G_bDpT10_ENKUlT_T0_E_clISt17integral_constantIbLb1EES1T_IbLb0EEEEDaS1P_S1Q_EUlS1P_E_NS1_11comp_targetILNS1_3genE8ELNS1_11target_archE1030ELNS1_3gpuE2ELNS1_3repE0EEENS1_30default_config_static_selectorELNS0_4arch9wavefront6targetE0EEEvS12_: ; @_ZN7rocprim17ROCPRIM_400000_NS6detail17trampoline_kernelINS0_13select_configILj256ELj13ELNS0_17block_load_methodE3ELS4_3ELS4_3ELNS0_20block_scan_algorithmE0ELj4294967295EEENS1_25partition_config_selectorILNS1_17partition_subalgoE4EjNS0_10empty_typeEbEEZZNS1_14partition_implILS8_4ELb0ES6_15HIP_vector_typeIjLj2EENS0_17counting_iteratorIjlEEPS9_SG_NS0_5tupleIJPjSI_NS0_16reverse_iteratorISI_EEEEENSH_IJSG_SG_SG_EEES9_SI_JZNS1_25segmented_radix_sort_implINS0_14default_configELb1EPKiPiPKlPlN2at6native12_GLOBAL__N_18offset_tEEE10hipError_tPvRmT1_PNSt15iterator_traitsIS12_E10value_typeET2_T3_PNS13_IS18_E10value_typeET4_jRbjT5_S1E_jjP12ihipStream_tbEUljE_ZNSN_ISO_Lb1ESQ_SR_ST_SU_SY_EESZ_S10_S11_S12_S16_S17_S18_S1B_S1C_jS1D_jS1E_S1E_jjS1G_bEUljE0_EEESZ_S10_S11_S18_S1C_S1E_T6_T7_T9_mT8_S1G_bDpT10_ENKUlT_T0_E_clISt17integral_constantIbLb1EES1T_IbLb0EEEEDaS1P_S1Q_EUlS1P_E_NS1_11comp_targetILNS1_3genE8ELNS1_11target_archE1030ELNS1_3gpuE2ELNS1_3repE0EEENS1_30default_config_static_selectorELNS0_4arch9wavefront6targetE0EEEvS12_
; %bb.0:
	.section	.rodata,"a",@progbits
	.p2align	6, 0x0
	.amdhsa_kernel _ZN7rocprim17ROCPRIM_400000_NS6detail17trampoline_kernelINS0_13select_configILj256ELj13ELNS0_17block_load_methodE3ELS4_3ELS4_3ELNS0_20block_scan_algorithmE0ELj4294967295EEENS1_25partition_config_selectorILNS1_17partition_subalgoE4EjNS0_10empty_typeEbEEZZNS1_14partition_implILS8_4ELb0ES6_15HIP_vector_typeIjLj2EENS0_17counting_iteratorIjlEEPS9_SG_NS0_5tupleIJPjSI_NS0_16reverse_iteratorISI_EEEEENSH_IJSG_SG_SG_EEES9_SI_JZNS1_25segmented_radix_sort_implINS0_14default_configELb1EPKiPiPKlPlN2at6native12_GLOBAL__N_18offset_tEEE10hipError_tPvRmT1_PNSt15iterator_traitsIS12_E10value_typeET2_T3_PNS13_IS18_E10value_typeET4_jRbjT5_S1E_jjP12ihipStream_tbEUljE_ZNSN_ISO_Lb1ESQ_SR_ST_SU_SY_EESZ_S10_S11_S12_S16_S17_S18_S1B_S1C_jS1D_jS1E_S1E_jjS1G_bEUljE0_EEESZ_S10_S11_S18_S1C_S1E_T6_T7_T9_mT8_S1G_bDpT10_ENKUlT_T0_E_clISt17integral_constantIbLb1EES1T_IbLb0EEEEDaS1P_S1Q_EUlS1P_E_NS1_11comp_targetILNS1_3genE8ELNS1_11target_archE1030ELNS1_3gpuE2ELNS1_3repE0EEENS1_30default_config_static_selectorELNS0_4arch9wavefront6targetE0EEEvS12_
		.amdhsa_group_segment_fixed_size 0
		.amdhsa_private_segment_fixed_size 0
		.amdhsa_kernarg_size 176
		.amdhsa_user_sgpr_count 2
		.amdhsa_user_sgpr_dispatch_ptr 0
		.amdhsa_user_sgpr_queue_ptr 0
		.amdhsa_user_sgpr_kernarg_segment_ptr 1
		.amdhsa_user_sgpr_dispatch_id 0
		.amdhsa_user_sgpr_kernarg_preload_length 0
		.amdhsa_user_sgpr_kernarg_preload_offset 0
		.amdhsa_user_sgpr_private_segment_size 0
		.amdhsa_wavefront_size32 1
		.amdhsa_uses_dynamic_stack 0
		.amdhsa_enable_private_segment 0
		.amdhsa_system_sgpr_workgroup_id_x 1
		.amdhsa_system_sgpr_workgroup_id_y 0
		.amdhsa_system_sgpr_workgroup_id_z 0
		.amdhsa_system_sgpr_workgroup_info 0
		.amdhsa_system_vgpr_workitem_id 0
		.amdhsa_next_free_vgpr 1
		.amdhsa_next_free_sgpr 1
		.amdhsa_named_barrier_count 0
		.amdhsa_reserve_vcc 0
		.amdhsa_float_round_mode_32 0
		.amdhsa_float_round_mode_16_64 0
		.amdhsa_float_denorm_mode_32 3
		.amdhsa_float_denorm_mode_16_64 3
		.amdhsa_fp16_overflow 0
		.amdhsa_memory_ordered 1
		.amdhsa_forward_progress 1
		.amdhsa_inst_pref_size 0
		.amdhsa_round_robin_scheduling 0
		.amdhsa_exception_fp_ieee_invalid_op 0
		.amdhsa_exception_fp_denorm_src 0
		.amdhsa_exception_fp_ieee_div_zero 0
		.amdhsa_exception_fp_ieee_overflow 0
		.amdhsa_exception_fp_ieee_underflow 0
		.amdhsa_exception_fp_ieee_inexact 0
		.amdhsa_exception_int_div_zero 0
	.end_amdhsa_kernel
	.section	.text._ZN7rocprim17ROCPRIM_400000_NS6detail17trampoline_kernelINS0_13select_configILj256ELj13ELNS0_17block_load_methodE3ELS4_3ELS4_3ELNS0_20block_scan_algorithmE0ELj4294967295EEENS1_25partition_config_selectorILNS1_17partition_subalgoE4EjNS0_10empty_typeEbEEZZNS1_14partition_implILS8_4ELb0ES6_15HIP_vector_typeIjLj2EENS0_17counting_iteratorIjlEEPS9_SG_NS0_5tupleIJPjSI_NS0_16reverse_iteratorISI_EEEEENSH_IJSG_SG_SG_EEES9_SI_JZNS1_25segmented_radix_sort_implINS0_14default_configELb1EPKiPiPKlPlN2at6native12_GLOBAL__N_18offset_tEEE10hipError_tPvRmT1_PNSt15iterator_traitsIS12_E10value_typeET2_T3_PNS13_IS18_E10value_typeET4_jRbjT5_S1E_jjP12ihipStream_tbEUljE_ZNSN_ISO_Lb1ESQ_SR_ST_SU_SY_EESZ_S10_S11_S12_S16_S17_S18_S1B_S1C_jS1D_jS1E_S1E_jjS1G_bEUljE0_EEESZ_S10_S11_S18_S1C_S1E_T6_T7_T9_mT8_S1G_bDpT10_ENKUlT_T0_E_clISt17integral_constantIbLb1EES1T_IbLb0EEEEDaS1P_S1Q_EUlS1P_E_NS1_11comp_targetILNS1_3genE8ELNS1_11target_archE1030ELNS1_3gpuE2ELNS1_3repE0EEENS1_30default_config_static_selectorELNS0_4arch9wavefront6targetE0EEEvS12_,"axG",@progbits,_ZN7rocprim17ROCPRIM_400000_NS6detail17trampoline_kernelINS0_13select_configILj256ELj13ELNS0_17block_load_methodE3ELS4_3ELS4_3ELNS0_20block_scan_algorithmE0ELj4294967295EEENS1_25partition_config_selectorILNS1_17partition_subalgoE4EjNS0_10empty_typeEbEEZZNS1_14partition_implILS8_4ELb0ES6_15HIP_vector_typeIjLj2EENS0_17counting_iteratorIjlEEPS9_SG_NS0_5tupleIJPjSI_NS0_16reverse_iteratorISI_EEEEENSH_IJSG_SG_SG_EEES9_SI_JZNS1_25segmented_radix_sort_implINS0_14default_configELb1EPKiPiPKlPlN2at6native12_GLOBAL__N_18offset_tEEE10hipError_tPvRmT1_PNSt15iterator_traitsIS12_E10value_typeET2_T3_PNS13_IS18_E10value_typeET4_jRbjT5_S1E_jjP12ihipStream_tbEUljE_ZNSN_ISO_Lb1ESQ_SR_ST_SU_SY_EESZ_S10_S11_S12_S16_S17_S18_S1B_S1C_jS1D_jS1E_S1E_jjS1G_bEUljE0_EEESZ_S10_S11_S18_S1C_S1E_T6_T7_T9_mT8_S1G_bDpT10_ENKUlT_T0_E_clISt17integral_constantIbLb1EES1T_IbLb0EEEEDaS1P_S1Q_EUlS1P_E_NS1_11comp_targetILNS1_3genE8ELNS1_11target_archE1030ELNS1_3gpuE2ELNS1_3repE0EEENS1_30default_config_static_selectorELNS0_4arch9wavefront6targetE0EEEvS12_,comdat
.Lfunc_end452:
	.size	_ZN7rocprim17ROCPRIM_400000_NS6detail17trampoline_kernelINS0_13select_configILj256ELj13ELNS0_17block_load_methodE3ELS4_3ELS4_3ELNS0_20block_scan_algorithmE0ELj4294967295EEENS1_25partition_config_selectorILNS1_17partition_subalgoE4EjNS0_10empty_typeEbEEZZNS1_14partition_implILS8_4ELb0ES6_15HIP_vector_typeIjLj2EENS0_17counting_iteratorIjlEEPS9_SG_NS0_5tupleIJPjSI_NS0_16reverse_iteratorISI_EEEEENSH_IJSG_SG_SG_EEES9_SI_JZNS1_25segmented_radix_sort_implINS0_14default_configELb1EPKiPiPKlPlN2at6native12_GLOBAL__N_18offset_tEEE10hipError_tPvRmT1_PNSt15iterator_traitsIS12_E10value_typeET2_T3_PNS13_IS18_E10value_typeET4_jRbjT5_S1E_jjP12ihipStream_tbEUljE_ZNSN_ISO_Lb1ESQ_SR_ST_SU_SY_EESZ_S10_S11_S12_S16_S17_S18_S1B_S1C_jS1D_jS1E_S1E_jjS1G_bEUljE0_EEESZ_S10_S11_S18_S1C_S1E_T6_T7_T9_mT8_S1G_bDpT10_ENKUlT_T0_E_clISt17integral_constantIbLb1EES1T_IbLb0EEEEDaS1P_S1Q_EUlS1P_E_NS1_11comp_targetILNS1_3genE8ELNS1_11target_archE1030ELNS1_3gpuE2ELNS1_3repE0EEENS1_30default_config_static_selectorELNS0_4arch9wavefront6targetE0EEEvS12_, .Lfunc_end452-_ZN7rocprim17ROCPRIM_400000_NS6detail17trampoline_kernelINS0_13select_configILj256ELj13ELNS0_17block_load_methodE3ELS4_3ELS4_3ELNS0_20block_scan_algorithmE0ELj4294967295EEENS1_25partition_config_selectorILNS1_17partition_subalgoE4EjNS0_10empty_typeEbEEZZNS1_14partition_implILS8_4ELb0ES6_15HIP_vector_typeIjLj2EENS0_17counting_iteratorIjlEEPS9_SG_NS0_5tupleIJPjSI_NS0_16reverse_iteratorISI_EEEEENSH_IJSG_SG_SG_EEES9_SI_JZNS1_25segmented_radix_sort_implINS0_14default_configELb1EPKiPiPKlPlN2at6native12_GLOBAL__N_18offset_tEEE10hipError_tPvRmT1_PNSt15iterator_traitsIS12_E10value_typeET2_T3_PNS13_IS18_E10value_typeET4_jRbjT5_S1E_jjP12ihipStream_tbEUljE_ZNSN_ISO_Lb1ESQ_SR_ST_SU_SY_EESZ_S10_S11_S12_S16_S17_S18_S1B_S1C_jS1D_jS1E_S1E_jjS1G_bEUljE0_EEESZ_S10_S11_S18_S1C_S1E_T6_T7_T9_mT8_S1G_bDpT10_ENKUlT_T0_E_clISt17integral_constantIbLb1EES1T_IbLb0EEEEDaS1P_S1Q_EUlS1P_E_NS1_11comp_targetILNS1_3genE8ELNS1_11target_archE1030ELNS1_3gpuE2ELNS1_3repE0EEENS1_30default_config_static_selectorELNS0_4arch9wavefront6targetE0EEEvS12_
                                        ; -- End function
	.set _ZN7rocprim17ROCPRIM_400000_NS6detail17trampoline_kernelINS0_13select_configILj256ELj13ELNS0_17block_load_methodE3ELS4_3ELS4_3ELNS0_20block_scan_algorithmE0ELj4294967295EEENS1_25partition_config_selectorILNS1_17partition_subalgoE4EjNS0_10empty_typeEbEEZZNS1_14partition_implILS8_4ELb0ES6_15HIP_vector_typeIjLj2EENS0_17counting_iteratorIjlEEPS9_SG_NS0_5tupleIJPjSI_NS0_16reverse_iteratorISI_EEEEENSH_IJSG_SG_SG_EEES9_SI_JZNS1_25segmented_radix_sort_implINS0_14default_configELb1EPKiPiPKlPlN2at6native12_GLOBAL__N_18offset_tEEE10hipError_tPvRmT1_PNSt15iterator_traitsIS12_E10value_typeET2_T3_PNS13_IS18_E10value_typeET4_jRbjT5_S1E_jjP12ihipStream_tbEUljE_ZNSN_ISO_Lb1ESQ_SR_ST_SU_SY_EESZ_S10_S11_S12_S16_S17_S18_S1B_S1C_jS1D_jS1E_S1E_jjS1G_bEUljE0_EEESZ_S10_S11_S18_S1C_S1E_T6_T7_T9_mT8_S1G_bDpT10_ENKUlT_T0_E_clISt17integral_constantIbLb1EES1T_IbLb0EEEEDaS1P_S1Q_EUlS1P_E_NS1_11comp_targetILNS1_3genE8ELNS1_11target_archE1030ELNS1_3gpuE2ELNS1_3repE0EEENS1_30default_config_static_selectorELNS0_4arch9wavefront6targetE0EEEvS12_.num_vgpr, 0
	.set _ZN7rocprim17ROCPRIM_400000_NS6detail17trampoline_kernelINS0_13select_configILj256ELj13ELNS0_17block_load_methodE3ELS4_3ELS4_3ELNS0_20block_scan_algorithmE0ELj4294967295EEENS1_25partition_config_selectorILNS1_17partition_subalgoE4EjNS0_10empty_typeEbEEZZNS1_14partition_implILS8_4ELb0ES6_15HIP_vector_typeIjLj2EENS0_17counting_iteratorIjlEEPS9_SG_NS0_5tupleIJPjSI_NS0_16reverse_iteratorISI_EEEEENSH_IJSG_SG_SG_EEES9_SI_JZNS1_25segmented_radix_sort_implINS0_14default_configELb1EPKiPiPKlPlN2at6native12_GLOBAL__N_18offset_tEEE10hipError_tPvRmT1_PNSt15iterator_traitsIS12_E10value_typeET2_T3_PNS13_IS18_E10value_typeET4_jRbjT5_S1E_jjP12ihipStream_tbEUljE_ZNSN_ISO_Lb1ESQ_SR_ST_SU_SY_EESZ_S10_S11_S12_S16_S17_S18_S1B_S1C_jS1D_jS1E_S1E_jjS1G_bEUljE0_EEESZ_S10_S11_S18_S1C_S1E_T6_T7_T9_mT8_S1G_bDpT10_ENKUlT_T0_E_clISt17integral_constantIbLb1EES1T_IbLb0EEEEDaS1P_S1Q_EUlS1P_E_NS1_11comp_targetILNS1_3genE8ELNS1_11target_archE1030ELNS1_3gpuE2ELNS1_3repE0EEENS1_30default_config_static_selectorELNS0_4arch9wavefront6targetE0EEEvS12_.num_agpr, 0
	.set _ZN7rocprim17ROCPRIM_400000_NS6detail17trampoline_kernelINS0_13select_configILj256ELj13ELNS0_17block_load_methodE3ELS4_3ELS4_3ELNS0_20block_scan_algorithmE0ELj4294967295EEENS1_25partition_config_selectorILNS1_17partition_subalgoE4EjNS0_10empty_typeEbEEZZNS1_14partition_implILS8_4ELb0ES6_15HIP_vector_typeIjLj2EENS0_17counting_iteratorIjlEEPS9_SG_NS0_5tupleIJPjSI_NS0_16reverse_iteratorISI_EEEEENSH_IJSG_SG_SG_EEES9_SI_JZNS1_25segmented_radix_sort_implINS0_14default_configELb1EPKiPiPKlPlN2at6native12_GLOBAL__N_18offset_tEEE10hipError_tPvRmT1_PNSt15iterator_traitsIS12_E10value_typeET2_T3_PNS13_IS18_E10value_typeET4_jRbjT5_S1E_jjP12ihipStream_tbEUljE_ZNSN_ISO_Lb1ESQ_SR_ST_SU_SY_EESZ_S10_S11_S12_S16_S17_S18_S1B_S1C_jS1D_jS1E_S1E_jjS1G_bEUljE0_EEESZ_S10_S11_S18_S1C_S1E_T6_T7_T9_mT8_S1G_bDpT10_ENKUlT_T0_E_clISt17integral_constantIbLb1EES1T_IbLb0EEEEDaS1P_S1Q_EUlS1P_E_NS1_11comp_targetILNS1_3genE8ELNS1_11target_archE1030ELNS1_3gpuE2ELNS1_3repE0EEENS1_30default_config_static_selectorELNS0_4arch9wavefront6targetE0EEEvS12_.numbered_sgpr, 0
	.set _ZN7rocprim17ROCPRIM_400000_NS6detail17trampoline_kernelINS0_13select_configILj256ELj13ELNS0_17block_load_methodE3ELS4_3ELS4_3ELNS0_20block_scan_algorithmE0ELj4294967295EEENS1_25partition_config_selectorILNS1_17partition_subalgoE4EjNS0_10empty_typeEbEEZZNS1_14partition_implILS8_4ELb0ES6_15HIP_vector_typeIjLj2EENS0_17counting_iteratorIjlEEPS9_SG_NS0_5tupleIJPjSI_NS0_16reverse_iteratorISI_EEEEENSH_IJSG_SG_SG_EEES9_SI_JZNS1_25segmented_radix_sort_implINS0_14default_configELb1EPKiPiPKlPlN2at6native12_GLOBAL__N_18offset_tEEE10hipError_tPvRmT1_PNSt15iterator_traitsIS12_E10value_typeET2_T3_PNS13_IS18_E10value_typeET4_jRbjT5_S1E_jjP12ihipStream_tbEUljE_ZNSN_ISO_Lb1ESQ_SR_ST_SU_SY_EESZ_S10_S11_S12_S16_S17_S18_S1B_S1C_jS1D_jS1E_S1E_jjS1G_bEUljE0_EEESZ_S10_S11_S18_S1C_S1E_T6_T7_T9_mT8_S1G_bDpT10_ENKUlT_T0_E_clISt17integral_constantIbLb1EES1T_IbLb0EEEEDaS1P_S1Q_EUlS1P_E_NS1_11comp_targetILNS1_3genE8ELNS1_11target_archE1030ELNS1_3gpuE2ELNS1_3repE0EEENS1_30default_config_static_selectorELNS0_4arch9wavefront6targetE0EEEvS12_.num_named_barrier, 0
	.set _ZN7rocprim17ROCPRIM_400000_NS6detail17trampoline_kernelINS0_13select_configILj256ELj13ELNS0_17block_load_methodE3ELS4_3ELS4_3ELNS0_20block_scan_algorithmE0ELj4294967295EEENS1_25partition_config_selectorILNS1_17partition_subalgoE4EjNS0_10empty_typeEbEEZZNS1_14partition_implILS8_4ELb0ES6_15HIP_vector_typeIjLj2EENS0_17counting_iteratorIjlEEPS9_SG_NS0_5tupleIJPjSI_NS0_16reverse_iteratorISI_EEEEENSH_IJSG_SG_SG_EEES9_SI_JZNS1_25segmented_radix_sort_implINS0_14default_configELb1EPKiPiPKlPlN2at6native12_GLOBAL__N_18offset_tEEE10hipError_tPvRmT1_PNSt15iterator_traitsIS12_E10value_typeET2_T3_PNS13_IS18_E10value_typeET4_jRbjT5_S1E_jjP12ihipStream_tbEUljE_ZNSN_ISO_Lb1ESQ_SR_ST_SU_SY_EESZ_S10_S11_S12_S16_S17_S18_S1B_S1C_jS1D_jS1E_S1E_jjS1G_bEUljE0_EEESZ_S10_S11_S18_S1C_S1E_T6_T7_T9_mT8_S1G_bDpT10_ENKUlT_T0_E_clISt17integral_constantIbLb1EES1T_IbLb0EEEEDaS1P_S1Q_EUlS1P_E_NS1_11comp_targetILNS1_3genE8ELNS1_11target_archE1030ELNS1_3gpuE2ELNS1_3repE0EEENS1_30default_config_static_selectorELNS0_4arch9wavefront6targetE0EEEvS12_.private_seg_size, 0
	.set _ZN7rocprim17ROCPRIM_400000_NS6detail17trampoline_kernelINS0_13select_configILj256ELj13ELNS0_17block_load_methodE3ELS4_3ELS4_3ELNS0_20block_scan_algorithmE0ELj4294967295EEENS1_25partition_config_selectorILNS1_17partition_subalgoE4EjNS0_10empty_typeEbEEZZNS1_14partition_implILS8_4ELb0ES6_15HIP_vector_typeIjLj2EENS0_17counting_iteratorIjlEEPS9_SG_NS0_5tupleIJPjSI_NS0_16reverse_iteratorISI_EEEEENSH_IJSG_SG_SG_EEES9_SI_JZNS1_25segmented_radix_sort_implINS0_14default_configELb1EPKiPiPKlPlN2at6native12_GLOBAL__N_18offset_tEEE10hipError_tPvRmT1_PNSt15iterator_traitsIS12_E10value_typeET2_T3_PNS13_IS18_E10value_typeET4_jRbjT5_S1E_jjP12ihipStream_tbEUljE_ZNSN_ISO_Lb1ESQ_SR_ST_SU_SY_EESZ_S10_S11_S12_S16_S17_S18_S1B_S1C_jS1D_jS1E_S1E_jjS1G_bEUljE0_EEESZ_S10_S11_S18_S1C_S1E_T6_T7_T9_mT8_S1G_bDpT10_ENKUlT_T0_E_clISt17integral_constantIbLb1EES1T_IbLb0EEEEDaS1P_S1Q_EUlS1P_E_NS1_11comp_targetILNS1_3genE8ELNS1_11target_archE1030ELNS1_3gpuE2ELNS1_3repE0EEENS1_30default_config_static_selectorELNS0_4arch9wavefront6targetE0EEEvS12_.uses_vcc, 0
	.set _ZN7rocprim17ROCPRIM_400000_NS6detail17trampoline_kernelINS0_13select_configILj256ELj13ELNS0_17block_load_methodE3ELS4_3ELS4_3ELNS0_20block_scan_algorithmE0ELj4294967295EEENS1_25partition_config_selectorILNS1_17partition_subalgoE4EjNS0_10empty_typeEbEEZZNS1_14partition_implILS8_4ELb0ES6_15HIP_vector_typeIjLj2EENS0_17counting_iteratorIjlEEPS9_SG_NS0_5tupleIJPjSI_NS0_16reverse_iteratorISI_EEEEENSH_IJSG_SG_SG_EEES9_SI_JZNS1_25segmented_radix_sort_implINS0_14default_configELb1EPKiPiPKlPlN2at6native12_GLOBAL__N_18offset_tEEE10hipError_tPvRmT1_PNSt15iterator_traitsIS12_E10value_typeET2_T3_PNS13_IS18_E10value_typeET4_jRbjT5_S1E_jjP12ihipStream_tbEUljE_ZNSN_ISO_Lb1ESQ_SR_ST_SU_SY_EESZ_S10_S11_S12_S16_S17_S18_S1B_S1C_jS1D_jS1E_S1E_jjS1G_bEUljE0_EEESZ_S10_S11_S18_S1C_S1E_T6_T7_T9_mT8_S1G_bDpT10_ENKUlT_T0_E_clISt17integral_constantIbLb1EES1T_IbLb0EEEEDaS1P_S1Q_EUlS1P_E_NS1_11comp_targetILNS1_3genE8ELNS1_11target_archE1030ELNS1_3gpuE2ELNS1_3repE0EEENS1_30default_config_static_selectorELNS0_4arch9wavefront6targetE0EEEvS12_.uses_flat_scratch, 0
	.set _ZN7rocprim17ROCPRIM_400000_NS6detail17trampoline_kernelINS0_13select_configILj256ELj13ELNS0_17block_load_methodE3ELS4_3ELS4_3ELNS0_20block_scan_algorithmE0ELj4294967295EEENS1_25partition_config_selectorILNS1_17partition_subalgoE4EjNS0_10empty_typeEbEEZZNS1_14partition_implILS8_4ELb0ES6_15HIP_vector_typeIjLj2EENS0_17counting_iteratorIjlEEPS9_SG_NS0_5tupleIJPjSI_NS0_16reverse_iteratorISI_EEEEENSH_IJSG_SG_SG_EEES9_SI_JZNS1_25segmented_radix_sort_implINS0_14default_configELb1EPKiPiPKlPlN2at6native12_GLOBAL__N_18offset_tEEE10hipError_tPvRmT1_PNSt15iterator_traitsIS12_E10value_typeET2_T3_PNS13_IS18_E10value_typeET4_jRbjT5_S1E_jjP12ihipStream_tbEUljE_ZNSN_ISO_Lb1ESQ_SR_ST_SU_SY_EESZ_S10_S11_S12_S16_S17_S18_S1B_S1C_jS1D_jS1E_S1E_jjS1G_bEUljE0_EEESZ_S10_S11_S18_S1C_S1E_T6_T7_T9_mT8_S1G_bDpT10_ENKUlT_T0_E_clISt17integral_constantIbLb1EES1T_IbLb0EEEEDaS1P_S1Q_EUlS1P_E_NS1_11comp_targetILNS1_3genE8ELNS1_11target_archE1030ELNS1_3gpuE2ELNS1_3repE0EEENS1_30default_config_static_selectorELNS0_4arch9wavefront6targetE0EEEvS12_.has_dyn_sized_stack, 0
	.set _ZN7rocprim17ROCPRIM_400000_NS6detail17trampoline_kernelINS0_13select_configILj256ELj13ELNS0_17block_load_methodE3ELS4_3ELS4_3ELNS0_20block_scan_algorithmE0ELj4294967295EEENS1_25partition_config_selectorILNS1_17partition_subalgoE4EjNS0_10empty_typeEbEEZZNS1_14partition_implILS8_4ELb0ES6_15HIP_vector_typeIjLj2EENS0_17counting_iteratorIjlEEPS9_SG_NS0_5tupleIJPjSI_NS0_16reverse_iteratorISI_EEEEENSH_IJSG_SG_SG_EEES9_SI_JZNS1_25segmented_radix_sort_implINS0_14default_configELb1EPKiPiPKlPlN2at6native12_GLOBAL__N_18offset_tEEE10hipError_tPvRmT1_PNSt15iterator_traitsIS12_E10value_typeET2_T3_PNS13_IS18_E10value_typeET4_jRbjT5_S1E_jjP12ihipStream_tbEUljE_ZNSN_ISO_Lb1ESQ_SR_ST_SU_SY_EESZ_S10_S11_S12_S16_S17_S18_S1B_S1C_jS1D_jS1E_S1E_jjS1G_bEUljE0_EEESZ_S10_S11_S18_S1C_S1E_T6_T7_T9_mT8_S1G_bDpT10_ENKUlT_T0_E_clISt17integral_constantIbLb1EES1T_IbLb0EEEEDaS1P_S1Q_EUlS1P_E_NS1_11comp_targetILNS1_3genE8ELNS1_11target_archE1030ELNS1_3gpuE2ELNS1_3repE0EEENS1_30default_config_static_selectorELNS0_4arch9wavefront6targetE0EEEvS12_.has_recursion, 0
	.set _ZN7rocprim17ROCPRIM_400000_NS6detail17trampoline_kernelINS0_13select_configILj256ELj13ELNS0_17block_load_methodE3ELS4_3ELS4_3ELNS0_20block_scan_algorithmE0ELj4294967295EEENS1_25partition_config_selectorILNS1_17partition_subalgoE4EjNS0_10empty_typeEbEEZZNS1_14partition_implILS8_4ELb0ES6_15HIP_vector_typeIjLj2EENS0_17counting_iteratorIjlEEPS9_SG_NS0_5tupleIJPjSI_NS0_16reverse_iteratorISI_EEEEENSH_IJSG_SG_SG_EEES9_SI_JZNS1_25segmented_radix_sort_implINS0_14default_configELb1EPKiPiPKlPlN2at6native12_GLOBAL__N_18offset_tEEE10hipError_tPvRmT1_PNSt15iterator_traitsIS12_E10value_typeET2_T3_PNS13_IS18_E10value_typeET4_jRbjT5_S1E_jjP12ihipStream_tbEUljE_ZNSN_ISO_Lb1ESQ_SR_ST_SU_SY_EESZ_S10_S11_S12_S16_S17_S18_S1B_S1C_jS1D_jS1E_S1E_jjS1G_bEUljE0_EEESZ_S10_S11_S18_S1C_S1E_T6_T7_T9_mT8_S1G_bDpT10_ENKUlT_T0_E_clISt17integral_constantIbLb1EES1T_IbLb0EEEEDaS1P_S1Q_EUlS1P_E_NS1_11comp_targetILNS1_3genE8ELNS1_11target_archE1030ELNS1_3gpuE2ELNS1_3repE0EEENS1_30default_config_static_selectorELNS0_4arch9wavefront6targetE0EEEvS12_.has_indirect_call, 0
	.section	.AMDGPU.csdata,"",@progbits
; Kernel info:
; codeLenInByte = 0
; TotalNumSgprs: 0
; NumVgprs: 0
; ScratchSize: 0
; MemoryBound: 0
; FloatMode: 240
; IeeeMode: 1
; LDSByteSize: 0 bytes/workgroup (compile time only)
; SGPRBlocks: 0
; VGPRBlocks: 0
; NumSGPRsForWavesPerEU: 1
; NumVGPRsForWavesPerEU: 1
; NamedBarCnt: 0
; Occupancy: 16
; WaveLimiterHint : 0
; COMPUTE_PGM_RSRC2:SCRATCH_EN: 0
; COMPUTE_PGM_RSRC2:USER_SGPR: 2
; COMPUTE_PGM_RSRC2:TRAP_HANDLER: 0
; COMPUTE_PGM_RSRC2:TGID_X_EN: 1
; COMPUTE_PGM_RSRC2:TGID_Y_EN: 0
; COMPUTE_PGM_RSRC2:TGID_Z_EN: 0
; COMPUTE_PGM_RSRC2:TIDIG_COMP_CNT: 0
	.section	.text._ZN7rocprim17ROCPRIM_400000_NS6detail17trampoline_kernelINS0_13select_configILj256ELj13ELNS0_17block_load_methodE3ELS4_3ELS4_3ELNS0_20block_scan_algorithmE0ELj4294967295EEENS1_25partition_config_selectorILNS1_17partition_subalgoE4EjNS0_10empty_typeEbEEZZNS1_14partition_implILS8_4ELb0ES6_15HIP_vector_typeIjLj2EENS0_17counting_iteratorIjlEEPS9_SG_NS0_5tupleIJPjSI_NS0_16reverse_iteratorISI_EEEEENSH_IJSG_SG_SG_EEES9_SI_JZNS1_25segmented_radix_sort_implINS0_14default_configELb1EPKiPiPKlPlN2at6native12_GLOBAL__N_18offset_tEEE10hipError_tPvRmT1_PNSt15iterator_traitsIS12_E10value_typeET2_T3_PNS13_IS18_E10value_typeET4_jRbjT5_S1E_jjP12ihipStream_tbEUljE_ZNSN_ISO_Lb1ESQ_SR_ST_SU_SY_EESZ_S10_S11_S12_S16_S17_S18_S1B_S1C_jS1D_jS1E_S1E_jjS1G_bEUljE0_EEESZ_S10_S11_S18_S1C_S1E_T6_T7_T9_mT8_S1G_bDpT10_ENKUlT_T0_E_clISt17integral_constantIbLb0EES1T_IbLb1EEEEDaS1P_S1Q_EUlS1P_E_NS1_11comp_targetILNS1_3genE0ELNS1_11target_archE4294967295ELNS1_3gpuE0ELNS1_3repE0EEENS1_30default_config_static_selectorELNS0_4arch9wavefront6targetE0EEEvS12_,"axG",@progbits,_ZN7rocprim17ROCPRIM_400000_NS6detail17trampoline_kernelINS0_13select_configILj256ELj13ELNS0_17block_load_methodE3ELS4_3ELS4_3ELNS0_20block_scan_algorithmE0ELj4294967295EEENS1_25partition_config_selectorILNS1_17partition_subalgoE4EjNS0_10empty_typeEbEEZZNS1_14partition_implILS8_4ELb0ES6_15HIP_vector_typeIjLj2EENS0_17counting_iteratorIjlEEPS9_SG_NS0_5tupleIJPjSI_NS0_16reverse_iteratorISI_EEEEENSH_IJSG_SG_SG_EEES9_SI_JZNS1_25segmented_radix_sort_implINS0_14default_configELb1EPKiPiPKlPlN2at6native12_GLOBAL__N_18offset_tEEE10hipError_tPvRmT1_PNSt15iterator_traitsIS12_E10value_typeET2_T3_PNS13_IS18_E10value_typeET4_jRbjT5_S1E_jjP12ihipStream_tbEUljE_ZNSN_ISO_Lb1ESQ_SR_ST_SU_SY_EESZ_S10_S11_S12_S16_S17_S18_S1B_S1C_jS1D_jS1E_S1E_jjS1G_bEUljE0_EEESZ_S10_S11_S18_S1C_S1E_T6_T7_T9_mT8_S1G_bDpT10_ENKUlT_T0_E_clISt17integral_constantIbLb0EES1T_IbLb1EEEEDaS1P_S1Q_EUlS1P_E_NS1_11comp_targetILNS1_3genE0ELNS1_11target_archE4294967295ELNS1_3gpuE0ELNS1_3repE0EEENS1_30default_config_static_selectorELNS0_4arch9wavefront6targetE0EEEvS12_,comdat
	.globl	_ZN7rocprim17ROCPRIM_400000_NS6detail17trampoline_kernelINS0_13select_configILj256ELj13ELNS0_17block_load_methodE3ELS4_3ELS4_3ELNS0_20block_scan_algorithmE0ELj4294967295EEENS1_25partition_config_selectorILNS1_17partition_subalgoE4EjNS0_10empty_typeEbEEZZNS1_14partition_implILS8_4ELb0ES6_15HIP_vector_typeIjLj2EENS0_17counting_iteratorIjlEEPS9_SG_NS0_5tupleIJPjSI_NS0_16reverse_iteratorISI_EEEEENSH_IJSG_SG_SG_EEES9_SI_JZNS1_25segmented_radix_sort_implINS0_14default_configELb1EPKiPiPKlPlN2at6native12_GLOBAL__N_18offset_tEEE10hipError_tPvRmT1_PNSt15iterator_traitsIS12_E10value_typeET2_T3_PNS13_IS18_E10value_typeET4_jRbjT5_S1E_jjP12ihipStream_tbEUljE_ZNSN_ISO_Lb1ESQ_SR_ST_SU_SY_EESZ_S10_S11_S12_S16_S17_S18_S1B_S1C_jS1D_jS1E_S1E_jjS1G_bEUljE0_EEESZ_S10_S11_S18_S1C_S1E_T6_T7_T9_mT8_S1G_bDpT10_ENKUlT_T0_E_clISt17integral_constantIbLb0EES1T_IbLb1EEEEDaS1P_S1Q_EUlS1P_E_NS1_11comp_targetILNS1_3genE0ELNS1_11target_archE4294967295ELNS1_3gpuE0ELNS1_3repE0EEENS1_30default_config_static_selectorELNS0_4arch9wavefront6targetE0EEEvS12_ ; -- Begin function _ZN7rocprim17ROCPRIM_400000_NS6detail17trampoline_kernelINS0_13select_configILj256ELj13ELNS0_17block_load_methodE3ELS4_3ELS4_3ELNS0_20block_scan_algorithmE0ELj4294967295EEENS1_25partition_config_selectorILNS1_17partition_subalgoE4EjNS0_10empty_typeEbEEZZNS1_14partition_implILS8_4ELb0ES6_15HIP_vector_typeIjLj2EENS0_17counting_iteratorIjlEEPS9_SG_NS0_5tupleIJPjSI_NS0_16reverse_iteratorISI_EEEEENSH_IJSG_SG_SG_EEES9_SI_JZNS1_25segmented_radix_sort_implINS0_14default_configELb1EPKiPiPKlPlN2at6native12_GLOBAL__N_18offset_tEEE10hipError_tPvRmT1_PNSt15iterator_traitsIS12_E10value_typeET2_T3_PNS13_IS18_E10value_typeET4_jRbjT5_S1E_jjP12ihipStream_tbEUljE_ZNSN_ISO_Lb1ESQ_SR_ST_SU_SY_EESZ_S10_S11_S12_S16_S17_S18_S1B_S1C_jS1D_jS1E_S1E_jjS1G_bEUljE0_EEESZ_S10_S11_S18_S1C_S1E_T6_T7_T9_mT8_S1G_bDpT10_ENKUlT_T0_E_clISt17integral_constantIbLb0EES1T_IbLb1EEEEDaS1P_S1Q_EUlS1P_E_NS1_11comp_targetILNS1_3genE0ELNS1_11target_archE4294967295ELNS1_3gpuE0ELNS1_3repE0EEENS1_30default_config_static_selectorELNS0_4arch9wavefront6targetE0EEEvS12_
	.p2align	8
	.type	_ZN7rocprim17ROCPRIM_400000_NS6detail17trampoline_kernelINS0_13select_configILj256ELj13ELNS0_17block_load_methodE3ELS4_3ELS4_3ELNS0_20block_scan_algorithmE0ELj4294967295EEENS1_25partition_config_selectorILNS1_17partition_subalgoE4EjNS0_10empty_typeEbEEZZNS1_14partition_implILS8_4ELb0ES6_15HIP_vector_typeIjLj2EENS0_17counting_iteratorIjlEEPS9_SG_NS0_5tupleIJPjSI_NS0_16reverse_iteratorISI_EEEEENSH_IJSG_SG_SG_EEES9_SI_JZNS1_25segmented_radix_sort_implINS0_14default_configELb1EPKiPiPKlPlN2at6native12_GLOBAL__N_18offset_tEEE10hipError_tPvRmT1_PNSt15iterator_traitsIS12_E10value_typeET2_T3_PNS13_IS18_E10value_typeET4_jRbjT5_S1E_jjP12ihipStream_tbEUljE_ZNSN_ISO_Lb1ESQ_SR_ST_SU_SY_EESZ_S10_S11_S12_S16_S17_S18_S1B_S1C_jS1D_jS1E_S1E_jjS1G_bEUljE0_EEESZ_S10_S11_S18_S1C_S1E_T6_T7_T9_mT8_S1G_bDpT10_ENKUlT_T0_E_clISt17integral_constantIbLb0EES1T_IbLb1EEEEDaS1P_S1Q_EUlS1P_E_NS1_11comp_targetILNS1_3genE0ELNS1_11target_archE4294967295ELNS1_3gpuE0ELNS1_3repE0EEENS1_30default_config_static_selectorELNS0_4arch9wavefront6targetE0EEEvS12_,@function
_ZN7rocprim17ROCPRIM_400000_NS6detail17trampoline_kernelINS0_13select_configILj256ELj13ELNS0_17block_load_methodE3ELS4_3ELS4_3ELNS0_20block_scan_algorithmE0ELj4294967295EEENS1_25partition_config_selectorILNS1_17partition_subalgoE4EjNS0_10empty_typeEbEEZZNS1_14partition_implILS8_4ELb0ES6_15HIP_vector_typeIjLj2EENS0_17counting_iteratorIjlEEPS9_SG_NS0_5tupleIJPjSI_NS0_16reverse_iteratorISI_EEEEENSH_IJSG_SG_SG_EEES9_SI_JZNS1_25segmented_radix_sort_implINS0_14default_configELb1EPKiPiPKlPlN2at6native12_GLOBAL__N_18offset_tEEE10hipError_tPvRmT1_PNSt15iterator_traitsIS12_E10value_typeET2_T3_PNS13_IS18_E10value_typeET4_jRbjT5_S1E_jjP12ihipStream_tbEUljE_ZNSN_ISO_Lb1ESQ_SR_ST_SU_SY_EESZ_S10_S11_S12_S16_S17_S18_S1B_S1C_jS1D_jS1E_S1E_jjS1G_bEUljE0_EEESZ_S10_S11_S18_S1C_S1E_T6_T7_T9_mT8_S1G_bDpT10_ENKUlT_T0_E_clISt17integral_constantIbLb0EES1T_IbLb1EEEEDaS1P_S1Q_EUlS1P_E_NS1_11comp_targetILNS1_3genE0ELNS1_11target_archE4294967295ELNS1_3gpuE0ELNS1_3repE0EEENS1_30default_config_static_selectorELNS0_4arch9wavefront6targetE0EEEvS12_: ; @_ZN7rocprim17ROCPRIM_400000_NS6detail17trampoline_kernelINS0_13select_configILj256ELj13ELNS0_17block_load_methodE3ELS4_3ELS4_3ELNS0_20block_scan_algorithmE0ELj4294967295EEENS1_25partition_config_selectorILNS1_17partition_subalgoE4EjNS0_10empty_typeEbEEZZNS1_14partition_implILS8_4ELb0ES6_15HIP_vector_typeIjLj2EENS0_17counting_iteratorIjlEEPS9_SG_NS0_5tupleIJPjSI_NS0_16reverse_iteratorISI_EEEEENSH_IJSG_SG_SG_EEES9_SI_JZNS1_25segmented_radix_sort_implINS0_14default_configELb1EPKiPiPKlPlN2at6native12_GLOBAL__N_18offset_tEEE10hipError_tPvRmT1_PNSt15iterator_traitsIS12_E10value_typeET2_T3_PNS13_IS18_E10value_typeET4_jRbjT5_S1E_jjP12ihipStream_tbEUljE_ZNSN_ISO_Lb1ESQ_SR_ST_SU_SY_EESZ_S10_S11_S12_S16_S17_S18_S1B_S1C_jS1D_jS1E_S1E_jjS1G_bEUljE0_EEESZ_S10_S11_S18_S1C_S1E_T6_T7_T9_mT8_S1G_bDpT10_ENKUlT_T0_E_clISt17integral_constantIbLb0EES1T_IbLb1EEEEDaS1P_S1Q_EUlS1P_E_NS1_11comp_targetILNS1_3genE0ELNS1_11target_archE4294967295ELNS1_3gpuE0ELNS1_3repE0EEENS1_30default_config_static_selectorELNS0_4arch9wavefront6targetE0EEEvS12_
; %bb.0:
	s_clause 0x7
	s_load_b64 s[34:35], s[0:1], 0x10
	s_load_b128 s[28:31], s[0:1], 0x28
	s_load_b64 s[14:15], s[0:1], 0x38
	s_load_b128 s[24:27], s[0:1], 0x58
	s_load_b64 s[4:5], s[0:1], 0x68
	s_load_b64 s[36:37], s[0:1], 0x78
	;; [unrolled: 1-line block ×3, first 2 shown]
	s_load_b256 s[16:23], s[0:1], 0x90
	v_cmp_eq_u32_e64 s2, 0, v0
	s_and_saveexec_b32 s3, s2
	s_cbranch_execz .LBB453_4
; %bb.1:
	s_mov_b32 s7, exec_lo
	s_mov_b32 s6, exec_lo
	v_mbcnt_lo_u32_b32 v1, s7, 0
                                        ; implicit-def: $vgpr2
	s_delay_alu instid0(VALU_DEP_1)
	v_cmpx_eq_u32_e32 0, v1
	s_cbranch_execz .LBB453_3
; %bb.2:
	s_load_b64 s[8:9], s[0:1], 0x88
	s_bcnt1_i32_b32 s7, s7
	s_delay_alu instid0(SALU_CYCLE_1)
	v_dual_mov_b32 v2, 0 :: v_dual_mov_b32 v3, s7
	s_wait_xcnt 0x0
	s_wait_kmcnt 0x0
	global_atomic_add_u32 v2, v2, v3, s[8:9] th:TH_ATOMIC_RETURN scope:SCOPE_DEV
.LBB453_3:
	s_wait_xcnt 0x0
	s_or_b32 exec_lo, exec_lo, s6
	s_wait_loadcnt 0x0
	v_readfirstlane_b32 s6, v2
	s_delay_alu instid0(VALU_DEP_1)
	v_dual_mov_b32 v2, 0 :: v_dual_add_nc_u32 v1, s6, v1
	ds_store_b32 v2, v1
.LBB453_4:
	s_or_b32 exec_lo, exec_lo, s3
	v_mov_b32_e32 v1, 0
	s_clause 0x1
	s_load_b32 s3, s[0:1], 0x8
	s_load_b32 s6, s[0:1], 0x80
	s_wait_dscnt 0x0
	s_barrier_signal -1
	s_barrier_wait -1
	ds_load_b32 v6, v1
	s_wait_dscnt 0x0
	s_barrier_signal -1
	s_barrier_wait -1
	s_wait_kmcnt 0x0
	global_load_b128 v[2:5], v1, s[26:27]
	s_mov_b32 s1, 0
	s_add_co_i32 s3, s3, s34
	s_mul_i32 s0, s6, 0xd00
	s_add_co_i32 s6, s6, -1
	s_add_nc_u64 s[8:9], s[34:35], s[0:1]
	s_delay_alu instid0(SALU_CYCLE_1)
	v_cmp_gt_u64_e64 s1, s[4:5], s[8:9]
	v_mul_lo_u32 v14, 0xd00, v6
	s_wait_xcnt 0x0
	v_readfirstlane_b32 s27, v6
	v_cmp_ne_u32_e32 vcc_lo, s6, v6
	s_cmp_eq_u32 s27, s6
	s_cselect_b32 s26, -1, 0
	s_or_b32 s1, s1, vcc_lo
	v_add3_u32 v1, v14, s3, v0
	s_and_b32 vcc_lo, exec_lo, s1
	s_mov_b32 s3, -1
	s_delay_alu instid0(VALU_DEP_1)
	v_add_nc_u32_e32 v6, 0x100, v1
	v_add_nc_u32_e32 v7, 0x200, v1
	;; [unrolled: 1-line block ×12, first 2 shown]
	s_cbranch_vccz .LBB453_6
; %bb.5:
	v_lshlrev_b32_e32 v19, 2, v0
	s_mov_b32 s3, 0
	ds_store_2addr_stride64_b32 v19, v1, v6 offset1:4
	ds_store_2addr_stride64_b32 v19, v7, v8 offset0:8 offset1:12
	ds_store_2addr_stride64_b32 v19, v9, v10 offset0:16 offset1:20
	;; [unrolled: 1-line block ×5, first 2 shown]
	ds_store_b32 v19, v18 offset:12288
	s_wait_loadcnt_dscnt 0x0
	s_barrier_signal -1
	s_barrier_wait -1
.LBB453_6:
	s_and_not1_b32 vcc_lo, exec_lo, s3
	s_add_co_i32 s0, s0, s34
	s_cbranch_vccnz .LBB453_8
; %bb.7:
	v_lshlrev_b32_e32 v19, 2, v0
	ds_store_2addr_stride64_b32 v19, v1, v6 offset1:4
	ds_store_2addr_stride64_b32 v19, v7, v8 offset0:8 offset1:12
	ds_store_2addr_stride64_b32 v19, v9, v10 offset0:16 offset1:20
	;; [unrolled: 1-line block ×5, first 2 shown]
	ds_store_b32 v19, v18 offset:12288
	s_wait_loadcnt_dscnt 0x0
	s_barrier_signal -1
	s_barrier_wait -1
.LBB453_8:
	v_mul_u32_u24_e32 v15, 13, v0
	s_wait_loadcnt 0x0
	v_cndmask_b32_e64 v35, 0, 1, s1
	s_sub_co_i32 s33, s4, s0
	s_and_not1_b32 vcc_lo, exec_lo, s1
	v_lshlrev_b32_e32 v1, 2, v15
	ds_load_b32 v34, v1 offset:48
	ds_load_2addr_b32 v[16:17], v1 offset0:10 offset1:11
	ds_load_2addr_b32 v[18:19], v1 offset0:8 offset1:9
	;; [unrolled: 1-line block ×4, first 2 shown]
	ds_load_2addr_b32 v[26:27], v1 offset1:1
	ds_load_2addr_b32 v[24:25], v1 offset0:2 offset1:3
	s_wait_dscnt 0x0
	s_barrier_signal -1
	s_barrier_wait -1
	s_cbranch_vccnz .LBB453_36
; %bb.9:
	v_dual_add_nc_u32 v1, s17, v26 :: v_dual_add_nc_u32 v6, s19, v26
	s_mov_b32 s41, 0
	s_mov_b32 s40, 0
	s_mov_b32 s1, exec_lo
	s_delay_alu instid0(VALU_DEP_1) | instskip(SKIP_1) | instid1(VALU_DEP_1)
	v_mul_lo_u32 v1, v1, s16
	v_mul_lo_u32 v6, v6, s18
	v_sub_nc_u32_e32 v1, v1, v6
	s_delay_alu instid0(VALU_DEP_1)
	v_cmp_lt_u32_e32 vcc_lo, s20, v1
	v_cmpx_ge_u32_e64 s20, v1
	s_cbranch_execz .LBB453_11
; %bb.10:
	v_dual_add_nc_u32 v1, s22, v26 :: v_dual_add_nc_u32 v6, s38, v26
	s_delay_alu instid0(VALU_DEP_1) | instskip(NEXT) | instid1(VALU_DEP_2)
	v_mul_lo_u32 v1, v1, s21
	v_mul_lo_u32 v6, v6, s23
	s_delay_alu instid0(VALU_DEP_1) | instskip(NEXT) | instid1(VALU_DEP_1)
	v_sub_nc_u32_e32 v1, v1, v6
	v_cmp_lt_u32_e64 s0, s39, v1
	s_and_b32 s40, s0, exec_lo
.LBB453_11:
	s_or_b32 exec_lo, exec_lo, s1
	v_dual_add_nc_u32 v1, s17, v27 :: v_dual_add_nc_u32 v6, s19, v27
	s_mov_b32 s3, exec_lo
	s_delay_alu instid0(VALU_DEP_1) | instskip(NEXT) | instid1(VALU_DEP_2)
	v_mul_lo_u32 v1, v1, s16
	v_mul_lo_u32 v6, v6, s18
	s_delay_alu instid0(VALU_DEP_1) | instskip(NEXT) | instid1(VALU_DEP_1)
	v_sub_nc_u32_e32 v1, v1, v6
	v_cmp_lt_u32_e64 s0, s20, v1
	v_cmpx_ge_u32_e64 s20, v1
	s_cbranch_execz .LBB453_13
; %bb.12:
	v_dual_add_nc_u32 v1, s22, v27 :: v_dual_add_nc_u32 v6, s38, v27
	s_delay_alu instid0(VALU_DEP_1) | instskip(NEXT) | instid1(VALU_DEP_2)
	v_mul_lo_u32 v1, v1, s21
	v_mul_lo_u32 v6, v6, s23
	s_delay_alu instid0(VALU_DEP_1) | instskip(NEXT) | instid1(VALU_DEP_1)
	v_sub_nc_u32_e32 v1, v1, v6
	v_cmp_lt_u32_e64 s1, s39, v1
	s_and_b32 s41, s1, exec_lo
.LBB453_13:
	s_or_b32 exec_lo, exec_lo, s3
	v_dual_add_nc_u32 v1, s17, v24 :: v_dual_add_nc_u32 v6, s19, v24
	s_mov_b32 s43, 0
	s_mov_b32 s42, 0
	s_mov_b32 s4, exec_lo
	s_delay_alu instid0(VALU_DEP_1) | instskip(SKIP_1) | instid1(VALU_DEP_1)
	v_mul_lo_u32 v1, v1, s16
	v_mul_lo_u32 v6, v6, s18
	v_sub_nc_u32_e32 v1, v1, v6
	s_delay_alu instid0(VALU_DEP_1)
	v_cmp_lt_u32_e64 s1, s20, v1
	v_cmpx_ge_u32_e64 s20, v1
	s_cbranch_execz .LBB453_15
; %bb.14:
	v_dual_add_nc_u32 v1, s22, v24 :: v_dual_add_nc_u32 v6, s38, v24
	s_delay_alu instid0(VALU_DEP_1) | instskip(NEXT) | instid1(VALU_DEP_2)
	v_mul_lo_u32 v1, v1, s21
	v_mul_lo_u32 v6, v6, s23
	s_delay_alu instid0(VALU_DEP_1) | instskip(NEXT) | instid1(VALU_DEP_1)
	v_sub_nc_u32_e32 v1, v1, v6
	v_cmp_lt_u32_e64 s3, s39, v1
	s_and_b32 s42, s3, exec_lo
.LBB453_15:
	s_or_b32 exec_lo, exec_lo, s4
	v_dual_add_nc_u32 v1, s17, v25 :: v_dual_add_nc_u32 v6, s19, v25
	s_mov_b32 s5, exec_lo
	s_delay_alu instid0(VALU_DEP_1) | instskip(NEXT) | instid1(VALU_DEP_2)
	v_mul_lo_u32 v1, v1, s16
	v_mul_lo_u32 v6, v6, s18
	s_delay_alu instid0(VALU_DEP_1) | instskip(NEXT) | instid1(VALU_DEP_1)
	v_sub_nc_u32_e32 v1, v1, v6
	v_cmp_lt_u32_e64 s3, s20, v1
	v_cmpx_ge_u32_e64 s20, v1
	s_cbranch_execz .LBB453_17
; %bb.16:
	v_dual_add_nc_u32 v1, s22, v25 :: v_dual_add_nc_u32 v6, s38, v25
	s_delay_alu instid0(VALU_DEP_1) | instskip(NEXT) | instid1(VALU_DEP_2)
	v_mul_lo_u32 v1, v1, s21
	v_mul_lo_u32 v6, v6, s23
	s_delay_alu instid0(VALU_DEP_1) | instskip(NEXT) | instid1(VALU_DEP_1)
	v_sub_nc_u32_e32 v1, v1, v6
	v_cmp_lt_u32_e64 s4, s39, v1
	s_and_b32 s43, s4, exec_lo
.LBB453_17:
	s_or_b32 exec_lo, exec_lo, s5
	v_dual_add_nc_u32 v1, s17, v22 :: v_dual_add_nc_u32 v6, s19, v22
	s_mov_b32 s45, 0
	s_mov_b32 s44, 0
	s_mov_b32 s6, exec_lo
	s_delay_alu instid0(VALU_DEP_1) | instskip(SKIP_1) | instid1(VALU_DEP_1)
	v_mul_lo_u32 v1, v1, s16
	v_mul_lo_u32 v6, v6, s18
	v_sub_nc_u32_e32 v1, v1, v6
	s_delay_alu instid0(VALU_DEP_1)
	v_cmp_lt_u32_e64 s4, s20, v1
	;; [unrolled: 44-line block ×6, first 2 shown]
	v_cmpx_ge_u32_e64 s20, v1
	s_cbranch_execz .LBB453_35
; %bb.34:
	v_dual_add_nc_u32 v1, s22, v34 :: v_dual_add_nc_u32 v6, s38, v34
	s_delay_alu instid0(VALU_DEP_1) | instskip(NEXT) | instid1(VALU_DEP_2)
	v_mul_lo_u32 v1, v1, s21
	v_mul_lo_u32 v6, v6, s23
	s_delay_alu instid0(VALU_DEP_1) | instskip(NEXT) | instid1(VALU_DEP_1)
	v_sub_nc_u32_e32 v1, v1, v6
	v_cmp_lt_u32_e64 s13, s39, v1
	s_and_b32 s53, s13, exec_lo
.LBB453_35:
	s_or_b32 exec_lo, exec_lo, s54
	v_cndmask_b32_e64 v6, 0, 1, s0
	v_cndmask_b32_e64 v8, 0, 1, s3
	v_cndmask_b32_e64 v1, 0, 1, vcc_lo
	v_cndmask_b32_e64 v7, 0, 1, s1
	v_cndmask_b32_e64 v10, 0, 1, s5
	v_lshlrev_b16 v6, 8, v6
	v_lshlrev_b16 v8, 8, v8
	v_cndmask_b32_e64 v12, 0, 1, s7
	v_cndmask_b32_e64 v28, 0, 1, s9
	;; [unrolled: 1-line block ×3, first 2 shown]
	v_or_b32_e32 v1, v1, v6
	v_or_b32_e32 v6, v7, v8
	v_cndmask_b32_e64 v8, 0, 1, s42
	v_cndmask_b32_e64 v9, 0, 1, s4
	;; [unrolled: 1-line block ×4, first 2 shown]
	v_lshlrev_b32_e32 v6, 16, v6
	v_and_b32_e32 v1, 0xffff, v1
	v_cndmask_b32_e64 v38, 0, 1, s46
	v_cndmask_b32_e64 v41, 0, 1, s44
	;; [unrolled: 1-line block ×4, first 2 shown]
	v_or_b32_e32 v36, v1, v6
	v_lshlrev_b16 v1, 8, v10
	v_lshlrev_b16 v6, 8, v12
	;; [unrolled: 1-line block ×5, first 2 shown]
	v_cndmask_b32_e64 v11, 0, 1, s6
	v_cndmask_b32_e64 v30, 0, 1, s52
	;; [unrolled: 1-line block ×6, first 2 shown]
	v_lshlrev_b16 v28, 8, v44
	v_or_b32_e32 v8, v42, v8
	v_or_b32_e32 v1, v9, v1
	;; [unrolled: 1-line block ×4, first 2 shown]
	v_lshlrev_b16 v12, 8, v41
	v_lshlrev_b16 v13, 8, v38
	v_cndmask_b32_e64 v32, 0, 1, s50
	v_cndmask_b32_e64 v37, 0, 1, s47
	v_lshlrev_b16 v29, 8, v30
	v_or_b32_e32 v7, v7, v12
	v_or_b32_e32 v12, v40, v13
	;; [unrolled: 1-line block ×4, first 2 shown]
	v_lshlrev_b16 v28, 8, v33
	v_dual_lshlrev_b32 v10, 16, v10 :: v_dual_lshlrev_b32 v8, 16, v8
	v_and_b32_e32 v1, 0xffff, v1
	s_delay_alu instid0(VALU_DEP_4) | instskip(NEXT) | instid1(VALU_DEP_4)
	v_and_b32_e32 v11, 0xffff, v11
	v_or_b32_e32 v13, v37, v28
	v_or_b32_e32 v28, v32, v29
	v_and_b32_e32 v7, 0xffff, v7
	v_dual_lshlrev_b32 v12, 16, v12 :: v_dual_lshlrev_b32 v6, 16, v6
	s_delay_alu instid0(VALU_DEP_4) | instskip(NEXT) | instid1(VALU_DEP_4)
	v_and_b32_e32 v13, 0xffff, v13
	v_lshlrev_b32_e32 v28, 16, v28
	v_and_b32_e32 v9, 0xffff, v9
	v_cndmask_b32_e64 v39, 0, 1, s51
	v_cndmask_b32_e64 v43, 0, 1, s53
	v_or_b32_e32 v38, v1, v6
	v_or_b32_e32 v42, v11, v8
	;; [unrolled: 1-line block ×5, first 2 shown]
	s_and_b32 vcc_lo, exec_lo, s48
	s_add_co_i32 s5, s33, 0xd00
	s_cbranch_vccnz .LBB453_37
	s_branch .LBB453_114
.LBB453_36:
                                        ; implicit-def: $vgpr43
                                        ; implicit-def: $vgpr39
                                        ; implicit-def: $vgpr40
                                        ; implicit-def: $vgpr37
                                        ; implicit-def: $vgpr42
                                        ; implicit-def: $vgpr41
                                        ; implicit-def: $vgpr38
                                        ; implicit-def: $vgpr36
	s_add_co_i32 s5, s33, 0xd00
	s_cbranch_execz .LBB453_114
.LBB453_37:
	v_dual_mov_b32 v6, 0 :: v_dual_mov_b32 v1, 0
	s_mov_b32 s1, exec_lo
	v_cmpx_gt_u32_e64 s5, v15
	s_cbranch_execz .LBB453_41
; %bb.38:
	v_dual_add_nc_u32 v1, s17, v26 :: v_dual_add_nc_u32 v6, s19, v26
	s_mov_b32 s4, 0
	s_mov_b32 s3, exec_lo
	s_delay_alu instid0(VALU_DEP_1) | instskip(NEXT) | instid1(VALU_DEP_2)
	v_mul_lo_u32 v1, v1, s16
	v_mul_lo_u32 v6, v6, s18
	s_delay_alu instid0(VALU_DEP_1) | instskip(NEXT) | instid1(VALU_DEP_1)
	v_sub_nc_u32_e32 v1, v1, v6
	v_cmp_lt_u32_e32 vcc_lo, s20, v1
	v_cmpx_ge_u32_e64 s20, v1
	s_cbranch_execz .LBB453_40
; %bb.39:
	v_dual_add_nc_u32 v1, s22, v26 :: v_dual_add_nc_u32 v6, s38, v26
	s_delay_alu instid0(VALU_DEP_1) | instskip(NEXT) | instid1(VALU_DEP_2)
	v_mul_lo_u32 v1, v1, s21
	v_mul_lo_u32 v6, v6, s23
	s_delay_alu instid0(VALU_DEP_1) | instskip(NEXT) | instid1(VALU_DEP_1)
	v_sub_nc_u32_e32 v1, v1, v6
	v_cmp_lt_u32_e64 s0, s39, v1
	s_and_b32 s4, s0, exec_lo
.LBB453_40:
	s_or_b32 exec_lo, exec_lo, s3
	v_cndmask_b32_e64 v6, 0, 1, s4
	v_cndmask_b32_e64 v1, 0, 1, vcc_lo
.LBB453_41:
	s_or_b32 exec_lo, exec_lo, s1
	s_delay_alu instid0(VALU_DEP_2) | instskip(SKIP_1) | instid1(VALU_DEP_2)
	v_lshlrev_b16 v6, 8, v6
	v_lshlrev_b16 v13, 8, 0
                                        ; implicit-def: $vgpr9
                                        ; implicit-def: $vgpr11
                                        ; implicit-def: $vgpr8
                                        ; implicit-def: $vgpr12
	v_and_b32_e32 v10, 0xffff, v6
	v_add_nc_u32_e32 v7, 1, v15
                                        ; implicit-def: $vgpr6
	s_delay_alu instid0(VALU_DEP_2) | instskip(NEXT) | instid1(VALU_DEP_2)
	v_lshrrev_b32_e32 v28, 8, v10
	v_cmp_le_u32_e32 vcc_lo, s5, v7
                                        ; implicit-def: $vgpr7
	s_and_saveexec_b32 s0, vcc_lo
	s_delay_alu instid0(SALU_CYCLE_1)
	s_xor_b32 s0, exec_lo, s0
	s_cbranch_execz .LBB453_43
; %bb.42:
	v_lshlrev_b16 v6, 8, v28
	v_bitop3_b16 v7, 0, v13, 0xff bitop3:0xec
	v_and_b32_e32 v12, 0xff, v1
                                        ; implicit-def: $vgpr1
                                        ; implicit-def: $vgpr13
                                        ; implicit-def: $vgpr28
	v_mov_b32_e32 v9, 0
	s_delay_alu instid0(VALU_DEP_4) | instskip(SKIP_3) | instid1(VALU_DEP_4)
	v_bitop3_b16 v10, v10, v6, 0xff bitop3:0xec
	v_mov_b32_e32 v6, 0
	v_and_b32_e32 v8, 0xffff, v7
	v_and_b32_e32 v7, 0xffff, v7
	v_and_b32_e32 v11, 0xffff, v10
                                        ; implicit-def: $vgpr10
.LBB453_43:
	s_and_not1_saveexec_b32 s1, s0
	s_cbranch_execz .LBB453_47
; %bb.44:
	v_dual_add_nc_u32 v6, s17, v27 :: v_dual_add_nc_u32 v7, s19, v27
	s_mov_b32 s3, 0
	s_mov_b32 s4, exec_lo
	s_delay_alu instid0(VALU_DEP_1) | instskip(NEXT) | instid1(VALU_DEP_2)
	v_mul_lo_u32 v6, v6, s16
	v_mul_lo_u32 v7, v7, s18
	s_delay_alu instid0(VALU_DEP_1) | instskip(NEXT) | instid1(VALU_DEP_1)
	v_sub_nc_u32_e32 v6, v6, v7
	v_cmp_lt_u32_e32 vcc_lo, s20, v6
	v_cmpx_ge_u32_e64 s20, v6
	s_cbranch_execz .LBB453_46
; %bb.45:
	v_dual_add_nc_u32 v6, s22, v27 :: v_dual_add_nc_u32 v7, s38, v27
	s_delay_alu instid0(VALU_DEP_1) | instskip(NEXT) | instid1(VALU_DEP_2)
	v_mul_lo_u32 v6, v6, s21
	v_mul_lo_u32 v7, v7, s23
	s_delay_alu instid0(VALU_DEP_1) | instskip(NEXT) | instid1(VALU_DEP_1)
	v_sub_nc_u32_e32 v6, v6, v7
	v_cmp_lt_u32_e64 s0, s39, v6
	s_and_b32 s3, s0, exec_lo
.LBB453_46:
	s_or_b32 exec_lo, exec_lo, s4
	v_cndmask_b32_e64 v6, 0, 1, vcc_lo
	v_lshlrev_b16 v7, 8, v28
	v_cndmask_b32_e64 v11, 0, 1, s3
	v_mov_b32_e32 v9, 0
	s_delay_alu instid0(VALU_DEP_4) | instskip(NEXT) | instid1(VALU_DEP_4)
	v_lshlrev_b16 v6, 8, v6
	v_bitop3_b16 v7, v10, v7, 0xff bitop3:0xec
	v_bitop3_b16 v10, 0, v13, 0xff bitop3:0xec
	s_delay_alu instid0(VALU_DEP_3) | instskip(NEXT) | instid1(VALU_DEP_3)
	v_bitop3_b16 v1, v1, v6, 0xff bitop3:0xec
	v_and_b32_e32 v7, 0xffff, v7
	v_mov_b32_e32 v6, 0
	s_delay_alu instid0(VALU_DEP_4) | instskip(NEXT) | instid1(VALU_DEP_4)
	v_and_b32_e32 v8, 0xffff, v10
	v_and_b32_e32 v12, 0xffff, v1
	s_delay_alu instid0(VALU_DEP_4)
	v_lshl_or_b32 v11, v11, 16, v7
	v_and_b32_e32 v7, 0xffff, v10
.LBB453_47:
	s_or_b32 exec_lo, exec_lo, s1
	s_delay_alu instid0(VALU_DEP_3) | instskip(NEXT) | instid1(VALU_DEP_1)
	v_dual_add_nc_u32 v1, 2, v15 :: v_dual_lshrrev_b32 v13, 8, v12
                                        ; implicit-def: $vgpr10
	v_cmp_le_u32_e32 vcc_lo, s5, v1
                                        ; implicit-def: $vgpr1
	s_and_saveexec_b32 s0, vcc_lo
	s_delay_alu instid0(SALU_CYCLE_1)
	s_xor_b32 s0, exec_lo, s0
	s_cbranch_execz .LBB453_49
; %bb.48:
	v_lshlrev_b16 v1, 8, v13
	v_and_b32_e32 v13, 0xff0000, v11
	v_perm_b32 v8, v8, v8, 0x3060504
	s_delay_alu instid0(VALU_DEP_3) | instskip(NEXT) | instid1(VALU_DEP_1)
	v_bitop3_b16 v1, v12, v1, 0xff bitop3:0xec
	v_and_b32_e32 v1, 0xffff, v1
	s_delay_alu instid0(VALU_DEP_1)
	v_and_or_b32 v10, 0xff000000, v12, v1
	v_perm_b32 v1, v11, v13, 0x3020504
                                        ; implicit-def: $vgpr13
                                        ; implicit-def: $vgpr12
                                        ; implicit-def: $vgpr11
.LBB453_49:
	s_and_not1_saveexec_b32 s1, s0
	s_cbranch_execz .LBB453_53
; %bb.50:
	v_dual_add_nc_u32 v1, s17, v24 :: v_dual_add_nc_u32 v10, s19, v24
	s_mov_b32 s3, 0
	s_mov_b32 s4, exec_lo
	s_delay_alu instid0(VALU_DEP_1) | instskip(NEXT) | instid1(VALU_DEP_2)
	v_mul_lo_u32 v1, v1, s16
	v_mul_lo_u32 v10, v10, s18
	s_delay_alu instid0(VALU_DEP_1) | instskip(NEXT) | instid1(VALU_DEP_1)
	v_sub_nc_u32_e32 v1, v1, v10
	v_cmp_lt_u32_e32 vcc_lo, s20, v1
	v_cmpx_ge_u32_e64 s20, v1
	s_cbranch_execz .LBB453_52
; %bb.51:
	v_dual_add_nc_u32 v1, s22, v24 :: v_dual_add_nc_u32 v10, s38, v24
	s_delay_alu instid0(VALU_DEP_1) | instskip(NEXT) | instid1(VALU_DEP_2)
	v_mul_lo_u32 v1, v1, s21
	v_mul_lo_u32 v10, v10, s23
	s_delay_alu instid0(VALU_DEP_1) | instskip(NEXT) | instid1(VALU_DEP_1)
	v_sub_nc_u32_e32 v1, v1, v10
	v_cmp_lt_u32_e64 s0, s39, v1
	s_and_b32 s3, s0, exec_lo
.LBB453_52:
	s_or_b32 exec_lo, exec_lo, s4
	v_dual_lshrrev_b32 v1, 24, v12 :: v_dual_lshrrev_b32 v29, 8, v11
	v_cndmask_b32_e64 v10, 0, 1, s3
	v_cndmask_b32_e64 v28, 0, 1, vcc_lo
	v_lshlrev_b16 v13, 8, v13
	s_delay_alu instid0(VALU_DEP_4)
	v_lshlrev_b16 v1, 8, v1
	v_lshrrev_b32_e32 v30, 16, v11
	v_lshlrev_b16 v10, 8, v10
	v_lshlrev_b16 v29, 8, v29
	v_bitop3_b16 v12, v12, v13, 0xff bitop3:0xec
	v_or_b32_e32 v1, v28, v1
	s_delay_alu instid0(VALU_DEP_4) | instskip(NEXT) | instid1(VALU_DEP_4)
	v_bitop3_b16 v10, v30, v10, 0xff bitop3:0xec
	v_bitop3_b16 v11, v11, v29, 0xff bitop3:0xec
	s_delay_alu instid0(VALU_DEP_4) | instskip(NEXT) | instid1(VALU_DEP_3)
	v_and_b32_e32 v12, 0xffff, v12
	v_dual_lshlrev_b32 v1, 16, v1 :: v_dual_lshlrev_b32 v13, 16, v10
	s_delay_alu instid0(VALU_DEP_3) | instskip(NEXT) | instid1(VALU_DEP_2)
	v_and_b32_e32 v11, 0xffff, v11
	v_or_b32_e32 v10, v12, v1
	s_delay_alu instid0(VALU_DEP_2)
	v_or_b32_e32 v1, v11, v13
.LBB453_53:
	s_or_b32 exec_lo, exec_lo, s1
	v_dual_add_nc_u32 v12, 3, v15 :: v_dual_lshrrev_b32 v13, 24, v9
	v_lshrrev_b32_e32 v11, 16, v9
                                        ; implicit-def: $vgpr36
	s_delay_alu instid0(VALU_DEP_2) | instskip(SKIP_2) | instid1(SALU_CYCLE_1)
	v_cmp_le_u32_e32 vcc_lo, s5, v12
	v_lshrrev_b32_e32 v12, 8, v9
                                        ; implicit-def: $vgpr9
	s_and_saveexec_b32 s0, vcc_lo
	s_xor_b32 s0, exec_lo, s0
	s_cbranch_execz .LBB453_55
; %bb.54:
	v_lshlrev_b16 v9, 8, v13
	v_lshlrev_b16 v12, 8, v12
	v_perm_b32 v8, v8, v8, 0x3060504
	v_perm_b32 v7, v7, v7, 0x3060504
                                        ; implicit-def: $vgpr13
	s_delay_alu instid0(VALU_DEP_4) | instskip(SKIP_2) | instid1(VALU_DEP_3)
	v_bitop3_b16 v9, v11, v9, 0xff bitop3:0xec
	v_and_b32_e32 v11, 0xff0000, v10
	v_and_b32_e32 v12, 0xffff, v12
	v_lshlrev_b32_e32 v9, 16, v9
	s_delay_alu instid0(VALU_DEP_3) | instskip(NEXT) | instid1(VALU_DEP_2)
	v_perm_b32 v36, v10, v11, 0x3020504
                                        ; implicit-def: $vgpr10
                                        ; implicit-def: $vgpr11
	v_or_b32_e32 v9, v12, v9
                                        ; implicit-def: $vgpr12
.LBB453_55:
	s_and_not1_saveexec_b32 s1, s0
	s_cbranch_execz .LBB453_59
; %bb.56:
	v_dual_add_nc_u32 v9, s17, v25 :: v_dual_add_nc_u32 v28, s19, v25
	s_mov_b32 s3, 0
	s_mov_b32 s4, exec_lo
	s_delay_alu instid0(VALU_DEP_1) | instskip(NEXT) | instid1(VALU_DEP_2)
	v_mul_lo_u32 v9, v9, s16
	v_mul_lo_u32 v28, v28, s18
	s_delay_alu instid0(VALU_DEP_1) | instskip(NEXT) | instid1(VALU_DEP_1)
	v_sub_nc_u32_e32 v9, v9, v28
	v_cmp_lt_u32_e32 vcc_lo, s20, v9
	v_cmpx_ge_u32_e64 s20, v9
	s_cbranch_execz .LBB453_58
; %bb.57:
	v_dual_add_nc_u32 v9, s22, v25 :: v_dual_add_nc_u32 v28, s38, v25
	s_delay_alu instid0(VALU_DEP_1) | instskip(NEXT) | instid1(VALU_DEP_2)
	v_mul_lo_u32 v9, v9, s21
	v_mul_lo_u32 v28, v28, s23
	s_delay_alu instid0(VALU_DEP_1) | instskip(NEXT) | instid1(VALU_DEP_1)
	v_sub_nc_u32_e32 v9, v9, v28
	v_cmp_lt_u32_e64 s0, s39, v9
	s_and_b32 s3, s0, exec_lo
.LBB453_58:
	s_or_b32 exec_lo, exec_lo, s4
	v_cndmask_b32_e64 v9, 0, 1, vcc_lo
	v_dual_lshrrev_b32 v28, 8, v10 :: v_dual_lshrrev_b32 v30, 16, v10
	v_cndmask_b32_e64 v29, 0, 1, s3
	v_lshlrev_b16 v13, 8, v13
	s_delay_alu instid0(VALU_DEP_4) | instskip(NEXT) | instid1(VALU_DEP_4)
	v_lshlrev_b16 v9, 8, v9
	v_lshlrev_b16 v28, 8, v28
	;; [unrolled: 1-line block ×3, first 2 shown]
	s_delay_alu instid0(VALU_DEP_4) | instskip(NEXT) | instid1(VALU_DEP_4)
	v_bitop3_b16 v11, v11, v13, 0xff bitop3:0xec
	v_bitop3_b16 v9, v30, v9, 0xff bitop3:0xec
	s_delay_alu instid0(VALU_DEP_4) | instskip(NEXT) | instid1(VALU_DEP_3)
	v_bitop3_b16 v10, v10, v28, 0xff bitop3:0xec
	v_dual_lshlrev_b32 v11, 16, v11 :: v_dual_bitop2_b32 v12, v29, v12 bitop3:0x54
	s_delay_alu instid0(VALU_DEP_3) | instskip(NEXT) | instid1(VALU_DEP_3)
	v_lshlrev_b32_e32 v9, 16, v9
	v_and_b32_e32 v10, 0xffff, v10
	s_delay_alu instid0(VALU_DEP_3) | instskip(NEXT) | instid1(VALU_DEP_2)
	v_and_b32_e32 v12, 0xffff, v12
	v_or_b32_e32 v36, v10, v9
	s_delay_alu instid0(VALU_DEP_2)
	v_or_b32_e32 v9, v12, v11
.LBB453_59:
	s_or_b32 exec_lo, exec_lo, s1
	v_dual_add_nc_u32 v10, 4, v15 :: v_dual_lshrrev_b32 v28, 8, v8
	v_dual_lshrrev_b32 v11, 16, v8 :: v_dual_lshrrev_b32 v29, 24, v8
	s_delay_alu instid0(VALU_DEP_3) | instskip(NEXT) | instid1(VALU_DEP_3)
	v_dual_lshrrev_b32 v13, 24, v9 :: v_dual_lshrrev_b32 v12, 16, v9
	v_cmp_le_u32_e32 vcc_lo, s5, v10
                                        ; implicit-def: $vgpr8
                                        ; implicit-def: $vgpr10
	s_and_saveexec_b32 s0, vcc_lo
	s_delay_alu instid0(SALU_CYCLE_1)
	s_xor_b32 s0, exec_lo, s0
	s_cbranch_execz .LBB453_61
; %bb.60:
	v_lshlrev_b16 v8, 8, v29
	v_lshlrev_b16 v10, 8, v28
	;; [unrolled: 1-line block ×3, first 2 shown]
	v_perm_b32 v7, v7, v7, 0x3060504
                                        ; implicit-def: $vgpr28
                                        ; implicit-def: $vgpr29
	s_delay_alu instid0(VALU_DEP_4) | instskip(NEXT) | instid1(VALU_DEP_4)
	v_bitop3_b16 v8, v11, v8, 0xff bitop3:0xec
	v_and_b32_e32 v10, 0xffff, v10
	s_delay_alu instid0(VALU_DEP_4) | instskip(NEXT) | instid1(VALU_DEP_3)
	v_bitop3_b16 v11, v12, v13, 0xff bitop3:0xec
                                        ; implicit-def: $vgpr13
	v_lshlrev_b32_e32 v12, 16, v8
	s_delay_alu instid0(VALU_DEP_2) | instskip(NEXT) | instid1(VALU_DEP_2)
	v_perm_b32 v8, v11, v9, 0x5040c00
                                        ; implicit-def: $vgpr9
                                        ; implicit-def: $vgpr11
	v_or_b32_e32 v10, v10, v12
                                        ; implicit-def: $vgpr12
.LBB453_61:
	s_and_not1_saveexec_b32 s1, s0
	s_cbranch_execz .LBB453_65
; %bb.62:
	v_dual_add_nc_u32 v8, s17, v22 :: v_dual_add_nc_u32 v10, s19, v22
	s_mov_b32 s3, 0
	s_mov_b32 s4, exec_lo
	s_delay_alu instid0(VALU_DEP_1) | instskip(NEXT) | instid1(VALU_DEP_2)
	v_mul_lo_u32 v8, v8, s16
	v_mul_lo_u32 v10, v10, s18
	s_delay_alu instid0(VALU_DEP_1) | instskip(NEXT) | instid1(VALU_DEP_1)
	v_sub_nc_u32_e32 v8, v8, v10
	v_cmp_lt_u32_e32 vcc_lo, s20, v8
	v_cmpx_ge_u32_e64 s20, v8
	s_cbranch_execz .LBB453_64
; %bb.63:
	v_dual_add_nc_u32 v8, s22, v22 :: v_dual_add_nc_u32 v10, s38, v22
	s_delay_alu instid0(VALU_DEP_1) | instskip(NEXT) | instid1(VALU_DEP_2)
	v_mul_lo_u32 v8, v8, s21
	v_mul_lo_u32 v10, v10, s23
	s_delay_alu instid0(VALU_DEP_1) | instskip(NEXT) | instid1(VALU_DEP_1)
	v_sub_nc_u32_e32 v8, v8, v10
	v_cmp_lt_u32_e64 s0, s39, v8
	s_and_b32 s3, s0, exec_lo
.LBB453_64:
	s_or_b32 exec_lo, exec_lo, s4
	v_cndmask_b32_e64 v8, 0, 1, s3
	v_cndmask_b32_e64 v10, 0, 1, vcc_lo
	v_lshlrev_b16 v29, 8, v29
	v_lshlrev_b16 v28, 8, v28
	;; [unrolled: 1-line block ×4, first 2 shown]
	s_delay_alu instid0(VALU_DEP_4) | instskip(NEXT) | instid1(VALU_DEP_4)
	v_bitop3_b16 v11, v11, v29, 0xff bitop3:0xec
	v_or_b32_e32 v10, v10, v28
	s_delay_alu instid0(VALU_DEP_4) | instskip(NEXT) | instid1(VALU_DEP_4)
	v_bitop3_b16 v12, v12, v13, 0xff bitop3:0xec
	v_bitop3_b16 v8, v9, v8, 0xff bitop3:0xec
	s_delay_alu instid0(VALU_DEP_4) | instskip(NEXT) | instid1(VALU_DEP_4)
	v_lshlrev_b32_e32 v9, 16, v11
	v_and_b32_e32 v10, 0xffff, v10
	s_delay_alu instid0(VALU_DEP_4) | instskip(NEXT) | instid1(VALU_DEP_4)
	v_lshlrev_b32_e32 v11, 16, v12
	v_and_b32_e32 v8, 0xffff, v8
	s_delay_alu instid0(VALU_DEP_3) | instskip(NEXT) | instid1(VALU_DEP_2)
	v_or_b32_e32 v10, v10, v9
	v_or_b32_e32 v8, v8, v11
.LBB453_65:
	s_or_b32 exec_lo, exec_lo, s1
	s_delay_alu instid0(VALU_DEP_1) | instskip(NEXT) | instid1(VALU_DEP_2)
	v_dual_add_nc_u32 v9, 5, v15 :: v_dual_lshrrev_b32 v12, 16, v10
	v_dual_lshrrev_b32 v13, 24, v10 :: v_dual_lshrrev_b32 v28, 8, v8
                                        ; implicit-def: $vgpr11
	s_delay_alu instid0(VALU_DEP_2) | instskip(SKIP_1) | instid1(SALU_CYCLE_1)
	v_cmp_le_u32_e32 vcc_lo, s5, v9
                                        ; implicit-def: $vgpr9
	s_and_saveexec_b32 s0, vcc_lo
	s_xor_b32 s0, exec_lo, s0
	s_cbranch_execz .LBB453_67
; %bb.66:
	v_lshlrev_b16 v9, 8, v28
	v_lshlrev_b16 v11, 8, v13
	v_perm_b32 v7, v7, v7, 0x3060504
                                        ; implicit-def: $vgpr13
                                        ; implicit-def: $vgpr28
	s_delay_alu instid0(VALU_DEP_3) | instskip(NEXT) | instid1(VALU_DEP_3)
	v_bitop3_b16 v9, v8, v9, 0xff bitop3:0xec
	v_bitop3_b16 v11, v12, v11, 0xff bitop3:0xec
                                        ; implicit-def: $vgpr12
	s_delay_alu instid0(VALU_DEP_2) | instskip(NEXT) | instid1(VALU_DEP_2)
	v_and_b32_e32 v9, 0xffff, v9
	v_perm_b32 v11, v11, v10, 0x5040c00
                                        ; implicit-def: $vgpr10
	s_delay_alu instid0(VALU_DEP_2)
	v_and_or_b32 v9, 0xff000000, v8, v9
                                        ; implicit-def: $vgpr8
.LBB453_67:
	s_and_not1_saveexec_b32 s1, s0
	s_cbranch_execz .LBB453_71
; %bb.68:
	v_dual_add_nc_u32 v9, s17, v23 :: v_dual_add_nc_u32 v11, s19, v23
	s_mov_b32 s3, 0
	s_mov_b32 s4, exec_lo
	s_delay_alu instid0(VALU_DEP_1) | instskip(NEXT) | instid1(VALU_DEP_2)
	v_mul_lo_u32 v9, v9, s16
	v_mul_lo_u32 v11, v11, s18
	s_delay_alu instid0(VALU_DEP_1) | instskip(NEXT) | instid1(VALU_DEP_1)
	v_sub_nc_u32_e32 v9, v9, v11
	v_cmp_lt_u32_e32 vcc_lo, s20, v9
	v_cmpx_ge_u32_e64 s20, v9
	s_cbranch_execz .LBB453_70
; %bb.69:
	v_dual_add_nc_u32 v9, s22, v23 :: v_dual_add_nc_u32 v11, s38, v23
	s_delay_alu instid0(VALU_DEP_1) | instskip(NEXT) | instid1(VALU_DEP_2)
	v_mul_lo_u32 v9, v9, s21
	v_mul_lo_u32 v11, v11, s23
	s_delay_alu instid0(VALU_DEP_1) | instskip(NEXT) | instid1(VALU_DEP_1)
	v_sub_nc_u32_e32 v9, v9, v11
	v_cmp_lt_u32_e64 s0, s39, v9
	s_and_b32 s3, s0, exec_lo
.LBB453_70:
	s_or_b32 exec_lo, exec_lo, s4
	v_cndmask_b32_e64 v9, 0, 1, vcc_lo
	v_lshrrev_b32_e32 v11, 24, v8
	v_cndmask_b32_e64 v29, 0, 1, s3
	v_lshlrev_b16 v13, 8, v13
	v_lshlrev_b16 v28, 8, v28
	;; [unrolled: 1-line block ×4, first 2 shown]
	s_delay_alu instid0(VALU_DEP_4) | instskip(NEXT) | instid1(VALU_DEP_4)
	v_bitop3_b16 v12, v12, v13, 0xff bitop3:0xec
	v_bitop3_b16 v8, v8, v28, 0xff bitop3:0xec
	s_delay_alu instid0(VALU_DEP_4) | instskip(NEXT) | instid1(VALU_DEP_3)
	v_bitop3_b16 v9, v10, v9, 0xff bitop3:0xec
	v_dual_lshlrev_b32 v11, 16, v12 :: v_dual_bitop2_b32 v10, v29, v11 bitop3:0x54
	s_delay_alu instid0(VALU_DEP_3) | instskip(NEXT) | instid1(VALU_DEP_3)
	v_and_b32_e32 v8, 0xffff, v8
	v_and_b32_e32 v9, 0xffff, v9
	s_delay_alu instid0(VALU_DEP_1) | instskip(NEXT) | instid1(VALU_DEP_1)
	v_dual_lshlrev_b32 v10, 16, v10 :: v_dual_bitop2_b32 v11, v9, v11 bitop3:0x54
	v_or_b32_e32 v9, v8, v10
.LBB453_71:
	s_or_b32 exec_lo, exec_lo, s1
	v_add_nc_u32_e32 v8, 6, v15
	s_delay_alu instid0(VALU_DEP_3) | instskip(NEXT) | instid1(VALU_DEP_2)
	v_lshrrev_b32_e32 v10, 8, v11
                                        ; implicit-def: $vgpr37
	v_cmp_le_u32_e32 vcc_lo, s5, v8
                                        ; implicit-def: $vgpr8
	s_and_saveexec_b32 s0, vcc_lo
	s_delay_alu instid0(SALU_CYCLE_1)
	s_xor_b32 s0, exec_lo, s0
	s_cbranch_execz .LBB453_73
; %bb.72:
	v_lshlrev_b16 v8, 8, v10
	v_and_b32_e32 v10, 0xff0000, v9
	v_perm_b32 v7, v7, v7, 0x3060504
	s_delay_alu instid0(VALU_DEP_3) | instskip(NEXT) | instid1(VALU_DEP_3)
	v_bitop3_b16 v8, v11, v8, 0xff bitop3:0xec
	v_perm_b32 v37, v9, v10, 0x3020504
                                        ; implicit-def: $vgpr10
                                        ; implicit-def: $vgpr9
	s_delay_alu instid0(VALU_DEP_2) | instskip(NEXT) | instid1(VALU_DEP_1)
	v_and_b32_e32 v8, 0xffff, v8
	v_and_or_b32 v8, 0xff000000, v11, v8
                                        ; implicit-def: $vgpr11
.LBB453_73:
	s_and_not1_saveexec_b32 s1, s0
	s_cbranch_execz .LBB453_77
; %bb.74:
	v_dual_add_nc_u32 v8, s17, v20 :: v_dual_add_nc_u32 v12, s19, v20
	s_mov_b32 s3, 0
	s_mov_b32 s4, exec_lo
	s_delay_alu instid0(VALU_DEP_1) | instskip(NEXT) | instid1(VALU_DEP_2)
	v_mul_lo_u32 v8, v8, s16
	v_mul_lo_u32 v12, v12, s18
	s_delay_alu instid0(VALU_DEP_1) | instskip(NEXT) | instid1(VALU_DEP_1)
	v_sub_nc_u32_e32 v8, v8, v12
	v_cmp_lt_u32_e32 vcc_lo, s20, v8
	v_cmpx_ge_u32_e64 s20, v8
	s_cbranch_execz .LBB453_76
; %bb.75:
	v_dual_add_nc_u32 v8, s22, v20 :: v_dual_add_nc_u32 v12, s38, v20
	s_delay_alu instid0(VALU_DEP_1) | instskip(NEXT) | instid1(VALU_DEP_2)
	v_mul_lo_u32 v8, v8, s21
	v_mul_lo_u32 v12, v12, s23
	s_delay_alu instid0(VALU_DEP_1) | instskip(NEXT) | instid1(VALU_DEP_1)
	v_sub_nc_u32_e32 v8, v8, v12
	v_cmp_lt_u32_e64 s0, s39, v8
	s_and_b32 s3, s0, exec_lo
.LBB453_76:
	s_or_b32 exec_lo, exec_lo, s4
	v_dual_lshrrev_b32 v8, 24, v11 :: v_dual_lshrrev_b32 v28, 8, v9
	v_cndmask_b32_e64 v12, 0, 1, s3
	v_cndmask_b32_e64 v13, 0, 1, vcc_lo
	v_lshlrev_b16 v10, 8, v10
	s_delay_alu instid0(VALU_DEP_4)
	v_lshlrev_b16 v8, 8, v8
	v_lshrrev_b32_e32 v29, 16, v9
	v_lshlrev_b16 v12, 8, v12
	v_lshlrev_b16 v28, 8, v28
	v_bitop3_b16 v10, v11, v10, 0xff bitop3:0xec
	v_or_b32_e32 v8, v13, v8
	s_delay_alu instid0(VALU_DEP_4) | instskip(NEXT) | instid1(VALU_DEP_4)
	v_bitop3_b16 v11, v29, v12, 0xff bitop3:0xec
	v_bitop3_b16 v9, v9, v28, 0xff bitop3:0xec
	s_delay_alu instid0(VALU_DEP_4) | instskip(NEXT) | instid1(VALU_DEP_3)
	v_and_b32_e32 v10, 0xffff, v10
	v_dual_lshlrev_b32 v8, 16, v8 :: v_dual_lshlrev_b32 v11, 16, v11
	s_delay_alu instid0(VALU_DEP_3) | instskip(NEXT) | instid1(VALU_DEP_2)
	v_and_b32_e32 v9, 0xffff, v9
	v_or_b32_e32 v8, v10, v8
	s_delay_alu instid0(VALU_DEP_2)
	v_or_b32_e32 v37, v9, v11
.LBB453_77:
	s_or_b32 exec_lo, exec_lo, s1
	v_add_nc_u32_e32 v11, 7, v15
	v_dual_lshrrev_b32 v9, 8, v7 :: v_dual_lshrrev_b32 v10, 16, v7
                                        ; implicit-def: $vgpr38
	s_delay_alu instid0(VALU_DEP_2) | instskip(SKIP_2) | instid1(SALU_CYCLE_1)
	v_cmp_le_u32_e32 vcc_lo, s5, v11
	v_lshrrev_b32_e32 v11, 24, v7
                                        ; implicit-def: $vgpr7
	s_and_saveexec_b32 s0, vcc_lo
	s_xor_b32 s0, exec_lo, s0
	s_cbranch_execz .LBB453_79
; %bb.78:
	s_delay_alu instid0(VALU_DEP_1) | instskip(SKIP_1) | instid1(VALU_DEP_2)
	v_lshlrev_b16 v7, 8, v11
	v_lshlrev_b16 v9, 8, v9
                                        ; implicit-def: $vgpr11
	v_bitop3_b16 v7, v10, v7, 0xff bitop3:0xec
	v_and_b32_e32 v10, 0xff0000, v8
	s_delay_alu instid0(VALU_DEP_3) | instskip(NEXT) | instid1(VALU_DEP_3)
	v_and_b32_e32 v9, 0xffff, v9
	v_lshlrev_b32_e32 v7, 16, v7
	s_delay_alu instid0(VALU_DEP_3) | instskip(NEXT) | instid1(VALU_DEP_2)
	v_perm_b32 v38, v8, v10, 0x3020504
                                        ; implicit-def: $vgpr8
                                        ; implicit-def: $vgpr10
	v_or_b32_e32 v7, v9, v7
                                        ; implicit-def: $vgpr9
.LBB453_79:
	s_and_not1_saveexec_b32 s1, s0
	s_cbranch_execz .LBB453_83
; %bb.80:
	v_dual_add_nc_u32 v7, s17, v21 :: v_dual_add_nc_u32 v12, s19, v21
	s_mov_b32 s3, 0
	s_mov_b32 s4, exec_lo
	s_delay_alu instid0(VALU_DEP_1) | instskip(NEXT) | instid1(VALU_DEP_2)
	v_mul_lo_u32 v7, v7, s16
	v_mul_lo_u32 v12, v12, s18
	s_delay_alu instid0(VALU_DEP_1) | instskip(NEXT) | instid1(VALU_DEP_1)
	v_sub_nc_u32_e32 v7, v7, v12
	v_cmp_lt_u32_e32 vcc_lo, s20, v7
	v_cmpx_ge_u32_e64 s20, v7
	s_cbranch_execz .LBB453_82
; %bb.81:
	v_dual_add_nc_u32 v7, s22, v21 :: v_dual_add_nc_u32 v12, s38, v21
	s_delay_alu instid0(VALU_DEP_1) | instskip(NEXT) | instid1(VALU_DEP_2)
	v_mul_lo_u32 v7, v7, s21
	v_mul_lo_u32 v12, v12, s23
	s_delay_alu instid0(VALU_DEP_1) | instskip(NEXT) | instid1(VALU_DEP_1)
	v_sub_nc_u32_e32 v7, v7, v12
	v_cmp_lt_u32_e64 s0, s39, v7
	s_and_b32 s3, s0, exec_lo
.LBB453_82:
	s_or_b32 exec_lo, exec_lo, s4
	v_cndmask_b32_e64 v7, 0, 1, vcc_lo
	v_dual_lshrrev_b32 v12, 8, v8 :: v_dual_lshrrev_b32 v28, 16, v8
	v_cndmask_b32_e64 v13, 0, 1, s3
	v_lshlrev_b16 v11, 8, v11
	s_delay_alu instid0(VALU_DEP_4) | instskip(NEXT) | instid1(VALU_DEP_4)
	v_lshlrev_b16 v7, 8, v7
	v_lshlrev_b16 v12, 8, v12
	;; [unrolled: 1-line block ×3, first 2 shown]
	s_delay_alu instid0(VALU_DEP_4) | instskip(NEXT) | instid1(VALU_DEP_4)
	v_bitop3_b16 v10, v10, v11, 0xff bitop3:0xec
	v_bitop3_b16 v7, v28, v7, 0xff bitop3:0xec
	s_delay_alu instid0(VALU_DEP_4) | instskip(NEXT) | instid1(VALU_DEP_3)
	v_bitop3_b16 v8, v8, v12, 0xff bitop3:0xec
	v_dual_lshlrev_b32 v10, 16, v10 :: v_dual_bitop2_b32 v9, v13, v9 bitop3:0x54
	s_delay_alu instid0(VALU_DEP_3) | instskip(NEXT) | instid1(VALU_DEP_3)
	v_lshlrev_b32_e32 v7, 16, v7
	v_and_b32_e32 v8, 0xffff, v8
	s_delay_alu instid0(VALU_DEP_3) | instskip(NEXT) | instid1(VALU_DEP_2)
	v_and_b32_e32 v9, 0xffff, v9
	v_or_b32_e32 v38, v8, v7
	s_delay_alu instid0(VALU_DEP_2)
	v_or_b32_e32 v7, v9, v10
.LBB453_83:
	s_or_b32 exec_lo, exec_lo, s1
	v_dual_add_nc_u32 v8, 8, v15 :: v_dual_lshrrev_b32 v13, 24, v6
	s_delay_alu instid0(VALU_DEP_2) | instskip(SKIP_1) | instid1(VALU_DEP_3)
	v_dual_lshrrev_b32 v9, 16, v7 :: v_dual_lshrrev_b32 v10, 24, v7
	v_dual_lshrrev_b32 v11, 16, v6 :: v_dual_lshrrev_b32 v12, 8, v6
	v_cmp_le_u32_e32 vcc_lo, s5, v8
                                        ; implicit-def: $vgpr6
                                        ; implicit-def: $vgpr8
	s_and_saveexec_b32 s0, vcc_lo
	s_delay_alu instid0(SALU_CYCLE_1)
	s_xor_b32 s0, exec_lo, s0
	s_cbranch_execz .LBB453_85
; %bb.84:
	v_lshlrev_b16 v6, 8, v13
	v_lshlrev_b16 v8, 8, v12
	;; [unrolled: 1-line block ×3, first 2 shown]
	v_perm_b32 v1, v1, v1, 0x3060504
                                        ; implicit-def: $vgpr13
                                        ; implicit-def: $vgpr12
	s_delay_alu instid0(VALU_DEP_4) | instskip(NEXT) | instid1(VALU_DEP_4)
	v_bitop3_b16 v6, v11, v6, 0xff bitop3:0xec
	v_and_b32_e32 v8, 0xffff, v8
	s_delay_alu instid0(VALU_DEP_4) | instskip(NEXT) | instid1(VALU_DEP_3)
	v_bitop3_b16 v9, v9, v10, 0xff bitop3:0xec
                                        ; implicit-def: $vgpr10
                                        ; implicit-def: $vgpr11
	v_lshlrev_b32_e32 v6, 16, v6
	s_delay_alu instid0(VALU_DEP_1) | instskip(NEXT) | instid1(VALU_DEP_3)
	v_or_b32_e32 v8, v8, v6
	v_perm_b32 v6, v9, v7, 0x5040c00
                                        ; implicit-def: $vgpr7
                                        ; implicit-def: $vgpr9
.LBB453_85:
	s_and_not1_saveexec_b32 s1, s0
	s_cbranch_execz .LBB453_89
; %bb.86:
	v_dual_add_nc_u32 v6, s17, v18 :: v_dual_add_nc_u32 v8, s19, v18
	s_mov_b32 s3, 0
	s_mov_b32 s4, exec_lo
	s_delay_alu instid0(VALU_DEP_1) | instskip(NEXT) | instid1(VALU_DEP_2)
	v_mul_lo_u32 v6, v6, s16
	v_mul_lo_u32 v8, v8, s18
	s_delay_alu instid0(VALU_DEP_1) | instskip(NEXT) | instid1(VALU_DEP_1)
	v_sub_nc_u32_e32 v6, v6, v8
	v_cmp_lt_u32_e32 vcc_lo, s20, v6
	v_cmpx_ge_u32_e64 s20, v6
	s_cbranch_execz .LBB453_88
; %bb.87:
	v_dual_add_nc_u32 v6, s22, v18 :: v_dual_add_nc_u32 v8, s38, v18
	s_delay_alu instid0(VALU_DEP_1) | instskip(NEXT) | instid1(VALU_DEP_2)
	v_mul_lo_u32 v6, v6, s21
	v_mul_lo_u32 v8, v8, s23
	s_delay_alu instid0(VALU_DEP_1) | instskip(NEXT) | instid1(VALU_DEP_1)
	v_sub_nc_u32_e32 v6, v6, v8
	v_cmp_lt_u32_e64 s0, s39, v6
	s_and_b32 s3, s0, exec_lo
.LBB453_88:
	s_or_b32 exec_lo, exec_lo, s4
	v_cndmask_b32_e64 v6, 0, 1, s3
	v_cndmask_b32_e64 v8, 0, 1, vcc_lo
	v_lshlrev_b16 v13, 8, v13
	v_lshlrev_b16 v12, 8, v12
	;; [unrolled: 1-line block ×4, first 2 shown]
	s_delay_alu instid0(VALU_DEP_4) | instskip(NEXT) | instid1(VALU_DEP_4)
	v_bitop3_b16 v11, v11, v13, 0xff bitop3:0xec
	v_or_b32_e32 v8, v8, v12
	s_delay_alu instid0(VALU_DEP_4) | instskip(NEXT) | instid1(VALU_DEP_4)
	v_bitop3_b16 v9, v9, v10, 0xff bitop3:0xec
	v_bitop3_b16 v6, v7, v6, 0xff bitop3:0xec
	s_delay_alu instid0(VALU_DEP_4) | instskip(NEXT) | instid1(VALU_DEP_4)
	v_lshlrev_b32_e32 v7, 16, v11
	v_and_b32_e32 v8, 0xffff, v8
	s_delay_alu instid0(VALU_DEP_4) | instskip(NEXT) | instid1(VALU_DEP_4)
	v_lshlrev_b32_e32 v9, 16, v9
	v_and_b32_e32 v6, 0xffff, v6
	s_delay_alu instid0(VALU_DEP_3) | instskip(NEXT) | instid1(VALU_DEP_2)
	v_or_b32_e32 v8, v8, v7
	v_or_b32_e32 v6, v6, v9
.LBB453_89:
	s_or_b32 exec_lo, exec_lo, s1
	s_delay_alu instid0(VALU_DEP_1) | instskip(NEXT) | instid1(VALU_DEP_3)
	v_dual_add_nc_u32 v7, 9, v15 :: v_dual_lshrrev_b32 v11, 8, v6
	v_dual_lshrrev_b32 v12, 24, v8 :: v_dual_lshrrev_b32 v10, 16, v8
                                        ; implicit-def: $vgpr9
	s_delay_alu instid0(VALU_DEP_2) | instskip(SKIP_1) | instid1(SALU_CYCLE_1)
	v_cmp_le_u32_e32 vcc_lo, s5, v7
                                        ; implicit-def: $vgpr7
	s_and_saveexec_b32 s0, vcc_lo
	s_xor_b32 s0, exec_lo, s0
	s_cbranch_execz .LBB453_91
; %bb.90:
	v_lshlrev_b16 v7, 8, v11
	v_lshlrev_b16 v9, 8, v12
	v_perm_b32 v1, v1, v1, 0x3060504
                                        ; implicit-def: $vgpr11
                                        ; implicit-def: $vgpr12
	s_delay_alu instid0(VALU_DEP_3) | instskip(NEXT) | instid1(VALU_DEP_3)
	v_bitop3_b16 v7, v6, v7, 0xff bitop3:0xec
	v_bitop3_b16 v9, v10, v9, 0xff bitop3:0xec
                                        ; implicit-def: $vgpr10
	s_delay_alu instid0(VALU_DEP_2) | instskip(NEXT) | instid1(VALU_DEP_2)
	v_and_b32_e32 v7, 0xffff, v7
	v_perm_b32 v9, v9, v8, 0x5040c00
                                        ; implicit-def: $vgpr8
	s_delay_alu instid0(VALU_DEP_2)
	v_and_or_b32 v7, 0xff000000, v6, v7
                                        ; implicit-def: $vgpr6
.LBB453_91:
	s_and_not1_saveexec_b32 s1, s0
	s_cbranch_execz .LBB453_95
; %bb.92:
	v_dual_add_nc_u32 v7, s17, v19 :: v_dual_add_nc_u32 v9, s19, v19
	s_mov_b32 s3, 0
	s_mov_b32 s4, exec_lo
	s_delay_alu instid0(VALU_DEP_1) | instskip(NEXT) | instid1(VALU_DEP_2)
	v_mul_lo_u32 v7, v7, s16
	v_mul_lo_u32 v9, v9, s18
	s_delay_alu instid0(VALU_DEP_1) | instskip(NEXT) | instid1(VALU_DEP_1)
	v_sub_nc_u32_e32 v7, v7, v9
	v_cmp_lt_u32_e32 vcc_lo, s20, v7
	v_cmpx_ge_u32_e64 s20, v7
	s_cbranch_execz .LBB453_94
; %bb.93:
	v_dual_add_nc_u32 v7, s22, v19 :: v_dual_add_nc_u32 v9, s38, v19
	s_delay_alu instid0(VALU_DEP_1) | instskip(NEXT) | instid1(VALU_DEP_2)
	v_mul_lo_u32 v7, v7, s21
	v_mul_lo_u32 v9, v9, s23
	s_delay_alu instid0(VALU_DEP_1) | instskip(NEXT) | instid1(VALU_DEP_1)
	v_sub_nc_u32_e32 v7, v7, v9
	v_cmp_lt_u32_e64 s0, s39, v7
	s_and_b32 s3, s0, exec_lo
.LBB453_94:
	s_or_b32 exec_lo, exec_lo, s4
	v_cndmask_b32_e64 v7, 0, 1, vcc_lo
	v_lshrrev_b32_e32 v9, 24, v6
	v_cndmask_b32_e64 v13, 0, 1, s3
	v_lshlrev_b16 v12, 8, v12
	v_lshlrev_b16 v11, 8, v11
	;; [unrolled: 1-line block ×4, first 2 shown]
	s_delay_alu instid0(VALU_DEP_4) | instskip(NEXT) | instid1(VALU_DEP_4)
	v_bitop3_b16 v10, v10, v12, 0xff bitop3:0xec
	v_bitop3_b16 v6, v6, v11, 0xff bitop3:0xec
	s_delay_alu instid0(VALU_DEP_4) | instskip(NEXT) | instid1(VALU_DEP_3)
	v_bitop3_b16 v7, v8, v7, 0xff bitop3:0xec
	v_dual_lshlrev_b32 v9, 16, v10 :: v_dual_bitop2_b32 v8, v13, v9 bitop3:0x54
	s_delay_alu instid0(VALU_DEP_3) | instskip(NEXT) | instid1(VALU_DEP_3)
	v_and_b32_e32 v6, 0xffff, v6
	v_and_b32_e32 v7, 0xffff, v7
	s_delay_alu instid0(VALU_DEP_1) | instskip(NEXT) | instid1(VALU_DEP_1)
	v_dual_lshlrev_b32 v8, 16, v8 :: v_dual_bitop2_b32 v9, v7, v9 bitop3:0x54
	v_or_b32_e32 v7, v6, v8
.LBB453_95:
	s_or_b32 exec_lo, exec_lo, s1
	s_delay_alu instid0(VALU_DEP_2) | instskip(NEXT) | instid1(VALU_DEP_1)
	v_dual_add_nc_u32 v6, 10, v15 :: v_dual_lshrrev_b32 v8, 8, v9
                                        ; implicit-def: $vgpr40
	v_cmp_le_u32_e32 vcc_lo, s5, v6
                                        ; implicit-def: $vgpr6
	s_and_saveexec_b32 s0, vcc_lo
	s_delay_alu instid0(SALU_CYCLE_1)
	s_xor_b32 s0, exec_lo, s0
	s_cbranch_execz .LBB453_97
; %bb.96:
	v_lshlrev_b16 v6, 8, v8
	v_and_b32_e32 v8, 0xff0000, v7
	v_perm_b32 v1, v1, v1, 0x3060504
	s_delay_alu instid0(VALU_DEP_3) | instskip(NEXT) | instid1(VALU_DEP_3)
	v_bitop3_b16 v6, v9, v6, 0xff bitop3:0xec
	v_perm_b32 v40, v7, v8, 0x3020504
                                        ; implicit-def: $vgpr8
                                        ; implicit-def: $vgpr7
	s_delay_alu instid0(VALU_DEP_2) | instskip(NEXT) | instid1(VALU_DEP_1)
	v_and_b32_e32 v6, 0xffff, v6
	v_and_or_b32 v6, 0xff000000, v9, v6
                                        ; implicit-def: $vgpr9
.LBB453_97:
	s_and_not1_saveexec_b32 s1, s0
	s_cbranch_execz .LBB453_101
; %bb.98:
	v_dual_add_nc_u32 v6, s17, v16 :: v_dual_add_nc_u32 v10, s19, v16
	s_mov_b32 s3, 0
	s_mov_b32 s4, exec_lo
	s_delay_alu instid0(VALU_DEP_1) | instskip(NEXT) | instid1(VALU_DEP_2)
	v_mul_lo_u32 v6, v6, s16
	v_mul_lo_u32 v10, v10, s18
	s_delay_alu instid0(VALU_DEP_1) | instskip(NEXT) | instid1(VALU_DEP_1)
	v_sub_nc_u32_e32 v6, v6, v10
	v_cmp_lt_u32_e32 vcc_lo, s20, v6
	v_cmpx_ge_u32_e64 s20, v6
	s_cbranch_execz .LBB453_100
; %bb.99:
	v_dual_add_nc_u32 v6, s22, v16 :: v_dual_add_nc_u32 v10, s38, v16
	s_delay_alu instid0(VALU_DEP_1) | instskip(NEXT) | instid1(VALU_DEP_2)
	v_mul_lo_u32 v6, v6, s21
	v_mul_lo_u32 v10, v10, s23
	s_delay_alu instid0(VALU_DEP_1) | instskip(NEXT) | instid1(VALU_DEP_1)
	v_sub_nc_u32_e32 v6, v6, v10
	v_cmp_lt_u32_e64 s0, s39, v6
	s_and_b32 s3, s0, exec_lo
.LBB453_100:
	s_or_b32 exec_lo, exec_lo, s4
	v_dual_lshrrev_b32 v6, 24, v9 :: v_dual_lshrrev_b32 v12, 8, v7
	v_cndmask_b32_e64 v10, 0, 1, s3
	v_cndmask_b32_e64 v11, 0, 1, vcc_lo
	v_lshlrev_b16 v8, 8, v8
	s_delay_alu instid0(VALU_DEP_4)
	v_lshlrev_b16 v6, 8, v6
	v_lshrrev_b32_e32 v13, 16, v7
	v_lshlrev_b16 v10, 8, v10
	v_lshlrev_b16 v12, 8, v12
	v_bitop3_b16 v8, v9, v8, 0xff bitop3:0xec
	v_or_b32_e32 v6, v11, v6
	s_delay_alu instid0(VALU_DEP_4) | instskip(NEXT) | instid1(VALU_DEP_4)
	v_bitop3_b16 v9, v13, v10, 0xff bitop3:0xec
	v_bitop3_b16 v7, v7, v12, 0xff bitop3:0xec
	s_delay_alu instid0(VALU_DEP_4) | instskip(NEXT) | instid1(VALU_DEP_3)
	v_and_b32_e32 v8, 0xffff, v8
	v_dual_lshlrev_b32 v6, 16, v6 :: v_dual_lshlrev_b32 v9, 16, v9
	s_delay_alu instid0(VALU_DEP_3) | instskip(NEXT) | instid1(VALU_DEP_2)
	v_and_b32_e32 v7, 0xffff, v7
	v_or_b32_e32 v6, v8, v6
	s_delay_alu instid0(VALU_DEP_2)
	v_or_b32_e32 v40, v7, v9
.LBB453_101:
	s_or_b32 exec_lo, exec_lo, s1
	v_dual_add_nc_u32 v7, 11, v15 :: v_dual_mov_b32 v39, 0
	s_mov_b32 s0, exec_lo
                                        ; implicit-def: $vgpr41
	s_delay_alu instid0(VALU_DEP_1)
	v_cmpx_le_u32_e64 s5, v7
	s_xor_b32 s0, exec_lo, s0
; %bb.102:
	v_and_b32_e32 v7, 0xff0000, v6
	v_perm_b32 v1, v1, v1, 0x3060504
	s_delay_alu instid0(VALU_DEP_2)
	v_perm_b32 v41, v6, v7, 0x3020504
                                        ; implicit-def: $vgpr6
; %bb.103:
	s_and_not1_saveexec_b32 s1, s0
	s_cbranch_execz .LBB453_107
; %bb.104:
	v_dual_add_nc_u32 v7, s17, v17 :: v_dual_add_nc_u32 v8, s19, v17
	s_mov_b32 s3, 0
	s_mov_b32 s4, exec_lo
	s_delay_alu instid0(VALU_DEP_1) | instskip(NEXT) | instid1(VALU_DEP_2)
	v_mul_lo_u32 v7, v7, s16
	v_mul_lo_u32 v8, v8, s18
	s_delay_alu instid0(VALU_DEP_1) | instskip(NEXT) | instid1(VALU_DEP_1)
	v_sub_nc_u32_e32 v7, v7, v8
	v_cmp_lt_u32_e32 vcc_lo, s20, v7
	v_cmpx_ge_u32_e64 s20, v7
	s_cbranch_execz .LBB453_106
; %bb.105:
	v_dual_add_nc_u32 v7, s22, v17 :: v_dual_add_nc_u32 v8, s38, v17
	s_delay_alu instid0(VALU_DEP_1) | instskip(NEXT) | instid1(VALU_DEP_2)
	v_mul_lo_u32 v7, v7, s21
	v_mul_lo_u32 v8, v8, s23
	s_delay_alu instid0(VALU_DEP_1) | instskip(NEXT) | instid1(VALU_DEP_1)
	v_sub_nc_u32_e32 v7, v7, v8
	v_cmp_lt_u32_e64 s0, s39, v7
	s_and_b32 s3, s0, exec_lo
.LBB453_106:
	s_or_b32 exec_lo, exec_lo, s4
	v_cndmask_b32_e64 v7, 0, 1, vcc_lo
	v_dual_lshrrev_b32 v8, 8, v6 :: v_dual_lshrrev_b32 v9, 16, v6
	v_cndmask_b32_e64 v39, 0, 1, s3
	s_delay_alu instid0(VALU_DEP_3) | instskip(NEXT) | instid1(VALU_DEP_3)
	v_lshlrev_b16 v7, 8, v7
	v_lshlrev_b16 v8, 8, v8
	s_delay_alu instid0(VALU_DEP_2) | instskip(NEXT) | instid1(VALU_DEP_2)
	v_bitop3_b16 v7, v9, v7, 0xff bitop3:0xec
	v_bitop3_b16 v6, v6, v8, 0xff bitop3:0xec
	s_delay_alu instid0(VALU_DEP_2) | instskip(NEXT) | instid1(VALU_DEP_2)
	v_lshlrev_b32_e32 v7, 16, v7
	v_and_b32_e32 v6, 0xffff, v6
	s_delay_alu instid0(VALU_DEP_1)
	v_or_b32_e32 v41, v6, v7
.LBB453_107:
	s_or_b32 exec_lo, exec_lo, s1
	v_dual_add_nc_u32 v8, 12, v15 :: v_dual_lshrrev_b32 v6, 8, v1
	v_dual_lshrrev_b32 v7, 16, v1 :: v_dual_lshrrev_b32 v1, 24, v1
	s_mov_b32 s0, exec_lo
                                        ; implicit-def: $vgpr42
	s_delay_alu instid0(VALU_DEP_2)
	v_cmpx_le_u32_e64 s5, v8
	s_xor_b32 s0, exec_lo, s0
; %bb.108:
	s_delay_alu instid0(VALU_DEP_2) | instskip(SKIP_1) | instid1(VALU_DEP_2)
	v_lshlrev_b16 v1, 8, v1
	v_lshlrev_b16 v6, 8, v6
	v_bitop3_b16 v1, v7, v1, 0xff bitop3:0xec
	s_delay_alu instid0(VALU_DEP_2) | instskip(NEXT) | instid1(VALU_DEP_2)
	v_and_b32_e32 v6, 0xffff, v6
                                        ; implicit-def: $vgpr7
	v_lshlrev_b32_e32 v1, 16, v1
	s_delay_alu instid0(VALU_DEP_1)
	v_or_b32_e32 v42, v6, v1
                                        ; implicit-def: $vgpr1
                                        ; implicit-def: $vgpr6
; %bb.109:
	s_or_saveexec_b32 s1, s0
	v_mov_b32_e32 v43, 0
	s_xor_b32 exec_lo, exec_lo, s1
	s_cbranch_execz .LBB453_113
; %bb.110:
	v_dual_add_nc_u32 v8, s19, v34 :: v_dual_add_nc_u32 v9, s17, v34
	s_mov_b32 s3, 0
	s_mov_b32 s4, exec_lo
	s_delay_alu instid0(VALU_DEP_1) | instskip(NEXT) | instid1(VALU_DEP_2)
	v_mul_lo_u32 v8, v8, s18
	v_mul_lo_u32 v9, v9, s16
	s_delay_alu instid0(VALU_DEP_1) | instskip(NEXT) | instid1(VALU_DEP_1)
	v_sub_nc_u32_e32 v8, v9, v8
	v_cmp_lt_u32_e32 vcc_lo, s20, v8
	v_cmpx_ge_u32_e64 s20, v8
	s_cbranch_execz .LBB453_112
; %bb.111:
	v_dual_add_nc_u32 v8, s38, v34 :: v_dual_add_nc_u32 v9, s22, v34
	s_delay_alu instid0(VALU_DEP_1) | instskip(NEXT) | instid1(VALU_DEP_2)
	v_mul_lo_u32 v8, v8, s23
	v_mul_lo_u32 v9, v9, s21
	s_delay_alu instid0(VALU_DEP_1) | instskip(NEXT) | instid1(VALU_DEP_1)
	v_sub_nc_u32_e32 v8, v9, v8
	v_cmp_lt_u32_e64 s0, s39, v8
	s_and_b32 s3, s0, exec_lo
.LBB453_112:
	s_or_b32 exec_lo, exec_lo, s4
	v_cndmask_b32_e64 v8, 0, 1, vcc_lo
	v_lshlrev_b16 v1, 8, v1
	v_lshlrev_b16 v6, 8, v6
	v_cndmask_b32_e64 v43, 0, 1, s3
	s_delay_alu instid0(VALU_DEP_3) | instskip(NEXT) | instid1(VALU_DEP_1)
	v_bitop3_b16 v1, v7, v1, 0xff bitop3:0xec
	v_dual_lshlrev_b32 v1, 16, v1 :: v_dual_bitop2_b32 v6, v8, v6 bitop3:0x54
	s_delay_alu instid0(VALU_DEP_1) | instskip(NEXT) | instid1(VALU_DEP_1)
	v_and_b32_e32 v6, 0xffff, v6
	v_or_b32_e32 v42, v6, v1
.LBB453_113:
	s_or_b32 exec_lo, exec_lo, s1
.LBB453_114:
	v_and_b32_e32 v66, 0xff, v36
	s_delay_alu instid0(VALU_DEP_2)
	v_bfe_u32 v67, v42, 8, 8
	v_bfe_u32 v64, v36, 8, 8
	;; [unrolled: 1-line block ×4, first 2 shown]
	v_dual_lshrrev_b32 v49, 24, v42 :: v_dual_lshrrev_b32 v48, 24, v36
	v_and_b32_e32 v62, 0xff, v37
	v_and_b32_e32 v60, 0xff, v38
	v_bfe_u32 v61, v37, 8, 8
	v_add3_u32 v1, v64, v66, v63
	v_add3_u32 v6, v65, v67, v49
	v_bfe_u32 v58, v38, 8, 8
	v_bfe_u32 v59, v37, 16, 8
	;; [unrolled: 1-line block ×3, first 2 shown]
	v_dual_lshrrev_b32 v47, 24, v37 :: v_dual_lshrrev_b32 v46, 24, v38
	v_add3_u32 v1, v1, v48, v60
	v_add3_u32 v6, v6, v62, v61
	v_and_b32_e32 v57, 0xff, v40
	v_and_b32_e32 v53, 0xff, v41
	v_bfe_u32 v55, v40, 8, 8
	v_add3_u32 v1, v1, v58, v56
	v_add3_u32 v6, v6, v59, v47
	v_bfe_u32 v52, v41, 8, 8
	v_bfe_u32 v54, v40, 16, 8
	;; [unrolled: 1-line block ×3, first 2 shown]
	v_dual_lshrrev_b32 v45, 24, v40 :: v_dual_lshrrev_b32 v44, 24, v41
	v_add3_u32 v1, v1, v46, v53
	v_add3_u32 v6, v6, v57, v55
	v_mbcnt_lo_u32_b32 v68, -1, 0
	v_and_b32_e32 v50, 0xff, v39
	v_and_b32_e32 v7, 0xff, v42
	;; [unrolled: 1-line block ×3, first 2 shown]
	v_add3_u32 v1, v1, v52, v51
	v_add3_u32 v6, v6, v54, v45
	v_and_b32_e32 v70, 15, v68
	v_and_b32_e32 v72, 16, v68
	v_dual_lshrrev_b32 v69, 5, v0 :: v_dual_bitop2_b32 v71, 31, v0 bitop3:0x54
	v_add3_u32 v73, v1, v44, v7
	v_add3_u32 v74, v6, v50, v8
	v_cmp_eq_u32_e64 s1, 0, v70
	v_cmp_lt_u32_e64 s0, 1, v70
	v_cmp_lt_u32_e64 s3, 3, v70
	s_cmp_lg_u32 s27, 0
	s_mov_b32 s4, -1
	v_cmp_lt_u32_e32 vcc_lo, 7, v70
	s_cbranch_scc0 .LBB453_135
; %bb.115:
	v_mov_b32_dpp v1, v74 row_shr:1 row_mask:0xf bank_mask:0xf
	v_mov_b32_dpp v6, v73 row_shr:1 row_mask:0xf bank_mask:0xf
	s_mov_b32 s4, exec_lo
	s_delay_alu instid0(VALU_DEP_1) | instskip(NEXT) | instid1(VALU_DEP_1)
	v_dual_add_nc_u32 v1, v1, v74 :: v_dual_add_nc_u32 v6, v6, v73
	v_dual_cndmask_b32 v1, v1, v74, s1 :: v_dual_cndmask_b32 v6, v6, v73, s1
	s_delay_alu instid0(VALU_DEP_1) | instskip(NEXT) | instid1(VALU_DEP_2)
	v_mov_b32_dpp v7, v1 row_shr:2 row_mask:0xf bank_mask:0xf
	v_mov_b32_dpp v8, v6 row_shr:2 row_mask:0xf bank_mask:0xf
	s_delay_alu instid0(VALU_DEP_1) | instskip(NEXT) | instid1(VALU_DEP_1)
	v_dual_add_nc_u32 v7, v1, v7 :: v_dual_add_nc_u32 v8, v6, v8
	v_dual_cndmask_b32 v1, v1, v7, s0 :: v_dual_cndmask_b32 v6, v6, v8, s0
	s_delay_alu instid0(VALU_DEP_1) | instskip(NEXT) | instid1(VALU_DEP_2)
	v_mov_b32_dpp v7, v1 row_shr:4 row_mask:0xf bank_mask:0xf
	v_mov_b32_dpp v8, v6 row_shr:4 row_mask:0xf bank_mask:0xf
	;; [unrolled: 6-line block ×3, first 2 shown]
	s_delay_alu instid0(VALU_DEP_1) | instskip(NEXT) | instid1(VALU_DEP_1)
	v_dual_add_nc_u32 v7, v1, v7 :: v_dual_add_nc_u32 v8, v6, v8
	v_dual_cndmask_b32 v1, v1, v7 :: v_dual_cndmask_b32 v6, v6, v8
	v_cmp_eq_u32_e32 vcc_lo, 0, v72
	ds_swizzle_b32 v7, v1 offset:swizzle(BROADCAST,32,15)
	ds_swizzle_b32 v8, v6 offset:swizzle(BROADCAST,32,15)
	s_wait_dscnt 0x0
	v_dual_add_nc_u32 v7, v1, v7 :: v_dual_add_nc_u32 v8, v6, v8
	v_cmpx_eq_u32_e64 v0, v71
; %bb.116:
	s_delay_alu instid0(VALU_DEP_2) | instskip(NEXT) | instid1(VALU_DEP_3)
	v_dual_cndmask_b32 v10, v8, v6 :: v_dual_lshlrev_b32 v9, 3, v69
	v_cndmask_b32_e32 v11, v7, v1, vcc_lo
	ds_store_b64 v9, v[10:11]
; %bb.117:
	s_or_b32 exec_lo, exec_lo, s4
	s_delay_alu instid0(SALU_CYCLE_1)
	s_mov_b32 s4, exec_lo
	s_wait_dscnt 0x0
	s_barrier_signal -1
	s_barrier_wait -1
	v_cmpx_gt_u32_e32 8, v0
	s_cbranch_execz .LBB453_119
; %bb.118:
	v_lshlrev_b32_e32 v9, 3, v0
	ds_load_b64 v[10:11], v9
	s_wait_dscnt 0x0
	v_mov_b32_dpp v12, v10 row_shr:1 row_mask:0xf bank_mask:0xf
	v_mov_b32_dpp v13, v11 row_shr:1 row_mask:0xf bank_mask:0xf
	s_delay_alu instid0(VALU_DEP_2) | instskip(NEXT) | instid1(VALU_DEP_2)
	v_dual_add_nc_u32 v12, v12, v10 :: v_dual_bitop2_b32 v28, 7, v68 bitop3:0x40
	v_add_nc_u32_e32 v13, v13, v11
	s_delay_alu instid0(VALU_DEP_2) | instskip(NEXT) | instid1(VALU_DEP_1)
	v_cmp_eq_u32_e64 s3, 0, v28
	v_dual_cndmask_b32 v11, v13, v11, s3 :: v_dual_cndmask_b32 v10, v12, v10, s3
	v_cmp_lt_u32_e64 s3, 1, v28
	s_delay_alu instid0(VALU_DEP_2) | instskip(NEXT) | instid1(VALU_DEP_3)
	v_mov_b32_dpp v13, v11 row_shr:2 row_mask:0xf bank_mask:0xf
	v_mov_b32_dpp v12, v10 row_shr:2 row_mask:0xf bank_mask:0xf
	s_delay_alu instid0(VALU_DEP_1) | instskip(NEXT) | instid1(VALU_DEP_1)
	v_dual_add_nc_u32 v13, v11, v13 :: v_dual_add_nc_u32 v12, v10, v12
	v_dual_cndmask_b32 v11, v11, v13, s3 :: v_dual_cndmask_b32 v10, v10, v12, s3
	v_cmp_lt_u32_e64 s3, 3, v28
	s_delay_alu instid0(VALU_DEP_2) | instskip(NEXT) | instid1(VALU_DEP_3)
	v_mov_b32_dpp v13, v11 row_shr:4 row_mask:0xf bank_mask:0xf
	v_mov_b32_dpp v12, v10 row_shr:4 row_mask:0xf bank_mask:0xf
	s_delay_alu instid0(VALU_DEP_1) | instskip(NEXT) | instid1(VALU_DEP_1)
	v_dual_cndmask_b32 v13, 0, v13, s3 :: v_dual_cndmask_b32 v12, 0, v12, s3
	v_dual_add_nc_u32 v11, v13, v11 :: v_dual_add_nc_u32 v10, v12, v10
	ds_store_b64 v9, v[10:11]
.LBB453_119:
	s_or_b32 exec_lo, exec_lo, s4
	v_dual_cndmask_b32 v1, v7, v1 :: v_dual_cndmask_b32 v6, v8, v6
	s_mov_b32 s4, exec_lo
	v_cmp_gt_u32_e32 vcc_lo, 32, v0
	s_wait_dscnt 0x0
	s_barrier_signal -1
	s_barrier_wait -1
                                        ; implicit-def: $vgpr28
	v_cmpx_lt_u32_e32 31, v0
	s_cbranch_execz .LBB453_121
; %bb.120:
	v_lshl_add_u32 v7, v69, 3, -8
	ds_load_b64 v[28:29], v7
	s_wait_dscnt 0x0
	v_dual_add_nc_u32 v1, v29, v1 :: v_dual_add_nc_u32 v6, v28, v6
.LBB453_121:
	s_or_b32 exec_lo, exec_lo, s4
	v_sub_co_u32 v7, s3, v68, 1
	s_delay_alu instid0(VALU_DEP_1) | instskip(NEXT) | instid1(VALU_DEP_1)
	v_cmp_gt_i32_e64 s4, 0, v7
	v_cndmask_b32_e64 v7, v7, v68, s4
	s_delay_alu instid0(VALU_DEP_1)
	v_lshlrev_b32_e32 v7, 2, v7
	ds_bpermute_b32 v75, v7, v6
	ds_bpermute_b32 v1, v7, v1
	s_and_saveexec_b32 s4, vcc_lo
	s_cbranch_execz .LBB453_140
; %bb.122:
	v_mov_b32_e32 v9, 0
	ds_load_b64 v[6:7], v9 offset:56
	s_and_saveexec_b32 s6, s3
	s_cbranch_execz .LBB453_124
; %bb.123:
	s_add_co_i32 s8, s27, 32
	s_mov_b32 s9, 0
	v_mov_b32_e32 v8, 1
	s_lshl_b64 s[8:9], s[8:9], 4
	s_delay_alu instid0(SALU_CYCLE_1) | instskip(NEXT) | instid1(SALU_CYCLE_1)
	s_add_nc_u64 s[8:9], s[36:37], s[8:9]
	v_mov_b64_e32 v[10:11], s[8:9]
	s_wait_dscnt 0x0
	;;#ASMSTART
	global_store_b128 v[10:11], v[6:9] off scope:SCOPE_DEV	
s_wait_storecnt 0x0
	;;#ASMEND
.LBB453_124:
	s_or_b32 exec_lo, exec_lo, s6
	v_xad_u32 v30, v68, -1, s27
	s_mov_b32 s7, 0
	s_mov_b32 s6, exec_lo
	s_delay_alu instid0(VALU_DEP_1) | instskip(NEXT) | instid1(VALU_DEP_1)
	v_add_nc_u32_e32 v8, 32, v30
	v_lshl_add_u64 v[8:9], v[8:9], 4, s[36:37]
	;;#ASMSTART
	global_load_b128 v[10:13], v[8:9] off scope:SCOPE_DEV	
s_wait_loadcnt 0x0
	;;#ASMEND
	v_and_b32_e32 v13, 0xff, v12
	s_delay_alu instid0(VALU_DEP_1)
	v_cmpx_eq_u16_e32 0, v13
	s_cbranch_execz .LBB453_127
.LBB453_125:                            ; =>This Inner Loop Header: Depth=1
	;;#ASMSTART
	global_load_b128 v[10:13], v[8:9] off scope:SCOPE_DEV	
s_wait_loadcnt 0x0
	;;#ASMEND
	v_and_b32_e32 v13, 0xff, v12
	s_delay_alu instid0(VALU_DEP_1) | instskip(SKIP_1) | instid1(SALU_CYCLE_1)
	v_cmp_ne_u16_e32 vcc_lo, 0, v13
	s_or_b32 s7, vcc_lo, s7
	s_and_not1_b32 exec_lo, exec_lo, s7
	s_cbranch_execnz .LBB453_125
; %bb.126:
	s_or_b32 exec_lo, exec_lo, s7
.LBB453_127:
	s_delay_alu instid0(SALU_CYCLE_1) | instskip(SKIP_4) | instid1(VALU_DEP_1)
	s_or_b32 exec_lo, exec_lo, s6
	v_cmp_ne_u32_e32 vcc_lo, 31, v68
	v_lshlrev_b32_e64 v77, v68, -1
	v_lshl_or_b32 v84, v68, 2, 64
	v_add_co_ci_u32_e64 v8, null, 0, v68, vcc_lo
	v_lshlrev_b32_e32 v76, 2, v8
	v_and_b32_e32 v8, 0xff, v12
	s_delay_alu instid0(VALU_DEP_1)
	v_cmp_eq_u16_e32 vcc_lo, 2, v8
	v_and_b32_e32 v13, vcc_lo, v77
	ds_bpermute_b32 v9, v76, v11
	ds_bpermute_b32 v8, v76, v10
	v_cmp_gt_u32_e32 vcc_lo, 30, v68
	v_or_b32_e32 v13, 0x80000000, v13
	v_cndmask_b32_e64 v31, 0, 2, vcc_lo
	s_delay_alu instid0(VALU_DEP_2) | instskip(NEXT) | instid1(VALU_DEP_2)
	v_ctz_i32_b32_e32 v13, v13
	v_add_lshl_u32 v78, v31, v68, 2
	s_delay_alu instid0(VALU_DEP_2) | instskip(SKIP_2) | instid1(VALU_DEP_1)
	v_cmp_lt_u32_e32 vcc_lo, v68, v13
	s_wait_dscnt 0x0
	v_dual_add_nc_u32 v9, v9, v11 :: v_dual_add_nc_u32 v8, v8, v10
	v_dual_cndmask_b32 v9, v11, v9 :: v_dual_cndmask_b32 v8, v10, v8
	v_cmp_gt_u32_e32 vcc_lo, 28, v68
	ds_bpermute_b32 v10, v78, v9
	ds_bpermute_b32 v11, v78, v8
	v_add_nc_u32_e32 v79, 2, v68
	v_cndmask_b32_e64 v31, 0, 4, vcc_lo
	s_delay_alu instid0(VALU_DEP_1) | instskip(SKIP_4) | instid1(VALU_DEP_2)
	v_add_lshl_u32 v80, v31, v68, 2
	s_wait_dscnt 0x1
	v_add_nc_u32_e32 v10, v9, v10
	v_cmp_gt_u32_e32 vcc_lo, v79, v13
	s_wait_dscnt 0x0
	v_dual_add_nc_u32 v11, v8, v11 :: v_dual_cndmask_b32 v9, v10, v9, vcc_lo
	ds_bpermute_b32 v10, v80, v9
	v_cndmask_b32_e32 v8, v11, v8, vcc_lo
	v_cmp_gt_u32_e32 vcc_lo, 24, v68
	v_cndmask_b32_e64 v31, 0, 8, vcc_lo
	s_delay_alu instid0(VALU_DEP_1)
	v_add_lshl_u32 v82, v31, v68, 2
	s_wait_dscnt 0x0
	v_dual_mov_b32 v31, 0 :: v_dual_add_nc_u32 v10, v9, v10
	ds_bpermute_b32 v11, v80, v8
	s_wait_dscnt 0x0
	v_dual_add_nc_u32 v81, 4, v68 :: v_dual_add_nc_u32 v11, v8, v11
	s_delay_alu instid0(VALU_DEP_1) | instskip(NEXT) | instid1(VALU_DEP_2)
	v_cmp_gt_u32_e32 vcc_lo, v81, v13
	v_dual_cndmask_b32 v9, v10, v9 :: v_dual_cndmask_b32 v8, v11, v8
	ds_bpermute_b32 v10, v82, v9
	ds_bpermute_b32 v11, v82, v8
	s_wait_dscnt 0x1
	v_dual_add_nc_u32 v83, 8, v68 :: v_dual_add_nc_u32 v10, v9, v10
	s_delay_alu instid0(VALU_DEP_1) | instskip(SKIP_1) | instid1(VALU_DEP_2)
	v_cmp_gt_u32_e32 vcc_lo, v83, v13
	s_wait_dscnt 0x0
	v_dual_add_nc_u32 v11, v8, v11 :: v_dual_cndmask_b32 v9, v10, v9, vcc_lo
	s_delay_alu instid0(VALU_DEP_1) | instskip(SKIP_3) | instid1(VALU_DEP_1)
	v_cndmask_b32_e32 v8, v11, v8, vcc_lo
	ds_bpermute_b32 v11, v84, v9
	ds_bpermute_b32 v10, v84, v8
	v_add_nc_u32_e32 v85, 16, v68
	v_cmp_le_u32_e32 vcc_lo, v85, v13
	s_wait_dscnt 0x0
	v_dual_cndmask_b32 v11, 0, v11 :: v_dual_cndmask_b32 v10, 0, v10
	s_delay_alu instid0(VALU_DEP_1)
	v_dual_add_nc_u32 v11, v11, v9 :: v_dual_add_nc_u32 v10, v10, v8
	s_branch .LBB453_131
.LBB453_128:                            ;   in Loop: Header=BB453_131 Depth=1
	s_or_b32 exec_lo, exec_lo, s7
.LBB453_129:                            ;   in Loop: Header=BB453_131 Depth=1
	s_delay_alu instid0(SALU_CYCLE_1)
	s_or_b32 exec_lo, exec_lo, s6
	ds_bpermute_b32 v13, v76, v10
	ds_bpermute_b32 v32, v76, v11
	v_and_b32_e32 v33, 0xff, v12
	v_subrev_nc_u32_e32 v30, 32, v30
	s_mov_b32 s6, 0
	s_delay_alu instid0(VALU_DEP_2) | instskip(SKIP_1) | instid1(VALU_DEP_1)
	v_cmp_eq_u16_e32 vcc_lo, 2, v33
	v_and_or_b32 v33, vcc_lo, v77, 0x80000000
	v_ctz_i32_b32_e32 v33, v33
	s_wait_dscnt 0x0
	v_dual_add_nc_u32 v13, v13, v10 :: v_dual_add_nc_u32 v32, v32, v11
	s_delay_alu instid0(VALU_DEP_2) | instskip(NEXT) | instid1(VALU_DEP_2)
	v_cmp_lt_u32_e32 vcc_lo, v68, v33
	v_dual_cndmask_b32 v11, v11, v32 :: v_dual_cndmask_b32 v10, v10, v13
	v_cmp_gt_u32_e32 vcc_lo, v79, v33
	ds_bpermute_b32 v32, v78, v11
	ds_bpermute_b32 v13, v78, v10
	s_wait_dscnt 0x0
	v_dual_add_nc_u32 v32, v11, v32 :: v_dual_add_nc_u32 v13, v10, v13
	s_delay_alu instid0(VALU_DEP_1)
	v_dual_cndmask_b32 v11, v32, v11 :: v_dual_cndmask_b32 v10, v13, v10
	v_cmp_gt_u32_e32 vcc_lo, v81, v33
	ds_bpermute_b32 v32, v80, v11
	ds_bpermute_b32 v13, v80, v10
	s_wait_dscnt 0x0
	v_dual_add_nc_u32 v32, v11, v32 :: v_dual_add_nc_u32 v13, v10, v13
	s_delay_alu instid0(VALU_DEP_1)
	;; [unrolled: 7-line block ×3, first 2 shown]
	v_dual_cndmask_b32 v11, v32, v11 :: v_dual_cndmask_b32 v10, v13, v10
	v_cmp_le_u32_e32 vcc_lo, v85, v33
	ds_bpermute_b32 v32, v84, v11
	ds_bpermute_b32 v13, v84, v10
	s_wait_dscnt 0x0
	v_dual_cndmask_b32 v32, 0, v32 :: v_dual_cndmask_b32 v13, 0, v13
	s_delay_alu instid0(VALU_DEP_1) | instskip(NEXT) | instid1(VALU_DEP_2)
	v_add3_u32 v11, v11, v9, v32
	v_add3_u32 v10, v10, v8, v13
.LBB453_130:                            ;   in Loop: Header=BB453_131 Depth=1
	s_and_b32 vcc_lo, exec_lo, s6
	s_cbranch_vccnz .LBB453_136
.LBB453_131:                            ; =>This Loop Header: Depth=1
                                        ;     Child Loop BB453_134 Depth 2
	v_and_b32_e32 v8, 0xff, v12
	s_mov_b32 s6, -1
                                        ; implicit-def: $vgpr12
	s_delay_alu instid0(VALU_DEP_1)
	v_cmp_ne_u16_e32 vcc_lo, 2, v8
	v_mov_b64_e32 v[8:9], v[10:11]
                                        ; implicit-def: $vgpr10_vgpr11
	s_cmp_lg_u32 vcc_lo, exec_lo
	s_cbranch_scc1 .LBB453_130
; %bb.132:                              ;   in Loop: Header=BB453_131 Depth=1
	v_lshl_add_u64 v[32:33], v[30:31], 4, s[36:37]
	;;#ASMSTART
	global_load_b128 v[10:13], v[32:33] off scope:SCOPE_DEV	
s_wait_loadcnt 0x0
	;;#ASMEND
	v_and_b32_e32 v13, 0xff, v12
	s_mov_b32 s6, exec_lo
	s_delay_alu instid0(VALU_DEP_1)
	v_cmpx_eq_u16_e32 0, v13
	s_cbranch_execz .LBB453_129
; %bb.133:                              ;   in Loop: Header=BB453_131 Depth=1
	s_mov_b32 s7, 0
.LBB453_134:                            ;   Parent Loop BB453_131 Depth=1
                                        ; =>  This Inner Loop Header: Depth=2
	;;#ASMSTART
	global_load_b128 v[10:13], v[32:33] off scope:SCOPE_DEV	
s_wait_loadcnt 0x0
	;;#ASMEND
	v_and_b32_e32 v13, 0xff, v12
	s_delay_alu instid0(VALU_DEP_1) | instskip(SKIP_1) | instid1(SALU_CYCLE_1)
	v_cmp_ne_u16_e32 vcc_lo, 0, v13
	s_or_b32 s7, vcc_lo, s7
	s_and_not1_b32 exec_lo, exec_lo, s7
	s_cbranch_execnz .LBB453_134
	s_branch .LBB453_128
.LBB453_135:
                                        ; implicit-def: $vgpr1
                                        ; implicit-def: $vgpr8
                                        ; implicit-def: $vgpr10
                                        ; implicit-def: $vgpr12
                                        ; implicit-def: $vgpr28
	s_and_b32 vcc_lo, exec_lo, s4
	s_cbranch_vccnz .LBB453_141
	s_branch .LBB453_150
.LBB453_136:
	s_and_saveexec_b32 s6, s3
	s_cbranch_execz .LBB453_138
; %bb.137:
	s_add_co_i32 s8, s27, 32
	s_mov_b32 s9, 0
	v_dual_mov_b32 v12, 2 :: v_dual_mov_b32 v13, 0
	s_lshl_b64 s[8:9], s[8:9], 4
	v_dual_add_nc_u32 v11, v9, v7 :: v_dual_add_nc_u32 v10, v8, v6
	s_add_nc_u64 s[8:9], s[36:37], s[8:9]
	s_delay_alu instid0(SALU_CYCLE_1)
	v_mov_b64_e32 v[30:31], s[8:9]
	;;#ASMSTART
	global_store_b128 v[30:31], v[10:13] off scope:SCOPE_DEV	
s_wait_storecnt 0x0
	;;#ASMEND
	ds_store_b128 v13, v[6:9] offset:13312
.LBB453_138:
	s_or_b32 exec_lo, exec_lo, s6
	s_delay_alu instid0(SALU_CYCLE_1)
	s_and_b32 exec_lo, exec_lo, s2
; %bb.139:
	v_mov_b32_e32 v6, 0
	ds_store_b64 v6, v[8:9] offset:56
.LBB453_140:
	s_or_b32 exec_lo, exec_lo, s4
	s_wait_dscnt 0x0
	v_dual_mov_b32 v6, 0 :: v_dual_cndmask_b32 v1, v1, v29, s3
	s_barrier_signal -1
	s_barrier_wait -1
	ds_load_b64 v[12:13], v6 offset:56
	s_wait_dscnt 0x0
	s_barrier_signal -1
	s_barrier_wait -1
	ds_load_b128 v[6:9], v6 offset:13312
	v_cndmask_b32_e64 v10, v75, v28, s3
	s_delay_alu instid0(VALU_DEP_1) | instskip(SKIP_2) | instid1(VALU_DEP_2)
	v_dual_add_nc_u32 v1, v13, v1 :: v_dual_add_nc_u32 v11, v12, v10
	s_wait_dscnt 0x0
	v_mov_b32_e32 v10, v9
	v_dual_cndmask_b32 v1, v1, v13, s2 :: v_dual_cndmask_b32 v28, v11, v12, s2
	v_mov_b32_e32 v12, v7
	s_branch .LBB453_150
.LBB453_141:
	v_mov_b32_dpp v1, v73 row_shr:1 row_mask:0xf bank_mask:0xf
	v_mov_b32_dpp v6, v74 row_shr:1 row_mask:0xf bank_mask:0xf
	v_cmp_lt_u32_e32 vcc_lo, 3, v70
	s_delay_alu instid0(VALU_DEP_2) | instskip(NEXT) | instid1(VALU_DEP_1)
	v_dual_add_nc_u32 v1, v1, v73 :: v_dual_add_nc_u32 v6, v6, v74
	v_dual_cndmask_b32 v1, v1, v73, s1 :: v_dual_cndmask_b32 v6, v6, v74, s1
	s_mov_b32 s1, exec_lo
	s_delay_alu instid0(VALU_DEP_1) | instskip(NEXT) | instid1(VALU_DEP_2)
	v_mov_b32_dpp v7, v1 row_shr:2 row_mask:0xf bank_mask:0xf
	v_mov_b32_dpp v8, v6 row_shr:2 row_mask:0xf bank_mask:0xf
	s_delay_alu instid0(VALU_DEP_1) | instskip(NEXT) | instid1(VALU_DEP_1)
	v_dual_add_nc_u32 v7, v1, v7 :: v_dual_add_nc_u32 v8, v6, v8
	v_dual_cndmask_b32 v1, v1, v7, s0 :: v_dual_cndmask_b32 v6, v6, v8, s0
	s_delay_alu instid0(VALU_DEP_1) | instskip(NEXT) | instid1(VALU_DEP_2)
	v_mov_b32_dpp v7, v1 row_shr:4 row_mask:0xf bank_mask:0xf
	v_mov_b32_dpp v8, v6 row_shr:4 row_mask:0xf bank_mask:0xf
	s_delay_alu instid0(VALU_DEP_1) | instskip(NEXT) | instid1(VALU_DEP_1)
	v_dual_add_nc_u32 v7, v1, v7 :: v_dual_add_nc_u32 v8, v6, v8
	v_dual_cndmask_b32 v7, v1, v7 :: v_dual_cndmask_b32 v6, v6, v8
	v_cmp_lt_u32_e32 vcc_lo, 7, v70
	s_delay_alu instid0(VALU_DEP_2) | instskip(NEXT) | instid1(VALU_DEP_3)
	v_mov_b32_dpp v1, v7 row_shr:8 row_mask:0xf bank_mask:0xf
	v_mov_b32_dpp v8, v6 row_shr:8 row_mask:0xf bank_mask:0xf
	s_delay_alu instid0(VALU_DEP_1) | instskip(NEXT) | instid1(VALU_DEP_1)
	v_dual_add_nc_u32 v9, v7, v1 :: v_dual_add_nc_u32 v1, v6, v8
	v_cndmask_b32_e32 v1, v6, v1, vcc_lo
	s_delay_alu instid0(VALU_DEP_2)
	v_cndmask_b32_e32 v6, v7, v9, vcc_lo
	v_cmp_eq_u32_e32 vcc_lo, 0, v72
	ds_swizzle_b32 v8, v6 offset:swizzle(BROADCAST,32,15)
	s_wait_dscnt 0x0
	v_add_nc_u32_e32 v8, v6, v8
	ds_swizzle_b32 v7, v1 offset:swizzle(BROADCAST,32,15)
	s_wait_dscnt 0x0
	v_add_nc_u32_e32 v7, v1, v7
	v_cmpx_eq_u32_e64 v0, v71
; %bb.142:
	s_delay_alu instid0(VALU_DEP_2)
	v_dual_cndmask_b32 v10, v8, v6 :: v_dual_cndmask_b32 v11, v7, v1
	v_lshlrev_b32_e32 v9, 3, v69
	ds_store_b64 v9, v[10:11]
; %bb.143:
	s_or_b32 exec_lo, exec_lo, s1
	s_delay_alu instid0(SALU_CYCLE_1)
	s_mov_b32 s1, exec_lo
	s_wait_dscnt 0x0
	s_barrier_signal -1
	s_barrier_wait -1
	v_cmpx_gt_u32_e32 8, v0
	s_cbranch_execz .LBB453_145
; %bb.144:
	v_lshlrev_b32_e32 v9, 3, v0
	ds_load_b64 v[10:11], v9
	s_wait_dscnt 0x0
	v_mov_b32_dpp v12, v10 row_shr:1 row_mask:0xf bank_mask:0xf
	v_mov_b32_dpp v13, v11 row_shr:1 row_mask:0xf bank_mask:0xf
	s_delay_alu instid0(VALU_DEP_2) | instskip(NEXT) | instid1(VALU_DEP_2)
	v_dual_add_nc_u32 v12, v12, v10 :: v_dual_bitop2_b32 v28, 7, v68 bitop3:0x40
	v_add_nc_u32_e32 v13, v13, v11
	s_delay_alu instid0(VALU_DEP_2) | instskip(NEXT) | instid1(VALU_DEP_1)
	v_cmp_eq_u32_e64 s0, 0, v28
	v_dual_cndmask_b32 v11, v13, v11, s0 :: v_dual_cndmask_b32 v10, v12, v10, s0
	v_cmp_lt_u32_e64 s0, 1, v28
	s_delay_alu instid0(VALU_DEP_2) | instskip(NEXT) | instid1(VALU_DEP_3)
	v_mov_b32_dpp v13, v11 row_shr:2 row_mask:0xf bank_mask:0xf
	v_mov_b32_dpp v12, v10 row_shr:2 row_mask:0xf bank_mask:0xf
	s_delay_alu instid0(VALU_DEP_1) | instskip(NEXT) | instid1(VALU_DEP_1)
	v_dual_add_nc_u32 v13, v11, v13 :: v_dual_add_nc_u32 v12, v10, v12
	v_dual_cndmask_b32 v11, v11, v13, s0 :: v_dual_cndmask_b32 v10, v10, v12, s0
	v_cmp_lt_u32_e64 s0, 3, v28
	s_delay_alu instid0(VALU_DEP_2) | instskip(NEXT) | instid1(VALU_DEP_3)
	v_mov_b32_dpp v13, v11 row_shr:4 row_mask:0xf bank_mask:0xf
	v_mov_b32_dpp v12, v10 row_shr:4 row_mask:0xf bank_mask:0xf
	s_delay_alu instid0(VALU_DEP_1) | instskip(NEXT) | instid1(VALU_DEP_1)
	v_dual_cndmask_b32 v13, 0, v13, s0 :: v_dual_cndmask_b32 v12, 0, v12, s0
	v_dual_add_nc_u32 v11, v13, v11 :: v_dual_add_nc_u32 v10, v12, v10
	ds_store_b64 v9, v[10:11]
.LBB453_145:
	s_or_b32 exec_lo, exec_lo, s1
	v_dual_mov_b32 v9, 0 :: v_dual_mov_b32 v10, 0
	v_mov_b32_e32 v11, 0
	s_mov_b32 s1, exec_lo
	s_wait_dscnt 0x0
	s_barrier_signal -1
	s_barrier_wait -1
	v_cmpx_lt_u32_e32 31, v0
; %bb.146:
	v_lshl_add_u32 v10, v69, 3, -8
	ds_load_b64 v[10:11], v10
; %bb.147:
	s_or_b32 exec_lo, exec_lo, s1
	v_sub_co_u32 v12, s0, v68, 1
	v_dual_cndmask_b32 v6, v8, v6 :: v_dual_cndmask_b32 v1, v7, v1
	s_delay_alu instid0(VALU_DEP_2) | instskip(SKIP_1) | instid1(VALU_DEP_1)
	v_cmp_gt_i32_e64 s1, 0, v12
	s_wait_dscnt 0x0
	v_dual_add_nc_u32 v6, v10, v6 :: v_dual_cndmask_b32 v8, v12, v68, s1
	s_delay_alu instid0(VALU_DEP_1)
	v_dual_lshlrev_b32 v7, 2, v8 :: v_dual_add_nc_u32 v8, v11, v1
	ds_bpermute_b32 v1, v7, v6
	ds_bpermute_b32 v12, v7, v8
	ds_load_b64 v[6:7], v9 offset:56
	s_and_saveexec_b32 s1, s2
	s_cbranch_execz .LBB453_149
; %bb.148:
	s_add_nc_u64 s[6:7], s[36:37], 0x200
	v_dual_mov_b32 v8, 2 :: v_dual_mov_b32 v9, 0
	v_mov_b64_e32 v[28:29], s[6:7]
	s_wait_dscnt 0x0
	;;#ASMSTART
	global_store_b128 v[28:29], v[6:9] off scope:SCOPE_DEV	
s_wait_storecnt 0x0
	;;#ASMEND
.LBB453_149:
	s_or_b32 exec_lo, exec_lo, s1
	s_wait_dscnt 0x1
	v_dual_cndmask_b32 v9, v12, v11, s0 :: v_dual_cndmask_b32 v11, v1, v10, s0
	v_dual_mov_b32 v10, 0 :: v_dual_mov_b32 v8, 0
	s_wait_dscnt 0x0
	v_mov_b32_e32 v12, v7
	s_delay_alu instid0(VALU_DEP_3)
	v_cndmask_b32_e64 v1, v9, 0, s2
	v_cndmask_b32_e64 v28, v11, 0, s2
	s_barrier_signal -1
	s_barrier_wait -1
.LBB453_150:
	s_delay_alu instid0(VALU_DEP_1) | instskip(SKIP_2) | instid1(VALU_DEP_3)
	v_dual_add_nc_u32 v74, v1, v67 :: v_dual_add_nc_u32 v75, v28, v66
	v_dual_lshrrev_b32 v72, 16, v42 :: v_dual_lshrrev_b32 v7, 8, v42
	v_dual_lshrrev_b32 v73, 8, v36 :: v_dual_lshrrev_b32 v71, 16, v36
	v_dual_add_nc_u32 v65, v74, v65 :: v_dual_add_nc_u32 v64, v75, v64
	v_dual_mov_b32 v9, 0 :: v_dual_lshlrev_b32 v66, 1, v6
	s_delay_alu instid0(VALU_DEP_2) | instskip(NEXT) | instid1(VALU_DEP_3)
	v_dual_add_nc_u32 v76, v65, v49 :: v_dual_bitop2_b32 v36, 1, v36 bitop3:0x40
	v_add_nc_u32_e32 v63, v64, v63
	v_dual_sub_nc_u32 v28, v28, v8 :: v_dual_sub_nc_u32 v1, v1, v10
	s_delay_alu instid0(VALU_DEP_3) | instskip(NEXT) | instid1(VALU_DEP_3)
	v_dual_add_nc_u32 v62, v76, v62 :: v_dual_bitop2_b32 v77, 1, v7 bitop3:0x40
	v_dual_mov_b32 v7, v9 :: v_dual_add_nc_u32 v78, v63, v48
	v_mov_b32_e32 v11, v9
	s_delay_alu instid0(VALU_DEP_3) | instskip(SKIP_1) | instid1(VALU_DEP_4)
	v_dual_add_nc_u32 v1, v1, v6 :: v_dual_add_nc_u32 v61, v62, v61
	v_add3_u32 v15, v66, v12, v15
	v_add_nc_u32_e32 v60, v78, v60
	s_delay_alu instid0(VALU_DEP_3) | instskip(NEXT) | instid1(VALU_DEP_4)
	v_dual_sub_nc_u32 v74, v74, v10 :: v_dual_add_nc_u32 v81, v28, v1
	v_dual_add_nc_u32 v79, v61, v59 :: v_dual_sub_nc_u32 v75, v75, v8
	s_delay_alu instid0(VALU_DEP_3) | instskip(SKIP_1) | instid1(VALU_DEP_4)
	v_add_nc_u32_e32 v80, v60, v58
	v_cmp_eq_u32_e32 vcc_lo, 1, v77
	v_dual_add_nc_u32 v74, v74, v6 :: v_dual_sub_nc_u32 v64, v64, v8
	s_delay_alu instid0(VALU_DEP_3) | instskip(SKIP_2) | instid1(VALU_DEP_3)
	v_dual_add_nc_u32 v82, v79, v47 :: v_dual_add_nc_u32 v56, v80, v56
	v_dual_sub_nc_u32 v81, v15, v81 :: v_dual_sub_nc_u32 v65, v65, v10
	v_sub_nc_u64_e32 v[58:59], v[4:5], v[6:7]
	v_dual_add_nc_u32 v57, v82, v57 :: v_dual_add_nc_u32 v83, v56, v46
	s_delay_alu instid0(VALU_DEP_3) | instskip(SKIP_1) | instid1(VALU_DEP_3)
	v_dual_cndmask_b32 v1, v81, v1, vcc_lo :: v_dual_add_nc_u32 v81, v74, v75
	v_cmp_eq_u32_e32 vcc_lo, 1, v36
	v_dual_add_nc_u32 v55, v57, v55 :: v_dual_add_nc_u32 v77, v83, v53
	v_and_b32_e32 v72, 1, v72
	v_dual_sub_nc_u32 v63, v63, v8 :: v_dual_bitop2_b32 v49, 1, v49 bitop3:0x40
	s_delay_alu instid0(VALU_DEP_3) | instskip(NEXT) | instid1(VALU_DEP_4)
	v_dual_cndmask_b32 v1, v1, v28 :: v_dual_add_nc_u32 v28, v55, v54
	v_add_nc_u32_e32 v36, v77, v52
	v_add_nc_u32_e32 v54, v65, v6
	v_add_nc_u64_e32 v[52:53], v[58:59], v[10:11]
	s_delay_alu instid0(VALU_DEP_4)
	v_lshlrev_b32_e32 v1, 2, v1
	v_add_nc_u32_e32 v58, v28, v45
	v_dual_add_nc_u32 v51, v36, v51 :: v_dual_sub_nc_u32 v59, v15, v81
	v_add_nc_u32_e32 v65, v54, v64
	ds_store_b32 v1, v26
	v_dual_add_nc_u32 v1, v58, v50 :: v_dual_add_nc_u32 v26, v51, v44
	v_dual_sub_nc_u32 v73, v76, v10 :: v_dual_bitop2_b32 v50, 1, v73 bitop3:0x40
	v_dual_sub_nc_u32 v65, v15, v65 :: v_dual_add_nc_u32 v59, 1, v59
	v_cmp_eq_u32_e32 vcc_lo, 1, v72
	s_delay_alu instid0(VALU_DEP_3) | instskip(NEXT) | instid1(VALU_DEP_3)
	v_dual_add_nc_u32 v73, v73, v6 :: v_dual_bitop2_b32 v71, 1, v71 bitop3:0x40
	v_add_nc_u32_e32 v65, 2, v65
	v_dual_lshrrev_b32 v70, 8, v37 :: v_dual_lshrrev_b32 v69, 16, v37
	v_cndmask_b32_e32 v59, v59, v74, vcc_lo
	v_cmp_eq_u32_e32 vcc_lo, 1, v49
	v_dual_add_nc_u32 v72, v63, v73 :: v_dual_lshrrev_b32 v33, 16, v38
	v_dual_lshrrev_b32 v68, 8, v38 :: v_dual_lshrrev_b32 v31, 16, v40
	v_dual_cndmask_b32 v49, v65, v54 :: v_dual_lshrrev_b32 v32, 8, v40
	v_cmp_eq_u32_e32 vcc_lo, 1, v50
	s_delay_alu instid0(VALU_DEP_4)
	v_dual_sub_nc_u32 v54, v15, v72 :: v_dual_lshrrev_b32 v30, 8, v41
	v_dual_lshrrev_b32 v29, 16, v41 :: v_dual_sub_nc_u32 v1, v1, v10
	v_cndmask_b32_e32 v50, v59, v75, vcc_lo
	v_cmp_eq_u32_e32 vcc_lo, 1, v71
	v_dual_sub_nc_u32 v59, v62, v10 :: v_dual_bitop2_b32 v37, 1, v37 bitop3:0x40
	v_dual_add_nc_u32 v54, 3, v54 :: v_dual_bitop2_b32 v48, 1, v48 bitop3:0x40
	v_cndmask_b32_e32 v49, v49, v64, vcc_lo
	v_dual_sub_nc_u32 v62, v78, v8 :: v_dual_lshlrev_b32 v50, 2, v50
	s_delay_alu instid0(VALU_DEP_4) | instskip(SKIP_1) | instid1(VALU_DEP_4)
	v_add_nc_u32_e32 v59, v59, v6
	v_cmp_eq_u32_e32 vcc_lo, 1, v37
	v_lshlrev_b32_e32 v49, 2, v49
	v_add_nc_u64_e32 v[2:3], v[2:3], v[8:9]
	ds_store_b32 v50, v27
	v_dual_sub_nc_u32 v27, v61, v10 :: v_dual_cndmask_b32 v37, v54, v73, vcc_lo
	v_add_nc_u32_e32 v54, v62, v59
	v_cmp_eq_u32_e32 vcc_lo, 1, v48
	ds_store_b32 v49, v24
	v_dual_sub_nc_u32 v48, v60, v8 :: v_dual_sub_nc_u32 v50, v79, v10
	v_dual_cndmask_b32 v37, v37, v63 :: v_dual_sub_nc_u32 v24, v15, v54
	v_dual_add_nc_u32 v27, v27, v6 :: v_dual_mov_b32 v67, v9
	s_delay_alu instid0(VALU_DEP_2) | instskip(NEXT) | instid1(VALU_DEP_3)
	v_dual_mov_b32 v13, v9 :: v_dual_add_nc_u32 v24, 4, v24
	v_dual_lshlrev_b32 v37, 2, v37 :: v_dual_bitop2_b32 v49, 1, v70 bitop3:0x40
	s_delay_alu instid0(VALU_DEP_3)
	v_add_nc_u32_e32 v54, v48, v27
	s_mov_b32 s0, -1
	v_and_b32_e32 v40, 1, v40
	ds_store_b32 v37, v25
	v_cmp_eq_u32_e32 vcc_lo, 1, v49
	v_dual_sub_nc_u32 v49, v80, v8 :: v_dual_bitop2_b32 v38, 1, v38 bitop3:0x40
	v_dual_add_nc_u32 v50, v50, v6 :: v_dual_bitop2_b32 v37, 1, v69 bitop3:0x40
	v_cndmask_b32_e32 v24, v24, v59, vcc_lo
	s_delay_alu instid0(VALU_DEP_3) | instskip(SKIP_1) | instid1(VALU_DEP_3)
	v_cmp_eq_u32_e32 vcc_lo, 1, v38
	v_and_b32_e32 v32, 1, v32
	v_dual_cndmask_b32 v24, v24, v62, vcc_lo :: v_dual_bitop2_b32 v31, 1, v31 bitop3:0x40
	v_sub_nc_u32_e32 v54, v15, v54
	v_cmp_eq_u32_e32 vcc_lo, 1, v37
	s_delay_alu instid0(VALU_DEP_3) | instskip(NEXT) | instid1(VALU_DEP_3)
	v_dual_sub_nc_u32 v37, v57, v10 :: v_dual_lshlrev_b32 v24, 2, v24
	v_add_nc_u32_e32 v38, 5, v54
	v_dual_add_nc_u32 v25, v49, v50 :: v_dual_bitop2_b32 v54, 1, v68 bitop3:0x40
	ds_store_b32 v24, v22
	v_dual_cndmask_b32 v27, v38, v27, vcc_lo :: v_dual_sub_nc_u32 v25, v15, v25
	v_and_b32_e32 v22, 1, v47
	v_cmp_eq_u32_e32 vcc_lo, 1, v54
	v_dual_sub_nc_u32 v38, v55, v10 :: v_dual_sub_nc_u32 v47, v77, v8
	s_delay_alu instid0(VALU_DEP_4) | instskip(SKIP_3) | instid1(VALU_DEP_3)
	v_dual_cndmask_b32 v25, v27, v48 :: v_dual_add_nc_u32 v24, 6, v25
	v_sub_nc_u32_e32 v27, v82, v10
	v_cmp_eq_u32_e32 vcc_lo, 1, v22
	v_and_b32_e32 v33, 1, v33
	v_dual_lshlrev_b32 v25, 2, v25 :: v_dual_add_nc_u32 v27, v27, v6
	v_cndmask_b32_e32 v22, v24, v50, vcc_lo
	v_sub_nc_u32_e32 v24, v56, v8
	s_delay_alu instid0(VALU_DEP_4)
	v_cmp_eq_u32_e32 vcc_lo, 1, v33
	ds_store_b32 v25, v23
	v_dual_sub_nc_u32 v23, v83, v8 :: v_dual_add_nc_u32 v25, v37, v6
	v_dual_cndmask_b32 v22, v22, v49 :: v_dual_add_nc_u32 v33, v24, v27
	v_and_b32_e32 v37, 1, v46
	v_cmp_eq_u32_e32 vcc_lo, 1, v40
	s_delay_alu instid0(VALU_DEP_4) | instskip(NEXT) | instid1(VALU_DEP_4)
	v_add_nc_u32_e32 v46, v23, v25
	v_dual_sub_nc_u32 v33, v15, v33 :: v_dual_lshlrev_b32 v22, 2, v22
	s_delay_alu instid0(VALU_DEP_1)
	v_dual_sub_nc_u32 v46, v15, v46 :: v_dual_add_nc_u32 v33, 7, v33
	v_add_nc_u32_e32 v38, v38, v6
	ds_store_b32 v22, v20
	v_dual_cndmask_b32 v27, v33, v27, vcc_lo :: v_dual_bitop2_b32 v22, 1, v45 bitop3:0x40
	v_cmp_eq_u32_e32 vcc_lo, 1, v37
	v_add_nc_u32_e32 v33, v47, v38
	s_delay_alu instid0(VALU_DEP_3) | instskip(SKIP_2) | instid1(VALU_DEP_3)
	v_dual_add_nc_u32 v40, 8, v46 :: v_dual_cndmask_b32 v24, v27, v24, vcc_lo
	v_and_b32_e32 v27, 1, v41
	v_cmp_eq_u32_e32 vcc_lo, 1, v32
	v_dual_sub_nc_u32 v33, v15, v33 :: v_dual_lshlrev_b32 v24, 2, v24
	s_delay_alu instid0(VALU_DEP_4) | instskip(NEXT) | instid1(VALU_DEP_4)
	v_cndmask_b32_e32 v25, v40, v25, vcc_lo
	v_cmp_eq_u32_e32 vcc_lo, 1, v27
	s_delay_alu instid0(VALU_DEP_3) | instskip(NEXT) | instid1(VALU_DEP_3)
	v_dual_add_nc_u32 v32, 9, v33 :: v_dual_bitop2_b32 v27, 1, v30 bitop3:0x40
	v_dual_cndmask_b32 v23, v25, v23 :: v_dual_sub_nc_u32 v30, v36, v8
	v_sub_nc_u32_e32 v25, v28, v10
	v_cmp_eq_u32_e32 vcc_lo, 1, v31
	s_delay_alu instid0(VALU_DEP_2)
	v_dual_lshlrev_b32 v23, 2, v23 :: v_dual_add_nc_u32 v25, v25, v6
	v_cndmask_b32_e32 v28, v32, v38, vcc_lo
	v_cmp_eq_u32_e32 vcc_lo, 1, v27
	ds_store_b32 v24, v21
	ds_store_b32 v23, v18
	v_sub_nc_u32_e32 v21, v58, v10
	v_dual_add_nc_u32 v20, v30, v25 :: v_dual_sub_nc_u32 v23, v51, v8
	v_dual_cndmask_b32 v27, v28, v47 :: v_dual_sub_nc_u32 v8, v26, v8
	s_delay_alu instid0(VALU_DEP_2) | instskip(NEXT) | instid1(VALU_DEP_2)
	v_dual_add_nc_u32 v1, v1, v6 :: v_dual_sub_nc_u32 v20, v15, v20
	v_dual_add_nc_u32 v21, v21, v6 :: v_dual_lshlrev_b32 v18, 2, v27
	v_cmp_eq_u32_e32 vcc_lo, 1, v22
	s_delay_alu instid0(VALU_DEP_3) | instskip(SKIP_3) | instid1(VALU_DEP_1)
	v_dual_add_nc_u32 v22, v8, v1 :: v_dual_add_nc_u32 v20, 10, v20
	ds_store_b32 v18, v19
	v_cndmask_b32_e32 v20, v20, v25, vcc_lo
	v_add_nc_u32_e32 v26, v23, v21
	v_dual_sub_nc_u32 v18, v15, v26 :: v_dual_bitop2_b32 v24, 1, v29 bitop3:0x40
	s_delay_alu instid0(VALU_DEP_1) | instskip(SKIP_1) | instid1(VALU_DEP_3)
	v_cmp_eq_u32_e32 vcc_lo, 1, v24
	v_dual_sub_nc_u32 v15, v15, v22 :: v_dual_bitop2_b32 v24, 1, v39 bitop3:0x40
	v_dual_add_nc_u32 v25, 11, v18 :: v_dual_bitop2_b32 v22, 1, v44 bitop3:0x40
	v_cndmask_b32_e32 v20, v20, v30, vcc_lo
	s_delay_alu instid0(VALU_DEP_3) | instskip(SKIP_4) | instid1(VALU_DEP_4)
	v_cmp_eq_u32_e32 vcc_lo, 1, v24
	v_and_b32_e32 v26, 1, v43
	v_dual_add_nc_u32 v15, 12, v15 :: v_dual_bitop2_b32 v24, 1, v42 bitop3:0x40
	v_add_nc_u64_e32 v[18:19], v[12:13], v[66:67]
	v_cndmask_b32_e32 v21, v25, v21, vcc_lo
	v_cmp_eq_u32_e32 vcc_lo, 1, v26
	s_delay_alu instid0(VALU_DEP_4)
	v_dual_cndmask_b32 v1, v15, v1 :: v_dual_lshlrev_b32 v20, 2, v20
	v_cmp_eq_u32_e32 vcc_lo, 1, v22
	v_add_nc_u64_e32 v[18:19], v[18:19], v[52:53]
	v_mov_b32_e32 v15, v9
	ds_store_b32 v20, v16
	v_cndmask_b32_e32 v21, v21, v23, vcc_lo
	v_cmp_eq_u32_e32 vcc_lo, 1, v24
	s_delay_alu instid0(VALU_DEP_2)
	v_dual_cndmask_b32 v1, v1, v8 :: v_dual_lshlrev_b32 v22, 2, v21
	v_add_nc_u64_e32 v[8:9], s[34:35], v[14:15]
	v_add_nc_u64_e32 v[14:15], v[18:19], v[2:3]
	v_lshlrev_b64_e32 v[18:19], 2, v[52:53]
	v_lshlrev_b64_e32 v[20:21], 2, v[2:3]
	v_lshlrev_b32_e32 v1, 2, v1
	v_cmp_ne_u32_e32 vcc_lo, 1, v35
	v_sub_nc_u64_e32 v[14:15], v[8:9], v[14:15]
	v_add_nc_u64_e32 v[8:9], s[30:31], v[18:19]
	v_add_nc_u32_e32 v18, v6, v12
	ds_store_b32 v22, v17
	ds_store_b32 v1, v34
	v_add_nc_u64_e32 v[16:17], s[28:29], v[20:21]
	s_wait_dscnt 0x0
	s_barrier_signal -1
	s_barrier_wait -1
	s_cbranch_vccz .LBB453_154
; %bb.151:
	s_and_b32 vcc_lo, exec_lo, s0
	s_cbranch_vccnz .LBB453_259
.LBB453_152:
	s_and_b32 s0, s2, s26
	s_delay_alu instid0(SALU_CYCLE_1)
	s_and_saveexec_b32 s1, s0
	s_cbranch_execnz .LBB453_377
.LBB453_153:
	s_sendmsg sendmsg(MSG_DEALLOC_VGPRS)
	s_endpgm
.LBB453_154:
	s_mov_b32 s0, exec_lo
	v_cmpx_ge_u32_e64 v0, v6
	s_xor_b32 s0, exec_lo, s0
	s_cbranch_execz .LBB453_160
; %bb.155:
	v_mov_b32_e32 v1, 0
	s_mov_b32 s1, exec_lo
	v_cmpx_ge_u32_e64 v0, v18
	s_xor_b32 s1, exec_lo, s1
	s_cbranch_execz .LBB453_157
; %bb.156:
	v_lshlrev_b32_e32 v19, 2, v0
	v_add_nc_u64_e32 v[20:21], v[14:15], v[0:1]
	ds_load_b32 v1, v19
	v_lshlrev_b64_e32 v[20:21], 2, v[20:21]
	s_delay_alu instid0(VALU_DEP_1)
	v_sub_nc_u64_e32 v[20:21], s[14:15], v[20:21]
	s_wait_dscnt 0x0
	global_store_b32 v[20:21], v1, off offset:-4
.LBB453_157:
	s_wait_xcnt 0x0
	s_and_not1_saveexec_b32 s1, s1
	s_cbranch_execz .LBB453_159
; %bb.158:
	v_lshlrev_b32_e32 v1, 2, v0
	v_readfirstlane_b32 s6, v8
	v_readfirstlane_b32 s7, v9
	ds_load_b32 v1, v1
	s_wait_dscnt 0x0
	global_store_b32 v0, v1, s[6:7] scale_offset
.LBB453_159:
	s_wait_xcnt 0x0
	s_or_b32 exec_lo, exec_lo, s1
.LBB453_160:
	s_and_not1_saveexec_b32 s0, s0
	s_cbranch_execz .LBB453_162
; %bb.161:
	v_lshlrev_b32_e32 v1, 2, v0
	v_readfirstlane_b32 s6, v16
	v_readfirstlane_b32 s7, v17
	ds_load_b32 v1, v1
	s_wait_dscnt 0x0
	global_store_b32 v0, v1, s[6:7] scale_offset
.LBB453_162:
	s_wait_xcnt 0x0
	s_or_b32 exec_lo, exec_lo, s0
	v_or_b32_e32 v1, 0x100, v0
	s_mov_b32 s0, exec_lo
	s_delay_alu instid0(VALU_DEP_1)
	v_cmpx_ge_u32_e64 v1, v6
	s_xor_b32 s0, exec_lo, s0
	s_cbranch_execz .LBB453_168
; %bb.163:
	s_mov_b32 s1, exec_lo
	v_cmpx_ge_u32_e64 v1, v18
	s_xor_b32 s1, exec_lo, s1
	s_cbranch_execz .LBB453_165
; %bb.164:
	v_dual_mov_b32 v1, 0 :: v_dual_lshlrev_b32 v19, 2, v0
	s_delay_alu instid0(VALU_DEP_1) | instskip(SKIP_2) | instid1(VALU_DEP_1)
	v_add_nc_u64_e32 v[20:21], v[14:15], v[0:1]
	ds_load_b32 v1, v19 offset:1024
	v_lshlrev_b64_e32 v[20:21], 2, v[20:21]
	v_sub_nc_u64_e32 v[20:21], s[14:15], v[20:21]
	s_wait_dscnt 0x0
	global_store_b32 v[20:21], v1, off offset:-1028
.LBB453_165:
	s_wait_xcnt 0x0
	s_and_not1_saveexec_b32 s1, s1
	s_cbranch_execz .LBB453_167
; %bb.166:
	v_lshlrev_b32_e32 v1, 2, v0
	v_readfirstlane_b32 s6, v8
	v_readfirstlane_b32 s7, v9
	ds_load_b32 v1, v1 offset:1024
	s_wait_dscnt 0x0
	global_store_b32 v0, v1, s[6:7] offset:1024 scale_offset
.LBB453_167:
	s_wait_xcnt 0x0
	s_or_b32 exec_lo, exec_lo, s1
.LBB453_168:
	s_and_not1_saveexec_b32 s0, s0
	s_cbranch_execz .LBB453_170
; %bb.169:
	v_lshlrev_b32_e32 v1, 2, v0
	v_readfirstlane_b32 s6, v16
	v_readfirstlane_b32 s7, v17
	ds_load_b32 v1, v1 offset:1024
	s_wait_dscnt 0x0
	global_store_b32 v0, v1, s[6:7] offset:1024 scale_offset
.LBB453_170:
	s_wait_xcnt 0x0
	s_or_b32 exec_lo, exec_lo, s0
	v_or_b32_e32 v1, 0x200, v0
	s_mov_b32 s0, exec_lo
	s_delay_alu instid0(VALU_DEP_1)
	v_cmpx_ge_u32_e64 v1, v6
	s_xor_b32 s0, exec_lo, s0
	s_cbranch_execz .LBB453_176
; %bb.171:
	s_mov_b32 s1, exec_lo
	v_cmpx_ge_u32_e64 v1, v18
	s_xor_b32 s1, exec_lo, s1
	s_cbranch_execz .LBB453_173
; %bb.172:
	v_dual_mov_b32 v1, 0 :: v_dual_lshlrev_b32 v19, 2, v0
	s_delay_alu instid0(VALU_DEP_1) | instskip(SKIP_2) | instid1(VALU_DEP_1)
	v_add_nc_u64_e32 v[20:21], v[14:15], v[0:1]
	ds_load_b32 v1, v19 offset:2048
	v_lshlrev_b64_e32 v[20:21], 2, v[20:21]
	v_sub_nc_u64_e32 v[20:21], s[14:15], v[20:21]
	s_wait_dscnt 0x0
	global_store_b32 v[20:21], v1, off offset:-2052
.LBB453_173:
	s_wait_xcnt 0x0
	s_and_not1_saveexec_b32 s1, s1
	s_cbranch_execz .LBB453_175
; %bb.174:
	v_lshlrev_b32_e32 v1, 2, v0
	v_readfirstlane_b32 s6, v8
	v_readfirstlane_b32 s7, v9
	ds_load_b32 v1, v1 offset:2048
	s_wait_dscnt 0x0
	global_store_b32 v0, v1, s[6:7] offset:2048 scale_offset
.LBB453_175:
	s_wait_xcnt 0x0
	s_or_b32 exec_lo, exec_lo, s1
.LBB453_176:
	s_and_not1_saveexec_b32 s0, s0
	s_cbranch_execz .LBB453_178
; %bb.177:
	v_lshlrev_b32_e32 v1, 2, v0
	v_readfirstlane_b32 s6, v16
	v_readfirstlane_b32 s7, v17
	ds_load_b32 v1, v1 offset:2048
	s_wait_dscnt 0x0
	global_store_b32 v0, v1, s[6:7] offset:2048 scale_offset
.LBB453_178:
	;; [unrolled: 47-line block ×12, first 2 shown]
	s_wait_xcnt 0x0
	s_or_b32 exec_lo, exec_lo, s0
	s_branch .LBB453_152
.LBB453_259:
	s_mov_b32 s0, exec_lo
	v_cmpx_gt_u32_e64 s5, v0
	s_cbranch_execz .LBB453_268
; %bb.260:
	s_mov_b32 s1, exec_lo
	v_cmpx_ge_u32_e64 v0, v6
	s_xor_b32 s1, exec_lo, s1
	s_cbranch_execz .LBB453_266
; %bb.261:
	v_mov_b32_e32 v1, 0
	s_mov_b32 s3, exec_lo
	v_cmpx_ge_u32_e64 v0, v18
	s_xor_b32 s3, exec_lo, s3
	s_cbranch_execz .LBB453_263
; %bb.262:
	v_lshlrev_b32_e32 v19, 2, v0
	v_add_nc_u64_e32 v[20:21], v[14:15], v[0:1]
	ds_load_b32 v1, v19
	v_lshlrev_b64_e32 v[20:21], 2, v[20:21]
	s_delay_alu instid0(VALU_DEP_1)
	v_sub_nc_u64_e32 v[20:21], s[14:15], v[20:21]
	s_wait_dscnt 0x0
	global_store_b32 v[20:21], v1, off offset:-4
.LBB453_263:
	s_wait_xcnt 0x0
	s_and_not1_saveexec_b32 s3, s3
	s_cbranch_execz .LBB453_265
; %bb.264:
	v_lshlrev_b32_e32 v1, 2, v0
	v_readfirstlane_b32 s6, v8
	v_readfirstlane_b32 s7, v9
	ds_load_b32 v1, v1
	s_wait_dscnt 0x0
	global_store_b32 v0, v1, s[6:7] scale_offset
.LBB453_265:
	s_wait_xcnt 0x0
	s_or_b32 exec_lo, exec_lo, s3
.LBB453_266:
	s_and_not1_saveexec_b32 s1, s1
	s_cbranch_execz .LBB453_268
; %bb.267:
	v_lshlrev_b32_e32 v1, 2, v0
	v_readfirstlane_b32 s6, v16
	v_readfirstlane_b32 s7, v17
	ds_load_b32 v1, v1
	s_wait_dscnt 0x0
	global_store_b32 v0, v1, s[6:7] scale_offset
.LBB453_268:
	s_wait_xcnt 0x0
	s_or_b32 exec_lo, exec_lo, s0
	v_or_b32_e32 v1, 0x100, v0
	s_mov_b32 s0, exec_lo
	s_delay_alu instid0(VALU_DEP_1)
	v_cmpx_gt_u32_e64 s5, v1
	s_cbranch_execz .LBB453_277
; %bb.269:
	s_mov_b32 s1, exec_lo
	v_cmpx_ge_u32_e64 v1, v6
	s_xor_b32 s1, exec_lo, s1
	s_cbranch_execz .LBB453_275
; %bb.270:
	s_mov_b32 s3, exec_lo
	v_cmpx_ge_u32_e64 v1, v18
	s_xor_b32 s3, exec_lo, s3
	s_cbranch_execz .LBB453_272
; %bb.271:
	v_dual_mov_b32 v1, 0 :: v_dual_lshlrev_b32 v19, 2, v0
	s_delay_alu instid0(VALU_DEP_1) | instskip(SKIP_2) | instid1(VALU_DEP_1)
	v_add_nc_u64_e32 v[20:21], v[14:15], v[0:1]
	ds_load_b32 v1, v19 offset:1024
	v_lshlrev_b64_e32 v[20:21], 2, v[20:21]
	v_sub_nc_u64_e32 v[20:21], s[14:15], v[20:21]
	s_wait_dscnt 0x0
	global_store_b32 v[20:21], v1, off offset:-1028
.LBB453_272:
	s_wait_xcnt 0x0
	s_and_not1_saveexec_b32 s3, s3
	s_cbranch_execz .LBB453_274
; %bb.273:
	v_lshlrev_b32_e32 v1, 2, v0
	v_readfirstlane_b32 s6, v8
	v_readfirstlane_b32 s7, v9
	ds_load_b32 v1, v1 offset:1024
	s_wait_dscnt 0x0
	global_store_b32 v0, v1, s[6:7] offset:1024 scale_offset
.LBB453_274:
	s_wait_xcnt 0x0
	s_or_b32 exec_lo, exec_lo, s3
.LBB453_275:
	s_and_not1_saveexec_b32 s1, s1
	s_cbranch_execz .LBB453_277
; %bb.276:
	v_lshlrev_b32_e32 v1, 2, v0
	v_readfirstlane_b32 s6, v16
	v_readfirstlane_b32 s7, v17
	ds_load_b32 v1, v1 offset:1024
	s_wait_dscnt 0x0
	global_store_b32 v0, v1, s[6:7] offset:1024 scale_offset
.LBB453_277:
	s_wait_xcnt 0x0
	s_or_b32 exec_lo, exec_lo, s0
	v_or_b32_e32 v1, 0x200, v0
	s_mov_b32 s0, exec_lo
	s_delay_alu instid0(VALU_DEP_1)
	v_cmpx_gt_u32_e64 s5, v1
	s_cbranch_execz .LBB453_286
; %bb.278:
	s_mov_b32 s1, exec_lo
	v_cmpx_ge_u32_e64 v1, v6
	s_xor_b32 s1, exec_lo, s1
	s_cbranch_execz .LBB453_284
; %bb.279:
	s_mov_b32 s3, exec_lo
	v_cmpx_ge_u32_e64 v1, v18
	s_xor_b32 s3, exec_lo, s3
	s_cbranch_execz .LBB453_281
; %bb.280:
	v_dual_mov_b32 v1, 0 :: v_dual_lshlrev_b32 v19, 2, v0
	s_delay_alu instid0(VALU_DEP_1) | instskip(SKIP_2) | instid1(VALU_DEP_1)
	v_add_nc_u64_e32 v[20:21], v[14:15], v[0:1]
	ds_load_b32 v1, v19 offset:2048
	v_lshlrev_b64_e32 v[20:21], 2, v[20:21]
	v_sub_nc_u64_e32 v[20:21], s[14:15], v[20:21]
	s_wait_dscnt 0x0
	global_store_b32 v[20:21], v1, off offset:-2052
.LBB453_281:
	s_wait_xcnt 0x0
	s_and_not1_saveexec_b32 s3, s3
	s_cbranch_execz .LBB453_283
; %bb.282:
	v_lshlrev_b32_e32 v1, 2, v0
	v_readfirstlane_b32 s6, v8
	v_readfirstlane_b32 s7, v9
	ds_load_b32 v1, v1 offset:2048
	s_wait_dscnt 0x0
	global_store_b32 v0, v1, s[6:7] offset:2048 scale_offset
.LBB453_283:
	s_wait_xcnt 0x0
	s_or_b32 exec_lo, exec_lo, s3
.LBB453_284:
	s_and_not1_saveexec_b32 s1, s1
	s_cbranch_execz .LBB453_286
; %bb.285:
	v_lshlrev_b32_e32 v1, 2, v0
	v_readfirstlane_b32 s6, v16
	v_readfirstlane_b32 s7, v17
	ds_load_b32 v1, v1 offset:2048
	s_wait_dscnt 0x0
	global_store_b32 v0, v1, s[6:7] offset:2048 scale_offset
.LBB453_286:
	;; [unrolled: 51-line block ×11, first 2 shown]
	s_wait_xcnt 0x0
	s_or_b32 exec_lo, exec_lo, s0
	v_or_b32_e32 v1, 0xc00, v0
	s_mov_b32 s0, exec_lo
	s_delay_alu instid0(VALU_DEP_1)
	v_cmpx_gt_u32_e64 s5, v1
	s_cbranch_execz .LBB453_376
; %bb.368:
	s_mov_b32 s1, exec_lo
	v_cmpx_ge_u32_e64 v1, v6
	s_xor_b32 s1, exec_lo, s1
	s_cbranch_execz .LBB453_374
; %bb.369:
	s_mov_b32 s3, exec_lo
	v_cmpx_ge_u32_e64 v1, v18
	s_xor_b32 s3, exec_lo, s3
	s_cbranch_execz .LBB453_371
; %bb.370:
	v_dual_mov_b32 v1, 0 :: v_dual_lshlrev_b32 v8, 2, v0
	s_delay_alu instid0(VALU_DEP_1) | instskip(SKIP_2) | instid1(VALU_DEP_1)
	v_add_nc_u64_e32 v[0:1], v[14:15], v[0:1]
	ds_load_b32 v8, v8 offset:12288
	v_lshlrev_b64_e32 v[0:1], 2, v[0:1]
	v_sub_nc_u64_e32 v[0:1], s[14:15], v[0:1]
	s_wait_dscnt 0x0
	global_store_b32 v[0:1], v8, off offset:-12292
                                        ; implicit-def: $vgpr0
                                        ; implicit-def: $vgpr8_vgpr9
.LBB453_371:
	s_wait_xcnt 0x0
	s_and_not1_saveexec_b32 s3, s3
	s_cbranch_execz .LBB453_373
; %bb.372:
	v_lshlrev_b32_e32 v1, 2, v0
	v_readfirstlane_b32 s4, v8
	v_readfirstlane_b32 s5, v9
	ds_load_b32 v1, v1 offset:12288
	s_wait_dscnt 0x0
	global_store_b32 v0, v1, s[4:5] offset:12288 scale_offset
.LBB453_373:
	s_wait_xcnt 0x0
	s_or_b32 exec_lo, exec_lo, s3
                                        ; implicit-def: $vgpr0
                                        ; implicit-def: $vgpr16_vgpr17
.LBB453_374:
	s_and_not1_saveexec_b32 s1, s1
	s_cbranch_execz .LBB453_376
; %bb.375:
	v_lshlrev_b32_e32 v1, 2, v0
	v_readfirstlane_b32 s4, v16
	v_readfirstlane_b32 s5, v17
	ds_load_b32 v1, v1 offset:12288
	s_wait_dscnt 0x0
	global_store_b32 v0, v1, s[4:5] offset:12288 scale_offset
.LBB453_376:
	s_wait_xcnt 0x0
	s_or_b32 exec_lo, exec_lo, s0
	s_and_b32 s0, s2, s26
	s_delay_alu instid0(SALU_CYCLE_1)
	s_and_saveexec_b32 s1, s0
	s_cbranch_execz .LBB453_153
.LBB453_377:
	v_add_nc_u64_e32 v[0:1], v[4:5], v[12:13]
	v_add_nc_u64_e32 v[2:3], v[2:3], v[6:7]
	s_delay_alu instid0(VALU_DEP_2)
	v_add_nc_u64_e32 v[4:5], v[0:1], v[10:11]
	v_mov_b32_e32 v0, 0
	global_store_b128 v0, v[2:5], s[24:25]
	s_sendmsg sendmsg(MSG_DEALLOC_VGPRS)
	s_endpgm
	.section	.rodata,"a",@progbits
	.p2align	6, 0x0
	.amdhsa_kernel _ZN7rocprim17ROCPRIM_400000_NS6detail17trampoline_kernelINS0_13select_configILj256ELj13ELNS0_17block_load_methodE3ELS4_3ELS4_3ELNS0_20block_scan_algorithmE0ELj4294967295EEENS1_25partition_config_selectorILNS1_17partition_subalgoE4EjNS0_10empty_typeEbEEZZNS1_14partition_implILS8_4ELb0ES6_15HIP_vector_typeIjLj2EENS0_17counting_iteratorIjlEEPS9_SG_NS0_5tupleIJPjSI_NS0_16reverse_iteratorISI_EEEEENSH_IJSG_SG_SG_EEES9_SI_JZNS1_25segmented_radix_sort_implINS0_14default_configELb1EPKiPiPKlPlN2at6native12_GLOBAL__N_18offset_tEEE10hipError_tPvRmT1_PNSt15iterator_traitsIS12_E10value_typeET2_T3_PNS13_IS18_E10value_typeET4_jRbjT5_S1E_jjP12ihipStream_tbEUljE_ZNSN_ISO_Lb1ESQ_SR_ST_SU_SY_EESZ_S10_S11_S12_S16_S17_S18_S1B_S1C_jS1D_jS1E_S1E_jjS1G_bEUljE0_EEESZ_S10_S11_S18_S1C_S1E_T6_T7_T9_mT8_S1G_bDpT10_ENKUlT_T0_E_clISt17integral_constantIbLb0EES1T_IbLb1EEEEDaS1P_S1Q_EUlS1P_E_NS1_11comp_targetILNS1_3genE0ELNS1_11target_archE4294967295ELNS1_3gpuE0ELNS1_3repE0EEENS1_30default_config_static_selectorELNS0_4arch9wavefront6targetE0EEEvS12_
		.amdhsa_group_segment_fixed_size 13328
		.amdhsa_private_segment_fixed_size 0
		.amdhsa_kernarg_size 184
		.amdhsa_user_sgpr_count 2
		.amdhsa_user_sgpr_dispatch_ptr 0
		.amdhsa_user_sgpr_queue_ptr 0
		.amdhsa_user_sgpr_kernarg_segment_ptr 1
		.amdhsa_user_sgpr_dispatch_id 0
		.amdhsa_user_sgpr_kernarg_preload_length 0
		.amdhsa_user_sgpr_kernarg_preload_offset 0
		.amdhsa_user_sgpr_private_segment_size 0
		.amdhsa_wavefront_size32 1
		.amdhsa_uses_dynamic_stack 0
		.amdhsa_enable_private_segment 0
		.amdhsa_system_sgpr_workgroup_id_x 1
		.amdhsa_system_sgpr_workgroup_id_y 0
		.amdhsa_system_sgpr_workgroup_id_z 0
		.amdhsa_system_sgpr_workgroup_info 0
		.amdhsa_system_vgpr_workitem_id 0
		.amdhsa_next_free_vgpr 86
		.amdhsa_next_free_sgpr 55
		.amdhsa_named_barrier_count 0
		.amdhsa_reserve_vcc 1
		.amdhsa_float_round_mode_32 0
		.amdhsa_float_round_mode_16_64 0
		.amdhsa_float_denorm_mode_32 3
		.amdhsa_float_denorm_mode_16_64 3
		.amdhsa_fp16_overflow 0
		.amdhsa_memory_ordered 1
		.amdhsa_forward_progress 1
		.amdhsa_inst_pref_size 140
		.amdhsa_round_robin_scheduling 0
		.amdhsa_exception_fp_ieee_invalid_op 0
		.amdhsa_exception_fp_denorm_src 0
		.amdhsa_exception_fp_ieee_div_zero 0
		.amdhsa_exception_fp_ieee_overflow 0
		.amdhsa_exception_fp_ieee_underflow 0
		.amdhsa_exception_fp_ieee_inexact 0
		.amdhsa_exception_int_div_zero 0
	.end_amdhsa_kernel
	.section	.text._ZN7rocprim17ROCPRIM_400000_NS6detail17trampoline_kernelINS0_13select_configILj256ELj13ELNS0_17block_load_methodE3ELS4_3ELS4_3ELNS0_20block_scan_algorithmE0ELj4294967295EEENS1_25partition_config_selectorILNS1_17partition_subalgoE4EjNS0_10empty_typeEbEEZZNS1_14partition_implILS8_4ELb0ES6_15HIP_vector_typeIjLj2EENS0_17counting_iteratorIjlEEPS9_SG_NS0_5tupleIJPjSI_NS0_16reverse_iteratorISI_EEEEENSH_IJSG_SG_SG_EEES9_SI_JZNS1_25segmented_radix_sort_implINS0_14default_configELb1EPKiPiPKlPlN2at6native12_GLOBAL__N_18offset_tEEE10hipError_tPvRmT1_PNSt15iterator_traitsIS12_E10value_typeET2_T3_PNS13_IS18_E10value_typeET4_jRbjT5_S1E_jjP12ihipStream_tbEUljE_ZNSN_ISO_Lb1ESQ_SR_ST_SU_SY_EESZ_S10_S11_S12_S16_S17_S18_S1B_S1C_jS1D_jS1E_S1E_jjS1G_bEUljE0_EEESZ_S10_S11_S18_S1C_S1E_T6_T7_T9_mT8_S1G_bDpT10_ENKUlT_T0_E_clISt17integral_constantIbLb0EES1T_IbLb1EEEEDaS1P_S1Q_EUlS1P_E_NS1_11comp_targetILNS1_3genE0ELNS1_11target_archE4294967295ELNS1_3gpuE0ELNS1_3repE0EEENS1_30default_config_static_selectorELNS0_4arch9wavefront6targetE0EEEvS12_,"axG",@progbits,_ZN7rocprim17ROCPRIM_400000_NS6detail17trampoline_kernelINS0_13select_configILj256ELj13ELNS0_17block_load_methodE3ELS4_3ELS4_3ELNS0_20block_scan_algorithmE0ELj4294967295EEENS1_25partition_config_selectorILNS1_17partition_subalgoE4EjNS0_10empty_typeEbEEZZNS1_14partition_implILS8_4ELb0ES6_15HIP_vector_typeIjLj2EENS0_17counting_iteratorIjlEEPS9_SG_NS0_5tupleIJPjSI_NS0_16reverse_iteratorISI_EEEEENSH_IJSG_SG_SG_EEES9_SI_JZNS1_25segmented_radix_sort_implINS0_14default_configELb1EPKiPiPKlPlN2at6native12_GLOBAL__N_18offset_tEEE10hipError_tPvRmT1_PNSt15iterator_traitsIS12_E10value_typeET2_T3_PNS13_IS18_E10value_typeET4_jRbjT5_S1E_jjP12ihipStream_tbEUljE_ZNSN_ISO_Lb1ESQ_SR_ST_SU_SY_EESZ_S10_S11_S12_S16_S17_S18_S1B_S1C_jS1D_jS1E_S1E_jjS1G_bEUljE0_EEESZ_S10_S11_S18_S1C_S1E_T6_T7_T9_mT8_S1G_bDpT10_ENKUlT_T0_E_clISt17integral_constantIbLb0EES1T_IbLb1EEEEDaS1P_S1Q_EUlS1P_E_NS1_11comp_targetILNS1_3genE0ELNS1_11target_archE4294967295ELNS1_3gpuE0ELNS1_3repE0EEENS1_30default_config_static_selectorELNS0_4arch9wavefront6targetE0EEEvS12_,comdat
.Lfunc_end453:
	.size	_ZN7rocprim17ROCPRIM_400000_NS6detail17trampoline_kernelINS0_13select_configILj256ELj13ELNS0_17block_load_methodE3ELS4_3ELS4_3ELNS0_20block_scan_algorithmE0ELj4294967295EEENS1_25partition_config_selectorILNS1_17partition_subalgoE4EjNS0_10empty_typeEbEEZZNS1_14partition_implILS8_4ELb0ES6_15HIP_vector_typeIjLj2EENS0_17counting_iteratorIjlEEPS9_SG_NS0_5tupleIJPjSI_NS0_16reverse_iteratorISI_EEEEENSH_IJSG_SG_SG_EEES9_SI_JZNS1_25segmented_radix_sort_implINS0_14default_configELb1EPKiPiPKlPlN2at6native12_GLOBAL__N_18offset_tEEE10hipError_tPvRmT1_PNSt15iterator_traitsIS12_E10value_typeET2_T3_PNS13_IS18_E10value_typeET4_jRbjT5_S1E_jjP12ihipStream_tbEUljE_ZNSN_ISO_Lb1ESQ_SR_ST_SU_SY_EESZ_S10_S11_S12_S16_S17_S18_S1B_S1C_jS1D_jS1E_S1E_jjS1G_bEUljE0_EEESZ_S10_S11_S18_S1C_S1E_T6_T7_T9_mT8_S1G_bDpT10_ENKUlT_T0_E_clISt17integral_constantIbLb0EES1T_IbLb1EEEEDaS1P_S1Q_EUlS1P_E_NS1_11comp_targetILNS1_3genE0ELNS1_11target_archE4294967295ELNS1_3gpuE0ELNS1_3repE0EEENS1_30default_config_static_selectorELNS0_4arch9wavefront6targetE0EEEvS12_, .Lfunc_end453-_ZN7rocprim17ROCPRIM_400000_NS6detail17trampoline_kernelINS0_13select_configILj256ELj13ELNS0_17block_load_methodE3ELS4_3ELS4_3ELNS0_20block_scan_algorithmE0ELj4294967295EEENS1_25partition_config_selectorILNS1_17partition_subalgoE4EjNS0_10empty_typeEbEEZZNS1_14partition_implILS8_4ELb0ES6_15HIP_vector_typeIjLj2EENS0_17counting_iteratorIjlEEPS9_SG_NS0_5tupleIJPjSI_NS0_16reverse_iteratorISI_EEEEENSH_IJSG_SG_SG_EEES9_SI_JZNS1_25segmented_radix_sort_implINS0_14default_configELb1EPKiPiPKlPlN2at6native12_GLOBAL__N_18offset_tEEE10hipError_tPvRmT1_PNSt15iterator_traitsIS12_E10value_typeET2_T3_PNS13_IS18_E10value_typeET4_jRbjT5_S1E_jjP12ihipStream_tbEUljE_ZNSN_ISO_Lb1ESQ_SR_ST_SU_SY_EESZ_S10_S11_S12_S16_S17_S18_S1B_S1C_jS1D_jS1E_S1E_jjS1G_bEUljE0_EEESZ_S10_S11_S18_S1C_S1E_T6_T7_T9_mT8_S1G_bDpT10_ENKUlT_T0_E_clISt17integral_constantIbLb0EES1T_IbLb1EEEEDaS1P_S1Q_EUlS1P_E_NS1_11comp_targetILNS1_3genE0ELNS1_11target_archE4294967295ELNS1_3gpuE0ELNS1_3repE0EEENS1_30default_config_static_selectorELNS0_4arch9wavefront6targetE0EEEvS12_
                                        ; -- End function
	.set _ZN7rocprim17ROCPRIM_400000_NS6detail17trampoline_kernelINS0_13select_configILj256ELj13ELNS0_17block_load_methodE3ELS4_3ELS4_3ELNS0_20block_scan_algorithmE0ELj4294967295EEENS1_25partition_config_selectorILNS1_17partition_subalgoE4EjNS0_10empty_typeEbEEZZNS1_14partition_implILS8_4ELb0ES6_15HIP_vector_typeIjLj2EENS0_17counting_iteratorIjlEEPS9_SG_NS0_5tupleIJPjSI_NS0_16reverse_iteratorISI_EEEEENSH_IJSG_SG_SG_EEES9_SI_JZNS1_25segmented_radix_sort_implINS0_14default_configELb1EPKiPiPKlPlN2at6native12_GLOBAL__N_18offset_tEEE10hipError_tPvRmT1_PNSt15iterator_traitsIS12_E10value_typeET2_T3_PNS13_IS18_E10value_typeET4_jRbjT5_S1E_jjP12ihipStream_tbEUljE_ZNSN_ISO_Lb1ESQ_SR_ST_SU_SY_EESZ_S10_S11_S12_S16_S17_S18_S1B_S1C_jS1D_jS1E_S1E_jjS1G_bEUljE0_EEESZ_S10_S11_S18_S1C_S1E_T6_T7_T9_mT8_S1G_bDpT10_ENKUlT_T0_E_clISt17integral_constantIbLb0EES1T_IbLb1EEEEDaS1P_S1Q_EUlS1P_E_NS1_11comp_targetILNS1_3genE0ELNS1_11target_archE4294967295ELNS1_3gpuE0ELNS1_3repE0EEENS1_30default_config_static_selectorELNS0_4arch9wavefront6targetE0EEEvS12_.num_vgpr, 86
	.set _ZN7rocprim17ROCPRIM_400000_NS6detail17trampoline_kernelINS0_13select_configILj256ELj13ELNS0_17block_load_methodE3ELS4_3ELS4_3ELNS0_20block_scan_algorithmE0ELj4294967295EEENS1_25partition_config_selectorILNS1_17partition_subalgoE4EjNS0_10empty_typeEbEEZZNS1_14partition_implILS8_4ELb0ES6_15HIP_vector_typeIjLj2EENS0_17counting_iteratorIjlEEPS9_SG_NS0_5tupleIJPjSI_NS0_16reverse_iteratorISI_EEEEENSH_IJSG_SG_SG_EEES9_SI_JZNS1_25segmented_radix_sort_implINS0_14default_configELb1EPKiPiPKlPlN2at6native12_GLOBAL__N_18offset_tEEE10hipError_tPvRmT1_PNSt15iterator_traitsIS12_E10value_typeET2_T3_PNS13_IS18_E10value_typeET4_jRbjT5_S1E_jjP12ihipStream_tbEUljE_ZNSN_ISO_Lb1ESQ_SR_ST_SU_SY_EESZ_S10_S11_S12_S16_S17_S18_S1B_S1C_jS1D_jS1E_S1E_jjS1G_bEUljE0_EEESZ_S10_S11_S18_S1C_S1E_T6_T7_T9_mT8_S1G_bDpT10_ENKUlT_T0_E_clISt17integral_constantIbLb0EES1T_IbLb1EEEEDaS1P_S1Q_EUlS1P_E_NS1_11comp_targetILNS1_3genE0ELNS1_11target_archE4294967295ELNS1_3gpuE0ELNS1_3repE0EEENS1_30default_config_static_selectorELNS0_4arch9wavefront6targetE0EEEvS12_.num_agpr, 0
	.set _ZN7rocprim17ROCPRIM_400000_NS6detail17trampoline_kernelINS0_13select_configILj256ELj13ELNS0_17block_load_methodE3ELS4_3ELS4_3ELNS0_20block_scan_algorithmE0ELj4294967295EEENS1_25partition_config_selectorILNS1_17partition_subalgoE4EjNS0_10empty_typeEbEEZZNS1_14partition_implILS8_4ELb0ES6_15HIP_vector_typeIjLj2EENS0_17counting_iteratorIjlEEPS9_SG_NS0_5tupleIJPjSI_NS0_16reverse_iteratorISI_EEEEENSH_IJSG_SG_SG_EEES9_SI_JZNS1_25segmented_radix_sort_implINS0_14default_configELb1EPKiPiPKlPlN2at6native12_GLOBAL__N_18offset_tEEE10hipError_tPvRmT1_PNSt15iterator_traitsIS12_E10value_typeET2_T3_PNS13_IS18_E10value_typeET4_jRbjT5_S1E_jjP12ihipStream_tbEUljE_ZNSN_ISO_Lb1ESQ_SR_ST_SU_SY_EESZ_S10_S11_S12_S16_S17_S18_S1B_S1C_jS1D_jS1E_S1E_jjS1G_bEUljE0_EEESZ_S10_S11_S18_S1C_S1E_T6_T7_T9_mT8_S1G_bDpT10_ENKUlT_T0_E_clISt17integral_constantIbLb0EES1T_IbLb1EEEEDaS1P_S1Q_EUlS1P_E_NS1_11comp_targetILNS1_3genE0ELNS1_11target_archE4294967295ELNS1_3gpuE0ELNS1_3repE0EEENS1_30default_config_static_selectorELNS0_4arch9wavefront6targetE0EEEvS12_.numbered_sgpr, 55
	.set _ZN7rocprim17ROCPRIM_400000_NS6detail17trampoline_kernelINS0_13select_configILj256ELj13ELNS0_17block_load_methodE3ELS4_3ELS4_3ELNS0_20block_scan_algorithmE0ELj4294967295EEENS1_25partition_config_selectorILNS1_17partition_subalgoE4EjNS0_10empty_typeEbEEZZNS1_14partition_implILS8_4ELb0ES6_15HIP_vector_typeIjLj2EENS0_17counting_iteratorIjlEEPS9_SG_NS0_5tupleIJPjSI_NS0_16reverse_iteratorISI_EEEEENSH_IJSG_SG_SG_EEES9_SI_JZNS1_25segmented_radix_sort_implINS0_14default_configELb1EPKiPiPKlPlN2at6native12_GLOBAL__N_18offset_tEEE10hipError_tPvRmT1_PNSt15iterator_traitsIS12_E10value_typeET2_T3_PNS13_IS18_E10value_typeET4_jRbjT5_S1E_jjP12ihipStream_tbEUljE_ZNSN_ISO_Lb1ESQ_SR_ST_SU_SY_EESZ_S10_S11_S12_S16_S17_S18_S1B_S1C_jS1D_jS1E_S1E_jjS1G_bEUljE0_EEESZ_S10_S11_S18_S1C_S1E_T6_T7_T9_mT8_S1G_bDpT10_ENKUlT_T0_E_clISt17integral_constantIbLb0EES1T_IbLb1EEEEDaS1P_S1Q_EUlS1P_E_NS1_11comp_targetILNS1_3genE0ELNS1_11target_archE4294967295ELNS1_3gpuE0ELNS1_3repE0EEENS1_30default_config_static_selectorELNS0_4arch9wavefront6targetE0EEEvS12_.num_named_barrier, 0
	.set _ZN7rocprim17ROCPRIM_400000_NS6detail17trampoline_kernelINS0_13select_configILj256ELj13ELNS0_17block_load_methodE3ELS4_3ELS4_3ELNS0_20block_scan_algorithmE0ELj4294967295EEENS1_25partition_config_selectorILNS1_17partition_subalgoE4EjNS0_10empty_typeEbEEZZNS1_14partition_implILS8_4ELb0ES6_15HIP_vector_typeIjLj2EENS0_17counting_iteratorIjlEEPS9_SG_NS0_5tupleIJPjSI_NS0_16reverse_iteratorISI_EEEEENSH_IJSG_SG_SG_EEES9_SI_JZNS1_25segmented_radix_sort_implINS0_14default_configELb1EPKiPiPKlPlN2at6native12_GLOBAL__N_18offset_tEEE10hipError_tPvRmT1_PNSt15iterator_traitsIS12_E10value_typeET2_T3_PNS13_IS18_E10value_typeET4_jRbjT5_S1E_jjP12ihipStream_tbEUljE_ZNSN_ISO_Lb1ESQ_SR_ST_SU_SY_EESZ_S10_S11_S12_S16_S17_S18_S1B_S1C_jS1D_jS1E_S1E_jjS1G_bEUljE0_EEESZ_S10_S11_S18_S1C_S1E_T6_T7_T9_mT8_S1G_bDpT10_ENKUlT_T0_E_clISt17integral_constantIbLb0EES1T_IbLb1EEEEDaS1P_S1Q_EUlS1P_E_NS1_11comp_targetILNS1_3genE0ELNS1_11target_archE4294967295ELNS1_3gpuE0ELNS1_3repE0EEENS1_30default_config_static_selectorELNS0_4arch9wavefront6targetE0EEEvS12_.private_seg_size, 0
	.set _ZN7rocprim17ROCPRIM_400000_NS6detail17trampoline_kernelINS0_13select_configILj256ELj13ELNS0_17block_load_methodE3ELS4_3ELS4_3ELNS0_20block_scan_algorithmE0ELj4294967295EEENS1_25partition_config_selectorILNS1_17partition_subalgoE4EjNS0_10empty_typeEbEEZZNS1_14partition_implILS8_4ELb0ES6_15HIP_vector_typeIjLj2EENS0_17counting_iteratorIjlEEPS9_SG_NS0_5tupleIJPjSI_NS0_16reverse_iteratorISI_EEEEENSH_IJSG_SG_SG_EEES9_SI_JZNS1_25segmented_radix_sort_implINS0_14default_configELb1EPKiPiPKlPlN2at6native12_GLOBAL__N_18offset_tEEE10hipError_tPvRmT1_PNSt15iterator_traitsIS12_E10value_typeET2_T3_PNS13_IS18_E10value_typeET4_jRbjT5_S1E_jjP12ihipStream_tbEUljE_ZNSN_ISO_Lb1ESQ_SR_ST_SU_SY_EESZ_S10_S11_S12_S16_S17_S18_S1B_S1C_jS1D_jS1E_S1E_jjS1G_bEUljE0_EEESZ_S10_S11_S18_S1C_S1E_T6_T7_T9_mT8_S1G_bDpT10_ENKUlT_T0_E_clISt17integral_constantIbLb0EES1T_IbLb1EEEEDaS1P_S1Q_EUlS1P_E_NS1_11comp_targetILNS1_3genE0ELNS1_11target_archE4294967295ELNS1_3gpuE0ELNS1_3repE0EEENS1_30default_config_static_selectorELNS0_4arch9wavefront6targetE0EEEvS12_.uses_vcc, 1
	.set _ZN7rocprim17ROCPRIM_400000_NS6detail17trampoline_kernelINS0_13select_configILj256ELj13ELNS0_17block_load_methodE3ELS4_3ELS4_3ELNS0_20block_scan_algorithmE0ELj4294967295EEENS1_25partition_config_selectorILNS1_17partition_subalgoE4EjNS0_10empty_typeEbEEZZNS1_14partition_implILS8_4ELb0ES6_15HIP_vector_typeIjLj2EENS0_17counting_iteratorIjlEEPS9_SG_NS0_5tupleIJPjSI_NS0_16reverse_iteratorISI_EEEEENSH_IJSG_SG_SG_EEES9_SI_JZNS1_25segmented_radix_sort_implINS0_14default_configELb1EPKiPiPKlPlN2at6native12_GLOBAL__N_18offset_tEEE10hipError_tPvRmT1_PNSt15iterator_traitsIS12_E10value_typeET2_T3_PNS13_IS18_E10value_typeET4_jRbjT5_S1E_jjP12ihipStream_tbEUljE_ZNSN_ISO_Lb1ESQ_SR_ST_SU_SY_EESZ_S10_S11_S12_S16_S17_S18_S1B_S1C_jS1D_jS1E_S1E_jjS1G_bEUljE0_EEESZ_S10_S11_S18_S1C_S1E_T6_T7_T9_mT8_S1G_bDpT10_ENKUlT_T0_E_clISt17integral_constantIbLb0EES1T_IbLb1EEEEDaS1P_S1Q_EUlS1P_E_NS1_11comp_targetILNS1_3genE0ELNS1_11target_archE4294967295ELNS1_3gpuE0ELNS1_3repE0EEENS1_30default_config_static_selectorELNS0_4arch9wavefront6targetE0EEEvS12_.uses_flat_scratch, 0
	.set _ZN7rocprim17ROCPRIM_400000_NS6detail17trampoline_kernelINS0_13select_configILj256ELj13ELNS0_17block_load_methodE3ELS4_3ELS4_3ELNS0_20block_scan_algorithmE0ELj4294967295EEENS1_25partition_config_selectorILNS1_17partition_subalgoE4EjNS0_10empty_typeEbEEZZNS1_14partition_implILS8_4ELb0ES6_15HIP_vector_typeIjLj2EENS0_17counting_iteratorIjlEEPS9_SG_NS0_5tupleIJPjSI_NS0_16reverse_iteratorISI_EEEEENSH_IJSG_SG_SG_EEES9_SI_JZNS1_25segmented_radix_sort_implINS0_14default_configELb1EPKiPiPKlPlN2at6native12_GLOBAL__N_18offset_tEEE10hipError_tPvRmT1_PNSt15iterator_traitsIS12_E10value_typeET2_T3_PNS13_IS18_E10value_typeET4_jRbjT5_S1E_jjP12ihipStream_tbEUljE_ZNSN_ISO_Lb1ESQ_SR_ST_SU_SY_EESZ_S10_S11_S12_S16_S17_S18_S1B_S1C_jS1D_jS1E_S1E_jjS1G_bEUljE0_EEESZ_S10_S11_S18_S1C_S1E_T6_T7_T9_mT8_S1G_bDpT10_ENKUlT_T0_E_clISt17integral_constantIbLb0EES1T_IbLb1EEEEDaS1P_S1Q_EUlS1P_E_NS1_11comp_targetILNS1_3genE0ELNS1_11target_archE4294967295ELNS1_3gpuE0ELNS1_3repE0EEENS1_30default_config_static_selectorELNS0_4arch9wavefront6targetE0EEEvS12_.has_dyn_sized_stack, 0
	.set _ZN7rocprim17ROCPRIM_400000_NS6detail17trampoline_kernelINS0_13select_configILj256ELj13ELNS0_17block_load_methodE3ELS4_3ELS4_3ELNS0_20block_scan_algorithmE0ELj4294967295EEENS1_25partition_config_selectorILNS1_17partition_subalgoE4EjNS0_10empty_typeEbEEZZNS1_14partition_implILS8_4ELb0ES6_15HIP_vector_typeIjLj2EENS0_17counting_iteratorIjlEEPS9_SG_NS0_5tupleIJPjSI_NS0_16reverse_iteratorISI_EEEEENSH_IJSG_SG_SG_EEES9_SI_JZNS1_25segmented_radix_sort_implINS0_14default_configELb1EPKiPiPKlPlN2at6native12_GLOBAL__N_18offset_tEEE10hipError_tPvRmT1_PNSt15iterator_traitsIS12_E10value_typeET2_T3_PNS13_IS18_E10value_typeET4_jRbjT5_S1E_jjP12ihipStream_tbEUljE_ZNSN_ISO_Lb1ESQ_SR_ST_SU_SY_EESZ_S10_S11_S12_S16_S17_S18_S1B_S1C_jS1D_jS1E_S1E_jjS1G_bEUljE0_EEESZ_S10_S11_S18_S1C_S1E_T6_T7_T9_mT8_S1G_bDpT10_ENKUlT_T0_E_clISt17integral_constantIbLb0EES1T_IbLb1EEEEDaS1P_S1Q_EUlS1P_E_NS1_11comp_targetILNS1_3genE0ELNS1_11target_archE4294967295ELNS1_3gpuE0ELNS1_3repE0EEENS1_30default_config_static_selectorELNS0_4arch9wavefront6targetE0EEEvS12_.has_recursion, 0
	.set _ZN7rocprim17ROCPRIM_400000_NS6detail17trampoline_kernelINS0_13select_configILj256ELj13ELNS0_17block_load_methodE3ELS4_3ELS4_3ELNS0_20block_scan_algorithmE0ELj4294967295EEENS1_25partition_config_selectorILNS1_17partition_subalgoE4EjNS0_10empty_typeEbEEZZNS1_14partition_implILS8_4ELb0ES6_15HIP_vector_typeIjLj2EENS0_17counting_iteratorIjlEEPS9_SG_NS0_5tupleIJPjSI_NS0_16reverse_iteratorISI_EEEEENSH_IJSG_SG_SG_EEES9_SI_JZNS1_25segmented_radix_sort_implINS0_14default_configELb1EPKiPiPKlPlN2at6native12_GLOBAL__N_18offset_tEEE10hipError_tPvRmT1_PNSt15iterator_traitsIS12_E10value_typeET2_T3_PNS13_IS18_E10value_typeET4_jRbjT5_S1E_jjP12ihipStream_tbEUljE_ZNSN_ISO_Lb1ESQ_SR_ST_SU_SY_EESZ_S10_S11_S12_S16_S17_S18_S1B_S1C_jS1D_jS1E_S1E_jjS1G_bEUljE0_EEESZ_S10_S11_S18_S1C_S1E_T6_T7_T9_mT8_S1G_bDpT10_ENKUlT_T0_E_clISt17integral_constantIbLb0EES1T_IbLb1EEEEDaS1P_S1Q_EUlS1P_E_NS1_11comp_targetILNS1_3genE0ELNS1_11target_archE4294967295ELNS1_3gpuE0ELNS1_3repE0EEENS1_30default_config_static_selectorELNS0_4arch9wavefront6targetE0EEEvS12_.has_indirect_call, 0
	.section	.AMDGPU.csdata,"",@progbits
; Kernel info:
; codeLenInByte = 17828
; TotalNumSgprs: 57
; NumVgprs: 86
; ScratchSize: 0
; MemoryBound: 0
; FloatMode: 240
; IeeeMode: 1
; LDSByteSize: 13328 bytes/workgroup (compile time only)
; SGPRBlocks: 0
; VGPRBlocks: 5
; NumSGPRsForWavesPerEU: 57
; NumVGPRsForWavesPerEU: 86
; NamedBarCnt: 0
; Occupancy: 10
; WaveLimiterHint : 1
; COMPUTE_PGM_RSRC2:SCRATCH_EN: 0
; COMPUTE_PGM_RSRC2:USER_SGPR: 2
; COMPUTE_PGM_RSRC2:TRAP_HANDLER: 0
; COMPUTE_PGM_RSRC2:TGID_X_EN: 1
; COMPUTE_PGM_RSRC2:TGID_Y_EN: 0
; COMPUTE_PGM_RSRC2:TGID_Z_EN: 0
; COMPUTE_PGM_RSRC2:TIDIG_COMP_CNT: 0
	.section	.text._ZN7rocprim17ROCPRIM_400000_NS6detail17trampoline_kernelINS0_13select_configILj256ELj13ELNS0_17block_load_methodE3ELS4_3ELS4_3ELNS0_20block_scan_algorithmE0ELj4294967295EEENS1_25partition_config_selectorILNS1_17partition_subalgoE4EjNS0_10empty_typeEbEEZZNS1_14partition_implILS8_4ELb0ES6_15HIP_vector_typeIjLj2EENS0_17counting_iteratorIjlEEPS9_SG_NS0_5tupleIJPjSI_NS0_16reverse_iteratorISI_EEEEENSH_IJSG_SG_SG_EEES9_SI_JZNS1_25segmented_radix_sort_implINS0_14default_configELb1EPKiPiPKlPlN2at6native12_GLOBAL__N_18offset_tEEE10hipError_tPvRmT1_PNSt15iterator_traitsIS12_E10value_typeET2_T3_PNS13_IS18_E10value_typeET4_jRbjT5_S1E_jjP12ihipStream_tbEUljE_ZNSN_ISO_Lb1ESQ_SR_ST_SU_SY_EESZ_S10_S11_S12_S16_S17_S18_S1B_S1C_jS1D_jS1E_S1E_jjS1G_bEUljE0_EEESZ_S10_S11_S18_S1C_S1E_T6_T7_T9_mT8_S1G_bDpT10_ENKUlT_T0_E_clISt17integral_constantIbLb0EES1T_IbLb1EEEEDaS1P_S1Q_EUlS1P_E_NS1_11comp_targetILNS1_3genE5ELNS1_11target_archE942ELNS1_3gpuE9ELNS1_3repE0EEENS1_30default_config_static_selectorELNS0_4arch9wavefront6targetE0EEEvS12_,"axG",@progbits,_ZN7rocprim17ROCPRIM_400000_NS6detail17trampoline_kernelINS0_13select_configILj256ELj13ELNS0_17block_load_methodE3ELS4_3ELS4_3ELNS0_20block_scan_algorithmE0ELj4294967295EEENS1_25partition_config_selectorILNS1_17partition_subalgoE4EjNS0_10empty_typeEbEEZZNS1_14partition_implILS8_4ELb0ES6_15HIP_vector_typeIjLj2EENS0_17counting_iteratorIjlEEPS9_SG_NS0_5tupleIJPjSI_NS0_16reverse_iteratorISI_EEEEENSH_IJSG_SG_SG_EEES9_SI_JZNS1_25segmented_radix_sort_implINS0_14default_configELb1EPKiPiPKlPlN2at6native12_GLOBAL__N_18offset_tEEE10hipError_tPvRmT1_PNSt15iterator_traitsIS12_E10value_typeET2_T3_PNS13_IS18_E10value_typeET4_jRbjT5_S1E_jjP12ihipStream_tbEUljE_ZNSN_ISO_Lb1ESQ_SR_ST_SU_SY_EESZ_S10_S11_S12_S16_S17_S18_S1B_S1C_jS1D_jS1E_S1E_jjS1G_bEUljE0_EEESZ_S10_S11_S18_S1C_S1E_T6_T7_T9_mT8_S1G_bDpT10_ENKUlT_T0_E_clISt17integral_constantIbLb0EES1T_IbLb1EEEEDaS1P_S1Q_EUlS1P_E_NS1_11comp_targetILNS1_3genE5ELNS1_11target_archE942ELNS1_3gpuE9ELNS1_3repE0EEENS1_30default_config_static_selectorELNS0_4arch9wavefront6targetE0EEEvS12_,comdat
	.globl	_ZN7rocprim17ROCPRIM_400000_NS6detail17trampoline_kernelINS0_13select_configILj256ELj13ELNS0_17block_load_methodE3ELS4_3ELS4_3ELNS0_20block_scan_algorithmE0ELj4294967295EEENS1_25partition_config_selectorILNS1_17partition_subalgoE4EjNS0_10empty_typeEbEEZZNS1_14partition_implILS8_4ELb0ES6_15HIP_vector_typeIjLj2EENS0_17counting_iteratorIjlEEPS9_SG_NS0_5tupleIJPjSI_NS0_16reverse_iteratorISI_EEEEENSH_IJSG_SG_SG_EEES9_SI_JZNS1_25segmented_radix_sort_implINS0_14default_configELb1EPKiPiPKlPlN2at6native12_GLOBAL__N_18offset_tEEE10hipError_tPvRmT1_PNSt15iterator_traitsIS12_E10value_typeET2_T3_PNS13_IS18_E10value_typeET4_jRbjT5_S1E_jjP12ihipStream_tbEUljE_ZNSN_ISO_Lb1ESQ_SR_ST_SU_SY_EESZ_S10_S11_S12_S16_S17_S18_S1B_S1C_jS1D_jS1E_S1E_jjS1G_bEUljE0_EEESZ_S10_S11_S18_S1C_S1E_T6_T7_T9_mT8_S1G_bDpT10_ENKUlT_T0_E_clISt17integral_constantIbLb0EES1T_IbLb1EEEEDaS1P_S1Q_EUlS1P_E_NS1_11comp_targetILNS1_3genE5ELNS1_11target_archE942ELNS1_3gpuE9ELNS1_3repE0EEENS1_30default_config_static_selectorELNS0_4arch9wavefront6targetE0EEEvS12_ ; -- Begin function _ZN7rocprim17ROCPRIM_400000_NS6detail17trampoline_kernelINS0_13select_configILj256ELj13ELNS0_17block_load_methodE3ELS4_3ELS4_3ELNS0_20block_scan_algorithmE0ELj4294967295EEENS1_25partition_config_selectorILNS1_17partition_subalgoE4EjNS0_10empty_typeEbEEZZNS1_14partition_implILS8_4ELb0ES6_15HIP_vector_typeIjLj2EENS0_17counting_iteratorIjlEEPS9_SG_NS0_5tupleIJPjSI_NS0_16reverse_iteratorISI_EEEEENSH_IJSG_SG_SG_EEES9_SI_JZNS1_25segmented_radix_sort_implINS0_14default_configELb1EPKiPiPKlPlN2at6native12_GLOBAL__N_18offset_tEEE10hipError_tPvRmT1_PNSt15iterator_traitsIS12_E10value_typeET2_T3_PNS13_IS18_E10value_typeET4_jRbjT5_S1E_jjP12ihipStream_tbEUljE_ZNSN_ISO_Lb1ESQ_SR_ST_SU_SY_EESZ_S10_S11_S12_S16_S17_S18_S1B_S1C_jS1D_jS1E_S1E_jjS1G_bEUljE0_EEESZ_S10_S11_S18_S1C_S1E_T6_T7_T9_mT8_S1G_bDpT10_ENKUlT_T0_E_clISt17integral_constantIbLb0EES1T_IbLb1EEEEDaS1P_S1Q_EUlS1P_E_NS1_11comp_targetILNS1_3genE5ELNS1_11target_archE942ELNS1_3gpuE9ELNS1_3repE0EEENS1_30default_config_static_selectorELNS0_4arch9wavefront6targetE0EEEvS12_
	.p2align	8
	.type	_ZN7rocprim17ROCPRIM_400000_NS6detail17trampoline_kernelINS0_13select_configILj256ELj13ELNS0_17block_load_methodE3ELS4_3ELS4_3ELNS0_20block_scan_algorithmE0ELj4294967295EEENS1_25partition_config_selectorILNS1_17partition_subalgoE4EjNS0_10empty_typeEbEEZZNS1_14partition_implILS8_4ELb0ES6_15HIP_vector_typeIjLj2EENS0_17counting_iteratorIjlEEPS9_SG_NS0_5tupleIJPjSI_NS0_16reverse_iteratorISI_EEEEENSH_IJSG_SG_SG_EEES9_SI_JZNS1_25segmented_radix_sort_implINS0_14default_configELb1EPKiPiPKlPlN2at6native12_GLOBAL__N_18offset_tEEE10hipError_tPvRmT1_PNSt15iterator_traitsIS12_E10value_typeET2_T3_PNS13_IS18_E10value_typeET4_jRbjT5_S1E_jjP12ihipStream_tbEUljE_ZNSN_ISO_Lb1ESQ_SR_ST_SU_SY_EESZ_S10_S11_S12_S16_S17_S18_S1B_S1C_jS1D_jS1E_S1E_jjS1G_bEUljE0_EEESZ_S10_S11_S18_S1C_S1E_T6_T7_T9_mT8_S1G_bDpT10_ENKUlT_T0_E_clISt17integral_constantIbLb0EES1T_IbLb1EEEEDaS1P_S1Q_EUlS1P_E_NS1_11comp_targetILNS1_3genE5ELNS1_11target_archE942ELNS1_3gpuE9ELNS1_3repE0EEENS1_30default_config_static_selectorELNS0_4arch9wavefront6targetE0EEEvS12_,@function
_ZN7rocprim17ROCPRIM_400000_NS6detail17trampoline_kernelINS0_13select_configILj256ELj13ELNS0_17block_load_methodE3ELS4_3ELS4_3ELNS0_20block_scan_algorithmE0ELj4294967295EEENS1_25partition_config_selectorILNS1_17partition_subalgoE4EjNS0_10empty_typeEbEEZZNS1_14partition_implILS8_4ELb0ES6_15HIP_vector_typeIjLj2EENS0_17counting_iteratorIjlEEPS9_SG_NS0_5tupleIJPjSI_NS0_16reverse_iteratorISI_EEEEENSH_IJSG_SG_SG_EEES9_SI_JZNS1_25segmented_radix_sort_implINS0_14default_configELb1EPKiPiPKlPlN2at6native12_GLOBAL__N_18offset_tEEE10hipError_tPvRmT1_PNSt15iterator_traitsIS12_E10value_typeET2_T3_PNS13_IS18_E10value_typeET4_jRbjT5_S1E_jjP12ihipStream_tbEUljE_ZNSN_ISO_Lb1ESQ_SR_ST_SU_SY_EESZ_S10_S11_S12_S16_S17_S18_S1B_S1C_jS1D_jS1E_S1E_jjS1G_bEUljE0_EEESZ_S10_S11_S18_S1C_S1E_T6_T7_T9_mT8_S1G_bDpT10_ENKUlT_T0_E_clISt17integral_constantIbLb0EES1T_IbLb1EEEEDaS1P_S1Q_EUlS1P_E_NS1_11comp_targetILNS1_3genE5ELNS1_11target_archE942ELNS1_3gpuE9ELNS1_3repE0EEENS1_30default_config_static_selectorELNS0_4arch9wavefront6targetE0EEEvS12_: ; @_ZN7rocprim17ROCPRIM_400000_NS6detail17trampoline_kernelINS0_13select_configILj256ELj13ELNS0_17block_load_methodE3ELS4_3ELS4_3ELNS0_20block_scan_algorithmE0ELj4294967295EEENS1_25partition_config_selectorILNS1_17partition_subalgoE4EjNS0_10empty_typeEbEEZZNS1_14partition_implILS8_4ELb0ES6_15HIP_vector_typeIjLj2EENS0_17counting_iteratorIjlEEPS9_SG_NS0_5tupleIJPjSI_NS0_16reverse_iteratorISI_EEEEENSH_IJSG_SG_SG_EEES9_SI_JZNS1_25segmented_radix_sort_implINS0_14default_configELb1EPKiPiPKlPlN2at6native12_GLOBAL__N_18offset_tEEE10hipError_tPvRmT1_PNSt15iterator_traitsIS12_E10value_typeET2_T3_PNS13_IS18_E10value_typeET4_jRbjT5_S1E_jjP12ihipStream_tbEUljE_ZNSN_ISO_Lb1ESQ_SR_ST_SU_SY_EESZ_S10_S11_S12_S16_S17_S18_S1B_S1C_jS1D_jS1E_S1E_jjS1G_bEUljE0_EEESZ_S10_S11_S18_S1C_S1E_T6_T7_T9_mT8_S1G_bDpT10_ENKUlT_T0_E_clISt17integral_constantIbLb0EES1T_IbLb1EEEEDaS1P_S1Q_EUlS1P_E_NS1_11comp_targetILNS1_3genE5ELNS1_11target_archE942ELNS1_3gpuE9ELNS1_3repE0EEENS1_30default_config_static_selectorELNS0_4arch9wavefront6targetE0EEEvS12_
; %bb.0:
	.section	.rodata,"a",@progbits
	.p2align	6, 0x0
	.amdhsa_kernel _ZN7rocprim17ROCPRIM_400000_NS6detail17trampoline_kernelINS0_13select_configILj256ELj13ELNS0_17block_load_methodE3ELS4_3ELS4_3ELNS0_20block_scan_algorithmE0ELj4294967295EEENS1_25partition_config_selectorILNS1_17partition_subalgoE4EjNS0_10empty_typeEbEEZZNS1_14partition_implILS8_4ELb0ES6_15HIP_vector_typeIjLj2EENS0_17counting_iteratorIjlEEPS9_SG_NS0_5tupleIJPjSI_NS0_16reverse_iteratorISI_EEEEENSH_IJSG_SG_SG_EEES9_SI_JZNS1_25segmented_radix_sort_implINS0_14default_configELb1EPKiPiPKlPlN2at6native12_GLOBAL__N_18offset_tEEE10hipError_tPvRmT1_PNSt15iterator_traitsIS12_E10value_typeET2_T3_PNS13_IS18_E10value_typeET4_jRbjT5_S1E_jjP12ihipStream_tbEUljE_ZNSN_ISO_Lb1ESQ_SR_ST_SU_SY_EESZ_S10_S11_S12_S16_S17_S18_S1B_S1C_jS1D_jS1E_S1E_jjS1G_bEUljE0_EEESZ_S10_S11_S18_S1C_S1E_T6_T7_T9_mT8_S1G_bDpT10_ENKUlT_T0_E_clISt17integral_constantIbLb0EES1T_IbLb1EEEEDaS1P_S1Q_EUlS1P_E_NS1_11comp_targetILNS1_3genE5ELNS1_11target_archE942ELNS1_3gpuE9ELNS1_3repE0EEENS1_30default_config_static_selectorELNS0_4arch9wavefront6targetE0EEEvS12_
		.amdhsa_group_segment_fixed_size 0
		.amdhsa_private_segment_fixed_size 0
		.amdhsa_kernarg_size 184
		.amdhsa_user_sgpr_count 2
		.amdhsa_user_sgpr_dispatch_ptr 0
		.amdhsa_user_sgpr_queue_ptr 0
		.amdhsa_user_sgpr_kernarg_segment_ptr 1
		.amdhsa_user_sgpr_dispatch_id 0
		.amdhsa_user_sgpr_kernarg_preload_length 0
		.amdhsa_user_sgpr_kernarg_preload_offset 0
		.amdhsa_user_sgpr_private_segment_size 0
		.amdhsa_wavefront_size32 1
		.amdhsa_uses_dynamic_stack 0
		.amdhsa_enable_private_segment 0
		.amdhsa_system_sgpr_workgroup_id_x 1
		.amdhsa_system_sgpr_workgroup_id_y 0
		.amdhsa_system_sgpr_workgroup_id_z 0
		.amdhsa_system_sgpr_workgroup_info 0
		.amdhsa_system_vgpr_workitem_id 0
		.amdhsa_next_free_vgpr 1
		.amdhsa_next_free_sgpr 1
		.amdhsa_named_barrier_count 0
		.amdhsa_reserve_vcc 0
		.amdhsa_float_round_mode_32 0
		.amdhsa_float_round_mode_16_64 0
		.amdhsa_float_denorm_mode_32 3
		.amdhsa_float_denorm_mode_16_64 3
		.amdhsa_fp16_overflow 0
		.amdhsa_memory_ordered 1
		.amdhsa_forward_progress 1
		.amdhsa_inst_pref_size 0
		.amdhsa_round_robin_scheduling 0
		.amdhsa_exception_fp_ieee_invalid_op 0
		.amdhsa_exception_fp_denorm_src 0
		.amdhsa_exception_fp_ieee_div_zero 0
		.amdhsa_exception_fp_ieee_overflow 0
		.amdhsa_exception_fp_ieee_underflow 0
		.amdhsa_exception_fp_ieee_inexact 0
		.amdhsa_exception_int_div_zero 0
	.end_amdhsa_kernel
	.section	.text._ZN7rocprim17ROCPRIM_400000_NS6detail17trampoline_kernelINS0_13select_configILj256ELj13ELNS0_17block_load_methodE3ELS4_3ELS4_3ELNS0_20block_scan_algorithmE0ELj4294967295EEENS1_25partition_config_selectorILNS1_17partition_subalgoE4EjNS0_10empty_typeEbEEZZNS1_14partition_implILS8_4ELb0ES6_15HIP_vector_typeIjLj2EENS0_17counting_iteratorIjlEEPS9_SG_NS0_5tupleIJPjSI_NS0_16reverse_iteratorISI_EEEEENSH_IJSG_SG_SG_EEES9_SI_JZNS1_25segmented_radix_sort_implINS0_14default_configELb1EPKiPiPKlPlN2at6native12_GLOBAL__N_18offset_tEEE10hipError_tPvRmT1_PNSt15iterator_traitsIS12_E10value_typeET2_T3_PNS13_IS18_E10value_typeET4_jRbjT5_S1E_jjP12ihipStream_tbEUljE_ZNSN_ISO_Lb1ESQ_SR_ST_SU_SY_EESZ_S10_S11_S12_S16_S17_S18_S1B_S1C_jS1D_jS1E_S1E_jjS1G_bEUljE0_EEESZ_S10_S11_S18_S1C_S1E_T6_T7_T9_mT8_S1G_bDpT10_ENKUlT_T0_E_clISt17integral_constantIbLb0EES1T_IbLb1EEEEDaS1P_S1Q_EUlS1P_E_NS1_11comp_targetILNS1_3genE5ELNS1_11target_archE942ELNS1_3gpuE9ELNS1_3repE0EEENS1_30default_config_static_selectorELNS0_4arch9wavefront6targetE0EEEvS12_,"axG",@progbits,_ZN7rocprim17ROCPRIM_400000_NS6detail17trampoline_kernelINS0_13select_configILj256ELj13ELNS0_17block_load_methodE3ELS4_3ELS4_3ELNS0_20block_scan_algorithmE0ELj4294967295EEENS1_25partition_config_selectorILNS1_17partition_subalgoE4EjNS0_10empty_typeEbEEZZNS1_14partition_implILS8_4ELb0ES6_15HIP_vector_typeIjLj2EENS0_17counting_iteratorIjlEEPS9_SG_NS0_5tupleIJPjSI_NS0_16reverse_iteratorISI_EEEEENSH_IJSG_SG_SG_EEES9_SI_JZNS1_25segmented_radix_sort_implINS0_14default_configELb1EPKiPiPKlPlN2at6native12_GLOBAL__N_18offset_tEEE10hipError_tPvRmT1_PNSt15iterator_traitsIS12_E10value_typeET2_T3_PNS13_IS18_E10value_typeET4_jRbjT5_S1E_jjP12ihipStream_tbEUljE_ZNSN_ISO_Lb1ESQ_SR_ST_SU_SY_EESZ_S10_S11_S12_S16_S17_S18_S1B_S1C_jS1D_jS1E_S1E_jjS1G_bEUljE0_EEESZ_S10_S11_S18_S1C_S1E_T6_T7_T9_mT8_S1G_bDpT10_ENKUlT_T0_E_clISt17integral_constantIbLb0EES1T_IbLb1EEEEDaS1P_S1Q_EUlS1P_E_NS1_11comp_targetILNS1_3genE5ELNS1_11target_archE942ELNS1_3gpuE9ELNS1_3repE0EEENS1_30default_config_static_selectorELNS0_4arch9wavefront6targetE0EEEvS12_,comdat
.Lfunc_end454:
	.size	_ZN7rocprim17ROCPRIM_400000_NS6detail17trampoline_kernelINS0_13select_configILj256ELj13ELNS0_17block_load_methodE3ELS4_3ELS4_3ELNS0_20block_scan_algorithmE0ELj4294967295EEENS1_25partition_config_selectorILNS1_17partition_subalgoE4EjNS0_10empty_typeEbEEZZNS1_14partition_implILS8_4ELb0ES6_15HIP_vector_typeIjLj2EENS0_17counting_iteratorIjlEEPS9_SG_NS0_5tupleIJPjSI_NS0_16reverse_iteratorISI_EEEEENSH_IJSG_SG_SG_EEES9_SI_JZNS1_25segmented_radix_sort_implINS0_14default_configELb1EPKiPiPKlPlN2at6native12_GLOBAL__N_18offset_tEEE10hipError_tPvRmT1_PNSt15iterator_traitsIS12_E10value_typeET2_T3_PNS13_IS18_E10value_typeET4_jRbjT5_S1E_jjP12ihipStream_tbEUljE_ZNSN_ISO_Lb1ESQ_SR_ST_SU_SY_EESZ_S10_S11_S12_S16_S17_S18_S1B_S1C_jS1D_jS1E_S1E_jjS1G_bEUljE0_EEESZ_S10_S11_S18_S1C_S1E_T6_T7_T9_mT8_S1G_bDpT10_ENKUlT_T0_E_clISt17integral_constantIbLb0EES1T_IbLb1EEEEDaS1P_S1Q_EUlS1P_E_NS1_11comp_targetILNS1_3genE5ELNS1_11target_archE942ELNS1_3gpuE9ELNS1_3repE0EEENS1_30default_config_static_selectorELNS0_4arch9wavefront6targetE0EEEvS12_, .Lfunc_end454-_ZN7rocprim17ROCPRIM_400000_NS6detail17trampoline_kernelINS0_13select_configILj256ELj13ELNS0_17block_load_methodE3ELS4_3ELS4_3ELNS0_20block_scan_algorithmE0ELj4294967295EEENS1_25partition_config_selectorILNS1_17partition_subalgoE4EjNS0_10empty_typeEbEEZZNS1_14partition_implILS8_4ELb0ES6_15HIP_vector_typeIjLj2EENS0_17counting_iteratorIjlEEPS9_SG_NS0_5tupleIJPjSI_NS0_16reverse_iteratorISI_EEEEENSH_IJSG_SG_SG_EEES9_SI_JZNS1_25segmented_radix_sort_implINS0_14default_configELb1EPKiPiPKlPlN2at6native12_GLOBAL__N_18offset_tEEE10hipError_tPvRmT1_PNSt15iterator_traitsIS12_E10value_typeET2_T3_PNS13_IS18_E10value_typeET4_jRbjT5_S1E_jjP12ihipStream_tbEUljE_ZNSN_ISO_Lb1ESQ_SR_ST_SU_SY_EESZ_S10_S11_S12_S16_S17_S18_S1B_S1C_jS1D_jS1E_S1E_jjS1G_bEUljE0_EEESZ_S10_S11_S18_S1C_S1E_T6_T7_T9_mT8_S1G_bDpT10_ENKUlT_T0_E_clISt17integral_constantIbLb0EES1T_IbLb1EEEEDaS1P_S1Q_EUlS1P_E_NS1_11comp_targetILNS1_3genE5ELNS1_11target_archE942ELNS1_3gpuE9ELNS1_3repE0EEENS1_30default_config_static_selectorELNS0_4arch9wavefront6targetE0EEEvS12_
                                        ; -- End function
	.set _ZN7rocprim17ROCPRIM_400000_NS6detail17trampoline_kernelINS0_13select_configILj256ELj13ELNS0_17block_load_methodE3ELS4_3ELS4_3ELNS0_20block_scan_algorithmE0ELj4294967295EEENS1_25partition_config_selectorILNS1_17partition_subalgoE4EjNS0_10empty_typeEbEEZZNS1_14partition_implILS8_4ELb0ES6_15HIP_vector_typeIjLj2EENS0_17counting_iteratorIjlEEPS9_SG_NS0_5tupleIJPjSI_NS0_16reverse_iteratorISI_EEEEENSH_IJSG_SG_SG_EEES9_SI_JZNS1_25segmented_radix_sort_implINS0_14default_configELb1EPKiPiPKlPlN2at6native12_GLOBAL__N_18offset_tEEE10hipError_tPvRmT1_PNSt15iterator_traitsIS12_E10value_typeET2_T3_PNS13_IS18_E10value_typeET4_jRbjT5_S1E_jjP12ihipStream_tbEUljE_ZNSN_ISO_Lb1ESQ_SR_ST_SU_SY_EESZ_S10_S11_S12_S16_S17_S18_S1B_S1C_jS1D_jS1E_S1E_jjS1G_bEUljE0_EEESZ_S10_S11_S18_S1C_S1E_T6_T7_T9_mT8_S1G_bDpT10_ENKUlT_T0_E_clISt17integral_constantIbLb0EES1T_IbLb1EEEEDaS1P_S1Q_EUlS1P_E_NS1_11comp_targetILNS1_3genE5ELNS1_11target_archE942ELNS1_3gpuE9ELNS1_3repE0EEENS1_30default_config_static_selectorELNS0_4arch9wavefront6targetE0EEEvS12_.num_vgpr, 0
	.set _ZN7rocprim17ROCPRIM_400000_NS6detail17trampoline_kernelINS0_13select_configILj256ELj13ELNS0_17block_load_methodE3ELS4_3ELS4_3ELNS0_20block_scan_algorithmE0ELj4294967295EEENS1_25partition_config_selectorILNS1_17partition_subalgoE4EjNS0_10empty_typeEbEEZZNS1_14partition_implILS8_4ELb0ES6_15HIP_vector_typeIjLj2EENS0_17counting_iteratorIjlEEPS9_SG_NS0_5tupleIJPjSI_NS0_16reverse_iteratorISI_EEEEENSH_IJSG_SG_SG_EEES9_SI_JZNS1_25segmented_radix_sort_implINS0_14default_configELb1EPKiPiPKlPlN2at6native12_GLOBAL__N_18offset_tEEE10hipError_tPvRmT1_PNSt15iterator_traitsIS12_E10value_typeET2_T3_PNS13_IS18_E10value_typeET4_jRbjT5_S1E_jjP12ihipStream_tbEUljE_ZNSN_ISO_Lb1ESQ_SR_ST_SU_SY_EESZ_S10_S11_S12_S16_S17_S18_S1B_S1C_jS1D_jS1E_S1E_jjS1G_bEUljE0_EEESZ_S10_S11_S18_S1C_S1E_T6_T7_T9_mT8_S1G_bDpT10_ENKUlT_T0_E_clISt17integral_constantIbLb0EES1T_IbLb1EEEEDaS1P_S1Q_EUlS1P_E_NS1_11comp_targetILNS1_3genE5ELNS1_11target_archE942ELNS1_3gpuE9ELNS1_3repE0EEENS1_30default_config_static_selectorELNS0_4arch9wavefront6targetE0EEEvS12_.num_agpr, 0
	.set _ZN7rocprim17ROCPRIM_400000_NS6detail17trampoline_kernelINS0_13select_configILj256ELj13ELNS0_17block_load_methodE3ELS4_3ELS4_3ELNS0_20block_scan_algorithmE0ELj4294967295EEENS1_25partition_config_selectorILNS1_17partition_subalgoE4EjNS0_10empty_typeEbEEZZNS1_14partition_implILS8_4ELb0ES6_15HIP_vector_typeIjLj2EENS0_17counting_iteratorIjlEEPS9_SG_NS0_5tupleIJPjSI_NS0_16reverse_iteratorISI_EEEEENSH_IJSG_SG_SG_EEES9_SI_JZNS1_25segmented_radix_sort_implINS0_14default_configELb1EPKiPiPKlPlN2at6native12_GLOBAL__N_18offset_tEEE10hipError_tPvRmT1_PNSt15iterator_traitsIS12_E10value_typeET2_T3_PNS13_IS18_E10value_typeET4_jRbjT5_S1E_jjP12ihipStream_tbEUljE_ZNSN_ISO_Lb1ESQ_SR_ST_SU_SY_EESZ_S10_S11_S12_S16_S17_S18_S1B_S1C_jS1D_jS1E_S1E_jjS1G_bEUljE0_EEESZ_S10_S11_S18_S1C_S1E_T6_T7_T9_mT8_S1G_bDpT10_ENKUlT_T0_E_clISt17integral_constantIbLb0EES1T_IbLb1EEEEDaS1P_S1Q_EUlS1P_E_NS1_11comp_targetILNS1_3genE5ELNS1_11target_archE942ELNS1_3gpuE9ELNS1_3repE0EEENS1_30default_config_static_selectorELNS0_4arch9wavefront6targetE0EEEvS12_.numbered_sgpr, 0
	.set _ZN7rocprim17ROCPRIM_400000_NS6detail17trampoline_kernelINS0_13select_configILj256ELj13ELNS0_17block_load_methodE3ELS4_3ELS4_3ELNS0_20block_scan_algorithmE0ELj4294967295EEENS1_25partition_config_selectorILNS1_17partition_subalgoE4EjNS0_10empty_typeEbEEZZNS1_14partition_implILS8_4ELb0ES6_15HIP_vector_typeIjLj2EENS0_17counting_iteratorIjlEEPS9_SG_NS0_5tupleIJPjSI_NS0_16reverse_iteratorISI_EEEEENSH_IJSG_SG_SG_EEES9_SI_JZNS1_25segmented_radix_sort_implINS0_14default_configELb1EPKiPiPKlPlN2at6native12_GLOBAL__N_18offset_tEEE10hipError_tPvRmT1_PNSt15iterator_traitsIS12_E10value_typeET2_T3_PNS13_IS18_E10value_typeET4_jRbjT5_S1E_jjP12ihipStream_tbEUljE_ZNSN_ISO_Lb1ESQ_SR_ST_SU_SY_EESZ_S10_S11_S12_S16_S17_S18_S1B_S1C_jS1D_jS1E_S1E_jjS1G_bEUljE0_EEESZ_S10_S11_S18_S1C_S1E_T6_T7_T9_mT8_S1G_bDpT10_ENKUlT_T0_E_clISt17integral_constantIbLb0EES1T_IbLb1EEEEDaS1P_S1Q_EUlS1P_E_NS1_11comp_targetILNS1_3genE5ELNS1_11target_archE942ELNS1_3gpuE9ELNS1_3repE0EEENS1_30default_config_static_selectorELNS0_4arch9wavefront6targetE0EEEvS12_.num_named_barrier, 0
	.set _ZN7rocprim17ROCPRIM_400000_NS6detail17trampoline_kernelINS0_13select_configILj256ELj13ELNS0_17block_load_methodE3ELS4_3ELS4_3ELNS0_20block_scan_algorithmE0ELj4294967295EEENS1_25partition_config_selectorILNS1_17partition_subalgoE4EjNS0_10empty_typeEbEEZZNS1_14partition_implILS8_4ELb0ES6_15HIP_vector_typeIjLj2EENS0_17counting_iteratorIjlEEPS9_SG_NS0_5tupleIJPjSI_NS0_16reverse_iteratorISI_EEEEENSH_IJSG_SG_SG_EEES9_SI_JZNS1_25segmented_radix_sort_implINS0_14default_configELb1EPKiPiPKlPlN2at6native12_GLOBAL__N_18offset_tEEE10hipError_tPvRmT1_PNSt15iterator_traitsIS12_E10value_typeET2_T3_PNS13_IS18_E10value_typeET4_jRbjT5_S1E_jjP12ihipStream_tbEUljE_ZNSN_ISO_Lb1ESQ_SR_ST_SU_SY_EESZ_S10_S11_S12_S16_S17_S18_S1B_S1C_jS1D_jS1E_S1E_jjS1G_bEUljE0_EEESZ_S10_S11_S18_S1C_S1E_T6_T7_T9_mT8_S1G_bDpT10_ENKUlT_T0_E_clISt17integral_constantIbLb0EES1T_IbLb1EEEEDaS1P_S1Q_EUlS1P_E_NS1_11comp_targetILNS1_3genE5ELNS1_11target_archE942ELNS1_3gpuE9ELNS1_3repE0EEENS1_30default_config_static_selectorELNS0_4arch9wavefront6targetE0EEEvS12_.private_seg_size, 0
	.set _ZN7rocprim17ROCPRIM_400000_NS6detail17trampoline_kernelINS0_13select_configILj256ELj13ELNS0_17block_load_methodE3ELS4_3ELS4_3ELNS0_20block_scan_algorithmE0ELj4294967295EEENS1_25partition_config_selectorILNS1_17partition_subalgoE4EjNS0_10empty_typeEbEEZZNS1_14partition_implILS8_4ELb0ES6_15HIP_vector_typeIjLj2EENS0_17counting_iteratorIjlEEPS9_SG_NS0_5tupleIJPjSI_NS0_16reverse_iteratorISI_EEEEENSH_IJSG_SG_SG_EEES9_SI_JZNS1_25segmented_radix_sort_implINS0_14default_configELb1EPKiPiPKlPlN2at6native12_GLOBAL__N_18offset_tEEE10hipError_tPvRmT1_PNSt15iterator_traitsIS12_E10value_typeET2_T3_PNS13_IS18_E10value_typeET4_jRbjT5_S1E_jjP12ihipStream_tbEUljE_ZNSN_ISO_Lb1ESQ_SR_ST_SU_SY_EESZ_S10_S11_S12_S16_S17_S18_S1B_S1C_jS1D_jS1E_S1E_jjS1G_bEUljE0_EEESZ_S10_S11_S18_S1C_S1E_T6_T7_T9_mT8_S1G_bDpT10_ENKUlT_T0_E_clISt17integral_constantIbLb0EES1T_IbLb1EEEEDaS1P_S1Q_EUlS1P_E_NS1_11comp_targetILNS1_3genE5ELNS1_11target_archE942ELNS1_3gpuE9ELNS1_3repE0EEENS1_30default_config_static_selectorELNS0_4arch9wavefront6targetE0EEEvS12_.uses_vcc, 0
	.set _ZN7rocprim17ROCPRIM_400000_NS6detail17trampoline_kernelINS0_13select_configILj256ELj13ELNS0_17block_load_methodE3ELS4_3ELS4_3ELNS0_20block_scan_algorithmE0ELj4294967295EEENS1_25partition_config_selectorILNS1_17partition_subalgoE4EjNS0_10empty_typeEbEEZZNS1_14partition_implILS8_4ELb0ES6_15HIP_vector_typeIjLj2EENS0_17counting_iteratorIjlEEPS9_SG_NS0_5tupleIJPjSI_NS0_16reverse_iteratorISI_EEEEENSH_IJSG_SG_SG_EEES9_SI_JZNS1_25segmented_radix_sort_implINS0_14default_configELb1EPKiPiPKlPlN2at6native12_GLOBAL__N_18offset_tEEE10hipError_tPvRmT1_PNSt15iterator_traitsIS12_E10value_typeET2_T3_PNS13_IS18_E10value_typeET4_jRbjT5_S1E_jjP12ihipStream_tbEUljE_ZNSN_ISO_Lb1ESQ_SR_ST_SU_SY_EESZ_S10_S11_S12_S16_S17_S18_S1B_S1C_jS1D_jS1E_S1E_jjS1G_bEUljE0_EEESZ_S10_S11_S18_S1C_S1E_T6_T7_T9_mT8_S1G_bDpT10_ENKUlT_T0_E_clISt17integral_constantIbLb0EES1T_IbLb1EEEEDaS1P_S1Q_EUlS1P_E_NS1_11comp_targetILNS1_3genE5ELNS1_11target_archE942ELNS1_3gpuE9ELNS1_3repE0EEENS1_30default_config_static_selectorELNS0_4arch9wavefront6targetE0EEEvS12_.uses_flat_scratch, 0
	.set _ZN7rocprim17ROCPRIM_400000_NS6detail17trampoline_kernelINS0_13select_configILj256ELj13ELNS0_17block_load_methodE3ELS4_3ELS4_3ELNS0_20block_scan_algorithmE0ELj4294967295EEENS1_25partition_config_selectorILNS1_17partition_subalgoE4EjNS0_10empty_typeEbEEZZNS1_14partition_implILS8_4ELb0ES6_15HIP_vector_typeIjLj2EENS0_17counting_iteratorIjlEEPS9_SG_NS0_5tupleIJPjSI_NS0_16reverse_iteratorISI_EEEEENSH_IJSG_SG_SG_EEES9_SI_JZNS1_25segmented_radix_sort_implINS0_14default_configELb1EPKiPiPKlPlN2at6native12_GLOBAL__N_18offset_tEEE10hipError_tPvRmT1_PNSt15iterator_traitsIS12_E10value_typeET2_T3_PNS13_IS18_E10value_typeET4_jRbjT5_S1E_jjP12ihipStream_tbEUljE_ZNSN_ISO_Lb1ESQ_SR_ST_SU_SY_EESZ_S10_S11_S12_S16_S17_S18_S1B_S1C_jS1D_jS1E_S1E_jjS1G_bEUljE0_EEESZ_S10_S11_S18_S1C_S1E_T6_T7_T9_mT8_S1G_bDpT10_ENKUlT_T0_E_clISt17integral_constantIbLb0EES1T_IbLb1EEEEDaS1P_S1Q_EUlS1P_E_NS1_11comp_targetILNS1_3genE5ELNS1_11target_archE942ELNS1_3gpuE9ELNS1_3repE0EEENS1_30default_config_static_selectorELNS0_4arch9wavefront6targetE0EEEvS12_.has_dyn_sized_stack, 0
	.set _ZN7rocprim17ROCPRIM_400000_NS6detail17trampoline_kernelINS0_13select_configILj256ELj13ELNS0_17block_load_methodE3ELS4_3ELS4_3ELNS0_20block_scan_algorithmE0ELj4294967295EEENS1_25partition_config_selectorILNS1_17partition_subalgoE4EjNS0_10empty_typeEbEEZZNS1_14partition_implILS8_4ELb0ES6_15HIP_vector_typeIjLj2EENS0_17counting_iteratorIjlEEPS9_SG_NS0_5tupleIJPjSI_NS0_16reverse_iteratorISI_EEEEENSH_IJSG_SG_SG_EEES9_SI_JZNS1_25segmented_radix_sort_implINS0_14default_configELb1EPKiPiPKlPlN2at6native12_GLOBAL__N_18offset_tEEE10hipError_tPvRmT1_PNSt15iterator_traitsIS12_E10value_typeET2_T3_PNS13_IS18_E10value_typeET4_jRbjT5_S1E_jjP12ihipStream_tbEUljE_ZNSN_ISO_Lb1ESQ_SR_ST_SU_SY_EESZ_S10_S11_S12_S16_S17_S18_S1B_S1C_jS1D_jS1E_S1E_jjS1G_bEUljE0_EEESZ_S10_S11_S18_S1C_S1E_T6_T7_T9_mT8_S1G_bDpT10_ENKUlT_T0_E_clISt17integral_constantIbLb0EES1T_IbLb1EEEEDaS1P_S1Q_EUlS1P_E_NS1_11comp_targetILNS1_3genE5ELNS1_11target_archE942ELNS1_3gpuE9ELNS1_3repE0EEENS1_30default_config_static_selectorELNS0_4arch9wavefront6targetE0EEEvS12_.has_recursion, 0
	.set _ZN7rocprim17ROCPRIM_400000_NS6detail17trampoline_kernelINS0_13select_configILj256ELj13ELNS0_17block_load_methodE3ELS4_3ELS4_3ELNS0_20block_scan_algorithmE0ELj4294967295EEENS1_25partition_config_selectorILNS1_17partition_subalgoE4EjNS0_10empty_typeEbEEZZNS1_14partition_implILS8_4ELb0ES6_15HIP_vector_typeIjLj2EENS0_17counting_iteratorIjlEEPS9_SG_NS0_5tupleIJPjSI_NS0_16reverse_iteratorISI_EEEEENSH_IJSG_SG_SG_EEES9_SI_JZNS1_25segmented_radix_sort_implINS0_14default_configELb1EPKiPiPKlPlN2at6native12_GLOBAL__N_18offset_tEEE10hipError_tPvRmT1_PNSt15iterator_traitsIS12_E10value_typeET2_T3_PNS13_IS18_E10value_typeET4_jRbjT5_S1E_jjP12ihipStream_tbEUljE_ZNSN_ISO_Lb1ESQ_SR_ST_SU_SY_EESZ_S10_S11_S12_S16_S17_S18_S1B_S1C_jS1D_jS1E_S1E_jjS1G_bEUljE0_EEESZ_S10_S11_S18_S1C_S1E_T6_T7_T9_mT8_S1G_bDpT10_ENKUlT_T0_E_clISt17integral_constantIbLb0EES1T_IbLb1EEEEDaS1P_S1Q_EUlS1P_E_NS1_11comp_targetILNS1_3genE5ELNS1_11target_archE942ELNS1_3gpuE9ELNS1_3repE0EEENS1_30default_config_static_selectorELNS0_4arch9wavefront6targetE0EEEvS12_.has_indirect_call, 0
	.section	.AMDGPU.csdata,"",@progbits
; Kernel info:
; codeLenInByte = 0
; TotalNumSgprs: 0
; NumVgprs: 0
; ScratchSize: 0
; MemoryBound: 0
; FloatMode: 240
; IeeeMode: 1
; LDSByteSize: 0 bytes/workgroup (compile time only)
; SGPRBlocks: 0
; VGPRBlocks: 0
; NumSGPRsForWavesPerEU: 1
; NumVGPRsForWavesPerEU: 1
; NamedBarCnt: 0
; Occupancy: 16
; WaveLimiterHint : 0
; COMPUTE_PGM_RSRC2:SCRATCH_EN: 0
; COMPUTE_PGM_RSRC2:USER_SGPR: 2
; COMPUTE_PGM_RSRC2:TRAP_HANDLER: 0
; COMPUTE_PGM_RSRC2:TGID_X_EN: 1
; COMPUTE_PGM_RSRC2:TGID_Y_EN: 0
; COMPUTE_PGM_RSRC2:TGID_Z_EN: 0
; COMPUTE_PGM_RSRC2:TIDIG_COMP_CNT: 0
	.section	.text._ZN7rocprim17ROCPRIM_400000_NS6detail17trampoline_kernelINS0_13select_configILj256ELj13ELNS0_17block_load_methodE3ELS4_3ELS4_3ELNS0_20block_scan_algorithmE0ELj4294967295EEENS1_25partition_config_selectorILNS1_17partition_subalgoE4EjNS0_10empty_typeEbEEZZNS1_14partition_implILS8_4ELb0ES6_15HIP_vector_typeIjLj2EENS0_17counting_iteratorIjlEEPS9_SG_NS0_5tupleIJPjSI_NS0_16reverse_iteratorISI_EEEEENSH_IJSG_SG_SG_EEES9_SI_JZNS1_25segmented_radix_sort_implINS0_14default_configELb1EPKiPiPKlPlN2at6native12_GLOBAL__N_18offset_tEEE10hipError_tPvRmT1_PNSt15iterator_traitsIS12_E10value_typeET2_T3_PNS13_IS18_E10value_typeET4_jRbjT5_S1E_jjP12ihipStream_tbEUljE_ZNSN_ISO_Lb1ESQ_SR_ST_SU_SY_EESZ_S10_S11_S12_S16_S17_S18_S1B_S1C_jS1D_jS1E_S1E_jjS1G_bEUljE0_EEESZ_S10_S11_S18_S1C_S1E_T6_T7_T9_mT8_S1G_bDpT10_ENKUlT_T0_E_clISt17integral_constantIbLb0EES1T_IbLb1EEEEDaS1P_S1Q_EUlS1P_E_NS1_11comp_targetILNS1_3genE4ELNS1_11target_archE910ELNS1_3gpuE8ELNS1_3repE0EEENS1_30default_config_static_selectorELNS0_4arch9wavefront6targetE0EEEvS12_,"axG",@progbits,_ZN7rocprim17ROCPRIM_400000_NS6detail17trampoline_kernelINS0_13select_configILj256ELj13ELNS0_17block_load_methodE3ELS4_3ELS4_3ELNS0_20block_scan_algorithmE0ELj4294967295EEENS1_25partition_config_selectorILNS1_17partition_subalgoE4EjNS0_10empty_typeEbEEZZNS1_14partition_implILS8_4ELb0ES6_15HIP_vector_typeIjLj2EENS0_17counting_iteratorIjlEEPS9_SG_NS0_5tupleIJPjSI_NS0_16reverse_iteratorISI_EEEEENSH_IJSG_SG_SG_EEES9_SI_JZNS1_25segmented_radix_sort_implINS0_14default_configELb1EPKiPiPKlPlN2at6native12_GLOBAL__N_18offset_tEEE10hipError_tPvRmT1_PNSt15iterator_traitsIS12_E10value_typeET2_T3_PNS13_IS18_E10value_typeET4_jRbjT5_S1E_jjP12ihipStream_tbEUljE_ZNSN_ISO_Lb1ESQ_SR_ST_SU_SY_EESZ_S10_S11_S12_S16_S17_S18_S1B_S1C_jS1D_jS1E_S1E_jjS1G_bEUljE0_EEESZ_S10_S11_S18_S1C_S1E_T6_T7_T9_mT8_S1G_bDpT10_ENKUlT_T0_E_clISt17integral_constantIbLb0EES1T_IbLb1EEEEDaS1P_S1Q_EUlS1P_E_NS1_11comp_targetILNS1_3genE4ELNS1_11target_archE910ELNS1_3gpuE8ELNS1_3repE0EEENS1_30default_config_static_selectorELNS0_4arch9wavefront6targetE0EEEvS12_,comdat
	.globl	_ZN7rocprim17ROCPRIM_400000_NS6detail17trampoline_kernelINS0_13select_configILj256ELj13ELNS0_17block_load_methodE3ELS4_3ELS4_3ELNS0_20block_scan_algorithmE0ELj4294967295EEENS1_25partition_config_selectorILNS1_17partition_subalgoE4EjNS0_10empty_typeEbEEZZNS1_14partition_implILS8_4ELb0ES6_15HIP_vector_typeIjLj2EENS0_17counting_iteratorIjlEEPS9_SG_NS0_5tupleIJPjSI_NS0_16reverse_iteratorISI_EEEEENSH_IJSG_SG_SG_EEES9_SI_JZNS1_25segmented_radix_sort_implINS0_14default_configELb1EPKiPiPKlPlN2at6native12_GLOBAL__N_18offset_tEEE10hipError_tPvRmT1_PNSt15iterator_traitsIS12_E10value_typeET2_T3_PNS13_IS18_E10value_typeET4_jRbjT5_S1E_jjP12ihipStream_tbEUljE_ZNSN_ISO_Lb1ESQ_SR_ST_SU_SY_EESZ_S10_S11_S12_S16_S17_S18_S1B_S1C_jS1D_jS1E_S1E_jjS1G_bEUljE0_EEESZ_S10_S11_S18_S1C_S1E_T6_T7_T9_mT8_S1G_bDpT10_ENKUlT_T0_E_clISt17integral_constantIbLb0EES1T_IbLb1EEEEDaS1P_S1Q_EUlS1P_E_NS1_11comp_targetILNS1_3genE4ELNS1_11target_archE910ELNS1_3gpuE8ELNS1_3repE0EEENS1_30default_config_static_selectorELNS0_4arch9wavefront6targetE0EEEvS12_ ; -- Begin function _ZN7rocprim17ROCPRIM_400000_NS6detail17trampoline_kernelINS0_13select_configILj256ELj13ELNS0_17block_load_methodE3ELS4_3ELS4_3ELNS0_20block_scan_algorithmE0ELj4294967295EEENS1_25partition_config_selectorILNS1_17partition_subalgoE4EjNS0_10empty_typeEbEEZZNS1_14partition_implILS8_4ELb0ES6_15HIP_vector_typeIjLj2EENS0_17counting_iteratorIjlEEPS9_SG_NS0_5tupleIJPjSI_NS0_16reverse_iteratorISI_EEEEENSH_IJSG_SG_SG_EEES9_SI_JZNS1_25segmented_radix_sort_implINS0_14default_configELb1EPKiPiPKlPlN2at6native12_GLOBAL__N_18offset_tEEE10hipError_tPvRmT1_PNSt15iterator_traitsIS12_E10value_typeET2_T3_PNS13_IS18_E10value_typeET4_jRbjT5_S1E_jjP12ihipStream_tbEUljE_ZNSN_ISO_Lb1ESQ_SR_ST_SU_SY_EESZ_S10_S11_S12_S16_S17_S18_S1B_S1C_jS1D_jS1E_S1E_jjS1G_bEUljE0_EEESZ_S10_S11_S18_S1C_S1E_T6_T7_T9_mT8_S1G_bDpT10_ENKUlT_T0_E_clISt17integral_constantIbLb0EES1T_IbLb1EEEEDaS1P_S1Q_EUlS1P_E_NS1_11comp_targetILNS1_3genE4ELNS1_11target_archE910ELNS1_3gpuE8ELNS1_3repE0EEENS1_30default_config_static_selectorELNS0_4arch9wavefront6targetE0EEEvS12_
	.p2align	8
	.type	_ZN7rocprim17ROCPRIM_400000_NS6detail17trampoline_kernelINS0_13select_configILj256ELj13ELNS0_17block_load_methodE3ELS4_3ELS4_3ELNS0_20block_scan_algorithmE0ELj4294967295EEENS1_25partition_config_selectorILNS1_17partition_subalgoE4EjNS0_10empty_typeEbEEZZNS1_14partition_implILS8_4ELb0ES6_15HIP_vector_typeIjLj2EENS0_17counting_iteratorIjlEEPS9_SG_NS0_5tupleIJPjSI_NS0_16reverse_iteratorISI_EEEEENSH_IJSG_SG_SG_EEES9_SI_JZNS1_25segmented_radix_sort_implINS0_14default_configELb1EPKiPiPKlPlN2at6native12_GLOBAL__N_18offset_tEEE10hipError_tPvRmT1_PNSt15iterator_traitsIS12_E10value_typeET2_T3_PNS13_IS18_E10value_typeET4_jRbjT5_S1E_jjP12ihipStream_tbEUljE_ZNSN_ISO_Lb1ESQ_SR_ST_SU_SY_EESZ_S10_S11_S12_S16_S17_S18_S1B_S1C_jS1D_jS1E_S1E_jjS1G_bEUljE0_EEESZ_S10_S11_S18_S1C_S1E_T6_T7_T9_mT8_S1G_bDpT10_ENKUlT_T0_E_clISt17integral_constantIbLb0EES1T_IbLb1EEEEDaS1P_S1Q_EUlS1P_E_NS1_11comp_targetILNS1_3genE4ELNS1_11target_archE910ELNS1_3gpuE8ELNS1_3repE0EEENS1_30default_config_static_selectorELNS0_4arch9wavefront6targetE0EEEvS12_,@function
_ZN7rocprim17ROCPRIM_400000_NS6detail17trampoline_kernelINS0_13select_configILj256ELj13ELNS0_17block_load_methodE3ELS4_3ELS4_3ELNS0_20block_scan_algorithmE0ELj4294967295EEENS1_25partition_config_selectorILNS1_17partition_subalgoE4EjNS0_10empty_typeEbEEZZNS1_14partition_implILS8_4ELb0ES6_15HIP_vector_typeIjLj2EENS0_17counting_iteratorIjlEEPS9_SG_NS0_5tupleIJPjSI_NS0_16reverse_iteratorISI_EEEEENSH_IJSG_SG_SG_EEES9_SI_JZNS1_25segmented_radix_sort_implINS0_14default_configELb1EPKiPiPKlPlN2at6native12_GLOBAL__N_18offset_tEEE10hipError_tPvRmT1_PNSt15iterator_traitsIS12_E10value_typeET2_T3_PNS13_IS18_E10value_typeET4_jRbjT5_S1E_jjP12ihipStream_tbEUljE_ZNSN_ISO_Lb1ESQ_SR_ST_SU_SY_EESZ_S10_S11_S12_S16_S17_S18_S1B_S1C_jS1D_jS1E_S1E_jjS1G_bEUljE0_EEESZ_S10_S11_S18_S1C_S1E_T6_T7_T9_mT8_S1G_bDpT10_ENKUlT_T0_E_clISt17integral_constantIbLb0EES1T_IbLb1EEEEDaS1P_S1Q_EUlS1P_E_NS1_11comp_targetILNS1_3genE4ELNS1_11target_archE910ELNS1_3gpuE8ELNS1_3repE0EEENS1_30default_config_static_selectorELNS0_4arch9wavefront6targetE0EEEvS12_: ; @_ZN7rocprim17ROCPRIM_400000_NS6detail17trampoline_kernelINS0_13select_configILj256ELj13ELNS0_17block_load_methodE3ELS4_3ELS4_3ELNS0_20block_scan_algorithmE0ELj4294967295EEENS1_25partition_config_selectorILNS1_17partition_subalgoE4EjNS0_10empty_typeEbEEZZNS1_14partition_implILS8_4ELb0ES6_15HIP_vector_typeIjLj2EENS0_17counting_iteratorIjlEEPS9_SG_NS0_5tupleIJPjSI_NS0_16reverse_iteratorISI_EEEEENSH_IJSG_SG_SG_EEES9_SI_JZNS1_25segmented_radix_sort_implINS0_14default_configELb1EPKiPiPKlPlN2at6native12_GLOBAL__N_18offset_tEEE10hipError_tPvRmT1_PNSt15iterator_traitsIS12_E10value_typeET2_T3_PNS13_IS18_E10value_typeET4_jRbjT5_S1E_jjP12ihipStream_tbEUljE_ZNSN_ISO_Lb1ESQ_SR_ST_SU_SY_EESZ_S10_S11_S12_S16_S17_S18_S1B_S1C_jS1D_jS1E_S1E_jjS1G_bEUljE0_EEESZ_S10_S11_S18_S1C_S1E_T6_T7_T9_mT8_S1G_bDpT10_ENKUlT_T0_E_clISt17integral_constantIbLb0EES1T_IbLb1EEEEDaS1P_S1Q_EUlS1P_E_NS1_11comp_targetILNS1_3genE4ELNS1_11target_archE910ELNS1_3gpuE8ELNS1_3repE0EEENS1_30default_config_static_selectorELNS0_4arch9wavefront6targetE0EEEvS12_
; %bb.0:
	.section	.rodata,"a",@progbits
	.p2align	6, 0x0
	.amdhsa_kernel _ZN7rocprim17ROCPRIM_400000_NS6detail17trampoline_kernelINS0_13select_configILj256ELj13ELNS0_17block_load_methodE3ELS4_3ELS4_3ELNS0_20block_scan_algorithmE0ELj4294967295EEENS1_25partition_config_selectorILNS1_17partition_subalgoE4EjNS0_10empty_typeEbEEZZNS1_14partition_implILS8_4ELb0ES6_15HIP_vector_typeIjLj2EENS0_17counting_iteratorIjlEEPS9_SG_NS0_5tupleIJPjSI_NS0_16reverse_iteratorISI_EEEEENSH_IJSG_SG_SG_EEES9_SI_JZNS1_25segmented_radix_sort_implINS0_14default_configELb1EPKiPiPKlPlN2at6native12_GLOBAL__N_18offset_tEEE10hipError_tPvRmT1_PNSt15iterator_traitsIS12_E10value_typeET2_T3_PNS13_IS18_E10value_typeET4_jRbjT5_S1E_jjP12ihipStream_tbEUljE_ZNSN_ISO_Lb1ESQ_SR_ST_SU_SY_EESZ_S10_S11_S12_S16_S17_S18_S1B_S1C_jS1D_jS1E_S1E_jjS1G_bEUljE0_EEESZ_S10_S11_S18_S1C_S1E_T6_T7_T9_mT8_S1G_bDpT10_ENKUlT_T0_E_clISt17integral_constantIbLb0EES1T_IbLb1EEEEDaS1P_S1Q_EUlS1P_E_NS1_11comp_targetILNS1_3genE4ELNS1_11target_archE910ELNS1_3gpuE8ELNS1_3repE0EEENS1_30default_config_static_selectorELNS0_4arch9wavefront6targetE0EEEvS12_
		.amdhsa_group_segment_fixed_size 0
		.amdhsa_private_segment_fixed_size 0
		.amdhsa_kernarg_size 184
		.amdhsa_user_sgpr_count 2
		.amdhsa_user_sgpr_dispatch_ptr 0
		.amdhsa_user_sgpr_queue_ptr 0
		.amdhsa_user_sgpr_kernarg_segment_ptr 1
		.amdhsa_user_sgpr_dispatch_id 0
		.amdhsa_user_sgpr_kernarg_preload_length 0
		.amdhsa_user_sgpr_kernarg_preload_offset 0
		.amdhsa_user_sgpr_private_segment_size 0
		.amdhsa_wavefront_size32 1
		.amdhsa_uses_dynamic_stack 0
		.amdhsa_enable_private_segment 0
		.amdhsa_system_sgpr_workgroup_id_x 1
		.amdhsa_system_sgpr_workgroup_id_y 0
		.amdhsa_system_sgpr_workgroup_id_z 0
		.amdhsa_system_sgpr_workgroup_info 0
		.amdhsa_system_vgpr_workitem_id 0
		.amdhsa_next_free_vgpr 1
		.amdhsa_next_free_sgpr 1
		.amdhsa_named_barrier_count 0
		.amdhsa_reserve_vcc 0
		.amdhsa_float_round_mode_32 0
		.amdhsa_float_round_mode_16_64 0
		.amdhsa_float_denorm_mode_32 3
		.amdhsa_float_denorm_mode_16_64 3
		.amdhsa_fp16_overflow 0
		.amdhsa_memory_ordered 1
		.amdhsa_forward_progress 1
		.amdhsa_inst_pref_size 0
		.amdhsa_round_robin_scheduling 0
		.amdhsa_exception_fp_ieee_invalid_op 0
		.amdhsa_exception_fp_denorm_src 0
		.amdhsa_exception_fp_ieee_div_zero 0
		.amdhsa_exception_fp_ieee_overflow 0
		.amdhsa_exception_fp_ieee_underflow 0
		.amdhsa_exception_fp_ieee_inexact 0
		.amdhsa_exception_int_div_zero 0
	.end_amdhsa_kernel
	.section	.text._ZN7rocprim17ROCPRIM_400000_NS6detail17trampoline_kernelINS0_13select_configILj256ELj13ELNS0_17block_load_methodE3ELS4_3ELS4_3ELNS0_20block_scan_algorithmE0ELj4294967295EEENS1_25partition_config_selectorILNS1_17partition_subalgoE4EjNS0_10empty_typeEbEEZZNS1_14partition_implILS8_4ELb0ES6_15HIP_vector_typeIjLj2EENS0_17counting_iteratorIjlEEPS9_SG_NS0_5tupleIJPjSI_NS0_16reverse_iteratorISI_EEEEENSH_IJSG_SG_SG_EEES9_SI_JZNS1_25segmented_radix_sort_implINS0_14default_configELb1EPKiPiPKlPlN2at6native12_GLOBAL__N_18offset_tEEE10hipError_tPvRmT1_PNSt15iterator_traitsIS12_E10value_typeET2_T3_PNS13_IS18_E10value_typeET4_jRbjT5_S1E_jjP12ihipStream_tbEUljE_ZNSN_ISO_Lb1ESQ_SR_ST_SU_SY_EESZ_S10_S11_S12_S16_S17_S18_S1B_S1C_jS1D_jS1E_S1E_jjS1G_bEUljE0_EEESZ_S10_S11_S18_S1C_S1E_T6_T7_T9_mT8_S1G_bDpT10_ENKUlT_T0_E_clISt17integral_constantIbLb0EES1T_IbLb1EEEEDaS1P_S1Q_EUlS1P_E_NS1_11comp_targetILNS1_3genE4ELNS1_11target_archE910ELNS1_3gpuE8ELNS1_3repE0EEENS1_30default_config_static_selectorELNS0_4arch9wavefront6targetE0EEEvS12_,"axG",@progbits,_ZN7rocprim17ROCPRIM_400000_NS6detail17trampoline_kernelINS0_13select_configILj256ELj13ELNS0_17block_load_methodE3ELS4_3ELS4_3ELNS0_20block_scan_algorithmE0ELj4294967295EEENS1_25partition_config_selectorILNS1_17partition_subalgoE4EjNS0_10empty_typeEbEEZZNS1_14partition_implILS8_4ELb0ES6_15HIP_vector_typeIjLj2EENS0_17counting_iteratorIjlEEPS9_SG_NS0_5tupleIJPjSI_NS0_16reverse_iteratorISI_EEEEENSH_IJSG_SG_SG_EEES9_SI_JZNS1_25segmented_radix_sort_implINS0_14default_configELb1EPKiPiPKlPlN2at6native12_GLOBAL__N_18offset_tEEE10hipError_tPvRmT1_PNSt15iterator_traitsIS12_E10value_typeET2_T3_PNS13_IS18_E10value_typeET4_jRbjT5_S1E_jjP12ihipStream_tbEUljE_ZNSN_ISO_Lb1ESQ_SR_ST_SU_SY_EESZ_S10_S11_S12_S16_S17_S18_S1B_S1C_jS1D_jS1E_S1E_jjS1G_bEUljE0_EEESZ_S10_S11_S18_S1C_S1E_T6_T7_T9_mT8_S1G_bDpT10_ENKUlT_T0_E_clISt17integral_constantIbLb0EES1T_IbLb1EEEEDaS1P_S1Q_EUlS1P_E_NS1_11comp_targetILNS1_3genE4ELNS1_11target_archE910ELNS1_3gpuE8ELNS1_3repE0EEENS1_30default_config_static_selectorELNS0_4arch9wavefront6targetE0EEEvS12_,comdat
.Lfunc_end455:
	.size	_ZN7rocprim17ROCPRIM_400000_NS6detail17trampoline_kernelINS0_13select_configILj256ELj13ELNS0_17block_load_methodE3ELS4_3ELS4_3ELNS0_20block_scan_algorithmE0ELj4294967295EEENS1_25partition_config_selectorILNS1_17partition_subalgoE4EjNS0_10empty_typeEbEEZZNS1_14partition_implILS8_4ELb0ES6_15HIP_vector_typeIjLj2EENS0_17counting_iteratorIjlEEPS9_SG_NS0_5tupleIJPjSI_NS0_16reverse_iteratorISI_EEEEENSH_IJSG_SG_SG_EEES9_SI_JZNS1_25segmented_radix_sort_implINS0_14default_configELb1EPKiPiPKlPlN2at6native12_GLOBAL__N_18offset_tEEE10hipError_tPvRmT1_PNSt15iterator_traitsIS12_E10value_typeET2_T3_PNS13_IS18_E10value_typeET4_jRbjT5_S1E_jjP12ihipStream_tbEUljE_ZNSN_ISO_Lb1ESQ_SR_ST_SU_SY_EESZ_S10_S11_S12_S16_S17_S18_S1B_S1C_jS1D_jS1E_S1E_jjS1G_bEUljE0_EEESZ_S10_S11_S18_S1C_S1E_T6_T7_T9_mT8_S1G_bDpT10_ENKUlT_T0_E_clISt17integral_constantIbLb0EES1T_IbLb1EEEEDaS1P_S1Q_EUlS1P_E_NS1_11comp_targetILNS1_3genE4ELNS1_11target_archE910ELNS1_3gpuE8ELNS1_3repE0EEENS1_30default_config_static_selectorELNS0_4arch9wavefront6targetE0EEEvS12_, .Lfunc_end455-_ZN7rocprim17ROCPRIM_400000_NS6detail17trampoline_kernelINS0_13select_configILj256ELj13ELNS0_17block_load_methodE3ELS4_3ELS4_3ELNS0_20block_scan_algorithmE0ELj4294967295EEENS1_25partition_config_selectorILNS1_17partition_subalgoE4EjNS0_10empty_typeEbEEZZNS1_14partition_implILS8_4ELb0ES6_15HIP_vector_typeIjLj2EENS0_17counting_iteratorIjlEEPS9_SG_NS0_5tupleIJPjSI_NS0_16reverse_iteratorISI_EEEEENSH_IJSG_SG_SG_EEES9_SI_JZNS1_25segmented_radix_sort_implINS0_14default_configELb1EPKiPiPKlPlN2at6native12_GLOBAL__N_18offset_tEEE10hipError_tPvRmT1_PNSt15iterator_traitsIS12_E10value_typeET2_T3_PNS13_IS18_E10value_typeET4_jRbjT5_S1E_jjP12ihipStream_tbEUljE_ZNSN_ISO_Lb1ESQ_SR_ST_SU_SY_EESZ_S10_S11_S12_S16_S17_S18_S1B_S1C_jS1D_jS1E_S1E_jjS1G_bEUljE0_EEESZ_S10_S11_S18_S1C_S1E_T6_T7_T9_mT8_S1G_bDpT10_ENKUlT_T0_E_clISt17integral_constantIbLb0EES1T_IbLb1EEEEDaS1P_S1Q_EUlS1P_E_NS1_11comp_targetILNS1_3genE4ELNS1_11target_archE910ELNS1_3gpuE8ELNS1_3repE0EEENS1_30default_config_static_selectorELNS0_4arch9wavefront6targetE0EEEvS12_
                                        ; -- End function
	.set _ZN7rocprim17ROCPRIM_400000_NS6detail17trampoline_kernelINS0_13select_configILj256ELj13ELNS0_17block_load_methodE3ELS4_3ELS4_3ELNS0_20block_scan_algorithmE0ELj4294967295EEENS1_25partition_config_selectorILNS1_17partition_subalgoE4EjNS0_10empty_typeEbEEZZNS1_14partition_implILS8_4ELb0ES6_15HIP_vector_typeIjLj2EENS0_17counting_iteratorIjlEEPS9_SG_NS0_5tupleIJPjSI_NS0_16reverse_iteratorISI_EEEEENSH_IJSG_SG_SG_EEES9_SI_JZNS1_25segmented_radix_sort_implINS0_14default_configELb1EPKiPiPKlPlN2at6native12_GLOBAL__N_18offset_tEEE10hipError_tPvRmT1_PNSt15iterator_traitsIS12_E10value_typeET2_T3_PNS13_IS18_E10value_typeET4_jRbjT5_S1E_jjP12ihipStream_tbEUljE_ZNSN_ISO_Lb1ESQ_SR_ST_SU_SY_EESZ_S10_S11_S12_S16_S17_S18_S1B_S1C_jS1D_jS1E_S1E_jjS1G_bEUljE0_EEESZ_S10_S11_S18_S1C_S1E_T6_T7_T9_mT8_S1G_bDpT10_ENKUlT_T0_E_clISt17integral_constantIbLb0EES1T_IbLb1EEEEDaS1P_S1Q_EUlS1P_E_NS1_11comp_targetILNS1_3genE4ELNS1_11target_archE910ELNS1_3gpuE8ELNS1_3repE0EEENS1_30default_config_static_selectorELNS0_4arch9wavefront6targetE0EEEvS12_.num_vgpr, 0
	.set _ZN7rocprim17ROCPRIM_400000_NS6detail17trampoline_kernelINS0_13select_configILj256ELj13ELNS0_17block_load_methodE3ELS4_3ELS4_3ELNS0_20block_scan_algorithmE0ELj4294967295EEENS1_25partition_config_selectorILNS1_17partition_subalgoE4EjNS0_10empty_typeEbEEZZNS1_14partition_implILS8_4ELb0ES6_15HIP_vector_typeIjLj2EENS0_17counting_iteratorIjlEEPS9_SG_NS0_5tupleIJPjSI_NS0_16reverse_iteratorISI_EEEEENSH_IJSG_SG_SG_EEES9_SI_JZNS1_25segmented_radix_sort_implINS0_14default_configELb1EPKiPiPKlPlN2at6native12_GLOBAL__N_18offset_tEEE10hipError_tPvRmT1_PNSt15iterator_traitsIS12_E10value_typeET2_T3_PNS13_IS18_E10value_typeET4_jRbjT5_S1E_jjP12ihipStream_tbEUljE_ZNSN_ISO_Lb1ESQ_SR_ST_SU_SY_EESZ_S10_S11_S12_S16_S17_S18_S1B_S1C_jS1D_jS1E_S1E_jjS1G_bEUljE0_EEESZ_S10_S11_S18_S1C_S1E_T6_T7_T9_mT8_S1G_bDpT10_ENKUlT_T0_E_clISt17integral_constantIbLb0EES1T_IbLb1EEEEDaS1P_S1Q_EUlS1P_E_NS1_11comp_targetILNS1_3genE4ELNS1_11target_archE910ELNS1_3gpuE8ELNS1_3repE0EEENS1_30default_config_static_selectorELNS0_4arch9wavefront6targetE0EEEvS12_.num_agpr, 0
	.set _ZN7rocprim17ROCPRIM_400000_NS6detail17trampoline_kernelINS0_13select_configILj256ELj13ELNS0_17block_load_methodE3ELS4_3ELS4_3ELNS0_20block_scan_algorithmE0ELj4294967295EEENS1_25partition_config_selectorILNS1_17partition_subalgoE4EjNS0_10empty_typeEbEEZZNS1_14partition_implILS8_4ELb0ES6_15HIP_vector_typeIjLj2EENS0_17counting_iteratorIjlEEPS9_SG_NS0_5tupleIJPjSI_NS0_16reverse_iteratorISI_EEEEENSH_IJSG_SG_SG_EEES9_SI_JZNS1_25segmented_radix_sort_implINS0_14default_configELb1EPKiPiPKlPlN2at6native12_GLOBAL__N_18offset_tEEE10hipError_tPvRmT1_PNSt15iterator_traitsIS12_E10value_typeET2_T3_PNS13_IS18_E10value_typeET4_jRbjT5_S1E_jjP12ihipStream_tbEUljE_ZNSN_ISO_Lb1ESQ_SR_ST_SU_SY_EESZ_S10_S11_S12_S16_S17_S18_S1B_S1C_jS1D_jS1E_S1E_jjS1G_bEUljE0_EEESZ_S10_S11_S18_S1C_S1E_T6_T7_T9_mT8_S1G_bDpT10_ENKUlT_T0_E_clISt17integral_constantIbLb0EES1T_IbLb1EEEEDaS1P_S1Q_EUlS1P_E_NS1_11comp_targetILNS1_3genE4ELNS1_11target_archE910ELNS1_3gpuE8ELNS1_3repE0EEENS1_30default_config_static_selectorELNS0_4arch9wavefront6targetE0EEEvS12_.numbered_sgpr, 0
	.set _ZN7rocprim17ROCPRIM_400000_NS6detail17trampoline_kernelINS0_13select_configILj256ELj13ELNS0_17block_load_methodE3ELS4_3ELS4_3ELNS0_20block_scan_algorithmE0ELj4294967295EEENS1_25partition_config_selectorILNS1_17partition_subalgoE4EjNS0_10empty_typeEbEEZZNS1_14partition_implILS8_4ELb0ES6_15HIP_vector_typeIjLj2EENS0_17counting_iteratorIjlEEPS9_SG_NS0_5tupleIJPjSI_NS0_16reverse_iteratorISI_EEEEENSH_IJSG_SG_SG_EEES9_SI_JZNS1_25segmented_radix_sort_implINS0_14default_configELb1EPKiPiPKlPlN2at6native12_GLOBAL__N_18offset_tEEE10hipError_tPvRmT1_PNSt15iterator_traitsIS12_E10value_typeET2_T3_PNS13_IS18_E10value_typeET4_jRbjT5_S1E_jjP12ihipStream_tbEUljE_ZNSN_ISO_Lb1ESQ_SR_ST_SU_SY_EESZ_S10_S11_S12_S16_S17_S18_S1B_S1C_jS1D_jS1E_S1E_jjS1G_bEUljE0_EEESZ_S10_S11_S18_S1C_S1E_T6_T7_T9_mT8_S1G_bDpT10_ENKUlT_T0_E_clISt17integral_constantIbLb0EES1T_IbLb1EEEEDaS1P_S1Q_EUlS1P_E_NS1_11comp_targetILNS1_3genE4ELNS1_11target_archE910ELNS1_3gpuE8ELNS1_3repE0EEENS1_30default_config_static_selectorELNS0_4arch9wavefront6targetE0EEEvS12_.num_named_barrier, 0
	.set _ZN7rocprim17ROCPRIM_400000_NS6detail17trampoline_kernelINS0_13select_configILj256ELj13ELNS0_17block_load_methodE3ELS4_3ELS4_3ELNS0_20block_scan_algorithmE0ELj4294967295EEENS1_25partition_config_selectorILNS1_17partition_subalgoE4EjNS0_10empty_typeEbEEZZNS1_14partition_implILS8_4ELb0ES6_15HIP_vector_typeIjLj2EENS0_17counting_iteratorIjlEEPS9_SG_NS0_5tupleIJPjSI_NS0_16reverse_iteratorISI_EEEEENSH_IJSG_SG_SG_EEES9_SI_JZNS1_25segmented_radix_sort_implINS0_14default_configELb1EPKiPiPKlPlN2at6native12_GLOBAL__N_18offset_tEEE10hipError_tPvRmT1_PNSt15iterator_traitsIS12_E10value_typeET2_T3_PNS13_IS18_E10value_typeET4_jRbjT5_S1E_jjP12ihipStream_tbEUljE_ZNSN_ISO_Lb1ESQ_SR_ST_SU_SY_EESZ_S10_S11_S12_S16_S17_S18_S1B_S1C_jS1D_jS1E_S1E_jjS1G_bEUljE0_EEESZ_S10_S11_S18_S1C_S1E_T6_T7_T9_mT8_S1G_bDpT10_ENKUlT_T0_E_clISt17integral_constantIbLb0EES1T_IbLb1EEEEDaS1P_S1Q_EUlS1P_E_NS1_11comp_targetILNS1_3genE4ELNS1_11target_archE910ELNS1_3gpuE8ELNS1_3repE0EEENS1_30default_config_static_selectorELNS0_4arch9wavefront6targetE0EEEvS12_.private_seg_size, 0
	.set _ZN7rocprim17ROCPRIM_400000_NS6detail17trampoline_kernelINS0_13select_configILj256ELj13ELNS0_17block_load_methodE3ELS4_3ELS4_3ELNS0_20block_scan_algorithmE0ELj4294967295EEENS1_25partition_config_selectorILNS1_17partition_subalgoE4EjNS0_10empty_typeEbEEZZNS1_14partition_implILS8_4ELb0ES6_15HIP_vector_typeIjLj2EENS0_17counting_iteratorIjlEEPS9_SG_NS0_5tupleIJPjSI_NS0_16reverse_iteratorISI_EEEEENSH_IJSG_SG_SG_EEES9_SI_JZNS1_25segmented_radix_sort_implINS0_14default_configELb1EPKiPiPKlPlN2at6native12_GLOBAL__N_18offset_tEEE10hipError_tPvRmT1_PNSt15iterator_traitsIS12_E10value_typeET2_T3_PNS13_IS18_E10value_typeET4_jRbjT5_S1E_jjP12ihipStream_tbEUljE_ZNSN_ISO_Lb1ESQ_SR_ST_SU_SY_EESZ_S10_S11_S12_S16_S17_S18_S1B_S1C_jS1D_jS1E_S1E_jjS1G_bEUljE0_EEESZ_S10_S11_S18_S1C_S1E_T6_T7_T9_mT8_S1G_bDpT10_ENKUlT_T0_E_clISt17integral_constantIbLb0EES1T_IbLb1EEEEDaS1P_S1Q_EUlS1P_E_NS1_11comp_targetILNS1_3genE4ELNS1_11target_archE910ELNS1_3gpuE8ELNS1_3repE0EEENS1_30default_config_static_selectorELNS0_4arch9wavefront6targetE0EEEvS12_.uses_vcc, 0
	.set _ZN7rocprim17ROCPRIM_400000_NS6detail17trampoline_kernelINS0_13select_configILj256ELj13ELNS0_17block_load_methodE3ELS4_3ELS4_3ELNS0_20block_scan_algorithmE0ELj4294967295EEENS1_25partition_config_selectorILNS1_17partition_subalgoE4EjNS0_10empty_typeEbEEZZNS1_14partition_implILS8_4ELb0ES6_15HIP_vector_typeIjLj2EENS0_17counting_iteratorIjlEEPS9_SG_NS0_5tupleIJPjSI_NS0_16reverse_iteratorISI_EEEEENSH_IJSG_SG_SG_EEES9_SI_JZNS1_25segmented_radix_sort_implINS0_14default_configELb1EPKiPiPKlPlN2at6native12_GLOBAL__N_18offset_tEEE10hipError_tPvRmT1_PNSt15iterator_traitsIS12_E10value_typeET2_T3_PNS13_IS18_E10value_typeET4_jRbjT5_S1E_jjP12ihipStream_tbEUljE_ZNSN_ISO_Lb1ESQ_SR_ST_SU_SY_EESZ_S10_S11_S12_S16_S17_S18_S1B_S1C_jS1D_jS1E_S1E_jjS1G_bEUljE0_EEESZ_S10_S11_S18_S1C_S1E_T6_T7_T9_mT8_S1G_bDpT10_ENKUlT_T0_E_clISt17integral_constantIbLb0EES1T_IbLb1EEEEDaS1P_S1Q_EUlS1P_E_NS1_11comp_targetILNS1_3genE4ELNS1_11target_archE910ELNS1_3gpuE8ELNS1_3repE0EEENS1_30default_config_static_selectorELNS0_4arch9wavefront6targetE0EEEvS12_.uses_flat_scratch, 0
	.set _ZN7rocprim17ROCPRIM_400000_NS6detail17trampoline_kernelINS0_13select_configILj256ELj13ELNS0_17block_load_methodE3ELS4_3ELS4_3ELNS0_20block_scan_algorithmE0ELj4294967295EEENS1_25partition_config_selectorILNS1_17partition_subalgoE4EjNS0_10empty_typeEbEEZZNS1_14partition_implILS8_4ELb0ES6_15HIP_vector_typeIjLj2EENS0_17counting_iteratorIjlEEPS9_SG_NS0_5tupleIJPjSI_NS0_16reverse_iteratorISI_EEEEENSH_IJSG_SG_SG_EEES9_SI_JZNS1_25segmented_radix_sort_implINS0_14default_configELb1EPKiPiPKlPlN2at6native12_GLOBAL__N_18offset_tEEE10hipError_tPvRmT1_PNSt15iterator_traitsIS12_E10value_typeET2_T3_PNS13_IS18_E10value_typeET4_jRbjT5_S1E_jjP12ihipStream_tbEUljE_ZNSN_ISO_Lb1ESQ_SR_ST_SU_SY_EESZ_S10_S11_S12_S16_S17_S18_S1B_S1C_jS1D_jS1E_S1E_jjS1G_bEUljE0_EEESZ_S10_S11_S18_S1C_S1E_T6_T7_T9_mT8_S1G_bDpT10_ENKUlT_T0_E_clISt17integral_constantIbLb0EES1T_IbLb1EEEEDaS1P_S1Q_EUlS1P_E_NS1_11comp_targetILNS1_3genE4ELNS1_11target_archE910ELNS1_3gpuE8ELNS1_3repE0EEENS1_30default_config_static_selectorELNS0_4arch9wavefront6targetE0EEEvS12_.has_dyn_sized_stack, 0
	.set _ZN7rocprim17ROCPRIM_400000_NS6detail17trampoline_kernelINS0_13select_configILj256ELj13ELNS0_17block_load_methodE3ELS4_3ELS4_3ELNS0_20block_scan_algorithmE0ELj4294967295EEENS1_25partition_config_selectorILNS1_17partition_subalgoE4EjNS0_10empty_typeEbEEZZNS1_14partition_implILS8_4ELb0ES6_15HIP_vector_typeIjLj2EENS0_17counting_iteratorIjlEEPS9_SG_NS0_5tupleIJPjSI_NS0_16reverse_iteratorISI_EEEEENSH_IJSG_SG_SG_EEES9_SI_JZNS1_25segmented_radix_sort_implINS0_14default_configELb1EPKiPiPKlPlN2at6native12_GLOBAL__N_18offset_tEEE10hipError_tPvRmT1_PNSt15iterator_traitsIS12_E10value_typeET2_T3_PNS13_IS18_E10value_typeET4_jRbjT5_S1E_jjP12ihipStream_tbEUljE_ZNSN_ISO_Lb1ESQ_SR_ST_SU_SY_EESZ_S10_S11_S12_S16_S17_S18_S1B_S1C_jS1D_jS1E_S1E_jjS1G_bEUljE0_EEESZ_S10_S11_S18_S1C_S1E_T6_T7_T9_mT8_S1G_bDpT10_ENKUlT_T0_E_clISt17integral_constantIbLb0EES1T_IbLb1EEEEDaS1P_S1Q_EUlS1P_E_NS1_11comp_targetILNS1_3genE4ELNS1_11target_archE910ELNS1_3gpuE8ELNS1_3repE0EEENS1_30default_config_static_selectorELNS0_4arch9wavefront6targetE0EEEvS12_.has_recursion, 0
	.set _ZN7rocprim17ROCPRIM_400000_NS6detail17trampoline_kernelINS0_13select_configILj256ELj13ELNS0_17block_load_methodE3ELS4_3ELS4_3ELNS0_20block_scan_algorithmE0ELj4294967295EEENS1_25partition_config_selectorILNS1_17partition_subalgoE4EjNS0_10empty_typeEbEEZZNS1_14partition_implILS8_4ELb0ES6_15HIP_vector_typeIjLj2EENS0_17counting_iteratorIjlEEPS9_SG_NS0_5tupleIJPjSI_NS0_16reverse_iteratorISI_EEEEENSH_IJSG_SG_SG_EEES9_SI_JZNS1_25segmented_radix_sort_implINS0_14default_configELb1EPKiPiPKlPlN2at6native12_GLOBAL__N_18offset_tEEE10hipError_tPvRmT1_PNSt15iterator_traitsIS12_E10value_typeET2_T3_PNS13_IS18_E10value_typeET4_jRbjT5_S1E_jjP12ihipStream_tbEUljE_ZNSN_ISO_Lb1ESQ_SR_ST_SU_SY_EESZ_S10_S11_S12_S16_S17_S18_S1B_S1C_jS1D_jS1E_S1E_jjS1G_bEUljE0_EEESZ_S10_S11_S18_S1C_S1E_T6_T7_T9_mT8_S1G_bDpT10_ENKUlT_T0_E_clISt17integral_constantIbLb0EES1T_IbLb1EEEEDaS1P_S1Q_EUlS1P_E_NS1_11comp_targetILNS1_3genE4ELNS1_11target_archE910ELNS1_3gpuE8ELNS1_3repE0EEENS1_30default_config_static_selectorELNS0_4arch9wavefront6targetE0EEEvS12_.has_indirect_call, 0
	.section	.AMDGPU.csdata,"",@progbits
; Kernel info:
; codeLenInByte = 0
; TotalNumSgprs: 0
; NumVgprs: 0
; ScratchSize: 0
; MemoryBound: 0
; FloatMode: 240
; IeeeMode: 1
; LDSByteSize: 0 bytes/workgroup (compile time only)
; SGPRBlocks: 0
; VGPRBlocks: 0
; NumSGPRsForWavesPerEU: 1
; NumVGPRsForWavesPerEU: 1
; NamedBarCnt: 0
; Occupancy: 16
; WaveLimiterHint : 0
; COMPUTE_PGM_RSRC2:SCRATCH_EN: 0
; COMPUTE_PGM_RSRC2:USER_SGPR: 2
; COMPUTE_PGM_RSRC2:TRAP_HANDLER: 0
; COMPUTE_PGM_RSRC2:TGID_X_EN: 1
; COMPUTE_PGM_RSRC2:TGID_Y_EN: 0
; COMPUTE_PGM_RSRC2:TGID_Z_EN: 0
; COMPUTE_PGM_RSRC2:TIDIG_COMP_CNT: 0
	.section	.text._ZN7rocprim17ROCPRIM_400000_NS6detail17trampoline_kernelINS0_13select_configILj256ELj13ELNS0_17block_load_methodE3ELS4_3ELS4_3ELNS0_20block_scan_algorithmE0ELj4294967295EEENS1_25partition_config_selectorILNS1_17partition_subalgoE4EjNS0_10empty_typeEbEEZZNS1_14partition_implILS8_4ELb0ES6_15HIP_vector_typeIjLj2EENS0_17counting_iteratorIjlEEPS9_SG_NS0_5tupleIJPjSI_NS0_16reverse_iteratorISI_EEEEENSH_IJSG_SG_SG_EEES9_SI_JZNS1_25segmented_radix_sort_implINS0_14default_configELb1EPKiPiPKlPlN2at6native12_GLOBAL__N_18offset_tEEE10hipError_tPvRmT1_PNSt15iterator_traitsIS12_E10value_typeET2_T3_PNS13_IS18_E10value_typeET4_jRbjT5_S1E_jjP12ihipStream_tbEUljE_ZNSN_ISO_Lb1ESQ_SR_ST_SU_SY_EESZ_S10_S11_S12_S16_S17_S18_S1B_S1C_jS1D_jS1E_S1E_jjS1G_bEUljE0_EEESZ_S10_S11_S18_S1C_S1E_T6_T7_T9_mT8_S1G_bDpT10_ENKUlT_T0_E_clISt17integral_constantIbLb0EES1T_IbLb1EEEEDaS1P_S1Q_EUlS1P_E_NS1_11comp_targetILNS1_3genE3ELNS1_11target_archE908ELNS1_3gpuE7ELNS1_3repE0EEENS1_30default_config_static_selectorELNS0_4arch9wavefront6targetE0EEEvS12_,"axG",@progbits,_ZN7rocprim17ROCPRIM_400000_NS6detail17trampoline_kernelINS0_13select_configILj256ELj13ELNS0_17block_load_methodE3ELS4_3ELS4_3ELNS0_20block_scan_algorithmE0ELj4294967295EEENS1_25partition_config_selectorILNS1_17partition_subalgoE4EjNS0_10empty_typeEbEEZZNS1_14partition_implILS8_4ELb0ES6_15HIP_vector_typeIjLj2EENS0_17counting_iteratorIjlEEPS9_SG_NS0_5tupleIJPjSI_NS0_16reverse_iteratorISI_EEEEENSH_IJSG_SG_SG_EEES9_SI_JZNS1_25segmented_radix_sort_implINS0_14default_configELb1EPKiPiPKlPlN2at6native12_GLOBAL__N_18offset_tEEE10hipError_tPvRmT1_PNSt15iterator_traitsIS12_E10value_typeET2_T3_PNS13_IS18_E10value_typeET4_jRbjT5_S1E_jjP12ihipStream_tbEUljE_ZNSN_ISO_Lb1ESQ_SR_ST_SU_SY_EESZ_S10_S11_S12_S16_S17_S18_S1B_S1C_jS1D_jS1E_S1E_jjS1G_bEUljE0_EEESZ_S10_S11_S18_S1C_S1E_T6_T7_T9_mT8_S1G_bDpT10_ENKUlT_T0_E_clISt17integral_constantIbLb0EES1T_IbLb1EEEEDaS1P_S1Q_EUlS1P_E_NS1_11comp_targetILNS1_3genE3ELNS1_11target_archE908ELNS1_3gpuE7ELNS1_3repE0EEENS1_30default_config_static_selectorELNS0_4arch9wavefront6targetE0EEEvS12_,comdat
	.globl	_ZN7rocprim17ROCPRIM_400000_NS6detail17trampoline_kernelINS0_13select_configILj256ELj13ELNS0_17block_load_methodE3ELS4_3ELS4_3ELNS0_20block_scan_algorithmE0ELj4294967295EEENS1_25partition_config_selectorILNS1_17partition_subalgoE4EjNS0_10empty_typeEbEEZZNS1_14partition_implILS8_4ELb0ES6_15HIP_vector_typeIjLj2EENS0_17counting_iteratorIjlEEPS9_SG_NS0_5tupleIJPjSI_NS0_16reverse_iteratorISI_EEEEENSH_IJSG_SG_SG_EEES9_SI_JZNS1_25segmented_radix_sort_implINS0_14default_configELb1EPKiPiPKlPlN2at6native12_GLOBAL__N_18offset_tEEE10hipError_tPvRmT1_PNSt15iterator_traitsIS12_E10value_typeET2_T3_PNS13_IS18_E10value_typeET4_jRbjT5_S1E_jjP12ihipStream_tbEUljE_ZNSN_ISO_Lb1ESQ_SR_ST_SU_SY_EESZ_S10_S11_S12_S16_S17_S18_S1B_S1C_jS1D_jS1E_S1E_jjS1G_bEUljE0_EEESZ_S10_S11_S18_S1C_S1E_T6_T7_T9_mT8_S1G_bDpT10_ENKUlT_T0_E_clISt17integral_constantIbLb0EES1T_IbLb1EEEEDaS1P_S1Q_EUlS1P_E_NS1_11comp_targetILNS1_3genE3ELNS1_11target_archE908ELNS1_3gpuE7ELNS1_3repE0EEENS1_30default_config_static_selectorELNS0_4arch9wavefront6targetE0EEEvS12_ ; -- Begin function _ZN7rocprim17ROCPRIM_400000_NS6detail17trampoline_kernelINS0_13select_configILj256ELj13ELNS0_17block_load_methodE3ELS4_3ELS4_3ELNS0_20block_scan_algorithmE0ELj4294967295EEENS1_25partition_config_selectorILNS1_17partition_subalgoE4EjNS0_10empty_typeEbEEZZNS1_14partition_implILS8_4ELb0ES6_15HIP_vector_typeIjLj2EENS0_17counting_iteratorIjlEEPS9_SG_NS0_5tupleIJPjSI_NS0_16reverse_iteratorISI_EEEEENSH_IJSG_SG_SG_EEES9_SI_JZNS1_25segmented_radix_sort_implINS0_14default_configELb1EPKiPiPKlPlN2at6native12_GLOBAL__N_18offset_tEEE10hipError_tPvRmT1_PNSt15iterator_traitsIS12_E10value_typeET2_T3_PNS13_IS18_E10value_typeET4_jRbjT5_S1E_jjP12ihipStream_tbEUljE_ZNSN_ISO_Lb1ESQ_SR_ST_SU_SY_EESZ_S10_S11_S12_S16_S17_S18_S1B_S1C_jS1D_jS1E_S1E_jjS1G_bEUljE0_EEESZ_S10_S11_S18_S1C_S1E_T6_T7_T9_mT8_S1G_bDpT10_ENKUlT_T0_E_clISt17integral_constantIbLb0EES1T_IbLb1EEEEDaS1P_S1Q_EUlS1P_E_NS1_11comp_targetILNS1_3genE3ELNS1_11target_archE908ELNS1_3gpuE7ELNS1_3repE0EEENS1_30default_config_static_selectorELNS0_4arch9wavefront6targetE0EEEvS12_
	.p2align	8
	.type	_ZN7rocprim17ROCPRIM_400000_NS6detail17trampoline_kernelINS0_13select_configILj256ELj13ELNS0_17block_load_methodE3ELS4_3ELS4_3ELNS0_20block_scan_algorithmE0ELj4294967295EEENS1_25partition_config_selectorILNS1_17partition_subalgoE4EjNS0_10empty_typeEbEEZZNS1_14partition_implILS8_4ELb0ES6_15HIP_vector_typeIjLj2EENS0_17counting_iteratorIjlEEPS9_SG_NS0_5tupleIJPjSI_NS0_16reverse_iteratorISI_EEEEENSH_IJSG_SG_SG_EEES9_SI_JZNS1_25segmented_radix_sort_implINS0_14default_configELb1EPKiPiPKlPlN2at6native12_GLOBAL__N_18offset_tEEE10hipError_tPvRmT1_PNSt15iterator_traitsIS12_E10value_typeET2_T3_PNS13_IS18_E10value_typeET4_jRbjT5_S1E_jjP12ihipStream_tbEUljE_ZNSN_ISO_Lb1ESQ_SR_ST_SU_SY_EESZ_S10_S11_S12_S16_S17_S18_S1B_S1C_jS1D_jS1E_S1E_jjS1G_bEUljE0_EEESZ_S10_S11_S18_S1C_S1E_T6_T7_T9_mT8_S1G_bDpT10_ENKUlT_T0_E_clISt17integral_constantIbLb0EES1T_IbLb1EEEEDaS1P_S1Q_EUlS1P_E_NS1_11comp_targetILNS1_3genE3ELNS1_11target_archE908ELNS1_3gpuE7ELNS1_3repE0EEENS1_30default_config_static_selectorELNS0_4arch9wavefront6targetE0EEEvS12_,@function
_ZN7rocprim17ROCPRIM_400000_NS6detail17trampoline_kernelINS0_13select_configILj256ELj13ELNS0_17block_load_methodE3ELS4_3ELS4_3ELNS0_20block_scan_algorithmE0ELj4294967295EEENS1_25partition_config_selectorILNS1_17partition_subalgoE4EjNS0_10empty_typeEbEEZZNS1_14partition_implILS8_4ELb0ES6_15HIP_vector_typeIjLj2EENS0_17counting_iteratorIjlEEPS9_SG_NS0_5tupleIJPjSI_NS0_16reverse_iteratorISI_EEEEENSH_IJSG_SG_SG_EEES9_SI_JZNS1_25segmented_radix_sort_implINS0_14default_configELb1EPKiPiPKlPlN2at6native12_GLOBAL__N_18offset_tEEE10hipError_tPvRmT1_PNSt15iterator_traitsIS12_E10value_typeET2_T3_PNS13_IS18_E10value_typeET4_jRbjT5_S1E_jjP12ihipStream_tbEUljE_ZNSN_ISO_Lb1ESQ_SR_ST_SU_SY_EESZ_S10_S11_S12_S16_S17_S18_S1B_S1C_jS1D_jS1E_S1E_jjS1G_bEUljE0_EEESZ_S10_S11_S18_S1C_S1E_T6_T7_T9_mT8_S1G_bDpT10_ENKUlT_T0_E_clISt17integral_constantIbLb0EES1T_IbLb1EEEEDaS1P_S1Q_EUlS1P_E_NS1_11comp_targetILNS1_3genE3ELNS1_11target_archE908ELNS1_3gpuE7ELNS1_3repE0EEENS1_30default_config_static_selectorELNS0_4arch9wavefront6targetE0EEEvS12_: ; @_ZN7rocprim17ROCPRIM_400000_NS6detail17trampoline_kernelINS0_13select_configILj256ELj13ELNS0_17block_load_methodE3ELS4_3ELS4_3ELNS0_20block_scan_algorithmE0ELj4294967295EEENS1_25partition_config_selectorILNS1_17partition_subalgoE4EjNS0_10empty_typeEbEEZZNS1_14partition_implILS8_4ELb0ES6_15HIP_vector_typeIjLj2EENS0_17counting_iteratorIjlEEPS9_SG_NS0_5tupleIJPjSI_NS0_16reverse_iteratorISI_EEEEENSH_IJSG_SG_SG_EEES9_SI_JZNS1_25segmented_radix_sort_implINS0_14default_configELb1EPKiPiPKlPlN2at6native12_GLOBAL__N_18offset_tEEE10hipError_tPvRmT1_PNSt15iterator_traitsIS12_E10value_typeET2_T3_PNS13_IS18_E10value_typeET4_jRbjT5_S1E_jjP12ihipStream_tbEUljE_ZNSN_ISO_Lb1ESQ_SR_ST_SU_SY_EESZ_S10_S11_S12_S16_S17_S18_S1B_S1C_jS1D_jS1E_S1E_jjS1G_bEUljE0_EEESZ_S10_S11_S18_S1C_S1E_T6_T7_T9_mT8_S1G_bDpT10_ENKUlT_T0_E_clISt17integral_constantIbLb0EES1T_IbLb1EEEEDaS1P_S1Q_EUlS1P_E_NS1_11comp_targetILNS1_3genE3ELNS1_11target_archE908ELNS1_3gpuE7ELNS1_3repE0EEENS1_30default_config_static_selectorELNS0_4arch9wavefront6targetE0EEEvS12_
; %bb.0:
	.section	.rodata,"a",@progbits
	.p2align	6, 0x0
	.amdhsa_kernel _ZN7rocprim17ROCPRIM_400000_NS6detail17trampoline_kernelINS0_13select_configILj256ELj13ELNS0_17block_load_methodE3ELS4_3ELS4_3ELNS0_20block_scan_algorithmE0ELj4294967295EEENS1_25partition_config_selectorILNS1_17partition_subalgoE4EjNS0_10empty_typeEbEEZZNS1_14partition_implILS8_4ELb0ES6_15HIP_vector_typeIjLj2EENS0_17counting_iteratorIjlEEPS9_SG_NS0_5tupleIJPjSI_NS0_16reverse_iteratorISI_EEEEENSH_IJSG_SG_SG_EEES9_SI_JZNS1_25segmented_radix_sort_implINS0_14default_configELb1EPKiPiPKlPlN2at6native12_GLOBAL__N_18offset_tEEE10hipError_tPvRmT1_PNSt15iterator_traitsIS12_E10value_typeET2_T3_PNS13_IS18_E10value_typeET4_jRbjT5_S1E_jjP12ihipStream_tbEUljE_ZNSN_ISO_Lb1ESQ_SR_ST_SU_SY_EESZ_S10_S11_S12_S16_S17_S18_S1B_S1C_jS1D_jS1E_S1E_jjS1G_bEUljE0_EEESZ_S10_S11_S18_S1C_S1E_T6_T7_T9_mT8_S1G_bDpT10_ENKUlT_T0_E_clISt17integral_constantIbLb0EES1T_IbLb1EEEEDaS1P_S1Q_EUlS1P_E_NS1_11comp_targetILNS1_3genE3ELNS1_11target_archE908ELNS1_3gpuE7ELNS1_3repE0EEENS1_30default_config_static_selectorELNS0_4arch9wavefront6targetE0EEEvS12_
		.amdhsa_group_segment_fixed_size 0
		.amdhsa_private_segment_fixed_size 0
		.amdhsa_kernarg_size 184
		.amdhsa_user_sgpr_count 2
		.amdhsa_user_sgpr_dispatch_ptr 0
		.amdhsa_user_sgpr_queue_ptr 0
		.amdhsa_user_sgpr_kernarg_segment_ptr 1
		.amdhsa_user_sgpr_dispatch_id 0
		.amdhsa_user_sgpr_kernarg_preload_length 0
		.amdhsa_user_sgpr_kernarg_preload_offset 0
		.amdhsa_user_sgpr_private_segment_size 0
		.amdhsa_wavefront_size32 1
		.amdhsa_uses_dynamic_stack 0
		.amdhsa_enable_private_segment 0
		.amdhsa_system_sgpr_workgroup_id_x 1
		.amdhsa_system_sgpr_workgroup_id_y 0
		.amdhsa_system_sgpr_workgroup_id_z 0
		.amdhsa_system_sgpr_workgroup_info 0
		.amdhsa_system_vgpr_workitem_id 0
		.amdhsa_next_free_vgpr 1
		.amdhsa_next_free_sgpr 1
		.amdhsa_named_barrier_count 0
		.amdhsa_reserve_vcc 0
		.amdhsa_float_round_mode_32 0
		.amdhsa_float_round_mode_16_64 0
		.amdhsa_float_denorm_mode_32 3
		.amdhsa_float_denorm_mode_16_64 3
		.amdhsa_fp16_overflow 0
		.amdhsa_memory_ordered 1
		.amdhsa_forward_progress 1
		.amdhsa_inst_pref_size 0
		.amdhsa_round_robin_scheduling 0
		.amdhsa_exception_fp_ieee_invalid_op 0
		.amdhsa_exception_fp_denorm_src 0
		.amdhsa_exception_fp_ieee_div_zero 0
		.amdhsa_exception_fp_ieee_overflow 0
		.amdhsa_exception_fp_ieee_underflow 0
		.amdhsa_exception_fp_ieee_inexact 0
		.amdhsa_exception_int_div_zero 0
	.end_amdhsa_kernel
	.section	.text._ZN7rocprim17ROCPRIM_400000_NS6detail17trampoline_kernelINS0_13select_configILj256ELj13ELNS0_17block_load_methodE3ELS4_3ELS4_3ELNS0_20block_scan_algorithmE0ELj4294967295EEENS1_25partition_config_selectorILNS1_17partition_subalgoE4EjNS0_10empty_typeEbEEZZNS1_14partition_implILS8_4ELb0ES6_15HIP_vector_typeIjLj2EENS0_17counting_iteratorIjlEEPS9_SG_NS0_5tupleIJPjSI_NS0_16reverse_iteratorISI_EEEEENSH_IJSG_SG_SG_EEES9_SI_JZNS1_25segmented_radix_sort_implINS0_14default_configELb1EPKiPiPKlPlN2at6native12_GLOBAL__N_18offset_tEEE10hipError_tPvRmT1_PNSt15iterator_traitsIS12_E10value_typeET2_T3_PNS13_IS18_E10value_typeET4_jRbjT5_S1E_jjP12ihipStream_tbEUljE_ZNSN_ISO_Lb1ESQ_SR_ST_SU_SY_EESZ_S10_S11_S12_S16_S17_S18_S1B_S1C_jS1D_jS1E_S1E_jjS1G_bEUljE0_EEESZ_S10_S11_S18_S1C_S1E_T6_T7_T9_mT8_S1G_bDpT10_ENKUlT_T0_E_clISt17integral_constantIbLb0EES1T_IbLb1EEEEDaS1P_S1Q_EUlS1P_E_NS1_11comp_targetILNS1_3genE3ELNS1_11target_archE908ELNS1_3gpuE7ELNS1_3repE0EEENS1_30default_config_static_selectorELNS0_4arch9wavefront6targetE0EEEvS12_,"axG",@progbits,_ZN7rocprim17ROCPRIM_400000_NS6detail17trampoline_kernelINS0_13select_configILj256ELj13ELNS0_17block_load_methodE3ELS4_3ELS4_3ELNS0_20block_scan_algorithmE0ELj4294967295EEENS1_25partition_config_selectorILNS1_17partition_subalgoE4EjNS0_10empty_typeEbEEZZNS1_14partition_implILS8_4ELb0ES6_15HIP_vector_typeIjLj2EENS0_17counting_iteratorIjlEEPS9_SG_NS0_5tupleIJPjSI_NS0_16reverse_iteratorISI_EEEEENSH_IJSG_SG_SG_EEES9_SI_JZNS1_25segmented_radix_sort_implINS0_14default_configELb1EPKiPiPKlPlN2at6native12_GLOBAL__N_18offset_tEEE10hipError_tPvRmT1_PNSt15iterator_traitsIS12_E10value_typeET2_T3_PNS13_IS18_E10value_typeET4_jRbjT5_S1E_jjP12ihipStream_tbEUljE_ZNSN_ISO_Lb1ESQ_SR_ST_SU_SY_EESZ_S10_S11_S12_S16_S17_S18_S1B_S1C_jS1D_jS1E_S1E_jjS1G_bEUljE0_EEESZ_S10_S11_S18_S1C_S1E_T6_T7_T9_mT8_S1G_bDpT10_ENKUlT_T0_E_clISt17integral_constantIbLb0EES1T_IbLb1EEEEDaS1P_S1Q_EUlS1P_E_NS1_11comp_targetILNS1_3genE3ELNS1_11target_archE908ELNS1_3gpuE7ELNS1_3repE0EEENS1_30default_config_static_selectorELNS0_4arch9wavefront6targetE0EEEvS12_,comdat
.Lfunc_end456:
	.size	_ZN7rocprim17ROCPRIM_400000_NS6detail17trampoline_kernelINS0_13select_configILj256ELj13ELNS0_17block_load_methodE3ELS4_3ELS4_3ELNS0_20block_scan_algorithmE0ELj4294967295EEENS1_25partition_config_selectorILNS1_17partition_subalgoE4EjNS0_10empty_typeEbEEZZNS1_14partition_implILS8_4ELb0ES6_15HIP_vector_typeIjLj2EENS0_17counting_iteratorIjlEEPS9_SG_NS0_5tupleIJPjSI_NS0_16reverse_iteratorISI_EEEEENSH_IJSG_SG_SG_EEES9_SI_JZNS1_25segmented_radix_sort_implINS0_14default_configELb1EPKiPiPKlPlN2at6native12_GLOBAL__N_18offset_tEEE10hipError_tPvRmT1_PNSt15iterator_traitsIS12_E10value_typeET2_T3_PNS13_IS18_E10value_typeET4_jRbjT5_S1E_jjP12ihipStream_tbEUljE_ZNSN_ISO_Lb1ESQ_SR_ST_SU_SY_EESZ_S10_S11_S12_S16_S17_S18_S1B_S1C_jS1D_jS1E_S1E_jjS1G_bEUljE0_EEESZ_S10_S11_S18_S1C_S1E_T6_T7_T9_mT8_S1G_bDpT10_ENKUlT_T0_E_clISt17integral_constantIbLb0EES1T_IbLb1EEEEDaS1P_S1Q_EUlS1P_E_NS1_11comp_targetILNS1_3genE3ELNS1_11target_archE908ELNS1_3gpuE7ELNS1_3repE0EEENS1_30default_config_static_selectorELNS0_4arch9wavefront6targetE0EEEvS12_, .Lfunc_end456-_ZN7rocprim17ROCPRIM_400000_NS6detail17trampoline_kernelINS0_13select_configILj256ELj13ELNS0_17block_load_methodE3ELS4_3ELS4_3ELNS0_20block_scan_algorithmE0ELj4294967295EEENS1_25partition_config_selectorILNS1_17partition_subalgoE4EjNS0_10empty_typeEbEEZZNS1_14partition_implILS8_4ELb0ES6_15HIP_vector_typeIjLj2EENS0_17counting_iteratorIjlEEPS9_SG_NS0_5tupleIJPjSI_NS0_16reverse_iteratorISI_EEEEENSH_IJSG_SG_SG_EEES9_SI_JZNS1_25segmented_radix_sort_implINS0_14default_configELb1EPKiPiPKlPlN2at6native12_GLOBAL__N_18offset_tEEE10hipError_tPvRmT1_PNSt15iterator_traitsIS12_E10value_typeET2_T3_PNS13_IS18_E10value_typeET4_jRbjT5_S1E_jjP12ihipStream_tbEUljE_ZNSN_ISO_Lb1ESQ_SR_ST_SU_SY_EESZ_S10_S11_S12_S16_S17_S18_S1B_S1C_jS1D_jS1E_S1E_jjS1G_bEUljE0_EEESZ_S10_S11_S18_S1C_S1E_T6_T7_T9_mT8_S1G_bDpT10_ENKUlT_T0_E_clISt17integral_constantIbLb0EES1T_IbLb1EEEEDaS1P_S1Q_EUlS1P_E_NS1_11comp_targetILNS1_3genE3ELNS1_11target_archE908ELNS1_3gpuE7ELNS1_3repE0EEENS1_30default_config_static_selectorELNS0_4arch9wavefront6targetE0EEEvS12_
                                        ; -- End function
	.set _ZN7rocprim17ROCPRIM_400000_NS6detail17trampoline_kernelINS0_13select_configILj256ELj13ELNS0_17block_load_methodE3ELS4_3ELS4_3ELNS0_20block_scan_algorithmE0ELj4294967295EEENS1_25partition_config_selectorILNS1_17partition_subalgoE4EjNS0_10empty_typeEbEEZZNS1_14partition_implILS8_4ELb0ES6_15HIP_vector_typeIjLj2EENS0_17counting_iteratorIjlEEPS9_SG_NS0_5tupleIJPjSI_NS0_16reverse_iteratorISI_EEEEENSH_IJSG_SG_SG_EEES9_SI_JZNS1_25segmented_radix_sort_implINS0_14default_configELb1EPKiPiPKlPlN2at6native12_GLOBAL__N_18offset_tEEE10hipError_tPvRmT1_PNSt15iterator_traitsIS12_E10value_typeET2_T3_PNS13_IS18_E10value_typeET4_jRbjT5_S1E_jjP12ihipStream_tbEUljE_ZNSN_ISO_Lb1ESQ_SR_ST_SU_SY_EESZ_S10_S11_S12_S16_S17_S18_S1B_S1C_jS1D_jS1E_S1E_jjS1G_bEUljE0_EEESZ_S10_S11_S18_S1C_S1E_T6_T7_T9_mT8_S1G_bDpT10_ENKUlT_T0_E_clISt17integral_constantIbLb0EES1T_IbLb1EEEEDaS1P_S1Q_EUlS1P_E_NS1_11comp_targetILNS1_3genE3ELNS1_11target_archE908ELNS1_3gpuE7ELNS1_3repE0EEENS1_30default_config_static_selectorELNS0_4arch9wavefront6targetE0EEEvS12_.num_vgpr, 0
	.set _ZN7rocprim17ROCPRIM_400000_NS6detail17trampoline_kernelINS0_13select_configILj256ELj13ELNS0_17block_load_methodE3ELS4_3ELS4_3ELNS0_20block_scan_algorithmE0ELj4294967295EEENS1_25partition_config_selectorILNS1_17partition_subalgoE4EjNS0_10empty_typeEbEEZZNS1_14partition_implILS8_4ELb0ES6_15HIP_vector_typeIjLj2EENS0_17counting_iteratorIjlEEPS9_SG_NS0_5tupleIJPjSI_NS0_16reverse_iteratorISI_EEEEENSH_IJSG_SG_SG_EEES9_SI_JZNS1_25segmented_radix_sort_implINS0_14default_configELb1EPKiPiPKlPlN2at6native12_GLOBAL__N_18offset_tEEE10hipError_tPvRmT1_PNSt15iterator_traitsIS12_E10value_typeET2_T3_PNS13_IS18_E10value_typeET4_jRbjT5_S1E_jjP12ihipStream_tbEUljE_ZNSN_ISO_Lb1ESQ_SR_ST_SU_SY_EESZ_S10_S11_S12_S16_S17_S18_S1B_S1C_jS1D_jS1E_S1E_jjS1G_bEUljE0_EEESZ_S10_S11_S18_S1C_S1E_T6_T7_T9_mT8_S1G_bDpT10_ENKUlT_T0_E_clISt17integral_constantIbLb0EES1T_IbLb1EEEEDaS1P_S1Q_EUlS1P_E_NS1_11comp_targetILNS1_3genE3ELNS1_11target_archE908ELNS1_3gpuE7ELNS1_3repE0EEENS1_30default_config_static_selectorELNS0_4arch9wavefront6targetE0EEEvS12_.num_agpr, 0
	.set _ZN7rocprim17ROCPRIM_400000_NS6detail17trampoline_kernelINS0_13select_configILj256ELj13ELNS0_17block_load_methodE3ELS4_3ELS4_3ELNS0_20block_scan_algorithmE0ELj4294967295EEENS1_25partition_config_selectorILNS1_17partition_subalgoE4EjNS0_10empty_typeEbEEZZNS1_14partition_implILS8_4ELb0ES6_15HIP_vector_typeIjLj2EENS0_17counting_iteratorIjlEEPS9_SG_NS0_5tupleIJPjSI_NS0_16reverse_iteratorISI_EEEEENSH_IJSG_SG_SG_EEES9_SI_JZNS1_25segmented_radix_sort_implINS0_14default_configELb1EPKiPiPKlPlN2at6native12_GLOBAL__N_18offset_tEEE10hipError_tPvRmT1_PNSt15iterator_traitsIS12_E10value_typeET2_T3_PNS13_IS18_E10value_typeET4_jRbjT5_S1E_jjP12ihipStream_tbEUljE_ZNSN_ISO_Lb1ESQ_SR_ST_SU_SY_EESZ_S10_S11_S12_S16_S17_S18_S1B_S1C_jS1D_jS1E_S1E_jjS1G_bEUljE0_EEESZ_S10_S11_S18_S1C_S1E_T6_T7_T9_mT8_S1G_bDpT10_ENKUlT_T0_E_clISt17integral_constantIbLb0EES1T_IbLb1EEEEDaS1P_S1Q_EUlS1P_E_NS1_11comp_targetILNS1_3genE3ELNS1_11target_archE908ELNS1_3gpuE7ELNS1_3repE0EEENS1_30default_config_static_selectorELNS0_4arch9wavefront6targetE0EEEvS12_.numbered_sgpr, 0
	.set _ZN7rocprim17ROCPRIM_400000_NS6detail17trampoline_kernelINS0_13select_configILj256ELj13ELNS0_17block_load_methodE3ELS4_3ELS4_3ELNS0_20block_scan_algorithmE0ELj4294967295EEENS1_25partition_config_selectorILNS1_17partition_subalgoE4EjNS0_10empty_typeEbEEZZNS1_14partition_implILS8_4ELb0ES6_15HIP_vector_typeIjLj2EENS0_17counting_iteratorIjlEEPS9_SG_NS0_5tupleIJPjSI_NS0_16reverse_iteratorISI_EEEEENSH_IJSG_SG_SG_EEES9_SI_JZNS1_25segmented_radix_sort_implINS0_14default_configELb1EPKiPiPKlPlN2at6native12_GLOBAL__N_18offset_tEEE10hipError_tPvRmT1_PNSt15iterator_traitsIS12_E10value_typeET2_T3_PNS13_IS18_E10value_typeET4_jRbjT5_S1E_jjP12ihipStream_tbEUljE_ZNSN_ISO_Lb1ESQ_SR_ST_SU_SY_EESZ_S10_S11_S12_S16_S17_S18_S1B_S1C_jS1D_jS1E_S1E_jjS1G_bEUljE0_EEESZ_S10_S11_S18_S1C_S1E_T6_T7_T9_mT8_S1G_bDpT10_ENKUlT_T0_E_clISt17integral_constantIbLb0EES1T_IbLb1EEEEDaS1P_S1Q_EUlS1P_E_NS1_11comp_targetILNS1_3genE3ELNS1_11target_archE908ELNS1_3gpuE7ELNS1_3repE0EEENS1_30default_config_static_selectorELNS0_4arch9wavefront6targetE0EEEvS12_.num_named_barrier, 0
	.set _ZN7rocprim17ROCPRIM_400000_NS6detail17trampoline_kernelINS0_13select_configILj256ELj13ELNS0_17block_load_methodE3ELS4_3ELS4_3ELNS0_20block_scan_algorithmE0ELj4294967295EEENS1_25partition_config_selectorILNS1_17partition_subalgoE4EjNS0_10empty_typeEbEEZZNS1_14partition_implILS8_4ELb0ES6_15HIP_vector_typeIjLj2EENS0_17counting_iteratorIjlEEPS9_SG_NS0_5tupleIJPjSI_NS0_16reverse_iteratorISI_EEEEENSH_IJSG_SG_SG_EEES9_SI_JZNS1_25segmented_radix_sort_implINS0_14default_configELb1EPKiPiPKlPlN2at6native12_GLOBAL__N_18offset_tEEE10hipError_tPvRmT1_PNSt15iterator_traitsIS12_E10value_typeET2_T3_PNS13_IS18_E10value_typeET4_jRbjT5_S1E_jjP12ihipStream_tbEUljE_ZNSN_ISO_Lb1ESQ_SR_ST_SU_SY_EESZ_S10_S11_S12_S16_S17_S18_S1B_S1C_jS1D_jS1E_S1E_jjS1G_bEUljE0_EEESZ_S10_S11_S18_S1C_S1E_T6_T7_T9_mT8_S1G_bDpT10_ENKUlT_T0_E_clISt17integral_constantIbLb0EES1T_IbLb1EEEEDaS1P_S1Q_EUlS1P_E_NS1_11comp_targetILNS1_3genE3ELNS1_11target_archE908ELNS1_3gpuE7ELNS1_3repE0EEENS1_30default_config_static_selectorELNS0_4arch9wavefront6targetE0EEEvS12_.private_seg_size, 0
	.set _ZN7rocprim17ROCPRIM_400000_NS6detail17trampoline_kernelINS0_13select_configILj256ELj13ELNS0_17block_load_methodE3ELS4_3ELS4_3ELNS0_20block_scan_algorithmE0ELj4294967295EEENS1_25partition_config_selectorILNS1_17partition_subalgoE4EjNS0_10empty_typeEbEEZZNS1_14partition_implILS8_4ELb0ES6_15HIP_vector_typeIjLj2EENS0_17counting_iteratorIjlEEPS9_SG_NS0_5tupleIJPjSI_NS0_16reverse_iteratorISI_EEEEENSH_IJSG_SG_SG_EEES9_SI_JZNS1_25segmented_radix_sort_implINS0_14default_configELb1EPKiPiPKlPlN2at6native12_GLOBAL__N_18offset_tEEE10hipError_tPvRmT1_PNSt15iterator_traitsIS12_E10value_typeET2_T3_PNS13_IS18_E10value_typeET4_jRbjT5_S1E_jjP12ihipStream_tbEUljE_ZNSN_ISO_Lb1ESQ_SR_ST_SU_SY_EESZ_S10_S11_S12_S16_S17_S18_S1B_S1C_jS1D_jS1E_S1E_jjS1G_bEUljE0_EEESZ_S10_S11_S18_S1C_S1E_T6_T7_T9_mT8_S1G_bDpT10_ENKUlT_T0_E_clISt17integral_constantIbLb0EES1T_IbLb1EEEEDaS1P_S1Q_EUlS1P_E_NS1_11comp_targetILNS1_3genE3ELNS1_11target_archE908ELNS1_3gpuE7ELNS1_3repE0EEENS1_30default_config_static_selectorELNS0_4arch9wavefront6targetE0EEEvS12_.uses_vcc, 0
	.set _ZN7rocprim17ROCPRIM_400000_NS6detail17trampoline_kernelINS0_13select_configILj256ELj13ELNS0_17block_load_methodE3ELS4_3ELS4_3ELNS0_20block_scan_algorithmE0ELj4294967295EEENS1_25partition_config_selectorILNS1_17partition_subalgoE4EjNS0_10empty_typeEbEEZZNS1_14partition_implILS8_4ELb0ES6_15HIP_vector_typeIjLj2EENS0_17counting_iteratorIjlEEPS9_SG_NS0_5tupleIJPjSI_NS0_16reverse_iteratorISI_EEEEENSH_IJSG_SG_SG_EEES9_SI_JZNS1_25segmented_radix_sort_implINS0_14default_configELb1EPKiPiPKlPlN2at6native12_GLOBAL__N_18offset_tEEE10hipError_tPvRmT1_PNSt15iterator_traitsIS12_E10value_typeET2_T3_PNS13_IS18_E10value_typeET4_jRbjT5_S1E_jjP12ihipStream_tbEUljE_ZNSN_ISO_Lb1ESQ_SR_ST_SU_SY_EESZ_S10_S11_S12_S16_S17_S18_S1B_S1C_jS1D_jS1E_S1E_jjS1G_bEUljE0_EEESZ_S10_S11_S18_S1C_S1E_T6_T7_T9_mT8_S1G_bDpT10_ENKUlT_T0_E_clISt17integral_constantIbLb0EES1T_IbLb1EEEEDaS1P_S1Q_EUlS1P_E_NS1_11comp_targetILNS1_3genE3ELNS1_11target_archE908ELNS1_3gpuE7ELNS1_3repE0EEENS1_30default_config_static_selectorELNS0_4arch9wavefront6targetE0EEEvS12_.uses_flat_scratch, 0
	.set _ZN7rocprim17ROCPRIM_400000_NS6detail17trampoline_kernelINS0_13select_configILj256ELj13ELNS0_17block_load_methodE3ELS4_3ELS4_3ELNS0_20block_scan_algorithmE0ELj4294967295EEENS1_25partition_config_selectorILNS1_17partition_subalgoE4EjNS0_10empty_typeEbEEZZNS1_14partition_implILS8_4ELb0ES6_15HIP_vector_typeIjLj2EENS0_17counting_iteratorIjlEEPS9_SG_NS0_5tupleIJPjSI_NS0_16reverse_iteratorISI_EEEEENSH_IJSG_SG_SG_EEES9_SI_JZNS1_25segmented_radix_sort_implINS0_14default_configELb1EPKiPiPKlPlN2at6native12_GLOBAL__N_18offset_tEEE10hipError_tPvRmT1_PNSt15iterator_traitsIS12_E10value_typeET2_T3_PNS13_IS18_E10value_typeET4_jRbjT5_S1E_jjP12ihipStream_tbEUljE_ZNSN_ISO_Lb1ESQ_SR_ST_SU_SY_EESZ_S10_S11_S12_S16_S17_S18_S1B_S1C_jS1D_jS1E_S1E_jjS1G_bEUljE0_EEESZ_S10_S11_S18_S1C_S1E_T6_T7_T9_mT8_S1G_bDpT10_ENKUlT_T0_E_clISt17integral_constantIbLb0EES1T_IbLb1EEEEDaS1P_S1Q_EUlS1P_E_NS1_11comp_targetILNS1_3genE3ELNS1_11target_archE908ELNS1_3gpuE7ELNS1_3repE0EEENS1_30default_config_static_selectorELNS0_4arch9wavefront6targetE0EEEvS12_.has_dyn_sized_stack, 0
	.set _ZN7rocprim17ROCPRIM_400000_NS6detail17trampoline_kernelINS0_13select_configILj256ELj13ELNS0_17block_load_methodE3ELS4_3ELS4_3ELNS0_20block_scan_algorithmE0ELj4294967295EEENS1_25partition_config_selectorILNS1_17partition_subalgoE4EjNS0_10empty_typeEbEEZZNS1_14partition_implILS8_4ELb0ES6_15HIP_vector_typeIjLj2EENS0_17counting_iteratorIjlEEPS9_SG_NS0_5tupleIJPjSI_NS0_16reverse_iteratorISI_EEEEENSH_IJSG_SG_SG_EEES9_SI_JZNS1_25segmented_radix_sort_implINS0_14default_configELb1EPKiPiPKlPlN2at6native12_GLOBAL__N_18offset_tEEE10hipError_tPvRmT1_PNSt15iterator_traitsIS12_E10value_typeET2_T3_PNS13_IS18_E10value_typeET4_jRbjT5_S1E_jjP12ihipStream_tbEUljE_ZNSN_ISO_Lb1ESQ_SR_ST_SU_SY_EESZ_S10_S11_S12_S16_S17_S18_S1B_S1C_jS1D_jS1E_S1E_jjS1G_bEUljE0_EEESZ_S10_S11_S18_S1C_S1E_T6_T7_T9_mT8_S1G_bDpT10_ENKUlT_T0_E_clISt17integral_constantIbLb0EES1T_IbLb1EEEEDaS1P_S1Q_EUlS1P_E_NS1_11comp_targetILNS1_3genE3ELNS1_11target_archE908ELNS1_3gpuE7ELNS1_3repE0EEENS1_30default_config_static_selectorELNS0_4arch9wavefront6targetE0EEEvS12_.has_recursion, 0
	.set _ZN7rocprim17ROCPRIM_400000_NS6detail17trampoline_kernelINS0_13select_configILj256ELj13ELNS0_17block_load_methodE3ELS4_3ELS4_3ELNS0_20block_scan_algorithmE0ELj4294967295EEENS1_25partition_config_selectorILNS1_17partition_subalgoE4EjNS0_10empty_typeEbEEZZNS1_14partition_implILS8_4ELb0ES6_15HIP_vector_typeIjLj2EENS0_17counting_iteratorIjlEEPS9_SG_NS0_5tupleIJPjSI_NS0_16reverse_iteratorISI_EEEEENSH_IJSG_SG_SG_EEES9_SI_JZNS1_25segmented_radix_sort_implINS0_14default_configELb1EPKiPiPKlPlN2at6native12_GLOBAL__N_18offset_tEEE10hipError_tPvRmT1_PNSt15iterator_traitsIS12_E10value_typeET2_T3_PNS13_IS18_E10value_typeET4_jRbjT5_S1E_jjP12ihipStream_tbEUljE_ZNSN_ISO_Lb1ESQ_SR_ST_SU_SY_EESZ_S10_S11_S12_S16_S17_S18_S1B_S1C_jS1D_jS1E_S1E_jjS1G_bEUljE0_EEESZ_S10_S11_S18_S1C_S1E_T6_T7_T9_mT8_S1G_bDpT10_ENKUlT_T0_E_clISt17integral_constantIbLb0EES1T_IbLb1EEEEDaS1P_S1Q_EUlS1P_E_NS1_11comp_targetILNS1_3genE3ELNS1_11target_archE908ELNS1_3gpuE7ELNS1_3repE0EEENS1_30default_config_static_selectorELNS0_4arch9wavefront6targetE0EEEvS12_.has_indirect_call, 0
	.section	.AMDGPU.csdata,"",@progbits
; Kernel info:
; codeLenInByte = 0
; TotalNumSgprs: 0
; NumVgprs: 0
; ScratchSize: 0
; MemoryBound: 0
; FloatMode: 240
; IeeeMode: 1
; LDSByteSize: 0 bytes/workgroup (compile time only)
; SGPRBlocks: 0
; VGPRBlocks: 0
; NumSGPRsForWavesPerEU: 1
; NumVGPRsForWavesPerEU: 1
; NamedBarCnt: 0
; Occupancy: 16
; WaveLimiterHint : 0
; COMPUTE_PGM_RSRC2:SCRATCH_EN: 0
; COMPUTE_PGM_RSRC2:USER_SGPR: 2
; COMPUTE_PGM_RSRC2:TRAP_HANDLER: 0
; COMPUTE_PGM_RSRC2:TGID_X_EN: 1
; COMPUTE_PGM_RSRC2:TGID_Y_EN: 0
; COMPUTE_PGM_RSRC2:TGID_Z_EN: 0
; COMPUTE_PGM_RSRC2:TIDIG_COMP_CNT: 0
	.section	.text._ZN7rocprim17ROCPRIM_400000_NS6detail17trampoline_kernelINS0_13select_configILj256ELj13ELNS0_17block_load_methodE3ELS4_3ELS4_3ELNS0_20block_scan_algorithmE0ELj4294967295EEENS1_25partition_config_selectorILNS1_17partition_subalgoE4EjNS0_10empty_typeEbEEZZNS1_14partition_implILS8_4ELb0ES6_15HIP_vector_typeIjLj2EENS0_17counting_iteratorIjlEEPS9_SG_NS0_5tupleIJPjSI_NS0_16reverse_iteratorISI_EEEEENSH_IJSG_SG_SG_EEES9_SI_JZNS1_25segmented_radix_sort_implINS0_14default_configELb1EPKiPiPKlPlN2at6native12_GLOBAL__N_18offset_tEEE10hipError_tPvRmT1_PNSt15iterator_traitsIS12_E10value_typeET2_T3_PNS13_IS18_E10value_typeET4_jRbjT5_S1E_jjP12ihipStream_tbEUljE_ZNSN_ISO_Lb1ESQ_SR_ST_SU_SY_EESZ_S10_S11_S12_S16_S17_S18_S1B_S1C_jS1D_jS1E_S1E_jjS1G_bEUljE0_EEESZ_S10_S11_S18_S1C_S1E_T6_T7_T9_mT8_S1G_bDpT10_ENKUlT_T0_E_clISt17integral_constantIbLb0EES1T_IbLb1EEEEDaS1P_S1Q_EUlS1P_E_NS1_11comp_targetILNS1_3genE2ELNS1_11target_archE906ELNS1_3gpuE6ELNS1_3repE0EEENS1_30default_config_static_selectorELNS0_4arch9wavefront6targetE0EEEvS12_,"axG",@progbits,_ZN7rocprim17ROCPRIM_400000_NS6detail17trampoline_kernelINS0_13select_configILj256ELj13ELNS0_17block_load_methodE3ELS4_3ELS4_3ELNS0_20block_scan_algorithmE0ELj4294967295EEENS1_25partition_config_selectorILNS1_17partition_subalgoE4EjNS0_10empty_typeEbEEZZNS1_14partition_implILS8_4ELb0ES6_15HIP_vector_typeIjLj2EENS0_17counting_iteratorIjlEEPS9_SG_NS0_5tupleIJPjSI_NS0_16reverse_iteratorISI_EEEEENSH_IJSG_SG_SG_EEES9_SI_JZNS1_25segmented_radix_sort_implINS0_14default_configELb1EPKiPiPKlPlN2at6native12_GLOBAL__N_18offset_tEEE10hipError_tPvRmT1_PNSt15iterator_traitsIS12_E10value_typeET2_T3_PNS13_IS18_E10value_typeET4_jRbjT5_S1E_jjP12ihipStream_tbEUljE_ZNSN_ISO_Lb1ESQ_SR_ST_SU_SY_EESZ_S10_S11_S12_S16_S17_S18_S1B_S1C_jS1D_jS1E_S1E_jjS1G_bEUljE0_EEESZ_S10_S11_S18_S1C_S1E_T6_T7_T9_mT8_S1G_bDpT10_ENKUlT_T0_E_clISt17integral_constantIbLb0EES1T_IbLb1EEEEDaS1P_S1Q_EUlS1P_E_NS1_11comp_targetILNS1_3genE2ELNS1_11target_archE906ELNS1_3gpuE6ELNS1_3repE0EEENS1_30default_config_static_selectorELNS0_4arch9wavefront6targetE0EEEvS12_,comdat
	.globl	_ZN7rocprim17ROCPRIM_400000_NS6detail17trampoline_kernelINS0_13select_configILj256ELj13ELNS0_17block_load_methodE3ELS4_3ELS4_3ELNS0_20block_scan_algorithmE0ELj4294967295EEENS1_25partition_config_selectorILNS1_17partition_subalgoE4EjNS0_10empty_typeEbEEZZNS1_14partition_implILS8_4ELb0ES6_15HIP_vector_typeIjLj2EENS0_17counting_iteratorIjlEEPS9_SG_NS0_5tupleIJPjSI_NS0_16reverse_iteratorISI_EEEEENSH_IJSG_SG_SG_EEES9_SI_JZNS1_25segmented_radix_sort_implINS0_14default_configELb1EPKiPiPKlPlN2at6native12_GLOBAL__N_18offset_tEEE10hipError_tPvRmT1_PNSt15iterator_traitsIS12_E10value_typeET2_T3_PNS13_IS18_E10value_typeET4_jRbjT5_S1E_jjP12ihipStream_tbEUljE_ZNSN_ISO_Lb1ESQ_SR_ST_SU_SY_EESZ_S10_S11_S12_S16_S17_S18_S1B_S1C_jS1D_jS1E_S1E_jjS1G_bEUljE0_EEESZ_S10_S11_S18_S1C_S1E_T6_T7_T9_mT8_S1G_bDpT10_ENKUlT_T0_E_clISt17integral_constantIbLb0EES1T_IbLb1EEEEDaS1P_S1Q_EUlS1P_E_NS1_11comp_targetILNS1_3genE2ELNS1_11target_archE906ELNS1_3gpuE6ELNS1_3repE0EEENS1_30default_config_static_selectorELNS0_4arch9wavefront6targetE0EEEvS12_ ; -- Begin function _ZN7rocprim17ROCPRIM_400000_NS6detail17trampoline_kernelINS0_13select_configILj256ELj13ELNS0_17block_load_methodE3ELS4_3ELS4_3ELNS0_20block_scan_algorithmE0ELj4294967295EEENS1_25partition_config_selectorILNS1_17partition_subalgoE4EjNS0_10empty_typeEbEEZZNS1_14partition_implILS8_4ELb0ES6_15HIP_vector_typeIjLj2EENS0_17counting_iteratorIjlEEPS9_SG_NS0_5tupleIJPjSI_NS0_16reverse_iteratorISI_EEEEENSH_IJSG_SG_SG_EEES9_SI_JZNS1_25segmented_radix_sort_implINS0_14default_configELb1EPKiPiPKlPlN2at6native12_GLOBAL__N_18offset_tEEE10hipError_tPvRmT1_PNSt15iterator_traitsIS12_E10value_typeET2_T3_PNS13_IS18_E10value_typeET4_jRbjT5_S1E_jjP12ihipStream_tbEUljE_ZNSN_ISO_Lb1ESQ_SR_ST_SU_SY_EESZ_S10_S11_S12_S16_S17_S18_S1B_S1C_jS1D_jS1E_S1E_jjS1G_bEUljE0_EEESZ_S10_S11_S18_S1C_S1E_T6_T7_T9_mT8_S1G_bDpT10_ENKUlT_T0_E_clISt17integral_constantIbLb0EES1T_IbLb1EEEEDaS1P_S1Q_EUlS1P_E_NS1_11comp_targetILNS1_3genE2ELNS1_11target_archE906ELNS1_3gpuE6ELNS1_3repE0EEENS1_30default_config_static_selectorELNS0_4arch9wavefront6targetE0EEEvS12_
	.p2align	8
	.type	_ZN7rocprim17ROCPRIM_400000_NS6detail17trampoline_kernelINS0_13select_configILj256ELj13ELNS0_17block_load_methodE3ELS4_3ELS4_3ELNS0_20block_scan_algorithmE0ELj4294967295EEENS1_25partition_config_selectorILNS1_17partition_subalgoE4EjNS0_10empty_typeEbEEZZNS1_14partition_implILS8_4ELb0ES6_15HIP_vector_typeIjLj2EENS0_17counting_iteratorIjlEEPS9_SG_NS0_5tupleIJPjSI_NS0_16reverse_iteratorISI_EEEEENSH_IJSG_SG_SG_EEES9_SI_JZNS1_25segmented_radix_sort_implINS0_14default_configELb1EPKiPiPKlPlN2at6native12_GLOBAL__N_18offset_tEEE10hipError_tPvRmT1_PNSt15iterator_traitsIS12_E10value_typeET2_T3_PNS13_IS18_E10value_typeET4_jRbjT5_S1E_jjP12ihipStream_tbEUljE_ZNSN_ISO_Lb1ESQ_SR_ST_SU_SY_EESZ_S10_S11_S12_S16_S17_S18_S1B_S1C_jS1D_jS1E_S1E_jjS1G_bEUljE0_EEESZ_S10_S11_S18_S1C_S1E_T6_T7_T9_mT8_S1G_bDpT10_ENKUlT_T0_E_clISt17integral_constantIbLb0EES1T_IbLb1EEEEDaS1P_S1Q_EUlS1P_E_NS1_11comp_targetILNS1_3genE2ELNS1_11target_archE906ELNS1_3gpuE6ELNS1_3repE0EEENS1_30default_config_static_selectorELNS0_4arch9wavefront6targetE0EEEvS12_,@function
_ZN7rocprim17ROCPRIM_400000_NS6detail17trampoline_kernelINS0_13select_configILj256ELj13ELNS0_17block_load_methodE3ELS4_3ELS4_3ELNS0_20block_scan_algorithmE0ELj4294967295EEENS1_25partition_config_selectorILNS1_17partition_subalgoE4EjNS0_10empty_typeEbEEZZNS1_14partition_implILS8_4ELb0ES6_15HIP_vector_typeIjLj2EENS0_17counting_iteratorIjlEEPS9_SG_NS0_5tupleIJPjSI_NS0_16reverse_iteratorISI_EEEEENSH_IJSG_SG_SG_EEES9_SI_JZNS1_25segmented_radix_sort_implINS0_14default_configELb1EPKiPiPKlPlN2at6native12_GLOBAL__N_18offset_tEEE10hipError_tPvRmT1_PNSt15iterator_traitsIS12_E10value_typeET2_T3_PNS13_IS18_E10value_typeET4_jRbjT5_S1E_jjP12ihipStream_tbEUljE_ZNSN_ISO_Lb1ESQ_SR_ST_SU_SY_EESZ_S10_S11_S12_S16_S17_S18_S1B_S1C_jS1D_jS1E_S1E_jjS1G_bEUljE0_EEESZ_S10_S11_S18_S1C_S1E_T6_T7_T9_mT8_S1G_bDpT10_ENKUlT_T0_E_clISt17integral_constantIbLb0EES1T_IbLb1EEEEDaS1P_S1Q_EUlS1P_E_NS1_11comp_targetILNS1_3genE2ELNS1_11target_archE906ELNS1_3gpuE6ELNS1_3repE0EEENS1_30default_config_static_selectorELNS0_4arch9wavefront6targetE0EEEvS12_: ; @_ZN7rocprim17ROCPRIM_400000_NS6detail17trampoline_kernelINS0_13select_configILj256ELj13ELNS0_17block_load_methodE3ELS4_3ELS4_3ELNS0_20block_scan_algorithmE0ELj4294967295EEENS1_25partition_config_selectorILNS1_17partition_subalgoE4EjNS0_10empty_typeEbEEZZNS1_14partition_implILS8_4ELb0ES6_15HIP_vector_typeIjLj2EENS0_17counting_iteratorIjlEEPS9_SG_NS0_5tupleIJPjSI_NS0_16reverse_iteratorISI_EEEEENSH_IJSG_SG_SG_EEES9_SI_JZNS1_25segmented_radix_sort_implINS0_14default_configELb1EPKiPiPKlPlN2at6native12_GLOBAL__N_18offset_tEEE10hipError_tPvRmT1_PNSt15iterator_traitsIS12_E10value_typeET2_T3_PNS13_IS18_E10value_typeET4_jRbjT5_S1E_jjP12ihipStream_tbEUljE_ZNSN_ISO_Lb1ESQ_SR_ST_SU_SY_EESZ_S10_S11_S12_S16_S17_S18_S1B_S1C_jS1D_jS1E_S1E_jjS1G_bEUljE0_EEESZ_S10_S11_S18_S1C_S1E_T6_T7_T9_mT8_S1G_bDpT10_ENKUlT_T0_E_clISt17integral_constantIbLb0EES1T_IbLb1EEEEDaS1P_S1Q_EUlS1P_E_NS1_11comp_targetILNS1_3genE2ELNS1_11target_archE906ELNS1_3gpuE6ELNS1_3repE0EEENS1_30default_config_static_selectorELNS0_4arch9wavefront6targetE0EEEvS12_
; %bb.0:
	.section	.rodata,"a",@progbits
	.p2align	6, 0x0
	.amdhsa_kernel _ZN7rocprim17ROCPRIM_400000_NS6detail17trampoline_kernelINS0_13select_configILj256ELj13ELNS0_17block_load_methodE3ELS4_3ELS4_3ELNS0_20block_scan_algorithmE0ELj4294967295EEENS1_25partition_config_selectorILNS1_17partition_subalgoE4EjNS0_10empty_typeEbEEZZNS1_14partition_implILS8_4ELb0ES6_15HIP_vector_typeIjLj2EENS0_17counting_iteratorIjlEEPS9_SG_NS0_5tupleIJPjSI_NS0_16reverse_iteratorISI_EEEEENSH_IJSG_SG_SG_EEES9_SI_JZNS1_25segmented_radix_sort_implINS0_14default_configELb1EPKiPiPKlPlN2at6native12_GLOBAL__N_18offset_tEEE10hipError_tPvRmT1_PNSt15iterator_traitsIS12_E10value_typeET2_T3_PNS13_IS18_E10value_typeET4_jRbjT5_S1E_jjP12ihipStream_tbEUljE_ZNSN_ISO_Lb1ESQ_SR_ST_SU_SY_EESZ_S10_S11_S12_S16_S17_S18_S1B_S1C_jS1D_jS1E_S1E_jjS1G_bEUljE0_EEESZ_S10_S11_S18_S1C_S1E_T6_T7_T9_mT8_S1G_bDpT10_ENKUlT_T0_E_clISt17integral_constantIbLb0EES1T_IbLb1EEEEDaS1P_S1Q_EUlS1P_E_NS1_11comp_targetILNS1_3genE2ELNS1_11target_archE906ELNS1_3gpuE6ELNS1_3repE0EEENS1_30default_config_static_selectorELNS0_4arch9wavefront6targetE0EEEvS12_
		.amdhsa_group_segment_fixed_size 0
		.amdhsa_private_segment_fixed_size 0
		.amdhsa_kernarg_size 184
		.amdhsa_user_sgpr_count 2
		.amdhsa_user_sgpr_dispatch_ptr 0
		.amdhsa_user_sgpr_queue_ptr 0
		.amdhsa_user_sgpr_kernarg_segment_ptr 1
		.amdhsa_user_sgpr_dispatch_id 0
		.amdhsa_user_sgpr_kernarg_preload_length 0
		.amdhsa_user_sgpr_kernarg_preload_offset 0
		.amdhsa_user_sgpr_private_segment_size 0
		.amdhsa_wavefront_size32 1
		.amdhsa_uses_dynamic_stack 0
		.amdhsa_enable_private_segment 0
		.amdhsa_system_sgpr_workgroup_id_x 1
		.amdhsa_system_sgpr_workgroup_id_y 0
		.amdhsa_system_sgpr_workgroup_id_z 0
		.amdhsa_system_sgpr_workgroup_info 0
		.amdhsa_system_vgpr_workitem_id 0
		.amdhsa_next_free_vgpr 1
		.amdhsa_next_free_sgpr 1
		.amdhsa_named_barrier_count 0
		.amdhsa_reserve_vcc 0
		.amdhsa_float_round_mode_32 0
		.amdhsa_float_round_mode_16_64 0
		.amdhsa_float_denorm_mode_32 3
		.amdhsa_float_denorm_mode_16_64 3
		.amdhsa_fp16_overflow 0
		.amdhsa_memory_ordered 1
		.amdhsa_forward_progress 1
		.amdhsa_inst_pref_size 0
		.amdhsa_round_robin_scheduling 0
		.amdhsa_exception_fp_ieee_invalid_op 0
		.amdhsa_exception_fp_denorm_src 0
		.amdhsa_exception_fp_ieee_div_zero 0
		.amdhsa_exception_fp_ieee_overflow 0
		.amdhsa_exception_fp_ieee_underflow 0
		.amdhsa_exception_fp_ieee_inexact 0
		.amdhsa_exception_int_div_zero 0
	.end_amdhsa_kernel
	.section	.text._ZN7rocprim17ROCPRIM_400000_NS6detail17trampoline_kernelINS0_13select_configILj256ELj13ELNS0_17block_load_methodE3ELS4_3ELS4_3ELNS0_20block_scan_algorithmE0ELj4294967295EEENS1_25partition_config_selectorILNS1_17partition_subalgoE4EjNS0_10empty_typeEbEEZZNS1_14partition_implILS8_4ELb0ES6_15HIP_vector_typeIjLj2EENS0_17counting_iteratorIjlEEPS9_SG_NS0_5tupleIJPjSI_NS0_16reverse_iteratorISI_EEEEENSH_IJSG_SG_SG_EEES9_SI_JZNS1_25segmented_radix_sort_implINS0_14default_configELb1EPKiPiPKlPlN2at6native12_GLOBAL__N_18offset_tEEE10hipError_tPvRmT1_PNSt15iterator_traitsIS12_E10value_typeET2_T3_PNS13_IS18_E10value_typeET4_jRbjT5_S1E_jjP12ihipStream_tbEUljE_ZNSN_ISO_Lb1ESQ_SR_ST_SU_SY_EESZ_S10_S11_S12_S16_S17_S18_S1B_S1C_jS1D_jS1E_S1E_jjS1G_bEUljE0_EEESZ_S10_S11_S18_S1C_S1E_T6_T7_T9_mT8_S1G_bDpT10_ENKUlT_T0_E_clISt17integral_constantIbLb0EES1T_IbLb1EEEEDaS1P_S1Q_EUlS1P_E_NS1_11comp_targetILNS1_3genE2ELNS1_11target_archE906ELNS1_3gpuE6ELNS1_3repE0EEENS1_30default_config_static_selectorELNS0_4arch9wavefront6targetE0EEEvS12_,"axG",@progbits,_ZN7rocprim17ROCPRIM_400000_NS6detail17trampoline_kernelINS0_13select_configILj256ELj13ELNS0_17block_load_methodE3ELS4_3ELS4_3ELNS0_20block_scan_algorithmE0ELj4294967295EEENS1_25partition_config_selectorILNS1_17partition_subalgoE4EjNS0_10empty_typeEbEEZZNS1_14partition_implILS8_4ELb0ES6_15HIP_vector_typeIjLj2EENS0_17counting_iteratorIjlEEPS9_SG_NS0_5tupleIJPjSI_NS0_16reverse_iteratorISI_EEEEENSH_IJSG_SG_SG_EEES9_SI_JZNS1_25segmented_radix_sort_implINS0_14default_configELb1EPKiPiPKlPlN2at6native12_GLOBAL__N_18offset_tEEE10hipError_tPvRmT1_PNSt15iterator_traitsIS12_E10value_typeET2_T3_PNS13_IS18_E10value_typeET4_jRbjT5_S1E_jjP12ihipStream_tbEUljE_ZNSN_ISO_Lb1ESQ_SR_ST_SU_SY_EESZ_S10_S11_S12_S16_S17_S18_S1B_S1C_jS1D_jS1E_S1E_jjS1G_bEUljE0_EEESZ_S10_S11_S18_S1C_S1E_T6_T7_T9_mT8_S1G_bDpT10_ENKUlT_T0_E_clISt17integral_constantIbLb0EES1T_IbLb1EEEEDaS1P_S1Q_EUlS1P_E_NS1_11comp_targetILNS1_3genE2ELNS1_11target_archE906ELNS1_3gpuE6ELNS1_3repE0EEENS1_30default_config_static_selectorELNS0_4arch9wavefront6targetE0EEEvS12_,comdat
.Lfunc_end457:
	.size	_ZN7rocprim17ROCPRIM_400000_NS6detail17trampoline_kernelINS0_13select_configILj256ELj13ELNS0_17block_load_methodE3ELS4_3ELS4_3ELNS0_20block_scan_algorithmE0ELj4294967295EEENS1_25partition_config_selectorILNS1_17partition_subalgoE4EjNS0_10empty_typeEbEEZZNS1_14partition_implILS8_4ELb0ES6_15HIP_vector_typeIjLj2EENS0_17counting_iteratorIjlEEPS9_SG_NS0_5tupleIJPjSI_NS0_16reverse_iteratorISI_EEEEENSH_IJSG_SG_SG_EEES9_SI_JZNS1_25segmented_radix_sort_implINS0_14default_configELb1EPKiPiPKlPlN2at6native12_GLOBAL__N_18offset_tEEE10hipError_tPvRmT1_PNSt15iterator_traitsIS12_E10value_typeET2_T3_PNS13_IS18_E10value_typeET4_jRbjT5_S1E_jjP12ihipStream_tbEUljE_ZNSN_ISO_Lb1ESQ_SR_ST_SU_SY_EESZ_S10_S11_S12_S16_S17_S18_S1B_S1C_jS1D_jS1E_S1E_jjS1G_bEUljE0_EEESZ_S10_S11_S18_S1C_S1E_T6_T7_T9_mT8_S1G_bDpT10_ENKUlT_T0_E_clISt17integral_constantIbLb0EES1T_IbLb1EEEEDaS1P_S1Q_EUlS1P_E_NS1_11comp_targetILNS1_3genE2ELNS1_11target_archE906ELNS1_3gpuE6ELNS1_3repE0EEENS1_30default_config_static_selectorELNS0_4arch9wavefront6targetE0EEEvS12_, .Lfunc_end457-_ZN7rocprim17ROCPRIM_400000_NS6detail17trampoline_kernelINS0_13select_configILj256ELj13ELNS0_17block_load_methodE3ELS4_3ELS4_3ELNS0_20block_scan_algorithmE0ELj4294967295EEENS1_25partition_config_selectorILNS1_17partition_subalgoE4EjNS0_10empty_typeEbEEZZNS1_14partition_implILS8_4ELb0ES6_15HIP_vector_typeIjLj2EENS0_17counting_iteratorIjlEEPS9_SG_NS0_5tupleIJPjSI_NS0_16reverse_iteratorISI_EEEEENSH_IJSG_SG_SG_EEES9_SI_JZNS1_25segmented_radix_sort_implINS0_14default_configELb1EPKiPiPKlPlN2at6native12_GLOBAL__N_18offset_tEEE10hipError_tPvRmT1_PNSt15iterator_traitsIS12_E10value_typeET2_T3_PNS13_IS18_E10value_typeET4_jRbjT5_S1E_jjP12ihipStream_tbEUljE_ZNSN_ISO_Lb1ESQ_SR_ST_SU_SY_EESZ_S10_S11_S12_S16_S17_S18_S1B_S1C_jS1D_jS1E_S1E_jjS1G_bEUljE0_EEESZ_S10_S11_S18_S1C_S1E_T6_T7_T9_mT8_S1G_bDpT10_ENKUlT_T0_E_clISt17integral_constantIbLb0EES1T_IbLb1EEEEDaS1P_S1Q_EUlS1P_E_NS1_11comp_targetILNS1_3genE2ELNS1_11target_archE906ELNS1_3gpuE6ELNS1_3repE0EEENS1_30default_config_static_selectorELNS0_4arch9wavefront6targetE0EEEvS12_
                                        ; -- End function
	.set _ZN7rocprim17ROCPRIM_400000_NS6detail17trampoline_kernelINS0_13select_configILj256ELj13ELNS0_17block_load_methodE3ELS4_3ELS4_3ELNS0_20block_scan_algorithmE0ELj4294967295EEENS1_25partition_config_selectorILNS1_17partition_subalgoE4EjNS0_10empty_typeEbEEZZNS1_14partition_implILS8_4ELb0ES6_15HIP_vector_typeIjLj2EENS0_17counting_iteratorIjlEEPS9_SG_NS0_5tupleIJPjSI_NS0_16reverse_iteratorISI_EEEEENSH_IJSG_SG_SG_EEES9_SI_JZNS1_25segmented_radix_sort_implINS0_14default_configELb1EPKiPiPKlPlN2at6native12_GLOBAL__N_18offset_tEEE10hipError_tPvRmT1_PNSt15iterator_traitsIS12_E10value_typeET2_T3_PNS13_IS18_E10value_typeET4_jRbjT5_S1E_jjP12ihipStream_tbEUljE_ZNSN_ISO_Lb1ESQ_SR_ST_SU_SY_EESZ_S10_S11_S12_S16_S17_S18_S1B_S1C_jS1D_jS1E_S1E_jjS1G_bEUljE0_EEESZ_S10_S11_S18_S1C_S1E_T6_T7_T9_mT8_S1G_bDpT10_ENKUlT_T0_E_clISt17integral_constantIbLb0EES1T_IbLb1EEEEDaS1P_S1Q_EUlS1P_E_NS1_11comp_targetILNS1_3genE2ELNS1_11target_archE906ELNS1_3gpuE6ELNS1_3repE0EEENS1_30default_config_static_selectorELNS0_4arch9wavefront6targetE0EEEvS12_.num_vgpr, 0
	.set _ZN7rocprim17ROCPRIM_400000_NS6detail17trampoline_kernelINS0_13select_configILj256ELj13ELNS0_17block_load_methodE3ELS4_3ELS4_3ELNS0_20block_scan_algorithmE0ELj4294967295EEENS1_25partition_config_selectorILNS1_17partition_subalgoE4EjNS0_10empty_typeEbEEZZNS1_14partition_implILS8_4ELb0ES6_15HIP_vector_typeIjLj2EENS0_17counting_iteratorIjlEEPS9_SG_NS0_5tupleIJPjSI_NS0_16reverse_iteratorISI_EEEEENSH_IJSG_SG_SG_EEES9_SI_JZNS1_25segmented_radix_sort_implINS0_14default_configELb1EPKiPiPKlPlN2at6native12_GLOBAL__N_18offset_tEEE10hipError_tPvRmT1_PNSt15iterator_traitsIS12_E10value_typeET2_T3_PNS13_IS18_E10value_typeET4_jRbjT5_S1E_jjP12ihipStream_tbEUljE_ZNSN_ISO_Lb1ESQ_SR_ST_SU_SY_EESZ_S10_S11_S12_S16_S17_S18_S1B_S1C_jS1D_jS1E_S1E_jjS1G_bEUljE0_EEESZ_S10_S11_S18_S1C_S1E_T6_T7_T9_mT8_S1G_bDpT10_ENKUlT_T0_E_clISt17integral_constantIbLb0EES1T_IbLb1EEEEDaS1P_S1Q_EUlS1P_E_NS1_11comp_targetILNS1_3genE2ELNS1_11target_archE906ELNS1_3gpuE6ELNS1_3repE0EEENS1_30default_config_static_selectorELNS0_4arch9wavefront6targetE0EEEvS12_.num_agpr, 0
	.set _ZN7rocprim17ROCPRIM_400000_NS6detail17trampoline_kernelINS0_13select_configILj256ELj13ELNS0_17block_load_methodE3ELS4_3ELS4_3ELNS0_20block_scan_algorithmE0ELj4294967295EEENS1_25partition_config_selectorILNS1_17partition_subalgoE4EjNS0_10empty_typeEbEEZZNS1_14partition_implILS8_4ELb0ES6_15HIP_vector_typeIjLj2EENS0_17counting_iteratorIjlEEPS9_SG_NS0_5tupleIJPjSI_NS0_16reverse_iteratorISI_EEEEENSH_IJSG_SG_SG_EEES9_SI_JZNS1_25segmented_radix_sort_implINS0_14default_configELb1EPKiPiPKlPlN2at6native12_GLOBAL__N_18offset_tEEE10hipError_tPvRmT1_PNSt15iterator_traitsIS12_E10value_typeET2_T3_PNS13_IS18_E10value_typeET4_jRbjT5_S1E_jjP12ihipStream_tbEUljE_ZNSN_ISO_Lb1ESQ_SR_ST_SU_SY_EESZ_S10_S11_S12_S16_S17_S18_S1B_S1C_jS1D_jS1E_S1E_jjS1G_bEUljE0_EEESZ_S10_S11_S18_S1C_S1E_T6_T7_T9_mT8_S1G_bDpT10_ENKUlT_T0_E_clISt17integral_constantIbLb0EES1T_IbLb1EEEEDaS1P_S1Q_EUlS1P_E_NS1_11comp_targetILNS1_3genE2ELNS1_11target_archE906ELNS1_3gpuE6ELNS1_3repE0EEENS1_30default_config_static_selectorELNS0_4arch9wavefront6targetE0EEEvS12_.numbered_sgpr, 0
	.set _ZN7rocprim17ROCPRIM_400000_NS6detail17trampoline_kernelINS0_13select_configILj256ELj13ELNS0_17block_load_methodE3ELS4_3ELS4_3ELNS0_20block_scan_algorithmE0ELj4294967295EEENS1_25partition_config_selectorILNS1_17partition_subalgoE4EjNS0_10empty_typeEbEEZZNS1_14partition_implILS8_4ELb0ES6_15HIP_vector_typeIjLj2EENS0_17counting_iteratorIjlEEPS9_SG_NS0_5tupleIJPjSI_NS0_16reverse_iteratorISI_EEEEENSH_IJSG_SG_SG_EEES9_SI_JZNS1_25segmented_radix_sort_implINS0_14default_configELb1EPKiPiPKlPlN2at6native12_GLOBAL__N_18offset_tEEE10hipError_tPvRmT1_PNSt15iterator_traitsIS12_E10value_typeET2_T3_PNS13_IS18_E10value_typeET4_jRbjT5_S1E_jjP12ihipStream_tbEUljE_ZNSN_ISO_Lb1ESQ_SR_ST_SU_SY_EESZ_S10_S11_S12_S16_S17_S18_S1B_S1C_jS1D_jS1E_S1E_jjS1G_bEUljE0_EEESZ_S10_S11_S18_S1C_S1E_T6_T7_T9_mT8_S1G_bDpT10_ENKUlT_T0_E_clISt17integral_constantIbLb0EES1T_IbLb1EEEEDaS1P_S1Q_EUlS1P_E_NS1_11comp_targetILNS1_3genE2ELNS1_11target_archE906ELNS1_3gpuE6ELNS1_3repE0EEENS1_30default_config_static_selectorELNS0_4arch9wavefront6targetE0EEEvS12_.num_named_barrier, 0
	.set _ZN7rocprim17ROCPRIM_400000_NS6detail17trampoline_kernelINS0_13select_configILj256ELj13ELNS0_17block_load_methodE3ELS4_3ELS4_3ELNS0_20block_scan_algorithmE0ELj4294967295EEENS1_25partition_config_selectorILNS1_17partition_subalgoE4EjNS0_10empty_typeEbEEZZNS1_14partition_implILS8_4ELb0ES6_15HIP_vector_typeIjLj2EENS0_17counting_iteratorIjlEEPS9_SG_NS0_5tupleIJPjSI_NS0_16reverse_iteratorISI_EEEEENSH_IJSG_SG_SG_EEES9_SI_JZNS1_25segmented_radix_sort_implINS0_14default_configELb1EPKiPiPKlPlN2at6native12_GLOBAL__N_18offset_tEEE10hipError_tPvRmT1_PNSt15iterator_traitsIS12_E10value_typeET2_T3_PNS13_IS18_E10value_typeET4_jRbjT5_S1E_jjP12ihipStream_tbEUljE_ZNSN_ISO_Lb1ESQ_SR_ST_SU_SY_EESZ_S10_S11_S12_S16_S17_S18_S1B_S1C_jS1D_jS1E_S1E_jjS1G_bEUljE0_EEESZ_S10_S11_S18_S1C_S1E_T6_T7_T9_mT8_S1G_bDpT10_ENKUlT_T0_E_clISt17integral_constantIbLb0EES1T_IbLb1EEEEDaS1P_S1Q_EUlS1P_E_NS1_11comp_targetILNS1_3genE2ELNS1_11target_archE906ELNS1_3gpuE6ELNS1_3repE0EEENS1_30default_config_static_selectorELNS0_4arch9wavefront6targetE0EEEvS12_.private_seg_size, 0
	.set _ZN7rocprim17ROCPRIM_400000_NS6detail17trampoline_kernelINS0_13select_configILj256ELj13ELNS0_17block_load_methodE3ELS4_3ELS4_3ELNS0_20block_scan_algorithmE0ELj4294967295EEENS1_25partition_config_selectorILNS1_17partition_subalgoE4EjNS0_10empty_typeEbEEZZNS1_14partition_implILS8_4ELb0ES6_15HIP_vector_typeIjLj2EENS0_17counting_iteratorIjlEEPS9_SG_NS0_5tupleIJPjSI_NS0_16reverse_iteratorISI_EEEEENSH_IJSG_SG_SG_EEES9_SI_JZNS1_25segmented_radix_sort_implINS0_14default_configELb1EPKiPiPKlPlN2at6native12_GLOBAL__N_18offset_tEEE10hipError_tPvRmT1_PNSt15iterator_traitsIS12_E10value_typeET2_T3_PNS13_IS18_E10value_typeET4_jRbjT5_S1E_jjP12ihipStream_tbEUljE_ZNSN_ISO_Lb1ESQ_SR_ST_SU_SY_EESZ_S10_S11_S12_S16_S17_S18_S1B_S1C_jS1D_jS1E_S1E_jjS1G_bEUljE0_EEESZ_S10_S11_S18_S1C_S1E_T6_T7_T9_mT8_S1G_bDpT10_ENKUlT_T0_E_clISt17integral_constantIbLb0EES1T_IbLb1EEEEDaS1P_S1Q_EUlS1P_E_NS1_11comp_targetILNS1_3genE2ELNS1_11target_archE906ELNS1_3gpuE6ELNS1_3repE0EEENS1_30default_config_static_selectorELNS0_4arch9wavefront6targetE0EEEvS12_.uses_vcc, 0
	.set _ZN7rocprim17ROCPRIM_400000_NS6detail17trampoline_kernelINS0_13select_configILj256ELj13ELNS0_17block_load_methodE3ELS4_3ELS4_3ELNS0_20block_scan_algorithmE0ELj4294967295EEENS1_25partition_config_selectorILNS1_17partition_subalgoE4EjNS0_10empty_typeEbEEZZNS1_14partition_implILS8_4ELb0ES6_15HIP_vector_typeIjLj2EENS0_17counting_iteratorIjlEEPS9_SG_NS0_5tupleIJPjSI_NS0_16reverse_iteratorISI_EEEEENSH_IJSG_SG_SG_EEES9_SI_JZNS1_25segmented_radix_sort_implINS0_14default_configELb1EPKiPiPKlPlN2at6native12_GLOBAL__N_18offset_tEEE10hipError_tPvRmT1_PNSt15iterator_traitsIS12_E10value_typeET2_T3_PNS13_IS18_E10value_typeET4_jRbjT5_S1E_jjP12ihipStream_tbEUljE_ZNSN_ISO_Lb1ESQ_SR_ST_SU_SY_EESZ_S10_S11_S12_S16_S17_S18_S1B_S1C_jS1D_jS1E_S1E_jjS1G_bEUljE0_EEESZ_S10_S11_S18_S1C_S1E_T6_T7_T9_mT8_S1G_bDpT10_ENKUlT_T0_E_clISt17integral_constantIbLb0EES1T_IbLb1EEEEDaS1P_S1Q_EUlS1P_E_NS1_11comp_targetILNS1_3genE2ELNS1_11target_archE906ELNS1_3gpuE6ELNS1_3repE0EEENS1_30default_config_static_selectorELNS0_4arch9wavefront6targetE0EEEvS12_.uses_flat_scratch, 0
	.set _ZN7rocprim17ROCPRIM_400000_NS6detail17trampoline_kernelINS0_13select_configILj256ELj13ELNS0_17block_load_methodE3ELS4_3ELS4_3ELNS0_20block_scan_algorithmE0ELj4294967295EEENS1_25partition_config_selectorILNS1_17partition_subalgoE4EjNS0_10empty_typeEbEEZZNS1_14partition_implILS8_4ELb0ES6_15HIP_vector_typeIjLj2EENS0_17counting_iteratorIjlEEPS9_SG_NS0_5tupleIJPjSI_NS0_16reverse_iteratorISI_EEEEENSH_IJSG_SG_SG_EEES9_SI_JZNS1_25segmented_radix_sort_implINS0_14default_configELb1EPKiPiPKlPlN2at6native12_GLOBAL__N_18offset_tEEE10hipError_tPvRmT1_PNSt15iterator_traitsIS12_E10value_typeET2_T3_PNS13_IS18_E10value_typeET4_jRbjT5_S1E_jjP12ihipStream_tbEUljE_ZNSN_ISO_Lb1ESQ_SR_ST_SU_SY_EESZ_S10_S11_S12_S16_S17_S18_S1B_S1C_jS1D_jS1E_S1E_jjS1G_bEUljE0_EEESZ_S10_S11_S18_S1C_S1E_T6_T7_T9_mT8_S1G_bDpT10_ENKUlT_T0_E_clISt17integral_constantIbLb0EES1T_IbLb1EEEEDaS1P_S1Q_EUlS1P_E_NS1_11comp_targetILNS1_3genE2ELNS1_11target_archE906ELNS1_3gpuE6ELNS1_3repE0EEENS1_30default_config_static_selectorELNS0_4arch9wavefront6targetE0EEEvS12_.has_dyn_sized_stack, 0
	.set _ZN7rocprim17ROCPRIM_400000_NS6detail17trampoline_kernelINS0_13select_configILj256ELj13ELNS0_17block_load_methodE3ELS4_3ELS4_3ELNS0_20block_scan_algorithmE0ELj4294967295EEENS1_25partition_config_selectorILNS1_17partition_subalgoE4EjNS0_10empty_typeEbEEZZNS1_14partition_implILS8_4ELb0ES6_15HIP_vector_typeIjLj2EENS0_17counting_iteratorIjlEEPS9_SG_NS0_5tupleIJPjSI_NS0_16reverse_iteratorISI_EEEEENSH_IJSG_SG_SG_EEES9_SI_JZNS1_25segmented_radix_sort_implINS0_14default_configELb1EPKiPiPKlPlN2at6native12_GLOBAL__N_18offset_tEEE10hipError_tPvRmT1_PNSt15iterator_traitsIS12_E10value_typeET2_T3_PNS13_IS18_E10value_typeET4_jRbjT5_S1E_jjP12ihipStream_tbEUljE_ZNSN_ISO_Lb1ESQ_SR_ST_SU_SY_EESZ_S10_S11_S12_S16_S17_S18_S1B_S1C_jS1D_jS1E_S1E_jjS1G_bEUljE0_EEESZ_S10_S11_S18_S1C_S1E_T6_T7_T9_mT8_S1G_bDpT10_ENKUlT_T0_E_clISt17integral_constantIbLb0EES1T_IbLb1EEEEDaS1P_S1Q_EUlS1P_E_NS1_11comp_targetILNS1_3genE2ELNS1_11target_archE906ELNS1_3gpuE6ELNS1_3repE0EEENS1_30default_config_static_selectorELNS0_4arch9wavefront6targetE0EEEvS12_.has_recursion, 0
	.set _ZN7rocprim17ROCPRIM_400000_NS6detail17trampoline_kernelINS0_13select_configILj256ELj13ELNS0_17block_load_methodE3ELS4_3ELS4_3ELNS0_20block_scan_algorithmE0ELj4294967295EEENS1_25partition_config_selectorILNS1_17partition_subalgoE4EjNS0_10empty_typeEbEEZZNS1_14partition_implILS8_4ELb0ES6_15HIP_vector_typeIjLj2EENS0_17counting_iteratorIjlEEPS9_SG_NS0_5tupleIJPjSI_NS0_16reverse_iteratorISI_EEEEENSH_IJSG_SG_SG_EEES9_SI_JZNS1_25segmented_radix_sort_implINS0_14default_configELb1EPKiPiPKlPlN2at6native12_GLOBAL__N_18offset_tEEE10hipError_tPvRmT1_PNSt15iterator_traitsIS12_E10value_typeET2_T3_PNS13_IS18_E10value_typeET4_jRbjT5_S1E_jjP12ihipStream_tbEUljE_ZNSN_ISO_Lb1ESQ_SR_ST_SU_SY_EESZ_S10_S11_S12_S16_S17_S18_S1B_S1C_jS1D_jS1E_S1E_jjS1G_bEUljE0_EEESZ_S10_S11_S18_S1C_S1E_T6_T7_T9_mT8_S1G_bDpT10_ENKUlT_T0_E_clISt17integral_constantIbLb0EES1T_IbLb1EEEEDaS1P_S1Q_EUlS1P_E_NS1_11comp_targetILNS1_3genE2ELNS1_11target_archE906ELNS1_3gpuE6ELNS1_3repE0EEENS1_30default_config_static_selectorELNS0_4arch9wavefront6targetE0EEEvS12_.has_indirect_call, 0
	.section	.AMDGPU.csdata,"",@progbits
; Kernel info:
; codeLenInByte = 0
; TotalNumSgprs: 0
; NumVgprs: 0
; ScratchSize: 0
; MemoryBound: 0
; FloatMode: 240
; IeeeMode: 1
; LDSByteSize: 0 bytes/workgroup (compile time only)
; SGPRBlocks: 0
; VGPRBlocks: 0
; NumSGPRsForWavesPerEU: 1
; NumVGPRsForWavesPerEU: 1
; NamedBarCnt: 0
; Occupancy: 16
; WaveLimiterHint : 0
; COMPUTE_PGM_RSRC2:SCRATCH_EN: 0
; COMPUTE_PGM_RSRC2:USER_SGPR: 2
; COMPUTE_PGM_RSRC2:TRAP_HANDLER: 0
; COMPUTE_PGM_RSRC2:TGID_X_EN: 1
; COMPUTE_PGM_RSRC2:TGID_Y_EN: 0
; COMPUTE_PGM_RSRC2:TGID_Z_EN: 0
; COMPUTE_PGM_RSRC2:TIDIG_COMP_CNT: 0
	.section	.text._ZN7rocprim17ROCPRIM_400000_NS6detail17trampoline_kernelINS0_13select_configILj256ELj13ELNS0_17block_load_methodE3ELS4_3ELS4_3ELNS0_20block_scan_algorithmE0ELj4294967295EEENS1_25partition_config_selectorILNS1_17partition_subalgoE4EjNS0_10empty_typeEbEEZZNS1_14partition_implILS8_4ELb0ES6_15HIP_vector_typeIjLj2EENS0_17counting_iteratorIjlEEPS9_SG_NS0_5tupleIJPjSI_NS0_16reverse_iteratorISI_EEEEENSH_IJSG_SG_SG_EEES9_SI_JZNS1_25segmented_radix_sort_implINS0_14default_configELb1EPKiPiPKlPlN2at6native12_GLOBAL__N_18offset_tEEE10hipError_tPvRmT1_PNSt15iterator_traitsIS12_E10value_typeET2_T3_PNS13_IS18_E10value_typeET4_jRbjT5_S1E_jjP12ihipStream_tbEUljE_ZNSN_ISO_Lb1ESQ_SR_ST_SU_SY_EESZ_S10_S11_S12_S16_S17_S18_S1B_S1C_jS1D_jS1E_S1E_jjS1G_bEUljE0_EEESZ_S10_S11_S18_S1C_S1E_T6_T7_T9_mT8_S1G_bDpT10_ENKUlT_T0_E_clISt17integral_constantIbLb0EES1T_IbLb1EEEEDaS1P_S1Q_EUlS1P_E_NS1_11comp_targetILNS1_3genE10ELNS1_11target_archE1200ELNS1_3gpuE4ELNS1_3repE0EEENS1_30default_config_static_selectorELNS0_4arch9wavefront6targetE0EEEvS12_,"axG",@progbits,_ZN7rocprim17ROCPRIM_400000_NS6detail17trampoline_kernelINS0_13select_configILj256ELj13ELNS0_17block_load_methodE3ELS4_3ELS4_3ELNS0_20block_scan_algorithmE0ELj4294967295EEENS1_25partition_config_selectorILNS1_17partition_subalgoE4EjNS0_10empty_typeEbEEZZNS1_14partition_implILS8_4ELb0ES6_15HIP_vector_typeIjLj2EENS0_17counting_iteratorIjlEEPS9_SG_NS0_5tupleIJPjSI_NS0_16reverse_iteratorISI_EEEEENSH_IJSG_SG_SG_EEES9_SI_JZNS1_25segmented_radix_sort_implINS0_14default_configELb1EPKiPiPKlPlN2at6native12_GLOBAL__N_18offset_tEEE10hipError_tPvRmT1_PNSt15iterator_traitsIS12_E10value_typeET2_T3_PNS13_IS18_E10value_typeET4_jRbjT5_S1E_jjP12ihipStream_tbEUljE_ZNSN_ISO_Lb1ESQ_SR_ST_SU_SY_EESZ_S10_S11_S12_S16_S17_S18_S1B_S1C_jS1D_jS1E_S1E_jjS1G_bEUljE0_EEESZ_S10_S11_S18_S1C_S1E_T6_T7_T9_mT8_S1G_bDpT10_ENKUlT_T0_E_clISt17integral_constantIbLb0EES1T_IbLb1EEEEDaS1P_S1Q_EUlS1P_E_NS1_11comp_targetILNS1_3genE10ELNS1_11target_archE1200ELNS1_3gpuE4ELNS1_3repE0EEENS1_30default_config_static_selectorELNS0_4arch9wavefront6targetE0EEEvS12_,comdat
	.globl	_ZN7rocprim17ROCPRIM_400000_NS6detail17trampoline_kernelINS0_13select_configILj256ELj13ELNS0_17block_load_methodE3ELS4_3ELS4_3ELNS0_20block_scan_algorithmE0ELj4294967295EEENS1_25partition_config_selectorILNS1_17partition_subalgoE4EjNS0_10empty_typeEbEEZZNS1_14partition_implILS8_4ELb0ES6_15HIP_vector_typeIjLj2EENS0_17counting_iteratorIjlEEPS9_SG_NS0_5tupleIJPjSI_NS0_16reverse_iteratorISI_EEEEENSH_IJSG_SG_SG_EEES9_SI_JZNS1_25segmented_radix_sort_implINS0_14default_configELb1EPKiPiPKlPlN2at6native12_GLOBAL__N_18offset_tEEE10hipError_tPvRmT1_PNSt15iterator_traitsIS12_E10value_typeET2_T3_PNS13_IS18_E10value_typeET4_jRbjT5_S1E_jjP12ihipStream_tbEUljE_ZNSN_ISO_Lb1ESQ_SR_ST_SU_SY_EESZ_S10_S11_S12_S16_S17_S18_S1B_S1C_jS1D_jS1E_S1E_jjS1G_bEUljE0_EEESZ_S10_S11_S18_S1C_S1E_T6_T7_T9_mT8_S1G_bDpT10_ENKUlT_T0_E_clISt17integral_constantIbLb0EES1T_IbLb1EEEEDaS1P_S1Q_EUlS1P_E_NS1_11comp_targetILNS1_3genE10ELNS1_11target_archE1200ELNS1_3gpuE4ELNS1_3repE0EEENS1_30default_config_static_selectorELNS0_4arch9wavefront6targetE0EEEvS12_ ; -- Begin function _ZN7rocprim17ROCPRIM_400000_NS6detail17trampoline_kernelINS0_13select_configILj256ELj13ELNS0_17block_load_methodE3ELS4_3ELS4_3ELNS0_20block_scan_algorithmE0ELj4294967295EEENS1_25partition_config_selectorILNS1_17partition_subalgoE4EjNS0_10empty_typeEbEEZZNS1_14partition_implILS8_4ELb0ES6_15HIP_vector_typeIjLj2EENS0_17counting_iteratorIjlEEPS9_SG_NS0_5tupleIJPjSI_NS0_16reverse_iteratorISI_EEEEENSH_IJSG_SG_SG_EEES9_SI_JZNS1_25segmented_radix_sort_implINS0_14default_configELb1EPKiPiPKlPlN2at6native12_GLOBAL__N_18offset_tEEE10hipError_tPvRmT1_PNSt15iterator_traitsIS12_E10value_typeET2_T3_PNS13_IS18_E10value_typeET4_jRbjT5_S1E_jjP12ihipStream_tbEUljE_ZNSN_ISO_Lb1ESQ_SR_ST_SU_SY_EESZ_S10_S11_S12_S16_S17_S18_S1B_S1C_jS1D_jS1E_S1E_jjS1G_bEUljE0_EEESZ_S10_S11_S18_S1C_S1E_T6_T7_T9_mT8_S1G_bDpT10_ENKUlT_T0_E_clISt17integral_constantIbLb0EES1T_IbLb1EEEEDaS1P_S1Q_EUlS1P_E_NS1_11comp_targetILNS1_3genE10ELNS1_11target_archE1200ELNS1_3gpuE4ELNS1_3repE0EEENS1_30default_config_static_selectorELNS0_4arch9wavefront6targetE0EEEvS12_
	.p2align	8
	.type	_ZN7rocprim17ROCPRIM_400000_NS6detail17trampoline_kernelINS0_13select_configILj256ELj13ELNS0_17block_load_methodE3ELS4_3ELS4_3ELNS0_20block_scan_algorithmE0ELj4294967295EEENS1_25partition_config_selectorILNS1_17partition_subalgoE4EjNS0_10empty_typeEbEEZZNS1_14partition_implILS8_4ELb0ES6_15HIP_vector_typeIjLj2EENS0_17counting_iteratorIjlEEPS9_SG_NS0_5tupleIJPjSI_NS0_16reverse_iteratorISI_EEEEENSH_IJSG_SG_SG_EEES9_SI_JZNS1_25segmented_radix_sort_implINS0_14default_configELb1EPKiPiPKlPlN2at6native12_GLOBAL__N_18offset_tEEE10hipError_tPvRmT1_PNSt15iterator_traitsIS12_E10value_typeET2_T3_PNS13_IS18_E10value_typeET4_jRbjT5_S1E_jjP12ihipStream_tbEUljE_ZNSN_ISO_Lb1ESQ_SR_ST_SU_SY_EESZ_S10_S11_S12_S16_S17_S18_S1B_S1C_jS1D_jS1E_S1E_jjS1G_bEUljE0_EEESZ_S10_S11_S18_S1C_S1E_T6_T7_T9_mT8_S1G_bDpT10_ENKUlT_T0_E_clISt17integral_constantIbLb0EES1T_IbLb1EEEEDaS1P_S1Q_EUlS1P_E_NS1_11comp_targetILNS1_3genE10ELNS1_11target_archE1200ELNS1_3gpuE4ELNS1_3repE0EEENS1_30default_config_static_selectorELNS0_4arch9wavefront6targetE0EEEvS12_,@function
_ZN7rocprim17ROCPRIM_400000_NS6detail17trampoline_kernelINS0_13select_configILj256ELj13ELNS0_17block_load_methodE3ELS4_3ELS4_3ELNS0_20block_scan_algorithmE0ELj4294967295EEENS1_25partition_config_selectorILNS1_17partition_subalgoE4EjNS0_10empty_typeEbEEZZNS1_14partition_implILS8_4ELb0ES6_15HIP_vector_typeIjLj2EENS0_17counting_iteratorIjlEEPS9_SG_NS0_5tupleIJPjSI_NS0_16reverse_iteratorISI_EEEEENSH_IJSG_SG_SG_EEES9_SI_JZNS1_25segmented_radix_sort_implINS0_14default_configELb1EPKiPiPKlPlN2at6native12_GLOBAL__N_18offset_tEEE10hipError_tPvRmT1_PNSt15iterator_traitsIS12_E10value_typeET2_T3_PNS13_IS18_E10value_typeET4_jRbjT5_S1E_jjP12ihipStream_tbEUljE_ZNSN_ISO_Lb1ESQ_SR_ST_SU_SY_EESZ_S10_S11_S12_S16_S17_S18_S1B_S1C_jS1D_jS1E_S1E_jjS1G_bEUljE0_EEESZ_S10_S11_S18_S1C_S1E_T6_T7_T9_mT8_S1G_bDpT10_ENKUlT_T0_E_clISt17integral_constantIbLb0EES1T_IbLb1EEEEDaS1P_S1Q_EUlS1P_E_NS1_11comp_targetILNS1_3genE10ELNS1_11target_archE1200ELNS1_3gpuE4ELNS1_3repE0EEENS1_30default_config_static_selectorELNS0_4arch9wavefront6targetE0EEEvS12_: ; @_ZN7rocprim17ROCPRIM_400000_NS6detail17trampoline_kernelINS0_13select_configILj256ELj13ELNS0_17block_load_methodE3ELS4_3ELS4_3ELNS0_20block_scan_algorithmE0ELj4294967295EEENS1_25partition_config_selectorILNS1_17partition_subalgoE4EjNS0_10empty_typeEbEEZZNS1_14partition_implILS8_4ELb0ES6_15HIP_vector_typeIjLj2EENS0_17counting_iteratorIjlEEPS9_SG_NS0_5tupleIJPjSI_NS0_16reverse_iteratorISI_EEEEENSH_IJSG_SG_SG_EEES9_SI_JZNS1_25segmented_radix_sort_implINS0_14default_configELb1EPKiPiPKlPlN2at6native12_GLOBAL__N_18offset_tEEE10hipError_tPvRmT1_PNSt15iterator_traitsIS12_E10value_typeET2_T3_PNS13_IS18_E10value_typeET4_jRbjT5_S1E_jjP12ihipStream_tbEUljE_ZNSN_ISO_Lb1ESQ_SR_ST_SU_SY_EESZ_S10_S11_S12_S16_S17_S18_S1B_S1C_jS1D_jS1E_S1E_jjS1G_bEUljE0_EEESZ_S10_S11_S18_S1C_S1E_T6_T7_T9_mT8_S1G_bDpT10_ENKUlT_T0_E_clISt17integral_constantIbLb0EES1T_IbLb1EEEEDaS1P_S1Q_EUlS1P_E_NS1_11comp_targetILNS1_3genE10ELNS1_11target_archE1200ELNS1_3gpuE4ELNS1_3repE0EEENS1_30default_config_static_selectorELNS0_4arch9wavefront6targetE0EEEvS12_
; %bb.0:
	.section	.rodata,"a",@progbits
	.p2align	6, 0x0
	.amdhsa_kernel _ZN7rocprim17ROCPRIM_400000_NS6detail17trampoline_kernelINS0_13select_configILj256ELj13ELNS0_17block_load_methodE3ELS4_3ELS4_3ELNS0_20block_scan_algorithmE0ELj4294967295EEENS1_25partition_config_selectorILNS1_17partition_subalgoE4EjNS0_10empty_typeEbEEZZNS1_14partition_implILS8_4ELb0ES6_15HIP_vector_typeIjLj2EENS0_17counting_iteratorIjlEEPS9_SG_NS0_5tupleIJPjSI_NS0_16reverse_iteratorISI_EEEEENSH_IJSG_SG_SG_EEES9_SI_JZNS1_25segmented_radix_sort_implINS0_14default_configELb1EPKiPiPKlPlN2at6native12_GLOBAL__N_18offset_tEEE10hipError_tPvRmT1_PNSt15iterator_traitsIS12_E10value_typeET2_T3_PNS13_IS18_E10value_typeET4_jRbjT5_S1E_jjP12ihipStream_tbEUljE_ZNSN_ISO_Lb1ESQ_SR_ST_SU_SY_EESZ_S10_S11_S12_S16_S17_S18_S1B_S1C_jS1D_jS1E_S1E_jjS1G_bEUljE0_EEESZ_S10_S11_S18_S1C_S1E_T6_T7_T9_mT8_S1G_bDpT10_ENKUlT_T0_E_clISt17integral_constantIbLb0EES1T_IbLb1EEEEDaS1P_S1Q_EUlS1P_E_NS1_11comp_targetILNS1_3genE10ELNS1_11target_archE1200ELNS1_3gpuE4ELNS1_3repE0EEENS1_30default_config_static_selectorELNS0_4arch9wavefront6targetE0EEEvS12_
		.amdhsa_group_segment_fixed_size 0
		.amdhsa_private_segment_fixed_size 0
		.amdhsa_kernarg_size 184
		.amdhsa_user_sgpr_count 2
		.amdhsa_user_sgpr_dispatch_ptr 0
		.amdhsa_user_sgpr_queue_ptr 0
		.amdhsa_user_sgpr_kernarg_segment_ptr 1
		.amdhsa_user_sgpr_dispatch_id 0
		.amdhsa_user_sgpr_kernarg_preload_length 0
		.amdhsa_user_sgpr_kernarg_preload_offset 0
		.amdhsa_user_sgpr_private_segment_size 0
		.amdhsa_wavefront_size32 1
		.amdhsa_uses_dynamic_stack 0
		.amdhsa_enable_private_segment 0
		.amdhsa_system_sgpr_workgroup_id_x 1
		.amdhsa_system_sgpr_workgroup_id_y 0
		.amdhsa_system_sgpr_workgroup_id_z 0
		.amdhsa_system_sgpr_workgroup_info 0
		.amdhsa_system_vgpr_workitem_id 0
		.amdhsa_next_free_vgpr 1
		.amdhsa_next_free_sgpr 1
		.amdhsa_named_barrier_count 0
		.amdhsa_reserve_vcc 0
		.amdhsa_float_round_mode_32 0
		.amdhsa_float_round_mode_16_64 0
		.amdhsa_float_denorm_mode_32 3
		.amdhsa_float_denorm_mode_16_64 3
		.amdhsa_fp16_overflow 0
		.amdhsa_memory_ordered 1
		.amdhsa_forward_progress 1
		.amdhsa_inst_pref_size 0
		.amdhsa_round_robin_scheduling 0
		.amdhsa_exception_fp_ieee_invalid_op 0
		.amdhsa_exception_fp_denorm_src 0
		.amdhsa_exception_fp_ieee_div_zero 0
		.amdhsa_exception_fp_ieee_overflow 0
		.amdhsa_exception_fp_ieee_underflow 0
		.amdhsa_exception_fp_ieee_inexact 0
		.amdhsa_exception_int_div_zero 0
	.end_amdhsa_kernel
	.section	.text._ZN7rocprim17ROCPRIM_400000_NS6detail17trampoline_kernelINS0_13select_configILj256ELj13ELNS0_17block_load_methodE3ELS4_3ELS4_3ELNS0_20block_scan_algorithmE0ELj4294967295EEENS1_25partition_config_selectorILNS1_17partition_subalgoE4EjNS0_10empty_typeEbEEZZNS1_14partition_implILS8_4ELb0ES6_15HIP_vector_typeIjLj2EENS0_17counting_iteratorIjlEEPS9_SG_NS0_5tupleIJPjSI_NS0_16reverse_iteratorISI_EEEEENSH_IJSG_SG_SG_EEES9_SI_JZNS1_25segmented_radix_sort_implINS0_14default_configELb1EPKiPiPKlPlN2at6native12_GLOBAL__N_18offset_tEEE10hipError_tPvRmT1_PNSt15iterator_traitsIS12_E10value_typeET2_T3_PNS13_IS18_E10value_typeET4_jRbjT5_S1E_jjP12ihipStream_tbEUljE_ZNSN_ISO_Lb1ESQ_SR_ST_SU_SY_EESZ_S10_S11_S12_S16_S17_S18_S1B_S1C_jS1D_jS1E_S1E_jjS1G_bEUljE0_EEESZ_S10_S11_S18_S1C_S1E_T6_T7_T9_mT8_S1G_bDpT10_ENKUlT_T0_E_clISt17integral_constantIbLb0EES1T_IbLb1EEEEDaS1P_S1Q_EUlS1P_E_NS1_11comp_targetILNS1_3genE10ELNS1_11target_archE1200ELNS1_3gpuE4ELNS1_3repE0EEENS1_30default_config_static_selectorELNS0_4arch9wavefront6targetE0EEEvS12_,"axG",@progbits,_ZN7rocprim17ROCPRIM_400000_NS6detail17trampoline_kernelINS0_13select_configILj256ELj13ELNS0_17block_load_methodE3ELS4_3ELS4_3ELNS0_20block_scan_algorithmE0ELj4294967295EEENS1_25partition_config_selectorILNS1_17partition_subalgoE4EjNS0_10empty_typeEbEEZZNS1_14partition_implILS8_4ELb0ES6_15HIP_vector_typeIjLj2EENS0_17counting_iteratorIjlEEPS9_SG_NS0_5tupleIJPjSI_NS0_16reverse_iteratorISI_EEEEENSH_IJSG_SG_SG_EEES9_SI_JZNS1_25segmented_radix_sort_implINS0_14default_configELb1EPKiPiPKlPlN2at6native12_GLOBAL__N_18offset_tEEE10hipError_tPvRmT1_PNSt15iterator_traitsIS12_E10value_typeET2_T3_PNS13_IS18_E10value_typeET4_jRbjT5_S1E_jjP12ihipStream_tbEUljE_ZNSN_ISO_Lb1ESQ_SR_ST_SU_SY_EESZ_S10_S11_S12_S16_S17_S18_S1B_S1C_jS1D_jS1E_S1E_jjS1G_bEUljE0_EEESZ_S10_S11_S18_S1C_S1E_T6_T7_T9_mT8_S1G_bDpT10_ENKUlT_T0_E_clISt17integral_constantIbLb0EES1T_IbLb1EEEEDaS1P_S1Q_EUlS1P_E_NS1_11comp_targetILNS1_3genE10ELNS1_11target_archE1200ELNS1_3gpuE4ELNS1_3repE0EEENS1_30default_config_static_selectorELNS0_4arch9wavefront6targetE0EEEvS12_,comdat
.Lfunc_end458:
	.size	_ZN7rocprim17ROCPRIM_400000_NS6detail17trampoline_kernelINS0_13select_configILj256ELj13ELNS0_17block_load_methodE3ELS4_3ELS4_3ELNS0_20block_scan_algorithmE0ELj4294967295EEENS1_25partition_config_selectorILNS1_17partition_subalgoE4EjNS0_10empty_typeEbEEZZNS1_14partition_implILS8_4ELb0ES6_15HIP_vector_typeIjLj2EENS0_17counting_iteratorIjlEEPS9_SG_NS0_5tupleIJPjSI_NS0_16reverse_iteratorISI_EEEEENSH_IJSG_SG_SG_EEES9_SI_JZNS1_25segmented_radix_sort_implINS0_14default_configELb1EPKiPiPKlPlN2at6native12_GLOBAL__N_18offset_tEEE10hipError_tPvRmT1_PNSt15iterator_traitsIS12_E10value_typeET2_T3_PNS13_IS18_E10value_typeET4_jRbjT5_S1E_jjP12ihipStream_tbEUljE_ZNSN_ISO_Lb1ESQ_SR_ST_SU_SY_EESZ_S10_S11_S12_S16_S17_S18_S1B_S1C_jS1D_jS1E_S1E_jjS1G_bEUljE0_EEESZ_S10_S11_S18_S1C_S1E_T6_T7_T9_mT8_S1G_bDpT10_ENKUlT_T0_E_clISt17integral_constantIbLb0EES1T_IbLb1EEEEDaS1P_S1Q_EUlS1P_E_NS1_11comp_targetILNS1_3genE10ELNS1_11target_archE1200ELNS1_3gpuE4ELNS1_3repE0EEENS1_30default_config_static_selectorELNS0_4arch9wavefront6targetE0EEEvS12_, .Lfunc_end458-_ZN7rocprim17ROCPRIM_400000_NS6detail17trampoline_kernelINS0_13select_configILj256ELj13ELNS0_17block_load_methodE3ELS4_3ELS4_3ELNS0_20block_scan_algorithmE0ELj4294967295EEENS1_25partition_config_selectorILNS1_17partition_subalgoE4EjNS0_10empty_typeEbEEZZNS1_14partition_implILS8_4ELb0ES6_15HIP_vector_typeIjLj2EENS0_17counting_iteratorIjlEEPS9_SG_NS0_5tupleIJPjSI_NS0_16reverse_iteratorISI_EEEEENSH_IJSG_SG_SG_EEES9_SI_JZNS1_25segmented_radix_sort_implINS0_14default_configELb1EPKiPiPKlPlN2at6native12_GLOBAL__N_18offset_tEEE10hipError_tPvRmT1_PNSt15iterator_traitsIS12_E10value_typeET2_T3_PNS13_IS18_E10value_typeET4_jRbjT5_S1E_jjP12ihipStream_tbEUljE_ZNSN_ISO_Lb1ESQ_SR_ST_SU_SY_EESZ_S10_S11_S12_S16_S17_S18_S1B_S1C_jS1D_jS1E_S1E_jjS1G_bEUljE0_EEESZ_S10_S11_S18_S1C_S1E_T6_T7_T9_mT8_S1G_bDpT10_ENKUlT_T0_E_clISt17integral_constantIbLb0EES1T_IbLb1EEEEDaS1P_S1Q_EUlS1P_E_NS1_11comp_targetILNS1_3genE10ELNS1_11target_archE1200ELNS1_3gpuE4ELNS1_3repE0EEENS1_30default_config_static_selectorELNS0_4arch9wavefront6targetE0EEEvS12_
                                        ; -- End function
	.set _ZN7rocprim17ROCPRIM_400000_NS6detail17trampoline_kernelINS0_13select_configILj256ELj13ELNS0_17block_load_methodE3ELS4_3ELS4_3ELNS0_20block_scan_algorithmE0ELj4294967295EEENS1_25partition_config_selectorILNS1_17partition_subalgoE4EjNS0_10empty_typeEbEEZZNS1_14partition_implILS8_4ELb0ES6_15HIP_vector_typeIjLj2EENS0_17counting_iteratorIjlEEPS9_SG_NS0_5tupleIJPjSI_NS0_16reverse_iteratorISI_EEEEENSH_IJSG_SG_SG_EEES9_SI_JZNS1_25segmented_radix_sort_implINS0_14default_configELb1EPKiPiPKlPlN2at6native12_GLOBAL__N_18offset_tEEE10hipError_tPvRmT1_PNSt15iterator_traitsIS12_E10value_typeET2_T3_PNS13_IS18_E10value_typeET4_jRbjT5_S1E_jjP12ihipStream_tbEUljE_ZNSN_ISO_Lb1ESQ_SR_ST_SU_SY_EESZ_S10_S11_S12_S16_S17_S18_S1B_S1C_jS1D_jS1E_S1E_jjS1G_bEUljE0_EEESZ_S10_S11_S18_S1C_S1E_T6_T7_T9_mT8_S1G_bDpT10_ENKUlT_T0_E_clISt17integral_constantIbLb0EES1T_IbLb1EEEEDaS1P_S1Q_EUlS1P_E_NS1_11comp_targetILNS1_3genE10ELNS1_11target_archE1200ELNS1_3gpuE4ELNS1_3repE0EEENS1_30default_config_static_selectorELNS0_4arch9wavefront6targetE0EEEvS12_.num_vgpr, 0
	.set _ZN7rocprim17ROCPRIM_400000_NS6detail17trampoline_kernelINS0_13select_configILj256ELj13ELNS0_17block_load_methodE3ELS4_3ELS4_3ELNS0_20block_scan_algorithmE0ELj4294967295EEENS1_25partition_config_selectorILNS1_17partition_subalgoE4EjNS0_10empty_typeEbEEZZNS1_14partition_implILS8_4ELb0ES6_15HIP_vector_typeIjLj2EENS0_17counting_iteratorIjlEEPS9_SG_NS0_5tupleIJPjSI_NS0_16reverse_iteratorISI_EEEEENSH_IJSG_SG_SG_EEES9_SI_JZNS1_25segmented_radix_sort_implINS0_14default_configELb1EPKiPiPKlPlN2at6native12_GLOBAL__N_18offset_tEEE10hipError_tPvRmT1_PNSt15iterator_traitsIS12_E10value_typeET2_T3_PNS13_IS18_E10value_typeET4_jRbjT5_S1E_jjP12ihipStream_tbEUljE_ZNSN_ISO_Lb1ESQ_SR_ST_SU_SY_EESZ_S10_S11_S12_S16_S17_S18_S1B_S1C_jS1D_jS1E_S1E_jjS1G_bEUljE0_EEESZ_S10_S11_S18_S1C_S1E_T6_T7_T9_mT8_S1G_bDpT10_ENKUlT_T0_E_clISt17integral_constantIbLb0EES1T_IbLb1EEEEDaS1P_S1Q_EUlS1P_E_NS1_11comp_targetILNS1_3genE10ELNS1_11target_archE1200ELNS1_3gpuE4ELNS1_3repE0EEENS1_30default_config_static_selectorELNS0_4arch9wavefront6targetE0EEEvS12_.num_agpr, 0
	.set _ZN7rocprim17ROCPRIM_400000_NS6detail17trampoline_kernelINS0_13select_configILj256ELj13ELNS0_17block_load_methodE3ELS4_3ELS4_3ELNS0_20block_scan_algorithmE0ELj4294967295EEENS1_25partition_config_selectorILNS1_17partition_subalgoE4EjNS0_10empty_typeEbEEZZNS1_14partition_implILS8_4ELb0ES6_15HIP_vector_typeIjLj2EENS0_17counting_iteratorIjlEEPS9_SG_NS0_5tupleIJPjSI_NS0_16reverse_iteratorISI_EEEEENSH_IJSG_SG_SG_EEES9_SI_JZNS1_25segmented_radix_sort_implINS0_14default_configELb1EPKiPiPKlPlN2at6native12_GLOBAL__N_18offset_tEEE10hipError_tPvRmT1_PNSt15iterator_traitsIS12_E10value_typeET2_T3_PNS13_IS18_E10value_typeET4_jRbjT5_S1E_jjP12ihipStream_tbEUljE_ZNSN_ISO_Lb1ESQ_SR_ST_SU_SY_EESZ_S10_S11_S12_S16_S17_S18_S1B_S1C_jS1D_jS1E_S1E_jjS1G_bEUljE0_EEESZ_S10_S11_S18_S1C_S1E_T6_T7_T9_mT8_S1G_bDpT10_ENKUlT_T0_E_clISt17integral_constantIbLb0EES1T_IbLb1EEEEDaS1P_S1Q_EUlS1P_E_NS1_11comp_targetILNS1_3genE10ELNS1_11target_archE1200ELNS1_3gpuE4ELNS1_3repE0EEENS1_30default_config_static_selectorELNS0_4arch9wavefront6targetE0EEEvS12_.numbered_sgpr, 0
	.set _ZN7rocprim17ROCPRIM_400000_NS6detail17trampoline_kernelINS0_13select_configILj256ELj13ELNS0_17block_load_methodE3ELS4_3ELS4_3ELNS0_20block_scan_algorithmE0ELj4294967295EEENS1_25partition_config_selectorILNS1_17partition_subalgoE4EjNS0_10empty_typeEbEEZZNS1_14partition_implILS8_4ELb0ES6_15HIP_vector_typeIjLj2EENS0_17counting_iteratorIjlEEPS9_SG_NS0_5tupleIJPjSI_NS0_16reverse_iteratorISI_EEEEENSH_IJSG_SG_SG_EEES9_SI_JZNS1_25segmented_radix_sort_implINS0_14default_configELb1EPKiPiPKlPlN2at6native12_GLOBAL__N_18offset_tEEE10hipError_tPvRmT1_PNSt15iterator_traitsIS12_E10value_typeET2_T3_PNS13_IS18_E10value_typeET4_jRbjT5_S1E_jjP12ihipStream_tbEUljE_ZNSN_ISO_Lb1ESQ_SR_ST_SU_SY_EESZ_S10_S11_S12_S16_S17_S18_S1B_S1C_jS1D_jS1E_S1E_jjS1G_bEUljE0_EEESZ_S10_S11_S18_S1C_S1E_T6_T7_T9_mT8_S1G_bDpT10_ENKUlT_T0_E_clISt17integral_constantIbLb0EES1T_IbLb1EEEEDaS1P_S1Q_EUlS1P_E_NS1_11comp_targetILNS1_3genE10ELNS1_11target_archE1200ELNS1_3gpuE4ELNS1_3repE0EEENS1_30default_config_static_selectorELNS0_4arch9wavefront6targetE0EEEvS12_.num_named_barrier, 0
	.set _ZN7rocprim17ROCPRIM_400000_NS6detail17trampoline_kernelINS0_13select_configILj256ELj13ELNS0_17block_load_methodE3ELS4_3ELS4_3ELNS0_20block_scan_algorithmE0ELj4294967295EEENS1_25partition_config_selectorILNS1_17partition_subalgoE4EjNS0_10empty_typeEbEEZZNS1_14partition_implILS8_4ELb0ES6_15HIP_vector_typeIjLj2EENS0_17counting_iteratorIjlEEPS9_SG_NS0_5tupleIJPjSI_NS0_16reverse_iteratorISI_EEEEENSH_IJSG_SG_SG_EEES9_SI_JZNS1_25segmented_radix_sort_implINS0_14default_configELb1EPKiPiPKlPlN2at6native12_GLOBAL__N_18offset_tEEE10hipError_tPvRmT1_PNSt15iterator_traitsIS12_E10value_typeET2_T3_PNS13_IS18_E10value_typeET4_jRbjT5_S1E_jjP12ihipStream_tbEUljE_ZNSN_ISO_Lb1ESQ_SR_ST_SU_SY_EESZ_S10_S11_S12_S16_S17_S18_S1B_S1C_jS1D_jS1E_S1E_jjS1G_bEUljE0_EEESZ_S10_S11_S18_S1C_S1E_T6_T7_T9_mT8_S1G_bDpT10_ENKUlT_T0_E_clISt17integral_constantIbLb0EES1T_IbLb1EEEEDaS1P_S1Q_EUlS1P_E_NS1_11comp_targetILNS1_3genE10ELNS1_11target_archE1200ELNS1_3gpuE4ELNS1_3repE0EEENS1_30default_config_static_selectorELNS0_4arch9wavefront6targetE0EEEvS12_.private_seg_size, 0
	.set _ZN7rocprim17ROCPRIM_400000_NS6detail17trampoline_kernelINS0_13select_configILj256ELj13ELNS0_17block_load_methodE3ELS4_3ELS4_3ELNS0_20block_scan_algorithmE0ELj4294967295EEENS1_25partition_config_selectorILNS1_17partition_subalgoE4EjNS0_10empty_typeEbEEZZNS1_14partition_implILS8_4ELb0ES6_15HIP_vector_typeIjLj2EENS0_17counting_iteratorIjlEEPS9_SG_NS0_5tupleIJPjSI_NS0_16reverse_iteratorISI_EEEEENSH_IJSG_SG_SG_EEES9_SI_JZNS1_25segmented_radix_sort_implINS0_14default_configELb1EPKiPiPKlPlN2at6native12_GLOBAL__N_18offset_tEEE10hipError_tPvRmT1_PNSt15iterator_traitsIS12_E10value_typeET2_T3_PNS13_IS18_E10value_typeET4_jRbjT5_S1E_jjP12ihipStream_tbEUljE_ZNSN_ISO_Lb1ESQ_SR_ST_SU_SY_EESZ_S10_S11_S12_S16_S17_S18_S1B_S1C_jS1D_jS1E_S1E_jjS1G_bEUljE0_EEESZ_S10_S11_S18_S1C_S1E_T6_T7_T9_mT8_S1G_bDpT10_ENKUlT_T0_E_clISt17integral_constantIbLb0EES1T_IbLb1EEEEDaS1P_S1Q_EUlS1P_E_NS1_11comp_targetILNS1_3genE10ELNS1_11target_archE1200ELNS1_3gpuE4ELNS1_3repE0EEENS1_30default_config_static_selectorELNS0_4arch9wavefront6targetE0EEEvS12_.uses_vcc, 0
	.set _ZN7rocprim17ROCPRIM_400000_NS6detail17trampoline_kernelINS0_13select_configILj256ELj13ELNS0_17block_load_methodE3ELS4_3ELS4_3ELNS0_20block_scan_algorithmE0ELj4294967295EEENS1_25partition_config_selectorILNS1_17partition_subalgoE4EjNS0_10empty_typeEbEEZZNS1_14partition_implILS8_4ELb0ES6_15HIP_vector_typeIjLj2EENS0_17counting_iteratorIjlEEPS9_SG_NS0_5tupleIJPjSI_NS0_16reverse_iteratorISI_EEEEENSH_IJSG_SG_SG_EEES9_SI_JZNS1_25segmented_radix_sort_implINS0_14default_configELb1EPKiPiPKlPlN2at6native12_GLOBAL__N_18offset_tEEE10hipError_tPvRmT1_PNSt15iterator_traitsIS12_E10value_typeET2_T3_PNS13_IS18_E10value_typeET4_jRbjT5_S1E_jjP12ihipStream_tbEUljE_ZNSN_ISO_Lb1ESQ_SR_ST_SU_SY_EESZ_S10_S11_S12_S16_S17_S18_S1B_S1C_jS1D_jS1E_S1E_jjS1G_bEUljE0_EEESZ_S10_S11_S18_S1C_S1E_T6_T7_T9_mT8_S1G_bDpT10_ENKUlT_T0_E_clISt17integral_constantIbLb0EES1T_IbLb1EEEEDaS1P_S1Q_EUlS1P_E_NS1_11comp_targetILNS1_3genE10ELNS1_11target_archE1200ELNS1_3gpuE4ELNS1_3repE0EEENS1_30default_config_static_selectorELNS0_4arch9wavefront6targetE0EEEvS12_.uses_flat_scratch, 0
	.set _ZN7rocprim17ROCPRIM_400000_NS6detail17trampoline_kernelINS0_13select_configILj256ELj13ELNS0_17block_load_methodE3ELS4_3ELS4_3ELNS0_20block_scan_algorithmE0ELj4294967295EEENS1_25partition_config_selectorILNS1_17partition_subalgoE4EjNS0_10empty_typeEbEEZZNS1_14partition_implILS8_4ELb0ES6_15HIP_vector_typeIjLj2EENS0_17counting_iteratorIjlEEPS9_SG_NS0_5tupleIJPjSI_NS0_16reverse_iteratorISI_EEEEENSH_IJSG_SG_SG_EEES9_SI_JZNS1_25segmented_radix_sort_implINS0_14default_configELb1EPKiPiPKlPlN2at6native12_GLOBAL__N_18offset_tEEE10hipError_tPvRmT1_PNSt15iterator_traitsIS12_E10value_typeET2_T3_PNS13_IS18_E10value_typeET4_jRbjT5_S1E_jjP12ihipStream_tbEUljE_ZNSN_ISO_Lb1ESQ_SR_ST_SU_SY_EESZ_S10_S11_S12_S16_S17_S18_S1B_S1C_jS1D_jS1E_S1E_jjS1G_bEUljE0_EEESZ_S10_S11_S18_S1C_S1E_T6_T7_T9_mT8_S1G_bDpT10_ENKUlT_T0_E_clISt17integral_constantIbLb0EES1T_IbLb1EEEEDaS1P_S1Q_EUlS1P_E_NS1_11comp_targetILNS1_3genE10ELNS1_11target_archE1200ELNS1_3gpuE4ELNS1_3repE0EEENS1_30default_config_static_selectorELNS0_4arch9wavefront6targetE0EEEvS12_.has_dyn_sized_stack, 0
	.set _ZN7rocprim17ROCPRIM_400000_NS6detail17trampoline_kernelINS0_13select_configILj256ELj13ELNS0_17block_load_methodE3ELS4_3ELS4_3ELNS0_20block_scan_algorithmE0ELj4294967295EEENS1_25partition_config_selectorILNS1_17partition_subalgoE4EjNS0_10empty_typeEbEEZZNS1_14partition_implILS8_4ELb0ES6_15HIP_vector_typeIjLj2EENS0_17counting_iteratorIjlEEPS9_SG_NS0_5tupleIJPjSI_NS0_16reverse_iteratorISI_EEEEENSH_IJSG_SG_SG_EEES9_SI_JZNS1_25segmented_radix_sort_implINS0_14default_configELb1EPKiPiPKlPlN2at6native12_GLOBAL__N_18offset_tEEE10hipError_tPvRmT1_PNSt15iterator_traitsIS12_E10value_typeET2_T3_PNS13_IS18_E10value_typeET4_jRbjT5_S1E_jjP12ihipStream_tbEUljE_ZNSN_ISO_Lb1ESQ_SR_ST_SU_SY_EESZ_S10_S11_S12_S16_S17_S18_S1B_S1C_jS1D_jS1E_S1E_jjS1G_bEUljE0_EEESZ_S10_S11_S18_S1C_S1E_T6_T7_T9_mT8_S1G_bDpT10_ENKUlT_T0_E_clISt17integral_constantIbLb0EES1T_IbLb1EEEEDaS1P_S1Q_EUlS1P_E_NS1_11comp_targetILNS1_3genE10ELNS1_11target_archE1200ELNS1_3gpuE4ELNS1_3repE0EEENS1_30default_config_static_selectorELNS0_4arch9wavefront6targetE0EEEvS12_.has_recursion, 0
	.set _ZN7rocprim17ROCPRIM_400000_NS6detail17trampoline_kernelINS0_13select_configILj256ELj13ELNS0_17block_load_methodE3ELS4_3ELS4_3ELNS0_20block_scan_algorithmE0ELj4294967295EEENS1_25partition_config_selectorILNS1_17partition_subalgoE4EjNS0_10empty_typeEbEEZZNS1_14partition_implILS8_4ELb0ES6_15HIP_vector_typeIjLj2EENS0_17counting_iteratorIjlEEPS9_SG_NS0_5tupleIJPjSI_NS0_16reverse_iteratorISI_EEEEENSH_IJSG_SG_SG_EEES9_SI_JZNS1_25segmented_radix_sort_implINS0_14default_configELb1EPKiPiPKlPlN2at6native12_GLOBAL__N_18offset_tEEE10hipError_tPvRmT1_PNSt15iterator_traitsIS12_E10value_typeET2_T3_PNS13_IS18_E10value_typeET4_jRbjT5_S1E_jjP12ihipStream_tbEUljE_ZNSN_ISO_Lb1ESQ_SR_ST_SU_SY_EESZ_S10_S11_S12_S16_S17_S18_S1B_S1C_jS1D_jS1E_S1E_jjS1G_bEUljE0_EEESZ_S10_S11_S18_S1C_S1E_T6_T7_T9_mT8_S1G_bDpT10_ENKUlT_T0_E_clISt17integral_constantIbLb0EES1T_IbLb1EEEEDaS1P_S1Q_EUlS1P_E_NS1_11comp_targetILNS1_3genE10ELNS1_11target_archE1200ELNS1_3gpuE4ELNS1_3repE0EEENS1_30default_config_static_selectorELNS0_4arch9wavefront6targetE0EEEvS12_.has_indirect_call, 0
	.section	.AMDGPU.csdata,"",@progbits
; Kernel info:
; codeLenInByte = 0
; TotalNumSgprs: 0
; NumVgprs: 0
; ScratchSize: 0
; MemoryBound: 0
; FloatMode: 240
; IeeeMode: 1
; LDSByteSize: 0 bytes/workgroup (compile time only)
; SGPRBlocks: 0
; VGPRBlocks: 0
; NumSGPRsForWavesPerEU: 1
; NumVGPRsForWavesPerEU: 1
; NamedBarCnt: 0
; Occupancy: 16
; WaveLimiterHint : 0
; COMPUTE_PGM_RSRC2:SCRATCH_EN: 0
; COMPUTE_PGM_RSRC2:USER_SGPR: 2
; COMPUTE_PGM_RSRC2:TRAP_HANDLER: 0
; COMPUTE_PGM_RSRC2:TGID_X_EN: 1
; COMPUTE_PGM_RSRC2:TGID_Y_EN: 0
; COMPUTE_PGM_RSRC2:TGID_Z_EN: 0
; COMPUTE_PGM_RSRC2:TIDIG_COMP_CNT: 0
	.section	.text._ZN7rocprim17ROCPRIM_400000_NS6detail17trampoline_kernelINS0_13select_configILj256ELj13ELNS0_17block_load_methodE3ELS4_3ELS4_3ELNS0_20block_scan_algorithmE0ELj4294967295EEENS1_25partition_config_selectorILNS1_17partition_subalgoE4EjNS0_10empty_typeEbEEZZNS1_14partition_implILS8_4ELb0ES6_15HIP_vector_typeIjLj2EENS0_17counting_iteratorIjlEEPS9_SG_NS0_5tupleIJPjSI_NS0_16reverse_iteratorISI_EEEEENSH_IJSG_SG_SG_EEES9_SI_JZNS1_25segmented_radix_sort_implINS0_14default_configELb1EPKiPiPKlPlN2at6native12_GLOBAL__N_18offset_tEEE10hipError_tPvRmT1_PNSt15iterator_traitsIS12_E10value_typeET2_T3_PNS13_IS18_E10value_typeET4_jRbjT5_S1E_jjP12ihipStream_tbEUljE_ZNSN_ISO_Lb1ESQ_SR_ST_SU_SY_EESZ_S10_S11_S12_S16_S17_S18_S1B_S1C_jS1D_jS1E_S1E_jjS1G_bEUljE0_EEESZ_S10_S11_S18_S1C_S1E_T6_T7_T9_mT8_S1G_bDpT10_ENKUlT_T0_E_clISt17integral_constantIbLb0EES1T_IbLb1EEEEDaS1P_S1Q_EUlS1P_E_NS1_11comp_targetILNS1_3genE9ELNS1_11target_archE1100ELNS1_3gpuE3ELNS1_3repE0EEENS1_30default_config_static_selectorELNS0_4arch9wavefront6targetE0EEEvS12_,"axG",@progbits,_ZN7rocprim17ROCPRIM_400000_NS6detail17trampoline_kernelINS0_13select_configILj256ELj13ELNS0_17block_load_methodE3ELS4_3ELS4_3ELNS0_20block_scan_algorithmE0ELj4294967295EEENS1_25partition_config_selectorILNS1_17partition_subalgoE4EjNS0_10empty_typeEbEEZZNS1_14partition_implILS8_4ELb0ES6_15HIP_vector_typeIjLj2EENS0_17counting_iteratorIjlEEPS9_SG_NS0_5tupleIJPjSI_NS0_16reverse_iteratorISI_EEEEENSH_IJSG_SG_SG_EEES9_SI_JZNS1_25segmented_radix_sort_implINS0_14default_configELb1EPKiPiPKlPlN2at6native12_GLOBAL__N_18offset_tEEE10hipError_tPvRmT1_PNSt15iterator_traitsIS12_E10value_typeET2_T3_PNS13_IS18_E10value_typeET4_jRbjT5_S1E_jjP12ihipStream_tbEUljE_ZNSN_ISO_Lb1ESQ_SR_ST_SU_SY_EESZ_S10_S11_S12_S16_S17_S18_S1B_S1C_jS1D_jS1E_S1E_jjS1G_bEUljE0_EEESZ_S10_S11_S18_S1C_S1E_T6_T7_T9_mT8_S1G_bDpT10_ENKUlT_T0_E_clISt17integral_constantIbLb0EES1T_IbLb1EEEEDaS1P_S1Q_EUlS1P_E_NS1_11comp_targetILNS1_3genE9ELNS1_11target_archE1100ELNS1_3gpuE3ELNS1_3repE0EEENS1_30default_config_static_selectorELNS0_4arch9wavefront6targetE0EEEvS12_,comdat
	.globl	_ZN7rocprim17ROCPRIM_400000_NS6detail17trampoline_kernelINS0_13select_configILj256ELj13ELNS0_17block_load_methodE3ELS4_3ELS4_3ELNS0_20block_scan_algorithmE0ELj4294967295EEENS1_25partition_config_selectorILNS1_17partition_subalgoE4EjNS0_10empty_typeEbEEZZNS1_14partition_implILS8_4ELb0ES6_15HIP_vector_typeIjLj2EENS0_17counting_iteratorIjlEEPS9_SG_NS0_5tupleIJPjSI_NS0_16reverse_iteratorISI_EEEEENSH_IJSG_SG_SG_EEES9_SI_JZNS1_25segmented_radix_sort_implINS0_14default_configELb1EPKiPiPKlPlN2at6native12_GLOBAL__N_18offset_tEEE10hipError_tPvRmT1_PNSt15iterator_traitsIS12_E10value_typeET2_T3_PNS13_IS18_E10value_typeET4_jRbjT5_S1E_jjP12ihipStream_tbEUljE_ZNSN_ISO_Lb1ESQ_SR_ST_SU_SY_EESZ_S10_S11_S12_S16_S17_S18_S1B_S1C_jS1D_jS1E_S1E_jjS1G_bEUljE0_EEESZ_S10_S11_S18_S1C_S1E_T6_T7_T9_mT8_S1G_bDpT10_ENKUlT_T0_E_clISt17integral_constantIbLb0EES1T_IbLb1EEEEDaS1P_S1Q_EUlS1P_E_NS1_11comp_targetILNS1_3genE9ELNS1_11target_archE1100ELNS1_3gpuE3ELNS1_3repE0EEENS1_30default_config_static_selectorELNS0_4arch9wavefront6targetE0EEEvS12_ ; -- Begin function _ZN7rocprim17ROCPRIM_400000_NS6detail17trampoline_kernelINS0_13select_configILj256ELj13ELNS0_17block_load_methodE3ELS4_3ELS4_3ELNS0_20block_scan_algorithmE0ELj4294967295EEENS1_25partition_config_selectorILNS1_17partition_subalgoE4EjNS0_10empty_typeEbEEZZNS1_14partition_implILS8_4ELb0ES6_15HIP_vector_typeIjLj2EENS0_17counting_iteratorIjlEEPS9_SG_NS0_5tupleIJPjSI_NS0_16reverse_iteratorISI_EEEEENSH_IJSG_SG_SG_EEES9_SI_JZNS1_25segmented_radix_sort_implINS0_14default_configELb1EPKiPiPKlPlN2at6native12_GLOBAL__N_18offset_tEEE10hipError_tPvRmT1_PNSt15iterator_traitsIS12_E10value_typeET2_T3_PNS13_IS18_E10value_typeET4_jRbjT5_S1E_jjP12ihipStream_tbEUljE_ZNSN_ISO_Lb1ESQ_SR_ST_SU_SY_EESZ_S10_S11_S12_S16_S17_S18_S1B_S1C_jS1D_jS1E_S1E_jjS1G_bEUljE0_EEESZ_S10_S11_S18_S1C_S1E_T6_T7_T9_mT8_S1G_bDpT10_ENKUlT_T0_E_clISt17integral_constantIbLb0EES1T_IbLb1EEEEDaS1P_S1Q_EUlS1P_E_NS1_11comp_targetILNS1_3genE9ELNS1_11target_archE1100ELNS1_3gpuE3ELNS1_3repE0EEENS1_30default_config_static_selectorELNS0_4arch9wavefront6targetE0EEEvS12_
	.p2align	8
	.type	_ZN7rocprim17ROCPRIM_400000_NS6detail17trampoline_kernelINS0_13select_configILj256ELj13ELNS0_17block_load_methodE3ELS4_3ELS4_3ELNS0_20block_scan_algorithmE0ELj4294967295EEENS1_25partition_config_selectorILNS1_17partition_subalgoE4EjNS0_10empty_typeEbEEZZNS1_14partition_implILS8_4ELb0ES6_15HIP_vector_typeIjLj2EENS0_17counting_iteratorIjlEEPS9_SG_NS0_5tupleIJPjSI_NS0_16reverse_iteratorISI_EEEEENSH_IJSG_SG_SG_EEES9_SI_JZNS1_25segmented_radix_sort_implINS0_14default_configELb1EPKiPiPKlPlN2at6native12_GLOBAL__N_18offset_tEEE10hipError_tPvRmT1_PNSt15iterator_traitsIS12_E10value_typeET2_T3_PNS13_IS18_E10value_typeET4_jRbjT5_S1E_jjP12ihipStream_tbEUljE_ZNSN_ISO_Lb1ESQ_SR_ST_SU_SY_EESZ_S10_S11_S12_S16_S17_S18_S1B_S1C_jS1D_jS1E_S1E_jjS1G_bEUljE0_EEESZ_S10_S11_S18_S1C_S1E_T6_T7_T9_mT8_S1G_bDpT10_ENKUlT_T0_E_clISt17integral_constantIbLb0EES1T_IbLb1EEEEDaS1P_S1Q_EUlS1P_E_NS1_11comp_targetILNS1_3genE9ELNS1_11target_archE1100ELNS1_3gpuE3ELNS1_3repE0EEENS1_30default_config_static_selectorELNS0_4arch9wavefront6targetE0EEEvS12_,@function
_ZN7rocprim17ROCPRIM_400000_NS6detail17trampoline_kernelINS0_13select_configILj256ELj13ELNS0_17block_load_methodE3ELS4_3ELS4_3ELNS0_20block_scan_algorithmE0ELj4294967295EEENS1_25partition_config_selectorILNS1_17partition_subalgoE4EjNS0_10empty_typeEbEEZZNS1_14partition_implILS8_4ELb0ES6_15HIP_vector_typeIjLj2EENS0_17counting_iteratorIjlEEPS9_SG_NS0_5tupleIJPjSI_NS0_16reverse_iteratorISI_EEEEENSH_IJSG_SG_SG_EEES9_SI_JZNS1_25segmented_radix_sort_implINS0_14default_configELb1EPKiPiPKlPlN2at6native12_GLOBAL__N_18offset_tEEE10hipError_tPvRmT1_PNSt15iterator_traitsIS12_E10value_typeET2_T3_PNS13_IS18_E10value_typeET4_jRbjT5_S1E_jjP12ihipStream_tbEUljE_ZNSN_ISO_Lb1ESQ_SR_ST_SU_SY_EESZ_S10_S11_S12_S16_S17_S18_S1B_S1C_jS1D_jS1E_S1E_jjS1G_bEUljE0_EEESZ_S10_S11_S18_S1C_S1E_T6_T7_T9_mT8_S1G_bDpT10_ENKUlT_T0_E_clISt17integral_constantIbLb0EES1T_IbLb1EEEEDaS1P_S1Q_EUlS1P_E_NS1_11comp_targetILNS1_3genE9ELNS1_11target_archE1100ELNS1_3gpuE3ELNS1_3repE0EEENS1_30default_config_static_selectorELNS0_4arch9wavefront6targetE0EEEvS12_: ; @_ZN7rocprim17ROCPRIM_400000_NS6detail17trampoline_kernelINS0_13select_configILj256ELj13ELNS0_17block_load_methodE3ELS4_3ELS4_3ELNS0_20block_scan_algorithmE0ELj4294967295EEENS1_25partition_config_selectorILNS1_17partition_subalgoE4EjNS0_10empty_typeEbEEZZNS1_14partition_implILS8_4ELb0ES6_15HIP_vector_typeIjLj2EENS0_17counting_iteratorIjlEEPS9_SG_NS0_5tupleIJPjSI_NS0_16reverse_iteratorISI_EEEEENSH_IJSG_SG_SG_EEES9_SI_JZNS1_25segmented_radix_sort_implINS0_14default_configELb1EPKiPiPKlPlN2at6native12_GLOBAL__N_18offset_tEEE10hipError_tPvRmT1_PNSt15iterator_traitsIS12_E10value_typeET2_T3_PNS13_IS18_E10value_typeET4_jRbjT5_S1E_jjP12ihipStream_tbEUljE_ZNSN_ISO_Lb1ESQ_SR_ST_SU_SY_EESZ_S10_S11_S12_S16_S17_S18_S1B_S1C_jS1D_jS1E_S1E_jjS1G_bEUljE0_EEESZ_S10_S11_S18_S1C_S1E_T6_T7_T9_mT8_S1G_bDpT10_ENKUlT_T0_E_clISt17integral_constantIbLb0EES1T_IbLb1EEEEDaS1P_S1Q_EUlS1P_E_NS1_11comp_targetILNS1_3genE9ELNS1_11target_archE1100ELNS1_3gpuE3ELNS1_3repE0EEENS1_30default_config_static_selectorELNS0_4arch9wavefront6targetE0EEEvS12_
; %bb.0:
	.section	.rodata,"a",@progbits
	.p2align	6, 0x0
	.amdhsa_kernel _ZN7rocprim17ROCPRIM_400000_NS6detail17trampoline_kernelINS0_13select_configILj256ELj13ELNS0_17block_load_methodE3ELS4_3ELS4_3ELNS0_20block_scan_algorithmE0ELj4294967295EEENS1_25partition_config_selectorILNS1_17partition_subalgoE4EjNS0_10empty_typeEbEEZZNS1_14partition_implILS8_4ELb0ES6_15HIP_vector_typeIjLj2EENS0_17counting_iteratorIjlEEPS9_SG_NS0_5tupleIJPjSI_NS0_16reverse_iteratorISI_EEEEENSH_IJSG_SG_SG_EEES9_SI_JZNS1_25segmented_radix_sort_implINS0_14default_configELb1EPKiPiPKlPlN2at6native12_GLOBAL__N_18offset_tEEE10hipError_tPvRmT1_PNSt15iterator_traitsIS12_E10value_typeET2_T3_PNS13_IS18_E10value_typeET4_jRbjT5_S1E_jjP12ihipStream_tbEUljE_ZNSN_ISO_Lb1ESQ_SR_ST_SU_SY_EESZ_S10_S11_S12_S16_S17_S18_S1B_S1C_jS1D_jS1E_S1E_jjS1G_bEUljE0_EEESZ_S10_S11_S18_S1C_S1E_T6_T7_T9_mT8_S1G_bDpT10_ENKUlT_T0_E_clISt17integral_constantIbLb0EES1T_IbLb1EEEEDaS1P_S1Q_EUlS1P_E_NS1_11comp_targetILNS1_3genE9ELNS1_11target_archE1100ELNS1_3gpuE3ELNS1_3repE0EEENS1_30default_config_static_selectorELNS0_4arch9wavefront6targetE0EEEvS12_
		.amdhsa_group_segment_fixed_size 0
		.amdhsa_private_segment_fixed_size 0
		.amdhsa_kernarg_size 184
		.amdhsa_user_sgpr_count 2
		.amdhsa_user_sgpr_dispatch_ptr 0
		.amdhsa_user_sgpr_queue_ptr 0
		.amdhsa_user_sgpr_kernarg_segment_ptr 1
		.amdhsa_user_sgpr_dispatch_id 0
		.amdhsa_user_sgpr_kernarg_preload_length 0
		.amdhsa_user_sgpr_kernarg_preload_offset 0
		.amdhsa_user_sgpr_private_segment_size 0
		.amdhsa_wavefront_size32 1
		.amdhsa_uses_dynamic_stack 0
		.amdhsa_enable_private_segment 0
		.amdhsa_system_sgpr_workgroup_id_x 1
		.amdhsa_system_sgpr_workgroup_id_y 0
		.amdhsa_system_sgpr_workgroup_id_z 0
		.amdhsa_system_sgpr_workgroup_info 0
		.amdhsa_system_vgpr_workitem_id 0
		.amdhsa_next_free_vgpr 1
		.amdhsa_next_free_sgpr 1
		.amdhsa_named_barrier_count 0
		.amdhsa_reserve_vcc 0
		.amdhsa_float_round_mode_32 0
		.amdhsa_float_round_mode_16_64 0
		.amdhsa_float_denorm_mode_32 3
		.amdhsa_float_denorm_mode_16_64 3
		.amdhsa_fp16_overflow 0
		.amdhsa_memory_ordered 1
		.amdhsa_forward_progress 1
		.amdhsa_inst_pref_size 0
		.amdhsa_round_robin_scheduling 0
		.amdhsa_exception_fp_ieee_invalid_op 0
		.amdhsa_exception_fp_denorm_src 0
		.amdhsa_exception_fp_ieee_div_zero 0
		.amdhsa_exception_fp_ieee_overflow 0
		.amdhsa_exception_fp_ieee_underflow 0
		.amdhsa_exception_fp_ieee_inexact 0
		.amdhsa_exception_int_div_zero 0
	.end_amdhsa_kernel
	.section	.text._ZN7rocprim17ROCPRIM_400000_NS6detail17trampoline_kernelINS0_13select_configILj256ELj13ELNS0_17block_load_methodE3ELS4_3ELS4_3ELNS0_20block_scan_algorithmE0ELj4294967295EEENS1_25partition_config_selectorILNS1_17partition_subalgoE4EjNS0_10empty_typeEbEEZZNS1_14partition_implILS8_4ELb0ES6_15HIP_vector_typeIjLj2EENS0_17counting_iteratorIjlEEPS9_SG_NS0_5tupleIJPjSI_NS0_16reverse_iteratorISI_EEEEENSH_IJSG_SG_SG_EEES9_SI_JZNS1_25segmented_radix_sort_implINS0_14default_configELb1EPKiPiPKlPlN2at6native12_GLOBAL__N_18offset_tEEE10hipError_tPvRmT1_PNSt15iterator_traitsIS12_E10value_typeET2_T3_PNS13_IS18_E10value_typeET4_jRbjT5_S1E_jjP12ihipStream_tbEUljE_ZNSN_ISO_Lb1ESQ_SR_ST_SU_SY_EESZ_S10_S11_S12_S16_S17_S18_S1B_S1C_jS1D_jS1E_S1E_jjS1G_bEUljE0_EEESZ_S10_S11_S18_S1C_S1E_T6_T7_T9_mT8_S1G_bDpT10_ENKUlT_T0_E_clISt17integral_constantIbLb0EES1T_IbLb1EEEEDaS1P_S1Q_EUlS1P_E_NS1_11comp_targetILNS1_3genE9ELNS1_11target_archE1100ELNS1_3gpuE3ELNS1_3repE0EEENS1_30default_config_static_selectorELNS0_4arch9wavefront6targetE0EEEvS12_,"axG",@progbits,_ZN7rocprim17ROCPRIM_400000_NS6detail17trampoline_kernelINS0_13select_configILj256ELj13ELNS0_17block_load_methodE3ELS4_3ELS4_3ELNS0_20block_scan_algorithmE0ELj4294967295EEENS1_25partition_config_selectorILNS1_17partition_subalgoE4EjNS0_10empty_typeEbEEZZNS1_14partition_implILS8_4ELb0ES6_15HIP_vector_typeIjLj2EENS0_17counting_iteratorIjlEEPS9_SG_NS0_5tupleIJPjSI_NS0_16reverse_iteratorISI_EEEEENSH_IJSG_SG_SG_EEES9_SI_JZNS1_25segmented_radix_sort_implINS0_14default_configELb1EPKiPiPKlPlN2at6native12_GLOBAL__N_18offset_tEEE10hipError_tPvRmT1_PNSt15iterator_traitsIS12_E10value_typeET2_T3_PNS13_IS18_E10value_typeET4_jRbjT5_S1E_jjP12ihipStream_tbEUljE_ZNSN_ISO_Lb1ESQ_SR_ST_SU_SY_EESZ_S10_S11_S12_S16_S17_S18_S1B_S1C_jS1D_jS1E_S1E_jjS1G_bEUljE0_EEESZ_S10_S11_S18_S1C_S1E_T6_T7_T9_mT8_S1G_bDpT10_ENKUlT_T0_E_clISt17integral_constantIbLb0EES1T_IbLb1EEEEDaS1P_S1Q_EUlS1P_E_NS1_11comp_targetILNS1_3genE9ELNS1_11target_archE1100ELNS1_3gpuE3ELNS1_3repE0EEENS1_30default_config_static_selectorELNS0_4arch9wavefront6targetE0EEEvS12_,comdat
.Lfunc_end459:
	.size	_ZN7rocprim17ROCPRIM_400000_NS6detail17trampoline_kernelINS0_13select_configILj256ELj13ELNS0_17block_load_methodE3ELS4_3ELS4_3ELNS0_20block_scan_algorithmE0ELj4294967295EEENS1_25partition_config_selectorILNS1_17partition_subalgoE4EjNS0_10empty_typeEbEEZZNS1_14partition_implILS8_4ELb0ES6_15HIP_vector_typeIjLj2EENS0_17counting_iteratorIjlEEPS9_SG_NS0_5tupleIJPjSI_NS0_16reverse_iteratorISI_EEEEENSH_IJSG_SG_SG_EEES9_SI_JZNS1_25segmented_radix_sort_implINS0_14default_configELb1EPKiPiPKlPlN2at6native12_GLOBAL__N_18offset_tEEE10hipError_tPvRmT1_PNSt15iterator_traitsIS12_E10value_typeET2_T3_PNS13_IS18_E10value_typeET4_jRbjT5_S1E_jjP12ihipStream_tbEUljE_ZNSN_ISO_Lb1ESQ_SR_ST_SU_SY_EESZ_S10_S11_S12_S16_S17_S18_S1B_S1C_jS1D_jS1E_S1E_jjS1G_bEUljE0_EEESZ_S10_S11_S18_S1C_S1E_T6_T7_T9_mT8_S1G_bDpT10_ENKUlT_T0_E_clISt17integral_constantIbLb0EES1T_IbLb1EEEEDaS1P_S1Q_EUlS1P_E_NS1_11comp_targetILNS1_3genE9ELNS1_11target_archE1100ELNS1_3gpuE3ELNS1_3repE0EEENS1_30default_config_static_selectorELNS0_4arch9wavefront6targetE0EEEvS12_, .Lfunc_end459-_ZN7rocprim17ROCPRIM_400000_NS6detail17trampoline_kernelINS0_13select_configILj256ELj13ELNS0_17block_load_methodE3ELS4_3ELS4_3ELNS0_20block_scan_algorithmE0ELj4294967295EEENS1_25partition_config_selectorILNS1_17partition_subalgoE4EjNS0_10empty_typeEbEEZZNS1_14partition_implILS8_4ELb0ES6_15HIP_vector_typeIjLj2EENS0_17counting_iteratorIjlEEPS9_SG_NS0_5tupleIJPjSI_NS0_16reverse_iteratorISI_EEEEENSH_IJSG_SG_SG_EEES9_SI_JZNS1_25segmented_radix_sort_implINS0_14default_configELb1EPKiPiPKlPlN2at6native12_GLOBAL__N_18offset_tEEE10hipError_tPvRmT1_PNSt15iterator_traitsIS12_E10value_typeET2_T3_PNS13_IS18_E10value_typeET4_jRbjT5_S1E_jjP12ihipStream_tbEUljE_ZNSN_ISO_Lb1ESQ_SR_ST_SU_SY_EESZ_S10_S11_S12_S16_S17_S18_S1B_S1C_jS1D_jS1E_S1E_jjS1G_bEUljE0_EEESZ_S10_S11_S18_S1C_S1E_T6_T7_T9_mT8_S1G_bDpT10_ENKUlT_T0_E_clISt17integral_constantIbLb0EES1T_IbLb1EEEEDaS1P_S1Q_EUlS1P_E_NS1_11comp_targetILNS1_3genE9ELNS1_11target_archE1100ELNS1_3gpuE3ELNS1_3repE0EEENS1_30default_config_static_selectorELNS0_4arch9wavefront6targetE0EEEvS12_
                                        ; -- End function
	.set _ZN7rocprim17ROCPRIM_400000_NS6detail17trampoline_kernelINS0_13select_configILj256ELj13ELNS0_17block_load_methodE3ELS4_3ELS4_3ELNS0_20block_scan_algorithmE0ELj4294967295EEENS1_25partition_config_selectorILNS1_17partition_subalgoE4EjNS0_10empty_typeEbEEZZNS1_14partition_implILS8_4ELb0ES6_15HIP_vector_typeIjLj2EENS0_17counting_iteratorIjlEEPS9_SG_NS0_5tupleIJPjSI_NS0_16reverse_iteratorISI_EEEEENSH_IJSG_SG_SG_EEES9_SI_JZNS1_25segmented_radix_sort_implINS0_14default_configELb1EPKiPiPKlPlN2at6native12_GLOBAL__N_18offset_tEEE10hipError_tPvRmT1_PNSt15iterator_traitsIS12_E10value_typeET2_T3_PNS13_IS18_E10value_typeET4_jRbjT5_S1E_jjP12ihipStream_tbEUljE_ZNSN_ISO_Lb1ESQ_SR_ST_SU_SY_EESZ_S10_S11_S12_S16_S17_S18_S1B_S1C_jS1D_jS1E_S1E_jjS1G_bEUljE0_EEESZ_S10_S11_S18_S1C_S1E_T6_T7_T9_mT8_S1G_bDpT10_ENKUlT_T0_E_clISt17integral_constantIbLb0EES1T_IbLb1EEEEDaS1P_S1Q_EUlS1P_E_NS1_11comp_targetILNS1_3genE9ELNS1_11target_archE1100ELNS1_3gpuE3ELNS1_3repE0EEENS1_30default_config_static_selectorELNS0_4arch9wavefront6targetE0EEEvS12_.num_vgpr, 0
	.set _ZN7rocprim17ROCPRIM_400000_NS6detail17trampoline_kernelINS0_13select_configILj256ELj13ELNS0_17block_load_methodE3ELS4_3ELS4_3ELNS0_20block_scan_algorithmE0ELj4294967295EEENS1_25partition_config_selectorILNS1_17partition_subalgoE4EjNS0_10empty_typeEbEEZZNS1_14partition_implILS8_4ELb0ES6_15HIP_vector_typeIjLj2EENS0_17counting_iteratorIjlEEPS9_SG_NS0_5tupleIJPjSI_NS0_16reverse_iteratorISI_EEEEENSH_IJSG_SG_SG_EEES9_SI_JZNS1_25segmented_radix_sort_implINS0_14default_configELb1EPKiPiPKlPlN2at6native12_GLOBAL__N_18offset_tEEE10hipError_tPvRmT1_PNSt15iterator_traitsIS12_E10value_typeET2_T3_PNS13_IS18_E10value_typeET4_jRbjT5_S1E_jjP12ihipStream_tbEUljE_ZNSN_ISO_Lb1ESQ_SR_ST_SU_SY_EESZ_S10_S11_S12_S16_S17_S18_S1B_S1C_jS1D_jS1E_S1E_jjS1G_bEUljE0_EEESZ_S10_S11_S18_S1C_S1E_T6_T7_T9_mT8_S1G_bDpT10_ENKUlT_T0_E_clISt17integral_constantIbLb0EES1T_IbLb1EEEEDaS1P_S1Q_EUlS1P_E_NS1_11comp_targetILNS1_3genE9ELNS1_11target_archE1100ELNS1_3gpuE3ELNS1_3repE0EEENS1_30default_config_static_selectorELNS0_4arch9wavefront6targetE0EEEvS12_.num_agpr, 0
	.set _ZN7rocprim17ROCPRIM_400000_NS6detail17trampoline_kernelINS0_13select_configILj256ELj13ELNS0_17block_load_methodE3ELS4_3ELS4_3ELNS0_20block_scan_algorithmE0ELj4294967295EEENS1_25partition_config_selectorILNS1_17partition_subalgoE4EjNS0_10empty_typeEbEEZZNS1_14partition_implILS8_4ELb0ES6_15HIP_vector_typeIjLj2EENS0_17counting_iteratorIjlEEPS9_SG_NS0_5tupleIJPjSI_NS0_16reverse_iteratorISI_EEEEENSH_IJSG_SG_SG_EEES9_SI_JZNS1_25segmented_radix_sort_implINS0_14default_configELb1EPKiPiPKlPlN2at6native12_GLOBAL__N_18offset_tEEE10hipError_tPvRmT1_PNSt15iterator_traitsIS12_E10value_typeET2_T3_PNS13_IS18_E10value_typeET4_jRbjT5_S1E_jjP12ihipStream_tbEUljE_ZNSN_ISO_Lb1ESQ_SR_ST_SU_SY_EESZ_S10_S11_S12_S16_S17_S18_S1B_S1C_jS1D_jS1E_S1E_jjS1G_bEUljE0_EEESZ_S10_S11_S18_S1C_S1E_T6_T7_T9_mT8_S1G_bDpT10_ENKUlT_T0_E_clISt17integral_constantIbLb0EES1T_IbLb1EEEEDaS1P_S1Q_EUlS1P_E_NS1_11comp_targetILNS1_3genE9ELNS1_11target_archE1100ELNS1_3gpuE3ELNS1_3repE0EEENS1_30default_config_static_selectorELNS0_4arch9wavefront6targetE0EEEvS12_.numbered_sgpr, 0
	.set _ZN7rocprim17ROCPRIM_400000_NS6detail17trampoline_kernelINS0_13select_configILj256ELj13ELNS0_17block_load_methodE3ELS4_3ELS4_3ELNS0_20block_scan_algorithmE0ELj4294967295EEENS1_25partition_config_selectorILNS1_17partition_subalgoE4EjNS0_10empty_typeEbEEZZNS1_14partition_implILS8_4ELb0ES6_15HIP_vector_typeIjLj2EENS0_17counting_iteratorIjlEEPS9_SG_NS0_5tupleIJPjSI_NS0_16reverse_iteratorISI_EEEEENSH_IJSG_SG_SG_EEES9_SI_JZNS1_25segmented_radix_sort_implINS0_14default_configELb1EPKiPiPKlPlN2at6native12_GLOBAL__N_18offset_tEEE10hipError_tPvRmT1_PNSt15iterator_traitsIS12_E10value_typeET2_T3_PNS13_IS18_E10value_typeET4_jRbjT5_S1E_jjP12ihipStream_tbEUljE_ZNSN_ISO_Lb1ESQ_SR_ST_SU_SY_EESZ_S10_S11_S12_S16_S17_S18_S1B_S1C_jS1D_jS1E_S1E_jjS1G_bEUljE0_EEESZ_S10_S11_S18_S1C_S1E_T6_T7_T9_mT8_S1G_bDpT10_ENKUlT_T0_E_clISt17integral_constantIbLb0EES1T_IbLb1EEEEDaS1P_S1Q_EUlS1P_E_NS1_11comp_targetILNS1_3genE9ELNS1_11target_archE1100ELNS1_3gpuE3ELNS1_3repE0EEENS1_30default_config_static_selectorELNS0_4arch9wavefront6targetE0EEEvS12_.num_named_barrier, 0
	.set _ZN7rocprim17ROCPRIM_400000_NS6detail17trampoline_kernelINS0_13select_configILj256ELj13ELNS0_17block_load_methodE3ELS4_3ELS4_3ELNS0_20block_scan_algorithmE0ELj4294967295EEENS1_25partition_config_selectorILNS1_17partition_subalgoE4EjNS0_10empty_typeEbEEZZNS1_14partition_implILS8_4ELb0ES6_15HIP_vector_typeIjLj2EENS0_17counting_iteratorIjlEEPS9_SG_NS0_5tupleIJPjSI_NS0_16reverse_iteratorISI_EEEEENSH_IJSG_SG_SG_EEES9_SI_JZNS1_25segmented_radix_sort_implINS0_14default_configELb1EPKiPiPKlPlN2at6native12_GLOBAL__N_18offset_tEEE10hipError_tPvRmT1_PNSt15iterator_traitsIS12_E10value_typeET2_T3_PNS13_IS18_E10value_typeET4_jRbjT5_S1E_jjP12ihipStream_tbEUljE_ZNSN_ISO_Lb1ESQ_SR_ST_SU_SY_EESZ_S10_S11_S12_S16_S17_S18_S1B_S1C_jS1D_jS1E_S1E_jjS1G_bEUljE0_EEESZ_S10_S11_S18_S1C_S1E_T6_T7_T9_mT8_S1G_bDpT10_ENKUlT_T0_E_clISt17integral_constantIbLb0EES1T_IbLb1EEEEDaS1P_S1Q_EUlS1P_E_NS1_11comp_targetILNS1_3genE9ELNS1_11target_archE1100ELNS1_3gpuE3ELNS1_3repE0EEENS1_30default_config_static_selectorELNS0_4arch9wavefront6targetE0EEEvS12_.private_seg_size, 0
	.set _ZN7rocprim17ROCPRIM_400000_NS6detail17trampoline_kernelINS0_13select_configILj256ELj13ELNS0_17block_load_methodE3ELS4_3ELS4_3ELNS0_20block_scan_algorithmE0ELj4294967295EEENS1_25partition_config_selectorILNS1_17partition_subalgoE4EjNS0_10empty_typeEbEEZZNS1_14partition_implILS8_4ELb0ES6_15HIP_vector_typeIjLj2EENS0_17counting_iteratorIjlEEPS9_SG_NS0_5tupleIJPjSI_NS0_16reverse_iteratorISI_EEEEENSH_IJSG_SG_SG_EEES9_SI_JZNS1_25segmented_radix_sort_implINS0_14default_configELb1EPKiPiPKlPlN2at6native12_GLOBAL__N_18offset_tEEE10hipError_tPvRmT1_PNSt15iterator_traitsIS12_E10value_typeET2_T3_PNS13_IS18_E10value_typeET4_jRbjT5_S1E_jjP12ihipStream_tbEUljE_ZNSN_ISO_Lb1ESQ_SR_ST_SU_SY_EESZ_S10_S11_S12_S16_S17_S18_S1B_S1C_jS1D_jS1E_S1E_jjS1G_bEUljE0_EEESZ_S10_S11_S18_S1C_S1E_T6_T7_T9_mT8_S1G_bDpT10_ENKUlT_T0_E_clISt17integral_constantIbLb0EES1T_IbLb1EEEEDaS1P_S1Q_EUlS1P_E_NS1_11comp_targetILNS1_3genE9ELNS1_11target_archE1100ELNS1_3gpuE3ELNS1_3repE0EEENS1_30default_config_static_selectorELNS0_4arch9wavefront6targetE0EEEvS12_.uses_vcc, 0
	.set _ZN7rocprim17ROCPRIM_400000_NS6detail17trampoline_kernelINS0_13select_configILj256ELj13ELNS0_17block_load_methodE3ELS4_3ELS4_3ELNS0_20block_scan_algorithmE0ELj4294967295EEENS1_25partition_config_selectorILNS1_17partition_subalgoE4EjNS0_10empty_typeEbEEZZNS1_14partition_implILS8_4ELb0ES6_15HIP_vector_typeIjLj2EENS0_17counting_iteratorIjlEEPS9_SG_NS0_5tupleIJPjSI_NS0_16reverse_iteratorISI_EEEEENSH_IJSG_SG_SG_EEES9_SI_JZNS1_25segmented_radix_sort_implINS0_14default_configELb1EPKiPiPKlPlN2at6native12_GLOBAL__N_18offset_tEEE10hipError_tPvRmT1_PNSt15iterator_traitsIS12_E10value_typeET2_T3_PNS13_IS18_E10value_typeET4_jRbjT5_S1E_jjP12ihipStream_tbEUljE_ZNSN_ISO_Lb1ESQ_SR_ST_SU_SY_EESZ_S10_S11_S12_S16_S17_S18_S1B_S1C_jS1D_jS1E_S1E_jjS1G_bEUljE0_EEESZ_S10_S11_S18_S1C_S1E_T6_T7_T9_mT8_S1G_bDpT10_ENKUlT_T0_E_clISt17integral_constantIbLb0EES1T_IbLb1EEEEDaS1P_S1Q_EUlS1P_E_NS1_11comp_targetILNS1_3genE9ELNS1_11target_archE1100ELNS1_3gpuE3ELNS1_3repE0EEENS1_30default_config_static_selectorELNS0_4arch9wavefront6targetE0EEEvS12_.uses_flat_scratch, 0
	.set _ZN7rocprim17ROCPRIM_400000_NS6detail17trampoline_kernelINS0_13select_configILj256ELj13ELNS0_17block_load_methodE3ELS4_3ELS4_3ELNS0_20block_scan_algorithmE0ELj4294967295EEENS1_25partition_config_selectorILNS1_17partition_subalgoE4EjNS0_10empty_typeEbEEZZNS1_14partition_implILS8_4ELb0ES6_15HIP_vector_typeIjLj2EENS0_17counting_iteratorIjlEEPS9_SG_NS0_5tupleIJPjSI_NS0_16reverse_iteratorISI_EEEEENSH_IJSG_SG_SG_EEES9_SI_JZNS1_25segmented_radix_sort_implINS0_14default_configELb1EPKiPiPKlPlN2at6native12_GLOBAL__N_18offset_tEEE10hipError_tPvRmT1_PNSt15iterator_traitsIS12_E10value_typeET2_T3_PNS13_IS18_E10value_typeET4_jRbjT5_S1E_jjP12ihipStream_tbEUljE_ZNSN_ISO_Lb1ESQ_SR_ST_SU_SY_EESZ_S10_S11_S12_S16_S17_S18_S1B_S1C_jS1D_jS1E_S1E_jjS1G_bEUljE0_EEESZ_S10_S11_S18_S1C_S1E_T6_T7_T9_mT8_S1G_bDpT10_ENKUlT_T0_E_clISt17integral_constantIbLb0EES1T_IbLb1EEEEDaS1P_S1Q_EUlS1P_E_NS1_11comp_targetILNS1_3genE9ELNS1_11target_archE1100ELNS1_3gpuE3ELNS1_3repE0EEENS1_30default_config_static_selectorELNS0_4arch9wavefront6targetE0EEEvS12_.has_dyn_sized_stack, 0
	.set _ZN7rocprim17ROCPRIM_400000_NS6detail17trampoline_kernelINS0_13select_configILj256ELj13ELNS0_17block_load_methodE3ELS4_3ELS4_3ELNS0_20block_scan_algorithmE0ELj4294967295EEENS1_25partition_config_selectorILNS1_17partition_subalgoE4EjNS0_10empty_typeEbEEZZNS1_14partition_implILS8_4ELb0ES6_15HIP_vector_typeIjLj2EENS0_17counting_iteratorIjlEEPS9_SG_NS0_5tupleIJPjSI_NS0_16reverse_iteratorISI_EEEEENSH_IJSG_SG_SG_EEES9_SI_JZNS1_25segmented_radix_sort_implINS0_14default_configELb1EPKiPiPKlPlN2at6native12_GLOBAL__N_18offset_tEEE10hipError_tPvRmT1_PNSt15iterator_traitsIS12_E10value_typeET2_T3_PNS13_IS18_E10value_typeET4_jRbjT5_S1E_jjP12ihipStream_tbEUljE_ZNSN_ISO_Lb1ESQ_SR_ST_SU_SY_EESZ_S10_S11_S12_S16_S17_S18_S1B_S1C_jS1D_jS1E_S1E_jjS1G_bEUljE0_EEESZ_S10_S11_S18_S1C_S1E_T6_T7_T9_mT8_S1G_bDpT10_ENKUlT_T0_E_clISt17integral_constantIbLb0EES1T_IbLb1EEEEDaS1P_S1Q_EUlS1P_E_NS1_11comp_targetILNS1_3genE9ELNS1_11target_archE1100ELNS1_3gpuE3ELNS1_3repE0EEENS1_30default_config_static_selectorELNS0_4arch9wavefront6targetE0EEEvS12_.has_recursion, 0
	.set _ZN7rocprim17ROCPRIM_400000_NS6detail17trampoline_kernelINS0_13select_configILj256ELj13ELNS0_17block_load_methodE3ELS4_3ELS4_3ELNS0_20block_scan_algorithmE0ELj4294967295EEENS1_25partition_config_selectorILNS1_17partition_subalgoE4EjNS0_10empty_typeEbEEZZNS1_14partition_implILS8_4ELb0ES6_15HIP_vector_typeIjLj2EENS0_17counting_iteratorIjlEEPS9_SG_NS0_5tupleIJPjSI_NS0_16reverse_iteratorISI_EEEEENSH_IJSG_SG_SG_EEES9_SI_JZNS1_25segmented_radix_sort_implINS0_14default_configELb1EPKiPiPKlPlN2at6native12_GLOBAL__N_18offset_tEEE10hipError_tPvRmT1_PNSt15iterator_traitsIS12_E10value_typeET2_T3_PNS13_IS18_E10value_typeET4_jRbjT5_S1E_jjP12ihipStream_tbEUljE_ZNSN_ISO_Lb1ESQ_SR_ST_SU_SY_EESZ_S10_S11_S12_S16_S17_S18_S1B_S1C_jS1D_jS1E_S1E_jjS1G_bEUljE0_EEESZ_S10_S11_S18_S1C_S1E_T6_T7_T9_mT8_S1G_bDpT10_ENKUlT_T0_E_clISt17integral_constantIbLb0EES1T_IbLb1EEEEDaS1P_S1Q_EUlS1P_E_NS1_11comp_targetILNS1_3genE9ELNS1_11target_archE1100ELNS1_3gpuE3ELNS1_3repE0EEENS1_30default_config_static_selectorELNS0_4arch9wavefront6targetE0EEEvS12_.has_indirect_call, 0
	.section	.AMDGPU.csdata,"",@progbits
; Kernel info:
; codeLenInByte = 0
; TotalNumSgprs: 0
; NumVgprs: 0
; ScratchSize: 0
; MemoryBound: 0
; FloatMode: 240
; IeeeMode: 1
; LDSByteSize: 0 bytes/workgroup (compile time only)
; SGPRBlocks: 0
; VGPRBlocks: 0
; NumSGPRsForWavesPerEU: 1
; NumVGPRsForWavesPerEU: 1
; NamedBarCnt: 0
; Occupancy: 16
; WaveLimiterHint : 0
; COMPUTE_PGM_RSRC2:SCRATCH_EN: 0
; COMPUTE_PGM_RSRC2:USER_SGPR: 2
; COMPUTE_PGM_RSRC2:TRAP_HANDLER: 0
; COMPUTE_PGM_RSRC2:TGID_X_EN: 1
; COMPUTE_PGM_RSRC2:TGID_Y_EN: 0
; COMPUTE_PGM_RSRC2:TGID_Z_EN: 0
; COMPUTE_PGM_RSRC2:TIDIG_COMP_CNT: 0
	.section	.text._ZN7rocprim17ROCPRIM_400000_NS6detail17trampoline_kernelINS0_13select_configILj256ELj13ELNS0_17block_load_methodE3ELS4_3ELS4_3ELNS0_20block_scan_algorithmE0ELj4294967295EEENS1_25partition_config_selectorILNS1_17partition_subalgoE4EjNS0_10empty_typeEbEEZZNS1_14partition_implILS8_4ELb0ES6_15HIP_vector_typeIjLj2EENS0_17counting_iteratorIjlEEPS9_SG_NS0_5tupleIJPjSI_NS0_16reverse_iteratorISI_EEEEENSH_IJSG_SG_SG_EEES9_SI_JZNS1_25segmented_radix_sort_implINS0_14default_configELb1EPKiPiPKlPlN2at6native12_GLOBAL__N_18offset_tEEE10hipError_tPvRmT1_PNSt15iterator_traitsIS12_E10value_typeET2_T3_PNS13_IS18_E10value_typeET4_jRbjT5_S1E_jjP12ihipStream_tbEUljE_ZNSN_ISO_Lb1ESQ_SR_ST_SU_SY_EESZ_S10_S11_S12_S16_S17_S18_S1B_S1C_jS1D_jS1E_S1E_jjS1G_bEUljE0_EEESZ_S10_S11_S18_S1C_S1E_T6_T7_T9_mT8_S1G_bDpT10_ENKUlT_T0_E_clISt17integral_constantIbLb0EES1T_IbLb1EEEEDaS1P_S1Q_EUlS1P_E_NS1_11comp_targetILNS1_3genE8ELNS1_11target_archE1030ELNS1_3gpuE2ELNS1_3repE0EEENS1_30default_config_static_selectorELNS0_4arch9wavefront6targetE0EEEvS12_,"axG",@progbits,_ZN7rocprim17ROCPRIM_400000_NS6detail17trampoline_kernelINS0_13select_configILj256ELj13ELNS0_17block_load_methodE3ELS4_3ELS4_3ELNS0_20block_scan_algorithmE0ELj4294967295EEENS1_25partition_config_selectorILNS1_17partition_subalgoE4EjNS0_10empty_typeEbEEZZNS1_14partition_implILS8_4ELb0ES6_15HIP_vector_typeIjLj2EENS0_17counting_iteratorIjlEEPS9_SG_NS0_5tupleIJPjSI_NS0_16reverse_iteratorISI_EEEEENSH_IJSG_SG_SG_EEES9_SI_JZNS1_25segmented_radix_sort_implINS0_14default_configELb1EPKiPiPKlPlN2at6native12_GLOBAL__N_18offset_tEEE10hipError_tPvRmT1_PNSt15iterator_traitsIS12_E10value_typeET2_T3_PNS13_IS18_E10value_typeET4_jRbjT5_S1E_jjP12ihipStream_tbEUljE_ZNSN_ISO_Lb1ESQ_SR_ST_SU_SY_EESZ_S10_S11_S12_S16_S17_S18_S1B_S1C_jS1D_jS1E_S1E_jjS1G_bEUljE0_EEESZ_S10_S11_S18_S1C_S1E_T6_T7_T9_mT8_S1G_bDpT10_ENKUlT_T0_E_clISt17integral_constantIbLb0EES1T_IbLb1EEEEDaS1P_S1Q_EUlS1P_E_NS1_11comp_targetILNS1_3genE8ELNS1_11target_archE1030ELNS1_3gpuE2ELNS1_3repE0EEENS1_30default_config_static_selectorELNS0_4arch9wavefront6targetE0EEEvS12_,comdat
	.globl	_ZN7rocprim17ROCPRIM_400000_NS6detail17trampoline_kernelINS0_13select_configILj256ELj13ELNS0_17block_load_methodE3ELS4_3ELS4_3ELNS0_20block_scan_algorithmE0ELj4294967295EEENS1_25partition_config_selectorILNS1_17partition_subalgoE4EjNS0_10empty_typeEbEEZZNS1_14partition_implILS8_4ELb0ES6_15HIP_vector_typeIjLj2EENS0_17counting_iteratorIjlEEPS9_SG_NS0_5tupleIJPjSI_NS0_16reverse_iteratorISI_EEEEENSH_IJSG_SG_SG_EEES9_SI_JZNS1_25segmented_radix_sort_implINS0_14default_configELb1EPKiPiPKlPlN2at6native12_GLOBAL__N_18offset_tEEE10hipError_tPvRmT1_PNSt15iterator_traitsIS12_E10value_typeET2_T3_PNS13_IS18_E10value_typeET4_jRbjT5_S1E_jjP12ihipStream_tbEUljE_ZNSN_ISO_Lb1ESQ_SR_ST_SU_SY_EESZ_S10_S11_S12_S16_S17_S18_S1B_S1C_jS1D_jS1E_S1E_jjS1G_bEUljE0_EEESZ_S10_S11_S18_S1C_S1E_T6_T7_T9_mT8_S1G_bDpT10_ENKUlT_T0_E_clISt17integral_constantIbLb0EES1T_IbLb1EEEEDaS1P_S1Q_EUlS1P_E_NS1_11comp_targetILNS1_3genE8ELNS1_11target_archE1030ELNS1_3gpuE2ELNS1_3repE0EEENS1_30default_config_static_selectorELNS0_4arch9wavefront6targetE0EEEvS12_ ; -- Begin function _ZN7rocprim17ROCPRIM_400000_NS6detail17trampoline_kernelINS0_13select_configILj256ELj13ELNS0_17block_load_methodE3ELS4_3ELS4_3ELNS0_20block_scan_algorithmE0ELj4294967295EEENS1_25partition_config_selectorILNS1_17partition_subalgoE4EjNS0_10empty_typeEbEEZZNS1_14partition_implILS8_4ELb0ES6_15HIP_vector_typeIjLj2EENS0_17counting_iteratorIjlEEPS9_SG_NS0_5tupleIJPjSI_NS0_16reverse_iteratorISI_EEEEENSH_IJSG_SG_SG_EEES9_SI_JZNS1_25segmented_radix_sort_implINS0_14default_configELb1EPKiPiPKlPlN2at6native12_GLOBAL__N_18offset_tEEE10hipError_tPvRmT1_PNSt15iterator_traitsIS12_E10value_typeET2_T3_PNS13_IS18_E10value_typeET4_jRbjT5_S1E_jjP12ihipStream_tbEUljE_ZNSN_ISO_Lb1ESQ_SR_ST_SU_SY_EESZ_S10_S11_S12_S16_S17_S18_S1B_S1C_jS1D_jS1E_S1E_jjS1G_bEUljE0_EEESZ_S10_S11_S18_S1C_S1E_T6_T7_T9_mT8_S1G_bDpT10_ENKUlT_T0_E_clISt17integral_constantIbLb0EES1T_IbLb1EEEEDaS1P_S1Q_EUlS1P_E_NS1_11comp_targetILNS1_3genE8ELNS1_11target_archE1030ELNS1_3gpuE2ELNS1_3repE0EEENS1_30default_config_static_selectorELNS0_4arch9wavefront6targetE0EEEvS12_
	.p2align	8
	.type	_ZN7rocprim17ROCPRIM_400000_NS6detail17trampoline_kernelINS0_13select_configILj256ELj13ELNS0_17block_load_methodE3ELS4_3ELS4_3ELNS0_20block_scan_algorithmE0ELj4294967295EEENS1_25partition_config_selectorILNS1_17partition_subalgoE4EjNS0_10empty_typeEbEEZZNS1_14partition_implILS8_4ELb0ES6_15HIP_vector_typeIjLj2EENS0_17counting_iteratorIjlEEPS9_SG_NS0_5tupleIJPjSI_NS0_16reverse_iteratorISI_EEEEENSH_IJSG_SG_SG_EEES9_SI_JZNS1_25segmented_radix_sort_implINS0_14default_configELb1EPKiPiPKlPlN2at6native12_GLOBAL__N_18offset_tEEE10hipError_tPvRmT1_PNSt15iterator_traitsIS12_E10value_typeET2_T3_PNS13_IS18_E10value_typeET4_jRbjT5_S1E_jjP12ihipStream_tbEUljE_ZNSN_ISO_Lb1ESQ_SR_ST_SU_SY_EESZ_S10_S11_S12_S16_S17_S18_S1B_S1C_jS1D_jS1E_S1E_jjS1G_bEUljE0_EEESZ_S10_S11_S18_S1C_S1E_T6_T7_T9_mT8_S1G_bDpT10_ENKUlT_T0_E_clISt17integral_constantIbLb0EES1T_IbLb1EEEEDaS1P_S1Q_EUlS1P_E_NS1_11comp_targetILNS1_3genE8ELNS1_11target_archE1030ELNS1_3gpuE2ELNS1_3repE0EEENS1_30default_config_static_selectorELNS0_4arch9wavefront6targetE0EEEvS12_,@function
_ZN7rocprim17ROCPRIM_400000_NS6detail17trampoline_kernelINS0_13select_configILj256ELj13ELNS0_17block_load_methodE3ELS4_3ELS4_3ELNS0_20block_scan_algorithmE0ELj4294967295EEENS1_25partition_config_selectorILNS1_17partition_subalgoE4EjNS0_10empty_typeEbEEZZNS1_14partition_implILS8_4ELb0ES6_15HIP_vector_typeIjLj2EENS0_17counting_iteratorIjlEEPS9_SG_NS0_5tupleIJPjSI_NS0_16reverse_iteratorISI_EEEEENSH_IJSG_SG_SG_EEES9_SI_JZNS1_25segmented_radix_sort_implINS0_14default_configELb1EPKiPiPKlPlN2at6native12_GLOBAL__N_18offset_tEEE10hipError_tPvRmT1_PNSt15iterator_traitsIS12_E10value_typeET2_T3_PNS13_IS18_E10value_typeET4_jRbjT5_S1E_jjP12ihipStream_tbEUljE_ZNSN_ISO_Lb1ESQ_SR_ST_SU_SY_EESZ_S10_S11_S12_S16_S17_S18_S1B_S1C_jS1D_jS1E_S1E_jjS1G_bEUljE0_EEESZ_S10_S11_S18_S1C_S1E_T6_T7_T9_mT8_S1G_bDpT10_ENKUlT_T0_E_clISt17integral_constantIbLb0EES1T_IbLb1EEEEDaS1P_S1Q_EUlS1P_E_NS1_11comp_targetILNS1_3genE8ELNS1_11target_archE1030ELNS1_3gpuE2ELNS1_3repE0EEENS1_30default_config_static_selectorELNS0_4arch9wavefront6targetE0EEEvS12_: ; @_ZN7rocprim17ROCPRIM_400000_NS6detail17trampoline_kernelINS0_13select_configILj256ELj13ELNS0_17block_load_methodE3ELS4_3ELS4_3ELNS0_20block_scan_algorithmE0ELj4294967295EEENS1_25partition_config_selectorILNS1_17partition_subalgoE4EjNS0_10empty_typeEbEEZZNS1_14partition_implILS8_4ELb0ES6_15HIP_vector_typeIjLj2EENS0_17counting_iteratorIjlEEPS9_SG_NS0_5tupleIJPjSI_NS0_16reverse_iteratorISI_EEEEENSH_IJSG_SG_SG_EEES9_SI_JZNS1_25segmented_radix_sort_implINS0_14default_configELb1EPKiPiPKlPlN2at6native12_GLOBAL__N_18offset_tEEE10hipError_tPvRmT1_PNSt15iterator_traitsIS12_E10value_typeET2_T3_PNS13_IS18_E10value_typeET4_jRbjT5_S1E_jjP12ihipStream_tbEUljE_ZNSN_ISO_Lb1ESQ_SR_ST_SU_SY_EESZ_S10_S11_S12_S16_S17_S18_S1B_S1C_jS1D_jS1E_S1E_jjS1G_bEUljE0_EEESZ_S10_S11_S18_S1C_S1E_T6_T7_T9_mT8_S1G_bDpT10_ENKUlT_T0_E_clISt17integral_constantIbLb0EES1T_IbLb1EEEEDaS1P_S1Q_EUlS1P_E_NS1_11comp_targetILNS1_3genE8ELNS1_11target_archE1030ELNS1_3gpuE2ELNS1_3repE0EEENS1_30default_config_static_selectorELNS0_4arch9wavefront6targetE0EEEvS12_
; %bb.0:
	.section	.rodata,"a",@progbits
	.p2align	6, 0x0
	.amdhsa_kernel _ZN7rocprim17ROCPRIM_400000_NS6detail17trampoline_kernelINS0_13select_configILj256ELj13ELNS0_17block_load_methodE3ELS4_3ELS4_3ELNS0_20block_scan_algorithmE0ELj4294967295EEENS1_25partition_config_selectorILNS1_17partition_subalgoE4EjNS0_10empty_typeEbEEZZNS1_14partition_implILS8_4ELb0ES6_15HIP_vector_typeIjLj2EENS0_17counting_iteratorIjlEEPS9_SG_NS0_5tupleIJPjSI_NS0_16reverse_iteratorISI_EEEEENSH_IJSG_SG_SG_EEES9_SI_JZNS1_25segmented_radix_sort_implINS0_14default_configELb1EPKiPiPKlPlN2at6native12_GLOBAL__N_18offset_tEEE10hipError_tPvRmT1_PNSt15iterator_traitsIS12_E10value_typeET2_T3_PNS13_IS18_E10value_typeET4_jRbjT5_S1E_jjP12ihipStream_tbEUljE_ZNSN_ISO_Lb1ESQ_SR_ST_SU_SY_EESZ_S10_S11_S12_S16_S17_S18_S1B_S1C_jS1D_jS1E_S1E_jjS1G_bEUljE0_EEESZ_S10_S11_S18_S1C_S1E_T6_T7_T9_mT8_S1G_bDpT10_ENKUlT_T0_E_clISt17integral_constantIbLb0EES1T_IbLb1EEEEDaS1P_S1Q_EUlS1P_E_NS1_11comp_targetILNS1_3genE8ELNS1_11target_archE1030ELNS1_3gpuE2ELNS1_3repE0EEENS1_30default_config_static_selectorELNS0_4arch9wavefront6targetE0EEEvS12_
		.amdhsa_group_segment_fixed_size 0
		.amdhsa_private_segment_fixed_size 0
		.amdhsa_kernarg_size 184
		.amdhsa_user_sgpr_count 2
		.amdhsa_user_sgpr_dispatch_ptr 0
		.amdhsa_user_sgpr_queue_ptr 0
		.amdhsa_user_sgpr_kernarg_segment_ptr 1
		.amdhsa_user_sgpr_dispatch_id 0
		.amdhsa_user_sgpr_kernarg_preload_length 0
		.amdhsa_user_sgpr_kernarg_preload_offset 0
		.amdhsa_user_sgpr_private_segment_size 0
		.amdhsa_wavefront_size32 1
		.amdhsa_uses_dynamic_stack 0
		.amdhsa_enable_private_segment 0
		.amdhsa_system_sgpr_workgroup_id_x 1
		.amdhsa_system_sgpr_workgroup_id_y 0
		.amdhsa_system_sgpr_workgroup_id_z 0
		.amdhsa_system_sgpr_workgroup_info 0
		.amdhsa_system_vgpr_workitem_id 0
		.amdhsa_next_free_vgpr 1
		.amdhsa_next_free_sgpr 1
		.amdhsa_named_barrier_count 0
		.amdhsa_reserve_vcc 0
		.amdhsa_float_round_mode_32 0
		.amdhsa_float_round_mode_16_64 0
		.amdhsa_float_denorm_mode_32 3
		.amdhsa_float_denorm_mode_16_64 3
		.amdhsa_fp16_overflow 0
		.amdhsa_memory_ordered 1
		.amdhsa_forward_progress 1
		.amdhsa_inst_pref_size 0
		.amdhsa_round_robin_scheduling 0
		.amdhsa_exception_fp_ieee_invalid_op 0
		.amdhsa_exception_fp_denorm_src 0
		.amdhsa_exception_fp_ieee_div_zero 0
		.amdhsa_exception_fp_ieee_overflow 0
		.amdhsa_exception_fp_ieee_underflow 0
		.amdhsa_exception_fp_ieee_inexact 0
		.amdhsa_exception_int_div_zero 0
	.end_amdhsa_kernel
	.section	.text._ZN7rocprim17ROCPRIM_400000_NS6detail17trampoline_kernelINS0_13select_configILj256ELj13ELNS0_17block_load_methodE3ELS4_3ELS4_3ELNS0_20block_scan_algorithmE0ELj4294967295EEENS1_25partition_config_selectorILNS1_17partition_subalgoE4EjNS0_10empty_typeEbEEZZNS1_14partition_implILS8_4ELb0ES6_15HIP_vector_typeIjLj2EENS0_17counting_iteratorIjlEEPS9_SG_NS0_5tupleIJPjSI_NS0_16reverse_iteratorISI_EEEEENSH_IJSG_SG_SG_EEES9_SI_JZNS1_25segmented_radix_sort_implINS0_14default_configELb1EPKiPiPKlPlN2at6native12_GLOBAL__N_18offset_tEEE10hipError_tPvRmT1_PNSt15iterator_traitsIS12_E10value_typeET2_T3_PNS13_IS18_E10value_typeET4_jRbjT5_S1E_jjP12ihipStream_tbEUljE_ZNSN_ISO_Lb1ESQ_SR_ST_SU_SY_EESZ_S10_S11_S12_S16_S17_S18_S1B_S1C_jS1D_jS1E_S1E_jjS1G_bEUljE0_EEESZ_S10_S11_S18_S1C_S1E_T6_T7_T9_mT8_S1G_bDpT10_ENKUlT_T0_E_clISt17integral_constantIbLb0EES1T_IbLb1EEEEDaS1P_S1Q_EUlS1P_E_NS1_11comp_targetILNS1_3genE8ELNS1_11target_archE1030ELNS1_3gpuE2ELNS1_3repE0EEENS1_30default_config_static_selectorELNS0_4arch9wavefront6targetE0EEEvS12_,"axG",@progbits,_ZN7rocprim17ROCPRIM_400000_NS6detail17trampoline_kernelINS0_13select_configILj256ELj13ELNS0_17block_load_methodE3ELS4_3ELS4_3ELNS0_20block_scan_algorithmE0ELj4294967295EEENS1_25partition_config_selectorILNS1_17partition_subalgoE4EjNS0_10empty_typeEbEEZZNS1_14partition_implILS8_4ELb0ES6_15HIP_vector_typeIjLj2EENS0_17counting_iteratorIjlEEPS9_SG_NS0_5tupleIJPjSI_NS0_16reverse_iteratorISI_EEEEENSH_IJSG_SG_SG_EEES9_SI_JZNS1_25segmented_radix_sort_implINS0_14default_configELb1EPKiPiPKlPlN2at6native12_GLOBAL__N_18offset_tEEE10hipError_tPvRmT1_PNSt15iterator_traitsIS12_E10value_typeET2_T3_PNS13_IS18_E10value_typeET4_jRbjT5_S1E_jjP12ihipStream_tbEUljE_ZNSN_ISO_Lb1ESQ_SR_ST_SU_SY_EESZ_S10_S11_S12_S16_S17_S18_S1B_S1C_jS1D_jS1E_S1E_jjS1G_bEUljE0_EEESZ_S10_S11_S18_S1C_S1E_T6_T7_T9_mT8_S1G_bDpT10_ENKUlT_T0_E_clISt17integral_constantIbLb0EES1T_IbLb1EEEEDaS1P_S1Q_EUlS1P_E_NS1_11comp_targetILNS1_3genE8ELNS1_11target_archE1030ELNS1_3gpuE2ELNS1_3repE0EEENS1_30default_config_static_selectorELNS0_4arch9wavefront6targetE0EEEvS12_,comdat
.Lfunc_end460:
	.size	_ZN7rocprim17ROCPRIM_400000_NS6detail17trampoline_kernelINS0_13select_configILj256ELj13ELNS0_17block_load_methodE3ELS4_3ELS4_3ELNS0_20block_scan_algorithmE0ELj4294967295EEENS1_25partition_config_selectorILNS1_17partition_subalgoE4EjNS0_10empty_typeEbEEZZNS1_14partition_implILS8_4ELb0ES6_15HIP_vector_typeIjLj2EENS0_17counting_iteratorIjlEEPS9_SG_NS0_5tupleIJPjSI_NS0_16reverse_iteratorISI_EEEEENSH_IJSG_SG_SG_EEES9_SI_JZNS1_25segmented_radix_sort_implINS0_14default_configELb1EPKiPiPKlPlN2at6native12_GLOBAL__N_18offset_tEEE10hipError_tPvRmT1_PNSt15iterator_traitsIS12_E10value_typeET2_T3_PNS13_IS18_E10value_typeET4_jRbjT5_S1E_jjP12ihipStream_tbEUljE_ZNSN_ISO_Lb1ESQ_SR_ST_SU_SY_EESZ_S10_S11_S12_S16_S17_S18_S1B_S1C_jS1D_jS1E_S1E_jjS1G_bEUljE0_EEESZ_S10_S11_S18_S1C_S1E_T6_T7_T9_mT8_S1G_bDpT10_ENKUlT_T0_E_clISt17integral_constantIbLb0EES1T_IbLb1EEEEDaS1P_S1Q_EUlS1P_E_NS1_11comp_targetILNS1_3genE8ELNS1_11target_archE1030ELNS1_3gpuE2ELNS1_3repE0EEENS1_30default_config_static_selectorELNS0_4arch9wavefront6targetE0EEEvS12_, .Lfunc_end460-_ZN7rocprim17ROCPRIM_400000_NS6detail17trampoline_kernelINS0_13select_configILj256ELj13ELNS0_17block_load_methodE3ELS4_3ELS4_3ELNS0_20block_scan_algorithmE0ELj4294967295EEENS1_25partition_config_selectorILNS1_17partition_subalgoE4EjNS0_10empty_typeEbEEZZNS1_14partition_implILS8_4ELb0ES6_15HIP_vector_typeIjLj2EENS0_17counting_iteratorIjlEEPS9_SG_NS0_5tupleIJPjSI_NS0_16reverse_iteratorISI_EEEEENSH_IJSG_SG_SG_EEES9_SI_JZNS1_25segmented_radix_sort_implINS0_14default_configELb1EPKiPiPKlPlN2at6native12_GLOBAL__N_18offset_tEEE10hipError_tPvRmT1_PNSt15iterator_traitsIS12_E10value_typeET2_T3_PNS13_IS18_E10value_typeET4_jRbjT5_S1E_jjP12ihipStream_tbEUljE_ZNSN_ISO_Lb1ESQ_SR_ST_SU_SY_EESZ_S10_S11_S12_S16_S17_S18_S1B_S1C_jS1D_jS1E_S1E_jjS1G_bEUljE0_EEESZ_S10_S11_S18_S1C_S1E_T6_T7_T9_mT8_S1G_bDpT10_ENKUlT_T0_E_clISt17integral_constantIbLb0EES1T_IbLb1EEEEDaS1P_S1Q_EUlS1P_E_NS1_11comp_targetILNS1_3genE8ELNS1_11target_archE1030ELNS1_3gpuE2ELNS1_3repE0EEENS1_30default_config_static_selectorELNS0_4arch9wavefront6targetE0EEEvS12_
                                        ; -- End function
	.set _ZN7rocprim17ROCPRIM_400000_NS6detail17trampoline_kernelINS0_13select_configILj256ELj13ELNS0_17block_load_methodE3ELS4_3ELS4_3ELNS0_20block_scan_algorithmE0ELj4294967295EEENS1_25partition_config_selectorILNS1_17partition_subalgoE4EjNS0_10empty_typeEbEEZZNS1_14partition_implILS8_4ELb0ES6_15HIP_vector_typeIjLj2EENS0_17counting_iteratorIjlEEPS9_SG_NS0_5tupleIJPjSI_NS0_16reverse_iteratorISI_EEEEENSH_IJSG_SG_SG_EEES9_SI_JZNS1_25segmented_radix_sort_implINS0_14default_configELb1EPKiPiPKlPlN2at6native12_GLOBAL__N_18offset_tEEE10hipError_tPvRmT1_PNSt15iterator_traitsIS12_E10value_typeET2_T3_PNS13_IS18_E10value_typeET4_jRbjT5_S1E_jjP12ihipStream_tbEUljE_ZNSN_ISO_Lb1ESQ_SR_ST_SU_SY_EESZ_S10_S11_S12_S16_S17_S18_S1B_S1C_jS1D_jS1E_S1E_jjS1G_bEUljE0_EEESZ_S10_S11_S18_S1C_S1E_T6_T7_T9_mT8_S1G_bDpT10_ENKUlT_T0_E_clISt17integral_constantIbLb0EES1T_IbLb1EEEEDaS1P_S1Q_EUlS1P_E_NS1_11comp_targetILNS1_3genE8ELNS1_11target_archE1030ELNS1_3gpuE2ELNS1_3repE0EEENS1_30default_config_static_selectorELNS0_4arch9wavefront6targetE0EEEvS12_.num_vgpr, 0
	.set _ZN7rocprim17ROCPRIM_400000_NS6detail17trampoline_kernelINS0_13select_configILj256ELj13ELNS0_17block_load_methodE3ELS4_3ELS4_3ELNS0_20block_scan_algorithmE0ELj4294967295EEENS1_25partition_config_selectorILNS1_17partition_subalgoE4EjNS0_10empty_typeEbEEZZNS1_14partition_implILS8_4ELb0ES6_15HIP_vector_typeIjLj2EENS0_17counting_iteratorIjlEEPS9_SG_NS0_5tupleIJPjSI_NS0_16reverse_iteratorISI_EEEEENSH_IJSG_SG_SG_EEES9_SI_JZNS1_25segmented_radix_sort_implINS0_14default_configELb1EPKiPiPKlPlN2at6native12_GLOBAL__N_18offset_tEEE10hipError_tPvRmT1_PNSt15iterator_traitsIS12_E10value_typeET2_T3_PNS13_IS18_E10value_typeET4_jRbjT5_S1E_jjP12ihipStream_tbEUljE_ZNSN_ISO_Lb1ESQ_SR_ST_SU_SY_EESZ_S10_S11_S12_S16_S17_S18_S1B_S1C_jS1D_jS1E_S1E_jjS1G_bEUljE0_EEESZ_S10_S11_S18_S1C_S1E_T6_T7_T9_mT8_S1G_bDpT10_ENKUlT_T0_E_clISt17integral_constantIbLb0EES1T_IbLb1EEEEDaS1P_S1Q_EUlS1P_E_NS1_11comp_targetILNS1_3genE8ELNS1_11target_archE1030ELNS1_3gpuE2ELNS1_3repE0EEENS1_30default_config_static_selectorELNS0_4arch9wavefront6targetE0EEEvS12_.num_agpr, 0
	.set _ZN7rocprim17ROCPRIM_400000_NS6detail17trampoline_kernelINS0_13select_configILj256ELj13ELNS0_17block_load_methodE3ELS4_3ELS4_3ELNS0_20block_scan_algorithmE0ELj4294967295EEENS1_25partition_config_selectorILNS1_17partition_subalgoE4EjNS0_10empty_typeEbEEZZNS1_14partition_implILS8_4ELb0ES6_15HIP_vector_typeIjLj2EENS0_17counting_iteratorIjlEEPS9_SG_NS0_5tupleIJPjSI_NS0_16reverse_iteratorISI_EEEEENSH_IJSG_SG_SG_EEES9_SI_JZNS1_25segmented_radix_sort_implINS0_14default_configELb1EPKiPiPKlPlN2at6native12_GLOBAL__N_18offset_tEEE10hipError_tPvRmT1_PNSt15iterator_traitsIS12_E10value_typeET2_T3_PNS13_IS18_E10value_typeET4_jRbjT5_S1E_jjP12ihipStream_tbEUljE_ZNSN_ISO_Lb1ESQ_SR_ST_SU_SY_EESZ_S10_S11_S12_S16_S17_S18_S1B_S1C_jS1D_jS1E_S1E_jjS1G_bEUljE0_EEESZ_S10_S11_S18_S1C_S1E_T6_T7_T9_mT8_S1G_bDpT10_ENKUlT_T0_E_clISt17integral_constantIbLb0EES1T_IbLb1EEEEDaS1P_S1Q_EUlS1P_E_NS1_11comp_targetILNS1_3genE8ELNS1_11target_archE1030ELNS1_3gpuE2ELNS1_3repE0EEENS1_30default_config_static_selectorELNS0_4arch9wavefront6targetE0EEEvS12_.numbered_sgpr, 0
	.set _ZN7rocprim17ROCPRIM_400000_NS6detail17trampoline_kernelINS0_13select_configILj256ELj13ELNS0_17block_load_methodE3ELS4_3ELS4_3ELNS0_20block_scan_algorithmE0ELj4294967295EEENS1_25partition_config_selectorILNS1_17partition_subalgoE4EjNS0_10empty_typeEbEEZZNS1_14partition_implILS8_4ELb0ES6_15HIP_vector_typeIjLj2EENS0_17counting_iteratorIjlEEPS9_SG_NS0_5tupleIJPjSI_NS0_16reverse_iteratorISI_EEEEENSH_IJSG_SG_SG_EEES9_SI_JZNS1_25segmented_radix_sort_implINS0_14default_configELb1EPKiPiPKlPlN2at6native12_GLOBAL__N_18offset_tEEE10hipError_tPvRmT1_PNSt15iterator_traitsIS12_E10value_typeET2_T3_PNS13_IS18_E10value_typeET4_jRbjT5_S1E_jjP12ihipStream_tbEUljE_ZNSN_ISO_Lb1ESQ_SR_ST_SU_SY_EESZ_S10_S11_S12_S16_S17_S18_S1B_S1C_jS1D_jS1E_S1E_jjS1G_bEUljE0_EEESZ_S10_S11_S18_S1C_S1E_T6_T7_T9_mT8_S1G_bDpT10_ENKUlT_T0_E_clISt17integral_constantIbLb0EES1T_IbLb1EEEEDaS1P_S1Q_EUlS1P_E_NS1_11comp_targetILNS1_3genE8ELNS1_11target_archE1030ELNS1_3gpuE2ELNS1_3repE0EEENS1_30default_config_static_selectorELNS0_4arch9wavefront6targetE0EEEvS12_.num_named_barrier, 0
	.set _ZN7rocprim17ROCPRIM_400000_NS6detail17trampoline_kernelINS0_13select_configILj256ELj13ELNS0_17block_load_methodE3ELS4_3ELS4_3ELNS0_20block_scan_algorithmE0ELj4294967295EEENS1_25partition_config_selectorILNS1_17partition_subalgoE4EjNS0_10empty_typeEbEEZZNS1_14partition_implILS8_4ELb0ES6_15HIP_vector_typeIjLj2EENS0_17counting_iteratorIjlEEPS9_SG_NS0_5tupleIJPjSI_NS0_16reverse_iteratorISI_EEEEENSH_IJSG_SG_SG_EEES9_SI_JZNS1_25segmented_radix_sort_implINS0_14default_configELb1EPKiPiPKlPlN2at6native12_GLOBAL__N_18offset_tEEE10hipError_tPvRmT1_PNSt15iterator_traitsIS12_E10value_typeET2_T3_PNS13_IS18_E10value_typeET4_jRbjT5_S1E_jjP12ihipStream_tbEUljE_ZNSN_ISO_Lb1ESQ_SR_ST_SU_SY_EESZ_S10_S11_S12_S16_S17_S18_S1B_S1C_jS1D_jS1E_S1E_jjS1G_bEUljE0_EEESZ_S10_S11_S18_S1C_S1E_T6_T7_T9_mT8_S1G_bDpT10_ENKUlT_T0_E_clISt17integral_constantIbLb0EES1T_IbLb1EEEEDaS1P_S1Q_EUlS1P_E_NS1_11comp_targetILNS1_3genE8ELNS1_11target_archE1030ELNS1_3gpuE2ELNS1_3repE0EEENS1_30default_config_static_selectorELNS0_4arch9wavefront6targetE0EEEvS12_.private_seg_size, 0
	.set _ZN7rocprim17ROCPRIM_400000_NS6detail17trampoline_kernelINS0_13select_configILj256ELj13ELNS0_17block_load_methodE3ELS4_3ELS4_3ELNS0_20block_scan_algorithmE0ELj4294967295EEENS1_25partition_config_selectorILNS1_17partition_subalgoE4EjNS0_10empty_typeEbEEZZNS1_14partition_implILS8_4ELb0ES6_15HIP_vector_typeIjLj2EENS0_17counting_iteratorIjlEEPS9_SG_NS0_5tupleIJPjSI_NS0_16reverse_iteratorISI_EEEEENSH_IJSG_SG_SG_EEES9_SI_JZNS1_25segmented_radix_sort_implINS0_14default_configELb1EPKiPiPKlPlN2at6native12_GLOBAL__N_18offset_tEEE10hipError_tPvRmT1_PNSt15iterator_traitsIS12_E10value_typeET2_T3_PNS13_IS18_E10value_typeET4_jRbjT5_S1E_jjP12ihipStream_tbEUljE_ZNSN_ISO_Lb1ESQ_SR_ST_SU_SY_EESZ_S10_S11_S12_S16_S17_S18_S1B_S1C_jS1D_jS1E_S1E_jjS1G_bEUljE0_EEESZ_S10_S11_S18_S1C_S1E_T6_T7_T9_mT8_S1G_bDpT10_ENKUlT_T0_E_clISt17integral_constantIbLb0EES1T_IbLb1EEEEDaS1P_S1Q_EUlS1P_E_NS1_11comp_targetILNS1_3genE8ELNS1_11target_archE1030ELNS1_3gpuE2ELNS1_3repE0EEENS1_30default_config_static_selectorELNS0_4arch9wavefront6targetE0EEEvS12_.uses_vcc, 0
	.set _ZN7rocprim17ROCPRIM_400000_NS6detail17trampoline_kernelINS0_13select_configILj256ELj13ELNS0_17block_load_methodE3ELS4_3ELS4_3ELNS0_20block_scan_algorithmE0ELj4294967295EEENS1_25partition_config_selectorILNS1_17partition_subalgoE4EjNS0_10empty_typeEbEEZZNS1_14partition_implILS8_4ELb0ES6_15HIP_vector_typeIjLj2EENS0_17counting_iteratorIjlEEPS9_SG_NS0_5tupleIJPjSI_NS0_16reverse_iteratorISI_EEEEENSH_IJSG_SG_SG_EEES9_SI_JZNS1_25segmented_radix_sort_implINS0_14default_configELb1EPKiPiPKlPlN2at6native12_GLOBAL__N_18offset_tEEE10hipError_tPvRmT1_PNSt15iterator_traitsIS12_E10value_typeET2_T3_PNS13_IS18_E10value_typeET4_jRbjT5_S1E_jjP12ihipStream_tbEUljE_ZNSN_ISO_Lb1ESQ_SR_ST_SU_SY_EESZ_S10_S11_S12_S16_S17_S18_S1B_S1C_jS1D_jS1E_S1E_jjS1G_bEUljE0_EEESZ_S10_S11_S18_S1C_S1E_T6_T7_T9_mT8_S1G_bDpT10_ENKUlT_T0_E_clISt17integral_constantIbLb0EES1T_IbLb1EEEEDaS1P_S1Q_EUlS1P_E_NS1_11comp_targetILNS1_3genE8ELNS1_11target_archE1030ELNS1_3gpuE2ELNS1_3repE0EEENS1_30default_config_static_selectorELNS0_4arch9wavefront6targetE0EEEvS12_.uses_flat_scratch, 0
	.set _ZN7rocprim17ROCPRIM_400000_NS6detail17trampoline_kernelINS0_13select_configILj256ELj13ELNS0_17block_load_methodE3ELS4_3ELS4_3ELNS0_20block_scan_algorithmE0ELj4294967295EEENS1_25partition_config_selectorILNS1_17partition_subalgoE4EjNS0_10empty_typeEbEEZZNS1_14partition_implILS8_4ELb0ES6_15HIP_vector_typeIjLj2EENS0_17counting_iteratorIjlEEPS9_SG_NS0_5tupleIJPjSI_NS0_16reverse_iteratorISI_EEEEENSH_IJSG_SG_SG_EEES9_SI_JZNS1_25segmented_radix_sort_implINS0_14default_configELb1EPKiPiPKlPlN2at6native12_GLOBAL__N_18offset_tEEE10hipError_tPvRmT1_PNSt15iterator_traitsIS12_E10value_typeET2_T3_PNS13_IS18_E10value_typeET4_jRbjT5_S1E_jjP12ihipStream_tbEUljE_ZNSN_ISO_Lb1ESQ_SR_ST_SU_SY_EESZ_S10_S11_S12_S16_S17_S18_S1B_S1C_jS1D_jS1E_S1E_jjS1G_bEUljE0_EEESZ_S10_S11_S18_S1C_S1E_T6_T7_T9_mT8_S1G_bDpT10_ENKUlT_T0_E_clISt17integral_constantIbLb0EES1T_IbLb1EEEEDaS1P_S1Q_EUlS1P_E_NS1_11comp_targetILNS1_3genE8ELNS1_11target_archE1030ELNS1_3gpuE2ELNS1_3repE0EEENS1_30default_config_static_selectorELNS0_4arch9wavefront6targetE0EEEvS12_.has_dyn_sized_stack, 0
	.set _ZN7rocprim17ROCPRIM_400000_NS6detail17trampoline_kernelINS0_13select_configILj256ELj13ELNS0_17block_load_methodE3ELS4_3ELS4_3ELNS0_20block_scan_algorithmE0ELj4294967295EEENS1_25partition_config_selectorILNS1_17partition_subalgoE4EjNS0_10empty_typeEbEEZZNS1_14partition_implILS8_4ELb0ES6_15HIP_vector_typeIjLj2EENS0_17counting_iteratorIjlEEPS9_SG_NS0_5tupleIJPjSI_NS0_16reverse_iteratorISI_EEEEENSH_IJSG_SG_SG_EEES9_SI_JZNS1_25segmented_radix_sort_implINS0_14default_configELb1EPKiPiPKlPlN2at6native12_GLOBAL__N_18offset_tEEE10hipError_tPvRmT1_PNSt15iterator_traitsIS12_E10value_typeET2_T3_PNS13_IS18_E10value_typeET4_jRbjT5_S1E_jjP12ihipStream_tbEUljE_ZNSN_ISO_Lb1ESQ_SR_ST_SU_SY_EESZ_S10_S11_S12_S16_S17_S18_S1B_S1C_jS1D_jS1E_S1E_jjS1G_bEUljE0_EEESZ_S10_S11_S18_S1C_S1E_T6_T7_T9_mT8_S1G_bDpT10_ENKUlT_T0_E_clISt17integral_constantIbLb0EES1T_IbLb1EEEEDaS1P_S1Q_EUlS1P_E_NS1_11comp_targetILNS1_3genE8ELNS1_11target_archE1030ELNS1_3gpuE2ELNS1_3repE0EEENS1_30default_config_static_selectorELNS0_4arch9wavefront6targetE0EEEvS12_.has_recursion, 0
	.set _ZN7rocprim17ROCPRIM_400000_NS6detail17trampoline_kernelINS0_13select_configILj256ELj13ELNS0_17block_load_methodE3ELS4_3ELS4_3ELNS0_20block_scan_algorithmE0ELj4294967295EEENS1_25partition_config_selectorILNS1_17partition_subalgoE4EjNS0_10empty_typeEbEEZZNS1_14partition_implILS8_4ELb0ES6_15HIP_vector_typeIjLj2EENS0_17counting_iteratorIjlEEPS9_SG_NS0_5tupleIJPjSI_NS0_16reverse_iteratorISI_EEEEENSH_IJSG_SG_SG_EEES9_SI_JZNS1_25segmented_radix_sort_implINS0_14default_configELb1EPKiPiPKlPlN2at6native12_GLOBAL__N_18offset_tEEE10hipError_tPvRmT1_PNSt15iterator_traitsIS12_E10value_typeET2_T3_PNS13_IS18_E10value_typeET4_jRbjT5_S1E_jjP12ihipStream_tbEUljE_ZNSN_ISO_Lb1ESQ_SR_ST_SU_SY_EESZ_S10_S11_S12_S16_S17_S18_S1B_S1C_jS1D_jS1E_S1E_jjS1G_bEUljE0_EEESZ_S10_S11_S18_S1C_S1E_T6_T7_T9_mT8_S1G_bDpT10_ENKUlT_T0_E_clISt17integral_constantIbLb0EES1T_IbLb1EEEEDaS1P_S1Q_EUlS1P_E_NS1_11comp_targetILNS1_3genE8ELNS1_11target_archE1030ELNS1_3gpuE2ELNS1_3repE0EEENS1_30default_config_static_selectorELNS0_4arch9wavefront6targetE0EEEvS12_.has_indirect_call, 0
	.section	.AMDGPU.csdata,"",@progbits
; Kernel info:
; codeLenInByte = 0
; TotalNumSgprs: 0
; NumVgprs: 0
; ScratchSize: 0
; MemoryBound: 0
; FloatMode: 240
; IeeeMode: 1
; LDSByteSize: 0 bytes/workgroup (compile time only)
; SGPRBlocks: 0
; VGPRBlocks: 0
; NumSGPRsForWavesPerEU: 1
; NumVGPRsForWavesPerEU: 1
; NamedBarCnt: 0
; Occupancy: 16
; WaveLimiterHint : 0
; COMPUTE_PGM_RSRC2:SCRATCH_EN: 0
; COMPUTE_PGM_RSRC2:USER_SGPR: 2
; COMPUTE_PGM_RSRC2:TRAP_HANDLER: 0
; COMPUTE_PGM_RSRC2:TGID_X_EN: 1
; COMPUTE_PGM_RSRC2:TGID_Y_EN: 0
; COMPUTE_PGM_RSRC2:TGID_Z_EN: 0
; COMPUTE_PGM_RSRC2:TIDIG_COMP_CNT: 0
	.section	.text._ZN7rocprim17ROCPRIM_400000_NS6detail17trampoline_kernelINS0_13select_configILj256ELj13ELNS0_17block_load_methodE3ELS4_3ELS4_3ELNS0_20block_scan_algorithmE0ELj4294967295EEENS1_25partition_config_selectorILNS1_17partition_subalgoE3EjNS0_10empty_typeEbEEZZNS1_14partition_implILS8_3ELb0ES6_jNS0_17counting_iteratorIjlEEPS9_SE_NS0_5tupleIJPjSE_EEENSF_IJSE_SE_EEES9_SG_JZNS1_25segmented_radix_sort_implINS0_14default_configELb1EPKiPiPKlPlN2at6native12_GLOBAL__N_18offset_tEEE10hipError_tPvRmT1_PNSt15iterator_traitsISY_E10value_typeET2_T3_PNSZ_IS14_E10value_typeET4_jRbjT5_S1A_jjP12ihipStream_tbEUljE_EEESV_SW_SX_S14_S18_S1A_T6_T7_T9_mT8_S1C_bDpT10_ENKUlT_T0_E_clISt17integral_constantIbLb0EES1P_EEDaS1K_S1L_EUlS1K_E_NS1_11comp_targetILNS1_3genE0ELNS1_11target_archE4294967295ELNS1_3gpuE0ELNS1_3repE0EEENS1_30default_config_static_selectorELNS0_4arch9wavefront6targetE0EEEvSY_,"axG",@progbits,_ZN7rocprim17ROCPRIM_400000_NS6detail17trampoline_kernelINS0_13select_configILj256ELj13ELNS0_17block_load_methodE3ELS4_3ELS4_3ELNS0_20block_scan_algorithmE0ELj4294967295EEENS1_25partition_config_selectorILNS1_17partition_subalgoE3EjNS0_10empty_typeEbEEZZNS1_14partition_implILS8_3ELb0ES6_jNS0_17counting_iteratorIjlEEPS9_SE_NS0_5tupleIJPjSE_EEENSF_IJSE_SE_EEES9_SG_JZNS1_25segmented_radix_sort_implINS0_14default_configELb1EPKiPiPKlPlN2at6native12_GLOBAL__N_18offset_tEEE10hipError_tPvRmT1_PNSt15iterator_traitsISY_E10value_typeET2_T3_PNSZ_IS14_E10value_typeET4_jRbjT5_S1A_jjP12ihipStream_tbEUljE_EEESV_SW_SX_S14_S18_S1A_T6_T7_T9_mT8_S1C_bDpT10_ENKUlT_T0_E_clISt17integral_constantIbLb0EES1P_EEDaS1K_S1L_EUlS1K_E_NS1_11comp_targetILNS1_3genE0ELNS1_11target_archE4294967295ELNS1_3gpuE0ELNS1_3repE0EEENS1_30default_config_static_selectorELNS0_4arch9wavefront6targetE0EEEvSY_,comdat
	.globl	_ZN7rocprim17ROCPRIM_400000_NS6detail17trampoline_kernelINS0_13select_configILj256ELj13ELNS0_17block_load_methodE3ELS4_3ELS4_3ELNS0_20block_scan_algorithmE0ELj4294967295EEENS1_25partition_config_selectorILNS1_17partition_subalgoE3EjNS0_10empty_typeEbEEZZNS1_14partition_implILS8_3ELb0ES6_jNS0_17counting_iteratorIjlEEPS9_SE_NS0_5tupleIJPjSE_EEENSF_IJSE_SE_EEES9_SG_JZNS1_25segmented_radix_sort_implINS0_14default_configELb1EPKiPiPKlPlN2at6native12_GLOBAL__N_18offset_tEEE10hipError_tPvRmT1_PNSt15iterator_traitsISY_E10value_typeET2_T3_PNSZ_IS14_E10value_typeET4_jRbjT5_S1A_jjP12ihipStream_tbEUljE_EEESV_SW_SX_S14_S18_S1A_T6_T7_T9_mT8_S1C_bDpT10_ENKUlT_T0_E_clISt17integral_constantIbLb0EES1P_EEDaS1K_S1L_EUlS1K_E_NS1_11comp_targetILNS1_3genE0ELNS1_11target_archE4294967295ELNS1_3gpuE0ELNS1_3repE0EEENS1_30default_config_static_selectorELNS0_4arch9wavefront6targetE0EEEvSY_ ; -- Begin function _ZN7rocprim17ROCPRIM_400000_NS6detail17trampoline_kernelINS0_13select_configILj256ELj13ELNS0_17block_load_methodE3ELS4_3ELS4_3ELNS0_20block_scan_algorithmE0ELj4294967295EEENS1_25partition_config_selectorILNS1_17partition_subalgoE3EjNS0_10empty_typeEbEEZZNS1_14partition_implILS8_3ELb0ES6_jNS0_17counting_iteratorIjlEEPS9_SE_NS0_5tupleIJPjSE_EEENSF_IJSE_SE_EEES9_SG_JZNS1_25segmented_radix_sort_implINS0_14default_configELb1EPKiPiPKlPlN2at6native12_GLOBAL__N_18offset_tEEE10hipError_tPvRmT1_PNSt15iterator_traitsISY_E10value_typeET2_T3_PNSZ_IS14_E10value_typeET4_jRbjT5_S1A_jjP12ihipStream_tbEUljE_EEESV_SW_SX_S14_S18_S1A_T6_T7_T9_mT8_S1C_bDpT10_ENKUlT_T0_E_clISt17integral_constantIbLb0EES1P_EEDaS1K_S1L_EUlS1K_E_NS1_11comp_targetILNS1_3genE0ELNS1_11target_archE4294967295ELNS1_3gpuE0ELNS1_3repE0EEENS1_30default_config_static_selectorELNS0_4arch9wavefront6targetE0EEEvSY_
	.p2align	8
	.type	_ZN7rocprim17ROCPRIM_400000_NS6detail17trampoline_kernelINS0_13select_configILj256ELj13ELNS0_17block_load_methodE3ELS4_3ELS4_3ELNS0_20block_scan_algorithmE0ELj4294967295EEENS1_25partition_config_selectorILNS1_17partition_subalgoE3EjNS0_10empty_typeEbEEZZNS1_14partition_implILS8_3ELb0ES6_jNS0_17counting_iteratorIjlEEPS9_SE_NS0_5tupleIJPjSE_EEENSF_IJSE_SE_EEES9_SG_JZNS1_25segmented_radix_sort_implINS0_14default_configELb1EPKiPiPKlPlN2at6native12_GLOBAL__N_18offset_tEEE10hipError_tPvRmT1_PNSt15iterator_traitsISY_E10value_typeET2_T3_PNSZ_IS14_E10value_typeET4_jRbjT5_S1A_jjP12ihipStream_tbEUljE_EEESV_SW_SX_S14_S18_S1A_T6_T7_T9_mT8_S1C_bDpT10_ENKUlT_T0_E_clISt17integral_constantIbLb0EES1P_EEDaS1K_S1L_EUlS1K_E_NS1_11comp_targetILNS1_3genE0ELNS1_11target_archE4294967295ELNS1_3gpuE0ELNS1_3repE0EEENS1_30default_config_static_selectorELNS0_4arch9wavefront6targetE0EEEvSY_,@function
_ZN7rocprim17ROCPRIM_400000_NS6detail17trampoline_kernelINS0_13select_configILj256ELj13ELNS0_17block_load_methodE3ELS4_3ELS4_3ELNS0_20block_scan_algorithmE0ELj4294967295EEENS1_25partition_config_selectorILNS1_17partition_subalgoE3EjNS0_10empty_typeEbEEZZNS1_14partition_implILS8_3ELb0ES6_jNS0_17counting_iteratorIjlEEPS9_SE_NS0_5tupleIJPjSE_EEENSF_IJSE_SE_EEES9_SG_JZNS1_25segmented_radix_sort_implINS0_14default_configELb1EPKiPiPKlPlN2at6native12_GLOBAL__N_18offset_tEEE10hipError_tPvRmT1_PNSt15iterator_traitsISY_E10value_typeET2_T3_PNSZ_IS14_E10value_typeET4_jRbjT5_S1A_jjP12ihipStream_tbEUljE_EEESV_SW_SX_S14_S18_S1A_T6_T7_T9_mT8_S1C_bDpT10_ENKUlT_T0_E_clISt17integral_constantIbLb0EES1P_EEDaS1K_S1L_EUlS1K_E_NS1_11comp_targetILNS1_3genE0ELNS1_11target_archE4294967295ELNS1_3gpuE0ELNS1_3repE0EEENS1_30default_config_static_selectorELNS0_4arch9wavefront6targetE0EEEvSY_: ; @_ZN7rocprim17ROCPRIM_400000_NS6detail17trampoline_kernelINS0_13select_configILj256ELj13ELNS0_17block_load_methodE3ELS4_3ELS4_3ELNS0_20block_scan_algorithmE0ELj4294967295EEENS1_25partition_config_selectorILNS1_17partition_subalgoE3EjNS0_10empty_typeEbEEZZNS1_14partition_implILS8_3ELb0ES6_jNS0_17counting_iteratorIjlEEPS9_SE_NS0_5tupleIJPjSE_EEENSF_IJSE_SE_EEES9_SG_JZNS1_25segmented_radix_sort_implINS0_14default_configELb1EPKiPiPKlPlN2at6native12_GLOBAL__N_18offset_tEEE10hipError_tPvRmT1_PNSt15iterator_traitsISY_E10value_typeET2_T3_PNSZ_IS14_E10value_typeET4_jRbjT5_S1A_jjP12ihipStream_tbEUljE_EEESV_SW_SX_S14_S18_S1A_T6_T7_T9_mT8_S1C_bDpT10_ENKUlT_T0_E_clISt17integral_constantIbLb0EES1P_EEDaS1K_S1L_EUlS1K_E_NS1_11comp_targetILNS1_3genE0ELNS1_11target_archE4294967295ELNS1_3gpuE0ELNS1_3repE0EEENS1_30default_config_static_selectorELNS0_4arch9wavefront6targetE0EEEvSY_
; %bb.0:
	s_clause 0x4
	s_load_b128 s[8:11], s[0:1], 0x48
	s_load_b32 s2, s[0:1], 0x70
	s_load_b64 s[12:13], s[0:1], 0x10
	s_load_b64 s[14:15], s[0:1], 0x58
	s_load_b32 s20, s[0:1], 0x8
	s_bfe_u32 s3, ttmp6, 0x4000c
	s_and_b32 s4, ttmp6, 15
	s_add_co_i32 s3, s3, 1
	s_getreg_b32 s5, hwreg(HW_REG_IB_STS2, 6, 4)
	s_mul_i32 s3, ttmp9, s3
	s_mov_b32 s17, 0
	s_add_co_i32 s16, s4, s3
	s_cmp_eq_u32 s5, 0
	s_clause 0x1
	s_load_b32 s3, s[0:1], 0x88
	s_load_b128 s[4:7], s[0:1], 0x78
	s_cselect_b32 s24, ttmp9, s16
	v_lshlrev_b32_e32 v19, 2, v0
	s_wait_kmcnt 0x0
	s_load_b64 s[18:19], s[10:11], 0x0
	s_mul_i32 s16, s2, 0xd00
	s_add_co_i32 s2, s2, -1
	s_add_co_i32 s21, s16, s12
	s_wait_xcnt 0x0
	s_add_nc_u64 s[10:11], s[12:13], s[16:17]
	s_sub_co_i32 s23, s14, s21
	v_cmp_gt_u64_e64 s11, s[14:15], s[10:11]
	s_addk_co_i32 s23, 0xd00
	s_cmp_eq_u32 s24, s2
	s_mul_i32 s10, s24, 0xd00
	s_cselect_b32 s22, -1, 0
	s_cmp_lg_u32 s24, s2
	s_mov_b32 s17, -1
	s_cselect_b32 s2, -1, 0
	s_add_co_i32 s16, s20, s10
	s_or_b32 s11, s2, s11
	s_add_co_i32 s16, s16, s12
	s_and_b32 vcc_lo, exec_lo, s11
	v_add_nc_u32_e32 v1, s16, v0
	s_cbranch_vccz .LBB461_2
; %bb.1:
	s_delay_alu instid0(VALU_DEP_1)
	v_add_nc_u32_e32 v2, 0x100, v1
	v_add_nc_u32_e32 v3, 0x200, v1
	;; [unrolled: 1-line block ×12, first 2 shown]
	ds_store_2addr_stride64_b32 v19, v1, v2 offset1:4
	ds_store_2addr_stride64_b32 v19, v3, v4 offset0:8 offset1:12
	ds_store_2addr_stride64_b32 v19, v5, v6 offset0:16 offset1:20
	;; [unrolled: 1-line block ×5, first 2 shown]
	ds_store_b32 v19, v13 offset:12288
	s_wait_dscnt 0x0
	s_barrier_signal -1
	s_mov_b32 s17, 0
	s_barrier_wait -1
.LBB461_2:
	v_cmp_gt_u32_e64 s2, s23, v0
	v_or_b32_e32 v40, 0x100, v0
	v_or_b32_e32 v38, 0x200, v0
	;; [unrolled: 1-line block ×12, first 2 shown]
	s_and_not1_b32 vcc_lo, exec_lo, s17
	s_cbranch_vccnz .LBB461_4
; %bb.3:
	v_dual_add_nc_u32 v2, s16, v40 :: v_dual_cndmask_b32 v1, 0, v1, s2
	v_cmp_gt_u32_e32 vcc_lo, s23, v40
	v_dual_add_nc_u32 v3, s16, v38 :: v_dual_add_nc_u32 v4, s16, v36
	v_dual_add_nc_u32 v7, s16, v30 :: v_dual_add_nc_u32 v8, s16, v28
	s_delay_alu instid0(VALU_DEP_4)
	v_cndmask_b32_e32 v2, 0, v2, vcc_lo
	v_cmp_gt_u32_e32 vcc_lo, s23, v38
	v_dual_add_nc_u32 v11, s16, v22 :: v_dual_add_nc_u32 v12, s16, v20
	v_cndmask_b32_e32 v3, 0, v3, vcc_lo
	v_cmp_gt_u32_e32 vcc_lo, s23, v36
	v_dual_cndmask_b32 v4, 0, v4 :: v_dual_add_nc_u32 v5, s16, v34
	v_cmp_gt_u32_e32 vcc_lo, s23, v34
	s_delay_alu instid0(VALU_DEP_2) | instskip(SKIP_1) | instid1(VALU_DEP_2)
	v_dual_cndmask_b32 v5, 0, v5 :: v_dual_add_nc_u32 v6, s16, v32
	v_cmp_gt_u32_e32 vcc_lo, s23, v32
	v_cndmask_b32_e32 v6, 0, v6, vcc_lo
	v_cmp_gt_u32_e32 vcc_lo, s23, v30
	v_cndmask_b32_e32 v7, 0, v7, vcc_lo
	v_cmp_gt_u32_e32 vcc_lo, s23, v28
	v_dual_cndmask_b32 v8, 0, v8 :: v_dual_add_nc_u32 v9, s16, v26
	v_cmp_gt_u32_e32 vcc_lo, s23, v26
	s_delay_alu instid0(VALU_DEP_2) | instskip(SKIP_1) | instid1(VALU_DEP_2)
	v_dual_cndmask_b32 v9, 0, v9 :: v_dual_add_nc_u32 v10, s16, v24
	v_cmp_gt_u32_e32 vcc_lo, s23, v24
	v_cndmask_b32_e32 v10, 0, v10, vcc_lo
	v_cmp_gt_u32_e32 vcc_lo, s23, v22
	v_cndmask_b32_e32 v11, 0, v11, vcc_lo
	v_cmp_gt_u32_e32 vcc_lo, s23, v20
	v_dual_cndmask_b32 v12, 0, v12 :: v_dual_add_nc_u32 v13, s16, v18
	v_cmp_gt_u32_e32 vcc_lo, s23, v18
	s_delay_alu instid0(VALU_DEP_2)
	v_cndmask_b32_e32 v13, 0, v13, vcc_lo
	ds_store_2addr_stride64_b32 v19, v1, v2 offset1:4
	ds_store_2addr_stride64_b32 v19, v3, v4 offset0:8 offset1:12
	ds_store_2addr_stride64_b32 v19, v5, v6 offset0:16 offset1:20
	;; [unrolled: 1-line block ×5, first 2 shown]
	ds_store_b32 v19, v13 offset:12288
	s_wait_dscnt 0x0
	s_barrier_signal -1
	s_barrier_wait -1
.LBB461_4:
	v_mul_u32_u24_e32 v23, 13, v0
	v_cndmask_b32_e64 v21, 0, 1, s11
	s_and_not1_b32 vcc_lo, exec_lo, s11
	s_delay_alu instid0(VALU_DEP_2)
	v_lshlrev_b32_e32 v2, 2, v23
	ds_load_2addr_b32 v[50:51], v2 offset0:2 offset1:3
	ds_load_2addr_b32 v[46:47], v2 offset0:6 offset1:7
	;; [unrolled: 1-line block ×3, first 2 shown]
	ds_load_2addr_b32 v[52:53], v2 offset1:1
	ds_load_2addr_b32 v[42:43], v2 offset0:10 offset1:11
	ds_load_b32 v1, v2 offset:48
	ds_load_2addr_b32 v[44:45], v2 offset0:8 offset1:9
	s_wait_dscnt 0x0
	s_barrier_signal -1
	s_barrier_wait -1
	s_cbranch_vccnz .LBB461_6
; %bb.5:
	v_dual_add_nc_u32 v2, s5, v51 :: v_dual_add_nc_u32 v3, s5, v53
	v_dual_add_nc_u32 v4, s5, v52 :: v_dual_add_nc_u32 v5, s5, v50
	;; [unrolled: 1-line block ×4, first 2 shown]
	s_delay_alu instid0(VALU_DEP_3) | instskip(NEXT) | instid1(VALU_DEP_4)
	v_mul_lo_u32 v5, v5, s4
	v_mul_lo_u32 v4, v4, s4
	;; [unrolled: 1-line block ×8, first 2 shown]
	v_dual_add_nc_u32 v10, s5, v48 :: v_dual_add_nc_u32 v11, s7, v48
	v_dual_add_nc_u32 v14, s7, v43 :: v_dual_add_nc_u32 v15, s5, v42
	;; [unrolled: 1-line block ×3, first 2 shown]
	s_delay_alu instid0(VALU_DEP_3)
	v_mul_lo_u32 v10, v10, s4
	v_dual_sub_nc_u32 v2, v2, v6 :: v_dual_sub_nc_u32 v3, v3, v7
	v_dual_sub_nc_u32 v4, v4, v8 :: v_dual_sub_nc_u32 v5, v5, v9
	v_dual_add_nc_u32 v6, s5, v49 :: v_dual_add_nc_u32 v7, s7, v49
	v_dual_add_nc_u32 v8, s5, v47 :: v_dual_add_nc_u32 v9, s7, v47
	v_mul_lo_u32 v11, v11, s6
	s_delay_alu instid0(VALU_DEP_3) | instskip(NEXT) | instid1(VALU_DEP_4)
	v_mul_lo_u32 v6, v6, s4
	v_mul_lo_u32 v7, v7, s6
	s_delay_alu instid0(VALU_DEP_4)
	v_mul_lo_u32 v8, v8, s4
	v_mul_lo_u32 v9, v9, s6
	v_cmp_lt_u32_e32 vcc_lo, s3, v2
	v_dual_add_nc_u32 v12, s5, v46 :: v_dual_add_nc_u32 v13, s5, v44
	v_mul_lo_u32 v14, v14, s6
	v_mul_lo_u32 v16, v16, s6
	v_cndmask_b32_e64 v2, 0, 1, vcc_lo
	v_cmp_lt_u32_e32 vcc_lo, s3, v3
	v_mul_lo_u32 v13, v13, s4
	v_dual_sub_nc_u32 v6, v6, v7 :: v_dual_add_nc_u32 v7, s7, v46
	v_dual_sub_nc_u32 v8, v8, v9 :: v_dual_sub_nc_u32 v9, v10, v11
	v_dual_add_nc_u32 v11, s5, v45 :: v_dual_add_nc_u32 v10, s5, v43
	v_cndmask_b32_e64 v3, 0, 1, vcc_lo
	s_delay_alu instid0(VALU_DEP_4)
	v_cmp_lt_u32_e32 vcc_lo, s3, v6
	v_mul_lo_u32 v12, v12, s4
	v_mul_lo_u32 v7, v7, s6
	;; [unrolled: 1-line block ×4, first 2 shown]
	v_cndmask_b32_e64 v6, 0, 1, vcc_lo
	v_cmp_lt_u32_e32 vcc_lo, s3, v8
	v_lshlrev_b16 v3, 8, v3
	v_add_nc_u32_e32 v25, s7, v42
	v_mul_lo_u32 v17, v17, s6
	v_lshlrev_b16 v6, 8, v6
	v_cndmask_b32_e64 v8, 0, 1, vcc_lo
	v_cmp_lt_u32_e32 vcc_lo, s3, v4
	v_dual_sub_nc_u32 v7, v12, v7 :: v_dual_sub_nc_u32 v10, v10, v14
	v_mul_lo_u32 v12, v15, s4
	v_mul_lo_u32 v15, v25, s6
	v_dual_add_nc_u32 v25, s7, v1 :: v_dual_lshrrev_b32 v3, 8, v3
	v_sub_nc_u32_e32 v11, v11, v16
	v_cndmask_b32_e64 v4, 0, 1, vcc_lo
	v_cmp_lt_u32_e32 vcc_lo, s3, v10
	v_dual_lshrrev_b32 v6, 8, v6 :: v_dual_add_nc_u32 v14, s5, v1
	v_mul_lo_u32 v16, v25, s6
	v_lshlrev_b16 v2, 8, v2
	v_cndmask_b32_e64 v10, 0, 1, vcc_lo
	v_cmp_lt_u32_e32 vcc_lo, s3, v11
	v_mul_lo_u32 v14, v14, s4
	v_dual_sub_nc_u32 v13, v13, v17 :: v_dual_sub_nc_u32 v12, v12, v15
	v_lshlrev_b16 v3, 8, v3
	v_cndmask_b32_e64 v11, 0, 1, vcc_lo
	v_cmp_lt_u32_e32 vcc_lo, s3, v5
	v_lshrrev_b32_e32 v2, 8, v2
	v_lshlrev_b16 v8, 8, v8
	v_or_b32_e32 v3, v4, v3
	v_lshlrev_b16 v4, 8, v10
	v_cndmask_b32_e64 v5, 0, 1, vcc_lo
	v_cmp_lt_u32_e32 vcc_lo, s3, v9
	v_lshlrev_b16 v10, 8, v11
	v_sub_nc_u32_e32 v11, v14, v16
	v_lshlrev_b16 v2, 8, v2
	v_lshrrev_b32_e32 v4, 8, v4
	v_cndmask_b32_e64 v9, 0, 1, vcc_lo
	v_cmp_lt_u32_e32 vcc_lo, s3, v7
	v_lshrrev_b32_e32 v10, 8, v10
	v_lshlrev_b16 v6, 8, v6
	v_or_b32_e32 v2, v5, v2
	v_lshlrev_b16 v4, 8, v4
	v_cndmask_b32_e64 v7, 0, 1, vcc_lo
	v_cmp_lt_u32_e32 vcc_lo, s3, v13
	v_lshlrev_b16 v10, 8, v10
	v_or_b32_e32 v5, v9, v6
	v_and_b32_e32 v3, 0xffff, v3
	v_dual_lshlrev_b32 v2, 16, v2 :: v_dual_bitop2_b32 v6, v7, v8 bitop3:0x54
	v_cndmask_b32_e64 v13, 0, 1, vcc_lo
	v_cmp_lt_u32_e32 vcc_lo, s3, v12
	s_delay_alu instid0(VALU_DEP_3) | instskip(SKIP_4) | instid1(VALU_DEP_4)
	v_lshlrev_b32_e32 v6, 16, v6
	v_and_b32_e32 v5, 0xffff, v5
	v_or_b32_e32 v35, v3, v2
	v_cndmask_b32_e64 v12, 0, 1, vcc_lo
	v_cmp_lt_u32_e32 vcc_lo, s3, v11
	v_or_b32_e32 v31, v5, v6
	s_delay_alu instid0(VALU_DEP_3) | instskip(SKIP_2) | instid1(VALU_DEP_3)
	v_or_b32_e32 v4, v12, v4
	v_or_b32_e32 v7, v13, v10
	v_cndmask_b32_e64 v25, 0, 1, vcc_lo
	v_lshlrev_b32_e32 v4, 16, v4
	s_delay_alu instid0(VALU_DEP_3) | instskip(NEXT) | instid1(VALU_DEP_1)
	v_and_b32_e32 v7, 0xffff, v7
	v_or_b32_e32 v27, v7, v4
	s_load_b64 s[20:21], s[0:1], 0x68
	s_cbranch_execz .LBB461_7
	s_branch .LBB461_34
.LBB461_6:
                                        ; implicit-def: $vgpr25
                                        ; implicit-def: $vgpr27
                                        ; implicit-def: $vgpr31
                                        ; implicit-def: $vgpr35
	s_load_b64 s[20:21], s[0:1], 0x68
.LBB461_7:
	v_dual_mov_b32 v3, 0 :: v_dual_mov_b32 v2, 0
	s_mov_b32 s2, exec_lo
	v_cmpx_gt_u32_e64 s23, v23
	s_cbranch_execz .LBB461_9
; %bb.8:
	v_dual_add_nc_u32 v2, s5, v52 :: v_dual_add_nc_u32 v4, s7, v52
	s_delay_alu instid0(VALU_DEP_1) | instskip(NEXT) | instid1(VALU_DEP_2)
	v_mul_lo_u32 v2, v2, s4
	v_mul_lo_u32 v4, v4, s6
	s_delay_alu instid0(VALU_DEP_1) | instskip(NEXT) | instid1(VALU_DEP_1)
	v_sub_nc_u32_e32 v2, v2, v4
	v_cmp_lt_u32_e32 vcc_lo, s3, v2
	v_cndmask_b32_e64 v2, 0, 1, vcc_lo
.LBB461_9:
	s_or_b32 exec_lo, exec_lo, s2
	v_add_nc_u32_e32 v4, 1, v23
	s_mov_b32 s2, exec_lo
	s_delay_alu instid0(VALU_DEP_1)
	v_cmpx_gt_u32_e64 s23, v4
	s_cbranch_execz .LBB461_11
; %bb.10:
	v_dual_add_nc_u32 v3, s5, v53 :: v_dual_add_nc_u32 v4, s7, v53
	s_delay_alu instid0(VALU_DEP_1) | instskip(NEXT) | instid1(VALU_DEP_2)
	v_mul_lo_u32 v3, v3, s4
	v_mul_lo_u32 v4, v4, s6
	s_delay_alu instid0(VALU_DEP_1) | instskip(NEXT) | instid1(VALU_DEP_1)
	v_sub_nc_u32_e32 v3, v3, v4
	v_cmp_lt_u32_e32 vcc_lo, s3, v3
	v_cndmask_b32_e64 v3, 0, 1, vcc_lo
.LBB461_11:
	s_or_b32 exec_lo, exec_lo, s2
	v_dual_mov_b32 v5, 0 :: v_dual_add_nc_u32 v4, 2, v23
	s_delay_alu instid0(VALU_DEP_1)
	v_cmp_gt_u32_e32 vcc_lo, s23, v4
	v_mov_b32_e32 v4, 0
	s_and_saveexec_b32 s2, vcc_lo
	s_cbranch_execz .LBB461_13
; %bb.12:
	v_dual_add_nc_u32 v4, s5, v50 :: v_dual_add_nc_u32 v6, s7, v50
	s_delay_alu instid0(VALU_DEP_1) | instskip(NEXT) | instid1(VALU_DEP_2)
	v_mul_lo_u32 v4, v4, s4
	v_mul_lo_u32 v6, v6, s6
	s_delay_alu instid0(VALU_DEP_1) | instskip(NEXT) | instid1(VALU_DEP_1)
	v_sub_nc_u32_e32 v4, v4, v6
	v_cmp_lt_u32_e32 vcc_lo, s3, v4
	v_cndmask_b32_e64 v4, 0, 1, vcc_lo
.LBB461_13:
	s_or_b32 exec_lo, exec_lo, s2
	v_add_nc_u32_e32 v6, 3, v23
	s_mov_b32 s2, exec_lo
	s_delay_alu instid0(VALU_DEP_1)
	v_cmpx_gt_u32_e64 s23, v6
	s_cbranch_execz .LBB461_15
; %bb.14:
	v_dual_add_nc_u32 v5, s5, v51 :: v_dual_add_nc_u32 v6, s7, v51
	s_delay_alu instid0(VALU_DEP_1) | instskip(NEXT) | instid1(VALU_DEP_2)
	v_mul_lo_u32 v5, v5, s4
	v_mul_lo_u32 v6, v6, s6
	s_delay_alu instid0(VALU_DEP_1) | instskip(NEXT) | instid1(VALU_DEP_1)
	v_sub_nc_u32_e32 v5, v5, v6
	v_cmp_lt_u32_e32 vcc_lo, s3, v5
	v_cndmask_b32_e64 v5, 0, 1, vcc_lo
.LBB461_15:
	s_or_b32 exec_lo, exec_lo, s2
	v_dual_mov_b32 v7, 0 :: v_dual_add_nc_u32 v6, 4, v23
	s_delay_alu instid0(VALU_DEP_1)
	v_cmp_gt_u32_e32 vcc_lo, s23, v6
	v_mov_b32_e32 v6, 0
	s_and_saveexec_b32 s2, vcc_lo
	;; [unrolled: 33-line block ×5, first 2 shown]
	s_cbranch_execz .LBB461_29
; %bb.28:
	v_dual_add_nc_u32 v12, s5, v42 :: v_dual_add_nc_u32 v14, s7, v42
	s_delay_alu instid0(VALU_DEP_1) | instskip(NEXT) | instid1(VALU_DEP_2)
	v_mul_lo_u32 v12, v12, s4
	v_mul_lo_u32 v14, v14, s6
	s_delay_alu instid0(VALU_DEP_1) | instskip(NEXT) | instid1(VALU_DEP_1)
	v_sub_nc_u32_e32 v12, v12, v14
	v_cmp_lt_u32_e32 vcc_lo, s3, v12
	v_cndmask_b32_e64 v12, 0, 1, vcc_lo
.LBB461_29:
	s_or_b32 exec_lo, exec_lo, s2
	v_add_nc_u32_e32 v14, 11, v23
	s_mov_b32 s2, exec_lo
	s_delay_alu instid0(VALU_DEP_1)
	v_cmpx_gt_u32_e64 s23, v14
	s_cbranch_execz .LBB461_31
; %bb.30:
	v_dual_add_nc_u32 v13, s5, v43 :: v_dual_add_nc_u32 v14, s7, v43
	s_delay_alu instid0(VALU_DEP_1) | instskip(NEXT) | instid1(VALU_DEP_2)
	v_mul_lo_u32 v13, v13, s4
	v_mul_lo_u32 v14, v14, s6
	s_delay_alu instid0(VALU_DEP_1) | instskip(NEXT) | instid1(VALU_DEP_1)
	v_sub_nc_u32_e32 v13, v13, v14
	v_cmp_lt_u32_e32 vcc_lo, s3, v13
	v_cndmask_b32_e64 v13, 0, 1, vcc_lo
.LBB461_31:
	s_or_b32 exec_lo, exec_lo, s2
	v_dual_mov_b32 v25, 0 :: v_dual_add_nc_u32 v14, 12, v23
	s_mov_b32 s2, exec_lo
	s_delay_alu instid0(VALU_DEP_1)
	v_cmpx_gt_u32_e64 s23, v14
	s_cbranch_execz .LBB461_33
; %bb.32:
	v_dual_add_nc_u32 v14, s7, v1 :: v_dual_add_nc_u32 v15, s5, v1
	s_delay_alu instid0(VALU_DEP_1) | instskip(NEXT) | instid1(VALU_DEP_2)
	v_mul_lo_u32 v14, v14, s6
	v_mul_lo_u32 v15, v15, s4
	s_delay_alu instid0(VALU_DEP_1) | instskip(NEXT) | instid1(VALU_DEP_1)
	v_sub_nc_u32_e32 v14, v15, v14
	v_cmp_lt_u32_e32 vcc_lo, s3, v14
	v_cndmask_b32_e64 v25, 0, 1, vcc_lo
.LBB461_33:
	s_or_b32 exec_lo, exec_lo, s2
	v_lshlrev_b16 v5, 8, v5
	v_lshlrev_b16 v7, 8, v7
	v_lshlrev_b16 v9, 8, v9
	v_lshlrev_b16 v3, 8, v3
	v_lshlrev_b16 v11, 8, v11
	v_or_b32_e32 v4, v4, v5
	v_or_b32_e32 v5, v6, v7
	;; [unrolled: 1-line block ×3, first 2 shown]
	s_delay_alu instid0(VALU_DEP_4) | instskip(NEXT) | instid1(VALU_DEP_3)
	v_or_b32_e32 v7, v10, v11
	v_and_b32_e32 v5, 0xffff, v5
	s_delay_alu instid0(VALU_DEP_3) | instskip(SKIP_3) | instid1(VALU_DEP_4)
	v_dual_lshlrev_b32 v6, 16, v6 :: v_dual_bitop2_b32 v2, v2, v3 bitop3:0x54
	v_lshlrev_b32_e32 v4, 16, v4
	v_lshlrev_b16 v3, 8, v13
	v_and_b32_e32 v7, 0xffff, v7
	v_or_b32_e32 v31, v5, v6
	v_and_b32_e32 v2, 0xffff, v2
	s_delay_alu instid0(VALU_DEP_4) | instskip(NEXT) | instid1(VALU_DEP_1)
	v_or_b32_e32 v3, v12, v3
	v_dual_lshlrev_b32 v3, 16, v3 :: v_dual_bitop2_b32 v35, v2, v4 bitop3:0x54
	s_delay_alu instid0(VALU_DEP_1)
	v_or_b32_e32 v27, v7, v3
.LBB461_34:
	s_delay_alu instid0(VALU_DEP_2)
	v_bfe_u32 v39, v35, 16, 8
	v_bfe_u32 v41, v35, 8, 8
	v_and_b32_e32 v55, 0xff, v35
	v_and_b32_e32 v56, 0xff, v31
	v_mbcnt_lo_u32_b32 v62, -1, 0
	v_lshrrev_b32_e32 v37, 24, v35
	v_bfe_u32 v57, v31, 16, 8
	v_add3_u32 v2, v41, v55, v39
	v_bfe_u32 v58, v31, 8, 8
	v_and_b32_e32 v4, 15, v62
	s_load_b64 s[16:17], s[0:1], 0x28
	v_dual_lshrrev_b32 v33, 24, v31 :: v_dual_lshrrev_b32 v63, 5, v0
	v_add3_u32 v2, v2, v37, v56
	v_and_b32_e32 v59, 0xff, v27
	v_bfe_u32 v60, v27, 16, 8
	v_bfe_u32 v61, v27, 8, 8
	v_dual_lshrrev_b32 v29, 24, v27 :: v_dual_bitop2_b32 v5, 31, v0 bitop3:0x54
	v_add3_u32 v2, v2, v58, v57
	v_and_b32_e32 v3, 0xff, v25
	v_and_b32_e32 v6, 16, v62
	v_cmp_eq_u32_e64 s5, 0, v4
	v_cmp_lt_u32_e64 s4, 1, v4
	v_add3_u32 v2, v2, v33, v59
	v_cmp_lt_u32_e64 s3, 3, v4
	v_cmp_lt_u32_e64 s2, 7, v4
	s_wait_xcnt 0x0
	v_cmp_eq_u32_e64 s1, 0, v6
	v_cmp_eq_u32_e64 s0, v0, v5
	v_add3_u32 v2, v2, v61, v60
	s_cmp_lg_u32 s24, 0
	s_mov_b32 s6, -1
	s_delay_alu instid0(VALU_DEP_1)
	v_add3_u32 v64, v2, v29, v3
	s_cbranch_scc0 .LBB461_56
; %bb.35:
	s_delay_alu instid0(VALU_DEP_1) | instskip(NEXT) | instid1(VALU_DEP_1)
	v_mov_b32_dpp v2, v64 row_shr:1 row_mask:0xf bank_mask:0xf
	v_cndmask_b32_e64 v2, v2, 0, s5
	s_delay_alu instid0(VALU_DEP_1) | instskip(NEXT) | instid1(VALU_DEP_1)
	v_add_nc_u32_e32 v2, v2, v64
	v_mov_b32_dpp v3, v2 row_shr:2 row_mask:0xf bank_mask:0xf
	s_delay_alu instid0(VALU_DEP_1) | instskip(NEXT) | instid1(VALU_DEP_1)
	v_cndmask_b32_e64 v3, 0, v3, s4
	v_add_nc_u32_e32 v2, v2, v3
	s_delay_alu instid0(VALU_DEP_1) | instskip(NEXT) | instid1(VALU_DEP_1)
	v_mov_b32_dpp v3, v2 row_shr:4 row_mask:0xf bank_mask:0xf
	v_cndmask_b32_e64 v3, 0, v3, s3
	s_delay_alu instid0(VALU_DEP_1) | instskip(NEXT) | instid1(VALU_DEP_1)
	v_add_nc_u32_e32 v2, v2, v3
	v_mov_b32_dpp v3, v2 row_shr:8 row_mask:0xf bank_mask:0xf
	s_delay_alu instid0(VALU_DEP_1) | instskip(NEXT) | instid1(VALU_DEP_1)
	v_cndmask_b32_e64 v3, 0, v3, s2
	v_add_nc_u32_e32 v2, v2, v3
	ds_swizzle_b32 v3, v2 offset:swizzle(BROADCAST,32,15)
	s_wait_dscnt 0x0
	v_cndmask_b32_e64 v3, v3, 0, s1
	s_delay_alu instid0(VALU_DEP_1)
	v_add_nc_u32_e32 v2, v2, v3
	s_and_saveexec_b32 s6, s0
; %bb.36:
	v_lshlrev_b32_e32 v3, 2, v63
	ds_store_b32 v3, v2
; %bb.37:
	s_or_b32 exec_lo, exec_lo, s6
	s_delay_alu instid0(SALU_CYCLE_1)
	s_mov_b32 s6, exec_lo
	s_wait_dscnt 0x0
	s_barrier_signal -1
	s_barrier_wait -1
	v_cmpx_gt_u32_e32 8, v0
	s_cbranch_execz .LBB461_39
; %bb.38:
	ds_load_b32 v3, v19
	s_wait_dscnt 0x0
	v_mov_b32_dpp v5, v3 row_shr:1 row_mask:0xf bank_mask:0xf
	v_and_b32_e32 v4, 7, v62
	s_delay_alu instid0(VALU_DEP_1) | instskip(NEXT) | instid1(VALU_DEP_3)
	v_cmp_ne_u32_e32 vcc_lo, 0, v4
	v_cndmask_b32_e32 v5, 0, v5, vcc_lo
	v_cmp_lt_u32_e32 vcc_lo, 1, v4
	s_delay_alu instid0(VALU_DEP_2) | instskip(NEXT) | instid1(VALU_DEP_1)
	v_add_nc_u32_e32 v3, v5, v3
	v_mov_b32_dpp v5, v3 row_shr:2 row_mask:0xf bank_mask:0xf
	s_delay_alu instid0(VALU_DEP_1) | instskip(SKIP_1) | instid1(VALU_DEP_2)
	v_cndmask_b32_e32 v5, 0, v5, vcc_lo
	v_cmp_lt_u32_e32 vcc_lo, 3, v4
	v_add_nc_u32_e32 v3, v3, v5
	s_delay_alu instid0(VALU_DEP_1) | instskip(NEXT) | instid1(VALU_DEP_1)
	v_mov_b32_dpp v5, v3 row_shr:4 row_mask:0xf bank_mask:0xf
	v_cndmask_b32_e32 v4, 0, v5, vcc_lo
	s_delay_alu instid0(VALU_DEP_1)
	v_add_nc_u32_e32 v3, v3, v4
	ds_store_b32 v19, v3
.LBB461_39:
	s_or_b32 exec_lo, exec_lo, s6
	s_delay_alu instid0(SALU_CYCLE_1)
	s_mov_b32 s7, exec_lo
	v_cmp_gt_u32_e32 vcc_lo, 32, v0
	s_wait_dscnt 0x0
	s_barrier_signal -1
	s_barrier_wait -1
                                        ; implicit-def: $vgpr10
	v_cmpx_lt_u32_e32 31, v0
	s_cbranch_execz .LBB461_41
; %bb.40:
	v_lshl_add_u32 v3, v63, 2, -4
	ds_load_b32 v10, v3
	s_wait_dscnt 0x0
	v_add_nc_u32_e32 v2, v10, v2
.LBB461_41:
	s_or_b32 exec_lo, exec_lo, s7
	v_sub_co_u32 v3, s6, v62, 1
	s_delay_alu instid0(VALU_DEP_1) | instskip(NEXT) | instid1(VALU_DEP_1)
	v_cmp_gt_i32_e64 s7, 0, v3
	v_cndmask_b32_e64 v3, v3, v62, s7
	s_delay_alu instid0(VALU_DEP_1)
	v_lshlrev_b32_e32 v3, 2, v3
	ds_bpermute_b32 v11, v3, v2
	s_and_saveexec_b32 s7, vcc_lo
	s_cbranch_execz .LBB461_61
; %bb.42:
	v_mov_b32_e32 v9, 0
	ds_load_b32 v2, v9 offset:28
	s_and_saveexec_b32 s11, s6
	s_cbranch_execz .LBB461_44
; %bb.43:
	s_add_co_i32 s25, s24, 32
	s_delay_alu instid0(SALU_CYCLE_1)
	v_dual_mov_b32 v3, 1 :: v_dual_mov_b32 v4, s25
	s_wait_dscnt 0x0
	s_wait_kmcnt 0x0
	global_store_b64 v4, v[2:3], s[20:21] scale_offset scope:SCOPE_DEV
.LBB461_44:
	s_wait_xcnt 0x0
	s_or_b32 exec_lo, exec_lo, s11
	v_xad_u32 v4, v62, -1, s24
	s_mov_b32 s25, 0
	s_mov_b32 s11, exec_lo
	s_delay_alu instid0(VALU_DEP_1)
	v_add_nc_u32_e32 v8, 32, v4
	s_wait_kmcnt 0x0
	global_load_b64 v[6:7], v8, s[20:21] scale_offset scope:SCOPE_DEV
	s_wait_loadcnt 0x0
	v_and_b32_e32 v3, 0xff, v7
	s_wait_xcnt 0x0
	s_delay_alu instid0(VALU_DEP_1)
	v_cmpx_eq_u16_e32 0, v3
	s_cbranch_execz .LBB461_48
; %bb.45:
	v_lshl_add_u64 v[8:9], v[8:9], 3, s[20:21]
.LBB461_46:                             ; =>This Inner Loop Header: Depth=1
	global_load_b64 v[6:7], v[8:9], off scope:SCOPE_DEV
	s_wait_loadcnt 0x0
	v_and_b32_e32 v3, 0xff, v7
	s_delay_alu instid0(VALU_DEP_1)
	v_cmp_ne_u16_e32 vcc_lo, 0, v3
	s_or_b32 s25, vcc_lo, s25
	s_wait_xcnt 0x0
	s_and_not1_b32 exec_lo, exec_lo, s25
	s_cbranch_execnz .LBB461_46
; %bb.47:
	s_or_b32 exec_lo, exec_lo, s25
.LBB461_48:
	s_delay_alu instid0(SALU_CYCLE_1)
	s_or_b32 exec_lo, exec_lo, s11
	v_cmp_ne_u32_e32 vcc_lo, 31, v62
	v_lshlrev_b32_e64 v13, v62, -1
	v_dual_add_nc_u32 v15, 2, v62 :: v_dual_add_nc_u32 v17, 4, v62
	v_dual_add_nc_u32 v65, 8, v62 :: v_dual_add_nc_u32 v67, 16, v62
	v_add_co_ci_u32_e64 v3, null, 0, v62, vcc_lo
	v_lshl_or_b32 v66, v62, 2, 64
	s_delay_alu instid0(VALU_DEP_2)
	v_lshlrev_b32_e32 v12, 2, v3
	v_and_b32_e32 v3, 0xff, v7
	ds_bpermute_b32 v5, v12, v6
	v_cmp_eq_u16_e32 vcc_lo, 2, v3
	v_and_or_b32 v3, vcc_lo, v13, 0x80000000
	v_cmp_gt_u32_e32 vcc_lo, 30, v62
	s_delay_alu instid0(VALU_DEP_2) | instskip(SKIP_1) | instid1(VALU_DEP_2)
	v_ctz_i32_b32_e32 v3, v3
	v_cndmask_b32_e64 v8, 0, 2, vcc_lo
	v_cmp_lt_u32_e32 vcc_lo, v62, v3
	s_delay_alu instid0(VALU_DEP_2)
	v_add_lshl_u32 v14, v8, v62, 2
	s_wait_dscnt 0x0
	v_cndmask_b32_e32 v5, 0, v5, vcc_lo
	v_cmp_gt_u32_e32 vcc_lo, 28, v62
	v_cndmask_b32_e64 v8, 0, 4, vcc_lo
	v_cmp_le_u32_e32 vcc_lo, v15, v3
	s_delay_alu instid0(VALU_DEP_4) | instskip(NEXT) | instid1(VALU_DEP_3)
	v_add_nc_u32_e32 v5, v5, v6
	v_add_lshl_u32 v16, v8, v62, 2
	ds_bpermute_b32 v6, v14, v5
	s_wait_dscnt 0x0
	v_cndmask_b32_e32 v6, 0, v6, vcc_lo
	v_cmp_gt_u32_e32 vcc_lo, 24, v62
	v_cndmask_b32_e64 v8, 0, 8, vcc_lo
	v_cmp_le_u32_e32 vcc_lo, v17, v3
	s_delay_alu instid0(VALU_DEP_4) | instskip(NEXT) | instid1(VALU_DEP_3)
	v_add_nc_u32_e32 v5, v5, v6
	v_add_lshl_u32 v54, v8, v62, 2
	ds_bpermute_b32 v6, v16, v5
	s_wait_dscnt 0x0
	v_cndmask_b32_e32 v6, 0, v6, vcc_lo
	v_cmp_le_u32_e32 vcc_lo, v65, v3
	s_delay_alu instid0(VALU_DEP_2) | instskip(SKIP_4) | instid1(VALU_DEP_2)
	v_add_nc_u32_e32 v5, v5, v6
	ds_bpermute_b32 v6, v54, v5
	s_wait_dscnt 0x0
	v_cndmask_b32_e32 v6, 0, v6, vcc_lo
	v_cmp_le_u32_e32 vcc_lo, v67, v3
	v_add_nc_u32_e32 v5, v5, v6
	ds_bpermute_b32 v6, v66, v5
	s_wait_dscnt 0x0
	v_cndmask_b32_e32 v3, 0, v6, vcc_lo
	s_delay_alu instid0(VALU_DEP_1)
	v_dual_mov_b32 v5, 0 :: v_dual_add_nc_u32 v6, v5, v3
	s_branch .LBB461_52
.LBB461_49:                             ;   in Loop: Header=BB461_52 Depth=1
	s_or_b32 exec_lo, exec_lo, s25
.LBB461_50:                             ;   in Loop: Header=BB461_52 Depth=1
	s_delay_alu instid0(SALU_CYCLE_1)
	s_or_b32 exec_lo, exec_lo, s11
	v_and_b32_e32 v8, 0xff, v7
	ds_bpermute_b32 v9, v12, v6
	v_subrev_nc_u32_e32 v4, 32, v4
	s_mov_b32 s11, 0
	v_cmp_eq_u16_e32 vcc_lo, 2, v8
	v_and_or_b32 v8, vcc_lo, v13, 0x80000000
	s_delay_alu instid0(VALU_DEP_1) | instskip(NEXT) | instid1(VALU_DEP_1)
	v_ctz_i32_b32_e32 v8, v8
	v_cmp_lt_u32_e32 vcc_lo, v62, v8
	s_wait_dscnt 0x0
	v_cndmask_b32_e32 v9, 0, v9, vcc_lo
	v_cmp_le_u32_e32 vcc_lo, v15, v8
	s_delay_alu instid0(VALU_DEP_2) | instskip(SKIP_4) | instid1(VALU_DEP_2)
	v_add_nc_u32_e32 v6, v9, v6
	ds_bpermute_b32 v9, v14, v6
	s_wait_dscnt 0x0
	v_cndmask_b32_e32 v9, 0, v9, vcc_lo
	v_cmp_le_u32_e32 vcc_lo, v17, v8
	v_add_nc_u32_e32 v6, v6, v9
	ds_bpermute_b32 v9, v16, v6
	s_wait_dscnt 0x0
	v_cndmask_b32_e32 v9, 0, v9, vcc_lo
	v_cmp_le_u32_e32 vcc_lo, v65, v8
	s_delay_alu instid0(VALU_DEP_2) | instskip(SKIP_4) | instid1(VALU_DEP_2)
	v_add_nc_u32_e32 v6, v6, v9
	ds_bpermute_b32 v9, v54, v6
	s_wait_dscnt 0x0
	v_cndmask_b32_e32 v9, 0, v9, vcc_lo
	v_cmp_le_u32_e32 vcc_lo, v67, v8
	v_add_nc_u32_e32 v6, v6, v9
	ds_bpermute_b32 v9, v66, v6
	s_wait_dscnt 0x0
	v_cndmask_b32_e32 v8, 0, v9, vcc_lo
	s_delay_alu instid0(VALU_DEP_1)
	v_add3_u32 v6, v8, v3, v6
.LBB461_51:                             ;   in Loop: Header=BB461_52 Depth=1
	s_and_b32 vcc_lo, exec_lo, s11
	s_cbranch_vccnz .LBB461_57
.LBB461_52:                             ; =>This Loop Header: Depth=1
                                        ;     Child Loop BB461_55 Depth 2
	v_and_b32_e32 v3, 0xff, v7
	s_mov_b32 s11, -1
                                        ; implicit-def: $vgpr7
	s_delay_alu instid0(VALU_DEP_1)
	v_cmp_ne_u16_e32 vcc_lo, 2, v3
	v_mov_b32_e32 v3, v6
                                        ; implicit-def: $vgpr6
	s_cmp_lg_u32 vcc_lo, exec_lo
	s_cbranch_scc1 .LBB461_51
; %bb.53:                               ;   in Loop: Header=BB461_52 Depth=1
	global_load_b64 v[6:7], v4, s[20:21] scale_offset scope:SCOPE_DEV
	s_mov_b32 s11, exec_lo
	s_wait_loadcnt 0x0
	v_and_b32_e32 v8, 0xff, v7
	s_wait_xcnt 0x0
	s_delay_alu instid0(VALU_DEP_1)
	v_cmpx_eq_u16_e32 0, v8
	s_cbranch_execz .LBB461_50
; %bb.54:                               ;   in Loop: Header=BB461_52 Depth=1
	v_lshl_add_u64 v[8:9], v[4:5], 3, s[20:21]
	s_mov_b32 s25, 0
.LBB461_55:                             ;   Parent Loop BB461_52 Depth=1
                                        ; =>  This Inner Loop Header: Depth=2
	global_load_b64 v[6:7], v[8:9], off scope:SCOPE_DEV
	s_wait_loadcnt 0x0
	v_and_b32_e32 v68, 0xff, v7
	s_delay_alu instid0(VALU_DEP_1)
	v_cmp_ne_u16_e32 vcc_lo, 0, v68
	s_or_b32 s25, vcc_lo, s25
	s_wait_xcnt 0x0
	s_and_not1_b32 exec_lo, exec_lo, s25
	s_cbranch_execnz .LBB461_55
	s_branch .LBB461_49
.LBB461_56:
                                        ; implicit-def: $vgpr2_vgpr3_vgpr4_vgpr5_vgpr6_vgpr7_vgpr8_vgpr9_vgpr10_vgpr11_vgpr12_vgpr13_vgpr14_vgpr15_vgpr16_vgpr17
                                        ; implicit-def: $vgpr54
                                        ; implicit-def: $vgpr16
	s_and_b32 vcc_lo, exec_lo, s6
	s_cbranch_vccnz .LBB461_62
	s_branch .LBB461_71
.LBB461_57:
	s_and_saveexec_b32 s11, s6
	s_cbranch_execz .LBB461_59
; %bb.58:
	s_add_co_i32 s24, s24, 32
	v_dual_mov_b32 v5, 2 :: v_dual_add_nc_u32 v4, v3, v2
	v_dual_mov_b32 v6, s24 :: v_dual_mov_b32 v7, 0
	global_store_b64 v6, v[4:5], s[20:21] scale_offset scope:SCOPE_DEV
	ds_store_b64 v7, v[2:3] offset:13312
.LBB461_59:
	s_wait_xcnt 0x0
	s_or_b32 exec_lo, exec_lo, s11
	v_cmp_eq_u32_e32 vcc_lo, 0, v0
	s_and_b32 exec_lo, exec_lo, vcc_lo
; %bb.60:
	v_mov_b32_e32 v2, 0
	ds_store_b32 v2, v3 offset:28
.LBB461_61:
	s_or_b32 exec_lo, exec_lo, s7
	s_wait_dscnt 0x0
	v_dual_mov_b32 v12, 0 :: v_dual_cndmask_b32 v3, v11, v10, s6
	s_wait_storecnt 0x0
	s_barrier_signal -1
	s_barrier_wait -1
	ds_load_b32 v2, v12 offset:28
	v_cmp_ne_u32_e32 vcc_lo, 0, v0
	s_wait_dscnt 0x0
	s_barrier_signal -1
	s_barrier_wait -1
	v_cndmask_b32_e32 v3, 0, v3, vcc_lo
	ds_load_b64 v[16:17], v12 offset:13312
	v_add_nc_u32_e32 v2, v2, v3
	s_wait_dscnt 0x0
	s_delay_alu instid0(VALU_DEP_1) | instskip(NEXT) | instid1(VALU_DEP_1)
	v_dual_mov_b32 v54, v17 :: v_dual_add_nc_u32 v3, v2, v55
	v_add_nc_u32_e32 v4, v3, v41
	s_delay_alu instid0(VALU_DEP_1) | instskip(NEXT) | instid1(VALU_DEP_1)
	v_add_nc_u32_e32 v5, v4, v39
	v_add_nc_u32_e32 v6, v5, v37
	s_delay_alu instid0(VALU_DEP_1) | instskip(NEXT) | instid1(VALU_DEP_1)
	v_add_nc_u32_e32 v7, v6, v56
	;; [unrolled: 3-line block ×5, first 2 shown]
	v_add_nc_u32_e32 v14, v13, v29
	s_branch .LBB461_71
.LBB461_62:
	v_mov_b32_dpp v2, v64 row_shr:1 row_mask:0xf bank_mask:0xf
	s_delay_alu instid0(VALU_DEP_1) | instskip(NEXT) | instid1(VALU_DEP_1)
	v_cndmask_b32_e64 v2, v2, 0, s5
	v_add_nc_u32_e32 v2, v2, v64
	s_delay_alu instid0(VALU_DEP_1) | instskip(NEXT) | instid1(VALU_DEP_1)
	v_mov_b32_dpp v3, v2 row_shr:2 row_mask:0xf bank_mask:0xf
	v_cndmask_b32_e64 v3, 0, v3, s4
	s_delay_alu instid0(VALU_DEP_1) | instskip(NEXT) | instid1(VALU_DEP_1)
	v_add_nc_u32_e32 v2, v2, v3
	v_mov_b32_dpp v3, v2 row_shr:4 row_mask:0xf bank_mask:0xf
	s_delay_alu instid0(VALU_DEP_1) | instskip(NEXT) | instid1(VALU_DEP_1)
	v_cndmask_b32_e64 v3, 0, v3, s3
	v_add_nc_u32_e32 v2, v2, v3
	s_delay_alu instid0(VALU_DEP_1) | instskip(NEXT) | instid1(VALU_DEP_1)
	v_mov_b32_dpp v3, v2 row_shr:8 row_mask:0xf bank_mask:0xf
	v_cndmask_b32_e64 v3, 0, v3, s2
	s_delay_alu instid0(VALU_DEP_1) | instskip(SKIP_3) | instid1(VALU_DEP_1)
	v_add_nc_u32_e32 v2, v2, v3
	ds_swizzle_b32 v3, v2 offset:swizzle(BROADCAST,32,15)
	s_wait_dscnt 0x0
	v_cndmask_b32_e64 v3, v3, 0, s1
	v_add_nc_u32_e32 v2, v2, v3
	s_and_saveexec_b32 s1, s0
; %bb.63:
	v_lshlrev_b32_e32 v3, 2, v63
	ds_store_b32 v3, v2
; %bb.64:
	s_or_b32 exec_lo, exec_lo, s1
	s_delay_alu instid0(SALU_CYCLE_1)
	s_mov_b32 s0, exec_lo
	s_wait_dscnt 0x0
	s_barrier_signal -1
	s_barrier_wait -1
	v_cmpx_gt_u32_e32 8, v0
	s_cbranch_execz .LBB461_66
; %bb.65:
	ds_load_b32 v3, v19
	s_wait_dscnt 0x0
	v_mov_b32_dpp v5, v3 row_shr:1 row_mask:0xf bank_mask:0xf
	v_and_b32_e32 v4, 7, v62
	s_delay_alu instid0(VALU_DEP_1) | instskip(NEXT) | instid1(VALU_DEP_3)
	v_cmp_ne_u32_e32 vcc_lo, 0, v4
	v_cndmask_b32_e32 v5, 0, v5, vcc_lo
	v_cmp_lt_u32_e32 vcc_lo, 1, v4
	s_delay_alu instid0(VALU_DEP_2) | instskip(NEXT) | instid1(VALU_DEP_1)
	v_add_nc_u32_e32 v3, v5, v3
	v_mov_b32_dpp v5, v3 row_shr:2 row_mask:0xf bank_mask:0xf
	s_delay_alu instid0(VALU_DEP_1) | instskip(SKIP_1) | instid1(VALU_DEP_2)
	v_cndmask_b32_e32 v5, 0, v5, vcc_lo
	v_cmp_lt_u32_e32 vcc_lo, 3, v4
	v_add_nc_u32_e32 v3, v3, v5
	s_delay_alu instid0(VALU_DEP_1) | instskip(NEXT) | instid1(VALU_DEP_1)
	v_mov_b32_dpp v5, v3 row_shr:4 row_mask:0xf bank_mask:0xf
	v_cndmask_b32_e32 v4, 0, v5, vcc_lo
	s_delay_alu instid0(VALU_DEP_1)
	v_add_nc_u32_e32 v3, v3, v4
	ds_store_b32 v19, v3
.LBB461_66:
	s_or_b32 exec_lo, exec_lo, s0
	v_dual_mov_b32 v4, 0 :: v_dual_mov_b32 v3, 0
	s_mov_b32 s0, exec_lo
	s_wait_dscnt 0x0
	s_barrier_signal -1
	s_barrier_wait -1
	v_cmpx_lt_u32_e32 31, v0
; %bb.67:
	v_lshl_add_u32 v3, v63, 2, -4
	ds_load_b32 v3, v3
; %bb.68:
	s_or_b32 exec_lo, exec_lo, s0
	v_sub_co_u32 v5, vcc_lo, v62, 1
	ds_load_b32 v16, v4 offset:28
	v_cmp_gt_i32_e64 s0, 0, v5
	s_delay_alu instid0(VALU_DEP_1) | instskip(SKIP_3) | instid1(VALU_DEP_3)
	v_cndmask_b32_e64 v5, v5, v62, s0
	s_wait_dscnt 0x1
	v_add_nc_u32_e32 v2, v3, v2
	v_cmp_eq_u32_e64 s0, 0, v0
	v_lshlrev_b32_e32 v5, 2, v5
	ds_bpermute_b32 v2, v5, v2
	s_and_saveexec_b32 s1, s0
	s_cbranch_execz .LBB461_70
; %bb.69:
	v_dual_mov_b32 v4, 0 :: v_dual_mov_b32 v17, 2
	s_wait_dscnt 0x1
	s_wait_kmcnt 0x0
	global_store_b64 v4, v[16:17], s[20:21] offset:256 scope:SCOPE_DEV
.LBB461_70:
	s_wait_xcnt 0x0
	s_or_b32 exec_lo, exec_lo, s1
	s_wait_dscnt 0x0
	v_cndmask_b32_e32 v2, v2, v3, vcc_lo
	s_wait_storecnt 0x0
	s_barrier_signal -1
	s_barrier_wait -1
	s_delay_alu instid0(VALU_DEP_1) | instskip(NEXT) | instid1(VALU_DEP_1)
	v_cndmask_b32_e64 v2, v2, 0, s0
	v_dual_mov_b32 v54, 0 :: v_dual_add_nc_u32 v3, v2, v55
	s_delay_alu instid0(VALU_DEP_1) | instskip(NEXT) | instid1(VALU_DEP_1)
	v_add_nc_u32_e32 v4, v3, v41
	v_add_nc_u32_e32 v5, v4, v39
	s_delay_alu instid0(VALU_DEP_1) | instskip(NEXT) | instid1(VALU_DEP_1)
	v_add_nc_u32_e32 v6, v5, v37
	v_add_nc_u32_e32 v7, v6, v56
	;; [unrolled: 3-line block ×5, first 2 shown]
	s_delay_alu instid0(VALU_DEP_1)
	v_add_nc_u32_e32 v14, v13, v29
.LBB461_71:
	v_dual_lshrrev_b32 v55, 16, v35 :: v_dual_lshrrev_b32 v56, 8, v35
	v_dual_add_nc_u32 v23, v16, v23 :: v_dual_sub_nc_u32 v3, v3, v54
	v_dual_sub_nc_u32 v2, v2, v54 :: v_dual_bitop2_b32 v35, 1, v35 bitop3:0x40
	s_delay_alu instid0(VALU_DEP_3) | instskip(NEXT) | instid1(VALU_DEP_4)
	v_dual_sub_nc_u32 v4, v4, v54 :: v_dual_bitop2_b32 v56, 1, v56 bitop3:0x40
	v_and_b32_e32 v55, 1, v55
	s_delay_alu instid0(VALU_DEP_3) | instskip(NEXT) | instid1(VALU_DEP_4)
	v_dual_sub_nc_u32 v57, v23, v3 :: v_dual_sub_nc_u32 v58, v23, v2
	v_cmp_eq_u32_e32 vcc_lo, 1, v35
	s_delay_alu instid0(VALU_DEP_4) | instskip(NEXT) | instid1(VALU_DEP_3)
	v_dual_sub_nc_u32 v5, v5, v54 :: v_dual_sub_nc_u32 v59, v23, v4
	v_dual_add_nc_u32 v57, 1, v57 :: v_dual_sub_nc_u32 v6, v6, v54
	s_delay_alu instid0(VALU_DEP_4) | instskip(SKIP_1) | instid1(VALU_DEP_4)
	v_cndmask_b32_e32 v2, v58, v2, vcc_lo
	v_cmp_eq_u32_e32 vcc_lo, 1, v56
	v_dual_sub_nc_u32 v35, v23, v5 :: v_dual_add_nc_u32 v56, 2, v59
	v_dual_lshrrev_b32 v41, 8, v31 :: v_dual_lshrrev_b32 v39, 16, v31
	v_dual_cndmask_b32 v3, v57, v3, vcc_lo :: v_dual_bitop2_b32 v37, 1, v37 bitop3:0x40
	v_lshlrev_b32_e32 v2, 2, v2
	v_cmp_eq_u32_e32 vcc_lo, 1, v55
	v_add_nc_u32_e32 v35, 3, v35
	s_delay_alu instid0(VALU_DEP_4)
	v_lshlrev_b32_e32 v3, 2, v3
	v_dual_lshrrev_b32 v15, 16, v27 :: v_dual_lshrrev_b32 v17, 8, v27
	v_cndmask_b32_e32 v4, v56, v4, vcc_lo
	v_cmp_eq_u32_e32 vcc_lo, 1, v37
	ds_store_b32 v2, v52
	ds_store_b32 v3, v53
	v_dual_lshlrev_b32 v3, 2, v4 :: v_dual_cndmask_b32 v5, v35, v5, vcc_lo
	s_delay_alu instid0(VALU_DEP_1) | instskip(SKIP_1) | instid1(VALU_DEP_2)
	v_dual_sub_nc_u32 v2, v23, v6 :: v_dual_lshlrev_b32 v4, 2, v5
	v_dual_sub_nc_u32 v5, v7, v54 :: v_dual_bitop2_b32 v7, 1, v31 bitop3:0x40
	v_add_nc_u32_e32 v2, 4, v2
	ds_store_b32 v3, v50
	ds_store_b32 v4, v51
	v_sub_nc_u32_e32 v3, v23, v5
	v_cmp_eq_u32_e32 vcc_lo, 1, v7
	s_delay_alu instid0(VALU_DEP_2) | instskip(SKIP_1) | instid1(VALU_DEP_2)
	v_dual_sub_nc_u32 v4, v8, v54 :: v_dual_add_nc_u32 v3, 5, v3
	v_dual_cndmask_b32 v2, v2, v6, vcc_lo :: v_dual_bitop2_b32 v6, 1, v41 bitop3:0x40
	v_dual_sub_nc_u32 v7, v9, v54 :: v_dual_sub_nc_u32 v8, v23, v4
	s_delay_alu instid0(VALU_DEP_2) | instskip(NEXT) | instid1(VALU_DEP_2)
	v_cmp_eq_u32_e32 vcc_lo, 1, v6
	v_dual_lshlrev_b32 v2, 2, v2 :: v_dual_add_nc_u32 v8, 6, v8
	v_cndmask_b32_e32 v3, v3, v5, vcc_lo
	s_delay_alu instid0(VALU_DEP_4)
	v_sub_nc_u32_e32 v5, v23, v7
	v_and_b32_e32 v6, 1, v39
	ds_store_b32 v2, v48
	v_dual_lshlrev_b32 v3, 2, v3 :: v_dual_add_nc_u32 v5, 7, v5
	v_cmp_eq_u32_e32 vcc_lo, 1, v6
	v_dual_sub_nc_u32 v6, v11, v54 :: v_dual_bitop2_b32 v2, 1, v33 bitop3:0x40
	ds_store_b32 v3, v49
	v_cndmask_b32_e32 v4, v8, v4, vcc_lo
	v_cmp_eq_u32_e32 vcc_lo, 1, v2
	s_delay_alu instid0(VALU_DEP_2)
	v_dual_lshlrev_b32 v4, 2, v4 :: v_dual_cndmask_b32 v2, v5, v7, vcc_lo
	v_dual_sub_nc_u32 v5, v10, v54 :: v_dual_bitop2_b32 v7, 1, v17 bitop3:0x40
	v_sub_nc_u32_e32 v3, v23, v6
	ds_store_b32 v4, v46
	v_dual_sub_nc_u32 v4, v23, v5 :: v_dual_lshlrev_b32 v2, 2, v2
	v_add_nc_u32_e32 v3, 9, v3
	v_cmp_eq_u32_e32 vcc_lo, 1, v7
	s_delay_alu instid0(VALU_DEP_3) | instskip(SKIP_3) | instid1(VALU_DEP_2)
	v_dual_sub_nc_u32 v7, v12, v54 :: v_dual_add_nc_u32 v4, 8, v4
	ds_store_b32 v2, v47
	v_dual_cndmask_b32 v3, v3, v6, vcc_lo :: v_dual_bitop2_b32 v2, 1, v27 bitop3:0x40
	v_dual_sub_nc_u32 v6, v13, v54 :: v_dual_sub_nc_u32 v8, v14, v54
	v_cmp_eq_u32_e32 vcc_lo, 1, v2
	v_dual_cndmask_b32 v2, v4, v5 :: v_dual_sub_nc_u32 v5, v23, v7
	s_delay_alu instid0(VALU_DEP_3) | instskip(SKIP_1) | instid1(VALU_DEP_3)
	v_dual_sub_nc_u32 v4, v23, v6 :: v_dual_sub_nc_u32 v9, v23, v8
	v_and_b32_e32 v10, 1, v15
	v_dual_lshlrev_b32 v2, 2, v2 :: v_dual_bitop2_b32 v12, 1, v25 bitop3:0x40
	s_delay_alu instid0(VALU_DEP_3) | instskip(NEXT) | instid1(VALU_DEP_1)
	v_dual_add_nc_u32 v4, 11, v4 :: v_dual_bitop2_b32 v11, 1, v29 bitop3:0x40
	v_cmp_eq_u32_e32 vcc_lo, 1, v11
	s_delay_alu instid0(VALU_DEP_2) | instskip(SKIP_3) | instid1(VALU_DEP_1)
	v_cndmask_b32_e32 v4, v4, v6, vcc_lo
	v_cmp_eq_u32_e32 vcc_lo, 1, v10
	v_add_nc_u32_e32 v9, 12, v9
	v_add_nc_u32_e32 v5, 10, v5
	v_cndmask_b32_e32 v5, v5, v7, vcc_lo
	v_cmp_eq_u32_e32 vcc_lo, 1, v12
	s_delay_alu instid0(VALU_DEP_2) | instskip(SKIP_3) | instid1(VALU_DEP_3)
	v_dual_lshlrev_b32 v3, 2, v3 :: v_dual_lshlrev_b32 v5, 2, v5
	v_cndmask_b32_e32 v6, v9, v8, vcc_lo
	v_lshlrev_b32_e32 v4, 2, v4
	v_cmp_ne_u32_e32 vcc_lo, 1, v21
	v_lshlrev_b32_e32 v6, 2, v6
	ds_store_b32 v2, v44
	ds_store_b32 v3, v45
	;; [unrolled: 1-line block ×5, first 2 shown]
	s_wait_dscnt 0x0
	s_barrier_signal -1
	s_barrier_wait -1
	ds_load_2addr_stride64_b32 v[14:15], v19 offset1:4
	ds_load_2addr_stride64_b32 v[12:13], v19 offset0:8 offset1:12
	ds_load_2addr_stride64_b32 v[10:11], v19 offset0:16 offset1:20
	;; [unrolled: 1-line block ×5, first 2 shown]
	ds_load_b32 v46, v19 offset:12288
	v_mov_b32_e32 v1, 0
	s_and_b32 vcc_lo, exec_lo, vcc_lo
	s_delay_alu instid0(VALU_DEP_1) | instskip(SKIP_3) | instid1(VALU_DEP_3)
	v_dual_mov_b32 v29, v1 :: v_dual_mov_b32 v55, v1
	v_dual_mov_b32 v41, v1 :: v_dual_mov_b32 v39, v1
	;; [unrolled: 1-line block ×3, first 2 shown]
	s_wait_kmcnt 0x0
	v_add_nc_u64_e32 v[2:3], s[18:19], v[54:55]
	v_dual_mov_b32 v33, v1 :: v_dual_mov_b32 v31, v1
	v_dual_mov_b32 v27, v1 :: v_dual_mov_b32 v25, v1
	;; [unrolled: 1-line block ×3, first 2 shown]
	v_mov_b32_e32 v19, v1
	s_cbranch_vccnz .LBB461_125
; %bb.72:
	v_mov_b32_e32 v17, v1
	s_mov_b32 s11, 0
	v_sub_nc_u64_e64 v[42:43], v[2:3], s[12:13]
	s_sub_nc_u64 s[0:1], s[14:15], s[10:11]
	s_delay_alu instid0(VALU_DEP_2) | instid1(SALU_CYCLE_1)
	v_add_nc_u64_e32 v[44:45], s[0:1], v[16:17]
	s_mov_b32 s0, exec_lo
	s_delay_alu instid0(VALU_DEP_1)
	v_add_nc_u64_e32 v[42:43], v[44:45], v[42:43]
                                        ; implicit-def: $vgpr44_vgpr45
	v_cmpx_ge_u32_e64 v0, v16
	s_xor_b32 s0, exec_lo, s0
; %bb.73:
	v_not_b32_e32 v44, v0
	s_delay_alu instid0(VALU_DEP_1) | instskip(NEXT) | instid1(VALU_DEP_1)
	v_ashrrev_i32_e32 v45, 31, v44
	v_add_nc_u64_e32 v[44:45], v[42:43], v[44:45]
; %bb.74:
	s_and_not1_saveexec_b32 s0, s0
; %bb.75:
	v_add_nc_u64_e32 v[44:45], v[2:3], v[0:1]
; %bb.76:
	s_or_b32 exec_lo, exec_lo, s0
	s_delay_alu instid0(VALU_DEP_1)
	v_lshl_add_u64 v[44:45], v[44:45], 2, s[16:17]
	s_mov_b32 s0, exec_lo
	s_wait_dscnt 0x6
	global_store_b32 v[44:45], v14, off
                                        ; implicit-def: $vgpr44_vgpr45
	s_wait_xcnt 0x0
	v_cmpx_ge_u32_e64 v40, v16
	s_xor_b32 s0, exec_lo, s0
; %bb.77:
	v_xor_b32_e32 v44, 0xfffffeff, v0
	s_delay_alu instid0(VALU_DEP_1) | instskip(NEXT) | instid1(VALU_DEP_1)
	v_ashrrev_i32_e32 v45, 31, v44
	v_add_nc_u64_e32 v[44:45], v[42:43], v[44:45]
; %bb.78:
	s_and_not1_saveexec_b32 s0, s0
; %bb.79:
	v_add_nc_u64_e32 v[44:45], v[2:3], v[40:41]
; %bb.80:
	s_or_b32 exec_lo, exec_lo, s0
	s_delay_alu instid0(VALU_DEP_1)
	v_lshl_add_u64 v[44:45], v[44:45], 2, s[16:17]
	s_mov_b32 s0, exec_lo
	global_store_b32 v[44:45], v15, off
                                        ; implicit-def: $vgpr44_vgpr45
	s_wait_xcnt 0x0
	v_cmpx_ge_u32_e64 v38, v16
	s_xor_b32 s0, exec_lo, s0
; %bb.81:
	v_xor_b32_e32 v44, 0xfffffdff, v0
	s_delay_alu instid0(VALU_DEP_1) | instskip(NEXT) | instid1(VALU_DEP_1)
	v_ashrrev_i32_e32 v45, 31, v44
	v_add_nc_u64_e32 v[44:45], v[42:43], v[44:45]
; %bb.82:
	s_and_not1_saveexec_b32 s0, s0
; %bb.83:
	v_add_nc_u64_e32 v[44:45], v[2:3], v[38:39]
; %bb.84:
	s_or_b32 exec_lo, exec_lo, s0
	s_delay_alu instid0(VALU_DEP_1)
	v_lshl_add_u64 v[44:45], v[44:45], 2, s[16:17]
	s_mov_b32 s0, exec_lo
	s_wait_dscnt 0x5
	global_store_b32 v[44:45], v12, off
                                        ; implicit-def: $vgpr44_vgpr45
	s_wait_xcnt 0x0
	v_cmpx_ge_u32_e64 v36, v16
	s_xor_b32 s0, exec_lo, s0
; %bb.85:
	v_xor_b32_e32 v44, 0xfffffcff, v0
	s_delay_alu instid0(VALU_DEP_1) | instskip(NEXT) | instid1(VALU_DEP_1)
	v_ashrrev_i32_e32 v45, 31, v44
	v_add_nc_u64_e32 v[44:45], v[42:43], v[44:45]
; %bb.86:
	s_and_not1_saveexec_b32 s0, s0
; %bb.87:
	v_add_nc_u64_e32 v[44:45], v[2:3], v[36:37]
; %bb.88:
	s_or_b32 exec_lo, exec_lo, s0
	s_delay_alu instid0(VALU_DEP_1)
	v_lshl_add_u64 v[44:45], v[44:45], 2, s[16:17]
	s_mov_b32 s0, exec_lo
	global_store_b32 v[44:45], v13, off
                                        ; implicit-def: $vgpr44_vgpr45
	s_wait_xcnt 0x0
	v_cmpx_ge_u32_e64 v34, v16
	s_xor_b32 s0, exec_lo, s0
; %bb.89:
	v_xor_b32_e32 v44, 0xfffffbff, v0
	;; [unrolled: 39-line block ×6, first 2 shown]
	s_delay_alu instid0(VALU_DEP_1) | instskip(NEXT) | instid1(VALU_DEP_1)
	v_ashrrev_i32_e32 v45, 31, v44
	v_add_nc_u64_e32 v[44:45], v[42:43], v[44:45]
; %bb.122:
	s_and_not1_saveexec_b32 s0, s0
; %bb.123:
	v_add_nc_u64_e32 v[44:45], v[2:3], v[18:19]
; %bb.124:
	s_or_b32 exec_lo, exec_lo, s0
	s_mov_b32 s0, -1
	s_branch .LBB461_205
.LBB461_125:
	s_mov_b32 s0, 0
                                        ; implicit-def: $vgpr44_vgpr45
	s_cbranch_execz .LBB461_205
; %bb.126:
	s_mov_b32 s11, 0
	v_mov_b32_e32 v17, 0
	s_add_nc_u64 s[2:3], s[12:13], s[10:11]
	s_mov_b32 s1, exec_lo
	s_sub_nc_u64 s[2:3], s[14:15], s[2:3]
	s_delay_alu instid0(VALU_DEP_1) | instid1(SALU_CYCLE_1)
	v_add_nc_u64_e32 v[42:43], s[2:3], v[16:17]
	s_delay_alu instid0(VALU_DEP_1)
	v_add_nc_u64_e32 v[42:43], v[42:43], v[2:3]
	v_cmpx_gt_u32_e64 s23, v0
	s_cbranch_execz .LBB461_162
; %bb.127:
	s_mov_b32 s2, exec_lo
                                        ; implicit-def: $vgpr44_vgpr45
	v_cmpx_ge_u32_e64 v0, v16
	s_xor_b32 s2, exec_lo, s2
; %bb.128:
	v_not_b32_e32 v44, v0
	s_delay_alu instid0(VALU_DEP_1) | instskip(NEXT) | instid1(VALU_DEP_1)
	v_ashrrev_i32_e32 v45, 31, v44
	v_add_nc_u64_e32 v[44:45], v[42:43], v[44:45]
; %bb.129:
	s_and_not1_saveexec_b32 s2, s2
; %bb.130:
	v_add_nc_u64_e32 v[44:45], v[2:3], v[0:1]
; %bb.131:
	s_or_b32 exec_lo, exec_lo, s2
	s_delay_alu instid0(VALU_DEP_1) | instskip(SKIP_4) | instid1(SALU_CYCLE_1)
	v_lshl_add_u64 v[44:45], v[44:45], 2, s[16:17]
	s_wait_dscnt 0x6
	global_store_b32 v[44:45], v14, off
	s_wait_xcnt 0x0
	s_or_b32 exec_lo, exec_lo, s1
	s_mov_b32 s1, exec_lo
	v_cmpx_gt_u32_e64 s23, v40
	s_cbranch_execnz .LBB461_163
.LBB461_132:
	s_or_b32 exec_lo, exec_lo, s1
	s_delay_alu instid0(SALU_CYCLE_1)
	s_mov_b32 s1, exec_lo
	v_cmpx_gt_u32_e64 s23, v38
	s_cbranch_execz .LBB461_168
.LBB461_133:
	s_mov_b32 s2, exec_lo
                                        ; implicit-def: $vgpr14_vgpr15
	v_cmpx_ge_u32_e64 v38, v16
	s_xor_b32 s2, exec_lo, s2
	s_cbranch_execz .LBB461_135
; %bb.134:
	s_wait_dscnt 0x6
	v_xor_b32_e32 v14, 0xfffffdff, v0
                                        ; implicit-def: $vgpr38_vgpr39
	s_delay_alu instid0(VALU_DEP_1) | instskip(NEXT) | instid1(VALU_DEP_1)
	v_ashrrev_i32_e32 v15, 31, v14
	v_add_nc_u64_e32 v[14:15], v[42:43], v[14:15]
.LBB461_135:
	s_and_not1_saveexec_b32 s2, s2
	s_cbranch_execz .LBB461_137
; %bb.136:
	s_wait_dscnt 0x6
	v_add_nc_u64_e32 v[14:15], v[2:3], v[38:39]
.LBB461_137:
	s_or_b32 exec_lo, exec_lo, s2
	s_wait_dscnt 0x6
	s_delay_alu instid0(VALU_DEP_1) | instskip(SKIP_4) | instid1(SALU_CYCLE_1)
	v_lshl_add_u64 v[14:15], v[14:15], 2, s[16:17]
	s_wait_dscnt 0x5
	global_store_b32 v[14:15], v12, off
	s_wait_xcnt 0x0
	s_or_b32 exec_lo, exec_lo, s1
	s_mov_b32 s1, exec_lo
	v_cmpx_gt_u32_e64 s23, v36
	s_cbranch_execnz .LBB461_169
.LBB461_138:
	s_or_b32 exec_lo, exec_lo, s1
	s_delay_alu instid0(SALU_CYCLE_1)
	s_mov_b32 s1, exec_lo
	v_cmpx_gt_u32_e64 s23, v34
	s_cbranch_execz .LBB461_174
.LBB461_139:
	s_mov_b32 s2, exec_lo
                                        ; implicit-def: $vgpr12_vgpr13
	v_cmpx_ge_u32_e64 v34, v16
	s_xor_b32 s2, exec_lo, s2
	s_cbranch_execz .LBB461_141
; %bb.140:
	s_wait_dscnt 0x5
	v_xor_b32_e32 v12, 0xfffffbff, v0
                                        ; implicit-def: $vgpr34_vgpr35
	s_delay_alu instid0(VALU_DEP_1) | instskip(NEXT) | instid1(VALU_DEP_1)
	v_ashrrev_i32_e32 v13, 31, v12
	v_add_nc_u64_e32 v[12:13], v[42:43], v[12:13]
.LBB461_141:
	s_and_not1_saveexec_b32 s2, s2
	s_cbranch_execz .LBB461_143
; %bb.142:
	s_wait_dscnt 0x5
	v_add_nc_u64_e32 v[12:13], v[2:3], v[34:35]
.LBB461_143:
	s_or_b32 exec_lo, exec_lo, s2
	s_wait_dscnt 0x5
	s_delay_alu instid0(VALU_DEP_1) | instskip(SKIP_4) | instid1(SALU_CYCLE_1)
	v_lshl_add_u64 v[12:13], v[12:13], 2, s[16:17]
	s_wait_dscnt 0x4
	global_store_b32 v[12:13], v10, off
	s_wait_xcnt 0x0
	s_or_b32 exec_lo, exec_lo, s1
	s_mov_b32 s1, exec_lo
	v_cmpx_gt_u32_e64 s23, v32
	s_cbranch_execnz .LBB461_175
.LBB461_144:
	s_or_b32 exec_lo, exec_lo, s1
	s_delay_alu instid0(SALU_CYCLE_1)
	s_mov_b32 s1, exec_lo
	v_cmpx_gt_u32_e64 s23, v30
	s_cbranch_execz .LBB461_180
.LBB461_145:
	s_mov_b32 s2, exec_lo
                                        ; implicit-def: $vgpr10_vgpr11
	v_cmpx_ge_u32_e64 v30, v16
	s_xor_b32 s2, exec_lo, s2
	s_cbranch_execz .LBB461_147
; %bb.146:
	s_wait_dscnt 0x4
	v_xor_b32_e32 v10, 0xfffff9ff, v0
                                        ; implicit-def: $vgpr30_vgpr31
	s_delay_alu instid0(VALU_DEP_1) | instskip(NEXT) | instid1(VALU_DEP_1)
	v_ashrrev_i32_e32 v11, 31, v10
	v_add_nc_u64_e32 v[10:11], v[42:43], v[10:11]
.LBB461_147:
	s_and_not1_saveexec_b32 s2, s2
	s_cbranch_execz .LBB461_149
; %bb.148:
	s_wait_dscnt 0x4
	v_add_nc_u64_e32 v[10:11], v[2:3], v[30:31]
.LBB461_149:
	s_or_b32 exec_lo, exec_lo, s2
	s_wait_dscnt 0x4
	s_delay_alu instid0(VALU_DEP_1) | instskip(SKIP_4) | instid1(SALU_CYCLE_1)
	v_lshl_add_u64 v[10:11], v[10:11], 2, s[16:17]
	s_wait_dscnt 0x3
	global_store_b32 v[10:11], v8, off
	s_wait_xcnt 0x0
	s_or_b32 exec_lo, exec_lo, s1
	s_mov_b32 s1, exec_lo
	v_cmpx_gt_u32_e64 s23, v28
	s_cbranch_execnz .LBB461_181
.LBB461_150:
	s_or_b32 exec_lo, exec_lo, s1
	s_delay_alu instid0(SALU_CYCLE_1)
	s_mov_b32 s1, exec_lo
	v_cmpx_gt_u32_e64 s23, v26
	s_cbranch_execz .LBB461_186
.LBB461_151:
	s_mov_b32 s2, exec_lo
                                        ; implicit-def: $vgpr8_vgpr9
	v_cmpx_ge_u32_e64 v26, v16
	s_xor_b32 s2, exec_lo, s2
	s_cbranch_execz .LBB461_153
; %bb.152:
	s_wait_dscnt 0x3
	v_xor_b32_e32 v8, 0xfffff7ff, v0
                                        ; implicit-def: $vgpr26_vgpr27
	s_delay_alu instid0(VALU_DEP_1) | instskip(NEXT) | instid1(VALU_DEP_1)
	v_ashrrev_i32_e32 v9, 31, v8
	v_add_nc_u64_e32 v[8:9], v[42:43], v[8:9]
.LBB461_153:
	s_and_not1_saveexec_b32 s2, s2
	s_cbranch_execz .LBB461_155
; %bb.154:
	s_wait_dscnt 0x3
	v_add_nc_u64_e32 v[8:9], v[2:3], v[26:27]
.LBB461_155:
	s_or_b32 exec_lo, exec_lo, s2
	s_wait_dscnt 0x3
	s_delay_alu instid0(VALU_DEP_1) | instskip(SKIP_4) | instid1(SALU_CYCLE_1)
	v_lshl_add_u64 v[8:9], v[8:9], 2, s[16:17]
	s_wait_dscnt 0x2
	global_store_b32 v[8:9], v6, off
	s_wait_xcnt 0x0
	s_or_b32 exec_lo, exec_lo, s1
	s_mov_b32 s1, exec_lo
	v_cmpx_gt_u32_e64 s23, v24
	s_cbranch_execnz .LBB461_187
.LBB461_156:
	s_or_b32 exec_lo, exec_lo, s1
	s_delay_alu instid0(SALU_CYCLE_1)
	s_mov_b32 s1, exec_lo
	v_cmpx_gt_u32_e64 s23, v22
	s_cbranch_execz .LBB461_192
.LBB461_157:
	s_mov_b32 s2, exec_lo
                                        ; implicit-def: $vgpr6_vgpr7
	v_cmpx_ge_u32_e64 v22, v16
	s_xor_b32 s2, exec_lo, s2
	s_cbranch_execz .LBB461_159
; %bb.158:
	s_wait_dscnt 0x2
	v_xor_b32_e32 v6, 0xfffff5ff, v0
                                        ; implicit-def: $vgpr22_vgpr23
	s_delay_alu instid0(VALU_DEP_1) | instskip(NEXT) | instid1(VALU_DEP_1)
	v_ashrrev_i32_e32 v7, 31, v6
	v_add_nc_u64_e32 v[6:7], v[42:43], v[6:7]
.LBB461_159:
	s_and_not1_saveexec_b32 s2, s2
	s_cbranch_execz .LBB461_161
; %bb.160:
	s_wait_dscnt 0x2
	v_add_nc_u64_e32 v[6:7], v[2:3], v[22:23]
.LBB461_161:
	s_or_b32 exec_lo, exec_lo, s2
	s_wait_dscnt 0x2
	s_delay_alu instid0(VALU_DEP_1) | instskip(SKIP_4) | instid1(SALU_CYCLE_1)
	v_lshl_add_u64 v[6:7], v[6:7], 2, s[16:17]
	s_wait_dscnt 0x1
	global_store_b32 v[6:7], v4, off
	s_wait_xcnt 0x0
	s_or_b32 exec_lo, exec_lo, s1
	s_mov_b32 s1, exec_lo
	v_cmpx_gt_u32_e64 s23, v20
	s_cbranch_execz .LBB461_198
	s_branch .LBB461_193
.LBB461_162:
	s_or_b32 exec_lo, exec_lo, s1
	s_delay_alu instid0(SALU_CYCLE_1)
	s_mov_b32 s1, exec_lo
	v_cmpx_gt_u32_e64 s23, v40
	s_cbranch_execz .LBB461_132
.LBB461_163:
	s_mov_b32 s2, exec_lo
                                        ; implicit-def: $vgpr44_vgpr45
	v_cmpx_ge_u32_e64 v40, v16
	s_xor_b32 s2, exec_lo, s2
; %bb.164:
	v_xor_b32_e32 v40, 0xfffffeff, v0
	s_delay_alu instid0(VALU_DEP_1) | instskip(NEXT) | instid1(VALU_DEP_1)
	v_ashrrev_i32_e32 v41, 31, v40
	v_add_nc_u64_e32 v[44:45], v[42:43], v[40:41]
                                        ; implicit-def: $vgpr40_vgpr41
; %bb.165:
	s_and_not1_saveexec_b32 s2, s2
; %bb.166:
	v_add_nc_u64_e32 v[44:45], v[2:3], v[40:41]
; %bb.167:
	s_or_b32 exec_lo, exec_lo, s2
	s_delay_alu instid0(VALU_DEP_1) | instskip(SKIP_4) | instid1(SALU_CYCLE_1)
	v_lshl_add_u64 v[40:41], v[44:45], 2, s[16:17]
	s_wait_dscnt 0x6
	global_store_b32 v[40:41], v15, off
	s_wait_xcnt 0x0
	s_or_b32 exec_lo, exec_lo, s1
	s_mov_b32 s1, exec_lo
	v_cmpx_gt_u32_e64 s23, v38
	s_cbranch_execnz .LBB461_133
.LBB461_168:
	s_or_b32 exec_lo, exec_lo, s1
	s_delay_alu instid0(SALU_CYCLE_1)
	s_mov_b32 s1, exec_lo
	v_cmpx_gt_u32_e64 s23, v36
	s_cbranch_execz .LBB461_138
.LBB461_169:
	s_mov_b32 s2, exec_lo
                                        ; implicit-def: $vgpr14_vgpr15
	v_cmpx_ge_u32_e64 v36, v16
	s_xor_b32 s2, exec_lo, s2
	s_cbranch_execz .LBB461_171
; %bb.170:
	s_wait_dscnt 0x6
	v_xor_b32_e32 v14, 0xfffffcff, v0
                                        ; implicit-def: $vgpr36_vgpr37
	s_delay_alu instid0(VALU_DEP_1) | instskip(NEXT) | instid1(VALU_DEP_1)
	v_ashrrev_i32_e32 v15, 31, v14
	v_add_nc_u64_e32 v[14:15], v[42:43], v[14:15]
.LBB461_171:
	s_and_not1_saveexec_b32 s2, s2
	s_cbranch_execz .LBB461_173
; %bb.172:
	s_wait_dscnt 0x6
	v_add_nc_u64_e32 v[14:15], v[2:3], v[36:37]
.LBB461_173:
	s_or_b32 exec_lo, exec_lo, s2
	s_wait_dscnt 0x6
	s_delay_alu instid0(VALU_DEP_1) | instskip(SKIP_4) | instid1(SALU_CYCLE_1)
	v_lshl_add_u64 v[14:15], v[14:15], 2, s[16:17]
	s_wait_dscnt 0x5
	global_store_b32 v[14:15], v13, off
	s_wait_xcnt 0x0
	s_or_b32 exec_lo, exec_lo, s1
	s_mov_b32 s1, exec_lo
	v_cmpx_gt_u32_e64 s23, v34
	s_cbranch_execnz .LBB461_139
.LBB461_174:
	s_or_b32 exec_lo, exec_lo, s1
	s_delay_alu instid0(SALU_CYCLE_1)
	s_mov_b32 s1, exec_lo
	v_cmpx_gt_u32_e64 s23, v32
	s_cbranch_execz .LBB461_144
.LBB461_175:
	s_mov_b32 s2, exec_lo
                                        ; implicit-def: $vgpr12_vgpr13
	v_cmpx_ge_u32_e64 v32, v16
	s_xor_b32 s2, exec_lo, s2
	s_cbranch_execz .LBB461_177
; %bb.176:
	s_wait_dscnt 0x5
	v_xor_b32_e32 v12, 0xfffffaff, v0
                                        ; implicit-def: $vgpr32_vgpr33
	s_delay_alu instid0(VALU_DEP_1) | instskip(NEXT) | instid1(VALU_DEP_1)
	v_ashrrev_i32_e32 v13, 31, v12
	v_add_nc_u64_e32 v[12:13], v[42:43], v[12:13]
.LBB461_177:
	s_and_not1_saveexec_b32 s2, s2
	s_cbranch_execz .LBB461_179
; %bb.178:
	s_wait_dscnt 0x5
	v_add_nc_u64_e32 v[12:13], v[2:3], v[32:33]
.LBB461_179:
	s_or_b32 exec_lo, exec_lo, s2
	s_wait_dscnt 0x5
	s_delay_alu instid0(VALU_DEP_1) | instskip(SKIP_4) | instid1(SALU_CYCLE_1)
	v_lshl_add_u64 v[12:13], v[12:13], 2, s[16:17]
	s_wait_dscnt 0x4
	global_store_b32 v[12:13], v11, off
	s_wait_xcnt 0x0
	s_or_b32 exec_lo, exec_lo, s1
	s_mov_b32 s1, exec_lo
	v_cmpx_gt_u32_e64 s23, v30
	s_cbranch_execnz .LBB461_145
.LBB461_180:
	s_or_b32 exec_lo, exec_lo, s1
	s_delay_alu instid0(SALU_CYCLE_1)
	s_mov_b32 s1, exec_lo
	v_cmpx_gt_u32_e64 s23, v28
	s_cbranch_execz .LBB461_150
.LBB461_181:
	s_mov_b32 s2, exec_lo
                                        ; implicit-def: $vgpr10_vgpr11
	v_cmpx_ge_u32_e64 v28, v16
	s_xor_b32 s2, exec_lo, s2
	s_cbranch_execz .LBB461_183
; %bb.182:
	s_wait_dscnt 0x4
	v_xor_b32_e32 v10, 0xfffff8ff, v0
                                        ; implicit-def: $vgpr28_vgpr29
	s_delay_alu instid0(VALU_DEP_1) | instskip(NEXT) | instid1(VALU_DEP_1)
	v_ashrrev_i32_e32 v11, 31, v10
	v_add_nc_u64_e32 v[10:11], v[42:43], v[10:11]
.LBB461_183:
	s_and_not1_saveexec_b32 s2, s2
	s_cbranch_execz .LBB461_185
; %bb.184:
	s_wait_dscnt 0x4
	v_add_nc_u64_e32 v[10:11], v[2:3], v[28:29]
.LBB461_185:
	s_or_b32 exec_lo, exec_lo, s2
	s_wait_dscnt 0x4
	s_delay_alu instid0(VALU_DEP_1) | instskip(SKIP_4) | instid1(SALU_CYCLE_1)
	v_lshl_add_u64 v[10:11], v[10:11], 2, s[16:17]
	s_wait_dscnt 0x3
	global_store_b32 v[10:11], v9, off
	s_wait_xcnt 0x0
	s_or_b32 exec_lo, exec_lo, s1
	s_mov_b32 s1, exec_lo
	v_cmpx_gt_u32_e64 s23, v26
	s_cbranch_execnz .LBB461_151
.LBB461_186:
	s_or_b32 exec_lo, exec_lo, s1
	s_delay_alu instid0(SALU_CYCLE_1)
	s_mov_b32 s1, exec_lo
	v_cmpx_gt_u32_e64 s23, v24
	s_cbranch_execz .LBB461_156
.LBB461_187:
	s_mov_b32 s2, exec_lo
                                        ; implicit-def: $vgpr8_vgpr9
	v_cmpx_ge_u32_e64 v24, v16
	s_xor_b32 s2, exec_lo, s2
	s_cbranch_execz .LBB461_189
; %bb.188:
	s_wait_dscnt 0x3
	v_xor_b32_e32 v8, 0xfffff6ff, v0
                                        ; implicit-def: $vgpr24_vgpr25
	s_delay_alu instid0(VALU_DEP_1) | instskip(NEXT) | instid1(VALU_DEP_1)
	v_ashrrev_i32_e32 v9, 31, v8
	v_add_nc_u64_e32 v[8:9], v[42:43], v[8:9]
.LBB461_189:
	s_and_not1_saveexec_b32 s2, s2
	s_cbranch_execz .LBB461_191
; %bb.190:
	s_wait_dscnt 0x3
	v_add_nc_u64_e32 v[8:9], v[2:3], v[24:25]
.LBB461_191:
	s_or_b32 exec_lo, exec_lo, s2
	s_wait_dscnt 0x3
	s_delay_alu instid0(VALU_DEP_1) | instskip(SKIP_4) | instid1(SALU_CYCLE_1)
	v_lshl_add_u64 v[8:9], v[8:9], 2, s[16:17]
	s_wait_dscnt 0x2
	global_store_b32 v[8:9], v7, off
	s_wait_xcnt 0x0
	s_or_b32 exec_lo, exec_lo, s1
	s_mov_b32 s1, exec_lo
	v_cmpx_gt_u32_e64 s23, v22
	s_cbranch_execnz .LBB461_157
.LBB461_192:
	s_or_b32 exec_lo, exec_lo, s1
	s_delay_alu instid0(SALU_CYCLE_1)
	s_mov_b32 s1, exec_lo
	v_cmpx_gt_u32_e64 s23, v20
	s_cbranch_execz .LBB461_198
.LBB461_193:
	s_mov_b32 s2, exec_lo
                                        ; implicit-def: $vgpr6_vgpr7
	v_cmpx_ge_u32_e64 v20, v16
	s_xor_b32 s2, exec_lo, s2
	s_cbranch_execz .LBB461_195
; %bb.194:
	s_wait_dscnt 0x2
	v_xor_b32_e32 v6, 0xfffff4ff, v0
                                        ; implicit-def: $vgpr20_vgpr21
	s_delay_alu instid0(VALU_DEP_1) | instskip(NEXT) | instid1(VALU_DEP_1)
	v_ashrrev_i32_e32 v7, 31, v6
	v_add_nc_u64_e32 v[6:7], v[42:43], v[6:7]
.LBB461_195:
	s_and_not1_saveexec_b32 s2, s2
	s_cbranch_execz .LBB461_197
; %bb.196:
	s_wait_dscnt 0x2
	v_add_nc_u64_e32 v[6:7], v[2:3], v[20:21]
.LBB461_197:
	s_or_b32 exec_lo, exec_lo, s2
	s_wait_dscnt 0x2
	s_delay_alu instid0(VALU_DEP_1)
	v_lshl_add_u64 v[6:7], v[6:7], 2, s[16:17]
	s_wait_dscnt 0x1
	global_store_b32 v[6:7], v5, off
.LBB461_198:
	s_wait_xcnt 0x0
	s_or_b32 exec_lo, exec_lo, s1
	s_delay_alu instid0(SALU_CYCLE_1)
	s_mov_b32 s1, exec_lo
                                        ; implicit-def: $vgpr44_vgpr45
	v_cmpx_gt_u32_e64 s23, v18
	s_cbranch_execz .LBB461_204
; %bb.199:
	s_mov_b32 s2, exec_lo
                                        ; implicit-def: $vgpr44_vgpr45
	v_cmpx_ge_u32_e64 v18, v16
	s_xor_b32 s2, exec_lo, s2
	s_cbranch_execz .LBB461_201
; %bb.200:
	s_wait_dscnt 0x1
	v_xor_b32_e32 v4, 0xfffff3ff, v0
                                        ; implicit-def: $vgpr18_vgpr19
	s_delay_alu instid0(VALU_DEP_1) | instskip(NEXT) | instid1(VALU_DEP_1)
	v_ashrrev_i32_e32 v5, 31, v4
	v_add_nc_u64_e32 v[44:45], v[42:43], v[4:5]
.LBB461_201:
	s_and_not1_saveexec_b32 s2, s2
; %bb.202:
	v_add_nc_u64_e32 v[44:45], v[2:3], v[18:19]
; %bb.203:
	s_or_b32 exec_lo, exec_lo, s2
	s_delay_alu instid0(SALU_CYCLE_1)
	s_or_b32 s0, s0, exec_lo
.LBB461_204:
	s_or_b32 exec_lo, exec_lo, s1
.LBB461_205:
	s_and_saveexec_b32 s1, s0
	s_cbranch_execz .LBB461_207
; %bb.206:
	s_wait_dscnt 0x1
	v_lshl_add_u64 v[4:5], v[44:45], 2, s[16:17]
	s_wait_dscnt 0x0
	global_store_b32 v[4:5], v46, off
.LBB461_207:
	s_wait_xcnt 0x0
	s_or_b32 exec_lo, exec_lo, s1
	v_cmp_eq_u32_e32 vcc_lo, 0, v0
	s_and_b32 s0, vcc_lo, s22
	s_delay_alu instid0(SALU_CYCLE_1)
	s_and_saveexec_b32 s1, s0
	s_cbranch_execz .LBB461_209
; %bb.208:
	v_mov_b32_e32 v17, 0
	s_delay_alu instid0(VALU_DEP_1)
	v_add_nc_u64_e32 v[0:1], v[2:3], v[16:17]
	global_store_b64 v17, v[0:1], s[8:9]
.LBB461_209:
	s_sendmsg sendmsg(MSG_DEALLOC_VGPRS)
	s_endpgm
	.section	.rodata,"a",@progbits
	.p2align	6, 0x0
	.amdhsa_kernel _ZN7rocprim17ROCPRIM_400000_NS6detail17trampoline_kernelINS0_13select_configILj256ELj13ELNS0_17block_load_methodE3ELS4_3ELS4_3ELNS0_20block_scan_algorithmE0ELj4294967295EEENS1_25partition_config_selectorILNS1_17partition_subalgoE3EjNS0_10empty_typeEbEEZZNS1_14partition_implILS8_3ELb0ES6_jNS0_17counting_iteratorIjlEEPS9_SE_NS0_5tupleIJPjSE_EEENSF_IJSE_SE_EEES9_SG_JZNS1_25segmented_radix_sort_implINS0_14default_configELb1EPKiPiPKlPlN2at6native12_GLOBAL__N_18offset_tEEE10hipError_tPvRmT1_PNSt15iterator_traitsISY_E10value_typeET2_T3_PNSZ_IS14_E10value_typeET4_jRbjT5_S1A_jjP12ihipStream_tbEUljE_EEESV_SW_SX_S14_S18_S1A_T6_T7_T9_mT8_S1C_bDpT10_ENKUlT_T0_E_clISt17integral_constantIbLb0EES1P_EEDaS1K_S1L_EUlS1K_E_NS1_11comp_targetILNS1_3genE0ELNS1_11target_archE4294967295ELNS1_3gpuE0ELNS1_3repE0EEENS1_30default_config_static_selectorELNS0_4arch9wavefront6targetE0EEEvSY_
		.amdhsa_group_segment_fixed_size 13320
		.amdhsa_private_segment_fixed_size 0
		.amdhsa_kernarg_size 144
		.amdhsa_user_sgpr_count 2
		.amdhsa_user_sgpr_dispatch_ptr 0
		.amdhsa_user_sgpr_queue_ptr 0
		.amdhsa_user_sgpr_kernarg_segment_ptr 1
		.amdhsa_user_sgpr_dispatch_id 0
		.amdhsa_user_sgpr_kernarg_preload_length 0
		.amdhsa_user_sgpr_kernarg_preload_offset 0
		.amdhsa_user_sgpr_private_segment_size 0
		.amdhsa_wavefront_size32 1
		.amdhsa_uses_dynamic_stack 0
		.amdhsa_enable_private_segment 0
		.amdhsa_system_sgpr_workgroup_id_x 1
		.amdhsa_system_sgpr_workgroup_id_y 0
		.amdhsa_system_sgpr_workgroup_id_z 0
		.amdhsa_system_sgpr_workgroup_info 0
		.amdhsa_system_vgpr_workitem_id 0
		.amdhsa_next_free_vgpr 69
		.amdhsa_next_free_sgpr 26
		.amdhsa_named_barrier_count 0
		.amdhsa_reserve_vcc 1
		.amdhsa_float_round_mode_32 0
		.amdhsa_float_round_mode_16_64 0
		.amdhsa_float_denorm_mode_32 3
		.amdhsa_float_denorm_mode_16_64 3
		.amdhsa_fp16_overflow 0
		.amdhsa_memory_ordered 1
		.amdhsa_forward_progress 1
		.amdhsa_inst_pref_size 70
		.amdhsa_round_robin_scheduling 0
		.amdhsa_exception_fp_ieee_invalid_op 0
		.amdhsa_exception_fp_denorm_src 0
		.amdhsa_exception_fp_ieee_div_zero 0
		.amdhsa_exception_fp_ieee_overflow 0
		.amdhsa_exception_fp_ieee_underflow 0
		.amdhsa_exception_fp_ieee_inexact 0
		.amdhsa_exception_int_div_zero 0
	.end_amdhsa_kernel
	.section	.text._ZN7rocprim17ROCPRIM_400000_NS6detail17trampoline_kernelINS0_13select_configILj256ELj13ELNS0_17block_load_methodE3ELS4_3ELS4_3ELNS0_20block_scan_algorithmE0ELj4294967295EEENS1_25partition_config_selectorILNS1_17partition_subalgoE3EjNS0_10empty_typeEbEEZZNS1_14partition_implILS8_3ELb0ES6_jNS0_17counting_iteratorIjlEEPS9_SE_NS0_5tupleIJPjSE_EEENSF_IJSE_SE_EEES9_SG_JZNS1_25segmented_radix_sort_implINS0_14default_configELb1EPKiPiPKlPlN2at6native12_GLOBAL__N_18offset_tEEE10hipError_tPvRmT1_PNSt15iterator_traitsISY_E10value_typeET2_T3_PNSZ_IS14_E10value_typeET4_jRbjT5_S1A_jjP12ihipStream_tbEUljE_EEESV_SW_SX_S14_S18_S1A_T6_T7_T9_mT8_S1C_bDpT10_ENKUlT_T0_E_clISt17integral_constantIbLb0EES1P_EEDaS1K_S1L_EUlS1K_E_NS1_11comp_targetILNS1_3genE0ELNS1_11target_archE4294967295ELNS1_3gpuE0ELNS1_3repE0EEENS1_30default_config_static_selectorELNS0_4arch9wavefront6targetE0EEEvSY_,"axG",@progbits,_ZN7rocprim17ROCPRIM_400000_NS6detail17trampoline_kernelINS0_13select_configILj256ELj13ELNS0_17block_load_methodE3ELS4_3ELS4_3ELNS0_20block_scan_algorithmE0ELj4294967295EEENS1_25partition_config_selectorILNS1_17partition_subalgoE3EjNS0_10empty_typeEbEEZZNS1_14partition_implILS8_3ELb0ES6_jNS0_17counting_iteratorIjlEEPS9_SE_NS0_5tupleIJPjSE_EEENSF_IJSE_SE_EEES9_SG_JZNS1_25segmented_radix_sort_implINS0_14default_configELb1EPKiPiPKlPlN2at6native12_GLOBAL__N_18offset_tEEE10hipError_tPvRmT1_PNSt15iterator_traitsISY_E10value_typeET2_T3_PNSZ_IS14_E10value_typeET4_jRbjT5_S1A_jjP12ihipStream_tbEUljE_EEESV_SW_SX_S14_S18_S1A_T6_T7_T9_mT8_S1C_bDpT10_ENKUlT_T0_E_clISt17integral_constantIbLb0EES1P_EEDaS1K_S1L_EUlS1K_E_NS1_11comp_targetILNS1_3genE0ELNS1_11target_archE4294967295ELNS1_3gpuE0ELNS1_3repE0EEENS1_30default_config_static_selectorELNS0_4arch9wavefront6targetE0EEEvSY_,comdat
.Lfunc_end461:
	.size	_ZN7rocprim17ROCPRIM_400000_NS6detail17trampoline_kernelINS0_13select_configILj256ELj13ELNS0_17block_load_methodE3ELS4_3ELS4_3ELNS0_20block_scan_algorithmE0ELj4294967295EEENS1_25partition_config_selectorILNS1_17partition_subalgoE3EjNS0_10empty_typeEbEEZZNS1_14partition_implILS8_3ELb0ES6_jNS0_17counting_iteratorIjlEEPS9_SE_NS0_5tupleIJPjSE_EEENSF_IJSE_SE_EEES9_SG_JZNS1_25segmented_radix_sort_implINS0_14default_configELb1EPKiPiPKlPlN2at6native12_GLOBAL__N_18offset_tEEE10hipError_tPvRmT1_PNSt15iterator_traitsISY_E10value_typeET2_T3_PNSZ_IS14_E10value_typeET4_jRbjT5_S1A_jjP12ihipStream_tbEUljE_EEESV_SW_SX_S14_S18_S1A_T6_T7_T9_mT8_S1C_bDpT10_ENKUlT_T0_E_clISt17integral_constantIbLb0EES1P_EEDaS1K_S1L_EUlS1K_E_NS1_11comp_targetILNS1_3genE0ELNS1_11target_archE4294967295ELNS1_3gpuE0ELNS1_3repE0EEENS1_30default_config_static_selectorELNS0_4arch9wavefront6targetE0EEEvSY_, .Lfunc_end461-_ZN7rocprim17ROCPRIM_400000_NS6detail17trampoline_kernelINS0_13select_configILj256ELj13ELNS0_17block_load_methodE3ELS4_3ELS4_3ELNS0_20block_scan_algorithmE0ELj4294967295EEENS1_25partition_config_selectorILNS1_17partition_subalgoE3EjNS0_10empty_typeEbEEZZNS1_14partition_implILS8_3ELb0ES6_jNS0_17counting_iteratorIjlEEPS9_SE_NS0_5tupleIJPjSE_EEENSF_IJSE_SE_EEES9_SG_JZNS1_25segmented_radix_sort_implINS0_14default_configELb1EPKiPiPKlPlN2at6native12_GLOBAL__N_18offset_tEEE10hipError_tPvRmT1_PNSt15iterator_traitsISY_E10value_typeET2_T3_PNSZ_IS14_E10value_typeET4_jRbjT5_S1A_jjP12ihipStream_tbEUljE_EEESV_SW_SX_S14_S18_S1A_T6_T7_T9_mT8_S1C_bDpT10_ENKUlT_T0_E_clISt17integral_constantIbLb0EES1P_EEDaS1K_S1L_EUlS1K_E_NS1_11comp_targetILNS1_3genE0ELNS1_11target_archE4294967295ELNS1_3gpuE0ELNS1_3repE0EEENS1_30default_config_static_selectorELNS0_4arch9wavefront6targetE0EEEvSY_
                                        ; -- End function
	.set _ZN7rocprim17ROCPRIM_400000_NS6detail17trampoline_kernelINS0_13select_configILj256ELj13ELNS0_17block_load_methodE3ELS4_3ELS4_3ELNS0_20block_scan_algorithmE0ELj4294967295EEENS1_25partition_config_selectorILNS1_17partition_subalgoE3EjNS0_10empty_typeEbEEZZNS1_14partition_implILS8_3ELb0ES6_jNS0_17counting_iteratorIjlEEPS9_SE_NS0_5tupleIJPjSE_EEENSF_IJSE_SE_EEES9_SG_JZNS1_25segmented_radix_sort_implINS0_14default_configELb1EPKiPiPKlPlN2at6native12_GLOBAL__N_18offset_tEEE10hipError_tPvRmT1_PNSt15iterator_traitsISY_E10value_typeET2_T3_PNSZ_IS14_E10value_typeET4_jRbjT5_S1A_jjP12ihipStream_tbEUljE_EEESV_SW_SX_S14_S18_S1A_T6_T7_T9_mT8_S1C_bDpT10_ENKUlT_T0_E_clISt17integral_constantIbLb0EES1P_EEDaS1K_S1L_EUlS1K_E_NS1_11comp_targetILNS1_3genE0ELNS1_11target_archE4294967295ELNS1_3gpuE0ELNS1_3repE0EEENS1_30default_config_static_selectorELNS0_4arch9wavefront6targetE0EEEvSY_.num_vgpr, 69
	.set _ZN7rocprim17ROCPRIM_400000_NS6detail17trampoline_kernelINS0_13select_configILj256ELj13ELNS0_17block_load_methodE3ELS4_3ELS4_3ELNS0_20block_scan_algorithmE0ELj4294967295EEENS1_25partition_config_selectorILNS1_17partition_subalgoE3EjNS0_10empty_typeEbEEZZNS1_14partition_implILS8_3ELb0ES6_jNS0_17counting_iteratorIjlEEPS9_SE_NS0_5tupleIJPjSE_EEENSF_IJSE_SE_EEES9_SG_JZNS1_25segmented_radix_sort_implINS0_14default_configELb1EPKiPiPKlPlN2at6native12_GLOBAL__N_18offset_tEEE10hipError_tPvRmT1_PNSt15iterator_traitsISY_E10value_typeET2_T3_PNSZ_IS14_E10value_typeET4_jRbjT5_S1A_jjP12ihipStream_tbEUljE_EEESV_SW_SX_S14_S18_S1A_T6_T7_T9_mT8_S1C_bDpT10_ENKUlT_T0_E_clISt17integral_constantIbLb0EES1P_EEDaS1K_S1L_EUlS1K_E_NS1_11comp_targetILNS1_3genE0ELNS1_11target_archE4294967295ELNS1_3gpuE0ELNS1_3repE0EEENS1_30default_config_static_selectorELNS0_4arch9wavefront6targetE0EEEvSY_.num_agpr, 0
	.set _ZN7rocprim17ROCPRIM_400000_NS6detail17trampoline_kernelINS0_13select_configILj256ELj13ELNS0_17block_load_methodE3ELS4_3ELS4_3ELNS0_20block_scan_algorithmE0ELj4294967295EEENS1_25partition_config_selectorILNS1_17partition_subalgoE3EjNS0_10empty_typeEbEEZZNS1_14partition_implILS8_3ELb0ES6_jNS0_17counting_iteratorIjlEEPS9_SE_NS0_5tupleIJPjSE_EEENSF_IJSE_SE_EEES9_SG_JZNS1_25segmented_radix_sort_implINS0_14default_configELb1EPKiPiPKlPlN2at6native12_GLOBAL__N_18offset_tEEE10hipError_tPvRmT1_PNSt15iterator_traitsISY_E10value_typeET2_T3_PNSZ_IS14_E10value_typeET4_jRbjT5_S1A_jjP12ihipStream_tbEUljE_EEESV_SW_SX_S14_S18_S1A_T6_T7_T9_mT8_S1C_bDpT10_ENKUlT_T0_E_clISt17integral_constantIbLb0EES1P_EEDaS1K_S1L_EUlS1K_E_NS1_11comp_targetILNS1_3genE0ELNS1_11target_archE4294967295ELNS1_3gpuE0ELNS1_3repE0EEENS1_30default_config_static_selectorELNS0_4arch9wavefront6targetE0EEEvSY_.numbered_sgpr, 26
	.set _ZN7rocprim17ROCPRIM_400000_NS6detail17trampoline_kernelINS0_13select_configILj256ELj13ELNS0_17block_load_methodE3ELS4_3ELS4_3ELNS0_20block_scan_algorithmE0ELj4294967295EEENS1_25partition_config_selectorILNS1_17partition_subalgoE3EjNS0_10empty_typeEbEEZZNS1_14partition_implILS8_3ELb0ES6_jNS0_17counting_iteratorIjlEEPS9_SE_NS0_5tupleIJPjSE_EEENSF_IJSE_SE_EEES9_SG_JZNS1_25segmented_radix_sort_implINS0_14default_configELb1EPKiPiPKlPlN2at6native12_GLOBAL__N_18offset_tEEE10hipError_tPvRmT1_PNSt15iterator_traitsISY_E10value_typeET2_T3_PNSZ_IS14_E10value_typeET4_jRbjT5_S1A_jjP12ihipStream_tbEUljE_EEESV_SW_SX_S14_S18_S1A_T6_T7_T9_mT8_S1C_bDpT10_ENKUlT_T0_E_clISt17integral_constantIbLb0EES1P_EEDaS1K_S1L_EUlS1K_E_NS1_11comp_targetILNS1_3genE0ELNS1_11target_archE4294967295ELNS1_3gpuE0ELNS1_3repE0EEENS1_30default_config_static_selectorELNS0_4arch9wavefront6targetE0EEEvSY_.num_named_barrier, 0
	.set _ZN7rocprim17ROCPRIM_400000_NS6detail17trampoline_kernelINS0_13select_configILj256ELj13ELNS0_17block_load_methodE3ELS4_3ELS4_3ELNS0_20block_scan_algorithmE0ELj4294967295EEENS1_25partition_config_selectorILNS1_17partition_subalgoE3EjNS0_10empty_typeEbEEZZNS1_14partition_implILS8_3ELb0ES6_jNS0_17counting_iteratorIjlEEPS9_SE_NS0_5tupleIJPjSE_EEENSF_IJSE_SE_EEES9_SG_JZNS1_25segmented_radix_sort_implINS0_14default_configELb1EPKiPiPKlPlN2at6native12_GLOBAL__N_18offset_tEEE10hipError_tPvRmT1_PNSt15iterator_traitsISY_E10value_typeET2_T3_PNSZ_IS14_E10value_typeET4_jRbjT5_S1A_jjP12ihipStream_tbEUljE_EEESV_SW_SX_S14_S18_S1A_T6_T7_T9_mT8_S1C_bDpT10_ENKUlT_T0_E_clISt17integral_constantIbLb0EES1P_EEDaS1K_S1L_EUlS1K_E_NS1_11comp_targetILNS1_3genE0ELNS1_11target_archE4294967295ELNS1_3gpuE0ELNS1_3repE0EEENS1_30default_config_static_selectorELNS0_4arch9wavefront6targetE0EEEvSY_.private_seg_size, 0
	.set _ZN7rocprim17ROCPRIM_400000_NS6detail17trampoline_kernelINS0_13select_configILj256ELj13ELNS0_17block_load_methodE3ELS4_3ELS4_3ELNS0_20block_scan_algorithmE0ELj4294967295EEENS1_25partition_config_selectorILNS1_17partition_subalgoE3EjNS0_10empty_typeEbEEZZNS1_14partition_implILS8_3ELb0ES6_jNS0_17counting_iteratorIjlEEPS9_SE_NS0_5tupleIJPjSE_EEENSF_IJSE_SE_EEES9_SG_JZNS1_25segmented_radix_sort_implINS0_14default_configELb1EPKiPiPKlPlN2at6native12_GLOBAL__N_18offset_tEEE10hipError_tPvRmT1_PNSt15iterator_traitsISY_E10value_typeET2_T3_PNSZ_IS14_E10value_typeET4_jRbjT5_S1A_jjP12ihipStream_tbEUljE_EEESV_SW_SX_S14_S18_S1A_T6_T7_T9_mT8_S1C_bDpT10_ENKUlT_T0_E_clISt17integral_constantIbLb0EES1P_EEDaS1K_S1L_EUlS1K_E_NS1_11comp_targetILNS1_3genE0ELNS1_11target_archE4294967295ELNS1_3gpuE0ELNS1_3repE0EEENS1_30default_config_static_selectorELNS0_4arch9wavefront6targetE0EEEvSY_.uses_vcc, 1
	.set _ZN7rocprim17ROCPRIM_400000_NS6detail17trampoline_kernelINS0_13select_configILj256ELj13ELNS0_17block_load_methodE3ELS4_3ELS4_3ELNS0_20block_scan_algorithmE0ELj4294967295EEENS1_25partition_config_selectorILNS1_17partition_subalgoE3EjNS0_10empty_typeEbEEZZNS1_14partition_implILS8_3ELb0ES6_jNS0_17counting_iteratorIjlEEPS9_SE_NS0_5tupleIJPjSE_EEENSF_IJSE_SE_EEES9_SG_JZNS1_25segmented_radix_sort_implINS0_14default_configELb1EPKiPiPKlPlN2at6native12_GLOBAL__N_18offset_tEEE10hipError_tPvRmT1_PNSt15iterator_traitsISY_E10value_typeET2_T3_PNSZ_IS14_E10value_typeET4_jRbjT5_S1A_jjP12ihipStream_tbEUljE_EEESV_SW_SX_S14_S18_S1A_T6_T7_T9_mT8_S1C_bDpT10_ENKUlT_T0_E_clISt17integral_constantIbLb0EES1P_EEDaS1K_S1L_EUlS1K_E_NS1_11comp_targetILNS1_3genE0ELNS1_11target_archE4294967295ELNS1_3gpuE0ELNS1_3repE0EEENS1_30default_config_static_selectorELNS0_4arch9wavefront6targetE0EEEvSY_.uses_flat_scratch, 0
	.set _ZN7rocprim17ROCPRIM_400000_NS6detail17trampoline_kernelINS0_13select_configILj256ELj13ELNS0_17block_load_methodE3ELS4_3ELS4_3ELNS0_20block_scan_algorithmE0ELj4294967295EEENS1_25partition_config_selectorILNS1_17partition_subalgoE3EjNS0_10empty_typeEbEEZZNS1_14partition_implILS8_3ELb0ES6_jNS0_17counting_iteratorIjlEEPS9_SE_NS0_5tupleIJPjSE_EEENSF_IJSE_SE_EEES9_SG_JZNS1_25segmented_radix_sort_implINS0_14default_configELb1EPKiPiPKlPlN2at6native12_GLOBAL__N_18offset_tEEE10hipError_tPvRmT1_PNSt15iterator_traitsISY_E10value_typeET2_T3_PNSZ_IS14_E10value_typeET4_jRbjT5_S1A_jjP12ihipStream_tbEUljE_EEESV_SW_SX_S14_S18_S1A_T6_T7_T9_mT8_S1C_bDpT10_ENKUlT_T0_E_clISt17integral_constantIbLb0EES1P_EEDaS1K_S1L_EUlS1K_E_NS1_11comp_targetILNS1_3genE0ELNS1_11target_archE4294967295ELNS1_3gpuE0ELNS1_3repE0EEENS1_30default_config_static_selectorELNS0_4arch9wavefront6targetE0EEEvSY_.has_dyn_sized_stack, 0
	.set _ZN7rocprim17ROCPRIM_400000_NS6detail17trampoline_kernelINS0_13select_configILj256ELj13ELNS0_17block_load_methodE3ELS4_3ELS4_3ELNS0_20block_scan_algorithmE0ELj4294967295EEENS1_25partition_config_selectorILNS1_17partition_subalgoE3EjNS0_10empty_typeEbEEZZNS1_14partition_implILS8_3ELb0ES6_jNS0_17counting_iteratorIjlEEPS9_SE_NS0_5tupleIJPjSE_EEENSF_IJSE_SE_EEES9_SG_JZNS1_25segmented_radix_sort_implINS0_14default_configELb1EPKiPiPKlPlN2at6native12_GLOBAL__N_18offset_tEEE10hipError_tPvRmT1_PNSt15iterator_traitsISY_E10value_typeET2_T3_PNSZ_IS14_E10value_typeET4_jRbjT5_S1A_jjP12ihipStream_tbEUljE_EEESV_SW_SX_S14_S18_S1A_T6_T7_T9_mT8_S1C_bDpT10_ENKUlT_T0_E_clISt17integral_constantIbLb0EES1P_EEDaS1K_S1L_EUlS1K_E_NS1_11comp_targetILNS1_3genE0ELNS1_11target_archE4294967295ELNS1_3gpuE0ELNS1_3repE0EEENS1_30default_config_static_selectorELNS0_4arch9wavefront6targetE0EEEvSY_.has_recursion, 0
	.set _ZN7rocprim17ROCPRIM_400000_NS6detail17trampoline_kernelINS0_13select_configILj256ELj13ELNS0_17block_load_methodE3ELS4_3ELS4_3ELNS0_20block_scan_algorithmE0ELj4294967295EEENS1_25partition_config_selectorILNS1_17partition_subalgoE3EjNS0_10empty_typeEbEEZZNS1_14partition_implILS8_3ELb0ES6_jNS0_17counting_iteratorIjlEEPS9_SE_NS0_5tupleIJPjSE_EEENSF_IJSE_SE_EEES9_SG_JZNS1_25segmented_radix_sort_implINS0_14default_configELb1EPKiPiPKlPlN2at6native12_GLOBAL__N_18offset_tEEE10hipError_tPvRmT1_PNSt15iterator_traitsISY_E10value_typeET2_T3_PNSZ_IS14_E10value_typeET4_jRbjT5_S1A_jjP12ihipStream_tbEUljE_EEESV_SW_SX_S14_S18_S1A_T6_T7_T9_mT8_S1C_bDpT10_ENKUlT_T0_E_clISt17integral_constantIbLb0EES1P_EEDaS1K_S1L_EUlS1K_E_NS1_11comp_targetILNS1_3genE0ELNS1_11target_archE4294967295ELNS1_3gpuE0ELNS1_3repE0EEENS1_30default_config_static_selectorELNS0_4arch9wavefront6targetE0EEEvSY_.has_indirect_call, 0
	.section	.AMDGPU.csdata,"",@progbits
; Kernel info:
; codeLenInByte = 8920
; TotalNumSgprs: 28
; NumVgprs: 69
; ScratchSize: 0
; MemoryBound: 0
; FloatMode: 240
; IeeeMode: 1
; LDSByteSize: 13320 bytes/workgroup (compile time only)
; SGPRBlocks: 0
; VGPRBlocks: 4
; NumSGPRsForWavesPerEU: 28
; NumVGPRsForWavesPerEU: 69
; NamedBarCnt: 0
; Occupancy: 12
; WaveLimiterHint : 0
; COMPUTE_PGM_RSRC2:SCRATCH_EN: 0
; COMPUTE_PGM_RSRC2:USER_SGPR: 2
; COMPUTE_PGM_RSRC2:TRAP_HANDLER: 0
; COMPUTE_PGM_RSRC2:TGID_X_EN: 1
; COMPUTE_PGM_RSRC2:TGID_Y_EN: 0
; COMPUTE_PGM_RSRC2:TGID_Z_EN: 0
; COMPUTE_PGM_RSRC2:TIDIG_COMP_CNT: 0
	.section	.text._ZN7rocprim17ROCPRIM_400000_NS6detail17trampoline_kernelINS0_13select_configILj256ELj13ELNS0_17block_load_methodE3ELS4_3ELS4_3ELNS0_20block_scan_algorithmE0ELj4294967295EEENS1_25partition_config_selectorILNS1_17partition_subalgoE3EjNS0_10empty_typeEbEEZZNS1_14partition_implILS8_3ELb0ES6_jNS0_17counting_iteratorIjlEEPS9_SE_NS0_5tupleIJPjSE_EEENSF_IJSE_SE_EEES9_SG_JZNS1_25segmented_radix_sort_implINS0_14default_configELb1EPKiPiPKlPlN2at6native12_GLOBAL__N_18offset_tEEE10hipError_tPvRmT1_PNSt15iterator_traitsISY_E10value_typeET2_T3_PNSZ_IS14_E10value_typeET4_jRbjT5_S1A_jjP12ihipStream_tbEUljE_EEESV_SW_SX_S14_S18_S1A_T6_T7_T9_mT8_S1C_bDpT10_ENKUlT_T0_E_clISt17integral_constantIbLb0EES1P_EEDaS1K_S1L_EUlS1K_E_NS1_11comp_targetILNS1_3genE5ELNS1_11target_archE942ELNS1_3gpuE9ELNS1_3repE0EEENS1_30default_config_static_selectorELNS0_4arch9wavefront6targetE0EEEvSY_,"axG",@progbits,_ZN7rocprim17ROCPRIM_400000_NS6detail17trampoline_kernelINS0_13select_configILj256ELj13ELNS0_17block_load_methodE3ELS4_3ELS4_3ELNS0_20block_scan_algorithmE0ELj4294967295EEENS1_25partition_config_selectorILNS1_17partition_subalgoE3EjNS0_10empty_typeEbEEZZNS1_14partition_implILS8_3ELb0ES6_jNS0_17counting_iteratorIjlEEPS9_SE_NS0_5tupleIJPjSE_EEENSF_IJSE_SE_EEES9_SG_JZNS1_25segmented_radix_sort_implINS0_14default_configELb1EPKiPiPKlPlN2at6native12_GLOBAL__N_18offset_tEEE10hipError_tPvRmT1_PNSt15iterator_traitsISY_E10value_typeET2_T3_PNSZ_IS14_E10value_typeET4_jRbjT5_S1A_jjP12ihipStream_tbEUljE_EEESV_SW_SX_S14_S18_S1A_T6_T7_T9_mT8_S1C_bDpT10_ENKUlT_T0_E_clISt17integral_constantIbLb0EES1P_EEDaS1K_S1L_EUlS1K_E_NS1_11comp_targetILNS1_3genE5ELNS1_11target_archE942ELNS1_3gpuE9ELNS1_3repE0EEENS1_30default_config_static_selectorELNS0_4arch9wavefront6targetE0EEEvSY_,comdat
	.globl	_ZN7rocprim17ROCPRIM_400000_NS6detail17trampoline_kernelINS0_13select_configILj256ELj13ELNS0_17block_load_methodE3ELS4_3ELS4_3ELNS0_20block_scan_algorithmE0ELj4294967295EEENS1_25partition_config_selectorILNS1_17partition_subalgoE3EjNS0_10empty_typeEbEEZZNS1_14partition_implILS8_3ELb0ES6_jNS0_17counting_iteratorIjlEEPS9_SE_NS0_5tupleIJPjSE_EEENSF_IJSE_SE_EEES9_SG_JZNS1_25segmented_radix_sort_implINS0_14default_configELb1EPKiPiPKlPlN2at6native12_GLOBAL__N_18offset_tEEE10hipError_tPvRmT1_PNSt15iterator_traitsISY_E10value_typeET2_T3_PNSZ_IS14_E10value_typeET4_jRbjT5_S1A_jjP12ihipStream_tbEUljE_EEESV_SW_SX_S14_S18_S1A_T6_T7_T9_mT8_S1C_bDpT10_ENKUlT_T0_E_clISt17integral_constantIbLb0EES1P_EEDaS1K_S1L_EUlS1K_E_NS1_11comp_targetILNS1_3genE5ELNS1_11target_archE942ELNS1_3gpuE9ELNS1_3repE0EEENS1_30default_config_static_selectorELNS0_4arch9wavefront6targetE0EEEvSY_ ; -- Begin function _ZN7rocprim17ROCPRIM_400000_NS6detail17trampoline_kernelINS0_13select_configILj256ELj13ELNS0_17block_load_methodE3ELS4_3ELS4_3ELNS0_20block_scan_algorithmE0ELj4294967295EEENS1_25partition_config_selectorILNS1_17partition_subalgoE3EjNS0_10empty_typeEbEEZZNS1_14partition_implILS8_3ELb0ES6_jNS0_17counting_iteratorIjlEEPS9_SE_NS0_5tupleIJPjSE_EEENSF_IJSE_SE_EEES9_SG_JZNS1_25segmented_radix_sort_implINS0_14default_configELb1EPKiPiPKlPlN2at6native12_GLOBAL__N_18offset_tEEE10hipError_tPvRmT1_PNSt15iterator_traitsISY_E10value_typeET2_T3_PNSZ_IS14_E10value_typeET4_jRbjT5_S1A_jjP12ihipStream_tbEUljE_EEESV_SW_SX_S14_S18_S1A_T6_T7_T9_mT8_S1C_bDpT10_ENKUlT_T0_E_clISt17integral_constantIbLb0EES1P_EEDaS1K_S1L_EUlS1K_E_NS1_11comp_targetILNS1_3genE5ELNS1_11target_archE942ELNS1_3gpuE9ELNS1_3repE0EEENS1_30default_config_static_selectorELNS0_4arch9wavefront6targetE0EEEvSY_
	.p2align	8
	.type	_ZN7rocprim17ROCPRIM_400000_NS6detail17trampoline_kernelINS0_13select_configILj256ELj13ELNS0_17block_load_methodE3ELS4_3ELS4_3ELNS0_20block_scan_algorithmE0ELj4294967295EEENS1_25partition_config_selectorILNS1_17partition_subalgoE3EjNS0_10empty_typeEbEEZZNS1_14partition_implILS8_3ELb0ES6_jNS0_17counting_iteratorIjlEEPS9_SE_NS0_5tupleIJPjSE_EEENSF_IJSE_SE_EEES9_SG_JZNS1_25segmented_radix_sort_implINS0_14default_configELb1EPKiPiPKlPlN2at6native12_GLOBAL__N_18offset_tEEE10hipError_tPvRmT1_PNSt15iterator_traitsISY_E10value_typeET2_T3_PNSZ_IS14_E10value_typeET4_jRbjT5_S1A_jjP12ihipStream_tbEUljE_EEESV_SW_SX_S14_S18_S1A_T6_T7_T9_mT8_S1C_bDpT10_ENKUlT_T0_E_clISt17integral_constantIbLb0EES1P_EEDaS1K_S1L_EUlS1K_E_NS1_11comp_targetILNS1_3genE5ELNS1_11target_archE942ELNS1_3gpuE9ELNS1_3repE0EEENS1_30default_config_static_selectorELNS0_4arch9wavefront6targetE0EEEvSY_,@function
_ZN7rocprim17ROCPRIM_400000_NS6detail17trampoline_kernelINS0_13select_configILj256ELj13ELNS0_17block_load_methodE3ELS4_3ELS4_3ELNS0_20block_scan_algorithmE0ELj4294967295EEENS1_25partition_config_selectorILNS1_17partition_subalgoE3EjNS0_10empty_typeEbEEZZNS1_14partition_implILS8_3ELb0ES6_jNS0_17counting_iteratorIjlEEPS9_SE_NS0_5tupleIJPjSE_EEENSF_IJSE_SE_EEES9_SG_JZNS1_25segmented_radix_sort_implINS0_14default_configELb1EPKiPiPKlPlN2at6native12_GLOBAL__N_18offset_tEEE10hipError_tPvRmT1_PNSt15iterator_traitsISY_E10value_typeET2_T3_PNSZ_IS14_E10value_typeET4_jRbjT5_S1A_jjP12ihipStream_tbEUljE_EEESV_SW_SX_S14_S18_S1A_T6_T7_T9_mT8_S1C_bDpT10_ENKUlT_T0_E_clISt17integral_constantIbLb0EES1P_EEDaS1K_S1L_EUlS1K_E_NS1_11comp_targetILNS1_3genE5ELNS1_11target_archE942ELNS1_3gpuE9ELNS1_3repE0EEENS1_30default_config_static_selectorELNS0_4arch9wavefront6targetE0EEEvSY_: ; @_ZN7rocprim17ROCPRIM_400000_NS6detail17trampoline_kernelINS0_13select_configILj256ELj13ELNS0_17block_load_methodE3ELS4_3ELS4_3ELNS0_20block_scan_algorithmE0ELj4294967295EEENS1_25partition_config_selectorILNS1_17partition_subalgoE3EjNS0_10empty_typeEbEEZZNS1_14partition_implILS8_3ELb0ES6_jNS0_17counting_iteratorIjlEEPS9_SE_NS0_5tupleIJPjSE_EEENSF_IJSE_SE_EEES9_SG_JZNS1_25segmented_radix_sort_implINS0_14default_configELb1EPKiPiPKlPlN2at6native12_GLOBAL__N_18offset_tEEE10hipError_tPvRmT1_PNSt15iterator_traitsISY_E10value_typeET2_T3_PNSZ_IS14_E10value_typeET4_jRbjT5_S1A_jjP12ihipStream_tbEUljE_EEESV_SW_SX_S14_S18_S1A_T6_T7_T9_mT8_S1C_bDpT10_ENKUlT_T0_E_clISt17integral_constantIbLb0EES1P_EEDaS1K_S1L_EUlS1K_E_NS1_11comp_targetILNS1_3genE5ELNS1_11target_archE942ELNS1_3gpuE9ELNS1_3repE0EEENS1_30default_config_static_selectorELNS0_4arch9wavefront6targetE0EEEvSY_
; %bb.0:
	.section	.rodata,"a",@progbits
	.p2align	6, 0x0
	.amdhsa_kernel _ZN7rocprim17ROCPRIM_400000_NS6detail17trampoline_kernelINS0_13select_configILj256ELj13ELNS0_17block_load_methodE3ELS4_3ELS4_3ELNS0_20block_scan_algorithmE0ELj4294967295EEENS1_25partition_config_selectorILNS1_17partition_subalgoE3EjNS0_10empty_typeEbEEZZNS1_14partition_implILS8_3ELb0ES6_jNS0_17counting_iteratorIjlEEPS9_SE_NS0_5tupleIJPjSE_EEENSF_IJSE_SE_EEES9_SG_JZNS1_25segmented_radix_sort_implINS0_14default_configELb1EPKiPiPKlPlN2at6native12_GLOBAL__N_18offset_tEEE10hipError_tPvRmT1_PNSt15iterator_traitsISY_E10value_typeET2_T3_PNSZ_IS14_E10value_typeET4_jRbjT5_S1A_jjP12ihipStream_tbEUljE_EEESV_SW_SX_S14_S18_S1A_T6_T7_T9_mT8_S1C_bDpT10_ENKUlT_T0_E_clISt17integral_constantIbLb0EES1P_EEDaS1K_S1L_EUlS1K_E_NS1_11comp_targetILNS1_3genE5ELNS1_11target_archE942ELNS1_3gpuE9ELNS1_3repE0EEENS1_30default_config_static_selectorELNS0_4arch9wavefront6targetE0EEEvSY_
		.amdhsa_group_segment_fixed_size 0
		.amdhsa_private_segment_fixed_size 0
		.amdhsa_kernarg_size 144
		.amdhsa_user_sgpr_count 2
		.amdhsa_user_sgpr_dispatch_ptr 0
		.amdhsa_user_sgpr_queue_ptr 0
		.amdhsa_user_sgpr_kernarg_segment_ptr 1
		.amdhsa_user_sgpr_dispatch_id 0
		.amdhsa_user_sgpr_kernarg_preload_length 0
		.amdhsa_user_sgpr_kernarg_preload_offset 0
		.amdhsa_user_sgpr_private_segment_size 0
		.amdhsa_wavefront_size32 1
		.amdhsa_uses_dynamic_stack 0
		.amdhsa_enable_private_segment 0
		.amdhsa_system_sgpr_workgroup_id_x 1
		.amdhsa_system_sgpr_workgroup_id_y 0
		.amdhsa_system_sgpr_workgroup_id_z 0
		.amdhsa_system_sgpr_workgroup_info 0
		.amdhsa_system_vgpr_workitem_id 0
		.amdhsa_next_free_vgpr 1
		.amdhsa_next_free_sgpr 1
		.amdhsa_named_barrier_count 0
		.amdhsa_reserve_vcc 0
		.amdhsa_float_round_mode_32 0
		.amdhsa_float_round_mode_16_64 0
		.amdhsa_float_denorm_mode_32 3
		.amdhsa_float_denorm_mode_16_64 3
		.amdhsa_fp16_overflow 0
		.amdhsa_memory_ordered 1
		.amdhsa_forward_progress 1
		.amdhsa_inst_pref_size 0
		.amdhsa_round_robin_scheduling 0
		.amdhsa_exception_fp_ieee_invalid_op 0
		.amdhsa_exception_fp_denorm_src 0
		.amdhsa_exception_fp_ieee_div_zero 0
		.amdhsa_exception_fp_ieee_overflow 0
		.amdhsa_exception_fp_ieee_underflow 0
		.amdhsa_exception_fp_ieee_inexact 0
		.amdhsa_exception_int_div_zero 0
	.end_amdhsa_kernel
	.section	.text._ZN7rocprim17ROCPRIM_400000_NS6detail17trampoline_kernelINS0_13select_configILj256ELj13ELNS0_17block_load_methodE3ELS4_3ELS4_3ELNS0_20block_scan_algorithmE0ELj4294967295EEENS1_25partition_config_selectorILNS1_17partition_subalgoE3EjNS0_10empty_typeEbEEZZNS1_14partition_implILS8_3ELb0ES6_jNS0_17counting_iteratorIjlEEPS9_SE_NS0_5tupleIJPjSE_EEENSF_IJSE_SE_EEES9_SG_JZNS1_25segmented_radix_sort_implINS0_14default_configELb1EPKiPiPKlPlN2at6native12_GLOBAL__N_18offset_tEEE10hipError_tPvRmT1_PNSt15iterator_traitsISY_E10value_typeET2_T3_PNSZ_IS14_E10value_typeET4_jRbjT5_S1A_jjP12ihipStream_tbEUljE_EEESV_SW_SX_S14_S18_S1A_T6_T7_T9_mT8_S1C_bDpT10_ENKUlT_T0_E_clISt17integral_constantIbLb0EES1P_EEDaS1K_S1L_EUlS1K_E_NS1_11comp_targetILNS1_3genE5ELNS1_11target_archE942ELNS1_3gpuE9ELNS1_3repE0EEENS1_30default_config_static_selectorELNS0_4arch9wavefront6targetE0EEEvSY_,"axG",@progbits,_ZN7rocprim17ROCPRIM_400000_NS6detail17trampoline_kernelINS0_13select_configILj256ELj13ELNS0_17block_load_methodE3ELS4_3ELS4_3ELNS0_20block_scan_algorithmE0ELj4294967295EEENS1_25partition_config_selectorILNS1_17partition_subalgoE3EjNS0_10empty_typeEbEEZZNS1_14partition_implILS8_3ELb0ES6_jNS0_17counting_iteratorIjlEEPS9_SE_NS0_5tupleIJPjSE_EEENSF_IJSE_SE_EEES9_SG_JZNS1_25segmented_radix_sort_implINS0_14default_configELb1EPKiPiPKlPlN2at6native12_GLOBAL__N_18offset_tEEE10hipError_tPvRmT1_PNSt15iterator_traitsISY_E10value_typeET2_T3_PNSZ_IS14_E10value_typeET4_jRbjT5_S1A_jjP12ihipStream_tbEUljE_EEESV_SW_SX_S14_S18_S1A_T6_T7_T9_mT8_S1C_bDpT10_ENKUlT_T0_E_clISt17integral_constantIbLb0EES1P_EEDaS1K_S1L_EUlS1K_E_NS1_11comp_targetILNS1_3genE5ELNS1_11target_archE942ELNS1_3gpuE9ELNS1_3repE0EEENS1_30default_config_static_selectorELNS0_4arch9wavefront6targetE0EEEvSY_,comdat
.Lfunc_end462:
	.size	_ZN7rocprim17ROCPRIM_400000_NS6detail17trampoline_kernelINS0_13select_configILj256ELj13ELNS0_17block_load_methodE3ELS4_3ELS4_3ELNS0_20block_scan_algorithmE0ELj4294967295EEENS1_25partition_config_selectorILNS1_17partition_subalgoE3EjNS0_10empty_typeEbEEZZNS1_14partition_implILS8_3ELb0ES6_jNS0_17counting_iteratorIjlEEPS9_SE_NS0_5tupleIJPjSE_EEENSF_IJSE_SE_EEES9_SG_JZNS1_25segmented_radix_sort_implINS0_14default_configELb1EPKiPiPKlPlN2at6native12_GLOBAL__N_18offset_tEEE10hipError_tPvRmT1_PNSt15iterator_traitsISY_E10value_typeET2_T3_PNSZ_IS14_E10value_typeET4_jRbjT5_S1A_jjP12ihipStream_tbEUljE_EEESV_SW_SX_S14_S18_S1A_T6_T7_T9_mT8_S1C_bDpT10_ENKUlT_T0_E_clISt17integral_constantIbLb0EES1P_EEDaS1K_S1L_EUlS1K_E_NS1_11comp_targetILNS1_3genE5ELNS1_11target_archE942ELNS1_3gpuE9ELNS1_3repE0EEENS1_30default_config_static_selectorELNS0_4arch9wavefront6targetE0EEEvSY_, .Lfunc_end462-_ZN7rocprim17ROCPRIM_400000_NS6detail17trampoline_kernelINS0_13select_configILj256ELj13ELNS0_17block_load_methodE3ELS4_3ELS4_3ELNS0_20block_scan_algorithmE0ELj4294967295EEENS1_25partition_config_selectorILNS1_17partition_subalgoE3EjNS0_10empty_typeEbEEZZNS1_14partition_implILS8_3ELb0ES6_jNS0_17counting_iteratorIjlEEPS9_SE_NS0_5tupleIJPjSE_EEENSF_IJSE_SE_EEES9_SG_JZNS1_25segmented_radix_sort_implINS0_14default_configELb1EPKiPiPKlPlN2at6native12_GLOBAL__N_18offset_tEEE10hipError_tPvRmT1_PNSt15iterator_traitsISY_E10value_typeET2_T3_PNSZ_IS14_E10value_typeET4_jRbjT5_S1A_jjP12ihipStream_tbEUljE_EEESV_SW_SX_S14_S18_S1A_T6_T7_T9_mT8_S1C_bDpT10_ENKUlT_T0_E_clISt17integral_constantIbLb0EES1P_EEDaS1K_S1L_EUlS1K_E_NS1_11comp_targetILNS1_3genE5ELNS1_11target_archE942ELNS1_3gpuE9ELNS1_3repE0EEENS1_30default_config_static_selectorELNS0_4arch9wavefront6targetE0EEEvSY_
                                        ; -- End function
	.set _ZN7rocprim17ROCPRIM_400000_NS6detail17trampoline_kernelINS0_13select_configILj256ELj13ELNS0_17block_load_methodE3ELS4_3ELS4_3ELNS0_20block_scan_algorithmE0ELj4294967295EEENS1_25partition_config_selectorILNS1_17partition_subalgoE3EjNS0_10empty_typeEbEEZZNS1_14partition_implILS8_3ELb0ES6_jNS0_17counting_iteratorIjlEEPS9_SE_NS0_5tupleIJPjSE_EEENSF_IJSE_SE_EEES9_SG_JZNS1_25segmented_radix_sort_implINS0_14default_configELb1EPKiPiPKlPlN2at6native12_GLOBAL__N_18offset_tEEE10hipError_tPvRmT1_PNSt15iterator_traitsISY_E10value_typeET2_T3_PNSZ_IS14_E10value_typeET4_jRbjT5_S1A_jjP12ihipStream_tbEUljE_EEESV_SW_SX_S14_S18_S1A_T6_T7_T9_mT8_S1C_bDpT10_ENKUlT_T0_E_clISt17integral_constantIbLb0EES1P_EEDaS1K_S1L_EUlS1K_E_NS1_11comp_targetILNS1_3genE5ELNS1_11target_archE942ELNS1_3gpuE9ELNS1_3repE0EEENS1_30default_config_static_selectorELNS0_4arch9wavefront6targetE0EEEvSY_.num_vgpr, 0
	.set _ZN7rocprim17ROCPRIM_400000_NS6detail17trampoline_kernelINS0_13select_configILj256ELj13ELNS0_17block_load_methodE3ELS4_3ELS4_3ELNS0_20block_scan_algorithmE0ELj4294967295EEENS1_25partition_config_selectorILNS1_17partition_subalgoE3EjNS0_10empty_typeEbEEZZNS1_14partition_implILS8_3ELb0ES6_jNS0_17counting_iteratorIjlEEPS9_SE_NS0_5tupleIJPjSE_EEENSF_IJSE_SE_EEES9_SG_JZNS1_25segmented_radix_sort_implINS0_14default_configELb1EPKiPiPKlPlN2at6native12_GLOBAL__N_18offset_tEEE10hipError_tPvRmT1_PNSt15iterator_traitsISY_E10value_typeET2_T3_PNSZ_IS14_E10value_typeET4_jRbjT5_S1A_jjP12ihipStream_tbEUljE_EEESV_SW_SX_S14_S18_S1A_T6_T7_T9_mT8_S1C_bDpT10_ENKUlT_T0_E_clISt17integral_constantIbLb0EES1P_EEDaS1K_S1L_EUlS1K_E_NS1_11comp_targetILNS1_3genE5ELNS1_11target_archE942ELNS1_3gpuE9ELNS1_3repE0EEENS1_30default_config_static_selectorELNS0_4arch9wavefront6targetE0EEEvSY_.num_agpr, 0
	.set _ZN7rocprim17ROCPRIM_400000_NS6detail17trampoline_kernelINS0_13select_configILj256ELj13ELNS0_17block_load_methodE3ELS4_3ELS4_3ELNS0_20block_scan_algorithmE0ELj4294967295EEENS1_25partition_config_selectorILNS1_17partition_subalgoE3EjNS0_10empty_typeEbEEZZNS1_14partition_implILS8_3ELb0ES6_jNS0_17counting_iteratorIjlEEPS9_SE_NS0_5tupleIJPjSE_EEENSF_IJSE_SE_EEES9_SG_JZNS1_25segmented_radix_sort_implINS0_14default_configELb1EPKiPiPKlPlN2at6native12_GLOBAL__N_18offset_tEEE10hipError_tPvRmT1_PNSt15iterator_traitsISY_E10value_typeET2_T3_PNSZ_IS14_E10value_typeET4_jRbjT5_S1A_jjP12ihipStream_tbEUljE_EEESV_SW_SX_S14_S18_S1A_T6_T7_T9_mT8_S1C_bDpT10_ENKUlT_T0_E_clISt17integral_constantIbLb0EES1P_EEDaS1K_S1L_EUlS1K_E_NS1_11comp_targetILNS1_3genE5ELNS1_11target_archE942ELNS1_3gpuE9ELNS1_3repE0EEENS1_30default_config_static_selectorELNS0_4arch9wavefront6targetE0EEEvSY_.numbered_sgpr, 0
	.set _ZN7rocprim17ROCPRIM_400000_NS6detail17trampoline_kernelINS0_13select_configILj256ELj13ELNS0_17block_load_methodE3ELS4_3ELS4_3ELNS0_20block_scan_algorithmE0ELj4294967295EEENS1_25partition_config_selectorILNS1_17partition_subalgoE3EjNS0_10empty_typeEbEEZZNS1_14partition_implILS8_3ELb0ES6_jNS0_17counting_iteratorIjlEEPS9_SE_NS0_5tupleIJPjSE_EEENSF_IJSE_SE_EEES9_SG_JZNS1_25segmented_radix_sort_implINS0_14default_configELb1EPKiPiPKlPlN2at6native12_GLOBAL__N_18offset_tEEE10hipError_tPvRmT1_PNSt15iterator_traitsISY_E10value_typeET2_T3_PNSZ_IS14_E10value_typeET4_jRbjT5_S1A_jjP12ihipStream_tbEUljE_EEESV_SW_SX_S14_S18_S1A_T6_T7_T9_mT8_S1C_bDpT10_ENKUlT_T0_E_clISt17integral_constantIbLb0EES1P_EEDaS1K_S1L_EUlS1K_E_NS1_11comp_targetILNS1_3genE5ELNS1_11target_archE942ELNS1_3gpuE9ELNS1_3repE0EEENS1_30default_config_static_selectorELNS0_4arch9wavefront6targetE0EEEvSY_.num_named_barrier, 0
	.set _ZN7rocprim17ROCPRIM_400000_NS6detail17trampoline_kernelINS0_13select_configILj256ELj13ELNS0_17block_load_methodE3ELS4_3ELS4_3ELNS0_20block_scan_algorithmE0ELj4294967295EEENS1_25partition_config_selectorILNS1_17partition_subalgoE3EjNS0_10empty_typeEbEEZZNS1_14partition_implILS8_3ELb0ES6_jNS0_17counting_iteratorIjlEEPS9_SE_NS0_5tupleIJPjSE_EEENSF_IJSE_SE_EEES9_SG_JZNS1_25segmented_radix_sort_implINS0_14default_configELb1EPKiPiPKlPlN2at6native12_GLOBAL__N_18offset_tEEE10hipError_tPvRmT1_PNSt15iterator_traitsISY_E10value_typeET2_T3_PNSZ_IS14_E10value_typeET4_jRbjT5_S1A_jjP12ihipStream_tbEUljE_EEESV_SW_SX_S14_S18_S1A_T6_T7_T9_mT8_S1C_bDpT10_ENKUlT_T0_E_clISt17integral_constantIbLb0EES1P_EEDaS1K_S1L_EUlS1K_E_NS1_11comp_targetILNS1_3genE5ELNS1_11target_archE942ELNS1_3gpuE9ELNS1_3repE0EEENS1_30default_config_static_selectorELNS0_4arch9wavefront6targetE0EEEvSY_.private_seg_size, 0
	.set _ZN7rocprim17ROCPRIM_400000_NS6detail17trampoline_kernelINS0_13select_configILj256ELj13ELNS0_17block_load_methodE3ELS4_3ELS4_3ELNS0_20block_scan_algorithmE0ELj4294967295EEENS1_25partition_config_selectorILNS1_17partition_subalgoE3EjNS0_10empty_typeEbEEZZNS1_14partition_implILS8_3ELb0ES6_jNS0_17counting_iteratorIjlEEPS9_SE_NS0_5tupleIJPjSE_EEENSF_IJSE_SE_EEES9_SG_JZNS1_25segmented_radix_sort_implINS0_14default_configELb1EPKiPiPKlPlN2at6native12_GLOBAL__N_18offset_tEEE10hipError_tPvRmT1_PNSt15iterator_traitsISY_E10value_typeET2_T3_PNSZ_IS14_E10value_typeET4_jRbjT5_S1A_jjP12ihipStream_tbEUljE_EEESV_SW_SX_S14_S18_S1A_T6_T7_T9_mT8_S1C_bDpT10_ENKUlT_T0_E_clISt17integral_constantIbLb0EES1P_EEDaS1K_S1L_EUlS1K_E_NS1_11comp_targetILNS1_3genE5ELNS1_11target_archE942ELNS1_3gpuE9ELNS1_3repE0EEENS1_30default_config_static_selectorELNS0_4arch9wavefront6targetE0EEEvSY_.uses_vcc, 0
	.set _ZN7rocprim17ROCPRIM_400000_NS6detail17trampoline_kernelINS0_13select_configILj256ELj13ELNS0_17block_load_methodE3ELS4_3ELS4_3ELNS0_20block_scan_algorithmE0ELj4294967295EEENS1_25partition_config_selectorILNS1_17partition_subalgoE3EjNS0_10empty_typeEbEEZZNS1_14partition_implILS8_3ELb0ES6_jNS0_17counting_iteratorIjlEEPS9_SE_NS0_5tupleIJPjSE_EEENSF_IJSE_SE_EEES9_SG_JZNS1_25segmented_radix_sort_implINS0_14default_configELb1EPKiPiPKlPlN2at6native12_GLOBAL__N_18offset_tEEE10hipError_tPvRmT1_PNSt15iterator_traitsISY_E10value_typeET2_T3_PNSZ_IS14_E10value_typeET4_jRbjT5_S1A_jjP12ihipStream_tbEUljE_EEESV_SW_SX_S14_S18_S1A_T6_T7_T9_mT8_S1C_bDpT10_ENKUlT_T0_E_clISt17integral_constantIbLb0EES1P_EEDaS1K_S1L_EUlS1K_E_NS1_11comp_targetILNS1_3genE5ELNS1_11target_archE942ELNS1_3gpuE9ELNS1_3repE0EEENS1_30default_config_static_selectorELNS0_4arch9wavefront6targetE0EEEvSY_.uses_flat_scratch, 0
	.set _ZN7rocprim17ROCPRIM_400000_NS6detail17trampoline_kernelINS0_13select_configILj256ELj13ELNS0_17block_load_methodE3ELS4_3ELS4_3ELNS0_20block_scan_algorithmE0ELj4294967295EEENS1_25partition_config_selectorILNS1_17partition_subalgoE3EjNS0_10empty_typeEbEEZZNS1_14partition_implILS8_3ELb0ES6_jNS0_17counting_iteratorIjlEEPS9_SE_NS0_5tupleIJPjSE_EEENSF_IJSE_SE_EEES9_SG_JZNS1_25segmented_radix_sort_implINS0_14default_configELb1EPKiPiPKlPlN2at6native12_GLOBAL__N_18offset_tEEE10hipError_tPvRmT1_PNSt15iterator_traitsISY_E10value_typeET2_T3_PNSZ_IS14_E10value_typeET4_jRbjT5_S1A_jjP12ihipStream_tbEUljE_EEESV_SW_SX_S14_S18_S1A_T6_T7_T9_mT8_S1C_bDpT10_ENKUlT_T0_E_clISt17integral_constantIbLb0EES1P_EEDaS1K_S1L_EUlS1K_E_NS1_11comp_targetILNS1_3genE5ELNS1_11target_archE942ELNS1_3gpuE9ELNS1_3repE0EEENS1_30default_config_static_selectorELNS0_4arch9wavefront6targetE0EEEvSY_.has_dyn_sized_stack, 0
	.set _ZN7rocprim17ROCPRIM_400000_NS6detail17trampoline_kernelINS0_13select_configILj256ELj13ELNS0_17block_load_methodE3ELS4_3ELS4_3ELNS0_20block_scan_algorithmE0ELj4294967295EEENS1_25partition_config_selectorILNS1_17partition_subalgoE3EjNS0_10empty_typeEbEEZZNS1_14partition_implILS8_3ELb0ES6_jNS0_17counting_iteratorIjlEEPS9_SE_NS0_5tupleIJPjSE_EEENSF_IJSE_SE_EEES9_SG_JZNS1_25segmented_radix_sort_implINS0_14default_configELb1EPKiPiPKlPlN2at6native12_GLOBAL__N_18offset_tEEE10hipError_tPvRmT1_PNSt15iterator_traitsISY_E10value_typeET2_T3_PNSZ_IS14_E10value_typeET4_jRbjT5_S1A_jjP12ihipStream_tbEUljE_EEESV_SW_SX_S14_S18_S1A_T6_T7_T9_mT8_S1C_bDpT10_ENKUlT_T0_E_clISt17integral_constantIbLb0EES1P_EEDaS1K_S1L_EUlS1K_E_NS1_11comp_targetILNS1_3genE5ELNS1_11target_archE942ELNS1_3gpuE9ELNS1_3repE0EEENS1_30default_config_static_selectorELNS0_4arch9wavefront6targetE0EEEvSY_.has_recursion, 0
	.set _ZN7rocprim17ROCPRIM_400000_NS6detail17trampoline_kernelINS0_13select_configILj256ELj13ELNS0_17block_load_methodE3ELS4_3ELS4_3ELNS0_20block_scan_algorithmE0ELj4294967295EEENS1_25partition_config_selectorILNS1_17partition_subalgoE3EjNS0_10empty_typeEbEEZZNS1_14partition_implILS8_3ELb0ES6_jNS0_17counting_iteratorIjlEEPS9_SE_NS0_5tupleIJPjSE_EEENSF_IJSE_SE_EEES9_SG_JZNS1_25segmented_radix_sort_implINS0_14default_configELb1EPKiPiPKlPlN2at6native12_GLOBAL__N_18offset_tEEE10hipError_tPvRmT1_PNSt15iterator_traitsISY_E10value_typeET2_T3_PNSZ_IS14_E10value_typeET4_jRbjT5_S1A_jjP12ihipStream_tbEUljE_EEESV_SW_SX_S14_S18_S1A_T6_T7_T9_mT8_S1C_bDpT10_ENKUlT_T0_E_clISt17integral_constantIbLb0EES1P_EEDaS1K_S1L_EUlS1K_E_NS1_11comp_targetILNS1_3genE5ELNS1_11target_archE942ELNS1_3gpuE9ELNS1_3repE0EEENS1_30default_config_static_selectorELNS0_4arch9wavefront6targetE0EEEvSY_.has_indirect_call, 0
	.section	.AMDGPU.csdata,"",@progbits
; Kernel info:
; codeLenInByte = 0
; TotalNumSgprs: 0
; NumVgprs: 0
; ScratchSize: 0
; MemoryBound: 0
; FloatMode: 240
; IeeeMode: 1
; LDSByteSize: 0 bytes/workgroup (compile time only)
; SGPRBlocks: 0
; VGPRBlocks: 0
; NumSGPRsForWavesPerEU: 1
; NumVGPRsForWavesPerEU: 1
; NamedBarCnt: 0
; Occupancy: 16
; WaveLimiterHint : 0
; COMPUTE_PGM_RSRC2:SCRATCH_EN: 0
; COMPUTE_PGM_RSRC2:USER_SGPR: 2
; COMPUTE_PGM_RSRC2:TRAP_HANDLER: 0
; COMPUTE_PGM_RSRC2:TGID_X_EN: 1
; COMPUTE_PGM_RSRC2:TGID_Y_EN: 0
; COMPUTE_PGM_RSRC2:TGID_Z_EN: 0
; COMPUTE_PGM_RSRC2:TIDIG_COMP_CNT: 0
	.section	.text._ZN7rocprim17ROCPRIM_400000_NS6detail17trampoline_kernelINS0_13select_configILj256ELj13ELNS0_17block_load_methodE3ELS4_3ELS4_3ELNS0_20block_scan_algorithmE0ELj4294967295EEENS1_25partition_config_selectorILNS1_17partition_subalgoE3EjNS0_10empty_typeEbEEZZNS1_14partition_implILS8_3ELb0ES6_jNS0_17counting_iteratorIjlEEPS9_SE_NS0_5tupleIJPjSE_EEENSF_IJSE_SE_EEES9_SG_JZNS1_25segmented_radix_sort_implINS0_14default_configELb1EPKiPiPKlPlN2at6native12_GLOBAL__N_18offset_tEEE10hipError_tPvRmT1_PNSt15iterator_traitsISY_E10value_typeET2_T3_PNSZ_IS14_E10value_typeET4_jRbjT5_S1A_jjP12ihipStream_tbEUljE_EEESV_SW_SX_S14_S18_S1A_T6_T7_T9_mT8_S1C_bDpT10_ENKUlT_T0_E_clISt17integral_constantIbLb0EES1P_EEDaS1K_S1L_EUlS1K_E_NS1_11comp_targetILNS1_3genE4ELNS1_11target_archE910ELNS1_3gpuE8ELNS1_3repE0EEENS1_30default_config_static_selectorELNS0_4arch9wavefront6targetE0EEEvSY_,"axG",@progbits,_ZN7rocprim17ROCPRIM_400000_NS6detail17trampoline_kernelINS0_13select_configILj256ELj13ELNS0_17block_load_methodE3ELS4_3ELS4_3ELNS0_20block_scan_algorithmE0ELj4294967295EEENS1_25partition_config_selectorILNS1_17partition_subalgoE3EjNS0_10empty_typeEbEEZZNS1_14partition_implILS8_3ELb0ES6_jNS0_17counting_iteratorIjlEEPS9_SE_NS0_5tupleIJPjSE_EEENSF_IJSE_SE_EEES9_SG_JZNS1_25segmented_radix_sort_implINS0_14default_configELb1EPKiPiPKlPlN2at6native12_GLOBAL__N_18offset_tEEE10hipError_tPvRmT1_PNSt15iterator_traitsISY_E10value_typeET2_T3_PNSZ_IS14_E10value_typeET4_jRbjT5_S1A_jjP12ihipStream_tbEUljE_EEESV_SW_SX_S14_S18_S1A_T6_T7_T9_mT8_S1C_bDpT10_ENKUlT_T0_E_clISt17integral_constantIbLb0EES1P_EEDaS1K_S1L_EUlS1K_E_NS1_11comp_targetILNS1_3genE4ELNS1_11target_archE910ELNS1_3gpuE8ELNS1_3repE0EEENS1_30default_config_static_selectorELNS0_4arch9wavefront6targetE0EEEvSY_,comdat
	.globl	_ZN7rocprim17ROCPRIM_400000_NS6detail17trampoline_kernelINS0_13select_configILj256ELj13ELNS0_17block_load_methodE3ELS4_3ELS4_3ELNS0_20block_scan_algorithmE0ELj4294967295EEENS1_25partition_config_selectorILNS1_17partition_subalgoE3EjNS0_10empty_typeEbEEZZNS1_14partition_implILS8_3ELb0ES6_jNS0_17counting_iteratorIjlEEPS9_SE_NS0_5tupleIJPjSE_EEENSF_IJSE_SE_EEES9_SG_JZNS1_25segmented_radix_sort_implINS0_14default_configELb1EPKiPiPKlPlN2at6native12_GLOBAL__N_18offset_tEEE10hipError_tPvRmT1_PNSt15iterator_traitsISY_E10value_typeET2_T3_PNSZ_IS14_E10value_typeET4_jRbjT5_S1A_jjP12ihipStream_tbEUljE_EEESV_SW_SX_S14_S18_S1A_T6_T7_T9_mT8_S1C_bDpT10_ENKUlT_T0_E_clISt17integral_constantIbLb0EES1P_EEDaS1K_S1L_EUlS1K_E_NS1_11comp_targetILNS1_3genE4ELNS1_11target_archE910ELNS1_3gpuE8ELNS1_3repE0EEENS1_30default_config_static_selectorELNS0_4arch9wavefront6targetE0EEEvSY_ ; -- Begin function _ZN7rocprim17ROCPRIM_400000_NS6detail17trampoline_kernelINS0_13select_configILj256ELj13ELNS0_17block_load_methodE3ELS4_3ELS4_3ELNS0_20block_scan_algorithmE0ELj4294967295EEENS1_25partition_config_selectorILNS1_17partition_subalgoE3EjNS0_10empty_typeEbEEZZNS1_14partition_implILS8_3ELb0ES6_jNS0_17counting_iteratorIjlEEPS9_SE_NS0_5tupleIJPjSE_EEENSF_IJSE_SE_EEES9_SG_JZNS1_25segmented_radix_sort_implINS0_14default_configELb1EPKiPiPKlPlN2at6native12_GLOBAL__N_18offset_tEEE10hipError_tPvRmT1_PNSt15iterator_traitsISY_E10value_typeET2_T3_PNSZ_IS14_E10value_typeET4_jRbjT5_S1A_jjP12ihipStream_tbEUljE_EEESV_SW_SX_S14_S18_S1A_T6_T7_T9_mT8_S1C_bDpT10_ENKUlT_T0_E_clISt17integral_constantIbLb0EES1P_EEDaS1K_S1L_EUlS1K_E_NS1_11comp_targetILNS1_3genE4ELNS1_11target_archE910ELNS1_3gpuE8ELNS1_3repE0EEENS1_30default_config_static_selectorELNS0_4arch9wavefront6targetE0EEEvSY_
	.p2align	8
	.type	_ZN7rocprim17ROCPRIM_400000_NS6detail17trampoline_kernelINS0_13select_configILj256ELj13ELNS0_17block_load_methodE3ELS4_3ELS4_3ELNS0_20block_scan_algorithmE0ELj4294967295EEENS1_25partition_config_selectorILNS1_17partition_subalgoE3EjNS0_10empty_typeEbEEZZNS1_14partition_implILS8_3ELb0ES6_jNS0_17counting_iteratorIjlEEPS9_SE_NS0_5tupleIJPjSE_EEENSF_IJSE_SE_EEES9_SG_JZNS1_25segmented_radix_sort_implINS0_14default_configELb1EPKiPiPKlPlN2at6native12_GLOBAL__N_18offset_tEEE10hipError_tPvRmT1_PNSt15iterator_traitsISY_E10value_typeET2_T3_PNSZ_IS14_E10value_typeET4_jRbjT5_S1A_jjP12ihipStream_tbEUljE_EEESV_SW_SX_S14_S18_S1A_T6_T7_T9_mT8_S1C_bDpT10_ENKUlT_T0_E_clISt17integral_constantIbLb0EES1P_EEDaS1K_S1L_EUlS1K_E_NS1_11comp_targetILNS1_3genE4ELNS1_11target_archE910ELNS1_3gpuE8ELNS1_3repE0EEENS1_30default_config_static_selectorELNS0_4arch9wavefront6targetE0EEEvSY_,@function
_ZN7rocprim17ROCPRIM_400000_NS6detail17trampoline_kernelINS0_13select_configILj256ELj13ELNS0_17block_load_methodE3ELS4_3ELS4_3ELNS0_20block_scan_algorithmE0ELj4294967295EEENS1_25partition_config_selectorILNS1_17partition_subalgoE3EjNS0_10empty_typeEbEEZZNS1_14partition_implILS8_3ELb0ES6_jNS0_17counting_iteratorIjlEEPS9_SE_NS0_5tupleIJPjSE_EEENSF_IJSE_SE_EEES9_SG_JZNS1_25segmented_radix_sort_implINS0_14default_configELb1EPKiPiPKlPlN2at6native12_GLOBAL__N_18offset_tEEE10hipError_tPvRmT1_PNSt15iterator_traitsISY_E10value_typeET2_T3_PNSZ_IS14_E10value_typeET4_jRbjT5_S1A_jjP12ihipStream_tbEUljE_EEESV_SW_SX_S14_S18_S1A_T6_T7_T9_mT8_S1C_bDpT10_ENKUlT_T0_E_clISt17integral_constantIbLb0EES1P_EEDaS1K_S1L_EUlS1K_E_NS1_11comp_targetILNS1_3genE4ELNS1_11target_archE910ELNS1_3gpuE8ELNS1_3repE0EEENS1_30default_config_static_selectorELNS0_4arch9wavefront6targetE0EEEvSY_: ; @_ZN7rocprim17ROCPRIM_400000_NS6detail17trampoline_kernelINS0_13select_configILj256ELj13ELNS0_17block_load_methodE3ELS4_3ELS4_3ELNS0_20block_scan_algorithmE0ELj4294967295EEENS1_25partition_config_selectorILNS1_17partition_subalgoE3EjNS0_10empty_typeEbEEZZNS1_14partition_implILS8_3ELb0ES6_jNS0_17counting_iteratorIjlEEPS9_SE_NS0_5tupleIJPjSE_EEENSF_IJSE_SE_EEES9_SG_JZNS1_25segmented_radix_sort_implINS0_14default_configELb1EPKiPiPKlPlN2at6native12_GLOBAL__N_18offset_tEEE10hipError_tPvRmT1_PNSt15iterator_traitsISY_E10value_typeET2_T3_PNSZ_IS14_E10value_typeET4_jRbjT5_S1A_jjP12ihipStream_tbEUljE_EEESV_SW_SX_S14_S18_S1A_T6_T7_T9_mT8_S1C_bDpT10_ENKUlT_T0_E_clISt17integral_constantIbLb0EES1P_EEDaS1K_S1L_EUlS1K_E_NS1_11comp_targetILNS1_3genE4ELNS1_11target_archE910ELNS1_3gpuE8ELNS1_3repE0EEENS1_30default_config_static_selectorELNS0_4arch9wavefront6targetE0EEEvSY_
; %bb.0:
	.section	.rodata,"a",@progbits
	.p2align	6, 0x0
	.amdhsa_kernel _ZN7rocprim17ROCPRIM_400000_NS6detail17trampoline_kernelINS0_13select_configILj256ELj13ELNS0_17block_load_methodE3ELS4_3ELS4_3ELNS0_20block_scan_algorithmE0ELj4294967295EEENS1_25partition_config_selectorILNS1_17partition_subalgoE3EjNS0_10empty_typeEbEEZZNS1_14partition_implILS8_3ELb0ES6_jNS0_17counting_iteratorIjlEEPS9_SE_NS0_5tupleIJPjSE_EEENSF_IJSE_SE_EEES9_SG_JZNS1_25segmented_radix_sort_implINS0_14default_configELb1EPKiPiPKlPlN2at6native12_GLOBAL__N_18offset_tEEE10hipError_tPvRmT1_PNSt15iterator_traitsISY_E10value_typeET2_T3_PNSZ_IS14_E10value_typeET4_jRbjT5_S1A_jjP12ihipStream_tbEUljE_EEESV_SW_SX_S14_S18_S1A_T6_T7_T9_mT8_S1C_bDpT10_ENKUlT_T0_E_clISt17integral_constantIbLb0EES1P_EEDaS1K_S1L_EUlS1K_E_NS1_11comp_targetILNS1_3genE4ELNS1_11target_archE910ELNS1_3gpuE8ELNS1_3repE0EEENS1_30default_config_static_selectorELNS0_4arch9wavefront6targetE0EEEvSY_
		.amdhsa_group_segment_fixed_size 0
		.amdhsa_private_segment_fixed_size 0
		.amdhsa_kernarg_size 144
		.amdhsa_user_sgpr_count 2
		.amdhsa_user_sgpr_dispatch_ptr 0
		.amdhsa_user_sgpr_queue_ptr 0
		.amdhsa_user_sgpr_kernarg_segment_ptr 1
		.amdhsa_user_sgpr_dispatch_id 0
		.amdhsa_user_sgpr_kernarg_preload_length 0
		.amdhsa_user_sgpr_kernarg_preload_offset 0
		.amdhsa_user_sgpr_private_segment_size 0
		.amdhsa_wavefront_size32 1
		.amdhsa_uses_dynamic_stack 0
		.amdhsa_enable_private_segment 0
		.amdhsa_system_sgpr_workgroup_id_x 1
		.amdhsa_system_sgpr_workgroup_id_y 0
		.amdhsa_system_sgpr_workgroup_id_z 0
		.amdhsa_system_sgpr_workgroup_info 0
		.amdhsa_system_vgpr_workitem_id 0
		.amdhsa_next_free_vgpr 1
		.amdhsa_next_free_sgpr 1
		.amdhsa_named_barrier_count 0
		.amdhsa_reserve_vcc 0
		.amdhsa_float_round_mode_32 0
		.amdhsa_float_round_mode_16_64 0
		.amdhsa_float_denorm_mode_32 3
		.amdhsa_float_denorm_mode_16_64 3
		.amdhsa_fp16_overflow 0
		.amdhsa_memory_ordered 1
		.amdhsa_forward_progress 1
		.amdhsa_inst_pref_size 0
		.amdhsa_round_robin_scheduling 0
		.amdhsa_exception_fp_ieee_invalid_op 0
		.amdhsa_exception_fp_denorm_src 0
		.amdhsa_exception_fp_ieee_div_zero 0
		.amdhsa_exception_fp_ieee_overflow 0
		.amdhsa_exception_fp_ieee_underflow 0
		.amdhsa_exception_fp_ieee_inexact 0
		.amdhsa_exception_int_div_zero 0
	.end_amdhsa_kernel
	.section	.text._ZN7rocprim17ROCPRIM_400000_NS6detail17trampoline_kernelINS0_13select_configILj256ELj13ELNS0_17block_load_methodE3ELS4_3ELS4_3ELNS0_20block_scan_algorithmE0ELj4294967295EEENS1_25partition_config_selectorILNS1_17partition_subalgoE3EjNS0_10empty_typeEbEEZZNS1_14partition_implILS8_3ELb0ES6_jNS0_17counting_iteratorIjlEEPS9_SE_NS0_5tupleIJPjSE_EEENSF_IJSE_SE_EEES9_SG_JZNS1_25segmented_radix_sort_implINS0_14default_configELb1EPKiPiPKlPlN2at6native12_GLOBAL__N_18offset_tEEE10hipError_tPvRmT1_PNSt15iterator_traitsISY_E10value_typeET2_T3_PNSZ_IS14_E10value_typeET4_jRbjT5_S1A_jjP12ihipStream_tbEUljE_EEESV_SW_SX_S14_S18_S1A_T6_T7_T9_mT8_S1C_bDpT10_ENKUlT_T0_E_clISt17integral_constantIbLb0EES1P_EEDaS1K_S1L_EUlS1K_E_NS1_11comp_targetILNS1_3genE4ELNS1_11target_archE910ELNS1_3gpuE8ELNS1_3repE0EEENS1_30default_config_static_selectorELNS0_4arch9wavefront6targetE0EEEvSY_,"axG",@progbits,_ZN7rocprim17ROCPRIM_400000_NS6detail17trampoline_kernelINS0_13select_configILj256ELj13ELNS0_17block_load_methodE3ELS4_3ELS4_3ELNS0_20block_scan_algorithmE0ELj4294967295EEENS1_25partition_config_selectorILNS1_17partition_subalgoE3EjNS0_10empty_typeEbEEZZNS1_14partition_implILS8_3ELb0ES6_jNS0_17counting_iteratorIjlEEPS9_SE_NS0_5tupleIJPjSE_EEENSF_IJSE_SE_EEES9_SG_JZNS1_25segmented_radix_sort_implINS0_14default_configELb1EPKiPiPKlPlN2at6native12_GLOBAL__N_18offset_tEEE10hipError_tPvRmT1_PNSt15iterator_traitsISY_E10value_typeET2_T3_PNSZ_IS14_E10value_typeET4_jRbjT5_S1A_jjP12ihipStream_tbEUljE_EEESV_SW_SX_S14_S18_S1A_T6_T7_T9_mT8_S1C_bDpT10_ENKUlT_T0_E_clISt17integral_constantIbLb0EES1P_EEDaS1K_S1L_EUlS1K_E_NS1_11comp_targetILNS1_3genE4ELNS1_11target_archE910ELNS1_3gpuE8ELNS1_3repE0EEENS1_30default_config_static_selectorELNS0_4arch9wavefront6targetE0EEEvSY_,comdat
.Lfunc_end463:
	.size	_ZN7rocprim17ROCPRIM_400000_NS6detail17trampoline_kernelINS0_13select_configILj256ELj13ELNS0_17block_load_methodE3ELS4_3ELS4_3ELNS0_20block_scan_algorithmE0ELj4294967295EEENS1_25partition_config_selectorILNS1_17partition_subalgoE3EjNS0_10empty_typeEbEEZZNS1_14partition_implILS8_3ELb0ES6_jNS0_17counting_iteratorIjlEEPS9_SE_NS0_5tupleIJPjSE_EEENSF_IJSE_SE_EEES9_SG_JZNS1_25segmented_radix_sort_implINS0_14default_configELb1EPKiPiPKlPlN2at6native12_GLOBAL__N_18offset_tEEE10hipError_tPvRmT1_PNSt15iterator_traitsISY_E10value_typeET2_T3_PNSZ_IS14_E10value_typeET4_jRbjT5_S1A_jjP12ihipStream_tbEUljE_EEESV_SW_SX_S14_S18_S1A_T6_T7_T9_mT8_S1C_bDpT10_ENKUlT_T0_E_clISt17integral_constantIbLb0EES1P_EEDaS1K_S1L_EUlS1K_E_NS1_11comp_targetILNS1_3genE4ELNS1_11target_archE910ELNS1_3gpuE8ELNS1_3repE0EEENS1_30default_config_static_selectorELNS0_4arch9wavefront6targetE0EEEvSY_, .Lfunc_end463-_ZN7rocprim17ROCPRIM_400000_NS6detail17trampoline_kernelINS0_13select_configILj256ELj13ELNS0_17block_load_methodE3ELS4_3ELS4_3ELNS0_20block_scan_algorithmE0ELj4294967295EEENS1_25partition_config_selectorILNS1_17partition_subalgoE3EjNS0_10empty_typeEbEEZZNS1_14partition_implILS8_3ELb0ES6_jNS0_17counting_iteratorIjlEEPS9_SE_NS0_5tupleIJPjSE_EEENSF_IJSE_SE_EEES9_SG_JZNS1_25segmented_radix_sort_implINS0_14default_configELb1EPKiPiPKlPlN2at6native12_GLOBAL__N_18offset_tEEE10hipError_tPvRmT1_PNSt15iterator_traitsISY_E10value_typeET2_T3_PNSZ_IS14_E10value_typeET4_jRbjT5_S1A_jjP12ihipStream_tbEUljE_EEESV_SW_SX_S14_S18_S1A_T6_T7_T9_mT8_S1C_bDpT10_ENKUlT_T0_E_clISt17integral_constantIbLb0EES1P_EEDaS1K_S1L_EUlS1K_E_NS1_11comp_targetILNS1_3genE4ELNS1_11target_archE910ELNS1_3gpuE8ELNS1_3repE0EEENS1_30default_config_static_selectorELNS0_4arch9wavefront6targetE0EEEvSY_
                                        ; -- End function
	.set _ZN7rocprim17ROCPRIM_400000_NS6detail17trampoline_kernelINS0_13select_configILj256ELj13ELNS0_17block_load_methodE3ELS4_3ELS4_3ELNS0_20block_scan_algorithmE0ELj4294967295EEENS1_25partition_config_selectorILNS1_17partition_subalgoE3EjNS0_10empty_typeEbEEZZNS1_14partition_implILS8_3ELb0ES6_jNS0_17counting_iteratorIjlEEPS9_SE_NS0_5tupleIJPjSE_EEENSF_IJSE_SE_EEES9_SG_JZNS1_25segmented_radix_sort_implINS0_14default_configELb1EPKiPiPKlPlN2at6native12_GLOBAL__N_18offset_tEEE10hipError_tPvRmT1_PNSt15iterator_traitsISY_E10value_typeET2_T3_PNSZ_IS14_E10value_typeET4_jRbjT5_S1A_jjP12ihipStream_tbEUljE_EEESV_SW_SX_S14_S18_S1A_T6_T7_T9_mT8_S1C_bDpT10_ENKUlT_T0_E_clISt17integral_constantIbLb0EES1P_EEDaS1K_S1L_EUlS1K_E_NS1_11comp_targetILNS1_3genE4ELNS1_11target_archE910ELNS1_3gpuE8ELNS1_3repE0EEENS1_30default_config_static_selectorELNS0_4arch9wavefront6targetE0EEEvSY_.num_vgpr, 0
	.set _ZN7rocprim17ROCPRIM_400000_NS6detail17trampoline_kernelINS0_13select_configILj256ELj13ELNS0_17block_load_methodE3ELS4_3ELS4_3ELNS0_20block_scan_algorithmE0ELj4294967295EEENS1_25partition_config_selectorILNS1_17partition_subalgoE3EjNS0_10empty_typeEbEEZZNS1_14partition_implILS8_3ELb0ES6_jNS0_17counting_iteratorIjlEEPS9_SE_NS0_5tupleIJPjSE_EEENSF_IJSE_SE_EEES9_SG_JZNS1_25segmented_radix_sort_implINS0_14default_configELb1EPKiPiPKlPlN2at6native12_GLOBAL__N_18offset_tEEE10hipError_tPvRmT1_PNSt15iterator_traitsISY_E10value_typeET2_T3_PNSZ_IS14_E10value_typeET4_jRbjT5_S1A_jjP12ihipStream_tbEUljE_EEESV_SW_SX_S14_S18_S1A_T6_T7_T9_mT8_S1C_bDpT10_ENKUlT_T0_E_clISt17integral_constantIbLb0EES1P_EEDaS1K_S1L_EUlS1K_E_NS1_11comp_targetILNS1_3genE4ELNS1_11target_archE910ELNS1_3gpuE8ELNS1_3repE0EEENS1_30default_config_static_selectorELNS0_4arch9wavefront6targetE0EEEvSY_.num_agpr, 0
	.set _ZN7rocprim17ROCPRIM_400000_NS6detail17trampoline_kernelINS0_13select_configILj256ELj13ELNS0_17block_load_methodE3ELS4_3ELS4_3ELNS0_20block_scan_algorithmE0ELj4294967295EEENS1_25partition_config_selectorILNS1_17partition_subalgoE3EjNS0_10empty_typeEbEEZZNS1_14partition_implILS8_3ELb0ES6_jNS0_17counting_iteratorIjlEEPS9_SE_NS0_5tupleIJPjSE_EEENSF_IJSE_SE_EEES9_SG_JZNS1_25segmented_radix_sort_implINS0_14default_configELb1EPKiPiPKlPlN2at6native12_GLOBAL__N_18offset_tEEE10hipError_tPvRmT1_PNSt15iterator_traitsISY_E10value_typeET2_T3_PNSZ_IS14_E10value_typeET4_jRbjT5_S1A_jjP12ihipStream_tbEUljE_EEESV_SW_SX_S14_S18_S1A_T6_T7_T9_mT8_S1C_bDpT10_ENKUlT_T0_E_clISt17integral_constantIbLb0EES1P_EEDaS1K_S1L_EUlS1K_E_NS1_11comp_targetILNS1_3genE4ELNS1_11target_archE910ELNS1_3gpuE8ELNS1_3repE0EEENS1_30default_config_static_selectorELNS0_4arch9wavefront6targetE0EEEvSY_.numbered_sgpr, 0
	.set _ZN7rocprim17ROCPRIM_400000_NS6detail17trampoline_kernelINS0_13select_configILj256ELj13ELNS0_17block_load_methodE3ELS4_3ELS4_3ELNS0_20block_scan_algorithmE0ELj4294967295EEENS1_25partition_config_selectorILNS1_17partition_subalgoE3EjNS0_10empty_typeEbEEZZNS1_14partition_implILS8_3ELb0ES6_jNS0_17counting_iteratorIjlEEPS9_SE_NS0_5tupleIJPjSE_EEENSF_IJSE_SE_EEES9_SG_JZNS1_25segmented_radix_sort_implINS0_14default_configELb1EPKiPiPKlPlN2at6native12_GLOBAL__N_18offset_tEEE10hipError_tPvRmT1_PNSt15iterator_traitsISY_E10value_typeET2_T3_PNSZ_IS14_E10value_typeET4_jRbjT5_S1A_jjP12ihipStream_tbEUljE_EEESV_SW_SX_S14_S18_S1A_T6_T7_T9_mT8_S1C_bDpT10_ENKUlT_T0_E_clISt17integral_constantIbLb0EES1P_EEDaS1K_S1L_EUlS1K_E_NS1_11comp_targetILNS1_3genE4ELNS1_11target_archE910ELNS1_3gpuE8ELNS1_3repE0EEENS1_30default_config_static_selectorELNS0_4arch9wavefront6targetE0EEEvSY_.num_named_barrier, 0
	.set _ZN7rocprim17ROCPRIM_400000_NS6detail17trampoline_kernelINS0_13select_configILj256ELj13ELNS0_17block_load_methodE3ELS4_3ELS4_3ELNS0_20block_scan_algorithmE0ELj4294967295EEENS1_25partition_config_selectorILNS1_17partition_subalgoE3EjNS0_10empty_typeEbEEZZNS1_14partition_implILS8_3ELb0ES6_jNS0_17counting_iteratorIjlEEPS9_SE_NS0_5tupleIJPjSE_EEENSF_IJSE_SE_EEES9_SG_JZNS1_25segmented_radix_sort_implINS0_14default_configELb1EPKiPiPKlPlN2at6native12_GLOBAL__N_18offset_tEEE10hipError_tPvRmT1_PNSt15iterator_traitsISY_E10value_typeET2_T3_PNSZ_IS14_E10value_typeET4_jRbjT5_S1A_jjP12ihipStream_tbEUljE_EEESV_SW_SX_S14_S18_S1A_T6_T7_T9_mT8_S1C_bDpT10_ENKUlT_T0_E_clISt17integral_constantIbLb0EES1P_EEDaS1K_S1L_EUlS1K_E_NS1_11comp_targetILNS1_3genE4ELNS1_11target_archE910ELNS1_3gpuE8ELNS1_3repE0EEENS1_30default_config_static_selectorELNS0_4arch9wavefront6targetE0EEEvSY_.private_seg_size, 0
	.set _ZN7rocprim17ROCPRIM_400000_NS6detail17trampoline_kernelINS0_13select_configILj256ELj13ELNS0_17block_load_methodE3ELS4_3ELS4_3ELNS0_20block_scan_algorithmE0ELj4294967295EEENS1_25partition_config_selectorILNS1_17partition_subalgoE3EjNS0_10empty_typeEbEEZZNS1_14partition_implILS8_3ELb0ES6_jNS0_17counting_iteratorIjlEEPS9_SE_NS0_5tupleIJPjSE_EEENSF_IJSE_SE_EEES9_SG_JZNS1_25segmented_radix_sort_implINS0_14default_configELb1EPKiPiPKlPlN2at6native12_GLOBAL__N_18offset_tEEE10hipError_tPvRmT1_PNSt15iterator_traitsISY_E10value_typeET2_T3_PNSZ_IS14_E10value_typeET4_jRbjT5_S1A_jjP12ihipStream_tbEUljE_EEESV_SW_SX_S14_S18_S1A_T6_T7_T9_mT8_S1C_bDpT10_ENKUlT_T0_E_clISt17integral_constantIbLb0EES1P_EEDaS1K_S1L_EUlS1K_E_NS1_11comp_targetILNS1_3genE4ELNS1_11target_archE910ELNS1_3gpuE8ELNS1_3repE0EEENS1_30default_config_static_selectorELNS0_4arch9wavefront6targetE0EEEvSY_.uses_vcc, 0
	.set _ZN7rocprim17ROCPRIM_400000_NS6detail17trampoline_kernelINS0_13select_configILj256ELj13ELNS0_17block_load_methodE3ELS4_3ELS4_3ELNS0_20block_scan_algorithmE0ELj4294967295EEENS1_25partition_config_selectorILNS1_17partition_subalgoE3EjNS0_10empty_typeEbEEZZNS1_14partition_implILS8_3ELb0ES6_jNS0_17counting_iteratorIjlEEPS9_SE_NS0_5tupleIJPjSE_EEENSF_IJSE_SE_EEES9_SG_JZNS1_25segmented_radix_sort_implINS0_14default_configELb1EPKiPiPKlPlN2at6native12_GLOBAL__N_18offset_tEEE10hipError_tPvRmT1_PNSt15iterator_traitsISY_E10value_typeET2_T3_PNSZ_IS14_E10value_typeET4_jRbjT5_S1A_jjP12ihipStream_tbEUljE_EEESV_SW_SX_S14_S18_S1A_T6_T7_T9_mT8_S1C_bDpT10_ENKUlT_T0_E_clISt17integral_constantIbLb0EES1P_EEDaS1K_S1L_EUlS1K_E_NS1_11comp_targetILNS1_3genE4ELNS1_11target_archE910ELNS1_3gpuE8ELNS1_3repE0EEENS1_30default_config_static_selectorELNS0_4arch9wavefront6targetE0EEEvSY_.uses_flat_scratch, 0
	.set _ZN7rocprim17ROCPRIM_400000_NS6detail17trampoline_kernelINS0_13select_configILj256ELj13ELNS0_17block_load_methodE3ELS4_3ELS4_3ELNS0_20block_scan_algorithmE0ELj4294967295EEENS1_25partition_config_selectorILNS1_17partition_subalgoE3EjNS0_10empty_typeEbEEZZNS1_14partition_implILS8_3ELb0ES6_jNS0_17counting_iteratorIjlEEPS9_SE_NS0_5tupleIJPjSE_EEENSF_IJSE_SE_EEES9_SG_JZNS1_25segmented_radix_sort_implINS0_14default_configELb1EPKiPiPKlPlN2at6native12_GLOBAL__N_18offset_tEEE10hipError_tPvRmT1_PNSt15iterator_traitsISY_E10value_typeET2_T3_PNSZ_IS14_E10value_typeET4_jRbjT5_S1A_jjP12ihipStream_tbEUljE_EEESV_SW_SX_S14_S18_S1A_T6_T7_T9_mT8_S1C_bDpT10_ENKUlT_T0_E_clISt17integral_constantIbLb0EES1P_EEDaS1K_S1L_EUlS1K_E_NS1_11comp_targetILNS1_3genE4ELNS1_11target_archE910ELNS1_3gpuE8ELNS1_3repE0EEENS1_30default_config_static_selectorELNS0_4arch9wavefront6targetE0EEEvSY_.has_dyn_sized_stack, 0
	.set _ZN7rocprim17ROCPRIM_400000_NS6detail17trampoline_kernelINS0_13select_configILj256ELj13ELNS0_17block_load_methodE3ELS4_3ELS4_3ELNS0_20block_scan_algorithmE0ELj4294967295EEENS1_25partition_config_selectorILNS1_17partition_subalgoE3EjNS0_10empty_typeEbEEZZNS1_14partition_implILS8_3ELb0ES6_jNS0_17counting_iteratorIjlEEPS9_SE_NS0_5tupleIJPjSE_EEENSF_IJSE_SE_EEES9_SG_JZNS1_25segmented_radix_sort_implINS0_14default_configELb1EPKiPiPKlPlN2at6native12_GLOBAL__N_18offset_tEEE10hipError_tPvRmT1_PNSt15iterator_traitsISY_E10value_typeET2_T3_PNSZ_IS14_E10value_typeET4_jRbjT5_S1A_jjP12ihipStream_tbEUljE_EEESV_SW_SX_S14_S18_S1A_T6_T7_T9_mT8_S1C_bDpT10_ENKUlT_T0_E_clISt17integral_constantIbLb0EES1P_EEDaS1K_S1L_EUlS1K_E_NS1_11comp_targetILNS1_3genE4ELNS1_11target_archE910ELNS1_3gpuE8ELNS1_3repE0EEENS1_30default_config_static_selectorELNS0_4arch9wavefront6targetE0EEEvSY_.has_recursion, 0
	.set _ZN7rocprim17ROCPRIM_400000_NS6detail17trampoline_kernelINS0_13select_configILj256ELj13ELNS0_17block_load_methodE3ELS4_3ELS4_3ELNS0_20block_scan_algorithmE0ELj4294967295EEENS1_25partition_config_selectorILNS1_17partition_subalgoE3EjNS0_10empty_typeEbEEZZNS1_14partition_implILS8_3ELb0ES6_jNS0_17counting_iteratorIjlEEPS9_SE_NS0_5tupleIJPjSE_EEENSF_IJSE_SE_EEES9_SG_JZNS1_25segmented_radix_sort_implINS0_14default_configELb1EPKiPiPKlPlN2at6native12_GLOBAL__N_18offset_tEEE10hipError_tPvRmT1_PNSt15iterator_traitsISY_E10value_typeET2_T3_PNSZ_IS14_E10value_typeET4_jRbjT5_S1A_jjP12ihipStream_tbEUljE_EEESV_SW_SX_S14_S18_S1A_T6_T7_T9_mT8_S1C_bDpT10_ENKUlT_T0_E_clISt17integral_constantIbLb0EES1P_EEDaS1K_S1L_EUlS1K_E_NS1_11comp_targetILNS1_3genE4ELNS1_11target_archE910ELNS1_3gpuE8ELNS1_3repE0EEENS1_30default_config_static_selectorELNS0_4arch9wavefront6targetE0EEEvSY_.has_indirect_call, 0
	.section	.AMDGPU.csdata,"",@progbits
; Kernel info:
; codeLenInByte = 0
; TotalNumSgprs: 0
; NumVgprs: 0
; ScratchSize: 0
; MemoryBound: 0
; FloatMode: 240
; IeeeMode: 1
; LDSByteSize: 0 bytes/workgroup (compile time only)
; SGPRBlocks: 0
; VGPRBlocks: 0
; NumSGPRsForWavesPerEU: 1
; NumVGPRsForWavesPerEU: 1
; NamedBarCnt: 0
; Occupancy: 16
; WaveLimiterHint : 0
; COMPUTE_PGM_RSRC2:SCRATCH_EN: 0
; COMPUTE_PGM_RSRC2:USER_SGPR: 2
; COMPUTE_PGM_RSRC2:TRAP_HANDLER: 0
; COMPUTE_PGM_RSRC2:TGID_X_EN: 1
; COMPUTE_PGM_RSRC2:TGID_Y_EN: 0
; COMPUTE_PGM_RSRC2:TGID_Z_EN: 0
; COMPUTE_PGM_RSRC2:TIDIG_COMP_CNT: 0
	.section	.text._ZN7rocprim17ROCPRIM_400000_NS6detail17trampoline_kernelINS0_13select_configILj256ELj13ELNS0_17block_load_methodE3ELS4_3ELS4_3ELNS0_20block_scan_algorithmE0ELj4294967295EEENS1_25partition_config_selectorILNS1_17partition_subalgoE3EjNS0_10empty_typeEbEEZZNS1_14partition_implILS8_3ELb0ES6_jNS0_17counting_iteratorIjlEEPS9_SE_NS0_5tupleIJPjSE_EEENSF_IJSE_SE_EEES9_SG_JZNS1_25segmented_radix_sort_implINS0_14default_configELb1EPKiPiPKlPlN2at6native12_GLOBAL__N_18offset_tEEE10hipError_tPvRmT1_PNSt15iterator_traitsISY_E10value_typeET2_T3_PNSZ_IS14_E10value_typeET4_jRbjT5_S1A_jjP12ihipStream_tbEUljE_EEESV_SW_SX_S14_S18_S1A_T6_T7_T9_mT8_S1C_bDpT10_ENKUlT_T0_E_clISt17integral_constantIbLb0EES1P_EEDaS1K_S1L_EUlS1K_E_NS1_11comp_targetILNS1_3genE3ELNS1_11target_archE908ELNS1_3gpuE7ELNS1_3repE0EEENS1_30default_config_static_selectorELNS0_4arch9wavefront6targetE0EEEvSY_,"axG",@progbits,_ZN7rocprim17ROCPRIM_400000_NS6detail17trampoline_kernelINS0_13select_configILj256ELj13ELNS0_17block_load_methodE3ELS4_3ELS4_3ELNS0_20block_scan_algorithmE0ELj4294967295EEENS1_25partition_config_selectorILNS1_17partition_subalgoE3EjNS0_10empty_typeEbEEZZNS1_14partition_implILS8_3ELb0ES6_jNS0_17counting_iteratorIjlEEPS9_SE_NS0_5tupleIJPjSE_EEENSF_IJSE_SE_EEES9_SG_JZNS1_25segmented_radix_sort_implINS0_14default_configELb1EPKiPiPKlPlN2at6native12_GLOBAL__N_18offset_tEEE10hipError_tPvRmT1_PNSt15iterator_traitsISY_E10value_typeET2_T3_PNSZ_IS14_E10value_typeET4_jRbjT5_S1A_jjP12ihipStream_tbEUljE_EEESV_SW_SX_S14_S18_S1A_T6_T7_T9_mT8_S1C_bDpT10_ENKUlT_T0_E_clISt17integral_constantIbLb0EES1P_EEDaS1K_S1L_EUlS1K_E_NS1_11comp_targetILNS1_3genE3ELNS1_11target_archE908ELNS1_3gpuE7ELNS1_3repE0EEENS1_30default_config_static_selectorELNS0_4arch9wavefront6targetE0EEEvSY_,comdat
	.globl	_ZN7rocprim17ROCPRIM_400000_NS6detail17trampoline_kernelINS0_13select_configILj256ELj13ELNS0_17block_load_methodE3ELS4_3ELS4_3ELNS0_20block_scan_algorithmE0ELj4294967295EEENS1_25partition_config_selectorILNS1_17partition_subalgoE3EjNS0_10empty_typeEbEEZZNS1_14partition_implILS8_3ELb0ES6_jNS0_17counting_iteratorIjlEEPS9_SE_NS0_5tupleIJPjSE_EEENSF_IJSE_SE_EEES9_SG_JZNS1_25segmented_radix_sort_implINS0_14default_configELb1EPKiPiPKlPlN2at6native12_GLOBAL__N_18offset_tEEE10hipError_tPvRmT1_PNSt15iterator_traitsISY_E10value_typeET2_T3_PNSZ_IS14_E10value_typeET4_jRbjT5_S1A_jjP12ihipStream_tbEUljE_EEESV_SW_SX_S14_S18_S1A_T6_T7_T9_mT8_S1C_bDpT10_ENKUlT_T0_E_clISt17integral_constantIbLb0EES1P_EEDaS1K_S1L_EUlS1K_E_NS1_11comp_targetILNS1_3genE3ELNS1_11target_archE908ELNS1_3gpuE7ELNS1_3repE0EEENS1_30default_config_static_selectorELNS0_4arch9wavefront6targetE0EEEvSY_ ; -- Begin function _ZN7rocprim17ROCPRIM_400000_NS6detail17trampoline_kernelINS0_13select_configILj256ELj13ELNS0_17block_load_methodE3ELS4_3ELS4_3ELNS0_20block_scan_algorithmE0ELj4294967295EEENS1_25partition_config_selectorILNS1_17partition_subalgoE3EjNS0_10empty_typeEbEEZZNS1_14partition_implILS8_3ELb0ES6_jNS0_17counting_iteratorIjlEEPS9_SE_NS0_5tupleIJPjSE_EEENSF_IJSE_SE_EEES9_SG_JZNS1_25segmented_radix_sort_implINS0_14default_configELb1EPKiPiPKlPlN2at6native12_GLOBAL__N_18offset_tEEE10hipError_tPvRmT1_PNSt15iterator_traitsISY_E10value_typeET2_T3_PNSZ_IS14_E10value_typeET4_jRbjT5_S1A_jjP12ihipStream_tbEUljE_EEESV_SW_SX_S14_S18_S1A_T6_T7_T9_mT8_S1C_bDpT10_ENKUlT_T0_E_clISt17integral_constantIbLb0EES1P_EEDaS1K_S1L_EUlS1K_E_NS1_11comp_targetILNS1_3genE3ELNS1_11target_archE908ELNS1_3gpuE7ELNS1_3repE0EEENS1_30default_config_static_selectorELNS0_4arch9wavefront6targetE0EEEvSY_
	.p2align	8
	.type	_ZN7rocprim17ROCPRIM_400000_NS6detail17trampoline_kernelINS0_13select_configILj256ELj13ELNS0_17block_load_methodE3ELS4_3ELS4_3ELNS0_20block_scan_algorithmE0ELj4294967295EEENS1_25partition_config_selectorILNS1_17partition_subalgoE3EjNS0_10empty_typeEbEEZZNS1_14partition_implILS8_3ELb0ES6_jNS0_17counting_iteratorIjlEEPS9_SE_NS0_5tupleIJPjSE_EEENSF_IJSE_SE_EEES9_SG_JZNS1_25segmented_radix_sort_implINS0_14default_configELb1EPKiPiPKlPlN2at6native12_GLOBAL__N_18offset_tEEE10hipError_tPvRmT1_PNSt15iterator_traitsISY_E10value_typeET2_T3_PNSZ_IS14_E10value_typeET4_jRbjT5_S1A_jjP12ihipStream_tbEUljE_EEESV_SW_SX_S14_S18_S1A_T6_T7_T9_mT8_S1C_bDpT10_ENKUlT_T0_E_clISt17integral_constantIbLb0EES1P_EEDaS1K_S1L_EUlS1K_E_NS1_11comp_targetILNS1_3genE3ELNS1_11target_archE908ELNS1_3gpuE7ELNS1_3repE0EEENS1_30default_config_static_selectorELNS0_4arch9wavefront6targetE0EEEvSY_,@function
_ZN7rocprim17ROCPRIM_400000_NS6detail17trampoline_kernelINS0_13select_configILj256ELj13ELNS0_17block_load_methodE3ELS4_3ELS4_3ELNS0_20block_scan_algorithmE0ELj4294967295EEENS1_25partition_config_selectorILNS1_17partition_subalgoE3EjNS0_10empty_typeEbEEZZNS1_14partition_implILS8_3ELb0ES6_jNS0_17counting_iteratorIjlEEPS9_SE_NS0_5tupleIJPjSE_EEENSF_IJSE_SE_EEES9_SG_JZNS1_25segmented_radix_sort_implINS0_14default_configELb1EPKiPiPKlPlN2at6native12_GLOBAL__N_18offset_tEEE10hipError_tPvRmT1_PNSt15iterator_traitsISY_E10value_typeET2_T3_PNSZ_IS14_E10value_typeET4_jRbjT5_S1A_jjP12ihipStream_tbEUljE_EEESV_SW_SX_S14_S18_S1A_T6_T7_T9_mT8_S1C_bDpT10_ENKUlT_T0_E_clISt17integral_constantIbLb0EES1P_EEDaS1K_S1L_EUlS1K_E_NS1_11comp_targetILNS1_3genE3ELNS1_11target_archE908ELNS1_3gpuE7ELNS1_3repE0EEENS1_30default_config_static_selectorELNS0_4arch9wavefront6targetE0EEEvSY_: ; @_ZN7rocprim17ROCPRIM_400000_NS6detail17trampoline_kernelINS0_13select_configILj256ELj13ELNS0_17block_load_methodE3ELS4_3ELS4_3ELNS0_20block_scan_algorithmE0ELj4294967295EEENS1_25partition_config_selectorILNS1_17partition_subalgoE3EjNS0_10empty_typeEbEEZZNS1_14partition_implILS8_3ELb0ES6_jNS0_17counting_iteratorIjlEEPS9_SE_NS0_5tupleIJPjSE_EEENSF_IJSE_SE_EEES9_SG_JZNS1_25segmented_radix_sort_implINS0_14default_configELb1EPKiPiPKlPlN2at6native12_GLOBAL__N_18offset_tEEE10hipError_tPvRmT1_PNSt15iterator_traitsISY_E10value_typeET2_T3_PNSZ_IS14_E10value_typeET4_jRbjT5_S1A_jjP12ihipStream_tbEUljE_EEESV_SW_SX_S14_S18_S1A_T6_T7_T9_mT8_S1C_bDpT10_ENKUlT_T0_E_clISt17integral_constantIbLb0EES1P_EEDaS1K_S1L_EUlS1K_E_NS1_11comp_targetILNS1_3genE3ELNS1_11target_archE908ELNS1_3gpuE7ELNS1_3repE0EEENS1_30default_config_static_selectorELNS0_4arch9wavefront6targetE0EEEvSY_
; %bb.0:
	.section	.rodata,"a",@progbits
	.p2align	6, 0x0
	.amdhsa_kernel _ZN7rocprim17ROCPRIM_400000_NS6detail17trampoline_kernelINS0_13select_configILj256ELj13ELNS0_17block_load_methodE3ELS4_3ELS4_3ELNS0_20block_scan_algorithmE0ELj4294967295EEENS1_25partition_config_selectorILNS1_17partition_subalgoE3EjNS0_10empty_typeEbEEZZNS1_14partition_implILS8_3ELb0ES6_jNS0_17counting_iteratorIjlEEPS9_SE_NS0_5tupleIJPjSE_EEENSF_IJSE_SE_EEES9_SG_JZNS1_25segmented_radix_sort_implINS0_14default_configELb1EPKiPiPKlPlN2at6native12_GLOBAL__N_18offset_tEEE10hipError_tPvRmT1_PNSt15iterator_traitsISY_E10value_typeET2_T3_PNSZ_IS14_E10value_typeET4_jRbjT5_S1A_jjP12ihipStream_tbEUljE_EEESV_SW_SX_S14_S18_S1A_T6_T7_T9_mT8_S1C_bDpT10_ENKUlT_T0_E_clISt17integral_constantIbLb0EES1P_EEDaS1K_S1L_EUlS1K_E_NS1_11comp_targetILNS1_3genE3ELNS1_11target_archE908ELNS1_3gpuE7ELNS1_3repE0EEENS1_30default_config_static_selectorELNS0_4arch9wavefront6targetE0EEEvSY_
		.amdhsa_group_segment_fixed_size 0
		.amdhsa_private_segment_fixed_size 0
		.amdhsa_kernarg_size 144
		.amdhsa_user_sgpr_count 2
		.amdhsa_user_sgpr_dispatch_ptr 0
		.amdhsa_user_sgpr_queue_ptr 0
		.amdhsa_user_sgpr_kernarg_segment_ptr 1
		.amdhsa_user_sgpr_dispatch_id 0
		.amdhsa_user_sgpr_kernarg_preload_length 0
		.amdhsa_user_sgpr_kernarg_preload_offset 0
		.amdhsa_user_sgpr_private_segment_size 0
		.amdhsa_wavefront_size32 1
		.amdhsa_uses_dynamic_stack 0
		.amdhsa_enable_private_segment 0
		.amdhsa_system_sgpr_workgroup_id_x 1
		.amdhsa_system_sgpr_workgroup_id_y 0
		.amdhsa_system_sgpr_workgroup_id_z 0
		.amdhsa_system_sgpr_workgroup_info 0
		.amdhsa_system_vgpr_workitem_id 0
		.amdhsa_next_free_vgpr 1
		.amdhsa_next_free_sgpr 1
		.amdhsa_named_barrier_count 0
		.amdhsa_reserve_vcc 0
		.amdhsa_float_round_mode_32 0
		.amdhsa_float_round_mode_16_64 0
		.amdhsa_float_denorm_mode_32 3
		.amdhsa_float_denorm_mode_16_64 3
		.amdhsa_fp16_overflow 0
		.amdhsa_memory_ordered 1
		.amdhsa_forward_progress 1
		.amdhsa_inst_pref_size 0
		.amdhsa_round_robin_scheduling 0
		.amdhsa_exception_fp_ieee_invalid_op 0
		.amdhsa_exception_fp_denorm_src 0
		.amdhsa_exception_fp_ieee_div_zero 0
		.amdhsa_exception_fp_ieee_overflow 0
		.amdhsa_exception_fp_ieee_underflow 0
		.amdhsa_exception_fp_ieee_inexact 0
		.amdhsa_exception_int_div_zero 0
	.end_amdhsa_kernel
	.section	.text._ZN7rocprim17ROCPRIM_400000_NS6detail17trampoline_kernelINS0_13select_configILj256ELj13ELNS0_17block_load_methodE3ELS4_3ELS4_3ELNS0_20block_scan_algorithmE0ELj4294967295EEENS1_25partition_config_selectorILNS1_17partition_subalgoE3EjNS0_10empty_typeEbEEZZNS1_14partition_implILS8_3ELb0ES6_jNS0_17counting_iteratorIjlEEPS9_SE_NS0_5tupleIJPjSE_EEENSF_IJSE_SE_EEES9_SG_JZNS1_25segmented_radix_sort_implINS0_14default_configELb1EPKiPiPKlPlN2at6native12_GLOBAL__N_18offset_tEEE10hipError_tPvRmT1_PNSt15iterator_traitsISY_E10value_typeET2_T3_PNSZ_IS14_E10value_typeET4_jRbjT5_S1A_jjP12ihipStream_tbEUljE_EEESV_SW_SX_S14_S18_S1A_T6_T7_T9_mT8_S1C_bDpT10_ENKUlT_T0_E_clISt17integral_constantIbLb0EES1P_EEDaS1K_S1L_EUlS1K_E_NS1_11comp_targetILNS1_3genE3ELNS1_11target_archE908ELNS1_3gpuE7ELNS1_3repE0EEENS1_30default_config_static_selectorELNS0_4arch9wavefront6targetE0EEEvSY_,"axG",@progbits,_ZN7rocprim17ROCPRIM_400000_NS6detail17trampoline_kernelINS0_13select_configILj256ELj13ELNS0_17block_load_methodE3ELS4_3ELS4_3ELNS0_20block_scan_algorithmE0ELj4294967295EEENS1_25partition_config_selectorILNS1_17partition_subalgoE3EjNS0_10empty_typeEbEEZZNS1_14partition_implILS8_3ELb0ES6_jNS0_17counting_iteratorIjlEEPS9_SE_NS0_5tupleIJPjSE_EEENSF_IJSE_SE_EEES9_SG_JZNS1_25segmented_radix_sort_implINS0_14default_configELb1EPKiPiPKlPlN2at6native12_GLOBAL__N_18offset_tEEE10hipError_tPvRmT1_PNSt15iterator_traitsISY_E10value_typeET2_T3_PNSZ_IS14_E10value_typeET4_jRbjT5_S1A_jjP12ihipStream_tbEUljE_EEESV_SW_SX_S14_S18_S1A_T6_T7_T9_mT8_S1C_bDpT10_ENKUlT_T0_E_clISt17integral_constantIbLb0EES1P_EEDaS1K_S1L_EUlS1K_E_NS1_11comp_targetILNS1_3genE3ELNS1_11target_archE908ELNS1_3gpuE7ELNS1_3repE0EEENS1_30default_config_static_selectorELNS0_4arch9wavefront6targetE0EEEvSY_,comdat
.Lfunc_end464:
	.size	_ZN7rocprim17ROCPRIM_400000_NS6detail17trampoline_kernelINS0_13select_configILj256ELj13ELNS0_17block_load_methodE3ELS4_3ELS4_3ELNS0_20block_scan_algorithmE0ELj4294967295EEENS1_25partition_config_selectorILNS1_17partition_subalgoE3EjNS0_10empty_typeEbEEZZNS1_14partition_implILS8_3ELb0ES6_jNS0_17counting_iteratorIjlEEPS9_SE_NS0_5tupleIJPjSE_EEENSF_IJSE_SE_EEES9_SG_JZNS1_25segmented_radix_sort_implINS0_14default_configELb1EPKiPiPKlPlN2at6native12_GLOBAL__N_18offset_tEEE10hipError_tPvRmT1_PNSt15iterator_traitsISY_E10value_typeET2_T3_PNSZ_IS14_E10value_typeET4_jRbjT5_S1A_jjP12ihipStream_tbEUljE_EEESV_SW_SX_S14_S18_S1A_T6_T7_T9_mT8_S1C_bDpT10_ENKUlT_T0_E_clISt17integral_constantIbLb0EES1P_EEDaS1K_S1L_EUlS1K_E_NS1_11comp_targetILNS1_3genE3ELNS1_11target_archE908ELNS1_3gpuE7ELNS1_3repE0EEENS1_30default_config_static_selectorELNS0_4arch9wavefront6targetE0EEEvSY_, .Lfunc_end464-_ZN7rocprim17ROCPRIM_400000_NS6detail17trampoline_kernelINS0_13select_configILj256ELj13ELNS0_17block_load_methodE3ELS4_3ELS4_3ELNS0_20block_scan_algorithmE0ELj4294967295EEENS1_25partition_config_selectorILNS1_17partition_subalgoE3EjNS0_10empty_typeEbEEZZNS1_14partition_implILS8_3ELb0ES6_jNS0_17counting_iteratorIjlEEPS9_SE_NS0_5tupleIJPjSE_EEENSF_IJSE_SE_EEES9_SG_JZNS1_25segmented_radix_sort_implINS0_14default_configELb1EPKiPiPKlPlN2at6native12_GLOBAL__N_18offset_tEEE10hipError_tPvRmT1_PNSt15iterator_traitsISY_E10value_typeET2_T3_PNSZ_IS14_E10value_typeET4_jRbjT5_S1A_jjP12ihipStream_tbEUljE_EEESV_SW_SX_S14_S18_S1A_T6_T7_T9_mT8_S1C_bDpT10_ENKUlT_T0_E_clISt17integral_constantIbLb0EES1P_EEDaS1K_S1L_EUlS1K_E_NS1_11comp_targetILNS1_3genE3ELNS1_11target_archE908ELNS1_3gpuE7ELNS1_3repE0EEENS1_30default_config_static_selectorELNS0_4arch9wavefront6targetE0EEEvSY_
                                        ; -- End function
	.set _ZN7rocprim17ROCPRIM_400000_NS6detail17trampoline_kernelINS0_13select_configILj256ELj13ELNS0_17block_load_methodE3ELS4_3ELS4_3ELNS0_20block_scan_algorithmE0ELj4294967295EEENS1_25partition_config_selectorILNS1_17partition_subalgoE3EjNS0_10empty_typeEbEEZZNS1_14partition_implILS8_3ELb0ES6_jNS0_17counting_iteratorIjlEEPS9_SE_NS0_5tupleIJPjSE_EEENSF_IJSE_SE_EEES9_SG_JZNS1_25segmented_radix_sort_implINS0_14default_configELb1EPKiPiPKlPlN2at6native12_GLOBAL__N_18offset_tEEE10hipError_tPvRmT1_PNSt15iterator_traitsISY_E10value_typeET2_T3_PNSZ_IS14_E10value_typeET4_jRbjT5_S1A_jjP12ihipStream_tbEUljE_EEESV_SW_SX_S14_S18_S1A_T6_T7_T9_mT8_S1C_bDpT10_ENKUlT_T0_E_clISt17integral_constantIbLb0EES1P_EEDaS1K_S1L_EUlS1K_E_NS1_11comp_targetILNS1_3genE3ELNS1_11target_archE908ELNS1_3gpuE7ELNS1_3repE0EEENS1_30default_config_static_selectorELNS0_4arch9wavefront6targetE0EEEvSY_.num_vgpr, 0
	.set _ZN7rocprim17ROCPRIM_400000_NS6detail17trampoline_kernelINS0_13select_configILj256ELj13ELNS0_17block_load_methodE3ELS4_3ELS4_3ELNS0_20block_scan_algorithmE0ELj4294967295EEENS1_25partition_config_selectorILNS1_17partition_subalgoE3EjNS0_10empty_typeEbEEZZNS1_14partition_implILS8_3ELb0ES6_jNS0_17counting_iteratorIjlEEPS9_SE_NS0_5tupleIJPjSE_EEENSF_IJSE_SE_EEES9_SG_JZNS1_25segmented_radix_sort_implINS0_14default_configELb1EPKiPiPKlPlN2at6native12_GLOBAL__N_18offset_tEEE10hipError_tPvRmT1_PNSt15iterator_traitsISY_E10value_typeET2_T3_PNSZ_IS14_E10value_typeET4_jRbjT5_S1A_jjP12ihipStream_tbEUljE_EEESV_SW_SX_S14_S18_S1A_T6_T7_T9_mT8_S1C_bDpT10_ENKUlT_T0_E_clISt17integral_constantIbLb0EES1P_EEDaS1K_S1L_EUlS1K_E_NS1_11comp_targetILNS1_3genE3ELNS1_11target_archE908ELNS1_3gpuE7ELNS1_3repE0EEENS1_30default_config_static_selectorELNS0_4arch9wavefront6targetE0EEEvSY_.num_agpr, 0
	.set _ZN7rocprim17ROCPRIM_400000_NS6detail17trampoline_kernelINS0_13select_configILj256ELj13ELNS0_17block_load_methodE3ELS4_3ELS4_3ELNS0_20block_scan_algorithmE0ELj4294967295EEENS1_25partition_config_selectorILNS1_17partition_subalgoE3EjNS0_10empty_typeEbEEZZNS1_14partition_implILS8_3ELb0ES6_jNS0_17counting_iteratorIjlEEPS9_SE_NS0_5tupleIJPjSE_EEENSF_IJSE_SE_EEES9_SG_JZNS1_25segmented_radix_sort_implINS0_14default_configELb1EPKiPiPKlPlN2at6native12_GLOBAL__N_18offset_tEEE10hipError_tPvRmT1_PNSt15iterator_traitsISY_E10value_typeET2_T3_PNSZ_IS14_E10value_typeET4_jRbjT5_S1A_jjP12ihipStream_tbEUljE_EEESV_SW_SX_S14_S18_S1A_T6_T7_T9_mT8_S1C_bDpT10_ENKUlT_T0_E_clISt17integral_constantIbLb0EES1P_EEDaS1K_S1L_EUlS1K_E_NS1_11comp_targetILNS1_3genE3ELNS1_11target_archE908ELNS1_3gpuE7ELNS1_3repE0EEENS1_30default_config_static_selectorELNS0_4arch9wavefront6targetE0EEEvSY_.numbered_sgpr, 0
	.set _ZN7rocprim17ROCPRIM_400000_NS6detail17trampoline_kernelINS0_13select_configILj256ELj13ELNS0_17block_load_methodE3ELS4_3ELS4_3ELNS0_20block_scan_algorithmE0ELj4294967295EEENS1_25partition_config_selectorILNS1_17partition_subalgoE3EjNS0_10empty_typeEbEEZZNS1_14partition_implILS8_3ELb0ES6_jNS0_17counting_iteratorIjlEEPS9_SE_NS0_5tupleIJPjSE_EEENSF_IJSE_SE_EEES9_SG_JZNS1_25segmented_radix_sort_implINS0_14default_configELb1EPKiPiPKlPlN2at6native12_GLOBAL__N_18offset_tEEE10hipError_tPvRmT1_PNSt15iterator_traitsISY_E10value_typeET2_T3_PNSZ_IS14_E10value_typeET4_jRbjT5_S1A_jjP12ihipStream_tbEUljE_EEESV_SW_SX_S14_S18_S1A_T6_T7_T9_mT8_S1C_bDpT10_ENKUlT_T0_E_clISt17integral_constantIbLb0EES1P_EEDaS1K_S1L_EUlS1K_E_NS1_11comp_targetILNS1_3genE3ELNS1_11target_archE908ELNS1_3gpuE7ELNS1_3repE0EEENS1_30default_config_static_selectorELNS0_4arch9wavefront6targetE0EEEvSY_.num_named_barrier, 0
	.set _ZN7rocprim17ROCPRIM_400000_NS6detail17trampoline_kernelINS0_13select_configILj256ELj13ELNS0_17block_load_methodE3ELS4_3ELS4_3ELNS0_20block_scan_algorithmE0ELj4294967295EEENS1_25partition_config_selectorILNS1_17partition_subalgoE3EjNS0_10empty_typeEbEEZZNS1_14partition_implILS8_3ELb0ES6_jNS0_17counting_iteratorIjlEEPS9_SE_NS0_5tupleIJPjSE_EEENSF_IJSE_SE_EEES9_SG_JZNS1_25segmented_radix_sort_implINS0_14default_configELb1EPKiPiPKlPlN2at6native12_GLOBAL__N_18offset_tEEE10hipError_tPvRmT1_PNSt15iterator_traitsISY_E10value_typeET2_T3_PNSZ_IS14_E10value_typeET4_jRbjT5_S1A_jjP12ihipStream_tbEUljE_EEESV_SW_SX_S14_S18_S1A_T6_T7_T9_mT8_S1C_bDpT10_ENKUlT_T0_E_clISt17integral_constantIbLb0EES1P_EEDaS1K_S1L_EUlS1K_E_NS1_11comp_targetILNS1_3genE3ELNS1_11target_archE908ELNS1_3gpuE7ELNS1_3repE0EEENS1_30default_config_static_selectorELNS0_4arch9wavefront6targetE0EEEvSY_.private_seg_size, 0
	.set _ZN7rocprim17ROCPRIM_400000_NS6detail17trampoline_kernelINS0_13select_configILj256ELj13ELNS0_17block_load_methodE3ELS4_3ELS4_3ELNS0_20block_scan_algorithmE0ELj4294967295EEENS1_25partition_config_selectorILNS1_17partition_subalgoE3EjNS0_10empty_typeEbEEZZNS1_14partition_implILS8_3ELb0ES6_jNS0_17counting_iteratorIjlEEPS9_SE_NS0_5tupleIJPjSE_EEENSF_IJSE_SE_EEES9_SG_JZNS1_25segmented_radix_sort_implINS0_14default_configELb1EPKiPiPKlPlN2at6native12_GLOBAL__N_18offset_tEEE10hipError_tPvRmT1_PNSt15iterator_traitsISY_E10value_typeET2_T3_PNSZ_IS14_E10value_typeET4_jRbjT5_S1A_jjP12ihipStream_tbEUljE_EEESV_SW_SX_S14_S18_S1A_T6_T7_T9_mT8_S1C_bDpT10_ENKUlT_T0_E_clISt17integral_constantIbLb0EES1P_EEDaS1K_S1L_EUlS1K_E_NS1_11comp_targetILNS1_3genE3ELNS1_11target_archE908ELNS1_3gpuE7ELNS1_3repE0EEENS1_30default_config_static_selectorELNS0_4arch9wavefront6targetE0EEEvSY_.uses_vcc, 0
	.set _ZN7rocprim17ROCPRIM_400000_NS6detail17trampoline_kernelINS0_13select_configILj256ELj13ELNS0_17block_load_methodE3ELS4_3ELS4_3ELNS0_20block_scan_algorithmE0ELj4294967295EEENS1_25partition_config_selectorILNS1_17partition_subalgoE3EjNS0_10empty_typeEbEEZZNS1_14partition_implILS8_3ELb0ES6_jNS0_17counting_iteratorIjlEEPS9_SE_NS0_5tupleIJPjSE_EEENSF_IJSE_SE_EEES9_SG_JZNS1_25segmented_radix_sort_implINS0_14default_configELb1EPKiPiPKlPlN2at6native12_GLOBAL__N_18offset_tEEE10hipError_tPvRmT1_PNSt15iterator_traitsISY_E10value_typeET2_T3_PNSZ_IS14_E10value_typeET4_jRbjT5_S1A_jjP12ihipStream_tbEUljE_EEESV_SW_SX_S14_S18_S1A_T6_T7_T9_mT8_S1C_bDpT10_ENKUlT_T0_E_clISt17integral_constantIbLb0EES1P_EEDaS1K_S1L_EUlS1K_E_NS1_11comp_targetILNS1_3genE3ELNS1_11target_archE908ELNS1_3gpuE7ELNS1_3repE0EEENS1_30default_config_static_selectorELNS0_4arch9wavefront6targetE0EEEvSY_.uses_flat_scratch, 0
	.set _ZN7rocprim17ROCPRIM_400000_NS6detail17trampoline_kernelINS0_13select_configILj256ELj13ELNS0_17block_load_methodE3ELS4_3ELS4_3ELNS0_20block_scan_algorithmE0ELj4294967295EEENS1_25partition_config_selectorILNS1_17partition_subalgoE3EjNS0_10empty_typeEbEEZZNS1_14partition_implILS8_3ELb0ES6_jNS0_17counting_iteratorIjlEEPS9_SE_NS0_5tupleIJPjSE_EEENSF_IJSE_SE_EEES9_SG_JZNS1_25segmented_radix_sort_implINS0_14default_configELb1EPKiPiPKlPlN2at6native12_GLOBAL__N_18offset_tEEE10hipError_tPvRmT1_PNSt15iterator_traitsISY_E10value_typeET2_T3_PNSZ_IS14_E10value_typeET4_jRbjT5_S1A_jjP12ihipStream_tbEUljE_EEESV_SW_SX_S14_S18_S1A_T6_T7_T9_mT8_S1C_bDpT10_ENKUlT_T0_E_clISt17integral_constantIbLb0EES1P_EEDaS1K_S1L_EUlS1K_E_NS1_11comp_targetILNS1_3genE3ELNS1_11target_archE908ELNS1_3gpuE7ELNS1_3repE0EEENS1_30default_config_static_selectorELNS0_4arch9wavefront6targetE0EEEvSY_.has_dyn_sized_stack, 0
	.set _ZN7rocprim17ROCPRIM_400000_NS6detail17trampoline_kernelINS0_13select_configILj256ELj13ELNS0_17block_load_methodE3ELS4_3ELS4_3ELNS0_20block_scan_algorithmE0ELj4294967295EEENS1_25partition_config_selectorILNS1_17partition_subalgoE3EjNS0_10empty_typeEbEEZZNS1_14partition_implILS8_3ELb0ES6_jNS0_17counting_iteratorIjlEEPS9_SE_NS0_5tupleIJPjSE_EEENSF_IJSE_SE_EEES9_SG_JZNS1_25segmented_radix_sort_implINS0_14default_configELb1EPKiPiPKlPlN2at6native12_GLOBAL__N_18offset_tEEE10hipError_tPvRmT1_PNSt15iterator_traitsISY_E10value_typeET2_T3_PNSZ_IS14_E10value_typeET4_jRbjT5_S1A_jjP12ihipStream_tbEUljE_EEESV_SW_SX_S14_S18_S1A_T6_T7_T9_mT8_S1C_bDpT10_ENKUlT_T0_E_clISt17integral_constantIbLb0EES1P_EEDaS1K_S1L_EUlS1K_E_NS1_11comp_targetILNS1_3genE3ELNS1_11target_archE908ELNS1_3gpuE7ELNS1_3repE0EEENS1_30default_config_static_selectorELNS0_4arch9wavefront6targetE0EEEvSY_.has_recursion, 0
	.set _ZN7rocprim17ROCPRIM_400000_NS6detail17trampoline_kernelINS0_13select_configILj256ELj13ELNS0_17block_load_methodE3ELS4_3ELS4_3ELNS0_20block_scan_algorithmE0ELj4294967295EEENS1_25partition_config_selectorILNS1_17partition_subalgoE3EjNS0_10empty_typeEbEEZZNS1_14partition_implILS8_3ELb0ES6_jNS0_17counting_iteratorIjlEEPS9_SE_NS0_5tupleIJPjSE_EEENSF_IJSE_SE_EEES9_SG_JZNS1_25segmented_radix_sort_implINS0_14default_configELb1EPKiPiPKlPlN2at6native12_GLOBAL__N_18offset_tEEE10hipError_tPvRmT1_PNSt15iterator_traitsISY_E10value_typeET2_T3_PNSZ_IS14_E10value_typeET4_jRbjT5_S1A_jjP12ihipStream_tbEUljE_EEESV_SW_SX_S14_S18_S1A_T6_T7_T9_mT8_S1C_bDpT10_ENKUlT_T0_E_clISt17integral_constantIbLb0EES1P_EEDaS1K_S1L_EUlS1K_E_NS1_11comp_targetILNS1_3genE3ELNS1_11target_archE908ELNS1_3gpuE7ELNS1_3repE0EEENS1_30default_config_static_selectorELNS0_4arch9wavefront6targetE0EEEvSY_.has_indirect_call, 0
	.section	.AMDGPU.csdata,"",@progbits
; Kernel info:
; codeLenInByte = 0
; TotalNumSgprs: 0
; NumVgprs: 0
; ScratchSize: 0
; MemoryBound: 0
; FloatMode: 240
; IeeeMode: 1
; LDSByteSize: 0 bytes/workgroup (compile time only)
; SGPRBlocks: 0
; VGPRBlocks: 0
; NumSGPRsForWavesPerEU: 1
; NumVGPRsForWavesPerEU: 1
; NamedBarCnt: 0
; Occupancy: 16
; WaveLimiterHint : 0
; COMPUTE_PGM_RSRC2:SCRATCH_EN: 0
; COMPUTE_PGM_RSRC2:USER_SGPR: 2
; COMPUTE_PGM_RSRC2:TRAP_HANDLER: 0
; COMPUTE_PGM_RSRC2:TGID_X_EN: 1
; COMPUTE_PGM_RSRC2:TGID_Y_EN: 0
; COMPUTE_PGM_RSRC2:TGID_Z_EN: 0
; COMPUTE_PGM_RSRC2:TIDIG_COMP_CNT: 0
	.section	.text._ZN7rocprim17ROCPRIM_400000_NS6detail17trampoline_kernelINS0_13select_configILj256ELj13ELNS0_17block_load_methodE3ELS4_3ELS4_3ELNS0_20block_scan_algorithmE0ELj4294967295EEENS1_25partition_config_selectorILNS1_17partition_subalgoE3EjNS0_10empty_typeEbEEZZNS1_14partition_implILS8_3ELb0ES6_jNS0_17counting_iteratorIjlEEPS9_SE_NS0_5tupleIJPjSE_EEENSF_IJSE_SE_EEES9_SG_JZNS1_25segmented_radix_sort_implINS0_14default_configELb1EPKiPiPKlPlN2at6native12_GLOBAL__N_18offset_tEEE10hipError_tPvRmT1_PNSt15iterator_traitsISY_E10value_typeET2_T3_PNSZ_IS14_E10value_typeET4_jRbjT5_S1A_jjP12ihipStream_tbEUljE_EEESV_SW_SX_S14_S18_S1A_T6_T7_T9_mT8_S1C_bDpT10_ENKUlT_T0_E_clISt17integral_constantIbLb0EES1P_EEDaS1K_S1L_EUlS1K_E_NS1_11comp_targetILNS1_3genE2ELNS1_11target_archE906ELNS1_3gpuE6ELNS1_3repE0EEENS1_30default_config_static_selectorELNS0_4arch9wavefront6targetE0EEEvSY_,"axG",@progbits,_ZN7rocprim17ROCPRIM_400000_NS6detail17trampoline_kernelINS0_13select_configILj256ELj13ELNS0_17block_load_methodE3ELS4_3ELS4_3ELNS0_20block_scan_algorithmE0ELj4294967295EEENS1_25partition_config_selectorILNS1_17partition_subalgoE3EjNS0_10empty_typeEbEEZZNS1_14partition_implILS8_3ELb0ES6_jNS0_17counting_iteratorIjlEEPS9_SE_NS0_5tupleIJPjSE_EEENSF_IJSE_SE_EEES9_SG_JZNS1_25segmented_radix_sort_implINS0_14default_configELb1EPKiPiPKlPlN2at6native12_GLOBAL__N_18offset_tEEE10hipError_tPvRmT1_PNSt15iterator_traitsISY_E10value_typeET2_T3_PNSZ_IS14_E10value_typeET4_jRbjT5_S1A_jjP12ihipStream_tbEUljE_EEESV_SW_SX_S14_S18_S1A_T6_T7_T9_mT8_S1C_bDpT10_ENKUlT_T0_E_clISt17integral_constantIbLb0EES1P_EEDaS1K_S1L_EUlS1K_E_NS1_11comp_targetILNS1_3genE2ELNS1_11target_archE906ELNS1_3gpuE6ELNS1_3repE0EEENS1_30default_config_static_selectorELNS0_4arch9wavefront6targetE0EEEvSY_,comdat
	.globl	_ZN7rocprim17ROCPRIM_400000_NS6detail17trampoline_kernelINS0_13select_configILj256ELj13ELNS0_17block_load_methodE3ELS4_3ELS4_3ELNS0_20block_scan_algorithmE0ELj4294967295EEENS1_25partition_config_selectorILNS1_17partition_subalgoE3EjNS0_10empty_typeEbEEZZNS1_14partition_implILS8_3ELb0ES6_jNS0_17counting_iteratorIjlEEPS9_SE_NS0_5tupleIJPjSE_EEENSF_IJSE_SE_EEES9_SG_JZNS1_25segmented_radix_sort_implINS0_14default_configELb1EPKiPiPKlPlN2at6native12_GLOBAL__N_18offset_tEEE10hipError_tPvRmT1_PNSt15iterator_traitsISY_E10value_typeET2_T3_PNSZ_IS14_E10value_typeET4_jRbjT5_S1A_jjP12ihipStream_tbEUljE_EEESV_SW_SX_S14_S18_S1A_T6_T7_T9_mT8_S1C_bDpT10_ENKUlT_T0_E_clISt17integral_constantIbLb0EES1P_EEDaS1K_S1L_EUlS1K_E_NS1_11comp_targetILNS1_3genE2ELNS1_11target_archE906ELNS1_3gpuE6ELNS1_3repE0EEENS1_30default_config_static_selectorELNS0_4arch9wavefront6targetE0EEEvSY_ ; -- Begin function _ZN7rocprim17ROCPRIM_400000_NS6detail17trampoline_kernelINS0_13select_configILj256ELj13ELNS0_17block_load_methodE3ELS4_3ELS4_3ELNS0_20block_scan_algorithmE0ELj4294967295EEENS1_25partition_config_selectorILNS1_17partition_subalgoE3EjNS0_10empty_typeEbEEZZNS1_14partition_implILS8_3ELb0ES6_jNS0_17counting_iteratorIjlEEPS9_SE_NS0_5tupleIJPjSE_EEENSF_IJSE_SE_EEES9_SG_JZNS1_25segmented_radix_sort_implINS0_14default_configELb1EPKiPiPKlPlN2at6native12_GLOBAL__N_18offset_tEEE10hipError_tPvRmT1_PNSt15iterator_traitsISY_E10value_typeET2_T3_PNSZ_IS14_E10value_typeET4_jRbjT5_S1A_jjP12ihipStream_tbEUljE_EEESV_SW_SX_S14_S18_S1A_T6_T7_T9_mT8_S1C_bDpT10_ENKUlT_T0_E_clISt17integral_constantIbLb0EES1P_EEDaS1K_S1L_EUlS1K_E_NS1_11comp_targetILNS1_3genE2ELNS1_11target_archE906ELNS1_3gpuE6ELNS1_3repE0EEENS1_30default_config_static_selectorELNS0_4arch9wavefront6targetE0EEEvSY_
	.p2align	8
	.type	_ZN7rocprim17ROCPRIM_400000_NS6detail17trampoline_kernelINS0_13select_configILj256ELj13ELNS0_17block_load_methodE3ELS4_3ELS4_3ELNS0_20block_scan_algorithmE0ELj4294967295EEENS1_25partition_config_selectorILNS1_17partition_subalgoE3EjNS0_10empty_typeEbEEZZNS1_14partition_implILS8_3ELb0ES6_jNS0_17counting_iteratorIjlEEPS9_SE_NS0_5tupleIJPjSE_EEENSF_IJSE_SE_EEES9_SG_JZNS1_25segmented_radix_sort_implINS0_14default_configELb1EPKiPiPKlPlN2at6native12_GLOBAL__N_18offset_tEEE10hipError_tPvRmT1_PNSt15iterator_traitsISY_E10value_typeET2_T3_PNSZ_IS14_E10value_typeET4_jRbjT5_S1A_jjP12ihipStream_tbEUljE_EEESV_SW_SX_S14_S18_S1A_T6_T7_T9_mT8_S1C_bDpT10_ENKUlT_T0_E_clISt17integral_constantIbLb0EES1P_EEDaS1K_S1L_EUlS1K_E_NS1_11comp_targetILNS1_3genE2ELNS1_11target_archE906ELNS1_3gpuE6ELNS1_3repE0EEENS1_30default_config_static_selectorELNS0_4arch9wavefront6targetE0EEEvSY_,@function
_ZN7rocprim17ROCPRIM_400000_NS6detail17trampoline_kernelINS0_13select_configILj256ELj13ELNS0_17block_load_methodE3ELS4_3ELS4_3ELNS0_20block_scan_algorithmE0ELj4294967295EEENS1_25partition_config_selectorILNS1_17partition_subalgoE3EjNS0_10empty_typeEbEEZZNS1_14partition_implILS8_3ELb0ES6_jNS0_17counting_iteratorIjlEEPS9_SE_NS0_5tupleIJPjSE_EEENSF_IJSE_SE_EEES9_SG_JZNS1_25segmented_radix_sort_implINS0_14default_configELb1EPKiPiPKlPlN2at6native12_GLOBAL__N_18offset_tEEE10hipError_tPvRmT1_PNSt15iterator_traitsISY_E10value_typeET2_T3_PNSZ_IS14_E10value_typeET4_jRbjT5_S1A_jjP12ihipStream_tbEUljE_EEESV_SW_SX_S14_S18_S1A_T6_T7_T9_mT8_S1C_bDpT10_ENKUlT_T0_E_clISt17integral_constantIbLb0EES1P_EEDaS1K_S1L_EUlS1K_E_NS1_11comp_targetILNS1_3genE2ELNS1_11target_archE906ELNS1_3gpuE6ELNS1_3repE0EEENS1_30default_config_static_selectorELNS0_4arch9wavefront6targetE0EEEvSY_: ; @_ZN7rocprim17ROCPRIM_400000_NS6detail17trampoline_kernelINS0_13select_configILj256ELj13ELNS0_17block_load_methodE3ELS4_3ELS4_3ELNS0_20block_scan_algorithmE0ELj4294967295EEENS1_25partition_config_selectorILNS1_17partition_subalgoE3EjNS0_10empty_typeEbEEZZNS1_14partition_implILS8_3ELb0ES6_jNS0_17counting_iteratorIjlEEPS9_SE_NS0_5tupleIJPjSE_EEENSF_IJSE_SE_EEES9_SG_JZNS1_25segmented_radix_sort_implINS0_14default_configELb1EPKiPiPKlPlN2at6native12_GLOBAL__N_18offset_tEEE10hipError_tPvRmT1_PNSt15iterator_traitsISY_E10value_typeET2_T3_PNSZ_IS14_E10value_typeET4_jRbjT5_S1A_jjP12ihipStream_tbEUljE_EEESV_SW_SX_S14_S18_S1A_T6_T7_T9_mT8_S1C_bDpT10_ENKUlT_T0_E_clISt17integral_constantIbLb0EES1P_EEDaS1K_S1L_EUlS1K_E_NS1_11comp_targetILNS1_3genE2ELNS1_11target_archE906ELNS1_3gpuE6ELNS1_3repE0EEENS1_30default_config_static_selectorELNS0_4arch9wavefront6targetE0EEEvSY_
; %bb.0:
	.section	.rodata,"a",@progbits
	.p2align	6, 0x0
	.amdhsa_kernel _ZN7rocprim17ROCPRIM_400000_NS6detail17trampoline_kernelINS0_13select_configILj256ELj13ELNS0_17block_load_methodE3ELS4_3ELS4_3ELNS0_20block_scan_algorithmE0ELj4294967295EEENS1_25partition_config_selectorILNS1_17partition_subalgoE3EjNS0_10empty_typeEbEEZZNS1_14partition_implILS8_3ELb0ES6_jNS0_17counting_iteratorIjlEEPS9_SE_NS0_5tupleIJPjSE_EEENSF_IJSE_SE_EEES9_SG_JZNS1_25segmented_radix_sort_implINS0_14default_configELb1EPKiPiPKlPlN2at6native12_GLOBAL__N_18offset_tEEE10hipError_tPvRmT1_PNSt15iterator_traitsISY_E10value_typeET2_T3_PNSZ_IS14_E10value_typeET4_jRbjT5_S1A_jjP12ihipStream_tbEUljE_EEESV_SW_SX_S14_S18_S1A_T6_T7_T9_mT8_S1C_bDpT10_ENKUlT_T0_E_clISt17integral_constantIbLb0EES1P_EEDaS1K_S1L_EUlS1K_E_NS1_11comp_targetILNS1_3genE2ELNS1_11target_archE906ELNS1_3gpuE6ELNS1_3repE0EEENS1_30default_config_static_selectorELNS0_4arch9wavefront6targetE0EEEvSY_
		.amdhsa_group_segment_fixed_size 0
		.amdhsa_private_segment_fixed_size 0
		.amdhsa_kernarg_size 144
		.amdhsa_user_sgpr_count 2
		.amdhsa_user_sgpr_dispatch_ptr 0
		.amdhsa_user_sgpr_queue_ptr 0
		.amdhsa_user_sgpr_kernarg_segment_ptr 1
		.amdhsa_user_sgpr_dispatch_id 0
		.amdhsa_user_sgpr_kernarg_preload_length 0
		.amdhsa_user_sgpr_kernarg_preload_offset 0
		.amdhsa_user_sgpr_private_segment_size 0
		.amdhsa_wavefront_size32 1
		.amdhsa_uses_dynamic_stack 0
		.amdhsa_enable_private_segment 0
		.amdhsa_system_sgpr_workgroup_id_x 1
		.amdhsa_system_sgpr_workgroup_id_y 0
		.amdhsa_system_sgpr_workgroup_id_z 0
		.amdhsa_system_sgpr_workgroup_info 0
		.amdhsa_system_vgpr_workitem_id 0
		.amdhsa_next_free_vgpr 1
		.amdhsa_next_free_sgpr 1
		.amdhsa_named_barrier_count 0
		.amdhsa_reserve_vcc 0
		.amdhsa_float_round_mode_32 0
		.amdhsa_float_round_mode_16_64 0
		.amdhsa_float_denorm_mode_32 3
		.amdhsa_float_denorm_mode_16_64 3
		.amdhsa_fp16_overflow 0
		.amdhsa_memory_ordered 1
		.amdhsa_forward_progress 1
		.amdhsa_inst_pref_size 0
		.amdhsa_round_robin_scheduling 0
		.amdhsa_exception_fp_ieee_invalid_op 0
		.amdhsa_exception_fp_denorm_src 0
		.amdhsa_exception_fp_ieee_div_zero 0
		.amdhsa_exception_fp_ieee_overflow 0
		.amdhsa_exception_fp_ieee_underflow 0
		.amdhsa_exception_fp_ieee_inexact 0
		.amdhsa_exception_int_div_zero 0
	.end_amdhsa_kernel
	.section	.text._ZN7rocprim17ROCPRIM_400000_NS6detail17trampoline_kernelINS0_13select_configILj256ELj13ELNS0_17block_load_methodE3ELS4_3ELS4_3ELNS0_20block_scan_algorithmE0ELj4294967295EEENS1_25partition_config_selectorILNS1_17partition_subalgoE3EjNS0_10empty_typeEbEEZZNS1_14partition_implILS8_3ELb0ES6_jNS0_17counting_iteratorIjlEEPS9_SE_NS0_5tupleIJPjSE_EEENSF_IJSE_SE_EEES9_SG_JZNS1_25segmented_radix_sort_implINS0_14default_configELb1EPKiPiPKlPlN2at6native12_GLOBAL__N_18offset_tEEE10hipError_tPvRmT1_PNSt15iterator_traitsISY_E10value_typeET2_T3_PNSZ_IS14_E10value_typeET4_jRbjT5_S1A_jjP12ihipStream_tbEUljE_EEESV_SW_SX_S14_S18_S1A_T6_T7_T9_mT8_S1C_bDpT10_ENKUlT_T0_E_clISt17integral_constantIbLb0EES1P_EEDaS1K_S1L_EUlS1K_E_NS1_11comp_targetILNS1_3genE2ELNS1_11target_archE906ELNS1_3gpuE6ELNS1_3repE0EEENS1_30default_config_static_selectorELNS0_4arch9wavefront6targetE0EEEvSY_,"axG",@progbits,_ZN7rocprim17ROCPRIM_400000_NS6detail17trampoline_kernelINS0_13select_configILj256ELj13ELNS0_17block_load_methodE3ELS4_3ELS4_3ELNS0_20block_scan_algorithmE0ELj4294967295EEENS1_25partition_config_selectorILNS1_17partition_subalgoE3EjNS0_10empty_typeEbEEZZNS1_14partition_implILS8_3ELb0ES6_jNS0_17counting_iteratorIjlEEPS9_SE_NS0_5tupleIJPjSE_EEENSF_IJSE_SE_EEES9_SG_JZNS1_25segmented_radix_sort_implINS0_14default_configELb1EPKiPiPKlPlN2at6native12_GLOBAL__N_18offset_tEEE10hipError_tPvRmT1_PNSt15iterator_traitsISY_E10value_typeET2_T3_PNSZ_IS14_E10value_typeET4_jRbjT5_S1A_jjP12ihipStream_tbEUljE_EEESV_SW_SX_S14_S18_S1A_T6_T7_T9_mT8_S1C_bDpT10_ENKUlT_T0_E_clISt17integral_constantIbLb0EES1P_EEDaS1K_S1L_EUlS1K_E_NS1_11comp_targetILNS1_3genE2ELNS1_11target_archE906ELNS1_3gpuE6ELNS1_3repE0EEENS1_30default_config_static_selectorELNS0_4arch9wavefront6targetE0EEEvSY_,comdat
.Lfunc_end465:
	.size	_ZN7rocprim17ROCPRIM_400000_NS6detail17trampoline_kernelINS0_13select_configILj256ELj13ELNS0_17block_load_methodE3ELS4_3ELS4_3ELNS0_20block_scan_algorithmE0ELj4294967295EEENS1_25partition_config_selectorILNS1_17partition_subalgoE3EjNS0_10empty_typeEbEEZZNS1_14partition_implILS8_3ELb0ES6_jNS0_17counting_iteratorIjlEEPS9_SE_NS0_5tupleIJPjSE_EEENSF_IJSE_SE_EEES9_SG_JZNS1_25segmented_radix_sort_implINS0_14default_configELb1EPKiPiPKlPlN2at6native12_GLOBAL__N_18offset_tEEE10hipError_tPvRmT1_PNSt15iterator_traitsISY_E10value_typeET2_T3_PNSZ_IS14_E10value_typeET4_jRbjT5_S1A_jjP12ihipStream_tbEUljE_EEESV_SW_SX_S14_S18_S1A_T6_T7_T9_mT8_S1C_bDpT10_ENKUlT_T0_E_clISt17integral_constantIbLb0EES1P_EEDaS1K_S1L_EUlS1K_E_NS1_11comp_targetILNS1_3genE2ELNS1_11target_archE906ELNS1_3gpuE6ELNS1_3repE0EEENS1_30default_config_static_selectorELNS0_4arch9wavefront6targetE0EEEvSY_, .Lfunc_end465-_ZN7rocprim17ROCPRIM_400000_NS6detail17trampoline_kernelINS0_13select_configILj256ELj13ELNS0_17block_load_methodE3ELS4_3ELS4_3ELNS0_20block_scan_algorithmE0ELj4294967295EEENS1_25partition_config_selectorILNS1_17partition_subalgoE3EjNS0_10empty_typeEbEEZZNS1_14partition_implILS8_3ELb0ES6_jNS0_17counting_iteratorIjlEEPS9_SE_NS0_5tupleIJPjSE_EEENSF_IJSE_SE_EEES9_SG_JZNS1_25segmented_radix_sort_implINS0_14default_configELb1EPKiPiPKlPlN2at6native12_GLOBAL__N_18offset_tEEE10hipError_tPvRmT1_PNSt15iterator_traitsISY_E10value_typeET2_T3_PNSZ_IS14_E10value_typeET4_jRbjT5_S1A_jjP12ihipStream_tbEUljE_EEESV_SW_SX_S14_S18_S1A_T6_T7_T9_mT8_S1C_bDpT10_ENKUlT_T0_E_clISt17integral_constantIbLb0EES1P_EEDaS1K_S1L_EUlS1K_E_NS1_11comp_targetILNS1_3genE2ELNS1_11target_archE906ELNS1_3gpuE6ELNS1_3repE0EEENS1_30default_config_static_selectorELNS0_4arch9wavefront6targetE0EEEvSY_
                                        ; -- End function
	.set _ZN7rocprim17ROCPRIM_400000_NS6detail17trampoline_kernelINS0_13select_configILj256ELj13ELNS0_17block_load_methodE3ELS4_3ELS4_3ELNS0_20block_scan_algorithmE0ELj4294967295EEENS1_25partition_config_selectorILNS1_17partition_subalgoE3EjNS0_10empty_typeEbEEZZNS1_14partition_implILS8_3ELb0ES6_jNS0_17counting_iteratorIjlEEPS9_SE_NS0_5tupleIJPjSE_EEENSF_IJSE_SE_EEES9_SG_JZNS1_25segmented_radix_sort_implINS0_14default_configELb1EPKiPiPKlPlN2at6native12_GLOBAL__N_18offset_tEEE10hipError_tPvRmT1_PNSt15iterator_traitsISY_E10value_typeET2_T3_PNSZ_IS14_E10value_typeET4_jRbjT5_S1A_jjP12ihipStream_tbEUljE_EEESV_SW_SX_S14_S18_S1A_T6_T7_T9_mT8_S1C_bDpT10_ENKUlT_T0_E_clISt17integral_constantIbLb0EES1P_EEDaS1K_S1L_EUlS1K_E_NS1_11comp_targetILNS1_3genE2ELNS1_11target_archE906ELNS1_3gpuE6ELNS1_3repE0EEENS1_30default_config_static_selectorELNS0_4arch9wavefront6targetE0EEEvSY_.num_vgpr, 0
	.set _ZN7rocprim17ROCPRIM_400000_NS6detail17trampoline_kernelINS0_13select_configILj256ELj13ELNS0_17block_load_methodE3ELS4_3ELS4_3ELNS0_20block_scan_algorithmE0ELj4294967295EEENS1_25partition_config_selectorILNS1_17partition_subalgoE3EjNS0_10empty_typeEbEEZZNS1_14partition_implILS8_3ELb0ES6_jNS0_17counting_iteratorIjlEEPS9_SE_NS0_5tupleIJPjSE_EEENSF_IJSE_SE_EEES9_SG_JZNS1_25segmented_radix_sort_implINS0_14default_configELb1EPKiPiPKlPlN2at6native12_GLOBAL__N_18offset_tEEE10hipError_tPvRmT1_PNSt15iterator_traitsISY_E10value_typeET2_T3_PNSZ_IS14_E10value_typeET4_jRbjT5_S1A_jjP12ihipStream_tbEUljE_EEESV_SW_SX_S14_S18_S1A_T6_T7_T9_mT8_S1C_bDpT10_ENKUlT_T0_E_clISt17integral_constantIbLb0EES1P_EEDaS1K_S1L_EUlS1K_E_NS1_11comp_targetILNS1_3genE2ELNS1_11target_archE906ELNS1_3gpuE6ELNS1_3repE0EEENS1_30default_config_static_selectorELNS0_4arch9wavefront6targetE0EEEvSY_.num_agpr, 0
	.set _ZN7rocprim17ROCPRIM_400000_NS6detail17trampoline_kernelINS0_13select_configILj256ELj13ELNS0_17block_load_methodE3ELS4_3ELS4_3ELNS0_20block_scan_algorithmE0ELj4294967295EEENS1_25partition_config_selectorILNS1_17partition_subalgoE3EjNS0_10empty_typeEbEEZZNS1_14partition_implILS8_3ELb0ES6_jNS0_17counting_iteratorIjlEEPS9_SE_NS0_5tupleIJPjSE_EEENSF_IJSE_SE_EEES9_SG_JZNS1_25segmented_radix_sort_implINS0_14default_configELb1EPKiPiPKlPlN2at6native12_GLOBAL__N_18offset_tEEE10hipError_tPvRmT1_PNSt15iterator_traitsISY_E10value_typeET2_T3_PNSZ_IS14_E10value_typeET4_jRbjT5_S1A_jjP12ihipStream_tbEUljE_EEESV_SW_SX_S14_S18_S1A_T6_T7_T9_mT8_S1C_bDpT10_ENKUlT_T0_E_clISt17integral_constantIbLb0EES1P_EEDaS1K_S1L_EUlS1K_E_NS1_11comp_targetILNS1_3genE2ELNS1_11target_archE906ELNS1_3gpuE6ELNS1_3repE0EEENS1_30default_config_static_selectorELNS0_4arch9wavefront6targetE0EEEvSY_.numbered_sgpr, 0
	.set _ZN7rocprim17ROCPRIM_400000_NS6detail17trampoline_kernelINS0_13select_configILj256ELj13ELNS0_17block_load_methodE3ELS4_3ELS4_3ELNS0_20block_scan_algorithmE0ELj4294967295EEENS1_25partition_config_selectorILNS1_17partition_subalgoE3EjNS0_10empty_typeEbEEZZNS1_14partition_implILS8_3ELb0ES6_jNS0_17counting_iteratorIjlEEPS9_SE_NS0_5tupleIJPjSE_EEENSF_IJSE_SE_EEES9_SG_JZNS1_25segmented_radix_sort_implINS0_14default_configELb1EPKiPiPKlPlN2at6native12_GLOBAL__N_18offset_tEEE10hipError_tPvRmT1_PNSt15iterator_traitsISY_E10value_typeET2_T3_PNSZ_IS14_E10value_typeET4_jRbjT5_S1A_jjP12ihipStream_tbEUljE_EEESV_SW_SX_S14_S18_S1A_T6_T7_T9_mT8_S1C_bDpT10_ENKUlT_T0_E_clISt17integral_constantIbLb0EES1P_EEDaS1K_S1L_EUlS1K_E_NS1_11comp_targetILNS1_3genE2ELNS1_11target_archE906ELNS1_3gpuE6ELNS1_3repE0EEENS1_30default_config_static_selectorELNS0_4arch9wavefront6targetE0EEEvSY_.num_named_barrier, 0
	.set _ZN7rocprim17ROCPRIM_400000_NS6detail17trampoline_kernelINS0_13select_configILj256ELj13ELNS0_17block_load_methodE3ELS4_3ELS4_3ELNS0_20block_scan_algorithmE0ELj4294967295EEENS1_25partition_config_selectorILNS1_17partition_subalgoE3EjNS0_10empty_typeEbEEZZNS1_14partition_implILS8_3ELb0ES6_jNS0_17counting_iteratorIjlEEPS9_SE_NS0_5tupleIJPjSE_EEENSF_IJSE_SE_EEES9_SG_JZNS1_25segmented_radix_sort_implINS0_14default_configELb1EPKiPiPKlPlN2at6native12_GLOBAL__N_18offset_tEEE10hipError_tPvRmT1_PNSt15iterator_traitsISY_E10value_typeET2_T3_PNSZ_IS14_E10value_typeET4_jRbjT5_S1A_jjP12ihipStream_tbEUljE_EEESV_SW_SX_S14_S18_S1A_T6_T7_T9_mT8_S1C_bDpT10_ENKUlT_T0_E_clISt17integral_constantIbLb0EES1P_EEDaS1K_S1L_EUlS1K_E_NS1_11comp_targetILNS1_3genE2ELNS1_11target_archE906ELNS1_3gpuE6ELNS1_3repE0EEENS1_30default_config_static_selectorELNS0_4arch9wavefront6targetE0EEEvSY_.private_seg_size, 0
	.set _ZN7rocprim17ROCPRIM_400000_NS6detail17trampoline_kernelINS0_13select_configILj256ELj13ELNS0_17block_load_methodE3ELS4_3ELS4_3ELNS0_20block_scan_algorithmE0ELj4294967295EEENS1_25partition_config_selectorILNS1_17partition_subalgoE3EjNS0_10empty_typeEbEEZZNS1_14partition_implILS8_3ELb0ES6_jNS0_17counting_iteratorIjlEEPS9_SE_NS0_5tupleIJPjSE_EEENSF_IJSE_SE_EEES9_SG_JZNS1_25segmented_radix_sort_implINS0_14default_configELb1EPKiPiPKlPlN2at6native12_GLOBAL__N_18offset_tEEE10hipError_tPvRmT1_PNSt15iterator_traitsISY_E10value_typeET2_T3_PNSZ_IS14_E10value_typeET4_jRbjT5_S1A_jjP12ihipStream_tbEUljE_EEESV_SW_SX_S14_S18_S1A_T6_T7_T9_mT8_S1C_bDpT10_ENKUlT_T0_E_clISt17integral_constantIbLb0EES1P_EEDaS1K_S1L_EUlS1K_E_NS1_11comp_targetILNS1_3genE2ELNS1_11target_archE906ELNS1_3gpuE6ELNS1_3repE0EEENS1_30default_config_static_selectorELNS0_4arch9wavefront6targetE0EEEvSY_.uses_vcc, 0
	.set _ZN7rocprim17ROCPRIM_400000_NS6detail17trampoline_kernelINS0_13select_configILj256ELj13ELNS0_17block_load_methodE3ELS4_3ELS4_3ELNS0_20block_scan_algorithmE0ELj4294967295EEENS1_25partition_config_selectorILNS1_17partition_subalgoE3EjNS0_10empty_typeEbEEZZNS1_14partition_implILS8_3ELb0ES6_jNS0_17counting_iteratorIjlEEPS9_SE_NS0_5tupleIJPjSE_EEENSF_IJSE_SE_EEES9_SG_JZNS1_25segmented_radix_sort_implINS0_14default_configELb1EPKiPiPKlPlN2at6native12_GLOBAL__N_18offset_tEEE10hipError_tPvRmT1_PNSt15iterator_traitsISY_E10value_typeET2_T3_PNSZ_IS14_E10value_typeET4_jRbjT5_S1A_jjP12ihipStream_tbEUljE_EEESV_SW_SX_S14_S18_S1A_T6_T7_T9_mT8_S1C_bDpT10_ENKUlT_T0_E_clISt17integral_constantIbLb0EES1P_EEDaS1K_S1L_EUlS1K_E_NS1_11comp_targetILNS1_3genE2ELNS1_11target_archE906ELNS1_3gpuE6ELNS1_3repE0EEENS1_30default_config_static_selectorELNS0_4arch9wavefront6targetE0EEEvSY_.uses_flat_scratch, 0
	.set _ZN7rocprim17ROCPRIM_400000_NS6detail17trampoline_kernelINS0_13select_configILj256ELj13ELNS0_17block_load_methodE3ELS4_3ELS4_3ELNS0_20block_scan_algorithmE0ELj4294967295EEENS1_25partition_config_selectorILNS1_17partition_subalgoE3EjNS0_10empty_typeEbEEZZNS1_14partition_implILS8_3ELb0ES6_jNS0_17counting_iteratorIjlEEPS9_SE_NS0_5tupleIJPjSE_EEENSF_IJSE_SE_EEES9_SG_JZNS1_25segmented_radix_sort_implINS0_14default_configELb1EPKiPiPKlPlN2at6native12_GLOBAL__N_18offset_tEEE10hipError_tPvRmT1_PNSt15iterator_traitsISY_E10value_typeET2_T3_PNSZ_IS14_E10value_typeET4_jRbjT5_S1A_jjP12ihipStream_tbEUljE_EEESV_SW_SX_S14_S18_S1A_T6_T7_T9_mT8_S1C_bDpT10_ENKUlT_T0_E_clISt17integral_constantIbLb0EES1P_EEDaS1K_S1L_EUlS1K_E_NS1_11comp_targetILNS1_3genE2ELNS1_11target_archE906ELNS1_3gpuE6ELNS1_3repE0EEENS1_30default_config_static_selectorELNS0_4arch9wavefront6targetE0EEEvSY_.has_dyn_sized_stack, 0
	.set _ZN7rocprim17ROCPRIM_400000_NS6detail17trampoline_kernelINS0_13select_configILj256ELj13ELNS0_17block_load_methodE3ELS4_3ELS4_3ELNS0_20block_scan_algorithmE0ELj4294967295EEENS1_25partition_config_selectorILNS1_17partition_subalgoE3EjNS0_10empty_typeEbEEZZNS1_14partition_implILS8_3ELb0ES6_jNS0_17counting_iteratorIjlEEPS9_SE_NS0_5tupleIJPjSE_EEENSF_IJSE_SE_EEES9_SG_JZNS1_25segmented_radix_sort_implINS0_14default_configELb1EPKiPiPKlPlN2at6native12_GLOBAL__N_18offset_tEEE10hipError_tPvRmT1_PNSt15iterator_traitsISY_E10value_typeET2_T3_PNSZ_IS14_E10value_typeET4_jRbjT5_S1A_jjP12ihipStream_tbEUljE_EEESV_SW_SX_S14_S18_S1A_T6_T7_T9_mT8_S1C_bDpT10_ENKUlT_T0_E_clISt17integral_constantIbLb0EES1P_EEDaS1K_S1L_EUlS1K_E_NS1_11comp_targetILNS1_3genE2ELNS1_11target_archE906ELNS1_3gpuE6ELNS1_3repE0EEENS1_30default_config_static_selectorELNS0_4arch9wavefront6targetE0EEEvSY_.has_recursion, 0
	.set _ZN7rocprim17ROCPRIM_400000_NS6detail17trampoline_kernelINS0_13select_configILj256ELj13ELNS0_17block_load_methodE3ELS4_3ELS4_3ELNS0_20block_scan_algorithmE0ELj4294967295EEENS1_25partition_config_selectorILNS1_17partition_subalgoE3EjNS0_10empty_typeEbEEZZNS1_14partition_implILS8_3ELb0ES6_jNS0_17counting_iteratorIjlEEPS9_SE_NS0_5tupleIJPjSE_EEENSF_IJSE_SE_EEES9_SG_JZNS1_25segmented_radix_sort_implINS0_14default_configELb1EPKiPiPKlPlN2at6native12_GLOBAL__N_18offset_tEEE10hipError_tPvRmT1_PNSt15iterator_traitsISY_E10value_typeET2_T3_PNSZ_IS14_E10value_typeET4_jRbjT5_S1A_jjP12ihipStream_tbEUljE_EEESV_SW_SX_S14_S18_S1A_T6_T7_T9_mT8_S1C_bDpT10_ENKUlT_T0_E_clISt17integral_constantIbLb0EES1P_EEDaS1K_S1L_EUlS1K_E_NS1_11comp_targetILNS1_3genE2ELNS1_11target_archE906ELNS1_3gpuE6ELNS1_3repE0EEENS1_30default_config_static_selectorELNS0_4arch9wavefront6targetE0EEEvSY_.has_indirect_call, 0
	.section	.AMDGPU.csdata,"",@progbits
; Kernel info:
; codeLenInByte = 0
; TotalNumSgprs: 0
; NumVgprs: 0
; ScratchSize: 0
; MemoryBound: 0
; FloatMode: 240
; IeeeMode: 1
; LDSByteSize: 0 bytes/workgroup (compile time only)
; SGPRBlocks: 0
; VGPRBlocks: 0
; NumSGPRsForWavesPerEU: 1
; NumVGPRsForWavesPerEU: 1
; NamedBarCnt: 0
; Occupancy: 16
; WaveLimiterHint : 0
; COMPUTE_PGM_RSRC2:SCRATCH_EN: 0
; COMPUTE_PGM_RSRC2:USER_SGPR: 2
; COMPUTE_PGM_RSRC2:TRAP_HANDLER: 0
; COMPUTE_PGM_RSRC2:TGID_X_EN: 1
; COMPUTE_PGM_RSRC2:TGID_Y_EN: 0
; COMPUTE_PGM_RSRC2:TGID_Z_EN: 0
; COMPUTE_PGM_RSRC2:TIDIG_COMP_CNT: 0
	.section	.text._ZN7rocprim17ROCPRIM_400000_NS6detail17trampoline_kernelINS0_13select_configILj256ELj13ELNS0_17block_load_methodE3ELS4_3ELS4_3ELNS0_20block_scan_algorithmE0ELj4294967295EEENS1_25partition_config_selectorILNS1_17partition_subalgoE3EjNS0_10empty_typeEbEEZZNS1_14partition_implILS8_3ELb0ES6_jNS0_17counting_iteratorIjlEEPS9_SE_NS0_5tupleIJPjSE_EEENSF_IJSE_SE_EEES9_SG_JZNS1_25segmented_radix_sort_implINS0_14default_configELb1EPKiPiPKlPlN2at6native12_GLOBAL__N_18offset_tEEE10hipError_tPvRmT1_PNSt15iterator_traitsISY_E10value_typeET2_T3_PNSZ_IS14_E10value_typeET4_jRbjT5_S1A_jjP12ihipStream_tbEUljE_EEESV_SW_SX_S14_S18_S1A_T6_T7_T9_mT8_S1C_bDpT10_ENKUlT_T0_E_clISt17integral_constantIbLb0EES1P_EEDaS1K_S1L_EUlS1K_E_NS1_11comp_targetILNS1_3genE10ELNS1_11target_archE1200ELNS1_3gpuE4ELNS1_3repE0EEENS1_30default_config_static_selectorELNS0_4arch9wavefront6targetE0EEEvSY_,"axG",@progbits,_ZN7rocprim17ROCPRIM_400000_NS6detail17trampoline_kernelINS0_13select_configILj256ELj13ELNS0_17block_load_methodE3ELS4_3ELS4_3ELNS0_20block_scan_algorithmE0ELj4294967295EEENS1_25partition_config_selectorILNS1_17partition_subalgoE3EjNS0_10empty_typeEbEEZZNS1_14partition_implILS8_3ELb0ES6_jNS0_17counting_iteratorIjlEEPS9_SE_NS0_5tupleIJPjSE_EEENSF_IJSE_SE_EEES9_SG_JZNS1_25segmented_radix_sort_implINS0_14default_configELb1EPKiPiPKlPlN2at6native12_GLOBAL__N_18offset_tEEE10hipError_tPvRmT1_PNSt15iterator_traitsISY_E10value_typeET2_T3_PNSZ_IS14_E10value_typeET4_jRbjT5_S1A_jjP12ihipStream_tbEUljE_EEESV_SW_SX_S14_S18_S1A_T6_T7_T9_mT8_S1C_bDpT10_ENKUlT_T0_E_clISt17integral_constantIbLb0EES1P_EEDaS1K_S1L_EUlS1K_E_NS1_11comp_targetILNS1_3genE10ELNS1_11target_archE1200ELNS1_3gpuE4ELNS1_3repE0EEENS1_30default_config_static_selectorELNS0_4arch9wavefront6targetE0EEEvSY_,comdat
	.globl	_ZN7rocprim17ROCPRIM_400000_NS6detail17trampoline_kernelINS0_13select_configILj256ELj13ELNS0_17block_load_methodE3ELS4_3ELS4_3ELNS0_20block_scan_algorithmE0ELj4294967295EEENS1_25partition_config_selectorILNS1_17partition_subalgoE3EjNS0_10empty_typeEbEEZZNS1_14partition_implILS8_3ELb0ES6_jNS0_17counting_iteratorIjlEEPS9_SE_NS0_5tupleIJPjSE_EEENSF_IJSE_SE_EEES9_SG_JZNS1_25segmented_radix_sort_implINS0_14default_configELb1EPKiPiPKlPlN2at6native12_GLOBAL__N_18offset_tEEE10hipError_tPvRmT1_PNSt15iterator_traitsISY_E10value_typeET2_T3_PNSZ_IS14_E10value_typeET4_jRbjT5_S1A_jjP12ihipStream_tbEUljE_EEESV_SW_SX_S14_S18_S1A_T6_T7_T9_mT8_S1C_bDpT10_ENKUlT_T0_E_clISt17integral_constantIbLb0EES1P_EEDaS1K_S1L_EUlS1K_E_NS1_11comp_targetILNS1_3genE10ELNS1_11target_archE1200ELNS1_3gpuE4ELNS1_3repE0EEENS1_30default_config_static_selectorELNS0_4arch9wavefront6targetE0EEEvSY_ ; -- Begin function _ZN7rocprim17ROCPRIM_400000_NS6detail17trampoline_kernelINS0_13select_configILj256ELj13ELNS0_17block_load_methodE3ELS4_3ELS4_3ELNS0_20block_scan_algorithmE0ELj4294967295EEENS1_25partition_config_selectorILNS1_17partition_subalgoE3EjNS0_10empty_typeEbEEZZNS1_14partition_implILS8_3ELb0ES6_jNS0_17counting_iteratorIjlEEPS9_SE_NS0_5tupleIJPjSE_EEENSF_IJSE_SE_EEES9_SG_JZNS1_25segmented_radix_sort_implINS0_14default_configELb1EPKiPiPKlPlN2at6native12_GLOBAL__N_18offset_tEEE10hipError_tPvRmT1_PNSt15iterator_traitsISY_E10value_typeET2_T3_PNSZ_IS14_E10value_typeET4_jRbjT5_S1A_jjP12ihipStream_tbEUljE_EEESV_SW_SX_S14_S18_S1A_T6_T7_T9_mT8_S1C_bDpT10_ENKUlT_T0_E_clISt17integral_constantIbLb0EES1P_EEDaS1K_S1L_EUlS1K_E_NS1_11comp_targetILNS1_3genE10ELNS1_11target_archE1200ELNS1_3gpuE4ELNS1_3repE0EEENS1_30default_config_static_selectorELNS0_4arch9wavefront6targetE0EEEvSY_
	.p2align	8
	.type	_ZN7rocprim17ROCPRIM_400000_NS6detail17trampoline_kernelINS0_13select_configILj256ELj13ELNS0_17block_load_methodE3ELS4_3ELS4_3ELNS0_20block_scan_algorithmE0ELj4294967295EEENS1_25partition_config_selectorILNS1_17partition_subalgoE3EjNS0_10empty_typeEbEEZZNS1_14partition_implILS8_3ELb0ES6_jNS0_17counting_iteratorIjlEEPS9_SE_NS0_5tupleIJPjSE_EEENSF_IJSE_SE_EEES9_SG_JZNS1_25segmented_radix_sort_implINS0_14default_configELb1EPKiPiPKlPlN2at6native12_GLOBAL__N_18offset_tEEE10hipError_tPvRmT1_PNSt15iterator_traitsISY_E10value_typeET2_T3_PNSZ_IS14_E10value_typeET4_jRbjT5_S1A_jjP12ihipStream_tbEUljE_EEESV_SW_SX_S14_S18_S1A_T6_T7_T9_mT8_S1C_bDpT10_ENKUlT_T0_E_clISt17integral_constantIbLb0EES1P_EEDaS1K_S1L_EUlS1K_E_NS1_11comp_targetILNS1_3genE10ELNS1_11target_archE1200ELNS1_3gpuE4ELNS1_3repE0EEENS1_30default_config_static_selectorELNS0_4arch9wavefront6targetE0EEEvSY_,@function
_ZN7rocprim17ROCPRIM_400000_NS6detail17trampoline_kernelINS0_13select_configILj256ELj13ELNS0_17block_load_methodE3ELS4_3ELS4_3ELNS0_20block_scan_algorithmE0ELj4294967295EEENS1_25partition_config_selectorILNS1_17partition_subalgoE3EjNS0_10empty_typeEbEEZZNS1_14partition_implILS8_3ELb0ES6_jNS0_17counting_iteratorIjlEEPS9_SE_NS0_5tupleIJPjSE_EEENSF_IJSE_SE_EEES9_SG_JZNS1_25segmented_radix_sort_implINS0_14default_configELb1EPKiPiPKlPlN2at6native12_GLOBAL__N_18offset_tEEE10hipError_tPvRmT1_PNSt15iterator_traitsISY_E10value_typeET2_T3_PNSZ_IS14_E10value_typeET4_jRbjT5_S1A_jjP12ihipStream_tbEUljE_EEESV_SW_SX_S14_S18_S1A_T6_T7_T9_mT8_S1C_bDpT10_ENKUlT_T0_E_clISt17integral_constantIbLb0EES1P_EEDaS1K_S1L_EUlS1K_E_NS1_11comp_targetILNS1_3genE10ELNS1_11target_archE1200ELNS1_3gpuE4ELNS1_3repE0EEENS1_30default_config_static_selectorELNS0_4arch9wavefront6targetE0EEEvSY_: ; @_ZN7rocprim17ROCPRIM_400000_NS6detail17trampoline_kernelINS0_13select_configILj256ELj13ELNS0_17block_load_methodE3ELS4_3ELS4_3ELNS0_20block_scan_algorithmE0ELj4294967295EEENS1_25partition_config_selectorILNS1_17partition_subalgoE3EjNS0_10empty_typeEbEEZZNS1_14partition_implILS8_3ELb0ES6_jNS0_17counting_iteratorIjlEEPS9_SE_NS0_5tupleIJPjSE_EEENSF_IJSE_SE_EEES9_SG_JZNS1_25segmented_radix_sort_implINS0_14default_configELb1EPKiPiPKlPlN2at6native12_GLOBAL__N_18offset_tEEE10hipError_tPvRmT1_PNSt15iterator_traitsISY_E10value_typeET2_T3_PNSZ_IS14_E10value_typeET4_jRbjT5_S1A_jjP12ihipStream_tbEUljE_EEESV_SW_SX_S14_S18_S1A_T6_T7_T9_mT8_S1C_bDpT10_ENKUlT_T0_E_clISt17integral_constantIbLb0EES1P_EEDaS1K_S1L_EUlS1K_E_NS1_11comp_targetILNS1_3genE10ELNS1_11target_archE1200ELNS1_3gpuE4ELNS1_3repE0EEENS1_30default_config_static_selectorELNS0_4arch9wavefront6targetE0EEEvSY_
; %bb.0:
	.section	.rodata,"a",@progbits
	.p2align	6, 0x0
	.amdhsa_kernel _ZN7rocprim17ROCPRIM_400000_NS6detail17trampoline_kernelINS0_13select_configILj256ELj13ELNS0_17block_load_methodE3ELS4_3ELS4_3ELNS0_20block_scan_algorithmE0ELj4294967295EEENS1_25partition_config_selectorILNS1_17partition_subalgoE3EjNS0_10empty_typeEbEEZZNS1_14partition_implILS8_3ELb0ES6_jNS0_17counting_iteratorIjlEEPS9_SE_NS0_5tupleIJPjSE_EEENSF_IJSE_SE_EEES9_SG_JZNS1_25segmented_radix_sort_implINS0_14default_configELb1EPKiPiPKlPlN2at6native12_GLOBAL__N_18offset_tEEE10hipError_tPvRmT1_PNSt15iterator_traitsISY_E10value_typeET2_T3_PNSZ_IS14_E10value_typeET4_jRbjT5_S1A_jjP12ihipStream_tbEUljE_EEESV_SW_SX_S14_S18_S1A_T6_T7_T9_mT8_S1C_bDpT10_ENKUlT_T0_E_clISt17integral_constantIbLb0EES1P_EEDaS1K_S1L_EUlS1K_E_NS1_11comp_targetILNS1_3genE10ELNS1_11target_archE1200ELNS1_3gpuE4ELNS1_3repE0EEENS1_30default_config_static_selectorELNS0_4arch9wavefront6targetE0EEEvSY_
		.amdhsa_group_segment_fixed_size 0
		.amdhsa_private_segment_fixed_size 0
		.amdhsa_kernarg_size 144
		.amdhsa_user_sgpr_count 2
		.amdhsa_user_sgpr_dispatch_ptr 0
		.amdhsa_user_sgpr_queue_ptr 0
		.amdhsa_user_sgpr_kernarg_segment_ptr 1
		.amdhsa_user_sgpr_dispatch_id 0
		.amdhsa_user_sgpr_kernarg_preload_length 0
		.amdhsa_user_sgpr_kernarg_preload_offset 0
		.amdhsa_user_sgpr_private_segment_size 0
		.amdhsa_wavefront_size32 1
		.amdhsa_uses_dynamic_stack 0
		.amdhsa_enable_private_segment 0
		.amdhsa_system_sgpr_workgroup_id_x 1
		.amdhsa_system_sgpr_workgroup_id_y 0
		.amdhsa_system_sgpr_workgroup_id_z 0
		.amdhsa_system_sgpr_workgroup_info 0
		.amdhsa_system_vgpr_workitem_id 0
		.amdhsa_next_free_vgpr 1
		.amdhsa_next_free_sgpr 1
		.amdhsa_named_barrier_count 0
		.amdhsa_reserve_vcc 0
		.amdhsa_float_round_mode_32 0
		.amdhsa_float_round_mode_16_64 0
		.amdhsa_float_denorm_mode_32 3
		.amdhsa_float_denorm_mode_16_64 3
		.amdhsa_fp16_overflow 0
		.amdhsa_memory_ordered 1
		.amdhsa_forward_progress 1
		.amdhsa_inst_pref_size 0
		.amdhsa_round_robin_scheduling 0
		.amdhsa_exception_fp_ieee_invalid_op 0
		.amdhsa_exception_fp_denorm_src 0
		.amdhsa_exception_fp_ieee_div_zero 0
		.amdhsa_exception_fp_ieee_overflow 0
		.amdhsa_exception_fp_ieee_underflow 0
		.amdhsa_exception_fp_ieee_inexact 0
		.amdhsa_exception_int_div_zero 0
	.end_amdhsa_kernel
	.section	.text._ZN7rocprim17ROCPRIM_400000_NS6detail17trampoline_kernelINS0_13select_configILj256ELj13ELNS0_17block_load_methodE3ELS4_3ELS4_3ELNS0_20block_scan_algorithmE0ELj4294967295EEENS1_25partition_config_selectorILNS1_17partition_subalgoE3EjNS0_10empty_typeEbEEZZNS1_14partition_implILS8_3ELb0ES6_jNS0_17counting_iteratorIjlEEPS9_SE_NS0_5tupleIJPjSE_EEENSF_IJSE_SE_EEES9_SG_JZNS1_25segmented_radix_sort_implINS0_14default_configELb1EPKiPiPKlPlN2at6native12_GLOBAL__N_18offset_tEEE10hipError_tPvRmT1_PNSt15iterator_traitsISY_E10value_typeET2_T3_PNSZ_IS14_E10value_typeET4_jRbjT5_S1A_jjP12ihipStream_tbEUljE_EEESV_SW_SX_S14_S18_S1A_T6_T7_T9_mT8_S1C_bDpT10_ENKUlT_T0_E_clISt17integral_constantIbLb0EES1P_EEDaS1K_S1L_EUlS1K_E_NS1_11comp_targetILNS1_3genE10ELNS1_11target_archE1200ELNS1_3gpuE4ELNS1_3repE0EEENS1_30default_config_static_selectorELNS0_4arch9wavefront6targetE0EEEvSY_,"axG",@progbits,_ZN7rocprim17ROCPRIM_400000_NS6detail17trampoline_kernelINS0_13select_configILj256ELj13ELNS0_17block_load_methodE3ELS4_3ELS4_3ELNS0_20block_scan_algorithmE0ELj4294967295EEENS1_25partition_config_selectorILNS1_17partition_subalgoE3EjNS0_10empty_typeEbEEZZNS1_14partition_implILS8_3ELb0ES6_jNS0_17counting_iteratorIjlEEPS9_SE_NS0_5tupleIJPjSE_EEENSF_IJSE_SE_EEES9_SG_JZNS1_25segmented_radix_sort_implINS0_14default_configELb1EPKiPiPKlPlN2at6native12_GLOBAL__N_18offset_tEEE10hipError_tPvRmT1_PNSt15iterator_traitsISY_E10value_typeET2_T3_PNSZ_IS14_E10value_typeET4_jRbjT5_S1A_jjP12ihipStream_tbEUljE_EEESV_SW_SX_S14_S18_S1A_T6_T7_T9_mT8_S1C_bDpT10_ENKUlT_T0_E_clISt17integral_constantIbLb0EES1P_EEDaS1K_S1L_EUlS1K_E_NS1_11comp_targetILNS1_3genE10ELNS1_11target_archE1200ELNS1_3gpuE4ELNS1_3repE0EEENS1_30default_config_static_selectorELNS0_4arch9wavefront6targetE0EEEvSY_,comdat
.Lfunc_end466:
	.size	_ZN7rocprim17ROCPRIM_400000_NS6detail17trampoline_kernelINS0_13select_configILj256ELj13ELNS0_17block_load_methodE3ELS4_3ELS4_3ELNS0_20block_scan_algorithmE0ELj4294967295EEENS1_25partition_config_selectorILNS1_17partition_subalgoE3EjNS0_10empty_typeEbEEZZNS1_14partition_implILS8_3ELb0ES6_jNS0_17counting_iteratorIjlEEPS9_SE_NS0_5tupleIJPjSE_EEENSF_IJSE_SE_EEES9_SG_JZNS1_25segmented_radix_sort_implINS0_14default_configELb1EPKiPiPKlPlN2at6native12_GLOBAL__N_18offset_tEEE10hipError_tPvRmT1_PNSt15iterator_traitsISY_E10value_typeET2_T3_PNSZ_IS14_E10value_typeET4_jRbjT5_S1A_jjP12ihipStream_tbEUljE_EEESV_SW_SX_S14_S18_S1A_T6_T7_T9_mT8_S1C_bDpT10_ENKUlT_T0_E_clISt17integral_constantIbLb0EES1P_EEDaS1K_S1L_EUlS1K_E_NS1_11comp_targetILNS1_3genE10ELNS1_11target_archE1200ELNS1_3gpuE4ELNS1_3repE0EEENS1_30default_config_static_selectorELNS0_4arch9wavefront6targetE0EEEvSY_, .Lfunc_end466-_ZN7rocprim17ROCPRIM_400000_NS6detail17trampoline_kernelINS0_13select_configILj256ELj13ELNS0_17block_load_methodE3ELS4_3ELS4_3ELNS0_20block_scan_algorithmE0ELj4294967295EEENS1_25partition_config_selectorILNS1_17partition_subalgoE3EjNS0_10empty_typeEbEEZZNS1_14partition_implILS8_3ELb0ES6_jNS0_17counting_iteratorIjlEEPS9_SE_NS0_5tupleIJPjSE_EEENSF_IJSE_SE_EEES9_SG_JZNS1_25segmented_radix_sort_implINS0_14default_configELb1EPKiPiPKlPlN2at6native12_GLOBAL__N_18offset_tEEE10hipError_tPvRmT1_PNSt15iterator_traitsISY_E10value_typeET2_T3_PNSZ_IS14_E10value_typeET4_jRbjT5_S1A_jjP12ihipStream_tbEUljE_EEESV_SW_SX_S14_S18_S1A_T6_T7_T9_mT8_S1C_bDpT10_ENKUlT_T0_E_clISt17integral_constantIbLb0EES1P_EEDaS1K_S1L_EUlS1K_E_NS1_11comp_targetILNS1_3genE10ELNS1_11target_archE1200ELNS1_3gpuE4ELNS1_3repE0EEENS1_30default_config_static_selectorELNS0_4arch9wavefront6targetE0EEEvSY_
                                        ; -- End function
	.set _ZN7rocprim17ROCPRIM_400000_NS6detail17trampoline_kernelINS0_13select_configILj256ELj13ELNS0_17block_load_methodE3ELS4_3ELS4_3ELNS0_20block_scan_algorithmE0ELj4294967295EEENS1_25partition_config_selectorILNS1_17partition_subalgoE3EjNS0_10empty_typeEbEEZZNS1_14partition_implILS8_3ELb0ES6_jNS0_17counting_iteratorIjlEEPS9_SE_NS0_5tupleIJPjSE_EEENSF_IJSE_SE_EEES9_SG_JZNS1_25segmented_radix_sort_implINS0_14default_configELb1EPKiPiPKlPlN2at6native12_GLOBAL__N_18offset_tEEE10hipError_tPvRmT1_PNSt15iterator_traitsISY_E10value_typeET2_T3_PNSZ_IS14_E10value_typeET4_jRbjT5_S1A_jjP12ihipStream_tbEUljE_EEESV_SW_SX_S14_S18_S1A_T6_T7_T9_mT8_S1C_bDpT10_ENKUlT_T0_E_clISt17integral_constantIbLb0EES1P_EEDaS1K_S1L_EUlS1K_E_NS1_11comp_targetILNS1_3genE10ELNS1_11target_archE1200ELNS1_3gpuE4ELNS1_3repE0EEENS1_30default_config_static_selectorELNS0_4arch9wavefront6targetE0EEEvSY_.num_vgpr, 0
	.set _ZN7rocprim17ROCPRIM_400000_NS6detail17trampoline_kernelINS0_13select_configILj256ELj13ELNS0_17block_load_methodE3ELS4_3ELS4_3ELNS0_20block_scan_algorithmE0ELj4294967295EEENS1_25partition_config_selectorILNS1_17partition_subalgoE3EjNS0_10empty_typeEbEEZZNS1_14partition_implILS8_3ELb0ES6_jNS0_17counting_iteratorIjlEEPS9_SE_NS0_5tupleIJPjSE_EEENSF_IJSE_SE_EEES9_SG_JZNS1_25segmented_radix_sort_implINS0_14default_configELb1EPKiPiPKlPlN2at6native12_GLOBAL__N_18offset_tEEE10hipError_tPvRmT1_PNSt15iterator_traitsISY_E10value_typeET2_T3_PNSZ_IS14_E10value_typeET4_jRbjT5_S1A_jjP12ihipStream_tbEUljE_EEESV_SW_SX_S14_S18_S1A_T6_T7_T9_mT8_S1C_bDpT10_ENKUlT_T0_E_clISt17integral_constantIbLb0EES1P_EEDaS1K_S1L_EUlS1K_E_NS1_11comp_targetILNS1_3genE10ELNS1_11target_archE1200ELNS1_3gpuE4ELNS1_3repE0EEENS1_30default_config_static_selectorELNS0_4arch9wavefront6targetE0EEEvSY_.num_agpr, 0
	.set _ZN7rocprim17ROCPRIM_400000_NS6detail17trampoline_kernelINS0_13select_configILj256ELj13ELNS0_17block_load_methodE3ELS4_3ELS4_3ELNS0_20block_scan_algorithmE0ELj4294967295EEENS1_25partition_config_selectorILNS1_17partition_subalgoE3EjNS0_10empty_typeEbEEZZNS1_14partition_implILS8_3ELb0ES6_jNS0_17counting_iteratorIjlEEPS9_SE_NS0_5tupleIJPjSE_EEENSF_IJSE_SE_EEES9_SG_JZNS1_25segmented_radix_sort_implINS0_14default_configELb1EPKiPiPKlPlN2at6native12_GLOBAL__N_18offset_tEEE10hipError_tPvRmT1_PNSt15iterator_traitsISY_E10value_typeET2_T3_PNSZ_IS14_E10value_typeET4_jRbjT5_S1A_jjP12ihipStream_tbEUljE_EEESV_SW_SX_S14_S18_S1A_T6_T7_T9_mT8_S1C_bDpT10_ENKUlT_T0_E_clISt17integral_constantIbLb0EES1P_EEDaS1K_S1L_EUlS1K_E_NS1_11comp_targetILNS1_3genE10ELNS1_11target_archE1200ELNS1_3gpuE4ELNS1_3repE0EEENS1_30default_config_static_selectorELNS0_4arch9wavefront6targetE0EEEvSY_.numbered_sgpr, 0
	.set _ZN7rocprim17ROCPRIM_400000_NS6detail17trampoline_kernelINS0_13select_configILj256ELj13ELNS0_17block_load_methodE3ELS4_3ELS4_3ELNS0_20block_scan_algorithmE0ELj4294967295EEENS1_25partition_config_selectorILNS1_17partition_subalgoE3EjNS0_10empty_typeEbEEZZNS1_14partition_implILS8_3ELb0ES6_jNS0_17counting_iteratorIjlEEPS9_SE_NS0_5tupleIJPjSE_EEENSF_IJSE_SE_EEES9_SG_JZNS1_25segmented_radix_sort_implINS0_14default_configELb1EPKiPiPKlPlN2at6native12_GLOBAL__N_18offset_tEEE10hipError_tPvRmT1_PNSt15iterator_traitsISY_E10value_typeET2_T3_PNSZ_IS14_E10value_typeET4_jRbjT5_S1A_jjP12ihipStream_tbEUljE_EEESV_SW_SX_S14_S18_S1A_T6_T7_T9_mT8_S1C_bDpT10_ENKUlT_T0_E_clISt17integral_constantIbLb0EES1P_EEDaS1K_S1L_EUlS1K_E_NS1_11comp_targetILNS1_3genE10ELNS1_11target_archE1200ELNS1_3gpuE4ELNS1_3repE0EEENS1_30default_config_static_selectorELNS0_4arch9wavefront6targetE0EEEvSY_.num_named_barrier, 0
	.set _ZN7rocprim17ROCPRIM_400000_NS6detail17trampoline_kernelINS0_13select_configILj256ELj13ELNS0_17block_load_methodE3ELS4_3ELS4_3ELNS0_20block_scan_algorithmE0ELj4294967295EEENS1_25partition_config_selectorILNS1_17partition_subalgoE3EjNS0_10empty_typeEbEEZZNS1_14partition_implILS8_3ELb0ES6_jNS0_17counting_iteratorIjlEEPS9_SE_NS0_5tupleIJPjSE_EEENSF_IJSE_SE_EEES9_SG_JZNS1_25segmented_radix_sort_implINS0_14default_configELb1EPKiPiPKlPlN2at6native12_GLOBAL__N_18offset_tEEE10hipError_tPvRmT1_PNSt15iterator_traitsISY_E10value_typeET2_T3_PNSZ_IS14_E10value_typeET4_jRbjT5_S1A_jjP12ihipStream_tbEUljE_EEESV_SW_SX_S14_S18_S1A_T6_T7_T9_mT8_S1C_bDpT10_ENKUlT_T0_E_clISt17integral_constantIbLb0EES1P_EEDaS1K_S1L_EUlS1K_E_NS1_11comp_targetILNS1_3genE10ELNS1_11target_archE1200ELNS1_3gpuE4ELNS1_3repE0EEENS1_30default_config_static_selectorELNS0_4arch9wavefront6targetE0EEEvSY_.private_seg_size, 0
	.set _ZN7rocprim17ROCPRIM_400000_NS6detail17trampoline_kernelINS0_13select_configILj256ELj13ELNS0_17block_load_methodE3ELS4_3ELS4_3ELNS0_20block_scan_algorithmE0ELj4294967295EEENS1_25partition_config_selectorILNS1_17partition_subalgoE3EjNS0_10empty_typeEbEEZZNS1_14partition_implILS8_3ELb0ES6_jNS0_17counting_iteratorIjlEEPS9_SE_NS0_5tupleIJPjSE_EEENSF_IJSE_SE_EEES9_SG_JZNS1_25segmented_radix_sort_implINS0_14default_configELb1EPKiPiPKlPlN2at6native12_GLOBAL__N_18offset_tEEE10hipError_tPvRmT1_PNSt15iterator_traitsISY_E10value_typeET2_T3_PNSZ_IS14_E10value_typeET4_jRbjT5_S1A_jjP12ihipStream_tbEUljE_EEESV_SW_SX_S14_S18_S1A_T6_T7_T9_mT8_S1C_bDpT10_ENKUlT_T0_E_clISt17integral_constantIbLb0EES1P_EEDaS1K_S1L_EUlS1K_E_NS1_11comp_targetILNS1_3genE10ELNS1_11target_archE1200ELNS1_3gpuE4ELNS1_3repE0EEENS1_30default_config_static_selectorELNS0_4arch9wavefront6targetE0EEEvSY_.uses_vcc, 0
	.set _ZN7rocprim17ROCPRIM_400000_NS6detail17trampoline_kernelINS0_13select_configILj256ELj13ELNS0_17block_load_methodE3ELS4_3ELS4_3ELNS0_20block_scan_algorithmE0ELj4294967295EEENS1_25partition_config_selectorILNS1_17partition_subalgoE3EjNS0_10empty_typeEbEEZZNS1_14partition_implILS8_3ELb0ES6_jNS0_17counting_iteratorIjlEEPS9_SE_NS0_5tupleIJPjSE_EEENSF_IJSE_SE_EEES9_SG_JZNS1_25segmented_radix_sort_implINS0_14default_configELb1EPKiPiPKlPlN2at6native12_GLOBAL__N_18offset_tEEE10hipError_tPvRmT1_PNSt15iterator_traitsISY_E10value_typeET2_T3_PNSZ_IS14_E10value_typeET4_jRbjT5_S1A_jjP12ihipStream_tbEUljE_EEESV_SW_SX_S14_S18_S1A_T6_T7_T9_mT8_S1C_bDpT10_ENKUlT_T0_E_clISt17integral_constantIbLb0EES1P_EEDaS1K_S1L_EUlS1K_E_NS1_11comp_targetILNS1_3genE10ELNS1_11target_archE1200ELNS1_3gpuE4ELNS1_3repE0EEENS1_30default_config_static_selectorELNS0_4arch9wavefront6targetE0EEEvSY_.uses_flat_scratch, 0
	.set _ZN7rocprim17ROCPRIM_400000_NS6detail17trampoline_kernelINS0_13select_configILj256ELj13ELNS0_17block_load_methodE3ELS4_3ELS4_3ELNS0_20block_scan_algorithmE0ELj4294967295EEENS1_25partition_config_selectorILNS1_17partition_subalgoE3EjNS0_10empty_typeEbEEZZNS1_14partition_implILS8_3ELb0ES6_jNS0_17counting_iteratorIjlEEPS9_SE_NS0_5tupleIJPjSE_EEENSF_IJSE_SE_EEES9_SG_JZNS1_25segmented_radix_sort_implINS0_14default_configELb1EPKiPiPKlPlN2at6native12_GLOBAL__N_18offset_tEEE10hipError_tPvRmT1_PNSt15iterator_traitsISY_E10value_typeET2_T3_PNSZ_IS14_E10value_typeET4_jRbjT5_S1A_jjP12ihipStream_tbEUljE_EEESV_SW_SX_S14_S18_S1A_T6_T7_T9_mT8_S1C_bDpT10_ENKUlT_T0_E_clISt17integral_constantIbLb0EES1P_EEDaS1K_S1L_EUlS1K_E_NS1_11comp_targetILNS1_3genE10ELNS1_11target_archE1200ELNS1_3gpuE4ELNS1_3repE0EEENS1_30default_config_static_selectorELNS0_4arch9wavefront6targetE0EEEvSY_.has_dyn_sized_stack, 0
	.set _ZN7rocprim17ROCPRIM_400000_NS6detail17trampoline_kernelINS0_13select_configILj256ELj13ELNS0_17block_load_methodE3ELS4_3ELS4_3ELNS0_20block_scan_algorithmE0ELj4294967295EEENS1_25partition_config_selectorILNS1_17partition_subalgoE3EjNS0_10empty_typeEbEEZZNS1_14partition_implILS8_3ELb0ES6_jNS0_17counting_iteratorIjlEEPS9_SE_NS0_5tupleIJPjSE_EEENSF_IJSE_SE_EEES9_SG_JZNS1_25segmented_radix_sort_implINS0_14default_configELb1EPKiPiPKlPlN2at6native12_GLOBAL__N_18offset_tEEE10hipError_tPvRmT1_PNSt15iterator_traitsISY_E10value_typeET2_T3_PNSZ_IS14_E10value_typeET4_jRbjT5_S1A_jjP12ihipStream_tbEUljE_EEESV_SW_SX_S14_S18_S1A_T6_T7_T9_mT8_S1C_bDpT10_ENKUlT_T0_E_clISt17integral_constantIbLb0EES1P_EEDaS1K_S1L_EUlS1K_E_NS1_11comp_targetILNS1_3genE10ELNS1_11target_archE1200ELNS1_3gpuE4ELNS1_3repE0EEENS1_30default_config_static_selectorELNS0_4arch9wavefront6targetE0EEEvSY_.has_recursion, 0
	.set _ZN7rocprim17ROCPRIM_400000_NS6detail17trampoline_kernelINS0_13select_configILj256ELj13ELNS0_17block_load_methodE3ELS4_3ELS4_3ELNS0_20block_scan_algorithmE0ELj4294967295EEENS1_25partition_config_selectorILNS1_17partition_subalgoE3EjNS0_10empty_typeEbEEZZNS1_14partition_implILS8_3ELb0ES6_jNS0_17counting_iteratorIjlEEPS9_SE_NS0_5tupleIJPjSE_EEENSF_IJSE_SE_EEES9_SG_JZNS1_25segmented_radix_sort_implINS0_14default_configELb1EPKiPiPKlPlN2at6native12_GLOBAL__N_18offset_tEEE10hipError_tPvRmT1_PNSt15iterator_traitsISY_E10value_typeET2_T3_PNSZ_IS14_E10value_typeET4_jRbjT5_S1A_jjP12ihipStream_tbEUljE_EEESV_SW_SX_S14_S18_S1A_T6_T7_T9_mT8_S1C_bDpT10_ENKUlT_T0_E_clISt17integral_constantIbLb0EES1P_EEDaS1K_S1L_EUlS1K_E_NS1_11comp_targetILNS1_3genE10ELNS1_11target_archE1200ELNS1_3gpuE4ELNS1_3repE0EEENS1_30default_config_static_selectorELNS0_4arch9wavefront6targetE0EEEvSY_.has_indirect_call, 0
	.section	.AMDGPU.csdata,"",@progbits
; Kernel info:
; codeLenInByte = 0
; TotalNumSgprs: 0
; NumVgprs: 0
; ScratchSize: 0
; MemoryBound: 0
; FloatMode: 240
; IeeeMode: 1
; LDSByteSize: 0 bytes/workgroup (compile time only)
; SGPRBlocks: 0
; VGPRBlocks: 0
; NumSGPRsForWavesPerEU: 1
; NumVGPRsForWavesPerEU: 1
; NamedBarCnt: 0
; Occupancy: 16
; WaveLimiterHint : 0
; COMPUTE_PGM_RSRC2:SCRATCH_EN: 0
; COMPUTE_PGM_RSRC2:USER_SGPR: 2
; COMPUTE_PGM_RSRC2:TRAP_HANDLER: 0
; COMPUTE_PGM_RSRC2:TGID_X_EN: 1
; COMPUTE_PGM_RSRC2:TGID_Y_EN: 0
; COMPUTE_PGM_RSRC2:TGID_Z_EN: 0
; COMPUTE_PGM_RSRC2:TIDIG_COMP_CNT: 0
	.section	.text._ZN7rocprim17ROCPRIM_400000_NS6detail17trampoline_kernelINS0_13select_configILj256ELj13ELNS0_17block_load_methodE3ELS4_3ELS4_3ELNS0_20block_scan_algorithmE0ELj4294967295EEENS1_25partition_config_selectorILNS1_17partition_subalgoE3EjNS0_10empty_typeEbEEZZNS1_14partition_implILS8_3ELb0ES6_jNS0_17counting_iteratorIjlEEPS9_SE_NS0_5tupleIJPjSE_EEENSF_IJSE_SE_EEES9_SG_JZNS1_25segmented_radix_sort_implINS0_14default_configELb1EPKiPiPKlPlN2at6native12_GLOBAL__N_18offset_tEEE10hipError_tPvRmT1_PNSt15iterator_traitsISY_E10value_typeET2_T3_PNSZ_IS14_E10value_typeET4_jRbjT5_S1A_jjP12ihipStream_tbEUljE_EEESV_SW_SX_S14_S18_S1A_T6_T7_T9_mT8_S1C_bDpT10_ENKUlT_T0_E_clISt17integral_constantIbLb0EES1P_EEDaS1K_S1L_EUlS1K_E_NS1_11comp_targetILNS1_3genE9ELNS1_11target_archE1100ELNS1_3gpuE3ELNS1_3repE0EEENS1_30default_config_static_selectorELNS0_4arch9wavefront6targetE0EEEvSY_,"axG",@progbits,_ZN7rocprim17ROCPRIM_400000_NS6detail17trampoline_kernelINS0_13select_configILj256ELj13ELNS0_17block_load_methodE3ELS4_3ELS4_3ELNS0_20block_scan_algorithmE0ELj4294967295EEENS1_25partition_config_selectorILNS1_17partition_subalgoE3EjNS0_10empty_typeEbEEZZNS1_14partition_implILS8_3ELb0ES6_jNS0_17counting_iteratorIjlEEPS9_SE_NS0_5tupleIJPjSE_EEENSF_IJSE_SE_EEES9_SG_JZNS1_25segmented_radix_sort_implINS0_14default_configELb1EPKiPiPKlPlN2at6native12_GLOBAL__N_18offset_tEEE10hipError_tPvRmT1_PNSt15iterator_traitsISY_E10value_typeET2_T3_PNSZ_IS14_E10value_typeET4_jRbjT5_S1A_jjP12ihipStream_tbEUljE_EEESV_SW_SX_S14_S18_S1A_T6_T7_T9_mT8_S1C_bDpT10_ENKUlT_T0_E_clISt17integral_constantIbLb0EES1P_EEDaS1K_S1L_EUlS1K_E_NS1_11comp_targetILNS1_3genE9ELNS1_11target_archE1100ELNS1_3gpuE3ELNS1_3repE0EEENS1_30default_config_static_selectorELNS0_4arch9wavefront6targetE0EEEvSY_,comdat
	.globl	_ZN7rocprim17ROCPRIM_400000_NS6detail17trampoline_kernelINS0_13select_configILj256ELj13ELNS0_17block_load_methodE3ELS4_3ELS4_3ELNS0_20block_scan_algorithmE0ELj4294967295EEENS1_25partition_config_selectorILNS1_17partition_subalgoE3EjNS0_10empty_typeEbEEZZNS1_14partition_implILS8_3ELb0ES6_jNS0_17counting_iteratorIjlEEPS9_SE_NS0_5tupleIJPjSE_EEENSF_IJSE_SE_EEES9_SG_JZNS1_25segmented_radix_sort_implINS0_14default_configELb1EPKiPiPKlPlN2at6native12_GLOBAL__N_18offset_tEEE10hipError_tPvRmT1_PNSt15iterator_traitsISY_E10value_typeET2_T3_PNSZ_IS14_E10value_typeET4_jRbjT5_S1A_jjP12ihipStream_tbEUljE_EEESV_SW_SX_S14_S18_S1A_T6_T7_T9_mT8_S1C_bDpT10_ENKUlT_T0_E_clISt17integral_constantIbLb0EES1P_EEDaS1K_S1L_EUlS1K_E_NS1_11comp_targetILNS1_3genE9ELNS1_11target_archE1100ELNS1_3gpuE3ELNS1_3repE0EEENS1_30default_config_static_selectorELNS0_4arch9wavefront6targetE0EEEvSY_ ; -- Begin function _ZN7rocprim17ROCPRIM_400000_NS6detail17trampoline_kernelINS0_13select_configILj256ELj13ELNS0_17block_load_methodE3ELS4_3ELS4_3ELNS0_20block_scan_algorithmE0ELj4294967295EEENS1_25partition_config_selectorILNS1_17partition_subalgoE3EjNS0_10empty_typeEbEEZZNS1_14partition_implILS8_3ELb0ES6_jNS0_17counting_iteratorIjlEEPS9_SE_NS0_5tupleIJPjSE_EEENSF_IJSE_SE_EEES9_SG_JZNS1_25segmented_radix_sort_implINS0_14default_configELb1EPKiPiPKlPlN2at6native12_GLOBAL__N_18offset_tEEE10hipError_tPvRmT1_PNSt15iterator_traitsISY_E10value_typeET2_T3_PNSZ_IS14_E10value_typeET4_jRbjT5_S1A_jjP12ihipStream_tbEUljE_EEESV_SW_SX_S14_S18_S1A_T6_T7_T9_mT8_S1C_bDpT10_ENKUlT_T0_E_clISt17integral_constantIbLb0EES1P_EEDaS1K_S1L_EUlS1K_E_NS1_11comp_targetILNS1_3genE9ELNS1_11target_archE1100ELNS1_3gpuE3ELNS1_3repE0EEENS1_30default_config_static_selectorELNS0_4arch9wavefront6targetE0EEEvSY_
	.p2align	8
	.type	_ZN7rocprim17ROCPRIM_400000_NS6detail17trampoline_kernelINS0_13select_configILj256ELj13ELNS0_17block_load_methodE3ELS4_3ELS4_3ELNS0_20block_scan_algorithmE0ELj4294967295EEENS1_25partition_config_selectorILNS1_17partition_subalgoE3EjNS0_10empty_typeEbEEZZNS1_14partition_implILS8_3ELb0ES6_jNS0_17counting_iteratorIjlEEPS9_SE_NS0_5tupleIJPjSE_EEENSF_IJSE_SE_EEES9_SG_JZNS1_25segmented_radix_sort_implINS0_14default_configELb1EPKiPiPKlPlN2at6native12_GLOBAL__N_18offset_tEEE10hipError_tPvRmT1_PNSt15iterator_traitsISY_E10value_typeET2_T3_PNSZ_IS14_E10value_typeET4_jRbjT5_S1A_jjP12ihipStream_tbEUljE_EEESV_SW_SX_S14_S18_S1A_T6_T7_T9_mT8_S1C_bDpT10_ENKUlT_T0_E_clISt17integral_constantIbLb0EES1P_EEDaS1K_S1L_EUlS1K_E_NS1_11comp_targetILNS1_3genE9ELNS1_11target_archE1100ELNS1_3gpuE3ELNS1_3repE0EEENS1_30default_config_static_selectorELNS0_4arch9wavefront6targetE0EEEvSY_,@function
_ZN7rocprim17ROCPRIM_400000_NS6detail17trampoline_kernelINS0_13select_configILj256ELj13ELNS0_17block_load_methodE3ELS4_3ELS4_3ELNS0_20block_scan_algorithmE0ELj4294967295EEENS1_25partition_config_selectorILNS1_17partition_subalgoE3EjNS0_10empty_typeEbEEZZNS1_14partition_implILS8_3ELb0ES6_jNS0_17counting_iteratorIjlEEPS9_SE_NS0_5tupleIJPjSE_EEENSF_IJSE_SE_EEES9_SG_JZNS1_25segmented_radix_sort_implINS0_14default_configELb1EPKiPiPKlPlN2at6native12_GLOBAL__N_18offset_tEEE10hipError_tPvRmT1_PNSt15iterator_traitsISY_E10value_typeET2_T3_PNSZ_IS14_E10value_typeET4_jRbjT5_S1A_jjP12ihipStream_tbEUljE_EEESV_SW_SX_S14_S18_S1A_T6_T7_T9_mT8_S1C_bDpT10_ENKUlT_T0_E_clISt17integral_constantIbLb0EES1P_EEDaS1K_S1L_EUlS1K_E_NS1_11comp_targetILNS1_3genE9ELNS1_11target_archE1100ELNS1_3gpuE3ELNS1_3repE0EEENS1_30default_config_static_selectorELNS0_4arch9wavefront6targetE0EEEvSY_: ; @_ZN7rocprim17ROCPRIM_400000_NS6detail17trampoline_kernelINS0_13select_configILj256ELj13ELNS0_17block_load_methodE3ELS4_3ELS4_3ELNS0_20block_scan_algorithmE0ELj4294967295EEENS1_25partition_config_selectorILNS1_17partition_subalgoE3EjNS0_10empty_typeEbEEZZNS1_14partition_implILS8_3ELb0ES6_jNS0_17counting_iteratorIjlEEPS9_SE_NS0_5tupleIJPjSE_EEENSF_IJSE_SE_EEES9_SG_JZNS1_25segmented_radix_sort_implINS0_14default_configELb1EPKiPiPKlPlN2at6native12_GLOBAL__N_18offset_tEEE10hipError_tPvRmT1_PNSt15iterator_traitsISY_E10value_typeET2_T3_PNSZ_IS14_E10value_typeET4_jRbjT5_S1A_jjP12ihipStream_tbEUljE_EEESV_SW_SX_S14_S18_S1A_T6_T7_T9_mT8_S1C_bDpT10_ENKUlT_T0_E_clISt17integral_constantIbLb0EES1P_EEDaS1K_S1L_EUlS1K_E_NS1_11comp_targetILNS1_3genE9ELNS1_11target_archE1100ELNS1_3gpuE3ELNS1_3repE0EEENS1_30default_config_static_selectorELNS0_4arch9wavefront6targetE0EEEvSY_
; %bb.0:
	.section	.rodata,"a",@progbits
	.p2align	6, 0x0
	.amdhsa_kernel _ZN7rocprim17ROCPRIM_400000_NS6detail17trampoline_kernelINS0_13select_configILj256ELj13ELNS0_17block_load_methodE3ELS4_3ELS4_3ELNS0_20block_scan_algorithmE0ELj4294967295EEENS1_25partition_config_selectorILNS1_17partition_subalgoE3EjNS0_10empty_typeEbEEZZNS1_14partition_implILS8_3ELb0ES6_jNS0_17counting_iteratorIjlEEPS9_SE_NS0_5tupleIJPjSE_EEENSF_IJSE_SE_EEES9_SG_JZNS1_25segmented_radix_sort_implINS0_14default_configELb1EPKiPiPKlPlN2at6native12_GLOBAL__N_18offset_tEEE10hipError_tPvRmT1_PNSt15iterator_traitsISY_E10value_typeET2_T3_PNSZ_IS14_E10value_typeET4_jRbjT5_S1A_jjP12ihipStream_tbEUljE_EEESV_SW_SX_S14_S18_S1A_T6_T7_T9_mT8_S1C_bDpT10_ENKUlT_T0_E_clISt17integral_constantIbLb0EES1P_EEDaS1K_S1L_EUlS1K_E_NS1_11comp_targetILNS1_3genE9ELNS1_11target_archE1100ELNS1_3gpuE3ELNS1_3repE0EEENS1_30default_config_static_selectorELNS0_4arch9wavefront6targetE0EEEvSY_
		.amdhsa_group_segment_fixed_size 0
		.amdhsa_private_segment_fixed_size 0
		.amdhsa_kernarg_size 144
		.amdhsa_user_sgpr_count 2
		.amdhsa_user_sgpr_dispatch_ptr 0
		.amdhsa_user_sgpr_queue_ptr 0
		.amdhsa_user_sgpr_kernarg_segment_ptr 1
		.amdhsa_user_sgpr_dispatch_id 0
		.amdhsa_user_sgpr_kernarg_preload_length 0
		.amdhsa_user_sgpr_kernarg_preload_offset 0
		.amdhsa_user_sgpr_private_segment_size 0
		.amdhsa_wavefront_size32 1
		.amdhsa_uses_dynamic_stack 0
		.amdhsa_enable_private_segment 0
		.amdhsa_system_sgpr_workgroup_id_x 1
		.amdhsa_system_sgpr_workgroup_id_y 0
		.amdhsa_system_sgpr_workgroup_id_z 0
		.amdhsa_system_sgpr_workgroup_info 0
		.amdhsa_system_vgpr_workitem_id 0
		.amdhsa_next_free_vgpr 1
		.amdhsa_next_free_sgpr 1
		.amdhsa_named_barrier_count 0
		.amdhsa_reserve_vcc 0
		.amdhsa_float_round_mode_32 0
		.amdhsa_float_round_mode_16_64 0
		.amdhsa_float_denorm_mode_32 3
		.amdhsa_float_denorm_mode_16_64 3
		.amdhsa_fp16_overflow 0
		.amdhsa_memory_ordered 1
		.amdhsa_forward_progress 1
		.amdhsa_inst_pref_size 0
		.amdhsa_round_robin_scheduling 0
		.amdhsa_exception_fp_ieee_invalid_op 0
		.amdhsa_exception_fp_denorm_src 0
		.amdhsa_exception_fp_ieee_div_zero 0
		.amdhsa_exception_fp_ieee_overflow 0
		.amdhsa_exception_fp_ieee_underflow 0
		.amdhsa_exception_fp_ieee_inexact 0
		.amdhsa_exception_int_div_zero 0
	.end_amdhsa_kernel
	.section	.text._ZN7rocprim17ROCPRIM_400000_NS6detail17trampoline_kernelINS0_13select_configILj256ELj13ELNS0_17block_load_methodE3ELS4_3ELS4_3ELNS0_20block_scan_algorithmE0ELj4294967295EEENS1_25partition_config_selectorILNS1_17partition_subalgoE3EjNS0_10empty_typeEbEEZZNS1_14partition_implILS8_3ELb0ES6_jNS0_17counting_iteratorIjlEEPS9_SE_NS0_5tupleIJPjSE_EEENSF_IJSE_SE_EEES9_SG_JZNS1_25segmented_radix_sort_implINS0_14default_configELb1EPKiPiPKlPlN2at6native12_GLOBAL__N_18offset_tEEE10hipError_tPvRmT1_PNSt15iterator_traitsISY_E10value_typeET2_T3_PNSZ_IS14_E10value_typeET4_jRbjT5_S1A_jjP12ihipStream_tbEUljE_EEESV_SW_SX_S14_S18_S1A_T6_T7_T9_mT8_S1C_bDpT10_ENKUlT_T0_E_clISt17integral_constantIbLb0EES1P_EEDaS1K_S1L_EUlS1K_E_NS1_11comp_targetILNS1_3genE9ELNS1_11target_archE1100ELNS1_3gpuE3ELNS1_3repE0EEENS1_30default_config_static_selectorELNS0_4arch9wavefront6targetE0EEEvSY_,"axG",@progbits,_ZN7rocprim17ROCPRIM_400000_NS6detail17trampoline_kernelINS0_13select_configILj256ELj13ELNS0_17block_load_methodE3ELS4_3ELS4_3ELNS0_20block_scan_algorithmE0ELj4294967295EEENS1_25partition_config_selectorILNS1_17partition_subalgoE3EjNS0_10empty_typeEbEEZZNS1_14partition_implILS8_3ELb0ES6_jNS0_17counting_iteratorIjlEEPS9_SE_NS0_5tupleIJPjSE_EEENSF_IJSE_SE_EEES9_SG_JZNS1_25segmented_radix_sort_implINS0_14default_configELb1EPKiPiPKlPlN2at6native12_GLOBAL__N_18offset_tEEE10hipError_tPvRmT1_PNSt15iterator_traitsISY_E10value_typeET2_T3_PNSZ_IS14_E10value_typeET4_jRbjT5_S1A_jjP12ihipStream_tbEUljE_EEESV_SW_SX_S14_S18_S1A_T6_T7_T9_mT8_S1C_bDpT10_ENKUlT_T0_E_clISt17integral_constantIbLb0EES1P_EEDaS1K_S1L_EUlS1K_E_NS1_11comp_targetILNS1_3genE9ELNS1_11target_archE1100ELNS1_3gpuE3ELNS1_3repE0EEENS1_30default_config_static_selectorELNS0_4arch9wavefront6targetE0EEEvSY_,comdat
.Lfunc_end467:
	.size	_ZN7rocprim17ROCPRIM_400000_NS6detail17trampoline_kernelINS0_13select_configILj256ELj13ELNS0_17block_load_methodE3ELS4_3ELS4_3ELNS0_20block_scan_algorithmE0ELj4294967295EEENS1_25partition_config_selectorILNS1_17partition_subalgoE3EjNS0_10empty_typeEbEEZZNS1_14partition_implILS8_3ELb0ES6_jNS0_17counting_iteratorIjlEEPS9_SE_NS0_5tupleIJPjSE_EEENSF_IJSE_SE_EEES9_SG_JZNS1_25segmented_radix_sort_implINS0_14default_configELb1EPKiPiPKlPlN2at6native12_GLOBAL__N_18offset_tEEE10hipError_tPvRmT1_PNSt15iterator_traitsISY_E10value_typeET2_T3_PNSZ_IS14_E10value_typeET4_jRbjT5_S1A_jjP12ihipStream_tbEUljE_EEESV_SW_SX_S14_S18_S1A_T6_T7_T9_mT8_S1C_bDpT10_ENKUlT_T0_E_clISt17integral_constantIbLb0EES1P_EEDaS1K_S1L_EUlS1K_E_NS1_11comp_targetILNS1_3genE9ELNS1_11target_archE1100ELNS1_3gpuE3ELNS1_3repE0EEENS1_30default_config_static_selectorELNS0_4arch9wavefront6targetE0EEEvSY_, .Lfunc_end467-_ZN7rocprim17ROCPRIM_400000_NS6detail17trampoline_kernelINS0_13select_configILj256ELj13ELNS0_17block_load_methodE3ELS4_3ELS4_3ELNS0_20block_scan_algorithmE0ELj4294967295EEENS1_25partition_config_selectorILNS1_17partition_subalgoE3EjNS0_10empty_typeEbEEZZNS1_14partition_implILS8_3ELb0ES6_jNS0_17counting_iteratorIjlEEPS9_SE_NS0_5tupleIJPjSE_EEENSF_IJSE_SE_EEES9_SG_JZNS1_25segmented_radix_sort_implINS0_14default_configELb1EPKiPiPKlPlN2at6native12_GLOBAL__N_18offset_tEEE10hipError_tPvRmT1_PNSt15iterator_traitsISY_E10value_typeET2_T3_PNSZ_IS14_E10value_typeET4_jRbjT5_S1A_jjP12ihipStream_tbEUljE_EEESV_SW_SX_S14_S18_S1A_T6_T7_T9_mT8_S1C_bDpT10_ENKUlT_T0_E_clISt17integral_constantIbLb0EES1P_EEDaS1K_S1L_EUlS1K_E_NS1_11comp_targetILNS1_3genE9ELNS1_11target_archE1100ELNS1_3gpuE3ELNS1_3repE0EEENS1_30default_config_static_selectorELNS0_4arch9wavefront6targetE0EEEvSY_
                                        ; -- End function
	.set _ZN7rocprim17ROCPRIM_400000_NS6detail17trampoline_kernelINS0_13select_configILj256ELj13ELNS0_17block_load_methodE3ELS4_3ELS4_3ELNS0_20block_scan_algorithmE0ELj4294967295EEENS1_25partition_config_selectorILNS1_17partition_subalgoE3EjNS0_10empty_typeEbEEZZNS1_14partition_implILS8_3ELb0ES6_jNS0_17counting_iteratorIjlEEPS9_SE_NS0_5tupleIJPjSE_EEENSF_IJSE_SE_EEES9_SG_JZNS1_25segmented_radix_sort_implINS0_14default_configELb1EPKiPiPKlPlN2at6native12_GLOBAL__N_18offset_tEEE10hipError_tPvRmT1_PNSt15iterator_traitsISY_E10value_typeET2_T3_PNSZ_IS14_E10value_typeET4_jRbjT5_S1A_jjP12ihipStream_tbEUljE_EEESV_SW_SX_S14_S18_S1A_T6_T7_T9_mT8_S1C_bDpT10_ENKUlT_T0_E_clISt17integral_constantIbLb0EES1P_EEDaS1K_S1L_EUlS1K_E_NS1_11comp_targetILNS1_3genE9ELNS1_11target_archE1100ELNS1_3gpuE3ELNS1_3repE0EEENS1_30default_config_static_selectorELNS0_4arch9wavefront6targetE0EEEvSY_.num_vgpr, 0
	.set _ZN7rocprim17ROCPRIM_400000_NS6detail17trampoline_kernelINS0_13select_configILj256ELj13ELNS0_17block_load_methodE3ELS4_3ELS4_3ELNS0_20block_scan_algorithmE0ELj4294967295EEENS1_25partition_config_selectorILNS1_17partition_subalgoE3EjNS0_10empty_typeEbEEZZNS1_14partition_implILS8_3ELb0ES6_jNS0_17counting_iteratorIjlEEPS9_SE_NS0_5tupleIJPjSE_EEENSF_IJSE_SE_EEES9_SG_JZNS1_25segmented_radix_sort_implINS0_14default_configELb1EPKiPiPKlPlN2at6native12_GLOBAL__N_18offset_tEEE10hipError_tPvRmT1_PNSt15iterator_traitsISY_E10value_typeET2_T3_PNSZ_IS14_E10value_typeET4_jRbjT5_S1A_jjP12ihipStream_tbEUljE_EEESV_SW_SX_S14_S18_S1A_T6_T7_T9_mT8_S1C_bDpT10_ENKUlT_T0_E_clISt17integral_constantIbLb0EES1P_EEDaS1K_S1L_EUlS1K_E_NS1_11comp_targetILNS1_3genE9ELNS1_11target_archE1100ELNS1_3gpuE3ELNS1_3repE0EEENS1_30default_config_static_selectorELNS0_4arch9wavefront6targetE0EEEvSY_.num_agpr, 0
	.set _ZN7rocprim17ROCPRIM_400000_NS6detail17trampoline_kernelINS0_13select_configILj256ELj13ELNS0_17block_load_methodE3ELS4_3ELS4_3ELNS0_20block_scan_algorithmE0ELj4294967295EEENS1_25partition_config_selectorILNS1_17partition_subalgoE3EjNS0_10empty_typeEbEEZZNS1_14partition_implILS8_3ELb0ES6_jNS0_17counting_iteratorIjlEEPS9_SE_NS0_5tupleIJPjSE_EEENSF_IJSE_SE_EEES9_SG_JZNS1_25segmented_radix_sort_implINS0_14default_configELb1EPKiPiPKlPlN2at6native12_GLOBAL__N_18offset_tEEE10hipError_tPvRmT1_PNSt15iterator_traitsISY_E10value_typeET2_T3_PNSZ_IS14_E10value_typeET4_jRbjT5_S1A_jjP12ihipStream_tbEUljE_EEESV_SW_SX_S14_S18_S1A_T6_T7_T9_mT8_S1C_bDpT10_ENKUlT_T0_E_clISt17integral_constantIbLb0EES1P_EEDaS1K_S1L_EUlS1K_E_NS1_11comp_targetILNS1_3genE9ELNS1_11target_archE1100ELNS1_3gpuE3ELNS1_3repE0EEENS1_30default_config_static_selectorELNS0_4arch9wavefront6targetE0EEEvSY_.numbered_sgpr, 0
	.set _ZN7rocprim17ROCPRIM_400000_NS6detail17trampoline_kernelINS0_13select_configILj256ELj13ELNS0_17block_load_methodE3ELS4_3ELS4_3ELNS0_20block_scan_algorithmE0ELj4294967295EEENS1_25partition_config_selectorILNS1_17partition_subalgoE3EjNS0_10empty_typeEbEEZZNS1_14partition_implILS8_3ELb0ES6_jNS0_17counting_iteratorIjlEEPS9_SE_NS0_5tupleIJPjSE_EEENSF_IJSE_SE_EEES9_SG_JZNS1_25segmented_radix_sort_implINS0_14default_configELb1EPKiPiPKlPlN2at6native12_GLOBAL__N_18offset_tEEE10hipError_tPvRmT1_PNSt15iterator_traitsISY_E10value_typeET2_T3_PNSZ_IS14_E10value_typeET4_jRbjT5_S1A_jjP12ihipStream_tbEUljE_EEESV_SW_SX_S14_S18_S1A_T6_T7_T9_mT8_S1C_bDpT10_ENKUlT_T0_E_clISt17integral_constantIbLb0EES1P_EEDaS1K_S1L_EUlS1K_E_NS1_11comp_targetILNS1_3genE9ELNS1_11target_archE1100ELNS1_3gpuE3ELNS1_3repE0EEENS1_30default_config_static_selectorELNS0_4arch9wavefront6targetE0EEEvSY_.num_named_barrier, 0
	.set _ZN7rocprim17ROCPRIM_400000_NS6detail17trampoline_kernelINS0_13select_configILj256ELj13ELNS0_17block_load_methodE3ELS4_3ELS4_3ELNS0_20block_scan_algorithmE0ELj4294967295EEENS1_25partition_config_selectorILNS1_17partition_subalgoE3EjNS0_10empty_typeEbEEZZNS1_14partition_implILS8_3ELb0ES6_jNS0_17counting_iteratorIjlEEPS9_SE_NS0_5tupleIJPjSE_EEENSF_IJSE_SE_EEES9_SG_JZNS1_25segmented_radix_sort_implINS0_14default_configELb1EPKiPiPKlPlN2at6native12_GLOBAL__N_18offset_tEEE10hipError_tPvRmT1_PNSt15iterator_traitsISY_E10value_typeET2_T3_PNSZ_IS14_E10value_typeET4_jRbjT5_S1A_jjP12ihipStream_tbEUljE_EEESV_SW_SX_S14_S18_S1A_T6_T7_T9_mT8_S1C_bDpT10_ENKUlT_T0_E_clISt17integral_constantIbLb0EES1P_EEDaS1K_S1L_EUlS1K_E_NS1_11comp_targetILNS1_3genE9ELNS1_11target_archE1100ELNS1_3gpuE3ELNS1_3repE0EEENS1_30default_config_static_selectorELNS0_4arch9wavefront6targetE0EEEvSY_.private_seg_size, 0
	.set _ZN7rocprim17ROCPRIM_400000_NS6detail17trampoline_kernelINS0_13select_configILj256ELj13ELNS0_17block_load_methodE3ELS4_3ELS4_3ELNS0_20block_scan_algorithmE0ELj4294967295EEENS1_25partition_config_selectorILNS1_17partition_subalgoE3EjNS0_10empty_typeEbEEZZNS1_14partition_implILS8_3ELb0ES6_jNS0_17counting_iteratorIjlEEPS9_SE_NS0_5tupleIJPjSE_EEENSF_IJSE_SE_EEES9_SG_JZNS1_25segmented_radix_sort_implINS0_14default_configELb1EPKiPiPKlPlN2at6native12_GLOBAL__N_18offset_tEEE10hipError_tPvRmT1_PNSt15iterator_traitsISY_E10value_typeET2_T3_PNSZ_IS14_E10value_typeET4_jRbjT5_S1A_jjP12ihipStream_tbEUljE_EEESV_SW_SX_S14_S18_S1A_T6_T7_T9_mT8_S1C_bDpT10_ENKUlT_T0_E_clISt17integral_constantIbLb0EES1P_EEDaS1K_S1L_EUlS1K_E_NS1_11comp_targetILNS1_3genE9ELNS1_11target_archE1100ELNS1_3gpuE3ELNS1_3repE0EEENS1_30default_config_static_selectorELNS0_4arch9wavefront6targetE0EEEvSY_.uses_vcc, 0
	.set _ZN7rocprim17ROCPRIM_400000_NS6detail17trampoline_kernelINS0_13select_configILj256ELj13ELNS0_17block_load_methodE3ELS4_3ELS4_3ELNS0_20block_scan_algorithmE0ELj4294967295EEENS1_25partition_config_selectorILNS1_17partition_subalgoE3EjNS0_10empty_typeEbEEZZNS1_14partition_implILS8_3ELb0ES6_jNS0_17counting_iteratorIjlEEPS9_SE_NS0_5tupleIJPjSE_EEENSF_IJSE_SE_EEES9_SG_JZNS1_25segmented_radix_sort_implINS0_14default_configELb1EPKiPiPKlPlN2at6native12_GLOBAL__N_18offset_tEEE10hipError_tPvRmT1_PNSt15iterator_traitsISY_E10value_typeET2_T3_PNSZ_IS14_E10value_typeET4_jRbjT5_S1A_jjP12ihipStream_tbEUljE_EEESV_SW_SX_S14_S18_S1A_T6_T7_T9_mT8_S1C_bDpT10_ENKUlT_T0_E_clISt17integral_constantIbLb0EES1P_EEDaS1K_S1L_EUlS1K_E_NS1_11comp_targetILNS1_3genE9ELNS1_11target_archE1100ELNS1_3gpuE3ELNS1_3repE0EEENS1_30default_config_static_selectorELNS0_4arch9wavefront6targetE0EEEvSY_.uses_flat_scratch, 0
	.set _ZN7rocprim17ROCPRIM_400000_NS6detail17trampoline_kernelINS0_13select_configILj256ELj13ELNS0_17block_load_methodE3ELS4_3ELS4_3ELNS0_20block_scan_algorithmE0ELj4294967295EEENS1_25partition_config_selectorILNS1_17partition_subalgoE3EjNS0_10empty_typeEbEEZZNS1_14partition_implILS8_3ELb0ES6_jNS0_17counting_iteratorIjlEEPS9_SE_NS0_5tupleIJPjSE_EEENSF_IJSE_SE_EEES9_SG_JZNS1_25segmented_radix_sort_implINS0_14default_configELb1EPKiPiPKlPlN2at6native12_GLOBAL__N_18offset_tEEE10hipError_tPvRmT1_PNSt15iterator_traitsISY_E10value_typeET2_T3_PNSZ_IS14_E10value_typeET4_jRbjT5_S1A_jjP12ihipStream_tbEUljE_EEESV_SW_SX_S14_S18_S1A_T6_T7_T9_mT8_S1C_bDpT10_ENKUlT_T0_E_clISt17integral_constantIbLb0EES1P_EEDaS1K_S1L_EUlS1K_E_NS1_11comp_targetILNS1_3genE9ELNS1_11target_archE1100ELNS1_3gpuE3ELNS1_3repE0EEENS1_30default_config_static_selectorELNS0_4arch9wavefront6targetE0EEEvSY_.has_dyn_sized_stack, 0
	.set _ZN7rocprim17ROCPRIM_400000_NS6detail17trampoline_kernelINS0_13select_configILj256ELj13ELNS0_17block_load_methodE3ELS4_3ELS4_3ELNS0_20block_scan_algorithmE0ELj4294967295EEENS1_25partition_config_selectorILNS1_17partition_subalgoE3EjNS0_10empty_typeEbEEZZNS1_14partition_implILS8_3ELb0ES6_jNS0_17counting_iteratorIjlEEPS9_SE_NS0_5tupleIJPjSE_EEENSF_IJSE_SE_EEES9_SG_JZNS1_25segmented_radix_sort_implINS0_14default_configELb1EPKiPiPKlPlN2at6native12_GLOBAL__N_18offset_tEEE10hipError_tPvRmT1_PNSt15iterator_traitsISY_E10value_typeET2_T3_PNSZ_IS14_E10value_typeET4_jRbjT5_S1A_jjP12ihipStream_tbEUljE_EEESV_SW_SX_S14_S18_S1A_T6_T7_T9_mT8_S1C_bDpT10_ENKUlT_T0_E_clISt17integral_constantIbLb0EES1P_EEDaS1K_S1L_EUlS1K_E_NS1_11comp_targetILNS1_3genE9ELNS1_11target_archE1100ELNS1_3gpuE3ELNS1_3repE0EEENS1_30default_config_static_selectorELNS0_4arch9wavefront6targetE0EEEvSY_.has_recursion, 0
	.set _ZN7rocprim17ROCPRIM_400000_NS6detail17trampoline_kernelINS0_13select_configILj256ELj13ELNS0_17block_load_methodE3ELS4_3ELS4_3ELNS0_20block_scan_algorithmE0ELj4294967295EEENS1_25partition_config_selectorILNS1_17partition_subalgoE3EjNS0_10empty_typeEbEEZZNS1_14partition_implILS8_3ELb0ES6_jNS0_17counting_iteratorIjlEEPS9_SE_NS0_5tupleIJPjSE_EEENSF_IJSE_SE_EEES9_SG_JZNS1_25segmented_radix_sort_implINS0_14default_configELb1EPKiPiPKlPlN2at6native12_GLOBAL__N_18offset_tEEE10hipError_tPvRmT1_PNSt15iterator_traitsISY_E10value_typeET2_T3_PNSZ_IS14_E10value_typeET4_jRbjT5_S1A_jjP12ihipStream_tbEUljE_EEESV_SW_SX_S14_S18_S1A_T6_T7_T9_mT8_S1C_bDpT10_ENKUlT_T0_E_clISt17integral_constantIbLb0EES1P_EEDaS1K_S1L_EUlS1K_E_NS1_11comp_targetILNS1_3genE9ELNS1_11target_archE1100ELNS1_3gpuE3ELNS1_3repE0EEENS1_30default_config_static_selectorELNS0_4arch9wavefront6targetE0EEEvSY_.has_indirect_call, 0
	.section	.AMDGPU.csdata,"",@progbits
; Kernel info:
; codeLenInByte = 0
; TotalNumSgprs: 0
; NumVgprs: 0
; ScratchSize: 0
; MemoryBound: 0
; FloatMode: 240
; IeeeMode: 1
; LDSByteSize: 0 bytes/workgroup (compile time only)
; SGPRBlocks: 0
; VGPRBlocks: 0
; NumSGPRsForWavesPerEU: 1
; NumVGPRsForWavesPerEU: 1
; NamedBarCnt: 0
; Occupancy: 16
; WaveLimiterHint : 0
; COMPUTE_PGM_RSRC2:SCRATCH_EN: 0
; COMPUTE_PGM_RSRC2:USER_SGPR: 2
; COMPUTE_PGM_RSRC2:TRAP_HANDLER: 0
; COMPUTE_PGM_RSRC2:TGID_X_EN: 1
; COMPUTE_PGM_RSRC2:TGID_Y_EN: 0
; COMPUTE_PGM_RSRC2:TGID_Z_EN: 0
; COMPUTE_PGM_RSRC2:TIDIG_COMP_CNT: 0
	.section	.text._ZN7rocprim17ROCPRIM_400000_NS6detail17trampoline_kernelINS0_13select_configILj256ELj13ELNS0_17block_load_methodE3ELS4_3ELS4_3ELNS0_20block_scan_algorithmE0ELj4294967295EEENS1_25partition_config_selectorILNS1_17partition_subalgoE3EjNS0_10empty_typeEbEEZZNS1_14partition_implILS8_3ELb0ES6_jNS0_17counting_iteratorIjlEEPS9_SE_NS0_5tupleIJPjSE_EEENSF_IJSE_SE_EEES9_SG_JZNS1_25segmented_radix_sort_implINS0_14default_configELb1EPKiPiPKlPlN2at6native12_GLOBAL__N_18offset_tEEE10hipError_tPvRmT1_PNSt15iterator_traitsISY_E10value_typeET2_T3_PNSZ_IS14_E10value_typeET4_jRbjT5_S1A_jjP12ihipStream_tbEUljE_EEESV_SW_SX_S14_S18_S1A_T6_T7_T9_mT8_S1C_bDpT10_ENKUlT_T0_E_clISt17integral_constantIbLb0EES1P_EEDaS1K_S1L_EUlS1K_E_NS1_11comp_targetILNS1_3genE8ELNS1_11target_archE1030ELNS1_3gpuE2ELNS1_3repE0EEENS1_30default_config_static_selectorELNS0_4arch9wavefront6targetE0EEEvSY_,"axG",@progbits,_ZN7rocprim17ROCPRIM_400000_NS6detail17trampoline_kernelINS0_13select_configILj256ELj13ELNS0_17block_load_methodE3ELS4_3ELS4_3ELNS0_20block_scan_algorithmE0ELj4294967295EEENS1_25partition_config_selectorILNS1_17partition_subalgoE3EjNS0_10empty_typeEbEEZZNS1_14partition_implILS8_3ELb0ES6_jNS0_17counting_iteratorIjlEEPS9_SE_NS0_5tupleIJPjSE_EEENSF_IJSE_SE_EEES9_SG_JZNS1_25segmented_radix_sort_implINS0_14default_configELb1EPKiPiPKlPlN2at6native12_GLOBAL__N_18offset_tEEE10hipError_tPvRmT1_PNSt15iterator_traitsISY_E10value_typeET2_T3_PNSZ_IS14_E10value_typeET4_jRbjT5_S1A_jjP12ihipStream_tbEUljE_EEESV_SW_SX_S14_S18_S1A_T6_T7_T9_mT8_S1C_bDpT10_ENKUlT_T0_E_clISt17integral_constantIbLb0EES1P_EEDaS1K_S1L_EUlS1K_E_NS1_11comp_targetILNS1_3genE8ELNS1_11target_archE1030ELNS1_3gpuE2ELNS1_3repE0EEENS1_30default_config_static_selectorELNS0_4arch9wavefront6targetE0EEEvSY_,comdat
	.globl	_ZN7rocprim17ROCPRIM_400000_NS6detail17trampoline_kernelINS0_13select_configILj256ELj13ELNS0_17block_load_methodE3ELS4_3ELS4_3ELNS0_20block_scan_algorithmE0ELj4294967295EEENS1_25partition_config_selectorILNS1_17partition_subalgoE3EjNS0_10empty_typeEbEEZZNS1_14partition_implILS8_3ELb0ES6_jNS0_17counting_iteratorIjlEEPS9_SE_NS0_5tupleIJPjSE_EEENSF_IJSE_SE_EEES9_SG_JZNS1_25segmented_radix_sort_implINS0_14default_configELb1EPKiPiPKlPlN2at6native12_GLOBAL__N_18offset_tEEE10hipError_tPvRmT1_PNSt15iterator_traitsISY_E10value_typeET2_T3_PNSZ_IS14_E10value_typeET4_jRbjT5_S1A_jjP12ihipStream_tbEUljE_EEESV_SW_SX_S14_S18_S1A_T6_T7_T9_mT8_S1C_bDpT10_ENKUlT_T0_E_clISt17integral_constantIbLb0EES1P_EEDaS1K_S1L_EUlS1K_E_NS1_11comp_targetILNS1_3genE8ELNS1_11target_archE1030ELNS1_3gpuE2ELNS1_3repE0EEENS1_30default_config_static_selectorELNS0_4arch9wavefront6targetE0EEEvSY_ ; -- Begin function _ZN7rocprim17ROCPRIM_400000_NS6detail17trampoline_kernelINS0_13select_configILj256ELj13ELNS0_17block_load_methodE3ELS4_3ELS4_3ELNS0_20block_scan_algorithmE0ELj4294967295EEENS1_25partition_config_selectorILNS1_17partition_subalgoE3EjNS0_10empty_typeEbEEZZNS1_14partition_implILS8_3ELb0ES6_jNS0_17counting_iteratorIjlEEPS9_SE_NS0_5tupleIJPjSE_EEENSF_IJSE_SE_EEES9_SG_JZNS1_25segmented_radix_sort_implINS0_14default_configELb1EPKiPiPKlPlN2at6native12_GLOBAL__N_18offset_tEEE10hipError_tPvRmT1_PNSt15iterator_traitsISY_E10value_typeET2_T3_PNSZ_IS14_E10value_typeET4_jRbjT5_S1A_jjP12ihipStream_tbEUljE_EEESV_SW_SX_S14_S18_S1A_T6_T7_T9_mT8_S1C_bDpT10_ENKUlT_T0_E_clISt17integral_constantIbLb0EES1P_EEDaS1K_S1L_EUlS1K_E_NS1_11comp_targetILNS1_3genE8ELNS1_11target_archE1030ELNS1_3gpuE2ELNS1_3repE0EEENS1_30default_config_static_selectorELNS0_4arch9wavefront6targetE0EEEvSY_
	.p2align	8
	.type	_ZN7rocprim17ROCPRIM_400000_NS6detail17trampoline_kernelINS0_13select_configILj256ELj13ELNS0_17block_load_methodE3ELS4_3ELS4_3ELNS0_20block_scan_algorithmE0ELj4294967295EEENS1_25partition_config_selectorILNS1_17partition_subalgoE3EjNS0_10empty_typeEbEEZZNS1_14partition_implILS8_3ELb0ES6_jNS0_17counting_iteratorIjlEEPS9_SE_NS0_5tupleIJPjSE_EEENSF_IJSE_SE_EEES9_SG_JZNS1_25segmented_radix_sort_implINS0_14default_configELb1EPKiPiPKlPlN2at6native12_GLOBAL__N_18offset_tEEE10hipError_tPvRmT1_PNSt15iterator_traitsISY_E10value_typeET2_T3_PNSZ_IS14_E10value_typeET4_jRbjT5_S1A_jjP12ihipStream_tbEUljE_EEESV_SW_SX_S14_S18_S1A_T6_T7_T9_mT8_S1C_bDpT10_ENKUlT_T0_E_clISt17integral_constantIbLb0EES1P_EEDaS1K_S1L_EUlS1K_E_NS1_11comp_targetILNS1_3genE8ELNS1_11target_archE1030ELNS1_3gpuE2ELNS1_3repE0EEENS1_30default_config_static_selectorELNS0_4arch9wavefront6targetE0EEEvSY_,@function
_ZN7rocprim17ROCPRIM_400000_NS6detail17trampoline_kernelINS0_13select_configILj256ELj13ELNS0_17block_load_methodE3ELS4_3ELS4_3ELNS0_20block_scan_algorithmE0ELj4294967295EEENS1_25partition_config_selectorILNS1_17partition_subalgoE3EjNS0_10empty_typeEbEEZZNS1_14partition_implILS8_3ELb0ES6_jNS0_17counting_iteratorIjlEEPS9_SE_NS0_5tupleIJPjSE_EEENSF_IJSE_SE_EEES9_SG_JZNS1_25segmented_radix_sort_implINS0_14default_configELb1EPKiPiPKlPlN2at6native12_GLOBAL__N_18offset_tEEE10hipError_tPvRmT1_PNSt15iterator_traitsISY_E10value_typeET2_T3_PNSZ_IS14_E10value_typeET4_jRbjT5_S1A_jjP12ihipStream_tbEUljE_EEESV_SW_SX_S14_S18_S1A_T6_T7_T9_mT8_S1C_bDpT10_ENKUlT_T0_E_clISt17integral_constantIbLb0EES1P_EEDaS1K_S1L_EUlS1K_E_NS1_11comp_targetILNS1_3genE8ELNS1_11target_archE1030ELNS1_3gpuE2ELNS1_3repE0EEENS1_30default_config_static_selectorELNS0_4arch9wavefront6targetE0EEEvSY_: ; @_ZN7rocprim17ROCPRIM_400000_NS6detail17trampoline_kernelINS0_13select_configILj256ELj13ELNS0_17block_load_methodE3ELS4_3ELS4_3ELNS0_20block_scan_algorithmE0ELj4294967295EEENS1_25partition_config_selectorILNS1_17partition_subalgoE3EjNS0_10empty_typeEbEEZZNS1_14partition_implILS8_3ELb0ES6_jNS0_17counting_iteratorIjlEEPS9_SE_NS0_5tupleIJPjSE_EEENSF_IJSE_SE_EEES9_SG_JZNS1_25segmented_radix_sort_implINS0_14default_configELb1EPKiPiPKlPlN2at6native12_GLOBAL__N_18offset_tEEE10hipError_tPvRmT1_PNSt15iterator_traitsISY_E10value_typeET2_T3_PNSZ_IS14_E10value_typeET4_jRbjT5_S1A_jjP12ihipStream_tbEUljE_EEESV_SW_SX_S14_S18_S1A_T6_T7_T9_mT8_S1C_bDpT10_ENKUlT_T0_E_clISt17integral_constantIbLb0EES1P_EEDaS1K_S1L_EUlS1K_E_NS1_11comp_targetILNS1_3genE8ELNS1_11target_archE1030ELNS1_3gpuE2ELNS1_3repE0EEENS1_30default_config_static_selectorELNS0_4arch9wavefront6targetE0EEEvSY_
; %bb.0:
	.section	.rodata,"a",@progbits
	.p2align	6, 0x0
	.amdhsa_kernel _ZN7rocprim17ROCPRIM_400000_NS6detail17trampoline_kernelINS0_13select_configILj256ELj13ELNS0_17block_load_methodE3ELS4_3ELS4_3ELNS0_20block_scan_algorithmE0ELj4294967295EEENS1_25partition_config_selectorILNS1_17partition_subalgoE3EjNS0_10empty_typeEbEEZZNS1_14partition_implILS8_3ELb0ES6_jNS0_17counting_iteratorIjlEEPS9_SE_NS0_5tupleIJPjSE_EEENSF_IJSE_SE_EEES9_SG_JZNS1_25segmented_radix_sort_implINS0_14default_configELb1EPKiPiPKlPlN2at6native12_GLOBAL__N_18offset_tEEE10hipError_tPvRmT1_PNSt15iterator_traitsISY_E10value_typeET2_T3_PNSZ_IS14_E10value_typeET4_jRbjT5_S1A_jjP12ihipStream_tbEUljE_EEESV_SW_SX_S14_S18_S1A_T6_T7_T9_mT8_S1C_bDpT10_ENKUlT_T0_E_clISt17integral_constantIbLb0EES1P_EEDaS1K_S1L_EUlS1K_E_NS1_11comp_targetILNS1_3genE8ELNS1_11target_archE1030ELNS1_3gpuE2ELNS1_3repE0EEENS1_30default_config_static_selectorELNS0_4arch9wavefront6targetE0EEEvSY_
		.amdhsa_group_segment_fixed_size 0
		.amdhsa_private_segment_fixed_size 0
		.amdhsa_kernarg_size 144
		.amdhsa_user_sgpr_count 2
		.amdhsa_user_sgpr_dispatch_ptr 0
		.amdhsa_user_sgpr_queue_ptr 0
		.amdhsa_user_sgpr_kernarg_segment_ptr 1
		.amdhsa_user_sgpr_dispatch_id 0
		.amdhsa_user_sgpr_kernarg_preload_length 0
		.amdhsa_user_sgpr_kernarg_preload_offset 0
		.amdhsa_user_sgpr_private_segment_size 0
		.amdhsa_wavefront_size32 1
		.amdhsa_uses_dynamic_stack 0
		.amdhsa_enable_private_segment 0
		.amdhsa_system_sgpr_workgroup_id_x 1
		.amdhsa_system_sgpr_workgroup_id_y 0
		.amdhsa_system_sgpr_workgroup_id_z 0
		.amdhsa_system_sgpr_workgroup_info 0
		.amdhsa_system_vgpr_workitem_id 0
		.amdhsa_next_free_vgpr 1
		.amdhsa_next_free_sgpr 1
		.amdhsa_named_barrier_count 0
		.amdhsa_reserve_vcc 0
		.amdhsa_float_round_mode_32 0
		.amdhsa_float_round_mode_16_64 0
		.amdhsa_float_denorm_mode_32 3
		.amdhsa_float_denorm_mode_16_64 3
		.amdhsa_fp16_overflow 0
		.amdhsa_memory_ordered 1
		.amdhsa_forward_progress 1
		.amdhsa_inst_pref_size 0
		.amdhsa_round_robin_scheduling 0
		.amdhsa_exception_fp_ieee_invalid_op 0
		.amdhsa_exception_fp_denorm_src 0
		.amdhsa_exception_fp_ieee_div_zero 0
		.amdhsa_exception_fp_ieee_overflow 0
		.amdhsa_exception_fp_ieee_underflow 0
		.amdhsa_exception_fp_ieee_inexact 0
		.amdhsa_exception_int_div_zero 0
	.end_amdhsa_kernel
	.section	.text._ZN7rocprim17ROCPRIM_400000_NS6detail17trampoline_kernelINS0_13select_configILj256ELj13ELNS0_17block_load_methodE3ELS4_3ELS4_3ELNS0_20block_scan_algorithmE0ELj4294967295EEENS1_25partition_config_selectorILNS1_17partition_subalgoE3EjNS0_10empty_typeEbEEZZNS1_14partition_implILS8_3ELb0ES6_jNS0_17counting_iteratorIjlEEPS9_SE_NS0_5tupleIJPjSE_EEENSF_IJSE_SE_EEES9_SG_JZNS1_25segmented_radix_sort_implINS0_14default_configELb1EPKiPiPKlPlN2at6native12_GLOBAL__N_18offset_tEEE10hipError_tPvRmT1_PNSt15iterator_traitsISY_E10value_typeET2_T3_PNSZ_IS14_E10value_typeET4_jRbjT5_S1A_jjP12ihipStream_tbEUljE_EEESV_SW_SX_S14_S18_S1A_T6_T7_T9_mT8_S1C_bDpT10_ENKUlT_T0_E_clISt17integral_constantIbLb0EES1P_EEDaS1K_S1L_EUlS1K_E_NS1_11comp_targetILNS1_3genE8ELNS1_11target_archE1030ELNS1_3gpuE2ELNS1_3repE0EEENS1_30default_config_static_selectorELNS0_4arch9wavefront6targetE0EEEvSY_,"axG",@progbits,_ZN7rocprim17ROCPRIM_400000_NS6detail17trampoline_kernelINS0_13select_configILj256ELj13ELNS0_17block_load_methodE3ELS4_3ELS4_3ELNS0_20block_scan_algorithmE0ELj4294967295EEENS1_25partition_config_selectorILNS1_17partition_subalgoE3EjNS0_10empty_typeEbEEZZNS1_14partition_implILS8_3ELb0ES6_jNS0_17counting_iteratorIjlEEPS9_SE_NS0_5tupleIJPjSE_EEENSF_IJSE_SE_EEES9_SG_JZNS1_25segmented_radix_sort_implINS0_14default_configELb1EPKiPiPKlPlN2at6native12_GLOBAL__N_18offset_tEEE10hipError_tPvRmT1_PNSt15iterator_traitsISY_E10value_typeET2_T3_PNSZ_IS14_E10value_typeET4_jRbjT5_S1A_jjP12ihipStream_tbEUljE_EEESV_SW_SX_S14_S18_S1A_T6_T7_T9_mT8_S1C_bDpT10_ENKUlT_T0_E_clISt17integral_constantIbLb0EES1P_EEDaS1K_S1L_EUlS1K_E_NS1_11comp_targetILNS1_3genE8ELNS1_11target_archE1030ELNS1_3gpuE2ELNS1_3repE0EEENS1_30default_config_static_selectorELNS0_4arch9wavefront6targetE0EEEvSY_,comdat
.Lfunc_end468:
	.size	_ZN7rocprim17ROCPRIM_400000_NS6detail17trampoline_kernelINS0_13select_configILj256ELj13ELNS0_17block_load_methodE3ELS4_3ELS4_3ELNS0_20block_scan_algorithmE0ELj4294967295EEENS1_25partition_config_selectorILNS1_17partition_subalgoE3EjNS0_10empty_typeEbEEZZNS1_14partition_implILS8_3ELb0ES6_jNS0_17counting_iteratorIjlEEPS9_SE_NS0_5tupleIJPjSE_EEENSF_IJSE_SE_EEES9_SG_JZNS1_25segmented_radix_sort_implINS0_14default_configELb1EPKiPiPKlPlN2at6native12_GLOBAL__N_18offset_tEEE10hipError_tPvRmT1_PNSt15iterator_traitsISY_E10value_typeET2_T3_PNSZ_IS14_E10value_typeET4_jRbjT5_S1A_jjP12ihipStream_tbEUljE_EEESV_SW_SX_S14_S18_S1A_T6_T7_T9_mT8_S1C_bDpT10_ENKUlT_T0_E_clISt17integral_constantIbLb0EES1P_EEDaS1K_S1L_EUlS1K_E_NS1_11comp_targetILNS1_3genE8ELNS1_11target_archE1030ELNS1_3gpuE2ELNS1_3repE0EEENS1_30default_config_static_selectorELNS0_4arch9wavefront6targetE0EEEvSY_, .Lfunc_end468-_ZN7rocprim17ROCPRIM_400000_NS6detail17trampoline_kernelINS0_13select_configILj256ELj13ELNS0_17block_load_methodE3ELS4_3ELS4_3ELNS0_20block_scan_algorithmE0ELj4294967295EEENS1_25partition_config_selectorILNS1_17partition_subalgoE3EjNS0_10empty_typeEbEEZZNS1_14partition_implILS8_3ELb0ES6_jNS0_17counting_iteratorIjlEEPS9_SE_NS0_5tupleIJPjSE_EEENSF_IJSE_SE_EEES9_SG_JZNS1_25segmented_radix_sort_implINS0_14default_configELb1EPKiPiPKlPlN2at6native12_GLOBAL__N_18offset_tEEE10hipError_tPvRmT1_PNSt15iterator_traitsISY_E10value_typeET2_T3_PNSZ_IS14_E10value_typeET4_jRbjT5_S1A_jjP12ihipStream_tbEUljE_EEESV_SW_SX_S14_S18_S1A_T6_T7_T9_mT8_S1C_bDpT10_ENKUlT_T0_E_clISt17integral_constantIbLb0EES1P_EEDaS1K_S1L_EUlS1K_E_NS1_11comp_targetILNS1_3genE8ELNS1_11target_archE1030ELNS1_3gpuE2ELNS1_3repE0EEENS1_30default_config_static_selectorELNS0_4arch9wavefront6targetE0EEEvSY_
                                        ; -- End function
	.set _ZN7rocprim17ROCPRIM_400000_NS6detail17trampoline_kernelINS0_13select_configILj256ELj13ELNS0_17block_load_methodE3ELS4_3ELS4_3ELNS0_20block_scan_algorithmE0ELj4294967295EEENS1_25partition_config_selectorILNS1_17partition_subalgoE3EjNS0_10empty_typeEbEEZZNS1_14partition_implILS8_3ELb0ES6_jNS0_17counting_iteratorIjlEEPS9_SE_NS0_5tupleIJPjSE_EEENSF_IJSE_SE_EEES9_SG_JZNS1_25segmented_radix_sort_implINS0_14default_configELb1EPKiPiPKlPlN2at6native12_GLOBAL__N_18offset_tEEE10hipError_tPvRmT1_PNSt15iterator_traitsISY_E10value_typeET2_T3_PNSZ_IS14_E10value_typeET4_jRbjT5_S1A_jjP12ihipStream_tbEUljE_EEESV_SW_SX_S14_S18_S1A_T6_T7_T9_mT8_S1C_bDpT10_ENKUlT_T0_E_clISt17integral_constantIbLb0EES1P_EEDaS1K_S1L_EUlS1K_E_NS1_11comp_targetILNS1_3genE8ELNS1_11target_archE1030ELNS1_3gpuE2ELNS1_3repE0EEENS1_30default_config_static_selectorELNS0_4arch9wavefront6targetE0EEEvSY_.num_vgpr, 0
	.set _ZN7rocprim17ROCPRIM_400000_NS6detail17trampoline_kernelINS0_13select_configILj256ELj13ELNS0_17block_load_methodE3ELS4_3ELS4_3ELNS0_20block_scan_algorithmE0ELj4294967295EEENS1_25partition_config_selectorILNS1_17partition_subalgoE3EjNS0_10empty_typeEbEEZZNS1_14partition_implILS8_3ELb0ES6_jNS0_17counting_iteratorIjlEEPS9_SE_NS0_5tupleIJPjSE_EEENSF_IJSE_SE_EEES9_SG_JZNS1_25segmented_radix_sort_implINS0_14default_configELb1EPKiPiPKlPlN2at6native12_GLOBAL__N_18offset_tEEE10hipError_tPvRmT1_PNSt15iterator_traitsISY_E10value_typeET2_T3_PNSZ_IS14_E10value_typeET4_jRbjT5_S1A_jjP12ihipStream_tbEUljE_EEESV_SW_SX_S14_S18_S1A_T6_T7_T9_mT8_S1C_bDpT10_ENKUlT_T0_E_clISt17integral_constantIbLb0EES1P_EEDaS1K_S1L_EUlS1K_E_NS1_11comp_targetILNS1_3genE8ELNS1_11target_archE1030ELNS1_3gpuE2ELNS1_3repE0EEENS1_30default_config_static_selectorELNS0_4arch9wavefront6targetE0EEEvSY_.num_agpr, 0
	.set _ZN7rocprim17ROCPRIM_400000_NS6detail17trampoline_kernelINS0_13select_configILj256ELj13ELNS0_17block_load_methodE3ELS4_3ELS4_3ELNS0_20block_scan_algorithmE0ELj4294967295EEENS1_25partition_config_selectorILNS1_17partition_subalgoE3EjNS0_10empty_typeEbEEZZNS1_14partition_implILS8_3ELb0ES6_jNS0_17counting_iteratorIjlEEPS9_SE_NS0_5tupleIJPjSE_EEENSF_IJSE_SE_EEES9_SG_JZNS1_25segmented_radix_sort_implINS0_14default_configELb1EPKiPiPKlPlN2at6native12_GLOBAL__N_18offset_tEEE10hipError_tPvRmT1_PNSt15iterator_traitsISY_E10value_typeET2_T3_PNSZ_IS14_E10value_typeET4_jRbjT5_S1A_jjP12ihipStream_tbEUljE_EEESV_SW_SX_S14_S18_S1A_T6_T7_T9_mT8_S1C_bDpT10_ENKUlT_T0_E_clISt17integral_constantIbLb0EES1P_EEDaS1K_S1L_EUlS1K_E_NS1_11comp_targetILNS1_3genE8ELNS1_11target_archE1030ELNS1_3gpuE2ELNS1_3repE0EEENS1_30default_config_static_selectorELNS0_4arch9wavefront6targetE0EEEvSY_.numbered_sgpr, 0
	.set _ZN7rocprim17ROCPRIM_400000_NS6detail17trampoline_kernelINS0_13select_configILj256ELj13ELNS0_17block_load_methodE3ELS4_3ELS4_3ELNS0_20block_scan_algorithmE0ELj4294967295EEENS1_25partition_config_selectorILNS1_17partition_subalgoE3EjNS0_10empty_typeEbEEZZNS1_14partition_implILS8_3ELb0ES6_jNS0_17counting_iteratorIjlEEPS9_SE_NS0_5tupleIJPjSE_EEENSF_IJSE_SE_EEES9_SG_JZNS1_25segmented_radix_sort_implINS0_14default_configELb1EPKiPiPKlPlN2at6native12_GLOBAL__N_18offset_tEEE10hipError_tPvRmT1_PNSt15iterator_traitsISY_E10value_typeET2_T3_PNSZ_IS14_E10value_typeET4_jRbjT5_S1A_jjP12ihipStream_tbEUljE_EEESV_SW_SX_S14_S18_S1A_T6_T7_T9_mT8_S1C_bDpT10_ENKUlT_T0_E_clISt17integral_constantIbLb0EES1P_EEDaS1K_S1L_EUlS1K_E_NS1_11comp_targetILNS1_3genE8ELNS1_11target_archE1030ELNS1_3gpuE2ELNS1_3repE0EEENS1_30default_config_static_selectorELNS0_4arch9wavefront6targetE0EEEvSY_.num_named_barrier, 0
	.set _ZN7rocprim17ROCPRIM_400000_NS6detail17trampoline_kernelINS0_13select_configILj256ELj13ELNS0_17block_load_methodE3ELS4_3ELS4_3ELNS0_20block_scan_algorithmE0ELj4294967295EEENS1_25partition_config_selectorILNS1_17partition_subalgoE3EjNS0_10empty_typeEbEEZZNS1_14partition_implILS8_3ELb0ES6_jNS0_17counting_iteratorIjlEEPS9_SE_NS0_5tupleIJPjSE_EEENSF_IJSE_SE_EEES9_SG_JZNS1_25segmented_radix_sort_implINS0_14default_configELb1EPKiPiPKlPlN2at6native12_GLOBAL__N_18offset_tEEE10hipError_tPvRmT1_PNSt15iterator_traitsISY_E10value_typeET2_T3_PNSZ_IS14_E10value_typeET4_jRbjT5_S1A_jjP12ihipStream_tbEUljE_EEESV_SW_SX_S14_S18_S1A_T6_T7_T9_mT8_S1C_bDpT10_ENKUlT_T0_E_clISt17integral_constantIbLb0EES1P_EEDaS1K_S1L_EUlS1K_E_NS1_11comp_targetILNS1_3genE8ELNS1_11target_archE1030ELNS1_3gpuE2ELNS1_3repE0EEENS1_30default_config_static_selectorELNS0_4arch9wavefront6targetE0EEEvSY_.private_seg_size, 0
	.set _ZN7rocprim17ROCPRIM_400000_NS6detail17trampoline_kernelINS0_13select_configILj256ELj13ELNS0_17block_load_methodE3ELS4_3ELS4_3ELNS0_20block_scan_algorithmE0ELj4294967295EEENS1_25partition_config_selectorILNS1_17partition_subalgoE3EjNS0_10empty_typeEbEEZZNS1_14partition_implILS8_3ELb0ES6_jNS0_17counting_iteratorIjlEEPS9_SE_NS0_5tupleIJPjSE_EEENSF_IJSE_SE_EEES9_SG_JZNS1_25segmented_radix_sort_implINS0_14default_configELb1EPKiPiPKlPlN2at6native12_GLOBAL__N_18offset_tEEE10hipError_tPvRmT1_PNSt15iterator_traitsISY_E10value_typeET2_T3_PNSZ_IS14_E10value_typeET4_jRbjT5_S1A_jjP12ihipStream_tbEUljE_EEESV_SW_SX_S14_S18_S1A_T6_T7_T9_mT8_S1C_bDpT10_ENKUlT_T0_E_clISt17integral_constantIbLb0EES1P_EEDaS1K_S1L_EUlS1K_E_NS1_11comp_targetILNS1_3genE8ELNS1_11target_archE1030ELNS1_3gpuE2ELNS1_3repE0EEENS1_30default_config_static_selectorELNS0_4arch9wavefront6targetE0EEEvSY_.uses_vcc, 0
	.set _ZN7rocprim17ROCPRIM_400000_NS6detail17trampoline_kernelINS0_13select_configILj256ELj13ELNS0_17block_load_methodE3ELS4_3ELS4_3ELNS0_20block_scan_algorithmE0ELj4294967295EEENS1_25partition_config_selectorILNS1_17partition_subalgoE3EjNS0_10empty_typeEbEEZZNS1_14partition_implILS8_3ELb0ES6_jNS0_17counting_iteratorIjlEEPS9_SE_NS0_5tupleIJPjSE_EEENSF_IJSE_SE_EEES9_SG_JZNS1_25segmented_radix_sort_implINS0_14default_configELb1EPKiPiPKlPlN2at6native12_GLOBAL__N_18offset_tEEE10hipError_tPvRmT1_PNSt15iterator_traitsISY_E10value_typeET2_T3_PNSZ_IS14_E10value_typeET4_jRbjT5_S1A_jjP12ihipStream_tbEUljE_EEESV_SW_SX_S14_S18_S1A_T6_T7_T9_mT8_S1C_bDpT10_ENKUlT_T0_E_clISt17integral_constantIbLb0EES1P_EEDaS1K_S1L_EUlS1K_E_NS1_11comp_targetILNS1_3genE8ELNS1_11target_archE1030ELNS1_3gpuE2ELNS1_3repE0EEENS1_30default_config_static_selectorELNS0_4arch9wavefront6targetE0EEEvSY_.uses_flat_scratch, 0
	.set _ZN7rocprim17ROCPRIM_400000_NS6detail17trampoline_kernelINS0_13select_configILj256ELj13ELNS0_17block_load_methodE3ELS4_3ELS4_3ELNS0_20block_scan_algorithmE0ELj4294967295EEENS1_25partition_config_selectorILNS1_17partition_subalgoE3EjNS0_10empty_typeEbEEZZNS1_14partition_implILS8_3ELb0ES6_jNS0_17counting_iteratorIjlEEPS9_SE_NS0_5tupleIJPjSE_EEENSF_IJSE_SE_EEES9_SG_JZNS1_25segmented_radix_sort_implINS0_14default_configELb1EPKiPiPKlPlN2at6native12_GLOBAL__N_18offset_tEEE10hipError_tPvRmT1_PNSt15iterator_traitsISY_E10value_typeET2_T3_PNSZ_IS14_E10value_typeET4_jRbjT5_S1A_jjP12ihipStream_tbEUljE_EEESV_SW_SX_S14_S18_S1A_T6_T7_T9_mT8_S1C_bDpT10_ENKUlT_T0_E_clISt17integral_constantIbLb0EES1P_EEDaS1K_S1L_EUlS1K_E_NS1_11comp_targetILNS1_3genE8ELNS1_11target_archE1030ELNS1_3gpuE2ELNS1_3repE0EEENS1_30default_config_static_selectorELNS0_4arch9wavefront6targetE0EEEvSY_.has_dyn_sized_stack, 0
	.set _ZN7rocprim17ROCPRIM_400000_NS6detail17trampoline_kernelINS0_13select_configILj256ELj13ELNS0_17block_load_methodE3ELS4_3ELS4_3ELNS0_20block_scan_algorithmE0ELj4294967295EEENS1_25partition_config_selectorILNS1_17partition_subalgoE3EjNS0_10empty_typeEbEEZZNS1_14partition_implILS8_3ELb0ES6_jNS0_17counting_iteratorIjlEEPS9_SE_NS0_5tupleIJPjSE_EEENSF_IJSE_SE_EEES9_SG_JZNS1_25segmented_radix_sort_implINS0_14default_configELb1EPKiPiPKlPlN2at6native12_GLOBAL__N_18offset_tEEE10hipError_tPvRmT1_PNSt15iterator_traitsISY_E10value_typeET2_T3_PNSZ_IS14_E10value_typeET4_jRbjT5_S1A_jjP12ihipStream_tbEUljE_EEESV_SW_SX_S14_S18_S1A_T6_T7_T9_mT8_S1C_bDpT10_ENKUlT_T0_E_clISt17integral_constantIbLb0EES1P_EEDaS1K_S1L_EUlS1K_E_NS1_11comp_targetILNS1_3genE8ELNS1_11target_archE1030ELNS1_3gpuE2ELNS1_3repE0EEENS1_30default_config_static_selectorELNS0_4arch9wavefront6targetE0EEEvSY_.has_recursion, 0
	.set _ZN7rocprim17ROCPRIM_400000_NS6detail17trampoline_kernelINS0_13select_configILj256ELj13ELNS0_17block_load_methodE3ELS4_3ELS4_3ELNS0_20block_scan_algorithmE0ELj4294967295EEENS1_25partition_config_selectorILNS1_17partition_subalgoE3EjNS0_10empty_typeEbEEZZNS1_14partition_implILS8_3ELb0ES6_jNS0_17counting_iteratorIjlEEPS9_SE_NS0_5tupleIJPjSE_EEENSF_IJSE_SE_EEES9_SG_JZNS1_25segmented_radix_sort_implINS0_14default_configELb1EPKiPiPKlPlN2at6native12_GLOBAL__N_18offset_tEEE10hipError_tPvRmT1_PNSt15iterator_traitsISY_E10value_typeET2_T3_PNSZ_IS14_E10value_typeET4_jRbjT5_S1A_jjP12ihipStream_tbEUljE_EEESV_SW_SX_S14_S18_S1A_T6_T7_T9_mT8_S1C_bDpT10_ENKUlT_T0_E_clISt17integral_constantIbLb0EES1P_EEDaS1K_S1L_EUlS1K_E_NS1_11comp_targetILNS1_3genE8ELNS1_11target_archE1030ELNS1_3gpuE2ELNS1_3repE0EEENS1_30default_config_static_selectorELNS0_4arch9wavefront6targetE0EEEvSY_.has_indirect_call, 0
	.section	.AMDGPU.csdata,"",@progbits
; Kernel info:
; codeLenInByte = 0
; TotalNumSgprs: 0
; NumVgprs: 0
; ScratchSize: 0
; MemoryBound: 0
; FloatMode: 240
; IeeeMode: 1
; LDSByteSize: 0 bytes/workgroup (compile time only)
; SGPRBlocks: 0
; VGPRBlocks: 0
; NumSGPRsForWavesPerEU: 1
; NumVGPRsForWavesPerEU: 1
; NamedBarCnt: 0
; Occupancy: 16
; WaveLimiterHint : 0
; COMPUTE_PGM_RSRC2:SCRATCH_EN: 0
; COMPUTE_PGM_RSRC2:USER_SGPR: 2
; COMPUTE_PGM_RSRC2:TRAP_HANDLER: 0
; COMPUTE_PGM_RSRC2:TGID_X_EN: 1
; COMPUTE_PGM_RSRC2:TGID_Y_EN: 0
; COMPUTE_PGM_RSRC2:TGID_Z_EN: 0
; COMPUTE_PGM_RSRC2:TIDIG_COMP_CNT: 0
	.section	.text._ZN7rocprim17ROCPRIM_400000_NS6detail17trampoline_kernelINS0_13select_configILj256ELj13ELNS0_17block_load_methodE3ELS4_3ELS4_3ELNS0_20block_scan_algorithmE0ELj4294967295EEENS1_25partition_config_selectorILNS1_17partition_subalgoE3EjNS0_10empty_typeEbEEZZNS1_14partition_implILS8_3ELb0ES6_jNS0_17counting_iteratorIjlEEPS9_SE_NS0_5tupleIJPjSE_EEENSF_IJSE_SE_EEES9_SG_JZNS1_25segmented_radix_sort_implINS0_14default_configELb1EPKiPiPKlPlN2at6native12_GLOBAL__N_18offset_tEEE10hipError_tPvRmT1_PNSt15iterator_traitsISY_E10value_typeET2_T3_PNSZ_IS14_E10value_typeET4_jRbjT5_S1A_jjP12ihipStream_tbEUljE_EEESV_SW_SX_S14_S18_S1A_T6_T7_T9_mT8_S1C_bDpT10_ENKUlT_T0_E_clISt17integral_constantIbLb1EES1P_EEDaS1K_S1L_EUlS1K_E_NS1_11comp_targetILNS1_3genE0ELNS1_11target_archE4294967295ELNS1_3gpuE0ELNS1_3repE0EEENS1_30default_config_static_selectorELNS0_4arch9wavefront6targetE0EEEvSY_,"axG",@progbits,_ZN7rocprim17ROCPRIM_400000_NS6detail17trampoline_kernelINS0_13select_configILj256ELj13ELNS0_17block_load_methodE3ELS4_3ELS4_3ELNS0_20block_scan_algorithmE0ELj4294967295EEENS1_25partition_config_selectorILNS1_17partition_subalgoE3EjNS0_10empty_typeEbEEZZNS1_14partition_implILS8_3ELb0ES6_jNS0_17counting_iteratorIjlEEPS9_SE_NS0_5tupleIJPjSE_EEENSF_IJSE_SE_EEES9_SG_JZNS1_25segmented_radix_sort_implINS0_14default_configELb1EPKiPiPKlPlN2at6native12_GLOBAL__N_18offset_tEEE10hipError_tPvRmT1_PNSt15iterator_traitsISY_E10value_typeET2_T3_PNSZ_IS14_E10value_typeET4_jRbjT5_S1A_jjP12ihipStream_tbEUljE_EEESV_SW_SX_S14_S18_S1A_T6_T7_T9_mT8_S1C_bDpT10_ENKUlT_T0_E_clISt17integral_constantIbLb1EES1P_EEDaS1K_S1L_EUlS1K_E_NS1_11comp_targetILNS1_3genE0ELNS1_11target_archE4294967295ELNS1_3gpuE0ELNS1_3repE0EEENS1_30default_config_static_selectorELNS0_4arch9wavefront6targetE0EEEvSY_,comdat
	.globl	_ZN7rocprim17ROCPRIM_400000_NS6detail17trampoline_kernelINS0_13select_configILj256ELj13ELNS0_17block_load_methodE3ELS4_3ELS4_3ELNS0_20block_scan_algorithmE0ELj4294967295EEENS1_25partition_config_selectorILNS1_17partition_subalgoE3EjNS0_10empty_typeEbEEZZNS1_14partition_implILS8_3ELb0ES6_jNS0_17counting_iteratorIjlEEPS9_SE_NS0_5tupleIJPjSE_EEENSF_IJSE_SE_EEES9_SG_JZNS1_25segmented_radix_sort_implINS0_14default_configELb1EPKiPiPKlPlN2at6native12_GLOBAL__N_18offset_tEEE10hipError_tPvRmT1_PNSt15iterator_traitsISY_E10value_typeET2_T3_PNSZ_IS14_E10value_typeET4_jRbjT5_S1A_jjP12ihipStream_tbEUljE_EEESV_SW_SX_S14_S18_S1A_T6_T7_T9_mT8_S1C_bDpT10_ENKUlT_T0_E_clISt17integral_constantIbLb1EES1P_EEDaS1K_S1L_EUlS1K_E_NS1_11comp_targetILNS1_3genE0ELNS1_11target_archE4294967295ELNS1_3gpuE0ELNS1_3repE0EEENS1_30default_config_static_selectorELNS0_4arch9wavefront6targetE0EEEvSY_ ; -- Begin function _ZN7rocprim17ROCPRIM_400000_NS6detail17trampoline_kernelINS0_13select_configILj256ELj13ELNS0_17block_load_methodE3ELS4_3ELS4_3ELNS0_20block_scan_algorithmE0ELj4294967295EEENS1_25partition_config_selectorILNS1_17partition_subalgoE3EjNS0_10empty_typeEbEEZZNS1_14partition_implILS8_3ELb0ES6_jNS0_17counting_iteratorIjlEEPS9_SE_NS0_5tupleIJPjSE_EEENSF_IJSE_SE_EEES9_SG_JZNS1_25segmented_radix_sort_implINS0_14default_configELb1EPKiPiPKlPlN2at6native12_GLOBAL__N_18offset_tEEE10hipError_tPvRmT1_PNSt15iterator_traitsISY_E10value_typeET2_T3_PNSZ_IS14_E10value_typeET4_jRbjT5_S1A_jjP12ihipStream_tbEUljE_EEESV_SW_SX_S14_S18_S1A_T6_T7_T9_mT8_S1C_bDpT10_ENKUlT_T0_E_clISt17integral_constantIbLb1EES1P_EEDaS1K_S1L_EUlS1K_E_NS1_11comp_targetILNS1_3genE0ELNS1_11target_archE4294967295ELNS1_3gpuE0ELNS1_3repE0EEENS1_30default_config_static_selectorELNS0_4arch9wavefront6targetE0EEEvSY_
	.p2align	8
	.type	_ZN7rocprim17ROCPRIM_400000_NS6detail17trampoline_kernelINS0_13select_configILj256ELj13ELNS0_17block_load_methodE3ELS4_3ELS4_3ELNS0_20block_scan_algorithmE0ELj4294967295EEENS1_25partition_config_selectorILNS1_17partition_subalgoE3EjNS0_10empty_typeEbEEZZNS1_14partition_implILS8_3ELb0ES6_jNS0_17counting_iteratorIjlEEPS9_SE_NS0_5tupleIJPjSE_EEENSF_IJSE_SE_EEES9_SG_JZNS1_25segmented_radix_sort_implINS0_14default_configELb1EPKiPiPKlPlN2at6native12_GLOBAL__N_18offset_tEEE10hipError_tPvRmT1_PNSt15iterator_traitsISY_E10value_typeET2_T3_PNSZ_IS14_E10value_typeET4_jRbjT5_S1A_jjP12ihipStream_tbEUljE_EEESV_SW_SX_S14_S18_S1A_T6_T7_T9_mT8_S1C_bDpT10_ENKUlT_T0_E_clISt17integral_constantIbLb1EES1P_EEDaS1K_S1L_EUlS1K_E_NS1_11comp_targetILNS1_3genE0ELNS1_11target_archE4294967295ELNS1_3gpuE0ELNS1_3repE0EEENS1_30default_config_static_selectorELNS0_4arch9wavefront6targetE0EEEvSY_,@function
_ZN7rocprim17ROCPRIM_400000_NS6detail17trampoline_kernelINS0_13select_configILj256ELj13ELNS0_17block_load_methodE3ELS4_3ELS4_3ELNS0_20block_scan_algorithmE0ELj4294967295EEENS1_25partition_config_selectorILNS1_17partition_subalgoE3EjNS0_10empty_typeEbEEZZNS1_14partition_implILS8_3ELb0ES6_jNS0_17counting_iteratorIjlEEPS9_SE_NS0_5tupleIJPjSE_EEENSF_IJSE_SE_EEES9_SG_JZNS1_25segmented_radix_sort_implINS0_14default_configELb1EPKiPiPKlPlN2at6native12_GLOBAL__N_18offset_tEEE10hipError_tPvRmT1_PNSt15iterator_traitsISY_E10value_typeET2_T3_PNSZ_IS14_E10value_typeET4_jRbjT5_S1A_jjP12ihipStream_tbEUljE_EEESV_SW_SX_S14_S18_S1A_T6_T7_T9_mT8_S1C_bDpT10_ENKUlT_T0_E_clISt17integral_constantIbLb1EES1P_EEDaS1K_S1L_EUlS1K_E_NS1_11comp_targetILNS1_3genE0ELNS1_11target_archE4294967295ELNS1_3gpuE0ELNS1_3repE0EEENS1_30default_config_static_selectorELNS0_4arch9wavefront6targetE0EEEvSY_: ; @_ZN7rocprim17ROCPRIM_400000_NS6detail17trampoline_kernelINS0_13select_configILj256ELj13ELNS0_17block_load_methodE3ELS4_3ELS4_3ELNS0_20block_scan_algorithmE0ELj4294967295EEENS1_25partition_config_selectorILNS1_17partition_subalgoE3EjNS0_10empty_typeEbEEZZNS1_14partition_implILS8_3ELb0ES6_jNS0_17counting_iteratorIjlEEPS9_SE_NS0_5tupleIJPjSE_EEENSF_IJSE_SE_EEES9_SG_JZNS1_25segmented_radix_sort_implINS0_14default_configELb1EPKiPiPKlPlN2at6native12_GLOBAL__N_18offset_tEEE10hipError_tPvRmT1_PNSt15iterator_traitsISY_E10value_typeET2_T3_PNSZ_IS14_E10value_typeET4_jRbjT5_S1A_jjP12ihipStream_tbEUljE_EEESV_SW_SX_S14_S18_S1A_T6_T7_T9_mT8_S1C_bDpT10_ENKUlT_T0_E_clISt17integral_constantIbLb1EES1P_EEDaS1K_S1L_EUlS1K_E_NS1_11comp_targetILNS1_3genE0ELNS1_11target_archE4294967295ELNS1_3gpuE0ELNS1_3repE0EEENS1_30default_config_static_selectorELNS0_4arch9wavefront6targetE0EEEvSY_
; %bb.0:
	s_endpgm
	.section	.rodata,"a",@progbits
	.p2align	6, 0x0
	.amdhsa_kernel _ZN7rocprim17ROCPRIM_400000_NS6detail17trampoline_kernelINS0_13select_configILj256ELj13ELNS0_17block_load_methodE3ELS4_3ELS4_3ELNS0_20block_scan_algorithmE0ELj4294967295EEENS1_25partition_config_selectorILNS1_17partition_subalgoE3EjNS0_10empty_typeEbEEZZNS1_14partition_implILS8_3ELb0ES6_jNS0_17counting_iteratorIjlEEPS9_SE_NS0_5tupleIJPjSE_EEENSF_IJSE_SE_EEES9_SG_JZNS1_25segmented_radix_sort_implINS0_14default_configELb1EPKiPiPKlPlN2at6native12_GLOBAL__N_18offset_tEEE10hipError_tPvRmT1_PNSt15iterator_traitsISY_E10value_typeET2_T3_PNSZ_IS14_E10value_typeET4_jRbjT5_S1A_jjP12ihipStream_tbEUljE_EEESV_SW_SX_S14_S18_S1A_T6_T7_T9_mT8_S1C_bDpT10_ENKUlT_T0_E_clISt17integral_constantIbLb1EES1P_EEDaS1K_S1L_EUlS1K_E_NS1_11comp_targetILNS1_3genE0ELNS1_11target_archE4294967295ELNS1_3gpuE0ELNS1_3repE0EEENS1_30default_config_static_selectorELNS0_4arch9wavefront6targetE0EEEvSY_
		.amdhsa_group_segment_fixed_size 0
		.amdhsa_private_segment_fixed_size 0
		.amdhsa_kernarg_size 152
		.amdhsa_user_sgpr_count 2
		.amdhsa_user_sgpr_dispatch_ptr 0
		.amdhsa_user_sgpr_queue_ptr 0
		.amdhsa_user_sgpr_kernarg_segment_ptr 1
		.amdhsa_user_sgpr_dispatch_id 0
		.amdhsa_user_sgpr_kernarg_preload_length 0
		.amdhsa_user_sgpr_kernarg_preload_offset 0
		.amdhsa_user_sgpr_private_segment_size 0
		.amdhsa_wavefront_size32 1
		.amdhsa_uses_dynamic_stack 0
		.amdhsa_enable_private_segment 0
		.amdhsa_system_sgpr_workgroup_id_x 1
		.amdhsa_system_sgpr_workgroup_id_y 0
		.amdhsa_system_sgpr_workgroup_id_z 0
		.amdhsa_system_sgpr_workgroup_info 0
		.amdhsa_system_vgpr_workitem_id 0
		.amdhsa_next_free_vgpr 1
		.amdhsa_next_free_sgpr 1
		.amdhsa_named_barrier_count 0
		.amdhsa_reserve_vcc 0
		.amdhsa_float_round_mode_32 0
		.amdhsa_float_round_mode_16_64 0
		.amdhsa_float_denorm_mode_32 3
		.amdhsa_float_denorm_mode_16_64 3
		.amdhsa_fp16_overflow 0
		.amdhsa_memory_ordered 1
		.amdhsa_forward_progress 1
		.amdhsa_inst_pref_size 1
		.amdhsa_round_robin_scheduling 0
		.amdhsa_exception_fp_ieee_invalid_op 0
		.amdhsa_exception_fp_denorm_src 0
		.amdhsa_exception_fp_ieee_div_zero 0
		.amdhsa_exception_fp_ieee_overflow 0
		.amdhsa_exception_fp_ieee_underflow 0
		.amdhsa_exception_fp_ieee_inexact 0
		.amdhsa_exception_int_div_zero 0
	.end_amdhsa_kernel
	.section	.text._ZN7rocprim17ROCPRIM_400000_NS6detail17trampoline_kernelINS0_13select_configILj256ELj13ELNS0_17block_load_methodE3ELS4_3ELS4_3ELNS0_20block_scan_algorithmE0ELj4294967295EEENS1_25partition_config_selectorILNS1_17partition_subalgoE3EjNS0_10empty_typeEbEEZZNS1_14partition_implILS8_3ELb0ES6_jNS0_17counting_iteratorIjlEEPS9_SE_NS0_5tupleIJPjSE_EEENSF_IJSE_SE_EEES9_SG_JZNS1_25segmented_radix_sort_implINS0_14default_configELb1EPKiPiPKlPlN2at6native12_GLOBAL__N_18offset_tEEE10hipError_tPvRmT1_PNSt15iterator_traitsISY_E10value_typeET2_T3_PNSZ_IS14_E10value_typeET4_jRbjT5_S1A_jjP12ihipStream_tbEUljE_EEESV_SW_SX_S14_S18_S1A_T6_T7_T9_mT8_S1C_bDpT10_ENKUlT_T0_E_clISt17integral_constantIbLb1EES1P_EEDaS1K_S1L_EUlS1K_E_NS1_11comp_targetILNS1_3genE0ELNS1_11target_archE4294967295ELNS1_3gpuE0ELNS1_3repE0EEENS1_30default_config_static_selectorELNS0_4arch9wavefront6targetE0EEEvSY_,"axG",@progbits,_ZN7rocprim17ROCPRIM_400000_NS6detail17trampoline_kernelINS0_13select_configILj256ELj13ELNS0_17block_load_methodE3ELS4_3ELS4_3ELNS0_20block_scan_algorithmE0ELj4294967295EEENS1_25partition_config_selectorILNS1_17partition_subalgoE3EjNS0_10empty_typeEbEEZZNS1_14partition_implILS8_3ELb0ES6_jNS0_17counting_iteratorIjlEEPS9_SE_NS0_5tupleIJPjSE_EEENSF_IJSE_SE_EEES9_SG_JZNS1_25segmented_radix_sort_implINS0_14default_configELb1EPKiPiPKlPlN2at6native12_GLOBAL__N_18offset_tEEE10hipError_tPvRmT1_PNSt15iterator_traitsISY_E10value_typeET2_T3_PNSZ_IS14_E10value_typeET4_jRbjT5_S1A_jjP12ihipStream_tbEUljE_EEESV_SW_SX_S14_S18_S1A_T6_T7_T9_mT8_S1C_bDpT10_ENKUlT_T0_E_clISt17integral_constantIbLb1EES1P_EEDaS1K_S1L_EUlS1K_E_NS1_11comp_targetILNS1_3genE0ELNS1_11target_archE4294967295ELNS1_3gpuE0ELNS1_3repE0EEENS1_30default_config_static_selectorELNS0_4arch9wavefront6targetE0EEEvSY_,comdat
.Lfunc_end469:
	.size	_ZN7rocprim17ROCPRIM_400000_NS6detail17trampoline_kernelINS0_13select_configILj256ELj13ELNS0_17block_load_methodE3ELS4_3ELS4_3ELNS0_20block_scan_algorithmE0ELj4294967295EEENS1_25partition_config_selectorILNS1_17partition_subalgoE3EjNS0_10empty_typeEbEEZZNS1_14partition_implILS8_3ELb0ES6_jNS0_17counting_iteratorIjlEEPS9_SE_NS0_5tupleIJPjSE_EEENSF_IJSE_SE_EEES9_SG_JZNS1_25segmented_radix_sort_implINS0_14default_configELb1EPKiPiPKlPlN2at6native12_GLOBAL__N_18offset_tEEE10hipError_tPvRmT1_PNSt15iterator_traitsISY_E10value_typeET2_T3_PNSZ_IS14_E10value_typeET4_jRbjT5_S1A_jjP12ihipStream_tbEUljE_EEESV_SW_SX_S14_S18_S1A_T6_T7_T9_mT8_S1C_bDpT10_ENKUlT_T0_E_clISt17integral_constantIbLb1EES1P_EEDaS1K_S1L_EUlS1K_E_NS1_11comp_targetILNS1_3genE0ELNS1_11target_archE4294967295ELNS1_3gpuE0ELNS1_3repE0EEENS1_30default_config_static_selectorELNS0_4arch9wavefront6targetE0EEEvSY_, .Lfunc_end469-_ZN7rocprim17ROCPRIM_400000_NS6detail17trampoline_kernelINS0_13select_configILj256ELj13ELNS0_17block_load_methodE3ELS4_3ELS4_3ELNS0_20block_scan_algorithmE0ELj4294967295EEENS1_25partition_config_selectorILNS1_17partition_subalgoE3EjNS0_10empty_typeEbEEZZNS1_14partition_implILS8_3ELb0ES6_jNS0_17counting_iteratorIjlEEPS9_SE_NS0_5tupleIJPjSE_EEENSF_IJSE_SE_EEES9_SG_JZNS1_25segmented_radix_sort_implINS0_14default_configELb1EPKiPiPKlPlN2at6native12_GLOBAL__N_18offset_tEEE10hipError_tPvRmT1_PNSt15iterator_traitsISY_E10value_typeET2_T3_PNSZ_IS14_E10value_typeET4_jRbjT5_S1A_jjP12ihipStream_tbEUljE_EEESV_SW_SX_S14_S18_S1A_T6_T7_T9_mT8_S1C_bDpT10_ENKUlT_T0_E_clISt17integral_constantIbLb1EES1P_EEDaS1K_S1L_EUlS1K_E_NS1_11comp_targetILNS1_3genE0ELNS1_11target_archE4294967295ELNS1_3gpuE0ELNS1_3repE0EEENS1_30default_config_static_selectorELNS0_4arch9wavefront6targetE0EEEvSY_
                                        ; -- End function
	.set _ZN7rocprim17ROCPRIM_400000_NS6detail17trampoline_kernelINS0_13select_configILj256ELj13ELNS0_17block_load_methodE3ELS4_3ELS4_3ELNS0_20block_scan_algorithmE0ELj4294967295EEENS1_25partition_config_selectorILNS1_17partition_subalgoE3EjNS0_10empty_typeEbEEZZNS1_14partition_implILS8_3ELb0ES6_jNS0_17counting_iteratorIjlEEPS9_SE_NS0_5tupleIJPjSE_EEENSF_IJSE_SE_EEES9_SG_JZNS1_25segmented_radix_sort_implINS0_14default_configELb1EPKiPiPKlPlN2at6native12_GLOBAL__N_18offset_tEEE10hipError_tPvRmT1_PNSt15iterator_traitsISY_E10value_typeET2_T3_PNSZ_IS14_E10value_typeET4_jRbjT5_S1A_jjP12ihipStream_tbEUljE_EEESV_SW_SX_S14_S18_S1A_T6_T7_T9_mT8_S1C_bDpT10_ENKUlT_T0_E_clISt17integral_constantIbLb1EES1P_EEDaS1K_S1L_EUlS1K_E_NS1_11comp_targetILNS1_3genE0ELNS1_11target_archE4294967295ELNS1_3gpuE0ELNS1_3repE0EEENS1_30default_config_static_selectorELNS0_4arch9wavefront6targetE0EEEvSY_.num_vgpr, 0
	.set _ZN7rocprim17ROCPRIM_400000_NS6detail17trampoline_kernelINS0_13select_configILj256ELj13ELNS0_17block_load_methodE3ELS4_3ELS4_3ELNS0_20block_scan_algorithmE0ELj4294967295EEENS1_25partition_config_selectorILNS1_17partition_subalgoE3EjNS0_10empty_typeEbEEZZNS1_14partition_implILS8_3ELb0ES6_jNS0_17counting_iteratorIjlEEPS9_SE_NS0_5tupleIJPjSE_EEENSF_IJSE_SE_EEES9_SG_JZNS1_25segmented_radix_sort_implINS0_14default_configELb1EPKiPiPKlPlN2at6native12_GLOBAL__N_18offset_tEEE10hipError_tPvRmT1_PNSt15iterator_traitsISY_E10value_typeET2_T3_PNSZ_IS14_E10value_typeET4_jRbjT5_S1A_jjP12ihipStream_tbEUljE_EEESV_SW_SX_S14_S18_S1A_T6_T7_T9_mT8_S1C_bDpT10_ENKUlT_T0_E_clISt17integral_constantIbLb1EES1P_EEDaS1K_S1L_EUlS1K_E_NS1_11comp_targetILNS1_3genE0ELNS1_11target_archE4294967295ELNS1_3gpuE0ELNS1_3repE0EEENS1_30default_config_static_selectorELNS0_4arch9wavefront6targetE0EEEvSY_.num_agpr, 0
	.set _ZN7rocprim17ROCPRIM_400000_NS6detail17trampoline_kernelINS0_13select_configILj256ELj13ELNS0_17block_load_methodE3ELS4_3ELS4_3ELNS0_20block_scan_algorithmE0ELj4294967295EEENS1_25partition_config_selectorILNS1_17partition_subalgoE3EjNS0_10empty_typeEbEEZZNS1_14partition_implILS8_3ELb0ES6_jNS0_17counting_iteratorIjlEEPS9_SE_NS0_5tupleIJPjSE_EEENSF_IJSE_SE_EEES9_SG_JZNS1_25segmented_radix_sort_implINS0_14default_configELb1EPKiPiPKlPlN2at6native12_GLOBAL__N_18offset_tEEE10hipError_tPvRmT1_PNSt15iterator_traitsISY_E10value_typeET2_T3_PNSZ_IS14_E10value_typeET4_jRbjT5_S1A_jjP12ihipStream_tbEUljE_EEESV_SW_SX_S14_S18_S1A_T6_T7_T9_mT8_S1C_bDpT10_ENKUlT_T0_E_clISt17integral_constantIbLb1EES1P_EEDaS1K_S1L_EUlS1K_E_NS1_11comp_targetILNS1_3genE0ELNS1_11target_archE4294967295ELNS1_3gpuE0ELNS1_3repE0EEENS1_30default_config_static_selectorELNS0_4arch9wavefront6targetE0EEEvSY_.numbered_sgpr, 0
	.set _ZN7rocprim17ROCPRIM_400000_NS6detail17trampoline_kernelINS0_13select_configILj256ELj13ELNS0_17block_load_methodE3ELS4_3ELS4_3ELNS0_20block_scan_algorithmE0ELj4294967295EEENS1_25partition_config_selectorILNS1_17partition_subalgoE3EjNS0_10empty_typeEbEEZZNS1_14partition_implILS8_3ELb0ES6_jNS0_17counting_iteratorIjlEEPS9_SE_NS0_5tupleIJPjSE_EEENSF_IJSE_SE_EEES9_SG_JZNS1_25segmented_radix_sort_implINS0_14default_configELb1EPKiPiPKlPlN2at6native12_GLOBAL__N_18offset_tEEE10hipError_tPvRmT1_PNSt15iterator_traitsISY_E10value_typeET2_T3_PNSZ_IS14_E10value_typeET4_jRbjT5_S1A_jjP12ihipStream_tbEUljE_EEESV_SW_SX_S14_S18_S1A_T6_T7_T9_mT8_S1C_bDpT10_ENKUlT_T0_E_clISt17integral_constantIbLb1EES1P_EEDaS1K_S1L_EUlS1K_E_NS1_11comp_targetILNS1_3genE0ELNS1_11target_archE4294967295ELNS1_3gpuE0ELNS1_3repE0EEENS1_30default_config_static_selectorELNS0_4arch9wavefront6targetE0EEEvSY_.num_named_barrier, 0
	.set _ZN7rocprim17ROCPRIM_400000_NS6detail17trampoline_kernelINS0_13select_configILj256ELj13ELNS0_17block_load_methodE3ELS4_3ELS4_3ELNS0_20block_scan_algorithmE0ELj4294967295EEENS1_25partition_config_selectorILNS1_17partition_subalgoE3EjNS0_10empty_typeEbEEZZNS1_14partition_implILS8_3ELb0ES6_jNS0_17counting_iteratorIjlEEPS9_SE_NS0_5tupleIJPjSE_EEENSF_IJSE_SE_EEES9_SG_JZNS1_25segmented_radix_sort_implINS0_14default_configELb1EPKiPiPKlPlN2at6native12_GLOBAL__N_18offset_tEEE10hipError_tPvRmT1_PNSt15iterator_traitsISY_E10value_typeET2_T3_PNSZ_IS14_E10value_typeET4_jRbjT5_S1A_jjP12ihipStream_tbEUljE_EEESV_SW_SX_S14_S18_S1A_T6_T7_T9_mT8_S1C_bDpT10_ENKUlT_T0_E_clISt17integral_constantIbLb1EES1P_EEDaS1K_S1L_EUlS1K_E_NS1_11comp_targetILNS1_3genE0ELNS1_11target_archE4294967295ELNS1_3gpuE0ELNS1_3repE0EEENS1_30default_config_static_selectorELNS0_4arch9wavefront6targetE0EEEvSY_.private_seg_size, 0
	.set _ZN7rocprim17ROCPRIM_400000_NS6detail17trampoline_kernelINS0_13select_configILj256ELj13ELNS0_17block_load_methodE3ELS4_3ELS4_3ELNS0_20block_scan_algorithmE0ELj4294967295EEENS1_25partition_config_selectorILNS1_17partition_subalgoE3EjNS0_10empty_typeEbEEZZNS1_14partition_implILS8_3ELb0ES6_jNS0_17counting_iteratorIjlEEPS9_SE_NS0_5tupleIJPjSE_EEENSF_IJSE_SE_EEES9_SG_JZNS1_25segmented_radix_sort_implINS0_14default_configELb1EPKiPiPKlPlN2at6native12_GLOBAL__N_18offset_tEEE10hipError_tPvRmT1_PNSt15iterator_traitsISY_E10value_typeET2_T3_PNSZ_IS14_E10value_typeET4_jRbjT5_S1A_jjP12ihipStream_tbEUljE_EEESV_SW_SX_S14_S18_S1A_T6_T7_T9_mT8_S1C_bDpT10_ENKUlT_T0_E_clISt17integral_constantIbLb1EES1P_EEDaS1K_S1L_EUlS1K_E_NS1_11comp_targetILNS1_3genE0ELNS1_11target_archE4294967295ELNS1_3gpuE0ELNS1_3repE0EEENS1_30default_config_static_selectorELNS0_4arch9wavefront6targetE0EEEvSY_.uses_vcc, 0
	.set _ZN7rocprim17ROCPRIM_400000_NS6detail17trampoline_kernelINS0_13select_configILj256ELj13ELNS0_17block_load_methodE3ELS4_3ELS4_3ELNS0_20block_scan_algorithmE0ELj4294967295EEENS1_25partition_config_selectorILNS1_17partition_subalgoE3EjNS0_10empty_typeEbEEZZNS1_14partition_implILS8_3ELb0ES6_jNS0_17counting_iteratorIjlEEPS9_SE_NS0_5tupleIJPjSE_EEENSF_IJSE_SE_EEES9_SG_JZNS1_25segmented_radix_sort_implINS0_14default_configELb1EPKiPiPKlPlN2at6native12_GLOBAL__N_18offset_tEEE10hipError_tPvRmT1_PNSt15iterator_traitsISY_E10value_typeET2_T3_PNSZ_IS14_E10value_typeET4_jRbjT5_S1A_jjP12ihipStream_tbEUljE_EEESV_SW_SX_S14_S18_S1A_T6_T7_T9_mT8_S1C_bDpT10_ENKUlT_T0_E_clISt17integral_constantIbLb1EES1P_EEDaS1K_S1L_EUlS1K_E_NS1_11comp_targetILNS1_3genE0ELNS1_11target_archE4294967295ELNS1_3gpuE0ELNS1_3repE0EEENS1_30default_config_static_selectorELNS0_4arch9wavefront6targetE0EEEvSY_.uses_flat_scratch, 0
	.set _ZN7rocprim17ROCPRIM_400000_NS6detail17trampoline_kernelINS0_13select_configILj256ELj13ELNS0_17block_load_methodE3ELS4_3ELS4_3ELNS0_20block_scan_algorithmE0ELj4294967295EEENS1_25partition_config_selectorILNS1_17partition_subalgoE3EjNS0_10empty_typeEbEEZZNS1_14partition_implILS8_3ELb0ES6_jNS0_17counting_iteratorIjlEEPS9_SE_NS0_5tupleIJPjSE_EEENSF_IJSE_SE_EEES9_SG_JZNS1_25segmented_radix_sort_implINS0_14default_configELb1EPKiPiPKlPlN2at6native12_GLOBAL__N_18offset_tEEE10hipError_tPvRmT1_PNSt15iterator_traitsISY_E10value_typeET2_T3_PNSZ_IS14_E10value_typeET4_jRbjT5_S1A_jjP12ihipStream_tbEUljE_EEESV_SW_SX_S14_S18_S1A_T6_T7_T9_mT8_S1C_bDpT10_ENKUlT_T0_E_clISt17integral_constantIbLb1EES1P_EEDaS1K_S1L_EUlS1K_E_NS1_11comp_targetILNS1_3genE0ELNS1_11target_archE4294967295ELNS1_3gpuE0ELNS1_3repE0EEENS1_30default_config_static_selectorELNS0_4arch9wavefront6targetE0EEEvSY_.has_dyn_sized_stack, 0
	.set _ZN7rocprim17ROCPRIM_400000_NS6detail17trampoline_kernelINS0_13select_configILj256ELj13ELNS0_17block_load_methodE3ELS4_3ELS4_3ELNS0_20block_scan_algorithmE0ELj4294967295EEENS1_25partition_config_selectorILNS1_17partition_subalgoE3EjNS0_10empty_typeEbEEZZNS1_14partition_implILS8_3ELb0ES6_jNS0_17counting_iteratorIjlEEPS9_SE_NS0_5tupleIJPjSE_EEENSF_IJSE_SE_EEES9_SG_JZNS1_25segmented_radix_sort_implINS0_14default_configELb1EPKiPiPKlPlN2at6native12_GLOBAL__N_18offset_tEEE10hipError_tPvRmT1_PNSt15iterator_traitsISY_E10value_typeET2_T3_PNSZ_IS14_E10value_typeET4_jRbjT5_S1A_jjP12ihipStream_tbEUljE_EEESV_SW_SX_S14_S18_S1A_T6_T7_T9_mT8_S1C_bDpT10_ENKUlT_T0_E_clISt17integral_constantIbLb1EES1P_EEDaS1K_S1L_EUlS1K_E_NS1_11comp_targetILNS1_3genE0ELNS1_11target_archE4294967295ELNS1_3gpuE0ELNS1_3repE0EEENS1_30default_config_static_selectorELNS0_4arch9wavefront6targetE0EEEvSY_.has_recursion, 0
	.set _ZN7rocprim17ROCPRIM_400000_NS6detail17trampoline_kernelINS0_13select_configILj256ELj13ELNS0_17block_load_methodE3ELS4_3ELS4_3ELNS0_20block_scan_algorithmE0ELj4294967295EEENS1_25partition_config_selectorILNS1_17partition_subalgoE3EjNS0_10empty_typeEbEEZZNS1_14partition_implILS8_3ELb0ES6_jNS0_17counting_iteratorIjlEEPS9_SE_NS0_5tupleIJPjSE_EEENSF_IJSE_SE_EEES9_SG_JZNS1_25segmented_radix_sort_implINS0_14default_configELb1EPKiPiPKlPlN2at6native12_GLOBAL__N_18offset_tEEE10hipError_tPvRmT1_PNSt15iterator_traitsISY_E10value_typeET2_T3_PNSZ_IS14_E10value_typeET4_jRbjT5_S1A_jjP12ihipStream_tbEUljE_EEESV_SW_SX_S14_S18_S1A_T6_T7_T9_mT8_S1C_bDpT10_ENKUlT_T0_E_clISt17integral_constantIbLb1EES1P_EEDaS1K_S1L_EUlS1K_E_NS1_11comp_targetILNS1_3genE0ELNS1_11target_archE4294967295ELNS1_3gpuE0ELNS1_3repE0EEENS1_30default_config_static_selectorELNS0_4arch9wavefront6targetE0EEEvSY_.has_indirect_call, 0
	.section	.AMDGPU.csdata,"",@progbits
; Kernel info:
; codeLenInByte = 4
; TotalNumSgprs: 0
; NumVgprs: 0
; ScratchSize: 0
; MemoryBound: 0
; FloatMode: 240
; IeeeMode: 1
; LDSByteSize: 0 bytes/workgroup (compile time only)
; SGPRBlocks: 0
; VGPRBlocks: 0
; NumSGPRsForWavesPerEU: 1
; NumVGPRsForWavesPerEU: 1
; NamedBarCnt: 0
; Occupancy: 16
; WaveLimiterHint : 0
; COMPUTE_PGM_RSRC2:SCRATCH_EN: 0
; COMPUTE_PGM_RSRC2:USER_SGPR: 2
; COMPUTE_PGM_RSRC2:TRAP_HANDLER: 0
; COMPUTE_PGM_RSRC2:TGID_X_EN: 1
; COMPUTE_PGM_RSRC2:TGID_Y_EN: 0
; COMPUTE_PGM_RSRC2:TGID_Z_EN: 0
; COMPUTE_PGM_RSRC2:TIDIG_COMP_CNT: 0
	.section	.text._ZN7rocprim17ROCPRIM_400000_NS6detail17trampoline_kernelINS0_13select_configILj256ELj13ELNS0_17block_load_methodE3ELS4_3ELS4_3ELNS0_20block_scan_algorithmE0ELj4294967295EEENS1_25partition_config_selectorILNS1_17partition_subalgoE3EjNS0_10empty_typeEbEEZZNS1_14partition_implILS8_3ELb0ES6_jNS0_17counting_iteratorIjlEEPS9_SE_NS0_5tupleIJPjSE_EEENSF_IJSE_SE_EEES9_SG_JZNS1_25segmented_radix_sort_implINS0_14default_configELb1EPKiPiPKlPlN2at6native12_GLOBAL__N_18offset_tEEE10hipError_tPvRmT1_PNSt15iterator_traitsISY_E10value_typeET2_T3_PNSZ_IS14_E10value_typeET4_jRbjT5_S1A_jjP12ihipStream_tbEUljE_EEESV_SW_SX_S14_S18_S1A_T6_T7_T9_mT8_S1C_bDpT10_ENKUlT_T0_E_clISt17integral_constantIbLb1EES1P_EEDaS1K_S1L_EUlS1K_E_NS1_11comp_targetILNS1_3genE5ELNS1_11target_archE942ELNS1_3gpuE9ELNS1_3repE0EEENS1_30default_config_static_selectorELNS0_4arch9wavefront6targetE0EEEvSY_,"axG",@progbits,_ZN7rocprim17ROCPRIM_400000_NS6detail17trampoline_kernelINS0_13select_configILj256ELj13ELNS0_17block_load_methodE3ELS4_3ELS4_3ELNS0_20block_scan_algorithmE0ELj4294967295EEENS1_25partition_config_selectorILNS1_17partition_subalgoE3EjNS0_10empty_typeEbEEZZNS1_14partition_implILS8_3ELb0ES6_jNS0_17counting_iteratorIjlEEPS9_SE_NS0_5tupleIJPjSE_EEENSF_IJSE_SE_EEES9_SG_JZNS1_25segmented_radix_sort_implINS0_14default_configELb1EPKiPiPKlPlN2at6native12_GLOBAL__N_18offset_tEEE10hipError_tPvRmT1_PNSt15iterator_traitsISY_E10value_typeET2_T3_PNSZ_IS14_E10value_typeET4_jRbjT5_S1A_jjP12ihipStream_tbEUljE_EEESV_SW_SX_S14_S18_S1A_T6_T7_T9_mT8_S1C_bDpT10_ENKUlT_T0_E_clISt17integral_constantIbLb1EES1P_EEDaS1K_S1L_EUlS1K_E_NS1_11comp_targetILNS1_3genE5ELNS1_11target_archE942ELNS1_3gpuE9ELNS1_3repE0EEENS1_30default_config_static_selectorELNS0_4arch9wavefront6targetE0EEEvSY_,comdat
	.globl	_ZN7rocprim17ROCPRIM_400000_NS6detail17trampoline_kernelINS0_13select_configILj256ELj13ELNS0_17block_load_methodE3ELS4_3ELS4_3ELNS0_20block_scan_algorithmE0ELj4294967295EEENS1_25partition_config_selectorILNS1_17partition_subalgoE3EjNS0_10empty_typeEbEEZZNS1_14partition_implILS8_3ELb0ES6_jNS0_17counting_iteratorIjlEEPS9_SE_NS0_5tupleIJPjSE_EEENSF_IJSE_SE_EEES9_SG_JZNS1_25segmented_radix_sort_implINS0_14default_configELb1EPKiPiPKlPlN2at6native12_GLOBAL__N_18offset_tEEE10hipError_tPvRmT1_PNSt15iterator_traitsISY_E10value_typeET2_T3_PNSZ_IS14_E10value_typeET4_jRbjT5_S1A_jjP12ihipStream_tbEUljE_EEESV_SW_SX_S14_S18_S1A_T6_T7_T9_mT8_S1C_bDpT10_ENKUlT_T0_E_clISt17integral_constantIbLb1EES1P_EEDaS1K_S1L_EUlS1K_E_NS1_11comp_targetILNS1_3genE5ELNS1_11target_archE942ELNS1_3gpuE9ELNS1_3repE0EEENS1_30default_config_static_selectorELNS0_4arch9wavefront6targetE0EEEvSY_ ; -- Begin function _ZN7rocprim17ROCPRIM_400000_NS6detail17trampoline_kernelINS0_13select_configILj256ELj13ELNS0_17block_load_methodE3ELS4_3ELS4_3ELNS0_20block_scan_algorithmE0ELj4294967295EEENS1_25partition_config_selectorILNS1_17partition_subalgoE3EjNS0_10empty_typeEbEEZZNS1_14partition_implILS8_3ELb0ES6_jNS0_17counting_iteratorIjlEEPS9_SE_NS0_5tupleIJPjSE_EEENSF_IJSE_SE_EEES9_SG_JZNS1_25segmented_radix_sort_implINS0_14default_configELb1EPKiPiPKlPlN2at6native12_GLOBAL__N_18offset_tEEE10hipError_tPvRmT1_PNSt15iterator_traitsISY_E10value_typeET2_T3_PNSZ_IS14_E10value_typeET4_jRbjT5_S1A_jjP12ihipStream_tbEUljE_EEESV_SW_SX_S14_S18_S1A_T6_T7_T9_mT8_S1C_bDpT10_ENKUlT_T0_E_clISt17integral_constantIbLb1EES1P_EEDaS1K_S1L_EUlS1K_E_NS1_11comp_targetILNS1_3genE5ELNS1_11target_archE942ELNS1_3gpuE9ELNS1_3repE0EEENS1_30default_config_static_selectorELNS0_4arch9wavefront6targetE0EEEvSY_
	.p2align	8
	.type	_ZN7rocprim17ROCPRIM_400000_NS6detail17trampoline_kernelINS0_13select_configILj256ELj13ELNS0_17block_load_methodE3ELS4_3ELS4_3ELNS0_20block_scan_algorithmE0ELj4294967295EEENS1_25partition_config_selectorILNS1_17partition_subalgoE3EjNS0_10empty_typeEbEEZZNS1_14partition_implILS8_3ELb0ES6_jNS0_17counting_iteratorIjlEEPS9_SE_NS0_5tupleIJPjSE_EEENSF_IJSE_SE_EEES9_SG_JZNS1_25segmented_radix_sort_implINS0_14default_configELb1EPKiPiPKlPlN2at6native12_GLOBAL__N_18offset_tEEE10hipError_tPvRmT1_PNSt15iterator_traitsISY_E10value_typeET2_T3_PNSZ_IS14_E10value_typeET4_jRbjT5_S1A_jjP12ihipStream_tbEUljE_EEESV_SW_SX_S14_S18_S1A_T6_T7_T9_mT8_S1C_bDpT10_ENKUlT_T0_E_clISt17integral_constantIbLb1EES1P_EEDaS1K_S1L_EUlS1K_E_NS1_11comp_targetILNS1_3genE5ELNS1_11target_archE942ELNS1_3gpuE9ELNS1_3repE0EEENS1_30default_config_static_selectorELNS0_4arch9wavefront6targetE0EEEvSY_,@function
_ZN7rocprim17ROCPRIM_400000_NS6detail17trampoline_kernelINS0_13select_configILj256ELj13ELNS0_17block_load_methodE3ELS4_3ELS4_3ELNS0_20block_scan_algorithmE0ELj4294967295EEENS1_25partition_config_selectorILNS1_17partition_subalgoE3EjNS0_10empty_typeEbEEZZNS1_14partition_implILS8_3ELb0ES6_jNS0_17counting_iteratorIjlEEPS9_SE_NS0_5tupleIJPjSE_EEENSF_IJSE_SE_EEES9_SG_JZNS1_25segmented_radix_sort_implINS0_14default_configELb1EPKiPiPKlPlN2at6native12_GLOBAL__N_18offset_tEEE10hipError_tPvRmT1_PNSt15iterator_traitsISY_E10value_typeET2_T3_PNSZ_IS14_E10value_typeET4_jRbjT5_S1A_jjP12ihipStream_tbEUljE_EEESV_SW_SX_S14_S18_S1A_T6_T7_T9_mT8_S1C_bDpT10_ENKUlT_T0_E_clISt17integral_constantIbLb1EES1P_EEDaS1K_S1L_EUlS1K_E_NS1_11comp_targetILNS1_3genE5ELNS1_11target_archE942ELNS1_3gpuE9ELNS1_3repE0EEENS1_30default_config_static_selectorELNS0_4arch9wavefront6targetE0EEEvSY_: ; @_ZN7rocprim17ROCPRIM_400000_NS6detail17trampoline_kernelINS0_13select_configILj256ELj13ELNS0_17block_load_methodE3ELS4_3ELS4_3ELNS0_20block_scan_algorithmE0ELj4294967295EEENS1_25partition_config_selectorILNS1_17partition_subalgoE3EjNS0_10empty_typeEbEEZZNS1_14partition_implILS8_3ELb0ES6_jNS0_17counting_iteratorIjlEEPS9_SE_NS0_5tupleIJPjSE_EEENSF_IJSE_SE_EEES9_SG_JZNS1_25segmented_radix_sort_implINS0_14default_configELb1EPKiPiPKlPlN2at6native12_GLOBAL__N_18offset_tEEE10hipError_tPvRmT1_PNSt15iterator_traitsISY_E10value_typeET2_T3_PNSZ_IS14_E10value_typeET4_jRbjT5_S1A_jjP12ihipStream_tbEUljE_EEESV_SW_SX_S14_S18_S1A_T6_T7_T9_mT8_S1C_bDpT10_ENKUlT_T0_E_clISt17integral_constantIbLb1EES1P_EEDaS1K_S1L_EUlS1K_E_NS1_11comp_targetILNS1_3genE5ELNS1_11target_archE942ELNS1_3gpuE9ELNS1_3repE0EEENS1_30default_config_static_selectorELNS0_4arch9wavefront6targetE0EEEvSY_
; %bb.0:
	.section	.rodata,"a",@progbits
	.p2align	6, 0x0
	.amdhsa_kernel _ZN7rocprim17ROCPRIM_400000_NS6detail17trampoline_kernelINS0_13select_configILj256ELj13ELNS0_17block_load_methodE3ELS4_3ELS4_3ELNS0_20block_scan_algorithmE0ELj4294967295EEENS1_25partition_config_selectorILNS1_17partition_subalgoE3EjNS0_10empty_typeEbEEZZNS1_14partition_implILS8_3ELb0ES6_jNS0_17counting_iteratorIjlEEPS9_SE_NS0_5tupleIJPjSE_EEENSF_IJSE_SE_EEES9_SG_JZNS1_25segmented_radix_sort_implINS0_14default_configELb1EPKiPiPKlPlN2at6native12_GLOBAL__N_18offset_tEEE10hipError_tPvRmT1_PNSt15iterator_traitsISY_E10value_typeET2_T3_PNSZ_IS14_E10value_typeET4_jRbjT5_S1A_jjP12ihipStream_tbEUljE_EEESV_SW_SX_S14_S18_S1A_T6_T7_T9_mT8_S1C_bDpT10_ENKUlT_T0_E_clISt17integral_constantIbLb1EES1P_EEDaS1K_S1L_EUlS1K_E_NS1_11comp_targetILNS1_3genE5ELNS1_11target_archE942ELNS1_3gpuE9ELNS1_3repE0EEENS1_30default_config_static_selectorELNS0_4arch9wavefront6targetE0EEEvSY_
		.amdhsa_group_segment_fixed_size 0
		.amdhsa_private_segment_fixed_size 0
		.amdhsa_kernarg_size 152
		.amdhsa_user_sgpr_count 2
		.amdhsa_user_sgpr_dispatch_ptr 0
		.amdhsa_user_sgpr_queue_ptr 0
		.amdhsa_user_sgpr_kernarg_segment_ptr 1
		.amdhsa_user_sgpr_dispatch_id 0
		.amdhsa_user_sgpr_kernarg_preload_length 0
		.amdhsa_user_sgpr_kernarg_preload_offset 0
		.amdhsa_user_sgpr_private_segment_size 0
		.amdhsa_wavefront_size32 1
		.amdhsa_uses_dynamic_stack 0
		.amdhsa_enable_private_segment 0
		.amdhsa_system_sgpr_workgroup_id_x 1
		.amdhsa_system_sgpr_workgroup_id_y 0
		.amdhsa_system_sgpr_workgroup_id_z 0
		.amdhsa_system_sgpr_workgroup_info 0
		.amdhsa_system_vgpr_workitem_id 0
		.amdhsa_next_free_vgpr 1
		.amdhsa_next_free_sgpr 1
		.amdhsa_named_barrier_count 0
		.amdhsa_reserve_vcc 0
		.amdhsa_float_round_mode_32 0
		.amdhsa_float_round_mode_16_64 0
		.amdhsa_float_denorm_mode_32 3
		.amdhsa_float_denorm_mode_16_64 3
		.amdhsa_fp16_overflow 0
		.amdhsa_memory_ordered 1
		.amdhsa_forward_progress 1
		.amdhsa_inst_pref_size 0
		.amdhsa_round_robin_scheduling 0
		.amdhsa_exception_fp_ieee_invalid_op 0
		.amdhsa_exception_fp_denorm_src 0
		.amdhsa_exception_fp_ieee_div_zero 0
		.amdhsa_exception_fp_ieee_overflow 0
		.amdhsa_exception_fp_ieee_underflow 0
		.amdhsa_exception_fp_ieee_inexact 0
		.amdhsa_exception_int_div_zero 0
	.end_amdhsa_kernel
	.section	.text._ZN7rocprim17ROCPRIM_400000_NS6detail17trampoline_kernelINS0_13select_configILj256ELj13ELNS0_17block_load_methodE3ELS4_3ELS4_3ELNS0_20block_scan_algorithmE0ELj4294967295EEENS1_25partition_config_selectorILNS1_17partition_subalgoE3EjNS0_10empty_typeEbEEZZNS1_14partition_implILS8_3ELb0ES6_jNS0_17counting_iteratorIjlEEPS9_SE_NS0_5tupleIJPjSE_EEENSF_IJSE_SE_EEES9_SG_JZNS1_25segmented_radix_sort_implINS0_14default_configELb1EPKiPiPKlPlN2at6native12_GLOBAL__N_18offset_tEEE10hipError_tPvRmT1_PNSt15iterator_traitsISY_E10value_typeET2_T3_PNSZ_IS14_E10value_typeET4_jRbjT5_S1A_jjP12ihipStream_tbEUljE_EEESV_SW_SX_S14_S18_S1A_T6_T7_T9_mT8_S1C_bDpT10_ENKUlT_T0_E_clISt17integral_constantIbLb1EES1P_EEDaS1K_S1L_EUlS1K_E_NS1_11comp_targetILNS1_3genE5ELNS1_11target_archE942ELNS1_3gpuE9ELNS1_3repE0EEENS1_30default_config_static_selectorELNS0_4arch9wavefront6targetE0EEEvSY_,"axG",@progbits,_ZN7rocprim17ROCPRIM_400000_NS6detail17trampoline_kernelINS0_13select_configILj256ELj13ELNS0_17block_load_methodE3ELS4_3ELS4_3ELNS0_20block_scan_algorithmE0ELj4294967295EEENS1_25partition_config_selectorILNS1_17partition_subalgoE3EjNS0_10empty_typeEbEEZZNS1_14partition_implILS8_3ELb0ES6_jNS0_17counting_iteratorIjlEEPS9_SE_NS0_5tupleIJPjSE_EEENSF_IJSE_SE_EEES9_SG_JZNS1_25segmented_radix_sort_implINS0_14default_configELb1EPKiPiPKlPlN2at6native12_GLOBAL__N_18offset_tEEE10hipError_tPvRmT1_PNSt15iterator_traitsISY_E10value_typeET2_T3_PNSZ_IS14_E10value_typeET4_jRbjT5_S1A_jjP12ihipStream_tbEUljE_EEESV_SW_SX_S14_S18_S1A_T6_T7_T9_mT8_S1C_bDpT10_ENKUlT_T0_E_clISt17integral_constantIbLb1EES1P_EEDaS1K_S1L_EUlS1K_E_NS1_11comp_targetILNS1_3genE5ELNS1_11target_archE942ELNS1_3gpuE9ELNS1_3repE0EEENS1_30default_config_static_selectorELNS0_4arch9wavefront6targetE0EEEvSY_,comdat
.Lfunc_end470:
	.size	_ZN7rocprim17ROCPRIM_400000_NS6detail17trampoline_kernelINS0_13select_configILj256ELj13ELNS0_17block_load_methodE3ELS4_3ELS4_3ELNS0_20block_scan_algorithmE0ELj4294967295EEENS1_25partition_config_selectorILNS1_17partition_subalgoE3EjNS0_10empty_typeEbEEZZNS1_14partition_implILS8_3ELb0ES6_jNS0_17counting_iteratorIjlEEPS9_SE_NS0_5tupleIJPjSE_EEENSF_IJSE_SE_EEES9_SG_JZNS1_25segmented_radix_sort_implINS0_14default_configELb1EPKiPiPKlPlN2at6native12_GLOBAL__N_18offset_tEEE10hipError_tPvRmT1_PNSt15iterator_traitsISY_E10value_typeET2_T3_PNSZ_IS14_E10value_typeET4_jRbjT5_S1A_jjP12ihipStream_tbEUljE_EEESV_SW_SX_S14_S18_S1A_T6_T7_T9_mT8_S1C_bDpT10_ENKUlT_T0_E_clISt17integral_constantIbLb1EES1P_EEDaS1K_S1L_EUlS1K_E_NS1_11comp_targetILNS1_3genE5ELNS1_11target_archE942ELNS1_3gpuE9ELNS1_3repE0EEENS1_30default_config_static_selectorELNS0_4arch9wavefront6targetE0EEEvSY_, .Lfunc_end470-_ZN7rocprim17ROCPRIM_400000_NS6detail17trampoline_kernelINS0_13select_configILj256ELj13ELNS0_17block_load_methodE3ELS4_3ELS4_3ELNS0_20block_scan_algorithmE0ELj4294967295EEENS1_25partition_config_selectorILNS1_17partition_subalgoE3EjNS0_10empty_typeEbEEZZNS1_14partition_implILS8_3ELb0ES6_jNS0_17counting_iteratorIjlEEPS9_SE_NS0_5tupleIJPjSE_EEENSF_IJSE_SE_EEES9_SG_JZNS1_25segmented_radix_sort_implINS0_14default_configELb1EPKiPiPKlPlN2at6native12_GLOBAL__N_18offset_tEEE10hipError_tPvRmT1_PNSt15iterator_traitsISY_E10value_typeET2_T3_PNSZ_IS14_E10value_typeET4_jRbjT5_S1A_jjP12ihipStream_tbEUljE_EEESV_SW_SX_S14_S18_S1A_T6_T7_T9_mT8_S1C_bDpT10_ENKUlT_T0_E_clISt17integral_constantIbLb1EES1P_EEDaS1K_S1L_EUlS1K_E_NS1_11comp_targetILNS1_3genE5ELNS1_11target_archE942ELNS1_3gpuE9ELNS1_3repE0EEENS1_30default_config_static_selectorELNS0_4arch9wavefront6targetE0EEEvSY_
                                        ; -- End function
	.set _ZN7rocprim17ROCPRIM_400000_NS6detail17trampoline_kernelINS0_13select_configILj256ELj13ELNS0_17block_load_methodE3ELS4_3ELS4_3ELNS0_20block_scan_algorithmE0ELj4294967295EEENS1_25partition_config_selectorILNS1_17partition_subalgoE3EjNS0_10empty_typeEbEEZZNS1_14partition_implILS8_3ELb0ES6_jNS0_17counting_iteratorIjlEEPS9_SE_NS0_5tupleIJPjSE_EEENSF_IJSE_SE_EEES9_SG_JZNS1_25segmented_radix_sort_implINS0_14default_configELb1EPKiPiPKlPlN2at6native12_GLOBAL__N_18offset_tEEE10hipError_tPvRmT1_PNSt15iterator_traitsISY_E10value_typeET2_T3_PNSZ_IS14_E10value_typeET4_jRbjT5_S1A_jjP12ihipStream_tbEUljE_EEESV_SW_SX_S14_S18_S1A_T6_T7_T9_mT8_S1C_bDpT10_ENKUlT_T0_E_clISt17integral_constantIbLb1EES1P_EEDaS1K_S1L_EUlS1K_E_NS1_11comp_targetILNS1_3genE5ELNS1_11target_archE942ELNS1_3gpuE9ELNS1_3repE0EEENS1_30default_config_static_selectorELNS0_4arch9wavefront6targetE0EEEvSY_.num_vgpr, 0
	.set _ZN7rocprim17ROCPRIM_400000_NS6detail17trampoline_kernelINS0_13select_configILj256ELj13ELNS0_17block_load_methodE3ELS4_3ELS4_3ELNS0_20block_scan_algorithmE0ELj4294967295EEENS1_25partition_config_selectorILNS1_17partition_subalgoE3EjNS0_10empty_typeEbEEZZNS1_14partition_implILS8_3ELb0ES6_jNS0_17counting_iteratorIjlEEPS9_SE_NS0_5tupleIJPjSE_EEENSF_IJSE_SE_EEES9_SG_JZNS1_25segmented_radix_sort_implINS0_14default_configELb1EPKiPiPKlPlN2at6native12_GLOBAL__N_18offset_tEEE10hipError_tPvRmT1_PNSt15iterator_traitsISY_E10value_typeET2_T3_PNSZ_IS14_E10value_typeET4_jRbjT5_S1A_jjP12ihipStream_tbEUljE_EEESV_SW_SX_S14_S18_S1A_T6_T7_T9_mT8_S1C_bDpT10_ENKUlT_T0_E_clISt17integral_constantIbLb1EES1P_EEDaS1K_S1L_EUlS1K_E_NS1_11comp_targetILNS1_3genE5ELNS1_11target_archE942ELNS1_3gpuE9ELNS1_3repE0EEENS1_30default_config_static_selectorELNS0_4arch9wavefront6targetE0EEEvSY_.num_agpr, 0
	.set _ZN7rocprim17ROCPRIM_400000_NS6detail17trampoline_kernelINS0_13select_configILj256ELj13ELNS0_17block_load_methodE3ELS4_3ELS4_3ELNS0_20block_scan_algorithmE0ELj4294967295EEENS1_25partition_config_selectorILNS1_17partition_subalgoE3EjNS0_10empty_typeEbEEZZNS1_14partition_implILS8_3ELb0ES6_jNS0_17counting_iteratorIjlEEPS9_SE_NS0_5tupleIJPjSE_EEENSF_IJSE_SE_EEES9_SG_JZNS1_25segmented_radix_sort_implINS0_14default_configELb1EPKiPiPKlPlN2at6native12_GLOBAL__N_18offset_tEEE10hipError_tPvRmT1_PNSt15iterator_traitsISY_E10value_typeET2_T3_PNSZ_IS14_E10value_typeET4_jRbjT5_S1A_jjP12ihipStream_tbEUljE_EEESV_SW_SX_S14_S18_S1A_T6_T7_T9_mT8_S1C_bDpT10_ENKUlT_T0_E_clISt17integral_constantIbLb1EES1P_EEDaS1K_S1L_EUlS1K_E_NS1_11comp_targetILNS1_3genE5ELNS1_11target_archE942ELNS1_3gpuE9ELNS1_3repE0EEENS1_30default_config_static_selectorELNS0_4arch9wavefront6targetE0EEEvSY_.numbered_sgpr, 0
	.set _ZN7rocprim17ROCPRIM_400000_NS6detail17trampoline_kernelINS0_13select_configILj256ELj13ELNS0_17block_load_methodE3ELS4_3ELS4_3ELNS0_20block_scan_algorithmE0ELj4294967295EEENS1_25partition_config_selectorILNS1_17partition_subalgoE3EjNS0_10empty_typeEbEEZZNS1_14partition_implILS8_3ELb0ES6_jNS0_17counting_iteratorIjlEEPS9_SE_NS0_5tupleIJPjSE_EEENSF_IJSE_SE_EEES9_SG_JZNS1_25segmented_radix_sort_implINS0_14default_configELb1EPKiPiPKlPlN2at6native12_GLOBAL__N_18offset_tEEE10hipError_tPvRmT1_PNSt15iterator_traitsISY_E10value_typeET2_T3_PNSZ_IS14_E10value_typeET4_jRbjT5_S1A_jjP12ihipStream_tbEUljE_EEESV_SW_SX_S14_S18_S1A_T6_T7_T9_mT8_S1C_bDpT10_ENKUlT_T0_E_clISt17integral_constantIbLb1EES1P_EEDaS1K_S1L_EUlS1K_E_NS1_11comp_targetILNS1_3genE5ELNS1_11target_archE942ELNS1_3gpuE9ELNS1_3repE0EEENS1_30default_config_static_selectorELNS0_4arch9wavefront6targetE0EEEvSY_.num_named_barrier, 0
	.set _ZN7rocprim17ROCPRIM_400000_NS6detail17trampoline_kernelINS0_13select_configILj256ELj13ELNS0_17block_load_methodE3ELS4_3ELS4_3ELNS0_20block_scan_algorithmE0ELj4294967295EEENS1_25partition_config_selectorILNS1_17partition_subalgoE3EjNS0_10empty_typeEbEEZZNS1_14partition_implILS8_3ELb0ES6_jNS0_17counting_iteratorIjlEEPS9_SE_NS0_5tupleIJPjSE_EEENSF_IJSE_SE_EEES9_SG_JZNS1_25segmented_radix_sort_implINS0_14default_configELb1EPKiPiPKlPlN2at6native12_GLOBAL__N_18offset_tEEE10hipError_tPvRmT1_PNSt15iterator_traitsISY_E10value_typeET2_T3_PNSZ_IS14_E10value_typeET4_jRbjT5_S1A_jjP12ihipStream_tbEUljE_EEESV_SW_SX_S14_S18_S1A_T6_T7_T9_mT8_S1C_bDpT10_ENKUlT_T0_E_clISt17integral_constantIbLb1EES1P_EEDaS1K_S1L_EUlS1K_E_NS1_11comp_targetILNS1_3genE5ELNS1_11target_archE942ELNS1_3gpuE9ELNS1_3repE0EEENS1_30default_config_static_selectorELNS0_4arch9wavefront6targetE0EEEvSY_.private_seg_size, 0
	.set _ZN7rocprim17ROCPRIM_400000_NS6detail17trampoline_kernelINS0_13select_configILj256ELj13ELNS0_17block_load_methodE3ELS4_3ELS4_3ELNS0_20block_scan_algorithmE0ELj4294967295EEENS1_25partition_config_selectorILNS1_17partition_subalgoE3EjNS0_10empty_typeEbEEZZNS1_14partition_implILS8_3ELb0ES6_jNS0_17counting_iteratorIjlEEPS9_SE_NS0_5tupleIJPjSE_EEENSF_IJSE_SE_EEES9_SG_JZNS1_25segmented_radix_sort_implINS0_14default_configELb1EPKiPiPKlPlN2at6native12_GLOBAL__N_18offset_tEEE10hipError_tPvRmT1_PNSt15iterator_traitsISY_E10value_typeET2_T3_PNSZ_IS14_E10value_typeET4_jRbjT5_S1A_jjP12ihipStream_tbEUljE_EEESV_SW_SX_S14_S18_S1A_T6_T7_T9_mT8_S1C_bDpT10_ENKUlT_T0_E_clISt17integral_constantIbLb1EES1P_EEDaS1K_S1L_EUlS1K_E_NS1_11comp_targetILNS1_3genE5ELNS1_11target_archE942ELNS1_3gpuE9ELNS1_3repE0EEENS1_30default_config_static_selectorELNS0_4arch9wavefront6targetE0EEEvSY_.uses_vcc, 0
	.set _ZN7rocprim17ROCPRIM_400000_NS6detail17trampoline_kernelINS0_13select_configILj256ELj13ELNS0_17block_load_methodE3ELS4_3ELS4_3ELNS0_20block_scan_algorithmE0ELj4294967295EEENS1_25partition_config_selectorILNS1_17partition_subalgoE3EjNS0_10empty_typeEbEEZZNS1_14partition_implILS8_3ELb0ES6_jNS0_17counting_iteratorIjlEEPS9_SE_NS0_5tupleIJPjSE_EEENSF_IJSE_SE_EEES9_SG_JZNS1_25segmented_radix_sort_implINS0_14default_configELb1EPKiPiPKlPlN2at6native12_GLOBAL__N_18offset_tEEE10hipError_tPvRmT1_PNSt15iterator_traitsISY_E10value_typeET2_T3_PNSZ_IS14_E10value_typeET4_jRbjT5_S1A_jjP12ihipStream_tbEUljE_EEESV_SW_SX_S14_S18_S1A_T6_T7_T9_mT8_S1C_bDpT10_ENKUlT_T0_E_clISt17integral_constantIbLb1EES1P_EEDaS1K_S1L_EUlS1K_E_NS1_11comp_targetILNS1_3genE5ELNS1_11target_archE942ELNS1_3gpuE9ELNS1_3repE0EEENS1_30default_config_static_selectorELNS0_4arch9wavefront6targetE0EEEvSY_.uses_flat_scratch, 0
	.set _ZN7rocprim17ROCPRIM_400000_NS6detail17trampoline_kernelINS0_13select_configILj256ELj13ELNS0_17block_load_methodE3ELS4_3ELS4_3ELNS0_20block_scan_algorithmE0ELj4294967295EEENS1_25partition_config_selectorILNS1_17partition_subalgoE3EjNS0_10empty_typeEbEEZZNS1_14partition_implILS8_3ELb0ES6_jNS0_17counting_iteratorIjlEEPS9_SE_NS0_5tupleIJPjSE_EEENSF_IJSE_SE_EEES9_SG_JZNS1_25segmented_radix_sort_implINS0_14default_configELb1EPKiPiPKlPlN2at6native12_GLOBAL__N_18offset_tEEE10hipError_tPvRmT1_PNSt15iterator_traitsISY_E10value_typeET2_T3_PNSZ_IS14_E10value_typeET4_jRbjT5_S1A_jjP12ihipStream_tbEUljE_EEESV_SW_SX_S14_S18_S1A_T6_T7_T9_mT8_S1C_bDpT10_ENKUlT_T0_E_clISt17integral_constantIbLb1EES1P_EEDaS1K_S1L_EUlS1K_E_NS1_11comp_targetILNS1_3genE5ELNS1_11target_archE942ELNS1_3gpuE9ELNS1_3repE0EEENS1_30default_config_static_selectorELNS0_4arch9wavefront6targetE0EEEvSY_.has_dyn_sized_stack, 0
	.set _ZN7rocprim17ROCPRIM_400000_NS6detail17trampoline_kernelINS0_13select_configILj256ELj13ELNS0_17block_load_methodE3ELS4_3ELS4_3ELNS0_20block_scan_algorithmE0ELj4294967295EEENS1_25partition_config_selectorILNS1_17partition_subalgoE3EjNS0_10empty_typeEbEEZZNS1_14partition_implILS8_3ELb0ES6_jNS0_17counting_iteratorIjlEEPS9_SE_NS0_5tupleIJPjSE_EEENSF_IJSE_SE_EEES9_SG_JZNS1_25segmented_radix_sort_implINS0_14default_configELb1EPKiPiPKlPlN2at6native12_GLOBAL__N_18offset_tEEE10hipError_tPvRmT1_PNSt15iterator_traitsISY_E10value_typeET2_T3_PNSZ_IS14_E10value_typeET4_jRbjT5_S1A_jjP12ihipStream_tbEUljE_EEESV_SW_SX_S14_S18_S1A_T6_T7_T9_mT8_S1C_bDpT10_ENKUlT_T0_E_clISt17integral_constantIbLb1EES1P_EEDaS1K_S1L_EUlS1K_E_NS1_11comp_targetILNS1_3genE5ELNS1_11target_archE942ELNS1_3gpuE9ELNS1_3repE0EEENS1_30default_config_static_selectorELNS0_4arch9wavefront6targetE0EEEvSY_.has_recursion, 0
	.set _ZN7rocprim17ROCPRIM_400000_NS6detail17trampoline_kernelINS0_13select_configILj256ELj13ELNS0_17block_load_methodE3ELS4_3ELS4_3ELNS0_20block_scan_algorithmE0ELj4294967295EEENS1_25partition_config_selectorILNS1_17partition_subalgoE3EjNS0_10empty_typeEbEEZZNS1_14partition_implILS8_3ELb0ES6_jNS0_17counting_iteratorIjlEEPS9_SE_NS0_5tupleIJPjSE_EEENSF_IJSE_SE_EEES9_SG_JZNS1_25segmented_radix_sort_implINS0_14default_configELb1EPKiPiPKlPlN2at6native12_GLOBAL__N_18offset_tEEE10hipError_tPvRmT1_PNSt15iterator_traitsISY_E10value_typeET2_T3_PNSZ_IS14_E10value_typeET4_jRbjT5_S1A_jjP12ihipStream_tbEUljE_EEESV_SW_SX_S14_S18_S1A_T6_T7_T9_mT8_S1C_bDpT10_ENKUlT_T0_E_clISt17integral_constantIbLb1EES1P_EEDaS1K_S1L_EUlS1K_E_NS1_11comp_targetILNS1_3genE5ELNS1_11target_archE942ELNS1_3gpuE9ELNS1_3repE0EEENS1_30default_config_static_selectorELNS0_4arch9wavefront6targetE0EEEvSY_.has_indirect_call, 0
	.section	.AMDGPU.csdata,"",@progbits
; Kernel info:
; codeLenInByte = 0
; TotalNumSgprs: 0
; NumVgprs: 0
; ScratchSize: 0
; MemoryBound: 0
; FloatMode: 240
; IeeeMode: 1
; LDSByteSize: 0 bytes/workgroup (compile time only)
; SGPRBlocks: 0
; VGPRBlocks: 0
; NumSGPRsForWavesPerEU: 1
; NumVGPRsForWavesPerEU: 1
; NamedBarCnt: 0
; Occupancy: 16
; WaveLimiterHint : 0
; COMPUTE_PGM_RSRC2:SCRATCH_EN: 0
; COMPUTE_PGM_RSRC2:USER_SGPR: 2
; COMPUTE_PGM_RSRC2:TRAP_HANDLER: 0
; COMPUTE_PGM_RSRC2:TGID_X_EN: 1
; COMPUTE_PGM_RSRC2:TGID_Y_EN: 0
; COMPUTE_PGM_RSRC2:TGID_Z_EN: 0
; COMPUTE_PGM_RSRC2:TIDIG_COMP_CNT: 0
	.section	.text._ZN7rocprim17ROCPRIM_400000_NS6detail17trampoline_kernelINS0_13select_configILj256ELj13ELNS0_17block_load_methodE3ELS4_3ELS4_3ELNS0_20block_scan_algorithmE0ELj4294967295EEENS1_25partition_config_selectorILNS1_17partition_subalgoE3EjNS0_10empty_typeEbEEZZNS1_14partition_implILS8_3ELb0ES6_jNS0_17counting_iteratorIjlEEPS9_SE_NS0_5tupleIJPjSE_EEENSF_IJSE_SE_EEES9_SG_JZNS1_25segmented_radix_sort_implINS0_14default_configELb1EPKiPiPKlPlN2at6native12_GLOBAL__N_18offset_tEEE10hipError_tPvRmT1_PNSt15iterator_traitsISY_E10value_typeET2_T3_PNSZ_IS14_E10value_typeET4_jRbjT5_S1A_jjP12ihipStream_tbEUljE_EEESV_SW_SX_S14_S18_S1A_T6_T7_T9_mT8_S1C_bDpT10_ENKUlT_T0_E_clISt17integral_constantIbLb1EES1P_EEDaS1K_S1L_EUlS1K_E_NS1_11comp_targetILNS1_3genE4ELNS1_11target_archE910ELNS1_3gpuE8ELNS1_3repE0EEENS1_30default_config_static_selectorELNS0_4arch9wavefront6targetE0EEEvSY_,"axG",@progbits,_ZN7rocprim17ROCPRIM_400000_NS6detail17trampoline_kernelINS0_13select_configILj256ELj13ELNS0_17block_load_methodE3ELS4_3ELS4_3ELNS0_20block_scan_algorithmE0ELj4294967295EEENS1_25partition_config_selectorILNS1_17partition_subalgoE3EjNS0_10empty_typeEbEEZZNS1_14partition_implILS8_3ELb0ES6_jNS0_17counting_iteratorIjlEEPS9_SE_NS0_5tupleIJPjSE_EEENSF_IJSE_SE_EEES9_SG_JZNS1_25segmented_radix_sort_implINS0_14default_configELb1EPKiPiPKlPlN2at6native12_GLOBAL__N_18offset_tEEE10hipError_tPvRmT1_PNSt15iterator_traitsISY_E10value_typeET2_T3_PNSZ_IS14_E10value_typeET4_jRbjT5_S1A_jjP12ihipStream_tbEUljE_EEESV_SW_SX_S14_S18_S1A_T6_T7_T9_mT8_S1C_bDpT10_ENKUlT_T0_E_clISt17integral_constantIbLb1EES1P_EEDaS1K_S1L_EUlS1K_E_NS1_11comp_targetILNS1_3genE4ELNS1_11target_archE910ELNS1_3gpuE8ELNS1_3repE0EEENS1_30default_config_static_selectorELNS0_4arch9wavefront6targetE0EEEvSY_,comdat
	.globl	_ZN7rocprim17ROCPRIM_400000_NS6detail17trampoline_kernelINS0_13select_configILj256ELj13ELNS0_17block_load_methodE3ELS4_3ELS4_3ELNS0_20block_scan_algorithmE0ELj4294967295EEENS1_25partition_config_selectorILNS1_17partition_subalgoE3EjNS0_10empty_typeEbEEZZNS1_14partition_implILS8_3ELb0ES6_jNS0_17counting_iteratorIjlEEPS9_SE_NS0_5tupleIJPjSE_EEENSF_IJSE_SE_EEES9_SG_JZNS1_25segmented_radix_sort_implINS0_14default_configELb1EPKiPiPKlPlN2at6native12_GLOBAL__N_18offset_tEEE10hipError_tPvRmT1_PNSt15iterator_traitsISY_E10value_typeET2_T3_PNSZ_IS14_E10value_typeET4_jRbjT5_S1A_jjP12ihipStream_tbEUljE_EEESV_SW_SX_S14_S18_S1A_T6_T7_T9_mT8_S1C_bDpT10_ENKUlT_T0_E_clISt17integral_constantIbLb1EES1P_EEDaS1K_S1L_EUlS1K_E_NS1_11comp_targetILNS1_3genE4ELNS1_11target_archE910ELNS1_3gpuE8ELNS1_3repE0EEENS1_30default_config_static_selectorELNS0_4arch9wavefront6targetE0EEEvSY_ ; -- Begin function _ZN7rocprim17ROCPRIM_400000_NS6detail17trampoline_kernelINS0_13select_configILj256ELj13ELNS0_17block_load_methodE3ELS4_3ELS4_3ELNS0_20block_scan_algorithmE0ELj4294967295EEENS1_25partition_config_selectorILNS1_17partition_subalgoE3EjNS0_10empty_typeEbEEZZNS1_14partition_implILS8_3ELb0ES6_jNS0_17counting_iteratorIjlEEPS9_SE_NS0_5tupleIJPjSE_EEENSF_IJSE_SE_EEES9_SG_JZNS1_25segmented_radix_sort_implINS0_14default_configELb1EPKiPiPKlPlN2at6native12_GLOBAL__N_18offset_tEEE10hipError_tPvRmT1_PNSt15iterator_traitsISY_E10value_typeET2_T3_PNSZ_IS14_E10value_typeET4_jRbjT5_S1A_jjP12ihipStream_tbEUljE_EEESV_SW_SX_S14_S18_S1A_T6_T7_T9_mT8_S1C_bDpT10_ENKUlT_T0_E_clISt17integral_constantIbLb1EES1P_EEDaS1K_S1L_EUlS1K_E_NS1_11comp_targetILNS1_3genE4ELNS1_11target_archE910ELNS1_3gpuE8ELNS1_3repE0EEENS1_30default_config_static_selectorELNS0_4arch9wavefront6targetE0EEEvSY_
	.p2align	8
	.type	_ZN7rocprim17ROCPRIM_400000_NS6detail17trampoline_kernelINS0_13select_configILj256ELj13ELNS0_17block_load_methodE3ELS4_3ELS4_3ELNS0_20block_scan_algorithmE0ELj4294967295EEENS1_25partition_config_selectorILNS1_17partition_subalgoE3EjNS0_10empty_typeEbEEZZNS1_14partition_implILS8_3ELb0ES6_jNS0_17counting_iteratorIjlEEPS9_SE_NS0_5tupleIJPjSE_EEENSF_IJSE_SE_EEES9_SG_JZNS1_25segmented_radix_sort_implINS0_14default_configELb1EPKiPiPKlPlN2at6native12_GLOBAL__N_18offset_tEEE10hipError_tPvRmT1_PNSt15iterator_traitsISY_E10value_typeET2_T3_PNSZ_IS14_E10value_typeET4_jRbjT5_S1A_jjP12ihipStream_tbEUljE_EEESV_SW_SX_S14_S18_S1A_T6_T7_T9_mT8_S1C_bDpT10_ENKUlT_T0_E_clISt17integral_constantIbLb1EES1P_EEDaS1K_S1L_EUlS1K_E_NS1_11comp_targetILNS1_3genE4ELNS1_11target_archE910ELNS1_3gpuE8ELNS1_3repE0EEENS1_30default_config_static_selectorELNS0_4arch9wavefront6targetE0EEEvSY_,@function
_ZN7rocprim17ROCPRIM_400000_NS6detail17trampoline_kernelINS0_13select_configILj256ELj13ELNS0_17block_load_methodE3ELS4_3ELS4_3ELNS0_20block_scan_algorithmE0ELj4294967295EEENS1_25partition_config_selectorILNS1_17partition_subalgoE3EjNS0_10empty_typeEbEEZZNS1_14partition_implILS8_3ELb0ES6_jNS0_17counting_iteratorIjlEEPS9_SE_NS0_5tupleIJPjSE_EEENSF_IJSE_SE_EEES9_SG_JZNS1_25segmented_radix_sort_implINS0_14default_configELb1EPKiPiPKlPlN2at6native12_GLOBAL__N_18offset_tEEE10hipError_tPvRmT1_PNSt15iterator_traitsISY_E10value_typeET2_T3_PNSZ_IS14_E10value_typeET4_jRbjT5_S1A_jjP12ihipStream_tbEUljE_EEESV_SW_SX_S14_S18_S1A_T6_T7_T9_mT8_S1C_bDpT10_ENKUlT_T0_E_clISt17integral_constantIbLb1EES1P_EEDaS1K_S1L_EUlS1K_E_NS1_11comp_targetILNS1_3genE4ELNS1_11target_archE910ELNS1_3gpuE8ELNS1_3repE0EEENS1_30default_config_static_selectorELNS0_4arch9wavefront6targetE0EEEvSY_: ; @_ZN7rocprim17ROCPRIM_400000_NS6detail17trampoline_kernelINS0_13select_configILj256ELj13ELNS0_17block_load_methodE3ELS4_3ELS4_3ELNS0_20block_scan_algorithmE0ELj4294967295EEENS1_25partition_config_selectorILNS1_17partition_subalgoE3EjNS0_10empty_typeEbEEZZNS1_14partition_implILS8_3ELb0ES6_jNS0_17counting_iteratorIjlEEPS9_SE_NS0_5tupleIJPjSE_EEENSF_IJSE_SE_EEES9_SG_JZNS1_25segmented_radix_sort_implINS0_14default_configELb1EPKiPiPKlPlN2at6native12_GLOBAL__N_18offset_tEEE10hipError_tPvRmT1_PNSt15iterator_traitsISY_E10value_typeET2_T3_PNSZ_IS14_E10value_typeET4_jRbjT5_S1A_jjP12ihipStream_tbEUljE_EEESV_SW_SX_S14_S18_S1A_T6_T7_T9_mT8_S1C_bDpT10_ENKUlT_T0_E_clISt17integral_constantIbLb1EES1P_EEDaS1K_S1L_EUlS1K_E_NS1_11comp_targetILNS1_3genE4ELNS1_11target_archE910ELNS1_3gpuE8ELNS1_3repE0EEENS1_30default_config_static_selectorELNS0_4arch9wavefront6targetE0EEEvSY_
; %bb.0:
	.section	.rodata,"a",@progbits
	.p2align	6, 0x0
	.amdhsa_kernel _ZN7rocprim17ROCPRIM_400000_NS6detail17trampoline_kernelINS0_13select_configILj256ELj13ELNS0_17block_load_methodE3ELS4_3ELS4_3ELNS0_20block_scan_algorithmE0ELj4294967295EEENS1_25partition_config_selectorILNS1_17partition_subalgoE3EjNS0_10empty_typeEbEEZZNS1_14partition_implILS8_3ELb0ES6_jNS0_17counting_iteratorIjlEEPS9_SE_NS0_5tupleIJPjSE_EEENSF_IJSE_SE_EEES9_SG_JZNS1_25segmented_radix_sort_implINS0_14default_configELb1EPKiPiPKlPlN2at6native12_GLOBAL__N_18offset_tEEE10hipError_tPvRmT1_PNSt15iterator_traitsISY_E10value_typeET2_T3_PNSZ_IS14_E10value_typeET4_jRbjT5_S1A_jjP12ihipStream_tbEUljE_EEESV_SW_SX_S14_S18_S1A_T6_T7_T9_mT8_S1C_bDpT10_ENKUlT_T0_E_clISt17integral_constantIbLb1EES1P_EEDaS1K_S1L_EUlS1K_E_NS1_11comp_targetILNS1_3genE4ELNS1_11target_archE910ELNS1_3gpuE8ELNS1_3repE0EEENS1_30default_config_static_selectorELNS0_4arch9wavefront6targetE0EEEvSY_
		.amdhsa_group_segment_fixed_size 0
		.amdhsa_private_segment_fixed_size 0
		.amdhsa_kernarg_size 152
		.amdhsa_user_sgpr_count 2
		.amdhsa_user_sgpr_dispatch_ptr 0
		.amdhsa_user_sgpr_queue_ptr 0
		.amdhsa_user_sgpr_kernarg_segment_ptr 1
		.amdhsa_user_sgpr_dispatch_id 0
		.amdhsa_user_sgpr_kernarg_preload_length 0
		.amdhsa_user_sgpr_kernarg_preload_offset 0
		.amdhsa_user_sgpr_private_segment_size 0
		.amdhsa_wavefront_size32 1
		.amdhsa_uses_dynamic_stack 0
		.amdhsa_enable_private_segment 0
		.amdhsa_system_sgpr_workgroup_id_x 1
		.amdhsa_system_sgpr_workgroup_id_y 0
		.amdhsa_system_sgpr_workgroup_id_z 0
		.amdhsa_system_sgpr_workgroup_info 0
		.amdhsa_system_vgpr_workitem_id 0
		.amdhsa_next_free_vgpr 1
		.amdhsa_next_free_sgpr 1
		.amdhsa_named_barrier_count 0
		.amdhsa_reserve_vcc 0
		.amdhsa_float_round_mode_32 0
		.amdhsa_float_round_mode_16_64 0
		.amdhsa_float_denorm_mode_32 3
		.amdhsa_float_denorm_mode_16_64 3
		.amdhsa_fp16_overflow 0
		.amdhsa_memory_ordered 1
		.amdhsa_forward_progress 1
		.amdhsa_inst_pref_size 0
		.amdhsa_round_robin_scheduling 0
		.amdhsa_exception_fp_ieee_invalid_op 0
		.amdhsa_exception_fp_denorm_src 0
		.amdhsa_exception_fp_ieee_div_zero 0
		.amdhsa_exception_fp_ieee_overflow 0
		.amdhsa_exception_fp_ieee_underflow 0
		.amdhsa_exception_fp_ieee_inexact 0
		.amdhsa_exception_int_div_zero 0
	.end_amdhsa_kernel
	.section	.text._ZN7rocprim17ROCPRIM_400000_NS6detail17trampoline_kernelINS0_13select_configILj256ELj13ELNS0_17block_load_methodE3ELS4_3ELS4_3ELNS0_20block_scan_algorithmE0ELj4294967295EEENS1_25partition_config_selectorILNS1_17partition_subalgoE3EjNS0_10empty_typeEbEEZZNS1_14partition_implILS8_3ELb0ES6_jNS0_17counting_iteratorIjlEEPS9_SE_NS0_5tupleIJPjSE_EEENSF_IJSE_SE_EEES9_SG_JZNS1_25segmented_radix_sort_implINS0_14default_configELb1EPKiPiPKlPlN2at6native12_GLOBAL__N_18offset_tEEE10hipError_tPvRmT1_PNSt15iterator_traitsISY_E10value_typeET2_T3_PNSZ_IS14_E10value_typeET4_jRbjT5_S1A_jjP12ihipStream_tbEUljE_EEESV_SW_SX_S14_S18_S1A_T6_T7_T9_mT8_S1C_bDpT10_ENKUlT_T0_E_clISt17integral_constantIbLb1EES1P_EEDaS1K_S1L_EUlS1K_E_NS1_11comp_targetILNS1_3genE4ELNS1_11target_archE910ELNS1_3gpuE8ELNS1_3repE0EEENS1_30default_config_static_selectorELNS0_4arch9wavefront6targetE0EEEvSY_,"axG",@progbits,_ZN7rocprim17ROCPRIM_400000_NS6detail17trampoline_kernelINS0_13select_configILj256ELj13ELNS0_17block_load_methodE3ELS4_3ELS4_3ELNS0_20block_scan_algorithmE0ELj4294967295EEENS1_25partition_config_selectorILNS1_17partition_subalgoE3EjNS0_10empty_typeEbEEZZNS1_14partition_implILS8_3ELb0ES6_jNS0_17counting_iteratorIjlEEPS9_SE_NS0_5tupleIJPjSE_EEENSF_IJSE_SE_EEES9_SG_JZNS1_25segmented_radix_sort_implINS0_14default_configELb1EPKiPiPKlPlN2at6native12_GLOBAL__N_18offset_tEEE10hipError_tPvRmT1_PNSt15iterator_traitsISY_E10value_typeET2_T3_PNSZ_IS14_E10value_typeET4_jRbjT5_S1A_jjP12ihipStream_tbEUljE_EEESV_SW_SX_S14_S18_S1A_T6_T7_T9_mT8_S1C_bDpT10_ENKUlT_T0_E_clISt17integral_constantIbLb1EES1P_EEDaS1K_S1L_EUlS1K_E_NS1_11comp_targetILNS1_3genE4ELNS1_11target_archE910ELNS1_3gpuE8ELNS1_3repE0EEENS1_30default_config_static_selectorELNS0_4arch9wavefront6targetE0EEEvSY_,comdat
.Lfunc_end471:
	.size	_ZN7rocprim17ROCPRIM_400000_NS6detail17trampoline_kernelINS0_13select_configILj256ELj13ELNS0_17block_load_methodE3ELS4_3ELS4_3ELNS0_20block_scan_algorithmE0ELj4294967295EEENS1_25partition_config_selectorILNS1_17partition_subalgoE3EjNS0_10empty_typeEbEEZZNS1_14partition_implILS8_3ELb0ES6_jNS0_17counting_iteratorIjlEEPS9_SE_NS0_5tupleIJPjSE_EEENSF_IJSE_SE_EEES9_SG_JZNS1_25segmented_radix_sort_implINS0_14default_configELb1EPKiPiPKlPlN2at6native12_GLOBAL__N_18offset_tEEE10hipError_tPvRmT1_PNSt15iterator_traitsISY_E10value_typeET2_T3_PNSZ_IS14_E10value_typeET4_jRbjT5_S1A_jjP12ihipStream_tbEUljE_EEESV_SW_SX_S14_S18_S1A_T6_T7_T9_mT8_S1C_bDpT10_ENKUlT_T0_E_clISt17integral_constantIbLb1EES1P_EEDaS1K_S1L_EUlS1K_E_NS1_11comp_targetILNS1_3genE4ELNS1_11target_archE910ELNS1_3gpuE8ELNS1_3repE0EEENS1_30default_config_static_selectorELNS0_4arch9wavefront6targetE0EEEvSY_, .Lfunc_end471-_ZN7rocprim17ROCPRIM_400000_NS6detail17trampoline_kernelINS0_13select_configILj256ELj13ELNS0_17block_load_methodE3ELS4_3ELS4_3ELNS0_20block_scan_algorithmE0ELj4294967295EEENS1_25partition_config_selectorILNS1_17partition_subalgoE3EjNS0_10empty_typeEbEEZZNS1_14partition_implILS8_3ELb0ES6_jNS0_17counting_iteratorIjlEEPS9_SE_NS0_5tupleIJPjSE_EEENSF_IJSE_SE_EEES9_SG_JZNS1_25segmented_radix_sort_implINS0_14default_configELb1EPKiPiPKlPlN2at6native12_GLOBAL__N_18offset_tEEE10hipError_tPvRmT1_PNSt15iterator_traitsISY_E10value_typeET2_T3_PNSZ_IS14_E10value_typeET4_jRbjT5_S1A_jjP12ihipStream_tbEUljE_EEESV_SW_SX_S14_S18_S1A_T6_T7_T9_mT8_S1C_bDpT10_ENKUlT_T0_E_clISt17integral_constantIbLb1EES1P_EEDaS1K_S1L_EUlS1K_E_NS1_11comp_targetILNS1_3genE4ELNS1_11target_archE910ELNS1_3gpuE8ELNS1_3repE0EEENS1_30default_config_static_selectorELNS0_4arch9wavefront6targetE0EEEvSY_
                                        ; -- End function
	.set _ZN7rocprim17ROCPRIM_400000_NS6detail17trampoline_kernelINS0_13select_configILj256ELj13ELNS0_17block_load_methodE3ELS4_3ELS4_3ELNS0_20block_scan_algorithmE0ELj4294967295EEENS1_25partition_config_selectorILNS1_17partition_subalgoE3EjNS0_10empty_typeEbEEZZNS1_14partition_implILS8_3ELb0ES6_jNS0_17counting_iteratorIjlEEPS9_SE_NS0_5tupleIJPjSE_EEENSF_IJSE_SE_EEES9_SG_JZNS1_25segmented_radix_sort_implINS0_14default_configELb1EPKiPiPKlPlN2at6native12_GLOBAL__N_18offset_tEEE10hipError_tPvRmT1_PNSt15iterator_traitsISY_E10value_typeET2_T3_PNSZ_IS14_E10value_typeET4_jRbjT5_S1A_jjP12ihipStream_tbEUljE_EEESV_SW_SX_S14_S18_S1A_T6_T7_T9_mT8_S1C_bDpT10_ENKUlT_T0_E_clISt17integral_constantIbLb1EES1P_EEDaS1K_S1L_EUlS1K_E_NS1_11comp_targetILNS1_3genE4ELNS1_11target_archE910ELNS1_3gpuE8ELNS1_3repE0EEENS1_30default_config_static_selectorELNS0_4arch9wavefront6targetE0EEEvSY_.num_vgpr, 0
	.set _ZN7rocprim17ROCPRIM_400000_NS6detail17trampoline_kernelINS0_13select_configILj256ELj13ELNS0_17block_load_methodE3ELS4_3ELS4_3ELNS0_20block_scan_algorithmE0ELj4294967295EEENS1_25partition_config_selectorILNS1_17partition_subalgoE3EjNS0_10empty_typeEbEEZZNS1_14partition_implILS8_3ELb0ES6_jNS0_17counting_iteratorIjlEEPS9_SE_NS0_5tupleIJPjSE_EEENSF_IJSE_SE_EEES9_SG_JZNS1_25segmented_radix_sort_implINS0_14default_configELb1EPKiPiPKlPlN2at6native12_GLOBAL__N_18offset_tEEE10hipError_tPvRmT1_PNSt15iterator_traitsISY_E10value_typeET2_T3_PNSZ_IS14_E10value_typeET4_jRbjT5_S1A_jjP12ihipStream_tbEUljE_EEESV_SW_SX_S14_S18_S1A_T6_T7_T9_mT8_S1C_bDpT10_ENKUlT_T0_E_clISt17integral_constantIbLb1EES1P_EEDaS1K_S1L_EUlS1K_E_NS1_11comp_targetILNS1_3genE4ELNS1_11target_archE910ELNS1_3gpuE8ELNS1_3repE0EEENS1_30default_config_static_selectorELNS0_4arch9wavefront6targetE0EEEvSY_.num_agpr, 0
	.set _ZN7rocprim17ROCPRIM_400000_NS6detail17trampoline_kernelINS0_13select_configILj256ELj13ELNS0_17block_load_methodE3ELS4_3ELS4_3ELNS0_20block_scan_algorithmE0ELj4294967295EEENS1_25partition_config_selectorILNS1_17partition_subalgoE3EjNS0_10empty_typeEbEEZZNS1_14partition_implILS8_3ELb0ES6_jNS0_17counting_iteratorIjlEEPS9_SE_NS0_5tupleIJPjSE_EEENSF_IJSE_SE_EEES9_SG_JZNS1_25segmented_radix_sort_implINS0_14default_configELb1EPKiPiPKlPlN2at6native12_GLOBAL__N_18offset_tEEE10hipError_tPvRmT1_PNSt15iterator_traitsISY_E10value_typeET2_T3_PNSZ_IS14_E10value_typeET4_jRbjT5_S1A_jjP12ihipStream_tbEUljE_EEESV_SW_SX_S14_S18_S1A_T6_T7_T9_mT8_S1C_bDpT10_ENKUlT_T0_E_clISt17integral_constantIbLb1EES1P_EEDaS1K_S1L_EUlS1K_E_NS1_11comp_targetILNS1_3genE4ELNS1_11target_archE910ELNS1_3gpuE8ELNS1_3repE0EEENS1_30default_config_static_selectorELNS0_4arch9wavefront6targetE0EEEvSY_.numbered_sgpr, 0
	.set _ZN7rocprim17ROCPRIM_400000_NS6detail17trampoline_kernelINS0_13select_configILj256ELj13ELNS0_17block_load_methodE3ELS4_3ELS4_3ELNS0_20block_scan_algorithmE0ELj4294967295EEENS1_25partition_config_selectorILNS1_17partition_subalgoE3EjNS0_10empty_typeEbEEZZNS1_14partition_implILS8_3ELb0ES6_jNS0_17counting_iteratorIjlEEPS9_SE_NS0_5tupleIJPjSE_EEENSF_IJSE_SE_EEES9_SG_JZNS1_25segmented_radix_sort_implINS0_14default_configELb1EPKiPiPKlPlN2at6native12_GLOBAL__N_18offset_tEEE10hipError_tPvRmT1_PNSt15iterator_traitsISY_E10value_typeET2_T3_PNSZ_IS14_E10value_typeET4_jRbjT5_S1A_jjP12ihipStream_tbEUljE_EEESV_SW_SX_S14_S18_S1A_T6_T7_T9_mT8_S1C_bDpT10_ENKUlT_T0_E_clISt17integral_constantIbLb1EES1P_EEDaS1K_S1L_EUlS1K_E_NS1_11comp_targetILNS1_3genE4ELNS1_11target_archE910ELNS1_3gpuE8ELNS1_3repE0EEENS1_30default_config_static_selectorELNS0_4arch9wavefront6targetE0EEEvSY_.num_named_barrier, 0
	.set _ZN7rocprim17ROCPRIM_400000_NS6detail17trampoline_kernelINS0_13select_configILj256ELj13ELNS0_17block_load_methodE3ELS4_3ELS4_3ELNS0_20block_scan_algorithmE0ELj4294967295EEENS1_25partition_config_selectorILNS1_17partition_subalgoE3EjNS0_10empty_typeEbEEZZNS1_14partition_implILS8_3ELb0ES6_jNS0_17counting_iteratorIjlEEPS9_SE_NS0_5tupleIJPjSE_EEENSF_IJSE_SE_EEES9_SG_JZNS1_25segmented_radix_sort_implINS0_14default_configELb1EPKiPiPKlPlN2at6native12_GLOBAL__N_18offset_tEEE10hipError_tPvRmT1_PNSt15iterator_traitsISY_E10value_typeET2_T3_PNSZ_IS14_E10value_typeET4_jRbjT5_S1A_jjP12ihipStream_tbEUljE_EEESV_SW_SX_S14_S18_S1A_T6_T7_T9_mT8_S1C_bDpT10_ENKUlT_T0_E_clISt17integral_constantIbLb1EES1P_EEDaS1K_S1L_EUlS1K_E_NS1_11comp_targetILNS1_3genE4ELNS1_11target_archE910ELNS1_3gpuE8ELNS1_3repE0EEENS1_30default_config_static_selectorELNS0_4arch9wavefront6targetE0EEEvSY_.private_seg_size, 0
	.set _ZN7rocprim17ROCPRIM_400000_NS6detail17trampoline_kernelINS0_13select_configILj256ELj13ELNS0_17block_load_methodE3ELS4_3ELS4_3ELNS0_20block_scan_algorithmE0ELj4294967295EEENS1_25partition_config_selectorILNS1_17partition_subalgoE3EjNS0_10empty_typeEbEEZZNS1_14partition_implILS8_3ELb0ES6_jNS0_17counting_iteratorIjlEEPS9_SE_NS0_5tupleIJPjSE_EEENSF_IJSE_SE_EEES9_SG_JZNS1_25segmented_radix_sort_implINS0_14default_configELb1EPKiPiPKlPlN2at6native12_GLOBAL__N_18offset_tEEE10hipError_tPvRmT1_PNSt15iterator_traitsISY_E10value_typeET2_T3_PNSZ_IS14_E10value_typeET4_jRbjT5_S1A_jjP12ihipStream_tbEUljE_EEESV_SW_SX_S14_S18_S1A_T6_T7_T9_mT8_S1C_bDpT10_ENKUlT_T0_E_clISt17integral_constantIbLb1EES1P_EEDaS1K_S1L_EUlS1K_E_NS1_11comp_targetILNS1_3genE4ELNS1_11target_archE910ELNS1_3gpuE8ELNS1_3repE0EEENS1_30default_config_static_selectorELNS0_4arch9wavefront6targetE0EEEvSY_.uses_vcc, 0
	.set _ZN7rocprim17ROCPRIM_400000_NS6detail17trampoline_kernelINS0_13select_configILj256ELj13ELNS0_17block_load_methodE3ELS4_3ELS4_3ELNS0_20block_scan_algorithmE0ELj4294967295EEENS1_25partition_config_selectorILNS1_17partition_subalgoE3EjNS0_10empty_typeEbEEZZNS1_14partition_implILS8_3ELb0ES6_jNS0_17counting_iteratorIjlEEPS9_SE_NS0_5tupleIJPjSE_EEENSF_IJSE_SE_EEES9_SG_JZNS1_25segmented_radix_sort_implINS0_14default_configELb1EPKiPiPKlPlN2at6native12_GLOBAL__N_18offset_tEEE10hipError_tPvRmT1_PNSt15iterator_traitsISY_E10value_typeET2_T3_PNSZ_IS14_E10value_typeET4_jRbjT5_S1A_jjP12ihipStream_tbEUljE_EEESV_SW_SX_S14_S18_S1A_T6_T7_T9_mT8_S1C_bDpT10_ENKUlT_T0_E_clISt17integral_constantIbLb1EES1P_EEDaS1K_S1L_EUlS1K_E_NS1_11comp_targetILNS1_3genE4ELNS1_11target_archE910ELNS1_3gpuE8ELNS1_3repE0EEENS1_30default_config_static_selectorELNS0_4arch9wavefront6targetE0EEEvSY_.uses_flat_scratch, 0
	.set _ZN7rocprim17ROCPRIM_400000_NS6detail17trampoline_kernelINS0_13select_configILj256ELj13ELNS0_17block_load_methodE3ELS4_3ELS4_3ELNS0_20block_scan_algorithmE0ELj4294967295EEENS1_25partition_config_selectorILNS1_17partition_subalgoE3EjNS0_10empty_typeEbEEZZNS1_14partition_implILS8_3ELb0ES6_jNS0_17counting_iteratorIjlEEPS9_SE_NS0_5tupleIJPjSE_EEENSF_IJSE_SE_EEES9_SG_JZNS1_25segmented_radix_sort_implINS0_14default_configELb1EPKiPiPKlPlN2at6native12_GLOBAL__N_18offset_tEEE10hipError_tPvRmT1_PNSt15iterator_traitsISY_E10value_typeET2_T3_PNSZ_IS14_E10value_typeET4_jRbjT5_S1A_jjP12ihipStream_tbEUljE_EEESV_SW_SX_S14_S18_S1A_T6_T7_T9_mT8_S1C_bDpT10_ENKUlT_T0_E_clISt17integral_constantIbLb1EES1P_EEDaS1K_S1L_EUlS1K_E_NS1_11comp_targetILNS1_3genE4ELNS1_11target_archE910ELNS1_3gpuE8ELNS1_3repE0EEENS1_30default_config_static_selectorELNS0_4arch9wavefront6targetE0EEEvSY_.has_dyn_sized_stack, 0
	.set _ZN7rocprim17ROCPRIM_400000_NS6detail17trampoline_kernelINS0_13select_configILj256ELj13ELNS0_17block_load_methodE3ELS4_3ELS4_3ELNS0_20block_scan_algorithmE0ELj4294967295EEENS1_25partition_config_selectorILNS1_17partition_subalgoE3EjNS0_10empty_typeEbEEZZNS1_14partition_implILS8_3ELb0ES6_jNS0_17counting_iteratorIjlEEPS9_SE_NS0_5tupleIJPjSE_EEENSF_IJSE_SE_EEES9_SG_JZNS1_25segmented_radix_sort_implINS0_14default_configELb1EPKiPiPKlPlN2at6native12_GLOBAL__N_18offset_tEEE10hipError_tPvRmT1_PNSt15iterator_traitsISY_E10value_typeET2_T3_PNSZ_IS14_E10value_typeET4_jRbjT5_S1A_jjP12ihipStream_tbEUljE_EEESV_SW_SX_S14_S18_S1A_T6_T7_T9_mT8_S1C_bDpT10_ENKUlT_T0_E_clISt17integral_constantIbLb1EES1P_EEDaS1K_S1L_EUlS1K_E_NS1_11comp_targetILNS1_3genE4ELNS1_11target_archE910ELNS1_3gpuE8ELNS1_3repE0EEENS1_30default_config_static_selectorELNS0_4arch9wavefront6targetE0EEEvSY_.has_recursion, 0
	.set _ZN7rocprim17ROCPRIM_400000_NS6detail17trampoline_kernelINS0_13select_configILj256ELj13ELNS0_17block_load_methodE3ELS4_3ELS4_3ELNS0_20block_scan_algorithmE0ELj4294967295EEENS1_25partition_config_selectorILNS1_17partition_subalgoE3EjNS0_10empty_typeEbEEZZNS1_14partition_implILS8_3ELb0ES6_jNS0_17counting_iteratorIjlEEPS9_SE_NS0_5tupleIJPjSE_EEENSF_IJSE_SE_EEES9_SG_JZNS1_25segmented_radix_sort_implINS0_14default_configELb1EPKiPiPKlPlN2at6native12_GLOBAL__N_18offset_tEEE10hipError_tPvRmT1_PNSt15iterator_traitsISY_E10value_typeET2_T3_PNSZ_IS14_E10value_typeET4_jRbjT5_S1A_jjP12ihipStream_tbEUljE_EEESV_SW_SX_S14_S18_S1A_T6_T7_T9_mT8_S1C_bDpT10_ENKUlT_T0_E_clISt17integral_constantIbLb1EES1P_EEDaS1K_S1L_EUlS1K_E_NS1_11comp_targetILNS1_3genE4ELNS1_11target_archE910ELNS1_3gpuE8ELNS1_3repE0EEENS1_30default_config_static_selectorELNS0_4arch9wavefront6targetE0EEEvSY_.has_indirect_call, 0
	.section	.AMDGPU.csdata,"",@progbits
; Kernel info:
; codeLenInByte = 0
; TotalNumSgprs: 0
; NumVgprs: 0
; ScratchSize: 0
; MemoryBound: 0
; FloatMode: 240
; IeeeMode: 1
; LDSByteSize: 0 bytes/workgroup (compile time only)
; SGPRBlocks: 0
; VGPRBlocks: 0
; NumSGPRsForWavesPerEU: 1
; NumVGPRsForWavesPerEU: 1
; NamedBarCnt: 0
; Occupancy: 16
; WaveLimiterHint : 0
; COMPUTE_PGM_RSRC2:SCRATCH_EN: 0
; COMPUTE_PGM_RSRC2:USER_SGPR: 2
; COMPUTE_PGM_RSRC2:TRAP_HANDLER: 0
; COMPUTE_PGM_RSRC2:TGID_X_EN: 1
; COMPUTE_PGM_RSRC2:TGID_Y_EN: 0
; COMPUTE_PGM_RSRC2:TGID_Z_EN: 0
; COMPUTE_PGM_RSRC2:TIDIG_COMP_CNT: 0
	.section	.text._ZN7rocprim17ROCPRIM_400000_NS6detail17trampoline_kernelINS0_13select_configILj256ELj13ELNS0_17block_load_methodE3ELS4_3ELS4_3ELNS0_20block_scan_algorithmE0ELj4294967295EEENS1_25partition_config_selectorILNS1_17partition_subalgoE3EjNS0_10empty_typeEbEEZZNS1_14partition_implILS8_3ELb0ES6_jNS0_17counting_iteratorIjlEEPS9_SE_NS0_5tupleIJPjSE_EEENSF_IJSE_SE_EEES9_SG_JZNS1_25segmented_radix_sort_implINS0_14default_configELb1EPKiPiPKlPlN2at6native12_GLOBAL__N_18offset_tEEE10hipError_tPvRmT1_PNSt15iterator_traitsISY_E10value_typeET2_T3_PNSZ_IS14_E10value_typeET4_jRbjT5_S1A_jjP12ihipStream_tbEUljE_EEESV_SW_SX_S14_S18_S1A_T6_T7_T9_mT8_S1C_bDpT10_ENKUlT_T0_E_clISt17integral_constantIbLb1EES1P_EEDaS1K_S1L_EUlS1K_E_NS1_11comp_targetILNS1_3genE3ELNS1_11target_archE908ELNS1_3gpuE7ELNS1_3repE0EEENS1_30default_config_static_selectorELNS0_4arch9wavefront6targetE0EEEvSY_,"axG",@progbits,_ZN7rocprim17ROCPRIM_400000_NS6detail17trampoline_kernelINS0_13select_configILj256ELj13ELNS0_17block_load_methodE3ELS4_3ELS4_3ELNS0_20block_scan_algorithmE0ELj4294967295EEENS1_25partition_config_selectorILNS1_17partition_subalgoE3EjNS0_10empty_typeEbEEZZNS1_14partition_implILS8_3ELb0ES6_jNS0_17counting_iteratorIjlEEPS9_SE_NS0_5tupleIJPjSE_EEENSF_IJSE_SE_EEES9_SG_JZNS1_25segmented_radix_sort_implINS0_14default_configELb1EPKiPiPKlPlN2at6native12_GLOBAL__N_18offset_tEEE10hipError_tPvRmT1_PNSt15iterator_traitsISY_E10value_typeET2_T3_PNSZ_IS14_E10value_typeET4_jRbjT5_S1A_jjP12ihipStream_tbEUljE_EEESV_SW_SX_S14_S18_S1A_T6_T7_T9_mT8_S1C_bDpT10_ENKUlT_T0_E_clISt17integral_constantIbLb1EES1P_EEDaS1K_S1L_EUlS1K_E_NS1_11comp_targetILNS1_3genE3ELNS1_11target_archE908ELNS1_3gpuE7ELNS1_3repE0EEENS1_30default_config_static_selectorELNS0_4arch9wavefront6targetE0EEEvSY_,comdat
	.globl	_ZN7rocprim17ROCPRIM_400000_NS6detail17trampoline_kernelINS0_13select_configILj256ELj13ELNS0_17block_load_methodE3ELS4_3ELS4_3ELNS0_20block_scan_algorithmE0ELj4294967295EEENS1_25partition_config_selectorILNS1_17partition_subalgoE3EjNS0_10empty_typeEbEEZZNS1_14partition_implILS8_3ELb0ES6_jNS0_17counting_iteratorIjlEEPS9_SE_NS0_5tupleIJPjSE_EEENSF_IJSE_SE_EEES9_SG_JZNS1_25segmented_radix_sort_implINS0_14default_configELb1EPKiPiPKlPlN2at6native12_GLOBAL__N_18offset_tEEE10hipError_tPvRmT1_PNSt15iterator_traitsISY_E10value_typeET2_T3_PNSZ_IS14_E10value_typeET4_jRbjT5_S1A_jjP12ihipStream_tbEUljE_EEESV_SW_SX_S14_S18_S1A_T6_T7_T9_mT8_S1C_bDpT10_ENKUlT_T0_E_clISt17integral_constantIbLb1EES1P_EEDaS1K_S1L_EUlS1K_E_NS1_11comp_targetILNS1_3genE3ELNS1_11target_archE908ELNS1_3gpuE7ELNS1_3repE0EEENS1_30default_config_static_selectorELNS0_4arch9wavefront6targetE0EEEvSY_ ; -- Begin function _ZN7rocprim17ROCPRIM_400000_NS6detail17trampoline_kernelINS0_13select_configILj256ELj13ELNS0_17block_load_methodE3ELS4_3ELS4_3ELNS0_20block_scan_algorithmE0ELj4294967295EEENS1_25partition_config_selectorILNS1_17partition_subalgoE3EjNS0_10empty_typeEbEEZZNS1_14partition_implILS8_3ELb0ES6_jNS0_17counting_iteratorIjlEEPS9_SE_NS0_5tupleIJPjSE_EEENSF_IJSE_SE_EEES9_SG_JZNS1_25segmented_radix_sort_implINS0_14default_configELb1EPKiPiPKlPlN2at6native12_GLOBAL__N_18offset_tEEE10hipError_tPvRmT1_PNSt15iterator_traitsISY_E10value_typeET2_T3_PNSZ_IS14_E10value_typeET4_jRbjT5_S1A_jjP12ihipStream_tbEUljE_EEESV_SW_SX_S14_S18_S1A_T6_T7_T9_mT8_S1C_bDpT10_ENKUlT_T0_E_clISt17integral_constantIbLb1EES1P_EEDaS1K_S1L_EUlS1K_E_NS1_11comp_targetILNS1_3genE3ELNS1_11target_archE908ELNS1_3gpuE7ELNS1_3repE0EEENS1_30default_config_static_selectorELNS0_4arch9wavefront6targetE0EEEvSY_
	.p2align	8
	.type	_ZN7rocprim17ROCPRIM_400000_NS6detail17trampoline_kernelINS0_13select_configILj256ELj13ELNS0_17block_load_methodE3ELS4_3ELS4_3ELNS0_20block_scan_algorithmE0ELj4294967295EEENS1_25partition_config_selectorILNS1_17partition_subalgoE3EjNS0_10empty_typeEbEEZZNS1_14partition_implILS8_3ELb0ES6_jNS0_17counting_iteratorIjlEEPS9_SE_NS0_5tupleIJPjSE_EEENSF_IJSE_SE_EEES9_SG_JZNS1_25segmented_radix_sort_implINS0_14default_configELb1EPKiPiPKlPlN2at6native12_GLOBAL__N_18offset_tEEE10hipError_tPvRmT1_PNSt15iterator_traitsISY_E10value_typeET2_T3_PNSZ_IS14_E10value_typeET4_jRbjT5_S1A_jjP12ihipStream_tbEUljE_EEESV_SW_SX_S14_S18_S1A_T6_T7_T9_mT8_S1C_bDpT10_ENKUlT_T0_E_clISt17integral_constantIbLb1EES1P_EEDaS1K_S1L_EUlS1K_E_NS1_11comp_targetILNS1_3genE3ELNS1_11target_archE908ELNS1_3gpuE7ELNS1_3repE0EEENS1_30default_config_static_selectorELNS0_4arch9wavefront6targetE0EEEvSY_,@function
_ZN7rocprim17ROCPRIM_400000_NS6detail17trampoline_kernelINS0_13select_configILj256ELj13ELNS0_17block_load_methodE3ELS4_3ELS4_3ELNS0_20block_scan_algorithmE0ELj4294967295EEENS1_25partition_config_selectorILNS1_17partition_subalgoE3EjNS0_10empty_typeEbEEZZNS1_14partition_implILS8_3ELb0ES6_jNS0_17counting_iteratorIjlEEPS9_SE_NS0_5tupleIJPjSE_EEENSF_IJSE_SE_EEES9_SG_JZNS1_25segmented_radix_sort_implINS0_14default_configELb1EPKiPiPKlPlN2at6native12_GLOBAL__N_18offset_tEEE10hipError_tPvRmT1_PNSt15iterator_traitsISY_E10value_typeET2_T3_PNSZ_IS14_E10value_typeET4_jRbjT5_S1A_jjP12ihipStream_tbEUljE_EEESV_SW_SX_S14_S18_S1A_T6_T7_T9_mT8_S1C_bDpT10_ENKUlT_T0_E_clISt17integral_constantIbLb1EES1P_EEDaS1K_S1L_EUlS1K_E_NS1_11comp_targetILNS1_3genE3ELNS1_11target_archE908ELNS1_3gpuE7ELNS1_3repE0EEENS1_30default_config_static_selectorELNS0_4arch9wavefront6targetE0EEEvSY_: ; @_ZN7rocprim17ROCPRIM_400000_NS6detail17trampoline_kernelINS0_13select_configILj256ELj13ELNS0_17block_load_methodE3ELS4_3ELS4_3ELNS0_20block_scan_algorithmE0ELj4294967295EEENS1_25partition_config_selectorILNS1_17partition_subalgoE3EjNS0_10empty_typeEbEEZZNS1_14partition_implILS8_3ELb0ES6_jNS0_17counting_iteratorIjlEEPS9_SE_NS0_5tupleIJPjSE_EEENSF_IJSE_SE_EEES9_SG_JZNS1_25segmented_radix_sort_implINS0_14default_configELb1EPKiPiPKlPlN2at6native12_GLOBAL__N_18offset_tEEE10hipError_tPvRmT1_PNSt15iterator_traitsISY_E10value_typeET2_T3_PNSZ_IS14_E10value_typeET4_jRbjT5_S1A_jjP12ihipStream_tbEUljE_EEESV_SW_SX_S14_S18_S1A_T6_T7_T9_mT8_S1C_bDpT10_ENKUlT_T0_E_clISt17integral_constantIbLb1EES1P_EEDaS1K_S1L_EUlS1K_E_NS1_11comp_targetILNS1_3genE3ELNS1_11target_archE908ELNS1_3gpuE7ELNS1_3repE0EEENS1_30default_config_static_selectorELNS0_4arch9wavefront6targetE0EEEvSY_
; %bb.0:
	.section	.rodata,"a",@progbits
	.p2align	6, 0x0
	.amdhsa_kernel _ZN7rocprim17ROCPRIM_400000_NS6detail17trampoline_kernelINS0_13select_configILj256ELj13ELNS0_17block_load_methodE3ELS4_3ELS4_3ELNS0_20block_scan_algorithmE0ELj4294967295EEENS1_25partition_config_selectorILNS1_17partition_subalgoE3EjNS0_10empty_typeEbEEZZNS1_14partition_implILS8_3ELb0ES6_jNS0_17counting_iteratorIjlEEPS9_SE_NS0_5tupleIJPjSE_EEENSF_IJSE_SE_EEES9_SG_JZNS1_25segmented_radix_sort_implINS0_14default_configELb1EPKiPiPKlPlN2at6native12_GLOBAL__N_18offset_tEEE10hipError_tPvRmT1_PNSt15iterator_traitsISY_E10value_typeET2_T3_PNSZ_IS14_E10value_typeET4_jRbjT5_S1A_jjP12ihipStream_tbEUljE_EEESV_SW_SX_S14_S18_S1A_T6_T7_T9_mT8_S1C_bDpT10_ENKUlT_T0_E_clISt17integral_constantIbLb1EES1P_EEDaS1K_S1L_EUlS1K_E_NS1_11comp_targetILNS1_3genE3ELNS1_11target_archE908ELNS1_3gpuE7ELNS1_3repE0EEENS1_30default_config_static_selectorELNS0_4arch9wavefront6targetE0EEEvSY_
		.amdhsa_group_segment_fixed_size 0
		.amdhsa_private_segment_fixed_size 0
		.amdhsa_kernarg_size 152
		.amdhsa_user_sgpr_count 2
		.amdhsa_user_sgpr_dispatch_ptr 0
		.amdhsa_user_sgpr_queue_ptr 0
		.amdhsa_user_sgpr_kernarg_segment_ptr 1
		.amdhsa_user_sgpr_dispatch_id 0
		.amdhsa_user_sgpr_kernarg_preload_length 0
		.amdhsa_user_sgpr_kernarg_preload_offset 0
		.amdhsa_user_sgpr_private_segment_size 0
		.amdhsa_wavefront_size32 1
		.amdhsa_uses_dynamic_stack 0
		.amdhsa_enable_private_segment 0
		.amdhsa_system_sgpr_workgroup_id_x 1
		.amdhsa_system_sgpr_workgroup_id_y 0
		.amdhsa_system_sgpr_workgroup_id_z 0
		.amdhsa_system_sgpr_workgroup_info 0
		.amdhsa_system_vgpr_workitem_id 0
		.amdhsa_next_free_vgpr 1
		.amdhsa_next_free_sgpr 1
		.amdhsa_named_barrier_count 0
		.amdhsa_reserve_vcc 0
		.amdhsa_float_round_mode_32 0
		.amdhsa_float_round_mode_16_64 0
		.amdhsa_float_denorm_mode_32 3
		.amdhsa_float_denorm_mode_16_64 3
		.amdhsa_fp16_overflow 0
		.amdhsa_memory_ordered 1
		.amdhsa_forward_progress 1
		.amdhsa_inst_pref_size 0
		.amdhsa_round_robin_scheduling 0
		.amdhsa_exception_fp_ieee_invalid_op 0
		.amdhsa_exception_fp_denorm_src 0
		.amdhsa_exception_fp_ieee_div_zero 0
		.amdhsa_exception_fp_ieee_overflow 0
		.amdhsa_exception_fp_ieee_underflow 0
		.amdhsa_exception_fp_ieee_inexact 0
		.amdhsa_exception_int_div_zero 0
	.end_amdhsa_kernel
	.section	.text._ZN7rocprim17ROCPRIM_400000_NS6detail17trampoline_kernelINS0_13select_configILj256ELj13ELNS0_17block_load_methodE3ELS4_3ELS4_3ELNS0_20block_scan_algorithmE0ELj4294967295EEENS1_25partition_config_selectorILNS1_17partition_subalgoE3EjNS0_10empty_typeEbEEZZNS1_14partition_implILS8_3ELb0ES6_jNS0_17counting_iteratorIjlEEPS9_SE_NS0_5tupleIJPjSE_EEENSF_IJSE_SE_EEES9_SG_JZNS1_25segmented_radix_sort_implINS0_14default_configELb1EPKiPiPKlPlN2at6native12_GLOBAL__N_18offset_tEEE10hipError_tPvRmT1_PNSt15iterator_traitsISY_E10value_typeET2_T3_PNSZ_IS14_E10value_typeET4_jRbjT5_S1A_jjP12ihipStream_tbEUljE_EEESV_SW_SX_S14_S18_S1A_T6_T7_T9_mT8_S1C_bDpT10_ENKUlT_T0_E_clISt17integral_constantIbLb1EES1P_EEDaS1K_S1L_EUlS1K_E_NS1_11comp_targetILNS1_3genE3ELNS1_11target_archE908ELNS1_3gpuE7ELNS1_3repE0EEENS1_30default_config_static_selectorELNS0_4arch9wavefront6targetE0EEEvSY_,"axG",@progbits,_ZN7rocprim17ROCPRIM_400000_NS6detail17trampoline_kernelINS0_13select_configILj256ELj13ELNS0_17block_load_methodE3ELS4_3ELS4_3ELNS0_20block_scan_algorithmE0ELj4294967295EEENS1_25partition_config_selectorILNS1_17partition_subalgoE3EjNS0_10empty_typeEbEEZZNS1_14partition_implILS8_3ELb0ES6_jNS0_17counting_iteratorIjlEEPS9_SE_NS0_5tupleIJPjSE_EEENSF_IJSE_SE_EEES9_SG_JZNS1_25segmented_radix_sort_implINS0_14default_configELb1EPKiPiPKlPlN2at6native12_GLOBAL__N_18offset_tEEE10hipError_tPvRmT1_PNSt15iterator_traitsISY_E10value_typeET2_T3_PNSZ_IS14_E10value_typeET4_jRbjT5_S1A_jjP12ihipStream_tbEUljE_EEESV_SW_SX_S14_S18_S1A_T6_T7_T9_mT8_S1C_bDpT10_ENKUlT_T0_E_clISt17integral_constantIbLb1EES1P_EEDaS1K_S1L_EUlS1K_E_NS1_11comp_targetILNS1_3genE3ELNS1_11target_archE908ELNS1_3gpuE7ELNS1_3repE0EEENS1_30default_config_static_selectorELNS0_4arch9wavefront6targetE0EEEvSY_,comdat
.Lfunc_end472:
	.size	_ZN7rocprim17ROCPRIM_400000_NS6detail17trampoline_kernelINS0_13select_configILj256ELj13ELNS0_17block_load_methodE3ELS4_3ELS4_3ELNS0_20block_scan_algorithmE0ELj4294967295EEENS1_25partition_config_selectorILNS1_17partition_subalgoE3EjNS0_10empty_typeEbEEZZNS1_14partition_implILS8_3ELb0ES6_jNS0_17counting_iteratorIjlEEPS9_SE_NS0_5tupleIJPjSE_EEENSF_IJSE_SE_EEES9_SG_JZNS1_25segmented_radix_sort_implINS0_14default_configELb1EPKiPiPKlPlN2at6native12_GLOBAL__N_18offset_tEEE10hipError_tPvRmT1_PNSt15iterator_traitsISY_E10value_typeET2_T3_PNSZ_IS14_E10value_typeET4_jRbjT5_S1A_jjP12ihipStream_tbEUljE_EEESV_SW_SX_S14_S18_S1A_T6_T7_T9_mT8_S1C_bDpT10_ENKUlT_T0_E_clISt17integral_constantIbLb1EES1P_EEDaS1K_S1L_EUlS1K_E_NS1_11comp_targetILNS1_3genE3ELNS1_11target_archE908ELNS1_3gpuE7ELNS1_3repE0EEENS1_30default_config_static_selectorELNS0_4arch9wavefront6targetE0EEEvSY_, .Lfunc_end472-_ZN7rocprim17ROCPRIM_400000_NS6detail17trampoline_kernelINS0_13select_configILj256ELj13ELNS0_17block_load_methodE3ELS4_3ELS4_3ELNS0_20block_scan_algorithmE0ELj4294967295EEENS1_25partition_config_selectorILNS1_17partition_subalgoE3EjNS0_10empty_typeEbEEZZNS1_14partition_implILS8_3ELb0ES6_jNS0_17counting_iteratorIjlEEPS9_SE_NS0_5tupleIJPjSE_EEENSF_IJSE_SE_EEES9_SG_JZNS1_25segmented_radix_sort_implINS0_14default_configELb1EPKiPiPKlPlN2at6native12_GLOBAL__N_18offset_tEEE10hipError_tPvRmT1_PNSt15iterator_traitsISY_E10value_typeET2_T3_PNSZ_IS14_E10value_typeET4_jRbjT5_S1A_jjP12ihipStream_tbEUljE_EEESV_SW_SX_S14_S18_S1A_T6_T7_T9_mT8_S1C_bDpT10_ENKUlT_T0_E_clISt17integral_constantIbLb1EES1P_EEDaS1K_S1L_EUlS1K_E_NS1_11comp_targetILNS1_3genE3ELNS1_11target_archE908ELNS1_3gpuE7ELNS1_3repE0EEENS1_30default_config_static_selectorELNS0_4arch9wavefront6targetE0EEEvSY_
                                        ; -- End function
	.set _ZN7rocprim17ROCPRIM_400000_NS6detail17trampoline_kernelINS0_13select_configILj256ELj13ELNS0_17block_load_methodE3ELS4_3ELS4_3ELNS0_20block_scan_algorithmE0ELj4294967295EEENS1_25partition_config_selectorILNS1_17partition_subalgoE3EjNS0_10empty_typeEbEEZZNS1_14partition_implILS8_3ELb0ES6_jNS0_17counting_iteratorIjlEEPS9_SE_NS0_5tupleIJPjSE_EEENSF_IJSE_SE_EEES9_SG_JZNS1_25segmented_radix_sort_implINS0_14default_configELb1EPKiPiPKlPlN2at6native12_GLOBAL__N_18offset_tEEE10hipError_tPvRmT1_PNSt15iterator_traitsISY_E10value_typeET2_T3_PNSZ_IS14_E10value_typeET4_jRbjT5_S1A_jjP12ihipStream_tbEUljE_EEESV_SW_SX_S14_S18_S1A_T6_T7_T9_mT8_S1C_bDpT10_ENKUlT_T0_E_clISt17integral_constantIbLb1EES1P_EEDaS1K_S1L_EUlS1K_E_NS1_11comp_targetILNS1_3genE3ELNS1_11target_archE908ELNS1_3gpuE7ELNS1_3repE0EEENS1_30default_config_static_selectorELNS0_4arch9wavefront6targetE0EEEvSY_.num_vgpr, 0
	.set _ZN7rocprim17ROCPRIM_400000_NS6detail17trampoline_kernelINS0_13select_configILj256ELj13ELNS0_17block_load_methodE3ELS4_3ELS4_3ELNS0_20block_scan_algorithmE0ELj4294967295EEENS1_25partition_config_selectorILNS1_17partition_subalgoE3EjNS0_10empty_typeEbEEZZNS1_14partition_implILS8_3ELb0ES6_jNS0_17counting_iteratorIjlEEPS9_SE_NS0_5tupleIJPjSE_EEENSF_IJSE_SE_EEES9_SG_JZNS1_25segmented_radix_sort_implINS0_14default_configELb1EPKiPiPKlPlN2at6native12_GLOBAL__N_18offset_tEEE10hipError_tPvRmT1_PNSt15iterator_traitsISY_E10value_typeET2_T3_PNSZ_IS14_E10value_typeET4_jRbjT5_S1A_jjP12ihipStream_tbEUljE_EEESV_SW_SX_S14_S18_S1A_T6_T7_T9_mT8_S1C_bDpT10_ENKUlT_T0_E_clISt17integral_constantIbLb1EES1P_EEDaS1K_S1L_EUlS1K_E_NS1_11comp_targetILNS1_3genE3ELNS1_11target_archE908ELNS1_3gpuE7ELNS1_3repE0EEENS1_30default_config_static_selectorELNS0_4arch9wavefront6targetE0EEEvSY_.num_agpr, 0
	.set _ZN7rocprim17ROCPRIM_400000_NS6detail17trampoline_kernelINS0_13select_configILj256ELj13ELNS0_17block_load_methodE3ELS4_3ELS4_3ELNS0_20block_scan_algorithmE0ELj4294967295EEENS1_25partition_config_selectorILNS1_17partition_subalgoE3EjNS0_10empty_typeEbEEZZNS1_14partition_implILS8_3ELb0ES6_jNS0_17counting_iteratorIjlEEPS9_SE_NS0_5tupleIJPjSE_EEENSF_IJSE_SE_EEES9_SG_JZNS1_25segmented_radix_sort_implINS0_14default_configELb1EPKiPiPKlPlN2at6native12_GLOBAL__N_18offset_tEEE10hipError_tPvRmT1_PNSt15iterator_traitsISY_E10value_typeET2_T3_PNSZ_IS14_E10value_typeET4_jRbjT5_S1A_jjP12ihipStream_tbEUljE_EEESV_SW_SX_S14_S18_S1A_T6_T7_T9_mT8_S1C_bDpT10_ENKUlT_T0_E_clISt17integral_constantIbLb1EES1P_EEDaS1K_S1L_EUlS1K_E_NS1_11comp_targetILNS1_3genE3ELNS1_11target_archE908ELNS1_3gpuE7ELNS1_3repE0EEENS1_30default_config_static_selectorELNS0_4arch9wavefront6targetE0EEEvSY_.numbered_sgpr, 0
	.set _ZN7rocprim17ROCPRIM_400000_NS6detail17trampoline_kernelINS0_13select_configILj256ELj13ELNS0_17block_load_methodE3ELS4_3ELS4_3ELNS0_20block_scan_algorithmE0ELj4294967295EEENS1_25partition_config_selectorILNS1_17partition_subalgoE3EjNS0_10empty_typeEbEEZZNS1_14partition_implILS8_3ELb0ES6_jNS0_17counting_iteratorIjlEEPS9_SE_NS0_5tupleIJPjSE_EEENSF_IJSE_SE_EEES9_SG_JZNS1_25segmented_radix_sort_implINS0_14default_configELb1EPKiPiPKlPlN2at6native12_GLOBAL__N_18offset_tEEE10hipError_tPvRmT1_PNSt15iterator_traitsISY_E10value_typeET2_T3_PNSZ_IS14_E10value_typeET4_jRbjT5_S1A_jjP12ihipStream_tbEUljE_EEESV_SW_SX_S14_S18_S1A_T6_T7_T9_mT8_S1C_bDpT10_ENKUlT_T0_E_clISt17integral_constantIbLb1EES1P_EEDaS1K_S1L_EUlS1K_E_NS1_11comp_targetILNS1_3genE3ELNS1_11target_archE908ELNS1_3gpuE7ELNS1_3repE0EEENS1_30default_config_static_selectorELNS0_4arch9wavefront6targetE0EEEvSY_.num_named_barrier, 0
	.set _ZN7rocprim17ROCPRIM_400000_NS6detail17trampoline_kernelINS0_13select_configILj256ELj13ELNS0_17block_load_methodE3ELS4_3ELS4_3ELNS0_20block_scan_algorithmE0ELj4294967295EEENS1_25partition_config_selectorILNS1_17partition_subalgoE3EjNS0_10empty_typeEbEEZZNS1_14partition_implILS8_3ELb0ES6_jNS0_17counting_iteratorIjlEEPS9_SE_NS0_5tupleIJPjSE_EEENSF_IJSE_SE_EEES9_SG_JZNS1_25segmented_radix_sort_implINS0_14default_configELb1EPKiPiPKlPlN2at6native12_GLOBAL__N_18offset_tEEE10hipError_tPvRmT1_PNSt15iterator_traitsISY_E10value_typeET2_T3_PNSZ_IS14_E10value_typeET4_jRbjT5_S1A_jjP12ihipStream_tbEUljE_EEESV_SW_SX_S14_S18_S1A_T6_T7_T9_mT8_S1C_bDpT10_ENKUlT_T0_E_clISt17integral_constantIbLb1EES1P_EEDaS1K_S1L_EUlS1K_E_NS1_11comp_targetILNS1_3genE3ELNS1_11target_archE908ELNS1_3gpuE7ELNS1_3repE0EEENS1_30default_config_static_selectorELNS0_4arch9wavefront6targetE0EEEvSY_.private_seg_size, 0
	.set _ZN7rocprim17ROCPRIM_400000_NS6detail17trampoline_kernelINS0_13select_configILj256ELj13ELNS0_17block_load_methodE3ELS4_3ELS4_3ELNS0_20block_scan_algorithmE0ELj4294967295EEENS1_25partition_config_selectorILNS1_17partition_subalgoE3EjNS0_10empty_typeEbEEZZNS1_14partition_implILS8_3ELb0ES6_jNS0_17counting_iteratorIjlEEPS9_SE_NS0_5tupleIJPjSE_EEENSF_IJSE_SE_EEES9_SG_JZNS1_25segmented_radix_sort_implINS0_14default_configELb1EPKiPiPKlPlN2at6native12_GLOBAL__N_18offset_tEEE10hipError_tPvRmT1_PNSt15iterator_traitsISY_E10value_typeET2_T3_PNSZ_IS14_E10value_typeET4_jRbjT5_S1A_jjP12ihipStream_tbEUljE_EEESV_SW_SX_S14_S18_S1A_T6_T7_T9_mT8_S1C_bDpT10_ENKUlT_T0_E_clISt17integral_constantIbLb1EES1P_EEDaS1K_S1L_EUlS1K_E_NS1_11comp_targetILNS1_3genE3ELNS1_11target_archE908ELNS1_3gpuE7ELNS1_3repE0EEENS1_30default_config_static_selectorELNS0_4arch9wavefront6targetE0EEEvSY_.uses_vcc, 0
	.set _ZN7rocprim17ROCPRIM_400000_NS6detail17trampoline_kernelINS0_13select_configILj256ELj13ELNS0_17block_load_methodE3ELS4_3ELS4_3ELNS0_20block_scan_algorithmE0ELj4294967295EEENS1_25partition_config_selectorILNS1_17partition_subalgoE3EjNS0_10empty_typeEbEEZZNS1_14partition_implILS8_3ELb0ES6_jNS0_17counting_iteratorIjlEEPS9_SE_NS0_5tupleIJPjSE_EEENSF_IJSE_SE_EEES9_SG_JZNS1_25segmented_radix_sort_implINS0_14default_configELb1EPKiPiPKlPlN2at6native12_GLOBAL__N_18offset_tEEE10hipError_tPvRmT1_PNSt15iterator_traitsISY_E10value_typeET2_T3_PNSZ_IS14_E10value_typeET4_jRbjT5_S1A_jjP12ihipStream_tbEUljE_EEESV_SW_SX_S14_S18_S1A_T6_T7_T9_mT8_S1C_bDpT10_ENKUlT_T0_E_clISt17integral_constantIbLb1EES1P_EEDaS1K_S1L_EUlS1K_E_NS1_11comp_targetILNS1_3genE3ELNS1_11target_archE908ELNS1_3gpuE7ELNS1_3repE0EEENS1_30default_config_static_selectorELNS0_4arch9wavefront6targetE0EEEvSY_.uses_flat_scratch, 0
	.set _ZN7rocprim17ROCPRIM_400000_NS6detail17trampoline_kernelINS0_13select_configILj256ELj13ELNS0_17block_load_methodE3ELS4_3ELS4_3ELNS0_20block_scan_algorithmE0ELj4294967295EEENS1_25partition_config_selectorILNS1_17partition_subalgoE3EjNS0_10empty_typeEbEEZZNS1_14partition_implILS8_3ELb0ES6_jNS0_17counting_iteratorIjlEEPS9_SE_NS0_5tupleIJPjSE_EEENSF_IJSE_SE_EEES9_SG_JZNS1_25segmented_radix_sort_implINS0_14default_configELb1EPKiPiPKlPlN2at6native12_GLOBAL__N_18offset_tEEE10hipError_tPvRmT1_PNSt15iterator_traitsISY_E10value_typeET2_T3_PNSZ_IS14_E10value_typeET4_jRbjT5_S1A_jjP12ihipStream_tbEUljE_EEESV_SW_SX_S14_S18_S1A_T6_T7_T9_mT8_S1C_bDpT10_ENKUlT_T0_E_clISt17integral_constantIbLb1EES1P_EEDaS1K_S1L_EUlS1K_E_NS1_11comp_targetILNS1_3genE3ELNS1_11target_archE908ELNS1_3gpuE7ELNS1_3repE0EEENS1_30default_config_static_selectorELNS0_4arch9wavefront6targetE0EEEvSY_.has_dyn_sized_stack, 0
	.set _ZN7rocprim17ROCPRIM_400000_NS6detail17trampoline_kernelINS0_13select_configILj256ELj13ELNS0_17block_load_methodE3ELS4_3ELS4_3ELNS0_20block_scan_algorithmE0ELj4294967295EEENS1_25partition_config_selectorILNS1_17partition_subalgoE3EjNS0_10empty_typeEbEEZZNS1_14partition_implILS8_3ELb0ES6_jNS0_17counting_iteratorIjlEEPS9_SE_NS0_5tupleIJPjSE_EEENSF_IJSE_SE_EEES9_SG_JZNS1_25segmented_radix_sort_implINS0_14default_configELb1EPKiPiPKlPlN2at6native12_GLOBAL__N_18offset_tEEE10hipError_tPvRmT1_PNSt15iterator_traitsISY_E10value_typeET2_T3_PNSZ_IS14_E10value_typeET4_jRbjT5_S1A_jjP12ihipStream_tbEUljE_EEESV_SW_SX_S14_S18_S1A_T6_T7_T9_mT8_S1C_bDpT10_ENKUlT_T0_E_clISt17integral_constantIbLb1EES1P_EEDaS1K_S1L_EUlS1K_E_NS1_11comp_targetILNS1_3genE3ELNS1_11target_archE908ELNS1_3gpuE7ELNS1_3repE0EEENS1_30default_config_static_selectorELNS0_4arch9wavefront6targetE0EEEvSY_.has_recursion, 0
	.set _ZN7rocprim17ROCPRIM_400000_NS6detail17trampoline_kernelINS0_13select_configILj256ELj13ELNS0_17block_load_methodE3ELS4_3ELS4_3ELNS0_20block_scan_algorithmE0ELj4294967295EEENS1_25partition_config_selectorILNS1_17partition_subalgoE3EjNS0_10empty_typeEbEEZZNS1_14partition_implILS8_3ELb0ES6_jNS0_17counting_iteratorIjlEEPS9_SE_NS0_5tupleIJPjSE_EEENSF_IJSE_SE_EEES9_SG_JZNS1_25segmented_radix_sort_implINS0_14default_configELb1EPKiPiPKlPlN2at6native12_GLOBAL__N_18offset_tEEE10hipError_tPvRmT1_PNSt15iterator_traitsISY_E10value_typeET2_T3_PNSZ_IS14_E10value_typeET4_jRbjT5_S1A_jjP12ihipStream_tbEUljE_EEESV_SW_SX_S14_S18_S1A_T6_T7_T9_mT8_S1C_bDpT10_ENKUlT_T0_E_clISt17integral_constantIbLb1EES1P_EEDaS1K_S1L_EUlS1K_E_NS1_11comp_targetILNS1_3genE3ELNS1_11target_archE908ELNS1_3gpuE7ELNS1_3repE0EEENS1_30default_config_static_selectorELNS0_4arch9wavefront6targetE0EEEvSY_.has_indirect_call, 0
	.section	.AMDGPU.csdata,"",@progbits
; Kernel info:
; codeLenInByte = 0
; TotalNumSgprs: 0
; NumVgprs: 0
; ScratchSize: 0
; MemoryBound: 0
; FloatMode: 240
; IeeeMode: 1
; LDSByteSize: 0 bytes/workgroup (compile time only)
; SGPRBlocks: 0
; VGPRBlocks: 0
; NumSGPRsForWavesPerEU: 1
; NumVGPRsForWavesPerEU: 1
; NamedBarCnt: 0
; Occupancy: 16
; WaveLimiterHint : 0
; COMPUTE_PGM_RSRC2:SCRATCH_EN: 0
; COMPUTE_PGM_RSRC2:USER_SGPR: 2
; COMPUTE_PGM_RSRC2:TRAP_HANDLER: 0
; COMPUTE_PGM_RSRC2:TGID_X_EN: 1
; COMPUTE_PGM_RSRC2:TGID_Y_EN: 0
; COMPUTE_PGM_RSRC2:TGID_Z_EN: 0
; COMPUTE_PGM_RSRC2:TIDIG_COMP_CNT: 0
	.section	.text._ZN7rocprim17ROCPRIM_400000_NS6detail17trampoline_kernelINS0_13select_configILj256ELj13ELNS0_17block_load_methodE3ELS4_3ELS4_3ELNS0_20block_scan_algorithmE0ELj4294967295EEENS1_25partition_config_selectorILNS1_17partition_subalgoE3EjNS0_10empty_typeEbEEZZNS1_14partition_implILS8_3ELb0ES6_jNS0_17counting_iteratorIjlEEPS9_SE_NS0_5tupleIJPjSE_EEENSF_IJSE_SE_EEES9_SG_JZNS1_25segmented_radix_sort_implINS0_14default_configELb1EPKiPiPKlPlN2at6native12_GLOBAL__N_18offset_tEEE10hipError_tPvRmT1_PNSt15iterator_traitsISY_E10value_typeET2_T3_PNSZ_IS14_E10value_typeET4_jRbjT5_S1A_jjP12ihipStream_tbEUljE_EEESV_SW_SX_S14_S18_S1A_T6_T7_T9_mT8_S1C_bDpT10_ENKUlT_T0_E_clISt17integral_constantIbLb1EES1P_EEDaS1K_S1L_EUlS1K_E_NS1_11comp_targetILNS1_3genE2ELNS1_11target_archE906ELNS1_3gpuE6ELNS1_3repE0EEENS1_30default_config_static_selectorELNS0_4arch9wavefront6targetE0EEEvSY_,"axG",@progbits,_ZN7rocprim17ROCPRIM_400000_NS6detail17trampoline_kernelINS0_13select_configILj256ELj13ELNS0_17block_load_methodE3ELS4_3ELS4_3ELNS0_20block_scan_algorithmE0ELj4294967295EEENS1_25partition_config_selectorILNS1_17partition_subalgoE3EjNS0_10empty_typeEbEEZZNS1_14partition_implILS8_3ELb0ES6_jNS0_17counting_iteratorIjlEEPS9_SE_NS0_5tupleIJPjSE_EEENSF_IJSE_SE_EEES9_SG_JZNS1_25segmented_radix_sort_implINS0_14default_configELb1EPKiPiPKlPlN2at6native12_GLOBAL__N_18offset_tEEE10hipError_tPvRmT1_PNSt15iterator_traitsISY_E10value_typeET2_T3_PNSZ_IS14_E10value_typeET4_jRbjT5_S1A_jjP12ihipStream_tbEUljE_EEESV_SW_SX_S14_S18_S1A_T6_T7_T9_mT8_S1C_bDpT10_ENKUlT_T0_E_clISt17integral_constantIbLb1EES1P_EEDaS1K_S1L_EUlS1K_E_NS1_11comp_targetILNS1_3genE2ELNS1_11target_archE906ELNS1_3gpuE6ELNS1_3repE0EEENS1_30default_config_static_selectorELNS0_4arch9wavefront6targetE0EEEvSY_,comdat
	.globl	_ZN7rocprim17ROCPRIM_400000_NS6detail17trampoline_kernelINS0_13select_configILj256ELj13ELNS0_17block_load_methodE3ELS4_3ELS4_3ELNS0_20block_scan_algorithmE0ELj4294967295EEENS1_25partition_config_selectorILNS1_17partition_subalgoE3EjNS0_10empty_typeEbEEZZNS1_14partition_implILS8_3ELb0ES6_jNS0_17counting_iteratorIjlEEPS9_SE_NS0_5tupleIJPjSE_EEENSF_IJSE_SE_EEES9_SG_JZNS1_25segmented_radix_sort_implINS0_14default_configELb1EPKiPiPKlPlN2at6native12_GLOBAL__N_18offset_tEEE10hipError_tPvRmT1_PNSt15iterator_traitsISY_E10value_typeET2_T3_PNSZ_IS14_E10value_typeET4_jRbjT5_S1A_jjP12ihipStream_tbEUljE_EEESV_SW_SX_S14_S18_S1A_T6_T7_T9_mT8_S1C_bDpT10_ENKUlT_T0_E_clISt17integral_constantIbLb1EES1P_EEDaS1K_S1L_EUlS1K_E_NS1_11comp_targetILNS1_3genE2ELNS1_11target_archE906ELNS1_3gpuE6ELNS1_3repE0EEENS1_30default_config_static_selectorELNS0_4arch9wavefront6targetE0EEEvSY_ ; -- Begin function _ZN7rocprim17ROCPRIM_400000_NS6detail17trampoline_kernelINS0_13select_configILj256ELj13ELNS0_17block_load_methodE3ELS4_3ELS4_3ELNS0_20block_scan_algorithmE0ELj4294967295EEENS1_25partition_config_selectorILNS1_17partition_subalgoE3EjNS0_10empty_typeEbEEZZNS1_14partition_implILS8_3ELb0ES6_jNS0_17counting_iteratorIjlEEPS9_SE_NS0_5tupleIJPjSE_EEENSF_IJSE_SE_EEES9_SG_JZNS1_25segmented_radix_sort_implINS0_14default_configELb1EPKiPiPKlPlN2at6native12_GLOBAL__N_18offset_tEEE10hipError_tPvRmT1_PNSt15iterator_traitsISY_E10value_typeET2_T3_PNSZ_IS14_E10value_typeET4_jRbjT5_S1A_jjP12ihipStream_tbEUljE_EEESV_SW_SX_S14_S18_S1A_T6_T7_T9_mT8_S1C_bDpT10_ENKUlT_T0_E_clISt17integral_constantIbLb1EES1P_EEDaS1K_S1L_EUlS1K_E_NS1_11comp_targetILNS1_3genE2ELNS1_11target_archE906ELNS1_3gpuE6ELNS1_3repE0EEENS1_30default_config_static_selectorELNS0_4arch9wavefront6targetE0EEEvSY_
	.p2align	8
	.type	_ZN7rocprim17ROCPRIM_400000_NS6detail17trampoline_kernelINS0_13select_configILj256ELj13ELNS0_17block_load_methodE3ELS4_3ELS4_3ELNS0_20block_scan_algorithmE0ELj4294967295EEENS1_25partition_config_selectorILNS1_17partition_subalgoE3EjNS0_10empty_typeEbEEZZNS1_14partition_implILS8_3ELb0ES6_jNS0_17counting_iteratorIjlEEPS9_SE_NS0_5tupleIJPjSE_EEENSF_IJSE_SE_EEES9_SG_JZNS1_25segmented_radix_sort_implINS0_14default_configELb1EPKiPiPKlPlN2at6native12_GLOBAL__N_18offset_tEEE10hipError_tPvRmT1_PNSt15iterator_traitsISY_E10value_typeET2_T3_PNSZ_IS14_E10value_typeET4_jRbjT5_S1A_jjP12ihipStream_tbEUljE_EEESV_SW_SX_S14_S18_S1A_T6_T7_T9_mT8_S1C_bDpT10_ENKUlT_T0_E_clISt17integral_constantIbLb1EES1P_EEDaS1K_S1L_EUlS1K_E_NS1_11comp_targetILNS1_3genE2ELNS1_11target_archE906ELNS1_3gpuE6ELNS1_3repE0EEENS1_30default_config_static_selectorELNS0_4arch9wavefront6targetE0EEEvSY_,@function
_ZN7rocprim17ROCPRIM_400000_NS6detail17trampoline_kernelINS0_13select_configILj256ELj13ELNS0_17block_load_methodE3ELS4_3ELS4_3ELNS0_20block_scan_algorithmE0ELj4294967295EEENS1_25partition_config_selectorILNS1_17partition_subalgoE3EjNS0_10empty_typeEbEEZZNS1_14partition_implILS8_3ELb0ES6_jNS0_17counting_iteratorIjlEEPS9_SE_NS0_5tupleIJPjSE_EEENSF_IJSE_SE_EEES9_SG_JZNS1_25segmented_radix_sort_implINS0_14default_configELb1EPKiPiPKlPlN2at6native12_GLOBAL__N_18offset_tEEE10hipError_tPvRmT1_PNSt15iterator_traitsISY_E10value_typeET2_T3_PNSZ_IS14_E10value_typeET4_jRbjT5_S1A_jjP12ihipStream_tbEUljE_EEESV_SW_SX_S14_S18_S1A_T6_T7_T9_mT8_S1C_bDpT10_ENKUlT_T0_E_clISt17integral_constantIbLb1EES1P_EEDaS1K_S1L_EUlS1K_E_NS1_11comp_targetILNS1_3genE2ELNS1_11target_archE906ELNS1_3gpuE6ELNS1_3repE0EEENS1_30default_config_static_selectorELNS0_4arch9wavefront6targetE0EEEvSY_: ; @_ZN7rocprim17ROCPRIM_400000_NS6detail17trampoline_kernelINS0_13select_configILj256ELj13ELNS0_17block_load_methodE3ELS4_3ELS4_3ELNS0_20block_scan_algorithmE0ELj4294967295EEENS1_25partition_config_selectorILNS1_17partition_subalgoE3EjNS0_10empty_typeEbEEZZNS1_14partition_implILS8_3ELb0ES6_jNS0_17counting_iteratorIjlEEPS9_SE_NS0_5tupleIJPjSE_EEENSF_IJSE_SE_EEES9_SG_JZNS1_25segmented_radix_sort_implINS0_14default_configELb1EPKiPiPKlPlN2at6native12_GLOBAL__N_18offset_tEEE10hipError_tPvRmT1_PNSt15iterator_traitsISY_E10value_typeET2_T3_PNSZ_IS14_E10value_typeET4_jRbjT5_S1A_jjP12ihipStream_tbEUljE_EEESV_SW_SX_S14_S18_S1A_T6_T7_T9_mT8_S1C_bDpT10_ENKUlT_T0_E_clISt17integral_constantIbLb1EES1P_EEDaS1K_S1L_EUlS1K_E_NS1_11comp_targetILNS1_3genE2ELNS1_11target_archE906ELNS1_3gpuE6ELNS1_3repE0EEENS1_30default_config_static_selectorELNS0_4arch9wavefront6targetE0EEEvSY_
; %bb.0:
	.section	.rodata,"a",@progbits
	.p2align	6, 0x0
	.amdhsa_kernel _ZN7rocprim17ROCPRIM_400000_NS6detail17trampoline_kernelINS0_13select_configILj256ELj13ELNS0_17block_load_methodE3ELS4_3ELS4_3ELNS0_20block_scan_algorithmE0ELj4294967295EEENS1_25partition_config_selectorILNS1_17partition_subalgoE3EjNS0_10empty_typeEbEEZZNS1_14partition_implILS8_3ELb0ES6_jNS0_17counting_iteratorIjlEEPS9_SE_NS0_5tupleIJPjSE_EEENSF_IJSE_SE_EEES9_SG_JZNS1_25segmented_radix_sort_implINS0_14default_configELb1EPKiPiPKlPlN2at6native12_GLOBAL__N_18offset_tEEE10hipError_tPvRmT1_PNSt15iterator_traitsISY_E10value_typeET2_T3_PNSZ_IS14_E10value_typeET4_jRbjT5_S1A_jjP12ihipStream_tbEUljE_EEESV_SW_SX_S14_S18_S1A_T6_T7_T9_mT8_S1C_bDpT10_ENKUlT_T0_E_clISt17integral_constantIbLb1EES1P_EEDaS1K_S1L_EUlS1K_E_NS1_11comp_targetILNS1_3genE2ELNS1_11target_archE906ELNS1_3gpuE6ELNS1_3repE0EEENS1_30default_config_static_selectorELNS0_4arch9wavefront6targetE0EEEvSY_
		.amdhsa_group_segment_fixed_size 0
		.amdhsa_private_segment_fixed_size 0
		.amdhsa_kernarg_size 152
		.amdhsa_user_sgpr_count 2
		.amdhsa_user_sgpr_dispatch_ptr 0
		.amdhsa_user_sgpr_queue_ptr 0
		.amdhsa_user_sgpr_kernarg_segment_ptr 1
		.amdhsa_user_sgpr_dispatch_id 0
		.amdhsa_user_sgpr_kernarg_preload_length 0
		.amdhsa_user_sgpr_kernarg_preload_offset 0
		.amdhsa_user_sgpr_private_segment_size 0
		.amdhsa_wavefront_size32 1
		.amdhsa_uses_dynamic_stack 0
		.amdhsa_enable_private_segment 0
		.amdhsa_system_sgpr_workgroup_id_x 1
		.amdhsa_system_sgpr_workgroup_id_y 0
		.amdhsa_system_sgpr_workgroup_id_z 0
		.amdhsa_system_sgpr_workgroup_info 0
		.amdhsa_system_vgpr_workitem_id 0
		.amdhsa_next_free_vgpr 1
		.amdhsa_next_free_sgpr 1
		.amdhsa_named_barrier_count 0
		.amdhsa_reserve_vcc 0
		.amdhsa_float_round_mode_32 0
		.amdhsa_float_round_mode_16_64 0
		.amdhsa_float_denorm_mode_32 3
		.amdhsa_float_denorm_mode_16_64 3
		.amdhsa_fp16_overflow 0
		.amdhsa_memory_ordered 1
		.amdhsa_forward_progress 1
		.amdhsa_inst_pref_size 0
		.amdhsa_round_robin_scheduling 0
		.amdhsa_exception_fp_ieee_invalid_op 0
		.amdhsa_exception_fp_denorm_src 0
		.amdhsa_exception_fp_ieee_div_zero 0
		.amdhsa_exception_fp_ieee_overflow 0
		.amdhsa_exception_fp_ieee_underflow 0
		.amdhsa_exception_fp_ieee_inexact 0
		.amdhsa_exception_int_div_zero 0
	.end_amdhsa_kernel
	.section	.text._ZN7rocprim17ROCPRIM_400000_NS6detail17trampoline_kernelINS0_13select_configILj256ELj13ELNS0_17block_load_methodE3ELS4_3ELS4_3ELNS0_20block_scan_algorithmE0ELj4294967295EEENS1_25partition_config_selectorILNS1_17partition_subalgoE3EjNS0_10empty_typeEbEEZZNS1_14partition_implILS8_3ELb0ES6_jNS0_17counting_iteratorIjlEEPS9_SE_NS0_5tupleIJPjSE_EEENSF_IJSE_SE_EEES9_SG_JZNS1_25segmented_radix_sort_implINS0_14default_configELb1EPKiPiPKlPlN2at6native12_GLOBAL__N_18offset_tEEE10hipError_tPvRmT1_PNSt15iterator_traitsISY_E10value_typeET2_T3_PNSZ_IS14_E10value_typeET4_jRbjT5_S1A_jjP12ihipStream_tbEUljE_EEESV_SW_SX_S14_S18_S1A_T6_T7_T9_mT8_S1C_bDpT10_ENKUlT_T0_E_clISt17integral_constantIbLb1EES1P_EEDaS1K_S1L_EUlS1K_E_NS1_11comp_targetILNS1_3genE2ELNS1_11target_archE906ELNS1_3gpuE6ELNS1_3repE0EEENS1_30default_config_static_selectorELNS0_4arch9wavefront6targetE0EEEvSY_,"axG",@progbits,_ZN7rocprim17ROCPRIM_400000_NS6detail17trampoline_kernelINS0_13select_configILj256ELj13ELNS0_17block_load_methodE3ELS4_3ELS4_3ELNS0_20block_scan_algorithmE0ELj4294967295EEENS1_25partition_config_selectorILNS1_17partition_subalgoE3EjNS0_10empty_typeEbEEZZNS1_14partition_implILS8_3ELb0ES6_jNS0_17counting_iteratorIjlEEPS9_SE_NS0_5tupleIJPjSE_EEENSF_IJSE_SE_EEES9_SG_JZNS1_25segmented_radix_sort_implINS0_14default_configELb1EPKiPiPKlPlN2at6native12_GLOBAL__N_18offset_tEEE10hipError_tPvRmT1_PNSt15iterator_traitsISY_E10value_typeET2_T3_PNSZ_IS14_E10value_typeET4_jRbjT5_S1A_jjP12ihipStream_tbEUljE_EEESV_SW_SX_S14_S18_S1A_T6_T7_T9_mT8_S1C_bDpT10_ENKUlT_T0_E_clISt17integral_constantIbLb1EES1P_EEDaS1K_S1L_EUlS1K_E_NS1_11comp_targetILNS1_3genE2ELNS1_11target_archE906ELNS1_3gpuE6ELNS1_3repE0EEENS1_30default_config_static_selectorELNS0_4arch9wavefront6targetE0EEEvSY_,comdat
.Lfunc_end473:
	.size	_ZN7rocprim17ROCPRIM_400000_NS6detail17trampoline_kernelINS0_13select_configILj256ELj13ELNS0_17block_load_methodE3ELS4_3ELS4_3ELNS0_20block_scan_algorithmE0ELj4294967295EEENS1_25partition_config_selectorILNS1_17partition_subalgoE3EjNS0_10empty_typeEbEEZZNS1_14partition_implILS8_3ELb0ES6_jNS0_17counting_iteratorIjlEEPS9_SE_NS0_5tupleIJPjSE_EEENSF_IJSE_SE_EEES9_SG_JZNS1_25segmented_radix_sort_implINS0_14default_configELb1EPKiPiPKlPlN2at6native12_GLOBAL__N_18offset_tEEE10hipError_tPvRmT1_PNSt15iterator_traitsISY_E10value_typeET2_T3_PNSZ_IS14_E10value_typeET4_jRbjT5_S1A_jjP12ihipStream_tbEUljE_EEESV_SW_SX_S14_S18_S1A_T6_T7_T9_mT8_S1C_bDpT10_ENKUlT_T0_E_clISt17integral_constantIbLb1EES1P_EEDaS1K_S1L_EUlS1K_E_NS1_11comp_targetILNS1_3genE2ELNS1_11target_archE906ELNS1_3gpuE6ELNS1_3repE0EEENS1_30default_config_static_selectorELNS0_4arch9wavefront6targetE0EEEvSY_, .Lfunc_end473-_ZN7rocprim17ROCPRIM_400000_NS6detail17trampoline_kernelINS0_13select_configILj256ELj13ELNS0_17block_load_methodE3ELS4_3ELS4_3ELNS0_20block_scan_algorithmE0ELj4294967295EEENS1_25partition_config_selectorILNS1_17partition_subalgoE3EjNS0_10empty_typeEbEEZZNS1_14partition_implILS8_3ELb0ES6_jNS0_17counting_iteratorIjlEEPS9_SE_NS0_5tupleIJPjSE_EEENSF_IJSE_SE_EEES9_SG_JZNS1_25segmented_radix_sort_implINS0_14default_configELb1EPKiPiPKlPlN2at6native12_GLOBAL__N_18offset_tEEE10hipError_tPvRmT1_PNSt15iterator_traitsISY_E10value_typeET2_T3_PNSZ_IS14_E10value_typeET4_jRbjT5_S1A_jjP12ihipStream_tbEUljE_EEESV_SW_SX_S14_S18_S1A_T6_T7_T9_mT8_S1C_bDpT10_ENKUlT_T0_E_clISt17integral_constantIbLb1EES1P_EEDaS1K_S1L_EUlS1K_E_NS1_11comp_targetILNS1_3genE2ELNS1_11target_archE906ELNS1_3gpuE6ELNS1_3repE0EEENS1_30default_config_static_selectorELNS0_4arch9wavefront6targetE0EEEvSY_
                                        ; -- End function
	.set _ZN7rocprim17ROCPRIM_400000_NS6detail17trampoline_kernelINS0_13select_configILj256ELj13ELNS0_17block_load_methodE3ELS4_3ELS4_3ELNS0_20block_scan_algorithmE0ELj4294967295EEENS1_25partition_config_selectorILNS1_17partition_subalgoE3EjNS0_10empty_typeEbEEZZNS1_14partition_implILS8_3ELb0ES6_jNS0_17counting_iteratorIjlEEPS9_SE_NS0_5tupleIJPjSE_EEENSF_IJSE_SE_EEES9_SG_JZNS1_25segmented_radix_sort_implINS0_14default_configELb1EPKiPiPKlPlN2at6native12_GLOBAL__N_18offset_tEEE10hipError_tPvRmT1_PNSt15iterator_traitsISY_E10value_typeET2_T3_PNSZ_IS14_E10value_typeET4_jRbjT5_S1A_jjP12ihipStream_tbEUljE_EEESV_SW_SX_S14_S18_S1A_T6_T7_T9_mT8_S1C_bDpT10_ENKUlT_T0_E_clISt17integral_constantIbLb1EES1P_EEDaS1K_S1L_EUlS1K_E_NS1_11comp_targetILNS1_3genE2ELNS1_11target_archE906ELNS1_3gpuE6ELNS1_3repE0EEENS1_30default_config_static_selectorELNS0_4arch9wavefront6targetE0EEEvSY_.num_vgpr, 0
	.set _ZN7rocprim17ROCPRIM_400000_NS6detail17trampoline_kernelINS0_13select_configILj256ELj13ELNS0_17block_load_methodE3ELS4_3ELS4_3ELNS0_20block_scan_algorithmE0ELj4294967295EEENS1_25partition_config_selectorILNS1_17partition_subalgoE3EjNS0_10empty_typeEbEEZZNS1_14partition_implILS8_3ELb0ES6_jNS0_17counting_iteratorIjlEEPS9_SE_NS0_5tupleIJPjSE_EEENSF_IJSE_SE_EEES9_SG_JZNS1_25segmented_radix_sort_implINS0_14default_configELb1EPKiPiPKlPlN2at6native12_GLOBAL__N_18offset_tEEE10hipError_tPvRmT1_PNSt15iterator_traitsISY_E10value_typeET2_T3_PNSZ_IS14_E10value_typeET4_jRbjT5_S1A_jjP12ihipStream_tbEUljE_EEESV_SW_SX_S14_S18_S1A_T6_T7_T9_mT8_S1C_bDpT10_ENKUlT_T0_E_clISt17integral_constantIbLb1EES1P_EEDaS1K_S1L_EUlS1K_E_NS1_11comp_targetILNS1_3genE2ELNS1_11target_archE906ELNS1_3gpuE6ELNS1_3repE0EEENS1_30default_config_static_selectorELNS0_4arch9wavefront6targetE0EEEvSY_.num_agpr, 0
	.set _ZN7rocprim17ROCPRIM_400000_NS6detail17trampoline_kernelINS0_13select_configILj256ELj13ELNS0_17block_load_methodE3ELS4_3ELS4_3ELNS0_20block_scan_algorithmE0ELj4294967295EEENS1_25partition_config_selectorILNS1_17partition_subalgoE3EjNS0_10empty_typeEbEEZZNS1_14partition_implILS8_3ELb0ES6_jNS0_17counting_iteratorIjlEEPS9_SE_NS0_5tupleIJPjSE_EEENSF_IJSE_SE_EEES9_SG_JZNS1_25segmented_radix_sort_implINS0_14default_configELb1EPKiPiPKlPlN2at6native12_GLOBAL__N_18offset_tEEE10hipError_tPvRmT1_PNSt15iterator_traitsISY_E10value_typeET2_T3_PNSZ_IS14_E10value_typeET4_jRbjT5_S1A_jjP12ihipStream_tbEUljE_EEESV_SW_SX_S14_S18_S1A_T6_T7_T9_mT8_S1C_bDpT10_ENKUlT_T0_E_clISt17integral_constantIbLb1EES1P_EEDaS1K_S1L_EUlS1K_E_NS1_11comp_targetILNS1_3genE2ELNS1_11target_archE906ELNS1_3gpuE6ELNS1_3repE0EEENS1_30default_config_static_selectorELNS0_4arch9wavefront6targetE0EEEvSY_.numbered_sgpr, 0
	.set _ZN7rocprim17ROCPRIM_400000_NS6detail17trampoline_kernelINS0_13select_configILj256ELj13ELNS0_17block_load_methodE3ELS4_3ELS4_3ELNS0_20block_scan_algorithmE0ELj4294967295EEENS1_25partition_config_selectorILNS1_17partition_subalgoE3EjNS0_10empty_typeEbEEZZNS1_14partition_implILS8_3ELb0ES6_jNS0_17counting_iteratorIjlEEPS9_SE_NS0_5tupleIJPjSE_EEENSF_IJSE_SE_EEES9_SG_JZNS1_25segmented_radix_sort_implINS0_14default_configELb1EPKiPiPKlPlN2at6native12_GLOBAL__N_18offset_tEEE10hipError_tPvRmT1_PNSt15iterator_traitsISY_E10value_typeET2_T3_PNSZ_IS14_E10value_typeET4_jRbjT5_S1A_jjP12ihipStream_tbEUljE_EEESV_SW_SX_S14_S18_S1A_T6_T7_T9_mT8_S1C_bDpT10_ENKUlT_T0_E_clISt17integral_constantIbLb1EES1P_EEDaS1K_S1L_EUlS1K_E_NS1_11comp_targetILNS1_3genE2ELNS1_11target_archE906ELNS1_3gpuE6ELNS1_3repE0EEENS1_30default_config_static_selectorELNS0_4arch9wavefront6targetE0EEEvSY_.num_named_barrier, 0
	.set _ZN7rocprim17ROCPRIM_400000_NS6detail17trampoline_kernelINS0_13select_configILj256ELj13ELNS0_17block_load_methodE3ELS4_3ELS4_3ELNS0_20block_scan_algorithmE0ELj4294967295EEENS1_25partition_config_selectorILNS1_17partition_subalgoE3EjNS0_10empty_typeEbEEZZNS1_14partition_implILS8_3ELb0ES6_jNS0_17counting_iteratorIjlEEPS9_SE_NS0_5tupleIJPjSE_EEENSF_IJSE_SE_EEES9_SG_JZNS1_25segmented_radix_sort_implINS0_14default_configELb1EPKiPiPKlPlN2at6native12_GLOBAL__N_18offset_tEEE10hipError_tPvRmT1_PNSt15iterator_traitsISY_E10value_typeET2_T3_PNSZ_IS14_E10value_typeET4_jRbjT5_S1A_jjP12ihipStream_tbEUljE_EEESV_SW_SX_S14_S18_S1A_T6_T7_T9_mT8_S1C_bDpT10_ENKUlT_T0_E_clISt17integral_constantIbLb1EES1P_EEDaS1K_S1L_EUlS1K_E_NS1_11comp_targetILNS1_3genE2ELNS1_11target_archE906ELNS1_3gpuE6ELNS1_3repE0EEENS1_30default_config_static_selectorELNS0_4arch9wavefront6targetE0EEEvSY_.private_seg_size, 0
	.set _ZN7rocprim17ROCPRIM_400000_NS6detail17trampoline_kernelINS0_13select_configILj256ELj13ELNS0_17block_load_methodE3ELS4_3ELS4_3ELNS0_20block_scan_algorithmE0ELj4294967295EEENS1_25partition_config_selectorILNS1_17partition_subalgoE3EjNS0_10empty_typeEbEEZZNS1_14partition_implILS8_3ELb0ES6_jNS0_17counting_iteratorIjlEEPS9_SE_NS0_5tupleIJPjSE_EEENSF_IJSE_SE_EEES9_SG_JZNS1_25segmented_radix_sort_implINS0_14default_configELb1EPKiPiPKlPlN2at6native12_GLOBAL__N_18offset_tEEE10hipError_tPvRmT1_PNSt15iterator_traitsISY_E10value_typeET2_T3_PNSZ_IS14_E10value_typeET4_jRbjT5_S1A_jjP12ihipStream_tbEUljE_EEESV_SW_SX_S14_S18_S1A_T6_T7_T9_mT8_S1C_bDpT10_ENKUlT_T0_E_clISt17integral_constantIbLb1EES1P_EEDaS1K_S1L_EUlS1K_E_NS1_11comp_targetILNS1_3genE2ELNS1_11target_archE906ELNS1_3gpuE6ELNS1_3repE0EEENS1_30default_config_static_selectorELNS0_4arch9wavefront6targetE0EEEvSY_.uses_vcc, 0
	.set _ZN7rocprim17ROCPRIM_400000_NS6detail17trampoline_kernelINS0_13select_configILj256ELj13ELNS0_17block_load_methodE3ELS4_3ELS4_3ELNS0_20block_scan_algorithmE0ELj4294967295EEENS1_25partition_config_selectorILNS1_17partition_subalgoE3EjNS0_10empty_typeEbEEZZNS1_14partition_implILS8_3ELb0ES6_jNS0_17counting_iteratorIjlEEPS9_SE_NS0_5tupleIJPjSE_EEENSF_IJSE_SE_EEES9_SG_JZNS1_25segmented_radix_sort_implINS0_14default_configELb1EPKiPiPKlPlN2at6native12_GLOBAL__N_18offset_tEEE10hipError_tPvRmT1_PNSt15iterator_traitsISY_E10value_typeET2_T3_PNSZ_IS14_E10value_typeET4_jRbjT5_S1A_jjP12ihipStream_tbEUljE_EEESV_SW_SX_S14_S18_S1A_T6_T7_T9_mT8_S1C_bDpT10_ENKUlT_T0_E_clISt17integral_constantIbLb1EES1P_EEDaS1K_S1L_EUlS1K_E_NS1_11comp_targetILNS1_3genE2ELNS1_11target_archE906ELNS1_3gpuE6ELNS1_3repE0EEENS1_30default_config_static_selectorELNS0_4arch9wavefront6targetE0EEEvSY_.uses_flat_scratch, 0
	.set _ZN7rocprim17ROCPRIM_400000_NS6detail17trampoline_kernelINS0_13select_configILj256ELj13ELNS0_17block_load_methodE3ELS4_3ELS4_3ELNS0_20block_scan_algorithmE0ELj4294967295EEENS1_25partition_config_selectorILNS1_17partition_subalgoE3EjNS0_10empty_typeEbEEZZNS1_14partition_implILS8_3ELb0ES6_jNS0_17counting_iteratorIjlEEPS9_SE_NS0_5tupleIJPjSE_EEENSF_IJSE_SE_EEES9_SG_JZNS1_25segmented_radix_sort_implINS0_14default_configELb1EPKiPiPKlPlN2at6native12_GLOBAL__N_18offset_tEEE10hipError_tPvRmT1_PNSt15iterator_traitsISY_E10value_typeET2_T3_PNSZ_IS14_E10value_typeET4_jRbjT5_S1A_jjP12ihipStream_tbEUljE_EEESV_SW_SX_S14_S18_S1A_T6_T7_T9_mT8_S1C_bDpT10_ENKUlT_T0_E_clISt17integral_constantIbLb1EES1P_EEDaS1K_S1L_EUlS1K_E_NS1_11comp_targetILNS1_3genE2ELNS1_11target_archE906ELNS1_3gpuE6ELNS1_3repE0EEENS1_30default_config_static_selectorELNS0_4arch9wavefront6targetE0EEEvSY_.has_dyn_sized_stack, 0
	.set _ZN7rocprim17ROCPRIM_400000_NS6detail17trampoline_kernelINS0_13select_configILj256ELj13ELNS0_17block_load_methodE3ELS4_3ELS4_3ELNS0_20block_scan_algorithmE0ELj4294967295EEENS1_25partition_config_selectorILNS1_17partition_subalgoE3EjNS0_10empty_typeEbEEZZNS1_14partition_implILS8_3ELb0ES6_jNS0_17counting_iteratorIjlEEPS9_SE_NS0_5tupleIJPjSE_EEENSF_IJSE_SE_EEES9_SG_JZNS1_25segmented_radix_sort_implINS0_14default_configELb1EPKiPiPKlPlN2at6native12_GLOBAL__N_18offset_tEEE10hipError_tPvRmT1_PNSt15iterator_traitsISY_E10value_typeET2_T3_PNSZ_IS14_E10value_typeET4_jRbjT5_S1A_jjP12ihipStream_tbEUljE_EEESV_SW_SX_S14_S18_S1A_T6_T7_T9_mT8_S1C_bDpT10_ENKUlT_T0_E_clISt17integral_constantIbLb1EES1P_EEDaS1K_S1L_EUlS1K_E_NS1_11comp_targetILNS1_3genE2ELNS1_11target_archE906ELNS1_3gpuE6ELNS1_3repE0EEENS1_30default_config_static_selectorELNS0_4arch9wavefront6targetE0EEEvSY_.has_recursion, 0
	.set _ZN7rocprim17ROCPRIM_400000_NS6detail17trampoline_kernelINS0_13select_configILj256ELj13ELNS0_17block_load_methodE3ELS4_3ELS4_3ELNS0_20block_scan_algorithmE0ELj4294967295EEENS1_25partition_config_selectorILNS1_17partition_subalgoE3EjNS0_10empty_typeEbEEZZNS1_14partition_implILS8_3ELb0ES6_jNS0_17counting_iteratorIjlEEPS9_SE_NS0_5tupleIJPjSE_EEENSF_IJSE_SE_EEES9_SG_JZNS1_25segmented_radix_sort_implINS0_14default_configELb1EPKiPiPKlPlN2at6native12_GLOBAL__N_18offset_tEEE10hipError_tPvRmT1_PNSt15iterator_traitsISY_E10value_typeET2_T3_PNSZ_IS14_E10value_typeET4_jRbjT5_S1A_jjP12ihipStream_tbEUljE_EEESV_SW_SX_S14_S18_S1A_T6_T7_T9_mT8_S1C_bDpT10_ENKUlT_T0_E_clISt17integral_constantIbLb1EES1P_EEDaS1K_S1L_EUlS1K_E_NS1_11comp_targetILNS1_3genE2ELNS1_11target_archE906ELNS1_3gpuE6ELNS1_3repE0EEENS1_30default_config_static_selectorELNS0_4arch9wavefront6targetE0EEEvSY_.has_indirect_call, 0
	.section	.AMDGPU.csdata,"",@progbits
; Kernel info:
; codeLenInByte = 0
; TotalNumSgprs: 0
; NumVgprs: 0
; ScratchSize: 0
; MemoryBound: 0
; FloatMode: 240
; IeeeMode: 1
; LDSByteSize: 0 bytes/workgroup (compile time only)
; SGPRBlocks: 0
; VGPRBlocks: 0
; NumSGPRsForWavesPerEU: 1
; NumVGPRsForWavesPerEU: 1
; NamedBarCnt: 0
; Occupancy: 16
; WaveLimiterHint : 0
; COMPUTE_PGM_RSRC2:SCRATCH_EN: 0
; COMPUTE_PGM_RSRC2:USER_SGPR: 2
; COMPUTE_PGM_RSRC2:TRAP_HANDLER: 0
; COMPUTE_PGM_RSRC2:TGID_X_EN: 1
; COMPUTE_PGM_RSRC2:TGID_Y_EN: 0
; COMPUTE_PGM_RSRC2:TGID_Z_EN: 0
; COMPUTE_PGM_RSRC2:TIDIG_COMP_CNT: 0
	.section	.text._ZN7rocprim17ROCPRIM_400000_NS6detail17trampoline_kernelINS0_13select_configILj256ELj13ELNS0_17block_load_methodE3ELS4_3ELS4_3ELNS0_20block_scan_algorithmE0ELj4294967295EEENS1_25partition_config_selectorILNS1_17partition_subalgoE3EjNS0_10empty_typeEbEEZZNS1_14partition_implILS8_3ELb0ES6_jNS0_17counting_iteratorIjlEEPS9_SE_NS0_5tupleIJPjSE_EEENSF_IJSE_SE_EEES9_SG_JZNS1_25segmented_radix_sort_implINS0_14default_configELb1EPKiPiPKlPlN2at6native12_GLOBAL__N_18offset_tEEE10hipError_tPvRmT1_PNSt15iterator_traitsISY_E10value_typeET2_T3_PNSZ_IS14_E10value_typeET4_jRbjT5_S1A_jjP12ihipStream_tbEUljE_EEESV_SW_SX_S14_S18_S1A_T6_T7_T9_mT8_S1C_bDpT10_ENKUlT_T0_E_clISt17integral_constantIbLb1EES1P_EEDaS1K_S1L_EUlS1K_E_NS1_11comp_targetILNS1_3genE10ELNS1_11target_archE1200ELNS1_3gpuE4ELNS1_3repE0EEENS1_30default_config_static_selectorELNS0_4arch9wavefront6targetE0EEEvSY_,"axG",@progbits,_ZN7rocprim17ROCPRIM_400000_NS6detail17trampoline_kernelINS0_13select_configILj256ELj13ELNS0_17block_load_methodE3ELS4_3ELS4_3ELNS0_20block_scan_algorithmE0ELj4294967295EEENS1_25partition_config_selectorILNS1_17partition_subalgoE3EjNS0_10empty_typeEbEEZZNS1_14partition_implILS8_3ELb0ES6_jNS0_17counting_iteratorIjlEEPS9_SE_NS0_5tupleIJPjSE_EEENSF_IJSE_SE_EEES9_SG_JZNS1_25segmented_radix_sort_implINS0_14default_configELb1EPKiPiPKlPlN2at6native12_GLOBAL__N_18offset_tEEE10hipError_tPvRmT1_PNSt15iterator_traitsISY_E10value_typeET2_T3_PNSZ_IS14_E10value_typeET4_jRbjT5_S1A_jjP12ihipStream_tbEUljE_EEESV_SW_SX_S14_S18_S1A_T6_T7_T9_mT8_S1C_bDpT10_ENKUlT_T0_E_clISt17integral_constantIbLb1EES1P_EEDaS1K_S1L_EUlS1K_E_NS1_11comp_targetILNS1_3genE10ELNS1_11target_archE1200ELNS1_3gpuE4ELNS1_3repE0EEENS1_30default_config_static_selectorELNS0_4arch9wavefront6targetE0EEEvSY_,comdat
	.globl	_ZN7rocprim17ROCPRIM_400000_NS6detail17trampoline_kernelINS0_13select_configILj256ELj13ELNS0_17block_load_methodE3ELS4_3ELS4_3ELNS0_20block_scan_algorithmE0ELj4294967295EEENS1_25partition_config_selectorILNS1_17partition_subalgoE3EjNS0_10empty_typeEbEEZZNS1_14partition_implILS8_3ELb0ES6_jNS0_17counting_iteratorIjlEEPS9_SE_NS0_5tupleIJPjSE_EEENSF_IJSE_SE_EEES9_SG_JZNS1_25segmented_radix_sort_implINS0_14default_configELb1EPKiPiPKlPlN2at6native12_GLOBAL__N_18offset_tEEE10hipError_tPvRmT1_PNSt15iterator_traitsISY_E10value_typeET2_T3_PNSZ_IS14_E10value_typeET4_jRbjT5_S1A_jjP12ihipStream_tbEUljE_EEESV_SW_SX_S14_S18_S1A_T6_T7_T9_mT8_S1C_bDpT10_ENKUlT_T0_E_clISt17integral_constantIbLb1EES1P_EEDaS1K_S1L_EUlS1K_E_NS1_11comp_targetILNS1_3genE10ELNS1_11target_archE1200ELNS1_3gpuE4ELNS1_3repE0EEENS1_30default_config_static_selectorELNS0_4arch9wavefront6targetE0EEEvSY_ ; -- Begin function _ZN7rocprim17ROCPRIM_400000_NS6detail17trampoline_kernelINS0_13select_configILj256ELj13ELNS0_17block_load_methodE3ELS4_3ELS4_3ELNS0_20block_scan_algorithmE0ELj4294967295EEENS1_25partition_config_selectorILNS1_17partition_subalgoE3EjNS0_10empty_typeEbEEZZNS1_14partition_implILS8_3ELb0ES6_jNS0_17counting_iteratorIjlEEPS9_SE_NS0_5tupleIJPjSE_EEENSF_IJSE_SE_EEES9_SG_JZNS1_25segmented_radix_sort_implINS0_14default_configELb1EPKiPiPKlPlN2at6native12_GLOBAL__N_18offset_tEEE10hipError_tPvRmT1_PNSt15iterator_traitsISY_E10value_typeET2_T3_PNSZ_IS14_E10value_typeET4_jRbjT5_S1A_jjP12ihipStream_tbEUljE_EEESV_SW_SX_S14_S18_S1A_T6_T7_T9_mT8_S1C_bDpT10_ENKUlT_T0_E_clISt17integral_constantIbLb1EES1P_EEDaS1K_S1L_EUlS1K_E_NS1_11comp_targetILNS1_3genE10ELNS1_11target_archE1200ELNS1_3gpuE4ELNS1_3repE0EEENS1_30default_config_static_selectorELNS0_4arch9wavefront6targetE0EEEvSY_
	.p2align	8
	.type	_ZN7rocprim17ROCPRIM_400000_NS6detail17trampoline_kernelINS0_13select_configILj256ELj13ELNS0_17block_load_methodE3ELS4_3ELS4_3ELNS0_20block_scan_algorithmE0ELj4294967295EEENS1_25partition_config_selectorILNS1_17partition_subalgoE3EjNS0_10empty_typeEbEEZZNS1_14partition_implILS8_3ELb0ES6_jNS0_17counting_iteratorIjlEEPS9_SE_NS0_5tupleIJPjSE_EEENSF_IJSE_SE_EEES9_SG_JZNS1_25segmented_radix_sort_implINS0_14default_configELb1EPKiPiPKlPlN2at6native12_GLOBAL__N_18offset_tEEE10hipError_tPvRmT1_PNSt15iterator_traitsISY_E10value_typeET2_T3_PNSZ_IS14_E10value_typeET4_jRbjT5_S1A_jjP12ihipStream_tbEUljE_EEESV_SW_SX_S14_S18_S1A_T6_T7_T9_mT8_S1C_bDpT10_ENKUlT_T0_E_clISt17integral_constantIbLb1EES1P_EEDaS1K_S1L_EUlS1K_E_NS1_11comp_targetILNS1_3genE10ELNS1_11target_archE1200ELNS1_3gpuE4ELNS1_3repE0EEENS1_30default_config_static_selectorELNS0_4arch9wavefront6targetE0EEEvSY_,@function
_ZN7rocprim17ROCPRIM_400000_NS6detail17trampoline_kernelINS0_13select_configILj256ELj13ELNS0_17block_load_methodE3ELS4_3ELS4_3ELNS0_20block_scan_algorithmE0ELj4294967295EEENS1_25partition_config_selectorILNS1_17partition_subalgoE3EjNS0_10empty_typeEbEEZZNS1_14partition_implILS8_3ELb0ES6_jNS0_17counting_iteratorIjlEEPS9_SE_NS0_5tupleIJPjSE_EEENSF_IJSE_SE_EEES9_SG_JZNS1_25segmented_radix_sort_implINS0_14default_configELb1EPKiPiPKlPlN2at6native12_GLOBAL__N_18offset_tEEE10hipError_tPvRmT1_PNSt15iterator_traitsISY_E10value_typeET2_T3_PNSZ_IS14_E10value_typeET4_jRbjT5_S1A_jjP12ihipStream_tbEUljE_EEESV_SW_SX_S14_S18_S1A_T6_T7_T9_mT8_S1C_bDpT10_ENKUlT_T0_E_clISt17integral_constantIbLb1EES1P_EEDaS1K_S1L_EUlS1K_E_NS1_11comp_targetILNS1_3genE10ELNS1_11target_archE1200ELNS1_3gpuE4ELNS1_3repE0EEENS1_30default_config_static_selectorELNS0_4arch9wavefront6targetE0EEEvSY_: ; @_ZN7rocprim17ROCPRIM_400000_NS6detail17trampoline_kernelINS0_13select_configILj256ELj13ELNS0_17block_load_methodE3ELS4_3ELS4_3ELNS0_20block_scan_algorithmE0ELj4294967295EEENS1_25partition_config_selectorILNS1_17partition_subalgoE3EjNS0_10empty_typeEbEEZZNS1_14partition_implILS8_3ELb0ES6_jNS0_17counting_iteratorIjlEEPS9_SE_NS0_5tupleIJPjSE_EEENSF_IJSE_SE_EEES9_SG_JZNS1_25segmented_radix_sort_implINS0_14default_configELb1EPKiPiPKlPlN2at6native12_GLOBAL__N_18offset_tEEE10hipError_tPvRmT1_PNSt15iterator_traitsISY_E10value_typeET2_T3_PNSZ_IS14_E10value_typeET4_jRbjT5_S1A_jjP12ihipStream_tbEUljE_EEESV_SW_SX_S14_S18_S1A_T6_T7_T9_mT8_S1C_bDpT10_ENKUlT_T0_E_clISt17integral_constantIbLb1EES1P_EEDaS1K_S1L_EUlS1K_E_NS1_11comp_targetILNS1_3genE10ELNS1_11target_archE1200ELNS1_3gpuE4ELNS1_3repE0EEENS1_30default_config_static_selectorELNS0_4arch9wavefront6targetE0EEEvSY_
; %bb.0:
	.section	.rodata,"a",@progbits
	.p2align	6, 0x0
	.amdhsa_kernel _ZN7rocprim17ROCPRIM_400000_NS6detail17trampoline_kernelINS0_13select_configILj256ELj13ELNS0_17block_load_methodE3ELS4_3ELS4_3ELNS0_20block_scan_algorithmE0ELj4294967295EEENS1_25partition_config_selectorILNS1_17partition_subalgoE3EjNS0_10empty_typeEbEEZZNS1_14partition_implILS8_3ELb0ES6_jNS0_17counting_iteratorIjlEEPS9_SE_NS0_5tupleIJPjSE_EEENSF_IJSE_SE_EEES9_SG_JZNS1_25segmented_radix_sort_implINS0_14default_configELb1EPKiPiPKlPlN2at6native12_GLOBAL__N_18offset_tEEE10hipError_tPvRmT1_PNSt15iterator_traitsISY_E10value_typeET2_T3_PNSZ_IS14_E10value_typeET4_jRbjT5_S1A_jjP12ihipStream_tbEUljE_EEESV_SW_SX_S14_S18_S1A_T6_T7_T9_mT8_S1C_bDpT10_ENKUlT_T0_E_clISt17integral_constantIbLb1EES1P_EEDaS1K_S1L_EUlS1K_E_NS1_11comp_targetILNS1_3genE10ELNS1_11target_archE1200ELNS1_3gpuE4ELNS1_3repE0EEENS1_30default_config_static_selectorELNS0_4arch9wavefront6targetE0EEEvSY_
		.amdhsa_group_segment_fixed_size 0
		.amdhsa_private_segment_fixed_size 0
		.amdhsa_kernarg_size 152
		.amdhsa_user_sgpr_count 2
		.amdhsa_user_sgpr_dispatch_ptr 0
		.amdhsa_user_sgpr_queue_ptr 0
		.amdhsa_user_sgpr_kernarg_segment_ptr 1
		.amdhsa_user_sgpr_dispatch_id 0
		.amdhsa_user_sgpr_kernarg_preload_length 0
		.amdhsa_user_sgpr_kernarg_preload_offset 0
		.amdhsa_user_sgpr_private_segment_size 0
		.amdhsa_wavefront_size32 1
		.amdhsa_uses_dynamic_stack 0
		.amdhsa_enable_private_segment 0
		.amdhsa_system_sgpr_workgroup_id_x 1
		.amdhsa_system_sgpr_workgroup_id_y 0
		.amdhsa_system_sgpr_workgroup_id_z 0
		.amdhsa_system_sgpr_workgroup_info 0
		.amdhsa_system_vgpr_workitem_id 0
		.amdhsa_next_free_vgpr 1
		.amdhsa_next_free_sgpr 1
		.amdhsa_named_barrier_count 0
		.amdhsa_reserve_vcc 0
		.amdhsa_float_round_mode_32 0
		.amdhsa_float_round_mode_16_64 0
		.amdhsa_float_denorm_mode_32 3
		.amdhsa_float_denorm_mode_16_64 3
		.amdhsa_fp16_overflow 0
		.amdhsa_memory_ordered 1
		.amdhsa_forward_progress 1
		.amdhsa_inst_pref_size 0
		.amdhsa_round_robin_scheduling 0
		.amdhsa_exception_fp_ieee_invalid_op 0
		.amdhsa_exception_fp_denorm_src 0
		.amdhsa_exception_fp_ieee_div_zero 0
		.amdhsa_exception_fp_ieee_overflow 0
		.amdhsa_exception_fp_ieee_underflow 0
		.amdhsa_exception_fp_ieee_inexact 0
		.amdhsa_exception_int_div_zero 0
	.end_amdhsa_kernel
	.section	.text._ZN7rocprim17ROCPRIM_400000_NS6detail17trampoline_kernelINS0_13select_configILj256ELj13ELNS0_17block_load_methodE3ELS4_3ELS4_3ELNS0_20block_scan_algorithmE0ELj4294967295EEENS1_25partition_config_selectorILNS1_17partition_subalgoE3EjNS0_10empty_typeEbEEZZNS1_14partition_implILS8_3ELb0ES6_jNS0_17counting_iteratorIjlEEPS9_SE_NS0_5tupleIJPjSE_EEENSF_IJSE_SE_EEES9_SG_JZNS1_25segmented_radix_sort_implINS0_14default_configELb1EPKiPiPKlPlN2at6native12_GLOBAL__N_18offset_tEEE10hipError_tPvRmT1_PNSt15iterator_traitsISY_E10value_typeET2_T3_PNSZ_IS14_E10value_typeET4_jRbjT5_S1A_jjP12ihipStream_tbEUljE_EEESV_SW_SX_S14_S18_S1A_T6_T7_T9_mT8_S1C_bDpT10_ENKUlT_T0_E_clISt17integral_constantIbLb1EES1P_EEDaS1K_S1L_EUlS1K_E_NS1_11comp_targetILNS1_3genE10ELNS1_11target_archE1200ELNS1_3gpuE4ELNS1_3repE0EEENS1_30default_config_static_selectorELNS0_4arch9wavefront6targetE0EEEvSY_,"axG",@progbits,_ZN7rocprim17ROCPRIM_400000_NS6detail17trampoline_kernelINS0_13select_configILj256ELj13ELNS0_17block_load_methodE3ELS4_3ELS4_3ELNS0_20block_scan_algorithmE0ELj4294967295EEENS1_25partition_config_selectorILNS1_17partition_subalgoE3EjNS0_10empty_typeEbEEZZNS1_14partition_implILS8_3ELb0ES6_jNS0_17counting_iteratorIjlEEPS9_SE_NS0_5tupleIJPjSE_EEENSF_IJSE_SE_EEES9_SG_JZNS1_25segmented_radix_sort_implINS0_14default_configELb1EPKiPiPKlPlN2at6native12_GLOBAL__N_18offset_tEEE10hipError_tPvRmT1_PNSt15iterator_traitsISY_E10value_typeET2_T3_PNSZ_IS14_E10value_typeET4_jRbjT5_S1A_jjP12ihipStream_tbEUljE_EEESV_SW_SX_S14_S18_S1A_T6_T7_T9_mT8_S1C_bDpT10_ENKUlT_T0_E_clISt17integral_constantIbLb1EES1P_EEDaS1K_S1L_EUlS1K_E_NS1_11comp_targetILNS1_3genE10ELNS1_11target_archE1200ELNS1_3gpuE4ELNS1_3repE0EEENS1_30default_config_static_selectorELNS0_4arch9wavefront6targetE0EEEvSY_,comdat
.Lfunc_end474:
	.size	_ZN7rocprim17ROCPRIM_400000_NS6detail17trampoline_kernelINS0_13select_configILj256ELj13ELNS0_17block_load_methodE3ELS4_3ELS4_3ELNS0_20block_scan_algorithmE0ELj4294967295EEENS1_25partition_config_selectorILNS1_17partition_subalgoE3EjNS0_10empty_typeEbEEZZNS1_14partition_implILS8_3ELb0ES6_jNS0_17counting_iteratorIjlEEPS9_SE_NS0_5tupleIJPjSE_EEENSF_IJSE_SE_EEES9_SG_JZNS1_25segmented_radix_sort_implINS0_14default_configELb1EPKiPiPKlPlN2at6native12_GLOBAL__N_18offset_tEEE10hipError_tPvRmT1_PNSt15iterator_traitsISY_E10value_typeET2_T3_PNSZ_IS14_E10value_typeET4_jRbjT5_S1A_jjP12ihipStream_tbEUljE_EEESV_SW_SX_S14_S18_S1A_T6_T7_T9_mT8_S1C_bDpT10_ENKUlT_T0_E_clISt17integral_constantIbLb1EES1P_EEDaS1K_S1L_EUlS1K_E_NS1_11comp_targetILNS1_3genE10ELNS1_11target_archE1200ELNS1_3gpuE4ELNS1_3repE0EEENS1_30default_config_static_selectorELNS0_4arch9wavefront6targetE0EEEvSY_, .Lfunc_end474-_ZN7rocprim17ROCPRIM_400000_NS6detail17trampoline_kernelINS0_13select_configILj256ELj13ELNS0_17block_load_methodE3ELS4_3ELS4_3ELNS0_20block_scan_algorithmE0ELj4294967295EEENS1_25partition_config_selectorILNS1_17partition_subalgoE3EjNS0_10empty_typeEbEEZZNS1_14partition_implILS8_3ELb0ES6_jNS0_17counting_iteratorIjlEEPS9_SE_NS0_5tupleIJPjSE_EEENSF_IJSE_SE_EEES9_SG_JZNS1_25segmented_radix_sort_implINS0_14default_configELb1EPKiPiPKlPlN2at6native12_GLOBAL__N_18offset_tEEE10hipError_tPvRmT1_PNSt15iterator_traitsISY_E10value_typeET2_T3_PNSZ_IS14_E10value_typeET4_jRbjT5_S1A_jjP12ihipStream_tbEUljE_EEESV_SW_SX_S14_S18_S1A_T6_T7_T9_mT8_S1C_bDpT10_ENKUlT_T0_E_clISt17integral_constantIbLb1EES1P_EEDaS1K_S1L_EUlS1K_E_NS1_11comp_targetILNS1_3genE10ELNS1_11target_archE1200ELNS1_3gpuE4ELNS1_3repE0EEENS1_30default_config_static_selectorELNS0_4arch9wavefront6targetE0EEEvSY_
                                        ; -- End function
	.set _ZN7rocprim17ROCPRIM_400000_NS6detail17trampoline_kernelINS0_13select_configILj256ELj13ELNS0_17block_load_methodE3ELS4_3ELS4_3ELNS0_20block_scan_algorithmE0ELj4294967295EEENS1_25partition_config_selectorILNS1_17partition_subalgoE3EjNS0_10empty_typeEbEEZZNS1_14partition_implILS8_3ELb0ES6_jNS0_17counting_iteratorIjlEEPS9_SE_NS0_5tupleIJPjSE_EEENSF_IJSE_SE_EEES9_SG_JZNS1_25segmented_radix_sort_implINS0_14default_configELb1EPKiPiPKlPlN2at6native12_GLOBAL__N_18offset_tEEE10hipError_tPvRmT1_PNSt15iterator_traitsISY_E10value_typeET2_T3_PNSZ_IS14_E10value_typeET4_jRbjT5_S1A_jjP12ihipStream_tbEUljE_EEESV_SW_SX_S14_S18_S1A_T6_T7_T9_mT8_S1C_bDpT10_ENKUlT_T0_E_clISt17integral_constantIbLb1EES1P_EEDaS1K_S1L_EUlS1K_E_NS1_11comp_targetILNS1_3genE10ELNS1_11target_archE1200ELNS1_3gpuE4ELNS1_3repE0EEENS1_30default_config_static_selectorELNS0_4arch9wavefront6targetE0EEEvSY_.num_vgpr, 0
	.set _ZN7rocprim17ROCPRIM_400000_NS6detail17trampoline_kernelINS0_13select_configILj256ELj13ELNS0_17block_load_methodE3ELS4_3ELS4_3ELNS0_20block_scan_algorithmE0ELj4294967295EEENS1_25partition_config_selectorILNS1_17partition_subalgoE3EjNS0_10empty_typeEbEEZZNS1_14partition_implILS8_3ELb0ES6_jNS0_17counting_iteratorIjlEEPS9_SE_NS0_5tupleIJPjSE_EEENSF_IJSE_SE_EEES9_SG_JZNS1_25segmented_radix_sort_implINS0_14default_configELb1EPKiPiPKlPlN2at6native12_GLOBAL__N_18offset_tEEE10hipError_tPvRmT1_PNSt15iterator_traitsISY_E10value_typeET2_T3_PNSZ_IS14_E10value_typeET4_jRbjT5_S1A_jjP12ihipStream_tbEUljE_EEESV_SW_SX_S14_S18_S1A_T6_T7_T9_mT8_S1C_bDpT10_ENKUlT_T0_E_clISt17integral_constantIbLb1EES1P_EEDaS1K_S1L_EUlS1K_E_NS1_11comp_targetILNS1_3genE10ELNS1_11target_archE1200ELNS1_3gpuE4ELNS1_3repE0EEENS1_30default_config_static_selectorELNS0_4arch9wavefront6targetE0EEEvSY_.num_agpr, 0
	.set _ZN7rocprim17ROCPRIM_400000_NS6detail17trampoline_kernelINS0_13select_configILj256ELj13ELNS0_17block_load_methodE3ELS4_3ELS4_3ELNS0_20block_scan_algorithmE0ELj4294967295EEENS1_25partition_config_selectorILNS1_17partition_subalgoE3EjNS0_10empty_typeEbEEZZNS1_14partition_implILS8_3ELb0ES6_jNS0_17counting_iteratorIjlEEPS9_SE_NS0_5tupleIJPjSE_EEENSF_IJSE_SE_EEES9_SG_JZNS1_25segmented_radix_sort_implINS0_14default_configELb1EPKiPiPKlPlN2at6native12_GLOBAL__N_18offset_tEEE10hipError_tPvRmT1_PNSt15iterator_traitsISY_E10value_typeET2_T3_PNSZ_IS14_E10value_typeET4_jRbjT5_S1A_jjP12ihipStream_tbEUljE_EEESV_SW_SX_S14_S18_S1A_T6_T7_T9_mT8_S1C_bDpT10_ENKUlT_T0_E_clISt17integral_constantIbLb1EES1P_EEDaS1K_S1L_EUlS1K_E_NS1_11comp_targetILNS1_3genE10ELNS1_11target_archE1200ELNS1_3gpuE4ELNS1_3repE0EEENS1_30default_config_static_selectorELNS0_4arch9wavefront6targetE0EEEvSY_.numbered_sgpr, 0
	.set _ZN7rocprim17ROCPRIM_400000_NS6detail17trampoline_kernelINS0_13select_configILj256ELj13ELNS0_17block_load_methodE3ELS4_3ELS4_3ELNS0_20block_scan_algorithmE0ELj4294967295EEENS1_25partition_config_selectorILNS1_17partition_subalgoE3EjNS0_10empty_typeEbEEZZNS1_14partition_implILS8_3ELb0ES6_jNS0_17counting_iteratorIjlEEPS9_SE_NS0_5tupleIJPjSE_EEENSF_IJSE_SE_EEES9_SG_JZNS1_25segmented_radix_sort_implINS0_14default_configELb1EPKiPiPKlPlN2at6native12_GLOBAL__N_18offset_tEEE10hipError_tPvRmT1_PNSt15iterator_traitsISY_E10value_typeET2_T3_PNSZ_IS14_E10value_typeET4_jRbjT5_S1A_jjP12ihipStream_tbEUljE_EEESV_SW_SX_S14_S18_S1A_T6_T7_T9_mT8_S1C_bDpT10_ENKUlT_T0_E_clISt17integral_constantIbLb1EES1P_EEDaS1K_S1L_EUlS1K_E_NS1_11comp_targetILNS1_3genE10ELNS1_11target_archE1200ELNS1_3gpuE4ELNS1_3repE0EEENS1_30default_config_static_selectorELNS0_4arch9wavefront6targetE0EEEvSY_.num_named_barrier, 0
	.set _ZN7rocprim17ROCPRIM_400000_NS6detail17trampoline_kernelINS0_13select_configILj256ELj13ELNS0_17block_load_methodE3ELS4_3ELS4_3ELNS0_20block_scan_algorithmE0ELj4294967295EEENS1_25partition_config_selectorILNS1_17partition_subalgoE3EjNS0_10empty_typeEbEEZZNS1_14partition_implILS8_3ELb0ES6_jNS0_17counting_iteratorIjlEEPS9_SE_NS0_5tupleIJPjSE_EEENSF_IJSE_SE_EEES9_SG_JZNS1_25segmented_radix_sort_implINS0_14default_configELb1EPKiPiPKlPlN2at6native12_GLOBAL__N_18offset_tEEE10hipError_tPvRmT1_PNSt15iterator_traitsISY_E10value_typeET2_T3_PNSZ_IS14_E10value_typeET4_jRbjT5_S1A_jjP12ihipStream_tbEUljE_EEESV_SW_SX_S14_S18_S1A_T6_T7_T9_mT8_S1C_bDpT10_ENKUlT_T0_E_clISt17integral_constantIbLb1EES1P_EEDaS1K_S1L_EUlS1K_E_NS1_11comp_targetILNS1_3genE10ELNS1_11target_archE1200ELNS1_3gpuE4ELNS1_3repE0EEENS1_30default_config_static_selectorELNS0_4arch9wavefront6targetE0EEEvSY_.private_seg_size, 0
	.set _ZN7rocprim17ROCPRIM_400000_NS6detail17trampoline_kernelINS0_13select_configILj256ELj13ELNS0_17block_load_methodE3ELS4_3ELS4_3ELNS0_20block_scan_algorithmE0ELj4294967295EEENS1_25partition_config_selectorILNS1_17partition_subalgoE3EjNS0_10empty_typeEbEEZZNS1_14partition_implILS8_3ELb0ES6_jNS0_17counting_iteratorIjlEEPS9_SE_NS0_5tupleIJPjSE_EEENSF_IJSE_SE_EEES9_SG_JZNS1_25segmented_radix_sort_implINS0_14default_configELb1EPKiPiPKlPlN2at6native12_GLOBAL__N_18offset_tEEE10hipError_tPvRmT1_PNSt15iterator_traitsISY_E10value_typeET2_T3_PNSZ_IS14_E10value_typeET4_jRbjT5_S1A_jjP12ihipStream_tbEUljE_EEESV_SW_SX_S14_S18_S1A_T6_T7_T9_mT8_S1C_bDpT10_ENKUlT_T0_E_clISt17integral_constantIbLb1EES1P_EEDaS1K_S1L_EUlS1K_E_NS1_11comp_targetILNS1_3genE10ELNS1_11target_archE1200ELNS1_3gpuE4ELNS1_3repE0EEENS1_30default_config_static_selectorELNS0_4arch9wavefront6targetE0EEEvSY_.uses_vcc, 0
	.set _ZN7rocprim17ROCPRIM_400000_NS6detail17trampoline_kernelINS0_13select_configILj256ELj13ELNS0_17block_load_methodE3ELS4_3ELS4_3ELNS0_20block_scan_algorithmE0ELj4294967295EEENS1_25partition_config_selectorILNS1_17partition_subalgoE3EjNS0_10empty_typeEbEEZZNS1_14partition_implILS8_3ELb0ES6_jNS0_17counting_iteratorIjlEEPS9_SE_NS0_5tupleIJPjSE_EEENSF_IJSE_SE_EEES9_SG_JZNS1_25segmented_radix_sort_implINS0_14default_configELb1EPKiPiPKlPlN2at6native12_GLOBAL__N_18offset_tEEE10hipError_tPvRmT1_PNSt15iterator_traitsISY_E10value_typeET2_T3_PNSZ_IS14_E10value_typeET4_jRbjT5_S1A_jjP12ihipStream_tbEUljE_EEESV_SW_SX_S14_S18_S1A_T6_T7_T9_mT8_S1C_bDpT10_ENKUlT_T0_E_clISt17integral_constantIbLb1EES1P_EEDaS1K_S1L_EUlS1K_E_NS1_11comp_targetILNS1_3genE10ELNS1_11target_archE1200ELNS1_3gpuE4ELNS1_3repE0EEENS1_30default_config_static_selectorELNS0_4arch9wavefront6targetE0EEEvSY_.uses_flat_scratch, 0
	.set _ZN7rocprim17ROCPRIM_400000_NS6detail17trampoline_kernelINS0_13select_configILj256ELj13ELNS0_17block_load_methodE3ELS4_3ELS4_3ELNS0_20block_scan_algorithmE0ELj4294967295EEENS1_25partition_config_selectorILNS1_17partition_subalgoE3EjNS0_10empty_typeEbEEZZNS1_14partition_implILS8_3ELb0ES6_jNS0_17counting_iteratorIjlEEPS9_SE_NS0_5tupleIJPjSE_EEENSF_IJSE_SE_EEES9_SG_JZNS1_25segmented_radix_sort_implINS0_14default_configELb1EPKiPiPKlPlN2at6native12_GLOBAL__N_18offset_tEEE10hipError_tPvRmT1_PNSt15iterator_traitsISY_E10value_typeET2_T3_PNSZ_IS14_E10value_typeET4_jRbjT5_S1A_jjP12ihipStream_tbEUljE_EEESV_SW_SX_S14_S18_S1A_T6_T7_T9_mT8_S1C_bDpT10_ENKUlT_T0_E_clISt17integral_constantIbLb1EES1P_EEDaS1K_S1L_EUlS1K_E_NS1_11comp_targetILNS1_3genE10ELNS1_11target_archE1200ELNS1_3gpuE4ELNS1_3repE0EEENS1_30default_config_static_selectorELNS0_4arch9wavefront6targetE0EEEvSY_.has_dyn_sized_stack, 0
	.set _ZN7rocprim17ROCPRIM_400000_NS6detail17trampoline_kernelINS0_13select_configILj256ELj13ELNS0_17block_load_methodE3ELS4_3ELS4_3ELNS0_20block_scan_algorithmE0ELj4294967295EEENS1_25partition_config_selectorILNS1_17partition_subalgoE3EjNS0_10empty_typeEbEEZZNS1_14partition_implILS8_3ELb0ES6_jNS0_17counting_iteratorIjlEEPS9_SE_NS0_5tupleIJPjSE_EEENSF_IJSE_SE_EEES9_SG_JZNS1_25segmented_radix_sort_implINS0_14default_configELb1EPKiPiPKlPlN2at6native12_GLOBAL__N_18offset_tEEE10hipError_tPvRmT1_PNSt15iterator_traitsISY_E10value_typeET2_T3_PNSZ_IS14_E10value_typeET4_jRbjT5_S1A_jjP12ihipStream_tbEUljE_EEESV_SW_SX_S14_S18_S1A_T6_T7_T9_mT8_S1C_bDpT10_ENKUlT_T0_E_clISt17integral_constantIbLb1EES1P_EEDaS1K_S1L_EUlS1K_E_NS1_11comp_targetILNS1_3genE10ELNS1_11target_archE1200ELNS1_3gpuE4ELNS1_3repE0EEENS1_30default_config_static_selectorELNS0_4arch9wavefront6targetE0EEEvSY_.has_recursion, 0
	.set _ZN7rocprim17ROCPRIM_400000_NS6detail17trampoline_kernelINS0_13select_configILj256ELj13ELNS0_17block_load_methodE3ELS4_3ELS4_3ELNS0_20block_scan_algorithmE0ELj4294967295EEENS1_25partition_config_selectorILNS1_17partition_subalgoE3EjNS0_10empty_typeEbEEZZNS1_14partition_implILS8_3ELb0ES6_jNS0_17counting_iteratorIjlEEPS9_SE_NS0_5tupleIJPjSE_EEENSF_IJSE_SE_EEES9_SG_JZNS1_25segmented_radix_sort_implINS0_14default_configELb1EPKiPiPKlPlN2at6native12_GLOBAL__N_18offset_tEEE10hipError_tPvRmT1_PNSt15iterator_traitsISY_E10value_typeET2_T3_PNSZ_IS14_E10value_typeET4_jRbjT5_S1A_jjP12ihipStream_tbEUljE_EEESV_SW_SX_S14_S18_S1A_T6_T7_T9_mT8_S1C_bDpT10_ENKUlT_T0_E_clISt17integral_constantIbLb1EES1P_EEDaS1K_S1L_EUlS1K_E_NS1_11comp_targetILNS1_3genE10ELNS1_11target_archE1200ELNS1_3gpuE4ELNS1_3repE0EEENS1_30default_config_static_selectorELNS0_4arch9wavefront6targetE0EEEvSY_.has_indirect_call, 0
	.section	.AMDGPU.csdata,"",@progbits
; Kernel info:
; codeLenInByte = 0
; TotalNumSgprs: 0
; NumVgprs: 0
; ScratchSize: 0
; MemoryBound: 0
; FloatMode: 240
; IeeeMode: 1
; LDSByteSize: 0 bytes/workgroup (compile time only)
; SGPRBlocks: 0
; VGPRBlocks: 0
; NumSGPRsForWavesPerEU: 1
; NumVGPRsForWavesPerEU: 1
; NamedBarCnt: 0
; Occupancy: 16
; WaveLimiterHint : 0
; COMPUTE_PGM_RSRC2:SCRATCH_EN: 0
; COMPUTE_PGM_RSRC2:USER_SGPR: 2
; COMPUTE_PGM_RSRC2:TRAP_HANDLER: 0
; COMPUTE_PGM_RSRC2:TGID_X_EN: 1
; COMPUTE_PGM_RSRC2:TGID_Y_EN: 0
; COMPUTE_PGM_RSRC2:TGID_Z_EN: 0
; COMPUTE_PGM_RSRC2:TIDIG_COMP_CNT: 0
	.section	.text._ZN7rocprim17ROCPRIM_400000_NS6detail17trampoline_kernelINS0_13select_configILj256ELj13ELNS0_17block_load_methodE3ELS4_3ELS4_3ELNS0_20block_scan_algorithmE0ELj4294967295EEENS1_25partition_config_selectorILNS1_17partition_subalgoE3EjNS0_10empty_typeEbEEZZNS1_14partition_implILS8_3ELb0ES6_jNS0_17counting_iteratorIjlEEPS9_SE_NS0_5tupleIJPjSE_EEENSF_IJSE_SE_EEES9_SG_JZNS1_25segmented_radix_sort_implINS0_14default_configELb1EPKiPiPKlPlN2at6native12_GLOBAL__N_18offset_tEEE10hipError_tPvRmT1_PNSt15iterator_traitsISY_E10value_typeET2_T3_PNSZ_IS14_E10value_typeET4_jRbjT5_S1A_jjP12ihipStream_tbEUljE_EEESV_SW_SX_S14_S18_S1A_T6_T7_T9_mT8_S1C_bDpT10_ENKUlT_T0_E_clISt17integral_constantIbLb1EES1P_EEDaS1K_S1L_EUlS1K_E_NS1_11comp_targetILNS1_3genE9ELNS1_11target_archE1100ELNS1_3gpuE3ELNS1_3repE0EEENS1_30default_config_static_selectorELNS0_4arch9wavefront6targetE0EEEvSY_,"axG",@progbits,_ZN7rocprim17ROCPRIM_400000_NS6detail17trampoline_kernelINS0_13select_configILj256ELj13ELNS0_17block_load_methodE3ELS4_3ELS4_3ELNS0_20block_scan_algorithmE0ELj4294967295EEENS1_25partition_config_selectorILNS1_17partition_subalgoE3EjNS0_10empty_typeEbEEZZNS1_14partition_implILS8_3ELb0ES6_jNS0_17counting_iteratorIjlEEPS9_SE_NS0_5tupleIJPjSE_EEENSF_IJSE_SE_EEES9_SG_JZNS1_25segmented_radix_sort_implINS0_14default_configELb1EPKiPiPKlPlN2at6native12_GLOBAL__N_18offset_tEEE10hipError_tPvRmT1_PNSt15iterator_traitsISY_E10value_typeET2_T3_PNSZ_IS14_E10value_typeET4_jRbjT5_S1A_jjP12ihipStream_tbEUljE_EEESV_SW_SX_S14_S18_S1A_T6_T7_T9_mT8_S1C_bDpT10_ENKUlT_T0_E_clISt17integral_constantIbLb1EES1P_EEDaS1K_S1L_EUlS1K_E_NS1_11comp_targetILNS1_3genE9ELNS1_11target_archE1100ELNS1_3gpuE3ELNS1_3repE0EEENS1_30default_config_static_selectorELNS0_4arch9wavefront6targetE0EEEvSY_,comdat
	.globl	_ZN7rocprim17ROCPRIM_400000_NS6detail17trampoline_kernelINS0_13select_configILj256ELj13ELNS0_17block_load_methodE3ELS4_3ELS4_3ELNS0_20block_scan_algorithmE0ELj4294967295EEENS1_25partition_config_selectorILNS1_17partition_subalgoE3EjNS0_10empty_typeEbEEZZNS1_14partition_implILS8_3ELb0ES6_jNS0_17counting_iteratorIjlEEPS9_SE_NS0_5tupleIJPjSE_EEENSF_IJSE_SE_EEES9_SG_JZNS1_25segmented_radix_sort_implINS0_14default_configELb1EPKiPiPKlPlN2at6native12_GLOBAL__N_18offset_tEEE10hipError_tPvRmT1_PNSt15iterator_traitsISY_E10value_typeET2_T3_PNSZ_IS14_E10value_typeET4_jRbjT5_S1A_jjP12ihipStream_tbEUljE_EEESV_SW_SX_S14_S18_S1A_T6_T7_T9_mT8_S1C_bDpT10_ENKUlT_T0_E_clISt17integral_constantIbLb1EES1P_EEDaS1K_S1L_EUlS1K_E_NS1_11comp_targetILNS1_3genE9ELNS1_11target_archE1100ELNS1_3gpuE3ELNS1_3repE0EEENS1_30default_config_static_selectorELNS0_4arch9wavefront6targetE0EEEvSY_ ; -- Begin function _ZN7rocprim17ROCPRIM_400000_NS6detail17trampoline_kernelINS0_13select_configILj256ELj13ELNS0_17block_load_methodE3ELS4_3ELS4_3ELNS0_20block_scan_algorithmE0ELj4294967295EEENS1_25partition_config_selectorILNS1_17partition_subalgoE3EjNS0_10empty_typeEbEEZZNS1_14partition_implILS8_3ELb0ES6_jNS0_17counting_iteratorIjlEEPS9_SE_NS0_5tupleIJPjSE_EEENSF_IJSE_SE_EEES9_SG_JZNS1_25segmented_radix_sort_implINS0_14default_configELb1EPKiPiPKlPlN2at6native12_GLOBAL__N_18offset_tEEE10hipError_tPvRmT1_PNSt15iterator_traitsISY_E10value_typeET2_T3_PNSZ_IS14_E10value_typeET4_jRbjT5_S1A_jjP12ihipStream_tbEUljE_EEESV_SW_SX_S14_S18_S1A_T6_T7_T9_mT8_S1C_bDpT10_ENKUlT_T0_E_clISt17integral_constantIbLb1EES1P_EEDaS1K_S1L_EUlS1K_E_NS1_11comp_targetILNS1_3genE9ELNS1_11target_archE1100ELNS1_3gpuE3ELNS1_3repE0EEENS1_30default_config_static_selectorELNS0_4arch9wavefront6targetE0EEEvSY_
	.p2align	8
	.type	_ZN7rocprim17ROCPRIM_400000_NS6detail17trampoline_kernelINS0_13select_configILj256ELj13ELNS0_17block_load_methodE3ELS4_3ELS4_3ELNS0_20block_scan_algorithmE0ELj4294967295EEENS1_25partition_config_selectorILNS1_17partition_subalgoE3EjNS0_10empty_typeEbEEZZNS1_14partition_implILS8_3ELb0ES6_jNS0_17counting_iteratorIjlEEPS9_SE_NS0_5tupleIJPjSE_EEENSF_IJSE_SE_EEES9_SG_JZNS1_25segmented_radix_sort_implINS0_14default_configELb1EPKiPiPKlPlN2at6native12_GLOBAL__N_18offset_tEEE10hipError_tPvRmT1_PNSt15iterator_traitsISY_E10value_typeET2_T3_PNSZ_IS14_E10value_typeET4_jRbjT5_S1A_jjP12ihipStream_tbEUljE_EEESV_SW_SX_S14_S18_S1A_T6_T7_T9_mT8_S1C_bDpT10_ENKUlT_T0_E_clISt17integral_constantIbLb1EES1P_EEDaS1K_S1L_EUlS1K_E_NS1_11comp_targetILNS1_3genE9ELNS1_11target_archE1100ELNS1_3gpuE3ELNS1_3repE0EEENS1_30default_config_static_selectorELNS0_4arch9wavefront6targetE0EEEvSY_,@function
_ZN7rocprim17ROCPRIM_400000_NS6detail17trampoline_kernelINS0_13select_configILj256ELj13ELNS0_17block_load_methodE3ELS4_3ELS4_3ELNS0_20block_scan_algorithmE0ELj4294967295EEENS1_25partition_config_selectorILNS1_17partition_subalgoE3EjNS0_10empty_typeEbEEZZNS1_14partition_implILS8_3ELb0ES6_jNS0_17counting_iteratorIjlEEPS9_SE_NS0_5tupleIJPjSE_EEENSF_IJSE_SE_EEES9_SG_JZNS1_25segmented_radix_sort_implINS0_14default_configELb1EPKiPiPKlPlN2at6native12_GLOBAL__N_18offset_tEEE10hipError_tPvRmT1_PNSt15iterator_traitsISY_E10value_typeET2_T3_PNSZ_IS14_E10value_typeET4_jRbjT5_S1A_jjP12ihipStream_tbEUljE_EEESV_SW_SX_S14_S18_S1A_T6_T7_T9_mT8_S1C_bDpT10_ENKUlT_T0_E_clISt17integral_constantIbLb1EES1P_EEDaS1K_S1L_EUlS1K_E_NS1_11comp_targetILNS1_3genE9ELNS1_11target_archE1100ELNS1_3gpuE3ELNS1_3repE0EEENS1_30default_config_static_selectorELNS0_4arch9wavefront6targetE0EEEvSY_: ; @_ZN7rocprim17ROCPRIM_400000_NS6detail17trampoline_kernelINS0_13select_configILj256ELj13ELNS0_17block_load_methodE3ELS4_3ELS4_3ELNS0_20block_scan_algorithmE0ELj4294967295EEENS1_25partition_config_selectorILNS1_17partition_subalgoE3EjNS0_10empty_typeEbEEZZNS1_14partition_implILS8_3ELb0ES6_jNS0_17counting_iteratorIjlEEPS9_SE_NS0_5tupleIJPjSE_EEENSF_IJSE_SE_EEES9_SG_JZNS1_25segmented_radix_sort_implINS0_14default_configELb1EPKiPiPKlPlN2at6native12_GLOBAL__N_18offset_tEEE10hipError_tPvRmT1_PNSt15iterator_traitsISY_E10value_typeET2_T3_PNSZ_IS14_E10value_typeET4_jRbjT5_S1A_jjP12ihipStream_tbEUljE_EEESV_SW_SX_S14_S18_S1A_T6_T7_T9_mT8_S1C_bDpT10_ENKUlT_T0_E_clISt17integral_constantIbLb1EES1P_EEDaS1K_S1L_EUlS1K_E_NS1_11comp_targetILNS1_3genE9ELNS1_11target_archE1100ELNS1_3gpuE3ELNS1_3repE0EEENS1_30default_config_static_selectorELNS0_4arch9wavefront6targetE0EEEvSY_
; %bb.0:
	.section	.rodata,"a",@progbits
	.p2align	6, 0x0
	.amdhsa_kernel _ZN7rocprim17ROCPRIM_400000_NS6detail17trampoline_kernelINS0_13select_configILj256ELj13ELNS0_17block_load_methodE3ELS4_3ELS4_3ELNS0_20block_scan_algorithmE0ELj4294967295EEENS1_25partition_config_selectorILNS1_17partition_subalgoE3EjNS0_10empty_typeEbEEZZNS1_14partition_implILS8_3ELb0ES6_jNS0_17counting_iteratorIjlEEPS9_SE_NS0_5tupleIJPjSE_EEENSF_IJSE_SE_EEES9_SG_JZNS1_25segmented_radix_sort_implINS0_14default_configELb1EPKiPiPKlPlN2at6native12_GLOBAL__N_18offset_tEEE10hipError_tPvRmT1_PNSt15iterator_traitsISY_E10value_typeET2_T3_PNSZ_IS14_E10value_typeET4_jRbjT5_S1A_jjP12ihipStream_tbEUljE_EEESV_SW_SX_S14_S18_S1A_T6_T7_T9_mT8_S1C_bDpT10_ENKUlT_T0_E_clISt17integral_constantIbLb1EES1P_EEDaS1K_S1L_EUlS1K_E_NS1_11comp_targetILNS1_3genE9ELNS1_11target_archE1100ELNS1_3gpuE3ELNS1_3repE0EEENS1_30default_config_static_selectorELNS0_4arch9wavefront6targetE0EEEvSY_
		.amdhsa_group_segment_fixed_size 0
		.amdhsa_private_segment_fixed_size 0
		.amdhsa_kernarg_size 152
		.amdhsa_user_sgpr_count 2
		.amdhsa_user_sgpr_dispatch_ptr 0
		.amdhsa_user_sgpr_queue_ptr 0
		.amdhsa_user_sgpr_kernarg_segment_ptr 1
		.amdhsa_user_sgpr_dispatch_id 0
		.amdhsa_user_sgpr_kernarg_preload_length 0
		.amdhsa_user_sgpr_kernarg_preload_offset 0
		.amdhsa_user_sgpr_private_segment_size 0
		.amdhsa_wavefront_size32 1
		.amdhsa_uses_dynamic_stack 0
		.amdhsa_enable_private_segment 0
		.amdhsa_system_sgpr_workgroup_id_x 1
		.amdhsa_system_sgpr_workgroup_id_y 0
		.amdhsa_system_sgpr_workgroup_id_z 0
		.amdhsa_system_sgpr_workgroup_info 0
		.amdhsa_system_vgpr_workitem_id 0
		.amdhsa_next_free_vgpr 1
		.amdhsa_next_free_sgpr 1
		.amdhsa_named_barrier_count 0
		.amdhsa_reserve_vcc 0
		.amdhsa_float_round_mode_32 0
		.amdhsa_float_round_mode_16_64 0
		.amdhsa_float_denorm_mode_32 3
		.amdhsa_float_denorm_mode_16_64 3
		.amdhsa_fp16_overflow 0
		.amdhsa_memory_ordered 1
		.amdhsa_forward_progress 1
		.amdhsa_inst_pref_size 0
		.amdhsa_round_robin_scheduling 0
		.amdhsa_exception_fp_ieee_invalid_op 0
		.amdhsa_exception_fp_denorm_src 0
		.amdhsa_exception_fp_ieee_div_zero 0
		.amdhsa_exception_fp_ieee_overflow 0
		.amdhsa_exception_fp_ieee_underflow 0
		.amdhsa_exception_fp_ieee_inexact 0
		.amdhsa_exception_int_div_zero 0
	.end_amdhsa_kernel
	.section	.text._ZN7rocprim17ROCPRIM_400000_NS6detail17trampoline_kernelINS0_13select_configILj256ELj13ELNS0_17block_load_methodE3ELS4_3ELS4_3ELNS0_20block_scan_algorithmE0ELj4294967295EEENS1_25partition_config_selectorILNS1_17partition_subalgoE3EjNS0_10empty_typeEbEEZZNS1_14partition_implILS8_3ELb0ES6_jNS0_17counting_iteratorIjlEEPS9_SE_NS0_5tupleIJPjSE_EEENSF_IJSE_SE_EEES9_SG_JZNS1_25segmented_radix_sort_implINS0_14default_configELb1EPKiPiPKlPlN2at6native12_GLOBAL__N_18offset_tEEE10hipError_tPvRmT1_PNSt15iterator_traitsISY_E10value_typeET2_T3_PNSZ_IS14_E10value_typeET4_jRbjT5_S1A_jjP12ihipStream_tbEUljE_EEESV_SW_SX_S14_S18_S1A_T6_T7_T9_mT8_S1C_bDpT10_ENKUlT_T0_E_clISt17integral_constantIbLb1EES1P_EEDaS1K_S1L_EUlS1K_E_NS1_11comp_targetILNS1_3genE9ELNS1_11target_archE1100ELNS1_3gpuE3ELNS1_3repE0EEENS1_30default_config_static_selectorELNS0_4arch9wavefront6targetE0EEEvSY_,"axG",@progbits,_ZN7rocprim17ROCPRIM_400000_NS6detail17trampoline_kernelINS0_13select_configILj256ELj13ELNS0_17block_load_methodE3ELS4_3ELS4_3ELNS0_20block_scan_algorithmE0ELj4294967295EEENS1_25partition_config_selectorILNS1_17partition_subalgoE3EjNS0_10empty_typeEbEEZZNS1_14partition_implILS8_3ELb0ES6_jNS0_17counting_iteratorIjlEEPS9_SE_NS0_5tupleIJPjSE_EEENSF_IJSE_SE_EEES9_SG_JZNS1_25segmented_radix_sort_implINS0_14default_configELb1EPKiPiPKlPlN2at6native12_GLOBAL__N_18offset_tEEE10hipError_tPvRmT1_PNSt15iterator_traitsISY_E10value_typeET2_T3_PNSZ_IS14_E10value_typeET4_jRbjT5_S1A_jjP12ihipStream_tbEUljE_EEESV_SW_SX_S14_S18_S1A_T6_T7_T9_mT8_S1C_bDpT10_ENKUlT_T0_E_clISt17integral_constantIbLb1EES1P_EEDaS1K_S1L_EUlS1K_E_NS1_11comp_targetILNS1_3genE9ELNS1_11target_archE1100ELNS1_3gpuE3ELNS1_3repE0EEENS1_30default_config_static_selectorELNS0_4arch9wavefront6targetE0EEEvSY_,comdat
.Lfunc_end475:
	.size	_ZN7rocprim17ROCPRIM_400000_NS6detail17trampoline_kernelINS0_13select_configILj256ELj13ELNS0_17block_load_methodE3ELS4_3ELS4_3ELNS0_20block_scan_algorithmE0ELj4294967295EEENS1_25partition_config_selectorILNS1_17partition_subalgoE3EjNS0_10empty_typeEbEEZZNS1_14partition_implILS8_3ELb0ES6_jNS0_17counting_iteratorIjlEEPS9_SE_NS0_5tupleIJPjSE_EEENSF_IJSE_SE_EEES9_SG_JZNS1_25segmented_radix_sort_implINS0_14default_configELb1EPKiPiPKlPlN2at6native12_GLOBAL__N_18offset_tEEE10hipError_tPvRmT1_PNSt15iterator_traitsISY_E10value_typeET2_T3_PNSZ_IS14_E10value_typeET4_jRbjT5_S1A_jjP12ihipStream_tbEUljE_EEESV_SW_SX_S14_S18_S1A_T6_T7_T9_mT8_S1C_bDpT10_ENKUlT_T0_E_clISt17integral_constantIbLb1EES1P_EEDaS1K_S1L_EUlS1K_E_NS1_11comp_targetILNS1_3genE9ELNS1_11target_archE1100ELNS1_3gpuE3ELNS1_3repE0EEENS1_30default_config_static_selectorELNS0_4arch9wavefront6targetE0EEEvSY_, .Lfunc_end475-_ZN7rocprim17ROCPRIM_400000_NS6detail17trampoline_kernelINS0_13select_configILj256ELj13ELNS0_17block_load_methodE3ELS4_3ELS4_3ELNS0_20block_scan_algorithmE0ELj4294967295EEENS1_25partition_config_selectorILNS1_17partition_subalgoE3EjNS0_10empty_typeEbEEZZNS1_14partition_implILS8_3ELb0ES6_jNS0_17counting_iteratorIjlEEPS9_SE_NS0_5tupleIJPjSE_EEENSF_IJSE_SE_EEES9_SG_JZNS1_25segmented_radix_sort_implINS0_14default_configELb1EPKiPiPKlPlN2at6native12_GLOBAL__N_18offset_tEEE10hipError_tPvRmT1_PNSt15iterator_traitsISY_E10value_typeET2_T3_PNSZ_IS14_E10value_typeET4_jRbjT5_S1A_jjP12ihipStream_tbEUljE_EEESV_SW_SX_S14_S18_S1A_T6_T7_T9_mT8_S1C_bDpT10_ENKUlT_T0_E_clISt17integral_constantIbLb1EES1P_EEDaS1K_S1L_EUlS1K_E_NS1_11comp_targetILNS1_3genE9ELNS1_11target_archE1100ELNS1_3gpuE3ELNS1_3repE0EEENS1_30default_config_static_selectorELNS0_4arch9wavefront6targetE0EEEvSY_
                                        ; -- End function
	.set _ZN7rocprim17ROCPRIM_400000_NS6detail17trampoline_kernelINS0_13select_configILj256ELj13ELNS0_17block_load_methodE3ELS4_3ELS4_3ELNS0_20block_scan_algorithmE0ELj4294967295EEENS1_25partition_config_selectorILNS1_17partition_subalgoE3EjNS0_10empty_typeEbEEZZNS1_14partition_implILS8_3ELb0ES6_jNS0_17counting_iteratorIjlEEPS9_SE_NS0_5tupleIJPjSE_EEENSF_IJSE_SE_EEES9_SG_JZNS1_25segmented_radix_sort_implINS0_14default_configELb1EPKiPiPKlPlN2at6native12_GLOBAL__N_18offset_tEEE10hipError_tPvRmT1_PNSt15iterator_traitsISY_E10value_typeET2_T3_PNSZ_IS14_E10value_typeET4_jRbjT5_S1A_jjP12ihipStream_tbEUljE_EEESV_SW_SX_S14_S18_S1A_T6_T7_T9_mT8_S1C_bDpT10_ENKUlT_T0_E_clISt17integral_constantIbLb1EES1P_EEDaS1K_S1L_EUlS1K_E_NS1_11comp_targetILNS1_3genE9ELNS1_11target_archE1100ELNS1_3gpuE3ELNS1_3repE0EEENS1_30default_config_static_selectorELNS0_4arch9wavefront6targetE0EEEvSY_.num_vgpr, 0
	.set _ZN7rocprim17ROCPRIM_400000_NS6detail17trampoline_kernelINS0_13select_configILj256ELj13ELNS0_17block_load_methodE3ELS4_3ELS4_3ELNS0_20block_scan_algorithmE0ELj4294967295EEENS1_25partition_config_selectorILNS1_17partition_subalgoE3EjNS0_10empty_typeEbEEZZNS1_14partition_implILS8_3ELb0ES6_jNS0_17counting_iteratorIjlEEPS9_SE_NS0_5tupleIJPjSE_EEENSF_IJSE_SE_EEES9_SG_JZNS1_25segmented_radix_sort_implINS0_14default_configELb1EPKiPiPKlPlN2at6native12_GLOBAL__N_18offset_tEEE10hipError_tPvRmT1_PNSt15iterator_traitsISY_E10value_typeET2_T3_PNSZ_IS14_E10value_typeET4_jRbjT5_S1A_jjP12ihipStream_tbEUljE_EEESV_SW_SX_S14_S18_S1A_T6_T7_T9_mT8_S1C_bDpT10_ENKUlT_T0_E_clISt17integral_constantIbLb1EES1P_EEDaS1K_S1L_EUlS1K_E_NS1_11comp_targetILNS1_3genE9ELNS1_11target_archE1100ELNS1_3gpuE3ELNS1_3repE0EEENS1_30default_config_static_selectorELNS0_4arch9wavefront6targetE0EEEvSY_.num_agpr, 0
	.set _ZN7rocprim17ROCPRIM_400000_NS6detail17trampoline_kernelINS0_13select_configILj256ELj13ELNS0_17block_load_methodE3ELS4_3ELS4_3ELNS0_20block_scan_algorithmE0ELj4294967295EEENS1_25partition_config_selectorILNS1_17partition_subalgoE3EjNS0_10empty_typeEbEEZZNS1_14partition_implILS8_3ELb0ES6_jNS0_17counting_iteratorIjlEEPS9_SE_NS0_5tupleIJPjSE_EEENSF_IJSE_SE_EEES9_SG_JZNS1_25segmented_radix_sort_implINS0_14default_configELb1EPKiPiPKlPlN2at6native12_GLOBAL__N_18offset_tEEE10hipError_tPvRmT1_PNSt15iterator_traitsISY_E10value_typeET2_T3_PNSZ_IS14_E10value_typeET4_jRbjT5_S1A_jjP12ihipStream_tbEUljE_EEESV_SW_SX_S14_S18_S1A_T6_T7_T9_mT8_S1C_bDpT10_ENKUlT_T0_E_clISt17integral_constantIbLb1EES1P_EEDaS1K_S1L_EUlS1K_E_NS1_11comp_targetILNS1_3genE9ELNS1_11target_archE1100ELNS1_3gpuE3ELNS1_3repE0EEENS1_30default_config_static_selectorELNS0_4arch9wavefront6targetE0EEEvSY_.numbered_sgpr, 0
	.set _ZN7rocprim17ROCPRIM_400000_NS6detail17trampoline_kernelINS0_13select_configILj256ELj13ELNS0_17block_load_methodE3ELS4_3ELS4_3ELNS0_20block_scan_algorithmE0ELj4294967295EEENS1_25partition_config_selectorILNS1_17partition_subalgoE3EjNS0_10empty_typeEbEEZZNS1_14partition_implILS8_3ELb0ES6_jNS0_17counting_iteratorIjlEEPS9_SE_NS0_5tupleIJPjSE_EEENSF_IJSE_SE_EEES9_SG_JZNS1_25segmented_radix_sort_implINS0_14default_configELb1EPKiPiPKlPlN2at6native12_GLOBAL__N_18offset_tEEE10hipError_tPvRmT1_PNSt15iterator_traitsISY_E10value_typeET2_T3_PNSZ_IS14_E10value_typeET4_jRbjT5_S1A_jjP12ihipStream_tbEUljE_EEESV_SW_SX_S14_S18_S1A_T6_T7_T9_mT8_S1C_bDpT10_ENKUlT_T0_E_clISt17integral_constantIbLb1EES1P_EEDaS1K_S1L_EUlS1K_E_NS1_11comp_targetILNS1_3genE9ELNS1_11target_archE1100ELNS1_3gpuE3ELNS1_3repE0EEENS1_30default_config_static_selectorELNS0_4arch9wavefront6targetE0EEEvSY_.num_named_barrier, 0
	.set _ZN7rocprim17ROCPRIM_400000_NS6detail17trampoline_kernelINS0_13select_configILj256ELj13ELNS0_17block_load_methodE3ELS4_3ELS4_3ELNS0_20block_scan_algorithmE0ELj4294967295EEENS1_25partition_config_selectorILNS1_17partition_subalgoE3EjNS0_10empty_typeEbEEZZNS1_14partition_implILS8_3ELb0ES6_jNS0_17counting_iteratorIjlEEPS9_SE_NS0_5tupleIJPjSE_EEENSF_IJSE_SE_EEES9_SG_JZNS1_25segmented_radix_sort_implINS0_14default_configELb1EPKiPiPKlPlN2at6native12_GLOBAL__N_18offset_tEEE10hipError_tPvRmT1_PNSt15iterator_traitsISY_E10value_typeET2_T3_PNSZ_IS14_E10value_typeET4_jRbjT5_S1A_jjP12ihipStream_tbEUljE_EEESV_SW_SX_S14_S18_S1A_T6_T7_T9_mT8_S1C_bDpT10_ENKUlT_T0_E_clISt17integral_constantIbLb1EES1P_EEDaS1K_S1L_EUlS1K_E_NS1_11comp_targetILNS1_3genE9ELNS1_11target_archE1100ELNS1_3gpuE3ELNS1_3repE0EEENS1_30default_config_static_selectorELNS0_4arch9wavefront6targetE0EEEvSY_.private_seg_size, 0
	.set _ZN7rocprim17ROCPRIM_400000_NS6detail17trampoline_kernelINS0_13select_configILj256ELj13ELNS0_17block_load_methodE3ELS4_3ELS4_3ELNS0_20block_scan_algorithmE0ELj4294967295EEENS1_25partition_config_selectorILNS1_17partition_subalgoE3EjNS0_10empty_typeEbEEZZNS1_14partition_implILS8_3ELb0ES6_jNS0_17counting_iteratorIjlEEPS9_SE_NS0_5tupleIJPjSE_EEENSF_IJSE_SE_EEES9_SG_JZNS1_25segmented_radix_sort_implINS0_14default_configELb1EPKiPiPKlPlN2at6native12_GLOBAL__N_18offset_tEEE10hipError_tPvRmT1_PNSt15iterator_traitsISY_E10value_typeET2_T3_PNSZ_IS14_E10value_typeET4_jRbjT5_S1A_jjP12ihipStream_tbEUljE_EEESV_SW_SX_S14_S18_S1A_T6_T7_T9_mT8_S1C_bDpT10_ENKUlT_T0_E_clISt17integral_constantIbLb1EES1P_EEDaS1K_S1L_EUlS1K_E_NS1_11comp_targetILNS1_3genE9ELNS1_11target_archE1100ELNS1_3gpuE3ELNS1_3repE0EEENS1_30default_config_static_selectorELNS0_4arch9wavefront6targetE0EEEvSY_.uses_vcc, 0
	.set _ZN7rocprim17ROCPRIM_400000_NS6detail17trampoline_kernelINS0_13select_configILj256ELj13ELNS0_17block_load_methodE3ELS4_3ELS4_3ELNS0_20block_scan_algorithmE0ELj4294967295EEENS1_25partition_config_selectorILNS1_17partition_subalgoE3EjNS0_10empty_typeEbEEZZNS1_14partition_implILS8_3ELb0ES6_jNS0_17counting_iteratorIjlEEPS9_SE_NS0_5tupleIJPjSE_EEENSF_IJSE_SE_EEES9_SG_JZNS1_25segmented_radix_sort_implINS0_14default_configELb1EPKiPiPKlPlN2at6native12_GLOBAL__N_18offset_tEEE10hipError_tPvRmT1_PNSt15iterator_traitsISY_E10value_typeET2_T3_PNSZ_IS14_E10value_typeET4_jRbjT5_S1A_jjP12ihipStream_tbEUljE_EEESV_SW_SX_S14_S18_S1A_T6_T7_T9_mT8_S1C_bDpT10_ENKUlT_T0_E_clISt17integral_constantIbLb1EES1P_EEDaS1K_S1L_EUlS1K_E_NS1_11comp_targetILNS1_3genE9ELNS1_11target_archE1100ELNS1_3gpuE3ELNS1_3repE0EEENS1_30default_config_static_selectorELNS0_4arch9wavefront6targetE0EEEvSY_.uses_flat_scratch, 0
	.set _ZN7rocprim17ROCPRIM_400000_NS6detail17trampoline_kernelINS0_13select_configILj256ELj13ELNS0_17block_load_methodE3ELS4_3ELS4_3ELNS0_20block_scan_algorithmE0ELj4294967295EEENS1_25partition_config_selectorILNS1_17partition_subalgoE3EjNS0_10empty_typeEbEEZZNS1_14partition_implILS8_3ELb0ES6_jNS0_17counting_iteratorIjlEEPS9_SE_NS0_5tupleIJPjSE_EEENSF_IJSE_SE_EEES9_SG_JZNS1_25segmented_radix_sort_implINS0_14default_configELb1EPKiPiPKlPlN2at6native12_GLOBAL__N_18offset_tEEE10hipError_tPvRmT1_PNSt15iterator_traitsISY_E10value_typeET2_T3_PNSZ_IS14_E10value_typeET4_jRbjT5_S1A_jjP12ihipStream_tbEUljE_EEESV_SW_SX_S14_S18_S1A_T6_T7_T9_mT8_S1C_bDpT10_ENKUlT_T0_E_clISt17integral_constantIbLb1EES1P_EEDaS1K_S1L_EUlS1K_E_NS1_11comp_targetILNS1_3genE9ELNS1_11target_archE1100ELNS1_3gpuE3ELNS1_3repE0EEENS1_30default_config_static_selectorELNS0_4arch9wavefront6targetE0EEEvSY_.has_dyn_sized_stack, 0
	.set _ZN7rocprim17ROCPRIM_400000_NS6detail17trampoline_kernelINS0_13select_configILj256ELj13ELNS0_17block_load_methodE3ELS4_3ELS4_3ELNS0_20block_scan_algorithmE0ELj4294967295EEENS1_25partition_config_selectorILNS1_17partition_subalgoE3EjNS0_10empty_typeEbEEZZNS1_14partition_implILS8_3ELb0ES6_jNS0_17counting_iteratorIjlEEPS9_SE_NS0_5tupleIJPjSE_EEENSF_IJSE_SE_EEES9_SG_JZNS1_25segmented_radix_sort_implINS0_14default_configELb1EPKiPiPKlPlN2at6native12_GLOBAL__N_18offset_tEEE10hipError_tPvRmT1_PNSt15iterator_traitsISY_E10value_typeET2_T3_PNSZ_IS14_E10value_typeET4_jRbjT5_S1A_jjP12ihipStream_tbEUljE_EEESV_SW_SX_S14_S18_S1A_T6_T7_T9_mT8_S1C_bDpT10_ENKUlT_T0_E_clISt17integral_constantIbLb1EES1P_EEDaS1K_S1L_EUlS1K_E_NS1_11comp_targetILNS1_3genE9ELNS1_11target_archE1100ELNS1_3gpuE3ELNS1_3repE0EEENS1_30default_config_static_selectorELNS0_4arch9wavefront6targetE0EEEvSY_.has_recursion, 0
	.set _ZN7rocprim17ROCPRIM_400000_NS6detail17trampoline_kernelINS0_13select_configILj256ELj13ELNS0_17block_load_methodE3ELS4_3ELS4_3ELNS0_20block_scan_algorithmE0ELj4294967295EEENS1_25partition_config_selectorILNS1_17partition_subalgoE3EjNS0_10empty_typeEbEEZZNS1_14partition_implILS8_3ELb0ES6_jNS0_17counting_iteratorIjlEEPS9_SE_NS0_5tupleIJPjSE_EEENSF_IJSE_SE_EEES9_SG_JZNS1_25segmented_radix_sort_implINS0_14default_configELb1EPKiPiPKlPlN2at6native12_GLOBAL__N_18offset_tEEE10hipError_tPvRmT1_PNSt15iterator_traitsISY_E10value_typeET2_T3_PNSZ_IS14_E10value_typeET4_jRbjT5_S1A_jjP12ihipStream_tbEUljE_EEESV_SW_SX_S14_S18_S1A_T6_T7_T9_mT8_S1C_bDpT10_ENKUlT_T0_E_clISt17integral_constantIbLb1EES1P_EEDaS1K_S1L_EUlS1K_E_NS1_11comp_targetILNS1_3genE9ELNS1_11target_archE1100ELNS1_3gpuE3ELNS1_3repE0EEENS1_30default_config_static_selectorELNS0_4arch9wavefront6targetE0EEEvSY_.has_indirect_call, 0
	.section	.AMDGPU.csdata,"",@progbits
; Kernel info:
; codeLenInByte = 0
; TotalNumSgprs: 0
; NumVgprs: 0
; ScratchSize: 0
; MemoryBound: 0
; FloatMode: 240
; IeeeMode: 1
; LDSByteSize: 0 bytes/workgroup (compile time only)
; SGPRBlocks: 0
; VGPRBlocks: 0
; NumSGPRsForWavesPerEU: 1
; NumVGPRsForWavesPerEU: 1
; NamedBarCnt: 0
; Occupancy: 16
; WaveLimiterHint : 0
; COMPUTE_PGM_RSRC2:SCRATCH_EN: 0
; COMPUTE_PGM_RSRC2:USER_SGPR: 2
; COMPUTE_PGM_RSRC2:TRAP_HANDLER: 0
; COMPUTE_PGM_RSRC2:TGID_X_EN: 1
; COMPUTE_PGM_RSRC2:TGID_Y_EN: 0
; COMPUTE_PGM_RSRC2:TGID_Z_EN: 0
; COMPUTE_PGM_RSRC2:TIDIG_COMP_CNT: 0
	.section	.text._ZN7rocprim17ROCPRIM_400000_NS6detail17trampoline_kernelINS0_13select_configILj256ELj13ELNS0_17block_load_methodE3ELS4_3ELS4_3ELNS0_20block_scan_algorithmE0ELj4294967295EEENS1_25partition_config_selectorILNS1_17partition_subalgoE3EjNS0_10empty_typeEbEEZZNS1_14partition_implILS8_3ELb0ES6_jNS0_17counting_iteratorIjlEEPS9_SE_NS0_5tupleIJPjSE_EEENSF_IJSE_SE_EEES9_SG_JZNS1_25segmented_radix_sort_implINS0_14default_configELb1EPKiPiPKlPlN2at6native12_GLOBAL__N_18offset_tEEE10hipError_tPvRmT1_PNSt15iterator_traitsISY_E10value_typeET2_T3_PNSZ_IS14_E10value_typeET4_jRbjT5_S1A_jjP12ihipStream_tbEUljE_EEESV_SW_SX_S14_S18_S1A_T6_T7_T9_mT8_S1C_bDpT10_ENKUlT_T0_E_clISt17integral_constantIbLb1EES1P_EEDaS1K_S1L_EUlS1K_E_NS1_11comp_targetILNS1_3genE8ELNS1_11target_archE1030ELNS1_3gpuE2ELNS1_3repE0EEENS1_30default_config_static_selectorELNS0_4arch9wavefront6targetE0EEEvSY_,"axG",@progbits,_ZN7rocprim17ROCPRIM_400000_NS6detail17trampoline_kernelINS0_13select_configILj256ELj13ELNS0_17block_load_methodE3ELS4_3ELS4_3ELNS0_20block_scan_algorithmE0ELj4294967295EEENS1_25partition_config_selectorILNS1_17partition_subalgoE3EjNS0_10empty_typeEbEEZZNS1_14partition_implILS8_3ELb0ES6_jNS0_17counting_iteratorIjlEEPS9_SE_NS0_5tupleIJPjSE_EEENSF_IJSE_SE_EEES9_SG_JZNS1_25segmented_radix_sort_implINS0_14default_configELb1EPKiPiPKlPlN2at6native12_GLOBAL__N_18offset_tEEE10hipError_tPvRmT1_PNSt15iterator_traitsISY_E10value_typeET2_T3_PNSZ_IS14_E10value_typeET4_jRbjT5_S1A_jjP12ihipStream_tbEUljE_EEESV_SW_SX_S14_S18_S1A_T6_T7_T9_mT8_S1C_bDpT10_ENKUlT_T0_E_clISt17integral_constantIbLb1EES1P_EEDaS1K_S1L_EUlS1K_E_NS1_11comp_targetILNS1_3genE8ELNS1_11target_archE1030ELNS1_3gpuE2ELNS1_3repE0EEENS1_30default_config_static_selectorELNS0_4arch9wavefront6targetE0EEEvSY_,comdat
	.globl	_ZN7rocprim17ROCPRIM_400000_NS6detail17trampoline_kernelINS0_13select_configILj256ELj13ELNS0_17block_load_methodE3ELS4_3ELS4_3ELNS0_20block_scan_algorithmE0ELj4294967295EEENS1_25partition_config_selectorILNS1_17partition_subalgoE3EjNS0_10empty_typeEbEEZZNS1_14partition_implILS8_3ELb0ES6_jNS0_17counting_iteratorIjlEEPS9_SE_NS0_5tupleIJPjSE_EEENSF_IJSE_SE_EEES9_SG_JZNS1_25segmented_radix_sort_implINS0_14default_configELb1EPKiPiPKlPlN2at6native12_GLOBAL__N_18offset_tEEE10hipError_tPvRmT1_PNSt15iterator_traitsISY_E10value_typeET2_T3_PNSZ_IS14_E10value_typeET4_jRbjT5_S1A_jjP12ihipStream_tbEUljE_EEESV_SW_SX_S14_S18_S1A_T6_T7_T9_mT8_S1C_bDpT10_ENKUlT_T0_E_clISt17integral_constantIbLb1EES1P_EEDaS1K_S1L_EUlS1K_E_NS1_11comp_targetILNS1_3genE8ELNS1_11target_archE1030ELNS1_3gpuE2ELNS1_3repE0EEENS1_30default_config_static_selectorELNS0_4arch9wavefront6targetE0EEEvSY_ ; -- Begin function _ZN7rocprim17ROCPRIM_400000_NS6detail17trampoline_kernelINS0_13select_configILj256ELj13ELNS0_17block_load_methodE3ELS4_3ELS4_3ELNS0_20block_scan_algorithmE0ELj4294967295EEENS1_25partition_config_selectorILNS1_17partition_subalgoE3EjNS0_10empty_typeEbEEZZNS1_14partition_implILS8_3ELb0ES6_jNS0_17counting_iteratorIjlEEPS9_SE_NS0_5tupleIJPjSE_EEENSF_IJSE_SE_EEES9_SG_JZNS1_25segmented_radix_sort_implINS0_14default_configELb1EPKiPiPKlPlN2at6native12_GLOBAL__N_18offset_tEEE10hipError_tPvRmT1_PNSt15iterator_traitsISY_E10value_typeET2_T3_PNSZ_IS14_E10value_typeET4_jRbjT5_S1A_jjP12ihipStream_tbEUljE_EEESV_SW_SX_S14_S18_S1A_T6_T7_T9_mT8_S1C_bDpT10_ENKUlT_T0_E_clISt17integral_constantIbLb1EES1P_EEDaS1K_S1L_EUlS1K_E_NS1_11comp_targetILNS1_3genE8ELNS1_11target_archE1030ELNS1_3gpuE2ELNS1_3repE0EEENS1_30default_config_static_selectorELNS0_4arch9wavefront6targetE0EEEvSY_
	.p2align	8
	.type	_ZN7rocprim17ROCPRIM_400000_NS6detail17trampoline_kernelINS0_13select_configILj256ELj13ELNS0_17block_load_methodE3ELS4_3ELS4_3ELNS0_20block_scan_algorithmE0ELj4294967295EEENS1_25partition_config_selectorILNS1_17partition_subalgoE3EjNS0_10empty_typeEbEEZZNS1_14partition_implILS8_3ELb0ES6_jNS0_17counting_iteratorIjlEEPS9_SE_NS0_5tupleIJPjSE_EEENSF_IJSE_SE_EEES9_SG_JZNS1_25segmented_radix_sort_implINS0_14default_configELb1EPKiPiPKlPlN2at6native12_GLOBAL__N_18offset_tEEE10hipError_tPvRmT1_PNSt15iterator_traitsISY_E10value_typeET2_T3_PNSZ_IS14_E10value_typeET4_jRbjT5_S1A_jjP12ihipStream_tbEUljE_EEESV_SW_SX_S14_S18_S1A_T6_T7_T9_mT8_S1C_bDpT10_ENKUlT_T0_E_clISt17integral_constantIbLb1EES1P_EEDaS1K_S1L_EUlS1K_E_NS1_11comp_targetILNS1_3genE8ELNS1_11target_archE1030ELNS1_3gpuE2ELNS1_3repE0EEENS1_30default_config_static_selectorELNS0_4arch9wavefront6targetE0EEEvSY_,@function
_ZN7rocprim17ROCPRIM_400000_NS6detail17trampoline_kernelINS0_13select_configILj256ELj13ELNS0_17block_load_methodE3ELS4_3ELS4_3ELNS0_20block_scan_algorithmE0ELj4294967295EEENS1_25partition_config_selectorILNS1_17partition_subalgoE3EjNS0_10empty_typeEbEEZZNS1_14partition_implILS8_3ELb0ES6_jNS0_17counting_iteratorIjlEEPS9_SE_NS0_5tupleIJPjSE_EEENSF_IJSE_SE_EEES9_SG_JZNS1_25segmented_radix_sort_implINS0_14default_configELb1EPKiPiPKlPlN2at6native12_GLOBAL__N_18offset_tEEE10hipError_tPvRmT1_PNSt15iterator_traitsISY_E10value_typeET2_T3_PNSZ_IS14_E10value_typeET4_jRbjT5_S1A_jjP12ihipStream_tbEUljE_EEESV_SW_SX_S14_S18_S1A_T6_T7_T9_mT8_S1C_bDpT10_ENKUlT_T0_E_clISt17integral_constantIbLb1EES1P_EEDaS1K_S1L_EUlS1K_E_NS1_11comp_targetILNS1_3genE8ELNS1_11target_archE1030ELNS1_3gpuE2ELNS1_3repE0EEENS1_30default_config_static_selectorELNS0_4arch9wavefront6targetE0EEEvSY_: ; @_ZN7rocprim17ROCPRIM_400000_NS6detail17trampoline_kernelINS0_13select_configILj256ELj13ELNS0_17block_load_methodE3ELS4_3ELS4_3ELNS0_20block_scan_algorithmE0ELj4294967295EEENS1_25partition_config_selectorILNS1_17partition_subalgoE3EjNS0_10empty_typeEbEEZZNS1_14partition_implILS8_3ELb0ES6_jNS0_17counting_iteratorIjlEEPS9_SE_NS0_5tupleIJPjSE_EEENSF_IJSE_SE_EEES9_SG_JZNS1_25segmented_radix_sort_implINS0_14default_configELb1EPKiPiPKlPlN2at6native12_GLOBAL__N_18offset_tEEE10hipError_tPvRmT1_PNSt15iterator_traitsISY_E10value_typeET2_T3_PNSZ_IS14_E10value_typeET4_jRbjT5_S1A_jjP12ihipStream_tbEUljE_EEESV_SW_SX_S14_S18_S1A_T6_T7_T9_mT8_S1C_bDpT10_ENKUlT_T0_E_clISt17integral_constantIbLb1EES1P_EEDaS1K_S1L_EUlS1K_E_NS1_11comp_targetILNS1_3genE8ELNS1_11target_archE1030ELNS1_3gpuE2ELNS1_3repE0EEENS1_30default_config_static_selectorELNS0_4arch9wavefront6targetE0EEEvSY_
; %bb.0:
	.section	.rodata,"a",@progbits
	.p2align	6, 0x0
	.amdhsa_kernel _ZN7rocprim17ROCPRIM_400000_NS6detail17trampoline_kernelINS0_13select_configILj256ELj13ELNS0_17block_load_methodE3ELS4_3ELS4_3ELNS0_20block_scan_algorithmE0ELj4294967295EEENS1_25partition_config_selectorILNS1_17partition_subalgoE3EjNS0_10empty_typeEbEEZZNS1_14partition_implILS8_3ELb0ES6_jNS0_17counting_iteratorIjlEEPS9_SE_NS0_5tupleIJPjSE_EEENSF_IJSE_SE_EEES9_SG_JZNS1_25segmented_radix_sort_implINS0_14default_configELb1EPKiPiPKlPlN2at6native12_GLOBAL__N_18offset_tEEE10hipError_tPvRmT1_PNSt15iterator_traitsISY_E10value_typeET2_T3_PNSZ_IS14_E10value_typeET4_jRbjT5_S1A_jjP12ihipStream_tbEUljE_EEESV_SW_SX_S14_S18_S1A_T6_T7_T9_mT8_S1C_bDpT10_ENKUlT_T0_E_clISt17integral_constantIbLb1EES1P_EEDaS1K_S1L_EUlS1K_E_NS1_11comp_targetILNS1_3genE8ELNS1_11target_archE1030ELNS1_3gpuE2ELNS1_3repE0EEENS1_30default_config_static_selectorELNS0_4arch9wavefront6targetE0EEEvSY_
		.amdhsa_group_segment_fixed_size 0
		.amdhsa_private_segment_fixed_size 0
		.amdhsa_kernarg_size 152
		.amdhsa_user_sgpr_count 2
		.amdhsa_user_sgpr_dispatch_ptr 0
		.amdhsa_user_sgpr_queue_ptr 0
		.amdhsa_user_sgpr_kernarg_segment_ptr 1
		.amdhsa_user_sgpr_dispatch_id 0
		.amdhsa_user_sgpr_kernarg_preload_length 0
		.amdhsa_user_sgpr_kernarg_preload_offset 0
		.amdhsa_user_sgpr_private_segment_size 0
		.amdhsa_wavefront_size32 1
		.amdhsa_uses_dynamic_stack 0
		.amdhsa_enable_private_segment 0
		.amdhsa_system_sgpr_workgroup_id_x 1
		.amdhsa_system_sgpr_workgroup_id_y 0
		.amdhsa_system_sgpr_workgroup_id_z 0
		.amdhsa_system_sgpr_workgroup_info 0
		.amdhsa_system_vgpr_workitem_id 0
		.amdhsa_next_free_vgpr 1
		.amdhsa_next_free_sgpr 1
		.amdhsa_named_barrier_count 0
		.amdhsa_reserve_vcc 0
		.amdhsa_float_round_mode_32 0
		.amdhsa_float_round_mode_16_64 0
		.amdhsa_float_denorm_mode_32 3
		.amdhsa_float_denorm_mode_16_64 3
		.amdhsa_fp16_overflow 0
		.amdhsa_memory_ordered 1
		.amdhsa_forward_progress 1
		.amdhsa_inst_pref_size 0
		.amdhsa_round_robin_scheduling 0
		.amdhsa_exception_fp_ieee_invalid_op 0
		.amdhsa_exception_fp_denorm_src 0
		.amdhsa_exception_fp_ieee_div_zero 0
		.amdhsa_exception_fp_ieee_overflow 0
		.amdhsa_exception_fp_ieee_underflow 0
		.amdhsa_exception_fp_ieee_inexact 0
		.amdhsa_exception_int_div_zero 0
	.end_amdhsa_kernel
	.section	.text._ZN7rocprim17ROCPRIM_400000_NS6detail17trampoline_kernelINS0_13select_configILj256ELj13ELNS0_17block_load_methodE3ELS4_3ELS4_3ELNS0_20block_scan_algorithmE0ELj4294967295EEENS1_25partition_config_selectorILNS1_17partition_subalgoE3EjNS0_10empty_typeEbEEZZNS1_14partition_implILS8_3ELb0ES6_jNS0_17counting_iteratorIjlEEPS9_SE_NS0_5tupleIJPjSE_EEENSF_IJSE_SE_EEES9_SG_JZNS1_25segmented_radix_sort_implINS0_14default_configELb1EPKiPiPKlPlN2at6native12_GLOBAL__N_18offset_tEEE10hipError_tPvRmT1_PNSt15iterator_traitsISY_E10value_typeET2_T3_PNSZ_IS14_E10value_typeET4_jRbjT5_S1A_jjP12ihipStream_tbEUljE_EEESV_SW_SX_S14_S18_S1A_T6_T7_T9_mT8_S1C_bDpT10_ENKUlT_T0_E_clISt17integral_constantIbLb1EES1P_EEDaS1K_S1L_EUlS1K_E_NS1_11comp_targetILNS1_3genE8ELNS1_11target_archE1030ELNS1_3gpuE2ELNS1_3repE0EEENS1_30default_config_static_selectorELNS0_4arch9wavefront6targetE0EEEvSY_,"axG",@progbits,_ZN7rocprim17ROCPRIM_400000_NS6detail17trampoline_kernelINS0_13select_configILj256ELj13ELNS0_17block_load_methodE3ELS4_3ELS4_3ELNS0_20block_scan_algorithmE0ELj4294967295EEENS1_25partition_config_selectorILNS1_17partition_subalgoE3EjNS0_10empty_typeEbEEZZNS1_14partition_implILS8_3ELb0ES6_jNS0_17counting_iteratorIjlEEPS9_SE_NS0_5tupleIJPjSE_EEENSF_IJSE_SE_EEES9_SG_JZNS1_25segmented_radix_sort_implINS0_14default_configELb1EPKiPiPKlPlN2at6native12_GLOBAL__N_18offset_tEEE10hipError_tPvRmT1_PNSt15iterator_traitsISY_E10value_typeET2_T3_PNSZ_IS14_E10value_typeET4_jRbjT5_S1A_jjP12ihipStream_tbEUljE_EEESV_SW_SX_S14_S18_S1A_T6_T7_T9_mT8_S1C_bDpT10_ENKUlT_T0_E_clISt17integral_constantIbLb1EES1P_EEDaS1K_S1L_EUlS1K_E_NS1_11comp_targetILNS1_3genE8ELNS1_11target_archE1030ELNS1_3gpuE2ELNS1_3repE0EEENS1_30default_config_static_selectorELNS0_4arch9wavefront6targetE0EEEvSY_,comdat
.Lfunc_end476:
	.size	_ZN7rocprim17ROCPRIM_400000_NS6detail17trampoline_kernelINS0_13select_configILj256ELj13ELNS0_17block_load_methodE3ELS4_3ELS4_3ELNS0_20block_scan_algorithmE0ELj4294967295EEENS1_25partition_config_selectorILNS1_17partition_subalgoE3EjNS0_10empty_typeEbEEZZNS1_14partition_implILS8_3ELb0ES6_jNS0_17counting_iteratorIjlEEPS9_SE_NS0_5tupleIJPjSE_EEENSF_IJSE_SE_EEES9_SG_JZNS1_25segmented_radix_sort_implINS0_14default_configELb1EPKiPiPKlPlN2at6native12_GLOBAL__N_18offset_tEEE10hipError_tPvRmT1_PNSt15iterator_traitsISY_E10value_typeET2_T3_PNSZ_IS14_E10value_typeET4_jRbjT5_S1A_jjP12ihipStream_tbEUljE_EEESV_SW_SX_S14_S18_S1A_T6_T7_T9_mT8_S1C_bDpT10_ENKUlT_T0_E_clISt17integral_constantIbLb1EES1P_EEDaS1K_S1L_EUlS1K_E_NS1_11comp_targetILNS1_3genE8ELNS1_11target_archE1030ELNS1_3gpuE2ELNS1_3repE0EEENS1_30default_config_static_selectorELNS0_4arch9wavefront6targetE0EEEvSY_, .Lfunc_end476-_ZN7rocprim17ROCPRIM_400000_NS6detail17trampoline_kernelINS0_13select_configILj256ELj13ELNS0_17block_load_methodE3ELS4_3ELS4_3ELNS0_20block_scan_algorithmE0ELj4294967295EEENS1_25partition_config_selectorILNS1_17partition_subalgoE3EjNS0_10empty_typeEbEEZZNS1_14partition_implILS8_3ELb0ES6_jNS0_17counting_iteratorIjlEEPS9_SE_NS0_5tupleIJPjSE_EEENSF_IJSE_SE_EEES9_SG_JZNS1_25segmented_radix_sort_implINS0_14default_configELb1EPKiPiPKlPlN2at6native12_GLOBAL__N_18offset_tEEE10hipError_tPvRmT1_PNSt15iterator_traitsISY_E10value_typeET2_T3_PNSZ_IS14_E10value_typeET4_jRbjT5_S1A_jjP12ihipStream_tbEUljE_EEESV_SW_SX_S14_S18_S1A_T6_T7_T9_mT8_S1C_bDpT10_ENKUlT_T0_E_clISt17integral_constantIbLb1EES1P_EEDaS1K_S1L_EUlS1K_E_NS1_11comp_targetILNS1_3genE8ELNS1_11target_archE1030ELNS1_3gpuE2ELNS1_3repE0EEENS1_30default_config_static_selectorELNS0_4arch9wavefront6targetE0EEEvSY_
                                        ; -- End function
	.set _ZN7rocprim17ROCPRIM_400000_NS6detail17trampoline_kernelINS0_13select_configILj256ELj13ELNS0_17block_load_methodE3ELS4_3ELS4_3ELNS0_20block_scan_algorithmE0ELj4294967295EEENS1_25partition_config_selectorILNS1_17partition_subalgoE3EjNS0_10empty_typeEbEEZZNS1_14partition_implILS8_3ELb0ES6_jNS0_17counting_iteratorIjlEEPS9_SE_NS0_5tupleIJPjSE_EEENSF_IJSE_SE_EEES9_SG_JZNS1_25segmented_radix_sort_implINS0_14default_configELb1EPKiPiPKlPlN2at6native12_GLOBAL__N_18offset_tEEE10hipError_tPvRmT1_PNSt15iterator_traitsISY_E10value_typeET2_T3_PNSZ_IS14_E10value_typeET4_jRbjT5_S1A_jjP12ihipStream_tbEUljE_EEESV_SW_SX_S14_S18_S1A_T6_T7_T9_mT8_S1C_bDpT10_ENKUlT_T0_E_clISt17integral_constantIbLb1EES1P_EEDaS1K_S1L_EUlS1K_E_NS1_11comp_targetILNS1_3genE8ELNS1_11target_archE1030ELNS1_3gpuE2ELNS1_3repE0EEENS1_30default_config_static_selectorELNS0_4arch9wavefront6targetE0EEEvSY_.num_vgpr, 0
	.set _ZN7rocprim17ROCPRIM_400000_NS6detail17trampoline_kernelINS0_13select_configILj256ELj13ELNS0_17block_load_methodE3ELS4_3ELS4_3ELNS0_20block_scan_algorithmE0ELj4294967295EEENS1_25partition_config_selectorILNS1_17partition_subalgoE3EjNS0_10empty_typeEbEEZZNS1_14partition_implILS8_3ELb0ES6_jNS0_17counting_iteratorIjlEEPS9_SE_NS0_5tupleIJPjSE_EEENSF_IJSE_SE_EEES9_SG_JZNS1_25segmented_radix_sort_implINS0_14default_configELb1EPKiPiPKlPlN2at6native12_GLOBAL__N_18offset_tEEE10hipError_tPvRmT1_PNSt15iterator_traitsISY_E10value_typeET2_T3_PNSZ_IS14_E10value_typeET4_jRbjT5_S1A_jjP12ihipStream_tbEUljE_EEESV_SW_SX_S14_S18_S1A_T6_T7_T9_mT8_S1C_bDpT10_ENKUlT_T0_E_clISt17integral_constantIbLb1EES1P_EEDaS1K_S1L_EUlS1K_E_NS1_11comp_targetILNS1_3genE8ELNS1_11target_archE1030ELNS1_3gpuE2ELNS1_3repE0EEENS1_30default_config_static_selectorELNS0_4arch9wavefront6targetE0EEEvSY_.num_agpr, 0
	.set _ZN7rocprim17ROCPRIM_400000_NS6detail17trampoline_kernelINS0_13select_configILj256ELj13ELNS0_17block_load_methodE3ELS4_3ELS4_3ELNS0_20block_scan_algorithmE0ELj4294967295EEENS1_25partition_config_selectorILNS1_17partition_subalgoE3EjNS0_10empty_typeEbEEZZNS1_14partition_implILS8_3ELb0ES6_jNS0_17counting_iteratorIjlEEPS9_SE_NS0_5tupleIJPjSE_EEENSF_IJSE_SE_EEES9_SG_JZNS1_25segmented_radix_sort_implINS0_14default_configELb1EPKiPiPKlPlN2at6native12_GLOBAL__N_18offset_tEEE10hipError_tPvRmT1_PNSt15iterator_traitsISY_E10value_typeET2_T3_PNSZ_IS14_E10value_typeET4_jRbjT5_S1A_jjP12ihipStream_tbEUljE_EEESV_SW_SX_S14_S18_S1A_T6_T7_T9_mT8_S1C_bDpT10_ENKUlT_T0_E_clISt17integral_constantIbLb1EES1P_EEDaS1K_S1L_EUlS1K_E_NS1_11comp_targetILNS1_3genE8ELNS1_11target_archE1030ELNS1_3gpuE2ELNS1_3repE0EEENS1_30default_config_static_selectorELNS0_4arch9wavefront6targetE0EEEvSY_.numbered_sgpr, 0
	.set _ZN7rocprim17ROCPRIM_400000_NS6detail17trampoline_kernelINS0_13select_configILj256ELj13ELNS0_17block_load_methodE3ELS4_3ELS4_3ELNS0_20block_scan_algorithmE0ELj4294967295EEENS1_25partition_config_selectorILNS1_17partition_subalgoE3EjNS0_10empty_typeEbEEZZNS1_14partition_implILS8_3ELb0ES6_jNS0_17counting_iteratorIjlEEPS9_SE_NS0_5tupleIJPjSE_EEENSF_IJSE_SE_EEES9_SG_JZNS1_25segmented_radix_sort_implINS0_14default_configELb1EPKiPiPKlPlN2at6native12_GLOBAL__N_18offset_tEEE10hipError_tPvRmT1_PNSt15iterator_traitsISY_E10value_typeET2_T3_PNSZ_IS14_E10value_typeET4_jRbjT5_S1A_jjP12ihipStream_tbEUljE_EEESV_SW_SX_S14_S18_S1A_T6_T7_T9_mT8_S1C_bDpT10_ENKUlT_T0_E_clISt17integral_constantIbLb1EES1P_EEDaS1K_S1L_EUlS1K_E_NS1_11comp_targetILNS1_3genE8ELNS1_11target_archE1030ELNS1_3gpuE2ELNS1_3repE0EEENS1_30default_config_static_selectorELNS0_4arch9wavefront6targetE0EEEvSY_.num_named_barrier, 0
	.set _ZN7rocprim17ROCPRIM_400000_NS6detail17trampoline_kernelINS0_13select_configILj256ELj13ELNS0_17block_load_methodE3ELS4_3ELS4_3ELNS0_20block_scan_algorithmE0ELj4294967295EEENS1_25partition_config_selectorILNS1_17partition_subalgoE3EjNS0_10empty_typeEbEEZZNS1_14partition_implILS8_3ELb0ES6_jNS0_17counting_iteratorIjlEEPS9_SE_NS0_5tupleIJPjSE_EEENSF_IJSE_SE_EEES9_SG_JZNS1_25segmented_radix_sort_implINS0_14default_configELb1EPKiPiPKlPlN2at6native12_GLOBAL__N_18offset_tEEE10hipError_tPvRmT1_PNSt15iterator_traitsISY_E10value_typeET2_T3_PNSZ_IS14_E10value_typeET4_jRbjT5_S1A_jjP12ihipStream_tbEUljE_EEESV_SW_SX_S14_S18_S1A_T6_T7_T9_mT8_S1C_bDpT10_ENKUlT_T0_E_clISt17integral_constantIbLb1EES1P_EEDaS1K_S1L_EUlS1K_E_NS1_11comp_targetILNS1_3genE8ELNS1_11target_archE1030ELNS1_3gpuE2ELNS1_3repE0EEENS1_30default_config_static_selectorELNS0_4arch9wavefront6targetE0EEEvSY_.private_seg_size, 0
	.set _ZN7rocprim17ROCPRIM_400000_NS6detail17trampoline_kernelINS0_13select_configILj256ELj13ELNS0_17block_load_methodE3ELS4_3ELS4_3ELNS0_20block_scan_algorithmE0ELj4294967295EEENS1_25partition_config_selectorILNS1_17partition_subalgoE3EjNS0_10empty_typeEbEEZZNS1_14partition_implILS8_3ELb0ES6_jNS0_17counting_iteratorIjlEEPS9_SE_NS0_5tupleIJPjSE_EEENSF_IJSE_SE_EEES9_SG_JZNS1_25segmented_radix_sort_implINS0_14default_configELb1EPKiPiPKlPlN2at6native12_GLOBAL__N_18offset_tEEE10hipError_tPvRmT1_PNSt15iterator_traitsISY_E10value_typeET2_T3_PNSZ_IS14_E10value_typeET4_jRbjT5_S1A_jjP12ihipStream_tbEUljE_EEESV_SW_SX_S14_S18_S1A_T6_T7_T9_mT8_S1C_bDpT10_ENKUlT_T0_E_clISt17integral_constantIbLb1EES1P_EEDaS1K_S1L_EUlS1K_E_NS1_11comp_targetILNS1_3genE8ELNS1_11target_archE1030ELNS1_3gpuE2ELNS1_3repE0EEENS1_30default_config_static_selectorELNS0_4arch9wavefront6targetE0EEEvSY_.uses_vcc, 0
	.set _ZN7rocprim17ROCPRIM_400000_NS6detail17trampoline_kernelINS0_13select_configILj256ELj13ELNS0_17block_load_methodE3ELS4_3ELS4_3ELNS0_20block_scan_algorithmE0ELj4294967295EEENS1_25partition_config_selectorILNS1_17partition_subalgoE3EjNS0_10empty_typeEbEEZZNS1_14partition_implILS8_3ELb0ES6_jNS0_17counting_iteratorIjlEEPS9_SE_NS0_5tupleIJPjSE_EEENSF_IJSE_SE_EEES9_SG_JZNS1_25segmented_radix_sort_implINS0_14default_configELb1EPKiPiPKlPlN2at6native12_GLOBAL__N_18offset_tEEE10hipError_tPvRmT1_PNSt15iterator_traitsISY_E10value_typeET2_T3_PNSZ_IS14_E10value_typeET4_jRbjT5_S1A_jjP12ihipStream_tbEUljE_EEESV_SW_SX_S14_S18_S1A_T6_T7_T9_mT8_S1C_bDpT10_ENKUlT_T0_E_clISt17integral_constantIbLb1EES1P_EEDaS1K_S1L_EUlS1K_E_NS1_11comp_targetILNS1_3genE8ELNS1_11target_archE1030ELNS1_3gpuE2ELNS1_3repE0EEENS1_30default_config_static_selectorELNS0_4arch9wavefront6targetE0EEEvSY_.uses_flat_scratch, 0
	.set _ZN7rocprim17ROCPRIM_400000_NS6detail17trampoline_kernelINS0_13select_configILj256ELj13ELNS0_17block_load_methodE3ELS4_3ELS4_3ELNS0_20block_scan_algorithmE0ELj4294967295EEENS1_25partition_config_selectorILNS1_17partition_subalgoE3EjNS0_10empty_typeEbEEZZNS1_14partition_implILS8_3ELb0ES6_jNS0_17counting_iteratorIjlEEPS9_SE_NS0_5tupleIJPjSE_EEENSF_IJSE_SE_EEES9_SG_JZNS1_25segmented_radix_sort_implINS0_14default_configELb1EPKiPiPKlPlN2at6native12_GLOBAL__N_18offset_tEEE10hipError_tPvRmT1_PNSt15iterator_traitsISY_E10value_typeET2_T3_PNSZ_IS14_E10value_typeET4_jRbjT5_S1A_jjP12ihipStream_tbEUljE_EEESV_SW_SX_S14_S18_S1A_T6_T7_T9_mT8_S1C_bDpT10_ENKUlT_T0_E_clISt17integral_constantIbLb1EES1P_EEDaS1K_S1L_EUlS1K_E_NS1_11comp_targetILNS1_3genE8ELNS1_11target_archE1030ELNS1_3gpuE2ELNS1_3repE0EEENS1_30default_config_static_selectorELNS0_4arch9wavefront6targetE0EEEvSY_.has_dyn_sized_stack, 0
	.set _ZN7rocprim17ROCPRIM_400000_NS6detail17trampoline_kernelINS0_13select_configILj256ELj13ELNS0_17block_load_methodE3ELS4_3ELS4_3ELNS0_20block_scan_algorithmE0ELj4294967295EEENS1_25partition_config_selectorILNS1_17partition_subalgoE3EjNS0_10empty_typeEbEEZZNS1_14partition_implILS8_3ELb0ES6_jNS0_17counting_iteratorIjlEEPS9_SE_NS0_5tupleIJPjSE_EEENSF_IJSE_SE_EEES9_SG_JZNS1_25segmented_radix_sort_implINS0_14default_configELb1EPKiPiPKlPlN2at6native12_GLOBAL__N_18offset_tEEE10hipError_tPvRmT1_PNSt15iterator_traitsISY_E10value_typeET2_T3_PNSZ_IS14_E10value_typeET4_jRbjT5_S1A_jjP12ihipStream_tbEUljE_EEESV_SW_SX_S14_S18_S1A_T6_T7_T9_mT8_S1C_bDpT10_ENKUlT_T0_E_clISt17integral_constantIbLb1EES1P_EEDaS1K_S1L_EUlS1K_E_NS1_11comp_targetILNS1_3genE8ELNS1_11target_archE1030ELNS1_3gpuE2ELNS1_3repE0EEENS1_30default_config_static_selectorELNS0_4arch9wavefront6targetE0EEEvSY_.has_recursion, 0
	.set _ZN7rocprim17ROCPRIM_400000_NS6detail17trampoline_kernelINS0_13select_configILj256ELj13ELNS0_17block_load_methodE3ELS4_3ELS4_3ELNS0_20block_scan_algorithmE0ELj4294967295EEENS1_25partition_config_selectorILNS1_17partition_subalgoE3EjNS0_10empty_typeEbEEZZNS1_14partition_implILS8_3ELb0ES6_jNS0_17counting_iteratorIjlEEPS9_SE_NS0_5tupleIJPjSE_EEENSF_IJSE_SE_EEES9_SG_JZNS1_25segmented_radix_sort_implINS0_14default_configELb1EPKiPiPKlPlN2at6native12_GLOBAL__N_18offset_tEEE10hipError_tPvRmT1_PNSt15iterator_traitsISY_E10value_typeET2_T3_PNSZ_IS14_E10value_typeET4_jRbjT5_S1A_jjP12ihipStream_tbEUljE_EEESV_SW_SX_S14_S18_S1A_T6_T7_T9_mT8_S1C_bDpT10_ENKUlT_T0_E_clISt17integral_constantIbLb1EES1P_EEDaS1K_S1L_EUlS1K_E_NS1_11comp_targetILNS1_3genE8ELNS1_11target_archE1030ELNS1_3gpuE2ELNS1_3repE0EEENS1_30default_config_static_selectorELNS0_4arch9wavefront6targetE0EEEvSY_.has_indirect_call, 0
	.section	.AMDGPU.csdata,"",@progbits
; Kernel info:
; codeLenInByte = 0
; TotalNumSgprs: 0
; NumVgprs: 0
; ScratchSize: 0
; MemoryBound: 0
; FloatMode: 240
; IeeeMode: 1
; LDSByteSize: 0 bytes/workgroup (compile time only)
; SGPRBlocks: 0
; VGPRBlocks: 0
; NumSGPRsForWavesPerEU: 1
; NumVGPRsForWavesPerEU: 1
; NamedBarCnt: 0
; Occupancy: 16
; WaveLimiterHint : 0
; COMPUTE_PGM_RSRC2:SCRATCH_EN: 0
; COMPUTE_PGM_RSRC2:USER_SGPR: 2
; COMPUTE_PGM_RSRC2:TRAP_HANDLER: 0
; COMPUTE_PGM_RSRC2:TGID_X_EN: 1
; COMPUTE_PGM_RSRC2:TGID_Y_EN: 0
; COMPUTE_PGM_RSRC2:TGID_Z_EN: 0
; COMPUTE_PGM_RSRC2:TIDIG_COMP_CNT: 0
	.section	.text._ZN7rocprim17ROCPRIM_400000_NS6detail17trampoline_kernelINS0_13select_configILj256ELj13ELNS0_17block_load_methodE3ELS4_3ELS4_3ELNS0_20block_scan_algorithmE0ELj4294967295EEENS1_25partition_config_selectorILNS1_17partition_subalgoE3EjNS0_10empty_typeEbEEZZNS1_14partition_implILS8_3ELb0ES6_jNS0_17counting_iteratorIjlEEPS9_SE_NS0_5tupleIJPjSE_EEENSF_IJSE_SE_EEES9_SG_JZNS1_25segmented_radix_sort_implINS0_14default_configELb1EPKiPiPKlPlN2at6native12_GLOBAL__N_18offset_tEEE10hipError_tPvRmT1_PNSt15iterator_traitsISY_E10value_typeET2_T3_PNSZ_IS14_E10value_typeET4_jRbjT5_S1A_jjP12ihipStream_tbEUljE_EEESV_SW_SX_S14_S18_S1A_T6_T7_T9_mT8_S1C_bDpT10_ENKUlT_T0_E_clISt17integral_constantIbLb1EES1O_IbLb0EEEEDaS1K_S1L_EUlS1K_E_NS1_11comp_targetILNS1_3genE0ELNS1_11target_archE4294967295ELNS1_3gpuE0ELNS1_3repE0EEENS1_30default_config_static_selectorELNS0_4arch9wavefront6targetE0EEEvSY_,"axG",@progbits,_ZN7rocprim17ROCPRIM_400000_NS6detail17trampoline_kernelINS0_13select_configILj256ELj13ELNS0_17block_load_methodE3ELS4_3ELS4_3ELNS0_20block_scan_algorithmE0ELj4294967295EEENS1_25partition_config_selectorILNS1_17partition_subalgoE3EjNS0_10empty_typeEbEEZZNS1_14partition_implILS8_3ELb0ES6_jNS0_17counting_iteratorIjlEEPS9_SE_NS0_5tupleIJPjSE_EEENSF_IJSE_SE_EEES9_SG_JZNS1_25segmented_radix_sort_implINS0_14default_configELb1EPKiPiPKlPlN2at6native12_GLOBAL__N_18offset_tEEE10hipError_tPvRmT1_PNSt15iterator_traitsISY_E10value_typeET2_T3_PNSZ_IS14_E10value_typeET4_jRbjT5_S1A_jjP12ihipStream_tbEUljE_EEESV_SW_SX_S14_S18_S1A_T6_T7_T9_mT8_S1C_bDpT10_ENKUlT_T0_E_clISt17integral_constantIbLb1EES1O_IbLb0EEEEDaS1K_S1L_EUlS1K_E_NS1_11comp_targetILNS1_3genE0ELNS1_11target_archE4294967295ELNS1_3gpuE0ELNS1_3repE0EEENS1_30default_config_static_selectorELNS0_4arch9wavefront6targetE0EEEvSY_,comdat
	.globl	_ZN7rocprim17ROCPRIM_400000_NS6detail17trampoline_kernelINS0_13select_configILj256ELj13ELNS0_17block_load_methodE3ELS4_3ELS4_3ELNS0_20block_scan_algorithmE0ELj4294967295EEENS1_25partition_config_selectorILNS1_17partition_subalgoE3EjNS0_10empty_typeEbEEZZNS1_14partition_implILS8_3ELb0ES6_jNS0_17counting_iteratorIjlEEPS9_SE_NS0_5tupleIJPjSE_EEENSF_IJSE_SE_EEES9_SG_JZNS1_25segmented_radix_sort_implINS0_14default_configELb1EPKiPiPKlPlN2at6native12_GLOBAL__N_18offset_tEEE10hipError_tPvRmT1_PNSt15iterator_traitsISY_E10value_typeET2_T3_PNSZ_IS14_E10value_typeET4_jRbjT5_S1A_jjP12ihipStream_tbEUljE_EEESV_SW_SX_S14_S18_S1A_T6_T7_T9_mT8_S1C_bDpT10_ENKUlT_T0_E_clISt17integral_constantIbLb1EES1O_IbLb0EEEEDaS1K_S1L_EUlS1K_E_NS1_11comp_targetILNS1_3genE0ELNS1_11target_archE4294967295ELNS1_3gpuE0ELNS1_3repE0EEENS1_30default_config_static_selectorELNS0_4arch9wavefront6targetE0EEEvSY_ ; -- Begin function _ZN7rocprim17ROCPRIM_400000_NS6detail17trampoline_kernelINS0_13select_configILj256ELj13ELNS0_17block_load_methodE3ELS4_3ELS4_3ELNS0_20block_scan_algorithmE0ELj4294967295EEENS1_25partition_config_selectorILNS1_17partition_subalgoE3EjNS0_10empty_typeEbEEZZNS1_14partition_implILS8_3ELb0ES6_jNS0_17counting_iteratorIjlEEPS9_SE_NS0_5tupleIJPjSE_EEENSF_IJSE_SE_EEES9_SG_JZNS1_25segmented_radix_sort_implINS0_14default_configELb1EPKiPiPKlPlN2at6native12_GLOBAL__N_18offset_tEEE10hipError_tPvRmT1_PNSt15iterator_traitsISY_E10value_typeET2_T3_PNSZ_IS14_E10value_typeET4_jRbjT5_S1A_jjP12ihipStream_tbEUljE_EEESV_SW_SX_S14_S18_S1A_T6_T7_T9_mT8_S1C_bDpT10_ENKUlT_T0_E_clISt17integral_constantIbLb1EES1O_IbLb0EEEEDaS1K_S1L_EUlS1K_E_NS1_11comp_targetILNS1_3genE0ELNS1_11target_archE4294967295ELNS1_3gpuE0ELNS1_3repE0EEENS1_30default_config_static_selectorELNS0_4arch9wavefront6targetE0EEEvSY_
	.p2align	8
	.type	_ZN7rocprim17ROCPRIM_400000_NS6detail17trampoline_kernelINS0_13select_configILj256ELj13ELNS0_17block_load_methodE3ELS4_3ELS4_3ELNS0_20block_scan_algorithmE0ELj4294967295EEENS1_25partition_config_selectorILNS1_17partition_subalgoE3EjNS0_10empty_typeEbEEZZNS1_14partition_implILS8_3ELb0ES6_jNS0_17counting_iteratorIjlEEPS9_SE_NS0_5tupleIJPjSE_EEENSF_IJSE_SE_EEES9_SG_JZNS1_25segmented_radix_sort_implINS0_14default_configELb1EPKiPiPKlPlN2at6native12_GLOBAL__N_18offset_tEEE10hipError_tPvRmT1_PNSt15iterator_traitsISY_E10value_typeET2_T3_PNSZ_IS14_E10value_typeET4_jRbjT5_S1A_jjP12ihipStream_tbEUljE_EEESV_SW_SX_S14_S18_S1A_T6_T7_T9_mT8_S1C_bDpT10_ENKUlT_T0_E_clISt17integral_constantIbLb1EES1O_IbLb0EEEEDaS1K_S1L_EUlS1K_E_NS1_11comp_targetILNS1_3genE0ELNS1_11target_archE4294967295ELNS1_3gpuE0ELNS1_3repE0EEENS1_30default_config_static_selectorELNS0_4arch9wavefront6targetE0EEEvSY_,@function
_ZN7rocprim17ROCPRIM_400000_NS6detail17trampoline_kernelINS0_13select_configILj256ELj13ELNS0_17block_load_methodE3ELS4_3ELS4_3ELNS0_20block_scan_algorithmE0ELj4294967295EEENS1_25partition_config_selectorILNS1_17partition_subalgoE3EjNS0_10empty_typeEbEEZZNS1_14partition_implILS8_3ELb0ES6_jNS0_17counting_iteratorIjlEEPS9_SE_NS0_5tupleIJPjSE_EEENSF_IJSE_SE_EEES9_SG_JZNS1_25segmented_radix_sort_implINS0_14default_configELb1EPKiPiPKlPlN2at6native12_GLOBAL__N_18offset_tEEE10hipError_tPvRmT1_PNSt15iterator_traitsISY_E10value_typeET2_T3_PNSZ_IS14_E10value_typeET4_jRbjT5_S1A_jjP12ihipStream_tbEUljE_EEESV_SW_SX_S14_S18_S1A_T6_T7_T9_mT8_S1C_bDpT10_ENKUlT_T0_E_clISt17integral_constantIbLb1EES1O_IbLb0EEEEDaS1K_S1L_EUlS1K_E_NS1_11comp_targetILNS1_3genE0ELNS1_11target_archE4294967295ELNS1_3gpuE0ELNS1_3repE0EEENS1_30default_config_static_selectorELNS0_4arch9wavefront6targetE0EEEvSY_: ; @_ZN7rocprim17ROCPRIM_400000_NS6detail17trampoline_kernelINS0_13select_configILj256ELj13ELNS0_17block_load_methodE3ELS4_3ELS4_3ELNS0_20block_scan_algorithmE0ELj4294967295EEENS1_25partition_config_selectorILNS1_17partition_subalgoE3EjNS0_10empty_typeEbEEZZNS1_14partition_implILS8_3ELb0ES6_jNS0_17counting_iteratorIjlEEPS9_SE_NS0_5tupleIJPjSE_EEENSF_IJSE_SE_EEES9_SG_JZNS1_25segmented_radix_sort_implINS0_14default_configELb1EPKiPiPKlPlN2at6native12_GLOBAL__N_18offset_tEEE10hipError_tPvRmT1_PNSt15iterator_traitsISY_E10value_typeET2_T3_PNSZ_IS14_E10value_typeET4_jRbjT5_S1A_jjP12ihipStream_tbEUljE_EEESV_SW_SX_S14_S18_S1A_T6_T7_T9_mT8_S1C_bDpT10_ENKUlT_T0_E_clISt17integral_constantIbLb1EES1O_IbLb0EEEEDaS1K_S1L_EUlS1K_E_NS1_11comp_targetILNS1_3genE0ELNS1_11target_archE4294967295ELNS1_3gpuE0ELNS1_3repE0EEENS1_30default_config_static_selectorELNS0_4arch9wavefront6targetE0EEEvSY_
; %bb.0:
	s_endpgm
	.section	.rodata,"a",@progbits
	.p2align	6, 0x0
	.amdhsa_kernel _ZN7rocprim17ROCPRIM_400000_NS6detail17trampoline_kernelINS0_13select_configILj256ELj13ELNS0_17block_load_methodE3ELS4_3ELS4_3ELNS0_20block_scan_algorithmE0ELj4294967295EEENS1_25partition_config_selectorILNS1_17partition_subalgoE3EjNS0_10empty_typeEbEEZZNS1_14partition_implILS8_3ELb0ES6_jNS0_17counting_iteratorIjlEEPS9_SE_NS0_5tupleIJPjSE_EEENSF_IJSE_SE_EEES9_SG_JZNS1_25segmented_radix_sort_implINS0_14default_configELb1EPKiPiPKlPlN2at6native12_GLOBAL__N_18offset_tEEE10hipError_tPvRmT1_PNSt15iterator_traitsISY_E10value_typeET2_T3_PNSZ_IS14_E10value_typeET4_jRbjT5_S1A_jjP12ihipStream_tbEUljE_EEESV_SW_SX_S14_S18_S1A_T6_T7_T9_mT8_S1C_bDpT10_ENKUlT_T0_E_clISt17integral_constantIbLb1EES1O_IbLb0EEEEDaS1K_S1L_EUlS1K_E_NS1_11comp_targetILNS1_3genE0ELNS1_11target_archE4294967295ELNS1_3gpuE0ELNS1_3repE0EEENS1_30default_config_static_selectorELNS0_4arch9wavefront6targetE0EEEvSY_
		.amdhsa_group_segment_fixed_size 0
		.amdhsa_private_segment_fixed_size 0
		.amdhsa_kernarg_size 144
		.amdhsa_user_sgpr_count 2
		.amdhsa_user_sgpr_dispatch_ptr 0
		.amdhsa_user_sgpr_queue_ptr 0
		.amdhsa_user_sgpr_kernarg_segment_ptr 1
		.amdhsa_user_sgpr_dispatch_id 0
		.amdhsa_user_sgpr_kernarg_preload_length 0
		.amdhsa_user_sgpr_kernarg_preload_offset 0
		.amdhsa_user_sgpr_private_segment_size 0
		.amdhsa_wavefront_size32 1
		.amdhsa_uses_dynamic_stack 0
		.amdhsa_enable_private_segment 0
		.amdhsa_system_sgpr_workgroup_id_x 1
		.amdhsa_system_sgpr_workgroup_id_y 0
		.amdhsa_system_sgpr_workgroup_id_z 0
		.amdhsa_system_sgpr_workgroup_info 0
		.amdhsa_system_vgpr_workitem_id 0
		.amdhsa_next_free_vgpr 1
		.amdhsa_next_free_sgpr 1
		.amdhsa_named_barrier_count 0
		.amdhsa_reserve_vcc 0
		.amdhsa_float_round_mode_32 0
		.amdhsa_float_round_mode_16_64 0
		.amdhsa_float_denorm_mode_32 3
		.amdhsa_float_denorm_mode_16_64 3
		.amdhsa_fp16_overflow 0
		.amdhsa_memory_ordered 1
		.amdhsa_forward_progress 1
		.amdhsa_inst_pref_size 1
		.amdhsa_round_robin_scheduling 0
		.amdhsa_exception_fp_ieee_invalid_op 0
		.amdhsa_exception_fp_denorm_src 0
		.amdhsa_exception_fp_ieee_div_zero 0
		.amdhsa_exception_fp_ieee_overflow 0
		.amdhsa_exception_fp_ieee_underflow 0
		.amdhsa_exception_fp_ieee_inexact 0
		.amdhsa_exception_int_div_zero 0
	.end_amdhsa_kernel
	.section	.text._ZN7rocprim17ROCPRIM_400000_NS6detail17trampoline_kernelINS0_13select_configILj256ELj13ELNS0_17block_load_methodE3ELS4_3ELS4_3ELNS0_20block_scan_algorithmE0ELj4294967295EEENS1_25partition_config_selectorILNS1_17partition_subalgoE3EjNS0_10empty_typeEbEEZZNS1_14partition_implILS8_3ELb0ES6_jNS0_17counting_iteratorIjlEEPS9_SE_NS0_5tupleIJPjSE_EEENSF_IJSE_SE_EEES9_SG_JZNS1_25segmented_radix_sort_implINS0_14default_configELb1EPKiPiPKlPlN2at6native12_GLOBAL__N_18offset_tEEE10hipError_tPvRmT1_PNSt15iterator_traitsISY_E10value_typeET2_T3_PNSZ_IS14_E10value_typeET4_jRbjT5_S1A_jjP12ihipStream_tbEUljE_EEESV_SW_SX_S14_S18_S1A_T6_T7_T9_mT8_S1C_bDpT10_ENKUlT_T0_E_clISt17integral_constantIbLb1EES1O_IbLb0EEEEDaS1K_S1L_EUlS1K_E_NS1_11comp_targetILNS1_3genE0ELNS1_11target_archE4294967295ELNS1_3gpuE0ELNS1_3repE0EEENS1_30default_config_static_selectorELNS0_4arch9wavefront6targetE0EEEvSY_,"axG",@progbits,_ZN7rocprim17ROCPRIM_400000_NS6detail17trampoline_kernelINS0_13select_configILj256ELj13ELNS0_17block_load_methodE3ELS4_3ELS4_3ELNS0_20block_scan_algorithmE0ELj4294967295EEENS1_25partition_config_selectorILNS1_17partition_subalgoE3EjNS0_10empty_typeEbEEZZNS1_14partition_implILS8_3ELb0ES6_jNS0_17counting_iteratorIjlEEPS9_SE_NS0_5tupleIJPjSE_EEENSF_IJSE_SE_EEES9_SG_JZNS1_25segmented_radix_sort_implINS0_14default_configELb1EPKiPiPKlPlN2at6native12_GLOBAL__N_18offset_tEEE10hipError_tPvRmT1_PNSt15iterator_traitsISY_E10value_typeET2_T3_PNSZ_IS14_E10value_typeET4_jRbjT5_S1A_jjP12ihipStream_tbEUljE_EEESV_SW_SX_S14_S18_S1A_T6_T7_T9_mT8_S1C_bDpT10_ENKUlT_T0_E_clISt17integral_constantIbLb1EES1O_IbLb0EEEEDaS1K_S1L_EUlS1K_E_NS1_11comp_targetILNS1_3genE0ELNS1_11target_archE4294967295ELNS1_3gpuE0ELNS1_3repE0EEENS1_30default_config_static_selectorELNS0_4arch9wavefront6targetE0EEEvSY_,comdat
.Lfunc_end477:
	.size	_ZN7rocprim17ROCPRIM_400000_NS6detail17trampoline_kernelINS0_13select_configILj256ELj13ELNS0_17block_load_methodE3ELS4_3ELS4_3ELNS0_20block_scan_algorithmE0ELj4294967295EEENS1_25partition_config_selectorILNS1_17partition_subalgoE3EjNS0_10empty_typeEbEEZZNS1_14partition_implILS8_3ELb0ES6_jNS0_17counting_iteratorIjlEEPS9_SE_NS0_5tupleIJPjSE_EEENSF_IJSE_SE_EEES9_SG_JZNS1_25segmented_radix_sort_implINS0_14default_configELb1EPKiPiPKlPlN2at6native12_GLOBAL__N_18offset_tEEE10hipError_tPvRmT1_PNSt15iterator_traitsISY_E10value_typeET2_T3_PNSZ_IS14_E10value_typeET4_jRbjT5_S1A_jjP12ihipStream_tbEUljE_EEESV_SW_SX_S14_S18_S1A_T6_T7_T9_mT8_S1C_bDpT10_ENKUlT_T0_E_clISt17integral_constantIbLb1EES1O_IbLb0EEEEDaS1K_S1L_EUlS1K_E_NS1_11comp_targetILNS1_3genE0ELNS1_11target_archE4294967295ELNS1_3gpuE0ELNS1_3repE0EEENS1_30default_config_static_selectorELNS0_4arch9wavefront6targetE0EEEvSY_, .Lfunc_end477-_ZN7rocprim17ROCPRIM_400000_NS6detail17trampoline_kernelINS0_13select_configILj256ELj13ELNS0_17block_load_methodE3ELS4_3ELS4_3ELNS0_20block_scan_algorithmE0ELj4294967295EEENS1_25partition_config_selectorILNS1_17partition_subalgoE3EjNS0_10empty_typeEbEEZZNS1_14partition_implILS8_3ELb0ES6_jNS0_17counting_iteratorIjlEEPS9_SE_NS0_5tupleIJPjSE_EEENSF_IJSE_SE_EEES9_SG_JZNS1_25segmented_radix_sort_implINS0_14default_configELb1EPKiPiPKlPlN2at6native12_GLOBAL__N_18offset_tEEE10hipError_tPvRmT1_PNSt15iterator_traitsISY_E10value_typeET2_T3_PNSZ_IS14_E10value_typeET4_jRbjT5_S1A_jjP12ihipStream_tbEUljE_EEESV_SW_SX_S14_S18_S1A_T6_T7_T9_mT8_S1C_bDpT10_ENKUlT_T0_E_clISt17integral_constantIbLb1EES1O_IbLb0EEEEDaS1K_S1L_EUlS1K_E_NS1_11comp_targetILNS1_3genE0ELNS1_11target_archE4294967295ELNS1_3gpuE0ELNS1_3repE0EEENS1_30default_config_static_selectorELNS0_4arch9wavefront6targetE0EEEvSY_
                                        ; -- End function
	.set _ZN7rocprim17ROCPRIM_400000_NS6detail17trampoline_kernelINS0_13select_configILj256ELj13ELNS0_17block_load_methodE3ELS4_3ELS4_3ELNS0_20block_scan_algorithmE0ELj4294967295EEENS1_25partition_config_selectorILNS1_17partition_subalgoE3EjNS0_10empty_typeEbEEZZNS1_14partition_implILS8_3ELb0ES6_jNS0_17counting_iteratorIjlEEPS9_SE_NS0_5tupleIJPjSE_EEENSF_IJSE_SE_EEES9_SG_JZNS1_25segmented_radix_sort_implINS0_14default_configELb1EPKiPiPKlPlN2at6native12_GLOBAL__N_18offset_tEEE10hipError_tPvRmT1_PNSt15iterator_traitsISY_E10value_typeET2_T3_PNSZ_IS14_E10value_typeET4_jRbjT5_S1A_jjP12ihipStream_tbEUljE_EEESV_SW_SX_S14_S18_S1A_T6_T7_T9_mT8_S1C_bDpT10_ENKUlT_T0_E_clISt17integral_constantIbLb1EES1O_IbLb0EEEEDaS1K_S1L_EUlS1K_E_NS1_11comp_targetILNS1_3genE0ELNS1_11target_archE4294967295ELNS1_3gpuE0ELNS1_3repE0EEENS1_30default_config_static_selectorELNS0_4arch9wavefront6targetE0EEEvSY_.num_vgpr, 0
	.set _ZN7rocprim17ROCPRIM_400000_NS6detail17trampoline_kernelINS0_13select_configILj256ELj13ELNS0_17block_load_methodE3ELS4_3ELS4_3ELNS0_20block_scan_algorithmE0ELj4294967295EEENS1_25partition_config_selectorILNS1_17partition_subalgoE3EjNS0_10empty_typeEbEEZZNS1_14partition_implILS8_3ELb0ES6_jNS0_17counting_iteratorIjlEEPS9_SE_NS0_5tupleIJPjSE_EEENSF_IJSE_SE_EEES9_SG_JZNS1_25segmented_radix_sort_implINS0_14default_configELb1EPKiPiPKlPlN2at6native12_GLOBAL__N_18offset_tEEE10hipError_tPvRmT1_PNSt15iterator_traitsISY_E10value_typeET2_T3_PNSZ_IS14_E10value_typeET4_jRbjT5_S1A_jjP12ihipStream_tbEUljE_EEESV_SW_SX_S14_S18_S1A_T6_T7_T9_mT8_S1C_bDpT10_ENKUlT_T0_E_clISt17integral_constantIbLb1EES1O_IbLb0EEEEDaS1K_S1L_EUlS1K_E_NS1_11comp_targetILNS1_3genE0ELNS1_11target_archE4294967295ELNS1_3gpuE0ELNS1_3repE0EEENS1_30default_config_static_selectorELNS0_4arch9wavefront6targetE0EEEvSY_.num_agpr, 0
	.set _ZN7rocprim17ROCPRIM_400000_NS6detail17trampoline_kernelINS0_13select_configILj256ELj13ELNS0_17block_load_methodE3ELS4_3ELS4_3ELNS0_20block_scan_algorithmE0ELj4294967295EEENS1_25partition_config_selectorILNS1_17partition_subalgoE3EjNS0_10empty_typeEbEEZZNS1_14partition_implILS8_3ELb0ES6_jNS0_17counting_iteratorIjlEEPS9_SE_NS0_5tupleIJPjSE_EEENSF_IJSE_SE_EEES9_SG_JZNS1_25segmented_radix_sort_implINS0_14default_configELb1EPKiPiPKlPlN2at6native12_GLOBAL__N_18offset_tEEE10hipError_tPvRmT1_PNSt15iterator_traitsISY_E10value_typeET2_T3_PNSZ_IS14_E10value_typeET4_jRbjT5_S1A_jjP12ihipStream_tbEUljE_EEESV_SW_SX_S14_S18_S1A_T6_T7_T9_mT8_S1C_bDpT10_ENKUlT_T0_E_clISt17integral_constantIbLb1EES1O_IbLb0EEEEDaS1K_S1L_EUlS1K_E_NS1_11comp_targetILNS1_3genE0ELNS1_11target_archE4294967295ELNS1_3gpuE0ELNS1_3repE0EEENS1_30default_config_static_selectorELNS0_4arch9wavefront6targetE0EEEvSY_.numbered_sgpr, 0
	.set _ZN7rocprim17ROCPRIM_400000_NS6detail17trampoline_kernelINS0_13select_configILj256ELj13ELNS0_17block_load_methodE3ELS4_3ELS4_3ELNS0_20block_scan_algorithmE0ELj4294967295EEENS1_25partition_config_selectorILNS1_17partition_subalgoE3EjNS0_10empty_typeEbEEZZNS1_14partition_implILS8_3ELb0ES6_jNS0_17counting_iteratorIjlEEPS9_SE_NS0_5tupleIJPjSE_EEENSF_IJSE_SE_EEES9_SG_JZNS1_25segmented_radix_sort_implINS0_14default_configELb1EPKiPiPKlPlN2at6native12_GLOBAL__N_18offset_tEEE10hipError_tPvRmT1_PNSt15iterator_traitsISY_E10value_typeET2_T3_PNSZ_IS14_E10value_typeET4_jRbjT5_S1A_jjP12ihipStream_tbEUljE_EEESV_SW_SX_S14_S18_S1A_T6_T7_T9_mT8_S1C_bDpT10_ENKUlT_T0_E_clISt17integral_constantIbLb1EES1O_IbLb0EEEEDaS1K_S1L_EUlS1K_E_NS1_11comp_targetILNS1_3genE0ELNS1_11target_archE4294967295ELNS1_3gpuE0ELNS1_3repE0EEENS1_30default_config_static_selectorELNS0_4arch9wavefront6targetE0EEEvSY_.num_named_barrier, 0
	.set _ZN7rocprim17ROCPRIM_400000_NS6detail17trampoline_kernelINS0_13select_configILj256ELj13ELNS0_17block_load_methodE3ELS4_3ELS4_3ELNS0_20block_scan_algorithmE0ELj4294967295EEENS1_25partition_config_selectorILNS1_17partition_subalgoE3EjNS0_10empty_typeEbEEZZNS1_14partition_implILS8_3ELb0ES6_jNS0_17counting_iteratorIjlEEPS9_SE_NS0_5tupleIJPjSE_EEENSF_IJSE_SE_EEES9_SG_JZNS1_25segmented_radix_sort_implINS0_14default_configELb1EPKiPiPKlPlN2at6native12_GLOBAL__N_18offset_tEEE10hipError_tPvRmT1_PNSt15iterator_traitsISY_E10value_typeET2_T3_PNSZ_IS14_E10value_typeET4_jRbjT5_S1A_jjP12ihipStream_tbEUljE_EEESV_SW_SX_S14_S18_S1A_T6_T7_T9_mT8_S1C_bDpT10_ENKUlT_T0_E_clISt17integral_constantIbLb1EES1O_IbLb0EEEEDaS1K_S1L_EUlS1K_E_NS1_11comp_targetILNS1_3genE0ELNS1_11target_archE4294967295ELNS1_3gpuE0ELNS1_3repE0EEENS1_30default_config_static_selectorELNS0_4arch9wavefront6targetE0EEEvSY_.private_seg_size, 0
	.set _ZN7rocprim17ROCPRIM_400000_NS6detail17trampoline_kernelINS0_13select_configILj256ELj13ELNS0_17block_load_methodE3ELS4_3ELS4_3ELNS0_20block_scan_algorithmE0ELj4294967295EEENS1_25partition_config_selectorILNS1_17partition_subalgoE3EjNS0_10empty_typeEbEEZZNS1_14partition_implILS8_3ELb0ES6_jNS0_17counting_iteratorIjlEEPS9_SE_NS0_5tupleIJPjSE_EEENSF_IJSE_SE_EEES9_SG_JZNS1_25segmented_radix_sort_implINS0_14default_configELb1EPKiPiPKlPlN2at6native12_GLOBAL__N_18offset_tEEE10hipError_tPvRmT1_PNSt15iterator_traitsISY_E10value_typeET2_T3_PNSZ_IS14_E10value_typeET4_jRbjT5_S1A_jjP12ihipStream_tbEUljE_EEESV_SW_SX_S14_S18_S1A_T6_T7_T9_mT8_S1C_bDpT10_ENKUlT_T0_E_clISt17integral_constantIbLb1EES1O_IbLb0EEEEDaS1K_S1L_EUlS1K_E_NS1_11comp_targetILNS1_3genE0ELNS1_11target_archE4294967295ELNS1_3gpuE0ELNS1_3repE0EEENS1_30default_config_static_selectorELNS0_4arch9wavefront6targetE0EEEvSY_.uses_vcc, 0
	.set _ZN7rocprim17ROCPRIM_400000_NS6detail17trampoline_kernelINS0_13select_configILj256ELj13ELNS0_17block_load_methodE3ELS4_3ELS4_3ELNS0_20block_scan_algorithmE0ELj4294967295EEENS1_25partition_config_selectorILNS1_17partition_subalgoE3EjNS0_10empty_typeEbEEZZNS1_14partition_implILS8_3ELb0ES6_jNS0_17counting_iteratorIjlEEPS9_SE_NS0_5tupleIJPjSE_EEENSF_IJSE_SE_EEES9_SG_JZNS1_25segmented_radix_sort_implINS0_14default_configELb1EPKiPiPKlPlN2at6native12_GLOBAL__N_18offset_tEEE10hipError_tPvRmT1_PNSt15iterator_traitsISY_E10value_typeET2_T3_PNSZ_IS14_E10value_typeET4_jRbjT5_S1A_jjP12ihipStream_tbEUljE_EEESV_SW_SX_S14_S18_S1A_T6_T7_T9_mT8_S1C_bDpT10_ENKUlT_T0_E_clISt17integral_constantIbLb1EES1O_IbLb0EEEEDaS1K_S1L_EUlS1K_E_NS1_11comp_targetILNS1_3genE0ELNS1_11target_archE4294967295ELNS1_3gpuE0ELNS1_3repE0EEENS1_30default_config_static_selectorELNS0_4arch9wavefront6targetE0EEEvSY_.uses_flat_scratch, 0
	.set _ZN7rocprim17ROCPRIM_400000_NS6detail17trampoline_kernelINS0_13select_configILj256ELj13ELNS0_17block_load_methodE3ELS4_3ELS4_3ELNS0_20block_scan_algorithmE0ELj4294967295EEENS1_25partition_config_selectorILNS1_17partition_subalgoE3EjNS0_10empty_typeEbEEZZNS1_14partition_implILS8_3ELb0ES6_jNS0_17counting_iteratorIjlEEPS9_SE_NS0_5tupleIJPjSE_EEENSF_IJSE_SE_EEES9_SG_JZNS1_25segmented_radix_sort_implINS0_14default_configELb1EPKiPiPKlPlN2at6native12_GLOBAL__N_18offset_tEEE10hipError_tPvRmT1_PNSt15iterator_traitsISY_E10value_typeET2_T3_PNSZ_IS14_E10value_typeET4_jRbjT5_S1A_jjP12ihipStream_tbEUljE_EEESV_SW_SX_S14_S18_S1A_T6_T7_T9_mT8_S1C_bDpT10_ENKUlT_T0_E_clISt17integral_constantIbLb1EES1O_IbLb0EEEEDaS1K_S1L_EUlS1K_E_NS1_11comp_targetILNS1_3genE0ELNS1_11target_archE4294967295ELNS1_3gpuE0ELNS1_3repE0EEENS1_30default_config_static_selectorELNS0_4arch9wavefront6targetE0EEEvSY_.has_dyn_sized_stack, 0
	.set _ZN7rocprim17ROCPRIM_400000_NS6detail17trampoline_kernelINS0_13select_configILj256ELj13ELNS0_17block_load_methodE3ELS4_3ELS4_3ELNS0_20block_scan_algorithmE0ELj4294967295EEENS1_25partition_config_selectorILNS1_17partition_subalgoE3EjNS0_10empty_typeEbEEZZNS1_14partition_implILS8_3ELb0ES6_jNS0_17counting_iteratorIjlEEPS9_SE_NS0_5tupleIJPjSE_EEENSF_IJSE_SE_EEES9_SG_JZNS1_25segmented_radix_sort_implINS0_14default_configELb1EPKiPiPKlPlN2at6native12_GLOBAL__N_18offset_tEEE10hipError_tPvRmT1_PNSt15iterator_traitsISY_E10value_typeET2_T3_PNSZ_IS14_E10value_typeET4_jRbjT5_S1A_jjP12ihipStream_tbEUljE_EEESV_SW_SX_S14_S18_S1A_T6_T7_T9_mT8_S1C_bDpT10_ENKUlT_T0_E_clISt17integral_constantIbLb1EES1O_IbLb0EEEEDaS1K_S1L_EUlS1K_E_NS1_11comp_targetILNS1_3genE0ELNS1_11target_archE4294967295ELNS1_3gpuE0ELNS1_3repE0EEENS1_30default_config_static_selectorELNS0_4arch9wavefront6targetE0EEEvSY_.has_recursion, 0
	.set _ZN7rocprim17ROCPRIM_400000_NS6detail17trampoline_kernelINS0_13select_configILj256ELj13ELNS0_17block_load_methodE3ELS4_3ELS4_3ELNS0_20block_scan_algorithmE0ELj4294967295EEENS1_25partition_config_selectorILNS1_17partition_subalgoE3EjNS0_10empty_typeEbEEZZNS1_14partition_implILS8_3ELb0ES6_jNS0_17counting_iteratorIjlEEPS9_SE_NS0_5tupleIJPjSE_EEENSF_IJSE_SE_EEES9_SG_JZNS1_25segmented_radix_sort_implINS0_14default_configELb1EPKiPiPKlPlN2at6native12_GLOBAL__N_18offset_tEEE10hipError_tPvRmT1_PNSt15iterator_traitsISY_E10value_typeET2_T3_PNSZ_IS14_E10value_typeET4_jRbjT5_S1A_jjP12ihipStream_tbEUljE_EEESV_SW_SX_S14_S18_S1A_T6_T7_T9_mT8_S1C_bDpT10_ENKUlT_T0_E_clISt17integral_constantIbLb1EES1O_IbLb0EEEEDaS1K_S1L_EUlS1K_E_NS1_11comp_targetILNS1_3genE0ELNS1_11target_archE4294967295ELNS1_3gpuE0ELNS1_3repE0EEENS1_30default_config_static_selectorELNS0_4arch9wavefront6targetE0EEEvSY_.has_indirect_call, 0
	.section	.AMDGPU.csdata,"",@progbits
; Kernel info:
; codeLenInByte = 4
; TotalNumSgprs: 0
; NumVgprs: 0
; ScratchSize: 0
; MemoryBound: 0
; FloatMode: 240
; IeeeMode: 1
; LDSByteSize: 0 bytes/workgroup (compile time only)
; SGPRBlocks: 0
; VGPRBlocks: 0
; NumSGPRsForWavesPerEU: 1
; NumVGPRsForWavesPerEU: 1
; NamedBarCnt: 0
; Occupancy: 16
; WaveLimiterHint : 0
; COMPUTE_PGM_RSRC2:SCRATCH_EN: 0
; COMPUTE_PGM_RSRC2:USER_SGPR: 2
; COMPUTE_PGM_RSRC2:TRAP_HANDLER: 0
; COMPUTE_PGM_RSRC2:TGID_X_EN: 1
; COMPUTE_PGM_RSRC2:TGID_Y_EN: 0
; COMPUTE_PGM_RSRC2:TGID_Z_EN: 0
; COMPUTE_PGM_RSRC2:TIDIG_COMP_CNT: 0
	.section	.text._ZN7rocprim17ROCPRIM_400000_NS6detail17trampoline_kernelINS0_13select_configILj256ELj13ELNS0_17block_load_methodE3ELS4_3ELS4_3ELNS0_20block_scan_algorithmE0ELj4294967295EEENS1_25partition_config_selectorILNS1_17partition_subalgoE3EjNS0_10empty_typeEbEEZZNS1_14partition_implILS8_3ELb0ES6_jNS0_17counting_iteratorIjlEEPS9_SE_NS0_5tupleIJPjSE_EEENSF_IJSE_SE_EEES9_SG_JZNS1_25segmented_radix_sort_implINS0_14default_configELb1EPKiPiPKlPlN2at6native12_GLOBAL__N_18offset_tEEE10hipError_tPvRmT1_PNSt15iterator_traitsISY_E10value_typeET2_T3_PNSZ_IS14_E10value_typeET4_jRbjT5_S1A_jjP12ihipStream_tbEUljE_EEESV_SW_SX_S14_S18_S1A_T6_T7_T9_mT8_S1C_bDpT10_ENKUlT_T0_E_clISt17integral_constantIbLb1EES1O_IbLb0EEEEDaS1K_S1L_EUlS1K_E_NS1_11comp_targetILNS1_3genE5ELNS1_11target_archE942ELNS1_3gpuE9ELNS1_3repE0EEENS1_30default_config_static_selectorELNS0_4arch9wavefront6targetE0EEEvSY_,"axG",@progbits,_ZN7rocprim17ROCPRIM_400000_NS6detail17trampoline_kernelINS0_13select_configILj256ELj13ELNS0_17block_load_methodE3ELS4_3ELS4_3ELNS0_20block_scan_algorithmE0ELj4294967295EEENS1_25partition_config_selectorILNS1_17partition_subalgoE3EjNS0_10empty_typeEbEEZZNS1_14partition_implILS8_3ELb0ES6_jNS0_17counting_iteratorIjlEEPS9_SE_NS0_5tupleIJPjSE_EEENSF_IJSE_SE_EEES9_SG_JZNS1_25segmented_radix_sort_implINS0_14default_configELb1EPKiPiPKlPlN2at6native12_GLOBAL__N_18offset_tEEE10hipError_tPvRmT1_PNSt15iterator_traitsISY_E10value_typeET2_T3_PNSZ_IS14_E10value_typeET4_jRbjT5_S1A_jjP12ihipStream_tbEUljE_EEESV_SW_SX_S14_S18_S1A_T6_T7_T9_mT8_S1C_bDpT10_ENKUlT_T0_E_clISt17integral_constantIbLb1EES1O_IbLb0EEEEDaS1K_S1L_EUlS1K_E_NS1_11comp_targetILNS1_3genE5ELNS1_11target_archE942ELNS1_3gpuE9ELNS1_3repE0EEENS1_30default_config_static_selectorELNS0_4arch9wavefront6targetE0EEEvSY_,comdat
	.globl	_ZN7rocprim17ROCPRIM_400000_NS6detail17trampoline_kernelINS0_13select_configILj256ELj13ELNS0_17block_load_methodE3ELS4_3ELS4_3ELNS0_20block_scan_algorithmE0ELj4294967295EEENS1_25partition_config_selectorILNS1_17partition_subalgoE3EjNS0_10empty_typeEbEEZZNS1_14partition_implILS8_3ELb0ES6_jNS0_17counting_iteratorIjlEEPS9_SE_NS0_5tupleIJPjSE_EEENSF_IJSE_SE_EEES9_SG_JZNS1_25segmented_radix_sort_implINS0_14default_configELb1EPKiPiPKlPlN2at6native12_GLOBAL__N_18offset_tEEE10hipError_tPvRmT1_PNSt15iterator_traitsISY_E10value_typeET2_T3_PNSZ_IS14_E10value_typeET4_jRbjT5_S1A_jjP12ihipStream_tbEUljE_EEESV_SW_SX_S14_S18_S1A_T6_T7_T9_mT8_S1C_bDpT10_ENKUlT_T0_E_clISt17integral_constantIbLb1EES1O_IbLb0EEEEDaS1K_S1L_EUlS1K_E_NS1_11comp_targetILNS1_3genE5ELNS1_11target_archE942ELNS1_3gpuE9ELNS1_3repE0EEENS1_30default_config_static_selectorELNS0_4arch9wavefront6targetE0EEEvSY_ ; -- Begin function _ZN7rocprim17ROCPRIM_400000_NS6detail17trampoline_kernelINS0_13select_configILj256ELj13ELNS0_17block_load_methodE3ELS4_3ELS4_3ELNS0_20block_scan_algorithmE0ELj4294967295EEENS1_25partition_config_selectorILNS1_17partition_subalgoE3EjNS0_10empty_typeEbEEZZNS1_14partition_implILS8_3ELb0ES6_jNS0_17counting_iteratorIjlEEPS9_SE_NS0_5tupleIJPjSE_EEENSF_IJSE_SE_EEES9_SG_JZNS1_25segmented_radix_sort_implINS0_14default_configELb1EPKiPiPKlPlN2at6native12_GLOBAL__N_18offset_tEEE10hipError_tPvRmT1_PNSt15iterator_traitsISY_E10value_typeET2_T3_PNSZ_IS14_E10value_typeET4_jRbjT5_S1A_jjP12ihipStream_tbEUljE_EEESV_SW_SX_S14_S18_S1A_T6_T7_T9_mT8_S1C_bDpT10_ENKUlT_T0_E_clISt17integral_constantIbLb1EES1O_IbLb0EEEEDaS1K_S1L_EUlS1K_E_NS1_11comp_targetILNS1_3genE5ELNS1_11target_archE942ELNS1_3gpuE9ELNS1_3repE0EEENS1_30default_config_static_selectorELNS0_4arch9wavefront6targetE0EEEvSY_
	.p2align	8
	.type	_ZN7rocprim17ROCPRIM_400000_NS6detail17trampoline_kernelINS0_13select_configILj256ELj13ELNS0_17block_load_methodE3ELS4_3ELS4_3ELNS0_20block_scan_algorithmE0ELj4294967295EEENS1_25partition_config_selectorILNS1_17partition_subalgoE3EjNS0_10empty_typeEbEEZZNS1_14partition_implILS8_3ELb0ES6_jNS0_17counting_iteratorIjlEEPS9_SE_NS0_5tupleIJPjSE_EEENSF_IJSE_SE_EEES9_SG_JZNS1_25segmented_radix_sort_implINS0_14default_configELb1EPKiPiPKlPlN2at6native12_GLOBAL__N_18offset_tEEE10hipError_tPvRmT1_PNSt15iterator_traitsISY_E10value_typeET2_T3_PNSZ_IS14_E10value_typeET4_jRbjT5_S1A_jjP12ihipStream_tbEUljE_EEESV_SW_SX_S14_S18_S1A_T6_T7_T9_mT8_S1C_bDpT10_ENKUlT_T0_E_clISt17integral_constantIbLb1EES1O_IbLb0EEEEDaS1K_S1L_EUlS1K_E_NS1_11comp_targetILNS1_3genE5ELNS1_11target_archE942ELNS1_3gpuE9ELNS1_3repE0EEENS1_30default_config_static_selectorELNS0_4arch9wavefront6targetE0EEEvSY_,@function
_ZN7rocprim17ROCPRIM_400000_NS6detail17trampoline_kernelINS0_13select_configILj256ELj13ELNS0_17block_load_methodE3ELS4_3ELS4_3ELNS0_20block_scan_algorithmE0ELj4294967295EEENS1_25partition_config_selectorILNS1_17partition_subalgoE3EjNS0_10empty_typeEbEEZZNS1_14partition_implILS8_3ELb0ES6_jNS0_17counting_iteratorIjlEEPS9_SE_NS0_5tupleIJPjSE_EEENSF_IJSE_SE_EEES9_SG_JZNS1_25segmented_radix_sort_implINS0_14default_configELb1EPKiPiPKlPlN2at6native12_GLOBAL__N_18offset_tEEE10hipError_tPvRmT1_PNSt15iterator_traitsISY_E10value_typeET2_T3_PNSZ_IS14_E10value_typeET4_jRbjT5_S1A_jjP12ihipStream_tbEUljE_EEESV_SW_SX_S14_S18_S1A_T6_T7_T9_mT8_S1C_bDpT10_ENKUlT_T0_E_clISt17integral_constantIbLb1EES1O_IbLb0EEEEDaS1K_S1L_EUlS1K_E_NS1_11comp_targetILNS1_3genE5ELNS1_11target_archE942ELNS1_3gpuE9ELNS1_3repE0EEENS1_30default_config_static_selectorELNS0_4arch9wavefront6targetE0EEEvSY_: ; @_ZN7rocprim17ROCPRIM_400000_NS6detail17trampoline_kernelINS0_13select_configILj256ELj13ELNS0_17block_load_methodE3ELS4_3ELS4_3ELNS0_20block_scan_algorithmE0ELj4294967295EEENS1_25partition_config_selectorILNS1_17partition_subalgoE3EjNS0_10empty_typeEbEEZZNS1_14partition_implILS8_3ELb0ES6_jNS0_17counting_iteratorIjlEEPS9_SE_NS0_5tupleIJPjSE_EEENSF_IJSE_SE_EEES9_SG_JZNS1_25segmented_radix_sort_implINS0_14default_configELb1EPKiPiPKlPlN2at6native12_GLOBAL__N_18offset_tEEE10hipError_tPvRmT1_PNSt15iterator_traitsISY_E10value_typeET2_T3_PNSZ_IS14_E10value_typeET4_jRbjT5_S1A_jjP12ihipStream_tbEUljE_EEESV_SW_SX_S14_S18_S1A_T6_T7_T9_mT8_S1C_bDpT10_ENKUlT_T0_E_clISt17integral_constantIbLb1EES1O_IbLb0EEEEDaS1K_S1L_EUlS1K_E_NS1_11comp_targetILNS1_3genE5ELNS1_11target_archE942ELNS1_3gpuE9ELNS1_3repE0EEENS1_30default_config_static_selectorELNS0_4arch9wavefront6targetE0EEEvSY_
; %bb.0:
	.section	.rodata,"a",@progbits
	.p2align	6, 0x0
	.amdhsa_kernel _ZN7rocprim17ROCPRIM_400000_NS6detail17trampoline_kernelINS0_13select_configILj256ELj13ELNS0_17block_load_methodE3ELS4_3ELS4_3ELNS0_20block_scan_algorithmE0ELj4294967295EEENS1_25partition_config_selectorILNS1_17partition_subalgoE3EjNS0_10empty_typeEbEEZZNS1_14partition_implILS8_3ELb0ES6_jNS0_17counting_iteratorIjlEEPS9_SE_NS0_5tupleIJPjSE_EEENSF_IJSE_SE_EEES9_SG_JZNS1_25segmented_radix_sort_implINS0_14default_configELb1EPKiPiPKlPlN2at6native12_GLOBAL__N_18offset_tEEE10hipError_tPvRmT1_PNSt15iterator_traitsISY_E10value_typeET2_T3_PNSZ_IS14_E10value_typeET4_jRbjT5_S1A_jjP12ihipStream_tbEUljE_EEESV_SW_SX_S14_S18_S1A_T6_T7_T9_mT8_S1C_bDpT10_ENKUlT_T0_E_clISt17integral_constantIbLb1EES1O_IbLb0EEEEDaS1K_S1L_EUlS1K_E_NS1_11comp_targetILNS1_3genE5ELNS1_11target_archE942ELNS1_3gpuE9ELNS1_3repE0EEENS1_30default_config_static_selectorELNS0_4arch9wavefront6targetE0EEEvSY_
		.amdhsa_group_segment_fixed_size 0
		.amdhsa_private_segment_fixed_size 0
		.amdhsa_kernarg_size 144
		.amdhsa_user_sgpr_count 2
		.amdhsa_user_sgpr_dispatch_ptr 0
		.amdhsa_user_sgpr_queue_ptr 0
		.amdhsa_user_sgpr_kernarg_segment_ptr 1
		.amdhsa_user_sgpr_dispatch_id 0
		.amdhsa_user_sgpr_kernarg_preload_length 0
		.amdhsa_user_sgpr_kernarg_preload_offset 0
		.amdhsa_user_sgpr_private_segment_size 0
		.amdhsa_wavefront_size32 1
		.amdhsa_uses_dynamic_stack 0
		.amdhsa_enable_private_segment 0
		.amdhsa_system_sgpr_workgroup_id_x 1
		.amdhsa_system_sgpr_workgroup_id_y 0
		.amdhsa_system_sgpr_workgroup_id_z 0
		.amdhsa_system_sgpr_workgroup_info 0
		.amdhsa_system_vgpr_workitem_id 0
		.amdhsa_next_free_vgpr 1
		.amdhsa_next_free_sgpr 1
		.amdhsa_named_barrier_count 0
		.amdhsa_reserve_vcc 0
		.amdhsa_float_round_mode_32 0
		.amdhsa_float_round_mode_16_64 0
		.amdhsa_float_denorm_mode_32 3
		.amdhsa_float_denorm_mode_16_64 3
		.amdhsa_fp16_overflow 0
		.amdhsa_memory_ordered 1
		.amdhsa_forward_progress 1
		.amdhsa_inst_pref_size 0
		.amdhsa_round_robin_scheduling 0
		.amdhsa_exception_fp_ieee_invalid_op 0
		.amdhsa_exception_fp_denorm_src 0
		.amdhsa_exception_fp_ieee_div_zero 0
		.amdhsa_exception_fp_ieee_overflow 0
		.amdhsa_exception_fp_ieee_underflow 0
		.amdhsa_exception_fp_ieee_inexact 0
		.amdhsa_exception_int_div_zero 0
	.end_amdhsa_kernel
	.section	.text._ZN7rocprim17ROCPRIM_400000_NS6detail17trampoline_kernelINS0_13select_configILj256ELj13ELNS0_17block_load_methodE3ELS4_3ELS4_3ELNS0_20block_scan_algorithmE0ELj4294967295EEENS1_25partition_config_selectorILNS1_17partition_subalgoE3EjNS0_10empty_typeEbEEZZNS1_14partition_implILS8_3ELb0ES6_jNS0_17counting_iteratorIjlEEPS9_SE_NS0_5tupleIJPjSE_EEENSF_IJSE_SE_EEES9_SG_JZNS1_25segmented_radix_sort_implINS0_14default_configELb1EPKiPiPKlPlN2at6native12_GLOBAL__N_18offset_tEEE10hipError_tPvRmT1_PNSt15iterator_traitsISY_E10value_typeET2_T3_PNSZ_IS14_E10value_typeET4_jRbjT5_S1A_jjP12ihipStream_tbEUljE_EEESV_SW_SX_S14_S18_S1A_T6_T7_T9_mT8_S1C_bDpT10_ENKUlT_T0_E_clISt17integral_constantIbLb1EES1O_IbLb0EEEEDaS1K_S1L_EUlS1K_E_NS1_11comp_targetILNS1_3genE5ELNS1_11target_archE942ELNS1_3gpuE9ELNS1_3repE0EEENS1_30default_config_static_selectorELNS0_4arch9wavefront6targetE0EEEvSY_,"axG",@progbits,_ZN7rocprim17ROCPRIM_400000_NS6detail17trampoline_kernelINS0_13select_configILj256ELj13ELNS0_17block_load_methodE3ELS4_3ELS4_3ELNS0_20block_scan_algorithmE0ELj4294967295EEENS1_25partition_config_selectorILNS1_17partition_subalgoE3EjNS0_10empty_typeEbEEZZNS1_14partition_implILS8_3ELb0ES6_jNS0_17counting_iteratorIjlEEPS9_SE_NS0_5tupleIJPjSE_EEENSF_IJSE_SE_EEES9_SG_JZNS1_25segmented_radix_sort_implINS0_14default_configELb1EPKiPiPKlPlN2at6native12_GLOBAL__N_18offset_tEEE10hipError_tPvRmT1_PNSt15iterator_traitsISY_E10value_typeET2_T3_PNSZ_IS14_E10value_typeET4_jRbjT5_S1A_jjP12ihipStream_tbEUljE_EEESV_SW_SX_S14_S18_S1A_T6_T7_T9_mT8_S1C_bDpT10_ENKUlT_T0_E_clISt17integral_constantIbLb1EES1O_IbLb0EEEEDaS1K_S1L_EUlS1K_E_NS1_11comp_targetILNS1_3genE5ELNS1_11target_archE942ELNS1_3gpuE9ELNS1_3repE0EEENS1_30default_config_static_selectorELNS0_4arch9wavefront6targetE0EEEvSY_,comdat
.Lfunc_end478:
	.size	_ZN7rocprim17ROCPRIM_400000_NS6detail17trampoline_kernelINS0_13select_configILj256ELj13ELNS0_17block_load_methodE3ELS4_3ELS4_3ELNS0_20block_scan_algorithmE0ELj4294967295EEENS1_25partition_config_selectorILNS1_17partition_subalgoE3EjNS0_10empty_typeEbEEZZNS1_14partition_implILS8_3ELb0ES6_jNS0_17counting_iteratorIjlEEPS9_SE_NS0_5tupleIJPjSE_EEENSF_IJSE_SE_EEES9_SG_JZNS1_25segmented_radix_sort_implINS0_14default_configELb1EPKiPiPKlPlN2at6native12_GLOBAL__N_18offset_tEEE10hipError_tPvRmT1_PNSt15iterator_traitsISY_E10value_typeET2_T3_PNSZ_IS14_E10value_typeET4_jRbjT5_S1A_jjP12ihipStream_tbEUljE_EEESV_SW_SX_S14_S18_S1A_T6_T7_T9_mT8_S1C_bDpT10_ENKUlT_T0_E_clISt17integral_constantIbLb1EES1O_IbLb0EEEEDaS1K_S1L_EUlS1K_E_NS1_11comp_targetILNS1_3genE5ELNS1_11target_archE942ELNS1_3gpuE9ELNS1_3repE0EEENS1_30default_config_static_selectorELNS0_4arch9wavefront6targetE0EEEvSY_, .Lfunc_end478-_ZN7rocprim17ROCPRIM_400000_NS6detail17trampoline_kernelINS0_13select_configILj256ELj13ELNS0_17block_load_methodE3ELS4_3ELS4_3ELNS0_20block_scan_algorithmE0ELj4294967295EEENS1_25partition_config_selectorILNS1_17partition_subalgoE3EjNS0_10empty_typeEbEEZZNS1_14partition_implILS8_3ELb0ES6_jNS0_17counting_iteratorIjlEEPS9_SE_NS0_5tupleIJPjSE_EEENSF_IJSE_SE_EEES9_SG_JZNS1_25segmented_radix_sort_implINS0_14default_configELb1EPKiPiPKlPlN2at6native12_GLOBAL__N_18offset_tEEE10hipError_tPvRmT1_PNSt15iterator_traitsISY_E10value_typeET2_T3_PNSZ_IS14_E10value_typeET4_jRbjT5_S1A_jjP12ihipStream_tbEUljE_EEESV_SW_SX_S14_S18_S1A_T6_T7_T9_mT8_S1C_bDpT10_ENKUlT_T0_E_clISt17integral_constantIbLb1EES1O_IbLb0EEEEDaS1K_S1L_EUlS1K_E_NS1_11comp_targetILNS1_3genE5ELNS1_11target_archE942ELNS1_3gpuE9ELNS1_3repE0EEENS1_30default_config_static_selectorELNS0_4arch9wavefront6targetE0EEEvSY_
                                        ; -- End function
	.set _ZN7rocprim17ROCPRIM_400000_NS6detail17trampoline_kernelINS0_13select_configILj256ELj13ELNS0_17block_load_methodE3ELS4_3ELS4_3ELNS0_20block_scan_algorithmE0ELj4294967295EEENS1_25partition_config_selectorILNS1_17partition_subalgoE3EjNS0_10empty_typeEbEEZZNS1_14partition_implILS8_3ELb0ES6_jNS0_17counting_iteratorIjlEEPS9_SE_NS0_5tupleIJPjSE_EEENSF_IJSE_SE_EEES9_SG_JZNS1_25segmented_radix_sort_implINS0_14default_configELb1EPKiPiPKlPlN2at6native12_GLOBAL__N_18offset_tEEE10hipError_tPvRmT1_PNSt15iterator_traitsISY_E10value_typeET2_T3_PNSZ_IS14_E10value_typeET4_jRbjT5_S1A_jjP12ihipStream_tbEUljE_EEESV_SW_SX_S14_S18_S1A_T6_T7_T9_mT8_S1C_bDpT10_ENKUlT_T0_E_clISt17integral_constantIbLb1EES1O_IbLb0EEEEDaS1K_S1L_EUlS1K_E_NS1_11comp_targetILNS1_3genE5ELNS1_11target_archE942ELNS1_3gpuE9ELNS1_3repE0EEENS1_30default_config_static_selectorELNS0_4arch9wavefront6targetE0EEEvSY_.num_vgpr, 0
	.set _ZN7rocprim17ROCPRIM_400000_NS6detail17trampoline_kernelINS0_13select_configILj256ELj13ELNS0_17block_load_methodE3ELS4_3ELS4_3ELNS0_20block_scan_algorithmE0ELj4294967295EEENS1_25partition_config_selectorILNS1_17partition_subalgoE3EjNS0_10empty_typeEbEEZZNS1_14partition_implILS8_3ELb0ES6_jNS0_17counting_iteratorIjlEEPS9_SE_NS0_5tupleIJPjSE_EEENSF_IJSE_SE_EEES9_SG_JZNS1_25segmented_radix_sort_implINS0_14default_configELb1EPKiPiPKlPlN2at6native12_GLOBAL__N_18offset_tEEE10hipError_tPvRmT1_PNSt15iterator_traitsISY_E10value_typeET2_T3_PNSZ_IS14_E10value_typeET4_jRbjT5_S1A_jjP12ihipStream_tbEUljE_EEESV_SW_SX_S14_S18_S1A_T6_T7_T9_mT8_S1C_bDpT10_ENKUlT_T0_E_clISt17integral_constantIbLb1EES1O_IbLb0EEEEDaS1K_S1L_EUlS1K_E_NS1_11comp_targetILNS1_3genE5ELNS1_11target_archE942ELNS1_3gpuE9ELNS1_3repE0EEENS1_30default_config_static_selectorELNS0_4arch9wavefront6targetE0EEEvSY_.num_agpr, 0
	.set _ZN7rocprim17ROCPRIM_400000_NS6detail17trampoline_kernelINS0_13select_configILj256ELj13ELNS0_17block_load_methodE3ELS4_3ELS4_3ELNS0_20block_scan_algorithmE0ELj4294967295EEENS1_25partition_config_selectorILNS1_17partition_subalgoE3EjNS0_10empty_typeEbEEZZNS1_14partition_implILS8_3ELb0ES6_jNS0_17counting_iteratorIjlEEPS9_SE_NS0_5tupleIJPjSE_EEENSF_IJSE_SE_EEES9_SG_JZNS1_25segmented_radix_sort_implINS0_14default_configELb1EPKiPiPKlPlN2at6native12_GLOBAL__N_18offset_tEEE10hipError_tPvRmT1_PNSt15iterator_traitsISY_E10value_typeET2_T3_PNSZ_IS14_E10value_typeET4_jRbjT5_S1A_jjP12ihipStream_tbEUljE_EEESV_SW_SX_S14_S18_S1A_T6_T7_T9_mT8_S1C_bDpT10_ENKUlT_T0_E_clISt17integral_constantIbLb1EES1O_IbLb0EEEEDaS1K_S1L_EUlS1K_E_NS1_11comp_targetILNS1_3genE5ELNS1_11target_archE942ELNS1_3gpuE9ELNS1_3repE0EEENS1_30default_config_static_selectorELNS0_4arch9wavefront6targetE0EEEvSY_.numbered_sgpr, 0
	.set _ZN7rocprim17ROCPRIM_400000_NS6detail17trampoline_kernelINS0_13select_configILj256ELj13ELNS0_17block_load_methodE3ELS4_3ELS4_3ELNS0_20block_scan_algorithmE0ELj4294967295EEENS1_25partition_config_selectorILNS1_17partition_subalgoE3EjNS0_10empty_typeEbEEZZNS1_14partition_implILS8_3ELb0ES6_jNS0_17counting_iteratorIjlEEPS9_SE_NS0_5tupleIJPjSE_EEENSF_IJSE_SE_EEES9_SG_JZNS1_25segmented_radix_sort_implINS0_14default_configELb1EPKiPiPKlPlN2at6native12_GLOBAL__N_18offset_tEEE10hipError_tPvRmT1_PNSt15iterator_traitsISY_E10value_typeET2_T3_PNSZ_IS14_E10value_typeET4_jRbjT5_S1A_jjP12ihipStream_tbEUljE_EEESV_SW_SX_S14_S18_S1A_T6_T7_T9_mT8_S1C_bDpT10_ENKUlT_T0_E_clISt17integral_constantIbLb1EES1O_IbLb0EEEEDaS1K_S1L_EUlS1K_E_NS1_11comp_targetILNS1_3genE5ELNS1_11target_archE942ELNS1_3gpuE9ELNS1_3repE0EEENS1_30default_config_static_selectorELNS0_4arch9wavefront6targetE0EEEvSY_.num_named_barrier, 0
	.set _ZN7rocprim17ROCPRIM_400000_NS6detail17trampoline_kernelINS0_13select_configILj256ELj13ELNS0_17block_load_methodE3ELS4_3ELS4_3ELNS0_20block_scan_algorithmE0ELj4294967295EEENS1_25partition_config_selectorILNS1_17partition_subalgoE3EjNS0_10empty_typeEbEEZZNS1_14partition_implILS8_3ELb0ES6_jNS0_17counting_iteratorIjlEEPS9_SE_NS0_5tupleIJPjSE_EEENSF_IJSE_SE_EEES9_SG_JZNS1_25segmented_radix_sort_implINS0_14default_configELb1EPKiPiPKlPlN2at6native12_GLOBAL__N_18offset_tEEE10hipError_tPvRmT1_PNSt15iterator_traitsISY_E10value_typeET2_T3_PNSZ_IS14_E10value_typeET4_jRbjT5_S1A_jjP12ihipStream_tbEUljE_EEESV_SW_SX_S14_S18_S1A_T6_T7_T9_mT8_S1C_bDpT10_ENKUlT_T0_E_clISt17integral_constantIbLb1EES1O_IbLb0EEEEDaS1K_S1L_EUlS1K_E_NS1_11comp_targetILNS1_3genE5ELNS1_11target_archE942ELNS1_3gpuE9ELNS1_3repE0EEENS1_30default_config_static_selectorELNS0_4arch9wavefront6targetE0EEEvSY_.private_seg_size, 0
	.set _ZN7rocprim17ROCPRIM_400000_NS6detail17trampoline_kernelINS0_13select_configILj256ELj13ELNS0_17block_load_methodE3ELS4_3ELS4_3ELNS0_20block_scan_algorithmE0ELj4294967295EEENS1_25partition_config_selectorILNS1_17partition_subalgoE3EjNS0_10empty_typeEbEEZZNS1_14partition_implILS8_3ELb0ES6_jNS0_17counting_iteratorIjlEEPS9_SE_NS0_5tupleIJPjSE_EEENSF_IJSE_SE_EEES9_SG_JZNS1_25segmented_radix_sort_implINS0_14default_configELb1EPKiPiPKlPlN2at6native12_GLOBAL__N_18offset_tEEE10hipError_tPvRmT1_PNSt15iterator_traitsISY_E10value_typeET2_T3_PNSZ_IS14_E10value_typeET4_jRbjT5_S1A_jjP12ihipStream_tbEUljE_EEESV_SW_SX_S14_S18_S1A_T6_T7_T9_mT8_S1C_bDpT10_ENKUlT_T0_E_clISt17integral_constantIbLb1EES1O_IbLb0EEEEDaS1K_S1L_EUlS1K_E_NS1_11comp_targetILNS1_3genE5ELNS1_11target_archE942ELNS1_3gpuE9ELNS1_3repE0EEENS1_30default_config_static_selectorELNS0_4arch9wavefront6targetE0EEEvSY_.uses_vcc, 0
	.set _ZN7rocprim17ROCPRIM_400000_NS6detail17trampoline_kernelINS0_13select_configILj256ELj13ELNS0_17block_load_methodE3ELS4_3ELS4_3ELNS0_20block_scan_algorithmE0ELj4294967295EEENS1_25partition_config_selectorILNS1_17partition_subalgoE3EjNS0_10empty_typeEbEEZZNS1_14partition_implILS8_3ELb0ES6_jNS0_17counting_iteratorIjlEEPS9_SE_NS0_5tupleIJPjSE_EEENSF_IJSE_SE_EEES9_SG_JZNS1_25segmented_radix_sort_implINS0_14default_configELb1EPKiPiPKlPlN2at6native12_GLOBAL__N_18offset_tEEE10hipError_tPvRmT1_PNSt15iterator_traitsISY_E10value_typeET2_T3_PNSZ_IS14_E10value_typeET4_jRbjT5_S1A_jjP12ihipStream_tbEUljE_EEESV_SW_SX_S14_S18_S1A_T6_T7_T9_mT8_S1C_bDpT10_ENKUlT_T0_E_clISt17integral_constantIbLb1EES1O_IbLb0EEEEDaS1K_S1L_EUlS1K_E_NS1_11comp_targetILNS1_3genE5ELNS1_11target_archE942ELNS1_3gpuE9ELNS1_3repE0EEENS1_30default_config_static_selectorELNS0_4arch9wavefront6targetE0EEEvSY_.uses_flat_scratch, 0
	.set _ZN7rocprim17ROCPRIM_400000_NS6detail17trampoline_kernelINS0_13select_configILj256ELj13ELNS0_17block_load_methodE3ELS4_3ELS4_3ELNS0_20block_scan_algorithmE0ELj4294967295EEENS1_25partition_config_selectorILNS1_17partition_subalgoE3EjNS0_10empty_typeEbEEZZNS1_14partition_implILS8_3ELb0ES6_jNS0_17counting_iteratorIjlEEPS9_SE_NS0_5tupleIJPjSE_EEENSF_IJSE_SE_EEES9_SG_JZNS1_25segmented_radix_sort_implINS0_14default_configELb1EPKiPiPKlPlN2at6native12_GLOBAL__N_18offset_tEEE10hipError_tPvRmT1_PNSt15iterator_traitsISY_E10value_typeET2_T3_PNSZ_IS14_E10value_typeET4_jRbjT5_S1A_jjP12ihipStream_tbEUljE_EEESV_SW_SX_S14_S18_S1A_T6_T7_T9_mT8_S1C_bDpT10_ENKUlT_T0_E_clISt17integral_constantIbLb1EES1O_IbLb0EEEEDaS1K_S1L_EUlS1K_E_NS1_11comp_targetILNS1_3genE5ELNS1_11target_archE942ELNS1_3gpuE9ELNS1_3repE0EEENS1_30default_config_static_selectorELNS0_4arch9wavefront6targetE0EEEvSY_.has_dyn_sized_stack, 0
	.set _ZN7rocprim17ROCPRIM_400000_NS6detail17trampoline_kernelINS0_13select_configILj256ELj13ELNS0_17block_load_methodE3ELS4_3ELS4_3ELNS0_20block_scan_algorithmE0ELj4294967295EEENS1_25partition_config_selectorILNS1_17partition_subalgoE3EjNS0_10empty_typeEbEEZZNS1_14partition_implILS8_3ELb0ES6_jNS0_17counting_iteratorIjlEEPS9_SE_NS0_5tupleIJPjSE_EEENSF_IJSE_SE_EEES9_SG_JZNS1_25segmented_radix_sort_implINS0_14default_configELb1EPKiPiPKlPlN2at6native12_GLOBAL__N_18offset_tEEE10hipError_tPvRmT1_PNSt15iterator_traitsISY_E10value_typeET2_T3_PNSZ_IS14_E10value_typeET4_jRbjT5_S1A_jjP12ihipStream_tbEUljE_EEESV_SW_SX_S14_S18_S1A_T6_T7_T9_mT8_S1C_bDpT10_ENKUlT_T0_E_clISt17integral_constantIbLb1EES1O_IbLb0EEEEDaS1K_S1L_EUlS1K_E_NS1_11comp_targetILNS1_3genE5ELNS1_11target_archE942ELNS1_3gpuE9ELNS1_3repE0EEENS1_30default_config_static_selectorELNS0_4arch9wavefront6targetE0EEEvSY_.has_recursion, 0
	.set _ZN7rocprim17ROCPRIM_400000_NS6detail17trampoline_kernelINS0_13select_configILj256ELj13ELNS0_17block_load_methodE3ELS4_3ELS4_3ELNS0_20block_scan_algorithmE0ELj4294967295EEENS1_25partition_config_selectorILNS1_17partition_subalgoE3EjNS0_10empty_typeEbEEZZNS1_14partition_implILS8_3ELb0ES6_jNS0_17counting_iteratorIjlEEPS9_SE_NS0_5tupleIJPjSE_EEENSF_IJSE_SE_EEES9_SG_JZNS1_25segmented_radix_sort_implINS0_14default_configELb1EPKiPiPKlPlN2at6native12_GLOBAL__N_18offset_tEEE10hipError_tPvRmT1_PNSt15iterator_traitsISY_E10value_typeET2_T3_PNSZ_IS14_E10value_typeET4_jRbjT5_S1A_jjP12ihipStream_tbEUljE_EEESV_SW_SX_S14_S18_S1A_T6_T7_T9_mT8_S1C_bDpT10_ENKUlT_T0_E_clISt17integral_constantIbLb1EES1O_IbLb0EEEEDaS1K_S1L_EUlS1K_E_NS1_11comp_targetILNS1_3genE5ELNS1_11target_archE942ELNS1_3gpuE9ELNS1_3repE0EEENS1_30default_config_static_selectorELNS0_4arch9wavefront6targetE0EEEvSY_.has_indirect_call, 0
	.section	.AMDGPU.csdata,"",@progbits
; Kernel info:
; codeLenInByte = 0
; TotalNumSgprs: 0
; NumVgprs: 0
; ScratchSize: 0
; MemoryBound: 0
; FloatMode: 240
; IeeeMode: 1
; LDSByteSize: 0 bytes/workgroup (compile time only)
; SGPRBlocks: 0
; VGPRBlocks: 0
; NumSGPRsForWavesPerEU: 1
; NumVGPRsForWavesPerEU: 1
; NamedBarCnt: 0
; Occupancy: 16
; WaveLimiterHint : 0
; COMPUTE_PGM_RSRC2:SCRATCH_EN: 0
; COMPUTE_PGM_RSRC2:USER_SGPR: 2
; COMPUTE_PGM_RSRC2:TRAP_HANDLER: 0
; COMPUTE_PGM_RSRC2:TGID_X_EN: 1
; COMPUTE_PGM_RSRC2:TGID_Y_EN: 0
; COMPUTE_PGM_RSRC2:TGID_Z_EN: 0
; COMPUTE_PGM_RSRC2:TIDIG_COMP_CNT: 0
	.section	.text._ZN7rocprim17ROCPRIM_400000_NS6detail17trampoline_kernelINS0_13select_configILj256ELj13ELNS0_17block_load_methodE3ELS4_3ELS4_3ELNS0_20block_scan_algorithmE0ELj4294967295EEENS1_25partition_config_selectorILNS1_17partition_subalgoE3EjNS0_10empty_typeEbEEZZNS1_14partition_implILS8_3ELb0ES6_jNS0_17counting_iteratorIjlEEPS9_SE_NS0_5tupleIJPjSE_EEENSF_IJSE_SE_EEES9_SG_JZNS1_25segmented_radix_sort_implINS0_14default_configELb1EPKiPiPKlPlN2at6native12_GLOBAL__N_18offset_tEEE10hipError_tPvRmT1_PNSt15iterator_traitsISY_E10value_typeET2_T3_PNSZ_IS14_E10value_typeET4_jRbjT5_S1A_jjP12ihipStream_tbEUljE_EEESV_SW_SX_S14_S18_S1A_T6_T7_T9_mT8_S1C_bDpT10_ENKUlT_T0_E_clISt17integral_constantIbLb1EES1O_IbLb0EEEEDaS1K_S1L_EUlS1K_E_NS1_11comp_targetILNS1_3genE4ELNS1_11target_archE910ELNS1_3gpuE8ELNS1_3repE0EEENS1_30default_config_static_selectorELNS0_4arch9wavefront6targetE0EEEvSY_,"axG",@progbits,_ZN7rocprim17ROCPRIM_400000_NS6detail17trampoline_kernelINS0_13select_configILj256ELj13ELNS0_17block_load_methodE3ELS4_3ELS4_3ELNS0_20block_scan_algorithmE0ELj4294967295EEENS1_25partition_config_selectorILNS1_17partition_subalgoE3EjNS0_10empty_typeEbEEZZNS1_14partition_implILS8_3ELb0ES6_jNS0_17counting_iteratorIjlEEPS9_SE_NS0_5tupleIJPjSE_EEENSF_IJSE_SE_EEES9_SG_JZNS1_25segmented_radix_sort_implINS0_14default_configELb1EPKiPiPKlPlN2at6native12_GLOBAL__N_18offset_tEEE10hipError_tPvRmT1_PNSt15iterator_traitsISY_E10value_typeET2_T3_PNSZ_IS14_E10value_typeET4_jRbjT5_S1A_jjP12ihipStream_tbEUljE_EEESV_SW_SX_S14_S18_S1A_T6_T7_T9_mT8_S1C_bDpT10_ENKUlT_T0_E_clISt17integral_constantIbLb1EES1O_IbLb0EEEEDaS1K_S1L_EUlS1K_E_NS1_11comp_targetILNS1_3genE4ELNS1_11target_archE910ELNS1_3gpuE8ELNS1_3repE0EEENS1_30default_config_static_selectorELNS0_4arch9wavefront6targetE0EEEvSY_,comdat
	.globl	_ZN7rocprim17ROCPRIM_400000_NS6detail17trampoline_kernelINS0_13select_configILj256ELj13ELNS0_17block_load_methodE3ELS4_3ELS4_3ELNS0_20block_scan_algorithmE0ELj4294967295EEENS1_25partition_config_selectorILNS1_17partition_subalgoE3EjNS0_10empty_typeEbEEZZNS1_14partition_implILS8_3ELb0ES6_jNS0_17counting_iteratorIjlEEPS9_SE_NS0_5tupleIJPjSE_EEENSF_IJSE_SE_EEES9_SG_JZNS1_25segmented_radix_sort_implINS0_14default_configELb1EPKiPiPKlPlN2at6native12_GLOBAL__N_18offset_tEEE10hipError_tPvRmT1_PNSt15iterator_traitsISY_E10value_typeET2_T3_PNSZ_IS14_E10value_typeET4_jRbjT5_S1A_jjP12ihipStream_tbEUljE_EEESV_SW_SX_S14_S18_S1A_T6_T7_T9_mT8_S1C_bDpT10_ENKUlT_T0_E_clISt17integral_constantIbLb1EES1O_IbLb0EEEEDaS1K_S1L_EUlS1K_E_NS1_11comp_targetILNS1_3genE4ELNS1_11target_archE910ELNS1_3gpuE8ELNS1_3repE0EEENS1_30default_config_static_selectorELNS0_4arch9wavefront6targetE0EEEvSY_ ; -- Begin function _ZN7rocprim17ROCPRIM_400000_NS6detail17trampoline_kernelINS0_13select_configILj256ELj13ELNS0_17block_load_methodE3ELS4_3ELS4_3ELNS0_20block_scan_algorithmE0ELj4294967295EEENS1_25partition_config_selectorILNS1_17partition_subalgoE3EjNS0_10empty_typeEbEEZZNS1_14partition_implILS8_3ELb0ES6_jNS0_17counting_iteratorIjlEEPS9_SE_NS0_5tupleIJPjSE_EEENSF_IJSE_SE_EEES9_SG_JZNS1_25segmented_radix_sort_implINS0_14default_configELb1EPKiPiPKlPlN2at6native12_GLOBAL__N_18offset_tEEE10hipError_tPvRmT1_PNSt15iterator_traitsISY_E10value_typeET2_T3_PNSZ_IS14_E10value_typeET4_jRbjT5_S1A_jjP12ihipStream_tbEUljE_EEESV_SW_SX_S14_S18_S1A_T6_T7_T9_mT8_S1C_bDpT10_ENKUlT_T0_E_clISt17integral_constantIbLb1EES1O_IbLb0EEEEDaS1K_S1L_EUlS1K_E_NS1_11comp_targetILNS1_3genE4ELNS1_11target_archE910ELNS1_3gpuE8ELNS1_3repE0EEENS1_30default_config_static_selectorELNS0_4arch9wavefront6targetE0EEEvSY_
	.p2align	8
	.type	_ZN7rocprim17ROCPRIM_400000_NS6detail17trampoline_kernelINS0_13select_configILj256ELj13ELNS0_17block_load_methodE3ELS4_3ELS4_3ELNS0_20block_scan_algorithmE0ELj4294967295EEENS1_25partition_config_selectorILNS1_17partition_subalgoE3EjNS0_10empty_typeEbEEZZNS1_14partition_implILS8_3ELb0ES6_jNS0_17counting_iteratorIjlEEPS9_SE_NS0_5tupleIJPjSE_EEENSF_IJSE_SE_EEES9_SG_JZNS1_25segmented_radix_sort_implINS0_14default_configELb1EPKiPiPKlPlN2at6native12_GLOBAL__N_18offset_tEEE10hipError_tPvRmT1_PNSt15iterator_traitsISY_E10value_typeET2_T3_PNSZ_IS14_E10value_typeET4_jRbjT5_S1A_jjP12ihipStream_tbEUljE_EEESV_SW_SX_S14_S18_S1A_T6_T7_T9_mT8_S1C_bDpT10_ENKUlT_T0_E_clISt17integral_constantIbLb1EES1O_IbLb0EEEEDaS1K_S1L_EUlS1K_E_NS1_11comp_targetILNS1_3genE4ELNS1_11target_archE910ELNS1_3gpuE8ELNS1_3repE0EEENS1_30default_config_static_selectorELNS0_4arch9wavefront6targetE0EEEvSY_,@function
_ZN7rocprim17ROCPRIM_400000_NS6detail17trampoline_kernelINS0_13select_configILj256ELj13ELNS0_17block_load_methodE3ELS4_3ELS4_3ELNS0_20block_scan_algorithmE0ELj4294967295EEENS1_25partition_config_selectorILNS1_17partition_subalgoE3EjNS0_10empty_typeEbEEZZNS1_14partition_implILS8_3ELb0ES6_jNS0_17counting_iteratorIjlEEPS9_SE_NS0_5tupleIJPjSE_EEENSF_IJSE_SE_EEES9_SG_JZNS1_25segmented_radix_sort_implINS0_14default_configELb1EPKiPiPKlPlN2at6native12_GLOBAL__N_18offset_tEEE10hipError_tPvRmT1_PNSt15iterator_traitsISY_E10value_typeET2_T3_PNSZ_IS14_E10value_typeET4_jRbjT5_S1A_jjP12ihipStream_tbEUljE_EEESV_SW_SX_S14_S18_S1A_T6_T7_T9_mT8_S1C_bDpT10_ENKUlT_T0_E_clISt17integral_constantIbLb1EES1O_IbLb0EEEEDaS1K_S1L_EUlS1K_E_NS1_11comp_targetILNS1_3genE4ELNS1_11target_archE910ELNS1_3gpuE8ELNS1_3repE0EEENS1_30default_config_static_selectorELNS0_4arch9wavefront6targetE0EEEvSY_: ; @_ZN7rocprim17ROCPRIM_400000_NS6detail17trampoline_kernelINS0_13select_configILj256ELj13ELNS0_17block_load_methodE3ELS4_3ELS4_3ELNS0_20block_scan_algorithmE0ELj4294967295EEENS1_25partition_config_selectorILNS1_17partition_subalgoE3EjNS0_10empty_typeEbEEZZNS1_14partition_implILS8_3ELb0ES6_jNS0_17counting_iteratorIjlEEPS9_SE_NS0_5tupleIJPjSE_EEENSF_IJSE_SE_EEES9_SG_JZNS1_25segmented_radix_sort_implINS0_14default_configELb1EPKiPiPKlPlN2at6native12_GLOBAL__N_18offset_tEEE10hipError_tPvRmT1_PNSt15iterator_traitsISY_E10value_typeET2_T3_PNSZ_IS14_E10value_typeET4_jRbjT5_S1A_jjP12ihipStream_tbEUljE_EEESV_SW_SX_S14_S18_S1A_T6_T7_T9_mT8_S1C_bDpT10_ENKUlT_T0_E_clISt17integral_constantIbLb1EES1O_IbLb0EEEEDaS1K_S1L_EUlS1K_E_NS1_11comp_targetILNS1_3genE4ELNS1_11target_archE910ELNS1_3gpuE8ELNS1_3repE0EEENS1_30default_config_static_selectorELNS0_4arch9wavefront6targetE0EEEvSY_
; %bb.0:
	.section	.rodata,"a",@progbits
	.p2align	6, 0x0
	.amdhsa_kernel _ZN7rocprim17ROCPRIM_400000_NS6detail17trampoline_kernelINS0_13select_configILj256ELj13ELNS0_17block_load_methodE3ELS4_3ELS4_3ELNS0_20block_scan_algorithmE0ELj4294967295EEENS1_25partition_config_selectorILNS1_17partition_subalgoE3EjNS0_10empty_typeEbEEZZNS1_14partition_implILS8_3ELb0ES6_jNS0_17counting_iteratorIjlEEPS9_SE_NS0_5tupleIJPjSE_EEENSF_IJSE_SE_EEES9_SG_JZNS1_25segmented_radix_sort_implINS0_14default_configELb1EPKiPiPKlPlN2at6native12_GLOBAL__N_18offset_tEEE10hipError_tPvRmT1_PNSt15iterator_traitsISY_E10value_typeET2_T3_PNSZ_IS14_E10value_typeET4_jRbjT5_S1A_jjP12ihipStream_tbEUljE_EEESV_SW_SX_S14_S18_S1A_T6_T7_T9_mT8_S1C_bDpT10_ENKUlT_T0_E_clISt17integral_constantIbLb1EES1O_IbLb0EEEEDaS1K_S1L_EUlS1K_E_NS1_11comp_targetILNS1_3genE4ELNS1_11target_archE910ELNS1_3gpuE8ELNS1_3repE0EEENS1_30default_config_static_selectorELNS0_4arch9wavefront6targetE0EEEvSY_
		.amdhsa_group_segment_fixed_size 0
		.amdhsa_private_segment_fixed_size 0
		.amdhsa_kernarg_size 144
		.amdhsa_user_sgpr_count 2
		.amdhsa_user_sgpr_dispatch_ptr 0
		.amdhsa_user_sgpr_queue_ptr 0
		.amdhsa_user_sgpr_kernarg_segment_ptr 1
		.amdhsa_user_sgpr_dispatch_id 0
		.amdhsa_user_sgpr_kernarg_preload_length 0
		.amdhsa_user_sgpr_kernarg_preload_offset 0
		.amdhsa_user_sgpr_private_segment_size 0
		.amdhsa_wavefront_size32 1
		.amdhsa_uses_dynamic_stack 0
		.amdhsa_enable_private_segment 0
		.amdhsa_system_sgpr_workgroup_id_x 1
		.amdhsa_system_sgpr_workgroup_id_y 0
		.amdhsa_system_sgpr_workgroup_id_z 0
		.amdhsa_system_sgpr_workgroup_info 0
		.amdhsa_system_vgpr_workitem_id 0
		.amdhsa_next_free_vgpr 1
		.amdhsa_next_free_sgpr 1
		.amdhsa_named_barrier_count 0
		.amdhsa_reserve_vcc 0
		.amdhsa_float_round_mode_32 0
		.amdhsa_float_round_mode_16_64 0
		.amdhsa_float_denorm_mode_32 3
		.amdhsa_float_denorm_mode_16_64 3
		.amdhsa_fp16_overflow 0
		.amdhsa_memory_ordered 1
		.amdhsa_forward_progress 1
		.amdhsa_inst_pref_size 0
		.amdhsa_round_robin_scheduling 0
		.amdhsa_exception_fp_ieee_invalid_op 0
		.amdhsa_exception_fp_denorm_src 0
		.amdhsa_exception_fp_ieee_div_zero 0
		.amdhsa_exception_fp_ieee_overflow 0
		.amdhsa_exception_fp_ieee_underflow 0
		.amdhsa_exception_fp_ieee_inexact 0
		.amdhsa_exception_int_div_zero 0
	.end_amdhsa_kernel
	.section	.text._ZN7rocprim17ROCPRIM_400000_NS6detail17trampoline_kernelINS0_13select_configILj256ELj13ELNS0_17block_load_methodE3ELS4_3ELS4_3ELNS0_20block_scan_algorithmE0ELj4294967295EEENS1_25partition_config_selectorILNS1_17partition_subalgoE3EjNS0_10empty_typeEbEEZZNS1_14partition_implILS8_3ELb0ES6_jNS0_17counting_iteratorIjlEEPS9_SE_NS0_5tupleIJPjSE_EEENSF_IJSE_SE_EEES9_SG_JZNS1_25segmented_radix_sort_implINS0_14default_configELb1EPKiPiPKlPlN2at6native12_GLOBAL__N_18offset_tEEE10hipError_tPvRmT1_PNSt15iterator_traitsISY_E10value_typeET2_T3_PNSZ_IS14_E10value_typeET4_jRbjT5_S1A_jjP12ihipStream_tbEUljE_EEESV_SW_SX_S14_S18_S1A_T6_T7_T9_mT8_S1C_bDpT10_ENKUlT_T0_E_clISt17integral_constantIbLb1EES1O_IbLb0EEEEDaS1K_S1L_EUlS1K_E_NS1_11comp_targetILNS1_3genE4ELNS1_11target_archE910ELNS1_3gpuE8ELNS1_3repE0EEENS1_30default_config_static_selectorELNS0_4arch9wavefront6targetE0EEEvSY_,"axG",@progbits,_ZN7rocprim17ROCPRIM_400000_NS6detail17trampoline_kernelINS0_13select_configILj256ELj13ELNS0_17block_load_methodE3ELS4_3ELS4_3ELNS0_20block_scan_algorithmE0ELj4294967295EEENS1_25partition_config_selectorILNS1_17partition_subalgoE3EjNS0_10empty_typeEbEEZZNS1_14partition_implILS8_3ELb0ES6_jNS0_17counting_iteratorIjlEEPS9_SE_NS0_5tupleIJPjSE_EEENSF_IJSE_SE_EEES9_SG_JZNS1_25segmented_radix_sort_implINS0_14default_configELb1EPKiPiPKlPlN2at6native12_GLOBAL__N_18offset_tEEE10hipError_tPvRmT1_PNSt15iterator_traitsISY_E10value_typeET2_T3_PNSZ_IS14_E10value_typeET4_jRbjT5_S1A_jjP12ihipStream_tbEUljE_EEESV_SW_SX_S14_S18_S1A_T6_T7_T9_mT8_S1C_bDpT10_ENKUlT_T0_E_clISt17integral_constantIbLb1EES1O_IbLb0EEEEDaS1K_S1L_EUlS1K_E_NS1_11comp_targetILNS1_3genE4ELNS1_11target_archE910ELNS1_3gpuE8ELNS1_3repE0EEENS1_30default_config_static_selectorELNS0_4arch9wavefront6targetE0EEEvSY_,comdat
.Lfunc_end479:
	.size	_ZN7rocprim17ROCPRIM_400000_NS6detail17trampoline_kernelINS0_13select_configILj256ELj13ELNS0_17block_load_methodE3ELS4_3ELS4_3ELNS0_20block_scan_algorithmE0ELj4294967295EEENS1_25partition_config_selectorILNS1_17partition_subalgoE3EjNS0_10empty_typeEbEEZZNS1_14partition_implILS8_3ELb0ES6_jNS0_17counting_iteratorIjlEEPS9_SE_NS0_5tupleIJPjSE_EEENSF_IJSE_SE_EEES9_SG_JZNS1_25segmented_radix_sort_implINS0_14default_configELb1EPKiPiPKlPlN2at6native12_GLOBAL__N_18offset_tEEE10hipError_tPvRmT1_PNSt15iterator_traitsISY_E10value_typeET2_T3_PNSZ_IS14_E10value_typeET4_jRbjT5_S1A_jjP12ihipStream_tbEUljE_EEESV_SW_SX_S14_S18_S1A_T6_T7_T9_mT8_S1C_bDpT10_ENKUlT_T0_E_clISt17integral_constantIbLb1EES1O_IbLb0EEEEDaS1K_S1L_EUlS1K_E_NS1_11comp_targetILNS1_3genE4ELNS1_11target_archE910ELNS1_3gpuE8ELNS1_3repE0EEENS1_30default_config_static_selectorELNS0_4arch9wavefront6targetE0EEEvSY_, .Lfunc_end479-_ZN7rocprim17ROCPRIM_400000_NS6detail17trampoline_kernelINS0_13select_configILj256ELj13ELNS0_17block_load_methodE3ELS4_3ELS4_3ELNS0_20block_scan_algorithmE0ELj4294967295EEENS1_25partition_config_selectorILNS1_17partition_subalgoE3EjNS0_10empty_typeEbEEZZNS1_14partition_implILS8_3ELb0ES6_jNS0_17counting_iteratorIjlEEPS9_SE_NS0_5tupleIJPjSE_EEENSF_IJSE_SE_EEES9_SG_JZNS1_25segmented_radix_sort_implINS0_14default_configELb1EPKiPiPKlPlN2at6native12_GLOBAL__N_18offset_tEEE10hipError_tPvRmT1_PNSt15iterator_traitsISY_E10value_typeET2_T3_PNSZ_IS14_E10value_typeET4_jRbjT5_S1A_jjP12ihipStream_tbEUljE_EEESV_SW_SX_S14_S18_S1A_T6_T7_T9_mT8_S1C_bDpT10_ENKUlT_T0_E_clISt17integral_constantIbLb1EES1O_IbLb0EEEEDaS1K_S1L_EUlS1K_E_NS1_11comp_targetILNS1_3genE4ELNS1_11target_archE910ELNS1_3gpuE8ELNS1_3repE0EEENS1_30default_config_static_selectorELNS0_4arch9wavefront6targetE0EEEvSY_
                                        ; -- End function
	.set _ZN7rocprim17ROCPRIM_400000_NS6detail17trampoline_kernelINS0_13select_configILj256ELj13ELNS0_17block_load_methodE3ELS4_3ELS4_3ELNS0_20block_scan_algorithmE0ELj4294967295EEENS1_25partition_config_selectorILNS1_17partition_subalgoE3EjNS0_10empty_typeEbEEZZNS1_14partition_implILS8_3ELb0ES6_jNS0_17counting_iteratorIjlEEPS9_SE_NS0_5tupleIJPjSE_EEENSF_IJSE_SE_EEES9_SG_JZNS1_25segmented_radix_sort_implINS0_14default_configELb1EPKiPiPKlPlN2at6native12_GLOBAL__N_18offset_tEEE10hipError_tPvRmT1_PNSt15iterator_traitsISY_E10value_typeET2_T3_PNSZ_IS14_E10value_typeET4_jRbjT5_S1A_jjP12ihipStream_tbEUljE_EEESV_SW_SX_S14_S18_S1A_T6_T7_T9_mT8_S1C_bDpT10_ENKUlT_T0_E_clISt17integral_constantIbLb1EES1O_IbLb0EEEEDaS1K_S1L_EUlS1K_E_NS1_11comp_targetILNS1_3genE4ELNS1_11target_archE910ELNS1_3gpuE8ELNS1_3repE0EEENS1_30default_config_static_selectorELNS0_4arch9wavefront6targetE0EEEvSY_.num_vgpr, 0
	.set _ZN7rocprim17ROCPRIM_400000_NS6detail17trampoline_kernelINS0_13select_configILj256ELj13ELNS0_17block_load_methodE3ELS4_3ELS4_3ELNS0_20block_scan_algorithmE0ELj4294967295EEENS1_25partition_config_selectorILNS1_17partition_subalgoE3EjNS0_10empty_typeEbEEZZNS1_14partition_implILS8_3ELb0ES6_jNS0_17counting_iteratorIjlEEPS9_SE_NS0_5tupleIJPjSE_EEENSF_IJSE_SE_EEES9_SG_JZNS1_25segmented_radix_sort_implINS0_14default_configELb1EPKiPiPKlPlN2at6native12_GLOBAL__N_18offset_tEEE10hipError_tPvRmT1_PNSt15iterator_traitsISY_E10value_typeET2_T3_PNSZ_IS14_E10value_typeET4_jRbjT5_S1A_jjP12ihipStream_tbEUljE_EEESV_SW_SX_S14_S18_S1A_T6_T7_T9_mT8_S1C_bDpT10_ENKUlT_T0_E_clISt17integral_constantIbLb1EES1O_IbLb0EEEEDaS1K_S1L_EUlS1K_E_NS1_11comp_targetILNS1_3genE4ELNS1_11target_archE910ELNS1_3gpuE8ELNS1_3repE0EEENS1_30default_config_static_selectorELNS0_4arch9wavefront6targetE0EEEvSY_.num_agpr, 0
	.set _ZN7rocprim17ROCPRIM_400000_NS6detail17trampoline_kernelINS0_13select_configILj256ELj13ELNS0_17block_load_methodE3ELS4_3ELS4_3ELNS0_20block_scan_algorithmE0ELj4294967295EEENS1_25partition_config_selectorILNS1_17partition_subalgoE3EjNS0_10empty_typeEbEEZZNS1_14partition_implILS8_3ELb0ES6_jNS0_17counting_iteratorIjlEEPS9_SE_NS0_5tupleIJPjSE_EEENSF_IJSE_SE_EEES9_SG_JZNS1_25segmented_radix_sort_implINS0_14default_configELb1EPKiPiPKlPlN2at6native12_GLOBAL__N_18offset_tEEE10hipError_tPvRmT1_PNSt15iterator_traitsISY_E10value_typeET2_T3_PNSZ_IS14_E10value_typeET4_jRbjT5_S1A_jjP12ihipStream_tbEUljE_EEESV_SW_SX_S14_S18_S1A_T6_T7_T9_mT8_S1C_bDpT10_ENKUlT_T0_E_clISt17integral_constantIbLb1EES1O_IbLb0EEEEDaS1K_S1L_EUlS1K_E_NS1_11comp_targetILNS1_3genE4ELNS1_11target_archE910ELNS1_3gpuE8ELNS1_3repE0EEENS1_30default_config_static_selectorELNS0_4arch9wavefront6targetE0EEEvSY_.numbered_sgpr, 0
	.set _ZN7rocprim17ROCPRIM_400000_NS6detail17trampoline_kernelINS0_13select_configILj256ELj13ELNS0_17block_load_methodE3ELS4_3ELS4_3ELNS0_20block_scan_algorithmE0ELj4294967295EEENS1_25partition_config_selectorILNS1_17partition_subalgoE3EjNS0_10empty_typeEbEEZZNS1_14partition_implILS8_3ELb0ES6_jNS0_17counting_iteratorIjlEEPS9_SE_NS0_5tupleIJPjSE_EEENSF_IJSE_SE_EEES9_SG_JZNS1_25segmented_radix_sort_implINS0_14default_configELb1EPKiPiPKlPlN2at6native12_GLOBAL__N_18offset_tEEE10hipError_tPvRmT1_PNSt15iterator_traitsISY_E10value_typeET2_T3_PNSZ_IS14_E10value_typeET4_jRbjT5_S1A_jjP12ihipStream_tbEUljE_EEESV_SW_SX_S14_S18_S1A_T6_T7_T9_mT8_S1C_bDpT10_ENKUlT_T0_E_clISt17integral_constantIbLb1EES1O_IbLb0EEEEDaS1K_S1L_EUlS1K_E_NS1_11comp_targetILNS1_3genE4ELNS1_11target_archE910ELNS1_3gpuE8ELNS1_3repE0EEENS1_30default_config_static_selectorELNS0_4arch9wavefront6targetE0EEEvSY_.num_named_barrier, 0
	.set _ZN7rocprim17ROCPRIM_400000_NS6detail17trampoline_kernelINS0_13select_configILj256ELj13ELNS0_17block_load_methodE3ELS4_3ELS4_3ELNS0_20block_scan_algorithmE0ELj4294967295EEENS1_25partition_config_selectorILNS1_17partition_subalgoE3EjNS0_10empty_typeEbEEZZNS1_14partition_implILS8_3ELb0ES6_jNS0_17counting_iteratorIjlEEPS9_SE_NS0_5tupleIJPjSE_EEENSF_IJSE_SE_EEES9_SG_JZNS1_25segmented_radix_sort_implINS0_14default_configELb1EPKiPiPKlPlN2at6native12_GLOBAL__N_18offset_tEEE10hipError_tPvRmT1_PNSt15iterator_traitsISY_E10value_typeET2_T3_PNSZ_IS14_E10value_typeET4_jRbjT5_S1A_jjP12ihipStream_tbEUljE_EEESV_SW_SX_S14_S18_S1A_T6_T7_T9_mT8_S1C_bDpT10_ENKUlT_T0_E_clISt17integral_constantIbLb1EES1O_IbLb0EEEEDaS1K_S1L_EUlS1K_E_NS1_11comp_targetILNS1_3genE4ELNS1_11target_archE910ELNS1_3gpuE8ELNS1_3repE0EEENS1_30default_config_static_selectorELNS0_4arch9wavefront6targetE0EEEvSY_.private_seg_size, 0
	.set _ZN7rocprim17ROCPRIM_400000_NS6detail17trampoline_kernelINS0_13select_configILj256ELj13ELNS0_17block_load_methodE3ELS4_3ELS4_3ELNS0_20block_scan_algorithmE0ELj4294967295EEENS1_25partition_config_selectorILNS1_17partition_subalgoE3EjNS0_10empty_typeEbEEZZNS1_14partition_implILS8_3ELb0ES6_jNS0_17counting_iteratorIjlEEPS9_SE_NS0_5tupleIJPjSE_EEENSF_IJSE_SE_EEES9_SG_JZNS1_25segmented_radix_sort_implINS0_14default_configELb1EPKiPiPKlPlN2at6native12_GLOBAL__N_18offset_tEEE10hipError_tPvRmT1_PNSt15iterator_traitsISY_E10value_typeET2_T3_PNSZ_IS14_E10value_typeET4_jRbjT5_S1A_jjP12ihipStream_tbEUljE_EEESV_SW_SX_S14_S18_S1A_T6_T7_T9_mT8_S1C_bDpT10_ENKUlT_T0_E_clISt17integral_constantIbLb1EES1O_IbLb0EEEEDaS1K_S1L_EUlS1K_E_NS1_11comp_targetILNS1_3genE4ELNS1_11target_archE910ELNS1_3gpuE8ELNS1_3repE0EEENS1_30default_config_static_selectorELNS0_4arch9wavefront6targetE0EEEvSY_.uses_vcc, 0
	.set _ZN7rocprim17ROCPRIM_400000_NS6detail17trampoline_kernelINS0_13select_configILj256ELj13ELNS0_17block_load_methodE3ELS4_3ELS4_3ELNS0_20block_scan_algorithmE0ELj4294967295EEENS1_25partition_config_selectorILNS1_17partition_subalgoE3EjNS0_10empty_typeEbEEZZNS1_14partition_implILS8_3ELb0ES6_jNS0_17counting_iteratorIjlEEPS9_SE_NS0_5tupleIJPjSE_EEENSF_IJSE_SE_EEES9_SG_JZNS1_25segmented_radix_sort_implINS0_14default_configELb1EPKiPiPKlPlN2at6native12_GLOBAL__N_18offset_tEEE10hipError_tPvRmT1_PNSt15iterator_traitsISY_E10value_typeET2_T3_PNSZ_IS14_E10value_typeET4_jRbjT5_S1A_jjP12ihipStream_tbEUljE_EEESV_SW_SX_S14_S18_S1A_T6_T7_T9_mT8_S1C_bDpT10_ENKUlT_T0_E_clISt17integral_constantIbLb1EES1O_IbLb0EEEEDaS1K_S1L_EUlS1K_E_NS1_11comp_targetILNS1_3genE4ELNS1_11target_archE910ELNS1_3gpuE8ELNS1_3repE0EEENS1_30default_config_static_selectorELNS0_4arch9wavefront6targetE0EEEvSY_.uses_flat_scratch, 0
	.set _ZN7rocprim17ROCPRIM_400000_NS6detail17trampoline_kernelINS0_13select_configILj256ELj13ELNS0_17block_load_methodE3ELS4_3ELS4_3ELNS0_20block_scan_algorithmE0ELj4294967295EEENS1_25partition_config_selectorILNS1_17partition_subalgoE3EjNS0_10empty_typeEbEEZZNS1_14partition_implILS8_3ELb0ES6_jNS0_17counting_iteratorIjlEEPS9_SE_NS0_5tupleIJPjSE_EEENSF_IJSE_SE_EEES9_SG_JZNS1_25segmented_radix_sort_implINS0_14default_configELb1EPKiPiPKlPlN2at6native12_GLOBAL__N_18offset_tEEE10hipError_tPvRmT1_PNSt15iterator_traitsISY_E10value_typeET2_T3_PNSZ_IS14_E10value_typeET4_jRbjT5_S1A_jjP12ihipStream_tbEUljE_EEESV_SW_SX_S14_S18_S1A_T6_T7_T9_mT8_S1C_bDpT10_ENKUlT_T0_E_clISt17integral_constantIbLb1EES1O_IbLb0EEEEDaS1K_S1L_EUlS1K_E_NS1_11comp_targetILNS1_3genE4ELNS1_11target_archE910ELNS1_3gpuE8ELNS1_3repE0EEENS1_30default_config_static_selectorELNS0_4arch9wavefront6targetE0EEEvSY_.has_dyn_sized_stack, 0
	.set _ZN7rocprim17ROCPRIM_400000_NS6detail17trampoline_kernelINS0_13select_configILj256ELj13ELNS0_17block_load_methodE3ELS4_3ELS4_3ELNS0_20block_scan_algorithmE0ELj4294967295EEENS1_25partition_config_selectorILNS1_17partition_subalgoE3EjNS0_10empty_typeEbEEZZNS1_14partition_implILS8_3ELb0ES6_jNS0_17counting_iteratorIjlEEPS9_SE_NS0_5tupleIJPjSE_EEENSF_IJSE_SE_EEES9_SG_JZNS1_25segmented_radix_sort_implINS0_14default_configELb1EPKiPiPKlPlN2at6native12_GLOBAL__N_18offset_tEEE10hipError_tPvRmT1_PNSt15iterator_traitsISY_E10value_typeET2_T3_PNSZ_IS14_E10value_typeET4_jRbjT5_S1A_jjP12ihipStream_tbEUljE_EEESV_SW_SX_S14_S18_S1A_T6_T7_T9_mT8_S1C_bDpT10_ENKUlT_T0_E_clISt17integral_constantIbLb1EES1O_IbLb0EEEEDaS1K_S1L_EUlS1K_E_NS1_11comp_targetILNS1_3genE4ELNS1_11target_archE910ELNS1_3gpuE8ELNS1_3repE0EEENS1_30default_config_static_selectorELNS0_4arch9wavefront6targetE0EEEvSY_.has_recursion, 0
	.set _ZN7rocprim17ROCPRIM_400000_NS6detail17trampoline_kernelINS0_13select_configILj256ELj13ELNS0_17block_load_methodE3ELS4_3ELS4_3ELNS0_20block_scan_algorithmE0ELj4294967295EEENS1_25partition_config_selectorILNS1_17partition_subalgoE3EjNS0_10empty_typeEbEEZZNS1_14partition_implILS8_3ELb0ES6_jNS0_17counting_iteratorIjlEEPS9_SE_NS0_5tupleIJPjSE_EEENSF_IJSE_SE_EEES9_SG_JZNS1_25segmented_radix_sort_implINS0_14default_configELb1EPKiPiPKlPlN2at6native12_GLOBAL__N_18offset_tEEE10hipError_tPvRmT1_PNSt15iterator_traitsISY_E10value_typeET2_T3_PNSZ_IS14_E10value_typeET4_jRbjT5_S1A_jjP12ihipStream_tbEUljE_EEESV_SW_SX_S14_S18_S1A_T6_T7_T9_mT8_S1C_bDpT10_ENKUlT_T0_E_clISt17integral_constantIbLb1EES1O_IbLb0EEEEDaS1K_S1L_EUlS1K_E_NS1_11comp_targetILNS1_3genE4ELNS1_11target_archE910ELNS1_3gpuE8ELNS1_3repE0EEENS1_30default_config_static_selectorELNS0_4arch9wavefront6targetE0EEEvSY_.has_indirect_call, 0
	.section	.AMDGPU.csdata,"",@progbits
; Kernel info:
; codeLenInByte = 0
; TotalNumSgprs: 0
; NumVgprs: 0
; ScratchSize: 0
; MemoryBound: 0
; FloatMode: 240
; IeeeMode: 1
; LDSByteSize: 0 bytes/workgroup (compile time only)
; SGPRBlocks: 0
; VGPRBlocks: 0
; NumSGPRsForWavesPerEU: 1
; NumVGPRsForWavesPerEU: 1
; NamedBarCnt: 0
; Occupancy: 16
; WaveLimiterHint : 0
; COMPUTE_PGM_RSRC2:SCRATCH_EN: 0
; COMPUTE_PGM_RSRC2:USER_SGPR: 2
; COMPUTE_PGM_RSRC2:TRAP_HANDLER: 0
; COMPUTE_PGM_RSRC2:TGID_X_EN: 1
; COMPUTE_PGM_RSRC2:TGID_Y_EN: 0
; COMPUTE_PGM_RSRC2:TGID_Z_EN: 0
; COMPUTE_PGM_RSRC2:TIDIG_COMP_CNT: 0
	.section	.text._ZN7rocprim17ROCPRIM_400000_NS6detail17trampoline_kernelINS0_13select_configILj256ELj13ELNS0_17block_load_methodE3ELS4_3ELS4_3ELNS0_20block_scan_algorithmE0ELj4294967295EEENS1_25partition_config_selectorILNS1_17partition_subalgoE3EjNS0_10empty_typeEbEEZZNS1_14partition_implILS8_3ELb0ES6_jNS0_17counting_iteratorIjlEEPS9_SE_NS0_5tupleIJPjSE_EEENSF_IJSE_SE_EEES9_SG_JZNS1_25segmented_radix_sort_implINS0_14default_configELb1EPKiPiPKlPlN2at6native12_GLOBAL__N_18offset_tEEE10hipError_tPvRmT1_PNSt15iterator_traitsISY_E10value_typeET2_T3_PNSZ_IS14_E10value_typeET4_jRbjT5_S1A_jjP12ihipStream_tbEUljE_EEESV_SW_SX_S14_S18_S1A_T6_T7_T9_mT8_S1C_bDpT10_ENKUlT_T0_E_clISt17integral_constantIbLb1EES1O_IbLb0EEEEDaS1K_S1L_EUlS1K_E_NS1_11comp_targetILNS1_3genE3ELNS1_11target_archE908ELNS1_3gpuE7ELNS1_3repE0EEENS1_30default_config_static_selectorELNS0_4arch9wavefront6targetE0EEEvSY_,"axG",@progbits,_ZN7rocprim17ROCPRIM_400000_NS6detail17trampoline_kernelINS0_13select_configILj256ELj13ELNS0_17block_load_methodE3ELS4_3ELS4_3ELNS0_20block_scan_algorithmE0ELj4294967295EEENS1_25partition_config_selectorILNS1_17partition_subalgoE3EjNS0_10empty_typeEbEEZZNS1_14partition_implILS8_3ELb0ES6_jNS0_17counting_iteratorIjlEEPS9_SE_NS0_5tupleIJPjSE_EEENSF_IJSE_SE_EEES9_SG_JZNS1_25segmented_radix_sort_implINS0_14default_configELb1EPKiPiPKlPlN2at6native12_GLOBAL__N_18offset_tEEE10hipError_tPvRmT1_PNSt15iterator_traitsISY_E10value_typeET2_T3_PNSZ_IS14_E10value_typeET4_jRbjT5_S1A_jjP12ihipStream_tbEUljE_EEESV_SW_SX_S14_S18_S1A_T6_T7_T9_mT8_S1C_bDpT10_ENKUlT_T0_E_clISt17integral_constantIbLb1EES1O_IbLb0EEEEDaS1K_S1L_EUlS1K_E_NS1_11comp_targetILNS1_3genE3ELNS1_11target_archE908ELNS1_3gpuE7ELNS1_3repE0EEENS1_30default_config_static_selectorELNS0_4arch9wavefront6targetE0EEEvSY_,comdat
	.globl	_ZN7rocprim17ROCPRIM_400000_NS6detail17trampoline_kernelINS0_13select_configILj256ELj13ELNS0_17block_load_methodE3ELS4_3ELS4_3ELNS0_20block_scan_algorithmE0ELj4294967295EEENS1_25partition_config_selectorILNS1_17partition_subalgoE3EjNS0_10empty_typeEbEEZZNS1_14partition_implILS8_3ELb0ES6_jNS0_17counting_iteratorIjlEEPS9_SE_NS0_5tupleIJPjSE_EEENSF_IJSE_SE_EEES9_SG_JZNS1_25segmented_radix_sort_implINS0_14default_configELb1EPKiPiPKlPlN2at6native12_GLOBAL__N_18offset_tEEE10hipError_tPvRmT1_PNSt15iterator_traitsISY_E10value_typeET2_T3_PNSZ_IS14_E10value_typeET4_jRbjT5_S1A_jjP12ihipStream_tbEUljE_EEESV_SW_SX_S14_S18_S1A_T6_T7_T9_mT8_S1C_bDpT10_ENKUlT_T0_E_clISt17integral_constantIbLb1EES1O_IbLb0EEEEDaS1K_S1L_EUlS1K_E_NS1_11comp_targetILNS1_3genE3ELNS1_11target_archE908ELNS1_3gpuE7ELNS1_3repE0EEENS1_30default_config_static_selectorELNS0_4arch9wavefront6targetE0EEEvSY_ ; -- Begin function _ZN7rocprim17ROCPRIM_400000_NS6detail17trampoline_kernelINS0_13select_configILj256ELj13ELNS0_17block_load_methodE3ELS4_3ELS4_3ELNS0_20block_scan_algorithmE0ELj4294967295EEENS1_25partition_config_selectorILNS1_17partition_subalgoE3EjNS0_10empty_typeEbEEZZNS1_14partition_implILS8_3ELb0ES6_jNS0_17counting_iteratorIjlEEPS9_SE_NS0_5tupleIJPjSE_EEENSF_IJSE_SE_EEES9_SG_JZNS1_25segmented_radix_sort_implINS0_14default_configELb1EPKiPiPKlPlN2at6native12_GLOBAL__N_18offset_tEEE10hipError_tPvRmT1_PNSt15iterator_traitsISY_E10value_typeET2_T3_PNSZ_IS14_E10value_typeET4_jRbjT5_S1A_jjP12ihipStream_tbEUljE_EEESV_SW_SX_S14_S18_S1A_T6_T7_T9_mT8_S1C_bDpT10_ENKUlT_T0_E_clISt17integral_constantIbLb1EES1O_IbLb0EEEEDaS1K_S1L_EUlS1K_E_NS1_11comp_targetILNS1_3genE3ELNS1_11target_archE908ELNS1_3gpuE7ELNS1_3repE0EEENS1_30default_config_static_selectorELNS0_4arch9wavefront6targetE0EEEvSY_
	.p2align	8
	.type	_ZN7rocprim17ROCPRIM_400000_NS6detail17trampoline_kernelINS0_13select_configILj256ELj13ELNS0_17block_load_methodE3ELS4_3ELS4_3ELNS0_20block_scan_algorithmE0ELj4294967295EEENS1_25partition_config_selectorILNS1_17partition_subalgoE3EjNS0_10empty_typeEbEEZZNS1_14partition_implILS8_3ELb0ES6_jNS0_17counting_iteratorIjlEEPS9_SE_NS0_5tupleIJPjSE_EEENSF_IJSE_SE_EEES9_SG_JZNS1_25segmented_radix_sort_implINS0_14default_configELb1EPKiPiPKlPlN2at6native12_GLOBAL__N_18offset_tEEE10hipError_tPvRmT1_PNSt15iterator_traitsISY_E10value_typeET2_T3_PNSZ_IS14_E10value_typeET4_jRbjT5_S1A_jjP12ihipStream_tbEUljE_EEESV_SW_SX_S14_S18_S1A_T6_T7_T9_mT8_S1C_bDpT10_ENKUlT_T0_E_clISt17integral_constantIbLb1EES1O_IbLb0EEEEDaS1K_S1L_EUlS1K_E_NS1_11comp_targetILNS1_3genE3ELNS1_11target_archE908ELNS1_3gpuE7ELNS1_3repE0EEENS1_30default_config_static_selectorELNS0_4arch9wavefront6targetE0EEEvSY_,@function
_ZN7rocprim17ROCPRIM_400000_NS6detail17trampoline_kernelINS0_13select_configILj256ELj13ELNS0_17block_load_methodE3ELS4_3ELS4_3ELNS0_20block_scan_algorithmE0ELj4294967295EEENS1_25partition_config_selectorILNS1_17partition_subalgoE3EjNS0_10empty_typeEbEEZZNS1_14partition_implILS8_3ELb0ES6_jNS0_17counting_iteratorIjlEEPS9_SE_NS0_5tupleIJPjSE_EEENSF_IJSE_SE_EEES9_SG_JZNS1_25segmented_radix_sort_implINS0_14default_configELb1EPKiPiPKlPlN2at6native12_GLOBAL__N_18offset_tEEE10hipError_tPvRmT1_PNSt15iterator_traitsISY_E10value_typeET2_T3_PNSZ_IS14_E10value_typeET4_jRbjT5_S1A_jjP12ihipStream_tbEUljE_EEESV_SW_SX_S14_S18_S1A_T6_T7_T9_mT8_S1C_bDpT10_ENKUlT_T0_E_clISt17integral_constantIbLb1EES1O_IbLb0EEEEDaS1K_S1L_EUlS1K_E_NS1_11comp_targetILNS1_3genE3ELNS1_11target_archE908ELNS1_3gpuE7ELNS1_3repE0EEENS1_30default_config_static_selectorELNS0_4arch9wavefront6targetE0EEEvSY_: ; @_ZN7rocprim17ROCPRIM_400000_NS6detail17trampoline_kernelINS0_13select_configILj256ELj13ELNS0_17block_load_methodE3ELS4_3ELS4_3ELNS0_20block_scan_algorithmE0ELj4294967295EEENS1_25partition_config_selectorILNS1_17partition_subalgoE3EjNS0_10empty_typeEbEEZZNS1_14partition_implILS8_3ELb0ES6_jNS0_17counting_iteratorIjlEEPS9_SE_NS0_5tupleIJPjSE_EEENSF_IJSE_SE_EEES9_SG_JZNS1_25segmented_radix_sort_implINS0_14default_configELb1EPKiPiPKlPlN2at6native12_GLOBAL__N_18offset_tEEE10hipError_tPvRmT1_PNSt15iterator_traitsISY_E10value_typeET2_T3_PNSZ_IS14_E10value_typeET4_jRbjT5_S1A_jjP12ihipStream_tbEUljE_EEESV_SW_SX_S14_S18_S1A_T6_T7_T9_mT8_S1C_bDpT10_ENKUlT_T0_E_clISt17integral_constantIbLb1EES1O_IbLb0EEEEDaS1K_S1L_EUlS1K_E_NS1_11comp_targetILNS1_3genE3ELNS1_11target_archE908ELNS1_3gpuE7ELNS1_3repE0EEENS1_30default_config_static_selectorELNS0_4arch9wavefront6targetE0EEEvSY_
; %bb.0:
	.section	.rodata,"a",@progbits
	.p2align	6, 0x0
	.amdhsa_kernel _ZN7rocprim17ROCPRIM_400000_NS6detail17trampoline_kernelINS0_13select_configILj256ELj13ELNS0_17block_load_methodE3ELS4_3ELS4_3ELNS0_20block_scan_algorithmE0ELj4294967295EEENS1_25partition_config_selectorILNS1_17partition_subalgoE3EjNS0_10empty_typeEbEEZZNS1_14partition_implILS8_3ELb0ES6_jNS0_17counting_iteratorIjlEEPS9_SE_NS0_5tupleIJPjSE_EEENSF_IJSE_SE_EEES9_SG_JZNS1_25segmented_radix_sort_implINS0_14default_configELb1EPKiPiPKlPlN2at6native12_GLOBAL__N_18offset_tEEE10hipError_tPvRmT1_PNSt15iterator_traitsISY_E10value_typeET2_T3_PNSZ_IS14_E10value_typeET4_jRbjT5_S1A_jjP12ihipStream_tbEUljE_EEESV_SW_SX_S14_S18_S1A_T6_T7_T9_mT8_S1C_bDpT10_ENKUlT_T0_E_clISt17integral_constantIbLb1EES1O_IbLb0EEEEDaS1K_S1L_EUlS1K_E_NS1_11comp_targetILNS1_3genE3ELNS1_11target_archE908ELNS1_3gpuE7ELNS1_3repE0EEENS1_30default_config_static_selectorELNS0_4arch9wavefront6targetE0EEEvSY_
		.amdhsa_group_segment_fixed_size 0
		.amdhsa_private_segment_fixed_size 0
		.amdhsa_kernarg_size 144
		.amdhsa_user_sgpr_count 2
		.amdhsa_user_sgpr_dispatch_ptr 0
		.amdhsa_user_sgpr_queue_ptr 0
		.amdhsa_user_sgpr_kernarg_segment_ptr 1
		.amdhsa_user_sgpr_dispatch_id 0
		.amdhsa_user_sgpr_kernarg_preload_length 0
		.amdhsa_user_sgpr_kernarg_preload_offset 0
		.amdhsa_user_sgpr_private_segment_size 0
		.amdhsa_wavefront_size32 1
		.amdhsa_uses_dynamic_stack 0
		.amdhsa_enable_private_segment 0
		.amdhsa_system_sgpr_workgroup_id_x 1
		.amdhsa_system_sgpr_workgroup_id_y 0
		.amdhsa_system_sgpr_workgroup_id_z 0
		.amdhsa_system_sgpr_workgroup_info 0
		.amdhsa_system_vgpr_workitem_id 0
		.amdhsa_next_free_vgpr 1
		.amdhsa_next_free_sgpr 1
		.amdhsa_named_barrier_count 0
		.amdhsa_reserve_vcc 0
		.amdhsa_float_round_mode_32 0
		.amdhsa_float_round_mode_16_64 0
		.amdhsa_float_denorm_mode_32 3
		.amdhsa_float_denorm_mode_16_64 3
		.amdhsa_fp16_overflow 0
		.amdhsa_memory_ordered 1
		.amdhsa_forward_progress 1
		.amdhsa_inst_pref_size 0
		.amdhsa_round_robin_scheduling 0
		.amdhsa_exception_fp_ieee_invalid_op 0
		.amdhsa_exception_fp_denorm_src 0
		.amdhsa_exception_fp_ieee_div_zero 0
		.amdhsa_exception_fp_ieee_overflow 0
		.amdhsa_exception_fp_ieee_underflow 0
		.amdhsa_exception_fp_ieee_inexact 0
		.amdhsa_exception_int_div_zero 0
	.end_amdhsa_kernel
	.section	.text._ZN7rocprim17ROCPRIM_400000_NS6detail17trampoline_kernelINS0_13select_configILj256ELj13ELNS0_17block_load_methodE3ELS4_3ELS4_3ELNS0_20block_scan_algorithmE0ELj4294967295EEENS1_25partition_config_selectorILNS1_17partition_subalgoE3EjNS0_10empty_typeEbEEZZNS1_14partition_implILS8_3ELb0ES6_jNS0_17counting_iteratorIjlEEPS9_SE_NS0_5tupleIJPjSE_EEENSF_IJSE_SE_EEES9_SG_JZNS1_25segmented_radix_sort_implINS0_14default_configELb1EPKiPiPKlPlN2at6native12_GLOBAL__N_18offset_tEEE10hipError_tPvRmT1_PNSt15iterator_traitsISY_E10value_typeET2_T3_PNSZ_IS14_E10value_typeET4_jRbjT5_S1A_jjP12ihipStream_tbEUljE_EEESV_SW_SX_S14_S18_S1A_T6_T7_T9_mT8_S1C_bDpT10_ENKUlT_T0_E_clISt17integral_constantIbLb1EES1O_IbLb0EEEEDaS1K_S1L_EUlS1K_E_NS1_11comp_targetILNS1_3genE3ELNS1_11target_archE908ELNS1_3gpuE7ELNS1_3repE0EEENS1_30default_config_static_selectorELNS0_4arch9wavefront6targetE0EEEvSY_,"axG",@progbits,_ZN7rocprim17ROCPRIM_400000_NS6detail17trampoline_kernelINS0_13select_configILj256ELj13ELNS0_17block_load_methodE3ELS4_3ELS4_3ELNS0_20block_scan_algorithmE0ELj4294967295EEENS1_25partition_config_selectorILNS1_17partition_subalgoE3EjNS0_10empty_typeEbEEZZNS1_14partition_implILS8_3ELb0ES6_jNS0_17counting_iteratorIjlEEPS9_SE_NS0_5tupleIJPjSE_EEENSF_IJSE_SE_EEES9_SG_JZNS1_25segmented_radix_sort_implINS0_14default_configELb1EPKiPiPKlPlN2at6native12_GLOBAL__N_18offset_tEEE10hipError_tPvRmT1_PNSt15iterator_traitsISY_E10value_typeET2_T3_PNSZ_IS14_E10value_typeET4_jRbjT5_S1A_jjP12ihipStream_tbEUljE_EEESV_SW_SX_S14_S18_S1A_T6_T7_T9_mT8_S1C_bDpT10_ENKUlT_T0_E_clISt17integral_constantIbLb1EES1O_IbLb0EEEEDaS1K_S1L_EUlS1K_E_NS1_11comp_targetILNS1_3genE3ELNS1_11target_archE908ELNS1_3gpuE7ELNS1_3repE0EEENS1_30default_config_static_selectorELNS0_4arch9wavefront6targetE0EEEvSY_,comdat
.Lfunc_end480:
	.size	_ZN7rocprim17ROCPRIM_400000_NS6detail17trampoline_kernelINS0_13select_configILj256ELj13ELNS0_17block_load_methodE3ELS4_3ELS4_3ELNS0_20block_scan_algorithmE0ELj4294967295EEENS1_25partition_config_selectorILNS1_17partition_subalgoE3EjNS0_10empty_typeEbEEZZNS1_14partition_implILS8_3ELb0ES6_jNS0_17counting_iteratorIjlEEPS9_SE_NS0_5tupleIJPjSE_EEENSF_IJSE_SE_EEES9_SG_JZNS1_25segmented_radix_sort_implINS0_14default_configELb1EPKiPiPKlPlN2at6native12_GLOBAL__N_18offset_tEEE10hipError_tPvRmT1_PNSt15iterator_traitsISY_E10value_typeET2_T3_PNSZ_IS14_E10value_typeET4_jRbjT5_S1A_jjP12ihipStream_tbEUljE_EEESV_SW_SX_S14_S18_S1A_T6_T7_T9_mT8_S1C_bDpT10_ENKUlT_T0_E_clISt17integral_constantIbLb1EES1O_IbLb0EEEEDaS1K_S1L_EUlS1K_E_NS1_11comp_targetILNS1_3genE3ELNS1_11target_archE908ELNS1_3gpuE7ELNS1_3repE0EEENS1_30default_config_static_selectorELNS0_4arch9wavefront6targetE0EEEvSY_, .Lfunc_end480-_ZN7rocprim17ROCPRIM_400000_NS6detail17trampoline_kernelINS0_13select_configILj256ELj13ELNS0_17block_load_methodE3ELS4_3ELS4_3ELNS0_20block_scan_algorithmE0ELj4294967295EEENS1_25partition_config_selectorILNS1_17partition_subalgoE3EjNS0_10empty_typeEbEEZZNS1_14partition_implILS8_3ELb0ES6_jNS0_17counting_iteratorIjlEEPS9_SE_NS0_5tupleIJPjSE_EEENSF_IJSE_SE_EEES9_SG_JZNS1_25segmented_radix_sort_implINS0_14default_configELb1EPKiPiPKlPlN2at6native12_GLOBAL__N_18offset_tEEE10hipError_tPvRmT1_PNSt15iterator_traitsISY_E10value_typeET2_T3_PNSZ_IS14_E10value_typeET4_jRbjT5_S1A_jjP12ihipStream_tbEUljE_EEESV_SW_SX_S14_S18_S1A_T6_T7_T9_mT8_S1C_bDpT10_ENKUlT_T0_E_clISt17integral_constantIbLb1EES1O_IbLb0EEEEDaS1K_S1L_EUlS1K_E_NS1_11comp_targetILNS1_3genE3ELNS1_11target_archE908ELNS1_3gpuE7ELNS1_3repE0EEENS1_30default_config_static_selectorELNS0_4arch9wavefront6targetE0EEEvSY_
                                        ; -- End function
	.set _ZN7rocprim17ROCPRIM_400000_NS6detail17trampoline_kernelINS0_13select_configILj256ELj13ELNS0_17block_load_methodE3ELS4_3ELS4_3ELNS0_20block_scan_algorithmE0ELj4294967295EEENS1_25partition_config_selectorILNS1_17partition_subalgoE3EjNS0_10empty_typeEbEEZZNS1_14partition_implILS8_3ELb0ES6_jNS0_17counting_iteratorIjlEEPS9_SE_NS0_5tupleIJPjSE_EEENSF_IJSE_SE_EEES9_SG_JZNS1_25segmented_radix_sort_implINS0_14default_configELb1EPKiPiPKlPlN2at6native12_GLOBAL__N_18offset_tEEE10hipError_tPvRmT1_PNSt15iterator_traitsISY_E10value_typeET2_T3_PNSZ_IS14_E10value_typeET4_jRbjT5_S1A_jjP12ihipStream_tbEUljE_EEESV_SW_SX_S14_S18_S1A_T6_T7_T9_mT8_S1C_bDpT10_ENKUlT_T0_E_clISt17integral_constantIbLb1EES1O_IbLb0EEEEDaS1K_S1L_EUlS1K_E_NS1_11comp_targetILNS1_3genE3ELNS1_11target_archE908ELNS1_3gpuE7ELNS1_3repE0EEENS1_30default_config_static_selectorELNS0_4arch9wavefront6targetE0EEEvSY_.num_vgpr, 0
	.set _ZN7rocprim17ROCPRIM_400000_NS6detail17trampoline_kernelINS0_13select_configILj256ELj13ELNS0_17block_load_methodE3ELS4_3ELS4_3ELNS0_20block_scan_algorithmE0ELj4294967295EEENS1_25partition_config_selectorILNS1_17partition_subalgoE3EjNS0_10empty_typeEbEEZZNS1_14partition_implILS8_3ELb0ES6_jNS0_17counting_iteratorIjlEEPS9_SE_NS0_5tupleIJPjSE_EEENSF_IJSE_SE_EEES9_SG_JZNS1_25segmented_radix_sort_implINS0_14default_configELb1EPKiPiPKlPlN2at6native12_GLOBAL__N_18offset_tEEE10hipError_tPvRmT1_PNSt15iterator_traitsISY_E10value_typeET2_T3_PNSZ_IS14_E10value_typeET4_jRbjT5_S1A_jjP12ihipStream_tbEUljE_EEESV_SW_SX_S14_S18_S1A_T6_T7_T9_mT8_S1C_bDpT10_ENKUlT_T0_E_clISt17integral_constantIbLb1EES1O_IbLb0EEEEDaS1K_S1L_EUlS1K_E_NS1_11comp_targetILNS1_3genE3ELNS1_11target_archE908ELNS1_3gpuE7ELNS1_3repE0EEENS1_30default_config_static_selectorELNS0_4arch9wavefront6targetE0EEEvSY_.num_agpr, 0
	.set _ZN7rocprim17ROCPRIM_400000_NS6detail17trampoline_kernelINS0_13select_configILj256ELj13ELNS0_17block_load_methodE3ELS4_3ELS4_3ELNS0_20block_scan_algorithmE0ELj4294967295EEENS1_25partition_config_selectorILNS1_17partition_subalgoE3EjNS0_10empty_typeEbEEZZNS1_14partition_implILS8_3ELb0ES6_jNS0_17counting_iteratorIjlEEPS9_SE_NS0_5tupleIJPjSE_EEENSF_IJSE_SE_EEES9_SG_JZNS1_25segmented_radix_sort_implINS0_14default_configELb1EPKiPiPKlPlN2at6native12_GLOBAL__N_18offset_tEEE10hipError_tPvRmT1_PNSt15iterator_traitsISY_E10value_typeET2_T3_PNSZ_IS14_E10value_typeET4_jRbjT5_S1A_jjP12ihipStream_tbEUljE_EEESV_SW_SX_S14_S18_S1A_T6_T7_T9_mT8_S1C_bDpT10_ENKUlT_T0_E_clISt17integral_constantIbLb1EES1O_IbLb0EEEEDaS1K_S1L_EUlS1K_E_NS1_11comp_targetILNS1_3genE3ELNS1_11target_archE908ELNS1_3gpuE7ELNS1_3repE0EEENS1_30default_config_static_selectorELNS0_4arch9wavefront6targetE0EEEvSY_.numbered_sgpr, 0
	.set _ZN7rocprim17ROCPRIM_400000_NS6detail17trampoline_kernelINS0_13select_configILj256ELj13ELNS0_17block_load_methodE3ELS4_3ELS4_3ELNS0_20block_scan_algorithmE0ELj4294967295EEENS1_25partition_config_selectorILNS1_17partition_subalgoE3EjNS0_10empty_typeEbEEZZNS1_14partition_implILS8_3ELb0ES6_jNS0_17counting_iteratorIjlEEPS9_SE_NS0_5tupleIJPjSE_EEENSF_IJSE_SE_EEES9_SG_JZNS1_25segmented_radix_sort_implINS0_14default_configELb1EPKiPiPKlPlN2at6native12_GLOBAL__N_18offset_tEEE10hipError_tPvRmT1_PNSt15iterator_traitsISY_E10value_typeET2_T3_PNSZ_IS14_E10value_typeET4_jRbjT5_S1A_jjP12ihipStream_tbEUljE_EEESV_SW_SX_S14_S18_S1A_T6_T7_T9_mT8_S1C_bDpT10_ENKUlT_T0_E_clISt17integral_constantIbLb1EES1O_IbLb0EEEEDaS1K_S1L_EUlS1K_E_NS1_11comp_targetILNS1_3genE3ELNS1_11target_archE908ELNS1_3gpuE7ELNS1_3repE0EEENS1_30default_config_static_selectorELNS0_4arch9wavefront6targetE0EEEvSY_.num_named_barrier, 0
	.set _ZN7rocprim17ROCPRIM_400000_NS6detail17trampoline_kernelINS0_13select_configILj256ELj13ELNS0_17block_load_methodE3ELS4_3ELS4_3ELNS0_20block_scan_algorithmE0ELj4294967295EEENS1_25partition_config_selectorILNS1_17partition_subalgoE3EjNS0_10empty_typeEbEEZZNS1_14partition_implILS8_3ELb0ES6_jNS0_17counting_iteratorIjlEEPS9_SE_NS0_5tupleIJPjSE_EEENSF_IJSE_SE_EEES9_SG_JZNS1_25segmented_radix_sort_implINS0_14default_configELb1EPKiPiPKlPlN2at6native12_GLOBAL__N_18offset_tEEE10hipError_tPvRmT1_PNSt15iterator_traitsISY_E10value_typeET2_T3_PNSZ_IS14_E10value_typeET4_jRbjT5_S1A_jjP12ihipStream_tbEUljE_EEESV_SW_SX_S14_S18_S1A_T6_T7_T9_mT8_S1C_bDpT10_ENKUlT_T0_E_clISt17integral_constantIbLb1EES1O_IbLb0EEEEDaS1K_S1L_EUlS1K_E_NS1_11comp_targetILNS1_3genE3ELNS1_11target_archE908ELNS1_3gpuE7ELNS1_3repE0EEENS1_30default_config_static_selectorELNS0_4arch9wavefront6targetE0EEEvSY_.private_seg_size, 0
	.set _ZN7rocprim17ROCPRIM_400000_NS6detail17trampoline_kernelINS0_13select_configILj256ELj13ELNS0_17block_load_methodE3ELS4_3ELS4_3ELNS0_20block_scan_algorithmE0ELj4294967295EEENS1_25partition_config_selectorILNS1_17partition_subalgoE3EjNS0_10empty_typeEbEEZZNS1_14partition_implILS8_3ELb0ES6_jNS0_17counting_iteratorIjlEEPS9_SE_NS0_5tupleIJPjSE_EEENSF_IJSE_SE_EEES9_SG_JZNS1_25segmented_radix_sort_implINS0_14default_configELb1EPKiPiPKlPlN2at6native12_GLOBAL__N_18offset_tEEE10hipError_tPvRmT1_PNSt15iterator_traitsISY_E10value_typeET2_T3_PNSZ_IS14_E10value_typeET4_jRbjT5_S1A_jjP12ihipStream_tbEUljE_EEESV_SW_SX_S14_S18_S1A_T6_T7_T9_mT8_S1C_bDpT10_ENKUlT_T0_E_clISt17integral_constantIbLb1EES1O_IbLb0EEEEDaS1K_S1L_EUlS1K_E_NS1_11comp_targetILNS1_3genE3ELNS1_11target_archE908ELNS1_3gpuE7ELNS1_3repE0EEENS1_30default_config_static_selectorELNS0_4arch9wavefront6targetE0EEEvSY_.uses_vcc, 0
	.set _ZN7rocprim17ROCPRIM_400000_NS6detail17trampoline_kernelINS0_13select_configILj256ELj13ELNS0_17block_load_methodE3ELS4_3ELS4_3ELNS0_20block_scan_algorithmE0ELj4294967295EEENS1_25partition_config_selectorILNS1_17partition_subalgoE3EjNS0_10empty_typeEbEEZZNS1_14partition_implILS8_3ELb0ES6_jNS0_17counting_iteratorIjlEEPS9_SE_NS0_5tupleIJPjSE_EEENSF_IJSE_SE_EEES9_SG_JZNS1_25segmented_radix_sort_implINS0_14default_configELb1EPKiPiPKlPlN2at6native12_GLOBAL__N_18offset_tEEE10hipError_tPvRmT1_PNSt15iterator_traitsISY_E10value_typeET2_T3_PNSZ_IS14_E10value_typeET4_jRbjT5_S1A_jjP12ihipStream_tbEUljE_EEESV_SW_SX_S14_S18_S1A_T6_T7_T9_mT8_S1C_bDpT10_ENKUlT_T0_E_clISt17integral_constantIbLb1EES1O_IbLb0EEEEDaS1K_S1L_EUlS1K_E_NS1_11comp_targetILNS1_3genE3ELNS1_11target_archE908ELNS1_3gpuE7ELNS1_3repE0EEENS1_30default_config_static_selectorELNS0_4arch9wavefront6targetE0EEEvSY_.uses_flat_scratch, 0
	.set _ZN7rocprim17ROCPRIM_400000_NS6detail17trampoline_kernelINS0_13select_configILj256ELj13ELNS0_17block_load_methodE3ELS4_3ELS4_3ELNS0_20block_scan_algorithmE0ELj4294967295EEENS1_25partition_config_selectorILNS1_17partition_subalgoE3EjNS0_10empty_typeEbEEZZNS1_14partition_implILS8_3ELb0ES6_jNS0_17counting_iteratorIjlEEPS9_SE_NS0_5tupleIJPjSE_EEENSF_IJSE_SE_EEES9_SG_JZNS1_25segmented_radix_sort_implINS0_14default_configELb1EPKiPiPKlPlN2at6native12_GLOBAL__N_18offset_tEEE10hipError_tPvRmT1_PNSt15iterator_traitsISY_E10value_typeET2_T3_PNSZ_IS14_E10value_typeET4_jRbjT5_S1A_jjP12ihipStream_tbEUljE_EEESV_SW_SX_S14_S18_S1A_T6_T7_T9_mT8_S1C_bDpT10_ENKUlT_T0_E_clISt17integral_constantIbLb1EES1O_IbLb0EEEEDaS1K_S1L_EUlS1K_E_NS1_11comp_targetILNS1_3genE3ELNS1_11target_archE908ELNS1_3gpuE7ELNS1_3repE0EEENS1_30default_config_static_selectorELNS0_4arch9wavefront6targetE0EEEvSY_.has_dyn_sized_stack, 0
	.set _ZN7rocprim17ROCPRIM_400000_NS6detail17trampoline_kernelINS0_13select_configILj256ELj13ELNS0_17block_load_methodE3ELS4_3ELS4_3ELNS0_20block_scan_algorithmE0ELj4294967295EEENS1_25partition_config_selectorILNS1_17partition_subalgoE3EjNS0_10empty_typeEbEEZZNS1_14partition_implILS8_3ELb0ES6_jNS0_17counting_iteratorIjlEEPS9_SE_NS0_5tupleIJPjSE_EEENSF_IJSE_SE_EEES9_SG_JZNS1_25segmented_radix_sort_implINS0_14default_configELb1EPKiPiPKlPlN2at6native12_GLOBAL__N_18offset_tEEE10hipError_tPvRmT1_PNSt15iterator_traitsISY_E10value_typeET2_T3_PNSZ_IS14_E10value_typeET4_jRbjT5_S1A_jjP12ihipStream_tbEUljE_EEESV_SW_SX_S14_S18_S1A_T6_T7_T9_mT8_S1C_bDpT10_ENKUlT_T0_E_clISt17integral_constantIbLb1EES1O_IbLb0EEEEDaS1K_S1L_EUlS1K_E_NS1_11comp_targetILNS1_3genE3ELNS1_11target_archE908ELNS1_3gpuE7ELNS1_3repE0EEENS1_30default_config_static_selectorELNS0_4arch9wavefront6targetE0EEEvSY_.has_recursion, 0
	.set _ZN7rocprim17ROCPRIM_400000_NS6detail17trampoline_kernelINS0_13select_configILj256ELj13ELNS0_17block_load_methodE3ELS4_3ELS4_3ELNS0_20block_scan_algorithmE0ELj4294967295EEENS1_25partition_config_selectorILNS1_17partition_subalgoE3EjNS0_10empty_typeEbEEZZNS1_14partition_implILS8_3ELb0ES6_jNS0_17counting_iteratorIjlEEPS9_SE_NS0_5tupleIJPjSE_EEENSF_IJSE_SE_EEES9_SG_JZNS1_25segmented_radix_sort_implINS0_14default_configELb1EPKiPiPKlPlN2at6native12_GLOBAL__N_18offset_tEEE10hipError_tPvRmT1_PNSt15iterator_traitsISY_E10value_typeET2_T3_PNSZ_IS14_E10value_typeET4_jRbjT5_S1A_jjP12ihipStream_tbEUljE_EEESV_SW_SX_S14_S18_S1A_T6_T7_T9_mT8_S1C_bDpT10_ENKUlT_T0_E_clISt17integral_constantIbLb1EES1O_IbLb0EEEEDaS1K_S1L_EUlS1K_E_NS1_11comp_targetILNS1_3genE3ELNS1_11target_archE908ELNS1_3gpuE7ELNS1_3repE0EEENS1_30default_config_static_selectorELNS0_4arch9wavefront6targetE0EEEvSY_.has_indirect_call, 0
	.section	.AMDGPU.csdata,"",@progbits
; Kernel info:
; codeLenInByte = 0
; TotalNumSgprs: 0
; NumVgprs: 0
; ScratchSize: 0
; MemoryBound: 0
; FloatMode: 240
; IeeeMode: 1
; LDSByteSize: 0 bytes/workgroup (compile time only)
; SGPRBlocks: 0
; VGPRBlocks: 0
; NumSGPRsForWavesPerEU: 1
; NumVGPRsForWavesPerEU: 1
; NamedBarCnt: 0
; Occupancy: 16
; WaveLimiterHint : 0
; COMPUTE_PGM_RSRC2:SCRATCH_EN: 0
; COMPUTE_PGM_RSRC2:USER_SGPR: 2
; COMPUTE_PGM_RSRC2:TRAP_HANDLER: 0
; COMPUTE_PGM_RSRC2:TGID_X_EN: 1
; COMPUTE_PGM_RSRC2:TGID_Y_EN: 0
; COMPUTE_PGM_RSRC2:TGID_Z_EN: 0
; COMPUTE_PGM_RSRC2:TIDIG_COMP_CNT: 0
	.section	.text._ZN7rocprim17ROCPRIM_400000_NS6detail17trampoline_kernelINS0_13select_configILj256ELj13ELNS0_17block_load_methodE3ELS4_3ELS4_3ELNS0_20block_scan_algorithmE0ELj4294967295EEENS1_25partition_config_selectorILNS1_17partition_subalgoE3EjNS0_10empty_typeEbEEZZNS1_14partition_implILS8_3ELb0ES6_jNS0_17counting_iteratorIjlEEPS9_SE_NS0_5tupleIJPjSE_EEENSF_IJSE_SE_EEES9_SG_JZNS1_25segmented_radix_sort_implINS0_14default_configELb1EPKiPiPKlPlN2at6native12_GLOBAL__N_18offset_tEEE10hipError_tPvRmT1_PNSt15iterator_traitsISY_E10value_typeET2_T3_PNSZ_IS14_E10value_typeET4_jRbjT5_S1A_jjP12ihipStream_tbEUljE_EEESV_SW_SX_S14_S18_S1A_T6_T7_T9_mT8_S1C_bDpT10_ENKUlT_T0_E_clISt17integral_constantIbLb1EES1O_IbLb0EEEEDaS1K_S1L_EUlS1K_E_NS1_11comp_targetILNS1_3genE2ELNS1_11target_archE906ELNS1_3gpuE6ELNS1_3repE0EEENS1_30default_config_static_selectorELNS0_4arch9wavefront6targetE0EEEvSY_,"axG",@progbits,_ZN7rocprim17ROCPRIM_400000_NS6detail17trampoline_kernelINS0_13select_configILj256ELj13ELNS0_17block_load_methodE3ELS4_3ELS4_3ELNS0_20block_scan_algorithmE0ELj4294967295EEENS1_25partition_config_selectorILNS1_17partition_subalgoE3EjNS0_10empty_typeEbEEZZNS1_14partition_implILS8_3ELb0ES6_jNS0_17counting_iteratorIjlEEPS9_SE_NS0_5tupleIJPjSE_EEENSF_IJSE_SE_EEES9_SG_JZNS1_25segmented_radix_sort_implINS0_14default_configELb1EPKiPiPKlPlN2at6native12_GLOBAL__N_18offset_tEEE10hipError_tPvRmT1_PNSt15iterator_traitsISY_E10value_typeET2_T3_PNSZ_IS14_E10value_typeET4_jRbjT5_S1A_jjP12ihipStream_tbEUljE_EEESV_SW_SX_S14_S18_S1A_T6_T7_T9_mT8_S1C_bDpT10_ENKUlT_T0_E_clISt17integral_constantIbLb1EES1O_IbLb0EEEEDaS1K_S1L_EUlS1K_E_NS1_11comp_targetILNS1_3genE2ELNS1_11target_archE906ELNS1_3gpuE6ELNS1_3repE0EEENS1_30default_config_static_selectorELNS0_4arch9wavefront6targetE0EEEvSY_,comdat
	.globl	_ZN7rocprim17ROCPRIM_400000_NS6detail17trampoline_kernelINS0_13select_configILj256ELj13ELNS0_17block_load_methodE3ELS4_3ELS4_3ELNS0_20block_scan_algorithmE0ELj4294967295EEENS1_25partition_config_selectorILNS1_17partition_subalgoE3EjNS0_10empty_typeEbEEZZNS1_14partition_implILS8_3ELb0ES6_jNS0_17counting_iteratorIjlEEPS9_SE_NS0_5tupleIJPjSE_EEENSF_IJSE_SE_EEES9_SG_JZNS1_25segmented_radix_sort_implINS0_14default_configELb1EPKiPiPKlPlN2at6native12_GLOBAL__N_18offset_tEEE10hipError_tPvRmT1_PNSt15iterator_traitsISY_E10value_typeET2_T3_PNSZ_IS14_E10value_typeET4_jRbjT5_S1A_jjP12ihipStream_tbEUljE_EEESV_SW_SX_S14_S18_S1A_T6_T7_T9_mT8_S1C_bDpT10_ENKUlT_T0_E_clISt17integral_constantIbLb1EES1O_IbLb0EEEEDaS1K_S1L_EUlS1K_E_NS1_11comp_targetILNS1_3genE2ELNS1_11target_archE906ELNS1_3gpuE6ELNS1_3repE0EEENS1_30default_config_static_selectorELNS0_4arch9wavefront6targetE0EEEvSY_ ; -- Begin function _ZN7rocprim17ROCPRIM_400000_NS6detail17trampoline_kernelINS0_13select_configILj256ELj13ELNS0_17block_load_methodE3ELS4_3ELS4_3ELNS0_20block_scan_algorithmE0ELj4294967295EEENS1_25partition_config_selectorILNS1_17partition_subalgoE3EjNS0_10empty_typeEbEEZZNS1_14partition_implILS8_3ELb0ES6_jNS0_17counting_iteratorIjlEEPS9_SE_NS0_5tupleIJPjSE_EEENSF_IJSE_SE_EEES9_SG_JZNS1_25segmented_radix_sort_implINS0_14default_configELb1EPKiPiPKlPlN2at6native12_GLOBAL__N_18offset_tEEE10hipError_tPvRmT1_PNSt15iterator_traitsISY_E10value_typeET2_T3_PNSZ_IS14_E10value_typeET4_jRbjT5_S1A_jjP12ihipStream_tbEUljE_EEESV_SW_SX_S14_S18_S1A_T6_T7_T9_mT8_S1C_bDpT10_ENKUlT_T0_E_clISt17integral_constantIbLb1EES1O_IbLb0EEEEDaS1K_S1L_EUlS1K_E_NS1_11comp_targetILNS1_3genE2ELNS1_11target_archE906ELNS1_3gpuE6ELNS1_3repE0EEENS1_30default_config_static_selectorELNS0_4arch9wavefront6targetE0EEEvSY_
	.p2align	8
	.type	_ZN7rocprim17ROCPRIM_400000_NS6detail17trampoline_kernelINS0_13select_configILj256ELj13ELNS0_17block_load_methodE3ELS4_3ELS4_3ELNS0_20block_scan_algorithmE0ELj4294967295EEENS1_25partition_config_selectorILNS1_17partition_subalgoE3EjNS0_10empty_typeEbEEZZNS1_14partition_implILS8_3ELb0ES6_jNS0_17counting_iteratorIjlEEPS9_SE_NS0_5tupleIJPjSE_EEENSF_IJSE_SE_EEES9_SG_JZNS1_25segmented_radix_sort_implINS0_14default_configELb1EPKiPiPKlPlN2at6native12_GLOBAL__N_18offset_tEEE10hipError_tPvRmT1_PNSt15iterator_traitsISY_E10value_typeET2_T3_PNSZ_IS14_E10value_typeET4_jRbjT5_S1A_jjP12ihipStream_tbEUljE_EEESV_SW_SX_S14_S18_S1A_T6_T7_T9_mT8_S1C_bDpT10_ENKUlT_T0_E_clISt17integral_constantIbLb1EES1O_IbLb0EEEEDaS1K_S1L_EUlS1K_E_NS1_11comp_targetILNS1_3genE2ELNS1_11target_archE906ELNS1_3gpuE6ELNS1_3repE0EEENS1_30default_config_static_selectorELNS0_4arch9wavefront6targetE0EEEvSY_,@function
_ZN7rocprim17ROCPRIM_400000_NS6detail17trampoline_kernelINS0_13select_configILj256ELj13ELNS0_17block_load_methodE3ELS4_3ELS4_3ELNS0_20block_scan_algorithmE0ELj4294967295EEENS1_25partition_config_selectorILNS1_17partition_subalgoE3EjNS0_10empty_typeEbEEZZNS1_14partition_implILS8_3ELb0ES6_jNS0_17counting_iteratorIjlEEPS9_SE_NS0_5tupleIJPjSE_EEENSF_IJSE_SE_EEES9_SG_JZNS1_25segmented_radix_sort_implINS0_14default_configELb1EPKiPiPKlPlN2at6native12_GLOBAL__N_18offset_tEEE10hipError_tPvRmT1_PNSt15iterator_traitsISY_E10value_typeET2_T3_PNSZ_IS14_E10value_typeET4_jRbjT5_S1A_jjP12ihipStream_tbEUljE_EEESV_SW_SX_S14_S18_S1A_T6_T7_T9_mT8_S1C_bDpT10_ENKUlT_T0_E_clISt17integral_constantIbLb1EES1O_IbLb0EEEEDaS1K_S1L_EUlS1K_E_NS1_11comp_targetILNS1_3genE2ELNS1_11target_archE906ELNS1_3gpuE6ELNS1_3repE0EEENS1_30default_config_static_selectorELNS0_4arch9wavefront6targetE0EEEvSY_: ; @_ZN7rocprim17ROCPRIM_400000_NS6detail17trampoline_kernelINS0_13select_configILj256ELj13ELNS0_17block_load_methodE3ELS4_3ELS4_3ELNS0_20block_scan_algorithmE0ELj4294967295EEENS1_25partition_config_selectorILNS1_17partition_subalgoE3EjNS0_10empty_typeEbEEZZNS1_14partition_implILS8_3ELb0ES6_jNS0_17counting_iteratorIjlEEPS9_SE_NS0_5tupleIJPjSE_EEENSF_IJSE_SE_EEES9_SG_JZNS1_25segmented_radix_sort_implINS0_14default_configELb1EPKiPiPKlPlN2at6native12_GLOBAL__N_18offset_tEEE10hipError_tPvRmT1_PNSt15iterator_traitsISY_E10value_typeET2_T3_PNSZ_IS14_E10value_typeET4_jRbjT5_S1A_jjP12ihipStream_tbEUljE_EEESV_SW_SX_S14_S18_S1A_T6_T7_T9_mT8_S1C_bDpT10_ENKUlT_T0_E_clISt17integral_constantIbLb1EES1O_IbLb0EEEEDaS1K_S1L_EUlS1K_E_NS1_11comp_targetILNS1_3genE2ELNS1_11target_archE906ELNS1_3gpuE6ELNS1_3repE0EEENS1_30default_config_static_selectorELNS0_4arch9wavefront6targetE0EEEvSY_
; %bb.0:
	.section	.rodata,"a",@progbits
	.p2align	6, 0x0
	.amdhsa_kernel _ZN7rocprim17ROCPRIM_400000_NS6detail17trampoline_kernelINS0_13select_configILj256ELj13ELNS0_17block_load_methodE3ELS4_3ELS4_3ELNS0_20block_scan_algorithmE0ELj4294967295EEENS1_25partition_config_selectorILNS1_17partition_subalgoE3EjNS0_10empty_typeEbEEZZNS1_14partition_implILS8_3ELb0ES6_jNS0_17counting_iteratorIjlEEPS9_SE_NS0_5tupleIJPjSE_EEENSF_IJSE_SE_EEES9_SG_JZNS1_25segmented_radix_sort_implINS0_14default_configELb1EPKiPiPKlPlN2at6native12_GLOBAL__N_18offset_tEEE10hipError_tPvRmT1_PNSt15iterator_traitsISY_E10value_typeET2_T3_PNSZ_IS14_E10value_typeET4_jRbjT5_S1A_jjP12ihipStream_tbEUljE_EEESV_SW_SX_S14_S18_S1A_T6_T7_T9_mT8_S1C_bDpT10_ENKUlT_T0_E_clISt17integral_constantIbLb1EES1O_IbLb0EEEEDaS1K_S1L_EUlS1K_E_NS1_11comp_targetILNS1_3genE2ELNS1_11target_archE906ELNS1_3gpuE6ELNS1_3repE0EEENS1_30default_config_static_selectorELNS0_4arch9wavefront6targetE0EEEvSY_
		.amdhsa_group_segment_fixed_size 0
		.amdhsa_private_segment_fixed_size 0
		.amdhsa_kernarg_size 144
		.amdhsa_user_sgpr_count 2
		.amdhsa_user_sgpr_dispatch_ptr 0
		.amdhsa_user_sgpr_queue_ptr 0
		.amdhsa_user_sgpr_kernarg_segment_ptr 1
		.amdhsa_user_sgpr_dispatch_id 0
		.amdhsa_user_sgpr_kernarg_preload_length 0
		.amdhsa_user_sgpr_kernarg_preload_offset 0
		.amdhsa_user_sgpr_private_segment_size 0
		.amdhsa_wavefront_size32 1
		.amdhsa_uses_dynamic_stack 0
		.amdhsa_enable_private_segment 0
		.amdhsa_system_sgpr_workgroup_id_x 1
		.amdhsa_system_sgpr_workgroup_id_y 0
		.amdhsa_system_sgpr_workgroup_id_z 0
		.amdhsa_system_sgpr_workgroup_info 0
		.amdhsa_system_vgpr_workitem_id 0
		.amdhsa_next_free_vgpr 1
		.amdhsa_next_free_sgpr 1
		.amdhsa_named_barrier_count 0
		.amdhsa_reserve_vcc 0
		.amdhsa_float_round_mode_32 0
		.amdhsa_float_round_mode_16_64 0
		.amdhsa_float_denorm_mode_32 3
		.amdhsa_float_denorm_mode_16_64 3
		.amdhsa_fp16_overflow 0
		.amdhsa_memory_ordered 1
		.amdhsa_forward_progress 1
		.amdhsa_inst_pref_size 0
		.amdhsa_round_robin_scheduling 0
		.amdhsa_exception_fp_ieee_invalid_op 0
		.amdhsa_exception_fp_denorm_src 0
		.amdhsa_exception_fp_ieee_div_zero 0
		.amdhsa_exception_fp_ieee_overflow 0
		.amdhsa_exception_fp_ieee_underflow 0
		.amdhsa_exception_fp_ieee_inexact 0
		.amdhsa_exception_int_div_zero 0
	.end_amdhsa_kernel
	.section	.text._ZN7rocprim17ROCPRIM_400000_NS6detail17trampoline_kernelINS0_13select_configILj256ELj13ELNS0_17block_load_methodE3ELS4_3ELS4_3ELNS0_20block_scan_algorithmE0ELj4294967295EEENS1_25partition_config_selectorILNS1_17partition_subalgoE3EjNS0_10empty_typeEbEEZZNS1_14partition_implILS8_3ELb0ES6_jNS0_17counting_iteratorIjlEEPS9_SE_NS0_5tupleIJPjSE_EEENSF_IJSE_SE_EEES9_SG_JZNS1_25segmented_radix_sort_implINS0_14default_configELb1EPKiPiPKlPlN2at6native12_GLOBAL__N_18offset_tEEE10hipError_tPvRmT1_PNSt15iterator_traitsISY_E10value_typeET2_T3_PNSZ_IS14_E10value_typeET4_jRbjT5_S1A_jjP12ihipStream_tbEUljE_EEESV_SW_SX_S14_S18_S1A_T6_T7_T9_mT8_S1C_bDpT10_ENKUlT_T0_E_clISt17integral_constantIbLb1EES1O_IbLb0EEEEDaS1K_S1L_EUlS1K_E_NS1_11comp_targetILNS1_3genE2ELNS1_11target_archE906ELNS1_3gpuE6ELNS1_3repE0EEENS1_30default_config_static_selectorELNS0_4arch9wavefront6targetE0EEEvSY_,"axG",@progbits,_ZN7rocprim17ROCPRIM_400000_NS6detail17trampoline_kernelINS0_13select_configILj256ELj13ELNS0_17block_load_methodE3ELS4_3ELS4_3ELNS0_20block_scan_algorithmE0ELj4294967295EEENS1_25partition_config_selectorILNS1_17partition_subalgoE3EjNS0_10empty_typeEbEEZZNS1_14partition_implILS8_3ELb0ES6_jNS0_17counting_iteratorIjlEEPS9_SE_NS0_5tupleIJPjSE_EEENSF_IJSE_SE_EEES9_SG_JZNS1_25segmented_radix_sort_implINS0_14default_configELb1EPKiPiPKlPlN2at6native12_GLOBAL__N_18offset_tEEE10hipError_tPvRmT1_PNSt15iterator_traitsISY_E10value_typeET2_T3_PNSZ_IS14_E10value_typeET4_jRbjT5_S1A_jjP12ihipStream_tbEUljE_EEESV_SW_SX_S14_S18_S1A_T6_T7_T9_mT8_S1C_bDpT10_ENKUlT_T0_E_clISt17integral_constantIbLb1EES1O_IbLb0EEEEDaS1K_S1L_EUlS1K_E_NS1_11comp_targetILNS1_3genE2ELNS1_11target_archE906ELNS1_3gpuE6ELNS1_3repE0EEENS1_30default_config_static_selectorELNS0_4arch9wavefront6targetE0EEEvSY_,comdat
.Lfunc_end481:
	.size	_ZN7rocprim17ROCPRIM_400000_NS6detail17trampoline_kernelINS0_13select_configILj256ELj13ELNS0_17block_load_methodE3ELS4_3ELS4_3ELNS0_20block_scan_algorithmE0ELj4294967295EEENS1_25partition_config_selectorILNS1_17partition_subalgoE3EjNS0_10empty_typeEbEEZZNS1_14partition_implILS8_3ELb0ES6_jNS0_17counting_iteratorIjlEEPS9_SE_NS0_5tupleIJPjSE_EEENSF_IJSE_SE_EEES9_SG_JZNS1_25segmented_radix_sort_implINS0_14default_configELb1EPKiPiPKlPlN2at6native12_GLOBAL__N_18offset_tEEE10hipError_tPvRmT1_PNSt15iterator_traitsISY_E10value_typeET2_T3_PNSZ_IS14_E10value_typeET4_jRbjT5_S1A_jjP12ihipStream_tbEUljE_EEESV_SW_SX_S14_S18_S1A_T6_T7_T9_mT8_S1C_bDpT10_ENKUlT_T0_E_clISt17integral_constantIbLb1EES1O_IbLb0EEEEDaS1K_S1L_EUlS1K_E_NS1_11comp_targetILNS1_3genE2ELNS1_11target_archE906ELNS1_3gpuE6ELNS1_3repE0EEENS1_30default_config_static_selectorELNS0_4arch9wavefront6targetE0EEEvSY_, .Lfunc_end481-_ZN7rocprim17ROCPRIM_400000_NS6detail17trampoline_kernelINS0_13select_configILj256ELj13ELNS0_17block_load_methodE3ELS4_3ELS4_3ELNS0_20block_scan_algorithmE0ELj4294967295EEENS1_25partition_config_selectorILNS1_17partition_subalgoE3EjNS0_10empty_typeEbEEZZNS1_14partition_implILS8_3ELb0ES6_jNS0_17counting_iteratorIjlEEPS9_SE_NS0_5tupleIJPjSE_EEENSF_IJSE_SE_EEES9_SG_JZNS1_25segmented_radix_sort_implINS0_14default_configELb1EPKiPiPKlPlN2at6native12_GLOBAL__N_18offset_tEEE10hipError_tPvRmT1_PNSt15iterator_traitsISY_E10value_typeET2_T3_PNSZ_IS14_E10value_typeET4_jRbjT5_S1A_jjP12ihipStream_tbEUljE_EEESV_SW_SX_S14_S18_S1A_T6_T7_T9_mT8_S1C_bDpT10_ENKUlT_T0_E_clISt17integral_constantIbLb1EES1O_IbLb0EEEEDaS1K_S1L_EUlS1K_E_NS1_11comp_targetILNS1_3genE2ELNS1_11target_archE906ELNS1_3gpuE6ELNS1_3repE0EEENS1_30default_config_static_selectorELNS0_4arch9wavefront6targetE0EEEvSY_
                                        ; -- End function
	.set _ZN7rocprim17ROCPRIM_400000_NS6detail17trampoline_kernelINS0_13select_configILj256ELj13ELNS0_17block_load_methodE3ELS4_3ELS4_3ELNS0_20block_scan_algorithmE0ELj4294967295EEENS1_25partition_config_selectorILNS1_17partition_subalgoE3EjNS0_10empty_typeEbEEZZNS1_14partition_implILS8_3ELb0ES6_jNS0_17counting_iteratorIjlEEPS9_SE_NS0_5tupleIJPjSE_EEENSF_IJSE_SE_EEES9_SG_JZNS1_25segmented_radix_sort_implINS0_14default_configELb1EPKiPiPKlPlN2at6native12_GLOBAL__N_18offset_tEEE10hipError_tPvRmT1_PNSt15iterator_traitsISY_E10value_typeET2_T3_PNSZ_IS14_E10value_typeET4_jRbjT5_S1A_jjP12ihipStream_tbEUljE_EEESV_SW_SX_S14_S18_S1A_T6_T7_T9_mT8_S1C_bDpT10_ENKUlT_T0_E_clISt17integral_constantIbLb1EES1O_IbLb0EEEEDaS1K_S1L_EUlS1K_E_NS1_11comp_targetILNS1_3genE2ELNS1_11target_archE906ELNS1_3gpuE6ELNS1_3repE0EEENS1_30default_config_static_selectorELNS0_4arch9wavefront6targetE0EEEvSY_.num_vgpr, 0
	.set _ZN7rocprim17ROCPRIM_400000_NS6detail17trampoline_kernelINS0_13select_configILj256ELj13ELNS0_17block_load_methodE3ELS4_3ELS4_3ELNS0_20block_scan_algorithmE0ELj4294967295EEENS1_25partition_config_selectorILNS1_17partition_subalgoE3EjNS0_10empty_typeEbEEZZNS1_14partition_implILS8_3ELb0ES6_jNS0_17counting_iteratorIjlEEPS9_SE_NS0_5tupleIJPjSE_EEENSF_IJSE_SE_EEES9_SG_JZNS1_25segmented_radix_sort_implINS0_14default_configELb1EPKiPiPKlPlN2at6native12_GLOBAL__N_18offset_tEEE10hipError_tPvRmT1_PNSt15iterator_traitsISY_E10value_typeET2_T3_PNSZ_IS14_E10value_typeET4_jRbjT5_S1A_jjP12ihipStream_tbEUljE_EEESV_SW_SX_S14_S18_S1A_T6_T7_T9_mT8_S1C_bDpT10_ENKUlT_T0_E_clISt17integral_constantIbLb1EES1O_IbLb0EEEEDaS1K_S1L_EUlS1K_E_NS1_11comp_targetILNS1_3genE2ELNS1_11target_archE906ELNS1_3gpuE6ELNS1_3repE0EEENS1_30default_config_static_selectorELNS0_4arch9wavefront6targetE0EEEvSY_.num_agpr, 0
	.set _ZN7rocprim17ROCPRIM_400000_NS6detail17trampoline_kernelINS0_13select_configILj256ELj13ELNS0_17block_load_methodE3ELS4_3ELS4_3ELNS0_20block_scan_algorithmE0ELj4294967295EEENS1_25partition_config_selectorILNS1_17partition_subalgoE3EjNS0_10empty_typeEbEEZZNS1_14partition_implILS8_3ELb0ES6_jNS0_17counting_iteratorIjlEEPS9_SE_NS0_5tupleIJPjSE_EEENSF_IJSE_SE_EEES9_SG_JZNS1_25segmented_radix_sort_implINS0_14default_configELb1EPKiPiPKlPlN2at6native12_GLOBAL__N_18offset_tEEE10hipError_tPvRmT1_PNSt15iterator_traitsISY_E10value_typeET2_T3_PNSZ_IS14_E10value_typeET4_jRbjT5_S1A_jjP12ihipStream_tbEUljE_EEESV_SW_SX_S14_S18_S1A_T6_T7_T9_mT8_S1C_bDpT10_ENKUlT_T0_E_clISt17integral_constantIbLb1EES1O_IbLb0EEEEDaS1K_S1L_EUlS1K_E_NS1_11comp_targetILNS1_3genE2ELNS1_11target_archE906ELNS1_3gpuE6ELNS1_3repE0EEENS1_30default_config_static_selectorELNS0_4arch9wavefront6targetE0EEEvSY_.numbered_sgpr, 0
	.set _ZN7rocprim17ROCPRIM_400000_NS6detail17trampoline_kernelINS0_13select_configILj256ELj13ELNS0_17block_load_methodE3ELS4_3ELS4_3ELNS0_20block_scan_algorithmE0ELj4294967295EEENS1_25partition_config_selectorILNS1_17partition_subalgoE3EjNS0_10empty_typeEbEEZZNS1_14partition_implILS8_3ELb0ES6_jNS0_17counting_iteratorIjlEEPS9_SE_NS0_5tupleIJPjSE_EEENSF_IJSE_SE_EEES9_SG_JZNS1_25segmented_radix_sort_implINS0_14default_configELb1EPKiPiPKlPlN2at6native12_GLOBAL__N_18offset_tEEE10hipError_tPvRmT1_PNSt15iterator_traitsISY_E10value_typeET2_T3_PNSZ_IS14_E10value_typeET4_jRbjT5_S1A_jjP12ihipStream_tbEUljE_EEESV_SW_SX_S14_S18_S1A_T6_T7_T9_mT8_S1C_bDpT10_ENKUlT_T0_E_clISt17integral_constantIbLb1EES1O_IbLb0EEEEDaS1K_S1L_EUlS1K_E_NS1_11comp_targetILNS1_3genE2ELNS1_11target_archE906ELNS1_3gpuE6ELNS1_3repE0EEENS1_30default_config_static_selectorELNS0_4arch9wavefront6targetE0EEEvSY_.num_named_barrier, 0
	.set _ZN7rocprim17ROCPRIM_400000_NS6detail17trampoline_kernelINS0_13select_configILj256ELj13ELNS0_17block_load_methodE3ELS4_3ELS4_3ELNS0_20block_scan_algorithmE0ELj4294967295EEENS1_25partition_config_selectorILNS1_17partition_subalgoE3EjNS0_10empty_typeEbEEZZNS1_14partition_implILS8_3ELb0ES6_jNS0_17counting_iteratorIjlEEPS9_SE_NS0_5tupleIJPjSE_EEENSF_IJSE_SE_EEES9_SG_JZNS1_25segmented_radix_sort_implINS0_14default_configELb1EPKiPiPKlPlN2at6native12_GLOBAL__N_18offset_tEEE10hipError_tPvRmT1_PNSt15iterator_traitsISY_E10value_typeET2_T3_PNSZ_IS14_E10value_typeET4_jRbjT5_S1A_jjP12ihipStream_tbEUljE_EEESV_SW_SX_S14_S18_S1A_T6_T7_T9_mT8_S1C_bDpT10_ENKUlT_T0_E_clISt17integral_constantIbLb1EES1O_IbLb0EEEEDaS1K_S1L_EUlS1K_E_NS1_11comp_targetILNS1_3genE2ELNS1_11target_archE906ELNS1_3gpuE6ELNS1_3repE0EEENS1_30default_config_static_selectorELNS0_4arch9wavefront6targetE0EEEvSY_.private_seg_size, 0
	.set _ZN7rocprim17ROCPRIM_400000_NS6detail17trampoline_kernelINS0_13select_configILj256ELj13ELNS0_17block_load_methodE3ELS4_3ELS4_3ELNS0_20block_scan_algorithmE0ELj4294967295EEENS1_25partition_config_selectorILNS1_17partition_subalgoE3EjNS0_10empty_typeEbEEZZNS1_14partition_implILS8_3ELb0ES6_jNS0_17counting_iteratorIjlEEPS9_SE_NS0_5tupleIJPjSE_EEENSF_IJSE_SE_EEES9_SG_JZNS1_25segmented_radix_sort_implINS0_14default_configELb1EPKiPiPKlPlN2at6native12_GLOBAL__N_18offset_tEEE10hipError_tPvRmT1_PNSt15iterator_traitsISY_E10value_typeET2_T3_PNSZ_IS14_E10value_typeET4_jRbjT5_S1A_jjP12ihipStream_tbEUljE_EEESV_SW_SX_S14_S18_S1A_T6_T7_T9_mT8_S1C_bDpT10_ENKUlT_T0_E_clISt17integral_constantIbLb1EES1O_IbLb0EEEEDaS1K_S1L_EUlS1K_E_NS1_11comp_targetILNS1_3genE2ELNS1_11target_archE906ELNS1_3gpuE6ELNS1_3repE0EEENS1_30default_config_static_selectorELNS0_4arch9wavefront6targetE0EEEvSY_.uses_vcc, 0
	.set _ZN7rocprim17ROCPRIM_400000_NS6detail17trampoline_kernelINS0_13select_configILj256ELj13ELNS0_17block_load_methodE3ELS4_3ELS4_3ELNS0_20block_scan_algorithmE0ELj4294967295EEENS1_25partition_config_selectorILNS1_17partition_subalgoE3EjNS0_10empty_typeEbEEZZNS1_14partition_implILS8_3ELb0ES6_jNS0_17counting_iteratorIjlEEPS9_SE_NS0_5tupleIJPjSE_EEENSF_IJSE_SE_EEES9_SG_JZNS1_25segmented_radix_sort_implINS0_14default_configELb1EPKiPiPKlPlN2at6native12_GLOBAL__N_18offset_tEEE10hipError_tPvRmT1_PNSt15iterator_traitsISY_E10value_typeET2_T3_PNSZ_IS14_E10value_typeET4_jRbjT5_S1A_jjP12ihipStream_tbEUljE_EEESV_SW_SX_S14_S18_S1A_T6_T7_T9_mT8_S1C_bDpT10_ENKUlT_T0_E_clISt17integral_constantIbLb1EES1O_IbLb0EEEEDaS1K_S1L_EUlS1K_E_NS1_11comp_targetILNS1_3genE2ELNS1_11target_archE906ELNS1_3gpuE6ELNS1_3repE0EEENS1_30default_config_static_selectorELNS0_4arch9wavefront6targetE0EEEvSY_.uses_flat_scratch, 0
	.set _ZN7rocprim17ROCPRIM_400000_NS6detail17trampoline_kernelINS0_13select_configILj256ELj13ELNS0_17block_load_methodE3ELS4_3ELS4_3ELNS0_20block_scan_algorithmE0ELj4294967295EEENS1_25partition_config_selectorILNS1_17partition_subalgoE3EjNS0_10empty_typeEbEEZZNS1_14partition_implILS8_3ELb0ES6_jNS0_17counting_iteratorIjlEEPS9_SE_NS0_5tupleIJPjSE_EEENSF_IJSE_SE_EEES9_SG_JZNS1_25segmented_radix_sort_implINS0_14default_configELb1EPKiPiPKlPlN2at6native12_GLOBAL__N_18offset_tEEE10hipError_tPvRmT1_PNSt15iterator_traitsISY_E10value_typeET2_T3_PNSZ_IS14_E10value_typeET4_jRbjT5_S1A_jjP12ihipStream_tbEUljE_EEESV_SW_SX_S14_S18_S1A_T6_T7_T9_mT8_S1C_bDpT10_ENKUlT_T0_E_clISt17integral_constantIbLb1EES1O_IbLb0EEEEDaS1K_S1L_EUlS1K_E_NS1_11comp_targetILNS1_3genE2ELNS1_11target_archE906ELNS1_3gpuE6ELNS1_3repE0EEENS1_30default_config_static_selectorELNS0_4arch9wavefront6targetE0EEEvSY_.has_dyn_sized_stack, 0
	.set _ZN7rocprim17ROCPRIM_400000_NS6detail17trampoline_kernelINS0_13select_configILj256ELj13ELNS0_17block_load_methodE3ELS4_3ELS4_3ELNS0_20block_scan_algorithmE0ELj4294967295EEENS1_25partition_config_selectorILNS1_17partition_subalgoE3EjNS0_10empty_typeEbEEZZNS1_14partition_implILS8_3ELb0ES6_jNS0_17counting_iteratorIjlEEPS9_SE_NS0_5tupleIJPjSE_EEENSF_IJSE_SE_EEES9_SG_JZNS1_25segmented_radix_sort_implINS0_14default_configELb1EPKiPiPKlPlN2at6native12_GLOBAL__N_18offset_tEEE10hipError_tPvRmT1_PNSt15iterator_traitsISY_E10value_typeET2_T3_PNSZ_IS14_E10value_typeET4_jRbjT5_S1A_jjP12ihipStream_tbEUljE_EEESV_SW_SX_S14_S18_S1A_T6_T7_T9_mT8_S1C_bDpT10_ENKUlT_T0_E_clISt17integral_constantIbLb1EES1O_IbLb0EEEEDaS1K_S1L_EUlS1K_E_NS1_11comp_targetILNS1_3genE2ELNS1_11target_archE906ELNS1_3gpuE6ELNS1_3repE0EEENS1_30default_config_static_selectorELNS0_4arch9wavefront6targetE0EEEvSY_.has_recursion, 0
	.set _ZN7rocprim17ROCPRIM_400000_NS6detail17trampoline_kernelINS0_13select_configILj256ELj13ELNS0_17block_load_methodE3ELS4_3ELS4_3ELNS0_20block_scan_algorithmE0ELj4294967295EEENS1_25partition_config_selectorILNS1_17partition_subalgoE3EjNS0_10empty_typeEbEEZZNS1_14partition_implILS8_3ELb0ES6_jNS0_17counting_iteratorIjlEEPS9_SE_NS0_5tupleIJPjSE_EEENSF_IJSE_SE_EEES9_SG_JZNS1_25segmented_radix_sort_implINS0_14default_configELb1EPKiPiPKlPlN2at6native12_GLOBAL__N_18offset_tEEE10hipError_tPvRmT1_PNSt15iterator_traitsISY_E10value_typeET2_T3_PNSZ_IS14_E10value_typeET4_jRbjT5_S1A_jjP12ihipStream_tbEUljE_EEESV_SW_SX_S14_S18_S1A_T6_T7_T9_mT8_S1C_bDpT10_ENKUlT_T0_E_clISt17integral_constantIbLb1EES1O_IbLb0EEEEDaS1K_S1L_EUlS1K_E_NS1_11comp_targetILNS1_3genE2ELNS1_11target_archE906ELNS1_3gpuE6ELNS1_3repE0EEENS1_30default_config_static_selectorELNS0_4arch9wavefront6targetE0EEEvSY_.has_indirect_call, 0
	.section	.AMDGPU.csdata,"",@progbits
; Kernel info:
; codeLenInByte = 0
; TotalNumSgprs: 0
; NumVgprs: 0
; ScratchSize: 0
; MemoryBound: 0
; FloatMode: 240
; IeeeMode: 1
; LDSByteSize: 0 bytes/workgroup (compile time only)
; SGPRBlocks: 0
; VGPRBlocks: 0
; NumSGPRsForWavesPerEU: 1
; NumVGPRsForWavesPerEU: 1
; NamedBarCnt: 0
; Occupancy: 16
; WaveLimiterHint : 0
; COMPUTE_PGM_RSRC2:SCRATCH_EN: 0
; COMPUTE_PGM_RSRC2:USER_SGPR: 2
; COMPUTE_PGM_RSRC2:TRAP_HANDLER: 0
; COMPUTE_PGM_RSRC2:TGID_X_EN: 1
; COMPUTE_PGM_RSRC2:TGID_Y_EN: 0
; COMPUTE_PGM_RSRC2:TGID_Z_EN: 0
; COMPUTE_PGM_RSRC2:TIDIG_COMP_CNT: 0
	.section	.text._ZN7rocprim17ROCPRIM_400000_NS6detail17trampoline_kernelINS0_13select_configILj256ELj13ELNS0_17block_load_methodE3ELS4_3ELS4_3ELNS0_20block_scan_algorithmE0ELj4294967295EEENS1_25partition_config_selectorILNS1_17partition_subalgoE3EjNS0_10empty_typeEbEEZZNS1_14partition_implILS8_3ELb0ES6_jNS0_17counting_iteratorIjlEEPS9_SE_NS0_5tupleIJPjSE_EEENSF_IJSE_SE_EEES9_SG_JZNS1_25segmented_radix_sort_implINS0_14default_configELb1EPKiPiPKlPlN2at6native12_GLOBAL__N_18offset_tEEE10hipError_tPvRmT1_PNSt15iterator_traitsISY_E10value_typeET2_T3_PNSZ_IS14_E10value_typeET4_jRbjT5_S1A_jjP12ihipStream_tbEUljE_EEESV_SW_SX_S14_S18_S1A_T6_T7_T9_mT8_S1C_bDpT10_ENKUlT_T0_E_clISt17integral_constantIbLb1EES1O_IbLb0EEEEDaS1K_S1L_EUlS1K_E_NS1_11comp_targetILNS1_3genE10ELNS1_11target_archE1200ELNS1_3gpuE4ELNS1_3repE0EEENS1_30default_config_static_selectorELNS0_4arch9wavefront6targetE0EEEvSY_,"axG",@progbits,_ZN7rocprim17ROCPRIM_400000_NS6detail17trampoline_kernelINS0_13select_configILj256ELj13ELNS0_17block_load_methodE3ELS4_3ELS4_3ELNS0_20block_scan_algorithmE0ELj4294967295EEENS1_25partition_config_selectorILNS1_17partition_subalgoE3EjNS0_10empty_typeEbEEZZNS1_14partition_implILS8_3ELb0ES6_jNS0_17counting_iteratorIjlEEPS9_SE_NS0_5tupleIJPjSE_EEENSF_IJSE_SE_EEES9_SG_JZNS1_25segmented_radix_sort_implINS0_14default_configELb1EPKiPiPKlPlN2at6native12_GLOBAL__N_18offset_tEEE10hipError_tPvRmT1_PNSt15iterator_traitsISY_E10value_typeET2_T3_PNSZ_IS14_E10value_typeET4_jRbjT5_S1A_jjP12ihipStream_tbEUljE_EEESV_SW_SX_S14_S18_S1A_T6_T7_T9_mT8_S1C_bDpT10_ENKUlT_T0_E_clISt17integral_constantIbLb1EES1O_IbLb0EEEEDaS1K_S1L_EUlS1K_E_NS1_11comp_targetILNS1_3genE10ELNS1_11target_archE1200ELNS1_3gpuE4ELNS1_3repE0EEENS1_30default_config_static_selectorELNS0_4arch9wavefront6targetE0EEEvSY_,comdat
	.globl	_ZN7rocprim17ROCPRIM_400000_NS6detail17trampoline_kernelINS0_13select_configILj256ELj13ELNS0_17block_load_methodE3ELS4_3ELS4_3ELNS0_20block_scan_algorithmE0ELj4294967295EEENS1_25partition_config_selectorILNS1_17partition_subalgoE3EjNS0_10empty_typeEbEEZZNS1_14partition_implILS8_3ELb0ES6_jNS0_17counting_iteratorIjlEEPS9_SE_NS0_5tupleIJPjSE_EEENSF_IJSE_SE_EEES9_SG_JZNS1_25segmented_radix_sort_implINS0_14default_configELb1EPKiPiPKlPlN2at6native12_GLOBAL__N_18offset_tEEE10hipError_tPvRmT1_PNSt15iterator_traitsISY_E10value_typeET2_T3_PNSZ_IS14_E10value_typeET4_jRbjT5_S1A_jjP12ihipStream_tbEUljE_EEESV_SW_SX_S14_S18_S1A_T6_T7_T9_mT8_S1C_bDpT10_ENKUlT_T0_E_clISt17integral_constantIbLb1EES1O_IbLb0EEEEDaS1K_S1L_EUlS1K_E_NS1_11comp_targetILNS1_3genE10ELNS1_11target_archE1200ELNS1_3gpuE4ELNS1_3repE0EEENS1_30default_config_static_selectorELNS0_4arch9wavefront6targetE0EEEvSY_ ; -- Begin function _ZN7rocprim17ROCPRIM_400000_NS6detail17trampoline_kernelINS0_13select_configILj256ELj13ELNS0_17block_load_methodE3ELS4_3ELS4_3ELNS0_20block_scan_algorithmE0ELj4294967295EEENS1_25partition_config_selectorILNS1_17partition_subalgoE3EjNS0_10empty_typeEbEEZZNS1_14partition_implILS8_3ELb0ES6_jNS0_17counting_iteratorIjlEEPS9_SE_NS0_5tupleIJPjSE_EEENSF_IJSE_SE_EEES9_SG_JZNS1_25segmented_radix_sort_implINS0_14default_configELb1EPKiPiPKlPlN2at6native12_GLOBAL__N_18offset_tEEE10hipError_tPvRmT1_PNSt15iterator_traitsISY_E10value_typeET2_T3_PNSZ_IS14_E10value_typeET4_jRbjT5_S1A_jjP12ihipStream_tbEUljE_EEESV_SW_SX_S14_S18_S1A_T6_T7_T9_mT8_S1C_bDpT10_ENKUlT_T0_E_clISt17integral_constantIbLb1EES1O_IbLb0EEEEDaS1K_S1L_EUlS1K_E_NS1_11comp_targetILNS1_3genE10ELNS1_11target_archE1200ELNS1_3gpuE4ELNS1_3repE0EEENS1_30default_config_static_selectorELNS0_4arch9wavefront6targetE0EEEvSY_
	.p2align	8
	.type	_ZN7rocprim17ROCPRIM_400000_NS6detail17trampoline_kernelINS0_13select_configILj256ELj13ELNS0_17block_load_methodE3ELS4_3ELS4_3ELNS0_20block_scan_algorithmE0ELj4294967295EEENS1_25partition_config_selectorILNS1_17partition_subalgoE3EjNS0_10empty_typeEbEEZZNS1_14partition_implILS8_3ELb0ES6_jNS0_17counting_iteratorIjlEEPS9_SE_NS0_5tupleIJPjSE_EEENSF_IJSE_SE_EEES9_SG_JZNS1_25segmented_radix_sort_implINS0_14default_configELb1EPKiPiPKlPlN2at6native12_GLOBAL__N_18offset_tEEE10hipError_tPvRmT1_PNSt15iterator_traitsISY_E10value_typeET2_T3_PNSZ_IS14_E10value_typeET4_jRbjT5_S1A_jjP12ihipStream_tbEUljE_EEESV_SW_SX_S14_S18_S1A_T6_T7_T9_mT8_S1C_bDpT10_ENKUlT_T0_E_clISt17integral_constantIbLb1EES1O_IbLb0EEEEDaS1K_S1L_EUlS1K_E_NS1_11comp_targetILNS1_3genE10ELNS1_11target_archE1200ELNS1_3gpuE4ELNS1_3repE0EEENS1_30default_config_static_selectorELNS0_4arch9wavefront6targetE0EEEvSY_,@function
_ZN7rocprim17ROCPRIM_400000_NS6detail17trampoline_kernelINS0_13select_configILj256ELj13ELNS0_17block_load_methodE3ELS4_3ELS4_3ELNS0_20block_scan_algorithmE0ELj4294967295EEENS1_25partition_config_selectorILNS1_17partition_subalgoE3EjNS0_10empty_typeEbEEZZNS1_14partition_implILS8_3ELb0ES6_jNS0_17counting_iteratorIjlEEPS9_SE_NS0_5tupleIJPjSE_EEENSF_IJSE_SE_EEES9_SG_JZNS1_25segmented_radix_sort_implINS0_14default_configELb1EPKiPiPKlPlN2at6native12_GLOBAL__N_18offset_tEEE10hipError_tPvRmT1_PNSt15iterator_traitsISY_E10value_typeET2_T3_PNSZ_IS14_E10value_typeET4_jRbjT5_S1A_jjP12ihipStream_tbEUljE_EEESV_SW_SX_S14_S18_S1A_T6_T7_T9_mT8_S1C_bDpT10_ENKUlT_T0_E_clISt17integral_constantIbLb1EES1O_IbLb0EEEEDaS1K_S1L_EUlS1K_E_NS1_11comp_targetILNS1_3genE10ELNS1_11target_archE1200ELNS1_3gpuE4ELNS1_3repE0EEENS1_30default_config_static_selectorELNS0_4arch9wavefront6targetE0EEEvSY_: ; @_ZN7rocprim17ROCPRIM_400000_NS6detail17trampoline_kernelINS0_13select_configILj256ELj13ELNS0_17block_load_methodE3ELS4_3ELS4_3ELNS0_20block_scan_algorithmE0ELj4294967295EEENS1_25partition_config_selectorILNS1_17partition_subalgoE3EjNS0_10empty_typeEbEEZZNS1_14partition_implILS8_3ELb0ES6_jNS0_17counting_iteratorIjlEEPS9_SE_NS0_5tupleIJPjSE_EEENSF_IJSE_SE_EEES9_SG_JZNS1_25segmented_radix_sort_implINS0_14default_configELb1EPKiPiPKlPlN2at6native12_GLOBAL__N_18offset_tEEE10hipError_tPvRmT1_PNSt15iterator_traitsISY_E10value_typeET2_T3_PNSZ_IS14_E10value_typeET4_jRbjT5_S1A_jjP12ihipStream_tbEUljE_EEESV_SW_SX_S14_S18_S1A_T6_T7_T9_mT8_S1C_bDpT10_ENKUlT_T0_E_clISt17integral_constantIbLb1EES1O_IbLb0EEEEDaS1K_S1L_EUlS1K_E_NS1_11comp_targetILNS1_3genE10ELNS1_11target_archE1200ELNS1_3gpuE4ELNS1_3repE0EEENS1_30default_config_static_selectorELNS0_4arch9wavefront6targetE0EEEvSY_
; %bb.0:
	.section	.rodata,"a",@progbits
	.p2align	6, 0x0
	.amdhsa_kernel _ZN7rocprim17ROCPRIM_400000_NS6detail17trampoline_kernelINS0_13select_configILj256ELj13ELNS0_17block_load_methodE3ELS4_3ELS4_3ELNS0_20block_scan_algorithmE0ELj4294967295EEENS1_25partition_config_selectorILNS1_17partition_subalgoE3EjNS0_10empty_typeEbEEZZNS1_14partition_implILS8_3ELb0ES6_jNS0_17counting_iteratorIjlEEPS9_SE_NS0_5tupleIJPjSE_EEENSF_IJSE_SE_EEES9_SG_JZNS1_25segmented_radix_sort_implINS0_14default_configELb1EPKiPiPKlPlN2at6native12_GLOBAL__N_18offset_tEEE10hipError_tPvRmT1_PNSt15iterator_traitsISY_E10value_typeET2_T3_PNSZ_IS14_E10value_typeET4_jRbjT5_S1A_jjP12ihipStream_tbEUljE_EEESV_SW_SX_S14_S18_S1A_T6_T7_T9_mT8_S1C_bDpT10_ENKUlT_T0_E_clISt17integral_constantIbLb1EES1O_IbLb0EEEEDaS1K_S1L_EUlS1K_E_NS1_11comp_targetILNS1_3genE10ELNS1_11target_archE1200ELNS1_3gpuE4ELNS1_3repE0EEENS1_30default_config_static_selectorELNS0_4arch9wavefront6targetE0EEEvSY_
		.amdhsa_group_segment_fixed_size 0
		.amdhsa_private_segment_fixed_size 0
		.amdhsa_kernarg_size 144
		.amdhsa_user_sgpr_count 2
		.amdhsa_user_sgpr_dispatch_ptr 0
		.amdhsa_user_sgpr_queue_ptr 0
		.amdhsa_user_sgpr_kernarg_segment_ptr 1
		.amdhsa_user_sgpr_dispatch_id 0
		.amdhsa_user_sgpr_kernarg_preload_length 0
		.amdhsa_user_sgpr_kernarg_preload_offset 0
		.amdhsa_user_sgpr_private_segment_size 0
		.amdhsa_wavefront_size32 1
		.amdhsa_uses_dynamic_stack 0
		.amdhsa_enable_private_segment 0
		.amdhsa_system_sgpr_workgroup_id_x 1
		.amdhsa_system_sgpr_workgroup_id_y 0
		.amdhsa_system_sgpr_workgroup_id_z 0
		.amdhsa_system_sgpr_workgroup_info 0
		.amdhsa_system_vgpr_workitem_id 0
		.amdhsa_next_free_vgpr 1
		.amdhsa_next_free_sgpr 1
		.amdhsa_named_barrier_count 0
		.amdhsa_reserve_vcc 0
		.amdhsa_float_round_mode_32 0
		.amdhsa_float_round_mode_16_64 0
		.amdhsa_float_denorm_mode_32 3
		.amdhsa_float_denorm_mode_16_64 3
		.amdhsa_fp16_overflow 0
		.amdhsa_memory_ordered 1
		.amdhsa_forward_progress 1
		.amdhsa_inst_pref_size 0
		.amdhsa_round_robin_scheduling 0
		.amdhsa_exception_fp_ieee_invalid_op 0
		.amdhsa_exception_fp_denorm_src 0
		.amdhsa_exception_fp_ieee_div_zero 0
		.amdhsa_exception_fp_ieee_overflow 0
		.amdhsa_exception_fp_ieee_underflow 0
		.amdhsa_exception_fp_ieee_inexact 0
		.amdhsa_exception_int_div_zero 0
	.end_amdhsa_kernel
	.section	.text._ZN7rocprim17ROCPRIM_400000_NS6detail17trampoline_kernelINS0_13select_configILj256ELj13ELNS0_17block_load_methodE3ELS4_3ELS4_3ELNS0_20block_scan_algorithmE0ELj4294967295EEENS1_25partition_config_selectorILNS1_17partition_subalgoE3EjNS0_10empty_typeEbEEZZNS1_14partition_implILS8_3ELb0ES6_jNS0_17counting_iteratorIjlEEPS9_SE_NS0_5tupleIJPjSE_EEENSF_IJSE_SE_EEES9_SG_JZNS1_25segmented_radix_sort_implINS0_14default_configELb1EPKiPiPKlPlN2at6native12_GLOBAL__N_18offset_tEEE10hipError_tPvRmT1_PNSt15iterator_traitsISY_E10value_typeET2_T3_PNSZ_IS14_E10value_typeET4_jRbjT5_S1A_jjP12ihipStream_tbEUljE_EEESV_SW_SX_S14_S18_S1A_T6_T7_T9_mT8_S1C_bDpT10_ENKUlT_T0_E_clISt17integral_constantIbLb1EES1O_IbLb0EEEEDaS1K_S1L_EUlS1K_E_NS1_11comp_targetILNS1_3genE10ELNS1_11target_archE1200ELNS1_3gpuE4ELNS1_3repE0EEENS1_30default_config_static_selectorELNS0_4arch9wavefront6targetE0EEEvSY_,"axG",@progbits,_ZN7rocprim17ROCPRIM_400000_NS6detail17trampoline_kernelINS0_13select_configILj256ELj13ELNS0_17block_load_methodE3ELS4_3ELS4_3ELNS0_20block_scan_algorithmE0ELj4294967295EEENS1_25partition_config_selectorILNS1_17partition_subalgoE3EjNS0_10empty_typeEbEEZZNS1_14partition_implILS8_3ELb0ES6_jNS0_17counting_iteratorIjlEEPS9_SE_NS0_5tupleIJPjSE_EEENSF_IJSE_SE_EEES9_SG_JZNS1_25segmented_radix_sort_implINS0_14default_configELb1EPKiPiPKlPlN2at6native12_GLOBAL__N_18offset_tEEE10hipError_tPvRmT1_PNSt15iterator_traitsISY_E10value_typeET2_T3_PNSZ_IS14_E10value_typeET4_jRbjT5_S1A_jjP12ihipStream_tbEUljE_EEESV_SW_SX_S14_S18_S1A_T6_T7_T9_mT8_S1C_bDpT10_ENKUlT_T0_E_clISt17integral_constantIbLb1EES1O_IbLb0EEEEDaS1K_S1L_EUlS1K_E_NS1_11comp_targetILNS1_3genE10ELNS1_11target_archE1200ELNS1_3gpuE4ELNS1_3repE0EEENS1_30default_config_static_selectorELNS0_4arch9wavefront6targetE0EEEvSY_,comdat
.Lfunc_end482:
	.size	_ZN7rocprim17ROCPRIM_400000_NS6detail17trampoline_kernelINS0_13select_configILj256ELj13ELNS0_17block_load_methodE3ELS4_3ELS4_3ELNS0_20block_scan_algorithmE0ELj4294967295EEENS1_25partition_config_selectorILNS1_17partition_subalgoE3EjNS0_10empty_typeEbEEZZNS1_14partition_implILS8_3ELb0ES6_jNS0_17counting_iteratorIjlEEPS9_SE_NS0_5tupleIJPjSE_EEENSF_IJSE_SE_EEES9_SG_JZNS1_25segmented_radix_sort_implINS0_14default_configELb1EPKiPiPKlPlN2at6native12_GLOBAL__N_18offset_tEEE10hipError_tPvRmT1_PNSt15iterator_traitsISY_E10value_typeET2_T3_PNSZ_IS14_E10value_typeET4_jRbjT5_S1A_jjP12ihipStream_tbEUljE_EEESV_SW_SX_S14_S18_S1A_T6_T7_T9_mT8_S1C_bDpT10_ENKUlT_T0_E_clISt17integral_constantIbLb1EES1O_IbLb0EEEEDaS1K_S1L_EUlS1K_E_NS1_11comp_targetILNS1_3genE10ELNS1_11target_archE1200ELNS1_3gpuE4ELNS1_3repE0EEENS1_30default_config_static_selectorELNS0_4arch9wavefront6targetE0EEEvSY_, .Lfunc_end482-_ZN7rocprim17ROCPRIM_400000_NS6detail17trampoline_kernelINS0_13select_configILj256ELj13ELNS0_17block_load_methodE3ELS4_3ELS4_3ELNS0_20block_scan_algorithmE0ELj4294967295EEENS1_25partition_config_selectorILNS1_17partition_subalgoE3EjNS0_10empty_typeEbEEZZNS1_14partition_implILS8_3ELb0ES6_jNS0_17counting_iteratorIjlEEPS9_SE_NS0_5tupleIJPjSE_EEENSF_IJSE_SE_EEES9_SG_JZNS1_25segmented_radix_sort_implINS0_14default_configELb1EPKiPiPKlPlN2at6native12_GLOBAL__N_18offset_tEEE10hipError_tPvRmT1_PNSt15iterator_traitsISY_E10value_typeET2_T3_PNSZ_IS14_E10value_typeET4_jRbjT5_S1A_jjP12ihipStream_tbEUljE_EEESV_SW_SX_S14_S18_S1A_T6_T7_T9_mT8_S1C_bDpT10_ENKUlT_T0_E_clISt17integral_constantIbLb1EES1O_IbLb0EEEEDaS1K_S1L_EUlS1K_E_NS1_11comp_targetILNS1_3genE10ELNS1_11target_archE1200ELNS1_3gpuE4ELNS1_3repE0EEENS1_30default_config_static_selectorELNS0_4arch9wavefront6targetE0EEEvSY_
                                        ; -- End function
	.set _ZN7rocprim17ROCPRIM_400000_NS6detail17trampoline_kernelINS0_13select_configILj256ELj13ELNS0_17block_load_methodE3ELS4_3ELS4_3ELNS0_20block_scan_algorithmE0ELj4294967295EEENS1_25partition_config_selectorILNS1_17partition_subalgoE3EjNS0_10empty_typeEbEEZZNS1_14partition_implILS8_3ELb0ES6_jNS0_17counting_iteratorIjlEEPS9_SE_NS0_5tupleIJPjSE_EEENSF_IJSE_SE_EEES9_SG_JZNS1_25segmented_radix_sort_implINS0_14default_configELb1EPKiPiPKlPlN2at6native12_GLOBAL__N_18offset_tEEE10hipError_tPvRmT1_PNSt15iterator_traitsISY_E10value_typeET2_T3_PNSZ_IS14_E10value_typeET4_jRbjT5_S1A_jjP12ihipStream_tbEUljE_EEESV_SW_SX_S14_S18_S1A_T6_T7_T9_mT8_S1C_bDpT10_ENKUlT_T0_E_clISt17integral_constantIbLb1EES1O_IbLb0EEEEDaS1K_S1L_EUlS1K_E_NS1_11comp_targetILNS1_3genE10ELNS1_11target_archE1200ELNS1_3gpuE4ELNS1_3repE0EEENS1_30default_config_static_selectorELNS0_4arch9wavefront6targetE0EEEvSY_.num_vgpr, 0
	.set _ZN7rocprim17ROCPRIM_400000_NS6detail17trampoline_kernelINS0_13select_configILj256ELj13ELNS0_17block_load_methodE3ELS4_3ELS4_3ELNS0_20block_scan_algorithmE0ELj4294967295EEENS1_25partition_config_selectorILNS1_17partition_subalgoE3EjNS0_10empty_typeEbEEZZNS1_14partition_implILS8_3ELb0ES6_jNS0_17counting_iteratorIjlEEPS9_SE_NS0_5tupleIJPjSE_EEENSF_IJSE_SE_EEES9_SG_JZNS1_25segmented_radix_sort_implINS0_14default_configELb1EPKiPiPKlPlN2at6native12_GLOBAL__N_18offset_tEEE10hipError_tPvRmT1_PNSt15iterator_traitsISY_E10value_typeET2_T3_PNSZ_IS14_E10value_typeET4_jRbjT5_S1A_jjP12ihipStream_tbEUljE_EEESV_SW_SX_S14_S18_S1A_T6_T7_T9_mT8_S1C_bDpT10_ENKUlT_T0_E_clISt17integral_constantIbLb1EES1O_IbLb0EEEEDaS1K_S1L_EUlS1K_E_NS1_11comp_targetILNS1_3genE10ELNS1_11target_archE1200ELNS1_3gpuE4ELNS1_3repE0EEENS1_30default_config_static_selectorELNS0_4arch9wavefront6targetE0EEEvSY_.num_agpr, 0
	.set _ZN7rocprim17ROCPRIM_400000_NS6detail17trampoline_kernelINS0_13select_configILj256ELj13ELNS0_17block_load_methodE3ELS4_3ELS4_3ELNS0_20block_scan_algorithmE0ELj4294967295EEENS1_25partition_config_selectorILNS1_17partition_subalgoE3EjNS0_10empty_typeEbEEZZNS1_14partition_implILS8_3ELb0ES6_jNS0_17counting_iteratorIjlEEPS9_SE_NS0_5tupleIJPjSE_EEENSF_IJSE_SE_EEES9_SG_JZNS1_25segmented_radix_sort_implINS0_14default_configELb1EPKiPiPKlPlN2at6native12_GLOBAL__N_18offset_tEEE10hipError_tPvRmT1_PNSt15iterator_traitsISY_E10value_typeET2_T3_PNSZ_IS14_E10value_typeET4_jRbjT5_S1A_jjP12ihipStream_tbEUljE_EEESV_SW_SX_S14_S18_S1A_T6_T7_T9_mT8_S1C_bDpT10_ENKUlT_T0_E_clISt17integral_constantIbLb1EES1O_IbLb0EEEEDaS1K_S1L_EUlS1K_E_NS1_11comp_targetILNS1_3genE10ELNS1_11target_archE1200ELNS1_3gpuE4ELNS1_3repE0EEENS1_30default_config_static_selectorELNS0_4arch9wavefront6targetE0EEEvSY_.numbered_sgpr, 0
	.set _ZN7rocprim17ROCPRIM_400000_NS6detail17trampoline_kernelINS0_13select_configILj256ELj13ELNS0_17block_load_methodE3ELS4_3ELS4_3ELNS0_20block_scan_algorithmE0ELj4294967295EEENS1_25partition_config_selectorILNS1_17partition_subalgoE3EjNS0_10empty_typeEbEEZZNS1_14partition_implILS8_3ELb0ES6_jNS0_17counting_iteratorIjlEEPS9_SE_NS0_5tupleIJPjSE_EEENSF_IJSE_SE_EEES9_SG_JZNS1_25segmented_radix_sort_implINS0_14default_configELb1EPKiPiPKlPlN2at6native12_GLOBAL__N_18offset_tEEE10hipError_tPvRmT1_PNSt15iterator_traitsISY_E10value_typeET2_T3_PNSZ_IS14_E10value_typeET4_jRbjT5_S1A_jjP12ihipStream_tbEUljE_EEESV_SW_SX_S14_S18_S1A_T6_T7_T9_mT8_S1C_bDpT10_ENKUlT_T0_E_clISt17integral_constantIbLb1EES1O_IbLb0EEEEDaS1K_S1L_EUlS1K_E_NS1_11comp_targetILNS1_3genE10ELNS1_11target_archE1200ELNS1_3gpuE4ELNS1_3repE0EEENS1_30default_config_static_selectorELNS0_4arch9wavefront6targetE0EEEvSY_.num_named_barrier, 0
	.set _ZN7rocprim17ROCPRIM_400000_NS6detail17trampoline_kernelINS0_13select_configILj256ELj13ELNS0_17block_load_methodE3ELS4_3ELS4_3ELNS0_20block_scan_algorithmE0ELj4294967295EEENS1_25partition_config_selectorILNS1_17partition_subalgoE3EjNS0_10empty_typeEbEEZZNS1_14partition_implILS8_3ELb0ES6_jNS0_17counting_iteratorIjlEEPS9_SE_NS0_5tupleIJPjSE_EEENSF_IJSE_SE_EEES9_SG_JZNS1_25segmented_radix_sort_implINS0_14default_configELb1EPKiPiPKlPlN2at6native12_GLOBAL__N_18offset_tEEE10hipError_tPvRmT1_PNSt15iterator_traitsISY_E10value_typeET2_T3_PNSZ_IS14_E10value_typeET4_jRbjT5_S1A_jjP12ihipStream_tbEUljE_EEESV_SW_SX_S14_S18_S1A_T6_T7_T9_mT8_S1C_bDpT10_ENKUlT_T0_E_clISt17integral_constantIbLb1EES1O_IbLb0EEEEDaS1K_S1L_EUlS1K_E_NS1_11comp_targetILNS1_3genE10ELNS1_11target_archE1200ELNS1_3gpuE4ELNS1_3repE0EEENS1_30default_config_static_selectorELNS0_4arch9wavefront6targetE0EEEvSY_.private_seg_size, 0
	.set _ZN7rocprim17ROCPRIM_400000_NS6detail17trampoline_kernelINS0_13select_configILj256ELj13ELNS0_17block_load_methodE3ELS4_3ELS4_3ELNS0_20block_scan_algorithmE0ELj4294967295EEENS1_25partition_config_selectorILNS1_17partition_subalgoE3EjNS0_10empty_typeEbEEZZNS1_14partition_implILS8_3ELb0ES6_jNS0_17counting_iteratorIjlEEPS9_SE_NS0_5tupleIJPjSE_EEENSF_IJSE_SE_EEES9_SG_JZNS1_25segmented_radix_sort_implINS0_14default_configELb1EPKiPiPKlPlN2at6native12_GLOBAL__N_18offset_tEEE10hipError_tPvRmT1_PNSt15iterator_traitsISY_E10value_typeET2_T3_PNSZ_IS14_E10value_typeET4_jRbjT5_S1A_jjP12ihipStream_tbEUljE_EEESV_SW_SX_S14_S18_S1A_T6_T7_T9_mT8_S1C_bDpT10_ENKUlT_T0_E_clISt17integral_constantIbLb1EES1O_IbLb0EEEEDaS1K_S1L_EUlS1K_E_NS1_11comp_targetILNS1_3genE10ELNS1_11target_archE1200ELNS1_3gpuE4ELNS1_3repE0EEENS1_30default_config_static_selectorELNS0_4arch9wavefront6targetE0EEEvSY_.uses_vcc, 0
	.set _ZN7rocprim17ROCPRIM_400000_NS6detail17trampoline_kernelINS0_13select_configILj256ELj13ELNS0_17block_load_methodE3ELS4_3ELS4_3ELNS0_20block_scan_algorithmE0ELj4294967295EEENS1_25partition_config_selectorILNS1_17partition_subalgoE3EjNS0_10empty_typeEbEEZZNS1_14partition_implILS8_3ELb0ES6_jNS0_17counting_iteratorIjlEEPS9_SE_NS0_5tupleIJPjSE_EEENSF_IJSE_SE_EEES9_SG_JZNS1_25segmented_radix_sort_implINS0_14default_configELb1EPKiPiPKlPlN2at6native12_GLOBAL__N_18offset_tEEE10hipError_tPvRmT1_PNSt15iterator_traitsISY_E10value_typeET2_T3_PNSZ_IS14_E10value_typeET4_jRbjT5_S1A_jjP12ihipStream_tbEUljE_EEESV_SW_SX_S14_S18_S1A_T6_T7_T9_mT8_S1C_bDpT10_ENKUlT_T0_E_clISt17integral_constantIbLb1EES1O_IbLb0EEEEDaS1K_S1L_EUlS1K_E_NS1_11comp_targetILNS1_3genE10ELNS1_11target_archE1200ELNS1_3gpuE4ELNS1_3repE0EEENS1_30default_config_static_selectorELNS0_4arch9wavefront6targetE0EEEvSY_.uses_flat_scratch, 0
	.set _ZN7rocprim17ROCPRIM_400000_NS6detail17trampoline_kernelINS0_13select_configILj256ELj13ELNS0_17block_load_methodE3ELS4_3ELS4_3ELNS0_20block_scan_algorithmE0ELj4294967295EEENS1_25partition_config_selectorILNS1_17partition_subalgoE3EjNS0_10empty_typeEbEEZZNS1_14partition_implILS8_3ELb0ES6_jNS0_17counting_iteratorIjlEEPS9_SE_NS0_5tupleIJPjSE_EEENSF_IJSE_SE_EEES9_SG_JZNS1_25segmented_radix_sort_implINS0_14default_configELb1EPKiPiPKlPlN2at6native12_GLOBAL__N_18offset_tEEE10hipError_tPvRmT1_PNSt15iterator_traitsISY_E10value_typeET2_T3_PNSZ_IS14_E10value_typeET4_jRbjT5_S1A_jjP12ihipStream_tbEUljE_EEESV_SW_SX_S14_S18_S1A_T6_T7_T9_mT8_S1C_bDpT10_ENKUlT_T0_E_clISt17integral_constantIbLb1EES1O_IbLb0EEEEDaS1K_S1L_EUlS1K_E_NS1_11comp_targetILNS1_3genE10ELNS1_11target_archE1200ELNS1_3gpuE4ELNS1_3repE0EEENS1_30default_config_static_selectorELNS0_4arch9wavefront6targetE0EEEvSY_.has_dyn_sized_stack, 0
	.set _ZN7rocprim17ROCPRIM_400000_NS6detail17trampoline_kernelINS0_13select_configILj256ELj13ELNS0_17block_load_methodE3ELS4_3ELS4_3ELNS0_20block_scan_algorithmE0ELj4294967295EEENS1_25partition_config_selectorILNS1_17partition_subalgoE3EjNS0_10empty_typeEbEEZZNS1_14partition_implILS8_3ELb0ES6_jNS0_17counting_iteratorIjlEEPS9_SE_NS0_5tupleIJPjSE_EEENSF_IJSE_SE_EEES9_SG_JZNS1_25segmented_radix_sort_implINS0_14default_configELb1EPKiPiPKlPlN2at6native12_GLOBAL__N_18offset_tEEE10hipError_tPvRmT1_PNSt15iterator_traitsISY_E10value_typeET2_T3_PNSZ_IS14_E10value_typeET4_jRbjT5_S1A_jjP12ihipStream_tbEUljE_EEESV_SW_SX_S14_S18_S1A_T6_T7_T9_mT8_S1C_bDpT10_ENKUlT_T0_E_clISt17integral_constantIbLb1EES1O_IbLb0EEEEDaS1K_S1L_EUlS1K_E_NS1_11comp_targetILNS1_3genE10ELNS1_11target_archE1200ELNS1_3gpuE4ELNS1_3repE0EEENS1_30default_config_static_selectorELNS0_4arch9wavefront6targetE0EEEvSY_.has_recursion, 0
	.set _ZN7rocprim17ROCPRIM_400000_NS6detail17trampoline_kernelINS0_13select_configILj256ELj13ELNS0_17block_load_methodE3ELS4_3ELS4_3ELNS0_20block_scan_algorithmE0ELj4294967295EEENS1_25partition_config_selectorILNS1_17partition_subalgoE3EjNS0_10empty_typeEbEEZZNS1_14partition_implILS8_3ELb0ES6_jNS0_17counting_iteratorIjlEEPS9_SE_NS0_5tupleIJPjSE_EEENSF_IJSE_SE_EEES9_SG_JZNS1_25segmented_radix_sort_implINS0_14default_configELb1EPKiPiPKlPlN2at6native12_GLOBAL__N_18offset_tEEE10hipError_tPvRmT1_PNSt15iterator_traitsISY_E10value_typeET2_T3_PNSZ_IS14_E10value_typeET4_jRbjT5_S1A_jjP12ihipStream_tbEUljE_EEESV_SW_SX_S14_S18_S1A_T6_T7_T9_mT8_S1C_bDpT10_ENKUlT_T0_E_clISt17integral_constantIbLb1EES1O_IbLb0EEEEDaS1K_S1L_EUlS1K_E_NS1_11comp_targetILNS1_3genE10ELNS1_11target_archE1200ELNS1_3gpuE4ELNS1_3repE0EEENS1_30default_config_static_selectorELNS0_4arch9wavefront6targetE0EEEvSY_.has_indirect_call, 0
	.section	.AMDGPU.csdata,"",@progbits
; Kernel info:
; codeLenInByte = 0
; TotalNumSgprs: 0
; NumVgprs: 0
; ScratchSize: 0
; MemoryBound: 0
; FloatMode: 240
; IeeeMode: 1
; LDSByteSize: 0 bytes/workgroup (compile time only)
; SGPRBlocks: 0
; VGPRBlocks: 0
; NumSGPRsForWavesPerEU: 1
; NumVGPRsForWavesPerEU: 1
; NamedBarCnt: 0
; Occupancy: 16
; WaveLimiterHint : 0
; COMPUTE_PGM_RSRC2:SCRATCH_EN: 0
; COMPUTE_PGM_RSRC2:USER_SGPR: 2
; COMPUTE_PGM_RSRC2:TRAP_HANDLER: 0
; COMPUTE_PGM_RSRC2:TGID_X_EN: 1
; COMPUTE_PGM_RSRC2:TGID_Y_EN: 0
; COMPUTE_PGM_RSRC2:TGID_Z_EN: 0
; COMPUTE_PGM_RSRC2:TIDIG_COMP_CNT: 0
	.section	.text._ZN7rocprim17ROCPRIM_400000_NS6detail17trampoline_kernelINS0_13select_configILj256ELj13ELNS0_17block_load_methodE3ELS4_3ELS4_3ELNS0_20block_scan_algorithmE0ELj4294967295EEENS1_25partition_config_selectorILNS1_17partition_subalgoE3EjNS0_10empty_typeEbEEZZNS1_14partition_implILS8_3ELb0ES6_jNS0_17counting_iteratorIjlEEPS9_SE_NS0_5tupleIJPjSE_EEENSF_IJSE_SE_EEES9_SG_JZNS1_25segmented_radix_sort_implINS0_14default_configELb1EPKiPiPKlPlN2at6native12_GLOBAL__N_18offset_tEEE10hipError_tPvRmT1_PNSt15iterator_traitsISY_E10value_typeET2_T3_PNSZ_IS14_E10value_typeET4_jRbjT5_S1A_jjP12ihipStream_tbEUljE_EEESV_SW_SX_S14_S18_S1A_T6_T7_T9_mT8_S1C_bDpT10_ENKUlT_T0_E_clISt17integral_constantIbLb1EES1O_IbLb0EEEEDaS1K_S1L_EUlS1K_E_NS1_11comp_targetILNS1_3genE9ELNS1_11target_archE1100ELNS1_3gpuE3ELNS1_3repE0EEENS1_30default_config_static_selectorELNS0_4arch9wavefront6targetE0EEEvSY_,"axG",@progbits,_ZN7rocprim17ROCPRIM_400000_NS6detail17trampoline_kernelINS0_13select_configILj256ELj13ELNS0_17block_load_methodE3ELS4_3ELS4_3ELNS0_20block_scan_algorithmE0ELj4294967295EEENS1_25partition_config_selectorILNS1_17partition_subalgoE3EjNS0_10empty_typeEbEEZZNS1_14partition_implILS8_3ELb0ES6_jNS0_17counting_iteratorIjlEEPS9_SE_NS0_5tupleIJPjSE_EEENSF_IJSE_SE_EEES9_SG_JZNS1_25segmented_radix_sort_implINS0_14default_configELb1EPKiPiPKlPlN2at6native12_GLOBAL__N_18offset_tEEE10hipError_tPvRmT1_PNSt15iterator_traitsISY_E10value_typeET2_T3_PNSZ_IS14_E10value_typeET4_jRbjT5_S1A_jjP12ihipStream_tbEUljE_EEESV_SW_SX_S14_S18_S1A_T6_T7_T9_mT8_S1C_bDpT10_ENKUlT_T0_E_clISt17integral_constantIbLb1EES1O_IbLb0EEEEDaS1K_S1L_EUlS1K_E_NS1_11comp_targetILNS1_3genE9ELNS1_11target_archE1100ELNS1_3gpuE3ELNS1_3repE0EEENS1_30default_config_static_selectorELNS0_4arch9wavefront6targetE0EEEvSY_,comdat
	.globl	_ZN7rocprim17ROCPRIM_400000_NS6detail17trampoline_kernelINS0_13select_configILj256ELj13ELNS0_17block_load_methodE3ELS4_3ELS4_3ELNS0_20block_scan_algorithmE0ELj4294967295EEENS1_25partition_config_selectorILNS1_17partition_subalgoE3EjNS0_10empty_typeEbEEZZNS1_14partition_implILS8_3ELb0ES6_jNS0_17counting_iteratorIjlEEPS9_SE_NS0_5tupleIJPjSE_EEENSF_IJSE_SE_EEES9_SG_JZNS1_25segmented_radix_sort_implINS0_14default_configELb1EPKiPiPKlPlN2at6native12_GLOBAL__N_18offset_tEEE10hipError_tPvRmT1_PNSt15iterator_traitsISY_E10value_typeET2_T3_PNSZ_IS14_E10value_typeET4_jRbjT5_S1A_jjP12ihipStream_tbEUljE_EEESV_SW_SX_S14_S18_S1A_T6_T7_T9_mT8_S1C_bDpT10_ENKUlT_T0_E_clISt17integral_constantIbLb1EES1O_IbLb0EEEEDaS1K_S1L_EUlS1K_E_NS1_11comp_targetILNS1_3genE9ELNS1_11target_archE1100ELNS1_3gpuE3ELNS1_3repE0EEENS1_30default_config_static_selectorELNS0_4arch9wavefront6targetE0EEEvSY_ ; -- Begin function _ZN7rocprim17ROCPRIM_400000_NS6detail17trampoline_kernelINS0_13select_configILj256ELj13ELNS0_17block_load_methodE3ELS4_3ELS4_3ELNS0_20block_scan_algorithmE0ELj4294967295EEENS1_25partition_config_selectorILNS1_17partition_subalgoE3EjNS0_10empty_typeEbEEZZNS1_14partition_implILS8_3ELb0ES6_jNS0_17counting_iteratorIjlEEPS9_SE_NS0_5tupleIJPjSE_EEENSF_IJSE_SE_EEES9_SG_JZNS1_25segmented_radix_sort_implINS0_14default_configELb1EPKiPiPKlPlN2at6native12_GLOBAL__N_18offset_tEEE10hipError_tPvRmT1_PNSt15iterator_traitsISY_E10value_typeET2_T3_PNSZ_IS14_E10value_typeET4_jRbjT5_S1A_jjP12ihipStream_tbEUljE_EEESV_SW_SX_S14_S18_S1A_T6_T7_T9_mT8_S1C_bDpT10_ENKUlT_T0_E_clISt17integral_constantIbLb1EES1O_IbLb0EEEEDaS1K_S1L_EUlS1K_E_NS1_11comp_targetILNS1_3genE9ELNS1_11target_archE1100ELNS1_3gpuE3ELNS1_3repE0EEENS1_30default_config_static_selectorELNS0_4arch9wavefront6targetE0EEEvSY_
	.p2align	8
	.type	_ZN7rocprim17ROCPRIM_400000_NS6detail17trampoline_kernelINS0_13select_configILj256ELj13ELNS0_17block_load_methodE3ELS4_3ELS4_3ELNS0_20block_scan_algorithmE0ELj4294967295EEENS1_25partition_config_selectorILNS1_17partition_subalgoE3EjNS0_10empty_typeEbEEZZNS1_14partition_implILS8_3ELb0ES6_jNS0_17counting_iteratorIjlEEPS9_SE_NS0_5tupleIJPjSE_EEENSF_IJSE_SE_EEES9_SG_JZNS1_25segmented_radix_sort_implINS0_14default_configELb1EPKiPiPKlPlN2at6native12_GLOBAL__N_18offset_tEEE10hipError_tPvRmT1_PNSt15iterator_traitsISY_E10value_typeET2_T3_PNSZ_IS14_E10value_typeET4_jRbjT5_S1A_jjP12ihipStream_tbEUljE_EEESV_SW_SX_S14_S18_S1A_T6_T7_T9_mT8_S1C_bDpT10_ENKUlT_T0_E_clISt17integral_constantIbLb1EES1O_IbLb0EEEEDaS1K_S1L_EUlS1K_E_NS1_11comp_targetILNS1_3genE9ELNS1_11target_archE1100ELNS1_3gpuE3ELNS1_3repE0EEENS1_30default_config_static_selectorELNS0_4arch9wavefront6targetE0EEEvSY_,@function
_ZN7rocprim17ROCPRIM_400000_NS6detail17trampoline_kernelINS0_13select_configILj256ELj13ELNS0_17block_load_methodE3ELS4_3ELS4_3ELNS0_20block_scan_algorithmE0ELj4294967295EEENS1_25partition_config_selectorILNS1_17partition_subalgoE3EjNS0_10empty_typeEbEEZZNS1_14partition_implILS8_3ELb0ES6_jNS0_17counting_iteratorIjlEEPS9_SE_NS0_5tupleIJPjSE_EEENSF_IJSE_SE_EEES9_SG_JZNS1_25segmented_radix_sort_implINS0_14default_configELb1EPKiPiPKlPlN2at6native12_GLOBAL__N_18offset_tEEE10hipError_tPvRmT1_PNSt15iterator_traitsISY_E10value_typeET2_T3_PNSZ_IS14_E10value_typeET4_jRbjT5_S1A_jjP12ihipStream_tbEUljE_EEESV_SW_SX_S14_S18_S1A_T6_T7_T9_mT8_S1C_bDpT10_ENKUlT_T0_E_clISt17integral_constantIbLb1EES1O_IbLb0EEEEDaS1K_S1L_EUlS1K_E_NS1_11comp_targetILNS1_3genE9ELNS1_11target_archE1100ELNS1_3gpuE3ELNS1_3repE0EEENS1_30default_config_static_selectorELNS0_4arch9wavefront6targetE0EEEvSY_: ; @_ZN7rocprim17ROCPRIM_400000_NS6detail17trampoline_kernelINS0_13select_configILj256ELj13ELNS0_17block_load_methodE3ELS4_3ELS4_3ELNS0_20block_scan_algorithmE0ELj4294967295EEENS1_25partition_config_selectorILNS1_17partition_subalgoE3EjNS0_10empty_typeEbEEZZNS1_14partition_implILS8_3ELb0ES6_jNS0_17counting_iteratorIjlEEPS9_SE_NS0_5tupleIJPjSE_EEENSF_IJSE_SE_EEES9_SG_JZNS1_25segmented_radix_sort_implINS0_14default_configELb1EPKiPiPKlPlN2at6native12_GLOBAL__N_18offset_tEEE10hipError_tPvRmT1_PNSt15iterator_traitsISY_E10value_typeET2_T3_PNSZ_IS14_E10value_typeET4_jRbjT5_S1A_jjP12ihipStream_tbEUljE_EEESV_SW_SX_S14_S18_S1A_T6_T7_T9_mT8_S1C_bDpT10_ENKUlT_T0_E_clISt17integral_constantIbLb1EES1O_IbLb0EEEEDaS1K_S1L_EUlS1K_E_NS1_11comp_targetILNS1_3genE9ELNS1_11target_archE1100ELNS1_3gpuE3ELNS1_3repE0EEENS1_30default_config_static_selectorELNS0_4arch9wavefront6targetE0EEEvSY_
; %bb.0:
	.section	.rodata,"a",@progbits
	.p2align	6, 0x0
	.amdhsa_kernel _ZN7rocprim17ROCPRIM_400000_NS6detail17trampoline_kernelINS0_13select_configILj256ELj13ELNS0_17block_load_methodE3ELS4_3ELS4_3ELNS0_20block_scan_algorithmE0ELj4294967295EEENS1_25partition_config_selectorILNS1_17partition_subalgoE3EjNS0_10empty_typeEbEEZZNS1_14partition_implILS8_3ELb0ES6_jNS0_17counting_iteratorIjlEEPS9_SE_NS0_5tupleIJPjSE_EEENSF_IJSE_SE_EEES9_SG_JZNS1_25segmented_radix_sort_implINS0_14default_configELb1EPKiPiPKlPlN2at6native12_GLOBAL__N_18offset_tEEE10hipError_tPvRmT1_PNSt15iterator_traitsISY_E10value_typeET2_T3_PNSZ_IS14_E10value_typeET4_jRbjT5_S1A_jjP12ihipStream_tbEUljE_EEESV_SW_SX_S14_S18_S1A_T6_T7_T9_mT8_S1C_bDpT10_ENKUlT_T0_E_clISt17integral_constantIbLb1EES1O_IbLb0EEEEDaS1K_S1L_EUlS1K_E_NS1_11comp_targetILNS1_3genE9ELNS1_11target_archE1100ELNS1_3gpuE3ELNS1_3repE0EEENS1_30default_config_static_selectorELNS0_4arch9wavefront6targetE0EEEvSY_
		.amdhsa_group_segment_fixed_size 0
		.amdhsa_private_segment_fixed_size 0
		.amdhsa_kernarg_size 144
		.amdhsa_user_sgpr_count 2
		.amdhsa_user_sgpr_dispatch_ptr 0
		.amdhsa_user_sgpr_queue_ptr 0
		.amdhsa_user_sgpr_kernarg_segment_ptr 1
		.amdhsa_user_sgpr_dispatch_id 0
		.amdhsa_user_sgpr_kernarg_preload_length 0
		.amdhsa_user_sgpr_kernarg_preload_offset 0
		.amdhsa_user_sgpr_private_segment_size 0
		.amdhsa_wavefront_size32 1
		.amdhsa_uses_dynamic_stack 0
		.amdhsa_enable_private_segment 0
		.amdhsa_system_sgpr_workgroup_id_x 1
		.amdhsa_system_sgpr_workgroup_id_y 0
		.amdhsa_system_sgpr_workgroup_id_z 0
		.amdhsa_system_sgpr_workgroup_info 0
		.amdhsa_system_vgpr_workitem_id 0
		.amdhsa_next_free_vgpr 1
		.amdhsa_next_free_sgpr 1
		.amdhsa_named_barrier_count 0
		.amdhsa_reserve_vcc 0
		.amdhsa_float_round_mode_32 0
		.amdhsa_float_round_mode_16_64 0
		.amdhsa_float_denorm_mode_32 3
		.amdhsa_float_denorm_mode_16_64 3
		.amdhsa_fp16_overflow 0
		.amdhsa_memory_ordered 1
		.amdhsa_forward_progress 1
		.amdhsa_inst_pref_size 0
		.amdhsa_round_robin_scheduling 0
		.amdhsa_exception_fp_ieee_invalid_op 0
		.amdhsa_exception_fp_denorm_src 0
		.amdhsa_exception_fp_ieee_div_zero 0
		.amdhsa_exception_fp_ieee_overflow 0
		.amdhsa_exception_fp_ieee_underflow 0
		.amdhsa_exception_fp_ieee_inexact 0
		.amdhsa_exception_int_div_zero 0
	.end_amdhsa_kernel
	.section	.text._ZN7rocprim17ROCPRIM_400000_NS6detail17trampoline_kernelINS0_13select_configILj256ELj13ELNS0_17block_load_methodE3ELS4_3ELS4_3ELNS0_20block_scan_algorithmE0ELj4294967295EEENS1_25partition_config_selectorILNS1_17partition_subalgoE3EjNS0_10empty_typeEbEEZZNS1_14partition_implILS8_3ELb0ES6_jNS0_17counting_iteratorIjlEEPS9_SE_NS0_5tupleIJPjSE_EEENSF_IJSE_SE_EEES9_SG_JZNS1_25segmented_radix_sort_implINS0_14default_configELb1EPKiPiPKlPlN2at6native12_GLOBAL__N_18offset_tEEE10hipError_tPvRmT1_PNSt15iterator_traitsISY_E10value_typeET2_T3_PNSZ_IS14_E10value_typeET4_jRbjT5_S1A_jjP12ihipStream_tbEUljE_EEESV_SW_SX_S14_S18_S1A_T6_T7_T9_mT8_S1C_bDpT10_ENKUlT_T0_E_clISt17integral_constantIbLb1EES1O_IbLb0EEEEDaS1K_S1L_EUlS1K_E_NS1_11comp_targetILNS1_3genE9ELNS1_11target_archE1100ELNS1_3gpuE3ELNS1_3repE0EEENS1_30default_config_static_selectorELNS0_4arch9wavefront6targetE0EEEvSY_,"axG",@progbits,_ZN7rocprim17ROCPRIM_400000_NS6detail17trampoline_kernelINS0_13select_configILj256ELj13ELNS0_17block_load_methodE3ELS4_3ELS4_3ELNS0_20block_scan_algorithmE0ELj4294967295EEENS1_25partition_config_selectorILNS1_17partition_subalgoE3EjNS0_10empty_typeEbEEZZNS1_14partition_implILS8_3ELb0ES6_jNS0_17counting_iteratorIjlEEPS9_SE_NS0_5tupleIJPjSE_EEENSF_IJSE_SE_EEES9_SG_JZNS1_25segmented_radix_sort_implINS0_14default_configELb1EPKiPiPKlPlN2at6native12_GLOBAL__N_18offset_tEEE10hipError_tPvRmT1_PNSt15iterator_traitsISY_E10value_typeET2_T3_PNSZ_IS14_E10value_typeET4_jRbjT5_S1A_jjP12ihipStream_tbEUljE_EEESV_SW_SX_S14_S18_S1A_T6_T7_T9_mT8_S1C_bDpT10_ENKUlT_T0_E_clISt17integral_constantIbLb1EES1O_IbLb0EEEEDaS1K_S1L_EUlS1K_E_NS1_11comp_targetILNS1_3genE9ELNS1_11target_archE1100ELNS1_3gpuE3ELNS1_3repE0EEENS1_30default_config_static_selectorELNS0_4arch9wavefront6targetE0EEEvSY_,comdat
.Lfunc_end483:
	.size	_ZN7rocprim17ROCPRIM_400000_NS6detail17trampoline_kernelINS0_13select_configILj256ELj13ELNS0_17block_load_methodE3ELS4_3ELS4_3ELNS0_20block_scan_algorithmE0ELj4294967295EEENS1_25partition_config_selectorILNS1_17partition_subalgoE3EjNS0_10empty_typeEbEEZZNS1_14partition_implILS8_3ELb0ES6_jNS0_17counting_iteratorIjlEEPS9_SE_NS0_5tupleIJPjSE_EEENSF_IJSE_SE_EEES9_SG_JZNS1_25segmented_radix_sort_implINS0_14default_configELb1EPKiPiPKlPlN2at6native12_GLOBAL__N_18offset_tEEE10hipError_tPvRmT1_PNSt15iterator_traitsISY_E10value_typeET2_T3_PNSZ_IS14_E10value_typeET4_jRbjT5_S1A_jjP12ihipStream_tbEUljE_EEESV_SW_SX_S14_S18_S1A_T6_T7_T9_mT8_S1C_bDpT10_ENKUlT_T0_E_clISt17integral_constantIbLb1EES1O_IbLb0EEEEDaS1K_S1L_EUlS1K_E_NS1_11comp_targetILNS1_3genE9ELNS1_11target_archE1100ELNS1_3gpuE3ELNS1_3repE0EEENS1_30default_config_static_selectorELNS0_4arch9wavefront6targetE0EEEvSY_, .Lfunc_end483-_ZN7rocprim17ROCPRIM_400000_NS6detail17trampoline_kernelINS0_13select_configILj256ELj13ELNS0_17block_load_methodE3ELS4_3ELS4_3ELNS0_20block_scan_algorithmE0ELj4294967295EEENS1_25partition_config_selectorILNS1_17partition_subalgoE3EjNS0_10empty_typeEbEEZZNS1_14partition_implILS8_3ELb0ES6_jNS0_17counting_iteratorIjlEEPS9_SE_NS0_5tupleIJPjSE_EEENSF_IJSE_SE_EEES9_SG_JZNS1_25segmented_radix_sort_implINS0_14default_configELb1EPKiPiPKlPlN2at6native12_GLOBAL__N_18offset_tEEE10hipError_tPvRmT1_PNSt15iterator_traitsISY_E10value_typeET2_T3_PNSZ_IS14_E10value_typeET4_jRbjT5_S1A_jjP12ihipStream_tbEUljE_EEESV_SW_SX_S14_S18_S1A_T6_T7_T9_mT8_S1C_bDpT10_ENKUlT_T0_E_clISt17integral_constantIbLb1EES1O_IbLb0EEEEDaS1K_S1L_EUlS1K_E_NS1_11comp_targetILNS1_3genE9ELNS1_11target_archE1100ELNS1_3gpuE3ELNS1_3repE0EEENS1_30default_config_static_selectorELNS0_4arch9wavefront6targetE0EEEvSY_
                                        ; -- End function
	.set _ZN7rocprim17ROCPRIM_400000_NS6detail17trampoline_kernelINS0_13select_configILj256ELj13ELNS0_17block_load_methodE3ELS4_3ELS4_3ELNS0_20block_scan_algorithmE0ELj4294967295EEENS1_25partition_config_selectorILNS1_17partition_subalgoE3EjNS0_10empty_typeEbEEZZNS1_14partition_implILS8_3ELb0ES6_jNS0_17counting_iteratorIjlEEPS9_SE_NS0_5tupleIJPjSE_EEENSF_IJSE_SE_EEES9_SG_JZNS1_25segmented_radix_sort_implINS0_14default_configELb1EPKiPiPKlPlN2at6native12_GLOBAL__N_18offset_tEEE10hipError_tPvRmT1_PNSt15iterator_traitsISY_E10value_typeET2_T3_PNSZ_IS14_E10value_typeET4_jRbjT5_S1A_jjP12ihipStream_tbEUljE_EEESV_SW_SX_S14_S18_S1A_T6_T7_T9_mT8_S1C_bDpT10_ENKUlT_T0_E_clISt17integral_constantIbLb1EES1O_IbLb0EEEEDaS1K_S1L_EUlS1K_E_NS1_11comp_targetILNS1_3genE9ELNS1_11target_archE1100ELNS1_3gpuE3ELNS1_3repE0EEENS1_30default_config_static_selectorELNS0_4arch9wavefront6targetE0EEEvSY_.num_vgpr, 0
	.set _ZN7rocprim17ROCPRIM_400000_NS6detail17trampoline_kernelINS0_13select_configILj256ELj13ELNS0_17block_load_methodE3ELS4_3ELS4_3ELNS0_20block_scan_algorithmE0ELj4294967295EEENS1_25partition_config_selectorILNS1_17partition_subalgoE3EjNS0_10empty_typeEbEEZZNS1_14partition_implILS8_3ELb0ES6_jNS0_17counting_iteratorIjlEEPS9_SE_NS0_5tupleIJPjSE_EEENSF_IJSE_SE_EEES9_SG_JZNS1_25segmented_radix_sort_implINS0_14default_configELb1EPKiPiPKlPlN2at6native12_GLOBAL__N_18offset_tEEE10hipError_tPvRmT1_PNSt15iterator_traitsISY_E10value_typeET2_T3_PNSZ_IS14_E10value_typeET4_jRbjT5_S1A_jjP12ihipStream_tbEUljE_EEESV_SW_SX_S14_S18_S1A_T6_T7_T9_mT8_S1C_bDpT10_ENKUlT_T0_E_clISt17integral_constantIbLb1EES1O_IbLb0EEEEDaS1K_S1L_EUlS1K_E_NS1_11comp_targetILNS1_3genE9ELNS1_11target_archE1100ELNS1_3gpuE3ELNS1_3repE0EEENS1_30default_config_static_selectorELNS0_4arch9wavefront6targetE0EEEvSY_.num_agpr, 0
	.set _ZN7rocprim17ROCPRIM_400000_NS6detail17trampoline_kernelINS0_13select_configILj256ELj13ELNS0_17block_load_methodE3ELS4_3ELS4_3ELNS0_20block_scan_algorithmE0ELj4294967295EEENS1_25partition_config_selectorILNS1_17partition_subalgoE3EjNS0_10empty_typeEbEEZZNS1_14partition_implILS8_3ELb0ES6_jNS0_17counting_iteratorIjlEEPS9_SE_NS0_5tupleIJPjSE_EEENSF_IJSE_SE_EEES9_SG_JZNS1_25segmented_radix_sort_implINS0_14default_configELb1EPKiPiPKlPlN2at6native12_GLOBAL__N_18offset_tEEE10hipError_tPvRmT1_PNSt15iterator_traitsISY_E10value_typeET2_T3_PNSZ_IS14_E10value_typeET4_jRbjT5_S1A_jjP12ihipStream_tbEUljE_EEESV_SW_SX_S14_S18_S1A_T6_T7_T9_mT8_S1C_bDpT10_ENKUlT_T0_E_clISt17integral_constantIbLb1EES1O_IbLb0EEEEDaS1K_S1L_EUlS1K_E_NS1_11comp_targetILNS1_3genE9ELNS1_11target_archE1100ELNS1_3gpuE3ELNS1_3repE0EEENS1_30default_config_static_selectorELNS0_4arch9wavefront6targetE0EEEvSY_.numbered_sgpr, 0
	.set _ZN7rocprim17ROCPRIM_400000_NS6detail17trampoline_kernelINS0_13select_configILj256ELj13ELNS0_17block_load_methodE3ELS4_3ELS4_3ELNS0_20block_scan_algorithmE0ELj4294967295EEENS1_25partition_config_selectorILNS1_17partition_subalgoE3EjNS0_10empty_typeEbEEZZNS1_14partition_implILS8_3ELb0ES6_jNS0_17counting_iteratorIjlEEPS9_SE_NS0_5tupleIJPjSE_EEENSF_IJSE_SE_EEES9_SG_JZNS1_25segmented_radix_sort_implINS0_14default_configELb1EPKiPiPKlPlN2at6native12_GLOBAL__N_18offset_tEEE10hipError_tPvRmT1_PNSt15iterator_traitsISY_E10value_typeET2_T3_PNSZ_IS14_E10value_typeET4_jRbjT5_S1A_jjP12ihipStream_tbEUljE_EEESV_SW_SX_S14_S18_S1A_T6_T7_T9_mT8_S1C_bDpT10_ENKUlT_T0_E_clISt17integral_constantIbLb1EES1O_IbLb0EEEEDaS1K_S1L_EUlS1K_E_NS1_11comp_targetILNS1_3genE9ELNS1_11target_archE1100ELNS1_3gpuE3ELNS1_3repE0EEENS1_30default_config_static_selectorELNS0_4arch9wavefront6targetE0EEEvSY_.num_named_barrier, 0
	.set _ZN7rocprim17ROCPRIM_400000_NS6detail17trampoline_kernelINS0_13select_configILj256ELj13ELNS0_17block_load_methodE3ELS4_3ELS4_3ELNS0_20block_scan_algorithmE0ELj4294967295EEENS1_25partition_config_selectorILNS1_17partition_subalgoE3EjNS0_10empty_typeEbEEZZNS1_14partition_implILS8_3ELb0ES6_jNS0_17counting_iteratorIjlEEPS9_SE_NS0_5tupleIJPjSE_EEENSF_IJSE_SE_EEES9_SG_JZNS1_25segmented_radix_sort_implINS0_14default_configELb1EPKiPiPKlPlN2at6native12_GLOBAL__N_18offset_tEEE10hipError_tPvRmT1_PNSt15iterator_traitsISY_E10value_typeET2_T3_PNSZ_IS14_E10value_typeET4_jRbjT5_S1A_jjP12ihipStream_tbEUljE_EEESV_SW_SX_S14_S18_S1A_T6_T7_T9_mT8_S1C_bDpT10_ENKUlT_T0_E_clISt17integral_constantIbLb1EES1O_IbLb0EEEEDaS1K_S1L_EUlS1K_E_NS1_11comp_targetILNS1_3genE9ELNS1_11target_archE1100ELNS1_3gpuE3ELNS1_3repE0EEENS1_30default_config_static_selectorELNS0_4arch9wavefront6targetE0EEEvSY_.private_seg_size, 0
	.set _ZN7rocprim17ROCPRIM_400000_NS6detail17trampoline_kernelINS0_13select_configILj256ELj13ELNS0_17block_load_methodE3ELS4_3ELS4_3ELNS0_20block_scan_algorithmE0ELj4294967295EEENS1_25partition_config_selectorILNS1_17partition_subalgoE3EjNS0_10empty_typeEbEEZZNS1_14partition_implILS8_3ELb0ES6_jNS0_17counting_iteratorIjlEEPS9_SE_NS0_5tupleIJPjSE_EEENSF_IJSE_SE_EEES9_SG_JZNS1_25segmented_radix_sort_implINS0_14default_configELb1EPKiPiPKlPlN2at6native12_GLOBAL__N_18offset_tEEE10hipError_tPvRmT1_PNSt15iterator_traitsISY_E10value_typeET2_T3_PNSZ_IS14_E10value_typeET4_jRbjT5_S1A_jjP12ihipStream_tbEUljE_EEESV_SW_SX_S14_S18_S1A_T6_T7_T9_mT8_S1C_bDpT10_ENKUlT_T0_E_clISt17integral_constantIbLb1EES1O_IbLb0EEEEDaS1K_S1L_EUlS1K_E_NS1_11comp_targetILNS1_3genE9ELNS1_11target_archE1100ELNS1_3gpuE3ELNS1_3repE0EEENS1_30default_config_static_selectorELNS0_4arch9wavefront6targetE0EEEvSY_.uses_vcc, 0
	.set _ZN7rocprim17ROCPRIM_400000_NS6detail17trampoline_kernelINS0_13select_configILj256ELj13ELNS0_17block_load_methodE3ELS4_3ELS4_3ELNS0_20block_scan_algorithmE0ELj4294967295EEENS1_25partition_config_selectorILNS1_17partition_subalgoE3EjNS0_10empty_typeEbEEZZNS1_14partition_implILS8_3ELb0ES6_jNS0_17counting_iteratorIjlEEPS9_SE_NS0_5tupleIJPjSE_EEENSF_IJSE_SE_EEES9_SG_JZNS1_25segmented_radix_sort_implINS0_14default_configELb1EPKiPiPKlPlN2at6native12_GLOBAL__N_18offset_tEEE10hipError_tPvRmT1_PNSt15iterator_traitsISY_E10value_typeET2_T3_PNSZ_IS14_E10value_typeET4_jRbjT5_S1A_jjP12ihipStream_tbEUljE_EEESV_SW_SX_S14_S18_S1A_T6_T7_T9_mT8_S1C_bDpT10_ENKUlT_T0_E_clISt17integral_constantIbLb1EES1O_IbLb0EEEEDaS1K_S1L_EUlS1K_E_NS1_11comp_targetILNS1_3genE9ELNS1_11target_archE1100ELNS1_3gpuE3ELNS1_3repE0EEENS1_30default_config_static_selectorELNS0_4arch9wavefront6targetE0EEEvSY_.uses_flat_scratch, 0
	.set _ZN7rocprim17ROCPRIM_400000_NS6detail17trampoline_kernelINS0_13select_configILj256ELj13ELNS0_17block_load_methodE3ELS4_3ELS4_3ELNS0_20block_scan_algorithmE0ELj4294967295EEENS1_25partition_config_selectorILNS1_17partition_subalgoE3EjNS0_10empty_typeEbEEZZNS1_14partition_implILS8_3ELb0ES6_jNS0_17counting_iteratorIjlEEPS9_SE_NS0_5tupleIJPjSE_EEENSF_IJSE_SE_EEES9_SG_JZNS1_25segmented_radix_sort_implINS0_14default_configELb1EPKiPiPKlPlN2at6native12_GLOBAL__N_18offset_tEEE10hipError_tPvRmT1_PNSt15iterator_traitsISY_E10value_typeET2_T3_PNSZ_IS14_E10value_typeET4_jRbjT5_S1A_jjP12ihipStream_tbEUljE_EEESV_SW_SX_S14_S18_S1A_T6_T7_T9_mT8_S1C_bDpT10_ENKUlT_T0_E_clISt17integral_constantIbLb1EES1O_IbLb0EEEEDaS1K_S1L_EUlS1K_E_NS1_11comp_targetILNS1_3genE9ELNS1_11target_archE1100ELNS1_3gpuE3ELNS1_3repE0EEENS1_30default_config_static_selectorELNS0_4arch9wavefront6targetE0EEEvSY_.has_dyn_sized_stack, 0
	.set _ZN7rocprim17ROCPRIM_400000_NS6detail17trampoline_kernelINS0_13select_configILj256ELj13ELNS0_17block_load_methodE3ELS4_3ELS4_3ELNS0_20block_scan_algorithmE0ELj4294967295EEENS1_25partition_config_selectorILNS1_17partition_subalgoE3EjNS0_10empty_typeEbEEZZNS1_14partition_implILS8_3ELb0ES6_jNS0_17counting_iteratorIjlEEPS9_SE_NS0_5tupleIJPjSE_EEENSF_IJSE_SE_EEES9_SG_JZNS1_25segmented_radix_sort_implINS0_14default_configELb1EPKiPiPKlPlN2at6native12_GLOBAL__N_18offset_tEEE10hipError_tPvRmT1_PNSt15iterator_traitsISY_E10value_typeET2_T3_PNSZ_IS14_E10value_typeET4_jRbjT5_S1A_jjP12ihipStream_tbEUljE_EEESV_SW_SX_S14_S18_S1A_T6_T7_T9_mT8_S1C_bDpT10_ENKUlT_T0_E_clISt17integral_constantIbLb1EES1O_IbLb0EEEEDaS1K_S1L_EUlS1K_E_NS1_11comp_targetILNS1_3genE9ELNS1_11target_archE1100ELNS1_3gpuE3ELNS1_3repE0EEENS1_30default_config_static_selectorELNS0_4arch9wavefront6targetE0EEEvSY_.has_recursion, 0
	.set _ZN7rocprim17ROCPRIM_400000_NS6detail17trampoline_kernelINS0_13select_configILj256ELj13ELNS0_17block_load_methodE3ELS4_3ELS4_3ELNS0_20block_scan_algorithmE0ELj4294967295EEENS1_25partition_config_selectorILNS1_17partition_subalgoE3EjNS0_10empty_typeEbEEZZNS1_14partition_implILS8_3ELb0ES6_jNS0_17counting_iteratorIjlEEPS9_SE_NS0_5tupleIJPjSE_EEENSF_IJSE_SE_EEES9_SG_JZNS1_25segmented_radix_sort_implINS0_14default_configELb1EPKiPiPKlPlN2at6native12_GLOBAL__N_18offset_tEEE10hipError_tPvRmT1_PNSt15iterator_traitsISY_E10value_typeET2_T3_PNSZ_IS14_E10value_typeET4_jRbjT5_S1A_jjP12ihipStream_tbEUljE_EEESV_SW_SX_S14_S18_S1A_T6_T7_T9_mT8_S1C_bDpT10_ENKUlT_T0_E_clISt17integral_constantIbLb1EES1O_IbLb0EEEEDaS1K_S1L_EUlS1K_E_NS1_11comp_targetILNS1_3genE9ELNS1_11target_archE1100ELNS1_3gpuE3ELNS1_3repE0EEENS1_30default_config_static_selectorELNS0_4arch9wavefront6targetE0EEEvSY_.has_indirect_call, 0
	.section	.AMDGPU.csdata,"",@progbits
; Kernel info:
; codeLenInByte = 0
; TotalNumSgprs: 0
; NumVgprs: 0
; ScratchSize: 0
; MemoryBound: 0
; FloatMode: 240
; IeeeMode: 1
; LDSByteSize: 0 bytes/workgroup (compile time only)
; SGPRBlocks: 0
; VGPRBlocks: 0
; NumSGPRsForWavesPerEU: 1
; NumVGPRsForWavesPerEU: 1
; NamedBarCnt: 0
; Occupancy: 16
; WaveLimiterHint : 0
; COMPUTE_PGM_RSRC2:SCRATCH_EN: 0
; COMPUTE_PGM_RSRC2:USER_SGPR: 2
; COMPUTE_PGM_RSRC2:TRAP_HANDLER: 0
; COMPUTE_PGM_RSRC2:TGID_X_EN: 1
; COMPUTE_PGM_RSRC2:TGID_Y_EN: 0
; COMPUTE_PGM_RSRC2:TGID_Z_EN: 0
; COMPUTE_PGM_RSRC2:TIDIG_COMP_CNT: 0
	.section	.text._ZN7rocprim17ROCPRIM_400000_NS6detail17trampoline_kernelINS0_13select_configILj256ELj13ELNS0_17block_load_methodE3ELS4_3ELS4_3ELNS0_20block_scan_algorithmE0ELj4294967295EEENS1_25partition_config_selectorILNS1_17partition_subalgoE3EjNS0_10empty_typeEbEEZZNS1_14partition_implILS8_3ELb0ES6_jNS0_17counting_iteratorIjlEEPS9_SE_NS0_5tupleIJPjSE_EEENSF_IJSE_SE_EEES9_SG_JZNS1_25segmented_radix_sort_implINS0_14default_configELb1EPKiPiPKlPlN2at6native12_GLOBAL__N_18offset_tEEE10hipError_tPvRmT1_PNSt15iterator_traitsISY_E10value_typeET2_T3_PNSZ_IS14_E10value_typeET4_jRbjT5_S1A_jjP12ihipStream_tbEUljE_EEESV_SW_SX_S14_S18_S1A_T6_T7_T9_mT8_S1C_bDpT10_ENKUlT_T0_E_clISt17integral_constantIbLb1EES1O_IbLb0EEEEDaS1K_S1L_EUlS1K_E_NS1_11comp_targetILNS1_3genE8ELNS1_11target_archE1030ELNS1_3gpuE2ELNS1_3repE0EEENS1_30default_config_static_selectorELNS0_4arch9wavefront6targetE0EEEvSY_,"axG",@progbits,_ZN7rocprim17ROCPRIM_400000_NS6detail17trampoline_kernelINS0_13select_configILj256ELj13ELNS0_17block_load_methodE3ELS4_3ELS4_3ELNS0_20block_scan_algorithmE0ELj4294967295EEENS1_25partition_config_selectorILNS1_17partition_subalgoE3EjNS0_10empty_typeEbEEZZNS1_14partition_implILS8_3ELb0ES6_jNS0_17counting_iteratorIjlEEPS9_SE_NS0_5tupleIJPjSE_EEENSF_IJSE_SE_EEES9_SG_JZNS1_25segmented_radix_sort_implINS0_14default_configELb1EPKiPiPKlPlN2at6native12_GLOBAL__N_18offset_tEEE10hipError_tPvRmT1_PNSt15iterator_traitsISY_E10value_typeET2_T3_PNSZ_IS14_E10value_typeET4_jRbjT5_S1A_jjP12ihipStream_tbEUljE_EEESV_SW_SX_S14_S18_S1A_T6_T7_T9_mT8_S1C_bDpT10_ENKUlT_T0_E_clISt17integral_constantIbLb1EES1O_IbLb0EEEEDaS1K_S1L_EUlS1K_E_NS1_11comp_targetILNS1_3genE8ELNS1_11target_archE1030ELNS1_3gpuE2ELNS1_3repE0EEENS1_30default_config_static_selectorELNS0_4arch9wavefront6targetE0EEEvSY_,comdat
	.globl	_ZN7rocprim17ROCPRIM_400000_NS6detail17trampoline_kernelINS0_13select_configILj256ELj13ELNS0_17block_load_methodE3ELS4_3ELS4_3ELNS0_20block_scan_algorithmE0ELj4294967295EEENS1_25partition_config_selectorILNS1_17partition_subalgoE3EjNS0_10empty_typeEbEEZZNS1_14partition_implILS8_3ELb0ES6_jNS0_17counting_iteratorIjlEEPS9_SE_NS0_5tupleIJPjSE_EEENSF_IJSE_SE_EEES9_SG_JZNS1_25segmented_radix_sort_implINS0_14default_configELb1EPKiPiPKlPlN2at6native12_GLOBAL__N_18offset_tEEE10hipError_tPvRmT1_PNSt15iterator_traitsISY_E10value_typeET2_T3_PNSZ_IS14_E10value_typeET4_jRbjT5_S1A_jjP12ihipStream_tbEUljE_EEESV_SW_SX_S14_S18_S1A_T6_T7_T9_mT8_S1C_bDpT10_ENKUlT_T0_E_clISt17integral_constantIbLb1EES1O_IbLb0EEEEDaS1K_S1L_EUlS1K_E_NS1_11comp_targetILNS1_3genE8ELNS1_11target_archE1030ELNS1_3gpuE2ELNS1_3repE0EEENS1_30default_config_static_selectorELNS0_4arch9wavefront6targetE0EEEvSY_ ; -- Begin function _ZN7rocprim17ROCPRIM_400000_NS6detail17trampoline_kernelINS0_13select_configILj256ELj13ELNS0_17block_load_methodE3ELS4_3ELS4_3ELNS0_20block_scan_algorithmE0ELj4294967295EEENS1_25partition_config_selectorILNS1_17partition_subalgoE3EjNS0_10empty_typeEbEEZZNS1_14partition_implILS8_3ELb0ES6_jNS0_17counting_iteratorIjlEEPS9_SE_NS0_5tupleIJPjSE_EEENSF_IJSE_SE_EEES9_SG_JZNS1_25segmented_radix_sort_implINS0_14default_configELb1EPKiPiPKlPlN2at6native12_GLOBAL__N_18offset_tEEE10hipError_tPvRmT1_PNSt15iterator_traitsISY_E10value_typeET2_T3_PNSZ_IS14_E10value_typeET4_jRbjT5_S1A_jjP12ihipStream_tbEUljE_EEESV_SW_SX_S14_S18_S1A_T6_T7_T9_mT8_S1C_bDpT10_ENKUlT_T0_E_clISt17integral_constantIbLb1EES1O_IbLb0EEEEDaS1K_S1L_EUlS1K_E_NS1_11comp_targetILNS1_3genE8ELNS1_11target_archE1030ELNS1_3gpuE2ELNS1_3repE0EEENS1_30default_config_static_selectorELNS0_4arch9wavefront6targetE0EEEvSY_
	.p2align	8
	.type	_ZN7rocprim17ROCPRIM_400000_NS6detail17trampoline_kernelINS0_13select_configILj256ELj13ELNS0_17block_load_methodE3ELS4_3ELS4_3ELNS0_20block_scan_algorithmE0ELj4294967295EEENS1_25partition_config_selectorILNS1_17partition_subalgoE3EjNS0_10empty_typeEbEEZZNS1_14partition_implILS8_3ELb0ES6_jNS0_17counting_iteratorIjlEEPS9_SE_NS0_5tupleIJPjSE_EEENSF_IJSE_SE_EEES9_SG_JZNS1_25segmented_radix_sort_implINS0_14default_configELb1EPKiPiPKlPlN2at6native12_GLOBAL__N_18offset_tEEE10hipError_tPvRmT1_PNSt15iterator_traitsISY_E10value_typeET2_T3_PNSZ_IS14_E10value_typeET4_jRbjT5_S1A_jjP12ihipStream_tbEUljE_EEESV_SW_SX_S14_S18_S1A_T6_T7_T9_mT8_S1C_bDpT10_ENKUlT_T0_E_clISt17integral_constantIbLb1EES1O_IbLb0EEEEDaS1K_S1L_EUlS1K_E_NS1_11comp_targetILNS1_3genE8ELNS1_11target_archE1030ELNS1_3gpuE2ELNS1_3repE0EEENS1_30default_config_static_selectorELNS0_4arch9wavefront6targetE0EEEvSY_,@function
_ZN7rocprim17ROCPRIM_400000_NS6detail17trampoline_kernelINS0_13select_configILj256ELj13ELNS0_17block_load_methodE3ELS4_3ELS4_3ELNS0_20block_scan_algorithmE0ELj4294967295EEENS1_25partition_config_selectorILNS1_17partition_subalgoE3EjNS0_10empty_typeEbEEZZNS1_14partition_implILS8_3ELb0ES6_jNS0_17counting_iteratorIjlEEPS9_SE_NS0_5tupleIJPjSE_EEENSF_IJSE_SE_EEES9_SG_JZNS1_25segmented_radix_sort_implINS0_14default_configELb1EPKiPiPKlPlN2at6native12_GLOBAL__N_18offset_tEEE10hipError_tPvRmT1_PNSt15iterator_traitsISY_E10value_typeET2_T3_PNSZ_IS14_E10value_typeET4_jRbjT5_S1A_jjP12ihipStream_tbEUljE_EEESV_SW_SX_S14_S18_S1A_T6_T7_T9_mT8_S1C_bDpT10_ENKUlT_T0_E_clISt17integral_constantIbLb1EES1O_IbLb0EEEEDaS1K_S1L_EUlS1K_E_NS1_11comp_targetILNS1_3genE8ELNS1_11target_archE1030ELNS1_3gpuE2ELNS1_3repE0EEENS1_30default_config_static_selectorELNS0_4arch9wavefront6targetE0EEEvSY_: ; @_ZN7rocprim17ROCPRIM_400000_NS6detail17trampoline_kernelINS0_13select_configILj256ELj13ELNS0_17block_load_methodE3ELS4_3ELS4_3ELNS0_20block_scan_algorithmE0ELj4294967295EEENS1_25partition_config_selectorILNS1_17partition_subalgoE3EjNS0_10empty_typeEbEEZZNS1_14partition_implILS8_3ELb0ES6_jNS0_17counting_iteratorIjlEEPS9_SE_NS0_5tupleIJPjSE_EEENSF_IJSE_SE_EEES9_SG_JZNS1_25segmented_radix_sort_implINS0_14default_configELb1EPKiPiPKlPlN2at6native12_GLOBAL__N_18offset_tEEE10hipError_tPvRmT1_PNSt15iterator_traitsISY_E10value_typeET2_T3_PNSZ_IS14_E10value_typeET4_jRbjT5_S1A_jjP12ihipStream_tbEUljE_EEESV_SW_SX_S14_S18_S1A_T6_T7_T9_mT8_S1C_bDpT10_ENKUlT_T0_E_clISt17integral_constantIbLb1EES1O_IbLb0EEEEDaS1K_S1L_EUlS1K_E_NS1_11comp_targetILNS1_3genE8ELNS1_11target_archE1030ELNS1_3gpuE2ELNS1_3repE0EEENS1_30default_config_static_selectorELNS0_4arch9wavefront6targetE0EEEvSY_
; %bb.0:
	.section	.rodata,"a",@progbits
	.p2align	6, 0x0
	.amdhsa_kernel _ZN7rocprim17ROCPRIM_400000_NS6detail17trampoline_kernelINS0_13select_configILj256ELj13ELNS0_17block_load_methodE3ELS4_3ELS4_3ELNS0_20block_scan_algorithmE0ELj4294967295EEENS1_25partition_config_selectorILNS1_17partition_subalgoE3EjNS0_10empty_typeEbEEZZNS1_14partition_implILS8_3ELb0ES6_jNS0_17counting_iteratorIjlEEPS9_SE_NS0_5tupleIJPjSE_EEENSF_IJSE_SE_EEES9_SG_JZNS1_25segmented_radix_sort_implINS0_14default_configELb1EPKiPiPKlPlN2at6native12_GLOBAL__N_18offset_tEEE10hipError_tPvRmT1_PNSt15iterator_traitsISY_E10value_typeET2_T3_PNSZ_IS14_E10value_typeET4_jRbjT5_S1A_jjP12ihipStream_tbEUljE_EEESV_SW_SX_S14_S18_S1A_T6_T7_T9_mT8_S1C_bDpT10_ENKUlT_T0_E_clISt17integral_constantIbLb1EES1O_IbLb0EEEEDaS1K_S1L_EUlS1K_E_NS1_11comp_targetILNS1_3genE8ELNS1_11target_archE1030ELNS1_3gpuE2ELNS1_3repE0EEENS1_30default_config_static_selectorELNS0_4arch9wavefront6targetE0EEEvSY_
		.amdhsa_group_segment_fixed_size 0
		.amdhsa_private_segment_fixed_size 0
		.amdhsa_kernarg_size 144
		.amdhsa_user_sgpr_count 2
		.amdhsa_user_sgpr_dispatch_ptr 0
		.amdhsa_user_sgpr_queue_ptr 0
		.amdhsa_user_sgpr_kernarg_segment_ptr 1
		.amdhsa_user_sgpr_dispatch_id 0
		.amdhsa_user_sgpr_kernarg_preload_length 0
		.amdhsa_user_sgpr_kernarg_preload_offset 0
		.amdhsa_user_sgpr_private_segment_size 0
		.amdhsa_wavefront_size32 1
		.amdhsa_uses_dynamic_stack 0
		.amdhsa_enable_private_segment 0
		.amdhsa_system_sgpr_workgroup_id_x 1
		.amdhsa_system_sgpr_workgroup_id_y 0
		.amdhsa_system_sgpr_workgroup_id_z 0
		.amdhsa_system_sgpr_workgroup_info 0
		.amdhsa_system_vgpr_workitem_id 0
		.amdhsa_next_free_vgpr 1
		.amdhsa_next_free_sgpr 1
		.amdhsa_named_barrier_count 0
		.amdhsa_reserve_vcc 0
		.amdhsa_float_round_mode_32 0
		.amdhsa_float_round_mode_16_64 0
		.amdhsa_float_denorm_mode_32 3
		.amdhsa_float_denorm_mode_16_64 3
		.amdhsa_fp16_overflow 0
		.amdhsa_memory_ordered 1
		.amdhsa_forward_progress 1
		.amdhsa_inst_pref_size 0
		.amdhsa_round_robin_scheduling 0
		.amdhsa_exception_fp_ieee_invalid_op 0
		.amdhsa_exception_fp_denorm_src 0
		.amdhsa_exception_fp_ieee_div_zero 0
		.amdhsa_exception_fp_ieee_overflow 0
		.amdhsa_exception_fp_ieee_underflow 0
		.amdhsa_exception_fp_ieee_inexact 0
		.amdhsa_exception_int_div_zero 0
	.end_amdhsa_kernel
	.section	.text._ZN7rocprim17ROCPRIM_400000_NS6detail17trampoline_kernelINS0_13select_configILj256ELj13ELNS0_17block_load_methodE3ELS4_3ELS4_3ELNS0_20block_scan_algorithmE0ELj4294967295EEENS1_25partition_config_selectorILNS1_17partition_subalgoE3EjNS0_10empty_typeEbEEZZNS1_14partition_implILS8_3ELb0ES6_jNS0_17counting_iteratorIjlEEPS9_SE_NS0_5tupleIJPjSE_EEENSF_IJSE_SE_EEES9_SG_JZNS1_25segmented_radix_sort_implINS0_14default_configELb1EPKiPiPKlPlN2at6native12_GLOBAL__N_18offset_tEEE10hipError_tPvRmT1_PNSt15iterator_traitsISY_E10value_typeET2_T3_PNSZ_IS14_E10value_typeET4_jRbjT5_S1A_jjP12ihipStream_tbEUljE_EEESV_SW_SX_S14_S18_S1A_T6_T7_T9_mT8_S1C_bDpT10_ENKUlT_T0_E_clISt17integral_constantIbLb1EES1O_IbLb0EEEEDaS1K_S1L_EUlS1K_E_NS1_11comp_targetILNS1_3genE8ELNS1_11target_archE1030ELNS1_3gpuE2ELNS1_3repE0EEENS1_30default_config_static_selectorELNS0_4arch9wavefront6targetE0EEEvSY_,"axG",@progbits,_ZN7rocprim17ROCPRIM_400000_NS6detail17trampoline_kernelINS0_13select_configILj256ELj13ELNS0_17block_load_methodE3ELS4_3ELS4_3ELNS0_20block_scan_algorithmE0ELj4294967295EEENS1_25partition_config_selectorILNS1_17partition_subalgoE3EjNS0_10empty_typeEbEEZZNS1_14partition_implILS8_3ELb0ES6_jNS0_17counting_iteratorIjlEEPS9_SE_NS0_5tupleIJPjSE_EEENSF_IJSE_SE_EEES9_SG_JZNS1_25segmented_radix_sort_implINS0_14default_configELb1EPKiPiPKlPlN2at6native12_GLOBAL__N_18offset_tEEE10hipError_tPvRmT1_PNSt15iterator_traitsISY_E10value_typeET2_T3_PNSZ_IS14_E10value_typeET4_jRbjT5_S1A_jjP12ihipStream_tbEUljE_EEESV_SW_SX_S14_S18_S1A_T6_T7_T9_mT8_S1C_bDpT10_ENKUlT_T0_E_clISt17integral_constantIbLb1EES1O_IbLb0EEEEDaS1K_S1L_EUlS1K_E_NS1_11comp_targetILNS1_3genE8ELNS1_11target_archE1030ELNS1_3gpuE2ELNS1_3repE0EEENS1_30default_config_static_selectorELNS0_4arch9wavefront6targetE0EEEvSY_,comdat
.Lfunc_end484:
	.size	_ZN7rocprim17ROCPRIM_400000_NS6detail17trampoline_kernelINS0_13select_configILj256ELj13ELNS0_17block_load_methodE3ELS4_3ELS4_3ELNS0_20block_scan_algorithmE0ELj4294967295EEENS1_25partition_config_selectorILNS1_17partition_subalgoE3EjNS0_10empty_typeEbEEZZNS1_14partition_implILS8_3ELb0ES6_jNS0_17counting_iteratorIjlEEPS9_SE_NS0_5tupleIJPjSE_EEENSF_IJSE_SE_EEES9_SG_JZNS1_25segmented_radix_sort_implINS0_14default_configELb1EPKiPiPKlPlN2at6native12_GLOBAL__N_18offset_tEEE10hipError_tPvRmT1_PNSt15iterator_traitsISY_E10value_typeET2_T3_PNSZ_IS14_E10value_typeET4_jRbjT5_S1A_jjP12ihipStream_tbEUljE_EEESV_SW_SX_S14_S18_S1A_T6_T7_T9_mT8_S1C_bDpT10_ENKUlT_T0_E_clISt17integral_constantIbLb1EES1O_IbLb0EEEEDaS1K_S1L_EUlS1K_E_NS1_11comp_targetILNS1_3genE8ELNS1_11target_archE1030ELNS1_3gpuE2ELNS1_3repE0EEENS1_30default_config_static_selectorELNS0_4arch9wavefront6targetE0EEEvSY_, .Lfunc_end484-_ZN7rocprim17ROCPRIM_400000_NS6detail17trampoline_kernelINS0_13select_configILj256ELj13ELNS0_17block_load_methodE3ELS4_3ELS4_3ELNS0_20block_scan_algorithmE0ELj4294967295EEENS1_25partition_config_selectorILNS1_17partition_subalgoE3EjNS0_10empty_typeEbEEZZNS1_14partition_implILS8_3ELb0ES6_jNS0_17counting_iteratorIjlEEPS9_SE_NS0_5tupleIJPjSE_EEENSF_IJSE_SE_EEES9_SG_JZNS1_25segmented_radix_sort_implINS0_14default_configELb1EPKiPiPKlPlN2at6native12_GLOBAL__N_18offset_tEEE10hipError_tPvRmT1_PNSt15iterator_traitsISY_E10value_typeET2_T3_PNSZ_IS14_E10value_typeET4_jRbjT5_S1A_jjP12ihipStream_tbEUljE_EEESV_SW_SX_S14_S18_S1A_T6_T7_T9_mT8_S1C_bDpT10_ENKUlT_T0_E_clISt17integral_constantIbLb1EES1O_IbLb0EEEEDaS1K_S1L_EUlS1K_E_NS1_11comp_targetILNS1_3genE8ELNS1_11target_archE1030ELNS1_3gpuE2ELNS1_3repE0EEENS1_30default_config_static_selectorELNS0_4arch9wavefront6targetE0EEEvSY_
                                        ; -- End function
	.set _ZN7rocprim17ROCPRIM_400000_NS6detail17trampoline_kernelINS0_13select_configILj256ELj13ELNS0_17block_load_methodE3ELS4_3ELS4_3ELNS0_20block_scan_algorithmE0ELj4294967295EEENS1_25partition_config_selectorILNS1_17partition_subalgoE3EjNS0_10empty_typeEbEEZZNS1_14partition_implILS8_3ELb0ES6_jNS0_17counting_iteratorIjlEEPS9_SE_NS0_5tupleIJPjSE_EEENSF_IJSE_SE_EEES9_SG_JZNS1_25segmented_radix_sort_implINS0_14default_configELb1EPKiPiPKlPlN2at6native12_GLOBAL__N_18offset_tEEE10hipError_tPvRmT1_PNSt15iterator_traitsISY_E10value_typeET2_T3_PNSZ_IS14_E10value_typeET4_jRbjT5_S1A_jjP12ihipStream_tbEUljE_EEESV_SW_SX_S14_S18_S1A_T6_T7_T9_mT8_S1C_bDpT10_ENKUlT_T0_E_clISt17integral_constantIbLb1EES1O_IbLb0EEEEDaS1K_S1L_EUlS1K_E_NS1_11comp_targetILNS1_3genE8ELNS1_11target_archE1030ELNS1_3gpuE2ELNS1_3repE0EEENS1_30default_config_static_selectorELNS0_4arch9wavefront6targetE0EEEvSY_.num_vgpr, 0
	.set _ZN7rocprim17ROCPRIM_400000_NS6detail17trampoline_kernelINS0_13select_configILj256ELj13ELNS0_17block_load_methodE3ELS4_3ELS4_3ELNS0_20block_scan_algorithmE0ELj4294967295EEENS1_25partition_config_selectorILNS1_17partition_subalgoE3EjNS0_10empty_typeEbEEZZNS1_14partition_implILS8_3ELb0ES6_jNS0_17counting_iteratorIjlEEPS9_SE_NS0_5tupleIJPjSE_EEENSF_IJSE_SE_EEES9_SG_JZNS1_25segmented_radix_sort_implINS0_14default_configELb1EPKiPiPKlPlN2at6native12_GLOBAL__N_18offset_tEEE10hipError_tPvRmT1_PNSt15iterator_traitsISY_E10value_typeET2_T3_PNSZ_IS14_E10value_typeET4_jRbjT5_S1A_jjP12ihipStream_tbEUljE_EEESV_SW_SX_S14_S18_S1A_T6_T7_T9_mT8_S1C_bDpT10_ENKUlT_T0_E_clISt17integral_constantIbLb1EES1O_IbLb0EEEEDaS1K_S1L_EUlS1K_E_NS1_11comp_targetILNS1_3genE8ELNS1_11target_archE1030ELNS1_3gpuE2ELNS1_3repE0EEENS1_30default_config_static_selectorELNS0_4arch9wavefront6targetE0EEEvSY_.num_agpr, 0
	.set _ZN7rocprim17ROCPRIM_400000_NS6detail17trampoline_kernelINS0_13select_configILj256ELj13ELNS0_17block_load_methodE3ELS4_3ELS4_3ELNS0_20block_scan_algorithmE0ELj4294967295EEENS1_25partition_config_selectorILNS1_17partition_subalgoE3EjNS0_10empty_typeEbEEZZNS1_14partition_implILS8_3ELb0ES6_jNS0_17counting_iteratorIjlEEPS9_SE_NS0_5tupleIJPjSE_EEENSF_IJSE_SE_EEES9_SG_JZNS1_25segmented_radix_sort_implINS0_14default_configELb1EPKiPiPKlPlN2at6native12_GLOBAL__N_18offset_tEEE10hipError_tPvRmT1_PNSt15iterator_traitsISY_E10value_typeET2_T3_PNSZ_IS14_E10value_typeET4_jRbjT5_S1A_jjP12ihipStream_tbEUljE_EEESV_SW_SX_S14_S18_S1A_T6_T7_T9_mT8_S1C_bDpT10_ENKUlT_T0_E_clISt17integral_constantIbLb1EES1O_IbLb0EEEEDaS1K_S1L_EUlS1K_E_NS1_11comp_targetILNS1_3genE8ELNS1_11target_archE1030ELNS1_3gpuE2ELNS1_3repE0EEENS1_30default_config_static_selectorELNS0_4arch9wavefront6targetE0EEEvSY_.numbered_sgpr, 0
	.set _ZN7rocprim17ROCPRIM_400000_NS6detail17trampoline_kernelINS0_13select_configILj256ELj13ELNS0_17block_load_methodE3ELS4_3ELS4_3ELNS0_20block_scan_algorithmE0ELj4294967295EEENS1_25partition_config_selectorILNS1_17partition_subalgoE3EjNS0_10empty_typeEbEEZZNS1_14partition_implILS8_3ELb0ES6_jNS0_17counting_iteratorIjlEEPS9_SE_NS0_5tupleIJPjSE_EEENSF_IJSE_SE_EEES9_SG_JZNS1_25segmented_radix_sort_implINS0_14default_configELb1EPKiPiPKlPlN2at6native12_GLOBAL__N_18offset_tEEE10hipError_tPvRmT1_PNSt15iterator_traitsISY_E10value_typeET2_T3_PNSZ_IS14_E10value_typeET4_jRbjT5_S1A_jjP12ihipStream_tbEUljE_EEESV_SW_SX_S14_S18_S1A_T6_T7_T9_mT8_S1C_bDpT10_ENKUlT_T0_E_clISt17integral_constantIbLb1EES1O_IbLb0EEEEDaS1K_S1L_EUlS1K_E_NS1_11comp_targetILNS1_3genE8ELNS1_11target_archE1030ELNS1_3gpuE2ELNS1_3repE0EEENS1_30default_config_static_selectorELNS0_4arch9wavefront6targetE0EEEvSY_.num_named_barrier, 0
	.set _ZN7rocprim17ROCPRIM_400000_NS6detail17trampoline_kernelINS0_13select_configILj256ELj13ELNS0_17block_load_methodE3ELS4_3ELS4_3ELNS0_20block_scan_algorithmE0ELj4294967295EEENS1_25partition_config_selectorILNS1_17partition_subalgoE3EjNS0_10empty_typeEbEEZZNS1_14partition_implILS8_3ELb0ES6_jNS0_17counting_iteratorIjlEEPS9_SE_NS0_5tupleIJPjSE_EEENSF_IJSE_SE_EEES9_SG_JZNS1_25segmented_radix_sort_implINS0_14default_configELb1EPKiPiPKlPlN2at6native12_GLOBAL__N_18offset_tEEE10hipError_tPvRmT1_PNSt15iterator_traitsISY_E10value_typeET2_T3_PNSZ_IS14_E10value_typeET4_jRbjT5_S1A_jjP12ihipStream_tbEUljE_EEESV_SW_SX_S14_S18_S1A_T6_T7_T9_mT8_S1C_bDpT10_ENKUlT_T0_E_clISt17integral_constantIbLb1EES1O_IbLb0EEEEDaS1K_S1L_EUlS1K_E_NS1_11comp_targetILNS1_3genE8ELNS1_11target_archE1030ELNS1_3gpuE2ELNS1_3repE0EEENS1_30default_config_static_selectorELNS0_4arch9wavefront6targetE0EEEvSY_.private_seg_size, 0
	.set _ZN7rocprim17ROCPRIM_400000_NS6detail17trampoline_kernelINS0_13select_configILj256ELj13ELNS0_17block_load_methodE3ELS4_3ELS4_3ELNS0_20block_scan_algorithmE0ELj4294967295EEENS1_25partition_config_selectorILNS1_17partition_subalgoE3EjNS0_10empty_typeEbEEZZNS1_14partition_implILS8_3ELb0ES6_jNS0_17counting_iteratorIjlEEPS9_SE_NS0_5tupleIJPjSE_EEENSF_IJSE_SE_EEES9_SG_JZNS1_25segmented_radix_sort_implINS0_14default_configELb1EPKiPiPKlPlN2at6native12_GLOBAL__N_18offset_tEEE10hipError_tPvRmT1_PNSt15iterator_traitsISY_E10value_typeET2_T3_PNSZ_IS14_E10value_typeET4_jRbjT5_S1A_jjP12ihipStream_tbEUljE_EEESV_SW_SX_S14_S18_S1A_T6_T7_T9_mT8_S1C_bDpT10_ENKUlT_T0_E_clISt17integral_constantIbLb1EES1O_IbLb0EEEEDaS1K_S1L_EUlS1K_E_NS1_11comp_targetILNS1_3genE8ELNS1_11target_archE1030ELNS1_3gpuE2ELNS1_3repE0EEENS1_30default_config_static_selectorELNS0_4arch9wavefront6targetE0EEEvSY_.uses_vcc, 0
	.set _ZN7rocprim17ROCPRIM_400000_NS6detail17trampoline_kernelINS0_13select_configILj256ELj13ELNS0_17block_load_methodE3ELS4_3ELS4_3ELNS0_20block_scan_algorithmE0ELj4294967295EEENS1_25partition_config_selectorILNS1_17partition_subalgoE3EjNS0_10empty_typeEbEEZZNS1_14partition_implILS8_3ELb0ES6_jNS0_17counting_iteratorIjlEEPS9_SE_NS0_5tupleIJPjSE_EEENSF_IJSE_SE_EEES9_SG_JZNS1_25segmented_radix_sort_implINS0_14default_configELb1EPKiPiPKlPlN2at6native12_GLOBAL__N_18offset_tEEE10hipError_tPvRmT1_PNSt15iterator_traitsISY_E10value_typeET2_T3_PNSZ_IS14_E10value_typeET4_jRbjT5_S1A_jjP12ihipStream_tbEUljE_EEESV_SW_SX_S14_S18_S1A_T6_T7_T9_mT8_S1C_bDpT10_ENKUlT_T0_E_clISt17integral_constantIbLb1EES1O_IbLb0EEEEDaS1K_S1L_EUlS1K_E_NS1_11comp_targetILNS1_3genE8ELNS1_11target_archE1030ELNS1_3gpuE2ELNS1_3repE0EEENS1_30default_config_static_selectorELNS0_4arch9wavefront6targetE0EEEvSY_.uses_flat_scratch, 0
	.set _ZN7rocprim17ROCPRIM_400000_NS6detail17trampoline_kernelINS0_13select_configILj256ELj13ELNS0_17block_load_methodE3ELS4_3ELS4_3ELNS0_20block_scan_algorithmE0ELj4294967295EEENS1_25partition_config_selectorILNS1_17partition_subalgoE3EjNS0_10empty_typeEbEEZZNS1_14partition_implILS8_3ELb0ES6_jNS0_17counting_iteratorIjlEEPS9_SE_NS0_5tupleIJPjSE_EEENSF_IJSE_SE_EEES9_SG_JZNS1_25segmented_radix_sort_implINS0_14default_configELb1EPKiPiPKlPlN2at6native12_GLOBAL__N_18offset_tEEE10hipError_tPvRmT1_PNSt15iterator_traitsISY_E10value_typeET2_T3_PNSZ_IS14_E10value_typeET4_jRbjT5_S1A_jjP12ihipStream_tbEUljE_EEESV_SW_SX_S14_S18_S1A_T6_T7_T9_mT8_S1C_bDpT10_ENKUlT_T0_E_clISt17integral_constantIbLb1EES1O_IbLb0EEEEDaS1K_S1L_EUlS1K_E_NS1_11comp_targetILNS1_3genE8ELNS1_11target_archE1030ELNS1_3gpuE2ELNS1_3repE0EEENS1_30default_config_static_selectorELNS0_4arch9wavefront6targetE0EEEvSY_.has_dyn_sized_stack, 0
	.set _ZN7rocprim17ROCPRIM_400000_NS6detail17trampoline_kernelINS0_13select_configILj256ELj13ELNS0_17block_load_methodE3ELS4_3ELS4_3ELNS0_20block_scan_algorithmE0ELj4294967295EEENS1_25partition_config_selectorILNS1_17partition_subalgoE3EjNS0_10empty_typeEbEEZZNS1_14partition_implILS8_3ELb0ES6_jNS0_17counting_iteratorIjlEEPS9_SE_NS0_5tupleIJPjSE_EEENSF_IJSE_SE_EEES9_SG_JZNS1_25segmented_radix_sort_implINS0_14default_configELb1EPKiPiPKlPlN2at6native12_GLOBAL__N_18offset_tEEE10hipError_tPvRmT1_PNSt15iterator_traitsISY_E10value_typeET2_T3_PNSZ_IS14_E10value_typeET4_jRbjT5_S1A_jjP12ihipStream_tbEUljE_EEESV_SW_SX_S14_S18_S1A_T6_T7_T9_mT8_S1C_bDpT10_ENKUlT_T0_E_clISt17integral_constantIbLb1EES1O_IbLb0EEEEDaS1K_S1L_EUlS1K_E_NS1_11comp_targetILNS1_3genE8ELNS1_11target_archE1030ELNS1_3gpuE2ELNS1_3repE0EEENS1_30default_config_static_selectorELNS0_4arch9wavefront6targetE0EEEvSY_.has_recursion, 0
	.set _ZN7rocprim17ROCPRIM_400000_NS6detail17trampoline_kernelINS0_13select_configILj256ELj13ELNS0_17block_load_methodE3ELS4_3ELS4_3ELNS0_20block_scan_algorithmE0ELj4294967295EEENS1_25partition_config_selectorILNS1_17partition_subalgoE3EjNS0_10empty_typeEbEEZZNS1_14partition_implILS8_3ELb0ES6_jNS0_17counting_iteratorIjlEEPS9_SE_NS0_5tupleIJPjSE_EEENSF_IJSE_SE_EEES9_SG_JZNS1_25segmented_radix_sort_implINS0_14default_configELb1EPKiPiPKlPlN2at6native12_GLOBAL__N_18offset_tEEE10hipError_tPvRmT1_PNSt15iterator_traitsISY_E10value_typeET2_T3_PNSZ_IS14_E10value_typeET4_jRbjT5_S1A_jjP12ihipStream_tbEUljE_EEESV_SW_SX_S14_S18_S1A_T6_T7_T9_mT8_S1C_bDpT10_ENKUlT_T0_E_clISt17integral_constantIbLb1EES1O_IbLb0EEEEDaS1K_S1L_EUlS1K_E_NS1_11comp_targetILNS1_3genE8ELNS1_11target_archE1030ELNS1_3gpuE2ELNS1_3repE0EEENS1_30default_config_static_selectorELNS0_4arch9wavefront6targetE0EEEvSY_.has_indirect_call, 0
	.section	.AMDGPU.csdata,"",@progbits
; Kernel info:
; codeLenInByte = 0
; TotalNumSgprs: 0
; NumVgprs: 0
; ScratchSize: 0
; MemoryBound: 0
; FloatMode: 240
; IeeeMode: 1
; LDSByteSize: 0 bytes/workgroup (compile time only)
; SGPRBlocks: 0
; VGPRBlocks: 0
; NumSGPRsForWavesPerEU: 1
; NumVGPRsForWavesPerEU: 1
; NamedBarCnt: 0
; Occupancy: 16
; WaveLimiterHint : 0
; COMPUTE_PGM_RSRC2:SCRATCH_EN: 0
; COMPUTE_PGM_RSRC2:USER_SGPR: 2
; COMPUTE_PGM_RSRC2:TRAP_HANDLER: 0
; COMPUTE_PGM_RSRC2:TGID_X_EN: 1
; COMPUTE_PGM_RSRC2:TGID_Y_EN: 0
; COMPUTE_PGM_RSRC2:TGID_Z_EN: 0
; COMPUTE_PGM_RSRC2:TIDIG_COMP_CNT: 0
	.section	.text._ZN7rocprim17ROCPRIM_400000_NS6detail17trampoline_kernelINS0_13select_configILj256ELj13ELNS0_17block_load_methodE3ELS4_3ELS4_3ELNS0_20block_scan_algorithmE0ELj4294967295EEENS1_25partition_config_selectorILNS1_17partition_subalgoE3EjNS0_10empty_typeEbEEZZNS1_14partition_implILS8_3ELb0ES6_jNS0_17counting_iteratorIjlEEPS9_SE_NS0_5tupleIJPjSE_EEENSF_IJSE_SE_EEES9_SG_JZNS1_25segmented_radix_sort_implINS0_14default_configELb1EPKiPiPKlPlN2at6native12_GLOBAL__N_18offset_tEEE10hipError_tPvRmT1_PNSt15iterator_traitsISY_E10value_typeET2_T3_PNSZ_IS14_E10value_typeET4_jRbjT5_S1A_jjP12ihipStream_tbEUljE_EEESV_SW_SX_S14_S18_S1A_T6_T7_T9_mT8_S1C_bDpT10_ENKUlT_T0_E_clISt17integral_constantIbLb0EES1O_IbLb1EEEEDaS1K_S1L_EUlS1K_E_NS1_11comp_targetILNS1_3genE0ELNS1_11target_archE4294967295ELNS1_3gpuE0ELNS1_3repE0EEENS1_30default_config_static_selectorELNS0_4arch9wavefront6targetE0EEEvSY_,"axG",@progbits,_ZN7rocprim17ROCPRIM_400000_NS6detail17trampoline_kernelINS0_13select_configILj256ELj13ELNS0_17block_load_methodE3ELS4_3ELS4_3ELNS0_20block_scan_algorithmE0ELj4294967295EEENS1_25partition_config_selectorILNS1_17partition_subalgoE3EjNS0_10empty_typeEbEEZZNS1_14partition_implILS8_3ELb0ES6_jNS0_17counting_iteratorIjlEEPS9_SE_NS0_5tupleIJPjSE_EEENSF_IJSE_SE_EEES9_SG_JZNS1_25segmented_radix_sort_implINS0_14default_configELb1EPKiPiPKlPlN2at6native12_GLOBAL__N_18offset_tEEE10hipError_tPvRmT1_PNSt15iterator_traitsISY_E10value_typeET2_T3_PNSZ_IS14_E10value_typeET4_jRbjT5_S1A_jjP12ihipStream_tbEUljE_EEESV_SW_SX_S14_S18_S1A_T6_T7_T9_mT8_S1C_bDpT10_ENKUlT_T0_E_clISt17integral_constantIbLb0EES1O_IbLb1EEEEDaS1K_S1L_EUlS1K_E_NS1_11comp_targetILNS1_3genE0ELNS1_11target_archE4294967295ELNS1_3gpuE0ELNS1_3repE0EEENS1_30default_config_static_selectorELNS0_4arch9wavefront6targetE0EEEvSY_,comdat
	.globl	_ZN7rocprim17ROCPRIM_400000_NS6detail17trampoline_kernelINS0_13select_configILj256ELj13ELNS0_17block_load_methodE3ELS4_3ELS4_3ELNS0_20block_scan_algorithmE0ELj4294967295EEENS1_25partition_config_selectorILNS1_17partition_subalgoE3EjNS0_10empty_typeEbEEZZNS1_14partition_implILS8_3ELb0ES6_jNS0_17counting_iteratorIjlEEPS9_SE_NS0_5tupleIJPjSE_EEENSF_IJSE_SE_EEES9_SG_JZNS1_25segmented_radix_sort_implINS0_14default_configELb1EPKiPiPKlPlN2at6native12_GLOBAL__N_18offset_tEEE10hipError_tPvRmT1_PNSt15iterator_traitsISY_E10value_typeET2_T3_PNSZ_IS14_E10value_typeET4_jRbjT5_S1A_jjP12ihipStream_tbEUljE_EEESV_SW_SX_S14_S18_S1A_T6_T7_T9_mT8_S1C_bDpT10_ENKUlT_T0_E_clISt17integral_constantIbLb0EES1O_IbLb1EEEEDaS1K_S1L_EUlS1K_E_NS1_11comp_targetILNS1_3genE0ELNS1_11target_archE4294967295ELNS1_3gpuE0ELNS1_3repE0EEENS1_30default_config_static_selectorELNS0_4arch9wavefront6targetE0EEEvSY_ ; -- Begin function _ZN7rocprim17ROCPRIM_400000_NS6detail17trampoline_kernelINS0_13select_configILj256ELj13ELNS0_17block_load_methodE3ELS4_3ELS4_3ELNS0_20block_scan_algorithmE0ELj4294967295EEENS1_25partition_config_selectorILNS1_17partition_subalgoE3EjNS0_10empty_typeEbEEZZNS1_14partition_implILS8_3ELb0ES6_jNS0_17counting_iteratorIjlEEPS9_SE_NS0_5tupleIJPjSE_EEENSF_IJSE_SE_EEES9_SG_JZNS1_25segmented_radix_sort_implINS0_14default_configELb1EPKiPiPKlPlN2at6native12_GLOBAL__N_18offset_tEEE10hipError_tPvRmT1_PNSt15iterator_traitsISY_E10value_typeET2_T3_PNSZ_IS14_E10value_typeET4_jRbjT5_S1A_jjP12ihipStream_tbEUljE_EEESV_SW_SX_S14_S18_S1A_T6_T7_T9_mT8_S1C_bDpT10_ENKUlT_T0_E_clISt17integral_constantIbLb0EES1O_IbLb1EEEEDaS1K_S1L_EUlS1K_E_NS1_11comp_targetILNS1_3genE0ELNS1_11target_archE4294967295ELNS1_3gpuE0ELNS1_3repE0EEENS1_30default_config_static_selectorELNS0_4arch9wavefront6targetE0EEEvSY_
	.p2align	8
	.type	_ZN7rocprim17ROCPRIM_400000_NS6detail17trampoline_kernelINS0_13select_configILj256ELj13ELNS0_17block_load_methodE3ELS4_3ELS4_3ELNS0_20block_scan_algorithmE0ELj4294967295EEENS1_25partition_config_selectorILNS1_17partition_subalgoE3EjNS0_10empty_typeEbEEZZNS1_14partition_implILS8_3ELb0ES6_jNS0_17counting_iteratorIjlEEPS9_SE_NS0_5tupleIJPjSE_EEENSF_IJSE_SE_EEES9_SG_JZNS1_25segmented_radix_sort_implINS0_14default_configELb1EPKiPiPKlPlN2at6native12_GLOBAL__N_18offset_tEEE10hipError_tPvRmT1_PNSt15iterator_traitsISY_E10value_typeET2_T3_PNSZ_IS14_E10value_typeET4_jRbjT5_S1A_jjP12ihipStream_tbEUljE_EEESV_SW_SX_S14_S18_S1A_T6_T7_T9_mT8_S1C_bDpT10_ENKUlT_T0_E_clISt17integral_constantIbLb0EES1O_IbLb1EEEEDaS1K_S1L_EUlS1K_E_NS1_11comp_targetILNS1_3genE0ELNS1_11target_archE4294967295ELNS1_3gpuE0ELNS1_3repE0EEENS1_30default_config_static_selectorELNS0_4arch9wavefront6targetE0EEEvSY_,@function
_ZN7rocprim17ROCPRIM_400000_NS6detail17trampoline_kernelINS0_13select_configILj256ELj13ELNS0_17block_load_methodE3ELS4_3ELS4_3ELNS0_20block_scan_algorithmE0ELj4294967295EEENS1_25partition_config_selectorILNS1_17partition_subalgoE3EjNS0_10empty_typeEbEEZZNS1_14partition_implILS8_3ELb0ES6_jNS0_17counting_iteratorIjlEEPS9_SE_NS0_5tupleIJPjSE_EEENSF_IJSE_SE_EEES9_SG_JZNS1_25segmented_radix_sort_implINS0_14default_configELb1EPKiPiPKlPlN2at6native12_GLOBAL__N_18offset_tEEE10hipError_tPvRmT1_PNSt15iterator_traitsISY_E10value_typeET2_T3_PNSZ_IS14_E10value_typeET4_jRbjT5_S1A_jjP12ihipStream_tbEUljE_EEESV_SW_SX_S14_S18_S1A_T6_T7_T9_mT8_S1C_bDpT10_ENKUlT_T0_E_clISt17integral_constantIbLb0EES1O_IbLb1EEEEDaS1K_S1L_EUlS1K_E_NS1_11comp_targetILNS1_3genE0ELNS1_11target_archE4294967295ELNS1_3gpuE0ELNS1_3repE0EEENS1_30default_config_static_selectorELNS0_4arch9wavefront6targetE0EEEvSY_: ; @_ZN7rocprim17ROCPRIM_400000_NS6detail17trampoline_kernelINS0_13select_configILj256ELj13ELNS0_17block_load_methodE3ELS4_3ELS4_3ELNS0_20block_scan_algorithmE0ELj4294967295EEENS1_25partition_config_selectorILNS1_17partition_subalgoE3EjNS0_10empty_typeEbEEZZNS1_14partition_implILS8_3ELb0ES6_jNS0_17counting_iteratorIjlEEPS9_SE_NS0_5tupleIJPjSE_EEENSF_IJSE_SE_EEES9_SG_JZNS1_25segmented_radix_sort_implINS0_14default_configELb1EPKiPiPKlPlN2at6native12_GLOBAL__N_18offset_tEEE10hipError_tPvRmT1_PNSt15iterator_traitsISY_E10value_typeET2_T3_PNSZ_IS14_E10value_typeET4_jRbjT5_S1A_jjP12ihipStream_tbEUljE_EEESV_SW_SX_S14_S18_S1A_T6_T7_T9_mT8_S1C_bDpT10_ENKUlT_T0_E_clISt17integral_constantIbLb0EES1O_IbLb1EEEEDaS1K_S1L_EUlS1K_E_NS1_11comp_targetILNS1_3genE0ELNS1_11target_archE4294967295ELNS1_3gpuE0ELNS1_3repE0EEENS1_30default_config_static_selectorELNS0_4arch9wavefront6targetE0EEEvSY_
; %bb.0:
	s_clause 0x5
	s_load_b64 s[16:17], s[0:1], 0x10
	s_load_b128 s[12:15], s[0:1], 0x48
	s_load_b64 s[18:19], s[0:1], 0x58
	s_load_b64 s[20:21], s[0:1], 0x68
	s_load_b32 s3, s[0:1], 0x90
	s_load_b128 s[4:7], s[0:1], 0x80
	v_cmp_eq_u32_e64 s2, 0, v0
	s_and_saveexec_b32 s8, s2
	s_cbranch_execz .LBB485_4
; %bb.1:
	s_mov_b32 s10, exec_lo
	s_mov_b32 s9, exec_lo
	v_mbcnt_lo_u32_b32 v1, s10, 0
                                        ; implicit-def: $vgpr2
	s_delay_alu instid0(VALU_DEP_1)
	v_cmpx_eq_u32_e32 0, v1
	s_cbranch_execz .LBB485_3
; %bb.2:
	s_load_b64 s[22:23], s[0:1], 0x78
	s_bcnt1_i32_b32 s10, s10
	s_delay_alu instid0(SALU_CYCLE_1)
	v_dual_mov_b32 v2, 0 :: v_dual_mov_b32 v3, s10
	s_wait_xcnt 0x0
	s_wait_kmcnt 0x0
	global_atomic_add_u32 v2, v2, v3, s[22:23] th:TH_ATOMIC_RETURN scope:SCOPE_DEV
.LBB485_3:
	s_wait_xcnt 0x0
	s_or_b32 exec_lo, exec_lo, s9
	s_wait_loadcnt 0x0
	v_readfirstlane_b32 s9, v2
	s_delay_alu instid0(VALU_DEP_1)
	v_dual_mov_b32 v2, 0 :: v_dual_add_nc_u32 v1, s9, v1
	ds_store_b32 v2, v1
.LBB485_4:
	s_or_b32 exec_lo, exec_lo, s8
	v_dual_mov_b32 v1, 0 :: v_dual_lshlrev_b32 v19, 2, v0
	s_clause 0x2
	s_load_b32 s8, s[0:1], 0x8
	s_load_b64 s[10:11], s[0:1], 0x28
	s_load_b32 s9, s[0:1], 0x70
	s_wait_dscnt 0x0
	s_barrier_signal -1
	s_barrier_wait -1
	ds_load_b32 v4, v1
	s_wait_dscnt 0x0
	s_barrier_signal -1
	s_barrier_wait -1
	s_wait_kmcnt 0x0
	global_load_b64 v[42:43], v1, s[14:15]
	s_mov_b32 s1, 0
	s_add_co_i32 s8, s8, s16
	s_mul_i32 s0, s9, 0xd00
	s_add_co_i32 s9, s9, -1
	s_wait_xcnt 0x0
	s_add_nc_u64 s[14:15], s[16:17], s[0:1]
	s_add_co_i32 s0, s0, s16
	v_cmp_gt_u64_e64 s1, s[18:19], s[14:15]
	v_readfirstlane_b32 s23, v4
	s_sub_co_i32 s22, s18, s0
	v_cmp_ne_u32_e32 vcc_lo, s9, v4
	s_addk_co_i32 s22, 0xd00
	s_mov_b32 s15, -1
	s_cmp_eq_u32 s23, s9
	s_mul_i32 s14, s23, 0xd00
	s_cselect_b32 s9, -1, 0
	s_or_b32 s1, s1, vcc_lo
	s_delay_alu instid0(SALU_CYCLE_1)
	s_and_b32 vcc_lo, exec_lo, s1
	s_cbranch_vccz .LBB485_6
; %bb.5:
	v_add3_u32 v1, s14, s8, v0
	s_mov_b32 s15, 0
	s_delay_alu instid0(VALU_DEP_1)
	v_add_nc_u32_e32 v2, 0x100, v1
	v_add_nc_u32_e32 v3, 0x200, v1
	;; [unrolled: 1-line block ×12, first 2 shown]
	ds_store_2addr_stride64_b32 v19, v1, v2 offset1:4
	ds_store_2addr_stride64_b32 v19, v3, v5 offset0:8 offset1:12
	ds_store_2addr_stride64_b32 v19, v6, v7 offset0:16 offset1:20
	;; [unrolled: 1-line block ×5, first 2 shown]
	ds_store_b32 v19, v14 offset:12288
	s_wait_loadcnt_dscnt 0x0
	s_barrier_signal -1
	s_barrier_wait -1
.LBB485_6:
	v_cmp_gt_u32_e64 s0, s22, v0
	v_or_b32_e32 v40, 0x100, v0
	v_or_b32_e32 v38, 0x200, v0
	;; [unrolled: 1-line block ×12, first 2 shown]
	s_and_not1_b32 vcc_lo, exec_lo, s15
	s_cbranch_vccnz .LBB485_8
; %bb.7:
	s_add_co_i32 s8, s14, s8
	v_cmp_gt_u32_e32 vcc_lo, s22, v40
	v_dual_add_nc_u32 v1, s8, v0 :: v_dual_add_nc_u32 v3, s8, v38
	v_dual_add_nc_u32 v2, s8, v40 :: v_dual_add_nc_u32 v8, s8, v30
	s_delay_alu instid0(VALU_DEP_2) | instskip(NEXT) | instid1(VALU_DEP_2)
	v_dual_add_nc_u32 v9, s8, v28 :: v_dual_cndmask_b32 v1, 0, v1, s0
	v_dual_cndmask_b32 v2, 0, v2 :: v_dual_add_nc_u32 v5, s8, v36
	v_cmp_gt_u32_e32 vcc_lo, s22, v38
	v_dual_add_nc_u32 v12, s8, v22 :: v_dual_add_nc_u32 v13, s8, v20
	v_dual_add_nc_u32 v6, s8, v34 :: v_dual_add_nc_u32 v7, s8, v32
	v_cndmask_b32_e32 v3, 0, v3, vcc_lo
	v_cmp_gt_u32_e32 vcc_lo, s22, v36
	v_dual_add_nc_u32 v10, s8, v26 :: v_dual_add_nc_u32 v11, s8, v24
	v_cndmask_b32_e32 v5, 0, v5, vcc_lo
	v_cmp_gt_u32_e32 vcc_lo, s22, v34
	v_cndmask_b32_e32 v6, 0, v6, vcc_lo
	v_cmp_gt_u32_e32 vcc_lo, s22, v32
	;; [unrolled: 2-line block ×7, first 2 shown]
	v_dual_add_nc_u32 v14, s8, v18 :: v_dual_cndmask_b32 v12, 0, v12, vcc_lo
	v_cmp_gt_u32_e32 vcc_lo, s22, v20
	v_cndmask_b32_e32 v13, 0, v13, vcc_lo
	v_cmp_gt_u32_e32 vcc_lo, s22, v18
	s_delay_alu instid0(VALU_DEP_4)
	v_cndmask_b32_e32 v14, 0, v14, vcc_lo
	ds_store_2addr_stride64_b32 v19, v1, v2 offset1:4
	ds_store_2addr_stride64_b32 v19, v3, v5 offset0:8 offset1:12
	ds_store_2addr_stride64_b32 v19, v6, v7 offset0:16 offset1:20
	;; [unrolled: 1-line block ×5, first 2 shown]
	ds_store_b32 v19, v14 offset:12288
	s_wait_loadcnt_dscnt 0x0
	s_barrier_signal -1
	s_barrier_wait -1
.LBB485_8:
	v_mul_u32_u24_e32 v23, 13, v0
	s_wait_loadcnt 0x0
	v_cndmask_b32_e64 v21, 0, 1, s1
	s_and_not1_b32 vcc_lo, exec_lo, s1
	s_delay_alu instid0(VALU_DEP_2)
	v_lshlrev_b32_e32 v2, 2, v23
	ds_load_2addr_b32 v[52:53], v2 offset0:2 offset1:3
	ds_load_2addr_b32 v[48:49], v2 offset0:6 offset1:7
	;; [unrolled: 1-line block ×3, first 2 shown]
	ds_load_2addr_b32 v[54:55], v2 offset1:1
	ds_load_2addr_b32 v[44:45], v2 offset0:10 offset1:11
	ds_load_b32 v1, v2 offset:48
	ds_load_2addr_b32 v[46:47], v2 offset0:8 offset1:9
	s_wait_dscnt 0x0
	s_barrier_signal -1
	s_barrier_wait -1
	s_cbranch_vccnz .LBB485_10
; %bb.9:
	v_dual_add_nc_u32 v2, s5, v53 :: v_dual_add_nc_u32 v3, s5, v55
	v_dual_add_nc_u32 v5, s5, v54 :: v_dual_add_nc_u32 v6, s5, v52
	;; [unrolled: 1-line block ×4, first 2 shown]
	s_delay_alu instid0(VALU_DEP_3) | instskip(NEXT) | instid1(VALU_DEP_4)
	v_mul_lo_u32 v6, v6, s4
	v_mul_lo_u32 v5, v5, s4
	;; [unrolled: 1-line block ×8, first 2 shown]
	v_dual_add_nc_u32 v11, s5, v50 :: v_dual_add_nc_u32 v12, s7, v50
	v_dual_add_nc_u32 v13, s5, v48 :: v_dual_add_nc_u32 v15, s7, v45
	v_add_nc_u32_e32 v16, s5, v44
	s_delay_alu instid0(VALU_DEP_3) | instskip(NEXT) | instid1(VALU_DEP_4)
	v_mul_lo_u32 v11, v11, s4
	v_mul_lo_u32 v12, v12, s6
	v_dual_sub_nc_u32 v2, v2, v7 :: v_dual_sub_nc_u32 v3, v3, v8
	v_dual_sub_nc_u32 v5, v5, v9 :: v_dual_sub_nc_u32 v6, v6, v10
	v_dual_add_nc_u32 v7, s5, v51 :: v_dual_add_nc_u32 v8, s7, v51
	v_dual_add_nc_u32 v9, s5, v49 :: v_dual_add_nc_u32 v10, s7, v49
	s_delay_alu instid0(VALU_DEP_4) | instskip(NEXT) | instid1(VALU_DEP_3)
	v_cmp_lt_u32_e32 vcc_lo, s3, v2
	v_mul_lo_u32 v7, v7, s4
	s_delay_alu instid0(VALU_DEP_4) | instskip(NEXT) | instid1(VALU_DEP_4)
	v_mul_lo_u32 v8, v8, s6
	v_mul_lo_u32 v9, v9, s4
	;; [unrolled: 1-line block ×3, first 2 shown]
	v_cndmask_b32_e64 v2, 0, 1, vcc_lo
	v_cmp_lt_u32_e32 vcc_lo, s3, v3
	v_dual_add_nc_u32 v17, s7, v47 :: v_dual_add_nc_u32 v25, s7, v46
	v_mul_lo_u32 v15, v15, s6
	v_add_nc_u32_e32 v14, s5, v46
	v_cndmask_b32_e64 v3, 0, 1, vcc_lo
	s_delay_alu instid0(VALU_DEP_4) | instskip(SKIP_4) | instid1(VALU_DEP_3)
	v_mul_lo_u32 v17, v17, s6
	v_sub_nc_u32_e32 v7, v7, v8
	v_dual_add_nc_u32 v8, s7, v48 :: v_dual_sub_nc_u32 v9, v9, v10
	v_dual_sub_nc_u32 v10, v11, v12 :: v_dual_add_nc_u32 v11, s5, v45
	v_mul_lo_u32 v13, v13, s4
	v_mul_lo_u32 v8, v8, s6
	v_add_nc_u32_e32 v12, s5, v47
	v_cmp_lt_u32_e32 vcc_lo, s3, v7
	v_mul_lo_u32 v11, v11, s4
	v_lshlrev_b16 v3, 8, v3
	v_mul_lo_u32 v14, v14, s4
	v_mul_lo_u32 v12, v12, s4
	v_cndmask_b32_e64 v7, 0, 1, vcc_lo
	v_cmp_lt_u32_e32 vcc_lo, s3, v9
	v_lshrrev_b32_e32 v3, 8, v3
	v_mul_lo_u32 v25, v25, s6
	v_sub_nc_u32_e32 v8, v13, v8
	v_lshlrev_b16 v7, 8, v7
	v_cndmask_b32_e64 v9, 0, 1, vcc_lo
	v_sub_nc_u32_e32 v11, v11, v15
	v_cmp_lt_u32_e32 vcc_lo, s3, v5
	s_delay_alu instid0(VALU_DEP_4)
	v_dual_add_nc_u32 v27, s7, v44 :: v_dual_lshrrev_b32 v7, 8, v7
	v_sub_nc_u32_e32 v12, v12, v17
	v_mul_lo_u32 v13, v16, s4
	v_cndmask_b32_e64 v5, 0, 1, vcc_lo
	v_cmp_lt_u32_e32 vcc_lo, s3, v11
	v_mul_lo_u32 v16, v27, s6
	v_dual_add_nc_u32 v15, s5, v1 :: v_dual_add_nc_u32 v27, s7, v1
	v_lshlrev_b16 v2, 8, v2
	v_cndmask_b32_e64 v11, 0, 1, vcc_lo
	v_cmp_lt_u32_e32 vcc_lo, s3, v12
	s_delay_alu instid0(VALU_DEP_4)
	v_mul_lo_u32 v15, v15, s4
	v_mul_lo_u32 v17, v27, s6
	v_sub_nc_u32_e32 v14, v14, v25
	v_lshlrev_b16 v3, 8, v3
	v_cndmask_b32_e64 v12, 0, 1, vcc_lo
	v_cmp_lt_u32_e32 vcc_lo, s3, v6
	v_dual_sub_nc_u32 v13, v13, v16 :: v_dual_lshrrev_b32 v2, 8, v2
	s_delay_alu instid0(VALU_DEP_4)
	v_or_b32_e32 v3, v5, v3
	v_lshlrev_b16 v5, 8, v11
	v_cndmask_b32_e64 v6, 0, 1, vcc_lo
	v_cmp_lt_u32_e32 vcc_lo, s3, v10
	v_lshlrev_b16 v11, 8, v12
	v_lshlrev_b16 v9, 8, v9
	v_sub_nc_u32_e32 v12, v15, v17
	v_lshlrev_b16 v2, 8, v2
	v_cndmask_b32_e64 v10, 0, 1, vcc_lo
	v_cmp_lt_u32_e32 vcc_lo, s3, v8
	v_lshlrev_b16 v7, 8, v7
	v_dual_lshrrev_b32 v11, 8, v11 :: v_dual_lshrrev_b32 v5, 8, v5
	v_or_b32_e32 v2, v6, v2
	v_cndmask_b32_e64 v8, 0, 1, vcc_lo
	v_cmp_lt_u32_e32 vcc_lo, s3, v14
	s_delay_alu instid0(VALU_DEP_4)
	v_lshlrev_b16 v11, 8, v11
	v_lshlrev_b16 v5, 8, v5
	v_dual_lshlrev_b32 v2, 16, v2 :: v_dual_bitop2_b32 v6, v10, v7 bitop3:0x54
	v_cndmask_b32_e64 v14, 0, 1, vcc_lo
	v_cmp_lt_u32_e32 vcc_lo, s3, v13
	v_or_b32_e32 v7, v8, v9
	v_and_b32_e32 v3, 0xffff, v3
	v_and_b32_e32 v6, 0xffff, v6
	v_cndmask_b32_e64 v13, 0, 1, vcc_lo
	s_delay_alu instid0(VALU_DEP_4) | instskip(SKIP_2) | instid1(VALU_DEP_4)
	v_lshlrev_b32_e32 v7, 16, v7
	v_cmp_lt_u32_e32 vcc_lo, s3, v12
	v_or_b32_e32 v35, v3, v2
	v_or_b32_e32 v5, v13, v5
	;; [unrolled: 1-line block ×3, first 2 shown]
	v_cndmask_b32_e64 v25, 0, 1, vcc_lo
	s_delay_alu instid0(VALU_DEP_3) | instskip(NEXT) | instid1(VALU_DEP_3)
	v_dual_lshlrev_b32 v5, 16, v5 :: v_dual_bitop2_b32 v31, v6, v7 bitop3:0x54
	v_and_b32_e32 v8, 0xffff, v8
	s_delay_alu instid0(VALU_DEP_1)
	v_or_b32_e32 v27, v8, v5
	s_cbranch_execz .LBB485_11
	s_branch .LBB485_38
.LBB485_10:
                                        ; implicit-def: $vgpr25
                                        ; implicit-def: $vgpr27
                                        ; implicit-def: $vgpr31
                                        ; implicit-def: $vgpr35
.LBB485_11:
	v_dual_mov_b32 v3, 0 :: v_dual_mov_b32 v2, 0
	s_mov_b32 s0, exec_lo
	v_cmpx_gt_u32_e64 s22, v23
	s_cbranch_execz .LBB485_13
; %bb.12:
	v_dual_add_nc_u32 v2, s5, v54 :: v_dual_add_nc_u32 v5, s7, v54
	s_delay_alu instid0(VALU_DEP_1) | instskip(NEXT) | instid1(VALU_DEP_2)
	v_mul_lo_u32 v2, v2, s4
	v_mul_lo_u32 v5, v5, s6
	s_delay_alu instid0(VALU_DEP_1) | instskip(NEXT) | instid1(VALU_DEP_1)
	v_sub_nc_u32_e32 v2, v2, v5
	v_cmp_lt_u32_e32 vcc_lo, s3, v2
	v_cndmask_b32_e64 v2, 0, 1, vcc_lo
.LBB485_13:
	s_or_b32 exec_lo, exec_lo, s0
	v_add_nc_u32_e32 v5, 1, v23
	s_mov_b32 s0, exec_lo
	s_delay_alu instid0(VALU_DEP_1)
	v_cmpx_gt_u32_e64 s22, v5
	s_cbranch_execz .LBB485_15
; %bb.14:
	v_dual_add_nc_u32 v3, s5, v55 :: v_dual_add_nc_u32 v5, s7, v55
	s_delay_alu instid0(VALU_DEP_1) | instskip(NEXT) | instid1(VALU_DEP_2)
	v_mul_lo_u32 v3, v3, s4
	v_mul_lo_u32 v5, v5, s6
	s_delay_alu instid0(VALU_DEP_1) | instskip(NEXT) | instid1(VALU_DEP_1)
	v_sub_nc_u32_e32 v3, v3, v5
	v_cmp_lt_u32_e32 vcc_lo, s3, v3
	v_cndmask_b32_e64 v3, 0, 1, vcc_lo
.LBB485_15:
	s_or_b32 exec_lo, exec_lo, s0
	v_dual_mov_b32 v6, 0 :: v_dual_add_nc_u32 v5, 2, v23
	s_delay_alu instid0(VALU_DEP_1)
	v_cmp_gt_u32_e32 vcc_lo, s22, v5
	v_mov_b32_e32 v5, 0
	s_and_saveexec_b32 s0, vcc_lo
	s_cbranch_execz .LBB485_17
; %bb.16:
	v_dual_add_nc_u32 v5, s5, v52 :: v_dual_add_nc_u32 v7, s7, v52
	s_delay_alu instid0(VALU_DEP_1) | instskip(NEXT) | instid1(VALU_DEP_2)
	v_mul_lo_u32 v5, v5, s4
	v_mul_lo_u32 v7, v7, s6
	s_delay_alu instid0(VALU_DEP_1) | instskip(NEXT) | instid1(VALU_DEP_1)
	v_sub_nc_u32_e32 v5, v5, v7
	v_cmp_lt_u32_e32 vcc_lo, s3, v5
	v_cndmask_b32_e64 v5, 0, 1, vcc_lo
.LBB485_17:
	s_or_b32 exec_lo, exec_lo, s0
	v_add_nc_u32_e32 v7, 3, v23
	s_mov_b32 s0, exec_lo
	s_delay_alu instid0(VALU_DEP_1)
	v_cmpx_gt_u32_e64 s22, v7
	s_cbranch_execz .LBB485_19
; %bb.18:
	v_dual_add_nc_u32 v6, s5, v53 :: v_dual_add_nc_u32 v7, s7, v53
	s_delay_alu instid0(VALU_DEP_1) | instskip(NEXT) | instid1(VALU_DEP_2)
	v_mul_lo_u32 v6, v6, s4
	v_mul_lo_u32 v7, v7, s6
	s_delay_alu instid0(VALU_DEP_1) | instskip(NEXT) | instid1(VALU_DEP_1)
	v_sub_nc_u32_e32 v6, v6, v7
	v_cmp_lt_u32_e32 vcc_lo, s3, v6
	v_cndmask_b32_e64 v6, 0, 1, vcc_lo
.LBB485_19:
	s_or_b32 exec_lo, exec_lo, s0
	v_dual_mov_b32 v8, 0 :: v_dual_add_nc_u32 v7, 4, v23
	s_delay_alu instid0(VALU_DEP_1)
	v_cmp_gt_u32_e32 vcc_lo, s22, v7
	v_mov_b32_e32 v7, 0
	s_and_saveexec_b32 s0, vcc_lo
	;; [unrolled: 33-line block ×5, first 2 shown]
	s_cbranch_execz .LBB485_33
; %bb.32:
	v_dual_add_nc_u32 v13, s5, v44 :: v_dual_add_nc_u32 v15, s7, v44
	s_delay_alu instid0(VALU_DEP_1) | instskip(NEXT) | instid1(VALU_DEP_2)
	v_mul_lo_u32 v13, v13, s4
	v_mul_lo_u32 v15, v15, s6
	s_delay_alu instid0(VALU_DEP_1) | instskip(NEXT) | instid1(VALU_DEP_1)
	v_sub_nc_u32_e32 v13, v13, v15
	v_cmp_lt_u32_e32 vcc_lo, s3, v13
	v_cndmask_b32_e64 v13, 0, 1, vcc_lo
.LBB485_33:
	s_or_b32 exec_lo, exec_lo, s0
	v_add_nc_u32_e32 v15, 11, v23
	s_mov_b32 s0, exec_lo
	s_delay_alu instid0(VALU_DEP_1)
	v_cmpx_gt_u32_e64 s22, v15
	s_cbranch_execz .LBB485_35
; %bb.34:
	v_dual_add_nc_u32 v14, s5, v45 :: v_dual_add_nc_u32 v15, s7, v45
	s_delay_alu instid0(VALU_DEP_1) | instskip(NEXT) | instid1(VALU_DEP_2)
	v_mul_lo_u32 v14, v14, s4
	v_mul_lo_u32 v15, v15, s6
	s_delay_alu instid0(VALU_DEP_1) | instskip(NEXT) | instid1(VALU_DEP_1)
	v_sub_nc_u32_e32 v14, v14, v15
	v_cmp_lt_u32_e32 vcc_lo, s3, v14
	v_cndmask_b32_e64 v14, 0, 1, vcc_lo
.LBB485_35:
	s_or_b32 exec_lo, exec_lo, s0
	v_dual_add_nc_u32 v15, 12, v23 :: v_dual_mov_b32 v25, 0
	s_mov_b32 s0, exec_lo
	s_delay_alu instid0(VALU_DEP_1)
	v_cmpx_gt_u32_e64 s22, v15
	s_cbranch_execz .LBB485_37
; %bb.36:
	v_dual_add_nc_u32 v15, s7, v1 :: v_dual_add_nc_u32 v16, s5, v1
	s_delay_alu instid0(VALU_DEP_1) | instskip(NEXT) | instid1(VALU_DEP_2)
	v_mul_lo_u32 v15, v15, s6
	v_mul_lo_u32 v16, v16, s4
	s_delay_alu instid0(VALU_DEP_1) | instskip(NEXT) | instid1(VALU_DEP_1)
	v_sub_nc_u32_e32 v15, v16, v15
	v_cmp_lt_u32_e32 vcc_lo, s3, v15
	v_cndmask_b32_e64 v25, 0, 1, vcc_lo
.LBB485_37:
	s_or_b32 exec_lo, exec_lo, s0
	v_lshlrev_b16 v6, 8, v6
	v_lshlrev_b16 v8, 8, v8
	;; [unrolled: 1-line block ×5, first 2 shown]
	v_or_b32_e32 v5, v5, v6
	v_or_b32_e32 v6, v7, v8
	;; [unrolled: 1-line block ×3, first 2 shown]
	s_delay_alu instid0(VALU_DEP_1) | instskip(NEXT) | instid1(VALU_DEP_4)
	v_dual_lshlrev_b32 v7, 16, v7 :: v_dual_bitop2_b32 v8, v11, v12 bitop3:0x54
	v_dual_lshlrev_b32 v5, 16, v5 :: v_dual_bitop2_b32 v2, v2, v3 bitop3:0x54
	v_lshlrev_b16 v3, 8, v14
	s_delay_alu instid0(VALU_DEP_3) | instskip(NEXT) | instid1(VALU_DEP_3)
	v_and_b32_e32 v8, 0xffff, v8
	v_and_b32_e32 v2, 0xffff, v2
	s_delay_alu instid0(VALU_DEP_3) | instskip(NEXT) | instid1(VALU_DEP_1)
	v_or_b32_e32 v3, v13, v3
	v_dual_lshlrev_b32 v3, 16, v3 :: v_dual_bitop2_b32 v35, v2, v5 bitop3:0x54
	v_and_b32_e32 v6, 0xffff, v6
	s_delay_alu instid0(VALU_DEP_2) | instskip(NEXT) | instid1(VALU_DEP_2)
	v_or_b32_e32 v27, v8, v3
	v_or_b32_e32 v31, v6, v7
.LBB485_38:
	s_delay_alu instid0(VALU_DEP_4) | instskip(SKIP_2) | instid1(VALU_DEP_4)
	v_bfe_u32 v39, v35, 16, 8
	v_bfe_u32 v41, v35, 8, 8
	v_and_b32_e32 v57, 0xff, v35
	v_and_b32_e32 v58, 0xff, v31
	v_mbcnt_lo_u32_b32 v64, -1, 0
	v_lshrrev_b32_e32 v37, 24, v35
	v_bfe_u32 v59, v31, 16, 8
	v_add3_u32 v2, v41, v57, v39
	v_bfe_u32 v60, v31, 8, 8
	v_dual_lshrrev_b32 v33, 24, v31 :: v_dual_bitop2_b32 v5, 15, v64 bitop3:0x40
	v_lshrrev_b32_e32 v65, 5, v0
	s_delay_alu instid0(VALU_DEP_4)
	v_add3_u32 v2, v2, v37, v58
	v_and_b32_e32 v61, 0xff, v27
	v_bfe_u32 v62, v27, 16, 8
	v_bfe_u32 v63, v27, 8, 8
	v_dual_lshrrev_b32 v29, 24, v27 :: v_dual_bitop2_b32 v6, 31, v0 bitop3:0x54
	v_add3_u32 v2, v2, v60, v59
	v_and_b32_e32 v3, 0xff, v25
	v_and_b32_e32 v7, 16, v64
	v_cmp_ne_u32_e32 vcc_lo, 0, v4
	v_cmp_eq_u32_e64 s6, 0, v5
	v_add3_u32 v2, v2, v33, v61
	v_cmp_lt_u32_e64 s5, 1, v5
	v_cmp_lt_u32_e64 s4, 3, v5
	;; [unrolled: 1-line block ×3, first 2 shown]
	v_cmp_eq_u32_e64 s1, 0, v7
	v_add3_u32 v2, v2, v63, v62
	v_cmp_eq_u32_e64 s0, v0, v6
	s_mov_b32 s7, -1
	v_add3_u32 v66, v2, v29, v3
	s_cbranch_vccz .LBB485_60
; %bb.39:
	s_delay_alu instid0(VALU_DEP_1) | instskip(NEXT) | instid1(VALU_DEP_1)
	v_mov_b32_dpp v2, v66 row_shr:1 row_mask:0xf bank_mask:0xf
	v_cndmask_b32_e64 v2, v2, 0, s6
	s_delay_alu instid0(VALU_DEP_1) | instskip(NEXT) | instid1(VALU_DEP_1)
	v_add_nc_u32_e32 v2, v2, v66
	v_mov_b32_dpp v3, v2 row_shr:2 row_mask:0xf bank_mask:0xf
	s_delay_alu instid0(VALU_DEP_1) | instskip(NEXT) | instid1(VALU_DEP_1)
	v_cndmask_b32_e64 v3, 0, v3, s5
	v_add_nc_u32_e32 v2, v2, v3
	s_delay_alu instid0(VALU_DEP_1) | instskip(NEXT) | instid1(VALU_DEP_1)
	v_mov_b32_dpp v3, v2 row_shr:4 row_mask:0xf bank_mask:0xf
	v_cndmask_b32_e64 v3, 0, v3, s4
	s_delay_alu instid0(VALU_DEP_1) | instskip(NEXT) | instid1(VALU_DEP_1)
	v_add_nc_u32_e32 v2, v2, v3
	v_mov_b32_dpp v3, v2 row_shr:8 row_mask:0xf bank_mask:0xf
	s_delay_alu instid0(VALU_DEP_1) | instskip(NEXT) | instid1(VALU_DEP_1)
	v_cndmask_b32_e64 v3, 0, v3, s3
	v_add_nc_u32_e32 v2, v2, v3
	ds_swizzle_b32 v3, v2 offset:swizzle(BROADCAST,32,15)
	s_wait_dscnt 0x0
	v_cndmask_b32_e64 v3, v3, 0, s1
	s_delay_alu instid0(VALU_DEP_1)
	v_add_nc_u32_e32 v2, v2, v3
	s_and_saveexec_b32 s7, s0
; %bb.40:
	v_lshlrev_b32_e32 v3, 2, v65
	ds_store_b32 v3, v2
; %bb.41:
	s_or_b32 exec_lo, exec_lo, s7
	s_delay_alu instid0(SALU_CYCLE_1)
	s_mov_b32 s7, exec_lo
	s_wait_dscnt 0x0
	s_barrier_signal -1
	s_barrier_wait -1
	v_cmpx_gt_u32_e32 8, v0
	s_cbranch_execz .LBB485_43
; %bb.42:
	ds_load_b32 v3, v19
	s_wait_dscnt 0x0
	v_mov_b32_dpp v6, v3 row_shr:1 row_mask:0xf bank_mask:0xf
	v_and_b32_e32 v5, 7, v64
	s_delay_alu instid0(VALU_DEP_1) | instskip(NEXT) | instid1(VALU_DEP_3)
	v_cmp_ne_u32_e32 vcc_lo, 0, v5
	v_cndmask_b32_e32 v6, 0, v6, vcc_lo
	v_cmp_lt_u32_e32 vcc_lo, 1, v5
	s_delay_alu instid0(VALU_DEP_2) | instskip(NEXT) | instid1(VALU_DEP_1)
	v_add_nc_u32_e32 v3, v6, v3
	v_mov_b32_dpp v6, v3 row_shr:2 row_mask:0xf bank_mask:0xf
	s_delay_alu instid0(VALU_DEP_1) | instskip(SKIP_1) | instid1(VALU_DEP_2)
	v_cndmask_b32_e32 v6, 0, v6, vcc_lo
	v_cmp_lt_u32_e32 vcc_lo, 3, v5
	v_add_nc_u32_e32 v3, v3, v6
	s_delay_alu instid0(VALU_DEP_1) | instskip(NEXT) | instid1(VALU_DEP_1)
	v_mov_b32_dpp v6, v3 row_shr:4 row_mask:0xf bank_mask:0xf
	v_cndmask_b32_e32 v5, 0, v6, vcc_lo
	s_delay_alu instid0(VALU_DEP_1)
	v_add_nc_u32_e32 v3, v3, v5
	ds_store_b32 v19, v3
.LBB485_43:
	s_or_b32 exec_lo, exec_lo, s7
	s_delay_alu instid0(SALU_CYCLE_1)
	s_mov_b32 s8, exec_lo
	v_cmp_gt_u32_e32 vcc_lo, 32, v0
	s_wait_dscnt 0x0
	s_barrier_signal -1
	s_barrier_wait -1
                                        ; implicit-def: $vgpr10
	v_cmpx_lt_u32_e32 31, v0
	s_cbranch_execz .LBB485_45
; %bb.44:
	v_lshl_add_u32 v3, v65, 2, -4
	ds_load_b32 v10, v3
	s_wait_dscnt 0x0
	v_add_nc_u32_e32 v2, v10, v2
.LBB485_45:
	s_or_b32 exec_lo, exec_lo, s8
	v_sub_co_u32 v3, s7, v64, 1
	s_delay_alu instid0(VALU_DEP_1) | instskip(NEXT) | instid1(VALU_DEP_1)
	v_cmp_gt_i32_e64 s8, 0, v3
	v_cndmask_b32_e64 v3, v3, v64, s8
	s_delay_alu instid0(VALU_DEP_1)
	v_lshlrev_b32_e32 v3, 2, v3
	ds_bpermute_b32 v11, v3, v2
	s_and_saveexec_b32 s8, vcc_lo
	s_cbranch_execz .LBB485_65
; %bb.46:
	v_dual_mov_b32 v9, 0 :: v_dual_add_nc_u32 v12, 32, v4
	ds_load_b32 v2, v9 offset:28
	s_and_saveexec_b32 s15, s7
	s_cbranch_execz .LBB485_48
; %bb.47:
	v_mov_b32_e32 v3, 1
	s_wait_dscnt 0x0
	global_store_b64 v12, v[2:3], s[20:21] scale_offset scope:SCOPE_DEV
.LBB485_48:
	s_wait_xcnt 0x0
	s_or_b32 exec_lo, exec_lo, s15
	v_xad_u32 v4, v64, -1, v4
	s_mov_b32 s23, 0
	s_mov_b32 s15, exec_lo
	s_delay_alu instid0(VALU_DEP_1) | instskip(SKIP_4) | instid1(VALU_DEP_1)
	v_add_nc_u32_e32 v8, 32, v4
	global_load_b64 v[6:7], v8, s[20:21] scale_offset scope:SCOPE_DEV
	s_wait_loadcnt 0x0
	v_and_b32_e32 v3, 0xff, v7
	s_wait_xcnt 0x0
	v_cmpx_eq_u16_e32 0, v3
	s_cbranch_execz .LBB485_52
; %bb.49:
	v_lshl_add_u64 v[8:9], v[8:9], 3, s[20:21]
.LBB485_50:                             ; =>This Inner Loop Header: Depth=1
	global_load_b64 v[6:7], v[8:9], off scope:SCOPE_DEV
	s_wait_loadcnt 0x0
	v_and_b32_e32 v3, 0xff, v7
	s_delay_alu instid0(VALU_DEP_1)
	v_cmp_ne_u16_e32 vcc_lo, 0, v3
	s_or_b32 s23, vcc_lo, s23
	s_wait_xcnt 0x0
	s_and_not1_b32 exec_lo, exec_lo, s23
	s_cbranch_execnz .LBB485_50
; %bb.51:
	s_or_b32 exec_lo, exec_lo, s23
.LBB485_52:
	s_delay_alu instid0(SALU_CYCLE_1)
	s_or_b32 exec_lo, exec_lo, s15
	v_cmp_ne_u32_e32 vcc_lo, 31, v64
	v_lshlrev_b32_e64 v14, v64, -1
	v_lshl_or_b32 v69, v64, 2, 64
	v_dual_add_nc_u32 v16, 2, v64 :: v_dual_add_nc_u32 v56, 4, v64
	v_add_co_ci_u32_e64 v3, null, 0, v64, vcc_lo
	v_dual_add_nc_u32 v68, 8, v64 :: v_dual_add_nc_u32 v70, 16, v64
	s_delay_alu instid0(VALU_DEP_2)
	v_lshlrev_b32_e32 v13, 2, v3
	v_and_b32_e32 v3, 0xff, v7
	ds_bpermute_b32 v5, v13, v6
	v_cmp_eq_u16_e32 vcc_lo, 2, v3
	v_and_or_b32 v3, vcc_lo, v14, 0x80000000
	v_cmp_gt_u32_e32 vcc_lo, 30, v64
	s_delay_alu instid0(VALU_DEP_2) | instskip(SKIP_1) | instid1(VALU_DEP_2)
	v_ctz_i32_b32_e32 v3, v3
	v_cndmask_b32_e64 v8, 0, 2, vcc_lo
	v_cmp_lt_u32_e32 vcc_lo, v64, v3
	s_delay_alu instid0(VALU_DEP_2) | instskip(SKIP_3) | instid1(VALU_DEP_2)
	v_add_lshl_u32 v15, v8, v64, 2
	s_wait_dscnt 0x0
	v_cndmask_b32_e32 v5, 0, v5, vcc_lo
	v_cmp_gt_u32_e32 vcc_lo, 28, v64
	v_add_nc_u32_e32 v5, v5, v6
	v_cndmask_b32_e64 v8, 0, 4, vcc_lo
	v_cmp_le_u32_e32 vcc_lo, v16, v3
	ds_bpermute_b32 v6, v15, v5
	v_add_lshl_u32 v17, v8, v64, 2
	s_wait_dscnt 0x0
	v_cndmask_b32_e32 v6, 0, v6, vcc_lo
	v_cmp_gt_u32_e32 vcc_lo, 24, v64
	v_cndmask_b32_e64 v8, 0, 8, vcc_lo
	v_cmp_le_u32_e32 vcc_lo, v56, v3
	s_delay_alu instid0(VALU_DEP_4) | instskip(NEXT) | instid1(VALU_DEP_3)
	v_add_nc_u32_e32 v5, v5, v6
	v_add_lshl_u32 v67, v8, v64, 2
	ds_bpermute_b32 v6, v17, v5
	s_wait_dscnt 0x0
	v_cndmask_b32_e32 v6, 0, v6, vcc_lo
	v_cmp_le_u32_e32 vcc_lo, v68, v3
	s_delay_alu instid0(VALU_DEP_2) | instskip(SKIP_4) | instid1(VALU_DEP_2)
	v_add_nc_u32_e32 v5, v5, v6
	ds_bpermute_b32 v6, v67, v5
	s_wait_dscnt 0x0
	v_cndmask_b32_e32 v6, 0, v6, vcc_lo
	v_cmp_le_u32_e32 vcc_lo, v70, v3
	v_add_nc_u32_e32 v5, v5, v6
	ds_bpermute_b32 v6, v69, v5
	s_wait_dscnt 0x0
	v_cndmask_b32_e32 v3, 0, v6, vcc_lo
	s_delay_alu instid0(VALU_DEP_1)
	v_dual_mov_b32 v5, 0 :: v_dual_add_nc_u32 v6, v5, v3
	s_branch .LBB485_56
.LBB485_53:                             ;   in Loop: Header=BB485_56 Depth=1
	s_or_b32 exec_lo, exec_lo, s23
.LBB485_54:                             ;   in Loop: Header=BB485_56 Depth=1
	s_delay_alu instid0(SALU_CYCLE_1)
	s_or_b32 exec_lo, exec_lo, s15
	v_and_b32_e32 v8, 0xff, v7
	ds_bpermute_b32 v9, v13, v6
	v_subrev_nc_u32_e32 v4, 32, v4
	s_mov_b32 s15, 0
	v_cmp_eq_u16_e32 vcc_lo, 2, v8
	v_and_or_b32 v8, vcc_lo, v14, 0x80000000
	s_delay_alu instid0(VALU_DEP_1) | instskip(NEXT) | instid1(VALU_DEP_1)
	v_ctz_i32_b32_e32 v8, v8
	v_cmp_lt_u32_e32 vcc_lo, v64, v8
	s_wait_dscnt 0x0
	v_cndmask_b32_e32 v9, 0, v9, vcc_lo
	v_cmp_le_u32_e32 vcc_lo, v16, v8
	s_delay_alu instid0(VALU_DEP_2) | instskip(SKIP_4) | instid1(VALU_DEP_2)
	v_add_nc_u32_e32 v6, v9, v6
	ds_bpermute_b32 v9, v15, v6
	s_wait_dscnt 0x0
	v_cndmask_b32_e32 v9, 0, v9, vcc_lo
	v_cmp_le_u32_e32 vcc_lo, v56, v8
	v_add_nc_u32_e32 v6, v6, v9
	ds_bpermute_b32 v9, v17, v6
	s_wait_dscnt 0x0
	v_cndmask_b32_e32 v9, 0, v9, vcc_lo
	v_cmp_le_u32_e32 vcc_lo, v68, v8
	s_delay_alu instid0(VALU_DEP_2) | instskip(SKIP_4) | instid1(VALU_DEP_2)
	v_add_nc_u32_e32 v6, v6, v9
	ds_bpermute_b32 v9, v67, v6
	s_wait_dscnt 0x0
	v_cndmask_b32_e32 v9, 0, v9, vcc_lo
	v_cmp_le_u32_e32 vcc_lo, v70, v8
	v_add_nc_u32_e32 v6, v6, v9
	ds_bpermute_b32 v9, v69, v6
	s_wait_dscnt 0x0
	v_cndmask_b32_e32 v8, 0, v9, vcc_lo
	s_delay_alu instid0(VALU_DEP_1)
	v_add3_u32 v6, v8, v3, v6
.LBB485_55:                             ;   in Loop: Header=BB485_56 Depth=1
	s_and_b32 vcc_lo, exec_lo, s15
	s_cbranch_vccnz .LBB485_61
.LBB485_56:                             ; =>This Loop Header: Depth=1
                                        ;     Child Loop BB485_59 Depth 2
	v_and_b32_e32 v3, 0xff, v7
	s_mov_b32 s15, -1
                                        ; implicit-def: $vgpr7
	s_delay_alu instid0(VALU_DEP_1)
	v_cmp_ne_u16_e32 vcc_lo, 2, v3
	v_mov_b32_e32 v3, v6
                                        ; implicit-def: $vgpr6
	s_cmp_lg_u32 vcc_lo, exec_lo
	s_cbranch_scc1 .LBB485_55
; %bb.57:                               ;   in Loop: Header=BB485_56 Depth=1
	global_load_b64 v[6:7], v4, s[20:21] scale_offset scope:SCOPE_DEV
	s_mov_b32 s15, exec_lo
	s_wait_loadcnt 0x0
	v_and_b32_e32 v8, 0xff, v7
	s_wait_xcnt 0x0
	s_delay_alu instid0(VALU_DEP_1)
	v_cmpx_eq_u16_e32 0, v8
	s_cbranch_execz .LBB485_54
; %bb.58:                               ;   in Loop: Header=BB485_56 Depth=1
	v_lshl_add_u64 v[8:9], v[4:5], 3, s[20:21]
	s_mov_b32 s23, 0
.LBB485_59:                             ;   Parent Loop BB485_56 Depth=1
                                        ; =>  This Inner Loop Header: Depth=2
	global_load_b64 v[6:7], v[8:9], off scope:SCOPE_DEV
	s_wait_loadcnt 0x0
	v_and_b32_e32 v71, 0xff, v7
	s_delay_alu instid0(VALU_DEP_1)
	v_cmp_ne_u16_e32 vcc_lo, 0, v71
	s_or_b32 s23, vcc_lo, s23
	s_wait_xcnt 0x0
	s_and_not1_b32 exec_lo, exec_lo, s23
	s_cbranch_execnz .LBB485_59
	s_branch .LBB485_53
.LBB485_60:
                                        ; implicit-def: $vgpr2_vgpr3_vgpr4_vgpr5_vgpr6_vgpr7_vgpr8_vgpr9_vgpr10_vgpr11_vgpr12_vgpr13_vgpr14_vgpr15_vgpr16_vgpr17
                                        ; implicit-def: $vgpr56
                                        ; implicit-def: $vgpr16
	s_and_b32 vcc_lo, exec_lo, s7
	s_cbranch_vccnz .LBB485_66
	s_branch .LBB485_75
.LBB485_61:
	s_and_saveexec_b32 s15, s7
	s_cbranch_execz .LBB485_63
; %bb.62:
	v_dual_mov_b32 v5, 2 :: v_dual_add_nc_u32 v4, v3, v2
	v_mov_b32_e32 v6, 0
	global_store_b64 v12, v[4:5], s[20:21] scale_offset scope:SCOPE_DEV
	ds_store_b64 v6, v[2:3] offset:13312
.LBB485_63:
	s_wait_xcnt 0x0
	s_or_b32 exec_lo, exec_lo, s15
	s_delay_alu instid0(SALU_CYCLE_1)
	s_and_b32 exec_lo, exec_lo, s2
; %bb.64:
	v_mov_b32_e32 v2, 0
	ds_store_b32 v2, v3 offset:28
.LBB485_65:
	s_or_b32 exec_lo, exec_lo, s8
	s_wait_dscnt 0x0
	v_dual_mov_b32 v12, 0 :: v_dual_cndmask_b32 v3, v11, v10, s7
	s_wait_storecnt 0x0
	s_barrier_signal -1
	s_barrier_wait -1
	ds_load_b32 v2, v12 offset:28
	v_cndmask_b32_e64 v3, v3, 0, s2
	s_wait_dscnt 0x0
	s_barrier_signal -1
	s_barrier_wait -1
	ds_load_b64 v[16:17], v12 offset:13312
	v_add_nc_u32_e32 v2, v2, v3
	s_wait_dscnt 0x0
	s_delay_alu instid0(VALU_DEP_1) | instskip(NEXT) | instid1(VALU_DEP_1)
	v_dual_mov_b32 v56, v17 :: v_dual_add_nc_u32 v3, v2, v57
	v_add_nc_u32_e32 v4, v3, v41
	s_delay_alu instid0(VALU_DEP_1) | instskip(NEXT) | instid1(VALU_DEP_1)
	v_add_nc_u32_e32 v5, v4, v39
	v_add_nc_u32_e32 v6, v5, v37
	s_delay_alu instid0(VALU_DEP_1) | instskip(NEXT) | instid1(VALU_DEP_1)
	v_add_nc_u32_e32 v7, v6, v58
	;; [unrolled: 3-line block ×5, first 2 shown]
	v_add_nc_u32_e32 v14, v13, v29
	s_branch .LBB485_75
.LBB485_66:
	v_mov_b32_dpp v2, v66 row_shr:1 row_mask:0xf bank_mask:0xf
	s_delay_alu instid0(VALU_DEP_1) | instskip(NEXT) | instid1(VALU_DEP_1)
	v_cndmask_b32_e64 v2, v2, 0, s6
	v_add_nc_u32_e32 v2, v2, v66
	s_delay_alu instid0(VALU_DEP_1) | instskip(NEXT) | instid1(VALU_DEP_1)
	v_mov_b32_dpp v3, v2 row_shr:2 row_mask:0xf bank_mask:0xf
	v_cndmask_b32_e64 v3, 0, v3, s5
	s_delay_alu instid0(VALU_DEP_1) | instskip(NEXT) | instid1(VALU_DEP_1)
	v_add_nc_u32_e32 v2, v2, v3
	v_mov_b32_dpp v3, v2 row_shr:4 row_mask:0xf bank_mask:0xf
	s_delay_alu instid0(VALU_DEP_1) | instskip(NEXT) | instid1(VALU_DEP_1)
	v_cndmask_b32_e64 v3, 0, v3, s4
	v_add_nc_u32_e32 v2, v2, v3
	s_delay_alu instid0(VALU_DEP_1) | instskip(NEXT) | instid1(VALU_DEP_1)
	v_mov_b32_dpp v3, v2 row_shr:8 row_mask:0xf bank_mask:0xf
	v_cndmask_b32_e64 v3, 0, v3, s3
	s_delay_alu instid0(VALU_DEP_1) | instskip(SKIP_3) | instid1(VALU_DEP_1)
	v_add_nc_u32_e32 v2, v2, v3
	ds_swizzle_b32 v3, v2 offset:swizzle(BROADCAST,32,15)
	s_wait_dscnt 0x0
	v_cndmask_b32_e64 v3, v3, 0, s1
	v_add_nc_u32_e32 v2, v2, v3
	s_and_saveexec_b32 s1, s0
; %bb.67:
	v_lshlrev_b32_e32 v3, 2, v65
	ds_store_b32 v3, v2
; %bb.68:
	s_or_b32 exec_lo, exec_lo, s1
	s_delay_alu instid0(SALU_CYCLE_1)
	s_mov_b32 s0, exec_lo
	s_wait_dscnt 0x0
	s_barrier_signal -1
	s_barrier_wait -1
	v_cmpx_gt_u32_e32 8, v0
	s_cbranch_execz .LBB485_70
; %bb.69:
	ds_load_b32 v3, v19
	s_wait_dscnt 0x0
	v_mov_b32_dpp v5, v3 row_shr:1 row_mask:0xf bank_mask:0xf
	v_and_b32_e32 v4, 7, v64
	s_delay_alu instid0(VALU_DEP_1) | instskip(NEXT) | instid1(VALU_DEP_3)
	v_cmp_ne_u32_e32 vcc_lo, 0, v4
	v_cndmask_b32_e32 v5, 0, v5, vcc_lo
	v_cmp_lt_u32_e32 vcc_lo, 1, v4
	s_delay_alu instid0(VALU_DEP_2) | instskip(NEXT) | instid1(VALU_DEP_1)
	v_add_nc_u32_e32 v3, v5, v3
	v_mov_b32_dpp v5, v3 row_shr:2 row_mask:0xf bank_mask:0xf
	s_delay_alu instid0(VALU_DEP_1) | instskip(SKIP_1) | instid1(VALU_DEP_2)
	v_cndmask_b32_e32 v5, 0, v5, vcc_lo
	v_cmp_lt_u32_e32 vcc_lo, 3, v4
	v_add_nc_u32_e32 v3, v3, v5
	s_delay_alu instid0(VALU_DEP_1) | instskip(NEXT) | instid1(VALU_DEP_1)
	v_mov_b32_dpp v5, v3 row_shr:4 row_mask:0xf bank_mask:0xf
	v_cndmask_b32_e32 v4, 0, v5, vcc_lo
	s_delay_alu instid0(VALU_DEP_1)
	v_add_nc_u32_e32 v3, v3, v4
	ds_store_b32 v19, v3
.LBB485_70:
	s_or_b32 exec_lo, exec_lo, s0
	v_dual_mov_b32 v4, 0 :: v_dual_mov_b32 v3, 0
	s_mov_b32 s0, exec_lo
	s_wait_dscnt 0x0
	s_barrier_signal -1
	s_barrier_wait -1
	v_cmpx_lt_u32_e32 31, v0
; %bb.71:
	v_lshl_add_u32 v3, v65, 2, -4
	ds_load_b32 v3, v3
; %bb.72:
	s_or_b32 exec_lo, exec_lo, s0
	v_sub_co_u32 v5, vcc_lo, v64, 1
	ds_load_b32 v16, v4 offset:28
	s_wait_dscnt 0x1
	v_add_nc_u32_e32 v2, v3, v2
	v_cmp_gt_i32_e64 s0, 0, v5
	s_delay_alu instid0(VALU_DEP_1) | instskip(NEXT) | instid1(VALU_DEP_1)
	v_cndmask_b32_e64 v5, v5, v64, s0
	v_lshlrev_b32_e32 v5, 2, v5
	ds_bpermute_b32 v2, v5, v2
	s_and_saveexec_b32 s0, s2
	s_cbranch_execz .LBB485_74
; %bb.73:
	v_dual_mov_b32 v4, 0 :: v_dual_mov_b32 v17, 2
	s_wait_dscnt 0x1
	global_store_b64 v4, v[16:17], s[20:21] offset:256 scope:SCOPE_DEV
.LBB485_74:
	s_wait_xcnt 0x0
	s_or_b32 exec_lo, exec_lo, s0
	s_wait_dscnt 0x0
	v_cndmask_b32_e32 v2, v2, v3, vcc_lo
	s_wait_storecnt 0x0
	s_barrier_signal -1
	s_barrier_wait -1
	s_delay_alu instid0(VALU_DEP_1) | instskip(NEXT) | instid1(VALU_DEP_1)
	v_cndmask_b32_e64 v2, v2, 0, s2
	v_dual_mov_b32 v56, 0 :: v_dual_add_nc_u32 v3, v2, v57
	s_delay_alu instid0(VALU_DEP_1) | instskip(NEXT) | instid1(VALU_DEP_1)
	v_add_nc_u32_e32 v4, v3, v41
	v_add_nc_u32_e32 v5, v4, v39
	s_delay_alu instid0(VALU_DEP_1) | instskip(NEXT) | instid1(VALU_DEP_1)
	v_add_nc_u32_e32 v6, v5, v37
	v_add_nc_u32_e32 v7, v6, v58
	;; [unrolled: 3-line block ×5, first 2 shown]
	s_delay_alu instid0(VALU_DEP_1)
	v_add_nc_u32_e32 v14, v13, v29
.LBB485_75:
	v_dual_lshrrev_b32 v57, 16, v35 :: v_dual_lshrrev_b32 v58, 8, v35
	v_dual_add_nc_u32 v23, v16, v23 :: v_dual_sub_nc_u32 v3, v3, v56
	v_dual_sub_nc_u32 v2, v2, v56 :: v_dual_bitop2_b32 v35, 1, v35 bitop3:0x40
	s_delay_alu instid0(VALU_DEP_3) | instskip(NEXT) | instid1(VALU_DEP_3)
	v_dual_sub_nc_u32 v4, v4, v56 :: v_dual_bitop2_b32 v58, 1, v58 bitop3:0x40
	v_dual_sub_nc_u32 v59, v23, v3 :: v_dual_bitop2_b32 v57, 1, v57 bitop3:0x40
	s_delay_alu instid0(VALU_DEP_3) | instskip(NEXT) | instid1(VALU_DEP_4)
	v_dual_sub_nc_u32 v60, v23, v2 :: v_dual_sub_nc_u32 v5, v5, v56
	v_cmp_eq_u32_e32 vcc_lo, 1, v35
	s_delay_alu instid0(VALU_DEP_3) | instskip(SKIP_1) | instid1(VALU_DEP_4)
	v_dual_sub_nc_u32 v61, v23, v4 :: v_dual_add_nc_u32 v59, 1, v59
	v_dual_lshrrev_b32 v41, 8, v31 :: v_dual_lshrrev_b32 v39, 16, v31
	v_cndmask_b32_e32 v2, v60, v2, vcc_lo
	v_cmp_eq_u32_e32 vcc_lo, 1, v58
	v_dual_lshrrev_b32 v15, 16, v27 :: v_dual_lshrrev_b32 v17, 8, v27
	v_cndmask_b32_e32 v3, v59, v3, vcc_lo
	s_delay_alu instid0(VALU_DEP_4)
	v_dual_sub_nc_u32 v35, v23, v5 :: v_dual_lshlrev_b32 v2, 2, v2
	v_and_b32_e32 v37, 1, v37
	v_add_nc_u32_e32 v58, 2, v61
	v_cmp_eq_u32_e32 vcc_lo, 1, v57
	v_lshlrev_b32_e32 v3, 2, v3
	v_add_nc_u32_e32 v35, 3, v35
	ds_store_b32 v2, v54
	ds_store_b32 v3, v55
	v_cndmask_b32_e32 v4, v58, v4, vcc_lo
	v_cmp_eq_u32_e32 vcc_lo, 1, v37
	v_dual_cndmask_b32 v5, v35, v5 :: v_dual_sub_nc_u32 v6, v6, v56
	s_delay_alu instid0(VALU_DEP_1) | instskip(NEXT) | instid1(VALU_DEP_2)
	v_dual_lshlrev_b32 v3, 2, v4 :: v_dual_lshlrev_b32 v4, 2, v5
	v_sub_nc_u32_e32 v2, v23, v6
	v_dual_sub_nc_u32 v5, v7, v56 :: v_dual_bitop2_b32 v7, 1, v31 bitop3:0x40
	s_delay_alu instid0(VALU_DEP_2)
	v_add_nc_u32_e32 v2, 4, v2
	ds_store_b32 v3, v52
	ds_store_b32 v4, v53
	v_cmp_eq_u32_e32 vcc_lo, 1, v7
	v_dual_sub_nc_u32 v4, v8, v56 :: v_dual_cndmask_b32 v2, v2, v6, vcc_lo
	v_sub_nc_u32_e32 v3, v23, v5
	v_dual_sub_nc_u32 v7, v9, v56 :: v_dual_bitop2_b32 v6, 1, v41 bitop3:0x40
	s_delay_alu instid0(VALU_DEP_2) | instskip(NEXT) | instid1(VALU_DEP_2)
	v_dual_lshlrev_b32 v2, 2, v2 :: v_dual_add_nc_u32 v3, 5, v3
	v_cmp_eq_u32_e32 vcc_lo, 1, v6
	v_dual_sub_nc_u32 v8, v23, v4 :: v_dual_bitop2_b32 v6, 1, v39 bitop3:0x40
	ds_store_b32 v2, v50
	v_and_b32_e32 v2, 1, v33
	v_cndmask_b32_e32 v3, v3, v5, vcc_lo
	v_dual_sub_nc_u32 v5, v23, v7 :: v_dual_add_nc_u32 v8, 6, v8
	v_cmp_eq_u32_e32 vcc_lo, 1, v6
	s_delay_alu instid0(VALU_DEP_3) | instskip(NEXT) | instid1(VALU_DEP_3)
	v_dual_sub_nc_u32 v6, v11, v56 :: v_dual_lshlrev_b32 v3, 2, v3
	v_dual_cndmask_b32 v4, v8, v4 :: v_dual_add_nc_u32 v5, 7, v5
	v_cmp_eq_u32_e32 vcc_lo, 1, v2
	ds_store_b32 v3, v51
	v_dual_sub_nc_u32 v3, v23, v6 :: v_dual_sub_nc_u32 v8, v14, v56
	v_dual_lshlrev_b32 v4, 2, v4 :: v_dual_cndmask_b32 v2, v5, v7, vcc_lo
	v_dual_sub_nc_u32 v5, v10, v56 :: v_dual_bitop2_b32 v7, 1, v17 bitop3:0x40
	s_delay_alu instid0(VALU_DEP_3)
	v_add_nc_u32_e32 v3, 9, v3
	ds_store_b32 v4, v48
	v_dual_lshlrev_b32 v2, 2, v2 :: v_dual_sub_nc_u32 v4, v23, v5
	v_cmp_eq_u32_e32 vcc_lo, 1, v7
	v_sub_nc_u32_e32 v7, v12, v56
	v_sub_nc_u32_e32 v9, v23, v8
	ds_store_b32 v2, v49
	v_dual_add_nc_u32 v4, 8, v4 :: v_dual_bitop2_b32 v2, 1, v27 bitop3:0x40
	v_dual_cndmask_b32 v3, v3, v6 :: v_dual_sub_nc_u32 v6, v13, v56
	s_delay_alu instid0(VALU_DEP_2) | instskip(NEXT) | instid1(VALU_DEP_2)
	v_cmp_eq_u32_e32 vcc_lo, 1, v2
	v_dual_cndmask_b32 v2, v4, v5, vcc_lo :: v_dual_sub_nc_u32 v4, v23, v6
	v_and_b32_e32 v10, 1, v15
	v_dual_sub_nc_u32 v5, v23, v7 :: v_dual_bitop2_b32 v12, 1, v25 bitop3:0x40
	s_delay_alu instid0(VALU_DEP_3) | instskip(SKIP_1) | instid1(VALU_DEP_1)
	v_dual_lshlrev_b32 v2, 2, v2 :: v_dual_add_nc_u32 v4, 11, v4
	v_and_b32_e32 v11, 1, v29
	v_cmp_eq_u32_e32 vcc_lo, 1, v11
	s_delay_alu instid0(VALU_DEP_3) | instskip(SKIP_3) | instid1(VALU_DEP_1)
	v_cndmask_b32_e32 v4, v4, v6, vcc_lo
	v_cmp_eq_u32_e32 vcc_lo, 1, v10
	v_add_nc_u32_e32 v9, 12, v9
	v_add_nc_u32_e32 v5, 10, v5
	v_cndmask_b32_e32 v5, v5, v7, vcc_lo
	v_cmp_eq_u32_e32 vcc_lo, 1, v12
	s_delay_alu instid0(VALU_DEP_2) | instskip(SKIP_3) | instid1(VALU_DEP_3)
	v_dual_lshlrev_b32 v3, 2, v3 :: v_dual_lshlrev_b32 v5, 2, v5
	v_cndmask_b32_e32 v6, v9, v8, vcc_lo
	v_lshlrev_b32_e32 v4, 2, v4
	v_cmp_ne_u32_e32 vcc_lo, 1, v21
	v_lshlrev_b32_e32 v6, 2, v6
	ds_store_b32 v2, v46
	ds_store_b32 v3, v47
	;; [unrolled: 1-line block ×5, first 2 shown]
	s_wait_dscnt 0x0
	s_barrier_signal -1
	s_barrier_wait -1
	ds_load_2addr_stride64_b32 v[14:15], v19 offset1:4
	ds_load_2addr_stride64_b32 v[12:13], v19 offset0:8 offset1:12
	ds_load_2addr_stride64_b32 v[10:11], v19 offset0:16 offset1:20
	;; [unrolled: 1-line block ×5, first 2 shown]
	ds_load_b32 v46, v19 offset:12288
	v_mov_b32_e32 v1, 0
	s_and_b32 vcc_lo, exec_lo, vcc_lo
	s_delay_alu instid0(VALU_DEP_1) | instskip(SKIP_2) | instid1(VALU_DEP_3)
	v_dual_mov_b32 v29, v1 :: v_dual_mov_b32 v57, v1
	v_dual_mov_b32 v41, v1 :: v_dual_mov_b32 v39, v1
	;; [unrolled: 1-line block ×3, first 2 shown]
	v_add_nc_u64_e32 v[2:3], v[42:43], v[56:57]
	v_dual_mov_b32 v33, v1 :: v_dual_mov_b32 v31, v1
	v_dual_mov_b32 v27, v1 :: v_dual_mov_b32 v25, v1
	;; [unrolled: 1-line block ×3, first 2 shown]
	v_mov_b32_e32 v19, v1
	s_cbranch_vccnz .LBB485_132
; %bb.76:
	v_mov_b32_e32 v17, v1
	s_mov_b32 s15, 0
	v_sub_nc_u64_e64 v[42:43], v[2:3], s[16:17]
	s_sub_nc_u64 s[0:1], s[18:19], s[14:15]
	s_delay_alu instid0(VALU_DEP_2) | instid1(SALU_CYCLE_1)
	v_add_nc_u64_e32 v[44:45], s[0:1], v[16:17]
	s_mov_b32 s0, exec_lo
	s_delay_alu instid0(VALU_DEP_1)
	v_add_nc_u64_e32 v[42:43], v[44:45], v[42:43]
                                        ; implicit-def: $vgpr44_vgpr45
	v_cmpx_ge_u32_e64 v0, v16
	s_xor_b32 s0, exec_lo, s0
; %bb.77:
	v_not_b32_e32 v44, v0
	s_delay_alu instid0(VALU_DEP_1) | instskip(NEXT) | instid1(VALU_DEP_1)
	v_ashrrev_i32_e32 v45, 31, v44
	v_add_nc_u64_e32 v[44:45], v[42:43], v[44:45]
; %bb.78:
	s_and_not1_saveexec_b32 s0, s0
; %bb.79:
	v_add_nc_u64_e32 v[44:45], v[2:3], v[0:1]
; %bb.80:
	s_or_b32 exec_lo, exec_lo, s0
	s_delay_alu instid0(VALU_DEP_1)
	v_lshl_add_u64 v[44:45], v[44:45], 2, s[10:11]
	s_mov_b32 s0, exec_lo
	s_wait_dscnt 0x6
	global_store_b32 v[44:45], v14, off
                                        ; implicit-def: $vgpr44_vgpr45
	s_wait_xcnt 0x0
	v_cmpx_ge_u32_e64 v40, v16
	s_xor_b32 s0, exec_lo, s0
; %bb.81:
	v_xor_b32_e32 v44, 0xfffffeff, v0
	s_delay_alu instid0(VALU_DEP_1) | instskip(NEXT) | instid1(VALU_DEP_1)
	v_ashrrev_i32_e32 v45, 31, v44
	v_add_nc_u64_e32 v[44:45], v[42:43], v[44:45]
; %bb.82:
	s_and_not1_saveexec_b32 s0, s0
; %bb.83:
	v_add_nc_u64_e32 v[44:45], v[2:3], v[40:41]
; %bb.84:
	s_or_b32 exec_lo, exec_lo, s0
	s_delay_alu instid0(VALU_DEP_1)
	v_lshl_add_u64 v[44:45], v[44:45], 2, s[10:11]
	s_mov_b32 s0, exec_lo
	global_store_b32 v[44:45], v15, off
                                        ; implicit-def: $vgpr44_vgpr45
	s_wait_xcnt 0x0
	v_cmpx_ge_u32_e64 v38, v16
	s_xor_b32 s0, exec_lo, s0
; %bb.85:
	v_xor_b32_e32 v44, 0xfffffdff, v0
	s_delay_alu instid0(VALU_DEP_1) | instskip(NEXT) | instid1(VALU_DEP_1)
	v_ashrrev_i32_e32 v45, 31, v44
	v_add_nc_u64_e32 v[44:45], v[42:43], v[44:45]
; %bb.86:
	s_and_not1_saveexec_b32 s0, s0
; %bb.87:
	v_add_nc_u64_e32 v[44:45], v[2:3], v[38:39]
; %bb.88:
	s_or_b32 exec_lo, exec_lo, s0
	s_delay_alu instid0(VALU_DEP_1)
	v_lshl_add_u64 v[44:45], v[44:45], 2, s[10:11]
	s_mov_b32 s0, exec_lo
	s_wait_dscnt 0x5
	global_store_b32 v[44:45], v12, off
                                        ; implicit-def: $vgpr44_vgpr45
	s_wait_xcnt 0x0
	v_cmpx_ge_u32_e64 v36, v16
	s_xor_b32 s0, exec_lo, s0
; %bb.89:
	v_xor_b32_e32 v44, 0xfffffcff, v0
	s_delay_alu instid0(VALU_DEP_1) | instskip(NEXT) | instid1(VALU_DEP_1)
	v_ashrrev_i32_e32 v45, 31, v44
	v_add_nc_u64_e32 v[44:45], v[42:43], v[44:45]
; %bb.90:
	s_and_not1_saveexec_b32 s0, s0
; %bb.91:
	v_add_nc_u64_e32 v[44:45], v[2:3], v[36:37]
; %bb.92:
	s_or_b32 exec_lo, exec_lo, s0
	s_delay_alu instid0(VALU_DEP_1)
	v_lshl_add_u64 v[44:45], v[44:45], 2, s[10:11]
	s_mov_b32 s0, exec_lo
	global_store_b32 v[44:45], v13, off
                                        ; implicit-def: $vgpr44_vgpr45
	s_wait_xcnt 0x0
	v_cmpx_ge_u32_e64 v34, v16
	s_xor_b32 s0, exec_lo, s0
; %bb.93:
	v_xor_b32_e32 v44, 0xfffffbff, v0
	;; [unrolled: 39-line block ×6, first 2 shown]
	s_delay_alu instid0(VALU_DEP_1) | instskip(NEXT) | instid1(VALU_DEP_1)
	v_ashrrev_i32_e32 v45, 31, v44
	v_add_nc_u64_e32 v[44:45], v[42:43], v[44:45]
; %bb.126:
	s_and_not1_saveexec_b32 s0, s0
; %bb.127:
	v_add_nc_u64_e32 v[44:45], v[2:3], v[18:19]
; %bb.128:
	s_or_b32 exec_lo, exec_lo, s0
	s_mov_b32 s0, -1
.LBB485_129:
	s_delay_alu instid0(SALU_CYCLE_1)
	s_and_saveexec_b32 s1, s0
	s_cbranch_execz .LBB485_212
.LBB485_130:
	s_delay_alu instid0(VALU_DEP_1)
	v_lshl_add_u64 v[0:1], v[44:45], 2, s[10:11]
	s_wait_dscnt 0x0
	global_store_b32 v[0:1], v46, off
	s_wait_xcnt 0x0
	s_or_b32 exec_lo, exec_lo, s1
	s_and_b32 s0, s2, s9
	s_delay_alu instid0(SALU_CYCLE_1)
	s_and_saveexec_b32 s1, s0
	s_cbranch_execnz .LBB485_213
.LBB485_131:
	s_sendmsg sendmsg(MSG_DEALLOC_VGPRS)
	s_endpgm
.LBB485_132:
	s_mov_b32 s0, 0
                                        ; implicit-def: $vgpr44_vgpr45
	s_cbranch_execz .LBB485_129
; %bb.133:
	s_mov_b32 s15, 0
	v_mov_b32_e32 v17, 0
	s_add_nc_u64 s[4:5], s[16:17], s[14:15]
	s_mov_b32 s1, exec_lo
	s_sub_nc_u64 s[4:5], s[18:19], s[4:5]
	s_delay_alu instid0(VALU_DEP_1) | instid1(SALU_CYCLE_1)
	v_add_nc_u64_e32 v[42:43], s[4:5], v[16:17]
	s_delay_alu instid0(VALU_DEP_1)
	v_add_nc_u64_e32 v[42:43], v[42:43], v[2:3]
	v_cmpx_gt_u32_e64 s22, v0
	s_cbranch_execz .LBB485_169
; %bb.134:
	s_mov_b32 s3, exec_lo
                                        ; implicit-def: $vgpr44_vgpr45
	v_cmpx_ge_u32_e64 v0, v16
	s_xor_b32 s3, exec_lo, s3
; %bb.135:
	v_not_b32_e32 v44, v0
	s_delay_alu instid0(VALU_DEP_1) | instskip(NEXT) | instid1(VALU_DEP_1)
	v_ashrrev_i32_e32 v45, 31, v44
	v_add_nc_u64_e32 v[44:45], v[42:43], v[44:45]
; %bb.136:
	s_and_not1_saveexec_b32 s3, s3
; %bb.137:
	v_add_nc_u64_e32 v[44:45], v[2:3], v[0:1]
; %bb.138:
	s_or_b32 exec_lo, exec_lo, s3
	s_delay_alu instid0(VALU_DEP_1) | instskip(SKIP_4) | instid1(SALU_CYCLE_1)
	v_lshl_add_u64 v[44:45], v[44:45], 2, s[10:11]
	s_wait_dscnt 0x6
	global_store_b32 v[44:45], v14, off
	s_wait_xcnt 0x0
	s_or_b32 exec_lo, exec_lo, s1
	s_mov_b32 s1, exec_lo
	v_cmpx_gt_u32_e64 s22, v40
	s_cbranch_execnz .LBB485_170
.LBB485_139:
	s_or_b32 exec_lo, exec_lo, s1
	s_delay_alu instid0(SALU_CYCLE_1)
	s_mov_b32 s1, exec_lo
	v_cmpx_gt_u32_e64 s22, v38
	s_cbranch_execz .LBB485_175
.LBB485_140:
	s_mov_b32 s3, exec_lo
                                        ; implicit-def: $vgpr14_vgpr15
	v_cmpx_ge_u32_e64 v38, v16
	s_xor_b32 s3, exec_lo, s3
	s_cbranch_execz .LBB485_142
; %bb.141:
	s_wait_dscnt 0x6
	v_xor_b32_e32 v14, 0xfffffdff, v0
                                        ; implicit-def: $vgpr38_vgpr39
	s_delay_alu instid0(VALU_DEP_1) | instskip(NEXT) | instid1(VALU_DEP_1)
	v_ashrrev_i32_e32 v15, 31, v14
	v_add_nc_u64_e32 v[14:15], v[42:43], v[14:15]
.LBB485_142:
	s_and_not1_saveexec_b32 s3, s3
	s_cbranch_execz .LBB485_144
; %bb.143:
	s_wait_dscnt 0x6
	v_add_nc_u64_e32 v[14:15], v[2:3], v[38:39]
.LBB485_144:
	s_or_b32 exec_lo, exec_lo, s3
	s_wait_dscnt 0x6
	s_delay_alu instid0(VALU_DEP_1) | instskip(SKIP_4) | instid1(SALU_CYCLE_1)
	v_lshl_add_u64 v[14:15], v[14:15], 2, s[10:11]
	s_wait_dscnt 0x5
	global_store_b32 v[14:15], v12, off
	s_wait_xcnt 0x0
	s_or_b32 exec_lo, exec_lo, s1
	s_mov_b32 s1, exec_lo
	v_cmpx_gt_u32_e64 s22, v36
	s_cbranch_execnz .LBB485_176
.LBB485_145:
	s_or_b32 exec_lo, exec_lo, s1
	s_delay_alu instid0(SALU_CYCLE_1)
	s_mov_b32 s1, exec_lo
	v_cmpx_gt_u32_e64 s22, v34
	s_cbranch_execz .LBB485_181
.LBB485_146:
	s_mov_b32 s3, exec_lo
                                        ; implicit-def: $vgpr12_vgpr13
	v_cmpx_ge_u32_e64 v34, v16
	s_xor_b32 s3, exec_lo, s3
	s_cbranch_execz .LBB485_148
; %bb.147:
	s_wait_dscnt 0x5
	v_xor_b32_e32 v12, 0xfffffbff, v0
                                        ; implicit-def: $vgpr34_vgpr35
	s_delay_alu instid0(VALU_DEP_1) | instskip(NEXT) | instid1(VALU_DEP_1)
	v_ashrrev_i32_e32 v13, 31, v12
	v_add_nc_u64_e32 v[12:13], v[42:43], v[12:13]
.LBB485_148:
	s_and_not1_saveexec_b32 s3, s3
	s_cbranch_execz .LBB485_150
; %bb.149:
	s_wait_dscnt 0x5
	v_add_nc_u64_e32 v[12:13], v[2:3], v[34:35]
.LBB485_150:
	s_or_b32 exec_lo, exec_lo, s3
	s_wait_dscnt 0x5
	s_delay_alu instid0(VALU_DEP_1) | instskip(SKIP_4) | instid1(SALU_CYCLE_1)
	v_lshl_add_u64 v[12:13], v[12:13], 2, s[10:11]
	s_wait_dscnt 0x4
	global_store_b32 v[12:13], v10, off
	s_wait_xcnt 0x0
	s_or_b32 exec_lo, exec_lo, s1
	s_mov_b32 s1, exec_lo
	v_cmpx_gt_u32_e64 s22, v32
	s_cbranch_execnz .LBB485_182
.LBB485_151:
	s_or_b32 exec_lo, exec_lo, s1
	s_delay_alu instid0(SALU_CYCLE_1)
	s_mov_b32 s1, exec_lo
	v_cmpx_gt_u32_e64 s22, v30
	s_cbranch_execz .LBB485_187
.LBB485_152:
	s_mov_b32 s3, exec_lo
                                        ; implicit-def: $vgpr10_vgpr11
	v_cmpx_ge_u32_e64 v30, v16
	s_xor_b32 s3, exec_lo, s3
	s_cbranch_execz .LBB485_154
; %bb.153:
	s_wait_dscnt 0x4
	v_xor_b32_e32 v10, 0xfffff9ff, v0
                                        ; implicit-def: $vgpr30_vgpr31
	s_delay_alu instid0(VALU_DEP_1) | instskip(NEXT) | instid1(VALU_DEP_1)
	v_ashrrev_i32_e32 v11, 31, v10
	v_add_nc_u64_e32 v[10:11], v[42:43], v[10:11]
.LBB485_154:
	s_and_not1_saveexec_b32 s3, s3
	s_cbranch_execz .LBB485_156
; %bb.155:
	s_wait_dscnt 0x4
	v_add_nc_u64_e32 v[10:11], v[2:3], v[30:31]
.LBB485_156:
	s_or_b32 exec_lo, exec_lo, s3
	s_wait_dscnt 0x4
	s_delay_alu instid0(VALU_DEP_1) | instskip(SKIP_4) | instid1(SALU_CYCLE_1)
	v_lshl_add_u64 v[10:11], v[10:11], 2, s[10:11]
	s_wait_dscnt 0x3
	global_store_b32 v[10:11], v8, off
	s_wait_xcnt 0x0
	s_or_b32 exec_lo, exec_lo, s1
	s_mov_b32 s1, exec_lo
	v_cmpx_gt_u32_e64 s22, v28
	s_cbranch_execnz .LBB485_188
.LBB485_157:
	s_or_b32 exec_lo, exec_lo, s1
	s_delay_alu instid0(SALU_CYCLE_1)
	s_mov_b32 s1, exec_lo
	v_cmpx_gt_u32_e64 s22, v26
	s_cbranch_execz .LBB485_193
.LBB485_158:
	s_mov_b32 s3, exec_lo
                                        ; implicit-def: $vgpr8_vgpr9
	v_cmpx_ge_u32_e64 v26, v16
	s_xor_b32 s3, exec_lo, s3
	s_cbranch_execz .LBB485_160
; %bb.159:
	s_wait_dscnt 0x3
	v_xor_b32_e32 v8, 0xfffff7ff, v0
                                        ; implicit-def: $vgpr26_vgpr27
	s_delay_alu instid0(VALU_DEP_1) | instskip(NEXT) | instid1(VALU_DEP_1)
	v_ashrrev_i32_e32 v9, 31, v8
	v_add_nc_u64_e32 v[8:9], v[42:43], v[8:9]
.LBB485_160:
	s_and_not1_saveexec_b32 s3, s3
	s_cbranch_execz .LBB485_162
; %bb.161:
	s_wait_dscnt 0x3
	v_add_nc_u64_e32 v[8:9], v[2:3], v[26:27]
.LBB485_162:
	s_or_b32 exec_lo, exec_lo, s3
	s_wait_dscnt 0x3
	s_delay_alu instid0(VALU_DEP_1) | instskip(SKIP_4) | instid1(SALU_CYCLE_1)
	v_lshl_add_u64 v[8:9], v[8:9], 2, s[10:11]
	s_wait_dscnt 0x2
	global_store_b32 v[8:9], v6, off
	s_wait_xcnt 0x0
	s_or_b32 exec_lo, exec_lo, s1
	s_mov_b32 s1, exec_lo
	v_cmpx_gt_u32_e64 s22, v24
	s_cbranch_execnz .LBB485_194
.LBB485_163:
	s_or_b32 exec_lo, exec_lo, s1
	s_delay_alu instid0(SALU_CYCLE_1)
	s_mov_b32 s1, exec_lo
	v_cmpx_gt_u32_e64 s22, v22
	s_cbranch_execz .LBB485_199
.LBB485_164:
	s_mov_b32 s3, exec_lo
                                        ; implicit-def: $vgpr6_vgpr7
	v_cmpx_ge_u32_e64 v22, v16
	s_xor_b32 s3, exec_lo, s3
	s_cbranch_execz .LBB485_166
; %bb.165:
	s_wait_dscnt 0x2
	v_xor_b32_e32 v6, 0xfffff5ff, v0
                                        ; implicit-def: $vgpr22_vgpr23
	s_delay_alu instid0(VALU_DEP_1) | instskip(NEXT) | instid1(VALU_DEP_1)
	v_ashrrev_i32_e32 v7, 31, v6
	v_add_nc_u64_e32 v[6:7], v[42:43], v[6:7]
.LBB485_166:
	s_and_not1_saveexec_b32 s3, s3
	s_cbranch_execz .LBB485_168
; %bb.167:
	s_wait_dscnt 0x2
	v_add_nc_u64_e32 v[6:7], v[2:3], v[22:23]
.LBB485_168:
	s_or_b32 exec_lo, exec_lo, s3
	s_wait_dscnt 0x2
	s_delay_alu instid0(VALU_DEP_1) | instskip(SKIP_4) | instid1(SALU_CYCLE_1)
	v_lshl_add_u64 v[6:7], v[6:7], 2, s[10:11]
	s_wait_dscnt 0x1
	global_store_b32 v[6:7], v4, off
	s_wait_xcnt 0x0
	s_or_b32 exec_lo, exec_lo, s1
	s_mov_b32 s1, exec_lo
	v_cmpx_gt_u32_e64 s22, v20
	s_cbranch_execz .LBB485_205
	s_branch .LBB485_200
.LBB485_169:
	s_or_b32 exec_lo, exec_lo, s1
	s_delay_alu instid0(SALU_CYCLE_1)
	s_mov_b32 s1, exec_lo
	v_cmpx_gt_u32_e64 s22, v40
	s_cbranch_execz .LBB485_139
.LBB485_170:
	s_mov_b32 s3, exec_lo
                                        ; implicit-def: $vgpr44_vgpr45
	v_cmpx_ge_u32_e64 v40, v16
	s_xor_b32 s3, exec_lo, s3
; %bb.171:
	v_xor_b32_e32 v40, 0xfffffeff, v0
	s_delay_alu instid0(VALU_DEP_1) | instskip(NEXT) | instid1(VALU_DEP_1)
	v_ashrrev_i32_e32 v41, 31, v40
	v_add_nc_u64_e32 v[44:45], v[42:43], v[40:41]
                                        ; implicit-def: $vgpr40_vgpr41
; %bb.172:
	s_and_not1_saveexec_b32 s3, s3
; %bb.173:
	v_add_nc_u64_e32 v[44:45], v[2:3], v[40:41]
; %bb.174:
	s_or_b32 exec_lo, exec_lo, s3
	s_delay_alu instid0(VALU_DEP_1) | instskip(SKIP_4) | instid1(SALU_CYCLE_1)
	v_lshl_add_u64 v[40:41], v[44:45], 2, s[10:11]
	s_wait_dscnt 0x6
	global_store_b32 v[40:41], v15, off
	s_wait_xcnt 0x0
	s_or_b32 exec_lo, exec_lo, s1
	s_mov_b32 s1, exec_lo
	v_cmpx_gt_u32_e64 s22, v38
	s_cbranch_execnz .LBB485_140
.LBB485_175:
	s_or_b32 exec_lo, exec_lo, s1
	s_delay_alu instid0(SALU_CYCLE_1)
	s_mov_b32 s1, exec_lo
	v_cmpx_gt_u32_e64 s22, v36
	s_cbranch_execz .LBB485_145
.LBB485_176:
	s_mov_b32 s3, exec_lo
                                        ; implicit-def: $vgpr14_vgpr15
	v_cmpx_ge_u32_e64 v36, v16
	s_xor_b32 s3, exec_lo, s3
	s_cbranch_execz .LBB485_178
; %bb.177:
	s_wait_dscnt 0x6
	v_xor_b32_e32 v14, 0xfffffcff, v0
                                        ; implicit-def: $vgpr36_vgpr37
	s_delay_alu instid0(VALU_DEP_1) | instskip(NEXT) | instid1(VALU_DEP_1)
	v_ashrrev_i32_e32 v15, 31, v14
	v_add_nc_u64_e32 v[14:15], v[42:43], v[14:15]
.LBB485_178:
	s_and_not1_saveexec_b32 s3, s3
	s_cbranch_execz .LBB485_180
; %bb.179:
	s_wait_dscnt 0x6
	v_add_nc_u64_e32 v[14:15], v[2:3], v[36:37]
.LBB485_180:
	s_or_b32 exec_lo, exec_lo, s3
	s_wait_dscnt 0x6
	s_delay_alu instid0(VALU_DEP_1) | instskip(SKIP_4) | instid1(SALU_CYCLE_1)
	v_lshl_add_u64 v[14:15], v[14:15], 2, s[10:11]
	s_wait_dscnt 0x5
	global_store_b32 v[14:15], v13, off
	s_wait_xcnt 0x0
	s_or_b32 exec_lo, exec_lo, s1
	s_mov_b32 s1, exec_lo
	v_cmpx_gt_u32_e64 s22, v34
	s_cbranch_execnz .LBB485_146
.LBB485_181:
	s_or_b32 exec_lo, exec_lo, s1
	s_delay_alu instid0(SALU_CYCLE_1)
	s_mov_b32 s1, exec_lo
	v_cmpx_gt_u32_e64 s22, v32
	s_cbranch_execz .LBB485_151
.LBB485_182:
	s_mov_b32 s3, exec_lo
                                        ; implicit-def: $vgpr12_vgpr13
	v_cmpx_ge_u32_e64 v32, v16
	s_xor_b32 s3, exec_lo, s3
	s_cbranch_execz .LBB485_184
; %bb.183:
	s_wait_dscnt 0x5
	v_xor_b32_e32 v12, 0xfffffaff, v0
                                        ; implicit-def: $vgpr32_vgpr33
	s_delay_alu instid0(VALU_DEP_1) | instskip(NEXT) | instid1(VALU_DEP_1)
	v_ashrrev_i32_e32 v13, 31, v12
	v_add_nc_u64_e32 v[12:13], v[42:43], v[12:13]
.LBB485_184:
	s_and_not1_saveexec_b32 s3, s3
	s_cbranch_execz .LBB485_186
; %bb.185:
	s_wait_dscnt 0x5
	v_add_nc_u64_e32 v[12:13], v[2:3], v[32:33]
.LBB485_186:
	s_or_b32 exec_lo, exec_lo, s3
	s_wait_dscnt 0x5
	s_delay_alu instid0(VALU_DEP_1) | instskip(SKIP_4) | instid1(SALU_CYCLE_1)
	v_lshl_add_u64 v[12:13], v[12:13], 2, s[10:11]
	s_wait_dscnt 0x4
	global_store_b32 v[12:13], v11, off
	s_wait_xcnt 0x0
	s_or_b32 exec_lo, exec_lo, s1
	s_mov_b32 s1, exec_lo
	v_cmpx_gt_u32_e64 s22, v30
	s_cbranch_execnz .LBB485_152
.LBB485_187:
	s_or_b32 exec_lo, exec_lo, s1
	s_delay_alu instid0(SALU_CYCLE_1)
	s_mov_b32 s1, exec_lo
	v_cmpx_gt_u32_e64 s22, v28
	s_cbranch_execz .LBB485_157
.LBB485_188:
	s_mov_b32 s3, exec_lo
                                        ; implicit-def: $vgpr10_vgpr11
	v_cmpx_ge_u32_e64 v28, v16
	s_xor_b32 s3, exec_lo, s3
	s_cbranch_execz .LBB485_190
; %bb.189:
	s_wait_dscnt 0x4
	v_xor_b32_e32 v10, 0xfffff8ff, v0
                                        ; implicit-def: $vgpr28_vgpr29
	s_delay_alu instid0(VALU_DEP_1) | instskip(NEXT) | instid1(VALU_DEP_1)
	v_ashrrev_i32_e32 v11, 31, v10
	v_add_nc_u64_e32 v[10:11], v[42:43], v[10:11]
.LBB485_190:
	s_and_not1_saveexec_b32 s3, s3
	s_cbranch_execz .LBB485_192
; %bb.191:
	s_wait_dscnt 0x4
	v_add_nc_u64_e32 v[10:11], v[2:3], v[28:29]
.LBB485_192:
	s_or_b32 exec_lo, exec_lo, s3
	s_wait_dscnt 0x4
	s_delay_alu instid0(VALU_DEP_1) | instskip(SKIP_4) | instid1(SALU_CYCLE_1)
	v_lshl_add_u64 v[10:11], v[10:11], 2, s[10:11]
	s_wait_dscnt 0x3
	global_store_b32 v[10:11], v9, off
	s_wait_xcnt 0x0
	s_or_b32 exec_lo, exec_lo, s1
	s_mov_b32 s1, exec_lo
	v_cmpx_gt_u32_e64 s22, v26
	s_cbranch_execnz .LBB485_158
.LBB485_193:
	s_or_b32 exec_lo, exec_lo, s1
	s_delay_alu instid0(SALU_CYCLE_1)
	s_mov_b32 s1, exec_lo
	v_cmpx_gt_u32_e64 s22, v24
	s_cbranch_execz .LBB485_163
.LBB485_194:
	s_mov_b32 s3, exec_lo
                                        ; implicit-def: $vgpr8_vgpr9
	v_cmpx_ge_u32_e64 v24, v16
	s_xor_b32 s3, exec_lo, s3
	s_cbranch_execz .LBB485_196
; %bb.195:
	s_wait_dscnt 0x3
	v_xor_b32_e32 v8, 0xfffff6ff, v0
                                        ; implicit-def: $vgpr24_vgpr25
	s_delay_alu instid0(VALU_DEP_1) | instskip(NEXT) | instid1(VALU_DEP_1)
	v_ashrrev_i32_e32 v9, 31, v8
	v_add_nc_u64_e32 v[8:9], v[42:43], v[8:9]
.LBB485_196:
	s_and_not1_saveexec_b32 s3, s3
	s_cbranch_execz .LBB485_198
; %bb.197:
	s_wait_dscnt 0x3
	v_add_nc_u64_e32 v[8:9], v[2:3], v[24:25]
.LBB485_198:
	s_or_b32 exec_lo, exec_lo, s3
	s_wait_dscnt 0x3
	s_delay_alu instid0(VALU_DEP_1) | instskip(SKIP_4) | instid1(SALU_CYCLE_1)
	v_lshl_add_u64 v[8:9], v[8:9], 2, s[10:11]
	s_wait_dscnt 0x2
	global_store_b32 v[8:9], v7, off
	s_wait_xcnt 0x0
	s_or_b32 exec_lo, exec_lo, s1
	s_mov_b32 s1, exec_lo
	v_cmpx_gt_u32_e64 s22, v22
	s_cbranch_execnz .LBB485_164
.LBB485_199:
	s_or_b32 exec_lo, exec_lo, s1
	s_delay_alu instid0(SALU_CYCLE_1)
	s_mov_b32 s1, exec_lo
	v_cmpx_gt_u32_e64 s22, v20
	s_cbranch_execz .LBB485_205
.LBB485_200:
	s_mov_b32 s3, exec_lo
                                        ; implicit-def: $vgpr6_vgpr7
	v_cmpx_ge_u32_e64 v20, v16
	s_xor_b32 s3, exec_lo, s3
	s_cbranch_execz .LBB485_202
; %bb.201:
	s_wait_dscnt 0x2
	v_xor_b32_e32 v6, 0xfffff4ff, v0
                                        ; implicit-def: $vgpr20_vgpr21
	s_delay_alu instid0(VALU_DEP_1) | instskip(NEXT) | instid1(VALU_DEP_1)
	v_ashrrev_i32_e32 v7, 31, v6
	v_add_nc_u64_e32 v[6:7], v[42:43], v[6:7]
.LBB485_202:
	s_and_not1_saveexec_b32 s3, s3
	s_cbranch_execz .LBB485_204
; %bb.203:
	s_wait_dscnt 0x2
	v_add_nc_u64_e32 v[6:7], v[2:3], v[20:21]
.LBB485_204:
	s_or_b32 exec_lo, exec_lo, s3
	s_wait_dscnt 0x2
	s_delay_alu instid0(VALU_DEP_1)
	v_lshl_add_u64 v[6:7], v[6:7], 2, s[10:11]
	s_wait_dscnt 0x1
	global_store_b32 v[6:7], v5, off
.LBB485_205:
	s_wait_xcnt 0x0
	s_or_b32 exec_lo, exec_lo, s1
	s_delay_alu instid0(SALU_CYCLE_1)
	s_mov_b32 s1, exec_lo
                                        ; implicit-def: $vgpr44_vgpr45
	v_cmpx_gt_u32_e64 s22, v18
	s_cbranch_execz .LBB485_211
; %bb.206:
	s_mov_b32 s3, exec_lo
                                        ; implicit-def: $vgpr44_vgpr45
	v_cmpx_ge_u32_e64 v18, v16
	s_xor_b32 s3, exec_lo, s3
; %bb.207:
	v_xor_b32_e32 v0, 0xfffff3ff, v0
                                        ; implicit-def: $vgpr18_vgpr19
	s_delay_alu instid0(VALU_DEP_1) | instskip(NEXT) | instid1(VALU_DEP_1)
	v_ashrrev_i32_e32 v1, 31, v0
	v_add_nc_u64_e32 v[44:45], v[42:43], v[0:1]
; %bb.208:
	s_and_not1_saveexec_b32 s3, s3
; %bb.209:
	v_add_nc_u64_e32 v[44:45], v[2:3], v[18:19]
; %bb.210:
	s_or_b32 exec_lo, exec_lo, s3
	s_delay_alu instid0(SALU_CYCLE_1)
	s_or_b32 s0, s0, exec_lo
.LBB485_211:
	s_or_b32 exec_lo, exec_lo, s1
	s_and_saveexec_b32 s1, s0
	s_cbranch_execnz .LBB485_130
.LBB485_212:
	s_or_b32 exec_lo, exec_lo, s1
	s_and_b32 s0, s2, s9
	s_delay_alu instid0(SALU_CYCLE_1)
	s_and_saveexec_b32 s1, s0
	s_cbranch_execz .LBB485_131
.LBB485_213:
	v_mov_b32_e32 v17, 0
	s_delay_alu instid0(VALU_DEP_1)
	v_add_nc_u64_e32 v[0:1], v[2:3], v[16:17]
	global_store_b64 v17, v[0:1], s[12:13]
	s_sendmsg sendmsg(MSG_DEALLOC_VGPRS)
	s_endpgm
	.section	.rodata,"a",@progbits
	.p2align	6, 0x0
	.amdhsa_kernel _ZN7rocprim17ROCPRIM_400000_NS6detail17trampoline_kernelINS0_13select_configILj256ELj13ELNS0_17block_load_methodE3ELS4_3ELS4_3ELNS0_20block_scan_algorithmE0ELj4294967295EEENS1_25partition_config_selectorILNS1_17partition_subalgoE3EjNS0_10empty_typeEbEEZZNS1_14partition_implILS8_3ELb0ES6_jNS0_17counting_iteratorIjlEEPS9_SE_NS0_5tupleIJPjSE_EEENSF_IJSE_SE_EEES9_SG_JZNS1_25segmented_radix_sort_implINS0_14default_configELb1EPKiPiPKlPlN2at6native12_GLOBAL__N_18offset_tEEE10hipError_tPvRmT1_PNSt15iterator_traitsISY_E10value_typeET2_T3_PNSZ_IS14_E10value_typeET4_jRbjT5_S1A_jjP12ihipStream_tbEUljE_EEESV_SW_SX_S14_S18_S1A_T6_T7_T9_mT8_S1C_bDpT10_ENKUlT_T0_E_clISt17integral_constantIbLb0EES1O_IbLb1EEEEDaS1K_S1L_EUlS1K_E_NS1_11comp_targetILNS1_3genE0ELNS1_11target_archE4294967295ELNS1_3gpuE0ELNS1_3repE0EEENS1_30default_config_static_selectorELNS0_4arch9wavefront6targetE0EEEvSY_
		.amdhsa_group_segment_fixed_size 13320
		.amdhsa_private_segment_fixed_size 0
		.amdhsa_kernarg_size 152
		.amdhsa_user_sgpr_count 2
		.amdhsa_user_sgpr_dispatch_ptr 0
		.amdhsa_user_sgpr_queue_ptr 0
		.amdhsa_user_sgpr_kernarg_segment_ptr 1
		.amdhsa_user_sgpr_dispatch_id 0
		.amdhsa_user_sgpr_kernarg_preload_length 0
		.amdhsa_user_sgpr_kernarg_preload_offset 0
		.amdhsa_user_sgpr_private_segment_size 0
		.amdhsa_wavefront_size32 1
		.amdhsa_uses_dynamic_stack 0
		.amdhsa_enable_private_segment 0
		.amdhsa_system_sgpr_workgroup_id_x 1
		.amdhsa_system_sgpr_workgroup_id_y 0
		.amdhsa_system_sgpr_workgroup_id_z 0
		.amdhsa_system_sgpr_workgroup_info 0
		.amdhsa_system_vgpr_workitem_id 0
		.amdhsa_next_free_vgpr 72
		.amdhsa_next_free_sgpr 24
		.amdhsa_named_barrier_count 0
		.amdhsa_reserve_vcc 1
		.amdhsa_float_round_mode_32 0
		.amdhsa_float_round_mode_16_64 0
		.amdhsa_float_denorm_mode_32 3
		.amdhsa_float_denorm_mode_16_64 3
		.amdhsa_fp16_overflow 0
		.amdhsa_memory_ordered 1
		.amdhsa_forward_progress 1
		.amdhsa_inst_pref_size 71
		.amdhsa_round_robin_scheduling 0
		.amdhsa_exception_fp_ieee_invalid_op 0
		.amdhsa_exception_fp_denorm_src 0
		.amdhsa_exception_fp_ieee_div_zero 0
		.amdhsa_exception_fp_ieee_overflow 0
		.amdhsa_exception_fp_ieee_underflow 0
		.amdhsa_exception_fp_ieee_inexact 0
		.amdhsa_exception_int_div_zero 0
	.end_amdhsa_kernel
	.section	.text._ZN7rocprim17ROCPRIM_400000_NS6detail17trampoline_kernelINS0_13select_configILj256ELj13ELNS0_17block_load_methodE3ELS4_3ELS4_3ELNS0_20block_scan_algorithmE0ELj4294967295EEENS1_25partition_config_selectorILNS1_17partition_subalgoE3EjNS0_10empty_typeEbEEZZNS1_14partition_implILS8_3ELb0ES6_jNS0_17counting_iteratorIjlEEPS9_SE_NS0_5tupleIJPjSE_EEENSF_IJSE_SE_EEES9_SG_JZNS1_25segmented_radix_sort_implINS0_14default_configELb1EPKiPiPKlPlN2at6native12_GLOBAL__N_18offset_tEEE10hipError_tPvRmT1_PNSt15iterator_traitsISY_E10value_typeET2_T3_PNSZ_IS14_E10value_typeET4_jRbjT5_S1A_jjP12ihipStream_tbEUljE_EEESV_SW_SX_S14_S18_S1A_T6_T7_T9_mT8_S1C_bDpT10_ENKUlT_T0_E_clISt17integral_constantIbLb0EES1O_IbLb1EEEEDaS1K_S1L_EUlS1K_E_NS1_11comp_targetILNS1_3genE0ELNS1_11target_archE4294967295ELNS1_3gpuE0ELNS1_3repE0EEENS1_30default_config_static_selectorELNS0_4arch9wavefront6targetE0EEEvSY_,"axG",@progbits,_ZN7rocprim17ROCPRIM_400000_NS6detail17trampoline_kernelINS0_13select_configILj256ELj13ELNS0_17block_load_methodE3ELS4_3ELS4_3ELNS0_20block_scan_algorithmE0ELj4294967295EEENS1_25partition_config_selectorILNS1_17partition_subalgoE3EjNS0_10empty_typeEbEEZZNS1_14partition_implILS8_3ELb0ES6_jNS0_17counting_iteratorIjlEEPS9_SE_NS0_5tupleIJPjSE_EEENSF_IJSE_SE_EEES9_SG_JZNS1_25segmented_radix_sort_implINS0_14default_configELb1EPKiPiPKlPlN2at6native12_GLOBAL__N_18offset_tEEE10hipError_tPvRmT1_PNSt15iterator_traitsISY_E10value_typeET2_T3_PNSZ_IS14_E10value_typeET4_jRbjT5_S1A_jjP12ihipStream_tbEUljE_EEESV_SW_SX_S14_S18_S1A_T6_T7_T9_mT8_S1C_bDpT10_ENKUlT_T0_E_clISt17integral_constantIbLb0EES1O_IbLb1EEEEDaS1K_S1L_EUlS1K_E_NS1_11comp_targetILNS1_3genE0ELNS1_11target_archE4294967295ELNS1_3gpuE0ELNS1_3repE0EEENS1_30default_config_static_selectorELNS0_4arch9wavefront6targetE0EEEvSY_,comdat
.Lfunc_end485:
	.size	_ZN7rocprim17ROCPRIM_400000_NS6detail17trampoline_kernelINS0_13select_configILj256ELj13ELNS0_17block_load_methodE3ELS4_3ELS4_3ELNS0_20block_scan_algorithmE0ELj4294967295EEENS1_25partition_config_selectorILNS1_17partition_subalgoE3EjNS0_10empty_typeEbEEZZNS1_14partition_implILS8_3ELb0ES6_jNS0_17counting_iteratorIjlEEPS9_SE_NS0_5tupleIJPjSE_EEENSF_IJSE_SE_EEES9_SG_JZNS1_25segmented_radix_sort_implINS0_14default_configELb1EPKiPiPKlPlN2at6native12_GLOBAL__N_18offset_tEEE10hipError_tPvRmT1_PNSt15iterator_traitsISY_E10value_typeET2_T3_PNSZ_IS14_E10value_typeET4_jRbjT5_S1A_jjP12ihipStream_tbEUljE_EEESV_SW_SX_S14_S18_S1A_T6_T7_T9_mT8_S1C_bDpT10_ENKUlT_T0_E_clISt17integral_constantIbLb0EES1O_IbLb1EEEEDaS1K_S1L_EUlS1K_E_NS1_11comp_targetILNS1_3genE0ELNS1_11target_archE4294967295ELNS1_3gpuE0ELNS1_3repE0EEENS1_30default_config_static_selectorELNS0_4arch9wavefront6targetE0EEEvSY_, .Lfunc_end485-_ZN7rocprim17ROCPRIM_400000_NS6detail17trampoline_kernelINS0_13select_configILj256ELj13ELNS0_17block_load_methodE3ELS4_3ELS4_3ELNS0_20block_scan_algorithmE0ELj4294967295EEENS1_25partition_config_selectorILNS1_17partition_subalgoE3EjNS0_10empty_typeEbEEZZNS1_14partition_implILS8_3ELb0ES6_jNS0_17counting_iteratorIjlEEPS9_SE_NS0_5tupleIJPjSE_EEENSF_IJSE_SE_EEES9_SG_JZNS1_25segmented_radix_sort_implINS0_14default_configELb1EPKiPiPKlPlN2at6native12_GLOBAL__N_18offset_tEEE10hipError_tPvRmT1_PNSt15iterator_traitsISY_E10value_typeET2_T3_PNSZ_IS14_E10value_typeET4_jRbjT5_S1A_jjP12ihipStream_tbEUljE_EEESV_SW_SX_S14_S18_S1A_T6_T7_T9_mT8_S1C_bDpT10_ENKUlT_T0_E_clISt17integral_constantIbLb0EES1O_IbLb1EEEEDaS1K_S1L_EUlS1K_E_NS1_11comp_targetILNS1_3genE0ELNS1_11target_archE4294967295ELNS1_3gpuE0ELNS1_3repE0EEENS1_30default_config_static_selectorELNS0_4arch9wavefront6targetE0EEEvSY_
                                        ; -- End function
	.set _ZN7rocprim17ROCPRIM_400000_NS6detail17trampoline_kernelINS0_13select_configILj256ELj13ELNS0_17block_load_methodE3ELS4_3ELS4_3ELNS0_20block_scan_algorithmE0ELj4294967295EEENS1_25partition_config_selectorILNS1_17partition_subalgoE3EjNS0_10empty_typeEbEEZZNS1_14partition_implILS8_3ELb0ES6_jNS0_17counting_iteratorIjlEEPS9_SE_NS0_5tupleIJPjSE_EEENSF_IJSE_SE_EEES9_SG_JZNS1_25segmented_radix_sort_implINS0_14default_configELb1EPKiPiPKlPlN2at6native12_GLOBAL__N_18offset_tEEE10hipError_tPvRmT1_PNSt15iterator_traitsISY_E10value_typeET2_T3_PNSZ_IS14_E10value_typeET4_jRbjT5_S1A_jjP12ihipStream_tbEUljE_EEESV_SW_SX_S14_S18_S1A_T6_T7_T9_mT8_S1C_bDpT10_ENKUlT_T0_E_clISt17integral_constantIbLb0EES1O_IbLb1EEEEDaS1K_S1L_EUlS1K_E_NS1_11comp_targetILNS1_3genE0ELNS1_11target_archE4294967295ELNS1_3gpuE0ELNS1_3repE0EEENS1_30default_config_static_selectorELNS0_4arch9wavefront6targetE0EEEvSY_.num_vgpr, 72
	.set _ZN7rocprim17ROCPRIM_400000_NS6detail17trampoline_kernelINS0_13select_configILj256ELj13ELNS0_17block_load_methodE3ELS4_3ELS4_3ELNS0_20block_scan_algorithmE0ELj4294967295EEENS1_25partition_config_selectorILNS1_17partition_subalgoE3EjNS0_10empty_typeEbEEZZNS1_14partition_implILS8_3ELb0ES6_jNS0_17counting_iteratorIjlEEPS9_SE_NS0_5tupleIJPjSE_EEENSF_IJSE_SE_EEES9_SG_JZNS1_25segmented_radix_sort_implINS0_14default_configELb1EPKiPiPKlPlN2at6native12_GLOBAL__N_18offset_tEEE10hipError_tPvRmT1_PNSt15iterator_traitsISY_E10value_typeET2_T3_PNSZ_IS14_E10value_typeET4_jRbjT5_S1A_jjP12ihipStream_tbEUljE_EEESV_SW_SX_S14_S18_S1A_T6_T7_T9_mT8_S1C_bDpT10_ENKUlT_T0_E_clISt17integral_constantIbLb0EES1O_IbLb1EEEEDaS1K_S1L_EUlS1K_E_NS1_11comp_targetILNS1_3genE0ELNS1_11target_archE4294967295ELNS1_3gpuE0ELNS1_3repE0EEENS1_30default_config_static_selectorELNS0_4arch9wavefront6targetE0EEEvSY_.num_agpr, 0
	.set _ZN7rocprim17ROCPRIM_400000_NS6detail17trampoline_kernelINS0_13select_configILj256ELj13ELNS0_17block_load_methodE3ELS4_3ELS4_3ELNS0_20block_scan_algorithmE0ELj4294967295EEENS1_25partition_config_selectorILNS1_17partition_subalgoE3EjNS0_10empty_typeEbEEZZNS1_14partition_implILS8_3ELb0ES6_jNS0_17counting_iteratorIjlEEPS9_SE_NS0_5tupleIJPjSE_EEENSF_IJSE_SE_EEES9_SG_JZNS1_25segmented_radix_sort_implINS0_14default_configELb1EPKiPiPKlPlN2at6native12_GLOBAL__N_18offset_tEEE10hipError_tPvRmT1_PNSt15iterator_traitsISY_E10value_typeET2_T3_PNSZ_IS14_E10value_typeET4_jRbjT5_S1A_jjP12ihipStream_tbEUljE_EEESV_SW_SX_S14_S18_S1A_T6_T7_T9_mT8_S1C_bDpT10_ENKUlT_T0_E_clISt17integral_constantIbLb0EES1O_IbLb1EEEEDaS1K_S1L_EUlS1K_E_NS1_11comp_targetILNS1_3genE0ELNS1_11target_archE4294967295ELNS1_3gpuE0ELNS1_3repE0EEENS1_30default_config_static_selectorELNS0_4arch9wavefront6targetE0EEEvSY_.numbered_sgpr, 24
	.set _ZN7rocprim17ROCPRIM_400000_NS6detail17trampoline_kernelINS0_13select_configILj256ELj13ELNS0_17block_load_methodE3ELS4_3ELS4_3ELNS0_20block_scan_algorithmE0ELj4294967295EEENS1_25partition_config_selectorILNS1_17partition_subalgoE3EjNS0_10empty_typeEbEEZZNS1_14partition_implILS8_3ELb0ES6_jNS0_17counting_iteratorIjlEEPS9_SE_NS0_5tupleIJPjSE_EEENSF_IJSE_SE_EEES9_SG_JZNS1_25segmented_radix_sort_implINS0_14default_configELb1EPKiPiPKlPlN2at6native12_GLOBAL__N_18offset_tEEE10hipError_tPvRmT1_PNSt15iterator_traitsISY_E10value_typeET2_T3_PNSZ_IS14_E10value_typeET4_jRbjT5_S1A_jjP12ihipStream_tbEUljE_EEESV_SW_SX_S14_S18_S1A_T6_T7_T9_mT8_S1C_bDpT10_ENKUlT_T0_E_clISt17integral_constantIbLb0EES1O_IbLb1EEEEDaS1K_S1L_EUlS1K_E_NS1_11comp_targetILNS1_3genE0ELNS1_11target_archE4294967295ELNS1_3gpuE0ELNS1_3repE0EEENS1_30default_config_static_selectorELNS0_4arch9wavefront6targetE0EEEvSY_.num_named_barrier, 0
	.set _ZN7rocprim17ROCPRIM_400000_NS6detail17trampoline_kernelINS0_13select_configILj256ELj13ELNS0_17block_load_methodE3ELS4_3ELS4_3ELNS0_20block_scan_algorithmE0ELj4294967295EEENS1_25partition_config_selectorILNS1_17partition_subalgoE3EjNS0_10empty_typeEbEEZZNS1_14partition_implILS8_3ELb0ES6_jNS0_17counting_iteratorIjlEEPS9_SE_NS0_5tupleIJPjSE_EEENSF_IJSE_SE_EEES9_SG_JZNS1_25segmented_radix_sort_implINS0_14default_configELb1EPKiPiPKlPlN2at6native12_GLOBAL__N_18offset_tEEE10hipError_tPvRmT1_PNSt15iterator_traitsISY_E10value_typeET2_T3_PNSZ_IS14_E10value_typeET4_jRbjT5_S1A_jjP12ihipStream_tbEUljE_EEESV_SW_SX_S14_S18_S1A_T6_T7_T9_mT8_S1C_bDpT10_ENKUlT_T0_E_clISt17integral_constantIbLb0EES1O_IbLb1EEEEDaS1K_S1L_EUlS1K_E_NS1_11comp_targetILNS1_3genE0ELNS1_11target_archE4294967295ELNS1_3gpuE0ELNS1_3repE0EEENS1_30default_config_static_selectorELNS0_4arch9wavefront6targetE0EEEvSY_.private_seg_size, 0
	.set _ZN7rocprim17ROCPRIM_400000_NS6detail17trampoline_kernelINS0_13select_configILj256ELj13ELNS0_17block_load_methodE3ELS4_3ELS4_3ELNS0_20block_scan_algorithmE0ELj4294967295EEENS1_25partition_config_selectorILNS1_17partition_subalgoE3EjNS0_10empty_typeEbEEZZNS1_14partition_implILS8_3ELb0ES6_jNS0_17counting_iteratorIjlEEPS9_SE_NS0_5tupleIJPjSE_EEENSF_IJSE_SE_EEES9_SG_JZNS1_25segmented_radix_sort_implINS0_14default_configELb1EPKiPiPKlPlN2at6native12_GLOBAL__N_18offset_tEEE10hipError_tPvRmT1_PNSt15iterator_traitsISY_E10value_typeET2_T3_PNSZ_IS14_E10value_typeET4_jRbjT5_S1A_jjP12ihipStream_tbEUljE_EEESV_SW_SX_S14_S18_S1A_T6_T7_T9_mT8_S1C_bDpT10_ENKUlT_T0_E_clISt17integral_constantIbLb0EES1O_IbLb1EEEEDaS1K_S1L_EUlS1K_E_NS1_11comp_targetILNS1_3genE0ELNS1_11target_archE4294967295ELNS1_3gpuE0ELNS1_3repE0EEENS1_30default_config_static_selectorELNS0_4arch9wavefront6targetE0EEEvSY_.uses_vcc, 1
	.set _ZN7rocprim17ROCPRIM_400000_NS6detail17trampoline_kernelINS0_13select_configILj256ELj13ELNS0_17block_load_methodE3ELS4_3ELS4_3ELNS0_20block_scan_algorithmE0ELj4294967295EEENS1_25partition_config_selectorILNS1_17partition_subalgoE3EjNS0_10empty_typeEbEEZZNS1_14partition_implILS8_3ELb0ES6_jNS0_17counting_iteratorIjlEEPS9_SE_NS0_5tupleIJPjSE_EEENSF_IJSE_SE_EEES9_SG_JZNS1_25segmented_radix_sort_implINS0_14default_configELb1EPKiPiPKlPlN2at6native12_GLOBAL__N_18offset_tEEE10hipError_tPvRmT1_PNSt15iterator_traitsISY_E10value_typeET2_T3_PNSZ_IS14_E10value_typeET4_jRbjT5_S1A_jjP12ihipStream_tbEUljE_EEESV_SW_SX_S14_S18_S1A_T6_T7_T9_mT8_S1C_bDpT10_ENKUlT_T0_E_clISt17integral_constantIbLb0EES1O_IbLb1EEEEDaS1K_S1L_EUlS1K_E_NS1_11comp_targetILNS1_3genE0ELNS1_11target_archE4294967295ELNS1_3gpuE0ELNS1_3repE0EEENS1_30default_config_static_selectorELNS0_4arch9wavefront6targetE0EEEvSY_.uses_flat_scratch, 0
	.set _ZN7rocprim17ROCPRIM_400000_NS6detail17trampoline_kernelINS0_13select_configILj256ELj13ELNS0_17block_load_methodE3ELS4_3ELS4_3ELNS0_20block_scan_algorithmE0ELj4294967295EEENS1_25partition_config_selectorILNS1_17partition_subalgoE3EjNS0_10empty_typeEbEEZZNS1_14partition_implILS8_3ELb0ES6_jNS0_17counting_iteratorIjlEEPS9_SE_NS0_5tupleIJPjSE_EEENSF_IJSE_SE_EEES9_SG_JZNS1_25segmented_radix_sort_implINS0_14default_configELb1EPKiPiPKlPlN2at6native12_GLOBAL__N_18offset_tEEE10hipError_tPvRmT1_PNSt15iterator_traitsISY_E10value_typeET2_T3_PNSZ_IS14_E10value_typeET4_jRbjT5_S1A_jjP12ihipStream_tbEUljE_EEESV_SW_SX_S14_S18_S1A_T6_T7_T9_mT8_S1C_bDpT10_ENKUlT_T0_E_clISt17integral_constantIbLb0EES1O_IbLb1EEEEDaS1K_S1L_EUlS1K_E_NS1_11comp_targetILNS1_3genE0ELNS1_11target_archE4294967295ELNS1_3gpuE0ELNS1_3repE0EEENS1_30default_config_static_selectorELNS0_4arch9wavefront6targetE0EEEvSY_.has_dyn_sized_stack, 0
	.set _ZN7rocprim17ROCPRIM_400000_NS6detail17trampoline_kernelINS0_13select_configILj256ELj13ELNS0_17block_load_methodE3ELS4_3ELS4_3ELNS0_20block_scan_algorithmE0ELj4294967295EEENS1_25partition_config_selectorILNS1_17partition_subalgoE3EjNS0_10empty_typeEbEEZZNS1_14partition_implILS8_3ELb0ES6_jNS0_17counting_iteratorIjlEEPS9_SE_NS0_5tupleIJPjSE_EEENSF_IJSE_SE_EEES9_SG_JZNS1_25segmented_radix_sort_implINS0_14default_configELb1EPKiPiPKlPlN2at6native12_GLOBAL__N_18offset_tEEE10hipError_tPvRmT1_PNSt15iterator_traitsISY_E10value_typeET2_T3_PNSZ_IS14_E10value_typeET4_jRbjT5_S1A_jjP12ihipStream_tbEUljE_EEESV_SW_SX_S14_S18_S1A_T6_T7_T9_mT8_S1C_bDpT10_ENKUlT_T0_E_clISt17integral_constantIbLb0EES1O_IbLb1EEEEDaS1K_S1L_EUlS1K_E_NS1_11comp_targetILNS1_3genE0ELNS1_11target_archE4294967295ELNS1_3gpuE0ELNS1_3repE0EEENS1_30default_config_static_selectorELNS0_4arch9wavefront6targetE0EEEvSY_.has_recursion, 0
	.set _ZN7rocprim17ROCPRIM_400000_NS6detail17trampoline_kernelINS0_13select_configILj256ELj13ELNS0_17block_load_methodE3ELS4_3ELS4_3ELNS0_20block_scan_algorithmE0ELj4294967295EEENS1_25partition_config_selectorILNS1_17partition_subalgoE3EjNS0_10empty_typeEbEEZZNS1_14partition_implILS8_3ELb0ES6_jNS0_17counting_iteratorIjlEEPS9_SE_NS0_5tupleIJPjSE_EEENSF_IJSE_SE_EEES9_SG_JZNS1_25segmented_radix_sort_implINS0_14default_configELb1EPKiPiPKlPlN2at6native12_GLOBAL__N_18offset_tEEE10hipError_tPvRmT1_PNSt15iterator_traitsISY_E10value_typeET2_T3_PNSZ_IS14_E10value_typeET4_jRbjT5_S1A_jjP12ihipStream_tbEUljE_EEESV_SW_SX_S14_S18_S1A_T6_T7_T9_mT8_S1C_bDpT10_ENKUlT_T0_E_clISt17integral_constantIbLb0EES1O_IbLb1EEEEDaS1K_S1L_EUlS1K_E_NS1_11comp_targetILNS1_3genE0ELNS1_11target_archE4294967295ELNS1_3gpuE0ELNS1_3repE0EEENS1_30default_config_static_selectorELNS0_4arch9wavefront6targetE0EEEvSY_.has_indirect_call, 0
	.section	.AMDGPU.csdata,"",@progbits
; Kernel info:
; codeLenInByte = 9040
; TotalNumSgprs: 26
; NumVgprs: 72
; ScratchSize: 0
; MemoryBound: 0
; FloatMode: 240
; IeeeMode: 1
; LDSByteSize: 13320 bytes/workgroup (compile time only)
; SGPRBlocks: 0
; VGPRBlocks: 4
; NumSGPRsForWavesPerEU: 26
; NumVGPRsForWavesPerEU: 72
; NamedBarCnt: 0
; Occupancy: 12
; WaveLimiterHint : 0
; COMPUTE_PGM_RSRC2:SCRATCH_EN: 0
; COMPUTE_PGM_RSRC2:USER_SGPR: 2
; COMPUTE_PGM_RSRC2:TRAP_HANDLER: 0
; COMPUTE_PGM_RSRC2:TGID_X_EN: 1
; COMPUTE_PGM_RSRC2:TGID_Y_EN: 0
; COMPUTE_PGM_RSRC2:TGID_Z_EN: 0
; COMPUTE_PGM_RSRC2:TIDIG_COMP_CNT: 0
	.section	.text._ZN7rocprim17ROCPRIM_400000_NS6detail17trampoline_kernelINS0_13select_configILj256ELj13ELNS0_17block_load_methodE3ELS4_3ELS4_3ELNS0_20block_scan_algorithmE0ELj4294967295EEENS1_25partition_config_selectorILNS1_17partition_subalgoE3EjNS0_10empty_typeEbEEZZNS1_14partition_implILS8_3ELb0ES6_jNS0_17counting_iteratorIjlEEPS9_SE_NS0_5tupleIJPjSE_EEENSF_IJSE_SE_EEES9_SG_JZNS1_25segmented_radix_sort_implINS0_14default_configELb1EPKiPiPKlPlN2at6native12_GLOBAL__N_18offset_tEEE10hipError_tPvRmT1_PNSt15iterator_traitsISY_E10value_typeET2_T3_PNSZ_IS14_E10value_typeET4_jRbjT5_S1A_jjP12ihipStream_tbEUljE_EEESV_SW_SX_S14_S18_S1A_T6_T7_T9_mT8_S1C_bDpT10_ENKUlT_T0_E_clISt17integral_constantIbLb0EES1O_IbLb1EEEEDaS1K_S1L_EUlS1K_E_NS1_11comp_targetILNS1_3genE5ELNS1_11target_archE942ELNS1_3gpuE9ELNS1_3repE0EEENS1_30default_config_static_selectorELNS0_4arch9wavefront6targetE0EEEvSY_,"axG",@progbits,_ZN7rocprim17ROCPRIM_400000_NS6detail17trampoline_kernelINS0_13select_configILj256ELj13ELNS0_17block_load_methodE3ELS4_3ELS4_3ELNS0_20block_scan_algorithmE0ELj4294967295EEENS1_25partition_config_selectorILNS1_17partition_subalgoE3EjNS0_10empty_typeEbEEZZNS1_14partition_implILS8_3ELb0ES6_jNS0_17counting_iteratorIjlEEPS9_SE_NS0_5tupleIJPjSE_EEENSF_IJSE_SE_EEES9_SG_JZNS1_25segmented_radix_sort_implINS0_14default_configELb1EPKiPiPKlPlN2at6native12_GLOBAL__N_18offset_tEEE10hipError_tPvRmT1_PNSt15iterator_traitsISY_E10value_typeET2_T3_PNSZ_IS14_E10value_typeET4_jRbjT5_S1A_jjP12ihipStream_tbEUljE_EEESV_SW_SX_S14_S18_S1A_T6_T7_T9_mT8_S1C_bDpT10_ENKUlT_T0_E_clISt17integral_constantIbLb0EES1O_IbLb1EEEEDaS1K_S1L_EUlS1K_E_NS1_11comp_targetILNS1_3genE5ELNS1_11target_archE942ELNS1_3gpuE9ELNS1_3repE0EEENS1_30default_config_static_selectorELNS0_4arch9wavefront6targetE0EEEvSY_,comdat
	.globl	_ZN7rocprim17ROCPRIM_400000_NS6detail17trampoline_kernelINS0_13select_configILj256ELj13ELNS0_17block_load_methodE3ELS4_3ELS4_3ELNS0_20block_scan_algorithmE0ELj4294967295EEENS1_25partition_config_selectorILNS1_17partition_subalgoE3EjNS0_10empty_typeEbEEZZNS1_14partition_implILS8_3ELb0ES6_jNS0_17counting_iteratorIjlEEPS9_SE_NS0_5tupleIJPjSE_EEENSF_IJSE_SE_EEES9_SG_JZNS1_25segmented_radix_sort_implINS0_14default_configELb1EPKiPiPKlPlN2at6native12_GLOBAL__N_18offset_tEEE10hipError_tPvRmT1_PNSt15iterator_traitsISY_E10value_typeET2_T3_PNSZ_IS14_E10value_typeET4_jRbjT5_S1A_jjP12ihipStream_tbEUljE_EEESV_SW_SX_S14_S18_S1A_T6_T7_T9_mT8_S1C_bDpT10_ENKUlT_T0_E_clISt17integral_constantIbLb0EES1O_IbLb1EEEEDaS1K_S1L_EUlS1K_E_NS1_11comp_targetILNS1_3genE5ELNS1_11target_archE942ELNS1_3gpuE9ELNS1_3repE0EEENS1_30default_config_static_selectorELNS0_4arch9wavefront6targetE0EEEvSY_ ; -- Begin function _ZN7rocprim17ROCPRIM_400000_NS6detail17trampoline_kernelINS0_13select_configILj256ELj13ELNS0_17block_load_methodE3ELS4_3ELS4_3ELNS0_20block_scan_algorithmE0ELj4294967295EEENS1_25partition_config_selectorILNS1_17partition_subalgoE3EjNS0_10empty_typeEbEEZZNS1_14partition_implILS8_3ELb0ES6_jNS0_17counting_iteratorIjlEEPS9_SE_NS0_5tupleIJPjSE_EEENSF_IJSE_SE_EEES9_SG_JZNS1_25segmented_radix_sort_implINS0_14default_configELb1EPKiPiPKlPlN2at6native12_GLOBAL__N_18offset_tEEE10hipError_tPvRmT1_PNSt15iterator_traitsISY_E10value_typeET2_T3_PNSZ_IS14_E10value_typeET4_jRbjT5_S1A_jjP12ihipStream_tbEUljE_EEESV_SW_SX_S14_S18_S1A_T6_T7_T9_mT8_S1C_bDpT10_ENKUlT_T0_E_clISt17integral_constantIbLb0EES1O_IbLb1EEEEDaS1K_S1L_EUlS1K_E_NS1_11comp_targetILNS1_3genE5ELNS1_11target_archE942ELNS1_3gpuE9ELNS1_3repE0EEENS1_30default_config_static_selectorELNS0_4arch9wavefront6targetE0EEEvSY_
	.p2align	8
	.type	_ZN7rocprim17ROCPRIM_400000_NS6detail17trampoline_kernelINS0_13select_configILj256ELj13ELNS0_17block_load_methodE3ELS4_3ELS4_3ELNS0_20block_scan_algorithmE0ELj4294967295EEENS1_25partition_config_selectorILNS1_17partition_subalgoE3EjNS0_10empty_typeEbEEZZNS1_14partition_implILS8_3ELb0ES6_jNS0_17counting_iteratorIjlEEPS9_SE_NS0_5tupleIJPjSE_EEENSF_IJSE_SE_EEES9_SG_JZNS1_25segmented_radix_sort_implINS0_14default_configELb1EPKiPiPKlPlN2at6native12_GLOBAL__N_18offset_tEEE10hipError_tPvRmT1_PNSt15iterator_traitsISY_E10value_typeET2_T3_PNSZ_IS14_E10value_typeET4_jRbjT5_S1A_jjP12ihipStream_tbEUljE_EEESV_SW_SX_S14_S18_S1A_T6_T7_T9_mT8_S1C_bDpT10_ENKUlT_T0_E_clISt17integral_constantIbLb0EES1O_IbLb1EEEEDaS1K_S1L_EUlS1K_E_NS1_11comp_targetILNS1_3genE5ELNS1_11target_archE942ELNS1_3gpuE9ELNS1_3repE0EEENS1_30default_config_static_selectorELNS0_4arch9wavefront6targetE0EEEvSY_,@function
_ZN7rocprim17ROCPRIM_400000_NS6detail17trampoline_kernelINS0_13select_configILj256ELj13ELNS0_17block_load_methodE3ELS4_3ELS4_3ELNS0_20block_scan_algorithmE0ELj4294967295EEENS1_25partition_config_selectorILNS1_17partition_subalgoE3EjNS0_10empty_typeEbEEZZNS1_14partition_implILS8_3ELb0ES6_jNS0_17counting_iteratorIjlEEPS9_SE_NS0_5tupleIJPjSE_EEENSF_IJSE_SE_EEES9_SG_JZNS1_25segmented_radix_sort_implINS0_14default_configELb1EPKiPiPKlPlN2at6native12_GLOBAL__N_18offset_tEEE10hipError_tPvRmT1_PNSt15iterator_traitsISY_E10value_typeET2_T3_PNSZ_IS14_E10value_typeET4_jRbjT5_S1A_jjP12ihipStream_tbEUljE_EEESV_SW_SX_S14_S18_S1A_T6_T7_T9_mT8_S1C_bDpT10_ENKUlT_T0_E_clISt17integral_constantIbLb0EES1O_IbLb1EEEEDaS1K_S1L_EUlS1K_E_NS1_11comp_targetILNS1_3genE5ELNS1_11target_archE942ELNS1_3gpuE9ELNS1_3repE0EEENS1_30default_config_static_selectorELNS0_4arch9wavefront6targetE0EEEvSY_: ; @_ZN7rocprim17ROCPRIM_400000_NS6detail17trampoline_kernelINS0_13select_configILj256ELj13ELNS0_17block_load_methodE3ELS4_3ELS4_3ELNS0_20block_scan_algorithmE0ELj4294967295EEENS1_25partition_config_selectorILNS1_17partition_subalgoE3EjNS0_10empty_typeEbEEZZNS1_14partition_implILS8_3ELb0ES6_jNS0_17counting_iteratorIjlEEPS9_SE_NS0_5tupleIJPjSE_EEENSF_IJSE_SE_EEES9_SG_JZNS1_25segmented_radix_sort_implINS0_14default_configELb1EPKiPiPKlPlN2at6native12_GLOBAL__N_18offset_tEEE10hipError_tPvRmT1_PNSt15iterator_traitsISY_E10value_typeET2_T3_PNSZ_IS14_E10value_typeET4_jRbjT5_S1A_jjP12ihipStream_tbEUljE_EEESV_SW_SX_S14_S18_S1A_T6_T7_T9_mT8_S1C_bDpT10_ENKUlT_T0_E_clISt17integral_constantIbLb0EES1O_IbLb1EEEEDaS1K_S1L_EUlS1K_E_NS1_11comp_targetILNS1_3genE5ELNS1_11target_archE942ELNS1_3gpuE9ELNS1_3repE0EEENS1_30default_config_static_selectorELNS0_4arch9wavefront6targetE0EEEvSY_
; %bb.0:
	.section	.rodata,"a",@progbits
	.p2align	6, 0x0
	.amdhsa_kernel _ZN7rocprim17ROCPRIM_400000_NS6detail17trampoline_kernelINS0_13select_configILj256ELj13ELNS0_17block_load_methodE3ELS4_3ELS4_3ELNS0_20block_scan_algorithmE0ELj4294967295EEENS1_25partition_config_selectorILNS1_17partition_subalgoE3EjNS0_10empty_typeEbEEZZNS1_14partition_implILS8_3ELb0ES6_jNS0_17counting_iteratorIjlEEPS9_SE_NS0_5tupleIJPjSE_EEENSF_IJSE_SE_EEES9_SG_JZNS1_25segmented_radix_sort_implINS0_14default_configELb1EPKiPiPKlPlN2at6native12_GLOBAL__N_18offset_tEEE10hipError_tPvRmT1_PNSt15iterator_traitsISY_E10value_typeET2_T3_PNSZ_IS14_E10value_typeET4_jRbjT5_S1A_jjP12ihipStream_tbEUljE_EEESV_SW_SX_S14_S18_S1A_T6_T7_T9_mT8_S1C_bDpT10_ENKUlT_T0_E_clISt17integral_constantIbLb0EES1O_IbLb1EEEEDaS1K_S1L_EUlS1K_E_NS1_11comp_targetILNS1_3genE5ELNS1_11target_archE942ELNS1_3gpuE9ELNS1_3repE0EEENS1_30default_config_static_selectorELNS0_4arch9wavefront6targetE0EEEvSY_
		.amdhsa_group_segment_fixed_size 0
		.amdhsa_private_segment_fixed_size 0
		.amdhsa_kernarg_size 152
		.amdhsa_user_sgpr_count 2
		.amdhsa_user_sgpr_dispatch_ptr 0
		.amdhsa_user_sgpr_queue_ptr 0
		.amdhsa_user_sgpr_kernarg_segment_ptr 1
		.amdhsa_user_sgpr_dispatch_id 0
		.amdhsa_user_sgpr_kernarg_preload_length 0
		.amdhsa_user_sgpr_kernarg_preload_offset 0
		.amdhsa_user_sgpr_private_segment_size 0
		.amdhsa_wavefront_size32 1
		.amdhsa_uses_dynamic_stack 0
		.amdhsa_enable_private_segment 0
		.amdhsa_system_sgpr_workgroup_id_x 1
		.amdhsa_system_sgpr_workgroup_id_y 0
		.amdhsa_system_sgpr_workgroup_id_z 0
		.amdhsa_system_sgpr_workgroup_info 0
		.amdhsa_system_vgpr_workitem_id 0
		.amdhsa_next_free_vgpr 1
		.amdhsa_next_free_sgpr 1
		.amdhsa_named_barrier_count 0
		.amdhsa_reserve_vcc 0
		.amdhsa_float_round_mode_32 0
		.amdhsa_float_round_mode_16_64 0
		.amdhsa_float_denorm_mode_32 3
		.amdhsa_float_denorm_mode_16_64 3
		.amdhsa_fp16_overflow 0
		.amdhsa_memory_ordered 1
		.amdhsa_forward_progress 1
		.amdhsa_inst_pref_size 0
		.amdhsa_round_robin_scheduling 0
		.amdhsa_exception_fp_ieee_invalid_op 0
		.amdhsa_exception_fp_denorm_src 0
		.amdhsa_exception_fp_ieee_div_zero 0
		.amdhsa_exception_fp_ieee_overflow 0
		.amdhsa_exception_fp_ieee_underflow 0
		.amdhsa_exception_fp_ieee_inexact 0
		.amdhsa_exception_int_div_zero 0
	.end_amdhsa_kernel
	.section	.text._ZN7rocprim17ROCPRIM_400000_NS6detail17trampoline_kernelINS0_13select_configILj256ELj13ELNS0_17block_load_methodE3ELS4_3ELS4_3ELNS0_20block_scan_algorithmE0ELj4294967295EEENS1_25partition_config_selectorILNS1_17partition_subalgoE3EjNS0_10empty_typeEbEEZZNS1_14partition_implILS8_3ELb0ES6_jNS0_17counting_iteratorIjlEEPS9_SE_NS0_5tupleIJPjSE_EEENSF_IJSE_SE_EEES9_SG_JZNS1_25segmented_radix_sort_implINS0_14default_configELb1EPKiPiPKlPlN2at6native12_GLOBAL__N_18offset_tEEE10hipError_tPvRmT1_PNSt15iterator_traitsISY_E10value_typeET2_T3_PNSZ_IS14_E10value_typeET4_jRbjT5_S1A_jjP12ihipStream_tbEUljE_EEESV_SW_SX_S14_S18_S1A_T6_T7_T9_mT8_S1C_bDpT10_ENKUlT_T0_E_clISt17integral_constantIbLb0EES1O_IbLb1EEEEDaS1K_S1L_EUlS1K_E_NS1_11comp_targetILNS1_3genE5ELNS1_11target_archE942ELNS1_3gpuE9ELNS1_3repE0EEENS1_30default_config_static_selectorELNS0_4arch9wavefront6targetE0EEEvSY_,"axG",@progbits,_ZN7rocprim17ROCPRIM_400000_NS6detail17trampoline_kernelINS0_13select_configILj256ELj13ELNS0_17block_load_methodE3ELS4_3ELS4_3ELNS0_20block_scan_algorithmE0ELj4294967295EEENS1_25partition_config_selectorILNS1_17partition_subalgoE3EjNS0_10empty_typeEbEEZZNS1_14partition_implILS8_3ELb0ES6_jNS0_17counting_iteratorIjlEEPS9_SE_NS0_5tupleIJPjSE_EEENSF_IJSE_SE_EEES9_SG_JZNS1_25segmented_radix_sort_implINS0_14default_configELb1EPKiPiPKlPlN2at6native12_GLOBAL__N_18offset_tEEE10hipError_tPvRmT1_PNSt15iterator_traitsISY_E10value_typeET2_T3_PNSZ_IS14_E10value_typeET4_jRbjT5_S1A_jjP12ihipStream_tbEUljE_EEESV_SW_SX_S14_S18_S1A_T6_T7_T9_mT8_S1C_bDpT10_ENKUlT_T0_E_clISt17integral_constantIbLb0EES1O_IbLb1EEEEDaS1K_S1L_EUlS1K_E_NS1_11comp_targetILNS1_3genE5ELNS1_11target_archE942ELNS1_3gpuE9ELNS1_3repE0EEENS1_30default_config_static_selectorELNS0_4arch9wavefront6targetE0EEEvSY_,comdat
.Lfunc_end486:
	.size	_ZN7rocprim17ROCPRIM_400000_NS6detail17trampoline_kernelINS0_13select_configILj256ELj13ELNS0_17block_load_methodE3ELS4_3ELS4_3ELNS0_20block_scan_algorithmE0ELj4294967295EEENS1_25partition_config_selectorILNS1_17partition_subalgoE3EjNS0_10empty_typeEbEEZZNS1_14partition_implILS8_3ELb0ES6_jNS0_17counting_iteratorIjlEEPS9_SE_NS0_5tupleIJPjSE_EEENSF_IJSE_SE_EEES9_SG_JZNS1_25segmented_radix_sort_implINS0_14default_configELb1EPKiPiPKlPlN2at6native12_GLOBAL__N_18offset_tEEE10hipError_tPvRmT1_PNSt15iterator_traitsISY_E10value_typeET2_T3_PNSZ_IS14_E10value_typeET4_jRbjT5_S1A_jjP12ihipStream_tbEUljE_EEESV_SW_SX_S14_S18_S1A_T6_T7_T9_mT8_S1C_bDpT10_ENKUlT_T0_E_clISt17integral_constantIbLb0EES1O_IbLb1EEEEDaS1K_S1L_EUlS1K_E_NS1_11comp_targetILNS1_3genE5ELNS1_11target_archE942ELNS1_3gpuE9ELNS1_3repE0EEENS1_30default_config_static_selectorELNS0_4arch9wavefront6targetE0EEEvSY_, .Lfunc_end486-_ZN7rocprim17ROCPRIM_400000_NS6detail17trampoline_kernelINS0_13select_configILj256ELj13ELNS0_17block_load_methodE3ELS4_3ELS4_3ELNS0_20block_scan_algorithmE0ELj4294967295EEENS1_25partition_config_selectorILNS1_17partition_subalgoE3EjNS0_10empty_typeEbEEZZNS1_14partition_implILS8_3ELb0ES6_jNS0_17counting_iteratorIjlEEPS9_SE_NS0_5tupleIJPjSE_EEENSF_IJSE_SE_EEES9_SG_JZNS1_25segmented_radix_sort_implINS0_14default_configELb1EPKiPiPKlPlN2at6native12_GLOBAL__N_18offset_tEEE10hipError_tPvRmT1_PNSt15iterator_traitsISY_E10value_typeET2_T3_PNSZ_IS14_E10value_typeET4_jRbjT5_S1A_jjP12ihipStream_tbEUljE_EEESV_SW_SX_S14_S18_S1A_T6_T7_T9_mT8_S1C_bDpT10_ENKUlT_T0_E_clISt17integral_constantIbLb0EES1O_IbLb1EEEEDaS1K_S1L_EUlS1K_E_NS1_11comp_targetILNS1_3genE5ELNS1_11target_archE942ELNS1_3gpuE9ELNS1_3repE0EEENS1_30default_config_static_selectorELNS0_4arch9wavefront6targetE0EEEvSY_
                                        ; -- End function
	.set _ZN7rocprim17ROCPRIM_400000_NS6detail17trampoline_kernelINS0_13select_configILj256ELj13ELNS0_17block_load_methodE3ELS4_3ELS4_3ELNS0_20block_scan_algorithmE0ELj4294967295EEENS1_25partition_config_selectorILNS1_17partition_subalgoE3EjNS0_10empty_typeEbEEZZNS1_14partition_implILS8_3ELb0ES6_jNS0_17counting_iteratorIjlEEPS9_SE_NS0_5tupleIJPjSE_EEENSF_IJSE_SE_EEES9_SG_JZNS1_25segmented_radix_sort_implINS0_14default_configELb1EPKiPiPKlPlN2at6native12_GLOBAL__N_18offset_tEEE10hipError_tPvRmT1_PNSt15iterator_traitsISY_E10value_typeET2_T3_PNSZ_IS14_E10value_typeET4_jRbjT5_S1A_jjP12ihipStream_tbEUljE_EEESV_SW_SX_S14_S18_S1A_T6_T7_T9_mT8_S1C_bDpT10_ENKUlT_T0_E_clISt17integral_constantIbLb0EES1O_IbLb1EEEEDaS1K_S1L_EUlS1K_E_NS1_11comp_targetILNS1_3genE5ELNS1_11target_archE942ELNS1_3gpuE9ELNS1_3repE0EEENS1_30default_config_static_selectorELNS0_4arch9wavefront6targetE0EEEvSY_.num_vgpr, 0
	.set _ZN7rocprim17ROCPRIM_400000_NS6detail17trampoline_kernelINS0_13select_configILj256ELj13ELNS0_17block_load_methodE3ELS4_3ELS4_3ELNS0_20block_scan_algorithmE0ELj4294967295EEENS1_25partition_config_selectorILNS1_17partition_subalgoE3EjNS0_10empty_typeEbEEZZNS1_14partition_implILS8_3ELb0ES6_jNS0_17counting_iteratorIjlEEPS9_SE_NS0_5tupleIJPjSE_EEENSF_IJSE_SE_EEES9_SG_JZNS1_25segmented_radix_sort_implINS0_14default_configELb1EPKiPiPKlPlN2at6native12_GLOBAL__N_18offset_tEEE10hipError_tPvRmT1_PNSt15iterator_traitsISY_E10value_typeET2_T3_PNSZ_IS14_E10value_typeET4_jRbjT5_S1A_jjP12ihipStream_tbEUljE_EEESV_SW_SX_S14_S18_S1A_T6_T7_T9_mT8_S1C_bDpT10_ENKUlT_T0_E_clISt17integral_constantIbLb0EES1O_IbLb1EEEEDaS1K_S1L_EUlS1K_E_NS1_11comp_targetILNS1_3genE5ELNS1_11target_archE942ELNS1_3gpuE9ELNS1_3repE0EEENS1_30default_config_static_selectorELNS0_4arch9wavefront6targetE0EEEvSY_.num_agpr, 0
	.set _ZN7rocprim17ROCPRIM_400000_NS6detail17trampoline_kernelINS0_13select_configILj256ELj13ELNS0_17block_load_methodE3ELS4_3ELS4_3ELNS0_20block_scan_algorithmE0ELj4294967295EEENS1_25partition_config_selectorILNS1_17partition_subalgoE3EjNS0_10empty_typeEbEEZZNS1_14partition_implILS8_3ELb0ES6_jNS0_17counting_iteratorIjlEEPS9_SE_NS0_5tupleIJPjSE_EEENSF_IJSE_SE_EEES9_SG_JZNS1_25segmented_radix_sort_implINS0_14default_configELb1EPKiPiPKlPlN2at6native12_GLOBAL__N_18offset_tEEE10hipError_tPvRmT1_PNSt15iterator_traitsISY_E10value_typeET2_T3_PNSZ_IS14_E10value_typeET4_jRbjT5_S1A_jjP12ihipStream_tbEUljE_EEESV_SW_SX_S14_S18_S1A_T6_T7_T9_mT8_S1C_bDpT10_ENKUlT_T0_E_clISt17integral_constantIbLb0EES1O_IbLb1EEEEDaS1K_S1L_EUlS1K_E_NS1_11comp_targetILNS1_3genE5ELNS1_11target_archE942ELNS1_3gpuE9ELNS1_3repE0EEENS1_30default_config_static_selectorELNS0_4arch9wavefront6targetE0EEEvSY_.numbered_sgpr, 0
	.set _ZN7rocprim17ROCPRIM_400000_NS6detail17trampoline_kernelINS0_13select_configILj256ELj13ELNS0_17block_load_methodE3ELS4_3ELS4_3ELNS0_20block_scan_algorithmE0ELj4294967295EEENS1_25partition_config_selectorILNS1_17partition_subalgoE3EjNS0_10empty_typeEbEEZZNS1_14partition_implILS8_3ELb0ES6_jNS0_17counting_iteratorIjlEEPS9_SE_NS0_5tupleIJPjSE_EEENSF_IJSE_SE_EEES9_SG_JZNS1_25segmented_radix_sort_implINS0_14default_configELb1EPKiPiPKlPlN2at6native12_GLOBAL__N_18offset_tEEE10hipError_tPvRmT1_PNSt15iterator_traitsISY_E10value_typeET2_T3_PNSZ_IS14_E10value_typeET4_jRbjT5_S1A_jjP12ihipStream_tbEUljE_EEESV_SW_SX_S14_S18_S1A_T6_T7_T9_mT8_S1C_bDpT10_ENKUlT_T0_E_clISt17integral_constantIbLb0EES1O_IbLb1EEEEDaS1K_S1L_EUlS1K_E_NS1_11comp_targetILNS1_3genE5ELNS1_11target_archE942ELNS1_3gpuE9ELNS1_3repE0EEENS1_30default_config_static_selectorELNS0_4arch9wavefront6targetE0EEEvSY_.num_named_barrier, 0
	.set _ZN7rocprim17ROCPRIM_400000_NS6detail17trampoline_kernelINS0_13select_configILj256ELj13ELNS0_17block_load_methodE3ELS4_3ELS4_3ELNS0_20block_scan_algorithmE0ELj4294967295EEENS1_25partition_config_selectorILNS1_17partition_subalgoE3EjNS0_10empty_typeEbEEZZNS1_14partition_implILS8_3ELb0ES6_jNS0_17counting_iteratorIjlEEPS9_SE_NS0_5tupleIJPjSE_EEENSF_IJSE_SE_EEES9_SG_JZNS1_25segmented_radix_sort_implINS0_14default_configELb1EPKiPiPKlPlN2at6native12_GLOBAL__N_18offset_tEEE10hipError_tPvRmT1_PNSt15iterator_traitsISY_E10value_typeET2_T3_PNSZ_IS14_E10value_typeET4_jRbjT5_S1A_jjP12ihipStream_tbEUljE_EEESV_SW_SX_S14_S18_S1A_T6_T7_T9_mT8_S1C_bDpT10_ENKUlT_T0_E_clISt17integral_constantIbLb0EES1O_IbLb1EEEEDaS1K_S1L_EUlS1K_E_NS1_11comp_targetILNS1_3genE5ELNS1_11target_archE942ELNS1_3gpuE9ELNS1_3repE0EEENS1_30default_config_static_selectorELNS0_4arch9wavefront6targetE0EEEvSY_.private_seg_size, 0
	.set _ZN7rocprim17ROCPRIM_400000_NS6detail17trampoline_kernelINS0_13select_configILj256ELj13ELNS0_17block_load_methodE3ELS4_3ELS4_3ELNS0_20block_scan_algorithmE0ELj4294967295EEENS1_25partition_config_selectorILNS1_17partition_subalgoE3EjNS0_10empty_typeEbEEZZNS1_14partition_implILS8_3ELb0ES6_jNS0_17counting_iteratorIjlEEPS9_SE_NS0_5tupleIJPjSE_EEENSF_IJSE_SE_EEES9_SG_JZNS1_25segmented_radix_sort_implINS0_14default_configELb1EPKiPiPKlPlN2at6native12_GLOBAL__N_18offset_tEEE10hipError_tPvRmT1_PNSt15iterator_traitsISY_E10value_typeET2_T3_PNSZ_IS14_E10value_typeET4_jRbjT5_S1A_jjP12ihipStream_tbEUljE_EEESV_SW_SX_S14_S18_S1A_T6_T7_T9_mT8_S1C_bDpT10_ENKUlT_T0_E_clISt17integral_constantIbLb0EES1O_IbLb1EEEEDaS1K_S1L_EUlS1K_E_NS1_11comp_targetILNS1_3genE5ELNS1_11target_archE942ELNS1_3gpuE9ELNS1_3repE0EEENS1_30default_config_static_selectorELNS0_4arch9wavefront6targetE0EEEvSY_.uses_vcc, 0
	.set _ZN7rocprim17ROCPRIM_400000_NS6detail17trampoline_kernelINS0_13select_configILj256ELj13ELNS0_17block_load_methodE3ELS4_3ELS4_3ELNS0_20block_scan_algorithmE0ELj4294967295EEENS1_25partition_config_selectorILNS1_17partition_subalgoE3EjNS0_10empty_typeEbEEZZNS1_14partition_implILS8_3ELb0ES6_jNS0_17counting_iteratorIjlEEPS9_SE_NS0_5tupleIJPjSE_EEENSF_IJSE_SE_EEES9_SG_JZNS1_25segmented_radix_sort_implINS0_14default_configELb1EPKiPiPKlPlN2at6native12_GLOBAL__N_18offset_tEEE10hipError_tPvRmT1_PNSt15iterator_traitsISY_E10value_typeET2_T3_PNSZ_IS14_E10value_typeET4_jRbjT5_S1A_jjP12ihipStream_tbEUljE_EEESV_SW_SX_S14_S18_S1A_T6_T7_T9_mT8_S1C_bDpT10_ENKUlT_T0_E_clISt17integral_constantIbLb0EES1O_IbLb1EEEEDaS1K_S1L_EUlS1K_E_NS1_11comp_targetILNS1_3genE5ELNS1_11target_archE942ELNS1_3gpuE9ELNS1_3repE0EEENS1_30default_config_static_selectorELNS0_4arch9wavefront6targetE0EEEvSY_.uses_flat_scratch, 0
	.set _ZN7rocprim17ROCPRIM_400000_NS6detail17trampoline_kernelINS0_13select_configILj256ELj13ELNS0_17block_load_methodE3ELS4_3ELS4_3ELNS0_20block_scan_algorithmE0ELj4294967295EEENS1_25partition_config_selectorILNS1_17partition_subalgoE3EjNS0_10empty_typeEbEEZZNS1_14partition_implILS8_3ELb0ES6_jNS0_17counting_iteratorIjlEEPS9_SE_NS0_5tupleIJPjSE_EEENSF_IJSE_SE_EEES9_SG_JZNS1_25segmented_radix_sort_implINS0_14default_configELb1EPKiPiPKlPlN2at6native12_GLOBAL__N_18offset_tEEE10hipError_tPvRmT1_PNSt15iterator_traitsISY_E10value_typeET2_T3_PNSZ_IS14_E10value_typeET4_jRbjT5_S1A_jjP12ihipStream_tbEUljE_EEESV_SW_SX_S14_S18_S1A_T6_T7_T9_mT8_S1C_bDpT10_ENKUlT_T0_E_clISt17integral_constantIbLb0EES1O_IbLb1EEEEDaS1K_S1L_EUlS1K_E_NS1_11comp_targetILNS1_3genE5ELNS1_11target_archE942ELNS1_3gpuE9ELNS1_3repE0EEENS1_30default_config_static_selectorELNS0_4arch9wavefront6targetE0EEEvSY_.has_dyn_sized_stack, 0
	.set _ZN7rocprim17ROCPRIM_400000_NS6detail17trampoline_kernelINS0_13select_configILj256ELj13ELNS0_17block_load_methodE3ELS4_3ELS4_3ELNS0_20block_scan_algorithmE0ELj4294967295EEENS1_25partition_config_selectorILNS1_17partition_subalgoE3EjNS0_10empty_typeEbEEZZNS1_14partition_implILS8_3ELb0ES6_jNS0_17counting_iteratorIjlEEPS9_SE_NS0_5tupleIJPjSE_EEENSF_IJSE_SE_EEES9_SG_JZNS1_25segmented_radix_sort_implINS0_14default_configELb1EPKiPiPKlPlN2at6native12_GLOBAL__N_18offset_tEEE10hipError_tPvRmT1_PNSt15iterator_traitsISY_E10value_typeET2_T3_PNSZ_IS14_E10value_typeET4_jRbjT5_S1A_jjP12ihipStream_tbEUljE_EEESV_SW_SX_S14_S18_S1A_T6_T7_T9_mT8_S1C_bDpT10_ENKUlT_T0_E_clISt17integral_constantIbLb0EES1O_IbLb1EEEEDaS1K_S1L_EUlS1K_E_NS1_11comp_targetILNS1_3genE5ELNS1_11target_archE942ELNS1_3gpuE9ELNS1_3repE0EEENS1_30default_config_static_selectorELNS0_4arch9wavefront6targetE0EEEvSY_.has_recursion, 0
	.set _ZN7rocprim17ROCPRIM_400000_NS6detail17trampoline_kernelINS0_13select_configILj256ELj13ELNS0_17block_load_methodE3ELS4_3ELS4_3ELNS0_20block_scan_algorithmE0ELj4294967295EEENS1_25partition_config_selectorILNS1_17partition_subalgoE3EjNS0_10empty_typeEbEEZZNS1_14partition_implILS8_3ELb0ES6_jNS0_17counting_iteratorIjlEEPS9_SE_NS0_5tupleIJPjSE_EEENSF_IJSE_SE_EEES9_SG_JZNS1_25segmented_radix_sort_implINS0_14default_configELb1EPKiPiPKlPlN2at6native12_GLOBAL__N_18offset_tEEE10hipError_tPvRmT1_PNSt15iterator_traitsISY_E10value_typeET2_T3_PNSZ_IS14_E10value_typeET4_jRbjT5_S1A_jjP12ihipStream_tbEUljE_EEESV_SW_SX_S14_S18_S1A_T6_T7_T9_mT8_S1C_bDpT10_ENKUlT_T0_E_clISt17integral_constantIbLb0EES1O_IbLb1EEEEDaS1K_S1L_EUlS1K_E_NS1_11comp_targetILNS1_3genE5ELNS1_11target_archE942ELNS1_3gpuE9ELNS1_3repE0EEENS1_30default_config_static_selectorELNS0_4arch9wavefront6targetE0EEEvSY_.has_indirect_call, 0
	.section	.AMDGPU.csdata,"",@progbits
; Kernel info:
; codeLenInByte = 0
; TotalNumSgprs: 0
; NumVgprs: 0
; ScratchSize: 0
; MemoryBound: 0
; FloatMode: 240
; IeeeMode: 1
; LDSByteSize: 0 bytes/workgroup (compile time only)
; SGPRBlocks: 0
; VGPRBlocks: 0
; NumSGPRsForWavesPerEU: 1
; NumVGPRsForWavesPerEU: 1
; NamedBarCnt: 0
; Occupancy: 16
; WaveLimiterHint : 0
; COMPUTE_PGM_RSRC2:SCRATCH_EN: 0
; COMPUTE_PGM_RSRC2:USER_SGPR: 2
; COMPUTE_PGM_RSRC2:TRAP_HANDLER: 0
; COMPUTE_PGM_RSRC2:TGID_X_EN: 1
; COMPUTE_PGM_RSRC2:TGID_Y_EN: 0
; COMPUTE_PGM_RSRC2:TGID_Z_EN: 0
; COMPUTE_PGM_RSRC2:TIDIG_COMP_CNT: 0
	.section	.text._ZN7rocprim17ROCPRIM_400000_NS6detail17trampoline_kernelINS0_13select_configILj256ELj13ELNS0_17block_load_methodE3ELS4_3ELS4_3ELNS0_20block_scan_algorithmE0ELj4294967295EEENS1_25partition_config_selectorILNS1_17partition_subalgoE3EjNS0_10empty_typeEbEEZZNS1_14partition_implILS8_3ELb0ES6_jNS0_17counting_iteratorIjlEEPS9_SE_NS0_5tupleIJPjSE_EEENSF_IJSE_SE_EEES9_SG_JZNS1_25segmented_radix_sort_implINS0_14default_configELb1EPKiPiPKlPlN2at6native12_GLOBAL__N_18offset_tEEE10hipError_tPvRmT1_PNSt15iterator_traitsISY_E10value_typeET2_T3_PNSZ_IS14_E10value_typeET4_jRbjT5_S1A_jjP12ihipStream_tbEUljE_EEESV_SW_SX_S14_S18_S1A_T6_T7_T9_mT8_S1C_bDpT10_ENKUlT_T0_E_clISt17integral_constantIbLb0EES1O_IbLb1EEEEDaS1K_S1L_EUlS1K_E_NS1_11comp_targetILNS1_3genE4ELNS1_11target_archE910ELNS1_3gpuE8ELNS1_3repE0EEENS1_30default_config_static_selectorELNS0_4arch9wavefront6targetE0EEEvSY_,"axG",@progbits,_ZN7rocprim17ROCPRIM_400000_NS6detail17trampoline_kernelINS0_13select_configILj256ELj13ELNS0_17block_load_methodE3ELS4_3ELS4_3ELNS0_20block_scan_algorithmE0ELj4294967295EEENS1_25partition_config_selectorILNS1_17partition_subalgoE3EjNS0_10empty_typeEbEEZZNS1_14partition_implILS8_3ELb0ES6_jNS0_17counting_iteratorIjlEEPS9_SE_NS0_5tupleIJPjSE_EEENSF_IJSE_SE_EEES9_SG_JZNS1_25segmented_radix_sort_implINS0_14default_configELb1EPKiPiPKlPlN2at6native12_GLOBAL__N_18offset_tEEE10hipError_tPvRmT1_PNSt15iterator_traitsISY_E10value_typeET2_T3_PNSZ_IS14_E10value_typeET4_jRbjT5_S1A_jjP12ihipStream_tbEUljE_EEESV_SW_SX_S14_S18_S1A_T6_T7_T9_mT8_S1C_bDpT10_ENKUlT_T0_E_clISt17integral_constantIbLb0EES1O_IbLb1EEEEDaS1K_S1L_EUlS1K_E_NS1_11comp_targetILNS1_3genE4ELNS1_11target_archE910ELNS1_3gpuE8ELNS1_3repE0EEENS1_30default_config_static_selectorELNS0_4arch9wavefront6targetE0EEEvSY_,comdat
	.globl	_ZN7rocprim17ROCPRIM_400000_NS6detail17trampoline_kernelINS0_13select_configILj256ELj13ELNS0_17block_load_methodE3ELS4_3ELS4_3ELNS0_20block_scan_algorithmE0ELj4294967295EEENS1_25partition_config_selectorILNS1_17partition_subalgoE3EjNS0_10empty_typeEbEEZZNS1_14partition_implILS8_3ELb0ES6_jNS0_17counting_iteratorIjlEEPS9_SE_NS0_5tupleIJPjSE_EEENSF_IJSE_SE_EEES9_SG_JZNS1_25segmented_radix_sort_implINS0_14default_configELb1EPKiPiPKlPlN2at6native12_GLOBAL__N_18offset_tEEE10hipError_tPvRmT1_PNSt15iterator_traitsISY_E10value_typeET2_T3_PNSZ_IS14_E10value_typeET4_jRbjT5_S1A_jjP12ihipStream_tbEUljE_EEESV_SW_SX_S14_S18_S1A_T6_T7_T9_mT8_S1C_bDpT10_ENKUlT_T0_E_clISt17integral_constantIbLb0EES1O_IbLb1EEEEDaS1K_S1L_EUlS1K_E_NS1_11comp_targetILNS1_3genE4ELNS1_11target_archE910ELNS1_3gpuE8ELNS1_3repE0EEENS1_30default_config_static_selectorELNS0_4arch9wavefront6targetE0EEEvSY_ ; -- Begin function _ZN7rocprim17ROCPRIM_400000_NS6detail17trampoline_kernelINS0_13select_configILj256ELj13ELNS0_17block_load_methodE3ELS4_3ELS4_3ELNS0_20block_scan_algorithmE0ELj4294967295EEENS1_25partition_config_selectorILNS1_17partition_subalgoE3EjNS0_10empty_typeEbEEZZNS1_14partition_implILS8_3ELb0ES6_jNS0_17counting_iteratorIjlEEPS9_SE_NS0_5tupleIJPjSE_EEENSF_IJSE_SE_EEES9_SG_JZNS1_25segmented_radix_sort_implINS0_14default_configELb1EPKiPiPKlPlN2at6native12_GLOBAL__N_18offset_tEEE10hipError_tPvRmT1_PNSt15iterator_traitsISY_E10value_typeET2_T3_PNSZ_IS14_E10value_typeET4_jRbjT5_S1A_jjP12ihipStream_tbEUljE_EEESV_SW_SX_S14_S18_S1A_T6_T7_T9_mT8_S1C_bDpT10_ENKUlT_T0_E_clISt17integral_constantIbLb0EES1O_IbLb1EEEEDaS1K_S1L_EUlS1K_E_NS1_11comp_targetILNS1_3genE4ELNS1_11target_archE910ELNS1_3gpuE8ELNS1_3repE0EEENS1_30default_config_static_selectorELNS0_4arch9wavefront6targetE0EEEvSY_
	.p2align	8
	.type	_ZN7rocprim17ROCPRIM_400000_NS6detail17trampoline_kernelINS0_13select_configILj256ELj13ELNS0_17block_load_methodE3ELS4_3ELS4_3ELNS0_20block_scan_algorithmE0ELj4294967295EEENS1_25partition_config_selectorILNS1_17partition_subalgoE3EjNS0_10empty_typeEbEEZZNS1_14partition_implILS8_3ELb0ES6_jNS0_17counting_iteratorIjlEEPS9_SE_NS0_5tupleIJPjSE_EEENSF_IJSE_SE_EEES9_SG_JZNS1_25segmented_radix_sort_implINS0_14default_configELb1EPKiPiPKlPlN2at6native12_GLOBAL__N_18offset_tEEE10hipError_tPvRmT1_PNSt15iterator_traitsISY_E10value_typeET2_T3_PNSZ_IS14_E10value_typeET4_jRbjT5_S1A_jjP12ihipStream_tbEUljE_EEESV_SW_SX_S14_S18_S1A_T6_T7_T9_mT8_S1C_bDpT10_ENKUlT_T0_E_clISt17integral_constantIbLb0EES1O_IbLb1EEEEDaS1K_S1L_EUlS1K_E_NS1_11comp_targetILNS1_3genE4ELNS1_11target_archE910ELNS1_3gpuE8ELNS1_3repE0EEENS1_30default_config_static_selectorELNS0_4arch9wavefront6targetE0EEEvSY_,@function
_ZN7rocprim17ROCPRIM_400000_NS6detail17trampoline_kernelINS0_13select_configILj256ELj13ELNS0_17block_load_methodE3ELS4_3ELS4_3ELNS0_20block_scan_algorithmE0ELj4294967295EEENS1_25partition_config_selectorILNS1_17partition_subalgoE3EjNS0_10empty_typeEbEEZZNS1_14partition_implILS8_3ELb0ES6_jNS0_17counting_iteratorIjlEEPS9_SE_NS0_5tupleIJPjSE_EEENSF_IJSE_SE_EEES9_SG_JZNS1_25segmented_radix_sort_implINS0_14default_configELb1EPKiPiPKlPlN2at6native12_GLOBAL__N_18offset_tEEE10hipError_tPvRmT1_PNSt15iterator_traitsISY_E10value_typeET2_T3_PNSZ_IS14_E10value_typeET4_jRbjT5_S1A_jjP12ihipStream_tbEUljE_EEESV_SW_SX_S14_S18_S1A_T6_T7_T9_mT8_S1C_bDpT10_ENKUlT_T0_E_clISt17integral_constantIbLb0EES1O_IbLb1EEEEDaS1K_S1L_EUlS1K_E_NS1_11comp_targetILNS1_3genE4ELNS1_11target_archE910ELNS1_3gpuE8ELNS1_3repE0EEENS1_30default_config_static_selectorELNS0_4arch9wavefront6targetE0EEEvSY_: ; @_ZN7rocprim17ROCPRIM_400000_NS6detail17trampoline_kernelINS0_13select_configILj256ELj13ELNS0_17block_load_methodE3ELS4_3ELS4_3ELNS0_20block_scan_algorithmE0ELj4294967295EEENS1_25partition_config_selectorILNS1_17partition_subalgoE3EjNS0_10empty_typeEbEEZZNS1_14partition_implILS8_3ELb0ES6_jNS0_17counting_iteratorIjlEEPS9_SE_NS0_5tupleIJPjSE_EEENSF_IJSE_SE_EEES9_SG_JZNS1_25segmented_radix_sort_implINS0_14default_configELb1EPKiPiPKlPlN2at6native12_GLOBAL__N_18offset_tEEE10hipError_tPvRmT1_PNSt15iterator_traitsISY_E10value_typeET2_T3_PNSZ_IS14_E10value_typeET4_jRbjT5_S1A_jjP12ihipStream_tbEUljE_EEESV_SW_SX_S14_S18_S1A_T6_T7_T9_mT8_S1C_bDpT10_ENKUlT_T0_E_clISt17integral_constantIbLb0EES1O_IbLb1EEEEDaS1K_S1L_EUlS1K_E_NS1_11comp_targetILNS1_3genE4ELNS1_11target_archE910ELNS1_3gpuE8ELNS1_3repE0EEENS1_30default_config_static_selectorELNS0_4arch9wavefront6targetE0EEEvSY_
; %bb.0:
	.section	.rodata,"a",@progbits
	.p2align	6, 0x0
	.amdhsa_kernel _ZN7rocprim17ROCPRIM_400000_NS6detail17trampoline_kernelINS0_13select_configILj256ELj13ELNS0_17block_load_methodE3ELS4_3ELS4_3ELNS0_20block_scan_algorithmE0ELj4294967295EEENS1_25partition_config_selectorILNS1_17partition_subalgoE3EjNS0_10empty_typeEbEEZZNS1_14partition_implILS8_3ELb0ES6_jNS0_17counting_iteratorIjlEEPS9_SE_NS0_5tupleIJPjSE_EEENSF_IJSE_SE_EEES9_SG_JZNS1_25segmented_radix_sort_implINS0_14default_configELb1EPKiPiPKlPlN2at6native12_GLOBAL__N_18offset_tEEE10hipError_tPvRmT1_PNSt15iterator_traitsISY_E10value_typeET2_T3_PNSZ_IS14_E10value_typeET4_jRbjT5_S1A_jjP12ihipStream_tbEUljE_EEESV_SW_SX_S14_S18_S1A_T6_T7_T9_mT8_S1C_bDpT10_ENKUlT_T0_E_clISt17integral_constantIbLb0EES1O_IbLb1EEEEDaS1K_S1L_EUlS1K_E_NS1_11comp_targetILNS1_3genE4ELNS1_11target_archE910ELNS1_3gpuE8ELNS1_3repE0EEENS1_30default_config_static_selectorELNS0_4arch9wavefront6targetE0EEEvSY_
		.amdhsa_group_segment_fixed_size 0
		.amdhsa_private_segment_fixed_size 0
		.amdhsa_kernarg_size 152
		.amdhsa_user_sgpr_count 2
		.amdhsa_user_sgpr_dispatch_ptr 0
		.amdhsa_user_sgpr_queue_ptr 0
		.amdhsa_user_sgpr_kernarg_segment_ptr 1
		.amdhsa_user_sgpr_dispatch_id 0
		.amdhsa_user_sgpr_kernarg_preload_length 0
		.amdhsa_user_sgpr_kernarg_preload_offset 0
		.amdhsa_user_sgpr_private_segment_size 0
		.amdhsa_wavefront_size32 1
		.amdhsa_uses_dynamic_stack 0
		.amdhsa_enable_private_segment 0
		.amdhsa_system_sgpr_workgroup_id_x 1
		.amdhsa_system_sgpr_workgroup_id_y 0
		.amdhsa_system_sgpr_workgroup_id_z 0
		.amdhsa_system_sgpr_workgroup_info 0
		.amdhsa_system_vgpr_workitem_id 0
		.amdhsa_next_free_vgpr 1
		.amdhsa_next_free_sgpr 1
		.amdhsa_named_barrier_count 0
		.amdhsa_reserve_vcc 0
		.amdhsa_float_round_mode_32 0
		.amdhsa_float_round_mode_16_64 0
		.amdhsa_float_denorm_mode_32 3
		.amdhsa_float_denorm_mode_16_64 3
		.amdhsa_fp16_overflow 0
		.amdhsa_memory_ordered 1
		.amdhsa_forward_progress 1
		.amdhsa_inst_pref_size 0
		.amdhsa_round_robin_scheduling 0
		.amdhsa_exception_fp_ieee_invalid_op 0
		.amdhsa_exception_fp_denorm_src 0
		.amdhsa_exception_fp_ieee_div_zero 0
		.amdhsa_exception_fp_ieee_overflow 0
		.amdhsa_exception_fp_ieee_underflow 0
		.amdhsa_exception_fp_ieee_inexact 0
		.amdhsa_exception_int_div_zero 0
	.end_amdhsa_kernel
	.section	.text._ZN7rocprim17ROCPRIM_400000_NS6detail17trampoline_kernelINS0_13select_configILj256ELj13ELNS0_17block_load_methodE3ELS4_3ELS4_3ELNS0_20block_scan_algorithmE0ELj4294967295EEENS1_25partition_config_selectorILNS1_17partition_subalgoE3EjNS0_10empty_typeEbEEZZNS1_14partition_implILS8_3ELb0ES6_jNS0_17counting_iteratorIjlEEPS9_SE_NS0_5tupleIJPjSE_EEENSF_IJSE_SE_EEES9_SG_JZNS1_25segmented_radix_sort_implINS0_14default_configELb1EPKiPiPKlPlN2at6native12_GLOBAL__N_18offset_tEEE10hipError_tPvRmT1_PNSt15iterator_traitsISY_E10value_typeET2_T3_PNSZ_IS14_E10value_typeET4_jRbjT5_S1A_jjP12ihipStream_tbEUljE_EEESV_SW_SX_S14_S18_S1A_T6_T7_T9_mT8_S1C_bDpT10_ENKUlT_T0_E_clISt17integral_constantIbLb0EES1O_IbLb1EEEEDaS1K_S1L_EUlS1K_E_NS1_11comp_targetILNS1_3genE4ELNS1_11target_archE910ELNS1_3gpuE8ELNS1_3repE0EEENS1_30default_config_static_selectorELNS0_4arch9wavefront6targetE0EEEvSY_,"axG",@progbits,_ZN7rocprim17ROCPRIM_400000_NS6detail17trampoline_kernelINS0_13select_configILj256ELj13ELNS0_17block_load_methodE3ELS4_3ELS4_3ELNS0_20block_scan_algorithmE0ELj4294967295EEENS1_25partition_config_selectorILNS1_17partition_subalgoE3EjNS0_10empty_typeEbEEZZNS1_14partition_implILS8_3ELb0ES6_jNS0_17counting_iteratorIjlEEPS9_SE_NS0_5tupleIJPjSE_EEENSF_IJSE_SE_EEES9_SG_JZNS1_25segmented_radix_sort_implINS0_14default_configELb1EPKiPiPKlPlN2at6native12_GLOBAL__N_18offset_tEEE10hipError_tPvRmT1_PNSt15iterator_traitsISY_E10value_typeET2_T3_PNSZ_IS14_E10value_typeET4_jRbjT5_S1A_jjP12ihipStream_tbEUljE_EEESV_SW_SX_S14_S18_S1A_T6_T7_T9_mT8_S1C_bDpT10_ENKUlT_T0_E_clISt17integral_constantIbLb0EES1O_IbLb1EEEEDaS1K_S1L_EUlS1K_E_NS1_11comp_targetILNS1_3genE4ELNS1_11target_archE910ELNS1_3gpuE8ELNS1_3repE0EEENS1_30default_config_static_selectorELNS0_4arch9wavefront6targetE0EEEvSY_,comdat
.Lfunc_end487:
	.size	_ZN7rocprim17ROCPRIM_400000_NS6detail17trampoline_kernelINS0_13select_configILj256ELj13ELNS0_17block_load_methodE3ELS4_3ELS4_3ELNS0_20block_scan_algorithmE0ELj4294967295EEENS1_25partition_config_selectorILNS1_17partition_subalgoE3EjNS0_10empty_typeEbEEZZNS1_14partition_implILS8_3ELb0ES6_jNS0_17counting_iteratorIjlEEPS9_SE_NS0_5tupleIJPjSE_EEENSF_IJSE_SE_EEES9_SG_JZNS1_25segmented_radix_sort_implINS0_14default_configELb1EPKiPiPKlPlN2at6native12_GLOBAL__N_18offset_tEEE10hipError_tPvRmT1_PNSt15iterator_traitsISY_E10value_typeET2_T3_PNSZ_IS14_E10value_typeET4_jRbjT5_S1A_jjP12ihipStream_tbEUljE_EEESV_SW_SX_S14_S18_S1A_T6_T7_T9_mT8_S1C_bDpT10_ENKUlT_T0_E_clISt17integral_constantIbLb0EES1O_IbLb1EEEEDaS1K_S1L_EUlS1K_E_NS1_11comp_targetILNS1_3genE4ELNS1_11target_archE910ELNS1_3gpuE8ELNS1_3repE0EEENS1_30default_config_static_selectorELNS0_4arch9wavefront6targetE0EEEvSY_, .Lfunc_end487-_ZN7rocprim17ROCPRIM_400000_NS6detail17trampoline_kernelINS0_13select_configILj256ELj13ELNS0_17block_load_methodE3ELS4_3ELS4_3ELNS0_20block_scan_algorithmE0ELj4294967295EEENS1_25partition_config_selectorILNS1_17partition_subalgoE3EjNS0_10empty_typeEbEEZZNS1_14partition_implILS8_3ELb0ES6_jNS0_17counting_iteratorIjlEEPS9_SE_NS0_5tupleIJPjSE_EEENSF_IJSE_SE_EEES9_SG_JZNS1_25segmented_radix_sort_implINS0_14default_configELb1EPKiPiPKlPlN2at6native12_GLOBAL__N_18offset_tEEE10hipError_tPvRmT1_PNSt15iterator_traitsISY_E10value_typeET2_T3_PNSZ_IS14_E10value_typeET4_jRbjT5_S1A_jjP12ihipStream_tbEUljE_EEESV_SW_SX_S14_S18_S1A_T6_T7_T9_mT8_S1C_bDpT10_ENKUlT_T0_E_clISt17integral_constantIbLb0EES1O_IbLb1EEEEDaS1K_S1L_EUlS1K_E_NS1_11comp_targetILNS1_3genE4ELNS1_11target_archE910ELNS1_3gpuE8ELNS1_3repE0EEENS1_30default_config_static_selectorELNS0_4arch9wavefront6targetE0EEEvSY_
                                        ; -- End function
	.set _ZN7rocprim17ROCPRIM_400000_NS6detail17trampoline_kernelINS0_13select_configILj256ELj13ELNS0_17block_load_methodE3ELS4_3ELS4_3ELNS0_20block_scan_algorithmE0ELj4294967295EEENS1_25partition_config_selectorILNS1_17partition_subalgoE3EjNS0_10empty_typeEbEEZZNS1_14partition_implILS8_3ELb0ES6_jNS0_17counting_iteratorIjlEEPS9_SE_NS0_5tupleIJPjSE_EEENSF_IJSE_SE_EEES9_SG_JZNS1_25segmented_radix_sort_implINS0_14default_configELb1EPKiPiPKlPlN2at6native12_GLOBAL__N_18offset_tEEE10hipError_tPvRmT1_PNSt15iterator_traitsISY_E10value_typeET2_T3_PNSZ_IS14_E10value_typeET4_jRbjT5_S1A_jjP12ihipStream_tbEUljE_EEESV_SW_SX_S14_S18_S1A_T6_T7_T9_mT8_S1C_bDpT10_ENKUlT_T0_E_clISt17integral_constantIbLb0EES1O_IbLb1EEEEDaS1K_S1L_EUlS1K_E_NS1_11comp_targetILNS1_3genE4ELNS1_11target_archE910ELNS1_3gpuE8ELNS1_3repE0EEENS1_30default_config_static_selectorELNS0_4arch9wavefront6targetE0EEEvSY_.num_vgpr, 0
	.set _ZN7rocprim17ROCPRIM_400000_NS6detail17trampoline_kernelINS0_13select_configILj256ELj13ELNS0_17block_load_methodE3ELS4_3ELS4_3ELNS0_20block_scan_algorithmE0ELj4294967295EEENS1_25partition_config_selectorILNS1_17partition_subalgoE3EjNS0_10empty_typeEbEEZZNS1_14partition_implILS8_3ELb0ES6_jNS0_17counting_iteratorIjlEEPS9_SE_NS0_5tupleIJPjSE_EEENSF_IJSE_SE_EEES9_SG_JZNS1_25segmented_radix_sort_implINS0_14default_configELb1EPKiPiPKlPlN2at6native12_GLOBAL__N_18offset_tEEE10hipError_tPvRmT1_PNSt15iterator_traitsISY_E10value_typeET2_T3_PNSZ_IS14_E10value_typeET4_jRbjT5_S1A_jjP12ihipStream_tbEUljE_EEESV_SW_SX_S14_S18_S1A_T6_T7_T9_mT8_S1C_bDpT10_ENKUlT_T0_E_clISt17integral_constantIbLb0EES1O_IbLb1EEEEDaS1K_S1L_EUlS1K_E_NS1_11comp_targetILNS1_3genE4ELNS1_11target_archE910ELNS1_3gpuE8ELNS1_3repE0EEENS1_30default_config_static_selectorELNS0_4arch9wavefront6targetE0EEEvSY_.num_agpr, 0
	.set _ZN7rocprim17ROCPRIM_400000_NS6detail17trampoline_kernelINS0_13select_configILj256ELj13ELNS0_17block_load_methodE3ELS4_3ELS4_3ELNS0_20block_scan_algorithmE0ELj4294967295EEENS1_25partition_config_selectorILNS1_17partition_subalgoE3EjNS0_10empty_typeEbEEZZNS1_14partition_implILS8_3ELb0ES6_jNS0_17counting_iteratorIjlEEPS9_SE_NS0_5tupleIJPjSE_EEENSF_IJSE_SE_EEES9_SG_JZNS1_25segmented_radix_sort_implINS0_14default_configELb1EPKiPiPKlPlN2at6native12_GLOBAL__N_18offset_tEEE10hipError_tPvRmT1_PNSt15iterator_traitsISY_E10value_typeET2_T3_PNSZ_IS14_E10value_typeET4_jRbjT5_S1A_jjP12ihipStream_tbEUljE_EEESV_SW_SX_S14_S18_S1A_T6_T7_T9_mT8_S1C_bDpT10_ENKUlT_T0_E_clISt17integral_constantIbLb0EES1O_IbLb1EEEEDaS1K_S1L_EUlS1K_E_NS1_11comp_targetILNS1_3genE4ELNS1_11target_archE910ELNS1_3gpuE8ELNS1_3repE0EEENS1_30default_config_static_selectorELNS0_4arch9wavefront6targetE0EEEvSY_.numbered_sgpr, 0
	.set _ZN7rocprim17ROCPRIM_400000_NS6detail17trampoline_kernelINS0_13select_configILj256ELj13ELNS0_17block_load_methodE3ELS4_3ELS4_3ELNS0_20block_scan_algorithmE0ELj4294967295EEENS1_25partition_config_selectorILNS1_17partition_subalgoE3EjNS0_10empty_typeEbEEZZNS1_14partition_implILS8_3ELb0ES6_jNS0_17counting_iteratorIjlEEPS9_SE_NS0_5tupleIJPjSE_EEENSF_IJSE_SE_EEES9_SG_JZNS1_25segmented_radix_sort_implINS0_14default_configELb1EPKiPiPKlPlN2at6native12_GLOBAL__N_18offset_tEEE10hipError_tPvRmT1_PNSt15iterator_traitsISY_E10value_typeET2_T3_PNSZ_IS14_E10value_typeET4_jRbjT5_S1A_jjP12ihipStream_tbEUljE_EEESV_SW_SX_S14_S18_S1A_T6_T7_T9_mT8_S1C_bDpT10_ENKUlT_T0_E_clISt17integral_constantIbLb0EES1O_IbLb1EEEEDaS1K_S1L_EUlS1K_E_NS1_11comp_targetILNS1_3genE4ELNS1_11target_archE910ELNS1_3gpuE8ELNS1_3repE0EEENS1_30default_config_static_selectorELNS0_4arch9wavefront6targetE0EEEvSY_.num_named_barrier, 0
	.set _ZN7rocprim17ROCPRIM_400000_NS6detail17trampoline_kernelINS0_13select_configILj256ELj13ELNS0_17block_load_methodE3ELS4_3ELS4_3ELNS0_20block_scan_algorithmE0ELj4294967295EEENS1_25partition_config_selectorILNS1_17partition_subalgoE3EjNS0_10empty_typeEbEEZZNS1_14partition_implILS8_3ELb0ES6_jNS0_17counting_iteratorIjlEEPS9_SE_NS0_5tupleIJPjSE_EEENSF_IJSE_SE_EEES9_SG_JZNS1_25segmented_radix_sort_implINS0_14default_configELb1EPKiPiPKlPlN2at6native12_GLOBAL__N_18offset_tEEE10hipError_tPvRmT1_PNSt15iterator_traitsISY_E10value_typeET2_T3_PNSZ_IS14_E10value_typeET4_jRbjT5_S1A_jjP12ihipStream_tbEUljE_EEESV_SW_SX_S14_S18_S1A_T6_T7_T9_mT8_S1C_bDpT10_ENKUlT_T0_E_clISt17integral_constantIbLb0EES1O_IbLb1EEEEDaS1K_S1L_EUlS1K_E_NS1_11comp_targetILNS1_3genE4ELNS1_11target_archE910ELNS1_3gpuE8ELNS1_3repE0EEENS1_30default_config_static_selectorELNS0_4arch9wavefront6targetE0EEEvSY_.private_seg_size, 0
	.set _ZN7rocprim17ROCPRIM_400000_NS6detail17trampoline_kernelINS0_13select_configILj256ELj13ELNS0_17block_load_methodE3ELS4_3ELS4_3ELNS0_20block_scan_algorithmE0ELj4294967295EEENS1_25partition_config_selectorILNS1_17partition_subalgoE3EjNS0_10empty_typeEbEEZZNS1_14partition_implILS8_3ELb0ES6_jNS0_17counting_iteratorIjlEEPS9_SE_NS0_5tupleIJPjSE_EEENSF_IJSE_SE_EEES9_SG_JZNS1_25segmented_radix_sort_implINS0_14default_configELb1EPKiPiPKlPlN2at6native12_GLOBAL__N_18offset_tEEE10hipError_tPvRmT1_PNSt15iterator_traitsISY_E10value_typeET2_T3_PNSZ_IS14_E10value_typeET4_jRbjT5_S1A_jjP12ihipStream_tbEUljE_EEESV_SW_SX_S14_S18_S1A_T6_T7_T9_mT8_S1C_bDpT10_ENKUlT_T0_E_clISt17integral_constantIbLb0EES1O_IbLb1EEEEDaS1K_S1L_EUlS1K_E_NS1_11comp_targetILNS1_3genE4ELNS1_11target_archE910ELNS1_3gpuE8ELNS1_3repE0EEENS1_30default_config_static_selectorELNS0_4arch9wavefront6targetE0EEEvSY_.uses_vcc, 0
	.set _ZN7rocprim17ROCPRIM_400000_NS6detail17trampoline_kernelINS0_13select_configILj256ELj13ELNS0_17block_load_methodE3ELS4_3ELS4_3ELNS0_20block_scan_algorithmE0ELj4294967295EEENS1_25partition_config_selectorILNS1_17partition_subalgoE3EjNS0_10empty_typeEbEEZZNS1_14partition_implILS8_3ELb0ES6_jNS0_17counting_iteratorIjlEEPS9_SE_NS0_5tupleIJPjSE_EEENSF_IJSE_SE_EEES9_SG_JZNS1_25segmented_radix_sort_implINS0_14default_configELb1EPKiPiPKlPlN2at6native12_GLOBAL__N_18offset_tEEE10hipError_tPvRmT1_PNSt15iterator_traitsISY_E10value_typeET2_T3_PNSZ_IS14_E10value_typeET4_jRbjT5_S1A_jjP12ihipStream_tbEUljE_EEESV_SW_SX_S14_S18_S1A_T6_T7_T9_mT8_S1C_bDpT10_ENKUlT_T0_E_clISt17integral_constantIbLb0EES1O_IbLb1EEEEDaS1K_S1L_EUlS1K_E_NS1_11comp_targetILNS1_3genE4ELNS1_11target_archE910ELNS1_3gpuE8ELNS1_3repE0EEENS1_30default_config_static_selectorELNS0_4arch9wavefront6targetE0EEEvSY_.uses_flat_scratch, 0
	.set _ZN7rocprim17ROCPRIM_400000_NS6detail17trampoline_kernelINS0_13select_configILj256ELj13ELNS0_17block_load_methodE3ELS4_3ELS4_3ELNS0_20block_scan_algorithmE0ELj4294967295EEENS1_25partition_config_selectorILNS1_17partition_subalgoE3EjNS0_10empty_typeEbEEZZNS1_14partition_implILS8_3ELb0ES6_jNS0_17counting_iteratorIjlEEPS9_SE_NS0_5tupleIJPjSE_EEENSF_IJSE_SE_EEES9_SG_JZNS1_25segmented_radix_sort_implINS0_14default_configELb1EPKiPiPKlPlN2at6native12_GLOBAL__N_18offset_tEEE10hipError_tPvRmT1_PNSt15iterator_traitsISY_E10value_typeET2_T3_PNSZ_IS14_E10value_typeET4_jRbjT5_S1A_jjP12ihipStream_tbEUljE_EEESV_SW_SX_S14_S18_S1A_T6_T7_T9_mT8_S1C_bDpT10_ENKUlT_T0_E_clISt17integral_constantIbLb0EES1O_IbLb1EEEEDaS1K_S1L_EUlS1K_E_NS1_11comp_targetILNS1_3genE4ELNS1_11target_archE910ELNS1_3gpuE8ELNS1_3repE0EEENS1_30default_config_static_selectorELNS0_4arch9wavefront6targetE0EEEvSY_.has_dyn_sized_stack, 0
	.set _ZN7rocprim17ROCPRIM_400000_NS6detail17trampoline_kernelINS0_13select_configILj256ELj13ELNS0_17block_load_methodE3ELS4_3ELS4_3ELNS0_20block_scan_algorithmE0ELj4294967295EEENS1_25partition_config_selectorILNS1_17partition_subalgoE3EjNS0_10empty_typeEbEEZZNS1_14partition_implILS8_3ELb0ES6_jNS0_17counting_iteratorIjlEEPS9_SE_NS0_5tupleIJPjSE_EEENSF_IJSE_SE_EEES9_SG_JZNS1_25segmented_radix_sort_implINS0_14default_configELb1EPKiPiPKlPlN2at6native12_GLOBAL__N_18offset_tEEE10hipError_tPvRmT1_PNSt15iterator_traitsISY_E10value_typeET2_T3_PNSZ_IS14_E10value_typeET4_jRbjT5_S1A_jjP12ihipStream_tbEUljE_EEESV_SW_SX_S14_S18_S1A_T6_T7_T9_mT8_S1C_bDpT10_ENKUlT_T0_E_clISt17integral_constantIbLb0EES1O_IbLb1EEEEDaS1K_S1L_EUlS1K_E_NS1_11comp_targetILNS1_3genE4ELNS1_11target_archE910ELNS1_3gpuE8ELNS1_3repE0EEENS1_30default_config_static_selectorELNS0_4arch9wavefront6targetE0EEEvSY_.has_recursion, 0
	.set _ZN7rocprim17ROCPRIM_400000_NS6detail17trampoline_kernelINS0_13select_configILj256ELj13ELNS0_17block_load_methodE3ELS4_3ELS4_3ELNS0_20block_scan_algorithmE0ELj4294967295EEENS1_25partition_config_selectorILNS1_17partition_subalgoE3EjNS0_10empty_typeEbEEZZNS1_14partition_implILS8_3ELb0ES6_jNS0_17counting_iteratorIjlEEPS9_SE_NS0_5tupleIJPjSE_EEENSF_IJSE_SE_EEES9_SG_JZNS1_25segmented_radix_sort_implINS0_14default_configELb1EPKiPiPKlPlN2at6native12_GLOBAL__N_18offset_tEEE10hipError_tPvRmT1_PNSt15iterator_traitsISY_E10value_typeET2_T3_PNSZ_IS14_E10value_typeET4_jRbjT5_S1A_jjP12ihipStream_tbEUljE_EEESV_SW_SX_S14_S18_S1A_T6_T7_T9_mT8_S1C_bDpT10_ENKUlT_T0_E_clISt17integral_constantIbLb0EES1O_IbLb1EEEEDaS1K_S1L_EUlS1K_E_NS1_11comp_targetILNS1_3genE4ELNS1_11target_archE910ELNS1_3gpuE8ELNS1_3repE0EEENS1_30default_config_static_selectorELNS0_4arch9wavefront6targetE0EEEvSY_.has_indirect_call, 0
	.section	.AMDGPU.csdata,"",@progbits
; Kernel info:
; codeLenInByte = 0
; TotalNumSgprs: 0
; NumVgprs: 0
; ScratchSize: 0
; MemoryBound: 0
; FloatMode: 240
; IeeeMode: 1
; LDSByteSize: 0 bytes/workgroup (compile time only)
; SGPRBlocks: 0
; VGPRBlocks: 0
; NumSGPRsForWavesPerEU: 1
; NumVGPRsForWavesPerEU: 1
; NamedBarCnt: 0
; Occupancy: 16
; WaveLimiterHint : 0
; COMPUTE_PGM_RSRC2:SCRATCH_EN: 0
; COMPUTE_PGM_RSRC2:USER_SGPR: 2
; COMPUTE_PGM_RSRC2:TRAP_HANDLER: 0
; COMPUTE_PGM_RSRC2:TGID_X_EN: 1
; COMPUTE_PGM_RSRC2:TGID_Y_EN: 0
; COMPUTE_PGM_RSRC2:TGID_Z_EN: 0
; COMPUTE_PGM_RSRC2:TIDIG_COMP_CNT: 0
	.section	.text._ZN7rocprim17ROCPRIM_400000_NS6detail17trampoline_kernelINS0_13select_configILj256ELj13ELNS0_17block_load_methodE3ELS4_3ELS4_3ELNS0_20block_scan_algorithmE0ELj4294967295EEENS1_25partition_config_selectorILNS1_17partition_subalgoE3EjNS0_10empty_typeEbEEZZNS1_14partition_implILS8_3ELb0ES6_jNS0_17counting_iteratorIjlEEPS9_SE_NS0_5tupleIJPjSE_EEENSF_IJSE_SE_EEES9_SG_JZNS1_25segmented_radix_sort_implINS0_14default_configELb1EPKiPiPKlPlN2at6native12_GLOBAL__N_18offset_tEEE10hipError_tPvRmT1_PNSt15iterator_traitsISY_E10value_typeET2_T3_PNSZ_IS14_E10value_typeET4_jRbjT5_S1A_jjP12ihipStream_tbEUljE_EEESV_SW_SX_S14_S18_S1A_T6_T7_T9_mT8_S1C_bDpT10_ENKUlT_T0_E_clISt17integral_constantIbLb0EES1O_IbLb1EEEEDaS1K_S1L_EUlS1K_E_NS1_11comp_targetILNS1_3genE3ELNS1_11target_archE908ELNS1_3gpuE7ELNS1_3repE0EEENS1_30default_config_static_selectorELNS0_4arch9wavefront6targetE0EEEvSY_,"axG",@progbits,_ZN7rocprim17ROCPRIM_400000_NS6detail17trampoline_kernelINS0_13select_configILj256ELj13ELNS0_17block_load_methodE3ELS4_3ELS4_3ELNS0_20block_scan_algorithmE0ELj4294967295EEENS1_25partition_config_selectorILNS1_17partition_subalgoE3EjNS0_10empty_typeEbEEZZNS1_14partition_implILS8_3ELb0ES6_jNS0_17counting_iteratorIjlEEPS9_SE_NS0_5tupleIJPjSE_EEENSF_IJSE_SE_EEES9_SG_JZNS1_25segmented_radix_sort_implINS0_14default_configELb1EPKiPiPKlPlN2at6native12_GLOBAL__N_18offset_tEEE10hipError_tPvRmT1_PNSt15iterator_traitsISY_E10value_typeET2_T3_PNSZ_IS14_E10value_typeET4_jRbjT5_S1A_jjP12ihipStream_tbEUljE_EEESV_SW_SX_S14_S18_S1A_T6_T7_T9_mT8_S1C_bDpT10_ENKUlT_T0_E_clISt17integral_constantIbLb0EES1O_IbLb1EEEEDaS1K_S1L_EUlS1K_E_NS1_11comp_targetILNS1_3genE3ELNS1_11target_archE908ELNS1_3gpuE7ELNS1_3repE0EEENS1_30default_config_static_selectorELNS0_4arch9wavefront6targetE0EEEvSY_,comdat
	.globl	_ZN7rocprim17ROCPRIM_400000_NS6detail17trampoline_kernelINS0_13select_configILj256ELj13ELNS0_17block_load_methodE3ELS4_3ELS4_3ELNS0_20block_scan_algorithmE0ELj4294967295EEENS1_25partition_config_selectorILNS1_17partition_subalgoE3EjNS0_10empty_typeEbEEZZNS1_14partition_implILS8_3ELb0ES6_jNS0_17counting_iteratorIjlEEPS9_SE_NS0_5tupleIJPjSE_EEENSF_IJSE_SE_EEES9_SG_JZNS1_25segmented_radix_sort_implINS0_14default_configELb1EPKiPiPKlPlN2at6native12_GLOBAL__N_18offset_tEEE10hipError_tPvRmT1_PNSt15iterator_traitsISY_E10value_typeET2_T3_PNSZ_IS14_E10value_typeET4_jRbjT5_S1A_jjP12ihipStream_tbEUljE_EEESV_SW_SX_S14_S18_S1A_T6_T7_T9_mT8_S1C_bDpT10_ENKUlT_T0_E_clISt17integral_constantIbLb0EES1O_IbLb1EEEEDaS1K_S1L_EUlS1K_E_NS1_11comp_targetILNS1_3genE3ELNS1_11target_archE908ELNS1_3gpuE7ELNS1_3repE0EEENS1_30default_config_static_selectorELNS0_4arch9wavefront6targetE0EEEvSY_ ; -- Begin function _ZN7rocprim17ROCPRIM_400000_NS6detail17trampoline_kernelINS0_13select_configILj256ELj13ELNS0_17block_load_methodE3ELS4_3ELS4_3ELNS0_20block_scan_algorithmE0ELj4294967295EEENS1_25partition_config_selectorILNS1_17partition_subalgoE3EjNS0_10empty_typeEbEEZZNS1_14partition_implILS8_3ELb0ES6_jNS0_17counting_iteratorIjlEEPS9_SE_NS0_5tupleIJPjSE_EEENSF_IJSE_SE_EEES9_SG_JZNS1_25segmented_radix_sort_implINS0_14default_configELb1EPKiPiPKlPlN2at6native12_GLOBAL__N_18offset_tEEE10hipError_tPvRmT1_PNSt15iterator_traitsISY_E10value_typeET2_T3_PNSZ_IS14_E10value_typeET4_jRbjT5_S1A_jjP12ihipStream_tbEUljE_EEESV_SW_SX_S14_S18_S1A_T6_T7_T9_mT8_S1C_bDpT10_ENKUlT_T0_E_clISt17integral_constantIbLb0EES1O_IbLb1EEEEDaS1K_S1L_EUlS1K_E_NS1_11comp_targetILNS1_3genE3ELNS1_11target_archE908ELNS1_3gpuE7ELNS1_3repE0EEENS1_30default_config_static_selectorELNS0_4arch9wavefront6targetE0EEEvSY_
	.p2align	8
	.type	_ZN7rocprim17ROCPRIM_400000_NS6detail17trampoline_kernelINS0_13select_configILj256ELj13ELNS0_17block_load_methodE3ELS4_3ELS4_3ELNS0_20block_scan_algorithmE0ELj4294967295EEENS1_25partition_config_selectorILNS1_17partition_subalgoE3EjNS0_10empty_typeEbEEZZNS1_14partition_implILS8_3ELb0ES6_jNS0_17counting_iteratorIjlEEPS9_SE_NS0_5tupleIJPjSE_EEENSF_IJSE_SE_EEES9_SG_JZNS1_25segmented_radix_sort_implINS0_14default_configELb1EPKiPiPKlPlN2at6native12_GLOBAL__N_18offset_tEEE10hipError_tPvRmT1_PNSt15iterator_traitsISY_E10value_typeET2_T3_PNSZ_IS14_E10value_typeET4_jRbjT5_S1A_jjP12ihipStream_tbEUljE_EEESV_SW_SX_S14_S18_S1A_T6_T7_T9_mT8_S1C_bDpT10_ENKUlT_T0_E_clISt17integral_constantIbLb0EES1O_IbLb1EEEEDaS1K_S1L_EUlS1K_E_NS1_11comp_targetILNS1_3genE3ELNS1_11target_archE908ELNS1_3gpuE7ELNS1_3repE0EEENS1_30default_config_static_selectorELNS0_4arch9wavefront6targetE0EEEvSY_,@function
_ZN7rocprim17ROCPRIM_400000_NS6detail17trampoline_kernelINS0_13select_configILj256ELj13ELNS0_17block_load_methodE3ELS4_3ELS4_3ELNS0_20block_scan_algorithmE0ELj4294967295EEENS1_25partition_config_selectorILNS1_17partition_subalgoE3EjNS0_10empty_typeEbEEZZNS1_14partition_implILS8_3ELb0ES6_jNS0_17counting_iteratorIjlEEPS9_SE_NS0_5tupleIJPjSE_EEENSF_IJSE_SE_EEES9_SG_JZNS1_25segmented_radix_sort_implINS0_14default_configELb1EPKiPiPKlPlN2at6native12_GLOBAL__N_18offset_tEEE10hipError_tPvRmT1_PNSt15iterator_traitsISY_E10value_typeET2_T3_PNSZ_IS14_E10value_typeET4_jRbjT5_S1A_jjP12ihipStream_tbEUljE_EEESV_SW_SX_S14_S18_S1A_T6_T7_T9_mT8_S1C_bDpT10_ENKUlT_T0_E_clISt17integral_constantIbLb0EES1O_IbLb1EEEEDaS1K_S1L_EUlS1K_E_NS1_11comp_targetILNS1_3genE3ELNS1_11target_archE908ELNS1_3gpuE7ELNS1_3repE0EEENS1_30default_config_static_selectorELNS0_4arch9wavefront6targetE0EEEvSY_: ; @_ZN7rocprim17ROCPRIM_400000_NS6detail17trampoline_kernelINS0_13select_configILj256ELj13ELNS0_17block_load_methodE3ELS4_3ELS4_3ELNS0_20block_scan_algorithmE0ELj4294967295EEENS1_25partition_config_selectorILNS1_17partition_subalgoE3EjNS0_10empty_typeEbEEZZNS1_14partition_implILS8_3ELb0ES6_jNS0_17counting_iteratorIjlEEPS9_SE_NS0_5tupleIJPjSE_EEENSF_IJSE_SE_EEES9_SG_JZNS1_25segmented_radix_sort_implINS0_14default_configELb1EPKiPiPKlPlN2at6native12_GLOBAL__N_18offset_tEEE10hipError_tPvRmT1_PNSt15iterator_traitsISY_E10value_typeET2_T3_PNSZ_IS14_E10value_typeET4_jRbjT5_S1A_jjP12ihipStream_tbEUljE_EEESV_SW_SX_S14_S18_S1A_T6_T7_T9_mT8_S1C_bDpT10_ENKUlT_T0_E_clISt17integral_constantIbLb0EES1O_IbLb1EEEEDaS1K_S1L_EUlS1K_E_NS1_11comp_targetILNS1_3genE3ELNS1_11target_archE908ELNS1_3gpuE7ELNS1_3repE0EEENS1_30default_config_static_selectorELNS0_4arch9wavefront6targetE0EEEvSY_
; %bb.0:
	.section	.rodata,"a",@progbits
	.p2align	6, 0x0
	.amdhsa_kernel _ZN7rocprim17ROCPRIM_400000_NS6detail17trampoline_kernelINS0_13select_configILj256ELj13ELNS0_17block_load_methodE3ELS4_3ELS4_3ELNS0_20block_scan_algorithmE0ELj4294967295EEENS1_25partition_config_selectorILNS1_17partition_subalgoE3EjNS0_10empty_typeEbEEZZNS1_14partition_implILS8_3ELb0ES6_jNS0_17counting_iteratorIjlEEPS9_SE_NS0_5tupleIJPjSE_EEENSF_IJSE_SE_EEES9_SG_JZNS1_25segmented_radix_sort_implINS0_14default_configELb1EPKiPiPKlPlN2at6native12_GLOBAL__N_18offset_tEEE10hipError_tPvRmT1_PNSt15iterator_traitsISY_E10value_typeET2_T3_PNSZ_IS14_E10value_typeET4_jRbjT5_S1A_jjP12ihipStream_tbEUljE_EEESV_SW_SX_S14_S18_S1A_T6_T7_T9_mT8_S1C_bDpT10_ENKUlT_T0_E_clISt17integral_constantIbLb0EES1O_IbLb1EEEEDaS1K_S1L_EUlS1K_E_NS1_11comp_targetILNS1_3genE3ELNS1_11target_archE908ELNS1_3gpuE7ELNS1_3repE0EEENS1_30default_config_static_selectorELNS0_4arch9wavefront6targetE0EEEvSY_
		.amdhsa_group_segment_fixed_size 0
		.amdhsa_private_segment_fixed_size 0
		.amdhsa_kernarg_size 152
		.amdhsa_user_sgpr_count 2
		.amdhsa_user_sgpr_dispatch_ptr 0
		.amdhsa_user_sgpr_queue_ptr 0
		.amdhsa_user_sgpr_kernarg_segment_ptr 1
		.amdhsa_user_sgpr_dispatch_id 0
		.amdhsa_user_sgpr_kernarg_preload_length 0
		.amdhsa_user_sgpr_kernarg_preload_offset 0
		.amdhsa_user_sgpr_private_segment_size 0
		.amdhsa_wavefront_size32 1
		.amdhsa_uses_dynamic_stack 0
		.amdhsa_enable_private_segment 0
		.amdhsa_system_sgpr_workgroup_id_x 1
		.amdhsa_system_sgpr_workgroup_id_y 0
		.amdhsa_system_sgpr_workgroup_id_z 0
		.amdhsa_system_sgpr_workgroup_info 0
		.amdhsa_system_vgpr_workitem_id 0
		.amdhsa_next_free_vgpr 1
		.amdhsa_next_free_sgpr 1
		.amdhsa_named_barrier_count 0
		.amdhsa_reserve_vcc 0
		.amdhsa_float_round_mode_32 0
		.amdhsa_float_round_mode_16_64 0
		.amdhsa_float_denorm_mode_32 3
		.amdhsa_float_denorm_mode_16_64 3
		.amdhsa_fp16_overflow 0
		.amdhsa_memory_ordered 1
		.amdhsa_forward_progress 1
		.amdhsa_inst_pref_size 0
		.amdhsa_round_robin_scheduling 0
		.amdhsa_exception_fp_ieee_invalid_op 0
		.amdhsa_exception_fp_denorm_src 0
		.amdhsa_exception_fp_ieee_div_zero 0
		.amdhsa_exception_fp_ieee_overflow 0
		.amdhsa_exception_fp_ieee_underflow 0
		.amdhsa_exception_fp_ieee_inexact 0
		.amdhsa_exception_int_div_zero 0
	.end_amdhsa_kernel
	.section	.text._ZN7rocprim17ROCPRIM_400000_NS6detail17trampoline_kernelINS0_13select_configILj256ELj13ELNS0_17block_load_methodE3ELS4_3ELS4_3ELNS0_20block_scan_algorithmE0ELj4294967295EEENS1_25partition_config_selectorILNS1_17partition_subalgoE3EjNS0_10empty_typeEbEEZZNS1_14partition_implILS8_3ELb0ES6_jNS0_17counting_iteratorIjlEEPS9_SE_NS0_5tupleIJPjSE_EEENSF_IJSE_SE_EEES9_SG_JZNS1_25segmented_radix_sort_implINS0_14default_configELb1EPKiPiPKlPlN2at6native12_GLOBAL__N_18offset_tEEE10hipError_tPvRmT1_PNSt15iterator_traitsISY_E10value_typeET2_T3_PNSZ_IS14_E10value_typeET4_jRbjT5_S1A_jjP12ihipStream_tbEUljE_EEESV_SW_SX_S14_S18_S1A_T6_T7_T9_mT8_S1C_bDpT10_ENKUlT_T0_E_clISt17integral_constantIbLb0EES1O_IbLb1EEEEDaS1K_S1L_EUlS1K_E_NS1_11comp_targetILNS1_3genE3ELNS1_11target_archE908ELNS1_3gpuE7ELNS1_3repE0EEENS1_30default_config_static_selectorELNS0_4arch9wavefront6targetE0EEEvSY_,"axG",@progbits,_ZN7rocprim17ROCPRIM_400000_NS6detail17trampoline_kernelINS0_13select_configILj256ELj13ELNS0_17block_load_methodE3ELS4_3ELS4_3ELNS0_20block_scan_algorithmE0ELj4294967295EEENS1_25partition_config_selectorILNS1_17partition_subalgoE3EjNS0_10empty_typeEbEEZZNS1_14partition_implILS8_3ELb0ES6_jNS0_17counting_iteratorIjlEEPS9_SE_NS0_5tupleIJPjSE_EEENSF_IJSE_SE_EEES9_SG_JZNS1_25segmented_radix_sort_implINS0_14default_configELb1EPKiPiPKlPlN2at6native12_GLOBAL__N_18offset_tEEE10hipError_tPvRmT1_PNSt15iterator_traitsISY_E10value_typeET2_T3_PNSZ_IS14_E10value_typeET4_jRbjT5_S1A_jjP12ihipStream_tbEUljE_EEESV_SW_SX_S14_S18_S1A_T6_T7_T9_mT8_S1C_bDpT10_ENKUlT_T0_E_clISt17integral_constantIbLb0EES1O_IbLb1EEEEDaS1K_S1L_EUlS1K_E_NS1_11comp_targetILNS1_3genE3ELNS1_11target_archE908ELNS1_3gpuE7ELNS1_3repE0EEENS1_30default_config_static_selectorELNS0_4arch9wavefront6targetE0EEEvSY_,comdat
.Lfunc_end488:
	.size	_ZN7rocprim17ROCPRIM_400000_NS6detail17trampoline_kernelINS0_13select_configILj256ELj13ELNS0_17block_load_methodE3ELS4_3ELS4_3ELNS0_20block_scan_algorithmE0ELj4294967295EEENS1_25partition_config_selectorILNS1_17partition_subalgoE3EjNS0_10empty_typeEbEEZZNS1_14partition_implILS8_3ELb0ES6_jNS0_17counting_iteratorIjlEEPS9_SE_NS0_5tupleIJPjSE_EEENSF_IJSE_SE_EEES9_SG_JZNS1_25segmented_radix_sort_implINS0_14default_configELb1EPKiPiPKlPlN2at6native12_GLOBAL__N_18offset_tEEE10hipError_tPvRmT1_PNSt15iterator_traitsISY_E10value_typeET2_T3_PNSZ_IS14_E10value_typeET4_jRbjT5_S1A_jjP12ihipStream_tbEUljE_EEESV_SW_SX_S14_S18_S1A_T6_T7_T9_mT8_S1C_bDpT10_ENKUlT_T0_E_clISt17integral_constantIbLb0EES1O_IbLb1EEEEDaS1K_S1L_EUlS1K_E_NS1_11comp_targetILNS1_3genE3ELNS1_11target_archE908ELNS1_3gpuE7ELNS1_3repE0EEENS1_30default_config_static_selectorELNS0_4arch9wavefront6targetE0EEEvSY_, .Lfunc_end488-_ZN7rocprim17ROCPRIM_400000_NS6detail17trampoline_kernelINS0_13select_configILj256ELj13ELNS0_17block_load_methodE3ELS4_3ELS4_3ELNS0_20block_scan_algorithmE0ELj4294967295EEENS1_25partition_config_selectorILNS1_17partition_subalgoE3EjNS0_10empty_typeEbEEZZNS1_14partition_implILS8_3ELb0ES6_jNS0_17counting_iteratorIjlEEPS9_SE_NS0_5tupleIJPjSE_EEENSF_IJSE_SE_EEES9_SG_JZNS1_25segmented_radix_sort_implINS0_14default_configELb1EPKiPiPKlPlN2at6native12_GLOBAL__N_18offset_tEEE10hipError_tPvRmT1_PNSt15iterator_traitsISY_E10value_typeET2_T3_PNSZ_IS14_E10value_typeET4_jRbjT5_S1A_jjP12ihipStream_tbEUljE_EEESV_SW_SX_S14_S18_S1A_T6_T7_T9_mT8_S1C_bDpT10_ENKUlT_T0_E_clISt17integral_constantIbLb0EES1O_IbLb1EEEEDaS1K_S1L_EUlS1K_E_NS1_11comp_targetILNS1_3genE3ELNS1_11target_archE908ELNS1_3gpuE7ELNS1_3repE0EEENS1_30default_config_static_selectorELNS0_4arch9wavefront6targetE0EEEvSY_
                                        ; -- End function
	.set _ZN7rocprim17ROCPRIM_400000_NS6detail17trampoline_kernelINS0_13select_configILj256ELj13ELNS0_17block_load_methodE3ELS4_3ELS4_3ELNS0_20block_scan_algorithmE0ELj4294967295EEENS1_25partition_config_selectorILNS1_17partition_subalgoE3EjNS0_10empty_typeEbEEZZNS1_14partition_implILS8_3ELb0ES6_jNS0_17counting_iteratorIjlEEPS9_SE_NS0_5tupleIJPjSE_EEENSF_IJSE_SE_EEES9_SG_JZNS1_25segmented_radix_sort_implINS0_14default_configELb1EPKiPiPKlPlN2at6native12_GLOBAL__N_18offset_tEEE10hipError_tPvRmT1_PNSt15iterator_traitsISY_E10value_typeET2_T3_PNSZ_IS14_E10value_typeET4_jRbjT5_S1A_jjP12ihipStream_tbEUljE_EEESV_SW_SX_S14_S18_S1A_T6_T7_T9_mT8_S1C_bDpT10_ENKUlT_T0_E_clISt17integral_constantIbLb0EES1O_IbLb1EEEEDaS1K_S1L_EUlS1K_E_NS1_11comp_targetILNS1_3genE3ELNS1_11target_archE908ELNS1_3gpuE7ELNS1_3repE0EEENS1_30default_config_static_selectorELNS0_4arch9wavefront6targetE0EEEvSY_.num_vgpr, 0
	.set _ZN7rocprim17ROCPRIM_400000_NS6detail17trampoline_kernelINS0_13select_configILj256ELj13ELNS0_17block_load_methodE3ELS4_3ELS4_3ELNS0_20block_scan_algorithmE0ELj4294967295EEENS1_25partition_config_selectorILNS1_17partition_subalgoE3EjNS0_10empty_typeEbEEZZNS1_14partition_implILS8_3ELb0ES6_jNS0_17counting_iteratorIjlEEPS9_SE_NS0_5tupleIJPjSE_EEENSF_IJSE_SE_EEES9_SG_JZNS1_25segmented_radix_sort_implINS0_14default_configELb1EPKiPiPKlPlN2at6native12_GLOBAL__N_18offset_tEEE10hipError_tPvRmT1_PNSt15iterator_traitsISY_E10value_typeET2_T3_PNSZ_IS14_E10value_typeET4_jRbjT5_S1A_jjP12ihipStream_tbEUljE_EEESV_SW_SX_S14_S18_S1A_T6_T7_T9_mT8_S1C_bDpT10_ENKUlT_T0_E_clISt17integral_constantIbLb0EES1O_IbLb1EEEEDaS1K_S1L_EUlS1K_E_NS1_11comp_targetILNS1_3genE3ELNS1_11target_archE908ELNS1_3gpuE7ELNS1_3repE0EEENS1_30default_config_static_selectorELNS0_4arch9wavefront6targetE0EEEvSY_.num_agpr, 0
	.set _ZN7rocprim17ROCPRIM_400000_NS6detail17trampoline_kernelINS0_13select_configILj256ELj13ELNS0_17block_load_methodE3ELS4_3ELS4_3ELNS0_20block_scan_algorithmE0ELj4294967295EEENS1_25partition_config_selectorILNS1_17partition_subalgoE3EjNS0_10empty_typeEbEEZZNS1_14partition_implILS8_3ELb0ES6_jNS0_17counting_iteratorIjlEEPS9_SE_NS0_5tupleIJPjSE_EEENSF_IJSE_SE_EEES9_SG_JZNS1_25segmented_radix_sort_implINS0_14default_configELb1EPKiPiPKlPlN2at6native12_GLOBAL__N_18offset_tEEE10hipError_tPvRmT1_PNSt15iterator_traitsISY_E10value_typeET2_T3_PNSZ_IS14_E10value_typeET4_jRbjT5_S1A_jjP12ihipStream_tbEUljE_EEESV_SW_SX_S14_S18_S1A_T6_T7_T9_mT8_S1C_bDpT10_ENKUlT_T0_E_clISt17integral_constantIbLb0EES1O_IbLb1EEEEDaS1K_S1L_EUlS1K_E_NS1_11comp_targetILNS1_3genE3ELNS1_11target_archE908ELNS1_3gpuE7ELNS1_3repE0EEENS1_30default_config_static_selectorELNS0_4arch9wavefront6targetE0EEEvSY_.numbered_sgpr, 0
	.set _ZN7rocprim17ROCPRIM_400000_NS6detail17trampoline_kernelINS0_13select_configILj256ELj13ELNS0_17block_load_methodE3ELS4_3ELS4_3ELNS0_20block_scan_algorithmE0ELj4294967295EEENS1_25partition_config_selectorILNS1_17partition_subalgoE3EjNS0_10empty_typeEbEEZZNS1_14partition_implILS8_3ELb0ES6_jNS0_17counting_iteratorIjlEEPS9_SE_NS0_5tupleIJPjSE_EEENSF_IJSE_SE_EEES9_SG_JZNS1_25segmented_radix_sort_implINS0_14default_configELb1EPKiPiPKlPlN2at6native12_GLOBAL__N_18offset_tEEE10hipError_tPvRmT1_PNSt15iterator_traitsISY_E10value_typeET2_T3_PNSZ_IS14_E10value_typeET4_jRbjT5_S1A_jjP12ihipStream_tbEUljE_EEESV_SW_SX_S14_S18_S1A_T6_T7_T9_mT8_S1C_bDpT10_ENKUlT_T0_E_clISt17integral_constantIbLb0EES1O_IbLb1EEEEDaS1K_S1L_EUlS1K_E_NS1_11comp_targetILNS1_3genE3ELNS1_11target_archE908ELNS1_3gpuE7ELNS1_3repE0EEENS1_30default_config_static_selectorELNS0_4arch9wavefront6targetE0EEEvSY_.num_named_barrier, 0
	.set _ZN7rocprim17ROCPRIM_400000_NS6detail17trampoline_kernelINS0_13select_configILj256ELj13ELNS0_17block_load_methodE3ELS4_3ELS4_3ELNS0_20block_scan_algorithmE0ELj4294967295EEENS1_25partition_config_selectorILNS1_17partition_subalgoE3EjNS0_10empty_typeEbEEZZNS1_14partition_implILS8_3ELb0ES6_jNS0_17counting_iteratorIjlEEPS9_SE_NS0_5tupleIJPjSE_EEENSF_IJSE_SE_EEES9_SG_JZNS1_25segmented_radix_sort_implINS0_14default_configELb1EPKiPiPKlPlN2at6native12_GLOBAL__N_18offset_tEEE10hipError_tPvRmT1_PNSt15iterator_traitsISY_E10value_typeET2_T3_PNSZ_IS14_E10value_typeET4_jRbjT5_S1A_jjP12ihipStream_tbEUljE_EEESV_SW_SX_S14_S18_S1A_T6_T7_T9_mT8_S1C_bDpT10_ENKUlT_T0_E_clISt17integral_constantIbLb0EES1O_IbLb1EEEEDaS1K_S1L_EUlS1K_E_NS1_11comp_targetILNS1_3genE3ELNS1_11target_archE908ELNS1_3gpuE7ELNS1_3repE0EEENS1_30default_config_static_selectorELNS0_4arch9wavefront6targetE0EEEvSY_.private_seg_size, 0
	.set _ZN7rocprim17ROCPRIM_400000_NS6detail17trampoline_kernelINS0_13select_configILj256ELj13ELNS0_17block_load_methodE3ELS4_3ELS4_3ELNS0_20block_scan_algorithmE0ELj4294967295EEENS1_25partition_config_selectorILNS1_17partition_subalgoE3EjNS0_10empty_typeEbEEZZNS1_14partition_implILS8_3ELb0ES6_jNS0_17counting_iteratorIjlEEPS9_SE_NS0_5tupleIJPjSE_EEENSF_IJSE_SE_EEES9_SG_JZNS1_25segmented_radix_sort_implINS0_14default_configELb1EPKiPiPKlPlN2at6native12_GLOBAL__N_18offset_tEEE10hipError_tPvRmT1_PNSt15iterator_traitsISY_E10value_typeET2_T3_PNSZ_IS14_E10value_typeET4_jRbjT5_S1A_jjP12ihipStream_tbEUljE_EEESV_SW_SX_S14_S18_S1A_T6_T7_T9_mT8_S1C_bDpT10_ENKUlT_T0_E_clISt17integral_constantIbLb0EES1O_IbLb1EEEEDaS1K_S1L_EUlS1K_E_NS1_11comp_targetILNS1_3genE3ELNS1_11target_archE908ELNS1_3gpuE7ELNS1_3repE0EEENS1_30default_config_static_selectorELNS0_4arch9wavefront6targetE0EEEvSY_.uses_vcc, 0
	.set _ZN7rocprim17ROCPRIM_400000_NS6detail17trampoline_kernelINS0_13select_configILj256ELj13ELNS0_17block_load_methodE3ELS4_3ELS4_3ELNS0_20block_scan_algorithmE0ELj4294967295EEENS1_25partition_config_selectorILNS1_17partition_subalgoE3EjNS0_10empty_typeEbEEZZNS1_14partition_implILS8_3ELb0ES6_jNS0_17counting_iteratorIjlEEPS9_SE_NS0_5tupleIJPjSE_EEENSF_IJSE_SE_EEES9_SG_JZNS1_25segmented_radix_sort_implINS0_14default_configELb1EPKiPiPKlPlN2at6native12_GLOBAL__N_18offset_tEEE10hipError_tPvRmT1_PNSt15iterator_traitsISY_E10value_typeET2_T3_PNSZ_IS14_E10value_typeET4_jRbjT5_S1A_jjP12ihipStream_tbEUljE_EEESV_SW_SX_S14_S18_S1A_T6_T7_T9_mT8_S1C_bDpT10_ENKUlT_T0_E_clISt17integral_constantIbLb0EES1O_IbLb1EEEEDaS1K_S1L_EUlS1K_E_NS1_11comp_targetILNS1_3genE3ELNS1_11target_archE908ELNS1_3gpuE7ELNS1_3repE0EEENS1_30default_config_static_selectorELNS0_4arch9wavefront6targetE0EEEvSY_.uses_flat_scratch, 0
	.set _ZN7rocprim17ROCPRIM_400000_NS6detail17trampoline_kernelINS0_13select_configILj256ELj13ELNS0_17block_load_methodE3ELS4_3ELS4_3ELNS0_20block_scan_algorithmE0ELj4294967295EEENS1_25partition_config_selectorILNS1_17partition_subalgoE3EjNS0_10empty_typeEbEEZZNS1_14partition_implILS8_3ELb0ES6_jNS0_17counting_iteratorIjlEEPS9_SE_NS0_5tupleIJPjSE_EEENSF_IJSE_SE_EEES9_SG_JZNS1_25segmented_radix_sort_implINS0_14default_configELb1EPKiPiPKlPlN2at6native12_GLOBAL__N_18offset_tEEE10hipError_tPvRmT1_PNSt15iterator_traitsISY_E10value_typeET2_T3_PNSZ_IS14_E10value_typeET4_jRbjT5_S1A_jjP12ihipStream_tbEUljE_EEESV_SW_SX_S14_S18_S1A_T6_T7_T9_mT8_S1C_bDpT10_ENKUlT_T0_E_clISt17integral_constantIbLb0EES1O_IbLb1EEEEDaS1K_S1L_EUlS1K_E_NS1_11comp_targetILNS1_3genE3ELNS1_11target_archE908ELNS1_3gpuE7ELNS1_3repE0EEENS1_30default_config_static_selectorELNS0_4arch9wavefront6targetE0EEEvSY_.has_dyn_sized_stack, 0
	.set _ZN7rocprim17ROCPRIM_400000_NS6detail17trampoline_kernelINS0_13select_configILj256ELj13ELNS0_17block_load_methodE3ELS4_3ELS4_3ELNS0_20block_scan_algorithmE0ELj4294967295EEENS1_25partition_config_selectorILNS1_17partition_subalgoE3EjNS0_10empty_typeEbEEZZNS1_14partition_implILS8_3ELb0ES6_jNS0_17counting_iteratorIjlEEPS9_SE_NS0_5tupleIJPjSE_EEENSF_IJSE_SE_EEES9_SG_JZNS1_25segmented_radix_sort_implINS0_14default_configELb1EPKiPiPKlPlN2at6native12_GLOBAL__N_18offset_tEEE10hipError_tPvRmT1_PNSt15iterator_traitsISY_E10value_typeET2_T3_PNSZ_IS14_E10value_typeET4_jRbjT5_S1A_jjP12ihipStream_tbEUljE_EEESV_SW_SX_S14_S18_S1A_T6_T7_T9_mT8_S1C_bDpT10_ENKUlT_T0_E_clISt17integral_constantIbLb0EES1O_IbLb1EEEEDaS1K_S1L_EUlS1K_E_NS1_11comp_targetILNS1_3genE3ELNS1_11target_archE908ELNS1_3gpuE7ELNS1_3repE0EEENS1_30default_config_static_selectorELNS0_4arch9wavefront6targetE0EEEvSY_.has_recursion, 0
	.set _ZN7rocprim17ROCPRIM_400000_NS6detail17trampoline_kernelINS0_13select_configILj256ELj13ELNS0_17block_load_methodE3ELS4_3ELS4_3ELNS0_20block_scan_algorithmE0ELj4294967295EEENS1_25partition_config_selectorILNS1_17partition_subalgoE3EjNS0_10empty_typeEbEEZZNS1_14partition_implILS8_3ELb0ES6_jNS0_17counting_iteratorIjlEEPS9_SE_NS0_5tupleIJPjSE_EEENSF_IJSE_SE_EEES9_SG_JZNS1_25segmented_radix_sort_implINS0_14default_configELb1EPKiPiPKlPlN2at6native12_GLOBAL__N_18offset_tEEE10hipError_tPvRmT1_PNSt15iterator_traitsISY_E10value_typeET2_T3_PNSZ_IS14_E10value_typeET4_jRbjT5_S1A_jjP12ihipStream_tbEUljE_EEESV_SW_SX_S14_S18_S1A_T6_T7_T9_mT8_S1C_bDpT10_ENKUlT_T0_E_clISt17integral_constantIbLb0EES1O_IbLb1EEEEDaS1K_S1L_EUlS1K_E_NS1_11comp_targetILNS1_3genE3ELNS1_11target_archE908ELNS1_3gpuE7ELNS1_3repE0EEENS1_30default_config_static_selectorELNS0_4arch9wavefront6targetE0EEEvSY_.has_indirect_call, 0
	.section	.AMDGPU.csdata,"",@progbits
; Kernel info:
; codeLenInByte = 0
; TotalNumSgprs: 0
; NumVgprs: 0
; ScratchSize: 0
; MemoryBound: 0
; FloatMode: 240
; IeeeMode: 1
; LDSByteSize: 0 bytes/workgroup (compile time only)
; SGPRBlocks: 0
; VGPRBlocks: 0
; NumSGPRsForWavesPerEU: 1
; NumVGPRsForWavesPerEU: 1
; NamedBarCnt: 0
; Occupancy: 16
; WaveLimiterHint : 0
; COMPUTE_PGM_RSRC2:SCRATCH_EN: 0
; COMPUTE_PGM_RSRC2:USER_SGPR: 2
; COMPUTE_PGM_RSRC2:TRAP_HANDLER: 0
; COMPUTE_PGM_RSRC2:TGID_X_EN: 1
; COMPUTE_PGM_RSRC2:TGID_Y_EN: 0
; COMPUTE_PGM_RSRC2:TGID_Z_EN: 0
; COMPUTE_PGM_RSRC2:TIDIG_COMP_CNT: 0
	.section	.text._ZN7rocprim17ROCPRIM_400000_NS6detail17trampoline_kernelINS0_13select_configILj256ELj13ELNS0_17block_load_methodE3ELS4_3ELS4_3ELNS0_20block_scan_algorithmE0ELj4294967295EEENS1_25partition_config_selectorILNS1_17partition_subalgoE3EjNS0_10empty_typeEbEEZZNS1_14partition_implILS8_3ELb0ES6_jNS0_17counting_iteratorIjlEEPS9_SE_NS0_5tupleIJPjSE_EEENSF_IJSE_SE_EEES9_SG_JZNS1_25segmented_radix_sort_implINS0_14default_configELb1EPKiPiPKlPlN2at6native12_GLOBAL__N_18offset_tEEE10hipError_tPvRmT1_PNSt15iterator_traitsISY_E10value_typeET2_T3_PNSZ_IS14_E10value_typeET4_jRbjT5_S1A_jjP12ihipStream_tbEUljE_EEESV_SW_SX_S14_S18_S1A_T6_T7_T9_mT8_S1C_bDpT10_ENKUlT_T0_E_clISt17integral_constantIbLb0EES1O_IbLb1EEEEDaS1K_S1L_EUlS1K_E_NS1_11comp_targetILNS1_3genE2ELNS1_11target_archE906ELNS1_3gpuE6ELNS1_3repE0EEENS1_30default_config_static_selectorELNS0_4arch9wavefront6targetE0EEEvSY_,"axG",@progbits,_ZN7rocprim17ROCPRIM_400000_NS6detail17trampoline_kernelINS0_13select_configILj256ELj13ELNS0_17block_load_methodE3ELS4_3ELS4_3ELNS0_20block_scan_algorithmE0ELj4294967295EEENS1_25partition_config_selectorILNS1_17partition_subalgoE3EjNS0_10empty_typeEbEEZZNS1_14partition_implILS8_3ELb0ES6_jNS0_17counting_iteratorIjlEEPS9_SE_NS0_5tupleIJPjSE_EEENSF_IJSE_SE_EEES9_SG_JZNS1_25segmented_radix_sort_implINS0_14default_configELb1EPKiPiPKlPlN2at6native12_GLOBAL__N_18offset_tEEE10hipError_tPvRmT1_PNSt15iterator_traitsISY_E10value_typeET2_T3_PNSZ_IS14_E10value_typeET4_jRbjT5_S1A_jjP12ihipStream_tbEUljE_EEESV_SW_SX_S14_S18_S1A_T6_T7_T9_mT8_S1C_bDpT10_ENKUlT_T0_E_clISt17integral_constantIbLb0EES1O_IbLb1EEEEDaS1K_S1L_EUlS1K_E_NS1_11comp_targetILNS1_3genE2ELNS1_11target_archE906ELNS1_3gpuE6ELNS1_3repE0EEENS1_30default_config_static_selectorELNS0_4arch9wavefront6targetE0EEEvSY_,comdat
	.globl	_ZN7rocprim17ROCPRIM_400000_NS6detail17trampoline_kernelINS0_13select_configILj256ELj13ELNS0_17block_load_methodE3ELS4_3ELS4_3ELNS0_20block_scan_algorithmE0ELj4294967295EEENS1_25partition_config_selectorILNS1_17partition_subalgoE3EjNS0_10empty_typeEbEEZZNS1_14partition_implILS8_3ELb0ES6_jNS0_17counting_iteratorIjlEEPS9_SE_NS0_5tupleIJPjSE_EEENSF_IJSE_SE_EEES9_SG_JZNS1_25segmented_radix_sort_implINS0_14default_configELb1EPKiPiPKlPlN2at6native12_GLOBAL__N_18offset_tEEE10hipError_tPvRmT1_PNSt15iterator_traitsISY_E10value_typeET2_T3_PNSZ_IS14_E10value_typeET4_jRbjT5_S1A_jjP12ihipStream_tbEUljE_EEESV_SW_SX_S14_S18_S1A_T6_T7_T9_mT8_S1C_bDpT10_ENKUlT_T0_E_clISt17integral_constantIbLb0EES1O_IbLb1EEEEDaS1K_S1L_EUlS1K_E_NS1_11comp_targetILNS1_3genE2ELNS1_11target_archE906ELNS1_3gpuE6ELNS1_3repE0EEENS1_30default_config_static_selectorELNS0_4arch9wavefront6targetE0EEEvSY_ ; -- Begin function _ZN7rocprim17ROCPRIM_400000_NS6detail17trampoline_kernelINS0_13select_configILj256ELj13ELNS0_17block_load_methodE3ELS4_3ELS4_3ELNS0_20block_scan_algorithmE0ELj4294967295EEENS1_25partition_config_selectorILNS1_17partition_subalgoE3EjNS0_10empty_typeEbEEZZNS1_14partition_implILS8_3ELb0ES6_jNS0_17counting_iteratorIjlEEPS9_SE_NS0_5tupleIJPjSE_EEENSF_IJSE_SE_EEES9_SG_JZNS1_25segmented_radix_sort_implINS0_14default_configELb1EPKiPiPKlPlN2at6native12_GLOBAL__N_18offset_tEEE10hipError_tPvRmT1_PNSt15iterator_traitsISY_E10value_typeET2_T3_PNSZ_IS14_E10value_typeET4_jRbjT5_S1A_jjP12ihipStream_tbEUljE_EEESV_SW_SX_S14_S18_S1A_T6_T7_T9_mT8_S1C_bDpT10_ENKUlT_T0_E_clISt17integral_constantIbLb0EES1O_IbLb1EEEEDaS1K_S1L_EUlS1K_E_NS1_11comp_targetILNS1_3genE2ELNS1_11target_archE906ELNS1_3gpuE6ELNS1_3repE0EEENS1_30default_config_static_selectorELNS0_4arch9wavefront6targetE0EEEvSY_
	.p2align	8
	.type	_ZN7rocprim17ROCPRIM_400000_NS6detail17trampoline_kernelINS0_13select_configILj256ELj13ELNS0_17block_load_methodE3ELS4_3ELS4_3ELNS0_20block_scan_algorithmE0ELj4294967295EEENS1_25partition_config_selectorILNS1_17partition_subalgoE3EjNS0_10empty_typeEbEEZZNS1_14partition_implILS8_3ELb0ES6_jNS0_17counting_iteratorIjlEEPS9_SE_NS0_5tupleIJPjSE_EEENSF_IJSE_SE_EEES9_SG_JZNS1_25segmented_radix_sort_implINS0_14default_configELb1EPKiPiPKlPlN2at6native12_GLOBAL__N_18offset_tEEE10hipError_tPvRmT1_PNSt15iterator_traitsISY_E10value_typeET2_T3_PNSZ_IS14_E10value_typeET4_jRbjT5_S1A_jjP12ihipStream_tbEUljE_EEESV_SW_SX_S14_S18_S1A_T6_T7_T9_mT8_S1C_bDpT10_ENKUlT_T0_E_clISt17integral_constantIbLb0EES1O_IbLb1EEEEDaS1K_S1L_EUlS1K_E_NS1_11comp_targetILNS1_3genE2ELNS1_11target_archE906ELNS1_3gpuE6ELNS1_3repE0EEENS1_30default_config_static_selectorELNS0_4arch9wavefront6targetE0EEEvSY_,@function
_ZN7rocprim17ROCPRIM_400000_NS6detail17trampoline_kernelINS0_13select_configILj256ELj13ELNS0_17block_load_methodE3ELS4_3ELS4_3ELNS0_20block_scan_algorithmE0ELj4294967295EEENS1_25partition_config_selectorILNS1_17partition_subalgoE3EjNS0_10empty_typeEbEEZZNS1_14partition_implILS8_3ELb0ES6_jNS0_17counting_iteratorIjlEEPS9_SE_NS0_5tupleIJPjSE_EEENSF_IJSE_SE_EEES9_SG_JZNS1_25segmented_radix_sort_implINS0_14default_configELb1EPKiPiPKlPlN2at6native12_GLOBAL__N_18offset_tEEE10hipError_tPvRmT1_PNSt15iterator_traitsISY_E10value_typeET2_T3_PNSZ_IS14_E10value_typeET4_jRbjT5_S1A_jjP12ihipStream_tbEUljE_EEESV_SW_SX_S14_S18_S1A_T6_T7_T9_mT8_S1C_bDpT10_ENKUlT_T0_E_clISt17integral_constantIbLb0EES1O_IbLb1EEEEDaS1K_S1L_EUlS1K_E_NS1_11comp_targetILNS1_3genE2ELNS1_11target_archE906ELNS1_3gpuE6ELNS1_3repE0EEENS1_30default_config_static_selectorELNS0_4arch9wavefront6targetE0EEEvSY_: ; @_ZN7rocprim17ROCPRIM_400000_NS6detail17trampoline_kernelINS0_13select_configILj256ELj13ELNS0_17block_load_methodE3ELS4_3ELS4_3ELNS0_20block_scan_algorithmE0ELj4294967295EEENS1_25partition_config_selectorILNS1_17partition_subalgoE3EjNS0_10empty_typeEbEEZZNS1_14partition_implILS8_3ELb0ES6_jNS0_17counting_iteratorIjlEEPS9_SE_NS0_5tupleIJPjSE_EEENSF_IJSE_SE_EEES9_SG_JZNS1_25segmented_radix_sort_implINS0_14default_configELb1EPKiPiPKlPlN2at6native12_GLOBAL__N_18offset_tEEE10hipError_tPvRmT1_PNSt15iterator_traitsISY_E10value_typeET2_T3_PNSZ_IS14_E10value_typeET4_jRbjT5_S1A_jjP12ihipStream_tbEUljE_EEESV_SW_SX_S14_S18_S1A_T6_T7_T9_mT8_S1C_bDpT10_ENKUlT_T0_E_clISt17integral_constantIbLb0EES1O_IbLb1EEEEDaS1K_S1L_EUlS1K_E_NS1_11comp_targetILNS1_3genE2ELNS1_11target_archE906ELNS1_3gpuE6ELNS1_3repE0EEENS1_30default_config_static_selectorELNS0_4arch9wavefront6targetE0EEEvSY_
; %bb.0:
	.section	.rodata,"a",@progbits
	.p2align	6, 0x0
	.amdhsa_kernel _ZN7rocprim17ROCPRIM_400000_NS6detail17trampoline_kernelINS0_13select_configILj256ELj13ELNS0_17block_load_methodE3ELS4_3ELS4_3ELNS0_20block_scan_algorithmE0ELj4294967295EEENS1_25partition_config_selectorILNS1_17partition_subalgoE3EjNS0_10empty_typeEbEEZZNS1_14partition_implILS8_3ELb0ES6_jNS0_17counting_iteratorIjlEEPS9_SE_NS0_5tupleIJPjSE_EEENSF_IJSE_SE_EEES9_SG_JZNS1_25segmented_radix_sort_implINS0_14default_configELb1EPKiPiPKlPlN2at6native12_GLOBAL__N_18offset_tEEE10hipError_tPvRmT1_PNSt15iterator_traitsISY_E10value_typeET2_T3_PNSZ_IS14_E10value_typeET4_jRbjT5_S1A_jjP12ihipStream_tbEUljE_EEESV_SW_SX_S14_S18_S1A_T6_T7_T9_mT8_S1C_bDpT10_ENKUlT_T0_E_clISt17integral_constantIbLb0EES1O_IbLb1EEEEDaS1K_S1L_EUlS1K_E_NS1_11comp_targetILNS1_3genE2ELNS1_11target_archE906ELNS1_3gpuE6ELNS1_3repE0EEENS1_30default_config_static_selectorELNS0_4arch9wavefront6targetE0EEEvSY_
		.amdhsa_group_segment_fixed_size 0
		.amdhsa_private_segment_fixed_size 0
		.amdhsa_kernarg_size 152
		.amdhsa_user_sgpr_count 2
		.amdhsa_user_sgpr_dispatch_ptr 0
		.amdhsa_user_sgpr_queue_ptr 0
		.amdhsa_user_sgpr_kernarg_segment_ptr 1
		.amdhsa_user_sgpr_dispatch_id 0
		.amdhsa_user_sgpr_kernarg_preload_length 0
		.amdhsa_user_sgpr_kernarg_preload_offset 0
		.amdhsa_user_sgpr_private_segment_size 0
		.amdhsa_wavefront_size32 1
		.amdhsa_uses_dynamic_stack 0
		.amdhsa_enable_private_segment 0
		.amdhsa_system_sgpr_workgroup_id_x 1
		.amdhsa_system_sgpr_workgroup_id_y 0
		.amdhsa_system_sgpr_workgroup_id_z 0
		.amdhsa_system_sgpr_workgroup_info 0
		.amdhsa_system_vgpr_workitem_id 0
		.amdhsa_next_free_vgpr 1
		.amdhsa_next_free_sgpr 1
		.amdhsa_named_barrier_count 0
		.amdhsa_reserve_vcc 0
		.amdhsa_float_round_mode_32 0
		.amdhsa_float_round_mode_16_64 0
		.amdhsa_float_denorm_mode_32 3
		.amdhsa_float_denorm_mode_16_64 3
		.amdhsa_fp16_overflow 0
		.amdhsa_memory_ordered 1
		.amdhsa_forward_progress 1
		.amdhsa_inst_pref_size 0
		.amdhsa_round_robin_scheduling 0
		.amdhsa_exception_fp_ieee_invalid_op 0
		.amdhsa_exception_fp_denorm_src 0
		.amdhsa_exception_fp_ieee_div_zero 0
		.amdhsa_exception_fp_ieee_overflow 0
		.amdhsa_exception_fp_ieee_underflow 0
		.amdhsa_exception_fp_ieee_inexact 0
		.amdhsa_exception_int_div_zero 0
	.end_amdhsa_kernel
	.section	.text._ZN7rocprim17ROCPRIM_400000_NS6detail17trampoline_kernelINS0_13select_configILj256ELj13ELNS0_17block_load_methodE3ELS4_3ELS4_3ELNS0_20block_scan_algorithmE0ELj4294967295EEENS1_25partition_config_selectorILNS1_17partition_subalgoE3EjNS0_10empty_typeEbEEZZNS1_14partition_implILS8_3ELb0ES6_jNS0_17counting_iteratorIjlEEPS9_SE_NS0_5tupleIJPjSE_EEENSF_IJSE_SE_EEES9_SG_JZNS1_25segmented_radix_sort_implINS0_14default_configELb1EPKiPiPKlPlN2at6native12_GLOBAL__N_18offset_tEEE10hipError_tPvRmT1_PNSt15iterator_traitsISY_E10value_typeET2_T3_PNSZ_IS14_E10value_typeET4_jRbjT5_S1A_jjP12ihipStream_tbEUljE_EEESV_SW_SX_S14_S18_S1A_T6_T7_T9_mT8_S1C_bDpT10_ENKUlT_T0_E_clISt17integral_constantIbLb0EES1O_IbLb1EEEEDaS1K_S1L_EUlS1K_E_NS1_11comp_targetILNS1_3genE2ELNS1_11target_archE906ELNS1_3gpuE6ELNS1_3repE0EEENS1_30default_config_static_selectorELNS0_4arch9wavefront6targetE0EEEvSY_,"axG",@progbits,_ZN7rocprim17ROCPRIM_400000_NS6detail17trampoline_kernelINS0_13select_configILj256ELj13ELNS0_17block_load_methodE3ELS4_3ELS4_3ELNS0_20block_scan_algorithmE0ELj4294967295EEENS1_25partition_config_selectorILNS1_17partition_subalgoE3EjNS0_10empty_typeEbEEZZNS1_14partition_implILS8_3ELb0ES6_jNS0_17counting_iteratorIjlEEPS9_SE_NS0_5tupleIJPjSE_EEENSF_IJSE_SE_EEES9_SG_JZNS1_25segmented_radix_sort_implINS0_14default_configELb1EPKiPiPKlPlN2at6native12_GLOBAL__N_18offset_tEEE10hipError_tPvRmT1_PNSt15iterator_traitsISY_E10value_typeET2_T3_PNSZ_IS14_E10value_typeET4_jRbjT5_S1A_jjP12ihipStream_tbEUljE_EEESV_SW_SX_S14_S18_S1A_T6_T7_T9_mT8_S1C_bDpT10_ENKUlT_T0_E_clISt17integral_constantIbLb0EES1O_IbLb1EEEEDaS1K_S1L_EUlS1K_E_NS1_11comp_targetILNS1_3genE2ELNS1_11target_archE906ELNS1_3gpuE6ELNS1_3repE0EEENS1_30default_config_static_selectorELNS0_4arch9wavefront6targetE0EEEvSY_,comdat
.Lfunc_end489:
	.size	_ZN7rocprim17ROCPRIM_400000_NS6detail17trampoline_kernelINS0_13select_configILj256ELj13ELNS0_17block_load_methodE3ELS4_3ELS4_3ELNS0_20block_scan_algorithmE0ELj4294967295EEENS1_25partition_config_selectorILNS1_17partition_subalgoE3EjNS0_10empty_typeEbEEZZNS1_14partition_implILS8_3ELb0ES6_jNS0_17counting_iteratorIjlEEPS9_SE_NS0_5tupleIJPjSE_EEENSF_IJSE_SE_EEES9_SG_JZNS1_25segmented_radix_sort_implINS0_14default_configELb1EPKiPiPKlPlN2at6native12_GLOBAL__N_18offset_tEEE10hipError_tPvRmT1_PNSt15iterator_traitsISY_E10value_typeET2_T3_PNSZ_IS14_E10value_typeET4_jRbjT5_S1A_jjP12ihipStream_tbEUljE_EEESV_SW_SX_S14_S18_S1A_T6_T7_T9_mT8_S1C_bDpT10_ENKUlT_T0_E_clISt17integral_constantIbLb0EES1O_IbLb1EEEEDaS1K_S1L_EUlS1K_E_NS1_11comp_targetILNS1_3genE2ELNS1_11target_archE906ELNS1_3gpuE6ELNS1_3repE0EEENS1_30default_config_static_selectorELNS0_4arch9wavefront6targetE0EEEvSY_, .Lfunc_end489-_ZN7rocprim17ROCPRIM_400000_NS6detail17trampoline_kernelINS0_13select_configILj256ELj13ELNS0_17block_load_methodE3ELS4_3ELS4_3ELNS0_20block_scan_algorithmE0ELj4294967295EEENS1_25partition_config_selectorILNS1_17partition_subalgoE3EjNS0_10empty_typeEbEEZZNS1_14partition_implILS8_3ELb0ES6_jNS0_17counting_iteratorIjlEEPS9_SE_NS0_5tupleIJPjSE_EEENSF_IJSE_SE_EEES9_SG_JZNS1_25segmented_radix_sort_implINS0_14default_configELb1EPKiPiPKlPlN2at6native12_GLOBAL__N_18offset_tEEE10hipError_tPvRmT1_PNSt15iterator_traitsISY_E10value_typeET2_T3_PNSZ_IS14_E10value_typeET4_jRbjT5_S1A_jjP12ihipStream_tbEUljE_EEESV_SW_SX_S14_S18_S1A_T6_T7_T9_mT8_S1C_bDpT10_ENKUlT_T0_E_clISt17integral_constantIbLb0EES1O_IbLb1EEEEDaS1K_S1L_EUlS1K_E_NS1_11comp_targetILNS1_3genE2ELNS1_11target_archE906ELNS1_3gpuE6ELNS1_3repE0EEENS1_30default_config_static_selectorELNS0_4arch9wavefront6targetE0EEEvSY_
                                        ; -- End function
	.set _ZN7rocprim17ROCPRIM_400000_NS6detail17trampoline_kernelINS0_13select_configILj256ELj13ELNS0_17block_load_methodE3ELS4_3ELS4_3ELNS0_20block_scan_algorithmE0ELj4294967295EEENS1_25partition_config_selectorILNS1_17partition_subalgoE3EjNS0_10empty_typeEbEEZZNS1_14partition_implILS8_3ELb0ES6_jNS0_17counting_iteratorIjlEEPS9_SE_NS0_5tupleIJPjSE_EEENSF_IJSE_SE_EEES9_SG_JZNS1_25segmented_radix_sort_implINS0_14default_configELb1EPKiPiPKlPlN2at6native12_GLOBAL__N_18offset_tEEE10hipError_tPvRmT1_PNSt15iterator_traitsISY_E10value_typeET2_T3_PNSZ_IS14_E10value_typeET4_jRbjT5_S1A_jjP12ihipStream_tbEUljE_EEESV_SW_SX_S14_S18_S1A_T6_T7_T9_mT8_S1C_bDpT10_ENKUlT_T0_E_clISt17integral_constantIbLb0EES1O_IbLb1EEEEDaS1K_S1L_EUlS1K_E_NS1_11comp_targetILNS1_3genE2ELNS1_11target_archE906ELNS1_3gpuE6ELNS1_3repE0EEENS1_30default_config_static_selectorELNS0_4arch9wavefront6targetE0EEEvSY_.num_vgpr, 0
	.set _ZN7rocprim17ROCPRIM_400000_NS6detail17trampoline_kernelINS0_13select_configILj256ELj13ELNS0_17block_load_methodE3ELS4_3ELS4_3ELNS0_20block_scan_algorithmE0ELj4294967295EEENS1_25partition_config_selectorILNS1_17partition_subalgoE3EjNS0_10empty_typeEbEEZZNS1_14partition_implILS8_3ELb0ES6_jNS0_17counting_iteratorIjlEEPS9_SE_NS0_5tupleIJPjSE_EEENSF_IJSE_SE_EEES9_SG_JZNS1_25segmented_radix_sort_implINS0_14default_configELb1EPKiPiPKlPlN2at6native12_GLOBAL__N_18offset_tEEE10hipError_tPvRmT1_PNSt15iterator_traitsISY_E10value_typeET2_T3_PNSZ_IS14_E10value_typeET4_jRbjT5_S1A_jjP12ihipStream_tbEUljE_EEESV_SW_SX_S14_S18_S1A_T6_T7_T9_mT8_S1C_bDpT10_ENKUlT_T0_E_clISt17integral_constantIbLb0EES1O_IbLb1EEEEDaS1K_S1L_EUlS1K_E_NS1_11comp_targetILNS1_3genE2ELNS1_11target_archE906ELNS1_3gpuE6ELNS1_3repE0EEENS1_30default_config_static_selectorELNS0_4arch9wavefront6targetE0EEEvSY_.num_agpr, 0
	.set _ZN7rocprim17ROCPRIM_400000_NS6detail17trampoline_kernelINS0_13select_configILj256ELj13ELNS0_17block_load_methodE3ELS4_3ELS4_3ELNS0_20block_scan_algorithmE0ELj4294967295EEENS1_25partition_config_selectorILNS1_17partition_subalgoE3EjNS0_10empty_typeEbEEZZNS1_14partition_implILS8_3ELb0ES6_jNS0_17counting_iteratorIjlEEPS9_SE_NS0_5tupleIJPjSE_EEENSF_IJSE_SE_EEES9_SG_JZNS1_25segmented_radix_sort_implINS0_14default_configELb1EPKiPiPKlPlN2at6native12_GLOBAL__N_18offset_tEEE10hipError_tPvRmT1_PNSt15iterator_traitsISY_E10value_typeET2_T3_PNSZ_IS14_E10value_typeET4_jRbjT5_S1A_jjP12ihipStream_tbEUljE_EEESV_SW_SX_S14_S18_S1A_T6_T7_T9_mT8_S1C_bDpT10_ENKUlT_T0_E_clISt17integral_constantIbLb0EES1O_IbLb1EEEEDaS1K_S1L_EUlS1K_E_NS1_11comp_targetILNS1_3genE2ELNS1_11target_archE906ELNS1_3gpuE6ELNS1_3repE0EEENS1_30default_config_static_selectorELNS0_4arch9wavefront6targetE0EEEvSY_.numbered_sgpr, 0
	.set _ZN7rocprim17ROCPRIM_400000_NS6detail17trampoline_kernelINS0_13select_configILj256ELj13ELNS0_17block_load_methodE3ELS4_3ELS4_3ELNS0_20block_scan_algorithmE0ELj4294967295EEENS1_25partition_config_selectorILNS1_17partition_subalgoE3EjNS0_10empty_typeEbEEZZNS1_14partition_implILS8_3ELb0ES6_jNS0_17counting_iteratorIjlEEPS9_SE_NS0_5tupleIJPjSE_EEENSF_IJSE_SE_EEES9_SG_JZNS1_25segmented_radix_sort_implINS0_14default_configELb1EPKiPiPKlPlN2at6native12_GLOBAL__N_18offset_tEEE10hipError_tPvRmT1_PNSt15iterator_traitsISY_E10value_typeET2_T3_PNSZ_IS14_E10value_typeET4_jRbjT5_S1A_jjP12ihipStream_tbEUljE_EEESV_SW_SX_S14_S18_S1A_T6_T7_T9_mT8_S1C_bDpT10_ENKUlT_T0_E_clISt17integral_constantIbLb0EES1O_IbLb1EEEEDaS1K_S1L_EUlS1K_E_NS1_11comp_targetILNS1_3genE2ELNS1_11target_archE906ELNS1_3gpuE6ELNS1_3repE0EEENS1_30default_config_static_selectorELNS0_4arch9wavefront6targetE0EEEvSY_.num_named_barrier, 0
	.set _ZN7rocprim17ROCPRIM_400000_NS6detail17trampoline_kernelINS0_13select_configILj256ELj13ELNS0_17block_load_methodE3ELS4_3ELS4_3ELNS0_20block_scan_algorithmE0ELj4294967295EEENS1_25partition_config_selectorILNS1_17partition_subalgoE3EjNS0_10empty_typeEbEEZZNS1_14partition_implILS8_3ELb0ES6_jNS0_17counting_iteratorIjlEEPS9_SE_NS0_5tupleIJPjSE_EEENSF_IJSE_SE_EEES9_SG_JZNS1_25segmented_radix_sort_implINS0_14default_configELb1EPKiPiPKlPlN2at6native12_GLOBAL__N_18offset_tEEE10hipError_tPvRmT1_PNSt15iterator_traitsISY_E10value_typeET2_T3_PNSZ_IS14_E10value_typeET4_jRbjT5_S1A_jjP12ihipStream_tbEUljE_EEESV_SW_SX_S14_S18_S1A_T6_T7_T9_mT8_S1C_bDpT10_ENKUlT_T0_E_clISt17integral_constantIbLb0EES1O_IbLb1EEEEDaS1K_S1L_EUlS1K_E_NS1_11comp_targetILNS1_3genE2ELNS1_11target_archE906ELNS1_3gpuE6ELNS1_3repE0EEENS1_30default_config_static_selectorELNS0_4arch9wavefront6targetE0EEEvSY_.private_seg_size, 0
	.set _ZN7rocprim17ROCPRIM_400000_NS6detail17trampoline_kernelINS0_13select_configILj256ELj13ELNS0_17block_load_methodE3ELS4_3ELS4_3ELNS0_20block_scan_algorithmE0ELj4294967295EEENS1_25partition_config_selectorILNS1_17partition_subalgoE3EjNS0_10empty_typeEbEEZZNS1_14partition_implILS8_3ELb0ES6_jNS0_17counting_iteratorIjlEEPS9_SE_NS0_5tupleIJPjSE_EEENSF_IJSE_SE_EEES9_SG_JZNS1_25segmented_radix_sort_implINS0_14default_configELb1EPKiPiPKlPlN2at6native12_GLOBAL__N_18offset_tEEE10hipError_tPvRmT1_PNSt15iterator_traitsISY_E10value_typeET2_T3_PNSZ_IS14_E10value_typeET4_jRbjT5_S1A_jjP12ihipStream_tbEUljE_EEESV_SW_SX_S14_S18_S1A_T6_T7_T9_mT8_S1C_bDpT10_ENKUlT_T0_E_clISt17integral_constantIbLb0EES1O_IbLb1EEEEDaS1K_S1L_EUlS1K_E_NS1_11comp_targetILNS1_3genE2ELNS1_11target_archE906ELNS1_3gpuE6ELNS1_3repE0EEENS1_30default_config_static_selectorELNS0_4arch9wavefront6targetE0EEEvSY_.uses_vcc, 0
	.set _ZN7rocprim17ROCPRIM_400000_NS6detail17trampoline_kernelINS0_13select_configILj256ELj13ELNS0_17block_load_methodE3ELS4_3ELS4_3ELNS0_20block_scan_algorithmE0ELj4294967295EEENS1_25partition_config_selectorILNS1_17partition_subalgoE3EjNS0_10empty_typeEbEEZZNS1_14partition_implILS8_3ELb0ES6_jNS0_17counting_iteratorIjlEEPS9_SE_NS0_5tupleIJPjSE_EEENSF_IJSE_SE_EEES9_SG_JZNS1_25segmented_radix_sort_implINS0_14default_configELb1EPKiPiPKlPlN2at6native12_GLOBAL__N_18offset_tEEE10hipError_tPvRmT1_PNSt15iterator_traitsISY_E10value_typeET2_T3_PNSZ_IS14_E10value_typeET4_jRbjT5_S1A_jjP12ihipStream_tbEUljE_EEESV_SW_SX_S14_S18_S1A_T6_T7_T9_mT8_S1C_bDpT10_ENKUlT_T0_E_clISt17integral_constantIbLb0EES1O_IbLb1EEEEDaS1K_S1L_EUlS1K_E_NS1_11comp_targetILNS1_3genE2ELNS1_11target_archE906ELNS1_3gpuE6ELNS1_3repE0EEENS1_30default_config_static_selectorELNS0_4arch9wavefront6targetE0EEEvSY_.uses_flat_scratch, 0
	.set _ZN7rocprim17ROCPRIM_400000_NS6detail17trampoline_kernelINS0_13select_configILj256ELj13ELNS0_17block_load_methodE3ELS4_3ELS4_3ELNS0_20block_scan_algorithmE0ELj4294967295EEENS1_25partition_config_selectorILNS1_17partition_subalgoE3EjNS0_10empty_typeEbEEZZNS1_14partition_implILS8_3ELb0ES6_jNS0_17counting_iteratorIjlEEPS9_SE_NS0_5tupleIJPjSE_EEENSF_IJSE_SE_EEES9_SG_JZNS1_25segmented_radix_sort_implINS0_14default_configELb1EPKiPiPKlPlN2at6native12_GLOBAL__N_18offset_tEEE10hipError_tPvRmT1_PNSt15iterator_traitsISY_E10value_typeET2_T3_PNSZ_IS14_E10value_typeET4_jRbjT5_S1A_jjP12ihipStream_tbEUljE_EEESV_SW_SX_S14_S18_S1A_T6_T7_T9_mT8_S1C_bDpT10_ENKUlT_T0_E_clISt17integral_constantIbLb0EES1O_IbLb1EEEEDaS1K_S1L_EUlS1K_E_NS1_11comp_targetILNS1_3genE2ELNS1_11target_archE906ELNS1_3gpuE6ELNS1_3repE0EEENS1_30default_config_static_selectorELNS0_4arch9wavefront6targetE0EEEvSY_.has_dyn_sized_stack, 0
	.set _ZN7rocprim17ROCPRIM_400000_NS6detail17trampoline_kernelINS0_13select_configILj256ELj13ELNS0_17block_load_methodE3ELS4_3ELS4_3ELNS0_20block_scan_algorithmE0ELj4294967295EEENS1_25partition_config_selectorILNS1_17partition_subalgoE3EjNS0_10empty_typeEbEEZZNS1_14partition_implILS8_3ELb0ES6_jNS0_17counting_iteratorIjlEEPS9_SE_NS0_5tupleIJPjSE_EEENSF_IJSE_SE_EEES9_SG_JZNS1_25segmented_radix_sort_implINS0_14default_configELb1EPKiPiPKlPlN2at6native12_GLOBAL__N_18offset_tEEE10hipError_tPvRmT1_PNSt15iterator_traitsISY_E10value_typeET2_T3_PNSZ_IS14_E10value_typeET4_jRbjT5_S1A_jjP12ihipStream_tbEUljE_EEESV_SW_SX_S14_S18_S1A_T6_T7_T9_mT8_S1C_bDpT10_ENKUlT_T0_E_clISt17integral_constantIbLb0EES1O_IbLb1EEEEDaS1K_S1L_EUlS1K_E_NS1_11comp_targetILNS1_3genE2ELNS1_11target_archE906ELNS1_3gpuE6ELNS1_3repE0EEENS1_30default_config_static_selectorELNS0_4arch9wavefront6targetE0EEEvSY_.has_recursion, 0
	.set _ZN7rocprim17ROCPRIM_400000_NS6detail17trampoline_kernelINS0_13select_configILj256ELj13ELNS0_17block_load_methodE3ELS4_3ELS4_3ELNS0_20block_scan_algorithmE0ELj4294967295EEENS1_25partition_config_selectorILNS1_17partition_subalgoE3EjNS0_10empty_typeEbEEZZNS1_14partition_implILS8_3ELb0ES6_jNS0_17counting_iteratorIjlEEPS9_SE_NS0_5tupleIJPjSE_EEENSF_IJSE_SE_EEES9_SG_JZNS1_25segmented_radix_sort_implINS0_14default_configELb1EPKiPiPKlPlN2at6native12_GLOBAL__N_18offset_tEEE10hipError_tPvRmT1_PNSt15iterator_traitsISY_E10value_typeET2_T3_PNSZ_IS14_E10value_typeET4_jRbjT5_S1A_jjP12ihipStream_tbEUljE_EEESV_SW_SX_S14_S18_S1A_T6_T7_T9_mT8_S1C_bDpT10_ENKUlT_T0_E_clISt17integral_constantIbLb0EES1O_IbLb1EEEEDaS1K_S1L_EUlS1K_E_NS1_11comp_targetILNS1_3genE2ELNS1_11target_archE906ELNS1_3gpuE6ELNS1_3repE0EEENS1_30default_config_static_selectorELNS0_4arch9wavefront6targetE0EEEvSY_.has_indirect_call, 0
	.section	.AMDGPU.csdata,"",@progbits
; Kernel info:
; codeLenInByte = 0
; TotalNumSgprs: 0
; NumVgprs: 0
; ScratchSize: 0
; MemoryBound: 0
; FloatMode: 240
; IeeeMode: 1
; LDSByteSize: 0 bytes/workgroup (compile time only)
; SGPRBlocks: 0
; VGPRBlocks: 0
; NumSGPRsForWavesPerEU: 1
; NumVGPRsForWavesPerEU: 1
; NamedBarCnt: 0
; Occupancy: 16
; WaveLimiterHint : 0
; COMPUTE_PGM_RSRC2:SCRATCH_EN: 0
; COMPUTE_PGM_RSRC2:USER_SGPR: 2
; COMPUTE_PGM_RSRC2:TRAP_HANDLER: 0
; COMPUTE_PGM_RSRC2:TGID_X_EN: 1
; COMPUTE_PGM_RSRC2:TGID_Y_EN: 0
; COMPUTE_PGM_RSRC2:TGID_Z_EN: 0
; COMPUTE_PGM_RSRC2:TIDIG_COMP_CNT: 0
	.section	.text._ZN7rocprim17ROCPRIM_400000_NS6detail17trampoline_kernelINS0_13select_configILj256ELj13ELNS0_17block_load_methodE3ELS4_3ELS4_3ELNS0_20block_scan_algorithmE0ELj4294967295EEENS1_25partition_config_selectorILNS1_17partition_subalgoE3EjNS0_10empty_typeEbEEZZNS1_14partition_implILS8_3ELb0ES6_jNS0_17counting_iteratorIjlEEPS9_SE_NS0_5tupleIJPjSE_EEENSF_IJSE_SE_EEES9_SG_JZNS1_25segmented_radix_sort_implINS0_14default_configELb1EPKiPiPKlPlN2at6native12_GLOBAL__N_18offset_tEEE10hipError_tPvRmT1_PNSt15iterator_traitsISY_E10value_typeET2_T3_PNSZ_IS14_E10value_typeET4_jRbjT5_S1A_jjP12ihipStream_tbEUljE_EEESV_SW_SX_S14_S18_S1A_T6_T7_T9_mT8_S1C_bDpT10_ENKUlT_T0_E_clISt17integral_constantIbLb0EES1O_IbLb1EEEEDaS1K_S1L_EUlS1K_E_NS1_11comp_targetILNS1_3genE10ELNS1_11target_archE1200ELNS1_3gpuE4ELNS1_3repE0EEENS1_30default_config_static_selectorELNS0_4arch9wavefront6targetE0EEEvSY_,"axG",@progbits,_ZN7rocprim17ROCPRIM_400000_NS6detail17trampoline_kernelINS0_13select_configILj256ELj13ELNS0_17block_load_methodE3ELS4_3ELS4_3ELNS0_20block_scan_algorithmE0ELj4294967295EEENS1_25partition_config_selectorILNS1_17partition_subalgoE3EjNS0_10empty_typeEbEEZZNS1_14partition_implILS8_3ELb0ES6_jNS0_17counting_iteratorIjlEEPS9_SE_NS0_5tupleIJPjSE_EEENSF_IJSE_SE_EEES9_SG_JZNS1_25segmented_radix_sort_implINS0_14default_configELb1EPKiPiPKlPlN2at6native12_GLOBAL__N_18offset_tEEE10hipError_tPvRmT1_PNSt15iterator_traitsISY_E10value_typeET2_T3_PNSZ_IS14_E10value_typeET4_jRbjT5_S1A_jjP12ihipStream_tbEUljE_EEESV_SW_SX_S14_S18_S1A_T6_T7_T9_mT8_S1C_bDpT10_ENKUlT_T0_E_clISt17integral_constantIbLb0EES1O_IbLb1EEEEDaS1K_S1L_EUlS1K_E_NS1_11comp_targetILNS1_3genE10ELNS1_11target_archE1200ELNS1_3gpuE4ELNS1_3repE0EEENS1_30default_config_static_selectorELNS0_4arch9wavefront6targetE0EEEvSY_,comdat
	.globl	_ZN7rocprim17ROCPRIM_400000_NS6detail17trampoline_kernelINS0_13select_configILj256ELj13ELNS0_17block_load_methodE3ELS4_3ELS4_3ELNS0_20block_scan_algorithmE0ELj4294967295EEENS1_25partition_config_selectorILNS1_17partition_subalgoE3EjNS0_10empty_typeEbEEZZNS1_14partition_implILS8_3ELb0ES6_jNS0_17counting_iteratorIjlEEPS9_SE_NS0_5tupleIJPjSE_EEENSF_IJSE_SE_EEES9_SG_JZNS1_25segmented_radix_sort_implINS0_14default_configELb1EPKiPiPKlPlN2at6native12_GLOBAL__N_18offset_tEEE10hipError_tPvRmT1_PNSt15iterator_traitsISY_E10value_typeET2_T3_PNSZ_IS14_E10value_typeET4_jRbjT5_S1A_jjP12ihipStream_tbEUljE_EEESV_SW_SX_S14_S18_S1A_T6_T7_T9_mT8_S1C_bDpT10_ENKUlT_T0_E_clISt17integral_constantIbLb0EES1O_IbLb1EEEEDaS1K_S1L_EUlS1K_E_NS1_11comp_targetILNS1_3genE10ELNS1_11target_archE1200ELNS1_3gpuE4ELNS1_3repE0EEENS1_30default_config_static_selectorELNS0_4arch9wavefront6targetE0EEEvSY_ ; -- Begin function _ZN7rocprim17ROCPRIM_400000_NS6detail17trampoline_kernelINS0_13select_configILj256ELj13ELNS0_17block_load_methodE3ELS4_3ELS4_3ELNS0_20block_scan_algorithmE0ELj4294967295EEENS1_25partition_config_selectorILNS1_17partition_subalgoE3EjNS0_10empty_typeEbEEZZNS1_14partition_implILS8_3ELb0ES6_jNS0_17counting_iteratorIjlEEPS9_SE_NS0_5tupleIJPjSE_EEENSF_IJSE_SE_EEES9_SG_JZNS1_25segmented_radix_sort_implINS0_14default_configELb1EPKiPiPKlPlN2at6native12_GLOBAL__N_18offset_tEEE10hipError_tPvRmT1_PNSt15iterator_traitsISY_E10value_typeET2_T3_PNSZ_IS14_E10value_typeET4_jRbjT5_S1A_jjP12ihipStream_tbEUljE_EEESV_SW_SX_S14_S18_S1A_T6_T7_T9_mT8_S1C_bDpT10_ENKUlT_T0_E_clISt17integral_constantIbLb0EES1O_IbLb1EEEEDaS1K_S1L_EUlS1K_E_NS1_11comp_targetILNS1_3genE10ELNS1_11target_archE1200ELNS1_3gpuE4ELNS1_3repE0EEENS1_30default_config_static_selectorELNS0_4arch9wavefront6targetE0EEEvSY_
	.p2align	8
	.type	_ZN7rocprim17ROCPRIM_400000_NS6detail17trampoline_kernelINS0_13select_configILj256ELj13ELNS0_17block_load_methodE3ELS4_3ELS4_3ELNS0_20block_scan_algorithmE0ELj4294967295EEENS1_25partition_config_selectorILNS1_17partition_subalgoE3EjNS0_10empty_typeEbEEZZNS1_14partition_implILS8_3ELb0ES6_jNS0_17counting_iteratorIjlEEPS9_SE_NS0_5tupleIJPjSE_EEENSF_IJSE_SE_EEES9_SG_JZNS1_25segmented_radix_sort_implINS0_14default_configELb1EPKiPiPKlPlN2at6native12_GLOBAL__N_18offset_tEEE10hipError_tPvRmT1_PNSt15iterator_traitsISY_E10value_typeET2_T3_PNSZ_IS14_E10value_typeET4_jRbjT5_S1A_jjP12ihipStream_tbEUljE_EEESV_SW_SX_S14_S18_S1A_T6_T7_T9_mT8_S1C_bDpT10_ENKUlT_T0_E_clISt17integral_constantIbLb0EES1O_IbLb1EEEEDaS1K_S1L_EUlS1K_E_NS1_11comp_targetILNS1_3genE10ELNS1_11target_archE1200ELNS1_3gpuE4ELNS1_3repE0EEENS1_30default_config_static_selectorELNS0_4arch9wavefront6targetE0EEEvSY_,@function
_ZN7rocprim17ROCPRIM_400000_NS6detail17trampoline_kernelINS0_13select_configILj256ELj13ELNS0_17block_load_methodE3ELS4_3ELS4_3ELNS0_20block_scan_algorithmE0ELj4294967295EEENS1_25partition_config_selectorILNS1_17partition_subalgoE3EjNS0_10empty_typeEbEEZZNS1_14partition_implILS8_3ELb0ES6_jNS0_17counting_iteratorIjlEEPS9_SE_NS0_5tupleIJPjSE_EEENSF_IJSE_SE_EEES9_SG_JZNS1_25segmented_radix_sort_implINS0_14default_configELb1EPKiPiPKlPlN2at6native12_GLOBAL__N_18offset_tEEE10hipError_tPvRmT1_PNSt15iterator_traitsISY_E10value_typeET2_T3_PNSZ_IS14_E10value_typeET4_jRbjT5_S1A_jjP12ihipStream_tbEUljE_EEESV_SW_SX_S14_S18_S1A_T6_T7_T9_mT8_S1C_bDpT10_ENKUlT_T0_E_clISt17integral_constantIbLb0EES1O_IbLb1EEEEDaS1K_S1L_EUlS1K_E_NS1_11comp_targetILNS1_3genE10ELNS1_11target_archE1200ELNS1_3gpuE4ELNS1_3repE0EEENS1_30default_config_static_selectorELNS0_4arch9wavefront6targetE0EEEvSY_: ; @_ZN7rocprim17ROCPRIM_400000_NS6detail17trampoline_kernelINS0_13select_configILj256ELj13ELNS0_17block_load_methodE3ELS4_3ELS4_3ELNS0_20block_scan_algorithmE0ELj4294967295EEENS1_25partition_config_selectorILNS1_17partition_subalgoE3EjNS0_10empty_typeEbEEZZNS1_14partition_implILS8_3ELb0ES6_jNS0_17counting_iteratorIjlEEPS9_SE_NS0_5tupleIJPjSE_EEENSF_IJSE_SE_EEES9_SG_JZNS1_25segmented_radix_sort_implINS0_14default_configELb1EPKiPiPKlPlN2at6native12_GLOBAL__N_18offset_tEEE10hipError_tPvRmT1_PNSt15iterator_traitsISY_E10value_typeET2_T3_PNSZ_IS14_E10value_typeET4_jRbjT5_S1A_jjP12ihipStream_tbEUljE_EEESV_SW_SX_S14_S18_S1A_T6_T7_T9_mT8_S1C_bDpT10_ENKUlT_T0_E_clISt17integral_constantIbLb0EES1O_IbLb1EEEEDaS1K_S1L_EUlS1K_E_NS1_11comp_targetILNS1_3genE10ELNS1_11target_archE1200ELNS1_3gpuE4ELNS1_3repE0EEENS1_30default_config_static_selectorELNS0_4arch9wavefront6targetE0EEEvSY_
; %bb.0:
	.section	.rodata,"a",@progbits
	.p2align	6, 0x0
	.amdhsa_kernel _ZN7rocprim17ROCPRIM_400000_NS6detail17trampoline_kernelINS0_13select_configILj256ELj13ELNS0_17block_load_methodE3ELS4_3ELS4_3ELNS0_20block_scan_algorithmE0ELj4294967295EEENS1_25partition_config_selectorILNS1_17partition_subalgoE3EjNS0_10empty_typeEbEEZZNS1_14partition_implILS8_3ELb0ES6_jNS0_17counting_iteratorIjlEEPS9_SE_NS0_5tupleIJPjSE_EEENSF_IJSE_SE_EEES9_SG_JZNS1_25segmented_radix_sort_implINS0_14default_configELb1EPKiPiPKlPlN2at6native12_GLOBAL__N_18offset_tEEE10hipError_tPvRmT1_PNSt15iterator_traitsISY_E10value_typeET2_T3_PNSZ_IS14_E10value_typeET4_jRbjT5_S1A_jjP12ihipStream_tbEUljE_EEESV_SW_SX_S14_S18_S1A_T6_T7_T9_mT8_S1C_bDpT10_ENKUlT_T0_E_clISt17integral_constantIbLb0EES1O_IbLb1EEEEDaS1K_S1L_EUlS1K_E_NS1_11comp_targetILNS1_3genE10ELNS1_11target_archE1200ELNS1_3gpuE4ELNS1_3repE0EEENS1_30default_config_static_selectorELNS0_4arch9wavefront6targetE0EEEvSY_
		.amdhsa_group_segment_fixed_size 0
		.amdhsa_private_segment_fixed_size 0
		.amdhsa_kernarg_size 152
		.amdhsa_user_sgpr_count 2
		.amdhsa_user_sgpr_dispatch_ptr 0
		.amdhsa_user_sgpr_queue_ptr 0
		.amdhsa_user_sgpr_kernarg_segment_ptr 1
		.amdhsa_user_sgpr_dispatch_id 0
		.amdhsa_user_sgpr_kernarg_preload_length 0
		.amdhsa_user_sgpr_kernarg_preload_offset 0
		.amdhsa_user_sgpr_private_segment_size 0
		.amdhsa_wavefront_size32 1
		.amdhsa_uses_dynamic_stack 0
		.amdhsa_enable_private_segment 0
		.amdhsa_system_sgpr_workgroup_id_x 1
		.amdhsa_system_sgpr_workgroup_id_y 0
		.amdhsa_system_sgpr_workgroup_id_z 0
		.amdhsa_system_sgpr_workgroup_info 0
		.amdhsa_system_vgpr_workitem_id 0
		.amdhsa_next_free_vgpr 1
		.amdhsa_next_free_sgpr 1
		.amdhsa_named_barrier_count 0
		.amdhsa_reserve_vcc 0
		.amdhsa_float_round_mode_32 0
		.amdhsa_float_round_mode_16_64 0
		.amdhsa_float_denorm_mode_32 3
		.amdhsa_float_denorm_mode_16_64 3
		.amdhsa_fp16_overflow 0
		.amdhsa_memory_ordered 1
		.amdhsa_forward_progress 1
		.amdhsa_inst_pref_size 0
		.amdhsa_round_robin_scheduling 0
		.amdhsa_exception_fp_ieee_invalid_op 0
		.amdhsa_exception_fp_denorm_src 0
		.amdhsa_exception_fp_ieee_div_zero 0
		.amdhsa_exception_fp_ieee_overflow 0
		.amdhsa_exception_fp_ieee_underflow 0
		.amdhsa_exception_fp_ieee_inexact 0
		.amdhsa_exception_int_div_zero 0
	.end_amdhsa_kernel
	.section	.text._ZN7rocprim17ROCPRIM_400000_NS6detail17trampoline_kernelINS0_13select_configILj256ELj13ELNS0_17block_load_methodE3ELS4_3ELS4_3ELNS0_20block_scan_algorithmE0ELj4294967295EEENS1_25partition_config_selectorILNS1_17partition_subalgoE3EjNS0_10empty_typeEbEEZZNS1_14partition_implILS8_3ELb0ES6_jNS0_17counting_iteratorIjlEEPS9_SE_NS0_5tupleIJPjSE_EEENSF_IJSE_SE_EEES9_SG_JZNS1_25segmented_radix_sort_implINS0_14default_configELb1EPKiPiPKlPlN2at6native12_GLOBAL__N_18offset_tEEE10hipError_tPvRmT1_PNSt15iterator_traitsISY_E10value_typeET2_T3_PNSZ_IS14_E10value_typeET4_jRbjT5_S1A_jjP12ihipStream_tbEUljE_EEESV_SW_SX_S14_S18_S1A_T6_T7_T9_mT8_S1C_bDpT10_ENKUlT_T0_E_clISt17integral_constantIbLb0EES1O_IbLb1EEEEDaS1K_S1L_EUlS1K_E_NS1_11comp_targetILNS1_3genE10ELNS1_11target_archE1200ELNS1_3gpuE4ELNS1_3repE0EEENS1_30default_config_static_selectorELNS0_4arch9wavefront6targetE0EEEvSY_,"axG",@progbits,_ZN7rocprim17ROCPRIM_400000_NS6detail17trampoline_kernelINS0_13select_configILj256ELj13ELNS0_17block_load_methodE3ELS4_3ELS4_3ELNS0_20block_scan_algorithmE0ELj4294967295EEENS1_25partition_config_selectorILNS1_17partition_subalgoE3EjNS0_10empty_typeEbEEZZNS1_14partition_implILS8_3ELb0ES6_jNS0_17counting_iteratorIjlEEPS9_SE_NS0_5tupleIJPjSE_EEENSF_IJSE_SE_EEES9_SG_JZNS1_25segmented_radix_sort_implINS0_14default_configELb1EPKiPiPKlPlN2at6native12_GLOBAL__N_18offset_tEEE10hipError_tPvRmT1_PNSt15iterator_traitsISY_E10value_typeET2_T3_PNSZ_IS14_E10value_typeET4_jRbjT5_S1A_jjP12ihipStream_tbEUljE_EEESV_SW_SX_S14_S18_S1A_T6_T7_T9_mT8_S1C_bDpT10_ENKUlT_T0_E_clISt17integral_constantIbLb0EES1O_IbLb1EEEEDaS1K_S1L_EUlS1K_E_NS1_11comp_targetILNS1_3genE10ELNS1_11target_archE1200ELNS1_3gpuE4ELNS1_3repE0EEENS1_30default_config_static_selectorELNS0_4arch9wavefront6targetE0EEEvSY_,comdat
.Lfunc_end490:
	.size	_ZN7rocprim17ROCPRIM_400000_NS6detail17trampoline_kernelINS0_13select_configILj256ELj13ELNS0_17block_load_methodE3ELS4_3ELS4_3ELNS0_20block_scan_algorithmE0ELj4294967295EEENS1_25partition_config_selectorILNS1_17partition_subalgoE3EjNS0_10empty_typeEbEEZZNS1_14partition_implILS8_3ELb0ES6_jNS0_17counting_iteratorIjlEEPS9_SE_NS0_5tupleIJPjSE_EEENSF_IJSE_SE_EEES9_SG_JZNS1_25segmented_radix_sort_implINS0_14default_configELb1EPKiPiPKlPlN2at6native12_GLOBAL__N_18offset_tEEE10hipError_tPvRmT1_PNSt15iterator_traitsISY_E10value_typeET2_T3_PNSZ_IS14_E10value_typeET4_jRbjT5_S1A_jjP12ihipStream_tbEUljE_EEESV_SW_SX_S14_S18_S1A_T6_T7_T9_mT8_S1C_bDpT10_ENKUlT_T0_E_clISt17integral_constantIbLb0EES1O_IbLb1EEEEDaS1K_S1L_EUlS1K_E_NS1_11comp_targetILNS1_3genE10ELNS1_11target_archE1200ELNS1_3gpuE4ELNS1_3repE0EEENS1_30default_config_static_selectorELNS0_4arch9wavefront6targetE0EEEvSY_, .Lfunc_end490-_ZN7rocprim17ROCPRIM_400000_NS6detail17trampoline_kernelINS0_13select_configILj256ELj13ELNS0_17block_load_methodE3ELS4_3ELS4_3ELNS0_20block_scan_algorithmE0ELj4294967295EEENS1_25partition_config_selectorILNS1_17partition_subalgoE3EjNS0_10empty_typeEbEEZZNS1_14partition_implILS8_3ELb0ES6_jNS0_17counting_iteratorIjlEEPS9_SE_NS0_5tupleIJPjSE_EEENSF_IJSE_SE_EEES9_SG_JZNS1_25segmented_radix_sort_implINS0_14default_configELb1EPKiPiPKlPlN2at6native12_GLOBAL__N_18offset_tEEE10hipError_tPvRmT1_PNSt15iterator_traitsISY_E10value_typeET2_T3_PNSZ_IS14_E10value_typeET4_jRbjT5_S1A_jjP12ihipStream_tbEUljE_EEESV_SW_SX_S14_S18_S1A_T6_T7_T9_mT8_S1C_bDpT10_ENKUlT_T0_E_clISt17integral_constantIbLb0EES1O_IbLb1EEEEDaS1K_S1L_EUlS1K_E_NS1_11comp_targetILNS1_3genE10ELNS1_11target_archE1200ELNS1_3gpuE4ELNS1_3repE0EEENS1_30default_config_static_selectorELNS0_4arch9wavefront6targetE0EEEvSY_
                                        ; -- End function
	.set _ZN7rocprim17ROCPRIM_400000_NS6detail17trampoline_kernelINS0_13select_configILj256ELj13ELNS0_17block_load_methodE3ELS4_3ELS4_3ELNS0_20block_scan_algorithmE0ELj4294967295EEENS1_25partition_config_selectorILNS1_17partition_subalgoE3EjNS0_10empty_typeEbEEZZNS1_14partition_implILS8_3ELb0ES6_jNS0_17counting_iteratorIjlEEPS9_SE_NS0_5tupleIJPjSE_EEENSF_IJSE_SE_EEES9_SG_JZNS1_25segmented_radix_sort_implINS0_14default_configELb1EPKiPiPKlPlN2at6native12_GLOBAL__N_18offset_tEEE10hipError_tPvRmT1_PNSt15iterator_traitsISY_E10value_typeET2_T3_PNSZ_IS14_E10value_typeET4_jRbjT5_S1A_jjP12ihipStream_tbEUljE_EEESV_SW_SX_S14_S18_S1A_T6_T7_T9_mT8_S1C_bDpT10_ENKUlT_T0_E_clISt17integral_constantIbLb0EES1O_IbLb1EEEEDaS1K_S1L_EUlS1K_E_NS1_11comp_targetILNS1_3genE10ELNS1_11target_archE1200ELNS1_3gpuE4ELNS1_3repE0EEENS1_30default_config_static_selectorELNS0_4arch9wavefront6targetE0EEEvSY_.num_vgpr, 0
	.set _ZN7rocprim17ROCPRIM_400000_NS6detail17trampoline_kernelINS0_13select_configILj256ELj13ELNS0_17block_load_methodE3ELS4_3ELS4_3ELNS0_20block_scan_algorithmE0ELj4294967295EEENS1_25partition_config_selectorILNS1_17partition_subalgoE3EjNS0_10empty_typeEbEEZZNS1_14partition_implILS8_3ELb0ES6_jNS0_17counting_iteratorIjlEEPS9_SE_NS0_5tupleIJPjSE_EEENSF_IJSE_SE_EEES9_SG_JZNS1_25segmented_radix_sort_implINS0_14default_configELb1EPKiPiPKlPlN2at6native12_GLOBAL__N_18offset_tEEE10hipError_tPvRmT1_PNSt15iterator_traitsISY_E10value_typeET2_T3_PNSZ_IS14_E10value_typeET4_jRbjT5_S1A_jjP12ihipStream_tbEUljE_EEESV_SW_SX_S14_S18_S1A_T6_T7_T9_mT8_S1C_bDpT10_ENKUlT_T0_E_clISt17integral_constantIbLb0EES1O_IbLb1EEEEDaS1K_S1L_EUlS1K_E_NS1_11comp_targetILNS1_3genE10ELNS1_11target_archE1200ELNS1_3gpuE4ELNS1_3repE0EEENS1_30default_config_static_selectorELNS0_4arch9wavefront6targetE0EEEvSY_.num_agpr, 0
	.set _ZN7rocprim17ROCPRIM_400000_NS6detail17trampoline_kernelINS0_13select_configILj256ELj13ELNS0_17block_load_methodE3ELS4_3ELS4_3ELNS0_20block_scan_algorithmE0ELj4294967295EEENS1_25partition_config_selectorILNS1_17partition_subalgoE3EjNS0_10empty_typeEbEEZZNS1_14partition_implILS8_3ELb0ES6_jNS0_17counting_iteratorIjlEEPS9_SE_NS0_5tupleIJPjSE_EEENSF_IJSE_SE_EEES9_SG_JZNS1_25segmented_radix_sort_implINS0_14default_configELb1EPKiPiPKlPlN2at6native12_GLOBAL__N_18offset_tEEE10hipError_tPvRmT1_PNSt15iterator_traitsISY_E10value_typeET2_T3_PNSZ_IS14_E10value_typeET4_jRbjT5_S1A_jjP12ihipStream_tbEUljE_EEESV_SW_SX_S14_S18_S1A_T6_T7_T9_mT8_S1C_bDpT10_ENKUlT_T0_E_clISt17integral_constantIbLb0EES1O_IbLb1EEEEDaS1K_S1L_EUlS1K_E_NS1_11comp_targetILNS1_3genE10ELNS1_11target_archE1200ELNS1_3gpuE4ELNS1_3repE0EEENS1_30default_config_static_selectorELNS0_4arch9wavefront6targetE0EEEvSY_.numbered_sgpr, 0
	.set _ZN7rocprim17ROCPRIM_400000_NS6detail17trampoline_kernelINS0_13select_configILj256ELj13ELNS0_17block_load_methodE3ELS4_3ELS4_3ELNS0_20block_scan_algorithmE0ELj4294967295EEENS1_25partition_config_selectorILNS1_17partition_subalgoE3EjNS0_10empty_typeEbEEZZNS1_14partition_implILS8_3ELb0ES6_jNS0_17counting_iteratorIjlEEPS9_SE_NS0_5tupleIJPjSE_EEENSF_IJSE_SE_EEES9_SG_JZNS1_25segmented_radix_sort_implINS0_14default_configELb1EPKiPiPKlPlN2at6native12_GLOBAL__N_18offset_tEEE10hipError_tPvRmT1_PNSt15iterator_traitsISY_E10value_typeET2_T3_PNSZ_IS14_E10value_typeET4_jRbjT5_S1A_jjP12ihipStream_tbEUljE_EEESV_SW_SX_S14_S18_S1A_T6_T7_T9_mT8_S1C_bDpT10_ENKUlT_T0_E_clISt17integral_constantIbLb0EES1O_IbLb1EEEEDaS1K_S1L_EUlS1K_E_NS1_11comp_targetILNS1_3genE10ELNS1_11target_archE1200ELNS1_3gpuE4ELNS1_3repE0EEENS1_30default_config_static_selectorELNS0_4arch9wavefront6targetE0EEEvSY_.num_named_barrier, 0
	.set _ZN7rocprim17ROCPRIM_400000_NS6detail17trampoline_kernelINS0_13select_configILj256ELj13ELNS0_17block_load_methodE3ELS4_3ELS4_3ELNS0_20block_scan_algorithmE0ELj4294967295EEENS1_25partition_config_selectorILNS1_17partition_subalgoE3EjNS0_10empty_typeEbEEZZNS1_14partition_implILS8_3ELb0ES6_jNS0_17counting_iteratorIjlEEPS9_SE_NS0_5tupleIJPjSE_EEENSF_IJSE_SE_EEES9_SG_JZNS1_25segmented_radix_sort_implINS0_14default_configELb1EPKiPiPKlPlN2at6native12_GLOBAL__N_18offset_tEEE10hipError_tPvRmT1_PNSt15iterator_traitsISY_E10value_typeET2_T3_PNSZ_IS14_E10value_typeET4_jRbjT5_S1A_jjP12ihipStream_tbEUljE_EEESV_SW_SX_S14_S18_S1A_T6_T7_T9_mT8_S1C_bDpT10_ENKUlT_T0_E_clISt17integral_constantIbLb0EES1O_IbLb1EEEEDaS1K_S1L_EUlS1K_E_NS1_11comp_targetILNS1_3genE10ELNS1_11target_archE1200ELNS1_3gpuE4ELNS1_3repE0EEENS1_30default_config_static_selectorELNS0_4arch9wavefront6targetE0EEEvSY_.private_seg_size, 0
	.set _ZN7rocprim17ROCPRIM_400000_NS6detail17trampoline_kernelINS0_13select_configILj256ELj13ELNS0_17block_load_methodE3ELS4_3ELS4_3ELNS0_20block_scan_algorithmE0ELj4294967295EEENS1_25partition_config_selectorILNS1_17partition_subalgoE3EjNS0_10empty_typeEbEEZZNS1_14partition_implILS8_3ELb0ES6_jNS0_17counting_iteratorIjlEEPS9_SE_NS0_5tupleIJPjSE_EEENSF_IJSE_SE_EEES9_SG_JZNS1_25segmented_radix_sort_implINS0_14default_configELb1EPKiPiPKlPlN2at6native12_GLOBAL__N_18offset_tEEE10hipError_tPvRmT1_PNSt15iterator_traitsISY_E10value_typeET2_T3_PNSZ_IS14_E10value_typeET4_jRbjT5_S1A_jjP12ihipStream_tbEUljE_EEESV_SW_SX_S14_S18_S1A_T6_T7_T9_mT8_S1C_bDpT10_ENKUlT_T0_E_clISt17integral_constantIbLb0EES1O_IbLb1EEEEDaS1K_S1L_EUlS1K_E_NS1_11comp_targetILNS1_3genE10ELNS1_11target_archE1200ELNS1_3gpuE4ELNS1_3repE0EEENS1_30default_config_static_selectorELNS0_4arch9wavefront6targetE0EEEvSY_.uses_vcc, 0
	.set _ZN7rocprim17ROCPRIM_400000_NS6detail17trampoline_kernelINS0_13select_configILj256ELj13ELNS0_17block_load_methodE3ELS4_3ELS4_3ELNS0_20block_scan_algorithmE0ELj4294967295EEENS1_25partition_config_selectorILNS1_17partition_subalgoE3EjNS0_10empty_typeEbEEZZNS1_14partition_implILS8_3ELb0ES6_jNS0_17counting_iteratorIjlEEPS9_SE_NS0_5tupleIJPjSE_EEENSF_IJSE_SE_EEES9_SG_JZNS1_25segmented_radix_sort_implINS0_14default_configELb1EPKiPiPKlPlN2at6native12_GLOBAL__N_18offset_tEEE10hipError_tPvRmT1_PNSt15iterator_traitsISY_E10value_typeET2_T3_PNSZ_IS14_E10value_typeET4_jRbjT5_S1A_jjP12ihipStream_tbEUljE_EEESV_SW_SX_S14_S18_S1A_T6_T7_T9_mT8_S1C_bDpT10_ENKUlT_T0_E_clISt17integral_constantIbLb0EES1O_IbLb1EEEEDaS1K_S1L_EUlS1K_E_NS1_11comp_targetILNS1_3genE10ELNS1_11target_archE1200ELNS1_3gpuE4ELNS1_3repE0EEENS1_30default_config_static_selectorELNS0_4arch9wavefront6targetE0EEEvSY_.uses_flat_scratch, 0
	.set _ZN7rocprim17ROCPRIM_400000_NS6detail17trampoline_kernelINS0_13select_configILj256ELj13ELNS0_17block_load_methodE3ELS4_3ELS4_3ELNS0_20block_scan_algorithmE0ELj4294967295EEENS1_25partition_config_selectorILNS1_17partition_subalgoE3EjNS0_10empty_typeEbEEZZNS1_14partition_implILS8_3ELb0ES6_jNS0_17counting_iteratorIjlEEPS9_SE_NS0_5tupleIJPjSE_EEENSF_IJSE_SE_EEES9_SG_JZNS1_25segmented_radix_sort_implINS0_14default_configELb1EPKiPiPKlPlN2at6native12_GLOBAL__N_18offset_tEEE10hipError_tPvRmT1_PNSt15iterator_traitsISY_E10value_typeET2_T3_PNSZ_IS14_E10value_typeET4_jRbjT5_S1A_jjP12ihipStream_tbEUljE_EEESV_SW_SX_S14_S18_S1A_T6_T7_T9_mT8_S1C_bDpT10_ENKUlT_T0_E_clISt17integral_constantIbLb0EES1O_IbLb1EEEEDaS1K_S1L_EUlS1K_E_NS1_11comp_targetILNS1_3genE10ELNS1_11target_archE1200ELNS1_3gpuE4ELNS1_3repE0EEENS1_30default_config_static_selectorELNS0_4arch9wavefront6targetE0EEEvSY_.has_dyn_sized_stack, 0
	.set _ZN7rocprim17ROCPRIM_400000_NS6detail17trampoline_kernelINS0_13select_configILj256ELj13ELNS0_17block_load_methodE3ELS4_3ELS4_3ELNS0_20block_scan_algorithmE0ELj4294967295EEENS1_25partition_config_selectorILNS1_17partition_subalgoE3EjNS0_10empty_typeEbEEZZNS1_14partition_implILS8_3ELb0ES6_jNS0_17counting_iteratorIjlEEPS9_SE_NS0_5tupleIJPjSE_EEENSF_IJSE_SE_EEES9_SG_JZNS1_25segmented_radix_sort_implINS0_14default_configELb1EPKiPiPKlPlN2at6native12_GLOBAL__N_18offset_tEEE10hipError_tPvRmT1_PNSt15iterator_traitsISY_E10value_typeET2_T3_PNSZ_IS14_E10value_typeET4_jRbjT5_S1A_jjP12ihipStream_tbEUljE_EEESV_SW_SX_S14_S18_S1A_T6_T7_T9_mT8_S1C_bDpT10_ENKUlT_T0_E_clISt17integral_constantIbLb0EES1O_IbLb1EEEEDaS1K_S1L_EUlS1K_E_NS1_11comp_targetILNS1_3genE10ELNS1_11target_archE1200ELNS1_3gpuE4ELNS1_3repE0EEENS1_30default_config_static_selectorELNS0_4arch9wavefront6targetE0EEEvSY_.has_recursion, 0
	.set _ZN7rocprim17ROCPRIM_400000_NS6detail17trampoline_kernelINS0_13select_configILj256ELj13ELNS0_17block_load_methodE3ELS4_3ELS4_3ELNS0_20block_scan_algorithmE0ELj4294967295EEENS1_25partition_config_selectorILNS1_17partition_subalgoE3EjNS0_10empty_typeEbEEZZNS1_14partition_implILS8_3ELb0ES6_jNS0_17counting_iteratorIjlEEPS9_SE_NS0_5tupleIJPjSE_EEENSF_IJSE_SE_EEES9_SG_JZNS1_25segmented_radix_sort_implINS0_14default_configELb1EPKiPiPKlPlN2at6native12_GLOBAL__N_18offset_tEEE10hipError_tPvRmT1_PNSt15iterator_traitsISY_E10value_typeET2_T3_PNSZ_IS14_E10value_typeET4_jRbjT5_S1A_jjP12ihipStream_tbEUljE_EEESV_SW_SX_S14_S18_S1A_T6_T7_T9_mT8_S1C_bDpT10_ENKUlT_T0_E_clISt17integral_constantIbLb0EES1O_IbLb1EEEEDaS1K_S1L_EUlS1K_E_NS1_11comp_targetILNS1_3genE10ELNS1_11target_archE1200ELNS1_3gpuE4ELNS1_3repE0EEENS1_30default_config_static_selectorELNS0_4arch9wavefront6targetE0EEEvSY_.has_indirect_call, 0
	.section	.AMDGPU.csdata,"",@progbits
; Kernel info:
; codeLenInByte = 0
; TotalNumSgprs: 0
; NumVgprs: 0
; ScratchSize: 0
; MemoryBound: 0
; FloatMode: 240
; IeeeMode: 1
; LDSByteSize: 0 bytes/workgroup (compile time only)
; SGPRBlocks: 0
; VGPRBlocks: 0
; NumSGPRsForWavesPerEU: 1
; NumVGPRsForWavesPerEU: 1
; NamedBarCnt: 0
; Occupancy: 16
; WaveLimiterHint : 0
; COMPUTE_PGM_RSRC2:SCRATCH_EN: 0
; COMPUTE_PGM_RSRC2:USER_SGPR: 2
; COMPUTE_PGM_RSRC2:TRAP_HANDLER: 0
; COMPUTE_PGM_RSRC2:TGID_X_EN: 1
; COMPUTE_PGM_RSRC2:TGID_Y_EN: 0
; COMPUTE_PGM_RSRC2:TGID_Z_EN: 0
; COMPUTE_PGM_RSRC2:TIDIG_COMP_CNT: 0
	.section	.text._ZN7rocprim17ROCPRIM_400000_NS6detail17trampoline_kernelINS0_13select_configILj256ELj13ELNS0_17block_load_methodE3ELS4_3ELS4_3ELNS0_20block_scan_algorithmE0ELj4294967295EEENS1_25partition_config_selectorILNS1_17partition_subalgoE3EjNS0_10empty_typeEbEEZZNS1_14partition_implILS8_3ELb0ES6_jNS0_17counting_iteratorIjlEEPS9_SE_NS0_5tupleIJPjSE_EEENSF_IJSE_SE_EEES9_SG_JZNS1_25segmented_radix_sort_implINS0_14default_configELb1EPKiPiPKlPlN2at6native12_GLOBAL__N_18offset_tEEE10hipError_tPvRmT1_PNSt15iterator_traitsISY_E10value_typeET2_T3_PNSZ_IS14_E10value_typeET4_jRbjT5_S1A_jjP12ihipStream_tbEUljE_EEESV_SW_SX_S14_S18_S1A_T6_T7_T9_mT8_S1C_bDpT10_ENKUlT_T0_E_clISt17integral_constantIbLb0EES1O_IbLb1EEEEDaS1K_S1L_EUlS1K_E_NS1_11comp_targetILNS1_3genE9ELNS1_11target_archE1100ELNS1_3gpuE3ELNS1_3repE0EEENS1_30default_config_static_selectorELNS0_4arch9wavefront6targetE0EEEvSY_,"axG",@progbits,_ZN7rocprim17ROCPRIM_400000_NS6detail17trampoline_kernelINS0_13select_configILj256ELj13ELNS0_17block_load_methodE3ELS4_3ELS4_3ELNS0_20block_scan_algorithmE0ELj4294967295EEENS1_25partition_config_selectorILNS1_17partition_subalgoE3EjNS0_10empty_typeEbEEZZNS1_14partition_implILS8_3ELb0ES6_jNS0_17counting_iteratorIjlEEPS9_SE_NS0_5tupleIJPjSE_EEENSF_IJSE_SE_EEES9_SG_JZNS1_25segmented_radix_sort_implINS0_14default_configELb1EPKiPiPKlPlN2at6native12_GLOBAL__N_18offset_tEEE10hipError_tPvRmT1_PNSt15iterator_traitsISY_E10value_typeET2_T3_PNSZ_IS14_E10value_typeET4_jRbjT5_S1A_jjP12ihipStream_tbEUljE_EEESV_SW_SX_S14_S18_S1A_T6_T7_T9_mT8_S1C_bDpT10_ENKUlT_T0_E_clISt17integral_constantIbLb0EES1O_IbLb1EEEEDaS1K_S1L_EUlS1K_E_NS1_11comp_targetILNS1_3genE9ELNS1_11target_archE1100ELNS1_3gpuE3ELNS1_3repE0EEENS1_30default_config_static_selectorELNS0_4arch9wavefront6targetE0EEEvSY_,comdat
	.globl	_ZN7rocprim17ROCPRIM_400000_NS6detail17trampoline_kernelINS0_13select_configILj256ELj13ELNS0_17block_load_methodE3ELS4_3ELS4_3ELNS0_20block_scan_algorithmE0ELj4294967295EEENS1_25partition_config_selectorILNS1_17partition_subalgoE3EjNS0_10empty_typeEbEEZZNS1_14partition_implILS8_3ELb0ES6_jNS0_17counting_iteratorIjlEEPS9_SE_NS0_5tupleIJPjSE_EEENSF_IJSE_SE_EEES9_SG_JZNS1_25segmented_radix_sort_implINS0_14default_configELb1EPKiPiPKlPlN2at6native12_GLOBAL__N_18offset_tEEE10hipError_tPvRmT1_PNSt15iterator_traitsISY_E10value_typeET2_T3_PNSZ_IS14_E10value_typeET4_jRbjT5_S1A_jjP12ihipStream_tbEUljE_EEESV_SW_SX_S14_S18_S1A_T6_T7_T9_mT8_S1C_bDpT10_ENKUlT_T0_E_clISt17integral_constantIbLb0EES1O_IbLb1EEEEDaS1K_S1L_EUlS1K_E_NS1_11comp_targetILNS1_3genE9ELNS1_11target_archE1100ELNS1_3gpuE3ELNS1_3repE0EEENS1_30default_config_static_selectorELNS0_4arch9wavefront6targetE0EEEvSY_ ; -- Begin function _ZN7rocprim17ROCPRIM_400000_NS6detail17trampoline_kernelINS0_13select_configILj256ELj13ELNS0_17block_load_methodE3ELS4_3ELS4_3ELNS0_20block_scan_algorithmE0ELj4294967295EEENS1_25partition_config_selectorILNS1_17partition_subalgoE3EjNS0_10empty_typeEbEEZZNS1_14partition_implILS8_3ELb0ES6_jNS0_17counting_iteratorIjlEEPS9_SE_NS0_5tupleIJPjSE_EEENSF_IJSE_SE_EEES9_SG_JZNS1_25segmented_radix_sort_implINS0_14default_configELb1EPKiPiPKlPlN2at6native12_GLOBAL__N_18offset_tEEE10hipError_tPvRmT1_PNSt15iterator_traitsISY_E10value_typeET2_T3_PNSZ_IS14_E10value_typeET4_jRbjT5_S1A_jjP12ihipStream_tbEUljE_EEESV_SW_SX_S14_S18_S1A_T6_T7_T9_mT8_S1C_bDpT10_ENKUlT_T0_E_clISt17integral_constantIbLb0EES1O_IbLb1EEEEDaS1K_S1L_EUlS1K_E_NS1_11comp_targetILNS1_3genE9ELNS1_11target_archE1100ELNS1_3gpuE3ELNS1_3repE0EEENS1_30default_config_static_selectorELNS0_4arch9wavefront6targetE0EEEvSY_
	.p2align	8
	.type	_ZN7rocprim17ROCPRIM_400000_NS6detail17trampoline_kernelINS0_13select_configILj256ELj13ELNS0_17block_load_methodE3ELS4_3ELS4_3ELNS0_20block_scan_algorithmE0ELj4294967295EEENS1_25partition_config_selectorILNS1_17partition_subalgoE3EjNS0_10empty_typeEbEEZZNS1_14partition_implILS8_3ELb0ES6_jNS0_17counting_iteratorIjlEEPS9_SE_NS0_5tupleIJPjSE_EEENSF_IJSE_SE_EEES9_SG_JZNS1_25segmented_radix_sort_implINS0_14default_configELb1EPKiPiPKlPlN2at6native12_GLOBAL__N_18offset_tEEE10hipError_tPvRmT1_PNSt15iterator_traitsISY_E10value_typeET2_T3_PNSZ_IS14_E10value_typeET4_jRbjT5_S1A_jjP12ihipStream_tbEUljE_EEESV_SW_SX_S14_S18_S1A_T6_T7_T9_mT8_S1C_bDpT10_ENKUlT_T0_E_clISt17integral_constantIbLb0EES1O_IbLb1EEEEDaS1K_S1L_EUlS1K_E_NS1_11comp_targetILNS1_3genE9ELNS1_11target_archE1100ELNS1_3gpuE3ELNS1_3repE0EEENS1_30default_config_static_selectorELNS0_4arch9wavefront6targetE0EEEvSY_,@function
_ZN7rocprim17ROCPRIM_400000_NS6detail17trampoline_kernelINS0_13select_configILj256ELj13ELNS0_17block_load_methodE3ELS4_3ELS4_3ELNS0_20block_scan_algorithmE0ELj4294967295EEENS1_25partition_config_selectorILNS1_17partition_subalgoE3EjNS0_10empty_typeEbEEZZNS1_14partition_implILS8_3ELb0ES6_jNS0_17counting_iteratorIjlEEPS9_SE_NS0_5tupleIJPjSE_EEENSF_IJSE_SE_EEES9_SG_JZNS1_25segmented_radix_sort_implINS0_14default_configELb1EPKiPiPKlPlN2at6native12_GLOBAL__N_18offset_tEEE10hipError_tPvRmT1_PNSt15iterator_traitsISY_E10value_typeET2_T3_PNSZ_IS14_E10value_typeET4_jRbjT5_S1A_jjP12ihipStream_tbEUljE_EEESV_SW_SX_S14_S18_S1A_T6_T7_T9_mT8_S1C_bDpT10_ENKUlT_T0_E_clISt17integral_constantIbLb0EES1O_IbLb1EEEEDaS1K_S1L_EUlS1K_E_NS1_11comp_targetILNS1_3genE9ELNS1_11target_archE1100ELNS1_3gpuE3ELNS1_3repE0EEENS1_30default_config_static_selectorELNS0_4arch9wavefront6targetE0EEEvSY_: ; @_ZN7rocprim17ROCPRIM_400000_NS6detail17trampoline_kernelINS0_13select_configILj256ELj13ELNS0_17block_load_methodE3ELS4_3ELS4_3ELNS0_20block_scan_algorithmE0ELj4294967295EEENS1_25partition_config_selectorILNS1_17partition_subalgoE3EjNS0_10empty_typeEbEEZZNS1_14partition_implILS8_3ELb0ES6_jNS0_17counting_iteratorIjlEEPS9_SE_NS0_5tupleIJPjSE_EEENSF_IJSE_SE_EEES9_SG_JZNS1_25segmented_radix_sort_implINS0_14default_configELb1EPKiPiPKlPlN2at6native12_GLOBAL__N_18offset_tEEE10hipError_tPvRmT1_PNSt15iterator_traitsISY_E10value_typeET2_T3_PNSZ_IS14_E10value_typeET4_jRbjT5_S1A_jjP12ihipStream_tbEUljE_EEESV_SW_SX_S14_S18_S1A_T6_T7_T9_mT8_S1C_bDpT10_ENKUlT_T0_E_clISt17integral_constantIbLb0EES1O_IbLb1EEEEDaS1K_S1L_EUlS1K_E_NS1_11comp_targetILNS1_3genE9ELNS1_11target_archE1100ELNS1_3gpuE3ELNS1_3repE0EEENS1_30default_config_static_selectorELNS0_4arch9wavefront6targetE0EEEvSY_
; %bb.0:
	.section	.rodata,"a",@progbits
	.p2align	6, 0x0
	.amdhsa_kernel _ZN7rocprim17ROCPRIM_400000_NS6detail17trampoline_kernelINS0_13select_configILj256ELj13ELNS0_17block_load_methodE3ELS4_3ELS4_3ELNS0_20block_scan_algorithmE0ELj4294967295EEENS1_25partition_config_selectorILNS1_17partition_subalgoE3EjNS0_10empty_typeEbEEZZNS1_14partition_implILS8_3ELb0ES6_jNS0_17counting_iteratorIjlEEPS9_SE_NS0_5tupleIJPjSE_EEENSF_IJSE_SE_EEES9_SG_JZNS1_25segmented_radix_sort_implINS0_14default_configELb1EPKiPiPKlPlN2at6native12_GLOBAL__N_18offset_tEEE10hipError_tPvRmT1_PNSt15iterator_traitsISY_E10value_typeET2_T3_PNSZ_IS14_E10value_typeET4_jRbjT5_S1A_jjP12ihipStream_tbEUljE_EEESV_SW_SX_S14_S18_S1A_T6_T7_T9_mT8_S1C_bDpT10_ENKUlT_T0_E_clISt17integral_constantIbLb0EES1O_IbLb1EEEEDaS1K_S1L_EUlS1K_E_NS1_11comp_targetILNS1_3genE9ELNS1_11target_archE1100ELNS1_3gpuE3ELNS1_3repE0EEENS1_30default_config_static_selectorELNS0_4arch9wavefront6targetE0EEEvSY_
		.amdhsa_group_segment_fixed_size 0
		.amdhsa_private_segment_fixed_size 0
		.amdhsa_kernarg_size 152
		.amdhsa_user_sgpr_count 2
		.amdhsa_user_sgpr_dispatch_ptr 0
		.amdhsa_user_sgpr_queue_ptr 0
		.amdhsa_user_sgpr_kernarg_segment_ptr 1
		.amdhsa_user_sgpr_dispatch_id 0
		.amdhsa_user_sgpr_kernarg_preload_length 0
		.amdhsa_user_sgpr_kernarg_preload_offset 0
		.amdhsa_user_sgpr_private_segment_size 0
		.amdhsa_wavefront_size32 1
		.amdhsa_uses_dynamic_stack 0
		.amdhsa_enable_private_segment 0
		.amdhsa_system_sgpr_workgroup_id_x 1
		.amdhsa_system_sgpr_workgroup_id_y 0
		.amdhsa_system_sgpr_workgroup_id_z 0
		.amdhsa_system_sgpr_workgroup_info 0
		.amdhsa_system_vgpr_workitem_id 0
		.amdhsa_next_free_vgpr 1
		.amdhsa_next_free_sgpr 1
		.amdhsa_named_barrier_count 0
		.amdhsa_reserve_vcc 0
		.amdhsa_float_round_mode_32 0
		.amdhsa_float_round_mode_16_64 0
		.amdhsa_float_denorm_mode_32 3
		.amdhsa_float_denorm_mode_16_64 3
		.amdhsa_fp16_overflow 0
		.amdhsa_memory_ordered 1
		.amdhsa_forward_progress 1
		.amdhsa_inst_pref_size 0
		.amdhsa_round_robin_scheduling 0
		.amdhsa_exception_fp_ieee_invalid_op 0
		.amdhsa_exception_fp_denorm_src 0
		.amdhsa_exception_fp_ieee_div_zero 0
		.amdhsa_exception_fp_ieee_overflow 0
		.amdhsa_exception_fp_ieee_underflow 0
		.amdhsa_exception_fp_ieee_inexact 0
		.amdhsa_exception_int_div_zero 0
	.end_amdhsa_kernel
	.section	.text._ZN7rocprim17ROCPRIM_400000_NS6detail17trampoline_kernelINS0_13select_configILj256ELj13ELNS0_17block_load_methodE3ELS4_3ELS4_3ELNS0_20block_scan_algorithmE0ELj4294967295EEENS1_25partition_config_selectorILNS1_17partition_subalgoE3EjNS0_10empty_typeEbEEZZNS1_14partition_implILS8_3ELb0ES6_jNS0_17counting_iteratorIjlEEPS9_SE_NS0_5tupleIJPjSE_EEENSF_IJSE_SE_EEES9_SG_JZNS1_25segmented_radix_sort_implINS0_14default_configELb1EPKiPiPKlPlN2at6native12_GLOBAL__N_18offset_tEEE10hipError_tPvRmT1_PNSt15iterator_traitsISY_E10value_typeET2_T3_PNSZ_IS14_E10value_typeET4_jRbjT5_S1A_jjP12ihipStream_tbEUljE_EEESV_SW_SX_S14_S18_S1A_T6_T7_T9_mT8_S1C_bDpT10_ENKUlT_T0_E_clISt17integral_constantIbLb0EES1O_IbLb1EEEEDaS1K_S1L_EUlS1K_E_NS1_11comp_targetILNS1_3genE9ELNS1_11target_archE1100ELNS1_3gpuE3ELNS1_3repE0EEENS1_30default_config_static_selectorELNS0_4arch9wavefront6targetE0EEEvSY_,"axG",@progbits,_ZN7rocprim17ROCPRIM_400000_NS6detail17trampoline_kernelINS0_13select_configILj256ELj13ELNS0_17block_load_methodE3ELS4_3ELS4_3ELNS0_20block_scan_algorithmE0ELj4294967295EEENS1_25partition_config_selectorILNS1_17partition_subalgoE3EjNS0_10empty_typeEbEEZZNS1_14partition_implILS8_3ELb0ES6_jNS0_17counting_iteratorIjlEEPS9_SE_NS0_5tupleIJPjSE_EEENSF_IJSE_SE_EEES9_SG_JZNS1_25segmented_radix_sort_implINS0_14default_configELb1EPKiPiPKlPlN2at6native12_GLOBAL__N_18offset_tEEE10hipError_tPvRmT1_PNSt15iterator_traitsISY_E10value_typeET2_T3_PNSZ_IS14_E10value_typeET4_jRbjT5_S1A_jjP12ihipStream_tbEUljE_EEESV_SW_SX_S14_S18_S1A_T6_T7_T9_mT8_S1C_bDpT10_ENKUlT_T0_E_clISt17integral_constantIbLb0EES1O_IbLb1EEEEDaS1K_S1L_EUlS1K_E_NS1_11comp_targetILNS1_3genE9ELNS1_11target_archE1100ELNS1_3gpuE3ELNS1_3repE0EEENS1_30default_config_static_selectorELNS0_4arch9wavefront6targetE0EEEvSY_,comdat
.Lfunc_end491:
	.size	_ZN7rocprim17ROCPRIM_400000_NS6detail17trampoline_kernelINS0_13select_configILj256ELj13ELNS0_17block_load_methodE3ELS4_3ELS4_3ELNS0_20block_scan_algorithmE0ELj4294967295EEENS1_25partition_config_selectorILNS1_17partition_subalgoE3EjNS0_10empty_typeEbEEZZNS1_14partition_implILS8_3ELb0ES6_jNS0_17counting_iteratorIjlEEPS9_SE_NS0_5tupleIJPjSE_EEENSF_IJSE_SE_EEES9_SG_JZNS1_25segmented_radix_sort_implINS0_14default_configELb1EPKiPiPKlPlN2at6native12_GLOBAL__N_18offset_tEEE10hipError_tPvRmT1_PNSt15iterator_traitsISY_E10value_typeET2_T3_PNSZ_IS14_E10value_typeET4_jRbjT5_S1A_jjP12ihipStream_tbEUljE_EEESV_SW_SX_S14_S18_S1A_T6_T7_T9_mT8_S1C_bDpT10_ENKUlT_T0_E_clISt17integral_constantIbLb0EES1O_IbLb1EEEEDaS1K_S1L_EUlS1K_E_NS1_11comp_targetILNS1_3genE9ELNS1_11target_archE1100ELNS1_3gpuE3ELNS1_3repE0EEENS1_30default_config_static_selectorELNS0_4arch9wavefront6targetE0EEEvSY_, .Lfunc_end491-_ZN7rocprim17ROCPRIM_400000_NS6detail17trampoline_kernelINS0_13select_configILj256ELj13ELNS0_17block_load_methodE3ELS4_3ELS4_3ELNS0_20block_scan_algorithmE0ELj4294967295EEENS1_25partition_config_selectorILNS1_17partition_subalgoE3EjNS0_10empty_typeEbEEZZNS1_14partition_implILS8_3ELb0ES6_jNS0_17counting_iteratorIjlEEPS9_SE_NS0_5tupleIJPjSE_EEENSF_IJSE_SE_EEES9_SG_JZNS1_25segmented_radix_sort_implINS0_14default_configELb1EPKiPiPKlPlN2at6native12_GLOBAL__N_18offset_tEEE10hipError_tPvRmT1_PNSt15iterator_traitsISY_E10value_typeET2_T3_PNSZ_IS14_E10value_typeET4_jRbjT5_S1A_jjP12ihipStream_tbEUljE_EEESV_SW_SX_S14_S18_S1A_T6_T7_T9_mT8_S1C_bDpT10_ENKUlT_T0_E_clISt17integral_constantIbLb0EES1O_IbLb1EEEEDaS1K_S1L_EUlS1K_E_NS1_11comp_targetILNS1_3genE9ELNS1_11target_archE1100ELNS1_3gpuE3ELNS1_3repE0EEENS1_30default_config_static_selectorELNS0_4arch9wavefront6targetE0EEEvSY_
                                        ; -- End function
	.set _ZN7rocprim17ROCPRIM_400000_NS6detail17trampoline_kernelINS0_13select_configILj256ELj13ELNS0_17block_load_methodE3ELS4_3ELS4_3ELNS0_20block_scan_algorithmE0ELj4294967295EEENS1_25partition_config_selectorILNS1_17partition_subalgoE3EjNS0_10empty_typeEbEEZZNS1_14partition_implILS8_3ELb0ES6_jNS0_17counting_iteratorIjlEEPS9_SE_NS0_5tupleIJPjSE_EEENSF_IJSE_SE_EEES9_SG_JZNS1_25segmented_radix_sort_implINS0_14default_configELb1EPKiPiPKlPlN2at6native12_GLOBAL__N_18offset_tEEE10hipError_tPvRmT1_PNSt15iterator_traitsISY_E10value_typeET2_T3_PNSZ_IS14_E10value_typeET4_jRbjT5_S1A_jjP12ihipStream_tbEUljE_EEESV_SW_SX_S14_S18_S1A_T6_T7_T9_mT8_S1C_bDpT10_ENKUlT_T0_E_clISt17integral_constantIbLb0EES1O_IbLb1EEEEDaS1K_S1L_EUlS1K_E_NS1_11comp_targetILNS1_3genE9ELNS1_11target_archE1100ELNS1_3gpuE3ELNS1_3repE0EEENS1_30default_config_static_selectorELNS0_4arch9wavefront6targetE0EEEvSY_.num_vgpr, 0
	.set _ZN7rocprim17ROCPRIM_400000_NS6detail17trampoline_kernelINS0_13select_configILj256ELj13ELNS0_17block_load_methodE3ELS4_3ELS4_3ELNS0_20block_scan_algorithmE0ELj4294967295EEENS1_25partition_config_selectorILNS1_17partition_subalgoE3EjNS0_10empty_typeEbEEZZNS1_14partition_implILS8_3ELb0ES6_jNS0_17counting_iteratorIjlEEPS9_SE_NS0_5tupleIJPjSE_EEENSF_IJSE_SE_EEES9_SG_JZNS1_25segmented_radix_sort_implINS0_14default_configELb1EPKiPiPKlPlN2at6native12_GLOBAL__N_18offset_tEEE10hipError_tPvRmT1_PNSt15iterator_traitsISY_E10value_typeET2_T3_PNSZ_IS14_E10value_typeET4_jRbjT5_S1A_jjP12ihipStream_tbEUljE_EEESV_SW_SX_S14_S18_S1A_T6_T7_T9_mT8_S1C_bDpT10_ENKUlT_T0_E_clISt17integral_constantIbLb0EES1O_IbLb1EEEEDaS1K_S1L_EUlS1K_E_NS1_11comp_targetILNS1_3genE9ELNS1_11target_archE1100ELNS1_3gpuE3ELNS1_3repE0EEENS1_30default_config_static_selectorELNS0_4arch9wavefront6targetE0EEEvSY_.num_agpr, 0
	.set _ZN7rocprim17ROCPRIM_400000_NS6detail17trampoline_kernelINS0_13select_configILj256ELj13ELNS0_17block_load_methodE3ELS4_3ELS4_3ELNS0_20block_scan_algorithmE0ELj4294967295EEENS1_25partition_config_selectorILNS1_17partition_subalgoE3EjNS0_10empty_typeEbEEZZNS1_14partition_implILS8_3ELb0ES6_jNS0_17counting_iteratorIjlEEPS9_SE_NS0_5tupleIJPjSE_EEENSF_IJSE_SE_EEES9_SG_JZNS1_25segmented_radix_sort_implINS0_14default_configELb1EPKiPiPKlPlN2at6native12_GLOBAL__N_18offset_tEEE10hipError_tPvRmT1_PNSt15iterator_traitsISY_E10value_typeET2_T3_PNSZ_IS14_E10value_typeET4_jRbjT5_S1A_jjP12ihipStream_tbEUljE_EEESV_SW_SX_S14_S18_S1A_T6_T7_T9_mT8_S1C_bDpT10_ENKUlT_T0_E_clISt17integral_constantIbLb0EES1O_IbLb1EEEEDaS1K_S1L_EUlS1K_E_NS1_11comp_targetILNS1_3genE9ELNS1_11target_archE1100ELNS1_3gpuE3ELNS1_3repE0EEENS1_30default_config_static_selectorELNS0_4arch9wavefront6targetE0EEEvSY_.numbered_sgpr, 0
	.set _ZN7rocprim17ROCPRIM_400000_NS6detail17trampoline_kernelINS0_13select_configILj256ELj13ELNS0_17block_load_methodE3ELS4_3ELS4_3ELNS0_20block_scan_algorithmE0ELj4294967295EEENS1_25partition_config_selectorILNS1_17partition_subalgoE3EjNS0_10empty_typeEbEEZZNS1_14partition_implILS8_3ELb0ES6_jNS0_17counting_iteratorIjlEEPS9_SE_NS0_5tupleIJPjSE_EEENSF_IJSE_SE_EEES9_SG_JZNS1_25segmented_radix_sort_implINS0_14default_configELb1EPKiPiPKlPlN2at6native12_GLOBAL__N_18offset_tEEE10hipError_tPvRmT1_PNSt15iterator_traitsISY_E10value_typeET2_T3_PNSZ_IS14_E10value_typeET4_jRbjT5_S1A_jjP12ihipStream_tbEUljE_EEESV_SW_SX_S14_S18_S1A_T6_T7_T9_mT8_S1C_bDpT10_ENKUlT_T0_E_clISt17integral_constantIbLb0EES1O_IbLb1EEEEDaS1K_S1L_EUlS1K_E_NS1_11comp_targetILNS1_3genE9ELNS1_11target_archE1100ELNS1_3gpuE3ELNS1_3repE0EEENS1_30default_config_static_selectorELNS0_4arch9wavefront6targetE0EEEvSY_.num_named_barrier, 0
	.set _ZN7rocprim17ROCPRIM_400000_NS6detail17trampoline_kernelINS0_13select_configILj256ELj13ELNS0_17block_load_methodE3ELS4_3ELS4_3ELNS0_20block_scan_algorithmE0ELj4294967295EEENS1_25partition_config_selectorILNS1_17partition_subalgoE3EjNS0_10empty_typeEbEEZZNS1_14partition_implILS8_3ELb0ES6_jNS0_17counting_iteratorIjlEEPS9_SE_NS0_5tupleIJPjSE_EEENSF_IJSE_SE_EEES9_SG_JZNS1_25segmented_radix_sort_implINS0_14default_configELb1EPKiPiPKlPlN2at6native12_GLOBAL__N_18offset_tEEE10hipError_tPvRmT1_PNSt15iterator_traitsISY_E10value_typeET2_T3_PNSZ_IS14_E10value_typeET4_jRbjT5_S1A_jjP12ihipStream_tbEUljE_EEESV_SW_SX_S14_S18_S1A_T6_T7_T9_mT8_S1C_bDpT10_ENKUlT_T0_E_clISt17integral_constantIbLb0EES1O_IbLb1EEEEDaS1K_S1L_EUlS1K_E_NS1_11comp_targetILNS1_3genE9ELNS1_11target_archE1100ELNS1_3gpuE3ELNS1_3repE0EEENS1_30default_config_static_selectorELNS0_4arch9wavefront6targetE0EEEvSY_.private_seg_size, 0
	.set _ZN7rocprim17ROCPRIM_400000_NS6detail17trampoline_kernelINS0_13select_configILj256ELj13ELNS0_17block_load_methodE3ELS4_3ELS4_3ELNS0_20block_scan_algorithmE0ELj4294967295EEENS1_25partition_config_selectorILNS1_17partition_subalgoE3EjNS0_10empty_typeEbEEZZNS1_14partition_implILS8_3ELb0ES6_jNS0_17counting_iteratorIjlEEPS9_SE_NS0_5tupleIJPjSE_EEENSF_IJSE_SE_EEES9_SG_JZNS1_25segmented_radix_sort_implINS0_14default_configELb1EPKiPiPKlPlN2at6native12_GLOBAL__N_18offset_tEEE10hipError_tPvRmT1_PNSt15iterator_traitsISY_E10value_typeET2_T3_PNSZ_IS14_E10value_typeET4_jRbjT5_S1A_jjP12ihipStream_tbEUljE_EEESV_SW_SX_S14_S18_S1A_T6_T7_T9_mT8_S1C_bDpT10_ENKUlT_T0_E_clISt17integral_constantIbLb0EES1O_IbLb1EEEEDaS1K_S1L_EUlS1K_E_NS1_11comp_targetILNS1_3genE9ELNS1_11target_archE1100ELNS1_3gpuE3ELNS1_3repE0EEENS1_30default_config_static_selectorELNS0_4arch9wavefront6targetE0EEEvSY_.uses_vcc, 0
	.set _ZN7rocprim17ROCPRIM_400000_NS6detail17trampoline_kernelINS0_13select_configILj256ELj13ELNS0_17block_load_methodE3ELS4_3ELS4_3ELNS0_20block_scan_algorithmE0ELj4294967295EEENS1_25partition_config_selectorILNS1_17partition_subalgoE3EjNS0_10empty_typeEbEEZZNS1_14partition_implILS8_3ELb0ES6_jNS0_17counting_iteratorIjlEEPS9_SE_NS0_5tupleIJPjSE_EEENSF_IJSE_SE_EEES9_SG_JZNS1_25segmented_radix_sort_implINS0_14default_configELb1EPKiPiPKlPlN2at6native12_GLOBAL__N_18offset_tEEE10hipError_tPvRmT1_PNSt15iterator_traitsISY_E10value_typeET2_T3_PNSZ_IS14_E10value_typeET4_jRbjT5_S1A_jjP12ihipStream_tbEUljE_EEESV_SW_SX_S14_S18_S1A_T6_T7_T9_mT8_S1C_bDpT10_ENKUlT_T0_E_clISt17integral_constantIbLb0EES1O_IbLb1EEEEDaS1K_S1L_EUlS1K_E_NS1_11comp_targetILNS1_3genE9ELNS1_11target_archE1100ELNS1_3gpuE3ELNS1_3repE0EEENS1_30default_config_static_selectorELNS0_4arch9wavefront6targetE0EEEvSY_.uses_flat_scratch, 0
	.set _ZN7rocprim17ROCPRIM_400000_NS6detail17trampoline_kernelINS0_13select_configILj256ELj13ELNS0_17block_load_methodE3ELS4_3ELS4_3ELNS0_20block_scan_algorithmE0ELj4294967295EEENS1_25partition_config_selectorILNS1_17partition_subalgoE3EjNS0_10empty_typeEbEEZZNS1_14partition_implILS8_3ELb0ES6_jNS0_17counting_iteratorIjlEEPS9_SE_NS0_5tupleIJPjSE_EEENSF_IJSE_SE_EEES9_SG_JZNS1_25segmented_radix_sort_implINS0_14default_configELb1EPKiPiPKlPlN2at6native12_GLOBAL__N_18offset_tEEE10hipError_tPvRmT1_PNSt15iterator_traitsISY_E10value_typeET2_T3_PNSZ_IS14_E10value_typeET4_jRbjT5_S1A_jjP12ihipStream_tbEUljE_EEESV_SW_SX_S14_S18_S1A_T6_T7_T9_mT8_S1C_bDpT10_ENKUlT_T0_E_clISt17integral_constantIbLb0EES1O_IbLb1EEEEDaS1K_S1L_EUlS1K_E_NS1_11comp_targetILNS1_3genE9ELNS1_11target_archE1100ELNS1_3gpuE3ELNS1_3repE0EEENS1_30default_config_static_selectorELNS0_4arch9wavefront6targetE0EEEvSY_.has_dyn_sized_stack, 0
	.set _ZN7rocprim17ROCPRIM_400000_NS6detail17trampoline_kernelINS0_13select_configILj256ELj13ELNS0_17block_load_methodE3ELS4_3ELS4_3ELNS0_20block_scan_algorithmE0ELj4294967295EEENS1_25partition_config_selectorILNS1_17partition_subalgoE3EjNS0_10empty_typeEbEEZZNS1_14partition_implILS8_3ELb0ES6_jNS0_17counting_iteratorIjlEEPS9_SE_NS0_5tupleIJPjSE_EEENSF_IJSE_SE_EEES9_SG_JZNS1_25segmented_radix_sort_implINS0_14default_configELb1EPKiPiPKlPlN2at6native12_GLOBAL__N_18offset_tEEE10hipError_tPvRmT1_PNSt15iterator_traitsISY_E10value_typeET2_T3_PNSZ_IS14_E10value_typeET4_jRbjT5_S1A_jjP12ihipStream_tbEUljE_EEESV_SW_SX_S14_S18_S1A_T6_T7_T9_mT8_S1C_bDpT10_ENKUlT_T0_E_clISt17integral_constantIbLb0EES1O_IbLb1EEEEDaS1K_S1L_EUlS1K_E_NS1_11comp_targetILNS1_3genE9ELNS1_11target_archE1100ELNS1_3gpuE3ELNS1_3repE0EEENS1_30default_config_static_selectorELNS0_4arch9wavefront6targetE0EEEvSY_.has_recursion, 0
	.set _ZN7rocprim17ROCPRIM_400000_NS6detail17trampoline_kernelINS0_13select_configILj256ELj13ELNS0_17block_load_methodE3ELS4_3ELS4_3ELNS0_20block_scan_algorithmE0ELj4294967295EEENS1_25partition_config_selectorILNS1_17partition_subalgoE3EjNS0_10empty_typeEbEEZZNS1_14partition_implILS8_3ELb0ES6_jNS0_17counting_iteratorIjlEEPS9_SE_NS0_5tupleIJPjSE_EEENSF_IJSE_SE_EEES9_SG_JZNS1_25segmented_radix_sort_implINS0_14default_configELb1EPKiPiPKlPlN2at6native12_GLOBAL__N_18offset_tEEE10hipError_tPvRmT1_PNSt15iterator_traitsISY_E10value_typeET2_T3_PNSZ_IS14_E10value_typeET4_jRbjT5_S1A_jjP12ihipStream_tbEUljE_EEESV_SW_SX_S14_S18_S1A_T6_T7_T9_mT8_S1C_bDpT10_ENKUlT_T0_E_clISt17integral_constantIbLb0EES1O_IbLb1EEEEDaS1K_S1L_EUlS1K_E_NS1_11comp_targetILNS1_3genE9ELNS1_11target_archE1100ELNS1_3gpuE3ELNS1_3repE0EEENS1_30default_config_static_selectorELNS0_4arch9wavefront6targetE0EEEvSY_.has_indirect_call, 0
	.section	.AMDGPU.csdata,"",@progbits
; Kernel info:
; codeLenInByte = 0
; TotalNumSgprs: 0
; NumVgprs: 0
; ScratchSize: 0
; MemoryBound: 0
; FloatMode: 240
; IeeeMode: 1
; LDSByteSize: 0 bytes/workgroup (compile time only)
; SGPRBlocks: 0
; VGPRBlocks: 0
; NumSGPRsForWavesPerEU: 1
; NumVGPRsForWavesPerEU: 1
; NamedBarCnt: 0
; Occupancy: 16
; WaveLimiterHint : 0
; COMPUTE_PGM_RSRC2:SCRATCH_EN: 0
; COMPUTE_PGM_RSRC2:USER_SGPR: 2
; COMPUTE_PGM_RSRC2:TRAP_HANDLER: 0
; COMPUTE_PGM_RSRC2:TGID_X_EN: 1
; COMPUTE_PGM_RSRC2:TGID_Y_EN: 0
; COMPUTE_PGM_RSRC2:TGID_Z_EN: 0
; COMPUTE_PGM_RSRC2:TIDIG_COMP_CNT: 0
	.section	.text._ZN7rocprim17ROCPRIM_400000_NS6detail17trampoline_kernelINS0_13select_configILj256ELj13ELNS0_17block_load_methodE3ELS4_3ELS4_3ELNS0_20block_scan_algorithmE0ELj4294967295EEENS1_25partition_config_selectorILNS1_17partition_subalgoE3EjNS0_10empty_typeEbEEZZNS1_14partition_implILS8_3ELb0ES6_jNS0_17counting_iteratorIjlEEPS9_SE_NS0_5tupleIJPjSE_EEENSF_IJSE_SE_EEES9_SG_JZNS1_25segmented_radix_sort_implINS0_14default_configELb1EPKiPiPKlPlN2at6native12_GLOBAL__N_18offset_tEEE10hipError_tPvRmT1_PNSt15iterator_traitsISY_E10value_typeET2_T3_PNSZ_IS14_E10value_typeET4_jRbjT5_S1A_jjP12ihipStream_tbEUljE_EEESV_SW_SX_S14_S18_S1A_T6_T7_T9_mT8_S1C_bDpT10_ENKUlT_T0_E_clISt17integral_constantIbLb0EES1O_IbLb1EEEEDaS1K_S1L_EUlS1K_E_NS1_11comp_targetILNS1_3genE8ELNS1_11target_archE1030ELNS1_3gpuE2ELNS1_3repE0EEENS1_30default_config_static_selectorELNS0_4arch9wavefront6targetE0EEEvSY_,"axG",@progbits,_ZN7rocprim17ROCPRIM_400000_NS6detail17trampoline_kernelINS0_13select_configILj256ELj13ELNS0_17block_load_methodE3ELS4_3ELS4_3ELNS0_20block_scan_algorithmE0ELj4294967295EEENS1_25partition_config_selectorILNS1_17partition_subalgoE3EjNS0_10empty_typeEbEEZZNS1_14partition_implILS8_3ELb0ES6_jNS0_17counting_iteratorIjlEEPS9_SE_NS0_5tupleIJPjSE_EEENSF_IJSE_SE_EEES9_SG_JZNS1_25segmented_radix_sort_implINS0_14default_configELb1EPKiPiPKlPlN2at6native12_GLOBAL__N_18offset_tEEE10hipError_tPvRmT1_PNSt15iterator_traitsISY_E10value_typeET2_T3_PNSZ_IS14_E10value_typeET4_jRbjT5_S1A_jjP12ihipStream_tbEUljE_EEESV_SW_SX_S14_S18_S1A_T6_T7_T9_mT8_S1C_bDpT10_ENKUlT_T0_E_clISt17integral_constantIbLb0EES1O_IbLb1EEEEDaS1K_S1L_EUlS1K_E_NS1_11comp_targetILNS1_3genE8ELNS1_11target_archE1030ELNS1_3gpuE2ELNS1_3repE0EEENS1_30default_config_static_selectorELNS0_4arch9wavefront6targetE0EEEvSY_,comdat
	.globl	_ZN7rocprim17ROCPRIM_400000_NS6detail17trampoline_kernelINS0_13select_configILj256ELj13ELNS0_17block_load_methodE3ELS4_3ELS4_3ELNS0_20block_scan_algorithmE0ELj4294967295EEENS1_25partition_config_selectorILNS1_17partition_subalgoE3EjNS0_10empty_typeEbEEZZNS1_14partition_implILS8_3ELb0ES6_jNS0_17counting_iteratorIjlEEPS9_SE_NS0_5tupleIJPjSE_EEENSF_IJSE_SE_EEES9_SG_JZNS1_25segmented_radix_sort_implINS0_14default_configELb1EPKiPiPKlPlN2at6native12_GLOBAL__N_18offset_tEEE10hipError_tPvRmT1_PNSt15iterator_traitsISY_E10value_typeET2_T3_PNSZ_IS14_E10value_typeET4_jRbjT5_S1A_jjP12ihipStream_tbEUljE_EEESV_SW_SX_S14_S18_S1A_T6_T7_T9_mT8_S1C_bDpT10_ENKUlT_T0_E_clISt17integral_constantIbLb0EES1O_IbLb1EEEEDaS1K_S1L_EUlS1K_E_NS1_11comp_targetILNS1_3genE8ELNS1_11target_archE1030ELNS1_3gpuE2ELNS1_3repE0EEENS1_30default_config_static_selectorELNS0_4arch9wavefront6targetE0EEEvSY_ ; -- Begin function _ZN7rocprim17ROCPRIM_400000_NS6detail17trampoline_kernelINS0_13select_configILj256ELj13ELNS0_17block_load_methodE3ELS4_3ELS4_3ELNS0_20block_scan_algorithmE0ELj4294967295EEENS1_25partition_config_selectorILNS1_17partition_subalgoE3EjNS0_10empty_typeEbEEZZNS1_14partition_implILS8_3ELb0ES6_jNS0_17counting_iteratorIjlEEPS9_SE_NS0_5tupleIJPjSE_EEENSF_IJSE_SE_EEES9_SG_JZNS1_25segmented_radix_sort_implINS0_14default_configELb1EPKiPiPKlPlN2at6native12_GLOBAL__N_18offset_tEEE10hipError_tPvRmT1_PNSt15iterator_traitsISY_E10value_typeET2_T3_PNSZ_IS14_E10value_typeET4_jRbjT5_S1A_jjP12ihipStream_tbEUljE_EEESV_SW_SX_S14_S18_S1A_T6_T7_T9_mT8_S1C_bDpT10_ENKUlT_T0_E_clISt17integral_constantIbLb0EES1O_IbLb1EEEEDaS1K_S1L_EUlS1K_E_NS1_11comp_targetILNS1_3genE8ELNS1_11target_archE1030ELNS1_3gpuE2ELNS1_3repE0EEENS1_30default_config_static_selectorELNS0_4arch9wavefront6targetE0EEEvSY_
	.p2align	8
	.type	_ZN7rocprim17ROCPRIM_400000_NS6detail17trampoline_kernelINS0_13select_configILj256ELj13ELNS0_17block_load_methodE3ELS4_3ELS4_3ELNS0_20block_scan_algorithmE0ELj4294967295EEENS1_25partition_config_selectorILNS1_17partition_subalgoE3EjNS0_10empty_typeEbEEZZNS1_14partition_implILS8_3ELb0ES6_jNS0_17counting_iteratorIjlEEPS9_SE_NS0_5tupleIJPjSE_EEENSF_IJSE_SE_EEES9_SG_JZNS1_25segmented_radix_sort_implINS0_14default_configELb1EPKiPiPKlPlN2at6native12_GLOBAL__N_18offset_tEEE10hipError_tPvRmT1_PNSt15iterator_traitsISY_E10value_typeET2_T3_PNSZ_IS14_E10value_typeET4_jRbjT5_S1A_jjP12ihipStream_tbEUljE_EEESV_SW_SX_S14_S18_S1A_T6_T7_T9_mT8_S1C_bDpT10_ENKUlT_T0_E_clISt17integral_constantIbLb0EES1O_IbLb1EEEEDaS1K_S1L_EUlS1K_E_NS1_11comp_targetILNS1_3genE8ELNS1_11target_archE1030ELNS1_3gpuE2ELNS1_3repE0EEENS1_30default_config_static_selectorELNS0_4arch9wavefront6targetE0EEEvSY_,@function
_ZN7rocprim17ROCPRIM_400000_NS6detail17trampoline_kernelINS0_13select_configILj256ELj13ELNS0_17block_load_methodE3ELS4_3ELS4_3ELNS0_20block_scan_algorithmE0ELj4294967295EEENS1_25partition_config_selectorILNS1_17partition_subalgoE3EjNS0_10empty_typeEbEEZZNS1_14partition_implILS8_3ELb0ES6_jNS0_17counting_iteratorIjlEEPS9_SE_NS0_5tupleIJPjSE_EEENSF_IJSE_SE_EEES9_SG_JZNS1_25segmented_radix_sort_implINS0_14default_configELb1EPKiPiPKlPlN2at6native12_GLOBAL__N_18offset_tEEE10hipError_tPvRmT1_PNSt15iterator_traitsISY_E10value_typeET2_T3_PNSZ_IS14_E10value_typeET4_jRbjT5_S1A_jjP12ihipStream_tbEUljE_EEESV_SW_SX_S14_S18_S1A_T6_T7_T9_mT8_S1C_bDpT10_ENKUlT_T0_E_clISt17integral_constantIbLb0EES1O_IbLb1EEEEDaS1K_S1L_EUlS1K_E_NS1_11comp_targetILNS1_3genE8ELNS1_11target_archE1030ELNS1_3gpuE2ELNS1_3repE0EEENS1_30default_config_static_selectorELNS0_4arch9wavefront6targetE0EEEvSY_: ; @_ZN7rocprim17ROCPRIM_400000_NS6detail17trampoline_kernelINS0_13select_configILj256ELj13ELNS0_17block_load_methodE3ELS4_3ELS4_3ELNS0_20block_scan_algorithmE0ELj4294967295EEENS1_25partition_config_selectorILNS1_17partition_subalgoE3EjNS0_10empty_typeEbEEZZNS1_14partition_implILS8_3ELb0ES6_jNS0_17counting_iteratorIjlEEPS9_SE_NS0_5tupleIJPjSE_EEENSF_IJSE_SE_EEES9_SG_JZNS1_25segmented_radix_sort_implINS0_14default_configELb1EPKiPiPKlPlN2at6native12_GLOBAL__N_18offset_tEEE10hipError_tPvRmT1_PNSt15iterator_traitsISY_E10value_typeET2_T3_PNSZ_IS14_E10value_typeET4_jRbjT5_S1A_jjP12ihipStream_tbEUljE_EEESV_SW_SX_S14_S18_S1A_T6_T7_T9_mT8_S1C_bDpT10_ENKUlT_T0_E_clISt17integral_constantIbLb0EES1O_IbLb1EEEEDaS1K_S1L_EUlS1K_E_NS1_11comp_targetILNS1_3genE8ELNS1_11target_archE1030ELNS1_3gpuE2ELNS1_3repE0EEENS1_30default_config_static_selectorELNS0_4arch9wavefront6targetE0EEEvSY_
; %bb.0:
	.section	.rodata,"a",@progbits
	.p2align	6, 0x0
	.amdhsa_kernel _ZN7rocprim17ROCPRIM_400000_NS6detail17trampoline_kernelINS0_13select_configILj256ELj13ELNS0_17block_load_methodE3ELS4_3ELS4_3ELNS0_20block_scan_algorithmE0ELj4294967295EEENS1_25partition_config_selectorILNS1_17partition_subalgoE3EjNS0_10empty_typeEbEEZZNS1_14partition_implILS8_3ELb0ES6_jNS0_17counting_iteratorIjlEEPS9_SE_NS0_5tupleIJPjSE_EEENSF_IJSE_SE_EEES9_SG_JZNS1_25segmented_radix_sort_implINS0_14default_configELb1EPKiPiPKlPlN2at6native12_GLOBAL__N_18offset_tEEE10hipError_tPvRmT1_PNSt15iterator_traitsISY_E10value_typeET2_T3_PNSZ_IS14_E10value_typeET4_jRbjT5_S1A_jjP12ihipStream_tbEUljE_EEESV_SW_SX_S14_S18_S1A_T6_T7_T9_mT8_S1C_bDpT10_ENKUlT_T0_E_clISt17integral_constantIbLb0EES1O_IbLb1EEEEDaS1K_S1L_EUlS1K_E_NS1_11comp_targetILNS1_3genE8ELNS1_11target_archE1030ELNS1_3gpuE2ELNS1_3repE0EEENS1_30default_config_static_selectorELNS0_4arch9wavefront6targetE0EEEvSY_
		.amdhsa_group_segment_fixed_size 0
		.amdhsa_private_segment_fixed_size 0
		.amdhsa_kernarg_size 152
		.amdhsa_user_sgpr_count 2
		.amdhsa_user_sgpr_dispatch_ptr 0
		.amdhsa_user_sgpr_queue_ptr 0
		.amdhsa_user_sgpr_kernarg_segment_ptr 1
		.amdhsa_user_sgpr_dispatch_id 0
		.amdhsa_user_sgpr_kernarg_preload_length 0
		.amdhsa_user_sgpr_kernarg_preload_offset 0
		.amdhsa_user_sgpr_private_segment_size 0
		.amdhsa_wavefront_size32 1
		.amdhsa_uses_dynamic_stack 0
		.amdhsa_enable_private_segment 0
		.amdhsa_system_sgpr_workgroup_id_x 1
		.amdhsa_system_sgpr_workgroup_id_y 0
		.amdhsa_system_sgpr_workgroup_id_z 0
		.amdhsa_system_sgpr_workgroup_info 0
		.amdhsa_system_vgpr_workitem_id 0
		.amdhsa_next_free_vgpr 1
		.amdhsa_next_free_sgpr 1
		.amdhsa_named_barrier_count 0
		.amdhsa_reserve_vcc 0
		.amdhsa_float_round_mode_32 0
		.amdhsa_float_round_mode_16_64 0
		.amdhsa_float_denorm_mode_32 3
		.amdhsa_float_denorm_mode_16_64 3
		.amdhsa_fp16_overflow 0
		.amdhsa_memory_ordered 1
		.amdhsa_forward_progress 1
		.amdhsa_inst_pref_size 0
		.amdhsa_round_robin_scheduling 0
		.amdhsa_exception_fp_ieee_invalid_op 0
		.amdhsa_exception_fp_denorm_src 0
		.amdhsa_exception_fp_ieee_div_zero 0
		.amdhsa_exception_fp_ieee_overflow 0
		.amdhsa_exception_fp_ieee_underflow 0
		.amdhsa_exception_fp_ieee_inexact 0
		.amdhsa_exception_int_div_zero 0
	.end_amdhsa_kernel
	.section	.text._ZN7rocprim17ROCPRIM_400000_NS6detail17trampoline_kernelINS0_13select_configILj256ELj13ELNS0_17block_load_methodE3ELS4_3ELS4_3ELNS0_20block_scan_algorithmE0ELj4294967295EEENS1_25partition_config_selectorILNS1_17partition_subalgoE3EjNS0_10empty_typeEbEEZZNS1_14partition_implILS8_3ELb0ES6_jNS0_17counting_iteratorIjlEEPS9_SE_NS0_5tupleIJPjSE_EEENSF_IJSE_SE_EEES9_SG_JZNS1_25segmented_radix_sort_implINS0_14default_configELb1EPKiPiPKlPlN2at6native12_GLOBAL__N_18offset_tEEE10hipError_tPvRmT1_PNSt15iterator_traitsISY_E10value_typeET2_T3_PNSZ_IS14_E10value_typeET4_jRbjT5_S1A_jjP12ihipStream_tbEUljE_EEESV_SW_SX_S14_S18_S1A_T6_T7_T9_mT8_S1C_bDpT10_ENKUlT_T0_E_clISt17integral_constantIbLb0EES1O_IbLb1EEEEDaS1K_S1L_EUlS1K_E_NS1_11comp_targetILNS1_3genE8ELNS1_11target_archE1030ELNS1_3gpuE2ELNS1_3repE0EEENS1_30default_config_static_selectorELNS0_4arch9wavefront6targetE0EEEvSY_,"axG",@progbits,_ZN7rocprim17ROCPRIM_400000_NS6detail17trampoline_kernelINS0_13select_configILj256ELj13ELNS0_17block_load_methodE3ELS4_3ELS4_3ELNS0_20block_scan_algorithmE0ELj4294967295EEENS1_25partition_config_selectorILNS1_17partition_subalgoE3EjNS0_10empty_typeEbEEZZNS1_14partition_implILS8_3ELb0ES6_jNS0_17counting_iteratorIjlEEPS9_SE_NS0_5tupleIJPjSE_EEENSF_IJSE_SE_EEES9_SG_JZNS1_25segmented_radix_sort_implINS0_14default_configELb1EPKiPiPKlPlN2at6native12_GLOBAL__N_18offset_tEEE10hipError_tPvRmT1_PNSt15iterator_traitsISY_E10value_typeET2_T3_PNSZ_IS14_E10value_typeET4_jRbjT5_S1A_jjP12ihipStream_tbEUljE_EEESV_SW_SX_S14_S18_S1A_T6_T7_T9_mT8_S1C_bDpT10_ENKUlT_T0_E_clISt17integral_constantIbLb0EES1O_IbLb1EEEEDaS1K_S1L_EUlS1K_E_NS1_11comp_targetILNS1_3genE8ELNS1_11target_archE1030ELNS1_3gpuE2ELNS1_3repE0EEENS1_30default_config_static_selectorELNS0_4arch9wavefront6targetE0EEEvSY_,comdat
.Lfunc_end492:
	.size	_ZN7rocprim17ROCPRIM_400000_NS6detail17trampoline_kernelINS0_13select_configILj256ELj13ELNS0_17block_load_methodE3ELS4_3ELS4_3ELNS0_20block_scan_algorithmE0ELj4294967295EEENS1_25partition_config_selectorILNS1_17partition_subalgoE3EjNS0_10empty_typeEbEEZZNS1_14partition_implILS8_3ELb0ES6_jNS0_17counting_iteratorIjlEEPS9_SE_NS0_5tupleIJPjSE_EEENSF_IJSE_SE_EEES9_SG_JZNS1_25segmented_radix_sort_implINS0_14default_configELb1EPKiPiPKlPlN2at6native12_GLOBAL__N_18offset_tEEE10hipError_tPvRmT1_PNSt15iterator_traitsISY_E10value_typeET2_T3_PNSZ_IS14_E10value_typeET4_jRbjT5_S1A_jjP12ihipStream_tbEUljE_EEESV_SW_SX_S14_S18_S1A_T6_T7_T9_mT8_S1C_bDpT10_ENKUlT_T0_E_clISt17integral_constantIbLb0EES1O_IbLb1EEEEDaS1K_S1L_EUlS1K_E_NS1_11comp_targetILNS1_3genE8ELNS1_11target_archE1030ELNS1_3gpuE2ELNS1_3repE0EEENS1_30default_config_static_selectorELNS0_4arch9wavefront6targetE0EEEvSY_, .Lfunc_end492-_ZN7rocprim17ROCPRIM_400000_NS6detail17trampoline_kernelINS0_13select_configILj256ELj13ELNS0_17block_load_methodE3ELS4_3ELS4_3ELNS0_20block_scan_algorithmE0ELj4294967295EEENS1_25partition_config_selectorILNS1_17partition_subalgoE3EjNS0_10empty_typeEbEEZZNS1_14partition_implILS8_3ELb0ES6_jNS0_17counting_iteratorIjlEEPS9_SE_NS0_5tupleIJPjSE_EEENSF_IJSE_SE_EEES9_SG_JZNS1_25segmented_radix_sort_implINS0_14default_configELb1EPKiPiPKlPlN2at6native12_GLOBAL__N_18offset_tEEE10hipError_tPvRmT1_PNSt15iterator_traitsISY_E10value_typeET2_T3_PNSZ_IS14_E10value_typeET4_jRbjT5_S1A_jjP12ihipStream_tbEUljE_EEESV_SW_SX_S14_S18_S1A_T6_T7_T9_mT8_S1C_bDpT10_ENKUlT_T0_E_clISt17integral_constantIbLb0EES1O_IbLb1EEEEDaS1K_S1L_EUlS1K_E_NS1_11comp_targetILNS1_3genE8ELNS1_11target_archE1030ELNS1_3gpuE2ELNS1_3repE0EEENS1_30default_config_static_selectorELNS0_4arch9wavefront6targetE0EEEvSY_
                                        ; -- End function
	.set _ZN7rocprim17ROCPRIM_400000_NS6detail17trampoline_kernelINS0_13select_configILj256ELj13ELNS0_17block_load_methodE3ELS4_3ELS4_3ELNS0_20block_scan_algorithmE0ELj4294967295EEENS1_25partition_config_selectorILNS1_17partition_subalgoE3EjNS0_10empty_typeEbEEZZNS1_14partition_implILS8_3ELb0ES6_jNS0_17counting_iteratorIjlEEPS9_SE_NS0_5tupleIJPjSE_EEENSF_IJSE_SE_EEES9_SG_JZNS1_25segmented_radix_sort_implINS0_14default_configELb1EPKiPiPKlPlN2at6native12_GLOBAL__N_18offset_tEEE10hipError_tPvRmT1_PNSt15iterator_traitsISY_E10value_typeET2_T3_PNSZ_IS14_E10value_typeET4_jRbjT5_S1A_jjP12ihipStream_tbEUljE_EEESV_SW_SX_S14_S18_S1A_T6_T7_T9_mT8_S1C_bDpT10_ENKUlT_T0_E_clISt17integral_constantIbLb0EES1O_IbLb1EEEEDaS1K_S1L_EUlS1K_E_NS1_11comp_targetILNS1_3genE8ELNS1_11target_archE1030ELNS1_3gpuE2ELNS1_3repE0EEENS1_30default_config_static_selectorELNS0_4arch9wavefront6targetE0EEEvSY_.num_vgpr, 0
	.set _ZN7rocprim17ROCPRIM_400000_NS6detail17trampoline_kernelINS0_13select_configILj256ELj13ELNS0_17block_load_methodE3ELS4_3ELS4_3ELNS0_20block_scan_algorithmE0ELj4294967295EEENS1_25partition_config_selectorILNS1_17partition_subalgoE3EjNS0_10empty_typeEbEEZZNS1_14partition_implILS8_3ELb0ES6_jNS0_17counting_iteratorIjlEEPS9_SE_NS0_5tupleIJPjSE_EEENSF_IJSE_SE_EEES9_SG_JZNS1_25segmented_radix_sort_implINS0_14default_configELb1EPKiPiPKlPlN2at6native12_GLOBAL__N_18offset_tEEE10hipError_tPvRmT1_PNSt15iterator_traitsISY_E10value_typeET2_T3_PNSZ_IS14_E10value_typeET4_jRbjT5_S1A_jjP12ihipStream_tbEUljE_EEESV_SW_SX_S14_S18_S1A_T6_T7_T9_mT8_S1C_bDpT10_ENKUlT_T0_E_clISt17integral_constantIbLb0EES1O_IbLb1EEEEDaS1K_S1L_EUlS1K_E_NS1_11comp_targetILNS1_3genE8ELNS1_11target_archE1030ELNS1_3gpuE2ELNS1_3repE0EEENS1_30default_config_static_selectorELNS0_4arch9wavefront6targetE0EEEvSY_.num_agpr, 0
	.set _ZN7rocprim17ROCPRIM_400000_NS6detail17trampoline_kernelINS0_13select_configILj256ELj13ELNS0_17block_load_methodE3ELS4_3ELS4_3ELNS0_20block_scan_algorithmE0ELj4294967295EEENS1_25partition_config_selectorILNS1_17partition_subalgoE3EjNS0_10empty_typeEbEEZZNS1_14partition_implILS8_3ELb0ES6_jNS0_17counting_iteratorIjlEEPS9_SE_NS0_5tupleIJPjSE_EEENSF_IJSE_SE_EEES9_SG_JZNS1_25segmented_radix_sort_implINS0_14default_configELb1EPKiPiPKlPlN2at6native12_GLOBAL__N_18offset_tEEE10hipError_tPvRmT1_PNSt15iterator_traitsISY_E10value_typeET2_T3_PNSZ_IS14_E10value_typeET4_jRbjT5_S1A_jjP12ihipStream_tbEUljE_EEESV_SW_SX_S14_S18_S1A_T6_T7_T9_mT8_S1C_bDpT10_ENKUlT_T0_E_clISt17integral_constantIbLb0EES1O_IbLb1EEEEDaS1K_S1L_EUlS1K_E_NS1_11comp_targetILNS1_3genE8ELNS1_11target_archE1030ELNS1_3gpuE2ELNS1_3repE0EEENS1_30default_config_static_selectorELNS0_4arch9wavefront6targetE0EEEvSY_.numbered_sgpr, 0
	.set _ZN7rocprim17ROCPRIM_400000_NS6detail17trampoline_kernelINS0_13select_configILj256ELj13ELNS0_17block_load_methodE3ELS4_3ELS4_3ELNS0_20block_scan_algorithmE0ELj4294967295EEENS1_25partition_config_selectorILNS1_17partition_subalgoE3EjNS0_10empty_typeEbEEZZNS1_14partition_implILS8_3ELb0ES6_jNS0_17counting_iteratorIjlEEPS9_SE_NS0_5tupleIJPjSE_EEENSF_IJSE_SE_EEES9_SG_JZNS1_25segmented_radix_sort_implINS0_14default_configELb1EPKiPiPKlPlN2at6native12_GLOBAL__N_18offset_tEEE10hipError_tPvRmT1_PNSt15iterator_traitsISY_E10value_typeET2_T3_PNSZ_IS14_E10value_typeET4_jRbjT5_S1A_jjP12ihipStream_tbEUljE_EEESV_SW_SX_S14_S18_S1A_T6_T7_T9_mT8_S1C_bDpT10_ENKUlT_T0_E_clISt17integral_constantIbLb0EES1O_IbLb1EEEEDaS1K_S1L_EUlS1K_E_NS1_11comp_targetILNS1_3genE8ELNS1_11target_archE1030ELNS1_3gpuE2ELNS1_3repE0EEENS1_30default_config_static_selectorELNS0_4arch9wavefront6targetE0EEEvSY_.num_named_barrier, 0
	.set _ZN7rocprim17ROCPRIM_400000_NS6detail17trampoline_kernelINS0_13select_configILj256ELj13ELNS0_17block_load_methodE3ELS4_3ELS4_3ELNS0_20block_scan_algorithmE0ELj4294967295EEENS1_25partition_config_selectorILNS1_17partition_subalgoE3EjNS0_10empty_typeEbEEZZNS1_14partition_implILS8_3ELb0ES6_jNS0_17counting_iteratorIjlEEPS9_SE_NS0_5tupleIJPjSE_EEENSF_IJSE_SE_EEES9_SG_JZNS1_25segmented_radix_sort_implINS0_14default_configELb1EPKiPiPKlPlN2at6native12_GLOBAL__N_18offset_tEEE10hipError_tPvRmT1_PNSt15iterator_traitsISY_E10value_typeET2_T3_PNSZ_IS14_E10value_typeET4_jRbjT5_S1A_jjP12ihipStream_tbEUljE_EEESV_SW_SX_S14_S18_S1A_T6_T7_T9_mT8_S1C_bDpT10_ENKUlT_T0_E_clISt17integral_constantIbLb0EES1O_IbLb1EEEEDaS1K_S1L_EUlS1K_E_NS1_11comp_targetILNS1_3genE8ELNS1_11target_archE1030ELNS1_3gpuE2ELNS1_3repE0EEENS1_30default_config_static_selectorELNS0_4arch9wavefront6targetE0EEEvSY_.private_seg_size, 0
	.set _ZN7rocprim17ROCPRIM_400000_NS6detail17trampoline_kernelINS0_13select_configILj256ELj13ELNS0_17block_load_methodE3ELS4_3ELS4_3ELNS0_20block_scan_algorithmE0ELj4294967295EEENS1_25partition_config_selectorILNS1_17partition_subalgoE3EjNS0_10empty_typeEbEEZZNS1_14partition_implILS8_3ELb0ES6_jNS0_17counting_iteratorIjlEEPS9_SE_NS0_5tupleIJPjSE_EEENSF_IJSE_SE_EEES9_SG_JZNS1_25segmented_radix_sort_implINS0_14default_configELb1EPKiPiPKlPlN2at6native12_GLOBAL__N_18offset_tEEE10hipError_tPvRmT1_PNSt15iterator_traitsISY_E10value_typeET2_T3_PNSZ_IS14_E10value_typeET4_jRbjT5_S1A_jjP12ihipStream_tbEUljE_EEESV_SW_SX_S14_S18_S1A_T6_T7_T9_mT8_S1C_bDpT10_ENKUlT_T0_E_clISt17integral_constantIbLb0EES1O_IbLb1EEEEDaS1K_S1L_EUlS1K_E_NS1_11comp_targetILNS1_3genE8ELNS1_11target_archE1030ELNS1_3gpuE2ELNS1_3repE0EEENS1_30default_config_static_selectorELNS0_4arch9wavefront6targetE0EEEvSY_.uses_vcc, 0
	.set _ZN7rocprim17ROCPRIM_400000_NS6detail17trampoline_kernelINS0_13select_configILj256ELj13ELNS0_17block_load_methodE3ELS4_3ELS4_3ELNS0_20block_scan_algorithmE0ELj4294967295EEENS1_25partition_config_selectorILNS1_17partition_subalgoE3EjNS0_10empty_typeEbEEZZNS1_14partition_implILS8_3ELb0ES6_jNS0_17counting_iteratorIjlEEPS9_SE_NS0_5tupleIJPjSE_EEENSF_IJSE_SE_EEES9_SG_JZNS1_25segmented_radix_sort_implINS0_14default_configELb1EPKiPiPKlPlN2at6native12_GLOBAL__N_18offset_tEEE10hipError_tPvRmT1_PNSt15iterator_traitsISY_E10value_typeET2_T3_PNSZ_IS14_E10value_typeET4_jRbjT5_S1A_jjP12ihipStream_tbEUljE_EEESV_SW_SX_S14_S18_S1A_T6_T7_T9_mT8_S1C_bDpT10_ENKUlT_T0_E_clISt17integral_constantIbLb0EES1O_IbLb1EEEEDaS1K_S1L_EUlS1K_E_NS1_11comp_targetILNS1_3genE8ELNS1_11target_archE1030ELNS1_3gpuE2ELNS1_3repE0EEENS1_30default_config_static_selectorELNS0_4arch9wavefront6targetE0EEEvSY_.uses_flat_scratch, 0
	.set _ZN7rocprim17ROCPRIM_400000_NS6detail17trampoline_kernelINS0_13select_configILj256ELj13ELNS0_17block_load_methodE3ELS4_3ELS4_3ELNS0_20block_scan_algorithmE0ELj4294967295EEENS1_25partition_config_selectorILNS1_17partition_subalgoE3EjNS0_10empty_typeEbEEZZNS1_14partition_implILS8_3ELb0ES6_jNS0_17counting_iteratorIjlEEPS9_SE_NS0_5tupleIJPjSE_EEENSF_IJSE_SE_EEES9_SG_JZNS1_25segmented_radix_sort_implINS0_14default_configELb1EPKiPiPKlPlN2at6native12_GLOBAL__N_18offset_tEEE10hipError_tPvRmT1_PNSt15iterator_traitsISY_E10value_typeET2_T3_PNSZ_IS14_E10value_typeET4_jRbjT5_S1A_jjP12ihipStream_tbEUljE_EEESV_SW_SX_S14_S18_S1A_T6_T7_T9_mT8_S1C_bDpT10_ENKUlT_T0_E_clISt17integral_constantIbLb0EES1O_IbLb1EEEEDaS1K_S1L_EUlS1K_E_NS1_11comp_targetILNS1_3genE8ELNS1_11target_archE1030ELNS1_3gpuE2ELNS1_3repE0EEENS1_30default_config_static_selectorELNS0_4arch9wavefront6targetE0EEEvSY_.has_dyn_sized_stack, 0
	.set _ZN7rocprim17ROCPRIM_400000_NS6detail17trampoline_kernelINS0_13select_configILj256ELj13ELNS0_17block_load_methodE3ELS4_3ELS4_3ELNS0_20block_scan_algorithmE0ELj4294967295EEENS1_25partition_config_selectorILNS1_17partition_subalgoE3EjNS0_10empty_typeEbEEZZNS1_14partition_implILS8_3ELb0ES6_jNS0_17counting_iteratorIjlEEPS9_SE_NS0_5tupleIJPjSE_EEENSF_IJSE_SE_EEES9_SG_JZNS1_25segmented_radix_sort_implINS0_14default_configELb1EPKiPiPKlPlN2at6native12_GLOBAL__N_18offset_tEEE10hipError_tPvRmT1_PNSt15iterator_traitsISY_E10value_typeET2_T3_PNSZ_IS14_E10value_typeET4_jRbjT5_S1A_jjP12ihipStream_tbEUljE_EEESV_SW_SX_S14_S18_S1A_T6_T7_T9_mT8_S1C_bDpT10_ENKUlT_T0_E_clISt17integral_constantIbLb0EES1O_IbLb1EEEEDaS1K_S1L_EUlS1K_E_NS1_11comp_targetILNS1_3genE8ELNS1_11target_archE1030ELNS1_3gpuE2ELNS1_3repE0EEENS1_30default_config_static_selectorELNS0_4arch9wavefront6targetE0EEEvSY_.has_recursion, 0
	.set _ZN7rocprim17ROCPRIM_400000_NS6detail17trampoline_kernelINS0_13select_configILj256ELj13ELNS0_17block_load_methodE3ELS4_3ELS4_3ELNS0_20block_scan_algorithmE0ELj4294967295EEENS1_25partition_config_selectorILNS1_17partition_subalgoE3EjNS0_10empty_typeEbEEZZNS1_14partition_implILS8_3ELb0ES6_jNS0_17counting_iteratorIjlEEPS9_SE_NS0_5tupleIJPjSE_EEENSF_IJSE_SE_EEES9_SG_JZNS1_25segmented_radix_sort_implINS0_14default_configELb1EPKiPiPKlPlN2at6native12_GLOBAL__N_18offset_tEEE10hipError_tPvRmT1_PNSt15iterator_traitsISY_E10value_typeET2_T3_PNSZ_IS14_E10value_typeET4_jRbjT5_S1A_jjP12ihipStream_tbEUljE_EEESV_SW_SX_S14_S18_S1A_T6_T7_T9_mT8_S1C_bDpT10_ENKUlT_T0_E_clISt17integral_constantIbLb0EES1O_IbLb1EEEEDaS1K_S1L_EUlS1K_E_NS1_11comp_targetILNS1_3genE8ELNS1_11target_archE1030ELNS1_3gpuE2ELNS1_3repE0EEENS1_30default_config_static_selectorELNS0_4arch9wavefront6targetE0EEEvSY_.has_indirect_call, 0
	.section	.AMDGPU.csdata,"",@progbits
; Kernel info:
; codeLenInByte = 0
; TotalNumSgprs: 0
; NumVgprs: 0
; ScratchSize: 0
; MemoryBound: 0
; FloatMode: 240
; IeeeMode: 1
; LDSByteSize: 0 bytes/workgroup (compile time only)
; SGPRBlocks: 0
; VGPRBlocks: 0
; NumSGPRsForWavesPerEU: 1
; NumVGPRsForWavesPerEU: 1
; NamedBarCnt: 0
; Occupancy: 16
; WaveLimiterHint : 0
; COMPUTE_PGM_RSRC2:SCRATCH_EN: 0
; COMPUTE_PGM_RSRC2:USER_SGPR: 2
; COMPUTE_PGM_RSRC2:TRAP_HANDLER: 0
; COMPUTE_PGM_RSRC2:TGID_X_EN: 1
; COMPUTE_PGM_RSRC2:TGID_Y_EN: 0
; COMPUTE_PGM_RSRC2:TGID_Z_EN: 0
; COMPUTE_PGM_RSRC2:TIDIG_COMP_CNT: 0
	.text
	.p2align	2                               ; -- Begin function _ZN7rocprim17ROCPRIM_400000_NS6detail40segmented_radix_sort_single_block_helperIilLj256ELj16ELb1EE4sortIPKiPiPKlPlEEbT_T0_T1_T2_jjjjRNS3_12storage_typeE
	.type	_ZN7rocprim17ROCPRIM_400000_NS6detail40segmented_radix_sort_single_block_helperIilLj256ELj16ELb1EE4sortIPKiPiPKlPlEEbT_T0_T1_T2_jjjjRNS3_12storage_typeE,@function
_ZN7rocprim17ROCPRIM_400000_NS6detail40segmented_radix_sort_single_block_helperIilLj256ELj16ELb1EE4sortIPKiPiPKlPlEEbT_T0_T1_T2_jjjjRNS3_12storage_typeE: ; @_ZN7rocprim17ROCPRIM_400000_NS6detail40segmented_radix_sort_single_block_helperIilLj256ELj16ELb1EE4sortIPKiPiPKlPlEEbT_T0_T1_T2_jjjjRNS3_12storage_typeE
; %bb.0:
	s_wait_loadcnt_dscnt 0x0
	s_wait_kmcnt 0x0
	s_set_vgpr_msb 64                       ;  msbs: dst=1 src0=0 src1=0 src2=0
	v_sub_nc_u32_e32 v2 /*v258*/, v9, v8
	s_mov_b32 s19, exec_lo
	s_set_vgpr_msb 4                        ;  msbs: dst=0 src0=0 src1=1 src2=0
	s_delay_alu instid0(VALU_DEP_1)
	v_cmpx_gt_u32_e32 0x1001, v2 /*v258*/
	s_set_vgpr_msb 0                        ;  msbs: dst=0 src0=0 src1=0 src2=0
	s_cbranch_execz .LBB493_372
; %bb.1:
	v_bfe_u32 v9, v31, 10, 10
	v_bfe_u32 v14, v31, 20, 10
	v_and_b32_e32 v22, 0x3ff, v31
	v_mbcnt_lo_u32_b32 v98, -1, 0
	s_getreg_b32 s20, hwreg(HW_REG_IB_STS2, 6, 4)
	s_mov_b32 s0, exec_lo
	s_set_vgpr_msb 4                        ;  msbs: dst=0 src0=0 src1=1 src2=0
	v_cmpx_lt_u32_e32 0x800, v2 /*v258*/
	s_xor_b32 s21, exec_lo, s0
	s_set_vgpr_msb 0                        ;  msbs: dst=0 src0=0 src1=0 src2=0
	s_cbranch_execz .LBB493_143
; %bb.2:
	s_load_b64 s[0:1], s[8:9], 0x0
	s_bfe_u32 s3, ttmp6, 0x4000c
	s_bfe_u32 s5, ttmp6, 0x40010
	s_and_b32 s4, ttmp7, 0xffff
	s_add_co_i32 s3, s3, 1
	s_add_co_i32 s5, s5, 1
	s_and_b32 s2, ttmp6, 15
	s_bfe_u32 s6, ttmp6, 0x40004
	s_mul_i32 s3, ttmp9, s3
	s_mul_i32 s5, s4, s5
	s_add_co_i32 s2, s2, s3
	s_add_co_i32 s6, s6, s5
	s_cmp_eq_u32 s20, 0
	s_mov_b32 s3, 0
	s_cselect_b32 s2, ttmp9, s2
	s_cselect_b32 s4, s4, s6
	v_dual_mov_b32 v99, -1 :: v_dual_mov_b32 v101, -1
	s_wait_kmcnt 0x0
	s_cmp_lt_u32 s2, s0
	s_cselect_b32 s2, 12, 18
	s_cmp_lt_u32 s4, s1
	s_mov_b32 s1, s3
	s_cselect_b32 s0, 14, 20
	s_delay_alu instid0(SALU_CYCLE_1)
	s_add_nc_u64 s[0:1], s[8:9], s[0:1]
	s_load_u16 s4, s[0:1], 0x0
	s_wait_xcnt 0x0
	s_add_nc_u64 s[0:1], s[8:9], s[2:3]
	s_load_u16 s0, s[0:1], 0x0
	s_wait_kmcnt 0x0
	v_mad_u32_u24 v9, v14, s4, v9
	v_lshlrev_b32_e32 v14, 2, v98
	s_delay_alu instid0(VALU_DEP_2) | instskip(SKIP_1) | instid1(VALU_DEP_1)
	v_mad_u32 v38, v9, s0, v22
	v_mov_b32_e32 v9, 0
	v_lshl_add_u64 v[16:17], v[8:9], 2, v[0:1]
	s_delay_alu instid0(VALU_DEP_3) | instskip(NEXT) | instid1(VALU_DEP_1)
	v_dual_mov_b32 v15, v9 :: v_dual_lshlrev_b32 v18, 4, v38
	v_add_nc_u64_e32 v[14:15], v[16:17], v[14:15]
	s_delay_alu instid0(VALU_DEP_2) | instskip(NEXT) | instid1(VALU_DEP_1)
	v_and_b32_e32 v0, 0xfffffe00, v18
	v_dual_mov_b32 v1, v9 :: v_dual_bitop2_b32 v16, v0, v98 bitop3:0x54
	s_delay_alu instid0(VALU_DEP_1) | instskip(SKIP_1) | instid1(VALU_DEP_2)
	v_lshl_add_u64 v[14:15], v[0:1], 2, v[14:15]
	s_set_vgpr_msb 4                        ;  msbs: dst=0 src0=0 src1=1 src2=0
	v_cmp_lt_u32_e32 vcc_lo, v16, v2 /*v258*/
	s_and_saveexec_b32 s0, vcc_lo
	s_set_vgpr_msb 0                        ;  msbs: dst=0 src0=0 src1=0 src2=0
	s_cbranch_execz .LBB493_4
; %bb.3:
	flat_load_b32 v17, v[14:15]
	s_wait_loadcnt_dscnt 0x0
	v_xor_b32_e32 v101, 0x7fffffff, v17
.LBB493_4:
	s_wait_xcnt 0x0
	s_or_b32 exec_lo, exec_lo, s0
	v_or_b32_e32 v17, 32, v16
	s_set_vgpr_msb 4                        ;  msbs: dst=0 src0=0 src1=1 src2=0
	s_delay_alu instid0(VALU_DEP_1)
	v_cmp_lt_u32_e64 s0, v17, v2 /*v258*/
	s_and_saveexec_b32 s1, s0
	s_set_vgpr_msb 0                        ;  msbs: dst=0 src0=0 src1=0 src2=0
	s_cbranch_execz .LBB493_6
; %bb.5:
	flat_load_b32 v17, v[14:15] offset:128
	s_wait_loadcnt_dscnt 0x0
	v_xor_b32_e32 v99, 0x7fffffff, v17
.LBB493_6:
	s_wait_xcnt 0x0
	s_or_b32 exec_lo, exec_lo, s1
	v_dual_mov_b32 v103, -1 :: v_dual_bitop2_b32 v17, 64, v16 bitop3:0x54
	v_mov_b32_e32 v113, -1
	s_set_vgpr_msb 4                        ;  msbs: dst=0 src0=0 src1=1 src2=0
	s_delay_alu instid0(VALU_DEP_2)
	v_cmp_lt_u32_e64 s1, v17, v2 /*v258*/
	s_and_saveexec_b32 s2, s1
	s_set_vgpr_msb 0                        ;  msbs: dst=0 src0=0 src1=0 src2=0
	s_cbranch_execz .LBB493_8
; %bb.7:
	flat_load_b32 v17, v[14:15] offset:256
	s_wait_loadcnt_dscnt 0x0
	v_xor_b32_e32 v113, 0x7fffffff, v17
.LBB493_8:
	s_wait_xcnt 0x0
	s_or_b32 exec_lo, exec_lo, s2
	v_or_b32_e32 v17, 0x60, v16
	s_set_vgpr_msb 4                        ;  msbs: dst=0 src0=0 src1=1 src2=0
	s_delay_alu instid0(VALU_DEP_1)
	v_cmp_lt_u32_e64 s2, v17, v2 /*v258*/
	s_and_saveexec_b32 s3, s2
	s_set_vgpr_msb 0                        ;  msbs: dst=0 src0=0 src1=0 src2=0
	s_cbranch_execz .LBB493_10
; %bb.9:
	flat_load_b32 v17, v[14:15] offset:384
	s_wait_loadcnt_dscnt 0x0
	v_xor_b32_e32 v103, 0x7fffffff, v17
.LBB493_10:
	s_wait_xcnt 0x0
	s_or_b32 exec_lo, exec_lo, s3
	v_or_b32_e32 v17, 0x80, v16
	v_dual_mov_b32 v115, -1 :: v_dual_mov_b32 v117, -1
	s_set_vgpr_msb 4                        ;  msbs: dst=0 src0=0 src1=1 src2=0
	s_delay_alu instid0(VALU_DEP_2)
	v_cmp_lt_u32_e64 s3, v17, v2 /*v258*/
	s_and_saveexec_b32 s4, s3
	s_set_vgpr_msb 0                        ;  msbs: dst=0 src0=0 src1=0 src2=0
	s_cbranch_execz .LBB493_12
; %bb.11:
	flat_load_b32 v17, v[14:15] offset:512
	s_wait_loadcnt_dscnt 0x0
	v_xor_b32_e32 v117, 0x7fffffff, v17
.LBB493_12:
	s_wait_xcnt 0x0
	s_or_b32 exec_lo, exec_lo, s4
	v_or_b32_e32 v17, 0xa0, v16
	s_set_vgpr_msb 4                        ;  msbs: dst=0 src0=0 src1=1 src2=0
	s_delay_alu instid0(VALU_DEP_1)
	v_cmp_lt_u32_e64 s4, v17, v2 /*v258*/
	s_and_saveexec_b32 s5, s4
	s_set_vgpr_msb 0                        ;  msbs: dst=0 src0=0 src1=0 src2=0
	s_cbranch_execz .LBB493_14
; %bb.13:
	flat_load_b32 v17, v[14:15] offset:640
	s_wait_loadcnt_dscnt 0x0
	v_xor_b32_e32 v115, 0x7fffffff, v17
.LBB493_14:
	s_wait_xcnt 0x0
	s_or_b32 exec_lo, exec_lo, s5
	v_or_b32_e32 v17, 0xc0, v16
	v_dual_mov_b32 v119, -1 :: v_dual_mov_b32 v129, -1
	;; [unrolled: 29-line block ×6, first 2 shown]
	s_set_vgpr_msb 4                        ;  msbs: dst=0 src0=0 src1=1 src2=0
	s_delay_alu instid0(VALU_DEP_2)
	v_cmp_lt_u32_e64 s15, v17, v2 /*v258*/
	s_and_saveexec_b32 s16, s15
	s_set_vgpr_msb 0                        ;  msbs: dst=0 src0=0 src1=0 src2=0
	s_cbranch_execz .LBB493_32
; %bb.31:
	flat_load_b32 v17, v[14:15] offset:1792
	s_wait_loadcnt_dscnt 0x0
	v_xor_b32_e32 v181, 0x7fffffff, v17
.LBB493_32:
	s_wait_xcnt 0x0
	s_or_b32 exec_lo, exec_lo, s16
	v_or_b32_e32 v16, 0x1e0, v16
	s_set_vgpr_msb 4                        ;  msbs: dst=0 src0=0 src1=1 src2=0
	s_delay_alu instid0(VALU_DEP_1)
	v_cmp_lt_u32_e64 s16, v16, v2 /*v258*/
	s_and_saveexec_b32 s17, s16
	s_set_vgpr_msb 0                        ;  msbs: dst=0 src0=0 src1=0 src2=0
	s_cbranch_execz .LBB493_34
; %bb.33:
	flat_load_b32 v14, v[14:15] offset:1920
	s_wait_loadcnt_dscnt 0x0
	v_xor_b32_e32 v163, 0x7fffffff, v14
.LBB493_34:
	s_wait_xcnt 0x0
	s_or_b32 exec_lo, exec_lo, s17
	v_lshl_add_u64 v[4:5], v[8:9], 3, v[4:5]
	v_dual_mov_b32 v15, 0 :: v_dual_lshlrev_b32 v14, 3, v98
                                        ; implicit-def: $vgpr80_vgpr81
	s_delay_alu instid0(VALU_DEP_1) | instskip(NEXT) | instid1(VALU_DEP_1)
	v_add_nc_u64_e32 v[4:5], v[4:5], v[14:15]
	v_lshl_add_u64 v[0:1], v[0:1], 3, v[4:5]
	s_and_saveexec_b32 s17, vcc_lo
	s_cbranch_execnz .LBB493_196
; %bb.35:
	s_or_b32 exec_lo, exec_lo, s17
                                        ; implicit-def: $vgpr68_vgpr69
	s_and_saveexec_b32 s17, s0
	s_cbranch_execnz .LBB493_197
.LBB493_36:
	s_or_b32 exec_lo, exec_lo, s17
                                        ; implicit-def: $vgpr70_vgpr71
	s_and_saveexec_b32 s0, s1
	s_cbranch_execnz .LBB493_198
.LBB493_37:
	s_or_b32 exec_lo, exec_lo, s0
                                        ; implicit-def: $vgpr82_vgpr83
	s_and_saveexec_b32 s0, s2
	s_cbranch_execnz .LBB493_199
.LBB493_38:
	s_or_b32 exec_lo, exec_lo, s0
                                        ; implicit-def: $vgpr84_vgpr85
	s_and_saveexec_b32 s0, s3
	s_cbranch_execnz .LBB493_200
.LBB493_39:
	s_or_b32 exec_lo, exec_lo, s0
                                        ; implicit-def: $vgpr86_vgpr87
	s_and_saveexec_b32 s0, s4
	s_cbranch_execnz .LBB493_201
.LBB493_40:
	s_or_b32 exec_lo, exec_lo, s0
                                        ; implicit-def: $vgpr96_vgpr97
	s_and_saveexec_b32 s0, s5
	s_cbranch_execnz .LBB493_202
.LBB493_41:
	s_or_b32 exec_lo, exec_lo, s0
                                        ; implicit-def: $vgpr146_vgpr147
	s_and_saveexec_b32 s0, s6
	s_cbranch_execnz .LBB493_203
.LBB493_42:
	s_or_b32 exec_lo, exec_lo, s0
                                        ; implicit-def: $vgpr148_vgpr149
	s_and_saveexec_b32 s0, s7
	s_cbranch_execnz .LBB493_204
.LBB493_43:
	s_or_b32 exec_lo, exec_lo, s0
                                        ; implicit-def: $vgpr164_vgpr165
	s_and_saveexec_b32 s0, s10
	s_cbranch_execnz .LBB493_205
.LBB493_44:
	s_or_b32 exec_lo, exec_lo, s0
                                        ; implicit-def: $vgpr176_vgpr177
	s_and_saveexec_b32 s0, s11
	s_cbranch_execnz .LBB493_206
.LBB493_45:
	s_or_b32 exec_lo, exec_lo, s0
                                        ; implicit-def: $vgpr166_vgpr167
	s_and_saveexec_b32 s0, s12
	s_cbranch_execnz .LBB493_207
.LBB493_46:
	s_or_b32 exec_lo, exec_lo, s0
                                        ; implicit-def: $vgpr178_vgpr179
	s_and_saveexec_b32 s0, s13
	s_cbranch_execnz .LBB493_208
.LBB493_47:
	s_or_b32 exec_lo, exec_lo, s0
                                        ; implicit-def: $vgpr196_vgpr197
	s_and_saveexec_b32 s0, s14
	s_cbranch_execnz .LBB493_209
.LBB493_48:
	s_or_b32 exec_lo, exec_lo, s0
                                        ; implicit-def: $vgpr208_vgpr209
	s_and_saveexec_b32 s0, s15
	s_cbranch_execnz .LBB493_210
.LBB493_49:
	s_or_b32 exec_lo, exec_lo, s0
                                        ; implicit-def: $vgpr240_vgpr241
	s_and_saveexec_b32 s0, s16
	s_cbranch_execz .LBB493_51
.LBB493_50:
	flat_load_b64 v[240:241], v[0:1] offset:3840
.LBB493_51:
	s_wait_xcnt 0x0
	s_or_b32 exec_lo, exec_lo, s0
	v_lshl_add_u32 v0, v22, 5, v12
	v_and_b32_e32 v1, 0x3e0, v22
	v_sub_co_u32 v14, s2, v98, 1
	s_get_pc_i64 s[0:1]
	s_add_nc_u64 s[0:1], s[0:1], _ZN7rocprim17ROCPRIM_400000_NS16block_radix_sortIiLj256ELj16ElLj1ELj1ELj8ELNS0_26block_radix_rank_algorithmE2ELNS0_18block_padding_hintE2ELNS0_4arch9wavefront6targetE0EE19radix_bits_per_passE@rel64+4
	v_dual_add_nc_u32 v23, 32, v0 :: v_dual_add_nc_u32 v39, 36, v0
	s_set_vgpr_msb 64                       ;  msbs: dst=1 src0=0 src1=0 src2=0
	v_dual_add_nc_u32 v3 /*v259*/, 40, v0 :: v_dual_add_nc_u32 v4 /*v260*/, 44, v0
	v_dual_add_nc_u32 v5 /*v261*/, 48, v0 :: v_dual_add_nc_u32 v6 /*v262*/, 52, v0
	v_dual_add_nc_u32 v7 /*v263*/, 56, v0 :: v_dual_add_nc_u32 v8 /*v264*/, 60, v0
	s_set_vgpr_msb 0                        ;  msbs: dst=0 src0=0 src1=0 src2=0
	v_min_u32_e32 v0, 0xe0, v1
	v_lshlrev_b32_e32 v5, 4, v22
	v_cmp_gt_i32_e64 s6, 0, v14
	v_and_b32_e32 v4, 15, v98
	s_load_b32 s22, s[0:1], 0x0
	v_or_b32_e32 v0, 31, v0
	v_and_b32_e32 v15, 7, v98
	v_mov_b64_e32 v[52:53], 0
	v_cmp_lt_u32_e64 s7, 31, v22
	v_cmp_eq_u32_e64 s10, 0, v22
	v_cmp_eq_u32_e64 s5, v22, v0
	v_and_or_b32 v0, 0x3e00, v5, v98
	v_and_b32_e32 v1, 16, v98
	v_cmp_eq_u32_e64 s11, 0, v15
	v_cmp_lt_u32_e64 s12, 1, v15
	v_cmp_lt_u32_e64 s13, 3, v15
	s_set_vgpr_msb 64                       ;  msbs: dst=1 src0=0 src1=0 src2=0
	v_sub_nc_u32_e32 v14 /*v270*/, v11, v10
	v_cmp_eq_u32_e64 s4, 0, v1
	s_set_vgpr_msb 0                        ;  msbs: dst=0 src0=0 src1=0 src2=0
	v_cndmask_b32_e64 v1, v14, v98, s6
	v_cmp_eq_u32_e32 vcc_lo, 0, v4
	s_wait_xcnt 0x0
	v_cmp_lt_u32_e64 s0, 1, v4
	v_cmp_lt_u32_e64 s1, 3, v4
	;; [unrolled: 1-line block ×3, first 2 shown]
	v_dual_lshrrev_b32 v4, 3, v22 :: v_dual_lshlrev_b32 v14, 2, v0
	s_set_vgpr_msb 64                       ;  msbs: dst=1 src0=0 src1=0 src2=0
	v_dual_lshrrev_b32 v9 /*v265*/, 5, v38 :: v_dual_lshlrev_b32 v10 /*v266*/, 2, v1
	s_set_vgpr_msb 0                        ;  msbs: dst=0 src0=0 src1=0 src2=0
	v_mov_b32_e32 v1, 0
	v_and_b32_e32 v4, 0x7c, v4
	v_lshlrev_b32_e32 v0, 2, v22
	s_set_vgpr_msb 64                       ;  msbs: dst=1 src0=0 src1=0 src2=0
	v_add_nc_u32_e32 v11 /*v267*/, v12, v14
	v_cmp_gt_u32_e64 s6, 8, v22
	s_mov_b32 s23, 0
	v_add_nc_u32_e32 v12 /*v268*/, v12, v4
	s_set_vgpr_msb 0                        ;  msbs: dst=0 src0=0 src1=0 src2=0
	v_add_nc_u64_e32 v[4:5], v[12:13], v[0:1]
	s_set_vgpr_msb 1                        ;  msbs: dst=0 src0=1 src1=0 src2=0
	v_add_nc_u32_e32 v5, v11 /*v267*/, v14
	s_wait_storecnt 0x0
	s_wait_loadcnt_dscnt 0x0
	s_barrier_signal -1
	s_barrier_wait -1
	s_set_vgpr_msb 64                       ;  msbs: dst=1 src0=0 src1=0 src2=0
	v_add_nc_u32_e32 v13 /*v269*/, 0xf00, v5
	s_set_vgpr_msb 0                        ;  msbs: dst=0 src0=0 src1=0 src2=0
	s_branch .LBB493_53
.LBB493_52:                             ;   in Loop: Header=BB493_53 Depth=1
	s_or_b32 exec_lo, exec_lo, s15
	s_delay_alu instid0(SALU_CYCLE_1) | instskip(NEXT) | instid1(SALU_CYCLE_1)
	s_and_b32 s14, exec_lo, s16
	s_or_b32 s23, s14, s23
	s_delay_alu instid0(SALU_CYCLE_1)
	s_and_not1_b32 exec_lo, exec_lo, s23
	s_cbranch_execz .LBB493_93
.LBB493_53:                             ; =>This Inner Loop Header: Depth=1
	s_wait_kmcnt 0x0
	s_set_vgpr_msb 4                        ;  msbs: dst=0 src0=0 src1=1 src2=0
	v_min_u32_e32 v0, s22, v14 /*v270*/
	s_set_vgpr_msb 64                       ;  msbs: dst=1 src0=0 src1=0 src2=0
	v_dual_mov_b32 v15 /*v271*/, v101 :: v_dual_mov_b32 v17 /*v273*/, v99
	s_set_vgpr_msb 4                        ;  msbs: dst=0 src0=0 src1=1 src2=0
	v_mov_b64_e32 v[32:33], v[70:71]
	v_mov_b64_e32 v[34:35], v[68:69]
	v_lshlrev_b32_e64 v70, v0, -1
	v_lshrrev_b32_e32 v0, v10, v15 /*v271*/
	v_mov_b64_e32 v[54:55], v[80:81]
	v_mov_b64_e32 v[30:31], v[82:83]
	;; [unrolled: 1-line block ×4, first 2 shown]
	s_set_vgpr_msb 0                        ;  msbs: dst=0 src0=0 src1=0 src2=0
	v_bitop3_b32 v68, v0, v70, v0 bitop3:0x30
	v_bitop3_b32 v0, v0, 1, v70 bitop3:0x40
	v_mov_b64_e32 v[24:25], v[96:97]
	v_mov_b64_e32 v[20:21], v[146:147]
	;; [unrolled: 1-line block ×3, first 2 shown]
	v_lshlrev_b32_e32 v69, 30, v68
	v_add_co_u32 v0, s14, v0, -1
	s_delay_alu instid0(VALU_DEP_1)
	v_cndmask_b32_e64 v71, 0, 1, s14
	v_lshlrev_b32_e32 v83, 25, v68
	v_mov_b64_e32 v[16:17], v[164:165]
	v_mov_b64_e32 v[14:15], v[176:177]
	;; [unrolled: 1-line block ×3, first 2 shown]
	v_cmp_ne_u32_e64 s14, 0, v71
	v_lshlrev_b32_e32 v71, 29, v68
	v_not_b32_e32 v80, v69
	v_cmp_gt_i32_e64 s15, 0, v69
	v_mov_b64_e32 v[48:49], v[178:179]
	v_xor_b32_e32 v0, s14, v0
	v_not_b32_e32 v81, v71
	v_ashrrev_i32_e32 v69, 31, v80
	v_cmp_gt_i32_e64 s14, 0, v71
	v_mov_b64_e32 v[36:37], v[196:197]
	v_mov_b64_e32 v[66:67], v[208:209]
	v_dual_ashrrev_i32 v71, 31, v81 :: v_dual_lshlrev_b32 v80, 28, v68
	v_dual_lshlrev_b32 v81, 27, v68 :: v_dual_bitop2_b32 v69, s15, v69 bitop3:0x14
	v_mov_b64_e32 v[64:65], v[240:241]
	s_set_vgpr_msb 64                       ;  msbs: dst=1 src0=0 src1=0 src2=0
	v_dual_mov_b32 v16 /*v272*/, v113 :: v_dual_mov_b32 v18 /*v274*/, v103
	s_set_vgpr_msb 0                        ;  msbs: dst=0 src0=0 src1=0 src2=0
	v_not_b32_e32 v82, v80
	v_cmp_gt_i32_e64 s15, 0, v80
	s_set_vgpr_msb 64                       ;  msbs: dst=1 src0=0 src1=0 src2=0
	v_dual_mov_b32 v20 /*v276*/, v117 :: v_dual_mov_b32 v19 /*v275*/, v115
	v_dual_mov_b32 v22 /*v278*/, v129 :: v_dual_mov_b32 v21 /*v277*/, v119
	s_set_vgpr_msb 0                        ;  msbs: dst=0 src0=0 src1=0 src2=0
	v_ashrrev_i32_e32 v80, 31, v82
	v_bitop3_b32 v0, v0, v69, exec_lo bitop3:0x80
	v_lshlrev_b32_e32 v69, 26, v68
	v_not_b32_e32 v82, v81
	v_xor_b32_e32 v71, s14, v71
	v_cmp_gt_i32_e64 s14, 0, v81
	s_set_vgpr_msb 64                       ;  msbs: dst=1 src0=0 src1=0 src2=0
	v_dual_mov_b32 v23 /*v279*/, v145 :: v_dual_mov_b32 v24 /*v280*/, v135
	s_set_vgpr_msb 0                        ;  msbs: dst=0 src0=0 src1=0 src2=0
	v_not_b32_e32 v81, v69
	v_dual_ashrrev_i32 v82, 31, v82 :: v_dual_bitop2_b32 v80, s15, v80 bitop3:0x14
	v_cmp_gt_i32_e64 s15, 0, v69
	s_delay_alu instid0(VALU_DEP_3) | instskip(NEXT) | instid1(VALU_DEP_3)
	v_dual_lshlrev_b32 v69, 24, v68 :: v_dual_ashrrev_i32 v81, 31, v81
	v_bitop3_b32 v0, v0, v80, v71 bitop3:0x80
	v_not_b32_e32 v71, v83
	v_xor_b32_e32 v80, s14, v82
	s_delay_alu instid0(VALU_DEP_4)
	v_not_b32_e32 v82, v69
	v_xor_b32_e32 v81, s15, v81
	v_cmp_gt_i32_e64 s14, 0, v83
	v_ashrrev_i32_e32 v71, 31, v71
	v_cmp_gt_i32_e64 s15, 0, v69
	v_ashrrev_i32_e32 v69, 31, v82
	v_bitop3_b32 v80, v0, v81, v80 bitop3:0x80
	s_set_vgpr_msb 16                       ;  msbs: dst=0 src0=0 src1=0 src2=1
	v_lshl_add_u32 v0, v68, 3, v9 /*v265*/
	v_xor_b32_e32 v71, s14, v71
	s_set_vgpr_msb 64                       ;  msbs: dst=1 src0=0 src1=0 src2=0
	v_dual_mov_b32 v26 /*v282*/, v131 :: v_dual_mov_b32 v25 /*v281*/, v133
	s_set_vgpr_msb 0                        ;  msbs: dst=0 src0=0 src1=0 src2=0
	v_xor_b32_e32 v69, s15, v69
	s_set_vgpr_msb 64                       ;  msbs: dst=1 src0=0 src1=0 src2=0
	v_dual_mov_b32 v29 /*v285*/, v161 :: v_dual_mov_b32 v28 /*v284*/, v151
	v_dual_mov_b32 v27 /*v283*/, v181 :: v_dual_mov_b32 v30 /*v286*/, v163
	s_set_vgpr_msb 0                        ;  msbs: dst=0 src0=0 src1=0 src2=0
	v_bitop3_b32 v71, v80, v69, v71 bitop3:0x80
	v_lshl_add_u64 v[68:69], v[0:1], 2, v[12:13]
	ds_store_b64 v23, v[52:53]
	s_set_vgpr_msb 1                        ;  msbs: dst=0 src0=1 src1=0 src2=0
	ds_store_b64 v3 /*v259*/, v[52:53]
	ds_store_b64 v5 /*v261*/, v[52:53]
	;; [unrolled: 1-line block ×3, first 2 shown]
	s_wait_dscnt 0x0
	s_set_vgpr_msb 0                        ;  msbs: dst=0 src0=0 src1=0 src2=0
	v_mbcnt_lo_u32_b32 v0, v71, 0
	v_add_nc_u64_e32 v[68:69], 32, v[68:69]
	v_cmp_ne_u32_e64 s15, 0, v71
	s_barrier_signal -1
	s_barrier_wait -1
	v_cmp_eq_u32_e64 s14, 0, v0
	; wave barrier
	s_and_b32 s15, s15, s14
	s_delay_alu instid0(SALU_CYCLE_1)
	s_and_saveexec_b32 s14, s15
; %bb.54:                               ;   in Loop: Header=BB493_53 Depth=1
	v_bcnt_u32_b32 v69, v71, 0
	ds_store_b32 v68, v69
; %bb.55:                               ;   in Loop: Header=BB493_53 Depth=1
	s_or_b32 exec_lo, exec_lo, s14
	v_not_b32_e32 v85, v70
	s_set_vgpr_msb 4                        ;  msbs: dst=0 src0=0 src1=1 src2=0
	v_lshrrev_b32_e32 v69, v10, v17 /*v273*/
	; wave barrier
	s_set_vgpr_msb 0                        ;  msbs: dst=0 src0=0 src1=0 src2=0
	s_delay_alu instid0(VALU_DEP_1) | instskip(SKIP_1) | instid1(VALU_DEP_2)
	v_and_b32_e32 v70, v69, v85
	v_bitop3_b32 v69, v69, 1, v85 bitop3:0x80
	v_lshlrev_b32_e32 v81, 30, v70
	s_delay_alu instid0(VALU_DEP_2) | instskip(NEXT) | instid1(VALU_DEP_1)
	v_add_co_u32 v69, s14, v69, -1
	v_cndmask_b32_e64 v80, 0, 1, s14
	s_delay_alu instid0(VALU_DEP_1) | instskip(NEXT) | instid1(VALU_DEP_4)
	v_cmp_ne_u32_e64 s14, 0, v80
	v_not_b32_e32 v80, v81
	s_delay_alu instid0(VALU_DEP_1) | instskip(SKIP_4) | instid1(VALU_DEP_4)
	v_dual_ashrrev_i32 v80, 31, v80 :: v_dual_bitop2_b32 v69, s14, v69 bitop3:0x14
	v_dual_lshlrev_b32 v82, 29, v70 :: v_dual_lshlrev_b32 v83, 28, v70
	v_lshlrev_b32_e32 v84, 27, v70
	v_cmp_gt_i32_e64 s15, 0, v81
	v_lshlrev_b32_e32 v86, 26, v70
	v_cmp_gt_i32_e64 s16, 0, v82
	v_not_b32_e32 v81, v82
	v_not_b32_e32 v82, v83
	v_cmp_gt_i32_e64 s17, 0, v83
	v_xor_b32_e32 v80, s15, v80
	v_not_b32_e32 v83, v84
	s_delay_alu instid0(VALU_DEP_4)
	v_dual_ashrrev_i32 v81, 31, v81 :: v_dual_ashrrev_i32 v82, 31, v82
	s_set_vgpr_msb 16                       ;  msbs: dst=0 src0=0 src1=0 src2=1
	v_lshl_add_u32 v71, v70, 3, v9 /*v265*/
	v_cmp_gt_i32_e64 s18, 0, v84
	v_not_b32_e32 v84, v86
	v_xor_b32_e32 v81, s16, v81
	v_xor_b32_e32 v82, s17, v82
	v_bitop3_b32 v69, v69, v80, exec_lo bitop3:0x80
	v_dual_ashrrev_i32 v80, 31, v83 :: v_dual_lshlrev_b32 v83, 25, v70
	v_lshlrev_b32_e32 v70, 24, v70
	v_cmp_gt_i32_e64 s14, 0, v86
	v_ashrrev_i32_e32 v84, 31, v84
	s_set_vgpr_msb 0                        ;  msbs: dst=0 src0=0 src1=0 src2=0
	v_bitop3_b32 v69, v69, v82, v81 bitop3:0x80
	v_not_b32_e32 v81, v83
	v_xor_b32_e32 v80, s18, v80
	v_not_b32_e32 v82, v70
	v_xor_b32_e32 v84, s14, v84
	v_cmp_gt_i32_e64 s14, 0, v83
	v_ashrrev_i32_e32 v81, 31, v81
	v_cmp_gt_i32_e64 s15, 0, v70
	v_ashrrev_i32_e32 v70, 31, v82
	v_lshl_add_u32 v71, v71, 2, v12
	v_bitop3_b32 v80, v69, v84, v80 bitop3:0x80
	v_xor_b32_e32 v81, s14, v81
	s_delay_alu instid0(VALU_DEP_4) | instskip(SKIP_3) | instid1(VALU_DEP_1)
	v_xor_b32_e32 v70, s15, v70
	ds_load_b32 v69, v71 offset:32
	v_add_nc_u32_e32 v71, 32, v71
	; wave barrier
	v_bitop3_b32 v80, v80, v70, v81 bitop3:0x80
	v_mbcnt_lo_u32_b32 v70, v80, 0
	v_cmp_ne_u32_e64 s15, 0, v80
	s_delay_alu instid0(VALU_DEP_2) | instskip(SKIP_1) | instid1(SALU_CYCLE_1)
	v_cmp_eq_u32_e64 s14, 0, v70
	s_and_b32 s15, s15, s14
	s_and_saveexec_b32 s14, s15
	s_cbranch_execz .LBB493_57
; %bb.56:                               ;   in Loop: Header=BB493_53 Depth=1
	s_wait_dscnt 0x0
	v_bcnt_u32_b32 v80, v80, v69
	ds_store_b32 v71, v80
.LBB493_57:                             ;   in Loop: Header=BB493_53 Depth=1
	s_or_b32 exec_lo, exec_lo, s14
	s_set_vgpr_msb 4                        ;  msbs: dst=0 src0=0 src1=1 src2=0
	v_lshrrev_b32_e32 v80, v10, v16 /*v272*/
	; wave barrier
	s_set_vgpr_msb 0                        ;  msbs: dst=0 src0=0 src1=0 src2=0
	s_delay_alu instid0(VALU_DEP_1) | instskip(SKIP_1) | instid1(VALU_DEP_2)
	v_and_b32_e32 v81, v80, v85
	v_bitop3_b32 v80, v80, 1, v85 bitop3:0x80
	v_lshlrev_b32_e32 v84, 30, v81
	s_delay_alu instid0(VALU_DEP_2) | instskip(NEXT) | instid1(VALU_DEP_1)
	v_add_co_u32 v80, s14, v80, -1
	v_cndmask_b32_e64 v83, 0, 1, s14
	s_delay_alu instid0(VALU_DEP_1) | instskip(NEXT) | instid1(VALU_DEP_4)
	v_cmp_ne_u32_e64 s14, 0, v83
	v_not_b32_e32 v83, v84
	s_delay_alu instid0(VALU_DEP_1)
	v_dual_ashrrev_i32 v83, 31, v83 :: v_dual_bitop2_b32 v80, s14, v80 bitop3:0x14
	v_dual_lshlrev_b32 v86, 29, v81 :: v_dual_lshlrev_b32 v87, 28, v81
	v_lshlrev_b32_e32 v96, 27, v81
	v_cmp_gt_i32_e64 s15, 0, v84
	s_set_vgpr_msb 16                       ;  msbs: dst=0 src0=0 src1=0 src2=1
	v_lshl_add_u32 v82, v81, 3, v9 /*v265*/
	v_cmp_gt_i32_e64 s16, 0, v86
	v_not_b32_e32 v84, v86
	v_not_b32_e32 v86, v87
	v_dual_lshlrev_b32 v97, 26, v81 :: v_dual_lshlrev_b32 v98, 25, v81
	v_lshlrev_b32_e32 v81, 24, v81
	v_cmp_gt_i32_e64 s17, 0, v87
	s_delay_alu instid0(VALU_DEP_4) | instskip(SKIP_3) | instid1(VALU_DEP_4)
	v_dual_ashrrev_i32 v84, 31, v84 :: v_dual_ashrrev_i32 v86, 31, v86
	v_xor_b32_e32 v83, s15, v83
	v_not_b32_e32 v87, v96
	v_not_b32_e32 v99, v97
	v_xor_b32_e32 v84, s16, v84
	v_xor_b32_e32 v86, s17, v86
	v_bitop3_b32 v80, v80, v83, exec_lo bitop3:0x80
	v_cmp_gt_i32_e64 s14, 0, v96
	v_ashrrev_i32_e32 v83, 31, v87
	v_cmp_gt_i32_e64 s15, 0, v97
	v_ashrrev_i32_e32 v87, 31, v99
	s_set_vgpr_msb 0                        ;  msbs: dst=0 src0=0 src1=0 src2=0
	v_bitop3_b32 v80, v80, v86, v84 bitop3:0x80
	v_not_b32_e32 v84, v98
	v_not_b32_e32 v86, v81
	v_xor_b32_e32 v83, s14, v83
	v_cmp_gt_i32_e64 s14, 0, v98
	v_lshl_add_u32 v82, v82, 2, v12
	v_dual_ashrrev_i32 v84, 31, v84 :: v_dual_bitop2_b32 v87, s15, v87 bitop3:0x14
	v_cmp_gt_i32_e64 s15, 0, v81
	v_ashrrev_i32_e32 v81, 31, v86
	s_delay_alu instid0(VALU_DEP_3) | instskip(NEXT) | instid1(VALU_DEP_4)
	v_bitop3_b32 v83, v80, v87, v83 bitop3:0x80
	v_xor_b32_e32 v84, s14, v84
	ds_load_b32 v80, v82 offset:32
	v_dual_add_nc_u32 v82, 32, v82 :: v_dual_bitop2_b32 v81, s15, v81 bitop3:0x14
	; wave barrier
	s_delay_alu instid0(VALU_DEP_1) | instskip(NEXT) | instid1(VALU_DEP_1)
	v_bitop3_b32 v83, v83, v81, v84 bitop3:0x80
	v_mbcnt_lo_u32_b32 v81, v83, 0
	v_cmp_ne_u32_e64 s15, 0, v83
	s_delay_alu instid0(VALU_DEP_2) | instskip(SKIP_1) | instid1(SALU_CYCLE_1)
	v_cmp_eq_u32_e64 s14, 0, v81
	s_and_b32 s15, s15, s14
	s_and_saveexec_b32 s14, s15
	s_cbranch_execz .LBB493_59
; %bb.58:                               ;   in Loop: Header=BB493_53 Depth=1
	s_wait_dscnt 0x0
	v_bcnt_u32_b32 v83, v83, v80
	ds_store_b32 v82, v83
.LBB493_59:                             ;   in Loop: Header=BB493_53 Depth=1
	s_or_b32 exec_lo, exec_lo, s14
	s_set_vgpr_msb 4                        ;  msbs: dst=0 src0=0 src1=1 src2=0
	v_lshrrev_b32_e32 v83, v10, v18 /*v274*/
	; wave barrier
	s_set_vgpr_msb 0                        ;  msbs: dst=0 src0=0 src1=0 src2=0
	s_delay_alu instid0(VALU_DEP_1) | instskip(SKIP_1) | instid1(VALU_DEP_2)
	v_and_b32_e32 v84, v83, v85
	v_bitop3_b32 v83, v83, 1, v85 bitop3:0x80
	v_lshlrev_b32_e32 v96, 30, v84
	s_delay_alu instid0(VALU_DEP_2) | instskip(NEXT) | instid1(VALU_DEP_1)
	v_add_co_u32 v83, s14, v83, -1
	v_cndmask_b32_e64 v87, 0, 1, s14
	s_delay_alu instid0(VALU_DEP_1) | instskip(NEXT) | instid1(VALU_DEP_4)
	v_cmp_ne_u32_e64 s14, 0, v87
	v_not_b32_e32 v87, v96
	s_delay_alu instid0(VALU_DEP_2) | instskip(NEXT) | instid1(VALU_DEP_2)
	v_xor_b32_e32 v83, s14, v83
	v_dual_ashrrev_i32 v87, 31, v87 :: v_dual_lshlrev_b32 v97, 29, v84
	v_dual_lshlrev_b32 v98, 28, v84 :: v_dual_lshlrev_b32 v99, 27, v84
	v_dual_lshlrev_b32 v100, 26, v84 :: v_dual_lshlrev_b32 v101, 25, v84
	v_cmp_gt_i32_e64 s15, 0, v96
	s_delay_alu instid0(VALU_DEP_4)
	v_cmp_gt_i32_e64 s16, 0, v97
	v_not_b32_e32 v96, v97
	v_not_b32_e32 v97, v98
	s_set_vgpr_msb 16                       ;  msbs: dst=0 src0=0 src1=0 src2=1
	v_lshl_add_u32 v86, v84, 3, v9 /*v265*/
	v_lshlrev_b32_e32 v84, 24, v84
	v_cmp_gt_i32_e64 s17, 0, v98
	v_dual_ashrrev_i32 v96, 31, v96 :: v_dual_ashrrev_i32 v97, 31, v97
	v_not_b32_e32 v102, v100
	v_xor_b32_e32 v87, s15, v87
	v_not_b32_e32 v98, v99
	s_delay_alu instid0(VALU_DEP_4)
	v_xor_b32_e32 v96, s16, v96
	v_xor_b32_e32 v97, s17, v97
	v_cmp_gt_i32_e64 s14, 0, v99
	v_bitop3_b32 v83, v83, v87, exec_lo bitop3:0x80
	v_ashrrev_i32_e32 v87, 31, v98
	v_cmp_gt_i32_e64 s15, 0, v100
	v_ashrrev_i32_e32 v98, 31, v102
	s_set_vgpr_msb 0                        ;  msbs: dst=0 src0=0 src1=0 src2=0
	v_lshl_add_u32 v86, v86, 2, v12
	v_bitop3_b32 v83, v83, v97, v96 bitop3:0x80
	v_not_b32_e32 v96, v101
	v_not_b32_e32 v97, v84
	v_xor_b32_e32 v87, s14, v87
	v_xor_b32_e32 v98, s15, v98
	v_cmp_gt_i32_e64 s14, 0, v101
	v_ashrrev_i32_e32 v96, 31, v96
	v_cmp_gt_i32_e64 s15, 0, v84
	v_ashrrev_i32_e32 v84, 31, v97
	v_bitop3_b32 v87, v83, v98, v87 bitop3:0x80
	ds_load_b32 v83, v86 offset:32
	v_dual_add_nc_u32 v86, 32, v86 :: v_dual_bitop2_b32 v96, s14, v96 bitop3:0x14
	v_xor_b32_e32 v84, s15, v84
	; wave barrier
	s_delay_alu instid0(VALU_DEP_1) | instskip(NEXT) | instid1(VALU_DEP_1)
	v_bitop3_b32 v87, v87, v84, v96 bitop3:0x80
	v_mbcnt_lo_u32_b32 v84, v87, 0
	v_cmp_ne_u32_e64 s15, 0, v87
	s_delay_alu instid0(VALU_DEP_2) | instskip(SKIP_1) | instid1(SALU_CYCLE_1)
	v_cmp_eq_u32_e64 s14, 0, v84
	s_and_b32 s15, s15, s14
	s_and_saveexec_b32 s14, s15
	s_cbranch_execz .LBB493_61
; %bb.60:                               ;   in Loop: Header=BB493_53 Depth=1
	s_wait_dscnt 0x0
	v_bcnt_u32_b32 v87, v87, v83
	ds_store_b32 v86, v87
.LBB493_61:                             ;   in Loop: Header=BB493_53 Depth=1
	s_or_b32 exec_lo, exec_lo, s14
	s_set_vgpr_msb 4                        ;  msbs: dst=0 src0=0 src1=1 src2=0
	v_lshrrev_b32_e32 v87, v10, v20 /*v276*/
	; wave barrier
	s_set_vgpr_msb 0                        ;  msbs: dst=0 src0=0 src1=0 src2=0
	s_delay_alu instid0(VALU_DEP_1) | instskip(SKIP_1) | instid1(VALU_DEP_2)
	v_and_b32_e32 v96, v87, v85
	v_bitop3_b32 v87, v87, 1, v85 bitop3:0x80
	v_lshlrev_b32_e32 v99, 30, v96
	s_delay_alu instid0(VALU_DEP_2) | instskip(NEXT) | instid1(VALU_DEP_1)
	v_add_co_u32 v87, s14, v87, -1
	v_cndmask_b32_e64 v98, 0, 1, s14
	s_delay_alu instid0(VALU_DEP_1) | instskip(NEXT) | instid1(VALU_DEP_4)
	v_cmp_ne_u32_e64 s14, 0, v98
	v_not_b32_e32 v98, v99
	s_delay_alu instid0(VALU_DEP_1) | instskip(SKIP_4) | instid1(VALU_DEP_4)
	v_dual_ashrrev_i32 v98, 31, v98 :: v_dual_bitop2_b32 v87, s14, v87 bitop3:0x14
	v_dual_lshlrev_b32 v100, 29, v96 :: v_dual_lshlrev_b32 v101, 28, v96
	v_dual_lshlrev_b32 v102, 27, v96 :: v_dual_lshlrev_b32 v103, 26, v96
	v_lshlrev_b32_e32 v112, 25, v96
	v_cmp_gt_i32_e64 s15, 0, v99
	v_cmp_gt_i32_e64 s16, 0, v100
	v_not_b32_e32 v99, v100
	v_not_b32_e32 v100, v101
	s_set_vgpr_msb 16                       ;  msbs: dst=0 src0=0 src1=0 src2=1
	v_lshl_add_u32 v97, v96, 3, v9 /*v265*/
	v_lshlrev_b32_e32 v96, 24, v96
	v_cmp_gt_i32_e64 s17, 0, v101
	v_dual_ashrrev_i32 v99, 31, v99 :: v_dual_ashrrev_i32 v100, 31, v100
	v_not_b32_e32 v113, v103
	v_xor_b32_e32 v98, s15, v98
	v_not_b32_e32 v101, v102
	s_delay_alu instid0(VALU_DEP_4)
	v_xor_b32_e32 v99, s16, v99
	v_xor_b32_e32 v100, s17, v100
	v_cmp_gt_i32_e64 s14, 0, v102
	v_bitop3_b32 v87, v87, v98, exec_lo bitop3:0x80
	v_ashrrev_i32_e32 v98, 31, v101
	v_cmp_gt_i32_e64 s15, 0, v103
	v_ashrrev_i32_e32 v101, 31, v113
	s_set_vgpr_msb 0                        ;  msbs: dst=0 src0=0 src1=0 src2=0
	v_lshl_add_u32 v97, v97, 2, v12
	v_bitop3_b32 v87, v87, v100, v99 bitop3:0x80
	v_not_b32_e32 v99, v112
	v_not_b32_e32 v100, v96
	v_xor_b32_e32 v98, s14, v98
	v_xor_b32_e32 v101, s15, v101
	v_cmp_gt_i32_e64 s14, 0, v112
	v_ashrrev_i32_e32 v99, 31, v99
	v_cmp_gt_i32_e64 s15, 0, v96
	v_ashrrev_i32_e32 v96, 31, v100
	v_bitop3_b32 v98, v87, v101, v98 bitop3:0x80
	ds_load_b32 v87, v97 offset:32
	v_dual_add_nc_u32 v97, 32, v97 :: v_dual_bitop2_b32 v99, s14, v99 bitop3:0x14
	v_xor_b32_e32 v96, s15, v96
	; wave barrier
	s_delay_alu instid0(VALU_DEP_1) | instskip(NEXT) | instid1(VALU_DEP_1)
	v_bitop3_b32 v98, v98, v96, v99 bitop3:0x80
	v_mbcnt_lo_u32_b32 v96, v98, 0
	v_cmp_ne_u32_e64 s15, 0, v98
	s_delay_alu instid0(VALU_DEP_2) | instskip(SKIP_1) | instid1(SALU_CYCLE_1)
	v_cmp_eq_u32_e64 s14, 0, v96
	s_and_b32 s15, s15, s14
	s_and_saveexec_b32 s14, s15
	s_cbranch_execz .LBB493_63
; %bb.62:                               ;   in Loop: Header=BB493_53 Depth=1
	s_wait_dscnt 0x0
	v_bcnt_u32_b32 v98, v98, v87
	ds_store_b32 v97, v98
.LBB493_63:                             ;   in Loop: Header=BB493_53 Depth=1
	s_or_b32 exec_lo, exec_lo, s14
	s_set_vgpr_msb 4                        ;  msbs: dst=0 src0=0 src1=1 src2=0
	v_lshrrev_b32_e32 v98, v10, v19 /*v275*/
	; wave barrier
	s_set_vgpr_msb 0                        ;  msbs: dst=0 src0=0 src1=0 src2=0
	s_delay_alu instid0(VALU_DEP_1) | instskip(SKIP_1) | instid1(VALU_DEP_2)
	v_and_b32_e32 v99, v98, v85
	v_bitop3_b32 v98, v98, 1, v85 bitop3:0x80
	v_dual_lshlrev_b32 v102, 30, v99 :: v_dual_lshlrev_b32 v103, 29, v99
	s_delay_alu instid0(VALU_DEP_2) | instskip(NEXT) | instid1(VALU_DEP_1)
	v_add_co_u32 v98, s14, v98, -1
	v_cndmask_b32_e64 v101, 0, 1, s14
	s_delay_alu instid0(VALU_DEP_3) | instskip(NEXT) | instid1(VALU_DEP_4)
	v_cmp_gt_i32_e64 s15, 0, v102
	v_cmp_gt_i32_e64 s16, 0, v103
	s_delay_alu instid0(VALU_DEP_3) | instskip(SKIP_2) | instid1(VALU_DEP_1)
	v_cmp_ne_u32_e64 s14, 0, v101
	v_not_b32_e32 v101, v102
	v_not_b32_e32 v102, v103
	v_dual_ashrrev_i32 v101, 31, v101 :: v_dual_ashrrev_i32 v102, 31, v102
	v_dual_lshlrev_b32 v112, 28, v99 :: v_dual_lshlrev_b32 v113, 27, v99
	s_set_vgpr_msb 16                       ;  msbs: dst=0 src0=0 src1=0 src2=1
	v_lshl_add_u32 v100, v99, 3, v9 /*v265*/
	v_dual_lshlrev_b32 v114, 26, v99 :: v_dual_lshlrev_b32 v115, 25, v99
	v_lshlrev_b32_e32 v99, 24, v99
	v_not_b32_e32 v103, v112
	v_cmp_gt_i32_e64 s17, 0, v112
	v_xor_b32_e32 v98, s14, v98
	v_not_b32_e32 v116, v114
	s_delay_alu instid0(VALU_DEP_4) | instskip(SKIP_3) | instid1(VALU_DEP_4)
	v_dual_ashrrev_i32 v103, 31, v103 :: v_dual_bitop2_b32 v101, s15, v101 bitop3:0x14
	v_not_b32_e32 v112, v113
	v_xor_b32_e32 v102, s16, v102
	v_cmp_gt_i32_e64 s14, 0, v113
	v_bitop3_b32 v98, v98, v101, exec_lo bitop3:0x80
	s_delay_alu instid0(VALU_DEP_4)
	v_dual_ashrrev_i32 v101, 31, v112 :: v_dual_bitop2_b32 v103, s17, v103 bitop3:0x14
	v_cmp_gt_i32_e64 s15, 0, v114
	v_ashrrev_i32_e32 v112, 31, v116
	s_set_vgpr_msb 0                        ;  msbs: dst=0 src0=0 src1=0 src2=0
	v_lshl_add_u32 v100, v100, 2, v12
	v_bitop3_b32 v98, v98, v103, v102 bitop3:0x80
	v_not_b32_e32 v102, v115
	v_not_b32_e32 v103, v99
	v_xor_b32_e32 v101, s14, v101
	v_xor_b32_e32 v112, s15, v112
	v_cmp_gt_i32_e64 s14, 0, v115
	v_ashrrev_i32_e32 v102, 31, v102
	v_cmp_gt_i32_e64 s15, 0, v99
	v_ashrrev_i32_e32 v99, 31, v103
	v_bitop3_b32 v98, v98, v112, v101 bitop3:0x80
	s_delay_alu instid0(VALU_DEP_4) | instskip(SKIP_2) | instid1(VALU_DEP_1)
	v_xor_b32_e32 v101, s14, v102
	ds_load_b32 v102, v100 offset:32
	v_xor_b32_e32 v99, s15, v99
	; wave barrier
	v_bitop3_b32 v99, v98, v99, v101 bitop3:0x80
	v_add_nc_u32_e32 v98, 32, v100
	s_delay_alu instid0(VALU_DEP_2) | instskip(SKIP_1) | instid1(VALU_DEP_2)
	v_mbcnt_lo_u32_b32 v114, v99, 0
	v_cmp_ne_u32_e64 s15, 0, v99
	v_cmp_eq_u32_e64 s14, 0, v114
	s_and_b32 s15, s15, s14
	s_delay_alu instid0(SALU_CYCLE_1)
	s_and_saveexec_b32 s14, s15
	s_cbranch_execz .LBB493_65
; %bb.64:                               ;   in Loop: Header=BB493_53 Depth=1
	s_wait_dscnt 0x0
	v_bcnt_u32_b32 v99, v99, v102
	ds_store_b32 v98, v99
.LBB493_65:                             ;   in Loop: Header=BB493_53 Depth=1
	s_or_b32 exec_lo, exec_lo, s14
	s_set_vgpr_msb 4                        ;  msbs: dst=0 src0=0 src1=1 src2=0
	v_lshrrev_b32_e32 v99, v10, v22 /*v278*/
	; wave barrier
	s_set_vgpr_msb 0                        ;  msbs: dst=0 src0=0 src1=0 src2=0
	s_delay_alu instid0(VALU_DEP_1) | instskip(SKIP_1) | instid1(VALU_DEP_2)
	v_and_b32_e32 v100, v99, v85
	v_bitop3_b32 v99, v99, 1, v85 bitop3:0x80
	v_lshlrev_b32_e32 v112, 30, v100
	s_delay_alu instid0(VALU_DEP_2) | instskip(NEXT) | instid1(VALU_DEP_1)
	v_add_co_u32 v99, s14, v99, -1
	v_cndmask_b32_e64 v103, 0, 1, s14
	s_delay_alu instid0(VALU_DEP_1) | instskip(NEXT) | instid1(VALU_DEP_4)
	v_cmp_ne_u32_e64 s14, 0, v103
	v_not_b32_e32 v103, v112
	s_delay_alu instid0(VALU_DEP_2) | instskip(NEXT) | instid1(VALU_DEP_2)
	v_xor_b32_e32 v99, s14, v99
	v_dual_ashrrev_i32 v103, 31, v103 :: v_dual_lshlrev_b32 v113, 29, v100
	v_dual_lshlrev_b32 v115, 28, v100 :: v_dual_lshlrev_b32 v116, 27, v100
	v_cmp_gt_i32_e64 s15, 0, v112
	s_set_vgpr_msb 16                       ;  msbs: dst=0 src0=0 src1=0 src2=1
	v_lshl_add_u32 v101, v100, 3, v9 /*v265*/
	v_cmp_gt_i32_e64 s16, 0, v113
	v_not_b32_e32 v112, v113
	v_not_b32_e32 v113, v115
	v_dual_lshlrev_b32 v117, 26, v100 :: v_dual_lshlrev_b32 v118, 25, v100
	v_lshlrev_b32_e32 v100, 24, v100
	v_cmp_gt_i32_e64 s17, 0, v115
	s_delay_alu instid0(VALU_DEP_4) | instskip(SKIP_3) | instid1(VALU_DEP_4)
	v_dual_ashrrev_i32 v112, 31, v112 :: v_dual_ashrrev_i32 v113, 31, v113
	v_xor_b32_e32 v103, s15, v103
	v_not_b32_e32 v115, v116
	v_not_b32_e32 v119, v117
	v_xor_b32_e32 v112, s16, v112
	v_xor_b32_e32 v113, s17, v113
	v_bitop3_b32 v99, v99, v103, exec_lo bitop3:0x80
	v_cmp_gt_i32_e64 s14, 0, v116
	v_ashrrev_i32_e32 v103, 31, v115
	v_cmp_gt_i32_e64 s15, 0, v117
	v_ashrrev_i32_e32 v115, 31, v119
	s_set_vgpr_msb 0                        ;  msbs: dst=0 src0=0 src1=0 src2=0
	v_bitop3_b32 v99, v99, v113, v112 bitop3:0x80
	v_not_b32_e32 v112, v118
	v_not_b32_e32 v113, v100
	v_xor_b32_e32 v103, s14, v103
	v_cmp_gt_i32_e64 s14, 0, v118
	v_lshl_add_u32 v101, v101, 2, v12
	v_dual_ashrrev_i32 v112, 31, v112 :: v_dual_bitop2_b32 v115, s15, v115 bitop3:0x14
	v_cmp_gt_i32_e64 s15, 0, v100
	v_ashrrev_i32_e32 v100, 31, v113
	ds_load_b32 v116, v101 offset:32
	v_bitop3_b32 v99, v99, v115, v103 bitop3:0x80
	v_xor_b32_e32 v103, s14, v112
	v_xor_b32_e32 v100, s15, v100
	; wave barrier
	s_delay_alu instid0(VALU_DEP_1) | instskip(SKIP_1) | instid1(VALU_DEP_2)
	v_bitop3_b32 v99, v99, v100, v103 bitop3:0x80
	v_add_nc_u32_e32 v100, 32, v101
	v_mbcnt_lo_u32_b32 v128, v99, 0
	v_cmp_ne_u32_e64 s15, 0, v99
	s_delay_alu instid0(VALU_DEP_2) | instskip(SKIP_1) | instid1(SALU_CYCLE_1)
	v_cmp_eq_u32_e64 s14, 0, v128
	s_and_b32 s15, s15, s14
	s_and_saveexec_b32 s14, s15
	s_cbranch_execz .LBB493_67
; %bb.66:                               ;   in Loop: Header=BB493_53 Depth=1
	s_wait_dscnt 0x0
	v_bcnt_u32_b32 v99, v99, v116
	ds_store_b32 v100, v99
.LBB493_67:                             ;   in Loop: Header=BB493_53 Depth=1
	s_or_b32 exec_lo, exec_lo, s14
	s_set_vgpr_msb 4                        ;  msbs: dst=0 src0=0 src1=1 src2=0
	v_lshrrev_b32_e32 v99, v10, v21 /*v277*/
	; wave barrier
	s_set_vgpr_msb 0                        ;  msbs: dst=0 src0=0 src1=0 src2=0
	s_delay_alu instid0(VALU_DEP_1) | instskip(SKIP_1) | instid1(VALU_DEP_2)
	v_and_b32_e32 v101, v99, v85
	v_bitop3_b32 v99, v99, 1, v85 bitop3:0x80
	v_lshlrev_b32_e32 v113, 30, v101
	s_delay_alu instid0(VALU_DEP_2) | instskip(NEXT) | instid1(VALU_DEP_1)
	v_add_co_u32 v99, s14, v99, -1
	v_cndmask_b32_e64 v112, 0, 1, s14
	s_delay_alu instid0(VALU_DEP_1) | instskip(NEXT) | instid1(VALU_DEP_4)
	v_cmp_ne_u32_e64 s14, 0, v112
	v_not_b32_e32 v112, v113
	s_delay_alu instid0(VALU_DEP_1) | instskip(SKIP_4) | instid1(VALU_DEP_4)
	v_dual_ashrrev_i32 v112, 31, v112 :: v_dual_bitop2_b32 v99, s14, v99 bitop3:0x14
	v_dual_lshlrev_b32 v115, 29, v101 :: v_dual_lshlrev_b32 v117, 28, v101
	v_dual_lshlrev_b32 v118, 27, v101 :: v_dual_lshlrev_b32 v119, 26, v101
	v_lshlrev_b32_e32 v129, 25, v101
	v_cmp_gt_i32_e64 s15, 0, v113
	v_cmp_gt_i32_e64 s16, 0, v115
	v_not_b32_e32 v113, v115
	v_not_b32_e32 v115, v117
	s_set_vgpr_msb 16                       ;  msbs: dst=0 src0=0 src1=0 src2=1
	v_lshl_add_u32 v103, v101, 3, v9 /*v265*/
	v_lshlrev_b32_e32 v101, 24, v101
	v_cmp_gt_i32_e64 s17, 0, v117
	v_dual_ashrrev_i32 v113, 31, v113 :: v_dual_ashrrev_i32 v115, 31, v115
	v_not_b32_e32 v130, v119
	v_xor_b32_e32 v112, s15, v112
	v_not_b32_e32 v117, v118
	s_delay_alu instid0(VALU_DEP_4)
	v_xor_b32_e32 v113, s16, v113
	v_xor_b32_e32 v115, s17, v115
	v_cmp_gt_i32_e64 s14, 0, v118
	v_bitop3_b32 v99, v99, v112, exec_lo bitop3:0x80
	v_ashrrev_i32_e32 v112, 31, v117
	v_cmp_gt_i32_e64 s15, 0, v119
	v_ashrrev_i32_e32 v117, 31, v130
	s_set_vgpr_msb 0                        ;  msbs: dst=0 src0=0 src1=0 src2=0
	v_lshl_add_u32 v103, v103, 2, v12
	v_bitop3_b32 v99, v99, v115, v113 bitop3:0x80
	v_not_b32_e32 v113, v129
	v_not_b32_e32 v115, v101
	v_xor_b32_e32 v112, s14, v112
	v_xor_b32_e32 v117, s15, v117
	v_cmp_gt_i32_e64 s14, 0, v129
	v_ashrrev_i32_e32 v113, 31, v113
	v_cmp_gt_i32_e64 s15, 0, v101
	v_ashrrev_i32_e32 v101, 31, v115
	v_bitop3_b32 v99, v99, v117, v112 bitop3:0x80
	ds_load_b32 v132, v103 offset:32
	v_xor_b32_e32 v112, s14, v113
	v_xor_b32_e32 v101, s15, v101
	; wave barrier
	s_delay_alu instid0(VALU_DEP_1) | instskip(SKIP_1) | instid1(VALU_DEP_2)
	v_bitop3_b32 v99, v99, v101, v112 bitop3:0x80
	v_add_nc_u32_e32 v112, 32, v103
	v_mbcnt_lo_u32_b32 v134, v99, 0
	v_cmp_ne_u32_e64 s15, 0, v99
	s_delay_alu instid0(VALU_DEP_2) | instskip(SKIP_1) | instid1(SALU_CYCLE_1)
	v_cmp_eq_u32_e64 s14, 0, v134
	s_and_b32 s15, s15, s14
	s_and_saveexec_b32 s14, s15
	s_cbranch_execz .LBB493_69
; %bb.68:                               ;   in Loop: Header=BB493_53 Depth=1
	s_wait_dscnt 0x0
	v_bcnt_u32_b32 v99, v99, v132
	ds_store_b32 v112, v99
.LBB493_69:                             ;   in Loop: Header=BB493_53 Depth=1
	s_or_b32 exec_lo, exec_lo, s14
	s_set_vgpr_msb 4                        ;  msbs: dst=0 src0=0 src1=1 src2=0
	v_lshrrev_b32_e32 v99, v10, v23 /*v279*/
	; wave barrier
	s_set_vgpr_msb 0                        ;  msbs: dst=0 src0=0 src1=0 src2=0
	s_delay_alu instid0(VALU_DEP_1) | instskip(SKIP_1) | instid1(VALU_DEP_2)
	v_and_b32_e32 v101, v99, v85
	v_bitop3_b32 v99, v99, 1, v85 bitop3:0x80
	v_dual_lshlrev_b32 v115, 30, v101 :: v_dual_lshlrev_b32 v117, 29, v101
	s_delay_alu instid0(VALU_DEP_2) | instskip(NEXT) | instid1(VALU_DEP_1)
	v_add_co_u32 v99, s14, v99, -1
	v_cndmask_b32_e64 v113, 0, 1, s14
	s_delay_alu instid0(VALU_DEP_3) | instskip(NEXT) | instid1(VALU_DEP_4)
	v_cmp_gt_i32_e64 s15, 0, v115
	v_cmp_gt_i32_e64 s16, 0, v117
	s_delay_alu instid0(VALU_DEP_3) | instskip(SKIP_2) | instid1(VALU_DEP_3)
	v_cmp_ne_u32_e64 s14, 0, v113
	v_not_b32_e32 v113, v115
	v_not_b32_e32 v115, v117
	v_xor_b32_e32 v99, s14, v99
	s_delay_alu instid0(VALU_DEP_2) | instskip(SKIP_2) | instid1(VALU_DEP_3)
	v_dual_ashrrev_i32 v115, 31, v115 :: v_dual_lshlrev_b32 v118, 28, v101
	v_dual_lshlrev_b32 v119, 27, v101 :: v_dual_lshlrev_b32 v129, 26, v101
	v_lshlrev_b32_e32 v130, 25, v101
	v_dual_ashrrev_i32 v113, 31, v113 :: v_dual_bitop2_b32 v115, s16, v115 bitop3:0x14
	s_delay_alu instid0(VALU_DEP_4)
	v_not_b32_e32 v117, v118
	s_set_vgpr_msb 16                       ;  msbs: dst=0 src0=0 src1=0 src2=1
	v_lshl_add_u32 v103, v101, 3, v9 /*v265*/
	v_lshlrev_b32_e32 v101, 24, v101
	v_cmp_gt_i32_e64 s17, 0, v118
	v_not_b32_e32 v118, v119
	v_ashrrev_i32_e32 v117, 31, v117
	v_not_b32_e32 v131, v129
	v_xor_b32_e32 v113, s15, v113
	v_cmp_gt_i32_e64 s14, 0, v119
	v_cmp_gt_i32_e64 s15, 0, v129
	s_set_vgpr_msb 0                        ;  msbs: dst=0 src0=0 src1=0 src2=0
	v_lshl_add_u32 v103, v103, 2, v12
	v_bitop3_b32 v99, v99, v113, exec_lo bitop3:0x80
	v_dual_ashrrev_i32 v113, 31, v118 :: v_dual_bitop2_b32 v117, s17, v117 bitop3:0x14
	v_ashrrev_i32_e32 v118, 31, v131
	ds_load_b32 v144, v103 offset:32
	v_xor_b32_e32 v113, s14, v113
	v_bitop3_b32 v99, v99, v117, v115 bitop3:0x80
	v_not_b32_e32 v115, v130
	v_not_b32_e32 v117, v101
	v_xor_b32_e32 v118, s15, v118
	v_cmp_gt_i32_e64 s14, 0, v130
	v_cmp_gt_i32_e64 s15, 0, v101
	s_delay_alu instid0(VALU_DEP_4) | instskip(NEXT) | instid1(VALU_DEP_4)
	v_dual_ashrrev_i32 v115, 31, v115 :: v_dual_ashrrev_i32 v101, 31, v117
	v_bitop3_b32 v99, v99, v118, v113 bitop3:0x80
	v_add_nc_u32_e32 v118, 32, v103
	; wave barrier
	s_delay_alu instid0(VALU_DEP_3) | instskip(NEXT) | instid1(VALU_DEP_4)
	v_xor_b32_e32 v113, s14, v115
	v_xor_b32_e32 v101, s15, v101
	s_delay_alu instid0(VALU_DEP_1) | instskip(NEXT) | instid1(VALU_DEP_1)
	v_bitop3_b32 v99, v99, v101, v113 bitop3:0x80
	v_mbcnt_lo_u32_b32 v146, v99, 0
	v_cmp_ne_u32_e64 s15, 0, v99
	s_delay_alu instid0(VALU_DEP_2) | instskip(SKIP_1) | instid1(SALU_CYCLE_1)
	v_cmp_eq_u32_e64 s14, 0, v146
	s_and_b32 s15, s15, s14
	s_and_saveexec_b32 s14, s15
	s_cbranch_execz .LBB493_71
; %bb.70:                               ;   in Loop: Header=BB493_53 Depth=1
	s_wait_dscnt 0x0
	v_bcnt_u32_b32 v99, v99, v144
	ds_store_b32 v118, v99
.LBB493_71:                             ;   in Loop: Header=BB493_53 Depth=1
	s_or_b32 exec_lo, exec_lo, s14
	s_set_vgpr_msb 4                        ;  msbs: dst=0 src0=0 src1=1 src2=0
	v_lshrrev_b32_e32 v99, v10, v24 /*v280*/
	; wave barrier
	s_set_vgpr_msb 0                        ;  msbs: dst=0 src0=0 src1=0 src2=0
	s_delay_alu instid0(VALU_DEP_1) | instskip(SKIP_1) | instid1(VALU_DEP_2)
	v_and_b32_e32 v101, v99, v85
	v_bitop3_b32 v99, v99, 1, v85 bitop3:0x80
	v_dual_lshlrev_b32 v115, 30, v101 :: v_dual_lshlrev_b32 v117, 29, v101
	s_delay_alu instid0(VALU_DEP_2) | instskip(NEXT) | instid1(VALU_DEP_1)
	v_add_co_u32 v99, s14, v99, -1
	v_cndmask_b32_e64 v113, 0, 1, s14
	s_delay_alu instid0(VALU_DEP_3) | instskip(NEXT) | instid1(VALU_DEP_4)
	v_cmp_gt_i32_e64 s15, 0, v115
	v_cmp_gt_i32_e64 s16, 0, v117
	s_delay_alu instid0(VALU_DEP_3) | instskip(SKIP_2) | instid1(VALU_DEP_3)
	v_cmp_ne_u32_e64 s14, 0, v113
	v_not_b32_e32 v113, v115
	v_not_b32_e32 v115, v117
	v_xor_b32_e32 v99, s14, v99
	s_delay_alu instid0(VALU_DEP_2)
	v_dual_ashrrev_i32 v115, 31, v115 :: v_dual_lshlrev_b32 v119, 28, v101
	v_lshlrev_b32_e32 v129, 27, v101
	v_ashrrev_i32_e32 v113, 31, v113
	s_set_vgpr_msb 16                       ;  msbs: dst=0 src0=0 src1=0 src2=1
	v_lshl_add_u32 v103, v101, 3, v9 /*v265*/
	v_dual_lshlrev_b32 v130, 26, v101 :: v_dual_lshlrev_b32 v131, 25, v101
	v_not_b32_e32 v117, v119
	v_lshlrev_b32_e32 v101, 24, v101
	v_cmp_gt_i32_e64 s17, 0, v119
	v_not_b32_e32 v119, v129
	s_delay_alu instid0(VALU_DEP_4)
	v_dual_ashrrev_i32 v117, 31, v117 :: v_dual_bitop2_b32 v115, s16, v115 bitop3:0x14
	v_xor_b32_e32 v113, s15, v113
	s_set_vgpr_msb 0                        ;  msbs: dst=0 src0=0 src1=0 src2=0
	v_lshl_add_u32 v103, v103, 2, v12
	v_not_b32_e32 v133, v130
	v_cmp_gt_i32_e64 s14, 0, v129
	v_cmp_gt_i32_e64 s15, 0, v130
	v_bitop3_b32 v99, v99, v113, exec_lo bitop3:0x80
	v_dual_ashrrev_i32 v113, 31, v119 :: v_dual_bitop2_b32 v117, s17, v117 bitop3:0x14
	v_add_nc_u32_e32 v130, 32, v103
	ds_load_b32 v147, v103 offset:32
	v_xor_b32_e32 v113, s14, v113
	v_bitop3_b32 v99, v99, v117, v115 bitop3:0x80
	v_not_b32_e32 v115, v131
	v_not_b32_e32 v117, v101
	v_cmp_gt_i32_e64 s14, 0, v131
	; wave barrier
	s_delay_alu instid0(VALU_DEP_3) | instskip(NEXT) | instid1(VALU_DEP_1)
	v_dual_ashrrev_i32 v115, 31, v115 :: v_dual_ashrrev_i32 v119, 31, v133
	v_xor_b32_e32 v119, s15, v119
	v_cmp_gt_i32_e64 s15, 0, v101
	v_ashrrev_i32_e32 v101, 31, v117
	s_delay_alu instid0(VALU_DEP_3) | instskip(SKIP_1) | instid1(VALU_DEP_3)
	v_bitop3_b32 v99, v99, v119, v113 bitop3:0x80
	v_xor_b32_e32 v113, s14, v115
	v_xor_b32_e32 v101, s15, v101
	s_delay_alu instid0(VALU_DEP_1) | instskip(NEXT) | instid1(VALU_DEP_1)
	v_bitop3_b32 v99, v99, v101, v113 bitop3:0x80
	v_mbcnt_lo_u32_b32 v148, v99, 0
	v_cmp_ne_u32_e64 s15, 0, v99
	s_delay_alu instid0(VALU_DEP_2) | instskip(SKIP_1) | instid1(SALU_CYCLE_1)
	v_cmp_eq_u32_e64 s14, 0, v148
	s_and_b32 s15, s15, s14
	s_and_saveexec_b32 s14, s15
	s_cbranch_execz .LBB493_73
; %bb.72:                               ;   in Loop: Header=BB493_53 Depth=1
	s_wait_dscnt 0x0
	v_bcnt_u32_b32 v99, v99, v147
	ds_store_b32 v130, v99
.LBB493_73:                             ;   in Loop: Header=BB493_53 Depth=1
	s_or_b32 exec_lo, exec_lo, s14
	s_set_vgpr_msb 4                        ;  msbs: dst=0 src0=0 src1=1 src2=0
	v_lshrrev_b32_e32 v99, v10, v26 /*v282*/
	; wave barrier
	s_set_vgpr_msb 0                        ;  msbs: dst=0 src0=0 src1=0 src2=0
	s_delay_alu instid0(VALU_DEP_1) | instskip(SKIP_1) | instid1(VALU_DEP_2)
	v_and_b32_e32 v101, v99, v85
	v_bitop3_b32 v99, v99, 1, v85 bitop3:0x80
	v_dual_lshlrev_b32 v115, 30, v101 :: v_dual_lshlrev_b32 v117, 29, v101
	s_delay_alu instid0(VALU_DEP_2) | instskip(NEXT) | instid1(VALU_DEP_1)
	v_add_co_u32 v99, s14, v99, -1
	v_cndmask_b32_e64 v113, 0, 1, s14
	s_delay_alu instid0(VALU_DEP_3) | instskip(NEXT) | instid1(VALU_DEP_4)
	v_cmp_gt_i32_e64 s15, 0, v115
	v_cmp_gt_i32_e64 s16, 0, v117
	s_delay_alu instid0(VALU_DEP_3) | instskip(SKIP_2) | instid1(VALU_DEP_3)
	v_cmp_ne_u32_e64 s14, 0, v113
	v_not_b32_e32 v113, v115
	v_not_b32_e32 v115, v117
	v_xor_b32_e32 v99, s14, v99
	s_delay_alu instid0(VALU_DEP_2) | instskip(SKIP_2) | instid1(VALU_DEP_3)
	v_dual_ashrrev_i32 v115, 31, v115 :: v_dual_lshlrev_b32 v119, 28, v101
	v_dual_lshlrev_b32 v129, 27, v101 :: v_dual_lshlrev_b32 v131, 26, v101
	v_lshlrev_b32_e32 v133, 25, v101
	v_dual_ashrrev_i32 v113, 31, v113 :: v_dual_bitop2_b32 v115, s16, v115 bitop3:0x14
	s_delay_alu instid0(VALU_DEP_4)
	v_not_b32_e32 v117, v119
	s_set_vgpr_msb 16                       ;  msbs: dst=0 src0=0 src1=0 src2=1
	v_lshl_add_u32 v103, v101, 3, v9 /*v265*/
	v_lshlrev_b32_e32 v101, 24, v101
	v_cmp_gt_i32_e64 s17, 0, v119
	v_not_b32_e32 v119, v129
	v_ashrrev_i32_e32 v117, 31, v117
	v_not_b32_e32 v135, v131
	v_xor_b32_e32 v113, s15, v113
	v_cmp_gt_i32_e64 s14, 0, v129
	v_cmp_gt_i32_e64 s15, 0, v131
	s_set_vgpr_msb 0                        ;  msbs: dst=0 src0=0 src1=0 src2=0
	v_lshl_add_u32 v103, v103, 2, v12
	v_bitop3_b32 v99, v99, v113, exec_lo bitop3:0x80
	v_dual_ashrrev_i32 v113, 31, v119 :: v_dual_bitop2_b32 v117, s17, v117 bitop3:0x14
	v_ashrrev_i32_e32 v119, 31, v135
	s_delay_alu instid0(VALU_DEP_4)
	v_add_nc_u32_e32 v151, 32, v103
	ds_load_b32 v149, v103 offset:32
	v_xor_b32_e32 v113, s14, v113
	v_bitop3_b32 v99, v99, v117, v115 bitop3:0x80
	v_not_b32_e32 v115, v133
	v_not_b32_e32 v117, v101
	v_xor_b32_e32 v119, s15, v119
	v_cmp_gt_i32_e64 s14, 0, v133
	v_cmp_gt_i32_e64 s15, 0, v101
	s_delay_alu instid0(VALU_DEP_4) | instskip(NEXT) | instid1(VALU_DEP_4)
	v_dual_ashrrev_i32 v115, 31, v115 :: v_dual_ashrrev_i32 v101, 31, v117
	v_bitop3_b32 v99, v99, v119, v113 bitop3:0x80
	; wave barrier
	s_delay_alu instid0(VALU_DEP_2) | instskip(NEXT) | instid1(VALU_DEP_3)
	v_xor_b32_e32 v113, s14, v115
	v_xor_b32_e32 v101, s15, v101
	s_delay_alu instid0(VALU_DEP_1) | instskip(NEXT) | instid1(VALU_DEP_1)
	v_bitop3_b32 v99, v99, v101, v113 bitop3:0x80
	v_mbcnt_lo_u32_b32 v150, v99, 0
	v_cmp_ne_u32_e64 s15, 0, v99
	s_delay_alu instid0(VALU_DEP_2) | instskip(SKIP_1) | instid1(SALU_CYCLE_1)
	v_cmp_eq_u32_e64 s14, 0, v150
	s_and_b32 s15, s15, s14
	s_and_saveexec_b32 s14, s15
	s_cbranch_execz .LBB493_75
; %bb.74:                               ;   in Loop: Header=BB493_53 Depth=1
	s_wait_dscnt 0x0
	v_bcnt_u32_b32 v99, v99, v149
	ds_store_b32 v151, v99
.LBB493_75:                             ;   in Loop: Header=BB493_53 Depth=1
	s_or_b32 exec_lo, exec_lo, s14
	s_set_vgpr_msb 4                        ;  msbs: dst=0 src0=0 src1=1 src2=0
	v_lshrrev_b32_e32 v99, v10, v25 /*v281*/
	; wave barrier
	s_set_vgpr_msb 0                        ;  msbs: dst=0 src0=0 src1=0 src2=0
	s_delay_alu instid0(VALU_DEP_1) | instskip(SKIP_1) | instid1(VALU_DEP_2)
	v_and_b32_e32 v101, v99, v85
	v_bitop3_b32 v99, v99, 1, v85 bitop3:0x80
	v_dual_lshlrev_b32 v115, 30, v101 :: v_dual_lshlrev_b32 v117, 29, v101
	s_delay_alu instid0(VALU_DEP_2) | instskip(NEXT) | instid1(VALU_DEP_1)
	v_add_co_u32 v99, s14, v99, -1
	v_cndmask_b32_e64 v113, 0, 1, s14
	s_delay_alu instid0(VALU_DEP_3) | instskip(NEXT) | instid1(VALU_DEP_4)
	v_cmp_gt_i32_e64 s15, 0, v115
	v_cmp_gt_i32_e64 s16, 0, v117
	s_delay_alu instid0(VALU_DEP_3) | instskip(SKIP_2) | instid1(VALU_DEP_3)
	v_cmp_ne_u32_e64 s14, 0, v113
	v_not_b32_e32 v113, v115
	v_not_b32_e32 v115, v117
	v_xor_b32_e32 v99, s14, v99
	s_delay_alu instid0(VALU_DEP_2) | instskip(SKIP_2) | instid1(VALU_DEP_3)
	v_dual_ashrrev_i32 v115, 31, v115 :: v_dual_lshlrev_b32 v119, 28, v101
	v_dual_lshlrev_b32 v129, 27, v101 :: v_dual_lshlrev_b32 v131, 26, v101
	v_lshlrev_b32_e32 v133, 25, v101
	v_dual_ashrrev_i32 v113, 31, v113 :: v_dual_bitop2_b32 v115, s16, v115 bitop3:0x14
	s_delay_alu instid0(VALU_DEP_4)
	v_not_b32_e32 v117, v119
	s_set_vgpr_msb 16                       ;  msbs: dst=0 src0=0 src1=0 src2=1
	v_lshl_add_u32 v103, v101, 3, v9 /*v265*/
	v_lshlrev_b32_e32 v101, 24, v101
	v_cmp_gt_i32_e64 s17, 0, v119
	v_not_b32_e32 v119, v129
	v_ashrrev_i32_e32 v117, 31, v117
	v_not_b32_e32 v135, v131
	v_xor_b32_e32 v113, s15, v113
	v_cmp_gt_i32_e64 s14, 0, v129
	v_cmp_gt_i32_e64 s15, 0, v131
	s_set_vgpr_msb 0                        ;  msbs: dst=0 src0=0 src1=0 src2=0
	v_lshl_add_u32 v103, v103, 2, v12
	v_bitop3_b32 v99, v99, v113, exec_lo bitop3:0x80
	v_dual_ashrrev_i32 v113, 31, v119 :: v_dual_bitop2_b32 v117, s17, v117 bitop3:0x14
	v_ashrrev_i32_e32 v119, 31, v135
	s_delay_alu instid0(VALU_DEP_4)
	v_add_nc_u32_e32 v161, 32, v103
	ds_load_b32 v160, v103 offset:32
	v_xor_b32_e32 v113, s14, v113
	v_bitop3_b32 v99, v99, v117, v115 bitop3:0x80
	v_not_b32_e32 v115, v133
	v_not_b32_e32 v117, v101
	v_xor_b32_e32 v119, s15, v119
	v_cmp_gt_i32_e64 s14, 0, v133
	v_cmp_gt_i32_e64 s15, 0, v101
	s_delay_alu instid0(VALU_DEP_4) | instskip(NEXT) | instid1(VALU_DEP_4)
	v_dual_ashrrev_i32 v115, 31, v115 :: v_dual_ashrrev_i32 v101, 31, v117
	v_bitop3_b32 v99, v99, v119, v113 bitop3:0x80
	; wave barrier
	s_delay_alu instid0(VALU_DEP_2) | instskip(NEXT) | instid1(VALU_DEP_3)
	v_xor_b32_e32 v113, s14, v115
	v_xor_b32_e32 v101, s15, v101
	s_delay_alu instid0(VALU_DEP_1) | instskip(NEXT) | instid1(VALU_DEP_1)
	v_bitop3_b32 v99, v99, v101, v113 bitop3:0x80
	v_mbcnt_lo_u32_b32 v162, v99, 0
	v_cmp_ne_u32_e64 s15, 0, v99
	s_delay_alu instid0(VALU_DEP_2) | instskip(SKIP_1) | instid1(SALU_CYCLE_1)
	v_cmp_eq_u32_e64 s14, 0, v162
	s_and_b32 s15, s15, s14
	s_and_saveexec_b32 s14, s15
	s_cbranch_execz .LBB493_77
; %bb.76:                               ;   in Loop: Header=BB493_53 Depth=1
	s_wait_dscnt 0x0
	v_bcnt_u32_b32 v99, v99, v160
	ds_store_b32 v161, v99
.LBB493_77:                             ;   in Loop: Header=BB493_53 Depth=1
	s_or_b32 exec_lo, exec_lo, s14
	s_set_vgpr_msb 4                        ;  msbs: dst=0 src0=0 src1=1 src2=0
	v_lshrrev_b32_e32 v99, v10, v29 /*v285*/
	; wave barrier
	s_set_vgpr_msb 0                        ;  msbs: dst=0 src0=0 src1=0 src2=0
	s_delay_alu instid0(VALU_DEP_1) | instskip(SKIP_1) | instid1(VALU_DEP_2)
	v_and_b32_e32 v101, v99, v85
	v_bitop3_b32 v99, v99, 1, v85 bitop3:0x80
	v_dual_lshlrev_b32 v115, 30, v101 :: v_dual_lshlrev_b32 v117, 29, v101
	s_delay_alu instid0(VALU_DEP_2) | instskip(NEXT) | instid1(VALU_DEP_1)
	v_add_co_u32 v99, s14, v99, -1
	v_cndmask_b32_e64 v113, 0, 1, s14
	s_delay_alu instid0(VALU_DEP_3) | instskip(NEXT) | instid1(VALU_DEP_4)
	v_cmp_gt_i32_e64 s15, 0, v115
	v_cmp_gt_i32_e64 s16, 0, v117
	s_delay_alu instid0(VALU_DEP_3) | instskip(SKIP_2) | instid1(VALU_DEP_3)
	v_cmp_ne_u32_e64 s14, 0, v113
	v_not_b32_e32 v113, v115
	v_not_b32_e32 v115, v117
	v_xor_b32_e32 v99, s14, v99
	s_delay_alu instid0(VALU_DEP_2) | instskip(SKIP_2) | instid1(VALU_DEP_3)
	v_dual_ashrrev_i32 v115, 31, v115 :: v_dual_lshlrev_b32 v119, 28, v101
	v_dual_lshlrev_b32 v129, 27, v101 :: v_dual_lshlrev_b32 v131, 26, v101
	v_lshlrev_b32_e32 v133, 25, v101
	v_dual_ashrrev_i32 v113, 31, v113 :: v_dual_bitop2_b32 v115, s16, v115 bitop3:0x14
	s_delay_alu instid0(VALU_DEP_4)
	v_not_b32_e32 v117, v119
	s_set_vgpr_msb 16                       ;  msbs: dst=0 src0=0 src1=0 src2=1
	v_lshl_add_u32 v103, v101, 3, v9 /*v265*/
	v_lshlrev_b32_e32 v101, 24, v101
	v_cmp_gt_i32_e64 s17, 0, v119
	v_not_b32_e32 v119, v129
	v_ashrrev_i32_e32 v117, 31, v117
	v_not_b32_e32 v135, v131
	v_xor_b32_e32 v113, s15, v113
	v_cmp_gt_i32_e64 s14, 0, v129
	v_cmp_gt_i32_e64 s15, 0, v131
	s_set_vgpr_msb 0                        ;  msbs: dst=0 src0=0 src1=0 src2=0
	v_lshl_add_u32 v103, v103, 2, v12
	v_bitop3_b32 v99, v99, v113, exec_lo bitop3:0x80
	v_dual_ashrrev_i32 v113, 31, v119 :: v_dual_bitop2_b32 v117, s17, v117 bitop3:0x14
	v_ashrrev_i32_e32 v119, 31, v135
	s_delay_alu instid0(VALU_DEP_4)
	v_add_nc_u32_e32 v163, 32, v103
	ds_load_b32 v164, v103 offset:32
	v_xor_b32_e32 v113, s14, v113
	v_bitop3_b32 v99, v99, v117, v115 bitop3:0x80
	v_not_b32_e32 v115, v133
	v_not_b32_e32 v117, v101
	v_xor_b32_e32 v119, s15, v119
	v_cmp_gt_i32_e64 s14, 0, v133
	v_cmp_gt_i32_e64 s15, 0, v101
	s_delay_alu instid0(VALU_DEP_4) | instskip(NEXT) | instid1(VALU_DEP_4)
	v_dual_ashrrev_i32 v115, 31, v115 :: v_dual_ashrrev_i32 v101, 31, v117
	v_bitop3_b32 v99, v99, v119, v113 bitop3:0x80
	; wave barrier
	s_delay_alu instid0(VALU_DEP_2) | instskip(NEXT) | instid1(VALU_DEP_3)
	v_xor_b32_e32 v113, s14, v115
	v_xor_b32_e32 v101, s15, v101
	s_delay_alu instid0(VALU_DEP_1) | instskip(NEXT) | instid1(VALU_DEP_1)
	v_bitop3_b32 v99, v99, v101, v113 bitop3:0x80
	v_mbcnt_lo_u32_b32 v165, v99, 0
	v_cmp_ne_u32_e64 s15, 0, v99
	s_delay_alu instid0(VALU_DEP_2) | instskip(SKIP_1) | instid1(SALU_CYCLE_1)
	v_cmp_eq_u32_e64 s14, 0, v165
	s_and_b32 s15, s15, s14
	s_and_saveexec_b32 s14, s15
	s_cbranch_execz .LBB493_79
; %bb.78:                               ;   in Loop: Header=BB493_53 Depth=1
	s_wait_dscnt 0x0
	v_bcnt_u32_b32 v99, v99, v164
	ds_store_b32 v163, v99
.LBB493_79:                             ;   in Loop: Header=BB493_53 Depth=1
	s_or_b32 exec_lo, exec_lo, s14
	s_set_vgpr_msb 4                        ;  msbs: dst=0 src0=0 src1=1 src2=0
	v_lshrrev_b32_e32 v99, v10, v28 /*v284*/
	; wave barrier
	s_set_vgpr_msb 0                        ;  msbs: dst=0 src0=0 src1=0 src2=0
	s_delay_alu instid0(VALU_DEP_1) | instskip(SKIP_1) | instid1(VALU_DEP_2)
	v_and_b32_e32 v101, v99, v85
	v_bitop3_b32 v99, v99, 1, v85 bitop3:0x80
	v_lshlrev_b32_e32 v113, 30, v101
	s_delay_alu instid0(VALU_DEP_2) | instskip(NEXT) | instid1(VALU_DEP_1)
	v_add_co_u32 v99, s14, v99, -1
	v_cndmask_b32_e64 v133, 0, 1, s14
	s_delay_alu instid0(VALU_DEP_3) | instskip(NEXT) | instid1(VALU_DEP_2)
	v_not_b32_e32 v135, v113
	v_cmp_ne_u32_e64 s16, 0, v133
	s_delay_alu instid0(VALU_DEP_2) | instskip(SKIP_3) | instid1(VALU_DEP_4)
	v_dual_ashrrev_i32 v133, 31, v135 :: v_dual_lshlrev_b32 v115, 29, v101
	v_dual_lshlrev_b32 v117, 28, v101 :: v_dual_lshlrev_b32 v119, 27, v101
	v_dual_lshlrev_b32 v129, 26, v101 :: v_dual_lshlrev_b32 v131, 25, v101
	v_cmp_gt_i32_e64 s14, 0, v113
	v_cmp_gt_i32_e64 s15, 0, v115
	v_not_b32_e32 v113, v115
	v_not_b32_e32 v115, v117
	s_set_vgpr_msb 16                       ;  msbs: dst=0 src0=0 src1=0 src2=1
	v_lshl_add_u32 v103, v101, 3, v9 /*v265*/
	v_lshlrev_b32_e32 v101, 24, v101
	v_cmp_gt_i32_e64 s17, 0, v117
	v_dual_ashrrev_i32 v113, 31, v113 :: v_dual_bitop2_b32 v99, s16, v99 bitop3:0x14
	v_ashrrev_i32_e32 v115, 31, v115
	v_not_b32_e32 v135, v129
	v_xor_b32_e32 v117, s14, v133
	v_not_b32_e32 v133, v119
	v_cmp_gt_i32_e64 s14, 0, v119
	v_xor_b32_e32 v115, s17, v115
	v_ashrrev_i32_e32 v119, 31, v135
	v_bitop3_b32 v99, v99, v117, exec_lo bitop3:0x80
	v_ashrrev_i32_e32 v117, 31, v133
	s_set_vgpr_msb 0                        ;  msbs: dst=0 src0=0 src1=0 src2=0
	v_lshl_add_u32 v103, v103, 2, v12
	v_xor_b32_e32 v113, s15, v113
	v_cmp_gt_i32_e64 s15, 0, v129
	s_delay_alu instid0(VALU_DEP_3) | instskip(NEXT) | instid1(VALU_DEP_3)
	v_add_nc_u32_e32 v176, 32, v103
	v_bitop3_b32 v99, v99, v115, v113 bitop3:0x80
	v_not_b32_e32 v113, v131
	v_xor_b32_e32 v115, s14, v117
	v_not_b32_e32 v117, v101
	v_xor_b32_e32 v119, s15, v119
	v_cmp_gt_i32_e64 s14, 0, v131
	v_ashrrev_i32_e32 v113, 31, v113
	v_cmp_gt_i32_e64 s15, 0, v101
	v_ashrrev_i32_e32 v101, 31, v117
	v_bitop3_b32 v99, v99, v119, v115 bitop3:0x80
	ds_load_b32 v166, v103 offset:32
	v_xor_b32_e32 v113, s14, v113
	v_xor_b32_e32 v101, s15, v101
	; wave barrier
	s_delay_alu instid0(VALU_DEP_1) | instskip(NEXT) | instid1(VALU_DEP_1)
	v_bitop3_b32 v99, v99, v101, v113 bitop3:0x80
	v_mbcnt_lo_u32_b32 v167, v99, 0
	v_cmp_ne_u32_e64 s15, 0, v99
	s_delay_alu instid0(VALU_DEP_2) | instskip(SKIP_1) | instid1(SALU_CYCLE_1)
	v_cmp_eq_u32_e64 s14, 0, v167
	s_and_b32 s15, s15, s14
	s_and_saveexec_b32 s14, s15
	s_cbranch_execz .LBB493_81
; %bb.80:                               ;   in Loop: Header=BB493_53 Depth=1
	s_wait_dscnt 0x0
	v_bcnt_u32_b32 v99, v99, v166
	ds_store_b32 v176, v99
.LBB493_81:                             ;   in Loop: Header=BB493_53 Depth=1
	s_or_b32 exec_lo, exec_lo, s14
	s_set_vgpr_msb 4                        ;  msbs: dst=0 src0=0 src1=1 src2=0
	v_lshrrev_b32_e32 v99, v10, v27 /*v283*/
	; wave barrier
	s_set_vgpr_msb 0                        ;  msbs: dst=0 src0=0 src1=0 src2=0
	s_delay_alu instid0(VALU_DEP_1) | instskip(SKIP_1) | instid1(VALU_DEP_2)
	v_and_b32_e32 v101, v99, v85
	v_bitop3_b32 v99, v99, 1, v85 bitop3:0x80
	v_dual_lshlrev_b32 v115, 30, v101 :: v_dual_lshlrev_b32 v117, 29, v101
	s_delay_alu instid0(VALU_DEP_2) | instskip(NEXT) | instid1(VALU_DEP_1)
	v_add_co_u32 v99, s14, v99, -1
	v_cndmask_b32_e64 v113, 0, 1, s14
	s_delay_alu instid0(VALU_DEP_3) | instskip(NEXT) | instid1(VALU_DEP_4)
	v_cmp_gt_i32_e64 s15, 0, v115
	v_cmp_gt_i32_e64 s16, 0, v117
	s_delay_alu instid0(VALU_DEP_3) | instskip(SKIP_2) | instid1(VALU_DEP_3)
	v_cmp_ne_u32_e64 s14, 0, v113
	v_not_b32_e32 v113, v115
	v_not_b32_e32 v115, v117
	v_xor_b32_e32 v99, s14, v99
	s_delay_alu instid0(VALU_DEP_2) | instskip(SKIP_2) | instid1(VALU_DEP_3)
	v_dual_ashrrev_i32 v115, 31, v115 :: v_dual_lshlrev_b32 v119, 28, v101
	v_dual_lshlrev_b32 v129, 27, v101 :: v_dual_lshlrev_b32 v131, 26, v101
	v_lshlrev_b32_e32 v133, 25, v101
	v_dual_ashrrev_i32 v113, 31, v113 :: v_dual_bitop2_b32 v115, s16, v115 bitop3:0x14
	s_delay_alu instid0(VALU_DEP_4)
	v_not_b32_e32 v117, v119
	s_set_vgpr_msb 16                       ;  msbs: dst=0 src0=0 src1=0 src2=1
	v_lshl_add_u32 v103, v101, 3, v9 /*v265*/
	v_lshlrev_b32_e32 v101, 24, v101
	v_cmp_gt_i32_e64 s17, 0, v119
	v_not_b32_e32 v119, v129
	v_ashrrev_i32_e32 v117, 31, v117
	v_not_b32_e32 v135, v131
	v_xor_b32_e32 v113, s15, v113
	v_cmp_gt_i32_e64 s14, 0, v129
	v_cmp_gt_i32_e64 s15, 0, v131
	s_set_vgpr_msb 0                        ;  msbs: dst=0 src0=0 src1=0 src2=0
	v_lshl_add_u32 v103, v103, 2, v12
	v_bitop3_b32 v99, v99, v113, exec_lo bitop3:0x80
	v_dual_ashrrev_i32 v113, 31, v119 :: v_dual_bitop2_b32 v117, s17, v117 bitop3:0x14
	v_ashrrev_i32_e32 v119, 31, v135
	s_delay_alu instid0(VALU_DEP_4)
	v_add_nc_u32_e32 v179, 32, v103
	ds_load_b32 v177, v103 offset:32
	v_xor_b32_e32 v113, s14, v113
	v_bitop3_b32 v99, v99, v117, v115 bitop3:0x80
	v_not_b32_e32 v115, v133
	v_not_b32_e32 v117, v101
	v_xor_b32_e32 v119, s15, v119
	v_cmp_gt_i32_e64 s14, 0, v133
	v_cmp_gt_i32_e64 s15, 0, v101
	s_delay_alu instid0(VALU_DEP_4) | instskip(NEXT) | instid1(VALU_DEP_4)
	v_dual_ashrrev_i32 v115, 31, v115 :: v_dual_ashrrev_i32 v101, 31, v117
	v_bitop3_b32 v99, v99, v119, v113 bitop3:0x80
	; wave barrier
	s_delay_alu instid0(VALU_DEP_2) | instskip(NEXT) | instid1(VALU_DEP_3)
	v_xor_b32_e32 v113, s14, v115
	v_xor_b32_e32 v101, s15, v101
	s_delay_alu instid0(VALU_DEP_1) | instskip(NEXT) | instid1(VALU_DEP_1)
	v_bitop3_b32 v99, v99, v101, v113 bitop3:0x80
	v_mbcnt_lo_u32_b32 v178, v99, 0
	v_cmp_ne_u32_e64 s15, 0, v99
	s_delay_alu instid0(VALU_DEP_2) | instskip(SKIP_1) | instid1(SALU_CYCLE_1)
	v_cmp_eq_u32_e64 s14, 0, v178
	s_and_b32 s15, s15, s14
	s_and_saveexec_b32 s14, s15
	s_cbranch_execz .LBB493_83
; %bb.82:                               ;   in Loop: Header=BB493_53 Depth=1
	s_wait_dscnt 0x0
	v_bcnt_u32_b32 v99, v99, v177
	ds_store_b32 v179, v99
.LBB493_83:                             ;   in Loop: Header=BB493_53 Depth=1
	s_or_b32 exec_lo, exec_lo, s14
	s_set_vgpr_msb 4                        ;  msbs: dst=0 src0=0 src1=1 src2=0
	v_lshrrev_b32_e32 v99, v10, v30 /*v286*/
	; wave barrier
	s_set_vgpr_msb 0                        ;  msbs: dst=0 src0=0 src1=0 src2=0
	s_delay_alu instid0(VALU_DEP_1) | instskip(SKIP_1) | instid1(VALU_DEP_2)
	v_and_b32_e32 v101, v99, v85
	v_bitop3_b32 v85, v99, 1, v85 bitop3:0x80
	v_lshlrev_b32_e32 v113, 30, v101
	s_delay_alu instid0(VALU_DEP_2) | instskip(NEXT) | instid1(VALU_DEP_1)
	v_add_co_u32 v85, s14, v85, -1
	v_cndmask_b32_e64 v103, 0, 1, s14
	s_delay_alu instid0(VALU_DEP_1) | instskip(NEXT) | instid1(VALU_DEP_4)
	v_cmp_ne_u32_e64 s14, 0, v103
	v_not_b32_e32 v103, v113
	s_delay_alu instid0(VALU_DEP_1)
	v_dual_ashrrev_i32 v103, 31, v103 :: v_dual_bitop2_b32 v85, s14, v85 bitop3:0x14
	v_dual_lshlrev_b32 v115, 29, v101 :: v_dual_lshlrev_b32 v117, 28, v101
	v_lshlrev_b32_e32 v119, 27, v101
	v_cmp_gt_i32_e64 s15, 0, v113
	s_set_vgpr_msb 16                       ;  msbs: dst=0 src0=0 src1=0 src2=1
	v_lshl_add_u32 v99, v101, 3, v9 /*v265*/
	v_cmp_gt_i32_e64 s16, 0, v115
	v_not_b32_e32 v113, v115
	v_not_b32_e32 v115, v117
	v_dual_lshlrev_b32 v129, 26, v101 :: v_dual_lshlrev_b32 v131, 25, v101
	v_lshlrev_b32_e32 v101, 24, v101
	v_cmp_gt_i32_e64 s17, 0, v117
	v_dual_ashrrev_i32 v113, 31, v113 :: v_dual_bitop2_b32 v103, s15, v103 bitop3:0x14
	v_ashrrev_i32_e32 v115, 31, v115
	v_not_b32_e32 v117, v119
	v_not_b32_e32 v133, v129
	s_delay_alu instid0(VALU_DEP_4) | instskip(SKIP_1) | instid1(VALU_DEP_4)
	v_xor_b32_e32 v113, s16, v113
	v_bitop3_b32 v85, v85, v103, exec_lo bitop3:0x80
	v_dual_ashrrev_i32 v103, 31, v117 :: v_dual_bitop2_b32 v115, s17, v115 bitop3:0x14
	v_cmp_gt_i32_e64 s14, 0, v119
	v_cmp_gt_i32_e64 s15, 0, v129
	v_ashrrev_i32_e32 v117, 31, v133
	s_set_vgpr_msb 0                        ;  msbs: dst=0 src0=0 src1=0 src2=0
	v_bitop3_b32 v85, v85, v115, v113 bitop3:0x80
	v_not_b32_e32 v113, v131
	v_not_b32_e32 v115, v101
	v_xor_b32_e32 v103, s14, v103
	v_xor_b32_e32 v117, s15, v117
	v_cmp_gt_i32_e64 s14, 0, v131
	v_ashrrev_i32_e32 v113, 31, v113
	v_cmp_gt_i32_e64 s15, 0, v101
	v_ashrrev_i32_e32 v101, 31, v115
	v_lshl_add_u32 v115, v99, 2, v12
	v_bitop3_b32 v99, v85, v117, v103 bitop3:0x80
	v_xor_b32_e32 v103, s14, v113
	s_delay_alu instid0(VALU_DEP_4) | instskip(SKIP_3) | instid1(VALU_DEP_1)
	v_xor_b32_e32 v101, s15, v101
	ds_load_b32 v85, v115 offset:32
	v_add_nc_u32_e32 v181, 32, v115
	; wave barrier
	v_bitop3_b32 v99, v99, v101, v103 bitop3:0x80
	v_mbcnt_lo_u32_b32 v180, v99, 0
	v_cmp_ne_u32_e64 s15, 0, v99
	s_delay_alu instid0(VALU_DEP_2) | instskip(SKIP_1) | instid1(SALU_CYCLE_1)
	v_cmp_eq_u32_e64 s14, 0, v180
	s_and_b32 s15, s15, s14
	s_and_saveexec_b32 s14, s15
	s_cbranch_execz .LBB493_85
; %bb.84:                               ;   in Loop: Header=BB493_53 Depth=1
	s_wait_dscnt 0x0
	v_bcnt_u32_b32 v99, v99, v85
	ds_store_b32 v181, v99
.LBB493_85:                             ;   in Loop: Header=BB493_53 Depth=1
	s_or_b32 exec_lo, exec_lo, s14
	; wave barrier
	s_wait_dscnt 0x0
	s_barrier_signal -1
	s_barrier_wait -1
	ds_load_b32 v99, v23
	ds_load_b32 v101, v39
	s_set_vgpr_msb 1                        ;  msbs: dst=0 src0=1 src1=0 src2=0
	ds_load_b32 v113, v3 /*v259*/
	ds_load_b32 v103, v4 /*v260*/
	;; [unrolled: 1-line block ×6, first 2 shown]
	s_wait_dscnt 0x6
	s_set_vgpr_msb 0                        ;  msbs: dst=0 src0=0 src1=0 src2=0
	v_add_nc_u32_e32 v119, v101, v99
	s_wait_dscnt 0x4
	s_delay_alu instid0(VALU_DEP_1) | instskip(SKIP_1) | instid1(VALU_DEP_1)
	v_add3_u32 v119, v119, v113, v103
	s_wait_dscnt 0x2
	v_add3_u32 v119, v119, v117, v133
	s_wait_dscnt 0x0
	s_delay_alu instid0(VALU_DEP_1) | instskip(NEXT) | instid1(VALU_DEP_1)
	v_add3_u32 v115, v119, v182, v115
	v_mov_b32_dpp v119, v115 row_shr:1 row_mask:0xf bank_mask:0xf
	s_delay_alu instid0(VALU_DEP_1) | instskip(NEXT) | instid1(VALU_DEP_1)
	v_cndmask_b32_e64 v119, v119, 0, vcc_lo
	v_add_nc_u32_e32 v115, v119, v115
	s_delay_alu instid0(VALU_DEP_1) | instskip(NEXT) | instid1(VALU_DEP_1)
	v_mov_b32_dpp v119, v115 row_shr:2 row_mask:0xf bank_mask:0xf
	v_cndmask_b32_e64 v119, 0, v119, s0
	s_delay_alu instid0(VALU_DEP_1) | instskip(NEXT) | instid1(VALU_DEP_1)
	v_add_nc_u32_e32 v115, v115, v119
	v_mov_b32_dpp v119, v115 row_shr:4 row_mask:0xf bank_mask:0xf
	s_delay_alu instid0(VALU_DEP_1) | instskip(NEXT) | instid1(VALU_DEP_1)
	v_cndmask_b32_e64 v119, 0, v119, s1
	v_add_nc_u32_e32 v115, v115, v119
	s_delay_alu instid0(VALU_DEP_1) | instskip(NEXT) | instid1(VALU_DEP_1)
	v_mov_b32_dpp v119, v115 row_shr:8 row_mask:0xf bank_mask:0xf
	v_cndmask_b32_e64 v119, 0, v119, s3
	s_delay_alu instid0(VALU_DEP_1) | instskip(SKIP_3) | instid1(VALU_DEP_1)
	v_add_nc_u32_e32 v115, v115, v119
	ds_swizzle_b32 v119, v115 offset:swizzle(BROADCAST,32,15)
	s_wait_dscnt 0x0
	v_cndmask_b32_e64 v119, v119, 0, s4
	v_add_nc_u32_e32 v115, v115, v119
	s_and_saveexec_b32 s14, s5
; %bb.86:                               ;   in Loop: Header=BB493_53 Depth=1
	s_set_vgpr_msb 1                        ;  msbs: dst=0 src0=1 src1=0 src2=0
	ds_store_b32 v12 /*v268*/, v115
; %bb.87:                               ;   in Loop: Header=BB493_53 Depth=1
	s_or_b32 exec_lo, exec_lo, s14
	s_wait_dscnt 0x0
	s_barrier_signal -1
	s_barrier_wait -1
	s_and_saveexec_b32 s14, s6
	s_set_vgpr_msb 0                        ;  msbs: dst=0 src0=0 src1=0 src2=0
	s_cbranch_execz .LBB493_89
; %bb.88:                               ;   in Loop: Header=BB493_53 Depth=1
	ds_load_b32 v119, v4
	s_wait_dscnt 0x0
	v_mov_b32_dpp v129, v119 row_shr:1 row_mask:0xf bank_mask:0xf
	s_delay_alu instid0(VALU_DEP_1) | instskip(NEXT) | instid1(VALU_DEP_1)
	v_cndmask_b32_e64 v129, v129, 0, s11
	v_add_nc_u32_e32 v119, v129, v119
	s_delay_alu instid0(VALU_DEP_1) | instskip(NEXT) | instid1(VALU_DEP_1)
	v_mov_b32_dpp v129, v119 row_shr:2 row_mask:0xf bank_mask:0xf
	v_cndmask_b32_e64 v129, 0, v129, s12
	s_delay_alu instid0(VALU_DEP_1) | instskip(NEXT) | instid1(VALU_DEP_1)
	v_add_nc_u32_e32 v119, v119, v129
	v_mov_b32_dpp v129, v119 row_shr:4 row_mask:0xf bank_mask:0xf
	s_delay_alu instid0(VALU_DEP_1) | instskip(NEXT) | instid1(VALU_DEP_1)
	v_cndmask_b32_e64 v129, 0, v129, s13
	v_add_nc_u32_e32 v119, v119, v129
	ds_store_b32 v4, v119
.LBB493_89:                             ;   in Loop: Header=BB493_53 Depth=1
	s_or_b32 exec_lo, exec_lo, s14
	v_mov_b32_e32 v119, 0
	s_wait_dscnt 0x0
	s_barrier_signal -1
	s_barrier_wait -1
	s_and_saveexec_b32 s14, s7
; %bb.90:                               ;   in Loop: Header=BB493_53 Depth=1
	s_set_vgpr_msb 4                        ;  msbs: dst=0 src0=0 src1=1 src2=0
	v_add_nc_u32_e32 v119, -4, v12 /*v268*/
	ds_load_b32 v119, v119
; %bb.91:                               ;   in Loop: Header=BB493_53 Depth=1
	s_or_b32 exec_lo, exec_lo, s14
	s_wait_dscnt 0x0
	s_set_vgpr_msb 0                        ;  msbs: dst=0 src0=0 src1=0 src2=0
	v_dual_add_nc_u32 v115, v119, v115 :: v_dual_mov_b32 v135, v1
	v_mov_b32_e32 v145, v1
	s_mov_b32 s16, -1
                                        ; implicit-def: $vgpr208_vgpr209
                                        ; implicit-def: $vgpr240_vgpr241
	v_mov_b32_e32 v131, v1
	s_set_vgpr_msb 1                        ;  msbs: dst=0 src0=1 src1=0 src2=0
	ds_bpermute_b32 v115, v10 /*v266*/, v115
	s_set_vgpr_msb 0                        ;  msbs: dst=0 src0=0 src1=0 src2=0
	v_dual_mov_b32 v129, v1 :: v_dual_add_nc_u32 v10, 8, v10
	s_delay_alu instid0(VALU_DEP_1) | instskip(SKIP_2) | instid1(VALU_DEP_1)
	v_cmp_lt_u32_e64 s14, v10, v11
	s_wait_dscnt 0x0
	v_dual_cndmask_b32 v115, v115, v119, s2 :: v_dual_mov_b32 v119, v1
	v_cndmask_b32_e64 v183, v115, 0, s10
	s_delay_alu instid0(VALU_DEP_1) | instskip(NEXT) | instid1(VALU_DEP_1)
	v_dual_mov_b32 v115, v1 :: v_dual_add_nc_u32 v192, v183, v99
	v_dual_mov_b32 v99, v1 :: v_dual_add_nc_u32 v193, v192, v101
	ds_store_b32 v23, v183
	ds_store_b32 v39, v192
	s_set_vgpr_msb 1                        ;  msbs: dst=0 src0=1 src1=0 src2=0
	ds_store_b32 v3 /*v259*/, v193
	s_set_vgpr_msb 0                        ;  msbs: dst=0 src0=0 src1=0 src2=0
	v_mov_b32_e32 v101, v1
	v_add_nc_u32_e32 v194, v193, v113
	s_delay_alu instid0(VALU_DEP_1) | instskip(NEXT) | instid1(VALU_DEP_1)
	v_dual_mov_b32 v113, v1 :: v_dual_add_nc_u32 v195, v194, v103
	v_dual_mov_b32 v103, v1 :: v_dual_add_nc_u32 v196, v195, v117
	s_delay_alu instid0(VALU_DEP_1) | instskip(SKIP_1) | instid1(VALU_DEP_2)
	v_dual_mov_b32 v117, v1 :: v_dual_add_nc_u32 v197, v196, v133
	v_mov_b32_e32 v133, v1
	v_add_nc_u32_e32 v182, v197, v182
	s_set_vgpr_msb 1                        ;  msbs: dst=0 src0=1 src1=0 src2=0
	ds_store_b32 v4 /*v260*/, v194
	ds_store_b32 v5 /*v261*/, v195
	;; [unrolled: 1-line block ×5, first 2 shown]
	s_wait_dscnt 0x0
	s_barrier_signal -1
	s_barrier_wait -1
	s_set_vgpr_msb 0                        ;  msbs: dst=0 src0=0 src1=0 src2=0
	ds_load_b32 v68, v68
	ds_load_b32 v71, v71
	;; [unrolled: 1-line block ×16, first 2 shown]
	v_dual_mov_b32 v151, v1 :: v_dual_mov_b32 v161, v1
	v_mov_b32_e32 v163, v1
	s_wait_dscnt 0x0
	v_add_nc_u32_e32 v0, v68, v0
	v_add3_u32 v98, v70, v69, v71
	v_add3_u32 v100, v81, v80, v82
	;; [unrolled: 1-line block ×15, first 2 shown]
	s_set_vgpr_msb 64                       ;  msbs: dst=1 src0=0 src1=0 src2=0
	v_lshl_add_u64 v[0:1] /*v[256:257]*/, v[0:1], 2, v[12:13]
	s_set_vgpr_msb 0                        ;  msbs: dst=0 src0=0 src1=0 src2=0
	v_lshl_add_u64 v[246:247], v[98:99], 2, v[12:13]
	v_lshl_add_u64 v[244:245], v[100:101], 2, v[12:13]
	;; [unrolled: 1-line block ×15, first 2 shown]
                                        ; implicit-def: $vgpr80_vgpr81
                                        ; implicit-def: $vgpr68_vgpr69
                                        ; implicit-def: $vgpr70_vgpr71
                                        ; implicit-def: $vgpr82_vgpr83
                                        ; implicit-def: $vgpr84_vgpr85
                                        ; implicit-def: $vgpr86_vgpr87
                                        ; implicit-def: $vgpr96_vgpr97
                                        ; implicit-def: $vgpr146_vgpr147
                                        ; implicit-def: $vgpr148_vgpr149
                                        ; implicit-def: $vgpr164_vgpr165
                                        ; implicit-def: $vgpr176_vgpr177
                                        ; implicit-def: $vgpr166_vgpr167
                                        ; implicit-def: $vgpr178_vgpr179
                                        ; implicit-def: $vgpr196_vgpr197
                                        ; implicit-def: $vgpr101
                                        ; implicit-def: $vgpr99
                                        ; implicit-def: $vgpr113
                                        ; implicit-def: $vgpr103
                                        ; implicit-def: $vgpr117
                                        ; implicit-def: $vgpr115
                                        ; implicit-def: $vgpr129
                                        ; implicit-def: $vgpr119
                                        ; implicit-def: $vgpr145
                                        ; implicit-def: $vgpr135
                                        ; implicit-def: $vgpr131
                                        ; implicit-def: $vgpr133
                                        ; implicit-def: $vgpr161
                                        ; implicit-def: $vgpr151
                                        ; implicit-def: $vgpr181
                                        ; implicit-def: $vgpr163
	s_and_saveexec_b32 s15, s14
	s_cbranch_execz .LBB493_52
; %bb.92:                               ;   in Loop: Header=BB493_53 Depth=1
	s_set_vgpr_msb 5                        ;  msbs: dst=0 src0=1 src1=1 src2=0
	v_add_nc_u32_e32 v68, 0x80, v11 /*v267*/
	v_add_nc_u32_e32 v69, 0x100, v11 /*v267*/
	;; [unrolled: 1-line block ×5, first 2 shown]
	s_barrier_signal -1
	s_barrier_wait -1
	ds_store_b32 v0 /*v256*/, v15 /*v271*/
	s_set_vgpr_msb 4                        ;  msbs: dst=0 src0=0 src1=1 src2=0
	ds_store_b32 v246, v17 /*v273*/
	ds_store_b32 v244, v16 /*v272*/
	;; [unrolled: 1-line block ×15, first 2 shown]
	s_wait_dscnt 0x0
	s_barrier_signal -1
	s_barrier_wait -1
	s_set_vgpr_msb 1                        ;  msbs: dst=0 src0=1 src1=0 src2=0
	ds_load_b32 v101, v11 /*v267*/
	s_set_vgpr_msb 4                        ;  msbs: dst=0 src0=0 src1=1 src2=0
	ds_load_b32 v99, v68
	ds_load_b32 v113, v69
	;; [unrolled: 1-line block ×5, first 2 shown]
	v_add_nc_u32_e32 v68, 0x300, v11 /*v267*/
	v_add_nc_u32_e32 v69, 0x380, v11 /*v267*/
	;; [unrolled: 1-line block ×5, first 2 shown]
	ds_load_b32 v129, v68
	ds_load_b32 v119, v69
	;; [unrolled: 1-line block ×5, first 2 shown]
	v_add_nc_u32_e32 v68, 0x580, v11 /*v267*/
	v_add_nc_u32_e32 v69, 0x600, v11 /*v267*/
	v_add_nc_u32_e32 v70, 0x680, v11 /*v267*/
	v_add_nc_u32_e32 v71, 0x700, v11 /*v267*/
	v_add_nc_u32_e32 v80, 0x780, v11 /*v267*/
	ds_load_b32 v133, v68
	ds_load_b32 v161, v69
	;; [unrolled: 1-line block ×5, first 2 shown]
	s_set_vgpr_msb 16                       ;  msbs: dst=0 src0=0 src1=0 src2=1
	v_lshl_add_u32 v68, v0, 2, v0 /*v256*/
	s_wait_dscnt 0x0
	s_barrier_signal -1
	s_barrier_wait -1
	ds_store_b64 v68, v[54:55]
	s_set_vgpr_msb 0                        ;  msbs: dst=0 src0=0 src1=0 src2=0
	v_lshl_add_u32 v68, v98, 2, v246
	v_lshl_add_u32 v69, v100, 2, v244
	v_lshl_add_u32 v70, v112, 2, v242
	v_lshl_add_u32 v71, v118, 2, v230
	v_lshl_add_u32 v80, v130, 2, v228
	ds_store_b64 v68, v[34:35]
	ds_store_b64 v69, v[32:33]
	ds_store_b64 v70, v[30:31]
	ds_store_b64 v71, v[28:29]
	ds_store_b64 v80, v[26:27]
	v_lshl_add_u32 v68, v102, 2, v226
	v_lshl_add_u32 v69, v114, 2, v224
	v_lshl_add_u32 v70, v128, 2, v214
	v_lshl_add_u32 v71, v134, 2, v212
	v_lshl_add_u32 v80, v144, 2, v210
	ds_store_b64 v68, v[24:25]
	ds_store_b64 v69, v[20:21]
	ds_store_b64 v70, v[18:19]
	ds_store_b64 v71, v[16:17]
	ds_store_b64 v80, v[14:15]
	v_lshl_add_u32 v68, v116, 2, v198
	v_lshl_add_u32 v69, v132, 2, v194
	v_lshl_add_u32 v70, v150, 2, v192
	v_lshl_add_u32 v71, v160, 2, v182
	v_lshl_add_u32 v80, v162, 2, v180
	ds_store_b64 v68, v[50:51]
	ds_store_b64 v69, v[48:49]
	ds_store_b64 v70, v[36:37]
	ds_store_b64 v71, v[66:67]
	ds_store_b64 v80, v[64:65]
	v_add_nc_u32_e32 v68, 0x100, v5
	v_add_nc_u32_e32 v70, 0x200, v5
	;; [unrolled: 1-line block ×4, first 2 shown]
	s_wait_dscnt 0x0
	s_barrier_signal -1
	s_barrier_wait -1
	ds_load_b64 v[68:69], v68
	ds_load_b64 v[70:71], v70
	ds_load_b64 v[82:83], v80
	ds_load_b64 v[84:85], v81
	v_add_nc_u32_e32 v80, 0x500, v5
	v_add_nc_u32_e32 v81, 0x600, v5
	;; [unrolled: 1-line block ×5, first 2 shown]
	ds_load_b64 v[86:87], v80
	ds_load_b64 v[96:97], v81
	ds_load_b64 v[146:147], v146
	ds_load_b64 v[148:149], v148
	ds_load_b64 v[164:165], v164
	v_add_nc_u32_e32 v80, 0xa00, v5
	v_add_nc_u32_e32 v81, 0xb00, v5
	;; [unrolled: 1-line block ×5, first 2 shown]
	ds_load_b64 v[176:177], v80
	ds_load_b64 v[166:167], v81
	;; [unrolled: 1-line block ×6, first 2 shown]
	s_set_vgpr_msb 1                        ;  msbs: dst=0 src0=1 src1=0 src2=0
	ds_load_b64 v[240:241], v13 /*v269*/
	s_set_vgpr_msb 0x44                     ;  msbs: dst=1 src0=0 src1=1 src2=0
	v_add_nc_u32_e32 v14 /*v270*/, -8, v14 /*v270*/
	s_xor_b32 s16, exec_lo, -1
	s_wait_dscnt 0x0
	s_barrier_signal -1
	s_barrier_wait -1
	s_set_vgpr_msb 0                        ;  msbs: dst=0 src0=0 src1=0 src2=0
	s_branch .LBB493_52
.LBB493_93:
	s_or_b32 exec_lo, exec_lo, s23
	s_set_vgpr_msb 16                       ;  msbs: dst=0 src0=0 src1=0 src2=1
	v_lshl_add_u32 v0, v0, 2, v0 /*v256*/
	s_barrier_signal -1
	s_barrier_wait -1
	s_set_vgpr_msb 5                        ;  msbs: dst=0 src0=1 src1=1 src2=0
	ds_store_b32 v0 /*v256*/, v15 /*v271*/
	s_set_vgpr_msb 4                        ;  msbs: dst=0 src0=0 src1=1 src2=0
	ds_store_b32 v246, v17 /*v273*/
	ds_store_b32 v244, v16 /*v272*/
	;; [unrolled: 1-line block ×15, first 2 shown]
	s_wait_dscnt 0x0
	s_barrier_signal -1
	s_barrier_wait -1
	ds_load_2addr_stride64_b32 v[86:87], v4 offset1:4
	ds_load_2addr_stride64_b32 v[84:85], v4 offset0:8 offset1:12
	ds_load_2addr_stride64_b32 v[82:83], v4 offset0:16 offset1:20
	;; [unrolled: 1-line block ×7, first 2 shown]
	s_wait_dscnt 0x0
	s_barrier_signal -1
	s_barrier_wait -1
	s_set_vgpr_msb 0                        ;  msbs: dst=0 src0=0 src1=0 src2=0
	ds_store_b64 v0, v[54:55]
	v_lshl_add_u32 v0, v98, 2, v246
	v_lshl_add_u32 v1, v100, 2, v244
	v_lshl_add_u32 v10, v112, 2, v242
	v_lshl_add_u32 v11, v118, 2, v230
	v_lshl_add_u32 v13, v130, 2, v228
	ds_store_b64 v0, v[34:35]
	ds_store_b64 v1, v[32:33]
	ds_store_b64 v10, v[30:31]
	ds_store_b64 v11, v[28:29]
	ds_store_b64 v13, v[26:27]
	v_lshl_add_u32 v0, v102, 2, v226
	v_lshl_add_u32 v1, v114, 2, v224
	v_lshl_add_u32 v10, v128, 2, v214
	v_lshl_add_u32 v11, v134, 2, v212
	v_lshl_add_u32 v13, v144, 2, v210
	ds_store_b64 v0, v[24:25]
	ds_store_b64 v1, v[20:21]
	ds_store_b64 v10, v[18:19]
	ds_store_b64 v11, v[16:17]
	;; [unrolled: 10-line block ×3, first 2 shown]
	ds_store_b64 v13, v[64:65]
	v_lshl_add_u32 v0, v22, 3, v12
	s_wait_dscnt 0x0
	s_barrier_signal -1
	s_barrier_wait -1
	ds_load_2addr_stride64_b64 v[48:51], v0 offset1:4
	ds_load_2addr_stride64_b64 v[34:37], v0 offset0:8 offset1:12
	ds_load_2addr_stride64_b64 v[30:33], v0 offset0:16 offset1:20
	;; [unrolled: 1-line block ×7, first 2 shown]
	v_lshl_add_u64 v[0:1], v[8:9], 2, v[2:3]
	v_mov_b32_e32 v39, 0
	s_set_vgpr_msb 4                        ;  msbs: dst=0 src0=0 src1=1 src2=0
	v_cmp_lt_u32_e32 vcc_lo, v38, v2 /*v258*/
	s_wait_dscnt 0x0
	s_barrier_signal -1
	s_barrier_wait -1
	v_lshl_add_u64 v[0:1], v[38:39], 2, v[0:1]
	s_and_saveexec_b32 s0, vcc_lo
	s_set_vgpr_msb 0                        ;  msbs: dst=0 src0=0 src1=0 src2=0
	s_cbranch_execz .LBB493_95
; %bb.94:
	v_xor_b32_e32 v2, 0x7fffffff, v86
	flat_store_b32 v[0:1], v2
.LBB493_95:
	s_wait_xcnt 0x0
	s_or_b32 exec_lo, exec_lo, s0
	v_add_nc_u32_e32 v2, 0x100, v38
	s_set_vgpr_msb 4                        ;  msbs: dst=0 src0=0 src1=1 src2=0
	s_delay_alu instid0(VALU_DEP_1)
	v_cmp_lt_u32_e64 s0, v2, v2 /*v258*/
	s_and_saveexec_b32 s1, s0
	s_set_vgpr_msb 0                        ;  msbs: dst=0 src0=0 src1=0 src2=0
	s_cbranch_execz .LBB493_97
; %bb.96:
	v_xor_b32_e32 v2, 0x7fffffff, v87
	flat_store_b32 v[0:1], v2 offset:1024
.LBB493_97:
	s_wait_xcnt 0x0
	s_or_b32 exec_lo, exec_lo, s1
	v_add_nc_u32_e32 v2, 0x200, v38
	s_set_vgpr_msb 4                        ;  msbs: dst=0 src0=0 src1=1 src2=0
	s_delay_alu instid0(VALU_DEP_1)
	v_cmp_lt_u32_e64 s1, v2, v2 /*v258*/
	s_and_saveexec_b32 s2, s1
	s_set_vgpr_msb 0                        ;  msbs: dst=0 src0=0 src1=0 src2=0
	s_cbranch_execz .LBB493_99
; %bb.98:
	v_xor_b32_e32 v2, 0x7fffffff, v84
	flat_store_b32 v[0:1], v2 offset:2048
.LBB493_99:
	;; [unrolled: 13-line block ×15, first 2 shown]
	s_wait_xcnt 0x0
	s_or_b32 exec_lo, exec_lo, s17
	v_lshl_add_u64 v[0:1], v[8:9], 3, v[6:7]
	s_delay_alu instid0(VALU_DEP_1)
	v_lshl_add_u64 v[0:1], v[38:39], 3, v[0:1]
	s_and_saveexec_b32 s17, vcc_lo
	s_cbranch_execnz .LBB493_211
; %bb.126:
	s_or_b32 exec_lo, exec_lo, s17
	s_and_saveexec_b32 s17, s0
	s_cbranch_execnz .LBB493_212
.LBB493_127:
	s_or_b32 exec_lo, exec_lo, s17
	s_and_saveexec_b32 s0, s1
	s_cbranch_execnz .LBB493_213
.LBB493_128:
	s_or_b32 exec_lo, exec_lo, s0
	s_and_saveexec_b32 s0, s2
	s_cbranch_execnz .LBB493_214
.LBB493_129:
	s_or_b32 exec_lo, exec_lo, s0
	s_and_saveexec_b32 s0, s3
	s_cbranch_execnz .LBB493_215
.LBB493_130:
	s_or_b32 exec_lo, exec_lo, s0
	s_and_saveexec_b32 s0, s4
	s_cbranch_execnz .LBB493_216
.LBB493_131:
	s_or_b32 exec_lo, exec_lo, s0
	s_and_saveexec_b32 s0, s5
	s_cbranch_execnz .LBB493_217
.LBB493_132:
	s_or_b32 exec_lo, exec_lo, s0
	s_and_saveexec_b32 s0, s6
	s_cbranch_execnz .LBB493_218
.LBB493_133:
	s_or_b32 exec_lo, exec_lo, s0
	s_and_saveexec_b32 s0, s7
	s_cbranch_execnz .LBB493_219
.LBB493_134:
	s_or_b32 exec_lo, exec_lo, s0
	s_and_saveexec_b32 s0, s10
	s_cbranch_execnz .LBB493_220
.LBB493_135:
	s_or_b32 exec_lo, exec_lo, s0
	s_and_saveexec_b32 s0, s11
	s_cbranch_execnz .LBB493_221
.LBB493_136:
	s_or_b32 exec_lo, exec_lo, s0
	s_and_saveexec_b32 s0, s12
	s_cbranch_execnz .LBB493_222
.LBB493_137:
	s_or_b32 exec_lo, exec_lo, s0
	s_and_saveexec_b32 s0, s13
	s_cbranch_execnz .LBB493_223
.LBB493_138:
	s_or_b32 exec_lo, exec_lo, s0
	s_and_saveexec_b32 s0, s14
	s_cbranch_execnz .LBB493_224
.LBB493_139:
	s_or_b32 exec_lo, exec_lo, s0
	s_and_saveexec_b32 s0, s15
	s_cbranch_execnz .LBB493_225
.LBB493_140:
	s_or_b32 exec_lo, exec_lo, s0
	s_and_saveexec_b32 s0, s16
	s_cbranch_execz .LBB493_142
.LBB493_141:
	flat_store_b64 v[0:1], v[12:13] offset:30720
.LBB493_142:
	s_wait_xcnt 0x0
	s_or_b32 exec_lo, exec_lo, s0
                                        ; implicit-def: $vgpr258
                                        ; implicit-def: $vgpr8
                                        ; implicit-def: $vgpr10
                                        ; implicit-def: $vgpr11
                                        ; implicit-def: $vgpr0_vgpr1
                                        ; implicit-def: $vgpr2_vgpr3
                                        ; implicit-def: $vgpr4_vgpr5
                                        ; implicit-def: $vgpr6_vgpr7
                                        ; implicit-def: $vgpr12_vgpr13
                                        ; implicit-def: $vgpr9
                                        ; implicit-def: $vgpr14
                                        ; implicit-def: $vgpr22
                                        ; implicit-def: $vgpr98
.LBB493_143:
	s_and_not1_saveexec_b32 s0, s21
	s_cbranch_execz .LBB493_372
; %bb.144:
	s_mov_b32 s0, exec_lo
	s_set_vgpr_msb 4                        ;  msbs: dst=0 src0=0 src1=1 src2=0
	v_cmpx_lt_u32_e32 0x400, v2 /*v258*/
	s_xor_b32 s21, exec_lo, s0
	s_set_vgpr_msb 0                        ;  msbs: dst=0 src0=0 src1=0 src2=0
	s_cbranch_execz .LBB493_252
; %bb.145:
	s_load_b64 s[0:1], s[8:9], 0x0
	s_bfe_u32 s3, ttmp6, 0x4000c
	s_bfe_u32 s5, ttmp6, 0x40010
	s_and_b32 s4, ttmp7, 0xffff
	s_add_co_i32 s3, s3, 1
	s_add_co_i32 s5, s5, 1
	s_and_b32 s2, ttmp6, 15
	s_bfe_u32 s6, ttmp6, 0x40004
	s_mul_i32 s3, ttmp9, s3
	s_mul_i32 s5, s4, s5
	s_add_co_i32 s2, s2, s3
	s_add_co_i32 s6, s6, s5
	s_cmp_eq_u32 s20, 0
	s_mov_b32 s3, 0
	s_cselect_b32 s2, ttmp9, s2
	s_cselect_b32 s4, s4, s6
	v_lshlrev_b32_e32 v16, 2, v98
	s_wait_kmcnt 0x0
	s_cmp_lt_u32 s2, s0
	s_cselect_b32 s2, 12, 18
	s_cmp_lt_u32 s4, s1
	s_mov_b32 s1, s3
	s_cselect_b32 s0, 14, 20
	s_delay_alu instid0(SALU_CYCLE_1)
	s_add_nc_u64 s[0:1], s[8:9], s[0:1]
	s_load_u16 s4, s[0:1], 0x0
	s_wait_xcnt 0x0
	s_add_nc_u64 s[0:1], s[8:9], s[2:3]
	s_load_u16 s0, s[0:1], 0x0
	s_wait_kmcnt 0x0
	v_mad_u32_u24 v9, v14, s4, v9
	v_bfrev_b32_e32 v14, 1
	s_delay_alu instid0(VALU_DEP_2) | instskip(NEXT) | instid1(VALU_DEP_2)
	v_mad_u32 v26, v9, s0, v22
	v_dual_mov_b32 v9, 0 :: v_dual_mov_b32 v21, v14
	v_mov_b32_e32 v20, v14
	s_delay_alu instid0(VALU_DEP_2) | instskip(SKIP_2) | instid1(VALU_DEP_2)
	v_lshl_add_u64 v[18:19], v[8:9], 2, v[0:1]
	v_dual_mov_b32 v17, v9 :: v_dual_mov_b32 v1, v9
	v_lshlrev_b32_e32 v15, 3, v26
	v_add_nc_u64_e32 v[24:25], v[18:19], v[16:17]
	v_dual_mov_b32 v16, v14 :: v_dual_mov_b32 v17, v14
	v_mov_b32_e32 v19, v14
	s_delay_alu instid0(VALU_DEP_4) | instskip(SKIP_1) | instid1(VALU_DEP_2)
	v_and_b32_e32 v0, 0xffffff00, v15
	v_dual_mov_b32 v15, v14 :: v_dual_mov_b32 v18, v14
	v_or_b32_e32 v23, v0, v98
	v_lshl_add_u64 v[24:25], v[0:1], 2, v[24:25]
	s_set_vgpr_msb 4                        ;  msbs: dst=0 src0=0 src1=1 src2=0
	s_delay_alu instid0(VALU_DEP_2)
	v_cmp_lt_u32_e32 vcc_lo, v23, v2 /*v258*/
	s_and_saveexec_b32 s0, vcc_lo
	s_set_vgpr_msb 0                        ;  msbs: dst=0 src0=0 src1=0 src2=0
	s_cbranch_execz .LBB493_147
; %bb.146:
	flat_load_b32 v28, v[24:25]
	v_dual_mov_b32 v29, v14 :: v_dual_mov_b32 v30, v14
	v_dual_mov_b32 v31, v14 :: v_dual_mov_b32 v32, v14
	;; [unrolled: 1-line block ×3, first 2 shown]
	v_mov_b32_e32 v35, v14
	s_wait_loadcnt_dscnt 0x0
	v_mov_b64_e32 v[14:15], v[28:29]
	v_mov_b64_e32 v[16:17], v[30:31]
	;; [unrolled: 1-line block ×4, first 2 shown]
.LBB493_147:
	s_wait_xcnt 0x0
	s_or_b32 exec_lo, exec_lo, s0
	v_or_b32_e32 v27, 32, v23
	s_set_vgpr_msb 4                        ;  msbs: dst=0 src0=0 src1=1 src2=0
	s_delay_alu instid0(VALU_DEP_1)
	v_cmp_lt_u32_e64 s0, v27, v2 /*v258*/
	s_and_saveexec_b32 s1, s0
	s_set_vgpr_msb 0                        ;  msbs: dst=0 src0=0 src1=0 src2=0
	s_cbranch_execz .LBB493_149
; %bb.148:
	flat_load_b32 v15, v[24:25] offset:128
.LBB493_149:
	s_wait_xcnt 0x0
	s_or_b32 exec_lo, exec_lo, s1
	v_or_b32_e32 v27, 64, v23
	s_set_vgpr_msb 4                        ;  msbs: dst=0 src0=0 src1=1 src2=0
	s_delay_alu instid0(VALU_DEP_1)
	v_cmp_lt_u32_e64 s1, v27, v2 /*v258*/
	s_and_saveexec_b32 s2, s1
	s_set_vgpr_msb 0                        ;  msbs: dst=0 src0=0 src1=0 src2=0
	s_cbranch_execz .LBB493_151
; %bb.150:
	flat_load_b32 v16, v[24:25] offset:256
.LBB493_151:
	;; [unrolled: 12-line block ×7, first 2 shown]
	s_wait_xcnt 0x0
	s_or_b32 exec_lo, exec_lo, s7
	v_lshl_add_u64 v[4:5], v[8:9], 3, v[4:5]
	v_dual_mov_b32 v25, 0 :: v_dual_lshlrev_b32 v24, 3, v98
                                        ; implicit-def: $vgpr52_vgpr53
	s_delay_alu instid0(VALU_DEP_1) | instskip(NEXT) | instid1(VALU_DEP_1)
	v_add_nc_u64_e32 v[4:5], v[4:5], v[24:25]
	v_lshl_add_u64 v[0:1], v[0:1], 3, v[4:5]
	s_and_saveexec_b32 s7, vcc_lo
	s_cbranch_execnz .LBB493_285
; %bb.162:
	s_or_b32 exec_lo, exec_lo, s7
                                        ; implicit-def: $vgpr64_vgpr65
	s_and_saveexec_b32 s7, s0
	s_cbranch_execnz .LBB493_286
.LBB493_163:
	s_or_b32 exec_lo, exec_lo, s7
                                        ; implicit-def: $vgpr36_vgpr37
	s_and_saveexec_b32 s0, s1
	s_cbranch_execnz .LBB493_287
.LBB493_164:
	s_or_b32 exec_lo, exec_lo, s0
                                        ; implicit-def: $vgpr38_vgpr39
	s_and_saveexec_b32 s0, s2
	s_cbranch_execnz .LBB493_288
.LBB493_165:
	s_or_b32 exec_lo, exec_lo, s0
                                        ; implicit-def: $vgpr48_vgpr49
	s_and_saveexec_b32 s0, s3
	s_cbranch_execnz .LBB493_289
.LBB493_166:
	s_or_b32 exec_lo, exec_lo, s0
                                        ; implicit-def: $vgpr50_vgpr51
	s_and_saveexec_b32 s0, s4
	s_cbranch_execnz .LBB493_290
.LBB493_167:
	s_or_b32 exec_lo, exec_lo, s0
                                        ; implicit-def: $vgpr54_vgpr55
	s_and_saveexec_b32 s0, s5
	s_cbranch_execnz .LBB493_291
.LBB493_168:
	s_or_b32 exec_lo, exec_lo, s0
                                        ; implicit-def: $vgpr66_vgpr67
	s_and_saveexec_b32 s0, s6
	s_cbranch_execz .LBB493_170
.LBB493_169:
	flat_load_b64 v[66:67], v[0:1] offset:1792
.LBB493_170:
	s_wait_xcnt 0x0
	s_or_b32 exec_lo, exec_lo, s0
	v_lshl_add_u32 v0, v22, 5, v12
	v_and_b32_e32 v4, 0x3e0, v22
	s_get_pc_i64 s[0:1]
	s_add_nc_u64 s[0:1], s[0:1], _ZN7rocprim17ROCPRIM_400000_NS16block_radix_sortIiLj256ELj8ElLj1ELj1ELj8ELNS0_26block_radix_rank_algorithmE2ELNS0_18block_padding_hintE2ELNS0_4arch9wavefront6targetE0EE19radix_bits_per_passE@rel64+4
	v_xor_b32_e32 v87, 0x7fffffff, v14
	s_load_b32 s22, s[0:1], 0x0
	v_dual_lshlrev_b32 v1, 3, v22 :: v_dual_add_nc_u32 v23, 32, v0
	v_dual_add_nc_u32 v27, 36, v0 :: v_dual_add_nc_u32 v130, 40, v0
	v_dual_add_nc_u32 v131, 44, v0 :: v_dual_add_nc_u32 v132, 48, v0
	v_dual_add_nc_u32 v133, 52, v0 :: v_dual_bitop2_b32 v5, 15, v98 bitop3:0x40
	v_dual_add_nc_u32 v134, 56, v0 :: v_dual_add_nc_u32 v135, 60, v0
	v_min_u32_e32 v0, 0xe0, v4
	s_wait_xcnt 0x0
	v_sub_co_u32 v14, s1, v98, 1
	v_lshrrev_b32_e32 v144, 5, v26
	v_cmp_eq_u32_e32 vcc_lo, 0, v5
	v_or_b32_e32 v0, 31, v0
	s_delay_alu instid0(VALU_DEP_4)
	v_cmp_gt_i32_e64 s6, 0, v14
	v_and_b32_e32 v4, 16, v98
	v_cmp_lt_u32_e64 s0, 1, v5
	v_cmp_lt_u32_e64 s2, 3, v5
	v_cmp_eq_u32_e64 s5, v22, v0
	v_cndmask_b32_e64 v0, v14, v98, s6
	v_cmp_eq_u32_e64 s4, 0, v4
	v_lshrrev_b32_e32 v4, 3, v22
	v_cmp_lt_u32_e64 s3, 7, v5
	v_and_or_b32 v5, 0x1f00, v1, v98
	v_dual_lshlrev_b32 v145, 2, v0 :: v_dual_mov_b32 v1, 0
	v_lshlrev_b32_e32 v0, 2, v22
	v_and_b32_e32 v4, 0x7c, v4
	s_delay_alu instid0(VALU_DEP_4)
	v_lshlrev_b32_e32 v14, 2, v5
	s_wait_loadcnt_dscnt 0x0
	v_xor_b32_e32 v69, 0x7fffffff, v15
	v_and_b32_e32 v15, 7, v98
	v_xor_b32_e32 v71, 0x7fffffff, v16
	v_add_nc_u32_e32 v146, v12, v4
	v_add_nc_u64_e32 v[4:5], v[12:13], v[0:1]
	v_add_nc_u32_e32 v5, v12, v14
	v_cmp_eq_u32_e64 s11, 0, v15
	v_cmp_lt_u32_e64 s12, 1, v15
	v_cmp_lt_u32_e64 s13, 3, v15
	v_xor_b32_e32 v81, 0x7fffffff, v17
	v_add_nc_u32_e32 v151, v5, v14
	v_mov_b64_e32 v[14:15], 0
	v_xor_b32_e32 v83, 0x7fffffff, v18
	v_xor_b32_e32 v85, 0x7fffffff, v19
	v_xor_b32_e32 v97, 0x7fffffff, v20
	v_xor_b32_e32 v99, 0x7fffffff, v21
	v_cmp_gt_u32_e64 s6, 8, v22
	v_cmp_lt_u32_e64 s7, 31, v22
	v_cmp_eq_u32_e64 s10, 0, v22
	v_add_nc_u32_e32 v147, -4, v146
	v_add_nc_u32_e32 v148, 0x80, v5
	v_add_nc_u32_e32 v149, 0x100, v5
	;; [unrolled: 1-line block ×14, first 2 shown]
	v_sub_nc_u32_e32 v179, v11, v10
	s_mov_b32 s23, 0
	s_wait_storecnt 0x0
	s_barrier_signal -1
	s_barrier_wait -1
	s_branch .LBB493_172
.LBB493_171:                            ;   in Loop: Header=BB493_172 Depth=1
	s_or_b32 exec_lo, exec_lo, s15
	s_delay_alu instid0(SALU_CYCLE_1) | instskip(NEXT) | instid1(SALU_CYCLE_1)
	s_and_b32 s14, exec_lo, s16
	s_or_b32 s23, s14, s23
	s_delay_alu instid0(SALU_CYCLE_1)
	s_and_not1_b32 exec_lo, exec_lo, s23
	s_cbranch_execz .LBB493_226
.LBB493_172:                            ; =>This Inner Loop Header: Depth=1
	s_wait_kmcnt 0x0
	v_min_u32_e32 v0, s22, v179
	v_dual_mov_b32 v182, v87 :: v_dual_mov_b32 v180, v99
	v_mov_b32_e32 v181, v97
	v_mov_b64_e32 v[34:35], v[36:37]
	s_delay_alu instid0(VALU_DEP_4) | instskip(NEXT) | instid1(VALU_DEP_4)
	v_lshlrev_b32_e64 v68, v0, -1
	v_lshrrev_b32_e32 v0, v10, v182
	v_mov_b64_e32 v[18:19], v[52:53]
	v_mov_b64_e32 v[16:17], v[64:65]
	;; [unrolled: 1-line block ×3, first 2 shown]
	v_dual_mov_b32 v183, v85 :: v_dual_mov_b32 v192, v83
	v_bitop3_b32 v32, v0, v68, v0 bitop3:0x30
	v_bitop3_b32 v0, v0, 1, v68 bitop3:0x40
	v_dual_mov_b32 v195, v69 :: v_dual_mov_b32 v193, v81
	s_delay_alu instid0(VALU_DEP_3) | instskip(NEXT) | instid1(VALU_DEP_3)
	v_dual_mov_b32 v194, v71 :: v_dual_lshlrev_b32 v20, 30, v32
	v_add_co_u32 v0, s14, v0, -1
	s_delay_alu instid0(VALU_DEP_1) | instskip(SKIP_1) | instid1(VALU_DEP_4)
	v_cndmask_b32_e64 v21, 0, 1, s14
	v_dual_lshlrev_b32 v24, 29, v32 :: v_dual_lshlrev_b32 v28, 28, v32
	v_not_b32_e32 v25, v20
	v_lshlrev_b32_e32 v29, 27, v32
	s_delay_alu instid0(VALU_DEP_4)
	v_cmp_ne_u32_e64 s14, 0, v21
	v_cmp_gt_i32_e64 s15, 0, v20
	v_cmp_gt_i32_e64 s16, 0, v24
	v_ashrrev_i32_e32 v20, 31, v25
	v_not_b32_e32 v21, v24
	v_not_b32_e32 v24, v28
	v_xor_b32_e32 v0, s14, v0
	v_cmp_gt_i32_e64 s14, 0, v28
	s_delay_alu instid0(VALU_DEP_4) | instskip(NEXT) | instid1(VALU_DEP_4)
	v_dual_ashrrev_i32 v21, 31, v21 :: v_dual_bitop2_b32 v20, s15, v20 bitop3:0x14
	v_ashrrev_i32_e32 v24, 31, v24
	v_lshlrev_b32_e32 v25, 26, v32
	ds_store_b64 v23, v[14:15]
	ds_store_b64 v130, v[14:15]
	v_bitop3_b32 v0, v0, v20, exec_lo bitop3:0x80
	v_not_b32_e32 v20, v29
	v_xor_b32_e32 v21, s16, v21
	v_xor_b32_e32 v24, s14, v24
	v_cmp_gt_i32_e64 s14, 0, v29
	v_lshlrev_b32_e32 v29, 25, v32
	v_not_b32_e32 v28, v25
	v_ashrrev_i32_e32 v20, 31, v20
	v_cmp_gt_i32_e64 s15, 0, v25
	v_lshlrev_b32_e32 v25, 24, v32
	v_bitop3_b32 v0, v0, v24, v21 bitop3:0x80
	v_ashrrev_i32_e32 v28, 31, v28
	v_not_b32_e32 v21, v29
	v_xor_b32_e32 v24, s14, v20
	v_not_b32_e32 v20, v25
	v_cmp_gt_i32_e64 s14, 0, v29
	s_delay_alu instid0(VALU_DEP_4) | instskip(SKIP_1) | instid1(VALU_DEP_4)
	v_dual_ashrrev_i32 v29, 31, v21 :: v_dual_bitop2_b32 v28, s15, v28 bitop3:0x14
	v_cmp_gt_i32_e64 s15, 0, v25
	v_ashrrev_i32_e32 v25, 31, v20
	v_mov_b64_e32 v[20:21], v[38:39]
	s_delay_alu instid0(VALU_DEP_4)
	v_bitop3_b32 v33, v0, v28, v24 bitop3:0x80
	v_xor_b32_e32 v36, s14, v29
	v_lshl_add_u32 v0, v32, 3, v144
	v_xor_b32_e32 v37, s15, v25
	v_mov_b64_e32 v[28:29], v[50:51]
	v_mov_b64_e32 v[24:25], v[54:55]
	ds_store_b64 v132, v[14:15]
	ds_store_b64 v134, v[14:15]
	s_wait_dscnt 0x0
	v_bitop3_b32 v38, v33, v37, v36 bitop3:0x80
	v_lshl_add_u64 v[36:37], v[0:1], 2, v[12:13]
	v_mov_b64_e32 v[32:33], v[66:67]
	s_barrier_signal -1
	s_barrier_wait -1
	v_mbcnt_lo_u32_b32 v0, v38, 0
	v_add_nc_u64_e32 v[36:37], 32, v[36:37]
	v_cmp_ne_u32_e64 s15, 0, v38
	s_delay_alu instid0(VALU_DEP_3) | instskip(SKIP_1) | instid1(SALU_CYCLE_1)
	v_cmp_eq_u32_e64 s14, 0, v0
	; wave barrier
	s_and_b32 s15, s15, s14
	s_and_saveexec_b32 s14, s15
; %bb.173:                              ;   in Loop: Header=BB493_172 Depth=1
	v_bcnt_u32_b32 v37, v38, 0
	ds_store_b32 v36, v37
; %bb.174:                              ;   in Loop: Header=BB493_172 Depth=1
	s_or_b32 exec_lo, exec_lo, s14
	v_not_b32_e32 v51, v68
	v_lshrrev_b32_e32 v37, v10, v195
	; wave barrier
	s_delay_alu instid0(VALU_DEP_1) | instskip(NEXT) | instid1(VALU_DEP_1)
	v_and_b32_e32 v38, v37, v51
	v_lshlrev_b32_e32 v49, 30, v38
	v_bitop3_b32 v37, v37, 1, v51 bitop3:0x80
	s_delay_alu instid0(VALU_DEP_2) | instskip(NEXT) | instid1(VALU_DEP_2)
	v_cmp_gt_i32_e64 s15, 0, v49
	v_add_co_u32 v37, s14, v37, -1
	s_delay_alu instid0(VALU_DEP_1) | instskip(NEXT) | instid1(VALU_DEP_1)
	v_cndmask_b32_e64 v48, 0, 1, s14
	v_cmp_ne_u32_e64 s14, 0, v48
	v_not_b32_e32 v48, v49
	s_delay_alu instid0(VALU_DEP_1) | instskip(SKIP_3) | instid1(VALU_DEP_4)
	v_dual_ashrrev_i32 v48, 31, v48 :: v_dual_lshlrev_b32 v50, 29, v38
	v_dual_lshlrev_b32 v52, 28, v38 :: v_dual_lshlrev_b32 v53, 27, v38
	v_lshlrev_b32_e32 v54, 26, v38
	v_lshl_add_u32 v39, v38, 3, v144
	v_cmp_gt_i32_e64 s16, 0, v50
	v_not_b32_e32 v49, v50
	v_not_b32_e32 v50, v52
	v_cmp_gt_i32_e64 s17, 0, v52
	v_xor_b32_e32 v37, s14, v37
	s_delay_alu instid0(VALU_DEP_4) | instskip(NEXT) | instid1(VALU_DEP_4)
	v_dual_ashrrev_i32 v49, 31, v49 :: v_dual_bitop2_b32 v48, s15, v48 bitop3:0x14
	v_ashrrev_i32_e32 v50, 31, v50
	v_not_b32_e32 v52, v53
	v_cmp_gt_i32_e64 s18, 0, v53
	v_not_b32_e32 v53, v54
	v_xor_b32_e32 v49, s16, v49
	v_xor_b32_e32 v50, s17, v50
	v_bitop3_b32 v37, v37, v48, exec_lo bitop3:0x80
	v_dual_ashrrev_i32 v48, 31, v52 :: v_dual_lshlrev_b32 v52, 25, v38
	v_lshlrev_b32_e32 v38, 24, v38
	v_cmp_gt_i32_e64 s14, 0, v54
	v_ashrrev_i32_e32 v53, 31, v53
	v_bitop3_b32 v37, v37, v50, v49 bitop3:0x80
	v_not_b32_e32 v49, v52
	v_not_b32_e32 v50, v38
	v_xor_b32_e32 v48, s18, v48
	v_xor_b32_e32 v53, s14, v53
	v_cmp_gt_i32_e64 s14, 0, v52
	v_ashrrev_i32_e32 v49, 31, v49
	v_cmp_gt_i32_e64 s15, 0, v38
	v_ashrrev_i32_e32 v38, 31, v50
	v_lshl_add_u32 v39, v39, 2, v12
	v_bitop3_b32 v48, v37, v53, v48 bitop3:0x80
	v_xor_b32_e32 v49, s14, v49
	s_delay_alu instid0(VALU_DEP_4) | instskip(SKIP_3) | instid1(VALU_DEP_1)
	v_xor_b32_e32 v38, s15, v38
	ds_load_b32 v37, v39 offset:32
	v_add_nc_u32_e32 v39, 32, v39
	; wave barrier
	v_bitop3_b32 v48, v48, v38, v49 bitop3:0x80
	v_mbcnt_lo_u32_b32 v38, v48, 0
	v_cmp_ne_u32_e64 s15, 0, v48
	s_delay_alu instid0(VALU_DEP_2) | instskip(SKIP_1) | instid1(SALU_CYCLE_1)
	v_cmp_eq_u32_e64 s14, 0, v38
	s_and_b32 s15, s15, s14
	s_and_saveexec_b32 s14, s15
	s_cbranch_execz .LBB493_176
; %bb.175:                              ;   in Loop: Header=BB493_172 Depth=1
	s_wait_dscnt 0x0
	v_bcnt_u32_b32 v48, v48, v37
	ds_store_b32 v39, v48
.LBB493_176:                            ;   in Loop: Header=BB493_172 Depth=1
	s_or_b32 exec_lo, exec_lo, s14
	v_lshrrev_b32_e32 v48, v10, v194
	; wave barrier
	s_delay_alu instid0(VALU_DEP_1) | instskip(NEXT) | instid1(VALU_DEP_1)
	v_and_b32_e32 v49, v48, v51
	v_lshlrev_b32_e32 v53, 30, v49
	v_bitop3_b32 v48, v48, 1, v51 bitop3:0x80
	s_delay_alu instid0(VALU_DEP_2) | instskip(NEXT) | instid1(VALU_DEP_2)
	v_cmp_gt_i32_e64 s15, 0, v53
	v_add_co_u32 v48, s14, v48, -1
	s_delay_alu instid0(VALU_DEP_1) | instskip(NEXT) | instid1(VALU_DEP_1)
	v_cndmask_b32_e64 v52, 0, 1, s14
	v_cmp_ne_u32_e64 s14, 0, v52
	v_not_b32_e32 v52, v53
	s_delay_alu instid0(VALU_DEP_1) | instskip(SKIP_3) | instid1(VALU_DEP_4)
	v_dual_ashrrev_i32 v52, 31, v52 :: v_dual_lshlrev_b32 v54, 29, v49
	v_dual_lshlrev_b32 v55, 28, v49 :: v_dual_lshlrev_b32 v64, 27, v49
	v_lshlrev_b32_e32 v65, 26, v49
	v_lshl_add_u32 v50, v49, 3, v144
	v_cmp_gt_i32_e64 s16, 0, v54
	v_not_b32_e32 v53, v54
	v_not_b32_e32 v54, v55
	v_cmp_gt_i32_e64 s17, 0, v55
	v_xor_b32_e32 v48, s14, v48
	s_delay_alu instid0(VALU_DEP_4) | instskip(NEXT) | instid1(VALU_DEP_4)
	v_dual_ashrrev_i32 v53, 31, v53 :: v_dual_bitop2_b32 v52, s15, v52 bitop3:0x14
	v_dual_ashrrev_i32 v54, 31, v54 :: v_dual_lshlrev_b32 v66, 25, v49
	v_lshlrev_b32_e32 v49, 24, v49
	v_not_b32_e32 v55, v64
	v_not_b32_e32 v67, v65
	v_xor_b32_e32 v53, s16, v53
	v_xor_b32_e32 v54, s17, v54
	v_bitop3_b32 v48, v48, v52, exec_lo bitop3:0x80
	v_cmp_gt_i32_e64 s14, 0, v64
	v_ashrrev_i32_e32 v52, 31, v55
	v_cmp_gt_i32_e64 s15, 0, v65
	v_ashrrev_i32_e32 v55, 31, v67
	v_bitop3_b32 v48, v48, v54, v53 bitop3:0x80
	v_not_b32_e32 v53, v66
	v_not_b32_e32 v54, v49
	v_xor_b32_e32 v52, s14, v52
	v_xor_b32_e32 v55, s15, v55
	v_cmp_gt_i32_e64 s14, 0, v66
	v_ashrrev_i32_e32 v53, 31, v53
	v_cmp_gt_i32_e64 s15, 0, v49
	v_ashrrev_i32_e32 v49, 31, v54
	v_lshl_add_u32 v50, v50, 2, v12
	v_bitop3_b32 v52, v48, v55, v52 bitop3:0x80
	v_xor_b32_e32 v53, s14, v53
	s_delay_alu instid0(VALU_DEP_4) | instskip(SKIP_3) | instid1(VALU_DEP_1)
	v_xor_b32_e32 v49, s15, v49
	ds_load_b32 v48, v50 offset:32
	v_add_nc_u32_e32 v50, 32, v50
	; wave barrier
	v_bitop3_b32 v52, v52, v49, v53 bitop3:0x80
	v_mbcnt_lo_u32_b32 v49, v52, 0
	v_cmp_ne_u32_e64 s15, 0, v52
	s_delay_alu instid0(VALU_DEP_2) | instskip(SKIP_1) | instid1(SALU_CYCLE_1)
	v_cmp_eq_u32_e64 s14, 0, v49
	s_and_b32 s15, s15, s14
	s_and_saveexec_b32 s14, s15
	s_cbranch_execz .LBB493_178
; %bb.177:                              ;   in Loop: Header=BB493_172 Depth=1
	s_wait_dscnt 0x0
	v_bcnt_u32_b32 v52, v52, v48
	ds_store_b32 v50, v52
.LBB493_178:                            ;   in Loop: Header=BB493_172 Depth=1
	s_or_b32 exec_lo, exec_lo, s14
	v_lshrrev_b32_e32 v52, v10, v193
	; wave barrier
	s_delay_alu instid0(VALU_DEP_1) | instskip(SKIP_1) | instid1(VALU_DEP_2)
	v_and_b32_e32 v53, v52, v51
	v_bitop3_b32 v52, v52, 1, v51 bitop3:0x80
	v_dual_lshlrev_b32 v64, 30, v53 :: v_dual_lshlrev_b32 v65, 29, v53
	s_delay_alu instid0(VALU_DEP_2) | instskip(NEXT) | instid1(VALU_DEP_1)
	v_add_co_u32 v52, s14, v52, -1
	v_cndmask_b32_e64 v55, 0, 1, s14
	s_delay_alu instid0(VALU_DEP_3) | instskip(NEXT) | instid1(VALU_DEP_4)
	v_cmp_gt_i32_e64 s15, 0, v64
	v_cmp_gt_i32_e64 s16, 0, v65
	s_delay_alu instid0(VALU_DEP_3) | instskip(SKIP_2) | instid1(VALU_DEP_2)
	v_cmp_ne_u32_e64 s14, 0, v55
	v_not_b32_e32 v55, v64
	v_not_b32_e32 v64, v65
	v_dual_ashrrev_i32 v55, 31, v55 :: v_dual_bitop2_b32 v52, s14, v52 bitop3:0x14
	s_delay_alu instid0(VALU_DEP_2) | instskip(SKIP_3) | instid1(VALU_DEP_4)
	v_dual_ashrrev_i32 v64, 31, v64 :: v_dual_lshlrev_b32 v66, 28, v53
	v_lshlrev_b32_e32 v67, 27, v53
	v_lshl_add_u32 v54, v53, 3, v144
	v_dual_lshlrev_b32 v68, 26, v53 :: v_dual_lshlrev_b32 v69, 25, v53
	v_not_b32_e32 v65, v66
	v_lshlrev_b32_e32 v53, 24, v53
	v_cmp_gt_i32_e64 s17, 0, v66
	v_xor_b32_e32 v55, s15, v55
	v_not_b32_e32 v66, v67
	v_ashrrev_i32_e32 v65, 31, v65
	v_not_b32_e32 v70, v68
	v_xor_b32_e32 v64, s16, v64
	v_bitop3_b32 v52, v52, v55, exec_lo bitop3:0x80
	v_cmp_gt_i32_e64 s14, 0, v67
	v_dual_ashrrev_i32 v55, 31, v66 :: v_dual_bitop2_b32 v65, s17, v65 bitop3:0x14
	v_cmp_gt_i32_e64 s15, 0, v68
	v_ashrrev_i32_e32 v66, 31, v70
	v_lshl_add_u32 v54, v54, 2, v12
	s_delay_alu instid0(VALU_DEP_4)
	v_bitop3_b32 v52, v52, v65, v64 bitop3:0x80
	v_not_b32_e32 v64, v69
	v_not_b32_e32 v65, v53
	v_xor_b32_e32 v55, s14, v55
	v_xor_b32_e32 v66, s15, v66
	v_cmp_gt_i32_e64 s14, 0, v69
	v_ashrrev_i32_e32 v64, 31, v64
	v_cmp_gt_i32_e64 s15, 0, v53
	v_ashrrev_i32_e32 v53, 31, v65
	v_bitop3_b32 v55, v52, v66, v55 bitop3:0x80
	ds_load_b32 v52, v54 offset:32
	v_dual_add_nc_u32 v54, 32, v54 :: v_dual_bitop2_b32 v64, s14, v64 bitop3:0x14
	v_xor_b32_e32 v53, s15, v53
	; wave barrier
	s_delay_alu instid0(VALU_DEP_1) | instskip(NEXT) | instid1(VALU_DEP_1)
	v_bitop3_b32 v55, v55, v53, v64 bitop3:0x80
	v_mbcnt_lo_u32_b32 v53, v55, 0
	v_cmp_ne_u32_e64 s15, 0, v55
	s_delay_alu instid0(VALU_DEP_2) | instskip(SKIP_1) | instid1(SALU_CYCLE_1)
	v_cmp_eq_u32_e64 s14, 0, v53
	s_and_b32 s15, s15, s14
	s_and_saveexec_b32 s14, s15
	s_cbranch_execz .LBB493_180
; %bb.179:                              ;   in Loop: Header=BB493_172 Depth=1
	s_wait_dscnt 0x0
	v_bcnt_u32_b32 v55, v55, v52
	ds_store_b32 v54, v55
.LBB493_180:                            ;   in Loop: Header=BB493_172 Depth=1
	s_or_b32 exec_lo, exec_lo, s14
	v_lshrrev_b32_e32 v55, v10, v192
	; wave barrier
	s_delay_alu instid0(VALU_DEP_1) | instskip(SKIP_1) | instid1(VALU_DEP_2)
	v_and_b32_e32 v64, v55, v51
	v_bitop3_b32 v55, v55, 1, v51 bitop3:0x80
	v_dual_lshlrev_b32 v67, 30, v64 :: v_dual_lshlrev_b32 v68, 29, v64
	s_delay_alu instid0(VALU_DEP_2) | instskip(NEXT) | instid1(VALU_DEP_1)
	v_add_co_u32 v55, s14, v55, -1
	v_cndmask_b32_e64 v66, 0, 1, s14
	v_lshlrev_b32_e32 v69, 28, v64
	s_delay_alu instid0(VALU_DEP_4) | instskip(SKIP_1) | instid1(VALU_DEP_4)
	v_cmp_gt_i32_e64 s15, 0, v67
	v_cmp_gt_i32_e64 s16, 0, v68
	v_cmp_ne_u32_e64 s14, 0, v66
	v_not_b32_e32 v66, v67
	v_not_b32_e32 v67, v68
	;; [unrolled: 1-line block ×3, first 2 shown]
	s_delay_alu instid0(VALU_DEP_3) | instskip(NEXT) | instid1(VALU_DEP_2)
	v_dual_ashrrev_i32 v66, 31, v66 :: v_dual_bitop2_b32 v55, s14, v55 bitop3:0x14
	v_dual_ashrrev_i32 v67, 31, v67 :: v_dual_ashrrev_i32 v68, 31, v68
	v_lshl_add_u32 v65, v64, 3, v144
	v_dual_lshlrev_b32 v70, 27, v64 :: v_dual_lshlrev_b32 v71, 26, v64
	v_dual_lshlrev_b32 v80, 25, v64 :: v_dual_lshlrev_b32 v64, 24, v64
	v_cmp_gt_i32_e64 s17, 0, v69
	v_xor_b32_e32 v66, s15, v66
	s_delay_alu instid0(VALU_DEP_4)
	v_not_b32_e32 v69, v70
	v_not_b32_e32 v81, v71
	v_xor_b32_e32 v67, s16, v67
	v_xor_b32_e32 v68, s17, v68
	v_bitop3_b32 v55, v55, v66, exec_lo bitop3:0x80
	v_cmp_gt_i32_e64 s14, 0, v70
	v_ashrrev_i32_e32 v66, 31, v69
	v_cmp_gt_i32_e64 s15, 0, v71
	v_ashrrev_i32_e32 v69, 31, v81
	v_bitop3_b32 v55, v55, v68, v67 bitop3:0x80
	v_not_b32_e32 v67, v80
	v_not_b32_e32 v68, v64
	v_xor_b32_e32 v66, s14, v66
	v_xor_b32_e32 v69, s15, v69
	v_cmp_gt_i32_e64 s14, 0, v80
	v_ashrrev_i32_e32 v67, 31, v67
	v_cmp_gt_i32_e64 s15, 0, v64
	v_ashrrev_i32_e32 v64, 31, v68
	v_lshl_add_u32 v65, v65, 2, v12
	v_bitop3_b32 v66, v55, v69, v66 bitop3:0x80
	v_xor_b32_e32 v67, s14, v67
	s_delay_alu instid0(VALU_DEP_4) | instskip(SKIP_3) | instid1(VALU_DEP_1)
	v_xor_b32_e32 v64, s15, v64
	ds_load_b32 v55, v65 offset:32
	v_add_nc_u32_e32 v65, 32, v65
	; wave barrier
	v_bitop3_b32 v66, v66, v64, v67 bitop3:0x80
	v_mbcnt_lo_u32_b32 v64, v66, 0
	v_cmp_ne_u32_e64 s15, 0, v66
	s_delay_alu instid0(VALU_DEP_2) | instskip(SKIP_1) | instid1(SALU_CYCLE_1)
	v_cmp_eq_u32_e64 s14, 0, v64
	s_and_b32 s15, s15, s14
	s_and_saveexec_b32 s14, s15
	s_cbranch_execz .LBB493_182
; %bb.181:                              ;   in Loop: Header=BB493_172 Depth=1
	s_wait_dscnt 0x0
	v_bcnt_u32_b32 v66, v66, v55
	ds_store_b32 v65, v66
.LBB493_182:                            ;   in Loop: Header=BB493_172 Depth=1
	s_or_b32 exec_lo, exec_lo, s14
	v_lshrrev_b32_e32 v66, v10, v183
	; wave barrier
	s_delay_alu instid0(VALU_DEP_1) | instskip(SKIP_1) | instid1(VALU_DEP_2)
	v_and_b32_e32 v67, v66, v51
	v_bitop3_b32 v66, v66, 1, v51 bitop3:0x80
	v_dual_lshlrev_b32 v70, 30, v67 :: v_dual_lshlrev_b32 v71, 29, v67
	s_delay_alu instid0(VALU_DEP_2) | instskip(NEXT) | instid1(VALU_DEP_1)
	v_add_co_u32 v66, s14, v66, -1
	v_cndmask_b32_e64 v69, 0, 1, s14
	s_delay_alu instid0(VALU_DEP_3) | instskip(NEXT) | instid1(VALU_DEP_4)
	v_cmp_gt_i32_e64 s15, 0, v70
	v_cmp_gt_i32_e64 s16, 0, v71
	s_delay_alu instid0(VALU_DEP_3) | instskip(SKIP_2) | instid1(VALU_DEP_2)
	v_cmp_ne_u32_e64 s14, 0, v69
	v_not_b32_e32 v69, v70
	v_not_b32_e32 v70, v71
	v_dual_ashrrev_i32 v69, 31, v69 :: v_dual_bitop2_b32 v66, s14, v66 bitop3:0x14
	s_delay_alu instid0(VALU_DEP_2) | instskip(SKIP_3) | instid1(VALU_DEP_4)
	v_dual_ashrrev_i32 v70, 31, v70 :: v_dual_lshlrev_b32 v80, 28, v67
	v_lshlrev_b32_e32 v81, 27, v67
	v_lshl_add_u32 v68, v67, 3, v144
	v_dual_lshlrev_b32 v82, 26, v67 :: v_dual_lshlrev_b32 v83, 25, v67
	v_not_b32_e32 v71, v80
	v_lshlrev_b32_e32 v67, 24, v67
	v_cmp_gt_i32_e64 s17, 0, v80
	v_xor_b32_e32 v69, s15, v69
	v_not_b32_e32 v80, v81
	v_ashrrev_i32_e32 v71, 31, v71
	v_not_b32_e32 v84, v82
	v_xor_b32_e32 v70, s16, v70
	v_bitop3_b32 v66, v66, v69, exec_lo bitop3:0x80
	v_cmp_gt_i32_e64 s14, 0, v81
	v_dual_ashrrev_i32 v69, 31, v80 :: v_dual_bitop2_b32 v71, s17, v71 bitop3:0x14
	v_cmp_gt_i32_e64 s15, 0, v82
	v_ashrrev_i32_e32 v80, 31, v84
	v_lshl_add_u32 v68, v68, 2, v12
	s_delay_alu instid0(VALU_DEP_4)
	v_bitop3_b32 v66, v66, v71, v70 bitop3:0x80
	v_not_b32_e32 v70, v83
	v_not_b32_e32 v71, v67
	v_xor_b32_e32 v69, s14, v69
	v_xor_b32_e32 v80, s15, v80
	v_cmp_gt_i32_e64 s14, 0, v83
	v_ashrrev_i32_e32 v70, 31, v70
	v_cmp_gt_i32_e64 s15, 0, v67
	v_ashrrev_i32_e32 v67, 31, v71
	v_bitop3_b32 v69, v66, v80, v69 bitop3:0x80
	ds_load_b32 v66, v68 offset:32
	v_dual_add_nc_u32 v68, 32, v68 :: v_dual_bitop2_b32 v70, s14, v70 bitop3:0x14
	v_xor_b32_e32 v67, s15, v67
	; wave barrier
	s_delay_alu instid0(VALU_DEP_1) | instskip(NEXT) | instid1(VALU_DEP_1)
	v_bitop3_b32 v69, v69, v67, v70 bitop3:0x80
	v_mbcnt_lo_u32_b32 v67, v69, 0
	v_cmp_ne_u32_e64 s15, 0, v69
	s_delay_alu instid0(VALU_DEP_2) | instskip(SKIP_1) | instid1(SALU_CYCLE_1)
	v_cmp_eq_u32_e64 s14, 0, v67
	s_and_b32 s15, s15, s14
	s_and_saveexec_b32 s14, s15
	s_cbranch_execz .LBB493_184
; %bb.183:                              ;   in Loop: Header=BB493_172 Depth=1
	s_wait_dscnt 0x0
	v_bcnt_u32_b32 v69, v69, v66
	ds_store_b32 v68, v69
.LBB493_184:                            ;   in Loop: Header=BB493_172 Depth=1
	s_or_b32 exec_lo, exec_lo, s14
	v_lshrrev_b32_e32 v69, v10, v181
	; wave barrier
	s_delay_alu instid0(VALU_DEP_1) | instskip(NEXT) | instid1(VALU_DEP_1)
	v_and_b32_e32 v70, v69, v51
	v_lshlrev_b32_e32 v81, 30, v70
	v_bitop3_b32 v69, v69, 1, v51 bitop3:0x80
	s_delay_alu instid0(VALU_DEP_2) | instskip(NEXT) | instid1(VALU_DEP_2)
	v_cmp_gt_i32_e64 s15, 0, v81
	v_add_co_u32 v69, s14, v69, -1
	s_delay_alu instid0(VALU_DEP_1) | instskip(NEXT) | instid1(VALU_DEP_1)
	v_cndmask_b32_e64 v80, 0, 1, s14
	v_cmp_ne_u32_e64 s14, 0, v80
	v_not_b32_e32 v80, v81
	s_delay_alu instid0(VALU_DEP_1) | instskip(SKIP_3) | instid1(VALU_DEP_4)
	v_dual_ashrrev_i32 v80, 31, v80 :: v_dual_lshlrev_b32 v82, 29, v70
	v_dual_lshlrev_b32 v83, 28, v70 :: v_dual_lshlrev_b32 v84, 27, v70
	v_lshlrev_b32_e32 v85, 26, v70
	v_lshl_add_u32 v71, v70, 3, v144
	v_cmp_gt_i32_e64 s16, 0, v82
	v_not_b32_e32 v81, v82
	v_not_b32_e32 v82, v83
	v_cmp_gt_i32_e64 s17, 0, v83
	v_xor_b32_e32 v69, s14, v69
	s_delay_alu instid0(VALU_DEP_4) | instskip(NEXT) | instid1(VALU_DEP_4)
	v_dual_ashrrev_i32 v81, 31, v81 :: v_dual_bitop2_b32 v80, s15, v80 bitop3:0x14
	v_ashrrev_i32_e32 v82, 31, v82
	v_dual_lshlrev_b32 v86, 25, v70 :: v_dual_lshlrev_b32 v70, 24, v70
	v_not_b32_e32 v83, v84
	v_not_b32_e32 v87, v85
	v_xor_b32_e32 v81, s16, v81
	v_xor_b32_e32 v82, s17, v82
	v_bitop3_b32 v69, v69, v80, exec_lo bitop3:0x80
	v_cmp_gt_i32_e64 s14, 0, v84
	v_ashrrev_i32_e32 v80, 31, v83
	v_cmp_gt_i32_e64 s15, 0, v85
	v_ashrrev_i32_e32 v83, 31, v87
	v_bitop3_b32 v69, v69, v82, v81 bitop3:0x80
	v_not_b32_e32 v81, v86
	v_not_b32_e32 v82, v70
	v_xor_b32_e32 v80, s14, v80
	v_xor_b32_e32 v83, s15, v83
	v_cmp_gt_i32_e64 s14, 0, v86
	v_ashrrev_i32_e32 v81, 31, v81
	v_cmp_gt_i32_e64 s15, 0, v70
	v_ashrrev_i32_e32 v70, 31, v82
	v_lshl_add_u32 v71, v71, 2, v12
	v_bitop3_b32 v69, v69, v83, v80 bitop3:0x80
	v_xor_b32_e32 v80, s14, v81
	s_delay_alu instid0(VALU_DEP_4) | instskip(SKIP_3) | instid1(VALU_DEP_2)
	v_xor_b32_e32 v70, s15, v70
	ds_load_b32 v84, v71 offset:32
	; wave barrier
	v_bitop3_b32 v70, v69, v70, v80 bitop3:0x80
	v_add_nc_u32_e32 v69, 32, v71
	v_mbcnt_lo_u32_b32 v96, v70, 0
	v_cmp_ne_u32_e64 s15, 0, v70
	s_delay_alu instid0(VALU_DEP_2) | instskip(SKIP_1) | instid1(SALU_CYCLE_1)
	v_cmp_eq_u32_e64 s14, 0, v96
	s_and_b32 s15, s15, s14
	s_and_saveexec_b32 s14, s15
	s_cbranch_execz .LBB493_186
; %bb.185:                              ;   in Loop: Header=BB493_172 Depth=1
	s_wait_dscnt 0x0
	v_bcnt_u32_b32 v70, v70, v84
	ds_store_b32 v69, v70
.LBB493_186:                            ;   in Loop: Header=BB493_172 Depth=1
	s_or_b32 exec_lo, exec_lo, s14
	v_lshrrev_b32_e32 v70, v10, v180
	; wave barrier
	s_delay_alu instid0(VALU_DEP_1) | instskip(NEXT) | instid1(VALU_DEP_1)
	v_and_b32_e32 v71, v70, v51
	v_lshlrev_b32_e32 v81, 30, v71
	v_bitop3_b32 v51, v70, 1, v51 bitop3:0x80
	s_delay_alu instid0(VALU_DEP_2) | instskip(NEXT) | instid1(VALU_DEP_2)
	v_cmp_gt_i32_e64 s15, 0, v81
	v_add_co_u32 v51, s14, v51, -1
	s_delay_alu instid0(VALU_DEP_1) | instskip(NEXT) | instid1(VALU_DEP_1)
	v_cndmask_b32_e64 v80, 0, 1, s14
	v_cmp_ne_u32_e64 s14, 0, v80
	v_not_b32_e32 v80, v81
	s_delay_alu instid0(VALU_DEP_1) | instskip(SKIP_3) | instid1(VALU_DEP_4)
	v_dual_ashrrev_i32 v80, 31, v80 :: v_dual_lshlrev_b32 v82, 29, v71
	v_dual_lshlrev_b32 v83, 28, v71 :: v_dual_lshlrev_b32 v85, 27, v71
	v_lshlrev_b32_e32 v86, 26, v71
	v_lshl_add_u32 v70, v71, 3, v144
	v_cmp_gt_i32_e64 s16, 0, v82
	v_not_b32_e32 v81, v82
	v_not_b32_e32 v82, v83
	v_cmp_gt_i32_e64 s17, 0, v83
	v_xor_b32_e32 v51, s14, v51
	s_delay_alu instid0(VALU_DEP_4) | instskip(NEXT) | instid1(VALU_DEP_4)
	v_dual_ashrrev_i32 v81, 31, v81 :: v_dual_bitop2_b32 v80, s15, v80 bitop3:0x14
	v_dual_ashrrev_i32 v82, 31, v82 :: v_dual_lshlrev_b32 v87, 25, v71
	v_lshlrev_b32_e32 v71, 24, v71
	v_not_b32_e32 v83, v85
	v_not_b32_e32 v97, v86
	v_xor_b32_e32 v81, s16, v81
	v_xor_b32_e32 v82, s17, v82
	v_bitop3_b32 v51, v51, v80, exec_lo bitop3:0x80
	v_cmp_gt_i32_e64 s14, 0, v85
	v_ashrrev_i32_e32 v80, 31, v83
	v_cmp_gt_i32_e64 s15, 0, v86
	v_ashrrev_i32_e32 v83, 31, v97
	v_bitop3_b32 v51, v51, v82, v81 bitop3:0x80
	v_not_b32_e32 v81, v87
	v_not_b32_e32 v82, v71
	v_xor_b32_e32 v80, s14, v80
	v_xor_b32_e32 v83, s15, v83
	v_cmp_gt_i32_e64 s14, 0, v87
	v_ashrrev_i32_e32 v81, 31, v81
	v_cmp_gt_i32_e64 s15, 0, v71
	v_ashrrev_i32_e32 v71, 31, v82
	v_lshl_add_u32 v70, v70, 2, v12
	v_bitop3_b32 v80, v51, v83, v80 bitop3:0x80
	v_xor_b32_e32 v81, s14, v81
	s_delay_alu instid0(VALU_DEP_4) | instskip(SKIP_3) | instid1(VALU_DEP_1)
	v_xor_b32_e32 v71, s15, v71
	ds_load_b32 v51, v70 offset:32
	v_add_nc_u32_e32 v70, 32, v70
	; wave barrier
	v_bitop3_b32 v71, v80, v71, v81 bitop3:0x80
	v_mbcnt_lo_u32_b32 v98, v71, 0
	v_cmp_ne_u32_e64 s15, 0, v71
	s_delay_alu instid0(VALU_DEP_2) | instskip(SKIP_1) | instid1(SALU_CYCLE_1)
	v_cmp_eq_u32_e64 s14, 0, v98
	s_and_b32 s15, s15, s14
	s_and_saveexec_b32 s14, s15
	s_cbranch_execz .LBB493_188
; %bb.187:                              ;   in Loop: Header=BB493_172 Depth=1
	s_wait_dscnt 0x0
	v_bcnt_u32_b32 v71, v71, v51
	ds_store_b32 v70, v71
.LBB493_188:                            ;   in Loop: Header=BB493_172 Depth=1
	s_or_b32 exec_lo, exec_lo, s14
	; wave barrier
	s_wait_dscnt 0x0
	s_barrier_signal -1
	s_barrier_wait -1
	ds_load_b32 v80, v23
	ds_load_b32 v81, v27
	;; [unrolled: 1-line block ×8, first 2 shown]
	s_wait_dscnt 0x6
	v_add_nc_u32_e32 v97, v81, v80
	s_wait_dscnt 0x4
	s_delay_alu instid0(VALU_DEP_1) | instskip(SKIP_1) | instid1(VALU_DEP_1)
	v_add3_u32 v97, v97, v82, v83
	s_wait_dscnt 0x2
	v_add3_u32 v97, v97, v85, v86
	s_wait_dscnt 0x0
	s_delay_alu instid0(VALU_DEP_1) | instskip(NEXT) | instid1(VALU_DEP_1)
	v_add3_u32 v87, v97, v71, v87
	v_mov_b32_dpp v97, v87 row_shr:1 row_mask:0xf bank_mask:0xf
	s_delay_alu instid0(VALU_DEP_1) | instskip(NEXT) | instid1(VALU_DEP_1)
	v_cndmask_b32_e64 v97, v97, 0, vcc_lo
	v_add_nc_u32_e32 v87, v97, v87
	s_delay_alu instid0(VALU_DEP_1) | instskip(NEXT) | instid1(VALU_DEP_1)
	v_mov_b32_dpp v97, v87 row_shr:2 row_mask:0xf bank_mask:0xf
	v_cndmask_b32_e64 v97, 0, v97, s0
	s_delay_alu instid0(VALU_DEP_1) | instskip(NEXT) | instid1(VALU_DEP_1)
	v_add_nc_u32_e32 v87, v87, v97
	v_mov_b32_dpp v97, v87 row_shr:4 row_mask:0xf bank_mask:0xf
	s_delay_alu instid0(VALU_DEP_1) | instskip(NEXT) | instid1(VALU_DEP_1)
	v_cndmask_b32_e64 v97, 0, v97, s2
	v_add_nc_u32_e32 v87, v87, v97
	s_delay_alu instid0(VALU_DEP_1) | instskip(NEXT) | instid1(VALU_DEP_1)
	v_mov_b32_dpp v97, v87 row_shr:8 row_mask:0xf bank_mask:0xf
	v_cndmask_b32_e64 v97, 0, v97, s3
	s_delay_alu instid0(VALU_DEP_1) | instskip(SKIP_3) | instid1(VALU_DEP_1)
	v_add_nc_u32_e32 v87, v87, v97
	ds_swizzle_b32 v97, v87 offset:swizzle(BROADCAST,32,15)
	s_wait_dscnt 0x0
	v_cndmask_b32_e64 v97, v97, 0, s4
	v_add_nc_u32_e32 v87, v87, v97
	s_and_saveexec_b32 s14, s5
; %bb.189:                              ;   in Loop: Header=BB493_172 Depth=1
	ds_store_b32 v146, v87
; %bb.190:                              ;   in Loop: Header=BB493_172 Depth=1
	s_or_b32 exec_lo, exec_lo, s14
	s_wait_dscnt 0x0
	s_barrier_signal -1
	s_barrier_wait -1
	s_and_saveexec_b32 s14, s6
	s_cbranch_execz .LBB493_192
; %bb.191:                              ;   in Loop: Header=BB493_172 Depth=1
	ds_load_b32 v97, v4
	s_wait_dscnt 0x0
	v_mov_b32_dpp v99, v97 row_shr:1 row_mask:0xf bank_mask:0xf
	s_delay_alu instid0(VALU_DEP_1) | instskip(NEXT) | instid1(VALU_DEP_1)
	v_cndmask_b32_e64 v99, v99, 0, s11
	v_add_nc_u32_e32 v97, v99, v97
	s_delay_alu instid0(VALU_DEP_1) | instskip(NEXT) | instid1(VALU_DEP_1)
	v_mov_b32_dpp v99, v97 row_shr:2 row_mask:0xf bank_mask:0xf
	v_cndmask_b32_e64 v99, 0, v99, s12
	s_delay_alu instid0(VALU_DEP_1) | instskip(NEXT) | instid1(VALU_DEP_1)
	v_add_nc_u32_e32 v97, v97, v99
	v_mov_b32_dpp v99, v97 row_shr:4 row_mask:0xf bank_mask:0xf
	s_delay_alu instid0(VALU_DEP_1) | instskip(NEXT) | instid1(VALU_DEP_1)
	v_cndmask_b32_e64 v99, 0, v99, s13
	v_add_nc_u32_e32 v97, v97, v99
	ds_store_b32 v4, v97
.LBB493_192:                            ;   in Loop: Header=BB493_172 Depth=1
	s_or_b32 exec_lo, exec_lo, s14
	v_mov_b32_e32 v97, 0
	s_wait_dscnt 0x0
	s_barrier_signal -1
	s_barrier_wait -1
	s_and_saveexec_b32 s14, s7
; %bb.193:                              ;   in Loop: Header=BB493_172 Depth=1
	ds_load_b32 v97, v147
; %bb.194:                              ;   in Loop: Header=BB493_172 Depth=1
	s_or_b32 exec_lo, exec_lo, s14
	s_wait_dscnt 0x0
	v_dual_add_nc_u32 v87, v97, v87 :: v_dual_add_nc_u32 v10, 8, v10
	s_mov_b32 s16, -1
	ds_bpermute_b32 v87, v145, v87
	s_wait_dscnt 0x0
	v_dual_cndmask_b32 v87, v87, v97, s1 :: v_dual_mov_b32 v97, v1
	s_delay_alu instid0(VALU_DEP_1) | instskip(NEXT) | instid1(VALU_DEP_1)
	v_cndmask_b32_e64 v87, v87, 0, s10
	v_add_nc_u32_e32 v80, v87, v80
	s_delay_alu instid0(VALU_DEP_1) | instskip(NEXT) | instid1(VALU_DEP_1)
	v_add_nc_u32_e32 v81, v80, v81
	v_add_nc_u32_e32 v82, v81, v82
	s_delay_alu instid0(VALU_DEP_1)
	v_add_nc_u32_e32 v83, v82, v83
	ds_store_b32 v23, v87
	ds_store_b32 v27, v80
	;; [unrolled: 1-line block ×3, first 2 shown]
	v_dual_mov_b32 v87, v1 :: v_dual_mov_b32 v81, v1
	v_add_nc_u32_e32 v85, v83, v85
	s_delay_alu instid0(VALU_DEP_1) | instskip(NEXT) | instid1(VALU_DEP_1)
	v_add_nc_u32_e32 v86, v85, v86
	v_add_nc_u32_e32 v71, v86, v71
	ds_store_b32 v131, v82
	ds_store_b32 v132, v83
	;; [unrolled: 1-line block ×5, first 2 shown]
	s_wait_dscnt 0x0
	s_barrier_signal -1
	s_barrier_wait -1
	ds_load_b32 v36, v36
	ds_load_b32 v39, v39
	;; [unrolled: 1-line block ×8, first 2 shown]
	v_dual_mov_b32 v83, v1 :: v_dual_mov_b32 v69, v1
	v_dual_mov_b32 v71, v1 :: v_dual_mov_b32 v85, v1
	v_cmp_lt_u32_e64 s14, v10, v11
	s_wait_dscnt 0x0
	v_add_nc_u32_e32 v0, v36, v0
	v_add3_u32 v82, v38, v37, v39
	v_add3_u32 v86, v49, v48, v50
	v_add3_u32 v68, v53, v52, v54
	v_add3_u32 v70, v64, v55, v65
	v_add3_u32 v80, v67, v66, v80
	v_add3_u32 v84, v96, v84, v99
	v_add3_u32 v96, v98, v51, v100
	v_lshl_add_u64 v[128:129], v[0:1], 2, v[12:13]
	v_lshl_add_u64 v[118:119], v[82:83], 2, v[12:13]
	;; [unrolled: 1-line block ×8, first 2 shown]
                                        ; implicit-def: $vgpr99
                                        ; implicit-def: $vgpr97
                                        ; implicit-def: $vgpr85
                                        ; implicit-def: $vgpr83
                                        ; implicit-def: $vgpr81
                                        ; implicit-def: $vgpr71
                                        ; implicit-def: $vgpr69
                                        ; implicit-def: $vgpr87
                                        ; implicit-def: $vgpr52_vgpr53
                                        ; implicit-def: $vgpr64_vgpr65
                                        ; implicit-def: $vgpr36_vgpr37
                                        ; implicit-def: $vgpr38_vgpr39
                                        ; implicit-def: $vgpr48_vgpr49
                                        ; implicit-def: $vgpr50_vgpr51
                                        ; implicit-def: $vgpr54_vgpr55
                                        ; implicit-def: $vgpr66_vgpr67
	s_and_saveexec_b32 s15, s14
	s_cbranch_execz .LBB493_171
; %bb.195:                              ;   in Loop: Header=BB493_172 Depth=1
	v_lshl_add_u32 v36, v0, 2, v128
	v_lshl_add_u32 v37, v82, 2, v118
	;; [unrolled: 1-line block ×3, first 2 shown]
	s_barrier_signal -1
	s_barrier_wait -1
	ds_store_b32 v128, v182
	ds_store_b32 v118, v195
	;; [unrolled: 1-line block ×8, first 2 shown]
	s_wait_dscnt 0x0
	s_barrier_signal -1
	s_barrier_wait -1
	ds_load_b32 v87, v5
	ds_load_b32 v69, v148
	ds_load_b32 v71, v149
	ds_load_b32 v81, v150
	ds_load_b32 v83, v160
	ds_load_b32 v85, v161
	ds_load_b32 v97, v162
	ds_load_b32 v99, v163
	s_wait_dscnt 0x0
	s_barrier_signal -1
	s_barrier_wait -1
	ds_store_b64 v36, v[18:19]
	ds_store_b64 v37, v[16:17]
	;; [unrolled: 1-line block ×3, first 2 shown]
	v_lshl_add_u32 v36, v68, 2, v114
	v_lshl_add_u32 v37, v70, 2, v112
	;; [unrolled: 1-line block ×5, first 2 shown]
	ds_store_b64 v36, v[20:21]
	ds_store_b64 v37, v[30:31]
	;; [unrolled: 1-line block ×5, first 2 shown]
	s_wait_dscnt 0x0
	s_barrier_signal -1
	s_barrier_wait -1
	ds_load_b64 v[52:53], v151
	ds_load_b64 v[64:65], v164
	;; [unrolled: 1-line block ×8, first 2 shown]
	v_add_nc_u32_e32 v179, -8, v179
	s_xor_b32 s16, exec_lo, -1
	s_wait_dscnt 0x0
	s_barrier_signal -1
	s_barrier_wait -1
	s_branch .LBB493_171
.LBB493_196:
	flat_load_b64 v[80:81], v[0:1]
	s_wait_xcnt 0x0
	s_or_b32 exec_lo, exec_lo, s17
                                        ; implicit-def: $vgpr68_vgpr69
	s_and_saveexec_b32 s17, s0
	s_cbranch_execz .LBB493_36
.LBB493_197:
	flat_load_b64 v[68:69], v[0:1] offset:256
	s_wait_xcnt 0x0
	s_or_b32 exec_lo, exec_lo, s17
                                        ; implicit-def: $vgpr70_vgpr71
	s_and_saveexec_b32 s0, s1
	s_cbranch_execz .LBB493_37
.LBB493_198:
	flat_load_b64 v[70:71], v[0:1] offset:512
	s_wait_xcnt 0x0
	s_or_b32 exec_lo, exec_lo, s0
                                        ; implicit-def: $vgpr82_vgpr83
	s_and_saveexec_b32 s0, s2
	s_cbranch_execz .LBB493_38
.LBB493_199:
	flat_load_b64 v[82:83], v[0:1] offset:768
	s_wait_xcnt 0x0
	s_or_b32 exec_lo, exec_lo, s0
                                        ; implicit-def: $vgpr84_vgpr85
	s_and_saveexec_b32 s0, s3
	s_cbranch_execz .LBB493_39
.LBB493_200:
	flat_load_b64 v[84:85], v[0:1] offset:1024
	s_wait_xcnt 0x0
	s_or_b32 exec_lo, exec_lo, s0
                                        ; implicit-def: $vgpr86_vgpr87
	s_and_saveexec_b32 s0, s4
	s_cbranch_execz .LBB493_40
.LBB493_201:
	flat_load_b64 v[86:87], v[0:1] offset:1280
	s_wait_xcnt 0x0
	s_or_b32 exec_lo, exec_lo, s0
                                        ; implicit-def: $vgpr96_vgpr97
	s_and_saveexec_b32 s0, s5
	s_cbranch_execz .LBB493_41
.LBB493_202:
	flat_load_b64 v[96:97], v[0:1] offset:1536
	s_wait_xcnt 0x0
	s_or_b32 exec_lo, exec_lo, s0
                                        ; implicit-def: $vgpr146_vgpr147
	s_and_saveexec_b32 s0, s6
	s_cbranch_execz .LBB493_42
.LBB493_203:
	flat_load_b64 v[146:147], v[0:1] offset:1792
	s_wait_xcnt 0x0
	s_or_b32 exec_lo, exec_lo, s0
                                        ; implicit-def: $vgpr148_vgpr149
	s_and_saveexec_b32 s0, s7
	s_cbranch_execz .LBB493_43
.LBB493_204:
	flat_load_b64 v[148:149], v[0:1] offset:2048
	s_wait_xcnt 0x0
	s_or_b32 exec_lo, exec_lo, s0
                                        ; implicit-def: $vgpr164_vgpr165
	s_and_saveexec_b32 s0, s10
	s_cbranch_execz .LBB493_44
.LBB493_205:
	flat_load_b64 v[164:165], v[0:1] offset:2304
	s_wait_xcnt 0x0
	s_or_b32 exec_lo, exec_lo, s0
                                        ; implicit-def: $vgpr176_vgpr177
	s_and_saveexec_b32 s0, s11
	s_cbranch_execz .LBB493_45
.LBB493_206:
	flat_load_b64 v[176:177], v[0:1] offset:2560
	s_wait_xcnt 0x0
	s_or_b32 exec_lo, exec_lo, s0
                                        ; implicit-def: $vgpr166_vgpr167
	s_and_saveexec_b32 s0, s12
	s_cbranch_execz .LBB493_46
.LBB493_207:
	flat_load_b64 v[166:167], v[0:1] offset:2816
	s_wait_xcnt 0x0
	s_or_b32 exec_lo, exec_lo, s0
                                        ; implicit-def: $vgpr178_vgpr179
	s_and_saveexec_b32 s0, s13
	s_cbranch_execz .LBB493_47
.LBB493_208:
	flat_load_b64 v[178:179], v[0:1] offset:3072
	s_wait_xcnt 0x0
	s_or_b32 exec_lo, exec_lo, s0
                                        ; implicit-def: $vgpr196_vgpr197
	s_and_saveexec_b32 s0, s14
	s_cbranch_execz .LBB493_48
.LBB493_209:
	flat_load_b64 v[196:197], v[0:1] offset:3328
	s_wait_xcnt 0x0
	s_or_b32 exec_lo, exec_lo, s0
                                        ; implicit-def: $vgpr208_vgpr209
	s_and_saveexec_b32 s0, s15
	s_cbranch_execz .LBB493_49
.LBB493_210:
	flat_load_b64 v[208:209], v[0:1] offset:3584
	s_wait_xcnt 0x0
	s_or_b32 exec_lo, exec_lo, s0
                                        ; implicit-def: $vgpr240_vgpr241
	s_and_saveexec_b32 s0, s16
	s_cbranch_execnz .LBB493_50
	s_branch .LBB493_51
.LBB493_211:
	flat_store_b64 v[0:1], v[48:49]
	s_wait_xcnt 0x0
	s_or_b32 exec_lo, exec_lo, s17
	s_and_saveexec_b32 s17, s0
	s_cbranch_execz .LBB493_127
.LBB493_212:
	flat_store_b64 v[0:1], v[50:51] offset:2048
	s_wait_xcnt 0x0
	s_or_b32 exec_lo, exec_lo, s17
	s_and_saveexec_b32 s0, s1
	s_cbranch_execz .LBB493_128
.LBB493_213:
	flat_store_b64 v[0:1], v[34:35] offset:4096
	s_wait_xcnt 0x0
	s_or_b32 exec_lo, exec_lo, s0
	s_and_saveexec_b32 s0, s2
	s_cbranch_execz .LBB493_129
.LBB493_214:
	flat_store_b64 v[0:1], v[36:37] offset:6144
	s_wait_xcnt 0x0
	s_or_b32 exec_lo, exec_lo, s0
	s_and_saveexec_b32 s0, s3
	s_cbranch_execz .LBB493_130
.LBB493_215:
	flat_store_b64 v[0:1], v[30:31] offset:8192
	s_wait_xcnt 0x0
	s_or_b32 exec_lo, exec_lo, s0
	s_and_saveexec_b32 s0, s4
	s_cbranch_execz .LBB493_131
.LBB493_216:
	flat_store_b64 v[0:1], v[32:33] offset:10240
	s_wait_xcnt 0x0
	s_or_b32 exec_lo, exec_lo, s0
	s_and_saveexec_b32 s0, s5
	s_cbranch_execz .LBB493_132
.LBB493_217:
	flat_store_b64 v[0:1], v[26:27] offset:12288
	s_wait_xcnt 0x0
	s_or_b32 exec_lo, exec_lo, s0
	s_and_saveexec_b32 s0, s6
	s_cbranch_execz .LBB493_133
.LBB493_218:
	flat_store_b64 v[0:1], v[28:29] offset:14336
	s_wait_xcnt 0x0
	s_or_b32 exec_lo, exec_lo, s0
	s_and_saveexec_b32 s0, s7
	s_cbranch_execz .LBB493_134
.LBB493_219:
	flat_store_b64 v[0:1], v[22:23] offset:16384
	s_wait_xcnt 0x0
	s_or_b32 exec_lo, exec_lo, s0
	s_and_saveexec_b32 s0, s10
	s_cbranch_execz .LBB493_135
.LBB493_220:
	flat_store_b64 v[0:1], v[24:25] offset:18432
	s_wait_xcnt 0x0
	s_or_b32 exec_lo, exec_lo, s0
	s_and_saveexec_b32 s0, s11
	s_cbranch_execz .LBB493_136
.LBB493_221:
	flat_store_b64 v[0:1], v[18:19] offset:20480
	s_wait_xcnt 0x0
	s_or_b32 exec_lo, exec_lo, s0
	s_and_saveexec_b32 s0, s12
	s_cbranch_execz .LBB493_137
.LBB493_222:
	flat_store_b64 v[0:1], v[20:21] offset:22528
	s_wait_xcnt 0x0
	s_or_b32 exec_lo, exec_lo, s0
	s_and_saveexec_b32 s0, s13
	s_cbranch_execz .LBB493_138
.LBB493_223:
	flat_store_b64 v[0:1], v[14:15] offset:24576
	s_wait_xcnt 0x0
	s_or_b32 exec_lo, exec_lo, s0
	s_and_saveexec_b32 s0, s14
	s_cbranch_execz .LBB493_139
.LBB493_224:
	flat_store_b64 v[0:1], v[16:17] offset:26624
	s_wait_xcnt 0x0
	s_or_b32 exec_lo, exec_lo, s0
	s_and_saveexec_b32 s0, s15
	s_cbranch_execz .LBB493_140
.LBB493_225:
	flat_store_b64 v[0:1], v[10:11] offset:28672
	s_wait_xcnt 0x0
	s_or_b32 exec_lo, exec_lo, s0
	s_and_saveexec_b32 s0, s16
	s_cbranch_execnz .LBB493_141
	s_branch .LBB493_142
.LBB493_226:
	s_or_b32 exec_lo, exec_lo, s23
	v_lshl_add_u32 v0, v0, 2, v128
	v_lshl_add_u32 v1, v82, 2, v118
	;; [unrolled: 1-line block ×3, first 2 shown]
	s_barrier_signal -1
	s_barrier_wait -1
	ds_store_b32 v128, v182
	ds_store_b32 v118, v195
	;; [unrolled: 1-line block ×8, first 2 shown]
	s_wait_dscnt 0x0
	s_barrier_signal -1
	s_barrier_wait -1
	ds_load_2addr_stride64_b32 v[48:49], v4 offset1:4
	ds_load_2addr_stride64_b32 v[38:39], v4 offset0:8 offset1:12
	ds_load_2addr_stride64_b32 v[36:37], v4 offset0:16 offset1:20
	;; [unrolled: 1-line block ×3, first 2 shown]
	s_wait_dscnt 0x0
	s_barrier_signal -1
	s_barrier_wait -1
	ds_store_b64 v0, v[18:19]
	ds_store_b64 v1, v[16:17]
	;; [unrolled: 1-line block ×3, first 2 shown]
	v_lshl_add_u32 v0, v68, 2, v114
	v_lshl_add_u32 v1, v70, 2, v112
	;; [unrolled: 1-line block ×5, first 2 shown]
	ds_store_b64 v0, v[20:21]
	ds_store_b64 v1, v[30:31]
	;; [unrolled: 1-line block ×5, first 2 shown]
	v_lshl_add_u32 v0, v22, 3, v12
	s_wait_dscnt 0x0
	s_barrier_signal -1
	s_barrier_wait -1
	ds_load_2addr_stride64_b64 v[22:25], v0 offset1:4
	ds_load_2addr_stride64_b64 v[18:21], v0 offset0:8 offset1:12
	ds_load_2addr_stride64_b64 v[14:17], v0 offset0:16 offset1:20
	;; [unrolled: 1-line block ×3, first 2 shown]
	v_lshl_add_u64 v[0:1], v[8:9], 2, v[2:3]
	v_mov_b32_e32 v27, 0
	s_set_vgpr_msb 4                        ;  msbs: dst=0 src0=0 src1=1 src2=0
	v_cmp_lt_u32_e32 vcc_lo, v26, v2 /*v258*/
	s_wait_dscnt 0x0
	s_barrier_signal -1
	s_barrier_wait -1
	v_lshl_add_u64 v[0:1], v[26:27], 2, v[0:1]
	s_and_saveexec_b32 s0, vcc_lo
	s_set_vgpr_msb 0                        ;  msbs: dst=0 src0=0 src1=0 src2=0
	s_cbranch_execz .LBB493_228
; %bb.227:
	v_xor_b32_e32 v2, 0x7fffffff, v48
	flat_store_b32 v[0:1], v2
.LBB493_228:
	s_wait_xcnt 0x0
	s_or_b32 exec_lo, exec_lo, s0
	v_add_nc_u32_e32 v2, 0x100, v26
	s_set_vgpr_msb 4                        ;  msbs: dst=0 src0=0 src1=1 src2=0
	s_delay_alu instid0(VALU_DEP_1)
	v_cmp_lt_u32_e64 s0, v2, v2 /*v258*/
	s_and_saveexec_b32 s1, s0
	s_set_vgpr_msb 0                        ;  msbs: dst=0 src0=0 src1=0 src2=0
	s_cbranch_execz .LBB493_230
; %bb.229:
	v_xor_b32_e32 v2, 0x7fffffff, v49
	flat_store_b32 v[0:1], v2 offset:1024
.LBB493_230:
	s_wait_xcnt 0x0
	s_or_b32 exec_lo, exec_lo, s1
	v_add_nc_u32_e32 v2, 0x200, v26
	s_set_vgpr_msb 4                        ;  msbs: dst=0 src0=0 src1=1 src2=0
	s_delay_alu instid0(VALU_DEP_1)
	v_cmp_lt_u32_e64 s1, v2, v2 /*v258*/
	s_and_saveexec_b32 s2, s1
	s_set_vgpr_msb 0                        ;  msbs: dst=0 src0=0 src1=0 src2=0
	s_cbranch_execz .LBB493_232
; %bb.231:
	v_xor_b32_e32 v2, 0x7fffffff, v38
	flat_store_b32 v[0:1], v2 offset:2048
.LBB493_232:
	;; [unrolled: 13-line block ×7, first 2 shown]
	s_wait_xcnt 0x0
	s_or_b32 exec_lo, exec_lo, s7
	v_lshl_add_u64 v[0:1], v[8:9], 3, v[6:7]
	s_delay_alu instid0(VALU_DEP_1)
	v_lshl_add_u64 v[0:1], v[26:27], 3, v[0:1]
	s_and_saveexec_b32 s7, vcc_lo
	s_cbranch_execnz .LBB493_292
; %bb.243:
	s_or_b32 exec_lo, exec_lo, s7
	s_and_saveexec_b32 s7, s0
	s_cbranch_execnz .LBB493_293
.LBB493_244:
	s_or_b32 exec_lo, exec_lo, s7
	s_and_saveexec_b32 s0, s1
	s_cbranch_execnz .LBB493_294
.LBB493_245:
	s_or_b32 exec_lo, exec_lo, s0
	s_and_saveexec_b32 s0, s2
	s_cbranch_execnz .LBB493_295
.LBB493_246:
	s_or_b32 exec_lo, exec_lo, s0
	s_and_saveexec_b32 s0, s3
	s_cbranch_execnz .LBB493_296
.LBB493_247:
	s_or_b32 exec_lo, exec_lo, s0
	s_and_saveexec_b32 s0, s4
	s_cbranch_execnz .LBB493_297
.LBB493_248:
	s_or_b32 exec_lo, exec_lo, s0
	s_and_saveexec_b32 s0, s5
	s_cbranch_execnz .LBB493_298
.LBB493_249:
	s_or_b32 exec_lo, exec_lo, s0
	s_and_saveexec_b32 s0, s6
	s_cbranch_execz .LBB493_251
.LBB493_250:
	flat_store_b64 v[0:1], v[12:13] offset:14336
.LBB493_251:
	s_wait_xcnt 0x0
	s_or_b32 exec_lo, exec_lo, s0
                                        ; implicit-def: $vgpr258
                                        ; implicit-def: $vgpr8
                                        ; implicit-def: $vgpr10
                                        ; implicit-def: $vgpr11
                                        ; implicit-def: $vgpr0_vgpr1
                                        ; implicit-def: $vgpr2_vgpr3
                                        ; implicit-def: $vgpr4_vgpr5
                                        ; implicit-def: $vgpr6_vgpr7
                                        ; implicit-def: $vgpr12_vgpr13
                                        ; implicit-def: $vgpr9
                                        ; implicit-def: $vgpr14
                                        ; implicit-def: $vgpr22
                                        ; implicit-def: $vgpr98
.LBB493_252:
	s_and_not1_saveexec_b32 s0, s21
	s_cbranch_execz .LBB493_372
; %bb.253:
	s_mov_b32 s0, exec_lo
	s_set_vgpr_msb 4                        ;  msbs: dst=0 src0=0 src1=1 src2=0
	v_cmpx_lt_u32_e32 0x200, v2 /*v258*/
	s_xor_b32 s21, exec_lo, s0
	s_set_vgpr_msb 0                        ;  msbs: dst=0 src0=0 src1=0 src2=0
	s_cbranch_execz .LBB493_313
; %bb.254:
	s_load_b64 s[0:1], s[8:9], 0x0
	s_bfe_u32 s3, ttmp6, 0x4000c
	s_bfe_u32 s5, ttmp6, 0x40010
	s_and_b32 s4, ttmp7, 0xffff
	s_add_co_i32 s3, s3, 1
	s_add_co_i32 s5, s5, 1
	s_and_b32 s2, ttmp6, 15
	s_bfe_u32 s6, ttmp6, 0x40004
	s_mul_i32 s3, ttmp9, s3
	s_mul_i32 s5, s4, s5
	s_add_co_i32 s2, s2, s3
	s_add_co_i32 s6, s6, s5
	s_cmp_eq_u32 s20, 0
	s_mov_b32 s3, 0
	s_cselect_b32 s2, ttmp9, s2
	s_cselect_b32 s4, s4, s6
	v_lshlrev_b32_e32 v16, 2, v98
	s_wait_kmcnt 0x0
	s_cmp_lt_u32 s2, s0
	s_cselect_b32 s2, 12, 18
	s_cmp_lt_u32 s4, s1
	s_mov_b32 s1, s3
	s_cselect_b32 s0, 14, 20
	s_delay_alu instid0(SALU_CYCLE_1)
	s_add_nc_u64 s[0:1], s[8:9], s[0:1]
	s_load_u16 s4, s[0:1], 0x0
	s_wait_xcnt 0x0
	s_add_nc_u64 s[0:1], s[8:9], s[2:3]
	s_load_u16 s0, s[0:1], 0x0
	s_wait_kmcnt 0x0
	v_mad_u32_u24 v9, v14, s4, v9
	s_delay_alu instid0(VALU_DEP_1) | instskip(SKIP_1) | instid1(VALU_DEP_1)
	v_mad_u32 v18, v9, s0, v22
	v_mov_b32_e32 v9, 0
	v_lshl_add_u64 v[20:21], v[8:9], 2, v[0:1]
	s_delay_alu instid0(VALU_DEP_3) | instskip(NEXT) | instid1(VALU_DEP_1)
	v_dual_mov_b32 v17, v9 :: v_dual_lshlrev_b32 v14, 2, v18
	v_add_nc_u64_e32 v[20:21], v[20:21], v[16:17]
	s_delay_alu instid0(VALU_DEP_2) | instskip(SKIP_1) | instid1(VALU_DEP_2)
	v_and_b32_e32 v0, 0xffffff80, v14
	v_bfrev_b32_e32 v14, 1
	v_dual_mov_b32 v1, v9 :: v_dual_bitop2_b32 v19, v0, v98 bitop3:0x54
	s_delay_alu instid0(VALU_DEP_2) | instskip(NEXT) | instid1(VALU_DEP_2)
	v_dual_mov_b32 v15, v14 :: v_dual_mov_b32 v16, v14
	v_lshl_add_u64 v[20:21], v[0:1], 2, v[20:21]
	v_mov_b32_e32 v17, v14
	s_set_vgpr_msb 4                        ;  msbs: dst=0 src0=0 src1=1 src2=0
	v_cmp_lt_u32_e32 vcc_lo, v19, v2 /*v258*/
	s_and_saveexec_b32 s0, vcc_lo
	s_set_vgpr_msb 0                        ;  msbs: dst=0 src0=0 src1=0 src2=0
	s_cbranch_execz .LBB493_256
; %bb.255:
	flat_load_b32 v24, v[20:21]
	v_dual_mov_b32 v25, v14 :: v_dual_mov_b32 v26, v14
	v_mov_b32_e32 v27, v14
	s_wait_loadcnt_dscnt 0x0
	s_delay_alu instid0(VALU_DEP_2) | instskip(NEXT) | instid1(VALU_DEP_2)
	v_mov_b64_e32 v[14:15], v[24:25]
	v_mov_b64_e32 v[16:17], v[26:27]
.LBB493_256:
	s_wait_xcnt 0x0
	s_or_b32 exec_lo, exec_lo, s0
	v_or_b32_e32 v23, 32, v19
	s_set_vgpr_msb 4                        ;  msbs: dst=0 src0=0 src1=1 src2=0
	s_delay_alu instid0(VALU_DEP_1)
	v_cmp_lt_u32_e64 s0, v23, v2 /*v258*/
	s_and_saveexec_b32 s1, s0
	s_set_vgpr_msb 0                        ;  msbs: dst=0 src0=0 src1=0 src2=0
	s_cbranch_execz .LBB493_258
; %bb.257:
	flat_load_b32 v15, v[20:21] offset:128
.LBB493_258:
	s_wait_xcnt 0x0
	s_or_b32 exec_lo, exec_lo, s1
	v_or_b32_e32 v23, 64, v19
	s_set_vgpr_msb 4                        ;  msbs: dst=0 src0=0 src1=1 src2=0
	s_delay_alu instid0(VALU_DEP_1)
	v_cmp_lt_u32_e64 s1, v23, v2 /*v258*/
	s_and_saveexec_b32 s2, s1
	s_set_vgpr_msb 0                        ;  msbs: dst=0 src0=0 src1=0 src2=0
	s_cbranch_execz .LBB493_260
; %bb.259:
	flat_load_b32 v16, v[20:21] offset:256
.LBB493_260:
	;; [unrolled: 12-line block ×3, first 2 shown]
	s_wait_xcnt 0x0
	s_or_b32 exec_lo, exec_lo, s3
	v_lshl_add_u64 v[4:5], v[8:9], 3, v[4:5]
	v_dual_mov_b32 v21, 0 :: v_dual_lshlrev_b32 v20, 3, v98
                                        ; implicit-def: $vgpr28_vgpr29
	s_delay_alu instid0(VALU_DEP_1) | instskip(NEXT) | instid1(VALU_DEP_1)
	v_add_nc_u64_e32 v[4:5], v[4:5], v[20:21]
	v_lshl_add_u64 v[0:1], v[0:1], 3, v[4:5]
	s_and_saveexec_b32 s3, vcc_lo
	s_cbranch_execnz .LBB493_337
; %bb.263:
	s_or_b32 exec_lo, exec_lo, s3
                                        ; implicit-def: $vgpr30_vgpr31
	s_and_saveexec_b32 s3, s0
	s_cbranch_execnz .LBB493_338
.LBB493_264:
	s_or_b32 exec_lo, exec_lo, s3
                                        ; implicit-def: $vgpr32_vgpr33
	s_and_saveexec_b32 s0, s1
	s_cbranch_execnz .LBB493_339
.LBB493_265:
	s_or_b32 exec_lo, exec_lo, s0
                                        ; implicit-def: $vgpr34_vgpr35
	s_and_saveexec_b32 s0, s2
	s_cbranch_execz .LBB493_267
.LBB493_266:
	flat_load_b64 v[34:35], v[0:1] offset:768
.LBB493_267:
	s_wait_xcnt 0x0
	s_or_b32 exec_lo, exec_lo, s0
	v_lshl_add_u32 v0, v22, 5, v12
	v_and_b32_e32 v1, 0x3e0, v22
	v_and_b32_e32 v4, 15, v98
	v_xor_b32_e32 v51, 0x7fffffff, v14
	v_sub_co_u32 v14, s2, v98, 1
	v_dual_add_nc_u32 v19, 32, v0 :: v_dual_add_nc_u32 v23, 36, v0
	v_dual_add_nc_u32 v66, 40, v0 :: v_dual_add_nc_u32 v67, 44, v0
	;; [unrolled: 1-line block ×4, first 2 shown]
	v_lshrrev_b32_e32 v80, 5, v18
	v_min_u32_e32 v0, 0xe0, v1
	v_cmp_gt_i32_e64 s6, 0, v14
	s_get_pc_i64 s[0:1]
	s_add_nc_u64 s[0:1], s[0:1], _ZN7rocprim17ROCPRIM_400000_NS16block_radix_sortIiLj256ELj4ElLj1ELj1ELj8ELNS0_26block_radix_rank_algorithmE2ELNS0_18block_padding_hintE2ELNS0_4arch9wavefront6targetE0EE19radix_bits_per_passE@rel64+4
	s_wait_loadcnt_dscnt 0x0
	v_xor_b32_e32 v37, 0x7fffffff, v15
	s_load_b32 s22, s[0:1], 0x0
	v_dual_lshlrev_b32 v0, 2, v22 :: v_dual_bitop2_b32 v5, 31, v0 bitop3:0x54
	v_cmp_eq_u32_e32 vcc_lo, 0, v4
	s_wait_xcnt 0x0
	v_cmp_lt_u32_e64 s0, 1, v4
	v_cmp_lt_u32_e64 s1, 3, v4
	v_cmp_eq_u32_e64 s5, v22, v5
	v_and_or_b32 v5, 0xf80, v0, v98
	v_and_b32_e32 v1, 16, v98
	v_cmp_lt_u32_e64 s3, 7, v4
	v_and_b32_e32 v15, 7, v98
	v_xor_b32_e32 v39, 0x7fffffff, v16
	v_xor_b32_e32 v49, 0x7fffffff, v17
	v_cmp_eq_u32_e64 s4, 0, v1
	v_cndmask_b32_e64 v1, v14, v98, s6
	v_dual_lshrrev_b32 v4, 3, v22 :: v_dual_lshlrev_b32 v14, 2, v5
	v_cmp_eq_u32_e64 s11, 0, v15
	v_cmp_lt_u32_e64 s12, 1, v15
	s_delay_alu instid0(VALU_DEP_4) | instskip(NEXT) | instid1(VALU_DEP_4)
	v_lshlrev_b32_e32 v81, 2, v1
	v_and_b32_e32 v4, 0x7c, v4
	v_dual_mov_b32 v1, 0 :: v_dual_add_nc_u32 v83, v12, v14
	v_cmp_lt_u32_e64 s13, 3, v15
	v_cmp_gt_u32_e64 s6, 8, v22
	s_delay_alu instid0(VALU_DEP_4) | instskip(NEXT) | instid1(VALU_DEP_4)
	v_add_nc_u32_e32 v82, v12, v4
	v_add_nc_u64_e32 v[4:5], v[12:13], v[0:1]
	v_add_nc_u32_e32 v5, v83, v14
	v_mov_b64_e32 v[14:15], 0
	v_cmp_lt_u32_e64 s7, 31, v22
	v_cmp_eq_u32_e64 s10, 0, v22
	v_add_nc_u32_e32 v84, -4, v82
	v_add_nc_u32_e32 v85, 0x80, v83
	v_add_nc_u32_e32 v86, 0x100, v83
	v_add_nc_u32_e32 v87, 0x180, v83
	v_add_nc_u32_e32 v96, 0x100, v5
	v_add_nc_u32_e32 v97, 0x200, v5
	v_add_nc_u32_e32 v98, 0x300, v5
	v_sub_nc_u32_e32 v99, v11, v10
	s_mov_b32 s23, 0
	s_wait_storecnt 0x0
	s_barrier_signal -1
	s_barrier_wait -1
	s_branch .LBB493_269
.LBB493_268:                            ;   in Loop: Header=BB493_269 Depth=1
	s_or_b32 exec_lo, exec_lo, s15
	s_delay_alu instid0(SALU_CYCLE_1) | instskip(NEXT) | instid1(SALU_CYCLE_1)
	s_and_b32 s14, exec_lo, s16
	s_or_b32 s23, s14, s23
	s_delay_alu instid0(SALU_CYCLE_1)
	s_and_not1_b32 exec_lo, exec_lo, s23
	s_cbranch_execz .LBB493_299
.LBB493_269:                            ; =>This Inner Loop Header: Depth=1
	s_wait_kmcnt 0x0
	v_min_u32_e32 v0, s22, v99
	v_dual_mov_b32 v100, v51 :: v_dual_mov_b32 v101, v49
	ds_store_b64 v19, v[14:15]
	ds_store_b64 v66, v[14:15]
	;; [unrolled: 1-line block ×4, first 2 shown]
	v_lshlrev_b32_e64 v36, v0, -1
	v_lshrrev_b32_e32 v0, v10, v100
	s_wait_dscnt 0x0
	s_barrier_signal -1
	s_barrier_wait -1
	s_delay_alu instid0(VALU_DEP_1) | instskip(SKIP_2) | instid1(VALU_DEP_3)
	v_bitop3_b32 v16, v0, 1, v36 bitop3:0x40
	v_bitop3_b32 v0, v0, v36, v0 bitop3:0x30
	; wave barrier
	v_mov_b32_e32 v102, v39
	v_add_co_u32 v16, s14, v16, -1
	s_delay_alu instid0(VALU_DEP_1) | instskip(NEXT) | instid1(VALU_DEP_4)
	v_cndmask_b32_e64 v17, 0, 1, s14
	v_dual_lshlrev_b32 v20, 30, v0 :: v_dual_lshlrev_b32 v21, 29, v0
	v_dual_lshlrev_b32 v24, 28, v0 :: v_dual_lshlrev_b32 v25, 27, v0
	s_delay_alu instid0(VALU_DEP_3) | instskip(NEXT) | instid1(VALU_DEP_3)
	v_cmp_ne_u32_e64 s14, 0, v17
	v_not_b32_e32 v17, v20
	v_dual_lshlrev_b32 v26, 26, v0 :: v_dual_lshlrev_b32 v27, 25, v0
	v_cmp_gt_i32_e64 s15, 0, v20
	v_cmp_gt_i32_e64 s16, 0, v21
	v_not_b32_e32 v20, v21
	v_not_b32_e32 v21, v24
	v_dual_ashrrev_i32 v17, 31, v17 :: v_dual_lshlrev_b32 v38, 24, v0
	v_cmp_gt_i32_e64 s17, 0, v24
	v_cmp_gt_i32_e64 s18, 0, v25
	v_not_b32_e32 v24, v25
	s_delay_alu instid0(VALU_DEP_4)
	v_dual_ashrrev_i32 v20, 31, v20 :: v_dual_bitop2_b32 v17, s15, v17 bitop3:0x14
	v_ashrrev_i32_e32 v21, 31, v21
	v_not_b32_e32 v25, v26
	v_xor_b32_e32 v16, s14, v16
	v_ashrrev_i32_e32 v24, 31, v24
	v_cmp_gt_i32_e64 s14, 0, v26
	v_xor_b32_e32 v21, s17, v21
	v_cmp_gt_i32_e64 s15, 0, v38
	v_bitop3_b32 v16, v16, v17, exec_lo bitop3:0x80
	v_ashrrev_i32_e32 v17, 31, v25
	v_not_b32_e32 v25, v27
	v_xor_b32_e32 v20, s16, v20
	v_xor_b32_e32 v24, s18, v24
	v_lshl_add_u32 v0, v0, 3, v80
	s_delay_alu instid0(VALU_DEP_3) | instskip(SKIP_4) | instid1(VALU_DEP_4)
	v_bitop3_b32 v16, v16, v21, v20 bitop3:0x80
	v_not_b32_e32 v20, v38
	v_xor_b32_e32 v17, s14, v17
	v_cmp_gt_i32_e64 s14, 0, v27
	v_dual_ashrrev_i32 v21, 31, v25 :: v_dual_mov_b32 v103, v37
	v_ashrrev_i32_e32 v20, 31, v20
	s_delay_alu instid0(VALU_DEP_4) | instskip(SKIP_1) | instid1(VALU_DEP_4)
	v_bitop3_b32 v26, v16, v17, v24 bitop3:0x80
	v_mov_b64_e32 v[24:25], v[28:29]
	v_xor_b32_e32 v27, s14, v21
	v_lshl_add_u64 v[28:29], v[0:1], 2, v[12:13]
	v_xor_b32_e32 v37, s15, v20
	v_mov_b64_e32 v[20:21], v[30:31]
	v_mov_b64_e32 v[16:17], v[32:33]
	s_delay_alu instid0(VALU_DEP_4) | instskip(NEXT) | instid1(VALU_DEP_4)
	v_add_nc_u64_e32 v[28:29], 32, v[28:29]
	v_bitop3_b32 v30, v26, v37, v27 bitop3:0x80
	v_mov_b64_e32 v[26:27], v[34:35]
	s_delay_alu instid0(VALU_DEP_2) | instskip(SKIP_1) | instid1(VALU_DEP_2)
	v_mbcnt_lo_u32_b32 v0, v30, 0
	v_cmp_ne_u32_e64 s15, 0, v30
	v_cmp_eq_u32_e64 s14, 0, v0
	s_and_b32 s15, s15, s14
	s_delay_alu instid0(SALU_CYCLE_1)
	s_and_saveexec_b32 s14, s15
; %bb.270:                              ;   in Loop: Header=BB493_269 Depth=1
	v_bcnt_u32_b32 v29, v30, 0
	ds_store_b32 v28, v29
; %bb.271:                              ;   in Loop: Header=BB493_269 Depth=1
	s_or_b32 exec_lo, exec_lo, s14
	v_not_b32_e32 v35, v36
	v_lshrrev_b32_e32 v29, v10, v103
	; wave barrier
	s_delay_alu instid0(VALU_DEP_1) | instskip(NEXT) | instid1(VALU_DEP_1)
	v_and_b32_e32 v30, v29, v35
	v_lshlrev_b32_e32 v33, 30, v30
	v_bitop3_b32 v29, v29, 1, v35 bitop3:0x80
	s_delay_alu instid0(VALU_DEP_2) | instskip(NEXT) | instid1(VALU_DEP_2)
	v_cmp_gt_i32_e64 s15, 0, v33
	v_add_co_u32 v29, s14, v29, -1
	s_delay_alu instid0(VALU_DEP_1) | instskip(NEXT) | instid1(VALU_DEP_1)
	v_cndmask_b32_e64 v32, 0, 1, s14
	v_cmp_ne_u32_e64 s14, 0, v32
	v_not_b32_e32 v32, v33
	s_delay_alu instid0(VALU_DEP_1) | instskip(SKIP_3) | instid1(VALU_DEP_4)
	v_dual_ashrrev_i32 v32, 31, v32 :: v_dual_lshlrev_b32 v34, 29, v30
	v_dual_lshlrev_b32 v36, 28, v30 :: v_dual_lshlrev_b32 v37, 27, v30
	v_lshlrev_b32_e32 v38, 26, v30
	v_lshl_add_u32 v31, v30, 3, v80
	v_cmp_gt_i32_e64 s16, 0, v34
	v_not_b32_e32 v33, v34
	v_not_b32_e32 v34, v36
	v_cmp_gt_i32_e64 s17, 0, v36
	v_xor_b32_e32 v29, s14, v29
	s_delay_alu instid0(VALU_DEP_4) | instskip(NEXT) | instid1(VALU_DEP_4)
	v_dual_ashrrev_i32 v33, 31, v33 :: v_dual_bitop2_b32 v32, s15, v32 bitop3:0x14
	v_ashrrev_i32_e32 v34, 31, v34
	v_not_b32_e32 v36, v37
	v_cmp_gt_i32_e64 s18, 0, v37
	v_not_b32_e32 v37, v38
	v_xor_b32_e32 v33, s16, v33
	v_xor_b32_e32 v34, s17, v34
	v_bitop3_b32 v29, v29, v32, exec_lo bitop3:0x80
	v_dual_ashrrev_i32 v32, 31, v36 :: v_dual_lshlrev_b32 v36, 25, v30
	v_lshlrev_b32_e32 v30, 24, v30
	v_cmp_gt_i32_e64 s14, 0, v38
	v_ashrrev_i32_e32 v37, 31, v37
	v_bitop3_b32 v29, v29, v34, v33 bitop3:0x80
	v_not_b32_e32 v33, v36
	v_not_b32_e32 v34, v30
	v_xor_b32_e32 v32, s18, v32
	v_xor_b32_e32 v37, s14, v37
	v_cmp_gt_i32_e64 s14, 0, v36
	v_ashrrev_i32_e32 v33, 31, v33
	v_cmp_gt_i32_e64 s15, 0, v30
	v_ashrrev_i32_e32 v30, 31, v34
	v_lshl_add_u32 v31, v31, 2, v12
	v_bitop3_b32 v32, v29, v37, v32 bitop3:0x80
	v_xor_b32_e32 v33, s14, v33
	s_delay_alu instid0(VALU_DEP_4) | instskip(SKIP_3) | instid1(VALU_DEP_1)
	v_xor_b32_e32 v30, s15, v30
	ds_load_b32 v29, v31 offset:32
	v_add_nc_u32_e32 v31, 32, v31
	; wave barrier
	v_bitop3_b32 v32, v32, v30, v33 bitop3:0x80
	v_mbcnt_lo_u32_b32 v30, v32, 0
	v_cmp_ne_u32_e64 s15, 0, v32
	s_delay_alu instid0(VALU_DEP_2) | instskip(SKIP_1) | instid1(SALU_CYCLE_1)
	v_cmp_eq_u32_e64 s14, 0, v30
	s_and_b32 s15, s15, s14
	s_and_saveexec_b32 s14, s15
	s_cbranch_execz .LBB493_273
; %bb.272:                              ;   in Loop: Header=BB493_269 Depth=1
	s_wait_dscnt 0x0
	v_bcnt_u32_b32 v32, v32, v29
	ds_store_b32 v31, v32
.LBB493_273:                            ;   in Loop: Header=BB493_269 Depth=1
	s_or_b32 exec_lo, exec_lo, s14
	v_lshrrev_b32_e32 v32, v10, v102
	; wave barrier
	s_delay_alu instid0(VALU_DEP_1) | instskip(NEXT) | instid1(VALU_DEP_1)
	v_and_b32_e32 v33, v32, v35
	v_lshlrev_b32_e32 v37, 30, v33
	v_bitop3_b32 v32, v32, 1, v35 bitop3:0x80
	s_delay_alu instid0(VALU_DEP_2) | instskip(NEXT) | instid1(VALU_DEP_2)
	v_cmp_gt_i32_e64 s15, 0, v37
	v_add_co_u32 v32, s14, v32, -1
	s_delay_alu instid0(VALU_DEP_1) | instskip(NEXT) | instid1(VALU_DEP_1)
	v_cndmask_b32_e64 v36, 0, 1, s14
	v_cmp_ne_u32_e64 s14, 0, v36
	v_not_b32_e32 v36, v37
	s_delay_alu instid0(VALU_DEP_1) | instskip(SKIP_3) | instid1(VALU_DEP_4)
	v_dual_ashrrev_i32 v36, 31, v36 :: v_dual_lshlrev_b32 v38, 29, v33
	v_dual_lshlrev_b32 v39, 28, v33 :: v_dual_lshlrev_b32 v48, 27, v33
	v_lshlrev_b32_e32 v49, 26, v33
	v_lshl_add_u32 v34, v33, 3, v80
	v_cmp_gt_i32_e64 s16, 0, v38
	v_not_b32_e32 v37, v38
	v_not_b32_e32 v38, v39
	v_cmp_gt_i32_e64 s17, 0, v39
	v_xor_b32_e32 v32, s14, v32
	s_delay_alu instid0(VALU_DEP_4) | instskip(NEXT) | instid1(VALU_DEP_4)
	v_dual_ashrrev_i32 v37, 31, v37 :: v_dual_bitop2_b32 v36, s15, v36 bitop3:0x14
	v_dual_ashrrev_i32 v38, 31, v38 :: v_dual_lshlrev_b32 v50, 25, v33
	v_lshlrev_b32_e32 v33, 24, v33
	v_not_b32_e32 v39, v48
	v_not_b32_e32 v51, v49
	v_xor_b32_e32 v37, s16, v37
	v_xor_b32_e32 v38, s17, v38
	v_bitop3_b32 v32, v32, v36, exec_lo bitop3:0x80
	v_cmp_gt_i32_e64 s14, 0, v48
	v_ashrrev_i32_e32 v36, 31, v39
	v_cmp_gt_i32_e64 s15, 0, v49
	v_ashrrev_i32_e32 v39, 31, v51
	v_bitop3_b32 v32, v32, v38, v37 bitop3:0x80
	v_not_b32_e32 v37, v50
	v_not_b32_e32 v38, v33
	v_xor_b32_e32 v36, s14, v36
	v_xor_b32_e32 v39, s15, v39
	v_cmp_gt_i32_e64 s14, 0, v50
	v_ashrrev_i32_e32 v37, 31, v37
	v_cmp_gt_i32_e64 s15, 0, v33
	v_ashrrev_i32_e32 v33, 31, v38
	v_lshl_add_u32 v34, v34, 2, v12
	v_bitop3_b32 v36, v32, v39, v36 bitop3:0x80
	v_xor_b32_e32 v37, s14, v37
	s_delay_alu instid0(VALU_DEP_4) | instskip(SKIP_3) | instid1(VALU_DEP_1)
	v_xor_b32_e32 v33, s15, v33
	ds_load_b32 v32, v34 offset:32
	v_add_nc_u32_e32 v34, 32, v34
	; wave barrier
	v_bitop3_b32 v36, v36, v33, v37 bitop3:0x80
	v_mbcnt_lo_u32_b32 v33, v36, 0
	v_cmp_ne_u32_e64 s15, 0, v36
	s_delay_alu instid0(VALU_DEP_2) | instskip(SKIP_1) | instid1(SALU_CYCLE_1)
	v_cmp_eq_u32_e64 s14, 0, v33
	s_and_b32 s15, s15, s14
	s_and_saveexec_b32 s14, s15
	s_cbranch_execz .LBB493_275
; %bb.274:                              ;   in Loop: Header=BB493_269 Depth=1
	s_wait_dscnt 0x0
	v_bcnt_u32_b32 v36, v36, v32
	ds_store_b32 v34, v36
.LBB493_275:                            ;   in Loop: Header=BB493_269 Depth=1
	s_or_b32 exec_lo, exec_lo, s14
	v_lshrrev_b32_e32 v36, v10, v101
	; wave barrier
	s_delay_alu instid0(VALU_DEP_1) | instskip(SKIP_1) | instid1(VALU_DEP_2)
	v_and_b32_e32 v37, v36, v35
	v_bitop3_b32 v35, v36, 1, v35 bitop3:0x80
	v_dual_lshlrev_b32 v39, 30, v37 :: v_dual_lshlrev_b32 v48, 29, v37
	s_delay_alu instid0(VALU_DEP_2) | instskip(NEXT) | instid1(VALU_DEP_1)
	v_add_co_u32 v35, s14, v35, -1
	v_cndmask_b32_e64 v38, 0, 1, s14
	v_lshlrev_b32_e32 v49, 28, v37
	s_delay_alu instid0(VALU_DEP_4) | instskip(SKIP_1) | instid1(VALU_DEP_4)
	v_cmp_gt_i32_e64 s15, 0, v39
	v_cmp_gt_i32_e64 s16, 0, v48
	v_cmp_ne_u32_e64 s14, 0, v38
	v_not_b32_e32 v38, v39
	v_not_b32_e32 v39, v48
	v_not_b32_e32 v48, v49
	s_delay_alu instid0(VALU_DEP_3) | instskip(NEXT) | instid1(VALU_DEP_2)
	v_dual_ashrrev_i32 v38, 31, v38 :: v_dual_bitop2_b32 v35, s14, v35 bitop3:0x14
	v_dual_ashrrev_i32 v39, 31, v39 :: v_dual_ashrrev_i32 v48, 31, v48
	v_lshl_add_u32 v36, v37, 3, v80
	v_dual_lshlrev_b32 v50, 27, v37 :: v_dual_lshlrev_b32 v51, 26, v37
	v_dual_lshlrev_b32 v52, 25, v37 :: v_dual_lshlrev_b32 v37, 24, v37
	v_cmp_gt_i32_e64 s17, 0, v49
	v_xor_b32_e32 v38, s15, v38
	s_delay_alu instid0(VALU_DEP_4)
	v_not_b32_e32 v49, v50
	v_not_b32_e32 v53, v51
	v_xor_b32_e32 v39, s16, v39
	v_xor_b32_e32 v48, s17, v48
	v_bitop3_b32 v35, v35, v38, exec_lo bitop3:0x80
	v_cmp_gt_i32_e64 s14, 0, v50
	v_ashrrev_i32_e32 v38, 31, v49
	v_cmp_gt_i32_e64 s15, 0, v51
	v_ashrrev_i32_e32 v49, 31, v53
	v_bitop3_b32 v35, v35, v48, v39 bitop3:0x80
	v_not_b32_e32 v39, v52
	v_not_b32_e32 v48, v37
	v_xor_b32_e32 v38, s14, v38
	v_xor_b32_e32 v49, s15, v49
	v_cmp_gt_i32_e64 s14, 0, v52
	v_ashrrev_i32_e32 v39, 31, v39
	v_cmp_gt_i32_e64 s15, 0, v37
	v_ashrrev_i32_e32 v37, 31, v48
	v_lshl_add_u32 v36, v36, 2, v12
	v_bitop3_b32 v38, v35, v49, v38 bitop3:0x80
	v_xor_b32_e32 v39, s14, v39
	s_delay_alu instid0(VALU_DEP_4) | instskip(SKIP_3) | instid1(VALU_DEP_1)
	v_xor_b32_e32 v37, s15, v37
	ds_load_b32 v35, v36 offset:32
	v_add_nc_u32_e32 v36, 32, v36
	; wave barrier
	v_bitop3_b32 v37, v38, v37, v39 bitop3:0x80
	v_mbcnt_lo_u32_b32 v48, v37, 0
	v_cmp_ne_u32_e64 s15, 0, v37
	s_delay_alu instid0(VALU_DEP_2) | instskip(SKIP_1) | instid1(SALU_CYCLE_1)
	v_cmp_eq_u32_e64 s14, 0, v48
	s_and_b32 s15, s15, s14
	s_and_saveexec_b32 s14, s15
	s_cbranch_execz .LBB493_277
; %bb.276:                              ;   in Loop: Header=BB493_269 Depth=1
	s_wait_dscnt 0x0
	v_bcnt_u32_b32 v37, v37, v35
	ds_store_b32 v36, v37
.LBB493_277:                            ;   in Loop: Header=BB493_269 Depth=1
	s_or_b32 exec_lo, exec_lo, s14
	; wave barrier
	s_wait_dscnt 0x0
	s_barrier_signal -1
	s_barrier_wait -1
	ds_load_b32 v38, v19
	ds_load_b32 v39, v23
	;; [unrolled: 1-line block ×8, first 2 shown]
	s_wait_dscnt 0x6
	v_add_nc_u32_e32 v54, v39, v38
	s_wait_dscnt 0x4
	s_delay_alu instid0(VALU_DEP_1) | instskip(SKIP_1) | instid1(VALU_DEP_1)
	v_add3_u32 v54, v54, v49, v50
	s_wait_dscnt 0x2
	v_add3_u32 v54, v54, v51, v52
	s_wait_dscnt 0x0
	s_delay_alu instid0(VALU_DEP_1) | instskip(NEXT) | instid1(VALU_DEP_1)
	v_add3_u32 v53, v54, v37, v53
	v_mov_b32_dpp v54, v53 row_shr:1 row_mask:0xf bank_mask:0xf
	s_delay_alu instid0(VALU_DEP_1) | instskip(NEXT) | instid1(VALU_DEP_1)
	v_cndmask_b32_e64 v54, v54, 0, vcc_lo
	v_add_nc_u32_e32 v53, v54, v53
	s_delay_alu instid0(VALU_DEP_1) | instskip(NEXT) | instid1(VALU_DEP_1)
	v_mov_b32_dpp v54, v53 row_shr:2 row_mask:0xf bank_mask:0xf
	v_cndmask_b32_e64 v54, 0, v54, s0
	s_delay_alu instid0(VALU_DEP_1) | instskip(NEXT) | instid1(VALU_DEP_1)
	v_add_nc_u32_e32 v53, v53, v54
	v_mov_b32_dpp v54, v53 row_shr:4 row_mask:0xf bank_mask:0xf
	s_delay_alu instid0(VALU_DEP_1) | instskip(NEXT) | instid1(VALU_DEP_1)
	v_cndmask_b32_e64 v54, 0, v54, s1
	v_add_nc_u32_e32 v53, v53, v54
	s_delay_alu instid0(VALU_DEP_1) | instskip(NEXT) | instid1(VALU_DEP_1)
	v_mov_b32_dpp v54, v53 row_shr:8 row_mask:0xf bank_mask:0xf
	v_cndmask_b32_e64 v54, 0, v54, s3
	s_delay_alu instid0(VALU_DEP_1) | instskip(SKIP_3) | instid1(VALU_DEP_1)
	v_add_nc_u32_e32 v53, v53, v54
	ds_swizzle_b32 v54, v53 offset:swizzle(BROADCAST,32,15)
	s_wait_dscnt 0x0
	v_cndmask_b32_e64 v54, v54, 0, s4
	v_add_nc_u32_e32 v53, v53, v54
	s_and_saveexec_b32 s14, s5
; %bb.278:                              ;   in Loop: Header=BB493_269 Depth=1
	ds_store_b32 v82, v53
; %bb.279:                              ;   in Loop: Header=BB493_269 Depth=1
	s_or_b32 exec_lo, exec_lo, s14
	s_wait_dscnt 0x0
	s_barrier_signal -1
	s_barrier_wait -1
	s_and_saveexec_b32 s14, s6
	s_cbranch_execz .LBB493_281
; %bb.280:                              ;   in Loop: Header=BB493_269 Depth=1
	ds_load_b32 v54, v4
	s_wait_dscnt 0x0
	v_mov_b32_dpp v55, v54 row_shr:1 row_mask:0xf bank_mask:0xf
	s_delay_alu instid0(VALU_DEP_1) | instskip(NEXT) | instid1(VALU_DEP_1)
	v_cndmask_b32_e64 v55, v55, 0, s11
	v_add_nc_u32_e32 v54, v55, v54
	s_delay_alu instid0(VALU_DEP_1) | instskip(NEXT) | instid1(VALU_DEP_1)
	v_mov_b32_dpp v55, v54 row_shr:2 row_mask:0xf bank_mask:0xf
	v_cndmask_b32_e64 v55, 0, v55, s12
	s_delay_alu instid0(VALU_DEP_1) | instskip(NEXT) | instid1(VALU_DEP_1)
	v_add_nc_u32_e32 v54, v54, v55
	v_mov_b32_dpp v55, v54 row_shr:4 row_mask:0xf bank_mask:0xf
	s_delay_alu instid0(VALU_DEP_1) | instskip(NEXT) | instid1(VALU_DEP_1)
	v_cndmask_b32_e64 v55, 0, v55, s13
	v_add_nc_u32_e32 v54, v54, v55
	ds_store_b32 v4, v54
.LBB493_281:                            ;   in Loop: Header=BB493_269 Depth=1
	s_or_b32 exec_lo, exec_lo, s14
	v_mov_b32_e32 v54, 0
	s_wait_dscnt 0x0
	s_barrier_signal -1
	s_barrier_wait -1
	s_and_saveexec_b32 s14, s7
; %bb.282:                              ;   in Loop: Header=BB493_269 Depth=1
	ds_load_b32 v54, v84
; %bb.283:                              ;   in Loop: Header=BB493_269 Depth=1
	s_or_b32 exec_lo, exec_lo, s14
	s_wait_dscnt 0x0
	v_add_nc_u32_e32 v53, v54, v53
	s_mov_b32 s16, -1
	s_mov_b32 s15, exec_lo
	v_add_nc_u32_e32 v10, 8, v10
	ds_bpermute_b32 v53, v81, v53
	s_wait_dscnt 0x0
	v_cndmask_b32_e64 v53, v53, v54, s2
	s_delay_alu instid0(VALU_DEP_1) | instskip(NEXT) | instid1(VALU_DEP_1)
	v_cndmask_b32_e64 v53, v53, 0, s10
	v_add_nc_u32_e32 v38, v53, v38
	s_delay_alu instid0(VALU_DEP_1) | instskip(NEXT) | instid1(VALU_DEP_1)
	v_add_nc_u32_e32 v39, v38, v39
	v_add_nc_u32_e32 v49, v39, v49
	ds_store_b32 v19, v53
	ds_store_b32 v23, v38
	;; [unrolled: 1-line block ×3, first 2 shown]
	v_mov_b32_e32 v39, v1
	v_add_nc_u32_e32 v50, v49, v50
	s_delay_alu instid0(VALU_DEP_1) | instskip(NEXT) | instid1(VALU_DEP_1)
	v_add_nc_u32_e32 v51, v50, v51
	v_add_nc_u32_e32 v52, v51, v52
	s_delay_alu instid0(VALU_DEP_1)
	v_add_nc_u32_e32 v37, v52, v37
	ds_store_b32 v67, v49
	ds_store_b32 v68, v50
	;; [unrolled: 1-line block ×5, first 2 shown]
	s_wait_dscnt 0x0
	s_barrier_signal -1
	s_barrier_wait -1
	ds_load_b32 v28, v28
	ds_load_b32 v31, v31
	;; [unrolled: 1-line block ×4, first 2 shown]
	v_dual_mov_b32 v37, v1 :: v_dual_mov_b32 v49, v1
	s_wait_dscnt 0x0
	v_add_nc_u32_e32 v0, v28, v0
	v_add3_u32 v36, v30, v29, v31
	v_add3_u32 v38, v33, v32, v34
	;; [unrolled: 1-line block ×3, first 2 shown]
                                        ; implicit-def: $vgpr28_vgpr29
                                        ; implicit-def: $vgpr30_vgpr31
                                        ; implicit-def: $vgpr32_vgpr33
                                        ; implicit-def: $vgpr34_vgpr35
	s_delay_alu instid0(VALU_DEP_4) | instskip(NEXT) | instid1(VALU_DEP_4)
	v_lshl_add_u64 v[64:65], v[0:1], 2, v[12:13]
	v_lshl_add_u64 v[54:55], v[36:37], 2, v[12:13]
	s_delay_alu instid0(VALU_DEP_4) | instskip(NEXT) | instid1(VALU_DEP_4)
	v_lshl_add_u64 v[52:53], v[38:39], 2, v[12:13]
	v_lshl_add_u64 v[50:51], v[48:49], 2, v[12:13]
                                        ; implicit-def: $vgpr49
                                        ; implicit-def: $vgpr39
                                        ; implicit-def: $vgpr37
                                        ; implicit-def: $vgpr51
	v_cmpx_lt_u32_e64 v10, v11
	s_cbranch_execz .LBB493_268
; %bb.284:                              ;   in Loop: Header=BB493_269 Depth=1
	v_lshl_add_u32 v28, v0, 2, v64
	v_lshl_add_u32 v29, v36, 2, v54
	;; [unrolled: 1-line block ×4, first 2 shown]
	s_barrier_signal -1
	s_barrier_wait -1
	ds_store_b32 v64, v100
	ds_store_b32 v54, v103
	ds_store_b32 v52, v102
	ds_store_b32 v50, v101
	s_wait_dscnt 0x0
	s_barrier_signal -1
	s_barrier_wait -1
	ds_load_b32 v51, v83
	ds_load_b32 v37, v85
	;; [unrolled: 1-line block ×4, first 2 shown]
	s_wait_dscnt 0x0
	s_barrier_signal -1
	s_barrier_wait -1
	ds_store_b64 v28, v[24:25]
	ds_store_b64 v29, v[20:21]
	;; [unrolled: 1-line block ×4, first 2 shown]
	s_wait_dscnt 0x0
	s_barrier_signal -1
	s_barrier_wait -1
	ds_load_b64 v[28:29], v5
	ds_load_b64 v[30:31], v96
	;; [unrolled: 1-line block ×4, first 2 shown]
	v_add_nc_u32_e32 v99, -8, v99
	s_xor_b32 s16, exec_lo, -1
	s_wait_dscnt 0x0
	s_barrier_signal -1
	s_barrier_wait -1
	s_branch .LBB493_268
.LBB493_285:
	flat_load_b64 v[52:53], v[0:1]
	s_wait_xcnt 0x0
	s_or_b32 exec_lo, exec_lo, s7
                                        ; implicit-def: $vgpr64_vgpr65
	s_and_saveexec_b32 s7, s0
	s_cbranch_execz .LBB493_163
.LBB493_286:
	flat_load_b64 v[64:65], v[0:1] offset:256
	s_wait_xcnt 0x0
	s_or_b32 exec_lo, exec_lo, s7
                                        ; implicit-def: $vgpr36_vgpr37
	s_and_saveexec_b32 s0, s1
	s_cbranch_execz .LBB493_164
.LBB493_287:
	flat_load_b64 v[36:37], v[0:1] offset:512
	s_wait_xcnt 0x0
	s_or_b32 exec_lo, exec_lo, s0
                                        ; implicit-def: $vgpr38_vgpr39
	s_and_saveexec_b32 s0, s2
	s_cbranch_execz .LBB493_165
.LBB493_288:
	flat_load_b64 v[38:39], v[0:1] offset:768
	s_wait_xcnt 0x0
	s_or_b32 exec_lo, exec_lo, s0
                                        ; implicit-def: $vgpr48_vgpr49
	s_and_saveexec_b32 s0, s3
	s_cbranch_execz .LBB493_166
.LBB493_289:
	flat_load_b64 v[48:49], v[0:1] offset:1024
	s_wait_xcnt 0x0
	s_or_b32 exec_lo, exec_lo, s0
                                        ; implicit-def: $vgpr50_vgpr51
	s_and_saveexec_b32 s0, s4
	s_cbranch_execz .LBB493_167
.LBB493_290:
	flat_load_b64 v[50:51], v[0:1] offset:1280
	s_wait_xcnt 0x0
	s_or_b32 exec_lo, exec_lo, s0
                                        ; implicit-def: $vgpr54_vgpr55
	s_and_saveexec_b32 s0, s5
	s_cbranch_execz .LBB493_168
.LBB493_291:
	flat_load_b64 v[54:55], v[0:1] offset:1536
	s_wait_xcnt 0x0
	s_or_b32 exec_lo, exec_lo, s0
                                        ; implicit-def: $vgpr66_vgpr67
	s_and_saveexec_b32 s0, s6
	s_cbranch_execnz .LBB493_169
	s_branch .LBB493_170
.LBB493_292:
	flat_store_b64 v[0:1], v[22:23]
	s_wait_xcnt 0x0
	s_or_b32 exec_lo, exec_lo, s7
	s_and_saveexec_b32 s7, s0
	s_cbranch_execz .LBB493_244
.LBB493_293:
	flat_store_b64 v[0:1], v[24:25] offset:2048
	s_wait_xcnt 0x0
	s_or_b32 exec_lo, exec_lo, s7
	s_and_saveexec_b32 s0, s1
	s_cbranch_execz .LBB493_245
.LBB493_294:
	flat_store_b64 v[0:1], v[18:19] offset:4096
	s_wait_xcnt 0x0
	s_or_b32 exec_lo, exec_lo, s0
	s_and_saveexec_b32 s0, s2
	s_cbranch_execz .LBB493_246
.LBB493_295:
	flat_store_b64 v[0:1], v[20:21] offset:6144
	s_wait_xcnt 0x0
	s_or_b32 exec_lo, exec_lo, s0
	s_and_saveexec_b32 s0, s3
	s_cbranch_execz .LBB493_247
.LBB493_296:
	flat_store_b64 v[0:1], v[14:15] offset:8192
	s_wait_xcnt 0x0
	s_or_b32 exec_lo, exec_lo, s0
	s_and_saveexec_b32 s0, s4
	s_cbranch_execz .LBB493_248
.LBB493_297:
	flat_store_b64 v[0:1], v[16:17] offset:10240
	s_wait_xcnt 0x0
	s_or_b32 exec_lo, exec_lo, s0
	s_and_saveexec_b32 s0, s5
	s_cbranch_execz .LBB493_249
.LBB493_298:
	flat_store_b64 v[0:1], v[10:11] offset:12288
	s_wait_xcnt 0x0
	s_or_b32 exec_lo, exec_lo, s0
	s_and_saveexec_b32 s0, s6
	s_cbranch_execnz .LBB493_250
	s_branch .LBB493_251
.LBB493_299:
	s_or_b32 exec_lo, exec_lo, s23
	v_lshl_add_u32 v0, v0, 2, v64
	v_lshl_add_u32 v1, v36, 2, v54
	;; [unrolled: 1-line block ×4, first 2 shown]
	s_barrier_signal -1
	s_barrier_wait -1
	ds_store_b32 v64, v100
	ds_store_b32 v54, v103
	;; [unrolled: 1-line block ×4, first 2 shown]
	s_wait_dscnt 0x0
	s_barrier_signal -1
	s_barrier_wait -1
	ds_load_2addr_stride64_b32 v[28:29], v4 offset1:4
	ds_load_2addr_stride64_b32 v[4:5], v4 offset0:8 offset1:12
	s_wait_dscnt 0x0
	s_barrier_signal -1
	s_barrier_wait -1
	ds_store_b64 v0, v[24:25]
	ds_store_b64 v1, v[20:21]
	;; [unrolled: 1-line block ×4, first 2 shown]
	v_lshl_add_u32 v0, v22, 3, v12
	s_wait_dscnt 0x0
	s_barrier_signal -1
	s_barrier_wait -1
	ds_load_2addr_stride64_b64 v[14:17], v0 offset1:4
	ds_load_2addr_stride64_b64 v[10:13], v0 offset0:8 offset1:12
	v_lshl_add_u64 v[0:1], v[8:9], 2, v[2:3]
	v_mov_b32_e32 v19, 0
	s_set_vgpr_msb 4                        ;  msbs: dst=0 src0=0 src1=1 src2=0
	v_cmp_lt_u32_e32 vcc_lo, v18, v2 /*v258*/
	s_wait_dscnt 0x0
	s_barrier_signal -1
	s_barrier_wait -1
	v_lshl_add_u64 v[0:1], v[18:19], 2, v[0:1]
	s_and_saveexec_b32 s0, vcc_lo
	s_set_vgpr_msb 0                        ;  msbs: dst=0 src0=0 src1=0 src2=0
	s_cbranch_execz .LBB493_301
; %bb.300:
	v_xor_b32_e32 v2, 0x7fffffff, v28
	flat_store_b32 v[0:1], v2
.LBB493_301:
	s_wait_xcnt 0x0
	s_or_b32 exec_lo, exec_lo, s0
	v_add_nc_u32_e32 v2, 0x100, v18
	s_set_vgpr_msb 4                        ;  msbs: dst=0 src0=0 src1=1 src2=0
	s_delay_alu instid0(VALU_DEP_1)
	v_cmp_lt_u32_e64 s0, v2, v2 /*v258*/
	s_and_saveexec_b32 s1, s0
	s_set_vgpr_msb 0                        ;  msbs: dst=0 src0=0 src1=0 src2=0
	s_cbranch_execz .LBB493_303
; %bb.302:
	v_xor_b32_e32 v2, 0x7fffffff, v29
	flat_store_b32 v[0:1], v2 offset:1024
.LBB493_303:
	s_wait_xcnt 0x0
	s_or_b32 exec_lo, exec_lo, s1
	v_add_nc_u32_e32 v2, 0x200, v18
	s_set_vgpr_msb 4                        ;  msbs: dst=0 src0=0 src1=1 src2=0
	s_delay_alu instid0(VALU_DEP_1)
	v_cmp_lt_u32_e64 s1, v2, v2 /*v258*/
	s_and_saveexec_b32 s2, s1
	s_set_vgpr_msb 0                        ;  msbs: dst=0 src0=0 src1=0 src2=0
	s_cbranch_execz .LBB493_305
; %bb.304:
	v_xor_b32_e32 v2, 0x7fffffff, v4
	flat_store_b32 v[0:1], v2 offset:2048
.LBB493_305:
	;; [unrolled: 13-line block ×3, first 2 shown]
	s_wait_xcnt 0x0
	s_or_b32 exec_lo, exec_lo, s3
	v_lshl_add_u64 v[0:1], v[8:9], 3, v[6:7]
	s_delay_alu instid0(VALU_DEP_1)
	v_lshl_add_u64 v[0:1], v[18:19], 3, v[0:1]
	s_and_saveexec_b32 s3, vcc_lo
	s_cbranch_execnz .LBB493_340
; %bb.308:
	s_or_b32 exec_lo, exec_lo, s3
	s_and_saveexec_b32 s3, s0
	s_cbranch_execnz .LBB493_341
.LBB493_309:
	s_or_b32 exec_lo, exec_lo, s3
	s_and_saveexec_b32 s0, s1
	s_cbranch_execnz .LBB493_342
.LBB493_310:
	s_or_b32 exec_lo, exec_lo, s0
	s_and_saveexec_b32 s0, s2
	s_cbranch_execz .LBB493_312
.LBB493_311:
	flat_store_b64 v[0:1], v[12:13] offset:6144
.LBB493_312:
	s_wait_xcnt 0x0
	s_or_b32 exec_lo, exec_lo, s0
                                        ; implicit-def: $vgpr258
                                        ; implicit-def: $vgpr8
                                        ; implicit-def: $vgpr10
                                        ; implicit-def: $vgpr11
                                        ; implicit-def: $vgpr0_vgpr1
                                        ; implicit-def: $vgpr2_vgpr3
                                        ; implicit-def: $vgpr4_vgpr5
                                        ; implicit-def: $vgpr6_vgpr7
                                        ; implicit-def: $vgpr12_vgpr13
                                        ; implicit-def: $vgpr9
                                        ; implicit-def: $vgpr14
                                        ; implicit-def: $vgpr22
                                        ; implicit-def: $vgpr98
.LBB493_313:
	s_and_not1_saveexec_b32 s0, s21
	s_cbranch_execz .LBB493_372
; %bb.314:
	s_load_b64 s[0:1], s[8:9], 0x0
	s_bfe_u32 s3, ttmp6, 0x4000c
	s_bfe_u32 s5, ttmp6, 0x40010
	s_and_b32 s4, ttmp7, 0xffff
	s_add_co_i32 s3, s3, 1
	s_add_co_i32 s5, s5, 1
	s_and_b32 s2, ttmp6, 15
	s_bfe_u32 s6, ttmp6, 0x40004
	s_mul_i32 s3, ttmp9, s3
	s_mul_i32 s5, s4, s5
	s_add_co_i32 s2, s2, s3
	s_add_co_i32 s6, s6, s5
	s_cmp_eq_u32 s20, 0
	s_cselect_b32 s2, ttmp9, s2
	s_cselect_b32 s3, s4, s6
	s_wait_kmcnt 0x0
	s_cmp_lt_u32 s2, s0
	s_cselect_b32 s0, 12, 18
	s_cmp_lt_u32 s3, s1
	s_mov_b32 s1, 0
	s_cselect_b32 s2, 14, 20
	s_mov_b32 s3, s1
	s_add_nc_u64 s[0:1], s[8:9], s[0:1]
	s_add_nc_u64 s[2:3], s[8:9], s[2:3]
	s_clause 0x1
	s_load_u16 s0, s[0:1], 0x0
	s_nop 0
	s_load_u16 s2, s[2:3], 0x0
	s_wait_kmcnt 0x0
	v_mad_u32_u24 v9, v14, s2, v9
	s_delay_alu instid0(VALU_DEP_1)
	v_mad_u32 v14, v9, s0, v22
	v_mov_b32_e32 v9, 0
	s_mov_b32 s0, exec_lo
	s_set_vgpr_msb 4                        ;  msbs: dst=0 src0=0 src1=1 src2=0
	v_cmpx_lt_u32_e32 0x100, v2 /*v258*/
	s_xor_b32 s18, exec_lo, s0
	s_set_vgpr_msb 0                        ;  msbs: dst=0 src0=0 src1=0 src2=0
	s_cbranch_execz .LBB493_352
; %bb.315:
	s_delay_alu instid0(VALU_DEP_3) | instskip(SKIP_2) | instid1(VALU_DEP_3)
	v_dual_lshlrev_b32 v15, 1, v14 :: v_dual_mov_b32 v19, v9
	v_lshl_add_u64 v[0:1], v[8:9], 2, v[0:1]
	v_dual_mov_b32 v17, v9 :: v_dual_lshlrev_b32 v18, 2, v98
	v_and_b32_e32 v16, 0xffffffc0, v15
	s_delay_alu instid0(VALU_DEP_2) | instskip(SKIP_1) | instid1(VALU_DEP_3)
	v_add_nc_u64_e32 v[18:19], v[0:1], v[18:19]
	v_mov_b64_e32 v[0:1], 0x8000000080000000
	v_or_b32_e32 v15, v98, v16
	s_delay_alu instid0(VALU_DEP_3) | instskip(SKIP_1) | instid1(VALU_DEP_2)
	v_lshl_add_u64 v[18:19], v[16:17], 2, v[18:19]
	s_set_vgpr_msb 4                        ;  msbs: dst=0 src0=0 src1=1 src2=0
	v_cmp_lt_u32_e32 vcc_lo, v15, v2 /*v258*/
	s_and_saveexec_b32 s0, vcc_lo
	s_set_vgpr_msb 0                        ;  msbs: dst=0 src0=0 src1=0 src2=0
	s_cbranch_execz .LBB493_317
; %bb.316:
	flat_load_b32 v0, v[18:19]
	v_bfrev_b32_e32 v1, 1
.LBB493_317:
	s_wait_xcnt 0x0
	s_or_b32 exec_lo, exec_lo, s0
	v_or_b32_e32 v15, 32, v15
	s_set_vgpr_msb 4                        ;  msbs: dst=0 src0=0 src1=1 src2=0
	s_delay_alu instid0(VALU_DEP_1)
	v_cmp_lt_u32_e64 s0, v15, v2 /*v258*/
	s_and_saveexec_b32 s1, s0
	s_set_vgpr_msb 0                        ;  msbs: dst=0 src0=0 src1=0 src2=0
	s_cbranch_execz .LBB493_319
; %bb.318:
	flat_load_b32 v1, v[18:19] offset:128
.LBB493_319:
	s_wait_xcnt 0x0
	s_or_b32 exec_lo, exec_lo, s1
	v_lshl_add_u64 v[4:5], v[8:9], 3, v[4:5]
	v_dual_mov_b32 v19, 0 :: v_dual_lshlrev_b32 v18, 3, v98
	v_mov_b64_e32 v[26:27], 0
	v_mov_b64_e32 v[24:25], 0
	s_delay_alu instid0(VALU_DEP_3) | instskip(NEXT) | instid1(VALU_DEP_1)
	v_add_nc_u64_e32 v[4:5], v[4:5], v[18:19]
	v_lshl_add_u64 v[4:5], v[16:17], 3, v[4:5]
	s_and_saveexec_b32 s1, vcc_lo
	s_cbranch_execz .LBB493_321
; %bb.320:
	flat_load_b64 v[24:25], v[4:5]
.LBB493_321:
	s_wait_xcnt 0x0
	s_or_b32 exec_lo, exec_lo, s1
	s_and_saveexec_b32 s1, s0
	s_cbranch_execz .LBB493_323
; %bb.322:
	flat_load_b64 v[26:27], v[4:5] offset:256
.LBB493_323:
	s_wait_xcnt 0x0
	s_or_b32 exec_lo, exec_lo, s1
	s_wait_loadcnt_dscnt 0x0
	v_xor_b32_e32 v31, 0x7fffffff, v0
	v_and_b32_e32 v0, 0x3e0, v22
	v_lshl_add_u32 v4, v22, 5, v12
	v_xor_b32_e32 v29, 0x7fffffff, v1
	v_and_b32_e32 v1, 15, v98
	s_get_pc_i64 s[0:1]
	s_add_nc_u64 s[0:1], s[0:1], _ZN7rocprim17ROCPRIM_400000_NS16block_radix_sortIiLj256ELj2ElLj1ELj1ELj8ELNS0_26block_radix_rank_algorithmE2ELNS0_18block_padding_hintE2ELNS0_4arch9wavefront6targetE0EE19radix_bits_per_passE@rel64+4
	v_min_u32_e32 v0, 0xe0, v0
	v_sub_co_u32 v5, s2, v98, 1
	s_load_b32 s20, s[0:1], 0x0
	v_add_nc_u32_e32 v38, 56, v4
	v_cmp_eq_u32_e32 vcc_lo, 0, v1
	s_wait_xcnt 0x0
	v_cmp_lt_u32_e64 s0, 1, v1
	v_cmp_lt_u32_e64 s1, 3, v1
	v_or_b32_e32 v0, 31, v0
	v_cmp_lt_u32_e64 s3, 7, v1
	v_dual_lshlrev_b32 v1, 1, v22 :: v_dual_add_nc_u32 v15, 32, v4
	v_dual_add_nc_u32 v23, 36, v4 :: v_dual_add_nc_u32 v34, 40, v4
	v_dual_add_nc_u32 v35, 44, v4 :: v_dual_add_nc_u32 v36, 48, v4
	;; [unrolled: 1-line block ×3, first 2 shown]
	v_lshrrev_b32_e32 v48, 5, v14
	v_cmp_gt_i32_e64 s6, 0, v5
	v_and_b32_e32 v4, 16, v98
	v_and_or_b32 v1, 0x7c0, v1, v98
	v_cmp_eq_u32_e64 s5, v22, v0
	v_cmp_lt_u32_e64 s7, 31, v22
	v_cndmask_b32_e64 v0, v5, v98, s6
	v_cmp_eq_u32_e64 s4, 0, v4
	v_dual_lshrrev_b32 v4, 3, v22 :: v_dual_lshlrev_b32 v16, 2, v1
	s_delay_alu instid0(VALU_DEP_3) | instskip(SKIP_1) | instid1(VALU_DEP_3)
	v_dual_mov_b32 v1, 0 :: v_dual_lshlrev_b32 v49, 2, v0
	v_lshlrev_b32_e32 v0, 2, v22
	v_and_b32_e32 v4, 0x7c, v4
	s_delay_alu instid0(VALU_DEP_4) | instskip(SKIP_2) | instid1(VALU_DEP_4)
	v_dual_add_nc_u32 v50, v12, v16 :: v_dual_bitop2_b32 v17, 7, v98 bitop3:0x40
	v_cmp_gt_u32_e64 s6, 8, v22
	v_cmp_eq_u32_e64 s8, 0, v22
	v_add_nc_u32_e32 v51, v12, v4
	v_add_nc_u64_e32 v[4:5], v[12:13], v[0:1]
	v_add_nc_u32_e32 v5, v50, v16
	v_cmp_eq_u32_e64 s9, 0, v17
	v_cmp_lt_u32_e64 s10, 1, v17
	v_cmp_lt_u32_e64 s11, 3, v17
	v_mov_b64_e32 v[16:17], 0
	v_add_nc_u32_e32 v52, -4, v51
	v_add_nc_u32_e32 v53, 0x80, v50
	v_add_nc_u32_e32 v54, 0x100, v5
	v_sub_nc_u32_e32 v55, v11, v10
	s_mov_b32 s21, 0
	s_wait_storecnt 0x0
	s_barrier_signal -1
	s_barrier_wait -1
	s_branch .LBB493_325
.LBB493_324:                            ;   in Loop: Header=BB493_325 Depth=1
	s_or_b32 exec_lo, exec_lo, s13
	s_delay_alu instid0(SALU_CYCLE_1) | instskip(NEXT) | instid1(SALU_CYCLE_1)
	s_and_b32 s12, exec_lo, s14
	s_or_b32 s21, s12, s21
	s_delay_alu instid0(SALU_CYCLE_1)
	s_and_not1_b32 exec_lo, exec_lo, s21
	s_cbranch_execz .LBB493_343
.LBB493_325:                            ; =>This Inner Loop Header: Depth=1
	s_wait_kmcnt 0x0
	v_min_u32_e32 v0, s20, v55
	v_mov_b32_e32 v64, v31
	ds_store_b64 v15, v[16:17]
	ds_store_b64 v34, v[16:17]
	;; [unrolled: 1-line block ×4, first 2 shown]
	s_wait_dscnt 0x0
	v_lshlrev_b32_e64 v28, v0, -1
	v_lshrrev_b32_e32 v0, v10, v64
	s_barrier_signal -1
	s_barrier_wait -1
	s_delay_alu instid0(VALU_DEP_1) | instskip(SKIP_1) | instid1(VALU_DEP_2)
	v_bitop3_b32 v18, v0, 1, v28 bitop3:0x40
	v_bitop3_b32 v0, v0, v28, v0 bitop3:0x30
	; wave barrier
	v_add_co_u32 v18, s12, v18, -1
	s_delay_alu instid0(VALU_DEP_1) | instskip(NEXT) | instid1(VALU_DEP_3)
	v_cndmask_b32_e64 v19, 0, 1, s12
	v_dual_lshlrev_b32 v20, 30, v0 :: v_dual_lshlrev_b32 v21, 29, v0
	v_dual_lshlrev_b32 v30, 28, v0 :: v_dual_lshlrev_b32 v31, 27, v0
	v_lshlrev_b32_e32 v32, 26, v0
	s_delay_alu instid0(VALU_DEP_4) | instskip(NEXT) | instid1(VALU_DEP_4)
	v_cmp_ne_u32_e64 s12, 0, v19
	v_not_b32_e32 v19, v20
	v_cmp_gt_i32_e64 s13, 0, v20
	v_cmp_gt_i32_e64 s14, 0, v21
	v_not_b32_e32 v20, v21
	v_not_b32_e32 v21, v30
	v_dual_ashrrev_i32 v19, 31, v19 :: v_dual_lshlrev_b32 v33, 25, v0
	v_lshlrev_b32_e32 v65, 24, v0
	v_cmp_gt_i32_e64 s15, 0, v30
	v_cmp_gt_i32_e64 s16, 0, v31
	v_not_b32_e32 v30, v31
	v_dual_ashrrev_i32 v20, 31, v20 :: v_dual_bitop2_b32 v18, s12, v18 bitop3:0x14
	v_dual_ashrrev_i32 v21, 31, v21 :: v_dual_bitop2_b32 v19, s13, v19 bitop3:0x14
	v_not_b32_e32 v31, v32
	v_cmp_gt_i32_e64 s17, 0, v32
	s_delay_alu instid0(VALU_DEP_4) | instskip(NEXT) | instid1(VALU_DEP_4)
	v_dual_ashrrev_i32 v30, 31, v30 :: v_dual_bitop2_b32 v20, s14, v20 bitop3:0x14
	v_xor_b32_e32 v21, s15, v21
	v_bitop3_b32 v18, v18, v19, exec_lo bitop3:0x80
	v_ashrrev_i32_e32 v19, 31, v31
	v_not_b32_e32 v31, v33
	v_not_b32_e32 v32, v65
	v_xor_b32_e32 v30, s16, v30
	v_bitop3_b32 v18, v18, v21, v20 bitop3:0x80
	v_xor_b32_e32 v19, s17, v19
	v_cmp_gt_i32_e64 s12, 0, v33
	v_ashrrev_i32_e32 v20, 31, v31
	v_cmp_gt_i32_e64 s13, 0, v65
	v_ashrrev_i32_e32 v21, 31, v32
	v_bitop3_b32 v30, v18, v19, v30 bitop3:0x80
	s_delay_alu instid0(VALU_DEP_4) | instskip(SKIP_1) | instid1(VALU_DEP_4)
	v_dual_mov_b32 v65, v29 :: v_dual_bitop2_b32 v20, s12, v20 bitop3:0x14
	v_mov_b64_e32 v[18:19], v[26:27]
	v_xor_b32_e32 v21, s13, v21
	v_lshl_add_u32 v0, v0, 3, v48
	s_delay_alu instid0(VALU_DEP_2) | instskip(SKIP_1) | instid1(VALU_DEP_3)
	v_bitop3_b32 v26, v30, v21, v20 bitop3:0x80
	v_mov_b64_e32 v[20:21], v[24:25]
	v_lshl_add_u64 v[24:25], v[0:1], 2, v[12:13]
	s_delay_alu instid0(VALU_DEP_3) | instskip(SKIP_1) | instid1(VALU_DEP_3)
	v_mbcnt_lo_u32_b32 v0, v26, 0
	v_cmp_ne_u32_e64 s13, 0, v26
	v_add_nc_u64_e32 v[24:25], 32, v[24:25]
	s_delay_alu instid0(VALU_DEP_3) | instskip(SKIP_1) | instid1(SALU_CYCLE_1)
	v_cmp_eq_u32_e64 s12, 0, v0
	s_and_b32 s13, s13, s12
	s_and_saveexec_b32 s12, s13
; %bb.326:                              ;   in Loop: Header=BB493_325 Depth=1
	v_bcnt_u32_b32 v25, v26, 0
	ds_store_b32 v24, v25
; %bb.327:                              ;   in Loop: Header=BB493_325 Depth=1
	s_or_b32 exec_lo, exec_lo, s12
	v_not_b32_e32 v25, v28
	v_lshrrev_b32_e32 v26, v10, v65
	; wave barrier
	s_delay_alu instid0(VALU_DEP_1) | instskip(NEXT) | instid1(VALU_DEP_1)
	v_and_b32_e32 v27, v26, v25
	v_lshlrev_b32_e32 v29, 30, v27
	v_bitop3_b32 v25, v26, 1, v25 bitop3:0x80
	s_delay_alu instid0(VALU_DEP_2) | instskip(NEXT) | instid1(VALU_DEP_2)
	v_cmp_gt_i32_e64 s13, 0, v29
	v_add_co_u32 v25, s12, v25, -1
	s_delay_alu instid0(VALU_DEP_1) | instskip(NEXT) | instid1(VALU_DEP_1)
	v_cndmask_b32_e64 v28, 0, 1, s12
	v_cmp_ne_u32_e64 s12, 0, v28
	v_not_b32_e32 v28, v29
	s_delay_alu instid0(VALU_DEP_1) | instskip(SKIP_3) | instid1(VALU_DEP_4)
	v_dual_ashrrev_i32 v28, 31, v28 :: v_dual_lshlrev_b32 v30, 29, v27
	v_dual_lshlrev_b32 v31, 28, v27 :: v_dual_lshlrev_b32 v32, 27, v27
	v_lshlrev_b32_e32 v33, 26, v27
	v_lshl_add_u32 v26, v27, 3, v48
	v_cmp_gt_i32_e64 s14, 0, v30
	v_not_b32_e32 v29, v30
	v_not_b32_e32 v30, v31
	v_cmp_gt_i32_e64 s15, 0, v31
	v_xor_b32_e32 v25, s12, v25
	s_delay_alu instid0(VALU_DEP_4) | instskip(NEXT) | instid1(VALU_DEP_4)
	v_dual_ashrrev_i32 v29, 31, v29 :: v_dual_bitop2_b32 v28, s13, v28 bitop3:0x14
	v_ashrrev_i32_e32 v30, 31, v30
	v_not_b32_e32 v31, v32
	v_cmp_gt_i32_e64 s16, 0, v32
	v_not_b32_e32 v32, v33
	v_xor_b32_e32 v29, s14, v29
	v_xor_b32_e32 v30, s15, v30
	v_bitop3_b32 v25, v25, v28, exec_lo bitop3:0x80
	v_ashrrev_i32_e32 v28, 31, v31
	v_dual_lshlrev_b32 v31, 25, v27 :: v_dual_lshlrev_b32 v27, 24, v27
	v_ashrrev_i32_e32 v32, 31, v32
	v_cmp_gt_i32_e64 s12, 0, v33
	v_bitop3_b32 v25, v25, v30, v29 bitop3:0x80
	s_delay_alu instid0(VALU_DEP_4)
	v_not_b32_e32 v29, v31
	v_not_b32_e32 v30, v27
	v_xor_b32_e32 v28, s16, v28
	v_xor_b32_e32 v32, s12, v32
	v_cmp_gt_i32_e64 s12, 0, v31
	v_ashrrev_i32_e32 v29, 31, v29
	v_cmp_gt_i32_e64 s13, 0, v27
	v_ashrrev_i32_e32 v27, 31, v30
	v_lshl_add_u32 v30, v26, 2, v12
	v_bitop3_b32 v26, v25, v32, v28 bitop3:0x80
	v_xor_b32_e32 v28, s12, v29
	s_delay_alu instid0(VALU_DEP_4) | instskip(SKIP_3) | instid1(VALU_DEP_2)
	v_xor_b32_e32 v27, s13, v27
	ds_load_b32 v25, v30 offset:32
	; wave barrier
	v_bitop3_b32 v28, v26, v27, v28 bitop3:0x80
	v_add_nc_u32_e32 v27, 32, v30
	v_mbcnt_lo_u32_b32 v26, v28, 0
	v_cmp_ne_u32_e64 s13, 0, v28
	s_delay_alu instid0(VALU_DEP_2) | instskip(SKIP_1) | instid1(SALU_CYCLE_1)
	v_cmp_eq_u32_e64 s12, 0, v26
	s_and_b32 s13, s13, s12
	s_and_saveexec_b32 s12, s13
	s_cbranch_execz .LBB493_329
; %bb.328:                              ;   in Loop: Header=BB493_325 Depth=1
	s_wait_dscnt 0x0
	v_bcnt_u32_b32 v28, v28, v25
	ds_store_b32 v27, v28
.LBB493_329:                            ;   in Loop: Header=BB493_325 Depth=1
	s_or_b32 exec_lo, exec_lo, s12
	; wave barrier
	s_wait_dscnt 0x0
	s_barrier_signal -1
	s_barrier_wait -1
	ds_load_b32 v29, v15
	ds_load_b32 v30, v23
	;; [unrolled: 1-line block ×8, first 2 shown]
	s_wait_dscnt 0x6
	v_add_nc_u32_e32 v68, v30, v29
	s_wait_dscnt 0x4
	s_delay_alu instid0(VALU_DEP_1) | instskip(SKIP_1) | instid1(VALU_DEP_1)
	v_add3_u32 v68, v68, v31, v32
	s_wait_dscnt 0x2
	v_add3_u32 v68, v68, v33, v66
	s_wait_dscnt 0x0
	s_delay_alu instid0(VALU_DEP_1) | instskip(NEXT) | instid1(VALU_DEP_1)
	v_add3_u32 v67, v68, v28, v67
	v_mov_b32_dpp v68, v67 row_shr:1 row_mask:0xf bank_mask:0xf
	s_delay_alu instid0(VALU_DEP_1) | instskip(NEXT) | instid1(VALU_DEP_1)
	v_cndmask_b32_e64 v68, v68, 0, vcc_lo
	v_add_nc_u32_e32 v67, v68, v67
	s_delay_alu instid0(VALU_DEP_1) | instskip(NEXT) | instid1(VALU_DEP_1)
	v_mov_b32_dpp v68, v67 row_shr:2 row_mask:0xf bank_mask:0xf
	v_cndmask_b32_e64 v68, 0, v68, s0
	s_delay_alu instid0(VALU_DEP_1) | instskip(NEXT) | instid1(VALU_DEP_1)
	v_add_nc_u32_e32 v67, v67, v68
	v_mov_b32_dpp v68, v67 row_shr:4 row_mask:0xf bank_mask:0xf
	s_delay_alu instid0(VALU_DEP_1) | instskip(NEXT) | instid1(VALU_DEP_1)
	v_cndmask_b32_e64 v68, 0, v68, s1
	v_add_nc_u32_e32 v67, v67, v68
	s_delay_alu instid0(VALU_DEP_1) | instskip(NEXT) | instid1(VALU_DEP_1)
	v_mov_b32_dpp v68, v67 row_shr:8 row_mask:0xf bank_mask:0xf
	v_cndmask_b32_e64 v68, 0, v68, s3
	s_delay_alu instid0(VALU_DEP_1) | instskip(SKIP_3) | instid1(VALU_DEP_1)
	v_add_nc_u32_e32 v67, v67, v68
	ds_swizzle_b32 v68, v67 offset:swizzle(BROADCAST,32,15)
	s_wait_dscnt 0x0
	v_cndmask_b32_e64 v68, v68, 0, s4
	v_add_nc_u32_e32 v67, v67, v68
	s_and_saveexec_b32 s12, s5
; %bb.330:                              ;   in Loop: Header=BB493_325 Depth=1
	ds_store_b32 v51, v67
; %bb.331:                              ;   in Loop: Header=BB493_325 Depth=1
	s_or_b32 exec_lo, exec_lo, s12
	s_wait_dscnt 0x0
	s_barrier_signal -1
	s_barrier_wait -1
	s_and_saveexec_b32 s12, s6
	s_cbranch_execz .LBB493_333
; %bb.332:                              ;   in Loop: Header=BB493_325 Depth=1
	ds_load_b32 v68, v4
	s_wait_dscnt 0x0
	v_mov_b32_dpp v69, v68 row_shr:1 row_mask:0xf bank_mask:0xf
	s_delay_alu instid0(VALU_DEP_1) | instskip(NEXT) | instid1(VALU_DEP_1)
	v_cndmask_b32_e64 v69, v69, 0, s9
	v_add_nc_u32_e32 v68, v69, v68
	s_delay_alu instid0(VALU_DEP_1) | instskip(NEXT) | instid1(VALU_DEP_1)
	v_mov_b32_dpp v69, v68 row_shr:2 row_mask:0xf bank_mask:0xf
	v_cndmask_b32_e64 v69, 0, v69, s10
	s_delay_alu instid0(VALU_DEP_1) | instskip(NEXT) | instid1(VALU_DEP_1)
	v_add_nc_u32_e32 v68, v68, v69
	v_mov_b32_dpp v69, v68 row_shr:4 row_mask:0xf bank_mask:0xf
	s_delay_alu instid0(VALU_DEP_1) | instskip(NEXT) | instid1(VALU_DEP_1)
	v_cndmask_b32_e64 v69, 0, v69, s11
	v_add_nc_u32_e32 v68, v68, v69
	ds_store_b32 v4, v68
.LBB493_333:                            ;   in Loop: Header=BB493_325 Depth=1
	s_or_b32 exec_lo, exec_lo, s12
	v_mov_b32_e32 v68, 0
	s_wait_dscnt 0x0
	s_barrier_signal -1
	s_barrier_wait -1
	s_and_saveexec_b32 s12, s7
; %bb.334:                              ;   in Loop: Header=BB493_325 Depth=1
	ds_load_b32 v68, v52
; %bb.335:                              ;   in Loop: Header=BB493_325 Depth=1
	s_or_b32 exec_lo, exec_lo, s12
	s_wait_dscnt 0x0
	v_add_nc_u32_e32 v67, v68, v67
	s_mov_b32 s14, -1
	s_mov_b32 s13, exec_lo
	v_add_nc_u32_e32 v10, 8, v10
	ds_bpermute_b32 v67, v49, v67
	s_wait_dscnt 0x0
	v_cndmask_b32_e64 v67, v67, v68, s2
	s_delay_alu instid0(VALU_DEP_1) | instskip(NEXT) | instid1(VALU_DEP_1)
	v_cndmask_b32_e64 v67, v67, 0, s8
	v_add_nc_u32_e32 v29, v67, v29
	s_delay_alu instid0(VALU_DEP_1) | instskip(NEXT) | instid1(VALU_DEP_1)
	v_add_nc_u32_e32 v30, v29, v30
	v_add_nc_u32_e32 v31, v30, v31
	s_delay_alu instid0(VALU_DEP_1) | instskip(NEXT) | instid1(VALU_DEP_1)
	v_add_nc_u32_e32 v32, v31, v32
	v_add_nc_u32_e32 v33, v32, v33
	s_delay_alu instid0(VALU_DEP_1)
	v_add_nc_u32_e32 v66, v33, v66
	ds_store_b32 v15, v67
	ds_store_b32 v23, v29
	;; [unrolled: 1-line block ×3, first 2 shown]
	v_add_nc_u32_e32 v28, v66, v28
	ds_store_b32 v35, v31
	ds_store_b32 v36, v32
	;; [unrolled: 1-line block ×5, first 2 shown]
	s_wait_dscnt 0x0
	s_barrier_signal -1
	s_barrier_wait -1
	ds_load_b32 v24, v24
	ds_load_b32 v27, v27
	v_mov_b32_e32 v29, v1
	s_wait_dscnt 0x0
	v_add_nc_u32_e32 v0, v24, v0
	v_add3_u32 v28, v26, v25, v27
                                        ; implicit-def: $vgpr26_vgpr27
                                        ; implicit-def: $vgpr24_vgpr25
	s_delay_alu instid0(VALU_DEP_2) | instskip(NEXT) | instid1(VALU_DEP_2)
	v_lshl_add_u64 v[32:33], v[0:1], 2, v[12:13]
	v_lshl_add_u64 v[30:31], v[28:29], 2, v[12:13]
                                        ; implicit-def: $vgpr29
                                        ; implicit-def: $vgpr31
	v_cmpx_lt_u32_e64 v10, v11
	s_cbranch_execz .LBB493_324
; %bb.336:                              ;   in Loop: Header=BB493_325 Depth=1
	s_delay_alu instid0(VALU_DEP_3) | instskip(NEXT) | instid1(VALU_DEP_3)
	v_lshl_add_u32 v24, v0, 2, v32
	v_lshl_add_u32 v25, v28, 2, v30
	s_barrier_signal -1
	s_barrier_wait -1
	ds_store_b32 v32, v64
	ds_store_b32 v30, v65
	s_wait_dscnt 0x0
	s_barrier_signal -1
	s_barrier_wait -1
	ds_load_b32 v31, v50
	ds_load_b32 v29, v53
	s_wait_dscnt 0x0
	s_barrier_signal -1
	s_barrier_wait -1
	ds_store_b64 v24, v[20:21]
	ds_store_b64 v25, v[18:19]
	s_wait_dscnt 0x0
	s_barrier_signal -1
	s_barrier_wait -1
	ds_load_b64 v[24:25], v5
	ds_load_b64 v[26:27], v54
	v_add_nc_u32_e32 v55, -8, v55
	s_xor_b32 s14, exec_lo, -1
	s_wait_dscnt 0x0
	s_barrier_signal -1
	s_barrier_wait -1
	s_branch .LBB493_324
.LBB493_337:
	flat_load_b64 v[28:29], v[0:1]
	s_wait_xcnt 0x0
	s_or_b32 exec_lo, exec_lo, s3
                                        ; implicit-def: $vgpr30_vgpr31
	s_and_saveexec_b32 s3, s0
	s_cbranch_execz .LBB493_264
.LBB493_338:
	flat_load_b64 v[30:31], v[0:1] offset:256
	s_wait_xcnt 0x0
	s_or_b32 exec_lo, exec_lo, s3
                                        ; implicit-def: $vgpr32_vgpr33
	s_and_saveexec_b32 s0, s1
	s_cbranch_execz .LBB493_265
.LBB493_339:
	flat_load_b64 v[32:33], v[0:1] offset:512
	s_wait_xcnt 0x0
	s_or_b32 exec_lo, exec_lo, s0
                                        ; implicit-def: $vgpr34_vgpr35
	s_and_saveexec_b32 s0, s2
	s_cbranch_execnz .LBB493_266
	s_branch .LBB493_267
.LBB493_340:
	flat_store_b64 v[0:1], v[14:15]
	s_wait_xcnt 0x0
	s_or_b32 exec_lo, exec_lo, s3
	s_and_saveexec_b32 s3, s0
	s_cbranch_execz .LBB493_309
.LBB493_341:
	flat_store_b64 v[0:1], v[16:17] offset:2048
	s_wait_xcnt 0x0
	s_or_b32 exec_lo, exec_lo, s3
	s_and_saveexec_b32 s0, s1
	s_cbranch_execz .LBB493_310
.LBB493_342:
	flat_store_b64 v[0:1], v[10:11] offset:4096
	s_wait_xcnt 0x0
	s_or_b32 exec_lo, exec_lo, s0
	s_and_saveexec_b32 s0, s2
	s_cbranch_execnz .LBB493_311
	s_branch .LBB493_312
.LBB493_343:
	s_or_b32 exec_lo, exec_lo, s21
	v_lshl_add_u32 v0, v0, 2, v32
	v_lshl_add_u32 v1, v28, 2, v30
	s_barrier_signal -1
	s_barrier_wait -1
	ds_store_b32 v32, v64
	ds_store_b32 v30, v65
	s_wait_dscnt 0x0
	s_barrier_signal -1
	s_barrier_wait -1
	ds_load_2addr_stride64_b32 v[4:5], v4 offset1:4
	s_wait_dscnt 0x0
	s_barrier_signal -1
	s_barrier_wait -1
	ds_store_b64 v0, v[20:21]
	ds_store_b64 v1, v[18:19]
	v_lshl_add_u32 v0, v22, 3, v12
	s_wait_dscnt 0x0
	s_barrier_signal -1
	s_barrier_wait -1
	ds_load_2addr_stride64_b64 v[10:13], v0 offset1:4
	v_lshl_add_u64 v[0:1], v[8:9], 2, v[2:3]
	v_mov_b32_e32 v15, 0
	s_set_vgpr_msb 4                        ;  msbs: dst=0 src0=0 src1=1 src2=0
	v_cmp_lt_u32_e32 vcc_lo, v14, v2 /*v258*/
	s_wait_dscnt 0x0
	s_barrier_signal -1
	s_barrier_wait -1
	v_lshl_add_u64 v[0:1], v[14:15], 2, v[0:1]
	s_and_saveexec_b32 s0, vcc_lo
	s_set_vgpr_msb 0                        ;  msbs: dst=0 src0=0 src1=0 src2=0
	s_cbranch_execz .LBB493_345
; %bb.344:
	v_xor_b32_e32 v2, 0x7fffffff, v4
	flat_store_b32 v[0:1], v2
.LBB493_345:
	s_wait_xcnt 0x0
	s_or_b32 exec_lo, exec_lo, s0
	v_add_nc_u32_e32 v2, 0x100, v14
	s_set_vgpr_msb 4                        ;  msbs: dst=0 src0=0 src1=1 src2=0
	s_delay_alu instid0(VALU_DEP_1)
	v_cmp_lt_u32_e64 s0, v2, v2 /*v258*/
	s_and_saveexec_b32 s1, s0
	s_set_vgpr_msb 0                        ;  msbs: dst=0 src0=0 src1=0 src2=0
	s_cbranch_execz .LBB493_347
; %bb.346:
	v_xor_b32_e32 v2, 0x7fffffff, v5
	flat_store_b32 v[0:1], v2 offset:1024
.LBB493_347:
	s_wait_xcnt 0x0
	s_or_b32 exec_lo, exec_lo, s1
	v_lshl_add_u64 v[0:1], v[8:9], 3, v[6:7]
	s_delay_alu instid0(VALU_DEP_1)
	v_lshl_add_u64 v[0:1], v[14:15], 3, v[0:1]
	s_and_saveexec_b32 s1, vcc_lo
	s_cbranch_execz .LBB493_349
; %bb.348:
	flat_store_b64 v[0:1], v[10:11]
.LBB493_349:
	s_wait_xcnt 0x0
	s_or_b32 exec_lo, exec_lo, s1
	s_and_saveexec_b32 s1, s0
	s_cbranch_execz .LBB493_351
; %bb.350:
	flat_store_b64 v[0:1], v[12:13] offset:2048
.LBB493_351:
	s_wait_xcnt 0x0
	s_or_b32 exec_lo, exec_lo, s1
                                        ; implicit-def: $vgpr14
                                        ; implicit-def: $vgpr8_vgpr9
                                        ; implicit-def: $vgpr258
                                        ; implicit-def: $vgpr10
                                        ; implicit-def: $vgpr11
                                        ; implicit-def: $vgpr0_vgpr1
                                        ; implicit-def: $vgpr2_vgpr3
                                        ; implicit-def: $vgpr4_vgpr5
                                        ; implicit-def: $vgpr6_vgpr7
                                        ; implicit-def: $vgpr12_vgpr13
                                        ; implicit-def: $vgpr22
                                        ; implicit-def: $vgpr98
.LBB493_352:
	s_and_not1_saveexec_b32 s0, s18
	s_cbranch_execz .LBB493_372
; %bb.353:
	s_delay_alu instid0(VALU_DEP_3) | instskip(NEXT) | instid1(VALU_DEP_1)
	v_and_b32_e32 v18, 0xffffffe0, v14
	v_dual_mov_b32 v21, -1 :: v_dual_bitop2_b32 v15, v98, v18 bitop3:0x54
	s_set_vgpr_msb 4                        ;  msbs: dst=0 src0=0 src1=1 src2=0
	s_delay_alu instid0(VALU_DEP_1)
	v_cmp_lt_u32_e32 vcc_lo, v15, v2 /*v258*/
	s_and_saveexec_b32 s0, vcc_lo
	s_set_vgpr_msb 0                        ;  msbs: dst=0 src0=0 src1=0 src2=0
	s_cbranch_execz .LBB493_355
; %bb.354:
	v_lshl_add_u64 v[0:1], v[8:9], 2, v[0:1]
	v_dual_mov_b32 v17, 0 :: v_dual_lshlrev_b32 v16, 2, v98
	s_delay_alu instid0(VALU_DEP_1) | instskip(SKIP_1) | instid1(VALU_DEP_1)
	v_add_nc_u64_e32 v[0:1], v[0:1], v[16:17]
	v_mov_b32_e32 v19, v17
	v_lshl_add_u64 v[0:1], v[18:19], 2, v[0:1]
	flat_load_b32 v0, v[0:1]
	s_wait_loadcnt_dscnt 0x0
	v_xor_b32_e32 v21, 0x7fffffff, v0
.LBB493_355:
	s_wait_xcnt 0x0
	s_or_b32 exec_lo, exec_lo, s0
                                        ; implicit-def: $vgpr16_vgpr17
	s_and_saveexec_b32 s0, vcc_lo
	s_cbranch_execz .LBB493_357
; %bb.356:
	v_lshl_add_u64 v[0:1], v[8:9], 3, v[4:5]
	v_dual_mov_b32 v5, 0 :: v_dual_lshlrev_b32 v4, 3, v98
	s_delay_alu instid0(VALU_DEP_1) | instskip(SKIP_1) | instid1(VALU_DEP_1)
	v_add_nc_u64_e32 v[0:1], v[0:1], v[4:5]
	v_mov_b32_e32 v19, v5
	v_lshl_add_u64 v[0:1], v[18:19], 3, v[0:1]
	flat_load_b64 v[16:17], v[0:1]
.LBB493_357:
	s_wait_xcnt 0x0
	s_or_b32 exec_lo, exec_lo, s0
	v_lshl_add_u32 v0, v22, 5, v12
	v_and_b32_e32 v1, 0x3e0, v22
	v_and_b32_e32 v4, 15, v98
	v_sub_co_u32 v18, s2, v98, 1
	s_delay_alu instid0(VALU_DEP_4)
	v_dual_add_nc_u32 v15, 32, v0 :: v_dual_add_nc_u32 v23, 36, v0
	v_dual_add_nc_u32 v26, 40, v0 :: v_dual_add_nc_u32 v27, 44, v0
	;; [unrolled: 1-line block ×4, first 2 shown]
	v_lshrrev_b32_e32 v32, 5, v14
	v_min_u32_e32 v0, 0xe0, v1
	v_cmp_gt_i32_e64 s6, 0, v18
	v_or_b32_e32 v1, v98, v1
	s_get_pc_i64 s[0:1]
	s_add_nc_u64 s[0:1], s[0:1], _ZN7rocprim17ROCPRIM_400000_NS16block_radix_sortIiLj256ELj1ElLj1ELj1ELj8ELNS0_26block_radix_rank_algorithmE2ELNS0_18block_padding_hintE2ELNS0_4arch9wavefront6targetE0EE19radix_bits_per_passE@rel64+4
	v_cmp_eq_u32_e32 vcc_lo, 0, v4
	v_or_b32_e32 v0, 31, v0
	s_load_b32 s18, s[0:1], 0x0
	s_wait_xcnt 0x0
	v_cmp_lt_u32_e64 s0, 1, v4
	v_cmp_lt_u32_e64 s1, 3, v4
	v_and_b32_e32 v5, 16, v98
	v_cmp_lt_u32_e64 s3, 7, v4
	v_dual_cndmask_b32 v4, v18, v98, s6 :: v_dual_lshlrev_b32 v18, 2, v1
	v_cmp_eq_u32_e64 s5, v22, v0
	v_lshrrev_b32_e32 v0, 3, v22
	v_cmp_eq_u32_e64 s4, 0, v5
	s_delay_alu instid0(VALU_DEP_4) | instskip(SKIP_1) | instid1(VALU_DEP_4)
	v_dual_lshlrev_b32 v34, 2, v4 :: v_dual_bitop2_b32 v4, 7, v98 bitop3:0x40
	v_mov_b32_e32 v1, 0
	v_and_b32_e32 v0, 0x7c, v0
	v_cmp_gt_u32_e64 s6, 8, v22
	v_cmp_lt_u32_e64 s7, 31, v22
	v_cmp_eq_u32_e64 s9, 0, v4
	v_cmp_lt_u32_e64 s10, 1, v4
	v_dual_add_nc_u32 v35, v12, v0 :: v_dual_add_nc_u32 v36, v12, v18
	v_cmp_lt_u32_e64 s11, 3, v4
	v_mov_b64_e32 v[4:5], 0
	v_cmp_eq_u32_e64 s8, 0, v22
	v_lshl_add_u32 v33, v22, 2, v12
	v_dual_add_nc_u32 v37, -4, v35 :: v_dual_add_nc_u32 v38, v36, v18
	v_sub_nc_u32_e32 v39, v11, v10
	s_mov_b32 s20, 0
	s_wait_storecnt 0x0
	s_wait_loadcnt_dscnt 0x0
	s_barrier_signal -1
	s_barrier_wait -1
	s_branch .LBB493_359
.LBB493_358:                            ;   in Loop: Header=BB493_359 Depth=1
	s_or_b32 exec_lo, exec_lo, s13
	s_delay_alu instid0(SALU_CYCLE_1) | instskip(NEXT) | instid1(SALU_CYCLE_1)
	s_and_b32 s12, exec_lo, s14
	s_or_b32 s20, s12, s20
	s_delay_alu instid0(SALU_CYCLE_1)
	s_and_not1_b32 exec_lo, exec_lo, s20
	s_cbranch_execz .LBB493_369
.LBB493_359:                            ; =>This Inner Loop Header: Depth=1
	s_wait_kmcnt 0x0
	v_min_u32_e32 v0, s18, v39
	v_mov_b32_e32 v48, v21
	ds_store_b64 v15, v[4:5]
	ds_store_b64 v26, v[4:5]
	ds_store_b64 v28, v[4:5]
	ds_store_b64 v30, v[4:5]
	s_wait_dscnt 0x0
	v_lshlrev_b32_e64 v0, v0, -1
	v_lshrrev_b32_e32 v18, v10, v48
	s_barrier_signal -1
	s_barrier_wait -1
	s_delay_alu instid0(VALU_DEP_1) | instskip(SKIP_1) | instid1(VALU_DEP_2)
	v_bitop3_b32 v19, v18, 1, v0 bitop3:0x40
	v_bitop3_b32 v0, v18, v0, v18 bitop3:0x30
	; wave barrier
	v_add_co_u32 v18, s12, v19, -1
	s_delay_alu instid0(VALU_DEP_1) | instskip(NEXT) | instid1(VALU_DEP_3)
	v_cndmask_b32_e64 v19, 0, 1, s12
	v_dual_lshlrev_b32 v20, 30, v0 :: v_dual_lshlrev_b32 v21, 29, v0
	v_dual_lshlrev_b32 v24, 28, v0 :: v_dual_lshlrev_b32 v25, 27, v0
	v_lshlrev_b32_e32 v49, 26, v0
	s_delay_alu instid0(VALU_DEP_4) | instskip(NEXT) | instid1(VALU_DEP_4)
	v_cmp_ne_u32_e64 s12, 0, v19
	v_not_b32_e32 v19, v20
	v_cmp_gt_i32_e64 s13, 0, v20
	v_cmp_gt_i32_e64 s14, 0, v21
	v_not_b32_e32 v20, v21
	v_not_b32_e32 v21, v24
	v_dual_ashrrev_i32 v19, 31, v19 :: v_dual_lshlrev_b32 v50, 25, v0
	v_lshlrev_b32_e32 v51, 24, v0
	v_cmp_gt_i32_e64 s15, 0, v24
	v_cmp_gt_i32_e64 s16, 0, v25
	v_not_b32_e32 v24, v25
	v_dual_ashrrev_i32 v20, 31, v20 :: v_dual_bitop2_b32 v18, s12, v18 bitop3:0x14
	v_dual_ashrrev_i32 v21, 31, v21 :: v_dual_bitop2_b32 v19, s13, v19 bitop3:0x14
	v_not_b32_e32 v25, v49
	v_cmp_gt_i32_e64 s17, 0, v49
	s_delay_alu instid0(VALU_DEP_3) | instskip(NEXT) | instid1(VALU_DEP_3)
	v_dual_ashrrev_i32 v24, 31, v24 :: v_dual_bitop2_b32 v21, s15, v21 bitop3:0x14
	v_dual_ashrrev_i32 v25, 31, v25 :: v_dual_bitop2_b32 v20, s14, v20 bitop3:0x14
	v_bitop3_b32 v18, v18, v19, exec_lo bitop3:0x80
	v_not_b32_e32 v19, v50
	v_not_b32_e32 v49, v51
	v_xor_b32_e32 v24, s16, v24
	v_cmp_gt_i32_e64 s12, 0, v50
	v_bitop3_b32 v18, v18, v21, v20 bitop3:0x80
	v_ashrrev_i32_e32 v19, 31, v19
	v_cmp_gt_i32_e64 s13, 0, v51
	v_ashrrev_i32_e32 v20, 31, v49
	v_xor_b32_e32 v21, s17, v25
	v_lshl_add_u32 v0, v0, 3, v32
	v_xor_b32_e32 v19, s12, v19
	s_delay_alu instid0(VALU_DEP_4) | instskip(NEXT) | instid1(VALU_DEP_4)
	v_xor_b32_e32 v20, s13, v20
	v_bitop3_b32 v18, v18, v21, v24 bitop3:0x80
	s_delay_alu instid0(VALU_DEP_1) | instskip(SKIP_2) | instid1(VALU_DEP_3)
	v_bitop3_b32 v20, v18, v20, v19 bitop3:0x80
	v_mov_b64_e32 v[18:19], v[16:17]
	v_lshl_add_u64 v[16:17], v[0:1], 2, v[12:13]
	v_mbcnt_lo_u32_b32 v0, v20, 0
	v_cmp_ne_u32_e64 s13, 0, v20
	s_delay_alu instid0(VALU_DEP_3) | instskip(NEXT) | instid1(VALU_DEP_3)
	v_add_nc_u64_e32 v[16:17], 32, v[16:17]
	v_cmp_eq_u32_e64 s12, 0, v0
	s_and_b32 s13, s13, s12
	s_delay_alu instid0(SALU_CYCLE_1)
	s_and_saveexec_b32 s12, s13
; %bb.360:                              ;   in Loop: Header=BB493_359 Depth=1
	v_bcnt_u32_b32 v17, v20, 0
	ds_store_b32 v16, v17
; %bb.361:                              ;   in Loop: Header=BB493_359 Depth=1
	s_or_b32 exec_lo, exec_lo, s12
	; wave barrier
	s_wait_dscnt 0x0
	s_barrier_signal -1
	s_barrier_wait -1
	ds_load_b32 v20, v15
	ds_load_b32 v21, v23
	;; [unrolled: 1-line block ×8, first 2 shown]
	s_wait_dscnt 0x6
	v_add_nc_u32_e32 v52, v21, v20
	s_wait_dscnt 0x4
	s_delay_alu instid0(VALU_DEP_1) | instskip(SKIP_1) | instid1(VALU_DEP_1)
	v_add3_u32 v52, v52, v24, v25
	s_wait_dscnt 0x2
	v_add3_u32 v52, v52, v49, v50
	s_wait_dscnt 0x0
	s_delay_alu instid0(VALU_DEP_1) | instskip(NEXT) | instid1(VALU_DEP_1)
	v_add3_u32 v51, v52, v17, v51
	v_mov_b32_dpp v52, v51 row_shr:1 row_mask:0xf bank_mask:0xf
	s_delay_alu instid0(VALU_DEP_1) | instskip(NEXT) | instid1(VALU_DEP_1)
	v_cndmask_b32_e64 v52, v52, 0, vcc_lo
	v_add_nc_u32_e32 v51, v52, v51
	s_delay_alu instid0(VALU_DEP_1) | instskip(NEXT) | instid1(VALU_DEP_1)
	v_mov_b32_dpp v52, v51 row_shr:2 row_mask:0xf bank_mask:0xf
	v_cndmask_b32_e64 v52, 0, v52, s0
	s_delay_alu instid0(VALU_DEP_1) | instskip(NEXT) | instid1(VALU_DEP_1)
	v_add_nc_u32_e32 v51, v51, v52
	v_mov_b32_dpp v52, v51 row_shr:4 row_mask:0xf bank_mask:0xf
	s_delay_alu instid0(VALU_DEP_1) | instskip(NEXT) | instid1(VALU_DEP_1)
	v_cndmask_b32_e64 v52, 0, v52, s1
	v_add_nc_u32_e32 v51, v51, v52
	s_delay_alu instid0(VALU_DEP_1) | instskip(NEXT) | instid1(VALU_DEP_1)
	v_mov_b32_dpp v52, v51 row_shr:8 row_mask:0xf bank_mask:0xf
	v_cndmask_b32_e64 v52, 0, v52, s3
	s_delay_alu instid0(VALU_DEP_1) | instskip(SKIP_3) | instid1(VALU_DEP_1)
	v_add_nc_u32_e32 v51, v51, v52
	ds_swizzle_b32 v52, v51 offset:swizzle(BROADCAST,32,15)
	s_wait_dscnt 0x0
	v_cndmask_b32_e64 v52, v52, 0, s4
	v_add_nc_u32_e32 v51, v51, v52
	s_and_saveexec_b32 s12, s5
; %bb.362:                              ;   in Loop: Header=BB493_359 Depth=1
	ds_store_b32 v35, v51
; %bb.363:                              ;   in Loop: Header=BB493_359 Depth=1
	s_or_b32 exec_lo, exec_lo, s12
	s_wait_dscnt 0x0
	s_barrier_signal -1
	s_barrier_wait -1
	s_and_saveexec_b32 s12, s6
	s_cbranch_execz .LBB493_365
; %bb.364:                              ;   in Loop: Header=BB493_359 Depth=1
	ds_load_b32 v52, v33
	s_wait_dscnt 0x0
	v_mov_b32_dpp v53, v52 row_shr:1 row_mask:0xf bank_mask:0xf
	s_delay_alu instid0(VALU_DEP_1) | instskip(NEXT) | instid1(VALU_DEP_1)
	v_cndmask_b32_e64 v53, v53, 0, s9
	v_add_nc_u32_e32 v52, v53, v52
	s_delay_alu instid0(VALU_DEP_1) | instskip(NEXT) | instid1(VALU_DEP_1)
	v_mov_b32_dpp v53, v52 row_shr:2 row_mask:0xf bank_mask:0xf
	v_cndmask_b32_e64 v53, 0, v53, s10
	s_delay_alu instid0(VALU_DEP_1) | instskip(NEXT) | instid1(VALU_DEP_1)
	v_add_nc_u32_e32 v52, v52, v53
	v_mov_b32_dpp v53, v52 row_shr:4 row_mask:0xf bank_mask:0xf
	s_delay_alu instid0(VALU_DEP_1) | instskip(NEXT) | instid1(VALU_DEP_1)
	v_cndmask_b32_e64 v53, 0, v53, s11
	v_add_nc_u32_e32 v52, v52, v53
	ds_store_b32 v33, v52
.LBB493_365:                            ;   in Loop: Header=BB493_359 Depth=1
	s_or_b32 exec_lo, exec_lo, s12
	v_mov_b32_e32 v52, 0
	s_wait_dscnt 0x0
	s_barrier_signal -1
	s_barrier_wait -1
	s_and_saveexec_b32 s12, s7
; %bb.366:                              ;   in Loop: Header=BB493_359 Depth=1
	ds_load_b32 v52, v37
; %bb.367:                              ;   in Loop: Header=BB493_359 Depth=1
	s_or_b32 exec_lo, exec_lo, s12
	s_wait_dscnt 0x0
	v_add_nc_u32_e32 v51, v52, v51
	s_mov_b32 s14, -1
	s_mov_b32 s13, exec_lo
	v_add_nc_u32_e32 v10, 8, v10
	ds_bpermute_b32 v51, v34, v51
	s_wait_dscnt 0x0
	v_cndmask_b32_e64 v51, v51, v52, s2
	s_delay_alu instid0(VALU_DEP_1) | instskip(NEXT) | instid1(VALU_DEP_1)
	v_cndmask_b32_e64 v51, v51, 0, s8
	v_add_nc_u32_e32 v20, v51, v20
	s_delay_alu instid0(VALU_DEP_1) | instskip(NEXT) | instid1(VALU_DEP_1)
	v_add_nc_u32_e32 v21, v20, v21
	v_add_nc_u32_e32 v24, v21, v24
	s_delay_alu instid0(VALU_DEP_1) | instskip(SKIP_4) | instid1(VALU_DEP_1)
	v_add_nc_u32_e32 v25, v24, v25
	ds_store_b32 v15, v51
	ds_store_b32 v23, v20
	;; [unrolled: 1-line block ×3, first 2 shown]
	v_add_nc_u32_e32 v49, v25, v49
	v_add_nc_u32_e32 v50, v49, v50
	s_delay_alu instid0(VALU_DEP_1)
	v_add_nc_u32_e32 v17, v50, v17
	ds_store_b32 v27, v24
	ds_store_b32 v28, v25
	;; [unrolled: 1-line block ×5, first 2 shown]
	s_wait_dscnt 0x0
	s_barrier_signal -1
	s_barrier_wait -1
	ds_load_b32 v16, v16
	s_wait_dscnt 0x0
	v_add_nc_u32_e32 v0, v16, v0
	s_delay_alu instid0(VALU_DEP_1) | instskip(NEXT) | instid1(VALU_DEP_1)
	v_lshlrev_b64_e32 v[16:17], 2, v[0:1]
	v_add_nc_u64_e32 v[24:25], v[12:13], v[16:17]
	s_delay_alu instid0(VALU_DEP_1)
	v_add_nc_u64_e32 v[20:21], v[24:25], v[16:17]
                                        ; implicit-def: $vgpr16_vgpr17
                                        ; implicit-def: $vgpr21
	v_cmpx_lt_u32_e64 v10, v11
	s_cbranch_execz .LBB493_358
; %bb.368:                              ;   in Loop: Header=BB493_359 Depth=1
	s_barrier_signal -1
	s_barrier_wait -1
	ds_store_b32 v24, v48
	s_wait_dscnt 0x0
	s_barrier_signal -1
	s_barrier_wait -1
	ds_load_b32 v21, v36
	s_wait_dscnt 0x0
	s_barrier_signal -1
	s_barrier_wait -1
	ds_store_b64 v20, v[18:19]
	s_wait_dscnt 0x0
	s_barrier_signal -1
	s_barrier_wait -1
	ds_load_b64 v[16:17], v38
	v_add_nc_u32_e32 v39, -8, v39
	s_xor_b32 s14, exec_lo, -1
	s_wait_dscnt 0x0
	s_barrier_signal -1
	s_barrier_wait -1
	s_branch .LBB493_358
.LBB493_369:
	s_or_b32 exec_lo, exec_lo, s20
	v_lshl_add_u32 v0, v22, 3, v12
	s_barrier_signal -1
	s_barrier_wait -1
	ds_store_b32 v24, v48
	s_wait_dscnt 0x0
	s_barrier_signal -1
	s_barrier_wait -1
	ds_load_b32 v4, v33
	s_wait_dscnt 0x0
	s_barrier_signal -1
	s_barrier_wait -1
	ds_store_b64 v20, v[18:19]
	s_wait_dscnt 0x0
	s_barrier_signal -1
	s_barrier_wait -1
	ds_load_b64 v[0:1], v0
	s_mov_b32 s0, exec_lo
	s_wait_dscnt 0x0
	s_barrier_signal -1
	s_barrier_wait -1
	s_set_vgpr_msb 4                        ;  msbs: dst=0 src0=0 src1=1 src2=0
	v_cmpx_lt_u32_e64 v14, v2 /*v258*/
	s_set_vgpr_msb 0                        ;  msbs: dst=0 src0=0 src1=0 src2=0
	s_cbranch_execz .LBB493_371
; %bb.370:
	v_lshl_add_u64 v[2:3], v[8:9], 2, v[2:3]
	v_mov_b32_e32 v15, 0
	v_lshl_add_u64 v[6:7], v[8:9], 3, v[6:7]
	v_xor_b32_e32 v8, 0x7fffffff, v4
	s_delay_alu instid0(VALU_DEP_3) | instskip(NEXT) | instid1(VALU_DEP_3)
	v_lshl_add_u64 v[2:3], v[14:15], 2, v[2:3]
	v_lshl_add_u64 v[4:5], v[14:15], 3, v[6:7]
	flat_store_b32 v[2:3], v8
	flat_store_b64 v[4:5], v[0:1]
.LBB493_371:
	s_wait_xcnt 0x0
	s_or_b32 exec_lo, exec_lo, s0
.LBB493_372:
	s_delay_alu instid0(SALU_CYCLE_1)
	s_or_b32 exec_lo, exec_lo, s19
	s_wait_dscnt 0x0
	s_set_pc_i64 s[30:31]
.Lfunc_end493:
	.size	_ZN7rocprim17ROCPRIM_400000_NS6detail40segmented_radix_sort_single_block_helperIilLj256ELj16ELb1EE4sortIPKiPiPKlPlEEbT_T0_T1_T2_jjjjRNS3_12storage_typeE, .Lfunc_end493-_ZN7rocprim17ROCPRIM_400000_NS6detail40segmented_radix_sort_single_block_helperIilLj256ELj16ELb1EE4sortIPKiPiPKlPlEEbT_T0_T1_T2_jjjjRNS3_12storage_typeE
                                        ; -- End function
	.set .L_ZN7rocprim17ROCPRIM_400000_NS6detail40segmented_radix_sort_single_block_helperIilLj256ELj16ELb1EE4sortIPKiPiPKlPlEEbT_T0_T1_T2_jjjjRNS3_12storage_typeE.num_vgpr, 287
	.set .L_ZN7rocprim17ROCPRIM_400000_NS6detail40segmented_radix_sort_single_block_helperIilLj256ELj16ELb1EE4sortIPKiPiPKlPlEEbT_T0_T1_T2_jjjjRNS3_12storage_typeE.num_agpr, 0
	.set .L_ZN7rocprim17ROCPRIM_400000_NS6detail40segmented_radix_sort_single_block_helperIilLj256ELj16ELb1EE4sortIPKiPiPKlPlEEbT_T0_T1_T2_jjjjRNS3_12storage_typeE.numbered_sgpr, 32
	.set .L_ZN7rocprim17ROCPRIM_400000_NS6detail40segmented_radix_sort_single_block_helperIilLj256ELj16ELb1EE4sortIPKiPiPKlPlEEbT_T0_T1_T2_jjjjRNS3_12storage_typeE.num_named_barrier, 0
	.set .L_ZN7rocprim17ROCPRIM_400000_NS6detail40segmented_radix_sort_single_block_helperIilLj256ELj16ELb1EE4sortIPKiPiPKlPlEEbT_T0_T1_T2_jjjjRNS3_12storage_typeE.private_seg_size, 0
	.set .L_ZN7rocprim17ROCPRIM_400000_NS6detail40segmented_radix_sort_single_block_helperIilLj256ELj16ELb1EE4sortIPKiPiPKlPlEEbT_T0_T1_T2_jjjjRNS3_12storage_typeE.uses_vcc, 1
	.set .L_ZN7rocprim17ROCPRIM_400000_NS6detail40segmented_radix_sort_single_block_helperIilLj256ELj16ELb1EE4sortIPKiPiPKlPlEEbT_T0_T1_T2_jjjjRNS3_12storage_typeE.uses_flat_scratch, 0
	.set .L_ZN7rocprim17ROCPRIM_400000_NS6detail40segmented_radix_sort_single_block_helperIilLj256ELj16ELb1EE4sortIPKiPiPKlPlEEbT_T0_T1_T2_jjjjRNS3_12storage_typeE.has_dyn_sized_stack, 0
	.set .L_ZN7rocprim17ROCPRIM_400000_NS6detail40segmented_radix_sort_single_block_helperIilLj256ELj16ELb1EE4sortIPKiPiPKlPlEEbT_T0_T1_T2_jjjjRNS3_12storage_typeE.has_recursion, 0
	.set .L_ZN7rocprim17ROCPRIM_400000_NS6detail40segmented_radix_sort_single_block_helperIilLj256ELj16ELb1EE4sortIPKiPiPKlPlEEbT_T0_T1_T2_jjjjRNS3_12storage_typeE.has_indirect_call, 0
	.section	.AMDGPU.csdata,"",@progbits
; Function info:
; codeLenInByte = 30060
; TotalNumSgprs: 34
; NumVgprs: 287
; ScratchSize: 0
; MemoryBound: 1
	.section	.text._ZN7rocprim17ROCPRIM_400000_NS6detail17trampoline_kernelINS0_14default_configENS1_36segmented_radix_sort_config_selectorIilEEZNS1_25segmented_radix_sort_implIS3_Lb1EPKiPiPKlPlN2at6native12_GLOBAL__N_18offset_tEEE10hipError_tPvRmT1_PNSt15iterator_traitsISK_E10value_typeET2_T3_PNSL_ISQ_E10value_typeET4_jRbjT5_SW_jjP12ihipStream_tbEUlT_E_NS1_11comp_targetILNS1_3genE0ELNS1_11target_archE4294967295ELNS1_3gpuE0ELNS1_3repE0EEENS1_30default_config_static_selectorELNS0_4arch9wavefront6targetE0EEEvSK_,"axG",@progbits,_ZN7rocprim17ROCPRIM_400000_NS6detail17trampoline_kernelINS0_14default_configENS1_36segmented_radix_sort_config_selectorIilEEZNS1_25segmented_radix_sort_implIS3_Lb1EPKiPiPKlPlN2at6native12_GLOBAL__N_18offset_tEEE10hipError_tPvRmT1_PNSt15iterator_traitsISK_E10value_typeET2_T3_PNSL_ISQ_E10value_typeET4_jRbjT5_SW_jjP12ihipStream_tbEUlT_E_NS1_11comp_targetILNS1_3genE0ELNS1_11target_archE4294967295ELNS1_3gpuE0ELNS1_3repE0EEENS1_30default_config_static_selectorELNS0_4arch9wavefront6targetE0EEEvSK_,comdat
	.globl	_ZN7rocprim17ROCPRIM_400000_NS6detail17trampoline_kernelINS0_14default_configENS1_36segmented_radix_sort_config_selectorIilEEZNS1_25segmented_radix_sort_implIS3_Lb1EPKiPiPKlPlN2at6native12_GLOBAL__N_18offset_tEEE10hipError_tPvRmT1_PNSt15iterator_traitsISK_E10value_typeET2_T3_PNSL_ISQ_E10value_typeET4_jRbjT5_SW_jjP12ihipStream_tbEUlT_E_NS1_11comp_targetILNS1_3genE0ELNS1_11target_archE4294967295ELNS1_3gpuE0ELNS1_3repE0EEENS1_30default_config_static_selectorELNS0_4arch9wavefront6targetE0EEEvSK_ ; -- Begin function _ZN7rocprim17ROCPRIM_400000_NS6detail17trampoline_kernelINS0_14default_configENS1_36segmented_radix_sort_config_selectorIilEEZNS1_25segmented_radix_sort_implIS3_Lb1EPKiPiPKlPlN2at6native12_GLOBAL__N_18offset_tEEE10hipError_tPvRmT1_PNSt15iterator_traitsISK_E10value_typeET2_T3_PNSL_ISQ_E10value_typeET4_jRbjT5_SW_jjP12ihipStream_tbEUlT_E_NS1_11comp_targetILNS1_3genE0ELNS1_11target_archE4294967295ELNS1_3gpuE0ELNS1_3repE0EEENS1_30default_config_static_selectorELNS0_4arch9wavefront6targetE0EEEvSK_
	.p2align	8
	.type	_ZN7rocprim17ROCPRIM_400000_NS6detail17trampoline_kernelINS0_14default_configENS1_36segmented_radix_sort_config_selectorIilEEZNS1_25segmented_radix_sort_implIS3_Lb1EPKiPiPKlPlN2at6native12_GLOBAL__N_18offset_tEEE10hipError_tPvRmT1_PNSt15iterator_traitsISK_E10value_typeET2_T3_PNSL_ISQ_E10value_typeET4_jRbjT5_SW_jjP12ihipStream_tbEUlT_E_NS1_11comp_targetILNS1_3genE0ELNS1_11target_archE4294967295ELNS1_3gpuE0ELNS1_3repE0EEENS1_30default_config_static_selectorELNS0_4arch9wavefront6targetE0EEEvSK_,@function
_ZN7rocprim17ROCPRIM_400000_NS6detail17trampoline_kernelINS0_14default_configENS1_36segmented_radix_sort_config_selectorIilEEZNS1_25segmented_radix_sort_implIS3_Lb1EPKiPiPKlPlN2at6native12_GLOBAL__N_18offset_tEEE10hipError_tPvRmT1_PNSt15iterator_traitsISK_E10value_typeET2_T3_PNSL_ISQ_E10value_typeET4_jRbjT5_SW_jjP12ihipStream_tbEUlT_E_NS1_11comp_targetILNS1_3genE0ELNS1_11target_archE4294967295ELNS1_3gpuE0ELNS1_3repE0EEENS1_30default_config_static_selectorELNS0_4arch9wavefront6targetE0EEEvSK_: ; @_ZN7rocprim17ROCPRIM_400000_NS6detail17trampoline_kernelINS0_14default_configENS1_36segmented_radix_sort_config_selectorIilEEZNS1_25segmented_radix_sort_implIS3_Lb1EPKiPiPKlPlN2at6native12_GLOBAL__N_18offset_tEEE10hipError_tPvRmT1_PNSt15iterator_traitsISK_E10value_typeET2_T3_PNSL_ISQ_E10value_typeET4_jRbjT5_SW_jjP12ihipStream_tbEUlT_E_NS1_11comp_targetILNS1_3genE0ELNS1_11target_archE4294967295ELNS1_3gpuE0ELNS1_3repE0EEENS1_30default_config_static_selectorELNS0_4arch9wavefront6targetE0EEEvSK_
; %bb.0:
	s_load_b64 s[8:9], s[2:3], 0x38
	s_bfe_u32 s4, ttmp6, 0x4000c
	s_and_b32 s5, ttmp6, 15
	s_add_co_i32 s4, s4, 1
	s_getreg_b32 s55, hwreg(HW_REG_IB_STS2, 6, 4)
	s_mul_i32 s4, ttmp9, s4
	s_mov_b32 s32, 0
	s_add_co_i32 s5, s5, s4
	s_cmp_eq_u32 s55, 0
	s_cselect_b32 s33, ttmp9, s5
	s_load_b128 s[4:7], s[2:3], 0x40
	s_wait_kmcnt 0x0
	s_load_b32 s10, s[8:9], s33 offset:0x0 scale_offset
	s_wait_kmcnt 0x0
	s_add_co_i32 s51, s10, s7
	s_add_co_i32 s52, s10, s5
	s_mul_i32 s51, s51, s6
	s_mul_i32 s52, s52, s4
	s_delay_alu instid0(SALU_CYCLE_1)
	s_cmp_le_u32 s51, s52
	s_cbranch_scc1 .LBB494_1182
; %bb.1:
	s_clause 0x3
	s_load_b32 s4, s[2:3], 0x30
	s_load_b128 s[44:47], s[2:3], 0x20
	s_load_b96 s[48:50], s[2:3], 0x50
	s_load_b256 s[36:43], s[2:3], 0x0
	s_wait_kmcnt 0x0
	s_bitcmp1_b32 s4, 0
	s_mov_b32 s4, -1
	s_cselect_b32 s53, -1, 0
	s_sub_co_i32 s54, s51, s52
	s_delay_alu instid0(SALU_CYCLE_1)
	s_cmp_lt_u32 s54, 0x1001
	s_cbranch_scc0 .LBB494_7
; %bb.2:
	v_cndmask_b32_e64 v1, 0, 1, s53
	s_and_b32 s4, s48, 1
	s_get_pc_i64 s[24:25]
	s_add_nc_u64 s[24:25], s[24:25], _ZN7rocprim17ROCPRIM_400000_NS6detail40segmented_radix_sort_single_block_helperIilLj256ELj16ELb1EE4sortIPKiPiPKlPlEEbT_T0_T1_T2_jjjjRNS3_12storage_typeE@rel64+4
	s_delay_alu instid0(VALU_DEP_1)
	v_cmp_ne_u32_e32 vcc_lo, s4, v1
	s_mov_b32 s4, -1
	s_cbranch_vccnz .LBB494_4
; %bb.3:
	s_mov_b64 s[4:5], src_shared_base
	v_dual_mov_b32 v31, v0 :: v_dual_mov_b32 v40, v0
	v_dual_mov_b32 v0, s36 :: v_dual_mov_b32 v1, s37
	;; [unrolled: 1-line block ×8, first 2 shown]
	s_add_nc_u64 s[8:9], s[2:3], 0x60
	s_mov_b64 s[6:7], s[0:1]
	s_mov_b64 s[26:27], s[2:3]
	;; [unrolled: 1-line block ×3, first 2 shown]
	s_swap_pc_i64 s[30:31], s[24:25]
	v_mov_b32_e32 v0, v40
	s_mov_b64 s[0:1], s[28:29]
	s_mov_b64 s[2:3], s[26:27]
	s_mov_b32 s4, 0
.LBB494_4:
	s_delay_alu instid0(SALU_CYCLE_1)
	s_and_not1_b32 vcc_lo, exec_lo, s4
	s_cbranch_vccnz .LBB494_6
; %bb.5:
	s_mov_b64 s[4:5], src_shared_base
	v_dual_mov_b32 v31, v0 :: v_dual_mov_b32 v40, v0
	v_dual_mov_b32 v0, s36 :: v_dual_mov_b32 v1, s37
	;; [unrolled: 1-line block ×8, first 2 shown]
	s_add_nc_u64 s[8:9], s[2:3], 0x60
	s_mov_b64 s[6:7], s[0:1]
	s_mov_b64 s[26:27], s[2:3]
	s_swap_pc_i64 s[30:31], s[24:25]
	v_mov_b32_e32 v0, v40
	s_mov_b64 s[2:3], s[26:27]
.LBB494_6:
	s_mov_b32 s4, 0
.LBB494_7:
	s_delay_alu instid0(SALU_CYCLE_1)
	s_and_not1_b32 vcc_lo, exec_lo, s4
	s_cbranch_vccnz .LBB494_1182
; %bb.8:
	s_cmp_ge_u32 s49, s50
	s_cbranch_scc1 .LBB494_1182
; %bb.9:
	v_and_b32_e32 v2, 0x3ff, v0
	v_mov_b32_e32 v1, 0
	v_mbcnt_lo_u32_b32 v94, -1, 0
	v_bfe_u32 v90, v0, 20, 10
	v_bfe_u32 v92, v0, 10, 10
	v_dual_lshlrev_b32 v4, 2, v2 :: v_dual_bitop2_b32 v6, 3, v0 bitop3:0x40
	v_dual_mov_b32 v5, v1 :: v_dual_lshrrev_b32 v7, 3, v0
	s_bfe_u32 s6, ttmp6, 0x40010
	s_delay_alu instid0(VALU_DEP_2) | instskip(NEXT) | instid1(VALU_DEP_3)
	v_mad_u32_u24 v86, v2, 12, v4
	v_lshlrev_b32_e32 v84, 2, v6
	v_or_b32_e32 v6, 31, v2
	v_dual_lshlrev_b32 v7, 4, v2 :: v_dual_bitop2_b32 v85, 28, v7 bitop3:0x40
	v_dual_mov_b32 v17, v1 :: v_dual_add_nc_u32 v88, 0x8400, v4
	s_delay_alu instid0(VALU_DEP_3) | instskip(SKIP_1) | instid1(VALU_DEP_4)
	v_cmp_eq_u32_e64 s1, v2, v6
	v_mad_u32_u24 v91, v2, 20, v86
	v_and_b32_e32 v18, 0xe00, v7
	v_lshlrev_b32_e32 v6, 5, v2
	s_add_co_i32 s6, s6, 1
	s_bfe_u32 s7, ttmp6, 0x40004
	s_mul_i32 s6, ttmp7, s6
	v_dual_lshlrev_b32 v0, 3, v18 :: v_dual_lshlrev_b32 v16, 2, v18
	v_or_b32_e32 v99, v94, v18
	v_dual_sub_nc_u32 v93, v91, v6 :: v_dual_mov_b32 v95, 1
	s_delay_alu instid0(VALU_DEP_3) | instskip(NEXT) | instid1(VALU_DEP_4)
	v_add_nc_u64_e32 v[6:7], s[46:47], v[0:1]
	v_add_nc_u64_e32 v[8:9], s[40:41], v[16:17]
	;; [unrolled: 1-line block ×9, first 2 shown]
	v_or_b32_e32 v3, 0x100, v2
	v_or_b32_e32 v70, 0x200, v2
	;; [unrolled: 1-line block ×15, first 2 shown]
	v_cmp_gt_u32_e64 s0, 0x100, v2
	v_or_b32_e32 v87, 0x8400, v85
	v_cmp_gt_u32_e64 s4, 8, v2
	v_cmp_lt_u32_e64 s5, 31, v2
	v_add_nc_u32_e32 v89, 0x83fc, v85
	s_add_nc_u64 s[34:35], s[2:3], 0x60
	s_add_co_i32 s7, s7, s6
	v_cmp_eq_u32_e64 s2, 0, v2
	v_cmp_ne_u32_e64 s3, 0xff, v2
	v_dual_lshlrev_b32 v0, 3, v94 :: v_dual_bitop2_b32 v96, 15, v94 bitop3:0x40
	v_bfe_i32 v97, v94, 4, 1
	v_dual_lshlrev_b32 v24, 2, v94 :: v_dual_bitop2_b32 v98, 16, v94 bitop3:0x40
	v_and_b32_e32 v100, 7, v94
	v_sub_co_u32 v101, s6, v94, 1
	v_or_b32_e32 v102, 32, v99
	v_or_b32_e32 v103, 64, v99
	;; [unrolled: 1-line block ×15, first 2 shown]
	v_add_nc_u32_e32 v117, 0x420, v91
	v_add_nc_u32_e32 v118, 0x428, v91
	;; [unrolled: 1-line block ×4, first 2 shown]
	s_cmp_eq_u32 s55, 0
	s_mov_b32 s31, 0
	s_cselect_b32 s42, ttmp7, s7
	s_mov_b32 s43, s49
	s_branch .LBB494_12
.LBB494_10:                             ;   in Loop: Header=BB494_12 Depth=1
	s_wait_dscnt 0x0
	s_barrier_signal -1
	s_barrier_wait -1
.LBB494_11:                             ;   in Loop: Header=BB494_12 Depth=1
	s_add_co_i32 s43, s43, 8
	s_delay_alu instid0(SALU_CYCLE_1)
	s_cmp_ge_u32 s43, s50
	s_cbranch_scc1 .LBB494_1182
.LBB494_12:                             ; =>This Loop Header: Depth=1
                                        ;     Child Loop BB494_16 Depth 2
                                        ;     Child Loop BB494_96 Depth 2
	;; [unrolled: 1-line block ×8, first 2 shown]
	s_sub_co_i32 s7, s50, s43
	s_xor_b32 s53, s53, -1
	s_min_u32 s7, s7, 8
	ds_store_2addr_stride64_b32 v4, v1, v1 offset1:4
	s_lshl_b32 s7, -1, s7
	ds_store_2addr_stride64_b32 v4, v1, v1 offset0:8 offset1:12
	s_not_b32 s48, s7
	s_cmp_lg_u32 s43, s49
	s_mov_b32 s7, -1
	s_wait_storecnt_dscnt 0x0
	s_cbranch_scc0 .LBB494_598
; %bb.13:                               ;   in Loop: Header=BB494_12 Depth=1
	s_and_b32 vcc_lo, exec_lo, s53
	s_cbranch_vccz .LBB494_305
; %bb.14:                               ;   in Loop: Header=BB494_12 Depth=1
	s_mov_b32 s7, s54
	s_mov_b32 s30, s52
	s_barrier_signal -1
	s_barrier_wait -1
                                        ; implicit-def: $vgpr25
                                        ; implicit-def: $vgpr26
                                        ; implicit-def: $vgpr27
                                        ; implicit-def: $vgpr28
                                        ; implicit-def: $vgpr29
                                        ; implicit-def: $vgpr30
                                        ; implicit-def: $vgpr31
                                        ; implicit-def: $vgpr32
                                        ; implicit-def: $vgpr33
                                        ; implicit-def: $vgpr34
                                        ; implicit-def: $vgpr35
                                        ; implicit-def: $vgpr36
                                        ; implicit-def: $vgpr37
                                        ; implicit-def: $vgpr38
                                        ; implicit-def: $vgpr39
                                        ; implicit-def: $vgpr40
	s_branch .LBB494_16
.LBB494_15:                             ;   in Loop: Header=BB494_16 Depth=2
	s_or_b32 exec_lo, exec_lo, s8
	s_addk_co_i32 s7, 0xf000
	s_cmp_ge_u32 s10, s51
	s_mov_b32 s30, s10
	s_cbranch_scc1 .LBB494_84
.LBB494_16:                             ;   Parent Loop BB494_12 Depth=1
                                        ; =>  This Inner Loop Header: Depth=2
	s_add_co_i32 s10, s30, 0x1000
	s_mov_b32 s8, -1
	s_cmp_gt_u32 s10, s51
                                        ; implicit-def: $vgpr41
                                        ; implicit-def: $vgpr42
                                        ; implicit-def: $vgpr43
                                        ; implicit-def: $vgpr44
                                        ; implicit-def: $vgpr45
                                        ; implicit-def: $vgpr46
                                        ; implicit-def: $vgpr47
                                        ; implicit-def: $vgpr48
                                        ; implicit-def: $vgpr49
                                        ; implicit-def: $vgpr50
                                        ; implicit-def: $vgpr51
                                        ; implicit-def: $vgpr52
                                        ; implicit-def: $vgpr53
                                        ; implicit-def: $vgpr54
                                        ; implicit-def: $vgpr55
                                        ; implicit-def: $vgpr56
	s_cbranch_scc1 .LBB494_18
; %bb.17:                               ;   in Loop: Header=BB494_16 Depth=2
	v_lshl_add_u64 v[56:57], s[30:31], 2, v[18:19]
	s_mov_b32 s8, 0
	s_clause 0xf
	global_load_b32 v41, v[56:57], off
	global_load_b32 v42, v[56:57], off offset:1024
	global_load_b32 v43, v[56:57], off offset:2048
	global_load_b32 v44, v[56:57], off offset:3072
	global_load_b32 v45, v[56:57], off offset:4096
	global_load_b32 v46, v[56:57], off offset:5120
	global_load_b32 v47, v[56:57], off offset:6144
	global_load_b32 v48, v[56:57], off offset:7168
	global_load_b32 v49, v[56:57], off offset:8192
	global_load_b32 v50, v[56:57], off offset:9216
	global_load_b32 v51, v[56:57], off offset:10240
	global_load_b32 v52, v[56:57], off offset:11264
	global_load_b32 v53, v[56:57], off offset:12288
	global_load_b32 v54, v[56:57], off offset:13312
	global_load_b32 v55, v[56:57], off offset:14336
	global_load_b32 v56, v[56:57], off offset:15360
.LBB494_18:                             ;   in Loop: Header=BB494_16 Depth=2
	s_and_not1_b32 vcc_lo, exec_lo, s8
	s_movk_i32 s8, 0x1000
	s_cbranch_vccnz .LBB494_37
; %bb.19:                               ;   in Loop: Header=BB494_16 Depth=2
	s_lshl_b64 s[8:9], s[30:31], 2
	s_mov_b32 s11, exec_lo
	s_add_nc_u64 s[8:9], s[40:41], s[8:9]
	s_wait_xcnt 0x0
	v_cmpx_gt_u32_e64 s7, v2
	s_cbranch_execnz .LBB494_69
; %bb.20:                               ;   in Loop: Header=BB494_16 Depth=2
	s_or_b32 exec_lo, exec_lo, s11
	s_delay_alu instid0(SALU_CYCLE_1)
	s_mov_b32 s11, exec_lo
	v_cmpx_gt_u32_e64 s7, v3
	s_cbranch_execnz .LBB494_70
.LBB494_21:                             ;   in Loop: Header=BB494_16 Depth=2
	s_or_b32 exec_lo, exec_lo, s11
	s_delay_alu instid0(SALU_CYCLE_1)
	s_mov_b32 s11, exec_lo
	v_cmpx_gt_u32_e64 s7, v70
	s_cbranch_execnz .LBB494_71
.LBB494_22:                             ;   in Loop: Header=BB494_16 Depth=2
	s_or_b32 exec_lo, exec_lo, s11
	s_delay_alu instid0(SALU_CYCLE_1)
	s_mov_b32 s11, exec_lo
	v_cmpx_gt_u32_e64 s7, v71
	s_cbranch_execnz .LBB494_72
.LBB494_23:                             ;   in Loop: Header=BB494_16 Depth=2
	s_or_b32 exec_lo, exec_lo, s11
	s_delay_alu instid0(SALU_CYCLE_1)
	s_mov_b32 s11, exec_lo
	v_cmpx_gt_u32_e64 s7, v72
	s_cbranch_execnz .LBB494_73
.LBB494_24:                             ;   in Loop: Header=BB494_16 Depth=2
	s_or_b32 exec_lo, exec_lo, s11
	s_delay_alu instid0(SALU_CYCLE_1)
	s_mov_b32 s11, exec_lo
	v_cmpx_gt_u32_e64 s7, v73
	s_cbranch_execnz .LBB494_74
.LBB494_25:                             ;   in Loop: Header=BB494_16 Depth=2
	s_or_b32 exec_lo, exec_lo, s11
	s_delay_alu instid0(SALU_CYCLE_1)
	s_mov_b32 s11, exec_lo
	v_cmpx_gt_u32_e64 s7, v74
	s_cbranch_execnz .LBB494_75
.LBB494_26:                             ;   in Loop: Header=BB494_16 Depth=2
	s_or_b32 exec_lo, exec_lo, s11
	s_delay_alu instid0(SALU_CYCLE_1)
	s_mov_b32 s11, exec_lo
	v_cmpx_gt_u32_e64 s7, v75
	s_cbranch_execnz .LBB494_76
.LBB494_27:                             ;   in Loop: Header=BB494_16 Depth=2
	s_or_b32 exec_lo, exec_lo, s11
	s_delay_alu instid0(SALU_CYCLE_1)
	s_mov_b32 s11, exec_lo
	v_cmpx_gt_u32_e64 s7, v76
	s_cbranch_execnz .LBB494_77
.LBB494_28:                             ;   in Loop: Header=BB494_16 Depth=2
	s_or_b32 exec_lo, exec_lo, s11
	s_delay_alu instid0(SALU_CYCLE_1)
	s_mov_b32 s11, exec_lo
	v_cmpx_gt_u32_e64 s7, v77
	s_cbranch_execnz .LBB494_78
.LBB494_29:                             ;   in Loop: Header=BB494_16 Depth=2
	s_or_b32 exec_lo, exec_lo, s11
	s_delay_alu instid0(SALU_CYCLE_1)
	s_mov_b32 s11, exec_lo
	v_cmpx_gt_u32_e64 s7, v78
	s_cbranch_execnz .LBB494_79
.LBB494_30:                             ;   in Loop: Header=BB494_16 Depth=2
	s_or_b32 exec_lo, exec_lo, s11
	s_delay_alu instid0(SALU_CYCLE_1)
	s_mov_b32 s11, exec_lo
	v_cmpx_gt_u32_e64 s7, v79
	s_cbranch_execnz .LBB494_80
.LBB494_31:                             ;   in Loop: Header=BB494_16 Depth=2
	s_or_b32 exec_lo, exec_lo, s11
	s_delay_alu instid0(SALU_CYCLE_1)
	s_mov_b32 s11, exec_lo
	v_cmpx_gt_u32_e64 s7, v80
	s_cbranch_execnz .LBB494_81
.LBB494_32:                             ;   in Loop: Header=BB494_16 Depth=2
	s_or_b32 exec_lo, exec_lo, s11
	s_delay_alu instid0(SALU_CYCLE_1)
	s_mov_b32 s11, exec_lo
	v_cmpx_gt_u32_e64 s7, v81
	s_cbranch_execnz .LBB494_82
.LBB494_33:                             ;   in Loop: Header=BB494_16 Depth=2
	s_or_b32 exec_lo, exec_lo, s11
	s_delay_alu instid0(SALU_CYCLE_1)
	s_mov_b32 s11, exec_lo
	v_cmpx_gt_u32_e64 s7, v82
	s_cbranch_execnz .LBB494_83
.LBB494_34:                             ;   in Loop: Header=BB494_16 Depth=2
	s_or_b32 exec_lo, exec_lo, s11
	s_delay_alu instid0(SALU_CYCLE_1)
	s_mov_b32 s11, exec_lo
	v_cmpx_gt_u32_e64 s7, v83
	s_cbranch_execz .LBB494_36
.LBB494_35:                             ;   in Loop: Header=BB494_16 Depth=2
	global_load_b32 v25, v2, s[8:9] offset:15360 scale_offset
.LBB494_36:                             ;   in Loop: Header=BB494_16 Depth=2
	s_wait_xcnt 0x0
	s_or_b32 exec_lo, exec_lo, s11
	s_wait_loadcnt 0x0
	v_dual_mov_b32 v41, v40 :: v_dual_mov_b32 v42, v39
	v_dual_mov_b32 v43, v38 :: v_dual_mov_b32 v44, v37
	;; [unrolled: 1-line block ×8, first 2 shown]
	s_mov_b32 s8, s7
.LBB494_37:                             ;   in Loop: Header=BB494_16 Depth=2
	s_wait_loadcnt 0x0
	s_delay_alu instid0(VALU_DEP_1)
	v_dual_mov_b32 v25, v56 :: v_dual_mov_b32 v26, v55
	v_dual_mov_b32 v27, v54 :: v_dual_mov_b32 v28, v53
	;; [unrolled: 1-line block ×8, first 2 shown]
	s_mov_b32 s9, exec_lo
	s_wait_xcnt 0x0
	v_cmpx_gt_u32_e64 s8, v2
	s_cbranch_execnz .LBB494_53
; %bb.38:                               ;   in Loop: Header=BB494_16 Depth=2
	s_or_b32 exec_lo, exec_lo, s9
	s_delay_alu instid0(SALU_CYCLE_1)
	s_mov_b32 s9, exec_lo
	v_cmpx_gt_u32_e64 s8, v3
	s_cbranch_execnz .LBB494_54
.LBB494_39:                             ;   in Loop: Header=BB494_16 Depth=2
	s_or_b32 exec_lo, exec_lo, s9
	s_delay_alu instid0(SALU_CYCLE_1)
	s_mov_b32 s9, exec_lo
	v_cmpx_gt_u32_e64 s8, v70
	s_cbranch_execnz .LBB494_55
.LBB494_40:                             ;   in Loop: Header=BB494_16 Depth=2
	s_or_b32 exec_lo, exec_lo, s9
	s_delay_alu instid0(SALU_CYCLE_1)
	s_mov_b32 s9, exec_lo
	v_cmpx_gt_u32_e64 s8, v71
	s_cbranch_execnz .LBB494_56
.LBB494_41:                             ;   in Loop: Header=BB494_16 Depth=2
	s_or_b32 exec_lo, exec_lo, s9
	s_delay_alu instid0(SALU_CYCLE_1)
	s_mov_b32 s9, exec_lo
	v_cmpx_gt_u32_e64 s8, v72
	s_cbranch_execnz .LBB494_57
.LBB494_42:                             ;   in Loop: Header=BB494_16 Depth=2
	s_or_b32 exec_lo, exec_lo, s9
	s_delay_alu instid0(SALU_CYCLE_1)
	s_mov_b32 s9, exec_lo
	v_cmpx_gt_u32_e64 s8, v73
	s_cbranch_execnz .LBB494_58
.LBB494_43:                             ;   in Loop: Header=BB494_16 Depth=2
	s_or_b32 exec_lo, exec_lo, s9
	s_delay_alu instid0(SALU_CYCLE_1)
	s_mov_b32 s9, exec_lo
	v_cmpx_gt_u32_e64 s8, v74
	s_cbranch_execnz .LBB494_59
.LBB494_44:                             ;   in Loop: Header=BB494_16 Depth=2
	s_or_b32 exec_lo, exec_lo, s9
	s_delay_alu instid0(SALU_CYCLE_1)
	s_mov_b32 s9, exec_lo
	v_cmpx_gt_u32_e64 s8, v75
	s_cbranch_execnz .LBB494_60
.LBB494_45:                             ;   in Loop: Header=BB494_16 Depth=2
	s_or_b32 exec_lo, exec_lo, s9
	s_delay_alu instid0(SALU_CYCLE_1)
	s_mov_b32 s9, exec_lo
	v_cmpx_gt_u32_e64 s8, v76
	s_cbranch_execnz .LBB494_61
.LBB494_46:                             ;   in Loop: Header=BB494_16 Depth=2
	s_or_b32 exec_lo, exec_lo, s9
	s_delay_alu instid0(SALU_CYCLE_1)
	s_mov_b32 s9, exec_lo
	v_cmpx_gt_u32_e64 s8, v77
	s_cbranch_execnz .LBB494_62
.LBB494_47:                             ;   in Loop: Header=BB494_16 Depth=2
	s_or_b32 exec_lo, exec_lo, s9
	s_delay_alu instid0(SALU_CYCLE_1)
	s_mov_b32 s9, exec_lo
	v_cmpx_gt_u32_e64 s8, v78
	s_cbranch_execnz .LBB494_63
.LBB494_48:                             ;   in Loop: Header=BB494_16 Depth=2
	s_or_b32 exec_lo, exec_lo, s9
	s_delay_alu instid0(SALU_CYCLE_1)
	s_mov_b32 s9, exec_lo
	v_cmpx_gt_u32_e64 s8, v79
	s_cbranch_execnz .LBB494_64
.LBB494_49:                             ;   in Loop: Header=BB494_16 Depth=2
	s_or_b32 exec_lo, exec_lo, s9
	s_delay_alu instid0(SALU_CYCLE_1)
	s_mov_b32 s9, exec_lo
	v_cmpx_gt_u32_e64 s8, v80
	s_cbranch_execnz .LBB494_65
.LBB494_50:                             ;   in Loop: Header=BB494_16 Depth=2
	s_or_b32 exec_lo, exec_lo, s9
	s_delay_alu instid0(SALU_CYCLE_1)
	s_mov_b32 s9, exec_lo
	v_cmpx_gt_u32_e64 s8, v81
	s_cbranch_execnz .LBB494_66
.LBB494_51:                             ;   in Loop: Header=BB494_16 Depth=2
	s_or_b32 exec_lo, exec_lo, s9
	s_delay_alu instid0(SALU_CYCLE_1)
	s_mov_b32 s9, exec_lo
	v_cmpx_gt_u32_e64 s8, v82
	s_cbranch_execnz .LBB494_67
.LBB494_52:                             ;   in Loop: Header=BB494_16 Depth=2
	s_or_b32 exec_lo, exec_lo, s9
	v_cmp_gt_u32_e32 vcc_lo, s8, v83
	s_and_saveexec_b32 s8, vcc_lo
	s_cbranch_execz .LBB494_15
	s_branch .LBB494_68
.LBB494_53:                             ;   in Loop: Header=BB494_16 Depth=2
	v_xor_b32_e32 v41, 0x7fffffff, v40
	s_delay_alu instid0(VALU_DEP_1) | instskip(NEXT) | instid1(VALU_DEP_1)
	v_lshrrev_b32_e32 v41, s43, v41
	v_and_b32_e32 v41, s48, v41
	s_delay_alu instid0(VALU_DEP_1) | instskip(SKIP_2) | instid1(SALU_CYCLE_1)
	v_lshl_or_b32 v41, v41, 4, v84
	ds_add_u32 v41, v95
	s_or_b32 exec_lo, exec_lo, s9
	s_mov_b32 s9, exec_lo
	v_cmpx_gt_u32_e64 s8, v3
	s_cbranch_execz .LBB494_39
.LBB494_54:                             ;   in Loop: Header=BB494_16 Depth=2
	v_xor_b32_e32 v41, 0x7fffffff, v39
	s_delay_alu instid0(VALU_DEP_1) | instskip(NEXT) | instid1(VALU_DEP_1)
	v_lshrrev_b32_e32 v41, s43, v41
	v_and_b32_e32 v41, s48, v41
	s_delay_alu instid0(VALU_DEP_1) | instskip(SKIP_2) | instid1(SALU_CYCLE_1)
	v_lshl_or_b32 v41, v41, 4, v84
	ds_add_u32 v41, v95
	s_or_b32 exec_lo, exec_lo, s9
	s_mov_b32 s9, exec_lo
	v_cmpx_gt_u32_e64 s8, v70
	s_cbranch_execz .LBB494_40
.LBB494_55:                             ;   in Loop: Header=BB494_16 Depth=2
	v_xor_b32_e32 v41, 0x7fffffff, v38
	s_delay_alu instid0(VALU_DEP_1) | instskip(NEXT) | instid1(VALU_DEP_1)
	v_lshrrev_b32_e32 v41, s43, v41
	v_and_b32_e32 v41, s48, v41
	s_delay_alu instid0(VALU_DEP_1) | instskip(SKIP_2) | instid1(SALU_CYCLE_1)
	v_lshl_or_b32 v41, v41, 4, v84
	ds_add_u32 v41, v95
	s_or_b32 exec_lo, exec_lo, s9
	s_mov_b32 s9, exec_lo
	v_cmpx_gt_u32_e64 s8, v71
	s_cbranch_execz .LBB494_41
.LBB494_56:                             ;   in Loop: Header=BB494_16 Depth=2
	v_xor_b32_e32 v41, 0x7fffffff, v37
	s_delay_alu instid0(VALU_DEP_1) | instskip(NEXT) | instid1(VALU_DEP_1)
	v_lshrrev_b32_e32 v41, s43, v41
	v_and_b32_e32 v41, s48, v41
	s_delay_alu instid0(VALU_DEP_1) | instskip(SKIP_2) | instid1(SALU_CYCLE_1)
	v_lshl_or_b32 v41, v41, 4, v84
	ds_add_u32 v41, v95
	s_or_b32 exec_lo, exec_lo, s9
	s_mov_b32 s9, exec_lo
	v_cmpx_gt_u32_e64 s8, v72
	s_cbranch_execz .LBB494_42
.LBB494_57:                             ;   in Loop: Header=BB494_16 Depth=2
	v_xor_b32_e32 v41, 0x7fffffff, v36
	s_delay_alu instid0(VALU_DEP_1) | instskip(NEXT) | instid1(VALU_DEP_1)
	v_lshrrev_b32_e32 v41, s43, v41
	v_and_b32_e32 v41, s48, v41
	s_delay_alu instid0(VALU_DEP_1) | instskip(SKIP_2) | instid1(SALU_CYCLE_1)
	v_lshl_or_b32 v41, v41, 4, v84
	ds_add_u32 v41, v95
	s_or_b32 exec_lo, exec_lo, s9
	s_mov_b32 s9, exec_lo
	v_cmpx_gt_u32_e64 s8, v73
	s_cbranch_execz .LBB494_43
.LBB494_58:                             ;   in Loop: Header=BB494_16 Depth=2
	v_xor_b32_e32 v41, 0x7fffffff, v35
	s_delay_alu instid0(VALU_DEP_1) | instskip(NEXT) | instid1(VALU_DEP_1)
	v_lshrrev_b32_e32 v41, s43, v41
	v_and_b32_e32 v41, s48, v41
	s_delay_alu instid0(VALU_DEP_1) | instskip(SKIP_2) | instid1(SALU_CYCLE_1)
	v_lshl_or_b32 v41, v41, 4, v84
	ds_add_u32 v41, v95
	s_or_b32 exec_lo, exec_lo, s9
	s_mov_b32 s9, exec_lo
	v_cmpx_gt_u32_e64 s8, v74
	s_cbranch_execz .LBB494_44
.LBB494_59:                             ;   in Loop: Header=BB494_16 Depth=2
	v_xor_b32_e32 v41, 0x7fffffff, v34
	s_delay_alu instid0(VALU_DEP_1) | instskip(NEXT) | instid1(VALU_DEP_1)
	v_lshrrev_b32_e32 v41, s43, v41
	v_and_b32_e32 v41, s48, v41
	s_delay_alu instid0(VALU_DEP_1) | instskip(SKIP_2) | instid1(SALU_CYCLE_1)
	v_lshl_or_b32 v41, v41, 4, v84
	ds_add_u32 v41, v95
	s_or_b32 exec_lo, exec_lo, s9
	s_mov_b32 s9, exec_lo
	v_cmpx_gt_u32_e64 s8, v75
	s_cbranch_execz .LBB494_45
.LBB494_60:                             ;   in Loop: Header=BB494_16 Depth=2
	v_xor_b32_e32 v41, 0x7fffffff, v33
	s_delay_alu instid0(VALU_DEP_1) | instskip(NEXT) | instid1(VALU_DEP_1)
	v_lshrrev_b32_e32 v41, s43, v41
	v_and_b32_e32 v41, s48, v41
	s_delay_alu instid0(VALU_DEP_1) | instskip(SKIP_2) | instid1(SALU_CYCLE_1)
	v_lshl_or_b32 v41, v41, 4, v84
	ds_add_u32 v41, v95
	s_or_b32 exec_lo, exec_lo, s9
	s_mov_b32 s9, exec_lo
	v_cmpx_gt_u32_e64 s8, v76
	s_cbranch_execz .LBB494_46
.LBB494_61:                             ;   in Loop: Header=BB494_16 Depth=2
	v_xor_b32_e32 v41, 0x7fffffff, v32
	s_delay_alu instid0(VALU_DEP_1) | instskip(NEXT) | instid1(VALU_DEP_1)
	v_lshrrev_b32_e32 v41, s43, v41
	v_and_b32_e32 v41, s48, v41
	s_delay_alu instid0(VALU_DEP_1) | instskip(SKIP_2) | instid1(SALU_CYCLE_1)
	v_lshl_or_b32 v41, v41, 4, v84
	ds_add_u32 v41, v95
	s_or_b32 exec_lo, exec_lo, s9
	s_mov_b32 s9, exec_lo
	v_cmpx_gt_u32_e64 s8, v77
	s_cbranch_execz .LBB494_47
.LBB494_62:                             ;   in Loop: Header=BB494_16 Depth=2
	v_xor_b32_e32 v41, 0x7fffffff, v31
	s_delay_alu instid0(VALU_DEP_1) | instskip(NEXT) | instid1(VALU_DEP_1)
	v_lshrrev_b32_e32 v41, s43, v41
	v_and_b32_e32 v41, s48, v41
	s_delay_alu instid0(VALU_DEP_1) | instskip(SKIP_2) | instid1(SALU_CYCLE_1)
	v_lshl_or_b32 v41, v41, 4, v84
	ds_add_u32 v41, v95
	s_or_b32 exec_lo, exec_lo, s9
	s_mov_b32 s9, exec_lo
	v_cmpx_gt_u32_e64 s8, v78
	s_cbranch_execz .LBB494_48
.LBB494_63:                             ;   in Loop: Header=BB494_16 Depth=2
	v_xor_b32_e32 v41, 0x7fffffff, v30
	s_delay_alu instid0(VALU_DEP_1) | instskip(NEXT) | instid1(VALU_DEP_1)
	v_lshrrev_b32_e32 v41, s43, v41
	v_and_b32_e32 v41, s48, v41
	s_delay_alu instid0(VALU_DEP_1) | instskip(SKIP_2) | instid1(SALU_CYCLE_1)
	v_lshl_or_b32 v41, v41, 4, v84
	ds_add_u32 v41, v95
	s_or_b32 exec_lo, exec_lo, s9
	s_mov_b32 s9, exec_lo
	v_cmpx_gt_u32_e64 s8, v79
	s_cbranch_execz .LBB494_49
.LBB494_64:                             ;   in Loop: Header=BB494_16 Depth=2
	v_xor_b32_e32 v41, 0x7fffffff, v29
	s_delay_alu instid0(VALU_DEP_1) | instskip(NEXT) | instid1(VALU_DEP_1)
	v_lshrrev_b32_e32 v41, s43, v41
	v_and_b32_e32 v41, s48, v41
	s_delay_alu instid0(VALU_DEP_1) | instskip(SKIP_2) | instid1(SALU_CYCLE_1)
	v_lshl_or_b32 v41, v41, 4, v84
	ds_add_u32 v41, v95
	s_or_b32 exec_lo, exec_lo, s9
	s_mov_b32 s9, exec_lo
	v_cmpx_gt_u32_e64 s8, v80
	s_cbranch_execz .LBB494_50
.LBB494_65:                             ;   in Loop: Header=BB494_16 Depth=2
	v_xor_b32_e32 v41, 0x7fffffff, v28
	s_delay_alu instid0(VALU_DEP_1) | instskip(NEXT) | instid1(VALU_DEP_1)
	v_lshrrev_b32_e32 v41, s43, v41
	v_and_b32_e32 v41, s48, v41
	s_delay_alu instid0(VALU_DEP_1) | instskip(SKIP_2) | instid1(SALU_CYCLE_1)
	v_lshl_or_b32 v41, v41, 4, v84
	ds_add_u32 v41, v95
	s_or_b32 exec_lo, exec_lo, s9
	s_mov_b32 s9, exec_lo
	v_cmpx_gt_u32_e64 s8, v81
	s_cbranch_execz .LBB494_51
.LBB494_66:                             ;   in Loop: Header=BB494_16 Depth=2
	v_xor_b32_e32 v41, 0x7fffffff, v27
	s_delay_alu instid0(VALU_DEP_1) | instskip(NEXT) | instid1(VALU_DEP_1)
	v_lshrrev_b32_e32 v41, s43, v41
	v_and_b32_e32 v41, s48, v41
	s_delay_alu instid0(VALU_DEP_1) | instskip(SKIP_2) | instid1(SALU_CYCLE_1)
	v_lshl_or_b32 v41, v41, 4, v84
	ds_add_u32 v41, v95
	s_or_b32 exec_lo, exec_lo, s9
	s_mov_b32 s9, exec_lo
	v_cmpx_gt_u32_e64 s8, v82
	s_cbranch_execz .LBB494_52
.LBB494_67:                             ;   in Loop: Header=BB494_16 Depth=2
	v_xor_b32_e32 v41, 0x7fffffff, v26
	s_delay_alu instid0(VALU_DEP_1) | instskip(NEXT) | instid1(VALU_DEP_1)
	v_lshrrev_b32_e32 v41, s43, v41
	v_and_b32_e32 v41, s48, v41
	s_delay_alu instid0(VALU_DEP_1)
	v_lshl_or_b32 v41, v41, 4, v84
	ds_add_u32 v41, v95
	s_or_b32 exec_lo, exec_lo, s9
	v_cmp_gt_u32_e32 vcc_lo, s8, v83
	s_and_saveexec_b32 s8, vcc_lo
	s_cbranch_execz .LBB494_15
.LBB494_68:                             ;   in Loop: Header=BB494_16 Depth=2
	v_xor_b32_e32 v41, 0x7fffffff, v25
	s_delay_alu instid0(VALU_DEP_1) | instskip(NEXT) | instid1(VALU_DEP_1)
	v_lshrrev_b32_e32 v41, s43, v41
	v_and_b32_e32 v41, s48, v41
	s_delay_alu instid0(VALU_DEP_1)
	v_lshl_or_b32 v41, v41, 4, v84
	ds_add_u32 v41, v95
	s_branch .LBB494_15
.LBB494_69:                             ;   in Loop: Header=BB494_16 Depth=2
	global_load_b32 v40, v2, s[8:9] scale_offset
	s_wait_xcnt 0x0
	s_or_b32 exec_lo, exec_lo, s11
	s_delay_alu instid0(SALU_CYCLE_1)
	s_mov_b32 s11, exec_lo
	v_cmpx_gt_u32_e64 s7, v3
	s_cbranch_execz .LBB494_21
.LBB494_70:                             ;   in Loop: Header=BB494_16 Depth=2
	global_load_b32 v39, v2, s[8:9] offset:1024 scale_offset
	s_wait_xcnt 0x0
	s_or_b32 exec_lo, exec_lo, s11
	s_delay_alu instid0(SALU_CYCLE_1)
	s_mov_b32 s11, exec_lo
	v_cmpx_gt_u32_e64 s7, v70
	s_cbranch_execz .LBB494_22
.LBB494_71:                             ;   in Loop: Header=BB494_16 Depth=2
	global_load_b32 v38, v2, s[8:9] offset:2048 scale_offset
	s_wait_xcnt 0x0
	s_or_b32 exec_lo, exec_lo, s11
	s_delay_alu instid0(SALU_CYCLE_1)
	s_mov_b32 s11, exec_lo
	v_cmpx_gt_u32_e64 s7, v71
	s_cbranch_execz .LBB494_23
.LBB494_72:                             ;   in Loop: Header=BB494_16 Depth=2
	global_load_b32 v37, v2, s[8:9] offset:3072 scale_offset
	s_wait_xcnt 0x0
	s_or_b32 exec_lo, exec_lo, s11
	s_delay_alu instid0(SALU_CYCLE_1)
	s_mov_b32 s11, exec_lo
	v_cmpx_gt_u32_e64 s7, v72
	s_cbranch_execz .LBB494_24
.LBB494_73:                             ;   in Loop: Header=BB494_16 Depth=2
	global_load_b32 v36, v2, s[8:9] offset:4096 scale_offset
	s_wait_xcnt 0x0
	s_or_b32 exec_lo, exec_lo, s11
	s_delay_alu instid0(SALU_CYCLE_1)
	s_mov_b32 s11, exec_lo
	v_cmpx_gt_u32_e64 s7, v73
	s_cbranch_execz .LBB494_25
.LBB494_74:                             ;   in Loop: Header=BB494_16 Depth=2
	global_load_b32 v35, v2, s[8:9] offset:5120 scale_offset
	s_wait_xcnt 0x0
	s_or_b32 exec_lo, exec_lo, s11
	s_delay_alu instid0(SALU_CYCLE_1)
	s_mov_b32 s11, exec_lo
	v_cmpx_gt_u32_e64 s7, v74
	s_cbranch_execz .LBB494_26
.LBB494_75:                             ;   in Loop: Header=BB494_16 Depth=2
	global_load_b32 v34, v2, s[8:9] offset:6144 scale_offset
	s_wait_xcnt 0x0
	s_or_b32 exec_lo, exec_lo, s11
	s_delay_alu instid0(SALU_CYCLE_1)
	s_mov_b32 s11, exec_lo
	v_cmpx_gt_u32_e64 s7, v75
	s_cbranch_execz .LBB494_27
.LBB494_76:                             ;   in Loop: Header=BB494_16 Depth=2
	global_load_b32 v33, v2, s[8:9] offset:7168 scale_offset
	s_wait_xcnt 0x0
	s_or_b32 exec_lo, exec_lo, s11
	s_delay_alu instid0(SALU_CYCLE_1)
	s_mov_b32 s11, exec_lo
	v_cmpx_gt_u32_e64 s7, v76
	s_cbranch_execz .LBB494_28
.LBB494_77:                             ;   in Loop: Header=BB494_16 Depth=2
	global_load_b32 v32, v2, s[8:9] offset:8192 scale_offset
	s_wait_xcnt 0x0
	s_or_b32 exec_lo, exec_lo, s11
	s_delay_alu instid0(SALU_CYCLE_1)
	s_mov_b32 s11, exec_lo
	v_cmpx_gt_u32_e64 s7, v77
	s_cbranch_execz .LBB494_29
.LBB494_78:                             ;   in Loop: Header=BB494_16 Depth=2
	global_load_b32 v31, v2, s[8:9] offset:9216 scale_offset
	s_wait_xcnt 0x0
	s_or_b32 exec_lo, exec_lo, s11
	s_delay_alu instid0(SALU_CYCLE_1)
	s_mov_b32 s11, exec_lo
	v_cmpx_gt_u32_e64 s7, v78
	s_cbranch_execz .LBB494_30
.LBB494_79:                             ;   in Loop: Header=BB494_16 Depth=2
	global_load_b32 v30, v2, s[8:9] offset:10240 scale_offset
	s_wait_xcnt 0x0
	s_or_b32 exec_lo, exec_lo, s11
	s_delay_alu instid0(SALU_CYCLE_1)
	s_mov_b32 s11, exec_lo
	v_cmpx_gt_u32_e64 s7, v79
	s_cbranch_execz .LBB494_31
.LBB494_80:                             ;   in Loop: Header=BB494_16 Depth=2
	global_load_b32 v29, v2, s[8:9] offset:11264 scale_offset
	s_wait_xcnt 0x0
	s_or_b32 exec_lo, exec_lo, s11
	s_delay_alu instid0(SALU_CYCLE_1)
	s_mov_b32 s11, exec_lo
	v_cmpx_gt_u32_e64 s7, v80
	s_cbranch_execz .LBB494_32
.LBB494_81:                             ;   in Loop: Header=BB494_16 Depth=2
	global_load_b32 v28, v2, s[8:9] offset:12288 scale_offset
	s_wait_xcnt 0x0
	s_or_b32 exec_lo, exec_lo, s11
	s_delay_alu instid0(SALU_CYCLE_1)
	s_mov_b32 s11, exec_lo
	v_cmpx_gt_u32_e64 s7, v81
	s_cbranch_execz .LBB494_33
.LBB494_82:                             ;   in Loop: Header=BB494_16 Depth=2
	global_load_b32 v27, v2, s[8:9] offset:13312 scale_offset
	s_wait_xcnt 0x0
	s_or_b32 exec_lo, exec_lo, s11
	s_delay_alu instid0(SALU_CYCLE_1)
	s_mov_b32 s11, exec_lo
	v_cmpx_gt_u32_e64 s7, v82
	s_cbranch_execz .LBB494_34
.LBB494_83:                             ;   in Loop: Header=BB494_16 Depth=2
	global_load_b32 v26, v2, s[8:9] offset:14336 scale_offset
	s_wait_xcnt 0x0
	s_or_b32 exec_lo, exec_lo, s11
	s_delay_alu instid0(SALU_CYCLE_1)
	s_mov_b32 s11, exec_lo
	v_cmpx_gt_u32_e64 s7, v83
	s_cbranch_execnz .LBB494_35
	s_branch .LBB494_36
.LBB494_84:                             ;   in Loop: Header=BB494_12 Depth=1
	v_mov_b32_e32 v25, 0
	s_wait_dscnt 0x0
	s_barrier_signal -1
	s_barrier_wait -1
	s_and_saveexec_b32 s7, s0
	s_cbranch_execz .LBB494_86
; %bb.85:                               ;   in Loop: Header=BB494_12 Depth=1
	ds_load_2addr_b64 v[26:29], v86 offset1:1
	s_wait_dscnt 0x0
	v_add_nc_u32_e32 v25, v27, v26
	s_delay_alu instid0(VALU_DEP_1)
	v_add3_u32 v25, v25, v28, v29
.LBB494_86:                             ;   in Loop: Header=BB494_12 Depth=1
	s_or_b32 exec_lo, exec_lo, s7
	s_delay_alu instid0(VALU_DEP_1)
	v_mov_b32_dpp v26, v25 row_shr:1 row_mask:0xf bank_mask:0xf
	v_cmp_eq_u32_e64 s7, 0, v96
	v_cmp_lt_u32_e64 s8, 1, v96
	v_cmp_lt_u32_e64 s9, 3, v96
	;; [unrolled: 1-line block ×3, first 2 shown]
	v_cmp_eq_u32_e64 s11, 0, v98
	v_cndmask_b32_e64 v26, v26, 0, s7
	s_delay_alu instid0(VALU_DEP_1) | instskip(NEXT) | instid1(VALU_DEP_1)
	v_add_nc_u32_e32 v25, v26, v25
	v_mov_b32_dpp v26, v25 row_shr:2 row_mask:0xf bank_mask:0xf
	s_delay_alu instid0(VALU_DEP_1) | instskip(NEXT) | instid1(VALU_DEP_1)
	v_cndmask_b32_e64 v26, 0, v26, s8
	v_add_nc_u32_e32 v25, v25, v26
	s_delay_alu instid0(VALU_DEP_1) | instskip(NEXT) | instid1(VALU_DEP_1)
	v_mov_b32_dpp v26, v25 row_shr:4 row_mask:0xf bank_mask:0xf
	v_cndmask_b32_e64 v26, 0, v26, s9
	s_delay_alu instid0(VALU_DEP_1) | instskip(NEXT) | instid1(VALU_DEP_1)
	v_add_nc_u32_e32 v25, v25, v26
	v_mov_b32_dpp v26, v25 row_shr:8 row_mask:0xf bank_mask:0xf
	s_delay_alu instid0(VALU_DEP_1) | instskip(NEXT) | instid1(VALU_DEP_1)
	v_cndmask_b32_e64 v26, 0, v26, s10
	v_add_nc_u32_e32 v25, v25, v26
	ds_swizzle_b32 v26, v25 offset:swizzle(BROADCAST,32,15)
	s_wait_dscnt 0x0
	v_and_b32_e32 v26, v97, v26
	s_delay_alu instid0(VALU_DEP_1)
	v_add_nc_u32_e32 v25, v25, v26
	s_and_saveexec_b32 s12, s1
; %bb.87:                               ;   in Loop: Header=BB494_12 Depth=1
	ds_store_b32 v87, v25
; %bb.88:                               ;   in Loop: Header=BB494_12 Depth=1
	s_or_b32 exec_lo, exec_lo, s12
	s_wait_dscnt 0x0
	s_barrier_signal -1
	s_barrier_wait -1
	s_and_saveexec_b32 s12, s4
	s_cbranch_execz .LBB494_90
; %bb.89:                               ;   in Loop: Header=BB494_12 Depth=1
	ds_load_b32 v26, v88
	v_cmp_ne_u32_e32 vcc_lo, 0, v100
	s_wait_dscnt 0x0
	v_mov_b32_dpp v27, v26 row_shr:1 row_mask:0xf bank_mask:0xf
	s_delay_alu instid0(VALU_DEP_1) | instskip(SKIP_1) | instid1(VALU_DEP_2)
	v_cndmask_b32_e32 v27, 0, v27, vcc_lo
	v_cmp_lt_u32_e32 vcc_lo, 1, v100
	v_add_nc_u32_e32 v26, v27, v26
	s_delay_alu instid0(VALU_DEP_1) | instskip(NEXT) | instid1(VALU_DEP_1)
	v_mov_b32_dpp v27, v26 row_shr:2 row_mask:0xf bank_mask:0xf
	v_cndmask_b32_e32 v27, 0, v27, vcc_lo
	v_cmp_lt_u32_e32 vcc_lo, 3, v100
	s_delay_alu instid0(VALU_DEP_2) | instskip(NEXT) | instid1(VALU_DEP_1)
	v_add_nc_u32_e32 v26, v26, v27
	v_mov_b32_dpp v27, v26 row_shr:4 row_mask:0xf bank_mask:0xf
	s_delay_alu instid0(VALU_DEP_1) | instskip(NEXT) | instid1(VALU_DEP_1)
	v_cndmask_b32_e32 v27, 0, v27, vcc_lo
	v_add_nc_u32_e32 v26, v26, v27
	ds_store_b32 v88, v26
.LBB494_90:                             ;   in Loop: Header=BB494_12 Depth=1
	s_or_b32 exec_lo, exec_lo, s12
	v_mov_b32_e32 v26, 0
	s_wait_dscnt 0x0
	s_barrier_signal -1
	s_barrier_wait -1
	s_and_saveexec_b32 s12, s5
; %bb.91:                               ;   in Loop: Header=BB494_12 Depth=1
	ds_load_b32 v26, v89
; %bb.92:                               ;   in Loop: Header=BB494_12 Depth=1
	s_or_b32 exec_lo, exec_lo, s12
	v_cmp_gt_i32_e32 vcc_lo, 0, v101
	s_wait_dscnt 0x0
	s_barrier_signal -1
	s_barrier_wait -1
	v_dual_cndmask_b32 v27, v101, v94, vcc_lo :: v_dual_add_nc_u32 v25, v26, v25
	s_delay_alu instid0(VALU_DEP_1)
	v_lshlrev_b32_e32 v120, 2, v27
	ds_bpermute_b32 v25, v120, v25
	s_and_saveexec_b32 s12, s0
	s_cbranch_execz .LBB494_94
; %bb.93:                               ;   in Loop: Header=BB494_12 Depth=1
	s_wait_dscnt 0x0
	v_cndmask_b32_e64 v25, v25, v26, s6
	s_delay_alu instid0(VALU_DEP_1)
	v_add_nc_u32_e32 v25, s52, v25
	ds_store_b32 v4, v25
.LBB494_94:                             ;   in Loop: Header=BB494_12 Depth=1
	s_or_b32 exec_lo, exec_lo, s12
	s_clause 0x1
	s_load_b32 s12, s[34:35], 0x4
	s_load_b32 s14, s[34:35], 0xc
	s_mov_b32 s55, s54
                                        ; implicit-def: $vgpr32_vgpr33
                                        ; implicit-def: $vgpr34_vgpr35
                                        ; implicit-def: $vgpr36_vgpr37
                                        ; implicit-def: $vgpr38_vgpr39
                                        ; implicit-def: $vgpr40_vgpr41
                                        ; implicit-def: $vgpr42_vgpr43
                                        ; implicit-def: $vgpr44_vgpr45
                                        ; implicit-def: $vgpr46_vgpr47
                                        ; implicit-def: $vgpr48_vgpr49
                                        ; implicit-def: $vgpr50_vgpr51
                                        ; implicit-def: $vgpr52_vgpr53
                                        ; implicit-def: $vgpr54_vgpr55
                                        ; implicit-def: $vgpr56_vgpr57
                                        ; implicit-def: $vgpr58_vgpr59
                                        ; implicit-def: $vgpr60_vgpr61
                                        ; implicit-def: $vgpr121
                                        ; implicit-def: $vgpr122
                                        ; implicit-def: $vgpr123
                                        ; implicit-def: $vgpr124
                                        ; implicit-def: $vgpr125
                                        ; implicit-def: $vgpr126
                                        ; implicit-def: $vgpr127
                                        ; implicit-def: $vgpr128
                                        ; implicit-def: $vgpr129
                                        ; implicit-def: $vgpr130
                                        ; implicit-def: $vgpr131
                                        ; implicit-def: $vgpr132
                                        ; implicit-def: $vgpr133
                                        ; implicit-def: $vgpr134
                                        ; implicit-def: $vgpr135
                                        ; implicit-def: $vgpr136
	s_wait_kmcnt 0x0
	s_cmp_lt_u32 s42, s12
	s_cselect_b32 s30, 14, 20
	s_delay_alu instid0(SALU_CYCLE_1)
	s_add_nc_u64 s[12:13], s[34:35], s[30:31]
	s_mov_b32 s30, s52
	s_load_u16 s12, s[12:13], 0x0
	s_wait_xcnt 0x0
	v_cmp_lt_u32_e64 s13, 1, v100
	s_wait_dscnt 0x0
	s_wait_kmcnt 0x0
	v_mad_u32_u24 v25, v90, s12, v92
	s_and_b32 s12, s14, 0xffff
	v_cmp_lt_u32_e64 s14, 3, v100
	s_delay_alu instid0(VALU_DEP_2) | instskip(SKIP_2) | instid1(VALU_DEP_3)
	v_mad_u32 v26, v25, s12, v2
	v_mov_b32_e32 v25, v1
	v_cmp_eq_u32_e64 s12, 0, v100
	v_lshrrev_b32_e32 v30, 3, v26
	v_add_nc_u64_e32 v[26:27], v[6:7], v[0:1]
	s_delay_alu instid0(VALU_DEP_4) | instskip(NEXT) | instid1(VALU_DEP_3)
	v_add_nc_u64_e32 v[28:29], v[8:9], v[24:25]
	v_and_b32_e32 v25, 0x1ffffffc, v30
                                        ; implicit-def: $vgpr30_vgpr31
	s_branch .LBB494_96
.LBB494_95:                             ;   in Loop: Header=BB494_96 Depth=2
	s_or_b32 exec_lo, exec_lo, s15
	s_addk_co_i32 s55, 0xf000
	s_cmp_lt_u32 s56, s51
	s_mov_b32 s30, s56
	s_cbranch_scc0 .LBB494_304
.LBB494_96:                             ;   Parent Loop BB494_12 Depth=1
                                        ; =>  This Inner Loop Header: Depth=2
	s_add_co_i32 s56, s30, 0x1000
	s_delay_alu instid0(SALU_CYCLE_1)
	s_cmp_gt_u32 s56, s51
	s_cbranch_scc1 .LBB494_98
; %bb.97:                               ;   in Loop: Header=BB494_96 Depth=2
	s_delay_alu instid0(VALU_DEP_2)
	v_lshl_add_u64 v[62:63], s[30:31], 2, v[28:29]
	s_mov_b32 s15, -1
	s_clause 0xe
	global_load_b32 v139, v[62:63], off
	global_load_b32 v140, v[62:63], off offset:128
	global_load_b32 v143, v[62:63], off offset:256
	;; [unrolled: 1-line block ×14, first 2 shown]
	s_movk_i32 s16, 0x1000
	s_cbranch_execz .LBB494_99
	s_branch .LBB494_130
.LBB494_98:                             ;   in Loop: Header=BB494_96 Depth=2
	s_mov_b32 s15, 0
                                        ; implicit-def: $vgpr139
                                        ; implicit-def: $vgpr140
                                        ; implicit-def: $vgpr143
                                        ; implicit-def: $vgpr147
                                        ; implicit-def: $vgpr151
                                        ; implicit-def: $vgpr155
                                        ; implicit-def: $vgpr159
                                        ; implicit-def: $vgpr163
                                        ; implicit-def: $vgpr166
                                        ; implicit-def: $vgpr69
                                        ; implicit-def: $vgpr68
                                        ; implicit-def: $vgpr67
                                        ; implicit-def: $vgpr66
                                        ; implicit-def: $vgpr65
                                        ; implicit-def: $vgpr64
	s_movk_i32 s16, 0x1000
.LBB494_99:                             ;   in Loop: Header=BB494_96 Depth=2
	s_wait_xcnt 0x0
	v_lshl_add_u64 v[62:63], s[30:31], 2, v[28:29]
	s_wait_loadcnt 0xd
	v_bfrev_b32_e32 v140, 1
	v_bfrev_b32_e32 v139, 1
	s_mov_b32 s15, exec_lo
	v_cmpx_gt_u32_e64 s55, v99
	s_cbranch_execz .LBB494_101
; %bb.100:                              ;   in Loop: Header=BB494_96 Depth=2
	global_load_b32 v139, v[62:63], off
.LBB494_101:                            ;   in Loop: Header=BB494_96 Depth=2
	s_wait_xcnt 0x0
	s_or_b32 exec_lo, exec_lo, s15
	s_delay_alu instid0(SALU_CYCLE_1)
	s_mov_b32 s15, exec_lo
	v_cmpx_gt_u32_e64 s55, v102
	s_cbranch_execz .LBB494_103
; %bb.102:                              ;   in Loop: Header=BB494_96 Depth=2
	global_load_b32 v140, v[62:63], off offset:128
.LBB494_103:                            ;   in Loop: Header=BB494_96 Depth=2
	s_wait_xcnt 0x0
	s_or_b32 exec_lo, exec_lo, s15
	s_wait_loadcnt 0xb
	v_bfrev_b32_e32 v147, 1
	v_bfrev_b32_e32 v143, 1
	s_mov_b32 s15, exec_lo
	v_cmpx_gt_u32_e64 s55, v103
	s_cbranch_execz .LBB494_105
; %bb.104:                              ;   in Loop: Header=BB494_96 Depth=2
	global_load_b32 v143, v[62:63], off offset:256
.LBB494_105:                            ;   in Loop: Header=BB494_96 Depth=2
	s_wait_xcnt 0x0
	s_or_b32 exec_lo, exec_lo, s15
	s_delay_alu instid0(SALU_CYCLE_1)
	s_mov_b32 s15, exec_lo
	v_cmpx_gt_u32_e64 s55, v104
	s_cbranch_execz .LBB494_107
; %bb.106:                              ;   in Loop: Header=BB494_96 Depth=2
	global_load_b32 v147, v[62:63], off offset:384
.LBB494_107:                            ;   in Loop: Header=BB494_96 Depth=2
	s_wait_xcnt 0x0
	s_or_b32 exec_lo, exec_lo, s15
	s_wait_loadcnt 0x9
	v_bfrev_b32_e32 v155, 1
	v_bfrev_b32_e32 v151, 1
	s_mov_b32 s15, exec_lo
	v_cmpx_gt_u32_e64 s55, v105
	s_cbranch_execz .LBB494_109
; %bb.108:                              ;   in Loop: Header=BB494_96 Depth=2
	global_load_b32 v151, v[62:63], off offset:512
.LBB494_109:                            ;   in Loop: Header=BB494_96 Depth=2
	;; [unrolled: 20-line block ×6, first 2 shown]
	s_wait_xcnt 0x0
	s_or_b32 exec_lo, exec_lo, s15
	s_delay_alu instid0(SALU_CYCLE_1)
	s_mov_b32 s15, exec_lo
	v_cmpx_gt_u32_e64 s55, v114
	s_cbranch_execz .LBB494_127
; %bb.126:                              ;   in Loop: Header=BB494_96 Depth=2
	global_load_b32 v65, v[62:63], off offset:1664
.LBB494_127:                            ;   in Loop: Header=BB494_96 Depth=2
	s_wait_xcnt 0x0
	s_or_b32 exec_lo, exec_lo, s15
	s_wait_loadcnt 0x0
	v_bfrev_b32_e32 v64, 1
	s_mov_b32 s15, exec_lo
	v_cmpx_gt_u32_e64 s55, v115
	s_cbranch_execz .LBB494_129
; %bb.128:                              ;   in Loop: Header=BB494_96 Depth=2
	global_load_b32 v64, v[62:63], off offset:1792
.LBB494_129:                            ;   in Loop: Header=BB494_96 Depth=2
	s_wait_xcnt 0x0
	s_or_b32 exec_lo, exec_lo, s15
	v_cmp_gt_u32_e64 s15, s55, v116
	s_sub_co_i32 s16, s51, s30
.LBB494_130:                            ;   in Loop: Header=BB494_96 Depth=2
	v_dual_mov_b32 v138, -1 :: v_dual_mov_b32 v137, s55
	s_wait_xcnt 0x0
	s_and_saveexec_b32 s17, s15
	s_cbranch_execz .LBB494_132
; %bb.131:                              ;   in Loop: Header=BB494_96 Depth=2
	v_lshl_add_u64 v[62:63], s[30:31], 2, v[28:29]
	v_mov_b32_e32 v137, s16
	global_load_b32 v62, v[62:63], off offset:1920
	s_wait_loadcnt 0x0
	v_xor_b32_e32 v138, 0x7fffffff, v62
.LBB494_132:                            ;   in Loop: Header=BB494_96 Depth=2
	s_wait_xcnt 0x0
	s_or_b32 exec_lo, exec_lo, s17
	s_wait_loadcnt 0xe
	v_xor_b32_e32 v139, 0x7fffffff, v139
	ds_store_2addr_b32 v5, v1, v1 offset1:1
	ds_store_2addr_b32 v117, v1, v1 offset1:1
	ds_store_2addr_b32 v118, v1, v1 offset1:1
	ds_store_2addr_b32 v119, v1, v1 offset1:1
	ds_store_b32 v91, v1 offset:1088
	s_wait_loadcnt_dscnt 0x0
	s_barrier_signal -1
	v_lshrrev_b32_e32 v62, s43, v139
	s_barrier_wait -1
	; wave barrier
	s_delay_alu instid0(VALU_DEP_1) | instskip(NEXT) | instid1(VALU_DEP_1)
	v_and_b32_e32 v142, s48, v62
	v_lshlrev_b32_e32 v141, 30, v142
	v_bitop3_b32 v63, v62, 1, s48 bitop3:0x80
	s_delay_alu instid0(VALU_DEP_1) | instskip(NEXT) | instid1(VALU_DEP_1)
	v_add_co_u32 v62, s15, v63, -1
	v_cndmask_b32_e64 v63, 0, 1, s15
	s_delay_alu instid0(VALU_DEP_4) | instskip(NEXT) | instid1(VALU_DEP_2)
	v_cmp_gt_i32_e64 s15, 0, v141
	v_cmp_ne_u32_e32 vcc_lo, 0, v63
	v_not_b32_e32 v63, v141
	s_delay_alu instid0(VALU_DEP_1) | instskip(SKIP_3) | instid1(VALU_DEP_4)
	v_dual_ashrrev_i32 v63, 31, v63 :: v_dual_lshlrev_b32 v144, 29, v142
	v_dual_lshlrev_b32 v145, 28, v142 :: v_dual_lshlrev_b32 v146, 27, v142
	v_dual_lshlrev_b32 v148, 26, v142 :: v_dual_lshlrev_b32 v149, 25, v142
	v_lshlrev_b32_e32 v150, 24, v142
	v_cmp_gt_i32_e64 s16, 0, v144
	v_not_b32_e32 v141, v144
	v_not_b32_e32 v144, v145
	v_cmp_gt_i32_e64 s17, 0, v145
	v_cmp_gt_i32_e64 s18, 0, v146
	v_not_b32_e32 v145, v146
	v_not_b32_e32 v146, v148
	v_dual_ashrrev_i32 v141, 31, v141 :: v_dual_bitop2_b32 v62, vcc_lo, v62 bitop3:0x14
	v_dual_ashrrev_i32 v144, 31, v144 :: v_dual_bitop2_b32 v63, s15, v63 bitop3:0x14
	v_cmp_gt_i32_e64 s19, 0, v148
	v_not_b32_e32 v148, v149
	s_delay_alu instid0(VALU_DEP_3)
	v_dual_ashrrev_i32 v145, 31, v145 :: v_dual_bitop2_b32 v144, s17, v144 bitop3:0x14
	v_dual_ashrrev_i32 v146, 31, v146 :: v_dual_bitop2_b32 v141, s16, v141 bitop3:0x14
	v_bitop3_b32 v62, v62, v63, exec_lo bitop3:0x80
	v_not_b32_e32 v63, v150
	v_cmp_gt_i32_e64 s20, 0, v149
	v_dual_ashrrev_i32 v148, 31, v148 :: v_dual_bitop2_b32 v145, s18, v145 bitop3:0x14
	s_delay_alu instid0(VALU_DEP_4) | instskip(SKIP_2) | instid1(VALU_DEP_4)
	v_bitop3_b32 v62, v62, v144, v141 bitop3:0x80
	v_cmp_gt_i32_e32 vcc_lo, 0, v150
	v_dual_ashrrev_i32 v63, 31, v63 :: v_dual_bitop2_b32 v141, s19, v146 bitop3:0x14
	v_xor_b32_e32 v144, s20, v148
	s_delay_alu instid0(VALU_DEP_2) | instskip(NEXT) | instid1(VALU_DEP_3)
	v_xor_b32_e32 v63, vcc_lo, v63
	v_bitop3_b32 v62, v62, v141, v145 bitop3:0x80
	s_delay_alu instid0(VALU_DEP_1) | instskip(SKIP_1) | instid1(VALU_DEP_2)
	v_bitop3_b32 v62, v62, v63, v144 bitop3:0x80
	v_mul_u32_u24_e32 v63, 36, v142
	v_mbcnt_lo_u32_b32 v141, v62, 0
	v_cmp_ne_u32_e64 s15, 0, v62
	s_delay_alu instid0(VALU_DEP_3) | instskip(NEXT) | instid1(VALU_DEP_3)
	v_add_nc_u32_e32 v142, v25, v63
	v_cmp_eq_u32_e32 vcc_lo, 0, v141
	s_and_b32 s16, s15, vcc_lo
	s_delay_alu instid0(SALU_CYCLE_1)
	s_and_saveexec_b32 s15, s16
; %bb.133:                              ;   in Loop: Header=BB494_96 Depth=2
	v_bcnt_u32_b32 v62, v62, 0
	ds_store_b32 v142, v62 offset:1056
; %bb.134:                              ;   in Loop: Header=BB494_96 Depth=2
	s_or_b32 exec_lo, exec_lo, s15
	v_xor_b32_e32 v140, 0x7fffffff, v140
	; wave barrier
	s_delay_alu instid0(VALU_DEP_1) | instskip(NEXT) | instid1(VALU_DEP_1)
	v_lshrrev_b32_e32 v62, s43, v140
	v_and_b32_e32 v146, s48, v62
	s_delay_alu instid0(VALU_DEP_1) | instskip(SKIP_1) | instid1(VALU_DEP_1)
	v_lshlrev_b32_e32 v144, 30, v146
	v_bitop3_b32 v63, v62, 1, s48 bitop3:0x80
	v_add_co_u32 v62, s15, v63, -1
	s_delay_alu instid0(VALU_DEP_1) | instskip(NEXT) | instid1(VALU_DEP_4)
	v_cndmask_b32_e64 v63, 0, 1, s15
	v_cmp_gt_i32_e64 s15, 0, v144
	s_delay_alu instid0(VALU_DEP_2) | instskip(SKIP_1) | instid1(VALU_DEP_1)
	v_cmp_ne_u32_e32 vcc_lo, 0, v63
	v_not_b32_e32 v63, v144
	v_dual_ashrrev_i32 v63, 31, v63 :: v_dual_lshlrev_b32 v145, 29, v146
	v_dual_lshlrev_b32 v148, 28, v146 :: v_dual_lshlrev_b32 v149, 27, v146
	v_dual_lshlrev_b32 v150, 26, v146 :: v_dual_lshlrev_b32 v152, 25, v146
	v_lshlrev_b32_e32 v153, 24, v146
	s_delay_alu instid0(VALU_DEP_4)
	v_cmp_gt_i32_e64 s16, 0, v145
	v_not_b32_e32 v144, v145
	v_not_b32_e32 v145, v148
	v_cmp_gt_i32_e64 s17, 0, v148
	v_cmp_gt_i32_e64 s18, 0, v149
	v_not_b32_e32 v148, v149
	v_not_b32_e32 v149, v150
	v_dual_ashrrev_i32 v144, 31, v144 :: v_dual_bitop2_b32 v62, vcc_lo, v62 bitop3:0x14
	v_dual_ashrrev_i32 v145, 31, v145 :: v_dual_bitop2_b32 v63, s15, v63 bitop3:0x14
	v_cmp_gt_i32_e64 s19, 0, v150
	s_delay_alu instid0(VALU_DEP_4) | instskip(SKIP_1) | instid1(VALU_DEP_4)
	v_dual_ashrrev_i32 v148, 31, v148 :: v_dual_ashrrev_i32 v149, 31, v149
	v_not_b32_e32 v150, v153
	v_xor_b32_e32 v145, s17, v145
	v_bitop3_b32 v62, v62, v63, exec_lo bitop3:0x80
	v_not_b32_e32 v63, v152
	v_xor_b32_e32 v144, s16, v144
	v_cmp_gt_i32_e64 s20, 0, v152
	v_xor_b32_e32 v148, s18, v148
	s_delay_alu instid0(VALU_DEP_4) | instskip(NEXT) | instid1(VALU_DEP_4)
	v_dual_ashrrev_i32 v63, 31, v63 :: v_dual_bitop2_b32 v149, s19, v149 bitop3:0x14
	v_bitop3_b32 v62, v62, v145, v144 bitop3:0x80
	v_cmp_gt_i32_e32 vcc_lo, 0, v153
	v_ashrrev_i32_e32 v144, 31, v150
	v_mad_u32_u24 v145, v146, 36, v25
	v_xor_b32_e32 v63, s20, v63
	v_bitop3_b32 v62, v62, v149, v148 bitop3:0x80
	s_delay_alu instid0(VALU_DEP_4) | instskip(SKIP_3) | instid1(VALU_DEP_2)
	v_xor_b32_e32 v148, vcc_lo, v144
	ds_load_b32 v144, v145 offset:1056
	; wave barrier
	v_bitop3_b32 v62, v62, v148, v63 bitop3:0x80
	v_mul_u32_u24_e32 v63, 36, v146
	v_mbcnt_lo_u32_b32 v145, v62, 0
	v_cmp_ne_u32_e64 s15, 0, v62
	s_delay_alu instid0(VALU_DEP_3) | instskip(NEXT) | instid1(VALU_DEP_3)
	v_add_nc_u32_e32 v146, v25, v63
	v_cmp_eq_u32_e32 vcc_lo, 0, v145
	s_and_b32 s16, s15, vcc_lo
	s_delay_alu instid0(SALU_CYCLE_1)
	s_and_saveexec_b32 s15, s16
	s_cbranch_execz .LBB494_136
; %bb.135:                              ;   in Loop: Header=BB494_96 Depth=2
	s_wait_dscnt 0x0
	v_bcnt_u32_b32 v62, v62, v144
	ds_store_b32 v146, v62 offset:1056
.LBB494_136:                            ;   in Loop: Header=BB494_96 Depth=2
	s_or_b32 exec_lo, exec_lo, s15
	v_xor_b32_e32 v143, 0x7fffffff, v143
	; wave barrier
	s_delay_alu instid0(VALU_DEP_1) | instskip(NEXT) | instid1(VALU_DEP_1)
	v_lshrrev_b32_e32 v62, s43, v143
	v_and_b32_e32 v150, s48, v62
	s_delay_alu instid0(VALU_DEP_1) | instskip(SKIP_1) | instid1(VALU_DEP_1)
	v_lshlrev_b32_e32 v148, 30, v150
	v_bitop3_b32 v63, v62, 1, s48 bitop3:0x80
	v_add_co_u32 v62, s15, v63, -1
	s_delay_alu instid0(VALU_DEP_1) | instskip(NEXT) | instid1(VALU_DEP_4)
	v_cndmask_b32_e64 v63, 0, 1, s15
	v_cmp_gt_i32_e64 s15, 0, v148
	s_delay_alu instid0(VALU_DEP_2) | instskip(SKIP_1) | instid1(VALU_DEP_1)
	v_cmp_ne_u32_e32 vcc_lo, 0, v63
	v_not_b32_e32 v63, v148
	v_dual_ashrrev_i32 v63, 31, v63 :: v_dual_lshlrev_b32 v149, 29, v150
	v_dual_lshlrev_b32 v152, 28, v150 :: v_dual_lshlrev_b32 v153, 27, v150
	v_dual_lshlrev_b32 v154, 26, v150 :: v_dual_lshlrev_b32 v156, 25, v150
	v_lshlrev_b32_e32 v157, 24, v150
	s_delay_alu instid0(VALU_DEP_4)
	v_cmp_gt_i32_e64 s16, 0, v149
	v_not_b32_e32 v148, v149
	v_not_b32_e32 v149, v152
	v_cmp_gt_i32_e64 s17, 0, v152
	v_cmp_gt_i32_e64 s18, 0, v153
	v_not_b32_e32 v152, v153
	v_not_b32_e32 v153, v154
	v_dual_ashrrev_i32 v148, 31, v148 :: v_dual_bitop2_b32 v62, vcc_lo, v62 bitop3:0x14
	v_dual_ashrrev_i32 v149, 31, v149 :: v_dual_bitop2_b32 v63, s15, v63 bitop3:0x14
	v_cmp_gt_i32_e64 s19, 0, v154
	s_delay_alu instid0(VALU_DEP_4) | instskip(SKIP_1) | instid1(VALU_DEP_4)
	v_dual_ashrrev_i32 v152, 31, v152 :: v_dual_ashrrev_i32 v153, 31, v153
	v_not_b32_e32 v154, v157
	v_xor_b32_e32 v149, s17, v149
	v_bitop3_b32 v62, v62, v63, exec_lo bitop3:0x80
	v_not_b32_e32 v63, v156
	v_xor_b32_e32 v148, s16, v148
	v_cmp_gt_i32_e64 s20, 0, v156
	v_xor_b32_e32 v152, s18, v152
	s_delay_alu instid0(VALU_DEP_4) | instskip(NEXT) | instid1(VALU_DEP_4)
	v_dual_ashrrev_i32 v63, 31, v63 :: v_dual_bitop2_b32 v153, s19, v153 bitop3:0x14
	v_bitop3_b32 v62, v62, v149, v148 bitop3:0x80
	v_cmp_gt_i32_e32 vcc_lo, 0, v157
	v_ashrrev_i32_e32 v148, 31, v154
	v_mad_u32_u24 v149, v150, 36, v25
	v_xor_b32_e32 v63, s20, v63
	v_bitop3_b32 v62, v62, v153, v152 bitop3:0x80
	s_delay_alu instid0(VALU_DEP_4) | instskip(SKIP_3) | instid1(VALU_DEP_2)
	v_xor_b32_e32 v152, vcc_lo, v148
	ds_load_b32 v148, v149 offset:1056
	; wave barrier
	v_bitop3_b32 v62, v62, v152, v63 bitop3:0x80
	v_mul_u32_u24_e32 v63, 36, v150
	v_mbcnt_lo_u32_b32 v149, v62, 0
	v_cmp_ne_u32_e64 s15, 0, v62
	s_delay_alu instid0(VALU_DEP_3) | instskip(NEXT) | instid1(VALU_DEP_3)
	v_add_nc_u32_e32 v150, v25, v63
	v_cmp_eq_u32_e32 vcc_lo, 0, v149
	s_and_b32 s16, s15, vcc_lo
	s_delay_alu instid0(SALU_CYCLE_1)
	s_and_saveexec_b32 s15, s16
	s_cbranch_execz .LBB494_138
; %bb.137:                              ;   in Loop: Header=BB494_96 Depth=2
	s_wait_dscnt 0x0
	v_bcnt_u32_b32 v62, v62, v148
	ds_store_b32 v150, v62 offset:1056
.LBB494_138:                            ;   in Loop: Header=BB494_96 Depth=2
	s_or_b32 exec_lo, exec_lo, s15
	v_xor_b32_e32 v147, 0x7fffffff, v147
	; wave barrier
	s_delay_alu instid0(VALU_DEP_1) | instskip(NEXT) | instid1(VALU_DEP_1)
	v_lshrrev_b32_e32 v62, s43, v147
	v_and_b32_e32 v154, s48, v62
	s_delay_alu instid0(VALU_DEP_1) | instskip(SKIP_1) | instid1(VALU_DEP_1)
	v_lshlrev_b32_e32 v152, 30, v154
	v_bitop3_b32 v63, v62, 1, s48 bitop3:0x80
	v_add_co_u32 v62, s15, v63, -1
	s_delay_alu instid0(VALU_DEP_1) | instskip(NEXT) | instid1(VALU_DEP_4)
	v_cndmask_b32_e64 v63, 0, 1, s15
	v_cmp_gt_i32_e64 s15, 0, v152
	s_delay_alu instid0(VALU_DEP_2) | instskip(SKIP_1) | instid1(VALU_DEP_1)
	v_cmp_ne_u32_e32 vcc_lo, 0, v63
	v_not_b32_e32 v63, v152
	v_dual_ashrrev_i32 v63, 31, v63 :: v_dual_lshlrev_b32 v153, 29, v154
	v_dual_lshlrev_b32 v156, 28, v154 :: v_dual_lshlrev_b32 v157, 27, v154
	v_dual_lshlrev_b32 v158, 26, v154 :: v_dual_lshlrev_b32 v160, 25, v154
	v_lshlrev_b32_e32 v161, 24, v154
	s_delay_alu instid0(VALU_DEP_4)
	v_cmp_gt_i32_e64 s16, 0, v153
	v_not_b32_e32 v152, v153
	v_not_b32_e32 v153, v156
	v_cmp_gt_i32_e64 s17, 0, v156
	v_cmp_gt_i32_e64 s18, 0, v157
	v_not_b32_e32 v156, v157
	v_not_b32_e32 v157, v158
	v_dual_ashrrev_i32 v152, 31, v152 :: v_dual_bitop2_b32 v62, vcc_lo, v62 bitop3:0x14
	v_dual_ashrrev_i32 v153, 31, v153 :: v_dual_bitop2_b32 v63, s15, v63 bitop3:0x14
	v_cmp_gt_i32_e64 s19, 0, v158
	s_delay_alu instid0(VALU_DEP_4) | instskip(SKIP_1) | instid1(VALU_DEP_4)
	v_dual_ashrrev_i32 v156, 31, v156 :: v_dual_ashrrev_i32 v157, 31, v157
	v_not_b32_e32 v158, v161
	v_xor_b32_e32 v153, s17, v153
	v_bitop3_b32 v62, v62, v63, exec_lo bitop3:0x80
	v_not_b32_e32 v63, v160
	v_xor_b32_e32 v152, s16, v152
	v_cmp_gt_i32_e64 s20, 0, v160
	v_xor_b32_e32 v156, s18, v156
	s_delay_alu instid0(VALU_DEP_4) | instskip(NEXT) | instid1(VALU_DEP_4)
	v_dual_ashrrev_i32 v63, 31, v63 :: v_dual_bitop2_b32 v157, s19, v157 bitop3:0x14
	v_bitop3_b32 v62, v62, v153, v152 bitop3:0x80
	v_cmp_gt_i32_e32 vcc_lo, 0, v161
	v_ashrrev_i32_e32 v152, 31, v158
	v_mad_u32_u24 v153, v154, 36, v25
	v_xor_b32_e32 v63, s20, v63
	v_bitop3_b32 v62, v62, v157, v156 bitop3:0x80
	s_delay_alu instid0(VALU_DEP_4) | instskip(SKIP_3) | instid1(VALU_DEP_2)
	v_xor_b32_e32 v156, vcc_lo, v152
	ds_load_b32 v152, v153 offset:1056
	; wave barrier
	v_bitop3_b32 v62, v62, v156, v63 bitop3:0x80
	v_mul_u32_u24_e32 v63, 36, v154
	v_mbcnt_lo_u32_b32 v153, v62, 0
	v_cmp_ne_u32_e64 s15, 0, v62
	s_delay_alu instid0(VALU_DEP_3) | instskip(NEXT) | instid1(VALU_DEP_3)
	v_add_nc_u32_e32 v154, v25, v63
	v_cmp_eq_u32_e32 vcc_lo, 0, v153
	s_and_b32 s16, s15, vcc_lo
	s_delay_alu instid0(SALU_CYCLE_1)
	s_and_saveexec_b32 s15, s16
	s_cbranch_execz .LBB494_140
; %bb.139:                              ;   in Loop: Header=BB494_96 Depth=2
	s_wait_dscnt 0x0
	v_bcnt_u32_b32 v62, v62, v152
	ds_store_b32 v154, v62 offset:1056
.LBB494_140:                            ;   in Loop: Header=BB494_96 Depth=2
	s_or_b32 exec_lo, exec_lo, s15
	v_xor_b32_e32 v151, 0x7fffffff, v151
	; wave barrier
	s_delay_alu instid0(VALU_DEP_1) | instskip(NEXT) | instid1(VALU_DEP_1)
	v_lshrrev_b32_e32 v62, s43, v151
	v_and_b32_e32 v158, s48, v62
	s_delay_alu instid0(VALU_DEP_1) | instskip(SKIP_1) | instid1(VALU_DEP_1)
	v_lshlrev_b32_e32 v156, 30, v158
	v_bitop3_b32 v63, v62, 1, s48 bitop3:0x80
	v_add_co_u32 v62, s15, v63, -1
	s_delay_alu instid0(VALU_DEP_1) | instskip(NEXT) | instid1(VALU_DEP_4)
	v_cndmask_b32_e64 v63, 0, 1, s15
	v_cmp_gt_i32_e64 s15, 0, v156
	s_delay_alu instid0(VALU_DEP_2) | instskip(SKIP_1) | instid1(VALU_DEP_1)
	v_cmp_ne_u32_e32 vcc_lo, 0, v63
	v_not_b32_e32 v63, v156
	v_dual_ashrrev_i32 v63, 31, v63 :: v_dual_lshlrev_b32 v157, 29, v158
	v_dual_lshlrev_b32 v160, 28, v158 :: v_dual_lshlrev_b32 v161, 27, v158
	v_dual_lshlrev_b32 v162, 26, v158 :: v_dual_lshlrev_b32 v164, 25, v158
	v_lshlrev_b32_e32 v165, 24, v158
	s_delay_alu instid0(VALU_DEP_4)
	v_cmp_gt_i32_e64 s16, 0, v157
	v_not_b32_e32 v156, v157
	v_not_b32_e32 v157, v160
	v_cmp_gt_i32_e64 s17, 0, v160
	v_cmp_gt_i32_e64 s18, 0, v161
	v_not_b32_e32 v160, v161
	v_not_b32_e32 v161, v162
	v_dual_ashrrev_i32 v156, 31, v156 :: v_dual_bitop2_b32 v62, vcc_lo, v62 bitop3:0x14
	v_dual_ashrrev_i32 v157, 31, v157 :: v_dual_bitop2_b32 v63, s15, v63 bitop3:0x14
	v_cmp_gt_i32_e64 s19, 0, v162
	s_delay_alu instid0(VALU_DEP_4) | instskip(SKIP_1) | instid1(VALU_DEP_4)
	v_dual_ashrrev_i32 v160, 31, v160 :: v_dual_ashrrev_i32 v161, 31, v161
	v_not_b32_e32 v162, v165
	v_xor_b32_e32 v157, s17, v157
	v_bitop3_b32 v62, v62, v63, exec_lo bitop3:0x80
	v_not_b32_e32 v63, v164
	v_xor_b32_e32 v156, s16, v156
	v_cmp_gt_i32_e64 s20, 0, v164
	v_xor_b32_e32 v160, s18, v160
	s_delay_alu instid0(VALU_DEP_4) | instskip(NEXT) | instid1(VALU_DEP_4)
	v_dual_ashrrev_i32 v63, 31, v63 :: v_dual_bitop2_b32 v161, s19, v161 bitop3:0x14
	v_bitop3_b32 v62, v62, v157, v156 bitop3:0x80
	v_cmp_gt_i32_e32 vcc_lo, 0, v165
	v_ashrrev_i32_e32 v156, 31, v162
	v_mad_u32_u24 v157, v158, 36, v25
	v_xor_b32_e32 v63, s20, v63
	v_bitop3_b32 v62, v62, v161, v160 bitop3:0x80
	s_delay_alu instid0(VALU_DEP_4) | instskip(SKIP_3) | instid1(VALU_DEP_2)
	v_xor_b32_e32 v160, vcc_lo, v156
	ds_load_b32 v156, v157 offset:1056
	; wave barrier
	v_bitop3_b32 v62, v62, v160, v63 bitop3:0x80
	v_mul_u32_u24_e32 v63, 36, v158
	v_mbcnt_lo_u32_b32 v157, v62, 0
	v_cmp_ne_u32_e64 s15, 0, v62
	s_delay_alu instid0(VALU_DEP_3) | instskip(NEXT) | instid1(VALU_DEP_3)
	v_add_nc_u32_e32 v158, v25, v63
	v_cmp_eq_u32_e32 vcc_lo, 0, v157
	s_and_b32 s16, s15, vcc_lo
	s_delay_alu instid0(SALU_CYCLE_1)
	s_and_saveexec_b32 s15, s16
	s_cbranch_execz .LBB494_142
; %bb.141:                              ;   in Loop: Header=BB494_96 Depth=2
	s_wait_dscnt 0x0
	v_bcnt_u32_b32 v62, v62, v156
	ds_store_b32 v158, v62 offset:1056
.LBB494_142:                            ;   in Loop: Header=BB494_96 Depth=2
	s_or_b32 exec_lo, exec_lo, s15
	v_xor_b32_e32 v155, 0x7fffffff, v155
	; wave barrier
	s_delay_alu instid0(VALU_DEP_1) | instskip(NEXT) | instid1(VALU_DEP_1)
	v_lshrrev_b32_e32 v62, s43, v155
	v_and_b32_e32 v162, s48, v62
	s_delay_alu instid0(VALU_DEP_1) | instskip(SKIP_1) | instid1(VALU_DEP_1)
	v_lshlrev_b32_e32 v160, 30, v162
	v_bitop3_b32 v63, v62, 1, s48 bitop3:0x80
	v_add_co_u32 v62, s15, v63, -1
	s_delay_alu instid0(VALU_DEP_1) | instskip(NEXT) | instid1(VALU_DEP_4)
	v_cndmask_b32_e64 v63, 0, 1, s15
	v_cmp_gt_i32_e64 s15, 0, v160
	s_delay_alu instid0(VALU_DEP_2) | instskip(SKIP_1) | instid1(VALU_DEP_1)
	v_cmp_ne_u32_e32 vcc_lo, 0, v63
	v_not_b32_e32 v63, v160
	v_dual_ashrrev_i32 v63, 31, v63 :: v_dual_lshlrev_b32 v161, 29, v162
	v_dual_lshlrev_b32 v164, 28, v162 :: v_dual_lshlrev_b32 v165, 27, v162
	v_dual_lshlrev_b32 v167, 26, v162 :: v_dual_lshlrev_b32 v168, 25, v162
	v_lshlrev_b32_e32 v169, 24, v162
	s_delay_alu instid0(VALU_DEP_4)
	v_cmp_gt_i32_e64 s16, 0, v161
	v_not_b32_e32 v160, v161
	v_not_b32_e32 v161, v164
	v_cmp_gt_i32_e64 s17, 0, v164
	v_cmp_gt_i32_e64 s18, 0, v165
	v_not_b32_e32 v164, v165
	v_not_b32_e32 v165, v167
	v_dual_ashrrev_i32 v160, 31, v160 :: v_dual_bitop2_b32 v62, vcc_lo, v62 bitop3:0x14
	v_dual_ashrrev_i32 v161, 31, v161 :: v_dual_bitop2_b32 v63, s15, v63 bitop3:0x14
	v_cmp_gt_i32_e64 s19, 0, v167
	s_delay_alu instid0(VALU_DEP_4) | instskip(SKIP_1) | instid1(VALU_DEP_4)
	v_dual_ashrrev_i32 v164, 31, v164 :: v_dual_ashrrev_i32 v165, 31, v165
	v_not_b32_e32 v167, v169
	v_xor_b32_e32 v161, s17, v161
	v_bitop3_b32 v62, v62, v63, exec_lo bitop3:0x80
	v_not_b32_e32 v63, v168
	v_xor_b32_e32 v160, s16, v160
	v_cmp_gt_i32_e64 s20, 0, v168
	v_xor_b32_e32 v164, s18, v164
	s_delay_alu instid0(VALU_DEP_4) | instskip(NEXT) | instid1(VALU_DEP_4)
	v_dual_ashrrev_i32 v63, 31, v63 :: v_dual_bitop2_b32 v165, s19, v165 bitop3:0x14
	v_bitop3_b32 v62, v62, v161, v160 bitop3:0x80
	v_cmp_gt_i32_e32 vcc_lo, 0, v169
	v_ashrrev_i32_e32 v160, 31, v167
	v_mad_u32_u24 v161, v162, 36, v25
	v_xor_b32_e32 v63, s20, v63
	v_bitop3_b32 v62, v62, v165, v164 bitop3:0x80
	s_delay_alu instid0(VALU_DEP_4) | instskip(SKIP_3) | instid1(VALU_DEP_2)
	v_xor_b32_e32 v164, vcc_lo, v160
	ds_load_b32 v160, v161 offset:1056
	; wave barrier
	v_bitop3_b32 v62, v62, v164, v63 bitop3:0x80
	v_mul_u32_u24_e32 v63, 36, v162
	v_mbcnt_lo_u32_b32 v161, v62, 0
	v_cmp_ne_u32_e64 s15, 0, v62
	s_delay_alu instid0(VALU_DEP_3) | instskip(NEXT) | instid1(VALU_DEP_3)
	v_add_nc_u32_e32 v162, v25, v63
	v_cmp_eq_u32_e32 vcc_lo, 0, v161
	s_and_b32 s16, s15, vcc_lo
	s_delay_alu instid0(SALU_CYCLE_1)
	s_and_saveexec_b32 s15, s16
	s_cbranch_execz .LBB494_144
; %bb.143:                              ;   in Loop: Header=BB494_96 Depth=2
	s_wait_dscnt 0x0
	v_bcnt_u32_b32 v62, v62, v160
	ds_store_b32 v162, v62 offset:1056
.LBB494_144:                            ;   in Loop: Header=BB494_96 Depth=2
	s_or_b32 exec_lo, exec_lo, s15
	v_xor_b32_e32 v159, 0x7fffffff, v159
	; wave barrier
	s_delay_alu instid0(VALU_DEP_1) | instskip(NEXT) | instid1(VALU_DEP_1)
	v_lshrrev_b32_e32 v62, s43, v159
	v_bitop3_b32 v63, v62, 1, s48 bitop3:0x80
	v_and_b32_e32 v167, s48, v62
	s_delay_alu instid0(VALU_DEP_2) | instskip(NEXT) | instid1(VALU_DEP_1)
	v_add_co_u32 v62, s15, v63, -1
	v_cndmask_b32_e64 v63, 0, 1, s15
	s_delay_alu instid0(VALU_DEP_3) | instskip(NEXT) | instid1(VALU_DEP_2)
	v_lshlrev_b32_e32 v164, 30, v167
	v_cmp_ne_u32_e32 vcc_lo, 0, v63
	s_delay_alu instid0(VALU_DEP_2) | instskip(NEXT) | instid1(VALU_DEP_1)
	v_not_b32_e32 v63, v164
	v_dual_ashrrev_i32 v63, 31, v63 :: v_dual_bitop2_b32 v62, vcc_lo, v62 bitop3:0x14
	v_dual_lshlrev_b32 v165, 29, v167 :: v_dual_lshlrev_b32 v168, 28, v167
	v_dual_lshlrev_b32 v169, 27, v167 :: v_dual_lshlrev_b32 v170, 26, v167
	v_lshlrev_b32_e32 v171, 25, v167
	v_cmp_gt_i32_e64 s15, 0, v164
	s_delay_alu instid0(VALU_DEP_4)
	v_cmp_gt_i32_e64 s16, 0, v165
	v_not_b32_e32 v164, v165
	v_not_b32_e32 v165, v168
	v_lshlrev_b32_e32 v172, 24, v167
	v_cmp_gt_i32_e64 s17, 0, v168
	v_cmp_gt_i32_e64 s18, 0, v169
	v_not_b32_e32 v168, v169
	v_not_b32_e32 v169, v170
	v_dual_ashrrev_i32 v164, 31, v164 :: v_dual_ashrrev_i32 v165, 31, v165
	v_xor_b32_e32 v63, s15, v63
	v_cmp_gt_i32_e64 s19, 0, v170
	s_delay_alu instid0(VALU_DEP_4)
	v_dual_ashrrev_i32 v168, 31, v168 :: v_dual_ashrrev_i32 v169, 31, v169
	v_not_b32_e32 v170, v172
	v_xor_b32_e32 v165, s17, v165
	v_bitop3_b32 v62, v62, v63, exec_lo bitop3:0x80
	v_not_b32_e32 v63, v171
	v_xor_b32_e32 v164, s16, v164
	v_cmp_gt_i32_e64 s20, 0, v171
	v_xor_b32_e32 v168, s18, v168
	s_delay_alu instid0(VALU_DEP_4) | instskip(NEXT) | instid1(VALU_DEP_4)
	v_dual_ashrrev_i32 v63, 31, v63 :: v_dual_bitop2_b32 v169, s19, v169 bitop3:0x14
	v_bitop3_b32 v62, v62, v165, v164 bitop3:0x80
	v_cmp_gt_i32_e32 vcc_lo, 0, v172
	v_ashrrev_i32_e32 v164, 31, v170
	v_mad_u32_u24 v165, v167, 36, v25
	v_xor_b32_e32 v63, s20, v63
	v_bitop3_b32 v62, v62, v169, v168 bitop3:0x80
	s_delay_alu instid0(VALU_DEP_4) | instskip(SKIP_3) | instid1(VALU_DEP_2)
	v_xor_b32_e32 v168, vcc_lo, v164
	ds_load_b32 v164, v165 offset:1056
	; wave barrier
	v_bitop3_b32 v62, v62, v168, v63 bitop3:0x80
	v_mul_u32_u24_e32 v63, 36, v167
	v_mbcnt_lo_u32_b32 v165, v62, 0
	v_cmp_ne_u32_e64 s15, 0, v62
	s_delay_alu instid0(VALU_DEP_3) | instskip(NEXT) | instid1(VALU_DEP_3)
	v_add_nc_u32_e32 v167, v25, v63
	v_cmp_eq_u32_e32 vcc_lo, 0, v165
	s_and_b32 s16, s15, vcc_lo
	s_delay_alu instid0(SALU_CYCLE_1)
	s_and_saveexec_b32 s15, s16
	s_cbranch_execz .LBB494_146
; %bb.145:                              ;   in Loop: Header=BB494_96 Depth=2
	s_wait_dscnt 0x0
	v_bcnt_u32_b32 v62, v62, v164
	ds_store_b32 v167, v62 offset:1056
.LBB494_146:                            ;   in Loop: Header=BB494_96 Depth=2
	s_or_b32 exec_lo, exec_lo, s15
	v_xor_b32_e32 v163, 0x7fffffff, v163
	; wave barrier
	s_delay_alu instid0(VALU_DEP_1) | instskip(NEXT) | instid1(VALU_DEP_1)
	v_lshrrev_b32_e32 v62, s43, v163
	v_and_b32_e32 v170, s48, v62
	s_delay_alu instid0(VALU_DEP_1) | instskip(SKIP_1) | instid1(VALU_DEP_1)
	v_lshlrev_b32_e32 v168, 30, v170
	v_bitop3_b32 v63, v62, 1, s48 bitop3:0x80
	v_add_co_u32 v62, s15, v63, -1
	s_delay_alu instid0(VALU_DEP_1) | instskip(NEXT) | instid1(VALU_DEP_4)
	v_cndmask_b32_e64 v63, 0, 1, s15
	v_cmp_gt_i32_e64 s15, 0, v168
	s_delay_alu instid0(VALU_DEP_2) | instskip(SKIP_1) | instid1(VALU_DEP_1)
	v_cmp_ne_u32_e32 vcc_lo, 0, v63
	v_not_b32_e32 v63, v168
	v_dual_ashrrev_i32 v63, 31, v63 :: v_dual_lshlrev_b32 v169, 29, v170
	v_dual_lshlrev_b32 v171, 28, v170 :: v_dual_lshlrev_b32 v172, 27, v170
	v_dual_lshlrev_b32 v173, 26, v170 :: v_dual_lshlrev_b32 v174, 25, v170
	v_lshlrev_b32_e32 v175, 24, v170
	s_delay_alu instid0(VALU_DEP_4)
	v_cmp_gt_i32_e64 s16, 0, v169
	v_not_b32_e32 v168, v169
	v_not_b32_e32 v169, v171
	v_cmp_gt_i32_e64 s17, 0, v171
	v_cmp_gt_i32_e64 s18, 0, v172
	v_not_b32_e32 v171, v172
	v_not_b32_e32 v172, v173
	v_dual_ashrrev_i32 v168, 31, v168 :: v_dual_bitop2_b32 v62, vcc_lo, v62 bitop3:0x14
	v_dual_ashrrev_i32 v169, 31, v169 :: v_dual_bitop2_b32 v63, s15, v63 bitop3:0x14
	v_cmp_gt_i32_e64 s19, 0, v173
	s_delay_alu instid0(VALU_DEP_4) | instskip(NEXT) | instid1(VALU_DEP_3)
	v_dual_ashrrev_i32 v171, 31, v171 :: v_dual_ashrrev_i32 v172, 31, v172
	v_xor_b32_e32 v169, s17, v169
	s_delay_alu instid0(VALU_DEP_4)
	v_bitop3_b32 v62, v62, v63, exec_lo bitop3:0x80
	v_not_b32_e32 v63, v174
	v_xor_b32_e32 v168, s16, v168
	v_not_b32_e32 v173, v175
	v_cmp_gt_i32_e64 s20, 0, v174
	v_xor_b32_e32 v171, s18, v171
	v_dual_ashrrev_i32 v63, 31, v63 :: v_dual_bitop2_b32 v172, s19, v172 bitop3:0x14
	v_bitop3_b32 v62, v62, v169, v168 bitop3:0x80
	v_cmp_gt_i32_e32 vcc_lo, 0, v175
	v_ashrrev_i32_e32 v168, 31, v173
	v_mad_u32_u24 v169, v170, 36, v25
	v_xor_b32_e32 v63, s20, v63
	v_bitop3_b32 v62, v62, v172, v171 bitop3:0x80
	s_delay_alu instid0(VALU_DEP_4) | instskip(SKIP_3) | instid1(VALU_DEP_2)
	v_xor_b32_e32 v171, vcc_lo, v168
	ds_load_b32 v168, v169 offset:1056
	; wave barrier
	v_bitop3_b32 v62, v62, v171, v63 bitop3:0x80
	v_mul_u32_u24_e32 v63, 36, v170
	v_mbcnt_lo_u32_b32 v169, v62, 0
	v_cmp_ne_u32_e64 s15, 0, v62
	s_delay_alu instid0(VALU_DEP_3) | instskip(NEXT) | instid1(VALU_DEP_3)
	v_add_nc_u32_e32 v170, v25, v63
	v_cmp_eq_u32_e32 vcc_lo, 0, v169
	s_and_b32 s16, s15, vcc_lo
	s_delay_alu instid0(SALU_CYCLE_1)
	s_and_saveexec_b32 s15, s16
	s_cbranch_execz .LBB494_148
; %bb.147:                              ;   in Loop: Header=BB494_96 Depth=2
	s_wait_dscnt 0x0
	v_bcnt_u32_b32 v62, v62, v168
	ds_store_b32 v170, v62 offset:1056
.LBB494_148:                            ;   in Loop: Header=BB494_96 Depth=2
	s_or_b32 exec_lo, exec_lo, s15
	v_xor_b32_e32 v166, 0x7fffffff, v166
	; wave barrier
	s_delay_alu instid0(VALU_DEP_1) | instskip(NEXT) | instid1(VALU_DEP_1)
	v_lshrrev_b32_e32 v62, s43, v166
	v_and_b32_e32 v171, s48, v62
	s_delay_alu instid0(VALU_DEP_1) | instskip(SKIP_1) | instid1(VALU_DEP_1)
	v_lshlrev_b32_e32 v172, 30, v171
	v_bitop3_b32 v63, v62, 1, s48 bitop3:0x80
	v_add_co_u32 v62, s15, v63, -1
	s_delay_alu instid0(VALU_DEP_1) | instskip(NEXT) | instid1(VALU_DEP_4)
	v_cndmask_b32_e64 v63, 0, 1, s15
	v_cmp_gt_i32_e64 s15, 0, v172
	s_delay_alu instid0(VALU_DEP_2) | instskip(SKIP_1) | instid1(VALU_DEP_1)
	v_cmp_ne_u32_e32 vcc_lo, 0, v63
	v_not_b32_e32 v63, v172
	v_ashrrev_i32_e32 v63, 31, v63
	v_dual_lshlrev_b32 v173, 29, v171 :: v_dual_lshlrev_b32 v174, 28, v171
	v_dual_lshlrev_b32 v175, 27, v171 :: v_dual_lshlrev_b32 v176, 26, v171
	;; [unrolled: 1-line block ×3, first 2 shown]
	s_delay_alu instid0(VALU_DEP_3)
	v_cmp_gt_i32_e64 s16, 0, v173
	v_not_b32_e32 v172, v173
	v_not_b32_e32 v173, v174
	v_cmp_gt_i32_e64 s17, 0, v174
	v_cmp_gt_i32_e64 s18, 0, v175
	v_not_b32_e32 v174, v175
	v_not_b32_e32 v175, v176
	v_dual_ashrrev_i32 v172, 31, v172 :: v_dual_bitop2_b32 v62, vcc_lo, v62 bitop3:0x14
	v_dual_ashrrev_i32 v173, 31, v173 :: v_dual_bitop2_b32 v63, s15, v63 bitop3:0x14
	v_cmp_gt_i32_e64 s19, 0, v176
	s_delay_alu instid0(VALU_DEP_4) | instskip(SKIP_1) | instid1(VALU_DEP_4)
	v_dual_ashrrev_i32 v174, 31, v174 :: v_dual_ashrrev_i32 v175, 31, v175
	v_not_b32_e32 v176, v178
	v_xor_b32_e32 v173, s17, v173
	v_bitop3_b32 v62, v62, v63, exec_lo bitop3:0x80
	v_not_b32_e32 v63, v177
	v_xor_b32_e32 v172, s16, v172
	v_cmp_gt_i32_e64 s20, 0, v177
	v_xor_b32_e32 v174, s18, v174
	v_xor_b32_e32 v175, s19, v175
	v_ashrrev_i32_e32 v63, 31, v63
	v_bitop3_b32 v62, v62, v173, v172 bitop3:0x80
	v_cmp_gt_i32_e32 vcc_lo, 0, v178
	v_ashrrev_i32_e32 v172, 31, v176
	v_mad_u32_u24 v173, v171, 36, v25
	v_xor_b32_e32 v63, s20, v63
	v_bitop3_b32 v62, v62, v175, v174 bitop3:0x80
	s_delay_alu instid0(VALU_DEP_4) | instskip(SKIP_3) | instid1(VALU_DEP_2)
	v_xor_b32_e32 v174, vcc_lo, v172
	ds_load_b32 v172, v173 offset:1056
	; wave barrier
	v_bitop3_b32 v62, v62, v174, v63 bitop3:0x80
	v_mul_u32_u24_e32 v63, 36, v171
	v_mbcnt_lo_u32_b32 v173, v62, 0
	v_cmp_ne_u32_e64 s15, 0, v62
	s_delay_alu instid0(VALU_DEP_3) | instskip(NEXT) | instid1(VALU_DEP_3)
	v_add_nc_u32_e32 v174, v25, v63
	v_cmp_eq_u32_e32 vcc_lo, 0, v173
	s_and_b32 s16, s15, vcc_lo
	s_delay_alu instid0(SALU_CYCLE_1)
	s_and_saveexec_b32 s15, s16
	s_cbranch_execz .LBB494_150
; %bb.149:                              ;   in Loop: Header=BB494_96 Depth=2
	s_wait_dscnt 0x0
	v_bcnt_u32_b32 v62, v62, v172
	ds_store_b32 v174, v62 offset:1056
.LBB494_150:                            ;   in Loop: Header=BB494_96 Depth=2
	s_or_b32 exec_lo, exec_lo, s15
	v_xor_b32_e32 v171, 0x7fffffff, v69
	; wave barrier
	s_delay_alu instid0(VALU_DEP_1) | instskip(NEXT) | instid1(VALU_DEP_1)
	v_lshrrev_b32_e32 v62, s43, v171
	v_and_b32_e32 v69, s48, v62
	s_delay_alu instid0(VALU_DEP_1) | instskip(SKIP_1) | instid1(VALU_DEP_1)
	v_lshlrev_b32_e32 v175, 30, v69
	v_bitop3_b32 v63, v62, 1, s48 bitop3:0x80
	v_add_co_u32 v62, s15, v63, -1
	s_delay_alu instid0(VALU_DEP_1) | instskip(NEXT) | instid1(VALU_DEP_4)
	v_cndmask_b32_e64 v63, 0, 1, s15
	v_cmp_gt_i32_e64 s15, 0, v175
	s_delay_alu instid0(VALU_DEP_2) | instskip(SKIP_1) | instid1(VALU_DEP_1)
	v_cmp_ne_u32_e32 vcc_lo, 0, v63
	v_not_b32_e32 v63, v175
	v_dual_ashrrev_i32 v63, 31, v63 :: v_dual_lshlrev_b32 v176, 29, v69
	v_dual_lshlrev_b32 v177, 28, v69 :: v_dual_lshlrev_b32 v178, 27, v69
	v_dual_lshlrev_b32 v179, 26, v69 :: v_dual_lshlrev_b32 v180, 25, v69
	v_lshlrev_b32_e32 v181, 24, v69
	s_delay_alu instid0(VALU_DEP_4)
	v_cmp_gt_i32_e64 s16, 0, v176
	v_not_b32_e32 v175, v176
	v_not_b32_e32 v176, v177
	v_cmp_gt_i32_e64 s17, 0, v177
	v_cmp_gt_i32_e64 s18, 0, v178
	v_not_b32_e32 v177, v178
	v_not_b32_e32 v178, v179
	v_dual_ashrrev_i32 v175, 31, v175 :: v_dual_bitop2_b32 v62, vcc_lo, v62 bitop3:0x14
	v_dual_ashrrev_i32 v176, 31, v176 :: v_dual_bitop2_b32 v63, s15, v63 bitop3:0x14
	v_cmp_gt_i32_e64 s19, 0, v179
	s_delay_alu instid0(VALU_DEP_4) | instskip(NEXT) | instid1(VALU_DEP_4)
	v_dual_ashrrev_i32 v177, 31, v177 :: v_dual_ashrrev_i32 v178, 31, v178
	v_xor_b32_e32 v175, s16, v175
	s_delay_alu instid0(VALU_DEP_4)
	v_bitop3_b32 v62, v62, v63, exec_lo bitop3:0x80
	v_not_b32_e32 v63, v180
	v_xor_b32_e32 v176, s17, v176
	v_not_b32_e32 v179, v181
	v_cmp_gt_i32_e64 s20, 0, v180
	v_xor_b32_e32 v177, s18, v177
	v_dual_ashrrev_i32 v63, 31, v63 :: v_dual_bitop2_b32 v178, s19, v178 bitop3:0x14
	v_bitop3_b32 v62, v62, v176, v175 bitop3:0x80
	v_cmp_gt_i32_e32 vcc_lo, 0, v181
	v_ashrrev_i32_e32 v175, 31, v179
	v_mad_u32_u24 v176, v69, 36, v25
	v_xor_b32_e32 v63, s20, v63
	v_bitop3_b32 v62, v62, v178, v177 bitop3:0x80
	s_delay_alu instid0(VALU_DEP_4) | instskip(SKIP_3) | instid1(VALU_DEP_2)
	v_xor_b32_e32 v175, vcc_lo, v175
	ds_load_b32 v176, v176 offset:1056
	; wave barrier
	v_bitop3_b32 v62, v62, v175, v63 bitop3:0x80
	v_mul_u32_u24_e32 v63, 36, v69
	v_mbcnt_lo_u32_b32 v177, v62, 0
	v_cmp_ne_u32_e64 s15, 0, v62
	s_delay_alu instid0(VALU_DEP_3) | instskip(NEXT) | instid1(VALU_DEP_3)
	v_add_nc_u32_e32 v178, v25, v63
	v_cmp_eq_u32_e32 vcc_lo, 0, v177
	s_and_b32 s16, s15, vcc_lo
	s_delay_alu instid0(SALU_CYCLE_1)
	s_and_saveexec_b32 s15, s16
	s_cbranch_execz .LBB494_152
; %bb.151:                              ;   in Loop: Header=BB494_96 Depth=2
	s_wait_dscnt 0x0
	v_bcnt_u32_b32 v62, v62, v176
	ds_store_b32 v178, v62 offset:1056
.LBB494_152:                            ;   in Loop: Header=BB494_96 Depth=2
	s_or_b32 exec_lo, exec_lo, s15
	v_xor_b32_e32 v175, 0x7fffffff, v68
	; wave barrier
	s_delay_alu instid0(VALU_DEP_1) | instskip(NEXT) | instid1(VALU_DEP_1)
	v_lshrrev_b32_e32 v62, s43, v175
	v_and_b32_e32 v68, s48, v62
	s_delay_alu instid0(VALU_DEP_1) | instskip(SKIP_1) | instid1(VALU_DEP_1)
	v_lshlrev_b32_e32 v69, 30, v68
	v_bitop3_b32 v63, v62, 1, s48 bitop3:0x80
	v_add_co_u32 v62, s15, v63, -1
	s_delay_alu instid0(VALU_DEP_1) | instskip(NEXT) | instid1(VALU_DEP_4)
	v_cndmask_b32_e64 v63, 0, 1, s15
	v_cmp_gt_i32_e64 s15, 0, v69
	s_delay_alu instid0(VALU_DEP_2) | instskip(SKIP_1) | instid1(VALU_DEP_1)
	v_cmp_ne_u32_e32 vcc_lo, 0, v63
	v_not_b32_e32 v63, v69
	v_dual_ashrrev_i32 v63, 31, v63 :: v_dual_lshlrev_b32 v179, 29, v68
	v_dual_lshlrev_b32 v180, 28, v68 :: v_dual_lshlrev_b32 v181, 27, v68
	v_dual_lshlrev_b32 v182, 26, v68 :: v_dual_lshlrev_b32 v183, 25, v68
	v_lshlrev_b32_e32 v184, 24, v68
	s_delay_alu instid0(VALU_DEP_4)
	v_cmp_gt_i32_e64 s16, 0, v179
	v_not_b32_e32 v69, v179
	v_not_b32_e32 v179, v180
	v_cmp_gt_i32_e64 s17, 0, v180
	v_cmp_gt_i32_e64 s18, 0, v181
	v_not_b32_e32 v180, v181
	v_not_b32_e32 v181, v182
	v_dual_ashrrev_i32 v69, 31, v69 :: v_dual_bitop2_b32 v62, vcc_lo, v62 bitop3:0x14
	s_delay_alu instid0(VALU_DEP_3) | instskip(NEXT) | instid1(VALU_DEP_3)
	v_dual_ashrrev_i32 v179, 31, v179 :: v_dual_ashrrev_i32 v180, 31, v180
	v_dual_ashrrev_i32 v181, 31, v181 :: v_dual_bitop2_b32 v63, s15, v63 bitop3:0x14
	v_cmp_gt_i32_e64 s19, 0, v182
	v_not_b32_e32 v182, v184
	s_delay_alu instid0(VALU_DEP_4) | instskip(NEXT) | instid1(VALU_DEP_4)
	v_xor_b32_e32 v179, s17, v179
	v_bitop3_b32 v62, v62, v63, exec_lo bitop3:0x80
	v_not_b32_e32 v63, v183
	v_xor_b32_e32 v69, s16, v69
	v_cmp_gt_i32_e64 s20, 0, v183
	v_xor_b32_e32 v180, s18, v180
	s_delay_alu instid0(VALU_DEP_4) | instskip(NEXT) | instid1(VALU_DEP_4)
	v_dual_ashrrev_i32 v63, 31, v63 :: v_dual_bitop2_b32 v181, s19, v181 bitop3:0x14
	v_bitop3_b32 v62, v62, v179, v69 bitop3:0x80
	v_cmp_gt_i32_e32 vcc_lo, 0, v184
	v_ashrrev_i32_e32 v69, 31, v182
	v_mad_u32_u24 v179, v68, 36, v25
	v_xor_b32_e32 v63, s20, v63
	v_bitop3_b32 v62, v62, v181, v180 bitop3:0x80
	s_delay_alu instid0(VALU_DEP_4) | instskip(SKIP_3) | instid1(VALU_DEP_2)
	v_xor_b32_e32 v69, vcc_lo, v69
	ds_load_b32 v180, v179 offset:1056
	; wave barrier
	v_bitop3_b32 v62, v62, v69, v63 bitop3:0x80
	v_mul_u32_u24_e32 v63, 36, v68
	v_mbcnt_lo_u32_b32 v181, v62, 0
	v_cmp_ne_u32_e64 s15, 0, v62
	s_delay_alu instid0(VALU_DEP_3) | instskip(NEXT) | instid1(VALU_DEP_3)
	v_add_nc_u32_e32 v182, v25, v63
	v_cmp_eq_u32_e32 vcc_lo, 0, v181
	s_and_b32 s16, s15, vcc_lo
	s_delay_alu instid0(SALU_CYCLE_1)
	s_and_saveexec_b32 s15, s16
	s_cbranch_execz .LBB494_154
; %bb.153:                              ;   in Loop: Header=BB494_96 Depth=2
	s_wait_dscnt 0x0
	v_bcnt_u32_b32 v62, v62, v180
	ds_store_b32 v182, v62 offset:1056
.LBB494_154:                            ;   in Loop: Header=BB494_96 Depth=2
	s_or_b32 exec_lo, exec_lo, s15
	v_xor_b32_e32 v179, 0x7fffffff, v67
	; wave barrier
	s_delay_alu instid0(VALU_DEP_1) | instskip(NEXT) | instid1(VALU_DEP_1)
	v_lshrrev_b32_e32 v62, s43, v179
	v_bitop3_b32 v63, v62, 1, s48 bitop3:0x80
	v_and_b32_e32 v67, s48, v62
	s_delay_alu instid0(VALU_DEP_2) | instskip(NEXT) | instid1(VALU_DEP_1)
	v_add_co_u32 v62, s15, v63, -1
	v_cndmask_b32_e64 v63, 0, 1, s15
	s_delay_alu instid0(VALU_DEP_3) | instskip(NEXT) | instid1(VALU_DEP_2)
	v_lshlrev_b32_e32 v68, 30, v67
	v_cmp_ne_u32_e32 vcc_lo, 0, v63
	s_delay_alu instid0(VALU_DEP_2) | instskip(NEXT) | instid1(VALU_DEP_1)
	v_not_b32_e32 v63, v68
	v_dual_ashrrev_i32 v63, 31, v63 :: v_dual_bitop2_b32 v62, vcc_lo, v62 bitop3:0x14
	v_dual_lshlrev_b32 v69, 29, v67 :: v_dual_lshlrev_b32 v183, 28, v67
	v_dual_lshlrev_b32 v184, 27, v67 :: v_dual_lshlrev_b32 v185, 26, v67
	v_lshlrev_b32_e32 v186, 25, v67
	v_cmp_gt_i32_e64 s15, 0, v68
	s_delay_alu instid0(VALU_DEP_4)
	v_cmp_gt_i32_e64 s16, 0, v69
	v_not_b32_e32 v68, v69
	v_not_b32_e32 v69, v183
	v_lshlrev_b32_e32 v187, 24, v67
	v_cmp_gt_i32_e64 s17, 0, v183
	v_cmp_gt_i32_e64 s18, 0, v184
	v_not_b32_e32 v183, v184
	v_not_b32_e32 v184, v185
	v_dual_ashrrev_i32 v68, 31, v68 :: v_dual_ashrrev_i32 v69, 31, v69
	v_xor_b32_e32 v63, s15, v63
	v_cmp_gt_i32_e64 s19, 0, v185
	s_delay_alu instid0(VALU_DEP_4) | instskip(NEXT) | instid1(VALU_DEP_4)
	v_dual_ashrrev_i32 v183, 31, v183 :: v_dual_ashrrev_i32 v184, 31, v184
	v_xor_b32_e32 v69, s17, v69
	s_delay_alu instid0(VALU_DEP_4)
	v_bitop3_b32 v62, v62, v63, exec_lo bitop3:0x80
	v_not_b32_e32 v63, v186
	v_xor_b32_e32 v68, s16, v68
	v_not_b32_e32 v185, v187
	v_cmp_gt_i32_e64 s20, 0, v186
	v_xor_b32_e32 v183, s18, v183
	v_dual_ashrrev_i32 v63, 31, v63 :: v_dual_bitop2_b32 v184, s19, v184 bitop3:0x14
	v_bitop3_b32 v62, v62, v69, v68 bitop3:0x80
	v_cmp_gt_i32_e32 vcc_lo, 0, v187
	v_ashrrev_i32_e32 v68, 31, v185
	v_mad_u32_u24 v69, v67, 36, v25
	v_xor_b32_e32 v63, s20, v63
	v_bitop3_b32 v62, v62, v184, v183 bitop3:0x80
	s_delay_alu instid0(VALU_DEP_4) | instskip(SKIP_3) | instid1(VALU_DEP_2)
	v_xor_b32_e32 v68, vcc_lo, v68
	ds_load_b32 v184, v69 offset:1056
	; wave barrier
	v_bitop3_b32 v62, v62, v68, v63 bitop3:0x80
	v_mul_u32_u24_e32 v63, 36, v67
	v_mbcnt_lo_u32_b32 v185, v62, 0
	v_cmp_ne_u32_e64 s15, 0, v62
	s_delay_alu instid0(VALU_DEP_3) | instskip(NEXT) | instid1(VALU_DEP_3)
	v_add_nc_u32_e32 v186, v25, v63
	v_cmp_eq_u32_e32 vcc_lo, 0, v185
	s_and_b32 s16, s15, vcc_lo
	s_delay_alu instid0(SALU_CYCLE_1)
	s_and_saveexec_b32 s15, s16
	s_cbranch_execz .LBB494_156
; %bb.155:                              ;   in Loop: Header=BB494_96 Depth=2
	s_wait_dscnt 0x0
	v_bcnt_u32_b32 v62, v62, v184
	ds_store_b32 v186, v62 offset:1056
.LBB494_156:                            ;   in Loop: Header=BB494_96 Depth=2
	s_or_b32 exec_lo, exec_lo, s15
	v_xor_b32_e32 v183, 0x7fffffff, v66
	; wave barrier
	s_delay_alu instid0(VALU_DEP_1) | instskip(NEXT) | instid1(VALU_DEP_1)
	v_lshrrev_b32_e32 v62, s43, v183
	v_and_b32_e32 v66, s48, v62
	s_delay_alu instid0(VALU_DEP_1) | instskip(SKIP_1) | instid1(VALU_DEP_1)
	v_lshlrev_b32_e32 v67, 30, v66
	v_bitop3_b32 v63, v62, 1, s48 bitop3:0x80
	v_add_co_u32 v62, s15, v63, -1
	s_delay_alu instid0(VALU_DEP_1) | instskip(NEXT) | instid1(VALU_DEP_4)
	v_cndmask_b32_e64 v63, 0, 1, s15
	v_cmp_gt_i32_e64 s15, 0, v67
	s_delay_alu instid0(VALU_DEP_2) | instskip(SKIP_1) | instid1(VALU_DEP_1)
	v_cmp_ne_u32_e32 vcc_lo, 0, v63
	v_not_b32_e32 v63, v67
	v_dual_ashrrev_i32 v63, 31, v63 :: v_dual_lshlrev_b32 v68, 29, v66
	v_dual_lshlrev_b32 v69, 28, v66 :: v_dual_lshlrev_b32 v187, 27, v66
	v_dual_lshlrev_b32 v188, 26, v66 :: v_dual_lshlrev_b32 v189, 25, v66
	v_lshlrev_b32_e32 v190, 24, v66
	s_delay_alu instid0(VALU_DEP_4)
	v_cmp_gt_i32_e64 s16, 0, v68
	v_not_b32_e32 v67, v68
	v_not_b32_e32 v68, v69
	v_cmp_gt_i32_e64 s17, 0, v69
	v_cmp_gt_i32_e64 s18, 0, v187
	v_not_b32_e32 v69, v187
	v_not_b32_e32 v187, v188
	v_dual_ashrrev_i32 v67, 31, v67 :: v_dual_bitop2_b32 v62, vcc_lo, v62 bitop3:0x14
	v_dual_ashrrev_i32 v68, 31, v68 :: v_dual_bitop2_b32 v63, s15, v63 bitop3:0x14
	v_cmp_gt_i32_e64 s19, 0, v188
	s_delay_alu instid0(VALU_DEP_4) | instskip(NEXT) | instid1(VALU_DEP_4)
	v_dual_ashrrev_i32 v69, 31, v69 :: v_dual_ashrrev_i32 v187, 31, v187
	v_xor_b32_e32 v67, s16, v67
	s_delay_alu instid0(VALU_DEP_4)
	v_bitop3_b32 v62, v62, v63, exec_lo bitop3:0x80
	v_not_b32_e32 v63, v189
	v_xor_b32_e32 v68, s17, v68
	v_not_b32_e32 v188, v190
	v_cmp_gt_i32_e64 s20, 0, v189
	v_xor_b32_e32 v69, s18, v69
	v_xor_b32_e32 v187, s19, v187
	v_ashrrev_i32_e32 v63, 31, v63
	v_bitop3_b32 v62, v62, v68, v67 bitop3:0x80
	v_cmp_gt_i32_e32 vcc_lo, 0, v190
	v_ashrrev_i32_e32 v67, 31, v188
	v_mad_u32_u24 v68, v66, 36, v25
	v_xor_b32_e32 v63, s20, v63
	v_bitop3_b32 v62, v62, v187, v69 bitop3:0x80
	s_delay_alu instid0(VALU_DEP_4) | instskip(SKIP_3) | instid1(VALU_DEP_2)
	v_xor_b32_e32 v67, vcc_lo, v67
	ds_load_b32 v188, v68 offset:1056
	; wave barrier
	v_bitop3_b32 v62, v62, v67, v63 bitop3:0x80
	v_mul_u32_u24_e32 v63, 36, v66
	v_mbcnt_lo_u32_b32 v189, v62, 0
	v_cmp_ne_u32_e64 s15, 0, v62
	s_delay_alu instid0(VALU_DEP_3) | instskip(NEXT) | instid1(VALU_DEP_3)
	v_add_nc_u32_e32 v190, v25, v63
	v_cmp_eq_u32_e32 vcc_lo, 0, v189
	s_and_b32 s16, s15, vcc_lo
	s_delay_alu instid0(SALU_CYCLE_1)
	s_and_saveexec_b32 s15, s16
	s_cbranch_execz .LBB494_158
; %bb.157:                              ;   in Loop: Header=BB494_96 Depth=2
	s_wait_dscnt 0x0
	v_bcnt_u32_b32 v62, v62, v188
	ds_store_b32 v190, v62 offset:1056
.LBB494_158:                            ;   in Loop: Header=BB494_96 Depth=2
	s_or_b32 exec_lo, exec_lo, s15
	v_xor_b32_e32 v187, 0x7fffffff, v65
	; wave barrier
	s_delay_alu instid0(VALU_DEP_1) | instskip(NEXT) | instid1(VALU_DEP_1)
	v_lshrrev_b32_e32 v62, s43, v187
	v_and_b32_e32 v65, s48, v62
	s_delay_alu instid0(VALU_DEP_1) | instskip(SKIP_1) | instid1(VALU_DEP_1)
	v_lshlrev_b32_e32 v66, 30, v65
	v_bitop3_b32 v63, v62, 1, s48 bitop3:0x80
	v_add_co_u32 v62, s15, v63, -1
	s_delay_alu instid0(VALU_DEP_1) | instskip(NEXT) | instid1(VALU_DEP_4)
	v_cndmask_b32_e64 v63, 0, 1, s15
	v_cmp_gt_i32_e64 s15, 0, v66
	s_delay_alu instid0(VALU_DEP_2) | instskip(SKIP_1) | instid1(VALU_DEP_1)
	v_cmp_ne_u32_e32 vcc_lo, 0, v63
	v_not_b32_e32 v63, v66
	v_dual_ashrrev_i32 v63, 31, v63 :: v_dual_lshlrev_b32 v67, 29, v65
	v_dual_lshlrev_b32 v68, 28, v65 :: v_dual_lshlrev_b32 v69, 27, v65
	v_dual_lshlrev_b32 v191, 26, v65 :: v_dual_lshlrev_b32 v192, 25, v65
	v_lshlrev_b32_e32 v193, 24, v65
	s_delay_alu instid0(VALU_DEP_4)
	v_cmp_gt_i32_e64 s16, 0, v67
	v_not_b32_e32 v66, v67
	v_not_b32_e32 v67, v68
	v_cmp_gt_i32_e64 s17, 0, v68
	v_cmp_gt_i32_e64 s18, 0, v69
	v_not_b32_e32 v68, v69
	v_not_b32_e32 v69, v191
	v_dual_ashrrev_i32 v67, 31, v67 :: v_dual_bitop2_b32 v62, vcc_lo, v62 bitop3:0x14
	v_dual_ashrrev_i32 v66, 31, v66 :: v_dual_bitop2_b32 v63, s15, v63 bitop3:0x14
	v_cmp_gt_i32_e64 s19, 0, v191
	s_delay_alu instid0(VALU_DEP_4) | instskip(NEXT) | instid1(VALU_DEP_4)
	v_dual_ashrrev_i32 v68, 31, v68 :: v_dual_ashrrev_i32 v69, 31, v69
	v_xor_b32_e32 v67, s17, v67
	s_delay_alu instid0(VALU_DEP_4)
	v_bitop3_b32 v62, v62, v63, exec_lo bitop3:0x80
	v_not_b32_e32 v63, v192
	v_xor_b32_e32 v66, s16, v66
	v_not_b32_e32 v191, v193
	v_cmp_gt_i32_e64 s20, 0, v192
	v_xor_b32_e32 v68, s18, v68
	v_dual_ashrrev_i32 v63, 31, v63 :: v_dual_bitop2_b32 v69, s19, v69 bitop3:0x14
	v_bitop3_b32 v62, v62, v67, v66 bitop3:0x80
	v_cmp_gt_i32_e32 vcc_lo, 0, v193
	v_ashrrev_i32_e32 v66, 31, v191
	v_mad_u32_u24 v67, v65, 36, v25
	v_xor_b32_e32 v63, s20, v63
	v_bitop3_b32 v62, v62, v69, v68 bitop3:0x80
	s_delay_alu instid0(VALU_DEP_4) | instskip(SKIP_3) | instid1(VALU_DEP_2)
	v_xor_b32_e32 v66, vcc_lo, v66
	ds_load_b32 v192, v67 offset:1056
	; wave barrier
	v_bitop3_b32 v62, v62, v66, v63 bitop3:0x80
	v_mul_u32_u24_e32 v63, 36, v65
	v_mbcnt_lo_u32_b32 v193, v62, 0
	v_cmp_ne_u32_e64 s15, 0, v62
	s_delay_alu instid0(VALU_DEP_3) | instskip(NEXT) | instid1(VALU_DEP_3)
	v_add_nc_u32_e32 v194, v25, v63
	v_cmp_eq_u32_e32 vcc_lo, 0, v193
	s_and_b32 s16, s15, vcc_lo
	s_delay_alu instid0(SALU_CYCLE_1)
	s_and_saveexec_b32 s15, s16
	s_cbranch_execz .LBB494_160
; %bb.159:                              ;   in Loop: Header=BB494_96 Depth=2
	s_wait_dscnt 0x0
	v_bcnt_u32_b32 v62, v62, v192
	ds_store_b32 v194, v62 offset:1056
.LBB494_160:                            ;   in Loop: Header=BB494_96 Depth=2
	s_or_b32 exec_lo, exec_lo, s15
	v_xor_b32_e32 v191, 0x7fffffff, v64
	; wave barrier
	s_delay_alu instid0(VALU_DEP_1) | instskip(NEXT) | instid1(VALU_DEP_1)
	v_lshrrev_b32_e32 v62, s43, v191
	v_and_b32_e32 v64, s48, v62
	s_delay_alu instid0(VALU_DEP_1) | instskip(SKIP_1) | instid1(VALU_DEP_1)
	v_lshlrev_b32_e32 v65, 30, v64
	v_bitop3_b32 v63, v62, 1, s48 bitop3:0x80
	v_add_co_u32 v62, s15, v63, -1
	s_delay_alu instid0(VALU_DEP_1) | instskip(NEXT) | instid1(VALU_DEP_4)
	v_cndmask_b32_e64 v63, 0, 1, s15
	v_cmp_gt_i32_e64 s15, 0, v65
	s_delay_alu instid0(VALU_DEP_2) | instskip(SKIP_1) | instid1(VALU_DEP_1)
	v_cmp_ne_u32_e32 vcc_lo, 0, v63
	v_not_b32_e32 v63, v65
	v_dual_ashrrev_i32 v63, 31, v63 :: v_dual_lshlrev_b32 v66, 29, v64
	v_dual_lshlrev_b32 v67, 28, v64 :: v_dual_lshlrev_b32 v68, 27, v64
	v_dual_lshlrev_b32 v69, 26, v64 :: v_dual_lshlrev_b32 v195, 25, v64
	v_lshlrev_b32_e32 v196, 24, v64
	s_delay_alu instid0(VALU_DEP_4)
	v_cmp_gt_i32_e64 s16, 0, v66
	v_not_b32_e32 v65, v66
	v_not_b32_e32 v66, v67
	v_cmp_gt_i32_e64 s17, 0, v67
	v_cmp_gt_i32_e64 s18, 0, v68
	v_not_b32_e32 v67, v68
	v_not_b32_e32 v68, v69
	v_dual_ashrrev_i32 v65, 31, v65 :: v_dual_bitop2_b32 v62, vcc_lo, v62 bitop3:0x14
	v_dual_ashrrev_i32 v66, 31, v66 :: v_dual_bitop2_b32 v63, s15, v63 bitop3:0x14
	v_cmp_gt_i32_e64 s19, 0, v69
	s_delay_alu instid0(VALU_DEP_4) | instskip(SKIP_1) | instid1(VALU_DEP_4)
	v_dual_ashrrev_i32 v67, 31, v67 :: v_dual_ashrrev_i32 v68, 31, v68
	v_not_b32_e32 v69, v196
	v_xor_b32_e32 v66, s17, v66
	v_bitop3_b32 v62, v62, v63, exec_lo bitop3:0x80
	v_not_b32_e32 v63, v195
	v_xor_b32_e32 v65, s16, v65
	v_cmp_gt_i32_e64 s20, 0, v195
	v_xor_b32_e32 v67, s18, v67
	s_delay_alu instid0(VALU_DEP_4) | instskip(NEXT) | instid1(VALU_DEP_4)
	v_dual_ashrrev_i32 v63, 31, v63 :: v_dual_bitop2_b32 v68, s19, v68 bitop3:0x14
	v_bitop3_b32 v62, v62, v66, v65 bitop3:0x80
	v_cmp_gt_i32_e32 vcc_lo, 0, v196
	v_ashrrev_i32_e32 v65, 31, v69
	v_mad_u32_u24 v66, v64, 36, v25
	v_xor_b32_e32 v63, s20, v63
	v_bitop3_b32 v62, v62, v68, v67 bitop3:0x80
	s_delay_alu instid0(VALU_DEP_4) | instskip(SKIP_3) | instid1(VALU_DEP_2)
	v_xor_b32_e32 v65, vcc_lo, v65
	ds_load_b32 v195, v66 offset:1056
	; wave barrier
	v_bitop3_b32 v62, v62, v65, v63 bitop3:0x80
	v_mul_u32_u24_e32 v63, 36, v64
	v_mbcnt_lo_u32_b32 v196, v62, 0
	v_cmp_ne_u32_e64 s15, 0, v62
	s_delay_alu instid0(VALU_DEP_3) | instskip(NEXT) | instid1(VALU_DEP_3)
	v_add_nc_u32_e32 v197, v25, v63
	v_cmp_eq_u32_e32 vcc_lo, 0, v196
	s_and_b32 s16, s15, vcc_lo
	s_delay_alu instid0(SALU_CYCLE_1)
	s_and_saveexec_b32 s15, s16
	s_cbranch_execz .LBB494_162
; %bb.161:                              ;   in Loop: Header=BB494_96 Depth=2
	s_wait_dscnt 0x0
	v_bcnt_u32_b32 v62, v62, v195
	ds_store_b32 v197, v62 offset:1056
.LBB494_162:                            ;   in Loop: Header=BB494_96 Depth=2
	s_or_b32 exec_lo, exec_lo, s15
	v_lshrrev_b32_e32 v62, s43, v138
	; wave barrier
	s_delay_alu instid0(VALU_DEP_1) | instskip(NEXT) | instid1(VALU_DEP_1)
	v_and_b32_e32 v64, s48, v62
	v_lshlrev_b32_e32 v65, 30, v64
	v_bitop3_b32 v63, v62, 1, s48 bitop3:0x80
	s_delay_alu instid0(VALU_DEP_1) | instskip(NEXT) | instid1(VALU_DEP_1)
	v_add_co_u32 v62, s15, v63, -1
	v_cndmask_b32_e64 v63, 0, 1, s15
	s_delay_alu instid0(VALU_DEP_4) | instskip(NEXT) | instid1(VALU_DEP_2)
	v_cmp_gt_i32_e64 s15, 0, v65
	v_cmp_ne_u32_e32 vcc_lo, 0, v63
	v_not_b32_e32 v63, v65
	s_delay_alu instid0(VALU_DEP_1) | instskip(SKIP_3) | instid1(VALU_DEP_4)
	v_dual_ashrrev_i32 v63, 31, v63 :: v_dual_lshlrev_b32 v66, 29, v64
	v_dual_lshlrev_b32 v67, 28, v64 :: v_dual_lshlrev_b32 v68, 27, v64
	v_dual_lshlrev_b32 v69, 26, v64 :: v_dual_lshlrev_b32 v198, 25, v64
	v_lshlrev_b32_e32 v199, 24, v64
	v_cmp_gt_i32_e64 s16, 0, v66
	v_not_b32_e32 v65, v66
	v_not_b32_e32 v66, v67
	v_cmp_gt_i32_e64 s17, 0, v67
	v_xor_b32_e32 v62, vcc_lo, v62
	s_delay_alu instid0(VALU_DEP_4) | instskip(NEXT) | instid1(VALU_DEP_4)
	v_dual_ashrrev_i32 v65, 31, v65 :: v_dual_bitop2_b32 v63, s15, v63 bitop3:0x14
	v_ashrrev_i32_e32 v66, 31, v66
	v_cmp_gt_i32_e64 s18, 0, v68
	v_not_b32_e32 v67, v68
	v_not_b32_e32 v68, v69
	v_xor_b32_e32 v65, s16, v65
	v_xor_b32_e32 v66, s17, v66
	v_bitop3_b32 v62, v62, v63, exec_lo bitop3:0x80
	v_ashrrev_i32_e32 v63, 31, v67
	v_cmp_gt_i32_e32 vcc_lo, 0, v69
	v_ashrrev_i32_e32 v67, 31, v68
	v_not_b32_e32 v68, v198
	v_bitop3_b32 v62, v62, v66, v65 bitop3:0x80
	v_not_b32_e32 v65, v199
	v_xor_b32_e32 v63, s18, v63
	v_xor_b32_e32 v66, vcc_lo, v67
	v_cmp_gt_i32_e32 vcc_lo, 0, v198
	v_ashrrev_i32_e32 v67, 31, v68
	v_cmp_gt_i32_e64 s15, 0, v199
	v_ashrrev_i32_e32 v65, 31, v65
	v_mad_u32_u24 v68, v64, 36, v25
	v_bitop3_b32 v62, v62, v66, v63 bitop3:0x80
	v_xor_b32_e32 v63, vcc_lo, v67
	s_delay_alu instid0(VALU_DEP_4) | instskip(SKIP_3) | instid1(VALU_DEP_2)
	v_xor_b32_e32 v65, s15, v65
	ds_load_b32 v198, v68 offset:1056
	; wave barrier
	v_bitop3_b32 v62, v62, v65, v63 bitop3:0x80
	v_mul_u32_u24_e32 v63, 36, v64
	v_mbcnt_lo_u32_b32 v199, v62, 0
	v_cmp_ne_u32_e64 s15, 0, v62
	s_delay_alu instid0(VALU_DEP_3) | instskip(NEXT) | instid1(VALU_DEP_3)
	v_add_nc_u32_e32 v200, v25, v63
	v_cmp_eq_u32_e32 vcc_lo, 0, v199
	s_and_b32 s16, s15, vcc_lo
	s_delay_alu instid0(SALU_CYCLE_1)
	s_and_saveexec_b32 s15, s16
	s_cbranch_execz .LBB494_164
; %bb.163:                              ;   in Loop: Header=BB494_96 Depth=2
	s_wait_dscnt 0x0
	v_bcnt_u32_b32 v62, v62, v198
	ds_store_b32 v200, v62 offset:1056
.LBB494_164:                            ;   in Loop: Header=BB494_96 Depth=2
	s_or_b32 exec_lo, exec_lo, s15
	; wave barrier
	s_wait_dscnt 0x0
	s_barrier_signal -1
	s_barrier_wait -1
	ds_load_2addr_b32 v[68:69], v117 offset1:1
	ds_load_2addr_b32 v[66:67], v118 offset1:1
	;; [unrolled: 1-line block ×4, first 2 shown]
	ds_load_b32 v201, v91 offset:1088
	s_wait_dscnt 0x3
	v_add3_u32 v202, v69, v68, v66
	s_wait_dscnt 0x2
	s_delay_alu instid0(VALU_DEP_1) | instskip(SKIP_1) | instid1(VALU_DEP_1)
	v_add3_u32 v202, v202, v67, v64
	s_wait_dscnt 0x1
	v_add3_u32 v202, v202, v65, v62
	s_wait_dscnt 0x0
	s_delay_alu instid0(VALU_DEP_1) | instskip(NEXT) | instid1(VALU_DEP_1)
	v_add3_u32 v201, v202, v63, v201
	v_mov_b32_dpp v202, v201 row_shr:1 row_mask:0xf bank_mask:0xf
	s_delay_alu instid0(VALU_DEP_1) | instskip(NEXT) | instid1(VALU_DEP_1)
	v_cndmask_b32_e64 v202, v202, 0, s7
	v_add_nc_u32_e32 v201, v202, v201
	s_delay_alu instid0(VALU_DEP_1) | instskip(NEXT) | instid1(VALU_DEP_1)
	v_mov_b32_dpp v202, v201 row_shr:2 row_mask:0xf bank_mask:0xf
	v_cndmask_b32_e64 v202, 0, v202, s8
	s_delay_alu instid0(VALU_DEP_1) | instskip(NEXT) | instid1(VALU_DEP_1)
	v_add_nc_u32_e32 v201, v201, v202
	v_mov_b32_dpp v202, v201 row_shr:4 row_mask:0xf bank_mask:0xf
	s_delay_alu instid0(VALU_DEP_1) | instskip(NEXT) | instid1(VALU_DEP_1)
	v_cndmask_b32_e64 v202, 0, v202, s9
	v_add_nc_u32_e32 v201, v201, v202
	s_delay_alu instid0(VALU_DEP_1) | instskip(NEXT) | instid1(VALU_DEP_1)
	v_mov_b32_dpp v202, v201 row_shr:8 row_mask:0xf bank_mask:0xf
	v_cndmask_b32_e64 v202, 0, v202, s10
	s_delay_alu instid0(VALU_DEP_1) | instskip(SKIP_3) | instid1(VALU_DEP_1)
	v_add_nc_u32_e32 v201, v201, v202
	ds_swizzle_b32 v202, v201 offset:swizzle(BROADCAST,32,15)
	s_wait_dscnt 0x0
	v_cndmask_b32_e64 v202, v202, 0, s11
	v_add_nc_u32_e32 v201, v201, v202
	s_and_saveexec_b32 s15, s1
; %bb.165:                              ;   in Loop: Header=BB494_96 Depth=2
	ds_store_b32 v85, v201 offset:1024
; %bb.166:                              ;   in Loop: Header=BB494_96 Depth=2
	s_or_b32 exec_lo, exec_lo, s15
	s_wait_dscnt 0x0
	s_barrier_signal -1
	s_barrier_wait -1
	s_and_saveexec_b32 s15, s4
	s_cbranch_execz .LBB494_168
; %bb.167:                              ;   in Loop: Header=BB494_96 Depth=2
	ds_load_b32 v202, v93 offset:1024
	s_wait_dscnt 0x0
	v_mov_b32_dpp v203, v202 row_shr:1 row_mask:0xf bank_mask:0xf
	s_delay_alu instid0(VALU_DEP_1) | instskip(NEXT) | instid1(VALU_DEP_1)
	v_cndmask_b32_e64 v203, v203, 0, s12
	v_add_nc_u32_e32 v202, v203, v202
	s_delay_alu instid0(VALU_DEP_1) | instskip(NEXT) | instid1(VALU_DEP_1)
	v_mov_b32_dpp v203, v202 row_shr:2 row_mask:0xf bank_mask:0xf
	v_cndmask_b32_e64 v203, 0, v203, s13
	s_delay_alu instid0(VALU_DEP_1) | instskip(NEXT) | instid1(VALU_DEP_1)
	v_add_nc_u32_e32 v202, v202, v203
	v_mov_b32_dpp v203, v202 row_shr:4 row_mask:0xf bank_mask:0xf
	s_delay_alu instid0(VALU_DEP_1) | instskip(NEXT) | instid1(VALU_DEP_1)
	v_cndmask_b32_e64 v203, 0, v203, s14
	v_add_nc_u32_e32 v202, v202, v203
	ds_store_b32 v93, v202 offset:1024
.LBB494_168:                            ;   in Loop: Header=BB494_96 Depth=2
	s_or_b32 exec_lo, exec_lo, s15
	v_mov_b32_e32 v202, 0
	s_wait_dscnt 0x0
	s_barrier_signal -1
	s_barrier_wait -1
	s_and_saveexec_b32 s15, s5
; %bb.169:                              ;   in Loop: Header=BB494_96 Depth=2
	ds_load_b32 v202, v85 offset:1020
; %bb.170:                              ;   in Loop: Header=BB494_96 Depth=2
	s_or_b32 exec_lo, exec_lo, s15
	s_wait_dscnt 0x0
	v_add_nc_u32_e32 v201, v202, v201
	ds_bpermute_b32 v201, v120, v201
	s_wait_dscnt 0x0
	v_cndmask_b32_e64 v201, v201, v202, s6
	s_delay_alu instid0(VALU_DEP_1) | instskip(NEXT) | instid1(VALU_DEP_1)
	v_cndmask_b32_e64 v201, v201, 0, s2
	v_add_nc_u32_e32 v68, v201, v68
	s_delay_alu instid0(VALU_DEP_1) | instskip(NEXT) | instid1(VALU_DEP_1)
	v_add_nc_u32_e32 v69, v68, v69
	v_add_nc_u32_e32 v66, v69, v66
	s_delay_alu instid0(VALU_DEP_1) | instskip(NEXT) | instid1(VALU_DEP_1)
	v_add_nc_u32_e32 v67, v66, v67
	;; [unrolled: 3-line block ×3, first 2 shown]
	v_add_nc_u32_e32 v62, v65, v62
	s_delay_alu instid0(VALU_DEP_1)
	v_add_nc_u32_e32 v63, v62, v63
	ds_store_2addr_b32 v5, v65, v62 offset1:1
	ds_store_2addr_b32 v117, v201, v68 offset1:1
	;; [unrolled: 1-line block ×4, first 2 shown]
	ds_store_b32 v91, v63 offset:1088
	s_wait_dscnt 0x0
	s_barrier_signal -1
	s_barrier_wait -1
	ds_load_b32 v65, v142 offset:1056
	ds_load_b32 v67, v146 offset:1056
	;; [unrolled: 1-line block ×17, first 2 shown]
	v_mov_b32_e32 v64, 0x1000
	s_and_saveexec_b32 s15, s3
; %bb.171:                              ;   in Loop: Header=BB494_96 Depth=2
	ds_load_b32 v64, v91 offset:1092
; %bb.172:                              ;   in Loop: Header=BB494_96 Depth=2
	s_or_b32 exec_lo, exec_lo, s15
	s_wait_dscnt 0x0
	s_barrier_signal -1
	s_barrier_wait -1
	s_and_saveexec_b32 s15, s0
	s_cbranch_execz .LBB494_174
; %bb.173:                              ;   in Loop: Header=BB494_96 Depth=2
	ds_load_b32 v154, v4
	s_wait_dscnt 0x0
	v_sub_nc_u32_e32 v150, v154, v150
	ds_store_b32 v4, v150
.LBB494_174:                            ;   in Loop: Header=BB494_96 Depth=2
	s_or_b32 exec_lo, exec_lo, s15
	v_add3_u32 v158, v145, v144, v67
	v_add_nc_u32_e32 v162, v65, v141
	v_add3_u32 v154, v149, v148, v68
	v_add3_u32 v150, v153, v152, v69
	;; [unrolled: 1-line block ×4, first 2 shown]
	v_lshlrev_b32_e32 v62, 2, v158
	v_lshlrev_b32_e32 v152, 2, v162
	v_add3_u32 v149, v157, v156, v142
	v_add3_u32 v146, v165, v164, v201
	;; [unrolled: 1-line block ×4, first 2 shown]
	v_lshlrev_b32_e32 v63, 2, v154
	v_add3_u32 v144, v173, v172, v174
	v_lshlrev_b32_e32 v153, 2, v148
	ds_store_b32 v152, v139 offset:1024
	v_lshlrev_b32_e32 v139, 2, v150
	v_add3_u32 v142, v177, v176, v178
	v_lshlrev_b32_e32 v152, 2, v149
	v_add3_u32 v141, v181, v180, v182
	v_add3_u32 v65, v185, v184, v186
	ds_store_b32 v62, v140 offset:1024
	ds_store_b32 v63, v143 offset:1024
	;; [unrolled: 1-line block ×5, first 2 shown]
	v_dual_lshlrev_b32 v62, 2, v146 :: v_dual_lshlrev_b32 v139, 2, v144
	v_lshlrev_b32_e32 v63, 2, v145
	v_add3_u32 v67, v196, v195, v66
	v_dual_lshlrev_b32 v140, 2, v142 :: v_dual_lshlrev_b32 v143, 2, v141
	v_add3_u32 v66, v199, v198, v167
	ds_store_b32 v62, v159 offset:1024
	ds_store_b32 v63, v163 offset:1024
	;; [unrolled: 1-line block ×5, first 2 shown]
	v_dual_lshlrev_b32 v62, 2, v65 :: v_dual_lshlrev_b32 v139, 2, v68
	v_cmp_lt_u32_e32 vcc_lo, v2, v137
	v_dual_lshlrev_b32 v63, 2, v69 :: v_dual_lshlrev_b32 v140, 2, v67
	v_lshlrev_b32_e32 v143, 2, v66
	ds_store_b32 v62, v179 offset:1024
	ds_store_b32 v63, v183 offset:1024
	;; [unrolled: 1-line block ×5, first 2 shown]
	s_wait_dscnt 0x0
	s_barrier_signal -1
	s_barrier_wait -1
	s_and_saveexec_b32 s15, vcc_lo
	s_cbranch_execnz .LBB494_243
; %bb.175:                              ;   in Loop: Header=BB494_96 Depth=2
	s_or_b32 exec_lo, exec_lo, s15
	v_cmp_lt_u32_e64 s15, v3, v137
	s_and_saveexec_b32 s16, s15
	s_cbranch_execnz .LBB494_244
.LBB494_176:                            ;   in Loop: Header=BB494_96 Depth=2
	s_or_b32 exec_lo, exec_lo, s16
	v_cmp_lt_u32_e64 s16, v70, v137
	s_and_saveexec_b32 s17, s16
	s_cbranch_execnz .LBB494_245
.LBB494_177:                            ;   in Loop: Header=BB494_96 Depth=2
	s_or_b32 exec_lo, exec_lo, s17
	v_cmp_lt_u32_e64 s17, v71, v137
	s_and_saveexec_b32 s18, s17
	s_cbranch_execnz .LBB494_246
.LBB494_178:                            ;   in Loop: Header=BB494_96 Depth=2
	s_or_b32 exec_lo, exec_lo, s18
	v_cmp_lt_u32_e64 s18, v72, v137
	s_and_saveexec_b32 s19, s18
	s_cbranch_execnz .LBB494_247
.LBB494_179:                            ;   in Loop: Header=BB494_96 Depth=2
	s_or_b32 exec_lo, exec_lo, s19
	v_cmp_lt_u32_e64 s19, v73, v137
	s_and_saveexec_b32 s20, s19
	s_cbranch_execnz .LBB494_248
.LBB494_180:                            ;   in Loop: Header=BB494_96 Depth=2
	s_or_b32 exec_lo, exec_lo, s20
	v_cmp_lt_u32_e64 s20, v74, v137
	s_and_saveexec_b32 s21, s20
	s_cbranch_execnz .LBB494_249
.LBB494_181:                            ;   in Loop: Header=BB494_96 Depth=2
	s_or_b32 exec_lo, exec_lo, s21
	v_cmp_lt_u32_e64 s21, v75, v137
	s_and_saveexec_b32 s22, s21
	s_cbranch_execnz .LBB494_250
.LBB494_182:                            ;   in Loop: Header=BB494_96 Depth=2
	s_or_b32 exec_lo, exec_lo, s22
	v_cmp_lt_u32_e64 s22, v76, v137
	s_and_saveexec_b32 s23, s22
	s_cbranch_execnz .LBB494_251
.LBB494_183:                            ;   in Loop: Header=BB494_96 Depth=2
	s_or_b32 exec_lo, exec_lo, s23
	v_cmp_lt_u32_e64 s23, v77, v137
	s_and_saveexec_b32 s24, s23
	s_cbranch_execnz .LBB494_252
.LBB494_184:                            ;   in Loop: Header=BB494_96 Depth=2
	s_or_b32 exec_lo, exec_lo, s24
	v_cmp_lt_u32_e64 s24, v78, v137
	s_and_saveexec_b32 s25, s24
	s_cbranch_execnz .LBB494_253
.LBB494_185:                            ;   in Loop: Header=BB494_96 Depth=2
	s_or_b32 exec_lo, exec_lo, s25
	v_cmp_lt_u32_e64 s25, v79, v137
	s_and_saveexec_b32 s26, s25
	s_cbranch_execnz .LBB494_254
.LBB494_186:                            ;   in Loop: Header=BB494_96 Depth=2
	s_or_b32 exec_lo, exec_lo, s26
	v_cmp_lt_u32_e64 s26, v80, v137
	s_and_saveexec_b32 s27, s26
	s_cbranch_execnz .LBB494_255
.LBB494_187:                            ;   in Loop: Header=BB494_96 Depth=2
	s_or_b32 exec_lo, exec_lo, s27
	v_cmp_lt_u32_e64 s27, v81, v137
	s_and_saveexec_b32 s28, s27
	s_cbranch_execnz .LBB494_256
.LBB494_188:                            ;   in Loop: Header=BB494_96 Depth=2
	s_or_b32 exec_lo, exec_lo, s28
	v_cmp_lt_u32_e64 s28, v82, v137
	s_and_saveexec_b32 s29, s28
	s_cbranch_execnz .LBB494_257
.LBB494_189:                            ;   in Loop: Header=BB494_96 Depth=2
	s_or_b32 exec_lo, exec_lo, s29
	v_cmp_lt_u32_e64 s29, v83, v137
	s_and_saveexec_b32 s57, s29
	s_cbranch_execz .LBB494_191
.LBB494_190:                            ;   in Loop: Header=BB494_96 Depth=2
	ds_load_b32 v62, v93 offset:16384
	s_wait_dscnt 0x0
	v_lshrrev_b32_e32 v63, s43, v62
	v_xor_b32_e32 v62, 0x7fffffff, v62
	s_delay_alu instid0(VALU_DEP_2) | instskip(NEXT) | instid1(VALU_DEP_1)
	v_and_b32_e32 v63, s48, v63
	v_lshlrev_b32_e32 v63, 2, v63
	ds_load_b32 v63, v63
	s_wait_dscnt 0x0
	v_add_nc_u32_e32 v63, v63, v83
	global_store_b32 v63, v62, s[38:39] scale_offset
.LBB494_191:                            ;   in Loop: Header=BB494_96 Depth=2
	s_wait_xcnt 0x0
	s_or_b32 exec_lo, exec_lo, s57
	v_lshl_add_u64 v[62:63], s[30:31], 3, v[26:27]
	v_cmp_lt_u32_e64 s30, v99, v137
	s_and_saveexec_b32 s57, s30
	s_delay_alu instid0(SALU_CYCLE_1)
	s_xor_b32 s30, exec_lo, s57
	s_cbranch_execnz .LBB494_258
; %bb.192:                              ;   in Loop: Header=BB494_96 Depth=2
	s_or_b32 exec_lo, exec_lo, s30
	s_delay_alu instid0(SALU_CYCLE_1)
	s_mov_b32 s57, exec_lo
	v_cmpx_lt_u32_e64 v102, v137
	s_cbranch_execnz .LBB494_259
.LBB494_193:                            ;   in Loop: Header=BB494_96 Depth=2
	s_or_b32 exec_lo, exec_lo, s57
	s_delay_alu instid0(SALU_CYCLE_1)
	s_mov_b32 s57, exec_lo
	v_cmpx_lt_u32_e64 v103, v137
	s_cbranch_execnz .LBB494_260
.LBB494_194:                            ;   in Loop: Header=BB494_96 Depth=2
	s_or_b32 exec_lo, exec_lo, s57
	s_delay_alu instid0(SALU_CYCLE_1)
	s_mov_b32 s57, exec_lo
	v_cmpx_lt_u32_e64 v104, v137
	s_cbranch_execnz .LBB494_261
.LBB494_195:                            ;   in Loop: Header=BB494_96 Depth=2
	s_or_b32 exec_lo, exec_lo, s57
	s_delay_alu instid0(SALU_CYCLE_1)
	s_mov_b32 s57, exec_lo
	v_cmpx_lt_u32_e64 v105, v137
	s_cbranch_execnz .LBB494_262
.LBB494_196:                            ;   in Loop: Header=BB494_96 Depth=2
	s_or_b32 exec_lo, exec_lo, s57
	s_delay_alu instid0(SALU_CYCLE_1)
	s_mov_b32 s57, exec_lo
	v_cmpx_lt_u32_e64 v106, v137
	s_cbranch_execnz .LBB494_263
.LBB494_197:                            ;   in Loop: Header=BB494_96 Depth=2
	s_or_b32 exec_lo, exec_lo, s57
	s_delay_alu instid0(SALU_CYCLE_1)
	s_mov_b32 s57, exec_lo
	v_cmpx_lt_u32_e64 v107, v137
	s_cbranch_execnz .LBB494_264
.LBB494_198:                            ;   in Loop: Header=BB494_96 Depth=2
	s_or_b32 exec_lo, exec_lo, s57
	s_delay_alu instid0(SALU_CYCLE_1)
	s_mov_b32 s57, exec_lo
	v_cmpx_lt_u32_e64 v108, v137
	s_cbranch_execnz .LBB494_265
.LBB494_199:                            ;   in Loop: Header=BB494_96 Depth=2
	s_or_b32 exec_lo, exec_lo, s57
	s_delay_alu instid0(SALU_CYCLE_1)
	s_mov_b32 s57, exec_lo
	v_cmpx_lt_u32_e64 v109, v137
	s_cbranch_execnz .LBB494_266
.LBB494_200:                            ;   in Loop: Header=BB494_96 Depth=2
	s_or_b32 exec_lo, exec_lo, s57
	s_delay_alu instid0(SALU_CYCLE_1)
	s_mov_b32 s57, exec_lo
	v_cmpx_lt_u32_e64 v110, v137
	s_cbranch_execnz .LBB494_267
.LBB494_201:                            ;   in Loop: Header=BB494_96 Depth=2
	s_or_b32 exec_lo, exec_lo, s57
	s_delay_alu instid0(SALU_CYCLE_1)
	s_mov_b32 s57, exec_lo
	v_cmpx_lt_u32_e64 v111, v137
	s_cbranch_execnz .LBB494_268
.LBB494_202:                            ;   in Loop: Header=BB494_96 Depth=2
	s_or_b32 exec_lo, exec_lo, s57
	s_delay_alu instid0(SALU_CYCLE_1)
	s_mov_b32 s57, exec_lo
	v_cmpx_lt_u32_e64 v112, v137
	s_cbranch_execnz .LBB494_269
.LBB494_203:                            ;   in Loop: Header=BB494_96 Depth=2
	s_or_b32 exec_lo, exec_lo, s57
	s_delay_alu instid0(SALU_CYCLE_1)
	s_mov_b32 s57, exec_lo
	v_cmpx_lt_u32_e64 v113, v137
	s_cbranch_execnz .LBB494_270
.LBB494_204:                            ;   in Loop: Header=BB494_96 Depth=2
	s_or_b32 exec_lo, exec_lo, s57
	s_delay_alu instid0(SALU_CYCLE_1)
	s_mov_b32 s57, exec_lo
	v_cmpx_lt_u32_e64 v114, v137
	s_cbranch_execnz .LBB494_271
.LBB494_205:                            ;   in Loop: Header=BB494_96 Depth=2
	s_or_b32 exec_lo, exec_lo, s57
	s_delay_alu instid0(SALU_CYCLE_1)
	s_mov_b32 s57, exec_lo
	v_cmpx_lt_u32_e64 v115, v137
	s_cbranch_execnz .LBB494_272
.LBB494_206:                            ;   in Loop: Header=BB494_96 Depth=2
	s_or_b32 exec_lo, exec_lo, s57
	s_delay_alu instid0(SALU_CYCLE_1)
	s_mov_b32 s57, exec_lo
	v_cmpx_lt_u32_e64 v116, v137
	s_cbranch_execnz .LBB494_273
.LBB494_207:                            ;   in Loop: Header=BB494_96 Depth=2
	s_or_b32 exec_lo, exec_lo, s57
	s_and_saveexec_b32 s30, vcc_lo
	s_cbranch_execnz .LBB494_274
.LBB494_208:                            ;   in Loop: Header=BB494_96 Depth=2
	s_or_b32 exec_lo, exec_lo, s30
	s_and_saveexec_b32 s30, s15
	s_cbranch_execnz .LBB494_275
.LBB494_209:                            ;   in Loop: Header=BB494_96 Depth=2
	s_or_b32 exec_lo, exec_lo, s30
	s_and_saveexec_b32 s30, s16
	s_cbranch_execnz .LBB494_276
.LBB494_210:                            ;   in Loop: Header=BB494_96 Depth=2
	s_or_b32 exec_lo, exec_lo, s30
	s_and_saveexec_b32 s30, s17
	s_cbranch_execnz .LBB494_277
.LBB494_211:                            ;   in Loop: Header=BB494_96 Depth=2
	s_or_b32 exec_lo, exec_lo, s30
	s_and_saveexec_b32 s30, s18
	s_cbranch_execnz .LBB494_278
.LBB494_212:                            ;   in Loop: Header=BB494_96 Depth=2
	s_or_b32 exec_lo, exec_lo, s30
	s_and_saveexec_b32 s30, s19
	s_cbranch_execnz .LBB494_279
.LBB494_213:                            ;   in Loop: Header=BB494_96 Depth=2
	s_or_b32 exec_lo, exec_lo, s30
	s_and_saveexec_b32 s30, s20
	s_cbranch_execnz .LBB494_280
.LBB494_214:                            ;   in Loop: Header=BB494_96 Depth=2
	s_or_b32 exec_lo, exec_lo, s30
	s_and_saveexec_b32 s30, s21
	s_cbranch_execnz .LBB494_281
.LBB494_215:                            ;   in Loop: Header=BB494_96 Depth=2
	s_or_b32 exec_lo, exec_lo, s30
	s_and_saveexec_b32 s30, s22
	s_cbranch_execnz .LBB494_282
.LBB494_216:                            ;   in Loop: Header=BB494_96 Depth=2
	s_or_b32 exec_lo, exec_lo, s30
	s_and_saveexec_b32 s30, s23
	s_cbranch_execnz .LBB494_283
.LBB494_217:                            ;   in Loop: Header=BB494_96 Depth=2
	s_or_b32 exec_lo, exec_lo, s30
	s_and_saveexec_b32 s30, s24
	s_cbranch_execnz .LBB494_284
.LBB494_218:                            ;   in Loop: Header=BB494_96 Depth=2
	s_or_b32 exec_lo, exec_lo, s30
	s_and_saveexec_b32 s30, s25
	s_cbranch_execnz .LBB494_285
.LBB494_219:                            ;   in Loop: Header=BB494_96 Depth=2
	s_or_b32 exec_lo, exec_lo, s30
	s_and_saveexec_b32 s30, s26
	s_cbranch_execnz .LBB494_286
.LBB494_220:                            ;   in Loop: Header=BB494_96 Depth=2
	s_or_b32 exec_lo, exec_lo, s30
	s_and_saveexec_b32 s30, s27
	s_cbranch_execnz .LBB494_287
.LBB494_221:                            ;   in Loop: Header=BB494_96 Depth=2
	s_or_b32 exec_lo, exec_lo, s30
	s_and_saveexec_b32 s30, s28
	s_cbranch_execnz .LBB494_288
.LBB494_222:                            ;   in Loop: Header=BB494_96 Depth=2
	s_or_b32 exec_lo, exec_lo, s30
	s_and_saveexec_b32 s30, s29
	s_cbranch_execz .LBB494_224
.LBB494_223:                            ;   in Loop: Header=BB494_96 Depth=2
	ds_load_b32 v62, v93 offset:16384
	s_wait_dscnt 0x0
	v_lshrrev_b32_e32 v62, s43, v62
	s_delay_alu instid0(VALU_DEP_1)
	v_and_b32_e32 v121, s48, v62
.LBB494_224:                            ;   in Loop: Header=BB494_96 Depth=2
	s_or_b32 exec_lo, exec_lo, s30
	v_dual_lshlrev_b32 v62, 3, v162 :: v_dual_lshlrev_b32 v138, 3, v149
	s_wait_loadcnt 0x0
	s_wait_storecnt 0x0
	s_barrier_signal -1
	s_barrier_wait -1
	ds_store_b64 v62, v[60:61] offset:1024
	v_dual_lshlrev_b32 v62, 3, v158 :: v_dual_lshlrev_b32 v139, 3, v148
	v_lshlrev_b32_e32 v63, 3, v154
	v_lshlrev_b32_e32 v137, 3, v150
	ds_store_b64 v62, v[58:59] offset:1024
	ds_store_b64 v63, v[56:57] offset:1024
	;; [unrolled: 1-line block ×5, first 2 shown]
	v_dual_lshlrev_b32 v62, 3, v146 :: v_dual_lshlrev_b32 v139, 3, v141
	v_dual_lshlrev_b32 v63, 3, v145 :: v_dual_lshlrev_b32 v137, 3, v144
	v_lshlrev_b32_e32 v138, 3, v142
	ds_store_b64 v62, v[48:49] offset:1024
	ds_store_b64 v63, v[46:47] offset:1024
	;; [unrolled: 1-line block ×5, first 2 shown]
	v_lshlrev_b32_e32 v62, 3, v65
	v_dual_lshlrev_b32 v63, 3, v69 :: v_dual_lshlrev_b32 v65, 3, v68
	v_dual_lshlrev_b32 v67, 3, v67 :: v_dual_lshlrev_b32 v66, 3, v66
	ds_store_b64 v62, v[38:39] offset:1024
	ds_store_b64 v63, v[36:37] offset:1024
	ds_store_b64 v65, v[34:35] offset:1024
	ds_store_b64 v67, v[32:33] offset:1024
	ds_store_b64 v66, v[30:31] offset:1024
	s_wait_dscnt 0x0
	s_barrier_signal -1
	s_barrier_wait -1
	s_and_saveexec_b32 s30, vcc_lo
	s_cbranch_execnz .LBB494_289
; %bb.225:                              ;   in Loop: Header=BB494_96 Depth=2
	s_or_b32 exec_lo, exec_lo, s30
	s_and_saveexec_b32 s30, s15
	s_cbranch_execnz .LBB494_290
.LBB494_226:                            ;   in Loop: Header=BB494_96 Depth=2
	s_or_b32 exec_lo, exec_lo, s30
	s_and_saveexec_b32 s15, s16
	s_cbranch_execnz .LBB494_291
.LBB494_227:                            ;   in Loop: Header=BB494_96 Depth=2
	s_or_b32 exec_lo, exec_lo, s15
	s_and_saveexec_b32 s15, s17
	s_cbranch_execnz .LBB494_292
.LBB494_228:                            ;   in Loop: Header=BB494_96 Depth=2
	s_or_b32 exec_lo, exec_lo, s15
	s_and_saveexec_b32 s15, s18
	s_cbranch_execnz .LBB494_293
.LBB494_229:                            ;   in Loop: Header=BB494_96 Depth=2
	s_or_b32 exec_lo, exec_lo, s15
	s_and_saveexec_b32 s15, s19
	s_cbranch_execnz .LBB494_294
.LBB494_230:                            ;   in Loop: Header=BB494_96 Depth=2
	s_or_b32 exec_lo, exec_lo, s15
	s_and_saveexec_b32 s15, s20
	s_cbranch_execnz .LBB494_295
.LBB494_231:                            ;   in Loop: Header=BB494_96 Depth=2
	s_or_b32 exec_lo, exec_lo, s15
	s_and_saveexec_b32 s15, s21
	s_cbranch_execnz .LBB494_296
.LBB494_232:                            ;   in Loop: Header=BB494_96 Depth=2
	s_or_b32 exec_lo, exec_lo, s15
	s_and_saveexec_b32 s15, s22
	s_cbranch_execnz .LBB494_297
.LBB494_233:                            ;   in Loop: Header=BB494_96 Depth=2
	s_or_b32 exec_lo, exec_lo, s15
	s_and_saveexec_b32 s15, s23
	s_cbranch_execnz .LBB494_298
.LBB494_234:                            ;   in Loop: Header=BB494_96 Depth=2
	s_or_b32 exec_lo, exec_lo, s15
	s_and_saveexec_b32 s15, s24
	s_cbranch_execnz .LBB494_299
.LBB494_235:                            ;   in Loop: Header=BB494_96 Depth=2
	s_or_b32 exec_lo, exec_lo, s15
	s_and_saveexec_b32 s15, s25
	s_cbranch_execnz .LBB494_300
.LBB494_236:                            ;   in Loop: Header=BB494_96 Depth=2
	s_or_b32 exec_lo, exec_lo, s15
	s_and_saveexec_b32 s15, s26
	s_cbranch_execnz .LBB494_301
.LBB494_237:                            ;   in Loop: Header=BB494_96 Depth=2
	s_or_b32 exec_lo, exec_lo, s15
	s_and_saveexec_b32 s15, s27
	s_cbranch_execnz .LBB494_302
.LBB494_238:                            ;   in Loop: Header=BB494_96 Depth=2
	s_or_b32 exec_lo, exec_lo, s15
	s_and_saveexec_b32 s15, s28
	s_cbranch_execnz .LBB494_303
.LBB494_239:                            ;   in Loop: Header=BB494_96 Depth=2
	s_or_b32 exec_lo, exec_lo, s15
	s_and_saveexec_b32 s15, s29
	s_cbranch_execz .LBB494_241
.LBB494_240:                            ;   in Loop: Header=BB494_96 Depth=2
	v_dual_lshlrev_b32 v62, 2, v121 :: v_dual_add_nc_u32 v63, v93, v4
	ds_load_b32 v65, v62
	ds_load_b64 v[62:63], v63 offset:31744
	s_wait_dscnt 0x1
	v_add_nc_u32_e32 v65, v65, v83
	s_wait_dscnt 0x0
	global_store_b64 v65, v[62:63], s[44:45] scale_offset
.LBB494_241:                            ;   in Loop: Header=BB494_96 Depth=2
	s_wait_xcnt 0x0
	s_or_b32 exec_lo, exec_lo, s15
	s_wait_storecnt 0x0
	s_barrier_signal -1
	s_barrier_wait -1
	s_and_saveexec_b32 s15, s0
	s_cbranch_execz .LBB494_95
; %bb.242:                              ;   in Loop: Header=BB494_96 Depth=2
	ds_load_b32 v62, v4
	s_wait_dscnt 0x0
	v_add_nc_u32_e32 v62, v62, v64
	ds_store_b32 v4, v62
	s_branch .LBB494_95
.LBB494_243:                            ;   in Loop: Header=BB494_96 Depth=2
	ds_load_b32 v62, v93 offset:1024
	s_wait_dscnt 0x0
	v_lshrrev_b32_e32 v63, s43, v62
	v_xor_b32_e32 v62, 0x7fffffff, v62
	s_delay_alu instid0(VALU_DEP_2) | instskip(NEXT) | instid1(VALU_DEP_1)
	v_and_b32_e32 v63, s48, v63
	v_lshlrev_b32_e32 v63, 2, v63
	ds_load_b32 v63, v63
	s_wait_dscnt 0x0
	v_add_nc_u32_e32 v63, v63, v2
	global_store_b32 v63, v62, s[38:39] scale_offset
	s_wait_xcnt 0x0
	s_or_b32 exec_lo, exec_lo, s15
	v_cmp_lt_u32_e64 s15, v3, v137
	s_and_saveexec_b32 s16, s15
	s_cbranch_execz .LBB494_176
.LBB494_244:                            ;   in Loop: Header=BB494_96 Depth=2
	ds_load_b32 v62, v93 offset:2048
	s_wait_dscnt 0x0
	v_lshrrev_b32_e32 v63, s43, v62
	v_xor_b32_e32 v62, 0x7fffffff, v62
	s_delay_alu instid0(VALU_DEP_2) | instskip(NEXT) | instid1(VALU_DEP_1)
	v_and_b32_e32 v63, s48, v63
	v_lshlrev_b32_e32 v63, 2, v63
	ds_load_b32 v63, v63
	s_wait_dscnt 0x0
	v_add_nc_u32_e32 v63, v63, v3
	global_store_b32 v63, v62, s[38:39] scale_offset
	s_wait_xcnt 0x0
	s_or_b32 exec_lo, exec_lo, s16
	v_cmp_lt_u32_e64 s16, v70, v137
	s_and_saveexec_b32 s17, s16
	s_cbranch_execz .LBB494_177
.LBB494_245:                            ;   in Loop: Header=BB494_96 Depth=2
	ds_load_b32 v62, v93 offset:3072
	s_wait_dscnt 0x0
	v_lshrrev_b32_e32 v63, s43, v62
	v_xor_b32_e32 v62, 0x7fffffff, v62
	s_delay_alu instid0(VALU_DEP_2) | instskip(NEXT) | instid1(VALU_DEP_1)
	v_and_b32_e32 v63, s48, v63
	v_lshlrev_b32_e32 v63, 2, v63
	ds_load_b32 v63, v63
	s_wait_dscnt 0x0
	v_add_nc_u32_e32 v63, v63, v70
	global_store_b32 v63, v62, s[38:39] scale_offset
	s_wait_xcnt 0x0
	s_or_b32 exec_lo, exec_lo, s17
	v_cmp_lt_u32_e64 s17, v71, v137
	s_and_saveexec_b32 s18, s17
	s_cbranch_execz .LBB494_178
.LBB494_246:                            ;   in Loop: Header=BB494_96 Depth=2
	ds_load_b32 v62, v93 offset:4096
	s_wait_dscnt 0x0
	v_lshrrev_b32_e32 v63, s43, v62
	v_xor_b32_e32 v62, 0x7fffffff, v62
	s_delay_alu instid0(VALU_DEP_2) | instskip(NEXT) | instid1(VALU_DEP_1)
	v_and_b32_e32 v63, s48, v63
	v_lshlrev_b32_e32 v63, 2, v63
	ds_load_b32 v63, v63
	s_wait_dscnt 0x0
	v_add_nc_u32_e32 v63, v63, v71
	global_store_b32 v63, v62, s[38:39] scale_offset
	s_wait_xcnt 0x0
	s_or_b32 exec_lo, exec_lo, s18
	v_cmp_lt_u32_e64 s18, v72, v137
	s_and_saveexec_b32 s19, s18
	s_cbranch_execz .LBB494_179
.LBB494_247:                            ;   in Loop: Header=BB494_96 Depth=2
	ds_load_b32 v62, v93 offset:5120
	s_wait_dscnt 0x0
	v_lshrrev_b32_e32 v63, s43, v62
	v_xor_b32_e32 v62, 0x7fffffff, v62
	s_delay_alu instid0(VALU_DEP_2) | instskip(NEXT) | instid1(VALU_DEP_1)
	v_and_b32_e32 v63, s48, v63
	v_lshlrev_b32_e32 v63, 2, v63
	ds_load_b32 v63, v63
	s_wait_dscnt 0x0
	v_add_nc_u32_e32 v63, v63, v72
	global_store_b32 v63, v62, s[38:39] scale_offset
	s_wait_xcnt 0x0
	s_or_b32 exec_lo, exec_lo, s19
	v_cmp_lt_u32_e64 s19, v73, v137
	s_and_saveexec_b32 s20, s19
	s_cbranch_execz .LBB494_180
.LBB494_248:                            ;   in Loop: Header=BB494_96 Depth=2
	ds_load_b32 v62, v93 offset:6144
	s_wait_dscnt 0x0
	v_lshrrev_b32_e32 v63, s43, v62
	v_xor_b32_e32 v62, 0x7fffffff, v62
	s_delay_alu instid0(VALU_DEP_2) | instskip(NEXT) | instid1(VALU_DEP_1)
	v_and_b32_e32 v63, s48, v63
	v_lshlrev_b32_e32 v63, 2, v63
	ds_load_b32 v63, v63
	s_wait_dscnt 0x0
	v_add_nc_u32_e32 v63, v63, v73
	global_store_b32 v63, v62, s[38:39] scale_offset
	s_wait_xcnt 0x0
	s_or_b32 exec_lo, exec_lo, s20
	v_cmp_lt_u32_e64 s20, v74, v137
	s_and_saveexec_b32 s21, s20
	s_cbranch_execz .LBB494_181
.LBB494_249:                            ;   in Loop: Header=BB494_96 Depth=2
	ds_load_b32 v62, v93 offset:7168
	s_wait_dscnt 0x0
	v_lshrrev_b32_e32 v63, s43, v62
	v_xor_b32_e32 v62, 0x7fffffff, v62
	s_delay_alu instid0(VALU_DEP_2) | instskip(NEXT) | instid1(VALU_DEP_1)
	v_and_b32_e32 v63, s48, v63
	v_lshlrev_b32_e32 v63, 2, v63
	ds_load_b32 v63, v63
	s_wait_dscnt 0x0
	v_add_nc_u32_e32 v63, v63, v74
	global_store_b32 v63, v62, s[38:39] scale_offset
	s_wait_xcnt 0x0
	s_or_b32 exec_lo, exec_lo, s21
	v_cmp_lt_u32_e64 s21, v75, v137
	s_and_saveexec_b32 s22, s21
	s_cbranch_execz .LBB494_182
.LBB494_250:                            ;   in Loop: Header=BB494_96 Depth=2
	ds_load_b32 v62, v93 offset:8192
	s_wait_dscnt 0x0
	v_lshrrev_b32_e32 v63, s43, v62
	v_xor_b32_e32 v62, 0x7fffffff, v62
	s_delay_alu instid0(VALU_DEP_2) | instskip(NEXT) | instid1(VALU_DEP_1)
	v_and_b32_e32 v63, s48, v63
	v_lshlrev_b32_e32 v63, 2, v63
	ds_load_b32 v63, v63
	s_wait_dscnt 0x0
	v_add_nc_u32_e32 v63, v63, v75
	global_store_b32 v63, v62, s[38:39] scale_offset
	s_wait_xcnt 0x0
	s_or_b32 exec_lo, exec_lo, s22
	v_cmp_lt_u32_e64 s22, v76, v137
	s_and_saveexec_b32 s23, s22
	s_cbranch_execz .LBB494_183
.LBB494_251:                            ;   in Loop: Header=BB494_96 Depth=2
	ds_load_b32 v62, v93 offset:9216
	s_wait_dscnt 0x0
	v_lshrrev_b32_e32 v63, s43, v62
	v_xor_b32_e32 v62, 0x7fffffff, v62
	s_delay_alu instid0(VALU_DEP_2) | instskip(NEXT) | instid1(VALU_DEP_1)
	v_and_b32_e32 v63, s48, v63
	v_lshlrev_b32_e32 v63, 2, v63
	ds_load_b32 v63, v63
	s_wait_dscnt 0x0
	v_add_nc_u32_e32 v63, v63, v76
	global_store_b32 v63, v62, s[38:39] scale_offset
	s_wait_xcnt 0x0
	s_or_b32 exec_lo, exec_lo, s23
	v_cmp_lt_u32_e64 s23, v77, v137
	s_and_saveexec_b32 s24, s23
	s_cbranch_execz .LBB494_184
.LBB494_252:                            ;   in Loop: Header=BB494_96 Depth=2
	ds_load_b32 v62, v93 offset:10240
	s_wait_dscnt 0x0
	v_lshrrev_b32_e32 v63, s43, v62
	v_xor_b32_e32 v62, 0x7fffffff, v62
	s_delay_alu instid0(VALU_DEP_2) | instskip(NEXT) | instid1(VALU_DEP_1)
	v_and_b32_e32 v63, s48, v63
	v_lshlrev_b32_e32 v63, 2, v63
	ds_load_b32 v63, v63
	s_wait_dscnt 0x0
	v_add_nc_u32_e32 v63, v63, v77
	global_store_b32 v63, v62, s[38:39] scale_offset
	s_wait_xcnt 0x0
	s_or_b32 exec_lo, exec_lo, s24
	v_cmp_lt_u32_e64 s24, v78, v137
	s_and_saveexec_b32 s25, s24
	s_cbranch_execz .LBB494_185
.LBB494_253:                            ;   in Loop: Header=BB494_96 Depth=2
	ds_load_b32 v62, v93 offset:11264
	s_wait_dscnt 0x0
	v_lshrrev_b32_e32 v63, s43, v62
	v_xor_b32_e32 v62, 0x7fffffff, v62
	s_delay_alu instid0(VALU_DEP_2) | instskip(NEXT) | instid1(VALU_DEP_1)
	v_and_b32_e32 v63, s48, v63
	v_lshlrev_b32_e32 v63, 2, v63
	ds_load_b32 v63, v63
	s_wait_dscnt 0x0
	v_add_nc_u32_e32 v63, v63, v78
	global_store_b32 v63, v62, s[38:39] scale_offset
	s_wait_xcnt 0x0
	s_or_b32 exec_lo, exec_lo, s25
	v_cmp_lt_u32_e64 s25, v79, v137
	s_and_saveexec_b32 s26, s25
	s_cbranch_execz .LBB494_186
.LBB494_254:                            ;   in Loop: Header=BB494_96 Depth=2
	ds_load_b32 v62, v93 offset:12288
	s_wait_dscnt 0x0
	v_lshrrev_b32_e32 v63, s43, v62
	v_xor_b32_e32 v62, 0x7fffffff, v62
	s_delay_alu instid0(VALU_DEP_2) | instskip(NEXT) | instid1(VALU_DEP_1)
	v_and_b32_e32 v63, s48, v63
	v_lshlrev_b32_e32 v63, 2, v63
	ds_load_b32 v63, v63
	s_wait_dscnt 0x0
	v_add_nc_u32_e32 v63, v63, v79
	global_store_b32 v63, v62, s[38:39] scale_offset
	s_wait_xcnt 0x0
	s_or_b32 exec_lo, exec_lo, s26
	v_cmp_lt_u32_e64 s26, v80, v137
	s_and_saveexec_b32 s27, s26
	s_cbranch_execz .LBB494_187
.LBB494_255:                            ;   in Loop: Header=BB494_96 Depth=2
	ds_load_b32 v62, v93 offset:13312
	s_wait_dscnt 0x0
	v_lshrrev_b32_e32 v63, s43, v62
	v_xor_b32_e32 v62, 0x7fffffff, v62
	s_delay_alu instid0(VALU_DEP_2) | instskip(NEXT) | instid1(VALU_DEP_1)
	v_and_b32_e32 v63, s48, v63
	v_lshlrev_b32_e32 v63, 2, v63
	ds_load_b32 v63, v63
	s_wait_dscnt 0x0
	v_add_nc_u32_e32 v63, v63, v80
	global_store_b32 v63, v62, s[38:39] scale_offset
	s_wait_xcnt 0x0
	s_or_b32 exec_lo, exec_lo, s27
	v_cmp_lt_u32_e64 s27, v81, v137
	s_and_saveexec_b32 s28, s27
	s_cbranch_execz .LBB494_188
.LBB494_256:                            ;   in Loop: Header=BB494_96 Depth=2
	ds_load_b32 v62, v93 offset:14336
	s_wait_dscnt 0x0
	v_lshrrev_b32_e32 v63, s43, v62
	v_xor_b32_e32 v62, 0x7fffffff, v62
	s_delay_alu instid0(VALU_DEP_2) | instskip(NEXT) | instid1(VALU_DEP_1)
	v_and_b32_e32 v63, s48, v63
	v_lshlrev_b32_e32 v63, 2, v63
	ds_load_b32 v63, v63
	s_wait_dscnt 0x0
	v_add_nc_u32_e32 v63, v63, v81
	global_store_b32 v63, v62, s[38:39] scale_offset
	s_wait_xcnt 0x0
	s_or_b32 exec_lo, exec_lo, s28
	v_cmp_lt_u32_e64 s28, v82, v137
	s_and_saveexec_b32 s29, s28
	s_cbranch_execz .LBB494_189
.LBB494_257:                            ;   in Loop: Header=BB494_96 Depth=2
	ds_load_b32 v62, v93 offset:15360
	s_wait_dscnt 0x0
	v_lshrrev_b32_e32 v63, s43, v62
	v_xor_b32_e32 v62, 0x7fffffff, v62
	s_delay_alu instid0(VALU_DEP_2) | instskip(NEXT) | instid1(VALU_DEP_1)
	v_and_b32_e32 v63, s48, v63
	v_lshlrev_b32_e32 v63, 2, v63
	ds_load_b32 v63, v63
	s_wait_dscnt 0x0
	v_add_nc_u32_e32 v63, v63, v82
	global_store_b32 v63, v62, s[38:39] scale_offset
	s_wait_xcnt 0x0
	s_or_b32 exec_lo, exec_lo, s29
	v_cmp_lt_u32_e64 s29, v83, v137
	s_and_saveexec_b32 s57, s29
	s_cbranch_execnz .LBB494_190
	s_branch .LBB494_191
.LBB494_258:                            ;   in Loop: Header=BB494_96 Depth=2
	global_load_b64 v[60:61], v[62:63], off
	s_wait_xcnt 0x0
	s_or_b32 exec_lo, exec_lo, s30
	s_delay_alu instid0(SALU_CYCLE_1)
	s_mov_b32 s57, exec_lo
	v_cmpx_lt_u32_e64 v102, v137
	s_cbranch_execz .LBB494_193
.LBB494_259:                            ;   in Loop: Header=BB494_96 Depth=2
	global_load_b64 v[58:59], v[62:63], off offset:256
	s_wait_xcnt 0x0
	s_or_b32 exec_lo, exec_lo, s57
	s_delay_alu instid0(SALU_CYCLE_1)
	s_mov_b32 s57, exec_lo
	v_cmpx_lt_u32_e64 v103, v137
	s_cbranch_execz .LBB494_194
.LBB494_260:                            ;   in Loop: Header=BB494_96 Depth=2
	global_load_b64 v[56:57], v[62:63], off offset:512
	s_wait_xcnt 0x0
	s_or_b32 exec_lo, exec_lo, s57
	s_delay_alu instid0(SALU_CYCLE_1)
	s_mov_b32 s57, exec_lo
	v_cmpx_lt_u32_e64 v104, v137
	s_cbranch_execz .LBB494_195
.LBB494_261:                            ;   in Loop: Header=BB494_96 Depth=2
	global_load_b64 v[54:55], v[62:63], off offset:768
	s_wait_xcnt 0x0
	s_or_b32 exec_lo, exec_lo, s57
	s_delay_alu instid0(SALU_CYCLE_1)
	s_mov_b32 s57, exec_lo
	v_cmpx_lt_u32_e64 v105, v137
	s_cbranch_execz .LBB494_196
.LBB494_262:                            ;   in Loop: Header=BB494_96 Depth=2
	global_load_b64 v[52:53], v[62:63], off offset:1024
	s_wait_xcnt 0x0
	s_or_b32 exec_lo, exec_lo, s57
	s_delay_alu instid0(SALU_CYCLE_1)
	s_mov_b32 s57, exec_lo
	v_cmpx_lt_u32_e64 v106, v137
	s_cbranch_execz .LBB494_197
.LBB494_263:                            ;   in Loop: Header=BB494_96 Depth=2
	global_load_b64 v[50:51], v[62:63], off offset:1280
	s_wait_xcnt 0x0
	s_or_b32 exec_lo, exec_lo, s57
	s_delay_alu instid0(SALU_CYCLE_1)
	s_mov_b32 s57, exec_lo
	v_cmpx_lt_u32_e64 v107, v137
	s_cbranch_execz .LBB494_198
.LBB494_264:                            ;   in Loop: Header=BB494_96 Depth=2
	global_load_b64 v[48:49], v[62:63], off offset:1536
	s_wait_xcnt 0x0
	s_or_b32 exec_lo, exec_lo, s57
	s_delay_alu instid0(SALU_CYCLE_1)
	s_mov_b32 s57, exec_lo
	v_cmpx_lt_u32_e64 v108, v137
	s_cbranch_execz .LBB494_199
.LBB494_265:                            ;   in Loop: Header=BB494_96 Depth=2
	global_load_b64 v[46:47], v[62:63], off offset:1792
	s_wait_xcnt 0x0
	s_or_b32 exec_lo, exec_lo, s57
	s_delay_alu instid0(SALU_CYCLE_1)
	s_mov_b32 s57, exec_lo
	v_cmpx_lt_u32_e64 v109, v137
	s_cbranch_execz .LBB494_200
.LBB494_266:                            ;   in Loop: Header=BB494_96 Depth=2
	global_load_b64 v[44:45], v[62:63], off offset:2048
	s_wait_xcnt 0x0
	s_or_b32 exec_lo, exec_lo, s57
	s_delay_alu instid0(SALU_CYCLE_1)
	s_mov_b32 s57, exec_lo
	v_cmpx_lt_u32_e64 v110, v137
	s_cbranch_execz .LBB494_201
.LBB494_267:                            ;   in Loop: Header=BB494_96 Depth=2
	global_load_b64 v[42:43], v[62:63], off offset:2304
	s_wait_xcnt 0x0
	s_or_b32 exec_lo, exec_lo, s57
	s_delay_alu instid0(SALU_CYCLE_1)
	s_mov_b32 s57, exec_lo
	v_cmpx_lt_u32_e64 v111, v137
	s_cbranch_execz .LBB494_202
.LBB494_268:                            ;   in Loop: Header=BB494_96 Depth=2
	global_load_b64 v[40:41], v[62:63], off offset:2560
	s_wait_xcnt 0x0
	s_or_b32 exec_lo, exec_lo, s57
	s_delay_alu instid0(SALU_CYCLE_1)
	s_mov_b32 s57, exec_lo
	v_cmpx_lt_u32_e64 v112, v137
	s_cbranch_execz .LBB494_203
.LBB494_269:                            ;   in Loop: Header=BB494_96 Depth=2
	global_load_b64 v[38:39], v[62:63], off offset:2816
	s_wait_xcnt 0x0
	s_or_b32 exec_lo, exec_lo, s57
	s_delay_alu instid0(SALU_CYCLE_1)
	s_mov_b32 s57, exec_lo
	v_cmpx_lt_u32_e64 v113, v137
	s_cbranch_execz .LBB494_204
.LBB494_270:                            ;   in Loop: Header=BB494_96 Depth=2
	global_load_b64 v[36:37], v[62:63], off offset:3072
	s_wait_xcnt 0x0
	s_or_b32 exec_lo, exec_lo, s57
	s_delay_alu instid0(SALU_CYCLE_1)
	s_mov_b32 s57, exec_lo
	v_cmpx_lt_u32_e64 v114, v137
	s_cbranch_execz .LBB494_205
.LBB494_271:                            ;   in Loop: Header=BB494_96 Depth=2
	global_load_b64 v[34:35], v[62:63], off offset:3328
	s_wait_xcnt 0x0
	s_or_b32 exec_lo, exec_lo, s57
	s_delay_alu instid0(SALU_CYCLE_1)
	s_mov_b32 s57, exec_lo
	v_cmpx_lt_u32_e64 v115, v137
	s_cbranch_execz .LBB494_206
.LBB494_272:                            ;   in Loop: Header=BB494_96 Depth=2
	global_load_b64 v[32:33], v[62:63], off offset:3584
	s_wait_xcnt 0x0
	s_or_b32 exec_lo, exec_lo, s57
	s_delay_alu instid0(SALU_CYCLE_1)
	s_mov_b32 s57, exec_lo
	v_cmpx_lt_u32_e64 v116, v137
	s_cbranch_execz .LBB494_207
.LBB494_273:                            ;   in Loop: Header=BB494_96 Depth=2
	global_load_b64 v[30:31], v[62:63], off offset:3840
	s_wait_xcnt 0x0
	s_or_b32 exec_lo, exec_lo, s57
	s_and_saveexec_b32 s30, vcc_lo
	s_cbranch_execz .LBB494_208
.LBB494_274:                            ;   in Loop: Header=BB494_96 Depth=2
	ds_load_b32 v62, v93 offset:1024
	s_wait_dscnt 0x0
	v_lshrrev_b32_e32 v62, s43, v62
	s_delay_alu instid0(VALU_DEP_1)
	v_and_b32_e32 v136, s48, v62
	s_or_b32 exec_lo, exec_lo, s30
	s_and_saveexec_b32 s30, s15
	s_cbranch_execz .LBB494_209
.LBB494_275:                            ;   in Loop: Header=BB494_96 Depth=2
	ds_load_b32 v62, v93 offset:2048
	s_wait_dscnt 0x0
	v_lshrrev_b32_e32 v62, s43, v62
	s_delay_alu instid0(VALU_DEP_1)
	v_and_b32_e32 v135, s48, v62
	s_or_b32 exec_lo, exec_lo, s30
	s_and_saveexec_b32 s30, s16
	s_cbranch_execz .LBB494_210
.LBB494_276:                            ;   in Loop: Header=BB494_96 Depth=2
	ds_load_b32 v62, v93 offset:3072
	s_wait_dscnt 0x0
	v_lshrrev_b32_e32 v62, s43, v62
	s_delay_alu instid0(VALU_DEP_1)
	v_and_b32_e32 v134, s48, v62
	s_or_b32 exec_lo, exec_lo, s30
	s_and_saveexec_b32 s30, s17
	s_cbranch_execz .LBB494_211
.LBB494_277:                            ;   in Loop: Header=BB494_96 Depth=2
	ds_load_b32 v62, v93 offset:4096
	s_wait_dscnt 0x0
	v_lshrrev_b32_e32 v62, s43, v62
	s_delay_alu instid0(VALU_DEP_1)
	v_and_b32_e32 v133, s48, v62
	s_or_b32 exec_lo, exec_lo, s30
	s_and_saveexec_b32 s30, s18
	s_cbranch_execz .LBB494_212
.LBB494_278:                            ;   in Loop: Header=BB494_96 Depth=2
	ds_load_b32 v62, v93 offset:5120
	s_wait_dscnt 0x0
	v_lshrrev_b32_e32 v62, s43, v62
	s_delay_alu instid0(VALU_DEP_1)
	v_and_b32_e32 v132, s48, v62
	s_or_b32 exec_lo, exec_lo, s30
	s_and_saveexec_b32 s30, s19
	s_cbranch_execz .LBB494_213
.LBB494_279:                            ;   in Loop: Header=BB494_96 Depth=2
	ds_load_b32 v62, v93 offset:6144
	s_wait_dscnt 0x0
	v_lshrrev_b32_e32 v62, s43, v62
	s_delay_alu instid0(VALU_DEP_1)
	v_and_b32_e32 v131, s48, v62
	s_or_b32 exec_lo, exec_lo, s30
	s_and_saveexec_b32 s30, s20
	s_cbranch_execz .LBB494_214
.LBB494_280:                            ;   in Loop: Header=BB494_96 Depth=2
	ds_load_b32 v62, v93 offset:7168
	s_wait_dscnt 0x0
	v_lshrrev_b32_e32 v62, s43, v62
	s_delay_alu instid0(VALU_DEP_1)
	v_and_b32_e32 v130, s48, v62
	s_or_b32 exec_lo, exec_lo, s30
	s_and_saveexec_b32 s30, s21
	s_cbranch_execz .LBB494_215
.LBB494_281:                            ;   in Loop: Header=BB494_96 Depth=2
	ds_load_b32 v62, v93 offset:8192
	s_wait_dscnt 0x0
	v_lshrrev_b32_e32 v62, s43, v62
	s_delay_alu instid0(VALU_DEP_1)
	v_and_b32_e32 v129, s48, v62
	s_or_b32 exec_lo, exec_lo, s30
	s_and_saveexec_b32 s30, s22
	s_cbranch_execz .LBB494_216
.LBB494_282:                            ;   in Loop: Header=BB494_96 Depth=2
	ds_load_b32 v62, v93 offset:9216
	s_wait_dscnt 0x0
	v_lshrrev_b32_e32 v62, s43, v62
	s_delay_alu instid0(VALU_DEP_1)
	v_and_b32_e32 v128, s48, v62
	s_or_b32 exec_lo, exec_lo, s30
	s_and_saveexec_b32 s30, s23
	s_cbranch_execz .LBB494_217
.LBB494_283:                            ;   in Loop: Header=BB494_96 Depth=2
	ds_load_b32 v62, v93 offset:10240
	s_wait_dscnt 0x0
	v_lshrrev_b32_e32 v62, s43, v62
	s_delay_alu instid0(VALU_DEP_1)
	v_and_b32_e32 v127, s48, v62
	s_or_b32 exec_lo, exec_lo, s30
	s_and_saveexec_b32 s30, s24
	s_cbranch_execz .LBB494_218
.LBB494_284:                            ;   in Loop: Header=BB494_96 Depth=2
	ds_load_b32 v62, v93 offset:11264
	s_wait_dscnt 0x0
	v_lshrrev_b32_e32 v62, s43, v62
	s_delay_alu instid0(VALU_DEP_1)
	v_and_b32_e32 v126, s48, v62
	s_or_b32 exec_lo, exec_lo, s30
	s_and_saveexec_b32 s30, s25
	s_cbranch_execz .LBB494_219
.LBB494_285:                            ;   in Loop: Header=BB494_96 Depth=2
	ds_load_b32 v62, v93 offset:12288
	s_wait_dscnt 0x0
	v_lshrrev_b32_e32 v62, s43, v62
	s_delay_alu instid0(VALU_DEP_1)
	v_and_b32_e32 v125, s48, v62
	s_or_b32 exec_lo, exec_lo, s30
	s_and_saveexec_b32 s30, s26
	s_cbranch_execz .LBB494_220
.LBB494_286:                            ;   in Loop: Header=BB494_96 Depth=2
	ds_load_b32 v62, v93 offset:13312
	s_wait_dscnt 0x0
	v_lshrrev_b32_e32 v62, s43, v62
	s_delay_alu instid0(VALU_DEP_1)
	v_and_b32_e32 v124, s48, v62
	s_or_b32 exec_lo, exec_lo, s30
	s_and_saveexec_b32 s30, s27
	s_cbranch_execz .LBB494_221
.LBB494_287:                            ;   in Loop: Header=BB494_96 Depth=2
	ds_load_b32 v62, v93 offset:14336
	s_wait_dscnt 0x0
	v_lshrrev_b32_e32 v62, s43, v62
	s_delay_alu instid0(VALU_DEP_1)
	v_and_b32_e32 v123, s48, v62
	s_or_b32 exec_lo, exec_lo, s30
	s_and_saveexec_b32 s30, s28
	s_cbranch_execz .LBB494_222
.LBB494_288:                            ;   in Loop: Header=BB494_96 Depth=2
	ds_load_b32 v62, v93 offset:15360
	s_wait_dscnt 0x0
	v_lshrrev_b32_e32 v62, s43, v62
	s_delay_alu instid0(VALU_DEP_1)
	v_and_b32_e32 v122, s48, v62
	s_or_b32 exec_lo, exec_lo, s30
	s_and_saveexec_b32 s30, s29
	s_cbranch_execnz .LBB494_223
	s_branch .LBB494_224
.LBB494_289:                            ;   in Loop: Header=BB494_96 Depth=2
	v_lshlrev_b32_e32 v62, 2, v136
	v_add_nc_u32_e32 v63, v93, v4
	ds_load_b32 v65, v62
	ds_load_b64 v[62:63], v63 offset:1024
	s_wait_dscnt 0x1
	v_add_nc_u32_e32 v65, v65, v2
	s_wait_dscnt 0x0
	global_store_b64 v65, v[62:63], s[44:45] scale_offset
	s_wait_xcnt 0x0
	s_or_b32 exec_lo, exec_lo, s30
	s_and_saveexec_b32 s30, s15
	s_cbranch_execz .LBB494_226
.LBB494_290:                            ;   in Loop: Header=BB494_96 Depth=2
	v_dual_lshlrev_b32 v62, 2, v135 :: v_dual_add_nc_u32 v63, v93, v4
	ds_load_b32 v65, v62
	ds_load_b64 v[62:63], v63 offset:3072
	s_wait_dscnt 0x1
	v_add_nc_u32_e32 v65, v65, v3
	s_wait_dscnt 0x0
	global_store_b64 v65, v[62:63], s[44:45] scale_offset
	s_wait_xcnt 0x0
	s_or_b32 exec_lo, exec_lo, s30
	s_and_saveexec_b32 s15, s16
	s_cbranch_execz .LBB494_227
.LBB494_291:                            ;   in Loop: Header=BB494_96 Depth=2
	v_dual_lshlrev_b32 v62, 2, v134 :: v_dual_add_nc_u32 v63, v93, v4
	ds_load_b32 v65, v62
	ds_load_b64 v[62:63], v63 offset:5120
	s_wait_dscnt 0x1
	v_add_nc_u32_e32 v65, v65, v70
	s_wait_dscnt 0x0
	global_store_b64 v65, v[62:63], s[44:45] scale_offset
	s_wait_xcnt 0x0
	s_or_b32 exec_lo, exec_lo, s15
	s_and_saveexec_b32 s15, s17
	s_cbranch_execz .LBB494_228
.LBB494_292:                            ;   in Loop: Header=BB494_96 Depth=2
	v_dual_lshlrev_b32 v62, 2, v133 :: v_dual_add_nc_u32 v63, v93, v4
	ds_load_b32 v65, v62
	ds_load_b64 v[62:63], v63 offset:7168
	s_wait_dscnt 0x1
	v_add_nc_u32_e32 v65, v65, v71
	s_wait_dscnt 0x0
	global_store_b64 v65, v[62:63], s[44:45] scale_offset
	s_wait_xcnt 0x0
	s_or_b32 exec_lo, exec_lo, s15
	s_and_saveexec_b32 s15, s18
	s_cbranch_execz .LBB494_229
.LBB494_293:                            ;   in Loop: Header=BB494_96 Depth=2
	v_lshlrev_b32_e32 v62, 2, v132
	v_add_nc_u32_e32 v63, v93, v4
	ds_load_b32 v65, v62
	ds_load_b64 v[62:63], v63 offset:9216
	s_wait_dscnt 0x1
	v_add_nc_u32_e32 v65, v65, v72
	s_wait_dscnt 0x0
	global_store_b64 v65, v[62:63], s[44:45] scale_offset
	s_wait_xcnt 0x0
	s_or_b32 exec_lo, exec_lo, s15
	s_and_saveexec_b32 s15, s19
	s_cbranch_execz .LBB494_230
.LBB494_294:                            ;   in Loop: Header=BB494_96 Depth=2
	v_dual_lshlrev_b32 v62, 2, v131 :: v_dual_add_nc_u32 v63, v93, v4
	ds_load_b32 v65, v62
	ds_load_b64 v[62:63], v63 offset:11264
	s_wait_dscnt 0x1
	v_add_nc_u32_e32 v65, v65, v73
	s_wait_dscnt 0x0
	global_store_b64 v65, v[62:63], s[44:45] scale_offset
	s_wait_xcnt 0x0
	s_or_b32 exec_lo, exec_lo, s15
	s_and_saveexec_b32 s15, s20
	s_cbranch_execz .LBB494_231
.LBB494_295:                            ;   in Loop: Header=BB494_96 Depth=2
	v_dual_lshlrev_b32 v62, 2, v130 :: v_dual_add_nc_u32 v63, v93, v4
	ds_load_b32 v65, v62
	ds_load_b64 v[62:63], v63 offset:13312
	s_wait_dscnt 0x1
	v_add_nc_u32_e32 v65, v65, v74
	s_wait_dscnt 0x0
	global_store_b64 v65, v[62:63], s[44:45] scale_offset
	s_wait_xcnt 0x0
	s_or_b32 exec_lo, exec_lo, s15
	s_and_saveexec_b32 s15, s21
	s_cbranch_execz .LBB494_232
.LBB494_296:                            ;   in Loop: Header=BB494_96 Depth=2
	v_dual_lshlrev_b32 v62, 2, v129 :: v_dual_add_nc_u32 v63, v93, v4
	ds_load_b32 v65, v62
	ds_load_b64 v[62:63], v63 offset:15360
	s_wait_dscnt 0x1
	v_add_nc_u32_e32 v65, v65, v75
	s_wait_dscnt 0x0
	global_store_b64 v65, v[62:63], s[44:45] scale_offset
	s_wait_xcnt 0x0
	s_or_b32 exec_lo, exec_lo, s15
	s_and_saveexec_b32 s15, s22
	s_cbranch_execz .LBB494_233
.LBB494_297:                            ;   in Loop: Header=BB494_96 Depth=2
	v_lshlrev_b32_e32 v62, 2, v128
	v_add_nc_u32_e32 v63, v93, v4
	ds_load_b32 v65, v62
	ds_load_b64 v[62:63], v63 offset:17408
	s_wait_dscnt 0x1
	v_add_nc_u32_e32 v65, v65, v76
	s_wait_dscnt 0x0
	global_store_b64 v65, v[62:63], s[44:45] scale_offset
	s_wait_xcnt 0x0
	s_or_b32 exec_lo, exec_lo, s15
	s_and_saveexec_b32 s15, s23
	s_cbranch_execz .LBB494_234
.LBB494_298:                            ;   in Loop: Header=BB494_96 Depth=2
	v_dual_lshlrev_b32 v62, 2, v127 :: v_dual_add_nc_u32 v63, v93, v4
	ds_load_b32 v65, v62
	ds_load_b64 v[62:63], v63 offset:19456
	s_wait_dscnt 0x1
	v_add_nc_u32_e32 v65, v65, v77
	s_wait_dscnt 0x0
	global_store_b64 v65, v[62:63], s[44:45] scale_offset
	s_wait_xcnt 0x0
	s_or_b32 exec_lo, exec_lo, s15
	s_and_saveexec_b32 s15, s24
	s_cbranch_execz .LBB494_235
.LBB494_299:                            ;   in Loop: Header=BB494_96 Depth=2
	v_dual_lshlrev_b32 v62, 2, v126 :: v_dual_add_nc_u32 v63, v93, v4
	ds_load_b32 v65, v62
	ds_load_b64 v[62:63], v63 offset:21504
	s_wait_dscnt 0x1
	v_add_nc_u32_e32 v65, v65, v78
	s_wait_dscnt 0x0
	global_store_b64 v65, v[62:63], s[44:45] scale_offset
	s_wait_xcnt 0x0
	s_or_b32 exec_lo, exec_lo, s15
	s_and_saveexec_b32 s15, s25
	s_cbranch_execz .LBB494_236
.LBB494_300:                            ;   in Loop: Header=BB494_96 Depth=2
	v_dual_lshlrev_b32 v62, 2, v125 :: v_dual_add_nc_u32 v63, v93, v4
	ds_load_b32 v65, v62
	ds_load_b64 v[62:63], v63 offset:23552
	s_wait_dscnt 0x1
	v_add_nc_u32_e32 v65, v65, v79
	s_wait_dscnt 0x0
	global_store_b64 v65, v[62:63], s[44:45] scale_offset
	s_wait_xcnt 0x0
	s_or_b32 exec_lo, exec_lo, s15
	s_and_saveexec_b32 s15, s26
	s_cbranch_execz .LBB494_237
.LBB494_301:                            ;   in Loop: Header=BB494_96 Depth=2
	v_lshlrev_b32_e32 v62, 2, v124
	v_add_nc_u32_e32 v63, v93, v4
	ds_load_b32 v65, v62
	ds_load_b64 v[62:63], v63 offset:25600
	s_wait_dscnt 0x1
	v_add_nc_u32_e32 v65, v65, v80
	s_wait_dscnt 0x0
	global_store_b64 v65, v[62:63], s[44:45] scale_offset
	s_wait_xcnt 0x0
	s_or_b32 exec_lo, exec_lo, s15
	s_and_saveexec_b32 s15, s27
	s_cbranch_execz .LBB494_238
.LBB494_302:                            ;   in Loop: Header=BB494_96 Depth=2
	v_dual_lshlrev_b32 v62, 2, v123 :: v_dual_add_nc_u32 v63, v93, v4
	ds_load_b32 v65, v62
	ds_load_b64 v[62:63], v63 offset:27648
	s_wait_dscnt 0x1
	v_add_nc_u32_e32 v65, v65, v81
	s_wait_dscnt 0x0
	global_store_b64 v65, v[62:63], s[44:45] scale_offset
	s_wait_xcnt 0x0
	s_or_b32 exec_lo, exec_lo, s15
	s_and_saveexec_b32 s15, s28
	s_cbranch_execz .LBB494_239
.LBB494_303:                            ;   in Loop: Header=BB494_96 Depth=2
	v_dual_lshlrev_b32 v62, 2, v122 :: v_dual_add_nc_u32 v63, v93, v4
	ds_load_b32 v65, v62
	ds_load_b64 v[62:63], v63 offset:29696
	s_wait_dscnt 0x1
	v_add_nc_u32_e32 v65, v65, v82
	s_wait_dscnt 0x0
	global_store_b64 v65, v[62:63], s[44:45] scale_offset
	s_wait_xcnt 0x0
	s_or_b32 exec_lo, exec_lo, s15
	s_and_saveexec_b32 s15, s29
	s_cbranch_execnz .LBB494_240
	s_branch .LBB494_241
.LBB494_304:                            ;   in Loop: Header=BB494_12 Depth=1
	s_wait_dscnt 0x0
	s_barrier_signal -1
	s_mov_b32 s7, 0
	s_barrier_wait -1
.LBB494_305:                            ;   in Loop: Header=BB494_12 Depth=1
	s_and_b32 vcc_lo, exec_lo, s7
	s_cbranch_vccz .LBB494_597
; %bb.306:                              ;   in Loop: Header=BB494_12 Depth=1
	s_mov_b32 s7, s54
	s_mov_b32 s30, s52
	s_barrier_signal -1
	s_barrier_wait -1
                                        ; implicit-def: $vgpr25
                                        ; implicit-def: $vgpr26
                                        ; implicit-def: $vgpr27
                                        ; implicit-def: $vgpr28
                                        ; implicit-def: $vgpr29
                                        ; implicit-def: $vgpr30
                                        ; implicit-def: $vgpr31
                                        ; implicit-def: $vgpr32
                                        ; implicit-def: $vgpr33
                                        ; implicit-def: $vgpr34
                                        ; implicit-def: $vgpr35
                                        ; implicit-def: $vgpr36
                                        ; implicit-def: $vgpr37
                                        ; implicit-def: $vgpr38
                                        ; implicit-def: $vgpr39
                                        ; implicit-def: $vgpr40
	s_branch .LBB494_308
.LBB494_307:                            ;   in Loop: Header=BB494_308 Depth=2
	s_or_b32 exec_lo, exec_lo, s8
	s_addk_co_i32 s7, 0xf000
	s_cmp_ge_u32 s10, s51
	s_mov_b32 s30, s10
	s_cbranch_scc1 .LBB494_376
.LBB494_308:                            ;   Parent Loop BB494_12 Depth=1
                                        ; =>  This Inner Loop Header: Depth=2
	s_add_co_i32 s10, s30, 0x1000
	s_mov_b32 s8, -1
	s_cmp_gt_u32 s10, s51
                                        ; implicit-def: $vgpr41
                                        ; implicit-def: $vgpr42
                                        ; implicit-def: $vgpr43
                                        ; implicit-def: $vgpr44
                                        ; implicit-def: $vgpr45
                                        ; implicit-def: $vgpr46
                                        ; implicit-def: $vgpr47
                                        ; implicit-def: $vgpr48
                                        ; implicit-def: $vgpr49
                                        ; implicit-def: $vgpr50
                                        ; implicit-def: $vgpr51
                                        ; implicit-def: $vgpr52
                                        ; implicit-def: $vgpr53
                                        ; implicit-def: $vgpr54
                                        ; implicit-def: $vgpr55
                                        ; implicit-def: $vgpr56
	s_cbranch_scc1 .LBB494_310
; %bb.309:                              ;   in Loop: Header=BB494_308 Depth=2
	v_lshl_add_u64 v[56:57], s[30:31], 2, v[20:21]
	s_mov_b32 s8, 0
	s_clause 0xf
	global_load_b32 v41, v[56:57], off
	global_load_b32 v42, v[56:57], off offset:1024
	global_load_b32 v43, v[56:57], off offset:2048
	;; [unrolled: 1-line block ×15, first 2 shown]
.LBB494_310:                            ;   in Loop: Header=BB494_308 Depth=2
	s_and_not1_b32 vcc_lo, exec_lo, s8
	s_movk_i32 s8, 0x1000
	s_cbranch_vccnz .LBB494_329
; %bb.311:                              ;   in Loop: Header=BB494_308 Depth=2
	s_lshl_b64 s[8:9], s[30:31], 2
	s_mov_b32 s11, exec_lo
	s_add_nc_u64 s[8:9], s[38:39], s[8:9]
	s_wait_xcnt 0x0
	v_cmpx_gt_u32_e64 s7, v2
	s_cbranch_execnz .LBB494_361
; %bb.312:                              ;   in Loop: Header=BB494_308 Depth=2
	s_or_b32 exec_lo, exec_lo, s11
	s_delay_alu instid0(SALU_CYCLE_1)
	s_mov_b32 s11, exec_lo
	v_cmpx_gt_u32_e64 s7, v3
	s_cbranch_execnz .LBB494_362
.LBB494_313:                            ;   in Loop: Header=BB494_308 Depth=2
	s_or_b32 exec_lo, exec_lo, s11
	s_delay_alu instid0(SALU_CYCLE_1)
	s_mov_b32 s11, exec_lo
	v_cmpx_gt_u32_e64 s7, v70
	s_cbranch_execnz .LBB494_363
.LBB494_314:                            ;   in Loop: Header=BB494_308 Depth=2
	s_or_b32 exec_lo, exec_lo, s11
	s_delay_alu instid0(SALU_CYCLE_1)
	s_mov_b32 s11, exec_lo
	v_cmpx_gt_u32_e64 s7, v71
	s_cbranch_execnz .LBB494_364
.LBB494_315:                            ;   in Loop: Header=BB494_308 Depth=2
	s_or_b32 exec_lo, exec_lo, s11
	s_delay_alu instid0(SALU_CYCLE_1)
	s_mov_b32 s11, exec_lo
	v_cmpx_gt_u32_e64 s7, v72
	s_cbranch_execnz .LBB494_365
.LBB494_316:                            ;   in Loop: Header=BB494_308 Depth=2
	s_or_b32 exec_lo, exec_lo, s11
	s_delay_alu instid0(SALU_CYCLE_1)
	s_mov_b32 s11, exec_lo
	v_cmpx_gt_u32_e64 s7, v73
	s_cbranch_execnz .LBB494_366
.LBB494_317:                            ;   in Loop: Header=BB494_308 Depth=2
	s_or_b32 exec_lo, exec_lo, s11
	s_delay_alu instid0(SALU_CYCLE_1)
	s_mov_b32 s11, exec_lo
	v_cmpx_gt_u32_e64 s7, v74
	s_cbranch_execnz .LBB494_367
.LBB494_318:                            ;   in Loop: Header=BB494_308 Depth=2
	s_or_b32 exec_lo, exec_lo, s11
	s_delay_alu instid0(SALU_CYCLE_1)
	s_mov_b32 s11, exec_lo
	v_cmpx_gt_u32_e64 s7, v75
	s_cbranch_execnz .LBB494_368
.LBB494_319:                            ;   in Loop: Header=BB494_308 Depth=2
	s_or_b32 exec_lo, exec_lo, s11
	s_delay_alu instid0(SALU_CYCLE_1)
	s_mov_b32 s11, exec_lo
	v_cmpx_gt_u32_e64 s7, v76
	s_cbranch_execnz .LBB494_369
.LBB494_320:                            ;   in Loop: Header=BB494_308 Depth=2
	s_or_b32 exec_lo, exec_lo, s11
	s_delay_alu instid0(SALU_CYCLE_1)
	s_mov_b32 s11, exec_lo
	v_cmpx_gt_u32_e64 s7, v77
	s_cbranch_execnz .LBB494_370
.LBB494_321:                            ;   in Loop: Header=BB494_308 Depth=2
	s_or_b32 exec_lo, exec_lo, s11
	s_delay_alu instid0(SALU_CYCLE_1)
	s_mov_b32 s11, exec_lo
	v_cmpx_gt_u32_e64 s7, v78
	s_cbranch_execnz .LBB494_371
.LBB494_322:                            ;   in Loop: Header=BB494_308 Depth=2
	s_or_b32 exec_lo, exec_lo, s11
	s_delay_alu instid0(SALU_CYCLE_1)
	s_mov_b32 s11, exec_lo
	v_cmpx_gt_u32_e64 s7, v79
	s_cbranch_execnz .LBB494_372
.LBB494_323:                            ;   in Loop: Header=BB494_308 Depth=2
	s_or_b32 exec_lo, exec_lo, s11
	s_delay_alu instid0(SALU_CYCLE_1)
	s_mov_b32 s11, exec_lo
	v_cmpx_gt_u32_e64 s7, v80
	s_cbranch_execnz .LBB494_373
.LBB494_324:                            ;   in Loop: Header=BB494_308 Depth=2
	s_or_b32 exec_lo, exec_lo, s11
	s_delay_alu instid0(SALU_CYCLE_1)
	s_mov_b32 s11, exec_lo
	v_cmpx_gt_u32_e64 s7, v81
	s_cbranch_execnz .LBB494_374
.LBB494_325:                            ;   in Loop: Header=BB494_308 Depth=2
	s_or_b32 exec_lo, exec_lo, s11
	s_delay_alu instid0(SALU_CYCLE_1)
	s_mov_b32 s11, exec_lo
	v_cmpx_gt_u32_e64 s7, v82
	s_cbranch_execnz .LBB494_375
.LBB494_326:                            ;   in Loop: Header=BB494_308 Depth=2
	s_or_b32 exec_lo, exec_lo, s11
	s_delay_alu instid0(SALU_CYCLE_1)
	s_mov_b32 s11, exec_lo
	v_cmpx_gt_u32_e64 s7, v83
	s_cbranch_execz .LBB494_328
.LBB494_327:                            ;   in Loop: Header=BB494_308 Depth=2
	global_load_b32 v25, v2, s[8:9] offset:15360 scale_offset
.LBB494_328:                            ;   in Loop: Header=BB494_308 Depth=2
	s_wait_xcnt 0x0
	s_or_b32 exec_lo, exec_lo, s11
	s_wait_loadcnt 0x0
	v_dual_mov_b32 v41, v40 :: v_dual_mov_b32 v42, v39
	v_dual_mov_b32 v43, v38 :: v_dual_mov_b32 v44, v37
	;; [unrolled: 1-line block ×8, first 2 shown]
	s_mov_b32 s8, s7
.LBB494_329:                            ;   in Loop: Header=BB494_308 Depth=2
	s_wait_loadcnt 0x0
	s_delay_alu instid0(VALU_DEP_1)
	v_dual_mov_b32 v25, v56 :: v_dual_mov_b32 v26, v55
	v_dual_mov_b32 v27, v54 :: v_dual_mov_b32 v28, v53
	;; [unrolled: 1-line block ×8, first 2 shown]
	s_mov_b32 s9, exec_lo
	s_wait_xcnt 0x0
	v_cmpx_gt_u32_e64 s8, v2
	s_cbranch_execnz .LBB494_345
; %bb.330:                              ;   in Loop: Header=BB494_308 Depth=2
	s_or_b32 exec_lo, exec_lo, s9
	s_delay_alu instid0(SALU_CYCLE_1)
	s_mov_b32 s9, exec_lo
	v_cmpx_gt_u32_e64 s8, v3
	s_cbranch_execnz .LBB494_346
.LBB494_331:                            ;   in Loop: Header=BB494_308 Depth=2
	s_or_b32 exec_lo, exec_lo, s9
	s_delay_alu instid0(SALU_CYCLE_1)
	s_mov_b32 s9, exec_lo
	v_cmpx_gt_u32_e64 s8, v70
	s_cbranch_execnz .LBB494_347
.LBB494_332:                            ;   in Loop: Header=BB494_308 Depth=2
	s_or_b32 exec_lo, exec_lo, s9
	s_delay_alu instid0(SALU_CYCLE_1)
	s_mov_b32 s9, exec_lo
	v_cmpx_gt_u32_e64 s8, v71
	s_cbranch_execnz .LBB494_348
.LBB494_333:                            ;   in Loop: Header=BB494_308 Depth=2
	s_or_b32 exec_lo, exec_lo, s9
	s_delay_alu instid0(SALU_CYCLE_1)
	s_mov_b32 s9, exec_lo
	v_cmpx_gt_u32_e64 s8, v72
	s_cbranch_execnz .LBB494_349
.LBB494_334:                            ;   in Loop: Header=BB494_308 Depth=2
	s_or_b32 exec_lo, exec_lo, s9
	s_delay_alu instid0(SALU_CYCLE_1)
	s_mov_b32 s9, exec_lo
	v_cmpx_gt_u32_e64 s8, v73
	s_cbranch_execnz .LBB494_350
.LBB494_335:                            ;   in Loop: Header=BB494_308 Depth=2
	s_or_b32 exec_lo, exec_lo, s9
	s_delay_alu instid0(SALU_CYCLE_1)
	s_mov_b32 s9, exec_lo
	v_cmpx_gt_u32_e64 s8, v74
	s_cbranch_execnz .LBB494_351
.LBB494_336:                            ;   in Loop: Header=BB494_308 Depth=2
	s_or_b32 exec_lo, exec_lo, s9
	s_delay_alu instid0(SALU_CYCLE_1)
	s_mov_b32 s9, exec_lo
	v_cmpx_gt_u32_e64 s8, v75
	s_cbranch_execnz .LBB494_352
.LBB494_337:                            ;   in Loop: Header=BB494_308 Depth=2
	s_or_b32 exec_lo, exec_lo, s9
	s_delay_alu instid0(SALU_CYCLE_1)
	s_mov_b32 s9, exec_lo
	v_cmpx_gt_u32_e64 s8, v76
	s_cbranch_execnz .LBB494_353
.LBB494_338:                            ;   in Loop: Header=BB494_308 Depth=2
	s_or_b32 exec_lo, exec_lo, s9
	s_delay_alu instid0(SALU_CYCLE_1)
	s_mov_b32 s9, exec_lo
	v_cmpx_gt_u32_e64 s8, v77
	s_cbranch_execnz .LBB494_354
.LBB494_339:                            ;   in Loop: Header=BB494_308 Depth=2
	s_or_b32 exec_lo, exec_lo, s9
	s_delay_alu instid0(SALU_CYCLE_1)
	s_mov_b32 s9, exec_lo
	v_cmpx_gt_u32_e64 s8, v78
	s_cbranch_execnz .LBB494_355
.LBB494_340:                            ;   in Loop: Header=BB494_308 Depth=2
	s_or_b32 exec_lo, exec_lo, s9
	s_delay_alu instid0(SALU_CYCLE_1)
	s_mov_b32 s9, exec_lo
	v_cmpx_gt_u32_e64 s8, v79
	s_cbranch_execnz .LBB494_356
.LBB494_341:                            ;   in Loop: Header=BB494_308 Depth=2
	s_or_b32 exec_lo, exec_lo, s9
	s_delay_alu instid0(SALU_CYCLE_1)
	s_mov_b32 s9, exec_lo
	v_cmpx_gt_u32_e64 s8, v80
	s_cbranch_execnz .LBB494_357
.LBB494_342:                            ;   in Loop: Header=BB494_308 Depth=2
	s_or_b32 exec_lo, exec_lo, s9
	s_delay_alu instid0(SALU_CYCLE_1)
	s_mov_b32 s9, exec_lo
	v_cmpx_gt_u32_e64 s8, v81
	s_cbranch_execnz .LBB494_358
.LBB494_343:                            ;   in Loop: Header=BB494_308 Depth=2
	s_or_b32 exec_lo, exec_lo, s9
	s_delay_alu instid0(SALU_CYCLE_1)
	s_mov_b32 s9, exec_lo
	v_cmpx_gt_u32_e64 s8, v82
	s_cbranch_execnz .LBB494_359
.LBB494_344:                            ;   in Loop: Header=BB494_308 Depth=2
	s_or_b32 exec_lo, exec_lo, s9
	v_cmp_gt_u32_e32 vcc_lo, s8, v83
	s_and_saveexec_b32 s8, vcc_lo
	s_cbranch_execz .LBB494_307
	s_branch .LBB494_360
.LBB494_345:                            ;   in Loop: Header=BB494_308 Depth=2
	v_xor_b32_e32 v41, 0x7fffffff, v40
	s_delay_alu instid0(VALU_DEP_1) | instskip(NEXT) | instid1(VALU_DEP_1)
	v_lshrrev_b32_e32 v41, s43, v41
	v_and_b32_e32 v41, s48, v41
	s_delay_alu instid0(VALU_DEP_1) | instskip(SKIP_2) | instid1(SALU_CYCLE_1)
	v_lshl_or_b32 v41, v41, 4, v84
	ds_add_u32 v41, v95
	s_or_b32 exec_lo, exec_lo, s9
	s_mov_b32 s9, exec_lo
	v_cmpx_gt_u32_e64 s8, v3
	s_cbranch_execz .LBB494_331
.LBB494_346:                            ;   in Loop: Header=BB494_308 Depth=2
	v_xor_b32_e32 v41, 0x7fffffff, v39
	s_delay_alu instid0(VALU_DEP_1) | instskip(NEXT) | instid1(VALU_DEP_1)
	v_lshrrev_b32_e32 v41, s43, v41
	v_and_b32_e32 v41, s48, v41
	s_delay_alu instid0(VALU_DEP_1) | instskip(SKIP_2) | instid1(SALU_CYCLE_1)
	v_lshl_or_b32 v41, v41, 4, v84
	ds_add_u32 v41, v95
	s_or_b32 exec_lo, exec_lo, s9
	s_mov_b32 s9, exec_lo
	v_cmpx_gt_u32_e64 s8, v70
	s_cbranch_execz .LBB494_332
.LBB494_347:                            ;   in Loop: Header=BB494_308 Depth=2
	v_xor_b32_e32 v41, 0x7fffffff, v38
	s_delay_alu instid0(VALU_DEP_1) | instskip(NEXT) | instid1(VALU_DEP_1)
	v_lshrrev_b32_e32 v41, s43, v41
	v_and_b32_e32 v41, s48, v41
	s_delay_alu instid0(VALU_DEP_1) | instskip(SKIP_2) | instid1(SALU_CYCLE_1)
	v_lshl_or_b32 v41, v41, 4, v84
	ds_add_u32 v41, v95
	s_or_b32 exec_lo, exec_lo, s9
	s_mov_b32 s9, exec_lo
	v_cmpx_gt_u32_e64 s8, v71
	s_cbranch_execz .LBB494_333
.LBB494_348:                            ;   in Loop: Header=BB494_308 Depth=2
	v_xor_b32_e32 v41, 0x7fffffff, v37
	s_delay_alu instid0(VALU_DEP_1) | instskip(NEXT) | instid1(VALU_DEP_1)
	v_lshrrev_b32_e32 v41, s43, v41
	v_and_b32_e32 v41, s48, v41
	s_delay_alu instid0(VALU_DEP_1) | instskip(SKIP_2) | instid1(SALU_CYCLE_1)
	v_lshl_or_b32 v41, v41, 4, v84
	ds_add_u32 v41, v95
	s_or_b32 exec_lo, exec_lo, s9
	s_mov_b32 s9, exec_lo
	v_cmpx_gt_u32_e64 s8, v72
	s_cbranch_execz .LBB494_334
.LBB494_349:                            ;   in Loop: Header=BB494_308 Depth=2
	v_xor_b32_e32 v41, 0x7fffffff, v36
	s_delay_alu instid0(VALU_DEP_1) | instskip(NEXT) | instid1(VALU_DEP_1)
	v_lshrrev_b32_e32 v41, s43, v41
	v_and_b32_e32 v41, s48, v41
	s_delay_alu instid0(VALU_DEP_1) | instskip(SKIP_2) | instid1(SALU_CYCLE_1)
	v_lshl_or_b32 v41, v41, 4, v84
	ds_add_u32 v41, v95
	s_or_b32 exec_lo, exec_lo, s9
	s_mov_b32 s9, exec_lo
	v_cmpx_gt_u32_e64 s8, v73
	s_cbranch_execz .LBB494_335
.LBB494_350:                            ;   in Loop: Header=BB494_308 Depth=2
	v_xor_b32_e32 v41, 0x7fffffff, v35
	s_delay_alu instid0(VALU_DEP_1) | instskip(NEXT) | instid1(VALU_DEP_1)
	v_lshrrev_b32_e32 v41, s43, v41
	v_and_b32_e32 v41, s48, v41
	s_delay_alu instid0(VALU_DEP_1) | instskip(SKIP_2) | instid1(SALU_CYCLE_1)
	v_lshl_or_b32 v41, v41, 4, v84
	ds_add_u32 v41, v95
	s_or_b32 exec_lo, exec_lo, s9
	s_mov_b32 s9, exec_lo
	v_cmpx_gt_u32_e64 s8, v74
	s_cbranch_execz .LBB494_336
.LBB494_351:                            ;   in Loop: Header=BB494_308 Depth=2
	v_xor_b32_e32 v41, 0x7fffffff, v34
	s_delay_alu instid0(VALU_DEP_1) | instskip(NEXT) | instid1(VALU_DEP_1)
	v_lshrrev_b32_e32 v41, s43, v41
	v_and_b32_e32 v41, s48, v41
	s_delay_alu instid0(VALU_DEP_1) | instskip(SKIP_2) | instid1(SALU_CYCLE_1)
	v_lshl_or_b32 v41, v41, 4, v84
	ds_add_u32 v41, v95
	s_or_b32 exec_lo, exec_lo, s9
	s_mov_b32 s9, exec_lo
	v_cmpx_gt_u32_e64 s8, v75
	s_cbranch_execz .LBB494_337
.LBB494_352:                            ;   in Loop: Header=BB494_308 Depth=2
	v_xor_b32_e32 v41, 0x7fffffff, v33
	s_delay_alu instid0(VALU_DEP_1) | instskip(NEXT) | instid1(VALU_DEP_1)
	v_lshrrev_b32_e32 v41, s43, v41
	v_and_b32_e32 v41, s48, v41
	s_delay_alu instid0(VALU_DEP_1) | instskip(SKIP_2) | instid1(SALU_CYCLE_1)
	v_lshl_or_b32 v41, v41, 4, v84
	ds_add_u32 v41, v95
	s_or_b32 exec_lo, exec_lo, s9
	s_mov_b32 s9, exec_lo
	v_cmpx_gt_u32_e64 s8, v76
	s_cbranch_execz .LBB494_338
.LBB494_353:                            ;   in Loop: Header=BB494_308 Depth=2
	v_xor_b32_e32 v41, 0x7fffffff, v32
	s_delay_alu instid0(VALU_DEP_1) | instskip(NEXT) | instid1(VALU_DEP_1)
	v_lshrrev_b32_e32 v41, s43, v41
	v_and_b32_e32 v41, s48, v41
	s_delay_alu instid0(VALU_DEP_1) | instskip(SKIP_2) | instid1(SALU_CYCLE_1)
	v_lshl_or_b32 v41, v41, 4, v84
	ds_add_u32 v41, v95
	s_or_b32 exec_lo, exec_lo, s9
	s_mov_b32 s9, exec_lo
	v_cmpx_gt_u32_e64 s8, v77
	s_cbranch_execz .LBB494_339
.LBB494_354:                            ;   in Loop: Header=BB494_308 Depth=2
	v_xor_b32_e32 v41, 0x7fffffff, v31
	s_delay_alu instid0(VALU_DEP_1) | instskip(NEXT) | instid1(VALU_DEP_1)
	v_lshrrev_b32_e32 v41, s43, v41
	v_and_b32_e32 v41, s48, v41
	s_delay_alu instid0(VALU_DEP_1) | instskip(SKIP_2) | instid1(SALU_CYCLE_1)
	v_lshl_or_b32 v41, v41, 4, v84
	ds_add_u32 v41, v95
	s_or_b32 exec_lo, exec_lo, s9
	s_mov_b32 s9, exec_lo
	v_cmpx_gt_u32_e64 s8, v78
	s_cbranch_execz .LBB494_340
.LBB494_355:                            ;   in Loop: Header=BB494_308 Depth=2
	v_xor_b32_e32 v41, 0x7fffffff, v30
	s_delay_alu instid0(VALU_DEP_1) | instskip(NEXT) | instid1(VALU_DEP_1)
	v_lshrrev_b32_e32 v41, s43, v41
	v_and_b32_e32 v41, s48, v41
	s_delay_alu instid0(VALU_DEP_1) | instskip(SKIP_2) | instid1(SALU_CYCLE_1)
	v_lshl_or_b32 v41, v41, 4, v84
	ds_add_u32 v41, v95
	s_or_b32 exec_lo, exec_lo, s9
	s_mov_b32 s9, exec_lo
	v_cmpx_gt_u32_e64 s8, v79
	s_cbranch_execz .LBB494_341
.LBB494_356:                            ;   in Loop: Header=BB494_308 Depth=2
	v_xor_b32_e32 v41, 0x7fffffff, v29
	s_delay_alu instid0(VALU_DEP_1) | instskip(NEXT) | instid1(VALU_DEP_1)
	v_lshrrev_b32_e32 v41, s43, v41
	v_and_b32_e32 v41, s48, v41
	s_delay_alu instid0(VALU_DEP_1) | instskip(SKIP_2) | instid1(SALU_CYCLE_1)
	v_lshl_or_b32 v41, v41, 4, v84
	ds_add_u32 v41, v95
	s_or_b32 exec_lo, exec_lo, s9
	s_mov_b32 s9, exec_lo
	v_cmpx_gt_u32_e64 s8, v80
	s_cbranch_execz .LBB494_342
.LBB494_357:                            ;   in Loop: Header=BB494_308 Depth=2
	v_xor_b32_e32 v41, 0x7fffffff, v28
	s_delay_alu instid0(VALU_DEP_1) | instskip(NEXT) | instid1(VALU_DEP_1)
	v_lshrrev_b32_e32 v41, s43, v41
	v_and_b32_e32 v41, s48, v41
	s_delay_alu instid0(VALU_DEP_1) | instskip(SKIP_2) | instid1(SALU_CYCLE_1)
	v_lshl_or_b32 v41, v41, 4, v84
	ds_add_u32 v41, v95
	s_or_b32 exec_lo, exec_lo, s9
	s_mov_b32 s9, exec_lo
	v_cmpx_gt_u32_e64 s8, v81
	s_cbranch_execz .LBB494_343
.LBB494_358:                            ;   in Loop: Header=BB494_308 Depth=2
	v_xor_b32_e32 v41, 0x7fffffff, v27
	s_delay_alu instid0(VALU_DEP_1) | instskip(NEXT) | instid1(VALU_DEP_1)
	v_lshrrev_b32_e32 v41, s43, v41
	v_and_b32_e32 v41, s48, v41
	s_delay_alu instid0(VALU_DEP_1) | instskip(SKIP_2) | instid1(SALU_CYCLE_1)
	v_lshl_or_b32 v41, v41, 4, v84
	ds_add_u32 v41, v95
	s_or_b32 exec_lo, exec_lo, s9
	s_mov_b32 s9, exec_lo
	v_cmpx_gt_u32_e64 s8, v82
	s_cbranch_execz .LBB494_344
.LBB494_359:                            ;   in Loop: Header=BB494_308 Depth=2
	v_xor_b32_e32 v41, 0x7fffffff, v26
	s_delay_alu instid0(VALU_DEP_1) | instskip(NEXT) | instid1(VALU_DEP_1)
	v_lshrrev_b32_e32 v41, s43, v41
	v_and_b32_e32 v41, s48, v41
	s_delay_alu instid0(VALU_DEP_1)
	v_lshl_or_b32 v41, v41, 4, v84
	ds_add_u32 v41, v95
	s_or_b32 exec_lo, exec_lo, s9
	v_cmp_gt_u32_e32 vcc_lo, s8, v83
	s_and_saveexec_b32 s8, vcc_lo
	s_cbranch_execz .LBB494_307
.LBB494_360:                            ;   in Loop: Header=BB494_308 Depth=2
	v_xor_b32_e32 v41, 0x7fffffff, v25
	s_delay_alu instid0(VALU_DEP_1) | instskip(NEXT) | instid1(VALU_DEP_1)
	v_lshrrev_b32_e32 v41, s43, v41
	v_and_b32_e32 v41, s48, v41
	s_delay_alu instid0(VALU_DEP_1)
	v_lshl_or_b32 v41, v41, 4, v84
	ds_add_u32 v41, v95
	s_branch .LBB494_307
.LBB494_361:                            ;   in Loop: Header=BB494_308 Depth=2
	global_load_b32 v40, v2, s[8:9] scale_offset
	s_wait_xcnt 0x0
	s_or_b32 exec_lo, exec_lo, s11
	s_delay_alu instid0(SALU_CYCLE_1)
	s_mov_b32 s11, exec_lo
	v_cmpx_gt_u32_e64 s7, v3
	s_cbranch_execz .LBB494_313
.LBB494_362:                            ;   in Loop: Header=BB494_308 Depth=2
	global_load_b32 v39, v2, s[8:9] offset:1024 scale_offset
	s_wait_xcnt 0x0
	s_or_b32 exec_lo, exec_lo, s11
	s_delay_alu instid0(SALU_CYCLE_1)
	s_mov_b32 s11, exec_lo
	v_cmpx_gt_u32_e64 s7, v70
	s_cbranch_execz .LBB494_314
.LBB494_363:                            ;   in Loop: Header=BB494_308 Depth=2
	global_load_b32 v38, v2, s[8:9] offset:2048 scale_offset
	s_wait_xcnt 0x0
	s_or_b32 exec_lo, exec_lo, s11
	s_delay_alu instid0(SALU_CYCLE_1)
	s_mov_b32 s11, exec_lo
	v_cmpx_gt_u32_e64 s7, v71
	s_cbranch_execz .LBB494_315
.LBB494_364:                            ;   in Loop: Header=BB494_308 Depth=2
	global_load_b32 v37, v2, s[8:9] offset:3072 scale_offset
	s_wait_xcnt 0x0
	s_or_b32 exec_lo, exec_lo, s11
	s_delay_alu instid0(SALU_CYCLE_1)
	s_mov_b32 s11, exec_lo
	v_cmpx_gt_u32_e64 s7, v72
	s_cbranch_execz .LBB494_316
.LBB494_365:                            ;   in Loop: Header=BB494_308 Depth=2
	global_load_b32 v36, v2, s[8:9] offset:4096 scale_offset
	s_wait_xcnt 0x0
	s_or_b32 exec_lo, exec_lo, s11
	s_delay_alu instid0(SALU_CYCLE_1)
	s_mov_b32 s11, exec_lo
	v_cmpx_gt_u32_e64 s7, v73
	s_cbranch_execz .LBB494_317
.LBB494_366:                            ;   in Loop: Header=BB494_308 Depth=2
	global_load_b32 v35, v2, s[8:9] offset:5120 scale_offset
	s_wait_xcnt 0x0
	s_or_b32 exec_lo, exec_lo, s11
	s_delay_alu instid0(SALU_CYCLE_1)
	s_mov_b32 s11, exec_lo
	v_cmpx_gt_u32_e64 s7, v74
	s_cbranch_execz .LBB494_318
.LBB494_367:                            ;   in Loop: Header=BB494_308 Depth=2
	global_load_b32 v34, v2, s[8:9] offset:6144 scale_offset
	s_wait_xcnt 0x0
	s_or_b32 exec_lo, exec_lo, s11
	s_delay_alu instid0(SALU_CYCLE_1)
	s_mov_b32 s11, exec_lo
	v_cmpx_gt_u32_e64 s7, v75
	s_cbranch_execz .LBB494_319
.LBB494_368:                            ;   in Loop: Header=BB494_308 Depth=2
	global_load_b32 v33, v2, s[8:9] offset:7168 scale_offset
	s_wait_xcnt 0x0
	s_or_b32 exec_lo, exec_lo, s11
	s_delay_alu instid0(SALU_CYCLE_1)
	s_mov_b32 s11, exec_lo
	v_cmpx_gt_u32_e64 s7, v76
	s_cbranch_execz .LBB494_320
.LBB494_369:                            ;   in Loop: Header=BB494_308 Depth=2
	global_load_b32 v32, v2, s[8:9] offset:8192 scale_offset
	s_wait_xcnt 0x0
	s_or_b32 exec_lo, exec_lo, s11
	s_delay_alu instid0(SALU_CYCLE_1)
	s_mov_b32 s11, exec_lo
	v_cmpx_gt_u32_e64 s7, v77
	s_cbranch_execz .LBB494_321
.LBB494_370:                            ;   in Loop: Header=BB494_308 Depth=2
	global_load_b32 v31, v2, s[8:9] offset:9216 scale_offset
	s_wait_xcnt 0x0
	s_or_b32 exec_lo, exec_lo, s11
	s_delay_alu instid0(SALU_CYCLE_1)
	s_mov_b32 s11, exec_lo
	v_cmpx_gt_u32_e64 s7, v78
	s_cbranch_execz .LBB494_322
.LBB494_371:                            ;   in Loop: Header=BB494_308 Depth=2
	global_load_b32 v30, v2, s[8:9] offset:10240 scale_offset
	s_wait_xcnt 0x0
	s_or_b32 exec_lo, exec_lo, s11
	s_delay_alu instid0(SALU_CYCLE_1)
	s_mov_b32 s11, exec_lo
	v_cmpx_gt_u32_e64 s7, v79
	s_cbranch_execz .LBB494_323
.LBB494_372:                            ;   in Loop: Header=BB494_308 Depth=2
	global_load_b32 v29, v2, s[8:9] offset:11264 scale_offset
	s_wait_xcnt 0x0
	s_or_b32 exec_lo, exec_lo, s11
	s_delay_alu instid0(SALU_CYCLE_1)
	s_mov_b32 s11, exec_lo
	v_cmpx_gt_u32_e64 s7, v80
	s_cbranch_execz .LBB494_324
.LBB494_373:                            ;   in Loop: Header=BB494_308 Depth=2
	global_load_b32 v28, v2, s[8:9] offset:12288 scale_offset
	s_wait_xcnt 0x0
	s_or_b32 exec_lo, exec_lo, s11
	s_delay_alu instid0(SALU_CYCLE_1)
	s_mov_b32 s11, exec_lo
	v_cmpx_gt_u32_e64 s7, v81
	s_cbranch_execz .LBB494_325
.LBB494_374:                            ;   in Loop: Header=BB494_308 Depth=2
	global_load_b32 v27, v2, s[8:9] offset:13312 scale_offset
	s_wait_xcnt 0x0
	s_or_b32 exec_lo, exec_lo, s11
	s_delay_alu instid0(SALU_CYCLE_1)
	s_mov_b32 s11, exec_lo
	v_cmpx_gt_u32_e64 s7, v82
	s_cbranch_execz .LBB494_326
.LBB494_375:                            ;   in Loop: Header=BB494_308 Depth=2
	global_load_b32 v26, v2, s[8:9] offset:14336 scale_offset
	s_wait_xcnt 0x0
	s_or_b32 exec_lo, exec_lo, s11
	s_delay_alu instid0(SALU_CYCLE_1)
	s_mov_b32 s11, exec_lo
	v_cmpx_gt_u32_e64 s7, v83
	s_cbranch_execnz .LBB494_327
	s_branch .LBB494_328
.LBB494_376:                            ;   in Loop: Header=BB494_12 Depth=1
	v_mov_b32_e32 v25, 0
	s_wait_dscnt 0x0
	s_barrier_signal -1
	s_barrier_wait -1
	s_and_saveexec_b32 s7, s0
	s_cbranch_execz .LBB494_378
; %bb.377:                              ;   in Loop: Header=BB494_12 Depth=1
	ds_load_2addr_b64 v[26:29], v86 offset1:1
	s_wait_dscnt 0x0
	v_add_nc_u32_e32 v25, v27, v26
	s_delay_alu instid0(VALU_DEP_1)
	v_add3_u32 v25, v25, v28, v29
.LBB494_378:                            ;   in Loop: Header=BB494_12 Depth=1
	s_or_b32 exec_lo, exec_lo, s7
	s_delay_alu instid0(VALU_DEP_1)
	v_mov_b32_dpp v26, v25 row_shr:1 row_mask:0xf bank_mask:0xf
	v_cmp_eq_u32_e64 s7, 0, v96
	v_cmp_lt_u32_e64 s8, 1, v96
	v_cmp_lt_u32_e64 s9, 3, v96
	;; [unrolled: 1-line block ×3, first 2 shown]
	v_cmp_eq_u32_e64 s11, 0, v98
	v_cndmask_b32_e64 v26, v26, 0, s7
	s_delay_alu instid0(VALU_DEP_1) | instskip(NEXT) | instid1(VALU_DEP_1)
	v_add_nc_u32_e32 v25, v26, v25
	v_mov_b32_dpp v26, v25 row_shr:2 row_mask:0xf bank_mask:0xf
	s_delay_alu instid0(VALU_DEP_1) | instskip(NEXT) | instid1(VALU_DEP_1)
	v_cndmask_b32_e64 v26, 0, v26, s8
	v_add_nc_u32_e32 v25, v25, v26
	s_delay_alu instid0(VALU_DEP_1) | instskip(NEXT) | instid1(VALU_DEP_1)
	v_mov_b32_dpp v26, v25 row_shr:4 row_mask:0xf bank_mask:0xf
	v_cndmask_b32_e64 v26, 0, v26, s9
	s_delay_alu instid0(VALU_DEP_1) | instskip(NEXT) | instid1(VALU_DEP_1)
	v_add_nc_u32_e32 v25, v25, v26
	v_mov_b32_dpp v26, v25 row_shr:8 row_mask:0xf bank_mask:0xf
	s_delay_alu instid0(VALU_DEP_1) | instskip(NEXT) | instid1(VALU_DEP_1)
	v_cndmask_b32_e64 v26, 0, v26, s10
	v_add_nc_u32_e32 v25, v25, v26
	ds_swizzle_b32 v26, v25 offset:swizzle(BROADCAST,32,15)
	s_wait_dscnt 0x0
	v_and_b32_e32 v26, v97, v26
	s_delay_alu instid0(VALU_DEP_1)
	v_add_nc_u32_e32 v25, v25, v26
	s_and_saveexec_b32 s12, s1
; %bb.379:                              ;   in Loop: Header=BB494_12 Depth=1
	ds_store_b32 v87, v25
; %bb.380:                              ;   in Loop: Header=BB494_12 Depth=1
	s_or_b32 exec_lo, exec_lo, s12
	s_wait_dscnt 0x0
	s_barrier_signal -1
	s_barrier_wait -1
	s_and_saveexec_b32 s12, s4
	s_cbranch_execz .LBB494_382
; %bb.381:                              ;   in Loop: Header=BB494_12 Depth=1
	ds_load_b32 v26, v88
	v_cmp_ne_u32_e32 vcc_lo, 0, v100
	s_wait_dscnt 0x0
	v_mov_b32_dpp v27, v26 row_shr:1 row_mask:0xf bank_mask:0xf
	s_delay_alu instid0(VALU_DEP_1) | instskip(SKIP_1) | instid1(VALU_DEP_2)
	v_cndmask_b32_e32 v27, 0, v27, vcc_lo
	v_cmp_lt_u32_e32 vcc_lo, 1, v100
	v_add_nc_u32_e32 v26, v27, v26
	s_delay_alu instid0(VALU_DEP_1) | instskip(NEXT) | instid1(VALU_DEP_1)
	v_mov_b32_dpp v27, v26 row_shr:2 row_mask:0xf bank_mask:0xf
	v_cndmask_b32_e32 v27, 0, v27, vcc_lo
	v_cmp_lt_u32_e32 vcc_lo, 3, v100
	s_delay_alu instid0(VALU_DEP_2) | instskip(NEXT) | instid1(VALU_DEP_1)
	v_add_nc_u32_e32 v26, v26, v27
	v_mov_b32_dpp v27, v26 row_shr:4 row_mask:0xf bank_mask:0xf
	s_delay_alu instid0(VALU_DEP_1) | instskip(NEXT) | instid1(VALU_DEP_1)
	v_cndmask_b32_e32 v27, 0, v27, vcc_lo
	v_add_nc_u32_e32 v26, v26, v27
	ds_store_b32 v88, v26
.LBB494_382:                            ;   in Loop: Header=BB494_12 Depth=1
	s_or_b32 exec_lo, exec_lo, s12
	v_mov_b32_e32 v26, 0
	s_wait_dscnt 0x0
	s_barrier_signal -1
	s_barrier_wait -1
	s_and_saveexec_b32 s12, s5
; %bb.383:                              ;   in Loop: Header=BB494_12 Depth=1
	ds_load_b32 v26, v89
; %bb.384:                              ;   in Loop: Header=BB494_12 Depth=1
	s_or_b32 exec_lo, exec_lo, s12
	v_cmp_gt_i32_e32 vcc_lo, 0, v101
	s_wait_dscnt 0x0
	s_barrier_signal -1
	s_barrier_wait -1
	v_dual_cndmask_b32 v27, v101, v94, vcc_lo :: v_dual_add_nc_u32 v25, v26, v25
	s_delay_alu instid0(VALU_DEP_1)
	v_lshlrev_b32_e32 v120, 2, v27
	ds_bpermute_b32 v25, v120, v25
	s_and_saveexec_b32 s12, s0
	s_cbranch_execz .LBB494_386
; %bb.385:                              ;   in Loop: Header=BB494_12 Depth=1
	s_wait_dscnt 0x0
	v_cndmask_b32_e64 v25, v25, v26, s6
	s_delay_alu instid0(VALU_DEP_1)
	v_add_nc_u32_e32 v25, s52, v25
	ds_store_b32 v4, v25
.LBB494_386:                            ;   in Loop: Header=BB494_12 Depth=1
	s_or_b32 exec_lo, exec_lo, s12
	s_load_b64 s[12:13], s[34:35], 0x0
	s_mov_b32 s55, s54
                                        ; implicit-def: $vgpr32_vgpr33
                                        ; implicit-def: $vgpr34_vgpr35
                                        ; implicit-def: $vgpr36_vgpr37
                                        ; implicit-def: $vgpr38_vgpr39
                                        ; implicit-def: $vgpr40_vgpr41
                                        ; implicit-def: $vgpr42_vgpr43
                                        ; implicit-def: $vgpr44_vgpr45
                                        ; implicit-def: $vgpr46_vgpr47
                                        ; implicit-def: $vgpr48_vgpr49
                                        ; implicit-def: $vgpr50_vgpr51
                                        ; implicit-def: $vgpr52_vgpr53
                                        ; implicit-def: $vgpr54_vgpr55
                                        ; implicit-def: $vgpr56_vgpr57
                                        ; implicit-def: $vgpr58_vgpr59
                                        ; implicit-def: $vgpr60_vgpr61
                                        ; implicit-def: $vgpr121
                                        ; implicit-def: $vgpr122
                                        ; implicit-def: $vgpr123
                                        ; implicit-def: $vgpr124
                                        ; implicit-def: $vgpr125
                                        ; implicit-def: $vgpr126
                                        ; implicit-def: $vgpr127
                                        ; implicit-def: $vgpr128
                                        ; implicit-def: $vgpr129
                                        ; implicit-def: $vgpr130
                                        ; implicit-def: $vgpr131
                                        ; implicit-def: $vgpr132
                                        ; implicit-def: $vgpr133
                                        ; implicit-def: $vgpr134
                                        ; implicit-def: $vgpr135
                                        ; implicit-def: $vgpr136
	s_wait_kmcnt 0x0
	s_cmp_lt_u32 s33, s12
	s_cselect_b32 s30, 12, 18
	s_cmp_lt_u32 s42, s13
	s_mov_b32 s13, s31
	s_cselect_b32 s12, 14, 20
	s_delay_alu instid0(SALU_CYCLE_1)
	s_add_nc_u64 s[12:13], s[34:35], s[12:13]
	s_load_u16 s14, s[12:13], 0x0
	s_wait_xcnt 0x0
	s_add_nc_u64 s[12:13], s[34:35], s[30:31]
	s_mov_b32 s30, s52
	s_load_u16 s12, s[12:13], 0x0
	s_wait_xcnt 0x0
	v_cmp_lt_u32_e64 s13, 1, v100
	s_wait_dscnt 0x0
	s_wait_kmcnt 0x0
	v_mad_u32_u24 v25, v90, s14, v92
	v_cmp_lt_u32_e64 s14, 3, v100
	s_delay_alu instid0(VALU_DEP_2) | instskip(SKIP_2) | instid1(VALU_DEP_3)
	v_mad_u32 v26, v25, s12, v2
	v_mov_b32_e32 v25, v1
	v_cmp_eq_u32_e64 s12, 0, v100
	v_lshrrev_b32_e32 v30, 3, v26
	v_add_nc_u64_e32 v[26:27], v[10:11], v[0:1]
	s_delay_alu instid0(VALU_DEP_4) | instskip(NEXT) | instid1(VALU_DEP_3)
	v_add_nc_u64_e32 v[28:29], v[12:13], v[24:25]
	v_and_b32_e32 v25, 0x1ffffffc, v30
                                        ; implicit-def: $vgpr30_vgpr31
	s_branch .LBB494_388
.LBB494_387:                            ;   in Loop: Header=BB494_388 Depth=2
	s_or_b32 exec_lo, exec_lo, s15
	s_addk_co_i32 s55, 0xf000
	s_cmp_lt_u32 s56, s51
	s_mov_b32 s30, s56
	s_cbranch_scc0 .LBB494_596
.LBB494_388:                            ;   Parent Loop BB494_12 Depth=1
                                        ; =>  This Inner Loop Header: Depth=2
	s_add_co_i32 s56, s30, 0x1000
	s_delay_alu instid0(SALU_CYCLE_1)
	s_cmp_gt_u32 s56, s51
	s_cbranch_scc1 .LBB494_390
; %bb.389:                              ;   in Loop: Header=BB494_388 Depth=2
	s_delay_alu instid0(VALU_DEP_2)
	v_lshl_add_u64 v[62:63], s[30:31], 2, v[28:29]
	s_mov_b32 s15, -1
	s_clause 0xe
	global_load_b32 v139, v[62:63], off
	global_load_b32 v140, v[62:63], off offset:128
	global_load_b32 v143, v[62:63], off offset:256
	;; [unrolled: 1-line block ×14, first 2 shown]
	s_movk_i32 s16, 0x1000
	s_cbranch_execz .LBB494_391
	s_branch .LBB494_422
.LBB494_390:                            ;   in Loop: Header=BB494_388 Depth=2
	s_mov_b32 s15, 0
                                        ; implicit-def: $vgpr139
                                        ; implicit-def: $vgpr140
                                        ; implicit-def: $vgpr143
                                        ; implicit-def: $vgpr147
                                        ; implicit-def: $vgpr151
                                        ; implicit-def: $vgpr155
                                        ; implicit-def: $vgpr159
                                        ; implicit-def: $vgpr163
                                        ; implicit-def: $vgpr166
                                        ; implicit-def: $vgpr69
                                        ; implicit-def: $vgpr68
                                        ; implicit-def: $vgpr67
                                        ; implicit-def: $vgpr66
                                        ; implicit-def: $vgpr65
                                        ; implicit-def: $vgpr64
	s_movk_i32 s16, 0x1000
.LBB494_391:                            ;   in Loop: Header=BB494_388 Depth=2
	s_wait_xcnt 0x0
	v_lshl_add_u64 v[62:63], s[30:31], 2, v[28:29]
	s_wait_loadcnt 0xd
	v_bfrev_b32_e32 v140, 1
	v_bfrev_b32_e32 v139, 1
	s_mov_b32 s15, exec_lo
	v_cmpx_gt_u32_e64 s55, v99
	s_cbranch_execz .LBB494_393
; %bb.392:                              ;   in Loop: Header=BB494_388 Depth=2
	global_load_b32 v139, v[62:63], off
.LBB494_393:                            ;   in Loop: Header=BB494_388 Depth=2
	s_wait_xcnt 0x0
	s_or_b32 exec_lo, exec_lo, s15
	s_delay_alu instid0(SALU_CYCLE_1)
	s_mov_b32 s15, exec_lo
	v_cmpx_gt_u32_e64 s55, v102
	s_cbranch_execz .LBB494_395
; %bb.394:                              ;   in Loop: Header=BB494_388 Depth=2
	global_load_b32 v140, v[62:63], off offset:128
.LBB494_395:                            ;   in Loop: Header=BB494_388 Depth=2
	s_wait_xcnt 0x0
	s_or_b32 exec_lo, exec_lo, s15
	s_wait_loadcnt 0xb
	v_bfrev_b32_e32 v147, 1
	v_bfrev_b32_e32 v143, 1
	s_mov_b32 s15, exec_lo
	v_cmpx_gt_u32_e64 s55, v103
	s_cbranch_execz .LBB494_397
; %bb.396:                              ;   in Loop: Header=BB494_388 Depth=2
	global_load_b32 v143, v[62:63], off offset:256
.LBB494_397:                            ;   in Loop: Header=BB494_388 Depth=2
	s_wait_xcnt 0x0
	s_or_b32 exec_lo, exec_lo, s15
	s_delay_alu instid0(SALU_CYCLE_1)
	s_mov_b32 s15, exec_lo
	v_cmpx_gt_u32_e64 s55, v104
	s_cbranch_execz .LBB494_399
; %bb.398:                              ;   in Loop: Header=BB494_388 Depth=2
	global_load_b32 v147, v[62:63], off offset:384
.LBB494_399:                            ;   in Loop: Header=BB494_388 Depth=2
	s_wait_xcnt 0x0
	s_or_b32 exec_lo, exec_lo, s15
	s_wait_loadcnt 0x9
	v_bfrev_b32_e32 v155, 1
	v_bfrev_b32_e32 v151, 1
	s_mov_b32 s15, exec_lo
	v_cmpx_gt_u32_e64 s55, v105
	s_cbranch_execz .LBB494_401
; %bb.400:                              ;   in Loop: Header=BB494_388 Depth=2
	global_load_b32 v151, v[62:63], off offset:512
.LBB494_401:                            ;   in Loop: Header=BB494_388 Depth=2
	;; [unrolled: 20-line block ×6, first 2 shown]
	s_wait_xcnt 0x0
	s_or_b32 exec_lo, exec_lo, s15
	s_delay_alu instid0(SALU_CYCLE_1)
	s_mov_b32 s15, exec_lo
	v_cmpx_gt_u32_e64 s55, v114
	s_cbranch_execz .LBB494_419
; %bb.418:                              ;   in Loop: Header=BB494_388 Depth=2
	global_load_b32 v65, v[62:63], off offset:1664
.LBB494_419:                            ;   in Loop: Header=BB494_388 Depth=2
	s_wait_xcnt 0x0
	s_or_b32 exec_lo, exec_lo, s15
	s_wait_loadcnt 0x0
	v_bfrev_b32_e32 v64, 1
	s_mov_b32 s15, exec_lo
	v_cmpx_gt_u32_e64 s55, v115
	s_cbranch_execz .LBB494_421
; %bb.420:                              ;   in Loop: Header=BB494_388 Depth=2
	global_load_b32 v64, v[62:63], off offset:1792
.LBB494_421:                            ;   in Loop: Header=BB494_388 Depth=2
	s_wait_xcnt 0x0
	s_or_b32 exec_lo, exec_lo, s15
	v_cmp_gt_u32_e64 s15, s55, v116
	s_sub_co_i32 s16, s51, s30
.LBB494_422:                            ;   in Loop: Header=BB494_388 Depth=2
	v_dual_mov_b32 v138, -1 :: v_dual_mov_b32 v137, s55
	s_wait_xcnt 0x0
	s_and_saveexec_b32 s17, s15
	s_cbranch_execz .LBB494_424
; %bb.423:                              ;   in Loop: Header=BB494_388 Depth=2
	v_lshl_add_u64 v[62:63], s[30:31], 2, v[28:29]
	v_mov_b32_e32 v137, s16
	global_load_b32 v62, v[62:63], off offset:1920
	s_wait_loadcnt 0x0
	v_xor_b32_e32 v138, 0x7fffffff, v62
.LBB494_424:                            ;   in Loop: Header=BB494_388 Depth=2
	s_wait_xcnt 0x0
	s_or_b32 exec_lo, exec_lo, s17
	s_wait_loadcnt 0xe
	v_xor_b32_e32 v139, 0x7fffffff, v139
	ds_store_2addr_b32 v5, v1, v1 offset1:1
	ds_store_2addr_b32 v117, v1, v1 offset1:1
	ds_store_2addr_b32 v118, v1, v1 offset1:1
	ds_store_2addr_b32 v119, v1, v1 offset1:1
	ds_store_b32 v91, v1 offset:1088
	s_wait_loadcnt_dscnt 0x0
	s_barrier_signal -1
	v_lshrrev_b32_e32 v62, s43, v139
	s_barrier_wait -1
	; wave barrier
	s_delay_alu instid0(VALU_DEP_1) | instskip(NEXT) | instid1(VALU_DEP_1)
	v_and_b32_e32 v142, s48, v62
	v_lshlrev_b32_e32 v141, 30, v142
	v_bitop3_b32 v63, v62, 1, s48 bitop3:0x80
	s_delay_alu instid0(VALU_DEP_1) | instskip(NEXT) | instid1(VALU_DEP_1)
	v_add_co_u32 v62, s15, v63, -1
	v_cndmask_b32_e64 v63, 0, 1, s15
	s_delay_alu instid0(VALU_DEP_4) | instskip(NEXT) | instid1(VALU_DEP_2)
	v_cmp_gt_i32_e64 s15, 0, v141
	v_cmp_ne_u32_e32 vcc_lo, 0, v63
	v_not_b32_e32 v63, v141
	s_delay_alu instid0(VALU_DEP_1) | instskip(SKIP_3) | instid1(VALU_DEP_4)
	v_dual_ashrrev_i32 v63, 31, v63 :: v_dual_lshlrev_b32 v144, 29, v142
	v_dual_lshlrev_b32 v145, 28, v142 :: v_dual_lshlrev_b32 v146, 27, v142
	v_dual_lshlrev_b32 v148, 26, v142 :: v_dual_lshlrev_b32 v149, 25, v142
	v_lshlrev_b32_e32 v150, 24, v142
	v_cmp_gt_i32_e64 s16, 0, v144
	v_not_b32_e32 v141, v144
	v_not_b32_e32 v144, v145
	v_cmp_gt_i32_e64 s17, 0, v145
	v_cmp_gt_i32_e64 s18, 0, v146
	v_not_b32_e32 v145, v146
	v_not_b32_e32 v146, v148
	v_dual_ashrrev_i32 v141, 31, v141 :: v_dual_bitop2_b32 v62, vcc_lo, v62 bitop3:0x14
	v_dual_ashrrev_i32 v144, 31, v144 :: v_dual_bitop2_b32 v63, s15, v63 bitop3:0x14
	v_cmp_gt_i32_e64 s19, 0, v148
	v_not_b32_e32 v148, v149
	s_delay_alu instid0(VALU_DEP_3)
	v_dual_ashrrev_i32 v145, 31, v145 :: v_dual_bitop2_b32 v144, s17, v144 bitop3:0x14
	v_dual_ashrrev_i32 v146, 31, v146 :: v_dual_bitop2_b32 v141, s16, v141 bitop3:0x14
	v_bitop3_b32 v62, v62, v63, exec_lo bitop3:0x80
	v_not_b32_e32 v63, v150
	v_cmp_gt_i32_e64 s20, 0, v149
	v_dual_ashrrev_i32 v148, 31, v148 :: v_dual_bitop2_b32 v145, s18, v145 bitop3:0x14
	s_delay_alu instid0(VALU_DEP_4) | instskip(SKIP_2) | instid1(VALU_DEP_4)
	v_bitop3_b32 v62, v62, v144, v141 bitop3:0x80
	v_cmp_gt_i32_e32 vcc_lo, 0, v150
	v_dual_ashrrev_i32 v63, 31, v63 :: v_dual_bitop2_b32 v141, s19, v146 bitop3:0x14
	v_xor_b32_e32 v144, s20, v148
	s_delay_alu instid0(VALU_DEP_2) | instskip(NEXT) | instid1(VALU_DEP_3)
	v_xor_b32_e32 v63, vcc_lo, v63
	v_bitop3_b32 v62, v62, v141, v145 bitop3:0x80
	s_delay_alu instid0(VALU_DEP_1) | instskip(SKIP_1) | instid1(VALU_DEP_2)
	v_bitop3_b32 v62, v62, v63, v144 bitop3:0x80
	v_mul_u32_u24_e32 v63, 36, v142
	v_mbcnt_lo_u32_b32 v141, v62, 0
	v_cmp_ne_u32_e64 s15, 0, v62
	s_delay_alu instid0(VALU_DEP_3) | instskip(NEXT) | instid1(VALU_DEP_3)
	v_add_nc_u32_e32 v142, v25, v63
	v_cmp_eq_u32_e32 vcc_lo, 0, v141
	s_and_b32 s16, s15, vcc_lo
	s_delay_alu instid0(SALU_CYCLE_1)
	s_and_saveexec_b32 s15, s16
; %bb.425:                              ;   in Loop: Header=BB494_388 Depth=2
	v_bcnt_u32_b32 v62, v62, 0
	ds_store_b32 v142, v62 offset:1056
; %bb.426:                              ;   in Loop: Header=BB494_388 Depth=2
	s_or_b32 exec_lo, exec_lo, s15
	v_xor_b32_e32 v140, 0x7fffffff, v140
	; wave barrier
	s_delay_alu instid0(VALU_DEP_1) | instskip(NEXT) | instid1(VALU_DEP_1)
	v_lshrrev_b32_e32 v62, s43, v140
	v_and_b32_e32 v146, s48, v62
	s_delay_alu instid0(VALU_DEP_1) | instskip(SKIP_1) | instid1(VALU_DEP_1)
	v_lshlrev_b32_e32 v144, 30, v146
	v_bitop3_b32 v63, v62, 1, s48 bitop3:0x80
	v_add_co_u32 v62, s15, v63, -1
	s_delay_alu instid0(VALU_DEP_1) | instskip(NEXT) | instid1(VALU_DEP_4)
	v_cndmask_b32_e64 v63, 0, 1, s15
	v_cmp_gt_i32_e64 s15, 0, v144
	s_delay_alu instid0(VALU_DEP_2) | instskip(SKIP_1) | instid1(VALU_DEP_1)
	v_cmp_ne_u32_e32 vcc_lo, 0, v63
	v_not_b32_e32 v63, v144
	v_dual_ashrrev_i32 v63, 31, v63 :: v_dual_lshlrev_b32 v145, 29, v146
	v_dual_lshlrev_b32 v148, 28, v146 :: v_dual_lshlrev_b32 v149, 27, v146
	v_dual_lshlrev_b32 v150, 26, v146 :: v_dual_lshlrev_b32 v152, 25, v146
	v_lshlrev_b32_e32 v153, 24, v146
	s_delay_alu instid0(VALU_DEP_4)
	v_cmp_gt_i32_e64 s16, 0, v145
	v_not_b32_e32 v144, v145
	v_not_b32_e32 v145, v148
	v_cmp_gt_i32_e64 s17, 0, v148
	v_cmp_gt_i32_e64 s18, 0, v149
	v_not_b32_e32 v148, v149
	v_not_b32_e32 v149, v150
	v_dual_ashrrev_i32 v144, 31, v144 :: v_dual_bitop2_b32 v62, vcc_lo, v62 bitop3:0x14
	v_dual_ashrrev_i32 v145, 31, v145 :: v_dual_bitop2_b32 v63, s15, v63 bitop3:0x14
	v_cmp_gt_i32_e64 s19, 0, v150
	s_delay_alu instid0(VALU_DEP_4) | instskip(SKIP_1) | instid1(VALU_DEP_4)
	v_dual_ashrrev_i32 v148, 31, v148 :: v_dual_ashrrev_i32 v149, 31, v149
	v_not_b32_e32 v150, v153
	v_xor_b32_e32 v145, s17, v145
	v_bitop3_b32 v62, v62, v63, exec_lo bitop3:0x80
	v_not_b32_e32 v63, v152
	v_xor_b32_e32 v144, s16, v144
	v_cmp_gt_i32_e64 s20, 0, v152
	v_xor_b32_e32 v148, s18, v148
	s_delay_alu instid0(VALU_DEP_4) | instskip(NEXT) | instid1(VALU_DEP_4)
	v_dual_ashrrev_i32 v63, 31, v63 :: v_dual_bitop2_b32 v149, s19, v149 bitop3:0x14
	v_bitop3_b32 v62, v62, v145, v144 bitop3:0x80
	v_cmp_gt_i32_e32 vcc_lo, 0, v153
	v_ashrrev_i32_e32 v144, 31, v150
	v_mad_u32_u24 v145, v146, 36, v25
	v_xor_b32_e32 v63, s20, v63
	v_bitop3_b32 v62, v62, v149, v148 bitop3:0x80
	s_delay_alu instid0(VALU_DEP_4) | instskip(SKIP_3) | instid1(VALU_DEP_2)
	v_xor_b32_e32 v148, vcc_lo, v144
	ds_load_b32 v144, v145 offset:1056
	; wave barrier
	v_bitop3_b32 v62, v62, v148, v63 bitop3:0x80
	v_mul_u32_u24_e32 v63, 36, v146
	v_mbcnt_lo_u32_b32 v145, v62, 0
	v_cmp_ne_u32_e64 s15, 0, v62
	s_delay_alu instid0(VALU_DEP_3) | instskip(NEXT) | instid1(VALU_DEP_3)
	v_add_nc_u32_e32 v146, v25, v63
	v_cmp_eq_u32_e32 vcc_lo, 0, v145
	s_and_b32 s16, s15, vcc_lo
	s_delay_alu instid0(SALU_CYCLE_1)
	s_and_saveexec_b32 s15, s16
	s_cbranch_execz .LBB494_428
; %bb.427:                              ;   in Loop: Header=BB494_388 Depth=2
	s_wait_dscnt 0x0
	v_bcnt_u32_b32 v62, v62, v144
	ds_store_b32 v146, v62 offset:1056
.LBB494_428:                            ;   in Loop: Header=BB494_388 Depth=2
	s_or_b32 exec_lo, exec_lo, s15
	v_xor_b32_e32 v143, 0x7fffffff, v143
	; wave barrier
	s_delay_alu instid0(VALU_DEP_1) | instskip(NEXT) | instid1(VALU_DEP_1)
	v_lshrrev_b32_e32 v62, s43, v143
	v_and_b32_e32 v150, s48, v62
	s_delay_alu instid0(VALU_DEP_1) | instskip(SKIP_1) | instid1(VALU_DEP_1)
	v_lshlrev_b32_e32 v148, 30, v150
	v_bitop3_b32 v63, v62, 1, s48 bitop3:0x80
	v_add_co_u32 v62, s15, v63, -1
	s_delay_alu instid0(VALU_DEP_1) | instskip(NEXT) | instid1(VALU_DEP_4)
	v_cndmask_b32_e64 v63, 0, 1, s15
	v_cmp_gt_i32_e64 s15, 0, v148
	s_delay_alu instid0(VALU_DEP_2) | instskip(SKIP_1) | instid1(VALU_DEP_1)
	v_cmp_ne_u32_e32 vcc_lo, 0, v63
	v_not_b32_e32 v63, v148
	v_dual_ashrrev_i32 v63, 31, v63 :: v_dual_lshlrev_b32 v149, 29, v150
	v_dual_lshlrev_b32 v152, 28, v150 :: v_dual_lshlrev_b32 v153, 27, v150
	v_dual_lshlrev_b32 v154, 26, v150 :: v_dual_lshlrev_b32 v156, 25, v150
	v_lshlrev_b32_e32 v157, 24, v150
	s_delay_alu instid0(VALU_DEP_4)
	v_cmp_gt_i32_e64 s16, 0, v149
	v_not_b32_e32 v148, v149
	v_not_b32_e32 v149, v152
	v_cmp_gt_i32_e64 s17, 0, v152
	v_cmp_gt_i32_e64 s18, 0, v153
	v_not_b32_e32 v152, v153
	v_not_b32_e32 v153, v154
	v_dual_ashrrev_i32 v148, 31, v148 :: v_dual_bitop2_b32 v62, vcc_lo, v62 bitop3:0x14
	v_dual_ashrrev_i32 v149, 31, v149 :: v_dual_bitop2_b32 v63, s15, v63 bitop3:0x14
	v_cmp_gt_i32_e64 s19, 0, v154
	s_delay_alu instid0(VALU_DEP_4) | instskip(SKIP_1) | instid1(VALU_DEP_4)
	v_dual_ashrrev_i32 v152, 31, v152 :: v_dual_ashrrev_i32 v153, 31, v153
	v_not_b32_e32 v154, v157
	v_xor_b32_e32 v149, s17, v149
	v_bitop3_b32 v62, v62, v63, exec_lo bitop3:0x80
	v_not_b32_e32 v63, v156
	v_xor_b32_e32 v148, s16, v148
	v_cmp_gt_i32_e64 s20, 0, v156
	v_xor_b32_e32 v152, s18, v152
	s_delay_alu instid0(VALU_DEP_4) | instskip(NEXT) | instid1(VALU_DEP_4)
	v_dual_ashrrev_i32 v63, 31, v63 :: v_dual_bitop2_b32 v153, s19, v153 bitop3:0x14
	v_bitop3_b32 v62, v62, v149, v148 bitop3:0x80
	v_cmp_gt_i32_e32 vcc_lo, 0, v157
	v_ashrrev_i32_e32 v148, 31, v154
	v_mad_u32_u24 v149, v150, 36, v25
	v_xor_b32_e32 v63, s20, v63
	v_bitop3_b32 v62, v62, v153, v152 bitop3:0x80
	s_delay_alu instid0(VALU_DEP_4) | instskip(SKIP_3) | instid1(VALU_DEP_2)
	v_xor_b32_e32 v152, vcc_lo, v148
	ds_load_b32 v148, v149 offset:1056
	; wave barrier
	v_bitop3_b32 v62, v62, v152, v63 bitop3:0x80
	v_mul_u32_u24_e32 v63, 36, v150
	v_mbcnt_lo_u32_b32 v149, v62, 0
	v_cmp_ne_u32_e64 s15, 0, v62
	s_delay_alu instid0(VALU_DEP_3) | instskip(NEXT) | instid1(VALU_DEP_3)
	v_add_nc_u32_e32 v150, v25, v63
	v_cmp_eq_u32_e32 vcc_lo, 0, v149
	s_and_b32 s16, s15, vcc_lo
	s_delay_alu instid0(SALU_CYCLE_1)
	s_and_saveexec_b32 s15, s16
	s_cbranch_execz .LBB494_430
; %bb.429:                              ;   in Loop: Header=BB494_388 Depth=2
	s_wait_dscnt 0x0
	v_bcnt_u32_b32 v62, v62, v148
	ds_store_b32 v150, v62 offset:1056
.LBB494_430:                            ;   in Loop: Header=BB494_388 Depth=2
	s_or_b32 exec_lo, exec_lo, s15
	v_xor_b32_e32 v147, 0x7fffffff, v147
	; wave barrier
	s_delay_alu instid0(VALU_DEP_1) | instskip(NEXT) | instid1(VALU_DEP_1)
	v_lshrrev_b32_e32 v62, s43, v147
	v_and_b32_e32 v154, s48, v62
	s_delay_alu instid0(VALU_DEP_1) | instskip(SKIP_1) | instid1(VALU_DEP_1)
	v_lshlrev_b32_e32 v152, 30, v154
	v_bitop3_b32 v63, v62, 1, s48 bitop3:0x80
	v_add_co_u32 v62, s15, v63, -1
	s_delay_alu instid0(VALU_DEP_1) | instskip(NEXT) | instid1(VALU_DEP_4)
	v_cndmask_b32_e64 v63, 0, 1, s15
	v_cmp_gt_i32_e64 s15, 0, v152
	s_delay_alu instid0(VALU_DEP_2) | instskip(SKIP_1) | instid1(VALU_DEP_1)
	v_cmp_ne_u32_e32 vcc_lo, 0, v63
	v_not_b32_e32 v63, v152
	v_dual_ashrrev_i32 v63, 31, v63 :: v_dual_lshlrev_b32 v153, 29, v154
	v_dual_lshlrev_b32 v156, 28, v154 :: v_dual_lshlrev_b32 v157, 27, v154
	v_dual_lshlrev_b32 v158, 26, v154 :: v_dual_lshlrev_b32 v160, 25, v154
	v_lshlrev_b32_e32 v161, 24, v154
	s_delay_alu instid0(VALU_DEP_4)
	v_cmp_gt_i32_e64 s16, 0, v153
	v_not_b32_e32 v152, v153
	v_not_b32_e32 v153, v156
	v_cmp_gt_i32_e64 s17, 0, v156
	v_cmp_gt_i32_e64 s18, 0, v157
	v_not_b32_e32 v156, v157
	v_not_b32_e32 v157, v158
	v_dual_ashrrev_i32 v152, 31, v152 :: v_dual_bitop2_b32 v62, vcc_lo, v62 bitop3:0x14
	v_dual_ashrrev_i32 v153, 31, v153 :: v_dual_bitop2_b32 v63, s15, v63 bitop3:0x14
	v_cmp_gt_i32_e64 s19, 0, v158
	s_delay_alu instid0(VALU_DEP_4) | instskip(SKIP_1) | instid1(VALU_DEP_4)
	v_dual_ashrrev_i32 v156, 31, v156 :: v_dual_ashrrev_i32 v157, 31, v157
	v_not_b32_e32 v158, v161
	v_xor_b32_e32 v153, s17, v153
	v_bitop3_b32 v62, v62, v63, exec_lo bitop3:0x80
	v_not_b32_e32 v63, v160
	v_xor_b32_e32 v152, s16, v152
	v_cmp_gt_i32_e64 s20, 0, v160
	v_xor_b32_e32 v156, s18, v156
	s_delay_alu instid0(VALU_DEP_4) | instskip(NEXT) | instid1(VALU_DEP_4)
	v_dual_ashrrev_i32 v63, 31, v63 :: v_dual_bitop2_b32 v157, s19, v157 bitop3:0x14
	v_bitop3_b32 v62, v62, v153, v152 bitop3:0x80
	v_cmp_gt_i32_e32 vcc_lo, 0, v161
	v_ashrrev_i32_e32 v152, 31, v158
	v_mad_u32_u24 v153, v154, 36, v25
	v_xor_b32_e32 v63, s20, v63
	v_bitop3_b32 v62, v62, v157, v156 bitop3:0x80
	s_delay_alu instid0(VALU_DEP_4) | instskip(SKIP_3) | instid1(VALU_DEP_2)
	v_xor_b32_e32 v156, vcc_lo, v152
	ds_load_b32 v152, v153 offset:1056
	; wave barrier
	v_bitop3_b32 v62, v62, v156, v63 bitop3:0x80
	v_mul_u32_u24_e32 v63, 36, v154
	v_mbcnt_lo_u32_b32 v153, v62, 0
	v_cmp_ne_u32_e64 s15, 0, v62
	s_delay_alu instid0(VALU_DEP_3) | instskip(NEXT) | instid1(VALU_DEP_3)
	v_add_nc_u32_e32 v154, v25, v63
	v_cmp_eq_u32_e32 vcc_lo, 0, v153
	s_and_b32 s16, s15, vcc_lo
	s_delay_alu instid0(SALU_CYCLE_1)
	s_and_saveexec_b32 s15, s16
	s_cbranch_execz .LBB494_432
; %bb.431:                              ;   in Loop: Header=BB494_388 Depth=2
	s_wait_dscnt 0x0
	v_bcnt_u32_b32 v62, v62, v152
	ds_store_b32 v154, v62 offset:1056
.LBB494_432:                            ;   in Loop: Header=BB494_388 Depth=2
	s_or_b32 exec_lo, exec_lo, s15
	v_xor_b32_e32 v151, 0x7fffffff, v151
	; wave barrier
	s_delay_alu instid0(VALU_DEP_1) | instskip(NEXT) | instid1(VALU_DEP_1)
	v_lshrrev_b32_e32 v62, s43, v151
	v_and_b32_e32 v158, s48, v62
	s_delay_alu instid0(VALU_DEP_1) | instskip(SKIP_1) | instid1(VALU_DEP_1)
	v_lshlrev_b32_e32 v156, 30, v158
	v_bitop3_b32 v63, v62, 1, s48 bitop3:0x80
	v_add_co_u32 v62, s15, v63, -1
	s_delay_alu instid0(VALU_DEP_1) | instskip(NEXT) | instid1(VALU_DEP_4)
	v_cndmask_b32_e64 v63, 0, 1, s15
	v_cmp_gt_i32_e64 s15, 0, v156
	s_delay_alu instid0(VALU_DEP_2) | instskip(SKIP_1) | instid1(VALU_DEP_1)
	v_cmp_ne_u32_e32 vcc_lo, 0, v63
	v_not_b32_e32 v63, v156
	v_dual_ashrrev_i32 v63, 31, v63 :: v_dual_lshlrev_b32 v157, 29, v158
	v_dual_lshlrev_b32 v160, 28, v158 :: v_dual_lshlrev_b32 v161, 27, v158
	v_dual_lshlrev_b32 v162, 26, v158 :: v_dual_lshlrev_b32 v164, 25, v158
	v_lshlrev_b32_e32 v165, 24, v158
	s_delay_alu instid0(VALU_DEP_4)
	v_cmp_gt_i32_e64 s16, 0, v157
	v_not_b32_e32 v156, v157
	v_not_b32_e32 v157, v160
	v_cmp_gt_i32_e64 s17, 0, v160
	v_cmp_gt_i32_e64 s18, 0, v161
	v_not_b32_e32 v160, v161
	v_not_b32_e32 v161, v162
	v_dual_ashrrev_i32 v156, 31, v156 :: v_dual_bitop2_b32 v62, vcc_lo, v62 bitop3:0x14
	v_dual_ashrrev_i32 v157, 31, v157 :: v_dual_bitop2_b32 v63, s15, v63 bitop3:0x14
	v_cmp_gt_i32_e64 s19, 0, v162
	s_delay_alu instid0(VALU_DEP_4) | instskip(SKIP_1) | instid1(VALU_DEP_4)
	v_dual_ashrrev_i32 v160, 31, v160 :: v_dual_ashrrev_i32 v161, 31, v161
	v_not_b32_e32 v162, v165
	v_xor_b32_e32 v157, s17, v157
	v_bitop3_b32 v62, v62, v63, exec_lo bitop3:0x80
	v_not_b32_e32 v63, v164
	v_xor_b32_e32 v156, s16, v156
	v_cmp_gt_i32_e64 s20, 0, v164
	v_xor_b32_e32 v160, s18, v160
	s_delay_alu instid0(VALU_DEP_4) | instskip(NEXT) | instid1(VALU_DEP_4)
	v_dual_ashrrev_i32 v63, 31, v63 :: v_dual_bitop2_b32 v161, s19, v161 bitop3:0x14
	v_bitop3_b32 v62, v62, v157, v156 bitop3:0x80
	v_cmp_gt_i32_e32 vcc_lo, 0, v165
	v_ashrrev_i32_e32 v156, 31, v162
	v_mad_u32_u24 v157, v158, 36, v25
	v_xor_b32_e32 v63, s20, v63
	v_bitop3_b32 v62, v62, v161, v160 bitop3:0x80
	s_delay_alu instid0(VALU_DEP_4) | instskip(SKIP_3) | instid1(VALU_DEP_2)
	v_xor_b32_e32 v160, vcc_lo, v156
	ds_load_b32 v156, v157 offset:1056
	; wave barrier
	v_bitop3_b32 v62, v62, v160, v63 bitop3:0x80
	v_mul_u32_u24_e32 v63, 36, v158
	v_mbcnt_lo_u32_b32 v157, v62, 0
	v_cmp_ne_u32_e64 s15, 0, v62
	s_delay_alu instid0(VALU_DEP_3) | instskip(NEXT) | instid1(VALU_DEP_3)
	v_add_nc_u32_e32 v158, v25, v63
	v_cmp_eq_u32_e32 vcc_lo, 0, v157
	s_and_b32 s16, s15, vcc_lo
	s_delay_alu instid0(SALU_CYCLE_1)
	s_and_saveexec_b32 s15, s16
	s_cbranch_execz .LBB494_434
; %bb.433:                              ;   in Loop: Header=BB494_388 Depth=2
	s_wait_dscnt 0x0
	v_bcnt_u32_b32 v62, v62, v156
	ds_store_b32 v158, v62 offset:1056
.LBB494_434:                            ;   in Loop: Header=BB494_388 Depth=2
	s_or_b32 exec_lo, exec_lo, s15
	v_xor_b32_e32 v155, 0x7fffffff, v155
	; wave barrier
	s_delay_alu instid0(VALU_DEP_1) | instskip(NEXT) | instid1(VALU_DEP_1)
	v_lshrrev_b32_e32 v62, s43, v155
	v_and_b32_e32 v162, s48, v62
	s_delay_alu instid0(VALU_DEP_1) | instskip(SKIP_1) | instid1(VALU_DEP_1)
	v_lshlrev_b32_e32 v160, 30, v162
	v_bitop3_b32 v63, v62, 1, s48 bitop3:0x80
	v_add_co_u32 v62, s15, v63, -1
	s_delay_alu instid0(VALU_DEP_1) | instskip(NEXT) | instid1(VALU_DEP_4)
	v_cndmask_b32_e64 v63, 0, 1, s15
	v_cmp_gt_i32_e64 s15, 0, v160
	s_delay_alu instid0(VALU_DEP_2) | instskip(SKIP_1) | instid1(VALU_DEP_1)
	v_cmp_ne_u32_e32 vcc_lo, 0, v63
	v_not_b32_e32 v63, v160
	v_dual_ashrrev_i32 v63, 31, v63 :: v_dual_lshlrev_b32 v161, 29, v162
	v_dual_lshlrev_b32 v164, 28, v162 :: v_dual_lshlrev_b32 v165, 27, v162
	v_dual_lshlrev_b32 v167, 26, v162 :: v_dual_lshlrev_b32 v168, 25, v162
	v_lshlrev_b32_e32 v169, 24, v162
	s_delay_alu instid0(VALU_DEP_4)
	v_cmp_gt_i32_e64 s16, 0, v161
	v_not_b32_e32 v160, v161
	v_not_b32_e32 v161, v164
	v_cmp_gt_i32_e64 s17, 0, v164
	v_cmp_gt_i32_e64 s18, 0, v165
	v_not_b32_e32 v164, v165
	v_not_b32_e32 v165, v167
	v_dual_ashrrev_i32 v160, 31, v160 :: v_dual_bitop2_b32 v62, vcc_lo, v62 bitop3:0x14
	v_dual_ashrrev_i32 v161, 31, v161 :: v_dual_bitop2_b32 v63, s15, v63 bitop3:0x14
	v_cmp_gt_i32_e64 s19, 0, v167
	s_delay_alu instid0(VALU_DEP_4) | instskip(SKIP_1) | instid1(VALU_DEP_4)
	v_dual_ashrrev_i32 v164, 31, v164 :: v_dual_ashrrev_i32 v165, 31, v165
	v_not_b32_e32 v167, v169
	v_xor_b32_e32 v161, s17, v161
	v_bitop3_b32 v62, v62, v63, exec_lo bitop3:0x80
	v_not_b32_e32 v63, v168
	v_xor_b32_e32 v160, s16, v160
	v_cmp_gt_i32_e64 s20, 0, v168
	v_xor_b32_e32 v164, s18, v164
	s_delay_alu instid0(VALU_DEP_4) | instskip(NEXT) | instid1(VALU_DEP_4)
	v_dual_ashrrev_i32 v63, 31, v63 :: v_dual_bitop2_b32 v165, s19, v165 bitop3:0x14
	v_bitop3_b32 v62, v62, v161, v160 bitop3:0x80
	v_cmp_gt_i32_e32 vcc_lo, 0, v169
	v_ashrrev_i32_e32 v160, 31, v167
	v_mad_u32_u24 v161, v162, 36, v25
	v_xor_b32_e32 v63, s20, v63
	v_bitop3_b32 v62, v62, v165, v164 bitop3:0x80
	s_delay_alu instid0(VALU_DEP_4) | instskip(SKIP_3) | instid1(VALU_DEP_2)
	v_xor_b32_e32 v164, vcc_lo, v160
	ds_load_b32 v160, v161 offset:1056
	; wave barrier
	v_bitop3_b32 v62, v62, v164, v63 bitop3:0x80
	v_mul_u32_u24_e32 v63, 36, v162
	v_mbcnt_lo_u32_b32 v161, v62, 0
	v_cmp_ne_u32_e64 s15, 0, v62
	s_delay_alu instid0(VALU_DEP_3) | instskip(NEXT) | instid1(VALU_DEP_3)
	v_add_nc_u32_e32 v162, v25, v63
	v_cmp_eq_u32_e32 vcc_lo, 0, v161
	s_and_b32 s16, s15, vcc_lo
	s_delay_alu instid0(SALU_CYCLE_1)
	s_and_saveexec_b32 s15, s16
	s_cbranch_execz .LBB494_436
; %bb.435:                              ;   in Loop: Header=BB494_388 Depth=2
	s_wait_dscnt 0x0
	v_bcnt_u32_b32 v62, v62, v160
	ds_store_b32 v162, v62 offset:1056
.LBB494_436:                            ;   in Loop: Header=BB494_388 Depth=2
	s_or_b32 exec_lo, exec_lo, s15
	v_xor_b32_e32 v159, 0x7fffffff, v159
	; wave barrier
	s_delay_alu instid0(VALU_DEP_1) | instskip(NEXT) | instid1(VALU_DEP_1)
	v_lshrrev_b32_e32 v62, s43, v159
	v_bitop3_b32 v63, v62, 1, s48 bitop3:0x80
	v_and_b32_e32 v167, s48, v62
	s_delay_alu instid0(VALU_DEP_2) | instskip(NEXT) | instid1(VALU_DEP_1)
	v_add_co_u32 v62, s15, v63, -1
	v_cndmask_b32_e64 v63, 0, 1, s15
	s_delay_alu instid0(VALU_DEP_3) | instskip(NEXT) | instid1(VALU_DEP_2)
	v_lshlrev_b32_e32 v164, 30, v167
	v_cmp_ne_u32_e32 vcc_lo, 0, v63
	s_delay_alu instid0(VALU_DEP_2) | instskip(NEXT) | instid1(VALU_DEP_1)
	v_not_b32_e32 v63, v164
	v_dual_ashrrev_i32 v63, 31, v63 :: v_dual_bitop2_b32 v62, vcc_lo, v62 bitop3:0x14
	v_dual_lshlrev_b32 v165, 29, v167 :: v_dual_lshlrev_b32 v168, 28, v167
	v_dual_lshlrev_b32 v169, 27, v167 :: v_dual_lshlrev_b32 v170, 26, v167
	v_lshlrev_b32_e32 v171, 25, v167
	v_cmp_gt_i32_e64 s15, 0, v164
	s_delay_alu instid0(VALU_DEP_4)
	v_cmp_gt_i32_e64 s16, 0, v165
	v_not_b32_e32 v164, v165
	v_not_b32_e32 v165, v168
	v_lshlrev_b32_e32 v172, 24, v167
	v_cmp_gt_i32_e64 s17, 0, v168
	v_cmp_gt_i32_e64 s18, 0, v169
	v_not_b32_e32 v168, v169
	v_not_b32_e32 v169, v170
	v_dual_ashrrev_i32 v164, 31, v164 :: v_dual_ashrrev_i32 v165, 31, v165
	v_xor_b32_e32 v63, s15, v63
	v_cmp_gt_i32_e64 s19, 0, v170
	s_delay_alu instid0(VALU_DEP_4)
	v_dual_ashrrev_i32 v168, 31, v168 :: v_dual_ashrrev_i32 v169, 31, v169
	v_not_b32_e32 v170, v172
	v_xor_b32_e32 v165, s17, v165
	v_bitop3_b32 v62, v62, v63, exec_lo bitop3:0x80
	v_not_b32_e32 v63, v171
	v_xor_b32_e32 v164, s16, v164
	v_cmp_gt_i32_e64 s20, 0, v171
	v_xor_b32_e32 v168, s18, v168
	s_delay_alu instid0(VALU_DEP_4) | instskip(NEXT) | instid1(VALU_DEP_4)
	v_dual_ashrrev_i32 v63, 31, v63 :: v_dual_bitop2_b32 v169, s19, v169 bitop3:0x14
	v_bitop3_b32 v62, v62, v165, v164 bitop3:0x80
	v_cmp_gt_i32_e32 vcc_lo, 0, v172
	v_ashrrev_i32_e32 v164, 31, v170
	v_mad_u32_u24 v165, v167, 36, v25
	v_xor_b32_e32 v63, s20, v63
	v_bitop3_b32 v62, v62, v169, v168 bitop3:0x80
	s_delay_alu instid0(VALU_DEP_4) | instskip(SKIP_3) | instid1(VALU_DEP_2)
	v_xor_b32_e32 v168, vcc_lo, v164
	ds_load_b32 v164, v165 offset:1056
	; wave barrier
	v_bitop3_b32 v62, v62, v168, v63 bitop3:0x80
	v_mul_u32_u24_e32 v63, 36, v167
	v_mbcnt_lo_u32_b32 v165, v62, 0
	v_cmp_ne_u32_e64 s15, 0, v62
	s_delay_alu instid0(VALU_DEP_3) | instskip(NEXT) | instid1(VALU_DEP_3)
	v_add_nc_u32_e32 v167, v25, v63
	v_cmp_eq_u32_e32 vcc_lo, 0, v165
	s_and_b32 s16, s15, vcc_lo
	s_delay_alu instid0(SALU_CYCLE_1)
	s_and_saveexec_b32 s15, s16
	s_cbranch_execz .LBB494_438
; %bb.437:                              ;   in Loop: Header=BB494_388 Depth=2
	s_wait_dscnt 0x0
	v_bcnt_u32_b32 v62, v62, v164
	ds_store_b32 v167, v62 offset:1056
.LBB494_438:                            ;   in Loop: Header=BB494_388 Depth=2
	s_or_b32 exec_lo, exec_lo, s15
	v_xor_b32_e32 v163, 0x7fffffff, v163
	; wave barrier
	s_delay_alu instid0(VALU_DEP_1) | instskip(NEXT) | instid1(VALU_DEP_1)
	v_lshrrev_b32_e32 v62, s43, v163
	v_and_b32_e32 v170, s48, v62
	s_delay_alu instid0(VALU_DEP_1) | instskip(SKIP_1) | instid1(VALU_DEP_1)
	v_lshlrev_b32_e32 v168, 30, v170
	v_bitop3_b32 v63, v62, 1, s48 bitop3:0x80
	v_add_co_u32 v62, s15, v63, -1
	s_delay_alu instid0(VALU_DEP_1) | instskip(NEXT) | instid1(VALU_DEP_4)
	v_cndmask_b32_e64 v63, 0, 1, s15
	v_cmp_gt_i32_e64 s15, 0, v168
	s_delay_alu instid0(VALU_DEP_2) | instskip(SKIP_1) | instid1(VALU_DEP_1)
	v_cmp_ne_u32_e32 vcc_lo, 0, v63
	v_not_b32_e32 v63, v168
	v_dual_ashrrev_i32 v63, 31, v63 :: v_dual_lshlrev_b32 v169, 29, v170
	v_dual_lshlrev_b32 v171, 28, v170 :: v_dual_lshlrev_b32 v172, 27, v170
	v_dual_lshlrev_b32 v173, 26, v170 :: v_dual_lshlrev_b32 v174, 25, v170
	v_lshlrev_b32_e32 v175, 24, v170
	s_delay_alu instid0(VALU_DEP_4)
	v_cmp_gt_i32_e64 s16, 0, v169
	v_not_b32_e32 v168, v169
	v_not_b32_e32 v169, v171
	v_cmp_gt_i32_e64 s17, 0, v171
	v_cmp_gt_i32_e64 s18, 0, v172
	v_not_b32_e32 v171, v172
	v_not_b32_e32 v172, v173
	v_dual_ashrrev_i32 v168, 31, v168 :: v_dual_bitop2_b32 v62, vcc_lo, v62 bitop3:0x14
	v_dual_ashrrev_i32 v169, 31, v169 :: v_dual_bitop2_b32 v63, s15, v63 bitop3:0x14
	v_cmp_gt_i32_e64 s19, 0, v173
	s_delay_alu instid0(VALU_DEP_4) | instskip(NEXT) | instid1(VALU_DEP_3)
	v_dual_ashrrev_i32 v171, 31, v171 :: v_dual_ashrrev_i32 v172, 31, v172
	v_xor_b32_e32 v169, s17, v169
	s_delay_alu instid0(VALU_DEP_4)
	v_bitop3_b32 v62, v62, v63, exec_lo bitop3:0x80
	v_not_b32_e32 v63, v174
	v_xor_b32_e32 v168, s16, v168
	v_not_b32_e32 v173, v175
	v_cmp_gt_i32_e64 s20, 0, v174
	v_xor_b32_e32 v171, s18, v171
	v_dual_ashrrev_i32 v63, 31, v63 :: v_dual_bitop2_b32 v172, s19, v172 bitop3:0x14
	v_bitop3_b32 v62, v62, v169, v168 bitop3:0x80
	v_cmp_gt_i32_e32 vcc_lo, 0, v175
	v_ashrrev_i32_e32 v168, 31, v173
	v_mad_u32_u24 v169, v170, 36, v25
	v_xor_b32_e32 v63, s20, v63
	v_bitop3_b32 v62, v62, v172, v171 bitop3:0x80
	s_delay_alu instid0(VALU_DEP_4) | instskip(SKIP_3) | instid1(VALU_DEP_2)
	v_xor_b32_e32 v171, vcc_lo, v168
	ds_load_b32 v168, v169 offset:1056
	; wave barrier
	v_bitop3_b32 v62, v62, v171, v63 bitop3:0x80
	v_mul_u32_u24_e32 v63, 36, v170
	v_mbcnt_lo_u32_b32 v169, v62, 0
	v_cmp_ne_u32_e64 s15, 0, v62
	s_delay_alu instid0(VALU_DEP_3) | instskip(NEXT) | instid1(VALU_DEP_3)
	v_add_nc_u32_e32 v170, v25, v63
	v_cmp_eq_u32_e32 vcc_lo, 0, v169
	s_and_b32 s16, s15, vcc_lo
	s_delay_alu instid0(SALU_CYCLE_1)
	s_and_saveexec_b32 s15, s16
	s_cbranch_execz .LBB494_440
; %bb.439:                              ;   in Loop: Header=BB494_388 Depth=2
	s_wait_dscnt 0x0
	v_bcnt_u32_b32 v62, v62, v168
	ds_store_b32 v170, v62 offset:1056
.LBB494_440:                            ;   in Loop: Header=BB494_388 Depth=2
	s_or_b32 exec_lo, exec_lo, s15
	v_xor_b32_e32 v166, 0x7fffffff, v166
	; wave barrier
	s_delay_alu instid0(VALU_DEP_1) | instskip(NEXT) | instid1(VALU_DEP_1)
	v_lshrrev_b32_e32 v62, s43, v166
	v_and_b32_e32 v171, s48, v62
	s_delay_alu instid0(VALU_DEP_1) | instskip(SKIP_1) | instid1(VALU_DEP_1)
	v_lshlrev_b32_e32 v172, 30, v171
	v_bitop3_b32 v63, v62, 1, s48 bitop3:0x80
	v_add_co_u32 v62, s15, v63, -1
	s_delay_alu instid0(VALU_DEP_1) | instskip(NEXT) | instid1(VALU_DEP_4)
	v_cndmask_b32_e64 v63, 0, 1, s15
	v_cmp_gt_i32_e64 s15, 0, v172
	s_delay_alu instid0(VALU_DEP_2) | instskip(SKIP_1) | instid1(VALU_DEP_1)
	v_cmp_ne_u32_e32 vcc_lo, 0, v63
	v_not_b32_e32 v63, v172
	v_ashrrev_i32_e32 v63, 31, v63
	v_dual_lshlrev_b32 v173, 29, v171 :: v_dual_lshlrev_b32 v174, 28, v171
	v_dual_lshlrev_b32 v175, 27, v171 :: v_dual_lshlrev_b32 v176, 26, v171
	;; [unrolled: 1-line block ×3, first 2 shown]
	s_delay_alu instid0(VALU_DEP_3)
	v_cmp_gt_i32_e64 s16, 0, v173
	v_not_b32_e32 v172, v173
	v_not_b32_e32 v173, v174
	v_cmp_gt_i32_e64 s17, 0, v174
	v_cmp_gt_i32_e64 s18, 0, v175
	v_not_b32_e32 v174, v175
	v_not_b32_e32 v175, v176
	v_dual_ashrrev_i32 v172, 31, v172 :: v_dual_bitop2_b32 v62, vcc_lo, v62 bitop3:0x14
	v_dual_ashrrev_i32 v173, 31, v173 :: v_dual_bitop2_b32 v63, s15, v63 bitop3:0x14
	v_cmp_gt_i32_e64 s19, 0, v176
	s_delay_alu instid0(VALU_DEP_4) | instskip(SKIP_1) | instid1(VALU_DEP_4)
	v_dual_ashrrev_i32 v174, 31, v174 :: v_dual_ashrrev_i32 v175, 31, v175
	v_not_b32_e32 v176, v178
	v_xor_b32_e32 v173, s17, v173
	v_bitop3_b32 v62, v62, v63, exec_lo bitop3:0x80
	v_not_b32_e32 v63, v177
	v_xor_b32_e32 v172, s16, v172
	v_cmp_gt_i32_e64 s20, 0, v177
	v_xor_b32_e32 v174, s18, v174
	v_xor_b32_e32 v175, s19, v175
	v_ashrrev_i32_e32 v63, 31, v63
	v_bitop3_b32 v62, v62, v173, v172 bitop3:0x80
	v_cmp_gt_i32_e32 vcc_lo, 0, v178
	v_ashrrev_i32_e32 v172, 31, v176
	v_mad_u32_u24 v173, v171, 36, v25
	v_xor_b32_e32 v63, s20, v63
	v_bitop3_b32 v62, v62, v175, v174 bitop3:0x80
	s_delay_alu instid0(VALU_DEP_4) | instskip(SKIP_3) | instid1(VALU_DEP_2)
	v_xor_b32_e32 v174, vcc_lo, v172
	ds_load_b32 v172, v173 offset:1056
	; wave barrier
	v_bitop3_b32 v62, v62, v174, v63 bitop3:0x80
	v_mul_u32_u24_e32 v63, 36, v171
	v_mbcnt_lo_u32_b32 v173, v62, 0
	v_cmp_ne_u32_e64 s15, 0, v62
	s_delay_alu instid0(VALU_DEP_3) | instskip(NEXT) | instid1(VALU_DEP_3)
	v_add_nc_u32_e32 v174, v25, v63
	v_cmp_eq_u32_e32 vcc_lo, 0, v173
	s_and_b32 s16, s15, vcc_lo
	s_delay_alu instid0(SALU_CYCLE_1)
	s_and_saveexec_b32 s15, s16
	s_cbranch_execz .LBB494_442
; %bb.441:                              ;   in Loop: Header=BB494_388 Depth=2
	s_wait_dscnt 0x0
	v_bcnt_u32_b32 v62, v62, v172
	ds_store_b32 v174, v62 offset:1056
.LBB494_442:                            ;   in Loop: Header=BB494_388 Depth=2
	s_or_b32 exec_lo, exec_lo, s15
	v_xor_b32_e32 v171, 0x7fffffff, v69
	; wave barrier
	s_delay_alu instid0(VALU_DEP_1) | instskip(NEXT) | instid1(VALU_DEP_1)
	v_lshrrev_b32_e32 v62, s43, v171
	v_and_b32_e32 v69, s48, v62
	s_delay_alu instid0(VALU_DEP_1) | instskip(SKIP_1) | instid1(VALU_DEP_1)
	v_lshlrev_b32_e32 v175, 30, v69
	v_bitop3_b32 v63, v62, 1, s48 bitop3:0x80
	v_add_co_u32 v62, s15, v63, -1
	s_delay_alu instid0(VALU_DEP_1) | instskip(NEXT) | instid1(VALU_DEP_4)
	v_cndmask_b32_e64 v63, 0, 1, s15
	v_cmp_gt_i32_e64 s15, 0, v175
	s_delay_alu instid0(VALU_DEP_2) | instskip(SKIP_1) | instid1(VALU_DEP_1)
	v_cmp_ne_u32_e32 vcc_lo, 0, v63
	v_not_b32_e32 v63, v175
	v_dual_ashrrev_i32 v63, 31, v63 :: v_dual_lshlrev_b32 v176, 29, v69
	v_dual_lshlrev_b32 v177, 28, v69 :: v_dual_lshlrev_b32 v178, 27, v69
	v_dual_lshlrev_b32 v179, 26, v69 :: v_dual_lshlrev_b32 v180, 25, v69
	v_lshlrev_b32_e32 v181, 24, v69
	s_delay_alu instid0(VALU_DEP_4)
	v_cmp_gt_i32_e64 s16, 0, v176
	v_not_b32_e32 v175, v176
	v_not_b32_e32 v176, v177
	v_cmp_gt_i32_e64 s17, 0, v177
	v_cmp_gt_i32_e64 s18, 0, v178
	v_not_b32_e32 v177, v178
	v_not_b32_e32 v178, v179
	v_dual_ashrrev_i32 v175, 31, v175 :: v_dual_bitop2_b32 v62, vcc_lo, v62 bitop3:0x14
	v_dual_ashrrev_i32 v176, 31, v176 :: v_dual_bitop2_b32 v63, s15, v63 bitop3:0x14
	v_cmp_gt_i32_e64 s19, 0, v179
	s_delay_alu instid0(VALU_DEP_4) | instskip(NEXT) | instid1(VALU_DEP_4)
	v_dual_ashrrev_i32 v177, 31, v177 :: v_dual_ashrrev_i32 v178, 31, v178
	v_xor_b32_e32 v175, s16, v175
	s_delay_alu instid0(VALU_DEP_4)
	v_bitop3_b32 v62, v62, v63, exec_lo bitop3:0x80
	v_not_b32_e32 v63, v180
	v_xor_b32_e32 v176, s17, v176
	v_not_b32_e32 v179, v181
	v_cmp_gt_i32_e64 s20, 0, v180
	v_xor_b32_e32 v177, s18, v177
	v_dual_ashrrev_i32 v63, 31, v63 :: v_dual_bitop2_b32 v178, s19, v178 bitop3:0x14
	v_bitop3_b32 v62, v62, v176, v175 bitop3:0x80
	v_cmp_gt_i32_e32 vcc_lo, 0, v181
	v_ashrrev_i32_e32 v175, 31, v179
	v_mad_u32_u24 v176, v69, 36, v25
	v_xor_b32_e32 v63, s20, v63
	v_bitop3_b32 v62, v62, v178, v177 bitop3:0x80
	s_delay_alu instid0(VALU_DEP_4) | instskip(SKIP_3) | instid1(VALU_DEP_2)
	v_xor_b32_e32 v175, vcc_lo, v175
	ds_load_b32 v176, v176 offset:1056
	; wave barrier
	v_bitop3_b32 v62, v62, v175, v63 bitop3:0x80
	v_mul_u32_u24_e32 v63, 36, v69
	v_mbcnt_lo_u32_b32 v177, v62, 0
	v_cmp_ne_u32_e64 s15, 0, v62
	s_delay_alu instid0(VALU_DEP_3) | instskip(NEXT) | instid1(VALU_DEP_3)
	v_add_nc_u32_e32 v178, v25, v63
	v_cmp_eq_u32_e32 vcc_lo, 0, v177
	s_and_b32 s16, s15, vcc_lo
	s_delay_alu instid0(SALU_CYCLE_1)
	s_and_saveexec_b32 s15, s16
	s_cbranch_execz .LBB494_444
; %bb.443:                              ;   in Loop: Header=BB494_388 Depth=2
	s_wait_dscnt 0x0
	v_bcnt_u32_b32 v62, v62, v176
	ds_store_b32 v178, v62 offset:1056
.LBB494_444:                            ;   in Loop: Header=BB494_388 Depth=2
	s_or_b32 exec_lo, exec_lo, s15
	v_xor_b32_e32 v175, 0x7fffffff, v68
	; wave barrier
	s_delay_alu instid0(VALU_DEP_1) | instskip(NEXT) | instid1(VALU_DEP_1)
	v_lshrrev_b32_e32 v62, s43, v175
	v_and_b32_e32 v68, s48, v62
	s_delay_alu instid0(VALU_DEP_1) | instskip(SKIP_1) | instid1(VALU_DEP_1)
	v_lshlrev_b32_e32 v69, 30, v68
	v_bitop3_b32 v63, v62, 1, s48 bitop3:0x80
	v_add_co_u32 v62, s15, v63, -1
	s_delay_alu instid0(VALU_DEP_1) | instskip(NEXT) | instid1(VALU_DEP_4)
	v_cndmask_b32_e64 v63, 0, 1, s15
	v_cmp_gt_i32_e64 s15, 0, v69
	s_delay_alu instid0(VALU_DEP_2) | instskip(SKIP_1) | instid1(VALU_DEP_1)
	v_cmp_ne_u32_e32 vcc_lo, 0, v63
	v_not_b32_e32 v63, v69
	v_dual_ashrrev_i32 v63, 31, v63 :: v_dual_lshlrev_b32 v179, 29, v68
	v_dual_lshlrev_b32 v180, 28, v68 :: v_dual_lshlrev_b32 v181, 27, v68
	v_dual_lshlrev_b32 v182, 26, v68 :: v_dual_lshlrev_b32 v183, 25, v68
	v_lshlrev_b32_e32 v184, 24, v68
	s_delay_alu instid0(VALU_DEP_4)
	v_cmp_gt_i32_e64 s16, 0, v179
	v_not_b32_e32 v69, v179
	v_not_b32_e32 v179, v180
	v_cmp_gt_i32_e64 s17, 0, v180
	v_cmp_gt_i32_e64 s18, 0, v181
	v_not_b32_e32 v180, v181
	v_not_b32_e32 v181, v182
	v_dual_ashrrev_i32 v69, 31, v69 :: v_dual_bitop2_b32 v62, vcc_lo, v62 bitop3:0x14
	s_delay_alu instid0(VALU_DEP_3) | instskip(NEXT) | instid1(VALU_DEP_3)
	v_dual_ashrrev_i32 v179, 31, v179 :: v_dual_ashrrev_i32 v180, 31, v180
	v_dual_ashrrev_i32 v181, 31, v181 :: v_dual_bitop2_b32 v63, s15, v63 bitop3:0x14
	v_cmp_gt_i32_e64 s19, 0, v182
	v_not_b32_e32 v182, v184
	s_delay_alu instid0(VALU_DEP_4) | instskip(NEXT) | instid1(VALU_DEP_4)
	v_xor_b32_e32 v179, s17, v179
	v_bitop3_b32 v62, v62, v63, exec_lo bitop3:0x80
	v_not_b32_e32 v63, v183
	v_xor_b32_e32 v69, s16, v69
	v_cmp_gt_i32_e64 s20, 0, v183
	v_xor_b32_e32 v180, s18, v180
	s_delay_alu instid0(VALU_DEP_4) | instskip(NEXT) | instid1(VALU_DEP_4)
	v_dual_ashrrev_i32 v63, 31, v63 :: v_dual_bitop2_b32 v181, s19, v181 bitop3:0x14
	v_bitop3_b32 v62, v62, v179, v69 bitop3:0x80
	v_cmp_gt_i32_e32 vcc_lo, 0, v184
	v_ashrrev_i32_e32 v69, 31, v182
	v_mad_u32_u24 v179, v68, 36, v25
	v_xor_b32_e32 v63, s20, v63
	v_bitop3_b32 v62, v62, v181, v180 bitop3:0x80
	s_delay_alu instid0(VALU_DEP_4) | instskip(SKIP_3) | instid1(VALU_DEP_2)
	v_xor_b32_e32 v69, vcc_lo, v69
	ds_load_b32 v180, v179 offset:1056
	; wave barrier
	v_bitop3_b32 v62, v62, v69, v63 bitop3:0x80
	v_mul_u32_u24_e32 v63, 36, v68
	v_mbcnt_lo_u32_b32 v181, v62, 0
	v_cmp_ne_u32_e64 s15, 0, v62
	s_delay_alu instid0(VALU_DEP_3) | instskip(NEXT) | instid1(VALU_DEP_3)
	v_add_nc_u32_e32 v182, v25, v63
	v_cmp_eq_u32_e32 vcc_lo, 0, v181
	s_and_b32 s16, s15, vcc_lo
	s_delay_alu instid0(SALU_CYCLE_1)
	s_and_saveexec_b32 s15, s16
	s_cbranch_execz .LBB494_446
; %bb.445:                              ;   in Loop: Header=BB494_388 Depth=2
	s_wait_dscnt 0x0
	v_bcnt_u32_b32 v62, v62, v180
	ds_store_b32 v182, v62 offset:1056
.LBB494_446:                            ;   in Loop: Header=BB494_388 Depth=2
	s_or_b32 exec_lo, exec_lo, s15
	v_xor_b32_e32 v179, 0x7fffffff, v67
	; wave barrier
	s_delay_alu instid0(VALU_DEP_1) | instskip(NEXT) | instid1(VALU_DEP_1)
	v_lshrrev_b32_e32 v62, s43, v179
	v_bitop3_b32 v63, v62, 1, s48 bitop3:0x80
	v_and_b32_e32 v67, s48, v62
	s_delay_alu instid0(VALU_DEP_2) | instskip(NEXT) | instid1(VALU_DEP_1)
	v_add_co_u32 v62, s15, v63, -1
	v_cndmask_b32_e64 v63, 0, 1, s15
	s_delay_alu instid0(VALU_DEP_3) | instskip(NEXT) | instid1(VALU_DEP_2)
	v_lshlrev_b32_e32 v68, 30, v67
	v_cmp_ne_u32_e32 vcc_lo, 0, v63
	s_delay_alu instid0(VALU_DEP_2) | instskip(NEXT) | instid1(VALU_DEP_1)
	v_not_b32_e32 v63, v68
	v_dual_ashrrev_i32 v63, 31, v63 :: v_dual_bitop2_b32 v62, vcc_lo, v62 bitop3:0x14
	v_dual_lshlrev_b32 v69, 29, v67 :: v_dual_lshlrev_b32 v183, 28, v67
	v_dual_lshlrev_b32 v184, 27, v67 :: v_dual_lshlrev_b32 v185, 26, v67
	v_lshlrev_b32_e32 v186, 25, v67
	v_cmp_gt_i32_e64 s15, 0, v68
	s_delay_alu instid0(VALU_DEP_4)
	v_cmp_gt_i32_e64 s16, 0, v69
	v_not_b32_e32 v68, v69
	v_not_b32_e32 v69, v183
	v_lshlrev_b32_e32 v187, 24, v67
	v_cmp_gt_i32_e64 s17, 0, v183
	v_cmp_gt_i32_e64 s18, 0, v184
	v_not_b32_e32 v183, v184
	v_not_b32_e32 v184, v185
	v_dual_ashrrev_i32 v68, 31, v68 :: v_dual_ashrrev_i32 v69, 31, v69
	v_xor_b32_e32 v63, s15, v63
	v_cmp_gt_i32_e64 s19, 0, v185
	s_delay_alu instid0(VALU_DEP_4) | instskip(NEXT) | instid1(VALU_DEP_4)
	v_dual_ashrrev_i32 v183, 31, v183 :: v_dual_ashrrev_i32 v184, 31, v184
	v_xor_b32_e32 v69, s17, v69
	s_delay_alu instid0(VALU_DEP_4)
	v_bitop3_b32 v62, v62, v63, exec_lo bitop3:0x80
	v_not_b32_e32 v63, v186
	v_xor_b32_e32 v68, s16, v68
	v_not_b32_e32 v185, v187
	v_cmp_gt_i32_e64 s20, 0, v186
	v_xor_b32_e32 v183, s18, v183
	v_dual_ashrrev_i32 v63, 31, v63 :: v_dual_bitop2_b32 v184, s19, v184 bitop3:0x14
	v_bitop3_b32 v62, v62, v69, v68 bitop3:0x80
	v_cmp_gt_i32_e32 vcc_lo, 0, v187
	v_ashrrev_i32_e32 v68, 31, v185
	v_mad_u32_u24 v69, v67, 36, v25
	v_xor_b32_e32 v63, s20, v63
	v_bitop3_b32 v62, v62, v184, v183 bitop3:0x80
	s_delay_alu instid0(VALU_DEP_4) | instskip(SKIP_3) | instid1(VALU_DEP_2)
	v_xor_b32_e32 v68, vcc_lo, v68
	ds_load_b32 v184, v69 offset:1056
	; wave barrier
	v_bitop3_b32 v62, v62, v68, v63 bitop3:0x80
	v_mul_u32_u24_e32 v63, 36, v67
	v_mbcnt_lo_u32_b32 v185, v62, 0
	v_cmp_ne_u32_e64 s15, 0, v62
	s_delay_alu instid0(VALU_DEP_3) | instskip(NEXT) | instid1(VALU_DEP_3)
	v_add_nc_u32_e32 v186, v25, v63
	v_cmp_eq_u32_e32 vcc_lo, 0, v185
	s_and_b32 s16, s15, vcc_lo
	s_delay_alu instid0(SALU_CYCLE_1)
	s_and_saveexec_b32 s15, s16
	s_cbranch_execz .LBB494_448
; %bb.447:                              ;   in Loop: Header=BB494_388 Depth=2
	s_wait_dscnt 0x0
	v_bcnt_u32_b32 v62, v62, v184
	ds_store_b32 v186, v62 offset:1056
.LBB494_448:                            ;   in Loop: Header=BB494_388 Depth=2
	s_or_b32 exec_lo, exec_lo, s15
	v_xor_b32_e32 v183, 0x7fffffff, v66
	; wave barrier
	s_delay_alu instid0(VALU_DEP_1) | instskip(NEXT) | instid1(VALU_DEP_1)
	v_lshrrev_b32_e32 v62, s43, v183
	v_and_b32_e32 v66, s48, v62
	s_delay_alu instid0(VALU_DEP_1) | instskip(SKIP_1) | instid1(VALU_DEP_1)
	v_lshlrev_b32_e32 v67, 30, v66
	v_bitop3_b32 v63, v62, 1, s48 bitop3:0x80
	v_add_co_u32 v62, s15, v63, -1
	s_delay_alu instid0(VALU_DEP_1) | instskip(NEXT) | instid1(VALU_DEP_4)
	v_cndmask_b32_e64 v63, 0, 1, s15
	v_cmp_gt_i32_e64 s15, 0, v67
	s_delay_alu instid0(VALU_DEP_2) | instskip(SKIP_1) | instid1(VALU_DEP_1)
	v_cmp_ne_u32_e32 vcc_lo, 0, v63
	v_not_b32_e32 v63, v67
	v_dual_ashrrev_i32 v63, 31, v63 :: v_dual_lshlrev_b32 v68, 29, v66
	v_dual_lshlrev_b32 v69, 28, v66 :: v_dual_lshlrev_b32 v187, 27, v66
	v_dual_lshlrev_b32 v188, 26, v66 :: v_dual_lshlrev_b32 v189, 25, v66
	v_lshlrev_b32_e32 v190, 24, v66
	s_delay_alu instid0(VALU_DEP_4)
	v_cmp_gt_i32_e64 s16, 0, v68
	v_not_b32_e32 v67, v68
	v_not_b32_e32 v68, v69
	v_cmp_gt_i32_e64 s17, 0, v69
	v_cmp_gt_i32_e64 s18, 0, v187
	v_not_b32_e32 v69, v187
	v_not_b32_e32 v187, v188
	v_dual_ashrrev_i32 v67, 31, v67 :: v_dual_bitop2_b32 v62, vcc_lo, v62 bitop3:0x14
	v_dual_ashrrev_i32 v68, 31, v68 :: v_dual_bitop2_b32 v63, s15, v63 bitop3:0x14
	v_cmp_gt_i32_e64 s19, 0, v188
	s_delay_alu instid0(VALU_DEP_4) | instskip(NEXT) | instid1(VALU_DEP_4)
	v_dual_ashrrev_i32 v69, 31, v69 :: v_dual_ashrrev_i32 v187, 31, v187
	v_xor_b32_e32 v67, s16, v67
	s_delay_alu instid0(VALU_DEP_4)
	v_bitop3_b32 v62, v62, v63, exec_lo bitop3:0x80
	v_not_b32_e32 v63, v189
	v_xor_b32_e32 v68, s17, v68
	v_not_b32_e32 v188, v190
	v_cmp_gt_i32_e64 s20, 0, v189
	v_xor_b32_e32 v69, s18, v69
	v_xor_b32_e32 v187, s19, v187
	v_ashrrev_i32_e32 v63, 31, v63
	v_bitop3_b32 v62, v62, v68, v67 bitop3:0x80
	v_cmp_gt_i32_e32 vcc_lo, 0, v190
	v_ashrrev_i32_e32 v67, 31, v188
	v_mad_u32_u24 v68, v66, 36, v25
	v_xor_b32_e32 v63, s20, v63
	v_bitop3_b32 v62, v62, v187, v69 bitop3:0x80
	s_delay_alu instid0(VALU_DEP_4) | instskip(SKIP_3) | instid1(VALU_DEP_2)
	v_xor_b32_e32 v67, vcc_lo, v67
	ds_load_b32 v188, v68 offset:1056
	; wave barrier
	v_bitop3_b32 v62, v62, v67, v63 bitop3:0x80
	v_mul_u32_u24_e32 v63, 36, v66
	v_mbcnt_lo_u32_b32 v189, v62, 0
	v_cmp_ne_u32_e64 s15, 0, v62
	s_delay_alu instid0(VALU_DEP_3) | instskip(NEXT) | instid1(VALU_DEP_3)
	v_add_nc_u32_e32 v190, v25, v63
	v_cmp_eq_u32_e32 vcc_lo, 0, v189
	s_and_b32 s16, s15, vcc_lo
	s_delay_alu instid0(SALU_CYCLE_1)
	s_and_saveexec_b32 s15, s16
	s_cbranch_execz .LBB494_450
; %bb.449:                              ;   in Loop: Header=BB494_388 Depth=2
	s_wait_dscnt 0x0
	v_bcnt_u32_b32 v62, v62, v188
	ds_store_b32 v190, v62 offset:1056
.LBB494_450:                            ;   in Loop: Header=BB494_388 Depth=2
	s_or_b32 exec_lo, exec_lo, s15
	v_xor_b32_e32 v187, 0x7fffffff, v65
	; wave barrier
	s_delay_alu instid0(VALU_DEP_1) | instskip(NEXT) | instid1(VALU_DEP_1)
	v_lshrrev_b32_e32 v62, s43, v187
	v_and_b32_e32 v65, s48, v62
	s_delay_alu instid0(VALU_DEP_1) | instskip(SKIP_1) | instid1(VALU_DEP_1)
	v_lshlrev_b32_e32 v66, 30, v65
	v_bitop3_b32 v63, v62, 1, s48 bitop3:0x80
	v_add_co_u32 v62, s15, v63, -1
	s_delay_alu instid0(VALU_DEP_1) | instskip(NEXT) | instid1(VALU_DEP_4)
	v_cndmask_b32_e64 v63, 0, 1, s15
	v_cmp_gt_i32_e64 s15, 0, v66
	s_delay_alu instid0(VALU_DEP_2) | instskip(SKIP_1) | instid1(VALU_DEP_1)
	v_cmp_ne_u32_e32 vcc_lo, 0, v63
	v_not_b32_e32 v63, v66
	v_dual_ashrrev_i32 v63, 31, v63 :: v_dual_lshlrev_b32 v67, 29, v65
	v_dual_lshlrev_b32 v68, 28, v65 :: v_dual_lshlrev_b32 v69, 27, v65
	v_dual_lshlrev_b32 v191, 26, v65 :: v_dual_lshlrev_b32 v192, 25, v65
	v_lshlrev_b32_e32 v193, 24, v65
	s_delay_alu instid0(VALU_DEP_4)
	v_cmp_gt_i32_e64 s16, 0, v67
	v_not_b32_e32 v66, v67
	v_not_b32_e32 v67, v68
	v_cmp_gt_i32_e64 s17, 0, v68
	v_cmp_gt_i32_e64 s18, 0, v69
	v_not_b32_e32 v68, v69
	v_not_b32_e32 v69, v191
	v_dual_ashrrev_i32 v67, 31, v67 :: v_dual_bitop2_b32 v62, vcc_lo, v62 bitop3:0x14
	v_dual_ashrrev_i32 v66, 31, v66 :: v_dual_bitop2_b32 v63, s15, v63 bitop3:0x14
	v_cmp_gt_i32_e64 s19, 0, v191
	s_delay_alu instid0(VALU_DEP_4) | instskip(NEXT) | instid1(VALU_DEP_4)
	v_dual_ashrrev_i32 v68, 31, v68 :: v_dual_ashrrev_i32 v69, 31, v69
	v_xor_b32_e32 v67, s17, v67
	s_delay_alu instid0(VALU_DEP_4)
	v_bitop3_b32 v62, v62, v63, exec_lo bitop3:0x80
	v_not_b32_e32 v63, v192
	v_xor_b32_e32 v66, s16, v66
	v_not_b32_e32 v191, v193
	v_cmp_gt_i32_e64 s20, 0, v192
	v_xor_b32_e32 v68, s18, v68
	v_dual_ashrrev_i32 v63, 31, v63 :: v_dual_bitop2_b32 v69, s19, v69 bitop3:0x14
	v_bitop3_b32 v62, v62, v67, v66 bitop3:0x80
	v_cmp_gt_i32_e32 vcc_lo, 0, v193
	v_ashrrev_i32_e32 v66, 31, v191
	v_mad_u32_u24 v67, v65, 36, v25
	v_xor_b32_e32 v63, s20, v63
	v_bitop3_b32 v62, v62, v69, v68 bitop3:0x80
	s_delay_alu instid0(VALU_DEP_4) | instskip(SKIP_3) | instid1(VALU_DEP_2)
	v_xor_b32_e32 v66, vcc_lo, v66
	ds_load_b32 v192, v67 offset:1056
	; wave barrier
	v_bitop3_b32 v62, v62, v66, v63 bitop3:0x80
	v_mul_u32_u24_e32 v63, 36, v65
	v_mbcnt_lo_u32_b32 v193, v62, 0
	v_cmp_ne_u32_e64 s15, 0, v62
	s_delay_alu instid0(VALU_DEP_3) | instskip(NEXT) | instid1(VALU_DEP_3)
	v_add_nc_u32_e32 v194, v25, v63
	v_cmp_eq_u32_e32 vcc_lo, 0, v193
	s_and_b32 s16, s15, vcc_lo
	s_delay_alu instid0(SALU_CYCLE_1)
	s_and_saveexec_b32 s15, s16
	s_cbranch_execz .LBB494_452
; %bb.451:                              ;   in Loop: Header=BB494_388 Depth=2
	s_wait_dscnt 0x0
	v_bcnt_u32_b32 v62, v62, v192
	ds_store_b32 v194, v62 offset:1056
.LBB494_452:                            ;   in Loop: Header=BB494_388 Depth=2
	s_or_b32 exec_lo, exec_lo, s15
	v_xor_b32_e32 v191, 0x7fffffff, v64
	; wave barrier
	s_delay_alu instid0(VALU_DEP_1) | instskip(NEXT) | instid1(VALU_DEP_1)
	v_lshrrev_b32_e32 v62, s43, v191
	v_and_b32_e32 v64, s48, v62
	s_delay_alu instid0(VALU_DEP_1) | instskip(SKIP_1) | instid1(VALU_DEP_1)
	v_lshlrev_b32_e32 v65, 30, v64
	v_bitop3_b32 v63, v62, 1, s48 bitop3:0x80
	v_add_co_u32 v62, s15, v63, -1
	s_delay_alu instid0(VALU_DEP_1) | instskip(NEXT) | instid1(VALU_DEP_4)
	v_cndmask_b32_e64 v63, 0, 1, s15
	v_cmp_gt_i32_e64 s15, 0, v65
	s_delay_alu instid0(VALU_DEP_2) | instskip(SKIP_1) | instid1(VALU_DEP_1)
	v_cmp_ne_u32_e32 vcc_lo, 0, v63
	v_not_b32_e32 v63, v65
	v_dual_ashrrev_i32 v63, 31, v63 :: v_dual_lshlrev_b32 v66, 29, v64
	v_dual_lshlrev_b32 v67, 28, v64 :: v_dual_lshlrev_b32 v68, 27, v64
	v_dual_lshlrev_b32 v69, 26, v64 :: v_dual_lshlrev_b32 v195, 25, v64
	v_lshlrev_b32_e32 v196, 24, v64
	s_delay_alu instid0(VALU_DEP_4)
	v_cmp_gt_i32_e64 s16, 0, v66
	v_not_b32_e32 v65, v66
	v_not_b32_e32 v66, v67
	v_cmp_gt_i32_e64 s17, 0, v67
	v_cmp_gt_i32_e64 s18, 0, v68
	v_not_b32_e32 v67, v68
	v_not_b32_e32 v68, v69
	v_dual_ashrrev_i32 v65, 31, v65 :: v_dual_bitop2_b32 v62, vcc_lo, v62 bitop3:0x14
	v_dual_ashrrev_i32 v66, 31, v66 :: v_dual_bitop2_b32 v63, s15, v63 bitop3:0x14
	v_cmp_gt_i32_e64 s19, 0, v69
	s_delay_alu instid0(VALU_DEP_4) | instskip(SKIP_1) | instid1(VALU_DEP_4)
	v_dual_ashrrev_i32 v67, 31, v67 :: v_dual_ashrrev_i32 v68, 31, v68
	v_not_b32_e32 v69, v196
	v_xor_b32_e32 v66, s17, v66
	v_bitop3_b32 v62, v62, v63, exec_lo bitop3:0x80
	v_not_b32_e32 v63, v195
	v_xor_b32_e32 v65, s16, v65
	v_cmp_gt_i32_e64 s20, 0, v195
	v_xor_b32_e32 v67, s18, v67
	s_delay_alu instid0(VALU_DEP_4) | instskip(NEXT) | instid1(VALU_DEP_4)
	v_dual_ashrrev_i32 v63, 31, v63 :: v_dual_bitop2_b32 v68, s19, v68 bitop3:0x14
	v_bitop3_b32 v62, v62, v66, v65 bitop3:0x80
	v_cmp_gt_i32_e32 vcc_lo, 0, v196
	v_ashrrev_i32_e32 v65, 31, v69
	v_mad_u32_u24 v66, v64, 36, v25
	v_xor_b32_e32 v63, s20, v63
	v_bitop3_b32 v62, v62, v68, v67 bitop3:0x80
	s_delay_alu instid0(VALU_DEP_4) | instskip(SKIP_3) | instid1(VALU_DEP_2)
	v_xor_b32_e32 v65, vcc_lo, v65
	ds_load_b32 v195, v66 offset:1056
	; wave barrier
	v_bitop3_b32 v62, v62, v65, v63 bitop3:0x80
	v_mul_u32_u24_e32 v63, 36, v64
	v_mbcnt_lo_u32_b32 v196, v62, 0
	v_cmp_ne_u32_e64 s15, 0, v62
	s_delay_alu instid0(VALU_DEP_3) | instskip(NEXT) | instid1(VALU_DEP_3)
	v_add_nc_u32_e32 v197, v25, v63
	v_cmp_eq_u32_e32 vcc_lo, 0, v196
	s_and_b32 s16, s15, vcc_lo
	s_delay_alu instid0(SALU_CYCLE_1)
	s_and_saveexec_b32 s15, s16
	s_cbranch_execz .LBB494_454
; %bb.453:                              ;   in Loop: Header=BB494_388 Depth=2
	s_wait_dscnt 0x0
	v_bcnt_u32_b32 v62, v62, v195
	ds_store_b32 v197, v62 offset:1056
.LBB494_454:                            ;   in Loop: Header=BB494_388 Depth=2
	s_or_b32 exec_lo, exec_lo, s15
	v_lshrrev_b32_e32 v62, s43, v138
	; wave barrier
	s_delay_alu instid0(VALU_DEP_1) | instskip(NEXT) | instid1(VALU_DEP_1)
	v_and_b32_e32 v64, s48, v62
	v_lshlrev_b32_e32 v65, 30, v64
	v_bitop3_b32 v63, v62, 1, s48 bitop3:0x80
	s_delay_alu instid0(VALU_DEP_1) | instskip(NEXT) | instid1(VALU_DEP_1)
	v_add_co_u32 v62, s15, v63, -1
	v_cndmask_b32_e64 v63, 0, 1, s15
	s_delay_alu instid0(VALU_DEP_4) | instskip(NEXT) | instid1(VALU_DEP_2)
	v_cmp_gt_i32_e64 s15, 0, v65
	v_cmp_ne_u32_e32 vcc_lo, 0, v63
	v_not_b32_e32 v63, v65
	s_delay_alu instid0(VALU_DEP_1) | instskip(SKIP_3) | instid1(VALU_DEP_4)
	v_dual_ashrrev_i32 v63, 31, v63 :: v_dual_lshlrev_b32 v66, 29, v64
	v_dual_lshlrev_b32 v67, 28, v64 :: v_dual_lshlrev_b32 v68, 27, v64
	v_dual_lshlrev_b32 v69, 26, v64 :: v_dual_lshlrev_b32 v198, 25, v64
	v_lshlrev_b32_e32 v199, 24, v64
	v_cmp_gt_i32_e64 s16, 0, v66
	v_not_b32_e32 v65, v66
	v_not_b32_e32 v66, v67
	v_cmp_gt_i32_e64 s17, 0, v67
	v_xor_b32_e32 v62, vcc_lo, v62
	s_delay_alu instid0(VALU_DEP_4) | instskip(NEXT) | instid1(VALU_DEP_4)
	v_dual_ashrrev_i32 v65, 31, v65 :: v_dual_bitop2_b32 v63, s15, v63 bitop3:0x14
	v_ashrrev_i32_e32 v66, 31, v66
	v_cmp_gt_i32_e64 s18, 0, v68
	v_not_b32_e32 v67, v68
	v_not_b32_e32 v68, v69
	v_xor_b32_e32 v65, s16, v65
	v_xor_b32_e32 v66, s17, v66
	v_bitop3_b32 v62, v62, v63, exec_lo bitop3:0x80
	v_ashrrev_i32_e32 v63, 31, v67
	v_cmp_gt_i32_e32 vcc_lo, 0, v69
	v_ashrrev_i32_e32 v67, 31, v68
	v_not_b32_e32 v68, v198
	v_bitop3_b32 v62, v62, v66, v65 bitop3:0x80
	v_not_b32_e32 v65, v199
	v_xor_b32_e32 v63, s18, v63
	v_xor_b32_e32 v66, vcc_lo, v67
	v_cmp_gt_i32_e32 vcc_lo, 0, v198
	v_ashrrev_i32_e32 v67, 31, v68
	v_cmp_gt_i32_e64 s15, 0, v199
	v_ashrrev_i32_e32 v65, 31, v65
	v_mad_u32_u24 v68, v64, 36, v25
	v_bitop3_b32 v62, v62, v66, v63 bitop3:0x80
	v_xor_b32_e32 v63, vcc_lo, v67
	s_delay_alu instid0(VALU_DEP_4) | instskip(SKIP_3) | instid1(VALU_DEP_2)
	v_xor_b32_e32 v65, s15, v65
	ds_load_b32 v198, v68 offset:1056
	; wave barrier
	v_bitop3_b32 v62, v62, v65, v63 bitop3:0x80
	v_mul_u32_u24_e32 v63, 36, v64
	v_mbcnt_lo_u32_b32 v199, v62, 0
	v_cmp_ne_u32_e64 s15, 0, v62
	s_delay_alu instid0(VALU_DEP_3) | instskip(NEXT) | instid1(VALU_DEP_3)
	v_add_nc_u32_e32 v200, v25, v63
	v_cmp_eq_u32_e32 vcc_lo, 0, v199
	s_and_b32 s16, s15, vcc_lo
	s_delay_alu instid0(SALU_CYCLE_1)
	s_and_saveexec_b32 s15, s16
	s_cbranch_execz .LBB494_456
; %bb.455:                              ;   in Loop: Header=BB494_388 Depth=2
	s_wait_dscnt 0x0
	v_bcnt_u32_b32 v62, v62, v198
	ds_store_b32 v200, v62 offset:1056
.LBB494_456:                            ;   in Loop: Header=BB494_388 Depth=2
	s_or_b32 exec_lo, exec_lo, s15
	; wave barrier
	s_wait_dscnt 0x0
	s_barrier_signal -1
	s_barrier_wait -1
	ds_load_2addr_b32 v[68:69], v117 offset1:1
	ds_load_2addr_b32 v[66:67], v118 offset1:1
	;; [unrolled: 1-line block ×4, first 2 shown]
	ds_load_b32 v201, v91 offset:1088
	s_wait_dscnt 0x3
	v_add3_u32 v202, v69, v68, v66
	s_wait_dscnt 0x2
	s_delay_alu instid0(VALU_DEP_1) | instskip(SKIP_1) | instid1(VALU_DEP_1)
	v_add3_u32 v202, v202, v67, v64
	s_wait_dscnt 0x1
	v_add3_u32 v202, v202, v65, v62
	s_wait_dscnt 0x0
	s_delay_alu instid0(VALU_DEP_1) | instskip(NEXT) | instid1(VALU_DEP_1)
	v_add3_u32 v201, v202, v63, v201
	v_mov_b32_dpp v202, v201 row_shr:1 row_mask:0xf bank_mask:0xf
	s_delay_alu instid0(VALU_DEP_1) | instskip(NEXT) | instid1(VALU_DEP_1)
	v_cndmask_b32_e64 v202, v202, 0, s7
	v_add_nc_u32_e32 v201, v202, v201
	s_delay_alu instid0(VALU_DEP_1) | instskip(NEXT) | instid1(VALU_DEP_1)
	v_mov_b32_dpp v202, v201 row_shr:2 row_mask:0xf bank_mask:0xf
	v_cndmask_b32_e64 v202, 0, v202, s8
	s_delay_alu instid0(VALU_DEP_1) | instskip(NEXT) | instid1(VALU_DEP_1)
	v_add_nc_u32_e32 v201, v201, v202
	v_mov_b32_dpp v202, v201 row_shr:4 row_mask:0xf bank_mask:0xf
	s_delay_alu instid0(VALU_DEP_1) | instskip(NEXT) | instid1(VALU_DEP_1)
	v_cndmask_b32_e64 v202, 0, v202, s9
	v_add_nc_u32_e32 v201, v201, v202
	s_delay_alu instid0(VALU_DEP_1) | instskip(NEXT) | instid1(VALU_DEP_1)
	v_mov_b32_dpp v202, v201 row_shr:8 row_mask:0xf bank_mask:0xf
	v_cndmask_b32_e64 v202, 0, v202, s10
	s_delay_alu instid0(VALU_DEP_1) | instskip(SKIP_3) | instid1(VALU_DEP_1)
	v_add_nc_u32_e32 v201, v201, v202
	ds_swizzle_b32 v202, v201 offset:swizzle(BROADCAST,32,15)
	s_wait_dscnt 0x0
	v_cndmask_b32_e64 v202, v202, 0, s11
	v_add_nc_u32_e32 v201, v201, v202
	s_and_saveexec_b32 s15, s1
; %bb.457:                              ;   in Loop: Header=BB494_388 Depth=2
	ds_store_b32 v85, v201 offset:1024
; %bb.458:                              ;   in Loop: Header=BB494_388 Depth=2
	s_or_b32 exec_lo, exec_lo, s15
	s_wait_dscnt 0x0
	s_barrier_signal -1
	s_barrier_wait -1
	s_and_saveexec_b32 s15, s4
	s_cbranch_execz .LBB494_460
; %bb.459:                              ;   in Loop: Header=BB494_388 Depth=2
	ds_load_b32 v202, v93 offset:1024
	s_wait_dscnt 0x0
	v_mov_b32_dpp v203, v202 row_shr:1 row_mask:0xf bank_mask:0xf
	s_delay_alu instid0(VALU_DEP_1) | instskip(NEXT) | instid1(VALU_DEP_1)
	v_cndmask_b32_e64 v203, v203, 0, s12
	v_add_nc_u32_e32 v202, v203, v202
	s_delay_alu instid0(VALU_DEP_1) | instskip(NEXT) | instid1(VALU_DEP_1)
	v_mov_b32_dpp v203, v202 row_shr:2 row_mask:0xf bank_mask:0xf
	v_cndmask_b32_e64 v203, 0, v203, s13
	s_delay_alu instid0(VALU_DEP_1) | instskip(NEXT) | instid1(VALU_DEP_1)
	v_add_nc_u32_e32 v202, v202, v203
	v_mov_b32_dpp v203, v202 row_shr:4 row_mask:0xf bank_mask:0xf
	s_delay_alu instid0(VALU_DEP_1) | instskip(NEXT) | instid1(VALU_DEP_1)
	v_cndmask_b32_e64 v203, 0, v203, s14
	v_add_nc_u32_e32 v202, v202, v203
	ds_store_b32 v93, v202 offset:1024
.LBB494_460:                            ;   in Loop: Header=BB494_388 Depth=2
	s_or_b32 exec_lo, exec_lo, s15
	v_mov_b32_e32 v202, 0
	s_wait_dscnt 0x0
	s_barrier_signal -1
	s_barrier_wait -1
	s_and_saveexec_b32 s15, s5
; %bb.461:                              ;   in Loop: Header=BB494_388 Depth=2
	ds_load_b32 v202, v85 offset:1020
; %bb.462:                              ;   in Loop: Header=BB494_388 Depth=2
	s_or_b32 exec_lo, exec_lo, s15
	s_wait_dscnt 0x0
	v_add_nc_u32_e32 v201, v202, v201
	ds_bpermute_b32 v201, v120, v201
	s_wait_dscnt 0x0
	v_cndmask_b32_e64 v201, v201, v202, s6
	s_delay_alu instid0(VALU_DEP_1) | instskip(NEXT) | instid1(VALU_DEP_1)
	v_cndmask_b32_e64 v201, v201, 0, s2
	v_add_nc_u32_e32 v68, v201, v68
	s_delay_alu instid0(VALU_DEP_1) | instskip(NEXT) | instid1(VALU_DEP_1)
	v_add_nc_u32_e32 v69, v68, v69
	v_add_nc_u32_e32 v66, v69, v66
	s_delay_alu instid0(VALU_DEP_1) | instskip(NEXT) | instid1(VALU_DEP_1)
	v_add_nc_u32_e32 v67, v66, v67
	;; [unrolled: 3-line block ×3, first 2 shown]
	v_add_nc_u32_e32 v62, v65, v62
	s_delay_alu instid0(VALU_DEP_1)
	v_add_nc_u32_e32 v63, v62, v63
	ds_store_2addr_b32 v5, v65, v62 offset1:1
	ds_store_2addr_b32 v117, v201, v68 offset1:1
	;; [unrolled: 1-line block ×4, first 2 shown]
	ds_store_b32 v91, v63 offset:1088
	s_wait_dscnt 0x0
	s_barrier_signal -1
	s_barrier_wait -1
	ds_load_b32 v65, v142 offset:1056
	ds_load_b32 v67, v146 offset:1056
	;; [unrolled: 1-line block ×17, first 2 shown]
	v_mov_b32_e32 v64, 0x1000
	s_and_saveexec_b32 s15, s3
; %bb.463:                              ;   in Loop: Header=BB494_388 Depth=2
	ds_load_b32 v64, v91 offset:1092
; %bb.464:                              ;   in Loop: Header=BB494_388 Depth=2
	s_or_b32 exec_lo, exec_lo, s15
	s_wait_dscnt 0x0
	s_barrier_signal -1
	s_barrier_wait -1
	s_and_saveexec_b32 s15, s0
	s_cbranch_execz .LBB494_466
; %bb.465:                              ;   in Loop: Header=BB494_388 Depth=2
	ds_load_b32 v154, v4
	s_wait_dscnt 0x0
	v_sub_nc_u32_e32 v150, v154, v150
	ds_store_b32 v4, v150
.LBB494_466:                            ;   in Loop: Header=BB494_388 Depth=2
	s_or_b32 exec_lo, exec_lo, s15
	v_add3_u32 v158, v145, v144, v67
	v_add_nc_u32_e32 v162, v65, v141
	v_add3_u32 v154, v149, v148, v68
	v_add3_u32 v150, v153, v152, v69
	;; [unrolled: 1-line block ×4, first 2 shown]
	v_lshlrev_b32_e32 v62, 2, v158
	v_lshlrev_b32_e32 v152, 2, v162
	v_add3_u32 v149, v157, v156, v142
	v_add3_u32 v146, v165, v164, v201
	;; [unrolled: 1-line block ×4, first 2 shown]
	v_lshlrev_b32_e32 v63, 2, v154
	v_add3_u32 v144, v173, v172, v174
	v_lshlrev_b32_e32 v153, 2, v148
	ds_store_b32 v152, v139 offset:1024
	v_lshlrev_b32_e32 v139, 2, v150
	v_add3_u32 v142, v177, v176, v178
	v_lshlrev_b32_e32 v152, 2, v149
	v_add3_u32 v141, v181, v180, v182
	v_add3_u32 v65, v185, v184, v186
	ds_store_b32 v62, v140 offset:1024
	ds_store_b32 v63, v143 offset:1024
	;; [unrolled: 1-line block ×5, first 2 shown]
	v_dual_lshlrev_b32 v62, 2, v146 :: v_dual_lshlrev_b32 v139, 2, v144
	v_lshlrev_b32_e32 v63, 2, v145
	v_add3_u32 v67, v196, v195, v66
	v_dual_lshlrev_b32 v140, 2, v142 :: v_dual_lshlrev_b32 v143, 2, v141
	v_add3_u32 v66, v199, v198, v167
	ds_store_b32 v62, v159 offset:1024
	ds_store_b32 v63, v163 offset:1024
	;; [unrolled: 1-line block ×5, first 2 shown]
	v_dual_lshlrev_b32 v62, 2, v65 :: v_dual_lshlrev_b32 v139, 2, v68
	v_cmp_lt_u32_e32 vcc_lo, v2, v137
	v_dual_lshlrev_b32 v63, 2, v69 :: v_dual_lshlrev_b32 v140, 2, v67
	v_lshlrev_b32_e32 v143, 2, v66
	ds_store_b32 v62, v179 offset:1024
	ds_store_b32 v63, v183 offset:1024
	;; [unrolled: 1-line block ×5, first 2 shown]
	s_wait_dscnt 0x0
	s_barrier_signal -1
	s_barrier_wait -1
	s_and_saveexec_b32 s15, vcc_lo
	s_cbranch_execnz .LBB494_535
; %bb.467:                              ;   in Loop: Header=BB494_388 Depth=2
	s_or_b32 exec_lo, exec_lo, s15
	v_cmp_lt_u32_e64 s15, v3, v137
	s_and_saveexec_b32 s16, s15
	s_cbranch_execnz .LBB494_536
.LBB494_468:                            ;   in Loop: Header=BB494_388 Depth=2
	s_or_b32 exec_lo, exec_lo, s16
	v_cmp_lt_u32_e64 s16, v70, v137
	s_and_saveexec_b32 s17, s16
	s_cbranch_execnz .LBB494_537
.LBB494_469:                            ;   in Loop: Header=BB494_388 Depth=2
	s_or_b32 exec_lo, exec_lo, s17
	v_cmp_lt_u32_e64 s17, v71, v137
	s_and_saveexec_b32 s18, s17
	s_cbranch_execnz .LBB494_538
.LBB494_470:                            ;   in Loop: Header=BB494_388 Depth=2
	s_or_b32 exec_lo, exec_lo, s18
	v_cmp_lt_u32_e64 s18, v72, v137
	s_and_saveexec_b32 s19, s18
	s_cbranch_execnz .LBB494_539
.LBB494_471:                            ;   in Loop: Header=BB494_388 Depth=2
	s_or_b32 exec_lo, exec_lo, s19
	v_cmp_lt_u32_e64 s19, v73, v137
	s_and_saveexec_b32 s20, s19
	s_cbranch_execnz .LBB494_540
.LBB494_472:                            ;   in Loop: Header=BB494_388 Depth=2
	s_or_b32 exec_lo, exec_lo, s20
	v_cmp_lt_u32_e64 s20, v74, v137
	s_and_saveexec_b32 s21, s20
	s_cbranch_execnz .LBB494_541
.LBB494_473:                            ;   in Loop: Header=BB494_388 Depth=2
	s_or_b32 exec_lo, exec_lo, s21
	v_cmp_lt_u32_e64 s21, v75, v137
	s_and_saveexec_b32 s22, s21
	s_cbranch_execnz .LBB494_542
.LBB494_474:                            ;   in Loop: Header=BB494_388 Depth=2
	s_or_b32 exec_lo, exec_lo, s22
	v_cmp_lt_u32_e64 s22, v76, v137
	s_and_saveexec_b32 s23, s22
	s_cbranch_execnz .LBB494_543
.LBB494_475:                            ;   in Loop: Header=BB494_388 Depth=2
	s_or_b32 exec_lo, exec_lo, s23
	v_cmp_lt_u32_e64 s23, v77, v137
	s_and_saveexec_b32 s24, s23
	s_cbranch_execnz .LBB494_544
.LBB494_476:                            ;   in Loop: Header=BB494_388 Depth=2
	s_or_b32 exec_lo, exec_lo, s24
	v_cmp_lt_u32_e64 s24, v78, v137
	s_and_saveexec_b32 s25, s24
	s_cbranch_execnz .LBB494_545
.LBB494_477:                            ;   in Loop: Header=BB494_388 Depth=2
	s_or_b32 exec_lo, exec_lo, s25
	v_cmp_lt_u32_e64 s25, v79, v137
	s_and_saveexec_b32 s26, s25
	s_cbranch_execnz .LBB494_546
.LBB494_478:                            ;   in Loop: Header=BB494_388 Depth=2
	s_or_b32 exec_lo, exec_lo, s26
	v_cmp_lt_u32_e64 s26, v80, v137
	s_and_saveexec_b32 s27, s26
	s_cbranch_execnz .LBB494_547
.LBB494_479:                            ;   in Loop: Header=BB494_388 Depth=2
	s_or_b32 exec_lo, exec_lo, s27
	v_cmp_lt_u32_e64 s27, v81, v137
	s_and_saveexec_b32 s28, s27
	s_cbranch_execnz .LBB494_548
.LBB494_480:                            ;   in Loop: Header=BB494_388 Depth=2
	s_or_b32 exec_lo, exec_lo, s28
	v_cmp_lt_u32_e64 s28, v82, v137
	s_and_saveexec_b32 s29, s28
	s_cbranch_execnz .LBB494_549
.LBB494_481:                            ;   in Loop: Header=BB494_388 Depth=2
	s_or_b32 exec_lo, exec_lo, s29
	v_cmp_lt_u32_e64 s29, v83, v137
	s_and_saveexec_b32 s57, s29
	s_cbranch_execz .LBB494_483
.LBB494_482:                            ;   in Loop: Header=BB494_388 Depth=2
	ds_load_b32 v62, v93 offset:16384
	s_wait_dscnt 0x0
	v_lshrrev_b32_e32 v63, s43, v62
	v_xor_b32_e32 v62, 0x7fffffff, v62
	s_delay_alu instid0(VALU_DEP_2) | instskip(NEXT) | instid1(VALU_DEP_1)
	v_and_b32_e32 v63, s48, v63
	v_lshlrev_b32_e32 v63, 2, v63
	ds_load_b32 v63, v63
	s_wait_dscnt 0x0
	v_add_nc_u32_e32 v63, v63, v83
	global_store_b32 v63, v62, s[40:41] scale_offset
.LBB494_483:                            ;   in Loop: Header=BB494_388 Depth=2
	s_wait_xcnt 0x0
	s_or_b32 exec_lo, exec_lo, s57
	v_lshl_add_u64 v[62:63], s[30:31], 3, v[26:27]
	v_cmp_lt_u32_e64 s30, v99, v137
	s_and_saveexec_b32 s57, s30
	s_delay_alu instid0(SALU_CYCLE_1)
	s_xor_b32 s30, exec_lo, s57
	s_cbranch_execnz .LBB494_550
; %bb.484:                              ;   in Loop: Header=BB494_388 Depth=2
	s_or_b32 exec_lo, exec_lo, s30
	s_delay_alu instid0(SALU_CYCLE_1)
	s_mov_b32 s57, exec_lo
	v_cmpx_lt_u32_e64 v102, v137
	s_cbranch_execnz .LBB494_551
.LBB494_485:                            ;   in Loop: Header=BB494_388 Depth=2
	s_or_b32 exec_lo, exec_lo, s57
	s_delay_alu instid0(SALU_CYCLE_1)
	s_mov_b32 s57, exec_lo
	v_cmpx_lt_u32_e64 v103, v137
	s_cbranch_execnz .LBB494_552
.LBB494_486:                            ;   in Loop: Header=BB494_388 Depth=2
	s_or_b32 exec_lo, exec_lo, s57
	s_delay_alu instid0(SALU_CYCLE_1)
	s_mov_b32 s57, exec_lo
	v_cmpx_lt_u32_e64 v104, v137
	s_cbranch_execnz .LBB494_553
.LBB494_487:                            ;   in Loop: Header=BB494_388 Depth=2
	s_or_b32 exec_lo, exec_lo, s57
	s_delay_alu instid0(SALU_CYCLE_1)
	s_mov_b32 s57, exec_lo
	v_cmpx_lt_u32_e64 v105, v137
	s_cbranch_execnz .LBB494_554
.LBB494_488:                            ;   in Loop: Header=BB494_388 Depth=2
	s_or_b32 exec_lo, exec_lo, s57
	s_delay_alu instid0(SALU_CYCLE_1)
	s_mov_b32 s57, exec_lo
	v_cmpx_lt_u32_e64 v106, v137
	s_cbranch_execnz .LBB494_555
.LBB494_489:                            ;   in Loop: Header=BB494_388 Depth=2
	s_or_b32 exec_lo, exec_lo, s57
	s_delay_alu instid0(SALU_CYCLE_1)
	s_mov_b32 s57, exec_lo
	v_cmpx_lt_u32_e64 v107, v137
	s_cbranch_execnz .LBB494_556
.LBB494_490:                            ;   in Loop: Header=BB494_388 Depth=2
	s_or_b32 exec_lo, exec_lo, s57
	s_delay_alu instid0(SALU_CYCLE_1)
	s_mov_b32 s57, exec_lo
	v_cmpx_lt_u32_e64 v108, v137
	s_cbranch_execnz .LBB494_557
.LBB494_491:                            ;   in Loop: Header=BB494_388 Depth=2
	s_or_b32 exec_lo, exec_lo, s57
	s_delay_alu instid0(SALU_CYCLE_1)
	s_mov_b32 s57, exec_lo
	v_cmpx_lt_u32_e64 v109, v137
	s_cbranch_execnz .LBB494_558
.LBB494_492:                            ;   in Loop: Header=BB494_388 Depth=2
	s_or_b32 exec_lo, exec_lo, s57
	s_delay_alu instid0(SALU_CYCLE_1)
	s_mov_b32 s57, exec_lo
	v_cmpx_lt_u32_e64 v110, v137
	s_cbranch_execnz .LBB494_559
.LBB494_493:                            ;   in Loop: Header=BB494_388 Depth=2
	s_or_b32 exec_lo, exec_lo, s57
	s_delay_alu instid0(SALU_CYCLE_1)
	s_mov_b32 s57, exec_lo
	v_cmpx_lt_u32_e64 v111, v137
	s_cbranch_execnz .LBB494_560
.LBB494_494:                            ;   in Loop: Header=BB494_388 Depth=2
	s_or_b32 exec_lo, exec_lo, s57
	s_delay_alu instid0(SALU_CYCLE_1)
	s_mov_b32 s57, exec_lo
	v_cmpx_lt_u32_e64 v112, v137
	s_cbranch_execnz .LBB494_561
.LBB494_495:                            ;   in Loop: Header=BB494_388 Depth=2
	s_or_b32 exec_lo, exec_lo, s57
	s_delay_alu instid0(SALU_CYCLE_1)
	s_mov_b32 s57, exec_lo
	v_cmpx_lt_u32_e64 v113, v137
	s_cbranch_execnz .LBB494_562
.LBB494_496:                            ;   in Loop: Header=BB494_388 Depth=2
	s_or_b32 exec_lo, exec_lo, s57
	s_delay_alu instid0(SALU_CYCLE_1)
	s_mov_b32 s57, exec_lo
	v_cmpx_lt_u32_e64 v114, v137
	s_cbranch_execnz .LBB494_563
.LBB494_497:                            ;   in Loop: Header=BB494_388 Depth=2
	s_or_b32 exec_lo, exec_lo, s57
	s_delay_alu instid0(SALU_CYCLE_1)
	s_mov_b32 s57, exec_lo
	v_cmpx_lt_u32_e64 v115, v137
	s_cbranch_execnz .LBB494_564
.LBB494_498:                            ;   in Loop: Header=BB494_388 Depth=2
	s_or_b32 exec_lo, exec_lo, s57
	s_delay_alu instid0(SALU_CYCLE_1)
	s_mov_b32 s57, exec_lo
	v_cmpx_lt_u32_e64 v116, v137
	s_cbranch_execnz .LBB494_565
.LBB494_499:                            ;   in Loop: Header=BB494_388 Depth=2
	s_or_b32 exec_lo, exec_lo, s57
	s_and_saveexec_b32 s30, vcc_lo
	s_cbranch_execnz .LBB494_566
.LBB494_500:                            ;   in Loop: Header=BB494_388 Depth=2
	s_or_b32 exec_lo, exec_lo, s30
	s_and_saveexec_b32 s30, s15
	s_cbranch_execnz .LBB494_567
.LBB494_501:                            ;   in Loop: Header=BB494_388 Depth=2
	s_or_b32 exec_lo, exec_lo, s30
	s_and_saveexec_b32 s30, s16
	s_cbranch_execnz .LBB494_568
.LBB494_502:                            ;   in Loop: Header=BB494_388 Depth=2
	s_or_b32 exec_lo, exec_lo, s30
	s_and_saveexec_b32 s30, s17
	s_cbranch_execnz .LBB494_569
.LBB494_503:                            ;   in Loop: Header=BB494_388 Depth=2
	s_or_b32 exec_lo, exec_lo, s30
	s_and_saveexec_b32 s30, s18
	s_cbranch_execnz .LBB494_570
.LBB494_504:                            ;   in Loop: Header=BB494_388 Depth=2
	s_or_b32 exec_lo, exec_lo, s30
	s_and_saveexec_b32 s30, s19
	s_cbranch_execnz .LBB494_571
.LBB494_505:                            ;   in Loop: Header=BB494_388 Depth=2
	s_or_b32 exec_lo, exec_lo, s30
	s_and_saveexec_b32 s30, s20
	s_cbranch_execnz .LBB494_572
.LBB494_506:                            ;   in Loop: Header=BB494_388 Depth=2
	s_or_b32 exec_lo, exec_lo, s30
	s_and_saveexec_b32 s30, s21
	s_cbranch_execnz .LBB494_573
.LBB494_507:                            ;   in Loop: Header=BB494_388 Depth=2
	s_or_b32 exec_lo, exec_lo, s30
	s_and_saveexec_b32 s30, s22
	s_cbranch_execnz .LBB494_574
.LBB494_508:                            ;   in Loop: Header=BB494_388 Depth=2
	s_or_b32 exec_lo, exec_lo, s30
	s_and_saveexec_b32 s30, s23
	s_cbranch_execnz .LBB494_575
.LBB494_509:                            ;   in Loop: Header=BB494_388 Depth=2
	s_or_b32 exec_lo, exec_lo, s30
	s_and_saveexec_b32 s30, s24
	s_cbranch_execnz .LBB494_576
.LBB494_510:                            ;   in Loop: Header=BB494_388 Depth=2
	s_or_b32 exec_lo, exec_lo, s30
	s_and_saveexec_b32 s30, s25
	s_cbranch_execnz .LBB494_577
.LBB494_511:                            ;   in Loop: Header=BB494_388 Depth=2
	s_or_b32 exec_lo, exec_lo, s30
	s_and_saveexec_b32 s30, s26
	s_cbranch_execnz .LBB494_578
.LBB494_512:                            ;   in Loop: Header=BB494_388 Depth=2
	s_or_b32 exec_lo, exec_lo, s30
	s_and_saveexec_b32 s30, s27
	s_cbranch_execnz .LBB494_579
.LBB494_513:                            ;   in Loop: Header=BB494_388 Depth=2
	s_or_b32 exec_lo, exec_lo, s30
	s_and_saveexec_b32 s30, s28
	s_cbranch_execnz .LBB494_580
.LBB494_514:                            ;   in Loop: Header=BB494_388 Depth=2
	s_or_b32 exec_lo, exec_lo, s30
	s_and_saveexec_b32 s30, s29
	s_cbranch_execz .LBB494_516
.LBB494_515:                            ;   in Loop: Header=BB494_388 Depth=2
	ds_load_b32 v62, v93 offset:16384
	s_wait_dscnt 0x0
	v_lshrrev_b32_e32 v62, s43, v62
	s_delay_alu instid0(VALU_DEP_1)
	v_and_b32_e32 v121, s48, v62
.LBB494_516:                            ;   in Loop: Header=BB494_388 Depth=2
	s_or_b32 exec_lo, exec_lo, s30
	v_dual_lshlrev_b32 v62, 3, v162 :: v_dual_lshlrev_b32 v138, 3, v149
	s_wait_loadcnt 0x0
	s_wait_storecnt 0x0
	s_barrier_signal -1
	s_barrier_wait -1
	ds_store_b64 v62, v[60:61] offset:1024
	v_dual_lshlrev_b32 v62, 3, v158 :: v_dual_lshlrev_b32 v139, 3, v148
	v_lshlrev_b32_e32 v63, 3, v154
	v_lshlrev_b32_e32 v137, 3, v150
	ds_store_b64 v62, v[58:59] offset:1024
	ds_store_b64 v63, v[56:57] offset:1024
	;; [unrolled: 1-line block ×5, first 2 shown]
	v_dual_lshlrev_b32 v62, 3, v146 :: v_dual_lshlrev_b32 v139, 3, v141
	v_dual_lshlrev_b32 v63, 3, v145 :: v_dual_lshlrev_b32 v137, 3, v144
	v_lshlrev_b32_e32 v138, 3, v142
	ds_store_b64 v62, v[48:49] offset:1024
	ds_store_b64 v63, v[46:47] offset:1024
	;; [unrolled: 1-line block ×5, first 2 shown]
	v_lshlrev_b32_e32 v62, 3, v65
	v_dual_lshlrev_b32 v63, 3, v69 :: v_dual_lshlrev_b32 v65, 3, v68
	v_dual_lshlrev_b32 v67, 3, v67 :: v_dual_lshlrev_b32 v66, 3, v66
	ds_store_b64 v62, v[38:39] offset:1024
	ds_store_b64 v63, v[36:37] offset:1024
	;; [unrolled: 1-line block ×5, first 2 shown]
	s_wait_dscnt 0x0
	s_barrier_signal -1
	s_barrier_wait -1
	s_and_saveexec_b32 s30, vcc_lo
	s_cbranch_execnz .LBB494_581
; %bb.517:                              ;   in Loop: Header=BB494_388 Depth=2
	s_or_b32 exec_lo, exec_lo, s30
	s_and_saveexec_b32 s30, s15
	s_cbranch_execnz .LBB494_582
.LBB494_518:                            ;   in Loop: Header=BB494_388 Depth=2
	s_or_b32 exec_lo, exec_lo, s30
	s_and_saveexec_b32 s15, s16
	s_cbranch_execnz .LBB494_583
.LBB494_519:                            ;   in Loop: Header=BB494_388 Depth=2
	s_or_b32 exec_lo, exec_lo, s15
	s_and_saveexec_b32 s15, s17
	s_cbranch_execnz .LBB494_584
.LBB494_520:                            ;   in Loop: Header=BB494_388 Depth=2
	s_or_b32 exec_lo, exec_lo, s15
	s_and_saveexec_b32 s15, s18
	s_cbranch_execnz .LBB494_585
.LBB494_521:                            ;   in Loop: Header=BB494_388 Depth=2
	s_or_b32 exec_lo, exec_lo, s15
	s_and_saveexec_b32 s15, s19
	s_cbranch_execnz .LBB494_586
.LBB494_522:                            ;   in Loop: Header=BB494_388 Depth=2
	s_or_b32 exec_lo, exec_lo, s15
	s_and_saveexec_b32 s15, s20
	s_cbranch_execnz .LBB494_587
.LBB494_523:                            ;   in Loop: Header=BB494_388 Depth=2
	s_or_b32 exec_lo, exec_lo, s15
	s_and_saveexec_b32 s15, s21
	s_cbranch_execnz .LBB494_588
.LBB494_524:                            ;   in Loop: Header=BB494_388 Depth=2
	s_or_b32 exec_lo, exec_lo, s15
	s_and_saveexec_b32 s15, s22
	s_cbranch_execnz .LBB494_589
.LBB494_525:                            ;   in Loop: Header=BB494_388 Depth=2
	s_or_b32 exec_lo, exec_lo, s15
	s_and_saveexec_b32 s15, s23
	s_cbranch_execnz .LBB494_590
.LBB494_526:                            ;   in Loop: Header=BB494_388 Depth=2
	s_or_b32 exec_lo, exec_lo, s15
	s_and_saveexec_b32 s15, s24
	s_cbranch_execnz .LBB494_591
.LBB494_527:                            ;   in Loop: Header=BB494_388 Depth=2
	s_or_b32 exec_lo, exec_lo, s15
	s_and_saveexec_b32 s15, s25
	s_cbranch_execnz .LBB494_592
.LBB494_528:                            ;   in Loop: Header=BB494_388 Depth=2
	s_or_b32 exec_lo, exec_lo, s15
	s_and_saveexec_b32 s15, s26
	s_cbranch_execnz .LBB494_593
.LBB494_529:                            ;   in Loop: Header=BB494_388 Depth=2
	s_or_b32 exec_lo, exec_lo, s15
	s_and_saveexec_b32 s15, s27
	s_cbranch_execnz .LBB494_594
.LBB494_530:                            ;   in Loop: Header=BB494_388 Depth=2
	s_or_b32 exec_lo, exec_lo, s15
	s_and_saveexec_b32 s15, s28
	s_cbranch_execnz .LBB494_595
.LBB494_531:                            ;   in Loop: Header=BB494_388 Depth=2
	s_or_b32 exec_lo, exec_lo, s15
	s_and_saveexec_b32 s15, s29
	s_cbranch_execz .LBB494_533
.LBB494_532:                            ;   in Loop: Header=BB494_388 Depth=2
	v_dual_lshlrev_b32 v62, 2, v121 :: v_dual_add_nc_u32 v63, v93, v4
	ds_load_b32 v65, v62
	ds_load_b64 v[62:63], v63 offset:31744
	s_wait_dscnt 0x1
	v_add_nc_u32_e32 v65, v65, v83
	s_wait_dscnt 0x0
	global_store_b64 v65, v[62:63], s[46:47] scale_offset
.LBB494_533:                            ;   in Loop: Header=BB494_388 Depth=2
	s_wait_xcnt 0x0
	s_or_b32 exec_lo, exec_lo, s15
	s_wait_storecnt 0x0
	s_barrier_signal -1
	s_barrier_wait -1
	s_and_saveexec_b32 s15, s0
	s_cbranch_execz .LBB494_387
; %bb.534:                              ;   in Loop: Header=BB494_388 Depth=2
	ds_load_b32 v62, v4
	s_wait_dscnt 0x0
	v_add_nc_u32_e32 v62, v62, v64
	ds_store_b32 v4, v62
	s_branch .LBB494_387
.LBB494_535:                            ;   in Loop: Header=BB494_388 Depth=2
	ds_load_b32 v62, v93 offset:1024
	s_wait_dscnt 0x0
	v_lshrrev_b32_e32 v63, s43, v62
	v_xor_b32_e32 v62, 0x7fffffff, v62
	s_delay_alu instid0(VALU_DEP_2) | instskip(NEXT) | instid1(VALU_DEP_1)
	v_and_b32_e32 v63, s48, v63
	v_lshlrev_b32_e32 v63, 2, v63
	ds_load_b32 v63, v63
	s_wait_dscnt 0x0
	v_add_nc_u32_e32 v63, v63, v2
	global_store_b32 v63, v62, s[40:41] scale_offset
	s_wait_xcnt 0x0
	s_or_b32 exec_lo, exec_lo, s15
	v_cmp_lt_u32_e64 s15, v3, v137
	s_and_saveexec_b32 s16, s15
	s_cbranch_execz .LBB494_468
.LBB494_536:                            ;   in Loop: Header=BB494_388 Depth=2
	ds_load_b32 v62, v93 offset:2048
	s_wait_dscnt 0x0
	v_lshrrev_b32_e32 v63, s43, v62
	v_xor_b32_e32 v62, 0x7fffffff, v62
	s_delay_alu instid0(VALU_DEP_2) | instskip(NEXT) | instid1(VALU_DEP_1)
	v_and_b32_e32 v63, s48, v63
	v_lshlrev_b32_e32 v63, 2, v63
	ds_load_b32 v63, v63
	s_wait_dscnt 0x0
	v_add_nc_u32_e32 v63, v63, v3
	global_store_b32 v63, v62, s[40:41] scale_offset
	s_wait_xcnt 0x0
	s_or_b32 exec_lo, exec_lo, s16
	v_cmp_lt_u32_e64 s16, v70, v137
	s_and_saveexec_b32 s17, s16
	s_cbranch_execz .LBB494_469
.LBB494_537:                            ;   in Loop: Header=BB494_388 Depth=2
	ds_load_b32 v62, v93 offset:3072
	s_wait_dscnt 0x0
	v_lshrrev_b32_e32 v63, s43, v62
	v_xor_b32_e32 v62, 0x7fffffff, v62
	s_delay_alu instid0(VALU_DEP_2) | instskip(NEXT) | instid1(VALU_DEP_1)
	v_and_b32_e32 v63, s48, v63
	v_lshlrev_b32_e32 v63, 2, v63
	ds_load_b32 v63, v63
	s_wait_dscnt 0x0
	v_add_nc_u32_e32 v63, v63, v70
	global_store_b32 v63, v62, s[40:41] scale_offset
	s_wait_xcnt 0x0
	s_or_b32 exec_lo, exec_lo, s17
	v_cmp_lt_u32_e64 s17, v71, v137
	s_and_saveexec_b32 s18, s17
	s_cbranch_execz .LBB494_470
.LBB494_538:                            ;   in Loop: Header=BB494_388 Depth=2
	ds_load_b32 v62, v93 offset:4096
	s_wait_dscnt 0x0
	v_lshrrev_b32_e32 v63, s43, v62
	v_xor_b32_e32 v62, 0x7fffffff, v62
	s_delay_alu instid0(VALU_DEP_2) | instskip(NEXT) | instid1(VALU_DEP_1)
	v_and_b32_e32 v63, s48, v63
	v_lshlrev_b32_e32 v63, 2, v63
	ds_load_b32 v63, v63
	s_wait_dscnt 0x0
	v_add_nc_u32_e32 v63, v63, v71
	global_store_b32 v63, v62, s[40:41] scale_offset
	s_wait_xcnt 0x0
	s_or_b32 exec_lo, exec_lo, s18
	v_cmp_lt_u32_e64 s18, v72, v137
	s_and_saveexec_b32 s19, s18
	s_cbranch_execz .LBB494_471
.LBB494_539:                            ;   in Loop: Header=BB494_388 Depth=2
	ds_load_b32 v62, v93 offset:5120
	s_wait_dscnt 0x0
	v_lshrrev_b32_e32 v63, s43, v62
	v_xor_b32_e32 v62, 0x7fffffff, v62
	s_delay_alu instid0(VALU_DEP_2) | instskip(NEXT) | instid1(VALU_DEP_1)
	v_and_b32_e32 v63, s48, v63
	v_lshlrev_b32_e32 v63, 2, v63
	ds_load_b32 v63, v63
	s_wait_dscnt 0x0
	v_add_nc_u32_e32 v63, v63, v72
	global_store_b32 v63, v62, s[40:41] scale_offset
	s_wait_xcnt 0x0
	s_or_b32 exec_lo, exec_lo, s19
	v_cmp_lt_u32_e64 s19, v73, v137
	s_and_saveexec_b32 s20, s19
	s_cbranch_execz .LBB494_472
.LBB494_540:                            ;   in Loop: Header=BB494_388 Depth=2
	ds_load_b32 v62, v93 offset:6144
	s_wait_dscnt 0x0
	v_lshrrev_b32_e32 v63, s43, v62
	v_xor_b32_e32 v62, 0x7fffffff, v62
	s_delay_alu instid0(VALU_DEP_2) | instskip(NEXT) | instid1(VALU_DEP_1)
	v_and_b32_e32 v63, s48, v63
	v_lshlrev_b32_e32 v63, 2, v63
	ds_load_b32 v63, v63
	s_wait_dscnt 0x0
	v_add_nc_u32_e32 v63, v63, v73
	global_store_b32 v63, v62, s[40:41] scale_offset
	s_wait_xcnt 0x0
	s_or_b32 exec_lo, exec_lo, s20
	v_cmp_lt_u32_e64 s20, v74, v137
	s_and_saveexec_b32 s21, s20
	s_cbranch_execz .LBB494_473
.LBB494_541:                            ;   in Loop: Header=BB494_388 Depth=2
	ds_load_b32 v62, v93 offset:7168
	s_wait_dscnt 0x0
	v_lshrrev_b32_e32 v63, s43, v62
	v_xor_b32_e32 v62, 0x7fffffff, v62
	s_delay_alu instid0(VALU_DEP_2) | instskip(NEXT) | instid1(VALU_DEP_1)
	v_and_b32_e32 v63, s48, v63
	v_lshlrev_b32_e32 v63, 2, v63
	ds_load_b32 v63, v63
	s_wait_dscnt 0x0
	v_add_nc_u32_e32 v63, v63, v74
	global_store_b32 v63, v62, s[40:41] scale_offset
	s_wait_xcnt 0x0
	s_or_b32 exec_lo, exec_lo, s21
	v_cmp_lt_u32_e64 s21, v75, v137
	s_and_saveexec_b32 s22, s21
	s_cbranch_execz .LBB494_474
.LBB494_542:                            ;   in Loop: Header=BB494_388 Depth=2
	ds_load_b32 v62, v93 offset:8192
	s_wait_dscnt 0x0
	v_lshrrev_b32_e32 v63, s43, v62
	v_xor_b32_e32 v62, 0x7fffffff, v62
	s_delay_alu instid0(VALU_DEP_2) | instskip(NEXT) | instid1(VALU_DEP_1)
	v_and_b32_e32 v63, s48, v63
	v_lshlrev_b32_e32 v63, 2, v63
	ds_load_b32 v63, v63
	s_wait_dscnt 0x0
	v_add_nc_u32_e32 v63, v63, v75
	global_store_b32 v63, v62, s[40:41] scale_offset
	s_wait_xcnt 0x0
	s_or_b32 exec_lo, exec_lo, s22
	v_cmp_lt_u32_e64 s22, v76, v137
	s_and_saveexec_b32 s23, s22
	s_cbranch_execz .LBB494_475
.LBB494_543:                            ;   in Loop: Header=BB494_388 Depth=2
	ds_load_b32 v62, v93 offset:9216
	s_wait_dscnt 0x0
	v_lshrrev_b32_e32 v63, s43, v62
	v_xor_b32_e32 v62, 0x7fffffff, v62
	s_delay_alu instid0(VALU_DEP_2) | instskip(NEXT) | instid1(VALU_DEP_1)
	v_and_b32_e32 v63, s48, v63
	v_lshlrev_b32_e32 v63, 2, v63
	ds_load_b32 v63, v63
	s_wait_dscnt 0x0
	v_add_nc_u32_e32 v63, v63, v76
	global_store_b32 v63, v62, s[40:41] scale_offset
	s_wait_xcnt 0x0
	s_or_b32 exec_lo, exec_lo, s23
	v_cmp_lt_u32_e64 s23, v77, v137
	s_and_saveexec_b32 s24, s23
	s_cbranch_execz .LBB494_476
.LBB494_544:                            ;   in Loop: Header=BB494_388 Depth=2
	ds_load_b32 v62, v93 offset:10240
	s_wait_dscnt 0x0
	v_lshrrev_b32_e32 v63, s43, v62
	v_xor_b32_e32 v62, 0x7fffffff, v62
	s_delay_alu instid0(VALU_DEP_2) | instskip(NEXT) | instid1(VALU_DEP_1)
	v_and_b32_e32 v63, s48, v63
	v_lshlrev_b32_e32 v63, 2, v63
	ds_load_b32 v63, v63
	s_wait_dscnt 0x0
	v_add_nc_u32_e32 v63, v63, v77
	global_store_b32 v63, v62, s[40:41] scale_offset
	s_wait_xcnt 0x0
	s_or_b32 exec_lo, exec_lo, s24
	v_cmp_lt_u32_e64 s24, v78, v137
	s_and_saveexec_b32 s25, s24
	s_cbranch_execz .LBB494_477
.LBB494_545:                            ;   in Loop: Header=BB494_388 Depth=2
	ds_load_b32 v62, v93 offset:11264
	s_wait_dscnt 0x0
	v_lshrrev_b32_e32 v63, s43, v62
	v_xor_b32_e32 v62, 0x7fffffff, v62
	s_delay_alu instid0(VALU_DEP_2) | instskip(NEXT) | instid1(VALU_DEP_1)
	v_and_b32_e32 v63, s48, v63
	v_lshlrev_b32_e32 v63, 2, v63
	ds_load_b32 v63, v63
	s_wait_dscnt 0x0
	v_add_nc_u32_e32 v63, v63, v78
	global_store_b32 v63, v62, s[40:41] scale_offset
	s_wait_xcnt 0x0
	s_or_b32 exec_lo, exec_lo, s25
	v_cmp_lt_u32_e64 s25, v79, v137
	s_and_saveexec_b32 s26, s25
	s_cbranch_execz .LBB494_478
.LBB494_546:                            ;   in Loop: Header=BB494_388 Depth=2
	ds_load_b32 v62, v93 offset:12288
	s_wait_dscnt 0x0
	v_lshrrev_b32_e32 v63, s43, v62
	v_xor_b32_e32 v62, 0x7fffffff, v62
	s_delay_alu instid0(VALU_DEP_2) | instskip(NEXT) | instid1(VALU_DEP_1)
	v_and_b32_e32 v63, s48, v63
	v_lshlrev_b32_e32 v63, 2, v63
	ds_load_b32 v63, v63
	s_wait_dscnt 0x0
	v_add_nc_u32_e32 v63, v63, v79
	global_store_b32 v63, v62, s[40:41] scale_offset
	s_wait_xcnt 0x0
	s_or_b32 exec_lo, exec_lo, s26
	v_cmp_lt_u32_e64 s26, v80, v137
	s_and_saveexec_b32 s27, s26
	s_cbranch_execz .LBB494_479
.LBB494_547:                            ;   in Loop: Header=BB494_388 Depth=2
	ds_load_b32 v62, v93 offset:13312
	s_wait_dscnt 0x0
	v_lshrrev_b32_e32 v63, s43, v62
	v_xor_b32_e32 v62, 0x7fffffff, v62
	s_delay_alu instid0(VALU_DEP_2) | instskip(NEXT) | instid1(VALU_DEP_1)
	v_and_b32_e32 v63, s48, v63
	v_lshlrev_b32_e32 v63, 2, v63
	ds_load_b32 v63, v63
	s_wait_dscnt 0x0
	v_add_nc_u32_e32 v63, v63, v80
	global_store_b32 v63, v62, s[40:41] scale_offset
	s_wait_xcnt 0x0
	s_or_b32 exec_lo, exec_lo, s27
	v_cmp_lt_u32_e64 s27, v81, v137
	s_and_saveexec_b32 s28, s27
	s_cbranch_execz .LBB494_480
.LBB494_548:                            ;   in Loop: Header=BB494_388 Depth=2
	ds_load_b32 v62, v93 offset:14336
	s_wait_dscnt 0x0
	v_lshrrev_b32_e32 v63, s43, v62
	v_xor_b32_e32 v62, 0x7fffffff, v62
	s_delay_alu instid0(VALU_DEP_2) | instskip(NEXT) | instid1(VALU_DEP_1)
	v_and_b32_e32 v63, s48, v63
	v_lshlrev_b32_e32 v63, 2, v63
	ds_load_b32 v63, v63
	s_wait_dscnt 0x0
	v_add_nc_u32_e32 v63, v63, v81
	global_store_b32 v63, v62, s[40:41] scale_offset
	s_wait_xcnt 0x0
	s_or_b32 exec_lo, exec_lo, s28
	v_cmp_lt_u32_e64 s28, v82, v137
	s_and_saveexec_b32 s29, s28
	s_cbranch_execz .LBB494_481
.LBB494_549:                            ;   in Loop: Header=BB494_388 Depth=2
	ds_load_b32 v62, v93 offset:15360
	s_wait_dscnt 0x0
	v_lshrrev_b32_e32 v63, s43, v62
	v_xor_b32_e32 v62, 0x7fffffff, v62
	s_delay_alu instid0(VALU_DEP_2) | instskip(NEXT) | instid1(VALU_DEP_1)
	v_and_b32_e32 v63, s48, v63
	v_lshlrev_b32_e32 v63, 2, v63
	ds_load_b32 v63, v63
	s_wait_dscnt 0x0
	v_add_nc_u32_e32 v63, v63, v82
	global_store_b32 v63, v62, s[40:41] scale_offset
	s_wait_xcnt 0x0
	s_or_b32 exec_lo, exec_lo, s29
	v_cmp_lt_u32_e64 s29, v83, v137
	s_and_saveexec_b32 s57, s29
	s_cbranch_execnz .LBB494_482
	s_branch .LBB494_483
.LBB494_550:                            ;   in Loop: Header=BB494_388 Depth=2
	global_load_b64 v[60:61], v[62:63], off
	s_wait_xcnt 0x0
	s_or_b32 exec_lo, exec_lo, s30
	s_delay_alu instid0(SALU_CYCLE_1)
	s_mov_b32 s57, exec_lo
	v_cmpx_lt_u32_e64 v102, v137
	s_cbranch_execz .LBB494_485
.LBB494_551:                            ;   in Loop: Header=BB494_388 Depth=2
	global_load_b64 v[58:59], v[62:63], off offset:256
	s_wait_xcnt 0x0
	s_or_b32 exec_lo, exec_lo, s57
	s_delay_alu instid0(SALU_CYCLE_1)
	s_mov_b32 s57, exec_lo
	v_cmpx_lt_u32_e64 v103, v137
	s_cbranch_execz .LBB494_486
.LBB494_552:                            ;   in Loop: Header=BB494_388 Depth=2
	global_load_b64 v[56:57], v[62:63], off offset:512
	s_wait_xcnt 0x0
	s_or_b32 exec_lo, exec_lo, s57
	s_delay_alu instid0(SALU_CYCLE_1)
	s_mov_b32 s57, exec_lo
	v_cmpx_lt_u32_e64 v104, v137
	s_cbranch_execz .LBB494_487
.LBB494_553:                            ;   in Loop: Header=BB494_388 Depth=2
	global_load_b64 v[54:55], v[62:63], off offset:768
	s_wait_xcnt 0x0
	s_or_b32 exec_lo, exec_lo, s57
	s_delay_alu instid0(SALU_CYCLE_1)
	s_mov_b32 s57, exec_lo
	v_cmpx_lt_u32_e64 v105, v137
	s_cbranch_execz .LBB494_488
.LBB494_554:                            ;   in Loop: Header=BB494_388 Depth=2
	global_load_b64 v[52:53], v[62:63], off offset:1024
	s_wait_xcnt 0x0
	s_or_b32 exec_lo, exec_lo, s57
	s_delay_alu instid0(SALU_CYCLE_1)
	s_mov_b32 s57, exec_lo
	v_cmpx_lt_u32_e64 v106, v137
	s_cbranch_execz .LBB494_489
.LBB494_555:                            ;   in Loop: Header=BB494_388 Depth=2
	global_load_b64 v[50:51], v[62:63], off offset:1280
	s_wait_xcnt 0x0
	s_or_b32 exec_lo, exec_lo, s57
	s_delay_alu instid0(SALU_CYCLE_1)
	s_mov_b32 s57, exec_lo
	v_cmpx_lt_u32_e64 v107, v137
	s_cbranch_execz .LBB494_490
.LBB494_556:                            ;   in Loop: Header=BB494_388 Depth=2
	global_load_b64 v[48:49], v[62:63], off offset:1536
	s_wait_xcnt 0x0
	s_or_b32 exec_lo, exec_lo, s57
	s_delay_alu instid0(SALU_CYCLE_1)
	s_mov_b32 s57, exec_lo
	v_cmpx_lt_u32_e64 v108, v137
	s_cbranch_execz .LBB494_491
.LBB494_557:                            ;   in Loop: Header=BB494_388 Depth=2
	global_load_b64 v[46:47], v[62:63], off offset:1792
	s_wait_xcnt 0x0
	s_or_b32 exec_lo, exec_lo, s57
	s_delay_alu instid0(SALU_CYCLE_1)
	s_mov_b32 s57, exec_lo
	v_cmpx_lt_u32_e64 v109, v137
	s_cbranch_execz .LBB494_492
.LBB494_558:                            ;   in Loop: Header=BB494_388 Depth=2
	global_load_b64 v[44:45], v[62:63], off offset:2048
	s_wait_xcnt 0x0
	s_or_b32 exec_lo, exec_lo, s57
	s_delay_alu instid0(SALU_CYCLE_1)
	s_mov_b32 s57, exec_lo
	v_cmpx_lt_u32_e64 v110, v137
	s_cbranch_execz .LBB494_493
.LBB494_559:                            ;   in Loop: Header=BB494_388 Depth=2
	global_load_b64 v[42:43], v[62:63], off offset:2304
	s_wait_xcnt 0x0
	s_or_b32 exec_lo, exec_lo, s57
	s_delay_alu instid0(SALU_CYCLE_1)
	s_mov_b32 s57, exec_lo
	v_cmpx_lt_u32_e64 v111, v137
	s_cbranch_execz .LBB494_494
.LBB494_560:                            ;   in Loop: Header=BB494_388 Depth=2
	global_load_b64 v[40:41], v[62:63], off offset:2560
	s_wait_xcnt 0x0
	s_or_b32 exec_lo, exec_lo, s57
	s_delay_alu instid0(SALU_CYCLE_1)
	s_mov_b32 s57, exec_lo
	v_cmpx_lt_u32_e64 v112, v137
	s_cbranch_execz .LBB494_495
.LBB494_561:                            ;   in Loop: Header=BB494_388 Depth=2
	global_load_b64 v[38:39], v[62:63], off offset:2816
	s_wait_xcnt 0x0
	s_or_b32 exec_lo, exec_lo, s57
	s_delay_alu instid0(SALU_CYCLE_1)
	s_mov_b32 s57, exec_lo
	v_cmpx_lt_u32_e64 v113, v137
	s_cbranch_execz .LBB494_496
.LBB494_562:                            ;   in Loop: Header=BB494_388 Depth=2
	global_load_b64 v[36:37], v[62:63], off offset:3072
	s_wait_xcnt 0x0
	s_or_b32 exec_lo, exec_lo, s57
	s_delay_alu instid0(SALU_CYCLE_1)
	s_mov_b32 s57, exec_lo
	v_cmpx_lt_u32_e64 v114, v137
	s_cbranch_execz .LBB494_497
.LBB494_563:                            ;   in Loop: Header=BB494_388 Depth=2
	global_load_b64 v[34:35], v[62:63], off offset:3328
	s_wait_xcnt 0x0
	s_or_b32 exec_lo, exec_lo, s57
	s_delay_alu instid0(SALU_CYCLE_1)
	s_mov_b32 s57, exec_lo
	v_cmpx_lt_u32_e64 v115, v137
	s_cbranch_execz .LBB494_498
.LBB494_564:                            ;   in Loop: Header=BB494_388 Depth=2
	global_load_b64 v[32:33], v[62:63], off offset:3584
	s_wait_xcnt 0x0
	s_or_b32 exec_lo, exec_lo, s57
	s_delay_alu instid0(SALU_CYCLE_1)
	s_mov_b32 s57, exec_lo
	v_cmpx_lt_u32_e64 v116, v137
	s_cbranch_execz .LBB494_499
.LBB494_565:                            ;   in Loop: Header=BB494_388 Depth=2
	global_load_b64 v[30:31], v[62:63], off offset:3840
	s_wait_xcnt 0x0
	s_or_b32 exec_lo, exec_lo, s57
	s_and_saveexec_b32 s30, vcc_lo
	s_cbranch_execz .LBB494_500
.LBB494_566:                            ;   in Loop: Header=BB494_388 Depth=2
	ds_load_b32 v62, v93 offset:1024
	s_wait_dscnt 0x0
	v_lshrrev_b32_e32 v62, s43, v62
	s_delay_alu instid0(VALU_DEP_1)
	v_and_b32_e32 v136, s48, v62
	s_or_b32 exec_lo, exec_lo, s30
	s_and_saveexec_b32 s30, s15
	s_cbranch_execz .LBB494_501
.LBB494_567:                            ;   in Loop: Header=BB494_388 Depth=2
	ds_load_b32 v62, v93 offset:2048
	s_wait_dscnt 0x0
	v_lshrrev_b32_e32 v62, s43, v62
	s_delay_alu instid0(VALU_DEP_1)
	v_and_b32_e32 v135, s48, v62
	s_or_b32 exec_lo, exec_lo, s30
	s_and_saveexec_b32 s30, s16
	s_cbranch_execz .LBB494_502
.LBB494_568:                            ;   in Loop: Header=BB494_388 Depth=2
	ds_load_b32 v62, v93 offset:3072
	s_wait_dscnt 0x0
	v_lshrrev_b32_e32 v62, s43, v62
	s_delay_alu instid0(VALU_DEP_1)
	v_and_b32_e32 v134, s48, v62
	s_or_b32 exec_lo, exec_lo, s30
	s_and_saveexec_b32 s30, s17
	s_cbranch_execz .LBB494_503
.LBB494_569:                            ;   in Loop: Header=BB494_388 Depth=2
	ds_load_b32 v62, v93 offset:4096
	s_wait_dscnt 0x0
	v_lshrrev_b32_e32 v62, s43, v62
	s_delay_alu instid0(VALU_DEP_1)
	v_and_b32_e32 v133, s48, v62
	s_or_b32 exec_lo, exec_lo, s30
	s_and_saveexec_b32 s30, s18
	s_cbranch_execz .LBB494_504
.LBB494_570:                            ;   in Loop: Header=BB494_388 Depth=2
	ds_load_b32 v62, v93 offset:5120
	s_wait_dscnt 0x0
	v_lshrrev_b32_e32 v62, s43, v62
	s_delay_alu instid0(VALU_DEP_1)
	v_and_b32_e32 v132, s48, v62
	s_or_b32 exec_lo, exec_lo, s30
	s_and_saveexec_b32 s30, s19
	s_cbranch_execz .LBB494_505
.LBB494_571:                            ;   in Loop: Header=BB494_388 Depth=2
	ds_load_b32 v62, v93 offset:6144
	s_wait_dscnt 0x0
	v_lshrrev_b32_e32 v62, s43, v62
	s_delay_alu instid0(VALU_DEP_1)
	v_and_b32_e32 v131, s48, v62
	s_or_b32 exec_lo, exec_lo, s30
	s_and_saveexec_b32 s30, s20
	s_cbranch_execz .LBB494_506
.LBB494_572:                            ;   in Loop: Header=BB494_388 Depth=2
	ds_load_b32 v62, v93 offset:7168
	s_wait_dscnt 0x0
	v_lshrrev_b32_e32 v62, s43, v62
	s_delay_alu instid0(VALU_DEP_1)
	v_and_b32_e32 v130, s48, v62
	s_or_b32 exec_lo, exec_lo, s30
	s_and_saveexec_b32 s30, s21
	s_cbranch_execz .LBB494_507
.LBB494_573:                            ;   in Loop: Header=BB494_388 Depth=2
	ds_load_b32 v62, v93 offset:8192
	s_wait_dscnt 0x0
	v_lshrrev_b32_e32 v62, s43, v62
	s_delay_alu instid0(VALU_DEP_1)
	v_and_b32_e32 v129, s48, v62
	s_or_b32 exec_lo, exec_lo, s30
	s_and_saveexec_b32 s30, s22
	s_cbranch_execz .LBB494_508
.LBB494_574:                            ;   in Loop: Header=BB494_388 Depth=2
	ds_load_b32 v62, v93 offset:9216
	s_wait_dscnt 0x0
	v_lshrrev_b32_e32 v62, s43, v62
	s_delay_alu instid0(VALU_DEP_1)
	v_and_b32_e32 v128, s48, v62
	s_or_b32 exec_lo, exec_lo, s30
	s_and_saveexec_b32 s30, s23
	s_cbranch_execz .LBB494_509
.LBB494_575:                            ;   in Loop: Header=BB494_388 Depth=2
	ds_load_b32 v62, v93 offset:10240
	s_wait_dscnt 0x0
	v_lshrrev_b32_e32 v62, s43, v62
	s_delay_alu instid0(VALU_DEP_1)
	v_and_b32_e32 v127, s48, v62
	s_or_b32 exec_lo, exec_lo, s30
	s_and_saveexec_b32 s30, s24
	s_cbranch_execz .LBB494_510
.LBB494_576:                            ;   in Loop: Header=BB494_388 Depth=2
	ds_load_b32 v62, v93 offset:11264
	s_wait_dscnt 0x0
	v_lshrrev_b32_e32 v62, s43, v62
	s_delay_alu instid0(VALU_DEP_1)
	v_and_b32_e32 v126, s48, v62
	s_or_b32 exec_lo, exec_lo, s30
	s_and_saveexec_b32 s30, s25
	s_cbranch_execz .LBB494_511
.LBB494_577:                            ;   in Loop: Header=BB494_388 Depth=2
	ds_load_b32 v62, v93 offset:12288
	s_wait_dscnt 0x0
	v_lshrrev_b32_e32 v62, s43, v62
	s_delay_alu instid0(VALU_DEP_1)
	v_and_b32_e32 v125, s48, v62
	s_or_b32 exec_lo, exec_lo, s30
	s_and_saveexec_b32 s30, s26
	s_cbranch_execz .LBB494_512
.LBB494_578:                            ;   in Loop: Header=BB494_388 Depth=2
	ds_load_b32 v62, v93 offset:13312
	s_wait_dscnt 0x0
	v_lshrrev_b32_e32 v62, s43, v62
	s_delay_alu instid0(VALU_DEP_1)
	v_and_b32_e32 v124, s48, v62
	s_or_b32 exec_lo, exec_lo, s30
	s_and_saveexec_b32 s30, s27
	s_cbranch_execz .LBB494_513
.LBB494_579:                            ;   in Loop: Header=BB494_388 Depth=2
	ds_load_b32 v62, v93 offset:14336
	s_wait_dscnt 0x0
	v_lshrrev_b32_e32 v62, s43, v62
	s_delay_alu instid0(VALU_DEP_1)
	v_and_b32_e32 v123, s48, v62
	s_or_b32 exec_lo, exec_lo, s30
	s_and_saveexec_b32 s30, s28
	s_cbranch_execz .LBB494_514
.LBB494_580:                            ;   in Loop: Header=BB494_388 Depth=2
	ds_load_b32 v62, v93 offset:15360
	s_wait_dscnt 0x0
	v_lshrrev_b32_e32 v62, s43, v62
	s_delay_alu instid0(VALU_DEP_1)
	v_and_b32_e32 v122, s48, v62
	s_or_b32 exec_lo, exec_lo, s30
	s_and_saveexec_b32 s30, s29
	s_cbranch_execnz .LBB494_515
	s_branch .LBB494_516
.LBB494_581:                            ;   in Loop: Header=BB494_388 Depth=2
	v_lshlrev_b32_e32 v62, 2, v136
	v_add_nc_u32_e32 v63, v93, v4
	ds_load_b32 v65, v62
	ds_load_b64 v[62:63], v63 offset:1024
	s_wait_dscnt 0x1
	v_add_nc_u32_e32 v65, v65, v2
	s_wait_dscnt 0x0
	global_store_b64 v65, v[62:63], s[46:47] scale_offset
	s_wait_xcnt 0x0
	s_or_b32 exec_lo, exec_lo, s30
	s_and_saveexec_b32 s30, s15
	s_cbranch_execz .LBB494_518
.LBB494_582:                            ;   in Loop: Header=BB494_388 Depth=2
	v_dual_lshlrev_b32 v62, 2, v135 :: v_dual_add_nc_u32 v63, v93, v4
	ds_load_b32 v65, v62
	ds_load_b64 v[62:63], v63 offset:3072
	s_wait_dscnt 0x1
	v_add_nc_u32_e32 v65, v65, v3
	s_wait_dscnt 0x0
	global_store_b64 v65, v[62:63], s[46:47] scale_offset
	s_wait_xcnt 0x0
	s_or_b32 exec_lo, exec_lo, s30
	s_and_saveexec_b32 s15, s16
	s_cbranch_execz .LBB494_519
.LBB494_583:                            ;   in Loop: Header=BB494_388 Depth=2
	v_dual_lshlrev_b32 v62, 2, v134 :: v_dual_add_nc_u32 v63, v93, v4
	ds_load_b32 v65, v62
	ds_load_b64 v[62:63], v63 offset:5120
	s_wait_dscnt 0x1
	v_add_nc_u32_e32 v65, v65, v70
	s_wait_dscnt 0x0
	global_store_b64 v65, v[62:63], s[46:47] scale_offset
	s_wait_xcnt 0x0
	s_or_b32 exec_lo, exec_lo, s15
	s_and_saveexec_b32 s15, s17
	s_cbranch_execz .LBB494_520
.LBB494_584:                            ;   in Loop: Header=BB494_388 Depth=2
	v_dual_lshlrev_b32 v62, 2, v133 :: v_dual_add_nc_u32 v63, v93, v4
	ds_load_b32 v65, v62
	ds_load_b64 v[62:63], v63 offset:7168
	s_wait_dscnt 0x1
	v_add_nc_u32_e32 v65, v65, v71
	s_wait_dscnt 0x0
	global_store_b64 v65, v[62:63], s[46:47] scale_offset
	s_wait_xcnt 0x0
	s_or_b32 exec_lo, exec_lo, s15
	s_and_saveexec_b32 s15, s18
	s_cbranch_execz .LBB494_521
.LBB494_585:                            ;   in Loop: Header=BB494_388 Depth=2
	v_lshlrev_b32_e32 v62, 2, v132
	v_add_nc_u32_e32 v63, v93, v4
	ds_load_b32 v65, v62
	ds_load_b64 v[62:63], v63 offset:9216
	s_wait_dscnt 0x1
	v_add_nc_u32_e32 v65, v65, v72
	s_wait_dscnt 0x0
	global_store_b64 v65, v[62:63], s[46:47] scale_offset
	s_wait_xcnt 0x0
	s_or_b32 exec_lo, exec_lo, s15
	s_and_saveexec_b32 s15, s19
	s_cbranch_execz .LBB494_522
.LBB494_586:                            ;   in Loop: Header=BB494_388 Depth=2
	v_dual_lshlrev_b32 v62, 2, v131 :: v_dual_add_nc_u32 v63, v93, v4
	ds_load_b32 v65, v62
	ds_load_b64 v[62:63], v63 offset:11264
	s_wait_dscnt 0x1
	v_add_nc_u32_e32 v65, v65, v73
	s_wait_dscnt 0x0
	global_store_b64 v65, v[62:63], s[46:47] scale_offset
	s_wait_xcnt 0x0
	s_or_b32 exec_lo, exec_lo, s15
	s_and_saveexec_b32 s15, s20
	s_cbranch_execz .LBB494_523
.LBB494_587:                            ;   in Loop: Header=BB494_388 Depth=2
	v_dual_lshlrev_b32 v62, 2, v130 :: v_dual_add_nc_u32 v63, v93, v4
	ds_load_b32 v65, v62
	ds_load_b64 v[62:63], v63 offset:13312
	s_wait_dscnt 0x1
	v_add_nc_u32_e32 v65, v65, v74
	s_wait_dscnt 0x0
	global_store_b64 v65, v[62:63], s[46:47] scale_offset
	s_wait_xcnt 0x0
	s_or_b32 exec_lo, exec_lo, s15
	s_and_saveexec_b32 s15, s21
	s_cbranch_execz .LBB494_524
.LBB494_588:                            ;   in Loop: Header=BB494_388 Depth=2
	v_dual_lshlrev_b32 v62, 2, v129 :: v_dual_add_nc_u32 v63, v93, v4
	ds_load_b32 v65, v62
	ds_load_b64 v[62:63], v63 offset:15360
	s_wait_dscnt 0x1
	v_add_nc_u32_e32 v65, v65, v75
	s_wait_dscnt 0x0
	global_store_b64 v65, v[62:63], s[46:47] scale_offset
	s_wait_xcnt 0x0
	s_or_b32 exec_lo, exec_lo, s15
	s_and_saveexec_b32 s15, s22
	s_cbranch_execz .LBB494_525
.LBB494_589:                            ;   in Loop: Header=BB494_388 Depth=2
	v_lshlrev_b32_e32 v62, 2, v128
	v_add_nc_u32_e32 v63, v93, v4
	ds_load_b32 v65, v62
	ds_load_b64 v[62:63], v63 offset:17408
	s_wait_dscnt 0x1
	v_add_nc_u32_e32 v65, v65, v76
	s_wait_dscnt 0x0
	global_store_b64 v65, v[62:63], s[46:47] scale_offset
	s_wait_xcnt 0x0
	s_or_b32 exec_lo, exec_lo, s15
	s_and_saveexec_b32 s15, s23
	s_cbranch_execz .LBB494_526
.LBB494_590:                            ;   in Loop: Header=BB494_388 Depth=2
	v_dual_lshlrev_b32 v62, 2, v127 :: v_dual_add_nc_u32 v63, v93, v4
	ds_load_b32 v65, v62
	ds_load_b64 v[62:63], v63 offset:19456
	s_wait_dscnt 0x1
	v_add_nc_u32_e32 v65, v65, v77
	s_wait_dscnt 0x0
	global_store_b64 v65, v[62:63], s[46:47] scale_offset
	s_wait_xcnt 0x0
	s_or_b32 exec_lo, exec_lo, s15
	s_and_saveexec_b32 s15, s24
	s_cbranch_execz .LBB494_527
.LBB494_591:                            ;   in Loop: Header=BB494_388 Depth=2
	v_dual_lshlrev_b32 v62, 2, v126 :: v_dual_add_nc_u32 v63, v93, v4
	ds_load_b32 v65, v62
	ds_load_b64 v[62:63], v63 offset:21504
	s_wait_dscnt 0x1
	v_add_nc_u32_e32 v65, v65, v78
	s_wait_dscnt 0x0
	global_store_b64 v65, v[62:63], s[46:47] scale_offset
	s_wait_xcnt 0x0
	s_or_b32 exec_lo, exec_lo, s15
	s_and_saveexec_b32 s15, s25
	s_cbranch_execz .LBB494_528
.LBB494_592:                            ;   in Loop: Header=BB494_388 Depth=2
	v_dual_lshlrev_b32 v62, 2, v125 :: v_dual_add_nc_u32 v63, v93, v4
	ds_load_b32 v65, v62
	ds_load_b64 v[62:63], v63 offset:23552
	s_wait_dscnt 0x1
	v_add_nc_u32_e32 v65, v65, v79
	s_wait_dscnt 0x0
	global_store_b64 v65, v[62:63], s[46:47] scale_offset
	s_wait_xcnt 0x0
	s_or_b32 exec_lo, exec_lo, s15
	s_and_saveexec_b32 s15, s26
	s_cbranch_execz .LBB494_529
.LBB494_593:                            ;   in Loop: Header=BB494_388 Depth=2
	v_lshlrev_b32_e32 v62, 2, v124
	v_add_nc_u32_e32 v63, v93, v4
	ds_load_b32 v65, v62
	ds_load_b64 v[62:63], v63 offset:25600
	s_wait_dscnt 0x1
	v_add_nc_u32_e32 v65, v65, v80
	s_wait_dscnt 0x0
	global_store_b64 v65, v[62:63], s[46:47] scale_offset
	s_wait_xcnt 0x0
	s_or_b32 exec_lo, exec_lo, s15
	s_and_saveexec_b32 s15, s27
	s_cbranch_execz .LBB494_530
.LBB494_594:                            ;   in Loop: Header=BB494_388 Depth=2
	v_dual_lshlrev_b32 v62, 2, v123 :: v_dual_add_nc_u32 v63, v93, v4
	ds_load_b32 v65, v62
	ds_load_b64 v[62:63], v63 offset:27648
	s_wait_dscnt 0x1
	v_add_nc_u32_e32 v65, v65, v81
	s_wait_dscnt 0x0
	global_store_b64 v65, v[62:63], s[46:47] scale_offset
	s_wait_xcnt 0x0
	s_or_b32 exec_lo, exec_lo, s15
	s_and_saveexec_b32 s15, s28
	s_cbranch_execz .LBB494_531
.LBB494_595:                            ;   in Loop: Header=BB494_388 Depth=2
	v_dual_lshlrev_b32 v62, 2, v122 :: v_dual_add_nc_u32 v63, v93, v4
	ds_load_b32 v65, v62
	ds_load_b64 v[62:63], v63 offset:29696
	s_wait_dscnt 0x1
	v_add_nc_u32_e32 v65, v65, v82
	s_wait_dscnt 0x0
	global_store_b64 v65, v[62:63], s[46:47] scale_offset
	s_wait_xcnt 0x0
	s_or_b32 exec_lo, exec_lo, s15
	s_and_saveexec_b32 s15, s29
	s_cbranch_execnz .LBB494_532
	s_branch .LBB494_533
.LBB494_596:                            ;   in Loop: Header=BB494_12 Depth=1
	s_wait_dscnt 0x0
	s_barrier_signal -1
	s_barrier_wait -1
.LBB494_597:                            ;   in Loop: Header=BB494_12 Depth=1
	s_mov_b32 s7, 0
.LBB494_598:                            ;   in Loop: Header=BB494_12 Depth=1
	s_delay_alu instid0(SALU_CYCLE_1)
	s_and_not1_b32 vcc_lo, exec_lo, s7
	s_cbranch_vccnz .LBB494_11
; %bb.599:                              ;   in Loop: Header=BB494_12 Depth=1
	s_and_b32 vcc_lo, exec_lo, s53
	s_mov_b32 s7, -1
	s_cbranch_vccz .LBB494_891
; %bb.600:                              ;   in Loop: Header=BB494_12 Depth=1
	s_mov_b32 s7, s54
	s_mov_b32 s30, s52
	s_barrier_signal -1
	s_barrier_wait -1
                                        ; implicit-def: $vgpr25
                                        ; implicit-def: $vgpr26
                                        ; implicit-def: $vgpr27
                                        ; implicit-def: $vgpr28
                                        ; implicit-def: $vgpr29
                                        ; implicit-def: $vgpr30
                                        ; implicit-def: $vgpr31
                                        ; implicit-def: $vgpr32
                                        ; implicit-def: $vgpr33
                                        ; implicit-def: $vgpr34
                                        ; implicit-def: $vgpr35
                                        ; implicit-def: $vgpr36
                                        ; implicit-def: $vgpr37
                                        ; implicit-def: $vgpr38
                                        ; implicit-def: $vgpr39
                                        ; implicit-def: $vgpr40
	s_branch .LBB494_602
.LBB494_601:                            ;   in Loop: Header=BB494_602 Depth=2
	s_or_b32 exec_lo, exec_lo, s8
	s_addk_co_i32 s7, 0xf000
	s_cmp_ge_u32 s10, s51
	s_mov_b32 s30, s10
	s_cbranch_scc1 .LBB494_670
.LBB494_602:                            ;   Parent Loop BB494_12 Depth=1
                                        ; =>  This Inner Loop Header: Depth=2
	s_add_co_i32 s10, s30, 0x1000
	s_mov_b32 s8, -1
	s_cmp_gt_u32 s10, s51
                                        ; implicit-def: $vgpr41
                                        ; implicit-def: $vgpr42
                                        ; implicit-def: $vgpr43
                                        ; implicit-def: $vgpr44
                                        ; implicit-def: $vgpr45
                                        ; implicit-def: $vgpr46
                                        ; implicit-def: $vgpr47
                                        ; implicit-def: $vgpr48
                                        ; implicit-def: $vgpr49
                                        ; implicit-def: $vgpr50
                                        ; implicit-def: $vgpr51
                                        ; implicit-def: $vgpr52
                                        ; implicit-def: $vgpr53
                                        ; implicit-def: $vgpr54
                                        ; implicit-def: $vgpr55
                                        ; implicit-def: $vgpr56
	s_cbranch_scc1 .LBB494_604
; %bb.603:                              ;   in Loop: Header=BB494_602 Depth=2
	v_lshl_add_u64 v[56:57], s[30:31], 2, v[22:23]
	s_mov_b32 s8, 0
	s_clause 0xf
	global_load_b32 v41, v[56:57], off
	global_load_b32 v42, v[56:57], off offset:1024
	global_load_b32 v43, v[56:57], off offset:2048
	;; [unrolled: 1-line block ×15, first 2 shown]
.LBB494_604:                            ;   in Loop: Header=BB494_602 Depth=2
	s_and_not1_b32 vcc_lo, exec_lo, s8
	s_movk_i32 s8, 0x1000
	s_cbranch_vccnz .LBB494_623
; %bb.605:                              ;   in Loop: Header=BB494_602 Depth=2
	s_lshl_b64 s[8:9], s[30:31], 2
	s_mov_b32 s11, exec_lo
	s_add_nc_u64 s[8:9], s[36:37], s[8:9]
	s_wait_xcnt 0x0
	v_cmpx_gt_u32_e64 s7, v2
	s_cbranch_execnz .LBB494_655
; %bb.606:                              ;   in Loop: Header=BB494_602 Depth=2
	s_or_b32 exec_lo, exec_lo, s11
	s_delay_alu instid0(SALU_CYCLE_1)
	s_mov_b32 s11, exec_lo
	v_cmpx_gt_u32_e64 s7, v3
	s_cbranch_execnz .LBB494_656
.LBB494_607:                            ;   in Loop: Header=BB494_602 Depth=2
	s_or_b32 exec_lo, exec_lo, s11
	s_delay_alu instid0(SALU_CYCLE_1)
	s_mov_b32 s11, exec_lo
	v_cmpx_gt_u32_e64 s7, v70
	s_cbranch_execnz .LBB494_657
.LBB494_608:                            ;   in Loop: Header=BB494_602 Depth=2
	s_or_b32 exec_lo, exec_lo, s11
	s_delay_alu instid0(SALU_CYCLE_1)
	s_mov_b32 s11, exec_lo
	v_cmpx_gt_u32_e64 s7, v71
	s_cbranch_execnz .LBB494_658
.LBB494_609:                            ;   in Loop: Header=BB494_602 Depth=2
	s_or_b32 exec_lo, exec_lo, s11
	s_delay_alu instid0(SALU_CYCLE_1)
	s_mov_b32 s11, exec_lo
	v_cmpx_gt_u32_e64 s7, v72
	s_cbranch_execnz .LBB494_659
.LBB494_610:                            ;   in Loop: Header=BB494_602 Depth=2
	s_or_b32 exec_lo, exec_lo, s11
	s_delay_alu instid0(SALU_CYCLE_1)
	s_mov_b32 s11, exec_lo
	v_cmpx_gt_u32_e64 s7, v73
	s_cbranch_execnz .LBB494_660
.LBB494_611:                            ;   in Loop: Header=BB494_602 Depth=2
	s_or_b32 exec_lo, exec_lo, s11
	s_delay_alu instid0(SALU_CYCLE_1)
	s_mov_b32 s11, exec_lo
	v_cmpx_gt_u32_e64 s7, v74
	s_cbranch_execnz .LBB494_661
.LBB494_612:                            ;   in Loop: Header=BB494_602 Depth=2
	s_or_b32 exec_lo, exec_lo, s11
	s_delay_alu instid0(SALU_CYCLE_1)
	s_mov_b32 s11, exec_lo
	v_cmpx_gt_u32_e64 s7, v75
	s_cbranch_execnz .LBB494_662
.LBB494_613:                            ;   in Loop: Header=BB494_602 Depth=2
	s_or_b32 exec_lo, exec_lo, s11
	s_delay_alu instid0(SALU_CYCLE_1)
	s_mov_b32 s11, exec_lo
	v_cmpx_gt_u32_e64 s7, v76
	s_cbranch_execnz .LBB494_663
.LBB494_614:                            ;   in Loop: Header=BB494_602 Depth=2
	s_or_b32 exec_lo, exec_lo, s11
	s_delay_alu instid0(SALU_CYCLE_1)
	s_mov_b32 s11, exec_lo
	v_cmpx_gt_u32_e64 s7, v77
	s_cbranch_execnz .LBB494_664
.LBB494_615:                            ;   in Loop: Header=BB494_602 Depth=2
	s_or_b32 exec_lo, exec_lo, s11
	s_delay_alu instid0(SALU_CYCLE_1)
	s_mov_b32 s11, exec_lo
	v_cmpx_gt_u32_e64 s7, v78
	s_cbranch_execnz .LBB494_665
.LBB494_616:                            ;   in Loop: Header=BB494_602 Depth=2
	s_or_b32 exec_lo, exec_lo, s11
	s_delay_alu instid0(SALU_CYCLE_1)
	s_mov_b32 s11, exec_lo
	v_cmpx_gt_u32_e64 s7, v79
	s_cbranch_execnz .LBB494_666
.LBB494_617:                            ;   in Loop: Header=BB494_602 Depth=2
	s_or_b32 exec_lo, exec_lo, s11
	s_delay_alu instid0(SALU_CYCLE_1)
	s_mov_b32 s11, exec_lo
	v_cmpx_gt_u32_e64 s7, v80
	s_cbranch_execnz .LBB494_667
.LBB494_618:                            ;   in Loop: Header=BB494_602 Depth=2
	s_or_b32 exec_lo, exec_lo, s11
	s_delay_alu instid0(SALU_CYCLE_1)
	s_mov_b32 s11, exec_lo
	v_cmpx_gt_u32_e64 s7, v81
	s_cbranch_execnz .LBB494_668
.LBB494_619:                            ;   in Loop: Header=BB494_602 Depth=2
	s_or_b32 exec_lo, exec_lo, s11
	s_delay_alu instid0(SALU_CYCLE_1)
	s_mov_b32 s11, exec_lo
	v_cmpx_gt_u32_e64 s7, v82
	s_cbranch_execnz .LBB494_669
.LBB494_620:                            ;   in Loop: Header=BB494_602 Depth=2
	s_or_b32 exec_lo, exec_lo, s11
	s_delay_alu instid0(SALU_CYCLE_1)
	s_mov_b32 s11, exec_lo
	v_cmpx_gt_u32_e64 s7, v83
	s_cbranch_execz .LBB494_622
.LBB494_621:                            ;   in Loop: Header=BB494_602 Depth=2
	global_load_b32 v25, v2, s[8:9] offset:15360 scale_offset
.LBB494_622:                            ;   in Loop: Header=BB494_602 Depth=2
	s_wait_xcnt 0x0
	s_or_b32 exec_lo, exec_lo, s11
	s_wait_loadcnt 0x0
	v_dual_mov_b32 v41, v40 :: v_dual_mov_b32 v42, v39
	v_dual_mov_b32 v43, v38 :: v_dual_mov_b32 v44, v37
	;; [unrolled: 1-line block ×8, first 2 shown]
	s_mov_b32 s8, s7
.LBB494_623:                            ;   in Loop: Header=BB494_602 Depth=2
	s_wait_loadcnt 0x0
	s_delay_alu instid0(VALU_DEP_1)
	v_dual_mov_b32 v25, v56 :: v_dual_mov_b32 v26, v55
	v_dual_mov_b32 v27, v54 :: v_dual_mov_b32 v28, v53
	;; [unrolled: 1-line block ×8, first 2 shown]
	s_mov_b32 s9, exec_lo
	s_wait_xcnt 0x0
	v_cmpx_gt_u32_e64 s8, v2
	s_cbranch_execnz .LBB494_639
; %bb.624:                              ;   in Loop: Header=BB494_602 Depth=2
	s_or_b32 exec_lo, exec_lo, s9
	s_delay_alu instid0(SALU_CYCLE_1)
	s_mov_b32 s9, exec_lo
	v_cmpx_gt_u32_e64 s8, v3
	s_cbranch_execnz .LBB494_640
.LBB494_625:                            ;   in Loop: Header=BB494_602 Depth=2
	s_or_b32 exec_lo, exec_lo, s9
	s_delay_alu instid0(SALU_CYCLE_1)
	s_mov_b32 s9, exec_lo
	v_cmpx_gt_u32_e64 s8, v70
	s_cbranch_execnz .LBB494_641
.LBB494_626:                            ;   in Loop: Header=BB494_602 Depth=2
	s_or_b32 exec_lo, exec_lo, s9
	s_delay_alu instid0(SALU_CYCLE_1)
	s_mov_b32 s9, exec_lo
	v_cmpx_gt_u32_e64 s8, v71
	s_cbranch_execnz .LBB494_642
.LBB494_627:                            ;   in Loop: Header=BB494_602 Depth=2
	s_or_b32 exec_lo, exec_lo, s9
	s_delay_alu instid0(SALU_CYCLE_1)
	s_mov_b32 s9, exec_lo
	v_cmpx_gt_u32_e64 s8, v72
	s_cbranch_execnz .LBB494_643
.LBB494_628:                            ;   in Loop: Header=BB494_602 Depth=2
	s_or_b32 exec_lo, exec_lo, s9
	s_delay_alu instid0(SALU_CYCLE_1)
	s_mov_b32 s9, exec_lo
	v_cmpx_gt_u32_e64 s8, v73
	s_cbranch_execnz .LBB494_644
.LBB494_629:                            ;   in Loop: Header=BB494_602 Depth=2
	s_or_b32 exec_lo, exec_lo, s9
	s_delay_alu instid0(SALU_CYCLE_1)
	s_mov_b32 s9, exec_lo
	v_cmpx_gt_u32_e64 s8, v74
	s_cbranch_execnz .LBB494_645
.LBB494_630:                            ;   in Loop: Header=BB494_602 Depth=2
	s_or_b32 exec_lo, exec_lo, s9
	s_delay_alu instid0(SALU_CYCLE_1)
	s_mov_b32 s9, exec_lo
	v_cmpx_gt_u32_e64 s8, v75
	s_cbranch_execnz .LBB494_646
.LBB494_631:                            ;   in Loop: Header=BB494_602 Depth=2
	s_or_b32 exec_lo, exec_lo, s9
	s_delay_alu instid0(SALU_CYCLE_1)
	s_mov_b32 s9, exec_lo
	v_cmpx_gt_u32_e64 s8, v76
	s_cbranch_execnz .LBB494_647
.LBB494_632:                            ;   in Loop: Header=BB494_602 Depth=2
	s_or_b32 exec_lo, exec_lo, s9
	s_delay_alu instid0(SALU_CYCLE_1)
	s_mov_b32 s9, exec_lo
	v_cmpx_gt_u32_e64 s8, v77
	s_cbranch_execnz .LBB494_648
.LBB494_633:                            ;   in Loop: Header=BB494_602 Depth=2
	s_or_b32 exec_lo, exec_lo, s9
	s_delay_alu instid0(SALU_CYCLE_1)
	s_mov_b32 s9, exec_lo
	v_cmpx_gt_u32_e64 s8, v78
	s_cbranch_execnz .LBB494_649
.LBB494_634:                            ;   in Loop: Header=BB494_602 Depth=2
	s_or_b32 exec_lo, exec_lo, s9
	s_delay_alu instid0(SALU_CYCLE_1)
	s_mov_b32 s9, exec_lo
	v_cmpx_gt_u32_e64 s8, v79
	s_cbranch_execnz .LBB494_650
.LBB494_635:                            ;   in Loop: Header=BB494_602 Depth=2
	s_or_b32 exec_lo, exec_lo, s9
	s_delay_alu instid0(SALU_CYCLE_1)
	s_mov_b32 s9, exec_lo
	v_cmpx_gt_u32_e64 s8, v80
	s_cbranch_execnz .LBB494_651
.LBB494_636:                            ;   in Loop: Header=BB494_602 Depth=2
	s_or_b32 exec_lo, exec_lo, s9
	s_delay_alu instid0(SALU_CYCLE_1)
	s_mov_b32 s9, exec_lo
	v_cmpx_gt_u32_e64 s8, v81
	s_cbranch_execnz .LBB494_652
.LBB494_637:                            ;   in Loop: Header=BB494_602 Depth=2
	s_or_b32 exec_lo, exec_lo, s9
	s_delay_alu instid0(SALU_CYCLE_1)
	s_mov_b32 s9, exec_lo
	v_cmpx_gt_u32_e64 s8, v82
	s_cbranch_execnz .LBB494_653
.LBB494_638:                            ;   in Loop: Header=BB494_602 Depth=2
	s_or_b32 exec_lo, exec_lo, s9
	v_cmp_gt_u32_e32 vcc_lo, s8, v83
	s_and_saveexec_b32 s8, vcc_lo
	s_cbranch_execz .LBB494_601
	s_branch .LBB494_654
.LBB494_639:                            ;   in Loop: Header=BB494_602 Depth=2
	v_xor_b32_e32 v41, 0x7fffffff, v40
	s_delay_alu instid0(VALU_DEP_1) | instskip(NEXT) | instid1(VALU_DEP_1)
	v_lshrrev_b32_e32 v41, s49, v41
	v_and_b32_e32 v41, s48, v41
	s_delay_alu instid0(VALU_DEP_1) | instskip(SKIP_2) | instid1(SALU_CYCLE_1)
	v_lshl_or_b32 v41, v41, 4, v84
	ds_add_u32 v41, v95
	s_or_b32 exec_lo, exec_lo, s9
	s_mov_b32 s9, exec_lo
	v_cmpx_gt_u32_e64 s8, v3
	s_cbranch_execz .LBB494_625
.LBB494_640:                            ;   in Loop: Header=BB494_602 Depth=2
	v_xor_b32_e32 v41, 0x7fffffff, v39
	s_delay_alu instid0(VALU_DEP_1) | instskip(NEXT) | instid1(VALU_DEP_1)
	v_lshrrev_b32_e32 v41, s49, v41
	v_and_b32_e32 v41, s48, v41
	s_delay_alu instid0(VALU_DEP_1) | instskip(SKIP_2) | instid1(SALU_CYCLE_1)
	v_lshl_or_b32 v41, v41, 4, v84
	ds_add_u32 v41, v95
	s_or_b32 exec_lo, exec_lo, s9
	s_mov_b32 s9, exec_lo
	v_cmpx_gt_u32_e64 s8, v70
	s_cbranch_execz .LBB494_626
.LBB494_641:                            ;   in Loop: Header=BB494_602 Depth=2
	v_xor_b32_e32 v41, 0x7fffffff, v38
	s_delay_alu instid0(VALU_DEP_1) | instskip(NEXT) | instid1(VALU_DEP_1)
	v_lshrrev_b32_e32 v41, s49, v41
	v_and_b32_e32 v41, s48, v41
	s_delay_alu instid0(VALU_DEP_1) | instskip(SKIP_2) | instid1(SALU_CYCLE_1)
	v_lshl_or_b32 v41, v41, 4, v84
	ds_add_u32 v41, v95
	s_or_b32 exec_lo, exec_lo, s9
	s_mov_b32 s9, exec_lo
	v_cmpx_gt_u32_e64 s8, v71
	s_cbranch_execz .LBB494_627
.LBB494_642:                            ;   in Loop: Header=BB494_602 Depth=2
	v_xor_b32_e32 v41, 0x7fffffff, v37
	s_delay_alu instid0(VALU_DEP_1) | instskip(NEXT) | instid1(VALU_DEP_1)
	v_lshrrev_b32_e32 v41, s49, v41
	v_and_b32_e32 v41, s48, v41
	s_delay_alu instid0(VALU_DEP_1) | instskip(SKIP_2) | instid1(SALU_CYCLE_1)
	v_lshl_or_b32 v41, v41, 4, v84
	ds_add_u32 v41, v95
	s_or_b32 exec_lo, exec_lo, s9
	s_mov_b32 s9, exec_lo
	v_cmpx_gt_u32_e64 s8, v72
	s_cbranch_execz .LBB494_628
.LBB494_643:                            ;   in Loop: Header=BB494_602 Depth=2
	v_xor_b32_e32 v41, 0x7fffffff, v36
	s_delay_alu instid0(VALU_DEP_1) | instskip(NEXT) | instid1(VALU_DEP_1)
	v_lshrrev_b32_e32 v41, s49, v41
	v_and_b32_e32 v41, s48, v41
	s_delay_alu instid0(VALU_DEP_1) | instskip(SKIP_2) | instid1(SALU_CYCLE_1)
	v_lshl_or_b32 v41, v41, 4, v84
	ds_add_u32 v41, v95
	s_or_b32 exec_lo, exec_lo, s9
	s_mov_b32 s9, exec_lo
	v_cmpx_gt_u32_e64 s8, v73
	s_cbranch_execz .LBB494_629
.LBB494_644:                            ;   in Loop: Header=BB494_602 Depth=2
	v_xor_b32_e32 v41, 0x7fffffff, v35
	s_delay_alu instid0(VALU_DEP_1) | instskip(NEXT) | instid1(VALU_DEP_1)
	v_lshrrev_b32_e32 v41, s49, v41
	v_and_b32_e32 v41, s48, v41
	s_delay_alu instid0(VALU_DEP_1) | instskip(SKIP_2) | instid1(SALU_CYCLE_1)
	v_lshl_or_b32 v41, v41, 4, v84
	ds_add_u32 v41, v95
	s_or_b32 exec_lo, exec_lo, s9
	s_mov_b32 s9, exec_lo
	v_cmpx_gt_u32_e64 s8, v74
	s_cbranch_execz .LBB494_630
.LBB494_645:                            ;   in Loop: Header=BB494_602 Depth=2
	v_xor_b32_e32 v41, 0x7fffffff, v34
	s_delay_alu instid0(VALU_DEP_1) | instskip(NEXT) | instid1(VALU_DEP_1)
	v_lshrrev_b32_e32 v41, s49, v41
	v_and_b32_e32 v41, s48, v41
	s_delay_alu instid0(VALU_DEP_1) | instskip(SKIP_2) | instid1(SALU_CYCLE_1)
	v_lshl_or_b32 v41, v41, 4, v84
	ds_add_u32 v41, v95
	s_or_b32 exec_lo, exec_lo, s9
	s_mov_b32 s9, exec_lo
	v_cmpx_gt_u32_e64 s8, v75
	s_cbranch_execz .LBB494_631
.LBB494_646:                            ;   in Loop: Header=BB494_602 Depth=2
	v_xor_b32_e32 v41, 0x7fffffff, v33
	s_delay_alu instid0(VALU_DEP_1) | instskip(NEXT) | instid1(VALU_DEP_1)
	v_lshrrev_b32_e32 v41, s49, v41
	v_and_b32_e32 v41, s48, v41
	s_delay_alu instid0(VALU_DEP_1) | instskip(SKIP_2) | instid1(SALU_CYCLE_1)
	v_lshl_or_b32 v41, v41, 4, v84
	ds_add_u32 v41, v95
	s_or_b32 exec_lo, exec_lo, s9
	s_mov_b32 s9, exec_lo
	v_cmpx_gt_u32_e64 s8, v76
	s_cbranch_execz .LBB494_632
.LBB494_647:                            ;   in Loop: Header=BB494_602 Depth=2
	v_xor_b32_e32 v41, 0x7fffffff, v32
	s_delay_alu instid0(VALU_DEP_1) | instskip(NEXT) | instid1(VALU_DEP_1)
	v_lshrrev_b32_e32 v41, s49, v41
	v_and_b32_e32 v41, s48, v41
	s_delay_alu instid0(VALU_DEP_1) | instskip(SKIP_2) | instid1(SALU_CYCLE_1)
	v_lshl_or_b32 v41, v41, 4, v84
	ds_add_u32 v41, v95
	s_or_b32 exec_lo, exec_lo, s9
	s_mov_b32 s9, exec_lo
	v_cmpx_gt_u32_e64 s8, v77
	s_cbranch_execz .LBB494_633
.LBB494_648:                            ;   in Loop: Header=BB494_602 Depth=2
	v_xor_b32_e32 v41, 0x7fffffff, v31
	s_delay_alu instid0(VALU_DEP_1) | instskip(NEXT) | instid1(VALU_DEP_1)
	v_lshrrev_b32_e32 v41, s49, v41
	v_and_b32_e32 v41, s48, v41
	s_delay_alu instid0(VALU_DEP_1) | instskip(SKIP_2) | instid1(SALU_CYCLE_1)
	v_lshl_or_b32 v41, v41, 4, v84
	ds_add_u32 v41, v95
	s_or_b32 exec_lo, exec_lo, s9
	s_mov_b32 s9, exec_lo
	v_cmpx_gt_u32_e64 s8, v78
	s_cbranch_execz .LBB494_634
.LBB494_649:                            ;   in Loop: Header=BB494_602 Depth=2
	v_xor_b32_e32 v41, 0x7fffffff, v30
	s_delay_alu instid0(VALU_DEP_1) | instskip(NEXT) | instid1(VALU_DEP_1)
	v_lshrrev_b32_e32 v41, s49, v41
	v_and_b32_e32 v41, s48, v41
	s_delay_alu instid0(VALU_DEP_1) | instskip(SKIP_2) | instid1(SALU_CYCLE_1)
	v_lshl_or_b32 v41, v41, 4, v84
	ds_add_u32 v41, v95
	s_or_b32 exec_lo, exec_lo, s9
	s_mov_b32 s9, exec_lo
	v_cmpx_gt_u32_e64 s8, v79
	s_cbranch_execz .LBB494_635
.LBB494_650:                            ;   in Loop: Header=BB494_602 Depth=2
	v_xor_b32_e32 v41, 0x7fffffff, v29
	s_delay_alu instid0(VALU_DEP_1) | instskip(NEXT) | instid1(VALU_DEP_1)
	v_lshrrev_b32_e32 v41, s49, v41
	v_and_b32_e32 v41, s48, v41
	s_delay_alu instid0(VALU_DEP_1) | instskip(SKIP_2) | instid1(SALU_CYCLE_1)
	v_lshl_or_b32 v41, v41, 4, v84
	ds_add_u32 v41, v95
	s_or_b32 exec_lo, exec_lo, s9
	s_mov_b32 s9, exec_lo
	v_cmpx_gt_u32_e64 s8, v80
	s_cbranch_execz .LBB494_636
.LBB494_651:                            ;   in Loop: Header=BB494_602 Depth=2
	v_xor_b32_e32 v41, 0x7fffffff, v28
	s_delay_alu instid0(VALU_DEP_1) | instskip(NEXT) | instid1(VALU_DEP_1)
	v_lshrrev_b32_e32 v41, s49, v41
	v_and_b32_e32 v41, s48, v41
	s_delay_alu instid0(VALU_DEP_1) | instskip(SKIP_2) | instid1(SALU_CYCLE_1)
	v_lshl_or_b32 v41, v41, 4, v84
	ds_add_u32 v41, v95
	s_or_b32 exec_lo, exec_lo, s9
	s_mov_b32 s9, exec_lo
	v_cmpx_gt_u32_e64 s8, v81
	s_cbranch_execz .LBB494_637
.LBB494_652:                            ;   in Loop: Header=BB494_602 Depth=2
	v_xor_b32_e32 v41, 0x7fffffff, v27
	s_delay_alu instid0(VALU_DEP_1) | instskip(NEXT) | instid1(VALU_DEP_1)
	v_lshrrev_b32_e32 v41, s49, v41
	v_and_b32_e32 v41, s48, v41
	s_delay_alu instid0(VALU_DEP_1) | instskip(SKIP_2) | instid1(SALU_CYCLE_1)
	v_lshl_or_b32 v41, v41, 4, v84
	ds_add_u32 v41, v95
	s_or_b32 exec_lo, exec_lo, s9
	s_mov_b32 s9, exec_lo
	v_cmpx_gt_u32_e64 s8, v82
	s_cbranch_execz .LBB494_638
.LBB494_653:                            ;   in Loop: Header=BB494_602 Depth=2
	v_xor_b32_e32 v41, 0x7fffffff, v26
	s_delay_alu instid0(VALU_DEP_1) | instskip(NEXT) | instid1(VALU_DEP_1)
	v_lshrrev_b32_e32 v41, s49, v41
	v_and_b32_e32 v41, s48, v41
	s_delay_alu instid0(VALU_DEP_1)
	v_lshl_or_b32 v41, v41, 4, v84
	ds_add_u32 v41, v95
	s_or_b32 exec_lo, exec_lo, s9
	v_cmp_gt_u32_e32 vcc_lo, s8, v83
	s_and_saveexec_b32 s8, vcc_lo
	s_cbranch_execz .LBB494_601
.LBB494_654:                            ;   in Loop: Header=BB494_602 Depth=2
	v_xor_b32_e32 v41, 0x7fffffff, v25
	s_delay_alu instid0(VALU_DEP_1) | instskip(NEXT) | instid1(VALU_DEP_1)
	v_lshrrev_b32_e32 v41, s49, v41
	v_and_b32_e32 v41, s48, v41
	s_delay_alu instid0(VALU_DEP_1)
	v_lshl_or_b32 v41, v41, 4, v84
	ds_add_u32 v41, v95
	s_branch .LBB494_601
.LBB494_655:                            ;   in Loop: Header=BB494_602 Depth=2
	global_load_b32 v40, v2, s[8:9] scale_offset
	s_wait_xcnt 0x0
	s_or_b32 exec_lo, exec_lo, s11
	s_delay_alu instid0(SALU_CYCLE_1)
	s_mov_b32 s11, exec_lo
	v_cmpx_gt_u32_e64 s7, v3
	s_cbranch_execz .LBB494_607
.LBB494_656:                            ;   in Loop: Header=BB494_602 Depth=2
	global_load_b32 v39, v2, s[8:9] offset:1024 scale_offset
	s_wait_xcnt 0x0
	s_or_b32 exec_lo, exec_lo, s11
	s_delay_alu instid0(SALU_CYCLE_1)
	s_mov_b32 s11, exec_lo
	v_cmpx_gt_u32_e64 s7, v70
	s_cbranch_execz .LBB494_608
.LBB494_657:                            ;   in Loop: Header=BB494_602 Depth=2
	global_load_b32 v38, v2, s[8:9] offset:2048 scale_offset
	s_wait_xcnt 0x0
	s_or_b32 exec_lo, exec_lo, s11
	s_delay_alu instid0(SALU_CYCLE_1)
	s_mov_b32 s11, exec_lo
	v_cmpx_gt_u32_e64 s7, v71
	s_cbranch_execz .LBB494_609
.LBB494_658:                            ;   in Loop: Header=BB494_602 Depth=2
	global_load_b32 v37, v2, s[8:9] offset:3072 scale_offset
	s_wait_xcnt 0x0
	s_or_b32 exec_lo, exec_lo, s11
	s_delay_alu instid0(SALU_CYCLE_1)
	s_mov_b32 s11, exec_lo
	v_cmpx_gt_u32_e64 s7, v72
	s_cbranch_execz .LBB494_610
.LBB494_659:                            ;   in Loop: Header=BB494_602 Depth=2
	global_load_b32 v36, v2, s[8:9] offset:4096 scale_offset
	s_wait_xcnt 0x0
	s_or_b32 exec_lo, exec_lo, s11
	s_delay_alu instid0(SALU_CYCLE_1)
	s_mov_b32 s11, exec_lo
	v_cmpx_gt_u32_e64 s7, v73
	s_cbranch_execz .LBB494_611
.LBB494_660:                            ;   in Loop: Header=BB494_602 Depth=2
	global_load_b32 v35, v2, s[8:9] offset:5120 scale_offset
	s_wait_xcnt 0x0
	s_or_b32 exec_lo, exec_lo, s11
	s_delay_alu instid0(SALU_CYCLE_1)
	s_mov_b32 s11, exec_lo
	v_cmpx_gt_u32_e64 s7, v74
	s_cbranch_execz .LBB494_612
.LBB494_661:                            ;   in Loop: Header=BB494_602 Depth=2
	global_load_b32 v34, v2, s[8:9] offset:6144 scale_offset
	s_wait_xcnt 0x0
	s_or_b32 exec_lo, exec_lo, s11
	s_delay_alu instid0(SALU_CYCLE_1)
	s_mov_b32 s11, exec_lo
	v_cmpx_gt_u32_e64 s7, v75
	s_cbranch_execz .LBB494_613
.LBB494_662:                            ;   in Loop: Header=BB494_602 Depth=2
	global_load_b32 v33, v2, s[8:9] offset:7168 scale_offset
	s_wait_xcnt 0x0
	s_or_b32 exec_lo, exec_lo, s11
	s_delay_alu instid0(SALU_CYCLE_1)
	s_mov_b32 s11, exec_lo
	v_cmpx_gt_u32_e64 s7, v76
	s_cbranch_execz .LBB494_614
.LBB494_663:                            ;   in Loop: Header=BB494_602 Depth=2
	global_load_b32 v32, v2, s[8:9] offset:8192 scale_offset
	s_wait_xcnt 0x0
	s_or_b32 exec_lo, exec_lo, s11
	s_delay_alu instid0(SALU_CYCLE_1)
	s_mov_b32 s11, exec_lo
	v_cmpx_gt_u32_e64 s7, v77
	s_cbranch_execz .LBB494_615
.LBB494_664:                            ;   in Loop: Header=BB494_602 Depth=2
	global_load_b32 v31, v2, s[8:9] offset:9216 scale_offset
	s_wait_xcnt 0x0
	s_or_b32 exec_lo, exec_lo, s11
	s_delay_alu instid0(SALU_CYCLE_1)
	s_mov_b32 s11, exec_lo
	v_cmpx_gt_u32_e64 s7, v78
	s_cbranch_execz .LBB494_616
.LBB494_665:                            ;   in Loop: Header=BB494_602 Depth=2
	global_load_b32 v30, v2, s[8:9] offset:10240 scale_offset
	s_wait_xcnt 0x0
	s_or_b32 exec_lo, exec_lo, s11
	s_delay_alu instid0(SALU_CYCLE_1)
	s_mov_b32 s11, exec_lo
	v_cmpx_gt_u32_e64 s7, v79
	s_cbranch_execz .LBB494_617
.LBB494_666:                            ;   in Loop: Header=BB494_602 Depth=2
	global_load_b32 v29, v2, s[8:9] offset:11264 scale_offset
	s_wait_xcnt 0x0
	s_or_b32 exec_lo, exec_lo, s11
	s_delay_alu instid0(SALU_CYCLE_1)
	s_mov_b32 s11, exec_lo
	v_cmpx_gt_u32_e64 s7, v80
	s_cbranch_execz .LBB494_618
.LBB494_667:                            ;   in Loop: Header=BB494_602 Depth=2
	global_load_b32 v28, v2, s[8:9] offset:12288 scale_offset
	s_wait_xcnt 0x0
	s_or_b32 exec_lo, exec_lo, s11
	s_delay_alu instid0(SALU_CYCLE_1)
	s_mov_b32 s11, exec_lo
	v_cmpx_gt_u32_e64 s7, v81
	s_cbranch_execz .LBB494_619
.LBB494_668:                            ;   in Loop: Header=BB494_602 Depth=2
	global_load_b32 v27, v2, s[8:9] offset:13312 scale_offset
	s_wait_xcnt 0x0
	s_or_b32 exec_lo, exec_lo, s11
	s_delay_alu instid0(SALU_CYCLE_1)
	s_mov_b32 s11, exec_lo
	v_cmpx_gt_u32_e64 s7, v82
	s_cbranch_execz .LBB494_620
.LBB494_669:                            ;   in Loop: Header=BB494_602 Depth=2
	global_load_b32 v26, v2, s[8:9] offset:14336 scale_offset
	s_wait_xcnt 0x0
	s_or_b32 exec_lo, exec_lo, s11
	s_delay_alu instid0(SALU_CYCLE_1)
	s_mov_b32 s11, exec_lo
	v_cmpx_gt_u32_e64 s7, v83
	s_cbranch_execnz .LBB494_621
	s_branch .LBB494_622
.LBB494_670:                            ;   in Loop: Header=BB494_12 Depth=1
	v_mov_b32_e32 v25, 0
	s_wait_dscnt 0x0
	s_barrier_signal -1
	s_barrier_wait -1
	s_and_saveexec_b32 s7, s0
	s_cbranch_execz .LBB494_672
; %bb.671:                              ;   in Loop: Header=BB494_12 Depth=1
	ds_load_2addr_b64 v[26:29], v86 offset1:1
	s_wait_dscnt 0x0
	v_add_nc_u32_e32 v25, v27, v26
	s_delay_alu instid0(VALU_DEP_1)
	v_add3_u32 v25, v25, v28, v29
.LBB494_672:                            ;   in Loop: Header=BB494_12 Depth=1
	s_or_b32 exec_lo, exec_lo, s7
	s_delay_alu instid0(VALU_DEP_1)
	v_mov_b32_dpp v26, v25 row_shr:1 row_mask:0xf bank_mask:0xf
	v_cmp_eq_u32_e64 s7, 0, v96
	v_cmp_lt_u32_e64 s8, 1, v96
	v_cmp_lt_u32_e64 s9, 3, v96
	;; [unrolled: 1-line block ×3, first 2 shown]
	v_cmp_eq_u32_e64 s11, 0, v98
	v_cndmask_b32_e64 v26, v26, 0, s7
	s_delay_alu instid0(VALU_DEP_1) | instskip(NEXT) | instid1(VALU_DEP_1)
	v_add_nc_u32_e32 v25, v26, v25
	v_mov_b32_dpp v26, v25 row_shr:2 row_mask:0xf bank_mask:0xf
	s_delay_alu instid0(VALU_DEP_1) | instskip(NEXT) | instid1(VALU_DEP_1)
	v_cndmask_b32_e64 v26, 0, v26, s8
	v_add_nc_u32_e32 v25, v25, v26
	s_delay_alu instid0(VALU_DEP_1) | instskip(NEXT) | instid1(VALU_DEP_1)
	v_mov_b32_dpp v26, v25 row_shr:4 row_mask:0xf bank_mask:0xf
	v_cndmask_b32_e64 v26, 0, v26, s9
	s_delay_alu instid0(VALU_DEP_1) | instskip(NEXT) | instid1(VALU_DEP_1)
	v_add_nc_u32_e32 v25, v25, v26
	v_mov_b32_dpp v26, v25 row_shr:8 row_mask:0xf bank_mask:0xf
	s_delay_alu instid0(VALU_DEP_1) | instskip(NEXT) | instid1(VALU_DEP_1)
	v_cndmask_b32_e64 v26, 0, v26, s10
	v_add_nc_u32_e32 v25, v25, v26
	ds_swizzle_b32 v26, v25 offset:swizzle(BROADCAST,32,15)
	s_wait_dscnt 0x0
	v_and_b32_e32 v26, v97, v26
	s_delay_alu instid0(VALU_DEP_1)
	v_add_nc_u32_e32 v25, v25, v26
	s_and_saveexec_b32 s12, s1
; %bb.673:                              ;   in Loop: Header=BB494_12 Depth=1
	ds_store_b32 v87, v25
; %bb.674:                              ;   in Loop: Header=BB494_12 Depth=1
	s_or_b32 exec_lo, exec_lo, s12
	s_wait_dscnt 0x0
	s_barrier_signal -1
	s_barrier_wait -1
	s_and_saveexec_b32 s12, s4
	s_cbranch_execz .LBB494_676
; %bb.675:                              ;   in Loop: Header=BB494_12 Depth=1
	ds_load_b32 v26, v88
	v_cmp_ne_u32_e32 vcc_lo, 0, v100
	s_wait_dscnt 0x0
	v_mov_b32_dpp v27, v26 row_shr:1 row_mask:0xf bank_mask:0xf
	s_delay_alu instid0(VALU_DEP_1) | instskip(SKIP_1) | instid1(VALU_DEP_2)
	v_cndmask_b32_e32 v27, 0, v27, vcc_lo
	v_cmp_lt_u32_e32 vcc_lo, 1, v100
	v_add_nc_u32_e32 v26, v27, v26
	s_delay_alu instid0(VALU_DEP_1) | instskip(NEXT) | instid1(VALU_DEP_1)
	v_mov_b32_dpp v27, v26 row_shr:2 row_mask:0xf bank_mask:0xf
	v_cndmask_b32_e32 v27, 0, v27, vcc_lo
	v_cmp_lt_u32_e32 vcc_lo, 3, v100
	s_delay_alu instid0(VALU_DEP_2) | instskip(NEXT) | instid1(VALU_DEP_1)
	v_add_nc_u32_e32 v26, v26, v27
	v_mov_b32_dpp v27, v26 row_shr:4 row_mask:0xf bank_mask:0xf
	s_delay_alu instid0(VALU_DEP_1) | instskip(NEXT) | instid1(VALU_DEP_1)
	v_cndmask_b32_e32 v27, 0, v27, vcc_lo
	v_add_nc_u32_e32 v26, v26, v27
	ds_store_b32 v88, v26
.LBB494_676:                            ;   in Loop: Header=BB494_12 Depth=1
	s_or_b32 exec_lo, exec_lo, s12
	v_mov_b32_e32 v26, 0
	s_wait_dscnt 0x0
	s_barrier_signal -1
	s_barrier_wait -1
	s_and_saveexec_b32 s12, s5
; %bb.677:                              ;   in Loop: Header=BB494_12 Depth=1
	ds_load_b32 v26, v89
; %bb.678:                              ;   in Loop: Header=BB494_12 Depth=1
	s_or_b32 exec_lo, exec_lo, s12
	v_cmp_gt_i32_e32 vcc_lo, 0, v101
	s_wait_dscnt 0x0
	s_barrier_signal -1
	s_barrier_wait -1
	v_dual_cndmask_b32 v27, v101, v94, vcc_lo :: v_dual_add_nc_u32 v25, v26, v25
	s_delay_alu instid0(VALU_DEP_1)
	v_lshlrev_b32_e32 v120, 2, v27
	ds_bpermute_b32 v25, v120, v25
	s_and_saveexec_b32 s12, s0
	s_cbranch_execz .LBB494_680
; %bb.679:                              ;   in Loop: Header=BB494_12 Depth=1
	s_wait_dscnt 0x0
	v_cndmask_b32_e64 v25, v25, v26, s6
	s_delay_alu instid0(VALU_DEP_1)
	v_add_nc_u32_e32 v25, s52, v25
	ds_store_b32 v4, v25
.LBB494_680:                            ;   in Loop: Header=BB494_12 Depth=1
	s_or_b32 exec_lo, exec_lo, s12
	s_load_b64 s[12:13], s[34:35], 0x0
	s_mov_b32 s55, s54
                                        ; implicit-def: $vgpr32_vgpr33
                                        ; implicit-def: $vgpr34_vgpr35
                                        ; implicit-def: $vgpr36_vgpr37
                                        ; implicit-def: $vgpr38_vgpr39
                                        ; implicit-def: $vgpr40_vgpr41
                                        ; implicit-def: $vgpr42_vgpr43
                                        ; implicit-def: $vgpr44_vgpr45
                                        ; implicit-def: $vgpr46_vgpr47
                                        ; implicit-def: $vgpr48_vgpr49
                                        ; implicit-def: $vgpr50_vgpr51
                                        ; implicit-def: $vgpr52_vgpr53
                                        ; implicit-def: $vgpr54_vgpr55
                                        ; implicit-def: $vgpr56_vgpr57
                                        ; implicit-def: $vgpr58_vgpr59
                                        ; implicit-def: $vgpr60_vgpr61
                                        ; implicit-def: $vgpr121
                                        ; implicit-def: $vgpr122
                                        ; implicit-def: $vgpr123
                                        ; implicit-def: $vgpr124
                                        ; implicit-def: $vgpr125
                                        ; implicit-def: $vgpr126
                                        ; implicit-def: $vgpr127
                                        ; implicit-def: $vgpr128
                                        ; implicit-def: $vgpr129
                                        ; implicit-def: $vgpr130
                                        ; implicit-def: $vgpr131
                                        ; implicit-def: $vgpr132
                                        ; implicit-def: $vgpr133
                                        ; implicit-def: $vgpr134
                                        ; implicit-def: $vgpr135
                                        ; implicit-def: $vgpr136
	s_wait_kmcnt 0x0
	s_cmp_lt_u32 s33, s12
	s_cselect_b32 s30, 12, 18
	s_cmp_lt_u32 s42, s13
	s_mov_b32 s13, s31
	s_cselect_b32 s12, 14, 20
	s_delay_alu instid0(SALU_CYCLE_1)
	s_add_nc_u64 s[12:13], s[34:35], s[12:13]
	s_load_u16 s14, s[12:13], 0x0
	s_wait_xcnt 0x0
	s_add_nc_u64 s[12:13], s[34:35], s[30:31]
	s_mov_b32 s30, s52
	s_load_u16 s12, s[12:13], 0x0
	s_wait_xcnt 0x0
	v_cmp_lt_u32_e64 s13, 1, v100
	s_wait_dscnt 0x0
	s_wait_kmcnt 0x0
	v_mad_u32_u24 v25, v90, s14, v92
	v_cmp_lt_u32_e64 s14, 3, v100
	s_delay_alu instid0(VALU_DEP_2) | instskip(SKIP_2) | instid1(VALU_DEP_3)
	v_mad_u32 v26, v25, s12, v2
	v_mov_b32_e32 v25, v1
	v_cmp_eq_u32_e64 s12, 0, v100
	v_lshrrev_b32_e32 v30, 3, v26
	v_add_nc_u64_e32 v[26:27], v[14:15], v[0:1]
	s_delay_alu instid0(VALU_DEP_4) | instskip(NEXT) | instid1(VALU_DEP_3)
	v_add_nc_u64_e32 v[28:29], v[16:17], v[24:25]
	v_and_b32_e32 v25, 0x1ffffffc, v30
                                        ; implicit-def: $vgpr30_vgpr31
	s_branch .LBB494_682
.LBB494_681:                            ;   in Loop: Header=BB494_682 Depth=2
	s_or_b32 exec_lo, exec_lo, s15
	s_addk_co_i32 s55, 0xf000
	s_cmp_lt_u32 s56, s51
	s_mov_b32 s30, s56
	s_cbranch_scc0 .LBB494_890
.LBB494_682:                            ;   Parent Loop BB494_12 Depth=1
                                        ; =>  This Inner Loop Header: Depth=2
	s_add_co_i32 s56, s30, 0x1000
	s_delay_alu instid0(SALU_CYCLE_1)
	s_cmp_gt_u32 s56, s51
	s_cbranch_scc1 .LBB494_684
; %bb.683:                              ;   in Loop: Header=BB494_682 Depth=2
	s_delay_alu instid0(VALU_DEP_2)
	v_lshl_add_u64 v[62:63], s[30:31], 2, v[28:29]
	s_mov_b32 s15, -1
	s_clause 0xe
	global_load_b32 v139, v[62:63], off
	global_load_b32 v140, v[62:63], off offset:128
	global_load_b32 v143, v[62:63], off offset:256
	;; [unrolled: 1-line block ×14, first 2 shown]
	s_movk_i32 s16, 0x1000
	s_cbranch_execz .LBB494_685
	s_branch .LBB494_716
.LBB494_684:                            ;   in Loop: Header=BB494_682 Depth=2
	s_mov_b32 s15, 0
                                        ; implicit-def: $vgpr139
                                        ; implicit-def: $vgpr140
                                        ; implicit-def: $vgpr143
                                        ; implicit-def: $vgpr147
                                        ; implicit-def: $vgpr151
                                        ; implicit-def: $vgpr155
                                        ; implicit-def: $vgpr159
                                        ; implicit-def: $vgpr163
                                        ; implicit-def: $vgpr166
                                        ; implicit-def: $vgpr69
                                        ; implicit-def: $vgpr68
                                        ; implicit-def: $vgpr67
                                        ; implicit-def: $vgpr66
                                        ; implicit-def: $vgpr65
                                        ; implicit-def: $vgpr64
	s_movk_i32 s16, 0x1000
.LBB494_685:                            ;   in Loop: Header=BB494_682 Depth=2
	s_wait_xcnt 0x0
	v_lshl_add_u64 v[62:63], s[30:31], 2, v[28:29]
	s_wait_loadcnt 0xd
	v_bfrev_b32_e32 v140, 1
	v_bfrev_b32_e32 v139, 1
	s_mov_b32 s15, exec_lo
	v_cmpx_gt_u32_e64 s55, v99
	s_cbranch_execz .LBB494_687
; %bb.686:                              ;   in Loop: Header=BB494_682 Depth=2
	global_load_b32 v139, v[62:63], off
.LBB494_687:                            ;   in Loop: Header=BB494_682 Depth=2
	s_wait_xcnt 0x0
	s_or_b32 exec_lo, exec_lo, s15
	s_delay_alu instid0(SALU_CYCLE_1)
	s_mov_b32 s15, exec_lo
	v_cmpx_gt_u32_e64 s55, v102
	s_cbranch_execz .LBB494_689
; %bb.688:                              ;   in Loop: Header=BB494_682 Depth=2
	global_load_b32 v140, v[62:63], off offset:128
.LBB494_689:                            ;   in Loop: Header=BB494_682 Depth=2
	s_wait_xcnt 0x0
	s_or_b32 exec_lo, exec_lo, s15
	s_wait_loadcnt 0xb
	v_bfrev_b32_e32 v147, 1
	v_bfrev_b32_e32 v143, 1
	s_mov_b32 s15, exec_lo
	v_cmpx_gt_u32_e64 s55, v103
	s_cbranch_execz .LBB494_691
; %bb.690:                              ;   in Loop: Header=BB494_682 Depth=2
	global_load_b32 v143, v[62:63], off offset:256
.LBB494_691:                            ;   in Loop: Header=BB494_682 Depth=2
	s_wait_xcnt 0x0
	s_or_b32 exec_lo, exec_lo, s15
	s_delay_alu instid0(SALU_CYCLE_1)
	s_mov_b32 s15, exec_lo
	v_cmpx_gt_u32_e64 s55, v104
	s_cbranch_execz .LBB494_693
; %bb.692:                              ;   in Loop: Header=BB494_682 Depth=2
	global_load_b32 v147, v[62:63], off offset:384
.LBB494_693:                            ;   in Loop: Header=BB494_682 Depth=2
	s_wait_xcnt 0x0
	s_or_b32 exec_lo, exec_lo, s15
	s_wait_loadcnt 0x9
	v_bfrev_b32_e32 v155, 1
	v_bfrev_b32_e32 v151, 1
	s_mov_b32 s15, exec_lo
	v_cmpx_gt_u32_e64 s55, v105
	s_cbranch_execz .LBB494_695
; %bb.694:                              ;   in Loop: Header=BB494_682 Depth=2
	global_load_b32 v151, v[62:63], off offset:512
.LBB494_695:                            ;   in Loop: Header=BB494_682 Depth=2
	;; [unrolled: 20-line block ×6, first 2 shown]
	s_wait_xcnt 0x0
	s_or_b32 exec_lo, exec_lo, s15
	s_delay_alu instid0(SALU_CYCLE_1)
	s_mov_b32 s15, exec_lo
	v_cmpx_gt_u32_e64 s55, v114
	s_cbranch_execz .LBB494_713
; %bb.712:                              ;   in Loop: Header=BB494_682 Depth=2
	global_load_b32 v65, v[62:63], off offset:1664
.LBB494_713:                            ;   in Loop: Header=BB494_682 Depth=2
	s_wait_xcnt 0x0
	s_or_b32 exec_lo, exec_lo, s15
	s_wait_loadcnt 0x0
	v_bfrev_b32_e32 v64, 1
	s_mov_b32 s15, exec_lo
	v_cmpx_gt_u32_e64 s55, v115
	s_cbranch_execz .LBB494_715
; %bb.714:                              ;   in Loop: Header=BB494_682 Depth=2
	global_load_b32 v64, v[62:63], off offset:1792
.LBB494_715:                            ;   in Loop: Header=BB494_682 Depth=2
	s_wait_xcnt 0x0
	s_or_b32 exec_lo, exec_lo, s15
	v_cmp_gt_u32_e64 s15, s55, v116
	s_sub_co_i32 s16, s51, s30
.LBB494_716:                            ;   in Loop: Header=BB494_682 Depth=2
	v_dual_mov_b32 v138, -1 :: v_dual_mov_b32 v137, s55
	s_wait_xcnt 0x0
	s_and_saveexec_b32 s17, s15
	s_cbranch_execz .LBB494_718
; %bb.717:                              ;   in Loop: Header=BB494_682 Depth=2
	v_lshl_add_u64 v[62:63], s[30:31], 2, v[28:29]
	v_mov_b32_e32 v137, s16
	global_load_b32 v62, v[62:63], off offset:1920
	s_wait_loadcnt 0x0
	v_xor_b32_e32 v138, 0x7fffffff, v62
.LBB494_718:                            ;   in Loop: Header=BB494_682 Depth=2
	s_wait_xcnt 0x0
	s_or_b32 exec_lo, exec_lo, s17
	s_wait_loadcnt 0xe
	v_xor_b32_e32 v139, 0x7fffffff, v139
	ds_store_2addr_b32 v5, v1, v1 offset1:1
	ds_store_2addr_b32 v117, v1, v1 offset1:1
	;; [unrolled: 1-line block ×4, first 2 shown]
	ds_store_b32 v91, v1 offset:1088
	s_wait_loadcnt_dscnt 0x0
	s_barrier_signal -1
	v_lshrrev_b32_e32 v62, s49, v139
	s_barrier_wait -1
	; wave barrier
	s_delay_alu instid0(VALU_DEP_1) | instskip(NEXT) | instid1(VALU_DEP_1)
	v_and_b32_e32 v142, s48, v62
	v_lshlrev_b32_e32 v141, 30, v142
	v_bitop3_b32 v63, v62, 1, s48 bitop3:0x80
	s_delay_alu instid0(VALU_DEP_1) | instskip(NEXT) | instid1(VALU_DEP_1)
	v_add_co_u32 v62, s15, v63, -1
	v_cndmask_b32_e64 v63, 0, 1, s15
	s_delay_alu instid0(VALU_DEP_4) | instskip(NEXT) | instid1(VALU_DEP_2)
	v_cmp_gt_i32_e64 s15, 0, v141
	v_cmp_ne_u32_e32 vcc_lo, 0, v63
	v_not_b32_e32 v63, v141
	s_delay_alu instid0(VALU_DEP_1) | instskip(SKIP_3) | instid1(VALU_DEP_4)
	v_dual_ashrrev_i32 v63, 31, v63 :: v_dual_lshlrev_b32 v144, 29, v142
	v_dual_lshlrev_b32 v145, 28, v142 :: v_dual_lshlrev_b32 v146, 27, v142
	v_dual_lshlrev_b32 v148, 26, v142 :: v_dual_lshlrev_b32 v149, 25, v142
	v_lshlrev_b32_e32 v150, 24, v142
	v_cmp_gt_i32_e64 s16, 0, v144
	v_not_b32_e32 v141, v144
	v_not_b32_e32 v144, v145
	v_cmp_gt_i32_e64 s17, 0, v145
	v_cmp_gt_i32_e64 s18, 0, v146
	v_not_b32_e32 v145, v146
	v_not_b32_e32 v146, v148
	v_dual_ashrrev_i32 v141, 31, v141 :: v_dual_bitop2_b32 v62, vcc_lo, v62 bitop3:0x14
	v_dual_ashrrev_i32 v144, 31, v144 :: v_dual_bitop2_b32 v63, s15, v63 bitop3:0x14
	v_cmp_gt_i32_e64 s19, 0, v148
	v_not_b32_e32 v148, v149
	s_delay_alu instid0(VALU_DEP_3)
	v_dual_ashrrev_i32 v145, 31, v145 :: v_dual_bitop2_b32 v144, s17, v144 bitop3:0x14
	v_dual_ashrrev_i32 v146, 31, v146 :: v_dual_bitop2_b32 v141, s16, v141 bitop3:0x14
	v_bitop3_b32 v62, v62, v63, exec_lo bitop3:0x80
	v_not_b32_e32 v63, v150
	v_cmp_gt_i32_e64 s20, 0, v149
	v_dual_ashrrev_i32 v148, 31, v148 :: v_dual_bitop2_b32 v145, s18, v145 bitop3:0x14
	s_delay_alu instid0(VALU_DEP_4) | instskip(SKIP_2) | instid1(VALU_DEP_4)
	v_bitop3_b32 v62, v62, v144, v141 bitop3:0x80
	v_cmp_gt_i32_e32 vcc_lo, 0, v150
	v_dual_ashrrev_i32 v63, 31, v63 :: v_dual_bitop2_b32 v141, s19, v146 bitop3:0x14
	v_xor_b32_e32 v144, s20, v148
	s_delay_alu instid0(VALU_DEP_2) | instskip(NEXT) | instid1(VALU_DEP_3)
	v_xor_b32_e32 v63, vcc_lo, v63
	v_bitop3_b32 v62, v62, v141, v145 bitop3:0x80
	s_delay_alu instid0(VALU_DEP_1) | instskip(SKIP_1) | instid1(VALU_DEP_2)
	v_bitop3_b32 v62, v62, v63, v144 bitop3:0x80
	v_mul_u32_u24_e32 v63, 36, v142
	v_mbcnt_lo_u32_b32 v141, v62, 0
	v_cmp_ne_u32_e64 s15, 0, v62
	s_delay_alu instid0(VALU_DEP_3) | instskip(NEXT) | instid1(VALU_DEP_3)
	v_add_nc_u32_e32 v142, v25, v63
	v_cmp_eq_u32_e32 vcc_lo, 0, v141
	s_and_b32 s16, s15, vcc_lo
	s_delay_alu instid0(SALU_CYCLE_1)
	s_and_saveexec_b32 s15, s16
; %bb.719:                              ;   in Loop: Header=BB494_682 Depth=2
	v_bcnt_u32_b32 v62, v62, 0
	ds_store_b32 v142, v62 offset:1056
; %bb.720:                              ;   in Loop: Header=BB494_682 Depth=2
	s_or_b32 exec_lo, exec_lo, s15
	v_xor_b32_e32 v140, 0x7fffffff, v140
	; wave barrier
	s_delay_alu instid0(VALU_DEP_1) | instskip(NEXT) | instid1(VALU_DEP_1)
	v_lshrrev_b32_e32 v62, s49, v140
	v_and_b32_e32 v146, s48, v62
	s_delay_alu instid0(VALU_DEP_1) | instskip(SKIP_1) | instid1(VALU_DEP_1)
	v_lshlrev_b32_e32 v144, 30, v146
	v_bitop3_b32 v63, v62, 1, s48 bitop3:0x80
	v_add_co_u32 v62, s15, v63, -1
	s_delay_alu instid0(VALU_DEP_1) | instskip(NEXT) | instid1(VALU_DEP_4)
	v_cndmask_b32_e64 v63, 0, 1, s15
	v_cmp_gt_i32_e64 s15, 0, v144
	s_delay_alu instid0(VALU_DEP_2) | instskip(SKIP_1) | instid1(VALU_DEP_1)
	v_cmp_ne_u32_e32 vcc_lo, 0, v63
	v_not_b32_e32 v63, v144
	v_dual_ashrrev_i32 v63, 31, v63 :: v_dual_lshlrev_b32 v145, 29, v146
	v_dual_lshlrev_b32 v148, 28, v146 :: v_dual_lshlrev_b32 v149, 27, v146
	v_dual_lshlrev_b32 v150, 26, v146 :: v_dual_lshlrev_b32 v152, 25, v146
	v_lshlrev_b32_e32 v153, 24, v146
	s_delay_alu instid0(VALU_DEP_4)
	v_cmp_gt_i32_e64 s16, 0, v145
	v_not_b32_e32 v144, v145
	v_not_b32_e32 v145, v148
	v_cmp_gt_i32_e64 s17, 0, v148
	v_cmp_gt_i32_e64 s18, 0, v149
	v_not_b32_e32 v148, v149
	v_not_b32_e32 v149, v150
	v_dual_ashrrev_i32 v144, 31, v144 :: v_dual_bitop2_b32 v62, vcc_lo, v62 bitop3:0x14
	v_dual_ashrrev_i32 v145, 31, v145 :: v_dual_bitop2_b32 v63, s15, v63 bitop3:0x14
	v_cmp_gt_i32_e64 s19, 0, v150
	s_delay_alu instid0(VALU_DEP_4) | instskip(SKIP_1) | instid1(VALU_DEP_4)
	v_dual_ashrrev_i32 v148, 31, v148 :: v_dual_ashrrev_i32 v149, 31, v149
	v_not_b32_e32 v150, v153
	v_xor_b32_e32 v145, s17, v145
	v_bitop3_b32 v62, v62, v63, exec_lo bitop3:0x80
	v_not_b32_e32 v63, v152
	v_xor_b32_e32 v144, s16, v144
	v_cmp_gt_i32_e64 s20, 0, v152
	v_xor_b32_e32 v148, s18, v148
	s_delay_alu instid0(VALU_DEP_4) | instskip(NEXT) | instid1(VALU_DEP_4)
	v_dual_ashrrev_i32 v63, 31, v63 :: v_dual_bitop2_b32 v149, s19, v149 bitop3:0x14
	v_bitop3_b32 v62, v62, v145, v144 bitop3:0x80
	v_cmp_gt_i32_e32 vcc_lo, 0, v153
	v_ashrrev_i32_e32 v144, 31, v150
	v_mad_u32_u24 v145, v146, 36, v25
	v_xor_b32_e32 v63, s20, v63
	v_bitop3_b32 v62, v62, v149, v148 bitop3:0x80
	s_delay_alu instid0(VALU_DEP_4) | instskip(SKIP_3) | instid1(VALU_DEP_2)
	v_xor_b32_e32 v148, vcc_lo, v144
	ds_load_b32 v144, v145 offset:1056
	; wave barrier
	v_bitop3_b32 v62, v62, v148, v63 bitop3:0x80
	v_mul_u32_u24_e32 v63, 36, v146
	v_mbcnt_lo_u32_b32 v145, v62, 0
	v_cmp_ne_u32_e64 s15, 0, v62
	s_delay_alu instid0(VALU_DEP_3) | instskip(NEXT) | instid1(VALU_DEP_3)
	v_add_nc_u32_e32 v146, v25, v63
	v_cmp_eq_u32_e32 vcc_lo, 0, v145
	s_and_b32 s16, s15, vcc_lo
	s_delay_alu instid0(SALU_CYCLE_1)
	s_and_saveexec_b32 s15, s16
	s_cbranch_execz .LBB494_722
; %bb.721:                              ;   in Loop: Header=BB494_682 Depth=2
	s_wait_dscnt 0x0
	v_bcnt_u32_b32 v62, v62, v144
	ds_store_b32 v146, v62 offset:1056
.LBB494_722:                            ;   in Loop: Header=BB494_682 Depth=2
	s_or_b32 exec_lo, exec_lo, s15
	v_xor_b32_e32 v143, 0x7fffffff, v143
	; wave barrier
	s_delay_alu instid0(VALU_DEP_1) | instskip(NEXT) | instid1(VALU_DEP_1)
	v_lshrrev_b32_e32 v62, s49, v143
	v_and_b32_e32 v150, s48, v62
	s_delay_alu instid0(VALU_DEP_1) | instskip(SKIP_1) | instid1(VALU_DEP_1)
	v_lshlrev_b32_e32 v148, 30, v150
	v_bitop3_b32 v63, v62, 1, s48 bitop3:0x80
	v_add_co_u32 v62, s15, v63, -1
	s_delay_alu instid0(VALU_DEP_1) | instskip(NEXT) | instid1(VALU_DEP_4)
	v_cndmask_b32_e64 v63, 0, 1, s15
	v_cmp_gt_i32_e64 s15, 0, v148
	s_delay_alu instid0(VALU_DEP_2) | instskip(SKIP_1) | instid1(VALU_DEP_1)
	v_cmp_ne_u32_e32 vcc_lo, 0, v63
	v_not_b32_e32 v63, v148
	v_dual_ashrrev_i32 v63, 31, v63 :: v_dual_lshlrev_b32 v149, 29, v150
	v_dual_lshlrev_b32 v152, 28, v150 :: v_dual_lshlrev_b32 v153, 27, v150
	v_dual_lshlrev_b32 v154, 26, v150 :: v_dual_lshlrev_b32 v156, 25, v150
	v_lshlrev_b32_e32 v157, 24, v150
	s_delay_alu instid0(VALU_DEP_4)
	v_cmp_gt_i32_e64 s16, 0, v149
	v_not_b32_e32 v148, v149
	v_not_b32_e32 v149, v152
	v_cmp_gt_i32_e64 s17, 0, v152
	v_cmp_gt_i32_e64 s18, 0, v153
	v_not_b32_e32 v152, v153
	v_not_b32_e32 v153, v154
	v_dual_ashrrev_i32 v148, 31, v148 :: v_dual_bitop2_b32 v62, vcc_lo, v62 bitop3:0x14
	v_dual_ashrrev_i32 v149, 31, v149 :: v_dual_bitop2_b32 v63, s15, v63 bitop3:0x14
	v_cmp_gt_i32_e64 s19, 0, v154
	s_delay_alu instid0(VALU_DEP_4) | instskip(SKIP_1) | instid1(VALU_DEP_4)
	v_dual_ashrrev_i32 v152, 31, v152 :: v_dual_ashrrev_i32 v153, 31, v153
	v_not_b32_e32 v154, v157
	v_xor_b32_e32 v149, s17, v149
	v_bitop3_b32 v62, v62, v63, exec_lo bitop3:0x80
	v_not_b32_e32 v63, v156
	v_xor_b32_e32 v148, s16, v148
	v_cmp_gt_i32_e64 s20, 0, v156
	v_xor_b32_e32 v152, s18, v152
	s_delay_alu instid0(VALU_DEP_4) | instskip(NEXT) | instid1(VALU_DEP_4)
	v_dual_ashrrev_i32 v63, 31, v63 :: v_dual_bitop2_b32 v153, s19, v153 bitop3:0x14
	v_bitop3_b32 v62, v62, v149, v148 bitop3:0x80
	v_cmp_gt_i32_e32 vcc_lo, 0, v157
	v_ashrrev_i32_e32 v148, 31, v154
	v_mad_u32_u24 v149, v150, 36, v25
	v_xor_b32_e32 v63, s20, v63
	v_bitop3_b32 v62, v62, v153, v152 bitop3:0x80
	s_delay_alu instid0(VALU_DEP_4) | instskip(SKIP_3) | instid1(VALU_DEP_2)
	v_xor_b32_e32 v152, vcc_lo, v148
	ds_load_b32 v148, v149 offset:1056
	; wave barrier
	v_bitop3_b32 v62, v62, v152, v63 bitop3:0x80
	v_mul_u32_u24_e32 v63, 36, v150
	v_mbcnt_lo_u32_b32 v149, v62, 0
	v_cmp_ne_u32_e64 s15, 0, v62
	s_delay_alu instid0(VALU_DEP_3) | instskip(NEXT) | instid1(VALU_DEP_3)
	v_add_nc_u32_e32 v150, v25, v63
	v_cmp_eq_u32_e32 vcc_lo, 0, v149
	s_and_b32 s16, s15, vcc_lo
	s_delay_alu instid0(SALU_CYCLE_1)
	s_and_saveexec_b32 s15, s16
	s_cbranch_execz .LBB494_724
; %bb.723:                              ;   in Loop: Header=BB494_682 Depth=2
	s_wait_dscnt 0x0
	v_bcnt_u32_b32 v62, v62, v148
	ds_store_b32 v150, v62 offset:1056
.LBB494_724:                            ;   in Loop: Header=BB494_682 Depth=2
	s_or_b32 exec_lo, exec_lo, s15
	v_xor_b32_e32 v147, 0x7fffffff, v147
	; wave barrier
	s_delay_alu instid0(VALU_DEP_1) | instskip(NEXT) | instid1(VALU_DEP_1)
	v_lshrrev_b32_e32 v62, s49, v147
	v_and_b32_e32 v154, s48, v62
	s_delay_alu instid0(VALU_DEP_1) | instskip(SKIP_1) | instid1(VALU_DEP_1)
	v_lshlrev_b32_e32 v152, 30, v154
	v_bitop3_b32 v63, v62, 1, s48 bitop3:0x80
	v_add_co_u32 v62, s15, v63, -1
	s_delay_alu instid0(VALU_DEP_1) | instskip(NEXT) | instid1(VALU_DEP_4)
	v_cndmask_b32_e64 v63, 0, 1, s15
	v_cmp_gt_i32_e64 s15, 0, v152
	s_delay_alu instid0(VALU_DEP_2) | instskip(SKIP_1) | instid1(VALU_DEP_1)
	v_cmp_ne_u32_e32 vcc_lo, 0, v63
	v_not_b32_e32 v63, v152
	v_dual_ashrrev_i32 v63, 31, v63 :: v_dual_lshlrev_b32 v153, 29, v154
	v_dual_lshlrev_b32 v156, 28, v154 :: v_dual_lshlrev_b32 v157, 27, v154
	v_dual_lshlrev_b32 v158, 26, v154 :: v_dual_lshlrev_b32 v160, 25, v154
	v_lshlrev_b32_e32 v161, 24, v154
	s_delay_alu instid0(VALU_DEP_4)
	v_cmp_gt_i32_e64 s16, 0, v153
	v_not_b32_e32 v152, v153
	v_not_b32_e32 v153, v156
	v_cmp_gt_i32_e64 s17, 0, v156
	v_cmp_gt_i32_e64 s18, 0, v157
	v_not_b32_e32 v156, v157
	v_not_b32_e32 v157, v158
	v_dual_ashrrev_i32 v152, 31, v152 :: v_dual_bitop2_b32 v62, vcc_lo, v62 bitop3:0x14
	v_dual_ashrrev_i32 v153, 31, v153 :: v_dual_bitop2_b32 v63, s15, v63 bitop3:0x14
	v_cmp_gt_i32_e64 s19, 0, v158
	s_delay_alu instid0(VALU_DEP_4) | instskip(SKIP_1) | instid1(VALU_DEP_4)
	v_dual_ashrrev_i32 v156, 31, v156 :: v_dual_ashrrev_i32 v157, 31, v157
	v_not_b32_e32 v158, v161
	v_xor_b32_e32 v153, s17, v153
	v_bitop3_b32 v62, v62, v63, exec_lo bitop3:0x80
	v_not_b32_e32 v63, v160
	v_xor_b32_e32 v152, s16, v152
	v_cmp_gt_i32_e64 s20, 0, v160
	v_xor_b32_e32 v156, s18, v156
	s_delay_alu instid0(VALU_DEP_4) | instskip(NEXT) | instid1(VALU_DEP_4)
	v_dual_ashrrev_i32 v63, 31, v63 :: v_dual_bitop2_b32 v157, s19, v157 bitop3:0x14
	v_bitop3_b32 v62, v62, v153, v152 bitop3:0x80
	v_cmp_gt_i32_e32 vcc_lo, 0, v161
	v_ashrrev_i32_e32 v152, 31, v158
	v_mad_u32_u24 v153, v154, 36, v25
	v_xor_b32_e32 v63, s20, v63
	v_bitop3_b32 v62, v62, v157, v156 bitop3:0x80
	s_delay_alu instid0(VALU_DEP_4) | instskip(SKIP_3) | instid1(VALU_DEP_2)
	v_xor_b32_e32 v156, vcc_lo, v152
	ds_load_b32 v152, v153 offset:1056
	; wave barrier
	v_bitop3_b32 v62, v62, v156, v63 bitop3:0x80
	v_mul_u32_u24_e32 v63, 36, v154
	v_mbcnt_lo_u32_b32 v153, v62, 0
	v_cmp_ne_u32_e64 s15, 0, v62
	s_delay_alu instid0(VALU_DEP_3) | instskip(NEXT) | instid1(VALU_DEP_3)
	v_add_nc_u32_e32 v154, v25, v63
	v_cmp_eq_u32_e32 vcc_lo, 0, v153
	s_and_b32 s16, s15, vcc_lo
	s_delay_alu instid0(SALU_CYCLE_1)
	s_and_saveexec_b32 s15, s16
	s_cbranch_execz .LBB494_726
; %bb.725:                              ;   in Loop: Header=BB494_682 Depth=2
	s_wait_dscnt 0x0
	v_bcnt_u32_b32 v62, v62, v152
	ds_store_b32 v154, v62 offset:1056
.LBB494_726:                            ;   in Loop: Header=BB494_682 Depth=2
	s_or_b32 exec_lo, exec_lo, s15
	v_xor_b32_e32 v151, 0x7fffffff, v151
	; wave barrier
	s_delay_alu instid0(VALU_DEP_1) | instskip(NEXT) | instid1(VALU_DEP_1)
	v_lshrrev_b32_e32 v62, s49, v151
	v_and_b32_e32 v158, s48, v62
	s_delay_alu instid0(VALU_DEP_1) | instskip(SKIP_1) | instid1(VALU_DEP_1)
	v_lshlrev_b32_e32 v156, 30, v158
	v_bitop3_b32 v63, v62, 1, s48 bitop3:0x80
	v_add_co_u32 v62, s15, v63, -1
	s_delay_alu instid0(VALU_DEP_1) | instskip(NEXT) | instid1(VALU_DEP_4)
	v_cndmask_b32_e64 v63, 0, 1, s15
	v_cmp_gt_i32_e64 s15, 0, v156
	s_delay_alu instid0(VALU_DEP_2) | instskip(SKIP_1) | instid1(VALU_DEP_1)
	v_cmp_ne_u32_e32 vcc_lo, 0, v63
	v_not_b32_e32 v63, v156
	v_dual_ashrrev_i32 v63, 31, v63 :: v_dual_lshlrev_b32 v157, 29, v158
	v_dual_lshlrev_b32 v160, 28, v158 :: v_dual_lshlrev_b32 v161, 27, v158
	v_dual_lshlrev_b32 v162, 26, v158 :: v_dual_lshlrev_b32 v164, 25, v158
	v_lshlrev_b32_e32 v165, 24, v158
	s_delay_alu instid0(VALU_DEP_4)
	v_cmp_gt_i32_e64 s16, 0, v157
	v_not_b32_e32 v156, v157
	v_not_b32_e32 v157, v160
	v_cmp_gt_i32_e64 s17, 0, v160
	v_cmp_gt_i32_e64 s18, 0, v161
	v_not_b32_e32 v160, v161
	v_not_b32_e32 v161, v162
	v_dual_ashrrev_i32 v156, 31, v156 :: v_dual_bitop2_b32 v62, vcc_lo, v62 bitop3:0x14
	v_dual_ashrrev_i32 v157, 31, v157 :: v_dual_bitop2_b32 v63, s15, v63 bitop3:0x14
	v_cmp_gt_i32_e64 s19, 0, v162
	s_delay_alu instid0(VALU_DEP_4) | instskip(SKIP_1) | instid1(VALU_DEP_4)
	v_dual_ashrrev_i32 v160, 31, v160 :: v_dual_ashrrev_i32 v161, 31, v161
	v_not_b32_e32 v162, v165
	v_xor_b32_e32 v157, s17, v157
	v_bitop3_b32 v62, v62, v63, exec_lo bitop3:0x80
	v_not_b32_e32 v63, v164
	v_xor_b32_e32 v156, s16, v156
	v_cmp_gt_i32_e64 s20, 0, v164
	v_xor_b32_e32 v160, s18, v160
	s_delay_alu instid0(VALU_DEP_4) | instskip(NEXT) | instid1(VALU_DEP_4)
	v_dual_ashrrev_i32 v63, 31, v63 :: v_dual_bitop2_b32 v161, s19, v161 bitop3:0x14
	v_bitop3_b32 v62, v62, v157, v156 bitop3:0x80
	v_cmp_gt_i32_e32 vcc_lo, 0, v165
	v_ashrrev_i32_e32 v156, 31, v162
	v_mad_u32_u24 v157, v158, 36, v25
	v_xor_b32_e32 v63, s20, v63
	v_bitop3_b32 v62, v62, v161, v160 bitop3:0x80
	s_delay_alu instid0(VALU_DEP_4) | instskip(SKIP_3) | instid1(VALU_DEP_2)
	v_xor_b32_e32 v160, vcc_lo, v156
	ds_load_b32 v156, v157 offset:1056
	; wave barrier
	v_bitop3_b32 v62, v62, v160, v63 bitop3:0x80
	v_mul_u32_u24_e32 v63, 36, v158
	v_mbcnt_lo_u32_b32 v157, v62, 0
	v_cmp_ne_u32_e64 s15, 0, v62
	s_delay_alu instid0(VALU_DEP_3) | instskip(NEXT) | instid1(VALU_DEP_3)
	v_add_nc_u32_e32 v158, v25, v63
	v_cmp_eq_u32_e32 vcc_lo, 0, v157
	s_and_b32 s16, s15, vcc_lo
	s_delay_alu instid0(SALU_CYCLE_1)
	s_and_saveexec_b32 s15, s16
	s_cbranch_execz .LBB494_728
; %bb.727:                              ;   in Loop: Header=BB494_682 Depth=2
	s_wait_dscnt 0x0
	v_bcnt_u32_b32 v62, v62, v156
	ds_store_b32 v158, v62 offset:1056
.LBB494_728:                            ;   in Loop: Header=BB494_682 Depth=2
	s_or_b32 exec_lo, exec_lo, s15
	v_xor_b32_e32 v155, 0x7fffffff, v155
	; wave barrier
	s_delay_alu instid0(VALU_DEP_1) | instskip(NEXT) | instid1(VALU_DEP_1)
	v_lshrrev_b32_e32 v62, s49, v155
	v_and_b32_e32 v162, s48, v62
	s_delay_alu instid0(VALU_DEP_1) | instskip(SKIP_1) | instid1(VALU_DEP_1)
	v_lshlrev_b32_e32 v160, 30, v162
	v_bitop3_b32 v63, v62, 1, s48 bitop3:0x80
	v_add_co_u32 v62, s15, v63, -1
	s_delay_alu instid0(VALU_DEP_1) | instskip(NEXT) | instid1(VALU_DEP_4)
	v_cndmask_b32_e64 v63, 0, 1, s15
	v_cmp_gt_i32_e64 s15, 0, v160
	s_delay_alu instid0(VALU_DEP_2) | instskip(SKIP_1) | instid1(VALU_DEP_1)
	v_cmp_ne_u32_e32 vcc_lo, 0, v63
	v_not_b32_e32 v63, v160
	v_dual_ashrrev_i32 v63, 31, v63 :: v_dual_lshlrev_b32 v161, 29, v162
	v_dual_lshlrev_b32 v164, 28, v162 :: v_dual_lshlrev_b32 v165, 27, v162
	v_dual_lshlrev_b32 v167, 26, v162 :: v_dual_lshlrev_b32 v168, 25, v162
	v_lshlrev_b32_e32 v169, 24, v162
	s_delay_alu instid0(VALU_DEP_4)
	v_cmp_gt_i32_e64 s16, 0, v161
	v_not_b32_e32 v160, v161
	v_not_b32_e32 v161, v164
	v_cmp_gt_i32_e64 s17, 0, v164
	v_cmp_gt_i32_e64 s18, 0, v165
	v_not_b32_e32 v164, v165
	v_not_b32_e32 v165, v167
	v_dual_ashrrev_i32 v160, 31, v160 :: v_dual_bitop2_b32 v62, vcc_lo, v62 bitop3:0x14
	v_dual_ashrrev_i32 v161, 31, v161 :: v_dual_bitop2_b32 v63, s15, v63 bitop3:0x14
	v_cmp_gt_i32_e64 s19, 0, v167
	s_delay_alu instid0(VALU_DEP_4) | instskip(SKIP_1) | instid1(VALU_DEP_4)
	v_dual_ashrrev_i32 v164, 31, v164 :: v_dual_ashrrev_i32 v165, 31, v165
	v_not_b32_e32 v167, v169
	v_xor_b32_e32 v161, s17, v161
	v_bitop3_b32 v62, v62, v63, exec_lo bitop3:0x80
	v_not_b32_e32 v63, v168
	v_xor_b32_e32 v160, s16, v160
	v_cmp_gt_i32_e64 s20, 0, v168
	v_xor_b32_e32 v164, s18, v164
	s_delay_alu instid0(VALU_DEP_4) | instskip(NEXT) | instid1(VALU_DEP_4)
	v_dual_ashrrev_i32 v63, 31, v63 :: v_dual_bitop2_b32 v165, s19, v165 bitop3:0x14
	v_bitop3_b32 v62, v62, v161, v160 bitop3:0x80
	v_cmp_gt_i32_e32 vcc_lo, 0, v169
	v_ashrrev_i32_e32 v160, 31, v167
	v_mad_u32_u24 v161, v162, 36, v25
	v_xor_b32_e32 v63, s20, v63
	v_bitop3_b32 v62, v62, v165, v164 bitop3:0x80
	s_delay_alu instid0(VALU_DEP_4) | instskip(SKIP_3) | instid1(VALU_DEP_2)
	v_xor_b32_e32 v164, vcc_lo, v160
	ds_load_b32 v160, v161 offset:1056
	; wave barrier
	v_bitop3_b32 v62, v62, v164, v63 bitop3:0x80
	v_mul_u32_u24_e32 v63, 36, v162
	v_mbcnt_lo_u32_b32 v161, v62, 0
	v_cmp_ne_u32_e64 s15, 0, v62
	s_delay_alu instid0(VALU_DEP_3) | instskip(NEXT) | instid1(VALU_DEP_3)
	v_add_nc_u32_e32 v162, v25, v63
	v_cmp_eq_u32_e32 vcc_lo, 0, v161
	s_and_b32 s16, s15, vcc_lo
	s_delay_alu instid0(SALU_CYCLE_1)
	s_and_saveexec_b32 s15, s16
	s_cbranch_execz .LBB494_730
; %bb.729:                              ;   in Loop: Header=BB494_682 Depth=2
	s_wait_dscnt 0x0
	v_bcnt_u32_b32 v62, v62, v160
	ds_store_b32 v162, v62 offset:1056
.LBB494_730:                            ;   in Loop: Header=BB494_682 Depth=2
	s_or_b32 exec_lo, exec_lo, s15
	v_xor_b32_e32 v159, 0x7fffffff, v159
	; wave barrier
	s_delay_alu instid0(VALU_DEP_1) | instskip(NEXT) | instid1(VALU_DEP_1)
	v_lshrrev_b32_e32 v62, s49, v159
	v_bitop3_b32 v63, v62, 1, s48 bitop3:0x80
	v_and_b32_e32 v167, s48, v62
	s_delay_alu instid0(VALU_DEP_2) | instskip(NEXT) | instid1(VALU_DEP_1)
	v_add_co_u32 v62, s15, v63, -1
	v_cndmask_b32_e64 v63, 0, 1, s15
	s_delay_alu instid0(VALU_DEP_3) | instskip(NEXT) | instid1(VALU_DEP_2)
	v_lshlrev_b32_e32 v164, 30, v167
	v_cmp_ne_u32_e32 vcc_lo, 0, v63
	s_delay_alu instid0(VALU_DEP_2) | instskip(NEXT) | instid1(VALU_DEP_1)
	v_not_b32_e32 v63, v164
	v_dual_ashrrev_i32 v63, 31, v63 :: v_dual_bitop2_b32 v62, vcc_lo, v62 bitop3:0x14
	v_dual_lshlrev_b32 v165, 29, v167 :: v_dual_lshlrev_b32 v168, 28, v167
	v_dual_lshlrev_b32 v169, 27, v167 :: v_dual_lshlrev_b32 v170, 26, v167
	v_lshlrev_b32_e32 v171, 25, v167
	v_cmp_gt_i32_e64 s15, 0, v164
	s_delay_alu instid0(VALU_DEP_4)
	v_cmp_gt_i32_e64 s16, 0, v165
	v_not_b32_e32 v164, v165
	v_not_b32_e32 v165, v168
	v_lshlrev_b32_e32 v172, 24, v167
	v_cmp_gt_i32_e64 s17, 0, v168
	v_cmp_gt_i32_e64 s18, 0, v169
	v_not_b32_e32 v168, v169
	v_not_b32_e32 v169, v170
	v_dual_ashrrev_i32 v164, 31, v164 :: v_dual_ashrrev_i32 v165, 31, v165
	v_xor_b32_e32 v63, s15, v63
	v_cmp_gt_i32_e64 s19, 0, v170
	s_delay_alu instid0(VALU_DEP_4)
	v_dual_ashrrev_i32 v168, 31, v168 :: v_dual_ashrrev_i32 v169, 31, v169
	v_not_b32_e32 v170, v172
	v_xor_b32_e32 v165, s17, v165
	v_bitop3_b32 v62, v62, v63, exec_lo bitop3:0x80
	v_not_b32_e32 v63, v171
	v_xor_b32_e32 v164, s16, v164
	v_cmp_gt_i32_e64 s20, 0, v171
	v_xor_b32_e32 v168, s18, v168
	s_delay_alu instid0(VALU_DEP_4) | instskip(NEXT) | instid1(VALU_DEP_4)
	v_dual_ashrrev_i32 v63, 31, v63 :: v_dual_bitop2_b32 v169, s19, v169 bitop3:0x14
	v_bitop3_b32 v62, v62, v165, v164 bitop3:0x80
	v_cmp_gt_i32_e32 vcc_lo, 0, v172
	v_ashrrev_i32_e32 v164, 31, v170
	v_mad_u32_u24 v165, v167, 36, v25
	v_xor_b32_e32 v63, s20, v63
	v_bitop3_b32 v62, v62, v169, v168 bitop3:0x80
	s_delay_alu instid0(VALU_DEP_4) | instskip(SKIP_3) | instid1(VALU_DEP_2)
	v_xor_b32_e32 v168, vcc_lo, v164
	ds_load_b32 v164, v165 offset:1056
	; wave barrier
	v_bitop3_b32 v62, v62, v168, v63 bitop3:0x80
	v_mul_u32_u24_e32 v63, 36, v167
	v_mbcnt_lo_u32_b32 v165, v62, 0
	v_cmp_ne_u32_e64 s15, 0, v62
	s_delay_alu instid0(VALU_DEP_3) | instskip(NEXT) | instid1(VALU_DEP_3)
	v_add_nc_u32_e32 v167, v25, v63
	v_cmp_eq_u32_e32 vcc_lo, 0, v165
	s_and_b32 s16, s15, vcc_lo
	s_delay_alu instid0(SALU_CYCLE_1)
	s_and_saveexec_b32 s15, s16
	s_cbranch_execz .LBB494_732
; %bb.731:                              ;   in Loop: Header=BB494_682 Depth=2
	s_wait_dscnt 0x0
	v_bcnt_u32_b32 v62, v62, v164
	ds_store_b32 v167, v62 offset:1056
.LBB494_732:                            ;   in Loop: Header=BB494_682 Depth=2
	s_or_b32 exec_lo, exec_lo, s15
	v_xor_b32_e32 v163, 0x7fffffff, v163
	; wave barrier
	s_delay_alu instid0(VALU_DEP_1) | instskip(NEXT) | instid1(VALU_DEP_1)
	v_lshrrev_b32_e32 v62, s49, v163
	v_and_b32_e32 v170, s48, v62
	s_delay_alu instid0(VALU_DEP_1) | instskip(SKIP_1) | instid1(VALU_DEP_1)
	v_lshlrev_b32_e32 v168, 30, v170
	v_bitop3_b32 v63, v62, 1, s48 bitop3:0x80
	v_add_co_u32 v62, s15, v63, -1
	s_delay_alu instid0(VALU_DEP_1) | instskip(NEXT) | instid1(VALU_DEP_4)
	v_cndmask_b32_e64 v63, 0, 1, s15
	v_cmp_gt_i32_e64 s15, 0, v168
	s_delay_alu instid0(VALU_DEP_2) | instskip(SKIP_1) | instid1(VALU_DEP_1)
	v_cmp_ne_u32_e32 vcc_lo, 0, v63
	v_not_b32_e32 v63, v168
	v_dual_ashrrev_i32 v63, 31, v63 :: v_dual_lshlrev_b32 v169, 29, v170
	v_dual_lshlrev_b32 v171, 28, v170 :: v_dual_lshlrev_b32 v172, 27, v170
	v_dual_lshlrev_b32 v173, 26, v170 :: v_dual_lshlrev_b32 v174, 25, v170
	v_lshlrev_b32_e32 v175, 24, v170
	s_delay_alu instid0(VALU_DEP_4)
	v_cmp_gt_i32_e64 s16, 0, v169
	v_not_b32_e32 v168, v169
	v_not_b32_e32 v169, v171
	v_cmp_gt_i32_e64 s17, 0, v171
	v_cmp_gt_i32_e64 s18, 0, v172
	v_not_b32_e32 v171, v172
	v_not_b32_e32 v172, v173
	v_dual_ashrrev_i32 v168, 31, v168 :: v_dual_bitop2_b32 v62, vcc_lo, v62 bitop3:0x14
	v_dual_ashrrev_i32 v169, 31, v169 :: v_dual_bitop2_b32 v63, s15, v63 bitop3:0x14
	v_cmp_gt_i32_e64 s19, 0, v173
	s_delay_alu instid0(VALU_DEP_4) | instskip(NEXT) | instid1(VALU_DEP_3)
	v_dual_ashrrev_i32 v171, 31, v171 :: v_dual_ashrrev_i32 v172, 31, v172
	v_xor_b32_e32 v169, s17, v169
	s_delay_alu instid0(VALU_DEP_4)
	v_bitop3_b32 v62, v62, v63, exec_lo bitop3:0x80
	v_not_b32_e32 v63, v174
	v_xor_b32_e32 v168, s16, v168
	v_not_b32_e32 v173, v175
	v_cmp_gt_i32_e64 s20, 0, v174
	v_xor_b32_e32 v171, s18, v171
	v_dual_ashrrev_i32 v63, 31, v63 :: v_dual_bitop2_b32 v172, s19, v172 bitop3:0x14
	v_bitop3_b32 v62, v62, v169, v168 bitop3:0x80
	v_cmp_gt_i32_e32 vcc_lo, 0, v175
	v_ashrrev_i32_e32 v168, 31, v173
	v_mad_u32_u24 v169, v170, 36, v25
	v_xor_b32_e32 v63, s20, v63
	v_bitop3_b32 v62, v62, v172, v171 bitop3:0x80
	s_delay_alu instid0(VALU_DEP_4) | instskip(SKIP_3) | instid1(VALU_DEP_2)
	v_xor_b32_e32 v171, vcc_lo, v168
	ds_load_b32 v168, v169 offset:1056
	; wave barrier
	v_bitop3_b32 v62, v62, v171, v63 bitop3:0x80
	v_mul_u32_u24_e32 v63, 36, v170
	v_mbcnt_lo_u32_b32 v169, v62, 0
	v_cmp_ne_u32_e64 s15, 0, v62
	s_delay_alu instid0(VALU_DEP_3) | instskip(NEXT) | instid1(VALU_DEP_3)
	v_add_nc_u32_e32 v170, v25, v63
	v_cmp_eq_u32_e32 vcc_lo, 0, v169
	s_and_b32 s16, s15, vcc_lo
	s_delay_alu instid0(SALU_CYCLE_1)
	s_and_saveexec_b32 s15, s16
	s_cbranch_execz .LBB494_734
; %bb.733:                              ;   in Loop: Header=BB494_682 Depth=2
	s_wait_dscnt 0x0
	v_bcnt_u32_b32 v62, v62, v168
	ds_store_b32 v170, v62 offset:1056
.LBB494_734:                            ;   in Loop: Header=BB494_682 Depth=2
	s_or_b32 exec_lo, exec_lo, s15
	v_xor_b32_e32 v166, 0x7fffffff, v166
	; wave barrier
	s_delay_alu instid0(VALU_DEP_1) | instskip(NEXT) | instid1(VALU_DEP_1)
	v_lshrrev_b32_e32 v62, s49, v166
	v_and_b32_e32 v171, s48, v62
	s_delay_alu instid0(VALU_DEP_1) | instskip(SKIP_1) | instid1(VALU_DEP_1)
	v_lshlrev_b32_e32 v172, 30, v171
	v_bitop3_b32 v63, v62, 1, s48 bitop3:0x80
	v_add_co_u32 v62, s15, v63, -1
	s_delay_alu instid0(VALU_DEP_1) | instskip(NEXT) | instid1(VALU_DEP_4)
	v_cndmask_b32_e64 v63, 0, 1, s15
	v_cmp_gt_i32_e64 s15, 0, v172
	s_delay_alu instid0(VALU_DEP_2) | instskip(SKIP_1) | instid1(VALU_DEP_1)
	v_cmp_ne_u32_e32 vcc_lo, 0, v63
	v_not_b32_e32 v63, v172
	v_ashrrev_i32_e32 v63, 31, v63
	v_dual_lshlrev_b32 v173, 29, v171 :: v_dual_lshlrev_b32 v174, 28, v171
	v_dual_lshlrev_b32 v175, 27, v171 :: v_dual_lshlrev_b32 v176, 26, v171
	;; [unrolled: 1-line block ×3, first 2 shown]
	s_delay_alu instid0(VALU_DEP_3)
	v_cmp_gt_i32_e64 s16, 0, v173
	v_not_b32_e32 v172, v173
	v_not_b32_e32 v173, v174
	v_cmp_gt_i32_e64 s17, 0, v174
	v_cmp_gt_i32_e64 s18, 0, v175
	v_not_b32_e32 v174, v175
	v_not_b32_e32 v175, v176
	v_dual_ashrrev_i32 v172, 31, v172 :: v_dual_bitop2_b32 v62, vcc_lo, v62 bitop3:0x14
	v_dual_ashrrev_i32 v173, 31, v173 :: v_dual_bitop2_b32 v63, s15, v63 bitop3:0x14
	v_cmp_gt_i32_e64 s19, 0, v176
	s_delay_alu instid0(VALU_DEP_4) | instskip(SKIP_1) | instid1(VALU_DEP_4)
	v_dual_ashrrev_i32 v174, 31, v174 :: v_dual_ashrrev_i32 v175, 31, v175
	v_not_b32_e32 v176, v178
	v_xor_b32_e32 v173, s17, v173
	v_bitop3_b32 v62, v62, v63, exec_lo bitop3:0x80
	v_not_b32_e32 v63, v177
	v_xor_b32_e32 v172, s16, v172
	v_cmp_gt_i32_e64 s20, 0, v177
	v_xor_b32_e32 v174, s18, v174
	v_xor_b32_e32 v175, s19, v175
	v_ashrrev_i32_e32 v63, 31, v63
	v_bitop3_b32 v62, v62, v173, v172 bitop3:0x80
	v_cmp_gt_i32_e32 vcc_lo, 0, v178
	v_ashrrev_i32_e32 v172, 31, v176
	v_mad_u32_u24 v173, v171, 36, v25
	v_xor_b32_e32 v63, s20, v63
	v_bitop3_b32 v62, v62, v175, v174 bitop3:0x80
	s_delay_alu instid0(VALU_DEP_4) | instskip(SKIP_3) | instid1(VALU_DEP_2)
	v_xor_b32_e32 v174, vcc_lo, v172
	ds_load_b32 v172, v173 offset:1056
	; wave barrier
	v_bitop3_b32 v62, v62, v174, v63 bitop3:0x80
	v_mul_u32_u24_e32 v63, 36, v171
	v_mbcnt_lo_u32_b32 v173, v62, 0
	v_cmp_ne_u32_e64 s15, 0, v62
	s_delay_alu instid0(VALU_DEP_3) | instskip(NEXT) | instid1(VALU_DEP_3)
	v_add_nc_u32_e32 v174, v25, v63
	v_cmp_eq_u32_e32 vcc_lo, 0, v173
	s_and_b32 s16, s15, vcc_lo
	s_delay_alu instid0(SALU_CYCLE_1)
	s_and_saveexec_b32 s15, s16
	s_cbranch_execz .LBB494_736
; %bb.735:                              ;   in Loop: Header=BB494_682 Depth=2
	s_wait_dscnt 0x0
	v_bcnt_u32_b32 v62, v62, v172
	ds_store_b32 v174, v62 offset:1056
.LBB494_736:                            ;   in Loop: Header=BB494_682 Depth=2
	s_or_b32 exec_lo, exec_lo, s15
	v_xor_b32_e32 v171, 0x7fffffff, v69
	; wave barrier
	s_delay_alu instid0(VALU_DEP_1) | instskip(NEXT) | instid1(VALU_DEP_1)
	v_lshrrev_b32_e32 v62, s49, v171
	v_and_b32_e32 v69, s48, v62
	s_delay_alu instid0(VALU_DEP_1) | instskip(SKIP_1) | instid1(VALU_DEP_1)
	v_lshlrev_b32_e32 v175, 30, v69
	v_bitop3_b32 v63, v62, 1, s48 bitop3:0x80
	v_add_co_u32 v62, s15, v63, -1
	s_delay_alu instid0(VALU_DEP_1) | instskip(NEXT) | instid1(VALU_DEP_4)
	v_cndmask_b32_e64 v63, 0, 1, s15
	v_cmp_gt_i32_e64 s15, 0, v175
	s_delay_alu instid0(VALU_DEP_2) | instskip(SKIP_1) | instid1(VALU_DEP_1)
	v_cmp_ne_u32_e32 vcc_lo, 0, v63
	v_not_b32_e32 v63, v175
	v_dual_ashrrev_i32 v63, 31, v63 :: v_dual_lshlrev_b32 v176, 29, v69
	v_dual_lshlrev_b32 v177, 28, v69 :: v_dual_lshlrev_b32 v178, 27, v69
	v_dual_lshlrev_b32 v179, 26, v69 :: v_dual_lshlrev_b32 v180, 25, v69
	v_lshlrev_b32_e32 v181, 24, v69
	s_delay_alu instid0(VALU_DEP_4)
	v_cmp_gt_i32_e64 s16, 0, v176
	v_not_b32_e32 v175, v176
	v_not_b32_e32 v176, v177
	v_cmp_gt_i32_e64 s17, 0, v177
	v_cmp_gt_i32_e64 s18, 0, v178
	v_not_b32_e32 v177, v178
	v_not_b32_e32 v178, v179
	v_dual_ashrrev_i32 v175, 31, v175 :: v_dual_bitop2_b32 v62, vcc_lo, v62 bitop3:0x14
	v_dual_ashrrev_i32 v176, 31, v176 :: v_dual_bitop2_b32 v63, s15, v63 bitop3:0x14
	v_cmp_gt_i32_e64 s19, 0, v179
	s_delay_alu instid0(VALU_DEP_4) | instskip(NEXT) | instid1(VALU_DEP_4)
	v_dual_ashrrev_i32 v177, 31, v177 :: v_dual_ashrrev_i32 v178, 31, v178
	v_xor_b32_e32 v175, s16, v175
	s_delay_alu instid0(VALU_DEP_4)
	v_bitop3_b32 v62, v62, v63, exec_lo bitop3:0x80
	v_not_b32_e32 v63, v180
	v_xor_b32_e32 v176, s17, v176
	v_not_b32_e32 v179, v181
	v_cmp_gt_i32_e64 s20, 0, v180
	v_xor_b32_e32 v177, s18, v177
	v_dual_ashrrev_i32 v63, 31, v63 :: v_dual_bitop2_b32 v178, s19, v178 bitop3:0x14
	v_bitop3_b32 v62, v62, v176, v175 bitop3:0x80
	v_cmp_gt_i32_e32 vcc_lo, 0, v181
	v_ashrrev_i32_e32 v175, 31, v179
	v_mad_u32_u24 v176, v69, 36, v25
	v_xor_b32_e32 v63, s20, v63
	v_bitop3_b32 v62, v62, v178, v177 bitop3:0x80
	s_delay_alu instid0(VALU_DEP_4) | instskip(SKIP_3) | instid1(VALU_DEP_2)
	v_xor_b32_e32 v175, vcc_lo, v175
	ds_load_b32 v176, v176 offset:1056
	; wave barrier
	v_bitop3_b32 v62, v62, v175, v63 bitop3:0x80
	v_mul_u32_u24_e32 v63, 36, v69
	v_mbcnt_lo_u32_b32 v177, v62, 0
	v_cmp_ne_u32_e64 s15, 0, v62
	s_delay_alu instid0(VALU_DEP_3) | instskip(NEXT) | instid1(VALU_DEP_3)
	v_add_nc_u32_e32 v178, v25, v63
	v_cmp_eq_u32_e32 vcc_lo, 0, v177
	s_and_b32 s16, s15, vcc_lo
	s_delay_alu instid0(SALU_CYCLE_1)
	s_and_saveexec_b32 s15, s16
	s_cbranch_execz .LBB494_738
; %bb.737:                              ;   in Loop: Header=BB494_682 Depth=2
	s_wait_dscnt 0x0
	v_bcnt_u32_b32 v62, v62, v176
	ds_store_b32 v178, v62 offset:1056
.LBB494_738:                            ;   in Loop: Header=BB494_682 Depth=2
	s_or_b32 exec_lo, exec_lo, s15
	v_xor_b32_e32 v175, 0x7fffffff, v68
	; wave barrier
	s_delay_alu instid0(VALU_DEP_1) | instskip(NEXT) | instid1(VALU_DEP_1)
	v_lshrrev_b32_e32 v62, s49, v175
	v_and_b32_e32 v68, s48, v62
	s_delay_alu instid0(VALU_DEP_1) | instskip(SKIP_1) | instid1(VALU_DEP_1)
	v_lshlrev_b32_e32 v69, 30, v68
	v_bitop3_b32 v63, v62, 1, s48 bitop3:0x80
	v_add_co_u32 v62, s15, v63, -1
	s_delay_alu instid0(VALU_DEP_1) | instskip(NEXT) | instid1(VALU_DEP_4)
	v_cndmask_b32_e64 v63, 0, 1, s15
	v_cmp_gt_i32_e64 s15, 0, v69
	s_delay_alu instid0(VALU_DEP_2) | instskip(SKIP_1) | instid1(VALU_DEP_1)
	v_cmp_ne_u32_e32 vcc_lo, 0, v63
	v_not_b32_e32 v63, v69
	v_dual_ashrrev_i32 v63, 31, v63 :: v_dual_lshlrev_b32 v179, 29, v68
	v_dual_lshlrev_b32 v180, 28, v68 :: v_dual_lshlrev_b32 v181, 27, v68
	v_dual_lshlrev_b32 v182, 26, v68 :: v_dual_lshlrev_b32 v183, 25, v68
	v_lshlrev_b32_e32 v184, 24, v68
	s_delay_alu instid0(VALU_DEP_4)
	v_cmp_gt_i32_e64 s16, 0, v179
	v_not_b32_e32 v69, v179
	v_not_b32_e32 v179, v180
	v_cmp_gt_i32_e64 s17, 0, v180
	v_cmp_gt_i32_e64 s18, 0, v181
	v_not_b32_e32 v180, v181
	v_not_b32_e32 v181, v182
	v_dual_ashrrev_i32 v69, 31, v69 :: v_dual_bitop2_b32 v62, vcc_lo, v62 bitop3:0x14
	s_delay_alu instid0(VALU_DEP_3) | instskip(NEXT) | instid1(VALU_DEP_3)
	v_dual_ashrrev_i32 v179, 31, v179 :: v_dual_ashrrev_i32 v180, 31, v180
	v_dual_ashrrev_i32 v181, 31, v181 :: v_dual_bitop2_b32 v63, s15, v63 bitop3:0x14
	v_cmp_gt_i32_e64 s19, 0, v182
	v_not_b32_e32 v182, v184
	s_delay_alu instid0(VALU_DEP_4) | instskip(NEXT) | instid1(VALU_DEP_4)
	v_xor_b32_e32 v179, s17, v179
	v_bitop3_b32 v62, v62, v63, exec_lo bitop3:0x80
	v_not_b32_e32 v63, v183
	v_xor_b32_e32 v69, s16, v69
	v_cmp_gt_i32_e64 s20, 0, v183
	v_xor_b32_e32 v180, s18, v180
	s_delay_alu instid0(VALU_DEP_4) | instskip(NEXT) | instid1(VALU_DEP_4)
	v_dual_ashrrev_i32 v63, 31, v63 :: v_dual_bitop2_b32 v181, s19, v181 bitop3:0x14
	v_bitop3_b32 v62, v62, v179, v69 bitop3:0x80
	v_cmp_gt_i32_e32 vcc_lo, 0, v184
	v_ashrrev_i32_e32 v69, 31, v182
	v_mad_u32_u24 v179, v68, 36, v25
	v_xor_b32_e32 v63, s20, v63
	v_bitop3_b32 v62, v62, v181, v180 bitop3:0x80
	s_delay_alu instid0(VALU_DEP_4) | instskip(SKIP_3) | instid1(VALU_DEP_2)
	v_xor_b32_e32 v69, vcc_lo, v69
	ds_load_b32 v180, v179 offset:1056
	; wave barrier
	v_bitop3_b32 v62, v62, v69, v63 bitop3:0x80
	v_mul_u32_u24_e32 v63, 36, v68
	v_mbcnt_lo_u32_b32 v181, v62, 0
	v_cmp_ne_u32_e64 s15, 0, v62
	s_delay_alu instid0(VALU_DEP_3) | instskip(NEXT) | instid1(VALU_DEP_3)
	v_add_nc_u32_e32 v182, v25, v63
	v_cmp_eq_u32_e32 vcc_lo, 0, v181
	s_and_b32 s16, s15, vcc_lo
	s_delay_alu instid0(SALU_CYCLE_1)
	s_and_saveexec_b32 s15, s16
	s_cbranch_execz .LBB494_740
; %bb.739:                              ;   in Loop: Header=BB494_682 Depth=2
	s_wait_dscnt 0x0
	v_bcnt_u32_b32 v62, v62, v180
	ds_store_b32 v182, v62 offset:1056
.LBB494_740:                            ;   in Loop: Header=BB494_682 Depth=2
	s_or_b32 exec_lo, exec_lo, s15
	v_xor_b32_e32 v179, 0x7fffffff, v67
	; wave barrier
	s_delay_alu instid0(VALU_DEP_1) | instskip(NEXT) | instid1(VALU_DEP_1)
	v_lshrrev_b32_e32 v62, s49, v179
	v_bitop3_b32 v63, v62, 1, s48 bitop3:0x80
	v_and_b32_e32 v67, s48, v62
	s_delay_alu instid0(VALU_DEP_2) | instskip(NEXT) | instid1(VALU_DEP_1)
	v_add_co_u32 v62, s15, v63, -1
	v_cndmask_b32_e64 v63, 0, 1, s15
	s_delay_alu instid0(VALU_DEP_3) | instskip(NEXT) | instid1(VALU_DEP_2)
	v_lshlrev_b32_e32 v68, 30, v67
	v_cmp_ne_u32_e32 vcc_lo, 0, v63
	s_delay_alu instid0(VALU_DEP_2) | instskip(NEXT) | instid1(VALU_DEP_1)
	v_not_b32_e32 v63, v68
	v_dual_ashrrev_i32 v63, 31, v63 :: v_dual_bitop2_b32 v62, vcc_lo, v62 bitop3:0x14
	v_dual_lshlrev_b32 v69, 29, v67 :: v_dual_lshlrev_b32 v183, 28, v67
	v_dual_lshlrev_b32 v184, 27, v67 :: v_dual_lshlrev_b32 v185, 26, v67
	v_lshlrev_b32_e32 v186, 25, v67
	v_cmp_gt_i32_e64 s15, 0, v68
	s_delay_alu instid0(VALU_DEP_4)
	v_cmp_gt_i32_e64 s16, 0, v69
	v_not_b32_e32 v68, v69
	v_not_b32_e32 v69, v183
	v_lshlrev_b32_e32 v187, 24, v67
	v_cmp_gt_i32_e64 s17, 0, v183
	v_cmp_gt_i32_e64 s18, 0, v184
	v_not_b32_e32 v183, v184
	v_not_b32_e32 v184, v185
	v_dual_ashrrev_i32 v68, 31, v68 :: v_dual_ashrrev_i32 v69, 31, v69
	v_xor_b32_e32 v63, s15, v63
	v_cmp_gt_i32_e64 s19, 0, v185
	s_delay_alu instid0(VALU_DEP_4) | instskip(NEXT) | instid1(VALU_DEP_4)
	v_dual_ashrrev_i32 v183, 31, v183 :: v_dual_ashrrev_i32 v184, 31, v184
	v_xor_b32_e32 v69, s17, v69
	s_delay_alu instid0(VALU_DEP_4)
	v_bitop3_b32 v62, v62, v63, exec_lo bitop3:0x80
	v_not_b32_e32 v63, v186
	v_xor_b32_e32 v68, s16, v68
	v_not_b32_e32 v185, v187
	v_cmp_gt_i32_e64 s20, 0, v186
	v_xor_b32_e32 v183, s18, v183
	v_dual_ashrrev_i32 v63, 31, v63 :: v_dual_bitop2_b32 v184, s19, v184 bitop3:0x14
	v_bitop3_b32 v62, v62, v69, v68 bitop3:0x80
	v_cmp_gt_i32_e32 vcc_lo, 0, v187
	v_ashrrev_i32_e32 v68, 31, v185
	v_mad_u32_u24 v69, v67, 36, v25
	v_xor_b32_e32 v63, s20, v63
	v_bitop3_b32 v62, v62, v184, v183 bitop3:0x80
	s_delay_alu instid0(VALU_DEP_4) | instskip(SKIP_3) | instid1(VALU_DEP_2)
	v_xor_b32_e32 v68, vcc_lo, v68
	ds_load_b32 v184, v69 offset:1056
	; wave barrier
	v_bitop3_b32 v62, v62, v68, v63 bitop3:0x80
	v_mul_u32_u24_e32 v63, 36, v67
	v_mbcnt_lo_u32_b32 v185, v62, 0
	v_cmp_ne_u32_e64 s15, 0, v62
	s_delay_alu instid0(VALU_DEP_3) | instskip(NEXT) | instid1(VALU_DEP_3)
	v_add_nc_u32_e32 v186, v25, v63
	v_cmp_eq_u32_e32 vcc_lo, 0, v185
	s_and_b32 s16, s15, vcc_lo
	s_delay_alu instid0(SALU_CYCLE_1)
	s_and_saveexec_b32 s15, s16
	s_cbranch_execz .LBB494_742
; %bb.741:                              ;   in Loop: Header=BB494_682 Depth=2
	s_wait_dscnt 0x0
	v_bcnt_u32_b32 v62, v62, v184
	ds_store_b32 v186, v62 offset:1056
.LBB494_742:                            ;   in Loop: Header=BB494_682 Depth=2
	s_or_b32 exec_lo, exec_lo, s15
	v_xor_b32_e32 v183, 0x7fffffff, v66
	; wave barrier
	s_delay_alu instid0(VALU_DEP_1) | instskip(NEXT) | instid1(VALU_DEP_1)
	v_lshrrev_b32_e32 v62, s49, v183
	v_and_b32_e32 v66, s48, v62
	s_delay_alu instid0(VALU_DEP_1) | instskip(SKIP_1) | instid1(VALU_DEP_1)
	v_lshlrev_b32_e32 v67, 30, v66
	v_bitop3_b32 v63, v62, 1, s48 bitop3:0x80
	v_add_co_u32 v62, s15, v63, -1
	s_delay_alu instid0(VALU_DEP_1) | instskip(NEXT) | instid1(VALU_DEP_4)
	v_cndmask_b32_e64 v63, 0, 1, s15
	v_cmp_gt_i32_e64 s15, 0, v67
	s_delay_alu instid0(VALU_DEP_2) | instskip(SKIP_1) | instid1(VALU_DEP_1)
	v_cmp_ne_u32_e32 vcc_lo, 0, v63
	v_not_b32_e32 v63, v67
	v_dual_ashrrev_i32 v63, 31, v63 :: v_dual_lshlrev_b32 v68, 29, v66
	v_dual_lshlrev_b32 v69, 28, v66 :: v_dual_lshlrev_b32 v187, 27, v66
	v_dual_lshlrev_b32 v188, 26, v66 :: v_dual_lshlrev_b32 v189, 25, v66
	v_lshlrev_b32_e32 v190, 24, v66
	s_delay_alu instid0(VALU_DEP_4)
	v_cmp_gt_i32_e64 s16, 0, v68
	v_not_b32_e32 v67, v68
	v_not_b32_e32 v68, v69
	v_cmp_gt_i32_e64 s17, 0, v69
	v_cmp_gt_i32_e64 s18, 0, v187
	v_not_b32_e32 v69, v187
	v_not_b32_e32 v187, v188
	v_dual_ashrrev_i32 v67, 31, v67 :: v_dual_bitop2_b32 v62, vcc_lo, v62 bitop3:0x14
	v_dual_ashrrev_i32 v68, 31, v68 :: v_dual_bitop2_b32 v63, s15, v63 bitop3:0x14
	v_cmp_gt_i32_e64 s19, 0, v188
	s_delay_alu instid0(VALU_DEP_4) | instskip(NEXT) | instid1(VALU_DEP_4)
	v_dual_ashrrev_i32 v69, 31, v69 :: v_dual_ashrrev_i32 v187, 31, v187
	v_xor_b32_e32 v67, s16, v67
	s_delay_alu instid0(VALU_DEP_4)
	v_bitop3_b32 v62, v62, v63, exec_lo bitop3:0x80
	v_not_b32_e32 v63, v189
	v_xor_b32_e32 v68, s17, v68
	v_not_b32_e32 v188, v190
	v_cmp_gt_i32_e64 s20, 0, v189
	v_xor_b32_e32 v69, s18, v69
	v_xor_b32_e32 v187, s19, v187
	v_ashrrev_i32_e32 v63, 31, v63
	v_bitop3_b32 v62, v62, v68, v67 bitop3:0x80
	v_cmp_gt_i32_e32 vcc_lo, 0, v190
	v_ashrrev_i32_e32 v67, 31, v188
	v_mad_u32_u24 v68, v66, 36, v25
	v_xor_b32_e32 v63, s20, v63
	v_bitop3_b32 v62, v62, v187, v69 bitop3:0x80
	s_delay_alu instid0(VALU_DEP_4) | instskip(SKIP_3) | instid1(VALU_DEP_2)
	v_xor_b32_e32 v67, vcc_lo, v67
	ds_load_b32 v188, v68 offset:1056
	; wave barrier
	v_bitop3_b32 v62, v62, v67, v63 bitop3:0x80
	v_mul_u32_u24_e32 v63, 36, v66
	v_mbcnt_lo_u32_b32 v189, v62, 0
	v_cmp_ne_u32_e64 s15, 0, v62
	s_delay_alu instid0(VALU_DEP_3) | instskip(NEXT) | instid1(VALU_DEP_3)
	v_add_nc_u32_e32 v190, v25, v63
	v_cmp_eq_u32_e32 vcc_lo, 0, v189
	s_and_b32 s16, s15, vcc_lo
	s_delay_alu instid0(SALU_CYCLE_1)
	s_and_saveexec_b32 s15, s16
	s_cbranch_execz .LBB494_744
; %bb.743:                              ;   in Loop: Header=BB494_682 Depth=2
	s_wait_dscnt 0x0
	v_bcnt_u32_b32 v62, v62, v188
	ds_store_b32 v190, v62 offset:1056
.LBB494_744:                            ;   in Loop: Header=BB494_682 Depth=2
	s_or_b32 exec_lo, exec_lo, s15
	v_xor_b32_e32 v187, 0x7fffffff, v65
	; wave barrier
	s_delay_alu instid0(VALU_DEP_1) | instskip(NEXT) | instid1(VALU_DEP_1)
	v_lshrrev_b32_e32 v62, s49, v187
	v_and_b32_e32 v65, s48, v62
	s_delay_alu instid0(VALU_DEP_1) | instskip(SKIP_1) | instid1(VALU_DEP_1)
	v_lshlrev_b32_e32 v66, 30, v65
	v_bitop3_b32 v63, v62, 1, s48 bitop3:0x80
	v_add_co_u32 v62, s15, v63, -1
	s_delay_alu instid0(VALU_DEP_1) | instskip(NEXT) | instid1(VALU_DEP_4)
	v_cndmask_b32_e64 v63, 0, 1, s15
	v_cmp_gt_i32_e64 s15, 0, v66
	s_delay_alu instid0(VALU_DEP_2) | instskip(SKIP_1) | instid1(VALU_DEP_1)
	v_cmp_ne_u32_e32 vcc_lo, 0, v63
	v_not_b32_e32 v63, v66
	v_dual_ashrrev_i32 v63, 31, v63 :: v_dual_lshlrev_b32 v67, 29, v65
	v_dual_lshlrev_b32 v68, 28, v65 :: v_dual_lshlrev_b32 v69, 27, v65
	v_dual_lshlrev_b32 v191, 26, v65 :: v_dual_lshlrev_b32 v192, 25, v65
	v_lshlrev_b32_e32 v193, 24, v65
	s_delay_alu instid0(VALU_DEP_4)
	v_cmp_gt_i32_e64 s16, 0, v67
	v_not_b32_e32 v66, v67
	v_not_b32_e32 v67, v68
	v_cmp_gt_i32_e64 s17, 0, v68
	v_cmp_gt_i32_e64 s18, 0, v69
	v_not_b32_e32 v68, v69
	v_not_b32_e32 v69, v191
	v_dual_ashrrev_i32 v67, 31, v67 :: v_dual_bitop2_b32 v62, vcc_lo, v62 bitop3:0x14
	v_dual_ashrrev_i32 v66, 31, v66 :: v_dual_bitop2_b32 v63, s15, v63 bitop3:0x14
	v_cmp_gt_i32_e64 s19, 0, v191
	s_delay_alu instid0(VALU_DEP_4) | instskip(NEXT) | instid1(VALU_DEP_4)
	v_dual_ashrrev_i32 v68, 31, v68 :: v_dual_ashrrev_i32 v69, 31, v69
	v_xor_b32_e32 v67, s17, v67
	s_delay_alu instid0(VALU_DEP_4)
	v_bitop3_b32 v62, v62, v63, exec_lo bitop3:0x80
	v_not_b32_e32 v63, v192
	v_xor_b32_e32 v66, s16, v66
	v_not_b32_e32 v191, v193
	v_cmp_gt_i32_e64 s20, 0, v192
	v_xor_b32_e32 v68, s18, v68
	v_dual_ashrrev_i32 v63, 31, v63 :: v_dual_bitop2_b32 v69, s19, v69 bitop3:0x14
	v_bitop3_b32 v62, v62, v67, v66 bitop3:0x80
	v_cmp_gt_i32_e32 vcc_lo, 0, v193
	v_ashrrev_i32_e32 v66, 31, v191
	v_mad_u32_u24 v67, v65, 36, v25
	v_xor_b32_e32 v63, s20, v63
	v_bitop3_b32 v62, v62, v69, v68 bitop3:0x80
	s_delay_alu instid0(VALU_DEP_4) | instskip(SKIP_3) | instid1(VALU_DEP_2)
	v_xor_b32_e32 v66, vcc_lo, v66
	ds_load_b32 v192, v67 offset:1056
	; wave barrier
	v_bitop3_b32 v62, v62, v66, v63 bitop3:0x80
	v_mul_u32_u24_e32 v63, 36, v65
	v_mbcnt_lo_u32_b32 v193, v62, 0
	v_cmp_ne_u32_e64 s15, 0, v62
	s_delay_alu instid0(VALU_DEP_3) | instskip(NEXT) | instid1(VALU_DEP_3)
	v_add_nc_u32_e32 v194, v25, v63
	v_cmp_eq_u32_e32 vcc_lo, 0, v193
	s_and_b32 s16, s15, vcc_lo
	s_delay_alu instid0(SALU_CYCLE_1)
	s_and_saveexec_b32 s15, s16
	s_cbranch_execz .LBB494_746
; %bb.745:                              ;   in Loop: Header=BB494_682 Depth=2
	s_wait_dscnt 0x0
	v_bcnt_u32_b32 v62, v62, v192
	ds_store_b32 v194, v62 offset:1056
.LBB494_746:                            ;   in Loop: Header=BB494_682 Depth=2
	s_or_b32 exec_lo, exec_lo, s15
	v_xor_b32_e32 v191, 0x7fffffff, v64
	; wave barrier
	s_delay_alu instid0(VALU_DEP_1) | instskip(NEXT) | instid1(VALU_DEP_1)
	v_lshrrev_b32_e32 v62, s49, v191
	v_and_b32_e32 v64, s48, v62
	s_delay_alu instid0(VALU_DEP_1) | instskip(SKIP_1) | instid1(VALU_DEP_1)
	v_lshlrev_b32_e32 v65, 30, v64
	v_bitop3_b32 v63, v62, 1, s48 bitop3:0x80
	v_add_co_u32 v62, s15, v63, -1
	s_delay_alu instid0(VALU_DEP_1) | instskip(NEXT) | instid1(VALU_DEP_4)
	v_cndmask_b32_e64 v63, 0, 1, s15
	v_cmp_gt_i32_e64 s15, 0, v65
	s_delay_alu instid0(VALU_DEP_2) | instskip(SKIP_1) | instid1(VALU_DEP_1)
	v_cmp_ne_u32_e32 vcc_lo, 0, v63
	v_not_b32_e32 v63, v65
	v_dual_ashrrev_i32 v63, 31, v63 :: v_dual_lshlrev_b32 v66, 29, v64
	v_dual_lshlrev_b32 v67, 28, v64 :: v_dual_lshlrev_b32 v68, 27, v64
	v_dual_lshlrev_b32 v69, 26, v64 :: v_dual_lshlrev_b32 v195, 25, v64
	v_lshlrev_b32_e32 v196, 24, v64
	s_delay_alu instid0(VALU_DEP_4)
	v_cmp_gt_i32_e64 s16, 0, v66
	v_not_b32_e32 v65, v66
	v_not_b32_e32 v66, v67
	v_cmp_gt_i32_e64 s17, 0, v67
	v_cmp_gt_i32_e64 s18, 0, v68
	v_not_b32_e32 v67, v68
	v_not_b32_e32 v68, v69
	v_dual_ashrrev_i32 v65, 31, v65 :: v_dual_bitop2_b32 v62, vcc_lo, v62 bitop3:0x14
	v_dual_ashrrev_i32 v66, 31, v66 :: v_dual_bitop2_b32 v63, s15, v63 bitop3:0x14
	v_cmp_gt_i32_e64 s19, 0, v69
	s_delay_alu instid0(VALU_DEP_4) | instskip(SKIP_1) | instid1(VALU_DEP_4)
	v_dual_ashrrev_i32 v67, 31, v67 :: v_dual_ashrrev_i32 v68, 31, v68
	v_not_b32_e32 v69, v196
	v_xor_b32_e32 v66, s17, v66
	v_bitop3_b32 v62, v62, v63, exec_lo bitop3:0x80
	v_not_b32_e32 v63, v195
	v_xor_b32_e32 v65, s16, v65
	v_cmp_gt_i32_e64 s20, 0, v195
	v_xor_b32_e32 v67, s18, v67
	s_delay_alu instid0(VALU_DEP_4) | instskip(NEXT) | instid1(VALU_DEP_4)
	v_dual_ashrrev_i32 v63, 31, v63 :: v_dual_bitop2_b32 v68, s19, v68 bitop3:0x14
	v_bitop3_b32 v62, v62, v66, v65 bitop3:0x80
	v_cmp_gt_i32_e32 vcc_lo, 0, v196
	v_ashrrev_i32_e32 v65, 31, v69
	v_mad_u32_u24 v66, v64, 36, v25
	v_xor_b32_e32 v63, s20, v63
	v_bitop3_b32 v62, v62, v68, v67 bitop3:0x80
	s_delay_alu instid0(VALU_DEP_4) | instskip(SKIP_3) | instid1(VALU_DEP_2)
	v_xor_b32_e32 v65, vcc_lo, v65
	ds_load_b32 v195, v66 offset:1056
	; wave barrier
	v_bitop3_b32 v62, v62, v65, v63 bitop3:0x80
	v_mul_u32_u24_e32 v63, 36, v64
	v_mbcnt_lo_u32_b32 v196, v62, 0
	v_cmp_ne_u32_e64 s15, 0, v62
	s_delay_alu instid0(VALU_DEP_3) | instskip(NEXT) | instid1(VALU_DEP_3)
	v_add_nc_u32_e32 v197, v25, v63
	v_cmp_eq_u32_e32 vcc_lo, 0, v196
	s_and_b32 s16, s15, vcc_lo
	s_delay_alu instid0(SALU_CYCLE_1)
	s_and_saveexec_b32 s15, s16
	s_cbranch_execz .LBB494_748
; %bb.747:                              ;   in Loop: Header=BB494_682 Depth=2
	s_wait_dscnt 0x0
	v_bcnt_u32_b32 v62, v62, v195
	ds_store_b32 v197, v62 offset:1056
.LBB494_748:                            ;   in Loop: Header=BB494_682 Depth=2
	s_or_b32 exec_lo, exec_lo, s15
	v_lshrrev_b32_e32 v62, s49, v138
	; wave barrier
	s_delay_alu instid0(VALU_DEP_1) | instskip(NEXT) | instid1(VALU_DEP_1)
	v_and_b32_e32 v64, s48, v62
	v_lshlrev_b32_e32 v65, 30, v64
	v_bitop3_b32 v63, v62, 1, s48 bitop3:0x80
	s_delay_alu instid0(VALU_DEP_1) | instskip(NEXT) | instid1(VALU_DEP_1)
	v_add_co_u32 v62, s15, v63, -1
	v_cndmask_b32_e64 v63, 0, 1, s15
	s_delay_alu instid0(VALU_DEP_4) | instskip(NEXT) | instid1(VALU_DEP_2)
	v_cmp_gt_i32_e64 s15, 0, v65
	v_cmp_ne_u32_e32 vcc_lo, 0, v63
	v_not_b32_e32 v63, v65
	s_delay_alu instid0(VALU_DEP_1) | instskip(SKIP_3) | instid1(VALU_DEP_4)
	v_dual_ashrrev_i32 v63, 31, v63 :: v_dual_lshlrev_b32 v66, 29, v64
	v_dual_lshlrev_b32 v67, 28, v64 :: v_dual_lshlrev_b32 v68, 27, v64
	v_dual_lshlrev_b32 v69, 26, v64 :: v_dual_lshlrev_b32 v198, 25, v64
	v_lshlrev_b32_e32 v199, 24, v64
	v_cmp_gt_i32_e64 s16, 0, v66
	v_not_b32_e32 v65, v66
	v_not_b32_e32 v66, v67
	v_cmp_gt_i32_e64 s17, 0, v67
	v_xor_b32_e32 v62, vcc_lo, v62
	s_delay_alu instid0(VALU_DEP_4) | instskip(NEXT) | instid1(VALU_DEP_4)
	v_dual_ashrrev_i32 v65, 31, v65 :: v_dual_bitop2_b32 v63, s15, v63 bitop3:0x14
	v_ashrrev_i32_e32 v66, 31, v66
	v_cmp_gt_i32_e64 s18, 0, v68
	v_not_b32_e32 v67, v68
	v_not_b32_e32 v68, v69
	v_xor_b32_e32 v65, s16, v65
	v_xor_b32_e32 v66, s17, v66
	v_bitop3_b32 v62, v62, v63, exec_lo bitop3:0x80
	v_ashrrev_i32_e32 v63, 31, v67
	v_cmp_gt_i32_e32 vcc_lo, 0, v69
	v_ashrrev_i32_e32 v67, 31, v68
	v_not_b32_e32 v68, v198
	v_bitop3_b32 v62, v62, v66, v65 bitop3:0x80
	v_not_b32_e32 v65, v199
	v_xor_b32_e32 v63, s18, v63
	v_xor_b32_e32 v66, vcc_lo, v67
	v_cmp_gt_i32_e32 vcc_lo, 0, v198
	v_ashrrev_i32_e32 v67, 31, v68
	v_cmp_gt_i32_e64 s15, 0, v199
	v_ashrrev_i32_e32 v65, 31, v65
	v_mad_u32_u24 v68, v64, 36, v25
	v_bitop3_b32 v62, v62, v66, v63 bitop3:0x80
	v_xor_b32_e32 v63, vcc_lo, v67
	s_delay_alu instid0(VALU_DEP_4) | instskip(SKIP_3) | instid1(VALU_DEP_2)
	v_xor_b32_e32 v65, s15, v65
	ds_load_b32 v198, v68 offset:1056
	; wave barrier
	v_bitop3_b32 v62, v62, v65, v63 bitop3:0x80
	v_mul_u32_u24_e32 v63, 36, v64
	v_mbcnt_lo_u32_b32 v199, v62, 0
	v_cmp_ne_u32_e64 s15, 0, v62
	s_delay_alu instid0(VALU_DEP_3) | instskip(NEXT) | instid1(VALU_DEP_3)
	v_add_nc_u32_e32 v200, v25, v63
	v_cmp_eq_u32_e32 vcc_lo, 0, v199
	s_and_b32 s16, s15, vcc_lo
	s_delay_alu instid0(SALU_CYCLE_1)
	s_and_saveexec_b32 s15, s16
	s_cbranch_execz .LBB494_750
; %bb.749:                              ;   in Loop: Header=BB494_682 Depth=2
	s_wait_dscnt 0x0
	v_bcnt_u32_b32 v62, v62, v198
	ds_store_b32 v200, v62 offset:1056
.LBB494_750:                            ;   in Loop: Header=BB494_682 Depth=2
	s_or_b32 exec_lo, exec_lo, s15
	; wave barrier
	s_wait_dscnt 0x0
	s_barrier_signal -1
	s_barrier_wait -1
	ds_load_2addr_b32 v[68:69], v117 offset1:1
	ds_load_2addr_b32 v[66:67], v118 offset1:1
	;; [unrolled: 1-line block ×4, first 2 shown]
	ds_load_b32 v201, v91 offset:1088
	s_wait_dscnt 0x3
	v_add3_u32 v202, v69, v68, v66
	s_wait_dscnt 0x2
	s_delay_alu instid0(VALU_DEP_1) | instskip(SKIP_1) | instid1(VALU_DEP_1)
	v_add3_u32 v202, v202, v67, v64
	s_wait_dscnt 0x1
	v_add3_u32 v202, v202, v65, v62
	s_wait_dscnt 0x0
	s_delay_alu instid0(VALU_DEP_1) | instskip(NEXT) | instid1(VALU_DEP_1)
	v_add3_u32 v201, v202, v63, v201
	v_mov_b32_dpp v202, v201 row_shr:1 row_mask:0xf bank_mask:0xf
	s_delay_alu instid0(VALU_DEP_1) | instskip(NEXT) | instid1(VALU_DEP_1)
	v_cndmask_b32_e64 v202, v202, 0, s7
	v_add_nc_u32_e32 v201, v202, v201
	s_delay_alu instid0(VALU_DEP_1) | instskip(NEXT) | instid1(VALU_DEP_1)
	v_mov_b32_dpp v202, v201 row_shr:2 row_mask:0xf bank_mask:0xf
	v_cndmask_b32_e64 v202, 0, v202, s8
	s_delay_alu instid0(VALU_DEP_1) | instskip(NEXT) | instid1(VALU_DEP_1)
	v_add_nc_u32_e32 v201, v201, v202
	v_mov_b32_dpp v202, v201 row_shr:4 row_mask:0xf bank_mask:0xf
	s_delay_alu instid0(VALU_DEP_1) | instskip(NEXT) | instid1(VALU_DEP_1)
	v_cndmask_b32_e64 v202, 0, v202, s9
	v_add_nc_u32_e32 v201, v201, v202
	s_delay_alu instid0(VALU_DEP_1) | instskip(NEXT) | instid1(VALU_DEP_1)
	v_mov_b32_dpp v202, v201 row_shr:8 row_mask:0xf bank_mask:0xf
	v_cndmask_b32_e64 v202, 0, v202, s10
	s_delay_alu instid0(VALU_DEP_1) | instskip(SKIP_3) | instid1(VALU_DEP_1)
	v_add_nc_u32_e32 v201, v201, v202
	ds_swizzle_b32 v202, v201 offset:swizzle(BROADCAST,32,15)
	s_wait_dscnt 0x0
	v_cndmask_b32_e64 v202, v202, 0, s11
	v_add_nc_u32_e32 v201, v201, v202
	s_and_saveexec_b32 s15, s1
; %bb.751:                              ;   in Loop: Header=BB494_682 Depth=2
	ds_store_b32 v85, v201 offset:1024
; %bb.752:                              ;   in Loop: Header=BB494_682 Depth=2
	s_or_b32 exec_lo, exec_lo, s15
	s_wait_dscnt 0x0
	s_barrier_signal -1
	s_barrier_wait -1
	s_and_saveexec_b32 s15, s4
	s_cbranch_execz .LBB494_754
; %bb.753:                              ;   in Loop: Header=BB494_682 Depth=2
	ds_load_b32 v202, v93 offset:1024
	s_wait_dscnt 0x0
	v_mov_b32_dpp v203, v202 row_shr:1 row_mask:0xf bank_mask:0xf
	s_delay_alu instid0(VALU_DEP_1) | instskip(NEXT) | instid1(VALU_DEP_1)
	v_cndmask_b32_e64 v203, v203, 0, s12
	v_add_nc_u32_e32 v202, v203, v202
	s_delay_alu instid0(VALU_DEP_1) | instskip(NEXT) | instid1(VALU_DEP_1)
	v_mov_b32_dpp v203, v202 row_shr:2 row_mask:0xf bank_mask:0xf
	v_cndmask_b32_e64 v203, 0, v203, s13
	s_delay_alu instid0(VALU_DEP_1) | instskip(NEXT) | instid1(VALU_DEP_1)
	v_add_nc_u32_e32 v202, v202, v203
	v_mov_b32_dpp v203, v202 row_shr:4 row_mask:0xf bank_mask:0xf
	s_delay_alu instid0(VALU_DEP_1) | instskip(NEXT) | instid1(VALU_DEP_1)
	v_cndmask_b32_e64 v203, 0, v203, s14
	v_add_nc_u32_e32 v202, v202, v203
	ds_store_b32 v93, v202 offset:1024
.LBB494_754:                            ;   in Loop: Header=BB494_682 Depth=2
	s_or_b32 exec_lo, exec_lo, s15
	v_mov_b32_e32 v202, 0
	s_wait_dscnt 0x0
	s_barrier_signal -1
	s_barrier_wait -1
	s_and_saveexec_b32 s15, s5
; %bb.755:                              ;   in Loop: Header=BB494_682 Depth=2
	ds_load_b32 v202, v85 offset:1020
; %bb.756:                              ;   in Loop: Header=BB494_682 Depth=2
	s_or_b32 exec_lo, exec_lo, s15
	s_wait_dscnt 0x0
	v_add_nc_u32_e32 v201, v202, v201
	ds_bpermute_b32 v201, v120, v201
	s_wait_dscnt 0x0
	v_cndmask_b32_e64 v201, v201, v202, s6
	s_delay_alu instid0(VALU_DEP_1) | instskip(NEXT) | instid1(VALU_DEP_1)
	v_cndmask_b32_e64 v201, v201, 0, s2
	v_add_nc_u32_e32 v68, v201, v68
	s_delay_alu instid0(VALU_DEP_1) | instskip(NEXT) | instid1(VALU_DEP_1)
	v_add_nc_u32_e32 v69, v68, v69
	v_add_nc_u32_e32 v66, v69, v66
	s_delay_alu instid0(VALU_DEP_1) | instskip(NEXT) | instid1(VALU_DEP_1)
	v_add_nc_u32_e32 v67, v66, v67
	;; [unrolled: 3-line block ×3, first 2 shown]
	v_add_nc_u32_e32 v62, v65, v62
	s_delay_alu instid0(VALU_DEP_1)
	v_add_nc_u32_e32 v63, v62, v63
	ds_store_2addr_b32 v5, v65, v62 offset1:1
	ds_store_2addr_b32 v117, v201, v68 offset1:1
	;; [unrolled: 1-line block ×4, first 2 shown]
	ds_store_b32 v91, v63 offset:1088
	s_wait_dscnt 0x0
	s_barrier_signal -1
	s_barrier_wait -1
	ds_load_b32 v65, v142 offset:1056
	ds_load_b32 v67, v146 offset:1056
	;; [unrolled: 1-line block ×17, first 2 shown]
	v_mov_b32_e32 v64, 0x1000
	s_and_saveexec_b32 s15, s3
; %bb.757:                              ;   in Loop: Header=BB494_682 Depth=2
	ds_load_b32 v64, v91 offset:1092
; %bb.758:                              ;   in Loop: Header=BB494_682 Depth=2
	s_or_b32 exec_lo, exec_lo, s15
	s_wait_dscnt 0x0
	s_barrier_signal -1
	s_barrier_wait -1
	s_and_saveexec_b32 s15, s0
	s_cbranch_execz .LBB494_760
; %bb.759:                              ;   in Loop: Header=BB494_682 Depth=2
	ds_load_b32 v154, v4
	s_wait_dscnt 0x0
	v_sub_nc_u32_e32 v150, v154, v150
	ds_store_b32 v4, v150
.LBB494_760:                            ;   in Loop: Header=BB494_682 Depth=2
	s_or_b32 exec_lo, exec_lo, s15
	v_add3_u32 v158, v145, v144, v67
	v_add_nc_u32_e32 v162, v65, v141
	v_add3_u32 v154, v149, v148, v68
	v_add3_u32 v150, v153, v152, v69
	;; [unrolled: 1-line block ×4, first 2 shown]
	v_lshlrev_b32_e32 v62, 2, v158
	v_lshlrev_b32_e32 v152, 2, v162
	v_add3_u32 v149, v157, v156, v142
	v_add3_u32 v146, v165, v164, v201
	;; [unrolled: 1-line block ×4, first 2 shown]
	v_lshlrev_b32_e32 v63, 2, v154
	v_add3_u32 v144, v173, v172, v174
	v_lshlrev_b32_e32 v153, 2, v148
	ds_store_b32 v152, v139 offset:1024
	v_lshlrev_b32_e32 v139, 2, v150
	v_add3_u32 v142, v177, v176, v178
	v_lshlrev_b32_e32 v152, 2, v149
	v_add3_u32 v141, v181, v180, v182
	v_add3_u32 v65, v185, v184, v186
	ds_store_b32 v62, v140 offset:1024
	ds_store_b32 v63, v143 offset:1024
	;; [unrolled: 1-line block ×5, first 2 shown]
	v_dual_lshlrev_b32 v62, 2, v146 :: v_dual_lshlrev_b32 v139, 2, v144
	v_lshlrev_b32_e32 v63, 2, v145
	v_add3_u32 v67, v196, v195, v66
	v_dual_lshlrev_b32 v140, 2, v142 :: v_dual_lshlrev_b32 v143, 2, v141
	v_add3_u32 v66, v199, v198, v167
	ds_store_b32 v62, v159 offset:1024
	ds_store_b32 v63, v163 offset:1024
	;; [unrolled: 1-line block ×5, first 2 shown]
	v_dual_lshlrev_b32 v62, 2, v65 :: v_dual_lshlrev_b32 v139, 2, v68
	v_cmp_lt_u32_e32 vcc_lo, v2, v137
	v_dual_lshlrev_b32 v63, 2, v69 :: v_dual_lshlrev_b32 v140, 2, v67
	v_lshlrev_b32_e32 v143, 2, v66
	ds_store_b32 v62, v179 offset:1024
	ds_store_b32 v63, v183 offset:1024
	;; [unrolled: 1-line block ×5, first 2 shown]
	s_wait_dscnt 0x0
	s_barrier_signal -1
	s_barrier_wait -1
	s_and_saveexec_b32 s15, vcc_lo
	s_cbranch_execnz .LBB494_829
; %bb.761:                              ;   in Loop: Header=BB494_682 Depth=2
	s_or_b32 exec_lo, exec_lo, s15
	v_cmp_lt_u32_e64 s15, v3, v137
	s_and_saveexec_b32 s16, s15
	s_cbranch_execnz .LBB494_830
.LBB494_762:                            ;   in Loop: Header=BB494_682 Depth=2
	s_or_b32 exec_lo, exec_lo, s16
	v_cmp_lt_u32_e64 s16, v70, v137
	s_and_saveexec_b32 s17, s16
	s_cbranch_execnz .LBB494_831
.LBB494_763:                            ;   in Loop: Header=BB494_682 Depth=2
	s_or_b32 exec_lo, exec_lo, s17
	v_cmp_lt_u32_e64 s17, v71, v137
	s_and_saveexec_b32 s18, s17
	s_cbranch_execnz .LBB494_832
.LBB494_764:                            ;   in Loop: Header=BB494_682 Depth=2
	s_or_b32 exec_lo, exec_lo, s18
	v_cmp_lt_u32_e64 s18, v72, v137
	s_and_saveexec_b32 s19, s18
	s_cbranch_execnz .LBB494_833
.LBB494_765:                            ;   in Loop: Header=BB494_682 Depth=2
	s_or_b32 exec_lo, exec_lo, s19
	v_cmp_lt_u32_e64 s19, v73, v137
	s_and_saveexec_b32 s20, s19
	s_cbranch_execnz .LBB494_834
.LBB494_766:                            ;   in Loop: Header=BB494_682 Depth=2
	s_or_b32 exec_lo, exec_lo, s20
	v_cmp_lt_u32_e64 s20, v74, v137
	s_and_saveexec_b32 s21, s20
	s_cbranch_execnz .LBB494_835
.LBB494_767:                            ;   in Loop: Header=BB494_682 Depth=2
	s_or_b32 exec_lo, exec_lo, s21
	v_cmp_lt_u32_e64 s21, v75, v137
	s_and_saveexec_b32 s22, s21
	s_cbranch_execnz .LBB494_836
.LBB494_768:                            ;   in Loop: Header=BB494_682 Depth=2
	s_or_b32 exec_lo, exec_lo, s22
	v_cmp_lt_u32_e64 s22, v76, v137
	s_and_saveexec_b32 s23, s22
	s_cbranch_execnz .LBB494_837
.LBB494_769:                            ;   in Loop: Header=BB494_682 Depth=2
	s_or_b32 exec_lo, exec_lo, s23
	v_cmp_lt_u32_e64 s23, v77, v137
	s_and_saveexec_b32 s24, s23
	s_cbranch_execnz .LBB494_838
.LBB494_770:                            ;   in Loop: Header=BB494_682 Depth=2
	s_or_b32 exec_lo, exec_lo, s24
	v_cmp_lt_u32_e64 s24, v78, v137
	s_and_saveexec_b32 s25, s24
	s_cbranch_execnz .LBB494_839
.LBB494_771:                            ;   in Loop: Header=BB494_682 Depth=2
	s_or_b32 exec_lo, exec_lo, s25
	v_cmp_lt_u32_e64 s25, v79, v137
	s_and_saveexec_b32 s26, s25
	s_cbranch_execnz .LBB494_840
.LBB494_772:                            ;   in Loop: Header=BB494_682 Depth=2
	s_or_b32 exec_lo, exec_lo, s26
	v_cmp_lt_u32_e64 s26, v80, v137
	s_and_saveexec_b32 s27, s26
	s_cbranch_execnz .LBB494_841
.LBB494_773:                            ;   in Loop: Header=BB494_682 Depth=2
	s_or_b32 exec_lo, exec_lo, s27
	v_cmp_lt_u32_e64 s27, v81, v137
	s_and_saveexec_b32 s28, s27
	s_cbranch_execnz .LBB494_842
.LBB494_774:                            ;   in Loop: Header=BB494_682 Depth=2
	s_or_b32 exec_lo, exec_lo, s28
	v_cmp_lt_u32_e64 s28, v82, v137
	s_and_saveexec_b32 s29, s28
	s_cbranch_execnz .LBB494_843
.LBB494_775:                            ;   in Loop: Header=BB494_682 Depth=2
	s_or_b32 exec_lo, exec_lo, s29
	v_cmp_lt_u32_e64 s29, v83, v137
	s_and_saveexec_b32 s57, s29
	s_cbranch_execz .LBB494_777
.LBB494_776:                            ;   in Loop: Header=BB494_682 Depth=2
	ds_load_b32 v62, v93 offset:16384
	s_wait_dscnt 0x0
	v_lshrrev_b32_e32 v63, s49, v62
	v_xor_b32_e32 v62, 0x7fffffff, v62
	s_delay_alu instid0(VALU_DEP_2) | instskip(NEXT) | instid1(VALU_DEP_1)
	v_and_b32_e32 v63, s48, v63
	v_lshlrev_b32_e32 v63, 2, v63
	ds_load_b32 v63, v63
	s_wait_dscnt 0x0
	v_add_nc_u32_e32 v63, v63, v83
	global_store_b32 v63, v62, s[38:39] scale_offset
.LBB494_777:                            ;   in Loop: Header=BB494_682 Depth=2
	s_wait_xcnt 0x0
	s_or_b32 exec_lo, exec_lo, s57
	v_lshl_add_u64 v[62:63], s[30:31], 3, v[26:27]
	v_cmp_lt_u32_e64 s30, v99, v137
	s_and_saveexec_b32 s57, s30
	s_delay_alu instid0(SALU_CYCLE_1)
	s_xor_b32 s30, exec_lo, s57
	s_cbranch_execnz .LBB494_844
; %bb.778:                              ;   in Loop: Header=BB494_682 Depth=2
	s_or_b32 exec_lo, exec_lo, s30
	s_delay_alu instid0(SALU_CYCLE_1)
	s_mov_b32 s57, exec_lo
	v_cmpx_lt_u32_e64 v102, v137
	s_cbranch_execnz .LBB494_845
.LBB494_779:                            ;   in Loop: Header=BB494_682 Depth=2
	s_or_b32 exec_lo, exec_lo, s57
	s_delay_alu instid0(SALU_CYCLE_1)
	s_mov_b32 s57, exec_lo
	v_cmpx_lt_u32_e64 v103, v137
	s_cbranch_execnz .LBB494_846
.LBB494_780:                            ;   in Loop: Header=BB494_682 Depth=2
	s_or_b32 exec_lo, exec_lo, s57
	s_delay_alu instid0(SALU_CYCLE_1)
	s_mov_b32 s57, exec_lo
	v_cmpx_lt_u32_e64 v104, v137
	s_cbranch_execnz .LBB494_847
.LBB494_781:                            ;   in Loop: Header=BB494_682 Depth=2
	s_or_b32 exec_lo, exec_lo, s57
	s_delay_alu instid0(SALU_CYCLE_1)
	s_mov_b32 s57, exec_lo
	v_cmpx_lt_u32_e64 v105, v137
	s_cbranch_execnz .LBB494_848
.LBB494_782:                            ;   in Loop: Header=BB494_682 Depth=2
	s_or_b32 exec_lo, exec_lo, s57
	s_delay_alu instid0(SALU_CYCLE_1)
	s_mov_b32 s57, exec_lo
	v_cmpx_lt_u32_e64 v106, v137
	s_cbranch_execnz .LBB494_849
.LBB494_783:                            ;   in Loop: Header=BB494_682 Depth=2
	s_or_b32 exec_lo, exec_lo, s57
	s_delay_alu instid0(SALU_CYCLE_1)
	s_mov_b32 s57, exec_lo
	v_cmpx_lt_u32_e64 v107, v137
	s_cbranch_execnz .LBB494_850
.LBB494_784:                            ;   in Loop: Header=BB494_682 Depth=2
	s_or_b32 exec_lo, exec_lo, s57
	s_delay_alu instid0(SALU_CYCLE_1)
	s_mov_b32 s57, exec_lo
	v_cmpx_lt_u32_e64 v108, v137
	s_cbranch_execnz .LBB494_851
.LBB494_785:                            ;   in Loop: Header=BB494_682 Depth=2
	s_or_b32 exec_lo, exec_lo, s57
	s_delay_alu instid0(SALU_CYCLE_1)
	s_mov_b32 s57, exec_lo
	v_cmpx_lt_u32_e64 v109, v137
	s_cbranch_execnz .LBB494_852
.LBB494_786:                            ;   in Loop: Header=BB494_682 Depth=2
	s_or_b32 exec_lo, exec_lo, s57
	s_delay_alu instid0(SALU_CYCLE_1)
	s_mov_b32 s57, exec_lo
	v_cmpx_lt_u32_e64 v110, v137
	s_cbranch_execnz .LBB494_853
.LBB494_787:                            ;   in Loop: Header=BB494_682 Depth=2
	s_or_b32 exec_lo, exec_lo, s57
	s_delay_alu instid0(SALU_CYCLE_1)
	s_mov_b32 s57, exec_lo
	v_cmpx_lt_u32_e64 v111, v137
	s_cbranch_execnz .LBB494_854
.LBB494_788:                            ;   in Loop: Header=BB494_682 Depth=2
	s_or_b32 exec_lo, exec_lo, s57
	s_delay_alu instid0(SALU_CYCLE_1)
	s_mov_b32 s57, exec_lo
	v_cmpx_lt_u32_e64 v112, v137
	s_cbranch_execnz .LBB494_855
.LBB494_789:                            ;   in Loop: Header=BB494_682 Depth=2
	s_or_b32 exec_lo, exec_lo, s57
	s_delay_alu instid0(SALU_CYCLE_1)
	s_mov_b32 s57, exec_lo
	v_cmpx_lt_u32_e64 v113, v137
	s_cbranch_execnz .LBB494_856
.LBB494_790:                            ;   in Loop: Header=BB494_682 Depth=2
	s_or_b32 exec_lo, exec_lo, s57
	s_delay_alu instid0(SALU_CYCLE_1)
	s_mov_b32 s57, exec_lo
	v_cmpx_lt_u32_e64 v114, v137
	s_cbranch_execnz .LBB494_857
.LBB494_791:                            ;   in Loop: Header=BB494_682 Depth=2
	s_or_b32 exec_lo, exec_lo, s57
	s_delay_alu instid0(SALU_CYCLE_1)
	s_mov_b32 s57, exec_lo
	v_cmpx_lt_u32_e64 v115, v137
	s_cbranch_execnz .LBB494_858
.LBB494_792:                            ;   in Loop: Header=BB494_682 Depth=2
	s_or_b32 exec_lo, exec_lo, s57
	s_delay_alu instid0(SALU_CYCLE_1)
	s_mov_b32 s57, exec_lo
	v_cmpx_lt_u32_e64 v116, v137
	s_cbranch_execnz .LBB494_859
.LBB494_793:                            ;   in Loop: Header=BB494_682 Depth=2
	s_or_b32 exec_lo, exec_lo, s57
	s_and_saveexec_b32 s30, vcc_lo
	s_cbranch_execnz .LBB494_860
.LBB494_794:                            ;   in Loop: Header=BB494_682 Depth=2
	s_or_b32 exec_lo, exec_lo, s30
	s_and_saveexec_b32 s30, s15
	s_cbranch_execnz .LBB494_861
.LBB494_795:                            ;   in Loop: Header=BB494_682 Depth=2
	s_or_b32 exec_lo, exec_lo, s30
	s_and_saveexec_b32 s30, s16
	s_cbranch_execnz .LBB494_862
.LBB494_796:                            ;   in Loop: Header=BB494_682 Depth=2
	s_or_b32 exec_lo, exec_lo, s30
	s_and_saveexec_b32 s30, s17
	s_cbranch_execnz .LBB494_863
.LBB494_797:                            ;   in Loop: Header=BB494_682 Depth=2
	s_or_b32 exec_lo, exec_lo, s30
	s_and_saveexec_b32 s30, s18
	s_cbranch_execnz .LBB494_864
.LBB494_798:                            ;   in Loop: Header=BB494_682 Depth=2
	s_or_b32 exec_lo, exec_lo, s30
	s_and_saveexec_b32 s30, s19
	s_cbranch_execnz .LBB494_865
.LBB494_799:                            ;   in Loop: Header=BB494_682 Depth=2
	s_or_b32 exec_lo, exec_lo, s30
	s_and_saveexec_b32 s30, s20
	s_cbranch_execnz .LBB494_866
.LBB494_800:                            ;   in Loop: Header=BB494_682 Depth=2
	s_or_b32 exec_lo, exec_lo, s30
	s_and_saveexec_b32 s30, s21
	s_cbranch_execnz .LBB494_867
.LBB494_801:                            ;   in Loop: Header=BB494_682 Depth=2
	s_or_b32 exec_lo, exec_lo, s30
	s_and_saveexec_b32 s30, s22
	s_cbranch_execnz .LBB494_868
.LBB494_802:                            ;   in Loop: Header=BB494_682 Depth=2
	s_or_b32 exec_lo, exec_lo, s30
	s_and_saveexec_b32 s30, s23
	s_cbranch_execnz .LBB494_869
.LBB494_803:                            ;   in Loop: Header=BB494_682 Depth=2
	s_or_b32 exec_lo, exec_lo, s30
	s_and_saveexec_b32 s30, s24
	s_cbranch_execnz .LBB494_870
.LBB494_804:                            ;   in Loop: Header=BB494_682 Depth=2
	s_or_b32 exec_lo, exec_lo, s30
	s_and_saveexec_b32 s30, s25
	s_cbranch_execnz .LBB494_871
.LBB494_805:                            ;   in Loop: Header=BB494_682 Depth=2
	s_or_b32 exec_lo, exec_lo, s30
	s_and_saveexec_b32 s30, s26
	s_cbranch_execnz .LBB494_872
.LBB494_806:                            ;   in Loop: Header=BB494_682 Depth=2
	s_or_b32 exec_lo, exec_lo, s30
	s_and_saveexec_b32 s30, s27
	s_cbranch_execnz .LBB494_873
.LBB494_807:                            ;   in Loop: Header=BB494_682 Depth=2
	s_or_b32 exec_lo, exec_lo, s30
	s_and_saveexec_b32 s30, s28
	s_cbranch_execnz .LBB494_874
.LBB494_808:                            ;   in Loop: Header=BB494_682 Depth=2
	s_or_b32 exec_lo, exec_lo, s30
	s_and_saveexec_b32 s30, s29
	s_cbranch_execz .LBB494_810
.LBB494_809:                            ;   in Loop: Header=BB494_682 Depth=2
	ds_load_b32 v62, v93 offset:16384
	s_wait_dscnt 0x0
	v_lshrrev_b32_e32 v62, s49, v62
	s_delay_alu instid0(VALU_DEP_1)
	v_and_b32_e32 v121, s48, v62
.LBB494_810:                            ;   in Loop: Header=BB494_682 Depth=2
	s_or_b32 exec_lo, exec_lo, s30
	v_dual_lshlrev_b32 v62, 3, v162 :: v_dual_lshlrev_b32 v138, 3, v149
	s_wait_loadcnt 0x0
	s_wait_storecnt 0x0
	s_barrier_signal -1
	s_barrier_wait -1
	ds_store_b64 v62, v[60:61] offset:1024
	v_dual_lshlrev_b32 v62, 3, v158 :: v_dual_lshlrev_b32 v139, 3, v148
	v_lshlrev_b32_e32 v63, 3, v154
	v_lshlrev_b32_e32 v137, 3, v150
	ds_store_b64 v62, v[58:59] offset:1024
	ds_store_b64 v63, v[56:57] offset:1024
	ds_store_b64 v137, v[54:55] offset:1024
	ds_store_b64 v138, v[52:53] offset:1024
	ds_store_b64 v139, v[50:51] offset:1024
	v_dual_lshlrev_b32 v62, 3, v146 :: v_dual_lshlrev_b32 v139, 3, v141
	v_dual_lshlrev_b32 v63, 3, v145 :: v_dual_lshlrev_b32 v137, 3, v144
	v_lshlrev_b32_e32 v138, 3, v142
	ds_store_b64 v62, v[48:49] offset:1024
	ds_store_b64 v63, v[46:47] offset:1024
	;; [unrolled: 1-line block ×5, first 2 shown]
	v_lshlrev_b32_e32 v62, 3, v65
	v_dual_lshlrev_b32 v63, 3, v69 :: v_dual_lshlrev_b32 v65, 3, v68
	v_dual_lshlrev_b32 v67, 3, v67 :: v_dual_lshlrev_b32 v66, 3, v66
	ds_store_b64 v62, v[38:39] offset:1024
	ds_store_b64 v63, v[36:37] offset:1024
	ds_store_b64 v65, v[34:35] offset:1024
	ds_store_b64 v67, v[32:33] offset:1024
	ds_store_b64 v66, v[30:31] offset:1024
	s_wait_dscnt 0x0
	s_barrier_signal -1
	s_barrier_wait -1
	s_and_saveexec_b32 s30, vcc_lo
	s_cbranch_execnz .LBB494_875
; %bb.811:                              ;   in Loop: Header=BB494_682 Depth=2
	s_or_b32 exec_lo, exec_lo, s30
	s_and_saveexec_b32 s30, s15
	s_cbranch_execnz .LBB494_876
.LBB494_812:                            ;   in Loop: Header=BB494_682 Depth=2
	s_or_b32 exec_lo, exec_lo, s30
	s_and_saveexec_b32 s15, s16
	s_cbranch_execnz .LBB494_877
.LBB494_813:                            ;   in Loop: Header=BB494_682 Depth=2
	s_or_b32 exec_lo, exec_lo, s15
	s_and_saveexec_b32 s15, s17
	s_cbranch_execnz .LBB494_878
.LBB494_814:                            ;   in Loop: Header=BB494_682 Depth=2
	s_or_b32 exec_lo, exec_lo, s15
	s_and_saveexec_b32 s15, s18
	s_cbranch_execnz .LBB494_879
.LBB494_815:                            ;   in Loop: Header=BB494_682 Depth=2
	s_or_b32 exec_lo, exec_lo, s15
	s_and_saveexec_b32 s15, s19
	s_cbranch_execnz .LBB494_880
.LBB494_816:                            ;   in Loop: Header=BB494_682 Depth=2
	s_or_b32 exec_lo, exec_lo, s15
	s_and_saveexec_b32 s15, s20
	s_cbranch_execnz .LBB494_881
.LBB494_817:                            ;   in Loop: Header=BB494_682 Depth=2
	s_or_b32 exec_lo, exec_lo, s15
	s_and_saveexec_b32 s15, s21
	s_cbranch_execnz .LBB494_882
.LBB494_818:                            ;   in Loop: Header=BB494_682 Depth=2
	s_or_b32 exec_lo, exec_lo, s15
	s_and_saveexec_b32 s15, s22
	s_cbranch_execnz .LBB494_883
.LBB494_819:                            ;   in Loop: Header=BB494_682 Depth=2
	s_or_b32 exec_lo, exec_lo, s15
	s_and_saveexec_b32 s15, s23
	s_cbranch_execnz .LBB494_884
.LBB494_820:                            ;   in Loop: Header=BB494_682 Depth=2
	s_or_b32 exec_lo, exec_lo, s15
	s_and_saveexec_b32 s15, s24
	s_cbranch_execnz .LBB494_885
.LBB494_821:                            ;   in Loop: Header=BB494_682 Depth=2
	s_or_b32 exec_lo, exec_lo, s15
	s_and_saveexec_b32 s15, s25
	s_cbranch_execnz .LBB494_886
.LBB494_822:                            ;   in Loop: Header=BB494_682 Depth=2
	s_or_b32 exec_lo, exec_lo, s15
	s_and_saveexec_b32 s15, s26
	s_cbranch_execnz .LBB494_887
.LBB494_823:                            ;   in Loop: Header=BB494_682 Depth=2
	s_or_b32 exec_lo, exec_lo, s15
	s_and_saveexec_b32 s15, s27
	s_cbranch_execnz .LBB494_888
.LBB494_824:                            ;   in Loop: Header=BB494_682 Depth=2
	s_or_b32 exec_lo, exec_lo, s15
	s_and_saveexec_b32 s15, s28
	s_cbranch_execnz .LBB494_889
.LBB494_825:                            ;   in Loop: Header=BB494_682 Depth=2
	s_or_b32 exec_lo, exec_lo, s15
	s_and_saveexec_b32 s15, s29
	s_cbranch_execz .LBB494_827
.LBB494_826:                            ;   in Loop: Header=BB494_682 Depth=2
	v_dual_lshlrev_b32 v62, 2, v121 :: v_dual_add_nc_u32 v63, v93, v4
	ds_load_b32 v65, v62
	ds_load_b64 v[62:63], v63 offset:31744
	s_wait_dscnt 0x1
	v_add_nc_u32_e32 v65, v65, v83
	s_wait_dscnt 0x0
	global_store_b64 v65, v[62:63], s[44:45] scale_offset
.LBB494_827:                            ;   in Loop: Header=BB494_682 Depth=2
	s_wait_xcnt 0x0
	s_or_b32 exec_lo, exec_lo, s15
	s_wait_storecnt 0x0
	s_barrier_signal -1
	s_barrier_wait -1
	s_and_saveexec_b32 s15, s0
	s_cbranch_execz .LBB494_681
; %bb.828:                              ;   in Loop: Header=BB494_682 Depth=2
	ds_load_b32 v62, v4
	s_wait_dscnt 0x0
	v_add_nc_u32_e32 v62, v62, v64
	ds_store_b32 v4, v62
	s_branch .LBB494_681
.LBB494_829:                            ;   in Loop: Header=BB494_682 Depth=2
	ds_load_b32 v62, v93 offset:1024
	s_wait_dscnt 0x0
	v_lshrrev_b32_e32 v63, s49, v62
	v_xor_b32_e32 v62, 0x7fffffff, v62
	s_delay_alu instid0(VALU_DEP_2) | instskip(NEXT) | instid1(VALU_DEP_1)
	v_and_b32_e32 v63, s48, v63
	v_lshlrev_b32_e32 v63, 2, v63
	ds_load_b32 v63, v63
	s_wait_dscnt 0x0
	v_add_nc_u32_e32 v63, v63, v2
	global_store_b32 v63, v62, s[38:39] scale_offset
	s_wait_xcnt 0x0
	s_or_b32 exec_lo, exec_lo, s15
	v_cmp_lt_u32_e64 s15, v3, v137
	s_and_saveexec_b32 s16, s15
	s_cbranch_execz .LBB494_762
.LBB494_830:                            ;   in Loop: Header=BB494_682 Depth=2
	ds_load_b32 v62, v93 offset:2048
	s_wait_dscnt 0x0
	v_lshrrev_b32_e32 v63, s49, v62
	v_xor_b32_e32 v62, 0x7fffffff, v62
	s_delay_alu instid0(VALU_DEP_2) | instskip(NEXT) | instid1(VALU_DEP_1)
	v_and_b32_e32 v63, s48, v63
	v_lshlrev_b32_e32 v63, 2, v63
	ds_load_b32 v63, v63
	s_wait_dscnt 0x0
	v_add_nc_u32_e32 v63, v63, v3
	global_store_b32 v63, v62, s[38:39] scale_offset
	s_wait_xcnt 0x0
	s_or_b32 exec_lo, exec_lo, s16
	v_cmp_lt_u32_e64 s16, v70, v137
	s_and_saveexec_b32 s17, s16
	s_cbranch_execz .LBB494_763
.LBB494_831:                            ;   in Loop: Header=BB494_682 Depth=2
	ds_load_b32 v62, v93 offset:3072
	s_wait_dscnt 0x0
	v_lshrrev_b32_e32 v63, s49, v62
	v_xor_b32_e32 v62, 0x7fffffff, v62
	s_delay_alu instid0(VALU_DEP_2) | instskip(NEXT) | instid1(VALU_DEP_1)
	v_and_b32_e32 v63, s48, v63
	v_lshlrev_b32_e32 v63, 2, v63
	ds_load_b32 v63, v63
	s_wait_dscnt 0x0
	v_add_nc_u32_e32 v63, v63, v70
	global_store_b32 v63, v62, s[38:39] scale_offset
	s_wait_xcnt 0x0
	s_or_b32 exec_lo, exec_lo, s17
	v_cmp_lt_u32_e64 s17, v71, v137
	s_and_saveexec_b32 s18, s17
	s_cbranch_execz .LBB494_764
.LBB494_832:                            ;   in Loop: Header=BB494_682 Depth=2
	ds_load_b32 v62, v93 offset:4096
	s_wait_dscnt 0x0
	v_lshrrev_b32_e32 v63, s49, v62
	v_xor_b32_e32 v62, 0x7fffffff, v62
	s_delay_alu instid0(VALU_DEP_2) | instskip(NEXT) | instid1(VALU_DEP_1)
	v_and_b32_e32 v63, s48, v63
	v_lshlrev_b32_e32 v63, 2, v63
	ds_load_b32 v63, v63
	s_wait_dscnt 0x0
	v_add_nc_u32_e32 v63, v63, v71
	global_store_b32 v63, v62, s[38:39] scale_offset
	s_wait_xcnt 0x0
	s_or_b32 exec_lo, exec_lo, s18
	v_cmp_lt_u32_e64 s18, v72, v137
	s_and_saveexec_b32 s19, s18
	s_cbranch_execz .LBB494_765
.LBB494_833:                            ;   in Loop: Header=BB494_682 Depth=2
	ds_load_b32 v62, v93 offset:5120
	s_wait_dscnt 0x0
	v_lshrrev_b32_e32 v63, s49, v62
	v_xor_b32_e32 v62, 0x7fffffff, v62
	s_delay_alu instid0(VALU_DEP_2) | instskip(NEXT) | instid1(VALU_DEP_1)
	v_and_b32_e32 v63, s48, v63
	v_lshlrev_b32_e32 v63, 2, v63
	ds_load_b32 v63, v63
	s_wait_dscnt 0x0
	v_add_nc_u32_e32 v63, v63, v72
	global_store_b32 v63, v62, s[38:39] scale_offset
	s_wait_xcnt 0x0
	s_or_b32 exec_lo, exec_lo, s19
	v_cmp_lt_u32_e64 s19, v73, v137
	s_and_saveexec_b32 s20, s19
	s_cbranch_execz .LBB494_766
.LBB494_834:                            ;   in Loop: Header=BB494_682 Depth=2
	ds_load_b32 v62, v93 offset:6144
	s_wait_dscnt 0x0
	v_lshrrev_b32_e32 v63, s49, v62
	v_xor_b32_e32 v62, 0x7fffffff, v62
	s_delay_alu instid0(VALU_DEP_2) | instskip(NEXT) | instid1(VALU_DEP_1)
	v_and_b32_e32 v63, s48, v63
	v_lshlrev_b32_e32 v63, 2, v63
	ds_load_b32 v63, v63
	s_wait_dscnt 0x0
	v_add_nc_u32_e32 v63, v63, v73
	global_store_b32 v63, v62, s[38:39] scale_offset
	s_wait_xcnt 0x0
	s_or_b32 exec_lo, exec_lo, s20
	v_cmp_lt_u32_e64 s20, v74, v137
	s_and_saveexec_b32 s21, s20
	s_cbranch_execz .LBB494_767
.LBB494_835:                            ;   in Loop: Header=BB494_682 Depth=2
	ds_load_b32 v62, v93 offset:7168
	s_wait_dscnt 0x0
	v_lshrrev_b32_e32 v63, s49, v62
	v_xor_b32_e32 v62, 0x7fffffff, v62
	s_delay_alu instid0(VALU_DEP_2) | instskip(NEXT) | instid1(VALU_DEP_1)
	v_and_b32_e32 v63, s48, v63
	v_lshlrev_b32_e32 v63, 2, v63
	ds_load_b32 v63, v63
	s_wait_dscnt 0x0
	v_add_nc_u32_e32 v63, v63, v74
	global_store_b32 v63, v62, s[38:39] scale_offset
	s_wait_xcnt 0x0
	s_or_b32 exec_lo, exec_lo, s21
	v_cmp_lt_u32_e64 s21, v75, v137
	s_and_saveexec_b32 s22, s21
	s_cbranch_execz .LBB494_768
.LBB494_836:                            ;   in Loop: Header=BB494_682 Depth=2
	ds_load_b32 v62, v93 offset:8192
	s_wait_dscnt 0x0
	v_lshrrev_b32_e32 v63, s49, v62
	v_xor_b32_e32 v62, 0x7fffffff, v62
	s_delay_alu instid0(VALU_DEP_2) | instskip(NEXT) | instid1(VALU_DEP_1)
	v_and_b32_e32 v63, s48, v63
	v_lshlrev_b32_e32 v63, 2, v63
	ds_load_b32 v63, v63
	s_wait_dscnt 0x0
	v_add_nc_u32_e32 v63, v63, v75
	global_store_b32 v63, v62, s[38:39] scale_offset
	s_wait_xcnt 0x0
	s_or_b32 exec_lo, exec_lo, s22
	v_cmp_lt_u32_e64 s22, v76, v137
	s_and_saveexec_b32 s23, s22
	s_cbranch_execz .LBB494_769
.LBB494_837:                            ;   in Loop: Header=BB494_682 Depth=2
	ds_load_b32 v62, v93 offset:9216
	s_wait_dscnt 0x0
	v_lshrrev_b32_e32 v63, s49, v62
	v_xor_b32_e32 v62, 0x7fffffff, v62
	s_delay_alu instid0(VALU_DEP_2) | instskip(NEXT) | instid1(VALU_DEP_1)
	v_and_b32_e32 v63, s48, v63
	v_lshlrev_b32_e32 v63, 2, v63
	ds_load_b32 v63, v63
	s_wait_dscnt 0x0
	v_add_nc_u32_e32 v63, v63, v76
	global_store_b32 v63, v62, s[38:39] scale_offset
	s_wait_xcnt 0x0
	s_or_b32 exec_lo, exec_lo, s23
	v_cmp_lt_u32_e64 s23, v77, v137
	s_and_saveexec_b32 s24, s23
	s_cbranch_execz .LBB494_770
.LBB494_838:                            ;   in Loop: Header=BB494_682 Depth=2
	ds_load_b32 v62, v93 offset:10240
	s_wait_dscnt 0x0
	v_lshrrev_b32_e32 v63, s49, v62
	v_xor_b32_e32 v62, 0x7fffffff, v62
	s_delay_alu instid0(VALU_DEP_2) | instskip(NEXT) | instid1(VALU_DEP_1)
	v_and_b32_e32 v63, s48, v63
	v_lshlrev_b32_e32 v63, 2, v63
	ds_load_b32 v63, v63
	s_wait_dscnt 0x0
	v_add_nc_u32_e32 v63, v63, v77
	global_store_b32 v63, v62, s[38:39] scale_offset
	s_wait_xcnt 0x0
	s_or_b32 exec_lo, exec_lo, s24
	v_cmp_lt_u32_e64 s24, v78, v137
	s_and_saveexec_b32 s25, s24
	s_cbranch_execz .LBB494_771
.LBB494_839:                            ;   in Loop: Header=BB494_682 Depth=2
	ds_load_b32 v62, v93 offset:11264
	s_wait_dscnt 0x0
	v_lshrrev_b32_e32 v63, s49, v62
	v_xor_b32_e32 v62, 0x7fffffff, v62
	s_delay_alu instid0(VALU_DEP_2) | instskip(NEXT) | instid1(VALU_DEP_1)
	v_and_b32_e32 v63, s48, v63
	v_lshlrev_b32_e32 v63, 2, v63
	ds_load_b32 v63, v63
	s_wait_dscnt 0x0
	v_add_nc_u32_e32 v63, v63, v78
	global_store_b32 v63, v62, s[38:39] scale_offset
	s_wait_xcnt 0x0
	s_or_b32 exec_lo, exec_lo, s25
	v_cmp_lt_u32_e64 s25, v79, v137
	s_and_saveexec_b32 s26, s25
	s_cbranch_execz .LBB494_772
.LBB494_840:                            ;   in Loop: Header=BB494_682 Depth=2
	ds_load_b32 v62, v93 offset:12288
	s_wait_dscnt 0x0
	v_lshrrev_b32_e32 v63, s49, v62
	v_xor_b32_e32 v62, 0x7fffffff, v62
	s_delay_alu instid0(VALU_DEP_2) | instskip(NEXT) | instid1(VALU_DEP_1)
	v_and_b32_e32 v63, s48, v63
	v_lshlrev_b32_e32 v63, 2, v63
	ds_load_b32 v63, v63
	s_wait_dscnt 0x0
	v_add_nc_u32_e32 v63, v63, v79
	global_store_b32 v63, v62, s[38:39] scale_offset
	s_wait_xcnt 0x0
	s_or_b32 exec_lo, exec_lo, s26
	v_cmp_lt_u32_e64 s26, v80, v137
	s_and_saveexec_b32 s27, s26
	s_cbranch_execz .LBB494_773
.LBB494_841:                            ;   in Loop: Header=BB494_682 Depth=2
	ds_load_b32 v62, v93 offset:13312
	s_wait_dscnt 0x0
	v_lshrrev_b32_e32 v63, s49, v62
	v_xor_b32_e32 v62, 0x7fffffff, v62
	s_delay_alu instid0(VALU_DEP_2) | instskip(NEXT) | instid1(VALU_DEP_1)
	v_and_b32_e32 v63, s48, v63
	v_lshlrev_b32_e32 v63, 2, v63
	ds_load_b32 v63, v63
	s_wait_dscnt 0x0
	v_add_nc_u32_e32 v63, v63, v80
	global_store_b32 v63, v62, s[38:39] scale_offset
	s_wait_xcnt 0x0
	s_or_b32 exec_lo, exec_lo, s27
	v_cmp_lt_u32_e64 s27, v81, v137
	s_and_saveexec_b32 s28, s27
	s_cbranch_execz .LBB494_774
.LBB494_842:                            ;   in Loop: Header=BB494_682 Depth=2
	ds_load_b32 v62, v93 offset:14336
	s_wait_dscnt 0x0
	v_lshrrev_b32_e32 v63, s49, v62
	v_xor_b32_e32 v62, 0x7fffffff, v62
	s_delay_alu instid0(VALU_DEP_2) | instskip(NEXT) | instid1(VALU_DEP_1)
	v_and_b32_e32 v63, s48, v63
	v_lshlrev_b32_e32 v63, 2, v63
	ds_load_b32 v63, v63
	s_wait_dscnt 0x0
	v_add_nc_u32_e32 v63, v63, v81
	global_store_b32 v63, v62, s[38:39] scale_offset
	s_wait_xcnt 0x0
	s_or_b32 exec_lo, exec_lo, s28
	v_cmp_lt_u32_e64 s28, v82, v137
	s_and_saveexec_b32 s29, s28
	s_cbranch_execz .LBB494_775
.LBB494_843:                            ;   in Loop: Header=BB494_682 Depth=2
	ds_load_b32 v62, v93 offset:15360
	s_wait_dscnt 0x0
	v_lshrrev_b32_e32 v63, s49, v62
	v_xor_b32_e32 v62, 0x7fffffff, v62
	s_delay_alu instid0(VALU_DEP_2) | instskip(NEXT) | instid1(VALU_DEP_1)
	v_and_b32_e32 v63, s48, v63
	v_lshlrev_b32_e32 v63, 2, v63
	ds_load_b32 v63, v63
	s_wait_dscnt 0x0
	v_add_nc_u32_e32 v63, v63, v82
	global_store_b32 v63, v62, s[38:39] scale_offset
	s_wait_xcnt 0x0
	s_or_b32 exec_lo, exec_lo, s29
	v_cmp_lt_u32_e64 s29, v83, v137
	s_and_saveexec_b32 s57, s29
	s_cbranch_execnz .LBB494_776
	s_branch .LBB494_777
.LBB494_844:                            ;   in Loop: Header=BB494_682 Depth=2
	global_load_b64 v[60:61], v[62:63], off
	s_wait_xcnt 0x0
	s_or_b32 exec_lo, exec_lo, s30
	s_delay_alu instid0(SALU_CYCLE_1)
	s_mov_b32 s57, exec_lo
	v_cmpx_lt_u32_e64 v102, v137
	s_cbranch_execz .LBB494_779
.LBB494_845:                            ;   in Loop: Header=BB494_682 Depth=2
	global_load_b64 v[58:59], v[62:63], off offset:256
	s_wait_xcnt 0x0
	s_or_b32 exec_lo, exec_lo, s57
	s_delay_alu instid0(SALU_CYCLE_1)
	s_mov_b32 s57, exec_lo
	v_cmpx_lt_u32_e64 v103, v137
	s_cbranch_execz .LBB494_780
.LBB494_846:                            ;   in Loop: Header=BB494_682 Depth=2
	global_load_b64 v[56:57], v[62:63], off offset:512
	s_wait_xcnt 0x0
	s_or_b32 exec_lo, exec_lo, s57
	s_delay_alu instid0(SALU_CYCLE_1)
	s_mov_b32 s57, exec_lo
	v_cmpx_lt_u32_e64 v104, v137
	s_cbranch_execz .LBB494_781
.LBB494_847:                            ;   in Loop: Header=BB494_682 Depth=2
	global_load_b64 v[54:55], v[62:63], off offset:768
	s_wait_xcnt 0x0
	s_or_b32 exec_lo, exec_lo, s57
	s_delay_alu instid0(SALU_CYCLE_1)
	s_mov_b32 s57, exec_lo
	v_cmpx_lt_u32_e64 v105, v137
	s_cbranch_execz .LBB494_782
.LBB494_848:                            ;   in Loop: Header=BB494_682 Depth=2
	global_load_b64 v[52:53], v[62:63], off offset:1024
	s_wait_xcnt 0x0
	s_or_b32 exec_lo, exec_lo, s57
	s_delay_alu instid0(SALU_CYCLE_1)
	s_mov_b32 s57, exec_lo
	v_cmpx_lt_u32_e64 v106, v137
	s_cbranch_execz .LBB494_783
.LBB494_849:                            ;   in Loop: Header=BB494_682 Depth=2
	global_load_b64 v[50:51], v[62:63], off offset:1280
	s_wait_xcnt 0x0
	s_or_b32 exec_lo, exec_lo, s57
	s_delay_alu instid0(SALU_CYCLE_1)
	s_mov_b32 s57, exec_lo
	v_cmpx_lt_u32_e64 v107, v137
	s_cbranch_execz .LBB494_784
.LBB494_850:                            ;   in Loop: Header=BB494_682 Depth=2
	global_load_b64 v[48:49], v[62:63], off offset:1536
	s_wait_xcnt 0x0
	s_or_b32 exec_lo, exec_lo, s57
	s_delay_alu instid0(SALU_CYCLE_1)
	s_mov_b32 s57, exec_lo
	v_cmpx_lt_u32_e64 v108, v137
	s_cbranch_execz .LBB494_785
.LBB494_851:                            ;   in Loop: Header=BB494_682 Depth=2
	global_load_b64 v[46:47], v[62:63], off offset:1792
	s_wait_xcnt 0x0
	s_or_b32 exec_lo, exec_lo, s57
	s_delay_alu instid0(SALU_CYCLE_1)
	s_mov_b32 s57, exec_lo
	v_cmpx_lt_u32_e64 v109, v137
	s_cbranch_execz .LBB494_786
.LBB494_852:                            ;   in Loop: Header=BB494_682 Depth=2
	global_load_b64 v[44:45], v[62:63], off offset:2048
	s_wait_xcnt 0x0
	s_or_b32 exec_lo, exec_lo, s57
	s_delay_alu instid0(SALU_CYCLE_1)
	s_mov_b32 s57, exec_lo
	v_cmpx_lt_u32_e64 v110, v137
	s_cbranch_execz .LBB494_787
.LBB494_853:                            ;   in Loop: Header=BB494_682 Depth=2
	global_load_b64 v[42:43], v[62:63], off offset:2304
	s_wait_xcnt 0x0
	s_or_b32 exec_lo, exec_lo, s57
	s_delay_alu instid0(SALU_CYCLE_1)
	s_mov_b32 s57, exec_lo
	v_cmpx_lt_u32_e64 v111, v137
	s_cbranch_execz .LBB494_788
.LBB494_854:                            ;   in Loop: Header=BB494_682 Depth=2
	global_load_b64 v[40:41], v[62:63], off offset:2560
	s_wait_xcnt 0x0
	s_or_b32 exec_lo, exec_lo, s57
	s_delay_alu instid0(SALU_CYCLE_1)
	s_mov_b32 s57, exec_lo
	v_cmpx_lt_u32_e64 v112, v137
	s_cbranch_execz .LBB494_789
.LBB494_855:                            ;   in Loop: Header=BB494_682 Depth=2
	global_load_b64 v[38:39], v[62:63], off offset:2816
	s_wait_xcnt 0x0
	s_or_b32 exec_lo, exec_lo, s57
	s_delay_alu instid0(SALU_CYCLE_1)
	s_mov_b32 s57, exec_lo
	v_cmpx_lt_u32_e64 v113, v137
	s_cbranch_execz .LBB494_790
.LBB494_856:                            ;   in Loop: Header=BB494_682 Depth=2
	global_load_b64 v[36:37], v[62:63], off offset:3072
	s_wait_xcnt 0x0
	s_or_b32 exec_lo, exec_lo, s57
	s_delay_alu instid0(SALU_CYCLE_1)
	s_mov_b32 s57, exec_lo
	v_cmpx_lt_u32_e64 v114, v137
	s_cbranch_execz .LBB494_791
.LBB494_857:                            ;   in Loop: Header=BB494_682 Depth=2
	global_load_b64 v[34:35], v[62:63], off offset:3328
	s_wait_xcnt 0x0
	s_or_b32 exec_lo, exec_lo, s57
	s_delay_alu instid0(SALU_CYCLE_1)
	s_mov_b32 s57, exec_lo
	v_cmpx_lt_u32_e64 v115, v137
	s_cbranch_execz .LBB494_792
.LBB494_858:                            ;   in Loop: Header=BB494_682 Depth=2
	global_load_b64 v[32:33], v[62:63], off offset:3584
	s_wait_xcnt 0x0
	s_or_b32 exec_lo, exec_lo, s57
	s_delay_alu instid0(SALU_CYCLE_1)
	s_mov_b32 s57, exec_lo
	v_cmpx_lt_u32_e64 v116, v137
	s_cbranch_execz .LBB494_793
.LBB494_859:                            ;   in Loop: Header=BB494_682 Depth=2
	global_load_b64 v[30:31], v[62:63], off offset:3840
	s_wait_xcnt 0x0
	s_or_b32 exec_lo, exec_lo, s57
	s_and_saveexec_b32 s30, vcc_lo
	s_cbranch_execz .LBB494_794
.LBB494_860:                            ;   in Loop: Header=BB494_682 Depth=2
	ds_load_b32 v62, v93 offset:1024
	s_wait_dscnt 0x0
	v_lshrrev_b32_e32 v62, s49, v62
	s_delay_alu instid0(VALU_DEP_1)
	v_and_b32_e32 v136, s48, v62
	s_or_b32 exec_lo, exec_lo, s30
	s_and_saveexec_b32 s30, s15
	s_cbranch_execz .LBB494_795
.LBB494_861:                            ;   in Loop: Header=BB494_682 Depth=2
	ds_load_b32 v62, v93 offset:2048
	s_wait_dscnt 0x0
	v_lshrrev_b32_e32 v62, s49, v62
	s_delay_alu instid0(VALU_DEP_1)
	v_and_b32_e32 v135, s48, v62
	s_or_b32 exec_lo, exec_lo, s30
	s_and_saveexec_b32 s30, s16
	s_cbranch_execz .LBB494_796
.LBB494_862:                            ;   in Loop: Header=BB494_682 Depth=2
	ds_load_b32 v62, v93 offset:3072
	s_wait_dscnt 0x0
	v_lshrrev_b32_e32 v62, s49, v62
	s_delay_alu instid0(VALU_DEP_1)
	v_and_b32_e32 v134, s48, v62
	s_or_b32 exec_lo, exec_lo, s30
	s_and_saveexec_b32 s30, s17
	s_cbranch_execz .LBB494_797
.LBB494_863:                            ;   in Loop: Header=BB494_682 Depth=2
	ds_load_b32 v62, v93 offset:4096
	s_wait_dscnt 0x0
	v_lshrrev_b32_e32 v62, s49, v62
	s_delay_alu instid0(VALU_DEP_1)
	v_and_b32_e32 v133, s48, v62
	s_or_b32 exec_lo, exec_lo, s30
	s_and_saveexec_b32 s30, s18
	s_cbranch_execz .LBB494_798
.LBB494_864:                            ;   in Loop: Header=BB494_682 Depth=2
	ds_load_b32 v62, v93 offset:5120
	s_wait_dscnt 0x0
	v_lshrrev_b32_e32 v62, s49, v62
	s_delay_alu instid0(VALU_DEP_1)
	v_and_b32_e32 v132, s48, v62
	s_or_b32 exec_lo, exec_lo, s30
	s_and_saveexec_b32 s30, s19
	s_cbranch_execz .LBB494_799
.LBB494_865:                            ;   in Loop: Header=BB494_682 Depth=2
	ds_load_b32 v62, v93 offset:6144
	s_wait_dscnt 0x0
	v_lshrrev_b32_e32 v62, s49, v62
	s_delay_alu instid0(VALU_DEP_1)
	v_and_b32_e32 v131, s48, v62
	s_or_b32 exec_lo, exec_lo, s30
	s_and_saveexec_b32 s30, s20
	s_cbranch_execz .LBB494_800
.LBB494_866:                            ;   in Loop: Header=BB494_682 Depth=2
	ds_load_b32 v62, v93 offset:7168
	s_wait_dscnt 0x0
	v_lshrrev_b32_e32 v62, s49, v62
	s_delay_alu instid0(VALU_DEP_1)
	v_and_b32_e32 v130, s48, v62
	s_or_b32 exec_lo, exec_lo, s30
	s_and_saveexec_b32 s30, s21
	s_cbranch_execz .LBB494_801
.LBB494_867:                            ;   in Loop: Header=BB494_682 Depth=2
	ds_load_b32 v62, v93 offset:8192
	s_wait_dscnt 0x0
	v_lshrrev_b32_e32 v62, s49, v62
	s_delay_alu instid0(VALU_DEP_1)
	v_and_b32_e32 v129, s48, v62
	s_or_b32 exec_lo, exec_lo, s30
	s_and_saveexec_b32 s30, s22
	s_cbranch_execz .LBB494_802
.LBB494_868:                            ;   in Loop: Header=BB494_682 Depth=2
	ds_load_b32 v62, v93 offset:9216
	s_wait_dscnt 0x0
	v_lshrrev_b32_e32 v62, s49, v62
	s_delay_alu instid0(VALU_DEP_1)
	v_and_b32_e32 v128, s48, v62
	s_or_b32 exec_lo, exec_lo, s30
	s_and_saveexec_b32 s30, s23
	s_cbranch_execz .LBB494_803
.LBB494_869:                            ;   in Loop: Header=BB494_682 Depth=2
	ds_load_b32 v62, v93 offset:10240
	s_wait_dscnt 0x0
	v_lshrrev_b32_e32 v62, s49, v62
	s_delay_alu instid0(VALU_DEP_1)
	v_and_b32_e32 v127, s48, v62
	s_or_b32 exec_lo, exec_lo, s30
	s_and_saveexec_b32 s30, s24
	s_cbranch_execz .LBB494_804
.LBB494_870:                            ;   in Loop: Header=BB494_682 Depth=2
	ds_load_b32 v62, v93 offset:11264
	s_wait_dscnt 0x0
	v_lshrrev_b32_e32 v62, s49, v62
	s_delay_alu instid0(VALU_DEP_1)
	v_and_b32_e32 v126, s48, v62
	s_or_b32 exec_lo, exec_lo, s30
	s_and_saveexec_b32 s30, s25
	s_cbranch_execz .LBB494_805
.LBB494_871:                            ;   in Loop: Header=BB494_682 Depth=2
	ds_load_b32 v62, v93 offset:12288
	s_wait_dscnt 0x0
	v_lshrrev_b32_e32 v62, s49, v62
	s_delay_alu instid0(VALU_DEP_1)
	v_and_b32_e32 v125, s48, v62
	s_or_b32 exec_lo, exec_lo, s30
	s_and_saveexec_b32 s30, s26
	s_cbranch_execz .LBB494_806
.LBB494_872:                            ;   in Loop: Header=BB494_682 Depth=2
	ds_load_b32 v62, v93 offset:13312
	s_wait_dscnt 0x0
	v_lshrrev_b32_e32 v62, s49, v62
	s_delay_alu instid0(VALU_DEP_1)
	v_and_b32_e32 v124, s48, v62
	s_or_b32 exec_lo, exec_lo, s30
	s_and_saveexec_b32 s30, s27
	s_cbranch_execz .LBB494_807
.LBB494_873:                            ;   in Loop: Header=BB494_682 Depth=2
	ds_load_b32 v62, v93 offset:14336
	s_wait_dscnt 0x0
	v_lshrrev_b32_e32 v62, s49, v62
	s_delay_alu instid0(VALU_DEP_1)
	v_and_b32_e32 v123, s48, v62
	s_or_b32 exec_lo, exec_lo, s30
	s_and_saveexec_b32 s30, s28
	s_cbranch_execz .LBB494_808
.LBB494_874:                            ;   in Loop: Header=BB494_682 Depth=2
	ds_load_b32 v62, v93 offset:15360
	s_wait_dscnt 0x0
	v_lshrrev_b32_e32 v62, s49, v62
	s_delay_alu instid0(VALU_DEP_1)
	v_and_b32_e32 v122, s48, v62
	s_or_b32 exec_lo, exec_lo, s30
	s_and_saveexec_b32 s30, s29
	s_cbranch_execnz .LBB494_809
	s_branch .LBB494_810
.LBB494_875:                            ;   in Loop: Header=BB494_682 Depth=2
	v_lshlrev_b32_e32 v62, 2, v136
	v_add_nc_u32_e32 v63, v93, v4
	ds_load_b32 v65, v62
	ds_load_b64 v[62:63], v63 offset:1024
	s_wait_dscnt 0x1
	v_add_nc_u32_e32 v65, v65, v2
	s_wait_dscnt 0x0
	global_store_b64 v65, v[62:63], s[44:45] scale_offset
	s_wait_xcnt 0x0
	s_or_b32 exec_lo, exec_lo, s30
	s_and_saveexec_b32 s30, s15
	s_cbranch_execz .LBB494_812
.LBB494_876:                            ;   in Loop: Header=BB494_682 Depth=2
	v_dual_lshlrev_b32 v62, 2, v135 :: v_dual_add_nc_u32 v63, v93, v4
	ds_load_b32 v65, v62
	ds_load_b64 v[62:63], v63 offset:3072
	s_wait_dscnt 0x1
	v_add_nc_u32_e32 v65, v65, v3
	s_wait_dscnt 0x0
	global_store_b64 v65, v[62:63], s[44:45] scale_offset
	s_wait_xcnt 0x0
	s_or_b32 exec_lo, exec_lo, s30
	s_and_saveexec_b32 s15, s16
	s_cbranch_execz .LBB494_813
.LBB494_877:                            ;   in Loop: Header=BB494_682 Depth=2
	v_dual_lshlrev_b32 v62, 2, v134 :: v_dual_add_nc_u32 v63, v93, v4
	ds_load_b32 v65, v62
	ds_load_b64 v[62:63], v63 offset:5120
	s_wait_dscnt 0x1
	v_add_nc_u32_e32 v65, v65, v70
	s_wait_dscnt 0x0
	global_store_b64 v65, v[62:63], s[44:45] scale_offset
	s_wait_xcnt 0x0
	s_or_b32 exec_lo, exec_lo, s15
	s_and_saveexec_b32 s15, s17
	s_cbranch_execz .LBB494_814
.LBB494_878:                            ;   in Loop: Header=BB494_682 Depth=2
	v_dual_lshlrev_b32 v62, 2, v133 :: v_dual_add_nc_u32 v63, v93, v4
	ds_load_b32 v65, v62
	ds_load_b64 v[62:63], v63 offset:7168
	s_wait_dscnt 0x1
	v_add_nc_u32_e32 v65, v65, v71
	s_wait_dscnt 0x0
	global_store_b64 v65, v[62:63], s[44:45] scale_offset
	s_wait_xcnt 0x0
	s_or_b32 exec_lo, exec_lo, s15
	s_and_saveexec_b32 s15, s18
	s_cbranch_execz .LBB494_815
.LBB494_879:                            ;   in Loop: Header=BB494_682 Depth=2
	v_lshlrev_b32_e32 v62, 2, v132
	v_add_nc_u32_e32 v63, v93, v4
	ds_load_b32 v65, v62
	ds_load_b64 v[62:63], v63 offset:9216
	s_wait_dscnt 0x1
	v_add_nc_u32_e32 v65, v65, v72
	s_wait_dscnt 0x0
	global_store_b64 v65, v[62:63], s[44:45] scale_offset
	s_wait_xcnt 0x0
	s_or_b32 exec_lo, exec_lo, s15
	s_and_saveexec_b32 s15, s19
	s_cbranch_execz .LBB494_816
.LBB494_880:                            ;   in Loop: Header=BB494_682 Depth=2
	v_dual_lshlrev_b32 v62, 2, v131 :: v_dual_add_nc_u32 v63, v93, v4
	ds_load_b32 v65, v62
	ds_load_b64 v[62:63], v63 offset:11264
	s_wait_dscnt 0x1
	v_add_nc_u32_e32 v65, v65, v73
	s_wait_dscnt 0x0
	global_store_b64 v65, v[62:63], s[44:45] scale_offset
	s_wait_xcnt 0x0
	s_or_b32 exec_lo, exec_lo, s15
	s_and_saveexec_b32 s15, s20
	s_cbranch_execz .LBB494_817
.LBB494_881:                            ;   in Loop: Header=BB494_682 Depth=2
	v_dual_lshlrev_b32 v62, 2, v130 :: v_dual_add_nc_u32 v63, v93, v4
	ds_load_b32 v65, v62
	ds_load_b64 v[62:63], v63 offset:13312
	s_wait_dscnt 0x1
	v_add_nc_u32_e32 v65, v65, v74
	s_wait_dscnt 0x0
	global_store_b64 v65, v[62:63], s[44:45] scale_offset
	s_wait_xcnt 0x0
	s_or_b32 exec_lo, exec_lo, s15
	s_and_saveexec_b32 s15, s21
	s_cbranch_execz .LBB494_818
.LBB494_882:                            ;   in Loop: Header=BB494_682 Depth=2
	v_dual_lshlrev_b32 v62, 2, v129 :: v_dual_add_nc_u32 v63, v93, v4
	ds_load_b32 v65, v62
	ds_load_b64 v[62:63], v63 offset:15360
	s_wait_dscnt 0x1
	v_add_nc_u32_e32 v65, v65, v75
	s_wait_dscnt 0x0
	global_store_b64 v65, v[62:63], s[44:45] scale_offset
	s_wait_xcnt 0x0
	s_or_b32 exec_lo, exec_lo, s15
	s_and_saveexec_b32 s15, s22
	s_cbranch_execz .LBB494_819
.LBB494_883:                            ;   in Loop: Header=BB494_682 Depth=2
	v_lshlrev_b32_e32 v62, 2, v128
	v_add_nc_u32_e32 v63, v93, v4
	ds_load_b32 v65, v62
	ds_load_b64 v[62:63], v63 offset:17408
	s_wait_dscnt 0x1
	v_add_nc_u32_e32 v65, v65, v76
	s_wait_dscnt 0x0
	global_store_b64 v65, v[62:63], s[44:45] scale_offset
	s_wait_xcnt 0x0
	s_or_b32 exec_lo, exec_lo, s15
	s_and_saveexec_b32 s15, s23
	s_cbranch_execz .LBB494_820
.LBB494_884:                            ;   in Loop: Header=BB494_682 Depth=2
	v_dual_lshlrev_b32 v62, 2, v127 :: v_dual_add_nc_u32 v63, v93, v4
	ds_load_b32 v65, v62
	ds_load_b64 v[62:63], v63 offset:19456
	s_wait_dscnt 0x1
	v_add_nc_u32_e32 v65, v65, v77
	s_wait_dscnt 0x0
	global_store_b64 v65, v[62:63], s[44:45] scale_offset
	s_wait_xcnt 0x0
	s_or_b32 exec_lo, exec_lo, s15
	s_and_saveexec_b32 s15, s24
	s_cbranch_execz .LBB494_821
.LBB494_885:                            ;   in Loop: Header=BB494_682 Depth=2
	v_dual_lshlrev_b32 v62, 2, v126 :: v_dual_add_nc_u32 v63, v93, v4
	ds_load_b32 v65, v62
	ds_load_b64 v[62:63], v63 offset:21504
	s_wait_dscnt 0x1
	v_add_nc_u32_e32 v65, v65, v78
	s_wait_dscnt 0x0
	global_store_b64 v65, v[62:63], s[44:45] scale_offset
	s_wait_xcnt 0x0
	s_or_b32 exec_lo, exec_lo, s15
	s_and_saveexec_b32 s15, s25
	s_cbranch_execz .LBB494_822
.LBB494_886:                            ;   in Loop: Header=BB494_682 Depth=2
	v_dual_lshlrev_b32 v62, 2, v125 :: v_dual_add_nc_u32 v63, v93, v4
	ds_load_b32 v65, v62
	ds_load_b64 v[62:63], v63 offset:23552
	s_wait_dscnt 0x1
	v_add_nc_u32_e32 v65, v65, v79
	s_wait_dscnt 0x0
	global_store_b64 v65, v[62:63], s[44:45] scale_offset
	s_wait_xcnt 0x0
	s_or_b32 exec_lo, exec_lo, s15
	s_and_saveexec_b32 s15, s26
	s_cbranch_execz .LBB494_823
.LBB494_887:                            ;   in Loop: Header=BB494_682 Depth=2
	v_lshlrev_b32_e32 v62, 2, v124
	v_add_nc_u32_e32 v63, v93, v4
	ds_load_b32 v65, v62
	ds_load_b64 v[62:63], v63 offset:25600
	s_wait_dscnt 0x1
	v_add_nc_u32_e32 v65, v65, v80
	s_wait_dscnt 0x0
	global_store_b64 v65, v[62:63], s[44:45] scale_offset
	s_wait_xcnt 0x0
	s_or_b32 exec_lo, exec_lo, s15
	s_and_saveexec_b32 s15, s27
	s_cbranch_execz .LBB494_824
.LBB494_888:                            ;   in Loop: Header=BB494_682 Depth=2
	v_dual_lshlrev_b32 v62, 2, v123 :: v_dual_add_nc_u32 v63, v93, v4
	ds_load_b32 v65, v62
	ds_load_b64 v[62:63], v63 offset:27648
	s_wait_dscnt 0x1
	v_add_nc_u32_e32 v65, v65, v81
	s_wait_dscnt 0x0
	global_store_b64 v65, v[62:63], s[44:45] scale_offset
	s_wait_xcnt 0x0
	s_or_b32 exec_lo, exec_lo, s15
	s_and_saveexec_b32 s15, s28
	s_cbranch_execz .LBB494_825
.LBB494_889:                            ;   in Loop: Header=BB494_682 Depth=2
	v_dual_lshlrev_b32 v62, 2, v122 :: v_dual_add_nc_u32 v63, v93, v4
	ds_load_b32 v65, v62
	ds_load_b64 v[62:63], v63 offset:29696
	s_wait_dscnt 0x1
	v_add_nc_u32_e32 v65, v65, v82
	s_wait_dscnt 0x0
	global_store_b64 v65, v[62:63], s[44:45] scale_offset
	s_wait_xcnt 0x0
	s_or_b32 exec_lo, exec_lo, s15
	s_and_saveexec_b32 s15, s29
	s_cbranch_execnz .LBB494_826
	s_branch .LBB494_827
.LBB494_890:                            ;   in Loop: Header=BB494_12 Depth=1
	s_wait_dscnt 0x0
	s_barrier_signal -1
	s_mov_b32 s7, 0
	s_barrier_wait -1
.LBB494_891:                            ;   in Loop: Header=BB494_12 Depth=1
	s_and_b32 vcc_lo, exec_lo, s7
	s_cbranch_vccz .LBB494_11
; %bb.892:                              ;   in Loop: Header=BB494_12 Depth=1
	s_mov_b32 s7, s54
	s_mov_b32 s30, s52
	s_barrier_signal -1
	s_barrier_wait -1
                                        ; implicit-def: $vgpr25
                                        ; implicit-def: $vgpr26
                                        ; implicit-def: $vgpr27
                                        ; implicit-def: $vgpr28
                                        ; implicit-def: $vgpr29
                                        ; implicit-def: $vgpr30
                                        ; implicit-def: $vgpr31
                                        ; implicit-def: $vgpr32
                                        ; implicit-def: $vgpr33
                                        ; implicit-def: $vgpr34
                                        ; implicit-def: $vgpr35
                                        ; implicit-def: $vgpr36
                                        ; implicit-def: $vgpr37
                                        ; implicit-def: $vgpr38
                                        ; implicit-def: $vgpr39
                                        ; implicit-def: $vgpr40
	s_branch .LBB494_894
.LBB494_893:                            ;   in Loop: Header=BB494_894 Depth=2
	s_or_b32 exec_lo, exec_lo, s8
	s_addk_co_i32 s7, 0xf000
	s_cmp_ge_u32 s10, s51
	s_mov_b32 s30, s10
	s_cbranch_scc1 .LBB494_962
.LBB494_894:                            ;   Parent Loop BB494_12 Depth=1
                                        ; =>  This Inner Loop Header: Depth=2
	s_add_co_i32 s10, s30, 0x1000
	s_mov_b32 s8, -1
	s_cmp_gt_u32 s10, s51
                                        ; implicit-def: $vgpr41
                                        ; implicit-def: $vgpr42
                                        ; implicit-def: $vgpr43
                                        ; implicit-def: $vgpr44
                                        ; implicit-def: $vgpr45
                                        ; implicit-def: $vgpr46
                                        ; implicit-def: $vgpr47
                                        ; implicit-def: $vgpr48
                                        ; implicit-def: $vgpr49
                                        ; implicit-def: $vgpr50
                                        ; implicit-def: $vgpr51
                                        ; implicit-def: $vgpr52
                                        ; implicit-def: $vgpr53
                                        ; implicit-def: $vgpr54
                                        ; implicit-def: $vgpr55
                                        ; implicit-def: $vgpr56
	s_cbranch_scc1 .LBB494_896
; %bb.895:                              ;   in Loop: Header=BB494_894 Depth=2
	v_lshl_add_u64 v[56:57], s[30:31], 2, v[22:23]
	s_mov_b32 s8, 0
	s_clause 0xf
	global_load_b32 v41, v[56:57], off
	global_load_b32 v42, v[56:57], off offset:1024
	global_load_b32 v43, v[56:57], off offset:2048
	;; [unrolled: 1-line block ×15, first 2 shown]
.LBB494_896:                            ;   in Loop: Header=BB494_894 Depth=2
	s_and_not1_b32 vcc_lo, exec_lo, s8
	s_movk_i32 s8, 0x1000
	s_cbranch_vccnz .LBB494_915
; %bb.897:                              ;   in Loop: Header=BB494_894 Depth=2
	s_lshl_b64 s[8:9], s[30:31], 2
	s_mov_b32 s11, exec_lo
	s_add_nc_u64 s[8:9], s[36:37], s[8:9]
	s_wait_xcnt 0x0
	v_cmpx_gt_u32_e64 s7, v2
	s_cbranch_execnz .LBB494_947
; %bb.898:                              ;   in Loop: Header=BB494_894 Depth=2
	s_or_b32 exec_lo, exec_lo, s11
	s_delay_alu instid0(SALU_CYCLE_1)
	s_mov_b32 s11, exec_lo
	v_cmpx_gt_u32_e64 s7, v3
	s_cbranch_execnz .LBB494_948
.LBB494_899:                            ;   in Loop: Header=BB494_894 Depth=2
	s_or_b32 exec_lo, exec_lo, s11
	s_delay_alu instid0(SALU_CYCLE_1)
	s_mov_b32 s11, exec_lo
	v_cmpx_gt_u32_e64 s7, v70
	s_cbranch_execnz .LBB494_949
.LBB494_900:                            ;   in Loop: Header=BB494_894 Depth=2
	s_or_b32 exec_lo, exec_lo, s11
	s_delay_alu instid0(SALU_CYCLE_1)
	s_mov_b32 s11, exec_lo
	v_cmpx_gt_u32_e64 s7, v71
	s_cbranch_execnz .LBB494_950
.LBB494_901:                            ;   in Loop: Header=BB494_894 Depth=2
	s_or_b32 exec_lo, exec_lo, s11
	s_delay_alu instid0(SALU_CYCLE_1)
	s_mov_b32 s11, exec_lo
	v_cmpx_gt_u32_e64 s7, v72
	s_cbranch_execnz .LBB494_951
.LBB494_902:                            ;   in Loop: Header=BB494_894 Depth=2
	s_or_b32 exec_lo, exec_lo, s11
	s_delay_alu instid0(SALU_CYCLE_1)
	s_mov_b32 s11, exec_lo
	v_cmpx_gt_u32_e64 s7, v73
	s_cbranch_execnz .LBB494_952
.LBB494_903:                            ;   in Loop: Header=BB494_894 Depth=2
	s_or_b32 exec_lo, exec_lo, s11
	s_delay_alu instid0(SALU_CYCLE_1)
	s_mov_b32 s11, exec_lo
	v_cmpx_gt_u32_e64 s7, v74
	s_cbranch_execnz .LBB494_953
.LBB494_904:                            ;   in Loop: Header=BB494_894 Depth=2
	s_or_b32 exec_lo, exec_lo, s11
	s_delay_alu instid0(SALU_CYCLE_1)
	s_mov_b32 s11, exec_lo
	v_cmpx_gt_u32_e64 s7, v75
	s_cbranch_execnz .LBB494_954
.LBB494_905:                            ;   in Loop: Header=BB494_894 Depth=2
	s_or_b32 exec_lo, exec_lo, s11
	s_delay_alu instid0(SALU_CYCLE_1)
	s_mov_b32 s11, exec_lo
	v_cmpx_gt_u32_e64 s7, v76
	s_cbranch_execnz .LBB494_955
.LBB494_906:                            ;   in Loop: Header=BB494_894 Depth=2
	s_or_b32 exec_lo, exec_lo, s11
	s_delay_alu instid0(SALU_CYCLE_1)
	s_mov_b32 s11, exec_lo
	v_cmpx_gt_u32_e64 s7, v77
	s_cbranch_execnz .LBB494_956
.LBB494_907:                            ;   in Loop: Header=BB494_894 Depth=2
	s_or_b32 exec_lo, exec_lo, s11
	s_delay_alu instid0(SALU_CYCLE_1)
	s_mov_b32 s11, exec_lo
	v_cmpx_gt_u32_e64 s7, v78
	s_cbranch_execnz .LBB494_957
.LBB494_908:                            ;   in Loop: Header=BB494_894 Depth=2
	s_or_b32 exec_lo, exec_lo, s11
	s_delay_alu instid0(SALU_CYCLE_1)
	s_mov_b32 s11, exec_lo
	v_cmpx_gt_u32_e64 s7, v79
	s_cbranch_execnz .LBB494_958
.LBB494_909:                            ;   in Loop: Header=BB494_894 Depth=2
	s_or_b32 exec_lo, exec_lo, s11
	s_delay_alu instid0(SALU_CYCLE_1)
	s_mov_b32 s11, exec_lo
	v_cmpx_gt_u32_e64 s7, v80
	s_cbranch_execnz .LBB494_959
.LBB494_910:                            ;   in Loop: Header=BB494_894 Depth=2
	s_or_b32 exec_lo, exec_lo, s11
	s_delay_alu instid0(SALU_CYCLE_1)
	s_mov_b32 s11, exec_lo
	v_cmpx_gt_u32_e64 s7, v81
	s_cbranch_execnz .LBB494_960
.LBB494_911:                            ;   in Loop: Header=BB494_894 Depth=2
	s_or_b32 exec_lo, exec_lo, s11
	s_delay_alu instid0(SALU_CYCLE_1)
	s_mov_b32 s11, exec_lo
	v_cmpx_gt_u32_e64 s7, v82
	s_cbranch_execnz .LBB494_961
.LBB494_912:                            ;   in Loop: Header=BB494_894 Depth=2
	s_or_b32 exec_lo, exec_lo, s11
	s_delay_alu instid0(SALU_CYCLE_1)
	s_mov_b32 s11, exec_lo
	v_cmpx_gt_u32_e64 s7, v83
	s_cbranch_execz .LBB494_914
.LBB494_913:                            ;   in Loop: Header=BB494_894 Depth=2
	global_load_b32 v25, v2, s[8:9] offset:15360 scale_offset
.LBB494_914:                            ;   in Loop: Header=BB494_894 Depth=2
	s_wait_xcnt 0x0
	s_or_b32 exec_lo, exec_lo, s11
	s_wait_loadcnt 0x0
	v_dual_mov_b32 v41, v40 :: v_dual_mov_b32 v42, v39
	v_dual_mov_b32 v43, v38 :: v_dual_mov_b32 v44, v37
	;; [unrolled: 1-line block ×8, first 2 shown]
	s_mov_b32 s8, s7
.LBB494_915:                            ;   in Loop: Header=BB494_894 Depth=2
	s_wait_loadcnt 0x0
	s_delay_alu instid0(VALU_DEP_1)
	v_dual_mov_b32 v25, v56 :: v_dual_mov_b32 v26, v55
	v_dual_mov_b32 v27, v54 :: v_dual_mov_b32 v28, v53
	;; [unrolled: 1-line block ×8, first 2 shown]
	s_mov_b32 s9, exec_lo
	s_wait_xcnt 0x0
	v_cmpx_gt_u32_e64 s8, v2
	s_cbranch_execnz .LBB494_931
; %bb.916:                              ;   in Loop: Header=BB494_894 Depth=2
	s_or_b32 exec_lo, exec_lo, s9
	s_delay_alu instid0(SALU_CYCLE_1)
	s_mov_b32 s9, exec_lo
	v_cmpx_gt_u32_e64 s8, v3
	s_cbranch_execnz .LBB494_932
.LBB494_917:                            ;   in Loop: Header=BB494_894 Depth=2
	s_or_b32 exec_lo, exec_lo, s9
	s_delay_alu instid0(SALU_CYCLE_1)
	s_mov_b32 s9, exec_lo
	v_cmpx_gt_u32_e64 s8, v70
	s_cbranch_execnz .LBB494_933
.LBB494_918:                            ;   in Loop: Header=BB494_894 Depth=2
	s_or_b32 exec_lo, exec_lo, s9
	s_delay_alu instid0(SALU_CYCLE_1)
	s_mov_b32 s9, exec_lo
	v_cmpx_gt_u32_e64 s8, v71
	s_cbranch_execnz .LBB494_934
.LBB494_919:                            ;   in Loop: Header=BB494_894 Depth=2
	s_or_b32 exec_lo, exec_lo, s9
	s_delay_alu instid0(SALU_CYCLE_1)
	s_mov_b32 s9, exec_lo
	v_cmpx_gt_u32_e64 s8, v72
	s_cbranch_execnz .LBB494_935
.LBB494_920:                            ;   in Loop: Header=BB494_894 Depth=2
	s_or_b32 exec_lo, exec_lo, s9
	s_delay_alu instid0(SALU_CYCLE_1)
	s_mov_b32 s9, exec_lo
	v_cmpx_gt_u32_e64 s8, v73
	s_cbranch_execnz .LBB494_936
.LBB494_921:                            ;   in Loop: Header=BB494_894 Depth=2
	s_or_b32 exec_lo, exec_lo, s9
	s_delay_alu instid0(SALU_CYCLE_1)
	s_mov_b32 s9, exec_lo
	v_cmpx_gt_u32_e64 s8, v74
	s_cbranch_execnz .LBB494_937
.LBB494_922:                            ;   in Loop: Header=BB494_894 Depth=2
	s_or_b32 exec_lo, exec_lo, s9
	s_delay_alu instid0(SALU_CYCLE_1)
	s_mov_b32 s9, exec_lo
	v_cmpx_gt_u32_e64 s8, v75
	s_cbranch_execnz .LBB494_938
.LBB494_923:                            ;   in Loop: Header=BB494_894 Depth=2
	s_or_b32 exec_lo, exec_lo, s9
	s_delay_alu instid0(SALU_CYCLE_1)
	s_mov_b32 s9, exec_lo
	v_cmpx_gt_u32_e64 s8, v76
	s_cbranch_execnz .LBB494_939
.LBB494_924:                            ;   in Loop: Header=BB494_894 Depth=2
	s_or_b32 exec_lo, exec_lo, s9
	s_delay_alu instid0(SALU_CYCLE_1)
	s_mov_b32 s9, exec_lo
	v_cmpx_gt_u32_e64 s8, v77
	s_cbranch_execnz .LBB494_940
.LBB494_925:                            ;   in Loop: Header=BB494_894 Depth=2
	s_or_b32 exec_lo, exec_lo, s9
	s_delay_alu instid0(SALU_CYCLE_1)
	s_mov_b32 s9, exec_lo
	v_cmpx_gt_u32_e64 s8, v78
	s_cbranch_execnz .LBB494_941
.LBB494_926:                            ;   in Loop: Header=BB494_894 Depth=2
	s_or_b32 exec_lo, exec_lo, s9
	s_delay_alu instid0(SALU_CYCLE_1)
	s_mov_b32 s9, exec_lo
	v_cmpx_gt_u32_e64 s8, v79
	s_cbranch_execnz .LBB494_942
.LBB494_927:                            ;   in Loop: Header=BB494_894 Depth=2
	s_or_b32 exec_lo, exec_lo, s9
	s_delay_alu instid0(SALU_CYCLE_1)
	s_mov_b32 s9, exec_lo
	v_cmpx_gt_u32_e64 s8, v80
	s_cbranch_execnz .LBB494_943
.LBB494_928:                            ;   in Loop: Header=BB494_894 Depth=2
	s_or_b32 exec_lo, exec_lo, s9
	s_delay_alu instid0(SALU_CYCLE_1)
	s_mov_b32 s9, exec_lo
	v_cmpx_gt_u32_e64 s8, v81
	s_cbranch_execnz .LBB494_944
.LBB494_929:                            ;   in Loop: Header=BB494_894 Depth=2
	s_or_b32 exec_lo, exec_lo, s9
	s_delay_alu instid0(SALU_CYCLE_1)
	s_mov_b32 s9, exec_lo
	v_cmpx_gt_u32_e64 s8, v82
	s_cbranch_execnz .LBB494_945
.LBB494_930:                            ;   in Loop: Header=BB494_894 Depth=2
	s_or_b32 exec_lo, exec_lo, s9
	v_cmp_gt_u32_e32 vcc_lo, s8, v83
	s_and_saveexec_b32 s8, vcc_lo
	s_cbranch_execz .LBB494_893
	s_branch .LBB494_946
.LBB494_931:                            ;   in Loop: Header=BB494_894 Depth=2
	v_xor_b32_e32 v41, 0x7fffffff, v40
	s_delay_alu instid0(VALU_DEP_1) | instskip(NEXT) | instid1(VALU_DEP_1)
	v_lshrrev_b32_e32 v41, s49, v41
	v_and_b32_e32 v41, s48, v41
	s_delay_alu instid0(VALU_DEP_1) | instskip(SKIP_2) | instid1(SALU_CYCLE_1)
	v_lshl_or_b32 v41, v41, 4, v84
	ds_add_u32 v41, v95
	s_or_b32 exec_lo, exec_lo, s9
	s_mov_b32 s9, exec_lo
	v_cmpx_gt_u32_e64 s8, v3
	s_cbranch_execz .LBB494_917
.LBB494_932:                            ;   in Loop: Header=BB494_894 Depth=2
	v_xor_b32_e32 v41, 0x7fffffff, v39
	s_delay_alu instid0(VALU_DEP_1) | instskip(NEXT) | instid1(VALU_DEP_1)
	v_lshrrev_b32_e32 v41, s49, v41
	v_and_b32_e32 v41, s48, v41
	s_delay_alu instid0(VALU_DEP_1) | instskip(SKIP_2) | instid1(SALU_CYCLE_1)
	v_lshl_or_b32 v41, v41, 4, v84
	ds_add_u32 v41, v95
	s_or_b32 exec_lo, exec_lo, s9
	s_mov_b32 s9, exec_lo
	v_cmpx_gt_u32_e64 s8, v70
	s_cbranch_execz .LBB494_918
.LBB494_933:                            ;   in Loop: Header=BB494_894 Depth=2
	v_xor_b32_e32 v41, 0x7fffffff, v38
	s_delay_alu instid0(VALU_DEP_1) | instskip(NEXT) | instid1(VALU_DEP_1)
	v_lshrrev_b32_e32 v41, s49, v41
	v_and_b32_e32 v41, s48, v41
	s_delay_alu instid0(VALU_DEP_1) | instskip(SKIP_2) | instid1(SALU_CYCLE_1)
	v_lshl_or_b32 v41, v41, 4, v84
	ds_add_u32 v41, v95
	s_or_b32 exec_lo, exec_lo, s9
	s_mov_b32 s9, exec_lo
	v_cmpx_gt_u32_e64 s8, v71
	s_cbranch_execz .LBB494_919
.LBB494_934:                            ;   in Loop: Header=BB494_894 Depth=2
	v_xor_b32_e32 v41, 0x7fffffff, v37
	s_delay_alu instid0(VALU_DEP_1) | instskip(NEXT) | instid1(VALU_DEP_1)
	v_lshrrev_b32_e32 v41, s49, v41
	v_and_b32_e32 v41, s48, v41
	s_delay_alu instid0(VALU_DEP_1) | instskip(SKIP_2) | instid1(SALU_CYCLE_1)
	v_lshl_or_b32 v41, v41, 4, v84
	ds_add_u32 v41, v95
	s_or_b32 exec_lo, exec_lo, s9
	s_mov_b32 s9, exec_lo
	v_cmpx_gt_u32_e64 s8, v72
	s_cbranch_execz .LBB494_920
.LBB494_935:                            ;   in Loop: Header=BB494_894 Depth=2
	v_xor_b32_e32 v41, 0x7fffffff, v36
	s_delay_alu instid0(VALU_DEP_1) | instskip(NEXT) | instid1(VALU_DEP_1)
	v_lshrrev_b32_e32 v41, s49, v41
	v_and_b32_e32 v41, s48, v41
	s_delay_alu instid0(VALU_DEP_1) | instskip(SKIP_2) | instid1(SALU_CYCLE_1)
	v_lshl_or_b32 v41, v41, 4, v84
	ds_add_u32 v41, v95
	s_or_b32 exec_lo, exec_lo, s9
	s_mov_b32 s9, exec_lo
	v_cmpx_gt_u32_e64 s8, v73
	s_cbranch_execz .LBB494_921
.LBB494_936:                            ;   in Loop: Header=BB494_894 Depth=2
	v_xor_b32_e32 v41, 0x7fffffff, v35
	s_delay_alu instid0(VALU_DEP_1) | instskip(NEXT) | instid1(VALU_DEP_1)
	v_lshrrev_b32_e32 v41, s49, v41
	v_and_b32_e32 v41, s48, v41
	s_delay_alu instid0(VALU_DEP_1) | instskip(SKIP_2) | instid1(SALU_CYCLE_1)
	v_lshl_or_b32 v41, v41, 4, v84
	ds_add_u32 v41, v95
	s_or_b32 exec_lo, exec_lo, s9
	s_mov_b32 s9, exec_lo
	v_cmpx_gt_u32_e64 s8, v74
	s_cbranch_execz .LBB494_922
.LBB494_937:                            ;   in Loop: Header=BB494_894 Depth=2
	v_xor_b32_e32 v41, 0x7fffffff, v34
	s_delay_alu instid0(VALU_DEP_1) | instskip(NEXT) | instid1(VALU_DEP_1)
	v_lshrrev_b32_e32 v41, s49, v41
	v_and_b32_e32 v41, s48, v41
	s_delay_alu instid0(VALU_DEP_1) | instskip(SKIP_2) | instid1(SALU_CYCLE_1)
	v_lshl_or_b32 v41, v41, 4, v84
	ds_add_u32 v41, v95
	s_or_b32 exec_lo, exec_lo, s9
	s_mov_b32 s9, exec_lo
	v_cmpx_gt_u32_e64 s8, v75
	s_cbranch_execz .LBB494_923
.LBB494_938:                            ;   in Loop: Header=BB494_894 Depth=2
	v_xor_b32_e32 v41, 0x7fffffff, v33
	s_delay_alu instid0(VALU_DEP_1) | instskip(NEXT) | instid1(VALU_DEP_1)
	v_lshrrev_b32_e32 v41, s49, v41
	v_and_b32_e32 v41, s48, v41
	s_delay_alu instid0(VALU_DEP_1) | instskip(SKIP_2) | instid1(SALU_CYCLE_1)
	v_lshl_or_b32 v41, v41, 4, v84
	ds_add_u32 v41, v95
	s_or_b32 exec_lo, exec_lo, s9
	s_mov_b32 s9, exec_lo
	v_cmpx_gt_u32_e64 s8, v76
	s_cbranch_execz .LBB494_924
.LBB494_939:                            ;   in Loop: Header=BB494_894 Depth=2
	v_xor_b32_e32 v41, 0x7fffffff, v32
	s_delay_alu instid0(VALU_DEP_1) | instskip(NEXT) | instid1(VALU_DEP_1)
	v_lshrrev_b32_e32 v41, s49, v41
	v_and_b32_e32 v41, s48, v41
	s_delay_alu instid0(VALU_DEP_1) | instskip(SKIP_2) | instid1(SALU_CYCLE_1)
	v_lshl_or_b32 v41, v41, 4, v84
	ds_add_u32 v41, v95
	s_or_b32 exec_lo, exec_lo, s9
	s_mov_b32 s9, exec_lo
	v_cmpx_gt_u32_e64 s8, v77
	s_cbranch_execz .LBB494_925
.LBB494_940:                            ;   in Loop: Header=BB494_894 Depth=2
	v_xor_b32_e32 v41, 0x7fffffff, v31
	s_delay_alu instid0(VALU_DEP_1) | instskip(NEXT) | instid1(VALU_DEP_1)
	v_lshrrev_b32_e32 v41, s49, v41
	v_and_b32_e32 v41, s48, v41
	s_delay_alu instid0(VALU_DEP_1) | instskip(SKIP_2) | instid1(SALU_CYCLE_1)
	v_lshl_or_b32 v41, v41, 4, v84
	ds_add_u32 v41, v95
	s_or_b32 exec_lo, exec_lo, s9
	s_mov_b32 s9, exec_lo
	v_cmpx_gt_u32_e64 s8, v78
	s_cbranch_execz .LBB494_926
.LBB494_941:                            ;   in Loop: Header=BB494_894 Depth=2
	v_xor_b32_e32 v41, 0x7fffffff, v30
	s_delay_alu instid0(VALU_DEP_1) | instskip(NEXT) | instid1(VALU_DEP_1)
	v_lshrrev_b32_e32 v41, s49, v41
	v_and_b32_e32 v41, s48, v41
	s_delay_alu instid0(VALU_DEP_1) | instskip(SKIP_2) | instid1(SALU_CYCLE_1)
	v_lshl_or_b32 v41, v41, 4, v84
	ds_add_u32 v41, v95
	s_or_b32 exec_lo, exec_lo, s9
	s_mov_b32 s9, exec_lo
	v_cmpx_gt_u32_e64 s8, v79
	s_cbranch_execz .LBB494_927
.LBB494_942:                            ;   in Loop: Header=BB494_894 Depth=2
	v_xor_b32_e32 v41, 0x7fffffff, v29
	s_delay_alu instid0(VALU_DEP_1) | instskip(NEXT) | instid1(VALU_DEP_1)
	v_lshrrev_b32_e32 v41, s49, v41
	v_and_b32_e32 v41, s48, v41
	s_delay_alu instid0(VALU_DEP_1) | instskip(SKIP_2) | instid1(SALU_CYCLE_1)
	v_lshl_or_b32 v41, v41, 4, v84
	ds_add_u32 v41, v95
	s_or_b32 exec_lo, exec_lo, s9
	s_mov_b32 s9, exec_lo
	v_cmpx_gt_u32_e64 s8, v80
	s_cbranch_execz .LBB494_928
.LBB494_943:                            ;   in Loop: Header=BB494_894 Depth=2
	v_xor_b32_e32 v41, 0x7fffffff, v28
	s_delay_alu instid0(VALU_DEP_1) | instskip(NEXT) | instid1(VALU_DEP_1)
	v_lshrrev_b32_e32 v41, s49, v41
	v_and_b32_e32 v41, s48, v41
	s_delay_alu instid0(VALU_DEP_1) | instskip(SKIP_2) | instid1(SALU_CYCLE_1)
	v_lshl_or_b32 v41, v41, 4, v84
	ds_add_u32 v41, v95
	s_or_b32 exec_lo, exec_lo, s9
	s_mov_b32 s9, exec_lo
	v_cmpx_gt_u32_e64 s8, v81
	s_cbranch_execz .LBB494_929
.LBB494_944:                            ;   in Loop: Header=BB494_894 Depth=2
	v_xor_b32_e32 v41, 0x7fffffff, v27
	s_delay_alu instid0(VALU_DEP_1) | instskip(NEXT) | instid1(VALU_DEP_1)
	v_lshrrev_b32_e32 v41, s49, v41
	v_and_b32_e32 v41, s48, v41
	s_delay_alu instid0(VALU_DEP_1) | instskip(SKIP_2) | instid1(SALU_CYCLE_1)
	v_lshl_or_b32 v41, v41, 4, v84
	ds_add_u32 v41, v95
	s_or_b32 exec_lo, exec_lo, s9
	s_mov_b32 s9, exec_lo
	v_cmpx_gt_u32_e64 s8, v82
	s_cbranch_execz .LBB494_930
.LBB494_945:                            ;   in Loop: Header=BB494_894 Depth=2
	v_xor_b32_e32 v41, 0x7fffffff, v26
	s_delay_alu instid0(VALU_DEP_1) | instskip(NEXT) | instid1(VALU_DEP_1)
	v_lshrrev_b32_e32 v41, s49, v41
	v_and_b32_e32 v41, s48, v41
	s_delay_alu instid0(VALU_DEP_1)
	v_lshl_or_b32 v41, v41, 4, v84
	ds_add_u32 v41, v95
	s_or_b32 exec_lo, exec_lo, s9
	v_cmp_gt_u32_e32 vcc_lo, s8, v83
	s_and_saveexec_b32 s8, vcc_lo
	s_cbranch_execz .LBB494_893
.LBB494_946:                            ;   in Loop: Header=BB494_894 Depth=2
	v_xor_b32_e32 v41, 0x7fffffff, v25
	s_delay_alu instid0(VALU_DEP_1) | instskip(NEXT) | instid1(VALU_DEP_1)
	v_lshrrev_b32_e32 v41, s49, v41
	v_and_b32_e32 v41, s48, v41
	s_delay_alu instid0(VALU_DEP_1)
	v_lshl_or_b32 v41, v41, 4, v84
	ds_add_u32 v41, v95
	s_branch .LBB494_893
.LBB494_947:                            ;   in Loop: Header=BB494_894 Depth=2
	global_load_b32 v40, v2, s[8:9] scale_offset
	s_wait_xcnt 0x0
	s_or_b32 exec_lo, exec_lo, s11
	s_delay_alu instid0(SALU_CYCLE_1)
	s_mov_b32 s11, exec_lo
	v_cmpx_gt_u32_e64 s7, v3
	s_cbranch_execz .LBB494_899
.LBB494_948:                            ;   in Loop: Header=BB494_894 Depth=2
	global_load_b32 v39, v2, s[8:9] offset:1024 scale_offset
	s_wait_xcnt 0x0
	s_or_b32 exec_lo, exec_lo, s11
	s_delay_alu instid0(SALU_CYCLE_1)
	s_mov_b32 s11, exec_lo
	v_cmpx_gt_u32_e64 s7, v70
	s_cbranch_execz .LBB494_900
.LBB494_949:                            ;   in Loop: Header=BB494_894 Depth=2
	global_load_b32 v38, v2, s[8:9] offset:2048 scale_offset
	s_wait_xcnt 0x0
	s_or_b32 exec_lo, exec_lo, s11
	s_delay_alu instid0(SALU_CYCLE_1)
	s_mov_b32 s11, exec_lo
	v_cmpx_gt_u32_e64 s7, v71
	s_cbranch_execz .LBB494_901
.LBB494_950:                            ;   in Loop: Header=BB494_894 Depth=2
	global_load_b32 v37, v2, s[8:9] offset:3072 scale_offset
	s_wait_xcnt 0x0
	s_or_b32 exec_lo, exec_lo, s11
	s_delay_alu instid0(SALU_CYCLE_1)
	s_mov_b32 s11, exec_lo
	v_cmpx_gt_u32_e64 s7, v72
	s_cbranch_execz .LBB494_902
.LBB494_951:                            ;   in Loop: Header=BB494_894 Depth=2
	global_load_b32 v36, v2, s[8:9] offset:4096 scale_offset
	s_wait_xcnt 0x0
	s_or_b32 exec_lo, exec_lo, s11
	s_delay_alu instid0(SALU_CYCLE_1)
	s_mov_b32 s11, exec_lo
	v_cmpx_gt_u32_e64 s7, v73
	s_cbranch_execz .LBB494_903
.LBB494_952:                            ;   in Loop: Header=BB494_894 Depth=2
	global_load_b32 v35, v2, s[8:9] offset:5120 scale_offset
	s_wait_xcnt 0x0
	s_or_b32 exec_lo, exec_lo, s11
	s_delay_alu instid0(SALU_CYCLE_1)
	s_mov_b32 s11, exec_lo
	v_cmpx_gt_u32_e64 s7, v74
	s_cbranch_execz .LBB494_904
.LBB494_953:                            ;   in Loop: Header=BB494_894 Depth=2
	global_load_b32 v34, v2, s[8:9] offset:6144 scale_offset
	s_wait_xcnt 0x0
	s_or_b32 exec_lo, exec_lo, s11
	s_delay_alu instid0(SALU_CYCLE_1)
	s_mov_b32 s11, exec_lo
	v_cmpx_gt_u32_e64 s7, v75
	s_cbranch_execz .LBB494_905
.LBB494_954:                            ;   in Loop: Header=BB494_894 Depth=2
	global_load_b32 v33, v2, s[8:9] offset:7168 scale_offset
	s_wait_xcnt 0x0
	s_or_b32 exec_lo, exec_lo, s11
	s_delay_alu instid0(SALU_CYCLE_1)
	s_mov_b32 s11, exec_lo
	v_cmpx_gt_u32_e64 s7, v76
	s_cbranch_execz .LBB494_906
.LBB494_955:                            ;   in Loop: Header=BB494_894 Depth=2
	global_load_b32 v32, v2, s[8:9] offset:8192 scale_offset
	s_wait_xcnt 0x0
	s_or_b32 exec_lo, exec_lo, s11
	s_delay_alu instid0(SALU_CYCLE_1)
	s_mov_b32 s11, exec_lo
	v_cmpx_gt_u32_e64 s7, v77
	s_cbranch_execz .LBB494_907
.LBB494_956:                            ;   in Loop: Header=BB494_894 Depth=2
	global_load_b32 v31, v2, s[8:9] offset:9216 scale_offset
	s_wait_xcnt 0x0
	s_or_b32 exec_lo, exec_lo, s11
	s_delay_alu instid0(SALU_CYCLE_1)
	s_mov_b32 s11, exec_lo
	v_cmpx_gt_u32_e64 s7, v78
	s_cbranch_execz .LBB494_908
.LBB494_957:                            ;   in Loop: Header=BB494_894 Depth=2
	global_load_b32 v30, v2, s[8:9] offset:10240 scale_offset
	s_wait_xcnt 0x0
	s_or_b32 exec_lo, exec_lo, s11
	s_delay_alu instid0(SALU_CYCLE_1)
	s_mov_b32 s11, exec_lo
	v_cmpx_gt_u32_e64 s7, v79
	s_cbranch_execz .LBB494_909
.LBB494_958:                            ;   in Loop: Header=BB494_894 Depth=2
	global_load_b32 v29, v2, s[8:9] offset:11264 scale_offset
	s_wait_xcnt 0x0
	s_or_b32 exec_lo, exec_lo, s11
	s_delay_alu instid0(SALU_CYCLE_1)
	s_mov_b32 s11, exec_lo
	v_cmpx_gt_u32_e64 s7, v80
	s_cbranch_execz .LBB494_910
.LBB494_959:                            ;   in Loop: Header=BB494_894 Depth=2
	global_load_b32 v28, v2, s[8:9] offset:12288 scale_offset
	s_wait_xcnt 0x0
	s_or_b32 exec_lo, exec_lo, s11
	s_delay_alu instid0(SALU_CYCLE_1)
	s_mov_b32 s11, exec_lo
	v_cmpx_gt_u32_e64 s7, v81
	s_cbranch_execz .LBB494_911
.LBB494_960:                            ;   in Loop: Header=BB494_894 Depth=2
	global_load_b32 v27, v2, s[8:9] offset:13312 scale_offset
	s_wait_xcnt 0x0
	s_or_b32 exec_lo, exec_lo, s11
	s_delay_alu instid0(SALU_CYCLE_1)
	s_mov_b32 s11, exec_lo
	v_cmpx_gt_u32_e64 s7, v82
	s_cbranch_execz .LBB494_912
.LBB494_961:                            ;   in Loop: Header=BB494_894 Depth=2
	global_load_b32 v26, v2, s[8:9] offset:14336 scale_offset
	s_wait_xcnt 0x0
	s_or_b32 exec_lo, exec_lo, s11
	s_delay_alu instid0(SALU_CYCLE_1)
	s_mov_b32 s11, exec_lo
	v_cmpx_gt_u32_e64 s7, v83
	s_cbranch_execnz .LBB494_913
	s_branch .LBB494_914
.LBB494_962:                            ;   in Loop: Header=BB494_12 Depth=1
	v_mov_b32_e32 v25, 0
	s_wait_dscnt 0x0
	s_barrier_signal -1
	s_barrier_wait -1
	s_and_saveexec_b32 s7, s0
	s_cbranch_execz .LBB494_964
; %bb.963:                              ;   in Loop: Header=BB494_12 Depth=1
	ds_load_2addr_b64 v[26:29], v86 offset1:1
	s_wait_dscnt 0x0
	v_add_nc_u32_e32 v25, v27, v26
	s_delay_alu instid0(VALU_DEP_1)
	v_add3_u32 v25, v25, v28, v29
.LBB494_964:                            ;   in Loop: Header=BB494_12 Depth=1
	s_or_b32 exec_lo, exec_lo, s7
	s_delay_alu instid0(VALU_DEP_1)
	v_mov_b32_dpp v26, v25 row_shr:1 row_mask:0xf bank_mask:0xf
	v_cmp_eq_u32_e64 s7, 0, v96
	v_cmp_lt_u32_e64 s8, 1, v96
	v_cmp_lt_u32_e64 s9, 3, v96
	;; [unrolled: 1-line block ×3, first 2 shown]
	v_cmp_eq_u32_e64 s11, 0, v98
	v_cndmask_b32_e64 v26, v26, 0, s7
	s_delay_alu instid0(VALU_DEP_1) | instskip(NEXT) | instid1(VALU_DEP_1)
	v_add_nc_u32_e32 v25, v26, v25
	v_mov_b32_dpp v26, v25 row_shr:2 row_mask:0xf bank_mask:0xf
	s_delay_alu instid0(VALU_DEP_1) | instskip(NEXT) | instid1(VALU_DEP_1)
	v_cndmask_b32_e64 v26, 0, v26, s8
	v_add_nc_u32_e32 v25, v25, v26
	s_delay_alu instid0(VALU_DEP_1) | instskip(NEXT) | instid1(VALU_DEP_1)
	v_mov_b32_dpp v26, v25 row_shr:4 row_mask:0xf bank_mask:0xf
	v_cndmask_b32_e64 v26, 0, v26, s9
	s_delay_alu instid0(VALU_DEP_1) | instskip(NEXT) | instid1(VALU_DEP_1)
	v_add_nc_u32_e32 v25, v25, v26
	v_mov_b32_dpp v26, v25 row_shr:8 row_mask:0xf bank_mask:0xf
	s_delay_alu instid0(VALU_DEP_1) | instskip(NEXT) | instid1(VALU_DEP_1)
	v_cndmask_b32_e64 v26, 0, v26, s10
	v_add_nc_u32_e32 v25, v25, v26
	ds_swizzle_b32 v26, v25 offset:swizzle(BROADCAST,32,15)
	s_wait_dscnt 0x0
	v_and_b32_e32 v26, v97, v26
	s_delay_alu instid0(VALU_DEP_1)
	v_add_nc_u32_e32 v25, v25, v26
	s_and_saveexec_b32 s12, s1
; %bb.965:                              ;   in Loop: Header=BB494_12 Depth=1
	ds_store_b32 v87, v25
; %bb.966:                              ;   in Loop: Header=BB494_12 Depth=1
	s_or_b32 exec_lo, exec_lo, s12
	s_wait_dscnt 0x0
	s_barrier_signal -1
	s_barrier_wait -1
	s_and_saveexec_b32 s12, s4
	s_cbranch_execz .LBB494_968
; %bb.967:                              ;   in Loop: Header=BB494_12 Depth=1
	ds_load_b32 v26, v88
	v_cmp_ne_u32_e32 vcc_lo, 0, v100
	s_wait_dscnt 0x0
	v_mov_b32_dpp v27, v26 row_shr:1 row_mask:0xf bank_mask:0xf
	s_delay_alu instid0(VALU_DEP_1) | instskip(SKIP_1) | instid1(VALU_DEP_2)
	v_cndmask_b32_e32 v27, 0, v27, vcc_lo
	v_cmp_lt_u32_e32 vcc_lo, 1, v100
	v_add_nc_u32_e32 v26, v27, v26
	s_delay_alu instid0(VALU_DEP_1) | instskip(NEXT) | instid1(VALU_DEP_1)
	v_mov_b32_dpp v27, v26 row_shr:2 row_mask:0xf bank_mask:0xf
	v_cndmask_b32_e32 v27, 0, v27, vcc_lo
	v_cmp_lt_u32_e32 vcc_lo, 3, v100
	s_delay_alu instid0(VALU_DEP_2) | instskip(NEXT) | instid1(VALU_DEP_1)
	v_add_nc_u32_e32 v26, v26, v27
	v_mov_b32_dpp v27, v26 row_shr:4 row_mask:0xf bank_mask:0xf
	s_delay_alu instid0(VALU_DEP_1) | instskip(NEXT) | instid1(VALU_DEP_1)
	v_cndmask_b32_e32 v27, 0, v27, vcc_lo
	v_add_nc_u32_e32 v26, v26, v27
	ds_store_b32 v88, v26
.LBB494_968:                            ;   in Loop: Header=BB494_12 Depth=1
	s_or_b32 exec_lo, exec_lo, s12
	v_mov_b32_e32 v26, 0
	s_wait_dscnt 0x0
	s_barrier_signal -1
	s_barrier_wait -1
	s_and_saveexec_b32 s12, s5
; %bb.969:                              ;   in Loop: Header=BB494_12 Depth=1
	ds_load_b32 v26, v89
; %bb.970:                              ;   in Loop: Header=BB494_12 Depth=1
	s_or_b32 exec_lo, exec_lo, s12
	v_cmp_gt_i32_e32 vcc_lo, 0, v101
	s_wait_dscnt 0x0
	s_barrier_signal -1
	s_barrier_wait -1
	v_dual_cndmask_b32 v27, v101, v94, vcc_lo :: v_dual_add_nc_u32 v25, v26, v25
	s_delay_alu instid0(VALU_DEP_1)
	v_lshlrev_b32_e32 v120, 2, v27
	ds_bpermute_b32 v25, v120, v25
	s_and_saveexec_b32 s12, s0
	s_cbranch_execz .LBB494_972
; %bb.971:                              ;   in Loop: Header=BB494_12 Depth=1
	s_wait_dscnt 0x0
	v_cndmask_b32_e64 v25, v25, v26, s6
	s_delay_alu instid0(VALU_DEP_1)
	v_add_nc_u32_e32 v25, s52, v25
	ds_store_b32 v4, v25
.LBB494_972:                            ;   in Loop: Header=BB494_12 Depth=1
	s_or_b32 exec_lo, exec_lo, s12
	s_load_b64 s[12:13], s[34:35], 0x0
	s_mov_b32 s55, s54
                                        ; implicit-def: $vgpr32_vgpr33
                                        ; implicit-def: $vgpr34_vgpr35
                                        ; implicit-def: $vgpr36_vgpr37
                                        ; implicit-def: $vgpr38_vgpr39
                                        ; implicit-def: $vgpr40_vgpr41
                                        ; implicit-def: $vgpr42_vgpr43
                                        ; implicit-def: $vgpr44_vgpr45
                                        ; implicit-def: $vgpr46_vgpr47
                                        ; implicit-def: $vgpr48_vgpr49
                                        ; implicit-def: $vgpr50_vgpr51
                                        ; implicit-def: $vgpr52_vgpr53
                                        ; implicit-def: $vgpr54_vgpr55
                                        ; implicit-def: $vgpr56_vgpr57
                                        ; implicit-def: $vgpr58_vgpr59
                                        ; implicit-def: $vgpr60_vgpr61
                                        ; implicit-def: $vgpr121
                                        ; implicit-def: $vgpr122
                                        ; implicit-def: $vgpr123
                                        ; implicit-def: $vgpr124
                                        ; implicit-def: $vgpr125
                                        ; implicit-def: $vgpr126
                                        ; implicit-def: $vgpr127
                                        ; implicit-def: $vgpr128
                                        ; implicit-def: $vgpr129
                                        ; implicit-def: $vgpr130
                                        ; implicit-def: $vgpr131
                                        ; implicit-def: $vgpr132
                                        ; implicit-def: $vgpr133
                                        ; implicit-def: $vgpr134
                                        ; implicit-def: $vgpr135
                                        ; implicit-def: $vgpr136
	s_wait_kmcnt 0x0
	s_cmp_lt_u32 s33, s12
	s_cselect_b32 s30, 12, 18
	s_cmp_lt_u32 s42, s13
	s_mov_b32 s13, s31
	s_cselect_b32 s12, 14, 20
	s_delay_alu instid0(SALU_CYCLE_1)
	s_add_nc_u64 s[12:13], s[34:35], s[12:13]
	s_load_u16 s14, s[12:13], 0x0
	s_wait_xcnt 0x0
	s_add_nc_u64 s[12:13], s[34:35], s[30:31]
	s_mov_b32 s30, s52
	s_load_u16 s12, s[12:13], 0x0
	s_wait_xcnt 0x0
	v_cmp_lt_u32_e64 s13, 1, v100
	s_wait_dscnt 0x0
	s_wait_kmcnt 0x0
	v_mad_u32_u24 v25, v90, s14, v92
	v_cmp_lt_u32_e64 s14, 3, v100
	s_delay_alu instid0(VALU_DEP_2) | instskip(SKIP_2) | instid1(VALU_DEP_3)
	v_mad_u32 v26, v25, s12, v2
	v_mov_b32_e32 v25, v1
	v_cmp_eq_u32_e64 s12, 0, v100
	v_lshrrev_b32_e32 v30, 3, v26
	v_add_nc_u64_e32 v[26:27], v[14:15], v[0:1]
	s_delay_alu instid0(VALU_DEP_4) | instskip(NEXT) | instid1(VALU_DEP_3)
	v_add_nc_u64_e32 v[28:29], v[16:17], v[24:25]
	v_and_b32_e32 v25, 0x1ffffffc, v30
                                        ; implicit-def: $vgpr30_vgpr31
	s_branch .LBB494_974
.LBB494_973:                            ;   in Loop: Header=BB494_974 Depth=2
	s_or_b32 exec_lo, exec_lo, s15
	s_addk_co_i32 s55, 0xf000
	s_cmp_lt_u32 s56, s51
	s_mov_b32 s30, s56
	s_cbranch_scc0 .LBB494_10
.LBB494_974:                            ;   Parent Loop BB494_12 Depth=1
                                        ; =>  This Inner Loop Header: Depth=2
	s_add_co_i32 s56, s30, 0x1000
	s_delay_alu instid0(SALU_CYCLE_1)
	s_cmp_gt_u32 s56, s51
	s_cbranch_scc1 .LBB494_976
; %bb.975:                              ;   in Loop: Header=BB494_974 Depth=2
	s_delay_alu instid0(VALU_DEP_2)
	v_lshl_add_u64 v[62:63], s[30:31], 2, v[28:29]
	s_mov_b32 s15, -1
	s_clause 0xe
	global_load_b32 v139, v[62:63], off
	global_load_b32 v140, v[62:63], off offset:128
	global_load_b32 v143, v[62:63], off offset:256
	;; [unrolled: 1-line block ×14, first 2 shown]
	s_movk_i32 s16, 0x1000
	s_cbranch_execz .LBB494_977
	s_branch .LBB494_1008
.LBB494_976:                            ;   in Loop: Header=BB494_974 Depth=2
	s_mov_b32 s15, 0
                                        ; implicit-def: $vgpr139
                                        ; implicit-def: $vgpr140
                                        ; implicit-def: $vgpr143
                                        ; implicit-def: $vgpr147
                                        ; implicit-def: $vgpr151
                                        ; implicit-def: $vgpr155
                                        ; implicit-def: $vgpr159
                                        ; implicit-def: $vgpr163
                                        ; implicit-def: $vgpr167
                                        ; implicit-def: $vgpr69
                                        ; implicit-def: $vgpr68
                                        ; implicit-def: $vgpr67
                                        ; implicit-def: $vgpr66
                                        ; implicit-def: $vgpr65
                                        ; implicit-def: $vgpr64
	s_movk_i32 s16, 0x1000
.LBB494_977:                            ;   in Loop: Header=BB494_974 Depth=2
	s_wait_xcnt 0x0
	v_lshl_add_u64 v[62:63], s[30:31], 2, v[28:29]
	s_wait_loadcnt 0xd
	v_bfrev_b32_e32 v140, 1
	v_bfrev_b32_e32 v139, 1
	s_mov_b32 s15, exec_lo
	v_cmpx_gt_u32_e64 s55, v99
	s_cbranch_execz .LBB494_979
; %bb.978:                              ;   in Loop: Header=BB494_974 Depth=2
	global_load_b32 v139, v[62:63], off
.LBB494_979:                            ;   in Loop: Header=BB494_974 Depth=2
	s_wait_xcnt 0x0
	s_or_b32 exec_lo, exec_lo, s15
	s_delay_alu instid0(SALU_CYCLE_1)
	s_mov_b32 s15, exec_lo
	v_cmpx_gt_u32_e64 s55, v102
	s_cbranch_execz .LBB494_981
; %bb.980:                              ;   in Loop: Header=BB494_974 Depth=2
	global_load_b32 v140, v[62:63], off offset:128
.LBB494_981:                            ;   in Loop: Header=BB494_974 Depth=2
	s_wait_xcnt 0x0
	s_or_b32 exec_lo, exec_lo, s15
	s_wait_loadcnt 0xb
	v_bfrev_b32_e32 v147, 1
	v_bfrev_b32_e32 v143, 1
	s_mov_b32 s15, exec_lo
	v_cmpx_gt_u32_e64 s55, v103
	s_cbranch_execz .LBB494_983
; %bb.982:                              ;   in Loop: Header=BB494_974 Depth=2
	global_load_b32 v143, v[62:63], off offset:256
.LBB494_983:                            ;   in Loop: Header=BB494_974 Depth=2
	s_wait_xcnt 0x0
	s_or_b32 exec_lo, exec_lo, s15
	s_delay_alu instid0(SALU_CYCLE_1)
	s_mov_b32 s15, exec_lo
	v_cmpx_gt_u32_e64 s55, v104
	s_cbranch_execz .LBB494_985
; %bb.984:                              ;   in Loop: Header=BB494_974 Depth=2
	global_load_b32 v147, v[62:63], off offset:384
.LBB494_985:                            ;   in Loop: Header=BB494_974 Depth=2
	s_wait_xcnt 0x0
	s_or_b32 exec_lo, exec_lo, s15
	s_wait_loadcnt 0x9
	v_bfrev_b32_e32 v155, 1
	v_bfrev_b32_e32 v151, 1
	s_mov_b32 s15, exec_lo
	v_cmpx_gt_u32_e64 s55, v105
	s_cbranch_execz .LBB494_987
; %bb.986:                              ;   in Loop: Header=BB494_974 Depth=2
	global_load_b32 v151, v[62:63], off offset:512
.LBB494_987:                            ;   in Loop: Header=BB494_974 Depth=2
	;; [unrolled: 20-line block ×5, first 2 shown]
	s_wait_xcnt 0x0
	s_or_b32 exec_lo, exec_lo, s15
	s_delay_alu instid0(SALU_CYCLE_1)
	s_mov_b32 s15, exec_lo
	v_cmpx_gt_u32_e64 s55, v112
	s_cbranch_execz .LBB494_1001
; %bb.1000:                             ;   in Loop: Header=BB494_974 Depth=2
	global_load_b32 v67, v[62:63], off offset:1408
.LBB494_1001:                           ;   in Loop: Header=BB494_974 Depth=2
	s_wait_xcnt 0x0
	s_or_b32 exec_lo, exec_lo, s15
	s_wait_loadcnt 0x1
	v_bfrev_b32_e32 v65, 1
	v_bfrev_b32_e32 v66, 1
	s_mov_b32 s15, exec_lo
	v_cmpx_gt_u32_e64 s55, v113
	s_cbranch_execz .LBB494_1003
; %bb.1002:                             ;   in Loop: Header=BB494_974 Depth=2
	global_load_b32 v66, v[62:63], off offset:1536
.LBB494_1003:                           ;   in Loop: Header=BB494_974 Depth=2
	s_wait_xcnt 0x0
	s_or_b32 exec_lo, exec_lo, s15
	s_delay_alu instid0(SALU_CYCLE_1)
	s_mov_b32 s15, exec_lo
	v_cmpx_gt_u32_e64 s55, v114
	s_cbranch_execz .LBB494_1005
; %bb.1004:                             ;   in Loop: Header=BB494_974 Depth=2
	global_load_b32 v65, v[62:63], off offset:1664
.LBB494_1005:                           ;   in Loop: Header=BB494_974 Depth=2
	s_wait_xcnt 0x0
	s_or_b32 exec_lo, exec_lo, s15
	s_wait_loadcnt 0x0
	v_bfrev_b32_e32 v64, 1
	s_mov_b32 s15, exec_lo
	v_cmpx_gt_u32_e64 s55, v115
	s_cbranch_execz .LBB494_1007
; %bb.1006:                             ;   in Loop: Header=BB494_974 Depth=2
	global_load_b32 v64, v[62:63], off offset:1792
.LBB494_1007:                           ;   in Loop: Header=BB494_974 Depth=2
	s_wait_xcnt 0x0
	s_or_b32 exec_lo, exec_lo, s15
	v_cmp_gt_u32_e64 s15, s55, v116
	s_sub_co_i32 s16, s51, s30
.LBB494_1008:                           ;   in Loop: Header=BB494_974 Depth=2
	v_dual_mov_b32 v138, -1 :: v_dual_mov_b32 v137, s55
	s_wait_xcnt 0x0
	s_and_saveexec_b32 s17, s15
	s_cbranch_execz .LBB494_1010
; %bb.1009:                             ;   in Loop: Header=BB494_974 Depth=2
	v_lshl_add_u64 v[62:63], s[30:31], 2, v[28:29]
	v_mov_b32_e32 v137, s16
	global_load_b32 v62, v[62:63], off offset:1920
	s_wait_loadcnt 0x0
	v_xor_b32_e32 v138, 0x7fffffff, v62
.LBB494_1010:                           ;   in Loop: Header=BB494_974 Depth=2
	s_wait_xcnt 0x0
	s_or_b32 exec_lo, exec_lo, s17
	s_wait_loadcnt 0xe
	v_xor_b32_e32 v139, 0x7fffffff, v139
	ds_store_2addr_b32 v5, v1, v1 offset1:1
	ds_store_2addr_b32 v117, v1, v1 offset1:1
	;; [unrolled: 1-line block ×4, first 2 shown]
	ds_store_b32 v91, v1 offset:1088
	s_wait_loadcnt_dscnt 0x0
	s_barrier_signal -1
	v_lshrrev_b32_e32 v62, s49, v139
	s_barrier_wait -1
	; wave barrier
	s_delay_alu instid0(VALU_DEP_1) | instskip(NEXT) | instid1(VALU_DEP_1)
	v_and_b32_e32 v142, s48, v62
	v_lshlrev_b32_e32 v141, 30, v142
	v_bitop3_b32 v63, v62, 1, s48 bitop3:0x80
	s_delay_alu instid0(VALU_DEP_1) | instskip(NEXT) | instid1(VALU_DEP_1)
	v_add_co_u32 v62, s15, v63, -1
	v_cndmask_b32_e64 v63, 0, 1, s15
	s_delay_alu instid0(VALU_DEP_4) | instskip(NEXT) | instid1(VALU_DEP_2)
	v_cmp_gt_i32_e64 s15, 0, v141
	v_cmp_ne_u32_e32 vcc_lo, 0, v63
	v_not_b32_e32 v63, v141
	s_delay_alu instid0(VALU_DEP_1) | instskip(SKIP_3) | instid1(VALU_DEP_4)
	v_dual_ashrrev_i32 v63, 31, v63 :: v_dual_lshlrev_b32 v144, 29, v142
	v_dual_lshlrev_b32 v145, 28, v142 :: v_dual_lshlrev_b32 v146, 27, v142
	v_dual_lshlrev_b32 v148, 26, v142 :: v_dual_lshlrev_b32 v149, 25, v142
	v_lshlrev_b32_e32 v150, 24, v142
	v_cmp_gt_i32_e64 s16, 0, v144
	v_not_b32_e32 v141, v144
	v_not_b32_e32 v144, v145
	v_cmp_gt_i32_e64 s17, 0, v145
	v_cmp_gt_i32_e64 s18, 0, v146
	v_not_b32_e32 v145, v146
	v_not_b32_e32 v146, v148
	v_dual_ashrrev_i32 v141, 31, v141 :: v_dual_bitop2_b32 v62, vcc_lo, v62 bitop3:0x14
	v_dual_ashrrev_i32 v144, 31, v144 :: v_dual_bitop2_b32 v63, s15, v63 bitop3:0x14
	v_cmp_gt_i32_e64 s19, 0, v148
	v_not_b32_e32 v148, v149
	s_delay_alu instid0(VALU_DEP_3)
	v_dual_ashrrev_i32 v145, 31, v145 :: v_dual_bitop2_b32 v144, s17, v144 bitop3:0x14
	v_dual_ashrrev_i32 v146, 31, v146 :: v_dual_bitop2_b32 v141, s16, v141 bitop3:0x14
	v_bitop3_b32 v62, v62, v63, exec_lo bitop3:0x80
	v_not_b32_e32 v63, v150
	v_cmp_gt_i32_e64 s20, 0, v149
	v_dual_ashrrev_i32 v148, 31, v148 :: v_dual_bitop2_b32 v145, s18, v145 bitop3:0x14
	s_delay_alu instid0(VALU_DEP_4) | instskip(SKIP_2) | instid1(VALU_DEP_4)
	v_bitop3_b32 v62, v62, v144, v141 bitop3:0x80
	v_cmp_gt_i32_e32 vcc_lo, 0, v150
	v_dual_ashrrev_i32 v63, 31, v63 :: v_dual_bitop2_b32 v141, s19, v146 bitop3:0x14
	v_xor_b32_e32 v144, s20, v148
	s_delay_alu instid0(VALU_DEP_2) | instskip(NEXT) | instid1(VALU_DEP_3)
	v_xor_b32_e32 v63, vcc_lo, v63
	v_bitop3_b32 v62, v62, v141, v145 bitop3:0x80
	s_delay_alu instid0(VALU_DEP_1) | instskip(SKIP_1) | instid1(VALU_DEP_2)
	v_bitop3_b32 v62, v62, v63, v144 bitop3:0x80
	v_mul_u32_u24_e32 v63, 36, v142
	v_mbcnt_lo_u32_b32 v141, v62, 0
	v_cmp_ne_u32_e64 s15, 0, v62
	s_delay_alu instid0(VALU_DEP_3) | instskip(NEXT) | instid1(VALU_DEP_3)
	v_add_nc_u32_e32 v142, v25, v63
	v_cmp_eq_u32_e32 vcc_lo, 0, v141
	s_and_b32 s16, s15, vcc_lo
	s_delay_alu instid0(SALU_CYCLE_1)
	s_and_saveexec_b32 s15, s16
; %bb.1011:                             ;   in Loop: Header=BB494_974 Depth=2
	v_bcnt_u32_b32 v62, v62, 0
	ds_store_b32 v142, v62 offset:1056
; %bb.1012:                             ;   in Loop: Header=BB494_974 Depth=2
	s_or_b32 exec_lo, exec_lo, s15
	v_xor_b32_e32 v140, 0x7fffffff, v140
	; wave barrier
	s_delay_alu instid0(VALU_DEP_1) | instskip(NEXT) | instid1(VALU_DEP_1)
	v_lshrrev_b32_e32 v62, s49, v140
	v_and_b32_e32 v146, s48, v62
	s_delay_alu instid0(VALU_DEP_1) | instskip(SKIP_1) | instid1(VALU_DEP_1)
	v_lshlrev_b32_e32 v144, 30, v146
	v_bitop3_b32 v63, v62, 1, s48 bitop3:0x80
	v_add_co_u32 v62, s15, v63, -1
	s_delay_alu instid0(VALU_DEP_1) | instskip(NEXT) | instid1(VALU_DEP_4)
	v_cndmask_b32_e64 v63, 0, 1, s15
	v_cmp_gt_i32_e64 s15, 0, v144
	s_delay_alu instid0(VALU_DEP_2) | instskip(SKIP_1) | instid1(VALU_DEP_1)
	v_cmp_ne_u32_e32 vcc_lo, 0, v63
	v_not_b32_e32 v63, v144
	v_dual_ashrrev_i32 v63, 31, v63 :: v_dual_lshlrev_b32 v145, 29, v146
	v_dual_lshlrev_b32 v148, 28, v146 :: v_dual_lshlrev_b32 v149, 27, v146
	v_dual_lshlrev_b32 v150, 26, v146 :: v_dual_lshlrev_b32 v152, 25, v146
	v_lshlrev_b32_e32 v153, 24, v146
	s_delay_alu instid0(VALU_DEP_4)
	v_cmp_gt_i32_e64 s16, 0, v145
	v_not_b32_e32 v144, v145
	v_not_b32_e32 v145, v148
	v_cmp_gt_i32_e64 s17, 0, v148
	v_cmp_gt_i32_e64 s18, 0, v149
	v_not_b32_e32 v148, v149
	v_not_b32_e32 v149, v150
	v_dual_ashrrev_i32 v144, 31, v144 :: v_dual_bitop2_b32 v62, vcc_lo, v62 bitop3:0x14
	v_dual_ashrrev_i32 v145, 31, v145 :: v_dual_bitop2_b32 v63, s15, v63 bitop3:0x14
	v_cmp_gt_i32_e64 s19, 0, v150
	s_delay_alu instid0(VALU_DEP_4) | instskip(SKIP_1) | instid1(VALU_DEP_4)
	v_dual_ashrrev_i32 v148, 31, v148 :: v_dual_ashrrev_i32 v149, 31, v149
	v_not_b32_e32 v150, v153
	v_xor_b32_e32 v145, s17, v145
	v_bitop3_b32 v62, v62, v63, exec_lo bitop3:0x80
	v_not_b32_e32 v63, v152
	v_xor_b32_e32 v144, s16, v144
	v_cmp_gt_i32_e64 s20, 0, v152
	v_xor_b32_e32 v148, s18, v148
	s_delay_alu instid0(VALU_DEP_4) | instskip(NEXT) | instid1(VALU_DEP_4)
	v_dual_ashrrev_i32 v63, 31, v63 :: v_dual_bitop2_b32 v149, s19, v149 bitop3:0x14
	v_bitop3_b32 v62, v62, v145, v144 bitop3:0x80
	v_cmp_gt_i32_e32 vcc_lo, 0, v153
	v_ashrrev_i32_e32 v144, 31, v150
	v_mad_u32_u24 v145, v146, 36, v25
	v_xor_b32_e32 v63, s20, v63
	v_bitop3_b32 v62, v62, v149, v148 bitop3:0x80
	s_delay_alu instid0(VALU_DEP_4) | instskip(SKIP_3) | instid1(VALU_DEP_2)
	v_xor_b32_e32 v148, vcc_lo, v144
	ds_load_b32 v144, v145 offset:1056
	; wave barrier
	v_bitop3_b32 v62, v62, v148, v63 bitop3:0x80
	v_mul_u32_u24_e32 v63, 36, v146
	v_mbcnt_lo_u32_b32 v145, v62, 0
	v_cmp_ne_u32_e64 s15, 0, v62
	s_delay_alu instid0(VALU_DEP_3) | instskip(NEXT) | instid1(VALU_DEP_3)
	v_add_nc_u32_e32 v146, v25, v63
	v_cmp_eq_u32_e32 vcc_lo, 0, v145
	s_and_b32 s16, s15, vcc_lo
	s_delay_alu instid0(SALU_CYCLE_1)
	s_and_saveexec_b32 s15, s16
	s_cbranch_execz .LBB494_1014
; %bb.1013:                             ;   in Loop: Header=BB494_974 Depth=2
	s_wait_dscnt 0x0
	v_bcnt_u32_b32 v62, v62, v144
	ds_store_b32 v146, v62 offset:1056
.LBB494_1014:                           ;   in Loop: Header=BB494_974 Depth=2
	s_or_b32 exec_lo, exec_lo, s15
	v_xor_b32_e32 v143, 0x7fffffff, v143
	; wave barrier
	s_delay_alu instid0(VALU_DEP_1) | instskip(NEXT) | instid1(VALU_DEP_1)
	v_lshrrev_b32_e32 v62, s49, v143
	v_and_b32_e32 v150, s48, v62
	s_delay_alu instid0(VALU_DEP_1) | instskip(SKIP_1) | instid1(VALU_DEP_1)
	v_lshlrev_b32_e32 v148, 30, v150
	v_bitop3_b32 v63, v62, 1, s48 bitop3:0x80
	v_add_co_u32 v62, s15, v63, -1
	s_delay_alu instid0(VALU_DEP_1) | instskip(NEXT) | instid1(VALU_DEP_4)
	v_cndmask_b32_e64 v63, 0, 1, s15
	v_cmp_gt_i32_e64 s15, 0, v148
	s_delay_alu instid0(VALU_DEP_2) | instskip(SKIP_1) | instid1(VALU_DEP_1)
	v_cmp_ne_u32_e32 vcc_lo, 0, v63
	v_not_b32_e32 v63, v148
	v_dual_ashrrev_i32 v63, 31, v63 :: v_dual_lshlrev_b32 v149, 29, v150
	v_dual_lshlrev_b32 v152, 28, v150 :: v_dual_lshlrev_b32 v153, 27, v150
	v_dual_lshlrev_b32 v154, 26, v150 :: v_dual_lshlrev_b32 v156, 25, v150
	v_lshlrev_b32_e32 v157, 24, v150
	s_delay_alu instid0(VALU_DEP_4)
	v_cmp_gt_i32_e64 s16, 0, v149
	v_not_b32_e32 v148, v149
	v_not_b32_e32 v149, v152
	v_cmp_gt_i32_e64 s17, 0, v152
	v_cmp_gt_i32_e64 s18, 0, v153
	v_not_b32_e32 v152, v153
	v_not_b32_e32 v153, v154
	v_dual_ashrrev_i32 v148, 31, v148 :: v_dual_bitop2_b32 v62, vcc_lo, v62 bitop3:0x14
	v_dual_ashrrev_i32 v149, 31, v149 :: v_dual_bitop2_b32 v63, s15, v63 bitop3:0x14
	v_cmp_gt_i32_e64 s19, 0, v154
	s_delay_alu instid0(VALU_DEP_4) | instskip(SKIP_1) | instid1(VALU_DEP_4)
	v_dual_ashrrev_i32 v152, 31, v152 :: v_dual_ashrrev_i32 v153, 31, v153
	v_not_b32_e32 v154, v157
	v_xor_b32_e32 v149, s17, v149
	v_bitop3_b32 v62, v62, v63, exec_lo bitop3:0x80
	v_not_b32_e32 v63, v156
	v_xor_b32_e32 v148, s16, v148
	v_cmp_gt_i32_e64 s20, 0, v156
	v_xor_b32_e32 v152, s18, v152
	s_delay_alu instid0(VALU_DEP_4) | instskip(NEXT) | instid1(VALU_DEP_4)
	v_dual_ashrrev_i32 v63, 31, v63 :: v_dual_bitop2_b32 v153, s19, v153 bitop3:0x14
	v_bitop3_b32 v62, v62, v149, v148 bitop3:0x80
	v_cmp_gt_i32_e32 vcc_lo, 0, v157
	v_ashrrev_i32_e32 v148, 31, v154
	v_mad_u32_u24 v149, v150, 36, v25
	v_xor_b32_e32 v63, s20, v63
	v_bitop3_b32 v62, v62, v153, v152 bitop3:0x80
	s_delay_alu instid0(VALU_DEP_4) | instskip(SKIP_3) | instid1(VALU_DEP_2)
	v_xor_b32_e32 v152, vcc_lo, v148
	ds_load_b32 v148, v149 offset:1056
	; wave barrier
	v_bitop3_b32 v62, v62, v152, v63 bitop3:0x80
	v_mul_u32_u24_e32 v63, 36, v150
	v_mbcnt_lo_u32_b32 v149, v62, 0
	v_cmp_ne_u32_e64 s15, 0, v62
	s_delay_alu instid0(VALU_DEP_3) | instskip(NEXT) | instid1(VALU_DEP_3)
	v_add_nc_u32_e32 v150, v25, v63
	v_cmp_eq_u32_e32 vcc_lo, 0, v149
	s_and_b32 s16, s15, vcc_lo
	s_delay_alu instid0(SALU_CYCLE_1)
	s_and_saveexec_b32 s15, s16
	s_cbranch_execz .LBB494_1016
; %bb.1015:                             ;   in Loop: Header=BB494_974 Depth=2
	s_wait_dscnt 0x0
	v_bcnt_u32_b32 v62, v62, v148
	ds_store_b32 v150, v62 offset:1056
.LBB494_1016:                           ;   in Loop: Header=BB494_974 Depth=2
	s_or_b32 exec_lo, exec_lo, s15
	v_xor_b32_e32 v147, 0x7fffffff, v147
	; wave barrier
	s_delay_alu instid0(VALU_DEP_1) | instskip(NEXT) | instid1(VALU_DEP_1)
	v_lshrrev_b32_e32 v62, s49, v147
	v_and_b32_e32 v154, s48, v62
	s_delay_alu instid0(VALU_DEP_1) | instskip(SKIP_1) | instid1(VALU_DEP_1)
	v_lshlrev_b32_e32 v152, 30, v154
	v_bitop3_b32 v63, v62, 1, s48 bitop3:0x80
	v_add_co_u32 v62, s15, v63, -1
	s_delay_alu instid0(VALU_DEP_1) | instskip(NEXT) | instid1(VALU_DEP_4)
	v_cndmask_b32_e64 v63, 0, 1, s15
	v_cmp_gt_i32_e64 s15, 0, v152
	s_delay_alu instid0(VALU_DEP_2) | instskip(SKIP_1) | instid1(VALU_DEP_1)
	v_cmp_ne_u32_e32 vcc_lo, 0, v63
	v_not_b32_e32 v63, v152
	v_dual_ashrrev_i32 v63, 31, v63 :: v_dual_lshlrev_b32 v153, 29, v154
	v_dual_lshlrev_b32 v156, 28, v154 :: v_dual_lshlrev_b32 v157, 27, v154
	v_dual_lshlrev_b32 v158, 26, v154 :: v_dual_lshlrev_b32 v160, 25, v154
	v_lshlrev_b32_e32 v161, 24, v154
	s_delay_alu instid0(VALU_DEP_4)
	v_cmp_gt_i32_e64 s16, 0, v153
	v_not_b32_e32 v152, v153
	v_not_b32_e32 v153, v156
	v_cmp_gt_i32_e64 s17, 0, v156
	v_cmp_gt_i32_e64 s18, 0, v157
	v_not_b32_e32 v156, v157
	v_not_b32_e32 v157, v158
	v_dual_ashrrev_i32 v152, 31, v152 :: v_dual_bitop2_b32 v62, vcc_lo, v62 bitop3:0x14
	v_dual_ashrrev_i32 v153, 31, v153 :: v_dual_bitop2_b32 v63, s15, v63 bitop3:0x14
	v_cmp_gt_i32_e64 s19, 0, v158
	s_delay_alu instid0(VALU_DEP_4) | instskip(SKIP_1) | instid1(VALU_DEP_4)
	v_dual_ashrrev_i32 v156, 31, v156 :: v_dual_ashrrev_i32 v157, 31, v157
	v_not_b32_e32 v158, v161
	v_xor_b32_e32 v153, s17, v153
	v_bitop3_b32 v62, v62, v63, exec_lo bitop3:0x80
	v_not_b32_e32 v63, v160
	v_xor_b32_e32 v152, s16, v152
	v_cmp_gt_i32_e64 s20, 0, v160
	v_xor_b32_e32 v156, s18, v156
	s_delay_alu instid0(VALU_DEP_4) | instskip(NEXT) | instid1(VALU_DEP_4)
	v_dual_ashrrev_i32 v63, 31, v63 :: v_dual_bitop2_b32 v157, s19, v157 bitop3:0x14
	v_bitop3_b32 v62, v62, v153, v152 bitop3:0x80
	v_cmp_gt_i32_e32 vcc_lo, 0, v161
	v_ashrrev_i32_e32 v152, 31, v158
	v_mad_u32_u24 v153, v154, 36, v25
	v_xor_b32_e32 v63, s20, v63
	v_bitop3_b32 v62, v62, v157, v156 bitop3:0x80
	s_delay_alu instid0(VALU_DEP_4) | instskip(SKIP_3) | instid1(VALU_DEP_2)
	v_xor_b32_e32 v156, vcc_lo, v152
	ds_load_b32 v152, v153 offset:1056
	; wave barrier
	v_bitop3_b32 v62, v62, v156, v63 bitop3:0x80
	v_mul_u32_u24_e32 v63, 36, v154
	v_mbcnt_lo_u32_b32 v153, v62, 0
	v_cmp_ne_u32_e64 s15, 0, v62
	s_delay_alu instid0(VALU_DEP_3) | instskip(NEXT) | instid1(VALU_DEP_3)
	v_add_nc_u32_e32 v154, v25, v63
	v_cmp_eq_u32_e32 vcc_lo, 0, v153
	s_and_b32 s16, s15, vcc_lo
	s_delay_alu instid0(SALU_CYCLE_1)
	s_and_saveexec_b32 s15, s16
	s_cbranch_execz .LBB494_1018
; %bb.1017:                             ;   in Loop: Header=BB494_974 Depth=2
	s_wait_dscnt 0x0
	v_bcnt_u32_b32 v62, v62, v152
	ds_store_b32 v154, v62 offset:1056
.LBB494_1018:                           ;   in Loop: Header=BB494_974 Depth=2
	s_or_b32 exec_lo, exec_lo, s15
	v_xor_b32_e32 v151, 0x7fffffff, v151
	; wave barrier
	s_delay_alu instid0(VALU_DEP_1) | instskip(NEXT) | instid1(VALU_DEP_1)
	v_lshrrev_b32_e32 v62, s49, v151
	v_and_b32_e32 v158, s48, v62
	s_delay_alu instid0(VALU_DEP_1) | instskip(SKIP_1) | instid1(VALU_DEP_1)
	v_lshlrev_b32_e32 v156, 30, v158
	v_bitop3_b32 v63, v62, 1, s48 bitop3:0x80
	v_add_co_u32 v62, s15, v63, -1
	s_delay_alu instid0(VALU_DEP_1) | instskip(NEXT) | instid1(VALU_DEP_4)
	v_cndmask_b32_e64 v63, 0, 1, s15
	v_cmp_gt_i32_e64 s15, 0, v156
	s_delay_alu instid0(VALU_DEP_2) | instskip(SKIP_1) | instid1(VALU_DEP_1)
	v_cmp_ne_u32_e32 vcc_lo, 0, v63
	v_not_b32_e32 v63, v156
	v_dual_ashrrev_i32 v63, 31, v63 :: v_dual_lshlrev_b32 v157, 29, v158
	v_dual_lshlrev_b32 v160, 28, v158 :: v_dual_lshlrev_b32 v161, 27, v158
	v_dual_lshlrev_b32 v162, 26, v158 :: v_dual_lshlrev_b32 v164, 25, v158
	v_lshlrev_b32_e32 v165, 24, v158
	s_delay_alu instid0(VALU_DEP_4)
	v_cmp_gt_i32_e64 s16, 0, v157
	v_not_b32_e32 v156, v157
	v_not_b32_e32 v157, v160
	v_cmp_gt_i32_e64 s17, 0, v160
	v_cmp_gt_i32_e64 s18, 0, v161
	v_not_b32_e32 v160, v161
	v_not_b32_e32 v161, v162
	v_dual_ashrrev_i32 v156, 31, v156 :: v_dual_bitop2_b32 v62, vcc_lo, v62 bitop3:0x14
	v_dual_ashrrev_i32 v157, 31, v157 :: v_dual_bitop2_b32 v63, s15, v63 bitop3:0x14
	v_cmp_gt_i32_e64 s19, 0, v162
	s_delay_alu instid0(VALU_DEP_4) | instskip(SKIP_1) | instid1(VALU_DEP_4)
	v_dual_ashrrev_i32 v160, 31, v160 :: v_dual_ashrrev_i32 v161, 31, v161
	v_not_b32_e32 v162, v165
	v_xor_b32_e32 v157, s17, v157
	v_bitop3_b32 v62, v62, v63, exec_lo bitop3:0x80
	v_not_b32_e32 v63, v164
	v_xor_b32_e32 v156, s16, v156
	v_cmp_gt_i32_e64 s20, 0, v164
	v_xor_b32_e32 v160, s18, v160
	s_delay_alu instid0(VALU_DEP_4) | instskip(NEXT) | instid1(VALU_DEP_4)
	v_dual_ashrrev_i32 v63, 31, v63 :: v_dual_bitop2_b32 v161, s19, v161 bitop3:0x14
	v_bitop3_b32 v62, v62, v157, v156 bitop3:0x80
	v_cmp_gt_i32_e32 vcc_lo, 0, v165
	v_ashrrev_i32_e32 v156, 31, v162
	v_mad_u32_u24 v157, v158, 36, v25
	v_xor_b32_e32 v63, s20, v63
	v_bitop3_b32 v62, v62, v161, v160 bitop3:0x80
	s_delay_alu instid0(VALU_DEP_4) | instskip(SKIP_3) | instid1(VALU_DEP_2)
	v_xor_b32_e32 v160, vcc_lo, v156
	ds_load_b32 v156, v157 offset:1056
	; wave barrier
	v_bitop3_b32 v62, v62, v160, v63 bitop3:0x80
	v_mul_u32_u24_e32 v63, 36, v158
	v_mbcnt_lo_u32_b32 v157, v62, 0
	v_cmp_ne_u32_e64 s15, 0, v62
	s_delay_alu instid0(VALU_DEP_3) | instskip(NEXT) | instid1(VALU_DEP_3)
	v_add_nc_u32_e32 v158, v25, v63
	v_cmp_eq_u32_e32 vcc_lo, 0, v157
	s_and_b32 s16, s15, vcc_lo
	s_delay_alu instid0(SALU_CYCLE_1)
	s_and_saveexec_b32 s15, s16
	s_cbranch_execz .LBB494_1020
; %bb.1019:                             ;   in Loop: Header=BB494_974 Depth=2
	s_wait_dscnt 0x0
	v_bcnt_u32_b32 v62, v62, v156
	ds_store_b32 v158, v62 offset:1056
.LBB494_1020:                           ;   in Loop: Header=BB494_974 Depth=2
	s_or_b32 exec_lo, exec_lo, s15
	v_xor_b32_e32 v155, 0x7fffffff, v155
	; wave barrier
	s_delay_alu instid0(VALU_DEP_1) | instskip(NEXT) | instid1(VALU_DEP_1)
	v_lshrrev_b32_e32 v62, s49, v155
	v_and_b32_e32 v162, s48, v62
	s_delay_alu instid0(VALU_DEP_1) | instskip(SKIP_1) | instid1(VALU_DEP_1)
	v_lshlrev_b32_e32 v160, 30, v162
	v_bitop3_b32 v63, v62, 1, s48 bitop3:0x80
	v_add_co_u32 v62, s15, v63, -1
	s_delay_alu instid0(VALU_DEP_1) | instskip(NEXT) | instid1(VALU_DEP_4)
	v_cndmask_b32_e64 v63, 0, 1, s15
	v_cmp_gt_i32_e64 s15, 0, v160
	s_delay_alu instid0(VALU_DEP_2) | instskip(SKIP_1) | instid1(VALU_DEP_1)
	v_cmp_ne_u32_e32 vcc_lo, 0, v63
	v_not_b32_e32 v63, v160
	v_dual_ashrrev_i32 v63, 31, v63 :: v_dual_lshlrev_b32 v161, 29, v162
	v_dual_lshlrev_b32 v164, 28, v162 :: v_dual_lshlrev_b32 v165, 27, v162
	v_dual_lshlrev_b32 v166, 26, v162 :: v_dual_lshlrev_b32 v168, 25, v162
	v_lshlrev_b32_e32 v169, 24, v162
	s_delay_alu instid0(VALU_DEP_4)
	v_cmp_gt_i32_e64 s16, 0, v161
	v_not_b32_e32 v160, v161
	v_not_b32_e32 v161, v164
	v_cmp_gt_i32_e64 s17, 0, v164
	v_cmp_gt_i32_e64 s18, 0, v165
	v_not_b32_e32 v164, v165
	v_not_b32_e32 v165, v166
	v_dual_ashrrev_i32 v160, 31, v160 :: v_dual_bitop2_b32 v62, vcc_lo, v62 bitop3:0x14
	v_dual_ashrrev_i32 v161, 31, v161 :: v_dual_bitop2_b32 v63, s15, v63 bitop3:0x14
	v_cmp_gt_i32_e64 s19, 0, v166
	s_delay_alu instid0(VALU_DEP_4) | instskip(SKIP_1) | instid1(VALU_DEP_4)
	v_dual_ashrrev_i32 v164, 31, v164 :: v_dual_ashrrev_i32 v165, 31, v165
	v_not_b32_e32 v166, v169
	v_xor_b32_e32 v161, s17, v161
	v_bitop3_b32 v62, v62, v63, exec_lo bitop3:0x80
	v_not_b32_e32 v63, v168
	v_xor_b32_e32 v160, s16, v160
	v_cmp_gt_i32_e64 s20, 0, v168
	v_xor_b32_e32 v164, s18, v164
	s_delay_alu instid0(VALU_DEP_4) | instskip(NEXT) | instid1(VALU_DEP_4)
	v_dual_ashrrev_i32 v63, 31, v63 :: v_dual_bitop2_b32 v165, s19, v165 bitop3:0x14
	v_bitop3_b32 v62, v62, v161, v160 bitop3:0x80
	v_cmp_gt_i32_e32 vcc_lo, 0, v169
	v_ashrrev_i32_e32 v160, 31, v166
	v_mad_u32_u24 v161, v162, 36, v25
	v_xor_b32_e32 v63, s20, v63
	v_bitop3_b32 v62, v62, v165, v164 bitop3:0x80
	s_delay_alu instid0(VALU_DEP_4) | instskip(SKIP_3) | instid1(VALU_DEP_2)
	v_xor_b32_e32 v164, vcc_lo, v160
	ds_load_b32 v160, v161 offset:1056
	; wave barrier
	v_bitop3_b32 v62, v62, v164, v63 bitop3:0x80
	v_mul_u32_u24_e32 v63, 36, v162
	v_mbcnt_lo_u32_b32 v161, v62, 0
	v_cmp_ne_u32_e64 s15, 0, v62
	s_delay_alu instid0(VALU_DEP_3) | instskip(NEXT) | instid1(VALU_DEP_3)
	v_add_nc_u32_e32 v162, v25, v63
	v_cmp_eq_u32_e32 vcc_lo, 0, v161
	s_and_b32 s16, s15, vcc_lo
	s_delay_alu instid0(SALU_CYCLE_1)
	s_and_saveexec_b32 s15, s16
	s_cbranch_execz .LBB494_1022
; %bb.1021:                             ;   in Loop: Header=BB494_974 Depth=2
	s_wait_dscnt 0x0
	v_bcnt_u32_b32 v62, v62, v160
	ds_store_b32 v162, v62 offset:1056
.LBB494_1022:                           ;   in Loop: Header=BB494_974 Depth=2
	s_or_b32 exec_lo, exec_lo, s15
	v_xor_b32_e32 v159, 0x7fffffff, v159
	; wave barrier
	s_delay_alu instid0(VALU_DEP_1) | instskip(NEXT) | instid1(VALU_DEP_1)
	v_lshrrev_b32_e32 v62, s49, v159
	v_and_b32_e32 v166, s48, v62
	s_delay_alu instid0(VALU_DEP_1) | instskip(SKIP_1) | instid1(VALU_DEP_1)
	v_lshlrev_b32_e32 v164, 30, v166
	v_bitop3_b32 v63, v62, 1, s48 bitop3:0x80
	v_add_co_u32 v62, s15, v63, -1
	s_delay_alu instid0(VALU_DEP_1) | instskip(NEXT) | instid1(VALU_DEP_4)
	v_cndmask_b32_e64 v63, 0, 1, s15
	v_cmp_gt_i32_e64 s15, 0, v164
	s_delay_alu instid0(VALU_DEP_2) | instskip(SKIP_1) | instid1(VALU_DEP_1)
	v_cmp_ne_u32_e32 vcc_lo, 0, v63
	v_not_b32_e32 v63, v164
	v_dual_ashrrev_i32 v63, 31, v63 :: v_dual_lshlrev_b32 v165, 29, v166
	v_dual_lshlrev_b32 v168, 28, v166 :: v_dual_lshlrev_b32 v169, 27, v166
	v_dual_lshlrev_b32 v170, 26, v166 :: v_dual_lshlrev_b32 v171, 25, v166
	v_lshlrev_b32_e32 v172, 24, v166
	s_delay_alu instid0(VALU_DEP_4)
	v_cmp_gt_i32_e64 s16, 0, v165
	v_not_b32_e32 v164, v165
	v_not_b32_e32 v165, v168
	v_cmp_gt_i32_e64 s17, 0, v168
	v_cmp_gt_i32_e64 s18, 0, v169
	v_not_b32_e32 v168, v169
	v_not_b32_e32 v169, v170
	v_dual_ashrrev_i32 v164, 31, v164 :: v_dual_bitop2_b32 v62, vcc_lo, v62 bitop3:0x14
	v_dual_ashrrev_i32 v165, 31, v165 :: v_dual_bitop2_b32 v63, s15, v63 bitop3:0x14
	v_cmp_gt_i32_e64 s19, 0, v170
	s_delay_alu instid0(VALU_DEP_4) | instskip(SKIP_1) | instid1(VALU_DEP_4)
	v_dual_ashrrev_i32 v168, 31, v168 :: v_dual_ashrrev_i32 v169, 31, v169
	v_not_b32_e32 v170, v172
	v_xor_b32_e32 v165, s17, v165
	v_bitop3_b32 v62, v62, v63, exec_lo bitop3:0x80
	v_not_b32_e32 v63, v171
	v_xor_b32_e32 v164, s16, v164
	v_cmp_gt_i32_e64 s20, 0, v171
	v_xor_b32_e32 v168, s18, v168
	s_delay_alu instid0(VALU_DEP_4) | instskip(NEXT) | instid1(VALU_DEP_4)
	v_dual_ashrrev_i32 v63, 31, v63 :: v_dual_bitop2_b32 v169, s19, v169 bitop3:0x14
	v_bitop3_b32 v62, v62, v165, v164 bitop3:0x80
	v_cmp_gt_i32_e32 vcc_lo, 0, v172
	v_ashrrev_i32_e32 v164, 31, v170
	v_mad_u32_u24 v165, v166, 36, v25
	v_xor_b32_e32 v63, s20, v63
	v_bitop3_b32 v62, v62, v169, v168 bitop3:0x80
	s_delay_alu instid0(VALU_DEP_4) | instskip(SKIP_3) | instid1(VALU_DEP_2)
	v_xor_b32_e32 v168, vcc_lo, v164
	ds_load_b32 v164, v165 offset:1056
	; wave barrier
	v_bitop3_b32 v62, v62, v168, v63 bitop3:0x80
	v_mul_u32_u24_e32 v63, 36, v166
	v_mbcnt_lo_u32_b32 v165, v62, 0
	v_cmp_ne_u32_e64 s15, 0, v62
	s_delay_alu instid0(VALU_DEP_3) | instskip(NEXT) | instid1(VALU_DEP_3)
	v_add_nc_u32_e32 v166, v25, v63
	v_cmp_eq_u32_e32 vcc_lo, 0, v165
	s_and_b32 s16, s15, vcc_lo
	s_delay_alu instid0(SALU_CYCLE_1)
	s_and_saveexec_b32 s15, s16
	s_cbranch_execz .LBB494_1024
; %bb.1023:                             ;   in Loop: Header=BB494_974 Depth=2
	s_wait_dscnt 0x0
	v_bcnt_u32_b32 v62, v62, v164
	ds_store_b32 v166, v62 offset:1056
.LBB494_1024:                           ;   in Loop: Header=BB494_974 Depth=2
	s_or_b32 exec_lo, exec_lo, s15
	v_xor_b32_e32 v163, 0x7fffffff, v163
	; wave barrier
	s_delay_alu instid0(VALU_DEP_1) | instskip(NEXT) | instid1(VALU_DEP_1)
	v_lshrrev_b32_e32 v62, s49, v163
	v_and_b32_e32 v170, s48, v62
	s_delay_alu instid0(VALU_DEP_1) | instskip(SKIP_1) | instid1(VALU_DEP_1)
	v_lshlrev_b32_e32 v168, 30, v170
	v_bitop3_b32 v63, v62, 1, s48 bitop3:0x80
	v_add_co_u32 v62, s15, v63, -1
	s_delay_alu instid0(VALU_DEP_1) | instskip(NEXT) | instid1(VALU_DEP_4)
	v_cndmask_b32_e64 v63, 0, 1, s15
	v_cmp_gt_i32_e64 s15, 0, v168
	s_delay_alu instid0(VALU_DEP_2) | instskip(SKIP_1) | instid1(VALU_DEP_1)
	v_cmp_ne_u32_e32 vcc_lo, 0, v63
	v_not_b32_e32 v63, v168
	v_dual_ashrrev_i32 v63, 31, v63 :: v_dual_lshlrev_b32 v169, 29, v170
	v_dual_lshlrev_b32 v171, 28, v170 :: v_dual_lshlrev_b32 v172, 27, v170
	v_dual_lshlrev_b32 v173, 26, v170 :: v_dual_lshlrev_b32 v174, 25, v170
	v_lshlrev_b32_e32 v175, 24, v170
	s_delay_alu instid0(VALU_DEP_4)
	v_cmp_gt_i32_e64 s16, 0, v169
	v_not_b32_e32 v168, v169
	v_not_b32_e32 v169, v171
	v_cmp_gt_i32_e64 s17, 0, v171
	v_cmp_gt_i32_e64 s18, 0, v172
	v_not_b32_e32 v171, v172
	v_not_b32_e32 v172, v173
	v_dual_ashrrev_i32 v168, 31, v168 :: v_dual_bitop2_b32 v62, vcc_lo, v62 bitop3:0x14
	v_dual_ashrrev_i32 v169, 31, v169 :: v_dual_bitop2_b32 v63, s15, v63 bitop3:0x14
	v_cmp_gt_i32_e64 s19, 0, v173
	s_delay_alu instid0(VALU_DEP_4) | instskip(NEXT) | instid1(VALU_DEP_3)
	v_dual_ashrrev_i32 v171, 31, v171 :: v_dual_ashrrev_i32 v172, 31, v172
	v_xor_b32_e32 v169, s17, v169
	s_delay_alu instid0(VALU_DEP_4)
	v_bitop3_b32 v62, v62, v63, exec_lo bitop3:0x80
	v_not_b32_e32 v63, v174
	v_xor_b32_e32 v168, s16, v168
	v_not_b32_e32 v173, v175
	v_cmp_gt_i32_e64 s20, 0, v174
	v_xor_b32_e32 v171, s18, v171
	v_dual_ashrrev_i32 v63, 31, v63 :: v_dual_bitop2_b32 v172, s19, v172 bitop3:0x14
	v_bitop3_b32 v62, v62, v169, v168 bitop3:0x80
	v_cmp_gt_i32_e32 vcc_lo, 0, v175
	v_ashrrev_i32_e32 v168, 31, v173
	v_mad_u32_u24 v169, v170, 36, v25
	v_xor_b32_e32 v63, s20, v63
	v_bitop3_b32 v62, v62, v172, v171 bitop3:0x80
	s_delay_alu instid0(VALU_DEP_4) | instskip(SKIP_3) | instid1(VALU_DEP_2)
	v_xor_b32_e32 v171, vcc_lo, v168
	ds_load_b32 v168, v169 offset:1056
	; wave barrier
	v_bitop3_b32 v62, v62, v171, v63 bitop3:0x80
	v_mul_u32_u24_e32 v63, 36, v170
	v_mbcnt_lo_u32_b32 v169, v62, 0
	v_cmp_ne_u32_e64 s15, 0, v62
	s_delay_alu instid0(VALU_DEP_3) | instskip(NEXT) | instid1(VALU_DEP_3)
	v_add_nc_u32_e32 v170, v25, v63
	v_cmp_eq_u32_e32 vcc_lo, 0, v169
	s_and_b32 s16, s15, vcc_lo
	s_delay_alu instid0(SALU_CYCLE_1)
	s_and_saveexec_b32 s15, s16
	s_cbranch_execz .LBB494_1026
; %bb.1025:                             ;   in Loop: Header=BB494_974 Depth=2
	s_wait_dscnt 0x0
	v_bcnt_u32_b32 v62, v62, v168
	ds_store_b32 v170, v62 offset:1056
.LBB494_1026:                           ;   in Loop: Header=BB494_974 Depth=2
	s_or_b32 exec_lo, exec_lo, s15
	v_xor_b32_e32 v167, 0x7fffffff, v167
	; wave barrier
	s_delay_alu instid0(VALU_DEP_1) | instskip(NEXT) | instid1(VALU_DEP_1)
	v_lshrrev_b32_e32 v62, s49, v167
	v_bitop3_b32 v63, v62, 1, s48 bitop3:0x80
	v_and_b32_e32 v171, s48, v62
	s_delay_alu instid0(VALU_DEP_2) | instskip(NEXT) | instid1(VALU_DEP_1)
	v_add_co_u32 v62, s15, v63, -1
	v_cndmask_b32_e64 v63, 0, 1, s15
	s_delay_alu instid0(VALU_DEP_3) | instskip(NEXT) | instid1(VALU_DEP_2)
	v_lshlrev_b32_e32 v172, 30, v171
	v_cmp_ne_u32_e32 vcc_lo, 0, v63
	s_delay_alu instid0(VALU_DEP_2) | instskip(NEXT) | instid1(VALU_DEP_1)
	v_not_b32_e32 v63, v172
	v_dual_ashrrev_i32 v63, 31, v63 :: v_dual_bitop2_b32 v62, vcc_lo, v62 bitop3:0x14
	v_dual_lshlrev_b32 v173, 29, v171 :: v_dual_lshlrev_b32 v174, 28, v171
	v_dual_lshlrev_b32 v175, 27, v171 :: v_dual_lshlrev_b32 v176, 26, v171
	v_lshlrev_b32_e32 v177, 25, v171
	v_cmp_gt_i32_e64 s15, 0, v172
	s_delay_alu instid0(VALU_DEP_4)
	v_cmp_gt_i32_e64 s16, 0, v173
	v_not_b32_e32 v172, v173
	v_not_b32_e32 v173, v174
	v_lshlrev_b32_e32 v178, 24, v171
	v_cmp_gt_i32_e64 s17, 0, v174
	v_cmp_gt_i32_e64 s18, 0, v175
	v_not_b32_e32 v174, v175
	v_not_b32_e32 v175, v176
	v_dual_ashrrev_i32 v172, 31, v172 :: v_dual_ashrrev_i32 v173, 31, v173
	v_xor_b32_e32 v63, s15, v63
	v_cmp_gt_i32_e64 s19, 0, v176
	s_delay_alu instid0(VALU_DEP_4)
	v_dual_ashrrev_i32 v174, 31, v174 :: v_dual_ashrrev_i32 v175, 31, v175
	v_not_b32_e32 v176, v178
	v_xor_b32_e32 v173, s17, v173
	v_bitop3_b32 v62, v62, v63, exec_lo bitop3:0x80
	v_not_b32_e32 v63, v177
	v_xor_b32_e32 v172, s16, v172
	v_cmp_gt_i32_e64 s20, 0, v177
	v_xor_b32_e32 v174, s18, v174
	v_xor_b32_e32 v175, s19, v175
	v_ashrrev_i32_e32 v63, 31, v63
	v_bitop3_b32 v62, v62, v173, v172 bitop3:0x80
	v_cmp_gt_i32_e32 vcc_lo, 0, v178
	v_ashrrev_i32_e32 v172, 31, v176
	v_mad_u32_u24 v173, v171, 36, v25
	v_xor_b32_e32 v63, s20, v63
	v_bitop3_b32 v62, v62, v175, v174 bitop3:0x80
	s_delay_alu instid0(VALU_DEP_4) | instskip(SKIP_3) | instid1(VALU_DEP_2)
	v_xor_b32_e32 v174, vcc_lo, v172
	ds_load_b32 v172, v173 offset:1056
	; wave barrier
	v_bitop3_b32 v62, v62, v174, v63 bitop3:0x80
	v_mul_u32_u24_e32 v63, 36, v171
	v_mbcnt_lo_u32_b32 v173, v62, 0
	v_cmp_ne_u32_e64 s15, 0, v62
	s_delay_alu instid0(VALU_DEP_3) | instskip(NEXT) | instid1(VALU_DEP_3)
	v_add_nc_u32_e32 v174, v25, v63
	v_cmp_eq_u32_e32 vcc_lo, 0, v173
	s_and_b32 s16, s15, vcc_lo
	s_delay_alu instid0(SALU_CYCLE_1)
	s_and_saveexec_b32 s15, s16
	s_cbranch_execz .LBB494_1028
; %bb.1027:                             ;   in Loop: Header=BB494_974 Depth=2
	s_wait_dscnt 0x0
	v_bcnt_u32_b32 v62, v62, v172
	ds_store_b32 v174, v62 offset:1056
.LBB494_1028:                           ;   in Loop: Header=BB494_974 Depth=2
	s_or_b32 exec_lo, exec_lo, s15
	v_xor_b32_e32 v171, 0x7fffffff, v69
	; wave barrier
	s_delay_alu instid0(VALU_DEP_1) | instskip(NEXT) | instid1(VALU_DEP_1)
	v_lshrrev_b32_e32 v62, s49, v171
	v_and_b32_e32 v69, s48, v62
	s_delay_alu instid0(VALU_DEP_1) | instskip(SKIP_1) | instid1(VALU_DEP_1)
	v_lshlrev_b32_e32 v175, 30, v69
	v_bitop3_b32 v63, v62, 1, s48 bitop3:0x80
	v_add_co_u32 v62, s15, v63, -1
	s_delay_alu instid0(VALU_DEP_1) | instskip(NEXT) | instid1(VALU_DEP_4)
	v_cndmask_b32_e64 v63, 0, 1, s15
	v_cmp_gt_i32_e64 s15, 0, v175
	s_delay_alu instid0(VALU_DEP_2) | instskip(SKIP_1) | instid1(VALU_DEP_1)
	v_cmp_ne_u32_e32 vcc_lo, 0, v63
	v_not_b32_e32 v63, v175
	v_dual_ashrrev_i32 v63, 31, v63 :: v_dual_lshlrev_b32 v176, 29, v69
	v_dual_lshlrev_b32 v177, 28, v69 :: v_dual_lshlrev_b32 v178, 27, v69
	v_dual_lshlrev_b32 v179, 26, v69 :: v_dual_lshlrev_b32 v180, 25, v69
	v_lshlrev_b32_e32 v181, 24, v69
	s_delay_alu instid0(VALU_DEP_4)
	v_cmp_gt_i32_e64 s16, 0, v176
	v_not_b32_e32 v175, v176
	v_not_b32_e32 v176, v177
	v_cmp_gt_i32_e64 s17, 0, v177
	v_cmp_gt_i32_e64 s18, 0, v178
	v_not_b32_e32 v177, v178
	v_not_b32_e32 v178, v179
	v_dual_ashrrev_i32 v175, 31, v175 :: v_dual_bitop2_b32 v62, vcc_lo, v62 bitop3:0x14
	v_dual_ashrrev_i32 v176, 31, v176 :: v_dual_bitop2_b32 v63, s15, v63 bitop3:0x14
	v_cmp_gt_i32_e64 s19, 0, v179
	s_delay_alu instid0(VALU_DEP_4) | instskip(NEXT) | instid1(VALU_DEP_4)
	v_dual_ashrrev_i32 v177, 31, v177 :: v_dual_ashrrev_i32 v178, 31, v178
	v_xor_b32_e32 v175, s16, v175
	s_delay_alu instid0(VALU_DEP_4)
	v_bitop3_b32 v62, v62, v63, exec_lo bitop3:0x80
	v_not_b32_e32 v63, v180
	v_xor_b32_e32 v176, s17, v176
	v_not_b32_e32 v179, v181
	v_cmp_gt_i32_e64 s20, 0, v180
	v_xor_b32_e32 v177, s18, v177
	v_dual_ashrrev_i32 v63, 31, v63 :: v_dual_bitop2_b32 v178, s19, v178 bitop3:0x14
	v_bitop3_b32 v62, v62, v176, v175 bitop3:0x80
	v_cmp_gt_i32_e32 vcc_lo, 0, v181
	v_ashrrev_i32_e32 v175, 31, v179
	v_mad_u32_u24 v176, v69, 36, v25
	v_xor_b32_e32 v63, s20, v63
	v_bitop3_b32 v62, v62, v178, v177 bitop3:0x80
	s_delay_alu instid0(VALU_DEP_4) | instskip(SKIP_3) | instid1(VALU_DEP_2)
	v_xor_b32_e32 v175, vcc_lo, v175
	ds_load_b32 v176, v176 offset:1056
	; wave barrier
	v_bitop3_b32 v62, v62, v175, v63 bitop3:0x80
	v_mul_u32_u24_e32 v63, 36, v69
	v_mbcnt_lo_u32_b32 v177, v62, 0
	v_cmp_ne_u32_e64 s15, 0, v62
	s_delay_alu instid0(VALU_DEP_3) | instskip(NEXT) | instid1(VALU_DEP_3)
	v_add_nc_u32_e32 v178, v25, v63
	v_cmp_eq_u32_e32 vcc_lo, 0, v177
	s_and_b32 s16, s15, vcc_lo
	s_delay_alu instid0(SALU_CYCLE_1)
	s_and_saveexec_b32 s15, s16
	s_cbranch_execz .LBB494_1030
; %bb.1029:                             ;   in Loop: Header=BB494_974 Depth=2
	s_wait_dscnt 0x0
	v_bcnt_u32_b32 v62, v62, v176
	ds_store_b32 v178, v62 offset:1056
.LBB494_1030:                           ;   in Loop: Header=BB494_974 Depth=2
	s_or_b32 exec_lo, exec_lo, s15
	v_xor_b32_e32 v175, 0x7fffffff, v68
	; wave barrier
	s_delay_alu instid0(VALU_DEP_1) | instskip(NEXT) | instid1(VALU_DEP_1)
	v_lshrrev_b32_e32 v62, s49, v175
	v_and_b32_e32 v68, s48, v62
	s_delay_alu instid0(VALU_DEP_1) | instskip(SKIP_1) | instid1(VALU_DEP_1)
	v_lshlrev_b32_e32 v69, 30, v68
	v_bitop3_b32 v63, v62, 1, s48 bitop3:0x80
	v_add_co_u32 v62, s15, v63, -1
	s_delay_alu instid0(VALU_DEP_1) | instskip(NEXT) | instid1(VALU_DEP_4)
	v_cndmask_b32_e64 v63, 0, 1, s15
	v_cmp_gt_i32_e64 s15, 0, v69
	s_delay_alu instid0(VALU_DEP_2) | instskip(SKIP_1) | instid1(VALU_DEP_1)
	v_cmp_ne_u32_e32 vcc_lo, 0, v63
	v_not_b32_e32 v63, v69
	v_dual_ashrrev_i32 v63, 31, v63 :: v_dual_lshlrev_b32 v179, 29, v68
	v_dual_lshlrev_b32 v180, 28, v68 :: v_dual_lshlrev_b32 v181, 27, v68
	v_dual_lshlrev_b32 v182, 26, v68 :: v_dual_lshlrev_b32 v183, 25, v68
	v_lshlrev_b32_e32 v184, 24, v68
	s_delay_alu instid0(VALU_DEP_4)
	v_cmp_gt_i32_e64 s16, 0, v179
	v_not_b32_e32 v69, v179
	v_not_b32_e32 v179, v180
	v_cmp_gt_i32_e64 s17, 0, v180
	v_cmp_gt_i32_e64 s18, 0, v181
	v_not_b32_e32 v180, v181
	v_not_b32_e32 v181, v182
	v_dual_ashrrev_i32 v69, 31, v69 :: v_dual_bitop2_b32 v62, vcc_lo, v62 bitop3:0x14
	s_delay_alu instid0(VALU_DEP_3) | instskip(NEXT) | instid1(VALU_DEP_3)
	v_dual_ashrrev_i32 v179, 31, v179 :: v_dual_ashrrev_i32 v180, 31, v180
	v_dual_ashrrev_i32 v181, 31, v181 :: v_dual_bitop2_b32 v63, s15, v63 bitop3:0x14
	v_cmp_gt_i32_e64 s19, 0, v182
	v_not_b32_e32 v182, v184
	s_delay_alu instid0(VALU_DEP_4) | instskip(NEXT) | instid1(VALU_DEP_4)
	v_xor_b32_e32 v179, s17, v179
	v_bitop3_b32 v62, v62, v63, exec_lo bitop3:0x80
	v_not_b32_e32 v63, v183
	v_xor_b32_e32 v69, s16, v69
	v_cmp_gt_i32_e64 s20, 0, v183
	v_xor_b32_e32 v180, s18, v180
	s_delay_alu instid0(VALU_DEP_4) | instskip(NEXT) | instid1(VALU_DEP_4)
	v_dual_ashrrev_i32 v63, 31, v63 :: v_dual_bitop2_b32 v181, s19, v181 bitop3:0x14
	v_bitop3_b32 v62, v62, v179, v69 bitop3:0x80
	v_cmp_gt_i32_e32 vcc_lo, 0, v184
	v_ashrrev_i32_e32 v69, 31, v182
	v_mad_u32_u24 v179, v68, 36, v25
	v_xor_b32_e32 v63, s20, v63
	v_bitop3_b32 v62, v62, v181, v180 bitop3:0x80
	s_delay_alu instid0(VALU_DEP_4) | instskip(SKIP_3) | instid1(VALU_DEP_2)
	v_xor_b32_e32 v69, vcc_lo, v69
	ds_load_b32 v180, v179 offset:1056
	; wave barrier
	v_bitop3_b32 v62, v62, v69, v63 bitop3:0x80
	v_mul_u32_u24_e32 v63, 36, v68
	v_mbcnt_lo_u32_b32 v181, v62, 0
	v_cmp_ne_u32_e64 s15, 0, v62
	s_delay_alu instid0(VALU_DEP_3) | instskip(NEXT) | instid1(VALU_DEP_3)
	v_add_nc_u32_e32 v182, v25, v63
	v_cmp_eq_u32_e32 vcc_lo, 0, v181
	s_and_b32 s16, s15, vcc_lo
	s_delay_alu instid0(SALU_CYCLE_1)
	s_and_saveexec_b32 s15, s16
	s_cbranch_execz .LBB494_1032
; %bb.1031:                             ;   in Loop: Header=BB494_974 Depth=2
	s_wait_dscnt 0x0
	v_bcnt_u32_b32 v62, v62, v180
	ds_store_b32 v182, v62 offset:1056
.LBB494_1032:                           ;   in Loop: Header=BB494_974 Depth=2
	s_or_b32 exec_lo, exec_lo, s15
	v_xor_b32_e32 v179, 0x7fffffff, v67
	; wave barrier
	s_delay_alu instid0(VALU_DEP_1) | instskip(NEXT) | instid1(VALU_DEP_1)
	v_lshrrev_b32_e32 v62, s49, v179
	v_bitop3_b32 v63, v62, 1, s48 bitop3:0x80
	v_and_b32_e32 v67, s48, v62
	s_delay_alu instid0(VALU_DEP_2) | instskip(NEXT) | instid1(VALU_DEP_1)
	v_add_co_u32 v62, s15, v63, -1
	v_cndmask_b32_e64 v63, 0, 1, s15
	s_delay_alu instid0(VALU_DEP_3) | instskip(NEXT) | instid1(VALU_DEP_2)
	v_lshlrev_b32_e32 v68, 30, v67
	v_cmp_ne_u32_e32 vcc_lo, 0, v63
	s_delay_alu instid0(VALU_DEP_2) | instskip(NEXT) | instid1(VALU_DEP_1)
	v_not_b32_e32 v63, v68
	v_dual_ashrrev_i32 v63, 31, v63 :: v_dual_bitop2_b32 v62, vcc_lo, v62 bitop3:0x14
	v_dual_lshlrev_b32 v69, 29, v67 :: v_dual_lshlrev_b32 v183, 28, v67
	v_dual_lshlrev_b32 v184, 27, v67 :: v_dual_lshlrev_b32 v185, 26, v67
	v_lshlrev_b32_e32 v186, 25, v67
	v_cmp_gt_i32_e64 s15, 0, v68
	s_delay_alu instid0(VALU_DEP_4)
	v_cmp_gt_i32_e64 s16, 0, v69
	v_not_b32_e32 v68, v69
	v_not_b32_e32 v69, v183
	v_lshlrev_b32_e32 v187, 24, v67
	v_cmp_gt_i32_e64 s17, 0, v183
	v_cmp_gt_i32_e64 s18, 0, v184
	v_not_b32_e32 v183, v184
	v_not_b32_e32 v184, v185
	v_dual_ashrrev_i32 v68, 31, v68 :: v_dual_ashrrev_i32 v69, 31, v69
	v_xor_b32_e32 v63, s15, v63
	v_cmp_gt_i32_e64 s19, 0, v185
	s_delay_alu instid0(VALU_DEP_4) | instskip(NEXT) | instid1(VALU_DEP_4)
	v_dual_ashrrev_i32 v183, 31, v183 :: v_dual_ashrrev_i32 v184, 31, v184
	v_xor_b32_e32 v69, s17, v69
	s_delay_alu instid0(VALU_DEP_4)
	v_bitop3_b32 v62, v62, v63, exec_lo bitop3:0x80
	v_not_b32_e32 v63, v186
	v_xor_b32_e32 v68, s16, v68
	v_not_b32_e32 v185, v187
	v_cmp_gt_i32_e64 s20, 0, v186
	v_xor_b32_e32 v183, s18, v183
	v_dual_ashrrev_i32 v63, 31, v63 :: v_dual_bitop2_b32 v184, s19, v184 bitop3:0x14
	v_bitop3_b32 v62, v62, v69, v68 bitop3:0x80
	v_cmp_gt_i32_e32 vcc_lo, 0, v187
	v_ashrrev_i32_e32 v68, 31, v185
	v_mad_u32_u24 v69, v67, 36, v25
	v_xor_b32_e32 v63, s20, v63
	v_bitop3_b32 v62, v62, v184, v183 bitop3:0x80
	s_delay_alu instid0(VALU_DEP_4) | instskip(SKIP_3) | instid1(VALU_DEP_2)
	v_xor_b32_e32 v68, vcc_lo, v68
	ds_load_b32 v184, v69 offset:1056
	; wave barrier
	v_bitop3_b32 v62, v62, v68, v63 bitop3:0x80
	v_mul_u32_u24_e32 v63, 36, v67
	v_mbcnt_lo_u32_b32 v185, v62, 0
	v_cmp_ne_u32_e64 s15, 0, v62
	s_delay_alu instid0(VALU_DEP_3) | instskip(NEXT) | instid1(VALU_DEP_3)
	v_add_nc_u32_e32 v186, v25, v63
	v_cmp_eq_u32_e32 vcc_lo, 0, v185
	s_and_b32 s16, s15, vcc_lo
	s_delay_alu instid0(SALU_CYCLE_1)
	s_and_saveexec_b32 s15, s16
	s_cbranch_execz .LBB494_1034
; %bb.1033:                             ;   in Loop: Header=BB494_974 Depth=2
	s_wait_dscnt 0x0
	v_bcnt_u32_b32 v62, v62, v184
	ds_store_b32 v186, v62 offset:1056
.LBB494_1034:                           ;   in Loop: Header=BB494_974 Depth=2
	s_or_b32 exec_lo, exec_lo, s15
	v_xor_b32_e32 v183, 0x7fffffff, v66
	; wave barrier
	s_delay_alu instid0(VALU_DEP_1) | instskip(NEXT) | instid1(VALU_DEP_1)
	v_lshrrev_b32_e32 v62, s49, v183
	v_and_b32_e32 v66, s48, v62
	s_delay_alu instid0(VALU_DEP_1) | instskip(SKIP_1) | instid1(VALU_DEP_1)
	v_lshlrev_b32_e32 v67, 30, v66
	v_bitop3_b32 v63, v62, 1, s48 bitop3:0x80
	v_add_co_u32 v62, s15, v63, -1
	s_delay_alu instid0(VALU_DEP_1) | instskip(NEXT) | instid1(VALU_DEP_4)
	v_cndmask_b32_e64 v63, 0, 1, s15
	v_cmp_gt_i32_e64 s15, 0, v67
	s_delay_alu instid0(VALU_DEP_2) | instskip(SKIP_1) | instid1(VALU_DEP_1)
	v_cmp_ne_u32_e32 vcc_lo, 0, v63
	v_not_b32_e32 v63, v67
	v_dual_ashrrev_i32 v63, 31, v63 :: v_dual_lshlrev_b32 v68, 29, v66
	v_dual_lshlrev_b32 v69, 28, v66 :: v_dual_lshlrev_b32 v187, 27, v66
	v_dual_lshlrev_b32 v188, 26, v66 :: v_dual_lshlrev_b32 v189, 25, v66
	v_lshlrev_b32_e32 v190, 24, v66
	s_delay_alu instid0(VALU_DEP_4)
	v_cmp_gt_i32_e64 s16, 0, v68
	v_not_b32_e32 v67, v68
	v_not_b32_e32 v68, v69
	v_cmp_gt_i32_e64 s17, 0, v69
	v_cmp_gt_i32_e64 s18, 0, v187
	v_not_b32_e32 v69, v187
	v_not_b32_e32 v187, v188
	v_dual_ashrrev_i32 v67, 31, v67 :: v_dual_bitop2_b32 v62, vcc_lo, v62 bitop3:0x14
	v_dual_ashrrev_i32 v68, 31, v68 :: v_dual_bitop2_b32 v63, s15, v63 bitop3:0x14
	v_cmp_gt_i32_e64 s19, 0, v188
	s_delay_alu instid0(VALU_DEP_4) | instskip(NEXT) | instid1(VALU_DEP_4)
	v_dual_ashrrev_i32 v69, 31, v69 :: v_dual_ashrrev_i32 v187, 31, v187
	v_xor_b32_e32 v67, s16, v67
	s_delay_alu instid0(VALU_DEP_4)
	v_bitop3_b32 v62, v62, v63, exec_lo bitop3:0x80
	v_not_b32_e32 v63, v189
	v_xor_b32_e32 v68, s17, v68
	v_not_b32_e32 v188, v190
	v_cmp_gt_i32_e64 s20, 0, v189
	v_xor_b32_e32 v69, s18, v69
	v_xor_b32_e32 v187, s19, v187
	v_ashrrev_i32_e32 v63, 31, v63
	v_bitop3_b32 v62, v62, v68, v67 bitop3:0x80
	v_cmp_gt_i32_e32 vcc_lo, 0, v190
	v_ashrrev_i32_e32 v67, 31, v188
	v_mad_u32_u24 v68, v66, 36, v25
	v_xor_b32_e32 v63, s20, v63
	v_bitop3_b32 v62, v62, v187, v69 bitop3:0x80
	s_delay_alu instid0(VALU_DEP_4) | instskip(SKIP_3) | instid1(VALU_DEP_2)
	v_xor_b32_e32 v67, vcc_lo, v67
	ds_load_b32 v188, v68 offset:1056
	; wave barrier
	v_bitop3_b32 v62, v62, v67, v63 bitop3:0x80
	v_mul_u32_u24_e32 v63, 36, v66
	v_mbcnt_lo_u32_b32 v189, v62, 0
	v_cmp_ne_u32_e64 s15, 0, v62
	s_delay_alu instid0(VALU_DEP_3) | instskip(NEXT) | instid1(VALU_DEP_3)
	v_add_nc_u32_e32 v190, v25, v63
	v_cmp_eq_u32_e32 vcc_lo, 0, v189
	s_and_b32 s16, s15, vcc_lo
	s_delay_alu instid0(SALU_CYCLE_1)
	s_and_saveexec_b32 s15, s16
	s_cbranch_execz .LBB494_1036
; %bb.1035:                             ;   in Loop: Header=BB494_974 Depth=2
	s_wait_dscnt 0x0
	v_bcnt_u32_b32 v62, v62, v188
	ds_store_b32 v190, v62 offset:1056
.LBB494_1036:                           ;   in Loop: Header=BB494_974 Depth=2
	s_or_b32 exec_lo, exec_lo, s15
	v_xor_b32_e32 v187, 0x7fffffff, v65
	; wave barrier
	s_delay_alu instid0(VALU_DEP_1) | instskip(NEXT) | instid1(VALU_DEP_1)
	v_lshrrev_b32_e32 v62, s49, v187
	v_bitop3_b32 v63, v62, 1, s48 bitop3:0x80
	v_and_b32_e32 v65, s48, v62
	s_delay_alu instid0(VALU_DEP_2) | instskip(NEXT) | instid1(VALU_DEP_2)
	v_add_co_u32 v62, s15, v63, -1
	v_lshlrev_b32_e32 v63, 30, v65
	v_cndmask_b32_e64 v193, 0, 1, s15
	s_delay_alu instid0(VALU_DEP_2) | instskip(SKIP_1) | instid1(VALU_DEP_3)
	v_cmp_gt_i32_e32 vcc_lo, 0, v63
	v_not_b32_e32 v63, v63
	v_cmp_ne_u32_e64 s19, 0, v193
	s_delay_alu instid0(VALU_DEP_2) | instskip(SKIP_3) | instid1(VALU_DEP_4)
	v_dual_ashrrev_i32 v63, 31, v63 :: v_dual_lshlrev_b32 v66, 29, v65
	v_dual_lshlrev_b32 v67, 28, v65 :: v_dual_lshlrev_b32 v68, 27, v65
	v_dual_lshlrev_b32 v69, 26, v65 :: v_dual_lshlrev_b32 v191, 25, v65
	v_lshlrev_b32_e32 v192, 24, v65
	v_cmp_gt_i32_e64 s15, 0, v66
	v_not_b32_e32 v66, v66
	v_cmp_gt_i32_e64 s16, 0, v67
	v_not_b32_e32 v67, v67
	;; [unrolled: 2-line block ×4, first 2 shown]
	v_dual_ashrrev_i32 v66, 31, v66 :: v_dual_ashrrev_i32 v67, 31, v67
	s_delay_alu instid0(VALU_DEP_4) | instskip(NEXT) | instid1(VALU_DEP_3)
	v_dual_ashrrev_i32 v68, 31, v68 :: v_dual_bitop2_b32 v62, s19, v62 bitop3:0x14
	v_dual_ashrrev_i32 v69, 31, v69 :: v_dual_bitop2_b32 v63, vcc_lo, v63 bitop3:0x14
	v_cmp_gt_i32_e64 s20, 0, v191
	s_delay_alu instid0(VALU_DEP_4) | instskip(SKIP_1) | instid1(VALU_DEP_4)
	v_xor_b32_e32 v67, s16, v67
	v_cmp_gt_i32_e32 vcc_lo, 0, v192
	v_bitop3_b32 v62, v62, v63, exec_lo bitop3:0x80
	v_not_b32_e32 v63, v191
	v_xor_b32_e32 v66, s15, v66
	v_not_b32_e32 v191, v192
	v_xor_b32_e32 v68, s17, v68
	s_delay_alu instid0(VALU_DEP_4) | instskip(NEXT) | instid1(VALU_DEP_4)
	v_dual_ashrrev_i32 v63, 31, v63 :: v_dual_bitop2_b32 v69, s18, v69 bitop3:0x14
	v_bitop3_b32 v62, v62, v67, v66 bitop3:0x80
	s_delay_alu instid0(VALU_DEP_4) | instskip(SKIP_1) | instid1(VALU_DEP_4)
	v_ashrrev_i32_e32 v66, 31, v191
	v_mad_u32_u24 v67, v65, 36, v25
	v_xor_b32_e32 v63, s20, v63
	s_delay_alu instid0(VALU_DEP_4) | instskip(NEXT) | instid1(VALU_DEP_4)
	v_bitop3_b32 v62, v62, v69, v68 bitop3:0x80
	v_xor_b32_e32 v66, vcc_lo, v66
	ds_load_b32 v192, v67 offset:1056
	; wave barrier
	v_bitop3_b32 v62, v62, v66, v63 bitop3:0x80
	v_mul_u32_u24_e32 v63, 36, v65
	s_delay_alu instid0(VALU_DEP_2) | instskip(SKIP_1) | instid1(VALU_DEP_3)
	v_mbcnt_lo_u32_b32 v193, v62, 0
	v_cmp_ne_u32_e64 s15, 0, v62
	v_add_nc_u32_e32 v194, v25, v63
	s_delay_alu instid0(VALU_DEP_3) | instskip(SKIP_1) | instid1(SALU_CYCLE_1)
	v_cmp_eq_u32_e32 vcc_lo, 0, v193
	s_and_b32 s16, s15, vcc_lo
	s_and_saveexec_b32 s15, s16
	s_cbranch_execz .LBB494_1038
; %bb.1037:                             ;   in Loop: Header=BB494_974 Depth=2
	s_wait_dscnt 0x0
	v_bcnt_u32_b32 v62, v62, v192
	ds_store_b32 v194, v62 offset:1056
.LBB494_1038:                           ;   in Loop: Header=BB494_974 Depth=2
	s_or_b32 exec_lo, exec_lo, s15
	v_xor_b32_e32 v191, 0x7fffffff, v64
	; wave barrier
	s_delay_alu instid0(VALU_DEP_1) | instskip(NEXT) | instid1(VALU_DEP_1)
	v_lshrrev_b32_e32 v62, s49, v191
	v_and_b32_e32 v64, s48, v62
	s_delay_alu instid0(VALU_DEP_1) | instskip(SKIP_1) | instid1(VALU_DEP_1)
	v_lshlrev_b32_e32 v65, 30, v64
	v_bitop3_b32 v63, v62, 1, s48 bitop3:0x80
	v_add_co_u32 v62, s15, v63, -1
	s_delay_alu instid0(VALU_DEP_1) | instskip(NEXT) | instid1(VALU_DEP_4)
	v_cndmask_b32_e64 v63, 0, 1, s15
	v_cmp_gt_i32_e64 s15, 0, v65
	s_delay_alu instid0(VALU_DEP_2) | instskip(SKIP_1) | instid1(VALU_DEP_1)
	v_cmp_ne_u32_e32 vcc_lo, 0, v63
	v_not_b32_e32 v63, v65
	v_dual_ashrrev_i32 v63, 31, v63 :: v_dual_lshlrev_b32 v66, 29, v64
	v_dual_lshlrev_b32 v67, 28, v64 :: v_dual_lshlrev_b32 v68, 27, v64
	v_dual_lshlrev_b32 v69, 26, v64 :: v_dual_lshlrev_b32 v195, 25, v64
	v_lshlrev_b32_e32 v196, 24, v64
	s_delay_alu instid0(VALU_DEP_4)
	v_cmp_gt_i32_e64 s16, 0, v66
	v_not_b32_e32 v65, v66
	v_not_b32_e32 v66, v67
	v_cmp_gt_i32_e64 s17, 0, v67
	v_cmp_gt_i32_e64 s18, 0, v68
	v_not_b32_e32 v67, v68
	v_not_b32_e32 v68, v69
	v_dual_ashrrev_i32 v65, 31, v65 :: v_dual_bitop2_b32 v62, vcc_lo, v62 bitop3:0x14
	v_dual_ashrrev_i32 v66, 31, v66 :: v_dual_bitop2_b32 v63, s15, v63 bitop3:0x14
	v_cmp_gt_i32_e64 s19, 0, v69
	s_delay_alu instid0(VALU_DEP_4) | instskip(SKIP_1) | instid1(VALU_DEP_4)
	v_dual_ashrrev_i32 v67, 31, v67 :: v_dual_ashrrev_i32 v68, 31, v68
	v_not_b32_e32 v69, v196
	v_xor_b32_e32 v66, s17, v66
	v_bitop3_b32 v62, v62, v63, exec_lo bitop3:0x80
	v_not_b32_e32 v63, v195
	v_xor_b32_e32 v65, s16, v65
	v_cmp_gt_i32_e64 s20, 0, v195
	v_xor_b32_e32 v67, s18, v67
	s_delay_alu instid0(VALU_DEP_4) | instskip(NEXT) | instid1(VALU_DEP_4)
	v_dual_ashrrev_i32 v63, 31, v63 :: v_dual_bitop2_b32 v68, s19, v68 bitop3:0x14
	v_bitop3_b32 v62, v62, v66, v65 bitop3:0x80
	v_cmp_gt_i32_e32 vcc_lo, 0, v196
	v_ashrrev_i32_e32 v65, 31, v69
	v_mad_u32_u24 v66, v64, 36, v25
	v_xor_b32_e32 v63, s20, v63
	v_bitop3_b32 v62, v62, v68, v67 bitop3:0x80
	s_delay_alu instid0(VALU_DEP_4) | instskip(SKIP_3) | instid1(VALU_DEP_2)
	v_xor_b32_e32 v65, vcc_lo, v65
	ds_load_b32 v195, v66 offset:1056
	; wave barrier
	v_bitop3_b32 v62, v62, v65, v63 bitop3:0x80
	v_mul_u32_u24_e32 v63, 36, v64
	v_mbcnt_lo_u32_b32 v196, v62, 0
	v_cmp_ne_u32_e64 s15, 0, v62
	s_delay_alu instid0(VALU_DEP_3) | instskip(NEXT) | instid1(VALU_DEP_3)
	v_add_nc_u32_e32 v197, v25, v63
	v_cmp_eq_u32_e32 vcc_lo, 0, v196
	s_and_b32 s16, s15, vcc_lo
	s_delay_alu instid0(SALU_CYCLE_1)
	s_and_saveexec_b32 s15, s16
	s_cbranch_execz .LBB494_1040
; %bb.1039:                             ;   in Loop: Header=BB494_974 Depth=2
	s_wait_dscnt 0x0
	v_bcnt_u32_b32 v62, v62, v195
	ds_store_b32 v197, v62 offset:1056
.LBB494_1040:                           ;   in Loop: Header=BB494_974 Depth=2
	s_or_b32 exec_lo, exec_lo, s15
	v_lshrrev_b32_e32 v62, s49, v138
	; wave barrier
	s_delay_alu instid0(VALU_DEP_1) | instskip(NEXT) | instid1(VALU_DEP_1)
	v_and_b32_e32 v64, s48, v62
	v_lshlrev_b32_e32 v65, 30, v64
	v_bitop3_b32 v63, v62, 1, s48 bitop3:0x80
	s_delay_alu instid0(VALU_DEP_1) | instskip(NEXT) | instid1(VALU_DEP_1)
	v_add_co_u32 v62, s15, v63, -1
	v_cndmask_b32_e64 v63, 0, 1, s15
	s_delay_alu instid0(VALU_DEP_4) | instskip(NEXT) | instid1(VALU_DEP_2)
	v_cmp_gt_i32_e64 s15, 0, v65
	v_cmp_ne_u32_e32 vcc_lo, 0, v63
	v_not_b32_e32 v63, v65
	s_delay_alu instid0(VALU_DEP_1) | instskip(SKIP_3) | instid1(VALU_DEP_4)
	v_dual_ashrrev_i32 v63, 31, v63 :: v_dual_lshlrev_b32 v66, 29, v64
	v_dual_lshlrev_b32 v67, 28, v64 :: v_dual_lshlrev_b32 v68, 27, v64
	v_dual_lshlrev_b32 v69, 26, v64 :: v_dual_lshlrev_b32 v198, 25, v64
	v_lshlrev_b32_e32 v199, 24, v64
	v_cmp_gt_i32_e64 s16, 0, v66
	v_not_b32_e32 v65, v66
	v_not_b32_e32 v66, v67
	v_cmp_gt_i32_e64 s17, 0, v67
	v_xor_b32_e32 v62, vcc_lo, v62
	s_delay_alu instid0(VALU_DEP_4) | instskip(NEXT) | instid1(VALU_DEP_4)
	v_dual_ashrrev_i32 v65, 31, v65 :: v_dual_bitop2_b32 v63, s15, v63 bitop3:0x14
	v_ashrrev_i32_e32 v66, 31, v66
	v_cmp_gt_i32_e64 s18, 0, v68
	v_not_b32_e32 v67, v68
	v_not_b32_e32 v68, v69
	v_xor_b32_e32 v65, s16, v65
	v_xor_b32_e32 v66, s17, v66
	v_bitop3_b32 v62, v62, v63, exec_lo bitop3:0x80
	v_ashrrev_i32_e32 v63, 31, v67
	v_cmp_gt_i32_e32 vcc_lo, 0, v69
	v_ashrrev_i32_e32 v67, 31, v68
	v_not_b32_e32 v68, v198
	v_bitop3_b32 v62, v62, v66, v65 bitop3:0x80
	v_not_b32_e32 v65, v199
	v_xor_b32_e32 v63, s18, v63
	v_xor_b32_e32 v66, vcc_lo, v67
	v_cmp_gt_i32_e32 vcc_lo, 0, v198
	v_ashrrev_i32_e32 v67, 31, v68
	v_cmp_gt_i32_e64 s15, 0, v199
	v_ashrrev_i32_e32 v65, 31, v65
	v_mad_u32_u24 v68, v64, 36, v25
	v_bitop3_b32 v62, v62, v66, v63 bitop3:0x80
	v_xor_b32_e32 v63, vcc_lo, v67
	s_delay_alu instid0(VALU_DEP_4) | instskip(SKIP_3) | instid1(VALU_DEP_2)
	v_xor_b32_e32 v65, s15, v65
	ds_load_b32 v198, v68 offset:1056
	; wave barrier
	v_bitop3_b32 v62, v62, v65, v63 bitop3:0x80
	v_mul_u32_u24_e32 v63, 36, v64
	v_mbcnt_lo_u32_b32 v199, v62, 0
	v_cmp_ne_u32_e64 s15, 0, v62
	s_delay_alu instid0(VALU_DEP_3) | instskip(NEXT) | instid1(VALU_DEP_3)
	v_add_nc_u32_e32 v200, v25, v63
	v_cmp_eq_u32_e32 vcc_lo, 0, v199
	s_and_b32 s16, s15, vcc_lo
	s_delay_alu instid0(SALU_CYCLE_1)
	s_and_saveexec_b32 s15, s16
	s_cbranch_execz .LBB494_1042
; %bb.1041:                             ;   in Loop: Header=BB494_974 Depth=2
	s_wait_dscnt 0x0
	v_bcnt_u32_b32 v62, v62, v198
	ds_store_b32 v200, v62 offset:1056
.LBB494_1042:                           ;   in Loop: Header=BB494_974 Depth=2
	s_or_b32 exec_lo, exec_lo, s15
	; wave barrier
	s_wait_dscnt 0x0
	s_barrier_signal -1
	s_barrier_wait -1
	ds_load_2addr_b32 v[68:69], v117 offset1:1
	ds_load_2addr_b32 v[66:67], v118 offset1:1
	;; [unrolled: 1-line block ×4, first 2 shown]
	ds_load_b32 v201, v91 offset:1088
	s_wait_dscnt 0x3
	v_add3_u32 v202, v69, v68, v66
	s_wait_dscnt 0x2
	s_delay_alu instid0(VALU_DEP_1) | instskip(SKIP_1) | instid1(VALU_DEP_1)
	v_add3_u32 v202, v202, v67, v64
	s_wait_dscnt 0x1
	v_add3_u32 v202, v202, v65, v62
	s_wait_dscnt 0x0
	s_delay_alu instid0(VALU_DEP_1) | instskip(NEXT) | instid1(VALU_DEP_1)
	v_add3_u32 v201, v202, v63, v201
	v_mov_b32_dpp v202, v201 row_shr:1 row_mask:0xf bank_mask:0xf
	s_delay_alu instid0(VALU_DEP_1) | instskip(NEXT) | instid1(VALU_DEP_1)
	v_cndmask_b32_e64 v202, v202, 0, s7
	v_add_nc_u32_e32 v201, v202, v201
	s_delay_alu instid0(VALU_DEP_1) | instskip(NEXT) | instid1(VALU_DEP_1)
	v_mov_b32_dpp v202, v201 row_shr:2 row_mask:0xf bank_mask:0xf
	v_cndmask_b32_e64 v202, 0, v202, s8
	s_delay_alu instid0(VALU_DEP_1) | instskip(NEXT) | instid1(VALU_DEP_1)
	v_add_nc_u32_e32 v201, v201, v202
	v_mov_b32_dpp v202, v201 row_shr:4 row_mask:0xf bank_mask:0xf
	s_delay_alu instid0(VALU_DEP_1) | instskip(NEXT) | instid1(VALU_DEP_1)
	v_cndmask_b32_e64 v202, 0, v202, s9
	v_add_nc_u32_e32 v201, v201, v202
	s_delay_alu instid0(VALU_DEP_1) | instskip(NEXT) | instid1(VALU_DEP_1)
	v_mov_b32_dpp v202, v201 row_shr:8 row_mask:0xf bank_mask:0xf
	v_cndmask_b32_e64 v202, 0, v202, s10
	s_delay_alu instid0(VALU_DEP_1) | instskip(SKIP_3) | instid1(VALU_DEP_1)
	v_add_nc_u32_e32 v201, v201, v202
	ds_swizzle_b32 v202, v201 offset:swizzle(BROADCAST,32,15)
	s_wait_dscnt 0x0
	v_cndmask_b32_e64 v202, v202, 0, s11
	v_add_nc_u32_e32 v201, v201, v202
	s_and_saveexec_b32 s15, s1
; %bb.1043:                             ;   in Loop: Header=BB494_974 Depth=2
	ds_store_b32 v85, v201 offset:1024
; %bb.1044:                             ;   in Loop: Header=BB494_974 Depth=2
	s_or_b32 exec_lo, exec_lo, s15
	s_wait_dscnt 0x0
	s_barrier_signal -1
	s_barrier_wait -1
	s_and_saveexec_b32 s15, s4
	s_cbranch_execz .LBB494_1046
; %bb.1045:                             ;   in Loop: Header=BB494_974 Depth=2
	ds_load_b32 v202, v93 offset:1024
	s_wait_dscnt 0x0
	v_mov_b32_dpp v203, v202 row_shr:1 row_mask:0xf bank_mask:0xf
	s_delay_alu instid0(VALU_DEP_1) | instskip(NEXT) | instid1(VALU_DEP_1)
	v_cndmask_b32_e64 v203, v203, 0, s12
	v_add_nc_u32_e32 v202, v203, v202
	s_delay_alu instid0(VALU_DEP_1) | instskip(NEXT) | instid1(VALU_DEP_1)
	v_mov_b32_dpp v203, v202 row_shr:2 row_mask:0xf bank_mask:0xf
	v_cndmask_b32_e64 v203, 0, v203, s13
	s_delay_alu instid0(VALU_DEP_1) | instskip(NEXT) | instid1(VALU_DEP_1)
	v_add_nc_u32_e32 v202, v202, v203
	v_mov_b32_dpp v203, v202 row_shr:4 row_mask:0xf bank_mask:0xf
	s_delay_alu instid0(VALU_DEP_1) | instskip(NEXT) | instid1(VALU_DEP_1)
	v_cndmask_b32_e64 v203, 0, v203, s14
	v_add_nc_u32_e32 v202, v202, v203
	ds_store_b32 v93, v202 offset:1024
.LBB494_1046:                           ;   in Loop: Header=BB494_974 Depth=2
	s_or_b32 exec_lo, exec_lo, s15
	v_mov_b32_e32 v202, 0
	s_wait_dscnt 0x0
	s_barrier_signal -1
	s_barrier_wait -1
	s_and_saveexec_b32 s15, s5
; %bb.1047:                             ;   in Loop: Header=BB494_974 Depth=2
	ds_load_b32 v202, v85 offset:1020
; %bb.1048:                             ;   in Loop: Header=BB494_974 Depth=2
	s_or_b32 exec_lo, exec_lo, s15
	s_wait_dscnt 0x0
	v_add_nc_u32_e32 v201, v202, v201
	ds_bpermute_b32 v201, v120, v201
	s_wait_dscnt 0x0
	v_cndmask_b32_e64 v201, v201, v202, s6
	s_delay_alu instid0(VALU_DEP_1) | instskip(NEXT) | instid1(VALU_DEP_1)
	v_cndmask_b32_e64 v201, v201, 0, s2
	v_add_nc_u32_e32 v68, v201, v68
	s_delay_alu instid0(VALU_DEP_1) | instskip(NEXT) | instid1(VALU_DEP_1)
	v_add_nc_u32_e32 v69, v68, v69
	v_add_nc_u32_e32 v66, v69, v66
	s_delay_alu instid0(VALU_DEP_1) | instskip(NEXT) | instid1(VALU_DEP_1)
	v_add_nc_u32_e32 v67, v66, v67
	;; [unrolled: 3-line block ×3, first 2 shown]
	v_add_nc_u32_e32 v62, v65, v62
	s_delay_alu instid0(VALU_DEP_1)
	v_add_nc_u32_e32 v63, v62, v63
	ds_store_2addr_b32 v5, v65, v62 offset1:1
	ds_store_2addr_b32 v117, v201, v68 offset1:1
	;; [unrolled: 1-line block ×4, first 2 shown]
	ds_store_b32 v91, v63 offset:1088
	s_wait_dscnt 0x0
	s_barrier_signal -1
	s_barrier_wait -1
	ds_load_b32 v65, v142 offset:1056
	ds_load_b32 v67, v146 offset:1056
	;; [unrolled: 1-line block ×17, first 2 shown]
	v_mov_b32_e32 v64, 0x1000
	s_and_saveexec_b32 s15, s3
; %bb.1049:                             ;   in Loop: Header=BB494_974 Depth=2
	ds_load_b32 v64, v91 offset:1092
; %bb.1050:                             ;   in Loop: Header=BB494_974 Depth=2
	s_or_b32 exec_lo, exec_lo, s15
	s_wait_dscnt 0x0
	s_barrier_signal -1
	s_barrier_wait -1
	s_and_saveexec_b32 s15, s0
	s_cbranch_execz .LBB494_1052
; %bb.1051:                             ;   in Loop: Header=BB494_974 Depth=2
	ds_load_b32 v154, v4
	s_wait_dscnt 0x0
	v_sub_nc_u32_e32 v150, v154, v150
	ds_store_b32 v4, v150
.LBB494_1052:                           ;   in Loop: Header=BB494_974 Depth=2
	s_or_b32 exec_lo, exec_lo, s15
	v_add3_u32 v158, v145, v144, v67
	v_add_nc_u32_e32 v162, v65, v141
	v_add3_u32 v154, v149, v148, v68
	v_add3_u32 v150, v153, v152, v69
	;; [unrolled: 1-line block ×4, first 2 shown]
	v_lshlrev_b32_e32 v62, 2, v158
	v_lshlrev_b32_e32 v152, 2, v162
	v_add3_u32 v149, v157, v156, v142
	v_add3_u32 v146, v165, v164, v201
	;; [unrolled: 1-line block ×4, first 2 shown]
	v_lshlrev_b32_e32 v63, 2, v154
	v_add3_u32 v144, v173, v172, v174
	v_lshlrev_b32_e32 v153, 2, v148
	ds_store_b32 v152, v139 offset:1024
	v_lshlrev_b32_e32 v139, 2, v150
	v_add3_u32 v142, v177, v176, v178
	v_lshlrev_b32_e32 v152, 2, v149
	v_add3_u32 v141, v181, v180, v182
	v_add3_u32 v65, v185, v184, v186
	ds_store_b32 v62, v140 offset:1024
	ds_store_b32 v63, v143 offset:1024
	ds_store_b32 v139, v147 offset:1024
	ds_store_b32 v152, v151 offset:1024
	ds_store_b32 v153, v155 offset:1024
	v_dual_lshlrev_b32 v62, 2, v146 :: v_dual_lshlrev_b32 v139, 2, v144
	v_lshlrev_b32_e32 v63, 2, v145
	v_add3_u32 v67, v196, v195, v66
	v_dual_lshlrev_b32 v140, 2, v142 :: v_dual_lshlrev_b32 v143, 2, v141
	v_add3_u32 v66, v199, v198, v166
	ds_store_b32 v62, v159 offset:1024
	ds_store_b32 v63, v163 offset:1024
	;; [unrolled: 1-line block ×5, first 2 shown]
	v_dual_lshlrev_b32 v62, 2, v65 :: v_dual_lshlrev_b32 v139, 2, v68
	v_cmp_lt_u32_e32 vcc_lo, v2, v137
	v_dual_lshlrev_b32 v63, 2, v69 :: v_dual_lshlrev_b32 v140, 2, v67
	v_lshlrev_b32_e32 v143, 2, v66
	ds_store_b32 v62, v179 offset:1024
	ds_store_b32 v63, v183 offset:1024
	;; [unrolled: 1-line block ×5, first 2 shown]
	s_wait_dscnt 0x0
	s_barrier_signal -1
	s_barrier_wait -1
	s_and_saveexec_b32 s15, vcc_lo
	s_cbranch_execnz .LBB494_1121
; %bb.1053:                             ;   in Loop: Header=BB494_974 Depth=2
	s_or_b32 exec_lo, exec_lo, s15
	v_cmp_lt_u32_e64 s15, v3, v137
	s_and_saveexec_b32 s16, s15
	s_cbranch_execnz .LBB494_1122
.LBB494_1054:                           ;   in Loop: Header=BB494_974 Depth=2
	s_or_b32 exec_lo, exec_lo, s16
	v_cmp_lt_u32_e64 s16, v70, v137
	s_and_saveexec_b32 s17, s16
	s_cbranch_execnz .LBB494_1123
.LBB494_1055:                           ;   in Loop: Header=BB494_974 Depth=2
	s_or_b32 exec_lo, exec_lo, s17
	v_cmp_lt_u32_e64 s17, v71, v137
	s_and_saveexec_b32 s18, s17
	s_cbranch_execnz .LBB494_1124
.LBB494_1056:                           ;   in Loop: Header=BB494_974 Depth=2
	s_or_b32 exec_lo, exec_lo, s18
	v_cmp_lt_u32_e64 s18, v72, v137
	s_and_saveexec_b32 s19, s18
	s_cbranch_execnz .LBB494_1125
.LBB494_1057:                           ;   in Loop: Header=BB494_974 Depth=2
	s_or_b32 exec_lo, exec_lo, s19
	v_cmp_lt_u32_e64 s19, v73, v137
	s_and_saveexec_b32 s20, s19
	s_cbranch_execnz .LBB494_1126
.LBB494_1058:                           ;   in Loop: Header=BB494_974 Depth=2
	s_or_b32 exec_lo, exec_lo, s20
	v_cmp_lt_u32_e64 s20, v74, v137
	s_and_saveexec_b32 s21, s20
	s_cbranch_execnz .LBB494_1127
.LBB494_1059:                           ;   in Loop: Header=BB494_974 Depth=2
	s_or_b32 exec_lo, exec_lo, s21
	v_cmp_lt_u32_e64 s21, v75, v137
	s_and_saveexec_b32 s22, s21
	s_cbranch_execnz .LBB494_1128
.LBB494_1060:                           ;   in Loop: Header=BB494_974 Depth=2
	s_or_b32 exec_lo, exec_lo, s22
	v_cmp_lt_u32_e64 s22, v76, v137
	s_and_saveexec_b32 s23, s22
	s_cbranch_execnz .LBB494_1129
.LBB494_1061:                           ;   in Loop: Header=BB494_974 Depth=2
	s_or_b32 exec_lo, exec_lo, s23
	v_cmp_lt_u32_e64 s23, v77, v137
	s_and_saveexec_b32 s24, s23
	s_cbranch_execnz .LBB494_1130
.LBB494_1062:                           ;   in Loop: Header=BB494_974 Depth=2
	s_or_b32 exec_lo, exec_lo, s24
	v_cmp_lt_u32_e64 s24, v78, v137
	s_and_saveexec_b32 s25, s24
	s_cbranch_execnz .LBB494_1131
.LBB494_1063:                           ;   in Loop: Header=BB494_974 Depth=2
	s_or_b32 exec_lo, exec_lo, s25
	v_cmp_lt_u32_e64 s25, v79, v137
	s_and_saveexec_b32 s26, s25
	s_cbranch_execnz .LBB494_1132
.LBB494_1064:                           ;   in Loop: Header=BB494_974 Depth=2
	s_or_b32 exec_lo, exec_lo, s26
	v_cmp_lt_u32_e64 s26, v80, v137
	s_and_saveexec_b32 s27, s26
	s_cbranch_execnz .LBB494_1133
.LBB494_1065:                           ;   in Loop: Header=BB494_974 Depth=2
	s_or_b32 exec_lo, exec_lo, s27
	v_cmp_lt_u32_e64 s27, v81, v137
	s_and_saveexec_b32 s28, s27
	s_cbranch_execnz .LBB494_1134
.LBB494_1066:                           ;   in Loop: Header=BB494_974 Depth=2
	s_or_b32 exec_lo, exec_lo, s28
	v_cmp_lt_u32_e64 s28, v82, v137
	s_and_saveexec_b32 s29, s28
	s_cbranch_execnz .LBB494_1135
.LBB494_1067:                           ;   in Loop: Header=BB494_974 Depth=2
	s_or_b32 exec_lo, exec_lo, s29
	v_cmp_lt_u32_e64 s29, v83, v137
	s_and_saveexec_b32 s57, s29
	s_cbranch_execz .LBB494_1069
.LBB494_1068:                           ;   in Loop: Header=BB494_974 Depth=2
	ds_load_b32 v62, v93 offset:16384
	s_wait_dscnt 0x0
	v_lshrrev_b32_e32 v63, s49, v62
	v_xor_b32_e32 v62, 0x7fffffff, v62
	s_delay_alu instid0(VALU_DEP_2) | instskip(NEXT) | instid1(VALU_DEP_1)
	v_and_b32_e32 v63, s48, v63
	v_lshlrev_b32_e32 v63, 2, v63
	ds_load_b32 v63, v63
	s_wait_dscnt 0x0
	v_add_nc_u32_e32 v63, v63, v83
	global_store_b32 v63, v62, s[40:41] scale_offset
.LBB494_1069:                           ;   in Loop: Header=BB494_974 Depth=2
	s_wait_xcnt 0x0
	s_or_b32 exec_lo, exec_lo, s57
	v_lshl_add_u64 v[62:63], s[30:31], 3, v[26:27]
	v_cmp_lt_u32_e64 s30, v99, v137
	s_and_saveexec_b32 s57, s30
	s_delay_alu instid0(SALU_CYCLE_1)
	s_xor_b32 s30, exec_lo, s57
	s_cbranch_execnz .LBB494_1136
; %bb.1070:                             ;   in Loop: Header=BB494_974 Depth=2
	s_or_b32 exec_lo, exec_lo, s30
	s_delay_alu instid0(SALU_CYCLE_1)
	s_mov_b32 s57, exec_lo
	v_cmpx_lt_u32_e64 v102, v137
	s_cbranch_execnz .LBB494_1137
.LBB494_1071:                           ;   in Loop: Header=BB494_974 Depth=2
	s_or_b32 exec_lo, exec_lo, s57
	s_delay_alu instid0(SALU_CYCLE_1)
	s_mov_b32 s57, exec_lo
	v_cmpx_lt_u32_e64 v103, v137
	s_cbranch_execnz .LBB494_1138
.LBB494_1072:                           ;   in Loop: Header=BB494_974 Depth=2
	s_or_b32 exec_lo, exec_lo, s57
	s_delay_alu instid0(SALU_CYCLE_1)
	s_mov_b32 s57, exec_lo
	v_cmpx_lt_u32_e64 v104, v137
	s_cbranch_execnz .LBB494_1139
.LBB494_1073:                           ;   in Loop: Header=BB494_974 Depth=2
	s_or_b32 exec_lo, exec_lo, s57
	s_delay_alu instid0(SALU_CYCLE_1)
	s_mov_b32 s57, exec_lo
	v_cmpx_lt_u32_e64 v105, v137
	s_cbranch_execnz .LBB494_1140
.LBB494_1074:                           ;   in Loop: Header=BB494_974 Depth=2
	s_or_b32 exec_lo, exec_lo, s57
	s_delay_alu instid0(SALU_CYCLE_1)
	s_mov_b32 s57, exec_lo
	v_cmpx_lt_u32_e64 v106, v137
	s_cbranch_execnz .LBB494_1141
.LBB494_1075:                           ;   in Loop: Header=BB494_974 Depth=2
	s_or_b32 exec_lo, exec_lo, s57
	s_delay_alu instid0(SALU_CYCLE_1)
	s_mov_b32 s57, exec_lo
	v_cmpx_lt_u32_e64 v107, v137
	s_cbranch_execnz .LBB494_1142
.LBB494_1076:                           ;   in Loop: Header=BB494_974 Depth=2
	s_or_b32 exec_lo, exec_lo, s57
	s_delay_alu instid0(SALU_CYCLE_1)
	s_mov_b32 s57, exec_lo
	v_cmpx_lt_u32_e64 v108, v137
	s_cbranch_execnz .LBB494_1143
.LBB494_1077:                           ;   in Loop: Header=BB494_974 Depth=2
	s_or_b32 exec_lo, exec_lo, s57
	s_delay_alu instid0(SALU_CYCLE_1)
	s_mov_b32 s57, exec_lo
	v_cmpx_lt_u32_e64 v109, v137
	s_cbranch_execnz .LBB494_1144
.LBB494_1078:                           ;   in Loop: Header=BB494_974 Depth=2
	s_or_b32 exec_lo, exec_lo, s57
	s_delay_alu instid0(SALU_CYCLE_1)
	s_mov_b32 s57, exec_lo
	v_cmpx_lt_u32_e64 v110, v137
	s_cbranch_execnz .LBB494_1145
.LBB494_1079:                           ;   in Loop: Header=BB494_974 Depth=2
	s_or_b32 exec_lo, exec_lo, s57
	s_delay_alu instid0(SALU_CYCLE_1)
	s_mov_b32 s57, exec_lo
	v_cmpx_lt_u32_e64 v111, v137
	s_cbranch_execnz .LBB494_1146
.LBB494_1080:                           ;   in Loop: Header=BB494_974 Depth=2
	s_or_b32 exec_lo, exec_lo, s57
	s_delay_alu instid0(SALU_CYCLE_1)
	s_mov_b32 s57, exec_lo
	v_cmpx_lt_u32_e64 v112, v137
	s_cbranch_execnz .LBB494_1147
.LBB494_1081:                           ;   in Loop: Header=BB494_974 Depth=2
	s_or_b32 exec_lo, exec_lo, s57
	s_delay_alu instid0(SALU_CYCLE_1)
	s_mov_b32 s57, exec_lo
	v_cmpx_lt_u32_e64 v113, v137
	s_cbranch_execnz .LBB494_1148
.LBB494_1082:                           ;   in Loop: Header=BB494_974 Depth=2
	s_or_b32 exec_lo, exec_lo, s57
	s_delay_alu instid0(SALU_CYCLE_1)
	s_mov_b32 s57, exec_lo
	v_cmpx_lt_u32_e64 v114, v137
	s_cbranch_execnz .LBB494_1149
.LBB494_1083:                           ;   in Loop: Header=BB494_974 Depth=2
	s_or_b32 exec_lo, exec_lo, s57
	s_delay_alu instid0(SALU_CYCLE_1)
	s_mov_b32 s57, exec_lo
	v_cmpx_lt_u32_e64 v115, v137
	s_cbranch_execnz .LBB494_1150
.LBB494_1084:                           ;   in Loop: Header=BB494_974 Depth=2
	s_or_b32 exec_lo, exec_lo, s57
	s_delay_alu instid0(SALU_CYCLE_1)
	s_mov_b32 s57, exec_lo
	v_cmpx_lt_u32_e64 v116, v137
	s_cbranch_execnz .LBB494_1151
.LBB494_1085:                           ;   in Loop: Header=BB494_974 Depth=2
	s_or_b32 exec_lo, exec_lo, s57
	s_and_saveexec_b32 s30, vcc_lo
	s_cbranch_execnz .LBB494_1152
.LBB494_1086:                           ;   in Loop: Header=BB494_974 Depth=2
	s_or_b32 exec_lo, exec_lo, s30
	s_and_saveexec_b32 s30, s15
	s_cbranch_execnz .LBB494_1153
.LBB494_1087:                           ;   in Loop: Header=BB494_974 Depth=2
	s_or_b32 exec_lo, exec_lo, s30
	s_and_saveexec_b32 s30, s16
	s_cbranch_execnz .LBB494_1154
.LBB494_1088:                           ;   in Loop: Header=BB494_974 Depth=2
	s_or_b32 exec_lo, exec_lo, s30
	s_and_saveexec_b32 s30, s17
	s_cbranch_execnz .LBB494_1155
.LBB494_1089:                           ;   in Loop: Header=BB494_974 Depth=2
	s_or_b32 exec_lo, exec_lo, s30
	s_and_saveexec_b32 s30, s18
	s_cbranch_execnz .LBB494_1156
.LBB494_1090:                           ;   in Loop: Header=BB494_974 Depth=2
	s_or_b32 exec_lo, exec_lo, s30
	s_and_saveexec_b32 s30, s19
	s_cbranch_execnz .LBB494_1157
.LBB494_1091:                           ;   in Loop: Header=BB494_974 Depth=2
	s_or_b32 exec_lo, exec_lo, s30
	s_and_saveexec_b32 s30, s20
	s_cbranch_execnz .LBB494_1158
.LBB494_1092:                           ;   in Loop: Header=BB494_974 Depth=2
	s_or_b32 exec_lo, exec_lo, s30
	s_and_saveexec_b32 s30, s21
	s_cbranch_execnz .LBB494_1159
.LBB494_1093:                           ;   in Loop: Header=BB494_974 Depth=2
	s_or_b32 exec_lo, exec_lo, s30
	s_and_saveexec_b32 s30, s22
	s_cbranch_execnz .LBB494_1160
.LBB494_1094:                           ;   in Loop: Header=BB494_974 Depth=2
	s_or_b32 exec_lo, exec_lo, s30
	s_and_saveexec_b32 s30, s23
	s_cbranch_execnz .LBB494_1161
.LBB494_1095:                           ;   in Loop: Header=BB494_974 Depth=2
	s_or_b32 exec_lo, exec_lo, s30
	s_and_saveexec_b32 s30, s24
	s_cbranch_execnz .LBB494_1162
.LBB494_1096:                           ;   in Loop: Header=BB494_974 Depth=2
	s_or_b32 exec_lo, exec_lo, s30
	s_and_saveexec_b32 s30, s25
	s_cbranch_execnz .LBB494_1163
.LBB494_1097:                           ;   in Loop: Header=BB494_974 Depth=2
	s_or_b32 exec_lo, exec_lo, s30
	s_and_saveexec_b32 s30, s26
	s_cbranch_execnz .LBB494_1164
.LBB494_1098:                           ;   in Loop: Header=BB494_974 Depth=2
	s_or_b32 exec_lo, exec_lo, s30
	s_and_saveexec_b32 s30, s27
	s_cbranch_execnz .LBB494_1165
.LBB494_1099:                           ;   in Loop: Header=BB494_974 Depth=2
	s_or_b32 exec_lo, exec_lo, s30
	s_and_saveexec_b32 s30, s28
	s_cbranch_execnz .LBB494_1166
.LBB494_1100:                           ;   in Loop: Header=BB494_974 Depth=2
	s_or_b32 exec_lo, exec_lo, s30
	s_and_saveexec_b32 s30, s29
	s_cbranch_execz .LBB494_1102
.LBB494_1101:                           ;   in Loop: Header=BB494_974 Depth=2
	ds_load_b32 v62, v93 offset:16384
	s_wait_dscnt 0x0
	v_lshrrev_b32_e32 v62, s49, v62
	s_delay_alu instid0(VALU_DEP_1)
	v_and_b32_e32 v121, s48, v62
.LBB494_1102:                           ;   in Loop: Header=BB494_974 Depth=2
	s_or_b32 exec_lo, exec_lo, s30
	v_dual_lshlrev_b32 v62, 3, v162 :: v_dual_lshlrev_b32 v138, 3, v149
	s_wait_loadcnt 0x0
	s_wait_storecnt 0x0
	s_barrier_signal -1
	s_barrier_wait -1
	ds_store_b64 v62, v[60:61] offset:1024
	v_dual_lshlrev_b32 v62, 3, v158 :: v_dual_lshlrev_b32 v139, 3, v148
	v_lshlrev_b32_e32 v63, 3, v154
	v_lshlrev_b32_e32 v137, 3, v150
	ds_store_b64 v62, v[58:59] offset:1024
	ds_store_b64 v63, v[56:57] offset:1024
	;; [unrolled: 1-line block ×5, first 2 shown]
	v_dual_lshlrev_b32 v62, 3, v146 :: v_dual_lshlrev_b32 v139, 3, v141
	v_dual_lshlrev_b32 v63, 3, v145 :: v_dual_lshlrev_b32 v137, 3, v144
	v_lshlrev_b32_e32 v138, 3, v142
	ds_store_b64 v62, v[48:49] offset:1024
	ds_store_b64 v63, v[46:47] offset:1024
	;; [unrolled: 1-line block ×5, first 2 shown]
	v_lshlrev_b32_e32 v62, 3, v65
	v_dual_lshlrev_b32 v63, 3, v69 :: v_dual_lshlrev_b32 v65, 3, v68
	v_dual_lshlrev_b32 v67, 3, v67 :: v_dual_lshlrev_b32 v66, 3, v66
	ds_store_b64 v62, v[38:39] offset:1024
	ds_store_b64 v63, v[36:37] offset:1024
	;; [unrolled: 1-line block ×5, first 2 shown]
	v_add_nc_u32_e32 v62, v93, v4
	s_wait_dscnt 0x0
	s_barrier_signal -1
	s_barrier_wait -1
	s_and_saveexec_b32 s30, vcc_lo
	s_cbranch_execnz .LBB494_1167
; %bb.1103:                             ;   in Loop: Header=BB494_974 Depth=2
	s_or_b32 exec_lo, exec_lo, s30
	s_and_saveexec_b32 s30, s15
	s_cbranch_execnz .LBB494_1168
.LBB494_1104:                           ;   in Loop: Header=BB494_974 Depth=2
	s_or_b32 exec_lo, exec_lo, s30
	s_and_saveexec_b32 s15, s16
	s_cbranch_execnz .LBB494_1169
.LBB494_1105:                           ;   in Loop: Header=BB494_974 Depth=2
	s_or_b32 exec_lo, exec_lo, s15
	s_and_saveexec_b32 s15, s17
	s_cbranch_execnz .LBB494_1170
.LBB494_1106:                           ;   in Loop: Header=BB494_974 Depth=2
	s_or_b32 exec_lo, exec_lo, s15
	s_and_saveexec_b32 s15, s18
	s_cbranch_execnz .LBB494_1171
.LBB494_1107:                           ;   in Loop: Header=BB494_974 Depth=2
	s_or_b32 exec_lo, exec_lo, s15
	s_and_saveexec_b32 s15, s19
	s_cbranch_execnz .LBB494_1172
.LBB494_1108:                           ;   in Loop: Header=BB494_974 Depth=2
	s_or_b32 exec_lo, exec_lo, s15
	s_and_saveexec_b32 s15, s20
	s_cbranch_execnz .LBB494_1173
.LBB494_1109:                           ;   in Loop: Header=BB494_974 Depth=2
	s_or_b32 exec_lo, exec_lo, s15
	s_and_saveexec_b32 s15, s21
	s_cbranch_execnz .LBB494_1174
.LBB494_1110:                           ;   in Loop: Header=BB494_974 Depth=2
	s_or_b32 exec_lo, exec_lo, s15
	s_and_saveexec_b32 s15, s22
	s_cbranch_execnz .LBB494_1175
.LBB494_1111:                           ;   in Loop: Header=BB494_974 Depth=2
	s_or_b32 exec_lo, exec_lo, s15
	s_and_saveexec_b32 s15, s23
	s_cbranch_execnz .LBB494_1176
.LBB494_1112:                           ;   in Loop: Header=BB494_974 Depth=2
	s_or_b32 exec_lo, exec_lo, s15
	s_and_saveexec_b32 s15, s24
	s_cbranch_execnz .LBB494_1177
.LBB494_1113:                           ;   in Loop: Header=BB494_974 Depth=2
	s_or_b32 exec_lo, exec_lo, s15
	s_and_saveexec_b32 s15, s25
	s_cbranch_execnz .LBB494_1178
.LBB494_1114:                           ;   in Loop: Header=BB494_974 Depth=2
	s_or_b32 exec_lo, exec_lo, s15
	s_and_saveexec_b32 s15, s26
	s_cbranch_execnz .LBB494_1179
.LBB494_1115:                           ;   in Loop: Header=BB494_974 Depth=2
	s_or_b32 exec_lo, exec_lo, s15
	s_and_saveexec_b32 s15, s27
	s_cbranch_execnz .LBB494_1180
.LBB494_1116:                           ;   in Loop: Header=BB494_974 Depth=2
	s_or_b32 exec_lo, exec_lo, s15
	s_and_saveexec_b32 s15, s28
	s_cbranch_execnz .LBB494_1181
.LBB494_1117:                           ;   in Loop: Header=BB494_974 Depth=2
	s_or_b32 exec_lo, exec_lo, s15
	s_and_saveexec_b32 s15, s29
	s_cbranch_execz .LBB494_1119
.LBB494_1118:                           ;   in Loop: Header=BB494_974 Depth=2
	v_lshlrev_b32_e32 v63, 2, v121
	ds_load_b32 v65, v63
	ds_load_b64 v[62:63], v62 offset:31744
	s_wait_dscnt 0x1
	v_add_nc_u32_e32 v65, v65, v83
	s_wait_dscnt 0x0
	global_store_b64 v65, v[62:63], s[46:47] scale_offset
.LBB494_1119:                           ;   in Loop: Header=BB494_974 Depth=2
	s_wait_xcnt 0x0
	s_or_b32 exec_lo, exec_lo, s15
	s_wait_storecnt 0x0
	s_barrier_signal -1
	s_barrier_wait -1
	s_and_saveexec_b32 s15, s0
	s_cbranch_execz .LBB494_973
; %bb.1120:                             ;   in Loop: Header=BB494_974 Depth=2
	ds_load_b32 v62, v4
	s_wait_dscnt 0x0
	v_add_nc_u32_e32 v62, v62, v64
	ds_store_b32 v4, v62
	s_branch .LBB494_973
.LBB494_1121:                           ;   in Loop: Header=BB494_974 Depth=2
	ds_load_b32 v62, v93 offset:1024
	s_wait_dscnt 0x0
	v_lshrrev_b32_e32 v63, s49, v62
	v_xor_b32_e32 v62, 0x7fffffff, v62
	s_delay_alu instid0(VALU_DEP_2) | instskip(NEXT) | instid1(VALU_DEP_1)
	v_and_b32_e32 v63, s48, v63
	v_lshlrev_b32_e32 v63, 2, v63
	ds_load_b32 v63, v63
	s_wait_dscnt 0x0
	v_add_nc_u32_e32 v63, v63, v2
	global_store_b32 v63, v62, s[40:41] scale_offset
	s_wait_xcnt 0x0
	s_or_b32 exec_lo, exec_lo, s15
	v_cmp_lt_u32_e64 s15, v3, v137
	s_and_saveexec_b32 s16, s15
	s_cbranch_execz .LBB494_1054
.LBB494_1122:                           ;   in Loop: Header=BB494_974 Depth=2
	ds_load_b32 v62, v93 offset:2048
	s_wait_dscnt 0x0
	v_lshrrev_b32_e32 v63, s49, v62
	v_xor_b32_e32 v62, 0x7fffffff, v62
	s_delay_alu instid0(VALU_DEP_2) | instskip(NEXT) | instid1(VALU_DEP_1)
	v_and_b32_e32 v63, s48, v63
	v_lshlrev_b32_e32 v63, 2, v63
	ds_load_b32 v63, v63
	s_wait_dscnt 0x0
	v_add_nc_u32_e32 v63, v63, v3
	global_store_b32 v63, v62, s[40:41] scale_offset
	s_wait_xcnt 0x0
	s_or_b32 exec_lo, exec_lo, s16
	v_cmp_lt_u32_e64 s16, v70, v137
	s_and_saveexec_b32 s17, s16
	s_cbranch_execz .LBB494_1055
.LBB494_1123:                           ;   in Loop: Header=BB494_974 Depth=2
	ds_load_b32 v62, v93 offset:3072
	s_wait_dscnt 0x0
	v_lshrrev_b32_e32 v63, s49, v62
	v_xor_b32_e32 v62, 0x7fffffff, v62
	s_delay_alu instid0(VALU_DEP_2) | instskip(NEXT) | instid1(VALU_DEP_1)
	v_and_b32_e32 v63, s48, v63
	v_lshlrev_b32_e32 v63, 2, v63
	ds_load_b32 v63, v63
	s_wait_dscnt 0x0
	v_add_nc_u32_e32 v63, v63, v70
	global_store_b32 v63, v62, s[40:41] scale_offset
	s_wait_xcnt 0x0
	s_or_b32 exec_lo, exec_lo, s17
	v_cmp_lt_u32_e64 s17, v71, v137
	s_and_saveexec_b32 s18, s17
	s_cbranch_execz .LBB494_1056
.LBB494_1124:                           ;   in Loop: Header=BB494_974 Depth=2
	ds_load_b32 v62, v93 offset:4096
	s_wait_dscnt 0x0
	v_lshrrev_b32_e32 v63, s49, v62
	v_xor_b32_e32 v62, 0x7fffffff, v62
	s_delay_alu instid0(VALU_DEP_2) | instskip(NEXT) | instid1(VALU_DEP_1)
	v_and_b32_e32 v63, s48, v63
	v_lshlrev_b32_e32 v63, 2, v63
	ds_load_b32 v63, v63
	s_wait_dscnt 0x0
	v_add_nc_u32_e32 v63, v63, v71
	global_store_b32 v63, v62, s[40:41] scale_offset
	s_wait_xcnt 0x0
	s_or_b32 exec_lo, exec_lo, s18
	v_cmp_lt_u32_e64 s18, v72, v137
	s_and_saveexec_b32 s19, s18
	s_cbranch_execz .LBB494_1057
.LBB494_1125:                           ;   in Loop: Header=BB494_974 Depth=2
	ds_load_b32 v62, v93 offset:5120
	s_wait_dscnt 0x0
	v_lshrrev_b32_e32 v63, s49, v62
	v_xor_b32_e32 v62, 0x7fffffff, v62
	s_delay_alu instid0(VALU_DEP_2) | instskip(NEXT) | instid1(VALU_DEP_1)
	v_and_b32_e32 v63, s48, v63
	v_lshlrev_b32_e32 v63, 2, v63
	ds_load_b32 v63, v63
	s_wait_dscnt 0x0
	v_add_nc_u32_e32 v63, v63, v72
	global_store_b32 v63, v62, s[40:41] scale_offset
	s_wait_xcnt 0x0
	s_or_b32 exec_lo, exec_lo, s19
	v_cmp_lt_u32_e64 s19, v73, v137
	s_and_saveexec_b32 s20, s19
	s_cbranch_execz .LBB494_1058
.LBB494_1126:                           ;   in Loop: Header=BB494_974 Depth=2
	ds_load_b32 v62, v93 offset:6144
	s_wait_dscnt 0x0
	v_lshrrev_b32_e32 v63, s49, v62
	v_xor_b32_e32 v62, 0x7fffffff, v62
	s_delay_alu instid0(VALU_DEP_2) | instskip(NEXT) | instid1(VALU_DEP_1)
	v_and_b32_e32 v63, s48, v63
	v_lshlrev_b32_e32 v63, 2, v63
	ds_load_b32 v63, v63
	s_wait_dscnt 0x0
	v_add_nc_u32_e32 v63, v63, v73
	global_store_b32 v63, v62, s[40:41] scale_offset
	s_wait_xcnt 0x0
	s_or_b32 exec_lo, exec_lo, s20
	v_cmp_lt_u32_e64 s20, v74, v137
	s_and_saveexec_b32 s21, s20
	s_cbranch_execz .LBB494_1059
.LBB494_1127:                           ;   in Loop: Header=BB494_974 Depth=2
	ds_load_b32 v62, v93 offset:7168
	s_wait_dscnt 0x0
	v_lshrrev_b32_e32 v63, s49, v62
	v_xor_b32_e32 v62, 0x7fffffff, v62
	s_delay_alu instid0(VALU_DEP_2) | instskip(NEXT) | instid1(VALU_DEP_1)
	v_and_b32_e32 v63, s48, v63
	v_lshlrev_b32_e32 v63, 2, v63
	ds_load_b32 v63, v63
	s_wait_dscnt 0x0
	v_add_nc_u32_e32 v63, v63, v74
	global_store_b32 v63, v62, s[40:41] scale_offset
	s_wait_xcnt 0x0
	s_or_b32 exec_lo, exec_lo, s21
	v_cmp_lt_u32_e64 s21, v75, v137
	s_and_saveexec_b32 s22, s21
	s_cbranch_execz .LBB494_1060
.LBB494_1128:                           ;   in Loop: Header=BB494_974 Depth=2
	ds_load_b32 v62, v93 offset:8192
	s_wait_dscnt 0x0
	v_lshrrev_b32_e32 v63, s49, v62
	v_xor_b32_e32 v62, 0x7fffffff, v62
	s_delay_alu instid0(VALU_DEP_2) | instskip(NEXT) | instid1(VALU_DEP_1)
	v_and_b32_e32 v63, s48, v63
	v_lshlrev_b32_e32 v63, 2, v63
	ds_load_b32 v63, v63
	s_wait_dscnt 0x0
	v_add_nc_u32_e32 v63, v63, v75
	global_store_b32 v63, v62, s[40:41] scale_offset
	s_wait_xcnt 0x0
	s_or_b32 exec_lo, exec_lo, s22
	v_cmp_lt_u32_e64 s22, v76, v137
	s_and_saveexec_b32 s23, s22
	s_cbranch_execz .LBB494_1061
.LBB494_1129:                           ;   in Loop: Header=BB494_974 Depth=2
	ds_load_b32 v62, v93 offset:9216
	s_wait_dscnt 0x0
	v_lshrrev_b32_e32 v63, s49, v62
	v_xor_b32_e32 v62, 0x7fffffff, v62
	s_delay_alu instid0(VALU_DEP_2) | instskip(NEXT) | instid1(VALU_DEP_1)
	v_and_b32_e32 v63, s48, v63
	v_lshlrev_b32_e32 v63, 2, v63
	ds_load_b32 v63, v63
	s_wait_dscnt 0x0
	v_add_nc_u32_e32 v63, v63, v76
	global_store_b32 v63, v62, s[40:41] scale_offset
	s_wait_xcnt 0x0
	s_or_b32 exec_lo, exec_lo, s23
	v_cmp_lt_u32_e64 s23, v77, v137
	s_and_saveexec_b32 s24, s23
	s_cbranch_execz .LBB494_1062
.LBB494_1130:                           ;   in Loop: Header=BB494_974 Depth=2
	ds_load_b32 v62, v93 offset:10240
	s_wait_dscnt 0x0
	v_lshrrev_b32_e32 v63, s49, v62
	v_xor_b32_e32 v62, 0x7fffffff, v62
	s_delay_alu instid0(VALU_DEP_2) | instskip(NEXT) | instid1(VALU_DEP_1)
	v_and_b32_e32 v63, s48, v63
	v_lshlrev_b32_e32 v63, 2, v63
	ds_load_b32 v63, v63
	s_wait_dscnt 0x0
	v_add_nc_u32_e32 v63, v63, v77
	global_store_b32 v63, v62, s[40:41] scale_offset
	s_wait_xcnt 0x0
	s_or_b32 exec_lo, exec_lo, s24
	v_cmp_lt_u32_e64 s24, v78, v137
	s_and_saveexec_b32 s25, s24
	s_cbranch_execz .LBB494_1063
.LBB494_1131:                           ;   in Loop: Header=BB494_974 Depth=2
	ds_load_b32 v62, v93 offset:11264
	s_wait_dscnt 0x0
	v_lshrrev_b32_e32 v63, s49, v62
	v_xor_b32_e32 v62, 0x7fffffff, v62
	s_delay_alu instid0(VALU_DEP_2) | instskip(NEXT) | instid1(VALU_DEP_1)
	v_and_b32_e32 v63, s48, v63
	v_lshlrev_b32_e32 v63, 2, v63
	ds_load_b32 v63, v63
	s_wait_dscnt 0x0
	v_add_nc_u32_e32 v63, v63, v78
	global_store_b32 v63, v62, s[40:41] scale_offset
	s_wait_xcnt 0x0
	s_or_b32 exec_lo, exec_lo, s25
	v_cmp_lt_u32_e64 s25, v79, v137
	s_and_saveexec_b32 s26, s25
	s_cbranch_execz .LBB494_1064
.LBB494_1132:                           ;   in Loop: Header=BB494_974 Depth=2
	ds_load_b32 v62, v93 offset:12288
	s_wait_dscnt 0x0
	v_lshrrev_b32_e32 v63, s49, v62
	v_xor_b32_e32 v62, 0x7fffffff, v62
	s_delay_alu instid0(VALU_DEP_2) | instskip(NEXT) | instid1(VALU_DEP_1)
	v_and_b32_e32 v63, s48, v63
	v_lshlrev_b32_e32 v63, 2, v63
	ds_load_b32 v63, v63
	s_wait_dscnt 0x0
	v_add_nc_u32_e32 v63, v63, v79
	global_store_b32 v63, v62, s[40:41] scale_offset
	s_wait_xcnt 0x0
	s_or_b32 exec_lo, exec_lo, s26
	v_cmp_lt_u32_e64 s26, v80, v137
	s_and_saveexec_b32 s27, s26
	s_cbranch_execz .LBB494_1065
.LBB494_1133:                           ;   in Loop: Header=BB494_974 Depth=2
	ds_load_b32 v62, v93 offset:13312
	s_wait_dscnt 0x0
	v_lshrrev_b32_e32 v63, s49, v62
	v_xor_b32_e32 v62, 0x7fffffff, v62
	s_delay_alu instid0(VALU_DEP_2) | instskip(NEXT) | instid1(VALU_DEP_1)
	v_and_b32_e32 v63, s48, v63
	v_lshlrev_b32_e32 v63, 2, v63
	ds_load_b32 v63, v63
	s_wait_dscnt 0x0
	v_add_nc_u32_e32 v63, v63, v80
	global_store_b32 v63, v62, s[40:41] scale_offset
	s_wait_xcnt 0x0
	s_or_b32 exec_lo, exec_lo, s27
	v_cmp_lt_u32_e64 s27, v81, v137
	s_and_saveexec_b32 s28, s27
	s_cbranch_execz .LBB494_1066
.LBB494_1134:                           ;   in Loop: Header=BB494_974 Depth=2
	ds_load_b32 v62, v93 offset:14336
	s_wait_dscnt 0x0
	v_lshrrev_b32_e32 v63, s49, v62
	v_xor_b32_e32 v62, 0x7fffffff, v62
	s_delay_alu instid0(VALU_DEP_2) | instskip(NEXT) | instid1(VALU_DEP_1)
	v_and_b32_e32 v63, s48, v63
	v_lshlrev_b32_e32 v63, 2, v63
	ds_load_b32 v63, v63
	s_wait_dscnt 0x0
	v_add_nc_u32_e32 v63, v63, v81
	global_store_b32 v63, v62, s[40:41] scale_offset
	s_wait_xcnt 0x0
	s_or_b32 exec_lo, exec_lo, s28
	v_cmp_lt_u32_e64 s28, v82, v137
	s_and_saveexec_b32 s29, s28
	s_cbranch_execz .LBB494_1067
.LBB494_1135:                           ;   in Loop: Header=BB494_974 Depth=2
	ds_load_b32 v62, v93 offset:15360
	s_wait_dscnt 0x0
	v_lshrrev_b32_e32 v63, s49, v62
	v_xor_b32_e32 v62, 0x7fffffff, v62
	s_delay_alu instid0(VALU_DEP_2) | instskip(NEXT) | instid1(VALU_DEP_1)
	v_and_b32_e32 v63, s48, v63
	v_lshlrev_b32_e32 v63, 2, v63
	ds_load_b32 v63, v63
	s_wait_dscnt 0x0
	v_add_nc_u32_e32 v63, v63, v82
	global_store_b32 v63, v62, s[40:41] scale_offset
	s_wait_xcnt 0x0
	s_or_b32 exec_lo, exec_lo, s29
	v_cmp_lt_u32_e64 s29, v83, v137
	s_and_saveexec_b32 s57, s29
	s_cbranch_execnz .LBB494_1068
	s_branch .LBB494_1069
.LBB494_1136:                           ;   in Loop: Header=BB494_974 Depth=2
	global_load_b64 v[60:61], v[62:63], off
	s_wait_xcnt 0x0
	s_or_b32 exec_lo, exec_lo, s30
	s_delay_alu instid0(SALU_CYCLE_1)
	s_mov_b32 s57, exec_lo
	v_cmpx_lt_u32_e64 v102, v137
	s_cbranch_execz .LBB494_1071
.LBB494_1137:                           ;   in Loop: Header=BB494_974 Depth=2
	global_load_b64 v[58:59], v[62:63], off offset:256
	s_wait_xcnt 0x0
	s_or_b32 exec_lo, exec_lo, s57
	s_delay_alu instid0(SALU_CYCLE_1)
	s_mov_b32 s57, exec_lo
	v_cmpx_lt_u32_e64 v103, v137
	s_cbranch_execz .LBB494_1072
.LBB494_1138:                           ;   in Loop: Header=BB494_974 Depth=2
	global_load_b64 v[56:57], v[62:63], off offset:512
	s_wait_xcnt 0x0
	s_or_b32 exec_lo, exec_lo, s57
	s_delay_alu instid0(SALU_CYCLE_1)
	s_mov_b32 s57, exec_lo
	v_cmpx_lt_u32_e64 v104, v137
	s_cbranch_execz .LBB494_1073
.LBB494_1139:                           ;   in Loop: Header=BB494_974 Depth=2
	global_load_b64 v[54:55], v[62:63], off offset:768
	s_wait_xcnt 0x0
	s_or_b32 exec_lo, exec_lo, s57
	s_delay_alu instid0(SALU_CYCLE_1)
	s_mov_b32 s57, exec_lo
	v_cmpx_lt_u32_e64 v105, v137
	s_cbranch_execz .LBB494_1074
.LBB494_1140:                           ;   in Loop: Header=BB494_974 Depth=2
	global_load_b64 v[52:53], v[62:63], off offset:1024
	s_wait_xcnt 0x0
	s_or_b32 exec_lo, exec_lo, s57
	s_delay_alu instid0(SALU_CYCLE_1)
	s_mov_b32 s57, exec_lo
	v_cmpx_lt_u32_e64 v106, v137
	s_cbranch_execz .LBB494_1075
.LBB494_1141:                           ;   in Loop: Header=BB494_974 Depth=2
	global_load_b64 v[50:51], v[62:63], off offset:1280
	s_wait_xcnt 0x0
	s_or_b32 exec_lo, exec_lo, s57
	s_delay_alu instid0(SALU_CYCLE_1)
	s_mov_b32 s57, exec_lo
	v_cmpx_lt_u32_e64 v107, v137
	s_cbranch_execz .LBB494_1076
.LBB494_1142:                           ;   in Loop: Header=BB494_974 Depth=2
	global_load_b64 v[48:49], v[62:63], off offset:1536
	s_wait_xcnt 0x0
	s_or_b32 exec_lo, exec_lo, s57
	s_delay_alu instid0(SALU_CYCLE_1)
	s_mov_b32 s57, exec_lo
	v_cmpx_lt_u32_e64 v108, v137
	s_cbranch_execz .LBB494_1077
.LBB494_1143:                           ;   in Loop: Header=BB494_974 Depth=2
	global_load_b64 v[46:47], v[62:63], off offset:1792
	s_wait_xcnt 0x0
	s_or_b32 exec_lo, exec_lo, s57
	s_delay_alu instid0(SALU_CYCLE_1)
	s_mov_b32 s57, exec_lo
	v_cmpx_lt_u32_e64 v109, v137
	s_cbranch_execz .LBB494_1078
.LBB494_1144:                           ;   in Loop: Header=BB494_974 Depth=2
	global_load_b64 v[44:45], v[62:63], off offset:2048
	s_wait_xcnt 0x0
	s_or_b32 exec_lo, exec_lo, s57
	s_delay_alu instid0(SALU_CYCLE_1)
	s_mov_b32 s57, exec_lo
	v_cmpx_lt_u32_e64 v110, v137
	s_cbranch_execz .LBB494_1079
.LBB494_1145:                           ;   in Loop: Header=BB494_974 Depth=2
	global_load_b64 v[42:43], v[62:63], off offset:2304
	s_wait_xcnt 0x0
	s_or_b32 exec_lo, exec_lo, s57
	s_delay_alu instid0(SALU_CYCLE_1)
	s_mov_b32 s57, exec_lo
	v_cmpx_lt_u32_e64 v111, v137
	s_cbranch_execz .LBB494_1080
.LBB494_1146:                           ;   in Loop: Header=BB494_974 Depth=2
	global_load_b64 v[40:41], v[62:63], off offset:2560
	s_wait_xcnt 0x0
	s_or_b32 exec_lo, exec_lo, s57
	s_delay_alu instid0(SALU_CYCLE_1)
	s_mov_b32 s57, exec_lo
	v_cmpx_lt_u32_e64 v112, v137
	s_cbranch_execz .LBB494_1081
.LBB494_1147:                           ;   in Loop: Header=BB494_974 Depth=2
	global_load_b64 v[38:39], v[62:63], off offset:2816
	s_wait_xcnt 0x0
	s_or_b32 exec_lo, exec_lo, s57
	s_delay_alu instid0(SALU_CYCLE_1)
	s_mov_b32 s57, exec_lo
	v_cmpx_lt_u32_e64 v113, v137
	s_cbranch_execz .LBB494_1082
.LBB494_1148:                           ;   in Loop: Header=BB494_974 Depth=2
	global_load_b64 v[36:37], v[62:63], off offset:3072
	s_wait_xcnt 0x0
	s_or_b32 exec_lo, exec_lo, s57
	s_delay_alu instid0(SALU_CYCLE_1)
	s_mov_b32 s57, exec_lo
	v_cmpx_lt_u32_e64 v114, v137
	s_cbranch_execz .LBB494_1083
.LBB494_1149:                           ;   in Loop: Header=BB494_974 Depth=2
	global_load_b64 v[34:35], v[62:63], off offset:3328
	s_wait_xcnt 0x0
	s_or_b32 exec_lo, exec_lo, s57
	s_delay_alu instid0(SALU_CYCLE_1)
	s_mov_b32 s57, exec_lo
	v_cmpx_lt_u32_e64 v115, v137
	s_cbranch_execz .LBB494_1084
.LBB494_1150:                           ;   in Loop: Header=BB494_974 Depth=2
	global_load_b64 v[32:33], v[62:63], off offset:3584
	s_wait_xcnt 0x0
	s_or_b32 exec_lo, exec_lo, s57
	s_delay_alu instid0(SALU_CYCLE_1)
	s_mov_b32 s57, exec_lo
	v_cmpx_lt_u32_e64 v116, v137
	s_cbranch_execz .LBB494_1085
.LBB494_1151:                           ;   in Loop: Header=BB494_974 Depth=2
	global_load_b64 v[30:31], v[62:63], off offset:3840
	s_wait_xcnt 0x0
	s_or_b32 exec_lo, exec_lo, s57
	s_and_saveexec_b32 s30, vcc_lo
	s_cbranch_execz .LBB494_1086
.LBB494_1152:                           ;   in Loop: Header=BB494_974 Depth=2
	ds_load_b32 v62, v93 offset:1024
	s_wait_dscnt 0x0
	v_lshrrev_b32_e32 v62, s49, v62
	s_delay_alu instid0(VALU_DEP_1)
	v_and_b32_e32 v136, s48, v62
	s_or_b32 exec_lo, exec_lo, s30
	s_and_saveexec_b32 s30, s15
	s_cbranch_execz .LBB494_1087
.LBB494_1153:                           ;   in Loop: Header=BB494_974 Depth=2
	ds_load_b32 v62, v93 offset:2048
	s_wait_dscnt 0x0
	v_lshrrev_b32_e32 v62, s49, v62
	s_delay_alu instid0(VALU_DEP_1)
	v_and_b32_e32 v135, s48, v62
	s_or_b32 exec_lo, exec_lo, s30
	s_and_saveexec_b32 s30, s16
	s_cbranch_execz .LBB494_1088
.LBB494_1154:                           ;   in Loop: Header=BB494_974 Depth=2
	ds_load_b32 v62, v93 offset:3072
	s_wait_dscnt 0x0
	v_lshrrev_b32_e32 v62, s49, v62
	s_delay_alu instid0(VALU_DEP_1)
	v_and_b32_e32 v134, s48, v62
	s_or_b32 exec_lo, exec_lo, s30
	s_and_saveexec_b32 s30, s17
	s_cbranch_execz .LBB494_1089
.LBB494_1155:                           ;   in Loop: Header=BB494_974 Depth=2
	ds_load_b32 v62, v93 offset:4096
	s_wait_dscnt 0x0
	v_lshrrev_b32_e32 v62, s49, v62
	s_delay_alu instid0(VALU_DEP_1)
	v_and_b32_e32 v133, s48, v62
	s_or_b32 exec_lo, exec_lo, s30
	s_and_saveexec_b32 s30, s18
	s_cbranch_execz .LBB494_1090
.LBB494_1156:                           ;   in Loop: Header=BB494_974 Depth=2
	ds_load_b32 v62, v93 offset:5120
	s_wait_dscnt 0x0
	v_lshrrev_b32_e32 v62, s49, v62
	s_delay_alu instid0(VALU_DEP_1)
	v_and_b32_e32 v132, s48, v62
	s_or_b32 exec_lo, exec_lo, s30
	s_and_saveexec_b32 s30, s19
	s_cbranch_execz .LBB494_1091
.LBB494_1157:                           ;   in Loop: Header=BB494_974 Depth=2
	ds_load_b32 v62, v93 offset:6144
	s_wait_dscnt 0x0
	v_lshrrev_b32_e32 v62, s49, v62
	s_delay_alu instid0(VALU_DEP_1)
	v_and_b32_e32 v131, s48, v62
	s_or_b32 exec_lo, exec_lo, s30
	s_and_saveexec_b32 s30, s20
	s_cbranch_execz .LBB494_1092
.LBB494_1158:                           ;   in Loop: Header=BB494_974 Depth=2
	ds_load_b32 v62, v93 offset:7168
	s_wait_dscnt 0x0
	v_lshrrev_b32_e32 v62, s49, v62
	s_delay_alu instid0(VALU_DEP_1)
	v_and_b32_e32 v130, s48, v62
	s_or_b32 exec_lo, exec_lo, s30
	s_and_saveexec_b32 s30, s21
	s_cbranch_execz .LBB494_1093
.LBB494_1159:                           ;   in Loop: Header=BB494_974 Depth=2
	ds_load_b32 v62, v93 offset:8192
	s_wait_dscnt 0x0
	v_lshrrev_b32_e32 v62, s49, v62
	s_delay_alu instid0(VALU_DEP_1)
	v_and_b32_e32 v129, s48, v62
	s_or_b32 exec_lo, exec_lo, s30
	s_and_saveexec_b32 s30, s22
	s_cbranch_execz .LBB494_1094
.LBB494_1160:                           ;   in Loop: Header=BB494_974 Depth=2
	ds_load_b32 v62, v93 offset:9216
	s_wait_dscnt 0x0
	v_lshrrev_b32_e32 v62, s49, v62
	s_delay_alu instid0(VALU_DEP_1)
	v_and_b32_e32 v128, s48, v62
	s_or_b32 exec_lo, exec_lo, s30
	s_and_saveexec_b32 s30, s23
	s_cbranch_execz .LBB494_1095
.LBB494_1161:                           ;   in Loop: Header=BB494_974 Depth=2
	ds_load_b32 v62, v93 offset:10240
	s_wait_dscnt 0x0
	v_lshrrev_b32_e32 v62, s49, v62
	s_delay_alu instid0(VALU_DEP_1)
	v_and_b32_e32 v127, s48, v62
	s_or_b32 exec_lo, exec_lo, s30
	s_and_saveexec_b32 s30, s24
	s_cbranch_execz .LBB494_1096
.LBB494_1162:                           ;   in Loop: Header=BB494_974 Depth=2
	ds_load_b32 v62, v93 offset:11264
	s_wait_dscnt 0x0
	v_lshrrev_b32_e32 v62, s49, v62
	s_delay_alu instid0(VALU_DEP_1)
	v_and_b32_e32 v126, s48, v62
	s_or_b32 exec_lo, exec_lo, s30
	s_and_saveexec_b32 s30, s25
	s_cbranch_execz .LBB494_1097
.LBB494_1163:                           ;   in Loop: Header=BB494_974 Depth=2
	ds_load_b32 v62, v93 offset:12288
	s_wait_dscnt 0x0
	v_lshrrev_b32_e32 v62, s49, v62
	s_delay_alu instid0(VALU_DEP_1)
	v_and_b32_e32 v125, s48, v62
	s_or_b32 exec_lo, exec_lo, s30
	s_and_saveexec_b32 s30, s26
	s_cbranch_execz .LBB494_1098
.LBB494_1164:                           ;   in Loop: Header=BB494_974 Depth=2
	ds_load_b32 v62, v93 offset:13312
	s_wait_dscnt 0x0
	v_lshrrev_b32_e32 v62, s49, v62
	s_delay_alu instid0(VALU_DEP_1)
	v_and_b32_e32 v124, s48, v62
	s_or_b32 exec_lo, exec_lo, s30
	s_and_saveexec_b32 s30, s27
	s_cbranch_execz .LBB494_1099
.LBB494_1165:                           ;   in Loop: Header=BB494_974 Depth=2
	ds_load_b32 v62, v93 offset:14336
	s_wait_dscnt 0x0
	v_lshrrev_b32_e32 v62, s49, v62
	s_delay_alu instid0(VALU_DEP_1)
	v_and_b32_e32 v123, s48, v62
	s_or_b32 exec_lo, exec_lo, s30
	s_and_saveexec_b32 s30, s28
	s_cbranch_execz .LBB494_1100
.LBB494_1166:                           ;   in Loop: Header=BB494_974 Depth=2
	ds_load_b32 v62, v93 offset:15360
	s_wait_dscnt 0x0
	v_lshrrev_b32_e32 v62, s49, v62
	s_delay_alu instid0(VALU_DEP_1)
	v_and_b32_e32 v122, s48, v62
	s_or_b32 exec_lo, exec_lo, s30
	s_and_saveexec_b32 s30, s29
	s_cbranch_execnz .LBB494_1101
	s_branch .LBB494_1102
.LBB494_1167:                           ;   in Loop: Header=BB494_974 Depth=2
	v_lshlrev_b32_e32 v63, 2, v136
	ds_load_b32 v63, v63
	ds_load_b64 v[66:67], v62 offset:1024
	s_wait_dscnt 0x1
	v_add_nc_u32_e32 v63, v63, v2
	s_wait_dscnt 0x0
	global_store_b64 v63, v[66:67], s[46:47] scale_offset
	s_wait_xcnt 0x0
	s_or_b32 exec_lo, exec_lo, s30
	s_and_saveexec_b32 s30, s15
	s_cbranch_execz .LBB494_1104
.LBB494_1168:                           ;   in Loop: Header=BB494_974 Depth=2
	v_lshlrev_b32_e32 v63, 2, v135
	ds_load_b32 v63, v63
	ds_load_b64 v[66:67], v62 offset:3072
	s_wait_dscnt 0x1
	v_add_nc_u32_e32 v63, v63, v3
	s_wait_dscnt 0x0
	global_store_b64 v63, v[66:67], s[46:47] scale_offset
	s_wait_xcnt 0x0
	s_or_b32 exec_lo, exec_lo, s30
	s_and_saveexec_b32 s15, s16
	s_cbranch_execz .LBB494_1105
.LBB494_1169:                           ;   in Loop: Header=BB494_974 Depth=2
	v_lshlrev_b32_e32 v63, 2, v134
	ds_load_b32 v63, v63
	ds_load_b64 v[66:67], v62 offset:5120
	s_wait_dscnt 0x1
	v_add_nc_u32_e32 v63, v63, v70
	s_wait_dscnt 0x0
	global_store_b64 v63, v[66:67], s[46:47] scale_offset
	s_wait_xcnt 0x0
	s_or_b32 exec_lo, exec_lo, s15
	s_and_saveexec_b32 s15, s17
	s_cbranch_execz .LBB494_1106
.LBB494_1170:                           ;   in Loop: Header=BB494_974 Depth=2
	v_lshlrev_b32_e32 v63, 2, v133
	ds_load_b32 v63, v63
	ds_load_b64 v[66:67], v62 offset:7168
	s_wait_dscnt 0x1
	v_add_nc_u32_e32 v63, v63, v71
	s_wait_dscnt 0x0
	global_store_b64 v63, v[66:67], s[46:47] scale_offset
	s_wait_xcnt 0x0
	s_or_b32 exec_lo, exec_lo, s15
	s_and_saveexec_b32 s15, s18
	s_cbranch_execz .LBB494_1107
.LBB494_1171:                           ;   in Loop: Header=BB494_974 Depth=2
	v_lshlrev_b32_e32 v63, 2, v132
	ds_load_b32 v63, v63
	ds_load_b64 v[66:67], v62 offset:9216
	s_wait_dscnt 0x1
	v_add_nc_u32_e32 v63, v63, v72
	s_wait_dscnt 0x0
	global_store_b64 v63, v[66:67], s[46:47] scale_offset
	s_wait_xcnt 0x0
	s_or_b32 exec_lo, exec_lo, s15
	s_and_saveexec_b32 s15, s19
	s_cbranch_execz .LBB494_1108
.LBB494_1172:                           ;   in Loop: Header=BB494_974 Depth=2
	v_lshlrev_b32_e32 v63, 2, v131
	ds_load_b32 v63, v63
	ds_load_b64 v[66:67], v62 offset:11264
	s_wait_dscnt 0x1
	v_add_nc_u32_e32 v63, v63, v73
	s_wait_dscnt 0x0
	global_store_b64 v63, v[66:67], s[46:47] scale_offset
	s_wait_xcnt 0x0
	s_or_b32 exec_lo, exec_lo, s15
	s_and_saveexec_b32 s15, s20
	s_cbranch_execz .LBB494_1109
.LBB494_1173:                           ;   in Loop: Header=BB494_974 Depth=2
	v_lshlrev_b32_e32 v63, 2, v130
	ds_load_b32 v63, v63
	ds_load_b64 v[66:67], v62 offset:13312
	s_wait_dscnt 0x1
	v_add_nc_u32_e32 v63, v63, v74
	s_wait_dscnt 0x0
	global_store_b64 v63, v[66:67], s[46:47] scale_offset
	s_wait_xcnt 0x0
	s_or_b32 exec_lo, exec_lo, s15
	s_and_saveexec_b32 s15, s21
	s_cbranch_execz .LBB494_1110
.LBB494_1174:                           ;   in Loop: Header=BB494_974 Depth=2
	v_lshlrev_b32_e32 v63, 2, v129
	ds_load_b32 v63, v63
	ds_load_b64 v[66:67], v62 offset:15360
	s_wait_dscnt 0x1
	v_add_nc_u32_e32 v63, v63, v75
	s_wait_dscnt 0x0
	global_store_b64 v63, v[66:67], s[46:47] scale_offset
	s_wait_xcnt 0x0
	s_or_b32 exec_lo, exec_lo, s15
	s_and_saveexec_b32 s15, s22
	s_cbranch_execz .LBB494_1111
.LBB494_1175:                           ;   in Loop: Header=BB494_974 Depth=2
	v_lshlrev_b32_e32 v63, 2, v128
	ds_load_b32 v63, v63
	ds_load_b64 v[66:67], v62 offset:17408
	s_wait_dscnt 0x1
	v_add_nc_u32_e32 v63, v63, v76
	s_wait_dscnt 0x0
	global_store_b64 v63, v[66:67], s[46:47] scale_offset
	s_wait_xcnt 0x0
	s_or_b32 exec_lo, exec_lo, s15
	s_and_saveexec_b32 s15, s23
	s_cbranch_execz .LBB494_1112
.LBB494_1176:                           ;   in Loop: Header=BB494_974 Depth=2
	v_lshlrev_b32_e32 v63, 2, v127
	ds_load_b32 v63, v63
	ds_load_b64 v[66:67], v62 offset:19456
	s_wait_dscnt 0x1
	v_add_nc_u32_e32 v63, v63, v77
	s_wait_dscnt 0x0
	global_store_b64 v63, v[66:67], s[46:47] scale_offset
	s_wait_xcnt 0x0
	s_or_b32 exec_lo, exec_lo, s15
	s_and_saveexec_b32 s15, s24
	s_cbranch_execz .LBB494_1113
.LBB494_1177:                           ;   in Loop: Header=BB494_974 Depth=2
	v_lshlrev_b32_e32 v63, 2, v126
	ds_load_b32 v63, v63
	ds_load_b64 v[66:67], v62 offset:21504
	s_wait_dscnt 0x1
	v_add_nc_u32_e32 v63, v63, v78
	s_wait_dscnt 0x0
	global_store_b64 v63, v[66:67], s[46:47] scale_offset
	s_wait_xcnt 0x0
	s_or_b32 exec_lo, exec_lo, s15
	s_and_saveexec_b32 s15, s25
	s_cbranch_execz .LBB494_1114
.LBB494_1178:                           ;   in Loop: Header=BB494_974 Depth=2
	v_lshlrev_b32_e32 v63, 2, v125
	ds_load_b32 v63, v63
	ds_load_b64 v[66:67], v62 offset:23552
	s_wait_dscnt 0x1
	v_add_nc_u32_e32 v63, v63, v79
	s_wait_dscnt 0x0
	global_store_b64 v63, v[66:67], s[46:47] scale_offset
	s_wait_xcnt 0x0
	s_or_b32 exec_lo, exec_lo, s15
	s_and_saveexec_b32 s15, s26
	s_cbranch_execz .LBB494_1115
.LBB494_1179:                           ;   in Loop: Header=BB494_974 Depth=2
	v_lshlrev_b32_e32 v63, 2, v124
	ds_load_b32 v63, v63
	ds_load_b64 v[66:67], v62 offset:25600
	s_wait_dscnt 0x1
	v_add_nc_u32_e32 v63, v63, v80
	s_wait_dscnt 0x0
	global_store_b64 v63, v[66:67], s[46:47] scale_offset
	s_wait_xcnt 0x0
	s_or_b32 exec_lo, exec_lo, s15
	s_and_saveexec_b32 s15, s27
	s_cbranch_execz .LBB494_1116
.LBB494_1180:                           ;   in Loop: Header=BB494_974 Depth=2
	v_lshlrev_b32_e32 v63, 2, v123
	ds_load_b32 v63, v63
	ds_load_b64 v[66:67], v62 offset:27648
	s_wait_dscnt 0x1
	v_add_nc_u32_e32 v63, v63, v81
	s_wait_dscnt 0x0
	global_store_b64 v63, v[66:67], s[46:47] scale_offset
	s_wait_xcnt 0x0
	s_or_b32 exec_lo, exec_lo, s15
	s_and_saveexec_b32 s15, s28
	s_cbranch_execz .LBB494_1117
.LBB494_1181:                           ;   in Loop: Header=BB494_974 Depth=2
	v_lshlrev_b32_e32 v63, 2, v122
	ds_load_b32 v63, v63
	ds_load_b64 v[66:67], v62 offset:29696
	s_wait_dscnt 0x1
	v_add_nc_u32_e32 v63, v63, v82
	s_wait_dscnt 0x0
	global_store_b64 v63, v[66:67], s[46:47] scale_offset
	s_wait_xcnt 0x0
	s_or_b32 exec_lo, exec_lo, s15
	s_and_saveexec_b32 s15, s29
	s_cbranch_execnz .LBB494_1118
	s_branch .LBB494_1119
.LBB494_1182:
	s_endpgm
	.section	.rodata,"a",@progbits
	.p2align	6, 0x0
	.amdhsa_kernel _ZN7rocprim17ROCPRIM_400000_NS6detail17trampoline_kernelINS0_14default_configENS1_36segmented_radix_sort_config_selectorIilEEZNS1_25segmented_radix_sort_implIS3_Lb1EPKiPiPKlPlN2at6native12_GLOBAL__N_18offset_tEEE10hipError_tPvRmT1_PNSt15iterator_traitsISK_E10value_typeET2_T3_PNSL_ISQ_E10value_typeET4_jRbjT5_SW_jjP12ihipStream_tbEUlT_E_NS1_11comp_targetILNS1_3genE0ELNS1_11target_archE4294967295ELNS1_3gpuE0ELNS1_3repE0EEENS1_30default_config_static_selectorELNS0_4arch9wavefront6targetE0EEEvSK_
		.amdhsa_group_segment_fixed_size 33824
		.amdhsa_private_segment_fixed_size 0
		.amdhsa_kernarg_size 352
		.amdhsa_user_sgpr_count 4
		.amdhsa_user_sgpr_dispatch_ptr 0
		.amdhsa_user_sgpr_queue_ptr 1
		.amdhsa_user_sgpr_kernarg_segment_ptr 1
		.amdhsa_user_sgpr_dispatch_id 0
		.amdhsa_user_sgpr_kernarg_preload_length 0
		.amdhsa_user_sgpr_kernarg_preload_offset 0
		.amdhsa_user_sgpr_private_segment_size 0
		.amdhsa_wavefront_size32 1
		.amdhsa_uses_dynamic_stack 0
		.amdhsa_enable_private_segment 0
		.amdhsa_system_sgpr_workgroup_id_x 1
		.amdhsa_system_sgpr_workgroup_id_y 1
		.amdhsa_system_sgpr_workgroup_id_z 0
		.amdhsa_system_sgpr_workgroup_info 0
		.amdhsa_system_vgpr_workitem_id 2
		.amdhsa_next_free_vgpr 287
		.amdhsa_next_free_sgpr 58
		.amdhsa_named_barrier_count 0
		.amdhsa_reserve_vcc 1
		.amdhsa_float_round_mode_32 0
		.amdhsa_float_round_mode_16_64 0
		.amdhsa_float_denorm_mode_32 3
		.amdhsa_float_denorm_mode_16_64 3
		.amdhsa_fp16_overflow 0
		.amdhsa_memory_ordered 1
		.amdhsa_forward_progress 1
		.amdhsa_inst_pref_size 255
		.amdhsa_round_robin_scheduling 0
		.amdhsa_exception_fp_ieee_invalid_op 0
		.amdhsa_exception_fp_denorm_src 0
		.amdhsa_exception_fp_ieee_div_zero 0
		.amdhsa_exception_fp_ieee_overflow 0
		.amdhsa_exception_fp_ieee_underflow 0
		.amdhsa_exception_fp_ieee_inexact 0
		.amdhsa_exception_int_div_zero 0
	.end_amdhsa_kernel
	.section	.text._ZN7rocprim17ROCPRIM_400000_NS6detail17trampoline_kernelINS0_14default_configENS1_36segmented_radix_sort_config_selectorIilEEZNS1_25segmented_radix_sort_implIS3_Lb1EPKiPiPKlPlN2at6native12_GLOBAL__N_18offset_tEEE10hipError_tPvRmT1_PNSt15iterator_traitsISK_E10value_typeET2_T3_PNSL_ISQ_E10value_typeET4_jRbjT5_SW_jjP12ihipStream_tbEUlT_E_NS1_11comp_targetILNS1_3genE0ELNS1_11target_archE4294967295ELNS1_3gpuE0ELNS1_3repE0EEENS1_30default_config_static_selectorELNS0_4arch9wavefront6targetE0EEEvSK_,"axG",@progbits,_ZN7rocprim17ROCPRIM_400000_NS6detail17trampoline_kernelINS0_14default_configENS1_36segmented_radix_sort_config_selectorIilEEZNS1_25segmented_radix_sort_implIS3_Lb1EPKiPiPKlPlN2at6native12_GLOBAL__N_18offset_tEEE10hipError_tPvRmT1_PNSt15iterator_traitsISK_E10value_typeET2_T3_PNSL_ISQ_E10value_typeET4_jRbjT5_SW_jjP12ihipStream_tbEUlT_E_NS1_11comp_targetILNS1_3genE0ELNS1_11target_archE4294967295ELNS1_3gpuE0ELNS1_3repE0EEENS1_30default_config_static_selectorELNS0_4arch9wavefront6targetE0EEEvSK_,comdat
.Lfunc_end494:
	.size	_ZN7rocprim17ROCPRIM_400000_NS6detail17trampoline_kernelINS0_14default_configENS1_36segmented_radix_sort_config_selectorIilEEZNS1_25segmented_radix_sort_implIS3_Lb1EPKiPiPKlPlN2at6native12_GLOBAL__N_18offset_tEEE10hipError_tPvRmT1_PNSt15iterator_traitsISK_E10value_typeET2_T3_PNSL_ISQ_E10value_typeET4_jRbjT5_SW_jjP12ihipStream_tbEUlT_E_NS1_11comp_targetILNS1_3genE0ELNS1_11target_archE4294967295ELNS1_3gpuE0ELNS1_3repE0EEENS1_30default_config_static_selectorELNS0_4arch9wavefront6targetE0EEEvSK_, .Lfunc_end494-_ZN7rocprim17ROCPRIM_400000_NS6detail17trampoline_kernelINS0_14default_configENS1_36segmented_radix_sort_config_selectorIilEEZNS1_25segmented_radix_sort_implIS3_Lb1EPKiPiPKlPlN2at6native12_GLOBAL__N_18offset_tEEE10hipError_tPvRmT1_PNSt15iterator_traitsISK_E10value_typeET2_T3_PNSL_ISQ_E10value_typeET4_jRbjT5_SW_jjP12ihipStream_tbEUlT_E_NS1_11comp_targetILNS1_3genE0ELNS1_11target_archE4294967295ELNS1_3gpuE0ELNS1_3repE0EEENS1_30default_config_static_selectorELNS0_4arch9wavefront6targetE0EEEvSK_
                                        ; -- End function
	.set _ZN7rocprim17ROCPRIM_400000_NS6detail17trampoline_kernelINS0_14default_configENS1_36segmented_radix_sort_config_selectorIilEEZNS1_25segmented_radix_sort_implIS3_Lb1EPKiPiPKlPlN2at6native12_GLOBAL__N_18offset_tEEE10hipError_tPvRmT1_PNSt15iterator_traitsISK_E10value_typeET2_T3_PNSL_ISQ_E10value_typeET4_jRbjT5_SW_jjP12ihipStream_tbEUlT_E_NS1_11comp_targetILNS1_3genE0ELNS1_11target_archE4294967295ELNS1_3gpuE0ELNS1_3repE0EEENS1_30default_config_static_selectorELNS0_4arch9wavefront6targetE0EEEvSK_.num_vgpr, max(204, .L_ZN7rocprim17ROCPRIM_400000_NS6detail40segmented_radix_sort_single_block_helperIilLj256ELj16ELb1EE4sortIPKiPiPKlPlEEbT_T0_T1_T2_jjjjRNS3_12storage_typeE.num_vgpr)
	.set _ZN7rocprim17ROCPRIM_400000_NS6detail17trampoline_kernelINS0_14default_configENS1_36segmented_radix_sort_config_selectorIilEEZNS1_25segmented_radix_sort_implIS3_Lb1EPKiPiPKlPlN2at6native12_GLOBAL__N_18offset_tEEE10hipError_tPvRmT1_PNSt15iterator_traitsISK_E10value_typeET2_T3_PNSL_ISQ_E10value_typeET4_jRbjT5_SW_jjP12ihipStream_tbEUlT_E_NS1_11comp_targetILNS1_3genE0ELNS1_11target_archE4294967295ELNS1_3gpuE0ELNS1_3repE0EEENS1_30default_config_static_selectorELNS0_4arch9wavefront6targetE0EEEvSK_.num_agpr, max(0, .L_ZN7rocprim17ROCPRIM_400000_NS6detail40segmented_radix_sort_single_block_helperIilLj256ELj16ELb1EE4sortIPKiPiPKlPlEEbT_T0_T1_T2_jjjjRNS3_12storage_typeE.num_agpr)
	.set _ZN7rocprim17ROCPRIM_400000_NS6detail17trampoline_kernelINS0_14default_configENS1_36segmented_radix_sort_config_selectorIilEEZNS1_25segmented_radix_sort_implIS3_Lb1EPKiPiPKlPlN2at6native12_GLOBAL__N_18offset_tEEE10hipError_tPvRmT1_PNSt15iterator_traitsISK_E10value_typeET2_T3_PNSL_ISQ_E10value_typeET4_jRbjT5_SW_jjP12ihipStream_tbEUlT_E_NS1_11comp_targetILNS1_3genE0ELNS1_11target_archE4294967295ELNS1_3gpuE0ELNS1_3repE0EEENS1_30default_config_static_selectorELNS0_4arch9wavefront6targetE0EEEvSK_.numbered_sgpr, max(58, .L_ZN7rocprim17ROCPRIM_400000_NS6detail40segmented_radix_sort_single_block_helperIilLj256ELj16ELb1EE4sortIPKiPiPKlPlEEbT_T0_T1_T2_jjjjRNS3_12storage_typeE.numbered_sgpr)
	.set _ZN7rocprim17ROCPRIM_400000_NS6detail17trampoline_kernelINS0_14default_configENS1_36segmented_radix_sort_config_selectorIilEEZNS1_25segmented_radix_sort_implIS3_Lb1EPKiPiPKlPlN2at6native12_GLOBAL__N_18offset_tEEE10hipError_tPvRmT1_PNSt15iterator_traitsISK_E10value_typeET2_T3_PNSL_ISQ_E10value_typeET4_jRbjT5_SW_jjP12ihipStream_tbEUlT_E_NS1_11comp_targetILNS1_3genE0ELNS1_11target_archE4294967295ELNS1_3gpuE0ELNS1_3repE0EEENS1_30default_config_static_selectorELNS0_4arch9wavefront6targetE0EEEvSK_.num_named_barrier, max(0, .L_ZN7rocprim17ROCPRIM_400000_NS6detail40segmented_radix_sort_single_block_helperIilLj256ELj16ELb1EE4sortIPKiPiPKlPlEEbT_T0_T1_T2_jjjjRNS3_12storage_typeE.num_named_barrier)
	.set _ZN7rocprim17ROCPRIM_400000_NS6detail17trampoline_kernelINS0_14default_configENS1_36segmented_radix_sort_config_selectorIilEEZNS1_25segmented_radix_sort_implIS3_Lb1EPKiPiPKlPlN2at6native12_GLOBAL__N_18offset_tEEE10hipError_tPvRmT1_PNSt15iterator_traitsISK_E10value_typeET2_T3_PNSL_ISQ_E10value_typeET4_jRbjT5_SW_jjP12ihipStream_tbEUlT_E_NS1_11comp_targetILNS1_3genE0ELNS1_11target_archE4294967295ELNS1_3gpuE0ELNS1_3repE0EEENS1_30default_config_static_selectorELNS0_4arch9wavefront6targetE0EEEvSK_.private_seg_size, 0+max(.L_ZN7rocprim17ROCPRIM_400000_NS6detail40segmented_radix_sort_single_block_helperIilLj256ELj16ELb1EE4sortIPKiPiPKlPlEEbT_T0_T1_T2_jjjjRNS3_12storage_typeE.private_seg_size)
	.set _ZN7rocprim17ROCPRIM_400000_NS6detail17trampoline_kernelINS0_14default_configENS1_36segmented_radix_sort_config_selectorIilEEZNS1_25segmented_radix_sort_implIS3_Lb1EPKiPiPKlPlN2at6native12_GLOBAL__N_18offset_tEEE10hipError_tPvRmT1_PNSt15iterator_traitsISK_E10value_typeET2_T3_PNSL_ISQ_E10value_typeET4_jRbjT5_SW_jjP12ihipStream_tbEUlT_E_NS1_11comp_targetILNS1_3genE0ELNS1_11target_archE4294967295ELNS1_3gpuE0ELNS1_3repE0EEENS1_30default_config_static_selectorELNS0_4arch9wavefront6targetE0EEEvSK_.uses_vcc, or(1, .L_ZN7rocprim17ROCPRIM_400000_NS6detail40segmented_radix_sort_single_block_helperIilLj256ELj16ELb1EE4sortIPKiPiPKlPlEEbT_T0_T1_T2_jjjjRNS3_12storage_typeE.uses_vcc)
	.set _ZN7rocprim17ROCPRIM_400000_NS6detail17trampoline_kernelINS0_14default_configENS1_36segmented_radix_sort_config_selectorIilEEZNS1_25segmented_radix_sort_implIS3_Lb1EPKiPiPKlPlN2at6native12_GLOBAL__N_18offset_tEEE10hipError_tPvRmT1_PNSt15iterator_traitsISK_E10value_typeET2_T3_PNSL_ISQ_E10value_typeET4_jRbjT5_SW_jjP12ihipStream_tbEUlT_E_NS1_11comp_targetILNS1_3genE0ELNS1_11target_archE4294967295ELNS1_3gpuE0ELNS1_3repE0EEENS1_30default_config_static_selectorELNS0_4arch9wavefront6targetE0EEEvSK_.uses_flat_scratch, or(0, .L_ZN7rocprim17ROCPRIM_400000_NS6detail40segmented_radix_sort_single_block_helperIilLj256ELj16ELb1EE4sortIPKiPiPKlPlEEbT_T0_T1_T2_jjjjRNS3_12storage_typeE.uses_flat_scratch)
	.set _ZN7rocprim17ROCPRIM_400000_NS6detail17trampoline_kernelINS0_14default_configENS1_36segmented_radix_sort_config_selectorIilEEZNS1_25segmented_radix_sort_implIS3_Lb1EPKiPiPKlPlN2at6native12_GLOBAL__N_18offset_tEEE10hipError_tPvRmT1_PNSt15iterator_traitsISK_E10value_typeET2_T3_PNSL_ISQ_E10value_typeET4_jRbjT5_SW_jjP12ihipStream_tbEUlT_E_NS1_11comp_targetILNS1_3genE0ELNS1_11target_archE4294967295ELNS1_3gpuE0ELNS1_3repE0EEENS1_30default_config_static_selectorELNS0_4arch9wavefront6targetE0EEEvSK_.has_dyn_sized_stack, or(0, .L_ZN7rocprim17ROCPRIM_400000_NS6detail40segmented_radix_sort_single_block_helperIilLj256ELj16ELb1EE4sortIPKiPiPKlPlEEbT_T0_T1_T2_jjjjRNS3_12storage_typeE.has_dyn_sized_stack)
	.set _ZN7rocprim17ROCPRIM_400000_NS6detail17trampoline_kernelINS0_14default_configENS1_36segmented_radix_sort_config_selectorIilEEZNS1_25segmented_radix_sort_implIS3_Lb1EPKiPiPKlPlN2at6native12_GLOBAL__N_18offset_tEEE10hipError_tPvRmT1_PNSt15iterator_traitsISK_E10value_typeET2_T3_PNSL_ISQ_E10value_typeET4_jRbjT5_SW_jjP12ihipStream_tbEUlT_E_NS1_11comp_targetILNS1_3genE0ELNS1_11target_archE4294967295ELNS1_3gpuE0ELNS1_3repE0EEENS1_30default_config_static_selectorELNS0_4arch9wavefront6targetE0EEEvSK_.has_recursion, or(0, .L_ZN7rocprim17ROCPRIM_400000_NS6detail40segmented_radix_sort_single_block_helperIilLj256ELj16ELb1EE4sortIPKiPiPKlPlEEbT_T0_T1_T2_jjjjRNS3_12storage_typeE.has_recursion)
	.set _ZN7rocprim17ROCPRIM_400000_NS6detail17trampoline_kernelINS0_14default_configENS1_36segmented_radix_sort_config_selectorIilEEZNS1_25segmented_radix_sort_implIS3_Lb1EPKiPiPKlPlN2at6native12_GLOBAL__N_18offset_tEEE10hipError_tPvRmT1_PNSt15iterator_traitsISK_E10value_typeET2_T3_PNSL_ISQ_E10value_typeET4_jRbjT5_SW_jjP12ihipStream_tbEUlT_E_NS1_11comp_targetILNS1_3genE0ELNS1_11target_archE4294967295ELNS1_3gpuE0ELNS1_3repE0EEENS1_30default_config_static_selectorELNS0_4arch9wavefront6targetE0EEEvSK_.has_indirect_call, or(0, .L_ZN7rocprim17ROCPRIM_400000_NS6detail40segmented_radix_sort_single_block_helperIilLj256ELj16ELb1EE4sortIPKiPiPKlPlEEbT_T0_T1_T2_jjjjRNS3_12storage_typeE.has_indirect_call)
	.section	.AMDGPU.csdata,"",@progbits
; Kernel info:
; codeLenInByte = 68340
; TotalNumSgprs: 60
; NumVgprs: 287
; ScratchSize: 0
; MemoryBound: 0
; FloatMode: 240
; IeeeMode: 1
; LDSByteSize: 33824 bytes/workgroup (compile time only)
; SGPRBlocks: 0
; VGPRBlocks: 17
; NumSGPRsForWavesPerEU: 60
; NumVGPRsForWavesPerEU: 287
; NamedBarCnt: 0
; Occupancy: 3
; WaveLimiterHint : 1
; COMPUTE_PGM_RSRC2:SCRATCH_EN: 0
; COMPUTE_PGM_RSRC2:USER_SGPR: 4
; COMPUTE_PGM_RSRC2:TRAP_HANDLER: 0
; COMPUTE_PGM_RSRC2:TGID_X_EN: 1
; COMPUTE_PGM_RSRC2:TGID_Y_EN: 1
; COMPUTE_PGM_RSRC2:TGID_Z_EN: 0
; COMPUTE_PGM_RSRC2:TIDIG_COMP_CNT: 2
	.section	.text._ZN7rocprim17ROCPRIM_400000_NS6detail17trampoline_kernelINS0_14default_configENS1_36segmented_radix_sort_config_selectorIilEEZNS1_25segmented_radix_sort_implIS3_Lb1EPKiPiPKlPlN2at6native12_GLOBAL__N_18offset_tEEE10hipError_tPvRmT1_PNSt15iterator_traitsISK_E10value_typeET2_T3_PNSL_ISQ_E10value_typeET4_jRbjT5_SW_jjP12ihipStream_tbEUlT_E_NS1_11comp_targetILNS1_3genE5ELNS1_11target_archE942ELNS1_3gpuE9ELNS1_3repE0EEENS1_30default_config_static_selectorELNS0_4arch9wavefront6targetE0EEEvSK_,"axG",@progbits,_ZN7rocprim17ROCPRIM_400000_NS6detail17trampoline_kernelINS0_14default_configENS1_36segmented_radix_sort_config_selectorIilEEZNS1_25segmented_radix_sort_implIS3_Lb1EPKiPiPKlPlN2at6native12_GLOBAL__N_18offset_tEEE10hipError_tPvRmT1_PNSt15iterator_traitsISK_E10value_typeET2_T3_PNSL_ISQ_E10value_typeET4_jRbjT5_SW_jjP12ihipStream_tbEUlT_E_NS1_11comp_targetILNS1_3genE5ELNS1_11target_archE942ELNS1_3gpuE9ELNS1_3repE0EEENS1_30default_config_static_selectorELNS0_4arch9wavefront6targetE0EEEvSK_,comdat
	.globl	_ZN7rocprim17ROCPRIM_400000_NS6detail17trampoline_kernelINS0_14default_configENS1_36segmented_radix_sort_config_selectorIilEEZNS1_25segmented_radix_sort_implIS3_Lb1EPKiPiPKlPlN2at6native12_GLOBAL__N_18offset_tEEE10hipError_tPvRmT1_PNSt15iterator_traitsISK_E10value_typeET2_T3_PNSL_ISQ_E10value_typeET4_jRbjT5_SW_jjP12ihipStream_tbEUlT_E_NS1_11comp_targetILNS1_3genE5ELNS1_11target_archE942ELNS1_3gpuE9ELNS1_3repE0EEENS1_30default_config_static_selectorELNS0_4arch9wavefront6targetE0EEEvSK_ ; -- Begin function _ZN7rocprim17ROCPRIM_400000_NS6detail17trampoline_kernelINS0_14default_configENS1_36segmented_radix_sort_config_selectorIilEEZNS1_25segmented_radix_sort_implIS3_Lb1EPKiPiPKlPlN2at6native12_GLOBAL__N_18offset_tEEE10hipError_tPvRmT1_PNSt15iterator_traitsISK_E10value_typeET2_T3_PNSL_ISQ_E10value_typeET4_jRbjT5_SW_jjP12ihipStream_tbEUlT_E_NS1_11comp_targetILNS1_3genE5ELNS1_11target_archE942ELNS1_3gpuE9ELNS1_3repE0EEENS1_30default_config_static_selectorELNS0_4arch9wavefront6targetE0EEEvSK_
	.p2align	8
	.type	_ZN7rocprim17ROCPRIM_400000_NS6detail17trampoline_kernelINS0_14default_configENS1_36segmented_radix_sort_config_selectorIilEEZNS1_25segmented_radix_sort_implIS3_Lb1EPKiPiPKlPlN2at6native12_GLOBAL__N_18offset_tEEE10hipError_tPvRmT1_PNSt15iterator_traitsISK_E10value_typeET2_T3_PNSL_ISQ_E10value_typeET4_jRbjT5_SW_jjP12ihipStream_tbEUlT_E_NS1_11comp_targetILNS1_3genE5ELNS1_11target_archE942ELNS1_3gpuE9ELNS1_3repE0EEENS1_30default_config_static_selectorELNS0_4arch9wavefront6targetE0EEEvSK_,@function
_ZN7rocprim17ROCPRIM_400000_NS6detail17trampoline_kernelINS0_14default_configENS1_36segmented_radix_sort_config_selectorIilEEZNS1_25segmented_radix_sort_implIS3_Lb1EPKiPiPKlPlN2at6native12_GLOBAL__N_18offset_tEEE10hipError_tPvRmT1_PNSt15iterator_traitsISK_E10value_typeET2_T3_PNSL_ISQ_E10value_typeET4_jRbjT5_SW_jjP12ihipStream_tbEUlT_E_NS1_11comp_targetILNS1_3genE5ELNS1_11target_archE942ELNS1_3gpuE9ELNS1_3repE0EEENS1_30default_config_static_selectorELNS0_4arch9wavefront6targetE0EEEvSK_: ; @_ZN7rocprim17ROCPRIM_400000_NS6detail17trampoline_kernelINS0_14default_configENS1_36segmented_radix_sort_config_selectorIilEEZNS1_25segmented_radix_sort_implIS3_Lb1EPKiPiPKlPlN2at6native12_GLOBAL__N_18offset_tEEE10hipError_tPvRmT1_PNSt15iterator_traitsISK_E10value_typeET2_T3_PNSL_ISQ_E10value_typeET4_jRbjT5_SW_jjP12ihipStream_tbEUlT_E_NS1_11comp_targetILNS1_3genE5ELNS1_11target_archE942ELNS1_3gpuE9ELNS1_3repE0EEENS1_30default_config_static_selectorELNS0_4arch9wavefront6targetE0EEEvSK_
; %bb.0:
	.section	.rodata,"a",@progbits
	.p2align	6, 0x0
	.amdhsa_kernel _ZN7rocprim17ROCPRIM_400000_NS6detail17trampoline_kernelINS0_14default_configENS1_36segmented_radix_sort_config_selectorIilEEZNS1_25segmented_radix_sort_implIS3_Lb1EPKiPiPKlPlN2at6native12_GLOBAL__N_18offset_tEEE10hipError_tPvRmT1_PNSt15iterator_traitsISK_E10value_typeET2_T3_PNSL_ISQ_E10value_typeET4_jRbjT5_SW_jjP12ihipStream_tbEUlT_E_NS1_11comp_targetILNS1_3genE5ELNS1_11target_archE942ELNS1_3gpuE9ELNS1_3repE0EEENS1_30default_config_static_selectorELNS0_4arch9wavefront6targetE0EEEvSK_
		.amdhsa_group_segment_fixed_size 0
		.amdhsa_private_segment_fixed_size 0
		.amdhsa_kernarg_size 96
		.amdhsa_user_sgpr_count 2
		.amdhsa_user_sgpr_dispatch_ptr 0
		.amdhsa_user_sgpr_queue_ptr 0
		.amdhsa_user_sgpr_kernarg_segment_ptr 1
		.amdhsa_user_sgpr_dispatch_id 0
		.amdhsa_user_sgpr_kernarg_preload_length 0
		.amdhsa_user_sgpr_kernarg_preload_offset 0
		.amdhsa_user_sgpr_private_segment_size 0
		.amdhsa_wavefront_size32 1
		.amdhsa_uses_dynamic_stack 0
		.amdhsa_enable_private_segment 0
		.amdhsa_system_sgpr_workgroup_id_x 1
		.amdhsa_system_sgpr_workgroup_id_y 0
		.amdhsa_system_sgpr_workgroup_id_z 0
		.amdhsa_system_sgpr_workgroup_info 0
		.amdhsa_system_vgpr_workitem_id 0
		.amdhsa_next_free_vgpr 1
		.amdhsa_next_free_sgpr 1
		.amdhsa_named_barrier_count 0
		.amdhsa_reserve_vcc 0
		.amdhsa_float_round_mode_32 0
		.amdhsa_float_round_mode_16_64 0
		.amdhsa_float_denorm_mode_32 3
		.amdhsa_float_denorm_mode_16_64 3
		.amdhsa_fp16_overflow 0
		.amdhsa_memory_ordered 1
		.amdhsa_forward_progress 1
		.amdhsa_inst_pref_size 0
		.amdhsa_round_robin_scheduling 0
		.amdhsa_exception_fp_ieee_invalid_op 0
		.amdhsa_exception_fp_denorm_src 0
		.amdhsa_exception_fp_ieee_div_zero 0
		.amdhsa_exception_fp_ieee_overflow 0
		.amdhsa_exception_fp_ieee_underflow 0
		.amdhsa_exception_fp_ieee_inexact 0
		.amdhsa_exception_int_div_zero 0
	.end_amdhsa_kernel
	.section	.text._ZN7rocprim17ROCPRIM_400000_NS6detail17trampoline_kernelINS0_14default_configENS1_36segmented_radix_sort_config_selectorIilEEZNS1_25segmented_radix_sort_implIS3_Lb1EPKiPiPKlPlN2at6native12_GLOBAL__N_18offset_tEEE10hipError_tPvRmT1_PNSt15iterator_traitsISK_E10value_typeET2_T3_PNSL_ISQ_E10value_typeET4_jRbjT5_SW_jjP12ihipStream_tbEUlT_E_NS1_11comp_targetILNS1_3genE5ELNS1_11target_archE942ELNS1_3gpuE9ELNS1_3repE0EEENS1_30default_config_static_selectorELNS0_4arch9wavefront6targetE0EEEvSK_,"axG",@progbits,_ZN7rocprim17ROCPRIM_400000_NS6detail17trampoline_kernelINS0_14default_configENS1_36segmented_radix_sort_config_selectorIilEEZNS1_25segmented_radix_sort_implIS3_Lb1EPKiPiPKlPlN2at6native12_GLOBAL__N_18offset_tEEE10hipError_tPvRmT1_PNSt15iterator_traitsISK_E10value_typeET2_T3_PNSL_ISQ_E10value_typeET4_jRbjT5_SW_jjP12ihipStream_tbEUlT_E_NS1_11comp_targetILNS1_3genE5ELNS1_11target_archE942ELNS1_3gpuE9ELNS1_3repE0EEENS1_30default_config_static_selectorELNS0_4arch9wavefront6targetE0EEEvSK_,comdat
.Lfunc_end495:
	.size	_ZN7rocprim17ROCPRIM_400000_NS6detail17trampoline_kernelINS0_14default_configENS1_36segmented_radix_sort_config_selectorIilEEZNS1_25segmented_radix_sort_implIS3_Lb1EPKiPiPKlPlN2at6native12_GLOBAL__N_18offset_tEEE10hipError_tPvRmT1_PNSt15iterator_traitsISK_E10value_typeET2_T3_PNSL_ISQ_E10value_typeET4_jRbjT5_SW_jjP12ihipStream_tbEUlT_E_NS1_11comp_targetILNS1_3genE5ELNS1_11target_archE942ELNS1_3gpuE9ELNS1_3repE0EEENS1_30default_config_static_selectorELNS0_4arch9wavefront6targetE0EEEvSK_, .Lfunc_end495-_ZN7rocprim17ROCPRIM_400000_NS6detail17trampoline_kernelINS0_14default_configENS1_36segmented_radix_sort_config_selectorIilEEZNS1_25segmented_radix_sort_implIS3_Lb1EPKiPiPKlPlN2at6native12_GLOBAL__N_18offset_tEEE10hipError_tPvRmT1_PNSt15iterator_traitsISK_E10value_typeET2_T3_PNSL_ISQ_E10value_typeET4_jRbjT5_SW_jjP12ihipStream_tbEUlT_E_NS1_11comp_targetILNS1_3genE5ELNS1_11target_archE942ELNS1_3gpuE9ELNS1_3repE0EEENS1_30default_config_static_selectorELNS0_4arch9wavefront6targetE0EEEvSK_
                                        ; -- End function
	.set _ZN7rocprim17ROCPRIM_400000_NS6detail17trampoline_kernelINS0_14default_configENS1_36segmented_radix_sort_config_selectorIilEEZNS1_25segmented_radix_sort_implIS3_Lb1EPKiPiPKlPlN2at6native12_GLOBAL__N_18offset_tEEE10hipError_tPvRmT1_PNSt15iterator_traitsISK_E10value_typeET2_T3_PNSL_ISQ_E10value_typeET4_jRbjT5_SW_jjP12ihipStream_tbEUlT_E_NS1_11comp_targetILNS1_3genE5ELNS1_11target_archE942ELNS1_3gpuE9ELNS1_3repE0EEENS1_30default_config_static_selectorELNS0_4arch9wavefront6targetE0EEEvSK_.num_vgpr, 0
	.set _ZN7rocprim17ROCPRIM_400000_NS6detail17trampoline_kernelINS0_14default_configENS1_36segmented_radix_sort_config_selectorIilEEZNS1_25segmented_radix_sort_implIS3_Lb1EPKiPiPKlPlN2at6native12_GLOBAL__N_18offset_tEEE10hipError_tPvRmT1_PNSt15iterator_traitsISK_E10value_typeET2_T3_PNSL_ISQ_E10value_typeET4_jRbjT5_SW_jjP12ihipStream_tbEUlT_E_NS1_11comp_targetILNS1_3genE5ELNS1_11target_archE942ELNS1_3gpuE9ELNS1_3repE0EEENS1_30default_config_static_selectorELNS0_4arch9wavefront6targetE0EEEvSK_.num_agpr, 0
	.set _ZN7rocprim17ROCPRIM_400000_NS6detail17trampoline_kernelINS0_14default_configENS1_36segmented_radix_sort_config_selectorIilEEZNS1_25segmented_radix_sort_implIS3_Lb1EPKiPiPKlPlN2at6native12_GLOBAL__N_18offset_tEEE10hipError_tPvRmT1_PNSt15iterator_traitsISK_E10value_typeET2_T3_PNSL_ISQ_E10value_typeET4_jRbjT5_SW_jjP12ihipStream_tbEUlT_E_NS1_11comp_targetILNS1_3genE5ELNS1_11target_archE942ELNS1_3gpuE9ELNS1_3repE0EEENS1_30default_config_static_selectorELNS0_4arch9wavefront6targetE0EEEvSK_.numbered_sgpr, 0
	.set _ZN7rocprim17ROCPRIM_400000_NS6detail17trampoline_kernelINS0_14default_configENS1_36segmented_radix_sort_config_selectorIilEEZNS1_25segmented_radix_sort_implIS3_Lb1EPKiPiPKlPlN2at6native12_GLOBAL__N_18offset_tEEE10hipError_tPvRmT1_PNSt15iterator_traitsISK_E10value_typeET2_T3_PNSL_ISQ_E10value_typeET4_jRbjT5_SW_jjP12ihipStream_tbEUlT_E_NS1_11comp_targetILNS1_3genE5ELNS1_11target_archE942ELNS1_3gpuE9ELNS1_3repE0EEENS1_30default_config_static_selectorELNS0_4arch9wavefront6targetE0EEEvSK_.num_named_barrier, 0
	.set _ZN7rocprim17ROCPRIM_400000_NS6detail17trampoline_kernelINS0_14default_configENS1_36segmented_radix_sort_config_selectorIilEEZNS1_25segmented_radix_sort_implIS3_Lb1EPKiPiPKlPlN2at6native12_GLOBAL__N_18offset_tEEE10hipError_tPvRmT1_PNSt15iterator_traitsISK_E10value_typeET2_T3_PNSL_ISQ_E10value_typeET4_jRbjT5_SW_jjP12ihipStream_tbEUlT_E_NS1_11comp_targetILNS1_3genE5ELNS1_11target_archE942ELNS1_3gpuE9ELNS1_3repE0EEENS1_30default_config_static_selectorELNS0_4arch9wavefront6targetE0EEEvSK_.private_seg_size, 0
	.set _ZN7rocprim17ROCPRIM_400000_NS6detail17trampoline_kernelINS0_14default_configENS1_36segmented_radix_sort_config_selectorIilEEZNS1_25segmented_radix_sort_implIS3_Lb1EPKiPiPKlPlN2at6native12_GLOBAL__N_18offset_tEEE10hipError_tPvRmT1_PNSt15iterator_traitsISK_E10value_typeET2_T3_PNSL_ISQ_E10value_typeET4_jRbjT5_SW_jjP12ihipStream_tbEUlT_E_NS1_11comp_targetILNS1_3genE5ELNS1_11target_archE942ELNS1_3gpuE9ELNS1_3repE0EEENS1_30default_config_static_selectorELNS0_4arch9wavefront6targetE0EEEvSK_.uses_vcc, 0
	.set _ZN7rocprim17ROCPRIM_400000_NS6detail17trampoline_kernelINS0_14default_configENS1_36segmented_radix_sort_config_selectorIilEEZNS1_25segmented_radix_sort_implIS3_Lb1EPKiPiPKlPlN2at6native12_GLOBAL__N_18offset_tEEE10hipError_tPvRmT1_PNSt15iterator_traitsISK_E10value_typeET2_T3_PNSL_ISQ_E10value_typeET4_jRbjT5_SW_jjP12ihipStream_tbEUlT_E_NS1_11comp_targetILNS1_3genE5ELNS1_11target_archE942ELNS1_3gpuE9ELNS1_3repE0EEENS1_30default_config_static_selectorELNS0_4arch9wavefront6targetE0EEEvSK_.uses_flat_scratch, 0
	.set _ZN7rocprim17ROCPRIM_400000_NS6detail17trampoline_kernelINS0_14default_configENS1_36segmented_radix_sort_config_selectorIilEEZNS1_25segmented_radix_sort_implIS3_Lb1EPKiPiPKlPlN2at6native12_GLOBAL__N_18offset_tEEE10hipError_tPvRmT1_PNSt15iterator_traitsISK_E10value_typeET2_T3_PNSL_ISQ_E10value_typeET4_jRbjT5_SW_jjP12ihipStream_tbEUlT_E_NS1_11comp_targetILNS1_3genE5ELNS1_11target_archE942ELNS1_3gpuE9ELNS1_3repE0EEENS1_30default_config_static_selectorELNS0_4arch9wavefront6targetE0EEEvSK_.has_dyn_sized_stack, 0
	.set _ZN7rocprim17ROCPRIM_400000_NS6detail17trampoline_kernelINS0_14default_configENS1_36segmented_radix_sort_config_selectorIilEEZNS1_25segmented_radix_sort_implIS3_Lb1EPKiPiPKlPlN2at6native12_GLOBAL__N_18offset_tEEE10hipError_tPvRmT1_PNSt15iterator_traitsISK_E10value_typeET2_T3_PNSL_ISQ_E10value_typeET4_jRbjT5_SW_jjP12ihipStream_tbEUlT_E_NS1_11comp_targetILNS1_3genE5ELNS1_11target_archE942ELNS1_3gpuE9ELNS1_3repE0EEENS1_30default_config_static_selectorELNS0_4arch9wavefront6targetE0EEEvSK_.has_recursion, 0
	.set _ZN7rocprim17ROCPRIM_400000_NS6detail17trampoline_kernelINS0_14default_configENS1_36segmented_radix_sort_config_selectorIilEEZNS1_25segmented_radix_sort_implIS3_Lb1EPKiPiPKlPlN2at6native12_GLOBAL__N_18offset_tEEE10hipError_tPvRmT1_PNSt15iterator_traitsISK_E10value_typeET2_T3_PNSL_ISQ_E10value_typeET4_jRbjT5_SW_jjP12ihipStream_tbEUlT_E_NS1_11comp_targetILNS1_3genE5ELNS1_11target_archE942ELNS1_3gpuE9ELNS1_3repE0EEENS1_30default_config_static_selectorELNS0_4arch9wavefront6targetE0EEEvSK_.has_indirect_call, 0
	.section	.AMDGPU.csdata,"",@progbits
; Kernel info:
; codeLenInByte = 0
; TotalNumSgprs: 0
; NumVgprs: 0
; ScratchSize: 0
; MemoryBound: 0
; FloatMode: 240
; IeeeMode: 1
; LDSByteSize: 0 bytes/workgroup (compile time only)
; SGPRBlocks: 0
; VGPRBlocks: 0
; NumSGPRsForWavesPerEU: 1
; NumVGPRsForWavesPerEU: 1
; NamedBarCnt: 0
; Occupancy: 16
; WaveLimiterHint : 0
; COMPUTE_PGM_RSRC2:SCRATCH_EN: 0
; COMPUTE_PGM_RSRC2:USER_SGPR: 2
; COMPUTE_PGM_RSRC2:TRAP_HANDLER: 0
; COMPUTE_PGM_RSRC2:TGID_X_EN: 1
; COMPUTE_PGM_RSRC2:TGID_Y_EN: 0
; COMPUTE_PGM_RSRC2:TGID_Z_EN: 0
; COMPUTE_PGM_RSRC2:TIDIG_COMP_CNT: 0
	.section	.text._ZN7rocprim17ROCPRIM_400000_NS6detail17trampoline_kernelINS0_14default_configENS1_36segmented_radix_sort_config_selectorIilEEZNS1_25segmented_radix_sort_implIS3_Lb1EPKiPiPKlPlN2at6native12_GLOBAL__N_18offset_tEEE10hipError_tPvRmT1_PNSt15iterator_traitsISK_E10value_typeET2_T3_PNSL_ISQ_E10value_typeET4_jRbjT5_SW_jjP12ihipStream_tbEUlT_E_NS1_11comp_targetILNS1_3genE4ELNS1_11target_archE910ELNS1_3gpuE8ELNS1_3repE0EEENS1_30default_config_static_selectorELNS0_4arch9wavefront6targetE0EEEvSK_,"axG",@progbits,_ZN7rocprim17ROCPRIM_400000_NS6detail17trampoline_kernelINS0_14default_configENS1_36segmented_radix_sort_config_selectorIilEEZNS1_25segmented_radix_sort_implIS3_Lb1EPKiPiPKlPlN2at6native12_GLOBAL__N_18offset_tEEE10hipError_tPvRmT1_PNSt15iterator_traitsISK_E10value_typeET2_T3_PNSL_ISQ_E10value_typeET4_jRbjT5_SW_jjP12ihipStream_tbEUlT_E_NS1_11comp_targetILNS1_3genE4ELNS1_11target_archE910ELNS1_3gpuE8ELNS1_3repE0EEENS1_30default_config_static_selectorELNS0_4arch9wavefront6targetE0EEEvSK_,comdat
	.globl	_ZN7rocprim17ROCPRIM_400000_NS6detail17trampoline_kernelINS0_14default_configENS1_36segmented_radix_sort_config_selectorIilEEZNS1_25segmented_radix_sort_implIS3_Lb1EPKiPiPKlPlN2at6native12_GLOBAL__N_18offset_tEEE10hipError_tPvRmT1_PNSt15iterator_traitsISK_E10value_typeET2_T3_PNSL_ISQ_E10value_typeET4_jRbjT5_SW_jjP12ihipStream_tbEUlT_E_NS1_11comp_targetILNS1_3genE4ELNS1_11target_archE910ELNS1_3gpuE8ELNS1_3repE0EEENS1_30default_config_static_selectorELNS0_4arch9wavefront6targetE0EEEvSK_ ; -- Begin function _ZN7rocprim17ROCPRIM_400000_NS6detail17trampoline_kernelINS0_14default_configENS1_36segmented_radix_sort_config_selectorIilEEZNS1_25segmented_radix_sort_implIS3_Lb1EPKiPiPKlPlN2at6native12_GLOBAL__N_18offset_tEEE10hipError_tPvRmT1_PNSt15iterator_traitsISK_E10value_typeET2_T3_PNSL_ISQ_E10value_typeET4_jRbjT5_SW_jjP12ihipStream_tbEUlT_E_NS1_11comp_targetILNS1_3genE4ELNS1_11target_archE910ELNS1_3gpuE8ELNS1_3repE0EEENS1_30default_config_static_selectorELNS0_4arch9wavefront6targetE0EEEvSK_
	.p2align	8
	.type	_ZN7rocprim17ROCPRIM_400000_NS6detail17trampoline_kernelINS0_14default_configENS1_36segmented_radix_sort_config_selectorIilEEZNS1_25segmented_radix_sort_implIS3_Lb1EPKiPiPKlPlN2at6native12_GLOBAL__N_18offset_tEEE10hipError_tPvRmT1_PNSt15iterator_traitsISK_E10value_typeET2_T3_PNSL_ISQ_E10value_typeET4_jRbjT5_SW_jjP12ihipStream_tbEUlT_E_NS1_11comp_targetILNS1_3genE4ELNS1_11target_archE910ELNS1_3gpuE8ELNS1_3repE0EEENS1_30default_config_static_selectorELNS0_4arch9wavefront6targetE0EEEvSK_,@function
_ZN7rocprim17ROCPRIM_400000_NS6detail17trampoline_kernelINS0_14default_configENS1_36segmented_radix_sort_config_selectorIilEEZNS1_25segmented_radix_sort_implIS3_Lb1EPKiPiPKlPlN2at6native12_GLOBAL__N_18offset_tEEE10hipError_tPvRmT1_PNSt15iterator_traitsISK_E10value_typeET2_T3_PNSL_ISQ_E10value_typeET4_jRbjT5_SW_jjP12ihipStream_tbEUlT_E_NS1_11comp_targetILNS1_3genE4ELNS1_11target_archE910ELNS1_3gpuE8ELNS1_3repE0EEENS1_30default_config_static_selectorELNS0_4arch9wavefront6targetE0EEEvSK_: ; @_ZN7rocprim17ROCPRIM_400000_NS6detail17trampoline_kernelINS0_14default_configENS1_36segmented_radix_sort_config_selectorIilEEZNS1_25segmented_radix_sort_implIS3_Lb1EPKiPiPKlPlN2at6native12_GLOBAL__N_18offset_tEEE10hipError_tPvRmT1_PNSt15iterator_traitsISK_E10value_typeET2_T3_PNSL_ISQ_E10value_typeET4_jRbjT5_SW_jjP12ihipStream_tbEUlT_E_NS1_11comp_targetILNS1_3genE4ELNS1_11target_archE910ELNS1_3gpuE8ELNS1_3repE0EEENS1_30default_config_static_selectorELNS0_4arch9wavefront6targetE0EEEvSK_
; %bb.0:
	.section	.rodata,"a",@progbits
	.p2align	6, 0x0
	.amdhsa_kernel _ZN7rocprim17ROCPRIM_400000_NS6detail17trampoline_kernelINS0_14default_configENS1_36segmented_radix_sort_config_selectorIilEEZNS1_25segmented_radix_sort_implIS3_Lb1EPKiPiPKlPlN2at6native12_GLOBAL__N_18offset_tEEE10hipError_tPvRmT1_PNSt15iterator_traitsISK_E10value_typeET2_T3_PNSL_ISQ_E10value_typeET4_jRbjT5_SW_jjP12ihipStream_tbEUlT_E_NS1_11comp_targetILNS1_3genE4ELNS1_11target_archE910ELNS1_3gpuE8ELNS1_3repE0EEENS1_30default_config_static_selectorELNS0_4arch9wavefront6targetE0EEEvSK_
		.amdhsa_group_segment_fixed_size 0
		.amdhsa_private_segment_fixed_size 0
		.amdhsa_kernarg_size 96
		.amdhsa_user_sgpr_count 2
		.amdhsa_user_sgpr_dispatch_ptr 0
		.amdhsa_user_sgpr_queue_ptr 0
		.amdhsa_user_sgpr_kernarg_segment_ptr 1
		.amdhsa_user_sgpr_dispatch_id 0
		.amdhsa_user_sgpr_kernarg_preload_length 0
		.amdhsa_user_sgpr_kernarg_preload_offset 0
		.amdhsa_user_sgpr_private_segment_size 0
		.amdhsa_wavefront_size32 1
		.amdhsa_uses_dynamic_stack 0
		.amdhsa_enable_private_segment 0
		.amdhsa_system_sgpr_workgroup_id_x 1
		.amdhsa_system_sgpr_workgroup_id_y 0
		.amdhsa_system_sgpr_workgroup_id_z 0
		.amdhsa_system_sgpr_workgroup_info 0
		.amdhsa_system_vgpr_workitem_id 0
		.amdhsa_next_free_vgpr 1
		.amdhsa_next_free_sgpr 1
		.amdhsa_named_barrier_count 0
		.amdhsa_reserve_vcc 0
		.amdhsa_float_round_mode_32 0
		.amdhsa_float_round_mode_16_64 0
		.amdhsa_float_denorm_mode_32 3
		.amdhsa_float_denorm_mode_16_64 3
		.amdhsa_fp16_overflow 0
		.amdhsa_memory_ordered 1
		.amdhsa_forward_progress 1
		.amdhsa_inst_pref_size 0
		.amdhsa_round_robin_scheduling 0
		.amdhsa_exception_fp_ieee_invalid_op 0
		.amdhsa_exception_fp_denorm_src 0
		.amdhsa_exception_fp_ieee_div_zero 0
		.amdhsa_exception_fp_ieee_overflow 0
		.amdhsa_exception_fp_ieee_underflow 0
		.amdhsa_exception_fp_ieee_inexact 0
		.amdhsa_exception_int_div_zero 0
	.end_amdhsa_kernel
	.section	.text._ZN7rocprim17ROCPRIM_400000_NS6detail17trampoline_kernelINS0_14default_configENS1_36segmented_radix_sort_config_selectorIilEEZNS1_25segmented_radix_sort_implIS3_Lb1EPKiPiPKlPlN2at6native12_GLOBAL__N_18offset_tEEE10hipError_tPvRmT1_PNSt15iterator_traitsISK_E10value_typeET2_T3_PNSL_ISQ_E10value_typeET4_jRbjT5_SW_jjP12ihipStream_tbEUlT_E_NS1_11comp_targetILNS1_3genE4ELNS1_11target_archE910ELNS1_3gpuE8ELNS1_3repE0EEENS1_30default_config_static_selectorELNS0_4arch9wavefront6targetE0EEEvSK_,"axG",@progbits,_ZN7rocprim17ROCPRIM_400000_NS6detail17trampoline_kernelINS0_14default_configENS1_36segmented_radix_sort_config_selectorIilEEZNS1_25segmented_radix_sort_implIS3_Lb1EPKiPiPKlPlN2at6native12_GLOBAL__N_18offset_tEEE10hipError_tPvRmT1_PNSt15iterator_traitsISK_E10value_typeET2_T3_PNSL_ISQ_E10value_typeET4_jRbjT5_SW_jjP12ihipStream_tbEUlT_E_NS1_11comp_targetILNS1_3genE4ELNS1_11target_archE910ELNS1_3gpuE8ELNS1_3repE0EEENS1_30default_config_static_selectorELNS0_4arch9wavefront6targetE0EEEvSK_,comdat
.Lfunc_end496:
	.size	_ZN7rocprim17ROCPRIM_400000_NS6detail17trampoline_kernelINS0_14default_configENS1_36segmented_radix_sort_config_selectorIilEEZNS1_25segmented_radix_sort_implIS3_Lb1EPKiPiPKlPlN2at6native12_GLOBAL__N_18offset_tEEE10hipError_tPvRmT1_PNSt15iterator_traitsISK_E10value_typeET2_T3_PNSL_ISQ_E10value_typeET4_jRbjT5_SW_jjP12ihipStream_tbEUlT_E_NS1_11comp_targetILNS1_3genE4ELNS1_11target_archE910ELNS1_3gpuE8ELNS1_3repE0EEENS1_30default_config_static_selectorELNS0_4arch9wavefront6targetE0EEEvSK_, .Lfunc_end496-_ZN7rocprim17ROCPRIM_400000_NS6detail17trampoline_kernelINS0_14default_configENS1_36segmented_radix_sort_config_selectorIilEEZNS1_25segmented_radix_sort_implIS3_Lb1EPKiPiPKlPlN2at6native12_GLOBAL__N_18offset_tEEE10hipError_tPvRmT1_PNSt15iterator_traitsISK_E10value_typeET2_T3_PNSL_ISQ_E10value_typeET4_jRbjT5_SW_jjP12ihipStream_tbEUlT_E_NS1_11comp_targetILNS1_3genE4ELNS1_11target_archE910ELNS1_3gpuE8ELNS1_3repE0EEENS1_30default_config_static_selectorELNS0_4arch9wavefront6targetE0EEEvSK_
                                        ; -- End function
	.set _ZN7rocprim17ROCPRIM_400000_NS6detail17trampoline_kernelINS0_14default_configENS1_36segmented_radix_sort_config_selectorIilEEZNS1_25segmented_radix_sort_implIS3_Lb1EPKiPiPKlPlN2at6native12_GLOBAL__N_18offset_tEEE10hipError_tPvRmT1_PNSt15iterator_traitsISK_E10value_typeET2_T3_PNSL_ISQ_E10value_typeET4_jRbjT5_SW_jjP12ihipStream_tbEUlT_E_NS1_11comp_targetILNS1_3genE4ELNS1_11target_archE910ELNS1_3gpuE8ELNS1_3repE0EEENS1_30default_config_static_selectorELNS0_4arch9wavefront6targetE0EEEvSK_.num_vgpr, 0
	.set _ZN7rocprim17ROCPRIM_400000_NS6detail17trampoline_kernelINS0_14default_configENS1_36segmented_radix_sort_config_selectorIilEEZNS1_25segmented_radix_sort_implIS3_Lb1EPKiPiPKlPlN2at6native12_GLOBAL__N_18offset_tEEE10hipError_tPvRmT1_PNSt15iterator_traitsISK_E10value_typeET2_T3_PNSL_ISQ_E10value_typeET4_jRbjT5_SW_jjP12ihipStream_tbEUlT_E_NS1_11comp_targetILNS1_3genE4ELNS1_11target_archE910ELNS1_3gpuE8ELNS1_3repE0EEENS1_30default_config_static_selectorELNS0_4arch9wavefront6targetE0EEEvSK_.num_agpr, 0
	.set _ZN7rocprim17ROCPRIM_400000_NS6detail17trampoline_kernelINS0_14default_configENS1_36segmented_radix_sort_config_selectorIilEEZNS1_25segmented_radix_sort_implIS3_Lb1EPKiPiPKlPlN2at6native12_GLOBAL__N_18offset_tEEE10hipError_tPvRmT1_PNSt15iterator_traitsISK_E10value_typeET2_T3_PNSL_ISQ_E10value_typeET4_jRbjT5_SW_jjP12ihipStream_tbEUlT_E_NS1_11comp_targetILNS1_3genE4ELNS1_11target_archE910ELNS1_3gpuE8ELNS1_3repE0EEENS1_30default_config_static_selectorELNS0_4arch9wavefront6targetE0EEEvSK_.numbered_sgpr, 0
	.set _ZN7rocprim17ROCPRIM_400000_NS6detail17trampoline_kernelINS0_14default_configENS1_36segmented_radix_sort_config_selectorIilEEZNS1_25segmented_radix_sort_implIS3_Lb1EPKiPiPKlPlN2at6native12_GLOBAL__N_18offset_tEEE10hipError_tPvRmT1_PNSt15iterator_traitsISK_E10value_typeET2_T3_PNSL_ISQ_E10value_typeET4_jRbjT5_SW_jjP12ihipStream_tbEUlT_E_NS1_11comp_targetILNS1_3genE4ELNS1_11target_archE910ELNS1_3gpuE8ELNS1_3repE0EEENS1_30default_config_static_selectorELNS0_4arch9wavefront6targetE0EEEvSK_.num_named_barrier, 0
	.set _ZN7rocprim17ROCPRIM_400000_NS6detail17trampoline_kernelINS0_14default_configENS1_36segmented_radix_sort_config_selectorIilEEZNS1_25segmented_radix_sort_implIS3_Lb1EPKiPiPKlPlN2at6native12_GLOBAL__N_18offset_tEEE10hipError_tPvRmT1_PNSt15iterator_traitsISK_E10value_typeET2_T3_PNSL_ISQ_E10value_typeET4_jRbjT5_SW_jjP12ihipStream_tbEUlT_E_NS1_11comp_targetILNS1_3genE4ELNS1_11target_archE910ELNS1_3gpuE8ELNS1_3repE0EEENS1_30default_config_static_selectorELNS0_4arch9wavefront6targetE0EEEvSK_.private_seg_size, 0
	.set _ZN7rocprim17ROCPRIM_400000_NS6detail17trampoline_kernelINS0_14default_configENS1_36segmented_radix_sort_config_selectorIilEEZNS1_25segmented_radix_sort_implIS3_Lb1EPKiPiPKlPlN2at6native12_GLOBAL__N_18offset_tEEE10hipError_tPvRmT1_PNSt15iterator_traitsISK_E10value_typeET2_T3_PNSL_ISQ_E10value_typeET4_jRbjT5_SW_jjP12ihipStream_tbEUlT_E_NS1_11comp_targetILNS1_3genE4ELNS1_11target_archE910ELNS1_3gpuE8ELNS1_3repE0EEENS1_30default_config_static_selectorELNS0_4arch9wavefront6targetE0EEEvSK_.uses_vcc, 0
	.set _ZN7rocprim17ROCPRIM_400000_NS6detail17trampoline_kernelINS0_14default_configENS1_36segmented_radix_sort_config_selectorIilEEZNS1_25segmented_radix_sort_implIS3_Lb1EPKiPiPKlPlN2at6native12_GLOBAL__N_18offset_tEEE10hipError_tPvRmT1_PNSt15iterator_traitsISK_E10value_typeET2_T3_PNSL_ISQ_E10value_typeET4_jRbjT5_SW_jjP12ihipStream_tbEUlT_E_NS1_11comp_targetILNS1_3genE4ELNS1_11target_archE910ELNS1_3gpuE8ELNS1_3repE0EEENS1_30default_config_static_selectorELNS0_4arch9wavefront6targetE0EEEvSK_.uses_flat_scratch, 0
	.set _ZN7rocprim17ROCPRIM_400000_NS6detail17trampoline_kernelINS0_14default_configENS1_36segmented_radix_sort_config_selectorIilEEZNS1_25segmented_radix_sort_implIS3_Lb1EPKiPiPKlPlN2at6native12_GLOBAL__N_18offset_tEEE10hipError_tPvRmT1_PNSt15iterator_traitsISK_E10value_typeET2_T3_PNSL_ISQ_E10value_typeET4_jRbjT5_SW_jjP12ihipStream_tbEUlT_E_NS1_11comp_targetILNS1_3genE4ELNS1_11target_archE910ELNS1_3gpuE8ELNS1_3repE0EEENS1_30default_config_static_selectorELNS0_4arch9wavefront6targetE0EEEvSK_.has_dyn_sized_stack, 0
	.set _ZN7rocprim17ROCPRIM_400000_NS6detail17trampoline_kernelINS0_14default_configENS1_36segmented_radix_sort_config_selectorIilEEZNS1_25segmented_radix_sort_implIS3_Lb1EPKiPiPKlPlN2at6native12_GLOBAL__N_18offset_tEEE10hipError_tPvRmT1_PNSt15iterator_traitsISK_E10value_typeET2_T3_PNSL_ISQ_E10value_typeET4_jRbjT5_SW_jjP12ihipStream_tbEUlT_E_NS1_11comp_targetILNS1_3genE4ELNS1_11target_archE910ELNS1_3gpuE8ELNS1_3repE0EEENS1_30default_config_static_selectorELNS0_4arch9wavefront6targetE0EEEvSK_.has_recursion, 0
	.set _ZN7rocprim17ROCPRIM_400000_NS6detail17trampoline_kernelINS0_14default_configENS1_36segmented_radix_sort_config_selectorIilEEZNS1_25segmented_radix_sort_implIS3_Lb1EPKiPiPKlPlN2at6native12_GLOBAL__N_18offset_tEEE10hipError_tPvRmT1_PNSt15iterator_traitsISK_E10value_typeET2_T3_PNSL_ISQ_E10value_typeET4_jRbjT5_SW_jjP12ihipStream_tbEUlT_E_NS1_11comp_targetILNS1_3genE4ELNS1_11target_archE910ELNS1_3gpuE8ELNS1_3repE0EEENS1_30default_config_static_selectorELNS0_4arch9wavefront6targetE0EEEvSK_.has_indirect_call, 0
	.section	.AMDGPU.csdata,"",@progbits
; Kernel info:
; codeLenInByte = 0
; TotalNumSgprs: 0
; NumVgprs: 0
; ScratchSize: 0
; MemoryBound: 0
; FloatMode: 240
; IeeeMode: 1
; LDSByteSize: 0 bytes/workgroup (compile time only)
; SGPRBlocks: 0
; VGPRBlocks: 0
; NumSGPRsForWavesPerEU: 1
; NumVGPRsForWavesPerEU: 1
; NamedBarCnt: 0
; Occupancy: 16
; WaveLimiterHint : 0
; COMPUTE_PGM_RSRC2:SCRATCH_EN: 0
; COMPUTE_PGM_RSRC2:USER_SGPR: 2
; COMPUTE_PGM_RSRC2:TRAP_HANDLER: 0
; COMPUTE_PGM_RSRC2:TGID_X_EN: 1
; COMPUTE_PGM_RSRC2:TGID_Y_EN: 0
; COMPUTE_PGM_RSRC2:TGID_Z_EN: 0
; COMPUTE_PGM_RSRC2:TIDIG_COMP_CNT: 0
	.section	.text._ZN7rocprim17ROCPRIM_400000_NS6detail17trampoline_kernelINS0_14default_configENS1_36segmented_radix_sort_config_selectorIilEEZNS1_25segmented_radix_sort_implIS3_Lb1EPKiPiPKlPlN2at6native12_GLOBAL__N_18offset_tEEE10hipError_tPvRmT1_PNSt15iterator_traitsISK_E10value_typeET2_T3_PNSL_ISQ_E10value_typeET4_jRbjT5_SW_jjP12ihipStream_tbEUlT_E_NS1_11comp_targetILNS1_3genE3ELNS1_11target_archE908ELNS1_3gpuE7ELNS1_3repE0EEENS1_30default_config_static_selectorELNS0_4arch9wavefront6targetE0EEEvSK_,"axG",@progbits,_ZN7rocprim17ROCPRIM_400000_NS6detail17trampoline_kernelINS0_14default_configENS1_36segmented_radix_sort_config_selectorIilEEZNS1_25segmented_radix_sort_implIS3_Lb1EPKiPiPKlPlN2at6native12_GLOBAL__N_18offset_tEEE10hipError_tPvRmT1_PNSt15iterator_traitsISK_E10value_typeET2_T3_PNSL_ISQ_E10value_typeET4_jRbjT5_SW_jjP12ihipStream_tbEUlT_E_NS1_11comp_targetILNS1_3genE3ELNS1_11target_archE908ELNS1_3gpuE7ELNS1_3repE0EEENS1_30default_config_static_selectorELNS0_4arch9wavefront6targetE0EEEvSK_,comdat
	.globl	_ZN7rocprim17ROCPRIM_400000_NS6detail17trampoline_kernelINS0_14default_configENS1_36segmented_radix_sort_config_selectorIilEEZNS1_25segmented_radix_sort_implIS3_Lb1EPKiPiPKlPlN2at6native12_GLOBAL__N_18offset_tEEE10hipError_tPvRmT1_PNSt15iterator_traitsISK_E10value_typeET2_T3_PNSL_ISQ_E10value_typeET4_jRbjT5_SW_jjP12ihipStream_tbEUlT_E_NS1_11comp_targetILNS1_3genE3ELNS1_11target_archE908ELNS1_3gpuE7ELNS1_3repE0EEENS1_30default_config_static_selectorELNS0_4arch9wavefront6targetE0EEEvSK_ ; -- Begin function _ZN7rocprim17ROCPRIM_400000_NS6detail17trampoline_kernelINS0_14default_configENS1_36segmented_radix_sort_config_selectorIilEEZNS1_25segmented_radix_sort_implIS3_Lb1EPKiPiPKlPlN2at6native12_GLOBAL__N_18offset_tEEE10hipError_tPvRmT1_PNSt15iterator_traitsISK_E10value_typeET2_T3_PNSL_ISQ_E10value_typeET4_jRbjT5_SW_jjP12ihipStream_tbEUlT_E_NS1_11comp_targetILNS1_3genE3ELNS1_11target_archE908ELNS1_3gpuE7ELNS1_3repE0EEENS1_30default_config_static_selectorELNS0_4arch9wavefront6targetE0EEEvSK_
	.p2align	8
	.type	_ZN7rocprim17ROCPRIM_400000_NS6detail17trampoline_kernelINS0_14default_configENS1_36segmented_radix_sort_config_selectorIilEEZNS1_25segmented_radix_sort_implIS3_Lb1EPKiPiPKlPlN2at6native12_GLOBAL__N_18offset_tEEE10hipError_tPvRmT1_PNSt15iterator_traitsISK_E10value_typeET2_T3_PNSL_ISQ_E10value_typeET4_jRbjT5_SW_jjP12ihipStream_tbEUlT_E_NS1_11comp_targetILNS1_3genE3ELNS1_11target_archE908ELNS1_3gpuE7ELNS1_3repE0EEENS1_30default_config_static_selectorELNS0_4arch9wavefront6targetE0EEEvSK_,@function
_ZN7rocprim17ROCPRIM_400000_NS6detail17trampoline_kernelINS0_14default_configENS1_36segmented_radix_sort_config_selectorIilEEZNS1_25segmented_radix_sort_implIS3_Lb1EPKiPiPKlPlN2at6native12_GLOBAL__N_18offset_tEEE10hipError_tPvRmT1_PNSt15iterator_traitsISK_E10value_typeET2_T3_PNSL_ISQ_E10value_typeET4_jRbjT5_SW_jjP12ihipStream_tbEUlT_E_NS1_11comp_targetILNS1_3genE3ELNS1_11target_archE908ELNS1_3gpuE7ELNS1_3repE0EEENS1_30default_config_static_selectorELNS0_4arch9wavefront6targetE0EEEvSK_: ; @_ZN7rocprim17ROCPRIM_400000_NS6detail17trampoline_kernelINS0_14default_configENS1_36segmented_radix_sort_config_selectorIilEEZNS1_25segmented_radix_sort_implIS3_Lb1EPKiPiPKlPlN2at6native12_GLOBAL__N_18offset_tEEE10hipError_tPvRmT1_PNSt15iterator_traitsISK_E10value_typeET2_T3_PNSL_ISQ_E10value_typeET4_jRbjT5_SW_jjP12ihipStream_tbEUlT_E_NS1_11comp_targetILNS1_3genE3ELNS1_11target_archE908ELNS1_3gpuE7ELNS1_3repE0EEENS1_30default_config_static_selectorELNS0_4arch9wavefront6targetE0EEEvSK_
; %bb.0:
	.section	.rodata,"a",@progbits
	.p2align	6, 0x0
	.amdhsa_kernel _ZN7rocprim17ROCPRIM_400000_NS6detail17trampoline_kernelINS0_14default_configENS1_36segmented_radix_sort_config_selectorIilEEZNS1_25segmented_radix_sort_implIS3_Lb1EPKiPiPKlPlN2at6native12_GLOBAL__N_18offset_tEEE10hipError_tPvRmT1_PNSt15iterator_traitsISK_E10value_typeET2_T3_PNSL_ISQ_E10value_typeET4_jRbjT5_SW_jjP12ihipStream_tbEUlT_E_NS1_11comp_targetILNS1_3genE3ELNS1_11target_archE908ELNS1_3gpuE7ELNS1_3repE0EEENS1_30default_config_static_selectorELNS0_4arch9wavefront6targetE0EEEvSK_
		.amdhsa_group_segment_fixed_size 0
		.amdhsa_private_segment_fixed_size 0
		.amdhsa_kernarg_size 96
		.amdhsa_user_sgpr_count 2
		.amdhsa_user_sgpr_dispatch_ptr 0
		.amdhsa_user_sgpr_queue_ptr 0
		.amdhsa_user_sgpr_kernarg_segment_ptr 1
		.amdhsa_user_sgpr_dispatch_id 0
		.amdhsa_user_sgpr_kernarg_preload_length 0
		.amdhsa_user_sgpr_kernarg_preload_offset 0
		.amdhsa_user_sgpr_private_segment_size 0
		.amdhsa_wavefront_size32 1
		.amdhsa_uses_dynamic_stack 0
		.amdhsa_enable_private_segment 0
		.amdhsa_system_sgpr_workgroup_id_x 1
		.amdhsa_system_sgpr_workgroup_id_y 0
		.amdhsa_system_sgpr_workgroup_id_z 0
		.amdhsa_system_sgpr_workgroup_info 0
		.amdhsa_system_vgpr_workitem_id 0
		.amdhsa_next_free_vgpr 1
		.amdhsa_next_free_sgpr 1
		.amdhsa_named_barrier_count 0
		.amdhsa_reserve_vcc 0
		.amdhsa_float_round_mode_32 0
		.amdhsa_float_round_mode_16_64 0
		.amdhsa_float_denorm_mode_32 3
		.amdhsa_float_denorm_mode_16_64 3
		.amdhsa_fp16_overflow 0
		.amdhsa_memory_ordered 1
		.amdhsa_forward_progress 1
		.amdhsa_inst_pref_size 0
		.amdhsa_round_robin_scheduling 0
		.amdhsa_exception_fp_ieee_invalid_op 0
		.amdhsa_exception_fp_denorm_src 0
		.amdhsa_exception_fp_ieee_div_zero 0
		.amdhsa_exception_fp_ieee_overflow 0
		.amdhsa_exception_fp_ieee_underflow 0
		.amdhsa_exception_fp_ieee_inexact 0
		.amdhsa_exception_int_div_zero 0
	.end_amdhsa_kernel
	.section	.text._ZN7rocprim17ROCPRIM_400000_NS6detail17trampoline_kernelINS0_14default_configENS1_36segmented_radix_sort_config_selectorIilEEZNS1_25segmented_radix_sort_implIS3_Lb1EPKiPiPKlPlN2at6native12_GLOBAL__N_18offset_tEEE10hipError_tPvRmT1_PNSt15iterator_traitsISK_E10value_typeET2_T3_PNSL_ISQ_E10value_typeET4_jRbjT5_SW_jjP12ihipStream_tbEUlT_E_NS1_11comp_targetILNS1_3genE3ELNS1_11target_archE908ELNS1_3gpuE7ELNS1_3repE0EEENS1_30default_config_static_selectorELNS0_4arch9wavefront6targetE0EEEvSK_,"axG",@progbits,_ZN7rocprim17ROCPRIM_400000_NS6detail17trampoline_kernelINS0_14default_configENS1_36segmented_radix_sort_config_selectorIilEEZNS1_25segmented_radix_sort_implIS3_Lb1EPKiPiPKlPlN2at6native12_GLOBAL__N_18offset_tEEE10hipError_tPvRmT1_PNSt15iterator_traitsISK_E10value_typeET2_T3_PNSL_ISQ_E10value_typeET4_jRbjT5_SW_jjP12ihipStream_tbEUlT_E_NS1_11comp_targetILNS1_3genE3ELNS1_11target_archE908ELNS1_3gpuE7ELNS1_3repE0EEENS1_30default_config_static_selectorELNS0_4arch9wavefront6targetE0EEEvSK_,comdat
.Lfunc_end497:
	.size	_ZN7rocprim17ROCPRIM_400000_NS6detail17trampoline_kernelINS0_14default_configENS1_36segmented_radix_sort_config_selectorIilEEZNS1_25segmented_radix_sort_implIS3_Lb1EPKiPiPKlPlN2at6native12_GLOBAL__N_18offset_tEEE10hipError_tPvRmT1_PNSt15iterator_traitsISK_E10value_typeET2_T3_PNSL_ISQ_E10value_typeET4_jRbjT5_SW_jjP12ihipStream_tbEUlT_E_NS1_11comp_targetILNS1_3genE3ELNS1_11target_archE908ELNS1_3gpuE7ELNS1_3repE0EEENS1_30default_config_static_selectorELNS0_4arch9wavefront6targetE0EEEvSK_, .Lfunc_end497-_ZN7rocprim17ROCPRIM_400000_NS6detail17trampoline_kernelINS0_14default_configENS1_36segmented_radix_sort_config_selectorIilEEZNS1_25segmented_radix_sort_implIS3_Lb1EPKiPiPKlPlN2at6native12_GLOBAL__N_18offset_tEEE10hipError_tPvRmT1_PNSt15iterator_traitsISK_E10value_typeET2_T3_PNSL_ISQ_E10value_typeET4_jRbjT5_SW_jjP12ihipStream_tbEUlT_E_NS1_11comp_targetILNS1_3genE3ELNS1_11target_archE908ELNS1_3gpuE7ELNS1_3repE0EEENS1_30default_config_static_selectorELNS0_4arch9wavefront6targetE0EEEvSK_
                                        ; -- End function
	.set _ZN7rocprim17ROCPRIM_400000_NS6detail17trampoline_kernelINS0_14default_configENS1_36segmented_radix_sort_config_selectorIilEEZNS1_25segmented_radix_sort_implIS3_Lb1EPKiPiPKlPlN2at6native12_GLOBAL__N_18offset_tEEE10hipError_tPvRmT1_PNSt15iterator_traitsISK_E10value_typeET2_T3_PNSL_ISQ_E10value_typeET4_jRbjT5_SW_jjP12ihipStream_tbEUlT_E_NS1_11comp_targetILNS1_3genE3ELNS1_11target_archE908ELNS1_3gpuE7ELNS1_3repE0EEENS1_30default_config_static_selectorELNS0_4arch9wavefront6targetE0EEEvSK_.num_vgpr, 0
	.set _ZN7rocprim17ROCPRIM_400000_NS6detail17trampoline_kernelINS0_14default_configENS1_36segmented_radix_sort_config_selectorIilEEZNS1_25segmented_radix_sort_implIS3_Lb1EPKiPiPKlPlN2at6native12_GLOBAL__N_18offset_tEEE10hipError_tPvRmT1_PNSt15iterator_traitsISK_E10value_typeET2_T3_PNSL_ISQ_E10value_typeET4_jRbjT5_SW_jjP12ihipStream_tbEUlT_E_NS1_11comp_targetILNS1_3genE3ELNS1_11target_archE908ELNS1_3gpuE7ELNS1_3repE0EEENS1_30default_config_static_selectorELNS0_4arch9wavefront6targetE0EEEvSK_.num_agpr, 0
	.set _ZN7rocprim17ROCPRIM_400000_NS6detail17trampoline_kernelINS0_14default_configENS1_36segmented_radix_sort_config_selectorIilEEZNS1_25segmented_radix_sort_implIS3_Lb1EPKiPiPKlPlN2at6native12_GLOBAL__N_18offset_tEEE10hipError_tPvRmT1_PNSt15iterator_traitsISK_E10value_typeET2_T3_PNSL_ISQ_E10value_typeET4_jRbjT5_SW_jjP12ihipStream_tbEUlT_E_NS1_11comp_targetILNS1_3genE3ELNS1_11target_archE908ELNS1_3gpuE7ELNS1_3repE0EEENS1_30default_config_static_selectorELNS0_4arch9wavefront6targetE0EEEvSK_.numbered_sgpr, 0
	.set _ZN7rocprim17ROCPRIM_400000_NS6detail17trampoline_kernelINS0_14default_configENS1_36segmented_radix_sort_config_selectorIilEEZNS1_25segmented_radix_sort_implIS3_Lb1EPKiPiPKlPlN2at6native12_GLOBAL__N_18offset_tEEE10hipError_tPvRmT1_PNSt15iterator_traitsISK_E10value_typeET2_T3_PNSL_ISQ_E10value_typeET4_jRbjT5_SW_jjP12ihipStream_tbEUlT_E_NS1_11comp_targetILNS1_3genE3ELNS1_11target_archE908ELNS1_3gpuE7ELNS1_3repE0EEENS1_30default_config_static_selectorELNS0_4arch9wavefront6targetE0EEEvSK_.num_named_barrier, 0
	.set _ZN7rocprim17ROCPRIM_400000_NS6detail17trampoline_kernelINS0_14default_configENS1_36segmented_radix_sort_config_selectorIilEEZNS1_25segmented_radix_sort_implIS3_Lb1EPKiPiPKlPlN2at6native12_GLOBAL__N_18offset_tEEE10hipError_tPvRmT1_PNSt15iterator_traitsISK_E10value_typeET2_T3_PNSL_ISQ_E10value_typeET4_jRbjT5_SW_jjP12ihipStream_tbEUlT_E_NS1_11comp_targetILNS1_3genE3ELNS1_11target_archE908ELNS1_3gpuE7ELNS1_3repE0EEENS1_30default_config_static_selectorELNS0_4arch9wavefront6targetE0EEEvSK_.private_seg_size, 0
	.set _ZN7rocprim17ROCPRIM_400000_NS6detail17trampoline_kernelINS0_14default_configENS1_36segmented_radix_sort_config_selectorIilEEZNS1_25segmented_radix_sort_implIS3_Lb1EPKiPiPKlPlN2at6native12_GLOBAL__N_18offset_tEEE10hipError_tPvRmT1_PNSt15iterator_traitsISK_E10value_typeET2_T3_PNSL_ISQ_E10value_typeET4_jRbjT5_SW_jjP12ihipStream_tbEUlT_E_NS1_11comp_targetILNS1_3genE3ELNS1_11target_archE908ELNS1_3gpuE7ELNS1_3repE0EEENS1_30default_config_static_selectorELNS0_4arch9wavefront6targetE0EEEvSK_.uses_vcc, 0
	.set _ZN7rocprim17ROCPRIM_400000_NS6detail17trampoline_kernelINS0_14default_configENS1_36segmented_radix_sort_config_selectorIilEEZNS1_25segmented_radix_sort_implIS3_Lb1EPKiPiPKlPlN2at6native12_GLOBAL__N_18offset_tEEE10hipError_tPvRmT1_PNSt15iterator_traitsISK_E10value_typeET2_T3_PNSL_ISQ_E10value_typeET4_jRbjT5_SW_jjP12ihipStream_tbEUlT_E_NS1_11comp_targetILNS1_3genE3ELNS1_11target_archE908ELNS1_3gpuE7ELNS1_3repE0EEENS1_30default_config_static_selectorELNS0_4arch9wavefront6targetE0EEEvSK_.uses_flat_scratch, 0
	.set _ZN7rocprim17ROCPRIM_400000_NS6detail17trampoline_kernelINS0_14default_configENS1_36segmented_radix_sort_config_selectorIilEEZNS1_25segmented_radix_sort_implIS3_Lb1EPKiPiPKlPlN2at6native12_GLOBAL__N_18offset_tEEE10hipError_tPvRmT1_PNSt15iterator_traitsISK_E10value_typeET2_T3_PNSL_ISQ_E10value_typeET4_jRbjT5_SW_jjP12ihipStream_tbEUlT_E_NS1_11comp_targetILNS1_3genE3ELNS1_11target_archE908ELNS1_3gpuE7ELNS1_3repE0EEENS1_30default_config_static_selectorELNS0_4arch9wavefront6targetE0EEEvSK_.has_dyn_sized_stack, 0
	.set _ZN7rocprim17ROCPRIM_400000_NS6detail17trampoline_kernelINS0_14default_configENS1_36segmented_radix_sort_config_selectorIilEEZNS1_25segmented_radix_sort_implIS3_Lb1EPKiPiPKlPlN2at6native12_GLOBAL__N_18offset_tEEE10hipError_tPvRmT1_PNSt15iterator_traitsISK_E10value_typeET2_T3_PNSL_ISQ_E10value_typeET4_jRbjT5_SW_jjP12ihipStream_tbEUlT_E_NS1_11comp_targetILNS1_3genE3ELNS1_11target_archE908ELNS1_3gpuE7ELNS1_3repE0EEENS1_30default_config_static_selectorELNS0_4arch9wavefront6targetE0EEEvSK_.has_recursion, 0
	.set _ZN7rocprim17ROCPRIM_400000_NS6detail17trampoline_kernelINS0_14default_configENS1_36segmented_radix_sort_config_selectorIilEEZNS1_25segmented_radix_sort_implIS3_Lb1EPKiPiPKlPlN2at6native12_GLOBAL__N_18offset_tEEE10hipError_tPvRmT1_PNSt15iterator_traitsISK_E10value_typeET2_T3_PNSL_ISQ_E10value_typeET4_jRbjT5_SW_jjP12ihipStream_tbEUlT_E_NS1_11comp_targetILNS1_3genE3ELNS1_11target_archE908ELNS1_3gpuE7ELNS1_3repE0EEENS1_30default_config_static_selectorELNS0_4arch9wavefront6targetE0EEEvSK_.has_indirect_call, 0
	.section	.AMDGPU.csdata,"",@progbits
; Kernel info:
; codeLenInByte = 0
; TotalNumSgprs: 0
; NumVgprs: 0
; ScratchSize: 0
; MemoryBound: 0
; FloatMode: 240
; IeeeMode: 1
; LDSByteSize: 0 bytes/workgroup (compile time only)
; SGPRBlocks: 0
; VGPRBlocks: 0
; NumSGPRsForWavesPerEU: 1
; NumVGPRsForWavesPerEU: 1
; NamedBarCnt: 0
; Occupancy: 16
; WaveLimiterHint : 0
; COMPUTE_PGM_RSRC2:SCRATCH_EN: 0
; COMPUTE_PGM_RSRC2:USER_SGPR: 2
; COMPUTE_PGM_RSRC2:TRAP_HANDLER: 0
; COMPUTE_PGM_RSRC2:TGID_X_EN: 1
; COMPUTE_PGM_RSRC2:TGID_Y_EN: 0
; COMPUTE_PGM_RSRC2:TGID_Z_EN: 0
; COMPUTE_PGM_RSRC2:TIDIG_COMP_CNT: 0
	.section	.text._ZN7rocprim17ROCPRIM_400000_NS6detail17trampoline_kernelINS0_14default_configENS1_36segmented_radix_sort_config_selectorIilEEZNS1_25segmented_radix_sort_implIS3_Lb1EPKiPiPKlPlN2at6native12_GLOBAL__N_18offset_tEEE10hipError_tPvRmT1_PNSt15iterator_traitsISK_E10value_typeET2_T3_PNSL_ISQ_E10value_typeET4_jRbjT5_SW_jjP12ihipStream_tbEUlT_E_NS1_11comp_targetILNS1_3genE2ELNS1_11target_archE906ELNS1_3gpuE6ELNS1_3repE0EEENS1_30default_config_static_selectorELNS0_4arch9wavefront6targetE0EEEvSK_,"axG",@progbits,_ZN7rocprim17ROCPRIM_400000_NS6detail17trampoline_kernelINS0_14default_configENS1_36segmented_radix_sort_config_selectorIilEEZNS1_25segmented_radix_sort_implIS3_Lb1EPKiPiPKlPlN2at6native12_GLOBAL__N_18offset_tEEE10hipError_tPvRmT1_PNSt15iterator_traitsISK_E10value_typeET2_T3_PNSL_ISQ_E10value_typeET4_jRbjT5_SW_jjP12ihipStream_tbEUlT_E_NS1_11comp_targetILNS1_3genE2ELNS1_11target_archE906ELNS1_3gpuE6ELNS1_3repE0EEENS1_30default_config_static_selectorELNS0_4arch9wavefront6targetE0EEEvSK_,comdat
	.globl	_ZN7rocprim17ROCPRIM_400000_NS6detail17trampoline_kernelINS0_14default_configENS1_36segmented_radix_sort_config_selectorIilEEZNS1_25segmented_radix_sort_implIS3_Lb1EPKiPiPKlPlN2at6native12_GLOBAL__N_18offset_tEEE10hipError_tPvRmT1_PNSt15iterator_traitsISK_E10value_typeET2_T3_PNSL_ISQ_E10value_typeET4_jRbjT5_SW_jjP12ihipStream_tbEUlT_E_NS1_11comp_targetILNS1_3genE2ELNS1_11target_archE906ELNS1_3gpuE6ELNS1_3repE0EEENS1_30default_config_static_selectorELNS0_4arch9wavefront6targetE0EEEvSK_ ; -- Begin function _ZN7rocprim17ROCPRIM_400000_NS6detail17trampoline_kernelINS0_14default_configENS1_36segmented_radix_sort_config_selectorIilEEZNS1_25segmented_radix_sort_implIS3_Lb1EPKiPiPKlPlN2at6native12_GLOBAL__N_18offset_tEEE10hipError_tPvRmT1_PNSt15iterator_traitsISK_E10value_typeET2_T3_PNSL_ISQ_E10value_typeET4_jRbjT5_SW_jjP12ihipStream_tbEUlT_E_NS1_11comp_targetILNS1_3genE2ELNS1_11target_archE906ELNS1_3gpuE6ELNS1_3repE0EEENS1_30default_config_static_selectorELNS0_4arch9wavefront6targetE0EEEvSK_
	.p2align	8
	.type	_ZN7rocprim17ROCPRIM_400000_NS6detail17trampoline_kernelINS0_14default_configENS1_36segmented_radix_sort_config_selectorIilEEZNS1_25segmented_radix_sort_implIS3_Lb1EPKiPiPKlPlN2at6native12_GLOBAL__N_18offset_tEEE10hipError_tPvRmT1_PNSt15iterator_traitsISK_E10value_typeET2_T3_PNSL_ISQ_E10value_typeET4_jRbjT5_SW_jjP12ihipStream_tbEUlT_E_NS1_11comp_targetILNS1_3genE2ELNS1_11target_archE906ELNS1_3gpuE6ELNS1_3repE0EEENS1_30default_config_static_selectorELNS0_4arch9wavefront6targetE0EEEvSK_,@function
_ZN7rocprim17ROCPRIM_400000_NS6detail17trampoline_kernelINS0_14default_configENS1_36segmented_radix_sort_config_selectorIilEEZNS1_25segmented_radix_sort_implIS3_Lb1EPKiPiPKlPlN2at6native12_GLOBAL__N_18offset_tEEE10hipError_tPvRmT1_PNSt15iterator_traitsISK_E10value_typeET2_T3_PNSL_ISQ_E10value_typeET4_jRbjT5_SW_jjP12ihipStream_tbEUlT_E_NS1_11comp_targetILNS1_3genE2ELNS1_11target_archE906ELNS1_3gpuE6ELNS1_3repE0EEENS1_30default_config_static_selectorELNS0_4arch9wavefront6targetE0EEEvSK_: ; @_ZN7rocprim17ROCPRIM_400000_NS6detail17trampoline_kernelINS0_14default_configENS1_36segmented_radix_sort_config_selectorIilEEZNS1_25segmented_radix_sort_implIS3_Lb1EPKiPiPKlPlN2at6native12_GLOBAL__N_18offset_tEEE10hipError_tPvRmT1_PNSt15iterator_traitsISK_E10value_typeET2_T3_PNSL_ISQ_E10value_typeET4_jRbjT5_SW_jjP12ihipStream_tbEUlT_E_NS1_11comp_targetILNS1_3genE2ELNS1_11target_archE906ELNS1_3gpuE6ELNS1_3repE0EEENS1_30default_config_static_selectorELNS0_4arch9wavefront6targetE0EEEvSK_
; %bb.0:
	.section	.rodata,"a",@progbits
	.p2align	6, 0x0
	.amdhsa_kernel _ZN7rocprim17ROCPRIM_400000_NS6detail17trampoline_kernelINS0_14default_configENS1_36segmented_radix_sort_config_selectorIilEEZNS1_25segmented_radix_sort_implIS3_Lb1EPKiPiPKlPlN2at6native12_GLOBAL__N_18offset_tEEE10hipError_tPvRmT1_PNSt15iterator_traitsISK_E10value_typeET2_T3_PNSL_ISQ_E10value_typeET4_jRbjT5_SW_jjP12ihipStream_tbEUlT_E_NS1_11comp_targetILNS1_3genE2ELNS1_11target_archE906ELNS1_3gpuE6ELNS1_3repE0EEENS1_30default_config_static_selectorELNS0_4arch9wavefront6targetE0EEEvSK_
		.amdhsa_group_segment_fixed_size 0
		.amdhsa_private_segment_fixed_size 0
		.amdhsa_kernarg_size 96
		.amdhsa_user_sgpr_count 2
		.amdhsa_user_sgpr_dispatch_ptr 0
		.amdhsa_user_sgpr_queue_ptr 0
		.amdhsa_user_sgpr_kernarg_segment_ptr 1
		.amdhsa_user_sgpr_dispatch_id 0
		.amdhsa_user_sgpr_kernarg_preload_length 0
		.amdhsa_user_sgpr_kernarg_preload_offset 0
		.amdhsa_user_sgpr_private_segment_size 0
		.amdhsa_wavefront_size32 1
		.amdhsa_uses_dynamic_stack 0
		.amdhsa_enable_private_segment 0
		.amdhsa_system_sgpr_workgroup_id_x 1
		.amdhsa_system_sgpr_workgroup_id_y 0
		.amdhsa_system_sgpr_workgroup_id_z 0
		.amdhsa_system_sgpr_workgroup_info 0
		.amdhsa_system_vgpr_workitem_id 0
		.amdhsa_next_free_vgpr 1
		.amdhsa_next_free_sgpr 1
		.amdhsa_named_barrier_count 0
		.amdhsa_reserve_vcc 0
		.amdhsa_float_round_mode_32 0
		.amdhsa_float_round_mode_16_64 0
		.amdhsa_float_denorm_mode_32 3
		.amdhsa_float_denorm_mode_16_64 3
		.amdhsa_fp16_overflow 0
		.amdhsa_memory_ordered 1
		.amdhsa_forward_progress 1
		.amdhsa_inst_pref_size 0
		.amdhsa_round_robin_scheduling 0
		.amdhsa_exception_fp_ieee_invalid_op 0
		.amdhsa_exception_fp_denorm_src 0
		.amdhsa_exception_fp_ieee_div_zero 0
		.amdhsa_exception_fp_ieee_overflow 0
		.amdhsa_exception_fp_ieee_underflow 0
		.amdhsa_exception_fp_ieee_inexact 0
		.amdhsa_exception_int_div_zero 0
	.end_amdhsa_kernel
	.section	.text._ZN7rocprim17ROCPRIM_400000_NS6detail17trampoline_kernelINS0_14default_configENS1_36segmented_radix_sort_config_selectorIilEEZNS1_25segmented_radix_sort_implIS3_Lb1EPKiPiPKlPlN2at6native12_GLOBAL__N_18offset_tEEE10hipError_tPvRmT1_PNSt15iterator_traitsISK_E10value_typeET2_T3_PNSL_ISQ_E10value_typeET4_jRbjT5_SW_jjP12ihipStream_tbEUlT_E_NS1_11comp_targetILNS1_3genE2ELNS1_11target_archE906ELNS1_3gpuE6ELNS1_3repE0EEENS1_30default_config_static_selectorELNS0_4arch9wavefront6targetE0EEEvSK_,"axG",@progbits,_ZN7rocprim17ROCPRIM_400000_NS6detail17trampoline_kernelINS0_14default_configENS1_36segmented_radix_sort_config_selectorIilEEZNS1_25segmented_radix_sort_implIS3_Lb1EPKiPiPKlPlN2at6native12_GLOBAL__N_18offset_tEEE10hipError_tPvRmT1_PNSt15iterator_traitsISK_E10value_typeET2_T3_PNSL_ISQ_E10value_typeET4_jRbjT5_SW_jjP12ihipStream_tbEUlT_E_NS1_11comp_targetILNS1_3genE2ELNS1_11target_archE906ELNS1_3gpuE6ELNS1_3repE0EEENS1_30default_config_static_selectorELNS0_4arch9wavefront6targetE0EEEvSK_,comdat
.Lfunc_end498:
	.size	_ZN7rocprim17ROCPRIM_400000_NS6detail17trampoline_kernelINS0_14default_configENS1_36segmented_radix_sort_config_selectorIilEEZNS1_25segmented_radix_sort_implIS3_Lb1EPKiPiPKlPlN2at6native12_GLOBAL__N_18offset_tEEE10hipError_tPvRmT1_PNSt15iterator_traitsISK_E10value_typeET2_T3_PNSL_ISQ_E10value_typeET4_jRbjT5_SW_jjP12ihipStream_tbEUlT_E_NS1_11comp_targetILNS1_3genE2ELNS1_11target_archE906ELNS1_3gpuE6ELNS1_3repE0EEENS1_30default_config_static_selectorELNS0_4arch9wavefront6targetE0EEEvSK_, .Lfunc_end498-_ZN7rocprim17ROCPRIM_400000_NS6detail17trampoline_kernelINS0_14default_configENS1_36segmented_radix_sort_config_selectorIilEEZNS1_25segmented_radix_sort_implIS3_Lb1EPKiPiPKlPlN2at6native12_GLOBAL__N_18offset_tEEE10hipError_tPvRmT1_PNSt15iterator_traitsISK_E10value_typeET2_T3_PNSL_ISQ_E10value_typeET4_jRbjT5_SW_jjP12ihipStream_tbEUlT_E_NS1_11comp_targetILNS1_3genE2ELNS1_11target_archE906ELNS1_3gpuE6ELNS1_3repE0EEENS1_30default_config_static_selectorELNS0_4arch9wavefront6targetE0EEEvSK_
                                        ; -- End function
	.set _ZN7rocprim17ROCPRIM_400000_NS6detail17trampoline_kernelINS0_14default_configENS1_36segmented_radix_sort_config_selectorIilEEZNS1_25segmented_radix_sort_implIS3_Lb1EPKiPiPKlPlN2at6native12_GLOBAL__N_18offset_tEEE10hipError_tPvRmT1_PNSt15iterator_traitsISK_E10value_typeET2_T3_PNSL_ISQ_E10value_typeET4_jRbjT5_SW_jjP12ihipStream_tbEUlT_E_NS1_11comp_targetILNS1_3genE2ELNS1_11target_archE906ELNS1_3gpuE6ELNS1_3repE0EEENS1_30default_config_static_selectorELNS0_4arch9wavefront6targetE0EEEvSK_.num_vgpr, 0
	.set _ZN7rocprim17ROCPRIM_400000_NS6detail17trampoline_kernelINS0_14default_configENS1_36segmented_radix_sort_config_selectorIilEEZNS1_25segmented_radix_sort_implIS3_Lb1EPKiPiPKlPlN2at6native12_GLOBAL__N_18offset_tEEE10hipError_tPvRmT1_PNSt15iterator_traitsISK_E10value_typeET2_T3_PNSL_ISQ_E10value_typeET4_jRbjT5_SW_jjP12ihipStream_tbEUlT_E_NS1_11comp_targetILNS1_3genE2ELNS1_11target_archE906ELNS1_3gpuE6ELNS1_3repE0EEENS1_30default_config_static_selectorELNS0_4arch9wavefront6targetE0EEEvSK_.num_agpr, 0
	.set _ZN7rocprim17ROCPRIM_400000_NS6detail17trampoline_kernelINS0_14default_configENS1_36segmented_radix_sort_config_selectorIilEEZNS1_25segmented_radix_sort_implIS3_Lb1EPKiPiPKlPlN2at6native12_GLOBAL__N_18offset_tEEE10hipError_tPvRmT1_PNSt15iterator_traitsISK_E10value_typeET2_T3_PNSL_ISQ_E10value_typeET4_jRbjT5_SW_jjP12ihipStream_tbEUlT_E_NS1_11comp_targetILNS1_3genE2ELNS1_11target_archE906ELNS1_3gpuE6ELNS1_3repE0EEENS1_30default_config_static_selectorELNS0_4arch9wavefront6targetE0EEEvSK_.numbered_sgpr, 0
	.set _ZN7rocprim17ROCPRIM_400000_NS6detail17trampoline_kernelINS0_14default_configENS1_36segmented_radix_sort_config_selectorIilEEZNS1_25segmented_radix_sort_implIS3_Lb1EPKiPiPKlPlN2at6native12_GLOBAL__N_18offset_tEEE10hipError_tPvRmT1_PNSt15iterator_traitsISK_E10value_typeET2_T3_PNSL_ISQ_E10value_typeET4_jRbjT5_SW_jjP12ihipStream_tbEUlT_E_NS1_11comp_targetILNS1_3genE2ELNS1_11target_archE906ELNS1_3gpuE6ELNS1_3repE0EEENS1_30default_config_static_selectorELNS0_4arch9wavefront6targetE0EEEvSK_.num_named_barrier, 0
	.set _ZN7rocprim17ROCPRIM_400000_NS6detail17trampoline_kernelINS0_14default_configENS1_36segmented_radix_sort_config_selectorIilEEZNS1_25segmented_radix_sort_implIS3_Lb1EPKiPiPKlPlN2at6native12_GLOBAL__N_18offset_tEEE10hipError_tPvRmT1_PNSt15iterator_traitsISK_E10value_typeET2_T3_PNSL_ISQ_E10value_typeET4_jRbjT5_SW_jjP12ihipStream_tbEUlT_E_NS1_11comp_targetILNS1_3genE2ELNS1_11target_archE906ELNS1_3gpuE6ELNS1_3repE0EEENS1_30default_config_static_selectorELNS0_4arch9wavefront6targetE0EEEvSK_.private_seg_size, 0
	.set _ZN7rocprim17ROCPRIM_400000_NS6detail17trampoline_kernelINS0_14default_configENS1_36segmented_radix_sort_config_selectorIilEEZNS1_25segmented_radix_sort_implIS3_Lb1EPKiPiPKlPlN2at6native12_GLOBAL__N_18offset_tEEE10hipError_tPvRmT1_PNSt15iterator_traitsISK_E10value_typeET2_T3_PNSL_ISQ_E10value_typeET4_jRbjT5_SW_jjP12ihipStream_tbEUlT_E_NS1_11comp_targetILNS1_3genE2ELNS1_11target_archE906ELNS1_3gpuE6ELNS1_3repE0EEENS1_30default_config_static_selectorELNS0_4arch9wavefront6targetE0EEEvSK_.uses_vcc, 0
	.set _ZN7rocprim17ROCPRIM_400000_NS6detail17trampoline_kernelINS0_14default_configENS1_36segmented_radix_sort_config_selectorIilEEZNS1_25segmented_radix_sort_implIS3_Lb1EPKiPiPKlPlN2at6native12_GLOBAL__N_18offset_tEEE10hipError_tPvRmT1_PNSt15iterator_traitsISK_E10value_typeET2_T3_PNSL_ISQ_E10value_typeET4_jRbjT5_SW_jjP12ihipStream_tbEUlT_E_NS1_11comp_targetILNS1_3genE2ELNS1_11target_archE906ELNS1_3gpuE6ELNS1_3repE0EEENS1_30default_config_static_selectorELNS0_4arch9wavefront6targetE0EEEvSK_.uses_flat_scratch, 0
	.set _ZN7rocprim17ROCPRIM_400000_NS6detail17trampoline_kernelINS0_14default_configENS1_36segmented_radix_sort_config_selectorIilEEZNS1_25segmented_radix_sort_implIS3_Lb1EPKiPiPKlPlN2at6native12_GLOBAL__N_18offset_tEEE10hipError_tPvRmT1_PNSt15iterator_traitsISK_E10value_typeET2_T3_PNSL_ISQ_E10value_typeET4_jRbjT5_SW_jjP12ihipStream_tbEUlT_E_NS1_11comp_targetILNS1_3genE2ELNS1_11target_archE906ELNS1_3gpuE6ELNS1_3repE0EEENS1_30default_config_static_selectorELNS0_4arch9wavefront6targetE0EEEvSK_.has_dyn_sized_stack, 0
	.set _ZN7rocprim17ROCPRIM_400000_NS6detail17trampoline_kernelINS0_14default_configENS1_36segmented_radix_sort_config_selectorIilEEZNS1_25segmented_radix_sort_implIS3_Lb1EPKiPiPKlPlN2at6native12_GLOBAL__N_18offset_tEEE10hipError_tPvRmT1_PNSt15iterator_traitsISK_E10value_typeET2_T3_PNSL_ISQ_E10value_typeET4_jRbjT5_SW_jjP12ihipStream_tbEUlT_E_NS1_11comp_targetILNS1_3genE2ELNS1_11target_archE906ELNS1_3gpuE6ELNS1_3repE0EEENS1_30default_config_static_selectorELNS0_4arch9wavefront6targetE0EEEvSK_.has_recursion, 0
	.set _ZN7rocprim17ROCPRIM_400000_NS6detail17trampoline_kernelINS0_14default_configENS1_36segmented_radix_sort_config_selectorIilEEZNS1_25segmented_radix_sort_implIS3_Lb1EPKiPiPKlPlN2at6native12_GLOBAL__N_18offset_tEEE10hipError_tPvRmT1_PNSt15iterator_traitsISK_E10value_typeET2_T3_PNSL_ISQ_E10value_typeET4_jRbjT5_SW_jjP12ihipStream_tbEUlT_E_NS1_11comp_targetILNS1_3genE2ELNS1_11target_archE906ELNS1_3gpuE6ELNS1_3repE0EEENS1_30default_config_static_selectorELNS0_4arch9wavefront6targetE0EEEvSK_.has_indirect_call, 0
	.section	.AMDGPU.csdata,"",@progbits
; Kernel info:
; codeLenInByte = 0
; TotalNumSgprs: 0
; NumVgprs: 0
; ScratchSize: 0
; MemoryBound: 0
; FloatMode: 240
; IeeeMode: 1
; LDSByteSize: 0 bytes/workgroup (compile time only)
; SGPRBlocks: 0
; VGPRBlocks: 0
; NumSGPRsForWavesPerEU: 1
; NumVGPRsForWavesPerEU: 1
; NamedBarCnt: 0
; Occupancy: 16
; WaveLimiterHint : 0
; COMPUTE_PGM_RSRC2:SCRATCH_EN: 0
; COMPUTE_PGM_RSRC2:USER_SGPR: 2
; COMPUTE_PGM_RSRC2:TRAP_HANDLER: 0
; COMPUTE_PGM_RSRC2:TGID_X_EN: 1
; COMPUTE_PGM_RSRC2:TGID_Y_EN: 0
; COMPUTE_PGM_RSRC2:TGID_Z_EN: 0
; COMPUTE_PGM_RSRC2:TIDIG_COMP_CNT: 0
	.section	.text._ZN7rocprim17ROCPRIM_400000_NS6detail17trampoline_kernelINS0_14default_configENS1_36segmented_radix_sort_config_selectorIilEEZNS1_25segmented_radix_sort_implIS3_Lb1EPKiPiPKlPlN2at6native12_GLOBAL__N_18offset_tEEE10hipError_tPvRmT1_PNSt15iterator_traitsISK_E10value_typeET2_T3_PNSL_ISQ_E10value_typeET4_jRbjT5_SW_jjP12ihipStream_tbEUlT_E_NS1_11comp_targetILNS1_3genE10ELNS1_11target_archE1201ELNS1_3gpuE5ELNS1_3repE0EEENS1_30default_config_static_selectorELNS0_4arch9wavefront6targetE0EEEvSK_,"axG",@progbits,_ZN7rocprim17ROCPRIM_400000_NS6detail17trampoline_kernelINS0_14default_configENS1_36segmented_radix_sort_config_selectorIilEEZNS1_25segmented_radix_sort_implIS3_Lb1EPKiPiPKlPlN2at6native12_GLOBAL__N_18offset_tEEE10hipError_tPvRmT1_PNSt15iterator_traitsISK_E10value_typeET2_T3_PNSL_ISQ_E10value_typeET4_jRbjT5_SW_jjP12ihipStream_tbEUlT_E_NS1_11comp_targetILNS1_3genE10ELNS1_11target_archE1201ELNS1_3gpuE5ELNS1_3repE0EEENS1_30default_config_static_selectorELNS0_4arch9wavefront6targetE0EEEvSK_,comdat
	.globl	_ZN7rocprim17ROCPRIM_400000_NS6detail17trampoline_kernelINS0_14default_configENS1_36segmented_radix_sort_config_selectorIilEEZNS1_25segmented_radix_sort_implIS3_Lb1EPKiPiPKlPlN2at6native12_GLOBAL__N_18offset_tEEE10hipError_tPvRmT1_PNSt15iterator_traitsISK_E10value_typeET2_T3_PNSL_ISQ_E10value_typeET4_jRbjT5_SW_jjP12ihipStream_tbEUlT_E_NS1_11comp_targetILNS1_3genE10ELNS1_11target_archE1201ELNS1_3gpuE5ELNS1_3repE0EEENS1_30default_config_static_selectorELNS0_4arch9wavefront6targetE0EEEvSK_ ; -- Begin function _ZN7rocprim17ROCPRIM_400000_NS6detail17trampoline_kernelINS0_14default_configENS1_36segmented_radix_sort_config_selectorIilEEZNS1_25segmented_radix_sort_implIS3_Lb1EPKiPiPKlPlN2at6native12_GLOBAL__N_18offset_tEEE10hipError_tPvRmT1_PNSt15iterator_traitsISK_E10value_typeET2_T3_PNSL_ISQ_E10value_typeET4_jRbjT5_SW_jjP12ihipStream_tbEUlT_E_NS1_11comp_targetILNS1_3genE10ELNS1_11target_archE1201ELNS1_3gpuE5ELNS1_3repE0EEENS1_30default_config_static_selectorELNS0_4arch9wavefront6targetE0EEEvSK_
	.p2align	8
	.type	_ZN7rocprim17ROCPRIM_400000_NS6detail17trampoline_kernelINS0_14default_configENS1_36segmented_radix_sort_config_selectorIilEEZNS1_25segmented_radix_sort_implIS3_Lb1EPKiPiPKlPlN2at6native12_GLOBAL__N_18offset_tEEE10hipError_tPvRmT1_PNSt15iterator_traitsISK_E10value_typeET2_T3_PNSL_ISQ_E10value_typeET4_jRbjT5_SW_jjP12ihipStream_tbEUlT_E_NS1_11comp_targetILNS1_3genE10ELNS1_11target_archE1201ELNS1_3gpuE5ELNS1_3repE0EEENS1_30default_config_static_selectorELNS0_4arch9wavefront6targetE0EEEvSK_,@function
_ZN7rocprim17ROCPRIM_400000_NS6detail17trampoline_kernelINS0_14default_configENS1_36segmented_radix_sort_config_selectorIilEEZNS1_25segmented_radix_sort_implIS3_Lb1EPKiPiPKlPlN2at6native12_GLOBAL__N_18offset_tEEE10hipError_tPvRmT1_PNSt15iterator_traitsISK_E10value_typeET2_T3_PNSL_ISQ_E10value_typeET4_jRbjT5_SW_jjP12ihipStream_tbEUlT_E_NS1_11comp_targetILNS1_3genE10ELNS1_11target_archE1201ELNS1_3gpuE5ELNS1_3repE0EEENS1_30default_config_static_selectorELNS0_4arch9wavefront6targetE0EEEvSK_: ; @_ZN7rocprim17ROCPRIM_400000_NS6detail17trampoline_kernelINS0_14default_configENS1_36segmented_radix_sort_config_selectorIilEEZNS1_25segmented_radix_sort_implIS3_Lb1EPKiPiPKlPlN2at6native12_GLOBAL__N_18offset_tEEE10hipError_tPvRmT1_PNSt15iterator_traitsISK_E10value_typeET2_T3_PNSL_ISQ_E10value_typeET4_jRbjT5_SW_jjP12ihipStream_tbEUlT_E_NS1_11comp_targetILNS1_3genE10ELNS1_11target_archE1201ELNS1_3gpuE5ELNS1_3repE0EEENS1_30default_config_static_selectorELNS0_4arch9wavefront6targetE0EEEvSK_
; %bb.0:
	.section	.rodata,"a",@progbits
	.p2align	6, 0x0
	.amdhsa_kernel _ZN7rocprim17ROCPRIM_400000_NS6detail17trampoline_kernelINS0_14default_configENS1_36segmented_radix_sort_config_selectorIilEEZNS1_25segmented_radix_sort_implIS3_Lb1EPKiPiPKlPlN2at6native12_GLOBAL__N_18offset_tEEE10hipError_tPvRmT1_PNSt15iterator_traitsISK_E10value_typeET2_T3_PNSL_ISQ_E10value_typeET4_jRbjT5_SW_jjP12ihipStream_tbEUlT_E_NS1_11comp_targetILNS1_3genE10ELNS1_11target_archE1201ELNS1_3gpuE5ELNS1_3repE0EEENS1_30default_config_static_selectorELNS0_4arch9wavefront6targetE0EEEvSK_
		.amdhsa_group_segment_fixed_size 0
		.amdhsa_private_segment_fixed_size 0
		.amdhsa_kernarg_size 96
		.amdhsa_user_sgpr_count 2
		.amdhsa_user_sgpr_dispatch_ptr 0
		.amdhsa_user_sgpr_queue_ptr 0
		.amdhsa_user_sgpr_kernarg_segment_ptr 1
		.amdhsa_user_sgpr_dispatch_id 0
		.amdhsa_user_sgpr_kernarg_preload_length 0
		.amdhsa_user_sgpr_kernarg_preload_offset 0
		.amdhsa_user_sgpr_private_segment_size 0
		.amdhsa_wavefront_size32 1
		.amdhsa_uses_dynamic_stack 0
		.amdhsa_enable_private_segment 0
		.amdhsa_system_sgpr_workgroup_id_x 1
		.amdhsa_system_sgpr_workgroup_id_y 0
		.amdhsa_system_sgpr_workgroup_id_z 0
		.amdhsa_system_sgpr_workgroup_info 0
		.amdhsa_system_vgpr_workitem_id 0
		.amdhsa_next_free_vgpr 1
		.amdhsa_next_free_sgpr 1
		.amdhsa_named_barrier_count 0
		.amdhsa_reserve_vcc 0
		.amdhsa_float_round_mode_32 0
		.amdhsa_float_round_mode_16_64 0
		.amdhsa_float_denorm_mode_32 3
		.amdhsa_float_denorm_mode_16_64 3
		.amdhsa_fp16_overflow 0
		.amdhsa_memory_ordered 1
		.amdhsa_forward_progress 1
		.amdhsa_inst_pref_size 0
		.amdhsa_round_robin_scheduling 0
		.amdhsa_exception_fp_ieee_invalid_op 0
		.amdhsa_exception_fp_denorm_src 0
		.amdhsa_exception_fp_ieee_div_zero 0
		.amdhsa_exception_fp_ieee_overflow 0
		.amdhsa_exception_fp_ieee_underflow 0
		.amdhsa_exception_fp_ieee_inexact 0
		.amdhsa_exception_int_div_zero 0
	.end_amdhsa_kernel
	.section	.text._ZN7rocprim17ROCPRIM_400000_NS6detail17trampoline_kernelINS0_14default_configENS1_36segmented_radix_sort_config_selectorIilEEZNS1_25segmented_radix_sort_implIS3_Lb1EPKiPiPKlPlN2at6native12_GLOBAL__N_18offset_tEEE10hipError_tPvRmT1_PNSt15iterator_traitsISK_E10value_typeET2_T3_PNSL_ISQ_E10value_typeET4_jRbjT5_SW_jjP12ihipStream_tbEUlT_E_NS1_11comp_targetILNS1_3genE10ELNS1_11target_archE1201ELNS1_3gpuE5ELNS1_3repE0EEENS1_30default_config_static_selectorELNS0_4arch9wavefront6targetE0EEEvSK_,"axG",@progbits,_ZN7rocprim17ROCPRIM_400000_NS6detail17trampoline_kernelINS0_14default_configENS1_36segmented_radix_sort_config_selectorIilEEZNS1_25segmented_radix_sort_implIS3_Lb1EPKiPiPKlPlN2at6native12_GLOBAL__N_18offset_tEEE10hipError_tPvRmT1_PNSt15iterator_traitsISK_E10value_typeET2_T3_PNSL_ISQ_E10value_typeET4_jRbjT5_SW_jjP12ihipStream_tbEUlT_E_NS1_11comp_targetILNS1_3genE10ELNS1_11target_archE1201ELNS1_3gpuE5ELNS1_3repE0EEENS1_30default_config_static_selectorELNS0_4arch9wavefront6targetE0EEEvSK_,comdat
.Lfunc_end499:
	.size	_ZN7rocprim17ROCPRIM_400000_NS6detail17trampoline_kernelINS0_14default_configENS1_36segmented_radix_sort_config_selectorIilEEZNS1_25segmented_radix_sort_implIS3_Lb1EPKiPiPKlPlN2at6native12_GLOBAL__N_18offset_tEEE10hipError_tPvRmT1_PNSt15iterator_traitsISK_E10value_typeET2_T3_PNSL_ISQ_E10value_typeET4_jRbjT5_SW_jjP12ihipStream_tbEUlT_E_NS1_11comp_targetILNS1_3genE10ELNS1_11target_archE1201ELNS1_3gpuE5ELNS1_3repE0EEENS1_30default_config_static_selectorELNS0_4arch9wavefront6targetE0EEEvSK_, .Lfunc_end499-_ZN7rocprim17ROCPRIM_400000_NS6detail17trampoline_kernelINS0_14default_configENS1_36segmented_radix_sort_config_selectorIilEEZNS1_25segmented_radix_sort_implIS3_Lb1EPKiPiPKlPlN2at6native12_GLOBAL__N_18offset_tEEE10hipError_tPvRmT1_PNSt15iterator_traitsISK_E10value_typeET2_T3_PNSL_ISQ_E10value_typeET4_jRbjT5_SW_jjP12ihipStream_tbEUlT_E_NS1_11comp_targetILNS1_3genE10ELNS1_11target_archE1201ELNS1_3gpuE5ELNS1_3repE0EEENS1_30default_config_static_selectorELNS0_4arch9wavefront6targetE0EEEvSK_
                                        ; -- End function
	.set _ZN7rocprim17ROCPRIM_400000_NS6detail17trampoline_kernelINS0_14default_configENS1_36segmented_radix_sort_config_selectorIilEEZNS1_25segmented_radix_sort_implIS3_Lb1EPKiPiPKlPlN2at6native12_GLOBAL__N_18offset_tEEE10hipError_tPvRmT1_PNSt15iterator_traitsISK_E10value_typeET2_T3_PNSL_ISQ_E10value_typeET4_jRbjT5_SW_jjP12ihipStream_tbEUlT_E_NS1_11comp_targetILNS1_3genE10ELNS1_11target_archE1201ELNS1_3gpuE5ELNS1_3repE0EEENS1_30default_config_static_selectorELNS0_4arch9wavefront6targetE0EEEvSK_.num_vgpr, 0
	.set _ZN7rocprim17ROCPRIM_400000_NS6detail17trampoline_kernelINS0_14default_configENS1_36segmented_radix_sort_config_selectorIilEEZNS1_25segmented_radix_sort_implIS3_Lb1EPKiPiPKlPlN2at6native12_GLOBAL__N_18offset_tEEE10hipError_tPvRmT1_PNSt15iterator_traitsISK_E10value_typeET2_T3_PNSL_ISQ_E10value_typeET4_jRbjT5_SW_jjP12ihipStream_tbEUlT_E_NS1_11comp_targetILNS1_3genE10ELNS1_11target_archE1201ELNS1_3gpuE5ELNS1_3repE0EEENS1_30default_config_static_selectorELNS0_4arch9wavefront6targetE0EEEvSK_.num_agpr, 0
	.set _ZN7rocprim17ROCPRIM_400000_NS6detail17trampoline_kernelINS0_14default_configENS1_36segmented_radix_sort_config_selectorIilEEZNS1_25segmented_radix_sort_implIS3_Lb1EPKiPiPKlPlN2at6native12_GLOBAL__N_18offset_tEEE10hipError_tPvRmT1_PNSt15iterator_traitsISK_E10value_typeET2_T3_PNSL_ISQ_E10value_typeET4_jRbjT5_SW_jjP12ihipStream_tbEUlT_E_NS1_11comp_targetILNS1_3genE10ELNS1_11target_archE1201ELNS1_3gpuE5ELNS1_3repE0EEENS1_30default_config_static_selectorELNS0_4arch9wavefront6targetE0EEEvSK_.numbered_sgpr, 0
	.set _ZN7rocprim17ROCPRIM_400000_NS6detail17trampoline_kernelINS0_14default_configENS1_36segmented_radix_sort_config_selectorIilEEZNS1_25segmented_radix_sort_implIS3_Lb1EPKiPiPKlPlN2at6native12_GLOBAL__N_18offset_tEEE10hipError_tPvRmT1_PNSt15iterator_traitsISK_E10value_typeET2_T3_PNSL_ISQ_E10value_typeET4_jRbjT5_SW_jjP12ihipStream_tbEUlT_E_NS1_11comp_targetILNS1_3genE10ELNS1_11target_archE1201ELNS1_3gpuE5ELNS1_3repE0EEENS1_30default_config_static_selectorELNS0_4arch9wavefront6targetE0EEEvSK_.num_named_barrier, 0
	.set _ZN7rocprim17ROCPRIM_400000_NS6detail17trampoline_kernelINS0_14default_configENS1_36segmented_radix_sort_config_selectorIilEEZNS1_25segmented_radix_sort_implIS3_Lb1EPKiPiPKlPlN2at6native12_GLOBAL__N_18offset_tEEE10hipError_tPvRmT1_PNSt15iterator_traitsISK_E10value_typeET2_T3_PNSL_ISQ_E10value_typeET4_jRbjT5_SW_jjP12ihipStream_tbEUlT_E_NS1_11comp_targetILNS1_3genE10ELNS1_11target_archE1201ELNS1_3gpuE5ELNS1_3repE0EEENS1_30default_config_static_selectorELNS0_4arch9wavefront6targetE0EEEvSK_.private_seg_size, 0
	.set _ZN7rocprim17ROCPRIM_400000_NS6detail17trampoline_kernelINS0_14default_configENS1_36segmented_radix_sort_config_selectorIilEEZNS1_25segmented_radix_sort_implIS3_Lb1EPKiPiPKlPlN2at6native12_GLOBAL__N_18offset_tEEE10hipError_tPvRmT1_PNSt15iterator_traitsISK_E10value_typeET2_T3_PNSL_ISQ_E10value_typeET4_jRbjT5_SW_jjP12ihipStream_tbEUlT_E_NS1_11comp_targetILNS1_3genE10ELNS1_11target_archE1201ELNS1_3gpuE5ELNS1_3repE0EEENS1_30default_config_static_selectorELNS0_4arch9wavefront6targetE0EEEvSK_.uses_vcc, 0
	.set _ZN7rocprim17ROCPRIM_400000_NS6detail17trampoline_kernelINS0_14default_configENS1_36segmented_radix_sort_config_selectorIilEEZNS1_25segmented_radix_sort_implIS3_Lb1EPKiPiPKlPlN2at6native12_GLOBAL__N_18offset_tEEE10hipError_tPvRmT1_PNSt15iterator_traitsISK_E10value_typeET2_T3_PNSL_ISQ_E10value_typeET4_jRbjT5_SW_jjP12ihipStream_tbEUlT_E_NS1_11comp_targetILNS1_3genE10ELNS1_11target_archE1201ELNS1_3gpuE5ELNS1_3repE0EEENS1_30default_config_static_selectorELNS0_4arch9wavefront6targetE0EEEvSK_.uses_flat_scratch, 0
	.set _ZN7rocprim17ROCPRIM_400000_NS6detail17trampoline_kernelINS0_14default_configENS1_36segmented_radix_sort_config_selectorIilEEZNS1_25segmented_radix_sort_implIS3_Lb1EPKiPiPKlPlN2at6native12_GLOBAL__N_18offset_tEEE10hipError_tPvRmT1_PNSt15iterator_traitsISK_E10value_typeET2_T3_PNSL_ISQ_E10value_typeET4_jRbjT5_SW_jjP12ihipStream_tbEUlT_E_NS1_11comp_targetILNS1_3genE10ELNS1_11target_archE1201ELNS1_3gpuE5ELNS1_3repE0EEENS1_30default_config_static_selectorELNS0_4arch9wavefront6targetE0EEEvSK_.has_dyn_sized_stack, 0
	.set _ZN7rocprim17ROCPRIM_400000_NS6detail17trampoline_kernelINS0_14default_configENS1_36segmented_radix_sort_config_selectorIilEEZNS1_25segmented_radix_sort_implIS3_Lb1EPKiPiPKlPlN2at6native12_GLOBAL__N_18offset_tEEE10hipError_tPvRmT1_PNSt15iterator_traitsISK_E10value_typeET2_T3_PNSL_ISQ_E10value_typeET4_jRbjT5_SW_jjP12ihipStream_tbEUlT_E_NS1_11comp_targetILNS1_3genE10ELNS1_11target_archE1201ELNS1_3gpuE5ELNS1_3repE0EEENS1_30default_config_static_selectorELNS0_4arch9wavefront6targetE0EEEvSK_.has_recursion, 0
	.set _ZN7rocprim17ROCPRIM_400000_NS6detail17trampoline_kernelINS0_14default_configENS1_36segmented_radix_sort_config_selectorIilEEZNS1_25segmented_radix_sort_implIS3_Lb1EPKiPiPKlPlN2at6native12_GLOBAL__N_18offset_tEEE10hipError_tPvRmT1_PNSt15iterator_traitsISK_E10value_typeET2_T3_PNSL_ISQ_E10value_typeET4_jRbjT5_SW_jjP12ihipStream_tbEUlT_E_NS1_11comp_targetILNS1_3genE10ELNS1_11target_archE1201ELNS1_3gpuE5ELNS1_3repE0EEENS1_30default_config_static_selectorELNS0_4arch9wavefront6targetE0EEEvSK_.has_indirect_call, 0
	.section	.AMDGPU.csdata,"",@progbits
; Kernel info:
; codeLenInByte = 0
; TotalNumSgprs: 0
; NumVgprs: 0
; ScratchSize: 0
; MemoryBound: 0
; FloatMode: 240
; IeeeMode: 1
; LDSByteSize: 0 bytes/workgroup (compile time only)
; SGPRBlocks: 0
; VGPRBlocks: 0
; NumSGPRsForWavesPerEU: 1
; NumVGPRsForWavesPerEU: 1
; NamedBarCnt: 0
; Occupancy: 16
; WaveLimiterHint : 0
; COMPUTE_PGM_RSRC2:SCRATCH_EN: 0
; COMPUTE_PGM_RSRC2:USER_SGPR: 2
; COMPUTE_PGM_RSRC2:TRAP_HANDLER: 0
; COMPUTE_PGM_RSRC2:TGID_X_EN: 1
; COMPUTE_PGM_RSRC2:TGID_Y_EN: 0
; COMPUTE_PGM_RSRC2:TGID_Z_EN: 0
; COMPUTE_PGM_RSRC2:TIDIG_COMP_CNT: 0
	.section	.text._ZN7rocprim17ROCPRIM_400000_NS6detail17trampoline_kernelINS0_14default_configENS1_36segmented_radix_sort_config_selectorIilEEZNS1_25segmented_radix_sort_implIS3_Lb1EPKiPiPKlPlN2at6native12_GLOBAL__N_18offset_tEEE10hipError_tPvRmT1_PNSt15iterator_traitsISK_E10value_typeET2_T3_PNSL_ISQ_E10value_typeET4_jRbjT5_SW_jjP12ihipStream_tbEUlT_E_NS1_11comp_targetILNS1_3genE10ELNS1_11target_archE1200ELNS1_3gpuE4ELNS1_3repE0EEENS1_30default_config_static_selectorELNS0_4arch9wavefront6targetE0EEEvSK_,"axG",@progbits,_ZN7rocprim17ROCPRIM_400000_NS6detail17trampoline_kernelINS0_14default_configENS1_36segmented_radix_sort_config_selectorIilEEZNS1_25segmented_radix_sort_implIS3_Lb1EPKiPiPKlPlN2at6native12_GLOBAL__N_18offset_tEEE10hipError_tPvRmT1_PNSt15iterator_traitsISK_E10value_typeET2_T3_PNSL_ISQ_E10value_typeET4_jRbjT5_SW_jjP12ihipStream_tbEUlT_E_NS1_11comp_targetILNS1_3genE10ELNS1_11target_archE1200ELNS1_3gpuE4ELNS1_3repE0EEENS1_30default_config_static_selectorELNS0_4arch9wavefront6targetE0EEEvSK_,comdat
	.globl	_ZN7rocprim17ROCPRIM_400000_NS6detail17trampoline_kernelINS0_14default_configENS1_36segmented_radix_sort_config_selectorIilEEZNS1_25segmented_radix_sort_implIS3_Lb1EPKiPiPKlPlN2at6native12_GLOBAL__N_18offset_tEEE10hipError_tPvRmT1_PNSt15iterator_traitsISK_E10value_typeET2_T3_PNSL_ISQ_E10value_typeET4_jRbjT5_SW_jjP12ihipStream_tbEUlT_E_NS1_11comp_targetILNS1_3genE10ELNS1_11target_archE1200ELNS1_3gpuE4ELNS1_3repE0EEENS1_30default_config_static_selectorELNS0_4arch9wavefront6targetE0EEEvSK_ ; -- Begin function _ZN7rocprim17ROCPRIM_400000_NS6detail17trampoline_kernelINS0_14default_configENS1_36segmented_radix_sort_config_selectorIilEEZNS1_25segmented_radix_sort_implIS3_Lb1EPKiPiPKlPlN2at6native12_GLOBAL__N_18offset_tEEE10hipError_tPvRmT1_PNSt15iterator_traitsISK_E10value_typeET2_T3_PNSL_ISQ_E10value_typeET4_jRbjT5_SW_jjP12ihipStream_tbEUlT_E_NS1_11comp_targetILNS1_3genE10ELNS1_11target_archE1200ELNS1_3gpuE4ELNS1_3repE0EEENS1_30default_config_static_selectorELNS0_4arch9wavefront6targetE0EEEvSK_
	.p2align	8
	.type	_ZN7rocprim17ROCPRIM_400000_NS6detail17trampoline_kernelINS0_14default_configENS1_36segmented_radix_sort_config_selectorIilEEZNS1_25segmented_radix_sort_implIS3_Lb1EPKiPiPKlPlN2at6native12_GLOBAL__N_18offset_tEEE10hipError_tPvRmT1_PNSt15iterator_traitsISK_E10value_typeET2_T3_PNSL_ISQ_E10value_typeET4_jRbjT5_SW_jjP12ihipStream_tbEUlT_E_NS1_11comp_targetILNS1_3genE10ELNS1_11target_archE1200ELNS1_3gpuE4ELNS1_3repE0EEENS1_30default_config_static_selectorELNS0_4arch9wavefront6targetE0EEEvSK_,@function
_ZN7rocprim17ROCPRIM_400000_NS6detail17trampoline_kernelINS0_14default_configENS1_36segmented_radix_sort_config_selectorIilEEZNS1_25segmented_radix_sort_implIS3_Lb1EPKiPiPKlPlN2at6native12_GLOBAL__N_18offset_tEEE10hipError_tPvRmT1_PNSt15iterator_traitsISK_E10value_typeET2_T3_PNSL_ISQ_E10value_typeET4_jRbjT5_SW_jjP12ihipStream_tbEUlT_E_NS1_11comp_targetILNS1_3genE10ELNS1_11target_archE1200ELNS1_3gpuE4ELNS1_3repE0EEENS1_30default_config_static_selectorELNS0_4arch9wavefront6targetE0EEEvSK_: ; @_ZN7rocprim17ROCPRIM_400000_NS6detail17trampoline_kernelINS0_14default_configENS1_36segmented_radix_sort_config_selectorIilEEZNS1_25segmented_radix_sort_implIS3_Lb1EPKiPiPKlPlN2at6native12_GLOBAL__N_18offset_tEEE10hipError_tPvRmT1_PNSt15iterator_traitsISK_E10value_typeET2_T3_PNSL_ISQ_E10value_typeET4_jRbjT5_SW_jjP12ihipStream_tbEUlT_E_NS1_11comp_targetILNS1_3genE10ELNS1_11target_archE1200ELNS1_3gpuE4ELNS1_3repE0EEENS1_30default_config_static_selectorELNS0_4arch9wavefront6targetE0EEEvSK_
; %bb.0:
	.section	.rodata,"a",@progbits
	.p2align	6, 0x0
	.amdhsa_kernel _ZN7rocprim17ROCPRIM_400000_NS6detail17trampoline_kernelINS0_14default_configENS1_36segmented_radix_sort_config_selectorIilEEZNS1_25segmented_radix_sort_implIS3_Lb1EPKiPiPKlPlN2at6native12_GLOBAL__N_18offset_tEEE10hipError_tPvRmT1_PNSt15iterator_traitsISK_E10value_typeET2_T3_PNSL_ISQ_E10value_typeET4_jRbjT5_SW_jjP12ihipStream_tbEUlT_E_NS1_11comp_targetILNS1_3genE10ELNS1_11target_archE1200ELNS1_3gpuE4ELNS1_3repE0EEENS1_30default_config_static_selectorELNS0_4arch9wavefront6targetE0EEEvSK_
		.amdhsa_group_segment_fixed_size 0
		.amdhsa_private_segment_fixed_size 0
		.amdhsa_kernarg_size 96
		.amdhsa_user_sgpr_count 2
		.amdhsa_user_sgpr_dispatch_ptr 0
		.amdhsa_user_sgpr_queue_ptr 0
		.amdhsa_user_sgpr_kernarg_segment_ptr 1
		.amdhsa_user_sgpr_dispatch_id 0
		.amdhsa_user_sgpr_kernarg_preload_length 0
		.amdhsa_user_sgpr_kernarg_preload_offset 0
		.amdhsa_user_sgpr_private_segment_size 0
		.amdhsa_wavefront_size32 1
		.amdhsa_uses_dynamic_stack 0
		.amdhsa_enable_private_segment 0
		.amdhsa_system_sgpr_workgroup_id_x 1
		.amdhsa_system_sgpr_workgroup_id_y 0
		.amdhsa_system_sgpr_workgroup_id_z 0
		.amdhsa_system_sgpr_workgroup_info 0
		.amdhsa_system_vgpr_workitem_id 0
		.amdhsa_next_free_vgpr 1
		.amdhsa_next_free_sgpr 1
		.amdhsa_named_barrier_count 0
		.amdhsa_reserve_vcc 0
		.amdhsa_float_round_mode_32 0
		.amdhsa_float_round_mode_16_64 0
		.amdhsa_float_denorm_mode_32 3
		.amdhsa_float_denorm_mode_16_64 3
		.amdhsa_fp16_overflow 0
		.amdhsa_memory_ordered 1
		.amdhsa_forward_progress 1
		.amdhsa_inst_pref_size 0
		.amdhsa_round_robin_scheduling 0
		.amdhsa_exception_fp_ieee_invalid_op 0
		.amdhsa_exception_fp_denorm_src 0
		.amdhsa_exception_fp_ieee_div_zero 0
		.amdhsa_exception_fp_ieee_overflow 0
		.amdhsa_exception_fp_ieee_underflow 0
		.amdhsa_exception_fp_ieee_inexact 0
		.amdhsa_exception_int_div_zero 0
	.end_amdhsa_kernel
	.section	.text._ZN7rocprim17ROCPRIM_400000_NS6detail17trampoline_kernelINS0_14default_configENS1_36segmented_radix_sort_config_selectorIilEEZNS1_25segmented_radix_sort_implIS3_Lb1EPKiPiPKlPlN2at6native12_GLOBAL__N_18offset_tEEE10hipError_tPvRmT1_PNSt15iterator_traitsISK_E10value_typeET2_T3_PNSL_ISQ_E10value_typeET4_jRbjT5_SW_jjP12ihipStream_tbEUlT_E_NS1_11comp_targetILNS1_3genE10ELNS1_11target_archE1200ELNS1_3gpuE4ELNS1_3repE0EEENS1_30default_config_static_selectorELNS0_4arch9wavefront6targetE0EEEvSK_,"axG",@progbits,_ZN7rocprim17ROCPRIM_400000_NS6detail17trampoline_kernelINS0_14default_configENS1_36segmented_radix_sort_config_selectorIilEEZNS1_25segmented_radix_sort_implIS3_Lb1EPKiPiPKlPlN2at6native12_GLOBAL__N_18offset_tEEE10hipError_tPvRmT1_PNSt15iterator_traitsISK_E10value_typeET2_T3_PNSL_ISQ_E10value_typeET4_jRbjT5_SW_jjP12ihipStream_tbEUlT_E_NS1_11comp_targetILNS1_3genE10ELNS1_11target_archE1200ELNS1_3gpuE4ELNS1_3repE0EEENS1_30default_config_static_selectorELNS0_4arch9wavefront6targetE0EEEvSK_,comdat
.Lfunc_end500:
	.size	_ZN7rocprim17ROCPRIM_400000_NS6detail17trampoline_kernelINS0_14default_configENS1_36segmented_radix_sort_config_selectorIilEEZNS1_25segmented_radix_sort_implIS3_Lb1EPKiPiPKlPlN2at6native12_GLOBAL__N_18offset_tEEE10hipError_tPvRmT1_PNSt15iterator_traitsISK_E10value_typeET2_T3_PNSL_ISQ_E10value_typeET4_jRbjT5_SW_jjP12ihipStream_tbEUlT_E_NS1_11comp_targetILNS1_3genE10ELNS1_11target_archE1200ELNS1_3gpuE4ELNS1_3repE0EEENS1_30default_config_static_selectorELNS0_4arch9wavefront6targetE0EEEvSK_, .Lfunc_end500-_ZN7rocprim17ROCPRIM_400000_NS6detail17trampoline_kernelINS0_14default_configENS1_36segmented_radix_sort_config_selectorIilEEZNS1_25segmented_radix_sort_implIS3_Lb1EPKiPiPKlPlN2at6native12_GLOBAL__N_18offset_tEEE10hipError_tPvRmT1_PNSt15iterator_traitsISK_E10value_typeET2_T3_PNSL_ISQ_E10value_typeET4_jRbjT5_SW_jjP12ihipStream_tbEUlT_E_NS1_11comp_targetILNS1_3genE10ELNS1_11target_archE1200ELNS1_3gpuE4ELNS1_3repE0EEENS1_30default_config_static_selectorELNS0_4arch9wavefront6targetE0EEEvSK_
                                        ; -- End function
	.set _ZN7rocprim17ROCPRIM_400000_NS6detail17trampoline_kernelINS0_14default_configENS1_36segmented_radix_sort_config_selectorIilEEZNS1_25segmented_radix_sort_implIS3_Lb1EPKiPiPKlPlN2at6native12_GLOBAL__N_18offset_tEEE10hipError_tPvRmT1_PNSt15iterator_traitsISK_E10value_typeET2_T3_PNSL_ISQ_E10value_typeET4_jRbjT5_SW_jjP12ihipStream_tbEUlT_E_NS1_11comp_targetILNS1_3genE10ELNS1_11target_archE1200ELNS1_3gpuE4ELNS1_3repE0EEENS1_30default_config_static_selectorELNS0_4arch9wavefront6targetE0EEEvSK_.num_vgpr, 0
	.set _ZN7rocprim17ROCPRIM_400000_NS6detail17trampoline_kernelINS0_14default_configENS1_36segmented_radix_sort_config_selectorIilEEZNS1_25segmented_radix_sort_implIS3_Lb1EPKiPiPKlPlN2at6native12_GLOBAL__N_18offset_tEEE10hipError_tPvRmT1_PNSt15iterator_traitsISK_E10value_typeET2_T3_PNSL_ISQ_E10value_typeET4_jRbjT5_SW_jjP12ihipStream_tbEUlT_E_NS1_11comp_targetILNS1_3genE10ELNS1_11target_archE1200ELNS1_3gpuE4ELNS1_3repE0EEENS1_30default_config_static_selectorELNS0_4arch9wavefront6targetE0EEEvSK_.num_agpr, 0
	.set _ZN7rocprim17ROCPRIM_400000_NS6detail17trampoline_kernelINS0_14default_configENS1_36segmented_radix_sort_config_selectorIilEEZNS1_25segmented_radix_sort_implIS3_Lb1EPKiPiPKlPlN2at6native12_GLOBAL__N_18offset_tEEE10hipError_tPvRmT1_PNSt15iterator_traitsISK_E10value_typeET2_T3_PNSL_ISQ_E10value_typeET4_jRbjT5_SW_jjP12ihipStream_tbEUlT_E_NS1_11comp_targetILNS1_3genE10ELNS1_11target_archE1200ELNS1_3gpuE4ELNS1_3repE0EEENS1_30default_config_static_selectorELNS0_4arch9wavefront6targetE0EEEvSK_.numbered_sgpr, 0
	.set _ZN7rocprim17ROCPRIM_400000_NS6detail17trampoline_kernelINS0_14default_configENS1_36segmented_radix_sort_config_selectorIilEEZNS1_25segmented_radix_sort_implIS3_Lb1EPKiPiPKlPlN2at6native12_GLOBAL__N_18offset_tEEE10hipError_tPvRmT1_PNSt15iterator_traitsISK_E10value_typeET2_T3_PNSL_ISQ_E10value_typeET4_jRbjT5_SW_jjP12ihipStream_tbEUlT_E_NS1_11comp_targetILNS1_3genE10ELNS1_11target_archE1200ELNS1_3gpuE4ELNS1_3repE0EEENS1_30default_config_static_selectorELNS0_4arch9wavefront6targetE0EEEvSK_.num_named_barrier, 0
	.set _ZN7rocprim17ROCPRIM_400000_NS6detail17trampoline_kernelINS0_14default_configENS1_36segmented_radix_sort_config_selectorIilEEZNS1_25segmented_radix_sort_implIS3_Lb1EPKiPiPKlPlN2at6native12_GLOBAL__N_18offset_tEEE10hipError_tPvRmT1_PNSt15iterator_traitsISK_E10value_typeET2_T3_PNSL_ISQ_E10value_typeET4_jRbjT5_SW_jjP12ihipStream_tbEUlT_E_NS1_11comp_targetILNS1_3genE10ELNS1_11target_archE1200ELNS1_3gpuE4ELNS1_3repE0EEENS1_30default_config_static_selectorELNS0_4arch9wavefront6targetE0EEEvSK_.private_seg_size, 0
	.set _ZN7rocprim17ROCPRIM_400000_NS6detail17trampoline_kernelINS0_14default_configENS1_36segmented_radix_sort_config_selectorIilEEZNS1_25segmented_radix_sort_implIS3_Lb1EPKiPiPKlPlN2at6native12_GLOBAL__N_18offset_tEEE10hipError_tPvRmT1_PNSt15iterator_traitsISK_E10value_typeET2_T3_PNSL_ISQ_E10value_typeET4_jRbjT5_SW_jjP12ihipStream_tbEUlT_E_NS1_11comp_targetILNS1_3genE10ELNS1_11target_archE1200ELNS1_3gpuE4ELNS1_3repE0EEENS1_30default_config_static_selectorELNS0_4arch9wavefront6targetE0EEEvSK_.uses_vcc, 0
	.set _ZN7rocprim17ROCPRIM_400000_NS6detail17trampoline_kernelINS0_14default_configENS1_36segmented_radix_sort_config_selectorIilEEZNS1_25segmented_radix_sort_implIS3_Lb1EPKiPiPKlPlN2at6native12_GLOBAL__N_18offset_tEEE10hipError_tPvRmT1_PNSt15iterator_traitsISK_E10value_typeET2_T3_PNSL_ISQ_E10value_typeET4_jRbjT5_SW_jjP12ihipStream_tbEUlT_E_NS1_11comp_targetILNS1_3genE10ELNS1_11target_archE1200ELNS1_3gpuE4ELNS1_3repE0EEENS1_30default_config_static_selectorELNS0_4arch9wavefront6targetE0EEEvSK_.uses_flat_scratch, 0
	.set _ZN7rocprim17ROCPRIM_400000_NS6detail17trampoline_kernelINS0_14default_configENS1_36segmented_radix_sort_config_selectorIilEEZNS1_25segmented_radix_sort_implIS3_Lb1EPKiPiPKlPlN2at6native12_GLOBAL__N_18offset_tEEE10hipError_tPvRmT1_PNSt15iterator_traitsISK_E10value_typeET2_T3_PNSL_ISQ_E10value_typeET4_jRbjT5_SW_jjP12ihipStream_tbEUlT_E_NS1_11comp_targetILNS1_3genE10ELNS1_11target_archE1200ELNS1_3gpuE4ELNS1_3repE0EEENS1_30default_config_static_selectorELNS0_4arch9wavefront6targetE0EEEvSK_.has_dyn_sized_stack, 0
	.set _ZN7rocprim17ROCPRIM_400000_NS6detail17trampoline_kernelINS0_14default_configENS1_36segmented_radix_sort_config_selectorIilEEZNS1_25segmented_radix_sort_implIS3_Lb1EPKiPiPKlPlN2at6native12_GLOBAL__N_18offset_tEEE10hipError_tPvRmT1_PNSt15iterator_traitsISK_E10value_typeET2_T3_PNSL_ISQ_E10value_typeET4_jRbjT5_SW_jjP12ihipStream_tbEUlT_E_NS1_11comp_targetILNS1_3genE10ELNS1_11target_archE1200ELNS1_3gpuE4ELNS1_3repE0EEENS1_30default_config_static_selectorELNS0_4arch9wavefront6targetE0EEEvSK_.has_recursion, 0
	.set _ZN7rocprim17ROCPRIM_400000_NS6detail17trampoline_kernelINS0_14default_configENS1_36segmented_radix_sort_config_selectorIilEEZNS1_25segmented_radix_sort_implIS3_Lb1EPKiPiPKlPlN2at6native12_GLOBAL__N_18offset_tEEE10hipError_tPvRmT1_PNSt15iterator_traitsISK_E10value_typeET2_T3_PNSL_ISQ_E10value_typeET4_jRbjT5_SW_jjP12ihipStream_tbEUlT_E_NS1_11comp_targetILNS1_3genE10ELNS1_11target_archE1200ELNS1_3gpuE4ELNS1_3repE0EEENS1_30default_config_static_selectorELNS0_4arch9wavefront6targetE0EEEvSK_.has_indirect_call, 0
	.section	.AMDGPU.csdata,"",@progbits
; Kernel info:
; codeLenInByte = 0
; TotalNumSgprs: 0
; NumVgprs: 0
; ScratchSize: 0
; MemoryBound: 0
; FloatMode: 240
; IeeeMode: 1
; LDSByteSize: 0 bytes/workgroup (compile time only)
; SGPRBlocks: 0
; VGPRBlocks: 0
; NumSGPRsForWavesPerEU: 1
; NumVGPRsForWavesPerEU: 1
; NamedBarCnt: 0
; Occupancy: 16
; WaveLimiterHint : 0
; COMPUTE_PGM_RSRC2:SCRATCH_EN: 0
; COMPUTE_PGM_RSRC2:USER_SGPR: 2
; COMPUTE_PGM_RSRC2:TRAP_HANDLER: 0
; COMPUTE_PGM_RSRC2:TGID_X_EN: 1
; COMPUTE_PGM_RSRC2:TGID_Y_EN: 0
; COMPUTE_PGM_RSRC2:TGID_Z_EN: 0
; COMPUTE_PGM_RSRC2:TIDIG_COMP_CNT: 0
	.section	.text._ZN7rocprim17ROCPRIM_400000_NS6detail17trampoline_kernelINS0_14default_configENS1_36segmented_radix_sort_config_selectorIilEEZNS1_25segmented_radix_sort_implIS3_Lb1EPKiPiPKlPlN2at6native12_GLOBAL__N_18offset_tEEE10hipError_tPvRmT1_PNSt15iterator_traitsISK_E10value_typeET2_T3_PNSL_ISQ_E10value_typeET4_jRbjT5_SW_jjP12ihipStream_tbEUlT_E_NS1_11comp_targetILNS1_3genE9ELNS1_11target_archE1100ELNS1_3gpuE3ELNS1_3repE0EEENS1_30default_config_static_selectorELNS0_4arch9wavefront6targetE0EEEvSK_,"axG",@progbits,_ZN7rocprim17ROCPRIM_400000_NS6detail17trampoline_kernelINS0_14default_configENS1_36segmented_radix_sort_config_selectorIilEEZNS1_25segmented_radix_sort_implIS3_Lb1EPKiPiPKlPlN2at6native12_GLOBAL__N_18offset_tEEE10hipError_tPvRmT1_PNSt15iterator_traitsISK_E10value_typeET2_T3_PNSL_ISQ_E10value_typeET4_jRbjT5_SW_jjP12ihipStream_tbEUlT_E_NS1_11comp_targetILNS1_3genE9ELNS1_11target_archE1100ELNS1_3gpuE3ELNS1_3repE0EEENS1_30default_config_static_selectorELNS0_4arch9wavefront6targetE0EEEvSK_,comdat
	.globl	_ZN7rocprim17ROCPRIM_400000_NS6detail17trampoline_kernelINS0_14default_configENS1_36segmented_radix_sort_config_selectorIilEEZNS1_25segmented_radix_sort_implIS3_Lb1EPKiPiPKlPlN2at6native12_GLOBAL__N_18offset_tEEE10hipError_tPvRmT1_PNSt15iterator_traitsISK_E10value_typeET2_T3_PNSL_ISQ_E10value_typeET4_jRbjT5_SW_jjP12ihipStream_tbEUlT_E_NS1_11comp_targetILNS1_3genE9ELNS1_11target_archE1100ELNS1_3gpuE3ELNS1_3repE0EEENS1_30default_config_static_selectorELNS0_4arch9wavefront6targetE0EEEvSK_ ; -- Begin function _ZN7rocprim17ROCPRIM_400000_NS6detail17trampoline_kernelINS0_14default_configENS1_36segmented_radix_sort_config_selectorIilEEZNS1_25segmented_radix_sort_implIS3_Lb1EPKiPiPKlPlN2at6native12_GLOBAL__N_18offset_tEEE10hipError_tPvRmT1_PNSt15iterator_traitsISK_E10value_typeET2_T3_PNSL_ISQ_E10value_typeET4_jRbjT5_SW_jjP12ihipStream_tbEUlT_E_NS1_11comp_targetILNS1_3genE9ELNS1_11target_archE1100ELNS1_3gpuE3ELNS1_3repE0EEENS1_30default_config_static_selectorELNS0_4arch9wavefront6targetE0EEEvSK_
	.p2align	8
	.type	_ZN7rocprim17ROCPRIM_400000_NS6detail17trampoline_kernelINS0_14default_configENS1_36segmented_radix_sort_config_selectorIilEEZNS1_25segmented_radix_sort_implIS3_Lb1EPKiPiPKlPlN2at6native12_GLOBAL__N_18offset_tEEE10hipError_tPvRmT1_PNSt15iterator_traitsISK_E10value_typeET2_T3_PNSL_ISQ_E10value_typeET4_jRbjT5_SW_jjP12ihipStream_tbEUlT_E_NS1_11comp_targetILNS1_3genE9ELNS1_11target_archE1100ELNS1_3gpuE3ELNS1_3repE0EEENS1_30default_config_static_selectorELNS0_4arch9wavefront6targetE0EEEvSK_,@function
_ZN7rocprim17ROCPRIM_400000_NS6detail17trampoline_kernelINS0_14default_configENS1_36segmented_radix_sort_config_selectorIilEEZNS1_25segmented_radix_sort_implIS3_Lb1EPKiPiPKlPlN2at6native12_GLOBAL__N_18offset_tEEE10hipError_tPvRmT1_PNSt15iterator_traitsISK_E10value_typeET2_T3_PNSL_ISQ_E10value_typeET4_jRbjT5_SW_jjP12ihipStream_tbEUlT_E_NS1_11comp_targetILNS1_3genE9ELNS1_11target_archE1100ELNS1_3gpuE3ELNS1_3repE0EEENS1_30default_config_static_selectorELNS0_4arch9wavefront6targetE0EEEvSK_: ; @_ZN7rocprim17ROCPRIM_400000_NS6detail17trampoline_kernelINS0_14default_configENS1_36segmented_radix_sort_config_selectorIilEEZNS1_25segmented_radix_sort_implIS3_Lb1EPKiPiPKlPlN2at6native12_GLOBAL__N_18offset_tEEE10hipError_tPvRmT1_PNSt15iterator_traitsISK_E10value_typeET2_T3_PNSL_ISQ_E10value_typeET4_jRbjT5_SW_jjP12ihipStream_tbEUlT_E_NS1_11comp_targetILNS1_3genE9ELNS1_11target_archE1100ELNS1_3gpuE3ELNS1_3repE0EEENS1_30default_config_static_selectorELNS0_4arch9wavefront6targetE0EEEvSK_
; %bb.0:
	.section	.rodata,"a",@progbits
	.p2align	6, 0x0
	.amdhsa_kernel _ZN7rocprim17ROCPRIM_400000_NS6detail17trampoline_kernelINS0_14default_configENS1_36segmented_radix_sort_config_selectorIilEEZNS1_25segmented_radix_sort_implIS3_Lb1EPKiPiPKlPlN2at6native12_GLOBAL__N_18offset_tEEE10hipError_tPvRmT1_PNSt15iterator_traitsISK_E10value_typeET2_T3_PNSL_ISQ_E10value_typeET4_jRbjT5_SW_jjP12ihipStream_tbEUlT_E_NS1_11comp_targetILNS1_3genE9ELNS1_11target_archE1100ELNS1_3gpuE3ELNS1_3repE0EEENS1_30default_config_static_selectorELNS0_4arch9wavefront6targetE0EEEvSK_
		.amdhsa_group_segment_fixed_size 0
		.amdhsa_private_segment_fixed_size 0
		.amdhsa_kernarg_size 96
		.amdhsa_user_sgpr_count 2
		.amdhsa_user_sgpr_dispatch_ptr 0
		.amdhsa_user_sgpr_queue_ptr 0
		.amdhsa_user_sgpr_kernarg_segment_ptr 1
		.amdhsa_user_sgpr_dispatch_id 0
		.amdhsa_user_sgpr_kernarg_preload_length 0
		.amdhsa_user_sgpr_kernarg_preload_offset 0
		.amdhsa_user_sgpr_private_segment_size 0
		.amdhsa_wavefront_size32 1
		.amdhsa_uses_dynamic_stack 0
		.amdhsa_enable_private_segment 0
		.amdhsa_system_sgpr_workgroup_id_x 1
		.amdhsa_system_sgpr_workgroup_id_y 0
		.amdhsa_system_sgpr_workgroup_id_z 0
		.amdhsa_system_sgpr_workgroup_info 0
		.amdhsa_system_vgpr_workitem_id 0
		.amdhsa_next_free_vgpr 1
		.amdhsa_next_free_sgpr 1
		.amdhsa_named_barrier_count 0
		.amdhsa_reserve_vcc 0
		.amdhsa_float_round_mode_32 0
		.amdhsa_float_round_mode_16_64 0
		.amdhsa_float_denorm_mode_32 3
		.amdhsa_float_denorm_mode_16_64 3
		.amdhsa_fp16_overflow 0
		.amdhsa_memory_ordered 1
		.amdhsa_forward_progress 1
		.amdhsa_inst_pref_size 0
		.amdhsa_round_robin_scheduling 0
		.amdhsa_exception_fp_ieee_invalid_op 0
		.amdhsa_exception_fp_denorm_src 0
		.amdhsa_exception_fp_ieee_div_zero 0
		.amdhsa_exception_fp_ieee_overflow 0
		.amdhsa_exception_fp_ieee_underflow 0
		.amdhsa_exception_fp_ieee_inexact 0
		.amdhsa_exception_int_div_zero 0
	.end_amdhsa_kernel
	.section	.text._ZN7rocprim17ROCPRIM_400000_NS6detail17trampoline_kernelINS0_14default_configENS1_36segmented_radix_sort_config_selectorIilEEZNS1_25segmented_radix_sort_implIS3_Lb1EPKiPiPKlPlN2at6native12_GLOBAL__N_18offset_tEEE10hipError_tPvRmT1_PNSt15iterator_traitsISK_E10value_typeET2_T3_PNSL_ISQ_E10value_typeET4_jRbjT5_SW_jjP12ihipStream_tbEUlT_E_NS1_11comp_targetILNS1_3genE9ELNS1_11target_archE1100ELNS1_3gpuE3ELNS1_3repE0EEENS1_30default_config_static_selectorELNS0_4arch9wavefront6targetE0EEEvSK_,"axG",@progbits,_ZN7rocprim17ROCPRIM_400000_NS6detail17trampoline_kernelINS0_14default_configENS1_36segmented_radix_sort_config_selectorIilEEZNS1_25segmented_radix_sort_implIS3_Lb1EPKiPiPKlPlN2at6native12_GLOBAL__N_18offset_tEEE10hipError_tPvRmT1_PNSt15iterator_traitsISK_E10value_typeET2_T3_PNSL_ISQ_E10value_typeET4_jRbjT5_SW_jjP12ihipStream_tbEUlT_E_NS1_11comp_targetILNS1_3genE9ELNS1_11target_archE1100ELNS1_3gpuE3ELNS1_3repE0EEENS1_30default_config_static_selectorELNS0_4arch9wavefront6targetE0EEEvSK_,comdat
.Lfunc_end501:
	.size	_ZN7rocprim17ROCPRIM_400000_NS6detail17trampoline_kernelINS0_14default_configENS1_36segmented_radix_sort_config_selectorIilEEZNS1_25segmented_radix_sort_implIS3_Lb1EPKiPiPKlPlN2at6native12_GLOBAL__N_18offset_tEEE10hipError_tPvRmT1_PNSt15iterator_traitsISK_E10value_typeET2_T3_PNSL_ISQ_E10value_typeET4_jRbjT5_SW_jjP12ihipStream_tbEUlT_E_NS1_11comp_targetILNS1_3genE9ELNS1_11target_archE1100ELNS1_3gpuE3ELNS1_3repE0EEENS1_30default_config_static_selectorELNS0_4arch9wavefront6targetE0EEEvSK_, .Lfunc_end501-_ZN7rocprim17ROCPRIM_400000_NS6detail17trampoline_kernelINS0_14default_configENS1_36segmented_radix_sort_config_selectorIilEEZNS1_25segmented_radix_sort_implIS3_Lb1EPKiPiPKlPlN2at6native12_GLOBAL__N_18offset_tEEE10hipError_tPvRmT1_PNSt15iterator_traitsISK_E10value_typeET2_T3_PNSL_ISQ_E10value_typeET4_jRbjT5_SW_jjP12ihipStream_tbEUlT_E_NS1_11comp_targetILNS1_3genE9ELNS1_11target_archE1100ELNS1_3gpuE3ELNS1_3repE0EEENS1_30default_config_static_selectorELNS0_4arch9wavefront6targetE0EEEvSK_
                                        ; -- End function
	.set _ZN7rocprim17ROCPRIM_400000_NS6detail17trampoline_kernelINS0_14default_configENS1_36segmented_radix_sort_config_selectorIilEEZNS1_25segmented_radix_sort_implIS3_Lb1EPKiPiPKlPlN2at6native12_GLOBAL__N_18offset_tEEE10hipError_tPvRmT1_PNSt15iterator_traitsISK_E10value_typeET2_T3_PNSL_ISQ_E10value_typeET4_jRbjT5_SW_jjP12ihipStream_tbEUlT_E_NS1_11comp_targetILNS1_3genE9ELNS1_11target_archE1100ELNS1_3gpuE3ELNS1_3repE0EEENS1_30default_config_static_selectorELNS0_4arch9wavefront6targetE0EEEvSK_.num_vgpr, 0
	.set _ZN7rocprim17ROCPRIM_400000_NS6detail17trampoline_kernelINS0_14default_configENS1_36segmented_radix_sort_config_selectorIilEEZNS1_25segmented_radix_sort_implIS3_Lb1EPKiPiPKlPlN2at6native12_GLOBAL__N_18offset_tEEE10hipError_tPvRmT1_PNSt15iterator_traitsISK_E10value_typeET2_T3_PNSL_ISQ_E10value_typeET4_jRbjT5_SW_jjP12ihipStream_tbEUlT_E_NS1_11comp_targetILNS1_3genE9ELNS1_11target_archE1100ELNS1_3gpuE3ELNS1_3repE0EEENS1_30default_config_static_selectorELNS0_4arch9wavefront6targetE0EEEvSK_.num_agpr, 0
	.set _ZN7rocprim17ROCPRIM_400000_NS6detail17trampoline_kernelINS0_14default_configENS1_36segmented_radix_sort_config_selectorIilEEZNS1_25segmented_radix_sort_implIS3_Lb1EPKiPiPKlPlN2at6native12_GLOBAL__N_18offset_tEEE10hipError_tPvRmT1_PNSt15iterator_traitsISK_E10value_typeET2_T3_PNSL_ISQ_E10value_typeET4_jRbjT5_SW_jjP12ihipStream_tbEUlT_E_NS1_11comp_targetILNS1_3genE9ELNS1_11target_archE1100ELNS1_3gpuE3ELNS1_3repE0EEENS1_30default_config_static_selectorELNS0_4arch9wavefront6targetE0EEEvSK_.numbered_sgpr, 0
	.set _ZN7rocprim17ROCPRIM_400000_NS6detail17trampoline_kernelINS0_14default_configENS1_36segmented_radix_sort_config_selectorIilEEZNS1_25segmented_radix_sort_implIS3_Lb1EPKiPiPKlPlN2at6native12_GLOBAL__N_18offset_tEEE10hipError_tPvRmT1_PNSt15iterator_traitsISK_E10value_typeET2_T3_PNSL_ISQ_E10value_typeET4_jRbjT5_SW_jjP12ihipStream_tbEUlT_E_NS1_11comp_targetILNS1_3genE9ELNS1_11target_archE1100ELNS1_3gpuE3ELNS1_3repE0EEENS1_30default_config_static_selectorELNS0_4arch9wavefront6targetE0EEEvSK_.num_named_barrier, 0
	.set _ZN7rocprim17ROCPRIM_400000_NS6detail17trampoline_kernelINS0_14default_configENS1_36segmented_radix_sort_config_selectorIilEEZNS1_25segmented_radix_sort_implIS3_Lb1EPKiPiPKlPlN2at6native12_GLOBAL__N_18offset_tEEE10hipError_tPvRmT1_PNSt15iterator_traitsISK_E10value_typeET2_T3_PNSL_ISQ_E10value_typeET4_jRbjT5_SW_jjP12ihipStream_tbEUlT_E_NS1_11comp_targetILNS1_3genE9ELNS1_11target_archE1100ELNS1_3gpuE3ELNS1_3repE0EEENS1_30default_config_static_selectorELNS0_4arch9wavefront6targetE0EEEvSK_.private_seg_size, 0
	.set _ZN7rocprim17ROCPRIM_400000_NS6detail17trampoline_kernelINS0_14default_configENS1_36segmented_radix_sort_config_selectorIilEEZNS1_25segmented_radix_sort_implIS3_Lb1EPKiPiPKlPlN2at6native12_GLOBAL__N_18offset_tEEE10hipError_tPvRmT1_PNSt15iterator_traitsISK_E10value_typeET2_T3_PNSL_ISQ_E10value_typeET4_jRbjT5_SW_jjP12ihipStream_tbEUlT_E_NS1_11comp_targetILNS1_3genE9ELNS1_11target_archE1100ELNS1_3gpuE3ELNS1_3repE0EEENS1_30default_config_static_selectorELNS0_4arch9wavefront6targetE0EEEvSK_.uses_vcc, 0
	.set _ZN7rocprim17ROCPRIM_400000_NS6detail17trampoline_kernelINS0_14default_configENS1_36segmented_radix_sort_config_selectorIilEEZNS1_25segmented_radix_sort_implIS3_Lb1EPKiPiPKlPlN2at6native12_GLOBAL__N_18offset_tEEE10hipError_tPvRmT1_PNSt15iterator_traitsISK_E10value_typeET2_T3_PNSL_ISQ_E10value_typeET4_jRbjT5_SW_jjP12ihipStream_tbEUlT_E_NS1_11comp_targetILNS1_3genE9ELNS1_11target_archE1100ELNS1_3gpuE3ELNS1_3repE0EEENS1_30default_config_static_selectorELNS0_4arch9wavefront6targetE0EEEvSK_.uses_flat_scratch, 0
	.set _ZN7rocprim17ROCPRIM_400000_NS6detail17trampoline_kernelINS0_14default_configENS1_36segmented_radix_sort_config_selectorIilEEZNS1_25segmented_radix_sort_implIS3_Lb1EPKiPiPKlPlN2at6native12_GLOBAL__N_18offset_tEEE10hipError_tPvRmT1_PNSt15iterator_traitsISK_E10value_typeET2_T3_PNSL_ISQ_E10value_typeET4_jRbjT5_SW_jjP12ihipStream_tbEUlT_E_NS1_11comp_targetILNS1_3genE9ELNS1_11target_archE1100ELNS1_3gpuE3ELNS1_3repE0EEENS1_30default_config_static_selectorELNS0_4arch9wavefront6targetE0EEEvSK_.has_dyn_sized_stack, 0
	.set _ZN7rocprim17ROCPRIM_400000_NS6detail17trampoline_kernelINS0_14default_configENS1_36segmented_radix_sort_config_selectorIilEEZNS1_25segmented_radix_sort_implIS3_Lb1EPKiPiPKlPlN2at6native12_GLOBAL__N_18offset_tEEE10hipError_tPvRmT1_PNSt15iterator_traitsISK_E10value_typeET2_T3_PNSL_ISQ_E10value_typeET4_jRbjT5_SW_jjP12ihipStream_tbEUlT_E_NS1_11comp_targetILNS1_3genE9ELNS1_11target_archE1100ELNS1_3gpuE3ELNS1_3repE0EEENS1_30default_config_static_selectorELNS0_4arch9wavefront6targetE0EEEvSK_.has_recursion, 0
	.set _ZN7rocprim17ROCPRIM_400000_NS6detail17trampoline_kernelINS0_14default_configENS1_36segmented_radix_sort_config_selectorIilEEZNS1_25segmented_radix_sort_implIS3_Lb1EPKiPiPKlPlN2at6native12_GLOBAL__N_18offset_tEEE10hipError_tPvRmT1_PNSt15iterator_traitsISK_E10value_typeET2_T3_PNSL_ISQ_E10value_typeET4_jRbjT5_SW_jjP12ihipStream_tbEUlT_E_NS1_11comp_targetILNS1_3genE9ELNS1_11target_archE1100ELNS1_3gpuE3ELNS1_3repE0EEENS1_30default_config_static_selectorELNS0_4arch9wavefront6targetE0EEEvSK_.has_indirect_call, 0
	.section	.AMDGPU.csdata,"",@progbits
; Kernel info:
; codeLenInByte = 0
; TotalNumSgprs: 0
; NumVgprs: 0
; ScratchSize: 0
; MemoryBound: 0
; FloatMode: 240
; IeeeMode: 1
; LDSByteSize: 0 bytes/workgroup (compile time only)
; SGPRBlocks: 0
; VGPRBlocks: 0
; NumSGPRsForWavesPerEU: 1
; NumVGPRsForWavesPerEU: 1
; NamedBarCnt: 0
; Occupancy: 16
; WaveLimiterHint : 0
; COMPUTE_PGM_RSRC2:SCRATCH_EN: 0
; COMPUTE_PGM_RSRC2:USER_SGPR: 2
; COMPUTE_PGM_RSRC2:TRAP_HANDLER: 0
; COMPUTE_PGM_RSRC2:TGID_X_EN: 1
; COMPUTE_PGM_RSRC2:TGID_Y_EN: 0
; COMPUTE_PGM_RSRC2:TGID_Z_EN: 0
; COMPUTE_PGM_RSRC2:TIDIG_COMP_CNT: 0
	.section	.text._ZN7rocprim17ROCPRIM_400000_NS6detail17trampoline_kernelINS0_14default_configENS1_36segmented_radix_sort_config_selectorIilEEZNS1_25segmented_radix_sort_implIS3_Lb1EPKiPiPKlPlN2at6native12_GLOBAL__N_18offset_tEEE10hipError_tPvRmT1_PNSt15iterator_traitsISK_E10value_typeET2_T3_PNSL_ISQ_E10value_typeET4_jRbjT5_SW_jjP12ihipStream_tbEUlT_E_NS1_11comp_targetILNS1_3genE8ELNS1_11target_archE1030ELNS1_3gpuE2ELNS1_3repE0EEENS1_30default_config_static_selectorELNS0_4arch9wavefront6targetE0EEEvSK_,"axG",@progbits,_ZN7rocprim17ROCPRIM_400000_NS6detail17trampoline_kernelINS0_14default_configENS1_36segmented_radix_sort_config_selectorIilEEZNS1_25segmented_radix_sort_implIS3_Lb1EPKiPiPKlPlN2at6native12_GLOBAL__N_18offset_tEEE10hipError_tPvRmT1_PNSt15iterator_traitsISK_E10value_typeET2_T3_PNSL_ISQ_E10value_typeET4_jRbjT5_SW_jjP12ihipStream_tbEUlT_E_NS1_11comp_targetILNS1_3genE8ELNS1_11target_archE1030ELNS1_3gpuE2ELNS1_3repE0EEENS1_30default_config_static_selectorELNS0_4arch9wavefront6targetE0EEEvSK_,comdat
	.globl	_ZN7rocprim17ROCPRIM_400000_NS6detail17trampoline_kernelINS0_14default_configENS1_36segmented_radix_sort_config_selectorIilEEZNS1_25segmented_radix_sort_implIS3_Lb1EPKiPiPKlPlN2at6native12_GLOBAL__N_18offset_tEEE10hipError_tPvRmT1_PNSt15iterator_traitsISK_E10value_typeET2_T3_PNSL_ISQ_E10value_typeET4_jRbjT5_SW_jjP12ihipStream_tbEUlT_E_NS1_11comp_targetILNS1_3genE8ELNS1_11target_archE1030ELNS1_3gpuE2ELNS1_3repE0EEENS1_30default_config_static_selectorELNS0_4arch9wavefront6targetE0EEEvSK_ ; -- Begin function _ZN7rocprim17ROCPRIM_400000_NS6detail17trampoline_kernelINS0_14default_configENS1_36segmented_radix_sort_config_selectorIilEEZNS1_25segmented_radix_sort_implIS3_Lb1EPKiPiPKlPlN2at6native12_GLOBAL__N_18offset_tEEE10hipError_tPvRmT1_PNSt15iterator_traitsISK_E10value_typeET2_T3_PNSL_ISQ_E10value_typeET4_jRbjT5_SW_jjP12ihipStream_tbEUlT_E_NS1_11comp_targetILNS1_3genE8ELNS1_11target_archE1030ELNS1_3gpuE2ELNS1_3repE0EEENS1_30default_config_static_selectorELNS0_4arch9wavefront6targetE0EEEvSK_
	.p2align	8
	.type	_ZN7rocprim17ROCPRIM_400000_NS6detail17trampoline_kernelINS0_14default_configENS1_36segmented_radix_sort_config_selectorIilEEZNS1_25segmented_radix_sort_implIS3_Lb1EPKiPiPKlPlN2at6native12_GLOBAL__N_18offset_tEEE10hipError_tPvRmT1_PNSt15iterator_traitsISK_E10value_typeET2_T3_PNSL_ISQ_E10value_typeET4_jRbjT5_SW_jjP12ihipStream_tbEUlT_E_NS1_11comp_targetILNS1_3genE8ELNS1_11target_archE1030ELNS1_3gpuE2ELNS1_3repE0EEENS1_30default_config_static_selectorELNS0_4arch9wavefront6targetE0EEEvSK_,@function
_ZN7rocprim17ROCPRIM_400000_NS6detail17trampoline_kernelINS0_14default_configENS1_36segmented_radix_sort_config_selectorIilEEZNS1_25segmented_radix_sort_implIS3_Lb1EPKiPiPKlPlN2at6native12_GLOBAL__N_18offset_tEEE10hipError_tPvRmT1_PNSt15iterator_traitsISK_E10value_typeET2_T3_PNSL_ISQ_E10value_typeET4_jRbjT5_SW_jjP12ihipStream_tbEUlT_E_NS1_11comp_targetILNS1_3genE8ELNS1_11target_archE1030ELNS1_3gpuE2ELNS1_3repE0EEENS1_30default_config_static_selectorELNS0_4arch9wavefront6targetE0EEEvSK_: ; @_ZN7rocprim17ROCPRIM_400000_NS6detail17trampoline_kernelINS0_14default_configENS1_36segmented_radix_sort_config_selectorIilEEZNS1_25segmented_radix_sort_implIS3_Lb1EPKiPiPKlPlN2at6native12_GLOBAL__N_18offset_tEEE10hipError_tPvRmT1_PNSt15iterator_traitsISK_E10value_typeET2_T3_PNSL_ISQ_E10value_typeET4_jRbjT5_SW_jjP12ihipStream_tbEUlT_E_NS1_11comp_targetILNS1_3genE8ELNS1_11target_archE1030ELNS1_3gpuE2ELNS1_3repE0EEENS1_30default_config_static_selectorELNS0_4arch9wavefront6targetE0EEEvSK_
; %bb.0:
	.section	.rodata,"a",@progbits
	.p2align	6, 0x0
	.amdhsa_kernel _ZN7rocprim17ROCPRIM_400000_NS6detail17trampoline_kernelINS0_14default_configENS1_36segmented_radix_sort_config_selectorIilEEZNS1_25segmented_radix_sort_implIS3_Lb1EPKiPiPKlPlN2at6native12_GLOBAL__N_18offset_tEEE10hipError_tPvRmT1_PNSt15iterator_traitsISK_E10value_typeET2_T3_PNSL_ISQ_E10value_typeET4_jRbjT5_SW_jjP12ihipStream_tbEUlT_E_NS1_11comp_targetILNS1_3genE8ELNS1_11target_archE1030ELNS1_3gpuE2ELNS1_3repE0EEENS1_30default_config_static_selectorELNS0_4arch9wavefront6targetE0EEEvSK_
		.amdhsa_group_segment_fixed_size 0
		.amdhsa_private_segment_fixed_size 0
		.amdhsa_kernarg_size 96
		.amdhsa_user_sgpr_count 2
		.amdhsa_user_sgpr_dispatch_ptr 0
		.amdhsa_user_sgpr_queue_ptr 0
		.amdhsa_user_sgpr_kernarg_segment_ptr 1
		.amdhsa_user_sgpr_dispatch_id 0
		.amdhsa_user_sgpr_kernarg_preload_length 0
		.amdhsa_user_sgpr_kernarg_preload_offset 0
		.amdhsa_user_sgpr_private_segment_size 0
		.amdhsa_wavefront_size32 1
		.amdhsa_uses_dynamic_stack 0
		.amdhsa_enable_private_segment 0
		.amdhsa_system_sgpr_workgroup_id_x 1
		.amdhsa_system_sgpr_workgroup_id_y 0
		.amdhsa_system_sgpr_workgroup_id_z 0
		.amdhsa_system_sgpr_workgroup_info 0
		.amdhsa_system_vgpr_workitem_id 0
		.amdhsa_next_free_vgpr 1
		.amdhsa_next_free_sgpr 1
		.amdhsa_named_barrier_count 0
		.amdhsa_reserve_vcc 0
		.amdhsa_float_round_mode_32 0
		.amdhsa_float_round_mode_16_64 0
		.amdhsa_float_denorm_mode_32 3
		.amdhsa_float_denorm_mode_16_64 3
		.amdhsa_fp16_overflow 0
		.amdhsa_memory_ordered 1
		.amdhsa_forward_progress 1
		.amdhsa_inst_pref_size 0
		.amdhsa_round_robin_scheduling 0
		.amdhsa_exception_fp_ieee_invalid_op 0
		.amdhsa_exception_fp_denorm_src 0
		.amdhsa_exception_fp_ieee_div_zero 0
		.amdhsa_exception_fp_ieee_overflow 0
		.amdhsa_exception_fp_ieee_underflow 0
		.amdhsa_exception_fp_ieee_inexact 0
		.amdhsa_exception_int_div_zero 0
	.end_amdhsa_kernel
	.section	.text._ZN7rocprim17ROCPRIM_400000_NS6detail17trampoline_kernelINS0_14default_configENS1_36segmented_radix_sort_config_selectorIilEEZNS1_25segmented_radix_sort_implIS3_Lb1EPKiPiPKlPlN2at6native12_GLOBAL__N_18offset_tEEE10hipError_tPvRmT1_PNSt15iterator_traitsISK_E10value_typeET2_T3_PNSL_ISQ_E10value_typeET4_jRbjT5_SW_jjP12ihipStream_tbEUlT_E_NS1_11comp_targetILNS1_3genE8ELNS1_11target_archE1030ELNS1_3gpuE2ELNS1_3repE0EEENS1_30default_config_static_selectorELNS0_4arch9wavefront6targetE0EEEvSK_,"axG",@progbits,_ZN7rocprim17ROCPRIM_400000_NS6detail17trampoline_kernelINS0_14default_configENS1_36segmented_radix_sort_config_selectorIilEEZNS1_25segmented_radix_sort_implIS3_Lb1EPKiPiPKlPlN2at6native12_GLOBAL__N_18offset_tEEE10hipError_tPvRmT1_PNSt15iterator_traitsISK_E10value_typeET2_T3_PNSL_ISQ_E10value_typeET4_jRbjT5_SW_jjP12ihipStream_tbEUlT_E_NS1_11comp_targetILNS1_3genE8ELNS1_11target_archE1030ELNS1_3gpuE2ELNS1_3repE0EEENS1_30default_config_static_selectorELNS0_4arch9wavefront6targetE0EEEvSK_,comdat
.Lfunc_end502:
	.size	_ZN7rocprim17ROCPRIM_400000_NS6detail17trampoline_kernelINS0_14default_configENS1_36segmented_radix_sort_config_selectorIilEEZNS1_25segmented_radix_sort_implIS3_Lb1EPKiPiPKlPlN2at6native12_GLOBAL__N_18offset_tEEE10hipError_tPvRmT1_PNSt15iterator_traitsISK_E10value_typeET2_T3_PNSL_ISQ_E10value_typeET4_jRbjT5_SW_jjP12ihipStream_tbEUlT_E_NS1_11comp_targetILNS1_3genE8ELNS1_11target_archE1030ELNS1_3gpuE2ELNS1_3repE0EEENS1_30default_config_static_selectorELNS0_4arch9wavefront6targetE0EEEvSK_, .Lfunc_end502-_ZN7rocprim17ROCPRIM_400000_NS6detail17trampoline_kernelINS0_14default_configENS1_36segmented_radix_sort_config_selectorIilEEZNS1_25segmented_radix_sort_implIS3_Lb1EPKiPiPKlPlN2at6native12_GLOBAL__N_18offset_tEEE10hipError_tPvRmT1_PNSt15iterator_traitsISK_E10value_typeET2_T3_PNSL_ISQ_E10value_typeET4_jRbjT5_SW_jjP12ihipStream_tbEUlT_E_NS1_11comp_targetILNS1_3genE8ELNS1_11target_archE1030ELNS1_3gpuE2ELNS1_3repE0EEENS1_30default_config_static_selectorELNS0_4arch9wavefront6targetE0EEEvSK_
                                        ; -- End function
	.set _ZN7rocprim17ROCPRIM_400000_NS6detail17trampoline_kernelINS0_14default_configENS1_36segmented_radix_sort_config_selectorIilEEZNS1_25segmented_radix_sort_implIS3_Lb1EPKiPiPKlPlN2at6native12_GLOBAL__N_18offset_tEEE10hipError_tPvRmT1_PNSt15iterator_traitsISK_E10value_typeET2_T3_PNSL_ISQ_E10value_typeET4_jRbjT5_SW_jjP12ihipStream_tbEUlT_E_NS1_11comp_targetILNS1_3genE8ELNS1_11target_archE1030ELNS1_3gpuE2ELNS1_3repE0EEENS1_30default_config_static_selectorELNS0_4arch9wavefront6targetE0EEEvSK_.num_vgpr, 0
	.set _ZN7rocprim17ROCPRIM_400000_NS6detail17trampoline_kernelINS0_14default_configENS1_36segmented_radix_sort_config_selectorIilEEZNS1_25segmented_radix_sort_implIS3_Lb1EPKiPiPKlPlN2at6native12_GLOBAL__N_18offset_tEEE10hipError_tPvRmT1_PNSt15iterator_traitsISK_E10value_typeET2_T3_PNSL_ISQ_E10value_typeET4_jRbjT5_SW_jjP12ihipStream_tbEUlT_E_NS1_11comp_targetILNS1_3genE8ELNS1_11target_archE1030ELNS1_3gpuE2ELNS1_3repE0EEENS1_30default_config_static_selectorELNS0_4arch9wavefront6targetE0EEEvSK_.num_agpr, 0
	.set _ZN7rocprim17ROCPRIM_400000_NS6detail17trampoline_kernelINS0_14default_configENS1_36segmented_radix_sort_config_selectorIilEEZNS1_25segmented_radix_sort_implIS3_Lb1EPKiPiPKlPlN2at6native12_GLOBAL__N_18offset_tEEE10hipError_tPvRmT1_PNSt15iterator_traitsISK_E10value_typeET2_T3_PNSL_ISQ_E10value_typeET4_jRbjT5_SW_jjP12ihipStream_tbEUlT_E_NS1_11comp_targetILNS1_3genE8ELNS1_11target_archE1030ELNS1_3gpuE2ELNS1_3repE0EEENS1_30default_config_static_selectorELNS0_4arch9wavefront6targetE0EEEvSK_.numbered_sgpr, 0
	.set _ZN7rocprim17ROCPRIM_400000_NS6detail17trampoline_kernelINS0_14default_configENS1_36segmented_radix_sort_config_selectorIilEEZNS1_25segmented_radix_sort_implIS3_Lb1EPKiPiPKlPlN2at6native12_GLOBAL__N_18offset_tEEE10hipError_tPvRmT1_PNSt15iterator_traitsISK_E10value_typeET2_T3_PNSL_ISQ_E10value_typeET4_jRbjT5_SW_jjP12ihipStream_tbEUlT_E_NS1_11comp_targetILNS1_3genE8ELNS1_11target_archE1030ELNS1_3gpuE2ELNS1_3repE0EEENS1_30default_config_static_selectorELNS0_4arch9wavefront6targetE0EEEvSK_.num_named_barrier, 0
	.set _ZN7rocprim17ROCPRIM_400000_NS6detail17trampoline_kernelINS0_14default_configENS1_36segmented_radix_sort_config_selectorIilEEZNS1_25segmented_radix_sort_implIS3_Lb1EPKiPiPKlPlN2at6native12_GLOBAL__N_18offset_tEEE10hipError_tPvRmT1_PNSt15iterator_traitsISK_E10value_typeET2_T3_PNSL_ISQ_E10value_typeET4_jRbjT5_SW_jjP12ihipStream_tbEUlT_E_NS1_11comp_targetILNS1_3genE8ELNS1_11target_archE1030ELNS1_3gpuE2ELNS1_3repE0EEENS1_30default_config_static_selectorELNS0_4arch9wavefront6targetE0EEEvSK_.private_seg_size, 0
	.set _ZN7rocprim17ROCPRIM_400000_NS6detail17trampoline_kernelINS0_14default_configENS1_36segmented_radix_sort_config_selectorIilEEZNS1_25segmented_radix_sort_implIS3_Lb1EPKiPiPKlPlN2at6native12_GLOBAL__N_18offset_tEEE10hipError_tPvRmT1_PNSt15iterator_traitsISK_E10value_typeET2_T3_PNSL_ISQ_E10value_typeET4_jRbjT5_SW_jjP12ihipStream_tbEUlT_E_NS1_11comp_targetILNS1_3genE8ELNS1_11target_archE1030ELNS1_3gpuE2ELNS1_3repE0EEENS1_30default_config_static_selectorELNS0_4arch9wavefront6targetE0EEEvSK_.uses_vcc, 0
	.set _ZN7rocprim17ROCPRIM_400000_NS6detail17trampoline_kernelINS0_14default_configENS1_36segmented_radix_sort_config_selectorIilEEZNS1_25segmented_radix_sort_implIS3_Lb1EPKiPiPKlPlN2at6native12_GLOBAL__N_18offset_tEEE10hipError_tPvRmT1_PNSt15iterator_traitsISK_E10value_typeET2_T3_PNSL_ISQ_E10value_typeET4_jRbjT5_SW_jjP12ihipStream_tbEUlT_E_NS1_11comp_targetILNS1_3genE8ELNS1_11target_archE1030ELNS1_3gpuE2ELNS1_3repE0EEENS1_30default_config_static_selectorELNS0_4arch9wavefront6targetE0EEEvSK_.uses_flat_scratch, 0
	.set _ZN7rocprim17ROCPRIM_400000_NS6detail17trampoline_kernelINS0_14default_configENS1_36segmented_radix_sort_config_selectorIilEEZNS1_25segmented_radix_sort_implIS3_Lb1EPKiPiPKlPlN2at6native12_GLOBAL__N_18offset_tEEE10hipError_tPvRmT1_PNSt15iterator_traitsISK_E10value_typeET2_T3_PNSL_ISQ_E10value_typeET4_jRbjT5_SW_jjP12ihipStream_tbEUlT_E_NS1_11comp_targetILNS1_3genE8ELNS1_11target_archE1030ELNS1_3gpuE2ELNS1_3repE0EEENS1_30default_config_static_selectorELNS0_4arch9wavefront6targetE0EEEvSK_.has_dyn_sized_stack, 0
	.set _ZN7rocprim17ROCPRIM_400000_NS6detail17trampoline_kernelINS0_14default_configENS1_36segmented_radix_sort_config_selectorIilEEZNS1_25segmented_radix_sort_implIS3_Lb1EPKiPiPKlPlN2at6native12_GLOBAL__N_18offset_tEEE10hipError_tPvRmT1_PNSt15iterator_traitsISK_E10value_typeET2_T3_PNSL_ISQ_E10value_typeET4_jRbjT5_SW_jjP12ihipStream_tbEUlT_E_NS1_11comp_targetILNS1_3genE8ELNS1_11target_archE1030ELNS1_3gpuE2ELNS1_3repE0EEENS1_30default_config_static_selectorELNS0_4arch9wavefront6targetE0EEEvSK_.has_recursion, 0
	.set _ZN7rocprim17ROCPRIM_400000_NS6detail17trampoline_kernelINS0_14default_configENS1_36segmented_radix_sort_config_selectorIilEEZNS1_25segmented_radix_sort_implIS3_Lb1EPKiPiPKlPlN2at6native12_GLOBAL__N_18offset_tEEE10hipError_tPvRmT1_PNSt15iterator_traitsISK_E10value_typeET2_T3_PNSL_ISQ_E10value_typeET4_jRbjT5_SW_jjP12ihipStream_tbEUlT_E_NS1_11comp_targetILNS1_3genE8ELNS1_11target_archE1030ELNS1_3gpuE2ELNS1_3repE0EEENS1_30default_config_static_selectorELNS0_4arch9wavefront6targetE0EEEvSK_.has_indirect_call, 0
	.section	.AMDGPU.csdata,"",@progbits
; Kernel info:
; codeLenInByte = 0
; TotalNumSgprs: 0
; NumVgprs: 0
; ScratchSize: 0
; MemoryBound: 0
; FloatMode: 240
; IeeeMode: 1
; LDSByteSize: 0 bytes/workgroup (compile time only)
; SGPRBlocks: 0
; VGPRBlocks: 0
; NumSGPRsForWavesPerEU: 1
; NumVGPRsForWavesPerEU: 1
; NamedBarCnt: 0
; Occupancy: 16
; WaveLimiterHint : 0
; COMPUTE_PGM_RSRC2:SCRATCH_EN: 0
; COMPUTE_PGM_RSRC2:USER_SGPR: 2
; COMPUTE_PGM_RSRC2:TRAP_HANDLER: 0
; COMPUTE_PGM_RSRC2:TGID_X_EN: 1
; COMPUTE_PGM_RSRC2:TGID_Y_EN: 0
; COMPUTE_PGM_RSRC2:TGID_Z_EN: 0
; COMPUTE_PGM_RSRC2:TIDIG_COMP_CNT: 0
	.text
	.p2align	2                               ; -- Begin function _ZN7rocprim17ROCPRIM_400000_NS6detail26segmented_warp_sort_helperINS1_20WarpSortHelperConfigILj16ELj8ELj256EEEilLi256ELb1EvE4sortIPKiPiPKlPlEEvT_T0_T1_T2_jjjjRNS5_12storage_typeE
	.type	_ZN7rocprim17ROCPRIM_400000_NS6detail26segmented_warp_sort_helperINS1_20WarpSortHelperConfigILj16ELj8ELj256EEEilLi256ELb1EvE4sortIPKiPiPKlPlEEvT_T0_T1_T2_jjjjRNS5_12storage_typeE,@function
_ZN7rocprim17ROCPRIM_400000_NS6detail26segmented_warp_sort_helperINS1_20WarpSortHelperConfigILj16ELj8ELj256EEEilLi256ELb1EvE4sortIPKiPiPKlPlEEvT_T0_T1_T2_jjjjRNS5_12storage_typeE: ; @_ZN7rocprim17ROCPRIM_400000_NS6detail26segmented_warp_sort_helperINS1_20WarpSortHelperConfigILj16ELj8ELj256EEEilLi256ELb1EvE4sortIPKiPiPKlPlEEvT_T0_T1_T2_jjjjRNS5_12storage_typeE
; %bb.0:
	s_wait_loadcnt_dscnt 0x0
	s_wait_kmcnt 0x0
	v_mov_b32_e32 v12, v9
	v_mbcnt_lo_u32_b32 v9, -1, 0
	s_delay_alu instid0(VALU_DEP_1) | instskip(NEXT) | instid1(VALU_DEP_1)
	v_dual_lshlrev_b32 v50, 3, v9 :: v_dual_sub_nc_u32 v20, v12, v8
	v_and_b32_e32 v51, 0x78, v50
	v_mov_b32_e32 v9, 0
	s_delay_alu instid0(VALU_DEP_2) | instskip(NEXT) | instid1(VALU_DEP_2)
	v_cmp_lt_u32_e32 vcc_lo, v51, v20
	v_lshl_add_u64 v[14:15], v[8:9], 2, v[0:1]
	v_dual_mov_b32 v1, v9 :: v_dual_lshlrev_b32 v0, 2, v51
	s_delay_alu instid0(VALU_DEP_1)
	v_add_nc_u64_e32 v[12:13], v[14:15], v[0:1]
	v_bfrev_b32_e32 v15, 1
	v_bfrev_b32_e32 v14, 1
	s_and_saveexec_b32 s0, vcc_lo
	s_cbranch_execz .LBB503_2
; %bb.1:
	flat_load_b32 v14, v[12:13]
.LBB503_2:
	s_wait_xcnt 0x0
	s_or_b32 exec_lo, exec_lo, s0
	v_or_b32_e32 v1, 1, v51
	s_delay_alu instid0(VALU_DEP_1)
	v_cmp_lt_u32_e64 s0, v1, v20
	s_and_saveexec_b32 s1, s0
	s_cbranch_execz .LBB503_4
; %bb.3:
	flat_load_b32 v15, v[12:13] offset:4
.LBB503_4:
	s_wait_xcnt 0x0
	s_or_b32 exec_lo, exec_lo, s1
	v_or_b32_e32 v1, 2, v51
	v_bfrev_b32_e32 v25, 1
	v_bfrev_b32_e32 v24, 1
	s_delay_alu instid0(VALU_DEP_3)
	v_cmp_lt_u32_e64 s1, v1, v20
	s_and_saveexec_b32 s2, s1
	s_cbranch_execz .LBB503_6
; %bb.5:
	flat_load_b32 v24, v[12:13] offset:8
.LBB503_6:
	s_wait_xcnt 0x0
	s_or_b32 exec_lo, exec_lo, s2
	v_or_b32_e32 v1, 3, v51
	s_delay_alu instid0(VALU_DEP_1)
	v_cmp_lt_u32_e64 s2, v1, v20
	s_and_saveexec_b32 s3, s2
	s_cbranch_execz .LBB503_8
; %bb.7:
	flat_load_b32 v25, v[12:13] offset:12
.LBB503_8:
	s_wait_xcnt 0x0
	s_or_b32 exec_lo, exec_lo, s3
	v_or_b32_e32 v1, 4, v51
	v_bfrev_b32_e32 v19, 1
	v_bfrev_b32_e32 v18, 1
	s_delay_alu instid0(VALU_DEP_3)
	v_cmp_lt_u32_e64 s3, v1, v20
	s_and_saveexec_b32 s4, s3
	s_cbranch_execz .LBB503_10
; %bb.9:
	flat_load_b32 v18, v[12:13] offset:16
.LBB503_10:
	s_wait_xcnt 0x0
	s_or_b32 exec_lo, exec_lo, s4
	v_or_b32_e32 v1, 5, v51
	s_delay_alu instid0(VALU_DEP_1)
	v_cmp_lt_u32_e64 s4, v1, v20
	s_and_saveexec_b32 s5, s4
	s_cbranch_execz .LBB503_12
; %bb.11:
	flat_load_b32 v19, v[12:13] offset:20
.LBB503_12:
	s_wait_xcnt 0x0
	s_or_b32 exec_lo, exec_lo, s5
	v_or_b32_e32 v1, 6, v51
	v_bfrev_b32_e32 v17, 1
	v_bfrev_b32_e32 v16, 1
	s_delay_alu instid0(VALU_DEP_3)
	v_cmp_lt_u32_e64 s5, v1, v20
	s_and_saveexec_b32 s6, s5
	s_cbranch_execz .LBB503_14
; %bb.13:
	flat_load_b32 v16, v[12:13] offset:24
.LBB503_14:
	s_wait_xcnt 0x0
	s_or_b32 exec_lo, exec_lo, s6
	v_or_b32_e32 v1, 7, v51
	s_delay_alu instid0(VALU_DEP_1)
	v_cmp_lt_u32_e64 s6, v1, v20
	s_and_saveexec_b32 s7, s6
	s_cbranch_execz .LBB503_16
; %bb.15:
	flat_load_b32 v17, v[12:13] offset:28
.LBB503_16:
	s_wait_xcnt 0x0
	s_or_b32 exec_lo, exec_lo, s7
	v_lshl_add_u64 v[12:13], v[8:9], 3, v[4:5]
	v_dual_mov_b32 v5, 0 :: v_dual_lshlrev_b32 v4, 3, v51
	; wave barrier
	s_delay_alu instid0(VALU_DEP_1)
	v_add_nc_u64_e32 v[38:39], v[12:13], v[4:5]
                                        ; implicit-def: $vgpr12_vgpr13
	s_and_saveexec_b32 s7, vcc_lo
	s_cbranch_execnz .LBB503_239
; %bb.17:
	s_or_b32 exec_lo, exec_lo, s7
	s_and_saveexec_b32 s7, s0
                                        ; implicit-def: $vgpr22_vgpr23
	s_cbranch_execnz .LBB503_240
.LBB503_18:
	s_or_b32 exec_lo, exec_lo, s7
                                        ; implicit-def: $vgpr20_vgpr21
	s_and_saveexec_b32 s7, s1
	s_cbranch_execnz .LBB503_241
.LBB503_19:
	s_or_b32 exec_lo, exec_lo, s7
	s_and_saveexec_b32 s7, s2
                                        ; implicit-def: $vgpr28_vgpr29
	s_cbranch_execnz .LBB503_242
.LBB503_20:
	s_or_b32 exec_lo, exec_lo, s7
                                        ; implicit-def: $vgpr26_vgpr27
	s_and_saveexec_b32 s7, s3
	s_cbranch_execnz .LBB503_243
.LBB503_21:
	s_or_b32 exec_lo, exec_lo, s7
	s_and_saveexec_b32 s7, s4
                                        ; implicit-def: $vgpr36_vgpr37
	s_cbranch_execnz .LBB503_244
.LBB503_22:
	s_or_b32 exec_lo, exec_lo, s7
                                        ; implicit-def: $vgpr32_vgpr33
	s_and_saveexec_b32 s7, s5
	s_cbranch_execnz .LBB503_245
.LBB503_23:
	s_or_b32 exec_lo, exec_lo, s7
	s_and_saveexec_b32 s7, s6
                                        ; implicit-def: $vgpr34_vgpr35
	s_cbranch_execz .LBB503_25
.LBB503_24:
	flat_load_b64 v[34:35], v[38:39] offset:56
.LBB503_25:
	s_wait_xcnt 0x0
	s_or_b32 exec_lo, exec_lo, s7
	v_cmp_ne_u32_e64 s7, 0, v10
	v_cmp_ne_u32_e64 s10, 32, v11
	v_bfe_u32 v5, v31, 10, 10
	v_bfe_u32 v30, v31, 20, 10
	v_and_b32_e32 v1, 0x3ff, v31
	s_mov_b32 s11, 0
	s_or_b32 s7, s7, s10
	s_getreg_b32 s19, hwreg(HW_REG_IB_STS2, 6, 4)
	; wave barrier
	s_and_saveexec_b32 s10, s7
	s_delay_alu instid0(SALU_CYCLE_1)
	s_xor_b32 s20, exec_lo, s10
	s_cbranch_execz .LBB503_123
; %bb.26:
	s_load_b64 s[12:13], s[8:9], 0x0
	s_bfe_u32 s10, ttmp6, 0x4000c
	s_bfe_u32 s15, ttmp6, 0x40010
	s_and_b32 s14, ttmp7, 0xffff
	s_add_co_i32 s10, s10, 1
	s_add_co_i32 s15, s15, 1
	s_and_b32 s7, ttmp6, 15
	s_bfe_u32 s16, ttmp6, 0x40004
	s_mul_i32 s10, ttmp9, s10
	s_mul_i32 s15, s14, s15
	s_add_co_i32 s7, s7, s10
	s_add_co_i32 s16, s16, s15
	s_cmp_eq_u32 s19, 0
	v_lshlrev_b32_e64 v11, v11, -1
	s_cselect_b32 s7, ttmp9, s7
	s_cselect_b32 s14, s14, s16
	v_lshlrev_b32_e64 v10, v10, -1
	s_wait_kmcnt 0x0
	s_cmp_lt_u32 s7, s12
	s_cselect_b32 s10, 12, 18
	s_cmp_lt_u32 s14, s13
	s_mov_b32 s13, s11
	s_cselect_b32 s12, 14, 20
	s_add_nc_u64 s[10:11], s[8:9], s[10:11]
	s_add_nc_u64 s[12:13], s[8:9], s[12:13]
	s_clause 0x1
	s_load_u16 s10, s[10:11], 0x0
	s_nop 0
	s_load_u16 s7, s[12:13], 0x0
	s_wait_kmcnt 0x0
	v_mad_u32_u24 v5, v30, s7, v5
	s_delay_alu instid0(VALU_DEP_1) | instskip(SKIP_1) | instid1(VALU_DEP_1)
	v_mul_lo_u32 v5, v5, s10
	s_mov_b32 s10, exec_lo
	v_add_lshl_u32 v5, v5, v1, 3
	v_xor_b32_e32 v1, v11, v10
	s_wait_loadcnt_dscnt 0x0
	v_mov_b64_e32 v[10:11], v[18:19]
	s_delay_alu instid0(VALU_DEP_3)
	v_cmpx_gt_u32_e32 0x800, v5
	s_cbranch_execz .LBB503_82
; %bb.27:
	v_mov_b64_e32 v[30:31], v[22:23]
	v_dual_mov_b32 v48, v15 :: v_dual_bitop2_b32 v10, v15, v1 bitop3:0x40
	v_and_b32_e32 v11, v14, v1
	s_mov_b32 s11, exec_lo
	s_delay_alu instid0(VALU_DEP_1)
	v_cmpx_gt_u32_e64 v10, v11
; %bb.28:
	v_mov_b64_e32 v[30:31], v[12:13]
	v_mov_b64_e32 v[12:13], v[22:23]
	v_dual_mov_b32 v48, v14 :: v_dual_mov_b32 v14, v15
; %bb.29:
	s_or_b32 exec_lo, exec_lo, s11
	v_mov_b64_e32 v[38:39], v[28:29]
	v_dual_mov_b32 v49, v25 :: v_dual_bitop2_b32 v10, v25, v1 bitop3:0x40
	v_and_b32_e32 v11, v24, v1
	s_mov_b32 s11, exec_lo
	s_delay_alu instid0(VALU_DEP_1)
	v_cmpx_gt_u32_e64 v10, v11
; %bb.30:
	v_mov_b64_e32 v[38:39], v[20:21]
	v_mov_b64_e32 v[20:21], v[28:29]
	v_dual_mov_b32 v49, v24 :: v_dual_mov_b32 v24, v25
; %bb.31:
	s_or_b32 exec_lo, exec_lo, s11
	;; [unrolled: 12-line block ×4, first 2 shown]
	v_dual_mov_b32 v15, v24 :: v_dual_bitop2_b32 v16, v24, v1 bitop3:0x40
	v_and_b32_e32 v18, v48, v1
	v_mov_b64_e32 v[28:29], v[20:21]
	s_delay_alu instid0(VALU_DEP_2) | instskip(SKIP_1) | instid1(SALU_CYCLE_1)
	v_cmp_gt_u32_e64 s7, v16, v18
	s_and_saveexec_b32 s11, s7
	s_xor_b32 s7, exec_lo, s11
; %bb.36:
	v_mov_b64_e32 v[28:29], v[30:31]
	v_mov_b64_e32 v[30:31], v[20:21]
	v_dual_mov_b32 v15, v48 :: v_dual_mov_b32 v48, v24
; %bb.37:
	s_or_b32 exec_lo, exec_lo, s7
	v_mov_b64_e32 v[34:35], v[26:27]
	v_dual_mov_b32 v18, v49 :: v_dual_bitop2_b32 v16, v52, v1 bitop3:0x40
	v_and_b32_e32 v20, v49, v1
	s_mov_b32 s11, exec_lo
	s_delay_alu instid0(VALU_DEP_1)
	v_cmpx_gt_u32_e64 v16, v20
; %bb.38:
	v_mov_b64_e32 v[34:35], v[38:39]
	v_mov_b64_e32 v[38:39], v[26:27]
	v_dual_mov_b32 v18, v52 :: v_dual_mov_b32 v52, v49
; %bb.39:
	s_or_b32 exec_lo, exec_lo, s11
	v_mov_b64_e32 v[20:21], v[32:33]
	v_dual_mov_b32 v49, v19 :: v_dual_bitop2_b32 v16, v36, v1 bitop3:0x40
	v_and_b32_e32 v24, v19, v1
	s_mov_b32 s11, exec_lo
	s_delay_alu instid0(VALU_DEP_1)
	v_cmpx_gt_u32_e64 v16, v24
	;; [unrolled: 12-line block ×8, first 2 shown]
; %bb.52:
	v_mov_b64_e32 v[26:27], v[30:31]
	v_mov_b64_e32 v[30:31], v[34:35]
	v_dual_mov_b32 v10, v39 :: v_dual_mov_b32 v39, v53
; %bb.53:
	s_or_b32 exec_lo, exec_lo, s11
	v_and_b32_e32 v11, v38, v1
	v_and_b32_e32 v15, v49, v1
	v_mov_b64_e32 v[22:23], v[20:21]
	s_delay_alu instid0(VALU_DEP_2)
	v_cmp_gt_u32_e64 s7, v11, v15
	v_mov_b32_e32 v15, v49
	s_and_saveexec_b32 s11, s7
; %bb.54:
	v_mov_b64_e32 v[22:23], v[24:25]
	v_mov_b64_e32 v[24:25], v[20:21]
	v_dual_mov_b32 v15, v38 :: v_dual_mov_b32 v38, v49
; %bb.55:
	s_or_b32 exec_lo, exec_lo, s11
	v_mov_b64_e32 v[28:29], v[32:33]
	v_dual_mov_b32 v49, v16 :: v_dual_bitop2_b32 v11, v16, v1 bitop3:0x40
	v_and_b32_e32 v20, v14, v1
	s_mov_b32 s11, exec_lo
	s_delay_alu instid0(VALU_DEP_1)
	v_cmpx_gt_u32_e64 v11, v20
; %bb.56:
	v_mov_b64_e32 v[28:29], v[12:13]
	v_mov_b64_e32 v[12:13], v[32:33]
	v_dual_mov_b32 v49, v14 :: v_dual_mov_b32 v14, v16
; %bb.57:
	s_or_b32 exec_lo, exec_lo, s11
	v_mov_b64_e32 v[32:33], v[30:31]
	v_dual_mov_b32 v53, v10 :: v_dual_bitop2_b32 v11, v10, v1 bitop3:0x40
	v_and_b32_e32 v16, v48, v1
	s_mov_b32 s11, exec_lo
	s_delay_alu instid0(VALU_DEP_1)
	v_cmpx_gt_u32_e64 v11, v16
; %bb.58:
	v_mov_b64_e32 v[32:33], v[36:37]
	v_mov_b64_e32 v[36:37], v[30:31]
	v_dual_mov_b32 v53, v48 :: v_dual_mov_b32 v48, v10
; %bb.59:
	s_or_b32 exec_lo, exec_lo, s11
	v_mov_b64_e32 v[20:21], v[24:25]
	v_and_b32_e32 v10, v15, v1
	v_dual_mov_b32 v16, v39 :: v_dual_bitop2_b32 v11, v39, v1 bitop3:0x40
	s_mov_b32 s11, exec_lo
	s_delay_alu instid0(VALU_DEP_1)
	v_cmpx_gt_u32_e64 v10, v11
; %bb.60:
	v_mov_b64_e32 v[20:21], v[26:27]
	v_mov_b64_e32 v[26:27], v[24:25]
	v_dual_mov_b32 v16, v15 :: v_dual_mov_b32 v15, v39
; %bb.61:
	s_or_b32 exec_lo, exec_lo, s11
	v_mov_b64_e32 v[10:11], v[18:19]
	v_dual_mov_b32 v52, v38 :: v_dual_bitop2_b32 v24, v17, v1 bitop3:0x40
	v_and_b32_e32 v25, v38, v1
	s_mov_b32 s11, exec_lo
	s_delay_alu instid0(VALU_DEP_1)
	v_cmpx_gt_u32_e64 v24, v25
; %bb.62:
	v_mov_b64_e32 v[10:11], v[22:23]
	v_mov_b64_e32 v[22:23], v[18:19]
	v_dual_mov_b32 v52, v17 :: v_dual_mov_b32 v17, v38
; %bb.63:
	s_or_b32 exec_lo, exec_lo, s11
	v_mov_b64_e32 v[38:39], v[36:37]
	v_dual_mov_b32 v25, v48 :: v_dual_bitop2_b32 v18, v48, v1 bitop3:0x40
	v_and_b32_e32 v19, v49, v1
	;; [unrolled: 12-line block ×3, first 2 shown]
	s_mov_b32 s11, exec_lo
	s_delay_alu instid0(VALU_DEP_1)
	v_cmpx_gt_u32_e64 v19, v24
; %bb.66:
	v_mov_b64_e32 v[34:35], v[32:33]
	v_mov_b64_e32 v[32:33], v[26:27]
	v_dual_mov_b32 v18, v16 :: v_dual_mov_b32 v16, v53
; %bb.67:
	s_or_b32 exec_lo, exec_lo, s11
	v_and_b32_e32 v19, v52, v1
	v_and_b32_e32 v24, v15, v1
	v_mov_b64_e32 v[30:31], v[22:23]
	s_delay_alu instid0(VALU_DEP_2)
	v_cmp_gt_u32_e64 s7, v19, v24
	v_mov_b32_e32 v19, v15
	s_and_saveexec_b32 s11, s7
; %bb.68:
	v_mov_b64_e32 v[30:31], v[20:21]
	v_mov_b64_e32 v[20:21], v[22:23]
	v_dual_mov_b32 v19, v52 :: v_dual_mov_b32 v52, v15
; %bb.69:
	s_or_b32 exec_lo, exec_lo, s11
	v_dual_mov_b32 v15, v49 :: v_dual_bitop2_b32 v22, v49, v1 bitop3:0x40
	v_and_b32_e32 v23, v14, v1
	s_delay_alu instid0(VALU_DEP_1)
	v_cmp_gt_u32_e64 s7, v22, v23
	v_mov_b64_e32 v[22:23], v[28:29]
	s_and_saveexec_b32 s11, s7
; %bb.70:
	v_mov_b64_e32 v[22:23], v[12:13]
	v_mov_b64_e32 v[12:13], v[28:29]
	v_dual_mov_b32 v15, v14 :: v_dual_mov_b32 v14, v49
; %bb.71:
	s_or_b32 exec_lo, exec_lo, s11
	v_mov_b64_e32 v[28:29], v[32:33]
	v_dual_mov_b32 v36, v18 :: v_dual_bitop2_b32 v24, v18, v1 bitop3:0x40
	v_and_b32_e32 v26, v25, v1
	s_mov_b32 s11, exec_lo
	s_delay_alu instid0(VALU_DEP_1)
	v_cmpx_gt_u32_e64 v24, v26
; %bb.72:
	v_mov_b64_e32 v[28:29], v[38:39]
	v_mov_b64_e32 v[38:39], v[32:33]
	v_dual_mov_b32 v36, v25 :: v_dual_mov_b32 v25, v18
; %bb.73:
	s_or_b32 exec_lo, exec_lo, s11
	v_and_b32_e32 v18, v19, v1
	v_and_b32_e32 v24, v16, v1
	v_mov_b64_e32 v[48:49], v[20:21]
	s_delay_alu instid0(VALU_DEP_2)
	v_cmp_gt_u32_e64 s7, v18, v24
	v_mov_b32_e32 v18, v16
	s_and_saveexec_b32 s11, s7
; %bb.74:
	v_mov_b64_e32 v[48:49], v[34:35]
	v_mov_b64_e32 v[34:35], v[20:21]
	v_dual_mov_b32 v18, v19 :: v_dual_mov_b32 v19, v16
; %bb.75:
	s_or_b32 exec_lo, exec_lo, s11
	v_dual_mov_b32 v24, v25 :: v_dual_bitop2_b32 v16, v25, v1 bitop3:0x40
	v_and_b32_e32 v20, v15, v1
	s_delay_alu instid0(VALU_DEP_1)
	v_cmp_gt_u32_e64 s7, v16, v20
	v_mov_b64_e32 v[20:21], v[38:39]
	s_and_saveexec_b32 s11, s7
; %bb.76:
	v_mov_b64_e32 v[20:21], v[22:23]
	v_mov_b64_e32 v[22:23], v[38:39]
	v_dual_mov_b32 v24, v15 :: v_dual_mov_b32 v15, v25
; %bb.77:
	s_or_b32 exec_lo, exec_lo, s11
	v_dual_mov_b32 v25, v36 :: v_dual_bitop2_b32 v16, v18, v1 bitop3:0x40
	v_and_b32_e32 v26, v36, v1
	s_delay_alu instid0(VALU_DEP_1)
	v_cmp_gt_u32_e64 s7, v16, v26
	v_mov_b64_e32 v[26:27], v[34:35]
	s_and_saveexec_b32 s11, s7
; %bb.78:
	v_mov_b64_e32 v[26:27], v[28:29]
	v_mov_b64_e32 v[28:29], v[34:35]
	v_dual_mov_b32 v25, v18 :: v_dual_mov_b32 v18, v36
; %bb.79:
	s_or_b32 exec_lo, exec_lo, s11
	v_and_b32_e32 v16, v17, v1
	v_and_b32_e32 v32, v52, v1
	v_mov_b64_e32 v[36:37], v[48:49]
	s_mov_b32 s11, exec_lo
	s_delay_alu instid0(VALU_DEP_2) | instskip(NEXT) | instid1(VALU_DEP_1)
	v_cmp_gt_u32_e64 s7, v16, v32
	v_dual_cndmask_b32 v32, v30, v10, s7 :: v_dual_bitop2_b32 v38, v19, v1 bitop3:0x40
	v_dual_cndmask_b32 v16, v52, v17, s7 :: v_dual_cndmask_b32 v33, v31, v11, s7
	v_dual_cndmask_b32 v35, v11, v31, s7 :: v_dual_cndmask_b32 v34, v10, v30, s7
	v_mov_b64_e32 v[10:11], v[18:19]
	s_delay_alu instid0(VALU_DEP_3) | instskip(NEXT) | instid1(VALU_DEP_1)
	v_dual_cndmask_b32 v17, v17, v52, s7 :: v_dual_bitop2_b32 v39, v16, v1 bitop3:0x40
	v_cmpx_gt_u32_e64 v39, v38
; %bb.80:
	v_dual_mov_b32 v30, v16 :: v_dual_mov_b32 v10, v18
	v_mov_b64_e32 v[36:37], v[32:33]
	v_mov_b64_e32 v[32:33], v[48:49]
	v_dual_mov_b32 v11, v16 :: v_dual_mov_b32 v16, v19
	s_delay_alu instid0(VALU_DEP_4)
	v_mov_b32_e32 v19, v30
; %bb.81:
	s_or_b32 exec_lo, exec_lo, s11
.LBB503_82:
	s_delay_alu instid0(SALU_CYCLE_1) | instskip(SKIP_4) | instid1(VALU_DEP_3)
	s_or_b32 exec_lo, exec_lo, s10
	v_and_b32_e32 v30, 0xffffff00, v5
	v_or_b32_e32 v31, 8, v50
	v_and_b32_e32 v64, 0xf0, v50
	s_mov_b32 s10, exec_lo
	v_sub_nc_u32_e64 v38, 0x800, v30 clamp
	s_delay_alu instid0(VALU_DEP_1) | instskip(NEXT) | instid1(VALU_DEP_1)
	v_min_u32_e32 v53, v38, v31
	v_dual_sub_nc_u32 v66, v53, v64 :: v_dual_bitop2_b32 v39, 8, v50 bitop3:0x40
	v_add_min_u32_e64 v54, v53, 8, v38
	v_lshlrev_b32_e32 v5, 2, v30
	s_delay_alu instid0(VALU_DEP_3) | instskip(NEXT) | instid1(VALU_DEP_3)
	v_min_u32_e32 v65, v38, v39
	v_sub_nc_u32_e32 v55, v54, v53
	s_delay_alu instid0(VALU_DEP_3) | instskip(SKIP_1) | instid1(VALU_DEP_4)
	v_add_nc_u32_e32 v30, v5, v5
	v_lshl_or_b32 v31, v50, 2, v5
	v_min_u32_e32 v66, v65, v66
	s_delay_alu instid0(VALU_DEP_4) | instskip(NEXT) | instid1(VALU_DEP_4)
	v_sub_nc_u32_e64 v55, v65, v55 clamp
	v_lshl_add_u32 v52, v50, 3, v30
	s_delay_alu instid0(VALU_DEP_1)
	v_add_nc_u32_e32 v39, 0x2000, v52
	v_add_nc_u32_e32 v48, 0x2010, v52
	;; [unrolled: 1-line block ×3, first 2 shown]
	ds_store_2addr_b64 v39, v[12:13], v[22:23] offset1:1
	ds_store_2addr_b64 v48, v[20:21], v[28:29] offset1:1
	v_add_nc_u32_e32 v52, 0x2030, v52
	ds_store_2addr_b64 v31, v[14:15], v[24:25] offset1:1
	ds_store_2addr_b64 v31, v[10:11], v[16:17] offset0:2 offset1:3
	v_lshl_or_b32 v11, v64, 2, v5
	ds_store_2addr_b64 v49, v[26:27], v[36:37] offset1:1
	ds_store_2addr_b64 v52, v[32:33], v[34:35] offset1:1
	; wave barrier
	v_cmpx_lt_u32_e64 v55, v66
	s_cbranch_execz .LBB503_86
; %bb.83:
	v_lshlrev_b32_e32 v10, 2, v53
	v_lshlrev_b32_e32 v67, 2, v65
	s_mov_b32 s11, 0
	s_delay_alu instid0(VALU_DEP_1)
	v_add3_u32 v10, v5, v10, v67
.LBB503_84:                             ; =>This Inner Loop Header: Depth=1
	v_add_nc_u32_e32 v67, v66, v55
	s_delay_alu instid0(VALU_DEP_1) | instskip(NEXT) | instid1(VALU_DEP_1)
	v_lshrrev_b32_e32 v67, 1, v67
	v_not_b32_e32 v68, v67
	v_lshl_add_u32 v69, v67, 2, v11
	s_delay_alu instid0(VALU_DEP_2)
	v_lshl_add_u32 v68, v68, 2, v10
	ds_load_b32 v69, v69
	ds_load_b32 v68, v68
	s_wait_dscnt 0x1
	v_and_b32_e32 v69, v69, v1
	s_wait_dscnt 0x0
	v_and_b32_e32 v68, v68, v1
	s_delay_alu instid0(VALU_DEP_1) | instskip(NEXT) | instid1(VALU_DEP_1)
	v_cmp_gt_u32_e64 s7, v68, v69
	v_dual_add_nc_u32 v70, 1, v67 :: v_dual_cndmask_b32 v66, v66, v67, s7
	s_delay_alu instid0(VALU_DEP_1) | instskip(NEXT) | instid1(VALU_DEP_1)
	v_cndmask_b32_e64 v55, v70, v55, s7
	v_cmp_ge_u32_e64 s7, v55, v66
	s_or_b32 s11, s7, s11
	s_delay_alu instid0(SALU_CYCLE_1)
	s_and_not1_b32 exec_lo, exec_lo, s11
	s_cbranch_execnz .LBB503_84
; %bb.85:
	s_or_b32 exec_lo, exec_lo, s11
.LBB503_86:
	s_delay_alu instid0(SALU_CYCLE_1) | instskip(SKIP_1) | instid1(VALU_DEP_1)
	s_or_b32 exec_lo, exec_lo, s10
	v_dual_add_nc_u32 v10, v53, v65 :: v_dual_add_nc_u32 v65, v55, v64
	v_sub_nc_u32_e32 v64, v10, v55
	s_delay_alu instid0(VALU_DEP_2) | instskip(NEXT) | instid1(VALU_DEP_2)
	v_cmp_le_u32_e64 s7, v65, v53
	v_cmp_le_u32_e64 s10, v64, v54
	s_or_b32 s7, s7, s10
	s_delay_alu instid0(SALU_CYCLE_1)
	s_and_saveexec_b32 s21, s7
	s_cbranch_execz .LBB503_92
; %bb.87:
	v_cmp_lt_u32_e64 s7, v65, v53
                                        ; implicit-def: $vgpr10
	s_and_saveexec_b32 s10, s7
; %bb.88:
	v_lshl_add_u32 v10, v55, 2, v11
	ds_load_b32 v10, v10
; %bb.89:
	s_or_b32 exec_lo, exec_lo, s10
	v_cmp_ge_u32_e64 s10, v64, v54
	s_mov_b32 s12, exec_lo
                                        ; implicit-def: $vgpr11
	v_cmpx_lt_u32_e64 v64, v54
; %bb.90:
	v_lshl_add_u32 v11, v64, 2, v5
	ds_load_b32 v11, v11
; %bb.91:
	s_or_b32 exec_lo, exec_lo, s12
	s_wait_dscnt 0x0
	v_and_b32_e32 v12, v11, v1
	v_and_b32_e32 v13, v10, v1
	s_delay_alu instid0(VALU_DEP_1) | instskip(SKIP_1) | instid1(SALU_CYCLE_1)
	v_cmp_le_u32_e64 s11, v12, v13
	s_and_b32 s7, s7, s11
	s_or_b32 s7, s10, s7
	s_delay_alu instid0(SALU_CYCLE_1) | instskip(NEXT) | instid1(VALU_DEP_1)
	v_cndmask_b32_e64 v12, v64, v65, s7
	v_dual_cndmask_b32 v13, v54, v53, s7 :: v_dual_add_nc_u32 v14, 1, v12
	s_delay_alu instid0(VALU_DEP_1) | instskip(NEXT) | instid1(VALU_DEP_1)
	v_add_min_u32_e64 v13, v13, -1, v14
	v_lshl_add_u32 v13, v13, 2, v5
	ds_load_b32 v13, v13
	s_wait_dscnt 0x0
	v_dual_cndmask_b32 v15, v13, v11, s7 :: v_dual_cndmask_b32 v16, v10, v13, s7
	v_cndmask_b32_e64 v13, v65, v14, s7
	v_lshl_add_u32 v12, v12, 3, v30
	s_delay_alu instid0(VALU_DEP_3) | instskip(NEXT) | instid1(VALU_DEP_4)
	v_dual_cndmask_b32 v14, v14, v64, s7 :: v_dual_bitop2_b32 v17, v15, v1 bitop3:0x40
	v_and_b32_e32 v18, v16, v1
	s_delay_alu instid0(VALU_DEP_4) | instskip(NEXT) | instid1(VALU_DEP_3)
	v_cmp_lt_u32_e64 s10, v13, v53
	v_cmp_ge_u32_e64 s12, v14, v54
	s_delay_alu instid0(VALU_DEP_3) | instskip(SKIP_1) | instid1(SALU_CYCLE_1)
	v_cmp_le_u32_e64 s11, v17, v18
	s_and_b32 s10, s10, s11
	s_or_b32 s10, s12, s10
	s_delay_alu instid0(SALU_CYCLE_1) | instskip(SKIP_1) | instid1(VALU_DEP_2)
	v_cndmask_b32_e64 v17, v14, v13, s10
	v_cndmask_b32_e64 v18, v54, v53, s10
	v_add_nc_u32_e32 v19, 1, v17
	s_delay_alu instid0(VALU_DEP_1) | instskip(NEXT) | instid1(VALU_DEP_1)
	v_add_min_u32_e64 v18, v18, -1, v19
	v_lshl_add_u32 v18, v18, 2, v5
	ds_load_b32 v18, v18
	s_wait_dscnt 0x0
	v_cndmask_b32_e64 v24, v18, v15, s10
	v_dual_cndmask_b32 v13, v13, v19, s10 :: v_dual_cndmask_b32 v18, v16, v18, s10
	v_cndmask_b32_e64 v14, v19, v14, s10
	v_lshl_add_u32 v17, v17, 3, v30
	s_delay_alu instid0(VALU_DEP_4) | instskip(NEXT) | instid1(VALU_DEP_4)
	v_and_b32_e32 v20, v24, v1
	v_cmp_lt_u32_e64 s11, v13, v53
	v_and_b32_e32 v21, v18, v1
	v_cmp_ge_u32_e64 s13, v14, v54
	v_cndmask_b32_e64 v15, v15, v16, s10
	s_delay_alu instid0(VALU_DEP_3) | instskip(SKIP_1) | instid1(SALU_CYCLE_1)
	v_cmp_le_u32_e64 s12, v20, v21
	s_and_b32 s11, s11, s12
	s_or_b32 s11, s13, s11
	s_delay_alu instid0(SALU_CYCLE_1) | instskip(NEXT) | instid1(VALU_DEP_1)
	v_cndmask_b32_e64 v19, v14, v13, s11
	v_dual_cndmask_b32 v20, v54, v53, s11 :: v_dual_add_nc_u32 v21, 1, v19
	s_delay_alu instid0(VALU_DEP_1) | instskip(SKIP_3) | instid1(VALU_DEP_4)
	v_add_min_u32_e64 v20, v20, -1, v21
	v_cndmask_b32_e64 v13, v13, v21, s11
	v_cndmask_b32_e64 v14, v21, v14, s11
	v_lshl_add_u32 v19, v19, 3, v30
	v_lshl_add_u32 v20, v20, 2, v5
	s_delay_alu instid0(VALU_DEP_4) | instskip(NEXT) | instid1(VALU_DEP_4)
	v_cmp_lt_u32_e64 s12, v13, v53
	v_cmp_ge_u32_e64 s14, v14, v54
	ds_load_b32 v20, v20
	s_wait_dscnt 0x0
	v_cndmask_b32_e64 v25, v20, v24, s11
	v_dual_cndmask_b32 v55, v18, v20, s11 :: v_dual_cndmask_b32 v24, v24, v18, s11
	s_delay_alu instid0(VALU_DEP_2) | instskip(NEXT) | instid1(VALU_DEP_2)
	v_and_b32_e32 v20, v25, v1
	v_and_b32_e32 v22, v55, v1
	s_delay_alu instid0(VALU_DEP_1) | instskip(SKIP_1) | instid1(SALU_CYCLE_1)
	v_cmp_le_u32_e64 s13, v20, v22
	s_and_b32 s12, s12, s13
	s_or_b32 s12, s14, s12
	s_delay_alu instid0(SALU_CYCLE_1) | instskip(NEXT) | instid1(VALU_DEP_1)
	v_cndmask_b32_e64 v26, v14, v13, s12
	v_add_nc_u32_e32 v21, 1, v26
	s_delay_alu instid0(VALU_DEP_1) | instskip(NEXT) | instid1(VALU_DEP_1)
	v_dual_cndmask_b32 v14, v21, v14, s12 :: v_dual_cndmask_b32 v20, v54, v53, s12
	v_cmp_ge_u32_e64 s15, v14, v54
	s_delay_alu instid0(VALU_DEP_2) | instskip(NEXT) | instid1(VALU_DEP_1)
	v_add_min_u32_e64 v20, v20, -1, v21
	v_lshl_add_u32 v20, v20, 2, v5
	ds_load_b32 v20, v20
	s_wait_dscnt 0x0
	v_dual_cndmask_b32 v65, v55, v20, s12 :: v_dual_cndmask_b32 v64, v20, v25, s12
	v_cndmask_b32_e64 v13, v13, v21, s12
	v_cndmask_b32_e64 v25, v25, v55, s12
	s_delay_alu instid0(VALU_DEP_3) | instskip(NEXT) | instid1(VALU_DEP_4)
	v_and_b32_e32 v22, v65, v1
	v_and_b32_e32 v20, v64, v1
	s_delay_alu instid0(VALU_DEP_4) | instskip(NEXT) | instid1(VALU_DEP_2)
	v_cmp_lt_u32_e64 s13, v13, v53
	v_cmp_le_u32_e64 s14, v20, v22
	s_and_b32 s13, s13, s14
	s_delay_alu instid0(SALU_CYCLE_1) | instskip(NEXT) | instid1(SALU_CYCLE_1)
	s_or_b32 s13, s15, s13
	v_cndmask_b32_e64 v27, v14, v13, s13
	s_delay_alu instid0(VALU_DEP_1) | instskip(NEXT) | instid1(VALU_DEP_1)
	v_add_nc_u32_e32 v21, 1, v27
	v_dual_cndmask_b32 v14, v21, v14, s13 :: v_dual_cndmask_b32 v20, v54, v53, s13
	s_delay_alu instid0(VALU_DEP_1) | instskip(NEXT) | instid1(VALU_DEP_2)
	v_cmp_ge_u32_e64 s16, v14, v54
	v_add_min_u32_e64 v20, v20, -1, v21
	s_delay_alu instid0(VALU_DEP_1)
	v_lshl_add_u32 v20, v20, 2, v5
	ds_load_b32 v20, v20
	s_wait_dscnt 0x0
	v_cndmask_b32_e64 v67, v65, v20, s13
	v_dual_cndmask_b32 v66, v20, v64, s13 :: v_dual_cndmask_b32 v13, v13, v21, s13
	v_cndmask_b32_e64 v18, v64, v65, s13
	s_delay_alu instid0(VALU_DEP_3) | instskip(NEXT) | instid1(VALU_DEP_3)
	v_and_b32_e32 v22, v67, v1
	v_and_b32_e32 v20, v66, v1
	s_delay_alu instid0(VALU_DEP_4) | instskip(NEXT) | instid1(VALU_DEP_2)
	v_cmp_lt_u32_e64 s14, v13, v53
	v_cmp_le_u32_e64 s15, v20, v22
	s_and_b32 s14, s14, s15
	s_delay_alu instid0(SALU_CYCLE_1) | instskip(NEXT) | instid1(SALU_CYCLE_1)
	s_or_b32 s14, s16, s14
	v_cndmask_b32_e64 v28, v14, v13, s14
	s_delay_alu instid0(VALU_DEP_1) | instskip(NEXT) | instid1(VALU_DEP_1)
	v_dual_cndmask_b32 v20, v54, v53, s14 :: v_dual_add_nc_u32 v21, 1, v28
	v_add_min_u32_e64 v20, v20, -1, v21
	v_cndmask_b32_e64 v14, v21, v14, s14
	s_delay_alu instid0(VALU_DEP_2) | instskip(NEXT) | instid1(VALU_DEP_2)
	v_lshl_add_u32 v20, v20, 2, v5
	v_cmp_ge_u32_e64 s17, v14, v54
	ds_load_b32 v20, v20
	s_wait_dscnt 0x0
	v_dual_cndmask_b32 v68, v20, v66, s14 :: v_dual_cndmask_b32 v69, v67, v20, s14
	v_cndmask_b32_e64 v13, v13, v21, s14
	s_delay_alu instid0(VALU_DEP_2) | instskip(NEXT) | instid1(VALU_DEP_3)
	v_and_b32_e32 v20, v68, v1
	v_and_b32_e32 v22, v69, v1
	s_delay_alu instid0(VALU_DEP_3) | instskip(NEXT) | instid1(VALU_DEP_2)
	v_cmp_lt_u32_e64 s15, v13, v53
	v_cmp_le_u32_e64 s16, v20, v22
	s_and_b32 s15, s15, s16
	s_delay_alu instid0(SALU_CYCLE_1) | instskip(NEXT) | instid1(SALU_CYCLE_1)
	s_or_b32 s15, s17, s15
	v_cndmask_b32_e64 v29, v14, v13, s15
	v_cndmask_b32_e64 v20, v54, v53, s15
	;; [unrolled: 1-line block ×3, first 2 shown]
	s_delay_alu instid0(VALU_DEP_3) | instskip(SKIP_1) | instid1(VALU_DEP_2)
	v_add_nc_u32_e32 v21, 1, v29
	v_lshl_add_u32 v33, v29, 3, v30
	v_add_min_u32_e64 v20, v20, -1, v21
	v_cndmask_b32_e64 v14, v21, v14, s15
	s_delay_alu instid0(VALU_DEP_2) | instskip(NEXT) | instid1(VALU_DEP_2)
	v_lshl_add_u32 v20, v20, 2, v5
	v_cmp_ge_u32_e64 s18, v14, v54
	ds_load_b32 v20, v20
	s_wait_dscnt 0x0
	v_cndmask_b32_e64 v70, v20, v68, s15
	v_cndmask_b32_e64 v71, v69, v20, s15
	v_cndmask_b32_e64 v32, v13, v21, s15
	s_delay_alu instid0(VALU_DEP_3) | instskip(NEXT) | instid1(VALU_DEP_3)
	v_and_b32_e32 v13, v70, v1
	v_and_b32_e32 v20, v71, v1
	s_delay_alu instid0(VALU_DEP_3) | instskip(NEXT) | instid1(VALU_DEP_2)
	v_cmp_lt_u32_e64 s16, v32, v53
	v_cmp_le_u32_e64 s17, v13, v20
	ds_load_b64 v[12:13], v12 offset:8192
	ds_load_b64 v[22:23], v17 offset:8192
	v_lshl_add_u32 v17, v26, 3, v30
	ds_load_b64 v[20:21], v19 offset:8192
	v_lshl_add_u32 v19, v27, 3, v30
	s_and_b32 s16, s16, s17
	s_delay_alu instid0(SALU_CYCLE_1) | instskip(NEXT) | instid1(SALU_CYCLE_1)
	s_or_b32 s16, s18, s16
	v_cndmask_b32_e64 v14, v14, v32, s16
	v_lshl_add_u32 v32, v28, 3, v30
	s_delay_alu instid0(VALU_DEP_2)
	v_lshl_add_u32 v14, v14, 3, v30
	ds_load_b64 v[28:29], v17 offset:8192
	ds_load_b64 v[26:27], v19 offset:8192
	;; [unrolled: 1-line block ×5, first 2 shown]
	v_dual_cndmask_b32 v14, v11, v10, s7 :: v_dual_cndmask_b32 v19, v66, v67, s14
	v_cndmask_b32_e64 v17, v70, v71, s16
.LBB503_92:
	s_or_b32 exec_lo, exec_lo, s21
	v_and_b32_e32 v55, 0xe0, v50
	s_delay_alu instid0(VALU_DEP_2) | instskip(SKIP_1) | instid1(VALU_DEP_2)
	v_dual_mov_b32 v67, v17 :: v_dual_bitop2_b32 v53, 24, v50 bitop3:0x40
	s_mov_b32 s10, exec_lo
	v_dual_mov_b32 v66, v16 :: v_dual_bitop2_b32 v10, 16, v55 bitop3:0x54
	s_delay_alu instid0(VALU_DEP_2)
	v_min_u32_e32 v64, v38, v53
	; wave barrier
	s_wait_dscnt 0x6
	ds_store_2addr_b64 v39, v[12:13], v[22:23] offset1:1
	s_wait_dscnt 0x5
	ds_store_2addr_b64 v48, v[20:21], v[28:29] offset1:1
	ds_store_2addr_b64 v31, v[14:15], v[24:25] offset1:1
	ds_store_2addr_b64 v31, v[18:19], v[66:67] offset0:2 offset1:3
	v_min_u32_e32 v10, v38, v10
	s_wait_dscnt 0x6
	ds_store_2addr_b64 v49, v[26:27], v[36:37] offset1:1
	s_wait_dscnt 0x5
	ds_store_2addr_b64 v52, v[32:33], v[34:35] offset1:1
	; wave barrier
	v_add_min_u32_e64 v11, v10, 16, v38
	s_delay_alu instid0(VALU_DEP_1) | instskip(NEXT) | instid1(VALU_DEP_1)
	v_dual_sub_nc_u32 v53, v10, v55 :: v_dual_sub_nc_u32 v54, v11, v10
	v_min_u32_e32 v65, v64, v53
	s_delay_alu instid0(VALU_DEP_2) | instskip(SKIP_1) | instid1(VALU_DEP_2)
	v_sub_nc_u32_e64 v53, v64, v54 clamp
	v_lshl_add_u32 v54, v55, 2, v5
	v_cmpx_lt_u32_e64 v53, v65
	s_cbranch_execz .LBB503_96
; %bb.93:
	v_dual_lshlrev_b32 v66, 2, v10 :: v_dual_lshlrev_b32 v67, 2, v64
	s_mov_b32 s11, 0
	s_delay_alu instid0(VALU_DEP_1)
	v_add3_u32 v66, v5, v66, v67
.LBB503_94:                             ; =>This Inner Loop Header: Depth=1
	v_add_nc_u32_e32 v67, v65, v53
	s_delay_alu instid0(VALU_DEP_1) | instskip(NEXT) | instid1(VALU_DEP_1)
	v_lshrrev_b32_e32 v67, 1, v67
	v_not_b32_e32 v68, v67
	v_lshl_add_u32 v69, v67, 2, v54
	s_delay_alu instid0(VALU_DEP_2)
	v_lshl_add_u32 v68, v68, 2, v66
	ds_load_b32 v69, v69
	ds_load_b32 v68, v68
	s_wait_dscnt 0x1
	v_and_b32_e32 v69, v69, v1
	s_wait_dscnt 0x0
	v_dual_add_nc_u32 v70, 1, v67 :: v_dual_bitop2_b32 v68, v68, v1 bitop3:0x40
	s_delay_alu instid0(VALU_DEP_1) | instskip(NEXT) | instid1(VALU_DEP_1)
	v_cmp_gt_u32_e64 s7, v68, v69
	v_dual_cndmask_b32 v65, v65, v67, s7 :: v_dual_cndmask_b32 v53, v70, v53, s7
	s_delay_alu instid0(VALU_DEP_1) | instskip(SKIP_1) | instid1(SALU_CYCLE_1)
	v_cmp_ge_u32_e64 s7, v53, v65
	s_or_b32 s11, s7, s11
	s_and_not1_b32 exec_lo, exec_lo, s11
	s_cbranch_execnz .LBB503_94
; %bb.95:
	s_or_b32 exec_lo, exec_lo, s11
.LBB503_96:
	s_delay_alu instid0(SALU_CYCLE_1) | instskip(SKIP_1) | instid1(VALU_DEP_1)
	s_or_b32 exec_lo, exec_lo, s10
	v_dual_add_nc_u32 v65, v10, v64 :: v_dual_add_nc_u32 v64, v53, v55
	v_sub_nc_u32_e32 v55, v65, v53
	s_delay_alu instid0(VALU_DEP_2) | instskip(NEXT) | instid1(VALU_DEP_2)
	v_cmp_le_u32_e64 s7, v64, v10
	v_cmp_le_u32_e64 s10, v55, v11
	s_or_b32 s7, s7, s10
	s_delay_alu instid0(SALU_CYCLE_1)
	s_and_saveexec_b32 s21, s7
	s_cbranch_execz .LBB503_102
; %bb.97:
	v_cmp_lt_u32_e64 s7, v64, v10
                                        ; implicit-def: $vgpr14
	s_and_saveexec_b32 s10, s7
; %bb.98:
	v_lshl_add_u32 v12, v53, 2, v54
	ds_load_b32 v14, v12
; %bb.99:
	s_or_b32 exec_lo, exec_lo, s10
	v_cmp_ge_u32_e64 s10, v55, v11
	s_mov_b32 s12, exec_lo
                                        ; implicit-def: $vgpr15
	v_cmpx_lt_u32_e64 v55, v11
; %bb.100:
	v_lshl_add_u32 v12, v55, 2, v5
	ds_load_b32 v15, v12
; %bb.101:
	s_or_b32 exec_lo, exec_lo, s12
	s_wait_dscnt 0x0
	v_and_b32_e32 v12, v15, v1
	v_and_b32_e32 v13, v14, v1
	s_delay_alu instid0(VALU_DEP_1) | instskip(SKIP_1) | instid1(SALU_CYCLE_1)
	v_cmp_le_u32_e64 s11, v12, v13
	s_and_b32 s7, s7, s11
	s_or_b32 s7, s10, s7
	s_delay_alu instid0(SALU_CYCLE_1) | instskip(NEXT) | instid1(VALU_DEP_1)
	v_cndmask_b32_e64 v12, v55, v64, s7
	v_dual_cndmask_b32 v13, v11, v10, s7 :: v_dual_add_nc_u32 v16, 1, v12
	v_lshl_add_u32 v12, v12, 3, v30
	s_delay_alu instid0(VALU_DEP_2) | instskip(NEXT) | instid1(VALU_DEP_1)
	v_add_min_u32_e64 v13, v13, -1, v16
	v_lshl_add_u32 v13, v13, 2, v5
	ds_load_b32 v13, v13
	s_wait_dscnt 0x0
	v_dual_cndmask_b32 v17, v13, v15, s7 :: v_dual_cndmask_b32 v18, v14, v13, s7
	v_cndmask_b32_e64 v13, v64, v16, s7
	v_dual_cndmask_b32 v16, v16, v55, s7 :: v_dual_cndmask_b32 v14, v15, v14, s7
	s_delay_alu instid0(VALU_DEP_3) | instskip(NEXT) | instid1(VALU_DEP_4)
	v_and_b32_e32 v19, v17, v1
	v_and_b32_e32 v20, v18, v1
	s_delay_alu instid0(VALU_DEP_4) | instskip(NEXT) | instid1(VALU_DEP_4)
	v_cmp_lt_u32_e64 s10, v13, v10
	v_cmp_ge_u32_e64 s12, v16, v11
	s_delay_alu instid0(VALU_DEP_3) | instskip(SKIP_1) | instid1(SALU_CYCLE_1)
	v_cmp_le_u32_e64 s11, v19, v20
	s_and_b32 s10, s10, s11
	s_or_b32 s10, s12, s10
	s_delay_alu instid0(SALU_CYCLE_1) | instskip(NEXT) | instid1(VALU_DEP_1)
	v_dual_cndmask_b32 v19, v16, v13, s10 :: v_dual_cndmask_b32 v20, v11, v10, s10
	v_dual_cndmask_b32 v15, v17, v18, s10 :: v_dual_add_nc_u32 v21, 1, v19
	v_lshl_add_u32 v19, v19, 3, v30
	s_delay_alu instid0(VALU_DEP_2) | instskip(SKIP_2) | instid1(VALU_DEP_3)
	v_add_min_u32_e64 v20, v20, -1, v21
	v_cndmask_b32_e64 v13, v13, v21, s10
	v_cndmask_b32_e64 v16, v21, v16, s10
	v_lshl_add_u32 v20, v20, 2, v5
	s_delay_alu instid0(VALU_DEP_3) | instskip(NEXT) | instid1(VALU_DEP_3)
	v_cmp_lt_u32_e64 s11, v13, v10
	v_cmp_ge_u32_e64 s13, v16, v11
	ds_load_b32 v20, v20
	s_wait_dscnt 0x0
	v_dual_cndmask_b32 v24, v20, v17, s10 :: v_dual_cndmask_b32 v25, v18, v20, s10
	s_delay_alu instid0(VALU_DEP_1) | instskip(NEXT) | instid1(VALU_DEP_2)
	v_and_b32_e32 v20, v24, v1
	v_and_b32_e32 v22, v25, v1
	s_delay_alu instid0(VALU_DEP_1) | instskip(SKIP_1) | instid1(SALU_CYCLE_1)
	v_cmp_le_u32_e64 s12, v20, v22
	s_and_b32 s11, s11, s12
	s_or_b32 s11, s13, s11
	s_delay_alu instid0(SALU_CYCLE_1) | instskip(NEXT) | instid1(VALU_DEP_1)
	v_dual_cndmask_b32 v21, v11, v10, s11 :: v_dual_cndmask_b32 v20, v16, v13, s11
	v_add_nc_u32_e32 v22, 1, v20
	s_delay_alu instid0(VALU_DEP_1) | instskip(NEXT) | instid1(VALU_DEP_1)
	v_add_min_u32_e64 v21, v21, -1, v22
	v_lshl_add_u32 v21, v21, 2, v5
	ds_load_b32 v21, v21
	s_wait_dscnt 0x0
	v_cndmask_b32_e64 v53, v21, v24, s11
	v_cndmask_b32_e64 v54, v25, v21, s11
	v_dual_cndmask_b32 v13, v13, v22, s11 :: v_dual_cndmask_b32 v16, v22, v16, s11
	s_delay_alu instid0(VALU_DEP_3) | instskip(NEXT) | instid1(VALU_DEP_3)
	v_and_b32_e32 v21, v53, v1
	v_and_b32_e32 v23, v54, v1
	s_delay_alu instid0(VALU_DEP_3) | instskip(NEXT) | instid1(VALU_DEP_4)
	v_cmp_lt_u32_e64 s12, v13, v10
	v_cmp_ge_u32_e64 s14, v16, v11
	s_delay_alu instid0(VALU_DEP_3) | instskip(SKIP_1) | instid1(SALU_CYCLE_1)
	v_cmp_le_u32_e64 s13, v21, v23
	s_and_b32 s12, s12, s13
	s_or_b32 s12, s14, s12
	s_delay_alu instid0(SALU_CYCLE_1) | instskip(SKIP_1) | instid1(VALU_DEP_1)
	v_dual_cndmask_b32 v24, v24, v25, s11 :: v_dual_cndmask_b32 v25, v53, v54, s12
	v_dual_cndmask_b32 v26, v16, v13, s12 :: v_dual_cndmask_b32 v21, v11, v10, s12
	v_add_nc_u32_e32 v22, 1, v26
	s_delay_alu instid0(VALU_DEP_1) | instskip(NEXT) | instid1(VALU_DEP_1)
	v_add_min_u32_e64 v21, v21, -1, v22
	v_lshl_add_u32 v21, v21, 2, v5
	ds_load_b32 v21, v21
	s_wait_dscnt 0x0
	v_cndmask_b32_e64 v55, v21, v53, s12
	v_dual_cndmask_b32 v64, v54, v21, s12 :: v_dual_cndmask_b32 v13, v13, v22, s12
	s_delay_alu instid0(VALU_DEP_2) | instskip(NEXT) | instid1(VALU_DEP_2)
	v_dual_cndmask_b32 v16, v22, v16, s12 :: v_dual_bitop2_b32 v21, v55, v1 bitop3:0x40
	v_and_b32_e32 v23, v64, v1
	s_delay_alu instid0(VALU_DEP_3) | instskip(NEXT) | instid1(VALU_DEP_3)
	v_cmp_lt_u32_e64 s13, v13, v10
	v_cmp_ge_u32_e64 s15, v16, v11
	s_delay_alu instid0(VALU_DEP_3) | instskip(SKIP_1) | instid1(SALU_CYCLE_1)
	v_cmp_le_u32_e64 s14, v21, v23
	s_and_b32 s13, s13, s14
	s_or_b32 s13, s15, s13
	s_delay_alu instid0(SALU_CYCLE_1) | instskip(NEXT) | instid1(VALU_DEP_1)
	v_dual_cndmask_b32 v27, v16, v13, s13 :: v_dual_cndmask_b32 v21, v11, v10, s13
	v_add_nc_u32_e32 v22, 1, v27
	s_delay_alu instid0(VALU_DEP_1) | instskip(SKIP_1) | instid1(VALU_DEP_2)
	v_add_min_u32_e64 v21, v21, -1, v22
	v_dual_cndmask_b32 v13, v13, v22, s13 :: v_dual_cndmask_b32 v16, v22, v16, s13
	v_lshl_add_u32 v21, v21, 2, v5
	s_delay_alu instid0(VALU_DEP_2) | instskip(NEXT) | instid1(VALU_DEP_3)
	v_cmp_lt_u32_e64 s14, v13, v10
	v_cmp_ge_u32_e64 s16, v16, v11
	ds_load_b32 v21, v21
	s_wait_dscnt 0x0
	v_dual_cndmask_b32 v65, v21, v55, s13 :: v_dual_cndmask_b32 v66, v64, v21, s13
	s_delay_alu instid0(VALU_DEP_1) | instskip(NEXT) | instid1(VALU_DEP_2)
	v_and_b32_e32 v21, v65, v1
	v_and_b32_e32 v23, v66, v1
	s_delay_alu instid0(VALU_DEP_1) | instskip(SKIP_1) | instid1(SALU_CYCLE_1)
	v_cmp_le_u32_e64 s15, v21, v23
	s_and_b32 s14, s14, s15
	s_or_b32 s14, s16, s14
	s_delay_alu instid0(SALU_CYCLE_1) | instskip(NEXT) | instid1(VALU_DEP_1)
	v_dual_cndmask_b32 v18, v55, v64, s13 :: v_dual_cndmask_b32 v28, v16, v13, s14
	v_dual_cndmask_b32 v21, v11, v10, s14 :: v_dual_add_nc_u32 v22, 1, v28
	s_delay_alu instid0(VALU_DEP_1) | instskip(NEXT) | instid1(VALU_DEP_1)
	v_add_min_u32_e64 v21, v21, -1, v22
	v_lshl_add_u32 v21, v21, 2, v5
	ds_load_b32 v21, v21
	s_wait_dscnt 0x0
	v_cndmask_b32_e64 v67, v21, v65, s14
	v_dual_cndmask_b32 v68, v66, v21, s14 :: v_dual_cndmask_b32 v13, v13, v22, s14
	s_delay_alu instid0(VALU_DEP_2) | instskip(NEXT) | instid1(VALU_DEP_2)
	v_dual_cndmask_b32 v16, v22, v16, s14 :: v_dual_bitop2_b32 v21, v67, v1 bitop3:0x40
	v_and_b32_e32 v23, v68, v1
	s_delay_alu instid0(VALU_DEP_3) | instskip(NEXT) | instid1(VALU_DEP_3)
	v_cmp_lt_u32_e64 s15, v13, v10
	v_cmp_ge_u32_e64 s17, v16, v11
	s_delay_alu instid0(VALU_DEP_3) | instskip(SKIP_1) | instid1(SALU_CYCLE_1)
	v_cmp_le_u32_e64 s16, v21, v23
	s_and_b32 s15, s15, s16
	s_or_b32 s15, s17, s15
	s_delay_alu instid0(SALU_CYCLE_1) | instskip(NEXT) | instid1(VALU_DEP_1)
	v_dual_cndmask_b32 v29, v16, v13, s15 :: v_dual_cndmask_b32 v21, v11, v10, s15
	v_add_nc_u32_e32 v22, 1, v29
	s_delay_alu instid0(VALU_DEP_1) | instskip(SKIP_1) | instid1(VALU_DEP_2)
	v_add_min_u32_e64 v21, v21, -1, v22
	v_dual_cndmask_b32 v32, v13, v22, s15 :: v_dual_cndmask_b32 v16, v22, v16, s15
	v_lshl_add_u32 v21, v21, 2, v5
	s_delay_alu instid0(VALU_DEP_2) | instskip(NEXT) | instid1(VALU_DEP_3)
	v_cmp_lt_u32_e64 s16, v32, v10
	v_cmp_ge_u32_e64 s18, v16, v11
	v_lshl_add_u32 v10, v20, 3, v30
	v_lshl_add_u32 v11, v26, 3, v30
	ds_load_b32 v21, v21
	s_wait_dscnt 0x0
	v_dual_cndmask_b32 v69, v21, v67, s15 :: v_dual_cndmask_b32 v70, v68, v21, s15
	s_delay_alu instid0(VALU_DEP_1) | instskip(NEXT) | instid1(VALU_DEP_2)
	v_and_b32_e32 v13, v69, v1
	v_and_b32_e32 v21, v70, v1
	s_delay_alu instid0(VALU_DEP_1)
	v_cmp_le_u32_e64 s17, v13, v21
	ds_load_b64 v[12:13], v12 offset:8192
	ds_load_b64 v[22:23], v19 offset:8192
	;; [unrolled: 1-line block ×3, first 2 shown]
	v_lshl_add_u32 v19, v28, 3, v30
	s_and_b32 s16, s16, s17
	s_delay_alu instid0(SALU_CYCLE_1) | instskip(NEXT) | instid1(SALU_CYCLE_1)
	s_or_b32 s16, s18, s16
	v_cndmask_b32_e64 v10, v16, v32, s16
	v_lshl_add_u32 v16, v27, 3, v30
	v_lshl_add_u32 v32, v29, 3, v30
	v_cndmask_b32_e64 v17, v69, v70, s16
	s_delay_alu instid0(VALU_DEP_4)
	v_lshl_add_u32 v10, v10, 3, v30
	ds_load_b64 v[28:29], v11 offset:8192
	ds_load_b64 v[26:27], v16 offset:8192
	;; [unrolled: 1-line block ×5, first 2 shown]
	v_dual_cndmask_b32 v19, v65, v66, s14 :: v_dual_cndmask_b32 v16, v67, v68, s15
.LBB503_102:
	s_or_b32 exec_lo, exec_lo, s21
	v_and_b32_e32 v55, 0xc0, v50
	v_dual_mov_b32 v67, v17 :: v_dual_bitop2_b32 v53, 56, v50 bitop3:0x40
	s_mov_b32 s10, exec_lo
	s_delay_alu instid0(VALU_DEP_2) | instskip(NEXT) | instid1(VALU_DEP_2)
	v_dual_mov_b32 v66, v16 :: v_dual_bitop2_b32 v10, 32, v55 bitop3:0x54
	v_min_u32_e32 v64, v38, v53
	; wave barrier
	s_wait_dscnt 0x6
	ds_store_2addr_b64 v39, v[12:13], v[22:23] offset1:1
	s_wait_dscnt 0x5
	ds_store_2addr_b64 v48, v[20:21], v[28:29] offset1:1
	ds_store_2addr_b64 v31, v[14:15], v[24:25] offset1:1
	ds_store_2addr_b64 v31, v[18:19], v[66:67] offset0:2 offset1:3
	v_min_u32_e32 v10, v38, v10
	s_wait_dscnt 0x6
	ds_store_2addr_b64 v49, v[26:27], v[36:37] offset1:1
	s_wait_dscnt 0x5
	ds_store_2addr_b64 v52, v[32:33], v[34:35] offset1:1
	; wave barrier
	v_add_min_u32_e64 v11, v10, 32, v38
	s_delay_alu instid0(VALU_DEP_1) | instskip(NEXT) | instid1(VALU_DEP_1)
	v_dual_sub_nc_u32 v53, v10, v55 :: v_dual_sub_nc_u32 v54, v11, v10
	v_min_u32_e32 v65, v64, v53
	s_delay_alu instid0(VALU_DEP_2) | instskip(SKIP_1) | instid1(VALU_DEP_2)
	v_sub_nc_u32_e64 v53, v64, v54 clamp
	v_lshl_add_u32 v54, v55, 2, v5
	v_cmpx_lt_u32_e64 v53, v65
	s_cbranch_execz .LBB503_106
; %bb.103:
	v_dual_lshlrev_b32 v66, 2, v10 :: v_dual_lshlrev_b32 v67, 2, v64
	s_mov_b32 s11, 0
	s_delay_alu instid0(VALU_DEP_1)
	v_add3_u32 v66, v5, v66, v67
.LBB503_104:                            ; =>This Inner Loop Header: Depth=1
	v_add_nc_u32_e32 v67, v65, v53
	s_delay_alu instid0(VALU_DEP_1) | instskip(NEXT) | instid1(VALU_DEP_1)
	v_lshrrev_b32_e32 v67, 1, v67
	v_not_b32_e32 v68, v67
	v_lshl_add_u32 v69, v67, 2, v54
	s_delay_alu instid0(VALU_DEP_2)
	v_lshl_add_u32 v68, v68, 2, v66
	ds_load_b32 v69, v69
	ds_load_b32 v68, v68
	s_wait_dscnt 0x1
	v_and_b32_e32 v69, v69, v1
	s_wait_dscnt 0x0
	v_dual_add_nc_u32 v70, 1, v67 :: v_dual_bitop2_b32 v68, v68, v1 bitop3:0x40
	s_delay_alu instid0(VALU_DEP_1) | instskip(NEXT) | instid1(VALU_DEP_1)
	v_cmp_gt_u32_e64 s7, v68, v69
	v_dual_cndmask_b32 v65, v65, v67, s7 :: v_dual_cndmask_b32 v53, v70, v53, s7
	s_delay_alu instid0(VALU_DEP_1) | instskip(SKIP_1) | instid1(SALU_CYCLE_1)
	v_cmp_ge_u32_e64 s7, v53, v65
	s_or_b32 s11, s7, s11
	s_and_not1_b32 exec_lo, exec_lo, s11
	s_cbranch_execnz .LBB503_104
; %bb.105:
	s_or_b32 exec_lo, exec_lo, s11
.LBB503_106:
	s_delay_alu instid0(SALU_CYCLE_1) | instskip(SKIP_1) | instid1(VALU_DEP_1)
	s_or_b32 exec_lo, exec_lo, s10
	v_dual_add_nc_u32 v65, v10, v64 :: v_dual_add_nc_u32 v64, v53, v55
	v_sub_nc_u32_e32 v55, v65, v53
	s_delay_alu instid0(VALU_DEP_2) | instskip(NEXT) | instid1(VALU_DEP_2)
	v_cmp_le_u32_e64 s7, v64, v10
	v_cmp_le_u32_e64 s10, v55, v11
	s_or_b32 s7, s7, s10
	s_delay_alu instid0(SALU_CYCLE_1)
	s_and_saveexec_b32 s21, s7
	s_cbranch_execz .LBB503_112
; %bb.107:
	v_cmp_lt_u32_e64 s7, v64, v10
                                        ; implicit-def: $vgpr14
	s_and_saveexec_b32 s10, s7
; %bb.108:
	v_lshl_add_u32 v12, v53, 2, v54
	ds_load_b32 v14, v12
; %bb.109:
	s_or_b32 exec_lo, exec_lo, s10
	v_cmp_ge_u32_e64 s10, v55, v11
	s_mov_b32 s12, exec_lo
                                        ; implicit-def: $vgpr15
	v_cmpx_lt_u32_e64 v55, v11
; %bb.110:
	v_lshl_add_u32 v12, v55, 2, v5
	ds_load_b32 v15, v12
; %bb.111:
	s_or_b32 exec_lo, exec_lo, s12
	s_wait_dscnt 0x0
	v_and_b32_e32 v12, v15, v1
	v_and_b32_e32 v13, v14, v1
	s_delay_alu instid0(VALU_DEP_1) | instskip(SKIP_1) | instid1(SALU_CYCLE_1)
	v_cmp_le_u32_e64 s11, v12, v13
	s_and_b32 s7, s7, s11
	s_or_b32 s7, s10, s7
	s_delay_alu instid0(SALU_CYCLE_1) | instskip(NEXT) | instid1(VALU_DEP_1)
	v_cndmask_b32_e64 v12, v55, v64, s7
	v_dual_cndmask_b32 v13, v11, v10, s7 :: v_dual_add_nc_u32 v16, 1, v12
	v_lshl_add_u32 v12, v12, 3, v30
	s_delay_alu instid0(VALU_DEP_2) | instskip(NEXT) | instid1(VALU_DEP_1)
	v_add_min_u32_e64 v13, v13, -1, v16
	v_lshl_add_u32 v13, v13, 2, v5
	ds_load_b32 v13, v13
	s_wait_dscnt 0x0
	v_dual_cndmask_b32 v17, v13, v15, s7 :: v_dual_cndmask_b32 v18, v14, v13, s7
	v_cndmask_b32_e64 v13, v64, v16, s7
	v_dual_cndmask_b32 v16, v16, v55, s7 :: v_dual_cndmask_b32 v14, v15, v14, s7
	s_delay_alu instid0(VALU_DEP_3) | instskip(NEXT) | instid1(VALU_DEP_4)
	v_and_b32_e32 v19, v17, v1
	v_and_b32_e32 v20, v18, v1
	s_delay_alu instid0(VALU_DEP_4) | instskip(NEXT) | instid1(VALU_DEP_4)
	v_cmp_lt_u32_e64 s10, v13, v10
	v_cmp_ge_u32_e64 s12, v16, v11
	s_delay_alu instid0(VALU_DEP_3) | instskip(SKIP_1) | instid1(SALU_CYCLE_1)
	v_cmp_le_u32_e64 s11, v19, v20
	s_and_b32 s10, s10, s11
	s_or_b32 s10, s12, s10
	s_delay_alu instid0(SALU_CYCLE_1) | instskip(NEXT) | instid1(VALU_DEP_1)
	v_dual_cndmask_b32 v19, v16, v13, s10 :: v_dual_cndmask_b32 v20, v11, v10, s10
	v_dual_cndmask_b32 v15, v17, v18, s10 :: v_dual_add_nc_u32 v21, 1, v19
	v_lshl_add_u32 v19, v19, 3, v30
	s_delay_alu instid0(VALU_DEP_2) | instskip(SKIP_2) | instid1(VALU_DEP_3)
	v_add_min_u32_e64 v20, v20, -1, v21
	v_cndmask_b32_e64 v13, v13, v21, s10
	v_cndmask_b32_e64 v16, v21, v16, s10
	v_lshl_add_u32 v20, v20, 2, v5
	s_delay_alu instid0(VALU_DEP_3) | instskip(NEXT) | instid1(VALU_DEP_3)
	v_cmp_lt_u32_e64 s11, v13, v10
	v_cmp_ge_u32_e64 s13, v16, v11
	ds_load_b32 v20, v20
	s_wait_dscnt 0x0
	v_dual_cndmask_b32 v24, v20, v17, s10 :: v_dual_cndmask_b32 v25, v18, v20, s10
	s_delay_alu instid0(VALU_DEP_1) | instskip(NEXT) | instid1(VALU_DEP_2)
	v_and_b32_e32 v20, v24, v1
	v_and_b32_e32 v22, v25, v1
	s_delay_alu instid0(VALU_DEP_1) | instskip(SKIP_1) | instid1(SALU_CYCLE_1)
	v_cmp_le_u32_e64 s12, v20, v22
	s_and_b32 s11, s11, s12
	s_or_b32 s11, s13, s11
	s_delay_alu instid0(SALU_CYCLE_1) | instskip(NEXT) | instid1(VALU_DEP_1)
	v_dual_cndmask_b32 v21, v11, v10, s11 :: v_dual_cndmask_b32 v20, v16, v13, s11
	v_add_nc_u32_e32 v22, 1, v20
	s_delay_alu instid0(VALU_DEP_1) | instskip(NEXT) | instid1(VALU_DEP_1)
	v_add_min_u32_e64 v21, v21, -1, v22
	v_lshl_add_u32 v21, v21, 2, v5
	ds_load_b32 v21, v21
	s_wait_dscnt 0x0
	v_cndmask_b32_e64 v53, v21, v24, s11
	v_cndmask_b32_e64 v54, v25, v21, s11
	v_dual_cndmask_b32 v13, v13, v22, s11 :: v_dual_cndmask_b32 v16, v22, v16, s11
	s_delay_alu instid0(VALU_DEP_3) | instskip(NEXT) | instid1(VALU_DEP_3)
	v_and_b32_e32 v21, v53, v1
	v_and_b32_e32 v23, v54, v1
	s_delay_alu instid0(VALU_DEP_3) | instskip(NEXT) | instid1(VALU_DEP_4)
	v_cmp_lt_u32_e64 s12, v13, v10
	v_cmp_ge_u32_e64 s14, v16, v11
	s_delay_alu instid0(VALU_DEP_3) | instskip(SKIP_1) | instid1(SALU_CYCLE_1)
	v_cmp_le_u32_e64 s13, v21, v23
	s_and_b32 s12, s12, s13
	s_or_b32 s12, s14, s12
	s_delay_alu instid0(SALU_CYCLE_1) | instskip(SKIP_1) | instid1(VALU_DEP_1)
	v_dual_cndmask_b32 v24, v24, v25, s11 :: v_dual_cndmask_b32 v25, v53, v54, s12
	v_dual_cndmask_b32 v26, v16, v13, s12 :: v_dual_cndmask_b32 v21, v11, v10, s12
	v_add_nc_u32_e32 v22, 1, v26
	s_delay_alu instid0(VALU_DEP_1) | instskip(NEXT) | instid1(VALU_DEP_1)
	v_add_min_u32_e64 v21, v21, -1, v22
	v_lshl_add_u32 v21, v21, 2, v5
	ds_load_b32 v21, v21
	s_wait_dscnt 0x0
	v_cndmask_b32_e64 v55, v21, v53, s12
	v_dual_cndmask_b32 v64, v54, v21, s12 :: v_dual_cndmask_b32 v13, v13, v22, s12
	s_delay_alu instid0(VALU_DEP_2) | instskip(NEXT) | instid1(VALU_DEP_2)
	v_dual_cndmask_b32 v16, v22, v16, s12 :: v_dual_bitop2_b32 v21, v55, v1 bitop3:0x40
	v_and_b32_e32 v23, v64, v1
	s_delay_alu instid0(VALU_DEP_3) | instskip(NEXT) | instid1(VALU_DEP_3)
	v_cmp_lt_u32_e64 s13, v13, v10
	v_cmp_ge_u32_e64 s15, v16, v11
	s_delay_alu instid0(VALU_DEP_3) | instskip(SKIP_1) | instid1(SALU_CYCLE_1)
	v_cmp_le_u32_e64 s14, v21, v23
	s_and_b32 s13, s13, s14
	s_or_b32 s13, s15, s13
	s_delay_alu instid0(SALU_CYCLE_1) | instskip(NEXT) | instid1(VALU_DEP_1)
	v_dual_cndmask_b32 v27, v16, v13, s13 :: v_dual_cndmask_b32 v21, v11, v10, s13
	v_add_nc_u32_e32 v22, 1, v27
	s_delay_alu instid0(VALU_DEP_1) | instskip(SKIP_1) | instid1(VALU_DEP_2)
	v_add_min_u32_e64 v21, v21, -1, v22
	v_dual_cndmask_b32 v13, v13, v22, s13 :: v_dual_cndmask_b32 v16, v22, v16, s13
	v_lshl_add_u32 v21, v21, 2, v5
	s_delay_alu instid0(VALU_DEP_2) | instskip(NEXT) | instid1(VALU_DEP_3)
	v_cmp_lt_u32_e64 s14, v13, v10
	v_cmp_ge_u32_e64 s16, v16, v11
	ds_load_b32 v21, v21
	s_wait_dscnt 0x0
	v_dual_cndmask_b32 v65, v21, v55, s13 :: v_dual_cndmask_b32 v66, v64, v21, s13
	s_delay_alu instid0(VALU_DEP_1) | instskip(NEXT) | instid1(VALU_DEP_2)
	v_and_b32_e32 v21, v65, v1
	v_and_b32_e32 v23, v66, v1
	s_delay_alu instid0(VALU_DEP_1) | instskip(SKIP_1) | instid1(SALU_CYCLE_1)
	v_cmp_le_u32_e64 s15, v21, v23
	s_and_b32 s14, s14, s15
	s_or_b32 s14, s16, s14
	s_delay_alu instid0(SALU_CYCLE_1) | instskip(NEXT) | instid1(VALU_DEP_1)
	v_dual_cndmask_b32 v18, v55, v64, s13 :: v_dual_cndmask_b32 v28, v16, v13, s14
	v_dual_cndmask_b32 v21, v11, v10, s14 :: v_dual_add_nc_u32 v22, 1, v28
	s_delay_alu instid0(VALU_DEP_1) | instskip(NEXT) | instid1(VALU_DEP_1)
	v_add_min_u32_e64 v21, v21, -1, v22
	v_lshl_add_u32 v21, v21, 2, v5
	ds_load_b32 v21, v21
	s_wait_dscnt 0x0
	v_cndmask_b32_e64 v67, v21, v65, s14
	v_dual_cndmask_b32 v68, v66, v21, s14 :: v_dual_cndmask_b32 v13, v13, v22, s14
	s_delay_alu instid0(VALU_DEP_2) | instskip(NEXT) | instid1(VALU_DEP_2)
	v_dual_cndmask_b32 v16, v22, v16, s14 :: v_dual_bitop2_b32 v21, v67, v1 bitop3:0x40
	v_and_b32_e32 v23, v68, v1
	s_delay_alu instid0(VALU_DEP_3) | instskip(NEXT) | instid1(VALU_DEP_3)
	v_cmp_lt_u32_e64 s15, v13, v10
	v_cmp_ge_u32_e64 s17, v16, v11
	s_delay_alu instid0(VALU_DEP_3) | instskip(SKIP_1) | instid1(SALU_CYCLE_1)
	v_cmp_le_u32_e64 s16, v21, v23
	s_and_b32 s15, s15, s16
	s_or_b32 s15, s17, s15
	s_delay_alu instid0(SALU_CYCLE_1) | instskip(NEXT) | instid1(VALU_DEP_1)
	v_dual_cndmask_b32 v29, v16, v13, s15 :: v_dual_cndmask_b32 v21, v11, v10, s15
	v_add_nc_u32_e32 v22, 1, v29
	s_delay_alu instid0(VALU_DEP_1) | instskip(SKIP_1) | instid1(VALU_DEP_2)
	v_add_min_u32_e64 v21, v21, -1, v22
	v_dual_cndmask_b32 v32, v13, v22, s15 :: v_dual_cndmask_b32 v16, v22, v16, s15
	v_lshl_add_u32 v21, v21, 2, v5
	s_delay_alu instid0(VALU_DEP_2) | instskip(NEXT) | instid1(VALU_DEP_3)
	v_cmp_lt_u32_e64 s16, v32, v10
	v_cmp_ge_u32_e64 s18, v16, v11
	v_lshl_add_u32 v10, v20, 3, v30
	v_lshl_add_u32 v11, v26, 3, v30
	ds_load_b32 v21, v21
	s_wait_dscnt 0x0
	v_dual_cndmask_b32 v69, v21, v67, s15 :: v_dual_cndmask_b32 v70, v68, v21, s15
	s_delay_alu instid0(VALU_DEP_1) | instskip(NEXT) | instid1(VALU_DEP_2)
	v_and_b32_e32 v13, v69, v1
	v_and_b32_e32 v21, v70, v1
	s_delay_alu instid0(VALU_DEP_1)
	v_cmp_le_u32_e64 s17, v13, v21
	ds_load_b64 v[12:13], v12 offset:8192
	ds_load_b64 v[22:23], v19 offset:8192
	;; [unrolled: 1-line block ×3, first 2 shown]
	v_lshl_add_u32 v19, v28, 3, v30
	s_and_b32 s16, s16, s17
	s_delay_alu instid0(SALU_CYCLE_1) | instskip(NEXT) | instid1(SALU_CYCLE_1)
	s_or_b32 s16, s18, s16
	v_cndmask_b32_e64 v10, v16, v32, s16
	v_lshl_add_u32 v16, v27, 3, v30
	v_lshl_add_u32 v32, v29, 3, v30
	v_cndmask_b32_e64 v17, v69, v70, s16
	s_delay_alu instid0(VALU_DEP_4)
	v_lshl_add_u32 v10, v10, 3, v30
	ds_load_b64 v[28:29], v11 offset:8192
	ds_load_b64 v[26:27], v16 offset:8192
	;; [unrolled: 1-line block ×5, first 2 shown]
	v_dual_cndmask_b32 v19, v65, v66, s14 :: v_dual_cndmask_b32 v16, v67, v68, s15
.LBB503_112:
	s_or_b32 exec_lo, exec_lo, s21
	v_and_b32_e32 v50, 0x80, v50
	v_min_u32_e32 v51, v38, v51
	v_mov_b32_e32 v55, v17
	; wave barrier
	s_delay_alu instid0(VALU_DEP_3)
	v_or_b32_e32 v10, 64, v50
	s_mov_b32 s10, exec_lo
	v_mov_b32_e32 v54, v16
	s_wait_dscnt 0x6
	ds_store_2addr_b64 v39, v[12:13], v[22:23] offset1:1
	s_wait_dscnt 0x5
	ds_store_2addr_b64 v48, v[20:21], v[28:29] offset1:1
	ds_store_2addr_b64 v31, v[14:15], v[24:25] offset1:1
	ds_store_2addr_b64 v31, v[18:19], v[54:55] offset0:2 offset1:3
	v_min_u32_e32 v11, v38, v10
	v_lshl_add_u32 v31, v50, 2, v5
	s_wait_dscnt 0x6
	ds_store_2addr_b64 v49, v[26:27], v[36:37] offset1:1
	s_wait_dscnt 0x5
	ds_store_2addr_b64 v52, v[32:33], v[34:35] offset1:1
	; wave barrier
	v_add_min_u32_e64 v10, v11, 64, v38
	s_delay_alu instid0(VALU_DEP_1) | instskip(NEXT) | instid1(VALU_DEP_1)
	v_dual_sub_nc_u32 v38, v11, v50 :: v_dual_sub_nc_u32 v64, v10, v11
	v_min_u32_e32 v53, v51, v38
	s_delay_alu instid0(VALU_DEP_2) | instskip(NEXT) | instid1(VALU_DEP_1)
	v_sub_nc_u32_e64 v38, v51, v64 clamp
	v_cmpx_lt_u32_e64 v38, v53
	s_cbranch_execz .LBB503_116
; %bb.113:
	v_lshlrev_b32_e32 v39, 2, v11
	v_lshlrev_b32_e32 v48, 2, v51
	s_mov_b32 s11, 0
	s_delay_alu instid0(VALU_DEP_1)
	v_add3_u32 v39, v5, v39, v48
.LBB503_114:                            ; =>This Inner Loop Header: Depth=1
	v_add_nc_u32_e32 v48, v53, v38
	s_delay_alu instid0(VALU_DEP_1) | instskip(NEXT) | instid1(VALU_DEP_1)
	v_lshrrev_b32_e32 v48, 1, v48
	v_not_b32_e32 v49, v48
	v_lshl_add_u32 v52, v48, 2, v31
	s_delay_alu instid0(VALU_DEP_2)
	v_lshl_add_u32 v49, v49, 2, v39
	ds_load_b32 v52, v52
	ds_load_b32 v49, v49
	s_wait_dscnt 0x1
	v_and_b32_e32 v52, v52, v1
	s_wait_dscnt 0x0
	v_and_b32_e32 v49, v49, v1
	s_delay_alu instid0(VALU_DEP_1) | instskip(NEXT) | instid1(VALU_DEP_1)
	v_cmp_gt_u32_e64 s7, v49, v52
	v_dual_add_nc_u32 v54, 1, v48 :: v_dual_cndmask_b32 v53, v53, v48, s7
	s_delay_alu instid0(VALU_DEP_1) | instskip(NEXT) | instid1(VALU_DEP_1)
	v_cndmask_b32_e64 v38, v54, v38, s7
	v_cmp_ge_u32_e64 s7, v38, v53
	s_or_b32 s11, s7, s11
	s_delay_alu instid0(SALU_CYCLE_1)
	s_and_not1_b32 exec_lo, exec_lo, s11
	s_cbranch_execnz .LBB503_114
; %bb.115:
	s_or_b32 exec_lo, exec_lo, s11
.LBB503_116:
	s_delay_alu instid0(SALU_CYCLE_1) | instskip(SKIP_1) | instid1(VALU_DEP_1)
	s_or_b32 exec_lo, exec_lo, s10
	v_dual_add_nc_u32 v39, v11, v51 :: v_dual_add_nc_u32 v48, v38, v50
	v_sub_nc_u32_e32 v39, v39, v38
	s_delay_alu instid0(VALU_DEP_2) | instskip(NEXT) | instid1(VALU_DEP_2)
	v_cmp_le_u32_e64 s7, v48, v11
	v_cmp_le_u32_e64 s10, v39, v10
	s_or_b32 s7, s7, s10
	s_delay_alu instid0(SALU_CYCLE_1)
	s_and_saveexec_b32 s21, s7
	s_cbranch_execz .LBB503_122
; %bb.117:
	v_cmp_lt_u32_e64 s7, v48, v11
                                        ; implicit-def: $vgpr14
	s_and_saveexec_b32 s10, s7
; %bb.118:
	v_lshl_add_u32 v12, v38, 2, v31
	ds_load_b32 v14, v12
; %bb.119:
	s_or_b32 exec_lo, exec_lo, s10
	v_cmp_ge_u32_e64 s10, v39, v10
	s_mov_b32 s12, exec_lo
                                        ; implicit-def: $vgpr15
	v_cmpx_lt_u32_e64 v39, v10
; %bb.120:
	v_lshl_add_u32 v12, v39, 2, v5
	ds_load_b32 v15, v12
; %bb.121:
	s_or_b32 exec_lo, exec_lo, s12
	s_wait_dscnt 0x0
	v_and_b32_e32 v12, v15, v1
	v_and_b32_e32 v13, v14, v1
	s_delay_alu instid0(VALU_DEP_1) | instskip(SKIP_1) | instid1(SALU_CYCLE_1)
	v_cmp_le_u32_e64 s11, v12, v13
	s_and_b32 s7, s7, s11
	s_or_b32 s7, s10, s7
	s_delay_alu instid0(SALU_CYCLE_1) | instskip(NEXT) | instid1(VALU_DEP_1)
	v_dual_cndmask_b32 v12, v39, v48, s7 :: v_dual_cndmask_b32 v13, v10, v11, s7
	v_add_nc_u32_e32 v16, 1, v12
	v_lshl_add_u32 v12, v12, 3, v30
	s_delay_alu instid0(VALU_DEP_2) | instskip(NEXT) | instid1(VALU_DEP_1)
	v_add_min_u32_e64 v13, v13, -1, v16
	v_lshl_add_u32 v13, v13, 2, v5
	ds_load_b32 v13, v13
	s_wait_dscnt 0x0
	v_dual_cndmask_b32 v17, v13, v15, s7 :: v_dual_cndmask_b32 v18, v14, v13, s7
	v_cndmask_b32_e64 v13, v48, v16, s7
	v_dual_cndmask_b32 v16, v16, v39, s7 :: v_dual_cndmask_b32 v14, v15, v14, s7
	s_delay_alu instid0(VALU_DEP_3) | instskip(NEXT) | instid1(VALU_DEP_4)
	v_and_b32_e32 v19, v17, v1
	v_and_b32_e32 v20, v18, v1
	s_delay_alu instid0(VALU_DEP_4) | instskip(NEXT) | instid1(VALU_DEP_4)
	v_cmp_lt_u32_e64 s10, v13, v11
	v_cmp_ge_u32_e64 s12, v16, v10
	s_delay_alu instid0(VALU_DEP_3) | instskip(SKIP_1) | instid1(SALU_CYCLE_1)
	v_cmp_le_u32_e64 s11, v19, v20
	s_and_b32 s10, s10, s11
	s_or_b32 s10, s12, s10
	s_delay_alu instid0(SALU_CYCLE_1) | instskip(NEXT) | instid1(VALU_DEP_1)
	v_dual_cndmask_b32 v19, v16, v13, s10 :: v_dual_cndmask_b32 v20, v10, v11, s10
	v_add_nc_u32_e32 v21, 1, v19
	v_lshl_add_u32 v19, v19, 3, v30
	s_delay_alu instid0(VALU_DEP_2) | instskip(SKIP_2) | instid1(VALU_DEP_3)
	v_add_min_u32_e64 v20, v20, -1, v21
	v_cndmask_b32_e64 v13, v13, v21, s10
	v_cndmask_b32_e64 v16, v21, v16, s10
	v_lshl_add_u32 v20, v20, 2, v5
	s_delay_alu instid0(VALU_DEP_3) | instskip(NEXT) | instid1(VALU_DEP_3)
	v_cmp_lt_u32_e64 s11, v13, v11
	v_cmp_ge_u32_e64 s13, v16, v10
	ds_load_b32 v20, v20
	s_wait_dscnt 0x0
	v_dual_cndmask_b32 v24, v20, v17, s10 :: v_dual_cndmask_b32 v25, v18, v20, s10
	s_delay_alu instid0(VALU_DEP_1) | instskip(NEXT) | instid1(VALU_DEP_2)
	v_and_b32_e32 v20, v24, v1
	v_and_b32_e32 v22, v25, v1
	s_delay_alu instid0(VALU_DEP_1) | instskip(SKIP_1) | instid1(SALU_CYCLE_1)
	v_cmp_le_u32_e64 s12, v20, v22
	s_and_b32 s11, s11, s12
	s_or_b32 s11, s13, s11
	s_delay_alu instid0(SALU_CYCLE_1) | instskip(SKIP_1) | instid1(VALU_DEP_1)
	v_dual_cndmask_b32 v15, v17, v18, s10 :: v_dual_cndmask_b32 v21, v10, v11, s11
	v_cndmask_b32_e64 v20, v16, v13, s11
	v_add_nc_u32_e32 v22, 1, v20
	s_delay_alu instid0(VALU_DEP_1) | instskip(NEXT) | instid1(VALU_DEP_1)
	v_add_min_u32_e64 v21, v21, -1, v22
	v_lshl_add_u32 v21, v21, 2, v5
	ds_load_b32 v21, v21
	s_wait_dscnt 0x0
	v_cndmask_b32_e64 v31, v21, v24, s11
	v_cndmask_b32_e64 v38, v25, v21, s11
	v_dual_cndmask_b32 v13, v13, v22, s11 :: v_dual_cndmask_b32 v16, v22, v16, s11
	v_cndmask_b32_e64 v24, v24, v25, s11
	s_delay_alu instid0(VALU_DEP_4) | instskip(NEXT) | instid1(VALU_DEP_4)
	v_and_b32_e32 v21, v31, v1
	v_and_b32_e32 v23, v38, v1
	s_delay_alu instid0(VALU_DEP_4) | instskip(SKIP_1) | instid1(VALU_DEP_3)
	v_cmp_lt_u32_e64 s12, v13, v11
	v_cmp_ge_u32_e64 s14, v16, v10
	v_cmp_le_u32_e64 s13, v21, v23
	s_and_b32 s12, s12, s13
	s_delay_alu instid0(SALU_CYCLE_1) | instskip(NEXT) | instid1(SALU_CYCLE_1)
	s_or_b32 s12, s14, s12
	v_dual_cndmask_b32 v26, v16, v13, s12 :: v_dual_cndmask_b32 v21, v10, v11, s12
	v_cndmask_b32_e64 v25, v31, v38, s12
	s_delay_alu instid0(VALU_DEP_2) | instskip(NEXT) | instid1(VALU_DEP_1)
	v_add_nc_u32_e32 v22, 1, v26
	v_add_min_u32_e64 v21, v21, -1, v22
	v_cndmask_b32_e64 v13, v13, v22, s12
	s_delay_alu instid0(VALU_DEP_2) | instskip(NEXT) | instid1(VALU_DEP_2)
	v_lshl_add_u32 v21, v21, 2, v5
	v_cmp_lt_u32_e64 s13, v13, v11
	ds_load_b32 v21, v21
	s_wait_dscnt 0x0
	v_dual_cndmask_b32 v39, v21, v31, s12 :: v_dual_cndmask_b32 v48, v38, v21, s12
	s_delay_alu instid0(VALU_DEP_1) | instskip(NEXT) | instid1(VALU_DEP_2)
	v_dual_cndmask_b32 v16, v22, v16, s12 :: v_dual_bitop2_b32 v21, v39, v1 bitop3:0x40
	v_and_b32_e32 v23, v48, v1
	s_delay_alu instid0(VALU_DEP_2) | instskip(NEXT) | instid1(VALU_DEP_2)
	v_cmp_ge_u32_e64 s15, v16, v10
	v_cmp_le_u32_e64 s14, v21, v23
	s_and_b32 s13, s13, s14
	s_delay_alu instid0(SALU_CYCLE_1) | instskip(NEXT) | instid1(SALU_CYCLE_1)
	s_or_b32 s13, s15, s13
	v_dual_cndmask_b32 v27, v16, v13, s13 :: v_dual_cndmask_b32 v21, v10, v11, s13
	s_delay_alu instid0(VALU_DEP_1) | instskip(NEXT) | instid1(VALU_DEP_1)
	v_add_nc_u32_e32 v22, 1, v27
	v_add_min_u32_e64 v21, v21, -1, v22
	v_dual_cndmask_b32 v13, v13, v22, s13 :: v_dual_cndmask_b32 v16, v22, v16, s13
	s_delay_alu instid0(VALU_DEP_2) | instskip(NEXT) | instid1(VALU_DEP_2)
	v_lshl_add_u32 v21, v21, 2, v5
	v_cmp_lt_u32_e64 s14, v13, v11
	s_delay_alu instid0(VALU_DEP_3) | instskip(SKIP_3) | instid1(VALU_DEP_1)
	v_cmp_ge_u32_e64 s16, v16, v10
	ds_load_b32 v21, v21
	s_wait_dscnt 0x0
	v_dual_cndmask_b32 v49, v21, v39, s13 :: v_dual_cndmask_b32 v50, v48, v21, s13
	v_and_b32_e32 v21, v49, v1
	s_delay_alu instid0(VALU_DEP_2) | instskip(NEXT) | instid1(VALU_DEP_1)
	v_and_b32_e32 v23, v50, v1
	v_cmp_le_u32_e64 s15, v21, v23
	s_and_b32 s14, s14, s15
	s_delay_alu instid0(SALU_CYCLE_1) | instskip(NEXT) | instid1(SALU_CYCLE_1)
	s_or_b32 s14, s16, s14
	v_dual_cndmask_b32 v18, v39, v48, s13 :: v_dual_cndmask_b32 v28, v16, v13, s14
	s_delay_alu instid0(VALU_DEP_1) | instskip(NEXT) | instid1(VALU_DEP_1)
	v_dual_cndmask_b32 v21, v10, v11, s14 :: v_dual_add_nc_u32 v22, 1, v28
	v_add_min_u32_e64 v21, v21, -1, v22
	v_dual_cndmask_b32 v13, v13, v22, s14 :: v_dual_cndmask_b32 v16, v22, v16, s14
	s_delay_alu instid0(VALU_DEP_2) | instskip(NEXT) | instid1(VALU_DEP_2)
	v_lshl_add_u32 v21, v21, 2, v5
	v_cmp_lt_u32_e64 s15, v13, v11
	s_delay_alu instid0(VALU_DEP_3) | instskip(SKIP_4) | instid1(VALU_DEP_2)
	v_cmp_ge_u32_e64 s17, v16, v10
	ds_load_b32 v21, v21
	s_wait_dscnt 0x0
	v_cndmask_b32_e64 v51, v21, v49, s14
	v_cndmask_b32_e64 v52, v50, v21, s14
	v_and_b32_e32 v21, v51, v1
	s_delay_alu instid0(VALU_DEP_2) | instskip(NEXT) | instid1(VALU_DEP_1)
	v_and_b32_e32 v23, v52, v1
	v_cmp_le_u32_e64 s16, v21, v23
	s_and_b32 s15, s15, s16
	s_delay_alu instid0(SALU_CYCLE_1) | instskip(NEXT) | instid1(SALU_CYCLE_1)
	s_or_b32 s15, s17, s15
	v_dual_cndmask_b32 v29, v16, v13, s15 :: v_dual_cndmask_b32 v21, v10, v11, s15
	s_delay_alu instid0(VALU_DEP_1) | instskip(NEXT) | instid1(VALU_DEP_1)
	v_add_nc_u32_e32 v22, 1, v29
	v_add_min_u32_e64 v21, v21, -1, v22
	v_dual_cndmask_b32 v32, v13, v22, s15 :: v_dual_cndmask_b32 v16, v22, v16, s15
	s_delay_alu instid0(VALU_DEP_2) | instskip(NEXT) | instid1(VALU_DEP_2)
	v_lshl_add_u32 v5, v21, 2, v5
	v_cmp_lt_u32_e64 s16, v32, v11
	s_delay_alu instid0(VALU_DEP_3)
	v_cmp_ge_u32_e64 s18, v16, v10
	v_lshl_add_u32 v10, v26, 3, v30
	v_lshl_add_u32 v11, v27, 3, v30
	ds_load_b32 v5, v5
	s_wait_dscnt 0x0
	v_dual_cndmask_b32 v53, v5, v51, s15 :: v_dual_cndmask_b32 v5, v52, v5, s15
	s_delay_alu instid0(VALU_DEP_1) | instskip(NEXT) | instid1(VALU_DEP_2)
	v_and_b32_e32 v13, v53, v1
	v_and_b32_e32 v1, v5, v1
	s_delay_alu instid0(VALU_DEP_1)
	v_cmp_le_u32_e64 s17, v13, v1
	v_lshl_add_u32 v1, v20, 3, v30
	ds_load_b64 v[12:13], v12 offset:8192
	ds_load_b64 v[22:23], v19 offset:8192
	v_lshl_add_u32 v19, v29, 3, v30
	s_and_b32 s16, s16, s17
	ds_load_b64 v[20:21], v1 offset:8192
	s_or_b32 s16, s18, s16
	s_delay_alu instid0(SALU_CYCLE_1) | instskip(SKIP_2) | instid1(VALU_DEP_3)
	v_cndmask_b32_e64 v1, v16, v32, s16
	v_lshl_add_u32 v16, v28, 3, v30
	v_cndmask_b32_e64 v17, v53, v5, s16
	v_lshl_add_u32 v1, v1, 3, v30
	ds_load_b64 v[28:29], v10 offset:8192
	ds_load_b64 v[26:27], v11 offset:8192
	;; [unrolled: 1-line block ×5, first 2 shown]
	v_dual_cndmask_b32 v19, v49, v50, s14 :: v_dual_cndmask_b32 v16, v51, v52, s15
.LBB503_122:
	s_or_b32 exec_lo, exec_lo, s21
	; wave barrier
	s_wait_storecnt_dscnt 0x0
	s_barrier_signal -1
	s_barrier_wait -1
                                        ; implicit-def: $vgpr50
                                        ; implicit-def: $vgpr51
                                        ; implicit-def: $vgpr5
                                        ; implicit-def: $vgpr30
                                        ; implicit-def: $vgpr1
.LBB503_123:
	s_and_not1_saveexec_b32 s17, s20
	s_cbranch_execz .LBB503_221
; %bb.124:
	s_load_b64 s[10:11], s[8:9], 0x0
	s_bfe_u32 s12, ttmp6, 0x4000c
	s_bfe_u32 s14, ttmp6, 0x40010
	s_and_b32 s13, ttmp7, 0xffff
	s_add_co_i32 s12, s12, 1
	s_add_co_i32 s14, s14, 1
	s_and_b32 s7, ttmp6, 15
	s_bfe_u32 s15, ttmp6, 0x40004
	s_mul_i32 s12, ttmp9, s12
	s_mul_i32 s14, s13, s14
	s_add_co_i32 s7, s7, s12
	s_add_co_i32 s15, s15, s14
	s_cmp_eq_u32 s19, 0
	s_wait_loadcnt_dscnt 0x0
	v_mov_b64_e32 v[10:11], v[18:19]
	s_cselect_b32 s7, ttmp9, s7
	s_cselect_b32 s14, s13, s15
	s_mov_b32 s13, 0
	s_wait_kmcnt 0x0
	s_cmp_lt_u32 s7, s10
	s_cselect_b32 s12, 12, 18
	s_cmp_lt_u32 s14, s11
	s_mov_b32 s11, s13
	s_cselect_b32 s10, 14, 20
	s_delay_alu instid0(SALU_CYCLE_1)
	s_add_nc_u64 s[10:11], s[8:9], s[10:11]
	s_add_nc_u64 s[8:9], s[8:9], s[12:13]
	s_clause 0x1
	s_load_u16 s7, s[10:11], 0x0
	s_nop 0
	s_load_u16 s8, s[8:9], 0x0
	s_wait_kmcnt 0x0
	v_mad_u32_u24 v5, v30, s7, v5
	s_delay_alu instid0(VALU_DEP_1) | instskip(SKIP_1) | instid1(VALU_DEP_1)
	v_mul_lo_u32 v5, v5, s8
	s_mov_b32 s8, exec_lo
	v_add_lshl_u32 v1, v5, v1, 3
	s_delay_alu instid0(VALU_DEP_1)
	v_cmpx_gt_u32_e32 0x800, v1
	s_cbranch_execz .LBB503_180
; %bb.125:
	v_mov_b64_e32 v[30:31], v[22:23]
	v_mov_b32_e32 v5, v15
	s_mov_b32 s9, exec_lo
	v_cmpx_gt_i32_e64 v15, v14
; %bb.126:
	v_mov_b64_e32 v[30:31], v[12:13]
	v_mov_b64_e32 v[12:13], v[22:23]
	v_dual_mov_b32 v5, v14 :: v_dual_mov_b32 v14, v15
; %bb.127:
	s_or_b32 exec_lo, exec_lo, s9
	v_mov_b64_e32 v[38:39], v[28:29]
	v_mov_b32_e32 v49, v25
	s_mov_b32 s9, exec_lo
	v_cmpx_gt_i32_e64 v25, v24
; %bb.128:
	v_mov_b64_e32 v[38:39], v[20:21]
	v_mov_b64_e32 v[20:21], v[28:29]
	v_dual_mov_b32 v49, v24 :: v_dual_mov_b32 v24, v25
; %bb.129:
	s_or_b32 exec_lo, exec_lo, s9
	;; [unrolled: 10-line block ×4, first 2 shown]
	v_mov_b64_e32 v[28:29], v[20:21]
	v_cmp_gt_i32_e64 s7, v24, v5
	v_mov_b32_e32 v15, v24
	s_and_saveexec_b32 s9, s7
	s_delay_alu instid0(SALU_CYCLE_1)
	s_xor_b32 s7, exec_lo, s9
; %bb.134:
	v_mov_b64_e32 v[28:29], v[30:31]
	v_mov_b64_e32 v[30:31], v[20:21]
	v_dual_mov_b32 v15, v5 :: v_dual_mov_b32 v5, v24
; %bb.135:
	s_or_b32 exec_lo, exec_lo, s7
	v_mov_b64_e32 v[34:35], v[26:27]
	v_mov_b32_e32 v18, v49
	s_mov_b32 s9, exec_lo
	v_cmpx_gt_i32_e64 v48, v49
; %bb.136:
	v_mov_b64_e32 v[34:35], v[38:39]
	v_mov_b64_e32 v[38:39], v[26:27]
	v_dual_mov_b32 v18, v48 :: v_dual_mov_b32 v48, v49
; %bb.137:
	s_or_b32 exec_lo, exec_lo, s9
	v_mov_b64_e32 v[20:21], v[32:33]
	v_mov_b32_e32 v49, v19
	s_mov_b32 s9, exec_lo
	v_cmpx_gt_i32_e64 v36, v19
	;; [unrolled: 10-line block ×21, first 2 shown]
; %bb.176:
	v_mov_b64_e32 v[26:27], v[28:29]
	v_mov_b64_e32 v[28:29], v[34:35]
	v_dual_mov_b32 v25, v18 :: v_dual_mov_b32 v18, v36
; %bb.177:
	s_or_b32 exec_lo, exec_lo, s9
	v_cmp_gt_i32_e64 s7, v17, v5
	v_mov_b64_e32 v[36:37], v[48:49]
	s_mov_b32 s9, exec_lo
	v_dual_cndmask_b32 v35, v11, v31, s7 :: v_dual_cndmask_b32 v16, v5, v17, s7
	v_dual_cndmask_b32 v34, v10, v30, s7 :: v_dual_cndmask_b32 v33, v31, v11, s7
	;; [unrolled: 1-line block ×3, first 2 shown]
	v_mov_b64_e32 v[10:11], v[18:19]
	s_delay_alu instid0(VALU_DEP_4)
	v_cmpx_gt_i32_e64 v16, v19
; %bb.178:
	v_dual_mov_b32 v17, v16 :: v_dual_mov_b32 v10, v18
	s_delay_alu instid0(VALU_DEP_4) | instskip(SKIP_2) | instid1(VALU_DEP_4)
	v_mov_b64_e32 v[36:37], v[32:33]
	v_mov_b64_e32 v[32:33], v[48:49]
	v_dual_mov_b32 v11, v16 :: v_dual_mov_b32 v16, v19
	v_mov_b32_e32 v19, v17
; %bb.179:
	s_or_b32 exec_lo, exec_lo, s9
	v_mov_b32_e32 v17, v5
.LBB503_180:
	s_or_b32 exec_lo, exec_lo, s8
	v_and_b32_e32 v5, 0xffffff00, v1
	v_and_b32_e32 v55, 0xf0, v50
	s_mov_b32 s8, exec_lo
	v_or_b32_e32 v30, 8, v50
	s_delay_alu instid0(VALU_DEP_3) | instskip(SKIP_1) | instid1(VALU_DEP_2)
	v_dual_lshlrev_b32 v1, 2, v5 :: v_dual_bitop2_b32 v38, 8, v50 bitop3:0x40
	v_sub_nc_u32_e64 v31, 0x800, v5 clamp
	v_add_nc_u32_e32 v5, v1, v1
	s_delay_alu instid0(VALU_DEP_2) | instskip(SKIP_2) | instid1(VALU_DEP_4)
	v_min_u32_e32 v52, v31, v30
	v_lshl_or_b32 v30, v50, 2, v1
	v_min_u32_e32 v64, v31, v38
	v_lshl_add_u32 v49, v50, 3, v5
	s_delay_alu instid0(VALU_DEP_4) | instskip(SKIP_1) | instid1(VALU_DEP_3)
	v_add_min_u32_e64 v53, v52, 8, v31
	v_sub_nc_u32_e32 v65, v52, v55
	v_add_nc_u32_e32 v38, 0x2000, v49
	s_delay_alu instid0(VALU_DEP_3)
	v_sub_nc_u32_e32 v54, v53, v52
	v_add_nc_u32_e32 v39, 0x2010, v49
	v_add_nc_u32_e32 v48, 0x2020, v49
	;; [unrolled: 1-line block ×3, first 2 shown]
	ds_store_2addr_b64 v38, v[12:13], v[22:23] offset1:1
	ds_store_2addr_b64 v39, v[20:21], v[28:29] offset1:1
	v_sub_nc_u32_e64 v54, v64, v54 clamp
	v_min_u32_e32 v65, v64, v65
	ds_store_2addr_b64 v30, v[14:15], v[24:25] offset1:1
	ds_store_2addr_b64 v30, v[10:11], v[16:17] offset0:2 offset1:3
	v_lshl_or_b32 v11, v55, 2, v1
	ds_store_2addr_b64 v48, v[26:27], v[36:37] offset1:1
	ds_store_2addr_b64 v49, v[32:33], v[34:35] offset1:1
	; wave barrier
	v_cmpx_lt_u32_e64 v54, v65
	s_cbranch_execz .LBB503_184
; %bb.181:
	v_lshlrev_b32_e32 v10, 2, v52
	v_lshlrev_b32_e32 v66, 2, v64
	s_mov_b32 s9, 0
	s_delay_alu instid0(VALU_DEP_1)
	v_add3_u32 v10, v1, v10, v66
.LBB503_182:                            ; =>This Inner Loop Header: Depth=1
	v_add_nc_u32_e32 v66, v65, v54
	s_delay_alu instid0(VALU_DEP_1) | instskip(NEXT) | instid1(VALU_DEP_1)
	v_lshrrev_b32_e32 v66, 1, v66
	v_not_b32_e32 v67, v66
	v_lshl_add_u32 v68, v66, 2, v11
	s_delay_alu instid0(VALU_DEP_2) | instskip(SKIP_4) | instid1(VALU_DEP_1)
	v_lshl_add_u32 v67, v67, 2, v10
	ds_load_b32 v68, v68
	ds_load_b32 v67, v67
	s_wait_dscnt 0x0
	v_cmp_gt_i32_e64 s7, v67, v68
	v_dual_add_nc_u32 v69, 1, v66 :: v_dual_cndmask_b32 v65, v65, v66, s7
	s_delay_alu instid0(VALU_DEP_1) | instskip(NEXT) | instid1(VALU_DEP_1)
	v_cndmask_b32_e64 v54, v69, v54, s7
	v_cmp_ge_u32_e64 s7, v54, v65
	s_or_b32 s9, s7, s9
	s_delay_alu instid0(SALU_CYCLE_1)
	s_and_not1_b32 exec_lo, exec_lo, s9
	s_cbranch_execnz .LBB503_182
; %bb.183:
	s_or_b32 exec_lo, exec_lo, s9
.LBB503_184:
	s_delay_alu instid0(SALU_CYCLE_1) | instskip(SKIP_1) | instid1(VALU_DEP_1)
	s_or_b32 exec_lo, exec_lo, s8
	v_dual_add_nc_u32 v10, v52, v64 :: v_dual_add_nc_u32 v64, v54, v55
	v_sub_nc_u32_e32 v55, v10, v54
	s_delay_alu instid0(VALU_DEP_2) | instskip(NEXT) | instid1(VALU_DEP_2)
	v_cmp_le_u32_e64 s7, v64, v52
	v_cmp_le_u32_e64 s8, v55, v53
	s_or_b32 s7, s7, s8
	s_delay_alu instid0(SALU_CYCLE_1)
	s_and_saveexec_b32 s18, s7
	s_cbranch_execz .LBB503_190
; %bb.185:
	v_cmp_lt_u32_e64 s7, v64, v52
                                        ; implicit-def: $vgpr10
	s_and_saveexec_b32 s8, s7
; %bb.186:
	v_lshl_add_u32 v10, v54, 2, v11
	ds_load_b32 v10, v10
; %bb.187:
	s_or_b32 exec_lo, exec_lo, s8
	v_cmp_ge_u32_e64 s8, v55, v53
	s_mov_b32 s10, exec_lo
                                        ; implicit-def: $vgpr11
	v_cmpx_lt_u32_e64 v55, v53
; %bb.188:
	v_lshl_add_u32 v11, v55, 2, v1
	ds_load_b32 v11, v11
; %bb.189:
	s_or_b32 exec_lo, exec_lo, s10
	s_wait_dscnt 0x0
	v_cmp_le_i32_e64 s9, v11, v10
	s_and_b32 s7, s7, s9
	s_delay_alu instid0(SALU_CYCLE_1) | instskip(NEXT) | instid1(SALU_CYCLE_1)
	s_or_b32 s7, s8, s7
	v_cndmask_b32_e64 v12, v55, v64, s7
	v_cndmask_b32_e64 v13, v53, v52, s7
	s_delay_alu instid0(VALU_DEP_2) | instskip(NEXT) | instid1(VALU_DEP_1)
	v_add_nc_u32_e32 v14, 1, v12
	v_add_min_u32_e64 v13, v13, -1, v14
	s_delay_alu instid0(VALU_DEP_1)
	v_lshl_add_u32 v13, v13, 2, v1
	ds_load_b32 v13, v13
	s_wait_dscnt 0x0
	v_dual_cndmask_b32 v16, v13, v11, s7 :: v_dual_cndmask_b32 v15, v64, v14, s7
	v_cndmask_b32_e64 v17, v10, v13, s7
	v_cndmask_b32_e64 v13, v14, v55, s7
	v_lshl_add_u32 v12, v12, 3, v5
	s_delay_alu instid0(VALU_DEP_4) | instskip(NEXT) | instid1(VALU_DEP_4)
	v_cmp_lt_u32_e64 s8, v15, v52
	v_cmp_le_i32_e64 s9, v16, v17
	s_delay_alu instid0(VALU_DEP_4) | instskip(SKIP_1) | instid1(SALU_CYCLE_1)
	v_cmp_ge_u32_e64 s10, v13, v53
	s_and_b32 s8, s8, s9
	s_or_b32 s8, s10, s8
	s_delay_alu instid0(SALU_CYCLE_1) | instskip(NEXT) | instid1(VALU_DEP_1)
	v_cndmask_b32_e64 v14, v13, v15, s8
	v_dual_cndmask_b32 v18, v53, v52, s8 :: v_dual_add_nc_u32 v19, 1, v14
	v_lshl_add_u32 v14, v14, 3, v5
	s_delay_alu instid0(VALU_DEP_2) | instskip(SKIP_1) | instid1(VALU_DEP_2)
	v_add_min_u32_e64 v18, v18, -1, v19
	v_cndmask_b32_e64 v13, v19, v13, s8
	v_lshl_add_u32 v18, v18, 2, v1
	s_delay_alu instid0(VALU_DEP_2) | instskip(SKIP_4) | instid1(VALU_DEP_2)
	v_cmp_ge_u32_e64 s11, v13, v53
	ds_load_b32 v18, v18
	s_wait_dscnt 0x0
	v_dual_cndmask_b32 v15, v15, v19, s8 :: v_dual_cndmask_b32 v24, v18, v16, s8
	v_cndmask_b32_e64 v18, v17, v18, s8
	v_cmp_lt_u32_e64 s9, v15, v52
	s_delay_alu instid0(VALU_DEP_2) | instskip(SKIP_1) | instid1(SALU_CYCLE_1)
	v_cmp_le_i32_e64 s10, v24, v18
	s_and_b32 s9, s9, s10
	s_or_b32 s9, s11, s9
	s_delay_alu instid0(SALU_CYCLE_1) | instskip(NEXT) | instid1(VALU_DEP_1)
	v_cndmask_b32_e64 v19, v13, v15, s9
	v_dual_cndmask_b32 v20, v53, v52, s9 :: v_dual_add_nc_u32 v21, 1, v19
	s_delay_alu instid0(VALU_DEP_1) | instskip(SKIP_3) | instid1(VALU_DEP_4)
	v_add_min_u32_e64 v20, v20, -1, v21
	v_cndmask_b32_e64 v15, v15, v21, s9
	v_lshl_add_u32 v19, v19, 3, v5
	v_cndmask_b32_e64 v13, v21, v13, s9
	v_lshl_add_u32 v20, v20, 2, v1
	s_delay_alu instid0(VALU_DEP_4) | instskip(NEXT) | instid1(VALU_DEP_3)
	v_cmp_lt_u32_e64 s10, v15, v52
	v_cmp_ge_u32_e64 s12, v13, v53
	ds_load_b32 v20, v20
	s_wait_dscnt 0x0
	v_cndmask_b32_e64 v25, v20, v24, s9
	v_cndmask_b32_e64 v54, v18, v20, s9
	s_delay_alu instid0(VALU_DEP_1) | instskip(SKIP_1) | instid1(SALU_CYCLE_1)
	v_cmp_le_i32_e64 s11, v25, v54
	s_and_b32 s10, s10, s11
	s_or_b32 s10, s12, s10
	s_delay_alu instid0(SALU_CYCLE_1) | instskip(NEXT) | instid1(VALU_DEP_1)
	v_cndmask_b32_e64 v26, v13, v15, s10
	v_dual_cndmask_b32 v20, v53, v52, s10 :: v_dual_add_nc_u32 v21, 1, v26
	s_delay_alu instid0(VALU_DEP_1) | instskip(SKIP_1) | instid1(VALU_DEP_2)
	v_add_min_u32_e64 v20, v20, -1, v21
	v_cndmask_b32_e64 v13, v21, v13, s10
	v_lshl_add_u32 v20, v20, 2, v1
	s_delay_alu instid0(VALU_DEP_2) | instskip(SKIP_4) | instid1(VALU_DEP_2)
	v_cmp_ge_u32_e64 s13, v13, v53
	ds_load_b32 v20, v20
	s_wait_dscnt 0x0
	v_dual_cndmask_b32 v15, v15, v21, s10 :: v_dual_cndmask_b32 v64, v54, v20, s10
	v_cndmask_b32_e64 v55, v20, v25, s10
	v_cmp_lt_u32_e64 s11, v15, v52
	v_cndmask_b32_e64 v25, v25, v54, s10
	s_delay_alu instid0(VALU_DEP_3) | instskip(SKIP_1) | instid1(SALU_CYCLE_1)
	v_cmp_le_i32_e64 s12, v55, v64
	s_and_b32 s11, s11, s12
	s_or_b32 s11, s13, s11
	s_delay_alu instid0(SALU_CYCLE_1) | instskip(NEXT) | instid1(VALU_DEP_1)
	v_cndmask_b32_e64 v27, v13, v15, s11
	v_dual_add_nc_u32 v21, 1, v27 :: v_dual_cndmask_b32 v20, v53, v52, s11
	s_delay_alu instid0(VALU_DEP_1) | instskip(NEXT) | instid1(VALU_DEP_2)
	v_cndmask_b32_e64 v15, v15, v21, s11
	v_add_min_u32_e64 v20, v20, -1, v21
	v_cndmask_b32_e64 v13, v21, v13, s11
	s_delay_alu instid0(VALU_DEP_3) | instskip(NEXT) | instid1(VALU_DEP_3)
	v_cmp_lt_u32_e64 s12, v15, v52
	v_lshl_add_u32 v20, v20, 2, v1
	s_delay_alu instid0(VALU_DEP_3) | instskip(SKIP_4) | instid1(VALU_DEP_1)
	v_cmp_ge_u32_e64 s14, v13, v53
	ds_load_b32 v20, v20
	s_wait_dscnt 0x0
	v_cndmask_b32_e64 v65, v20, v55, s11
	v_cndmask_b32_e64 v66, v64, v20, s11
	v_cmp_le_i32_e64 s13, v65, v66
	s_and_b32 s12, s12, s13
	s_delay_alu instid0(SALU_CYCLE_1) | instskip(NEXT) | instid1(SALU_CYCLE_1)
	s_or_b32 s12, s14, s12
	v_cndmask_b32_e64 v28, v13, v15, s12
	s_delay_alu instid0(VALU_DEP_1) | instskip(NEXT) | instid1(VALU_DEP_1)
	v_add_nc_u32_e32 v21, 1, v28
	v_dual_cndmask_b32 v20, v53, v52, s12 :: v_dual_cndmask_b32 v15, v15, v21, s12
	s_delay_alu instid0(VALU_DEP_1) | instskip(NEXT) | instid1(VALU_DEP_2)
	v_add_min_u32_e64 v20, v20, -1, v21
	v_cmp_lt_u32_e64 s13, v15, v52
	s_delay_alu instid0(VALU_DEP_2) | instskip(SKIP_4) | instid1(VALU_DEP_2)
	v_lshl_add_u32 v20, v20, 2, v1
	ds_load_b32 v20, v20
	s_wait_dscnt 0x0
	v_dual_cndmask_b32 v67, v20, v65, s12 :: v_dual_cndmask_b32 v68, v66, v20, s12
	v_cndmask_b32_e64 v13, v21, v13, s12
	v_cmp_le_i32_e64 s14, v67, v68
	s_delay_alu instid0(VALU_DEP_2) | instskip(SKIP_1) | instid1(SALU_CYCLE_1)
	v_cmp_ge_u32_e64 s15, v13, v53
	s_and_b32 s13, s13, s14
	s_or_b32 s13, s15, s13
	s_delay_alu instid0(SALU_CYCLE_1) | instskip(SKIP_1) | instid1(VALU_DEP_2)
	v_dual_cndmask_b32 v24, v24, v18, s9 :: v_dual_cndmask_b32 v29, v13, v15, s13
	v_cndmask_b32_e64 v20, v53, v52, s13
	v_dual_cndmask_b32 v18, v55, v64, s11 :: v_dual_add_nc_u32 v21, 1, v29
	s_delay_alu instid0(VALU_DEP_1) | instskip(SKIP_3) | instid1(VALU_DEP_4)
	v_add_min_u32_e64 v20, v20, -1, v21
	v_cndmask_b32_e64 v15, v15, v21, s13
	v_cndmask_b32_e64 v32, v21, v13, s13
	v_lshl_add_u32 v33, v29, 3, v5
	v_lshl_add_u32 v20, v20, 2, v1
	s_delay_alu instid0(VALU_DEP_4) | instskip(NEXT) | instid1(VALU_DEP_4)
	v_cmp_lt_u32_e64 s14, v15, v52
	v_cmp_ge_u32_e64 s16, v32, v53
	ds_load_b32 v20, v20
	ds_load_b64 v[12:13], v12 offset:8192
	ds_load_b64 v[22:23], v14 offset:8192
	s_wait_dscnt 0x2
	v_cndmask_b32_e64 v69, v20, v67, s13
	v_cndmask_b32_e64 v70, v68, v20, s13
	ds_load_b64 v[20:21], v19 offset:8192
	v_lshl_add_u32 v19, v27, 3, v5
	v_cmp_le_i32_e64 s15, v69, v70
	s_and_b32 s14, s14, s15
	s_delay_alu instid0(SALU_CYCLE_1) | instskip(NEXT) | instid1(SALU_CYCLE_1)
	s_or_b32 s14, s16, s14
	v_cndmask_b32_e64 v14, v32, v15, s14
	v_lshl_add_u32 v15, v26, 3, v5
	v_lshl_add_u32 v32, v28, 3, v5
	s_delay_alu instid0(VALU_DEP_3)
	v_lshl_add_u32 v14, v14, 3, v5
	ds_load_b64 v[28:29], v15 offset:8192
	ds_load_b64 v[26:27], v19 offset:8192
	;; [unrolled: 1-line block ×5, first 2 shown]
	v_dual_cndmask_b32 v14, v11, v10, s7 :: v_dual_cndmask_b32 v15, v16, v17, s8
	v_dual_cndmask_b32 v19, v65, v66, s12 :: v_dual_cndmask_b32 v16, v67, v68, s13
	v_cndmask_b32_e64 v17, v69, v70, s14
.LBB503_190:
	s_or_b32 exec_lo, exec_lo, s18
	v_and_b32_e32 v54, 0xe0, v50
	s_delay_alu instid0(VALU_DEP_2) | instskip(SKIP_1) | instid1(VALU_DEP_2)
	v_dual_mov_b32 v67, v17 :: v_dual_bitop2_b32 v52, 24, v50 bitop3:0x40
	s_mov_b32 s8, exec_lo
	v_dual_mov_b32 v66, v16 :: v_dual_bitop2_b32 v10, 16, v54 bitop3:0x54
	s_delay_alu instid0(VALU_DEP_2)
	v_min_u32_e32 v55, v31, v52
	; wave barrier
	s_wait_dscnt 0x6
	ds_store_2addr_b64 v38, v[12:13], v[22:23] offset1:1
	s_wait_dscnt 0x5
	ds_store_2addr_b64 v39, v[20:21], v[28:29] offset1:1
	ds_store_2addr_b64 v30, v[14:15], v[24:25] offset1:1
	ds_store_2addr_b64 v30, v[18:19], v[66:67] offset0:2 offset1:3
	v_min_u32_e32 v10, v31, v10
	s_wait_dscnt 0x6
	ds_store_2addr_b64 v48, v[26:27], v[36:37] offset1:1
	s_wait_dscnt 0x5
	ds_store_2addr_b64 v49, v[32:33], v[34:35] offset1:1
	; wave barrier
	v_add_min_u32_e64 v11, v10, 16, v31
	v_sub_nc_u32_e32 v52, v10, v54
	s_delay_alu instid0(VALU_DEP_2) | instskip(NEXT) | instid1(VALU_DEP_2)
	v_sub_nc_u32_e32 v53, v11, v10
	v_min_u32_e32 v64, v55, v52
	s_delay_alu instid0(VALU_DEP_2) | instskip(SKIP_1) | instid1(VALU_DEP_2)
	v_sub_nc_u32_e64 v52, v55, v53 clamp
	v_lshl_add_u32 v53, v54, 2, v1
	v_cmpx_lt_u32_e64 v52, v64
	s_cbranch_execz .LBB503_194
; %bb.191:
	v_dual_lshlrev_b32 v65, 2, v10 :: v_dual_lshlrev_b32 v66, 2, v55
	s_mov_b32 s9, 0
	s_delay_alu instid0(VALU_DEP_1)
	v_add3_u32 v65, v1, v65, v66
.LBB503_192:                            ; =>This Inner Loop Header: Depth=1
	v_add_nc_u32_e32 v66, v64, v52
	s_delay_alu instid0(VALU_DEP_1) | instskip(NEXT) | instid1(VALU_DEP_1)
	v_lshrrev_b32_e32 v66, 1, v66
	v_not_b32_e32 v67, v66
	v_lshl_add_u32 v68, v66, 2, v53
	s_delay_alu instid0(VALU_DEP_2) | instskip(SKIP_4) | instid1(VALU_DEP_1)
	v_lshl_add_u32 v67, v67, 2, v65
	ds_load_b32 v68, v68
	ds_load_b32 v67, v67
	s_wait_dscnt 0x0
	v_cmp_gt_i32_e64 s7, v67, v68
	v_dual_add_nc_u32 v69, 1, v66 :: v_dual_cndmask_b32 v64, v64, v66, s7
	s_delay_alu instid0(VALU_DEP_1) | instskip(NEXT) | instid1(VALU_DEP_1)
	v_cndmask_b32_e64 v52, v69, v52, s7
	v_cmp_ge_u32_e64 s7, v52, v64
	s_or_b32 s9, s7, s9
	s_delay_alu instid0(SALU_CYCLE_1)
	s_and_not1_b32 exec_lo, exec_lo, s9
	s_cbranch_execnz .LBB503_192
; %bb.193:
	s_or_b32 exec_lo, exec_lo, s9
.LBB503_194:
	s_delay_alu instid0(SALU_CYCLE_1) | instskip(SKIP_1) | instid1(VALU_DEP_1)
	s_or_b32 exec_lo, exec_lo, s8
	v_dual_add_nc_u32 v64, v10, v55 :: v_dual_add_nc_u32 v55, v52, v54
	v_sub_nc_u32_e32 v54, v64, v52
	s_delay_alu instid0(VALU_DEP_2) | instskip(NEXT) | instid1(VALU_DEP_2)
	v_cmp_le_u32_e64 s7, v55, v10
	v_cmp_le_u32_e64 s8, v54, v11
	s_or_b32 s7, s7, s8
	s_delay_alu instid0(SALU_CYCLE_1)
	s_and_saveexec_b32 s18, s7
	s_cbranch_execz .LBB503_200
; %bb.195:
	v_cmp_lt_u32_e64 s7, v55, v10
                                        ; implicit-def: $vgpr14
	s_and_saveexec_b32 s8, s7
; %bb.196:
	v_lshl_add_u32 v12, v52, 2, v53
	ds_load_b32 v14, v12
; %bb.197:
	s_or_b32 exec_lo, exec_lo, s8
	v_cmp_ge_u32_e64 s8, v54, v11
	s_mov_b32 s10, exec_lo
                                        ; implicit-def: $vgpr15
	v_cmpx_lt_u32_e64 v54, v11
; %bb.198:
	v_lshl_add_u32 v12, v54, 2, v1
	ds_load_b32 v15, v12
; %bb.199:
	s_or_b32 exec_lo, exec_lo, s10
	s_wait_dscnt 0x0
	v_cmp_le_i32_e64 s9, v15, v14
	s_and_b32 s7, s7, s9
	s_delay_alu instid0(SALU_CYCLE_1) | instskip(NEXT) | instid1(SALU_CYCLE_1)
	s_or_b32 s7, s8, s7
	v_dual_cndmask_b32 v12, v54, v55, s7 :: v_dual_cndmask_b32 v13, v11, v10, s7
	s_delay_alu instid0(VALU_DEP_1) | instskip(SKIP_1) | instid1(VALU_DEP_2)
	v_add_nc_u32_e32 v16, 1, v12
	v_lshl_add_u32 v12, v12, 3, v5
	v_add_min_u32_e64 v13, v13, -1, v16
	s_delay_alu instid0(VALU_DEP_1)
	v_lshl_add_u32 v13, v13, 2, v1
	ds_load_b32 v13, v13
	s_wait_dscnt 0x0
	v_dual_cndmask_b32 v18, v13, v15, s7 :: v_dual_cndmask_b32 v17, v55, v16, s7
	v_dual_cndmask_b32 v19, v14, v13, s7 :: v_dual_cndmask_b32 v13, v16, v54, s7
	v_cndmask_b32_e64 v14, v15, v14, s7
	s_delay_alu instid0(VALU_DEP_3) | instskip(NEXT) | instid1(VALU_DEP_3)
	v_cmp_lt_u32_e64 s8, v17, v10
	v_cmp_le_i32_e64 s9, v18, v19
	s_delay_alu instid0(VALU_DEP_4) | instskip(SKIP_1) | instid1(SALU_CYCLE_1)
	v_cmp_ge_u32_e64 s10, v13, v11
	s_and_b32 s8, s8, s9
	s_or_b32 s8, s10, s8
	s_delay_alu instid0(SALU_CYCLE_1) | instskip(NEXT) | instid1(VALU_DEP_1)
	v_dual_cndmask_b32 v16, v13, v17, s8 :: v_dual_cndmask_b32 v20, v11, v10, s8
	v_dual_cndmask_b32 v15, v18, v19, s8 :: v_dual_add_nc_u32 v21, 1, v16
	v_lshl_add_u32 v16, v16, 3, v5
	s_delay_alu instid0(VALU_DEP_2) | instskip(SKIP_1) | instid1(VALU_DEP_2)
	v_add_min_u32_e64 v20, v20, -1, v21
	v_cndmask_b32_e64 v13, v21, v13, s8
	v_lshl_add_u32 v20, v20, 2, v1
	s_delay_alu instid0(VALU_DEP_2) | instskip(SKIP_4) | instid1(VALU_DEP_2)
	v_cmp_ge_u32_e64 s11, v13, v11
	ds_load_b32 v20, v20
	s_wait_dscnt 0x0
	v_dual_cndmask_b32 v17, v17, v21, s8 :: v_dual_cndmask_b32 v24, v20, v18, s8
	v_cndmask_b32_e64 v25, v19, v20, s8
	v_cmp_lt_u32_e64 s9, v17, v10
	s_delay_alu instid0(VALU_DEP_2) | instskip(SKIP_1) | instid1(SALU_CYCLE_1)
	v_cmp_le_i32_e64 s10, v24, v25
	s_and_b32 s9, s9, s10
	s_or_b32 s9, s11, s9
	s_delay_alu instid0(SALU_CYCLE_1) | instskip(NEXT) | instid1(VALU_DEP_1)
	v_dual_cndmask_b32 v20, v13, v17, s9 :: v_dual_cndmask_b32 v21, v11, v10, s9
	v_add_nc_u32_e32 v22, 1, v20
	s_delay_alu instid0(VALU_DEP_1) | instskip(NEXT) | instid1(VALU_DEP_1)
	v_add_min_u32_e64 v21, v21, -1, v22
	v_lshl_add_u32 v21, v21, 2, v1
	ds_load_b32 v21, v21
	s_wait_dscnt 0x0
	v_cndmask_b32_e64 v52, v21, v24, s9
	v_cndmask_b32_e64 v53, v25, v21, s9
	v_dual_cndmask_b32 v17, v17, v22, s9 :: v_dual_cndmask_b32 v13, v22, v13, s9
	s_delay_alu instid0(VALU_DEP_2) | instskip(NEXT) | instid1(VALU_DEP_2)
	v_cmp_le_i32_e64 s11, v52, v53
	v_cmp_lt_u32_e64 s10, v17, v10
	s_delay_alu instid0(VALU_DEP_3) | instskip(SKIP_1) | instid1(SALU_CYCLE_1)
	v_cmp_ge_u32_e64 s12, v13, v11
	s_and_b32 s10, s10, s11
	s_or_b32 s10, s12, s10
	s_delay_alu instid0(SALU_CYCLE_1) | instskip(NEXT) | instid1(VALU_DEP_1)
	v_dual_cndmask_b32 v26, v13, v17, s10 :: v_dual_cndmask_b32 v21, v11, v10, s10
	v_add_nc_u32_e32 v22, 1, v26
	s_delay_alu instid0(VALU_DEP_1) | instskip(NEXT) | instid1(VALU_DEP_1)
	v_add_min_u32_e64 v21, v21, -1, v22
	v_lshl_add_u32 v21, v21, 2, v1
	ds_load_b32 v21, v21
	s_wait_dscnt 0x0
	v_cndmask_b32_e64 v54, v21, v52, s10
	v_dual_cndmask_b32 v17, v17, v22, s10 :: v_dual_cndmask_b32 v13, v22, v13, s10
	v_cndmask_b32_e64 v55, v53, v21, s10
	s_delay_alu instid0(VALU_DEP_2) | instskip(NEXT) | instid1(VALU_DEP_3)
	v_cmp_lt_u32_e64 s11, v17, v10
	v_cmp_ge_u32_e64 s13, v13, v11
	s_delay_alu instid0(VALU_DEP_3) | instskip(SKIP_1) | instid1(SALU_CYCLE_1)
	v_cmp_le_i32_e64 s12, v54, v55
	s_and_b32 s11, s11, s12
	s_or_b32 s11, s13, s11
	s_delay_alu instid0(SALU_CYCLE_1) | instskip(SKIP_1) | instid1(VALU_DEP_2)
	v_dual_cndmask_b32 v27, v13, v17, s11 :: v_dual_cndmask_b32 v21, v11, v10, s11
	v_dual_cndmask_b32 v24, v24, v25, s9 :: v_dual_cndmask_b32 v18, v54, v55, s11
	v_add_nc_u32_e32 v22, 1, v27
	s_delay_alu instid0(VALU_DEP_1) | instskip(NEXT) | instid1(VALU_DEP_1)
	v_add_min_u32_e64 v21, v21, -1, v22
	v_lshl_add_u32 v21, v21, 2, v1
	ds_load_b32 v21, v21
	s_wait_dscnt 0x0
	v_cndmask_b32_e64 v64, v21, v54, s11
	v_dual_cndmask_b32 v17, v17, v22, s11 :: v_dual_cndmask_b32 v65, v55, v21, s11
	v_cndmask_b32_e64 v13, v22, v13, s11
	s_delay_alu instid0(VALU_DEP_2) | instskip(NEXT) | instid1(VALU_DEP_3)
	v_cmp_lt_u32_e64 s12, v17, v10
	v_cmp_le_i32_e64 s13, v64, v65
	s_delay_alu instid0(VALU_DEP_3) | instskip(SKIP_1) | instid1(SALU_CYCLE_1)
	v_cmp_ge_u32_e64 s14, v13, v11
	s_and_b32 s12, s12, s13
	s_or_b32 s12, s14, s12
	s_delay_alu instid0(SALU_CYCLE_1) | instskip(NEXT) | instid1(VALU_DEP_1)
	v_dual_cndmask_b32 v21, v11, v10, s12 :: v_dual_cndmask_b32 v28, v13, v17, s12
	v_dual_cndmask_b32 v19, v64, v65, s12 :: v_dual_add_nc_u32 v22, 1, v28
	s_delay_alu instid0(VALU_DEP_1) | instskip(NEXT) | instid1(VALU_DEP_1)
	v_add_min_u32_e64 v21, v21, -1, v22
	v_lshl_add_u32 v21, v21, 2, v1
	ds_load_b32 v21, v21
	s_wait_dscnt 0x0
	v_cndmask_b32_e64 v66, v21, v64, s12
	v_cndmask_b32_e64 v67, v65, v21, s12
	v_dual_cndmask_b32 v17, v17, v22, s12 :: v_dual_cndmask_b32 v13, v22, v13, s12
	s_delay_alu instid0(VALU_DEP_2) | instskip(NEXT) | instid1(VALU_DEP_2)
	v_cmp_le_i32_e64 s14, v66, v67
	v_cmp_lt_u32_e64 s13, v17, v10
	s_delay_alu instid0(VALU_DEP_3) | instskip(SKIP_1) | instid1(SALU_CYCLE_1)
	v_cmp_ge_u32_e64 s15, v13, v11
	s_and_b32 s13, s13, s14
	s_or_b32 s13, s15, s13
	s_delay_alu instid0(SALU_CYCLE_1) | instskip(SKIP_1) | instid1(VALU_DEP_2)
	v_dual_cndmask_b32 v29, v13, v17, s13 :: v_dual_cndmask_b32 v21, v11, v10, s13
	v_cndmask_b32_e64 v25, v52, v53, s10
	v_add_nc_u32_e32 v22, 1, v29
	s_delay_alu instid0(VALU_DEP_1) | instskip(NEXT) | instid1(VALU_DEP_1)
	v_add_min_u32_e64 v21, v21, -1, v22
	v_lshl_add_u32 v21, v21, 2, v1
	ds_load_b32 v21, v21
	s_wait_dscnt 0x0
	v_cndmask_b32_e64 v68, v21, v66, s13
	v_dual_cndmask_b32 v17, v17, v22, s13 :: v_dual_cndmask_b32 v69, v67, v21, s13
	v_cndmask_b32_e64 v32, v22, v13, s13
	ds_load_b64 v[12:13], v12 offset:8192
	ds_load_b64 v[22:23], v16 offset:8192
	v_lshl_add_u32 v16, v27, 3, v5
	v_cmp_lt_u32_e64 s14, v17, v10
	v_cmp_le_i32_e64 s15, v68, v69
	v_cmp_ge_u32_e64 s16, v32, v11
	v_lshl_add_u32 v10, v20, 3, v5
	v_lshl_add_u32 v11, v26, 3, v5
	s_and_b32 s14, s14, s15
	s_delay_alu instid0(SALU_CYCLE_1) | instskip(SKIP_4) | instid1(VALU_DEP_3)
	s_or_b32 s14, s16, s14
	ds_load_b64 v[20:21], v10 offset:8192
	v_cndmask_b32_e64 v10, v32, v17, s14
	v_lshl_add_u32 v17, v28, 3, v5
	v_lshl_add_u32 v32, v29, 3, v5
	;; [unrolled: 1-line block ×3, first 2 shown]
	ds_load_b64 v[28:29], v11 offset:8192
	ds_load_b64 v[26:27], v16 offset:8192
	;; [unrolled: 1-line block ×5, first 2 shown]
	v_dual_cndmask_b32 v16, v66, v67, s13 :: v_dual_cndmask_b32 v17, v68, v69, s14
.LBB503_200:
	s_or_b32 exec_lo, exec_lo, s18
	v_and_b32_e32 v54, 0xc0, v50
	s_delay_alu instid0(VALU_DEP_2) | instskip(SKIP_1) | instid1(VALU_DEP_2)
	v_dual_mov_b32 v67, v17 :: v_dual_bitop2_b32 v52, 56, v50 bitop3:0x40
	s_mov_b32 s8, exec_lo
	v_dual_mov_b32 v66, v16 :: v_dual_bitop2_b32 v10, 32, v54 bitop3:0x54
	s_delay_alu instid0(VALU_DEP_2)
	v_min_u32_e32 v55, v31, v52
	; wave barrier
	s_wait_dscnt 0x6
	ds_store_2addr_b64 v38, v[12:13], v[22:23] offset1:1
	s_wait_dscnt 0x5
	ds_store_2addr_b64 v39, v[20:21], v[28:29] offset1:1
	ds_store_2addr_b64 v30, v[14:15], v[24:25] offset1:1
	ds_store_2addr_b64 v30, v[18:19], v[66:67] offset0:2 offset1:3
	v_min_u32_e32 v10, v31, v10
	s_wait_dscnt 0x6
	ds_store_2addr_b64 v48, v[26:27], v[36:37] offset1:1
	s_wait_dscnt 0x5
	ds_store_2addr_b64 v49, v[32:33], v[34:35] offset1:1
	; wave barrier
	v_add_min_u32_e64 v11, v10, 32, v31
	v_sub_nc_u32_e32 v52, v10, v54
	s_delay_alu instid0(VALU_DEP_2) | instskip(NEXT) | instid1(VALU_DEP_2)
	v_sub_nc_u32_e32 v53, v11, v10
	v_min_u32_e32 v64, v55, v52
	s_delay_alu instid0(VALU_DEP_2) | instskip(SKIP_1) | instid1(VALU_DEP_2)
	v_sub_nc_u32_e64 v52, v55, v53 clamp
	v_lshl_add_u32 v53, v54, 2, v1
	v_cmpx_lt_u32_e64 v52, v64
	s_cbranch_execz .LBB503_204
; %bb.201:
	v_dual_lshlrev_b32 v65, 2, v10 :: v_dual_lshlrev_b32 v66, 2, v55
	s_mov_b32 s9, 0
	s_delay_alu instid0(VALU_DEP_1)
	v_add3_u32 v65, v1, v65, v66
.LBB503_202:                            ; =>This Inner Loop Header: Depth=1
	v_add_nc_u32_e32 v66, v64, v52
	s_delay_alu instid0(VALU_DEP_1) | instskip(NEXT) | instid1(VALU_DEP_1)
	v_lshrrev_b32_e32 v66, 1, v66
	v_not_b32_e32 v67, v66
	v_lshl_add_u32 v68, v66, 2, v53
	s_delay_alu instid0(VALU_DEP_2) | instskip(SKIP_4) | instid1(VALU_DEP_1)
	v_lshl_add_u32 v67, v67, 2, v65
	ds_load_b32 v68, v68
	ds_load_b32 v67, v67
	s_wait_dscnt 0x0
	v_cmp_gt_i32_e64 s7, v67, v68
	v_dual_add_nc_u32 v69, 1, v66 :: v_dual_cndmask_b32 v64, v64, v66, s7
	s_delay_alu instid0(VALU_DEP_1) | instskip(NEXT) | instid1(VALU_DEP_1)
	v_cndmask_b32_e64 v52, v69, v52, s7
	v_cmp_ge_u32_e64 s7, v52, v64
	s_or_b32 s9, s7, s9
	s_delay_alu instid0(SALU_CYCLE_1)
	s_and_not1_b32 exec_lo, exec_lo, s9
	s_cbranch_execnz .LBB503_202
; %bb.203:
	s_or_b32 exec_lo, exec_lo, s9
.LBB503_204:
	s_delay_alu instid0(SALU_CYCLE_1) | instskip(SKIP_1) | instid1(VALU_DEP_1)
	s_or_b32 exec_lo, exec_lo, s8
	v_dual_add_nc_u32 v64, v10, v55 :: v_dual_add_nc_u32 v55, v52, v54
	v_sub_nc_u32_e32 v54, v64, v52
	s_delay_alu instid0(VALU_DEP_2) | instskip(NEXT) | instid1(VALU_DEP_2)
	v_cmp_le_u32_e64 s7, v55, v10
	v_cmp_le_u32_e64 s8, v54, v11
	s_or_b32 s7, s7, s8
	s_delay_alu instid0(SALU_CYCLE_1)
	s_and_saveexec_b32 s18, s7
	s_cbranch_execz .LBB503_210
; %bb.205:
	v_cmp_lt_u32_e64 s7, v55, v10
                                        ; implicit-def: $vgpr14
	s_and_saveexec_b32 s8, s7
; %bb.206:
	v_lshl_add_u32 v12, v52, 2, v53
	ds_load_b32 v14, v12
; %bb.207:
	s_or_b32 exec_lo, exec_lo, s8
	v_cmp_ge_u32_e64 s8, v54, v11
	s_mov_b32 s10, exec_lo
                                        ; implicit-def: $vgpr15
	v_cmpx_lt_u32_e64 v54, v11
; %bb.208:
	v_lshl_add_u32 v12, v54, 2, v1
	ds_load_b32 v15, v12
; %bb.209:
	s_or_b32 exec_lo, exec_lo, s10
	s_wait_dscnt 0x0
	v_cmp_le_i32_e64 s9, v15, v14
	s_and_b32 s7, s7, s9
	s_delay_alu instid0(SALU_CYCLE_1) | instskip(NEXT) | instid1(SALU_CYCLE_1)
	s_or_b32 s7, s8, s7
	v_dual_cndmask_b32 v12, v54, v55, s7 :: v_dual_cndmask_b32 v13, v11, v10, s7
	s_delay_alu instid0(VALU_DEP_1) | instskip(SKIP_1) | instid1(VALU_DEP_2)
	v_add_nc_u32_e32 v16, 1, v12
	v_lshl_add_u32 v12, v12, 3, v5
	v_add_min_u32_e64 v13, v13, -1, v16
	s_delay_alu instid0(VALU_DEP_1)
	v_lshl_add_u32 v13, v13, 2, v1
	ds_load_b32 v13, v13
	s_wait_dscnt 0x0
	v_dual_cndmask_b32 v18, v13, v15, s7 :: v_dual_cndmask_b32 v17, v55, v16, s7
	v_dual_cndmask_b32 v19, v14, v13, s7 :: v_dual_cndmask_b32 v13, v16, v54, s7
	v_cndmask_b32_e64 v14, v15, v14, s7
	s_delay_alu instid0(VALU_DEP_3) | instskip(NEXT) | instid1(VALU_DEP_3)
	v_cmp_lt_u32_e64 s8, v17, v10
	v_cmp_le_i32_e64 s9, v18, v19
	s_delay_alu instid0(VALU_DEP_4) | instskip(SKIP_1) | instid1(SALU_CYCLE_1)
	v_cmp_ge_u32_e64 s10, v13, v11
	s_and_b32 s8, s8, s9
	s_or_b32 s8, s10, s8
	s_delay_alu instid0(SALU_CYCLE_1) | instskip(NEXT) | instid1(VALU_DEP_1)
	v_dual_cndmask_b32 v16, v13, v17, s8 :: v_dual_cndmask_b32 v20, v11, v10, s8
	v_dual_cndmask_b32 v15, v18, v19, s8 :: v_dual_add_nc_u32 v21, 1, v16
	v_lshl_add_u32 v16, v16, 3, v5
	s_delay_alu instid0(VALU_DEP_2) | instskip(SKIP_1) | instid1(VALU_DEP_2)
	v_add_min_u32_e64 v20, v20, -1, v21
	v_cndmask_b32_e64 v13, v21, v13, s8
	v_lshl_add_u32 v20, v20, 2, v1
	s_delay_alu instid0(VALU_DEP_2) | instskip(SKIP_4) | instid1(VALU_DEP_2)
	v_cmp_ge_u32_e64 s11, v13, v11
	ds_load_b32 v20, v20
	s_wait_dscnt 0x0
	v_dual_cndmask_b32 v17, v17, v21, s8 :: v_dual_cndmask_b32 v24, v20, v18, s8
	v_cndmask_b32_e64 v25, v19, v20, s8
	v_cmp_lt_u32_e64 s9, v17, v10
	s_delay_alu instid0(VALU_DEP_2) | instskip(SKIP_1) | instid1(SALU_CYCLE_1)
	v_cmp_le_i32_e64 s10, v24, v25
	s_and_b32 s9, s9, s10
	s_or_b32 s9, s11, s9
	s_delay_alu instid0(SALU_CYCLE_1) | instskip(NEXT) | instid1(VALU_DEP_1)
	v_dual_cndmask_b32 v20, v13, v17, s9 :: v_dual_cndmask_b32 v21, v11, v10, s9
	v_add_nc_u32_e32 v22, 1, v20
	s_delay_alu instid0(VALU_DEP_1) | instskip(NEXT) | instid1(VALU_DEP_1)
	v_add_min_u32_e64 v21, v21, -1, v22
	v_lshl_add_u32 v21, v21, 2, v1
	ds_load_b32 v21, v21
	s_wait_dscnt 0x0
	v_cndmask_b32_e64 v52, v21, v24, s9
	v_cndmask_b32_e64 v53, v25, v21, s9
	v_dual_cndmask_b32 v17, v17, v22, s9 :: v_dual_cndmask_b32 v13, v22, v13, s9
	s_delay_alu instid0(VALU_DEP_2) | instskip(NEXT) | instid1(VALU_DEP_2)
	v_cmp_le_i32_e64 s11, v52, v53
	v_cmp_lt_u32_e64 s10, v17, v10
	s_delay_alu instid0(VALU_DEP_3) | instskip(SKIP_1) | instid1(SALU_CYCLE_1)
	v_cmp_ge_u32_e64 s12, v13, v11
	s_and_b32 s10, s10, s11
	s_or_b32 s10, s12, s10
	s_delay_alu instid0(SALU_CYCLE_1) | instskip(NEXT) | instid1(VALU_DEP_1)
	v_dual_cndmask_b32 v26, v13, v17, s10 :: v_dual_cndmask_b32 v21, v11, v10, s10
	v_add_nc_u32_e32 v22, 1, v26
	s_delay_alu instid0(VALU_DEP_1) | instskip(NEXT) | instid1(VALU_DEP_1)
	v_add_min_u32_e64 v21, v21, -1, v22
	v_lshl_add_u32 v21, v21, 2, v1
	ds_load_b32 v21, v21
	s_wait_dscnt 0x0
	v_cndmask_b32_e64 v54, v21, v52, s10
	v_dual_cndmask_b32 v17, v17, v22, s10 :: v_dual_cndmask_b32 v13, v22, v13, s10
	v_cndmask_b32_e64 v55, v53, v21, s10
	s_delay_alu instid0(VALU_DEP_2) | instskip(NEXT) | instid1(VALU_DEP_3)
	v_cmp_lt_u32_e64 s11, v17, v10
	v_cmp_ge_u32_e64 s13, v13, v11
	s_delay_alu instid0(VALU_DEP_3) | instskip(SKIP_1) | instid1(SALU_CYCLE_1)
	v_cmp_le_i32_e64 s12, v54, v55
	s_and_b32 s11, s11, s12
	s_or_b32 s11, s13, s11
	s_delay_alu instid0(SALU_CYCLE_1) | instskip(SKIP_1) | instid1(VALU_DEP_2)
	v_dual_cndmask_b32 v27, v13, v17, s11 :: v_dual_cndmask_b32 v21, v11, v10, s11
	v_dual_cndmask_b32 v24, v24, v25, s9 :: v_dual_cndmask_b32 v18, v54, v55, s11
	v_add_nc_u32_e32 v22, 1, v27
	s_delay_alu instid0(VALU_DEP_1) | instskip(NEXT) | instid1(VALU_DEP_1)
	v_add_min_u32_e64 v21, v21, -1, v22
	v_lshl_add_u32 v21, v21, 2, v1
	ds_load_b32 v21, v21
	s_wait_dscnt 0x0
	v_cndmask_b32_e64 v64, v21, v54, s11
	v_dual_cndmask_b32 v17, v17, v22, s11 :: v_dual_cndmask_b32 v65, v55, v21, s11
	v_cndmask_b32_e64 v13, v22, v13, s11
	s_delay_alu instid0(VALU_DEP_2) | instskip(NEXT) | instid1(VALU_DEP_3)
	v_cmp_lt_u32_e64 s12, v17, v10
	v_cmp_le_i32_e64 s13, v64, v65
	s_delay_alu instid0(VALU_DEP_3) | instskip(SKIP_1) | instid1(SALU_CYCLE_1)
	v_cmp_ge_u32_e64 s14, v13, v11
	s_and_b32 s12, s12, s13
	s_or_b32 s12, s14, s12
	s_delay_alu instid0(SALU_CYCLE_1) | instskip(NEXT) | instid1(VALU_DEP_1)
	v_dual_cndmask_b32 v21, v11, v10, s12 :: v_dual_cndmask_b32 v28, v13, v17, s12
	v_dual_cndmask_b32 v19, v64, v65, s12 :: v_dual_add_nc_u32 v22, 1, v28
	s_delay_alu instid0(VALU_DEP_1) | instskip(NEXT) | instid1(VALU_DEP_1)
	v_add_min_u32_e64 v21, v21, -1, v22
	v_lshl_add_u32 v21, v21, 2, v1
	ds_load_b32 v21, v21
	s_wait_dscnt 0x0
	v_cndmask_b32_e64 v66, v21, v64, s12
	v_cndmask_b32_e64 v67, v65, v21, s12
	v_dual_cndmask_b32 v17, v17, v22, s12 :: v_dual_cndmask_b32 v13, v22, v13, s12
	s_delay_alu instid0(VALU_DEP_2) | instskip(NEXT) | instid1(VALU_DEP_2)
	v_cmp_le_i32_e64 s14, v66, v67
	v_cmp_lt_u32_e64 s13, v17, v10
	s_delay_alu instid0(VALU_DEP_3) | instskip(SKIP_1) | instid1(SALU_CYCLE_1)
	v_cmp_ge_u32_e64 s15, v13, v11
	s_and_b32 s13, s13, s14
	s_or_b32 s13, s15, s13
	s_delay_alu instid0(SALU_CYCLE_1) | instskip(SKIP_1) | instid1(VALU_DEP_2)
	v_dual_cndmask_b32 v29, v13, v17, s13 :: v_dual_cndmask_b32 v21, v11, v10, s13
	v_cndmask_b32_e64 v25, v52, v53, s10
	v_add_nc_u32_e32 v22, 1, v29
	s_delay_alu instid0(VALU_DEP_1) | instskip(NEXT) | instid1(VALU_DEP_1)
	v_add_min_u32_e64 v21, v21, -1, v22
	v_lshl_add_u32 v21, v21, 2, v1
	ds_load_b32 v21, v21
	s_wait_dscnt 0x0
	v_cndmask_b32_e64 v68, v21, v66, s13
	v_dual_cndmask_b32 v17, v17, v22, s13 :: v_dual_cndmask_b32 v69, v67, v21, s13
	v_cndmask_b32_e64 v32, v22, v13, s13
	ds_load_b64 v[12:13], v12 offset:8192
	ds_load_b64 v[22:23], v16 offset:8192
	v_lshl_add_u32 v16, v27, 3, v5
	v_cmp_lt_u32_e64 s14, v17, v10
	v_cmp_le_i32_e64 s15, v68, v69
	v_cmp_ge_u32_e64 s16, v32, v11
	v_lshl_add_u32 v10, v20, 3, v5
	v_lshl_add_u32 v11, v26, 3, v5
	s_and_b32 s14, s14, s15
	s_delay_alu instid0(SALU_CYCLE_1) | instskip(SKIP_4) | instid1(VALU_DEP_3)
	s_or_b32 s14, s16, s14
	ds_load_b64 v[20:21], v10 offset:8192
	v_cndmask_b32_e64 v10, v32, v17, s14
	v_lshl_add_u32 v17, v28, 3, v5
	v_lshl_add_u32 v32, v29, 3, v5
	;; [unrolled: 1-line block ×3, first 2 shown]
	ds_load_b64 v[28:29], v11 offset:8192
	ds_load_b64 v[26:27], v16 offset:8192
	;; [unrolled: 1-line block ×5, first 2 shown]
	v_dual_cndmask_b32 v16, v66, v67, s13 :: v_dual_cndmask_b32 v17, v68, v69, s14
.LBB503_210:
	s_or_b32 exec_lo, exec_lo, s18
	v_and_b32_e32 v50, 0x80, v50
	v_min_u32_e32 v51, v31, v51
	s_delay_alu instid0(VALU_DEP_3) | instskip(NEXT) | instid1(VALU_DEP_3)
	v_mov_b32_e32 v55, v17
	; wave barrier
	v_or_b32_e32 v10, 64, v50
	s_mov_b32 s8, exec_lo
	v_mov_b32_e32 v54, v16
	s_wait_dscnt 0x6
	ds_store_2addr_b64 v38, v[12:13], v[22:23] offset1:1
	s_wait_dscnt 0x5
	ds_store_2addr_b64 v39, v[20:21], v[28:29] offset1:1
	ds_store_2addr_b64 v30, v[14:15], v[24:25] offset1:1
	ds_store_2addr_b64 v30, v[18:19], v[54:55] offset0:2 offset1:3
	v_min_u32_e32 v11, v31, v10
	v_lshl_add_u32 v30, v50, 2, v1
	s_wait_dscnt 0x6
	ds_store_2addr_b64 v48, v[26:27], v[36:37] offset1:1
	s_wait_dscnt 0x5
	ds_store_2addr_b64 v49, v[32:33], v[34:35] offset1:1
	; wave barrier
	v_add_min_u32_e64 v10, v11, 64, v31
	s_delay_alu instid0(VALU_DEP_1) | instskip(NEXT) | instid1(VALU_DEP_1)
	v_dual_sub_nc_u32 v31, v11, v50 :: v_dual_sub_nc_u32 v53, v10, v11
	v_min_u32_e32 v52, v51, v31
	s_delay_alu instid0(VALU_DEP_2) | instskip(NEXT) | instid1(VALU_DEP_1)
	v_sub_nc_u32_e64 v31, v51, v53 clamp
	v_cmpx_lt_u32_e64 v31, v52
	s_cbranch_execz .LBB503_214
; %bb.211:
	v_lshlrev_b32_e32 v38, 2, v11
	v_lshlrev_b32_e32 v39, 2, v51
	s_mov_b32 s9, 0
	s_delay_alu instid0(VALU_DEP_1)
	v_add3_u32 v38, v1, v38, v39
.LBB503_212:                            ; =>This Inner Loop Header: Depth=1
	v_add_nc_u32_e32 v39, v52, v31
	s_delay_alu instid0(VALU_DEP_1) | instskip(NEXT) | instid1(VALU_DEP_1)
	v_lshrrev_b32_e32 v39, 1, v39
	v_not_b32_e32 v48, v39
	v_lshl_add_u32 v49, v39, 2, v30
	s_delay_alu instid0(VALU_DEP_2) | instskip(SKIP_4) | instid1(VALU_DEP_1)
	v_lshl_add_u32 v48, v48, 2, v38
	ds_load_b32 v49, v49
	ds_load_b32 v48, v48
	s_wait_dscnt 0x0
	v_cmp_gt_i32_e64 s7, v48, v49
	v_dual_add_nc_u32 v53, 1, v39 :: v_dual_cndmask_b32 v52, v52, v39, s7
	s_delay_alu instid0(VALU_DEP_1) | instskip(NEXT) | instid1(VALU_DEP_1)
	v_cndmask_b32_e64 v31, v53, v31, s7
	v_cmp_ge_u32_e64 s7, v31, v52
	s_or_b32 s9, s7, s9
	s_delay_alu instid0(SALU_CYCLE_1)
	s_and_not1_b32 exec_lo, exec_lo, s9
	s_cbranch_execnz .LBB503_212
; %bb.213:
	s_or_b32 exec_lo, exec_lo, s9
.LBB503_214:
	s_delay_alu instid0(SALU_CYCLE_1) | instskip(SKIP_1) | instid1(VALU_DEP_1)
	s_or_b32 exec_lo, exec_lo, s8
	v_add_nc_u32_e32 v38, v11, v51
	v_dual_add_nc_u32 v39, v31, v50 :: v_dual_sub_nc_u32 v38, v38, v31
	s_delay_alu instid0(VALU_DEP_1) | instskip(NEXT) | instid1(VALU_DEP_2)
	v_cmp_le_u32_e64 s7, v39, v11
	v_cmp_le_u32_e64 s8, v38, v10
	s_or_b32 s7, s7, s8
	s_delay_alu instid0(SALU_CYCLE_1)
	s_and_saveexec_b32 s18, s7
	s_cbranch_execz .LBB503_220
; %bb.215:
	v_cmp_lt_u32_e64 s7, v39, v11
                                        ; implicit-def: $vgpr14
	s_and_saveexec_b32 s8, s7
; %bb.216:
	v_lshl_add_u32 v12, v31, 2, v30
	ds_load_b32 v14, v12
; %bb.217:
	s_or_b32 exec_lo, exec_lo, s8
	v_cmp_ge_u32_e64 s8, v38, v10
	s_mov_b32 s10, exec_lo
                                        ; implicit-def: $vgpr15
	v_cmpx_lt_u32_e64 v38, v10
; %bb.218:
	v_lshl_add_u32 v12, v38, 2, v1
	ds_load_b32 v15, v12
; %bb.219:
	s_or_b32 exec_lo, exec_lo, s10
	s_wait_dscnt 0x0
	v_cmp_le_i32_e64 s9, v15, v14
	s_and_b32 s7, s7, s9
	s_delay_alu instid0(SALU_CYCLE_1) | instskip(NEXT) | instid1(SALU_CYCLE_1)
	s_or_b32 s7, s8, s7
	v_cndmask_b32_e64 v12, v38, v39, s7
	s_delay_alu instid0(VALU_DEP_1) | instskip(NEXT) | instid1(VALU_DEP_1)
	v_dual_cndmask_b32 v13, v10, v11, s7 :: v_dual_add_nc_u32 v16, 1, v12
	v_add_min_u32_e64 v13, v13, -1, v16
	v_cndmask_b32_e64 v17, v39, v16, s7
	v_lshl_add_u32 v12, v12, 3, v5
	s_delay_alu instid0(VALU_DEP_3) | instskip(NEXT) | instid1(VALU_DEP_3)
	v_lshl_add_u32 v13, v13, 2, v1
	v_cmp_lt_u32_e64 s8, v17, v11
	ds_load_b32 v13, v13
	s_wait_dscnt 0x0
	v_dual_cndmask_b32 v18, v13, v15, s7 :: v_dual_cndmask_b32 v19, v14, v13, s7
	v_cndmask_b32_e64 v13, v16, v38, s7
	v_cndmask_b32_e64 v14, v15, v14, s7
	s_delay_alu instid0(VALU_DEP_3) | instskip(NEXT) | instid1(VALU_DEP_3)
	v_cmp_le_i32_e64 s9, v18, v19
	v_cmp_ge_u32_e64 s10, v13, v10
	s_and_b32 s8, s8, s9
	s_delay_alu instid0(SALU_CYCLE_1) | instskip(NEXT) | instid1(SALU_CYCLE_1)
	s_or_b32 s8, s10, s8
	v_dual_cndmask_b32 v20, v10, v11, s8 :: v_dual_cndmask_b32 v16, v13, v17, s8
	s_delay_alu instid0(VALU_DEP_1) | instskip(NEXT) | instid1(VALU_DEP_1)
	v_add_nc_u32_e32 v21, 1, v16
	v_add_min_u32_e64 v20, v20, -1, v21
	v_cndmask_b32_e64 v13, v21, v13, s8
	s_delay_alu instid0(VALU_DEP_2) | instskip(NEXT) | instid1(VALU_DEP_2)
	v_lshl_add_u32 v20, v20, 2, v1
	v_cmp_ge_u32_e64 s11, v13, v10
	ds_load_b32 v20, v20
	s_wait_dscnt 0x0
	v_dual_cndmask_b32 v17, v17, v21, s8 :: v_dual_cndmask_b32 v25, v19, v20, s8
	v_cndmask_b32_e64 v24, v20, v18, s8
	s_delay_alu instid0(VALU_DEP_2) | instskip(SKIP_1) | instid1(VALU_DEP_3)
	v_cmp_lt_u32_e64 s9, v17, v11
	v_lshl_add_u32 v16, v16, 3, v5
	v_cmp_le_i32_e64 s10, v24, v25
	s_and_b32 s9, s9, s10
	s_delay_alu instid0(SALU_CYCLE_1) | instskip(SKIP_2) | instid1(VALU_DEP_1)
	s_or_b32 s9, s11, s9
	v_cndmask_b32_e64 v15, v18, v19, s8
	v_dual_cndmask_b32 v21, v10, v11, s9 :: v_dual_cndmask_b32 v20, v13, v17, s9
	v_add_nc_u32_e32 v22, 1, v20
	s_delay_alu instid0(VALU_DEP_1) | instskip(NEXT) | instid1(VALU_DEP_1)
	v_add_min_u32_e64 v21, v21, -1, v22
	v_lshl_add_u32 v21, v21, 2, v1
	ds_load_b32 v21, v21
	s_wait_dscnt 0x0
	v_cndmask_b32_e64 v30, v21, v24, s9
	v_cndmask_b32_e64 v31, v25, v21, s9
	v_dual_cndmask_b32 v17, v17, v22, s9 :: v_dual_cndmask_b32 v13, v22, v13, s9
	v_cndmask_b32_e64 v24, v24, v25, s9
	s_delay_alu instid0(VALU_DEP_3) | instskip(NEXT) | instid1(VALU_DEP_3)
	v_cmp_le_i32_e64 s11, v30, v31
	v_cmp_lt_u32_e64 s10, v17, v11
	s_delay_alu instid0(VALU_DEP_4) | instskip(SKIP_1) | instid1(SALU_CYCLE_1)
	v_cmp_ge_u32_e64 s12, v13, v10
	s_and_b32 s10, s10, s11
	s_or_b32 s10, s12, s10
	s_delay_alu instid0(SALU_CYCLE_1) | instskip(NEXT) | instid1(VALU_DEP_1)
	v_dual_cndmask_b32 v26, v13, v17, s10 :: v_dual_cndmask_b32 v21, v10, v11, s10
	v_add_nc_u32_e32 v22, 1, v26
	s_delay_alu instid0(VALU_DEP_1) | instskip(NEXT) | instid1(VALU_DEP_1)
	v_add_min_u32_e64 v21, v21, -1, v22
	v_lshl_add_u32 v21, v21, 2, v1
	ds_load_b32 v21, v21
	s_wait_dscnt 0x0
	v_dual_cndmask_b32 v38, v21, v30, s10 :: v_dual_cndmask_b32 v39, v31, v21, s10
	v_dual_cndmask_b32 v17, v17, v22, s10 :: v_dual_cndmask_b32 v13, v22, v13, s10
	s_delay_alu instid0(VALU_DEP_2) | instskip(NEXT) | instid1(VALU_DEP_2)
	v_cmp_le_i32_e64 s12, v38, v39
	v_cmp_lt_u32_e64 s11, v17, v11
	s_delay_alu instid0(VALU_DEP_3) | instskip(SKIP_1) | instid1(SALU_CYCLE_1)
	v_cmp_ge_u32_e64 s13, v13, v10
	s_and_b32 s11, s11, s12
	s_or_b32 s11, s13, s11
	s_delay_alu instid0(SALU_CYCLE_1) | instskip(NEXT) | instid1(VALU_DEP_1)
	v_dual_cndmask_b32 v27, v13, v17, s11 :: v_dual_cndmask_b32 v21, v10, v11, s11
	v_add_nc_u32_e32 v22, 1, v27
	s_delay_alu instid0(VALU_DEP_1) | instskip(NEXT) | instid1(VALU_DEP_1)
	v_add_min_u32_e64 v21, v21, -1, v22
	v_lshl_add_u32 v21, v21, 2, v1
	ds_load_b32 v21, v21
	s_wait_dscnt 0x0
	v_cndmask_b32_e64 v48, v21, v38, s11
	v_dual_cndmask_b32 v17, v17, v22, s11 :: v_dual_cndmask_b32 v49, v39, v21, s11
	v_cndmask_b32_e64 v13, v22, v13, s11
	s_delay_alu instid0(VALU_DEP_2) | instskip(NEXT) | instid1(VALU_DEP_3)
	v_cmp_lt_u32_e64 s12, v17, v11
	v_cmp_le_i32_e64 s13, v48, v49
	s_delay_alu instid0(VALU_DEP_3) | instskip(SKIP_1) | instid1(SALU_CYCLE_1)
	v_cmp_ge_u32_e64 s14, v13, v10
	s_and_b32 s12, s12, s13
	s_or_b32 s12, s14, s12
	s_delay_alu instid0(SALU_CYCLE_1) | instskip(SKIP_1) | instid1(VALU_DEP_1)
	v_dual_cndmask_b32 v25, v30, v31, s10 :: v_dual_cndmask_b32 v19, v48, v49, s12
	v_dual_cndmask_b32 v28, v13, v17, s12 :: v_dual_cndmask_b32 v21, v10, v11, s12
	v_add_nc_u32_e32 v22, 1, v28
	s_delay_alu instid0(VALU_DEP_1) | instskip(SKIP_1) | instid1(VALU_DEP_2)
	v_add_min_u32_e64 v21, v21, -1, v22
	v_dual_cndmask_b32 v17, v17, v22, s12 :: v_dual_cndmask_b32 v13, v22, v13, s12
	v_lshl_add_u32 v21, v21, 2, v1
	s_delay_alu instid0(VALU_DEP_2) | instskip(NEXT) | instid1(VALU_DEP_3)
	v_cmp_lt_u32_e64 s13, v17, v11
	v_cmp_ge_u32_e64 s15, v13, v10
	ds_load_b32 v21, v21
	s_wait_dscnt 0x0
	v_cndmask_b32_e64 v50, v21, v48, s12
	v_cndmask_b32_e64 v51, v49, v21, s12
	s_delay_alu instid0(VALU_DEP_1) | instskip(SKIP_1) | instid1(SALU_CYCLE_1)
	v_cmp_le_i32_e64 s14, v50, v51
	s_and_b32 s13, s13, s14
	s_or_b32 s13, s15, s13
	s_delay_alu instid0(SALU_CYCLE_1) | instskip(NEXT) | instid1(VALU_DEP_1)
	v_dual_cndmask_b32 v29, v13, v17, s13 :: v_dual_cndmask_b32 v21, v10, v11, s13
	v_add_nc_u32_e32 v22, 1, v29
	s_delay_alu instid0(VALU_DEP_1) | instskip(NEXT) | instid1(VALU_DEP_1)
	v_add_min_u32_e64 v21, v21, -1, v22
	v_lshl_add_u32 v1, v21, 2, v1
	ds_load_b32 v1, v1
	s_wait_dscnt 0x0
	v_cndmask_b32_e64 v52, v1, v50, s13
	v_dual_cndmask_b32 v17, v17, v22, s13 :: v_dual_cndmask_b32 v1, v51, v1, s13
	v_cndmask_b32_e64 v32, v22, v13, s13
	ds_load_b64 v[12:13], v12 offset:8192
	ds_load_b64 v[22:23], v16 offset:8192
	v_lshl_add_u32 v16, v27, 3, v5
	v_cmp_lt_u32_e64 s14, v17, v11
	v_cmp_le_i32_e64 s15, v52, v1
	v_cmp_ge_u32_e64 s16, v32, v10
	v_lshl_add_u32 v11, v20, 3, v5
	s_and_b32 s14, s14, s15
	s_delay_alu instid0(SALU_CYCLE_1)
	s_or_b32 s14, s16, s14
	ds_load_b64 v[20:21], v11 offset:8192
	v_cndmask_b32_e64 v10, v32, v17, s14
	v_lshl_add_u32 v11, v26, 3, v5
	v_lshl_add_u32 v17, v28, 3, v5
	;; [unrolled: 1-line block ×3, first 2 shown]
	v_cndmask_b32_e64 v18, v38, v39, s11
	v_lshl_add_u32 v5, v10, 3, v5
	ds_load_b64 v[28:29], v11 offset:8192
	ds_load_b64 v[26:27], v16 offset:8192
	;; [unrolled: 1-line block ×5, first 2 shown]
	v_dual_cndmask_b32 v16, v50, v51, s13 :: v_dual_cndmask_b32 v17, v52, v1, s14
.LBB503_220:
	s_or_b32 exec_lo, exec_lo, s18
	; wave barrier
	s_wait_storecnt_dscnt 0x0
	s_barrier_signal -1
	s_barrier_wait -1
.LBB503_221:
	s_or_b32 exec_lo, exec_lo, s17
	v_lshl_add_u64 v[2:3], v[8:9], 2, v[2:3]
	v_mov_b32_e32 v1, 0
	s_wait_storecnt 0x0
	; wave barrier
	s_wait_loadcnt_dscnt 0x0
	s_delay_alu instid0(VALU_DEP_1)
	v_add_nc_u64_e32 v[0:1], v[2:3], v[0:1]
	s_and_saveexec_b32 s7, vcc_lo
	s_cbranch_execnz .LBB503_246
; %bb.222:
	s_or_b32 exec_lo, exec_lo, s7
	s_and_saveexec_b32 s7, s0
	s_cbranch_execnz .LBB503_247
.LBB503_223:
	s_or_b32 exec_lo, exec_lo, s7
	s_and_saveexec_b32 s7, s1
	s_cbranch_execnz .LBB503_248
.LBB503_224:
	s_or_b32 exec_lo, exec_lo, s7
	s_and_saveexec_b32 s7, s2
	s_cbranch_execnz .LBB503_249
.LBB503_225:
	s_or_b32 exec_lo, exec_lo, s7
	s_and_saveexec_b32 s7, s3
	s_cbranch_execnz .LBB503_250
.LBB503_226:
	s_or_b32 exec_lo, exec_lo, s7
	s_and_saveexec_b32 s7, s4
	s_cbranch_execnz .LBB503_251
.LBB503_227:
	s_or_b32 exec_lo, exec_lo, s7
	s_and_saveexec_b32 s7, s5
	s_cbranch_execnz .LBB503_252
.LBB503_228:
	s_or_b32 exec_lo, exec_lo, s7
	s_and_saveexec_b32 s7, s6
	s_cbranch_execz .LBB503_230
.LBB503_229:
	flat_store_b32 v[0:1], v17 offset:28
.LBB503_230:
	s_wait_xcnt 0x0
	s_or_b32 exec_lo, exec_lo, s7
	v_lshl_add_u64 v[0:1], v[8:9], 3, v[6:7]
	v_mov_b32_e32 v5, 0
	; wave barrier
	s_delay_alu instid0(VALU_DEP_1)
	v_add_nc_u64_e32 v[0:1], v[0:1], v[4:5]
	s_and_saveexec_b32 s7, vcc_lo
	s_cbranch_execnz .LBB503_253
; %bb.231:
	s_or_b32 exec_lo, exec_lo, s7
	s_and_saveexec_b32 s7, s0
	s_cbranch_execnz .LBB503_254
.LBB503_232:
	s_or_b32 exec_lo, exec_lo, s7
	s_and_saveexec_b32 s0, s1
	s_cbranch_execnz .LBB503_255
.LBB503_233:
	s_or_b32 exec_lo, exec_lo, s0
	s_and_saveexec_b32 s0, s2
	s_cbranch_execnz .LBB503_256
.LBB503_234:
	s_or_b32 exec_lo, exec_lo, s0
	s_and_saveexec_b32 s0, s3
	s_cbranch_execnz .LBB503_257
.LBB503_235:
	s_or_b32 exec_lo, exec_lo, s0
	s_and_saveexec_b32 s0, s4
	s_cbranch_execnz .LBB503_258
.LBB503_236:
	s_or_b32 exec_lo, exec_lo, s0
	s_and_saveexec_b32 s0, s5
	s_cbranch_execnz .LBB503_259
.LBB503_237:
	s_or_b32 exec_lo, exec_lo, s0
	s_and_saveexec_b32 s0, s6
	s_cbranch_execnz .LBB503_260
.LBB503_238:
	s_or_b32 exec_lo, exec_lo, s0
	s_wait_dscnt 0x0
	s_set_pc_i64 s[30:31]
.LBB503_239:
	flat_load_b64 v[12:13], v[38:39]
	s_wait_xcnt 0x0
	s_or_b32 exec_lo, exec_lo, s7
	s_and_saveexec_b32 s7, s0
                                        ; implicit-def: $vgpr22_vgpr23
	s_cbranch_execz .LBB503_18
.LBB503_240:
	flat_load_b64 v[22:23], v[38:39] offset:8
	s_wait_xcnt 0x0
	s_or_b32 exec_lo, exec_lo, s7
                                        ; implicit-def: $vgpr20_vgpr21
	s_and_saveexec_b32 s7, s1
	s_cbranch_execz .LBB503_19
.LBB503_241:
	flat_load_b64 v[20:21], v[38:39] offset:16
	s_wait_xcnt 0x0
	s_or_b32 exec_lo, exec_lo, s7
	s_and_saveexec_b32 s7, s2
                                        ; implicit-def: $vgpr28_vgpr29
	s_cbranch_execz .LBB503_20
.LBB503_242:
	flat_load_b64 v[28:29], v[38:39] offset:24
	s_wait_xcnt 0x0
	s_or_b32 exec_lo, exec_lo, s7
                                        ; implicit-def: $vgpr26_vgpr27
	s_and_saveexec_b32 s7, s3
	s_cbranch_execz .LBB503_21
.LBB503_243:
	flat_load_b64 v[26:27], v[38:39] offset:32
	s_wait_xcnt 0x0
	s_or_b32 exec_lo, exec_lo, s7
	s_and_saveexec_b32 s7, s4
                                        ; implicit-def: $vgpr36_vgpr37
	s_cbranch_execz .LBB503_22
.LBB503_244:
	flat_load_b64 v[36:37], v[38:39] offset:40
	s_wait_xcnt 0x0
	s_or_b32 exec_lo, exec_lo, s7
                                        ; implicit-def: $vgpr32_vgpr33
	s_and_saveexec_b32 s7, s5
	s_cbranch_execz .LBB503_23
.LBB503_245:
	flat_load_b64 v[32:33], v[38:39] offset:48
	s_wait_xcnt 0x0
	s_or_b32 exec_lo, exec_lo, s7
	s_and_saveexec_b32 s7, s6
                                        ; implicit-def: $vgpr34_vgpr35
	s_cbranch_execnz .LBB503_24
	s_branch .LBB503_25
.LBB503_246:
	flat_store_b32 v[0:1], v14
	s_wait_xcnt 0x0
	s_or_b32 exec_lo, exec_lo, s7
	s_and_saveexec_b32 s7, s0
	s_cbranch_execz .LBB503_223
.LBB503_247:
	flat_store_b32 v[0:1], v15 offset:4
	s_wait_xcnt 0x0
	s_or_b32 exec_lo, exec_lo, s7
	s_and_saveexec_b32 s7, s1
	s_cbranch_execz .LBB503_224
.LBB503_248:
	flat_store_b32 v[0:1], v24 offset:8
	s_wait_xcnt 0x0
	s_or_b32 exec_lo, exec_lo, s7
	s_and_saveexec_b32 s7, s2
	s_cbranch_execz .LBB503_225
.LBB503_249:
	flat_store_b32 v[0:1], v25 offset:12
	s_wait_xcnt 0x0
	s_or_b32 exec_lo, exec_lo, s7
	s_and_saveexec_b32 s7, s3
	s_cbranch_execz .LBB503_226
.LBB503_250:
	flat_store_b32 v[0:1], v18 offset:16
	s_wait_xcnt 0x0
	s_or_b32 exec_lo, exec_lo, s7
	s_and_saveexec_b32 s7, s4
	s_cbranch_execz .LBB503_227
.LBB503_251:
	flat_store_b32 v[0:1], v19 offset:20
	s_wait_xcnt 0x0
	s_or_b32 exec_lo, exec_lo, s7
	s_and_saveexec_b32 s7, s5
	s_cbranch_execz .LBB503_228
.LBB503_252:
	flat_store_b32 v[0:1], v16 offset:24
	s_wait_xcnt 0x0
	s_or_b32 exec_lo, exec_lo, s7
	s_and_saveexec_b32 s7, s6
	s_cbranch_execnz .LBB503_229
	s_branch .LBB503_230
.LBB503_253:
	flat_store_b64 v[0:1], v[12:13]
	s_wait_xcnt 0x0
	s_or_b32 exec_lo, exec_lo, s7
	s_and_saveexec_b32 s7, s0
	s_cbranch_execz .LBB503_232
.LBB503_254:
	flat_store_b64 v[0:1], v[22:23] offset:8
	s_wait_xcnt 0x0
	s_or_b32 exec_lo, exec_lo, s7
	s_and_saveexec_b32 s0, s1
	s_cbranch_execz .LBB503_233
.LBB503_255:
	flat_store_b64 v[0:1], v[20:21] offset:16
	s_wait_xcnt 0x0
	s_or_b32 exec_lo, exec_lo, s0
	s_and_saveexec_b32 s0, s2
	s_cbranch_execz .LBB503_234
.LBB503_256:
	flat_store_b64 v[0:1], v[28:29] offset:24
	s_wait_xcnt 0x0
	s_or_b32 exec_lo, exec_lo, s0
	s_and_saveexec_b32 s0, s3
	s_cbranch_execz .LBB503_235
.LBB503_257:
	flat_store_b64 v[0:1], v[26:27] offset:32
	s_wait_xcnt 0x0
	s_or_b32 exec_lo, exec_lo, s0
	s_and_saveexec_b32 s0, s4
	s_cbranch_execz .LBB503_236
.LBB503_258:
	flat_store_b64 v[0:1], v[36:37] offset:40
	s_wait_xcnt 0x0
	s_or_b32 exec_lo, exec_lo, s0
	s_and_saveexec_b32 s0, s5
	s_cbranch_execz .LBB503_237
.LBB503_259:
	flat_store_b64 v[0:1], v[32:33] offset:48
	s_wait_xcnt 0x0
	s_or_b32 exec_lo, exec_lo, s0
	s_and_saveexec_b32 s0, s6
	s_cbranch_execz .LBB503_238
.LBB503_260:
	flat_store_b64 v[0:1], v[34:35] offset:56
	s_wait_xcnt 0x0
	s_or_b32 exec_lo, exec_lo, s0
	s_wait_dscnt 0x0
	s_set_pc_i64 s[30:31]
.Lfunc_end503:
	.size	_ZN7rocprim17ROCPRIM_400000_NS6detail26segmented_warp_sort_helperINS1_20WarpSortHelperConfigILj16ELj8ELj256EEEilLi256ELb1EvE4sortIPKiPiPKlPlEEvT_T0_T1_T2_jjjjRNS5_12storage_typeE, .Lfunc_end503-_ZN7rocprim17ROCPRIM_400000_NS6detail26segmented_warp_sort_helperINS1_20WarpSortHelperConfigILj16ELj8ELj256EEEilLi256ELb1EvE4sortIPKiPiPKlPlEEvT_T0_T1_T2_jjjjRNS5_12storage_typeE
                                        ; -- End function
	.set .L_ZN7rocprim17ROCPRIM_400000_NS6detail26segmented_warp_sort_helperINS1_20WarpSortHelperConfigILj16ELj8ELj256EEEilLi256ELb1EvE4sortIPKiPiPKlPlEEvT_T0_T1_T2_jjjjRNS5_12storage_typeE.num_vgpr, 72
	.set .L_ZN7rocprim17ROCPRIM_400000_NS6detail26segmented_warp_sort_helperINS1_20WarpSortHelperConfigILj16ELj8ELj256EEEilLi256ELb1EvE4sortIPKiPiPKlPlEEvT_T0_T1_T2_jjjjRNS5_12storage_typeE.num_agpr, 0
	.set .L_ZN7rocprim17ROCPRIM_400000_NS6detail26segmented_warp_sort_helperINS1_20WarpSortHelperConfigILj16ELj8ELj256EEEilLi256ELb1EvE4sortIPKiPiPKlPlEEvT_T0_T1_T2_jjjjRNS5_12storage_typeE.numbered_sgpr, 32
	.set .L_ZN7rocprim17ROCPRIM_400000_NS6detail26segmented_warp_sort_helperINS1_20WarpSortHelperConfigILj16ELj8ELj256EEEilLi256ELb1EvE4sortIPKiPiPKlPlEEvT_T0_T1_T2_jjjjRNS5_12storage_typeE.num_named_barrier, 0
	.set .L_ZN7rocprim17ROCPRIM_400000_NS6detail26segmented_warp_sort_helperINS1_20WarpSortHelperConfigILj16ELj8ELj256EEEilLi256ELb1EvE4sortIPKiPiPKlPlEEvT_T0_T1_T2_jjjjRNS5_12storage_typeE.private_seg_size, 0
	.set .L_ZN7rocprim17ROCPRIM_400000_NS6detail26segmented_warp_sort_helperINS1_20WarpSortHelperConfigILj16ELj8ELj256EEEilLi256ELb1EvE4sortIPKiPiPKlPlEEvT_T0_T1_T2_jjjjRNS5_12storage_typeE.uses_vcc, 1
	.set .L_ZN7rocprim17ROCPRIM_400000_NS6detail26segmented_warp_sort_helperINS1_20WarpSortHelperConfigILj16ELj8ELj256EEEilLi256ELb1EvE4sortIPKiPiPKlPlEEvT_T0_T1_T2_jjjjRNS5_12storage_typeE.uses_flat_scratch, 0
	.set .L_ZN7rocprim17ROCPRIM_400000_NS6detail26segmented_warp_sort_helperINS1_20WarpSortHelperConfigILj16ELj8ELj256EEEilLi256ELb1EvE4sortIPKiPiPKlPlEEvT_T0_T1_T2_jjjjRNS5_12storage_typeE.has_dyn_sized_stack, 0
	.set .L_ZN7rocprim17ROCPRIM_400000_NS6detail26segmented_warp_sort_helperINS1_20WarpSortHelperConfigILj16ELj8ELj256EEEilLi256ELb1EvE4sortIPKiPiPKlPlEEvT_T0_T1_T2_jjjjRNS5_12storage_typeE.has_recursion, 0
	.set .L_ZN7rocprim17ROCPRIM_400000_NS6detail26segmented_warp_sort_helperINS1_20WarpSortHelperConfigILj16ELj8ELj256EEEilLi256ELb1EvE4sortIPKiPiPKlPlEEvT_T0_T1_T2_jjjjRNS5_12storage_typeE.has_indirect_call, 0
	.section	.AMDGPU.csdata,"",@progbits
; Function info:
; codeLenInByte = 17416
; TotalNumSgprs: 34
; NumVgprs: 72
; ScratchSize: 0
; MemoryBound: 0
	.section	.text._ZN7rocprim17ROCPRIM_400000_NS6detail17trampoline_kernelINS0_14default_configENS1_36segmented_radix_sort_config_selectorIilEEZNS1_25segmented_radix_sort_implIS3_Lb1EPKiPiPKlPlN2at6native12_GLOBAL__N_18offset_tEEE10hipError_tPvRmT1_PNSt15iterator_traitsISK_E10value_typeET2_T3_PNSL_ISQ_E10value_typeET4_jRbjT5_SW_jjP12ihipStream_tbEUlT_E0_NS1_11comp_targetILNS1_3genE0ELNS1_11target_archE4294967295ELNS1_3gpuE0ELNS1_3repE0EEENS1_60segmented_radix_sort_warp_sort_medium_config_static_selectorELNS0_4arch9wavefront6targetE0EEEvSK_,"axG",@progbits,_ZN7rocprim17ROCPRIM_400000_NS6detail17trampoline_kernelINS0_14default_configENS1_36segmented_radix_sort_config_selectorIilEEZNS1_25segmented_radix_sort_implIS3_Lb1EPKiPiPKlPlN2at6native12_GLOBAL__N_18offset_tEEE10hipError_tPvRmT1_PNSt15iterator_traitsISK_E10value_typeET2_T3_PNSL_ISQ_E10value_typeET4_jRbjT5_SW_jjP12ihipStream_tbEUlT_E0_NS1_11comp_targetILNS1_3genE0ELNS1_11target_archE4294967295ELNS1_3gpuE0ELNS1_3repE0EEENS1_60segmented_radix_sort_warp_sort_medium_config_static_selectorELNS0_4arch9wavefront6targetE0EEEvSK_,comdat
	.globl	_ZN7rocprim17ROCPRIM_400000_NS6detail17trampoline_kernelINS0_14default_configENS1_36segmented_radix_sort_config_selectorIilEEZNS1_25segmented_radix_sort_implIS3_Lb1EPKiPiPKlPlN2at6native12_GLOBAL__N_18offset_tEEE10hipError_tPvRmT1_PNSt15iterator_traitsISK_E10value_typeET2_T3_PNSL_ISQ_E10value_typeET4_jRbjT5_SW_jjP12ihipStream_tbEUlT_E0_NS1_11comp_targetILNS1_3genE0ELNS1_11target_archE4294967295ELNS1_3gpuE0ELNS1_3repE0EEENS1_60segmented_radix_sort_warp_sort_medium_config_static_selectorELNS0_4arch9wavefront6targetE0EEEvSK_ ; -- Begin function _ZN7rocprim17ROCPRIM_400000_NS6detail17trampoline_kernelINS0_14default_configENS1_36segmented_radix_sort_config_selectorIilEEZNS1_25segmented_radix_sort_implIS3_Lb1EPKiPiPKlPlN2at6native12_GLOBAL__N_18offset_tEEE10hipError_tPvRmT1_PNSt15iterator_traitsISK_E10value_typeET2_T3_PNSL_ISQ_E10value_typeET4_jRbjT5_SW_jjP12ihipStream_tbEUlT_E0_NS1_11comp_targetILNS1_3genE0ELNS1_11target_archE4294967295ELNS1_3gpuE0ELNS1_3repE0EEENS1_60segmented_radix_sort_warp_sort_medium_config_static_selectorELNS0_4arch9wavefront6targetE0EEEvSK_
	.p2align	8
	.type	_ZN7rocprim17ROCPRIM_400000_NS6detail17trampoline_kernelINS0_14default_configENS1_36segmented_radix_sort_config_selectorIilEEZNS1_25segmented_radix_sort_implIS3_Lb1EPKiPiPKlPlN2at6native12_GLOBAL__N_18offset_tEEE10hipError_tPvRmT1_PNSt15iterator_traitsISK_E10value_typeET2_T3_PNSL_ISQ_E10value_typeET4_jRbjT5_SW_jjP12ihipStream_tbEUlT_E0_NS1_11comp_targetILNS1_3genE0ELNS1_11target_archE4294967295ELNS1_3gpuE0ELNS1_3repE0EEENS1_60segmented_radix_sort_warp_sort_medium_config_static_selectorELNS0_4arch9wavefront6targetE0EEEvSK_,@function
_ZN7rocprim17ROCPRIM_400000_NS6detail17trampoline_kernelINS0_14default_configENS1_36segmented_radix_sort_config_selectorIilEEZNS1_25segmented_radix_sort_implIS3_Lb1EPKiPiPKlPlN2at6native12_GLOBAL__N_18offset_tEEE10hipError_tPvRmT1_PNSt15iterator_traitsISK_E10value_typeET2_T3_PNSL_ISQ_E10value_typeET4_jRbjT5_SW_jjP12ihipStream_tbEUlT_E0_NS1_11comp_targetILNS1_3genE0ELNS1_11target_archE4294967295ELNS1_3gpuE0ELNS1_3repE0EEENS1_60segmented_radix_sort_warp_sort_medium_config_static_selectorELNS0_4arch9wavefront6targetE0EEEvSK_: ; @_ZN7rocprim17ROCPRIM_400000_NS6detail17trampoline_kernelINS0_14default_configENS1_36segmented_radix_sort_config_selectorIilEEZNS1_25segmented_radix_sort_implIS3_Lb1EPKiPiPKlPlN2at6native12_GLOBAL__N_18offset_tEEE10hipError_tPvRmT1_PNSt15iterator_traitsISK_E10value_typeET2_T3_PNSL_ISQ_E10value_typeET4_jRbjT5_SW_jjP12ihipStream_tbEUlT_E0_NS1_11comp_targetILNS1_3genE0ELNS1_11target_archE4294967295ELNS1_3gpuE0ELNS1_3repE0EEENS1_60segmented_radix_sort_warp_sort_medium_config_static_selectorELNS0_4arch9wavefront6targetE0EEEvSK_
; %bb.0:
	s_load_b32 s4, s[2:3], 0x64
	v_bfe_u32 v1, v0, 10, 10
	v_bfe_u32 v2, v0, 20, 10
	v_and_b32_e32 v3, 0x3ff, v0
	s_and_b32 s6, ttmp6, 15
	s_getreg_b32 s7, hwreg(HW_REG_IB_STS2, 6, 4)
	s_mov_b32 s32, 0
	s_wait_kmcnt 0x0
	s_lshr_b32 s5, s4, 16
	s_and_b32 s4, s4, 0xffff
	v_mad_u32_u24 v1, v2, s5, v1
	s_bfe_u32 s5, ttmp6, 0x4000c
	s_delay_alu instid0(SALU_CYCLE_1) | instskip(NEXT) | instid1(SALU_CYCLE_1)
	s_add_co_i32 s5, s5, 1
	s_mul_i32 s5, ttmp9, s5
	s_delay_alu instid0(VALU_DEP_1) | instskip(SKIP_4) | instid1(VALU_DEP_1)
	v_mad_u32 v1, v1, s4, v3
	s_load_b32 s4, s[2:3], 0x34
	s_add_co_i32 s6, s6, s5
	s_cmp_eq_u32 s7, 0
	s_cselect_b32 s5, ttmp9, s6
	v_lshrrev_b32_e32 v1, 4, v1
	s_delay_alu instid0(VALU_DEP_1) | instskip(SKIP_1) | instid1(VALU_DEP_1)
	v_lshl_add_u32 v1, s5, 4, v1
	s_wait_kmcnt 0x0
	v_cmp_gt_u32_e32 vcc_lo, s4, v1
	s_and_saveexec_b32 s4, vcc_lo
	s_cbranch_execz .LBB504_6
; %bb.1:
	s_clause 0x1
	s_load_b64 s[8:9], s[2:3], 0x38
	s_load_b128 s[4:7], s[2:3], 0x40
	s_wait_kmcnt 0x0
	global_load_b32 v1, v1, s[8:9] scale_offset
	s_wait_loadcnt 0x0
	v_dual_add_nc_u32 v2, s5, v1 :: v_dual_add_nc_u32 v1, s7, v1
	s_delay_alu instid0(VALU_DEP_1) | instskip(NEXT) | instid1(VALU_DEP_2)
	v_mul_lo_u32 v8, v2, s4
	v_mul_lo_u32 v40, v1, s6
	s_delay_alu instid0(VALU_DEP_1)
	v_cmp_gt_u32_e32 vcc_lo, v40, v8
	s_and_b32 exec_lo, exec_lo, vcc_lo
	s_cbranch_execz .LBB504_6
; %bb.2:
	s_clause 0x3
	s_load_b32 s4, s[2:3], 0x30
	s_load_b128 s[24:27], s[2:3], 0x20
	s_load_b256 s[36:43], s[2:3], 0x0
	s_load_b64 s[28:29], s[2:3], 0x50
	s_add_nc_u64 s[22:23], s[2:3], 0x58
	s_get_pc_i64 s[34:35]
	s_add_nc_u64 s[34:35], s[34:35], _ZN7rocprim17ROCPRIM_400000_NS6detail26segmented_warp_sort_helperINS1_20WarpSortHelperConfigILj16ELj8ELj256EEEilLi256ELb1EvE4sortIPKiPiPKlPlEEvT_T0_T1_T2_jjjjRNS5_12storage_typeE@rel64+4
	s_wait_kmcnt 0x0
	s_bitcmp0_b32 s4, 0
	s_mov_b32 s4, -1
	s_cbranch_scc0 .LBB504_4
; %bb.3:
	v_dual_mov_b32 v31, v0 :: v_dual_mov_b32 v41, v0
	v_dual_mov_b32 v0, s36 :: v_dual_mov_b32 v1, s37
	;; [unrolled: 1-line block ×6, first 2 shown]
	v_mov_b32_e32 v11, s29
	s_mov_b64 s[6:7], s[0:1]
	s_mov_b64 s[8:9], s[22:23]
	;; [unrolled: 1-line block ×3, first 2 shown]
	s_swap_pc_i64 s[30:31], s[34:35]
	v_mov_b32_e32 v0, v41
	s_mov_b64 s[0:1], s[24:25]
	s_mov_b32 s4, 0
.LBB504_4:
	s_delay_alu instid0(SALU_CYCLE_1)
	s_and_not1_b32 vcc_lo, exec_lo, s4
	s_cbranch_vccnz .LBB504_6
; %bb.5:
	v_dual_mov_b32 v31, v0 :: v_dual_mov_b32 v0, s36
	v_dual_mov_b32 v1, s37 :: v_dual_mov_b32 v2, s40
	;; [unrolled: 1-line block ×6, first 2 shown]
	s_mov_b64 s[6:7], s[0:1]
	s_mov_b64 s[8:9], s[22:23]
	s_swap_pc_i64 s[30:31], s[34:35]
.LBB504_6:
	s_endpgm
	.section	.rodata,"a",@progbits
	.p2align	6, 0x0
	.amdhsa_kernel _ZN7rocprim17ROCPRIM_400000_NS6detail17trampoline_kernelINS0_14default_configENS1_36segmented_radix_sort_config_selectorIilEEZNS1_25segmented_radix_sort_implIS3_Lb1EPKiPiPKlPlN2at6native12_GLOBAL__N_18offset_tEEE10hipError_tPvRmT1_PNSt15iterator_traitsISK_E10value_typeET2_T3_PNSL_ISQ_E10value_typeET4_jRbjT5_SW_jjP12ihipStream_tbEUlT_E0_NS1_11comp_targetILNS1_3genE0ELNS1_11target_archE4294967295ELNS1_3gpuE0ELNS1_3repE0EEENS1_60segmented_radix_sort_warp_sort_medium_config_static_selectorELNS0_4arch9wavefront6targetE0EEEvSK_
		.amdhsa_group_segment_fixed_size 24576
		.amdhsa_private_segment_fixed_size 0
		.amdhsa_kernarg_size 344
		.amdhsa_user_sgpr_count 4
		.amdhsa_user_sgpr_dispatch_ptr 0
		.amdhsa_user_sgpr_queue_ptr 1
		.amdhsa_user_sgpr_kernarg_segment_ptr 1
		.amdhsa_user_sgpr_dispatch_id 0
		.amdhsa_user_sgpr_kernarg_preload_length 0
		.amdhsa_user_sgpr_kernarg_preload_offset 0
		.amdhsa_user_sgpr_private_segment_size 0
		.amdhsa_wavefront_size32 1
		.amdhsa_uses_dynamic_stack 0
		.amdhsa_enable_private_segment 0
		.amdhsa_system_sgpr_workgroup_id_x 1
		.amdhsa_system_sgpr_workgroup_id_y 1
		.amdhsa_system_sgpr_workgroup_id_z 0
		.amdhsa_system_sgpr_workgroup_info 0
		.amdhsa_system_vgpr_workitem_id 2
		.amdhsa_next_free_vgpr 72
		.amdhsa_next_free_sgpr 44
		.amdhsa_named_barrier_count 0
		.amdhsa_reserve_vcc 1
		.amdhsa_float_round_mode_32 0
		.amdhsa_float_round_mode_16_64 0
		.amdhsa_float_denorm_mode_32 3
		.amdhsa_float_denorm_mode_16_64 3
		.amdhsa_fp16_overflow 0
		.amdhsa_memory_ordered 1
		.amdhsa_forward_progress 1
		.amdhsa_inst_pref_size 4
		.amdhsa_round_robin_scheduling 0
		.amdhsa_exception_fp_ieee_invalid_op 0
		.amdhsa_exception_fp_denorm_src 0
		.amdhsa_exception_fp_ieee_div_zero 0
		.amdhsa_exception_fp_ieee_overflow 0
		.amdhsa_exception_fp_ieee_underflow 0
		.amdhsa_exception_fp_ieee_inexact 0
		.amdhsa_exception_int_div_zero 0
	.end_amdhsa_kernel
	.section	.text._ZN7rocprim17ROCPRIM_400000_NS6detail17trampoline_kernelINS0_14default_configENS1_36segmented_radix_sort_config_selectorIilEEZNS1_25segmented_radix_sort_implIS3_Lb1EPKiPiPKlPlN2at6native12_GLOBAL__N_18offset_tEEE10hipError_tPvRmT1_PNSt15iterator_traitsISK_E10value_typeET2_T3_PNSL_ISQ_E10value_typeET4_jRbjT5_SW_jjP12ihipStream_tbEUlT_E0_NS1_11comp_targetILNS1_3genE0ELNS1_11target_archE4294967295ELNS1_3gpuE0ELNS1_3repE0EEENS1_60segmented_radix_sort_warp_sort_medium_config_static_selectorELNS0_4arch9wavefront6targetE0EEEvSK_,"axG",@progbits,_ZN7rocprim17ROCPRIM_400000_NS6detail17trampoline_kernelINS0_14default_configENS1_36segmented_radix_sort_config_selectorIilEEZNS1_25segmented_radix_sort_implIS3_Lb1EPKiPiPKlPlN2at6native12_GLOBAL__N_18offset_tEEE10hipError_tPvRmT1_PNSt15iterator_traitsISK_E10value_typeET2_T3_PNSL_ISQ_E10value_typeET4_jRbjT5_SW_jjP12ihipStream_tbEUlT_E0_NS1_11comp_targetILNS1_3genE0ELNS1_11target_archE4294967295ELNS1_3gpuE0ELNS1_3repE0EEENS1_60segmented_radix_sort_warp_sort_medium_config_static_selectorELNS0_4arch9wavefront6targetE0EEEvSK_,comdat
.Lfunc_end504:
	.size	_ZN7rocprim17ROCPRIM_400000_NS6detail17trampoline_kernelINS0_14default_configENS1_36segmented_radix_sort_config_selectorIilEEZNS1_25segmented_radix_sort_implIS3_Lb1EPKiPiPKlPlN2at6native12_GLOBAL__N_18offset_tEEE10hipError_tPvRmT1_PNSt15iterator_traitsISK_E10value_typeET2_T3_PNSL_ISQ_E10value_typeET4_jRbjT5_SW_jjP12ihipStream_tbEUlT_E0_NS1_11comp_targetILNS1_3genE0ELNS1_11target_archE4294967295ELNS1_3gpuE0ELNS1_3repE0EEENS1_60segmented_radix_sort_warp_sort_medium_config_static_selectorELNS0_4arch9wavefront6targetE0EEEvSK_, .Lfunc_end504-_ZN7rocprim17ROCPRIM_400000_NS6detail17trampoline_kernelINS0_14default_configENS1_36segmented_radix_sort_config_selectorIilEEZNS1_25segmented_radix_sort_implIS3_Lb1EPKiPiPKlPlN2at6native12_GLOBAL__N_18offset_tEEE10hipError_tPvRmT1_PNSt15iterator_traitsISK_E10value_typeET2_T3_PNSL_ISQ_E10value_typeET4_jRbjT5_SW_jjP12ihipStream_tbEUlT_E0_NS1_11comp_targetILNS1_3genE0ELNS1_11target_archE4294967295ELNS1_3gpuE0ELNS1_3repE0EEENS1_60segmented_radix_sort_warp_sort_medium_config_static_selectorELNS0_4arch9wavefront6targetE0EEEvSK_
                                        ; -- End function
	.set _ZN7rocprim17ROCPRIM_400000_NS6detail17trampoline_kernelINS0_14default_configENS1_36segmented_radix_sort_config_selectorIilEEZNS1_25segmented_radix_sort_implIS3_Lb1EPKiPiPKlPlN2at6native12_GLOBAL__N_18offset_tEEE10hipError_tPvRmT1_PNSt15iterator_traitsISK_E10value_typeET2_T3_PNSL_ISQ_E10value_typeET4_jRbjT5_SW_jjP12ihipStream_tbEUlT_E0_NS1_11comp_targetILNS1_3genE0ELNS1_11target_archE4294967295ELNS1_3gpuE0ELNS1_3repE0EEENS1_60segmented_radix_sort_warp_sort_medium_config_static_selectorELNS0_4arch9wavefront6targetE0EEEvSK_.num_vgpr, max(42, .L_ZN7rocprim17ROCPRIM_400000_NS6detail26segmented_warp_sort_helperINS1_20WarpSortHelperConfigILj16ELj8ELj256EEEilLi256ELb1EvE4sortIPKiPiPKlPlEEvT_T0_T1_T2_jjjjRNS5_12storage_typeE.num_vgpr)
	.set _ZN7rocprim17ROCPRIM_400000_NS6detail17trampoline_kernelINS0_14default_configENS1_36segmented_radix_sort_config_selectorIilEEZNS1_25segmented_radix_sort_implIS3_Lb1EPKiPiPKlPlN2at6native12_GLOBAL__N_18offset_tEEE10hipError_tPvRmT1_PNSt15iterator_traitsISK_E10value_typeET2_T3_PNSL_ISQ_E10value_typeET4_jRbjT5_SW_jjP12ihipStream_tbEUlT_E0_NS1_11comp_targetILNS1_3genE0ELNS1_11target_archE4294967295ELNS1_3gpuE0ELNS1_3repE0EEENS1_60segmented_radix_sort_warp_sort_medium_config_static_selectorELNS0_4arch9wavefront6targetE0EEEvSK_.num_agpr, max(0, .L_ZN7rocprim17ROCPRIM_400000_NS6detail26segmented_warp_sort_helperINS1_20WarpSortHelperConfigILj16ELj8ELj256EEEilLi256ELb1EvE4sortIPKiPiPKlPlEEvT_T0_T1_T2_jjjjRNS5_12storage_typeE.num_agpr)
	.set _ZN7rocprim17ROCPRIM_400000_NS6detail17trampoline_kernelINS0_14default_configENS1_36segmented_radix_sort_config_selectorIilEEZNS1_25segmented_radix_sort_implIS3_Lb1EPKiPiPKlPlN2at6native12_GLOBAL__N_18offset_tEEE10hipError_tPvRmT1_PNSt15iterator_traitsISK_E10value_typeET2_T3_PNSL_ISQ_E10value_typeET4_jRbjT5_SW_jjP12ihipStream_tbEUlT_E0_NS1_11comp_targetILNS1_3genE0ELNS1_11target_archE4294967295ELNS1_3gpuE0ELNS1_3repE0EEENS1_60segmented_radix_sort_warp_sort_medium_config_static_selectorELNS0_4arch9wavefront6targetE0EEEvSK_.numbered_sgpr, max(44, .L_ZN7rocprim17ROCPRIM_400000_NS6detail26segmented_warp_sort_helperINS1_20WarpSortHelperConfigILj16ELj8ELj256EEEilLi256ELb1EvE4sortIPKiPiPKlPlEEvT_T0_T1_T2_jjjjRNS5_12storage_typeE.numbered_sgpr)
	.set _ZN7rocprim17ROCPRIM_400000_NS6detail17trampoline_kernelINS0_14default_configENS1_36segmented_radix_sort_config_selectorIilEEZNS1_25segmented_radix_sort_implIS3_Lb1EPKiPiPKlPlN2at6native12_GLOBAL__N_18offset_tEEE10hipError_tPvRmT1_PNSt15iterator_traitsISK_E10value_typeET2_T3_PNSL_ISQ_E10value_typeET4_jRbjT5_SW_jjP12ihipStream_tbEUlT_E0_NS1_11comp_targetILNS1_3genE0ELNS1_11target_archE4294967295ELNS1_3gpuE0ELNS1_3repE0EEENS1_60segmented_radix_sort_warp_sort_medium_config_static_selectorELNS0_4arch9wavefront6targetE0EEEvSK_.num_named_barrier, max(0, .L_ZN7rocprim17ROCPRIM_400000_NS6detail26segmented_warp_sort_helperINS1_20WarpSortHelperConfigILj16ELj8ELj256EEEilLi256ELb1EvE4sortIPKiPiPKlPlEEvT_T0_T1_T2_jjjjRNS5_12storage_typeE.num_named_barrier)
	.set _ZN7rocprim17ROCPRIM_400000_NS6detail17trampoline_kernelINS0_14default_configENS1_36segmented_radix_sort_config_selectorIilEEZNS1_25segmented_radix_sort_implIS3_Lb1EPKiPiPKlPlN2at6native12_GLOBAL__N_18offset_tEEE10hipError_tPvRmT1_PNSt15iterator_traitsISK_E10value_typeET2_T3_PNSL_ISQ_E10value_typeET4_jRbjT5_SW_jjP12ihipStream_tbEUlT_E0_NS1_11comp_targetILNS1_3genE0ELNS1_11target_archE4294967295ELNS1_3gpuE0ELNS1_3repE0EEENS1_60segmented_radix_sort_warp_sort_medium_config_static_selectorELNS0_4arch9wavefront6targetE0EEEvSK_.private_seg_size, 0+max(.L_ZN7rocprim17ROCPRIM_400000_NS6detail26segmented_warp_sort_helperINS1_20WarpSortHelperConfigILj16ELj8ELj256EEEilLi256ELb1EvE4sortIPKiPiPKlPlEEvT_T0_T1_T2_jjjjRNS5_12storage_typeE.private_seg_size)
	.set _ZN7rocprim17ROCPRIM_400000_NS6detail17trampoline_kernelINS0_14default_configENS1_36segmented_radix_sort_config_selectorIilEEZNS1_25segmented_radix_sort_implIS3_Lb1EPKiPiPKlPlN2at6native12_GLOBAL__N_18offset_tEEE10hipError_tPvRmT1_PNSt15iterator_traitsISK_E10value_typeET2_T3_PNSL_ISQ_E10value_typeET4_jRbjT5_SW_jjP12ihipStream_tbEUlT_E0_NS1_11comp_targetILNS1_3genE0ELNS1_11target_archE4294967295ELNS1_3gpuE0ELNS1_3repE0EEENS1_60segmented_radix_sort_warp_sort_medium_config_static_selectorELNS0_4arch9wavefront6targetE0EEEvSK_.uses_vcc, or(1, .L_ZN7rocprim17ROCPRIM_400000_NS6detail26segmented_warp_sort_helperINS1_20WarpSortHelperConfigILj16ELj8ELj256EEEilLi256ELb1EvE4sortIPKiPiPKlPlEEvT_T0_T1_T2_jjjjRNS5_12storage_typeE.uses_vcc)
	.set _ZN7rocprim17ROCPRIM_400000_NS6detail17trampoline_kernelINS0_14default_configENS1_36segmented_radix_sort_config_selectorIilEEZNS1_25segmented_radix_sort_implIS3_Lb1EPKiPiPKlPlN2at6native12_GLOBAL__N_18offset_tEEE10hipError_tPvRmT1_PNSt15iterator_traitsISK_E10value_typeET2_T3_PNSL_ISQ_E10value_typeET4_jRbjT5_SW_jjP12ihipStream_tbEUlT_E0_NS1_11comp_targetILNS1_3genE0ELNS1_11target_archE4294967295ELNS1_3gpuE0ELNS1_3repE0EEENS1_60segmented_radix_sort_warp_sort_medium_config_static_selectorELNS0_4arch9wavefront6targetE0EEEvSK_.uses_flat_scratch, or(0, .L_ZN7rocprim17ROCPRIM_400000_NS6detail26segmented_warp_sort_helperINS1_20WarpSortHelperConfigILj16ELj8ELj256EEEilLi256ELb1EvE4sortIPKiPiPKlPlEEvT_T0_T1_T2_jjjjRNS5_12storage_typeE.uses_flat_scratch)
	.set _ZN7rocprim17ROCPRIM_400000_NS6detail17trampoline_kernelINS0_14default_configENS1_36segmented_radix_sort_config_selectorIilEEZNS1_25segmented_radix_sort_implIS3_Lb1EPKiPiPKlPlN2at6native12_GLOBAL__N_18offset_tEEE10hipError_tPvRmT1_PNSt15iterator_traitsISK_E10value_typeET2_T3_PNSL_ISQ_E10value_typeET4_jRbjT5_SW_jjP12ihipStream_tbEUlT_E0_NS1_11comp_targetILNS1_3genE0ELNS1_11target_archE4294967295ELNS1_3gpuE0ELNS1_3repE0EEENS1_60segmented_radix_sort_warp_sort_medium_config_static_selectorELNS0_4arch9wavefront6targetE0EEEvSK_.has_dyn_sized_stack, or(0, .L_ZN7rocprim17ROCPRIM_400000_NS6detail26segmented_warp_sort_helperINS1_20WarpSortHelperConfigILj16ELj8ELj256EEEilLi256ELb1EvE4sortIPKiPiPKlPlEEvT_T0_T1_T2_jjjjRNS5_12storage_typeE.has_dyn_sized_stack)
	.set _ZN7rocprim17ROCPRIM_400000_NS6detail17trampoline_kernelINS0_14default_configENS1_36segmented_radix_sort_config_selectorIilEEZNS1_25segmented_radix_sort_implIS3_Lb1EPKiPiPKlPlN2at6native12_GLOBAL__N_18offset_tEEE10hipError_tPvRmT1_PNSt15iterator_traitsISK_E10value_typeET2_T3_PNSL_ISQ_E10value_typeET4_jRbjT5_SW_jjP12ihipStream_tbEUlT_E0_NS1_11comp_targetILNS1_3genE0ELNS1_11target_archE4294967295ELNS1_3gpuE0ELNS1_3repE0EEENS1_60segmented_radix_sort_warp_sort_medium_config_static_selectorELNS0_4arch9wavefront6targetE0EEEvSK_.has_recursion, or(0, .L_ZN7rocprim17ROCPRIM_400000_NS6detail26segmented_warp_sort_helperINS1_20WarpSortHelperConfigILj16ELj8ELj256EEEilLi256ELb1EvE4sortIPKiPiPKlPlEEvT_T0_T1_T2_jjjjRNS5_12storage_typeE.has_recursion)
	.set _ZN7rocprim17ROCPRIM_400000_NS6detail17trampoline_kernelINS0_14default_configENS1_36segmented_radix_sort_config_selectorIilEEZNS1_25segmented_radix_sort_implIS3_Lb1EPKiPiPKlPlN2at6native12_GLOBAL__N_18offset_tEEE10hipError_tPvRmT1_PNSt15iterator_traitsISK_E10value_typeET2_T3_PNSL_ISQ_E10value_typeET4_jRbjT5_SW_jjP12ihipStream_tbEUlT_E0_NS1_11comp_targetILNS1_3genE0ELNS1_11target_archE4294967295ELNS1_3gpuE0ELNS1_3repE0EEENS1_60segmented_radix_sort_warp_sort_medium_config_static_selectorELNS0_4arch9wavefront6targetE0EEEvSK_.has_indirect_call, or(0, .L_ZN7rocprim17ROCPRIM_400000_NS6detail26segmented_warp_sort_helperINS1_20WarpSortHelperConfigILj16ELj8ELj256EEEilLi256ELb1EvE4sortIPKiPiPKlPlEEvT_T0_T1_T2_jjjjRNS5_12storage_typeE.has_indirect_call)
	.section	.AMDGPU.csdata,"",@progbits
; Kernel info:
; codeLenInByte = 480
; TotalNumSgprs: 46
; NumVgprs: 72
; ScratchSize: 0
; MemoryBound: 0
; FloatMode: 240
; IeeeMode: 1
; LDSByteSize: 24576 bytes/workgroup (compile time only)
; SGPRBlocks: 0
; VGPRBlocks: 4
; NumSGPRsForWavesPerEU: 46
; NumVGPRsForWavesPerEU: 72
; NamedBarCnt: 0
; Occupancy: 12
; WaveLimiterHint : 0
; COMPUTE_PGM_RSRC2:SCRATCH_EN: 0
; COMPUTE_PGM_RSRC2:USER_SGPR: 4
; COMPUTE_PGM_RSRC2:TRAP_HANDLER: 0
; COMPUTE_PGM_RSRC2:TGID_X_EN: 1
; COMPUTE_PGM_RSRC2:TGID_Y_EN: 1
; COMPUTE_PGM_RSRC2:TGID_Z_EN: 0
; COMPUTE_PGM_RSRC2:TIDIG_COMP_CNT: 2
	.section	.text._ZN7rocprim17ROCPRIM_400000_NS6detail17trampoline_kernelINS0_14default_configENS1_36segmented_radix_sort_config_selectorIilEEZNS1_25segmented_radix_sort_implIS3_Lb1EPKiPiPKlPlN2at6native12_GLOBAL__N_18offset_tEEE10hipError_tPvRmT1_PNSt15iterator_traitsISK_E10value_typeET2_T3_PNSL_ISQ_E10value_typeET4_jRbjT5_SW_jjP12ihipStream_tbEUlT_E0_NS1_11comp_targetILNS1_3genE5ELNS1_11target_archE942ELNS1_3gpuE9ELNS1_3repE0EEENS1_60segmented_radix_sort_warp_sort_medium_config_static_selectorELNS0_4arch9wavefront6targetE0EEEvSK_,"axG",@progbits,_ZN7rocprim17ROCPRIM_400000_NS6detail17trampoline_kernelINS0_14default_configENS1_36segmented_radix_sort_config_selectorIilEEZNS1_25segmented_radix_sort_implIS3_Lb1EPKiPiPKlPlN2at6native12_GLOBAL__N_18offset_tEEE10hipError_tPvRmT1_PNSt15iterator_traitsISK_E10value_typeET2_T3_PNSL_ISQ_E10value_typeET4_jRbjT5_SW_jjP12ihipStream_tbEUlT_E0_NS1_11comp_targetILNS1_3genE5ELNS1_11target_archE942ELNS1_3gpuE9ELNS1_3repE0EEENS1_60segmented_radix_sort_warp_sort_medium_config_static_selectorELNS0_4arch9wavefront6targetE0EEEvSK_,comdat
	.globl	_ZN7rocprim17ROCPRIM_400000_NS6detail17trampoline_kernelINS0_14default_configENS1_36segmented_radix_sort_config_selectorIilEEZNS1_25segmented_radix_sort_implIS3_Lb1EPKiPiPKlPlN2at6native12_GLOBAL__N_18offset_tEEE10hipError_tPvRmT1_PNSt15iterator_traitsISK_E10value_typeET2_T3_PNSL_ISQ_E10value_typeET4_jRbjT5_SW_jjP12ihipStream_tbEUlT_E0_NS1_11comp_targetILNS1_3genE5ELNS1_11target_archE942ELNS1_3gpuE9ELNS1_3repE0EEENS1_60segmented_radix_sort_warp_sort_medium_config_static_selectorELNS0_4arch9wavefront6targetE0EEEvSK_ ; -- Begin function _ZN7rocprim17ROCPRIM_400000_NS6detail17trampoline_kernelINS0_14default_configENS1_36segmented_radix_sort_config_selectorIilEEZNS1_25segmented_radix_sort_implIS3_Lb1EPKiPiPKlPlN2at6native12_GLOBAL__N_18offset_tEEE10hipError_tPvRmT1_PNSt15iterator_traitsISK_E10value_typeET2_T3_PNSL_ISQ_E10value_typeET4_jRbjT5_SW_jjP12ihipStream_tbEUlT_E0_NS1_11comp_targetILNS1_3genE5ELNS1_11target_archE942ELNS1_3gpuE9ELNS1_3repE0EEENS1_60segmented_radix_sort_warp_sort_medium_config_static_selectorELNS0_4arch9wavefront6targetE0EEEvSK_
	.p2align	8
	.type	_ZN7rocprim17ROCPRIM_400000_NS6detail17trampoline_kernelINS0_14default_configENS1_36segmented_radix_sort_config_selectorIilEEZNS1_25segmented_radix_sort_implIS3_Lb1EPKiPiPKlPlN2at6native12_GLOBAL__N_18offset_tEEE10hipError_tPvRmT1_PNSt15iterator_traitsISK_E10value_typeET2_T3_PNSL_ISQ_E10value_typeET4_jRbjT5_SW_jjP12ihipStream_tbEUlT_E0_NS1_11comp_targetILNS1_3genE5ELNS1_11target_archE942ELNS1_3gpuE9ELNS1_3repE0EEENS1_60segmented_radix_sort_warp_sort_medium_config_static_selectorELNS0_4arch9wavefront6targetE0EEEvSK_,@function
_ZN7rocprim17ROCPRIM_400000_NS6detail17trampoline_kernelINS0_14default_configENS1_36segmented_radix_sort_config_selectorIilEEZNS1_25segmented_radix_sort_implIS3_Lb1EPKiPiPKlPlN2at6native12_GLOBAL__N_18offset_tEEE10hipError_tPvRmT1_PNSt15iterator_traitsISK_E10value_typeET2_T3_PNSL_ISQ_E10value_typeET4_jRbjT5_SW_jjP12ihipStream_tbEUlT_E0_NS1_11comp_targetILNS1_3genE5ELNS1_11target_archE942ELNS1_3gpuE9ELNS1_3repE0EEENS1_60segmented_radix_sort_warp_sort_medium_config_static_selectorELNS0_4arch9wavefront6targetE0EEEvSK_: ; @_ZN7rocprim17ROCPRIM_400000_NS6detail17trampoline_kernelINS0_14default_configENS1_36segmented_radix_sort_config_selectorIilEEZNS1_25segmented_radix_sort_implIS3_Lb1EPKiPiPKlPlN2at6native12_GLOBAL__N_18offset_tEEE10hipError_tPvRmT1_PNSt15iterator_traitsISK_E10value_typeET2_T3_PNSL_ISQ_E10value_typeET4_jRbjT5_SW_jjP12ihipStream_tbEUlT_E0_NS1_11comp_targetILNS1_3genE5ELNS1_11target_archE942ELNS1_3gpuE9ELNS1_3repE0EEENS1_60segmented_radix_sort_warp_sort_medium_config_static_selectorELNS0_4arch9wavefront6targetE0EEEvSK_
; %bb.0:
	.section	.rodata,"a",@progbits
	.p2align	6, 0x0
	.amdhsa_kernel _ZN7rocprim17ROCPRIM_400000_NS6detail17trampoline_kernelINS0_14default_configENS1_36segmented_radix_sort_config_selectorIilEEZNS1_25segmented_radix_sort_implIS3_Lb1EPKiPiPKlPlN2at6native12_GLOBAL__N_18offset_tEEE10hipError_tPvRmT1_PNSt15iterator_traitsISK_E10value_typeET2_T3_PNSL_ISQ_E10value_typeET4_jRbjT5_SW_jjP12ihipStream_tbEUlT_E0_NS1_11comp_targetILNS1_3genE5ELNS1_11target_archE942ELNS1_3gpuE9ELNS1_3repE0EEENS1_60segmented_radix_sort_warp_sort_medium_config_static_selectorELNS0_4arch9wavefront6targetE0EEEvSK_
		.amdhsa_group_segment_fixed_size 0
		.amdhsa_private_segment_fixed_size 0
		.amdhsa_kernarg_size 88
		.amdhsa_user_sgpr_count 2
		.amdhsa_user_sgpr_dispatch_ptr 0
		.amdhsa_user_sgpr_queue_ptr 0
		.amdhsa_user_sgpr_kernarg_segment_ptr 1
		.amdhsa_user_sgpr_dispatch_id 0
		.amdhsa_user_sgpr_kernarg_preload_length 0
		.amdhsa_user_sgpr_kernarg_preload_offset 0
		.amdhsa_user_sgpr_private_segment_size 0
		.amdhsa_wavefront_size32 1
		.amdhsa_uses_dynamic_stack 0
		.amdhsa_enable_private_segment 0
		.amdhsa_system_sgpr_workgroup_id_x 1
		.amdhsa_system_sgpr_workgroup_id_y 0
		.amdhsa_system_sgpr_workgroup_id_z 0
		.amdhsa_system_sgpr_workgroup_info 0
		.amdhsa_system_vgpr_workitem_id 0
		.amdhsa_next_free_vgpr 1
		.amdhsa_next_free_sgpr 1
		.amdhsa_named_barrier_count 0
		.amdhsa_reserve_vcc 0
		.amdhsa_float_round_mode_32 0
		.amdhsa_float_round_mode_16_64 0
		.amdhsa_float_denorm_mode_32 3
		.amdhsa_float_denorm_mode_16_64 3
		.amdhsa_fp16_overflow 0
		.amdhsa_memory_ordered 1
		.amdhsa_forward_progress 1
		.amdhsa_inst_pref_size 0
		.amdhsa_round_robin_scheduling 0
		.amdhsa_exception_fp_ieee_invalid_op 0
		.amdhsa_exception_fp_denorm_src 0
		.amdhsa_exception_fp_ieee_div_zero 0
		.amdhsa_exception_fp_ieee_overflow 0
		.amdhsa_exception_fp_ieee_underflow 0
		.amdhsa_exception_fp_ieee_inexact 0
		.amdhsa_exception_int_div_zero 0
	.end_amdhsa_kernel
	.section	.text._ZN7rocprim17ROCPRIM_400000_NS6detail17trampoline_kernelINS0_14default_configENS1_36segmented_radix_sort_config_selectorIilEEZNS1_25segmented_radix_sort_implIS3_Lb1EPKiPiPKlPlN2at6native12_GLOBAL__N_18offset_tEEE10hipError_tPvRmT1_PNSt15iterator_traitsISK_E10value_typeET2_T3_PNSL_ISQ_E10value_typeET4_jRbjT5_SW_jjP12ihipStream_tbEUlT_E0_NS1_11comp_targetILNS1_3genE5ELNS1_11target_archE942ELNS1_3gpuE9ELNS1_3repE0EEENS1_60segmented_radix_sort_warp_sort_medium_config_static_selectorELNS0_4arch9wavefront6targetE0EEEvSK_,"axG",@progbits,_ZN7rocprim17ROCPRIM_400000_NS6detail17trampoline_kernelINS0_14default_configENS1_36segmented_radix_sort_config_selectorIilEEZNS1_25segmented_radix_sort_implIS3_Lb1EPKiPiPKlPlN2at6native12_GLOBAL__N_18offset_tEEE10hipError_tPvRmT1_PNSt15iterator_traitsISK_E10value_typeET2_T3_PNSL_ISQ_E10value_typeET4_jRbjT5_SW_jjP12ihipStream_tbEUlT_E0_NS1_11comp_targetILNS1_3genE5ELNS1_11target_archE942ELNS1_3gpuE9ELNS1_3repE0EEENS1_60segmented_radix_sort_warp_sort_medium_config_static_selectorELNS0_4arch9wavefront6targetE0EEEvSK_,comdat
.Lfunc_end505:
	.size	_ZN7rocprim17ROCPRIM_400000_NS6detail17trampoline_kernelINS0_14default_configENS1_36segmented_radix_sort_config_selectorIilEEZNS1_25segmented_radix_sort_implIS3_Lb1EPKiPiPKlPlN2at6native12_GLOBAL__N_18offset_tEEE10hipError_tPvRmT1_PNSt15iterator_traitsISK_E10value_typeET2_T3_PNSL_ISQ_E10value_typeET4_jRbjT5_SW_jjP12ihipStream_tbEUlT_E0_NS1_11comp_targetILNS1_3genE5ELNS1_11target_archE942ELNS1_3gpuE9ELNS1_3repE0EEENS1_60segmented_radix_sort_warp_sort_medium_config_static_selectorELNS0_4arch9wavefront6targetE0EEEvSK_, .Lfunc_end505-_ZN7rocprim17ROCPRIM_400000_NS6detail17trampoline_kernelINS0_14default_configENS1_36segmented_radix_sort_config_selectorIilEEZNS1_25segmented_radix_sort_implIS3_Lb1EPKiPiPKlPlN2at6native12_GLOBAL__N_18offset_tEEE10hipError_tPvRmT1_PNSt15iterator_traitsISK_E10value_typeET2_T3_PNSL_ISQ_E10value_typeET4_jRbjT5_SW_jjP12ihipStream_tbEUlT_E0_NS1_11comp_targetILNS1_3genE5ELNS1_11target_archE942ELNS1_3gpuE9ELNS1_3repE0EEENS1_60segmented_radix_sort_warp_sort_medium_config_static_selectorELNS0_4arch9wavefront6targetE0EEEvSK_
                                        ; -- End function
	.set _ZN7rocprim17ROCPRIM_400000_NS6detail17trampoline_kernelINS0_14default_configENS1_36segmented_radix_sort_config_selectorIilEEZNS1_25segmented_radix_sort_implIS3_Lb1EPKiPiPKlPlN2at6native12_GLOBAL__N_18offset_tEEE10hipError_tPvRmT1_PNSt15iterator_traitsISK_E10value_typeET2_T3_PNSL_ISQ_E10value_typeET4_jRbjT5_SW_jjP12ihipStream_tbEUlT_E0_NS1_11comp_targetILNS1_3genE5ELNS1_11target_archE942ELNS1_3gpuE9ELNS1_3repE0EEENS1_60segmented_radix_sort_warp_sort_medium_config_static_selectorELNS0_4arch9wavefront6targetE0EEEvSK_.num_vgpr, 0
	.set _ZN7rocprim17ROCPRIM_400000_NS6detail17trampoline_kernelINS0_14default_configENS1_36segmented_radix_sort_config_selectorIilEEZNS1_25segmented_radix_sort_implIS3_Lb1EPKiPiPKlPlN2at6native12_GLOBAL__N_18offset_tEEE10hipError_tPvRmT1_PNSt15iterator_traitsISK_E10value_typeET2_T3_PNSL_ISQ_E10value_typeET4_jRbjT5_SW_jjP12ihipStream_tbEUlT_E0_NS1_11comp_targetILNS1_3genE5ELNS1_11target_archE942ELNS1_3gpuE9ELNS1_3repE0EEENS1_60segmented_radix_sort_warp_sort_medium_config_static_selectorELNS0_4arch9wavefront6targetE0EEEvSK_.num_agpr, 0
	.set _ZN7rocprim17ROCPRIM_400000_NS6detail17trampoline_kernelINS0_14default_configENS1_36segmented_radix_sort_config_selectorIilEEZNS1_25segmented_radix_sort_implIS3_Lb1EPKiPiPKlPlN2at6native12_GLOBAL__N_18offset_tEEE10hipError_tPvRmT1_PNSt15iterator_traitsISK_E10value_typeET2_T3_PNSL_ISQ_E10value_typeET4_jRbjT5_SW_jjP12ihipStream_tbEUlT_E0_NS1_11comp_targetILNS1_3genE5ELNS1_11target_archE942ELNS1_3gpuE9ELNS1_3repE0EEENS1_60segmented_radix_sort_warp_sort_medium_config_static_selectorELNS0_4arch9wavefront6targetE0EEEvSK_.numbered_sgpr, 0
	.set _ZN7rocprim17ROCPRIM_400000_NS6detail17trampoline_kernelINS0_14default_configENS1_36segmented_radix_sort_config_selectorIilEEZNS1_25segmented_radix_sort_implIS3_Lb1EPKiPiPKlPlN2at6native12_GLOBAL__N_18offset_tEEE10hipError_tPvRmT1_PNSt15iterator_traitsISK_E10value_typeET2_T3_PNSL_ISQ_E10value_typeET4_jRbjT5_SW_jjP12ihipStream_tbEUlT_E0_NS1_11comp_targetILNS1_3genE5ELNS1_11target_archE942ELNS1_3gpuE9ELNS1_3repE0EEENS1_60segmented_radix_sort_warp_sort_medium_config_static_selectorELNS0_4arch9wavefront6targetE0EEEvSK_.num_named_barrier, 0
	.set _ZN7rocprim17ROCPRIM_400000_NS6detail17trampoline_kernelINS0_14default_configENS1_36segmented_radix_sort_config_selectorIilEEZNS1_25segmented_radix_sort_implIS3_Lb1EPKiPiPKlPlN2at6native12_GLOBAL__N_18offset_tEEE10hipError_tPvRmT1_PNSt15iterator_traitsISK_E10value_typeET2_T3_PNSL_ISQ_E10value_typeET4_jRbjT5_SW_jjP12ihipStream_tbEUlT_E0_NS1_11comp_targetILNS1_3genE5ELNS1_11target_archE942ELNS1_3gpuE9ELNS1_3repE0EEENS1_60segmented_radix_sort_warp_sort_medium_config_static_selectorELNS0_4arch9wavefront6targetE0EEEvSK_.private_seg_size, 0
	.set _ZN7rocprim17ROCPRIM_400000_NS6detail17trampoline_kernelINS0_14default_configENS1_36segmented_radix_sort_config_selectorIilEEZNS1_25segmented_radix_sort_implIS3_Lb1EPKiPiPKlPlN2at6native12_GLOBAL__N_18offset_tEEE10hipError_tPvRmT1_PNSt15iterator_traitsISK_E10value_typeET2_T3_PNSL_ISQ_E10value_typeET4_jRbjT5_SW_jjP12ihipStream_tbEUlT_E0_NS1_11comp_targetILNS1_3genE5ELNS1_11target_archE942ELNS1_3gpuE9ELNS1_3repE0EEENS1_60segmented_radix_sort_warp_sort_medium_config_static_selectorELNS0_4arch9wavefront6targetE0EEEvSK_.uses_vcc, 0
	.set _ZN7rocprim17ROCPRIM_400000_NS6detail17trampoline_kernelINS0_14default_configENS1_36segmented_radix_sort_config_selectorIilEEZNS1_25segmented_radix_sort_implIS3_Lb1EPKiPiPKlPlN2at6native12_GLOBAL__N_18offset_tEEE10hipError_tPvRmT1_PNSt15iterator_traitsISK_E10value_typeET2_T3_PNSL_ISQ_E10value_typeET4_jRbjT5_SW_jjP12ihipStream_tbEUlT_E0_NS1_11comp_targetILNS1_3genE5ELNS1_11target_archE942ELNS1_3gpuE9ELNS1_3repE0EEENS1_60segmented_radix_sort_warp_sort_medium_config_static_selectorELNS0_4arch9wavefront6targetE0EEEvSK_.uses_flat_scratch, 0
	.set _ZN7rocprim17ROCPRIM_400000_NS6detail17trampoline_kernelINS0_14default_configENS1_36segmented_radix_sort_config_selectorIilEEZNS1_25segmented_radix_sort_implIS3_Lb1EPKiPiPKlPlN2at6native12_GLOBAL__N_18offset_tEEE10hipError_tPvRmT1_PNSt15iterator_traitsISK_E10value_typeET2_T3_PNSL_ISQ_E10value_typeET4_jRbjT5_SW_jjP12ihipStream_tbEUlT_E0_NS1_11comp_targetILNS1_3genE5ELNS1_11target_archE942ELNS1_3gpuE9ELNS1_3repE0EEENS1_60segmented_radix_sort_warp_sort_medium_config_static_selectorELNS0_4arch9wavefront6targetE0EEEvSK_.has_dyn_sized_stack, 0
	.set _ZN7rocprim17ROCPRIM_400000_NS6detail17trampoline_kernelINS0_14default_configENS1_36segmented_radix_sort_config_selectorIilEEZNS1_25segmented_radix_sort_implIS3_Lb1EPKiPiPKlPlN2at6native12_GLOBAL__N_18offset_tEEE10hipError_tPvRmT1_PNSt15iterator_traitsISK_E10value_typeET2_T3_PNSL_ISQ_E10value_typeET4_jRbjT5_SW_jjP12ihipStream_tbEUlT_E0_NS1_11comp_targetILNS1_3genE5ELNS1_11target_archE942ELNS1_3gpuE9ELNS1_3repE0EEENS1_60segmented_radix_sort_warp_sort_medium_config_static_selectorELNS0_4arch9wavefront6targetE0EEEvSK_.has_recursion, 0
	.set _ZN7rocprim17ROCPRIM_400000_NS6detail17trampoline_kernelINS0_14default_configENS1_36segmented_radix_sort_config_selectorIilEEZNS1_25segmented_radix_sort_implIS3_Lb1EPKiPiPKlPlN2at6native12_GLOBAL__N_18offset_tEEE10hipError_tPvRmT1_PNSt15iterator_traitsISK_E10value_typeET2_T3_PNSL_ISQ_E10value_typeET4_jRbjT5_SW_jjP12ihipStream_tbEUlT_E0_NS1_11comp_targetILNS1_3genE5ELNS1_11target_archE942ELNS1_3gpuE9ELNS1_3repE0EEENS1_60segmented_radix_sort_warp_sort_medium_config_static_selectorELNS0_4arch9wavefront6targetE0EEEvSK_.has_indirect_call, 0
	.section	.AMDGPU.csdata,"",@progbits
; Kernel info:
; codeLenInByte = 0
; TotalNumSgprs: 0
; NumVgprs: 0
; ScratchSize: 0
; MemoryBound: 0
; FloatMode: 240
; IeeeMode: 1
; LDSByteSize: 0 bytes/workgroup (compile time only)
; SGPRBlocks: 0
; VGPRBlocks: 0
; NumSGPRsForWavesPerEU: 1
; NumVGPRsForWavesPerEU: 1
; NamedBarCnt: 0
; Occupancy: 16
; WaveLimiterHint : 0
; COMPUTE_PGM_RSRC2:SCRATCH_EN: 0
; COMPUTE_PGM_RSRC2:USER_SGPR: 2
; COMPUTE_PGM_RSRC2:TRAP_HANDLER: 0
; COMPUTE_PGM_RSRC2:TGID_X_EN: 1
; COMPUTE_PGM_RSRC2:TGID_Y_EN: 0
; COMPUTE_PGM_RSRC2:TGID_Z_EN: 0
; COMPUTE_PGM_RSRC2:TIDIG_COMP_CNT: 0
	.section	.text._ZN7rocprim17ROCPRIM_400000_NS6detail17trampoline_kernelINS0_14default_configENS1_36segmented_radix_sort_config_selectorIilEEZNS1_25segmented_radix_sort_implIS3_Lb1EPKiPiPKlPlN2at6native12_GLOBAL__N_18offset_tEEE10hipError_tPvRmT1_PNSt15iterator_traitsISK_E10value_typeET2_T3_PNSL_ISQ_E10value_typeET4_jRbjT5_SW_jjP12ihipStream_tbEUlT_E0_NS1_11comp_targetILNS1_3genE4ELNS1_11target_archE910ELNS1_3gpuE8ELNS1_3repE0EEENS1_60segmented_radix_sort_warp_sort_medium_config_static_selectorELNS0_4arch9wavefront6targetE0EEEvSK_,"axG",@progbits,_ZN7rocprim17ROCPRIM_400000_NS6detail17trampoline_kernelINS0_14default_configENS1_36segmented_radix_sort_config_selectorIilEEZNS1_25segmented_radix_sort_implIS3_Lb1EPKiPiPKlPlN2at6native12_GLOBAL__N_18offset_tEEE10hipError_tPvRmT1_PNSt15iterator_traitsISK_E10value_typeET2_T3_PNSL_ISQ_E10value_typeET4_jRbjT5_SW_jjP12ihipStream_tbEUlT_E0_NS1_11comp_targetILNS1_3genE4ELNS1_11target_archE910ELNS1_3gpuE8ELNS1_3repE0EEENS1_60segmented_radix_sort_warp_sort_medium_config_static_selectorELNS0_4arch9wavefront6targetE0EEEvSK_,comdat
	.globl	_ZN7rocprim17ROCPRIM_400000_NS6detail17trampoline_kernelINS0_14default_configENS1_36segmented_radix_sort_config_selectorIilEEZNS1_25segmented_radix_sort_implIS3_Lb1EPKiPiPKlPlN2at6native12_GLOBAL__N_18offset_tEEE10hipError_tPvRmT1_PNSt15iterator_traitsISK_E10value_typeET2_T3_PNSL_ISQ_E10value_typeET4_jRbjT5_SW_jjP12ihipStream_tbEUlT_E0_NS1_11comp_targetILNS1_3genE4ELNS1_11target_archE910ELNS1_3gpuE8ELNS1_3repE0EEENS1_60segmented_radix_sort_warp_sort_medium_config_static_selectorELNS0_4arch9wavefront6targetE0EEEvSK_ ; -- Begin function _ZN7rocprim17ROCPRIM_400000_NS6detail17trampoline_kernelINS0_14default_configENS1_36segmented_radix_sort_config_selectorIilEEZNS1_25segmented_radix_sort_implIS3_Lb1EPKiPiPKlPlN2at6native12_GLOBAL__N_18offset_tEEE10hipError_tPvRmT1_PNSt15iterator_traitsISK_E10value_typeET2_T3_PNSL_ISQ_E10value_typeET4_jRbjT5_SW_jjP12ihipStream_tbEUlT_E0_NS1_11comp_targetILNS1_3genE4ELNS1_11target_archE910ELNS1_3gpuE8ELNS1_3repE0EEENS1_60segmented_radix_sort_warp_sort_medium_config_static_selectorELNS0_4arch9wavefront6targetE0EEEvSK_
	.p2align	8
	.type	_ZN7rocprim17ROCPRIM_400000_NS6detail17trampoline_kernelINS0_14default_configENS1_36segmented_radix_sort_config_selectorIilEEZNS1_25segmented_radix_sort_implIS3_Lb1EPKiPiPKlPlN2at6native12_GLOBAL__N_18offset_tEEE10hipError_tPvRmT1_PNSt15iterator_traitsISK_E10value_typeET2_T3_PNSL_ISQ_E10value_typeET4_jRbjT5_SW_jjP12ihipStream_tbEUlT_E0_NS1_11comp_targetILNS1_3genE4ELNS1_11target_archE910ELNS1_3gpuE8ELNS1_3repE0EEENS1_60segmented_radix_sort_warp_sort_medium_config_static_selectorELNS0_4arch9wavefront6targetE0EEEvSK_,@function
_ZN7rocprim17ROCPRIM_400000_NS6detail17trampoline_kernelINS0_14default_configENS1_36segmented_radix_sort_config_selectorIilEEZNS1_25segmented_radix_sort_implIS3_Lb1EPKiPiPKlPlN2at6native12_GLOBAL__N_18offset_tEEE10hipError_tPvRmT1_PNSt15iterator_traitsISK_E10value_typeET2_T3_PNSL_ISQ_E10value_typeET4_jRbjT5_SW_jjP12ihipStream_tbEUlT_E0_NS1_11comp_targetILNS1_3genE4ELNS1_11target_archE910ELNS1_3gpuE8ELNS1_3repE0EEENS1_60segmented_radix_sort_warp_sort_medium_config_static_selectorELNS0_4arch9wavefront6targetE0EEEvSK_: ; @_ZN7rocprim17ROCPRIM_400000_NS6detail17trampoline_kernelINS0_14default_configENS1_36segmented_radix_sort_config_selectorIilEEZNS1_25segmented_radix_sort_implIS3_Lb1EPKiPiPKlPlN2at6native12_GLOBAL__N_18offset_tEEE10hipError_tPvRmT1_PNSt15iterator_traitsISK_E10value_typeET2_T3_PNSL_ISQ_E10value_typeET4_jRbjT5_SW_jjP12ihipStream_tbEUlT_E0_NS1_11comp_targetILNS1_3genE4ELNS1_11target_archE910ELNS1_3gpuE8ELNS1_3repE0EEENS1_60segmented_radix_sort_warp_sort_medium_config_static_selectorELNS0_4arch9wavefront6targetE0EEEvSK_
; %bb.0:
	.section	.rodata,"a",@progbits
	.p2align	6, 0x0
	.amdhsa_kernel _ZN7rocprim17ROCPRIM_400000_NS6detail17trampoline_kernelINS0_14default_configENS1_36segmented_radix_sort_config_selectorIilEEZNS1_25segmented_radix_sort_implIS3_Lb1EPKiPiPKlPlN2at6native12_GLOBAL__N_18offset_tEEE10hipError_tPvRmT1_PNSt15iterator_traitsISK_E10value_typeET2_T3_PNSL_ISQ_E10value_typeET4_jRbjT5_SW_jjP12ihipStream_tbEUlT_E0_NS1_11comp_targetILNS1_3genE4ELNS1_11target_archE910ELNS1_3gpuE8ELNS1_3repE0EEENS1_60segmented_radix_sort_warp_sort_medium_config_static_selectorELNS0_4arch9wavefront6targetE0EEEvSK_
		.amdhsa_group_segment_fixed_size 0
		.amdhsa_private_segment_fixed_size 0
		.amdhsa_kernarg_size 88
		.amdhsa_user_sgpr_count 2
		.amdhsa_user_sgpr_dispatch_ptr 0
		.amdhsa_user_sgpr_queue_ptr 0
		.amdhsa_user_sgpr_kernarg_segment_ptr 1
		.amdhsa_user_sgpr_dispatch_id 0
		.amdhsa_user_sgpr_kernarg_preload_length 0
		.amdhsa_user_sgpr_kernarg_preload_offset 0
		.amdhsa_user_sgpr_private_segment_size 0
		.amdhsa_wavefront_size32 1
		.amdhsa_uses_dynamic_stack 0
		.amdhsa_enable_private_segment 0
		.amdhsa_system_sgpr_workgroup_id_x 1
		.amdhsa_system_sgpr_workgroup_id_y 0
		.amdhsa_system_sgpr_workgroup_id_z 0
		.amdhsa_system_sgpr_workgroup_info 0
		.amdhsa_system_vgpr_workitem_id 0
		.amdhsa_next_free_vgpr 1
		.amdhsa_next_free_sgpr 1
		.amdhsa_named_barrier_count 0
		.amdhsa_reserve_vcc 0
		.amdhsa_float_round_mode_32 0
		.amdhsa_float_round_mode_16_64 0
		.amdhsa_float_denorm_mode_32 3
		.amdhsa_float_denorm_mode_16_64 3
		.amdhsa_fp16_overflow 0
		.amdhsa_memory_ordered 1
		.amdhsa_forward_progress 1
		.amdhsa_inst_pref_size 0
		.amdhsa_round_robin_scheduling 0
		.amdhsa_exception_fp_ieee_invalid_op 0
		.amdhsa_exception_fp_denorm_src 0
		.amdhsa_exception_fp_ieee_div_zero 0
		.amdhsa_exception_fp_ieee_overflow 0
		.amdhsa_exception_fp_ieee_underflow 0
		.amdhsa_exception_fp_ieee_inexact 0
		.amdhsa_exception_int_div_zero 0
	.end_amdhsa_kernel
	.section	.text._ZN7rocprim17ROCPRIM_400000_NS6detail17trampoline_kernelINS0_14default_configENS1_36segmented_radix_sort_config_selectorIilEEZNS1_25segmented_radix_sort_implIS3_Lb1EPKiPiPKlPlN2at6native12_GLOBAL__N_18offset_tEEE10hipError_tPvRmT1_PNSt15iterator_traitsISK_E10value_typeET2_T3_PNSL_ISQ_E10value_typeET4_jRbjT5_SW_jjP12ihipStream_tbEUlT_E0_NS1_11comp_targetILNS1_3genE4ELNS1_11target_archE910ELNS1_3gpuE8ELNS1_3repE0EEENS1_60segmented_radix_sort_warp_sort_medium_config_static_selectorELNS0_4arch9wavefront6targetE0EEEvSK_,"axG",@progbits,_ZN7rocprim17ROCPRIM_400000_NS6detail17trampoline_kernelINS0_14default_configENS1_36segmented_radix_sort_config_selectorIilEEZNS1_25segmented_radix_sort_implIS3_Lb1EPKiPiPKlPlN2at6native12_GLOBAL__N_18offset_tEEE10hipError_tPvRmT1_PNSt15iterator_traitsISK_E10value_typeET2_T3_PNSL_ISQ_E10value_typeET4_jRbjT5_SW_jjP12ihipStream_tbEUlT_E0_NS1_11comp_targetILNS1_3genE4ELNS1_11target_archE910ELNS1_3gpuE8ELNS1_3repE0EEENS1_60segmented_radix_sort_warp_sort_medium_config_static_selectorELNS0_4arch9wavefront6targetE0EEEvSK_,comdat
.Lfunc_end506:
	.size	_ZN7rocprim17ROCPRIM_400000_NS6detail17trampoline_kernelINS0_14default_configENS1_36segmented_radix_sort_config_selectorIilEEZNS1_25segmented_radix_sort_implIS3_Lb1EPKiPiPKlPlN2at6native12_GLOBAL__N_18offset_tEEE10hipError_tPvRmT1_PNSt15iterator_traitsISK_E10value_typeET2_T3_PNSL_ISQ_E10value_typeET4_jRbjT5_SW_jjP12ihipStream_tbEUlT_E0_NS1_11comp_targetILNS1_3genE4ELNS1_11target_archE910ELNS1_3gpuE8ELNS1_3repE0EEENS1_60segmented_radix_sort_warp_sort_medium_config_static_selectorELNS0_4arch9wavefront6targetE0EEEvSK_, .Lfunc_end506-_ZN7rocprim17ROCPRIM_400000_NS6detail17trampoline_kernelINS0_14default_configENS1_36segmented_radix_sort_config_selectorIilEEZNS1_25segmented_radix_sort_implIS3_Lb1EPKiPiPKlPlN2at6native12_GLOBAL__N_18offset_tEEE10hipError_tPvRmT1_PNSt15iterator_traitsISK_E10value_typeET2_T3_PNSL_ISQ_E10value_typeET4_jRbjT5_SW_jjP12ihipStream_tbEUlT_E0_NS1_11comp_targetILNS1_3genE4ELNS1_11target_archE910ELNS1_3gpuE8ELNS1_3repE0EEENS1_60segmented_radix_sort_warp_sort_medium_config_static_selectorELNS0_4arch9wavefront6targetE0EEEvSK_
                                        ; -- End function
	.set _ZN7rocprim17ROCPRIM_400000_NS6detail17trampoline_kernelINS0_14default_configENS1_36segmented_radix_sort_config_selectorIilEEZNS1_25segmented_radix_sort_implIS3_Lb1EPKiPiPKlPlN2at6native12_GLOBAL__N_18offset_tEEE10hipError_tPvRmT1_PNSt15iterator_traitsISK_E10value_typeET2_T3_PNSL_ISQ_E10value_typeET4_jRbjT5_SW_jjP12ihipStream_tbEUlT_E0_NS1_11comp_targetILNS1_3genE4ELNS1_11target_archE910ELNS1_3gpuE8ELNS1_3repE0EEENS1_60segmented_radix_sort_warp_sort_medium_config_static_selectorELNS0_4arch9wavefront6targetE0EEEvSK_.num_vgpr, 0
	.set _ZN7rocprim17ROCPRIM_400000_NS6detail17trampoline_kernelINS0_14default_configENS1_36segmented_radix_sort_config_selectorIilEEZNS1_25segmented_radix_sort_implIS3_Lb1EPKiPiPKlPlN2at6native12_GLOBAL__N_18offset_tEEE10hipError_tPvRmT1_PNSt15iterator_traitsISK_E10value_typeET2_T3_PNSL_ISQ_E10value_typeET4_jRbjT5_SW_jjP12ihipStream_tbEUlT_E0_NS1_11comp_targetILNS1_3genE4ELNS1_11target_archE910ELNS1_3gpuE8ELNS1_3repE0EEENS1_60segmented_radix_sort_warp_sort_medium_config_static_selectorELNS0_4arch9wavefront6targetE0EEEvSK_.num_agpr, 0
	.set _ZN7rocprim17ROCPRIM_400000_NS6detail17trampoline_kernelINS0_14default_configENS1_36segmented_radix_sort_config_selectorIilEEZNS1_25segmented_radix_sort_implIS3_Lb1EPKiPiPKlPlN2at6native12_GLOBAL__N_18offset_tEEE10hipError_tPvRmT1_PNSt15iterator_traitsISK_E10value_typeET2_T3_PNSL_ISQ_E10value_typeET4_jRbjT5_SW_jjP12ihipStream_tbEUlT_E0_NS1_11comp_targetILNS1_3genE4ELNS1_11target_archE910ELNS1_3gpuE8ELNS1_3repE0EEENS1_60segmented_radix_sort_warp_sort_medium_config_static_selectorELNS0_4arch9wavefront6targetE0EEEvSK_.numbered_sgpr, 0
	.set _ZN7rocprim17ROCPRIM_400000_NS6detail17trampoline_kernelINS0_14default_configENS1_36segmented_radix_sort_config_selectorIilEEZNS1_25segmented_radix_sort_implIS3_Lb1EPKiPiPKlPlN2at6native12_GLOBAL__N_18offset_tEEE10hipError_tPvRmT1_PNSt15iterator_traitsISK_E10value_typeET2_T3_PNSL_ISQ_E10value_typeET4_jRbjT5_SW_jjP12ihipStream_tbEUlT_E0_NS1_11comp_targetILNS1_3genE4ELNS1_11target_archE910ELNS1_3gpuE8ELNS1_3repE0EEENS1_60segmented_radix_sort_warp_sort_medium_config_static_selectorELNS0_4arch9wavefront6targetE0EEEvSK_.num_named_barrier, 0
	.set _ZN7rocprim17ROCPRIM_400000_NS6detail17trampoline_kernelINS0_14default_configENS1_36segmented_radix_sort_config_selectorIilEEZNS1_25segmented_radix_sort_implIS3_Lb1EPKiPiPKlPlN2at6native12_GLOBAL__N_18offset_tEEE10hipError_tPvRmT1_PNSt15iterator_traitsISK_E10value_typeET2_T3_PNSL_ISQ_E10value_typeET4_jRbjT5_SW_jjP12ihipStream_tbEUlT_E0_NS1_11comp_targetILNS1_3genE4ELNS1_11target_archE910ELNS1_3gpuE8ELNS1_3repE0EEENS1_60segmented_radix_sort_warp_sort_medium_config_static_selectorELNS0_4arch9wavefront6targetE0EEEvSK_.private_seg_size, 0
	.set _ZN7rocprim17ROCPRIM_400000_NS6detail17trampoline_kernelINS0_14default_configENS1_36segmented_radix_sort_config_selectorIilEEZNS1_25segmented_radix_sort_implIS3_Lb1EPKiPiPKlPlN2at6native12_GLOBAL__N_18offset_tEEE10hipError_tPvRmT1_PNSt15iterator_traitsISK_E10value_typeET2_T3_PNSL_ISQ_E10value_typeET4_jRbjT5_SW_jjP12ihipStream_tbEUlT_E0_NS1_11comp_targetILNS1_3genE4ELNS1_11target_archE910ELNS1_3gpuE8ELNS1_3repE0EEENS1_60segmented_radix_sort_warp_sort_medium_config_static_selectorELNS0_4arch9wavefront6targetE0EEEvSK_.uses_vcc, 0
	.set _ZN7rocprim17ROCPRIM_400000_NS6detail17trampoline_kernelINS0_14default_configENS1_36segmented_radix_sort_config_selectorIilEEZNS1_25segmented_radix_sort_implIS3_Lb1EPKiPiPKlPlN2at6native12_GLOBAL__N_18offset_tEEE10hipError_tPvRmT1_PNSt15iterator_traitsISK_E10value_typeET2_T3_PNSL_ISQ_E10value_typeET4_jRbjT5_SW_jjP12ihipStream_tbEUlT_E0_NS1_11comp_targetILNS1_3genE4ELNS1_11target_archE910ELNS1_3gpuE8ELNS1_3repE0EEENS1_60segmented_radix_sort_warp_sort_medium_config_static_selectorELNS0_4arch9wavefront6targetE0EEEvSK_.uses_flat_scratch, 0
	.set _ZN7rocprim17ROCPRIM_400000_NS6detail17trampoline_kernelINS0_14default_configENS1_36segmented_radix_sort_config_selectorIilEEZNS1_25segmented_radix_sort_implIS3_Lb1EPKiPiPKlPlN2at6native12_GLOBAL__N_18offset_tEEE10hipError_tPvRmT1_PNSt15iterator_traitsISK_E10value_typeET2_T3_PNSL_ISQ_E10value_typeET4_jRbjT5_SW_jjP12ihipStream_tbEUlT_E0_NS1_11comp_targetILNS1_3genE4ELNS1_11target_archE910ELNS1_3gpuE8ELNS1_3repE0EEENS1_60segmented_radix_sort_warp_sort_medium_config_static_selectorELNS0_4arch9wavefront6targetE0EEEvSK_.has_dyn_sized_stack, 0
	.set _ZN7rocprim17ROCPRIM_400000_NS6detail17trampoline_kernelINS0_14default_configENS1_36segmented_radix_sort_config_selectorIilEEZNS1_25segmented_radix_sort_implIS3_Lb1EPKiPiPKlPlN2at6native12_GLOBAL__N_18offset_tEEE10hipError_tPvRmT1_PNSt15iterator_traitsISK_E10value_typeET2_T3_PNSL_ISQ_E10value_typeET4_jRbjT5_SW_jjP12ihipStream_tbEUlT_E0_NS1_11comp_targetILNS1_3genE4ELNS1_11target_archE910ELNS1_3gpuE8ELNS1_3repE0EEENS1_60segmented_radix_sort_warp_sort_medium_config_static_selectorELNS0_4arch9wavefront6targetE0EEEvSK_.has_recursion, 0
	.set _ZN7rocprim17ROCPRIM_400000_NS6detail17trampoline_kernelINS0_14default_configENS1_36segmented_radix_sort_config_selectorIilEEZNS1_25segmented_radix_sort_implIS3_Lb1EPKiPiPKlPlN2at6native12_GLOBAL__N_18offset_tEEE10hipError_tPvRmT1_PNSt15iterator_traitsISK_E10value_typeET2_T3_PNSL_ISQ_E10value_typeET4_jRbjT5_SW_jjP12ihipStream_tbEUlT_E0_NS1_11comp_targetILNS1_3genE4ELNS1_11target_archE910ELNS1_3gpuE8ELNS1_3repE0EEENS1_60segmented_radix_sort_warp_sort_medium_config_static_selectorELNS0_4arch9wavefront6targetE0EEEvSK_.has_indirect_call, 0
	.section	.AMDGPU.csdata,"",@progbits
; Kernel info:
; codeLenInByte = 0
; TotalNumSgprs: 0
; NumVgprs: 0
; ScratchSize: 0
; MemoryBound: 0
; FloatMode: 240
; IeeeMode: 1
; LDSByteSize: 0 bytes/workgroup (compile time only)
; SGPRBlocks: 0
; VGPRBlocks: 0
; NumSGPRsForWavesPerEU: 1
; NumVGPRsForWavesPerEU: 1
; NamedBarCnt: 0
; Occupancy: 16
; WaveLimiterHint : 0
; COMPUTE_PGM_RSRC2:SCRATCH_EN: 0
; COMPUTE_PGM_RSRC2:USER_SGPR: 2
; COMPUTE_PGM_RSRC2:TRAP_HANDLER: 0
; COMPUTE_PGM_RSRC2:TGID_X_EN: 1
; COMPUTE_PGM_RSRC2:TGID_Y_EN: 0
; COMPUTE_PGM_RSRC2:TGID_Z_EN: 0
; COMPUTE_PGM_RSRC2:TIDIG_COMP_CNT: 0
	.section	.text._ZN7rocprim17ROCPRIM_400000_NS6detail17trampoline_kernelINS0_14default_configENS1_36segmented_radix_sort_config_selectorIilEEZNS1_25segmented_radix_sort_implIS3_Lb1EPKiPiPKlPlN2at6native12_GLOBAL__N_18offset_tEEE10hipError_tPvRmT1_PNSt15iterator_traitsISK_E10value_typeET2_T3_PNSL_ISQ_E10value_typeET4_jRbjT5_SW_jjP12ihipStream_tbEUlT_E0_NS1_11comp_targetILNS1_3genE3ELNS1_11target_archE908ELNS1_3gpuE7ELNS1_3repE0EEENS1_60segmented_radix_sort_warp_sort_medium_config_static_selectorELNS0_4arch9wavefront6targetE0EEEvSK_,"axG",@progbits,_ZN7rocprim17ROCPRIM_400000_NS6detail17trampoline_kernelINS0_14default_configENS1_36segmented_radix_sort_config_selectorIilEEZNS1_25segmented_radix_sort_implIS3_Lb1EPKiPiPKlPlN2at6native12_GLOBAL__N_18offset_tEEE10hipError_tPvRmT1_PNSt15iterator_traitsISK_E10value_typeET2_T3_PNSL_ISQ_E10value_typeET4_jRbjT5_SW_jjP12ihipStream_tbEUlT_E0_NS1_11comp_targetILNS1_3genE3ELNS1_11target_archE908ELNS1_3gpuE7ELNS1_3repE0EEENS1_60segmented_radix_sort_warp_sort_medium_config_static_selectorELNS0_4arch9wavefront6targetE0EEEvSK_,comdat
	.globl	_ZN7rocprim17ROCPRIM_400000_NS6detail17trampoline_kernelINS0_14default_configENS1_36segmented_radix_sort_config_selectorIilEEZNS1_25segmented_radix_sort_implIS3_Lb1EPKiPiPKlPlN2at6native12_GLOBAL__N_18offset_tEEE10hipError_tPvRmT1_PNSt15iterator_traitsISK_E10value_typeET2_T3_PNSL_ISQ_E10value_typeET4_jRbjT5_SW_jjP12ihipStream_tbEUlT_E0_NS1_11comp_targetILNS1_3genE3ELNS1_11target_archE908ELNS1_3gpuE7ELNS1_3repE0EEENS1_60segmented_radix_sort_warp_sort_medium_config_static_selectorELNS0_4arch9wavefront6targetE0EEEvSK_ ; -- Begin function _ZN7rocprim17ROCPRIM_400000_NS6detail17trampoline_kernelINS0_14default_configENS1_36segmented_radix_sort_config_selectorIilEEZNS1_25segmented_radix_sort_implIS3_Lb1EPKiPiPKlPlN2at6native12_GLOBAL__N_18offset_tEEE10hipError_tPvRmT1_PNSt15iterator_traitsISK_E10value_typeET2_T3_PNSL_ISQ_E10value_typeET4_jRbjT5_SW_jjP12ihipStream_tbEUlT_E0_NS1_11comp_targetILNS1_3genE3ELNS1_11target_archE908ELNS1_3gpuE7ELNS1_3repE0EEENS1_60segmented_radix_sort_warp_sort_medium_config_static_selectorELNS0_4arch9wavefront6targetE0EEEvSK_
	.p2align	8
	.type	_ZN7rocprim17ROCPRIM_400000_NS6detail17trampoline_kernelINS0_14default_configENS1_36segmented_radix_sort_config_selectorIilEEZNS1_25segmented_radix_sort_implIS3_Lb1EPKiPiPKlPlN2at6native12_GLOBAL__N_18offset_tEEE10hipError_tPvRmT1_PNSt15iterator_traitsISK_E10value_typeET2_T3_PNSL_ISQ_E10value_typeET4_jRbjT5_SW_jjP12ihipStream_tbEUlT_E0_NS1_11comp_targetILNS1_3genE3ELNS1_11target_archE908ELNS1_3gpuE7ELNS1_3repE0EEENS1_60segmented_radix_sort_warp_sort_medium_config_static_selectorELNS0_4arch9wavefront6targetE0EEEvSK_,@function
_ZN7rocprim17ROCPRIM_400000_NS6detail17trampoline_kernelINS0_14default_configENS1_36segmented_radix_sort_config_selectorIilEEZNS1_25segmented_radix_sort_implIS3_Lb1EPKiPiPKlPlN2at6native12_GLOBAL__N_18offset_tEEE10hipError_tPvRmT1_PNSt15iterator_traitsISK_E10value_typeET2_T3_PNSL_ISQ_E10value_typeET4_jRbjT5_SW_jjP12ihipStream_tbEUlT_E0_NS1_11comp_targetILNS1_3genE3ELNS1_11target_archE908ELNS1_3gpuE7ELNS1_3repE0EEENS1_60segmented_radix_sort_warp_sort_medium_config_static_selectorELNS0_4arch9wavefront6targetE0EEEvSK_: ; @_ZN7rocprim17ROCPRIM_400000_NS6detail17trampoline_kernelINS0_14default_configENS1_36segmented_radix_sort_config_selectorIilEEZNS1_25segmented_radix_sort_implIS3_Lb1EPKiPiPKlPlN2at6native12_GLOBAL__N_18offset_tEEE10hipError_tPvRmT1_PNSt15iterator_traitsISK_E10value_typeET2_T3_PNSL_ISQ_E10value_typeET4_jRbjT5_SW_jjP12ihipStream_tbEUlT_E0_NS1_11comp_targetILNS1_3genE3ELNS1_11target_archE908ELNS1_3gpuE7ELNS1_3repE0EEENS1_60segmented_radix_sort_warp_sort_medium_config_static_selectorELNS0_4arch9wavefront6targetE0EEEvSK_
; %bb.0:
	.section	.rodata,"a",@progbits
	.p2align	6, 0x0
	.amdhsa_kernel _ZN7rocprim17ROCPRIM_400000_NS6detail17trampoline_kernelINS0_14default_configENS1_36segmented_radix_sort_config_selectorIilEEZNS1_25segmented_radix_sort_implIS3_Lb1EPKiPiPKlPlN2at6native12_GLOBAL__N_18offset_tEEE10hipError_tPvRmT1_PNSt15iterator_traitsISK_E10value_typeET2_T3_PNSL_ISQ_E10value_typeET4_jRbjT5_SW_jjP12ihipStream_tbEUlT_E0_NS1_11comp_targetILNS1_3genE3ELNS1_11target_archE908ELNS1_3gpuE7ELNS1_3repE0EEENS1_60segmented_radix_sort_warp_sort_medium_config_static_selectorELNS0_4arch9wavefront6targetE0EEEvSK_
		.amdhsa_group_segment_fixed_size 0
		.amdhsa_private_segment_fixed_size 0
		.amdhsa_kernarg_size 88
		.amdhsa_user_sgpr_count 2
		.amdhsa_user_sgpr_dispatch_ptr 0
		.amdhsa_user_sgpr_queue_ptr 0
		.amdhsa_user_sgpr_kernarg_segment_ptr 1
		.amdhsa_user_sgpr_dispatch_id 0
		.amdhsa_user_sgpr_kernarg_preload_length 0
		.amdhsa_user_sgpr_kernarg_preload_offset 0
		.amdhsa_user_sgpr_private_segment_size 0
		.amdhsa_wavefront_size32 1
		.amdhsa_uses_dynamic_stack 0
		.amdhsa_enable_private_segment 0
		.amdhsa_system_sgpr_workgroup_id_x 1
		.amdhsa_system_sgpr_workgroup_id_y 0
		.amdhsa_system_sgpr_workgroup_id_z 0
		.amdhsa_system_sgpr_workgroup_info 0
		.amdhsa_system_vgpr_workitem_id 0
		.amdhsa_next_free_vgpr 1
		.amdhsa_next_free_sgpr 1
		.amdhsa_named_barrier_count 0
		.amdhsa_reserve_vcc 0
		.amdhsa_float_round_mode_32 0
		.amdhsa_float_round_mode_16_64 0
		.amdhsa_float_denorm_mode_32 3
		.amdhsa_float_denorm_mode_16_64 3
		.amdhsa_fp16_overflow 0
		.amdhsa_memory_ordered 1
		.amdhsa_forward_progress 1
		.amdhsa_inst_pref_size 0
		.amdhsa_round_robin_scheduling 0
		.amdhsa_exception_fp_ieee_invalid_op 0
		.amdhsa_exception_fp_denorm_src 0
		.amdhsa_exception_fp_ieee_div_zero 0
		.amdhsa_exception_fp_ieee_overflow 0
		.amdhsa_exception_fp_ieee_underflow 0
		.amdhsa_exception_fp_ieee_inexact 0
		.amdhsa_exception_int_div_zero 0
	.end_amdhsa_kernel
	.section	.text._ZN7rocprim17ROCPRIM_400000_NS6detail17trampoline_kernelINS0_14default_configENS1_36segmented_radix_sort_config_selectorIilEEZNS1_25segmented_radix_sort_implIS3_Lb1EPKiPiPKlPlN2at6native12_GLOBAL__N_18offset_tEEE10hipError_tPvRmT1_PNSt15iterator_traitsISK_E10value_typeET2_T3_PNSL_ISQ_E10value_typeET4_jRbjT5_SW_jjP12ihipStream_tbEUlT_E0_NS1_11comp_targetILNS1_3genE3ELNS1_11target_archE908ELNS1_3gpuE7ELNS1_3repE0EEENS1_60segmented_radix_sort_warp_sort_medium_config_static_selectorELNS0_4arch9wavefront6targetE0EEEvSK_,"axG",@progbits,_ZN7rocprim17ROCPRIM_400000_NS6detail17trampoline_kernelINS0_14default_configENS1_36segmented_radix_sort_config_selectorIilEEZNS1_25segmented_radix_sort_implIS3_Lb1EPKiPiPKlPlN2at6native12_GLOBAL__N_18offset_tEEE10hipError_tPvRmT1_PNSt15iterator_traitsISK_E10value_typeET2_T3_PNSL_ISQ_E10value_typeET4_jRbjT5_SW_jjP12ihipStream_tbEUlT_E0_NS1_11comp_targetILNS1_3genE3ELNS1_11target_archE908ELNS1_3gpuE7ELNS1_3repE0EEENS1_60segmented_radix_sort_warp_sort_medium_config_static_selectorELNS0_4arch9wavefront6targetE0EEEvSK_,comdat
.Lfunc_end507:
	.size	_ZN7rocprim17ROCPRIM_400000_NS6detail17trampoline_kernelINS0_14default_configENS1_36segmented_radix_sort_config_selectorIilEEZNS1_25segmented_radix_sort_implIS3_Lb1EPKiPiPKlPlN2at6native12_GLOBAL__N_18offset_tEEE10hipError_tPvRmT1_PNSt15iterator_traitsISK_E10value_typeET2_T3_PNSL_ISQ_E10value_typeET4_jRbjT5_SW_jjP12ihipStream_tbEUlT_E0_NS1_11comp_targetILNS1_3genE3ELNS1_11target_archE908ELNS1_3gpuE7ELNS1_3repE0EEENS1_60segmented_radix_sort_warp_sort_medium_config_static_selectorELNS0_4arch9wavefront6targetE0EEEvSK_, .Lfunc_end507-_ZN7rocprim17ROCPRIM_400000_NS6detail17trampoline_kernelINS0_14default_configENS1_36segmented_radix_sort_config_selectorIilEEZNS1_25segmented_radix_sort_implIS3_Lb1EPKiPiPKlPlN2at6native12_GLOBAL__N_18offset_tEEE10hipError_tPvRmT1_PNSt15iterator_traitsISK_E10value_typeET2_T3_PNSL_ISQ_E10value_typeET4_jRbjT5_SW_jjP12ihipStream_tbEUlT_E0_NS1_11comp_targetILNS1_3genE3ELNS1_11target_archE908ELNS1_3gpuE7ELNS1_3repE0EEENS1_60segmented_radix_sort_warp_sort_medium_config_static_selectorELNS0_4arch9wavefront6targetE0EEEvSK_
                                        ; -- End function
	.set _ZN7rocprim17ROCPRIM_400000_NS6detail17trampoline_kernelINS0_14default_configENS1_36segmented_radix_sort_config_selectorIilEEZNS1_25segmented_radix_sort_implIS3_Lb1EPKiPiPKlPlN2at6native12_GLOBAL__N_18offset_tEEE10hipError_tPvRmT1_PNSt15iterator_traitsISK_E10value_typeET2_T3_PNSL_ISQ_E10value_typeET4_jRbjT5_SW_jjP12ihipStream_tbEUlT_E0_NS1_11comp_targetILNS1_3genE3ELNS1_11target_archE908ELNS1_3gpuE7ELNS1_3repE0EEENS1_60segmented_radix_sort_warp_sort_medium_config_static_selectorELNS0_4arch9wavefront6targetE0EEEvSK_.num_vgpr, 0
	.set _ZN7rocprim17ROCPRIM_400000_NS6detail17trampoline_kernelINS0_14default_configENS1_36segmented_radix_sort_config_selectorIilEEZNS1_25segmented_radix_sort_implIS3_Lb1EPKiPiPKlPlN2at6native12_GLOBAL__N_18offset_tEEE10hipError_tPvRmT1_PNSt15iterator_traitsISK_E10value_typeET2_T3_PNSL_ISQ_E10value_typeET4_jRbjT5_SW_jjP12ihipStream_tbEUlT_E0_NS1_11comp_targetILNS1_3genE3ELNS1_11target_archE908ELNS1_3gpuE7ELNS1_3repE0EEENS1_60segmented_radix_sort_warp_sort_medium_config_static_selectorELNS0_4arch9wavefront6targetE0EEEvSK_.num_agpr, 0
	.set _ZN7rocprim17ROCPRIM_400000_NS6detail17trampoline_kernelINS0_14default_configENS1_36segmented_radix_sort_config_selectorIilEEZNS1_25segmented_radix_sort_implIS3_Lb1EPKiPiPKlPlN2at6native12_GLOBAL__N_18offset_tEEE10hipError_tPvRmT1_PNSt15iterator_traitsISK_E10value_typeET2_T3_PNSL_ISQ_E10value_typeET4_jRbjT5_SW_jjP12ihipStream_tbEUlT_E0_NS1_11comp_targetILNS1_3genE3ELNS1_11target_archE908ELNS1_3gpuE7ELNS1_3repE0EEENS1_60segmented_radix_sort_warp_sort_medium_config_static_selectorELNS0_4arch9wavefront6targetE0EEEvSK_.numbered_sgpr, 0
	.set _ZN7rocprim17ROCPRIM_400000_NS6detail17trampoline_kernelINS0_14default_configENS1_36segmented_radix_sort_config_selectorIilEEZNS1_25segmented_radix_sort_implIS3_Lb1EPKiPiPKlPlN2at6native12_GLOBAL__N_18offset_tEEE10hipError_tPvRmT1_PNSt15iterator_traitsISK_E10value_typeET2_T3_PNSL_ISQ_E10value_typeET4_jRbjT5_SW_jjP12ihipStream_tbEUlT_E0_NS1_11comp_targetILNS1_3genE3ELNS1_11target_archE908ELNS1_3gpuE7ELNS1_3repE0EEENS1_60segmented_radix_sort_warp_sort_medium_config_static_selectorELNS0_4arch9wavefront6targetE0EEEvSK_.num_named_barrier, 0
	.set _ZN7rocprim17ROCPRIM_400000_NS6detail17trampoline_kernelINS0_14default_configENS1_36segmented_radix_sort_config_selectorIilEEZNS1_25segmented_radix_sort_implIS3_Lb1EPKiPiPKlPlN2at6native12_GLOBAL__N_18offset_tEEE10hipError_tPvRmT1_PNSt15iterator_traitsISK_E10value_typeET2_T3_PNSL_ISQ_E10value_typeET4_jRbjT5_SW_jjP12ihipStream_tbEUlT_E0_NS1_11comp_targetILNS1_3genE3ELNS1_11target_archE908ELNS1_3gpuE7ELNS1_3repE0EEENS1_60segmented_radix_sort_warp_sort_medium_config_static_selectorELNS0_4arch9wavefront6targetE0EEEvSK_.private_seg_size, 0
	.set _ZN7rocprim17ROCPRIM_400000_NS6detail17trampoline_kernelINS0_14default_configENS1_36segmented_radix_sort_config_selectorIilEEZNS1_25segmented_radix_sort_implIS3_Lb1EPKiPiPKlPlN2at6native12_GLOBAL__N_18offset_tEEE10hipError_tPvRmT1_PNSt15iterator_traitsISK_E10value_typeET2_T3_PNSL_ISQ_E10value_typeET4_jRbjT5_SW_jjP12ihipStream_tbEUlT_E0_NS1_11comp_targetILNS1_3genE3ELNS1_11target_archE908ELNS1_3gpuE7ELNS1_3repE0EEENS1_60segmented_radix_sort_warp_sort_medium_config_static_selectorELNS0_4arch9wavefront6targetE0EEEvSK_.uses_vcc, 0
	.set _ZN7rocprim17ROCPRIM_400000_NS6detail17trampoline_kernelINS0_14default_configENS1_36segmented_radix_sort_config_selectorIilEEZNS1_25segmented_radix_sort_implIS3_Lb1EPKiPiPKlPlN2at6native12_GLOBAL__N_18offset_tEEE10hipError_tPvRmT1_PNSt15iterator_traitsISK_E10value_typeET2_T3_PNSL_ISQ_E10value_typeET4_jRbjT5_SW_jjP12ihipStream_tbEUlT_E0_NS1_11comp_targetILNS1_3genE3ELNS1_11target_archE908ELNS1_3gpuE7ELNS1_3repE0EEENS1_60segmented_radix_sort_warp_sort_medium_config_static_selectorELNS0_4arch9wavefront6targetE0EEEvSK_.uses_flat_scratch, 0
	.set _ZN7rocprim17ROCPRIM_400000_NS6detail17trampoline_kernelINS0_14default_configENS1_36segmented_radix_sort_config_selectorIilEEZNS1_25segmented_radix_sort_implIS3_Lb1EPKiPiPKlPlN2at6native12_GLOBAL__N_18offset_tEEE10hipError_tPvRmT1_PNSt15iterator_traitsISK_E10value_typeET2_T3_PNSL_ISQ_E10value_typeET4_jRbjT5_SW_jjP12ihipStream_tbEUlT_E0_NS1_11comp_targetILNS1_3genE3ELNS1_11target_archE908ELNS1_3gpuE7ELNS1_3repE0EEENS1_60segmented_radix_sort_warp_sort_medium_config_static_selectorELNS0_4arch9wavefront6targetE0EEEvSK_.has_dyn_sized_stack, 0
	.set _ZN7rocprim17ROCPRIM_400000_NS6detail17trampoline_kernelINS0_14default_configENS1_36segmented_radix_sort_config_selectorIilEEZNS1_25segmented_radix_sort_implIS3_Lb1EPKiPiPKlPlN2at6native12_GLOBAL__N_18offset_tEEE10hipError_tPvRmT1_PNSt15iterator_traitsISK_E10value_typeET2_T3_PNSL_ISQ_E10value_typeET4_jRbjT5_SW_jjP12ihipStream_tbEUlT_E0_NS1_11comp_targetILNS1_3genE3ELNS1_11target_archE908ELNS1_3gpuE7ELNS1_3repE0EEENS1_60segmented_radix_sort_warp_sort_medium_config_static_selectorELNS0_4arch9wavefront6targetE0EEEvSK_.has_recursion, 0
	.set _ZN7rocprim17ROCPRIM_400000_NS6detail17trampoline_kernelINS0_14default_configENS1_36segmented_radix_sort_config_selectorIilEEZNS1_25segmented_radix_sort_implIS3_Lb1EPKiPiPKlPlN2at6native12_GLOBAL__N_18offset_tEEE10hipError_tPvRmT1_PNSt15iterator_traitsISK_E10value_typeET2_T3_PNSL_ISQ_E10value_typeET4_jRbjT5_SW_jjP12ihipStream_tbEUlT_E0_NS1_11comp_targetILNS1_3genE3ELNS1_11target_archE908ELNS1_3gpuE7ELNS1_3repE0EEENS1_60segmented_radix_sort_warp_sort_medium_config_static_selectorELNS0_4arch9wavefront6targetE0EEEvSK_.has_indirect_call, 0
	.section	.AMDGPU.csdata,"",@progbits
; Kernel info:
; codeLenInByte = 0
; TotalNumSgprs: 0
; NumVgprs: 0
; ScratchSize: 0
; MemoryBound: 0
; FloatMode: 240
; IeeeMode: 1
; LDSByteSize: 0 bytes/workgroup (compile time only)
; SGPRBlocks: 0
; VGPRBlocks: 0
; NumSGPRsForWavesPerEU: 1
; NumVGPRsForWavesPerEU: 1
; NamedBarCnt: 0
; Occupancy: 16
; WaveLimiterHint : 0
; COMPUTE_PGM_RSRC2:SCRATCH_EN: 0
; COMPUTE_PGM_RSRC2:USER_SGPR: 2
; COMPUTE_PGM_RSRC2:TRAP_HANDLER: 0
; COMPUTE_PGM_RSRC2:TGID_X_EN: 1
; COMPUTE_PGM_RSRC2:TGID_Y_EN: 0
; COMPUTE_PGM_RSRC2:TGID_Z_EN: 0
; COMPUTE_PGM_RSRC2:TIDIG_COMP_CNT: 0
	.section	.text._ZN7rocprim17ROCPRIM_400000_NS6detail17trampoline_kernelINS0_14default_configENS1_36segmented_radix_sort_config_selectorIilEEZNS1_25segmented_radix_sort_implIS3_Lb1EPKiPiPKlPlN2at6native12_GLOBAL__N_18offset_tEEE10hipError_tPvRmT1_PNSt15iterator_traitsISK_E10value_typeET2_T3_PNSL_ISQ_E10value_typeET4_jRbjT5_SW_jjP12ihipStream_tbEUlT_E0_NS1_11comp_targetILNS1_3genE2ELNS1_11target_archE906ELNS1_3gpuE6ELNS1_3repE0EEENS1_60segmented_radix_sort_warp_sort_medium_config_static_selectorELNS0_4arch9wavefront6targetE0EEEvSK_,"axG",@progbits,_ZN7rocprim17ROCPRIM_400000_NS6detail17trampoline_kernelINS0_14default_configENS1_36segmented_radix_sort_config_selectorIilEEZNS1_25segmented_radix_sort_implIS3_Lb1EPKiPiPKlPlN2at6native12_GLOBAL__N_18offset_tEEE10hipError_tPvRmT1_PNSt15iterator_traitsISK_E10value_typeET2_T3_PNSL_ISQ_E10value_typeET4_jRbjT5_SW_jjP12ihipStream_tbEUlT_E0_NS1_11comp_targetILNS1_3genE2ELNS1_11target_archE906ELNS1_3gpuE6ELNS1_3repE0EEENS1_60segmented_radix_sort_warp_sort_medium_config_static_selectorELNS0_4arch9wavefront6targetE0EEEvSK_,comdat
	.globl	_ZN7rocprim17ROCPRIM_400000_NS6detail17trampoline_kernelINS0_14default_configENS1_36segmented_radix_sort_config_selectorIilEEZNS1_25segmented_radix_sort_implIS3_Lb1EPKiPiPKlPlN2at6native12_GLOBAL__N_18offset_tEEE10hipError_tPvRmT1_PNSt15iterator_traitsISK_E10value_typeET2_T3_PNSL_ISQ_E10value_typeET4_jRbjT5_SW_jjP12ihipStream_tbEUlT_E0_NS1_11comp_targetILNS1_3genE2ELNS1_11target_archE906ELNS1_3gpuE6ELNS1_3repE0EEENS1_60segmented_radix_sort_warp_sort_medium_config_static_selectorELNS0_4arch9wavefront6targetE0EEEvSK_ ; -- Begin function _ZN7rocprim17ROCPRIM_400000_NS6detail17trampoline_kernelINS0_14default_configENS1_36segmented_radix_sort_config_selectorIilEEZNS1_25segmented_radix_sort_implIS3_Lb1EPKiPiPKlPlN2at6native12_GLOBAL__N_18offset_tEEE10hipError_tPvRmT1_PNSt15iterator_traitsISK_E10value_typeET2_T3_PNSL_ISQ_E10value_typeET4_jRbjT5_SW_jjP12ihipStream_tbEUlT_E0_NS1_11comp_targetILNS1_3genE2ELNS1_11target_archE906ELNS1_3gpuE6ELNS1_3repE0EEENS1_60segmented_radix_sort_warp_sort_medium_config_static_selectorELNS0_4arch9wavefront6targetE0EEEvSK_
	.p2align	8
	.type	_ZN7rocprim17ROCPRIM_400000_NS6detail17trampoline_kernelINS0_14default_configENS1_36segmented_radix_sort_config_selectorIilEEZNS1_25segmented_radix_sort_implIS3_Lb1EPKiPiPKlPlN2at6native12_GLOBAL__N_18offset_tEEE10hipError_tPvRmT1_PNSt15iterator_traitsISK_E10value_typeET2_T3_PNSL_ISQ_E10value_typeET4_jRbjT5_SW_jjP12ihipStream_tbEUlT_E0_NS1_11comp_targetILNS1_3genE2ELNS1_11target_archE906ELNS1_3gpuE6ELNS1_3repE0EEENS1_60segmented_radix_sort_warp_sort_medium_config_static_selectorELNS0_4arch9wavefront6targetE0EEEvSK_,@function
_ZN7rocprim17ROCPRIM_400000_NS6detail17trampoline_kernelINS0_14default_configENS1_36segmented_radix_sort_config_selectorIilEEZNS1_25segmented_radix_sort_implIS3_Lb1EPKiPiPKlPlN2at6native12_GLOBAL__N_18offset_tEEE10hipError_tPvRmT1_PNSt15iterator_traitsISK_E10value_typeET2_T3_PNSL_ISQ_E10value_typeET4_jRbjT5_SW_jjP12ihipStream_tbEUlT_E0_NS1_11comp_targetILNS1_3genE2ELNS1_11target_archE906ELNS1_3gpuE6ELNS1_3repE0EEENS1_60segmented_radix_sort_warp_sort_medium_config_static_selectorELNS0_4arch9wavefront6targetE0EEEvSK_: ; @_ZN7rocprim17ROCPRIM_400000_NS6detail17trampoline_kernelINS0_14default_configENS1_36segmented_radix_sort_config_selectorIilEEZNS1_25segmented_radix_sort_implIS3_Lb1EPKiPiPKlPlN2at6native12_GLOBAL__N_18offset_tEEE10hipError_tPvRmT1_PNSt15iterator_traitsISK_E10value_typeET2_T3_PNSL_ISQ_E10value_typeET4_jRbjT5_SW_jjP12ihipStream_tbEUlT_E0_NS1_11comp_targetILNS1_3genE2ELNS1_11target_archE906ELNS1_3gpuE6ELNS1_3repE0EEENS1_60segmented_radix_sort_warp_sort_medium_config_static_selectorELNS0_4arch9wavefront6targetE0EEEvSK_
; %bb.0:
	.section	.rodata,"a",@progbits
	.p2align	6, 0x0
	.amdhsa_kernel _ZN7rocprim17ROCPRIM_400000_NS6detail17trampoline_kernelINS0_14default_configENS1_36segmented_radix_sort_config_selectorIilEEZNS1_25segmented_radix_sort_implIS3_Lb1EPKiPiPKlPlN2at6native12_GLOBAL__N_18offset_tEEE10hipError_tPvRmT1_PNSt15iterator_traitsISK_E10value_typeET2_T3_PNSL_ISQ_E10value_typeET4_jRbjT5_SW_jjP12ihipStream_tbEUlT_E0_NS1_11comp_targetILNS1_3genE2ELNS1_11target_archE906ELNS1_3gpuE6ELNS1_3repE0EEENS1_60segmented_radix_sort_warp_sort_medium_config_static_selectorELNS0_4arch9wavefront6targetE0EEEvSK_
		.amdhsa_group_segment_fixed_size 0
		.amdhsa_private_segment_fixed_size 0
		.amdhsa_kernarg_size 88
		.amdhsa_user_sgpr_count 2
		.amdhsa_user_sgpr_dispatch_ptr 0
		.amdhsa_user_sgpr_queue_ptr 0
		.amdhsa_user_sgpr_kernarg_segment_ptr 1
		.amdhsa_user_sgpr_dispatch_id 0
		.amdhsa_user_sgpr_kernarg_preload_length 0
		.amdhsa_user_sgpr_kernarg_preload_offset 0
		.amdhsa_user_sgpr_private_segment_size 0
		.amdhsa_wavefront_size32 1
		.amdhsa_uses_dynamic_stack 0
		.amdhsa_enable_private_segment 0
		.amdhsa_system_sgpr_workgroup_id_x 1
		.amdhsa_system_sgpr_workgroup_id_y 0
		.amdhsa_system_sgpr_workgroup_id_z 0
		.amdhsa_system_sgpr_workgroup_info 0
		.amdhsa_system_vgpr_workitem_id 0
		.amdhsa_next_free_vgpr 1
		.amdhsa_next_free_sgpr 1
		.amdhsa_named_barrier_count 0
		.amdhsa_reserve_vcc 0
		.amdhsa_float_round_mode_32 0
		.amdhsa_float_round_mode_16_64 0
		.amdhsa_float_denorm_mode_32 3
		.amdhsa_float_denorm_mode_16_64 3
		.amdhsa_fp16_overflow 0
		.amdhsa_memory_ordered 1
		.amdhsa_forward_progress 1
		.amdhsa_inst_pref_size 0
		.amdhsa_round_robin_scheduling 0
		.amdhsa_exception_fp_ieee_invalid_op 0
		.amdhsa_exception_fp_denorm_src 0
		.amdhsa_exception_fp_ieee_div_zero 0
		.amdhsa_exception_fp_ieee_overflow 0
		.amdhsa_exception_fp_ieee_underflow 0
		.amdhsa_exception_fp_ieee_inexact 0
		.amdhsa_exception_int_div_zero 0
	.end_amdhsa_kernel
	.section	.text._ZN7rocprim17ROCPRIM_400000_NS6detail17trampoline_kernelINS0_14default_configENS1_36segmented_radix_sort_config_selectorIilEEZNS1_25segmented_radix_sort_implIS3_Lb1EPKiPiPKlPlN2at6native12_GLOBAL__N_18offset_tEEE10hipError_tPvRmT1_PNSt15iterator_traitsISK_E10value_typeET2_T3_PNSL_ISQ_E10value_typeET4_jRbjT5_SW_jjP12ihipStream_tbEUlT_E0_NS1_11comp_targetILNS1_3genE2ELNS1_11target_archE906ELNS1_3gpuE6ELNS1_3repE0EEENS1_60segmented_radix_sort_warp_sort_medium_config_static_selectorELNS0_4arch9wavefront6targetE0EEEvSK_,"axG",@progbits,_ZN7rocprim17ROCPRIM_400000_NS6detail17trampoline_kernelINS0_14default_configENS1_36segmented_radix_sort_config_selectorIilEEZNS1_25segmented_radix_sort_implIS3_Lb1EPKiPiPKlPlN2at6native12_GLOBAL__N_18offset_tEEE10hipError_tPvRmT1_PNSt15iterator_traitsISK_E10value_typeET2_T3_PNSL_ISQ_E10value_typeET4_jRbjT5_SW_jjP12ihipStream_tbEUlT_E0_NS1_11comp_targetILNS1_3genE2ELNS1_11target_archE906ELNS1_3gpuE6ELNS1_3repE0EEENS1_60segmented_radix_sort_warp_sort_medium_config_static_selectorELNS0_4arch9wavefront6targetE0EEEvSK_,comdat
.Lfunc_end508:
	.size	_ZN7rocprim17ROCPRIM_400000_NS6detail17trampoline_kernelINS0_14default_configENS1_36segmented_radix_sort_config_selectorIilEEZNS1_25segmented_radix_sort_implIS3_Lb1EPKiPiPKlPlN2at6native12_GLOBAL__N_18offset_tEEE10hipError_tPvRmT1_PNSt15iterator_traitsISK_E10value_typeET2_T3_PNSL_ISQ_E10value_typeET4_jRbjT5_SW_jjP12ihipStream_tbEUlT_E0_NS1_11comp_targetILNS1_3genE2ELNS1_11target_archE906ELNS1_3gpuE6ELNS1_3repE0EEENS1_60segmented_radix_sort_warp_sort_medium_config_static_selectorELNS0_4arch9wavefront6targetE0EEEvSK_, .Lfunc_end508-_ZN7rocprim17ROCPRIM_400000_NS6detail17trampoline_kernelINS0_14default_configENS1_36segmented_radix_sort_config_selectorIilEEZNS1_25segmented_radix_sort_implIS3_Lb1EPKiPiPKlPlN2at6native12_GLOBAL__N_18offset_tEEE10hipError_tPvRmT1_PNSt15iterator_traitsISK_E10value_typeET2_T3_PNSL_ISQ_E10value_typeET4_jRbjT5_SW_jjP12ihipStream_tbEUlT_E0_NS1_11comp_targetILNS1_3genE2ELNS1_11target_archE906ELNS1_3gpuE6ELNS1_3repE0EEENS1_60segmented_radix_sort_warp_sort_medium_config_static_selectorELNS0_4arch9wavefront6targetE0EEEvSK_
                                        ; -- End function
	.set _ZN7rocprim17ROCPRIM_400000_NS6detail17trampoline_kernelINS0_14default_configENS1_36segmented_radix_sort_config_selectorIilEEZNS1_25segmented_radix_sort_implIS3_Lb1EPKiPiPKlPlN2at6native12_GLOBAL__N_18offset_tEEE10hipError_tPvRmT1_PNSt15iterator_traitsISK_E10value_typeET2_T3_PNSL_ISQ_E10value_typeET4_jRbjT5_SW_jjP12ihipStream_tbEUlT_E0_NS1_11comp_targetILNS1_3genE2ELNS1_11target_archE906ELNS1_3gpuE6ELNS1_3repE0EEENS1_60segmented_radix_sort_warp_sort_medium_config_static_selectorELNS0_4arch9wavefront6targetE0EEEvSK_.num_vgpr, 0
	.set _ZN7rocprim17ROCPRIM_400000_NS6detail17trampoline_kernelINS0_14default_configENS1_36segmented_radix_sort_config_selectorIilEEZNS1_25segmented_radix_sort_implIS3_Lb1EPKiPiPKlPlN2at6native12_GLOBAL__N_18offset_tEEE10hipError_tPvRmT1_PNSt15iterator_traitsISK_E10value_typeET2_T3_PNSL_ISQ_E10value_typeET4_jRbjT5_SW_jjP12ihipStream_tbEUlT_E0_NS1_11comp_targetILNS1_3genE2ELNS1_11target_archE906ELNS1_3gpuE6ELNS1_3repE0EEENS1_60segmented_radix_sort_warp_sort_medium_config_static_selectorELNS0_4arch9wavefront6targetE0EEEvSK_.num_agpr, 0
	.set _ZN7rocprim17ROCPRIM_400000_NS6detail17trampoline_kernelINS0_14default_configENS1_36segmented_radix_sort_config_selectorIilEEZNS1_25segmented_radix_sort_implIS3_Lb1EPKiPiPKlPlN2at6native12_GLOBAL__N_18offset_tEEE10hipError_tPvRmT1_PNSt15iterator_traitsISK_E10value_typeET2_T3_PNSL_ISQ_E10value_typeET4_jRbjT5_SW_jjP12ihipStream_tbEUlT_E0_NS1_11comp_targetILNS1_3genE2ELNS1_11target_archE906ELNS1_3gpuE6ELNS1_3repE0EEENS1_60segmented_radix_sort_warp_sort_medium_config_static_selectorELNS0_4arch9wavefront6targetE0EEEvSK_.numbered_sgpr, 0
	.set _ZN7rocprim17ROCPRIM_400000_NS6detail17trampoline_kernelINS0_14default_configENS1_36segmented_radix_sort_config_selectorIilEEZNS1_25segmented_radix_sort_implIS3_Lb1EPKiPiPKlPlN2at6native12_GLOBAL__N_18offset_tEEE10hipError_tPvRmT1_PNSt15iterator_traitsISK_E10value_typeET2_T3_PNSL_ISQ_E10value_typeET4_jRbjT5_SW_jjP12ihipStream_tbEUlT_E0_NS1_11comp_targetILNS1_3genE2ELNS1_11target_archE906ELNS1_3gpuE6ELNS1_3repE0EEENS1_60segmented_radix_sort_warp_sort_medium_config_static_selectorELNS0_4arch9wavefront6targetE0EEEvSK_.num_named_barrier, 0
	.set _ZN7rocprim17ROCPRIM_400000_NS6detail17trampoline_kernelINS0_14default_configENS1_36segmented_radix_sort_config_selectorIilEEZNS1_25segmented_radix_sort_implIS3_Lb1EPKiPiPKlPlN2at6native12_GLOBAL__N_18offset_tEEE10hipError_tPvRmT1_PNSt15iterator_traitsISK_E10value_typeET2_T3_PNSL_ISQ_E10value_typeET4_jRbjT5_SW_jjP12ihipStream_tbEUlT_E0_NS1_11comp_targetILNS1_3genE2ELNS1_11target_archE906ELNS1_3gpuE6ELNS1_3repE0EEENS1_60segmented_radix_sort_warp_sort_medium_config_static_selectorELNS0_4arch9wavefront6targetE0EEEvSK_.private_seg_size, 0
	.set _ZN7rocprim17ROCPRIM_400000_NS6detail17trampoline_kernelINS0_14default_configENS1_36segmented_radix_sort_config_selectorIilEEZNS1_25segmented_radix_sort_implIS3_Lb1EPKiPiPKlPlN2at6native12_GLOBAL__N_18offset_tEEE10hipError_tPvRmT1_PNSt15iterator_traitsISK_E10value_typeET2_T3_PNSL_ISQ_E10value_typeET4_jRbjT5_SW_jjP12ihipStream_tbEUlT_E0_NS1_11comp_targetILNS1_3genE2ELNS1_11target_archE906ELNS1_3gpuE6ELNS1_3repE0EEENS1_60segmented_radix_sort_warp_sort_medium_config_static_selectorELNS0_4arch9wavefront6targetE0EEEvSK_.uses_vcc, 0
	.set _ZN7rocprim17ROCPRIM_400000_NS6detail17trampoline_kernelINS0_14default_configENS1_36segmented_radix_sort_config_selectorIilEEZNS1_25segmented_radix_sort_implIS3_Lb1EPKiPiPKlPlN2at6native12_GLOBAL__N_18offset_tEEE10hipError_tPvRmT1_PNSt15iterator_traitsISK_E10value_typeET2_T3_PNSL_ISQ_E10value_typeET4_jRbjT5_SW_jjP12ihipStream_tbEUlT_E0_NS1_11comp_targetILNS1_3genE2ELNS1_11target_archE906ELNS1_3gpuE6ELNS1_3repE0EEENS1_60segmented_radix_sort_warp_sort_medium_config_static_selectorELNS0_4arch9wavefront6targetE0EEEvSK_.uses_flat_scratch, 0
	.set _ZN7rocprim17ROCPRIM_400000_NS6detail17trampoline_kernelINS0_14default_configENS1_36segmented_radix_sort_config_selectorIilEEZNS1_25segmented_radix_sort_implIS3_Lb1EPKiPiPKlPlN2at6native12_GLOBAL__N_18offset_tEEE10hipError_tPvRmT1_PNSt15iterator_traitsISK_E10value_typeET2_T3_PNSL_ISQ_E10value_typeET4_jRbjT5_SW_jjP12ihipStream_tbEUlT_E0_NS1_11comp_targetILNS1_3genE2ELNS1_11target_archE906ELNS1_3gpuE6ELNS1_3repE0EEENS1_60segmented_radix_sort_warp_sort_medium_config_static_selectorELNS0_4arch9wavefront6targetE0EEEvSK_.has_dyn_sized_stack, 0
	.set _ZN7rocprim17ROCPRIM_400000_NS6detail17trampoline_kernelINS0_14default_configENS1_36segmented_radix_sort_config_selectorIilEEZNS1_25segmented_radix_sort_implIS3_Lb1EPKiPiPKlPlN2at6native12_GLOBAL__N_18offset_tEEE10hipError_tPvRmT1_PNSt15iterator_traitsISK_E10value_typeET2_T3_PNSL_ISQ_E10value_typeET4_jRbjT5_SW_jjP12ihipStream_tbEUlT_E0_NS1_11comp_targetILNS1_3genE2ELNS1_11target_archE906ELNS1_3gpuE6ELNS1_3repE0EEENS1_60segmented_radix_sort_warp_sort_medium_config_static_selectorELNS0_4arch9wavefront6targetE0EEEvSK_.has_recursion, 0
	.set _ZN7rocprim17ROCPRIM_400000_NS6detail17trampoline_kernelINS0_14default_configENS1_36segmented_radix_sort_config_selectorIilEEZNS1_25segmented_radix_sort_implIS3_Lb1EPKiPiPKlPlN2at6native12_GLOBAL__N_18offset_tEEE10hipError_tPvRmT1_PNSt15iterator_traitsISK_E10value_typeET2_T3_PNSL_ISQ_E10value_typeET4_jRbjT5_SW_jjP12ihipStream_tbEUlT_E0_NS1_11comp_targetILNS1_3genE2ELNS1_11target_archE906ELNS1_3gpuE6ELNS1_3repE0EEENS1_60segmented_radix_sort_warp_sort_medium_config_static_selectorELNS0_4arch9wavefront6targetE0EEEvSK_.has_indirect_call, 0
	.section	.AMDGPU.csdata,"",@progbits
; Kernel info:
; codeLenInByte = 0
; TotalNumSgprs: 0
; NumVgprs: 0
; ScratchSize: 0
; MemoryBound: 0
; FloatMode: 240
; IeeeMode: 1
; LDSByteSize: 0 bytes/workgroup (compile time only)
; SGPRBlocks: 0
; VGPRBlocks: 0
; NumSGPRsForWavesPerEU: 1
; NumVGPRsForWavesPerEU: 1
; NamedBarCnt: 0
; Occupancy: 16
; WaveLimiterHint : 0
; COMPUTE_PGM_RSRC2:SCRATCH_EN: 0
; COMPUTE_PGM_RSRC2:USER_SGPR: 2
; COMPUTE_PGM_RSRC2:TRAP_HANDLER: 0
; COMPUTE_PGM_RSRC2:TGID_X_EN: 1
; COMPUTE_PGM_RSRC2:TGID_Y_EN: 0
; COMPUTE_PGM_RSRC2:TGID_Z_EN: 0
; COMPUTE_PGM_RSRC2:TIDIG_COMP_CNT: 0
	.section	.text._ZN7rocprim17ROCPRIM_400000_NS6detail17trampoline_kernelINS0_14default_configENS1_36segmented_radix_sort_config_selectorIilEEZNS1_25segmented_radix_sort_implIS3_Lb1EPKiPiPKlPlN2at6native12_GLOBAL__N_18offset_tEEE10hipError_tPvRmT1_PNSt15iterator_traitsISK_E10value_typeET2_T3_PNSL_ISQ_E10value_typeET4_jRbjT5_SW_jjP12ihipStream_tbEUlT_E0_NS1_11comp_targetILNS1_3genE10ELNS1_11target_archE1201ELNS1_3gpuE5ELNS1_3repE0EEENS1_60segmented_radix_sort_warp_sort_medium_config_static_selectorELNS0_4arch9wavefront6targetE0EEEvSK_,"axG",@progbits,_ZN7rocprim17ROCPRIM_400000_NS6detail17trampoline_kernelINS0_14default_configENS1_36segmented_radix_sort_config_selectorIilEEZNS1_25segmented_radix_sort_implIS3_Lb1EPKiPiPKlPlN2at6native12_GLOBAL__N_18offset_tEEE10hipError_tPvRmT1_PNSt15iterator_traitsISK_E10value_typeET2_T3_PNSL_ISQ_E10value_typeET4_jRbjT5_SW_jjP12ihipStream_tbEUlT_E0_NS1_11comp_targetILNS1_3genE10ELNS1_11target_archE1201ELNS1_3gpuE5ELNS1_3repE0EEENS1_60segmented_radix_sort_warp_sort_medium_config_static_selectorELNS0_4arch9wavefront6targetE0EEEvSK_,comdat
	.globl	_ZN7rocprim17ROCPRIM_400000_NS6detail17trampoline_kernelINS0_14default_configENS1_36segmented_radix_sort_config_selectorIilEEZNS1_25segmented_radix_sort_implIS3_Lb1EPKiPiPKlPlN2at6native12_GLOBAL__N_18offset_tEEE10hipError_tPvRmT1_PNSt15iterator_traitsISK_E10value_typeET2_T3_PNSL_ISQ_E10value_typeET4_jRbjT5_SW_jjP12ihipStream_tbEUlT_E0_NS1_11comp_targetILNS1_3genE10ELNS1_11target_archE1201ELNS1_3gpuE5ELNS1_3repE0EEENS1_60segmented_radix_sort_warp_sort_medium_config_static_selectorELNS0_4arch9wavefront6targetE0EEEvSK_ ; -- Begin function _ZN7rocprim17ROCPRIM_400000_NS6detail17trampoline_kernelINS0_14default_configENS1_36segmented_radix_sort_config_selectorIilEEZNS1_25segmented_radix_sort_implIS3_Lb1EPKiPiPKlPlN2at6native12_GLOBAL__N_18offset_tEEE10hipError_tPvRmT1_PNSt15iterator_traitsISK_E10value_typeET2_T3_PNSL_ISQ_E10value_typeET4_jRbjT5_SW_jjP12ihipStream_tbEUlT_E0_NS1_11comp_targetILNS1_3genE10ELNS1_11target_archE1201ELNS1_3gpuE5ELNS1_3repE0EEENS1_60segmented_radix_sort_warp_sort_medium_config_static_selectorELNS0_4arch9wavefront6targetE0EEEvSK_
	.p2align	8
	.type	_ZN7rocprim17ROCPRIM_400000_NS6detail17trampoline_kernelINS0_14default_configENS1_36segmented_radix_sort_config_selectorIilEEZNS1_25segmented_radix_sort_implIS3_Lb1EPKiPiPKlPlN2at6native12_GLOBAL__N_18offset_tEEE10hipError_tPvRmT1_PNSt15iterator_traitsISK_E10value_typeET2_T3_PNSL_ISQ_E10value_typeET4_jRbjT5_SW_jjP12ihipStream_tbEUlT_E0_NS1_11comp_targetILNS1_3genE10ELNS1_11target_archE1201ELNS1_3gpuE5ELNS1_3repE0EEENS1_60segmented_radix_sort_warp_sort_medium_config_static_selectorELNS0_4arch9wavefront6targetE0EEEvSK_,@function
_ZN7rocprim17ROCPRIM_400000_NS6detail17trampoline_kernelINS0_14default_configENS1_36segmented_radix_sort_config_selectorIilEEZNS1_25segmented_radix_sort_implIS3_Lb1EPKiPiPKlPlN2at6native12_GLOBAL__N_18offset_tEEE10hipError_tPvRmT1_PNSt15iterator_traitsISK_E10value_typeET2_T3_PNSL_ISQ_E10value_typeET4_jRbjT5_SW_jjP12ihipStream_tbEUlT_E0_NS1_11comp_targetILNS1_3genE10ELNS1_11target_archE1201ELNS1_3gpuE5ELNS1_3repE0EEENS1_60segmented_radix_sort_warp_sort_medium_config_static_selectorELNS0_4arch9wavefront6targetE0EEEvSK_: ; @_ZN7rocprim17ROCPRIM_400000_NS6detail17trampoline_kernelINS0_14default_configENS1_36segmented_radix_sort_config_selectorIilEEZNS1_25segmented_radix_sort_implIS3_Lb1EPKiPiPKlPlN2at6native12_GLOBAL__N_18offset_tEEE10hipError_tPvRmT1_PNSt15iterator_traitsISK_E10value_typeET2_T3_PNSL_ISQ_E10value_typeET4_jRbjT5_SW_jjP12ihipStream_tbEUlT_E0_NS1_11comp_targetILNS1_3genE10ELNS1_11target_archE1201ELNS1_3gpuE5ELNS1_3repE0EEENS1_60segmented_radix_sort_warp_sort_medium_config_static_selectorELNS0_4arch9wavefront6targetE0EEEvSK_
; %bb.0:
	.section	.rodata,"a",@progbits
	.p2align	6, 0x0
	.amdhsa_kernel _ZN7rocprim17ROCPRIM_400000_NS6detail17trampoline_kernelINS0_14default_configENS1_36segmented_radix_sort_config_selectorIilEEZNS1_25segmented_radix_sort_implIS3_Lb1EPKiPiPKlPlN2at6native12_GLOBAL__N_18offset_tEEE10hipError_tPvRmT1_PNSt15iterator_traitsISK_E10value_typeET2_T3_PNSL_ISQ_E10value_typeET4_jRbjT5_SW_jjP12ihipStream_tbEUlT_E0_NS1_11comp_targetILNS1_3genE10ELNS1_11target_archE1201ELNS1_3gpuE5ELNS1_3repE0EEENS1_60segmented_radix_sort_warp_sort_medium_config_static_selectorELNS0_4arch9wavefront6targetE0EEEvSK_
		.amdhsa_group_segment_fixed_size 0
		.amdhsa_private_segment_fixed_size 0
		.amdhsa_kernarg_size 88
		.amdhsa_user_sgpr_count 2
		.amdhsa_user_sgpr_dispatch_ptr 0
		.amdhsa_user_sgpr_queue_ptr 0
		.amdhsa_user_sgpr_kernarg_segment_ptr 1
		.amdhsa_user_sgpr_dispatch_id 0
		.amdhsa_user_sgpr_kernarg_preload_length 0
		.amdhsa_user_sgpr_kernarg_preload_offset 0
		.amdhsa_user_sgpr_private_segment_size 0
		.amdhsa_wavefront_size32 1
		.amdhsa_uses_dynamic_stack 0
		.amdhsa_enable_private_segment 0
		.amdhsa_system_sgpr_workgroup_id_x 1
		.amdhsa_system_sgpr_workgroup_id_y 0
		.amdhsa_system_sgpr_workgroup_id_z 0
		.amdhsa_system_sgpr_workgroup_info 0
		.amdhsa_system_vgpr_workitem_id 0
		.amdhsa_next_free_vgpr 1
		.amdhsa_next_free_sgpr 1
		.amdhsa_named_barrier_count 0
		.amdhsa_reserve_vcc 0
		.amdhsa_float_round_mode_32 0
		.amdhsa_float_round_mode_16_64 0
		.amdhsa_float_denorm_mode_32 3
		.amdhsa_float_denorm_mode_16_64 3
		.amdhsa_fp16_overflow 0
		.amdhsa_memory_ordered 1
		.amdhsa_forward_progress 1
		.amdhsa_inst_pref_size 0
		.amdhsa_round_robin_scheduling 0
		.amdhsa_exception_fp_ieee_invalid_op 0
		.amdhsa_exception_fp_denorm_src 0
		.amdhsa_exception_fp_ieee_div_zero 0
		.amdhsa_exception_fp_ieee_overflow 0
		.amdhsa_exception_fp_ieee_underflow 0
		.amdhsa_exception_fp_ieee_inexact 0
		.amdhsa_exception_int_div_zero 0
	.end_amdhsa_kernel
	.section	.text._ZN7rocprim17ROCPRIM_400000_NS6detail17trampoline_kernelINS0_14default_configENS1_36segmented_radix_sort_config_selectorIilEEZNS1_25segmented_radix_sort_implIS3_Lb1EPKiPiPKlPlN2at6native12_GLOBAL__N_18offset_tEEE10hipError_tPvRmT1_PNSt15iterator_traitsISK_E10value_typeET2_T3_PNSL_ISQ_E10value_typeET4_jRbjT5_SW_jjP12ihipStream_tbEUlT_E0_NS1_11comp_targetILNS1_3genE10ELNS1_11target_archE1201ELNS1_3gpuE5ELNS1_3repE0EEENS1_60segmented_radix_sort_warp_sort_medium_config_static_selectorELNS0_4arch9wavefront6targetE0EEEvSK_,"axG",@progbits,_ZN7rocprim17ROCPRIM_400000_NS6detail17trampoline_kernelINS0_14default_configENS1_36segmented_radix_sort_config_selectorIilEEZNS1_25segmented_radix_sort_implIS3_Lb1EPKiPiPKlPlN2at6native12_GLOBAL__N_18offset_tEEE10hipError_tPvRmT1_PNSt15iterator_traitsISK_E10value_typeET2_T3_PNSL_ISQ_E10value_typeET4_jRbjT5_SW_jjP12ihipStream_tbEUlT_E0_NS1_11comp_targetILNS1_3genE10ELNS1_11target_archE1201ELNS1_3gpuE5ELNS1_3repE0EEENS1_60segmented_radix_sort_warp_sort_medium_config_static_selectorELNS0_4arch9wavefront6targetE0EEEvSK_,comdat
.Lfunc_end509:
	.size	_ZN7rocprim17ROCPRIM_400000_NS6detail17trampoline_kernelINS0_14default_configENS1_36segmented_radix_sort_config_selectorIilEEZNS1_25segmented_radix_sort_implIS3_Lb1EPKiPiPKlPlN2at6native12_GLOBAL__N_18offset_tEEE10hipError_tPvRmT1_PNSt15iterator_traitsISK_E10value_typeET2_T3_PNSL_ISQ_E10value_typeET4_jRbjT5_SW_jjP12ihipStream_tbEUlT_E0_NS1_11comp_targetILNS1_3genE10ELNS1_11target_archE1201ELNS1_3gpuE5ELNS1_3repE0EEENS1_60segmented_radix_sort_warp_sort_medium_config_static_selectorELNS0_4arch9wavefront6targetE0EEEvSK_, .Lfunc_end509-_ZN7rocprim17ROCPRIM_400000_NS6detail17trampoline_kernelINS0_14default_configENS1_36segmented_radix_sort_config_selectorIilEEZNS1_25segmented_radix_sort_implIS3_Lb1EPKiPiPKlPlN2at6native12_GLOBAL__N_18offset_tEEE10hipError_tPvRmT1_PNSt15iterator_traitsISK_E10value_typeET2_T3_PNSL_ISQ_E10value_typeET4_jRbjT5_SW_jjP12ihipStream_tbEUlT_E0_NS1_11comp_targetILNS1_3genE10ELNS1_11target_archE1201ELNS1_3gpuE5ELNS1_3repE0EEENS1_60segmented_radix_sort_warp_sort_medium_config_static_selectorELNS0_4arch9wavefront6targetE0EEEvSK_
                                        ; -- End function
	.set _ZN7rocprim17ROCPRIM_400000_NS6detail17trampoline_kernelINS0_14default_configENS1_36segmented_radix_sort_config_selectorIilEEZNS1_25segmented_radix_sort_implIS3_Lb1EPKiPiPKlPlN2at6native12_GLOBAL__N_18offset_tEEE10hipError_tPvRmT1_PNSt15iterator_traitsISK_E10value_typeET2_T3_PNSL_ISQ_E10value_typeET4_jRbjT5_SW_jjP12ihipStream_tbEUlT_E0_NS1_11comp_targetILNS1_3genE10ELNS1_11target_archE1201ELNS1_3gpuE5ELNS1_3repE0EEENS1_60segmented_radix_sort_warp_sort_medium_config_static_selectorELNS0_4arch9wavefront6targetE0EEEvSK_.num_vgpr, 0
	.set _ZN7rocprim17ROCPRIM_400000_NS6detail17trampoline_kernelINS0_14default_configENS1_36segmented_radix_sort_config_selectorIilEEZNS1_25segmented_radix_sort_implIS3_Lb1EPKiPiPKlPlN2at6native12_GLOBAL__N_18offset_tEEE10hipError_tPvRmT1_PNSt15iterator_traitsISK_E10value_typeET2_T3_PNSL_ISQ_E10value_typeET4_jRbjT5_SW_jjP12ihipStream_tbEUlT_E0_NS1_11comp_targetILNS1_3genE10ELNS1_11target_archE1201ELNS1_3gpuE5ELNS1_3repE0EEENS1_60segmented_radix_sort_warp_sort_medium_config_static_selectorELNS0_4arch9wavefront6targetE0EEEvSK_.num_agpr, 0
	.set _ZN7rocprim17ROCPRIM_400000_NS6detail17trampoline_kernelINS0_14default_configENS1_36segmented_radix_sort_config_selectorIilEEZNS1_25segmented_radix_sort_implIS3_Lb1EPKiPiPKlPlN2at6native12_GLOBAL__N_18offset_tEEE10hipError_tPvRmT1_PNSt15iterator_traitsISK_E10value_typeET2_T3_PNSL_ISQ_E10value_typeET4_jRbjT5_SW_jjP12ihipStream_tbEUlT_E0_NS1_11comp_targetILNS1_3genE10ELNS1_11target_archE1201ELNS1_3gpuE5ELNS1_3repE0EEENS1_60segmented_radix_sort_warp_sort_medium_config_static_selectorELNS0_4arch9wavefront6targetE0EEEvSK_.numbered_sgpr, 0
	.set _ZN7rocprim17ROCPRIM_400000_NS6detail17trampoline_kernelINS0_14default_configENS1_36segmented_radix_sort_config_selectorIilEEZNS1_25segmented_radix_sort_implIS3_Lb1EPKiPiPKlPlN2at6native12_GLOBAL__N_18offset_tEEE10hipError_tPvRmT1_PNSt15iterator_traitsISK_E10value_typeET2_T3_PNSL_ISQ_E10value_typeET4_jRbjT5_SW_jjP12ihipStream_tbEUlT_E0_NS1_11comp_targetILNS1_3genE10ELNS1_11target_archE1201ELNS1_3gpuE5ELNS1_3repE0EEENS1_60segmented_radix_sort_warp_sort_medium_config_static_selectorELNS0_4arch9wavefront6targetE0EEEvSK_.num_named_barrier, 0
	.set _ZN7rocprim17ROCPRIM_400000_NS6detail17trampoline_kernelINS0_14default_configENS1_36segmented_radix_sort_config_selectorIilEEZNS1_25segmented_radix_sort_implIS3_Lb1EPKiPiPKlPlN2at6native12_GLOBAL__N_18offset_tEEE10hipError_tPvRmT1_PNSt15iterator_traitsISK_E10value_typeET2_T3_PNSL_ISQ_E10value_typeET4_jRbjT5_SW_jjP12ihipStream_tbEUlT_E0_NS1_11comp_targetILNS1_3genE10ELNS1_11target_archE1201ELNS1_3gpuE5ELNS1_3repE0EEENS1_60segmented_radix_sort_warp_sort_medium_config_static_selectorELNS0_4arch9wavefront6targetE0EEEvSK_.private_seg_size, 0
	.set _ZN7rocprim17ROCPRIM_400000_NS6detail17trampoline_kernelINS0_14default_configENS1_36segmented_radix_sort_config_selectorIilEEZNS1_25segmented_radix_sort_implIS3_Lb1EPKiPiPKlPlN2at6native12_GLOBAL__N_18offset_tEEE10hipError_tPvRmT1_PNSt15iterator_traitsISK_E10value_typeET2_T3_PNSL_ISQ_E10value_typeET4_jRbjT5_SW_jjP12ihipStream_tbEUlT_E0_NS1_11comp_targetILNS1_3genE10ELNS1_11target_archE1201ELNS1_3gpuE5ELNS1_3repE0EEENS1_60segmented_radix_sort_warp_sort_medium_config_static_selectorELNS0_4arch9wavefront6targetE0EEEvSK_.uses_vcc, 0
	.set _ZN7rocprim17ROCPRIM_400000_NS6detail17trampoline_kernelINS0_14default_configENS1_36segmented_radix_sort_config_selectorIilEEZNS1_25segmented_radix_sort_implIS3_Lb1EPKiPiPKlPlN2at6native12_GLOBAL__N_18offset_tEEE10hipError_tPvRmT1_PNSt15iterator_traitsISK_E10value_typeET2_T3_PNSL_ISQ_E10value_typeET4_jRbjT5_SW_jjP12ihipStream_tbEUlT_E0_NS1_11comp_targetILNS1_3genE10ELNS1_11target_archE1201ELNS1_3gpuE5ELNS1_3repE0EEENS1_60segmented_radix_sort_warp_sort_medium_config_static_selectorELNS0_4arch9wavefront6targetE0EEEvSK_.uses_flat_scratch, 0
	.set _ZN7rocprim17ROCPRIM_400000_NS6detail17trampoline_kernelINS0_14default_configENS1_36segmented_radix_sort_config_selectorIilEEZNS1_25segmented_radix_sort_implIS3_Lb1EPKiPiPKlPlN2at6native12_GLOBAL__N_18offset_tEEE10hipError_tPvRmT1_PNSt15iterator_traitsISK_E10value_typeET2_T3_PNSL_ISQ_E10value_typeET4_jRbjT5_SW_jjP12ihipStream_tbEUlT_E0_NS1_11comp_targetILNS1_3genE10ELNS1_11target_archE1201ELNS1_3gpuE5ELNS1_3repE0EEENS1_60segmented_radix_sort_warp_sort_medium_config_static_selectorELNS0_4arch9wavefront6targetE0EEEvSK_.has_dyn_sized_stack, 0
	.set _ZN7rocprim17ROCPRIM_400000_NS6detail17trampoline_kernelINS0_14default_configENS1_36segmented_radix_sort_config_selectorIilEEZNS1_25segmented_radix_sort_implIS3_Lb1EPKiPiPKlPlN2at6native12_GLOBAL__N_18offset_tEEE10hipError_tPvRmT1_PNSt15iterator_traitsISK_E10value_typeET2_T3_PNSL_ISQ_E10value_typeET4_jRbjT5_SW_jjP12ihipStream_tbEUlT_E0_NS1_11comp_targetILNS1_3genE10ELNS1_11target_archE1201ELNS1_3gpuE5ELNS1_3repE0EEENS1_60segmented_radix_sort_warp_sort_medium_config_static_selectorELNS0_4arch9wavefront6targetE0EEEvSK_.has_recursion, 0
	.set _ZN7rocprim17ROCPRIM_400000_NS6detail17trampoline_kernelINS0_14default_configENS1_36segmented_radix_sort_config_selectorIilEEZNS1_25segmented_radix_sort_implIS3_Lb1EPKiPiPKlPlN2at6native12_GLOBAL__N_18offset_tEEE10hipError_tPvRmT1_PNSt15iterator_traitsISK_E10value_typeET2_T3_PNSL_ISQ_E10value_typeET4_jRbjT5_SW_jjP12ihipStream_tbEUlT_E0_NS1_11comp_targetILNS1_3genE10ELNS1_11target_archE1201ELNS1_3gpuE5ELNS1_3repE0EEENS1_60segmented_radix_sort_warp_sort_medium_config_static_selectorELNS0_4arch9wavefront6targetE0EEEvSK_.has_indirect_call, 0
	.section	.AMDGPU.csdata,"",@progbits
; Kernel info:
; codeLenInByte = 0
; TotalNumSgprs: 0
; NumVgprs: 0
; ScratchSize: 0
; MemoryBound: 0
; FloatMode: 240
; IeeeMode: 1
; LDSByteSize: 0 bytes/workgroup (compile time only)
; SGPRBlocks: 0
; VGPRBlocks: 0
; NumSGPRsForWavesPerEU: 1
; NumVGPRsForWavesPerEU: 1
; NamedBarCnt: 0
; Occupancy: 16
; WaveLimiterHint : 0
; COMPUTE_PGM_RSRC2:SCRATCH_EN: 0
; COMPUTE_PGM_RSRC2:USER_SGPR: 2
; COMPUTE_PGM_RSRC2:TRAP_HANDLER: 0
; COMPUTE_PGM_RSRC2:TGID_X_EN: 1
; COMPUTE_PGM_RSRC2:TGID_Y_EN: 0
; COMPUTE_PGM_RSRC2:TGID_Z_EN: 0
; COMPUTE_PGM_RSRC2:TIDIG_COMP_CNT: 0
	.section	.text._ZN7rocprim17ROCPRIM_400000_NS6detail17trampoline_kernelINS0_14default_configENS1_36segmented_radix_sort_config_selectorIilEEZNS1_25segmented_radix_sort_implIS3_Lb1EPKiPiPKlPlN2at6native12_GLOBAL__N_18offset_tEEE10hipError_tPvRmT1_PNSt15iterator_traitsISK_E10value_typeET2_T3_PNSL_ISQ_E10value_typeET4_jRbjT5_SW_jjP12ihipStream_tbEUlT_E0_NS1_11comp_targetILNS1_3genE10ELNS1_11target_archE1200ELNS1_3gpuE4ELNS1_3repE0EEENS1_60segmented_radix_sort_warp_sort_medium_config_static_selectorELNS0_4arch9wavefront6targetE0EEEvSK_,"axG",@progbits,_ZN7rocprim17ROCPRIM_400000_NS6detail17trampoline_kernelINS0_14default_configENS1_36segmented_radix_sort_config_selectorIilEEZNS1_25segmented_radix_sort_implIS3_Lb1EPKiPiPKlPlN2at6native12_GLOBAL__N_18offset_tEEE10hipError_tPvRmT1_PNSt15iterator_traitsISK_E10value_typeET2_T3_PNSL_ISQ_E10value_typeET4_jRbjT5_SW_jjP12ihipStream_tbEUlT_E0_NS1_11comp_targetILNS1_3genE10ELNS1_11target_archE1200ELNS1_3gpuE4ELNS1_3repE0EEENS1_60segmented_radix_sort_warp_sort_medium_config_static_selectorELNS0_4arch9wavefront6targetE0EEEvSK_,comdat
	.globl	_ZN7rocprim17ROCPRIM_400000_NS6detail17trampoline_kernelINS0_14default_configENS1_36segmented_radix_sort_config_selectorIilEEZNS1_25segmented_radix_sort_implIS3_Lb1EPKiPiPKlPlN2at6native12_GLOBAL__N_18offset_tEEE10hipError_tPvRmT1_PNSt15iterator_traitsISK_E10value_typeET2_T3_PNSL_ISQ_E10value_typeET4_jRbjT5_SW_jjP12ihipStream_tbEUlT_E0_NS1_11comp_targetILNS1_3genE10ELNS1_11target_archE1200ELNS1_3gpuE4ELNS1_3repE0EEENS1_60segmented_radix_sort_warp_sort_medium_config_static_selectorELNS0_4arch9wavefront6targetE0EEEvSK_ ; -- Begin function _ZN7rocprim17ROCPRIM_400000_NS6detail17trampoline_kernelINS0_14default_configENS1_36segmented_radix_sort_config_selectorIilEEZNS1_25segmented_radix_sort_implIS3_Lb1EPKiPiPKlPlN2at6native12_GLOBAL__N_18offset_tEEE10hipError_tPvRmT1_PNSt15iterator_traitsISK_E10value_typeET2_T3_PNSL_ISQ_E10value_typeET4_jRbjT5_SW_jjP12ihipStream_tbEUlT_E0_NS1_11comp_targetILNS1_3genE10ELNS1_11target_archE1200ELNS1_3gpuE4ELNS1_3repE0EEENS1_60segmented_radix_sort_warp_sort_medium_config_static_selectorELNS0_4arch9wavefront6targetE0EEEvSK_
	.p2align	8
	.type	_ZN7rocprim17ROCPRIM_400000_NS6detail17trampoline_kernelINS0_14default_configENS1_36segmented_radix_sort_config_selectorIilEEZNS1_25segmented_radix_sort_implIS3_Lb1EPKiPiPKlPlN2at6native12_GLOBAL__N_18offset_tEEE10hipError_tPvRmT1_PNSt15iterator_traitsISK_E10value_typeET2_T3_PNSL_ISQ_E10value_typeET4_jRbjT5_SW_jjP12ihipStream_tbEUlT_E0_NS1_11comp_targetILNS1_3genE10ELNS1_11target_archE1200ELNS1_3gpuE4ELNS1_3repE0EEENS1_60segmented_radix_sort_warp_sort_medium_config_static_selectorELNS0_4arch9wavefront6targetE0EEEvSK_,@function
_ZN7rocprim17ROCPRIM_400000_NS6detail17trampoline_kernelINS0_14default_configENS1_36segmented_radix_sort_config_selectorIilEEZNS1_25segmented_radix_sort_implIS3_Lb1EPKiPiPKlPlN2at6native12_GLOBAL__N_18offset_tEEE10hipError_tPvRmT1_PNSt15iterator_traitsISK_E10value_typeET2_T3_PNSL_ISQ_E10value_typeET4_jRbjT5_SW_jjP12ihipStream_tbEUlT_E0_NS1_11comp_targetILNS1_3genE10ELNS1_11target_archE1200ELNS1_3gpuE4ELNS1_3repE0EEENS1_60segmented_radix_sort_warp_sort_medium_config_static_selectorELNS0_4arch9wavefront6targetE0EEEvSK_: ; @_ZN7rocprim17ROCPRIM_400000_NS6detail17trampoline_kernelINS0_14default_configENS1_36segmented_radix_sort_config_selectorIilEEZNS1_25segmented_radix_sort_implIS3_Lb1EPKiPiPKlPlN2at6native12_GLOBAL__N_18offset_tEEE10hipError_tPvRmT1_PNSt15iterator_traitsISK_E10value_typeET2_T3_PNSL_ISQ_E10value_typeET4_jRbjT5_SW_jjP12ihipStream_tbEUlT_E0_NS1_11comp_targetILNS1_3genE10ELNS1_11target_archE1200ELNS1_3gpuE4ELNS1_3repE0EEENS1_60segmented_radix_sort_warp_sort_medium_config_static_selectorELNS0_4arch9wavefront6targetE0EEEvSK_
; %bb.0:
	.section	.rodata,"a",@progbits
	.p2align	6, 0x0
	.amdhsa_kernel _ZN7rocprim17ROCPRIM_400000_NS6detail17trampoline_kernelINS0_14default_configENS1_36segmented_radix_sort_config_selectorIilEEZNS1_25segmented_radix_sort_implIS3_Lb1EPKiPiPKlPlN2at6native12_GLOBAL__N_18offset_tEEE10hipError_tPvRmT1_PNSt15iterator_traitsISK_E10value_typeET2_T3_PNSL_ISQ_E10value_typeET4_jRbjT5_SW_jjP12ihipStream_tbEUlT_E0_NS1_11comp_targetILNS1_3genE10ELNS1_11target_archE1200ELNS1_3gpuE4ELNS1_3repE0EEENS1_60segmented_radix_sort_warp_sort_medium_config_static_selectorELNS0_4arch9wavefront6targetE0EEEvSK_
		.amdhsa_group_segment_fixed_size 0
		.amdhsa_private_segment_fixed_size 0
		.amdhsa_kernarg_size 88
		.amdhsa_user_sgpr_count 2
		.amdhsa_user_sgpr_dispatch_ptr 0
		.amdhsa_user_sgpr_queue_ptr 0
		.amdhsa_user_sgpr_kernarg_segment_ptr 1
		.amdhsa_user_sgpr_dispatch_id 0
		.amdhsa_user_sgpr_kernarg_preload_length 0
		.amdhsa_user_sgpr_kernarg_preload_offset 0
		.amdhsa_user_sgpr_private_segment_size 0
		.amdhsa_wavefront_size32 1
		.amdhsa_uses_dynamic_stack 0
		.amdhsa_enable_private_segment 0
		.amdhsa_system_sgpr_workgroup_id_x 1
		.amdhsa_system_sgpr_workgroup_id_y 0
		.amdhsa_system_sgpr_workgroup_id_z 0
		.amdhsa_system_sgpr_workgroup_info 0
		.amdhsa_system_vgpr_workitem_id 0
		.amdhsa_next_free_vgpr 1
		.amdhsa_next_free_sgpr 1
		.amdhsa_named_barrier_count 0
		.amdhsa_reserve_vcc 0
		.amdhsa_float_round_mode_32 0
		.amdhsa_float_round_mode_16_64 0
		.amdhsa_float_denorm_mode_32 3
		.amdhsa_float_denorm_mode_16_64 3
		.amdhsa_fp16_overflow 0
		.amdhsa_memory_ordered 1
		.amdhsa_forward_progress 1
		.amdhsa_inst_pref_size 0
		.amdhsa_round_robin_scheduling 0
		.amdhsa_exception_fp_ieee_invalid_op 0
		.amdhsa_exception_fp_denorm_src 0
		.amdhsa_exception_fp_ieee_div_zero 0
		.amdhsa_exception_fp_ieee_overflow 0
		.amdhsa_exception_fp_ieee_underflow 0
		.amdhsa_exception_fp_ieee_inexact 0
		.amdhsa_exception_int_div_zero 0
	.end_amdhsa_kernel
	.section	.text._ZN7rocprim17ROCPRIM_400000_NS6detail17trampoline_kernelINS0_14default_configENS1_36segmented_radix_sort_config_selectorIilEEZNS1_25segmented_radix_sort_implIS3_Lb1EPKiPiPKlPlN2at6native12_GLOBAL__N_18offset_tEEE10hipError_tPvRmT1_PNSt15iterator_traitsISK_E10value_typeET2_T3_PNSL_ISQ_E10value_typeET4_jRbjT5_SW_jjP12ihipStream_tbEUlT_E0_NS1_11comp_targetILNS1_3genE10ELNS1_11target_archE1200ELNS1_3gpuE4ELNS1_3repE0EEENS1_60segmented_radix_sort_warp_sort_medium_config_static_selectorELNS0_4arch9wavefront6targetE0EEEvSK_,"axG",@progbits,_ZN7rocprim17ROCPRIM_400000_NS6detail17trampoline_kernelINS0_14default_configENS1_36segmented_radix_sort_config_selectorIilEEZNS1_25segmented_radix_sort_implIS3_Lb1EPKiPiPKlPlN2at6native12_GLOBAL__N_18offset_tEEE10hipError_tPvRmT1_PNSt15iterator_traitsISK_E10value_typeET2_T3_PNSL_ISQ_E10value_typeET4_jRbjT5_SW_jjP12ihipStream_tbEUlT_E0_NS1_11comp_targetILNS1_3genE10ELNS1_11target_archE1200ELNS1_3gpuE4ELNS1_3repE0EEENS1_60segmented_radix_sort_warp_sort_medium_config_static_selectorELNS0_4arch9wavefront6targetE0EEEvSK_,comdat
.Lfunc_end510:
	.size	_ZN7rocprim17ROCPRIM_400000_NS6detail17trampoline_kernelINS0_14default_configENS1_36segmented_radix_sort_config_selectorIilEEZNS1_25segmented_radix_sort_implIS3_Lb1EPKiPiPKlPlN2at6native12_GLOBAL__N_18offset_tEEE10hipError_tPvRmT1_PNSt15iterator_traitsISK_E10value_typeET2_T3_PNSL_ISQ_E10value_typeET4_jRbjT5_SW_jjP12ihipStream_tbEUlT_E0_NS1_11comp_targetILNS1_3genE10ELNS1_11target_archE1200ELNS1_3gpuE4ELNS1_3repE0EEENS1_60segmented_radix_sort_warp_sort_medium_config_static_selectorELNS0_4arch9wavefront6targetE0EEEvSK_, .Lfunc_end510-_ZN7rocprim17ROCPRIM_400000_NS6detail17trampoline_kernelINS0_14default_configENS1_36segmented_radix_sort_config_selectorIilEEZNS1_25segmented_radix_sort_implIS3_Lb1EPKiPiPKlPlN2at6native12_GLOBAL__N_18offset_tEEE10hipError_tPvRmT1_PNSt15iterator_traitsISK_E10value_typeET2_T3_PNSL_ISQ_E10value_typeET4_jRbjT5_SW_jjP12ihipStream_tbEUlT_E0_NS1_11comp_targetILNS1_3genE10ELNS1_11target_archE1200ELNS1_3gpuE4ELNS1_3repE0EEENS1_60segmented_radix_sort_warp_sort_medium_config_static_selectorELNS0_4arch9wavefront6targetE0EEEvSK_
                                        ; -- End function
	.set _ZN7rocprim17ROCPRIM_400000_NS6detail17trampoline_kernelINS0_14default_configENS1_36segmented_radix_sort_config_selectorIilEEZNS1_25segmented_radix_sort_implIS3_Lb1EPKiPiPKlPlN2at6native12_GLOBAL__N_18offset_tEEE10hipError_tPvRmT1_PNSt15iterator_traitsISK_E10value_typeET2_T3_PNSL_ISQ_E10value_typeET4_jRbjT5_SW_jjP12ihipStream_tbEUlT_E0_NS1_11comp_targetILNS1_3genE10ELNS1_11target_archE1200ELNS1_3gpuE4ELNS1_3repE0EEENS1_60segmented_radix_sort_warp_sort_medium_config_static_selectorELNS0_4arch9wavefront6targetE0EEEvSK_.num_vgpr, 0
	.set _ZN7rocprim17ROCPRIM_400000_NS6detail17trampoline_kernelINS0_14default_configENS1_36segmented_radix_sort_config_selectorIilEEZNS1_25segmented_radix_sort_implIS3_Lb1EPKiPiPKlPlN2at6native12_GLOBAL__N_18offset_tEEE10hipError_tPvRmT1_PNSt15iterator_traitsISK_E10value_typeET2_T3_PNSL_ISQ_E10value_typeET4_jRbjT5_SW_jjP12ihipStream_tbEUlT_E0_NS1_11comp_targetILNS1_3genE10ELNS1_11target_archE1200ELNS1_3gpuE4ELNS1_3repE0EEENS1_60segmented_radix_sort_warp_sort_medium_config_static_selectorELNS0_4arch9wavefront6targetE0EEEvSK_.num_agpr, 0
	.set _ZN7rocprim17ROCPRIM_400000_NS6detail17trampoline_kernelINS0_14default_configENS1_36segmented_radix_sort_config_selectorIilEEZNS1_25segmented_radix_sort_implIS3_Lb1EPKiPiPKlPlN2at6native12_GLOBAL__N_18offset_tEEE10hipError_tPvRmT1_PNSt15iterator_traitsISK_E10value_typeET2_T3_PNSL_ISQ_E10value_typeET4_jRbjT5_SW_jjP12ihipStream_tbEUlT_E0_NS1_11comp_targetILNS1_3genE10ELNS1_11target_archE1200ELNS1_3gpuE4ELNS1_3repE0EEENS1_60segmented_radix_sort_warp_sort_medium_config_static_selectorELNS0_4arch9wavefront6targetE0EEEvSK_.numbered_sgpr, 0
	.set _ZN7rocprim17ROCPRIM_400000_NS6detail17trampoline_kernelINS0_14default_configENS1_36segmented_radix_sort_config_selectorIilEEZNS1_25segmented_radix_sort_implIS3_Lb1EPKiPiPKlPlN2at6native12_GLOBAL__N_18offset_tEEE10hipError_tPvRmT1_PNSt15iterator_traitsISK_E10value_typeET2_T3_PNSL_ISQ_E10value_typeET4_jRbjT5_SW_jjP12ihipStream_tbEUlT_E0_NS1_11comp_targetILNS1_3genE10ELNS1_11target_archE1200ELNS1_3gpuE4ELNS1_3repE0EEENS1_60segmented_radix_sort_warp_sort_medium_config_static_selectorELNS0_4arch9wavefront6targetE0EEEvSK_.num_named_barrier, 0
	.set _ZN7rocprim17ROCPRIM_400000_NS6detail17trampoline_kernelINS0_14default_configENS1_36segmented_radix_sort_config_selectorIilEEZNS1_25segmented_radix_sort_implIS3_Lb1EPKiPiPKlPlN2at6native12_GLOBAL__N_18offset_tEEE10hipError_tPvRmT1_PNSt15iterator_traitsISK_E10value_typeET2_T3_PNSL_ISQ_E10value_typeET4_jRbjT5_SW_jjP12ihipStream_tbEUlT_E0_NS1_11comp_targetILNS1_3genE10ELNS1_11target_archE1200ELNS1_3gpuE4ELNS1_3repE0EEENS1_60segmented_radix_sort_warp_sort_medium_config_static_selectorELNS0_4arch9wavefront6targetE0EEEvSK_.private_seg_size, 0
	.set _ZN7rocprim17ROCPRIM_400000_NS6detail17trampoline_kernelINS0_14default_configENS1_36segmented_radix_sort_config_selectorIilEEZNS1_25segmented_radix_sort_implIS3_Lb1EPKiPiPKlPlN2at6native12_GLOBAL__N_18offset_tEEE10hipError_tPvRmT1_PNSt15iterator_traitsISK_E10value_typeET2_T3_PNSL_ISQ_E10value_typeET4_jRbjT5_SW_jjP12ihipStream_tbEUlT_E0_NS1_11comp_targetILNS1_3genE10ELNS1_11target_archE1200ELNS1_3gpuE4ELNS1_3repE0EEENS1_60segmented_radix_sort_warp_sort_medium_config_static_selectorELNS0_4arch9wavefront6targetE0EEEvSK_.uses_vcc, 0
	.set _ZN7rocprim17ROCPRIM_400000_NS6detail17trampoline_kernelINS0_14default_configENS1_36segmented_radix_sort_config_selectorIilEEZNS1_25segmented_radix_sort_implIS3_Lb1EPKiPiPKlPlN2at6native12_GLOBAL__N_18offset_tEEE10hipError_tPvRmT1_PNSt15iterator_traitsISK_E10value_typeET2_T3_PNSL_ISQ_E10value_typeET4_jRbjT5_SW_jjP12ihipStream_tbEUlT_E0_NS1_11comp_targetILNS1_3genE10ELNS1_11target_archE1200ELNS1_3gpuE4ELNS1_3repE0EEENS1_60segmented_radix_sort_warp_sort_medium_config_static_selectorELNS0_4arch9wavefront6targetE0EEEvSK_.uses_flat_scratch, 0
	.set _ZN7rocprim17ROCPRIM_400000_NS6detail17trampoline_kernelINS0_14default_configENS1_36segmented_radix_sort_config_selectorIilEEZNS1_25segmented_radix_sort_implIS3_Lb1EPKiPiPKlPlN2at6native12_GLOBAL__N_18offset_tEEE10hipError_tPvRmT1_PNSt15iterator_traitsISK_E10value_typeET2_T3_PNSL_ISQ_E10value_typeET4_jRbjT5_SW_jjP12ihipStream_tbEUlT_E0_NS1_11comp_targetILNS1_3genE10ELNS1_11target_archE1200ELNS1_3gpuE4ELNS1_3repE0EEENS1_60segmented_radix_sort_warp_sort_medium_config_static_selectorELNS0_4arch9wavefront6targetE0EEEvSK_.has_dyn_sized_stack, 0
	.set _ZN7rocprim17ROCPRIM_400000_NS6detail17trampoline_kernelINS0_14default_configENS1_36segmented_radix_sort_config_selectorIilEEZNS1_25segmented_radix_sort_implIS3_Lb1EPKiPiPKlPlN2at6native12_GLOBAL__N_18offset_tEEE10hipError_tPvRmT1_PNSt15iterator_traitsISK_E10value_typeET2_T3_PNSL_ISQ_E10value_typeET4_jRbjT5_SW_jjP12ihipStream_tbEUlT_E0_NS1_11comp_targetILNS1_3genE10ELNS1_11target_archE1200ELNS1_3gpuE4ELNS1_3repE0EEENS1_60segmented_radix_sort_warp_sort_medium_config_static_selectorELNS0_4arch9wavefront6targetE0EEEvSK_.has_recursion, 0
	.set _ZN7rocprim17ROCPRIM_400000_NS6detail17trampoline_kernelINS0_14default_configENS1_36segmented_radix_sort_config_selectorIilEEZNS1_25segmented_radix_sort_implIS3_Lb1EPKiPiPKlPlN2at6native12_GLOBAL__N_18offset_tEEE10hipError_tPvRmT1_PNSt15iterator_traitsISK_E10value_typeET2_T3_PNSL_ISQ_E10value_typeET4_jRbjT5_SW_jjP12ihipStream_tbEUlT_E0_NS1_11comp_targetILNS1_3genE10ELNS1_11target_archE1200ELNS1_3gpuE4ELNS1_3repE0EEENS1_60segmented_radix_sort_warp_sort_medium_config_static_selectorELNS0_4arch9wavefront6targetE0EEEvSK_.has_indirect_call, 0
	.section	.AMDGPU.csdata,"",@progbits
; Kernel info:
; codeLenInByte = 0
; TotalNumSgprs: 0
; NumVgprs: 0
; ScratchSize: 0
; MemoryBound: 0
; FloatMode: 240
; IeeeMode: 1
; LDSByteSize: 0 bytes/workgroup (compile time only)
; SGPRBlocks: 0
; VGPRBlocks: 0
; NumSGPRsForWavesPerEU: 1
; NumVGPRsForWavesPerEU: 1
; NamedBarCnt: 0
; Occupancy: 16
; WaveLimiterHint : 0
; COMPUTE_PGM_RSRC2:SCRATCH_EN: 0
; COMPUTE_PGM_RSRC2:USER_SGPR: 2
; COMPUTE_PGM_RSRC2:TRAP_HANDLER: 0
; COMPUTE_PGM_RSRC2:TGID_X_EN: 1
; COMPUTE_PGM_RSRC2:TGID_Y_EN: 0
; COMPUTE_PGM_RSRC2:TGID_Z_EN: 0
; COMPUTE_PGM_RSRC2:TIDIG_COMP_CNT: 0
	.section	.text._ZN7rocprim17ROCPRIM_400000_NS6detail17trampoline_kernelINS0_14default_configENS1_36segmented_radix_sort_config_selectorIilEEZNS1_25segmented_radix_sort_implIS3_Lb1EPKiPiPKlPlN2at6native12_GLOBAL__N_18offset_tEEE10hipError_tPvRmT1_PNSt15iterator_traitsISK_E10value_typeET2_T3_PNSL_ISQ_E10value_typeET4_jRbjT5_SW_jjP12ihipStream_tbEUlT_E0_NS1_11comp_targetILNS1_3genE9ELNS1_11target_archE1100ELNS1_3gpuE3ELNS1_3repE0EEENS1_60segmented_radix_sort_warp_sort_medium_config_static_selectorELNS0_4arch9wavefront6targetE0EEEvSK_,"axG",@progbits,_ZN7rocprim17ROCPRIM_400000_NS6detail17trampoline_kernelINS0_14default_configENS1_36segmented_radix_sort_config_selectorIilEEZNS1_25segmented_radix_sort_implIS3_Lb1EPKiPiPKlPlN2at6native12_GLOBAL__N_18offset_tEEE10hipError_tPvRmT1_PNSt15iterator_traitsISK_E10value_typeET2_T3_PNSL_ISQ_E10value_typeET4_jRbjT5_SW_jjP12ihipStream_tbEUlT_E0_NS1_11comp_targetILNS1_3genE9ELNS1_11target_archE1100ELNS1_3gpuE3ELNS1_3repE0EEENS1_60segmented_radix_sort_warp_sort_medium_config_static_selectorELNS0_4arch9wavefront6targetE0EEEvSK_,comdat
	.globl	_ZN7rocprim17ROCPRIM_400000_NS6detail17trampoline_kernelINS0_14default_configENS1_36segmented_radix_sort_config_selectorIilEEZNS1_25segmented_radix_sort_implIS3_Lb1EPKiPiPKlPlN2at6native12_GLOBAL__N_18offset_tEEE10hipError_tPvRmT1_PNSt15iterator_traitsISK_E10value_typeET2_T3_PNSL_ISQ_E10value_typeET4_jRbjT5_SW_jjP12ihipStream_tbEUlT_E0_NS1_11comp_targetILNS1_3genE9ELNS1_11target_archE1100ELNS1_3gpuE3ELNS1_3repE0EEENS1_60segmented_radix_sort_warp_sort_medium_config_static_selectorELNS0_4arch9wavefront6targetE0EEEvSK_ ; -- Begin function _ZN7rocprim17ROCPRIM_400000_NS6detail17trampoline_kernelINS0_14default_configENS1_36segmented_radix_sort_config_selectorIilEEZNS1_25segmented_radix_sort_implIS3_Lb1EPKiPiPKlPlN2at6native12_GLOBAL__N_18offset_tEEE10hipError_tPvRmT1_PNSt15iterator_traitsISK_E10value_typeET2_T3_PNSL_ISQ_E10value_typeET4_jRbjT5_SW_jjP12ihipStream_tbEUlT_E0_NS1_11comp_targetILNS1_3genE9ELNS1_11target_archE1100ELNS1_3gpuE3ELNS1_3repE0EEENS1_60segmented_radix_sort_warp_sort_medium_config_static_selectorELNS0_4arch9wavefront6targetE0EEEvSK_
	.p2align	8
	.type	_ZN7rocprim17ROCPRIM_400000_NS6detail17trampoline_kernelINS0_14default_configENS1_36segmented_radix_sort_config_selectorIilEEZNS1_25segmented_radix_sort_implIS3_Lb1EPKiPiPKlPlN2at6native12_GLOBAL__N_18offset_tEEE10hipError_tPvRmT1_PNSt15iterator_traitsISK_E10value_typeET2_T3_PNSL_ISQ_E10value_typeET4_jRbjT5_SW_jjP12ihipStream_tbEUlT_E0_NS1_11comp_targetILNS1_3genE9ELNS1_11target_archE1100ELNS1_3gpuE3ELNS1_3repE0EEENS1_60segmented_radix_sort_warp_sort_medium_config_static_selectorELNS0_4arch9wavefront6targetE0EEEvSK_,@function
_ZN7rocprim17ROCPRIM_400000_NS6detail17trampoline_kernelINS0_14default_configENS1_36segmented_radix_sort_config_selectorIilEEZNS1_25segmented_radix_sort_implIS3_Lb1EPKiPiPKlPlN2at6native12_GLOBAL__N_18offset_tEEE10hipError_tPvRmT1_PNSt15iterator_traitsISK_E10value_typeET2_T3_PNSL_ISQ_E10value_typeET4_jRbjT5_SW_jjP12ihipStream_tbEUlT_E0_NS1_11comp_targetILNS1_3genE9ELNS1_11target_archE1100ELNS1_3gpuE3ELNS1_3repE0EEENS1_60segmented_radix_sort_warp_sort_medium_config_static_selectorELNS0_4arch9wavefront6targetE0EEEvSK_: ; @_ZN7rocprim17ROCPRIM_400000_NS6detail17trampoline_kernelINS0_14default_configENS1_36segmented_radix_sort_config_selectorIilEEZNS1_25segmented_radix_sort_implIS3_Lb1EPKiPiPKlPlN2at6native12_GLOBAL__N_18offset_tEEE10hipError_tPvRmT1_PNSt15iterator_traitsISK_E10value_typeET2_T3_PNSL_ISQ_E10value_typeET4_jRbjT5_SW_jjP12ihipStream_tbEUlT_E0_NS1_11comp_targetILNS1_3genE9ELNS1_11target_archE1100ELNS1_3gpuE3ELNS1_3repE0EEENS1_60segmented_radix_sort_warp_sort_medium_config_static_selectorELNS0_4arch9wavefront6targetE0EEEvSK_
; %bb.0:
	.section	.rodata,"a",@progbits
	.p2align	6, 0x0
	.amdhsa_kernel _ZN7rocprim17ROCPRIM_400000_NS6detail17trampoline_kernelINS0_14default_configENS1_36segmented_radix_sort_config_selectorIilEEZNS1_25segmented_radix_sort_implIS3_Lb1EPKiPiPKlPlN2at6native12_GLOBAL__N_18offset_tEEE10hipError_tPvRmT1_PNSt15iterator_traitsISK_E10value_typeET2_T3_PNSL_ISQ_E10value_typeET4_jRbjT5_SW_jjP12ihipStream_tbEUlT_E0_NS1_11comp_targetILNS1_3genE9ELNS1_11target_archE1100ELNS1_3gpuE3ELNS1_3repE0EEENS1_60segmented_radix_sort_warp_sort_medium_config_static_selectorELNS0_4arch9wavefront6targetE0EEEvSK_
		.amdhsa_group_segment_fixed_size 0
		.amdhsa_private_segment_fixed_size 0
		.amdhsa_kernarg_size 88
		.amdhsa_user_sgpr_count 2
		.amdhsa_user_sgpr_dispatch_ptr 0
		.amdhsa_user_sgpr_queue_ptr 0
		.amdhsa_user_sgpr_kernarg_segment_ptr 1
		.amdhsa_user_sgpr_dispatch_id 0
		.amdhsa_user_sgpr_kernarg_preload_length 0
		.amdhsa_user_sgpr_kernarg_preload_offset 0
		.amdhsa_user_sgpr_private_segment_size 0
		.amdhsa_wavefront_size32 1
		.amdhsa_uses_dynamic_stack 0
		.amdhsa_enable_private_segment 0
		.amdhsa_system_sgpr_workgroup_id_x 1
		.amdhsa_system_sgpr_workgroup_id_y 0
		.amdhsa_system_sgpr_workgroup_id_z 0
		.amdhsa_system_sgpr_workgroup_info 0
		.amdhsa_system_vgpr_workitem_id 0
		.amdhsa_next_free_vgpr 1
		.amdhsa_next_free_sgpr 1
		.amdhsa_named_barrier_count 0
		.amdhsa_reserve_vcc 0
		.amdhsa_float_round_mode_32 0
		.amdhsa_float_round_mode_16_64 0
		.amdhsa_float_denorm_mode_32 3
		.amdhsa_float_denorm_mode_16_64 3
		.amdhsa_fp16_overflow 0
		.amdhsa_memory_ordered 1
		.amdhsa_forward_progress 1
		.amdhsa_inst_pref_size 0
		.amdhsa_round_robin_scheduling 0
		.amdhsa_exception_fp_ieee_invalid_op 0
		.amdhsa_exception_fp_denorm_src 0
		.amdhsa_exception_fp_ieee_div_zero 0
		.amdhsa_exception_fp_ieee_overflow 0
		.amdhsa_exception_fp_ieee_underflow 0
		.amdhsa_exception_fp_ieee_inexact 0
		.amdhsa_exception_int_div_zero 0
	.end_amdhsa_kernel
	.section	.text._ZN7rocprim17ROCPRIM_400000_NS6detail17trampoline_kernelINS0_14default_configENS1_36segmented_radix_sort_config_selectorIilEEZNS1_25segmented_radix_sort_implIS3_Lb1EPKiPiPKlPlN2at6native12_GLOBAL__N_18offset_tEEE10hipError_tPvRmT1_PNSt15iterator_traitsISK_E10value_typeET2_T3_PNSL_ISQ_E10value_typeET4_jRbjT5_SW_jjP12ihipStream_tbEUlT_E0_NS1_11comp_targetILNS1_3genE9ELNS1_11target_archE1100ELNS1_3gpuE3ELNS1_3repE0EEENS1_60segmented_radix_sort_warp_sort_medium_config_static_selectorELNS0_4arch9wavefront6targetE0EEEvSK_,"axG",@progbits,_ZN7rocprim17ROCPRIM_400000_NS6detail17trampoline_kernelINS0_14default_configENS1_36segmented_radix_sort_config_selectorIilEEZNS1_25segmented_radix_sort_implIS3_Lb1EPKiPiPKlPlN2at6native12_GLOBAL__N_18offset_tEEE10hipError_tPvRmT1_PNSt15iterator_traitsISK_E10value_typeET2_T3_PNSL_ISQ_E10value_typeET4_jRbjT5_SW_jjP12ihipStream_tbEUlT_E0_NS1_11comp_targetILNS1_3genE9ELNS1_11target_archE1100ELNS1_3gpuE3ELNS1_3repE0EEENS1_60segmented_radix_sort_warp_sort_medium_config_static_selectorELNS0_4arch9wavefront6targetE0EEEvSK_,comdat
.Lfunc_end511:
	.size	_ZN7rocprim17ROCPRIM_400000_NS6detail17trampoline_kernelINS0_14default_configENS1_36segmented_radix_sort_config_selectorIilEEZNS1_25segmented_radix_sort_implIS3_Lb1EPKiPiPKlPlN2at6native12_GLOBAL__N_18offset_tEEE10hipError_tPvRmT1_PNSt15iterator_traitsISK_E10value_typeET2_T3_PNSL_ISQ_E10value_typeET4_jRbjT5_SW_jjP12ihipStream_tbEUlT_E0_NS1_11comp_targetILNS1_3genE9ELNS1_11target_archE1100ELNS1_3gpuE3ELNS1_3repE0EEENS1_60segmented_radix_sort_warp_sort_medium_config_static_selectorELNS0_4arch9wavefront6targetE0EEEvSK_, .Lfunc_end511-_ZN7rocprim17ROCPRIM_400000_NS6detail17trampoline_kernelINS0_14default_configENS1_36segmented_radix_sort_config_selectorIilEEZNS1_25segmented_radix_sort_implIS3_Lb1EPKiPiPKlPlN2at6native12_GLOBAL__N_18offset_tEEE10hipError_tPvRmT1_PNSt15iterator_traitsISK_E10value_typeET2_T3_PNSL_ISQ_E10value_typeET4_jRbjT5_SW_jjP12ihipStream_tbEUlT_E0_NS1_11comp_targetILNS1_3genE9ELNS1_11target_archE1100ELNS1_3gpuE3ELNS1_3repE0EEENS1_60segmented_radix_sort_warp_sort_medium_config_static_selectorELNS0_4arch9wavefront6targetE0EEEvSK_
                                        ; -- End function
	.set _ZN7rocprim17ROCPRIM_400000_NS6detail17trampoline_kernelINS0_14default_configENS1_36segmented_radix_sort_config_selectorIilEEZNS1_25segmented_radix_sort_implIS3_Lb1EPKiPiPKlPlN2at6native12_GLOBAL__N_18offset_tEEE10hipError_tPvRmT1_PNSt15iterator_traitsISK_E10value_typeET2_T3_PNSL_ISQ_E10value_typeET4_jRbjT5_SW_jjP12ihipStream_tbEUlT_E0_NS1_11comp_targetILNS1_3genE9ELNS1_11target_archE1100ELNS1_3gpuE3ELNS1_3repE0EEENS1_60segmented_radix_sort_warp_sort_medium_config_static_selectorELNS0_4arch9wavefront6targetE0EEEvSK_.num_vgpr, 0
	.set _ZN7rocprim17ROCPRIM_400000_NS6detail17trampoline_kernelINS0_14default_configENS1_36segmented_radix_sort_config_selectorIilEEZNS1_25segmented_radix_sort_implIS3_Lb1EPKiPiPKlPlN2at6native12_GLOBAL__N_18offset_tEEE10hipError_tPvRmT1_PNSt15iterator_traitsISK_E10value_typeET2_T3_PNSL_ISQ_E10value_typeET4_jRbjT5_SW_jjP12ihipStream_tbEUlT_E0_NS1_11comp_targetILNS1_3genE9ELNS1_11target_archE1100ELNS1_3gpuE3ELNS1_3repE0EEENS1_60segmented_radix_sort_warp_sort_medium_config_static_selectorELNS0_4arch9wavefront6targetE0EEEvSK_.num_agpr, 0
	.set _ZN7rocprim17ROCPRIM_400000_NS6detail17trampoline_kernelINS0_14default_configENS1_36segmented_radix_sort_config_selectorIilEEZNS1_25segmented_radix_sort_implIS3_Lb1EPKiPiPKlPlN2at6native12_GLOBAL__N_18offset_tEEE10hipError_tPvRmT1_PNSt15iterator_traitsISK_E10value_typeET2_T3_PNSL_ISQ_E10value_typeET4_jRbjT5_SW_jjP12ihipStream_tbEUlT_E0_NS1_11comp_targetILNS1_3genE9ELNS1_11target_archE1100ELNS1_3gpuE3ELNS1_3repE0EEENS1_60segmented_radix_sort_warp_sort_medium_config_static_selectorELNS0_4arch9wavefront6targetE0EEEvSK_.numbered_sgpr, 0
	.set _ZN7rocprim17ROCPRIM_400000_NS6detail17trampoline_kernelINS0_14default_configENS1_36segmented_radix_sort_config_selectorIilEEZNS1_25segmented_radix_sort_implIS3_Lb1EPKiPiPKlPlN2at6native12_GLOBAL__N_18offset_tEEE10hipError_tPvRmT1_PNSt15iterator_traitsISK_E10value_typeET2_T3_PNSL_ISQ_E10value_typeET4_jRbjT5_SW_jjP12ihipStream_tbEUlT_E0_NS1_11comp_targetILNS1_3genE9ELNS1_11target_archE1100ELNS1_3gpuE3ELNS1_3repE0EEENS1_60segmented_radix_sort_warp_sort_medium_config_static_selectorELNS0_4arch9wavefront6targetE0EEEvSK_.num_named_barrier, 0
	.set _ZN7rocprim17ROCPRIM_400000_NS6detail17trampoline_kernelINS0_14default_configENS1_36segmented_radix_sort_config_selectorIilEEZNS1_25segmented_radix_sort_implIS3_Lb1EPKiPiPKlPlN2at6native12_GLOBAL__N_18offset_tEEE10hipError_tPvRmT1_PNSt15iterator_traitsISK_E10value_typeET2_T3_PNSL_ISQ_E10value_typeET4_jRbjT5_SW_jjP12ihipStream_tbEUlT_E0_NS1_11comp_targetILNS1_3genE9ELNS1_11target_archE1100ELNS1_3gpuE3ELNS1_3repE0EEENS1_60segmented_radix_sort_warp_sort_medium_config_static_selectorELNS0_4arch9wavefront6targetE0EEEvSK_.private_seg_size, 0
	.set _ZN7rocprim17ROCPRIM_400000_NS6detail17trampoline_kernelINS0_14default_configENS1_36segmented_radix_sort_config_selectorIilEEZNS1_25segmented_radix_sort_implIS3_Lb1EPKiPiPKlPlN2at6native12_GLOBAL__N_18offset_tEEE10hipError_tPvRmT1_PNSt15iterator_traitsISK_E10value_typeET2_T3_PNSL_ISQ_E10value_typeET4_jRbjT5_SW_jjP12ihipStream_tbEUlT_E0_NS1_11comp_targetILNS1_3genE9ELNS1_11target_archE1100ELNS1_3gpuE3ELNS1_3repE0EEENS1_60segmented_radix_sort_warp_sort_medium_config_static_selectorELNS0_4arch9wavefront6targetE0EEEvSK_.uses_vcc, 0
	.set _ZN7rocprim17ROCPRIM_400000_NS6detail17trampoline_kernelINS0_14default_configENS1_36segmented_radix_sort_config_selectorIilEEZNS1_25segmented_radix_sort_implIS3_Lb1EPKiPiPKlPlN2at6native12_GLOBAL__N_18offset_tEEE10hipError_tPvRmT1_PNSt15iterator_traitsISK_E10value_typeET2_T3_PNSL_ISQ_E10value_typeET4_jRbjT5_SW_jjP12ihipStream_tbEUlT_E0_NS1_11comp_targetILNS1_3genE9ELNS1_11target_archE1100ELNS1_3gpuE3ELNS1_3repE0EEENS1_60segmented_radix_sort_warp_sort_medium_config_static_selectorELNS0_4arch9wavefront6targetE0EEEvSK_.uses_flat_scratch, 0
	.set _ZN7rocprim17ROCPRIM_400000_NS6detail17trampoline_kernelINS0_14default_configENS1_36segmented_radix_sort_config_selectorIilEEZNS1_25segmented_radix_sort_implIS3_Lb1EPKiPiPKlPlN2at6native12_GLOBAL__N_18offset_tEEE10hipError_tPvRmT1_PNSt15iterator_traitsISK_E10value_typeET2_T3_PNSL_ISQ_E10value_typeET4_jRbjT5_SW_jjP12ihipStream_tbEUlT_E0_NS1_11comp_targetILNS1_3genE9ELNS1_11target_archE1100ELNS1_3gpuE3ELNS1_3repE0EEENS1_60segmented_radix_sort_warp_sort_medium_config_static_selectorELNS0_4arch9wavefront6targetE0EEEvSK_.has_dyn_sized_stack, 0
	.set _ZN7rocprim17ROCPRIM_400000_NS6detail17trampoline_kernelINS0_14default_configENS1_36segmented_radix_sort_config_selectorIilEEZNS1_25segmented_radix_sort_implIS3_Lb1EPKiPiPKlPlN2at6native12_GLOBAL__N_18offset_tEEE10hipError_tPvRmT1_PNSt15iterator_traitsISK_E10value_typeET2_T3_PNSL_ISQ_E10value_typeET4_jRbjT5_SW_jjP12ihipStream_tbEUlT_E0_NS1_11comp_targetILNS1_3genE9ELNS1_11target_archE1100ELNS1_3gpuE3ELNS1_3repE0EEENS1_60segmented_radix_sort_warp_sort_medium_config_static_selectorELNS0_4arch9wavefront6targetE0EEEvSK_.has_recursion, 0
	.set _ZN7rocprim17ROCPRIM_400000_NS6detail17trampoline_kernelINS0_14default_configENS1_36segmented_radix_sort_config_selectorIilEEZNS1_25segmented_radix_sort_implIS3_Lb1EPKiPiPKlPlN2at6native12_GLOBAL__N_18offset_tEEE10hipError_tPvRmT1_PNSt15iterator_traitsISK_E10value_typeET2_T3_PNSL_ISQ_E10value_typeET4_jRbjT5_SW_jjP12ihipStream_tbEUlT_E0_NS1_11comp_targetILNS1_3genE9ELNS1_11target_archE1100ELNS1_3gpuE3ELNS1_3repE0EEENS1_60segmented_radix_sort_warp_sort_medium_config_static_selectorELNS0_4arch9wavefront6targetE0EEEvSK_.has_indirect_call, 0
	.section	.AMDGPU.csdata,"",@progbits
; Kernel info:
; codeLenInByte = 0
; TotalNumSgprs: 0
; NumVgprs: 0
; ScratchSize: 0
; MemoryBound: 0
; FloatMode: 240
; IeeeMode: 1
; LDSByteSize: 0 bytes/workgroup (compile time only)
; SGPRBlocks: 0
; VGPRBlocks: 0
; NumSGPRsForWavesPerEU: 1
; NumVGPRsForWavesPerEU: 1
; NamedBarCnt: 0
; Occupancy: 16
; WaveLimiterHint : 0
; COMPUTE_PGM_RSRC2:SCRATCH_EN: 0
; COMPUTE_PGM_RSRC2:USER_SGPR: 2
; COMPUTE_PGM_RSRC2:TRAP_HANDLER: 0
; COMPUTE_PGM_RSRC2:TGID_X_EN: 1
; COMPUTE_PGM_RSRC2:TGID_Y_EN: 0
; COMPUTE_PGM_RSRC2:TGID_Z_EN: 0
; COMPUTE_PGM_RSRC2:TIDIG_COMP_CNT: 0
	.section	.text._ZN7rocprim17ROCPRIM_400000_NS6detail17trampoline_kernelINS0_14default_configENS1_36segmented_radix_sort_config_selectorIilEEZNS1_25segmented_radix_sort_implIS3_Lb1EPKiPiPKlPlN2at6native12_GLOBAL__N_18offset_tEEE10hipError_tPvRmT1_PNSt15iterator_traitsISK_E10value_typeET2_T3_PNSL_ISQ_E10value_typeET4_jRbjT5_SW_jjP12ihipStream_tbEUlT_E0_NS1_11comp_targetILNS1_3genE8ELNS1_11target_archE1030ELNS1_3gpuE2ELNS1_3repE0EEENS1_60segmented_radix_sort_warp_sort_medium_config_static_selectorELNS0_4arch9wavefront6targetE0EEEvSK_,"axG",@progbits,_ZN7rocprim17ROCPRIM_400000_NS6detail17trampoline_kernelINS0_14default_configENS1_36segmented_radix_sort_config_selectorIilEEZNS1_25segmented_radix_sort_implIS3_Lb1EPKiPiPKlPlN2at6native12_GLOBAL__N_18offset_tEEE10hipError_tPvRmT1_PNSt15iterator_traitsISK_E10value_typeET2_T3_PNSL_ISQ_E10value_typeET4_jRbjT5_SW_jjP12ihipStream_tbEUlT_E0_NS1_11comp_targetILNS1_3genE8ELNS1_11target_archE1030ELNS1_3gpuE2ELNS1_3repE0EEENS1_60segmented_radix_sort_warp_sort_medium_config_static_selectorELNS0_4arch9wavefront6targetE0EEEvSK_,comdat
	.globl	_ZN7rocprim17ROCPRIM_400000_NS6detail17trampoline_kernelINS0_14default_configENS1_36segmented_radix_sort_config_selectorIilEEZNS1_25segmented_radix_sort_implIS3_Lb1EPKiPiPKlPlN2at6native12_GLOBAL__N_18offset_tEEE10hipError_tPvRmT1_PNSt15iterator_traitsISK_E10value_typeET2_T3_PNSL_ISQ_E10value_typeET4_jRbjT5_SW_jjP12ihipStream_tbEUlT_E0_NS1_11comp_targetILNS1_3genE8ELNS1_11target_archE1030ELNS1_3gpuE2ELNS1_3repE0EEENS1_60segmented_radix_sort_warp_sort_medium_config_static_selectorELNS0_4arch9wavefront6targetE0EEEvSK_ ; -- Begin function _ZN7rocprim17ROCPRIM_400000_NS6detail17trampoline_kernelINS0_14default_configENS1_36segmented_radix_sort_config_selectorIilEEZNS1_25segmented_radix_sort_implIS3_Lb1EPKiPiPKlPlN2at6native12_GLOBAL__N_18offset_tEEE10hipError_tPvRmT1_PNSt15iterator_traitsISK_E10value_typeET2_T3_PNSL_ISQ_E10value_typeET4_jRbjT5_SW_jjP12ihipStream_tbEUlT_E0_NS1_11comp_targetILNS1_3genE8ELNS1_11target_archE1030ELNS1_3gpuE2ELNS1_3repE0EEENS1_60segmented_radix_sort_warp_sort_medium_config_static_selectorELNS0_4arch9wavefront6targetE0EEEvSK_
	.p2align	8
	.type	_ZN7rocprim17ROCPRIM_400000_NS6detail17trampoline_kernelINS0_14default_configENS1_36segmented_radix_sort_config_selectorIilEEZNS1_25segmented_radix_sort_implIS3_Lb1EPKiPiPKlPlN2at6native12_GLOBAL__N_18offset_tEEE10hipError_tPvRmT1_PNSt15iterator_traitsISK_E10value_typeET2_T3_PNSL_ISQ_E10value_typeET4_jRbjT5_SW_jjP12ihipStream_tbEUlT_E0_NS1_11comp_targetILNS1_3genE8ELNS1_11target_archE1030ELNS1_3gpuE2ELNS1_3repE0EEENS1_60segmented_radix_sort_warp_sort_medium_config_static_selectorELNS0_4arch9wavefront6targetE0EEEvSK_,@function
_ZN7rocprim17ROCPRIM_400000_NS6detail17trampoline_kernelINS0_14default_configENS1_36segmented_radix_sort_config_selectorIilEEZNS1_25segmented_radix_sort_implIS3_Lb1EPKiPiPKlPlN2at6native12_GLOBAL__N_18offset_tEEE10hipError_tPvRmT1_PNSt15iterator_traitsISK_E10value_typeET2_T3_PNSL_ISQ_E10value_typeET4_jRbjT5_SW_jjP12ihipStream_tbEUlT_E0_NS1_11comp_targetILNS1_3genE8ELNS1_11target_archE1030ELNS1_3gpuE2ELNS1_3repE0EEENS1_60segmented_radix_sort_warp_sort_medium_config_static_selectorELNS0_4arch9wavefront6targetE0EEEvSK_: ; @_ZN7rocprim17ROCPRIM_400000_NS6detail17trampoline_kernelINS0_14default_configENS1_36segmented_radix_sort_config_selectorIilEEZNS1_25segmented_radix_sort_implIS3_Lb1EPKiPiPKlPlN2at6native12_GLOBAL__N_18offset_tEEE10hipError_tPvRmT1_PNSt15iterator_traitsISK_E10value_typeET2_T3_PNSL_ISQ_E10value_typeET4_jRbjT5_SW_jjP12ihipStream_tbEUlT_E0_NS1_11comp_targetILNS1_3genE8ELNS1_11target_archE1030ELNS1_3gpuE2ELNS1_3repE0EEENS1_60segmented_radix_sort_warp_sort_medium_config_static_selectorELNS0_4arch9wavefront6targetE0EEEvSK_
; %bb.0:
	.section	.rodata,"a",@progbits
	.p2align	6, 0x0
	.amdhsa_kernel _ZN7rocprim17ROCPRIM_400000_NS6detail17trampoline_kernelINS0_14default_configENS1_36segmented_radix_sort_config_selectorIilEEZNS1_25segmented_radix_sort_implIS3_Lb1EPKiPiPKlPlN2at6native12_GLOBAL__N_18offset_tEEE10hipError_tPvRmT1_PNSt15iterator_traitsISK_E10value_typeET2_T3_PNSL_ISQ_E10value_typeET4_jRbjT5_SW_jjP12ihipStream_tbEUlT_E0_NS1_11comp_targetILNS1_3genE8ELNS1_11target_archE1030ELNS1_3gpuE2ELNS1_3repE0EEENS1_60segmented_radix_sort_warp_sort_medium_config_static_selectorELNS0_4arch9wavefront6targetE0EEEvSK_
		.amdhsa_group_segment_fixed_size 0
		.amdhsa_private_segment_fixed_size 0
		.amdhsa_kernarg_size 88
		.amdhsa_user_sgpr_count 2
		.amdhsa_user_sgpr_dispatch_ptr 0
		.amdhsa_user_sgpr_queue_ptr 0
		.amdhsa_user_sgpr_kernarg_segment_ptr 1
		.amdhsa_user_sgpr_dispatch_id 0
		.amdhsa_user_sgpr_kernarg_preload_length 0
		.amdhsa_user_sgpr_kernarg_preload_offset 0
		.amdhsa_user_sgpr_private_segment_size 0
		.amdhsa_wavefront_size32 1
		.amdhsa_uses_dynamic_stack 0
		.amdhsa_enable_private_segment 0
		.amdhsa_system_sgpr_workgroup_id_x 1
		.amdhsa_system_sgpr_workgroup_id_y 0
		.amdhsa_system_sgpr_workgroup_id_z 0
		.amdhsa_system_sgpr_workgroup_info 0
		.amdhsa_system_vgpr_workitem_id 0
		.amdhsa_next_free_vgpr 1
		.amdhsa_next_free_sgpr 1
		.amdhsa_named_barrier_count 0
		.amdhsa_reserve_vcc 0
		.amdhsa_float_round_mode_32 0
		.amdhsa_float_round_mode_16_64 0
		.amdhsa_float_denorm_mode_32 3
		.amdhsa_float_denorm_mode_16_64 3
		.amdhsa_fp16_overflow 0
		.amdhsa_memory_ordered 1
		.amdhsa_forward_progress 1
		.amdhsa_inst_pref_size 0
		.amdhsa_round_robin_scheduling 0
		.amdhsa_exception_fp_ieee_invalid_op 0
		.amdhsa_exception_fp_denorm_src 0
		.amdhsa_exception_fp_ieee_div_zero 0
		.amdhsa_exception_fp_ieee_overflow 0
		.amdhsa_exception_fp_ieee_underflow 0
		.amdhsa_exception_fp_ieee_inexact 0
		.amdhsa_exception_int_div_zero 0
	.end_amdhsa_kernel
	.section	.text._ZN7rocprim17ROCPRIM_400000_NS6detail17trampoline_kernelINS0_14default_configENS1_36segmented_radix_sort_config_selectorIilEEZNS1_25segmented_radix_sort_implIS3_Lb1EPKiPiPKlPlN2at6native12_GLOBAL__N_18offset_tEEE10hipError_tPvRmT1_PNSt15iterator_traitsISK_E10value_typeET2_T3_PNSL_ISQ_E10value_typeET4_jRbjT5_SW_jjP12ihipStream_tbEUlT_E0_NS1_11comp_targetILNS1_3genE8ELNS1_11target_archE1030ELNS1_3gpuE2ELNS1_3repE0EEENS1_60segmented_radix_sort_warp_sort_medium_config_static_selectorELNS0_4arch9wavefront6targetE0EEEvSK_,"axG",@progbits,_ZN7rocprim17ROCPRIM_400000_NS6detail17trampoline_kernelINS0_14default_configENS1_36segmented_radix_sort_config_selectorIilEEZNS1_25segmented_radix_sort_implIS3_Lb1EPKiPiPKlPlN2at6native12_GLOBAL__N_18offset_tEEE10hipError_tPvRmT1_PNSt15iterator_traitsISK_E10value_typeET2_T3_PNSL_ISQ_E10value_typeET4_jRbjT5_SW_jjP12ihipStream_tbEUlT_E0_NS1_11comp_targetILNS1_3genE8ELNS1_11target_archE1030ELNS1_3gpuE2ELNS1_3repE0EEENS1_60segmented_radix_sort_warp_sort_medium_config_static_selectorELNS0_4arch9wavefront6targetE0EEEvSK_,comdat
.Lfunc_end512:
	.size	_ZN7rocprim17ROCPRIM_400000_NS6detail17trampoline_kernelINS0_14default_configENS1_36segmented_radix_sort_config_selectorIilEEZNS1_25segmented_radix_sort_implIS3_Lb1EPKiPiPKlPlN2at6native12_GLOBAL__N_18offset_tEEE10hipError_tPvRmT1_PNSt15iterator_traitsISK_E10value_typeET2_T3_PNSL_ISQ_E10value_typeET4_jRbjT5_SW_jjP12ihipStream_tbEUlT_E0_NS1_11comp_targetILNS1_3genE8ELNS1_11target_archE1030ELNS1_3gpuE2ELNS1_3repE0EEENS1_60segmented_radix_sort_warp_sort_medium_config_static_selectorELNS0_4arch9wavefront6targetE0EEEvSK_, .Lfunc_end512-_ZN7rocprim17ROCPRIM_400000_NS6detail17trampoline_kernelINS0_14default_configENS1_36segmented_radix_sort_config_selectorIilEEZNS1_25segmented_radix_sort_implIS3_Lb1EPKiPiPKlPlN2at6native12_GLOBAL__N_18offset_tEEE10hipError_tPvRmT1_PNSt15iterator_traitsISK_E10value_typeET2_T3_PNSL_ISQ_E10value_typeET4_jRbjT5_SW_jjP12ihipStream_tbEUlT_E0_NS1_11comp_targetILNS1_3genE8ELNS1_11target_archE1030ELNS1_3gpuE2ELNS1_3repE0EEENS1_60segmented_radix_sort_warp_sort_medium_config_static_selectorELNS0_4arch9wavefront6targetE0EEEvSK_
                                        ; -- End function
	.set _ZN7rocprim17ROCPRIM_400000_NS6detail17trampoline_kernelINS0_14default_configENS1_36segmented_radix_sort_config_selectorIilEEZNS1_25segmented_radix_sort_implIS3_Lb1EPKiPiPKlPlN2at6native12_GLOBAL__N_18offset_tEEE10hipError_tPvRmT1_PNSt15iterator_traitsISK_E10value_typeET2_T3_PNSL_ISQ_E10value_typeET4_jRbjT5_SW_jjP12ihipStream_tbEUlT_E0_NS1_11comp_targetILNS1_3genE8ELNS1_11target_archE1030ELNS1_3gpuE2ELNS1_3repE0EEENS1_60segmented_radix_sort_warp_sort_medium_config_static_selectorELNS0_4arch9wavefront6targetE0EEEvSK_.num_vgpr, 0
	.set _ZN7rocprim17ROCPRIM_400000_NS6detail17trampoline_kernelINS0_14default_configENS1_36segmented_radix_sort_config_selectorIilEEZNS1_25segmented_radix_sort_implIS3_Lb1EPKiPiPKlPlN2at6native12_GLOBAL__N_18offset_tEEE10hipError_tPvRmT1_PNSt15iterator_traitsISK_E10value_typeET2_T3_PNSL_ISQ_E10value_typeET4_jRbjT5_SW_jjP12ihipStream_tbEUlT_E0_NS1_11comp_targetILNS1_3genE8ELNS1_11target_archE1030ELNS1_3gpuE2ELNS1_3repE0EEENS1_60segmented_radix_sort_warp_sort_medium_config_static_selectorELNS0_4arch9wavefront6targetE0EEEvSK_.num_agpr, 0
	.set _ZN7rocprim17ROCPRIM_400000_NS6detail17trampoline_kernelINS0_14default_configENS1_36segmented_radix_sort_config_selectorIilEEZNS1_25segmented_radix_sort_implIS3_Lb1EPKiPiPKlPlN2at6native12_GLOBAL__N_18offset_tEEE10hipError_tPvRmT1_PNSt15iterator_traitsISK_E10value_typeET2_T3_PNSL_ISQ_E10value_typeET4_jRbjT5_SW_jjP12ihipStream_tbEUlT_E0_NS1_11comp_targetILNS1_3genE8ELNS1_11target_archE1030ELNS1_3gpuE2ELNS1_3repE0EEENS1_60segmented_radix_sort_warp_sort_medium_config_static_selectorELNS0_4arch9wavefront6targetE0EEEvSK_.numbered_sgpr, 0
	.set _ZN7rocprim17ROCPRIM_400000_NS6detail17trampoline_kernelINS0_14default_configENS1_36segmented_radix_sort_config_selectorIilEEZNS1_25segmented_radix_sort_implIS3_Lb1EPKiPiPKlPlN2at6native12_GLOBAL__N_18offset_tEEE10hipError_tPvRmT1_PNSt15iterator_traitsISK_E10value_typeET2_T3_PNSL_ISQ_E10value_typeET4_jRbjT5_SW_jjP12ihipStream_tbEUlT_E0_NS1_11comp_targetILNS1_3genE8ELNS1_11target_archE1030ELNS1_3gpuE2ELNS1_3repE0EEENS1_60segmented_radix_sort_warp_sort_medium_config_static_selectorELNS0_4arch9wavefront6targetE0EEEvSK_.num_named_barrier, 0
	.set _ZN7rocprim17ROCPRIM_400000_NS6detail17trampoline_kernelINS0_14default_configENS1_36segmented_radix_sort_config_selectorIilEEZNS1_25segmented_radix_sort_implIS3_Lb1EPKiPiPKlPlN2at6native12_GLOBAL__N_18offset_tEEE10hipError_tPvRmT1_PNSt15iterator_traitsISK_E10value_typeET2_T3_PNSL_ISQ_E10value_typeET4_jRbjT5_SW_jjP12ihipStream_tbEUlT_E0_NS1_11comp_targetILNS1_3genE8ELNS1_11target_archE1030ELNS1_3gpuE2ELNS1_3repE0EEENS1_60segmented_radix_sort_warp_sort_medium_config_static_selectorELNS0_4arch9wavefront6targetE0EEEvSK_.private_seg_size, 0
	.set _ZN7rocprim17ROCPRIM_400000_NS6detail17trampoline_kernelINS0_14default_configENS1_36segmented_radix_sort_config_selectorIilEEZNS1_25segmented_radix_sort_implIS3_Lb1EPKiPiPKlPlN2at6native12_GLOBAL__N_18offset_tEEE10hipError_tPvRmT1_PNSt15iterator_traitsISK_E10value_typeET2_T3_PNSL_ISQ_E10value_typeET4_jRbjT5_SW_jjP12ihipStream_tbEUlT_E0_NS1_11comp_targetILNS1_3genE8ELNS1_11target_archE1030ELNS1_3gpuE2ELNS1_3repE0EEENS1_60segmented_radix_sort_warp_sort_medium_config_static_selectorELNS0_4arch9wavefront6targetE0EEEvSK_.uses_vcc, 0
	.set _ZN7rocprim17ROCPRIM_400000_NS6detail17trampoline_kernelINS0_14default_configENS1_36segmented_radix_sort_config_selectorIilEEZNS1_25segmented_radix_sort_implIS3_Lb1EPKiPiPKlPlN2at6native12_GLOBAL__N_18offset_tEEE10hipError_tPvRmT1_PNSt15iterator_traitsISK_E10value_typeET2_T3_PNSL_ISQ_E10value_typeET4_jRbjT5_SW_jjP12ihipStream_tbEUlT_E0_NS1_11comp_targetILNS1_3genE8ELNS1_11target_archE1030ELNS1_3gpuE2ELNS1_3repE0EEENS1_60segmented_radix_sort_warp_sort_medium_config_static_selectorELNS0_4arch9wavefront6targetE0EEEvSK_.uses_flat_scratch, 0
	.set _ZN7rocprim17ROCPRIM_400000_NS6detail17trampoline_kernelINS0_14default_configENS1_36segmented_radix_sort_config_selectorIilEEZNS1_25segmented_radix_sort_implIS3_Lb1EPKiPiPKlPlN2at6native12_GLOBAL__N_18offset_tEEE10hipError_tPvRmT1_PNSt15iterator_traitsISK_E10value_typeET2_T3_PNSL_ISQ_E10value_typeET4_jRbjT5_SW_jjP12ihipStream_tbEUlT_E0_NS1_11comp_targetILNS1_3genE8ELNS1_11target_archE1030ELNS1_3gpuE2ELNS1_3repE0EEENS1_60segmented_radix_sort_warp_sort_medium_config_static_selectorELNS0_4arch9wavefront6targetE0EEEvSK_.has_dyn_sized_stack, 0
	.set _ZN7rocprim17ROCPRIM_400000_NS6detail17trampoline_kernelINS0_14default_configENS1_36segmented_radix_sort_config_selectorIilEEZNS1_25segmented_radix_sort_implIS3_Lb1EPKiPiPKlPlN2at6native12_GLOBAL__N_18offset_tEEE10hipError_tPvRmT1_PNSt15iterator_traitsISK_E10value_typeET2_T3_PNSL_ISQ_E10value_typeET4_jRbjT5_SW_jjP12ihipStream_tbEUlT_E0_NS1_11comp_targetILNS1_3genE8ELNS1_11target_archE1030ELNS1_3gpuE2ELNS1_3repE0EEENS1_60segmented_radix_sort_warp_sort_medium_config_static_selectorELNS0_4arch9wavefront6targetE0EEEvSK_.has_recursion, 0
	.set _ZN7rocprim17ROCPRIM_400000_NS6detail17trampoline_kernelINS0_14default_configENS1_36segmented_radix_sort_config_selectorIilEEZNS1_25segmented_radix_sort_implIS3_Lb1EPKiPiPKlPlN2at6native12_GLOBAL__N_18offset_tEEE10hipError_tPvRmT1_PNSt15iterator_traitsISK_E10value_typeET2_T3_PNSL_ISQ_E10value_typeET4_jRbjT5_SW_jjP12ihipStream_tbEUlT_E0_NS1_11comp_targetILNS1_3genE8ELNS1_11target_archE1030ELNS1_3gpuE2ELNS1_3repE0EEENS1_60segmented_radix_sort_warp_sort_medium_config_static_selectorELNS0_4arch9wavefront6targetE0EEEvSK_.has_indirect_call, 0
	.section	.AMDGPU.csdata,"",@progbits
; Kernel info:
; codeLenInByte = 0
; TotalNumSgprs: 0
; NumVgprs: 0
; ScratchSize: 0
; MemoryBound: 0
; FloatMode: 240
; IeeeMode: 1
; LDSByteSize: 0 bytes/workgroup (compile time only)
; SGPRBlocks: 0
; VGPRBlocks: 0
; NumSGPRsForWavesPerEU: 1
; NumVGPRsForWavesPerEU: 1
; NamedBarCnt: 0
; Occupancy: 16
; WaveLimiterHint : 0
; COMPUTE_PGM_RSRC2:SCRATCH_EN: 0
; COMPUTE_PGM_RSRC2:USER_SGPR: 2
; COMPUTE_PGM_RSRC2:TRAP_HANDLER: 0
; COMPUTE_PGM_RSRC2:TGID_X_EN: 1
; COMPUTE_PGM_RSRC2:TGID_Y_EN: 0
; COMPUTE_PGM_RSRC2:TGID_Z_EN: 0
; COMPUTE_PGM_RSRC2:TIDIG_COMP_CNT: 0
	.text
	.p2align	2                               ; -- Begin function _ZN7rocprim17ROCPRIM_400000_NS6detail26segmented_warp_sort_helperINS1_20WarpSortHelperConfigILj8ELj4ELj256EEEilLi256ELb1EvE4sortIPKiPiPKlPlEEvT_T0_T1_T2_jjjjRNS5_12storage_typeE
	.type	_ZN7rocprim17ROCPRIM_400000_NS6detail26segmented_warp_sort_helperINS1_20WarpSortHelperConfigILj8ELj4ELj256EEEilLi256ELb1EvE4sortIPKiPiPKlPlEEvT_T0_T1_T2_jjjjRNS5_12storage_typeE,@function
_ZN7rocprim17ROCPRIM_400000_NS6detail26segmented_warp_sort_helperINS1_20WarpSortHelperConfigILj8ELj4ELj256EEEilLi256ELb1EvE4sortIPKiPiPKlPlEEvT_T0_T1_T2_jjjjRNS5_12storage_typeE: ; @_ZN7rocprim17ROCPRIM_400000_NS6detail26segmented_warp_sort_helperINS1_20WarpSortHelperConfigILj8ELj4ELj256EEEilLi256ELb1EvE4sortIPKiPiPKlPlEEvT_T0_T1_T2_jjjjRNS5_12storage_typeE
; %bb.0:
	s_wait_loadcnt_dscnt 0x0
	s_wait_kmcnt 0x0
	v_mov_b32_e32 v14, v9
	v_mbcnt_lo_u32_b32 v9, -1, 0
	v_bfrev_b32_e32 v33, 1
	v_bfrev_b32_e32 v38, 1
	s_delay_alu instid0(VALU_DEP_3) | instskip(NEXT) | instid1(VALU_DEP_1)
	v_dual_mov_b32 v9, 0 :: v_dual_lshlrev_b32 v30, 2, v9
	v_dual_sub_nc_u32 v16, v14, v8 :: v_dual_bitop2_b32 v36, 28, v30 bitop3:0x40
	s_delay_alu instid0(VALU_DEP_2) | instskip(NEXT) | instid1(VALU_DEP_2)
	v_lshl_add_u64 v[18:19], v[8:9], 2, v[0:1]
	v_dual_mov_b32 v1, v9 :: v_dual_lshlrev_b32 v0, 2, v36
	s_delay_alu instid0(VALU_DEP_3) | instskip(NEXT) | instid1(VALU_DEP_2)
	v_cmp_lt_u32_e32 vcc_lo, v36, v16
	v_add_nc_u64_e32 v[14:15], v[18:19], v[0:1]
	s_and_saveexec_b32 s0, vcc_lo
	s_cbranch_execz .LBB513_2
; %bb.1:
	flat_load_b32 v38, v[14:15]
.LBB513_2:
	s_wait_xcnt 0x0
	s_or_b32 exec_lo, exec_lo, s0
	v_or_b32_e32 v1, 1, v36
	s_delay_alu instid0(VALU_DEP_1)
	v_cmp_lt_u32_e64 s0, v1, v16
	s_and_saveexec_b32 s1, s0
	s_cbranch_execz .LBB513_4
; %bb.3:
	flat_load_b32 v33, v[14:15] offset:4
.LBB513_4:
	s_wait_xcnt 0x0
	s_or_b32 exec_lo, exec_lo, s1
	v_or_b32_e32 v1, 2, v36
	v_bfrev_b32_e32 v37, 1
	v_bfrev_b32_e32 v32, 1
	s_delay_alu instid0(VALU_DEP_3)
	v_cmp_lt_u32_e64 s1, v1, v16
	s_and_saveexec_b32 s2, s1
	s_cbranch_execz .LBB513_6
; %bb.5:
	flat_load_b32 v32, v[14:15] offset:8
.LBB513_6:
	s_wait_xcnt 0x0
	s_or_b32 exec_lo, exec_lo, s2
	v_or_b32_e32 v1, 3, v36
	s_delay_alu instid0(VALU_DEP_1)
	v_cmp_lt_u32_e64 s2, v1, v16
	s_and_saveexec_b32 s3, s2
	s_cbranch_execz .LBB513_8
; %bb.7:
	flat_load_b32 v37, v[14:15] offset:12
.LBB513_8:
	s_wait_xcnt 0x0
	s_or_b32 exec_lo, exec_lo, s3
	v_lshl_add_u64 v[14:15], v[8:9], 3, v[4:5]
	v_dual_mov_b32 v5, 0 :: v_dual_lshlrev_b32 v4, 3, v36
	v_mov_b64_e32 v[22:23], 0
	; wave barrier
	s_delay_alu instid0(VALU_DEP_2)
	v_add_nc_u64_e32 v[26:27], v[14:15], v[4:5]
	v_mov_b64_e32 v[14:15], 0
	s_and_saveexec_b32 s3, vcc_lo
	s_cbranch_execz .LBB513_10
; %bb.9:
	flat_load_b64 v[14:15], v[26:27]
.LBB513_10:
	s_wait_xcnt 0x0
	s_or_b32 exec_lo, exec_lo, s3
	s_mov_b32 s3, 0
	s_delay_alu instid0(SALU_CYCLE_1)
	v_dual_mov_b32 v18, s3 :: v_dual_mov_b32 v19, s3
	v_dual_mov_b32 v24, s3 :: v_dual_mov_b32 v25, s3
	v_dual_mov_b32 v34, s3 :: v_dual_mov_b32 v35, s3
	s_and_saveexec_b32 s4, s0
	s_cbranch_execz .LBB513_12
; %bb.11:
	flat_load_b64 v[18:19], v[26:27] offset:8
	v_dual_mov_b32 v24, s3 :: v_dual_mov_b32 v25, s3
	v_dual_mov_b32 v34, s3 :: v_dual_mov_b32 v35, s3
	s_wait_loadcnt_dscnt 0x0
	v_mov_b64_e32 v[22:23], v[18:19]
.LBB513_12:
	s_wait_xcnt 0x0
	s_or_b32 exec_lo, exec_lo, s4
	v_mov_b64_e32 v[20:21], 0
	v_mov_b64_e32 v[16:17], 0
	s_and_saveexec_b32 s3, s1
	s_cbranch_execz .LBB513_14
; %bb.13:
	flat_load_b64 v[24:25], v[26:27] offset:16
	s_mov_b32 s4, 0
	s_delay_alu instid0(SALU_CYCLE_1)
	v_dual_mov_b32 v34, s4 :: v_dual_mov_b32 v35, s4
	s_wait_loadcnt_dscnt 0x0
	v_mov_b64_e32 v[16:17], v[24:25]
.LBB513_14:
	s_wait_xcnt 0x0
	s_or_b32 exec_lo, exec_lo, s3
	s_and_saveexec_b32 s3, s2
	s_cbranch_execz .LBB513_16
; %bb.15:
	flat_load_b64 v[34:35], v[26:27] offset:24
	s_wait_loadcnt_dscnt 0x0
	v_mov_b64_e32 v[20:21], v[34:35]
.LBB513_16:
	s_wait_xcnt 0x0
	s_or_b32 exec_lo, exec_lo, s3
	v_cmp_ne_u32_e64 s3, 0, v10
	v_cmp_ne_u32_e64 s4, 32, v11
	v_bfe_u32 v5, v31, 10, 10
	v_bfe_u32 v26, v31, 20, 10
	v_and_b32_e32 v1, 0x3ff, v31
	s_mov_b32 s5, 0
	s_or_b32 s3, s3, s4
	s_getreg_b32 s11, hwreg(HW_REG_IB_STS2, 6, 4)
	; wave barrier
	s_and_saveexec_b32 s4, s3
	s_delay_alu instid0(SALU_CYCLE_1)
	s_xor_b32 s12, exec_lo, s4
	s_cbranch_execz .LBB513_60
; %bb.17:
	s_load_b64 s[6:7], s[8:9], 0x0
	s_bfe_u32 s4, ttmp6, 0x4000c
	s_bfe_u32 s13, ttmp6, 0x40010
	s_and_b32 s10, ttmp7, 0xffff
	s_add_co_i32 s4, s4, 1
	s_add_co_i32 s13, s13, 1
	s_and_b32 s3, ttmp6, 15
	s_bfe_u32 s14, ttmp6, 0x40004
	s_mul_i32 s4, ttmp9, s4
	s_mul_i32 s13, s10, s13
	s_add_co_i32 s3, s3, s4
	s_add_co_i32 s14, s14, s13
	s_cmp_eq_u32 s11, 0
	v_lshlrev_b32_e64 v11, v11, -1
	s_cselect_b32 s3, ttmp9, s3
	s_cselect_b32 s10, s10, s14
	v_lshlrev_b32_e64 v10, v10, -1
	s_wait_kmcnt 0x0
	s_cmp_lt_u32 s3, s6
	s_cselect_b32 s4, 12, 18
	s_cmp_lt_u32 s10, s7
	s_mov_b32 s7, s5
	s_cselect_b32 s6, 14, 20
	s_add_nc_u64 s[4:5], s[8:9], s[4:5]
	s_add_nc_u64 s[6:7], s[8:9], s[6:7]
	s_load_u16 s4, s[4:5], 0x0
	s_wait_xcnt 0x0
	s_mov_b32 s5, exec_lo
	s_load_u16 s3, s[6:7], 0x0
	s_wait_kmcnt 0x0
	v_mad_u32_u24 v5, v26, s3, v5
	s_wait_loadcnt_dscnt 0x0
	v_mov_b64_e32 v[26:27], v[32:33]
	s_delay_alu instid0(VALU_DEP_2) | instskip(NEXT) | instid1(VALU_DEP_1)
	v_mul_lo_u32 v5, v5, s4
	v_add_lshl_u32 v5, v5, v1, 2
	v_xor_b32_e32 v1, v11, v10
	s_delay_alu instid0(VALU_DEP_2)
	v_cmpx_gt_u32_e32 0x400, v5
	s_cbranch_execz .LBB513_29
; %bb.18:
	s_delay_alu instid0(VALU_DEP_2) | instskip(SKIP_2) | instid1(VALU_DEP_1)
	v_and_b32_e32 v11, v33, v1
	v_and_b32_e32 v16, v38, v1
	s_mov_b32 s6, exec_lo
	v_cmp_gt_u32_e64 s3, v11, v16
	v_and_b32_e32 v20, v37, v1
	v_dual_mov_b32 v11, v32 :: v_dual_bitop2_b32 v10, v32, v1 bitop3:0x40
	s_delay_alu instid0(VALU_DEP_3) | instskip(SKIP_2) | instid1(VALU_DEP_4)
	v_dual_cndmask_b32 v17, v19, v15, s3 :: v_dual_cndmask_b32 v16, v18, v14, s3
	v_dual_cndmask_b32 v15, v15, v19, s3 :: v_dual_cndmask_b32 v14, v14, v18, s3
	v_mov_b64_e32 v[18:19], v[24:25]
	v_cmpx_gt_u32_e64 v20, v10
; %bb.19:
	v_mov_b64_e32 v[18:19], v[34:35]
	v_mov_b64_e32 v[34:35], v[24:25]
	v_dual_mov_b32 v11, v37 :: v_dual_mov_b32 v37, v32
	v_mov_b32_e32 v10, v20
; %bb.20:
	s_or_b32 exec_lo, exec_lo, s6
	s_delay_alu instid0(VALU_DEP_3) | instskip(NEXT) | instid1(VALU_DEP_1)
	v_dual_cndmask_b32 v39, v33, v38, s3 :: v_dual_mov_b32 v20, v34
                                        ; implicit-def: $vgpr31
	v_and_b32_e32 v32, v39, v1
	s_delay_alu instid0(VALU_DEP_2)
	v_mov_b64_e32 v[28:29], v[20:21]
	v_mov_b64_e32 v[22:23], v[14:15]
	;; [unrolled: 1-line block ×4, first 2 shown]
	v_cmp_le_u32_e64 s4, v10, v32
	s_and_saveexec_b32 s6, s4
	s_delay_alu instid0(SALU_CYCLE_1)
	s_xor_b32 s4, exec_lo, s6
; %bb.21:
	v_and_b32_e32 v31, v11, v1
                                        ; implicit-def: $vgpr22_vgpr23_vgpr24_vgpr25_vgpr26_vgpr27_vgpr28_vgpr29
                                        ; implicit-def: $vgpr10
; %bb.22:
	s_or_saveexec_b32 s4, s4
	v_dual_mov_b32 v21, v35 :: v_dual_mov_b32 v24, v39
	s_xor_b32 exec_lo, exec_lo, s4
	s_cbranch_execz .LBB513_24
; %bb.23:
	v_dual_mov_b32 v24, v18 :: v_dual_mov_b32 v25, v19
	v_dual_mov_b32 v26, v16 :: v_dual_mov_b32 v27, v17
	;; [unrolled: 1-line block ×3, first 2 shown]
	v_mov_b64_e32 v[14:15], v[22:23]
	s_delay_alu instid0(VALU_DEP_4) | instskip(NEXT) | instid1(VALU_DEP_4)
	v_mov_b64_e32 v[16:17], v[24:25]
	v_mov_b64_e32 v[18:19], v[26:27]
	v_mov_b32_e32 v31, v32
	v_mov_b64_e32 v[20:21], v[28:29]
	v_dual_mov_b32 v24, v11 :: v_dual_mov_b32 v11, v39
	v_mov_b32_e32 v32, v10
.LBB513_24:
	s_or_b32 exec_lo, exec_lo, s4
	v_cndmask_b32_e64 v25, v38, v33, s3
	s_mov_b32 s6, exec_lo
	s_delay_alu instid0(VALU_DEP_1) | instskip(NEXT) | instid1(VALU_DEP_1)
	v_and_b32_e32 v10, v25, v1
	v_cmp_gt_u32_e64 s3, v32, v10
	v_dual_mov_b32 v10, v11 :: v_dual_bitop2_b32 v26, v37, v1 bitop3:0x40
	s_delay_alu instid0(VALU_DEP_2) | instskip(SKIP_1) | instid1(VALU_DEP_3)
	v_dual_cndmask_b32 v23, v17, v15, s3 :: v_dual_cndmask_b32 v22, v16, v14, s3
	v_dual_cndmask_b32 v15, v15, v17, s3 :: v_dual_cndmask_b32 v14, v14, v16, s3
	v_cmpx_gt_u32_e64 v26, v31
; %bb.25:
	v_mov_b64_e32 v[16:17], v[18:19]
	v_mov_b64_e32 v[18:19], v[20:21]
	v_dual_mov_b32 v10, v37 :: v_dual_mov_b32 v37, v11
	v_mov_b32_e32 v31, v26
	s_delay_alu instid0(VALU_DEP_4)
	v_mov_b64_e32 v[20:21], v[16:17]
; %bb.26:
	s_or_b32 exec_lo, exec_lo, s6
	v_cndmask_b32_e64 v11, v24, v25, s3
	v_mov_b64_e32 v[16:17], v[18:19]
	s_delay_alu instid0(VALU_DEP_2) | instskip(NEXT) | instid1(VALU_DEP_1)
	v_dual_mov_b32 v33, v11 :: v_dual_bitop2_b32 v26, v11, v1 bitop3:0x40
	v_cmp_gt_u32_e64 s4, v31, v26
	v_mov_b64_e32 v[26:27], v[10:11]
	s_and_saveexec_b32 s6, s4
; %bb.27:
	v_mov_b64_e32 v[16:17], v[22:23]
	v_mov_b64_e32 v[22:23], v[18:19]
	v_dual_mov_b32 v26, v11 :: v_dual_mov_b32 v27, v10
	v_dual_mov_b32 v33, v10 :: v_dual_mov_b32 v10, v11
; %bb.28:
	s_or_b32 exec_lo, exec_lo, s6
	s_delay_alu instid0(VALU_DEP_1)
	v_dual_cndmask_b32 v38, v25, v24, s3 :: v_dual_mov_b32 v32, v10
.LBB513_29:
	s_or_b32 exec_lo, exec_lo, s5
	v_and_b32_e32 v24, 0xffffff80, v5
	v_dual_mov_b32 v25, 0 :: v_dual_bitop2_b32 v18, 4, v30 bitop3:0x54
	v_and_b32_e32 v48, 0x78, v30
	s_mov_b32 s4, exec_lo
	s_delay_alu instid0(VALU_DEP_3) | instskip(NEXT) | instid1(VALU_DEP_3)
	v_sub_nc_u32_e64 v5, 0x400, v24 clamp
	v_lshlrev_b64_e32 v[10:11], 2, v[24:25]
	v_lshlrev_b32_e32 v24, 2, v30
	s_delay_alu instid0(VALU_DEP_3) | instskip(SKIP_1) | instid1(VALU_DEP_4)
	v_min_u32_e32 v35, v5, v18
	v_and_b32_e32 v18, 4, v30
	v_add_nc_u64_e32 v[12:13], v[12:13], v[10:11]
	s_delay_alu instid0(VALU_DEP_3) | instskip(NEXT) | instid1(VALU_DEP_3)
	v_add_min_u32_e64 v39, v35, 4, v5
	v_min_u32_e32 v49, v5, v18
	s_delay_alu instid0(VALU_DEP_3) | instskip(SKIP_3) | instid1(VALU_DEP_3)
	v_add_nc_u64_e32 v[10:11], v[12:13], v[10:11]
	v_sub_nc_u32_e32 v11, v35, v48
	v_add_nc_u64_e32 v[18:19], v[12:13], v[24:25]
	v_sub_nc_u32_e32 v24, v39, v35
	v_min_u32_e32 v11, v49, v11
	v_lshl_add_u32 v19, v30, 3, v10
	s_delay_alu instid0(VALU_DEP_3) | instskip(NEXT) | instid1(VALU_DEP_2)
	v_sub_nc_u32_e64 v50, v49, v24 clamp
	v_add_nc_u32_e32 v24, 0x1000, v19
	ds_store_2addr_b32 v18, v27, v26 offset0:1 offset1:2
	ds_store_2addr_b32 v18, v38, v37 offset1:3
	ds_store_2addr_b64 v24, v[14:15], v[22:23] offset1:1
	ds_store_2addr_b64 v24, v[16:17], v[20:21] offset0:2 offset1:3
	; wave barrier
	v_cmpx_lt_u32_e64 v50, v11
	s_cbranch_execz .LBB513_33
; %bb.30:
	v_lshlrev_b32_e32 v24, 2, v48
	s_mov_b32 s5, 0
	s_delay_alu instid0(VALU_DEP_1) | instskip(SKIP_1) | instid1(VALU_DEP_1)
	v_add_nc_u64_e32 v[26:27], v[12:13], v[24:25]
	v_lshlrev_b32_e32 v24, 2, v35
	v_add_nc_u64_e32 v[24:25], v[12:13], v[24:25]
.LBB513_31:                             ; =>This Inner Loop Header: Depth=1
	v_add_nc_u32_e32 v25, v11, v50
	s_delay_alu instid0(VALU_DEP_1) | instskip(NEXT) | instid1(VALU_DEP_1)
	v_lshrrev_b32_e32 v25, 1, v25
	v_xad_u32 v27, v25, -1, v49
	v_lshl_add_u32 v28, v25, 2, v26
	s_delay_alu instid0(VALU_DEP_2)
	v_lshl_add_u32 v27, v27, 2, v24
	ds_load_b32 v28, v28
	ds_load_b32 v27, v27
	s_wait_dscnt 0x1
	v_and_b32_e32 v28, v28, v1
	s_wait_dscnt 0x0
	v_and_b32_e32 v27, v27, v1
	s_delay_alu instid0(VALU_DEP_1) | instskip(SKIP_1) | instid1(VALU_DEP_1)
	v_cmp_gt_u32_e64 s3, v27, v28
	v_add_nc_u32_e32 v29, 1, v25
	v_dual_cndmask_b32 v50, v29, v50, s3 :: v_dual_cndmask_b32 v11, v11, v25, s3
	s_delay_alu instid0(VALU_DEP_1) | instskip(SKIP_1) | instid1(SALU_CYCLE_1)
	v_cmp_ge_u32_e64 s3, v50, v11
	s_or_b32 s5, s3, s5
	s_and_not1_b32 exec_lo, exec_lo, s5
	s_cbranch_execnz .LBB513_31
; %bb.32:
	s_or_b32 exec_lo, exec_lo, s5
.LBB513_33:
	s_delay_alu instid0(SALU_CYCLE_1) | instskip(SKIP_3) | instid1(VALU_DEP_3)
	s_or_b32 exec_lo, exec_lo, s4
	v_dual_add_nc_u32 v24, v35, v49 :: v_dual_add_nc_u32 v27, v50, v48
	v_add_nc_u32_e32 v34, 0x1000, v19
	v_dual_add_nc_u32 v31, 4, v18 :: v_dual_add_nc_u32 v11, 12, v18
	v_sub_nc_u32_e32 v26, v24, v50
	s_delay_alu instid0(VALU_DEP_4)
	v_cmp_le_u32_e64 s3, v27, v35
	v_add_nc_u32_e32 v29, 0x1008, v19
	v_add_nc_u32_e32 v28, 0x1010, v19
	;; [unrolled: 1-line block ×3, first 2 shown]
	v_cmp_le_u32_e64 s4, v26, v39
	s_or_b32 s3, s3, s4
	s_delay_alu instid0(SALU_CYCLE_1)
	s_and_saveexec_b32 s13, s3
	s_cbranch_execz .LBB513_39
; %bb.34:
	v_cmp_lt_u32_e64 s3, v27, v35
                                        ; implicit-def: $vgpr24
	s_and_saveexec_b32 s4, s3
; %bb.35:
	v_lshl_add_u32 v14, v27, 2, v12
	ds_load_b32 v24, v14
; %bb.36:
	s_or_b32 exec_lo, exec_lo, s4
	v_cmp_ge_u32_e64 s4, v26, v39
	s_mov_b32 s6, exec_lo
                                        ; implicit-def: $vgpr25
	v_cmpx_lt_u32_e64 v26, v39
; %bb.37:
	v_lshl_add_u32 v14, v26, 2, v12
	ds_load_b32 v25, v14
; %bb.38:
	s_or_b32 exec_lo, exec_lo, s6
	s_wait_dscnt 0x0
	v_and_b32_e32 v14, v25, v1
	v_and_b32_e32 v15, v24, v1
	s_delay_alu instid0(VALU_DEP_1) | instskip(SKIP_1) | instid1(SALU_CYCLE_1)
	v_cmp_le_u32_e64 s5, v14, v15
	s_and_b32 s3, s3, s5
	s_or_b32 s3, s4, s3
	s_delay_alu instid0(SALU_CYCLE_1) | instskip(SKIP_1) | instid1(VALU_DEP_2)
	v_cndmask_b32_e64 v14, v26, v27, s3
	v_dual_cndmask_b32 v15, v39, v35, s3 :: v_dual_cndmask_b32 v38, v25, v24, s3
	v_add_nc_u32_e32 v16, 1, v14
	v_lshl_add_u32 v14, v14, 3, v10
	s_delay_alu instid0(VALU_DEP_2) | instskip(NEXT) | instid1(VALU_DEP_1)
	v_add_min_u32_e64 v15, v15, -1, v16
	v_lshl_add_u32 v15, v15, 2, v12
	ds_load_b32 v15, v15
	s_wait_dscnt 0x0
	v_dual_cndmask_b32 v32, v15, v25, s3 :: v_dual_cndmask_b32 v33, v24, v15, s3
	v_dual_cndmask_b32 v15, v27, v16, s3 :: v_dual_cndmask_b32 v16, v16, v26, s3
	s_delay_alu instid0(VALU_DEP_2) | instskip(NEXT) | instid1(VALU_DEP_3)
	v_and_b32_e32 v17, v32, v1
	v_and_b32_e32 v20, v33, v1
	s_delay_alu instid0(VALU_DEP_3) | instskip(NEXT) | instid1(VALU_DEP_4)
	v_cmp_lt_u32_e64 s4, v15, v35
	v_cmp_ge_u32_e64 s6, v16, v39
	s_delay_alu instid0(VALU_DEP_3) | instskip(SKIP_1) | instid1(SALU_CYCLE_1)
	v_cmp_le_u32_e64 s5, v17, v20
	s_and_b32 s4, s4, s5
	s_or_b32 s4, s6, s4
	s_delay_alu instid0(SALU_CYCLE_1) | instskip(NEXT) | instid1(VALU_DEP_1)
	v_cndmask_b32_e64 v17, v16, v15, s4
	v_dual_cndmask_b32 v20, v39, v35, s4 :: v_dual_add_nc_u32 v21, 1, v17
	s_delay_alu instid0(VALU_DEP_1) | instskip(NEXT) | instid1(VALU_DEP_1)
	v_add_min_u32_e64 v20, v20, -1, v21
	v_lshl_add_u32 v20, v20, 2, v12
	ds_load_b32 v20, v20
	s_wait_dscnt 0x0
	v_cndmask_b32_e64 v26, v20, v32, s4
	v_dual_cndmask_b32 v27, v33, v20, s4 :: v_dual_cndmask_b32 v15, v15, v21, s4
	s_delay_alu instid0(VALU_DEP_2) | instskip(NEXT) | instid1(VALU_DEP_2)
	v_dual_cndmask_b32 v16, v21, v16, s4 :: v_dual_bitop2_b32 v20, v26, v1 bitop3:0x40
	v_and_b32_e32 v22, v27, v1
	s_delay_alu instid0(VALU_DEP_3) | instskip(NEXT) | instid1(VALU_DEP_3)
	v_cmp_lt_u32_e64 s5, v15, v35
	v_cmp_ge_u32_e64 s7, v16, v39
	s_delay_alu instid0(VALU_DEP_3) | instskip(SKIP_1) | instid1(SALU_CYCLE_1)
	v_cmp_le_u32_e64 s6, v20, v22
	s_and_b32 s5, s5, s6
	s_or_b32 s5, s7, s5
	s_delay_alu instid0(SALU_CYCLE_1) | instskip(SKIP_1) | instid1(VALU_DEP_1)
	v_dual_cndmask_b32 v33, v32, v33, s4 :: v_dual_cndmask_b32 v32, v26, v27, s5
	v_cndmask_b32_e64 v20, v16, v15, s5
	v_dual_cndmask_b32 v21, v39, v35, s5 :: v_dual_add_nc_u32 v22, 1, v20
	s_delay_alu instid0(VALU_DEP_1) | instskip(NEXT) | instid1(VALU_DEP_1)
	v_add_min_u32_e64 v21, v21, -1, v22
	v_lshl_add_u32 v21, v21, 2, v12
	ds_load_b32 v21, v21
	s_wait_dscnt 0x0
	v_dual_cndmask_b32 v37, v21, v26, s5 :: v_dual_cndmask_b32 v48, v27, v21, s5
	v_dual_cndmask_b32 v16, v22, v16, s5 :: v_dual_cndmask_b32 v15, v15, v22, s5
	s_delay_alu instid0(VALU_DEP_2) | instskip(NEXT) | instid1(VALU_DEP_3)
	v_and_b32_e32 v21, v37, v1
	v_and_b32_e32 v23, v48, v1
	s_delay_alu instid0(VALU_DEP_3) | instskip(NEXT) | instid1(VALU_DEP_4)
	v_cmp_ge_u32_e64 s10, v16, v39
	v_cmp_lt_u32_e64 s6, v15, v35
	s_delay_alu instid0(VALU_DEP_3) | instskip(SKIP_1) | instid1(SALU_CYCLE_1)
	v_cmp_le_u32_e64 s7, v21, v23
	s_and_b32 s6, s6, s7
	s_or_b32 s6, s10, s6
	s_delay_alu instid0(SALU_CYCLE_1) | instskip(SKIP_2) | instid1(VALU_DEP_3)
	v_dual_cndmask_b32 v15, v16, v15, s6 :: v_dual_cndmask_b32 v37, v37, v48, s6
	v_lshl_add_u32 v16, v17, 3, v10
	v_lshl_add_u32 v17, v20, 3, v10
	;; [unrolled: 1-line block ×3, first 2 shown]
	ds_load_b64 v[14:15], v14 offset:4096
	ds_load_b64 v[22:23], v16 offset:4096
	;; [unrolled: 1-line block ×4, first 2 shown]
.LBB513_39:
	s_or_b32 exec_lo, exec_lo, s13
	v_and_b32_e32 v48, 0x70, v30
	s_mov_b32 s4, exec_lo
	; wave barrier
	ds_store_b32 v18, v38
	s_wait_dscnt 0x4
	ds_store_b64 v34, v[14:15]
	v_or_b32_e32 v24, 8, v48
	ds_store_b32 v31, v33
	s_wait_dscnt 0x5
	ds_store_b64 v29, v[22:23]
	ds_store_b32 v18, v32 offset:8
	s_wait_dscnt 0x6
	ds_store_b64 v28, v[16:17]
	ds_store_b32 v11, v37
	s_wait_dscnt 0x7
	ds_store_b64 v19, v[20:21]
	; wave barrier
	v_min_u32_e32 v35, v5, v24
	v_and_b32_e32 v24, 12, v30
	s_delay_alu instid0(VALU_DEP_2) | instskip(NEXT) | instid1(VALU_DEP_2)
	v_add_min_u32_e64 v39, v35, 8, v5
	v_min_u32_e32 v49, v5, v24
	v_sub_nc_u32_e32 v25, v35, v48
	s_delay_alu instid0(VALU_DEP_3) | instskip(NEXT) | instid1(VALU_DEP_2)
	v_sub_nc_u32_e32 v24, v39, v35
	v_min_u32_e32 v51, v49, v25
	s_delay_alu instid0(VALU_DEP_2) | instskip(NEXT) | instid1(VALU_DEP_1)
	v_sub_nc_u32_e64 v50, v49, v24 clamp
	v_cmpx_lt_u32_e64 v50, v51
	s_cbranch_execz .LBB513_43
; %bb.40:
	v_dual_mov_b32 v27, 0 :: v_dual_lshlrev_b32 v26, 2, v48
	s_mov_b32 s5, 0
	s_delay_alu instid0(VALU_DEP_1) | instskip(SKIP_1) | instid1(VALU_DEP_1)
	v_add_nc_u64_e32 v[24:25], v[12:13], v[26:27]
	v_lshlrev_b32_e32 v26, 2, v35
	v_add_nc_u64_e32 v[26:27], v[12:13], v[26:27]
.LBB513_41:                             ; =>This Inner Loop Header: Depth=1
	v_add_nc_u32_e32 v25, v51, v50
	s_delay_alu instid0(VALU_DEP_1) | instskip(NEXT) | instid1(VALU_DEP_1)
	v_lshrrev_b32_e32 v25, 1, v25
	v_xad_u32 v27, v25, -1, v49
	v_lshl_add_u32 v52, v25, 2, v24
	s_delay_alu instid0(VALU_DEP_2)
	v_lshl_add_u32 v27, v27, 2, v26
	ds_load_b32 v52, v52
	ds_load_b32 v27, v27
	s_wait_dscnt 0x1
	v_and_b32_e32 v52, v52, v1
	s_wait_dscnt 0x0
	v_and_b32_e32 v27, v27, v1
	s_delay_alu instid0(VALU_DEP_1) | instskip(SKIP_1) | instid1(VALU_DEP_1)
	v_cmp_gt_u32_e64 s3, v27, v52
	v_add_nc_u32_e32 v53, 1, v25
	v_dual_cndmask_b32 v50, v53, v50, s3 :: v_dual_cndmask_b32 v51, v51, v25, s3
	s_delay_alu instid0(VALU_DEP_1) | instskip(SKIP_1) | instid1(SALU_CYCLE_1)
	v_cmp_ge_u32_e64 s3, v50, v51
	s_or_b32 s5, s3, s5
	s_and_not1_b32 exec_lo, exec_lo, s5
	s_cbranch_execnz .LBB513_41
; %bb.42:
	s_or_b32 exec_lo, exec_lo, s5
.LBB513_43:
	s_delay_alu instid0(SALU_CYCLE_1) | instskip(SKIP_1) | instid1(VALU_DEP_1)
	s_or_b32 exec_lo, exec_lo, s4
	v_dual_add_nc_u32 v24, 8, v18 :: v_dual_add_nc_u32 v25, v35, v49
	v_dual_add_nc_u32 v48, v50, v48 :: v_dual_sub_nc_u32 v27, v25, v50
	s_delay_alu instid0(VALU_DEP_1) | instskip(NEXT) | instid1(VALU_DEP_2)
	v_cmp_le_u32_e64 s3, v48, v35
	v_cmp_le_u32_e64 s4, v27, v39
	s_or_b32 s3, s3, s4
	s_delay_alu instid0(SALU_CYCLE_1)
	s_and_saveexec_b32 s13, s3
	s_cbranch_execz .LBB513_49
; %bb.44:
	v_cmp_lt_u32_e64 s3, v48, v35
                                        ; implicit-def: $vgpr25
	s_and_saveexec_b32 s4, s3
; %bb.45:
	v_lshl_add_u32 v14, v48, 2, v12
	ds_load_b32 v25, v14
; %bb.46:
	s_or_b32 exec_lo, exec_lo, s4
	v_cmp_ge_u32_e64 s4, v27, v39
	s_mov_b32 s6, exec_lo
                                        ; implicit-def: $vgpr26
	v_cmpx_lt_u32_e64 v27, v39
; %bb.47:
	v_lshl_add_u32 v14, v27, 2, v12
	ds_load_b32 v26, v14
; %bb.48:
	s_or_b32 exec_lo, exec_lo, s6
	s_wait_dscnt 0x0
	v_and_b32_e32 v14, v26, v1
	v_and_b32_e32 v15, v25, v1
	s_delay_alu instid0(VALU_DEP_1) | instskip(SKIP_1) | instid1(SALU_CYCLE_1)
	v_cmp_le_u32_e64 s5, v14, v15
	s_and_b32 s3, s3, s5
	s_or_b32 s3, s4, s3
	s_delay_alu instid0(SALU_CYCLE_1) | instskip(SKIP_1) | instid1(VALU_DEP_2)
	v_cndmask_b32_e64 v14, v27, v48, s3
	v_dual_cndmask_b32 v15, v39, v35, s3 :: v_dual_cndmask_b32 v38, v26, v25, s3
	v_add_nc_u32_e32 v16, 1, v14
	v_lshl_add_u32 v14, v14, 3, v10
	s_delay_alu instid0(VALU_DEP_2) | instskip(NEXT) | instid1(VALU_DEP_1)
	v_add_min_u32_e64 v15, v15, -1, v16
	v_lshl_add_u32 v15, v15, 2, v12
	ds_load_b32 v15, v15
	s_wait_dscnt 0x0
	v_dual_cndmask_b32 v32, v15, v26, s3 :: v_dual_cndmask_b32 v33, v25, v15, s3
	v_cndmask_b32_e64 v15, v48, v16, s3
	v_cndmask_b32_e64 v16, v16, v27, s3
	s_delay_alu instid0(VALU_DEP_3) | instskip(NEXT) | instid1(VALU_DEP_4)
	v_and_b32_e32 v17, v32, v1
	v_and_b32_e32 v20, v33, v1
	s_delay_alu instid0(VALU_DEP_4) | instskip(NEXT) | instid1(VALU_DEP_4)
	v_cmp_lt_u32_e64 s4, v15, v35
	v_cmp_ge_u32_e64 s6, v16, v39
	s_delay_alu instid0(VALU_DEP_3) | instskip(SKIP_1) | instid1(SALU_CYCLE_1)
	v_cmp_le_u32_e64 s5, v17, v20
	s_and_b32 s4, s4, s5
	s_or_b32 s4, s6, s4
	s_delay_alu instid0(SALU_CYCLE_1) | instskip(NEXT) | instid1(VALU_DEP_1)
	v_cndmask_b32_e64 v17, v16, v15, s4
	v_dual_cndmask_b32 v20, v39, v35, s4 :: v_dual_add_nc_u32 v21, 1, v17
	s_delay_alu instid0(VALU_DEP_1) | instskip(NEXT) | instid1(VALU_DEP_1)
	v_add_min_u32_e64 v20, v20, -1, v21
	v_lshl_add_u32 v20, v20, 2, v12
	ds_load_b32 v20, v20
	s_wait_dscnt 0x0
	v_cndmask_b32_e64 v27, v20, v32, s4
	v_dual_cndmask_b32 v37, v33, v20, s4 :: v_dual_cndmask_b32 v15, v15, v21, s4
	v_dual_cndmask_b32 v16, v21, v16, s4 :: v_dual_cndmask_b32 v33, v32, v33, s4
	s_delay_alu instid0(VALU_DEP_3) | instskip(NEXT) | instid1(VALU_DEP_3)
	v_and_b32_e32 v20, v27, v1
	v_and_b32_e32 v22, v37, v1
	s_delay_alu instid0(VALU_DEP_4) | instskip(NEXT) | instid1(VALU_DEP_4)
	v_cmp_lt_u32_e64 s5, v15, v35
	v_cmp_ge_u32_e64 s7, v16, v39
	s_delay_alu instid0(VALU_DEP_3) | instskip(SKIP_1) | instid1(SALU_CYCLE_1)
	v_cmp_le_u32_e64 s6, v20, v22
	s_and_b32 s5, s5, s6
	s_or_b32 s5, s7, s5
	s_delay_alu instid0(SALU_CYCLE_1) | instskip(SKIP_1) | instid1(VALU_DEP_2)
	v_cndmask_b32_e64 v20, v16, v15, s5
	v_cndmask_b32_e64 v21, v39, v35, s5
	v_dual_cndmask_b32 v32, v27, v37, s5 :: v_dual_add_nc_u32 v22, 1, v20
	s_delay_alu instid0(VALU_DEP_1) | instskip(SKIP_1) | instid1(VALU_DEP_2)
	v_add_min_u32_e64 v21, v21, -1, v22
	v_dual_cndmask_b32 v15, v15, v22, s5 :: v_dual_cndmask_b32 v16, v22, v16, s5
	v_lshl_add_u32 v21, v21, 2, v12
	s_delay_alu instid0(VALU_DEP_2) | instskip(NEXT) | instid1(VALU_DEP_3)
	v_cmp_lt_u32_e64 s6, v15, v35
	v_cmp_ge_u32_e64 s10, v16, v39
	ds_load_b32 v21, v21
	s_wait_dscnt 0x0
	v_cndmask_b32_e64 v48, v21, v27, s5
	v_cndmask_b32_e64 v49, v37, v21, s5
	s_delay_alu instid0(VALU_DEP_2) | instskip(NEXT) | instid1(VALU_DEP_2)
	v_and_b32_e32 v21, v48, v1
	v_and_b32_e32 v23, v49, v1
	s_delay_alu instid0(VALU_DEP_1) | instskip(SKIP_1) | instid1(SALU_CYCLE_1)
	v_cmp_le_u32_e64 s7, v21, v23
	s_and_b32 s6, s6, s7
	s_or_b32 s6, s10, s6
	s_delay_alu instid0(SALU_CYCLE_1) | instskip(SKIP_3) | instid1(VALU_DEP_4)
	v_cndmask_b32_e64 v15, v16, v15, s6
	v_lshl_add_u32 v16, v17, 3, v10
	v_lshl_add_u32 v17, v20, 3, v10
	v_cndmask_b32_e64 v37, v48, v49, s6
	v_lshl_add_u32 v20, v15, 3, v10
	ds_load_b64 v[14:15], v14 offset:4096
	ds_load_b64 v[22:23], v16 offset:4096
	;; [unrolled: 1-line block ×4, first 2 shown]
.LBB513_49:
	s_or_b32 exec_lo, exec_lo, s13
	v_and_b32_e32 v30, 0x60, v30
	; wave barrier
	ds_store_b32 v18, v38
	s_wait_dscnt 0x4
	ds_store_b64 v34, v[14:15]
	s_mov_b32 s4, exec_lo
	v_or_b32_e32 v25, 16, v30
	ds_store_b32 v31, v33
	s_wait_dscnt 0x5
	ds_store_b64 v29, v[22:23]
	ds_store_b32 v24, v32
	s_wait_dscnt 0x6
	ds_store_b64 v28, v[16:17]
	;; [unrolled: 3-line block ×3, first 2 shown]
	; wave barrier
	v_min_u32_e32 v27, v5, v25
	s_delay_alu instid0(VALU_DEP_1) | instskip(SKIP_1) | instid1(VALU_DEP_2)
	v_add_min_u32_e64 v26, v27, 16, v5
	v_min_u32_e32 v5, v5, v36
	v_dual_sub_nc_u32 v35, v27, v30 :: v_dual_sub_nc_u32 v25, v26, v27
	s_delay_alu instid0(VALU_DEP_1) | instskip(NEXT) | instid1(VALU_DEP_2)
	v_min_u32_e32 v35, v5, v35
	v_sub_nc_u32_e64 v34, v5, v25 clamp
	s_delay_alu instid0(VALU_DEP_1)
	v_cmpx_lt_u32_e64 v34, v35
	s_cbranch_execz .LBB513_53
; %bb.50:
	v_dual_mov_b32 v25, 0 :: v_dual_lshlrev_b32 v24, 2, v30
	s_mov_b32 s5, 0
	s_delay_alu instid0(VALU_DEP_1) | instskip(SKIP_1) | instid1(VALU_DEP_1)
	v_add_nc_u64_e32 v[18:19], v[12:13], v[24:25]
	v_lshlrev_b32_e32 v24, 2, v27
	v_add_nc_u64_e32 v[24:25], v[12:13], v[24:25]
.LBB513_51:                             ; =>This Inner Loop Header: Depth=1
	v_add_nc_u32_e32 v11, v35, v34
	s_delay_alu instid0(VALU_DEP_1) | instskip(NEXT) | instid1(VALU_DEP_1)
	v_lshrrev_b32_e32 v11, 1, v11
	v_xad_u32 v13, v11, -1, v5
	v_lshl_add_u32 v19, v11, 2, v18
	s_delay_alu instid0(VALU_DEP_2)
	v_lshl_add_u32 v13, v13, 2, v24
	ds_load_b32 v19, v19
	ds_load_b32 v13, v13
	s_wait_dscnt 0x1
	v_and_b32_e32 v19, v19, v1
	s_wait_dscnt 0x0
	v_and_b32_e32 v13, v13, v1
	s_delay_alu instid0(VALU_DEP_1) | instskip(NEXT) | instid1(VALU_DEP_1)
	v_cmp_gt_u32_e64 s3, v13, v19
	v_dual_add_nc_u32 v25, 1, v11 :: v_dual_cndmask_b32 v35, v35, v11, s3
	s_delay_alu instid0(VALU_DEP_1) | instskip(NEXT) | instid1(VALU_DEP_1)
	v_cndmask_b32_e64 v34, v25, v34, s3
	v_cmp_ge_u32_e64 s3, v34, v35
	s_or_b32 s5, s3, s5
	s_delay_alu instid0(SALU_CYCLE_1)
	s_and_not1_b32 exec_lo, exec_lo, s5
	s_cbranch_execnz .LBB513_51
; %bb.52:
	s_or_b32 exec_lo, exec_lo, s5
.LBB513_53:
	s_delay_alu instid0(SALU_CYCLE_1) | instskip(SKIP_1) | instid1(VALU_DEP_1)
	s_or_b32 exec_lo, exec_lo, s4
	v_dual_add_nc_u32 v5, v27, v5 :: v_dual_add_nc_u32 v18, v34, v30
	v_sub_nc_u32_e32 v13, v5, v34
	s_delay_alu instid0(VALU_DEP_2) | instskip(NEXT) | instid1(VALU_DEP_2)
	v_cmp_le_u32_e64 s3, v18, v27
	v_cmp_le_u32_e64 s4, v13, v26
	s_or_b32 s3, s3, s4
	s_delay_alu instid0(SALU_CYCLE_1)
	s_and_saveexec_b32 s13, s3
	s_cbranch_execz .LBB513_59
; %bb.54:
	v_cmp_lt_u32_e64 s3, v18, v27
                                        ; implicit-def: $vgpr5
	s_and_saveexec_b32 s4, s3
; %bb.55:
	v_lshl_add_u32 v5, v18, 2, v12
	ds_load_b32 v5, v5
; %bb.56:
	s_or_b32 exec_lo, exec_lo, s4
	v_cmp_ge_u32_e64 s4, v13, v26
	s_mov_b32 s6, exec_lo
                                        ; implicit-def: $vgpr11
	v_cmpx_lt_u32_e64 v13, v26
; %bb.57:
	v_lshl_add_u32 v11, v13, 2, v12
	ds_load_b32 v11, v11
; %bb.58:
	s_or_b32 exec_lo, exec_lo, s6
	s_wait_dscnt 0x0
	v_and_b32_e32 v14, v11, v1
	v_and_b32_e32 v15, v5, v1
	s_delay_alu instid0(VALU_DEP_1) | instskip(SKIP_1) | instid1(SALU_CYCLE_1)
	v_cmp_le_u32_e64 s5, v14, v15
	s_and_b32 s3, s3, s5
	s_or_b32 s3, s4, s3
	s_delay_alu instid0(SALU_CYCLE_1) | instskip(NEXT) | instid1(VALU_DEP_1)
	v_dual_cndmask_b32 v14, v13, v18, s3 :: v_dual_cndmask_b32 v15, v26, v27, s3
	v_add_nc_u32_e32 v16, 1, v14
	s_delay_alu instid0(VALU_DEP_1) | instskip(SKIP_1) | instid1(VALU_DEP_2)
	v_add_min_u32_e64 v15, v15, -1, v16
	v_cndmask_b32_e64 v13, v16, v13, s3
	v_lshl_add_u32 v15, v15, 2, v12
	s_delay_alu instid0(VALU_DEP_2) | instskip(SKIP_4) | instid1(VALU_DEP_2)
	v_cmp_ge_u32_e64 s6, v13, v26
	ds_load_b32 v15, v15
	s_wait_dscnt 0x0
	v_cndmask_b32_e64 v19, v15, v11, s3
	v_dual_cndmask_b32 v24, v5, v15, s3 :: v_dual_cndmask_b32 v15, v18, v16, s3
	v_and_b32_e32 v17, v19, v1
	s_delay_alu instid0(VALU_DEP_2) | instskip(NEXT) | instid1(VALU_DEP_3)
	v_and_b32_e32 v18, v24, v1
	v_cmp_lt_u32_e64 s4, v15, v27
	s_delay_alu instid0(VALU_DEP_2) | instskip(SKIP_1) | instid1(SALU_CYCLE_1)
	v_cmp_le_u32_e64 s5, v17, v18
	s_and_b32 s4, s4, s5
	s_or_b32 s4, s6, s4
	s_delay_alu instid0(SALU_CYCLE_1) | instskip(SKIP_1) | instid1(VALU_DEP_2)
	v_cndmask_b32_e64 v16, v13, v15, s4
	v_dual_cndmask_b32 v17, v26, v27, s4 :: v_dual_cndmask_b32 v33, v19, v24, s4
	v_add_nc_u32_e32 v18, 1, v16
	v_lshl_add_u32 v16, v16, 3, v10
	s_delay_alu instid0(VALU_DEP_2) | instskip(NEXT) | instid1(VALU_DEP_1)
	v_add_min_u32_e64 v17, v17, -1, v18
	v_lshl_add_u32 v17, v17, 2, v12
	ds_load_b32 v17, v17
	s_wait_dscnt 0x0
	v_dual_cndmask_b32 v25, v17, v19, s4 :: v_dual_cndmask_b32 v28, v24, v17, s4
	v_dual_cndmask_b32 v15, v15, v18, s4 :: v_dual_cndmask_b32 v13, v18, v13, s4
	s_delay_alu instid0(VALU_DEP_2) | instskip(NEXT) | instid1(VALU_DEP_3)
	v_and_b32_e32 v17, v25, v1
	v_and_b32_e32 v20, v28, v1
	s_delay_alu instid0(VALU_DEP_3) | instskip(NEXT) | instid1(VALU_DEP_4)
	v_cmp_lt_u32_e64 s5, v15, v27
	v_cmp_ge_u32_e64 s7, v13, v26
	s_delay_alu instid0(VALU_DEP_3) | instskip(SKIP_1) | instid1(SALU_CYCLE_1)
	v_cmp_le_u32_e64 s6, v17, v20
	s_and_b32 s5, s5, s6
	s_or_b32 s5, s7, s5
	s_delay_alu instid0(SALU_CYCLE_1) | instskip(SKIP_1) | instid1(VALU_DEP_2)
	v_cndmask_b32_e64 v17, v13, v15, s5
	v_dual_cndmask_b32 v18, v26, v27, s5 :: v_dual_cndmask_b32 v32, v25, v28, s5
	v_add_nc_u32_e32 v20, 1, v17
	v_lshl_add_u32 v17, v17, 3, v10
	s_delay_alu instid0(VALU_DEP_2) | instskip(SKIP_1) | instid1(VALU_DEP_2)
	v_add_min_u32_e64 v18, v18, -1, v20
	v_cndmask_b32_e64 v15, v15, v20, s5
	v_lshl_add_u32 v12, v18, 2, v12
	s_delay_alu instid0(VALU_DEP_2)
	v_cmp_lt_u32_e64 s6, v15, v27
	ds_load_b32 v12, v12
	s_wait_dscnt 0x0
	v_cndmask_b32_e64 v18, v12, v25, s5
	v_cndmask_b32_e64 v12, v28, v12, s5
	;; [unrolled: 1-line block ×3, first 2 shown]
	s_delay_alu instid0(VALU_DEP_3) | instskip(NEXT) | instid1(VALU_DEP_3)
	v_and_b32_e32 v21, v18, v1
	v_and_b32_e32 v1, v12, v1
	s_delay_alu instid0(VALU_DEP_3) | instskip(NEXT) | instid1(VALU_DEP_2)
	v_cmp_ge_u32_e64 s10, v13, v26
	v_cmp_le_u32_e64 s7, v21, v1
	s_and_b32 s6, s6, s7
	s_delay_alu instid0(SALU_CYCLE_1) | instskip(NEXT) | instid1(SALU_CYCLE_1)
	s_or_b32 s6, s10, s6
	v_dual_cndmask_b32 v38, v11, v5, s3 :: v_dual_cndmask_b32 v37, v18, v12, s6
	v_cndmask_b32_e64 v1, v13, v15, s6
	v_lshl_add_u32 v13, v14, 3, v10
	s_delay_alu instid0(VALU_DEP_2)
	v_lshl_add_u32 v1, v1, 3, v10
	ds_load_b64 v[14:15], v13 offset:4096
	ds_load_b64 v[22:23], v16 offset:4096
	;; [unrolled: 1-line block ×4, first 2 shown]
.LBB513_59:
	s_or_b32 exec_lo, exec_lo, s13
	; wave barrier
	s_wait_storecnt_dscnt 0x0
	s_barrier_signal -1
	s_barrier_wait -1
                                        ; implicit-def: $vgpr30
                                        ; implicit-def: $vgpr36
                                        ; implicit-def: $vgpr12_vgpr13
                                        ; implicit-def: $vgpr5
                                        ; implicit-def: $vgpr26
                                        ; implicit-def: $vgpr1
                                        ; implicit-def: $vgpr34_vgpr35
                                        ; implicit-def: $vgpr24_vgpr25
                                        ; implicit-def: $vgpr18_vgpr19
.LBB513_60:
	s_and_not1_saveexec_b32 s10, s12
	s_cbranch_execz .LBB513_96
; %bb.61:
	s_load_b64 s[4:5], s[8:9], 0x0
	s_bfe_u32 s6, ttmp6, 0x4000c
	s_bfe_u32 s12, ttmp6, 0x40010
	s_and_b32 s7, ttmp7, 0xffff
	s_add_co_i32 s6, s6, 1
	s_add_co_i32 s12, s12, 1
	s_and_b32 s3, ttmp6, 15
	s_bfe_u32 s13, ttmp6, 0x40004
	s_mul_i32 s6, ttmp9, s6
	s_mul_i32 s12, s7, s12
	s_add_co_i32 s3, s3, s6
	s_add_co_i32 s13, s13, s12
	s_cmp_eq_u32 s11, 0
	s_cselect_b32 s3, ttmp9, s3
	s_cselect_b32 s6, s7, s13
	s_wait_kmcnt 0x0
	s_cmp_lt_u32 s3, s4
	s_cselect_b32 s4, 12, 18
	s_cmp_lt_u32 s6, s5
	s_mov_b32 s5, 0
	s_cselect_b32 s6, 14, 20
	s_mov_b32 s7, s5
	s_add_nc_u64 s[4:5], s[8:9], s[4:5]
	s_add_nc_u64 s[6:7], s[8:9], s[6:7]
	s_clause 0x1
	s_load_u16 s4, s[4:5], 0x0
	s_nop 0
	s_load_u16 s3, s[6:7], 0x0
	s_wait_xcnt 0x0
	s_mov_b32 s6, exec_lo
	s_wait_kmcnt 0x0
	v_mad_u32_u24 v5, v26, s3, v5
	s_delay_alu instid0(VALU_DEP_1) | instskip(NEXT) | instid1(VALU_DEP_1)
	v_mul_lo_u32 v5, v5, s4
	v_add_lshl_u32 v1, v5, v1, 2
	s_delay_alu instid0(VALU_DEP_1)
	v_cmpx_gt_u32_e32 0x400, v1
	s_cbranch_execz .LBB513_65
; %bb.62:
	s_wait_loadcnt_dscnt 0x0
	v_cmp_gt_i32_e64 s3, v33, v38
	v_max_i32_e32 v5, v33, v38
	v_min_i32_e32 v16, v33, v38
	v_cmp_gt_i32_e64 s4, v37, v32
	s_delay_alu instid0(VALU_DEP_4) | instskip(SKIP_2) | instid1(VALU_DEP_4)
	v_dual_cndmask_b32 v17, v14, v18, s3 :: v_dual_min_i32 v10, v37, v32
	v_cndmask_b32_e64 v20, v15, v19, s3
	v_dual_cndmask_b32 v15, v19, v15, s3 :: v_dual_max_i32 v19, v37, v32
	v_dual_cndmask_b32 v14, v18, v14, s3 :: v_dual_cndmask_b32 v21, v25, v35, s4
	v_dual_cndmask_b32 v26, v34, v24, s4 :: v_dual_cndmask_b32 v22, v24, v34, s4
	s_delay_alu instid0(VALU_DEP_3) | instskip(SKIP_3) | instid1(VALU_DEP_4)
	v_cmp_gt_i32_e64 s5, v19, v16
	v_cndmask_b32_e64 v24, v35, v25, s4
	v_max_i32_e32 v11, v19, v16
	v_cmp_gt_i32_e64 s3, v19, v5
	v_dual_cndmask_b32 v27, v21, v15, s5 :: v_dual_min_i32 v18, v19, v16
	v_dual_cndmask_b32 v23, v15, v21, s5 :: v_dual_cndmask_b32 v19, v14, v22, s5
	v_cmp_lt_i32_e64 s4, v16, v10
	s_delay_alu instid0(VALU_DEP_4) | instskip(NEXT) | instid1(VALU_DEP_3)
	v_dual_cndmask_b32 v25, v22, v14, s5 :: v_dual_cndmask_b32 v33, v11, v5, s3
	v_cndmask_b32_e64 v15, v20, v23, s3
	s_delay_alu instid0(VALU_DEP_4) | instskip(NEXT) | instid1(VALU_DEP_4)
	v_dual_cndmask_b32 v14, v17, v19, s3 :: v_dual_cndmask_b32 v23, v23, v20, s3
	v_dual_cndmask_b32 v22, v19, v17, s3 :: v_dual_cndmask_b32 v19, v18, v10, s4
	s_delay_alu instid0(VALU_DEP_4) | instskip(SKIP_1) | instid1(VALU_DEP_3)
	v_dual_cndmask_b32 v21, v24, v27, s4 :: v_dual_cndmask_b32 v20, v26, v25, s4
	v_dual_cndmask_b32 v17, v27, v24, s4 :: v_dual_cndmask_b32 v16, v25, v26, s4
	v_mov_b32_e32 v32, v19
	s_mov_b32 s7, exec_lo
	v_cmpx_gt_i32_e64 v19, v33
; %bb.63:
	s_delay_alu instid0(VALU_DEP_3) | instskip(SKIP_2) | instid1(VALU_DEP_3)
	v_mov_b64_e32 v[24:25], v[16:17]
	v_mov_b64_e32 v[16:17], v[22:23]
	v_dual_mov_b32 v32, v33 :: v_dual_mov_b32 v33, v19
	v_mov_b64_e32 v[22:23], v[24:25]
; %bb.64:
	s_or_b32 exec_lo, exec_lo, s7
	v_dual_cndmask_b32 v38, v5, v11, s3 :: v_dual_cndmask_b32 v37, v10, v18, s4
.LBB513_65:
	s_or_b32 exec_lo, exec_lo, s6
	v_and_b32_e32 v18, 0xffffff80, v1
	v_dual_mov_b32 v19, 0 :: v_dual_bitop2_b32 v5, 4, v30 bitop3:0x54
	v_and_b32_e32 v48, 0x78, v30
	s_mov_b32 s4, exec_lo
	s_delay_alu instid0(VALU_DEP_3) | instskip(NEXT) | instid1(VALU_DEP_3)
	v_sub_nc_u32_e64 v1, 0x400, v18 clamp
	v_lshlrev_b64_e32 v[10:11], 2, v[18:19]
	s_delay_alu instid0(VALU_DEP_2) | instskip(SKIP_1) | instid1(VALU_DEP_3)
	v_min_u32_e32 v35, v1, v5
	v_and_b32_e32 v5, 4, v30
	v_add_nc_u64_e32 v[12:13], v[12:13], v[10:11]
	s_delay_alu instid0(VALU_DEP_3) | instskip(NEXT) | instid1(VALU_DEP_2)
	v_add_min_u32_e64 v39, v35, 4, v1
	v_add_nc_u64_e32 v[10:11], v[12:13], v[10:11]
	v_sub_nc_u32_e32 v11, v35, v48
	v_min_u32_e32 v49, v1, v5
	s_delay_alu instid0(VALU_DEP_4) | instskip(SKIP_1) | instid1(VALU_DEP_3)
	v_sub_nc_u32_e32 v18, v39, v35
	v_lshl_add_u32 v5, v30, 2, v12
	v_min_u32_e32 v11, v49, v11
	v_lshl_add_u32 v26, v30, 3, v10
	s_delay_alu instid0(VALU_DEP_4) | instskip(NEXT) | instid1(VALU_DEP_2)
	v_sub_nc_u32_e64 v50, v49, v18 clamp
	v_add_nc_u32_e32 v18, 0x1000, v26
	s_wait_loadcnt_dscnt 0x0
	ds_store_2addr_b32 v5, v38, v33 offset1:1
	ds_store_2addr_b32 v5, v32, v37 offset0:2 offset1:3
	ds_store_2addr_b64 v18, v[14:15], v[22:23] offset1:1
	ds_store_2addr_b64 v18, v[16:17], v[20:21] offset0:2 offset1:3
	; wave barrier
	v_cmpx_lt_u32_e64 v50, v11
	s_cbranch_execz .LBB513_69
; %bb.66:
	v_lshlrev_b32_e32 v18, 2, v48
	s_mov_b32 s5, 0
	s_delay_alu instid0(VALU_DEP_1) | instskip(SKIP_1) | instid1(VALU_DEP_1)
	v_add_nc_u64_e32 v[24:25], v[12:13], v[18:19]
	v_lshlrev_b32_e32 v18, 2, v35
	v_add_nc_u64_e32 v[18:19], v[12:13], v[18:19]
.LBB513_67:                             ; =>This Inner Loop Header: Depth=1
	v_add_nc_u32_e32 v19, v11, v50
	s_delay_alu instid0(VALU_DEP_1) | instskip(NEXT) | instid1(VALU_DEP_1)
	v_lshrrev_b32_e32 v19, 1, v19
	v_xad_u32 v25, v19, -1, v49
	v_lshl_add_u32 v27, v19, 2, v24
	s_delay_alu instid0(VALU_DEP_2) | instskip(SKIP_4) | instid1(VALU_DEP_1)
	v_lshl_add_u32 v25, v25, 2, v18
	ds_load_b32 v27, v27
	ds_load_b32 v25, v25
	s_wait_dscnt 0x0
	v_cmp_gt_i32_e64 s3, v25, v27
	v_dual_add_nc_u32 v28, 1, v19 :: v_dual_cndmask_b32 v11, v11, v19, s3
	s_delay_alu instid0(VALU_DEP_1) | instskip(NEXT) | instid1(VALU_DEP_1)
	v_cndmask_b32_e64 v50, v28, v50, s3
	v_cmp_ge_u32_e64 s3, v50, v11
	s_or_b32 s5, s3, s5
	s_delay_alu instid0(SALU_CYCLE_1)
	s_and_not1_b32 exec_lo, exec_lo, s5
	s_cbranch_execnz .LBB513_67
; %bb.68:
	s_or_b32 exec_lo, exec_lo, s5
.LBB513_69:
	s_delay_alu instid0(SALU_CYCLE_1) | instskip(SKIP_4) | instid1(VALU_DEP_4)
	s_or_b32 exec_lo, exec_lo, s4
	v_add_nc_u32_e32 v18, v35, v49
	v_dual_add_nc_u32 v11, 12, v5 :: v_dual_add_nc_u32 v25, v50, v48
	v_add_nc_u32_e32 v34, 0x1000, v26
	v_dual_add_nc_u32 v27, 4, v5 :: v_dual_add_nc_u32 v29, 8, v5
	v_sub_nc_u32_e32 v24, v18, v50
	s_delay_alu instid0(VALU_DEP_4)
	v_cmp_le_u32_e64 s3, v25, v35
	v_add_nc_u32_e32 v28, 0x1008, v26
	v_add_nc_u32_e32 v31, 0x1010, v26
	v_add_nc_u32_e32 v26, 0x1018, v26
	v_cmp_le_u32_e64 s4, v24, v39
	s_or_b32 s3, s3, s4
	s_delay_alu instid0(SALU_CYCLE_1)
	s_and_saveexec_b32 s9, s3
	s_cbranch_execz .LBB513_75
; %bb.70:
	v_cmp_lt_u32_e64 s3, v25, v35
                                        ; implicit-def: $vgpr18
	s_and_saveexec_b32 s4, s3
; %bb.71:
	v_lshl_add_u32 v14, v25, 2, v12
	ds_load_b32 v18, v14
; %bb.72:
	s_or_b32 exec_lo, exec_lo, s4
	v_cmp_ge_u32_e64 s4, v24, v39
	s_mov_b32 s6, exec_lo
                                        ; implicit-def: $vgpr19
	v_cmpx_lt_u32_e64 v24, v39
; %bb.73:
	v_lshl_add_u32 v14, v24, 2, v12
	ds_load_b32 v19, v14
; %bb.74:
	s_or_b32 exec_lo, exec_lo, s6
	s_wait_dscnt 0x0
	v_cmp_le_i32_e64 s5, v19, v18
	s_and_b32 s3, s3, s5
	s_delay_alu instid0(SALU_CYCLE_1) | instskip(NEXT) | instid1(SALU_CYCLE_1)
	s_or_b32 s3, s4, s3
	v_dual_cndmask_b32 v14, v24, v25, s3 :: v_dual_cndmask_b32 v15, v39, v35, s3
	v_cndmask_b32_e64 v38, v19, v18, s3
	s_delay_alu instid0(VALU_DEP_2) | instskip(SKIP_1) | instid1(VALU_DEP_2)
	v_add_nc_u32_e32 v16, 1, v14
	v_lshl_add_u32 v14, v14, 3, v10
	v_add_min_u32_e64 v15, v15, -1, v16
	s_delay_alu instid0(VALU_DEP_1) | instskip(SKIP_4) | instid1(VALU_DEP_2)
	v_lshl_add_u32 v15, v15, 2, v12
	ds_load_b32 v15, v15
	s_wait_dscnt 0x0
	v_dual_cndmask_b32 v17, v25, v16, s3 :: v_dual_cndmask_b32 v32, v18, v15, s3
	v_dual_cndmask_b32 v25, v15, v19, s3 :: v_dual_cndmask_b32 v15, v16, v24, s3
	v_cmp_lt_u32_e64 s4, v17, v35
	s_delay_alu instid0(VALU_DEP_2) | instskip(NEXT) | instid1(VALU_DEP_3)
	v_cmp_le_i32_e64 s5, v25, v32
	v_cmp_ge_u32_e64 s6, v15, v39
	s_and_b32 s4, s4, s5
	s_delay_alu instid0(SALU_CYCLE_1) | instskip(NEXT) | instid1(SALU_CYCLE_1)
	s_or_b32 s4, s6, s4
	v_cndmask_b32_e64 v20, v39, v35, s4
	v_dual_cndmask_b32 v16, v15, v17, s4 :: v_dual_cndmask_b32 v33, v25, v32, s4
	s_delay_alu instid0(VALU_DEP_1) | instskip(NEXT) | instid1(VALU_DEP_1)
	v_add_nc_u32_e32 v21, 1, v16
	v_add_min_u32_e64 v20, v20, -1, v21
	s_delay_alu instid0(VALU_DEP_1)
	v_lshl_add_u32 v20, v20, 2, v12
	ds_load_b32 v20, v20
	s_wait_dscnt 0x0
	v_cndmask_b32_e64 v24, v20, v25, s4
	v_dual_cndmask_b32 v17, v17, v21, s4 :: v_dual_cndmask_b32 v37, v32, v20, s4
	v_cndmask_b32_e64 v15, v21, v15, s4
	v_lshl_add_u32 v16, v16, 3, v10
	s_delay_alu instid0(VALU_DEP_3) | instskip(NEXT) | instid1(VALU_DEP_4)
	v_cmp_lt_u32_e64 s5, v17, v35
	v_cmp_le_i32_e64 s6, v24, v37
	s_delay_alu instid0(VALU_DEP_4) | instskip(SKIP_1) | instid1(SALU_CYCLE_1)
	v_cmp_ge_u32_e64 s7, v15, v39
	s_and_b32 s5, s5, s6
	s_or_b32 s5, s7, s5
	s_delay_alu instid0(SALU_CYCLE_1) | instskip(SKIP_1) | instid1(VALU_DEP_1)
	v_cndmask_b32_e64 v21, v39, v35, s5
	v_cndmask_b32_e64 v20, v15, v17, s5
	v_dual_cndmask_b32 v32, v24, v37, s5 :: v_dual_add_nc_u32 v22, 1, v20
	s_delay_alu instid0(VALU_DEP_1) | instskip(SKIP_1) | instid1(VALU_DEP_2)
	v_add_min_u32_e64 v21, v21, -1, v22
	v_dual_cndmask_b32 v17, v17, v22, s5 :: v_dual_cndmask_b32 v15, v22, v15, s5
	v_lshl_add_u32 v21, v21, 2, v12
	s_delay_alu instid0(VALU_DEP_2) | instskip(NEXT) | instid1(VALU_DEP_3)
	v_cmp_lt_u32_e64 s6, v17, v35
	v_cmp_ge_u32_e64 s8, v15, v39
	ds_load_b32 v21, v21
	s_wait_dscnt 0x0
	v_cndmask_b32_e64 v48, v21, v24, s5
	v_cndmask_b32_e64 v49, v37, v21, s5
	s_delay_alu instid0(VALU_DEP_1) | instskip(SKIP_1) | instid1(SALU_CYCLE_1)
	v_cmp_le_i32_e64 s7, v48, v49
	s_and_b32 s6, s6, s7
	s_or_b32 s6, s8, s6
	s_delay_alu instid0(SALU_CYCLE_1) | instskip(SKIP_2) | instid1(VALU_DEP_3)
	v_cndmask_b32_e64 v15, v15, v17, s6
	v_lshl_add_u32 v17, v20, 3, v10
	v_cndmask_b32_e64 v37, v48, v49, s6
	v_lshl_add_u32 v20, v15, 3, v10
	ds_load_b64 v[14:15], v14 offset:4096
	ds_load_b64 v[22:23], v16 offset:4096
	;; [unrolled: 1-line block ×4, first 2 shown]
.LBB513_75:
	s_or_b32 exec_lo, exec_lo, s9
	v_and_b32_e32 v48, 0x70, v30
	s_mov_b32 s4, exec_lo
	; wave barrier
	ds_store_b32 v5, v38
	s_wait_dscnt 0x4
	ds_store_b64 v34, v[14:15]
	v_or_b32_e32 v18, 8, v48
	ds_store_b32 v27, v33
	s_wait_dscnt 0x5
	ds_store_b64 v28, v[22:23]
	ds_store_b32 v29, v32
	s_wait_dscnt 0x6
	ds_store_b64 v31, v[16:17]
	;; [unrolled: 3-line block ×3, first 2 shown]
	; wave barrier
	v_min_u32_e32 v35, v1, v18
	v_and_b32_e32 v18, 12, v30
	s_delay_alu instid0(VALU_DEP_2) | instskip(NEXT) | instid1(VALU_DEP_2)
	v_add_min_u32_e64 v39, v35, 8, v1
	v_min_u32_e32 v49, v1, v18
	v_sub_nc_u32_e32 v19, v35, v48
	s_delay_alu instid0(VALU_DEP_3) | instskip(NEXT) | instid1(VALU_DEP_2)
	v_sub_nc_u32_e32 v18, v39, v35
	v_min_u32_e32 v51, v49, v19
	s_delay_alu instid0(VALU_DEP_2) | instskip(NEXT) | instid1(VALU_DEP_1)
	v_sub_nc_u32_e64 v50, v49, v18 clamp
	v_cmpx_lt_u32_e64 v50, v51
	s_cbranch_execz .LBB513_79
; %bb.76:
	v_dual_mov_b32 v25, 0 :: v_dual_lshlrev_b32 v24, 2, v48
	s_mov_b32 s5, 0
	s_delay_alu instid0(VALU_DEP_1) | instskip(SKIP_1) | instid1(VALU_DEP_1)
	v_add_nc_u64_e32 v[18:19], v[12:13], v[24:25]
	v_lshlrev_b32_e32 v24, 2, v35
	v_add_nc_u64_e32 v[24:25], v[12:13], v[24:25]
.LBB513_77:                             ; =>This Inner Loop Header: Depth=1
	v_add_nc_u32_e32 v19, v51, v50
	s_delay_alu instid0(VALU_DEP_1) | instskip(NEXT) | instid1(VALU_DEP_1)
	v_lshrrev_b32_e32 v19, 1, v19
	v_xad_u32 v25, v19, -1, v49
	v_lshl_add_u32 v52, v19, 2, v18
	s_delay_alu instid0(VALU_DEP_2) | instskip(SKIP_4) | instid1(VALU_DEP_1)
	v_lshl_add_u32 v25, v25, 2, v24
	ds_load_b32 v52, v52
	ds_load_b32 v25, v25
	s_wait_dscnt 0x0
	v_cmp_gt_i32_e64 s3, v25, v52
	v_dual_add_nc_u32 v53, 1, v19 :: v_dual_cndmask_b32 v51, v51, v19, s3
	s_delay_alu instid0(VALU_DEP_1) | instskip(NEXT) | instid1(VALU_DEP_1)
	v_cndmask_b32_e64 v50, v53, v50, s3
	v_cmp_ge_u32_e64 s3, v50, v51
	s_or_b32 s5, s3, s5
	s_delay_alu instid0(SALU_CYCLE_1)
	s_and_not1_b32 exec_lo, exec_lo, s5
	s_cbranch_execnz .LBB513_77
; %bb.78:
	s_or_b32 exec_lo, exec_lo, s5
.LBB513_79:
	s_delay_alu instid0(SALU_CYCLE_1) | instskip(SKIP_1) | instid1(VALU_DEP_1)
	s_or_b32 exec_lo, exec_lo, s4
	v_dual_add_nc_u32 v18, v35, v49 :: v_dual_add_nc_u32 v25, v50, v48
	v_sub_nc_u32_e32 v24, v18, v50
	s_delay_alu instid0(VALU_DEP_2) | instskip(NEXT) | instid1(VALU_DEP_2)
	v_cmp_le_u32_e64 s3, v25, v35
	v_cmp_le_u32_e64 s4, v24, v39
	s_or_b32 s3, s3, s4
	s_delay_alu instid0(SALU_CYCLE_1)
	s_and_saveexec_b32 s9, s3
	s_cbranch_execz .LBB513_85
; %bb.80:
	v_cmp_lt_u32_e64 s3, v25, v35
                                        ; implicit-def: $vgpr18
	s_and_saveexec_b32 s4, s3
; %bb.81:
	v_lshl_add_u32 v14, v25, 2, v12
	ds_load_b32 v18, v14
; %bb.82:
	s_or_b32 exec_lo, exec_lo, s4
	v_cmp_ge_u32_e64 s4, v24, v39
	s_mov_b32 s6, exec_lo
                                        ; implicit-def: $vgpr19
	v_cmpx_lt_u32_e64 v24, v39
; %bb.83:
	v_lshl_add_u32 v14, v24, 2, v12
	ds_load_b32 v19, v14
; %bb.84:
	s_or_b32 exec_lo, exec_lo, s6
	s_wait_dscnt 0x0
	v_cmp_le_i32_e64 s5, v19, v18
	s_and_b32 s3, s3, s5
	s_delay_alu instid0(SALU_CYCLE_1) | instskip(NEXT) | instid1(SALU_CYCLE_1)
	s_or_b32 s3, s4, s3
	v_dual_cndmask_b32 v14, v24, v25, s3 :: v_dual_cndmask_b32 v15, v39, v35, s3
	v_cndmask_b32_e64 v38, v19, v18, s3
	s_delay_alu instid0(VALU_DEP_2) | instskip(SKIP_1) | instid1(VALU_DEP_2)
	v_add_nc_u32_e32 v16, 1, v14
	v_lshl_add_u32 v14, v14, 3, v10
	v_add_min_u32_e64 v15, v15, -1, v16
	s_delay_alu instid0(VALU_DEP_1) | instskip(SKIP_4) | instid1(VALU_DEP_2)
	v_lshl_add_u32 v15, v15, 2, v12
	ds_load_b32 v15, v15
	s_wait_dscnt 0x0
	v_dual_cndmask_b32 v17, v25, v16, s3 :: v_dual_cndmask_b32 v32, v18, v15, s3
	v_dual_cndmask_b32 v25, v15, v19, s3 :: v_dual_cndmask_b32 v15, v16, v24, s3
	v_cmp_lt_u32_e64 s4, v17, v35
	s_delay_alu instid0(VALU_DEP_2) | instskip(NEXT) | instid1(VALU_DEP_3)
	v_cmp_le_i32_e64 s5, v25, v32
	v_cmp_ge_u32_e64 s6, v15, v39
	s_and_b32 s4, s4, s5
	s_delay_alu instid0(SALU_CYCLE_1) | instskip(NEXT) | instid1(SALU_CYCLE_1)
	s_or_b32 s4, s6, s4
	v_cndmask_b32_e64 v20, v39, v35, s4
	v_dual_cndmask_b32 v16, v15, v17, s4 :: v_dual_cndmask_b32 v33, v25, v32, s4
	s_delay_alu instid0(VALU_DEP_1) | instskip(NEXT) | instid1(VALU_DEP_1)
	v_add_nc_u32_e32 v21, 1, v16
	v_add_min_u32_e64 v20, v20, -1, v21
	s_delay_alu instid0(VALU_DEP_1)
	v_lshl_add_u32 v20, v20, 2, v12
	ds_load_b32 v20, v20
	s_wait_dscnt 0x0
	v_cndmask_b32_e64 v24, v20, v25, s4
	v_dual_cndmask_b32 v17, v17, v21, s4 :: v_dual_cndmask_b32 v37, v32, v20, s4
	v_cndmask_b32_e64 v15, v21, v15, s4
	v_lshl_add_u32 v16, v16, 3, v10
	s_delay_alu instid0(VALU_DEP_3) | instskip(NEXT) | instid1(VALU_DEP_4)
	v_cmp_lt_u32_e64 s5, v17, v35
	v_cmp_le_i32_e64 s6, v24, v37
	s_delay_alu instid0(VALU_DEP_4) | instskip(SKIP_1) | instid1(SALU_CYCLE_1)
	v_cmp_ge_u32_e64 s7, v15, v39
	s_and_b32 s5, s5, s6
	s_or_b32 s5, s7, s5
	s_delay_alu instid0(SALU_CYCLE_1) | instskip(SKIP_1) | instid1(VALU_DEP_1)
	v_cndmask_b32_e64 v21, v39, v35, s5
	v_cndmask_b32_e64 v20, v15, v17, s5
	v_dual_cndmask_b32 v32, v24, v37, s5 :: v_dual_add_nc_u32 v22, 1, v20
	s_delay_alu instid0(VALU_DEP_1) | instskip(SKIP_1) | instid1(VALU_DEP_2)
	v_add_min_u32_e64 v21, v21, -1, v22
	v_dual_cndmask_b32 v17, v17, v22, s5 :: v_dual_cndmask_b32 v15, v22, v15, s5
	v_lshl_add_u32 v21, v21, 2, v12
	s_delay_alu instid0(VALU_DEP_2) | instskip(NEXT) | instid1(VALU_DEP_3)
	v_cmp_lt_u32_e64 s6, v17, v35
	v_cmp_ge_u32_e64 s8, v15, v39
	ds_load_b32 v21, v21
	s_wait_dscnt 0x0
	v_cndmask_b32_e64 v48, v21, v24, s5
	v_cndmask_b32_e64 v49, v37, v21, s5
	s_delay_alu instid0(VALU_DEP_1) | instskip(SKIP_1) | instid1(SALU_CYCLE_1)
	v_cmp_le_i32_e64 s7, v48, v49
	s_and_b32 s6, s6, s7
	s_or_b32 s6, s8, s6
	s_delay_alu instid0(SALU_CYCLE_1) | instskip(SKIP_2) | instid1(VALU_DEP_3)
	v_cndmask_b32_e64 v15, v15, v17, s6
	v_lshl_add_u32 v17, v20, 3, v10
	v_cndmask_b32_e64 v37, v48, v49, s6
	v_lshl_add_u32 v20, v15, 3, v10
	ds_load_b64 v[14:15], v14 offset:4096
	ds_load_b64 v[22:23], v16 offset:4096
	;; [unrolled: 1-line block ×4, first 2 shown]
.LBB513_85:
	s_or_b32 exec_lo, exec_lo, s9
	v_and_b32_e32 v39, 0x60, v30
	; wave barrier
	ds_store_b32 v5, v38
	s_wait_dscnt 0x4
	ds_store_b64 v34, v[14:15]
	s_mov_b32 s4, exec_lo
	v_or_b32_e32 v18, 16, v39
	ds_store_b32 v27, v33
	s_wait_dscnt 0x5
	ds_store_b64 v28, v[22:23]
	ds_store_b32 v29, v32
	s_wait_dscnt 0x6
	ds_store_b64 v31, v[16:17]
	;; [unrolled: 3-line block ×3, first 2 shown]
	; wave barrier
	v_min_u32_e32 v35, v1, v18
	s_delay_alu instid0(VALU_DEP_1) | instskip(SKIP_2) | instid1(VALU_DEP_3)
	v_add_min_u32_e64 v30, v35, 16, v1
	v_min_u32_e32 v1, v1, v36
	v_sub_nc_u32_e32 v19, v35, v39
	v_sub_nc_u32_e32 v18, v30, v35
	s_delay_alu instid0(VALU_DEP_2) | instskip(NEXT) | instid1(VALU_DEP_2)
	v_min_u32_e32 v34, v1, v19
	v_sub_nc_u32_e64 v5, v1, v18 clamp
	s_delay_alu instid0(VALU_DEP_1)
	v_cmpx_lt_u32_e64 v5, v34
	s_cbranch_execz .LBB513_89
; %bb.86:
	v_dual_mov_b32 v25, 0 :: v_dual_lshlrev_b32 v24, 2, v39
	s_mov_b32 s5, 0
	s_delay_alu instid0(VALU_DEP_1) | instskip(SKIP_1) | instid1(VALU_DEP_1)
	v_add_nc_u64_e32 v[18:19], v[12:13], v[24:25]
	v_lshlrev_b32_e32 v24, 2, v35
	v_add_nc_u64_e32 v[24:25], v[12:13], v[24:25]
.LBB513_87:                             ; =>This Inner Loop Header: Depth=1
	v_add_nc_u32_e32 v11, v34, v5
	s_delay_alu instid0(VALU_DEP_1) | instskip(NEXT) | instid1(VALU_DEP_1)
	v_lshrrev_b32_e32 v11, 1, v11
	v_xad_u32 v13, v11, -1, v1
	v_lshl_add_u32 v19, v11, 2, v18
	s_delay_alu instid0(VALU_DEP_2) | instskip(SKIP_4) | instid1(VALU_DEP_1)
	v_lshl_add_u32 v13, v13, 2, v24
	ds_load_b32 v19, v19
	ds_load_b32 v13, v13
	s_wait_dscnt 0x0
	v_cmp_gt_i32_e64 s3, v13, v19
	v_dual_add_nc_u32 v25, 1, v11 :: v_dual_cndmask_b32 v34, v34, v11, s3
	s_delay_alu instid0(VALU_DEP_1) | instskip(NEXT) | instid1(VALU_DEP_1)
	v_cndmask_b32_e64 v5, v25, v5, s3
	v_cmp_ge_u32_e64 s3, v5, v34
	s_or_b32 s5, s3, s5
	s_delay_alu instid0(SALU_CYCLE_1)
	s_and_not1_b32 exec_lo, exec_lo, s5
	s_cbranch_execnz .LBB513_87
; %bb.88:
	s_or_b32 exec_lo, exec_lo, s5
.LBB513_89:
	s_delay_alu instid0(SALU_CYCLE_1) | instskip(SKIP_1) | instid1(VALU_DEP_1)
	s_or_b32 exec_lo, exec_lo, s4
	v_dual_add_nc_u32 v1, v35, v1 :: v_dual_add_nc_u32 v13, v5, v39
	v_sub_nc_u32_e32 v11, v1, v5
	s_delay_alu instid0(VALU_DEP_2) | instskip(NEXT) | instid1(VALU_DEP_2)
	v_cmp_le_u32_e64 s3, v13, v35
	v_cmp_le_u32_e64 s4, v11, v30
	s_or_b32 s3, s3, s4
	s_delay_alu instid0(SALU_CYCLE_1)
	s_and_saveexec_b32 s9, s3
	s_cbranch_execz .LBB513_95
; %bb.90:
	v_cmp_lt_u32_e64 s3, v13, v35
                                        ; implicit-def: $vgpr1
	s_and_saveexec_b32 s4, s3
; %bb.91:
	v_lshl_add_u32 v1, v13, 2, v12
	ds_load_b32 v1, v1
; %bb.92:
	s_or_b32 exec_lo, exec_lo, s4
	v_cmp_ge_u32_e64 s4, v11, v30
	s_mov_b32 s6, exec_lo
                                        ; implicit-def: $vgpr5
	v_cmpx_lt_u32_e64 v11, v30
; %bb.93:
	v_lshl_add_u32 v5, v11, 2, v12
	ds_load_b32 v5, v5
; %bb.94:
	s_or_b32 exec_lo, exec_lo, s6
	s_wait_dscnt 0x0
	v_cmp_le_i32_e64 s5, v5, v1
	s_and_b32 s3, s3, s5
	s_delay_alu instid0(SALU_CYCLE_1) | instskip(NEXT) | instid1(SALU_CYCLE_1)
	s_or_b32 s3, s4, s3
	v_dual_cndmask_b32 v14, v11, v13, s3 :: v_dual_cndmask_b32 v15, v30, v35, s3
	s_delay_alu instid0(VALU_DEP_1) | instskip(NEXT) | instid1(VALU_DEP_1)
	v_dual_cndmask_b32 v38, v5, v1, s3 :: v_dual_add_nc_u32 v16, 1, v14
	v_add_min_u32_e64 v15, v15, -1, v16
	s_delay_alu instid0(VALU_DEP_1)
	v_lshl_add_u32 v15, v15, 2, v12
	ds_load_b32 v15, v15
	s_wait_dscnt 0x0
	v_dual_cndmask_b32 v18, v15, v5, s3 :: v_dual_cndmask_b32 v13, v13, v16, s3
	v_cndmask_b32_e64 v11, v16, v11, s3
	v_cndmask_b32_e64 v19, v1, v15, s3
	s_delay_alu instid0(VALU_DEP_3) | instskip(NEXT) | instid1(VALU_DEP_3)
	v_cmp_lt_u32_e64 s4, v13, v35
	v_cmp_ge_u32_e64 s6, v11, v30
	s_delay_alu instid0(VALU_DEP_3) | instskip(SKIP_1) | instid1(SALU_CYCLE_1)
	v_cmp_le_i32_e64 s5, v18, v19
	s_and_b32 s4, s4, s5
	s_or_b32 s4, s6, s4
	s_delay_alu instid0(SALU_CYCLE_1) | instskip(NEXT) | instid1(VALU_DEP_1)
	v_dual_cndmask_b32 v15, v11, v13, s4 :: v_dual_cndmask_b32 v33, v18, v19, s4
	v_add_nc_u32_e32 v17, 1, v15
	s_delay_alu instid0(VALU_DEP_1) | instskip(NEXT) | instid1(VALU_DEP_1)
	v_dual_cndmask_b32 v16, v30, v35, s4 :: v_dual_cndmask_b32 v13, v13, v17, s4
	v_add_min_u32_e64 v16, v16, -1, v17
	s_delay_alu instid0(VALU_DEP_2) | instskip(NEXT) | instid1(VALU_DEP_2)
	v_cmp_lt_u32_e64 s5, v13, v35
	v_lshl_add_u32 v16, v16, 2, v12
	ds_load_b32 v16, v16
	s_wait_dscnt 0x0
	v_dual_cndmask_b32 v24, v16, v18, s4 :: v_dual_cndmask_b32 v25, v19, v16, s4
	v_cndmask_b32_e64 v11, v17, v11, s4
	s_delay_alu instid0(VALU_DEP_2) | instskip(NEXT) | instid1(VALU_DEP_2)
	v_cmp_le_i32_e64 s6, v24, v25
	v_cmp_ge_u32_e64 s7, v11, v30
	s_and_b32 s5, s5, s6
	s_delay_alu instid0(SALU_CYCLE_1) | instskip(NEXT) | instid1(SALU_CYCLE_1)
	s_or_b32 s5, s7, s5
	v_dual_cndmask_b32 v16, v11, v13, s5 :: v_dual_cndmask_b32 v17, v30, v35, s5
	s_delay_alu instid0(VALU_DEP_1) | instskip(SKIP_1) | instid1(VALU_DEP_2)
	v_add_nc_u32_e32 v20, 1, v16
	v_lshl_add_u32 v16, v16, 3, v10
	v_add_min_u32_e64 v17, v17, -1, v20
	v_dual_cndmask_b32 v13, v13, v20, s5 :: v_dual_cndmask_b32 v11, v20, v11, s5
	s_delay_alu instid0(VALU_DEP_2) | instskip(NEXT) | instid1(VALU_DEP_2)
	v_lshl_add_u32 v12, v17, 2, v12
	v_cmp_lt_u32_e64 s6, v13, v35
	s_delay_alu instid0(VALU_DEP_3)
	v_cmp_ge_u32_e64 s8, v11, v30
	v_lshl_add_u32 v17, v15, 3, v10
	ds_load_b32 v12, v12
	s_wait_dscnt 0x0
	v_cndmask_b32_e64 v26, v12, v24, s5
	v_cndmask_b32_e64 v12, v25, v12, s5
	s_delay_alu instid0(VALU_DEP_1) | instskip(SKIP_1) | instid1(SALU_CYCLE_1)
	v_cmp_le_i32_e64 s7, v26, v12
	s_and_b32 s6, s6, s7
	s_or_b32 s6, s8, s6
	s_delay_alu instid0(SALU_CYCLE_1) | instskip(SKIP_2) | instid1(VALU_DEP_2)
	v_dual_cndmask_b32 v32, v24, v25, s5 :: v_dual_cndmask_b32 v37, v26, v12, s6
	v_cndmask_b32_e64 v11, v11, v13, s6
	v_lshl_add_u32 v13, v14, 3, v10
	v_lshl_add_u32 v10, v11, 3, v10
	ds_load_b64 v[14:15], v13 offset:4096
	ds_load_b64 v[22:23], v17 offset:4096
	;; [unrolled: 1-line block ×4, first 2 shown]
.LBB513_95:
	s_or_b32 exec_lo, exec_lo, s9
	; wave barrier
	s_wait_storecnt_dscnt 0x0
	s_barrier_signal -1
	s_barrier_wait -1
.LBB513_96:
	s_or_b32 exec_lo, exec_lo, s10
	v_lshl_add_u64 v[2:3], v[8:9], 2, v[2:3]
	v_mov_b32_e32 v1, 0
	s_wait_storecnt 0x0
	; wave barrier
	s_wait_loadcnt_dscnt 0x0
	s_delay_alu instid0(VALU_DEP_1)
	v_add_nc_u64_e32 v[0:1], v[2:3], v[0:1]
	s_and_saveexec_b32 s3, vcc_lo
	s_cbranch_execnz .LBB513_106
; %bb.97:
	s_or_b32 exec_lo, exec_lo, s3
	s_and_saveexec_b32 s3, s0
	s_cbranch_execnz .LBB513_107
.LBB513_98:
	s_or_b32 exec_lo, exec_lo, s3
	s_and_saveexec_b32 s3, s1
	s_cbranch_execnz .LBB513_108
.LBB513_99:
	s_or_b32 exec_lo, exec_lo, s3
	s_and_saveexec_b32 s3, s2
	s_cbranch_execz .LBB513_101
.LBB513_100:
	flat_store_b32 v[0:1], v37 offset:12
.LBB513_101:
	s_wait_xcnt 0x0
	s_or_b32 exec_lo, exec_lo, s3
	v_lshl_add_u64 v[0:1], v[8:9], 3, v[6:7]
	v_mov_b32_e32 v5, 0
	; wave barrier
	s_delay_alu instid0(VALU_DEP_1)
	v_add_nc_u64_e32 v[0:1], v[0:1], v[4:5]
	s_and_saveexec_b32 s3, vcc_lo
	s_cbranch_execnz .LBB513_109
; %bb.102:
	s_or_b32 exec_lo, exec_lo, s3
	s_and_saveexec_b32 s3, s0
	s_cbranch_execnz .LBB513_110
.LBB513_103:
	s_or_b32 exec_lo, exec_lo, s3
	s_and_saveexec_b32 s0, s1
	s_cbranch_execnz .LBB513_111
.LBB513_104:
	s_or_b32 exec_lo, exec_lo, s0
	s_and_saveexec_b32 s0, s2
	s_cbranch_execnz .LBB513_112
.LBB513_105:
	s_or_b32 exec_lo, exec_lo, s0
	s_wait_dscnt 0x0
	s_set_pc_i64 s[30:31]
.LBB513_106:
	flat_store_b32 v[0:1], v38
	s_wait_xcnt 0x0
	s_or_b32 exec_lo, exec_lo, s3
	s_and_saveexec_b32 s3, s0
	s_cbranch_execz .LBB513_98
.LBB513_107:
	flat_store_b32 v[0:1], v33 offset:4
	s_wait_xcnt 0x0
	s_or_b32 exec_lo, exec_lo, s3
	s_and_saveexec_b32 s3, s1
	s_cbranch_execz .LBB513_99
.LBB513_108:
	flat_store_b32 v[0:1], v32 offset:8
	s_wait_xcnt 0x0
	s_or_b32 exec_lo, exec_lo, s3
	s_and_saveexec_b32 s3, s2
	s_cbranch_execnz .LBB513_100
	s_branch .LBB513_101
.LBB513_109:
	flat_store_b64 v[0:1], v[14:15]
	s_wait_xcnt 0x0
	s_or_b32 exec_lo, exec_lo, s3
	s_and_saveexec_b32 s3, s0
	s_cbranch_execz .LBB513_103
.LBB513_110:
	flat_store_b64 v[0:1], v[22:23] offset:8
	s_wait_xcnt 0x0
	s_or_b32 exec_lo, exec_lo, s3
	s_and_saveexec_b32 s0, s1
	s_cbranch_execz .LBB513_104
.LBB513_111:
	flat_store_b64 v[0:1], v[16:17] offset:16
	s_wait_xcnt 0x0
	s_or_b32 exec_lo, exec_lo, s0
	s_and_saveexec_b32 s0, s2
	s_cbranch_execz .LBB513_105
.LBB513_112:
	flat_store_b64 v[0:1], v[20:21] offset:24
	s_wait_xcnt 0x0
	s_or_b32 exec_lo, exec_lo, s0
	s_wait_dscnt 0x0
	s_set_pc_i64 s[30:31]
.Lfunc_end513:
	.size	_ZN7rocprim17ROCPRIM_400000_NS6detail26segmented_warp_sort_helperINS1_20WarpSortHelperConfigILj8ELj4ELj256EEEilLi256ELb1EvE4sortIPKiPiPKlPlEEvT_T0_T1_T2_jjjjRNS5_12storage_typeE, .Lfunc_end513-_ZN7rocprim17ROCPRIM_400000_NS6detail26segmented_warp_sort_helperINS1_20WarpSortHelperConfigILj8ELj4ELj256EEEilLi256ELb1EvE4sortIPKiPiPKlPlEEvT_T0_T1_T2_jjjjRNS5_12storage_typeE
                                        ; -- End function
	.set .L_ZN7rocprim17ROCPRIM_400000_NS6detail26segmented_warp_sort_helperINS1_20WarpSortHelperConfigILj8ELj4ELj256EEEilLi256ELb1EvE4sortIPKiPiPKlPlEEvT_T0_T1_T2_jjjjRNS5_12storage_typeE.num_vgpr, 54
	.set .L_ZN7rocprim17ROCPRIM_400000_NS6detail26segmented_warp_sort_helperINS1_20WarpSortHelperConfigILj8ELj4ELj256EEEilLi256ELb1EvE4sortIPKiPiPKlPlEEvT_T0_T1_T2_jjjjRNS5_12storage_typeE.num_agpr, 0
	.set .L_ZN7rocprim17ROCPRIM_400000_NS6detail26segmented_warp_sort_helperINS1_20WarpSortHelperConfigILj8ELj4ELj256EEEilLi256ELb1EvE4sortIPKiPiPKlPlEEvT_T0_T1_T2_jjjjRNS5_12storage_typeE.numbered_sgpr, 32
	.set .L_ZN7rocprim17ROCPRIM_400000_NS6detail26segmented_warp_sort_helperINS1_20WarpSortHelperConfigILj8ELj4ELj256EEEilLi256ELb1EvE4sortIPKiPiPKlPlEEvT_T0_T1_T2_jjjjRNS5_12storage_typeE.num_named_barrier, 0
	.set .L_ZN7rocprim17ROCPRIM_400000_NS6detail26segmented_warp_sort_helperINS1_20WarpSortHelperConfigILj8ELj4ELj256EEEilLi256ELb1EvE4sortIPKiPiPKlPlEEvT_T0_T1_T2_jjjjRNS5_12storage_typeE.private_seg_size, 0
	.set .L_ZN7rocprim17ROCPRIM_400000_NS6detail26segmented_warp_sort_helperINS1_20WarpSortHelperConfigILj8ELj4ELj256EEEilLi256ELb1EvE4sortIPKiPiPKlPlEEvT_T0_T1_T2_jjjjRNS5_12storage_typeE.uses_vcc, 1
	.set .L_ZN7rocprim17ROCPRIM_400000_NS6detail26segmented_warp_sort_helperINS1_20WarpSortHelperConfigILj8ELj4ELj256EEEilLi256ELb1EvE4sortIPKiPiPKlPlEEvT_T0_T1_T2_jjjjRNS5_12storage_typeE.uses_flat_scratch, 0
	.set .L_ZN7rocprim17ROCPRIM_400000_NS6detail26segmented_warp_sort_helperINS1_20WarpSortHelperConfigILj8ELj4ELj256EEEilLi256ELb1EvE4sortIPKiPiPKlPlEEvT_T0_T1_T2_jjjjRNS5_12storage_typeE.has_dyn_sized_stack, 0
	.set .L_ZN7rocprim17ROCPRIM_400000_NS6detail26segmented_warp_sort_helperINS1_20WarpSortHelperConfigILj8ELj4ELj256EEEilLi256ELb1EvE4sortIPKiPiPKlPlEEvT_T0_T1_T2_jjjjRNS5_12storage_typeE.has_recursion, 0
	.set .L_ZN7rocprim17ROCPRIM_400000_NS6detail26segmented_warp_sort_helperINS1_20WarpSortHelperConfigILj8ELj4ELj256EEEilLi256ELb1EvE4sortIPKiPiPKlPlEEvT_T0_T1_T2_jjjjRNS5_12storage_typeE.has_indirect_call, 0
	.section	.AMDGPU.csdata,"",@progbits
; Function info:
; codeLenInByte = 8032
; TotalNumSgprs: 34
; NumVgprs: 54
; ScratchSize: 0
; MemoryBound: 1
	.section	.text._ZN7rocprim17ROCPRIM_400000_NS6detail17trampoline_kernelINS0_14default_configENS1_36segmented_radix_sort_config_selectorIilEEZNS1_25segmented_radix_sort_implIS3_Lb1EPKiPiPKlPlN2at6native12_GLOBAL__N_18offset_tEEE10hipError_tPvRmT1_PNSt15iterator_traitsISK_E10value_typeET2_T3_PNSL_ISQ_E10value_typeET4_jRbjT5_SW_jjP12ihipStream_tbEUlT_E1_NS1_11comp_targetILNS1_3genE0ELNS1_11target_archE4294967295ELNS1_3gpuE0ELNS1_3repE0EEENS1_59segmented_radix_sort_warp_sort_small_config_static_selectorELNS0_4arch9wavefront6targetE0EEEvSK_,"axG",@progbits,_ZN7rocprim17ROCPRIM_400000_NS6detail17trampoline_kernelINS0_14default_configENS1_36segmented_radix_sort_config_selectorIilEEZNS1_25segmented_radix_sort_implIS3_Lb1EPKiPiPKlPlN2at6native12_GLOBAL__N_18offset_tEEE10hipError_tPvRmT1_PNSt15iterator_traitsISK_E10value_typeET2_T3_PNSL_ISQ_E10value_typeET4_jRbjT5_SW_jjP12ihipStream_tbEUlT_E1_NS1_11comp_targetILNS1_3genE0ELNS1_11target_archE4294967295ELNS1_3gpuE0ELNS1_3repE0EEENS1_59segmented_radix_sort_warp_sort_small_config_static_selectorELNS0_4arch9wavefront6targetE0EEEvSK_,comdat
	.globl	_ZN7rocprim17ROCPRIM_400000_NS6detail17trampoline_kernelINS0_14default_configENS1_36segmented_radix_sort_config_selectorIilEEZNS1_25segmented_radix_sort_implIS3_Lb1EPKiPiPKlPlN2at6native12_GLOBAL__N_18offset_tEEE10hipError_tPvRmT1_PNSt15iterator_traitsISK_E10value_typeET2_T3_PNSL_ISQ_E10value_typeET4_jRbjT5_SW_jjP12ihipStream_tbEUlT_E1_NS1_11comp_targetILNS1_3genE0ELNS1_11target_archE4294967295ELNS1_3gpuE0ELNS1_3repE0EEENS1_59segmented_radix_sort_warp_sort_small_config_static_selectorELNS0_4arch9wavefront6targetE0EEEvSK_ ; -- Begin function _ZN7rocprim17ROCPRIM_400000_NS6detail17trampoline_kernelINS0_14default_configENS1_36segmented_radix_sort_config_selectorIilEEZNS1_25segmented_radix_sort_implIS3_Lb1EPKiPiPKlPlN2at6native12_GLOBAL__N_18offset_tEEE10hipError_tPvRmT1_PNSt15iterator_traitsISK_E10value_typeET2_T3_PNSL_ISQ_E10value_typeET4_jRbjT5_SW_jjP12ihipStream_tbEUlT_E1_NS1_11comp_targetILNS1_3genE0ELNS1_11target_archE4294967295ELNS1_3gpuE0ELNS1_3repE0EEENS1_59segmented_radix_sort_warp_sort_small_config_static_selectorELNS0_4arch9wavefront6targetE0EEEvSK_
	.p2align	8
	.type	_ZN7rocprim17ROCPRIM_400000_NS6detail17trampoline_kernelINS0_14default_configENS1_36segmented_radix_sort_config_selectorIilEEZNS1_25segmented_radix_sort_implIS3_Lb1EPKiPiPKlPlN2at6native12_GLOBAL__N_18offset_tEEE10hipError_tPvRmT1_PNSt15iterator_traitsISK_E10value_typeET2_T3_PNSL_ISQ_E10value_typeET4_jRbjT5_SW_jjP12ihipStream_tbEUlT_E1_NS1_11comp_targetILNS1_3genE0ELNS1_11target_archE4294967295ELNS1_3gpuE0ELNS1_3repE0EEENS1_59segmented_radix_sort_warp_sort_small_config_static_selectorELNS0_4arch9wavefront6targetE0EEEvSK_,@function
_ZN7rocprim17ROCPRIM_400000_NS6detail17trampoline_kernelINS0_14default_configENS1_36segmented_radix_sort_config_selectorIilEEZNS1_25segmented_radix_sort_implIS3_Lb1EPKiPiPKlPlN2at6native12_GLOBAL__N_18offset_tEEE10hipError_tPvRmT1_PNSt15iterator_traitsISK_E10value_typeET2_T3_PNSL_ISQ_E10value_typeET4_jRbjT5_SW_jjP12ihipStream_tbEUlT_E1_NS1_11comp_targetILNS1_3genE0ELNS1_11target_archE4294967295ELNS1_3gpuE0ELNS1_3repE0EEENS1_59segmented_radix_sort_warp_sort_small_config_static_selectorELNS0_4arch9wavefront6targetE0EEEvSK_: ; @_ZN7rocprim17ROCPRIM_400000_NS6detail17trampoline_kernelINS0_14default_configENS1_36segmented_radix_sort_config_selectorIilEEZNS1_25segmented_radix_sort_implIS3_Lb1EPKiPiPKlPlN2at6native12_GLOBAL__N_18offset_tEEE10hipError_tPvRmT1_PNSt15iterator_traitsISK_E10value_typeET2_T3_PNSL_ISQ_E10value_typeET4_jRbjT5_SW_jjP12ihipStream_tbEUlT_E1_NS1_11comp_targetILNS1_3genE0ELNS1_11target_archE4294967295ELNS1_3gpuE0ELNS1_3repE0EEENS1_59segmented_radix_sort_warp_sort_small_config_static_selectorELNS0_4arch9wavefront6targetE0EEEvSK_
; %bb.0:
	s_load_b32 s4, s[2:3], 0x64
	v_bfe_u32 v1, v0, 10, 10
	v_bfe_u32 v2, v0, 20, 10
	v_and_b32_e32 v3, 0x3ff, v0
	s_and_b32 s6, ttmp6, 15
	s_getreg_b32 s7, hwreg(HW_REG_IB_STS2, 6, 4)
	s_mov_b32 s32, 0
	s_wait_kmcnt 0x0
	s_lshr_b32 s5, s4, 16
	s_and_b32 s4, s4, 0xffff
	v_mad_u32_u24 v1, v2, s5, v1
	s_bfe_u32 s5, ttmp6, 0x4000c
	s_delay_alu instid0(SALU_CYCLE_1) | instskip(NEXT) | instid1(SALU_CYCLE_1)
	s_add_co_i32 s5, s5, 1
	s_mul_i32 s5, ttmp9, s5
	s_delay_alu instid0(VALU_DEP_1) | instskip(SKIP_4) | instid1(VALU_DEP_1)
	v_mad_u32 v1, v1, s4, v3
	s_load_b32 s4, s[2:3], 0x34
	s_add_co_i32 s6, s6, s5
	s_cmp_eq_u32 s7, 0
	s_cselect_b32 s5, ttmp9, s6
	v_lshrrev_b32_e32 v1, 3, v1
	s_delay_alu instid0(VALU_DEP_1) | instskip(SKIP_1) | instid1(VALU_DEP_1)
	v_lshl_add_u32 v2, s5, 5, v1
	s_wait_kmcnt 0x0
	v_cmp_gt_u32_e32 vcc_lo, s4, v2
	s_and_saveexec_b32 s4, vcc_lo
	s_cbranch_execz .LBB514_6
; %bb.1:
	s_clause 0x1
	s_load_b64 s[8:9], s[2:3], 0x38
	s_load_b128 s[4:7], s[2:3], 0x40
	v_mov_b32_e32 v3, 0
	s_delay_alu instid0(VALU_DEP_1) | instskip(SKIP_1) | instid1(VALU_DEP_1)
	v_lshlrev_b64_e32 v[2:3], 2, v[2:3]
	s_wait_kmcnt 0x0
	v_sub_nc_u64_e32 v[2:3], s[8:9], v[2:3]
	global_load_b32 v1, v[2:3], off offset:-4
	s_wait_loadcnt 0x0
	v_dual_add_nc_u32 v2, s5, v1 :: v_dual_add_nc_u32 v1, s7, v1
	s_delay_alu instid0(VALU_DEP_1) | instskip(NEXT) | instid1(VALU_DEP_2)
	v_mul_lo_u32 v8, v2, s4
	v_mul_lo_u32 v40, v1, s6
	s_delay_alu instid0(VALU_DEP_1)
	v_cmp_gt_u32_e32 vcc_lo, v40, v8
	s_and_b32 exec_lo, exec_lo, vcc_lo
	s_cbranch_execz .LBB514_6
; %bb.2:
	s_clause 0x3
	s_load_b32 s4, s[2:3], 0x30
	s_load_b128 s[36:39], s[2:3], 0x20
	s_load_b256 s[20:27], s[2:3], 0x0
	s_load_b64 s[18:19], s[2:3], 0x50
	s_add_nc_u64 s[16:17], s[2:3], 0x58
	s_get_pc_i64 s[28:29]
	s_add_nc_u64 s[28:29], s[28:29], _ZN7rocprim17ROCPRIM_400000_NS6detail26segmented_warp_sort_helperINS1_20WarpSortHelperConfigILj8ELj4ELj256EEEilLi256ELb1EvE4sortIPKiPiPKlPlEEvT_T0_T1_T2_jjjjRNS5_12storage_typeE@rel64+4
	s_wait_kmcnt 0x0
	s_bitcmp0_b32 s4, 0
	s_mov_b32 s4, -1
	s_cbranch_scc0 .LBB514_4
; %bb.3:
	s_mov_b64 s[2:3], src_shared_base
	v_dual_mov_b32 v31, v0 :: v_dual_mov_b32 v41, v0
	v_dual_mov_b32 v0, s20 :: v_dual_mov_b32 v1, s21
	;; [unrolled: 1-line block ×7, first 2 shown]
	v_mov_b32_e32 v13, s3
	s_mov_b64 s[6:7], s[0:1]
	s_mov_b64 s[8:9], s[16:17]
	;; [unrolled: 1-line block ×3, first 2 shown]
	s_swap_pc_i64 s[30:31], s[28:29]
	v_mov_b32_e32 v0, v41
	s_mov_b64 s[0:1], s[22:23]
	s_mov_b32 s4, 0
.LBB514_4:
	s_delay_alu instid0(SALU_CYCLE_1)
	s_and_not1_b32 vcc_lo, exec_lo, s4
	s_cbranch_vccnz .LBB514_6
; %bb.5:
	s_mov_b64 s[2:3], src_shared_base
	v_dual_mov_b32 v31, v0 :: v_dual_mov_b32 v0, s20
	v_dual_mov_b32 v1, s21 :: v_dual_mov_b32 v2, s24
	;; [unrolled: 1-line block ×7, first 2 shown]
	s_mov_b64 s[6:7], s[0:1]
	s_mov_b64 s[8:9], s[16:17]
	s_swap_pc_i64 s[30:31], s[28:29]
.LBB514_6:
	s_endpgm
	.section	.rodata,"a",@progbits
	.p2align	6, 0x0
	.amdhsa_kernel _ZN7rocprim17ROCPRIM_400000_NS6detail17trampoline_kernelINS0_14default_configENS1_36segmented_radix_sort_config_selectorIilEEZNS1_25segmented_radix_sort_implIS3_Lb1EPKiPiPKlPlN2at6native12_GLOBAL__N_18offset_tEEE10hipError_tPvRmT1_PNSt15iterator_traitsISK_E10value_typeET2_T3_PNSL_ISQ_E10value_typeET4_jRbjT5_SW_jjP12ihipStream_tbEUlT_E1_NS1_11comp_targetILNS1_3genE0ELNS1_11target_archE4294967295ELNS1_3gpuE0ELNS1_3repE0EEENS1_59segmented_radix_sort_warp_sort_small_config_static_selectorELNS0_4arch9wavefront6targetE0EEEvSK_
		.amdhsa_group_segment_fixed_size 12288
		.amdhsa_private_segment_fixed_size 0
		.amdhsa_kernarg_size 344
		.amdhsa_user_sgpr_count 4
		.amdhsa_user_sgpr_dispatch_ptr 0
		.amdhsa_user_sgpr_queue_ptr 1
		.amdhsa_user_sgpr_kernarg_segment_ptr 1
		.amdhsa_user_sgpr_dispatch_id 0
		.amdhsa_user_sgpr_kernarg_preload_length 0
		.amdhsa_user_sgpr_kernarg_preload_offset 0
		.amdhsa_user_sgpr_private_segment_size 0
		.amdhsa_wavefront_size32 1
		.amdhsa_uses_dynamic_stack 0
		.amdhsa_enable_private_segment 0
		.amdhsa_system_sgpr_workgroup_id_x 1
		.amdhsa_system_sgpr_workgroup_id_y 1
		.amdhsa_system_sgpr_workgroup_id_z 0
		.amdhsa_system_sgpr_workgroup_info 0
		.amdhsa_system_vgpr_workitem_id 2
		.amdhsa_next_free_vgpr 54
		.amdhsa_next_free_sgpr 40
		.amdhsa_named_barrier_count 0
		.amdhsa_reserve_vcc 1
		.amdhsa_float_round_mode_32 0
		.amdhsa_float_round_mode_16_64 0
		.amdhsa_float_denorm_mode_32 3
		.amdhsa_float_denorm_mode_16_64 3
		.amdhsa_fp16_overflow 0
		.amdhsa_memory_ordered 1
		.amdhsa_forward_progress 1
		.amdhsa_inst_pref_size 5
		.amdhsa_round_robin_scheduling 0
		.amdhsa_exception_fp_ieee_invalid_op 0
		.amdhsa_exception_fp_denorm_src 0
		.amdhsa_exception_fp_ieee_div_zero 0
		.amdhsa_exception_fp_ieee_overflow 0
		.amdhsa_exception_fp_ieee_underflow 0
		.amdhsa_exception_fp_ieee_inexact 0
		.amdhsa_exception_int_div_zero 0
	.end_amdhsa_kernel
	.section	.text._ZN7rocprim17ROCPRIM_400000_NS6detail17trampoline_kernelINS0_14default_configENS1_36segmented_radix_sort_config_selectorIilEEZNS1_25segmented_radix_sort_implIS3_Lb1EPKiPiPKlPlN2at6native12_GLOBAL__N_18offset_tEEE10hipError_tPvRmT1_PNSt15iterator_traitsISK_E10value_typeET2_T3_PNSL_ISQ_E10value_typeET4_jRbjT5_SW_jjP12ihipStream_tbEUlT_E1_NS1_11comp_targetILNS1_3genE0ELNS1_11target_archE4294967295ELNS1_3gpuE0ELNS1_3repE0EEENS1_59segmented_radix_sort_warp_sort_small_config_static_selectorELNS0_4arch9wavefront6targetE0EEEvSK_,"axG",@progbits,_ZN7rocprim17ROCPRIM_400000_NS6detail17trampoline_kernelINS0_14default_configENS1_36segmented_radix_sort_config_selectorIilEEZNS1_25segmented_radix_sort_implIS3_Lb1EPKiPiPKlPlN2at6native12_GLOBAL__N_18offset_tEEE10hipError_tPvRmT1_PNSt15iterator_traitsISK_E10value_typeET2_T3_PNSL_ISQ_E10value_typeET4_jRbjT5_SW_jjP12ihipStream_tbEUlT_E1_NS1_11comp_targetILNS1_3genE0ELNS1_11target_archE4294967295ELNS1_3gpuE0ELNS1_3repE0EEENS1_59segmented_radix_sort_warp_sort_small_config_static_selectorELNS0_4arch9wavefront6targetE0EEEvSK_,comdat
.Lfunc_end514:
	.size	_ZN7rocprim17ROCPRIM_400000_NS6detail17trampoline_kernelINS0_14default_configENS1_36segmented_radix_sort_config_selectorIilEEZNS1_25segmented_radix_sort_implIS3_Lb1EPKiPiPKlPlN2at6native12_GLOBAL__N_18offset_tEEE10hipError_tPvRmT1_PNSt15iterator_traitsISK_E10value_typeET2_T3_PNSL_ISQ_E10value_typeET4_jRbjT5_SW_jjP12ihipStream_tbEUlT_E1_NS1_11comp_targetILNS1_3genE0ELNS1_11target_archE4294967295ELNS1_3gpuE0ELNS1_3repE0EEENS1_59segmented_radix_sort_warp_sort_small_config_static_selectorELNS0_4arch9wavefront6targetE0EEEvSK_, .Lfunc_end514-_ZN7rocprim17ROCPRIM_400000_NS6detail17trampoline_kernelINS0_14default_configENS1_36segmented_radix_sort_config_selectorIilEEZNS1_25segmented_radix_sort_implIS3_Lb1EPKiPiPKlPlN2at6native12_GLOBAL__N_18offset_tEEE10hipError_tPvRmT1_PNSt15iterator_traitsISK_E10value_typeET2_T3_PNSL_ISQ_E10value_typeET4_jRbjT5_SW_jjP12ihipStream_tbEUlT_E1_NS1_11comp_targetILNS1_3genE0ELNS1_11target_archE4294967295ELNS1_3gpuE0ELNS1_3repE0EEENS1_59segmented_radix_sort_warp_sort_small_config_static_selectorELNS0_4arch9wavefront6targetE0EEEvSK_
                                        ; -- End function
	.set _ZN7rocprim17ROCPRIM_400000_NS6detail17trampoline_kernelINS0_14default_configENS1_36segmented_radix_sort_config_selectorIilEEZNS1_25segmented_radix_sort_implIS3_Lb1EPKiPiPKlPlN2at6native12_GLOBAL__N_18offset_tEEE10hipError_tPvRmT1_PNSt15iterator_traitsISK_E10value_typeET2_T3_PNSL_ISQ_E10value_typeET4_jRbjT5_SW_jjP12ihipStream_tbEUlT_E1_NS1_11comp_targetILNS1_3genE0ELNS1_11target_archE4294967295ELNS1_3gpuE0ELNS1_3repE0EEENS1_59segmented_radix_sort_warp_sort_small_config_static_selectorELNS0_4arch9wavefront6targetE0EEEvSK_.num_vgpr, max(42, .L_ZN7rocprim17ROCPRIM_400000_NS6detail26segmented_warp_sort_helperINS1_20WarpSortHelperConfigILj8ELj4ELj256EEEilLi256ELb1EvE4sortIPKiPiPKlPlEEvT_T0_T1_T2_jjjjRNS5_12storage_typeE.num_vgpr)
	.set _ZN7rocprim17ROCPRIM_400000_NS6detail17trampoline_kernelINS0_14default_configENS1_36segmented_radix_sort_config_selectorIilEEZNS1_25segmented_radix_sort_implIS3_Lb1EPKiPiPKlPlN2at6native12_GLOBAL__N_18offset_tEEE10hipError_tPvRmT1_PNSt15iterator_traitsISK_E10value_typeET2_T3_PNSL_ISQ_E10value_typeET4_jRbjT5_SW_jjP12ihipStream_tbEUlT_E1_NS1_11comp_targetILNS1_3genE0ELNS1_11target_archE4294967295ELNS1_3gpuE0ELNS1_3repE0EEENS1_59segmented_radix_sort_warp_sort_small_config_static_selectorELNS0_4arch9wavefront6targetE0EEEvSK_.num_agpr, max(0, .L_ZN7rocprim17ROCPRIM_400000_NS6detail26segmented_warp_sort_helperINS1_20WarpSortHelperConfigILj8ELj4ELj256EEEilLi256ELb1EvE4sortIPKiPiPKlPlEEvT_T0_T1_T2_jjjjRNS5_12storage_typeE.num_agpr)
	.set _ZN7rocprim17ROCPRIM_400000_NS6detail17trampoline_kernelINS0_14default_configENS1_36segmented_radix_sort_config_selectorIilEEZNS1_25segmented_radix_sort_implIS3_Lb1EPKiPiPKlPlN2at6native12_GLOBAL__N_18offset_tEEE10hipError_tPvRmT1_PNSt15iterator_traitsISK_E10value_typeET2_T3_PNSL_ISQ_E10value_typeET4_jRbjT5_SW_jjP12ihipStream_tbEUlT_E1_NS1_11comp_targetILNS1_3genE0ELNS1_11target_archE4294967295ELNS1_3gpuE0ELNS1_3repE0EEENS1_59segmented_radix_sort_warp_sort_small_config_static_selectorELNS0_4arch9wavefront6targetE0EEEvSK_.numbered_sgpr, max(40, .L_ZN7rocprim17ROCPRIM_400000_NS6detail26segmented_warp_sort_helperINS1_20WarpSortHelperConfigILj8ELj4ELj256EEEilLi256ELb1EvE4sortIPKiPiPKlPlEEvT_T0_T1_T2_jjjjRNS5_12storage_typeE.numbered_sgpr)
	.set _ZN7rocprim17ROCPRIM_400000_NS6detail17trampoline_kernelINS0_14default_configENS1_36segmented_radix_sort_config_selectorIilEEZNS1_25segmented_radix_sort_implIS3_Lb1EPKiPiPKlPlN2at6native12_GLOBAL__N_18offset_tEEE10hipError_tPvRmT1_PNSt15iterator_traitsISK_E10value_typeET2_T3_PNSL_ISQ_E10value_typeET4_jRbjT5_SW_jjP12ihipStream_tbEUlT_E1_NS1_11comp_targetILNS1_3genE0ELNS1_11target_archE4294967295ELNS1_3gpuE0ELNS1_3repE0EEENS1_59segmented_radix_sort_warp_sort_small_config_static_selectorELNS0_4arch9wavefront6targetE0EEEvSK_.num_named_barrier, max(0, .L_ZN7rocprim17ROCPRIM_400000_NS6detail26segmented_warp_sort_helperINS1_20WarpSortHelperConfigILj8ELj4ELj256EEEilLi256ELb1EvE4sortIPKiPiPKlPlEEvT_T0_T1_T2_jjjjRNS5_12storage_typeE.num_named_barrier)
	.set _ZN7rocprim17ROCPRIM_400000_NS6detail17trampoline_kernelINS0_14default_configENS1_36segmented_radix_sort_config_selectorIilEEZNS1_25segmented_radix_sort_implIS3_Lb1EPKiPiPKlPlN2at6native12_GLOBAL__N_18offset_tEEE10hipError_tPvRmT1_PNSt15iterator_traitsISK_E10value_typeET2_T3_PNSL_ISQ_E10value_typeET4_jRbjT5_SW_jjP12ihipStream_tbEUlT_E1_NS1_11comp_targetILNS1_3genE0ELNS1_11target_archE4294967295ELNS1_3gpuE0ELNS1_3repE0EEENS1_59segmented_radix_sort_warp_sort_small_config_static_selectorELNS0_4arch9wavefront6targetE0EEEvSK_.private_seg_size, 0+max(.L_ZN7rocprim17ROCPRIM_400000_NS6detail26segmented_warp_sort_helperINS1_20WarpSortHelperConfigILj8ELj4ELj256EEEilLi256ELb1EvE4sortIPKiPiPKlPlEEvT_T0_T1_T2_jjjjRNS5_12storage_typeE.private_seg_size)
	.set _ZN7rocprim17ROCPRIM_400000_NS6detail17trampoline_kernelINS0_14default_configENS1_36segmented_radix_sort_config_selectorIilEEZNS1_25segmented_radix_sort_implIS3_Lb1EPKiPiPKlPlN2at6native12_GLOBAL__N_18offset_tEEE10hipError_tPvRmT1_PNSt15iterator_traitsISK_E10value_typeET2_T3_PNSL_ISQ_E10value_typeET4_jRbjT5_SW_jjP12ihipStream_tbEUlT_E1_NS1_11comp_targetILNS1_3genE0ELNS1_11target_archE4294967295ELNS1_3gpuE0ELNS1_3repE0EEENS1_59segmented_radix_sort_warp_sort_small_config_static_selectorELNS0_4arch9wavefront6targetE0EEEvSK_.uses_vcc, or(1, .L_ZN7rocprim17ROCPRIM_400000_NS6detail26segmented_warp_sort_helperINS1_20WarpSortHelperConfigILj8ELj4ELj256EEEilLi256ELb1EvE4sortIPKiPiPKlPlEEvT_T0_T1_T2_jjjjRNS5_12storage_typeE.uses_vcc)
	.set _ZN7rocprim17ROCPRIM_400000_NS6detail17trampoline_kernelINS0_14default_configENS1_36segmented_radix_sort_config_selectorIilEEZNS1_25segmented_radix_sort_implIS3_Lb1EPKiPiPKlPlN2at6native12_GLOBAL__N_18offset_tEEE10hipError_tPvRmT1_PNSt15iterator_traitsISK_E10value_typeET2_T3_PNSL_ISQ_E10value_typeET4_jRbjT5_SW_jjP12ihipStream_tbEUlT_E1_NS1_11comp_targetILNS1_3genE0ELNS1_11target_archE4294967295ELNS1_3gpuE0ELNS1_3repE0EEENS1_59segmented_radix_sort_warp_sort_small_config_static_selectorELNS0_4arch9wavefront6targetE0EEEvSK_.uses_flat_scratch, or(0, .L_ZN7rocprim17ROCPRIM_400000_NS6detail26segmented_warp_sort_helperINS1_20WarpSortHelperConfigILj8ELj4ELj256EEEilLi256ELb1EvE4sortIPKiPiPKlPlEEvT_T0_T1_T2_jjjjRNS5_12storage_typeE.uses_flat_scratch)
	.set _ZN7rocprim17ROCPRIM_400000_NS6detail17trampoline_kernelINS0_14default_configENS1_36segmented_radix_sort_config_selectorIilEEZNS1_25segmented_radix_sort_implIS3_Lb1EPKiPiPKlPlN2at6native12_GLOBAL__N_18offset_tEEE10hipError_tPvRmT1_PNSt15iterator_traitsISK_E10value_typeET2_T3_PNSL_ISQ_E10value_typeET4_jRbjT5_SW_jjP12ihipStream_tbEUlT_E1_NS1_11comp_targetILNS1_3genE0ELNS1_11target_archE4294967295ELNS1_3gpuE0ELNS1_3repE0EEENS1_59segmented_radix_sort_warp_sort_small_config_static_selectorELNS0_4arch9wavefront6targetE0EEEvSK_.has_dyn_sized_stack, or(0, .L_ZN7rocprim17ROCPRIM_400000_NS6detail26segmented_warp_sort_helperINS1_20WarpSortHelperConfigILj8ELj4ELj256EEEilLi256ELb1EvE4sortIPKiPiPKlPlEEvT_T0_T1_T2_jjjjRNS5_12storage_typeE.has_dyn_sized_stack)
	.set _ZN7rocprim17ROCPRIM_400000_NS6detail17trampoline_kernelINS0_14default_configENS1_36segmented_radix_sort_config_selectorIilEEZNS1_25segmented_radix_sort_implIS3_Lb1EPKiPiPKlPlN2at6native12_GLOBAL__N_18offset_tEEE10hipError_tPvRmT1_PNSt15iterator_traitsISK_E10value_typeET2_T3_PNSL_ISQ_E10value_typeET4_jRbjT5_SW_jjP12ihipStream_tbEUlT_E1_NS1_11comp_targetILNS1_3genE0ELNS1_11target_archE4294967295ELNS1_3gpuE0ELNS1_3repE0EEENS1_59segmented_radix_sort_warp_sort_small_config_static_selectorELNS0_4arch9wavefront6targetE0EEEvSK_.has_recursion, or(0, .L_ZN7rocprim17ROCPRIM_400000_NS6detail26segmented_warp_sort_helperINS1_20WarpSortHelperConfigILj8ELj4ELj256EEEilLi256ELb1EvE4sortIPKiPiPKlPlEEvT_T0_T1_T2_jjjjRNS5_12storage_typeE.has_recursion)
	.set _ZN7rocprim17ROCPRIM_400000_NS6detail17trampoline_kernelINS0_14default_configENS1_36segmented_radix_sort_config_selectorIilEEZNS1_25segmented_radix_sort_implIS3_Lb1EPKiPiPKlPlN2at6native12_GLOBAL__N_18offset_tEEE10hipError_tPvRmT1_PNSt15iterator_traitsISK_E10value_typeET2_T3_PNSL_ISQ_E10value_typeET4_jRbjT5_SW_jjP12ihipStream_tbEUlT_E1_NS1_11comp_targetILNS1_3genE0ELNS1_11target_archE4294967295ELNS1_3gpuE0ELNS1_3repE0EEENS1_59segmented_radix_sort_warp_sort_small_config_static_selectorELNS0_4arch9wavefront6targetE0EEEvSK_.has_indirect_call, or(0, .L_ZN7rocprim17ROCPRIM_400000_NS6detail26segmented_warp_sort_helperINS1_20WarpSortHelperConfigILj8ELj4ELj256EEEilLi256ELb1EvE4sortIPKiPiPKlPlEEvT_T0_T1_T2_jjjjRNS5_12storage_typeE.has_indirect_call)
	.section	.AMDGPU.csdata,"",@progbits
; Kernel info:
; codeLenInByte = 520
; TotalNumSgprs: 42
; NumVgprs: 54
; ScratchSize: 0
; MemoryBound: 0
; FloatMode: 240
; IeeeMode: 1
; LDSByteSize: 12288 bytes/workgroup (compile time only)
; SGPRBlocks: 0
; VGPRBlocks: 3
; NumSGPRsForWavesPerEU: 42
; NumVGPRsForWavesPerEU: 54
; NamedBarCnt: 0
; Occupancy: 16
; WaveLimiterHint : 0
; COMPUTE_PGM_RSRC2:SCRATCH_EN: 0
; COMPUTE_PGM_RSRC2:USER_SGPR: 4
; COMPUTE_PGM_RSRC2:TRAP_HANDLER: 0
; COMPUTE_PGM_RSRC2:TGID_X_EN: 1
; COMPUTE_PGM_RSRC2:TGID_Y_EN: 1
; COMPUTE_PGM_RSRC2:TGID_Z_EN: 0
; COMPUTE_PGM_RSRC2:TIDIG_COMP_CNT: 2
	.section	.text._ZN7rocprim17ROCPRIM_400000_NS6detail17trampoline_kernelINS0_14default_configENS1_36segmented_radix_sort_config_selectorIilEEZNS1_25segmented_radix_sort_implIS3_Lb1EPKiPiPKlPlN2at6native12_GLOBAL__N_18offset_tEEE10hipError_tPvRmT1_PNSt15iterator_traitsISK_E10value_typeET2_T3_PNSL_ISQ_E10value_typeET4_jRbjT5_SW_jjP12ihipStream_tbEUlT_E1_NS1_11comp_targetILNS1_3genE5ELNS1_11target_archE942ELNS1_3gpuE9ELNS1_3repE0EEENS1_59segmented_radix_sort_warp_sort_small_config_static_selectorELNS0_4arch9wavefront6targetE0EEEvSK_,"axG",@progbits,_ZN7rocprim17ROCPRIM_400000_NS6detail17trampoline_kernelINS0_14default_configENS1_36segmented_radix_sort_config_selectorIilEEZNS1_25segmented_radix_sort_implIS3_Lb1EPKiPiPKlPlN2at6native12_GLOBAL__N_18offset_tEEE10hipError_tPvRmT1_PNSt15iterator_traitsISK_E10value_typeET2_T3_PNSL_ISQ_E10value_typeET4_jRbjT5_SW_jjP12ihipStream_tbEUlT_E1_NS1_11comp_targetILNS1_3genE5ELNS1_11target_archE942ELNS1_3gpuE9ELNS1_3repE0EEENS1_59segmented_radix_sort_warp_sort_small_config_static_selectorELNS0_4arch9wavefront6targetE0EEEvSK_,comdat
	.globl	_ZN7rocprim17ROCPRIM_400000_NS6detail17trampoline_kernelINS0_14default_configENS1_36segmented_radix_sort_config_selectorIilEEZNS1_25segmented_radix_sort_implIS3_Lb1EPKiPiPKlPlN2at6native12_GLOBAL__N_18offset_tEEE10hipError_tPvRmT1_PNSt15iterator_traitsISK_E10value_typeET2_T3_PNSL_ISQ_E10value_typeET4_jRbjT5_SW_jjP12ihipStream_tbEUlT_E1_NS1_11comp_targetILNS1_3genE5ELNS1_11target_archE942ELNS1_3gpuE9ELNS1_3repE0EEENS1_59segmented_radix_sort_warp_sort_small_config_static_selectorELNS0_4arch9wavefront6targetE0EEEvSK_ ; -- Begin function _ZN7rocprim17ROCPRIM_400000_NS6detail17trampoline_kernelINS0_14default_configENS1_36segmented_radix_sort_config_selectorIilEEZNS1_25segmented_radix_sort_implIS3_Lb1EPKiPiPKlPlN2at6native12_GLOBAL__N_18offset_tEEE10hipError_tPvRmT1_PNSt15iterator_traitsISK_E10value_typeET2_T3_PNSL_ISQ_E10value_typeET4_jRbjT5_SW_jjP12ihipStream_tbEUlT_E1_NS1_11comp_targetILNS1_3genE5ELNS1_11target_archE942ELNS1_3gpuE9ELNS1_3repE0EEENS1_59segmented_radix_sort_warp_sort_small_config_static_selectorELNS0_4arch9wavefront6targetE0EEEvSK_
	.p2align	8
	.type	_ZN7rocprim17ROCPRIM_400000_NS6detail17trampoline_kernelINS0_14default_configENS1_36segmented_radix_sort_config_selectorIilEEZNS1_25segmented_radix_sort_implIS3_Lb1EPKiPiPKlPlN2at6native12_GLOBAL__N_18offset_tEEE10hipError_tPvRmT1_PNSt15iterator_traitsISK_E10value_typeET2_T3_PNSL_ISQ_E10value_typeET4_jRbjT5_SW_jjP12ihipStream_tbEUlT_E1_NS1_11comp_targetILNS1_3genE5ELNS1_11target_archE942ELNS1_3gpuE9ELNS1_3repE0EEENS1_59segmented_radix_sort_warp_sort_small_config_static_selectorELNS0_4arch9wavefront6targetE0EEEvSK_,@function
_ZN7rocprim17ROCPRIM_400000_NS6detail17trampoline_kernelINS0_14default_configENS1_36segmented_radix_sort_config_selectorIilEEZNS1_25segmented_radix_sort_implIS3_Lb1EPKiPiPKlPlN2at6native12_GLOBAL__N_18offset_tEEE10hipError_tPvRmT1_PNSt15iterator_traitsISK_E10value_typeET2_T3_PNSL_ISQ_E10value_typeET4_jRbjT5_SW_jjP12ihipStream_tbEUlT_E1_NS1_11comp_targetILNS1_3genE5ELNS1_11target_archE942ELNS1_3gpuE9ELNS1_3repE0EEENS1_59segmented_radix_sort_warp_sort_small_config_static_selectorELNS0_4arch9wavefront6targetE0EEEvSK_: ; @_ZN7rocprim17ROCPRIM_400000_NS6detail17trampoline_kernelINS0_14default_configENS1_36segmented_radix_sort_config_selectorIilEEZNS1_25segmented_radix_sort_implIS3_Lb1EPKiPiPKlPlN2at6native12_GLOBAL__N_18offset_tEEE10hipError_tPvRmT1_PNSt15iterator_traitsISK_E10value_typeET2_T3_PNSL_ISQ_E10value_typeET4_jRbjT5_SW_jjP12ihipStream_tbEUlT_E1_NS1_11comp_targetILNS1_3genE5ELNS1_11target_archE942ELNS1_3gpuE9ELNS1_3repE0EEENS1_59segmented_radix_sort_warp_sort_small_config_static_selectorELNS0_4arch9wavefront6targetE0EEEvSK_
; %bb.0:
	.section	.rodata,"a",@progbits
	.p2align	6, 0x0
	.amdhsa_kernel _ZN7rocprim17ROCPRIM_400000_NS6detail17trampoline_kernelINS0_14default_configENS1_36segmented_radix_sort_config_selectorIilEEZNS1_25segmented_radix_sort_implIS3_Lb1EPKiPiPKlPlN2at6native12_GLOBAL__N_18offset_tEEE10hipError_tPvRmT1_PNSt15iterator_traitsISK_E10value_typeET2_T3_PNSL_ISQ_E10value_typeET4_jRbjT5_SW_jjP12ihipStream_tbEUlT_E1_NS1_11comp_targetILNS1_3genE5ELNS1_11target_archE942ELNS1_3gpuE9ELNS1_3repE0EEENS1_59segmented_radix_sort_warp_sort_small_config_static_selectorELNS0_4arch9wavefront6targetE0EEEvSK_
		.amdhsa_group_segment_fixed_size 0
		.amdhsa_private_segment_fixed_size 0
		.amdhsa_kernarg_size 88
		.amdhsa_user_sgpr_count 2
		.amdhsa_user_sgpr_dispatch_ptr 0
		.amdhsa_user_sgpr_queue_ptr 0
		.amdhsa_user_sgpr_kernarg_segment_ptr 1
		.amdhsa_user_sgpr_dispatch_id 0
		.amdhsa_user_sgpr_kernarg_preload_length 0
		.amdhsa_user_sgpr_kernarg_preload_offset 0
		.amdhsa_user_sgpr_private_segment_size 0
		.amdhsa_wavefront_size32 1
		.amdhsa_uses_dynamic_stack 0
		.amdhsa_enable_private_segment 0
		.amdhsa_system_sgpr_workgroup_id_x 1
		.amdhsa_system_sgpr_workgroup_id_y 0
		.amdhsa_system_sgpr_workgroup_id_z 0
		.amdhsa_system_sgpr_workgroup_info 0
		.amdhsa_system_vgpr_workitem_id 0
		.amdhsa_next_free_vgpr 1
		.amdhsa_next_free_sgpr 1
		.amdhsa_named_barrier_count 0
		.amdhsa_reserve_vcc 0
		.amdhsa_float_round_mode_32 0
		.amdhsa_float_round_mode_16_64 0
		.amdhsa_float_denorm_mode_32 3
		.amdhsa_float_denorm_mode_16_64 3
		.amdhsa_fp16_overflow 0
		.amdhsa_memory_ordered 1
		.amdhsa_forward_progress 1
		.amdhsa_inst_pref_size 0
		.amdhsa_round_robin_scheduling 0
		.amdhsa_exception_fp_ieee_invalid_op 0
		.amdhsa_exception_fp_denorm_src 0
		.amdhsa_exception_fp_ieee_div_zero 0
		.amdhsa_exception_fp_ieee_overflow 0
		.amdhsa_exception_fp_ieee_underflow 0
		.amdhsa_exception_fp_ieee_inexact 0
		.amdhsa_exception_int_div_zero 0
	.end_amdhsa_kernel
	.section	.text._ZN7rocprim17ROCPRIM_400000_NS6detail17trampoline_kernelINS0_14default_configENS1_36segmented_radix_sort_config_selectorIilEEZNS1_25segmented_radix_sort_implIS3_Lb1EPKiPiPKlPlN2at6native12_GLOBAL__N_18offset_tEEE10hipError_tPvRmT1_PNSt15iterator_traitsISK_E10value_typeET2_T3_PNSL_ISQ_E10value_typeET4_jRbjT5_SW_jjP12ihipStream_tbEUlT_E1_NS1_11comp_targetILNS1_3genE5ELNS1_11target_archE942ELNS1_3gpuE9ELNS1_3repE0EEENS1_59segmented_radix_sort_warp_sort_small_config_static_selectorELNS0_4arch9wavefront6targetE0EEEvSK_,"axG",@progbits,_ZN7rocprim17ROCPRIM_400000_NS6detail17trampoline_kernelINS0_14default_configENS1_36segmented_radix_sort_config_selectorIilEEZNS1_25segmented_radix_sort_implIS3_Lb1EPKiPiPKlPlN2at6native12_GLOBAL__N_18offset_tEEE10hipError_tPvRmT1_PNSt15iterator_traitsISK_E10value_typeET2_T3_PNSL_ISQ_E10value_typeET4_jRbjT5_SW_jjP12ihipStream_tbEUlT_E1_NS1_11comp_targetILNS1_3genE5ELNS1_11target_archE942ELNS1_3gpuE9ELNS1_3repE0EEENS1_59segmented_radix_sort_warp_sort_small_config_static_selectorELNS0_4arch9wavefront6targetE0EEEvSK_,comdat
.Lfunc_end515:
	.size	_ZN7rocprim17ROCPRIM_400000_NS6detail17trampoline_kernelINS0_14default_configENS1_36segmented_radix_sort_config_selectorIilEEZNS1_25segmented_radix_sort_implIS3_Lb1EPKiPiPKlPlN2at6native12_GLOBAL__N_18offset_tEEE10hipError_tPvRmT1_PNSt15iterator_traitsISK_E10value_typeET2_T3_PNSL_ISQ_E10value_typeET4_jRbjT5_SW_jjP12ihipStream_tbEUlT_E1_NS1_11comp_targetILNS1_3genE5ELNS1_11target_archE942ELNS1_3gpuE9ELNS1_3repE0EEENS1_59segmented_radix_sort_warp_sort_small_config_static_selectorELNS0_4arch9wavefront6targetE0EEEvSK_, .Lfunc_end515-_ZN7rocprim17ROCPRIM_400000_NS6detail17trampoline_kernelINS0_14default_configENS1_36segmented_radix_sort_config_selectorIilEEZNS1_25segmented_radix_sort_implIS3_Lb1EPKiPiPKlPlN2at6native12_GLOBAL__N_18offset_tEEE10hipError_tPvRmT1_PNSt15iterator_traitsISK_E10value_typeET2_T3_PNSL_ISQ_E10value_typeET4_jRbjT5_SW_jjP12ihipStream_tbEUlT_E1_NS1_11comp_targetILNS1_3genE5ELNS1_11target_archE942ELNS1_3gpuE9ELNS1_3repE0EEENS1_59segmented_radix_sort_warp_sort_small_config_static_selectorELNS0_4arch9wavefront6targetE0EEEvSK_
                                        ; -- End function
	.set _ZN7rocprim17ROCPRIM_400000_NS6detail17trampoline_kernelINS0_14default_configENS1_36segmented_radix_sort_config_selectorIilEEZNS1_25segmented_radix_sort_implIS3_Lb1EPKiPiPKlPlN2at6native12_GLOBAL__N_18offset_tEEE10hipError_tPvRmT1_PNSt15iterator_traitsISK_E10value_typeET2_T3_PNSL_ISQ_E10value_typeET4_jRbjT5_SW_jjP12ihipStream_tbEUlT_E1_NS1_11comp_targetILNS1_3genE5ELNS1_11target_archE942ELNS1_3gpuE9ELNS1_3repE0EEENS1_59segmented_radix_sort_warp_sort_small_config_static_selectorELNS0_4arch9wavefront6targetE0EEEvSK_.num_vgpr, 0
	.set _ZN7rocprim17ROCPRIM_400000_NS6detail17trampoline_kernelINS0_14default_configENS1_36segmented_radix_sort_config_selectorIilEEZNS1_25segmented_radix_sort_implIS3_Lb1EPKiPiPKlPlN2at6native12_GLOBAL__N_18offset_tEEE10hipError_tPvRmT1_PNSt15iterator_traitsISK_E10value_typeET2_T3_PNSL_ISQ_E10value_typeET4_jRbjT5_SW_jjP12ihipStream_tbEUlT_E1_NS1_11comp_targetILNS1_3genE5ELNS1_11target_archE942ELNS1_3gpuE9ELNS1_3repE0EEENS1_59segmented_radix_sort_warp_sort_small_config_static_selectorELNS0_4arch9wavefront6targetE0EEEvSK_.num_agpr, 0
	.set _ZN7rocprim17ROCPRIM_400000_NS6detail17trampoline_kernelINS0_14default_configENS1_36segmented_radix_sort_config_selectorIilEEZNS1_25segmented_radix_sort_implIS3_Lb1EPKiPiPKlPlN2at6native12_GLOBAL__N_18offset_tEEE10hipError_tPvRmT1_PNSt15iterator_traitsISK_E10value_typeET2_T3_PNSL_ISQ_E10value_typeET4_jRbjT5_SW_jjP12ihipStream_tbEUlT_E1_NS1_11comp_targetILNS1_3genE5ELNS1_11target_archE942ELNS1_3gpuE9ELNS1_3repE0EEENS1_59segmented_radix_sort_warp_sort_small_config_static_selectorELNS0_4arch9wavefront6targetE0EEEvSK_.numbered_sgpr, 0
	.set _ZN7rocprim17ROCPRIM_400000_NS6detail17trampoline_kernelINS0_14default_configENS1_36segmented_radix_sort_config_selectorIilEEZNS1_25segmented_radix_sort_implIS3_Lb1EPKiPiPKlPlN2at6native12_GLOBAL__N_18offset_tEEE10hipError_tPvRmT1_PNSt15iterator_traitsISK_E10value_typeET2_T3_PNSL_ISQ_E10value_typeET4_jRbjT5_SW_jjP12ihipStream_tbEUlT_E1_NS1_11comp_targetILNS1_3genE5ELNS1_11target_archE942ELNS1_3gpuE9ELNS1_3repE0EEENS1_59segmented_radix_sort_warp_sort_small_config_static_selectorELNS0_4arch9wavefront6targetE0EEEvSK_.num_named_barrier, 0
	.set _ZN7rocprim17ROCPRIM_400000_NS6detail17trampoline_kernelINS0_14default_configENS1_36segmented_radix_sort_config_selectorIilEEZNS1_25segmented_radix_sort_implIS3_Lb1EPKiPiPKlPlN2at6native12_GLOBAL__N_18offset_tEEE10hipError_tPvRmT1_PNSt15iterator_traitsISK_E10value_typeET2_T3_PNSL_ISQ_E10value_typeET4_jRbjT5_SW_jjP12ihipStream_tbEUlT_E1_NS1_11comp_targetILNS1_3genE5ELNS1_11target_archE942ELNS1_3gpuE9ELNS1_3repE0EEENS1_59segmented_radix_sort_warp_sort_small_config_static_selectorELNS0_4arch9wavefront6targetE0EEEvSK_.private_seg_size, 0
	.set _ZN7rocprim17ROCPRIM_400000_NS6detail17trampoline_kernelINS0_14default_configENS1_36segmented_radix_sort_config_selectorIilEEZNS1_25segmented_radix_sort_implIS3_Lb1EPKiPiPKlPlN2at6native12_GLOBAL__N_18offset_tEEE10hipError_tPvRmT1_PNSt15iterator_traitsISK_E10value_typeET2_T3_PNSL_ISQ_E10value_typeET4_jRbjT5_SW_jjP12ihipStream_tbEUlT_E1_NS1_11comp_targetILNS1_3genE5ELNS1_11target_archE942ELNS1_3gpuE9ELNS1_3repE0EEENS1_59segmented_radix_sort_warp_sort_small_config_static_selectorELNS0_4arch9wavefront6targetE0EEEvSK_.uses_vcc, 0
	.set _ZN7rocprim17ROCPRIM_400000_NS6detail17trampoline_kernelINS0_14default_configENS1_36segmented_radix_sort_config_selectorIilEEZNS1_25segmented_radix_sort_implIS3_Lb1EPKiPiPKlPlN2at6native12_GLOBAL__N_18offset_tEEE10hipError_tPvRmT1_PNSt15iterator_traitsISK_E10value_typeET2_T3_PNSL_ISQ_E10value_typeET4_jRbjT5_SW_jjP12ihipStream_tbEUlT_E1_NS1_11comp_targetILNS1_3genE5ELNS1_11target_archE942ELNS1_3gpuE9ELNS1_3repE0EEENS1_59segmented_radix_sort_warp_sort_small_config_static_selectorELNS0_4arch9wavefront6targetE0EEEvSK_.uses_flat_scratch, 0
	.set _ZN7rocprim17ROCPRIM_400000_NS6detail17trampoline_kernelINS0_14default_configENS1_36segmented_radix_sort_config_selectorIilEEZNS1_25segmented_radix_sort_implIS3_Lb1EPKiPiPKlPlN2at6native12_GLOBAL__N_18offset_tEEE10hipError_tPvRmT1_PNSt15iterator_traitsISK_E10value_typeET2_T3_PNSL_ISQ_E10value_typeET4_jRbjT5_SW_jjP12ihipStream_tbEUlT_E1_NS1_11comp_targetILNS1_3genE5ELNS1_11target_archE942ELNS1_3gpuE9ELNS1_3repE0EEENS1_59segmented_radix_sort_warp_sort_small_config_static_selectorELNS0_4arch9wavefront6targetE0EEEvSK_.has_dyn_sized_stack, 0
	.set _ZN7rocprim17ROCPRIM_400000_NS6detail17trampoline_kernelINS0_14default_configENS1_36segmented_radix_sort_config_selectorIilEEZNS1_25segmented_radix_sort_implIS3_Lb1EPKiPiPKlPlN2at6native12_GLOBAL__N_18offset_tEEE10hipError_tPvRmT1_PNSt15iterator_traitsISK_E10value_typeET2_T3_PNSL_ISQ_E10value_typeET4_jRbjT5_SW_jjP12ihipStream_tbEUlT_E1_NS1_11comp_targetILNS1_3genE5ELNS1_11target_archE942ELNS1_3gpuE9ELNS1_3repE0EEENS1_59segmented_radix_sort_warp_sort_small_config_static_selectorELNS0_4arch9wavefront6targetE0EEEvSK_.has_recursion, 0
	.set _ZN7rocprim17ROCPRIM_400000_NS6detail17trampoline_kernelINS0_14default_configENS1_36segmented_radix_sort_config_selectorIilEEZNS1_25segmented_radix_sort_implIS3_Lb1EPKiPiPKlPlN2at6native12_GLOBAL__N_18offset_tEEE10hipError_tPvRmT1_PNSt15iterator_traitsISK_E10value_typeET2_T3_PNSL_ISQ_E10value_typeET4_jRbjT5_SW_jjP12ihipStream_tbEUlT_E1_NS1_11comp_targetILNS1_3genE5ELNS1_11target_archE942ELNS1_3gpuE9ELNS1_3repE0EEENS1_59segmented_radix_sort_warp_sort_small_config_static_selectorELNS0_4arch9wavefront6targetE0EEEvSK_.has_indirect_call, 0
	.section	.AMDGPU.csdata,"",@progbits
; Kernel info:
; codeLenInByte = 0
; TotalNumSgprs: 0
; NumVgprs: 0
; ScratchSize: 0
; MemoryBound: 0
; FloatMode: 240
; IeeeMode: 1
; LDSByteSize: 0 bytes/workgroup (compile time only)
; SGPRBlocks: 0
; VGPRBlocks: 0
; NumSGPRsForWavesPerEU: 1
; NumVGPRsForWavesPerEU: 1
; NamedBarCnt: 0
; Occupancy: 16
; WaveLimiterHint : 0
; COMPUTE_PGM_RSRC2:SCRATCH_EN: 0
; COMPUTE_PGM_RSRC2:USER_SGPR: 2
; COMPUTE_PGM_RSRC2:TRAP_HANDLER: 0
; COMPUTE_PGM_RSRC2:TGID_X_EN: 1
; COMPUTE_PGM_RSRC2:TGID_Y_EN: 0
; COMPUTE_PGM_RSRC2:TGID_Z_EN: 0
; COMPUTE_PGM_RSRC2:TIDIG_COMP_CNT: 0
	.section	.text._ZN7rocprim17ROCPRIM_400000_NS6detail17trampoline_kernelINS0_14default_configENS1_36segmented_radix_sort_config_selectorIilEEZNS1_25segmented_radix_sort_implIS3_Lb1EPKiPiPKlPlN2at6native12_GLOBAL__N_18offset_tEEE10hipError_tPvRmT1_PNSt15iterator_traitsISK_E10value_typeET2_T3_PNSL_ISQ_E10value_typeET4_jRbjT5_SW_jjP12ihipStream_tbEUlT_E1_NS1_11comp_targetILNS1_3genE4ELNS1_11target_archE910ELNS1_3gpuE8ELNS1_3repE0EEENS1_59segmented_radix_sort_warp_sort_small_config_static_selectorELNS0_4arch9wavefront6targetE0EEEvSK_,"axG",@progbits,_ZN7rocprim17ROCPRIM_400000_NS6detail17trampoline_kernelINS0_14default_configENS1_36segmented_radix_sort_config_selectorIilEEZNS1_25segmented_radix_sort_implIS3_Lb1EPKiPiPKlPlN2at6native12_GLOBAL__N_18offset_tEEE10hipError_tPvRmT1_PNSt15iterator_traitsISK_E10value_typeET2_T3_PNSL_ISQ_E10value_typeET4_jRbjT5_SW_jjP12ihipStream_tbEUlT_E1_NS1_11comp_targetILNS1_3genE4ELNS1_11target_archE910ELNS1_3gpuE8ELNS1_3repE0EEENS1_59segmented_radix_sort_warp_sort_small_config_static_selectorELNS0_4arch9wavefront6targetE0EEEvSK_,comdat
	.globl	_ZN7rocprim17ROCPRIM_400000_NS6detail17trampoline_kernelINS0_14default_configENS1_36segmented_radix_sort_config_selectorIilEEZNS1_25segmented_radix_sort_implIS3_Lb1EPKiPiPKlPlN2at6native12_GLOBAL__N_18offset_tEEE10hipError_tPvRmT1_PNSt15iterator_traitsISK_E10value_typeET2_T3_PNSL_ISQ_E10value_typeET4_jRbjT5_SW_jjP12ihipStream_tbEUlT_E1_NS1_11comp_targetILNS1_3genE4ELNS1_11target_archE910ELNS1_3gpuE8ELNS1_3repE0EEENS1_59segmented_radix_sort_warp_sort_small_config_static_selectorELNS0_4arch9wavefront6targetE0EEEvSK_ ; -- Begin function _ZN7rocprim17ROCPRIM_400000_NS6detail17trampoline_kernelINS0_14default_configENS1_36segmented_radix_sort_config_selectorIilEEZNS1_25segmented_radix_sort_implIS3_Lb1EPKiPiPKlPlN2at6native12_GLOBAL__N_18offset_tEEE10hipError_tPvRmT1_PNSt15iterator_traitsISK_E10value_typeET2_T3_PNSL_ISQ_E10value_typeET4_jRbjT5_SW_jjP12ihipStream_tbEUlT_E1_NS1_11comp_targetILNS1_3genE4ELNS1_11target_archE910ELNS1_3gpuE8ELNS1_3repE0EEENS1_59segmented_radix_sort_warp_sort_small_config_static_selectorELNS0_4arch9wavefront6targetE0EEEvSK_
	.p2align	8
	.type	_ZN7rocprim17ROCPRIM_400000_NS6detail17trampoline_kernelINS0_14default_configENS1_36segmented_radix_sort_config_selectorIilEEZNS1_25segmented_radix_sort_implIS3_Lb1EPKiPiPKlPlN2at6native12_GLOBAL__N_18offset_tEEE10hipError_tPvRmT1_PNSt15iterator_traitsISK_E10value_typeET2_T3_PNSL_ISQ_E10value_typeET4_jRbjT5_SW_jjP12ihipStream_tbEUlT_E1_NS1_11comp_targetILNS1_3genE4ELNS1_11target_archE910ELNS1_3gpuE8ELNS1_3repE0EEENS1_59segmented_radix_sort_warp_sort_small_config_static_selectorELNS0_4arch9wavefront6targetE0EEEvSK_,@function
_ZN7rocprim17ROCPRIM_400000_NS6detail17trampoline_kernelINS0_14default_configENS1_36segmented_radix_sort_config_selectorIilEEZNS1_25segmented_radix_sort_implIS3_Lb1EPKiPiPKlPlN2at6native12_GLOBAL__N_18offset_tEEE10hipError_tPvRmT1_PNSt15iterator_traitsISK_E10value_typeET2_T3_PNSL_ISQ_E10value_typeET4_jRbjT5_SW_jjP12ihipStream_tbEUlT_E1_NS1_11comp_targetILNS1_3genE4ELNS1_11target_archE910ELNS1_3gpuE8ELNS1_3repE0EEENS1_59segmented_radix_sort_warp_sort_small_config_static_selectorELNS0_4arch9wavefront6targetE0EEEvSK_: ; @_ZN7rocprim17ROCPRIM_400000_NS6detail17trampoline_kernelINS0_14default_configENS1_36segmented_radix_sort_config_selectorIilEEZNS1_25segmented_radix_sort_implIS3_Lb1EPKiPiPKlPlN2at6native12_GLOBAL__N_18offset_tEEE10hipError_tPvRmT1_PNSt15iterator_traitsISK_E10value_typeET2_T3_PNSL_ISQ_E10value_typeET4_jRbjT5_SW_jjP12ihipStream_tbEUlT_E1_NS1_11comp_targetILNS1_3genE4ELNS1_11target_archE910ELNS1_3gpuE8ELNS1_3repE0EEENS1_59segmented_radix_sort_warp_sort_small_config_static_selectorELNS0_4arch9wavefront6targetE0EEEvSK_
; %bb.0:
	.section	.rodata,"a",@progbits
	.p2align	6, 0x0
	.amdhsa_kernel _ZN7rocprim17ROCPRIM_400000_NS6detail17trampoline_kernelINS0_14default_configENS1_36segmented_radix_sort_config_selectorIilEEZNS1_25segmented_radix_sort_implIS3_Lb1EPKiPiPKlPlN2at6native12_GLOBAL__N_18offset_tEEE10hipError_tPvRmT1_PNSt15iterator_traitsISK_E10value_typeET2_T3_PNSL_ISQ_E10value_typeET4_jRbjT5_SW_jjP12ihipStream_tbEUlT_E1_NS1_11comp_targetILNS1_3genE4ELNS1_11target_archE910ELNS1_3gpuE8ELNS1_3repE0EEENS1_59segmented_radix_sort_warp_sort_small_config_static_selectorELNS0_4arch9wavefront6targetE0EEEvSK_
		.amdhsa_group_segment_fixed_size 0
		.amdhsa_private_segment_fixed_size 0
		.amdhsa_kernarg_size 88
		.amdhsa_user_sgpr_count 2
		.amdhsa_user_sgpr_dispatch_ptr 0
		.amdhsa_user_sgpr_queue_ptr 0
		.amdhsa_user_sgpr_kernarg_segment_ptr 1
		.amdhsa_user_sgpr_dispatch_id 0
		.amdhsa_user_sgpr_kernarg_preload_length 0
		.amdhsa_user_sgpr_kernarg_preload_offset 0
		.amdhsa_user_sgpr_private_segment_size 0
		.amdhsa_wavefront_size32 1
		.amdhsa_uses_dynamic_stack 0
		.amdhsa_enable_private_segment 0
		.amdhsa_system_sgpr_workgroup_id_x 1
		.amdhsa_system_sgpr_workgroup_id_y 0
		.amdhsa_system_sgpr_workgroup_id_z 0
		.amdhsa_system_sgpr_workgroup_info 0
		.amdhsa_system_vgpr_workitem_id 0
		.amdhsa_next_free_vgpr 1
		.amdhsa_next_free_sgpr 1
		.amdhsa_named_barrier_count 0
		.amdhsa_reserve_vcc 0
		.amdhsa_float_round_mode_32 0
		.amdhsa_float_round_mode_16_64 0
		.amdhsa_float_denorm_mode_32 3
		.amdhsa_float_denorm_mode_16_64 3
		.amdhsa_fp16_overflow 0
		.amdhsa_memory_ordered 1
		.amdhsa_forward_progress 1
		.amdhsa_inst_pref_size 0
		.amdhsa_round_robin_scheduling 0
		.amdhsa_exception_fp_ieee_invalid_op 0
		.amdhsa_exception_fp_denorm_src 0
		.amdhsa_exception_fp_ieee_div_zero 0
		.amdhsa_exception_fp_ieee_overflow 0
		.amdhsa_exception_fp_ieee_underflow 0
		.amdhsa_exception_fp_ieee_inexact 0
		.amdhsa_exception_int_div_zero 0
	.end_amdhsa_kernel
	.section	.text._ZN7rocprim17ROCPRIM_400000_NS6detail17trampoline_kernelINS0_14default_configENS1_36segmented_radix_sort_config_selectorIilEEZNS1_25segmented_radix_sort_implIS3_Lb1EPKiPiPKlPlN2at6native12_GLOBAL__N_18offset_tEEE10hipError_tPvRmT1_PNSt15iterator_traitsISK_E10value_typeET2_T3_PNSL_ISQ_E10value_typeET4_jRbjT5_SW_jjP12ihipStream_tbEUlT_E1_NS1_11comp_targetILNS1_3genE4ELNS1_11target_archE910ELNS1_3gpuE8ELNS1_3repE0EEENS1_59segmented_radix_sort_warp_sort_small_config_static_selectorELNS0_4arch9wavefront6targetE0EEEvSK_,"axG",@progbits,_ZN7rocprim17ROCPRIM_400000_NS6detail17trampoline_kernelINS0_14default_configENS1_36segmented_radix_sort_config_selectorIilEEZNS1_25segmented_radix_sort_implIS3_Lb1EPKiPiPKlPlN2at6native12_GLOBAL__N_18offset_tEEE10hipError_tPvRmT1_PNSt15iterator_traitsISK_E10value_typeET2_T3_PNSL_ISQ_E10value_typeET4_jRbjT5_SW_jjP12ihipStream_tbEUlT_E1_NS1_11comp_targetILNS1_3genE4ELNS1_11target_archE910ELNS1_3gpuE8ELNS1_3repE0EEENS1_59segmented_radix_sort_warp_sort_small_config_static_selectorELNS0_4arch9wavefront6targetE0EEEvSK_,comdat
.Lfunc_end516:
	.size	_ZN7rocprim17ROCPRIM_400000_NS6detail17trampoline_kernelINS0_14default_configENS1_36segmented_radix_sort_config_selectorIilEEZNS1_25segmented_radix_sort_implIS3_Lb1EPKiPiPKlPlN2at6native12_GLOBAL__N_18offset_tEEE10hipError_tPvRmT1_PNSt15iterator_traitsISK_E10value_typeET2_T3_PNSL_ISQ_E10value_typeET4_jRbjT5_SW_jjP12ihipStream_tbEUlT_E1_NS1_11comp_targetILNS1_3genE4ELNS1_11target_archE910ELNS1_3gpuE8ELNS1_3repE0EEENS1_59segmented_radix_sort_warp_sort_small_config_static_selectorELNS0_4arch9wavefront6targetE0EEEvSK_, .Lfunc_end516-_ZN7rocprim17ROCPRIM_400000_NS6detail17trampoline_kernelINS0_14default_configENS1_36segmented_radix_sort_config_selectorIilEEZNS1_25segmented_radix_sort_implIS3_Lb1EPKiPiPKlPlN2at6native12_GLOBAL__N_18offset_tEEE10hipError_tPvRmT1_PNSt15iterator_traitsISK_E10value_typeET2_T3_PNSL_ISQ_E10value_typeET4_jRbjT5_SW_jjP12ihipStream_tbEUlT_E1_NS1_11comp_targetILNS1_3genE4ELNS1_11target_archE910ELNS1_3gpuE8ELNS1_3repE0EEENS1_59segmented_radix_sort_warp_sort_small_config_static_selectorELNS0_4arch9wavefront6targetE0EEEvSK_
                                        ; -- End function
	.set _ZN7rocprim17ROCPRIM_400000_NS6detail17trampoline_kernelINS0_14default_configENS1_36segmented_radix_sort_config_selectorIilEEZNS1_25segmented_radix_sort_implIS3_Lb1EPKiPiPKlPlN2at6native12_GLOBAL__N_18offset_tEEE10hipError_tPvRmT1_PNSt15iterator_traitsISK_E10value_typeET2_T3_PNSL_ISQ_E10value_typeET4_jRbjT5_SW_jjP12ihipStream_tbEUlT_E1_NS1_11comp_targetILNS1_3genE4ELNS1_11target_archE910ELNS1_3gpuE8ELNS1_3repE0EEENS1_59segmented_radix_sort_warp_sort_small_config_static_selectorELNS0_4arch9wavefront6targetE0EEEvSK_.num_vgpr, 0
	.set _ZN7rocprim17ROCPRIM_400000_NS6detail17trampoline_kernelINS0_14default_configENS1_36segmented_radix_sort_config_selectorIilEEZNS1_25segmented_radix_sort_implIS3_Lb1EPKiPiPKlPlN2at6native12_GLOBAL__N_18offset_tEEE10hipError_tPvRmT1_PNSt15iterator_traitsISK_E10value_typeET2_T3_PNSL_ISQ_E10value_typeET4_jRbjT5_SW_jjP12ihipStream_tbEUlT_E1_NS1_11comp_targetILNS1_3genE4ELNS1_11target_archE910ELNS1_3gpuE8ELNS1_3repE0EEENS1_59segmented_radix_sort_warp_sort_small_config_static_selectorELNS0_4arch9wavefront6targetE0EEEvSK_.num_agpr, 0
	.set _ZN7rocprim17ROCPRIM_400000_NS6detail17trampoline_kernelINS0_14default_configENS1_36segmented_radix_sort_config_selectorIilEEZNS1_25segmented_radix_sort_implIS3_Lb1EPKiPiPKlPlN2at6native12_GLOBAL__N_18offset_tEEE10hipError_tPvRmT1_PNSt15iterator_traitsISK_E10value_typeET2_T3_PNSL_ISQ_E10value_typeET4_jRbjT5_SW_jjP12ihipStream_tbEUlT_E1_NS1_11comp_targetILNS1_3genE4ELNS1_11target_archE910ELNS1_3gpuE8ELNS1_3repE0EEENS1_59segmented_radix_sort_warp_sort_small_config_static_selectorELNS0_4arch9wavefront6targetE0EEEvSK_.numbered_sgpr, 0
	.set _ZN7rocprim17ROCPRIM_400000_NS6detail17trampoline_kernelINS0_14default_configENS1_36segmented_radix_sort_config_selectorIilEEZNS1_25segmented_radix_sort_implIS3_Lb1EPKiPiPKlPlN2at6native12_GLOBAL__N_18offset_tEEE10hipError_tPvRmT1_PNSt15iterator_traitsISK_E10value_typeET2_T3_PNSL_ISQ_E10value_typeET4_jRbjT5_SW_jjP12ihipStream_tbEUlT_E1_NS1_11comp_targetILNS1_3genE4ELNS1_11target_archE910ELNS1_3gpuE8ELNS1_3repE0EEENS1_59segmented_radix_sort_warp_sort_small_config_static_selectorELNS0_4arch9wavefront6targetE0EEEvSK_.num_named_barrier, 0
	.set _ZN7rocprim17ROCPRIM_400000_NS6detail17trampoline_kernelINS0_14default_configENS1_36segmented_radix_sort_config_selectorIilEEZNS1_25segmented_radix_sort_implIS3_Lb1EPKiPiPKlPlN2at6native12_GLOBAL__N_18offset_tEEE10hipError_tPvRmT1_PNSt15iterator_traitsISK_E10value_typeET2_T3_PNSL_ISQ_E10value_typeET4_jRbjT5_SW_jjP12ihipStream_tbEUlT_E1_NS1_11comp_targetILNS1_3genE4ELNS1_11target_archE910ELNS1_3gpuE8ELNS1_3repE0EEENS1_59segmented_radix_sort_warp_sort_small_config_static_selectorELNS0_4arch9wavefront6targetE0EEEvSK_.private_seg_size, 0
	.set _ZN7rocprim17ROCPRIM_400000_NS6detail17trampoline_kernelINS0_14default_configENS1_36segmented_radix_sort_config_selectorIilEEZNS1_25segmented_radix_sort_implIS3_Lb1EPKiPiPKlPlN2at6native12_GLOBAL__N_18offset_tEEE10hipError_tPvRmT1_PNSt15iterator_traitsISK_E10value_typeET2_T3_PNSL_ISQ_E10value_typeET4_jRbjT5_SW_jjP12ihipStream_tbEUlT_E1_NS1_11comp_targetILNS1_3genE4ELNS1_11target_archE910ELNS1_3gpuE8ELNS1_3repE0EEENS1_59segmented_radix_sort_warp_sort_small_config_static_selectorELNS0_4arch9wavefront6targetE0EEEvSK_.uses_vcc, 0
	.set _ZN7rocprim17ROCPRIM_400000_NS6detail17trampoline_kernelINS0_14default_configENS1_36segmented_radix_sort_config_selectorIilEEZNS1_25segmented_radix_sort_implIS3_Lb1EPKiPiPKlPlN2at6native12_GLOBAL__N_18offset_tEEE10hipError_tPvRmT1_PNSt15iterator_traitsISK_E10value_typeET2_T3_PNSL_ISQ_E10value_typeET4_jRbjT5_SW_jjP12ihipStream_tbEUlT_E1_NS1_11comp_targetILNS1_3genE4ELNS1_11target_archE910ELNS1_3gpuE8ELNS1_3repE0EEENS1_59segmented_radix_sort_warp_sort_small_config_static_selectorELNS0_4arch9wavefront6targetE0EEEvSK_.uses_flat_scratch, 0
	.set _ZN7rocprim17ROCPRIM_400000_NS6detail17trampoline_kernelINS0_14default_configENS1_36segmented_radix_sort_config_selectorIilEEZNS1_25segmented_radix_sort_implIS3_Lb1EPKiPiPKlPlN2at6native12_GLOBAL__N_18offset_tEEE10hipError_tPvRmT1_PNSt15iterator_traitsISK_E10value_typeET2_T3_PNSL_ISQ_E10value_typeET4_jRbjT5_SW_jjP12ihipStream_tbEUlT_E1_NS1_11comp_targetILNS1_3genE4ELNS1_11target_archE910ELNS1_3gpuE8ELNS1_3repE0EEENS1_59segmented_radix_sort_warp_sort_small_config_static_selectorELNS0_4arch9wavefront6targetE0EEEvSK_.has_dyn_sized_stack, 0
	.set _ZN7rocprim17ROCPRIM_400000_NS6detail17trampoline_kernelINS0_14default_configENS1_36segmented_radix_sort_config_selectorIilEEZNS1_25segmented_radix_sort_implIS3_Lb1EPKiPiPKlPlN2at6native12_GLOBAL__N_18offset_tEEE10hipError_tPvRmT1_PNSt15iterator_traitsISK_E10value_typeET2_T3_PNSL_ISQ_E10value_typeET4_jRbjT5_SW_jjP12ihipStream_tbEUlT_E1_NS1_11comp_targetILNS1_3genE4ELNS1_11target_archE910ELNS1_3gpuE8ELNS1_3repE0EEENS1_59segmented_radix_sort_warp_sort_small_config_static_selectorELNS0_4arch9wavefront6targetE0EEEvSK_.has_recursion, 0
	.set _ZN7rocprim17ROCPRIM_400000_NS6detail17trampoline_kernelINS0_14default_configENS1_36segmented_radix_sort_config_selectorIilEEZNS1_25segmented_radix_sort_implIS3_Lb1EPKiPiPKlPlN2at6native12_GLOBAL__N_18offset_tEEE10hipError_tPvRmT1_PNSt15iterator_traitsISK_E10value_typeET2_T3_PNSL_ISQ_E10value_typeET4_jRbjT5_SW_jjP12ihipStream_tbEUlT_E1_NS1_11comp_targetILNS1_3genE4ELNS1_11target_archE910ELNS1_3gpuE8ELNS1_3repE0EEENS1_59segmented_radix_sort_warp_sort_small_config_static_selectorELNS0_4arch9wavefront6targetE0EEEvSK_.has_indirect_call, 0
	.section	.AMDGPU.csdata,"",@progbits
; Kernel info:
; codeLenInByte = 0
; TotalNumSgprs: 0
; NumVgprs: 0
; ScratchSize: 0
; MemoryBound: 0
; FloatMode: 240
; IeeeMode: 1
; LDSByteSize: 0 bytes/workgroup (compile time only)
; SGPRBlocks: 0
; VGPRBlocks: 0
; NumSGPRsForWavesPerEU: 1
; NumVGPRsForWavesPerEU: 1
; NamedBarCnt: 0
; Occupancy: 16
; WaveLimiterHint : 0
; COMPUTE_PGM_RSRC2:SCRATCH_EN: 0
; COMPUTE_PGM_RSRC2:USER_SGPR: 2
; COMPUTE_PGM_RSRC2:TRAP_HANDLER: 0
; COMPUTE_PGM_RSRC2:TGID_X_EN: 1
; COMPUTE_PGM_RSRC2:TGID_Y_EN: 0
; COMPUTE_PGM_RSRC2:TGID_Z_EN: 0
; COMPUTE_PGM_RSRC2:TIDIG_COMP_CNT: 0
	.section	.text._ZN7rocprim17ROCPRIM_400000_NS6detail17trampoline_kernelINS0_14default_configENS1_36segmented_radix_sort_config_selectorIilEEZNS1_25segmented_radix_sort_implIS3_Lb1EPKiPiPKlPlN2at6native12_GLOBAL__N_18offset_tEEE10hipError_tPvRmT1_PNSt15iterator_traitsISK_E10value_typeET2_T3_PNSL_ISQ_E10value_typeET4_jRbjT5_SW_jjP12ihipStream_tbEUlT_E1_NS1_11comp_targetILNS1_3genE3ELNS1_11target_archE908ELNS1_3gpuE7ELNS1_3repE0EEENS1_59segmented_radix_sort_warp_sort_small_config_static_selectorELNS0_4arch9wavefront6targetE0EEEvSK_,"axG",@progbits,_ZN7rocprim17ROCPRIM_400000_NS6detail17trampoline_kernelINS0_14default_configENS1_36segmented_radix_sort_config_selectorIilEEZNS1_25segmented_radix_sort_implIS3_Lb1EPKiPiPKlPlN2at6native12_GLOBAL__N_18offset_tEEE10hipError_tPvRmT1_PNSt15iterator_traitsISK_E10value_typeET2_T3_PNSL_ISQ_E10value_typeET4_jRbjT5_SW_jjP12ihipStream_tbEUlT_E1_NS1_11comp_targetILNS1_3genE3ELNS1_11target_archE908ELNS1_3gpuE7ELNS1_3repE0EEENS1_59segmented_radix_sort_warp_sort_small_config_static_selectorELNS0_4arch9wavefront6targetE0EEEvSK_,comdat
	.globl	_ZN7rocprim17ROCPRIM_400000_NS6detail17trampoline_kernelINS0_14default_configENS1_36segmented_radix_sort_config_selectorIilEEZNS1_25segmented_radix_sort_implIS3_Lb1EPKiPiPKlPlN2at6native12_GLOBAL__N_18offset_tEEE10hipError_tPvRmT1_PNSt15iterator_traitsISK_E10value_typeET2_T3_PNSL_ISQ_E10value_typeET4_jRbjT5_SW_jjP12ihipStream_tbEUlT_E1_NS1_11comp_targetILNS1_3genE3ELNS1_11target_archE908ELNS1_3gpuE7ELNS1_3repE0EEENS1_59segmented_radix_sort_warp_sort_small_config_static_selectorELNS0_4arch9wavefront6targetE0EEEvSK_ ; -- Begin function _ZN7rocprim17ROCPRIM_400000_NS6detail17trampoline_kernelINS0_14default_configENS1_36segmented_radix_sort_config_selectorIilEEZNS1_25segmented_radix_sort_implIS3_Lb1EPKiPiPKlPlN2at6native12_GLOBAL__N_18offset_tEEE10hipError_tPvRmT1_PNSt15iterator_traitsISK_E10value_typeET2_T3_PNSL_ISQ_E10value_typeET4_jRbjT5_SW_jjP12ihipStream_tbEUlT_E1_NS1_11comp_targetILNS1_3genE3ELNS1_11target_archE908ELNS1_3gpuE7ELNS1_3repE0EEENS1_59segmented_radix_sort_warp_sort_small_config_static_selectorELNS0_4arch9wavefront6targetE0EEEvSK_
	.p2align	8
	.type	_ZN7rocprim17ROCPRIM_400000_NS6detail17trampoline_kernelINS0_14default_configENS1_36segmented_radix_sort_config_selectorIilEEZNS1_25segmented_radix_sort_implIS3_Lb1EPKiPiPKlPlN2at6native12_GLOBAL__N_18offset_tEEE10hipError_tPvRmT1_PNSt15iterator_traitsISK_E10value_typeET2_T3_PNSL_ISQ_E10value_typeET4_jRbjT5_SW_jjP12ihipStream_tbEUlT_E1_NS1_11comp_targetILNS1_3genE3ELNS1_11target_archE908ELNS1_3gpuE7ELNS1_3repE0EEENS1_59segmented_radix_sort_warp_sort_small_config_static_selectorELNS0_4arch9wavefront6targetE0EEEvSK_,@function
_ZN7rocprim17ROCPRIM_400000_NS6detail17trampoline_kernelINS0_14default_configENS1_36segmented_radix_sort_config_selectorIilEEZNS1_25segmented_radix_sort_implIS3_Lb1EPKiPiPKlPlN2at6native12_GLOBAL__N_18offset_tEEE10hipError_tPvRmT1_PNSt15iterator_traitsISK_E10value_typeET2_T3_PNSL_ISQ_E10value_typeET4_jRbjT5_SW_jjP12ihipStream_tbEUlT_E1_NS1_11comp_targetILNS1_3genE3ELNS1_11target_archE908ELNS1_3gpuE7ELNS1_3repE0EEENS1_59segmented_radix_sort_warp_sort_small_config_static_selectorELNS0_4arch9wavefront6targetE0EEEvSK_: ; @_ZN7rocprim17ROCPRIM_400000_NS6detail17trampoline_kernelINS0_14default_configENS1_36segmented_radix_sort_config_selectorIilEEZNS1_25segmented_radix_sort_implIS3_Lb1EPKiPiPKlPlN2at6native12_GLOBAL__N_18offset_tEEE10hipError_tPvRmT1_PNSt15iterator_traitsISK_E10value_typeET2_T3_PNSL_ISQ_E10value_typeET4_jRbjT5_SW_jjP12ihipStream_tbEUlT_E1_NS1_11comp_targetILNS1_3genE3ELNS1_11target_archE908ELNS1_3gpuE7ELNS1_3repE0EEENS1_59segmented_radix_sort_warp_sort_small_config_static_selectorELNS0_4arch9wavefront6targetE0EEEvSK_
; %bb.0:
	.section	.rodata,"a",@progbits
	.p2align	6, 0x0
	.amdhsa_kernel _ZN7rocprim17ROCPRIM_400000_NS6detail17trampoline_kernelINS0_14default_configENS1_36segmented_radix_sort_config_selectorIilEEZNS1_25segmented_radix_sort_implIS3_Lb1EPKiPiPKlPlN2at6native12_GLOBAL__N_18offset_tEEE10hipError_tPvRmT1_PNSt15iterator_traitsISK_E10value_typeET2_T3_PNSL_ISQ_E10value_typeET4_jRbjT5_SW_jjP12ihipStream_tbEUlT_E1_NS1_11comp_targetILNS1_3genE3ELNS1_11target_archE908ELNS1_3gpuE7ELNS1_3repE0EEENS1_59segmented_radix_sort_warp_sort_small_config_static_selectorELNS0_4arch9wavefront6targetE0EEEvSK_
		.amdhsa_group_segment_fixed_size 0
		.amdhsa_private_segment_fixed_size 0
		.amdhsa_kernarg_size 88
		.amdhsa_user_sgpr_count 2
		.amdhsa_user_sgpr_dispatch_ptr 0
		.amdhsa_user_sgpr_queue_ptr 0
		.amdhsa_user_sgpr_kernarg_segment_ptr 1
		.amdhsa_user_sgpr_dispatch_id 0
		.amdhsa_user_sgpr_kernarg_preload_length 0
		.amdhsa_user_sgpr_kernarg_preload_offset 0
		.amdhsa_user_sgpr_private_segment_size 0
		.amdhsa_wavefront_size32 1
		.amdhsa_uses_dynamic_stack 0
		.amdhsa_enable_private_segment 0
		.amdhsa_system_sgpr_workgroup_id_x 1
		.amdhsa_system_sgpr_workgroup_id_y 0
		.amdhsa_system_sgpr_workgroup_id_z 0
		.amdhsa_system_sgpr_workgroup_info 0
		.amdhsa_system_vgpr_workitem_id 0
		.amdhsa_next_free_vgpr 1
		.amdhsa_next_free_sgpr 1
		.amdhsa_named_barrier_count 0
		.amdhsa_reserve_vcc 0
		.amdhsa_float_round_mode_32 0
		.amdhsa_float_round_mode_16_64 0
		.amdhsa_float_denorm_mode_32 3
		.amdhsa_float_denorm_mode_16_64 3
		.amdhsa_fp16_overflow 0
		.amdhsa_memory_ordered 1
		.amdhsa_forward_progress 1
		.amdhsa_inst_pref_size 0
		.amdhsa_round_robin_scheduling 0
		.amdhsa_exception_fp_ieee_invalid_op 0
		.amdhsa_exception_fp_denorm_src 0
		.amdhsa_exception_fp_ieee_div_zero 0
		.amdhsa_exception_fp_ieee_overflow 0
		.amdhsa_exception_fp_ieee_underflow 0
		.amdhsa_exception_fp_ieee_inexact 0
		.amdhsa_exception_int_div_zero 0
	.end_amdhsa_kernel
	.section	.text._ZN7rocprim17ROCPRIM_400000_NS6detail17trampoline_kernelINS0_14default_configENS1_36segmented_radix_sort_config_selectorIilEEZNS1_25segmented_radix_sort_implIS3_Lb1EPKiPiPKlPlN2at6native12_GLOBAL__N_18offset_tEEE10hipError_tPvRmT1_PNSt15iterator_traitsISK_E10value_typeET2_T3_PNSL_ISQ_E10value_typeET4_jRbjT5_SW_jjP12ihipStream_tbEUlT_E1_NS1_11comp_targetILNS1_3genE3ELNS1_11target_archE908ELNS1_3gpuE7ELNS1_3repE0EEENS1_59segmented_radix_sort_warp_sort_small_config_static_selectorELNS0_4arch9wavefront6targetE0EEEvSK_,"axG",@progbits,_ZN7rocprim17ROCPRIM_400000_NS6detail17trampoline_kernelINS0_14default_configENS1_36segmented_radix_sort_config_selectorIilEEZNS1_25segmented_radix_sort_implIS3_Lb1EPKiPiPKlPlN2at6native12_GLOBAL__N_18offset_tEEE10hipError_tPvRmT1_PNSt15iterator_traitsISK_E10value_typeET2_T3_PNSL_ISQ_E10value_typeET4_jRbjT5_SW_jjP12ihipStream_tbEUlT_E1_NS1_11comp_targetILNS1_3genE3ELNS1_11target_archE908ELNS1_3gpuE7ELNS1_3repE0EEENS1_59segmented_radix_sort_warp_sort_small_config_static_selectorELNS0_4arch9wavefront6targetE0EEEvSK_,comdat
.Lfunc_end517:
	.size	_ZN7rocprim17ROCPRIM_400000_NS6detail17trampoline_kernelINS0_14default_configENS1_36segmented_radix_sort_config_selectorIilEEZNS1_25segmented_radix_sort_implIS3_Lb1EPKiPiPKlPlN2at6native12_GLOBAL__N_18offset_tEEE10hipError_tPvRmT1_PNSt15iterator_traitsISK_E10value_typeET2_T3_PNSL_ISQ_E10value_typeET4_jRbjT5_SW_jjP12ihipStream_tbEUlT_E1_NS1_11comp_targetILNS1_3genE3ELNS1_11target_archE908ELNS1_3gpuE7ELNS1_3repE0EEENS1_59segmented_radix_sort_warp_sort_small_config_static_selectorELNS0_4arch9wavefront6targetE0EEEvSK_, .Lfunc_end517-_ZN7rocprim17ROCPRIM_400000_NS6detail17trampoline_kernelINS0_14default_configENS1_36segmented_radix_sort_config_selectorIilEEZNS1_25segmented_radix_sort_implIS3_Lb1EPKiPiPKlPlN2at6native12_GLOBAL__N_18offset_tEEE10hipError_tPvRmT1_PNSt15iterator_traitsISK_E10value_typeET2_T3_PNSL_ISQ_E10value_typeET4_jRbjT5_SW_jjP12ihipStream_tbEUlT_E1_NS1_11comp_targetILNS1_3genE3ELNS1_11target_archE908ELNS1_3gpuE7ELNS1_3repE0EEENS1_59segmented_radix_sort_warp_sort_small_config_static_selectorELNS0_4arch9wavefront6targetE0EEEvSK_
                                        ; -- End function
	.set _ZN7rocprim17ROCPRIM_400000_NS6detail17trampoline_kernelINS0_14default_configENS1_36segmented_radix_sort_config_selectorIilEEZNS1_25segmented_radix_sort_implIS3_Lb1EPKiPiPKlPlN2at6native12_GLOBAL__N_18offset_tEEE10hipError_tPvRmT1_PNSt15iterator_traitsISK_E10value_typeET2_T3_PNSL_ISQ_E10value_typeET4_jRbjT5_SW_jjP12ihipStream_tbEUlT_E1_NS1_11comp_targetILNS1_3genE3ELNS1_11target_archE908ELNS1_3gpuE7ELNS1_3repE0EEENS1_59segmented_radix_sort_warp_sort_small_config_static_selectorELNS0_4arch9wavefront6targetE0EEEvSK_.num_vgpr, 0
	.set _ZN7rocprim17ROCPRIM_400000_NS6detail17trampoline_kernelINS0_14default_configENS1_36segmented_radix_sort_config_selectorIilEEZNS1_25segmented_radix_sort_implIS3_Lb1EPKiPiPKlPlN2at6native12_GLOBAL__N_18offset_tEEE10hipError_tPvRmT1_PNSt15iterator_traitsISK_E10value_typeET2_T3_PNSL_ISQ_E10value_typeET4_jRbjT5_SW_jjP12ihipStream_tbEUlT_E1_NS1_11comp_targetILNS1_3genE3ELNS1_11target_archE908ELNS1_3gpuE7ELNS1_3repE0EEENS1_59segmented_radix_sort_warp_sort_small_config_static_selectorELNS0_4arch9wavefront6targetE0EEEvSK_.num_agpr, 0
	.set _ZN7rocprim17ROCPRIM_400000_NS6detail17trampoline_kernelINS0_14default_configENS1_36segmented_radix_sort_config_selectorIilEEZNS1_25segmented_radix_sort_implIS3_Lb1EPKiPiPKlPlN2at6native12_GLOBAL__N_18offset_tEEE10hipError_tPvRmT1_PNSt15iterator_traitsISK_E10value_typeET2_T3_PNSL_ISQ_E10value_typeET4_jRbjT5_SW_jjP12ihipStream_tbEUlT_E1_NS1_11comp_targetILNS1_3genE3ELNS1_11target_archE908ELNS1_3gpuE7ELNS1_3repE0EEENS1_59segmented_radix_sort_warp_sort_small_config_static_selectorELNS0_4arch9wavefront6targetE0EEEvSK_.numbered_sgpr, 0
	.set _ZN7rocprim17ROCPRIM_400000_NS6detail17trampoline_kernelINS0_14default_configENS1_36segmented_radix_sort_config_selectorIilEEZNS1_25segmented_radix_sort_implIS3_Lb1EPKiPiPKlPlN2at6native12_GLOBAL__N_18offset_tEEE10hipError_tPvRmT1_PNSt15iterator_traitsISK_E10value_typeET2_T3_PNSL_ISQ_E10value_typeET4_jRbjT5_SW_jjP12ihipStream_tbEUlT_E1_NS1_11comp_targetILNS1_3genE3ELNS1_11target_archE908ELNS1_3gpuE7ELNS1_3repE0EEENS1_59segmented_radix_sort_warp_sort_small_config_static_selectorELNS0_4arch9wavefront6targetE0EEEvSK_.num_named_barrier, 0
	.set _ZN7rocprim17ROCPRIM_400000_NS6detail17trampoline_kernelINS0_14default_configENS1_36segmented_radix_sort_config_selectorIilEEZNS1_25segmented_radix_sort_implIS3_Lb1EPKiPiPKlPlN2at6native12_GLOBAL__N_18offset_tEEE10hipError_tPvRmT1_PNSt15iterator_traitsISK_E10value_typeET2_T3_PNSL_ISQ_E10value_typeET4_jRbjT5_SW_jjP12ihipStream_tbEUlT_E1_NS1_11comp_targetILNS1_3genE3ELNS1_11target_archE908ELNS1_3gpuE7ELNS1_3repE0EEENS1_59segmented_radix_sort_warp_sort_small_config_static_selectorELNS0_4arch9wavefront6targetE0EEEvSK_.private_seg_size, 0
	.set _ZN7rocprim17ROCPRIM_400000_NS6detail17trampoline_kernelINS0_14default_configENS1_36segmented_radix_sort_config_selectorIilEEZNS1_25segmented_radix_sort_implIS3_Lb1EPKiPiPKlPlN2at6native12_GLOBAL__N_18offset_tEEE10hipError_tPvRmT1_PNSt15iterator_traitsISK_E10value_typeET2_T3_PNSL_ISQ_E10value_typeET4_jRbjT5_SW_jjP12ihipStream_tbEUlT_E1_NS1_11comp_targetILNS1_3genE3ELNS1_11target_archE908ELNS1_3gpuE7ELNS1_3repE0EEENS1_59segmented_radix_sort_warp_sort_small_config_static_selectorELNS0_4arch9wavefront6targetE0EEEvSK_.uses_vcc, 0
	.set _ZN7rocprim17ROCPRIM_400000_NS6detail17trampoline_kernelINS0_14default_configENS1_36segmented_radix_sort_config_selectorIilEEZNS1_25segmented_radix_sort_implIS3_Lb1EPKiPiPKlPlN2at6native12_GLOBAL__N_18offset_tEEE10hipError_tPvRmT1_PNSt15iterator_traitsISK_E10value_typeET2_T3_PNSL_ISQ_E10value_typeET4_jRbjT5_SW_jjP12ihipStream_tbEUlT_E1_NS1_11comp_targetILNS1_3genE3ELNS1_11target_archE908ELNS1_3gpuE7ELNS1_3repE0EEENS1_59segmented_radix_sort_warp_sort_small_config_static_selectorELNS0_4arch9wavefront6targetE0EEEvSK_.uses_flat_scratch, 0
	.set _ZN7rocprim17ROCPRIM_400000_NS6detail17trampoline_kernelINS0_14default_configENS1_36segmented_radix_sort_config_selectorIilEEZNS1_25segmented_radix_sort_implIS3_Lb1EPKiPiPKlPlN2at6native12_GLOBAL__N_18offset_tEEE10hipError_tPvRmT1_PNSt15iterator_traitsISK_E10value_typeET2_T3_PNSL_ISQ_E10value_typeET4_jRbjT5_SW_jjP12ihipStream_tbEUlT_E1_NS1_11comp_targetILNS1_3genE3ELNS1_11target_archE908ELNS1_3gpuE7ELNS1_3repE0EEENS1_59segmented_radix_sort_warp_sort_small_config_static_selectorELNS0_4arch9wavefront6targetE0EEEvSK_.has_dyn_sized_stack, 0
	.set _ZN7rocprim17ROCPRIM_400000_NS6detail17trampoline_kernelINS0_14default_configENS1_36segmented_radix_sort_config_selectorIilEEZNS1_25segmented_radix_sort_implIS3_Lb1EPKiPiPKlPlN2at6native12_GLOBAL__N_18offset_tEEE10hipError_tPvRmT1_PNSt15iterator_traitsISK_E10value_typeET2_T3_PNSL_ISQ_E10value_typeET4_jRbjT5_SW_jjP12ihipStream_tbEUlT_E1_NS1_11comp_targetILNS1_3genE3ELNS1_11target_archE908ELNS1_3gpuE7ELNS1_3repE0EEENS1_59segmented_radix_sort_warp_sort_small_config_static_selectorELNS0_4arch9wavefront6targetE0EEEvSK_.has_recursion, 0
	.set _ZN7rocprim17ROCPRIM_400000_NS6detail17trampoline_kernelINS0_14default_configENS1_36segmented_radix_sort_config_selectorIilEEZNS1_25segmented_radix_sort_implIS3_Lb1EPKiPiPKlPlN2at6native12_GLOBAL__N_18offset_tEEE10hipError_tPvRmT1_PNSt15iterator_traitsISK_E10value_typeET2_T3_PNSL_ISQ_E10value_typeET4_jRbjT5_SW_jjP12ihipStream_tbEUlT_E1_NS1_11comp_targetILNS1_3genE3ELNS1_11target_archE908ELNS1_3gpuE7ELNS1_3repE0EEENS1_59segmented_radix_sort_warp_sort_small_config_static_selectorELNS0_4arch9wavefront6targetE0EEEvSK_.has_indirect_call, 0
	.section	.AMDGPU.csdata,"",@progbits
; Kernel info:
; codeLenInByte = 0
; TotalNumSgprs: 0
; NumVgprs: 0
; ScratchSize: 0
; MemoryBound: 0
; FloatMode: 240
; IeeeMode: 1
; LDSByteSize: 0 bytes/workgroup (compile time only)
; SGPRBlocks: 0
; VGPRBlocks: 0
; NumSGPRsForWavesPerEU: 1
; NumVGPRsForWavesPerEU: 1
; NamedBarCnt: 0
; Occupancy: 16
; WaveLimiterHint : 0
; COMPUTE_PGM_RSRC2:SCRATCH_EN: 0
; COMPUTE_PGM_RSRC2:USER_SGPR: 2
; COMPUTE_PGM_RSRC2:TRAP_HANDLER: 0
; COMPUTE_PGM_RSRC2:TGID_X_EN: 1
; COMPUTE_PGM_RSRC2:TGID_Y_EN: 0
; COMPUTE_PGM_RSRC2:TGID_Z_EN: 0
; COMPUTE_PGM_RSRC2:TIDIG_COMP_CNT: 0
	.section	.text._ZN7rocprim17ROCPRIM_400000_NS6detail17trampoline_kernelINS0_14default_configENS1_36segmented_radix_sort_config_selectorIilEEZNS1_25segmented_radix_sort_implIS3_Lb1EPKiPiPKlPlN2at6native12_GLOBAL__N_18offset_tEEE10hipError_tPvRmT1_PNSt15iterator_traitsISK_E10value_typeET2_T3_PNSL_ISQ_E10value_typeET4_jRbjT5_SW_jjP12ihipStream_tbEUlT_E1_NS1_11comp_targetILNS1_3genE2ELNS1_11target_archE906ELNS1_3gpuE6ELNS1_3repE0EEENS1_59segmented_radix_sort_warp_sort_small_config_static_selectorELNS0_4arch9wavefront6targetE0EEEvSK_,"axG",@progbits,_ZN7rocprim17ROCPRIM_400000_NS6detail17trampoline_kernelINS0_14default_configENS1_36segmented_radix_sort_config_selectorIilEEZNS1_25segmented_radix_sort_implIS3_Lb1EPKiPiPKlPlN2at6native12_GLOBAL__N_18offset_tEEE10hipError_tPvRmT1_PNSt15iterator_traitsISK_E10value_typeET2_T3_PNSL_ISQ_E10value_typeET4_jRbjT5_SW_jjP12ihipStream_tbEUlT_E1_NS1_11comp_targetILNS1_3genE2ELNS1_11target_archE906ELNS1_3gpuE6ELNS1_3repE0EEENS1_59segmented_radix_sort_warp_sort_small_config_static_selectorELNS0_4arch9wavefront6targetE0EEEvSK_,comdat
	.globl	_ZN7rocprim17ROCPRIM_400000_NS6detail17trampoline_kernelINS0_14default_configENS1_36segmented_radix_sort_config_selectorIilEEZNS1_25segmented_radix_sort_implIS3_Lb1EPKiPiPKlPlN2at6native12_GLOBAL__N_18offset_tEEE10hipError_tPvRmT1_PNSt15iterator_traitsISK_E10value_typeET2_T3_PNSL_ISQ_E10value_typeET4_jRbjT5_SW_jjP12ihipStream_tbEUlT_E1_NS1_11comp_targetILNS1_3genE2ELNS1_11target_archE906ELNS1_3gpuE6ELNS1_3repE0EEENS1_59segmented_radix_sort_warp_sort_small_config_static_selectorELNS0_4arch9wavefront6targetE0EEEvSK_ ; -- Begin function _ZN7rocprim17ROCPRIM_400000_NS6detail17trampoline_kernelINS0_14default_configENS1_36segmented_radix_sort_config_selectorIilEEZNS1_25segmented_radix_sort_implIS3_Lb1EPKiPiPKlPlN2at6native12_GLOBAL__N_18offset_tEEE10hipError_tPvRmT1_PNSt15iterator_traitsISK_E10value_typeET2_T3_PNSL_ISQ_E10value_typeET4_jRbjT5_SW_jjP12ihipStream_tbEUlT_E1_NS1_11comp_targetILNS1_3genE2ELNS1_11target_archE906ELNS1_3gpuE6ELNS1_3repE0EEENS1_59segmented_radix_sort_warp_sort_small_config_static_selectorELNS0_4arch9wavefront6targetE0EEEvSK_
	.p2align	8
	.type	_ZN7rocprim17ROCPRIM_400000_NS6detail17trampoline_kernelINS0_14default_configENS1_36segmented_radix_sort_config_selectorIilEEZNS1_25segmented_radix_sort_implIS3_Lb1EPKiPiPKlPlN2at6native12_GLOBAL__N_18offset_tEEE10hipError_tPvRmT1_PNSt15iterator_traitsISK_E10value_typeET2_T3_PNSL_ISQ_E10value_typeET4_jRbjT5_SW_jjP12ihipStream_tbEUlT_E1_NS1_11comp_targetILNS1_3genE2ELNS1_11target_archE906ELNS1_3gpuE6ELNS1_3repE0EEENS1_59segmented_radix_sort_warp_sort_small_config_static_selectorELNS0_4arch9wavefront6targetE0EEEvSK_,@function
_ZN7rocprim17ROCPRIM_400000_NS6detail17trampoline_kernelINS0_14default_configENS1_36segmented_radix_sort_config_selectorIilEEZNS1_25segmented_radix_sort_implIS3_Lb1EPKiPiPKlPlN2at6native12_GLOBAL__N_18offset_tEEE10hipError_tPvRmT1_PNSt15iterator_traitsISK_E10value_typeET2_T3_PNSL_ISQ_E10value_typeET4_jRbjT5_SW_jjP12ihipStream_tbEUlT_E1_NS1_11comp_targetILNS1_3genE2ELNS1_11target_archE906ELNS1_3gpuE6ELNS1_3repE0EEENS1_59segmented_radix_sort_warp_sort_small_config_static_selectorELNS0_4arch9wavefront6targetE0EEEvSK_: ; @_ZN7rocprim17ROCPRIM_400000_NS6detail17trampoline_kernelINS0_14default_configENS1_36segmented_radix_sort_config_selectorIilEEZNS1_25segmented_radix_sort_implIS3_Lb1EPKiPiPKlPlN2at6native12_GLOBAL__N_18offset_tEEE10hipError_tPvRmT1_PNSt15iterator_traitsISK_E10value_typeET2_T3_PNSL_ISQ_E10value_typeET4_jRbjT5_SW_jjP12ihipStream_tbEUlT_E1_NS1_11comp_targetILNS1_3genE2ELNS1_11target_archE906ELNS1_3gpuE6ELNS1_3repE0EEENS1_59segmented_radix_sort_warp_sort_small_config_static_selectorELNS0_4arch9wavefront6targetE0EEEvSK_
; %bb.0:
	.section	.rodata,"a",@progbits
	.p2align	6, 0x0
	.amdhsa_kernel _ZN7rocprim17ROCPRIM_400000_NS6detail17trampoline_kernelINS0_14default_configENS1_36segmented_radix_sort_config_selectorIilEEZNS1_25segmented_radix_sort_implIS3_Lb1EPKiPiPKlPlN2at6native12_GLOBAL__N_18offset_tEEE10hipError_tPvRmT1_PNSt15iterator_traitsISK_E10value_typeET2_T3_PNSL_ISQ_E10value_typeET4_jRbjT5_SW_jjP12ihipStream_tbEUlT_E1_NS1_11comp_targetILNS1_3genE2ELNS1_11target_archE906ELNS1_3gpuE6ELNS1_3repE0EEENS1_59segmented_radix_sort_warp_sort_small_config_static_selectorELNS0_4arch9wavefront6targetE0EEEvSK_
		.amdhsa_group_segment_fixed_size 0
		.amdhsa_private_segment_fixed_size 0
		.amdhsa_kernarg_size 88
		.amdhsa_user_sgpr_count 2
		.amdhsa_user_sgpr_dispatch_ptr 0
		.amdhsa_user_sgpr_queue_ptr 0
		.amdhsa_user_sgpr_kernarg_segment_ptr 1
		.amdhsa_user_sgpr_dispatch_id 0
		.amdhsa_user_sgpr_kernarg_preload_length 0
		.amdhsa_user_sgpr_kernarg_preload_offset 0
		.amdhsa_user_sgpr_private_segment_size 0
		.amdhsa_wavefront_size32 1
		.amdhsa_uses_dynamic_stack 0
		.amdhsa_enable_private_segment 0
		.amdhsa_system_sgpr_workgroup_id_x 1
		.amdhsa_system_sgpr_workgroup_id_y 0
		.amdhsa_system_sgpr_workgroup_id_z 0
		.amdhsa_system_sgpr_workgroup_info 0
		.amdhsa_system_vgpr_workitem_id 0
		.amdhsa_next_free_vgpr 1
		.amdhsa_next_free_sgpr 1
		.amdhsa_named_barrier_count 0
		.amdhsa_reserve_vcc 0
		.amdhsa_float_round_mode_32 0
		.amdhsa_float_round_mode_16_64 0
		.amdhsa_float_denorm_mode_32 3
		.amdhsa_float_denorm_mode_16_64 3
		.amdhsa_fp16_overflow 0
		.amdhsa_memory_ordered 1
		.amdhsa_forward_progress 1
		.amdhsa_inst_pref_size 0
		.amdhsa_round_robin_scheduling 0
		.amdhsa_exception_fp_ieee_invalid_op 0
		.amdhsa_exception_fp_denorm_src 0
		.amdhsa_exception_fp_ieee_div_zero 0
		.amdhsa_exception_fp_ieee_overflow 0
		.amdhsa_exception_fp_ieee_underflow 0
		.amdhsa_exception_fp_ieee_inexact 0
		.amdhsa_exception_int_div_zero 0
	.end_amdhsa_kernel
	.section	.text._ZN7rocprim17ROCPRIM_400000_NS6detail17trampoline_kernelINS0_14default_configENS1_36segmented_radix_sort_config_selectorIilEEZNS1_25segmented_radix_sort_implIS3_Lb1EPKiPiPKlPlN2at6native12_GLOBAL__N_18offset_tEEE10hipError_tPvRmT1_PNSt15iterator_traitsISK_E10value_typeET2_T3_PNSL_ISQ_E10value_typeET4_jRbjT5_SW_jjP12ihipStream_tbEUlT_E1_NS1_11comp_targetILNS1_3genE2ELNS1_11target_archE906ELNS1_3gpuE6ELNS1_3repE0EEENS1_59segmented_radix_sort_warp_sort_small_config_static_selectorELNS0_4arch9wavefront6targetE0EEEvSK_,"axG",@progbits,_ZN7rocprim17ROCPRIM_400000_NS6detail17trampoline_kernelINS0_14default_configENS1_36segmented_radix_sort_config_selectorIilEEZNS1_25segmented_radix_sort_implIS3_Lb1EPKiPiPKlPlN2at6native12_GLOBAL__N_18offset_tEEE10hipError_tPvRmT1_PNSt15iterator_traitsISK_E10value_typeET2_T3_PNSL_ISQ_E10value_typeET4_jRbjT5_SW_jjP12ihipStream_tbEUlT_E1_NS1_11comp_targetILNS1_3genE2ELNS1_11target_archE906ELNS1_3gpuE6ELNS1_3repE0EEENS1_59segmented_radix_sort_warp_sort_small_config_static_selectorELNS0_4arch9wavefront6targetE0EEEvSK_,comdat
.Lfunc_end518:
	.size	_ZN7rocprim17ROCPRIM_400000_NS6detail17trampoline_kernelINS0_14default_configENS1_36segmented_radix_sort_config_selectorIilEEZNS1_25segmented_radix_sort_implIS3_Lb1EPKiPiPKlPlN2at6native12_GLOBAL__N_18offset_tEEE10hipError_tPvRmT1_PNSt15iterator_traitsISK_E10value_typeET2_T3_PNSL_ISQ_E10value_typeET4_jRbjT5_SW_jjP12ihipStream_tbEUlT_E1_NS1_11comp_targetILNS1_3genE2ELNS1_11target_archE906ELNS1_3gpuE6ELNS1_3repE0EEENS1_59segmented_radix_sort_warp_sort_small_config_static_selectorELNS0_4arch9wavefront6targetE0EEEvSK_, .Lfunc_end518-_ZN7rocprim17ROCPRIM_400000_NS6detail17trampoline_kernelINS0_14default_configENS1_36segmented_radix_sort_config_selectorIilEEZNS1_25segmented_radix_sort_implIS3_Lb1EPKiPiPKlPlN2at6native12_GLOBAL__N_18offset_tEEE10hipError_tPvRmT1_PNSt15iterator_traitsISK_E10value_typeET2_T3_PNSL_ISQ_E10value_typeET4_jRbjT5_SW_jjP12ihipStream_tbEUlT_E1_NS1_11comp_targetILNS1_3genE2ELNS1_11target_archE906ELNS1_3gpuE6ELNS1_3repE0EEENS1_59segmented_radix_sort_warp_sort_small_config_static_selectorELNS0_4arch9wavefront6targetE0EEEvSK_
                                        ; -- End function
	.set _ZN7rocprim17ROCPRIM_400000_NS6detail17trampoline_kernelINS0_14default_configENS1_36segmented_radix_sort_config_selectorIilEEZNS1_25segmented_radix_sort_implIS3_Lb1EPKiPiPKlPlN2at6native12_GLOBAL__N_18offset_tEEE10hipError_tPvRmT1_PNSt15iterator_traitsISK_E10value_typeET2_T3_PNSL_ISQ_E10value_typeET4_jRbjT5_SW_jjP12ihipStream_tbEUlT_E1_NS1_11comp_targetILNS1_3genE2ELNS1_11target_archE906ELNS1_3gpuE6ELNS1_3repE0EEENS1_59segmented_radix_sort_warp_sort_small_config_static_selectorELNS0_4arch9wavefront6targetE0EEEvSK_.num_vgpr, 0
	.set _ZN7rocprim17ROCPRIM_400000_NS6detail17trampoline_kernelINS0_14default_configENS1_36segmented_radix_sort_config_selectorIilEEZNS1_25segmented_radix_sort_implIS3_Lb1EPKiPiPKlPlN2at6native12_GLOBAL__N_18offset_tEEE10hipError_tPvRmT1_PNSt15iterator_traitsISK_E10value_typeET2_T3_PNSL_ISQ_E10value_typeET4_jRbjT5_SW_jjP12ihipStream_tbEUlT_E1_NS1_11comp_targetILNS1_3genE2ELNS1_11target_archE906ELNS1_3gpuE6ELNS1_3repE0EEENS1_59segmented_radix_sort_warp_sort_small_config_static_selectorELNS0_4arch9wavefront6targetE0EEEvSK_.num_agpr, 0
	.set _ZN7rocprim17ROCPRIM_400000_NS6detail17trampoline_kernelINS0_14default_configENS1_36segmented_radix_sort_config_selectorIilEEZNS1_25segmented_radix_sort_implIS3_Lb1EPKiPiPKlPlN2at6native12_GLOBAL__N_18offset_tEEE10hipError_tPvRmT1_PNSt15iterator_traitsISK_E10value_typeET2_T3_PNSL_ISQ_E10value_typeET4_jRbjT5_SW_jjP12ihipStream_tbEUlT_E1_NS1_11comp_targetILNS1_3genE2ELNS1_11target_archE906ELNS1_3gpuE6ELNS1_3repE0EEENS1_59segmented_radix_sort_warp_sort_small_config_static_selectorELNS0_4arch9wavefront6targetE0EEEvSK_.numbered_sgpr, 0
	.set _ZN7rocprim17ROCPRIM_400000_NS6detail17trampoline_kernelINS0_14default_configENS1_36segmented_radix_sort_config_selectorIilEEZNS1_25segmented_radix_sort_implIS3_Lb1EPKiPiPKlPlN2at6native12_GLOBAL__N_18offset_tEEE10hipError_tPvRmT1_PNSt15iterator_traitsISK_E10value_typeET2_T3_PNSL_ISQ_E10value_typeET4_jRbjT5_SW_jjP12ihipStream_tbEUlT_E1_NS1_11comp_targetILNS1_3genE2ELNS1_11target_archE906ELNS1_3gpuE6ELNS1_3repE0EEENS1_59segmented_radix_sort_warp_sort_small_config_static_selectorELNS0_4arch9wavefront6targetE0EEEvSK_.num_named_barrier, 0
	.set _ZN7rocprim17ROCPRIM_400000_NS6detail17trampoline_kernelINS0_14default_configENS1_36segmented_radix_sort_config_selectorIilEEZNS1_25segmented_radix_sort_implIS3_Lb1EPKiPiPKlPlN2at6native12_GLOBAL__N_18offset_tEEE10hipError_tPvRmT1_PNSt15iterator_traitsISK_E10value_typeET2_T3_PNSL_ISQ_E10value_typeET4_jRbjT5_SW_jjP12ihipStream_tbEUlT_E1_NS1_11comp_targetILNS1_3genE2ELNS1_11target_archE906ELNS1_3gpuE6ELNS1_3repE0EEENS1_59segmented_radix_sort_warp_sort_small_config_static_selectorELNS0_4arch9wavefront6targetE0EEEvSK_.private_seg_size, 0
	.set _ZN7rocprim17ROCPRIM_400000_NS6detail17trampoline_kernelINS0_14default_configENS1_36segmented_radix_sort_config_selectorIilEEZNS1_25segmented_radix_sort_implIS3_Lb1EPKiPiPKlPlN2at6native12_GLOBAL__N_18offset_tEEE10hipError_tPvRmT1_PNSt15iterator_traitsISK_E10value_typeET2_T3_PNSL_ISQ_E10value_typeET4_jRbjT5_SW_jjP12ihipStream_tbEUlT_E1_NS1_11comp_targetILNS1_3genE2ELNS1_11target_archE906ELNS1_3gpuE6ELNS1_3repE0EEENS1_59segmented_radix_sort_warp_sort_small_config_static_selectorELNS0_4arch9wavefront6targetE0EEEvSK_.uses_vcc, 0
	.set _ZN7rocprim17ROCPRIM_400000_NS6detail17trampoline_kernelINS0_14default_configENS1_36segmented_radix_sort_config_selectorIilEEZNS1_25segmented_radix_sort_implIS3_Lb1EPKiPiPKlPlN2at6native12_GLOBAL__N_18offset_tEEE10hipError_tPvRmT1_PNSt15iterator_traitsISK_E10value_typeET2_T3_PNSL_ISQ_E10value_typeET4_jRbjT5_SW_jjP12ihipStream_tbEUlT_E1_NS1_11comp_targetILNS1_3genE2ELNS1_11target_archE906ELNS1_3gpuE6ELNS1_3repE0EEENS1_59segmented_radix_sort_warp_sort_small_config_static_selectorELNS0_4arch9wavefront6targetE0EEEvSK_.uses_flat_scratch, 0
	.set _ZN7rocprim17ROCPRIM_400000_NS6detail17trampoline_kernelINS0_14default_configENS1_36segmented_radix_sort_config_selectorIilEEZNS1_25segmented_radix_sort_implIS3_Lb1EPKiPiPKlPlN2at6native12_GLOBAL__N_18offset_tEEE10hipError_tPvRmT1_PNSt15iterator_traitsISK_E10value_typeET2_T3_PNSL_ISQ_E10value_typeET4_jRbjT5_SW_jjP12ihipStream_tbEUlT_E1_NS1_11comp_targetILNS1_3genE2ELNS1_11target_archE906ELNS1_3gpuE6ELNS1_3repE0EEENS1_59segmented_radix_sort_warp_sort_small_config_static_selectorELNS0_4arch9wavefront6targetE0EEEvSK_.has_dyn_sized_stack, 0
	.set _ZN7rocprim17ROCPRIM_400000_NS6detail17trampoline_kernelINS0_14default_configENS1_36segmented_radix_sort_config_selectorIilEEZNS1_25segmented_radix_sort_implIS3_Lb1EPKiPiPKlPlN2at6native12_GLOBAL__N_18offset_tEEE10hipError_tPvRmT1_PNSt15iterator_traitsISK_E10value_typeET2_T3_PNSL_ISQ_E10value_typeET4_jRbjT5_SW_jjP12ihipStream_tbEUlT_E1_NS1_11comp_targetILNS1_3genE2ELNS1_11target_archE906ELNS1_3gpuE6ELNS1_3repE0EEENS1_59segmented_radix_sort_warp_sort_small_config_static_selectorELNS0_4arch9wavefront6targetE0EEEvSK_.has_recursion, 0
	.set _ZN7rocprim17ROCPRIM_400000_NS6detail17trampoline_kernelINS0_14default_configENS1_36segmented_radix_sort_config_selectorIilEEZNS1_25segmented_radix_sort_implIS3_Lb1EPKiPiPKlPlN2at6native12_GLOBAL__N_18offset_tEEE10hipError_tPvRmT1_PNSt15iterator_traitsISK_E10value_typeET2_T3_PNSL_ISQ_E10value_typeET4_jRbjT5_SW_jjP12ihipStream_tbEUlT_E1_NS1_11comp_targetILNS1_3genE2ELNS1_11target_archE906ELNS1_3gpuE6ELNS1_3repE0EEENS1_59segmented_radix_sort_warp_sort_small_config_static_selectorELNS0_4arch9wavefront6targetE0EEEvSK_.has_indirect_call, 0
	.section	.AMDGPU.csdata,"",@progbits
; Kernel info:
; codeLenInByte = 0
; TotalNumSgprs: 0
; NumVgprs: 0
; ScratchSize: 0
; MemoryBound: 0
; FloatMode: 240
; IeeeMode: 1
; LDSByteSize: 0 bytes/workgroup (compile time only)
; SGPRBlocks: 0
; VGPRBlocks: 0
; NumSGPRsForWavesPerEU: 1
; NumVGPRsForWavesPerEU: 1
; NamedBarCnt: 0
; Occupancy: 16
; WaveLimiterHint : 0
; COMPUTE_PGM_RSRC2:SCRATCH_EN: 0
; COMPUTE_PGM_RSRC2:USER_SGPR: 2
; COMPUTE_PGM_RSRC2:TRAP_HANDLER: 0
; COMPUTE_PGM_RSRC2:TGID_X_EN: 1
; COMPUTE_PGM_RSRC2:TGID_Y_EN: 0
; COMPUTE_PGM_RSRC2:TGID_Z_EN: 0
; COMPUTE_PGM_RSRC2:TIDIG_COMP_CNT: 0
	.section	.text._ZN7rocprim17ROCPRIM_400000_NS6detail17trampoline_kernelINS0_14default_configENS1_36segmented_radix_sort_config_selectorIilEEZNS1_25segmented_radix_sort_implIS3_Lb1EPKiPiPKlPlN2at6native12_GLOBAL__N_18offset_tEEE10hipError_tPvRmT1_PNSt15iterator_traitsISK_E10value_typeET2_T3_PNSL_ISQ_E10value_typeET4_jRbjT5_SW_jjP12ihipStream_tbEUlT_E1_NS1_11comp_targetILNS1_3genE10ELNS1_11target_archE1201ELNS1_3gpuE5ELNS1_3repE0EEENS1_59segmented_radix_sort_warp_sort_small_config_static_selectorELNS0_4arch9wavefront6targetE0EEEvSK_,"axG",@progbits,_ZN7rocprim17ROCPRIM_400000_NS6detail17trampoline_kernelINS0_14default_configENS1_36segmented_radix_sort_config_selectorIilEEZNS1_25segmented_radix_sort_implIS3_Lb1EPKiPiPKlPlN2at6native12_GLOBAL__N_18offset_tEEE10hipError_tPvRmT1_PNSt15iterator_traitsISK_E10value_typeET2_T3_PNSL_ISQ_E10value_typeET4_jRbjT5_SW_jjP12ihipStream_tbEUlT_E1_NS1_11comp_targetILNS1_3genE10ELNS1_11target_archE1201ELNS1_3gpuE5ELNS1_3repE0EEENS1_59segmented_radix_sort_warp_sort_small_config_static_selectorELNS0_4arch9wavefront6targetE0EEEvSK_,comdat
	.globl	_ZN7rocprim17ROCPRIM_400000_NS6detail17trampoline_kernelINS0_14default_configENS1_36segmented_radix_sort_config_selectorIilEEZNS1_25segmented_radix_sort_implIS3_Lb1EPKiPiPKlPlN2at6native12_GLOBAL__N_18offset_tEEE10hipError_tPvRmT1_PNSt15iterator_traitsISK_E10value_typeET2_T3_PNSL_ISQ_E10value_typeET4_jRbjT5_SW_jjP12ihipStream_tbEUlT_E1_NS1_11comp_targetILNS1_3genE10ELNS1_11target_archE1201ELNS1_3gpuE5ELNS1_3repE0EEENS1_59segmented_radix_sort_warp_sort_small_config_static_selectorELNS0_4arch9wavefront6targetE0EEEvSK_ ; -- Begin function _ZN7rocprim17ROCPRIM_400000_NS6detail17trampoline_kernelINS0_14default_configENS1_36segmented_radix_sort_config_selectorIilEEZNS1_25segmented_radix_sort_implIS3_Lb1EPKiPiPKlPlN2at6native12_GLOBAL__N_18offset_tEEE10hipError_tPvRmT1_PNSt15iterator_traitsISK_E10value_typeET2_T3_PNSL_ISQ_E10value_typeET4_jRbjT5_SW_jjP12ihipStream_tbEUlT_E1_NS1_11comp_targetILNS1_3genE10ELNS1_11target_archE1201ELNS1_3gpuE5ELNS1_3repE0EEENS1_59segmented_radix_sort_warp_sort_small_config_static_selectorELNS0_4arch9wavefront6targetE0EEEvSK_
	.p2align	8
	.type	_ZN7rocprim17ROCPRIM_400000_NS6detail17trampoline_kernelINS0_14default_configENS1_36segmented_radix_sort_config_selectorIilEEZNS1_25segmented_radix_sort_implIS3_Lb1EPKiPiPKlPlN2at6native12_GLOBAL__N_18offset_tEEE10hipError_tPvRmT1_PNSt15iterator_traitsISK_E10value_typeET2_T3_PNSL_ISQ_E10value_typeET4_jRbjT5_SW_jjP12ihipStream_tbEUlT_E1_NS1_11comp_targetILNS1_3genE10ELNS1_11target_archE1201ELNS1_3gpuE5ELNS1_3repE0EEENS1_59segmented_radix_sort_warp_sort_small_config_static_selectorELNS0_4arch9wavefront6targetE0EEEvSK_,@function
_ZN7rocprim17ROCPRIM_400000_NS6detail17trampoline_kernelINS0_14default_configENS1_36segmented_radix_sort_config_selectorIilEEZNS1_25segmented_radix_sort_implIS3_Lb1EPKiPiPKlPlN2at6native12_GLOBAL__N_18offset_tEEE10hipError_tPvRmT1_PNSt15iterator_traitsISK_E10value_typeET2_T3_PNSL_ISQ_E10value_typeET4_jRbjT5_SW_jjP12ihipStream_tbEUlT_E1_NS1_11comp_targetILNS1_3genE10ELNS1_11target_archE1201ELNS1_3gpuE5ELNS1_3repE0EEENS1_59segmented_radix_sort_warp_sort_small_config_static_selectorELNS0_4arch9wavefront6targetE0EEEvSK_: ; @_ZN7rocprim17ROCPRIM_400000_NS6detail17trampoline_kernelINS0_14default_configENS1_36segmented_radix_sort_config_selectorIilEEZNS1_25segmented_radix_sort_implIS3_Lb1EPKiPiPKlPlN2at6native12_GLOBAL__N_18offset_tEEE10hipError_tPvRmT1_PNSt15iterator_traitsISK_E10value_typeET2_T3_PNSL_ISQ_E10value_typeET4_jRbjT5_SW_jjP12ihipStream_tbEUlT_E1_NS1_11comp_targetILNS1_3genE10ELNS1_11target_archE1201ELNS1_3gpuE5ELNS1_3repE0EEENS1_59segmented_radix_sort_warp_sort_small_config_static_selectorELNS0_4arch9wavefront6targetE0EEEvSK_
; %bb.0:
	.section	.rodata,"a",@progbits
	.p2align	6, 0x0
	.amdhsa_kernel _ZN7rocprim17ROCPRIM_400000_NS6detail17trampoline_kernelINS0_14default_configENS1_36segmented_radix_sort_config_selectorIilEEZNS1_25segmented_radix_sort_implIS3_Lb1EPKiPiPKlPlN2at6native12_GLOBAL__N_18offset_tEEE10hipError_tPvRmT1_PNSt15iterator_traitsISK_E10value_typeET2_T3_PNSL_ISQ_E10value_typeET4_jRbjT5_SW_jjP12ihipStream_tbEUlT_E1_NS1_11comp_targetILNS1_3genE10ELNS1_11target_archE1201ELNS1_3gpuE5ELNS1_3repE0EEENS1_59segmented_radix_sort_warp_sort_small_config_static_selectorELNS0_4arch9wavefront6targetE0EEEvSK_
		.amdhsa_group_segment_fixed_size 0
		.amdhsa_private_segment_fixed_size 0
		.amdhsa_kernarg_size 88
		.amdhsa_user_sgpr_count 2
		.amdhsa_user_sgpr_dispatch_ptr 0
		.amdhsa_user_sgpr_queue_ptr 0
		.amdhsa_user_sgpr_kernarg_segment_ptr 1
		.amdhsa_user_sgpr_dispatch_id 0
		.amdhsa_user_sgpr_kernarg_preload_length 0
		.amdhsa_user_sgpr_kernarg_preload_offset 0
		.amdhsa_user_sgpr_private_segment_size 0
		.amdhsa_wavefront_size32 1
		.amdhsa_uses_dynamic_stack 0
		.amdhsa_enable_private_segment 0
		.amdhsa_system_sgpr_workgroup_id_x 1
		.amdhsa_system_sgpr_workgroup_id_y 0
		.amdhsa_system_sgpr_workgroup_id_z 0
		.amdhsa_system_sgpr_workgroup_info 0
		.amdhsa_system_vgpr_workitem_id 0
		.amdhsa_next_free_vgpr 1
		.amdhsa_next_free_sgpr 1
		.amdhsa_named_barrier_count 0
		.amdhsa_reserve_vcc 0
		.amdhsa_float_round_mode_32 0
		.amdhsa_float_round_mode_16_64 0
		.amdhsa_float_denorm_mode_32 3
		.amdhsa_float_denorm_mode_16_64 3
		.amdhsa_fp16_overflow 0
		.amdhsa_memory_ordered 1
		.amdhsa_forward_progress 1
		.amdhsa_inst_pref_size 0
		.amdhsa_round_robin_scheduling 0
		.amdhsa_exception_fp_ieee_invalid_op 0
		.amdhsa_exception_fp_denorm_src 0
		.amdhsa_exception_fp_ieee_div_zero 0
		.amdhsa_exception_fp_ieee_overflow 0
		.amdhsa_exception_fp_ieee_underflow 0
		.amdhsa_exception_fp_ieee_inexact 0
		.amdhsa_exception_int_div_zero 0
	.end_amdhsa_kernel
	.section	.text._ZN7rocprim17ROCPRIM_400000_NS6detail17trampoline_kernelINS0_14default_configENS1_36segmented_radix_sort_config_selectorIilEEZNS1_25segmented_radix_sort_implIS3_Lb1EPKiPiPKlPlN2at6native12_GLOBAL__N_18offset_tEEE10hipError_tPvRmT1_PNSt15iterator_traitsISK_E10value_typeET2_T3_PNSL_ISQ_E10value_typeET4_jRbjT5_SW_jjP12ihipStream_tbEUlT_E1_NS1_11comp_targetILNS1_3genE10ELNS1_11target_archE1201ELNS1_3gpuE5ELNS1_3repE0EEENS1_59segmented_radix_sort_warp_sort_small_config_static_selectorELNS0_4arch9wavefront6targetE0EEEvSK_,"axG",@progbits,_ZN7rocprim17ROCPRIM_400000_NS6detail17trampoline_kernelINS0_14default_configENS1_36segmented_radix_sort_config_selectorIilEEZNS1_25segmented_radix_sort_implIS3_Lb1EPKiPiPKlPlN2at6native12_GLOBAL__N_18offset_tEEE10hipError_tPvRmT1_PNSt15iterator_traitsISK_E10value_typeET2_T3_PNSL_ISQ_E10value_typeET4_jRbjT5_SW_jjP12ihipStream_tbEUlT_E1_NS1_11comp_targetILNS1_3genE10ELNS1_11target_archE1201ELNS1_3gpuE5ELNS1_3repE0EEENS1_59segmented_radix_sort_warp_sort_small_config_static_selectorELNS0_4arch9wavefront6targetE0EEEvSK_,comdat
.Lfunc_end519:
	.size	_ZN7rocprim17ROCPRIM_400000_NS6detail17trampoline_kernelINS0_14default_configENS1_36segmented_radix_sort_config_selectorIilEEZNS1_25segmented_radix_sort_implIS3_Lb1EPKiPiPKlPlN2at6native12_GLOBAL__N_18offset_tEEE10hipError_tPvRmT1_PNSt15iterator_traitsISK_E10value_typeET2_T3_PNSL_ISQ_E10value_typeET4_jRbjT5_SW_jjP12ihipStream_tbEUlT_E1_NS1_11comp_targetILNS1_3genE10ELNS1_11target_archE1201ELNS1_3gpuE5ELNS1_3repE0EEENS1_59segmented_radix_sort_warp_sort_small_config_static_selectorELNS0_4arch9wavefront6targetE0EEEvSK_, .Lfunc_end519-_ZN7rocprim17ROCPRIM_400000_NS6detail17trampoline_kernelINS0_14default_configENS1_36segmented_radix_sort_config_selectorIilEEZNS1_25segmented_radix_sort_implIS3_Lb1EPKiPiPKlPlN2at6native12_GLOBAL__N_18offset_tEEE10hipError_tPvRmT1_PNSt15iterator_traitsISK_E10value_typeET2_T3_PNSL_ISQ_E10value_typeET4_jRbjT5_SW_jjP12ihipStream_tbEUlT_E1_NS1_11comp_targetILNS1_3genE10ELNS1_11target_archE1201ELNS1_3gpuE5ELNS1_3repE0EEENS1_59segmented_radix_sort_warp_sort_small_config_static_selectorELNS0_4arch9wavefront6targetE0EEEvSK_
                                        ; -- End function
	.set _ZN7rocprim17ROCPRIM_400000_NS6detail17trampoline_kernelINS0_14default_configENS1_36segmented_radix_sort_config_selectorIilEEZNS1_25segmented_radix_sort_implIS3_Lb1EPKiPiPKlPlN2at6native12_GLOBAL__N_18offset_tEEE10hipError_tPvRmT1_PNSt15iterator_traitsISK_E10value_typeET2_T3_PNSL_ISQ_E10value_typeET4_jRbjT5_SW_jjP12ihipStream_tbEUlT_E1_NS1_11comp_targetILNS1_3genE10ELNS1_11target_archE1201ELNS1_3gpuE5ELNS1_3repE0EEENS1_59segmented_radix_sort_warp_sort_small_config_static_selectorELNS0_4arch9wavefront6targetE0EEEvSK_.num_vgpr, 0
	.set _ZN7rocprim17ROCPRIM_400000_NS6detail17trampoline_kernelINS0_14default_configENS1_36segmented_radix_sort_config_selectorIilEEZNS1_25segmented_radix_sort_implIS3_Lb1EPKiPiPKlPlN2at6native12_GLOBAL__N_18offset_tEEE10hipError_tPvRmT1_PNSt15iterator_traitsISK_E10value_typeET2_T3_PNSL_ISQ_E10value_typeET4_jRbjT5_SW_jjP12ihipStream_tbEUlT_E1_NS1_11comp_targetILNS1_3genE10ELNS1_11target_archE1201ELNS1_3gpuE5ELNS1_3repE0EEENS1_59segmented_radix_sort_warp_sort_small_config_static_selectorELNS0_4arch9wavefront6targetE0EEEvSK_.num_agpr, 0
	.set _ZN7rocprim17ROCPRIM_400000_NS6detail17trampoline_kernelINS0_14default_configENS1_36segmented_radix_sort_config_selectorIilEEZNS1_25segmented_radix_sort_implIS3_Lb1EPKiPiPKlPlN2at6native12_GLOBAL__N_18offset_tEEE10hipError_tPvRmT1_PNSt15iterator_traitsISK_E10value_typeET2_T3_PNSL_ISQ_E10value_typeET4_jRbjT5_SW_jjP12ihipStream_tbEUlT_E1_NS1_11comp_targetILNS1_3genE10ELNS1_11target_archE1201ELNS1_3gpuE5ELNS1_3repE0EEENS1_59segmented_radix_sort_warp_sort_small_config_static_selectorELNS0_4arch9wavefront6targetE0EEEvSK_.numbered_sgpr, 0
	.set _ZN7rocprim17ROCPRIM_400000_NS6detail17trampoline_kernelINS0_14default_configENS1_36segmented_radix_sort_config_selectorIilEEZNS1_25segmented_radix_sort_implIS3_Lb1EPKiPiPKlPlN2at6native12_GLOBAL__N_18offset_tEEE10hipError_tPvRmT1_PNSt15iterator_traitsISK_E10value_typeET2_T3_PNSL_ISQ_E10value_typeET4_jRbjT5_SW_jjP12ihipStream_tbEUlT_E1_NS1_11comp_targetILNS1_3genE10ELNS1_11target_archE1201ELNS1_3gpuE5ELNS1_3repE0EEENS1_59segmented_radix_sort_warp_sort_small_config_static_selectorELNS0_4arch9wavefront6targetE0EEEvSK_.num_named_barrier, 0
	.set _ZN7rocprim17ROCPRIM_400000_NS6detail17trampoline_kernelINS0_14default_configENS1_36segmented_radix_sort_config_selectorIilEEZNS1_25segmented_radix_sort_implIS3_Lb1EPKiPiPKlPlN2at6native12_GLOBAL__N_18offset_tEEE10hipError_tPvRmT1_PNSt15iterator_traitsISK_E10value_typeET2_T3_PNSL_ISQ_E10value_typeET4_jRbjT5_SW_jjP12ihipStream_tbEUlT_E1_NS1_11comp_targetILNS1_3genE10ELNS1_11target_archE1201ELNS1_3gpuE5ELNS1_3repE0EEENS1_59segmented_radix_sort_warp_sort_small_config_static_selectorELNS0_4arch9wavefront6targetE0EEEvSK_.private_seg_size, 0
	.set _ZN7rocprim17ROCPRIM_400000_NS6detail17trampoline_kernelINS0_14default_configENS1_36segmented_radix_sort_config_selectorIilEEZNS1_25segmented_radix_sort_implIS3_Lb1EPKiPiPKlPlN2at6native12_GLOBAL__N_18offset_tEEE10hipError_tPvRmT1_PNSt15iterator_traitsISK_E10value_typeET2_T3_PNSL_ISQ_E10value_typeET4_jRbjT5_SW_jjP12ihipStream_tbEUlT_E1_NS1_11comp_targetILNS1_3genE10ELNS1_11target_archE1201ELNS1_3gpuE5ELNS1_3repE0EEENS1_59segmented_radix_sort_warp_sort_small_config_static_selectorELNS0_4arch9wavefront6targetE0EEEvSK_.uses_vcc, 0
	.set _ZN7rocprim17ROCPRIM_400000_NS6detail17trampoline_kernelINS0_14default_configENS1_36segmented_radix_sort_config_selectorIilEEZNS1_25segmented_radix_sort_implIS3_Lb1EPKiPiPKlPlN2at6native12_GLOBAL__N_18offset_tEEE10hipError_tPvRmT1_PNSt15iterator_traitsISK_E10value_typeET2_T3_PNSL_ISQ_E10value_typeET4_jRbjT5_SW_jjP12ihipStream_tbEUlT_E1_NS1_11comp_targetILNS1_3genE10ELNS1_11target_archE1201ELNS1_3gpuE5ELNS1_3repE0EEENS1_59segmented_radix_sort_warp_sort_small_config_static_selectorELNS0_4arch9wavefront6targetE0EEEvSK_.uses_flat_scratch, 0
	.set _ZN7rocprim17ROCPRIM_400000_NS6detail17trampoline_kernelINS0_14default_configENS1_36segmented_radix_sort_config_selectorIilEEZNS1_25segmented_radix_sort_implIS3_Lb1EPKiPiPKlPlN2at6native12_GLOBAL__N_18offset_tEEE10hipError_tPvRmT1_PNSt15iterator_traitsISK_E10value_typeET2_T3_PNSL_ISQ_E10value_typeET4_jRbjT5_SW_jjP12ihipStream_tbEUlT_E1_NS1_11comp_targetILNS1_3genE10ELNS1_11target_archE1201ELNS1_3gpuE5ELNS1_3repE0EEENS1_59segmented_radix_sort_warp_sort_small_config_static_selectorELNS0_4arch9wavefront6targetE0EEEvSK_.has_dyn_sized_stack, 0
	.set _ZN7rocprim17ROCPRIM_400000_NS6detail17trampoline_kernelINS0_14default_configENS1_36segmented_radix_sort_config_selectorIilEEZNS1_25segmented_radix_sort_implIS3_Lb1EPKiPiPKlPlN2at6native12_GLOBAL__N_18offset_tEEE10hipError_tPvRmT1_PNSt15iterator_traitsISK_E10value_typeET2_T3_PNSL_ISQ_E10value_typeET4_jRbjT5_SW_jjP12ihipStream_tbEUlT_E1_NS1_11comp_targetILNS1_3genE10ELNS1_11target_archE1201ELNS1_3gpuE5ELNS1_3repE0EEENS1_59segmented_radix_sort_warp_sort_small_config_static_selectorELNS0_4arch9wavefront6targetE0EEEvSK_.has_recursion, 0
	.set _ZN7rocprim17ROCPRIM_400000_NS6detail17trampoline_kernelINS0_14default_configENS1_36segmented_radix_sort_config_selectorIilEEZNS1_25segmented_radix_sort_implIS3_Lb1EPKiPiPKlPlN2at6native12_GLOBAL__N_18offset_tEEE10hipError_tPvRmT1_PNSt15iterator_traitsISK_E10value_typeET2_T3_PNSL_ISQ_E10value_typeET4_jRbjT5_SW_jjP12ihipStream_tbEUlT_E1_NS1_11comp_targetILNS1_3genE10ELNS1_11target_archE1201ELNS1_3gpuE5ELNS1_3repE0EEENS1_59segmented_radix_sort_warp_sort_small_config_static_selectorELNS0_4arch9wavefront6targetE0EEEvSK_.has_indirect_call, 0
	.section	.AMDGPU.csdata,"",@progbits
; Kernel info:
; codeLenInByte = 0
; TotalNumSgprs: 0
; NumVgprs: 0
; ScratchSize: 0
; MemoryBound: 0
; FloatMode: 240
; IeeeMode: 1
; LDSByteSize: 0 bytes/workgroup (compile time only)
; SGPRBlocks: 0
; VGPRBlocks: 0
; NumSGPRsForWavesPerEU: 1
; NumVGPRsForWavesPerEU: 1
; NamedBarCnt: 0
; Occupancy: 16
; WaveLimiterHint : 0
; COMPUTE_PGM_RSRC2:SCRATCH_EN: 0
; COMPUTE_PGM_RSRC2:USER_SGPR: 2
; COMPUTE_PGM_RSRC2:TRAP_HANDLER: 0
; COMPUTE_PGM_RSRC2:TGID_X_EN: 1
; COMPUTE_PGM_RSRC2:TGID_Y_EN: 0
; COMPUTE_PGM_RSRC2:TGID_Z_EN: 0
; COMPUTE_PGM_RSRC2:TIDIG_COMP_CNT: 0
	.section	.text._ZN7rocprim17ROCPRIM_400000_NS6detail17trampoline_kernelINS0_14default_configENS1_36segmented_radix_sort_config_selectorIilEEZNS1_25segmented_radix_sort_implIS3_Lb1EPKiPiPKlPlN2at6native12_GLOBAL__N_18offset_tEEE10hipError_tPvRmT1_PNSt15iterator_traitsISK_E10value_typeET2_T3_PNSL_ISQ_E10value_typeET4_jRbjT5_SW_jjP12ihipStream_tbEUlT_E1_NS1_11comp_targetILNS1_3genE10ELNS1_11target_archE1200ELNS1_3gpuE4ELNS1_3repE0EEENS1_59segmented_radix_sort_warp_sort_small_config_static_selectorELNS0_4arch9wavefront6targetE0EEEvSK_,"axG",@progbits,_ZN7rocprim17ROCPRIM_400000_NS6detail17trampoline_kernelINS0_14default_configENS1_36segmented_radix_sort_config_selectorIilEEZNS1_25segmented_radix_sort_implIS3_Lb1EPKiPiPKlPlN2at6native12_GLOBAL__N_18offset_tEEE10hipError_tPvRmT1_PNSt15iterator_traitsISK_E10value_typeET2_T3_PNSL_ISQ_E10value_typeET4_jRbjT5_SW_jjP12ihipStream_tbEUlT_E1_NS1_11comp_targetILNS1_3genE10ELNS1_11target_archE1200ELNS1_3gpuE4ELNS1_3repE0EEENS1_59segmented_radix_sort_warp_sort_small_config_static_selectorELNS0_4arch9wavefront6targetE0EEEvSK_,comdat
	.globl	_ZN7rocprim17ROCPRIM_400000_NS6detail17trampoline_kernelINS0_14default_configENS1_36segmented_radix_sort_config_selectorIilEEZNS1_25segmented_radix_sort_implIS3_Lb1EPKiPiPKlPlN2at6native12_GLOBAL__N_18offset_tEEE10hipError_tPvRmT1_PNSt15iterator_traitsISK_E10value_typeET2_T3_PNSL_ISQ_E10value_typeET4_jRbjT5_SW_jjP12ihipStream_tbEUlT_E1_NS1_11comp_targetILNS1_3genE10ELNS1_11target_archE1200ELNS1_3gpuE4ELNS1_3repE0EEENS1_59segmented_radix_sort_warp_sort_small_config_static_selectorELNS0_4arch9wavefront6targetE0EEEvSK_ ; -- Begin function _ZN7rocprim17ROCPRIM_400000_NS6detail17trampoline_kernelINS0_14default_configENS1_36segmented_radix_sort_config_selectorIilEEZNS1_25segmented_radix_sort_implIS3_Lb1EPKiPiPKlPlN2at6native12_GLOBAL__N_18offset_tEEE10hipError_tPvRmT1_PNSt15iterator_traitsISK_E10value_typeET2_T3_PNSL_ISQ_E10value_typeET4_jRbjT5_SW_jjP12ihipStream_tbEUlT_E1_NS1_11comp_targetILNS1_3genE10ELNS1_11target_archE1200ELNS1_3gpuE4ELNS1_3repE0EEENS1_59segmented_radix_sort_warp_sort_small_config_static_selectorELNS0_4arch9wavefront6targetE0EEEvSK_
	.p2align	8
	.type	_ZN7rocprim17ROCPRIM_400000_NS6detail17trampoline_kernelINS0_14default_configENS1_36segmented_radix_sort_config_selectorIilEEZNS1_25segmented_radix_sort_implIS3_Lb1EPKiPiPKlPlN2at6native12_GLOBAL__N_18offset_tEEE10hipError_tPvRmT1_PNSt15iterator_traitsISK_E10value_typeET2_T3_PNSL_ISQ_E10value_typeET4_jRbjT5_SW_jjP12ihipStream_tbEUlT_E1_NS1_11comp_targetILNS1_3genE10ELNS1_11target_archE1200ELNS1_3gpuE4ELNS1_3repE0EEENS1_59segmented_radix_sort_warp_sort_small_config_static_selectorELNS0_4arch9wavefront6targetE0EEEvSK_,@function
_ZN7rocprim17ROCPRIM_400000_NS6detail17trampoline_kernelINS0_14default_configENS1_36segmented_radix_sort_config_selectorIilEEZNS1_25segmented_radix_sort_implIS3_Lb1EPKiPiPKlPlN2at6native12_GLOBAL__N_18offset_tEEE10hipError_tPvRmT1_PNSt15iterator_traitsISK_E10value_typeET2_T3_PNSL_ISQ_E10value_typeET4_jRbjT5_SW_jjP12ihipStream_tbEUlT_E1_NS1_11comp_targetILNS1_3genE10ELNS1_11target_archE1200ELNS1_3gpuE4ELNS1_3repE0EEENS1_59segmented_radix_sort_warp_sort_small_config_static_selectorELNS0_4arch9wavefront6targetE0EEEvSK_: ; @_ZN7rocprim17ROCPRIM_400000_NS6detail17trampoline_kernelINS0_14default_configENS1_36segmented_radix_sort_config_selectorIilEEZNS1_25segmented_radix_sort_implIS3_Lb1EPKiPiPKlPlN2at6native12_GLOBAL__N_18offset_tEEE10hipError_tPvRmT1_PNSt15iterator_traitsISK_E10value_typeET2_T3_PNSL_ISQ_E10value_typeET4_jRbjT5_SW_jjP12ihipStream_tbEUlT_E1_NS1_11comp_targetILNS1_3genE10ELNS1_11target_archE1200ELNS1_3gpuE4ELNS1_3repE0EEENS1_59segmented_radix_sort_warp_sort_small_config_static_selectorELNS0_4arch9wavefront6targetE0EEEvSK_
; %bb.0:
	.section	.rodata,"a",@progbits
	.p2align	6, 0x0
	.amdhsa_kernel _ZN7rocprim17ROCPRIM_400000_NS6detail17trampoline_kernelINS0_14default_configENS1_36segmented_radix_sort_config_selectorIilEEZNS1_25segmented_radix_sort_implIS3_Lb1EPKiPiPKlPlN2at6native12_GLOBAL__N_18offset_tEEE10hipError_tPvRmT1_PNSt15iterator_traitsISK_E10value_typeET2_T3_PNSL_ISQ_E10value_typeET4_jRbjT5_SW_jjP12ihipStream_tbEUlT_E1_NS1_11comp_targetILNS1_3genE10ELNS1_11target_archE1200ELNS1_3gpuE4ELNS1_3repE0EEENS1_59segmented_radix_sort_warp_sort_small_config_static_selectorELNS0_4arch9wavefront6targetE0EEEvSK_
		.amdhsa_group_segment_fixed_size 0
		.amdhsa_private_segment_fixed_size 0
		.amdhsa_kernarg_size 88
		.amdhsa_user_sgpr_count 2
		.amdhsa_user_sgpr_dispatch_ptr 0
		.amdhsa_user_sgpr_queue_ptr 0
		.amdhsa_user_sgpr_kernarg_segment_ptr 1
		.amdhsa_user_sgpr_dispatch_id 0
		.amdhsa_user_sgpr_kernarg_preload_length 0
		.amdhsa_user_sgpr_kernarg_preload_offset 0
		.amdhsa_user_sgpr_private_segment_size 0
		.amdhsa_wavefront_size32 1
		.amdhsa_uses_dynamic_stack 0
		.amdhsa_enable_private_segment 0
		.amdhsa_system_sgpr_workgroup_id_x 1
		.amdhsa_system_sgpr_workgroup_id_y 0
		.amdhsa_system_sgpr_workgroup_id_z 0
		.amdhsa_system_sgpr_workgroup_info 0
		.amdhsa_system_vgpr_workitem_id 0
		.amdhsa_next_free_vgpr 1
		.amdhsa_next_free_sgpr 1
		.amdhsa_named_barrier_count 0
		.amdhsa_reserve_vcc 0
		.amdhsa_float_round_mode_32 0
		.amdhsa_float_round_mode_16_64 0
		.amdhsa_float_denorm_mode_32 3
		.amdhsa_float_denorm_mode_16_64 3
		.amdhsa_fp16_overflow 0
		.amdhsa_memory_ordered 1
		.amdhsa_forward_progress 1
		.amdhsa_inst_pref_size 0
		.amdhsa_round_robin_scheduling 0
		.amdhsa_exception_fp_ieee_invalid_op 0
		.amdhsa_exception_fp_denorm_src 0
		.amdhsa_exception_fp_ieee_div_zero 0
		.amdhsa_exception_fp_ieee_overflow 0
		.amdhsa_exception_fp_ieee_underflow 0
		.amdhsa_exception_fp_ieee_inexact 0
		.amdhsa_exception_int_div_zero 0
	.end_amdhsa_kernel
	.section	.text._ZN7rocprim17ROCPRIM_400000_NS6detail17trampoline_kernelINS0_14default_configENS1_36segmented_radix_sort_config_selectorIilEEZNS1_25segmented_radix_sort_implIS3_Lb1EPKiPiPKlPlN2at6native12_GLOBAL__N_18offset_tEEE10hipError_tPvRmT1_PNSt15iterator_traitsISK_E10value_typeET2_T3_PNSL_ISQ_E10value_typeET4_jRbjT5_SW_jjP12ihipStream_tbEUlT_E1_NS1_11comp_targetILNS1_3genE10ELNS1_11target_archE1200ELNS1_3gpuE4ELNS1_3repE0EEENS1_59segmented_radix_sort_warp_sort_small_config_static_selectorELNS0_4arch9wavefront6targetE0EEEvSK_,"axG",@progbits,_ZN7rocprim17ROCPRIM_400000_NS6detail17trampoline_kernelINS0_14default_configENS1_36segmented_radix_sort_config_selectorIilEEZNS1_25segmented_radix_sort_implIS3_Lb1EPKiPiPKlPlN2at6native12_GLOBAL__N_18offset_tEEE10hipError_tPvRmT1_PNSt15iterator_traitsISK_E10value_typeET2_T3_PNSL_ISQ_E10value_typeET4_jRbjT5_SW_jjP12ihipStream_tbEUlT_E1_NS1_11comp_targetILNS1_3genE10ELNS1_11target_archE1200ELNS1_3gpuE4ELNS1_3repE0EEENS1_59segmented_radix_sort_warp_sort_small_config_static_selectorELNS0_4arch9wavefront6targetE0EEEvSK_,comdat
.Lfunc_end520:
	.size	_ZN7rocprim17ROCPRIM_400000_NS6detail17trampoline_kernelINS0_14default_configENS1_36segmented_radix_sort_config_selectorIilEEZNS1_25segmented_radix_sort_implIS3_Lb1EPKiPiPKlPlN2at6native12_GLOBAL__N_18offset_tEEE10hipError_tPvRmT1_PNSt15iterator_traitsISK_E10value_typeET2_T3_PNSL_ISQ_E10value_typeET4_jRbjT5_SW_jjP12ihipStream_tbEUlT_E1_NS1_11comp_targetILNS1_3genE10ELNS1_11target_archE1200ELNS1_3gpuE4ELNS1_3repE0EEENS1_59segmented_radix_sort_warp_sort_small_config_static_selectorELNS0_4arch9wavefront6targetE0EEEvSK_, .Lfunc_end520-_ZN7rocprim17ROCPRIM_400000_NS6detail17trampoline_kernelINS0_14default_configENS1_36segmented_radix_sort_config_selectorIilEEZNS1_25segmented_radix_sort_implIS3_Lb1EPKiPiPKlPlN2at6native12_GLOBAL__N_18offset_tEEE10hipError_tPvRmT1_PNSt15iterator_traitsISK_E10value_typeET2_T3_PNSL_ISQ_E10value_typeET4_jRbjT5_SW_jjP12ihipStream_tbEUlT_E1_NS1_11comp_targetILNS1_3genE10ELNS1_11target_archE1200ELNS1_3gpuE4ELNS1_3repE0EEENS1_59segmented_radix_sort_warp_sort_small_config_static_selectorELNS0_4arch9wavefront6targetE0EEEvSK_
                                        ; -- End function
	.set _ZN7rocprim17ROCPRIM_400000_NS6detail17trampoline_kernelINS0_14default_configENS1_36segmented_radix_sort_config_selectorIilEEZNS1_25segmented_radix_sort_implIS3_Lb1EPKiPiPKlPlN2at6native12_GLOBAL__N_18offset_tEEE10hipError_tPvRmT1_PNSt15iterator_traitsISK_E10value_typeET2_T3_PNSL_ISQ_E10value_typeET4_jRbjT5_SW_jjP12ihipStream_tbEUlT_E1_NS1_11comp_targetILNS1_3genE10ELNS1_11target_archE1200ELNS1_3gpuE4ELNS1_3repE0EEENS1_59segmented_radix_sort_warp_sort_small_config_static_selectorELNS0_4arch9wavefront6targetE0EEEvSK_.num_vgpr, 0
	.set _ZN7rocprim17ROCPRIM_400000_NS6detail17trampoline_kernelINS0_14default_configENS1_36segmented_radix_sort_config_selectorIilEEZNS1_25segmented_radix_sort_implIS3_Lb1EPKiPiPKlPlN2at6native12_GLOBAL__N_18offset_tEEE10hipError_tPvRmT1_PNSt15iterator_traitsISK_E10value_typeET2_T3_PNSL_ISQ_E10value_typeET4_jRbjT5_SW_jjP12ihipStream_tbEUlT_E1_NS1_11comp_targetILNS1_3genE10ELNS1_11target_archE1200ELNS1_3gpuE4ELNS1_3repE0EEENS1_59segmented_radix_sort_warp_sort_small_config_static_selectorELNS0_4arch9wavefront6targetE0EEEvSK_.num_agpr, 0
	.set _ZN7rocprim17ROCPRIM_400000_NS6detail17trampoline_kernelINS0_14default_configENS1_36segmented_radix_sort_config_selectorIilEEZNS1_25segmented_radix_sort_implIS3_Lb1EPKiPiPKlPlN2at6native12_GLOBAL__N_18offset_tEEE10hipError_tPvRmT1_PNSt15iterator_traitsISK_E10value_typeET2_T3_PNSL_ISQ_E10value_typeET4_jRbjT5_SW_jjP12ihipStream_tbEUlT_E1_NS1_11comp_targetILNS1_3genE10ELNS1_11target_archE1200ELNS1_3gpuE4ELNS1_3repE0EEENS1_59segmented_radix_sort_warp_sort_small_config_static_selectorELNS0_4arch9wavefront6targetE0EEEvSK_.numbered_sgpr, 0
	.set _ZN7rocprim17ROCPRIM_400000_NS6detail17trampoline_kernelINS0_14default_configENS1_36segmented_radix_sort_config_selectorIilEEZNS1_25segmented_radix_sort_implIS3_Lb1EPKiPiPKlPlN2at6native12_GLOBAL__N_18offset_tEEE10hipError_tPvRmT1_PNSt15iterator_traitsISK_E10value_typeET2_T3_PNSL_ISQ_E10value_typeET4_jRbjT5_SW_jjP12ihipStream_tbEUlT_E1_NS1_11comp_targetILNS1_3genE10ELNS1_11target_archE1200ELNS1_3gpuE4ELNS1_3repE0EEENS1_59segmented_radix_sort_warp_sort_small_config_static_selectorELNS0_4arch9wavefront6targetE0EEEvSK_.num_named_barrier, 0
	.set _ZN7rocprim17ROCPRIM_400000_NS6detail17trampoline_kernelINS0_14default_configENS1_36segmented_radix_sort_config_selectorIilEEZNS1_25segmented_radix_sort_implIS3_Lb1EPKiPiPKlPlN2at6native12_GLOBAL__N_18offset_tEEE10hipError_tPvRmT1_PNSt15iterator_traitsISK_E10value_typeET2_T3_PNSL_ISQ_E10value_typeET4_jRbjT5_SW_jjP12ihipStream_tbEUlT_E1_NS1_11comp_targetILNS1_3genE10ELNS1_11target_archE1200ELNS1_3gpuE4ELNS1_3repE0EEENS1_59segmented_radix_sort_warp_sort_small_config_static_selectorELNS0_4arch9wavefront6targetE0EEEvSK_.private_seg_size, 0
	.set _ZN7rocprim17ROCPRIM_400000_NS6detail17trampoline_kernelINS0_14default_configENS1_36segmented_radix_sort_config_selectorIilEEZNS1_25segmented_radix_sort_implIS3_Lb1EPKiPiPKlPlN2at6native12_GLOBAL__N_18offset_tEEE10hipError_tPvRmT1_PNSt15iterator_traitsISK_E10value_typeET2_T3_PNSL_ISQ_E10value_typeET4_jRbjT5_SW_jjP12ihipStream_tbEUlT_E1_NS1_11comp_targetILNS1_3genE10ELNS1_11target_archE1200ELNS1_3gpuE4ELNS1_3repE0EEENS1_59segmented_radix_sort_warp_sort_small_config_static_selectorELNS0_4arch9wavefront6targetE0EEEvSK_.uses_vcc, 0
	.set _ZN7rocprim17ROCPRIM_400000_NS6detail17trampoline_kernelINS0_14default_configENS1_36segmented_radix_sort_config_selectorIilEEZNS1_25segmented_radix_sort_implIS3_Lb1EPKiPiPKlPlN2at6native12_GLOBAL__N_18offset_tEEE10hipError_tPvRmT1_PNSt15iterator_traitsISK_E10value_typeET2_T3_PNSL_ISQ_E10value_typeET4_jRbjT5_SW_jjP12ihipStream_tbEUlT_E1_NS1_11comp_targetILNS1_3genE10ELNS1_11target_archE1200ELNS1_3gpuE4ELNS1_3repE0EEENS1_59segmented_radix_sort_warp_sort_small_config_static_selectorELNS0_4arch9wavefront6targetE0EEEvSK_.uses_flat_scratch, 0
	.set _ZN7rocprim17ROCPRIM_400000_NS6detail17trampoline_kernelINS0_14default_configENS1_36segmented_radix_sort_config_selectorIilEEZNS1_25segmented_radix_sort_implIS3_Lb1EPKiPiPKlPlN2at6native12_GLOBAL__N_18offset_tEEE10hipError_tPvRmT1_PNSt15iterator_traitsISK_E10value_typeET2_T3_PNSL_ISQ_E10value_typeET4_jRbjT5_SW_jjP12ihipStream_tbEUlT_E1_NS1_11comp_targetILNS1_3genE10ELNS1_11target_archE1200ELNS1_3gpuE4ELNS1_3repE0EEENS1_59segmented_radix_sort_warp_sort_small_config_static_selectorELNS0_4arch9wavefront6targetE0EEEvSK_.has_dyn_sized_stack, 0
	.set _ZN7rocprim17ROCPRIM_400000_NS6detail17trampoline_kernelINS0_14default_configENS1_36segmented_radix_sort_config_selectorIilEEZNS1_25segmented_radix_sort_implIS3_Lb1EPKiPiPKlPlN2at6native12_GLOBAL__N_18offset_tEEE10hipError_tPvRmT1_PNSt15iterator_traitsISK_E10value_typeET2_T3_PNSL_ISQ_E10value_typeET4_jRbjT5_SW_jjP12ihipStream_tbEUlT_E1_NS1_11comp_targetILNS1_3genE10ELNS1_11target_archE1200ELNS1_3gpuE4ELNS1_3repE0EEENS1_59segmented_radix_sort_warp_sort_small_config_static_selectorELNS0_4arch9wavefront6targetE0EEEvSK_.has_recursion, 0
	.set _ZN7rocprim17ROCPRIM_400000_NS6detail17trampoline_kernelINS0_14default_configENS1_36segmented_radix_sort_config_selectorIilEEZNS1_25segmented_radix_sort_implIS3_Lb1EPKiPiPKlPlN2at6native12_GLOBAL__N_18offset_tEEE10hipError_tPvRmT1_PNSt15iterator_traitsISK_E10value_typeET2_T3_PNSL_ISQ_E10value_typeET4_jRbjT5_SW_jjP12ihipStream_tbEUlT_E1_NS1_11comp_targetILNS1_3genE10ELNS1_11target_archE1200ELNS1_3gpuE4ELNS1_3repE0EEENS1_59segmented_radix_sort_warp_sort_small_config_static_selectorELNS0_4arch9wavefront6targetE0EEEvSK_.has_indirect_call, 0
	.section	.AMDGPU.csdata,"",@progbits
; Kernel info:
; codeLenInByte = 0
; TotalNumSgprs: 0
; NumVgprs: 0
; ScratchSize: 0
; MemoryBound: 0
; FloatMode: 240
; IeeeMode: 1
; LDSByteSize: 0 bytes/workgroup (compile time only)
; SGPRBlocks: 0
; VGPRBlocks: 0
; NumSGPRsForWavesPerEU: 1
; NumVGPRsForWavesPerEU: 1
; NamedBarCnt: 0
; Occupancy: 16
; WaveLimiterHint : 0
; COMPUTE_PGM_RSRC2:SCRATCH_EN: 0
; COMPUTE_PGM_RSRC2:USER_SGPR: 2
; COMPUTE_PGM_RSRC2:TRAP_HANDLER: 0
; COMPUTE_PGM_RSRC2:TGID_X_EN: 1
; COMPUTE_PGM_RSRC2:TGID_Y_EN: 0
; COMPUTE_PGM_RSRC2:TGID_Z_EN: 0
; COMPUTE_PGM_RSRC2:TIDIG_COMP_CNT: 0
	.section	.text._ZN7rocprim17ROCPRIM_400000_NS6detail17trampoline_kernelINS0_14default_configENS1_36segmented_radix_sort_config_selectorIilEEZNS1_25segmented_radix_sort_implIS3_Lb1EPKiPiPKlPlN2at6native12_GLOBAL__N_18offset_tEEE10hipError_tPvRmT1_PNSt15iterator_traitsISK_E10value_typeET2_T3_PNSL_ISQ_E10value_typeET4_jRbjT5_SW_jjP12ihipStream_tbEUlT_E1_NS1_11comp_targetILNS1_3genE9ELNS1_11target_archE1100ELNS1_3gpuE3ELNS1_3repE0EEENS1_59segmented_radix_sort_warp_sort_small_config_static_selectorELNS0_4arch9wavefront6targetE0EEEvSK_,"axG",@progbits,_ZN7rocprim17ROCPRIM_400000_NS6detail17trampoline_kernelINS0_14default_configENS1_36segmented_radix_sort_config_selectorIilEEZNS1_25segmented_radix_sort_implIS3_Lb1EPKiPiPKlPlN2at6native12_GLOBAL__N_18offset_tEEE10hipError_tPvRmT1_PNSt15iterator_traitsISK_E10value_typeET2_T3_PNSL_ISQ_E10value_typeET4_jRbjT5_SW_jjP12ihipStream_tbEUlT_E1_NS1_11comp_targetILNS1_3genE9ELNS1_11target_archE1100ELNS1_3gpuE3ELNS1_3repE0EEENS1_59segmented_radix_sort_warp_sort_small_config_static_selectorELNS0_4arch9wavefront6targetE0EEEvSK_,comdat
	.globl	_ZN7rocprim17ROCPRIM_400000_NS6detail17trampoline_kernelINS0_14default_configENS1_36segmented_radix_sort_config_selectorIilEEZNS1_25segmented_radix_sort_implIS3_Lb1EPKiPiPKlPlN2at6native12_GLOBAL__N_18offset_tEEE10hipError_tPvRmT1_PNSt15iterator_traitsISK_E10value_typeET2_T3_PNSL_ISQ_E10value_typeET4_jRbjT5_SW_jjP12ihipStream_tbEUlT_E1_NS1_11comp_targetILNS1_3genE9ELNS1_11target_archE1100ELNS1_3gpuE3ELNS1_3repE0EEENS1_59segmented_radix_sort_warp_sort_small_config_static_selectorELNS0_4arch9wavefront6targetE0EEEvSK_ ; -- Begin function _ZN7rocprim17ROCPRIM_400000_NS6detail17trampoline_kernelINS0_14default_configENS1_36segmented_radix_sort_config_selectorIilEEZNS1_25segmented_radix_sort_implIS3_Lb1EPKiPiPKlPlN2at6native12_GLOBAL__N_18offset_tEEE10hipError_tPvRmT1_PNSt15iterator_traitsISK_E10value_typeET2_T3_PNSL_ISQ_E10value_typeET4_jRbjT5_SW_jjP12ihipStream_tbEUlT_E1_NS1_11comp_targetILNS1_3genE9ELNS1_11target_archE1100ELNS1_3gpuE3ELNS1_3repE0EEENS1_59segmented_radix_sort_warp_sort_small_config_static_selectorELNS0_4arch9wavefront6targetE0EEEvSK_
	.p2align	8
	.type	_ZN7rocprim17ROCPRIM_400000_NS6detail17trampoline_kernelINS0_14default_configENS1_36segmented_radix_sort_config_selectorIilEEZNS1_25segmented_radix_sort_implIS3_Lb1EPKiPiPKlPlN2at6native12_GLOBAL__N_18offset_tEEE10hipError_tPvRmT1_PNSt15iterator_traitsISK_E10value_typeET2_T3_PNSL_ISQ_E10value_typeET4_jRbjT5_SW_jjP12ihipStream_tbEUlT_E1_NS1_11comp_targetILNS1_3genE9ELNS1_11target_archE1100ELNS1_3gpuE3ELNS1_3repE0EEENS1_59segmented_radix_sort_warp_sort_small_config_static_selectorELNS0_4arch9wavefront6targetE0EEEvSK_,@function
_ZN7rocprim17ROCPRIM_400000_NS6detail17trampoline_kernelINS0_14default_configENS1_36segmented_radix_sort_config_selectorIilEEZNS1_25segmented_radix_sort_implIS3_Lb1EPKiPiPKlPlN2at6native12_GLOBAL__N_18offset_tEEE10hipError_tPvRmT1_PNSt15iterator_traitsISK_E10value_typeET2_T3_PNSL_ISQ_E10value_typeET4_jRbjT5_SW_jjP12ihipStream_tbEUlT_E1_NS1_11comp_targetILNS1_3genE9ELNS1_11target_archE1100ELNS1_3gpuE3ELNS1_3repE0EEENS1_59segmented_radix_sort_warp_sort_small_config_static_selectorELNS0_4arch9wavefront6targetE0EEEvSK_: ; @_ZN7rocprim17ROCPRIM_400000_NS6detail17trampoline_kernelINS0_14default_configENS1_36segmented_radix_sort_config_selectorIilEEZNS1_25segmented_radix_sort_implIS3_Lb1EPKiPiPKlPlN2at6native12_GLOBAL__N_18offset_tEEE10hipError_tPvRmT1_PNSt15iterator_traitsISK_E10value_typeET2_T3_PNSL_ISQ_E10value_typeET4_jRbjT5_SW_jjP12ihipStream_tbEUlT_E1_NS1_11comp_targetILNS1_3genE9ELNS1_11target_archE1100ELNS1_3gpuE3ELNS1_3repE0EEENS1_59segmented_radix_sort_warp_sort_small_config_static_selectorELNS0_4arch9wavefront6targetE0EEEvSK_
; %bb.0:
	.section	.rodata,"a",@progbits
	.p2align	6, 0x0
	.amdhsa_kernel _ZN7rocprim17ROCPRIM_400000_NS6detail17trampoline_kernelINS0_14default_configENS1_36segmented_radix_sort_config_selectorIilEEZNS1_25segmented_radix_sort_implIS3_Lb1EPKiPiPKlPlN2at6native12_GLOBAL__N_18offset_tEEE10hipError_tPvRmT1_PNSt15iterator_traitsISK_E10value_typeET2_T3_PNSL_ISQ_E10value_typeET4_jRbjT5_SW_jjP12ihipStream_tbEUlT_E1_NS1_11comp_targetILNS1_3genE9ELNS1_11target_archE1100ELNS1_3gpuE3ELNS1_3repE0EEENS1_59segmented_radix_sort_warp_sort_small_config_static_selectorELNS0_4arch9wavefront6targetE0EEEvSK_
		.amdhsa_group_segment_fixed_size 0
		.amdhsa_private_segment_fixed_size 0
		.amdhsa_kernarg_size 88
		.amdhsa_user_sgpr_count 2
		.amdhsa_user_sgpr_dispatch_ptr 0
		.amdhsa_user_sgpr_queue_ptr 0
		.amdhsa_user_sgpr_kernarg_segment_ptr 1
		.amdhsa_user_sgpr_dispatch_id 0
		.amdhsa_user_sgpr_kernarg_preload_length 0
		.amdhsa_user_sgpr_kernarg_preload_offset 0
		.amdhsa_user_sgpr_private_segment_size 0
		.amdhsa_wavefront_size32 1
		.amdhsa_uses_dynamic_stack 0
		.amdhsa_enable_private_segment 0
		.amdhsa_system_sgpr_workgroup_id_x 1
		.amdhsa_system_sgpr_workgroup_id_y 0
		.amdhsa_system_sgpr_workgroup_id_z 0
		.amdhsa_system_sgpr_workgroup_info 0
		.amdhsa_system_vgpr_workitem_id 0
		.amdhsa_next_free_vgpr 1
		.amdhsa_next_free_sgpr 1
		.amdhsa_named_barrier_count 0
		.amdhsa_reserve_vcc 0
		.amdhsa_float_round_mode_32 0
		.amdhsa_float_round_mode_16_64 0
		.amdhsa_float_denorm_mode_32 3
		.amdhsa_float_denorm_mode_16_64 3
		.amdhsa_fp16_overflow 0
		.amdhsa_memory_ordered 1
		.amdhsa_forward_progress 1
		.amdhsa_inst_pref_size 0
		.amdhsa_round_robin_scheduling 0
		.amdhsa_exception_fp_ieee_invalid_op 0
		.amdhsa_exception_fp_denorm_src 0
		.amdhsa_exception_fp_ieee_div_zero 0
		.amdhsa_exception_fp_ieee_overflow 0
		.amdhsa_exception_fp_ieee_underflow 0
		.amdhsa_exception_fp_ieee_inexact 0
		.amdhsa_exception_int_div_zero 0
	.end_amdhsa_kernel
	.section	.text._ZN7rocprim17ROCPRIM_400000_NS6detail17trampoline_kernelINS0_14default_configENS1_36segmented_radix_sort_config_selectorIilEEZNS1_25segmented_radix_sort_implIS3_Lb1EPKiPiPKlPlN2at6native12_GLOBAL__N_18offset_tEEE10hipError_tPvRmT1_PNSt15iterator_traitsISK_E10value_typeET2_T3_PNSL_ISQ_E10value_typeET4_jRbjT5_SW_jjP12ihipStream_tbEUlT_E1_NS1_11comp_targetILNS1_3genE9ELNS1_11target_archE1100ELNS1_3gpuE3ELNS1_3repE0EEENS1_59segmented_radix_sort_warp_sort_small_config_static_selectorELNS0_4arch9wavefront6targetE0EEEvSK_,"axG",@progbits,_ZN7rocprim17ROCPRIM_400000_NS6detail17trampoline_kernelINS0_14default_configENS1_36segmented_radix_sort_config_selectorIilEEZNS1_25segmented_radix_sort_implIS3_Lb1EPKiPiPKlPlN2at6native12_GLOBAL__N_18offset_tEEE10hipError_tPvRmT1_PNSt15iterator_traitsISK_E10value_typeET2_T3_PNSL_ISQ_E10value_typeET4_jRbjT5_SW_jjP12ihipStream_tbEUlT_E1_NS1_11comp_targetILNS1_3genE9ELNS1_11target_archE1100ELNS1_3gpuE3ELNS1_3repE0EEENS1_59segmented_radix_sort_warp_sort_small_config_static_selectorELNS0_4arch9wavefront6targetE0EEEvSK_,comdat
.Lfunc_end521:
	.size	_ZN7rocprim17ROCPRIM_400000_NS6detail17trampoline_kernelINS0_14default_configENS1_36segmented_radix_sort_config_selectorIilEEZNS1_25segmented_radix_sort_implIS3_Lb1EPKiPiPKlPlN2at6native12_GLOBAL__N_18offset_tEEE10hipError_tPvRmT1_PNSt15iterator_traitsISK_E10value_typeET2_T3_PNSL_ISQ_E10value_typeET4_jRbjT5_SW_jjP12ihipStream_tbEUlT_E1_NS1_11comp_targetILNS1_3genE9ELNS1_11target_archE1100ELNS1_3gpuE3ELNS1_3repE0EEENS1_59segmented_radix_sort_warp_sort_small_config_static_selectorELNS0_4arch9wavefront6targetE0EEEvSK_, .Lfunc_end521-_ZN7rocprim17ROCPRIM_400000_NS6detail17trampoline_kernelINS0_14default_configENS1_36segmented_radix_sort_config_selectorIilEEZNS1_25segmented_radix_sort_implIS3_Lb1EPKiPiPKlPlN2at6native12_GLOBAL__N_18offset_tEEE10hipError_tPvRmT1_PNSt15iterator_traitsISK_E10value_typeET2_T3_PNSL_ISQ_E10value_typeET4_jRbjT5_SW_jjP12ihipStream_tbEUlT_E1_NS1_11comp_targetILNS1_3genE9ELNS1_11target_archE1100ELNS1_3gpuE3ELNS1_3repE0EEENS1_59segmented_radix_sort_warp_sort_small_config_static_selectorELNS0_4arch9wavefront6targetE0EEEvSK_
                                        ; -- End function
	.set _ZN7rocprim17ROCPRIM_400000_NS6detail17trampoline_kernelINS0_14default_configENS1_36segmented_radix_sort_config_selectorIilEEZNS1_25segmented_radix_sort_implIS3_Lb1EPKiPiPKlPlN2at6native12_GLOBAL__N_18offset_tEEE10hipError_tPvRmT1_PNSt15iterator_traitsISK_E10value_typeET2_T3_PNSL_ISQ_E10value_typeET4_jRbjT5_SW_jjP12ihipStream_tbEUlT_E1_NS1_11comp_targetILNS1_3genE9ELNS1_11target_archE1100ELNS1_3gpuE3ELNS1_3repE0EEENS1_59segmented_radix_sort_warp_sort_small_config_static_selectorELNS0_4arch9wavefront6targetE0EEEvSK_.num_vgpr, 0
	.set _ZN7rocprim17ROCPRIM_400000_NS6detail17trampoline_kernelINS0_14default_configENS1_36segmented_radix_sort_config_selectorIilEEZNS1_25segmented_radix_sort_implIS3_Lb1EPKiPiPKlPlN2at6native12_GLOBAL__N_18offset_tEEE10hipError_tPvRmT1_PNSt15iterator_traitsISK_E10value_typeET2_T3_PNSL_ISQ_E10value_typeET4_jRbjT5_SW_jjP12ihipStream_tbEUlT_E1_NS1_11comp_targetILNS1_3genE9ELNS1_11target_archE1100ELNS1_3gpuE3ELNS1_3repE0EEENS1_59segmented_radix_sort_warp_sort_small_config_static_selectorELNS0_4arch9wavefront6targetE0EEEvSK_.num_agpr, 0
	.set _ZN7rocprim17ROCPRIM_400000_NS6detail17trampoline_kernelINS0_14default_configENS1_36segmented_radix_sort_config_selectorIilEEZNS1_25segmented_radix_sort_implIS3_Lb1EPKiPiPKlPlN2at6native12_GLOBAL__N_18offset_tEEE10hipError_tPvRmT1_PNSt15iterator_traitsISK_E10value_typeET2_T3_PNSL_ISQ_E10value_typeET4_jRbjT5_SW_jjP12ihipStream_tbEUlT_E1_NS1_11comp_targetILNS1_3genE9ELNS1_11target_archE1100ELNS1_3gpuE3ELNS1_3repE0EEENS1_59segmented_radix_sort_warp_sort_small_config_static_selectorELNS0_4arch9wavefront6targetE0EEEvSK_.numbered_sgpr, 0
	.set _ZN7rocprim17ROCPRIM_400000_NS6detail17trampoline_kernelINS0_14default_configENS1_36segmented_radix_sort_config_selectorIilEEZNS1_25segmented_radix_sort_implIS3_Lb1EPKiPiPKlPlN2at6native12_GLOBAL__N_18offset_tEEE10hipError_tPvRmT1_PNSt15iterator_traitsISK_E10value_typeET2_T3_PNSL_ISQ_E10value_typeET4_jRbjT5_SW_jjP12ihipStream_tbEUlT_E1_NS1_11comp_targetILNS1_3genE9ELNS1_11target_archE1100ELNS1_3gpuE3ELNS1_3repE0EEENS1_59segmented_radix_sort_warp_sort_small_config_static_selectorELNS0_4arch9wavefront6targetE0EEEvSK_.num_named_barrier, 0
	.set _ZN7rocprim17ROCPRIM_400000_NS6detail17trampoline_kernelINS0_14default_configENS1_36segmented_radix_sort_config_selectorIilEEZNS1_25segmented_radix_sort_implIS3_Lb1EPKiPiPKlPlN2at6native12_GLOBAL__N_18offset_tEEE10hipError_tPvRmT1_PNSt15iterator_traitsISK_E10value_typeET2_T3_PNSL_ISQ_E10value_typeET4_jRbjT5_SW_jjP12ihipStream_tbEUlT_E1_NS1_11comp_targetILNS1_3genE9ELNS1_11target_archE1100ELNS1_3gpuE3ELNS1_3repE0EEENS1_59segmented_radix_sort_warp_sort_small_config_static_selectorELNS0_4arch9wavefront6targetE0EEEvSK_.private_seg_size, 0
	.set _ZN7rocprim17ROCPRIM_400000_NS6detail17trampoline_kernelINS0_14default_configENS1_36segmented_radix_sort_config_selectorIilEEZNS1_25segmented_radix_sort_implIS3_Lb1EPKiPiPKlPlN2at6native12_GLOBAL__N_18offset_tEEE10hipError_tPvRmT1_PNSt15iterator_traitsISK_E10value_typeET2_T3_PNSL_ISQ_E10value_typeET4_jRbjT5_SW_jjP12ihipStream_tbEUlT_E1_NS1_11comp_targetILNS1_3genE9ELNS1_11target_archE1100ELNS1_3gpuE3ELNS1_3repE0EEENS1_59segmented_radix_sort_warp_sort_small_config_static_selectorELNS0_4arch9wavefront6targetE0EEEvSK_.uses_vcc, 0
	.set _ZN7rocprim17ROCPRIM_400000_NS6detail17trampoline_kernelINS0_14default_configENS1_36segmented_radix_sort_config_selectorIilEEZNS1_25segmented_radix_sort_implIS3_Lb1EPKiPiPKlPlN2at6native12_GLOBAL__N_18offset_tEEE10hipError_tPvRmT1_PNSt15iterator_traitsISK_E10value_typeET2_T3_PNSL_ISQ_E10value_typeET4_jRbjT5_SW_jjP12ihipStream_tbEUlT_E1_NS1_11comp_targetILNS1_3genE9ELNS1_11target_archE1100ELNS1_3gpuE3ELNS1_3repE0EEENS1_59segmented_radix_sort_warp_sort_small_config_static_selectorELNS0_4arch9wavefront6targetE0EEEvSK_.uses_flat_scratch, 0
	.set _ZN7rocprim17ROCPRIM_400000_NS6detail17trampoline_kernelINS0_14default_configENS1_36segmented_radix_sort_config_selectorIilEEZNS1_25segmented_radix_sort_implIS3_Lb1EPKiPiPKlPlN2at6native12_GLOBAL__N_18offset_tEEE10hipError_tPvRmT1_PNSt15iterator_traitsISK_E10value_typeET2_T3_PNSL_ISQ_E10value_typeET4_jRbjT5_SW_jjP12ihipStream_tbEUlT_E1_NS1_11comp_targetILNS1_3genE9ELNS1_11target_archE1100ELNS1_3gpuE3ELNS1_3repE0EEENS1_59segmented_radix_sort_warp_sort_small_config_static_selectorELNS0_4arch9wavefront6targetE0EEEvSK_.has_dyn_sized_stack, 0
	.set _ZN7rocprim17ROCPRIM_400000_NS6detail17trampoline_kernelINS0_14default_configENS1_36segmented_radix_sort_config_selectorIilEEZNS1_25segmented_radix_sort_implIS3_Lb1EPKiPiPKlPlN2at6native12_GLOBAL__N_18offset_tEEE10hipError_tPvRmT1_PNSt15iterator_traitsISK_E10value_typeET2_T3_PNSL_ISQ_E10value_typeET4_jRbjT5_SW_jjP12ihipStream_tbEUlT_E1_NS1_11comp_targetILNS1_3genE9ELNS1_11target_archE1100ELNS1_3gpuE3ELNS1_3repE0EEENS1_59segmented_radix_sort_warp_sort_small_config_static_selectorELNS0_4arch9wavefront6targetE0EEEvSK_.has_recursion, 0
	.set _ZN7rocprim17ROCPRIM_400000_NS6detail17trampoline_kernelINS0_14default_configENS1_36segmented_radix_sort_config_selectorIilEEZNS1_25segmented_radix_sort_implIS3_Lb1EPKiPiPKlPlN2at6native12_GLOBAL__N_18offset_tEEE10hipError_tPvRmT1_PNSt15iterator_traitsISK_E10value_typeET2_T3_PNSL_ISQ_E10value_typeET4_jRbjT5_SW_jjP12ihipStream_tbEUlT_E1_NS1_11comp_targetILNS1_3genE9ELNS1_11target_archE1100ELNS1_3gpuE3ELNS1_3repE0EEENS1_59segmented_radix_sort_warp_sort_small_config_static_selectorELNS0_4arch9wavefront6targetE0EEEvSK_.has_indirect_call, 0
	.section	.AMDGPU.csdata,"",@progbits
; Kernel info:
; codeLenInByte = 0
; TotalNumSgprs: 0
; NumVgprs: 0
; ScratchSize: 0
; MemoryBound: 0
; FloatMode: 240
; IeeeMode: 1
; LDSByteSize: 0 bytes/workgroup (compile time only)
; SGPRBlocks: 0
; VGPRBlocks: 0
; NumSGPRsForWavesPerEU: 1
; NumVGPRsForWavesPerEU: 1
; NamedBarCnt: 0
; Occupancy: 16
; WaveLimiterHint : 0
; COMPUTE_PGM_RSRC2:SCRATCH_EN: 0
; COMPUTE_PGM_RSRC2:USER_SGPR: 2
; COMPUTE_PGM_RSRC2:TRAP_HANDLER: 0
; COMPUTE_PGM_RSRC2:TGID_X_EN: 1
; COMPUTE_PGM_RSRC2:TGID_Y_EN: 0
; COMPUTE_PGM_RSRC2:TGID_Z_EN: 0
; COMPUTE_PGM_RSRC2:TIDIG_COMP_CNT: 0
	.section	.text._ZN7rocprim17ROCPRIM_400000_NS6detail17trampoline_kernelINS0_14default_configENS1_36segmented_radix_sort_config_selectorIilEEZNS1_25segmented_radix_sort_implIS3_Lb1EPKiPiPKlPlN2at6native12_GLOBAL__N_18offset_tEEE10hipError_tPvRmT1_PNSt15iterator_traitsISK_E10value_typeET2_T3_PNSL_ISQ_E10value_typeET4_jRbjT5_SW_jjP12ihipStream_tbEUlT_E1_NS1_11comp_targetILNS1_3genE8ELNS1_11target_archE1030ELNS1_3gpuE2ELNS1_3repE0EEENS1_59segmented_radix_sort_warp_sort_small_config_static_selectorELNS0_4arch9wavefront6targetE0EEEvSK_,"axG",@progbits,_ZN7rocprim17ROCPRIM_400000_NS6detail17trampoline_kernelINS0_14default_configENS1_36segmented_radix_sort_config_selectorIilEEZNS1_25segmented_radix_sort_implIS3_Lb1EPKiPiPKlPlN2at6native12_GLOBAL__N_18offset_tEEE10hipError_tPvRmT1_PNSt15iterator_traitsISK_E10value_typeET2_T3_PNSL_ISQ_E10value_typeET4_jRbjT5_SW_jjP12ihipStream_tbEUlT_E1_NS1_11comp_targetILNS1_3genE8ELNS1_11target_archE1030ELNS1_3gpuE2ELNS1_3repE0EEENS1_59segmented_radix_sort_warp_sort_small_config_static_selectorELNS0_4arch9wavefront6targetE0EEEvSK_,comdat
	.globl	_ZN7rocprim17ROCPRIM_400000_NS6detail17trampoline_kernelINS0_14default_configENS1_36segmented_radix_sort_config_selectorIilEEZNS1_25segmented_radix_sort_implIS3_Lb1EPKiPiPKlPlN2at6native12_GLOBAL__N_18offset_tEEE10hipError_tPvRmT1_PNSt15iterator_traitsISK_E10value_typeET2_T3_PNSL_ISQ_E10value_typeET4_jRbjT5_SW_jjP12ihipStream_tbEUlT_E1_NS1_11comp_targetILNS1_3genE8ELNS1_11target_archE1030ELNS1_3gpuE2ELNS1_3repE0EEENS1_59segmented_radix_sort_warp_sort_small_config_static_selectorELNS0_4arch9wavefront6targetE0EEEvSK_ ; -- Begin function _ZN7rocprim17ROCPRIM_400000_NS6detail17trampoline_kernelINS0_14default_configENS1_36segmented_radix_sort_config_selectorIilEEZNS1_25segmented_radix_sort_implIS3_Lb1EPKiPiPKlPlN2at6native12_GLOBAL__N_18offset_tEEE10hipError_tPvRmT1_PNSt15iterator_traitsISK_E10value_typeET2_T3_PNSL_ISQ_E10value_typeET4_jRbjT5_SW_jjP12ihipStream_tbEUlT_E1_NS1_11comp_targetILNS1_3genE8ELNS1_11target_archE1030ELNS1_3gpuE2ELNS1_3repE0EEENS1_59segmented_radix_sort_warp_sort_small_config_static_selectorELNS0_4arch9wavefront6targetE0EEEvSK_
	.p2align	8
	.type	_ZN7rocprim17ROCPRIM_400000_NS6detail17trampoline_kernelINS0_14default_configENS1_36segmented_radix_sort_config_selectorIilEEZNS1_25segmented_radix_sort_implIS3_Lb1EPKiPiPKlPlN2at6native12_GLOBAL__N_18offset_tEEE10hipError_tPvRmT1_PNSt15iterator_traitsISK_E10value_typeET2_T3_PNSL_ISQ_E10value_typeET4_jRbjT5_SW_jjP12ihipStream_tbEUlT_E1_NS1_11comp_targetILNS1_3genE8ELNS1_11target_archE1030ELNS1_3gpuE2ELNS1_3repE0EEENS1_59segmented_radix_sort_warp_sort_small_config_static_selectorELNS0_4arch9wavefront6targetE0EEEvSK_,@function
_ZN7rocprim17ROCPRIM_400000_NS6detail17trampoline_kernelINS0_14default_configENS1_36segmented_radix_sort_config_selectorIilEEZNS1_25segmented_radix_sort_implIS3_Lb1EPKiPiPKlPlN2at6native12_GLOBAL__N_18offset_tEEE10hipError_tPvRmT1_PNSt15iterator_traitsISK_E10value_typeET2_T3_PNSL_ISQ_E10value_typeET4_jRbjT5_SW_jjP12ihipStream_tbEUlT_E1_NS1_11comp_targetILNS1_3genE8ELNS1_11target_archE1030ELNS1_3gpuE2ELNS1_3repE0EEENS1_59segmented_radix_sort_warp_sort_small_config_static_selectorELNS0_4arch9wavefront6targetE0EEEvSK_: ; @_ZN7rocprim17ROCPRIM_400000_NS6detail17trampoline_kernelINS0_14default_configENS1_36segmented_radix_sort_config_selectorIilEEZNS1_25segmented_radix_sort_implIS3_Lb1EPKiPiPKlPlN2at6native12_GLOBAL__N_18offset_tEEE10hipError_tPvRmT1_PNSt15iterator_traitsISK_E10value_typeET2_T3_PNSL_ISQ_E10value_typeET4_jRbjT5_SW_jjP12ihipStream_tbEUlT_E1_NS1_11comp_targetILNS1_3genE8ELNS1_11target_archE1030ELNS1_3gpuE2ELNS1_3repE0EEENS1_59segmented_radix_sort_warp_sort_small_config_static_selectorELNS0_4arch9wavefront6targetE0EEEvSK_
; %bb.0:
	.section	.rodata,"a",@progbits
	.p2align	6, 0x0
	.amdhsa_kernel _ZN7rocprim17ROCPRIM_400000_NS6detail17trampoline_kernelINS0_14default_configENS1_36segmented_radix_sort_config_selectorIilEEZNS1_25segmented_radix_sort_implIS3_Lb1EPKiPiPKlPlN2at6native12_GLOBAL__N_18offset_tEEE10hipError_tPvRmT1_PNSt15iterator_traitsISK_E10value_typeET2_T3_PNSL_ISQ_E10value_typeET4_jRbjT5_SW_jjP12ihipStream_tbEUlT_E1_NS1_11comp_targetILNS1_3genE8ELNS1_11target_archE1030ELNS1_3gpuE2ELNS1_3repE0EEENS1_59segmented_radix_sort_warp_sort_small_config_static_selectorELNS0_4arch9wavefront6targetE0EEEvSK_
		.amdhsa_group_segment_fixed_size 0
		.amdhsa_private_segment_fixed_size 0
		.amdhsa_kernarg_size 88
		.amdhsa_user_sgpr_count 2
		.amdhsa_user_sgpr_dispatch_ptr 0
		.amdhsa_user_sgpr_queue_ptr 0
		.amdhsa_user_sgpr_kernarg_segment_ptr 1
		.amdhsa_user_sgpr_dispatch_id 0
		.amdhsa_user_sgpr_kernarg_preload_length 0
		.amdhsa_user_sgpr_kernarg_preload_offset 0
		.amdhsa_user_sgpr_private_segment_size 0
		.amdhsa_wavefront_size32 1
		.amdhsa_uses_dynamic_stack 0
		.amdhsa_enable_private_segment 0
		.amdhsa_system_sgpr_workgroup_id_x 1
		.amdhsa_system_sgpr_workgroup_id_y 0
		.amdhsa_system_sgpr_workgroup_id_z 0
		.amdhsa_system_sgpr_workgroup_info 0
		.amdhsa_system_vgpr_workitem_id 0
		.amdhsa_next_free_vgpr 1
		.amdhsa_next_free_sgpr 1
		.amdhsa_named_barrier_count 0
		.amdhsa_reserve_vcc 0
		.amdhsa_float_round_mode_32 0
		.amdhsa_float_round_mode_16_64 0
		.amdhsa_float_denorm_mode_32 3
		.amdhsa_float_denorm_mode_16_64 3
		.amdhsa_fp16_overflow 0
		.amdhsa_memory_ordered 1
		.amdhsa_forward_progress 1
		.amdhsa_inst_pref_size 0
		.amdhsa_round_robin_scheduling 0
		.amdhsa_exception_fp_ieee_invalid_op 0
		.amdhsa_exception_fp_denorm_src 0
		.amdhsa_exception_fp_ieee_div_zero 0
		.amdhsa_exception_fp_ieee_overflow 0
		.amdhsa_exception_fp_ieee_underflow 0
		.amdhsa_exception_fp_ieee_inexact 0
		.amdhsa_exception_int_div_zero 0
	.end_amdhsa_kernel
	.section	.text._ZN7rocprim17ROCPRIM_400000_NS6detail17trampoline_kernelINS0_14default_configENS1_36segmented_radix_sort_config_selectorIilEEZNS1_25segmented_radix_sort_implIS3_Lb1EPKiPiPKlPlN2at6native12_GLOBAL__N_18offset_tEEE10hipError_tPvRmT1_PNSt15iterator_traitsISK_E10value_typeET2_T3_PNSL_ISQ_E10value_typeET4_jRbjT5_SW_jjP12ihipStream_tbEUlT_E1_NS1_11comp_targetILNS1_3genE8ELNS1_11target_archE1030ELNS1_3gpuE2ELNS1_3repE0EEENS1_59segmented_radix_sort_warp_sort_small_config_static_selectorELNS0_4arch9wavefront6targetE0EEEvSK_,"axG",@progbits,_ZN7rocprim17ROCPRIM_400000_NS6detail17trampoline_kernelINS0_14default_configENS1_36segmented_radix_sort_config_selectorIilEEZNS1_25segmented_radix_sort_implIS3_Lb1EPKiPiPKlPlN2at6native12_GLOBAL__N_18offset_tEEE10hipError_tPvRmT1_PNSt15iterator_traitsISK_E10value_typeET2_T3_PNSL_ISQ_E10value_typeET4_jRbjT5_SW_jjP12ihipStream_tbEUlT_E1_NS1_11comp_targetILNS1_3genE8ELNS1_11target_archE1030ELNS1_3gpuE2ELNS1_3repE0EEENS1_59segmented_radix_sort_warp_sort_small_config_static_selectorELNS0_4arch9wavefront6targetE0EEEvSK_,comdat
.Lfunc_end522:
	.size	_ZN7rocprim17ROCPRIM_400000_NS6detail17trampoline_kernelINS0_14default_configENS1_36segmented_radix_sort_config_selectorIilEEZNS1_25segmented_radix_sort_implIS3_Lb1EPKiPiPKlPlN2at6native12_GLOBAL__N_18offset_tEEE10hipError_tPvRmT1_PNSt15iterator_traitsISK_E10value_typeET2_T3_PNSL_ISQ_E10value_typeET4_jRbjT5_SW_jjP12ihipStream_tbEUlT_E1_NS1_11comp_targetILNS1_3genE8ELNS1_11target_archE1030ELNS1_3gpuE2ELNS1_3repE0EEENS1_59segmented_radix_sort_warp_sort_small_config_static_selectorELNS0_4arch9wavefront6targetE0EEEvSK_, .Lfunc_end522-_ZN7rocprim17ROCPRIM_400000_NS6detail17trampoline_kernelINS0_14default_configENS1_36segmented_radix_sort_config_selectorIilEEZNS1_25segmented_radix_sort_implIS3_Lb1EPKiPiPKlPlN2at6native12_GLOBAL__N_18offset_tEEE10hipError_tPvRmT1_PNSt15iterator_traitsISK_E10value_typeET2_T3_PNSL_ISQ_E10value_typeET4_jRbjT5_SW_jjP12ihipStream_tbEUlT_E1_NS1_11comp_targetILNS1_3genE8ELNS1_11target_archE1030ELNS1_3gpuE2ELNS1_3repE0EEENS1_59segmented_radix_sort_warp_sort_small_config_static_selectorELNS0_4arch9wavefront6targetE0EEEvSK_
                                        ; -- End function
	.set _ZN7rocprim17ROCPRIM_400000_NS6detail17trampoline_kernelINS0_14default_configENS1_36segmented_radix_sort_config_selectorIilEEZNS1_25segmented_radix_sort_implIS3_Lb1EPKiPiPKlPlN2at6native12_GLOBAL__N_18offset_tEEE10hipError_tPvRmT1_PNSt15iterator_traitsISK_E10value_typeET2_T3_PNSL_ISQ_E10value_typeET4_jRbjT5_SW_jjP12ihipStream_tbEUlT_E1_NS1_11comp_targetILNS1_3genE8ELNS1_11target_archE1030ELNS1_3gpuE2ELNS1_3repE0EEENS1_59segmented_radix_sort_warp_sort_small_config_static_selectorELNS0_4arch9wavefront6targetE0EEEvSK_.num_vgpr, 0
	.set _ZN7rocprim17ROCPRIM_400000_NS6detail17trampoline_kernelINS0_14default_configENS1_36segmented_radix_sort_config_selectorIilEEZNS1_25segmented_radix_sort_implIS3_Lb1EPKiPiPKlPlN2at6native12_GLOBAL__N_18offset_tEEE10hipError_tPvRmT1_PNSt15iterator_traitsISK_E10value_typeET2_T3_PNSL_ISQ_E10value_typeET4_jRbjT5_SW_jjP12ihipStream_tbEUlT_E1_NS1_11comp_targetILNS1_3genE8ELNS1_11target_archE1030ELNS1_3gpuE2ELNS1_3repE0EEENS1_59segmented_radix_sort_warp_sort_small_config_static_selectorELNS0_4arch9wavefront6targetE0EEEvSK_.num_agpr, 0
	.set _ZN7rocprim17ROCPRIM_400000_NS6detail17trampoline_kernelINS0_14default_configENS1_36segmented_radix_sort_config_selectorIilEEZNS1_25segmented_radix_sort_implIS3_Lb1EPKiPiPKlPlN2at6native12_GLOBAL__N_18offset_tEEE10hipError_tPvRmT1_PNSt15iterator_traitsISK_E10value_typeET2_T3_PNSL_ISQ_E10value_typeET4_jRbjT5_SW_jjP12ihipStream_tbEUlT_E1_NS1_11comp_targetILNS1_3genE8ELNS1_11target_archE1030ELNS1_3gpuE2ELNS1_3repE0EEENS1_59segmented_radix_sort_warp_sort_small_config_static_selectorELNS0_4arch9wavefront6targetE0EEEvSK_.numbered_sgpr, 0
	.set _ZN7rocprim17ROCPRIM_400000_NS6detail17trampoline_kernelINS0_14default_configENS1_36segmented_radix_sort_config_selectorIilEEZNS1_25segmented_radix_sort_implIS3_Lb1EPKiPiPKlPlN2at6native12_GLOBAL__N_18offset_tEEE10hipError_tPvRmT1_PNSt15iterator_traitsISK_E10value_typeET2_T3_PNSL_ISQ_E10value_typeET4_jRbjT5_SW_jjP12ihipStream_tbEUlT_E1_NS1_11comp_targetILNS1_3genE8ELNS1_11target_archE1030ELNS1_3gpuE2ELNS1_3repE0EEENS1_59segmented_radix_sort_warp_sort_small_config_static_selectorELNS0_4arch9wavefront6targetE0EEEvSK_.num_named_barrier, 0
	.set _ZN7rocprim17ROCPRIM_400000_NS6detail17trampoline_kernelINS0_14default_configENS1_36segmented_radix_sort_config_selectorIilEEZNS1_25segmented_radix_sort_implIS3_Lb1EPKiPiPKlPlN2at6native12_GLOBAL__N_18offset_tEEE10hipError_tPvRmT1_PNSt15iterator_traitsISK_E10value_typeET2_T3_PNSL_ISQ_E10value_typeET4_jRbjT5_SW_jjP12ihipStream_tbEUlT_E1_NS1_11comp_targetILNS1_3genE8ELNS1_11target_archE1030ELNS1_3gpuE2ELNS1_3repE0EEENS1_59segmented_radix_sort_warp_sort_small_config_static_selectorELNS0_4arch9wavefront6targetE0EEEvSK_.private_seg_size, 0
	.set _ZN7rocprim17ROCPRIM_400000_NS6detail17trampoline_kernelINS0_14default_configENS1_36segmented_radix_sort_config_selectorIilEEZNS1_25segmented_radix_sort_implIS3_Lb1EPKiPiPKlPlN2at6native12_GLOBAL__N_18offset_tEEE10hipError_tPvRmT1_PNSt15iterator_traitsISK_E10value_typeET2_T3_PNSL_ISQ_E10value_typeET4_jRbjT5_SW_jjP12ihipStream_tbEUlT_E1_NS1_11comp_targetILNS1_3genE8ELNS1_11target_archE1030ELNS1_3gpuE2ELNS1_3repE0EEENS1_59segmented_radix_sort_warp_sort_small_config_static_selectorELNS0_4arch9wavefront6targetE0EEEvSK_.uses_vcc, 0
	.set _ZN7rocprim17ROCPRIM_400000_NS6detail17trampoline_kernelINS0_14default_configENS1_36segmented_radix_sort_config_selectorIilEEZNS1_25segmented_radix_sort_implIS3_Lb1EPKiPiPKlPlN2at6native12_GLOBAL__N_18offset_tEEE10hipError_tPvRmT1_PNSt15iterator_traitsISK_E10value_typeET2_T3_PNSL_ISQ_E10value_typeET4_jRbjT5_SW_jjP12ihipStream_tbEUlT_E1_NS1_11comp_targetILNS1_3genE8ELNS1_11target_archE1030ELNS1_3gpuE2ELNS1_3repE0EEENS1_59segmented_radix_sort_warp_sort_small_config_static_selectorELNS0_4arch9wavefront6targetE0EEEvSK_.uses_flat_scratch, 0
	.set _ZN7rocprim17ROCPRIM_400000_NS6detail17trampoline_kernelINS0_14default_configENS1_36segmented_radix_sort_config_selectorIilEEZNS1_25segmented_radix_sort_implIS3_Lb1EPKiPiPKlPlN2at6native12_GLOBAL__N_18offset_tEEE10hipError_tPvRmT1_PNSt15iterator_traitsISK_E10value_typeET2_T3_PNSL_ISQ_E10value_typeET4_jRbjT5_SW_jjP12ihipStream_tbEUlT_E1_NS1_11comp_targetILNS1_3genE8ELNS1_11target_archE1030ELNS1_3gpuE2ELNS1_3repE0EEENS1_59segmented_radix_sort_warp_sort_small_config_static_selectorELNS0_4arch9wavefront6targetE0EEEvSK_.has_dyn_sized_stack, 0
	.set _ZN7rocprim17ROCPRIM_400000_NS6detail17trampoline_kernelINS0_14default_configENS1_36segmented_radix_sort_config_selectorIilEEZNS1_25segmented_radix_sort_implIS3_Lb1EPKiPiPKlPlN2at6native12_GLOBAL__N_18offset_tEEE10hipError_tPvRmT1_PNSt15iterator_traitsISK_E10value_typeET2_T3_PNSL_ISQ_E10value_typeET4_jRbjT5_SW_jjP12ihipStream_tbEUlT_E1_NS1_11comp_targetILNS1_3genE8ELNS1_11target_archE1030ELNS1_3gpuE2ELNS1_3repE0EEENS1_59segmented_radix_sort_warp_sort_small_config_static_selectorELNS0_4arch9wavefront6targetE0EEEvSK_.has_recursion, 0
	.set _ZN7rocprim17ROCPRIM_400000_NS6detail17trampoline_kernelINS0_14default_configENS1_36segmented_radix_sort_config_selectorIilEEZNS1_25segmented_radix_sort_implIS3_Lb1EPKiPiPKlPlN2at6native12_GLOBAL__N_18offset_tEEE10hipError_tPvRmT1_PNSt15iterator_traitsISK_E10value_typeET2_T3_PNSL_ISQ_E10value_typeET4_jRbjT5_SW_jjP12ihipStream_tbEUlT_E1_NS1_11comp_targetILNS1_3genE8ELNS1_11target_archE1030ELNS1_3gpuE2ELNS1_3repE0EEENS1_59segmented_radix_sort_warp_sort_small_config_static_selectorELNS0_4arch9wavefront6targetE0EEEvSK_.has_indirect_call, 0
	.section	.AMDGPU.csdata,"",@progbits
; Kernel info:
; codeLenInByte = 0
; TotalNumSgprs: 0
; NumVgprs: 0
; ScratchSize: 0
; MemoryBound: 0
; FloatMode: 240
; IeeeMode: 1
; LDSByteSize: 0 bytes/workgroup (compile time only)
; SGPRBlocks: 0
; VGPRBlocks: 0
; NumSGPRsForWavesPerEU: 1
; NumVGPRsForWavesPerEU: 1
; NamedBarCnt: 0
; Occupancy: 16
; WaveLimiterHint : 0
; COMPUTE_PGM_RSRC2:SCRATCH_EN: 0
; COMPUTE_PGM_RSRC2:USER_SGPR: 2
; COMPUTE_PGM_RSRC2:TRAP_HANDLER: 0
; COMPUTE_PGM_RSRC2:TGID_X_EN: 1
; COMPUTE_PGM_RSRC2:TGID_Y_EN: 0
; COMPUTE_PGM_RSRC2:TGID_Z_EN: 0
; COMPUTE_PGM_RSRC2:TIDIG_COMP_CNT: 0
	.section	.text._ZN7rocprim17ROCPRIM_400000_NS6detail17trampoline_kernelINS0_14default_configENS1_36segmented_radix_sort_config_selectorIilEEZNS1_25segmented_radix_sort_implIS3_Lb1EPKiPiPKlPlN2at6native12_GLOBAL__N_18offset_tEEE10hipError_tPvRmT1_PNSt15iterator_traitsISK_E10value_typeET2_T3_PNSL_ISQ_E10value_typeET4_jRbjT5_SW_jjP12ihipStream_tbEUlT_E2_NS1_11comp_targetILNS1_3genE0ELNS1_11target_archE4294967295ELNS1_3gpuE0ELNS1_3repE0EEENS1_30default_config_static_selectorELNS0_4arch9wavefront6targetE0EEEvSK_,"axG",@progbits,_ZN7rocprim17ROCPRIM_400000_NS6detail17trampoline_kernelINS0_14default_configENS1_36segmented_radix_sort_config_selectorIilEEZNS1_25segmented_radix_sort_implIS3_Lb1EPKiPiPKlPlN2at6native12_GLOBAL__N_18offset_tEEE10hipError_tPvRmT1_PNSt15iterator_traitsISK_E10value_typeET2_T3_PNSL_ISQ_E10value_typeET4_jRbjT5_SW_jjP12ihipStream_tbEUlT_E2_NS1_11comp_targetILNS1_3genE0ELNS1_11target_archE4294967295ELNS1_3gpuE0ELNS1_3repE0EEENS1_30default_config_static_selectorELNS0_4arch9wavefront6targetE0EEEvSK_,comdat
	.globl	_ZN7rocprim17ROCPRIM_400000_NS6detail17trampoline_kernelINS0_14default_configENS1_36segmented_radix_sort_config_selectorIilEEZNS1_25segmented_radix_sort_implIS3_Lb1EPKiPiPKlPlN2at6native12_GLOBAL__N_18offset_tEEE10hipError_tPvRmT1_PNSt15iterator_traitsISK_E10value_typeET2_T3_PNSL_ISQ_E10value_typeET4_jRbjT5_SW_jjP12ihipStream_tbEUlT_E2_NS1_11comp_targetILNS1_3genE0ELNS1_11target_archE4294967295ELNS1_3gpuE0ELNS1_3repE0EEENS1_30default_config_static_selectorELNS0_4arch9wavefront6targetE0EEEvSK_ ; -- Begin function _ZN7rocprim17ROCPRIM_400000_NS6detail17trampoline_kernelINS0_14default_configENS1_36segmented_radix_sort_config_selectorIilEEZNS1_25segmented_radix_sort_implIS3_Lb1EPKiPiPKlPlN2at6native12_GLOBAL__N_18offset_tEEE10hipError_tPvRmT1_PNSt15iterator_traitsISK_E10value_typeET2_T3_PNSL_ISQ_E10value_typeET4_jRbjT5_SW_jjP12ihipStream_tbEUlT_E2_NS1_11comp_targetILNS1_3genE0ELNS1_11target_archE4294967295ELNS1_3gpuE0ELNS1_3repE0EEENS1_30default_config_static_selectorELNS0_4arch9wavefront6targetE0EEEvSK_
	.p2align	8
	.type	_ZN7rocprim17ROCPRIM_400000_NS6detail17trampoline_kernelINS0_14default_configENS1_36segmented_radix_sort_config_selectorIilEEZNS1_25segmented_radix_sort_implIS3_Lb1EPKiPiPKlPlN2at6native12_GLOBAL__N_18offset_tEEE10hipError_tPvRmT1_PNSt15iterator_traitsISK_E10value_typeET2_T3_PNSL_ISQ_E10value_typeET4_jRbjT5_SW_jjP12ihipStream_tbEUlT_E2_NS1_11comp_targetILNS1_3genE0ELNS1_11target_archE4294967295ELNS1_3gpuE0ELNS1_3repE0EEENS1_30default_config_static_selectorELNS0_4arch9wavefront6targetE0EEEvSK_,@function
_ZN7rocprim17ROCPRIM_400000_NS6detail17trampoline_kernelINS0_14default_configENS1_36segmented_radix_sort_config_selectorIilEEZNS1_25segmented_radix_sort_implIS3_Lb1EPKiPiPKlPlN2at6native12_GLOBAL__N_18offset_tEEE10hipError_tPvRmT1_PNSt15iterator_traitsISK_E10value_typeET2_T3_PNSL_ISQ_E10value_typeET4_jRbjT5_SW_jjP12ihipStream_tbEUlT_E2_NS1_11comp_targetILNS1_3genE0ELNS1_11target_archE4294967295ELNS1_3gpuE0ELNS1_3repE0EEENS1_30default_config_static_selectorELNS0_4arch9wavefront6targetE0EEEvSK_: ; @_ZN7rocprim17ROCPRIM_400000_NS6detail17trampoline_kernelINS0_14default_configENS1_36segmented_radix_sort_config_selectorIilEEZNS1_25segmented_radix_sort_implIS3_Lb1EPKiPiPKlPlN2at6native12_GLOBAL__N_18offset_tEEE10hipError_tPvRmT1_PNSt15iterator_traitsISK_E10value_typeET2_T3_PNSL_ISQ_E10value_typeET4_jRbjT5_SW_jjP12ihipStream_tbEUlT_E2_NS1_11comp_targetILNS1_3genE0ELNS1_11target_archE4294967295ELNS1_3gpuE0ELNS1_3repE0EEENS1_30default_config_static_selectorELNS0_4arch9wavefront6targetE0EEEvSK_
; %bb.0:
	s_load_b128 s[4:7], s[2:3], 0x34
	s_bfe_u32 s8, ttmp6, 0x4000c
	s_and_b32 s9, ttmp6, 15
	s_add_co_i32 s8, s8, 1
	s_getreg_b32 s55, hwreg(HW_REG_IB_STS2, 6, 4)
	s_mul_i32 s8, ttmp9, s8
	s_mov_b32 s32, 0
	s_add_co_i32 s9, s9, s8
	s_cmp_eq_u32 s55, 0
	s_cselect_b32 s33, ttmp9, s9
	s_wait_kmcnt 0x0
	s_add_co_i32 s51, s7, s33
	s_add_co_i32 s52, s5, s33
	s_mul_i32 s51, s51, s6
	s_mul_i32 s52, s52, s4
	s_delay_alu instid0(SALU_CYCLE_1)
	s_cmp_le_u32 s51, s52
	s_cbranch_scc1 .LBB523_1190
; %bb.1:
	s_clause 0x3
	s_load_b32 s4, s[2:3], 0x30
	s_load_b128 s[44:47], s[2:3], 0x20
	s_load_b96 s[48:50], s[2:3], 0x44
	s_load_b256 s[36:43], s[2:3], 0x0
	s_wait_kmcnt 0x0
	s_bitcmp1_b32 s4, 0
	s_mov_b32 s4, -1
	s_cselect_b32 s53, -1, 0
	s_sub_co_i32 s54, s51, s52
	s_delay_alu instid0(SALU_CYCLE_1)
	s_cmp_lt_u32 s54, 0x1001
	s_cbranch_scc0 .LBB523_15
; %bb.2:
	s_cmp_lt_u32 s54, 33
	s_cbranch_scc0 .LBB523_9
; %bb.3:
	s_load_b32 s4, s[2:3], 0x5c
	v_bfe_u32 v1, v0, 10, 10
	v_bfe_u32 v2, v0, 20, 10
	s_mov_b32 s15, exec_lo
	s_wait_kmcnt 0x0
	s_lshr_b32 s5, s4, 16
	s_and_b32 s4, s4, 0xffff
	v_mad_u32_u24 v1, v2, s5, v1
	v_and_b32_e32 v2, 0x3ff, v0
	s_delay_alu instid0(VALU_DEP_1) | instskip(NEXT) | instid1(VALU_DEP_1)
	v_mad_u32 v1, v1, s4, v2
	v_cmpx_gt_u32_e32 8, v1
	s_cbranch_execz .LBB523_8
; %bb.4:
	v_cndmask_b32_e64 v1, 0, 1, s53
	s_and_b32 s4, s48, 1
	s_get_pc_i64 s[16:17]
	s_add_nc_u64 s[16:17], s[16:17], _ZN7rocprim17ROCPRIM_400000_NS6detail26segmented_warp_sort_helperINS1_20WarpSortHelperConfigILj8ELj4ELj256EEEilLi256ELb1EvE4sortIPKiPiPKlPlEEvT_T0_T1_T2_jjjjRNS5_12storage_typeE@rel64+4
	s_delay_alu instid0(VALU_DEP_1)
	v_cmp_ne_u32_e32 vcc_lo, s4, v1
	s_mov_b32 s4, -1
	s_cbranch_vccnz .LBB523_6
; %bb.5:
	s_mov_b64 s[4:5], src_shared_base
	v_dual_mov_b32 v31, v0 :: v_dual_mov_b32 v40, v0
	v_dual_mov_b32 v0, s36 :: v_dual_mov_b32 v1, s37
	;; [unrolled: 1-line block ×8, first 2 shown]
	s_add_nc_u64 s[8:9], s[2:3], 0x50
	s_mov_b64 s[6:7], s[0:1]
	s_mov_b64 s[18:19], s[2:3]
	s_mov_b64 s[20:21], s[0:1]
	s_swap_pc_i64 s[30:31], s[16:17]
	v_mov_b32_e32 v0, v40
	s_mov_b64 s[0:1], s[20:21]
	s_mov_b64 s[2:3], s[18:19]
	s_mov_b32 s4, 0
.LBB523_6:
	s_delay_alu instid0(SALU_CYCLE_1)
	s_and_not1_b32 vcc_lo, exec_lo, s4
	s_cbranch_vccnz .LBB523_8
; %bb.7:
	s_mov_b64 s[4:5], src_shared_base
	v_dual_mov_b32 v31, v0 :: v_dual_mov_b32 v40, v0
	v_dual_mov_b32 v0, s36 :: v_dual_mov_b32 v1, s37
	;; [unrolled: 1-line block ×8, first 2 shown]
	s_add_nc_u64 s[8:9], s[2:3], 0x50
	s_mov_b64 s[6:7], s[0:1]
	s_mov_b64 s[18:19], s[2:3]
	s_mov_b64 s[20:21], s[0:1]
	s_swap_pc_i64 s[30:31], s[16:17]
	v_mov_b32_e32 v0, v40
	s_mov_b64 s[0:1], s[20:21]
	s_mov_b64 s[2:3], s[18:19]
.LBB523_8:
	s_or_b32 exec_lo, exec_lo, s15
	s_mov_b32 s4, 0
.LBB523_9:
	s_delay_alu instid0(SALU_CYCLE_1)
	s_and_not1_b32 vcc_lo, exec_lo, s4
	s_cbranch_vccnz .LBB523_14
; %bb.10:
	v_cndmask_b32_e64 v1, 0, 1, s53
	s_and_b32 s4, s48, 1
	s_get_pc_i64 s[24:25]
	s_add_nc_u64 s[24:25], s[24:25], _ZN7rocprim17ROCPRIM_400000_NS6detail40segmented_radix_sort_single_block_helperIilLj256ELj16ELb1EE4sortIPKiPiPKlPlEEbT_T0_T1_T2_jjjjRNS3_12storage_typeE@rel64+4
	s_delay_alu instid0(VALU_DEP_1)
	v_cmp_ne_u32_e32 vcc_lo, s4, v1
	s_mov_b32 s4, -1
	s_cbranch_vccnz .LBB523_12
; %bb.11:
	s_mov_b64 s[4:5], src_shared_base
	v_dual_mov_b32 v31, v0 :: v_dual_mov_b32 v40, v0
	v_dual_mov_b32 v0, s36 :: v_dual_mov_b32 v1, s37
	;; [unrolled: 1-line block ×8, first 2 shown]
	s_add_nc_u64 s[8:9], s[2:3], 0x50
	s_mov_b64 s[6:7], s[0:1]
	s_mov_b64 s[26:27], s[2:3]
	;; [unrolled: 1-line block ×3, first 2 shown]
	s_swap_pc_i64 s[30:31], s[24:25]
	v_mov_b32_e32 v0, v40
	s_mov_b64 s[0:1], s[28:29]
	s_mov_b64 s[2:3], s[26:27]
	s_mov_b32 s4, 0
.LBB523_12:
	s_delay_alu instid0(SALU_CYCLE_1)
	s_and_not1_b32 vcc_lo, exec_lo, s4
	s_cbranch_vccnz .LBB523_14
; %bb.13:
	s_mov_b64 s[4:5], src_shared_base
	v_dual_mov_b32 v31, v0 :: v_dual_mov_b32 v40, v0
	v_dual_mov_b32 v0, s36 :: v_dual_mov_b32 v1, s37
	;; [unrolled: 1-line block ×8, first 2 shown]
	s_add_nc_u64 s[8:9], s[2:3], 0x50
	s_mov_b64 s[6:7], s[0:1]
	s_mov_b64 s[26:27], s[2:3]
	s_swap_pc_i64 s[30:31], s[24:25]
	v_mov_b32_e32 v0, v40
	s_mov_b64 s[2:3], s[26:27]
.LBB523_14:
	s_mov_b32 s4, 0
.LBB523_15:
	s_delay_alu instid0(SALU_CYCLE_1)
	s_and_not1_b32 vcc_lo, exec_lo, s4
	s_cbranch_vccnz .LBB523_1190
; %bb.16:
	s_cmp_ge_u32 s49, s50
	s_cbranch_scc1 .LBB523_1190
; %bb.17:
	v_and_b32_e32 v2, 0x3ff, v0
	v_mov_b32_e32 v1, 0
	v_mbcnt_lo_u32_b32 v94, -1, 0
	v_bfe_u32 v90, v0, 20, 10
	v_bfe_u32 v92, v0, 10, 10
	v_dual_lshlrev_b32 v4, 2, v2 :: v_dual_bitop2_b32 v6, 3, v0 bitop3:0x40
	v_dual_mov_b32 v5, v1 :: v_dual_lshrrev_b32 v7, 3, v0
	s_bfe_u32 s6, ttmp6, 0x40010
	s_delay_alu instid0(VALU_DEP_2) | instskip(NEXT) | instid1(VALU_DEP_3)
	v_mad_u32_u24 v86, v2, 12, v4
	v_lshlrev_b32_e32 v84, 2, v6
	v_or_b32_e32 v6, 31, v2
	v_dual_lshlrev_b32 v7, 4, v2 :: v_dual_bitop2_b32 v85, 28, v7 bitop3:0x40
	v_dual_mov_b32 v17, v1 :: v_dual_add_nc_u32 v88, 0x8400, v4
	s_delay_alu instid0(VALU_DEP_3) | instskip(SKIP_1) | instid1(VALU_DEP_4)
	v_cmp_eq_u32_e64 s1, v2, v6
	v_mad_u32_u24 v91, v2, 20, v86
	v_and_b32_e32 v18, 0xe00, v7
	v_lshlrev_b32_e32 v6, 5, v2
	s_add_co_i32 s6, s6, 1
	s_bfe_u32 s7, ttmp6, 0x40004
	s_mul_i32 s6, ttmp7, s6
	v_dual_lshlrev_b32 v0, 3, v18 :: v_dual_lshlrev_b32 v16, 2, v18
	v_or_b32_e32 v99, v94, v18
	v_dual_sub_nc_u32 v93, v91, v6 :: v_dual_mov_b32 v95, 1
	s_delay_alu instid0(VALU_DEP_3) | instskip(NEXT) | instid1(VALU_DEP_4)
	v_add_nc_u64_e32 v[6:7], s[46:47], v[0:1]
	v_add_nc_u64_e32 v[8:9], s[40:41], v[16:17]
	;; [unrolled: 1-line block ×9, first 2 shown]
	v_or_b32_e32 v3, 0x100, v2
	v_or_b32_e32 v70, 0x200, v2
	;; [unrolled: 1-line block ×15, first 2 shown]
	v_cmp_gt_u32_e64 s0, 0x100, v2
	v_or_b32_e32 v87, 0x8400, v85
	v_cmp_gt_u32_e64 s4, 8, v2
	v_cmp_lt_u32_e64 s5, 31, v2
	v_add_nc_u32_e32 v89, 0x83fc, v85
	s_add_nc_u64 s[34:35], s[2:3], 0x50
	s_add_co_i32 s7, s7, s6
	v_cmp_eq_u32_e64 s2, 0, v2
	v_cmp_ne_u32_e64 s3, 0xff, v2
	v_dual_lshlrev_b32 v0, 3, v94 :: v_dual_bitop2_b32 v96, 15, v94 bitop3:0x40
	v_bfe_i32 v97, v94, 4, 1
	v_dual_lshlrev_b32 v24, 2, v94 :: v_dual_bitop2_b32 v98, 16, v94 bitop3:0x40
	v_and_b32_e32 v100, 7, v94
	v_sub_co_u32 v101, s6, v94, 1
	v_or_b32_e32 v102, 32, v99
	v_or_b32_e32 v103, 64, v99
	;; [unrolled: 1-line block ×15, first 2 shown]
	v_add_nc_u32_e32 v117, 0x420, v91
	v_add_nc_u32_e32 v118, 0x428, v91
	;; [unrolled: 1-line block ×4, first 2 shown]
	s_cmp_eq_u32 s55, 0
	s_mov_b32 s31, 0
	s_cselect_b32 s42, ttmp7, s7
	s_mov_b32 s43, s49
	s_branch .LBB523_20
.LBB523_18:                             ;   in Loop: Header=BB523_20 Depth=1
	s_wait_dscnt 0x0
	s_barrier_signal -1
	s_barrier_wait -1
.LBB523_19:                             ;   in Loop: Header=BB523_20 Depth=1
	s_add_co_i32 s43, s43, 8
	s_delay_alu instid0(SALU_CYCLE_1)
	s_cmp_ge_u32 s43, s50
	s_cbranch_scc1 .LBB523_1190
.LBB523_20:                             ; =>This Loop Header: Depth=1
                                        ;     Child Loop BB523_24 Depth 2
                                        ;     Child Loop BB523_104 Depth 2
                                        ;     Child Loop BB523_316 Depth 2
                                        ;     Child Loop BB523_396 Depth 2
                                        ;     Child Loop BB523_610 Depth 2
                                        ;     Child Loop BB523_690 Depth 2
                                        ;     Child Loop BB523_902 Depth 2
                                        ;     Child Loop BB523_982 Depth 2
	s_sub_co_i32 s7, s50, s43
	s_xor_b32 s53, s53, -1
	s_min_u32 s7, s7, 8
	ds_store_2addr_stride64_b32 v4, v1, v1 offset1:4
	s_lshl_b32 s7, -1, s7
	ds_store_2addr_stride64_b32 v4, v1, v1 offset0:8 offset1:12
	s_not_b32 s48, s7
	s_cmp_lg_u32 s43, s49
	s_mov_b32 s7, -1
	s_wait_storecnt_dscnt 0x0
	s_cbranch_scc0 .LBB523_606
; %bb.21:                               ;   in Loop: Header=BB523_20 Depth=1
	s_and_b32 vcc_lo, exec_lo, s53
	s_cbranch_vccz .LBB523_313
; %bb.22:                               ;   in Loop: Header=BB523_20 Depth=1
	s_mov_b32 s7, s54
	s_mov_b32 s30, s52
	s_barrier_signal -1
	s_barrier_wait -1
                                        ; implicit-def: $vgpr25
                                        ; implicit-def: $vgpr26
                                        ; implicit-def: $vgpr27
                                        ; implicit-def: $vgpr28
                                        ; implicit-def: $vgpr29
                                        ; implicit-def: $vgpr30
                                        ; implicit-def: $vgpr31
                                        ; implicit-def: $vgpr32
                                        ; implicit-def: $vgpr33
                                        ; implicit-def: $vgpr34
                                        ; implicit-def: $vgpr35
                                        ; implicit-def: $vgpr36
                                        ; implicit-def: $vgpr37
                                        ; implicit-def: $vgpr38
                                        ; implicit-def: $vgpr39
                                        ; implicit-def: $vgpr40
	s_branch .LBB523_24
.LBB523_23:                             ;   in Loop: Header=BB523_24 Depth=2
	s_or_b32 exec_lo, exec_lo, s8
	s_addk_co_i32 s7, 0xf000
	s_cmp_ge_u32 s10, s51
	s_mov_b32 s30, s10
	s_cbranch_scc1 .LBB523_92
.LBB523_24:                             ;   Parent Loop BB523_20 Depth=1
                                        ; =>  This Inner Loop Header: Depth=2
	s_add_co_i32 s10, s30, 0x1000
	s_mov_b32 s8, -1
	s_cmp_gt_u32 s10, s51
                                        ; implicit-def: $vgpr41
                                        ; implicit-def: $vgpr42
                                        ; implicit-def: $vgpr43
                                        ; implicit-def: $vgpr44
                                        ; implicit-def: $vgpr45
                                        ; implicit-def: $vgpr46
                                        ; implicit-def: $vgpr47
                                        ; implicit-def: $vgpr48
                                        ; implicit-def: $vgpr49
                                        ; implicit-def: $vgpr50
                                        ; implicit-def: $vgpr51
                                        ; implicit-def: $vgpr52
                                        ; implicit-def: $vgpr53
                                        ; implicit-def: $vgpr54
                                        ; implicit-def: $vgpr55
                                        ; implicit-def: $vgpr56
	s_cbranch_scc1 .LBB523_26
; %bb.25:                               ;   in Loop: Header=BB523_24 Depth=2
	v_lshl_add_u64 v[56:57], s[30:31], 2, v[18:19]
	s_mov_b32 s8, 0
	s_clause 0xf
	global_load_b32 v41, v[56:57], off
	global_load_b32 v42, v[56:57], off offset:1024
	global_load_b32 v43, v[56:57], off offset:2048
	;; [unrolled: 1-line block ×15, first 2 shown]
.LBB523_26:                             ;   in Loop: Header=BB523_24 Depth=2
	s_and_not1_b32 vcc_lo, exec_lo, s8
	s_movk_i32 s8, 0x1000
	s_cbranch_vccnz .LBB523_45
; %bb.27:                               ;   in Loop: Header=BB523_24 Depth=2
	s_lshl_b64 s[8:9], s[30:31], 2
	s_mov_b32 s11, exec_lo
	s_add_nc_u64 s[8:9], s[40:41], s[8:9]
	s_wait_xcnt 0x0
	v_cmpx_gt_u32_e64 s7, v2
	s_cbranch_execnz .LBB523_77
; %bb.28:                               ;   in Loop: Header=BB523_24 Depth=2
	s_or_b32 exec_lo, exec_lo, s11
	s_delay_alu instid0(SALU_CYCLE_1)
	s_mov_b32 s11, exec_lo
	v_cmpx_gt_u32_e64 s7, v3
	s_cbranch_execnz .LBB523_78
.LBB523_29:                             ;   in Loop: Header=BB523_24 Depth=2
	s_or_b32 exec_lo, exec_lo, s11
	s_delay_alu instid0(SALU_CYCLE_1)
	s_mov_b32 s11, exec_lo
	v_cmpx_gt_u32_e64 s7, v70
	s_cbranch_execnz .LBB523_79
.LBB523_30:                             ;   in Loop: Header=BB523_24 Depth=2
	s_or_b32 exec_lo, exec_lo, s11
	s_delay_alu instid0(SALU_CYCLE_1)
	s_mov_b32 s11, exec_lo
	v_cmpx_gt_u32_e64 s7, v71
	s_cbranch_execnz .LBB523_80
.LBB523_31:                             ;   in Loop: Header=BB523_24 Depth=2
	s_or_b32 exec_lo, exec_lo, s11
	s_delay_alu instid0(SALU_CYCLE_1)
	s_mov_b32 s11, exec_lo
	v_cmpx_gt_u32_e64 s7, v72
	s_cbranch_execnz .LBB523_81
.LBB523_32:                             ;   in Loop: Header=BB523_24 Depth=2
	s_or_b32 exec_lo, exec_lo, s11
	s_delay_alu instid0(SALU_CYCLE_1)
	s_mov_b32 s11, exec_lo
	v_cmpx_gt_u32_e64 s7, v73
	s_cbranch_execnz .LBB523_82
.LBB523_33:                             ;   in Loop: Header=BB523_24 Depth=2
	s_or_b32 exec_lo, exec_lo, s11
	s_delay_alu instid0(SALU_CYCLE_1)
	s_mov_b32 s11, exec_lo
	v_cmpx_gt_u32_e64 s7, v74
	s_cbranch_execnz .LBB523_83
.LBB523_34:                             ;   in Loop: Header=BB523_24 Depth=2
	s_or_b32 exec_lo, exec_lo, s11
	s_delay_alu instid0(SALU_CYCLE_1)
	s_mov_b32 s11, exec_lo
	v_cmpx_gt_u32_e64 s7, v75
	s_cbranch_execnz .LBB523_84
.LBB523_35:                             ;   in Loop: Header=BB523_24 Depth=2
	s_or_b32 exec_lo, exec_lo, s11
	s_delay_alu instid0(SALU_CYCLE_1)
	s_mov_b32 s11, exec_lo
	v_cmpx_gt_u32_e64 s7, v76
	s_cbranch_execnz .LBB523_85
.LBB523_36:                             ;   in Loop: Header=BB523_24 Depth=2
	s_or_b32 exec_lo, exec_lo, s11
	s_delay_alu instid0(SALU_CYCLE_1)
	s_mov_b32 s11, exec_lo
	v_cmpx_gt_u32_e64 s7, v77
	s_cbranch_execnz .LBB523_86
.LBB523_37:                             ;   in Loop: Header=BB523_24 Depth=2
	s_or_b32 exec_lo, exec_lo, s11
	s_delay_alu instid0(SALU_CYCLE_1)
	s_mov_b32 s11, exec_lo
	v_cmpx_gt_u32_e64 s7, v78
	s_cbranch_execnz .LBB523_87
.LBB523_38:                             ;   in Loop: Header=BB523_24 Depth=2
	s_or_b32 exec_lo, exec_lo, s11
	s_delay_alu instid0(SALU_CYCLE_1)
	s_mov_b32 s11, exec_lo
	v_cmpx_gt_u32_e64 s7, v79
	s_cbranch_execnz .LBB523_88
.LBB523_39:                             ;   in Loop: Header=BB523_24 Depth=2
	s_or_b32 exec_lo, exec_lo, s11
	s_delay_alu instid0(SALU_CYCLE_1)
	s_mov_b32 s11, exec_lo
	v_cmpx_gt_u32_e64 s7, v80
	s_cbranch_execnz .LBB523_89
.LBB523_40:                             ;   in Loop: Header=BB523_24 Depth=2
	s_or_b32 exec_lo, exec_lo, s11
	s_delay_alu instid0(SALU_CYCLE_1)
	s_mov_b32 s11, exec_lo
	v_cmpx_gt_u32_e64 s7, v81
	s_cbranch_execnz .LBB523_90
.LBB523_41:                             ;   in Loop: Header=BB523_24 Depth=2
	s_or_b32 exec_lo, exec_lo, s11
	s_delay_alu instid0(SALU_CYCLE_1)
	s_mov_b32 s11, exec_lo
	v_cmpx_gt_u32_e64 s7, v82
	s_cbranch_execnz .LBB523_91
.LBB523_42:                             ;   in Loop: Header=BB523_24 Depth=2
	s_or_b32 exec_lo, exec_lo, s11
	s_delay_alu instid0(SALU_CYCLE_1)
	s_mov_b32 s11, exec_lo
	v_cmpx_gt_u32_e64 s7, v83
	s_cbranch_execz .LBB523_44
.LBB523_43:                             ;   in Loop: Header=BB523_24 Depth=2
	global_load_b32 v25, v2, s[8:9] offset:15360 scale_offset
.LBB523_44:                             ;   in Loop: Header=BB523_24 Depth=2
	s_wait_xcnt 0x0
	s_or_b32 exec_lo, exec_lo, s11
	s_wait_loadcnt 0x0
	v_dual_mov_b32 v41, v40 :: v_dual_mov_b32 v42, v39
	v_dual_mov_b32 v43, v38 :: v_dual_mov_b32 v44, v37
	;; [unrolled: 1-line block ×8, first 2 shown]
	s_mov_b32 s8, s7
.LBB523_45:                             ;   in Loop: Header=BB523_24 Depth=2
	s_wait_loadcnt 0x0
	s_delay_alu instid0(VALU_DEP_1)
	v_dual_mov_b32 v25, v56 :: v_dual_mov_b32 v26, v55
	v_dual_mov_b32 v27, v54 :: v_dual_mov_b32 v28, v53
	v_dual_mov_b32 v29, v52 :: v_dual_mov_b32 v30, v51
	v_dual_mov_b32 v31, v50 :: v_dual_mov_b32 v32, v49
	v_dual_mov_b32 v33, v48 :: v_dual_mov_b32 v34, v47
	v_dual_mov_b32 v35, v46 :: v_dual_mov_b32 v36, v45
	v_dual_mov_b32 v37, v44 :: v_dual_mov_b32 v38, v43
	v_dual_mov_b32 v39, v42 :: v_dual_mov_b32 v40, v41
	s_mov_b32 s9, exec_lo
	s_wait_xcnt 0x0
	v_cmpx_gt_u32_e64 s8, v2
	s_cbranch_execnz .LBB523_61
; %bb.46:                               ;   in Loop: Header=BB523_24 Depth=2
	s_or_b32 exec_lo, exec_lo, s9
	s_delay_alu instid0(SALU_CYCLE_1)
	s_mov_b32 s9, exec_lo
	v_cmpx_gt_u32_e64 s8, v3
	s_cbranch_execnz .LBB523_62
.LBB523_47:                             ;   in Loop: Header=BB523_24 Depth=2
	s_or_b32 exec_lo, exec_lo, s9
	s_delay_alu instid0(SALU_CYCLE_1)
	s_mov_b32 s9, exec_lo
	v_cmpx_gt_u32_e64 s8, v70
	s_cbranch_execnz .LBB523_63
.LBB523_48:                             ;   in Loop: Header=BB523_24 Depth=2
	s_or_b32 exec_lo, exec_lo, s9
	s_delay_alu instid0(SALU_CYCLE_1)
	s_mov_b32 s9, exec_lo
	v_cmpx_gt_u32_e64 s8, v71
	s_cbranch_execnz .LBB523_64
.LBB523_49:                             ;   in Loop: Header=BB523_24 Depth=2
	s_or_b32 exec_lo, exec_lo, s9
	s_delay_alu instid0(SALU_CYCLE_1)
	s_mov_b32 s9, exec_lo
	v_cmpx_gt_u32_e64 s8, v72
	s_cbranch_execnz .LBB523_65
.LBB523_50:                             ;   in Loop: Header=BB523_24 Depth=2
	s_or_b32 exec_lo, exec_lo, s9
	s_delay_alu instid0(SALU_CYCLE_1)
	s_mov_b32 s9, exec_lo
	v_cmpx_gt_u32_e64 s8, v73
	s_cbranch_execnz .LBB523_66
.LBB523_51:                             ;   in Loop: Header=BB523_24 Depth=2
	s_or_b32 exec_lo, exec_lo, s9
	s_delay_alu instid0(SALU_CYCLE_1)
	s_mov_b32 s9, exec_lo
	v_cmpx_gt_u32_e64 s8, v74
	s_cbranch_execnz .LBB523_67
.LBB523_52:                             ;   in Loop: Header=BB523_24 Depth=2
	s_or_b32 exec_lo, exec_lo, s9
	s_delay_alu instid0(SALU_CYCLE_1)
	s_mov_b32 s9, exec_lo
	v_cmpx_gt_u32_e64 s8, v75
	s_cbranch_execnz .LBB523_68
.LBB523_53:                             ;   in Loop: Header=BB523_24 Depth=2
	s_or_b32 exec_lo, exec_lo, s9
	s_delay_alu instid0(SALU_CYCLE_1)
	s_mov_b32 s9, exec_lo
	v_cmpx_gt_u32_e64 s8, v76
	s_cbranch_execnz .LBB523_69
.LBB523_54:                             ;   in Loop: Header=BB523_24 Depth=2
	s_or_b32 exec_lo, exec_lo, s9
	s_delay_alu instid0(SALU_CYCLE_1)
	s_mov_b32 s9, exec_lo
	v_cmpx_gt_u32_e64 s8, v77
	s_cbranch_execnz .LBB523_70
.LBB523_55:                             ;   in Loop: Header=BB523_24 Depth=2
	s_or_b32 exec_lo, exec_lo, s9
	s_delay_alu instid0(SALU_CYCLE_1)
	s_mov_b32 s9, exec_lo
	v_cmpx_gt_u32_e64 s8, v78
	s_cbranch_execnz .LBB523_71
.LBB523_56:                             ;   in Loop: Header=BB523_24 Depth=2
	s_or_b32 exec_lo, exec_lo, s9
	s_delay_alu instid0(SALU_CYCLE_1)
	s_mov_b32 s9, exec_lo
	v_cmpx_gt_u32_e64 s8, v79
	s_cbranch_execnz .LBB523_72
.LBB523_57:                             ;   in Loop: Header=BB523_24 Depth=2
	s_or_b32 exec_lo, exec_lo, s9
	s_delay_alu instid0(SALU_CYCLE_1)
	s_mov_b32 s9, exec_lo
	v_cmpx_gt_u32_e64 s8, v80
	s_cbranch_execnz .LBB523_73
.LBB523_58:                             ;   in Loop: Header=BB523_24 Depth=2
	s_or_b32 exec_lo, exec_lo, s9
	s_delay_alu instid0(SALU_CYCLE_1)
	s_mov_b32 s9, exec_lo
	v_cmpx_gt_u32_e64 s8, v81
	s_cbranch_execnz .LBB523_74
.LBB523_59:                             ;   in Loop: Header=BB523_24 Depth=2
	s_or_b32 exec_lo, exec_lo, s9
	s_delay_alu instid0(SALU_CYCLE_1)
	s_mov_b32 s9, exec_lo
	v_cmpx_gt_u32_e64 s8, v82
	s_cbranch_execnz .LBB523_75
.LBB523_60:                             ;   in Loop: Header=BB523_24 Depth=2
	s_or_b32 exec_lo, exec_lo, s9
	v_cmp_gt_u32_e32 vcc_lo, s8, v83
	s_and_saveexec_b32 s8, vcc_lo
	s_cbranch_execz .LBB523_23
	s_branch .LBB523_76
.LBB523_61:                             ;   in Loop: Header=BB523_24 Depth=2
	v_xor_b32_e32 v41, 0x7fffffff, v40
	s_delay_alu instid0(VALU_DEP_1) | instskip(NEXT) | instid1(VALU_DEP_1)
	v_lshrrev_b32_e32 v41, s43, v41
	v_and_b32_e32 v41, s48, v41
	s_delay_alu instid0(VALU_DEP_1) | instskip(SKIP_2) | instid1(SALU_CYCLE_1)
	v_lshl_or_b32 v41, v41, 4, v84
	ds_add_u32 v41, v95
	s_or_b32 exec_lo, exec_lo, s9
	s_mov_b32 s9, exec_lo
	v_cmpx_gt_u32_e64 s8, v3
	s_cbranch_execz .LBB523_47
.LBB523_62:                             ;   in Loop: Header=BB523_24 Depth=2
	v_xor_b32_e32 v41, 0x7fffffff, v39
	s_delay_alu instid0(VALU_DEP_1) | instskip(NEXT) | instid1(VALU_DEP_1)
	v_lshrrev_b32_e32 v41, s43, v41
	v_and_b32_e32 v41, s48, v41
	s_delay_alu instid0(VALU_DEP_1) | instskip(SKIP_2) | instid1(SALU_CYCLE_1)
	v_lshl_or_b32 v41, v41, 4, v84
	ds_add_u32 v41, v95
	s_or_b32 exec_lo, exec_lo, s9
	s_mov_b32 s9, exec_lo
	v_cmpx_gt_u32_e64 s8, v70
	s_cbranch_execz .LBB523_48
.LBB523_63:                             ;   in Loop: Header=BB523_24 Depth=2
	v_xor_b32_e32 v41, 0x7fffffff, v38
	s_delay_alu instid0(VALU_DEP_1) | instskip(NEXT) | instid1(VALU_DEP_1)
	v_lshrrev_b32_e32 v41, s43, v41
	v_and_b32_e32 v41, s48, v41
	s_delay_alu instid0(VALU_DEP_1) | instskip(SKIP_2) | instid1(SALU_CYCLE_1)
	v_lshl_or_b32 v41, v41, 4, v84
	ds_add_u32 v41, v95
	s_or_b32 exec_lo, exec_lo, s9
	s_mov_b32 s9, exec_lo
	v_cmpx_gt_u32_e64 s8, v71
	s_cbranch_execz .LBB523_49
.LBB523_64:                             ;   in Loop: Header=BB523_24 Depth=2
	v_xor_b32_e32 v41, 0x7fffffff, v37
	s_delay_alu instid0(VALU_DEP_1) | instskip(NEXT) | instid1(VALU_DEP_1)
	v_lshrrev_b32_e32 v41, s43, v41
	v_and_b32_e32 v41, s48, v41
	s_delay_alu instid0(VALU_DEP_1) | instskip(SKIP_2) | instid1(SALU_CYCLE_1)
	v_lshl_or_b32 v41, v41, 4, v84
	ds_add_u32 v41, v95
	s_or_b32 exec_lo, exec_lo, s9
	s_mov_b32 s9, exec_lo
	v_cmpx_gt_u32_e64 s8, v72
	s_cbranch_execz .LBB523_50
.LBB523_65:                             ;   in Loop: Header=BB523_24 Depth=2
	v_xor_b32_e32 v41, 0x7fffffff, v36
	s_delay_alu instid0(VALU_DEP_1) | instskip(NEXT) | instid1(VALU_DEP_1)
	v_lshrrev_b32_e32 v41, s43, v41
	v_and_b32_e32 v41, s48, v41
	s_delay_alu instid0(VALU_DEP_1) | instskip(SKIP_2) | instid1(SALU_CYCLE_1)
	v_lshl_or_b32 v41, v41, 4, v84
	ds_add_u32 v41, v95
	s_or_b32 exec_lo, exec_lo, s9
	s_mov_b32 s9, exec_lo
	v_cmpx_gt_u32_e64 s8, v73
	s_cbranch_execz .LBB523_51
.LBB523_66:                             ;   in Loop: Header=BB523_24 Depth=2
	v_xor_b32_e32 v41, 0x7fffffff, v35
	s_delay_alu instid0(VALU_DEP_1) | instskip(NEXT) | instid1(VALU_DEP_1)
	v_lshrrev_b32_e32 v41, s43, v41
	v_and_b32_e32 v41, s48, v41
	s_delay_alu instid0(VALU_DEP_1) | instskip(SKIP_2) | instid1(SALU_CYCLE_1)
	v_lshl_or_b32 v41, v41, 4, v84
	ds_add_u32 v41, v95
	s_or_b32 exec_lo, exec_lo, s9
	s_mov_b32 s9, exec_lo
	v_cmpx_gt_u32_e64 s8, v74
	s_cbranch_execz .LBB523_52
.LBB523_67:                             ;   in Loop: Header=BB523_24 Depth=2
	v_xor_b32_e32 v41, 0x7fffffff, v34
	s_delay_alu instid0(VALU_DEP_1) | instskip(NEXT) | instid1(VALU_DEP_1)
	v_lshrrev_b32_e32 v41, s43, v41
	v_and_b32_e32 v41, s48, v41
	s_delay_alu instid0(VALU_DEP_1) | instskip(SKIP_2) | instid1(SALU_CYCLE_1)
	v_lshl_or_b32 v41, v41, 4, v84
	ds_add_u32 v41, v95
	s_or_b32 exec_lo, exec_lo, s9
	s_mov_b32 s9, exec_lo
	v_cmpx_gt_u32_e64 s8, v75
	s_cbranch_execz .LBB523_53
.LBB523_68:                             ;   in Loop: Header=BB523_24 Depth=2
	v_xor_b32_e32 v41, 0x7fffffff, v33
	s_delay_alu instid0(VALU_DEP_1) | instskip(NEXT) | instid1(VALU_DEP_1)
	v_lshrrev_b32_e32 v41, s43, v41
	v_and_b32_e32 v41, s48, v41
	s_delay_alu instid0(VALU_DEP_1) | instskip(SKIP_2) | instid1(SALU_CYCLE_1)
	v_lshl_or_b32 v41, v41, 4, v84
	ds_add_u32 v41, v95
	s_or_b32 exec_lo, exec_lo, s9
	s_mov_b32 s9, exec_lo
	v_cmpx_gt_u32_e64 s8, v76
	s_cbranch_execz .LBB523_54
.LBB523_69:                             ;   in Loop: Header=BB523_24 Depth=2
	v_xor_b32_e32 v41, 0x7fffffff, v32
	s_delay_alu instid0(VALU_DEP_1) | instskip(NEXT) | instid1(VALU_DEP_1)
	v_lshrrev_b32_e32 v41, s43, v41
	v_and_b32_e32 v41, s48, v41
	s_delay_alu instid0(VALU_DEP_1) | instskip(SKIP_2) | instid1(SALU_CYCLE_1)
	v_lshl_or_b32 v41, v41, 4, v84
	ds_add_u32 v41, v95
	s_or_b32 exec_lo, exec_lo, s9
	s_mov_b32 s9, exec_lo
	v_cmpx_gt_u32_e64 s8, v77
	s_cbranch_execz .LBB523_55
.LBB523_70:                             ;   in Loop: Header=BB523_24 Depth=2
	v_xor_b32_e32 v41, 0x7fffffff, v31
	s_delay_alu instid0(VALU_DEP_1) | instskip(NEXT) | instid1(VALU_DEP_1)
	v_lshrrev_b32_e32 v41, s43, v41
	v_and_b32_e32 v41, s48, v41
	s_delay_alu instid0(VALU_DEP_1) | instskip(SKIP_2) | instid1(SALU_CYCLE_1)
	v_lshl_or_b32 v41, v41, 4, v84
	ds_add_u32 v41, v95
	s_or_b32 exec_lo, exec_lo, s9
	s_mov_b32 s9, exec_lo
	v_cmpx_gt_u32_e64 s8, v78
	s_cbranch_execz .LBB523_56
.LBB523_71:                             ;   in Loop: Header=BB523_24 Depth=2
	v_xor_b32_e32 v41, 0x7fffffff, v30
	s_delay_alu instid0(VALU_DEP_1) | instskip(NEXT) | instid1(VALU_DEP_1)
	v_lshrrev_b32_e32 v41, s43, v41
	v_and_b32_e32 v41, s48, v41
	s_delay_alu instid0(VALU_DEP_1) | instskip(SKIP_2) | instid1(SALU_CYCLE_1)
	v_lshl_or_b32 v41, v41, 4, v84
	ds_add_u32 v41, v95
	s_or_b32 exec_lo, exec_lo, s9
	s_mov_b32 s9, exec_lo
	v_cmpx_gt_u32_e64 s8, v79
	s_cbranch_execz .LBB523_57
.LBB523_72:                             ;   in Loop: Header=BB523_24 Depth=2
	v_xor_b32_e32 v41, 0x7fffffff, v29
	s_delay_alu instid0(VALU_DEP_1) | instskip(NEXT) | instid1(VALU_DEP_1)
	v_lshrrev_b32_e32 v41, s43, v41
	v_and_b32_e32 v41, s48, v41
	s_delay_alu instid0(VALU_DEP_1) | instskip(SKIP_2) | instid1(SALU_CYCLE_1)
	v_lshl_or_b32 v41, v41, 4, v84
	ds_add_u32 v41, v95
	s_or_b32 exec_lo, exec_lo, s9
	s_mov_b32 s9, exec_lo
	v_cmpx_gt_u32_e64 s8, v80
	s_cbranch_execz .LBB523_58
.LBB523_73:                             ;   in Loop: Header=BB523_24 Depth=2
	v_xor_b32_e32 v41, 0x7fffffff, v28
	s_delay_alu instid0(VALU_DEP_1) | instskip(NEXT) | instid1(VALU_DEP_1)
	v_lshrrev_b32_e32 v41, s43, v41
	v_and_b32_e32 v41, s48, v41
	s_delay_alu instid0(VALU_DEP_1) | instskip(SKIP_2) | instid1(SALU_CYCLE_1)
	v_lshl_or_b32 v41, v41, 4, v84
	ds_add_u32 v41, v95
	s_or_b32 exec_lo, exec_lo, s9
	s_mov_b32 s9, exec_lo
	v_cmpx_gt_u32_e64 s8, v81
	s_cbranch_execz .LBB523_59
.LBB523_74:                             ;   in Loop: Header=BB523_24 Depth=2
	v_xor_b32_e32 v41, 0x7fffffff, v27
	s_delay_alu instid0(VALU_DEP_1) | instskip(NEXT) | instid1(VALU_DEP_1)
	v_lshrrev_b32_e32 v41, s43, v41
	v_and_b32_e32 v41, s48, v41
	s_delay_alu instid0(VALU_DEP_1) | instskip(SKIP_2) | instid1(SALU_CYCLE_1)
	v_lshl_or_b32 v41, v41, 4, v84
	ds_add_u32 v41, v95
	s_or_b32 exec_lo, exec_lo, s9
	s_mov_b32 s9, exec_lo
	v_cmpx_gt_u32_e64 s8, v82
	s_cbranch_execz .LBB523_60
.LBB523_75:                             ;   in Loop: Header=BB523_24 Depth=2
	v_xor_b32_e32 v41, 0x7fffffff, v26
	s_delay_alu instid0(VALU_DEP_1) | instskip(NEXT) | instid1(VALU_DEP_1)
	v_lshrrev_b32_e32 v41, s43, v41
	v_and_b32_e32 v41, s48, v41
	s_delay_alu instid0(VALU_DEP_1)
	v_lshl_or_b32 v41, v41, 4, v84
	ds_add_u32 v41, v95
	s_or_b32 exec_lo, exec_lo, s9
	v_cmp_gt_u32_e32 vcc_lo, s8, v83
	s_and_saveexec_b32 s8, vcc_lo
	s_cbranch_execz .LBB523_23
.LBB523_76:                             ;   in Loop: Header=BB523_24 Depth=2
	v_xor_b32_e32 v41, 0x7fffffff, v25
	s_delay_alu instid0(VALU_DEP_1) | instskip(NEXT) | instid1(VALU_DEP_1)
	v_lshrrev_b32_e32 v41, s43, v41
	v_and_b32_e32 v41, s48, v41
	s_delay_alu instid0(VALU_DEP_1)
	v_lshl_or_b32 v41, v41, 4, v84
	ds_add_u32 v41, v95
	s_branch .LBB523_23
.LBB523_77:                             ;   in Loop: Header=BB523_24 Depth=2
	global_load_b32 v40, v2, s[8:9] scale_offset
	s_wait_xcnt 0x0
	s_or_b32 exec_lo, exec_lo, s11
	s_delay_alu instid0(SALU_CYCLE_1)
	s_mov_b32 s11, exec_lo
	v_cmpx_gt_u32_e64 s7, v3
	s_cbranch_execz .LBB523_29
.LBB523_78:                             ;   in Loop: Header=BB523_24 Depth=2
	global_load_b32 v39, v2, s[8:9] offset:1024 scale_offset
	s_wait_xcnt 0x0
	s_or_b32 exec_lo, exec_lo, s11
	s_delay_alu instid0(SALU_CYCLE_1)
	s_mov_b32 s11, exec_lo
	v_cmpx_gt_u32_e64 s7, v70
	s_cbranch_execz .LBB523_30
.LBB523_79:                             ;   in Loop: Header=BB523_24 Depth=2
	global_load_b32 v38, v2, s[8:9] offset:2048 scale_offset
	s_wait_xcnt 0x0
	s_or_b32 exec_lo, exec_lo, s11
	s_delay_alu instid0(SALU_CYCLE_1)
	s_mov_b32 s11, exec_lo
	v_cmpx_gt_u32_e64 s7, v71
	s_cbranch_execz .LBB523_31
.LBB523_80:                             ;   in Loop: Header=BB523_24 Depth=2
	global_load_b32 v37, v2, s[8:9] offset:3072 scale_offset
	s_wait_xcnt 0x0
	s_or_b32 exec_lo, exec_lo, s11
	s_delay_alu instid0(SALU_CYCLE_1)
	s_mov_b32 s11, exec_lo
	v_cmpx_gt_u32_e64 s7, v72
	s_cbranch_execz .LBB523_32
.LBB523_81:                             ;   in Loop: Header=BB523_24 Depth=2
	global_load_b32 v36, v2, s[8:9] offset:4096 scale_offset
	s_wait_xcnt 0x0
	s_or_b32 exec_lo, exec_lo, s11
	s_delay_alu instid0(SALU_CYCLE_1)
	s_mov_b32 s11, exec_lo
	v_cmpx_gt_u32_e64 s7, v73
	s_cbranch_execz .LBB523_33
.LBB523_82:                             ;   in Loop: Header=BB523_24 Depth=2
	global_load_b32 v35, v2, s[8:9] offset:5120 scale_offset
	s_wait_xcnt 0x0
	s_or_b32 exec_lo, exec_lo, s11
	s_delay_alu instid0(SALU_CYCLE_1)
	s_mov_b32 s11, exec_lo
	v_cmpx_gt_u32_e64 s7, v74
	s_cbranch_execz .LBB523_34
.LBB523_83:                             ;   in Loop: Header=BB523_24 Depth=2
	global_load_b32 v34, v2, s[8:9] offset:6144 scale_offset
	s_wait_xcnt 0x0
	s_or_b32 exec_lo, exec_lo, s11
	s_delay_alu instid0(SALU_CYCLE_1)
	s_mov_b32 s11, exec_lo
	v_cmpx_gt_u32_e64 s7, v75
	s_cbranch_execz .LBB523_35
.LBB523_84:                             ;   in Loop: Header=BB523_24 Depth=2
	global_load_b32 v33, v2, s[8:9] offset:7168 scale_offset
	s_wait_xcnt 0x0
	s_or_b32 exec_lo, exec_lo, s11
	s_delay_alu instid0(SALU_CYCLE_1)
	s_mov_b32 s11, exec_lo
	v_cmpx_gt_u32_e64 s7, v76
	s_cbranch_execz .LBB523_36
.LBB523_85:                             ;   in Loop: Header=BB523_24 Depth=2
	global_load_b32 v32, v2, s[8:9] offset:8192 scale_offset
	s_wait_xcnt 0x0
	s_or_b32 exec_lo, exec_lo, s11
	s_delay_alu instid0(SALU_CYCLE_1)
	s_mov_b32 s11, exec_lo
	v_cmpx_gt_u32_e64 s7, v77
	s_cbranch_execz .LBB523_37
.LBB523_86:                             ;   in Loop: Header=BB523_24 Depth=2
	global_load_b32 v31, v2, s[8:9] offset:9216 scale_offset
	s_wait_xcnt 0x0
	s_or_b32 exec_lo, exec_lo, s11
	s_delay_alu instid0(SALU_CYCLE_1)
	s_mov_b32 s11, exec_lo
	v_cmpx_gt_u32_e64 s7, v78
	s_cbranch_execz .LBB523_38
.LBB523_87:                             ;   in Loop: Header=BB523_24 Depth=2
	global_load_b32 v30, v2, s[8:9] offset:10240 scale_offset
	s_wait_xcnt 0x0
	s_or_b32 exec_lo, exec_lo, s11
	s_delay_alu instid0(SALU_CYCLE_1)
	s_mov_b32 s11, exec_lo
	v_cmpx_gt_u32_e64 s7, v79
	s_cbranch_execz .LBB523_39
.LBB523_88:                             ;   in Loop: Header=BB523_24 Depth=2
	global_load_b32 v29, v2, s[8:9] offset:11264 scale_offset
	s_wait_xcnt 0x0
	s_or_b32 exec_lo, exec_lo, s11
	s_delay_alu instid0(SALU_CYCLE_1)
	s_mov_b32 s11, exec_lo
	v_cmpx_gt_u32_e64 s7, v80
	s_cbranch_execz .LBB523_40
.LBB523_89:                             ;   in Loop: Header=BB523_24 Depth=2
	global_load_b32 v28, v2, s[8:9] offset:12288 scale_offset
	s_wait_xcnt 0x0
	s_or_b32 exec_lo, exec_lo, s11
	s_delay_alu instid0(SALU_CYCLE_1)
	s_mov_b32 s11, exec_lo
	v_cmpx_gt_u32_e64 s7, v81
	s_cbranch_execz .LBB523_41
.LBB523_90:                             ;   in Loop: Header=BB523_24 Depth=2
	global_load_b32 v27, v2, s[8:9] offset:13312 scale_offset
	s_wait_xcnt 0x0
	s_or_b32 exec_lo, exec_lo, s11
	s_delay_alu instid0(SALU_CYCLE_1)
	s_mov_b32 s11, exec_lo
	v_cmpx_gt_u32_e64 s7, v82
	s_cbranch_execz .LBB523_42
.LBB523_91:                             ;   in Loop: Header=BB523_24 Depth=2
	global_load_b32 v26, v2, s[8:9] offset:14336 scale_offset
	s_wait_xcnt 0x0
	s_or_b32 exec_lo, exec_lo, s11
	s_delay_alu instid0(SALU_CYCLE_1)
	s_mov_b32 s11, exec_lo
	v_cmpx_gt_u32_e64 s7, v83
	s_cbranch_execnz .LBB523_43
	s_branch .LBB523_44
.LBB523_92:                             ;   in Loop: Header=BB523_20 Depth=1
	v_mov_b32_e32 v25, 0
	s_wait_dscnt 0x0
	s_barrier_signal -1
	s_barrier_wait -1
	s_and_saveexec_b32 s7, s0
	s_cbranch_execz .LBB523_94
; %bb.93:                               ;   in Loop: Header=BB523_20 Depth=1
	ds_load_2addr_b64 v[26:29], v86 offset1:1
	s_wait_dscnt 0x0
	v_add_nc_u32_e32 v25, v27, v26
	s_delay_alu instid0(VALU_DEP_1)
	v_add3_u32 v25, v25, v28, v29
.LBB523_94:                             ;   in Loop: Header=BB523_20 Depth=1
	s_or_b32 exec_lo, exec_lo, s7
	s_delay_alu instid0(VALU_DEP_1)
	v_mov_b32_dpp v26, v25 row_shr:1 row_mask:0xf bank_mask:0xf
	v_cmp_eq_u32_e64 s7, 0, v96
	v_cmp_lt_u32_e64 s8, 1, v96
	v_cmp_lt_u32_e64 s9, 3, v96
	;; [unrolled: 1-line block ×3, first 2 shown]
	v_cmp_eq_u32_e64 s11, 0, v98
	v_cndmask_b32_e64 v26, v26, 0, s7
	s_delay_alu instid0(VALU_DEP_1) | instskip(NEXT) | instid1(VALU_DEP_1)
	v_add_nc_u32_e32 v25, v26, v25
	v_mov_b32_dpp v26, v25 row_shr:2 row_mask:0xf bank_mask:0xf
	s_delay_alu instid0(VALU_DEP_1) | instskip(NEXT) | instid1(VALU_DEP_1)
	v_cndmask_b32_e64 v26, 0, v26, s8
	v_add_nc_u32_e32 v25, v25, v26
	s_delay_alu instid0(VALU_DEP_1) | instskip(NEXT) | instid1(VALU_DEP_1)
	v_mov_b32_dpp v26, v25 row_shr:4 row_mask:0xf bank_mask:0xf
	v_cndmask_b32_e64 v26, 0, v26, s9
	s_delay_alu instid0(VALU_DEP_1) | instskip(NEXT) | instid1(VALU_DEP_1)
	v_add_nc_u32_e32 v25, v25, v26
	v_mov_b32_dpp v26, v25 row_shr:8 row_mask:0xf bank_mask:0xf
	s_delay_alu instid0(VALU_DEP_1) | instskip(NEXT) | instid1(VALU_DEP_1)
	v_cndmask_b32_e64 v26, 0, v26, s10
	v_add_nc_u32_e32 v25, v25, v26
	ds_swizzle_b32 v26, v25 offset:swizzle(BROADCAST,32,15)
	s_wait_dscnt 0x0
	v_and_b32_e32 v26, v97, v26
	s_delay_alu instid0(VALU_DEP_1)
	v_add_nc_u32_e32 v25, v25, v26
	s_and_saveexec_b32 s12, s1
; %bb.95:                               ;   in Loop: Header=BB523_20 Depth=1
	ds_store_b32 v87, v25
; %bb.96:                               ;   in Loop: Header=BB523_20 Depth=1
	s_or_b32 exec_lo, exec_lo, s12
	s_wait_dscnt 0x0
	s_barrier_signal -1
	s_barrier_wait -1
	s_and_saveexec_b32 s12, s4
	s_cbranch_execz .LBB523_98
; %bb.97:                               ;   in Loop: Header=BB523_20 Depth=1
	ds_load_b32 v26, v88
	v_cmp_ne_u32_e32 vcc_lo, 0, v100
	s_wait_dscnt 0x0
	v_mov_b32_dpp v27, v26 row_shr:1 row_mask:0xf bank_mask:0xf
	s_delay_alu instid0(VALU_DEP_1) | instskip(SKIP_1) | instid1(VALU_DEP_2)
	v_cndmask_b32_e32 v27, 0, v27, vcc_lo
	v_cmp_lt_u32_e32 vcc_lo, 1, v100
	v_add_nc_u32_e32 v26, v27, v26
	s_delay_alu instid0(VALU_DEP_1) | instskip(NEXT) | instid1(VALU_DEP_1)
	v_mov_b32_dpp v27, v26 row_shr:2 row_mask:0xf bank_mask:0xf
	v_cndmask_b32_e32 v27, 0, v27, vcc_lo
	v_cmp_lt_u32_e32 vcc_lo, 3, v100
	s_delay_alu instid0(VALU_DEP_2) | instskip(NEXT) | instid1(VALU_DEP_1)
	v_add_nc_u32_e32 v26, v26, v27
	v_mov_b32_dpp v27, v26 row_shr:4 row_mask:0xf bank_mask:0xf
	s_delay_alu instid0(VALU_DEP_1) | instskip(NEXT) | instid1(VALU_DEP_1)
	v_cndmask_b32_e32 v27, 0, v27, vcc_lo
	v_add_nc_u32_e32 v26, v26, v27
	ds_store_b32 v88, v26
.LBB523_98:                             ;   in Loop: Header=BB523_20 Depth=1
	s_or_b32 exec_lo, exec_lo, s12
	v_mov_b32_e32 v26, 0
	s_wait_dscnt 0x0
	s_barrier_signal -1
	s_barrier_wait -1
	s_and_saveexec_b32 s12, s5
; %bb.99:                               ;   in Loop: Header=BB523_20 Depth=1
	ds_load_b32 v26, v89
; %bb.100:                              ;   in Loop: Header=BB523_20 Depth=1
	s_or_b32 exec_lo, exec_lo, s12
	v_cmp_gt_i32_e32 vcc_lo, 0, v101
	s_wait_dscnt 0x0
	s_barrier_signal -1
	s_barrier_wait -1
	v_dual_cndmask_b32 v27, v101, v94, vcc_lo :: v_dual_add_nc_u32 v25, v26, v25
	s_delay_alu instid0(VALU_DEP_1)
	v_lshlrev_b32_e32 v120, 2, v27
	ds_bpermute_b32 v25, v120, v25
	s_and_saveexec_b32 s12, s0
	s_cbranch_execz .LBB523_102
; %bb.101:                              ;   in Loop: Header=BB523_20 Depth=1
	s_wait_dscnt 0x0
	v_cndmask_b32_e64 v25, v25, v26, s6
	s_delay_alu instid0(VALU_DEP_1)
	v_add_nc_u32_e32 v25, s52, v25
	ds_store_b32 v4, v25
.LBB523_102:                            ;   in Loop: Header=BB523_20 Depth=1
	s_or_b32 exec_lo, exec_lo, s12
	s_clause 0x1
	s_load_b32 s12, s[34:35], 0x4
	s_load_b32 s14, s[34:35], 0xc
	s_mov_b32 s55, s54
                                        ; implicit-def: $vgpr32_vgpr33
                                        ; implicit-def: $vgpr34_vgpr35
                                        ; implicit-def: $vgpr36_vgpr37
                                        ; implicit-def: $vgpr38_vgpr39
                                        ; implicit-def: $vgpr40_vgpr41
                                        ; implicit-def: $vgpr42_vgpr43
                                        ; implicit-def: $vgpr44_vgpr45
                                        ; implicit-def: $vgpr46_vgpr47
                                        ; implicit-def: $vgpr48_vgpr49
                                        ; implicit-def: $vgpr50_vgpr51
                                        ; implicit-def: $vgpr52_vgpr53
                                        ; implicit-def: $vgpr54_vgpr55
                                        ; implicit-def: $vgpr56_vgpr57
                                        ; implicit-def: $vgpr58_vgpr59
                                        ; implicit-def: $vgpr60_vgpr61
                                        ; implicit-def: $vgpr121
                                        ; implicit-def: $vgpr122
                                        ; implicit-def: $vgpr123
                                        ; implicit-def: $vgpr124
                                        ; implicit-def: $vgpr125
                                        ; implicit-def: $vgpr126
                                        ; implicit-def: $vgpr127
                                        ; implicit-def: $vgpr128
                                        ; implicit-def: $vgpr129
                                        ; implicit-def: $vgpr130
                                        ; implicit-def: $vgpr131
                                        ; implicit-def: $vgpr132
                                        ; implicit-def: $vgpr133
                                        ; implicit-def: $vgpr134
                                        ; implicit-def: $vgpr135
                                        ; implicit-def: $vgpr136
	s_wait_kmcnt 0x0
	s_cmp_lt_u32 s42, s12
	s_cselect_b32 s30, 14, 20
	s_delay_alu instid0(SALU_CYCLE_1)
	s_add_nc_u64 s[12:13], s[34:35], s[30:31]
	s_mov_b32 s30, s52
	s_load_u16 s12, s[12:13], 0x0
	s_wait_xcnt 0x0
	v_cmp_lt_u32_e64 s13, 1, v100
	s_wait_dscnt 0x0
	s_wait_kmcnt 0x0
	v_mad_u32_u24 v25, v90, s12, v92
	s_and_b32 s12, s14, 0xffff
	v_cmp_lt_u32_e64 s14, 3, v100
	s_delay_alu instid0(VALU_DEP_2) | instskip(SKIP_2) | instid1(VALU_DEP_3)
	v_mad_u32 v26, v25, s12, v2
	v_mov_b32_e32 v25, v1
	v_cmp_eq_u32_e64 s12, 0, v100
	v_lshrrev_b32_e32 v30, 3, v26
	v_add_nc_u64_e32 v[26:27], v[6:7], v[0:1]
	s_delay_alu instid0(VALU_DEP_4) | instskip(NEXT) | instid1(VALU_DEP_3)
	v_add_nc_u64_e32 v[28:29], v[8:9], v[24:25]
	v_and_b32_e32 v25, 0x1ffffffc, v30
                                        ; implicit-def: $vgpr30_vgpr31
	s_branch .LBB523_104
.LBB523_103:                            ;   in Loop: Header=BB523_104 Depth=2
	s_or_b32 exec_lo, exec_lo, s15
	s_addk_co_i32 s55, 0xf000
	s_cmp_lt_u32 s56, s51
	s_mov_b32 s30, s56
	s_cbranch_scc0 .LBB523_312
.LBB523_104:                            ;   Parent Loop BB523_20 Depth=1
                                        ; =>  This Inner Loop Header: Depth=2
	s_add_co_i32 s56, s30, 0x1000
	s_delay_alu instid0(SALU_CYCLE_1)
	s_cmp_gt_u32 s56, s51
	s_cbranch_scc1 .LBB523_106
; %bb.105:                              ;   in Loop: Header=BB523_104 Depth=2
	s_delay_alu instid0(VALU_DEP_2)
	v_lshl_add_u64 v[62:63], s[30:31], 2, v[28:29]
	s_mov_b32 s15, -1
	s_clause 0xe
	global_load_b32 v139, v[62:63], off
	global_load_b32 v140, v[62:63], off offset:128
	global_load_b32 v143, v[62:63], off offset:256
	;; [unrolled: 1-line block ×14, first 2 shown]
	s_movk_i32 s16, 0x1000
	s_cbranch_execz .LBB523_107
	s_branch .LBB523_138
.LBB523_106:                            ;   in Loop: Header=BB523_104 Depth=2
	s_mov_b32 s15, 0
                                        ; implicit-def: $vgpr139
                                        ; implicit-def: $vgpr140
                                        ; implicit-def: $vgpr143
                                        ; implicit-def: $vgpr147
                                        ; implicit-def: $vgpr151
                                        ; implicit-def: $vgpr155
                                        ; implicit-def: $vgpr159
                                        ; implicit-def: $vgpr163
                                        ; implicit-def: $vgpr166
                                        ; implicit-def: $vgpr69
                                        ; implicit-def: $vgpr68
                                        ; implicit-def: $vgpr67
                                        ; implicit-def: $vgpr66
                                        ; implicit-def: $vgpr65
                                        ; implicit-def: $vgpr64
	s_movk_i32 s16, 0x1000
.LBB523_107:                            ;   in Loop: Header=BB523_104 Depth=2
	s_wait_xcnt 0x0
	v_lshl_add_u64 v[62:63], s[30:31], 2, v[28:29]
	s_wait_loadcnt 0xd
	v_bfrev_b32_e32 v140, 1
	v_bfrev_b32_e32 v139, 1
	s_mov_b32 s15, exec_lo
	v_cmpx_gt_u32_e64 s55, v99
	s_cbranch_execz .LBB523_109
; %bb.108:                              ;   in Loop: Header=BB523_104 Depth=2
	global_load_b32 v139, v[62:63], off
.LBB523_109:                            ;   in Loop: Header=BB523_104 Depth=2
	s_wait_xcnt 0x0
	s_or_b32 exec_lo, exec_lo, s15
	s_delay_alu instid0(SALU_CYCLE_1)
	s_mov_b32 s15, exec_lo
	v_cmpx_gt_u32_e64 s55, v102
	s_cbranch_execz .LBB523_111
; %bb.110:                              ;   in Loop: Header=BB523_104 Depth=2
	global_load_b32 v140, v[62:63], off offset:128
.LBB523_111:                            ;   in Loop: Header=BB523_104 Depth=2
	s_wait_xcnt 0x0
	s_or_b32 exec_lo, exec_lo, s15
	s_wait_loadcnt 0xb
	v_bfrev_b32_e32 v147, 1
	v_bfrev_b32_e32 v143, 1
	s_mov_b32 s15, exec_lo
	v_cmpx_gt_u32_e64 s55, v103
	s_cbranch_execz .LBB523_113
; %bb.112:                              ;   in Loop: Header=BB523_104 Depth=2
	global_load_b32 v143, v[62:63], off offset:256
.LBB523_113:                            ;   in Loop: Header=BB523_104 Depth=2
	s_wait_xcnt 0x0
	s_or_b32 exec_lo, exec_lo, s15
	s_delay_alu instid0(SALU_CYCLE_1)
	s_mov_b32 s15, exec_lo
	v_cmpx_gt_u32_e64 s55, v104
	s_cbranch_execz .LBB523_115
; %bb.114:                              ;   in Loop: Header=BB523_104 Depth=2
	global_load_b32 v147, v[62:63], off offset:384
.LBB523_115:                            ;   in Loop: Header=BB523_104 Depth=2
	s_wait_xcnt 0x0
	s_or_b32 exec_lo, exec_lo, s15
	s_wait_loadcnt 0x9
	v_bfrev_b32_e32 v155, 1
	v_bfrev_b32_e32 v151, 1
	s_mov_b32 s15, exec_lo
	v_cmpx_gt_u32_e64 s55, v105
	s_cbranch_execz .LBB523_117
; %bb.116:                              ;   in Loop: Header=BB523_104 Depth=2
	global_load_b32 v151, v[62:63], off offset:512
.LBB523_117:                            ;   in Loop: Header=BB523_104 Depth=2
	;; [unrolled: 20-line block ×6, first 2 shown]
	s_wait_xcnt 0x0
	s_or_b32 exec_lo, exec_lo, s15
	s_delay_alu instid0(SALU_CYCLE_1)
	s_mov_b32 s15, exec_lo
	v_cmpx_gt_u32_e64 s55, v114
	s_cbranch_execz .LBB523_135
; %bb.134:                              ;   in Loop: Header=BB523_104 Depth=2
	global_load_b32 v65, v[62:63], off offset:1664
.LBB523_135:                            ;   in Loop: Header=BB523_104 Depth=2
	s_wait_xcnt 0x0
	s_or_b32 exec_lo, exec_lo, s15
	s_wait_loadcnt 0x0
	v_bfrev_b32_e32 v64, 1
	s_mov_b32 s15, exec_lo
	v_cmpx_gt_u32_e64 s55, v115
	s_cbranch_execz .LBB523_137
; %bb.136:                              ;   in Loop: Header=BB523_104 Depth=2
	global_load_b32 v64, v[62:63], off offset:1792
.LBB523_137:                            ;   in Loop: Header=BB523_104 Depth=2
	s_wait_xcnt 0x0
	s_or_b32 exec_lo, exec_lo, s15
	v_cmp_gt_u32_e64 s15, s55, v116
	s_sub_co_i32 s16, s51, s30
.LBB523_138:                            ;   in Loop: Header=BB523_104 Depth=2
	v_dual_mov_b32 v138, -1 :: v_dual_mov_b32 v137, s55
	s_wait_xcnt 0x0
	s_and_saveexec_b32 s17, s15
	s_cbranch_execz .LBB523_140
; %bb.139:                              ;   in Loop: Header=BB523_104 Depth=2
	v_lshl_add_u64 v[62:63], s[30:31], 2, v[28:29]
	v_mov_b32_e32 v137, s16
	global_load_b32 v62, v[62:63], off offset:1920
	s_wait_loadcnt 0x0
	v_xor_b32_e32 v138, 0x7fffffff, v62
.LBB523_140:                            ;   in Loop: Header=BB523_104 Depth=2
	s_wait_xcnt 0x0
	s_or_b32 exec_lo, exec_lo, s17
	s_wait_loadcnt 0xe
	v_xor_b32_e32 v139, 0x7fffffff, v139
	ds_store_2addr_b32 v5, v1, v1 offset1:1
	ds_store_2addr_b32 v117, v1, v1 offset1:1
	;; [unrolled: 1-line block ×4, first 2 shown]
	ds_store_b32 v91, v1 offset:1088
	s_wait_loadcnt_dscnt 0x0
	s_barrier_signal -1
	v_lshrrev_b32_e32 v62, s43, v139
	s_barrier_wait -1
	; wave barrier
	s_delay_alu instid0(VALU_DEP_1) | instskip(NEXT) | instid1(VALU_DEP_1)
	v_and_b32_e32 v142, s48, v62
	v_lshlrev_b32_e32 v141, 30, v142
	v_bitop3_b32 v63, v62, 1, s48 bitop3:0x80
	s_delay_alu instid0(VALU_DEP_1) | instskip(NEXT) | instid1(VALU_DEP_1)
	v_add_co_u32 v62, s15, v63, -1
	v_cndmask_b32_e64 v63, 0, 1, s15
	s_delay_alu instid0(VALU_DEP_4) | instskip(NEXT) | instid1(VALU_DEP_2)
	v_cmp_gt_i32_e64 s15, 0, v141
	v_cmp_ne_u32_e32 vcc_lo, 0, v63
	v_not_b32_e32 v63, v141
	s_delay_alu instid0(VALU_DEP_1) | instskip(SKIP_3) | instid1(VALU_DEP_4)
	v_dual_ashrrev_i32 v63, 31, v63 :: v_dual_lshlrev_b32 v144, 29, v142
	v_dual_lshlrev_b32 v145, 28, v142 :: v_dual_lshlrev_b32 v146, 27, v142
	v_dual_lshlrev_b32 v148, 26, v142 :: v_dual_lshlrev_b32 v149, 25, v142
	v_lshlrev_b32_e32 v150, 24, v142
	v_cmp_gt_i32_e64 s16, 0, v144
	v_not_b32_e32 v141, v144
	v_not_b32_e32 v144, v145
	v_cmp_gt_i32_e64 s17, 0, v145
	v_cmp_gt_i32_e64 s18, 0, v146
	v_not_b32_e32 v145, v146
	v_not_b32_e32 v146, v148
	v_dual_ashrrev_i32 v141, 31, v141 :: v_dual_bitop2_b32 v62, vcc_lo, v62 bitop3:0x14
	v_dual_ashrrev_i32 v144, 31, v144 :: v_dual_bitop2_b32 v63, s15, v63 bitop3:0x14
	v_cmp_gt_i32_e64 s19, 0, v148
	v_not_b32_e32 v148, v149
	s_delay_alu instid0(VALU_DEP_3)
	v_dual_ashrrev_i32 v145, 31, v145 :: v_dual_bitop2_b32 v144, s17, v144 bitop3:0x14
	v_dual_ashrrev_i32 v146, 31, v146 :: v_dual_bitop2_b32 v141, s16, v141 bitop3:0x14
	v_bitop3_b32 v62, v62, v63, exec_lo bitop3:0x80
	v_not_b32_e32 v63, v150
	v_cmp_gt_i32_e64 s20, 0, v149
	v_dual_ashrrev_i32 v148, 31, v148 :: v_dual_bitop2_b32 v145, s18, v145 bitop3:0x14
	s_delay_alu instid0(VALU_DEP_4) | instskip(SKIP_2) | instid1(VALU_DEP_4)
	v_bitop3_b32 v62, v62, v144, v141 bitop3:0x80
	v_cmp_gt_i32_e32 vcc_lo, 0, v150
	v_dual_ashrrev_i32 v63, 31, v63 :: v_dual_bitop2_b32 v141, s19, v146 bitop3:0x14
	v_xor_b32_e32 v144, s20, v148
	s_delay_alu instid0(VALU_DEP_2) | instskip(NEXT) | instid1(VALU_DEP_3)
	v_xor_b32_e32 v63, vcc_lo, v63
	v_bitop3_b32 v62, v62, v141, v145 bitop3:0x80
	s_delay_alu instid0(VALU_DEP_1) | instskip(SKIP_1) | instid1(VALU_DEP_2)
	v_bitop3_b32 v62, v62, v63, v144 bitop3:0x80
	v_mul_u32_u24_e32 v63, 36, v142
	v_mbcnt_lo_u32_b32 v141, v62, 0
	v_cmp_ne_u32_e64 s15, 0, v62
	s_delay_alu instid0(VALU_DEP_3) | instskip(NEXT) | instid1(VALU_DEP_3)
	v_add_nc_u32_e32 v142, v25, v63
	v_cmp_eq_u32_e32 vcc_lo, 0, v141
	s_and_b32 s16, s15, vcc_lo
	s_delay_alu instid0(SALU_CYCLE_1)
	s_and_saveexec_b32 s15, s16
; %bb.141:                              ;   in Loop: Header=BB523_104 Depth=2
	v_bcnt_u32_b32 v62, v62, 0
	ds_store_b32 v142, v62 offset:1056
; %bb.142:                              ;   in Loop: Header=BB523_104 Depth=2
	s_or_b32 exec_lo, exec_lo, s15
	v_xor_b32_e32 v140, 0x7fffffff, v140
	; wave barrier
	s_delay_alu instid0(VALU_DEP_1) | instskip(NEXT) | instid1(VALU_DEP_1)
	v_lshrrev_b32_e32 v62, s43, v140
	v_and_b32_e32 v146, s48, v62
	s_delay_alu instid0(VALU_DEP_1) | instskip(SKIP_1) | instid1(VALU_DEP_1)
	v_lshlrev_b32_e32 v144, 30, v146
	v_bitop3_b32 v63, v62, 1, s48 bitop3:0x80
	v_add_co_u32 v62, s15, v63, -1
	s_delay_alu instid0(VALU_DEP_1) | instskip(NEXT) | instid1(VALU_DEP_4)
	v_cndmask_b32_e64 v63, 0, 1, s15
	v_cmp_gt_i32_e64 s15, 0, v144
	s_delay_alu instid0(VALU_DEP_2) | instskip(SKIP_1) | instid1(VALU_DEP_1)
	v_cmp_ne_u32_e32 vcc_lo, 0, v63
	v_not_b32_e32 v63, v144
	v_dual_ashrrev_i32 v63, 31, v63 :: v_dual_lshlrev_b32 v145, 29, v146
	v_dual_lshlrev_b32 v148, 28, v146 :: v_dual_lshlrev_b32 v149, 27, v146
	v_dual_lshlrev_b32 v150, 26, v146 :: v_dual_lshlrev_b32 v152, 25, v146
	v_lshlrev_b32_e32 v153, 24, v146
	s_delay_alu instid0(VALU_DEP_4)
	v_cmp_gt_i32_e64 s16, 0, v145
	v_not_b32_e32 v144, v145
	v_not_b32_e32 v145, v148
	v_cmp_gt_i32_e64 s17, 0, v148
	v_cmp_gt_i32_e64 s18, 0, v149
	v_not_b32_e32 v148, v149
	v_not_b32_e32 v149, v150
	v_dual_ashrrev_i32 v144, 31, v144 :: v_dual_bitop2_b32 v62, vcc_lo, v62 bitop3:0x14
	v_dual_ashrrev_i32 v145, 31, v145 :: v_dual_bitop2_b32 v63, s15, v63 bitop3:0x14
	v_cmp_gt_i32_e64 s19, 0, v150
	s_delay_alu instid0(VALU_DEP_4) | instskip(SKIP_1) | instid1(VALU_DEP_4)
	v_dual_ashrrev_i32 v148, 31, v148 :: v_dual_ashrrev_i32 v149, 31, v149
	v_not_b32_e32 v150, v153
	v_xor_b32_e32 v145, s17, v145
	v_bitop3_b32 v62, v62, v63, exec_lo bitop3:0x80
	v_not_b32_e32 v63, v152
	v_xor_b32_e32 v144, s16, v144
	v_cmp_gt_i32_e64 s20, 0, v152
	v_xor_b32_e32 v148, s18, v148
	s_delay_alu instid0(VALU_DEP_4) | instskip(NEXT) | instid1(VALU_DEP_4)
	v_dual_ashrrev_i32 v63, 31, v63 :: v_dual_bitop2_b32 v149, s19, v149 bitop3:0x14
	v_bitop3_b32 v62, v62, v145, v144 bitop3:0x80
	v_cmp_gt_i32_e32 vcc_lo, 0, v153
	v_ashrrev_i32_e32 v144, 31, v150
	v_mad_u32_u24 v145, v146, 36, v25
	v_xor_b32_e32 v63, s20, v63
	v_bitop3_b32 v62, v62, v149, v148 bitop3:0x80
	s_delay_alu instid0(VALU_DEP_4) | instskip(SKIP_3) | instid1(VALU_DEP_2)
	v_xor_b32_e32 v148, vcc_lo, v144
	ds_load_b32 v144, v145 offset:1056
	; wave barrier
	v_bitop3_b32 v62, v62, v148, v63 bitop3:0x80
	v_mul_u32_u24_e32 v63, 36, v146
	v_mbcnt_lo_u32_b32 v145, v62, 0
	v_cmp_ne_u32_e64 s15, 0, v62
	s_delay_alu instid0(VALU_DEP_3) | instskip(NEXT) | instid1(VALU_DEP_3)
	v_add_nc_u32_e32 v146, v25, v63
	v_cmp_eq_u32_e32 vcc_lo, 0, v145
	s_and_b32 s16, s15, vcc_lo
	s_delay_alu instid0(SALU_CYCLE_1)
	s_and_saveexec_b32 s15, s16
	s_cbranch_execz .LBB523_144
; %bb.143:                              ;   in Loop: Header=BB523_104 Depth=2
	s_wait_dscnt 0x0
	v_bcnt_u32_b32 v62, v62, v144
	ds_store_b32 v146, v62 offset:1056
.LBB523_144:                            ;   in Loop: Header=BB523_104 Depth=2
	s_or_b32 exec_lo, exec_lo, s15
	v_xor_b32_e32 v143, 0x7fffffff, v143
	; wave barrier
	s_delay_alu instid0(VALU_DEP_1) | instskip(NEXT) | instid1(VALU_DEP_1)
	v_lshrrev_b32_e32 v62, s43, v143
	v_and_b32_e32 v150, s48, v62
	s_delay_alu instid0(VALU_DEP_1) | instskip(SKIP_1) | instid1(VALU_DEP_1)
	v_lshlrev_b32_e32 v148, 30, v150
	v_bitop3_b32 v63, v62, 1, s48 bitop3:0x80
	v_add_co_u32 v62, s15, v63, -1
	s_delay_alu instid0(VALU_DEP_1) | instskip(NEXT) | instid1(VALU_DEP_4)
	v_cndmask_b32_e64 v63, 0, 1, s15
	v_cmp_gt_i32_e64 s15, 0, v148
	s_delay_alu instid0(VALU_DEP_2) | instskip(SKIP_1) | instid1(VALU_DEP_1)
	v_cmp_ne_u32_e32 vcc_lo, 0, v63
	v_not_b32_e32 v63, v148
	v_dual_ashrrev_i32 v63, 31, v63 :: v_dual_lshlrev_b32 v149, 29, v150
	v_dual_lshlrev_b32 v152, 28, v150 :: v_dual_lshlrev_b32 v153, 27, v150
	v_dual_lshlrev_b32 v154, 26, v150 :: v_dual_lshlrev_b32 v156, 25, v150
	v_lshlrev_b32_e32 v157, 24, v150
	s_delay_alu instid0(VALU_DEP_4)
	v_cmp_gt_i32_e64 s16, 0, v149
	v_not_b32_e32 v148, v149
	v_not_b32_e32 v149, v152
	v_cmp_gt_i32_e64 s17, 0, v152
	v_cmp_gt_i32_e64 s18, 0, v153
	v_not_b32_e32 v152, v153
	v_not_b32_e32 v153, v154
	v_dual_ashrrev_i32 v148, 31, v148 :: v_dual_bitop2_b32 v62, vcc_lo, v62 bitop3:0x14
	v_dual_ashrrev_i32 v149, 31, v149 :: v_dual_bitop2_b32 v63, s15, v63 bitop3:0x14
	v_cmp_gt_i32_e64 s19, 0, v154
	s_delay_alu instid0(VALU_DEP_4) | instskip(SKIP_1) | instid1(VALU_DEP_4)
	v_dual_ashrrev_i32 v152, 31, v152 :: v_dual_ashrrev_i32 v153, 31, v153
	v_not_b32_e32 v154, v157
	v_xor_b32_e32 v149, s17, v149
	v_bitop3_b32 v62, v62, v63, exec_lo bitop3:0x80
	v_not_b32_e32 v63, v156
	v_xor_b32_e32 v148, s16, v148
	v_cmp_gt_i32_e64 s20, 0, v156
	v_xor_b32_e32 v152, s18, v152
	s_delay_alu instid0(VALU_DEP_4) | instskip(NEXT) | instid1(VALU_DEP_4)
	v_dual_ashrrev_i32 v63, 31, v63 :: v_dual_bitop2_b32 v153, s19, v153 bitop3:0x14
	v_bitop3_b32 v62, v62, v149, v148 bitop3:0x80
	v_cmp_gt_i32_e32 vcc_lo, 0, v157
	v_ashrrev_i32_e32 v148, 31, v154
	v_mad_u32_u24 v149, v150, 36, v25
	v_xor_b32_e32 v63, s20, v63
	v_bitop3_b32 v62, v62, v153, v152 bitop3:0x80
	s_delay_alu instid0(VALU_DEP_4) | instskip(SKIP_3) | instid1(VALU_DEP_2)
	v_xor_b32_e32 v152, vcc_lo, v148
	ds_load_b32 v148, v149 offset:1056
	; wave barrier
	v_bitop3_b32 v62, v62, v152, v63 bitop3:0x80
	v_mul_u32_u24_e32 v63, 36, v150
	v_mbcnt_lo_u32_b32 v149, v62, 0
	v_cmp_ne_u32_e64 s15, 0, v62
	s_delay_alu instid0(VALU_DEP_3) | instskip(NEXT) | instid1(VALU_DEP_3)
	v_add_nc_u32_e32 v150, v25, v63
	v_cmp_eq_u32_e32 vcc_lo, 0, v149
	s_and_b32 s16, s15, vcc_lo
	s_delay_alu instid0(SALU_CYCLE_1)
	s_and_saveexec_b32 s15, s16
	s_cbranch_execz .LBB523_146
; %bb.145:                              ;   in Loop: Header=BB523_104 Depth=2
	s_wait_dscnt 0x0
	v_bcnt_u32_b32 v62, v62, v148
	ds_store_b32 v150, v62 offset:1056
.LBB523_146:                            ;   in Loop: Header=BB523_104 Depth=2
	s_or_b32 exec_lo, exec_lo, s15
	v_xor_b32_e32 v147, 0x7fffffff, v147
	; wave barrier
	s_delay_alu instid0(VALU_DEP_1) | instskip(NEXT) | instid1(VALU_DEP_1)
	v_lshrrev_b32_e32 v62, s43, v147
	v_and_b32_e32 v154, s48, v62
	s_delay_alu instid0(VALU_DEP_1) | instskip(SKIP_1) | instid1(VALU_DEP_1)
	v_lshlrev_b32_e32 v152, 30, v154
	v_bitop3_b32 v63, v62, 1, s48 bitop3:0x80
	v_add_co_u32 v62, s15, v63, -1
	s_delay_alu instid0(VALU_DEP_1) | instskip(NEXT) | instid1(VALU_DEP_4)
	v_cndmask_b32_e64 v63, 0, 1, s15
	v_cmp_gt_i32_e64 s15, 0, v152
	s_delay_alu instid0(VALU_DEP_2) | instskip(SKIP_1) | instid1(VALU_DEP_1)
	v_cmp_ne_u32_e32 vcc_lo, 0, v63
	v_not_b32_e32 v63, v152
	v_dual_ashrrev_i32 v63, 31, v63 :: v_dual_lshlrev_b32 v153, 29, v154
	v_dual_lshlrev_b32 v156, 28, v154 :: v_dual_lshlrev_b32 v157, 27, v154
	v_dual_lshlrev_b32 v158, 26, v154 :: v_dual_lshlrev_b32 v160, 25, v154
	v_lshlrev_b32_e32 v161, 24, v154
	s_delay_alu instid0(VALU_DEP_4)
	v_cmp_gt_i32_e64 s16, 0, v153
	v_not_b32_e32 v152, v153
	v_not_b32_e32 v153, v156
	v_cmp_gt_i32_e64 s17, 0, v156
	v_cmp_gt_i32_e64 s18, 0, v157
	v_not_b32_e32 v156, v157
	v_not_b32_e32 v157, v158
	v_dual_ashrrev_i32 v152, 31, v152 :: v_dual_bitop2_b32 v62, vcc_lo, v62 bitop3:0x14
	v_dual_ashrrev_i32 v153, 31, v153 :: v_dual_bitop2_b32 v63, s15, v63 bitop3:0x14
	v_cmp_gt_i32_e64 s19, 0, v158
	s_delay_alu instid0(VALU_DEP_4) | instskip(SKIP_1) | instid1(VALU_DEP_4)
	v_dual_ashrrev_i32 v156, 31, v156 :: v_dual_ashrrev_i32 v157, 31, v157
	v_not_b32_e32 v158, v161
	v_xor_b32_e32 v153, s17, v153
	v_bitop3_b32 v62, v62, v63, exec_lo bitop3:0x80
	v_not_b32_e32 v63, v160
	v_xor_b32_e32 v152, s16, v152
	v_cmp_gt_i32_e64 s20, 0, v160
	v_xor_b32_e32 v156, s18, v156
	s_delay_alu instid0(VALU_DEP_4) | instskip(NEXT) | instid1(VALU_DEP_4)
	v_dual_ashrrev_i32 v63, 31, v63 :: v_dual_bitop2_b32 v157, s19, v157 bitop3:0x14
	v_bitop3_b32 v62, v62, v153, v152 bitop3:0x80
	v_cmp_gt_i32_e32 vcc_lo, 0, v161
	v_ashrrev_i32_e32 v152, 31, v158
	v_mad_u32_u24 v153, v154, 36, v25
	v_xor_b32_e32 v63, s20, v63
	v_bitop3_b32 v62, v62, v157, v156 bitop3:0x80
	s_delay_alu instid0(VALU_DEP_4) | instskip(SKIP_3) | instid1(VALU_DEP_2)
	v_xor_b32_e32 v156, vcc_lo, v152
	ds_load_b32 v152, v153 offset:1056
	; wave barrier
	v_bitop3_b32 v62, v62, v156, v63 bitop3:0x80
	v_mul_u32_u24_e32 v63, 36, v154
	v_mbcnt_lo_u32_b32 v153, v62, 0
	v_cmp_ne_u32_e64 s15, 0, v62
	s_delay_alu instid0(VALU_DEP_3) | instskip(NEXT) | instid1(VALU_DEP_3)
	v_add_nc_u32_e32 v154, v25, v63
	v_cmp_eq_u32_e32 vcc_lo, 0, v153
	s_and_b32 s16, s15, vcc_lo
	s_delay_alu instid0(SALU_CYCLE_1)
	s_and_saveexec_b32 s15, s16
	s_cbranch_execz .LBB523_148
; %bb.147:                              ;   in Loop: Header=BB523_104 Depth=2
	s_wait_dscnt 0x0
	v_bcnt_u32_b32 v62, v62, v152
	ds_store_b32 v154, v62 offset:1056
.LBB523_148:                            ;   in Loop: Header=BB523_104 Depth=2
	s_or_b32 exec_lo, exec_lo, s15
	v_xor_b32_e32 v151, 0x7fffffff, v151
	; wave barrier
	s_delay_alu instid0(VALU_DEP_1) | instskip(NEXT) | instid1(VALU_DEP_1)
	v_lshrrev_b32_e32 v62, s43, v151
	v_and_b32_e32 v158, s48, v62
	s_delay_alu instid0(VALU_DEP_1) | instskip(SKIP_1) | instid1(VALU_DEP_1)
	v_lshlrev_b32_e32 v156, 30, v158
	v_bitop3_b32 v63, v62, 1, s48 bitop3:0x80
	v_add_co_u32 v62, s15, v63, -1
	s_delay_alu instid0(VALU_DEP_1) | instskip(NEXT) | instid1(VALU_DEP_4)
	v_cndmask_b32_e64 v63, 0, 1, s15
	v_cmp_gt_i32_e64 s15, 0, v156
	s_delay_alu instid0(VALU_DEP_2) | instskip(SKIP_1) | instid1(VALU_DEP_1)
	v_cmp_ne_u32_e32 vcc_lo, 0, v63
	v_not_b32_e32 v63, v156
	v_dual_ashrrev_i32 v63, 31, v63 :: v_dual_lshlrev_b32 v157, 29, v158
	v_dual_lshlrev_b32 v160, 28, v158 :: v_dual_lshlrev_b32 v161, 27, v158
	v_dual_lshlrev_b32 v162, 26, v158 :: v_dual_lshlrev_b32 v164, 25, v158
	v_lshlrev_b32_e32 v165, 24, v158
	s_delay_alu instid0(VALU_DEP_4)
	v_cmp_gt_i32_e64 s16, 0, v157
	v_not_b32_e32 v156, v157
	v_not_b32_e32 v157, v160
	v_cmp_gt_i32_e64 s17, 0, v160
	v_cmp_gt_i32_e64 s18, 0, v161
	v_not_b32_e32 v160, v161
	v_not_b32_e32 v161, v162
	v_dual_ashrrev_i32 v156, 31, v156 :: v_dual_bitop2_b32 v62, vcc_lo, v62 bitop3:0x14
	v_dual_ashrrev_i32 v157, 31, v157 :: v_dual_bitop2_b32 v63, s15, v63 bitop3:0x14
	v_cmp_gt_i32_e64 s19, 0, v162
	s_delay_alu instid0(VALU_DEP_4) | instskip(SKIP_1) | instid1(VALU_DEP_4)
	v_dual_ashrrev_i32 v160, 31, v160 :: v_dual_ashrrev_i32 v161, 31, v161
	v_not_b32_e32 v162, v165
	v_xor_b32_e32 v157, s17, v157
	v_bitop3_b32 v62, v62, v63, exec_lo bitop3:0x80
	v_not_b32_e32 v63, v164
	v_xor_b32_e32 v156, s16, v156
	v_cmp_gt_i32_e64 s20, 0, v164
	v_xor_b32_e32 v160, s18, v160
	s_delay_alu instid0(VALU_DEP_4) | instskip(NEXT) | instid1(VALU_DEP_4)
	v_dual_ashrrev_i32 v63, 31, v63 :: v_dual_bitop2_b32 v161, s19, v161 bitop3:0x14
	v_bitop3_b32 v62, v62, v157, v156 bitop3:0x80
	v_cmp_gt_i32_e32 vcc_lo, 0, v165
	v_ashrrev_i32_e32 v156, 31, v162
	v_mad_u32_u24 v157, v158, 36, v25
	v_xor_b32_e32 v63, s20, v63
	v_bitop3_b32 v62, v62, v161, v160 bitop3:0x80
	s_delay_alu instid0(VALU_DEP_4) | instskip(SKIP_3) | instid1(VALU_DEP_2)
	v_xor_b32_e32 v160, vcc_lo, v156
	ds_load_b32 v156, v157 offset:1056
	; wave barrier
	v_bitop3_b32 v62, v62, v160, v63 bitop3:0x80
	v_mul_u32_u24_e32 v63, 36, v158
	v_mbcnt_lo_u32_b32 v157, v62, 0
	v_cmp_ne_u32_e64 s15, 0, v62
	s_delay_alu instid0(VALU_DEP_3) | instskip(NEXT) | instid1(VALU_DEP_3)
	v_add_nc_u32_e32 v158, v25, v63
	v_cmp_eq_u32_e32 vcc_lo, 0, v157
	s_and_b32 s16, s15, vcc_lo
	s_delay_alu instid0(SALU_CYCLE_1)
	s_and_saveexec_b32 s15, s16
	s_cbranch_execz .LBB523_150
; %bb.149:                              ;   in Loop: Header=BB523_104 Depth=2
	s_wait_dscnt 0x0
	v_bcnt_u32_b32 v62, v62, v156
	ds_store_b32 v158, v62 offset:1056
.LBB523_150:                            ;   in Loop: Header=BB523_104 Depth=2
	s_or_b32 exec_lo, exec_lo, s15
	v_xor_b32_e32 v155, 0x7fffffff, v155
	; wave barrier
	s_delay_alu instid0(VALU_DEP_1) | instskip(NEXT) | instid1(VALU_DEP_1)
	v_lshrrev_b32_e32 v62, s43, v155
	v_and_b32_e32 v162, s48, v62
	s_delay_alu instid0(VALU_DEP_1) | instskip(SKIP_1) | instid1(VALU_DEP_1)
	v_lshlrev_b32_e32 v160, 30, v162
	v_bitop3_b32 v63, v62, 1, s48 bitop3:0x80
	v_add_co_u32 v62, s15, v63, -1
	s_delay_alu instid0(VALU_DEP_1) | instskip(NEXT) | instid1(VALU_DEP_4)
	v_cndmask_b32_e64 v63, 0, 1, s15
	v_cmp_gt_i32_e64 s15, 0, v160
	s_delay_alu instid0(VALU_DEP_2) | instskip(SKIP_1) | instid1(VALU_DEP_1)
	v_cmp_ne_u32_e32 vcc_lo, 0, v63
	v_not_b32_e32 v63, v160
	v_dual_ashrrev_i32 v63, 31, v63 :: v_dual_lshlrev_b32 v161, 29, v162
	v_dual_lshlrev_b32 v164, 28, v162 :: v_dual_lshlrev_b32 v165, 27, v162
	v_dual_lshlrev_b32 v167, 26, v162 :: v_dual_lshlrev_b32 v168, 25, v162
	v_lshlrev_b32_e32 v169, 24, v162
	s_delay_alu instid0(VALU_DEP_4)
	v_cmp_gt_i32_e64 s16, 0, v161
	v_not_b32_e32 v160, v161
	v_not_b32_e32 v161, v164
	v_cmp_gt_i32_e64 s17, 0, v164
	v_cmp_gt_i32_e64 s18, 0, v165
	v_not_b32_e32 v164, v165
	v_not_b32_e32 v165, v167
	v_dual_ashrrev_i32 v160, 31, v160 :: v_dual_bitop2_b32 v62, vcc_lo, v62 bitop3:0x14
	v_dual_ashrrev_i32 v161, 31, v161 :: v_dual_bitop2_b32 v63, s15, v63 bitop3:0x14
	v_cmp_gt_i32_e64 s19, 0, v167
	s_delay_alu instid0(VALU_DEP_4) | instskip(SKIP_1) | instid1(VALU_DEP_4)
	v_dual_ashrrev_i32 v164, 31, v164 :: v_dual_ashrrev_i32 v165, 31, v165
	v_not_b32_e32 v167, v169
	v_xor_b32_e32 v161, s17, v161
	v_bitop3_b32 v62, v62, v63, exec_lo bitop3:0x80
	v_not_b32_e32 v63, v168
	v_xor_b32_e32 v160, s16, v160
	v_cmp_gt_i32_e64 s20, 0, v168
	v_xor_b32_e32 v164, s18, v164
	s_delay_alu instid0(VALU_DEP_4) | instskip(NEXT) | instid1(VALU_DEP_4)
	v_dual_ashrrev_i32 v63, 31, v63 :: v_dual_bitop2_b32 v165, s19, v165 bitop3:0x14
	v_bitop3_b32 v62, v62, v161, v160 bitop3:0x80
	v_cmp_gt_i32_e32 vcc_lo, 0, v169
	v_ashrrev_i32_e32 v160, 31, v167
	v_mad_u32_u24 v161, v162, 36, v25
	v_xor_b32_e32 v63, s20, v63
	v_bitop3_b32 v62, v62, v165, v164 bitop3:0x80
	s_delay_alu instid0(VALU_DEP_4) | instskip(SKIP_3) | instid1(VALU_DEP_2)
	v_xor_b32_e32 v164, vcc_lo, v160
	ds_load_b32 v160, v161 offset:1056
	; wave barrier
	v_bitop3_b32 v62, v62, v164, v63 bitop3:0x80
	v_mul_u32_u24_e32 v63, 36, v162
	v_mbcnt_lo_u32_b32 v161, v62, 0
	v_cmp_ne_u32_e64 s15, 0, v62
	s_delay_alu instid0(VALU_DEP_3) | instskip(NEXT) | instid1(VALU_DEP_3)
	v_add_nc_u32_e32 v162, v25, v63
	v_cmp_eq_u32_e32 vcc_lo, 0, v161
	s_and_b32 s16, s15, vcc_lo
	s_delay_alu instid0(SALU_CYCLE_1)
	s_and_saveexec_b32 s15, s16
	s_cbranch_execz .LBB523_152
; %bb.151:                              ;   in Loop: Header=BB523_104 Depth=2
	s_wait_dscnt 0x0
	v_bcnt_u32_b32 v62, v62, v160
	ds_store_b32 v162, v62 offset:1056
.LBB523_152:                            ;   in Loop: Header=BB523_104 Depth=2
	s_or_b32 exec_lo, exec_lo, s15
	v_xor_b32_e32 v159, 0x7fffffff, v159
	; wave barrier
	s_delay_alu instid0(VALU_DEP_1) | instskip(NEXT) | instid1(VALU_DEP_1)
	v_lshrrev_b32_e32 v62, s43, v159
	v_bitop3_b32 v63, v62, 1, s48 bitop3:0x80
	v_and_b32_e32 v167, s48, v62
	s_delay_alu instid0(VALU_DEP_2) | instskip(NEXT) | instid1(VALU_DEP_1)
	v_add_co_u32 v62, s15, v63, -1
	v_cndmask_b32_e64 v63, 0, 1, s15
	s_delay_alu instid0(VALU_DEP_3) | instskip(NEXT) | instid1(VALU_DEP_2)
	v_lshlrev_b32_e32 v164, 30, v167
	v_cmp_ne_u32_e32 vcc_lo, 0, v63
	s_delay_alu instid0(VALU_DEP_2) | instskip(NEXT) | instid1(VALU_DEP_1)
	v_not_b32_e32 v63, v164
	v_dual_ashrrev_i32 v63, 31, v63 :: v_dual_bitop2_b32 v62, vcc_lo, v62 bitop3:0x14
	v_dual_lshlrev_b32 v165, 29, v167 :: v_dual_lshlrev_b32 v168, 28, v167
	v_dual_lshlrev_b32 v169, 27, v167 :: v_dual_lshlrev_b32 v170, 26, v167
	v_lshlrev_b32_e32 v171, 25, v167
	v_cmp_gt_i32_e64 s15, 0, v164
	s_delay_alu instid0(VALU_DEP_4)
	v_cmp_gt_i32_e64 s16, 0, v165
	v_not_b32_e32 v164, v165
	v_not_b32_e32 v165, v168
	v_lshlrev_b32_e32 v172, 24, v167
	v_cmp_gt_i32_e64 s17, 0, v168
	v_cmp_gt_i32_e64 s18, 0, v169
	v_not_b32_e32 v168, v169
	v_not_b32_e32 v169, v170
	v_dual_ashrrev_i32 v164, 31, v164 :: v_dual_ashrrev_i32 v165, 31, v165
	v_xor_b32_e32 v63, s15, v63
	v_cmp_gt_i32_e64 s19, 0, v170
	s_delay_alu instid0(VALU_DEP_4)
	v_dual_ashrrev_i32 v168, 31, v168 :: v_dual_ashrrev_i32 v169, 31, v169
	v_not_b32_e32 v170, v172
	v_xor_b32_e32 v165, s17, v165
	v_bitop3_b32 v62, v62, v63, exec_lo bitop3:0x80
	v_not_b32_e32 v63, v171
	v_xor_b32_e32 v164, s16, v164
	v_cmp_gt_i32_e64 s20, 0, v171
	v_xor_b32_e32 v168, s18, v168
	s_delay_alu instid0(VALU_DEP_4) | instskip(NEXT) | instid1(VALU_DEP_4)
	v_dual_ashrrev_i32 v63, 31, v63 :: v_dual_bitop2_b32 v169, s19, v169 bitop3:0x14
	v_bitop3_b32 v62, v62, v165, v164 bitop3:0x80
	v_cmp_gt_i32_e32 vcc_lo, 0, v172
	v_ashrrev_i32_e32 v164, 31, v170
	v_mad_u32_u24 v165, v167, 36, v25
	v_xor_b32_e32 v63, s20, v63
	v_bitop3_b32 v62, v62, v169, v168 bitop3:0x80
	s_delay_alu instid0(VALU_DEP_4) | instskip(SKIP_3) | instid1(VALU_DEP_2)
	v_xor_b32_e32 v168, vcc_lo, v164
	ds_load_b32 v164, v165 offset:1056
	; wave barrier
	v_bitop3_b32 v62, v62, v168, v63 bitop3:0x80
	v_mul_u32_u24_e32 v63, 36, v167
	v_mbcnt_lo_u32_b32 v165, v62, 0
	v_cmp_ne_u32_e64 s15, 0, v62
	s_delay_alu instid0(VALU_DEP_3) | instskip(NEXT) | instid1(VALU_DEP_3)
	v_add_nc_u32_e32 v167, v25, v63
	v_cmp_eq_u32_e32 vcc_lo, 0, v165
	s_and_b32 s16, s15, vcc_lo
	s_delay_alu instid0(SALU_CYCLE_1)
	s_and_saveexec_b32 s15, s16
	s_cbranch_execz .LBB523_154
; %bb.153:                              ;   in Loop: Header=BB523_104 Depth=2
	s_wait_dscnt 0x0
	v_bcnt_u32_b32 v62, v62, v164
	ds_store_b32 v167, v62 offset:1056
.LBB523_154:                            ;   in Loop: Header=BB523_104 Depth=2
	s_or_b32 exec_lo, exec_lo, s15
	v_xor_b32_e32 v163, 0x7fffffff, v163
	; wave barrier
	s_delay_alu instid0(VALU_DEP_1) | instskip(NEXT) | instid1(VALU_DEP_1)
	v_lshrrev_b32_e32 v62, s43, v163
	v_and_b32_e32 v170, s48, v62
	s_delay_alu instid0(VALU_DEP_1) | instskip(SKIP_1) | instid1(VALU_DEP_1)
	v_lshlrev_b32_e32 v168, 30, v170
	v_bitop3_b32 v63, v62, 1, s48 bitop3:0x80
	v_add_co_u32 v62, s15, v63, -1
	s_delay_alu instid0(VALU_DEP_1) | instskip(NEXT) | instid1(VALU_DEP_4)
	v_cndmask_b32_e64 v63, 0, 1, s15
	v_cmp_gt_i32_e64 s15, 0, v168
	s_delay_alu instid0(VALU_DEP_2) | instskip(SKIP_1) | instid1(VALU_DEP_1)
	v_cmp_ne_u32_e32 vcc_lo, 0, v63
	v_not_b32_e32 v63, v168
	v_dual_ashrrev_i32 v63, 31, v63 :: v_dual_lshlrev_b32 v169, 29, v170
	v_dual_lshlrev_b32 v171, 28, v170 :: v_dual_lshlrev_b32 v172, 27, v170
	v_dual_lshlrev_b32 v173, 26, v170 :: v_dual_lshlrev_b32 v174, 25, v170
	v_lshlrev_b32_e32 v175, 24, v170
	s_delay_alu instid0(VALU_DEP_4)
	v_cmp_gt_i32_e64 s16, 0, v169
	v_not_b32_e32 v168, v169
	v_not_b32_e32 v169, v171
	v_cmp_gt_i32_e64 s17, 0, v171
	v_cmp_gt_i32_e64 s18, 0, v172
	v_not_b32_e32 v171, v172
	v_not_b32_e32 v172, v173
	v_dual_ashrrev_i32 v168, 31, v168 :: v_dual_bitop2_b32 v62, vcc_lo, v62 bitop3:0x14
	v_dual_ashrrev_i32 v169, 31, v169 :: v_dual_bitop2_b32 v63, s15, v63 bitop3:0x14
	v_cmp_gt_i32_e64 s19, 0, v173
	s_delay_alu instid0(VALU_DEP_4) | instskip(NEXT) | instid1(VALU_DEP_3)
	v_dual_ashrrev_i32 v171, 31, v171 :: v_dual_ashrrev_i32 v172, 31, v172
	v_xor_b32_e32 v169, s17, v169
	s_delay_alu instid0(VALU_DEP_4)
	v_bitop3_b32 v62, v62, v63, exec_lo bitop3:0x80
	v_not_b32_e32 v63, v174
	v_xor_b32_e32 v168, s16, v168
	v_not_b32_e32 v173, v175
	v_cmp_gt_i32_e64 s20, 0, v174
	v_xor_b32_e32 v171, s18, v171
	v_dual_ashrrev_i32 v63, 31, v63 :: v_dual_bitop2_b32 v172, s19, v172 bitop3:0x14
	v_bitop3_b32 v62, v62, v169, v168 bitop3:0x80
	v_cmp_gt_i32_e32 vcc_lo, 0, v175
	v_ashrrev_i32_e32 v168, 31, v173
	v_mad_u32_u24 v169, v170, 36, v25
	v_xor_b32_e32 v63, s20, v63
	v_bitop3_b32 v62, v62, v172, v171 bitop3:0x80
	s_delay_alu instid0(VALU_DEP_4) | instskip(SKIP_3) | instid1(VALU_DEP_2)
	v_xor_b32_e32 v171, vcc_lo, v168
	ds_load_b32 v168, v169 offset:1056
	; wave barrier
	v_bitop3_b32 v62, v62, v171, v63 bitop3:0x80
	v_mul_u32_u24_e32 v63, 36, v170
	v_mbcnt_lo_u32_b32 v169, v62, 0
	v_cmp_ne_u32_e64 s15, 0, v62
	s_delay_alu instid0(VALU_DEP_3) | instskip(NEXT) | instid1(VALU_DEP_3)
	v_add_nc_u32_e32 v170, v25, v63
	v_cmp_eq_u32_e32 vcc_lo, 0, v169
	s_and_b32 s16, s15, vcc_lo
	s_delay_alu instid0(SALU_CYCLE_1)
	s_and_saveexec_b32 s15, s16
	s_cbranch_execz .LBB523_156
; %bb.155:                              ;   in Loop: Header=BB523_104 Depth=2
	s_wait_dscnt 0x0
	v_bcnt_u32_b32 v62, v62, v168
	ds_store_b32 v170, v62 offset:1056
.LBB523_156:                            ;   in Loop: Header=BB523_104 Depth=2
	s_or_b32 exec_lo, exec_lo, s15
	v_xor_b32_e32 v166, 0x7fffffff, v166
	; wave barrier
	s_delay_alu instid0(VALU_DEP_1) | instskip(NEXT) | instid1(VALU_DEP_1)
	v_lshrrev_b32_e32 v62, s43, v166
	v_and_b32_e32 v171, s48, v62
	s_delay_alu instid0(VALU_DEP_1) | instskip(SKIP_1) | instid1(VALU_DEP_1)
	v_lshlrev_b32_e32 v172, 30, v171
	v_bitop3_b32 v63, v62, 1, s48 bitop3:0x80
	v_add_co_u32 v62, s15, v63, -1
	s_delay_alu instid0(VALU_DEP_1) | instskip(NEXT) | instid1(VALU_DEP_4)
	v_cndmask_b32_e64 v63, 0, 1, s15
	v_cmp_gt_i32_e64 s15, 0, v172
	s_delay_alu instid0(VALU_DEP_2) | instskip(SKIP_1) | instid1(VALU_DEP_1)
	v_cmp_ne_u32_e32 vcc_lo, 0, v63
	v_not_b32_e32 v63, v172
	v_ashrrev_i32_e32 v63, 31, v63
	v_dual_lshlrev_b32 v173, 29, v171 :: v_dual_lshlrev_b32 v174, 28, v171
	v_dual_lshlrev_b32 v175, 27, v171 :: v_dual_lshlrev_b32 v176, 26, v171
	v_dual_lshlrev_b32 v177, 25, v171 :: v_dual_lshlrev_b32 v178, 24, v171
	s_delay_alu instid0(VALU_DEP_3)
	v_cmp_gt_i32_e64 s16, 0, v173
	v_not_b32_e32 v172, v173
	v_not_b32_e32 v173, v174
	v_cmp_gt_i32_e64 s17, 0, v174
	v_cmp_gt_i32_e64 s18, 0, v175
	v_not_b32_e32 v174, v175
	v_not_b32_e32 v175, v176
	v_dual_ashrrev_i32 v172, 31, v172 :: v_dual_bitop2_b32 v62, vcc_lo, v62 bitop3:0x14
	v_dual_ashrrev_i32 v173, 31, v173 :: v_dual_bitop2_b32 v63, s15, v63 bitop3:0x14
	v_cmp_gt_i32_e64 s19, 0, v176
	s_delay_alu instid0(VALU_DEP_4) | instskip(SKIP_1) | instid1(VALU_DEP_4)
	v_dual_ashrrev_i32 v174, 31, v174 :: v_dual_ashrrev_i32 v175, 31, v175
	v_not_b32_e32 v176, v178
	v_xor_b32_e32 v173, s17, v173
	v_bitop3_b32 v62, v62, v63, exec_lo bitop3:0x80
	v_not_b32_e32 v63, v177
	v_xor_b32_e32 v172, s16, v172
	v_cmp_gt_i32_e64 s20, 0, v177
	v_xor_b32_e32 v174, s18, v174
	v_xor_b32_e32 v175, s19, v175
	v_ashrrev_i32_e32 v63, 31, v63
	v_bitop3_b32 v62, v62, v173, v172 bitop3:0x80
	v_cmp_gt_i32_e32 vcc_lo, 0, v178
	v_ashrrev_i32_e32 v172, 31, v176
	v_mad_u32_u24 v173, v171, 36, v25
	v_xor_b32_e32 v63, s20, v63
	v_bitop3_b32 v62, v62, v175, v174 bitop3:0x80
	s_delay_alu instid0(VALU_DEP_4) | instskip(SKIP_3) | instid1(VALU_DEP_2)
	v_xor_b32_e32 v174, vcc_lo, v172
	ds_load_b32 v172, v173 offset:1056
	; wave barrier
	v_bitop3_b32 v62, v62, v174, v63 bitop3:0x80
	v_mul_u32_u24_e32 v63, 36, v171
	v_mbcnt_lo_u32_b32 v173, v62, 0
	v_cmp_ne_u32_e64 s15, 0, v62
	s_delay_alu instid0(VALU_DEP_3) | instskip(NEXT) | instid1(VALU_DEP_3)
	v_add_nc_u32_e32 v174, v25, v63
	v_cmp_eq_u32_e32 vcc_lo, 0, v173
	s_and_b32 s16, s15, vcc_lo
	s_delay_alu instid0(SALU_CYCLE_1)
	s_and_saveexec_b32 s15, s16
	s_cbranch_execz .LBB523_158
; %bb.157:                              ;   in Loop: Header=BB523_104 Depth=2
	s_wait_dscnt 0x0
	v_bcnt_u32_b32 v62, v62, v172
	ds_store_b32 v174, v62 offset:1056
.LBB523_158:                            ;   in Loop: Header=BB523_104 Depth=2
	s_or_b32 exec_lo, exec_lo, s15
	v_xor_b32_e32 v171, 0x7fffffff, v69
	; wave barrier
	s_delay_alu instid0(VALU_DEP_1) | instskip(NEXT) | instid1(VALU_DEP_1)
	v_lshrrev_b32_e32 v62, s43, v171
	v_and_b32_e32 v69, s48, v62
	s_delay_alu instid0(VALU_DEP_1) | instskip(SKIP_1) | instid1(VALU_DEP_1)
	v_lshlrev_b32_e32 v175, 30, v69
	v_bitop3_b32 v63, v62, 1, s48 bitop3:0x80
	v_add_co_u32 v62, s15, v63, -1
	s_delay_alu instid0(VALU_DEP_1) | instskip(NEXT) | instid1(VALU_DEP_4)
	v_cndmask_b32_e64 v63, 0, 1, s15
	v_cmp_gt_i32_e64 s15, 0, v175
	s_delay_alu instid0(VALU_DEP_2) | instskip(SKIP_1) | instid1(VALU_DEP_1)
	v_cmp_ne_u32_e32 vcc_lo, 0, v63
	v_not_b32_e32 v63, v175
	v_dual_ashrrev_i32 v63, 31, v63 :: v_dual_lshlrev_b32 v176, 29, v69
	v_dual_lshlrev_b32 v177, 28, v69 :: v_dual_lshlrev_b32 v178, 27, v69
	v_dual_lshlrev_b32 v179, 26, v69 :: v_dual_lshlrev_b32 v180, 25, v69
	v_lshlrev_b32_e32 v181, 24, v69
	s_delay_alu instid0(VALU_DEP_4)
	v_cmp_gt_i32_e64 s16, 0, v176
	v_not_b32_e32 v175, v176
	v_not_b32_e32 v176, v177
	v_cmp_gt_i32_e64 s17, 0, v177
	v_cmp_gt_i32_e64 s18, 0, v178
	v_not_b32_e32 v177, v178
	v_not_b32_e32 v178, v179
	v_dual_ashrrev_i32 v175, 31, v175 :: v_dual_bitop2_b32 v62, vcc_lo, v62 bitop3:0x14
	v_dual_ashrrev_i32 v176, 31, v176 :: v_dual_bitop2_b32 v63, s15, v63 bitop3:0x14
	v_cmp_gt_i32_e64 s19, 0, v179
	s_delay_alu instid0(VALU_DEP_4) | instskip(NEXT) | instid1(VALU_DEP_4)
	v_dual_ashrrev_i32 v177, 31, v177 :: v_dual_ashrrev_i32 v178, 31, v178
	v_xor_b32_e32 v175, s16, v175
	s_delay_alu instid0(VALU_DEP_4)
	v_bitop3_b32 v62, v62, v63, exec_lo bitop3:0x80
	v_not_b32_e32 v63, v180
	v_xor_b32_e32 v176, s17, v176
	v_not_b32_e32 v179, v181
	v_cmp_gt_i32_e64 s20, 0, v180
	v_xor_b32_e32 v177, s18, v177
	v_dual_ashrrev_i32 v63, 31, v63 :: v_dual_bitop2_b32 v178, s19, v178 bitop3:0x14
	v_bitop3_b32 v62, v62, v176, v175 bitop3:0x80
	v_cmp_gt_i32_e32 vcc_lo, 0, v181
	v_ashrrev_i32_e32 v175, 31, v179
	v_mad_u32_u24 v176, v69, 36, v25
	v_xor_b32_e32 v63, s20, v63
	v_bitop3_b32 v62, v62, v178, v177 bitop3:0x80
	s_delay_alu instid0(VALU_DEP_4) | instskip(SKIP_3) | instid1(VALU_DEP_2)
	v_xor_b32_e32 v175, vcc_lo, v175
	ds_load_b32 v176, v176 offset:1056
	; wave barrier
	v_bitop3_b32 v62, v62, v175, v63 bitop3:0x80
	v_mul_u32_u24_e32 v63, 36, v69
	v_mbcnt_lo_u32_b32 v177, v62, 0
	v_cmp_ne_u32_e64 s15, 0, v62
	s_delay_alu instid0(VALU_DEP_3) | instskip(NEXT) | instid1(VALU_DEP_3)
	v_add_nc_u32_e32 v178, v25, v63
	v_cmp_eq_u32_e32 vcc_lo, 0, v177
	s_and_b32 s16, s15, vcc_lo
	s_delay_alu instid0(SALU_CYCLE_1)
	s_and_saveexec_b32 s15, s16
	s_cbranch_execz .LBB523_160
; %bb.159:                              ;   in Loop: Header=BB523_104 Depth=2
	s_wait_dscnt 0x0
	v_bcnt_u32_b32 v62, v62, v176
	ds_store_b32 v178, v62 offset:1056
.LBB523_160:                            ;   in Loop: Header=BB523_104 Depth=2
	s_or_b32 exec_lo, exec_lo, s15
	v_xor_b32_e32 v175, 0x7fffffff, v68
	; wave barrier
	s_delay_alu instid0(VALU_DEP_1) | instskip(NEXT) | instid1(VALU_DEP_1)
	v_lshrrev_b32_e32 v62, s43, v175
	v_and_b32_e32 v68, s48, v62
	s_delay_alu instid0(VALU_DEP_1) | instskip(SKIP_1) | instid1(VALU_DEP_1)
	v_lshlrev_b32_e32 v69, 30, v68
	v_bitop3_b32 v63, v62, 1, s48 bitop3:0x80
	v_add_co_u32 v62, s15, v63, -1
	s_delay_alu instid0(VALU_DEP_1) | instskip(NEXT) | instid1(VALU_DEP_4)
	v_cndmask_b32_e64 v63, 0, 1, s15
	v_cmp_gt_i32_e64 s15, 0, v69
	s_delay_alu instid0(VALU_DEP_2) | instskip(SKIP_1) | instid1(VALU_DEP_1)
	v_cmp_ne_u32_e32 vcc_lo, 0, v63
	v_not_b32_e32 v63, v69
	v_dual_ashrrev_i32 v63, 31, v63 :: v_dual_lshlrev_b32 v179, 29, v68
	v_dual_lshlrev_b32 v180, 28, v68 :: v_dual_lshlrev_b32 v181, 27, v68
	v_dual_lshlrev_b32 v182, 26, v68 :: v_dual_lshlrev_b32 v183, 25, v68
	v_lshlrev_b32_e32 v184, 24, v68
	s_delay_alu instid0(VALU_DEP_4)
	v_cmp_gt_i32_e64 s16, 0, v179
	v_not_b32_e32 v69, v179
	v_not_b32_e32 v179, v180
	v_cmp_gt_i32_e64 s17, 0, v180
	v_cmp_gt_i32_e64 s18, 0, v181
	v_not_b32_e32 v180, v181
	v_not_b32_e32 v181, v182
	v_dual_ashrrev_i32 v69, 31, v69 :: v_dual_bitop2_b32 v62, vcc_lo, v62 bitop3:0x14
	s_delay_alu instid0(VALU_DEP_3) | instskip(NEXT) | instid1(VALU_DEP_3)
	v_dual_ashrrev_i32 v179, 31, v179 :: v_dual_ashrrev_i32 v180, 31, v180
	v_dual_ashrrev_i32 v181, 31, v181 :: v_dual_bitop2_b32 v63, s15, v63 bitop3:0x14
	v_cmp_gt_i32_e64 s19, 0, v182
	v_not_b32_e32 v182, v184
	s_delay_alu instid0(VALU_DEP_4) | instskip(NEXT) | instid1(VALU_DEP_4)
	v_xor_b32_e32 v179, s17, v179
	v_bitop3_b32 v62, v62, v63, exec_lo bitop3:0x80
	v_not_b32_e32 v63, v183
	v_xor_b32_e32 v69, s16, v69
	v_cmp_gt_i32_e64 s20, 0, v183
	v_xor_b32_e32 v180, s18, v180
	s_delay_alu instid0(VALU_DEP_4) | instskip(NEXT) | instid1(VALU_DEP_4)
	v_dual_ashrrev_i32 v63, 31, v63 :: v_dual_bitop2_b32 v181, s19, v181 bitop3:0x14
	v_bitop3_b32 v62, v62, v179, v69 bitop3:0x80
	v_cmp_gt_i32_e32 vcc_lo, 0, v184
	v_ashrrev_i32_e32 v69, 31, v182
	v_mad_u32_u24 v179, v68, 36, v25
	v_xor_b32_e32 v63, s20, v63
	v_bitop3_b32 v62, v62, v181, v180 bitop3:0x80
	s_delay_alu instid0(VALU_DEP_4) | instskip(SKIP_3) | instid1(VALU_DEP_2)
	v_xor_b32_e32 v69, vcc_lo, v69
	ds_load_b32 v180, v179 offset:1056
	; wave barrier
	v_bitop3_b32 v62, v62, v69, v63 bitop3:0x80
	v_mul_u32_u24_e32 v63, 36, v68
	v_mbcnt_lo_u32_b32 v181, v62, 0
	v_cmp_ne_u32_e64 s15, 0, v62
	s_delay_alu instid0(VALU_DEP_3) | instskip(NEXT) | instid1(VALU_DEP_3)
	v_add_nc_u32_e32 v182, v25, v63
	v_cmp_eq_u32_e32 vcc_lo, 0, v181
	s_and_b32 s16, s15, vcc_lo
	s_delay_alu instid0(SALU_CYCLE_1)
	s_and_saveexec_b32 s15, s16
	s_cbranch_execz .LBB523_162
; %bb.161:                              ;   in Loop: Header=BB523_104 Depth=2
	s_wait_dscnt 0x0
	v_bcnt_u32_b32 v62, v62, v180
	ds_store_b32 v182, v62 offset:1056
.LBB523_162:                            ;   in Loop: Header=BB523_104 Depth=2
	s_or_b32 exec_lo, exec_lo, s15
	v_xor_b32_e32 v179, 0x7fffffff, v67
	; wave barrier
	s_delay_alu instid0(VALU_DEP_1) | instskip(NEXT) | instid1(VALU_DEP_1)
	v_lshrrev_b32_e32 v62, s43, v179
	v_bitop3_b32 v63, v62, 1, s48 bitop3:0x80
	v_and_b32_e32 v67, s48, v62
	s_delay_alu instid0(VALU_DEP_2) | instskip(NEXT) | instid1(VALU_DEP_1)
	v_add_co_u32 v62, s15, v63, -1
	v_cndmask_b32_e64 v63, 0, 1, s15
	s_delay_alu instid0(VALU_DEP_3) | instskip(NEXT) | instid1(VALU_DEP_2)
	v_lshlrev_b32_e32 v68, 30, v67
	v_cmp_ne_u32_e32 vcc_lo, 0, v63
	s_delay_alu instid0(VALU_DEP_2) | instskip(NEXT) | instid1(VALU_DEP_1)
	v_not_b32_e32 v63, v68
	v_dual_ashrrev_i32 v63, 31, v63 :: v_dual_bitop2_b32 v62, vcc_lo, v62 bitop3:0x14
	v_dual_lshlrev_b32 v69, 29, v67 :: v_dual_lshlrev_b32 v183, 28, v67
	v_dual_lshlrev_b32 v184, 27, v67 :: v_dual_lshlrev_b32 v185, 26, v67
	v_lshlrev_b32_e32 v186, 25, v67
	v_cmp_gt_i32_e64 s15, 0, v68
	s_delay_alu instid0(VALU_DEP_4)
	v_cmp_gt_i32_e64 s16, 0, v69
	v_not_b32_e32 v68, v69
	v_not_b32_e32 v69, v183
	v_lshlrev_b32_e32 v187, 24, v67
	v_cmp_gt_i32_e64 s17, 0, v183
	v_cmp_gt_i32_e64 s18, 0, v184
	v_not_b32_e32 v183, v184
	v_not_b32_e32 v184, v185
	v_dual_ashrrev_i32 v68, 31, v68 :: v_dual_ashrrev_i32 v69, 31, v69
	v_xor_b32_e32 v63, s15, v63
	v_cmp_gt_i32_e64 s19, 0, v185
	s_delay_alu instid0(VALU_DEP_4) | instskip(NEXT) | instid1(VALU_DEP_4)
	v_dual_ashrrev_i32 v183, 31, v183 :: v_dual_ashrrev_i32 v184, 31, v184
	v_xor_b32_e32 v69, s17, v69
	s_delay_alu instid0(VALU_DEP_4)
	v_bitop3_b32 v62, v62, v63, exec_lo bitop3:0x80
	v_not_b32_e32 v63, v186
	v_xor_b32_e32 v68, s16, v68
	v_not_b32_e32 v185, v187
	v_cmp_gt_i32_e64 s20, 0, v186
	v_xor_b32_e32 v183, s18, v183
	v_dual_ashrrev_i32 v63, 31, v63 :: v_dual_bitop2_b32 v184, s19, v184 bitop3:0x14
	v_bitop3_b32 v62, v62, v69, v68 bitop3:0x80
	v_cmp_gt_i32_e32 vcc_lo, 0, v187
	v_ashrrev_i32_e32 v68, 31, v185
	v_mad_u32_u24 v69, v67, 36, v25
	v_xor_b32_e32 v63, s20, v63
	v_bitop3_b32 v62, v62, v184, v183 bitop3:0x80
	s_delay_alu instid0(VALU_DEP_4) | instskip(SKIP_3) | instid1(VALU_DEP_2)
	v_xor_b32_e32 v68, vcc_lo, v68
	ds_load_b32 v184, v69 offset:1056
	; wave barrier
	v_bitop3_b32 v62, v62, v68, v63 bitop3:0x80
	v_mul_u32_u24_e32 v63, 36, v67
	v_mbcnt_lo_u32_b32 v185, v62, 0
	v_cmp_ne_u32_e64 s15, 0, v62
	s_delay_alu instid0(VALU_DEP_3) | instskip(NEXT) | instid1(VALU_DEP_3)
	v_add_nc_u32_e32 v186, v25, v63
	v_cmp_eq_u32_e32 vcc_lo, 0, v185
	s_and_b32 s16, s15, vcc_lo
	s_delay_alu instid0(SALU_CYCLE_1)
	s_and_saveexec_b32 s15, s16
	s_cbranch_execz .LBB523_164
; %bb.163:                              ;   in Loop: Header=BB523_104 Depth=2
	s_wait_dscnt 0x0
	v_bcnt_u32_b32 v62, v62, v184
	ds_store_b32 v186, v62 offset:1056
.LBB523_164:                            ;   in Loop: Header=BB523_104 Depth=2
	s_or_b32 exec_lo, exec_lo, s15
	v_xor_b32_e32 v183, 0x7fffffff, v66
	; wave barrier
	s_delay_alu instid0(VALU_DEP_1) | instskip(NEXT) | instid1(VALU_DEP_1)
	v_lshrrev_b32_e32 v62, s43, v183
	v_and_b32_e32 v66, s48, v62
	s_delay_alu instid0(VALU_DEP_1) | instskip(SKIP_1) | instid1(VALU_DEP_1)
	v_lshlrev_b32_e32 v67, 30, v66
	v_bitop3_b32 v63, v62, 1, s48 bitop3:0x80
	v_add_co_u32 v62, s15, v63, -1
	s_delay_alu instid0(VALU_DEP_1) | instskip(NEXT) | instid1(VALU_DEP_4)
	v_cndmask_b32_e64 v63, 0, 1, s15
	v_cmp_gt_i32_e64 s15, 0, v67
	s_delay_alu instid0(VALU_DEP_2) | instskip(SKIP_1) | instid1(VALU_DEP_1)
	v_cmp_ne_u32_e32 vcc_lo, 0, v63
	v_not_b32_e32 v63, v67
	v_dual_ashrrev_i32 v63, 31, v63 :: v_dual_lshlrev_b32 v68, 29, v66
	v_dual_lshlrev_b32 v69, 28, v66 :: v_dual_lshlrev_b32 v187, 27, v66
	v_dual_lshlrev_b32 v188, 26, v66 :: v_dual_lshlrev_b32 v189, 25, v66
	v_lshlrev_b32_e32 v190, 24, v66
	s_delay_alu instid0(VALU_DEP_4)
	v_cmp_gt_i32_e64 s16, 0, v68
	v_not_b32_e32 v67, v68
	v_not_b32_e32 v68, v69
	v_cmp_gt_i32_e64 s17, 0, v69
	v_cmp_gt_i32_e64 s18, 0, v187
	v_not_b32_e32 v69, v187
	v_not_b32_e32 v187, v188
	v_dual_ashrrev_i32 v67, 31, v67 :: v_dual_bitop2_b32 v62, vcc_lo, v62 bitop3:0x14
	v_dual_ashrrev_i32 v68, 31, v68 :: v_dual_bitop2_b32 v63, s15, v63 bitop3:0x14
	v_cmp_gt_i32_e64 s19, 0, v188
	s_delay_alu instid0(VALU_DEP_4) | instskip(NEXT) | instid1(VALU_DEP_4)
	v_dual_ashrrev_i32 v69, 31, v69 :: v_dual_ashrrev_i32 v187, 31, v187
	v_xor_b32_e32 v67, s16, v67
	s_delay_alu instid0(VALU_DEP_4)
	v_bitop3_b32 v62, v62, v63, exec_lo bitop3:0x80
	v_not_b32_e32 v63, v189
	v_xor_b32_e32 v68, s17, v68
	v_not_b32_e32 v188, v190
	v_cmp_gt_i32_e64 s20, 0, v189
	v_xor_b32_e32 v69, s18, v69
	v_xor_b32_e32 v187, s19, v187
	v_ashrrev_i32_e32 v63, 31, v63
	v_bitop3_b32 v62, v62, v68, v67 bitop3:0x80
	v_cmp_gt_i32_e32 vcc_lo, 0, v190
	v_ashrrev_i32_e32 v67, 31, v188
	v_mad_u32_u24 v68, v66, 36, v25
	v_xor_b32_e32 v63, s20, v63
	v_bitop3_b32 v62, v62, v187, v69 bitop3:0x80
	s_delay_alu instid0(VALU_DEP_4) | instskip(SKIP_3) | instid1(VALU_DEP_2)
	v_xor_b32_e32 v67, vcc_lo, v67
	ds_load_b32 v188, v68 offset:1056
	; wave barrier
	v_bitop3_b32 v62, v62, v67, v63 bitop3:0x80
	v_mul_u32_u24_e32 v63, 36, v66
	v_mbcnt_lo_u32_b32 v189, v62, 0
	v_cmp_ne_u32_e64 s15, 0, v62
	s_delay_alu instid0(VALU_DEP_3) | instskip(NEXT) | instid1(VALU_DEP_3)
	v_add_nc_u32_e32 v190, v25, v63
	v_cmp_eq_u32_e32 vcc_lo, 0, v189
	s_and_b32 s16, s15, vcc_lo
	s_delay_alu instid0(SALU_CYCLE_1)
	s_and_saveexec_b32 s15, s16
	s_cbranch_execz .LBB523_166
; %bb.165:                              ;   in Loop: Header=BB523_104 Depth=2
	s_wait_dscnt 0x0
	v_bcnt_u32_b32 v62, v62, v188
	ds_store_b32 v190, v62 offset:1056
.LBB523_166:                            ;   in Loop: Header=BB523_104 Depth=2
	s_or_b32 exec_lo, exec_lo, s15
	v_xor_b32_e32 v187, 0x7fffffff, v65
	; wave barrier
	s_delay_alu instid0(VALU_DEP_1) | instskip(NEXT) | instid1(VALU_DEP_1)
	v_lshrrev_b32_e32 v62, s43, v187
	v_and_b32_e32 v65, s48, v62
	s_delay_alu instid0(VALU_DEP_1) | instskip(SKIP_1) | instid1(VALU_DEP_1)
	v_lshlrev_b32_e32 v66, 30, v65
	v_bitop3_b32 v63, v62, 1, s48 bitop3:0x80
	v_add_co_u32 v62, s15, v63, -1
	s_delay_alu instid0(VALU_DEP_1) | instskip(NEXT) | instid1(VALU_DEP_4)
	v_cndmask_b32_e64 v63, 0, 1, s15
	v_cmp_gt_i32_e64 s15, 0, v66
	s_delay_alu instid0(VALU_DEP_2) | instskip(SKIP_1) | instid1(VALU_DEP_1)
	v_cmp_ne_u32_e32 vcc_lo, 0, v63
	v_not_b32_e32 v63, v66
	v_dual_ashrrev_i32 v63, 31, v63 :: v_dual_lshlrev_b32 v67, 29, v65
	v_dual_lshlrev_b32 v68, 28, v65 :: v_dual_lshlrev_b32 v69, 27, v65
	v_dual_lshlrev_b32 v191, 26, v65 :: v_dual_lshlrev_b32 v192, 25, v65
	v_lshlrev_b32_e32 v193, 24, v65
	s_delay_alu instid0(VALU_DEP_4)
	v_cmp_gt_i32_e64 s16, 0, v67
	v_not_b32_e32 v66, v67
	v_not_b32_e32 v67, v68
	v_cmp_gt_i32_e64 s17, 0, v68
	v_cmp_gt_i32_e64 s18, 0, v69
	v_not_b32_e32 v68, v69
	v_not_b32_e32 v69, v191
	v_dual_ashrrev_i32 v67, 31, v67 :: v_dual_bitop2_b32 v62, vcc_lo, v62 bitop3:0x14
	v_dual_ashrrev_i32 v66, 31, v66 :: v_dual_bitop2_b32 v63, s15, v63 bitop3:0x14
	v_cmp_gt_i32_e64 s19, 0, v191
	s_delay_alu instid0(VALU_DEP_4) | instskip(NEXT) | instid1(VALU_DEP_4)
	v_dual_ashrrev_i32 v68, 31, v68 :: v_dual_ashrrev_i32 v69, 31, v69
	v_xor_b32_e32 v67, s17, v67
	s_delay_alu instid0(VALU_DEP_4)
	v_bitop3_b32 v62, v62, v63, exec_lo bitop3:0x80
	v_not_b32_e32 v63, v192
	v_xor_b32_e32 v66, s16, v66
	v_not_b32_e32 v191, v193
	v_cmp_gt_i32_e64 s20, 0, v192
	v_xor_b32_e32 v68, s18, v68
	v_dual_ashrrev_i32 v63, 31, v63 :: v_dual_bitop2_b32 v69, s19, v69 bitop3:0x14
	v_bitop3_b32 v62, v62, v67, v66 bitop3:0x80
	v_cmp_gt_i32_e32 vcc_lo, 0, v193
	v_ashrrev_i32_e32 v66, 31, v191
	v_mad_u32_u24 v67, v65, 36, v25
	v_xor_b32_e32 v63, s20, v63
	v_bitop3_b32 v62, v62, v69, v68 bitop3:0x80
	s_delay_alu instid0(VALU_DEP_4) | instskip(SKIP_3) | instid1(VALU_DEP_2)
	v_xor_b32_e32 v66, vcc_lo, v66
	ds_load_b32 v192, v67 offset:1056
	; wave barrier
	v_bitop3_b32 v62, v62, v66, v63 bitop3:0x80
	v_mul_u32_u24_e32 v63, 36, v65
	v_mbcnt_lo_u32_b32 v193, v62, 0
	v_cmp_ne_u32_e64 s15, 0, v62
	s_delay_alu instid0(VALU_DEP_3) | instskip(NEXT) | instid1(VALU_DEP_3)
	v_add_nc_u32_e32 v194, v25, v63
	v_cmp_eq_u32_e32 vcc_lo, 0, v193
	s_and_b32 s16, s15, vcc_lo
	s_delay_alu instid0(SALU_CYCLE_1)
	s_and_saveexec_b32 s15, s16
	s_cbranch_execz .LBB523_168
; %bb.167:                              ;   in Loop: Header=BB523_104 Depth=2
	s_wait_dscnt 0x0
	v_bcnt_u32_b32 v62, v62, v192
	ds_store_b32 v194, v62 offset:1056
.LBB523_168:                            ;   in Loop: Header=BB523_104 Depth=2
	s_or_b32 exec_lo, exec_lo, s15
	v_xor_b32_e32 v191, 0x7fffffff, v64
	; wave barrier
	s_delay_alu instid0(VALU_DEP_1) | instskip(NEXT) | instid1(VALU_DEP_1)
	v_lshrrev_b32_e32 v62, s43, v191
	v_and_b32_e32 v64, s48, v62
	s_delay_alu instid0(VALU_DEP_1) | instskip(SKIP_1) | instid1(VALU_DEP_1)
	v_lshlrev_b32_e32 v65, 30, v64
	v_bitop3_b32 v63, v62, 1, s48 bitop3:0x80
	v_add_co_u32 v62, s15, v63, -1
	s_delay_alu instid0(VALU_DEP_1) | instskip(NEXT) | instid1(VALU_DEP_4)
	v_cndmask_b32_e64 v63, 0, 1, s15
	v_cmp_gt_i32_e64 s15, 0, v65
	s_delay_alu instid0(VALU_DEP_2) | instskip(SKIP_1) | instid1(VALU_DEP_1)
	v_cmp_ne_u32_e32 vcc_lo, 0, v63
	v_not_b32_e32 v63, v65
	v_dual_ashrrev_i32 v63, 31, v63 :: v_dual_lshlrev_b32 v66, 29, v64
	v_dual_lshlrev_b32 v67, 28, v64 :: v_dual_lshlrev_b32 v68, 27, v64
	v_dual_lshlrev_b32 v69, 26, v64 :: v_dual_lshlrev_b32 v195, 25, v64
	v_lshlrev_b32_e32 v196, 24, v64
	s_delay_alu instid0(VALU_DEP_4)
	v_cmp_gt_i32_e64 s16, 0, v66
	v_not_b32_e32 v65, v66
	v_not_b32_e32 v66, v67
	v_cmp_gt_i32_e64 s17, 0, v67
	v_cmp_gt_i32_e64 s18, 0, v68
	v_not_b32_e32 v67, v68
	v_not_b32_e32 v68, v69
	v_dual_ashrrev_i32 v65, 31, v65 :: v_dual_bitop2_b32 v62, vcc_lo, v62 bitop3:0x14
	v_dual_ashrrev_i32 v66, 31, v66 :: v_dual_bitop2_b32 v63, s15, v63 bitop3:0x14
	v_cmp_gt_i32_e64 s19, 0, v69
	s_delay_alu instid0(VALU_DEP_4) | instskip(SKIP_1) | instid1(VALU_DEP_4)
	v_dual_ashrrev_i32 v67, 31, v67 :: v_dual_ashrrev_i32 v68, 31, v68
	v_not_b32_e32 v69, v196
	v_xor_b32_e32 v66, s17, v66
	v_bitop3_b32 v62, v62, v63, exec_lo bitop3:0x80
	v_not_b32_e32 v63, v195
	v_xor_b32_e32 v65, s16, v65
	v_cmp_gt_i32_e64 s20, 0, v195
	v_xor_b32_e32 v67, s18, v67
	s_delay_alu instid0(VALU_DEP_4) | instskip(NEXT) | instid1(VALU_DEP_4)
	v_dual_ashrrev_i32 v63, 31, v63 :: v_dual_bitop2_b32 v68, s19, v68 bitop3:0x14
	v_bitop3_b32 v62, v62, v66, v65 bitop3:0x80
	v_cmp_gt_i32_e32 vcc_lo, 0, v196
	v_ashrrev_i32_e32 v65, 31, v69
	v_mad_u32_u24 v66, v64, 36, v25
	v_xor_b32_e32 v63, s20, v63
	v_bitop3_b32 v62, v62, v68, v67 bitop3:0x80
	s_delay_alu instid0(VALU_DEP_4) | instskip(SKIP_3) | instid1(VALU_DEP_2)
	v_xor_b32_e32 v65, vcc_lo, v65
	ds_load_b32 v195, v66 offset:1056
	; wave barrier
	v_bitop3_b32 v62, v62, v65, v63 bitop3:0x80
	v_mul_u32_u24_e32 v63, 36, v64
	v_mbcnt_lo_u32_b32 v196, v62, 0
	v_cmp_ne_u32_e64 s15, 0, v62
	s_delay_alu instid0(VALU_DEP_3) | instskip(NEXT) | instid1(VALU_DEP_3)
	v_add_nc_u32_e32 v197, v25, v63
	v_cmp_eq_u32_e32 vcc_lo, 0, v196
	s_and_b32 s16, s15, vcc_lo
	s_delay_alu instid0(SALU_CYCLE_1)
	s_and_saveexec_b32 s15, s16
	s_cbranch_execz .LBB523_170
; %bb.169:                              ;   in Loop: Header=BB523_104 Depth=2
	s_wait_dscnt 0x0
	v_bcnt_u32_b32 v62, v62, v195
	ds_store_b32 v197, v62 offset:1056
.LBB523_170:                            ;   in Loop: Header=BB523_104 Depth=2
	s_or_b32 exec_lo, exec_lo, s15
	v_lshrrev_b32_e32 v62, s43, v138
	; wave barrier
	s_delay_alu instid0(VALU_DEP_1) | instskip(NEXT) | instid1(VALU_DEP_1)
	v_and_b32_e32 v64, s48, v62
	v_lshlrev_b32_e32 v65, 30, v64
	v_bitop3_b32 v63, v62, 1, s48 bitop3:0x80
	s_delay_alu instid0(VALU_DEP_1) | instskip(NEXT) | instid1(VALU_DEP_1)
	v_add_co_u32 v62, s15, v63, -1
	v_cndmask_b32_e64 v63, 0, 1, s15
	s_delay_alu instid0(VALU_DEP_4) | instskip(NEXT) | instid1(VALU_DEP_2)
	v_cmp_gt_i32_e64 s15, 0, v65
	v_cmp_ne_u32_e32 vcc_lo, 0, v63
	v_not_b32_e32 v63, v65
	s_delay_alu instid0(VALU_DEP_1) | instskip(SKIP_3) | instid1(VALU_DEP_4)
	v_dual_ashrrev_i32 v63, 31, v63 :: v_dual_lshlrev_b32 v66, 29, v64
	v_dual_lshlrev_b32 v67, 28, v64 :: v_dual_lshlrev_b32 v68, 27, v64
	v_dual_lshlrev_b32 v69, 26, v64 :: v_dual_lshlrev_b32 v198, 25, v64
	v_lshlrev_b32_e32 v199, 24, v64
	v_cmp_gt_i32_e64 s16, 0, v66
	v_not_b32_e32 v65, v66
	v_not_b32_e32 v66, v67
	v_cmp_gt_i32_e64 s17, 0, v67
	v_xor_b32_e32 v62, vcc_lo, v62
	s_delay_alu instid0(VALU_DEP_4) | instskip(NEXT) | instid1(VALU_DEP_4)
	v_dual_ashrrev_i32 v65, 31, v65 :: v_dual_bitop2_b32 v63, s15, v63 bitop3:0x14
	v_ashrrev_i32_e32 v66, 31, v66
	v_cmp_gt_i32_e64 s18, 0, v68
	v_not_b32_e32 v67, v68
	v_not_b32_e32 v68, v69
	v_xor_b32_e32 v65, s16, v65
	v_xor_b32_e32 v66, s17, v66
	v_bitop3_b32 v62, v62, v63, exec_lo bitop3:0x80
	v_ashrrev_i32_e32 v63, 31, v67
	v_cmp_gt_i32_e32 vcc_lo, 0, v69
	v_ashrrev_i32_e32 v67, 31, v68
	v_not_b32_e32 v68, v198
	v_bitop3_b32 v62, v62, v66, v65 bitop3:0x80
	v_not_b32_e32 v65, v199
	v_xor_b32_e32 v63, s18, v63
	v_xor_b32_e32 v66, vcc_lo, v67
	v_cmp_gt_i32_e32 vcc_lo, 0, v198
	v_ashrrev_i32_e32 v67, 31, v68
	v_cmp_gt_i32_e64 s15, 0, v199
	v_ashrrev_i32_e32 v65, 31, v65
	v_mad_u32_u24 v68, v64, 36, v25
	v_bitop3_b32 v62, v62, v66, v63 bitop3:0x80
	v_xor_b32_e32 v63, vcc_lo, v67
	s_delay_alu instid0(VALU_DEP_4) | instskip(SKIP_3) | instid1(VALU_DEP_2)
	v_xor_b32_e32 v65, s15, v65
	ds_load_b32 v198, v68 offset:1056
	; wave barrier
	v_bitop3_b32 v62, v62, v65, v63 bitop3:0x80
	v_mul_u32_u24_e32 v63, 36, v64
	v_mbcnt_lo_u32_b32 v199, v62, 0
	v_cmp_ne_u32_e64 s15, 0, v62
	s_delay_alu instid0(VALU_DEP_3) | instskip(NEXT) | instid1(VALU_DEP_3)
	v_add_nc_u32_e32 v200, v25, v63
	v_cmp_eq_u32_e32 vcc_lo, 0, v199
	s_and_b32 s16, s15, vcc_lo
	s_delay_alu instid0(SALU_CYCLE_1)
	s_and_saveexec_b32 s15, s16
	s_cbranch_execz .LBB523_172
; %bb.171:                              ;   in Loop: Header=BB523_104 Depth=2
	s_wait_dscnt 0x0
	v_bcnt_u32_b32 v62, v62, v198
	ds_store_b32 v200, v62 offset:1056
.LBB523_172:                            ;   in Loop: Header=BB523_104 Depth=2
	s_or_b32 exec_lo, exec_lo, s15
	; wave barrier
	s_wait_dscnt 0x0
	s_barrier_signal -1
	s_barrier_wait -1
	ds_load_2addr_b32 v[68:69], v117 offset1:1
	ds_load_2addr_b32 v[66:67], v118 offset1:1
	ds_load_2addr_b32 v[64:65], v119 offset1:1
	ds_load_2addr_b32 v[62:63], v5 offset1:1
	ds_load_b32 v201, v91 offset:1088
	s_wait_dscnt 0x3
	v_add3_u32 v202, v69, v68, v66
	s_wait_dscnt 0x2
	s_delay_alu instid0(VALU_DEP_1) | instskip(SKIP_1) | instid1(VALU_DEP_1)
	v_add3_u32 v202, v202, v67, v64
	s_wait_dscnt 0x1
	v_add3_u32 v202, v202, v65, v62
	s_wait_dscnt 0x0
	s_delay_alu instid0(VALU_DEP_1) | instskip(NEXT) | instid1(VALU_DEP_1)
	v_add3_u32 v201, v202, v63, v201
	v_mov_b32_dpp v202, v201 row_shr:1 row_mask:0xf bank_mask:0xf
	s_delay_alu instid0(VALU_DEP_1) | instskip(NEXT) | instid1(VALU_DEP_1)
	v_cndmask_b32_e64 v202, v202, 0, s7
	v_add_nc_u32_e32 v201, v202, v201
	s_delay_alu instid0(VALU_DEP_1) | instskip(NEXT) | instid1(VALU_DEP_1)
	v_mov_b32_dpp v202, v201 row_shr:2 row_mask:0xf bank_mask:0xf
	v_cndmask_b32_e64 v202, 0, v202, s8
	s_delay_alu instid0(VALU_DEP_1) | instskip(NEXT) | instid1(VALU_DEP_1)
	v_add_nc_u32_e32 v201, v201, v202
	v_mov_b32_dpp v202, v201 row_shr:4 row_mask:0xf bank_mask:0xf
	s_delay_alu instid0(VALU_DEP_1) | instskip(NEXT) | instid1(VALU_DEP_1)
	v_cndmask_b32_e64 v202, 0, v202, s9
	v_add_nc_u32_e32 v201, v201, v202
	s_delay_alu instid0(VALU_DEP_1) | instskip(NEXT) | instid1(VALU_DEP_1)
	v_mov_b32_dpp v202, v201 row_shr:8 row_mask:0xf bank_mask:0xf
	v_cndmask_b32_e64 v202, 0, v202, s10
	s_delay_alu instid0(VALU_DEP_1) | instskip(SKIP_3) | instid1(VALU_DEP_1)
	v_add_nc_u32_e32 v201, v201, v202
	ds_swizzle_b32 v202, v201 offset:swizzle(BROADCAST,32,15)
	s_wait_dscnt 0x0
	v_cndmask_b32_e64 v202, v202, 0, s11
	v_add_nc_u32_e32 v201, v201, v202
	s_and_saveexec_b32 s15, s1
; %bb.173:                              ;   in Loop: Header=BB523_104 Depth=2
	ds_store_b32 v85, v201 offset:1024
; %bb.174:                              ;   in Loop: Header=BB523_104 Depth=2
	s_or_b32 exec_lo, exec_lo, s15
	s_wait_dscnt 0x0
	s_barrier_signal -1
	s_barrier_wait -1
	s_and_saveexec_b32 s15, s4
	s_cbranch_execz .LBB523_176
; %bb.175:                              ;   in Loop: Header=BB523_104 Depth=2
	ds_load_b32 v202, v93 offset:1024
	s_wait_dscnt 0x0
	v_mov_b32_dpp v203, v202 row_shr:1 row_mask:0xf bank_mask:0xf
	s_delay_alu instid0(VALU_DEP_1) | instskip(NEXT) | instid1(VALU_DEP_1)
	v_cndmask_b32_e64 v203, v203, 0, s12
	v_add_nc_u32_e32 v202, v203, v202
	s_delay_alu instid0(VALU_DEP_1) | instskip(NEXT) | instid1(VALU_DEP_1)
	v_mov_b32_dpp v203, v202 row_shr:2 row_mask:0xf bank_mask:0xf
	v_cndmask_b32_e64 v203, 0, v203, s13
	s_delay_alu instid0(VALU_DEP_1) | instskip(NEXT) | instid1(VALU_DEP_1)
	v_add_nc_u32_e32 v202, v202, v203
	v_mov_b32_dpp v203, v202 row_shr:4 row_mask:0xf bank_mask:0xf
	s_delay_alu instid0(VALU_DEP_1) | instskip(NEXT) | instid1(VALU_DEP_1)
	v_cndmask_b32_e64 v203, 0, v203, s14
	v_add_nc_u32_e32 v202, v202, v203
	ds_store_b32 v93, v202 offset:1024
.LBB523_176:                            ;   in Loop: Header=BB523_104 Depth=2
	s_or_b32 exec_lo, exec_lo, s15
	v_mov_b32_e32 v202, 0
	s_wait_dscnt 0x0
	s_barrier_signal -1
	s_barrier_wait -1
	s_and_saveexec_b32 s15, s5
; %bb.177:                              ;   in Loop: Header=BB523_104 Depth=2
	ds_load_b32 v202, v85 offset:1020
; %bb.178:                              ;   in Loop: Header=BB523_104 Depth=2
	s_or_b32 exec_lo, exec_lo, s15
	s_wait_dscnt 0x0
	v_add_nc_u32_e32 v201, v202, v201
	ds_bpermute_b32 v201, v120, v201
	s_wait_dscnt 0x0
	v_cndmask_b32_e64 v201, v201, v202, s6
	s_delay_alu instid0(VALU_DEP_1) | instskip(NEXT) | instid1(VALU_DEP_1)
	v_cndmask_b32_e64 v201, v201, 0, s2
	v_add_nc_u32_e32 v68, v201, v68
	s_delay_alu instid0(VALU_DEP_1) | instskip(NEXT) | instid1(VALU_DEP_1)
	v_add_nc_u32_e32 v69, v68, v69
	v_add_nc_u32_e32 v66, v69, v66
	s_delay_alu instid0(VALU_DEP_1) | instskip(NEXT) | instid1(VALU_DEP_1)
	v_add_nc_u32_e32 v67, v66, v67
	;; [unrolled: 3-line block ×3, first 2 shown]
	v_add_nc_u32_e32 v62, v65, v62
	s_delay_alu instid0(VALU_DEP_1)
	v_add_nc_u32_e32 v63, v62, v63
	ds_store_2addr_b32 v5, v65, v62 offset1:1
	ds_store_2addr_b32 v117, v201, v68 offset1:1
	;; [unrolled: 1-line block ×4, first 2 shown]
	ds_store_b32 v91, v63 offset:1088
	s_wait_dscnt 0x0
	s_barrier_signal -1
	s_barrier_wait -1
	ds_load_b32 v65, v142 offset:1056
	ds_load_b32 v67, v146 offset:1056
	;; [unrolled: 1-line block ×17, first 2 shown]
	v_mov_b32_e32 v64, 0x1000
	s_and_saveexec_b32 s15, s3
; %bb.179:                              ;   in Loop: Header=BB523_104 Depth=2
	ds_load_b32 v64, v91 offset:1092
; %bb.180:                              ;   in Loop: Header=BB523_104 Depth=2
	s_or_b32 exec_lo, exec_lo, s15
	s_wait_dscnt 0x0
	s_barrier_signal -1
	s_barrier_wait -1
	s_and_saveexec_b32 s15, s0
	s_cbranch_execz .LBB523_182
; %bb.181:                              ;   in Loop: Header=BB523_104 Depth=2
	ds_load_b32 v154, v4
	s_wait_dscnt 0x0
	v_sub_nc_u32_e32 v150, v154, v150
	ds_store_b32 v4, v150
.LBB523_182:                            ;   in Loop: Header=BB523_104 Depth=2
	s_or_b32 exec_lo, exec_lo, s15
	v_add3_u32 v158, v145, v144, v67
	v_add_nc_u32_e32 v162, v65, v141
	v_add3_u32 v154, v149, v148, v68
	v_add3_u32 v150, v153, v152, v69
	;; [unrolled: 1-line block ×4, first 2 shown]
	v_lshlrev_b32_e32 v62, 2, v158
	v_lshlrev_b32_e32 v152, 2, v162
	v_add3_u32 v149, v157, v156, v142
	v_add3_u32 v146, v165, v164, v201
	v_add3_u32 v145, v169, v168, v170
	v_add3_u32 v68, v193, v192, v63
	v_lshlrev_b32_e32 v63, 2, v154
	v_add3_u32 v144, v173, v172, v174
	v_lshlrev_b32_e32 v153, 2, v148
	ds_store_b32 v152, v139 offset:1024
	v_lshlrev_b32_e32 v139, 2, v150
	v_add3_u32 v142, v177, v176, v178
	v_lshlrev_b32_e32 v152, 2, v149
	v_add3_u32 v141, v181, v180, v182
	v_add3_u32 v65, v185, v184, v186
	ds_store_b32 v62, v140 offset:1024
	ds_store_b32 v63, v143 offset:1024
	;; [unrolled: 1-line block ×5, first 2 shown]
	v_dual_lshlrev_b32 v62, 2, v146 :: v_dual_lshlrev_b32 v139, 2, v144
	v_lshlrev_b32_e32 v63, 2, v145
	v_add3_u32 v67, v196, v195, v66
	v_dual_lshlrev_b32 v140, 2, v142 :: v_dual_lshlrev_b32 v143, 2, v141
	v_add3_u32 v66, v199, v198, v167
	ds_store_b32 v62, v159 offset:1024
	ds_store_b32 v63, v163 offset:1024
	;; [unrolled: 1-line block ×5, first 2 shown]
	v_dual_lshlrev_b32 v62, 2, v65 :: v_dual_lshlrev_b32 v139, 2, v68
	v_cmp_lt_u32_e32 vcc_lo, v2, v137
	v_dual_lshlrev_b32 v63, 2, v69 :: v_dual_lshlrev_b32 v140, 2, v67
	v_lshlrev_b32_e32 v143, 2, v66
	ds_store_b32 v62, v179 offset:1024
	ds_store_b32 v63, v183 offset:1024
	;; [unrolled: 1-line block ×5, first 2 shown]
	s_wait_dscnt 0x0
	s_barrier_signal -1
	s_barrier_wait -1
	s_and_saveexec_b32 s15, vcc_lo
	s_cbranch_execnz .LBB523_251
; %bb.183:                              ;   in Loop: Header=BB523_104 Depth=2
	s_or_b32 exec_lo, exec_lo, s15
	v_cmp_lt_u32_e64 s15, v3, v137
	s_and_saveexec_b32 s16, s15
	s_cbranch_execnz .LBB523_252
.LBB523_184:                            ;   in Loop: Header=BB523_104 Depth=2
	s_or_b32 exec_lo, exec_lo, s16
	v_cmp_lt_u32_e64 s16, v70, v137
	s_and_saveexec_b32 s17, s16
	s_cbranch_execnz .LBB523_253
.LBB523_185:                            ;   in Loop: Header=BB523_104 Depth=2
	s_or_b32 exec_lo, exec_lo, s17
	v_cmp_lt_u32_e64 s17, v71, v137
	s_and_saveexec_b32 s18, s17
	s_cbranch_execnz .LBB523_254
.LBB523_186:                            ;   in Loop: Header=BB523_104 Depth=2
	s_or_b32 exec_lo, exec_lo, s18
	v_cmp_lt_u32_e64 s18, v72, v137
	s_and_saveexec_b32 s19, s18
	s_cbranch_execnz .LBB523_255
.LBB523_187:                            ;   in Loop: Header=BB523_104 Depth=2
	s_or_b32 exec_lo, exec_lo, s19
	v_cmp_lt_u32_e64 s19, v73, v137
	s_and_saveexec_b32 s20, s19
	s_cbranch_execnz .LBB523_256
.LBB523_188:                            ;   in Loop: Header=BB523_104 Depth=2
	s_or_b32 exec_lo, exec_lo, s20
	v_cmp_lt_u32_e64 s20, v74, v137
	s_and_saveexec_b32 s21, s20
	s_cbranch_execnz .LBB523_257
.LBB523_189:                            ;   in Loop: Header=BB523_104 Depth=2
	s_or_b32 exec_lo, exec_lo, s21
	v_cmp_lt_u32_e64 s21, v75, v137
	s_and_saveexec_b32 s22, s21
	s_cbranch_execnz .LBB523_258
.LBB523_190:                            ;   in Loop: Header=BB523_104 Depth=2
	s_or_b32 exec_lo, exec_lo, s22
	v_cmp_lt_u32_e64 s22, v76, v137
	s_and_saveexec_b32 s23, s22
	s_cbranch_execnz .LBB523_259
.LBB523_191:                            ;   in Loop: Header=BB523_104 Depth=2
	s_or_b32 exec_lo, exec_lo, s23
	v_cmp_lt_u32_e64 s23, v77, v137
	s_and_saveexec_b32 s24, s23
	s_cbranch_execnz .LBB523_260
.LBB523_192:                            ;   in Loop: Header=BB523_104 Depth=2
	s_or_b32 exec_lo, exec_lo, s24
	v_cmp_lt_u32_e64 s24, v78, v137
	s_and_saveexec_b32 s25, s24
	s_cbranch_execnz .LBB523_261
.LBB523_193:                            ;   in Loop: Header=BB523_104 Depth=2
	s_or_b32 exec_lo, exec_lo, s25
	v_cmp_lt_u32_e64 s25, v79, v137
	s_and_saveexec_b32 s26, s25
	s_cbranch_execnz .LBB523_262
.LBB523_194:                            ;   in Loop: Header=BB523_104 Depth=2
	s_or_b32 exec_lo, exec_lo, s26
	v_cmp_lt_u32_e64 s26, v80, v137
	s_and_saveexec_b32 s27, s26
	s_cbranch_execnz .LBB523_263
.LBB523_195:                            ;   in Loop: Header=BB523_104 Depth=2
	s_or_b32 exec_lo, exec_lo, s27
	v_cmp_lt_u32_e64 s27, v81, v137
	s_and_saveexec_b32 s28, s27
	s_cbranch_execnz .LBB523_264
.LBB523_196:                            ;   in Loop: Header=BB523_104 Depth=2
	s_or_b32 exec_lo, exec_lo, s28
	v_cmp_lt_u32_e64 s28, v82, v137
	s_and_saveexec_b32 s29, s28
	s_cbranch_execnz .LBB523_265
.LBB523_197:                            ;   in Loop: Header=BB523_104 Depth=2
	s_or_b32 exec_lo, exec_lo, s29
	v_cmp_lt_u32_e64 s29, v83, v137
	s_and_saveexec_b32 s57, s29
	s_cbranch_execz .LBB523_199
.LBB523_198:                            ;   in Loop: Header=BB523_104 Depth=2
	ds_load_b32 v62, v93 offset:16384
	s_wait_dscnt 0x0
	v_lshrrev_b32_e32 v63, s43, v62
	v_xor_b32_e32 v62, 0x7fffffff, v62
	s_delay_alu instid0(VALU_DEP_2) | instskip(NEXT) | instid1(VALU_DEP_1)
	v_and_b32_e32 v63, s48, v63
	v_lshlrev_b32_e32 v63, 2, v63
	ds_load_b32 v63, v63
	s_wait_dscnt 0x0
	v_add_nc_u32_e32 v63, v63, v83
	global_store_b32 v63, v62, s[38:39] scale_offset
.LBB523_199:                            ;   in Loop: Header=BB523_104 Depth=2
	s_wait_xcnt 0x0
	s_or_b32 exec_lo, exec_lo, s57
	v_lshl_add_u64 v[62:63], s[30:31], 3, v[26:27]
	v_cmp_lt_u32_e64 s30, v99, v137
	s_and_saveexec_b32 s57, s30
	s_delay_alu instid0(SALU_CYCLE_1)
	s_xor_b32 s30, exec_lo, s57
	s_cbranch_execnz .LBB523_266
; %bb.200:                              ;   in Loop: Header=BB523_104 Depth=2
	s_or_b32 exec_lo, exec_lo, s30
	s_delay_alu instid0(SALU_CYCLE_1)
	s_mov_b32 s57, exec_lo
	v_cmpx_lt_u32_e64 v102, v137
	s_cbranch_execnz .LBB523_267
.LBB523_201:                            ;   in Loop: Header=BB523_104 Depth=2
	s_or_b32 exec_lo, exec_lo, s57
	s_delay_alu instid0(SALU_CYCLE_1)
	s_mov_b32 s57, exec_lo
	v_cmpx_lt_u32_e64 v103, v137
	s_cbranch_execnz .LBB523_268
.LBB523_202:                            ;   in Loop: Header=BB523_104 Depth=2
	s_or_b32 exec_lo, exec_lo, s57
	s_delay_alu instid0(SALU_CYCLE_1)
	s_mov_b32 s57, exec_lo
	v_cmpx_lt_u32_e64 v104, v137
	s_cbranch_execnz .LBB523_269
.LBB523_203:                            ;   in Loop: Header=BB523_104 Depth=2
	s_or_b32 exec_lo, exec_lo, s57
	s_delay_alu instid0(SALU_CYCLE_1)
	s_mov_b32 s57, exec_lo
	v_cmpx_lt_u32_e64 v105, v137
	s_cbranch_execnz .LBB523_270
.LBB523_204:                            ;   in Loop: Header=BB523_104 Depth=2
	s_or_b32 exec_lo, exec_lo, s57
	s_delay_alu instid0(SALU_CYCLE_1)
	s_mov_b32 s57, exec_lo
	v_cmpx_lt_u32_e64 v106, v137
	s_cbranch_execnz .LBB523_271
.LBB523_205:                            ;   in Loop: Header=BB523_104 Depth=2
	s_or_b32 exec_lo, exec_lo, s57
	s_delay_alu instid0(SALU_CYCLE_1)
	s_mov_b32 s57, exec_lo
	v_cmpx_lt_u32_e64 v107, v137
	s_cbranch_execnz .LBB523_272
.LBB523_206:                            ;   in Loop: Header=BB523_104 Depth=2
	s_or_b32 exec_lo, exec_lo, s57
	s_delay_alu instid0(SALU_CYCLE_1)
	s_mov_b32 s57, exec_lo
	v_cmpx_lt_u32_e64 v108, v137
	s_cbranch_execnz .LBB523_273
.LBB523_207:                            ;   in Loop: Header=BB523_104 Depth=2
	s_or_b32 exec_lo, exec_lo, s57
	s_delay_alu instid0(SALU_CYCLE_1)
	s_mov_b32 s57, exec_lo
	v_cmpx_lt_u32_e64 v109, v137
	s_cbranch_execnz .LBB523_274
.LBB523_208:                            ;   in Loop: Header=BB523_104 Depth=2
	s_or_b32 exec_lo, exec_lo, s57
	s_delay_alu instid0(SALU_CYCLE_1)
	s_mov_b32 s57, exec_lo
	v_cmpx_lt_u32_e64 v110, v137
	s_cbranch_execnz .LBB523_275
.LBB523_209:                            ;   in Loop: Header=BB523_104 Depth=2
	s_or_b32 exec_lo, exec_lo, s57
	s_delay_alu instid0(SALU_CYCLE_1)
	s_mov_b32 s57, exec_lo
	v_cmpx_lt_u32_e64 v111, v137
	s_cbranch_execnz .LBB523_276
.LBB523_210:                            ;   in Loop: Header=BB523_104 Depth=2
	s_or_b32 exec_lo, exec_lo, s57
	s_delay_alu instid0(SALU_CYCLE_1)
	s_mov_b32 s57, exec_lo
	v_cmpx_lt_u32_e64 v112, v137
	s_cbranch_execnz .LBB523_277
.LBB523_211:                            ;   in Loop: Header=BB523_104 Depth=2
	s_or_b32 exec_lo, exec_lo, s57
	s_delay_alu instid0(SALU_CYCLE_1)
	s_mov_b32 s57, exec_lo
	v_cmpx_lt_u32_e64 v113, v137
	s_cbranch_execnz .LBB523_278
.LBB523_212:                            ;   in Loop: Header=BB523_104 Depth=2
	s_or_b32 exec_lo, exec_lo, s57
	s_delay_alu instid0(SALU_CYCLE_1)
	s_mov_b32 s57, exec_lo
	v_cmpx_lt_u32_e64 v114, v137
	s_cbranch_execnz .LBB523_279
.LBB523_213:                            ;   in Loop: Header=BB523_104 Depth=2
	s_or_b32 exec_lo, exec_lo, s57
	s_delay_alu instid0(SALU_CYCLE_1)
	s_mov_b32 s57, exec_lo
	v_cmpx_lt_u32_e64 v115, v137
	s_cbranch_execnz .LBB523_280
.LBB523_214:                            ;   in Loop: Header=BB523_104 Depth=2
	s_or_b32 exec_lo, exec_lo, s57
	s_delay_alu instid0(SALU_CYCLE_1)
	s_mov_b32 s57, exec_lo
	v_cmpx_lt_u32_e64 v116, v137
	s_cbranch_execnz .LBB523_281
.LBB523_215:                            ;   in Loop: Header=BB523_104 Depth=2
	s_or_b32 exec_lo, exec_lo, s57
	s_and_saveexec_b32 s30, vcc_lo
	s_cbranch_execnz .LBB523_282
.LBB523_216:                            ;   in Loop: Header=BB523_104 Depth=2
	s_or_b32 exec_lo, exec_lo, s30
	s_and_saveexec_b32 s30, s15
	s_cbranch_execnz .LBB523_283
.LBB523_217:                            ;   in Loop: Header=BB523_104 Depth=2
	s_or_b32 exec_lo, exec_lo, s30
	s_and_saveexec_b32 s30, s16
	s_cbranch_execnz .LBB523_284
.LBB523_218:                            ;   in Loop: Header=BB523_104 Depth=2
	s_or_b32 exec_lo, exec_lo, s30
	s_and_saveexec_b32 s30, s17
	s_cbranch_execnz .LBB523_285
.LBB523_219:                            ;   in Loop: Header=BB523_104 Depth=2
	s_or_b32 exec_lo, exec_lo, s30
	s_and_saveexec_b32 s30, s18
	s_cbranch_execnz .LBB523_286
.LBB523_220:                            ;   in Loop: Header=BB523_104 Depth=2
	s_or_b32 exec_lo, exec_lo, s30
	s_and_saveexec_b32 s30, s19
	s_cbranch_execnz .LBB523_287
.LBB523_221:                            ;   in Loop: Header=BB523_104 Depth=2
	s_or_b32 exec_lo, exec_lo, s30
	s_and_saveexec_b32 s30, s20
	s_cbranch_execnz .LBB523_288
.LBB523_222:                            ;   in Loop: Header=BB523_104 Depth=2
	s_or_b32 exec_lo, exec_lo, s30
	s_and_saveexec_b32 s30, s21
	s_cbranch_execnz .LBB523_289
.LBB523_223:                            ;   in Loop: Header=BB523_104 Depth=2
	s_or_b32 exec_lo, exec_lo, s30
	s_and_saveexec_b32 s30, s22
	s_cbranch_execnz .LBB523_290
.LBB523_224:                            ;   in Loop: Header=BB523_104 Depth=2
	s_or_b32 exec_lo, exec_lo, s30
	s_and_saveexec_b32 s30, s23
	s_cbranch_execnz .LBB523_291
.LBB523_225:                            ;   in Loop: Header=BB523_104 Depth=2
	s_or_b32 exec_lo, exec_lo, s30
	s_and_saveexec_b32 s30, s24
	s_cbranch_execnz .LBB523_292
.LBB523_226:                            ;   in Loop: Header=BB523_104 Depth=2
	s_or_b32 exec_lo, exec_lo, s30
	s_and_saveexec_b32 s30, s25
	s_cbranch_execnz .LBB523_293
.LBB523_227:                            ;   in Loop: Header=BB523_104 Depth=2
	s_or_b32 exec_lo, exec_lo, s30
	s_and_saveexec_b32 s30, s26
	s_cbranch_execnz .LBB523_294
.LBB523_228:                            ;   in Loop: Header=BB523_104 Depth=2
	s_or_b32 exec_lo, exec_lo, s30
	s_and_saveexec_b32 s30, s27
	s_cbranch_execnz .LBB523_295
.LBB523_229:                            ;   in Loop: Header=BB523_104 Depth=2
	s_or_b32 exec_lo, exec_lo, s30
	s_and_saveexec_b32 s30, s28
	s_cbranch_execnz .LBB523_296
.LBB523_230:                            ;   in Loop: Header=BB523_104 Depth=2
	s_or_b32 exec_lo, exec_lo, s30
	s_and_saveexec_b32 s30, s29
	s_cbranch_execz .LBB523_232
.LBB523_231:                            ;   in Loop: Header=BB523_104 Depth=2
	ds_load_b32 v62, v93 offset:16384
	s_wait_dscnt 0x0
	v_lshrrev_b32_e32 v62, s43, v62
	s_delay_alu instid0(VALU_DEP_1)
	v_and_b32_e32 v121, s48, v62
.LBB523_232:                            ;   in Loop: Header=BB523_104 Depth=2
	s_or_b32 exec_lo, exec_lo, s30
	v_dual_lshlrev_b32 v62, 3, v162 :: v_dual_lshlrev_b32 v138, 3, v149
	s_wait_loadcnt 0x0
	s_wait_storecnt 0x0
	s_barrier_signal -1
	s_barrier_wait -1
	ds_store_b64 v62, v[60:61] offset:1024
	v_dual_lshlrev_b32 v62, 3, v158 :: v_dual_lshlrev_b32 v139, 3, v148
	v_lshlrev_b32_e32 v63, 3, v154
	v_lshlrev_b32_e32 v137, 3, v150
	ds_store_b64 v62, v[58:59] offset:1024
	ds_store_b64 v63, v[56:57] offset:1024
	ds_store_b64 v137, v[54:55] offset:1024
	ds_store_b64 v138, v[52:53] offset:1024
	ds_store_b64 v139, v[50:51] offset:1024
	v_dual_lshlrev_b32 v62, 3, v146 :: v_dual_lshlrev_b32 v139, 3, v141
	v_dual_lshlrev_b32 v63, 3, v145 :: v_dual_lshlrev_b32 v137, 3, v144
	v_lshlrev_b32_e32 v138, 3, v142
	ds_store_b64 v62, v[48:49] offset:1024
	ds_store_b64 v63, v[46:47] offset:1024
	;; [unrolled: 1-line block ×5, first 2 shown]
	v_lshlrev_b32_e32 v62, 3, v65
	v_dual_lshlrev_b32 v63, 3, v69 :: v_dual_lshlrev_b32 v65, 3, v68
	v_dual_lshlrev_b32 v67, 3, v67 :: v_dual_lshlrev_b32 v66, 3, v66
	ds_store_b64 v62, v[38:39] offset:1024
	ds_store_b64 v63, v[36:37] offset:1024
	;; [unrolled: 1-line block ×5, first 2 shown]
	s_wait_dscnt 0x0
	s_barrier_signal -1
	s_barrier_wait -1
	s_and_saveexec_b32 s30, vcc_lo
	s_cbranch_execnz .LBB523_297
; %bb.233:                              ;   in Loop: Header=BB523_104 Depth=2
	s_or_b32 exec_lo, exec_lo, s30
	s_and_saveexec_b32 s30, s15
	s_cbranch_execnz .LBB523_298
.LBB523_234:                            ;   in Loop: Header=BB523_104 Depth=2
	s_or_b32 exec_lo, exec_lo, s30
	s_and_saveexec_b32 s15, s16
	s_cbranch_execnz .LBB523_299
.LBB523_235:                            ;   in Loop: Header=BB523_104 Depth=2
	s_or_b32 exec_lo, exec_lo, s15
	s_and_saveexec_b32 s15, s17
	s_cbranch_execnz .LBB523_300
.LBB523_236:                            ;   in Loop: Header=BB523_104 Depth=2
	s_or_b32 exec_lo, exec_lo, s15
	s_and_saveexec_b32 s15, s18
	s_cbranch_execnz .LBB523_301
.LBB523_237:                            ;   in Loop: Header=BB523_104 Depth=2
	s_or_b32 exec_lo, exec_lo, s15
	s_and_saveexec_b32 s15, s19
	s_cbranch_execnz .LBB523_302
.LBB523_238:                            ;   in Loop: Header=BB523_104 Depth=2
	s_or_b32 exec_lo, exec_lo, s15
	s_and_saveexec_b32 s15, s20
	s_cbranch_execnz .LBB523_303
.LBB523_239:                            ;   in Loop: Header=BB523_104 Depth=2
	s_or_b32 exec_lo, exec_lo, s15
	s_and_saveexec_b32 s15, s21
	s_cbranch_execnz .LBB523_304
.LBB523_240:                            ;   in Loop: Header=BB523_104 Depth=2
	s_or_b32 exec_lo, exec_lo, s15
	s_and_saveexec_b32 s15, s22
	s_cbranch_execnz .LBB523_305
.LBB523_241:                            ;   in Loop: Header=BB523_104 Depth=2
	s_or_b32 exec_lo, exec_lo, s15
	s_and_saveexec_b32 s15, s23
	s_cbranch_execnz .LBB523_306
.LBB523_242:                            ;   in Loop: Header=BB523_104 Depth=2
	s_or_b32 exec_lo, exec_lo, s15
	s_and_saveexec_b32 s15, s24
	s_cbranch_execnz .LBB523_307
.LBB523_243:                            ;   in Loop: Header=BB523_104 Depth=2
	s_or_b32 exec_lo, exec_lo, s15
	s_and_saveexec_b32 s15, s25
	s_cbranch_execnz .LBB523_308
.LBB523_244:                            ;   in Loop: Header=BB523_104 Depth=2
	s_or_b32 exec_lo, exec_lo, s15
	s_and_saveexec_b32 s15, s26
	s_cbranch_execnz .LBB523_309
.LBB523_245:                            ;   in Loop: Header=BB523_104 Depth=2
	s_or_b32 exec_lo, exec_lo, s15
	s_and_saveexec_b32 s15, s27
	s_cbranch_execnz .LBB523_310
.LBB523_246:                            ;   in Loop: Header=BB523_104 Depth=2
	s_or_b32 exec_lo, exec_lo, s15
	s_and_saveexec_b32 s15, s28
	s_cbranch_execnz .LBB523_311
.LBB523_247:                            ;   in Loop: Header=BB523_104 Depth=2
	s_or_b32 exec_lo, exec_lo, s15
	s_and_saveexec_b32 s15, s29
	s_cbranch_execz .LBB523_249
.LBB523_248:                            ;   in Loop: Header=BB523_104 Depth=2
	v_dual_lshlrev_b32 v62, 2, v121 :: v_dual_add_nc_u32 v63, v93, v4
	ds_load_b32 v65, v62
	ds_load_b64 v[62:63], v63 offset:31744
	s_wait_dscnt 0x1
	v_add_nc_u32_e32 v65, v65, v83
	s_wait_dscnt 0x0
	global_store_b64 v65, v[62:63], s[44:45] scale_offset
.LBB523_249:                            ;   in Loop: Header=BB523_104 Depth=2
	s_wait_xcnt 0x0
	s_or_b32 exec_lo, exec_lo, s15
	s_wait_storecnt 0x0
	s_barrier_signal -1
	s_barrier_wait -1
	s_and_saveexec_b32 s15, s0
	s_cbranch_execz .LBB523_103
; %bb.250:                              ;   in Loop: Header=BB523_104 Depth=2
	ds_load_b32 v62, v4
	s_wait_dscnt 0x0
	v_add_nc_u32_e32 v62, v62, v64
	ds_store_b32 v4, v62
	s_branch .LBB523_103
.LBB523_251:                            ;   in Loop: Header=BB523_104 Depth=2
	ds_load_b32 v62, v93 offset:1024
	s_wait_dscnt 0x0
	v_lshrrev_b32_e32 v63, s43, v62
	v_xor_b32_e32 v62, 0x7fffffff, v62
	s_delay_alu instid0(VALU_DEP_2) | instskip(NEXT) | instid1(VALU_DEP_1)
	v_and_b32_e32 v63, s48, v63
	v_lshlrev_b32_e32 v63, 2, v63
	ds_load_b32 v63, v63
	s_wait_dscnt 0x0
	v_add_nc_u32_e32 v63, v63, v2
	global_store_b32 v63, v62, s[38:39] scale_offset
	s_wait_xcnt 0x0
	s_or_b32 exec_lo, exec_lo, s15
	v_cmp_lt_u32_e64 s15, v3, v137
	s_and_saveexec_b32 s16, s15
	s_cbranch_execz .LBB523_184
.LBB523_252:                            ;   in Loop: Header=BB523_104 Depth=2
	ds_load_b32 v62, v93 offset:2048
	s_wait_dscnt 0x0
	v_lshrrev_b32_e32 v63, s43, v62
	v_xor_b32_e32 v62, 0x7fffffff, v62
	s_delay_alu instid0(VALU_DEP_2) | instskip(NEXT) | instid1(VALU_DEP_1)
	v_and_b32_e32 v63, s48, v63
	v_lshlrev_b32_e32 v63, 2, v63
	ds_load_b32 v63, v63
	s_wait_dscnt 0x0
	v_add_nc_u32_e32 v63, v63, v3
	global_store_b32 v63, v62, s[38:39] scale_offset
	s_wait_xcnt 0x0
	s_or_b32 exec_lo, exec_lo, s16
	v_cmp_lt_u32_e64 s16, v70, v137
	s_and_saveexec_b32 s17, s16
	s_cbranch_execz .LBB523_185
.LBB523_253:                            ;   in Loop: Header=BB523_104 Depth=2
	ds_load_b32 v62, v93 offset:3072
	s_wait_dscnt 0x0
	v_lshrrev_b32_e32 v63, s43, v62
	v_xor_b32_e32 v62, 0x7fffffff, v62
	s_delay_alu instid0(VALU_DEP_2) | instskip(NEXT) | instid1(VALU_DEP_1)
	v_and_b32_e32 v63, s48, v63
	v_lshlrev_b32_e32 v63, 2, v63
	ds_load_b32 v63, v63
	s_wait_dscnt 0x0
	v_add_nc_u32_e32 v63, v63, v70
	global_store_b32 v63, v62, s[38:39] scale_offset
	s_wait_xcnt 0x0
	s_or_b32 exec_lo, exec_lo, s17
	v_cmp_lt_u32_e64 s17, v71, v137
	s_and_saveexec_b32 s18, s17
	s_cbranch_execz .LBB523_186
.LBB523_254:                            ;   in Loop: Header=BB523_104 Depth=2
	ds_load_b32 v62, v93 offset:4096
	s_wait_dscnt 0x0
	v_lshrrev_b32_e32 v63, s43, v62
	v_xor_b32_e32 v62, 0x7fffffff, v62
	s_delay_alu instid0(VALU_DEP_2) | instskip(NEXT) | instid1(VALU_DEP_1)
	v_and_b32_e32 v63, s48, v63
	v_lshlrev_b32_e32 v63, 2, v63
	ds_load_b32 v63, v63
	s_wait_dscnt 0x0
	v_add_nc_u32_e32 v63, v63, v71
	global_store_b32 v63, v62, s[38:39] scale_offset
	s_wait_xcnt 0x0
	s_or_b32 exec_lo, exec_lo, s18
	v_cmp_lt_u32_e64 s18, v72, v137
	s_and_saveexec_b32 s19, s18
	s_cbranch_execz .LBB523_187
.LBB523_255:                            ;   in Loop: Header=BB523_104 Depth=2
	ds_load_b32 v62, v93 offset:5120
	s_wait_dscnt 0x0
	v_lshrrev_b32_e32 v63, s43, v62
	v_xor_b32_e32 v62, 0x7fffffff, v62
	s_delay_alu instid0(VALU_DEP_2) | instskip(NEXT) | instid1(VALU_DEP_1)
	v_and_b32_e32 v63, s48, v63
	v_lshlrev_b32_e32 v63, 2, v63
	ds_load_b32 v63, v63
	s_wait_dscnt 0x0
	v_add_nc_u32_e32 v63, v63, v72
	global_store_b32 v63, v62, s[38:39] scale_offset
	s_wait_xcnt 0x0
	s_or_b32 exec_lo, exec_lo, s19
	v_cmp_lt_u32_e64 s19, v73, v137
	s_and_saveexec_b32 s20, s19
	s_cbranch_execz .LBB523_188
.LBB523_256:                            ;   in Loop: Header=BB523_104 Depth=2
	ds_load_b32 v62, v93 offset:6144
	s_wait_dscnt 0x0
	v_lshrrev_b32_e32 v63, s43, v62
	v_xor_b32_e32 v62, 0x7fffffff, v62
	s_delay_alu instid0(VALU_DEP_2) | instskip(NEXT) | instid1(VALU_DEP_1)
	v_and_b32_e32 v63, s48, v63
	v_lshlrev_b32_e32 v63, 2, v63
	ds_load_b32 v63, v63
	s_wait_dscnt 0x0
	v_add_nc_u32_e32 v63, v63, v73
	global_store_b32 v63, v62, s[38:39] scale_offset
	s_wait_xcnt 0x0
	s_or_b32 exec_lo, exec_lo, s20
	v_cmp_lt_u32_e64 s20, v74, v137
	s_and_saveexec_b32 s21, s20
	s_cbranch_execz .LBB523_189
.LBB523_257:                            ;   in Loop: Header=BB523_104 Depth=2
	ds_load_b32 v62, v93 offset:7168
	s_wait_dscnt 0x0
	v_lshrrev_b32_e32 v63, s43, v62
	v_xor_b32_e32 v62, 0x7fffffff, v62
	s_delay_alu instid0(VALU_DEP_2) | instskip(NEXT) | instid1(VALU_DEP_1)
	v_and_b32_e32 v63, s48, v63
	v_lshlrev_b32_e32 v63, 2, v63
	ds_load_b32 v63, v63
	s_wait_dscnt 0x0
	v_add_nc_u32_e32 v63, v63, v74
	global_store_b32 v63, v62, s[38:39] scale_offset
	s_wait_xcnt 0x0
	s_or_b32 exec_lo, exec_lo, s21
	v_cmp_lt_u32_e64 s21, v75, v137
	s_and_saveexec_b32 s22, s21
	s_cbranch_execz .LBB523_190
.LBB523_258:                            ;   in Loop: Header=BB523_104 Depth=2
	ds_load_b32 v62, v93 offset:8192
	s_wait_dscnt 0x0
	v_lshrrev_b32_e32 v63, s43, v62
	v_xor_b32_e32 v62, 0x7fffffff, v62
	s_delay_alu instid0(VALU_DEP_2) | instskip(NEXT) | instid1(VALU_DEP_1)
	v_and_b32_e32 v63, s48, v63
	v_lshlrev_b32_e32 v63, 2, v63
	ds_load_b32 v63, v63
	s_wait_dscnt 0x0
	v_add_nc_u32_e32 v63, v63, v75
	global_store_b32 v63, v62, s[38:39] scale_offset
	s_wait_xcnt 0x0
	s_or_b32 exec_lo, exec_lo, s22
	v_cmp_lt_u32_e64 s22, v76, v137
	s_and_saveexec_b32 s23, s22
	s_cbranch_execz .LBB523_191
.LBB523_259:                            ;   in Loop: Header=BB523_104 Depth=2
	ds_load_b32 v62, v93 offset:9216
	s_wait_dscnt 0x0
	v_lshrrev_b32_e32 v63, s43, v62
	v_xor_b32_e32 v62, 0x7fffffff, v62
	s_delay_alu instid0(VALU_DEP_2) | instskip(NEXT) | instid1(VALU_DEP_1)
	v_and_b32_e32 v63, s48, v63
	v_lshlrev_b32_e32 v63, 2, v63
	ds_load_b32 v63, v63
	s_wait_dscnt 0x0
	v_add_nc_u32_e32 v63, v63, v76
	global_store_b32 v63, v62, s[38:39] scale_offset
	s_wait_xcnt 0x0
	s_or_b32 exec_lo, exec_lo, s23
	v_cmp_lt_u32_e64 s23, v77, v137
	s_and_saveexec_b32 s24, s23
	s_cbranch_execz .LBB523_192
.LBB523_260:                            ;   in Loop: Header=BB523_104 Depth=2
	ds_load_b32 v62, v93 offset:10240
	s_wait_dscnt 0x0
	v_lshrrev_b32_e32 v63, s43, v62
	v_xor_b32_e32 v62, 0x7fffffff, v62
	s_delay_alu instid0(VALU_DEP_2) | instskip(NEXT) | instid1(VALU_DEP_1)
	v_and_b32_e32 v63, s48, v63
	v_lshlrev_b32_e32 v63, 2, v63
	ds_load_b32 v63, v63
	s_wait_dscnt 0x0
	v_add_nc_u32_e32 v63, v63, v77
	global_store_b32 v63, v62, s[38:39] scale_offset
	s_wait_xcnt 0x0
	s_or_b32 exec_lo, exec_lo, s24
	v_cmp_lt_u32_e64 s24, v78, v137
	s_and_saveexec_b32 s25, s24
	s_cbranch_execz .LBB523_193
.LBB523_261:                            ;   in Loop: Header=BB523_104 Depth=2
	ds_load_b32 v62, v93 offset:11264
	s_wait_dscnt 0x0
	v_lshrrev_b32_e32 v63, s43, v62
	v_xor_b32_e32 v62, 0x7fffffff, v62
	s_delay_alu instid0(VALU_DEP_2) | instskip(NEXT) | instid1(VALU_DEP_1)
	v_and_b32_e32 v63, s48, v63
	v_lshlrev_b32_e32 v63, 2, v63
	ds_load_b32 v63, v63
	s_wait_dscnt 0x0
	v_add_nc_u32_e32 v63, v63, v78
	global_store_b32 v63, v62, s[38:39] scale_offset
	s_wait_xcnt 0x0
	s_or_b32 exec_lo, exec_lo, s25
	v_cmp_lt_u32_e64 s25, v79, v137
	s_and_saveexec_b32 s26, s25
	s_cbranch_execz .LBB523_194
.LBB523_262:                            ;   in Loop: Header=BB523_104 Depth=2
	ds_load_b32 v62, v93 offset:12288
	s_wait_dscnt 0x0
	v_lshrrev_b32_e32 v63, s43, v62
	v_xor_b32_e32 v62, 0x7fffffff, v62
	s_delay_alu instid0(VALU_DEP_2) | instskip(NEXT) | instid1(VALU_DEP_1)
	v_and_b32_e32 v63, s48, v63
	v_lshlrev_b32_e32 v63, 2, v63
	ds_load_b32 v63, v63
	s_wait_dscnt 0x0
	v_add_nc_u32_e32 v63, v63, v79
	global_store_b32 v63, v62, s[38:39] scale_offset
	s_wait_xcnt 0x0
	s_or_b32 exec_lo, exec_lo, s26
	v_cmp_lt_u32_e64 s26, v80, v137
	s_and_saveexec_b32 s27, s26
	s_cbranch_execz .LBB523_195
.LBB523_263:                            ;   in Loop: Header=BB523_104 Depth=2
	ds_load_b32 v62, v93 offset:13312
	s_wait_dscnt 0x0
	v_lshrrev_b32_e32 v63, s43, v62
	v_xor_b32_e32 v62, 0x7fffffff, v62
	s_delay_alu instid0(VALU_DEP_2) | instskip(NEXT) | instid1(VALU_DEP_1)
	v_and_b32_e32 v63, s48, v63
	v_lshlrev_b32_e32 v63, 2, v63
	ds_load_b32 v63, v63
	s_wait_dscnt 0x0
	v_add_nc_u32_e32 v63, v63, v80
	global_store_b32 v63, v62, s[38:39] scale_offset
	s_wait_xcnt 0x0
	s_or_b32 exec_lo, exec_lo, s27
	v_cmp_lt_u32_e64 s27, v81, v137
	s_and_saveexec_b32 s28, s27
	s_cbranch_execz .LBB523_196
.LBB523_264:                            ;   in Loop: Header=BB523_104 Depth=2
	ds_load_b32 v62, v93 offset:14336
	s_wait_dscnt 0x0
	v_lshrrev_b32_e32 v63, s43, v62
	v_xor_b32_e32 v62, 0x7fffffff, v62
	s_delay_alu instid0(VALU_DEP_2) | instskip(NEXT) | instid1(VALU_DEP_1)
	v_and_b32_e32 v63, s48, v63
	v_lshlrev_b32_e32 v63, 2, v63
	ds_load_b32 v63, v63
	s_wait_dscnt 0x0
	v_add_nc_u32_e32 v63, v63, v81
	global_store_b32 v63, v62, s[38:39] scale_offset
	s_wait_xcnt 0x0
	s_or_b32 exec_lo, exec_lo, s28
	v_cmp_lt_u32_e64 s28, v82, v137
	s_and_saveexec_b32 s29, s28
	s_cbranch_execz .LBB523_197
.LBB523_265:                            ;   in Loop: Header=BB523_104 Depth=2
	ds_load_b32 v62, v93 offset:15360
	s_wait_dscnt 0x0
	v_lshrrev_b32_e32 v63, s43, v62
	v_xor_b32_e32 v62, 0x7fffffff, v62
	s_delay_alu instid0(VALU_DEP_2) | instskip(NEXT) | instid1(VALU_DEP_1)
	v_and_b32_e32 v63, s48, v63
	v_lshlrev_b32_e32 v63, 2, v63
	ds_load_b32 v63, v63
	s_wait_dscnt 0x0
	v_add_nc_u32_e32 v63, v63, v82
	global_store_b32 v63, v62, s[38:39] scale_offset
	s_wait_xcnt 0x0
	s_or_b32 exec_lo, exec_lo, s29
	v_cmp_lt_u32_e64 s29, v83, v137
	s_and_saveexec_b32 s57, s29
	s_cbranch_execnz .LBB523_198
	s_branch .LBB523_199
.LBB523_266:                            ;   in Loop: Header=BB523_104 Depth=2
	global_load_b64 v[60:61], v[62:63], off
	s_wait_xcnt 0x0
	s_or_b32 exec_lo, exec_lo, s30
	s_delay_alu instid0(SALU_CYCLE_1)
	s_mov_b32 s57, exec_lo
	v_cmpx_lt_u32_e64 v102, v137
	s_cbranch_execz .LBB523_201
.LBB523_267:                            ;   in Loop: Header=BB523_104 Depth=2
	global_load_b64 v[58:59], v[62:63], off offset:256
	s_wait_xcnt 0x0
	s_or_b32 exec_lo, exec_lo, s57
	s_delay_alu instid0(SALU_CYCLE_1)
	s_mov_b32 s57, exec_lo
	v_cmpx_lt_u32_e64 v103, v137
	s_cbranch_execz .LBB523_202
.LBB523_268:                            ;   in Loop: Header=BB523_104 Depth=2
	global_load_b64 v[56:57], v[62:63], off offset:512
	s_wait_xcnt 0x0
	s_or_b32 exec_lo, exec_lo, s57
	s_delay_alu instid0(SALU_CYCLE_1)
	s_mov_b32 s57, exec_lo
	v_cmpx_lt_u32_e64 v104, v137
	s_cbranch_execz .LBB523_203
.LBB523_269:                            ;   in Loop: Header=BB523_104 Depth=2
	global_load_b64 v[54:55], v[62:63], off offset:768
	s_wait_xcnt 0x0
	s_or_b32 exec_lo, exec_lo, s57
	s_delay_alu instid0(SALU_CYCLE_1)
	s_mov_b32 s57, exec_lo
	v_cmpx_lt_u32_e64 v105, v137
	s_cbranch_execz .LBB523_204
.LBB523_270:                            ;   in Loop: Header=BB523_104 Depth=2
	global_load_b64 v[52:53], v[62:63], off offset:1024
	s_wait_xcnt 0x0
	s_or_b32 exec_lo, exec_lo, s57
	s_delay_alu instid0(SALU_CYCLE_1)
	s_mov_b32 s57, exec_lo
	v_cmpx_lt_u32_e64 v106, v137
	s_cbranch_execz .LBB523_205
.LBB523_271:                            ;   in Loop: Header=BB523_104 Depth=2
	global_load_b64 v[50:51], v[62:63], off offset:1280
	s_wait_xcnt 0x0
	s_or_b32 exec_lo, exec_lo, s57
	s_delay_alu instid0(SALU_CYCLE_1)
	s_mov_b32 s57, exec_lo
	v_cmpx_lt_u32_e64 v107, v137
	s_cbranch_execz .LBB523_206
.LBB523_272:                            ;   in Loop: Header=BB523_104 Depth=2
	global_load_b64 v[48:49], v[62:63], off offset:1536
	s_wait_xcnt 0x0
	s_or_b32 exec_lo, exec_lo, s57
	s_delay_alu instid0(SALU_CYCLE_1)
	s_mov_b32 s57, exec_lo
	v_cmpx_lt_u32_e64 v108, v137
	s_cbranch_execz .LBB523_207
.LBB523_273:                            ;   in Loop: Header=BB523_104 Depth=2
	global_load_b64 v[46:47], v[62:63], off offset:1792
	s_wait_xcnt 0x0
	s_or_b32 exec_lo, exec_lo, s57
	s_delay_alu instid0(SALU_CYCLE_1)
	s_mov_b32 s57, exec_lo
	v_cmpx_lt_u32_e64 v109, v137
	s_cbranch_execz .LBB523_208
.LBB523_274:                            ;   in Loop: Header=BB523_104 Depth=2
	global_load_b64 v[44:45], v[62:63], off offset:2048
	s_wait_xcnt 0x0
	s_or_b32 exec_lo, exec_lo, s57
	s_delay_alu instid0(SALU_CYCLE_1)
	s_mov_b32 s57, exec_lo
	v_cmpx_lt_u32_e64 v110, v137
	s_cbranch_execz .LBB523_209
.LBB523_275:                            ;   in Loop: Header=BB523_104 Depth=2
	global_load_b64 v[42:43], v[62:63], off offset:2304
	s_wait_xcnt 0x0
	s_or_b32 exec_lo, exec_lo, s57
	s_delay_alu instid0(SALU_CYCLE_1)
	s_mov_b32 s57, exec_lo
	v_cmpx_lt_u32_e64 v111, v137
	s_cbranch_execz .LBB523_210
.LBB523_276:                            ;   in Loop: Header=BB523_104 Depth=2
	global_load_b64 v[40:41], v[62:63], off offset:2560
	s_wait_xcnt 0x0
	s_or_b32 exec_lo, exec_lo, s57
	s_delay_alu instid0(SALU_CYCLE_1)
	s_mov_b32 s57, exec_lo
	v_cmpx_lt_u32_e64 v112, v137
	s_cbranch_execz .LBB523_211
.LBB523_277:                            ;   in Loop: Header=BB523_104 Depth=2
	global_load_b64 v[38:39], v[62:63], off offset:2816
	s_wait_xcnt 0x0
	s_or_b32 exec_lo, exec_lo, s57
	s_delay_alu instid0(SALU_CYCLE_1)
	s_mov_b32 s57, exec_lo
	v_cmpx_lt_u32_e64 v113, v137
	s_cbranch_execz .LBB523_212
.LBB523_278:                            ;   in Loop: Header=BB523_104 Depth=2
	global_load_b64 v[36:37], v[62:63], off offset:3072
	s_wait_xcnt 0x0
	s_or_b32 exec_lo, exec_lo, s57
	s_delay_alu instid0(SALU_CYCLE_1)
	s_mov_b32 s57, exec_lo
	v_cmpx_lt_u32_e64 v114, v137
	s_cbranch_execz .LBB523_213
.LBB523_279:                            ;   in Loop: Header=BB523_104 Depth=2
	global_load_b64 v[34:35], v[62:63], off offset:3328
	s_wait_xcnt 0x0
	s_or_b32 exec_lo, exec_lo, s57
	s_delay_alu instid0(SALU_CYCLE_1)
	s_mov_b32 s57, exec_lo
	v_cmpx_lt_u32_e64 v115, v137
	s_cbranch_execz .LBB523_214
.LBB523_280:                            ;   in Loop: Header=BB523_104 Depth=2
	global_load_b64 v[32:33], v[62:63], off offset:3584
	s_wait_xcnt 0x0
	s_or_b32 exec_lo, exec_lo, s57
	s_delay_alu instid0(SALU_CYCLE_1)
	s_mov_b32 s57, exec_lo
	v_cmpx_lt_u32_e64 v116, v137
	s_cbranch_execz .LBB523_215
.LBB523_281:                            ;   in Loop: Header=BB523_104 Depth=2
	global_load_b64 v[30:31], v[62:63], off offset:3840
	s_wait_xcnt 0x0
	s_or_b32 exec_lo, exec_lo, s57
	s_and_saveexec_b32 s30, vcc_lo
	s_cbranch_execz .LBB523_216
.LBB523_282:                            ;   in Loop: Header=BB523_104 Depth=2
	ds_load_b32 v62, v93 offset:1024
	s_wait_dscnt 0x0
	v_lshrrev_b32_e32 v62, s43, v62
	s_delay_alu instid0(VALU_DEP_1)
	v_and_b32_e32 v136, s48, v62
	s_or_b32 exec_lo, exec_lo, s30
	s_and_saveexec_b32 s30, s15
	s_cbranch_execz .LBB523_217
.LBB523_283:                            ;   in Loop: Header=BB523_104 Depth=2
	ds_load_b32 v62, v93 offset:2048
	s_wait_dscnt 0x0
	v_lshrrev_b32_e32 v62, s43, v62
	s_delay_alu instid0(VALU_DEP_1)
	v_and_b32_e32 v135, s48, v62
	s_or_b32 exec_lo, exec_lo, s30
	s_and_saveexec_b32 s30, s16
	s_cbranch_execz .LBB523_218
.LBB523_284:                            ;   in Loop: Header=BB523_104 Depth=2
	ds_load_b32 v62, v93 offset:3072
	s_wait_dscnt 0x0
	v_lshrrev_b32_e32 v62, s43, v62
	s_delay_alu instid0(VALU_DEP_1)
	v_and_b32_e32 v134, s48, v62
	s_or_b32 exec_lo, exec_lo, s30
	s_and_saveexec_b32 s30, s17
	s_cbranch_execz .LBB523_219
.LBB523_285:                            ;   in Loop: Header=BB523_104 Depth=2
	ds_load_b32 v62, v93 offset:4096
	s_wait_dscnt 0x0
	v_lshrrev_b32_e32 v62, s43, v62
	s_delay_alu instid0(VALU_DEP_1)
	v_and_b32_e32 v133, s48, v62
	s_or_b32 exec_lo, exec_lo, s30
	s_and_saveexec_b32 s30, s18
	s_cbranch_execz .LBB523_220
.LBB523_286:                            ;   in Loop: Header=BB523_104 Depth=2
	ds_load_b32 v62, v93 offset:5120
	s_wait_dscnt 0x0
	v_lshrrev_b32_e32 v62, s43, v62
	s_delay_alu instid0(VALU_DEP_1)
	v_and_b32_e32 v132, s48, v62
	s_or_b32 exec_lo, exec_lo, s30
	s_and_saveexec_b32 s30, s19
	s_cbranch_execz .LBB523_221
.LBB523_287:                            ;   in Loop: Header=BB523_104 Depth=2
	ds_load_b32 v62, v93 offset:6144
	s_wait_dscnt 0x0
	v_lshrrev_b32_e32 v62, s43, v62
	s_delay_alu instid0(VALU_DEP_1)
	v_and_b32_e32 v131, s48, v62
	s_or_b32 exec_lo, exec_lo, s30
	s_and_saveexec_b32 s30, s20
	s_cbranch_execz .LBB523_222
.LBB523_288:                            ;   in Loop: Header=BB523_104 Depth=2
	ds_load_b32 v62, v93 offset:7168
	s_wait_dscnt 0x0
	v_lshrrev_b32_e32 v62, s43, v62
	s_delay_alu instid0(VALU_DEP_1)
	v_and_b32_e32 v130, s48, v62
	s_or_b32 exec_lo, exec_lo, s30
	s_and_saveexec_b32 s30, s21
	s_cbranch_execz .LBB523_223
.LBB523_289:                            ;   in Loop: Header=BB523_104 Depth=2
	ds_load_b32 v62, v93 offset:8192
	s_wait_dscnt 0x0
	v_lshrrev_b32_e32 v62, s43, v62
	s_delay_alu instid0(VALU_DEP_1)
	v_and_b32_e32 v129, s48, v62
	s_or_b32 exec_lo, exec_lo, s30
	s_and_saveexec_b32 s30, s22
	s_cbranch_execz .LBB523_224
.LBB523_290:                            ;   in Loop: Header=BB523_104 Depth=2
	ds_load_b32 v62, v93 offset:9216
	s_wait_dscnt 0x0
	v_lshrrev_b32_e32 v62, s43, v62
	s_delay_alu instid0(VALU_DEP_1)
	v_and_b32_e32 v128, s48, v62
	s_or_b32 exec_lo, exec_lo, s30
	s_and_saveexec_b32 s30, s23
	s_cbranch_execz .LBB523_225
.LBB523_291:                            ;   in Loop: Header=BB523_104 Depth=2
	ds_load_b32 v62, v93 offset:10240
	s_wait_dscnt 0x0
	v_lshrrev_b32_e32 v62, s43, v62
	s_delay_alu instid0(VALU_DEP_1)
	v_and_b32_e32 v127, s48, v62
	s_or_b32 exec_lo, exec_lo, s30
	s_and_saveexec_b32 s30, s24
	s_cbranch_execz .LBB523_226
.LBB523_292:                            ;   in Loop: Header=BB523_104 Depth=2
	ds_load_b32 v62, v93 offset:11264
	s_wait_dscnt 0x0
	v_lshrrev_b32_e32 v62, s43, v62
	s_delay_alu instid0(VALU_DEP_1)
	v_and_b32_e32 v126, s48, v62
	s_or_b32 exec_lo, exec_lo, s30
	s_and_saveexec_b32 s30, s25
	s_cbranch_execz .LBB523_227
.LBB523_293:                            ;   in Loop: Header=BB523_104 Depth=2
	ds_load_b32 v62, v93 offset:12288
	s_wait_dscnt 0x0
	v_lshrrev_b32_e32 v62, s43, v62
	s_delay_alu instid0(VALU_DEP_1)
	v_and_b32_e32 v125, s48, v62
	s_or_b32 exec_lo, exec_lo, s30
	s_and_saveexec_b32 s30, s26
	s_cbranch_execz .LBB523_228
.LBB523_294:                            ;   in Loop: Header=BB523_104 Depth=2
	ds_load_b32 v62, v93 offset:13312
	s_wait_dscnt 0x0
	v_lshrrev_b32_e32 v62, s43, v62
	s_delay_alu instid0(VALU_DEP_1)
	v_and_b32_e32 v124, s48, v62
	s_or_b32 exec_lo, exec_lo, s30
	s_and_saveexec_b32 s30, s27
	s_cbranch_execz .LBB523_229
.LBB523_295:                            ;   in Loop: Header=BB523_104 Depth=2
	ds_load_b32 v62, v93 offset:14336
	s_wait_dscnt 0x0
	v_lshrrev_b32_e32 v62, s43, v62
	s_delay_alu instid0(VALU_DEP_1)
	v_and_b32_e32 v123, s48, v62
	s_or_b32 exec_lo, exec_lo, s30
	s_and_saveexec_b32 s30, s28
	s_cbranch_execz .LBB523_230
.LBB523_296:                            ;   in Loop: Header=BB523_104 Depth=2
	ds_load_b32 v62, v93 offset:15360
	s_wait_dscnt 0x0
	v_lshrrev_b32_e32 v62, s43, v62
	s_delay_alu instid0(VALU_DEP_1)
	v_and_b32_e32 v122, s48, v62
	s_or_b32 exec_lo, exec_lo, s30
	s_and_saveexec_b32 s30, s29
	s_cbranch_execnz .LBB523_231
	s_branch .LBB523_232
.LBB523_297:                            ;   in Loop: Header=BB523_104 Depth=2
	v_lshlrev_b32_e32 v62, 2, v136
	v_add_nc_u32_e32 v63, v93, v4
	ds_load_b32 v65, v62
	ds_load_b64 v[62:63], v63 offset:1024
	s_wait_dscnt 0x1
	v_add_nc_u32_e32 v65, v65, v2
	s_wait_dscnt 0x0
	global_store_b64 v65, v[62:63], s[44:45] scale_offset
	s_wait_xcnt 0x0
	s_or_b32 exec_lo, exec_lo, s30
	s_and_saveexec_b32 s30, s15
	s_cbranch_execz .LBB523_234
.LBB523_298:                            ;   in Loop: Header=BB523_104 Depth=2
	v_dual_lshlrev_b32 v62, 2, v135 :: v_dual_add_nc_u32 v63, v93, v4
	ds_load_b32 v65, v62
	ds_load_b64 v[62:63], v63 offset:3072
	s_wait_dscnt 0x1
	v_add_nc_u32_e32 v65, v65, v3
	s_wait_dscnt 0x0
	global_store_b64 v65, v[62:63], s[44:45] scale_offset
	s_wait_xcnt 0x0
	s_or_b32 exec_lo, exec_lo, s30
	s_and_saveexec_b32 s15, s16
	s_cbranch_execz .LBB523_235
.LBB523_299:                            ;   in Loop: Header=BB523_104 Depth=2
	v_dual_lshlrev_b32 v62, 2, v134 :: v_dual_add_nc_u32 v63, v93, v4
	ds_load_b32 v65, v62
	ds_load_b64 v[62:63], v63 offset:5120
	s_wait_dscnt 0x1
	v_add_nc_u32_e32 v65, v65, v70
	s_wait_dscnt 0x0
	global_store_b64 v65, v[62:63], s[44:45] scale_offset
	s_wait_xcnt 0x0
	s_or_b32 exec_lo, exec_lo, s15
	s_and_saveexec_b32 s15, s17
	s_cbranch_execz .LBB523_236
.LBB523_300:                            ;   in Loop: Header=BB523_104 Depth=2
	v_dual_lshlrev_b32 v62, 2, v133 :: v_dual_add_nc_u32 v63, v93, v4
	ds_load_b32 v65, v62
	ds_load_b64 v[62:63], v63 offset:7168
	s_wait_dscnt 0x1
	v_add_nc_u32_e32 v65, v65, v71
	s_wait_dscnt 0x0
	global_store_b64 v65, v[62:63], s[44:45] scale_offset
	s_wait_xcnt 0x0
	s_or_b32 exec_lo, exec_lo, s15
	s_and_saveexec_b32 s15, s18
	s_cbranch_execz .LBB523_237
.LBB523_301:                            ;   in Loop: Header=BB523_104 Depth=2
	v_lshlrev_b32_e32 v62, 2, v132
	v_add_nc_u32_e32 v63, v93, v4
	ds_load_b32 v65, v62
	ds_load_b64 v[62:63], v63 offset:9216
	s_wait_dscnt 0x1
	v_add_nc_u32_e32 v65, v65, v72
	s_wait_dscnt 0x0
	global_store_b64 v65, v[62:63], s[44:45] scale_offset
	s_wait_xcnt 0x0
	s_or_b32 exec_lo, exec_lo, s15
	s_and_saveexec_b32 s15, s19
	s_cbranch_execz .LBB523_238
.LBB523_302:                            ;   in Loop: Header=BB523_104 Depth=2
	v_dual_lshlrev_b32 v62, 2, v131 :: v_dual_add_nc_u32 v63, v93, v4
	ds_load_b32 v65, v62
	ds_load_b64 v[62:63], v63 offset:11264
	s_wait_dscnt 0x1
	v_add_nc_u32_e32 v65, v65, v73
	s_wait_dscnt 0x0
	global_store_b64 v65, v[62:63], s[44:45] scale_offset
	s_wait_xcnt 0x0
	s_or_b32 exec_lo, exec_lo, s15
	s_and_saveexec_b32 s15, s20
	s_cbranch_execz .LBB523_239
.LBB523_303:                            ;   in Loop: Header=BB523_104 Depth=2
	v_dual_lshlrev_b32 v62, 2, v130 :: v_dual_add_nc_u32 v63, v93, v4
	ds_load_b32 v65, v62
	ds_load_b64 v[62:63], v63 offset:13312
	s_wait_dscnt 0x1
	v_add_nc_u32_e32 v65, v65, v74
	s_wait_dscnt 0x0
	global_store_b64 v65, v[62:63], s[44:45] scale_offset
	s_wait_xcnt 0x0
	s_or_b32 exec_lo, exec_lo, s15
	s_and_saveexec_b32 s15, s21
	s_cbranch_execz .LBB523_240
.LBB523_304:                            ;   in Loop: Header=BB523_104 Depth=2
	v_dual_lshlrev_b32 v62, 2, v129 :: v_dual_add_nc_u32 v63, v93, v4
	ds_load_b32 v65, v62
	ds_load_b64 v[62:63], v63 offset:15360
	s_wait_dscnt 0x1
	v_add_nc_u32_e32 v65, v65, v75
	s_wait_dscnt 0x0
	global_store_b64 v65, v[62:63], s[44:45] scale_offset
	s_wait_xcnt 0x0
	s_or_b32 exec_lo, exec_lo, s15
	s_and_saveexec_b32 s15, s22
	s_cbranch_execz .LBB523_241
.LBB523_305:                            ;   in Loop: Header=BB523_104 Depth=2
	v_lshlrev_b32_e32 v62, 2, v128
	v_add_nc_u32_e32 v63, v93, v4
	ds_load_b32 v65, v62
	ds_load_b64 v[62:63], v63 offset:17408
	s_wait_dscnt 0x1
	v_add_nc_u32_e32 v65, v65, v76
	s_wait_dscnt 0x0
	global_store_b64 v65, v[62:63], s[44:45] scale_offset
	s_wait_xcnt 0x0
	s_or_b32 exec_lo, exec_lo, s15
	s_and_saveexec_b32 s15, s23
	s_cbranch_execz .LBB523_242
.LBB523_306:                            ;   in Loop: Header=BB523_104 Depth=2
	v_dual_lshlrev_b32 v62, 2, v127 :: v_dual_add_nc_u32 v63, v93, v4
	ds_load_b32 v65, v62
	ds_load_b64 v[62:63], v63 offset:19456
	s_wait_dscnt 0x1
	v_add_nc_u32_e32 v65, v65, v77
	s_wait_dscnt 0x0
	global_store_b64 v65, v[62:63], s[44:45] scale_offset
	s_wait_xcnt 0x0
	s_or_b32 exec_lo, exec_lo, s15
	s_and_saveexec_b32 s15, s24
	s_cbranch_execz .LBB523_243
.LBB523_307:                            ;   in Loop: Header=BB523_104 Depth=2
	v_dual_lshlrev_b32 v62, 2, v126 :: v_dual_add_nc_u32 v63, v93, v4
	ds_load_b32 v65, v62
	ds_load_b64 v[62:63], v63 offset:21504
	s_wait_dscnt 0x1
	v_add_nc_u32_e32 v65, v65, v78
	s_wait_dscnt 0x0
	global_store_b64 v65, v[62:63], s[44:45] scale_offset
	s_wait_xcnt 0x0
	s_or_b32 exec_lo, exec_lo, s15
	s_and_saveexec_b32 s15, s25
	s_cbranch_execz .LBB523_244
.LBB523_308:                            ;   in Loop: Header=BB523_104 Depth=2
	v_dual_lshlrev_b32 v62, 2, v125 :: v_dual_add_nc_u32 v63, v93, v4
	ds_load_b32 v65, v62
	ds_load_b64 v[62:63], v63 offset:23552
	s_wait_dscnt 0x1
	v_add_nc_u32_e32 v65, v65, v79
	s_wait_dscnt 0x0
	global_store_b64 v65, v[62:63], s[44:45] scale_offset
	s_wait_xcnt 0x0
	s_or_b32 exec_lo, exec_lo, s15
	s_and_saveexec_b32 s15, s26
	s_cbranch_execz .LBB523_245
.LBB523_309:                            ;   in Loop: Header=BB523_104 Depth=2
	v_lshlrev_b32_e32 v62, 2, v124
	v_add_nc_u32_e32 v63, v93, v4
	ds_load_b32 v65, v62
	ds_load_b64 v[62:63], v63 offset:25600
	s_wait_dscnt 0x1
	v_add_nc_u32_e32 v65, v65, v80
	s_wait_dscnt 0x0
	global_store_b64 v65, v[62:63], s[44:45] scale_offset
	s_wait_xcnt 0x0
	s_or_b32 exec_lo, exec_lo, s15
	s_and_saveexec_b32 s15, s27
	s_cbranch_execz .LBB523_246
.LBB523_310:                            ;   in Loop: Header=BB523_104 Depth=2
	v_dual_lshlrev_b32 v62, 2, v123 :: v_dual_add_nc_u32 v63, v93, v4
	ds_load_b32 v65, v62
	ds_load_b64 v[62:63], v63 offset:27648
	s_wait_dscnt 0x1
	v_add_nc_u32_e32 v65, v65, v81
	s_wait_dscnt 0x0
	global_store_b64 v65, v[62:63], s[44:45] scale_offset
	s_wait_xcnt 0x0
	s_or_b32 exec_lo, exec_lo, s15
	s_and_saveexec_b32 s15, s28
	s_cbranch_execz .LBB523_247
.LBB523_311:                            ;   in Loop: Header=BB523_104 Depth=2
	v_dual_lshlrev_b32 v62, 2, v122 :: v_dual_add_nc_u32 v63, v93, v4
	ds_load_b32 v65, v62
	ds_load_b64 v[62:63], v63 offset:29696
	s_wait_dscnt 0x1
	v_add_nc_u32_e32 v65, v65, v82
	s_wait_dscnt 0x0
	global_store_b64 v65, v[62:63], s[44:45] scale_offset
	s_wait_xcnt 0x0
	s_or_b32 exec_lo, exec_lo, s15
	s_and_saveexec_b32 s15, s29
	s_cbranch_execnz .LBB523_248
	s_branch .LBB523_249
.LBB523_312:                            ;   in Loop: Header=BB523_20 Depth=1
	s_wait_dscnt 0x0
	s_barrier_signal -1
	s_mov_b32 s7, 0
	s_barrier_wait -1
.LBB523_313:                            ;   in Loop: Header=BB523_20 Depth=1
	s_and_b32 vcc_lo, exec_lo, s7
	s_cbranch_vccz .LBB523_605
; %bb.314:                              ;   in Loop: Header=BB523_20 Depth=1
	s_mov_b32 s7, s54
	s_mov_b32 s30, s52
	s_barrier_signal -1
	s_barrier_wait -1
                                        ; implicit-def: $vgpr25
                                        ; implicit-def: $vgpr26
                                        ; implicit-def: $vgpr27
                                        ; implicit-def: $vgpr28
                                        ; implicit-def: $vgpr29
                                        ; implicit-def: $vgpr30
                                        ; implicit-def: $vgpr31
                                        ; implicit-def: $vgpr32
                                        ; implicit-def: $vgpr33
                                        ; implicit-def: $vgpr34
                                        ; implicit-def: $vgpr35
                                        ; implicit-def: $vgpr36
                                        ; implicit-def: $vgpr37
                                        ; implicit-def: $vgpr38
                                        ; implicit-def: $vgpr39
                                        ; implicit-def: $vgpr40
	s_branch .LBB523_316
.LBB523_315:                            ;   in Loop: Header=BB523_316 Depth=2
	s_or_b32 exec_lo, exec_lo, s8
	s_addk_co_i32 s7, 0xf000
	s_cmp_ge_u32 s10, s51
	s_mov_b32 s30, s10
	s_cbranch_scc1 .LBB523_384
.LBB523_316:                            ;   Parent Loop BB523_20 Depth=1
                                        ; =>  This Inner Loop Header: Depth=2
	s_add_co_i32 s10, s30, 0x1000
	s_mov_b32 s8, -1
	s_cmp_gt_u32 s10, s51
                                        ; implicit-def: $vgpr41
                                        ; implicit-def: $vgpr42
                                        ; implicit-def: $vgpr43
                                        ; implicit-def: $vgpr44
                                        ; implicit-def: $vgpr45
                                        ; implicit-def: $vgpr46
                                        ; implicit-def: $vgpr47
                                        ; implicit-def: $vgpr48
                                        ; implicit-def: $vgpr49
                                        ; implicit-def: $vgpr50
                                        ; implicit-def: $vgpr51
                                        ; implicit-def: $vgpr52
                                        ; implicit-def: $vgpr53
                                        ; implicit-def: $vgpr54
                                        ; implicit-def: $vgpr55
                                        ; implicit-def: $vgpr56
	s_cbranch_scc1 .LBB523_318
; %bb.317:                              ;   in Loop: Header=BB523_316 Depth=2
	v_lshl_add_u64 v[56:57], s[30:31], 2, v[20:21]
	s_mov_b32 s8, 0
	s_clause 0xf
	global_load_b32 v41, v[56:57], off
	global_load_b32 v42, v[56:57], off offset:1024
	global_load_b32 v43, v[56:57], off offset:2048
	;; [unrolled: 1-line block ×15, first 2 shown]
.LBB523_318:                            ;   in Loop: Header=BB523_316 Depth=2
	s_and_not1_b32 vcc_lo, exec_lo, s8
	s_movk_i32 s8, 0x1000
	s_cbranch_vccnz .LBB523_337
; %bb.319:                              ;   in Loop: Header=BB523_316 Depth=2
	s_lshl_b64 s[8:9], s[30:31], 2
	s_mov_b32 s11, exec_lo
	s_add_nc_u64 s[8:9], s[38:39], s[8:9]
	s_wait_xcnt 0x0
	v_cmpx_gt_u32_e64 s7, v2
	s_cbranch_execnz .LBB523_369
; %bb.320:                              ;   in Loop: Header=BB523_316 Depth=2
	s_or_b32 exec_lo, exec_lo, s11
	s_delay_alu instid0(SALU_CYCLE_1)
	s_mov_b32 s11, exec_lo
	v_cmpx_gt_u32_e64 s7, v3
	s_cbranch_execnz .LBB523_370
.LBB523_321:                            ;   in Loop: Header=BB523_316 Depth=2
	s_or_b32 exec_lo, exec_lo, s11
	s_delay_alu instid0(SALU_CYCLE_1)
	s_mov_b32 s11, exec_lo
	v_cmpx_gt_u32_e64 s7, v70
	s_cbranch_execnz .LBB523_371
.LBB523_322:                            ;   in Loop: Header=BB523_316 Depth=2
	s_or_b32 exec_lo, exec_lo, s11
	s_delay_alu instid0(SALU_CYCLE_1)
	s_mov_b32 s11, exec_lo
	v_cmpx_gt_u32_e64 s7, v71
	s_cbranch_execnz .LBB523_372
.LBB523_323:                            ;   in Loop: Header=BB523_316 Depth=2
	s_or_b32 exec_lo, exec_lo, s11
	s_delay_alu instid0(SALU_CYCLE_1)
	s_mov_b32 s11, exec_lo
	v_cmpx_gt_u32_e64 s7, v72
	s_cbranch_execnz .LBB523_373
.LBB523_324:                            ;   in Loop: Header=BB523_316 Depth=2
	s_or_b32 exec_lo, exec_lo, s11
	s_delay_alu instid0(SALU_CYCLE_1)
	s_mov_b32 s11, exec_lo
	v_cmpx_gt_u32_e64 s7, v73
	s_cbranch_execnz .LBB523_374
.LBB523_325:                            ;   in Loop: Header=BB523_316 Depth=2
	s_or_b32 exec_lo, exec_lo, s11
	s_delay_alu instid0(SALU_CYCLE_1)
	s_mov_b32 s11, exec_lo
	v_cmpx_gt_u32_e64 s7, v74
	s_cbranch_execnz .LBB523_375
.LBB523_326:                            ;   in Loop: Header=BB523_316 Depth=2
	s_or_b32 exec_lo, exec_lo, s11
	s_delay_alu instid0(SALU_CYCLE_1)
	s_mov_b32 s11, exec_lo
	v_cmpx_gt_u32_e64 s7, v75
	s_cbranch_execnz .LBB523_376
.LBB523_327:                            ;   in Loop: Header=BB523_316 Depth=2
	s_or_b32 exec_lo, exec_lo, s11
	s_delay_alu instid0(SALU_CYCLE_1)
	s_mov_b32 s11, exec_lo
	v_cmpx_gt_u32_e64 s7, v76
	s_cbranch_execnz .LBB523_377
.LBB523_328:                            ;   in Loop: Header=BB523_316 Depth=2
	s_or_b32 exec_lo, exec_lo, s11
	s_delay_alu instid0(SALU_CYCLE_1)
	s_mov_b32 s11, exec_lo
	v_cmpx_gt_u32_e64 s7, v77
	s_cbranch_execnz .LBB523_378
.LBB523_329:                            ;   in Loop: Header=BB523_316 Depth=2
	s_or_b32 exec_lo, exec_lo, s11
	s_delay_alu instid0(SALU_CYCLE_1)
	s_mov_b32 s11, exec_lo
	v_cmpx_gt_u32_e64 s7, v78
	s_cbranch_execnz .LBB523_379
.LBB523_330:                            ;   in Loop: Header=BB523_316 Depth=2
	s_or_b32 exec_lo, exec_lo, s11
	s_delay_alu instid0(SALU_CYCLE_1)
	s_mov_b32 s11, exec_lo
	v_cmpx_gt_u32_e64 s7, v79
	s_cbranch_execnz .LBB523_380
.LBB523_331:                            ;   in Loop: Header=BB523_316 Depth=2
	s_or_b32 exec_lo, exec_lo, s11
	s_delay_alu instid0(SALU_CYCLE_1)
	s_mov_b32 s11, exec_lo
	v_cmpx_gt_u32_e64 s7, v80
	s_cbranch_execnz .LBB523_381
.LBB523_332:                            ;   in Loop: Header=BB523_316 Depth=2
	s_or_b32 exec_lo, exec_lo, s11
	s_delay_alu instid0(SALU_CYCLE_1)
	s_mov_b32 s11, exec_lo
	v_cmpx_gt_u32_e64 s7, v81
	s_cbranch_execnz .LBB523_382
.LBB523_333:                            ;   in Loop: Header=BB523_316 Depth=2
	s_or_b32 exec_lo, exec_lo, s11
	s_delay_alu instid0(SALU_CYCLE_1)
	s_mov_b32 s11, exec_lo
	v_cmpx_gt_u32_e64 s7, v82
	s_cbranch_execnz .LBB523_383
.LBB523_334:                            ;   in Loop: Header=BB523_316 Depth=2
	s_or_b32 exec_lo, exec_lo, s11
	s_delay_alu instid0(SALU_CYCLE_1)
	s_mov_b32 s11, exec_lo
	v_cmpx_gt_u32_e64 s7, v83
	s_cbranch_execz .LBB523_336
.LBB523_335:                            ;   in Loop: Header=BB523_316 Depth=2
	global_load_b32 v25, v2, s[8:9] offset:15360 scale_offset
.LBB523_336:                            ;   in Loop: Header=BB523_316 Depth=2
	s_wait_xcnt 0x0
	s_or_b32 exec_lo, exec_lo, s11
	s_wait_loadcnt 0x0
	v_dual_mov_b32 v41, v40 :: v_dual_mov_b32 v42, v39
	v_dual_mov_b32 v43, v38 :: v_dual_mov_b32 v44, v37
	;; [unrolled: 1-line block ×8, first 2 shown]
	s_mov_b32 s8, s7
.LBB523_337:                            ;   in Loop: Header=BB523_316 Depth=2
	s_wait_loadcnt 0x0
	s_delay_alu instid0(VALU_DEP_1)
	v_dual_mov_b32 v25, v56 :: v_dual_mov_b32 v26, v55
	v_dual_mov_b32 v27, v54 :: v_dual_mov_b32 v28, v53
	;; [unrolled: 1-line block ×8, first 2 shown]
	s_mov_b32 s9, exec_lo
	s_wait_xcnt 0x0
	v_cmpx_gt_u32_e64 s8, v2
	s_cbranch_execnz .LBB523_353
; %bb.338:                              ;   in Loop: Header=BB523_316 Depth=2
	s_or_b32 exec_lo, exec_lo, s9
	s_delay_alu instid0(SALU_CYCLE_1)
	s_mov_b32 s9, exec_lo
	v_cmpx_gt_u32_e64 s8, v3
	s_cbranch_execnz .LBB523_354
.LBB523_339:                            ;   in Loop: Header=BB523_316 Depth=2
	s_or_b32 exec_lo, exec_lo, s9
	s_delay_alu instid0(SALU_CYCLE_1)
	s_mov_b32 s9, exec_lo
	v_cmpx_gt_u32_e64 s8, v70
	s_cbranch_execnz .LBB523_355
.LBB523_340:                            ;   in Loop: Header=BB523_316 Depth=2
	s_or_b32 exec_lo, exec_lo, s9
	s_delay_alu instid0(SALU_CYCLE_1)
	s_mov_b32 s9, exec_lo
	v_cmpx_gt_u32_e64 s8, v71
	s_cbranch_execnz .LBB523_356
.LBB523_341:                            ;   in Loop: Header=BB523_316 Depth=2
	s_or_b32 exec_lo, exec_lo, s9
	s_delay_alu instid0(SALU_CYCLE_1)
	s_mov_b32 s9, exec_lo
	v_cmpx_gt_u32_e64 s8, v72
	s_cbranch_execnz .LBB523_357
.LBB523_342:                            ;   in Loop: Header=BB523_316 Depth=2
	s_or_b32 exec_lo, exec_lo, s9
	s_delay_alu instid0(SALU_CYCLE_1)
	s_mov_b32 s9, exec_lo
	v_cmpx_gt_u32_e64 s8, v73
	s_cbranch_execnz .LBB523_358
.LBB523_343:                            ;   in Loop: Header=BB523_316 Depth=2
	s_or_b32 exec_lo, exec_lo, s9
	s_delay_alu instid0(SALU_CYCLE_1)
	s_mov_b32 s9, exec_lo
	v_cmpx_gt_u32_e64 s8, v74
	s_cbranch_execnz .LBB523_359
.LBB523_344:                            ;   in Loop: Header=BB523_316 Depth=2
	s_or_b32 exec_lo, exec_lo, s9
	s_delay_alu instid0(SALU_CYCLE_1)
	s_mov_b32 s9, exec_lo
	v_cmpx_gt_u32_e64 s8, v75
	s_cbranch_execnz .LBB523_360
.LBB523_345:                            ;   in Loop: Header=BB523_316 Depth=2
	s_or_b32 exec_lo, exec_lo, s9
	s_delay_alu instid0(SALU_CYCLE_1)
	s_mov_b32 s9, exec_lo
	v_cmpx_gt_u32_e64 s8, v76
	s_cbranch_execnz .LBB523_361
.LBB523_346:                            ;   in Loop: Header=BB523_316 Depth=2
	s_or_b32 exec_lo, exec_lo, s9
	s_delay_alu instid0(SALU_CYCLE_1)
	s_mov_b32 s9, exec_lo
	v_cmpx_gt_u32_e64 s8, v77
	s_cbranch_execnz .LBB523_362
.LBB523_347:                            ;   in Loop: Header=BB523_316 Depth=2
	s_or_b32 exec_lo, exec_lo, s9
	s_delay_alu instid0(SALU_CYCLE_1)
	s_mov_b32 s9, exec_lo
	v_cmpx_gt_u32_e64 s8, v78
	s_cbranch_execnz .LBB523_363
.LBB523_348:                            ;   in Loop: Header=BB523_316 Depth=2
	s_or_b32 exec_lo, exec_lo, s9
	s_delay_alu instid0(SALU_CYCLE_1)
	s_mov_b32 s9, exec_lo
	v_cmpx_gt_u32_e64 s8, v79
	s_cbranch_execnz .LBB523_364
.LBB523_349:                            ;   in Loop: Header=BB523_316 Depth=2
	s_or_b32 exec_lo, exec_lo, s9
	s_delay_alu instid0(SALU_CYCLE_1)
	s_mov_b32 s9, exec_lo
	v_cmpx_gt_u32_e64 s8, v80
	s_cbranch_execnz .LBB523_365
.LBB523_350:                            ;   in Loop: Header=BB523_316 Depth=2
	s_or_b32 exec_lo, exec_lo, s9
	s_delay_alu instid0(SALU_CYCLE_1)
	s_mov_b32 s9, exec_lo
	v_cmpx_gt_u32_e64 s8, v81
	s_cbranch_execnz .LBB523_366
.LBB523_351:                            ;   in Loop: Header=BB523_316 Depth=2
	s_or_b32 exec_lo, exec_lo, s9
	s_delay_alu instid0(SALU_CYCLE_1)
	s_mov_b32 s9, exec_lo
	v_cmpx_gt_u32_e64 s8, v82
	s_cbranch_execnz .LBB523_367
.LBB523_352:                            ;   in Loop: Header=BB523_316 Depth=2
	s_or_b32 exec_lo, exec_lo, s9
	v_cmp_gt_u32_e32 vcc_lo, s8, v83
	s_and_saveexec_b32 s8, vcc_lo
	s_cbranch_execz .LBB523_315
	s_branch .LBB523_368
.LBB523_353:                            ;   in Loop: Header=BB523_316 Depth=2
	v_xor_b32_e32 v41, 0x7fffffff, v40
	s_delay_alu instid0(VALU_DEP_1) | instskip(NEXT) | instid1(VALU_DEP_1)
	v_lshrrev_b32_e32 v41, s43, v41
	v_and_b32_e32 v41, s48, v41
	s_delay_alu instid0(VALU_DEP_1) | instskip(SKIP_2) | instid1(SALU_CYCLE_1)
	v_lshl_or_b32 v41, v41, 4, v84
	ds_add_u32 v41, v95
	s_or_b32 exec_lo, exec_lo, s9
	s_mov_b32 s9, exec_lo
	v_cmpx_gt_u32_e64 s8, v3
	s_cbranch_execz .LBB523_339
.LBB523_354:                            ;   in Loop: Header=BB523_316 Depth=2
	v_xor_b32_e32 v41, 0x7fffffff, v39
	s_delay_alu instid0(VALU_DEP_1) | instskip(NEXT) | instid1(VALU_DEP_1)
	v_lshrrev_b32_e32 v41, s43, v41
	v_and_b32_e32 v41, s48, v41
	s_delay_alu instid0(VALU_DEP_1) | instskip(SKIP_2) | instid1(SALU_CYCLE_1)
	v_lshl_or_b32 v41, v41, 4, v84
	ds_add_u32 v41, v95
	s_or_b32 exec_lo, exec_lo, s9
	s_mov_b32 s9, exec_lo
	v_cmpx_gt_u32_e64 s8, v70
	s_cbranch_execz .LBB523_340
.LBB523_355:                            ;   in Loop: Header=BB523_316 Depth=2
	v_xor_b32_e32 v41, 0x7fffffff, v38
	s_delay_alu instid0(VALU_DEP_1) | instskip(NEXT) | instid1(VALU_DEP_1)
	v_lshrrev_b32_e32 v41, s43, v41
	v_and_b32_e32 v41, s48, v41
	s_delay_alu instid0(VALU_DEP_1) | instskip(SKIP_2) | instid1(SALU_CYCLE_1)
	v_lshl_or_b32 v41, v41, 4, v84
	ds_add_u32 v41, v95
	s_or_b32 exec_lo, exec_lo, s9
	s_mov_b32 s9, exec_lo
	v_cmpx_gt_u32_e64 s8, v71
	s_cbranch_execz .LBB523_341
.LBB523_356:                            ;   in Loop: Header=BB523_316 Depth=2
	v_xor_b32_e32 v41, 0x7fffffff, v37
	s_delay_alu instid0(VALU_DEP_1) | instskip(NEXT) | instid1(VALU_DEP_1)
	v_lshrrev_b32_e32 v41, s43, v41
	v_and_b32_e32 v41, s48, v41
	s_delay_alu instid0(VALU_DEP_1) | instskip(SKIP_2) | instid1(SALU_CYCLE_1)
	v_lshl_or_b32 v41, v41, 4, v84
	ds_add_u32 v41, v95
	s_or_b32 exec_lo, exec_lo, s9
	s_mov_b32 s9, exec_lo
	v_cmpx_gt_u32_e64 s8, v72
	s_cbranch_execz .LBB523_342
.LBB523_357:                            ;   in Loop: Header=BB523_316 Depth=2
	v_xor_b32_e32 v41, 0x7fffffff, v36
	s_delay_alu instid0(VALU_DEP_1) | instskip(NEXT) | instid1(VALU_DEP_1)
	v_lshrrev_b32_e32 v41, s43, v41
	v_and_b32_e32 v41, s48, v41
	s_delay_alu instid0(VALU_DEP_1) | instskip(SKIP_2) | instid1(SALU_CYCLE_1)
	v_lshl_or_b32 v41, v41, 4, v84
	ds_add_u32 v41, v95
	s_or_b32 exec_lo, exec_lo, s9
	s_mov_b32 s9, exec_lo
	v_cmpx_gt_u32_e64 s8, v73
	s_cbranch_execz .LBB523_343
.LBB523_358:                            ;   in Loop: Header=BB523_316 Depth=2
	v_xor_b32_e32 v41, 0x7fffffff, v35
	s_delay_alu instid0(VALU_DEP_1) | instskip(NEXT) | instid1(VALU_DEP_1)
	v_lshrrev_b32_e32 v41, s43, v41
	v_and_b32_e32 v41, s48, v41
	s_delay_alu instid0(VALU_DEP_1) | instskip(SKIP_2) | instid1(SALU_CYCLE_1)
	v_lshl_or_b32 v41, v41, 4, v84
	ds_add_u32 v41, v95
	s_or_b32 exec_lo, exec_lo, s9
	s_mov_b32 s9, exec_lo
	v_cmpx_gt_u32_e64 s8, v74
	s_cbranch_execz .LBB523_344
.LBB523_359:                            ;   in Loop: Header=BB523_316 Depth=2
	v_xor_b32_e32 v41, 0x7fffffff, v34
	s_delay_alu instid0(VALU_DEP_1) | instskip(NEXT) | instid1(VALU_DEP_1)
	v_lshrrev_b32_e32 v41, s43, v41
	v_and_b32_e32 v41, s48, v41
	s_delay_alu instid0(VALU_DEP_1) | instskip(SKIP_2) | instid1(SALU_CYCLE_1)
	v_lshl_or_b32 v41, v41, 4, v84
	ds_add_u32 v41, v95
	s_or_b32 exec_lo, exec_lo, s9
	s_mov_b32 s9, exec_lo
	v_cmpx_gt_u32_e64 s8, v75
	s_cbranch_execz .LBB523_345
.LBB523_360:                            ;   in Loop: Header=BB523_316 Depth=2
	v_xor_b32_e32 v41, 0x7fffffff, v33
	s_delay_alu instid0(VALU_DEP_1) | instskip(NEXT) | instid1(VALU_DEP_1)
	v_lshrrev_b32_e32 v41, s43, v41
	v_and_b32_e32 v41, s48, v41
	s_delay_alu instid0(VALU_DEP_1) | instskip(SKIP_2) | instid1(SALU_CYCLE_1)
	v_lshl_or_b32 v41, v41, 4, v84
	ds_add_u32 v41, v95
	s_or_b32 exec_lo, exec_lo, s9
	s_mov_b32 s9, exec_lo
	v_cmpx_gt_u32_e64 s8, v76
	s_cbranch_execz .LBB523_346
.LBB523_361:                            ;   in Loop: Header=BB523_316 Depth=2
	v_xor_b32_e32 v41, 0x7fffffff, v32
	s_delay_alu instid0(VALU_DEP_1) | instskip(NEXT) | instid1(VALU_DEP_1)
	v_lshrrev_b32_e32 v41, s43, v41
	v_and_b32_e32 v41, s48, v41
	s_delay_alu instid0(VALU_DEP_1) | instskip(SKIP_2) | instid1(SALU_CYCLE_1)
	v_lshl_or_b32 v41, v41, 4, v84
	ds_add_u32 v41, v95
	s_or_b32 exec_lo, exec_lo, s9
	s_mov_b32 s9, exec_lo
	v_cmpx_gt_u32_e64 s8, v77
	s_cbranch_execz .LBB523_347
.LBB523_362:                            ;   in Loop: Header=BB523_316 Depth=2
	v_xor_b32_e32 v41, 0x7fffffff, v31
	s_delay_alu instid0(VALU_DEP_1) | instskip(NEXT) | instid1(VALU_DEP_1)
	v_lshrrev_b32_e32 v41, s43, v41
	v_and_b32_e32 v41, s48, v41
	s_delay_alu instid0(VALU_DEP_1) | instskip(SKIP_2) | instid1(SALU_CYCLE_1)
	v_lshl_or_b32 v41, v41, 4, v84
	ds_add_u32 v41, v95
	s_or_b32 exec_lo, exec_lo, s9
	s_mov_b32 s9, exec_lo
	v_cmpx_gt_u32_e64 s8, v78
	s_cbranch_execz .LBB523_348
.LBB523_363:                            ;   in Loop: Header=BB523_316 Depth=2
	v_xor_b32_e32 v41, 0x7fffffff, v30
	s_delay_alu instid0(VALU_DEP_1) | instskip(NEXT) | instid1(VALU_DEP_1)
	v_lshrrev_b32_e32 v41, s43, v41
	v_and_b32_e32 v41, s48, v41
	s_delay_alu instid0(VALU_DEP_1) | instskip(SKIP_2) | instid1(SALU_CYCLE_1)
	v_lshl_or_b32 v41, v41, 4, v84
	ds_add_u32 v41, v95
	s_or_b32 exec_lo, exec_lo, s9
	s_mov_b32 s9, exec_lo
	v_cmpx_gt_u32_e64 s8, v79
	s_cbranch_execz .LBB523_349
.LBB523_364:                            ;   in Loop: Header=BB523_316 Depth=2
	v_xor_b32_e32 v41, 0x7fffffff, v29
	s_delay_alu instid0(VALU_DEP_1) | instskip(NEXT) | instid1(VALU_DEP_1)
	v_lshrrev_b32_e32 v41, s43, v41
	v_and_b32_e32 v41, s48, v41
	s_delay_alu instid0(VALU_DEP_1) | instskip(SKIP_2) | instid1(SALU_CYCLE_1)
	v_lshl_or_b32 v41, v41, 4, v84
	ds_add_u32 v41, v95
	s_or_b32 exec_lo, exec_lo, s9
	s_mov_b32 s9, exec_lo
	v_cmpx_gt_u32_e64 s8, v80
	s_cbranch_execz .LBB523_350
.LBB523_365:                            ;   in Loop: Header=BB523_316 Depth=2
	v_xor_b32_e32 v41, 0x7fffffff, v28
	s_delay_alu instid0(VALU_DEP_1) | instskip(NEXT) | instid1(VALU_DEP_1)
	v_lshrrev_b32_e32 v41, s43, v41
	v_and_b32_e32 v41, s48, v41
	s_delay_alu instid0(VALU_DEP_1) | instskip(SKIP_2) | instid1(SALU_CYCLE_1)
	v_lshl_or_b32 v41, v41, 4, v84
	ds_add_u32 v41, v95
	s_or_b32 exec_lo, exec_lo, s9
	s_mov_b32 s9, exec_lo
	v_cmpx_gt_u32_e64 s8, v81
	s_cbranch_execz .LBB523_351
.LBB523_366:                            ;   in Loop: Header=BB523_316 Depth=2
	v_xor_b32_e32 v41, 0x7fffffff, v27
	s_delay_alu instid0(VALU_DEP_1) | instskip(NEXT) | instid1(VALU_DEP_1)
	v_lshrrev_b32_e32 v41, s43, v41
	v_and_b32_e32 v41, s48, v41
	s_delay_alu instid0(VALU_DEP_1) | instskip(SKIP_2) | instid1(SALU_CYCLE_1)
	v_lshl_or_b32 v41, v41, 4, v84
	ds_add_u32 v41, v95
	s_or_b32 exec_lo, exec_lo, s9
	s_mov_b32 s9, exec_lo
	v_cmpx_gt_u32_e64 s8, v82
	s_cbranch_execz .LBB523_352
.LBB523_367:                            ;   in Loop: Header=BB523_316 Depth=2
	v_xor_b32_e32 v41, 0x7fffffff, v26
	s_delay_alu instid0(VALU_DEP_1) | instskip(NEXT) | instid1(VALU_DEP_1)
	v_lshrrev_b32_e32 v41, s43, v41
	v_and_b32_e32 v41, s48, v41
	s_delay_alu instid0(VALU_DEP_1)
	v_lshl_or_b32 v41, v41, 4, v84
	ds_add_u32 v41, v95
	s_or_b32 exec_lo, exec_lo, s9
	v_cmp_gt_u32_e32 vcc_lo, s8, v83
	s_and_saveexec_b32 s8, vcc_lo
	s_cbranch_execz .LBB523_315
.LBB523_368:                            ;   in Loop: Header=BB523_316 Depth=2
	v_xor_b32_e32 v41, 0x7fffffff, v25
	s_delay_alu instid0(VALU_DEP_1) | instskip(NEXT) | instid1(VALU_DEP_1)
	v_lshrrev_b32_e32 v41, s43, v41
	v_and_b32_e32 v41, s48, v41
	s_delay_alu instid0(VALU_DEP_1)
	v_lshl_or_b32 v41, v41, 4, v84
	ds_add_u32 v41, v95
	s_branch .LBB523_315
.LBB523_369:                            ;   in Loop: Header=BB523_316 Depth=2
	global_load_b32 v40, v2, s[8:9] scale_offset
	s_wait_xcnt 0x0
	s_or_b32 exec_lo, exec_lo, s11
	s_delay_alu instid0(SALU_CYCLE_1)
	s_mov_b32 s11, exec_lo
	v_cmpx_gt_u32_e64 s7, v3
	s_cbranch_execz .LBB523_321
.LBB523_370:                            ;   in Loop: Header=BB523_316 Depth=2
	global_load_b32 v39, v2, s[8:9] offset:1024 scale_offset
	s_wait_xcnt 0x0
	s_or_b32 exec_lo, exec_lo, s11
	s_delay_alu instid0(SALU_CYCLE_1)
	s_mov_b32 s11, exec_lo
	v_cmpx_gt_u32_e64 s7, v70
	s_cbranch_execz .LBB523_322
.LBB523_371:                            ;   in Loop: Header=BB523_316 Depth=2
	global_load_b32 v38, v2, s[8:9] offset:2048 scale_offset
	s_wait_xcnt 0x0
	s_or_b32 exec_lo, exec_lo, s11
	s_delay_alu instid0(SALU_CYCLE_1)
	s_mov_b32 s11, exec_lo
	v_cmpx_gt_u32_e64 s7, v71
	s_cbranch_execz .LBB523_323
.LBB523_372:                            ;   in Loop: Header=BB523_316 Depth=2
	global_load_b32 v37, v2, s[8:9] offset:3072 scale_offset
	s_wait_xcnt 0x0
	s_or_b32 exec_lo, exec_lo, s11
	s_delay_alu instid0(SALU_CYCLE_1)
	s_mov_b32 s11, exec_lo
	v_cmpx_gt_u32_e64 s7, v72
	s_cbranch_execz .LBB523_324
.LBB523_373:                            ;   in Loop: Header=BB523_316 Depth=2
	global_load_b32 v36, v2, s[8:9] offset:4096 scale_offset
	s_wait_xcnt 0x0
	s_or_b32 exec_lo, exec_lo, s11
	s_delay_alu instid0(SALU_CYCLE_1)
	s_mov_b32 s11, exec_lo
	v_cmpx_gt_u32_e64 s7, v73
	s_cbranch_execz .LBB523_325
.LBB523_374:                            ;   in Loop: Header=BB523_316 Depth=2
	global_load_b32 v35, v2, s[8:9] offset:5120 scale_offset
	s_wait_xcnt 0x0
	s_or_b32 exec_lo, exec_lo, s11
	s_delay_alu instid0(SALU_CYCLE_1)
	s_mov_b32 s11, exec_lo
	v_cmpx_gt_u32_e64 s7, v74
	s_cbranch_execz .LBB523_326
.LBB523_375:                            ;   in Loop: Header=BB523_316 Depth=2
	global_load_b32 v34, v2, s[8:9] offset:6144 scale_offset
	s_wait_xcnt 0x0
	s_or_b32 exec_lo, exec_lo, s11
	s_delay_alu instid0(SALU_CYCLE_1)
	s_mov_b32 s11, exec_lo
	v_cmpx_gt_u32_e64 s7, v75
	s_cbranch_execz .LBB523_327
.LBB523_376:                            ;   in Loop: Header=BB523_316 Depth=2
	global_load_b32 v33, v2, s[8:9] offset:7168 scale_offset
	s_wait_xcnt 0x0
	s_or_b32 exec_lo, exec_lo, s11
	s_delay_alu instid0(SALU_CYCLE_1)
	s_mov_b32 s11, exec_lo
	v_cmpx_gt_u32_e64 s7, v76
	s_cbranch_execz .LBB523_328
.LBB523_377:                            ;   in Loop: Header=BB523_316 Depth=2
	global_load_b32 v32, v2, s[8:9] offset:8192 scale_offset
	s_wait_xcnt 0x0
	s_or_b32 exec_lo, exec_lo, s11
	s_delay_alu instid0(SALU_CYCLE_1)
	s_mov_b32 s11, exec_lo
	v_cmpx_gt_u32_e64 s7, v77
	s_cbranch_execz .LBB523_329
.LBB523_378:                            ;   in Loop: Header=BB523_316 Depth=2
	global_load_b32 v31, v2, s[8:9] offset:9216 scale_offset
	s_wait_xcnt 0x0
	s_or_b32 exec_lo, exec_lo, s11
	s_delay_alu instid0(SALU_CYCLE_1)
	s_mov_b32 s11, exec_lo
	v_cmpx_gt_u32_e64 s7, v78
	s_cbranch_execz .LBB523_330
.LBB523_379:                            ;   in Loop: Header=BB523_316 Depth=2
	global_load_b32 v30, v2, s[8:9] offset:10240 scale_offset
	s_wait_xcnt 0x0
	s_or_b32 exec_lo, exec_lo, s11
	s_delay_alu instid0(SALU_CYCLE_1)
	s_mov_b32 s11, exec_lo
	v_cmpx_gt_u32_e64 s7, v79
	s_cbranch_execz .LBB523_331
.LBB523_380:                            ;   in Loop: Header=BB523_316 Depth=2
	global_load_b32 v29, v2, s[8:9] offset:11264 scale_offset
	s_wait_xcnt 0x0
	s_or_b32 exec_lo, exec_lo, s11
	s_delay_alu instid0(SALU_CYCLE_1)
	s_mov_b32 s11, exec_lo
	v_cmpx_gt_u32_e64 s7, v80
	s_cbranch_execz .LBB523_332
.LBB523_381:                            ;   in Loop: Header=BB523_316 Depth=2
	global_load_b32 v28, v2, s[8:9] offset:12288 scale_offset
	s_wait_xcnt 0x0
	s_or_b32 exec_lo, exec_lo, s11
	s_delay_alu instid0(SALU_CYCLE_1)
	s_mov_b32 s11, exec_lo
	v_cmpx_gt_u32_e64 s7, v81
	s_cbranch_execz .LBB523_333
.LBB523_382:                            ;   in Loop: Header=BB523_316 Depth=2
	global_load_b32 v27, v2, s[8:9] offset:13312 scale_offset
	s_wait_xcnt 0x0
	s_or_b32 exec_lo, exec_lo, s11
	s_delay_alu instid0(SALU_CYCLE_1)
	s_mov_b32 s11, exec_lo
	v_cmpx_gt_u32_e64 s7, v82
	s_cbranch_execz .LBB523_334
.LBB523_383:                            ;   in Loop: Header=BB523_316 Depth=2
	global_load_b32 v26, v2, s[8:9] offset:14336 scale_offset
	s_wait_xcnt 0x0
	s_or_b32 exec_lo, exec_lo, s11
	s_delay_alu instid0(SALU_CYCLE_1)
	s_mov_b32 s11, exec_lo
	v_cmpx_gt_u32_e64 s7, v83
	s_cbranch_execnz .LBB523_335
	s_branch .LBB523_336
.LBB523_384:                            ;   in Loop: Header=BB523_20 Depth=1
	v_mov_b32_e32 v25, 0
	s_wait_dscnt 0x0
	s_barrier_signal -1
	s_barrier_wait -1
	s_and_saveexec_b32 s7, s0
	s_cbranch_execz .LBB523_386
; %bb.385:                              ;   in Loop: Header=BB523_20 Depth=1
	ds_load_2addr_b64 v[26:29], v86 offset1:1
	s_wait_dscnt 0x0
	v_add_nc_u32_e32 v25, v27, v26
	s_delay_alu instid0(VALU_DEP_1)
	v_add3_u32 v25, v25, v28, v29
.LBB523_386:                            ;   in Loop: Header=BB523_20 Depth=1
	s_or_b32 exec_lo, exec_lo, s7
	s_delay_alu instid0(VALU_DEP_1)
	v_mov_b32_dpp v26, v25 row_shr:1 row_mask:0xf bank_mask:0xf
	v_cmp_eq_u32_e64 s7, 0, v96
	v_cmp_lt_u32_e64 s8, 1, v96
	v_cmp_lt_u32_e64 s9, 3, v96
	;; [unrolled: 1-line block ×3, first 2 shown]
	v_cmp_eq_u32_e64 s11, 0, v98
	v_cndmask_b32_e64 v26, v26, 0, s7
	s_delay_alu instid0(VALU_DEP_1) | instskip(NEXT) | instid1(VALU_DEP_1)
	v_add_nc_u32_e32 v25, v26, v25
	v_mov_b32_dpp v26, v25 row_shr:2 row_mask:0xf bank_mask:0xf
	s_delay_alu instid0(VALU_DEP_1) | instskip(NEXT) | instid1(VALU_DEP_1)
	v_cndmask_b32_e64 v26, 0, v26, s8
	v_add_nc_u32_e32 v25, v25, v26
	s_delay_alu instid0(VALU_DEP_1) | instskip(NEXT) | instid1(VALU_DEP_1)
	v_mov_b32_dpp v26, v25 row_shr:4 row_mask:0xf bank_mask:0xf
	v_cndmask_b32_e64 v26, 0, v26, s9
	s_delay_alu instid0(VALU_DEP_1) | instskip(NEXT) | instid1(VALU_DEP_1)
	v_add_nc_u32_e32 v25, v25, v26
	v_mov_b32_dpp v26, v25 row_shr:8 row_mask:0xf bank_mask:0xf
	s_delay_alu instid0(VALU_DEP_1) | instskip(NEXT) | instid1(VALU_DEP_1)
	v_cndmask_b32_e64 v26, 0, v26, s10
	v_add_nc_u32_e32 v25, v25, v26
	ds_swizzle_b32 v26, v25 offset:swizzle(BROADCAST,32,15)
	s_wait_dscnt 0x0
	v_and_b32_e32 v26, v97, v26
	s_delay_alu instid0(VALU_DEP_1)
	v_add_nc_u32_e32 v25, v25, v26
	s_and_saveexec_b32 s12, s1
; %bb.387:                              ;   in Loop: Header=BB523_20 Depth=1
	ds_store_b32 v87, v25
; %bb.388:                              ;   in Loop: Header=BB523_20 Depth=1
	s_or_b32 exec_lo, exec_lo, s12
	s_wait_dscnt 0x0
	s_barrier_signal -1
	s_barrier_wait -1
	s_and_saveexec_b32 s12, s4
	s_cbranch_execz .LBB523_390
; %bb.389:                              ;   in Loop: Header=BB523_20 Depth=1
	ds_load_b32 v26, v88
	v_cmp_ne_u32_e32 vcc_lo, 0, v100
	s_wait_dscnt 0x0
	v_mov_b32_dpp v27, v26 row_shr:1 row_mask:0xf bank_mask:0xf
	s_delay_alu instid0(VALU_DEP_1) | instskip(SKIP_1) | instid1(VALU_DEP_2)
	v_cndmask_b32_e32 v27, 0, v27, vcc_lo
	v_cmp_lt_u32_e32 vcc_lo, 1, v100
	v_add_nc_u32_e32 v26, v27, v26
	s_delay_alu instid0(VALU_DEP_1) | instskip(NEXT) | instid1(VALU_DEP_1)
	v_mov_b32_dpp v27, v26 row_shr:2 row_mask:0xf bank_mask:0xf
	v_cndmask_b32_e32 v27, 0, v27, vcc_lo
	v_cmp_lt_u32_e32 vcc_lo, 3, v100
	s_delay_alu instid0(VALU_DEP_2) | instskip(NEXT) | instid1(VALU_DEP_1)
	v_add_nc_u32_e32 v26, v26, v27
	v_mov_b32_dpp v27, v26 row_shr:4 row_mask:0xf bank_mask:0xf
	s_delay_alu instid0(VALU_DEP_1) | instskip(NEXT) | instid1(VALU_DEP_1)
	v_cndmask_b32_e32 v27, 0, v27, vcc_lo
	v_add_nc_u32_e32 v26, v26, v27
	ds_store_b32 v88, v26
.LBB523_390:                            ;   in Loop: Header=BB523_20 Depth=1
	s_or_b32 exec_lo, exec_lo, s12
	v_mov_b32_e32 v26, 0
	s_wait_dscnt 0x0
	s_barrier_signal -1
	s_barrier_wait -1
	s_and_saveexec_b32 s12, s5
; %bb.391:                              ;   in Loop: Header=BB523_20 Depth=1
	ds_load_b32 v26, v89
; %bb.392:                              ;   in Loop: Header=BB523_20 Depth=1
	s_or_b32 exec_lo, exec_lo, s12
	v_cmp_gt_i32_e32 vcc_lo, 0, v101
	s_wait_dscnt 0x0
	s_barrier_signal -1
	s_barrier_wait -1
	v_dual_cndmask_b32 v27, v101, v94, vcc_lo :: v_dual_add_nc_u32 v25, v26, v25
	s_delay_alu instid0(VALU_DEP_1)
	v_lshlrev_b32_e32 v120, 2, v27
	ds_bpermute_b32 v25, v120, v25
	s_and_saveexec_b32 s12, s0
	s_cbranch_execz .LBB523_394
; %bb.393:                              ;   in Loop: Header=BB523_20 Depth=1
	s_wait_dscnt 0x0
	v_cndmask_b32_e64 v25, v25, v26, s6
	s_delay_alu instid0(VALU_DEP_1)
	v_add_nc_u32_e32 v25, s52, v25
	ds_store_b32 v4, v25
.LBB523_394:                            ;   in Loop: Header=BB523_20 Depth=1
	s_or_b32 exec_lo, exec_lo, s12
	s_load_b64 s[12:13], s[34:35], 0x0
	s_mov_b32 s55, s54
                                        ; implicit-def: $vgpr32_vgpr33
                                        ; implicit-def: $vgpr34_vgpr35
                                        ; implicit-def: $vgpr36_vgpr37
                                        ; implicit-def: $vgpr38_vgpr39
                                        ; implicit-def: $vgpr40_vgpr41
                                        ; implicit-def: $vgpr42_vgpr43
                                        ; implicit-def: $vgpr44_vgpr45
                                        ; implicit-def: $vgpr46_vgpr47
                                        ; implicit-def: $vgpr48_vgpr49
                                        ; implicit-def: $vgpr50_vgpr51
                                        ; implicit-def: $vgpr52_vgpr53
                                        ; implicit-def: $vgpr54_vgpr55
                                        ; implicit-def: $vgpr56_vgpr57
                                        ; implicit-def: $vgpr58_vgpr59
                                        ; implicit-def: $vgpr60_vgpr61
                                        ; implicit-def: $vgpr121
                                        ; implicit-def: $vgpr122
                                        ; implicit-def: $vgpr123
                                        ; implicit-def: $vgpr124
                                        ; implicit-def: $vgpr125
                                        ; implicit-def: $vgpr126
                                        ; implicit-def: $vgpr127
                                        ; implicit-def: $vgpr128
                                        ; implicit-def: $vgpr129
                                        ; implicit-def: $vgpr130
                                        ; implicit-def: $vgpr131
                                        ; implicit-def: $vgpr132
                                        ; implicit-def: $vgpr133
                                        ; implicit-def: $vgpr134
                                        ; implicit-def: $vgpr135
                                        ; implicit-def: $vgpr136
	s_wait_kmcnt 0x0
	s_cmp_lt_u32 s33, s12
	s_cselect_b32 s30, 12, 18
	s_cmp_lt_u32 s42, s13
	s_mov_b32 s13, s31
	s_cselect_b32 s12, 14, 20
	s_delay_alu instid0(SALU_CYCLE_1)
	s_add_nc_u64 s[12:13], s[34:35], s[12:13]
	s_load_u16 s14, s[12:13], 0x0
	s_wait_xcnt 0x0
	s_add_nc_u64 s[12:13], s[34:35], s[30:31]
	s_mov_b32 s30, s52
	s_load_u16 s12, s[12:13], 0x0
	s_wait_xcnt 0x0
	v_cmp_lt_u32_e64 s13, 1, v100
	s_wait_dscnt 0x0
	s_wait_kmcnt 0x0
	v_mad_u32_u24 v25, v90, s14, v92
	v_cmp_lt_u32_e64 s14, 3, v100
	s_delay_alu instid0(VALU_DEP_2) | instskip(SKIP_2) | instid1(VALU_DEP_3)
	v_mad_u32 v26, v25, s12, v2
	v_mov_b32_e32 v25, v1
	v_cmp_eq_u32_e64 s12, 0, v100
	v_lshrrev_b32_e32 v30, 3, v26
	v_add_nc_u64_e32 v[26:27], v[10:11], v[0:1]
	s_delay_alu instid0(VALU_DEP_4) | instskip(NEXT) | instid1(VALU_DEP_3)
	v_add_nc_u64_e32 v[28:29], v[12:13], v[24:25]
	v_and_b32_e32 v25, 0x1ffffffc, v30
                                        ; implicit-def: $vgpr30_vgpr31
	s_branch .LBB523_396
.LBB523_395:                            ;   in Loop: Header=BB523_396 Depth=2
	s_or_b32 exec_lo, exec_lo, s15
	s_addk_co_i32 s55, 0xf000
	s_cmp_lt_u32 s56, s51
	s_mov_b32 s30, s56
	s_cbranch_scc0 .LBB523_604
.LBB523_396:                            ;   Parent Loop BB523_20 Depth=1
                                        ; =>  This Inner Loop Header: Depth=2
	s_add_co_i32 s56, s30, 0x1000
	s_delay_alu instid0(SALU_CYCLE_1)
	s_cmp_gt_u32 s56, s51
	s_cbranch_scc1 .LBB523_398
; %bb.397:                              ;   in Loop: Header=BB523_396 Depth=2
	s_delay_alu instid0(VALU_DEP_2)
	v_lshl_add_u64 v[62:63], s[30:31], 2, v[28:29]
	s_mov_b32 s15, -1
	s_clause 0xe
	global_load_b32 v139, v[62:63], off
	global_load_b32 v140, v[62:63], off offset:128
	global_load_b32 v143, v[62:63], off offset:256
	;; [unrolled: 1-line block ×14, first 2 shown]
	s_movk_i32 s16, 0x1000
	s_cbranch_execz .LBB523_399
	s_branch .LBB523_430
.LBB523_398:                            ;   in Loop: Header=BB523_396 Depth=2
	s_mov_b32 s15, 0
                                        ; implicit-def: $vgpr139
                                        ; implicit-def: $vgpr140
                                        ; implicit-def: $vgpr143
                                        ; implicit-def: $vgpr147
                                        ; implicit-def: $vgpr151
                                        ; implicit-def: $vgpr155
                                        ; implicit-def: $vgpr159
                                        ; implicit-def: $vgpr163
                                        ; implicit-def: $vgpr166
                                        ; implicit-def: $vgpr69
                                        ; implicit-def: $vgpr68
                                        ; implicit-def: $vgpr67
                                        ; implicit-def: $vgpr66
                                        ; implicit-def: $vgpr65
                                        ; implicit-def: $vgpr64
	s_movk_i32 s16, 0x1000
.LBB523_399:                            ;   in Loop: Header=BB523_396 Depth=2
	s_wait_xcnt 0x0
	v_lshl_add_u64 v[62:63], s[30:31], 2, v[28:29]
	s_wait_loadcnt 0xd
	v_bfrev_b32_e32 v140, 1
	v_bfrev_b32_e32 v139, 1
	s_mov_b32 s15, exec_lo
	v_cmpx_gt_u32_e64 s55, v99
	s_cbranch_execz .LBB523_401
; %bb.400:                              ;   in Loop: Header=BB523_396 Depth=2
	global_load_b32 v139, v[62:63], off
.LBB523_401:                            ;   in Loop: Header=BB523_396 Depth=2
	s_wait_xcnt 0x0
	s_or_b32 exec_lo, exec_lo, s15
	s_delay_alu instid0(SALU_CYCLE_1)
	s_mov_b32 s15, exec_lo
	v_cmpx_gt_u32_e64 s55, v102
	s_cbranch_execz .LBB523_403
; %bb.402:                              ;   in Loop: Header=BB523_396 Depth=2
	global_load_b32 v140, v[62:63], off offset:128
.LBB523_403:                            ;   in Loop: Header=BB523_396 Depth=2
	s_wait_xcnt 0x0
	s_or_b32 exec_lo, exec_lo, s15
	s_wait_loadcnt 0xb
	v_bfrev_b32_e32 v147, 1
	v_bfrev_b32_e32 v143, 1
	s_mov_b32 s15, exec_lo
	v_cmpx_gt_u32_e64 s55, v103
	s_cbranch_execz .LBB523_405
; %bb.404:                              ;   in Loop: Header=BB523_396 Depth=2
	global_load_b32 v143, v[62:63], off offset:256
.LBB523_405:                            ;   in Loop: Header=BB523_396 Depth=2
	s_wait_xcnt 0x0
	s_or_b32 exec_lo, exec_lo, s15
	s_delay_alu instid0(SALU_CYCLE_1)
	s_mov_b32 s15, exec_lo
	v_cmpx_gt_u32_e64 s55, v104
	s_cbranch_execz .LBB523_407
; %bb.406:                              ;   in Loop: Header=BB523_396 Depth=2
	global_load_b32 v147, v[62:63], off offset:384
.LBB523_407:                            ;   in Loop: Header=BB523_396 Depth=2
	s_wait_xcnt 0x0
	s_or_b32 exec_lo, exec_lo, s15
	s_wait_loadcnt 0x9
	v_bfrev_b32_e32 v155, 1
	v_bfrev_b32_e32 v151, 1
	s_mov_b32 s15, exec_lo
	v_cmpx_gt_u32_e64 s55, v105
	s_cbranch_execz .LBB523_409
; %bb.408:                              ;   in Loop: Header=BB523_396 Depth=2
	global_load_b32 v151, v[62:63], off offset:512
.LBB523_409:                            ;   in Loop: Header=BB523_396 Depth=2
	;; [unrolled: 20-line block ×6, first 2 shown]
	s_wait_xcnt 0x0
	s_or_b32 exec_lo, exec_lo, s15
	s_delay_alu instid0(SALU_CYCLE_1)
	s_mov_b32 s15, exec_lo
	v_cmpx_gt_u32_e64 s55, v114
	s_cbranch_execz .LBB523_427
; %bb.426:                              ;   in Loop: Header=BB523_396 Depth=2
	global_load_b32 v65, v[62:63], off offset:1664
.LBB523_427:                            ;   in Loop: Header=BB523_396 Depth=2
	s_wait_xcnt 0x0
	s_or_b32 exec_lo, exec_lo, s15
	s_wait_loadcnt 0x0
	v_bfrev_b32_e32 v64, 1
	s_mov_b32 s15, exec_lo
	v_cmpx_gt_u32_e64 s55, v115
	s_cbranch_execz .LBB523_429
; %bb.428:                              ;   in Loop: Header=BB523_396 Depth=2
	global_load_b32 v64, v[62:63], off offset:1792
.LBB523_429:                            ;   in Loop: Header=BB523_396 Depth=2
	s_wait_xcnt 0x0
	s_or_b32 exec_lo, exec_lo, s15
	v_cmp_gt_u32_e64 s15, s55, v116
	s_sub_co_i32 s16, s51, s30
.LBB523_430:                            ;   in Loop: Header=BB523_396 Depth=2
	v_dual_mov_b32 v138, -1 :: v_dual_mov_b32 v137, s55
	s_wait_xcnt 0x0
	s_and_saveexec_b32 s17, s15
	s_cbranch_execz .LBB523_432
; %bb.431:                              ;   in Loop: Header=BB523_396 Depth=2
	v_lshl_add_u64 v[62:63], s[30:31], 2, v[28:29]
	v_mov_b32_e32 v137, s16
	global_load_b32 v62, v[62:63], off offset:1920
	s_wait_loadcnt 0x0
	v_xor_b32_e32 v138, 0x7fffffff, v62
.LBB523_432:                            ;   in Loop: Header=BB523_396 Depth=2
	s_wait_xcnt 0x0
	s_or_b32 exec_lo, exec_lo, s17
	s_wait_loadcnt 0xe
	v_xor_b32_e32 v139, 0x7fffffff, v139
	ds_store_2addr_b32 v5, v1, v1 offset1:1
	ds_store_2addr_b32 v117, v1, v1 offset1:1
	;; [unrolled: 1-line block ×4, first 2 shown]
	ds_store_b32 v91, v1 offset:1088
	s_wait_loadcnt_dscnt 0x0
	s_barrier_signal -1
	v_lshrrev_b32_e32 v62, s43, v139
	s_barrier_wait -1
	; wave barrier
	s_delay_alu instid0(VALU_DEP_1) | instskip(NEXT) | instid1(VALU_DEP_1)
	v_and_b32_e32 v142, s48, v62
	v_lshlrev_b32_e32 v141, 30, v142
	v_bitop3_b32 v63, v62, 1, s48 bitop3:0x80
	s_delay_alu instid0(VALU_DEP_1) | instskip(NEXT) | instid1(VALU_DEP_1)
	v_add_co_u32 v62, s15, v63, -1
	v_cndmask_b32_e64 v63, 0, 1, s15
	s_delay_alu instid0(VALU_DEP_4) | instskip(NEXT) | instid1(VALU_DEP_2)
	v_cmp_gt_i32_e64 s15, 0, v141
	v_cmp_ne_u32_e32 vcc_lo, 0, v63
	v_not_b32_e32 v63, v141
	s_delay_alu instid0(VALU_DEP_1) | instskip(SKIP_3) | instid1(VALU_DEP_4)
	v_dual_ashrrev_i32 v63, 31, v63 :: v_dual_lshlrev_b32 v144, 29, v142
	v_dual_lshlrev_b32 v145, 28, v142 :: v_dual_lshlrev_b32 v146, 27, v142
	v_dual_lshlrev_b32 v148, 26, v142 :: v_dual_lshlrev_b32 v149, 25, v142
	v_lshlrev_b32_e32 v150, 24, v142
	v_cmp_gt_i32_e64 s16, 0, v144
	v_not_b32_e32 v141, v144
	v_not_b32_e32 v144, v145
	v_cmp_gt_i32_e64 s17, 0, v145
	v_cmp_gt_i32_e64 s18, 0, v146
	v_not_b32_e32 v145, v146
	v_not_b32_e32 v146, v148
	v_dual_ashrrev_i32 v141, 31, v141 :: v_dual_bitop2_b32 v62, vcc_lo, v62 bitop3:0x14
	v_dual_ashrrev_i32 v144, 31, v144 :: v_dual_bitop2_b32 v63, s15, v63 bitop3:0x14
	v_cmp_gt_i32_e64 s19, 0, v148
	v_not_b32_e32 v148, v149
	s_delay_alu instid0(VALU_DEP_3)
	v_dual_ashrrev_i32 v145, 31, v145 :: v_dual_bitop2_b32 v144, s17, v144 bitop3:0x14
	v_dual_ashrrev_i32 v146, 31, v146 :: v_dual_bitop2_b32 v141, s16, v141 bitop3:0x14
	v_bitop3_b32 v62, v62, v63, exec_lo bitop3:0x80
	v_not_b32_e32 v63, v150
	v_cmp_gt_i32_e64 s20, 0, v149
	v_dual_ashrrev_i32 v148, 31, v148 :: v_dual_bitop2_b32 v145, s18, v145 bitop3:0x14
	s_delay_alu instid0(VALU_DEP_4) | instskip(SKIP_2) | instid1(VALU_DEP_4)
	v_bitop3_b32 v62, v62, v144, v141 bitop3:0x80
	v_cmp_gt_i32_e32 vcc_lo, 0, v150
	v_dual_ashrrev_i32 v63, 31, v63 :: v_dual_bitop2_b32 v141, s19, v146 bitop3:0x14
	v_xor_b32_e32 v144, s20, v148
	s_delay_alu instid0(VALU_DEP_2) | instskip(NEXT) | instid1(VALU_DEP_3)
	v_xor_b32_e32 v63, vcc_lo, v63
	v_bitop3_b32 v62, v62, v141, v145 bitop3:0x80
	s_delay_alu instid0(VALU_DEP_1) | instskip(SKIP_1) | instid1(VALU_DEP_2)
	v_bitop3_b32 v62, v62, v63, v144 bitop3:0x80
	v_mul_u32_u24_e32 v63, 36, v142
	v_mbcnt_lo_u32_b32 v141, v62, 0
	v_cmp_ne_u32_e64 s15, 0, v62
	s_delay_alu instid0(VALU_DEP_3) | instskip(NEXT) | instid1(VALU_DEP_3)
	v_add_nc_u32_e32 v142, v25, v63
	v_cmp_eq_u32_e32 vcc_lo, 0, v141
	s_and_b32 s16, s15, vcc_lo
	s_delay_alu instid0(SALU_CYCLE_1)
	s_and_saveexec_b32 s15, s16
; %bb.433:                              ;   in Loop: Header=BB523_396 Depth=2
	v_bcnt_u32_b32 v62, v62, 0
	ds_store_b32 v142, v62 offset:1056
; %bb.434:                              ;   in Loop: Header=BB523_396 Depth=2
	s_or_b32 exec_lo, exec_lo, s15
	v_xor_b32_e32 v140, 0x7fffffff, v140
	; wave barrier
	s_delay_alu instid0(VALU_DEP_1) | instskip(NEXT) | instid1(VALU_DEP_1)
	v_lshrrev_b32_e32 v62, s43, v140
	v_and_b32_e32 v146, s48, v62
	s_delay_alu instid0(VALU_DEP_1) | instskip(SKIP_1) | instid1(VALU_DEP_1)
	v_lshlrev_b32_e32 v144, 30, v146
	v_bitop3_b32 v63, v62, 1, s48 bitop3:0x80
	v_add_co_u32 v62, s15, v63, -1
	s_delay_alu instid0(VALU_DEP_1) | instskip(NEXT) | instid1(VALU_DEP_4)
	v_cndmask_b32_e64 v63, 0, 1, s15
	v_cmp_gt_i32_e64 s15, 0, v144
	s_delay_alu instid0(VALU_DEP_2) | instskip(SKIP_1) | instid1(VALU_DEP_1)
	v_cmp_ne_u32_e32 vcc_lo, 0, v63
	v_not_b32_e32 v63, v144
	v_dual_ashrrev_i32 v63, 31, v63 :: v_dual_lshlrev_b32 v145, 29, v146
	v_dual_lshlrev_b32 v148, 28, v146 :: v_dual_lshlrev_b32 v149, 27, v146
	v_dual_lshlrev_b32 v150, 26, v146 :: v_dual_lshlrev_b32 v152, 25, v146
	v_lshlrev_b32_e32 v153, 24, v146
	s_delay_alu instid0(VALU_DEP_4)
	v_cmp_gt_i32_e64 s16, 0, v145
	v_not_b32_e32 v144, v145
	v_not_b32_e32 v145, v148
	v_cmp_gt_i32_e64 s17, 0, v148
	v_cmp_gt_i32_e64 s18, 0, v149
	v_not_b32_e32 v148, v149
	v_not_b32_e32 v149, v150
	v_dual_ashrrev_i32 v144, 31, v144 :: v_dual_bitop2_b32 v62, vcc_lo, v62 bitop3:0x14
	v_dual_ashrrev_i32 v145, 31, v145 :: v_dual_bitop2_b32 v63, s15, v63 bitop3:0x14
	v_cmp_gt_i32_e64 s19, 0, v150
	s_delay_alu instid0(VALU_DEP_4) | instskip(SKIP_1) | instid1(VALU_DEP_4)
	v_dual_ashrrev_i32 v148, 31, v148 :: v_dual_ashrrev_i32 v149, 31, v149
	v_not_b32_e32 v150, v153
	v_xor_b32_e32 v145, s17, v145
	v_bitop3_b32 v62, v62, v63, exec_lo bitop3:0x80
	v_not_b32_e32 v63, v152
	v_xor_b32_e32 v144, s16, v144
	v_cmp_gt_i32_e64 s20, 0, v152
	v_xor_b32_e32 v148, s18, v148
	s_delay_alu instid0(VALU_DEP_4) | instskip(NEXT) | instid1(VALU_DEP_4)
	v_dual_ashrrev_i32 v63, 31, v63 :: v_dual_bitop2_b32 v149, s19, v149 bitop3:0x14
	v_bitop3_b32 v62, v62, v145, v144 bitop3:0x80
	v_cmp_gt_i32_e32 vcc_lo, 0, v153
	v_ashrrev_i32_e32 v144, 31, v150
	v_mad_u32_u24 v145, v146, 36, v25
	v_xor_b32_e32 v63, s20, v63
	v_bitop3_b32 v62, v62, v149, v148 bitop3:0x80
	s_delay_alu instid0(VALU_DEP_4) | instskip(SKIP_3) | instid1(VALU_DEP_2)
	v_xor_b32_e32 v148, vcc_lo, v144
	ds_load_b32 v144, v145 offset:1056
	; wave barrier
	v_bitop3_b32 v62, v62, v148, v63 bitop3:0x80
	v_mul_u32_u24_e32 v63, 36, v146
	v_mbcnt_lo_u32_b32 v145, v62, 0
	v_cmp_ne_u32_e64 s15, 0, v62
	s_delay_alu instid0(VALU_DEP_3) | instskip(NEXT) | instid1(VALU_DEP_3)
	v_add_nc_u32_e32 v146, v25, v63
	v_cmp_eq_u32_e32 vcc_lo, 0, v145
	s_and_b32 s16, s15, vcc_lo
	s_delay_alu instid0(SALU_CYCLE_1)
	s_and_saveexec_b32 s15, s16
	s_cbranch_execz .LBB523_436
; %bb.435:                              ;   in Loop: Header=BB523_396 Depth=2
	s_wait_dscnt 0x0
	v_bcnt_u32_b32 v62, v62, v144
	ds_store_b32 v146, v62 offset:1056
.LBB523_436:                            ;   in Loop: Header=BB523_396 Depth=2
	s_or_b32 exec_lo, exec_lo, s15
	v_xor_b32_e32 v143, 0x7fffffff, v143
	; wave barrier
	s_delay_alu instid0(VALU_DEP_1) | instskip(NEXT) | instid1(VALU_DEP_1)
	v_lshrrev_b32_e32 v62, s43, v143
	v_and_b32_e32 v150, s48, v62
	s_delay_alu instid0(VALU_DEP_1) | instskip(SKIP_1) | instid1(VALU_DEP_1)
	v_lshlrev_b32_e32 v148, 30, v150
	v_bitop3_b32 v63, v62, 1, s48 bitop3:0x80
	v_add_co_u32 v62, s15, v63, -1
	s_delay_alu instid0(VALU_DEP_1) | instskip(NEXT) | instid1(VALU_DEP_4)
	v_cndmask_b32_e64 v63, 0, 1, s15
	v_cmp_gt_i32_e64 s15, 0, v148
	s_delay_alu instid0(VALU_DEP_2) | instskip(SKIP_1) | instid1(VALU_DEP_1)
	v_cmp_ne_u32_e32 vcc_lo, 0, v63
	v_not_b32_e32 v63, v148
	v_dual_ashrrev_i32 v63, 31, v63 :: v_dual_lshlrev_b32 v149, 29, v150
	v_dual_lshlrev_b32 v152, 28, v150 :: v_dual_lshlrev_b32 v153, 27, v150
	v_dual_lshlrev_b32 v154, 26, v150 :: v_dual_lshlrev_b32 v156, 25, v150
	v_lshlrev_b32_e32 v157, 24, v150
	s_delay_alu instid0(VALU_DEP_4)
	v_cmp_gt_i32_e64 s16, 0, v149
	v_not_b32_e32 v148, v149
	v_not_b32_e32 v149, v152
	v_cmp_gt_i32_e64 s17, 0, v152
	v_cmp_gt_i32_e64 s18, 0, v153
	v_not_b32_e32 v152, v153
	v_not_b32_e32 v153, v154
	v_dual_ashrrev_i32 v148, 31, v148 :: v_dual_bitop2_b32 v62, vcc_lo, v62 bitop3:0x14
	v_dual_ashrrev_i32 v149, 31, v149 :: v_dual_bitop2_b32 v63, s15, v63 bitop3:0x14
	v_cmp_gt_i32_e64 s19, 0, v154
	s_delay_alu instid0(VALU_DEP_4) | instskip(SKIP_1) | instid1(VALU_DEP_4)
	v_dual_ashrrev_i32 v152, 31, v152 :: v_dual_ashrrev_i32 v153, 31, v153
	v_not_b32_e32 v154, v157
	v_xor_b32_e32 v149, s17, v149
	v_bitop3_b32 v62, v62, v63, exec_lo bitop3:0x80
	v_not_b32_e32 v63, v156
	v_xor_b32_e32 v148, s16, v148
	v_cmp_gt_i32_e64 s20, 0, v156
	v_xor_b32_e32 v152, s18, v152
	s_delay_alu instid0(VALU_DEP_4) | instskip(NEXT) | instid1(VALU_DEP_4)
	v_dual_ashrrev_i32 v63, 31, v63 :: v_dual_bitop2_b32 v153, s19, v153 bitop3:0x14
	v_bitop3_b32 v62, v62, v149, v148 bitop3:0x80
	v_cmp_gt_i32_e32 vcc_lo, 0, v157
	v_ashrrev_i32_e32 v148, 31, v154
	v_mad_u32_u24 v149, v150, 36, v25
	v_xor_b32_e32 v63, s20, v63
	v_bitop3_b32 v62, v62, v153, v152 bitop3:0x80
	s_delay_alu instid0(VALU_DEP_4) | instskip(SKIP_3) | instid1(VALU_DEP_2)
	v_xor_b32_e32 v152, vcc_lo, v148
	ds_load_b32 v148, v149 offset:1056
	; wave barrier
	v_bitop3_b32 v62, v62, v152, v63 bitop3:0x80
	v_mul_u32_u24_e32 v63, 36, v150
	v_mbcnt_lo_u32_b32 v149, v62, 0
	v_cmp_ne_u32_e64 s15, 0, v62
	s_delay_alu instid0(VALU_DEP_3) | instskip(NEXT) | instid1(VALU_DEP_3)
	v_add_nc_u32_e32 v150, v25, v63
	v_cmp_eq_u32_e32 vcc_lo, 0, v149
	s_and_b32 s16, s15, vcc_lo
	s_delay_alu instid0(SALU_CYCLE_1)
	s_and_saveexec_b32 s15, s16
	s_cbranch_execz .LBB523_438
; %bb.437:                              ;   in Loop: Header=BB523_396 Depth=2
	s_wait_dscnt 0x0
	v_bcnt_u32_b32 v62, v62, v148
	ds_store_b32 v150, v62 offset:1056
.LBB523_438:                            ;   in Loop: Header=BB523_396 Depth=2
	s_or_b32 exec_lo, exec_lo, s15
	v_xor_b32_e32 v147, 0x7fffffff, v147
	; wave barrier
	s_delay_alu instid0(VALU_DEP_1) | instskip(NEXT) | instid1(VALU_DEP_1)
	v_lshrrev_b32_e32 v62, s43, v147
	v_and_b32_e32 v154, s48, v62
	s_delay_alu instid0(VALU_DEP_1) | instskip(SKIP_1) | instid1(VALU_DEP_1)
	v_lshlrev_b32_e32 v152, 30, v154
	v_bitop3_b32 v63, v62, 1, s48 bitop3:0x80
	v_add_co_u32 v62, s15, v63, -1
	s_delay_alu instid0(VALU_DEP_1) | instskip(NEXT) | instid1(VALU_DEP_4)
	v_cndmask_b32_e64 v63, 0, 1, s15
	v_cmp_gt_i32_e64 s15, 0, v152
	s_delay_alu instid0(VALU_DEP_2) | instskip(SKIP_1) | instid1(VALU_DEP_1)
	v_cmp_ne_u32_e32 vcc_lo, 0, v63
	v_not_b32_e32 v63, v152
	v_dual_ashrrev_i32 v63, 31, v63 :: v_dual_lshlrev_b32 v153, 29, v154
	v_dual_lshlrev_b32 v156, 28, v154 :: v_dual_lshlrev_b32 v157, 27, v154
	v_dual_lshlrev_b32 v158, 26, v154 :: v_dual_lshlrev_b32 v160, 25, v154
	v_lshlrev_b32_e32 v161, 24, v154
	s_delay_alu instid0(VALU_DEP_4)
	v_cmp_gt_i32_e64 s16, 0, v153
	v_not_b32_e32 v152, v153
	v_not_b32_e32 v153, v156
	v_cmp_gt_i32_e64 s17, 0, v156
	v_cmp_gt_i32_e64 s18, 0, v157
	v_not_b32_e32 v156, v157
	v_not_b32_e32 v157, v158
	v_dual_ashrrev_i32 v152, 31, v152 :: v_dual_bitop2_b32 v62, vcc_lo, v62 bitop3:0x14
	v_dual_ashrrev_i32 v153, 31, v153 :: v_dual_bitop2_b32 v63, s15, v63 bitop3:0x14
	v_cmp_gt_i32_e64 s19, 0, v158
	s_delay_alu instid0(VALU_DEP_4) | instskip(SKIP_1) | instid1(VALU_DEP_4)
	v_dual_ashrrev_i32 v156, 31, v156 :: v_dual_ashrrev_i32 v157, 31, v157
	v_not_b32_e32 v158, v161
	v_xor_b32_e32 v153, s17, v153
	v_bitop3_b32 v62, v62, v63, exec_lo bitop3:0x80
	v_not_b32_e32 v63, v160
	v_xor_b32_e32 v152, s16, v152
	v_cmp_gt_i32_e64 s20, 0, v160
	v_xor_b32_e32 v156, s18, v156
	s_delay_alu instid0(VALU_DEP_4) | instskip(NEXT) | instid1(VALU_DEP_4)
	v_dual_ashrrev_i32 v63, 31, v63 :: v_dual_bitop2_b32 v157, s19, v157 bitop3:0x14
	v_bitop3_b32 v62, v62, v153, v152 bitop3:0x80
	v_cmp_gt_i32_e32 vcc_lo, 0, v161
	v_ashrrev_i32_e32 v152, 31, v158
	v_mad_u32_u24 v153, v154, 36, v25
	v_xor_b32_e32 v63, s20, v63
	v_bitop3_b32 v62, v62, v157, v156 bitop3:0x80
	s_delay_alu instid0(VALU_DEP_4) | instskip(SKIP_3) | instid1(VALU_DEP_2)
	v_xor_b32_e32 v156, vcc_lo, v152
	ds_load_b32 v152, v153 offset:1056
	; wave barrier
	v_bitop3_b32 v62, v62, v156, v63 bitop3:0x80
	v_mul_u32_u24_e32 v63, 36, v154
	v_mbcnt_lo_u32_b32 v153, v62, 0
	v_cmp_ne_u32_e64 s15, 0, v62
	s_delay_alu instid0(VALU_DEP_3) | instskip(NEXT) | instid1(VALU_DEP_3)
	v_add_nc_u32_e32 v154, v25, v63
	v_cmp_eq_u32_e32 vcc_lo, 0, v153
	s_and_b32 s16, s15, vcc_lo
	s_delay_alu instid0(SALU_CYCLE_1)
	s_and_saveexec_b32 s15, s16
	s_cbranch_execz .LBB523_440
; %bb.439:                              ;   in Loop: Header=BB523_396 Depth=2
	s_wait_dscnt 0x0
	v_bcnt_u32_b32 v62, v62, v152
	ds_store_b32 v154, v62 offset:1056
.LBB523_440:                            ;   in Loop: Header=BB523_396 Depth=2
	s_or_b32 exec_lo, exec_lo, s15
	v_xor_b32_e32 v151, 0x7fffffff, v151
	; wave barrier
	s_delay_alu instid0(VALU_DEP_1) | instskip(NEXT) | instid1(VALU_DEP_1)
	v_lshrrev_b32_e32 v62, s43, v151
	v_and_b32_e32 v158, s48, v62
	s_delay_alu instid0(VALU_DEP_1) | instskip(SKIP_1) | instid1(VALU_DEP_1)
	v_lshlrev_b32_e32 v156, 30, v158
	v_bitop3_b32 v63, v62, 1, s48 bitop3:0x80
	v_add_co_u32 v62, s15, v63, -1
	s_delay_alu instid0(VALU_DEP_1) | instskip(NEXT) | instid1(VALU_DEP_4)
	v_cndmask_b32_e64 v63, 0, 1, s15
	v_cmp_gt_i32_e64 s15, 0, v156
	s_delay_alu instid0(VALU_DEP_2) | instskip(SKIP_1) | instid1(VALU_DEP_1)
	v_cmp_ne_u32_e32 vcc_lo, 0, v63
	v_not_b32_e32 v63, v156
	v_dual_ashrrev_i32 v63, 31, v63 :: v_dual_lshlrev_b32 v157, 29, v158
	v_dual_lshlrev_b32 v160, 28, v158 :: v_dual_lshlrev_b32 v161, 27, v158
	v_dual_lshlrev_b32 v162, 26, v158 :: v_dual_lshlrev_b32 v164, 25, v158
	v_lshlrev_b32_e32 v165, 24, v158
	s_delay_alu instid0(VALU_DEP_4)
	v_cmp_gt_i32_e64 s16, 0, v157
	v_not_b32_e32 v156, v157
	v_not_b32_e32 v157, v160
	v_cmp_gt_i32_e64 s17, 0, v160
	v_cmp_gt_i32_e64 s18, 0, v161
	v_not_b32_e32 v160, v161
	v_not_b32_e32 v161, v162
	v_dual_ashrrev_i32 v156, 31, v156 :: v_dual_bitop2_b32 v62, vcc_lo, v62 bitop3:0x14
	v_dual_ashrrev_i32 v157, 31, v157 :: v_dual_bitop2_b32 v63, s15, v63 bitop3:0x14
	v_cmp_gt_i32_e64 s19, 0, v162
	s_delay_alu instid0(VALU_DEP_4) | instskip(SKIP_1) | instid1(VALU_DEP_4)
	v_dual_ashrrev_i32 v160, 31, v160 :: v_dual_ashrrev_i32 v161, 31, v161
	v_not_b32_e32 v162, v165
	v_xor_b32_e32 v157, s17, v157
	v_bitop3_b32 v62, v62, v63, exec_lo bitop3:0x80
	v_not_b32_e32 v63, v164
	v_xor_b32_e32 v156, s16, v156
	v_cmp_gt_i32_e64 s20, 0, v164
	v_xor_b32_e32 v160, s18, v160
	s_delay_alu instid0(VALU_DEP_4) | instskip(NEXT) | instid1(VALU_DEP_4)
	v_dual_ashrrev_i32 v63, 31, v63 :: v_dual_bitop2_b32 v161, s19, v161 bitop3:0x14
	v_bitop3_b32 v62, v62, v157, v156 bitop3:0x80
	v_cmp_gt_i32_e32 vcc_lo, 0, v165
	v_ashrrev_i32_e32 v156, 31, v162
	v_mad_u32_u24 v157, v158, 36, v25
	v_xor_b32_e32 v63, s20, v63
	v_bitop3_b32 v62, v62, v161, v160 bitop3:0x80
	s_delay_alu instid0(VALU_DEP_4) | instskip(SKIP_3) | instid1(VALU_DEP_2)
	v_xor_b32_e32 v160, vcc_lo, v156
	ds_load_b32 v156, v157 offset:1056
	; wave barrier
	v_bitop3_b32 v62, v62, v160, v63 bitop3:0x80
	v_mul_u32_u24_e32 v63, 36, v158
	v_mbcnt_lo_u32_b32 v157, v62, 0
	v_cmp_ne_u32_e64 s15, 0, v62
	s_delay_alu instid0(VALU_DEP_3) | instskip(NEXT) | instid1(VALU_DEP_3)
	v_add_nc_u32_e32 v158, v25, v63
	v_cmp_eq_u32_e32 vcc_lo, 0, v157
	s_and_b32 s16, s15, vcc_lo
	s_delay_alu instid0(SALU_CYCLE_1)
	s_and_saveexec_b32 s15, s16
	s_cbranch_execz .LBB523_442
; %bb.441:                              ;   in Loop: Header=BB523_396 Depth=2
	s_wait_dscnt 0x0
	v_bcnt_u32_b32 v62, v62, v156
	ds_store_b32 v158, v62 offset:1056
.LBB523_442:                            ;   in Loop: Header=BB523_396 Depth=2
	s_or_b32 exec_lo, exec_lo, s15
	v_xor_b32_e32 v155, 0x7fffffff, v155
	; wave barrier
	s_delay_alu instid0(VALU_DEP_1) | instskip(NEXT) | instid1(VALU_DEP_1)
	v_lshrrev_b32_e32 v62, s43, v155
	v_and_b32_e32 v162, s48, v62
	s_delay_alu instid0(VALU_DEP_1) | instskip(SKIP_1) | instid1(VALU_DEP_1)
	v_lshlrev_b32_e32 v160, 30, v162
	v_bitop3_b32 v63, v62, 1, s48 bitop3:0x80
	v_add_co_u32 v62, s15, v63, -1
	s_delay_alu instid0(VALU_DEP_1) | instskip(NEXT) | instid1(VALU_DEP_4)
	v_cndmask_b32_e64 v63, 0, 1, s15
	v_cmp_gt_i32_e64 s15, 0, v160
	s_delay_alu instid0(VALU_DEP_2) | instskip(SKIP_1) | instid1(VALU_DEP_1)
	v_cmp_ne_u32_e32 vcc_lo, 0, v63
	v_not_b32_e32 v63, v160
	v_dual_ashrrev_i32 v63, 31, v63 :: v_dual_lshlrev_b32 v161, 29, v162
	v_dual_lshlrev_b32 v164, 28, v162 :: v_dual_lshlrev_b32 v165, 27, v162
	v_dual_lshlrev_b32 v167, 26, v162 :: v_dual_lshlrev_b32 v168, 25, v162
	v_lshlrev_b32_e32 v169, 24, v162
	s_delay_alu instid0(VALU_DEP_4)
	v_cmp_gt_i32_e64 s16, 0, v161
	v_not_b32_e32 v160, v161
	v_not_b32_e32 v161, v164
	v_cmp_gt_i32_e64 s17, 0, v164
	v_cmp_gt_i32_e64 s18, 0, v165
	v_not_b32_e32 v164, v165
	v_not_b32_e32 v165, v167
	v_dual_ashrrev_i32 v160, 31, v160 :: v_dual_bitop2_b32 v62, vcc_lo, v62 bitop3:0x14
	v_dual_ashrrev_i32 v161, 31, v161 :: v_dual_bitop2_b32 v63, s15, v63 bitop3:0x14
	v_cmp_gt_i32_e64 s19, 0, v167
	s_delay_alu instid0(VALU_DEP_4) | instskip(SKIP_1) | instid1(VALU_DEP_4)
	v_dual_ashrrev_i32 v164, 31, v164 :: v_dual_ashrrev_i32 v165, 31, v165
	v_not_b32_e32 v167, v169
	v_xor_b32_e32 v161, s17, v161
	v_bitop3_b32 v62, v62, v63, exec_lo bitop3:0x80
	v_not_b32_e32 v63, v168
	v_xor_b32_e32 v160, s16, v160
	v_cmp_gt_i32_e64 s20, 0, v168
	v_xor_b32_e32 v164, s18, v164
	s_delay_alu instid0(VALU_DEP_4) | instskip(NEXT) | instid1(VALU_DEP_4)
	v_dual_ashrrev_i32 v63, 31, v63 :: v_dual_bitop2_b32 v165, s19, v165 bitop3:0x14
	v_bitop3_b32 v62, v62, v161, v160 bitop3:0x80
	v_cmp_gt_i32_e32 vcc_lo, 0, v169
	v_ashrrev_i32_e32 v160, 31, v167
	v_mad_u32_u24 v161, v162, 36, v25
	v_xor_b32_e32 v63, s20, v63
	v_bitop3_b32 v62, v62, v165, v164 bitop3:0x80
	s_delay_alu instid0(VALU_DEP_4) | instskip(SKIP_3) | instid1(VALU_DEP_2)
	v_xor_b32_e32 v164, vcc_lo, v160
	ds_load_b32 v160, v161 offset:1056
	; wave barrier
	v_bitop3_b32 v62, v62, v164, v63 bitop3:0x80
	v_mul_u32_u24_e32 v63, 36, v162
	v_mbcnt_lo_u32_b32 v161, v62, 0
	v_cmp_ne_u32_e64 s15, 0, v62
	s_delay_alu instid0(VALU_DEP_3) | instskip(NEXT) | instid1(VALU_DEP_3)
	v_add_nc_u32_e32 v162, v25, v63
	v_cmp_eq_u32_e32 vcc_lo, 0, v161
	s_and_b32 s16, s15, vcc_lo
	s_delay_alu instid0(SALU_CYCLE_1)
	s_and_saveexec_b32 s15, s16
	s_cbranch_execz .LBB523_444
; %bb.443:                              ;   in Loop: Header=BB523_396 Depth=2
	s_wait_dscnt 0x0
	v_bcnt_u32_b32 v62, v62, v160
	ds_store_b32 v162, v62 offset:1056
.LBB523_444:                            ;   in Loop: Header=BB523_396 Depth=2
	s_or_b32 exec_lo, exec_lo, s15
	v_xor_b32_e32 v159, 0x7fffffff, v159
	; wave barrier
	s_delay_alu instid0(VALU_DEP_1) | instskip(NEXT) | instid1(VALU_DEP_1)
	v_lshrrev_b32_e32 v62, s43, v159
	v_bitop3_b32 v63, v62, 1, s48 bitop3:0x80
	v_and_b32_e32 v167, s48, v62
	s_delay_alu instid0(VALU_DEP_2) | instskip(NEXT) | instid1(VALU_DEP_1)
	v_add_co_u32 v62, s15, v63, -1
	v_cndmask_b32_e64 v63, 0, 1, s15
	s_delay_alu instid0(VALU_DEP_3) | instskip(NEXT) | instid1(VALU_DEP_2)
	v_lshlrev_b32_e32 v164, 30, v167
	v_cmp_ne_u32_e32 vcc_lo, 0, v63
	s_delay_alu instid0(VALU_DEP_2) | instskip(NEXT) | instid1(VALU_DEP_1)
	v_not_b32_e32 v63, v164
	v_dual_ashrrev_i32 v63, 31, v63 :: v_dual_bitop2_b32 v62, vcc_lo, v62 bitop3:0x14
	v_dual_lshlrev_b32 v165, 29, v167 :: v_dual_lshlrev_b32 v168, 28, v167
	v_dual_lshlrev_b32 v169, 27, v167 :: v_dual_lshlrev_b32 v170, 26, v167
	v_lshlrev_b32_e32 v171, 25, v167
	v_cmp_gt_i32_e64 s15, 0, v164
	s_delay_alu instid0(VALU_DEP_4)
	v_cmp_gt_i32_e64 s16, 0, v165
	v_not_b32_e32 v164, v165
	v_not_b32_e32 v165, v168
	v_lshlrev_b32_e32 v172, 24, v167
	v_cmp_gt_i32_e64 s17, 0, v168
	v_cmp_gt_i32_e64 s18, 0, v169
	v_not_b32_e32 v168, v169
	v_not_b32_e32 v169, v170
	v_dual_ashrrev_i32 v164, 31, v164 :: v_dual_ashrrev_i32 v165, 31, v165
	v_xor_b32_e32 v63, s15, v63
	v_cmp_gt_i32_e64 s19, 0, v170
	s_delay_alu instid0(VALU_DEP_4)
	v_dual_ashrrev_i32 v168, 31, v168 :: v_dual_ashrrev_i32 v169, 31, v169
	v_not_b32_e32 v170, v172
	v_xor_b32_e32 v165, s17, v165
	v_bitop3_b32 v62, v62, v63, exec_lo bitop3:0x80
	v_not_b32_e32 v63, v171
	v_xor_b32_e32 v164, s16, v164
	v_cmp_gt_i32_e64 s20, 0, v171
	v_xor_b32_e32 v168, s18, v168
	s_delay_alu instid0(VALU_DEP_4) | instskip(NEXT) | instid1(VALU_DEP_4)
	v_dual_ashrrev_i32 v63, 31, v63 :: v_dual_bitop2_b32 v169, s19, v169 bitop3:0x14
	v_bitop3_b32 v62, v62, v165, v164 bitop3:0x80
	v_cmp_gt_i32_e32 vcc_lo, 0, v172
	v_ashrrev_i32_e32 v164, 31, v170
	v_mad_u32_u24 v165, v167, 36, v25
	v_xor_b32_e32 v63, s20, v63
	v_bitop3_b32 v62, v62, v169, v168 bitop3:0x80
	s_delay_alu instid0(VALU_DEP_4) | instskip(SKIP_3) | instid1(VALU_DEP_2)
	v_xor_b32_e32 v168, vcc_lo, v164
	ds_load_b32 v164, v165 offset:1056
	; wave barrier
	v_bitop3_b32 v62, v62, v168, v63 bitop3:0x80
	v_mul_u32_u24_e32 v63, 36, v167
	v_mbcnt_lo_u32_b32 v165, v62, 0
	v_cmp_ne_u32_e64 s15, 0, v62
	s_delay_alu instid0(VALU_DEP_3) | instskip(NEXT) | instid1(VALU_DEP_3)
	v_add_nc_u32_e32 v167, v25, v63
	v_cmp_eq_u32_e32 vcc_lo, 0, v165
	s_and_b32 s16, s15, vcc_lo
	s_delay_alu instid0(SALU_CYCLE_1)
	s_and_saveexec_b32 s15, s16
	s_cbranch_execz .LBB523_446
; %bb.445:                              ;   in Loop: Header=BB523_396 Depth=2
	s_wait_dscnt 0x0
	v_bcnt_u32_b32 v62, v62, v164
	ds_store_b32 v167, v62 offset:1056
.LBB523_446:                            ;   in Loop: Header=BB523_396 Depth=2
	s_or_b32 exec_lo, exec_lo, s15
	v_xor_b32_e32 v163, 0x7fffffff, v163
	; wave barrier
	s_delay_alu instid0(VALU_DEP_1) | instskip(NEXT) | instid1(VALU_DEP_1)
	v_lshrrev_b32_e32 v62, s43, v163
	v_and_b32_e32 v170, s48, v62
	s_delay_alu instid0(VALU_DEP_1) | instskip(SKIP_1) | instid1(VALU_DEP_1)
	v_lshlrev_b32_e32 v168, 30, v170
	v_bitop3_b32 v63, v62, 1, s48 bitop3:0x80
	v_add_co_u32 v62, s15, v63, -1
	s_delay_alu instid0(VALU_DEP_1) | instskip(NEXT) | instid1(VALU_DEP_4)
	v_cndmask_b32_e64 v63, 0, 1, s15
	v_cmp_gt_i32_e64 s15, 0, v168
	s_delay_alu instid0(VALU_DEP_2) | instskip(SKIP_1) | instid1(VALU_DEP_1)
	v_cmp_ne_u32_e32 vcc_lo, 0, v63
	v_not_b32_e32 v63, v168
	v_dual_ashrrev_i32 v63, 31, v63 :: v_dual_lshlrev_b32 v169, 29, v170
	v_dual_lshlrev_b32 v171, 28, v170 :: v_dual_lshlrev_b32 v172, 27, v170
	v_dual_lshlrev_b32 v173, 26, v170 :: v_dual_lshlrev_b32 v174, 25, v170
	v_lshlrev_b32_e32 v175, 24, v170
	s_delay_alu instid0(VALU_DEP_4)
	v_cmp_gt_i32_e64 s16, 0, v169
	v_not_b32_e32 v168, v169
	v_not_b32_e32 v169, v171
	v_cmp_gt_i32_e64 s17, 0, v171
	v_cmp_gt_i32_e64 s18, 0, v172
	v_not_b32_e32 v171, v172
	v_not_b32_e32 v172, v173
	v_dual_ashrrev_i32 v168, 31, v168 :: v_dual_bitop2_b32 v62, vcc_lo, v62 bitop3:0x14
	v_dual_ashrrev_i32 v169, 31, v169 :: v_dual_bitop2_b32 v63, s15, v63 bitop3:0x14
	v_cmp_gt_i32_e64 s19, 0, v173
	s_delay_alu instid0(VALU_DEP_4) | instskip(NEXT) | instid1(VALU_DEP_3)
	v_dual_ashrrev_i32 v171, 31, v171 :: v_dual_ashrrev_i32 v172, 31, v172
	v_xor_b32_e32 v169, s17, v169
	s_delay_alu instid0(VALU_DEP_4)
	v_bitop3_b32 v62, v62, v63, exec_lo bitop3:0x80
	v_not_b32_e32 v63, v174
	v_xor_b32_e32 v168, s16, v168
	v_not_b32_e32 v173, v175
	v_cmp_gt_i32_e64 s20, 0, v174
	v_xor_b32_e32 v171, s18, v171
	v_dual_ashrrev_i32 v63, 31, v63 :: v_dual_bitop2_b32 v172, s19, v172 bitop3:0x14
	v_bitop3_b32 v62, v62, v169, v168 bitop3:0x80
	v_cmp_gt_i32_e32 vcc_lo, 0, v175
	v_ashrrev_i32_e32 v168, 31, v173
	v_mad_u32_u24 v169, v170, 36, v25
	v_xor_b32_e32 v63, s20, v63
	v_bitop3_b32 v62, v62, v172, v171 bitop3:0x80
	s_delay_alu instid0(VALU_DEP_4) | instskip(SKIP_3) | instid1(VALU_DEP_2)
	v_xor_b32_e32 v171, vcc_lo, v168
	ds_load_b32 v168, v169 offset:1056
	; wave barrier
	v_bitop3_b32 v62, v62, v171, v63 bitop3:0x80
	v_mul_u32_u24_e32 v63, 36, v170
	v_mbcnt_lo_u32_b32 v169, v62, 0
	v_cmp_ne_u32_e64 s15, 0, v62
	s_delay_alu instid0(VALU_DEP_3) | instskip(NEXT) | instid1(VALU_DEP_3)
	v_add_nc_u32_e32 v170, v25, v63
	v_cmp_eq_u32_e32 vcc_lo, 0, v169
	s_and_b32 s16, s15, vcc_lo
	s_delay_alu instid0(SALU_CYCLE_1)
	s_and_saveexec_b32 s15, s16
	s_cbranch_execz .LBB523_448
; %bb.447:                              ;   in Loop: Header=BB523_396 Depth=2
	s_wait_dscnt 0x0
	v_bcnt_u32_b32 v62, v62, v168
	ds_store_b32 v170, v62 offset:1056
.LBB523_448:                            ;   in Loop: Header=BB523_396 Depth=2
	s_or_b32 exec_lo, exec_lo, s15
	v_xor_b32_e32 v166, 0x7fffffff, v166
	; wave barrier
	s_delay_alu instid0(VALU_DEP_1) | instskip(NEXT) | instid1(VALU_DEP_1)
	v_lshrrev_b32_e32 v62, s43, v166
	v_and_b32_e32 v171, s48, v62
	s_delay_alu instid0(VALU_DEP_1) | instskip(SKIP_1) | instid1(VALU_DEP_1)
	v_lshlrev_b32_e32 v172, 30, v171
	v_bitop3_b32 v63, v62, 1, s48 bitop3:0x80
	v_add_co_u32 v62, s15, v63, -1
	s_delay_alu instid0(VALU_DEP_1) | instskip(NEXT) | instid1(VALU_DEP_4)
	v_cndmask_b32_e64 v63, 0, 1, s15
	v_cmp_gt_i32_e64 s15, 0, v172
	s_delay_alu instid0(VALU_DEP_2) | instskip(SKIP_1) | instid1(VALU_DEP_1)
	v_cmp_ne_u32_e32 vcc_lo, 0, v63
	v_not_b32_e32 v63, v172
	v_ashrrev_i32_e32 v63, 31, v63
	v_dual_lshlrev_b32 v173, 29, v171 :: v_dual_lshlrev_b32 v174, 28, v171
	v_dual_lshlrev_b32 v175, 27, v171 :: v_dual_lshlrev_b32 v176, 26, v171
	;; [unrolled: 1-line block ×3, first 2 shown]
	s_delay_alu instid0(VALU_DEP_3)
	v_cmp_gt_i32_e64 s16, 0, v173
	v_not_b32_e32 v172, v173
	v_not_b32_e32 v173, v174
	v_cmp_gt_i32_e64 s17, 0, v174
	v_cmp_gt_i32_e64 s18, 0, v175
	v_not_b32_e32 v174, v175
	v_not_b32_e32 v175, v176
	v_dual_ashrrev_i32 v172, 31, v172 :: v_dual_bitop2_b32 v62, vcc_lo, v62 bitop3:0x14
	v_dual_ashrrev_i32 v173, 31, v173 :: v_dual_bitop2_b32 v63, s15, v63 bitop3:0x14
	v_cmp_gt_i32_e64 s19, 0, v176
	s_delay_alu instid0(VALU_DEP_4) | instskip(SKIP_1) | instid1(VALU_DEP_4)
	v_dual_ashrrev_i32 v174, 31, v174 :: v_dual_ashrrev_i32 v175, 31, v175
	v_not_b32_e32 v176, v178
	v_xor_b32_e32 v173, s17, v173
	v_bitop3_b32 v62, v62, v63, exec_lo bitop3:0x80
	v_not_b32_e32 v63, v177
	v_xor_b32_e32 v172, s16, v172
	v_cmp_gt_i32_e64 s20, 0, v177
	v_xor_b32_e32 v174, s18, v174
	v_xor_b32_e32 v175, s19, v175
	v_ashrrev_i32_e32 v63, 31, v63
	v_bitop3_b32 v62, v62, v173, v172 bitop3:0x80
	v_cmp_gt_i32_e32 vcc_lo, 0, v178
	v_ashrrev_i32_e32 v172, 31, v176
	v_mad_u32_u24 v173, v171, 36, v25
	v_xor_b32_e32 v63, s20, v63
	v_bitop3_b32 v62, v62, v175, v174 bitop3:0x80
	s_delay_alu instid0(VALU_DEP_4) | instskip(SKIP_3) | instid1(VALU_DEP_2)
	v_xor_b32_e32 v174, vcc_lo, v172
	ds_load_b32 v172, v173 offset:1056
	; wave barrier
	v_bitop3_b32 v62, v62, v174, v63 bitop3:0x80
	v_mul_u32_u24_e32 v63, 36, v171
	v_mbcnt_lo_u32_b32 v173, v62, 0
	v_cmp_ne_u32_e64 s15, 0, v62
	s_delay_alu instid0(VALU_DEP_3) | instskip(NEXT) | instid1(VALU_DEP_3)
	v_add_nc_u32_e32 v174, v25, v63
	v_cmp_eq_u32_e32 vcc_lo, 0, v173
	s_and_b32 s16, s15, vcc_lo
	s_delay_alu instid0(SALU_CYCLE_1)
	s_and_saveexec_b32 s15, s16
	s_cbranch_execz .LBB523_450
; %bb.449:                              ;   in Loop: Header=BB523_396 Depth=2
	s_wait_dscnt 0x0
	v_bcnt_u32_b32 v62, v62, v172
	ds_store_b32 v174, v62 offset:1056
.LBB523_450:                            ;   in Loop: Header=BB523_396 Depth=2
	s_or_b32 exec_lo, exec_lo, s15
	v_xor_b32_e32 v171, 0x7fffffff, v69
	; wave barrier
	s_delay_alu instid0(VALU_DEP_1) | instskip(NEXT) | instid1(VALU_DEP_1)
	v_lshrrev_b32_e32 v62, s43, v171
	v_and_b32_e32 v69, s48, v62
	s_delay_alu instid0(VALU_DEP_1) | instskip(SKIP_1) | instid1(VALU_DEP_1)
	v_lshlrev_b32_e32 v175, 30, v69
	v_bitop3_b32 v63, v62, 1, s48 bitop3:0x80
	v_add_co_u32 v62, s15, v63, -1
	s_delay_alu instid0(VALU_DEP_1) | instskip(NEXT) | instid1(VALU_DEP_4)
	v_cndmask_b32_e64 v63, 0, 1, s15
	v_cmp_gt_i32_e64 s15, 0, v175
	s_delay_alu instid0(VALU_DEP_2) | instskip(SKIP_1) | instid1(VALU_DEP_1)
	v_cmp_ne_u32_e32 vcc_lo, 0, v63
	v_not_b32_e32 v63, v175
	v_dual_ashrrev_i32 v63, 31, v63 :: v_dual_lshlrev_b32 v176, 29, v69
	v_dual_lshlrev_b32 v177, 28, v69 :: v_dual_lshlrev_b32 v178, 27, v69
	v_dual_lshlrev_b32 v179, 26, v69 :: v_dual_lshlrev_b32 v180, 25, v69
	v_lshlrev_b32_e32 v181, 24, v69
	s_delay_alu instid0(VALU_DEP_4)
	v_cmp_gt_i32_e64 s16, 0, v176
	v_not_b32_e32 v175, v176
	v_not_b32_e32 v176, v177
	v_cmp_gt_i32_e64 s17, 0, v177
	v_cmp_gt_i32_e64 s18, 0, v178
	v_not_b32_e32 v177, v178
	v_not_b32_e32 v178, v179
	v_dual_ashrrev_i32 v175, 31, v175 :: v_dual_bitop2_b32 v62, vcc_lo, v62 bitop3:0x14
	v_dual_ashrrev_i32 v176, 31, v176 :: v_dual_bitop2_b32 v63, s15, v63 bitop3:0x14
	v_cmp_gt_i32_e64 s19, 0, v179
	s_delay_alu instid0(VALU_DEP_4) | instskip(NEXT) | instid1(VALU_DEP_4)
	v_dual_ashrrev_i32 v177, 31, v177 :: v_dual_ashrrev_i32 v178, 31, v178
	v_xor_b32_e32 v175, s16, v175
	s_delay_alu instid0(VALU_DEP_4)
	v_bitop3_b32 v62, v62, v63, exec_lo bitop3:0x80
	v_not_b32_e32 v63, v180
	v_xor_b32_e32 v176, s17, v176
	v_not_b32_e32 v179, v181
	v_cmp_gt_i32_e64 s20, 0, v180
	v_xor_b32_e32 v177, s18, v177
	v_dual_ashrrev_i32 v63, 31, v63 :: v_dual_bitop2_b32 v178, s19, v178 bitop3:0x14
	v_bitop3_b32 v62, v62, v176, v175 bitop3:0x80
	v_cmp_gt_i32_e32 vcc_lo, 0, v181
	v_ashrrev_i32_e32 v175, 31, v179
	v_mad_u32_u24 v176, v69, 36, v25
	v_xor_b32_e32 v63, s20, v63
	v_bitop3_b32 v62, v62, v178, v177 bitop3:0x80
	s_delay_alu instid0(VALU_DEP_4) | instskip(SKIP_3) | instid1(VALU_DEP_2)
	v_xor_b32_e32 v175, vcc_lo, v175
	ds_load_b32 v176, v176 offset:1056
	; wave barrier
	v_bitop3_b32 v62, v62, v175, v63 bitop3:0x80
	v_mul_u32_u24_e32 v63, 36, v69
	v_mbcnt_lo_u32_b32 v177, v62, 0
	v_cmp_ne_u32_e64 s15, 0, v62
	s_delay_alu instid0(VALU_DEP_3) | instskip(NEXT) | instid1(VALU_DEP_3)
	v_add_nc_u32_e32 v178, v25, v63
	v_cmp_eq_u32_e32 vcc_lo, 0, v177
	s_and_b32 s16, s15, vcc_lo
	s_delay_alu instid0(SALU_CYCLE_1)
	s_and_saveexec_b32 s15, s16
	s_cbranch_execz .LBB523_452
; %bb.451:                              ;   in Loop: Header=BB523_396 Depth=2
	s_wait_dscnt 0x0
	v_bcnt_u32_b32 v62, v62, v176
	ds_store_b32 v178, v62 offset:1056
.LBB523_452:                            ;   in Loop: Header=BB523_396 Depth=2
	s_or_b32 exec_lo, exec_lo, s15
	v_xor_b32_e32 v175, 0x7fffffff, v68
	; wave barrier
	s_delay_alu instid0(VALU_DEP_1) | instskip(NEXT) | instid1(VALU_DEP_1)
	v_lshrrev_b32_e32 v62, s43, v175
	v_and_b32_e32 v68, s48, v62
	s_delay_alu instid0(VALU_DEP_1) | instskip(SKIP_1) | instid1(VALU_DEP_1)
	v_lshlrev_b32_e32 v69, 30, v68
	v_bitop3_b32 v63, v62, 1, s48 bitop3:0x80
	v_add_co_u32 v62, s15, v63, -1
	s_delay_alu instid0(VALU_DEP_1) | instskip(NEXT) | instid1(VALU_DEP_4)
	v_cndmask_b32_e64 v63, 0, 1, s15
	v_cmp_gt_i32_e64 s15, 0, v69
	s_delay_alu instid0(VALU_DEP_2) | instskip(SKIP_1) | instid1(VALU_DEP_1)
	v_cmp_ne_u32_e32 vcc_lo, 0, v63
	v_not_b32_e32 v63, v69
	v_dual_ashrrev_i32 v63, 31, v63 :: v_dual_lshlrev_b32 v179, 29, v68
	v_dual_lshlrev_b32 v180, 28, v68 :: v_dual_lshlrev_b32 v181, 27, v68
	v_dual_lshlrev_b32 v182, 26, v68 :: v_dual_lshlrev_b32 v183, 25, v68
	v_lshlrev_b32_e32 v184, 24, v68
	s_delay_alu instid0(VALU_DEP_4)
	v_cmp_gt_i32_e64 s16, 0, v179
	v_not_b32_e32 v69, v179
	v_not_b32_e32 v179, v180
	v_cmp_gt_i32_e64 s17, 0, v180
	v_cmp_gt_i32_e64 s18, 0, v181
	v_not_b32_e32 v180, v181
	v_not_b32_e32 v181, v182
	v_dual_ashrrev_i32 v69, 31, v69 :: v_dual_bitop2_b32 v62, vcc_lo, v62 bitop3:0x14
	s_delay_alu instid0(VALU_DEP_3) | instskip(NEXT) | instid1(VALU_DEP_3)
	v_dual_ashrrev_i32 v179, 31, v179 :: v_dual_ashrrev_i32 v180, 31, v180
	v_dual_ashrrev_i32 v181, 31, v181 :: v_dual_bitop2_b32 v63, s15, v63 bitop3:0x14
	v_cmp_gt_i32_e64 s19, 0, v182
	v_not_b32_e32 v182, v184
	s_delay_alu instid0(VALU_DEP_4) | instskip(NEXT) | instid1(VALU_DEP_4)
	v_xor_b32_e32 v179, s17, v179
	v_bitop3_b32 v62, v62, v63, exec_lo bitop3:0x80
	v_not_b32_e32 v63, v183
	v_xor_b32_e32 v69, s16, v69
	v_cmp_gt_i32_e64 s20, 0, v183
	v_xor_b32_e32 v180, s18, v180
	s_delay_alu instid0(VALU_DEP_4) | instskip(NEXT) | instid1(VALU_DEP_4)
	v_dual_ashrrev_i32 v63, 31, v63 :: v_dual_bitop2_b32 v181, s19, v181 bitop3:0x14
	v_bitop3_b32 v62, v62, v179, v69 bitop3:0x80
	v_cmp_gt_i32_e32 vcc_lo, 0, v184
	v_ashrrev_i32_e32 v69, 31, v182
	v_mad_u32_u24 v179, v68, 36, v25
	v_xor_b32_e32 v63, s20, v63
	v_bitop3_b32 v62, v62, v181, v180 bitop3:0x80
	s_delay_alu instid0(VALU_DEP_4) | instskip(SKIP_3) | instid1(VALU_DEP_2)
	v_xor_b32_e32 v69, vcc_lo, v69
	ds_load_b32 v180, v179 offset:1056
	; wave barrier
	v_bitop3_b32 v62, v62, v69, v63 bitop3:0x80
	v_mul_u32_u24_e32 v63, 36, v68
	v_mbcnt_lo_u32_b32 v181, v62, 0
	v_cmp_ne_u32_e64 s15, 0, v62
	s_delay_alu instid0(VALU_DEP_3) | instskip(NEXT) | instid1(VALU_DEP_3)
	v_add_nc_u32_e32 v182, v25, v63
	v_cmp_eq_u32_e32 vcc_lo, 0, v181
	s_and_b32 s16, s15, vcc_lo
	s_delay_alu instid0(SALU_CYCLE_1)
	s_and_saveexec_b32 s15, s16
	s_cbranch_execz .LBB523_454
; %bb.453:                              ;   in Loop: Header=BB523_396 Depth=2
	s_wait_dscnt 0x0
	v_bcnt_u32_b32 v62, v62, v180
	ds_store_b32 v182, v62 offset:1056
.LBB523_454:                            ;   in Loop: Header=BB523_396 Depth=2
	s_or_b32 exec_lo, exec_lo, s15
	v_xor_b32_e32 v179, 0x7fffffff, v67
	; wave barrier
	s_delay_alu instid0(VALU_DEP_1) | instskip(NEXT) | instid1(VALU_DEP_1)
	v_lshrrev_b32_e32 v62, s43, v179
	v_bitop3_b32 v63, v62, 1, s48 bitop3:0x80
	v_and_b32_e32 v67, s48, v62
	s_delay_alu instid0(VALU_DEP_2) | instskip(NEXT) | instid1(VALU_DEP_1)
	v_add_co_u32 v62, s15, v63, -1
	v_cndmask_b32_e64 v63, 0, 1, s15
	s_delay_alu instid0(VALU_DEP_3) | instskip(NEXT) | instid1(VALU_DEP_2)
	v_lshlrev_b32_e32 v68, 30, v67
	v_cmp_ne_u32_e32 vcc_lo, 0, v63
	s_delay_alu instid0(VALU_DEP_2) | instskip(NEXT) | instid1(VALU_DEP_1)
	v_not_b32_e32 v63, v68
	v_dual_ashrrev_i32 v63, 31, v63 :: v_dual_bitop2_b32 v62, vcc_lo, v62 bitop3:0x14
	v_dual_lshlrev_b32 v69, 29, v67 :: v_dual_lshlrev_b32 v183, 28, v67
	v_dual_lshlrev_b32 v184, 27, v67 :: v_dual_lshlrev_b32 v185, 26, v67
	v_lshlrev_b32_e32 v186, 25, v67
	v_cmp_gt_i32_e64 s15, 0, v68
	s_delay_alu instid0(VALU_DEP_4)
	v_cmp_gt_i32_e64 s16, 0, v69
	v_not_b32_e32 v68, v69
	v_not_b32_e32 v69, v183
	v_lshlrev_b32_e32 v187, 24, v67
	v_cmp_gt_i32_e64 s17, 0, v183
	v_cmp_gt_i32_e64 s18, 0, v184
	v_not_b32_e32 v183, v184
	v_not_b32_e32 v184, v185
	v_dual_ashrrev_i32 v68, 31, v68 :: v_dual_ashrrev_i32 v69, 31, v69
	v_xor_b32_e32 v63, s15, v63
	v_cmp_gt_i32_e64 s19, 0, v185
	s_delay_alu instid0(VALU_DEP_4) | instskip(NEXT) | instid1(VALU_DEP_4)
	v_dual_ashrrev_i32 v183, 31, v183 :: v_dual_ashrrev_i32 v184, 31, v184
	v_xor_b32_e32 v69, s17, v69
	s_delay_alu instid0(VALU_DEP_4)
	v_bitop3_b32 v62, v62, v63, exec_lo bitop3:0x80
	v_not_b32_e32 v63, v186
	v_xor_b32_e32 v68, s16, v68
	v_not_b32_e32 v185, v187
	v_cmp_gt_i32_e64 s20, 0, v186
	v_xor_b32_e32 v183, s18, v183
	v_dual_ashrrev_i32 v63, 31, v63 :: v_dual_bitop2_b32 v184, s19, v184 bitop3:0x14
	v_bitop3_b32 v62, v62, v69, v68 bitop3:0x80
	v_cmp_gt_i32_e32 vcc_lo, 0, v187
	v_ashrrev_i32_e32 v68, 31, v185
	v_mad_u32_u24 v69, v67, 36, v25
	v_xor_b32_e32 v63, s20, v63
	v_bitop3_b32 v62, v62, v184, v183 bitop3:0x80
	s_delay_alu instid0(VALU_DEP_4) | instskip(SKIP_3) | instid1(VALU_DEP_2)
	v_xor_b32_e32 v68, vcc_lo, v68
	ds_load_b32 v184, v69 offset:1056
	; wave barrier
	v_bitop3_b32 v62, v62, v68, v63 bitop3:0x80
	v_mul_u32_u24_e32 v63, 36, v67
	v_mbcnt_lo_u32_b32 v185, v62, 0
	v_cmp_ne_u32_e64 s15, 0, v62
	s_delay_alu instid0(VALU_DEP_3) | instskip(NEXT) | instid1(VALU_DEP_3)
	v_add_nc_u32_e32 v186, v25, v63
	v_cmp_eq_u32_e32 vcc_lo, 0, v185
	s_and_b32 s16, s15, vcc_lo
	s_delay_alu instid0(SALU_CYCLE_1)
	s_and_saveexec_b32 s15, s16
	s_cbranch_execz .LBB523_456
; %bb.455:                              ;   in Loop: Header=BB523_396 Depth=2
	s_wait_dscnt 0x0
	v_bcnt_u32_b32 v62, v62, v184
	ds_store_b32 v186, v62 offset:1056
.LBB523_456:                            ;   in Loop: Header=BB523_396 Depth=2
	s_or_b32 exec_lo, exec_lo, s15
	v_xor_b32_e32 v183, 0x7fffffff, v66
	; wave barrier
	s_delay_alu instid0(VALU_DEP_1) | instskip(NEXT) | instid1(VALU_DEP_1)
	v_lshrrev_b32_e32 v62, s43, v183
	v_and_b32_e32 v66, s48, v62
	s_delay_alu instid0(VALU_DEP_1) | instskip(SKIP_1) | instid1(VALU_DEP_1)
	v_lshlrev_b32_e32 v67, 30, v66
	v_bitop3_b32 v63, v62, 1, s48 bitop3:0x80
	v_add_co_u32 v62, s15, v63, -1
	s_delay_alu instid0(VALU_DEP_1) | instskip(NEXT) | instid1(VALU_DEP_4)
	v_cndmask_b32_e64 v63, 0, 1, s15
	v_cmp_gt_i32_e64 s15, 0, v67
	s_delay_alu instid0(VALU_DEP_2) | instskip(SKIP_1) | instid1(VALU_DEP_1)
	v_cmp_ne_u32_e32 vcc_lo, 0, v63
	v_not_b32_e32 v63, v67
	v_dual_ashrrev_i32 v63, 31, v63 :: v_dual_lshlrev_b32 v68, 29, v66
	v_dual_lshlrev_b32 v69, 28, v66 :: v_dual_lshlrev_b32 v187, 27, v66
	v_dual_lshlrev_b32 v188, 26, v66 :: v_dual_lshlrev_b32 v189, 25, v66
	v_lshlrev_b32_e32 v190, 24, v66
	s_delay_alu instid0(VALU_DEP_4)
	v_cmp_gt_i32_e64 s16, 0, v68
	v_not_b32_e32 v67, v68
	v_not_b32_e32 v68, v69
	v_cmp_gt_i32_e64 s17, 0, v69
	v_cmp_gt_i32_e64 s18, 0, v187
	v_not_b32_e32 v69, v187
	v_not_b32_e32 v187, v188
	v_dual_ashrrev_i32 v67, 31, v67 :: v_dual_bitop2_b32 v62, vcc_lo, v62 bitop3:0x14
	v_dual_ashrrev_i32 v68, 31, v68 :: v_dual_bitop2_b32 v63, s15, v63 bitop3:0x14
	v_cmp_gt_i32_e64 s19, 0, v188
	s_delay_alu instid0(VALU_DEP_4) | instskip(NEXT) | instid1(VALU_DEP_4)
	v_dual_ashrrev_i32 v69, 31, v69 :: v_dual_ashrrev_i32 v187, 31, v187
	v_xor_b32_e32 v67, s16, v67
	s_delay_alu instid0(VALU_DEP_4)
	v_bitop3_b32 v62, v62, v63, exec_lo bitop3:0x80
	v_not_b32_e32 v63, v189
	v_xor_b32_e32 v68, s17, v68
	v_not_b32_e32 v188, v190
	v_cmp_gt_i32_e64 s20, 0, v189
	v_xor_b32_e32 v69, s18, v69
	v_xor_b32_e32 v187, s19, v187
	v_ashrrev_i32_e32 v63, 31, v63
	v_bitop3_b32 v62, v62, v68, v67 bitop3:0x80
	v_cmp_gt_i32_e32 vcc_lo, 0, v190
	v_ashrrev_i32_e32 v67, 31, v188
	v_mad_u32_u24 v68, v66, 36, v25
	v_xor_b32_e32 v63, s20, v63
	v_bitop3_b32 v62, v62, v187, v69 bitop3:0x80
	s_delay_alu instid0(VALU_DEP_4) | instskip(SKIP_3) | instid1(VALU_DEP_2)
	v_xor_b32_e32 v67, vcc_lo, v67
	ds_load_b32 v188, v68 offset:1056
	; wave barrier
	v_bitop3_b32 v62, v62, v67, v63 bitop3:0x80
	v_mul_u32_u24_e32 v63, 36, v66
	v_mbcnt_lo_u32_b32 v189, v62, 0
	v_cmp_ne_u32_e64 s15, 0, v62
	s_delay_alu instid0(VALU_DEP_3) | instskip(NEXT) | instid1(VALU_DEP_3)
	v_add_nc_u32_e32 v190, v25, v63
	v_cmp_eq_u32_e32 vcc_lo, 0, v189
	s_and_b32 s16, s15, vcc_lo
	s_delay_alu instid0(SALU_CYCLE_1)
	s_and_saveexec_b32 s15, s16
	s_cbranch_execz .LBB523_458
; %bb.457:                              ;   in Loop: Header=BB523_396 Depth=2
	s_wait_dscnt 0x0
	v_bcnt_u32_b32 v62, v62, v188
	ds_store_b32 v190, v62 offset:1056
.LBB523_458:                            ;   in Loop: Header=BB523_396 Depth=2
	s_or_b32 exec_lo, exec_lo, s15
	v_xor_b32_e32 v187, 0x7fffffff, v65
	; wave barrier
	s_delay_alu instid0(VALU_DEP_1) | instskip(NEXT) | instid1(VALU_DEP_1)
	v_lshrrev_b32_e32 v62, s43, v187
	v_and_b32_e32 v65, s48, v62
	s_delay_alu instid0(VALU_DEP_1) | instskip(SKIP_1) | instid1(VALU_DEP_1)
	v_lshlrev_b32_e32 v66, 30, v65
	v_bitop3_b32 v63, v62, 1, s48 bitop3:0x80
	v_add_co_u32 v62, s15, v63, -1
	s_delay_alu instid0(VALU_DEP_1) | instskip(NEXT) | instid1(VALU_DEP_4)
	v_cndmask_b32_e64 v63, 0, 1, s15
	v_cmp_gt_i32_e64 s15, 0, v66
	s_delay_alu instid0(VALU_DEP_2) | instskip(SKIP_1) | instid1(VALU_DEP_1)
	v_cmp_ne_u32_e32 vcc_lo, 0, v63
	v_not_b32_e32 v63, v66
	v_dual_ashrrev_i32 v63, 31, v63 :: v_dual_lshlrev_b32 v67, 29, v65
	v_dual_lshlrev_b32 v68, 28, v65 :: v_dual_lshlrev_b32 v69, 27, v65
	v_dual_lshlrev_b32 v191, 26, v65 :: v_dual_lshlrev_b32 v192, 25, v65
	v_lshlrev_b32_e32 v193, 24, v65
	s_delay_alu instid0(VALU_DEP_4)
	v_cmp_gt_i32_e64 s16, 0, v67
	v_not_b32_e32 v66, v67
	v_not_b32_e32 v67, v68
	v_cmp_gt_i32_e64 s17, 0, v68
	v_cmp_gt_i32_e64 s18, 0, v69
	v_not_b32_e32 v68, v69
	v_not_b32_e32 v69, v191
	v_dual_ashrrev_i32 v67, 31, v67 :: v_dual_bitop2_b32 v62, vcc_lo, v62 bitop3:0x14
	v_dual_ashrrev_i32 v66, 31, v66 :: v_dual_bitop2_b32 v63, s15, v63 bitop3:0x14
	v_cmp_gt_i32_e64 s19, 0, v191
	s_delay_alu instid0(VALU_DEP_4) | instskip(NEXT) | instid1(VALU_DEP_4)
	v_dual_ashrrev_i32 v68, 31, v68 :: v_dual_ashrrev_i32 v69, 31, v69
	v_xor_b32_e32 v67, s17, v67
	s_delay_alu instid0(VALU_DEP_4)
	v_bitop3_b32 v62, v62, v63, exec_lo bitop3:0x80
	v_not_b32_e32 v63, v192
	v_xor_b32_e32 v66, s16, v66
	v_not_b32_e32 v191, v193
	v_cmp_gt_i32_e64 s20, 0, v192
	v_xor_b32_e32 v68, s18, v68
	v_dual_ashrrev_i32 v63, 31, v63 :: v_dual_bitop2_b32 v69, s19, v69 bitop3:0x14
	v_bitop3_b32 v62, v62, v67, v66 bitop3:0x80
	v_cmp_gt_i32_e32 vcc_lo, 0, v193
	v_ashrrev_i32_e32 v66, 31, v191
	v_mad_u32_u24 v67, v65, 36, v25
	v_xor_b32_e32 v63, s20, v63
	v_bitop3_b32 v62, v62, v69, v68 bitop3:0x80
	s_delay_alu instid0(VALU_DEP_4) | instskip(SKIP_3) | instid1(VALU_DEP_2)
	v_xor_b32_e32 v66, vcc_lo, v66
	ds_load_b32 v192, v67 offset:1056
	; wave barrier
	v_bitop3_b32 v62, v62, v66, v63 bitop3:0x80
	v_mul_u32_u24_e32 v63, 36, v65
	v_mbcnt_lo_u32_b32 v193, v62, 0
	v_cmp_ne_u32_e64 s15, 0, v62
	s_delay_alu instid0(VALU_DEP_3) | instskip(NEXT) | instid1(VALU_DEP_3)
	v_add_nc_u32_e32 v194, v25, v63
	v_cmp_eq_u32_e32 vcc_lo, 0, v193
	s_and_b32 s16, s15, vcc_lo
	s_delay_alu instid0(SALU_CYCLE_1)
	s_and_saveexec_b32 s15, s16
	s_cbranch_execz .LBB523_460
; %bb.459:                              ;   in Loop: Header=BB523_396 Depth=2
	s_wait_dscnt 0x0
	v_bcnt_u32_b32 v62, v62, v192
	ds_store_b32 v194, v62 offset:1056
.LBB523_460:                            ;   in Loop: Header=BB523_396 Depth=2
	s_or_b32 exec_lo, exec_lo, s15
	v_xor_b32_e32 v191, 0x7fffffff, v64
	; wave barrier
	s_delay_alu instid0(VALU_DEP_1) | instskip(NEXT) | instid1(VALU_DEP_1)
	v_lshrrev_b32_e32 v62, s43, v191
	v_and_b32_e32 v64, s48, v62
	s_delay_alu instid0(VALU_DEP_1) | instskip(SKIP_1) | instid1(VALU_DEP_1)
	v_lshlrev_b32_e32 v65, 30, v64
	v_bitop3_b32 v63, v62, 1, s48 bitop3:0x80
	v_add_co_u32 v62, s15, v63, -1
	s_delay_alu instid0(VALU_DEP_1) | instskip(NEXT) | instid1(VALU_DEP_4)
	v_cndmask_b32_e64 v63, 0, 1, s15
	v_cmp_gt_i32_e64 s15, 0, v65
	s_delay_alu instid0(VALU_DEP_2) | instskip(SKIP_1) | instid1(VALU_DEP_1)
	v_cmp_ne_u32_e32 vcc_lo, 0, v63
	v_not_b32_e32 v63, v65
	v_dual_ashrrev_i32 v63, 31, v63 :: v_dual_lshlrev_b32 v66, 29, v64
	v_dual_lshlrev_b32 v67, 28, v64 :: v_dual_lshlrev_b32 v68, 27, v64
	v_dual_lshlrev_b32 v69, 26, v64 :: v_dual_lshlrev_b32 v195, 25, v64
	v_lshlrev_b32_e32 v196, 24, v64
	s_delay_alu instid0(VALU_DEP_4)
	v_cmp_gt_i32_e64 s16, 0, v66
	v_not_b32_e32 v65, v66
	v_not_b32_e32 v66, v67
	v_cmp_gt_i32_e64 s17, 0, v67
	v_cmp_gt_i32_e64 s18, 0, v68
	v_not_b32_e32 v67, v68
	v_not_b32_e32 v68, v69
	v_dual_ashrrev_i32 v65, 31, v65 :: v_dual_bitop2_b32 v62, vcc_lo, v62 bitop3:0x14
	v_dual_ashrrev_i32 v66, 31, v66 :: v_dual_bitop2_b32 v63, s15, v63 bitop3:0x14
	v_cmp_gt_i32_e64 s19, 0, v69
	s_delay_alu instid0(VALU_DEP_4) | instskip(SKIP_1) | instid1(VALU_DEP_4)
	v_dual_ashrrev_i32 v67, 31, v67 :: v_dual_ashrrev_i32 v68, 31, v68
	v_not_b32_e32 v69, v196
	v_xor_b32_e32 v66, s17, v66
	v_bitop3_b32 v62, v62, v63, exec_lo bitop3:0x80
	v_not_b32_e32 v63, v195
	v_xor_b32_e32 v65, s16, v65
	v_cmp_gt_i32_e64 s20, 0, v195
	v_xor_b32_e32 v67, s18, v67
	s_delay_alu instid0(VALU_DEP_4) | instskip(NEXT) | instid1(VALU_DEP_4)
	v_dual_ashrrev_i32 v63, 31, v63 :: v_dual_bitop2_b32 v68, s19, v68 bitop3:0x14
	v_bitop3_b32 v62, v62, v66, v65 bitop3:0x80
	v_cmp_gt_i32_e32 vcc_lo, 0, v196
	v_ashrrev_i32_e32 v65, 31, v69
	v_mad_u32_u24 v66, v64, 36, v25
	v_xor_b32_e32 v63, s20, v63
	v_bitop3_b32 v62, v62, v68, v67 bitop3:0x80
	s_delay_alu instid0(VALU_DEP_4) | instskip(SKIP_3) | instid1(VALU_DEP_2)
	v_xor_b32_e32 v65, vcc_lo, v65
	ds_load_b32 v195, v66 offset:1056
	; wave barrier
	v_bitop3_b32 v62, v62, v65, v63 bitop3:0x80
	v_mul_u32_u24_e32 v63, 36, v64
	v_mbcnt_lo_u32_b32 v196, v62, 0
	v_cmp_ne_u32_e64 s15, 0, v62
	s_delay_alu instid0(VALU_DEP_3) | instskip(NEXT) | instid1(VALU_DEP_3)
	v_add_nc_u32_e32 v197, v25, v63
	v_cmp_eq_u32_e32 vcc_lo, 0, v196
	s_and_b32 s16, s15, vcc_lo
	s_delay_alu instid0(SALU_CYCLE_1)
	s_and_saveexec_b32 s15, s16
	s_cbranch_execz .LBB523_462
; %bb.461:                              ;   in Loop: Header=BB523_396 Depth=2
	s_wait_dscnt 0x0
	v_bcnt_u32_b32 v62, v62, v195
	ds_store_b32 v197, v62 offset:1056
.LBB523_462:                            ;   in Loop: Header=BB523_396 Depth=2
	s_or_b32 exec_lo, exec_lo, s15
	v_lshrrev_b32_e32 v62, s43, v138
	; wave barrier
	s_delay_alu instid0(VALU_DEP_1) | instskip(NEXT) | instid1(VALU_DEP_1)
	v_and_b32_e32 v64, s48, v62
	v_lshlrev_b32_e32 v65, 30, v64
	v_bitop3_b32 v63, v62, 1, s48 bitop3:0x80
	s_delay_alu instid0(VALU_DEP_1) | instskip(NEXT) | instid1(VALU_DEP_1)
	v_add_co_u32 v62, s15, v63, -1
	v_cndmask_b32_e64 v63, 0, 1, s15
	s_delay_alu instid0(VALU_DEP_4) | instskip(NEXT) | instid1(VALU_DEP_2)
	v_cmp_gt_i32_e64 s15, 0, v65
	v_cmp_ne_u32_e32 vcc_lo, 0, v63
	v_not_b32_e32 v63, v65
	s_delay_alu instid0(VALU_DEP_1) | instskip(SKIP_3) | instid1(VALU_DEP_4)
	v_dual_ashrrev_i32 v63, 31, v63 :: v_dual_lshlrev_b32 v66, 29, v64
	v_dual_lshlrev_b32 v67, 28, v64 :: v_dual_lshlrev_b32 v68, 27, v64
	v_dual_lshlrev_b32 v69, 26, v64 :: v_dual_lshlrev_b32 v198, 25, v64
	v_lshlrev_b32_e32 v199, 24, v64
	v_cmp_gt_i32_e64 s16, 0, v66
	v_not_b32_e32 v65, v66
	v_not_b32_e32 v66, v67
	v_cmp_gt_i32_e64 s17, 0, v67
	v_xor_b32_e32 v62, vcc_lo, v62
	s_delay_alu instid0(VALU_DEP_4) | instskip(NEXT) | instid1(VALU_DEP_4)
	v_dual_ashrrev_i32 v65, 31, v65 :: v_dual_bitop2_b32 v63, s15, v63 bitop3:0x14
	v_ashrrev_i32_e32 v66, 31, v66
	v_cmp_gt_i32_e64 s18, 0, v68
	v_not_b32_e32 v67, v68
	v_not_b32_e32 v68, v69
	v_xor_b32_e32 v65, s16, v65
	v_xor_b32_e32 v66, s17, v66
	v_bitop3_b32 v62, v62, v63, exec_lo bitop3:0x80
	v_ashrrev_i32_e32 v63, 31, v67
	v_cmp_gt_i32_e32 vcc_lo, 0, v69
	v_ashrrev_i32_e32 v67, 31, v68
	v_not_b32_e32 v68, v198
	v_bitop3_b32 v62, v62, v66, v65 bitop3:0x80
	v_not_b32_e32 v65, v199
	v_xor_b32_e32 v63, s18, v63
	v_xor_b32_e32 v66, vcc_lo, v67
	v_cmp_gt_i32_e32 vcc_lo, 0, v198
	v_ashrrev_i32_e32 v67, 31, v68
	v_cmp_gt_i32_e64 s15, 0, v199
	v_ashrrev_i32_e32 v65, 31, v65
	v_mad_u32_u24 v68, v64, 36, v25
	v_bitop3_b32 v62, v62, v66, v63 bitop3:0x80
	v_xor_b32_e32 v63, vcc_lo, v67
	s_delay_alu instid0(VALU_DEP_4) | instskip(SKIP_3) | instid1(VALU_DEP_2)
	v_xor_b32_e32 v65, s15, v65
	ds_load_b32 v198, v68 offset:1056
	; wave barrier
	v_bitop3_b32 v62, v62, v65, v63 bitop3:0x80
	v_mul_u32_u24_e32 v63, 36, v64
	v_mbcnt_lo_u32_b32 v199, v62, 0
	v_cmp_ne_u32_e64 s15, 0, v62
	s_delay_alu instid0(VALU_DEP_3) | instskip(NEXT) | instid1(VALU_DEP_3)
	v_add_nc_u32_e32 v200, v25, v63
	v_cmp_eq_u32_e32 vcc_lo, 0, v199
	s_and_b32 s16, s15, vcc_lo
	s_delay_alu instid0(SALU_CYCLE_1)
	s_and_saveexec_b32 s15, s16
	s_cbranch_execz .LBB523_464
; %bb.463:                              ;   in Loop: Header=BB523_396 Depth=2
	s_wait_dscnt 0x0
	v_bcnt_u32_b32 v62, v62, v198
	ds_store_b32 v200, v62 offset:1056
.LBB523_464:                            ;   in Loop: Header=BB523_396 Depth=2
	s_or_b32 exec_lo, exec_lo, s15
	; wave barrier
	s_wait_dscnt 0x0
	s_barrier_signal -1
	s_barrier_wait -1
	ds_load_2addr_b32 v[68:69], v117 offset1:1
	ds_load_2addr_b32 v[66:67], v118 offset1:1
	;; [unrolled: 1-line block ×4, first 2 shown]
	ds_load_b32 v201, v91 offset:1088
	s_wait_dscnt 0x3
	v_add3_u32 v202, v69, v68, v66
	s_wait_dscnt 0x2
	s_delay_alu instid0(VALU_DEP_1) | instskip(SKIP_1) | instid1(VALU_DEP_1)
	v_add3_u32 v202, v202, v67, v64
	s_wait_dscnt 0x1
	v_add3_u32 v202, v202, v65, v62
	s_wait_dscnt 0x0
	s_delay_alu instid0(VALU_DEP_1) | instskip(NEXT) | instid1(VALU_DEP_1)
	v_add3_u32 v201, v202, v63, v201
	v_mov_b32_dpp v202, v201 row_shr:1 row_mask:0xf bank_mask:0xf
	s_delay_alu instid0(VALU_DEP_1) | instskip(NEXT) | instid1(VALU_DEP_1)
	v_cndmask_b32_e64 v202, v202, 0, s7
	v_add_nc_u32_e32 v201, v202, v201
	s_delay_alu instid0(VALU_DEP_1) | instskip(NEXT) | instid1(VALU_DEP_1)
	v_mov_b32_dpp v202, v201 row_shr:2 row_mask:0xf bank_mask:0xf
	v_cndmask_b32_e64 v202, 0, v202, s8
	s_delay_alu instid0(VALU_DEP_1) | instskip(NEXT) | instid1(VALU_DEP_1)
	v_add_nc_u32_e32 v201, v201, v202
	v_mov_b32_dpp v202, v201 row_shr:4 row_mask:0xf bank_mask:0xf
	s_delay_alu instid0(VALU_DEP_1) | instskip(NEXT) | instid1(VALU_DEP_1)
	v_cndmask_b32_e64 v202, 0, v202, s9
	v_add_nc_u32_e32 v201, v201, v202
	s_delay_alu instid0(VALU_DEP_1) | instskip(NEXT) | instid1(VALU_DEP_1)
	v_mov_b32_dpp v202, v201 row_shr:8 row_mask:0xf bank_mask:0xf
	v_cndmask_b32_e64 v202, 0, v202, s10
	s_delay_alu instid0(VALU_DEP_1) | instskip(SKIP_3) | instid1(VALU_DEP_1)
	v_add_nc_u32_e32 v201, v201, v202
	ds_swizzle_b32 v202, v201 offset:swizzle(BROADCAST,32,15)
	s_wait_dscnt 0x0
	v_cndmask_b32_e64 v202, v202, 0, s11
	v_add_nc_u32_e32 v201, v201, v202
	s_and_saveexec_b32 s15, s1
; %bb.465:                              ;   in Loop: Header=BB523_396 Depth=2
	ds_store_b32 v85, v201 offset:1024
; %bb.466:                              ;   in Loop: Header=BB523_396 Depth=2
	s_or_b32 exec_lo, exec_lo, s15
	s_wait_dscnt 0x0
	s_barrier_signal -1
	s_barrier_wait -1
	s_and_saveexec_b32 s15, s4
	s_cbranch_execz .LBB523_468
; %bb.467:                              ;   in Loop: Header=BB523_396 Depth=2
	ds_load_b32 v202, v93 offset:1024
	s_wait_dscnt 0x0
	v_mov_b32_dpp v203, v202 row_shr:1 row_mask:0xf bank_mask:0xf
	s_delay_alu instid0(VALU_DEP_1) | instskip(NEXT) | instid1(VALU_DEP_1)
	v_cndmask_b32_e64 v203, v203, 0, s12
	v_add_nc_u32_e32 v202, v203, v202
	s_delay_alu instid0(VALU_DEP_1) | instskip(NEXT) | instid1(VALU_DEP_1)
	v_mov_b32_dpp v203, v202 row_shr:2 row_mask:0xf bank_mask:0xf
	v_cndmask_b32_e64 v203, 0, v203, s13
	s_delay_alu instid0(VALU_DEP_1) | instskip(NEXT) | instid1(VALU_DEP_1)
	v_add_nc_u32_e32 v202, v202, v203
	v_mov_b32_dpp v203, v202 row_shr:4 row_mask:0xf bank_mask:0xf
	s_delay_alu instid0(VALU_DEP_1) | instskip(NEXT) | instid1(VALU_DEP_1)
	v_cndmask_b32_e64 v203, 0, v203, s14
	v_add_nc_u32_e32 v202, v202, v203
	ds_store_b32 v93, v202 offset:1024
.LBB523_468:                            ;   in Loop: Header=BB523_396 Depth=2
	s_or_b32 exec_lo, exec_lo, s15
	v_mov_b32_e32 v202, 0
	s_wait_dscnt 0x0
	s_barrier_signal -1
	s_barrier_wait -1
	s_and_saveexec_b32 s15, s5
; %bb.469:                              ;   in Loop: Header=BB523_396 Depth=2
	ds_load_b32 v202, v85 offset:1020
; %bb.470:                              ;   in Loop: Header=BB523_396 Depth=2
	s_or_b32 exec_lo, exec_lo, s15
	s_wait_dscnt 0x0
	v_add_nc_u32_e32 v201, v202, v201
	ds_bpermute_b32 v201, v120, v201
	s_wait_dscnt 0x0
	v_cndmask_b32_e64 v201, v201, v202, s6
	s_delay_alu instid0(VALU_DEP_1) | instskip(NEXT) | instid1(VALU_DEP_1)
	v_cndmask_b32_e64 v201, v201, 0, s2
	v_add_nc_u32_e32 v68, v201, v68
	s_delay_alu instid0(VALU_DEP_1) | instskip(NEXT) | instid1(VALU_DEP_1)
	v_add_nc_u32_e32 v69, v68, v69
	v_add_nc_u32_e32 v66, v69, v66
	s_delay_alu instid0(VALU_DEP_1) | instskip(NEXT) | instid1(VALU_DEP_1)
	v_add_nc_u32_e32 v67, v66, v67
	;; [unrolled: 3-line block ×3, first 2 shown]
	v_add_nc_u32_e32 v62, v65, v62
	s_delay_alu instid0(VALU_DEP_1)
	v_add_nc_u32_e32 v63, v62, v63
	ds_store_2addr_b32 v5, v65, v62 offset1:1
	ds_store_2addr_b32 v117, v201, v68 offset1:1
	;; [unrolled: 1-line block ×4, first 2 shown]
	ds_store_b32 v91, v63 offset:1088
	s_wait_dscnt 0x0
	s_barrier_signal -1
	s_barrier_wait -1
	ds_load_b32 v65, v142 offset:1056
	ds_load_b32 v67, v146 offset:1056
	;; [unrolled: 1-line block ×17, first 2 shown]
	v_mov_b32_e32 v64, 0x1000
	s_and_saveexec_b32 s15, s3
; %bb.471:                              ;   in Loop: Header=BB523_396 Depth=2
	ds_load_b32 v64, v91 offset:1092
; %bb.472:                              ;   in Loop: Header=BB523_396 Depth=2
	s_or_b32 exec_lo, exec_lo, s15
	s_wait_dscnt 0x0
	s_barrier_signal -1
	s_barrier_wait -1
	s_and_saveexec_b32 s15, s0
	s_cbranch_execz .LBB523_474
; %bb.473:                              ;   in Loop: Header=BB523_396 Depth=2
	ds_load_b32 v154, v4
	s_wait_dscnt 0x0
	v_sub_nc_u32_e32 v150, v154, v150
	ds_store_b32 v4, v150
.LBB523_474:                            ;   in Loop: Header=BB523_396 Depth=2
	s_or_b32 exec_lo, exec_lo, s15
	v_add3_u32 v158, v145, v144, v67
	v_add_nc_u32_e32 v162, v65, v141
	v_add3_u32 v154, v149, v148, v68
	v_add3_u32 v150, v153, v152, v69
	;; [unrolled: 1-line block ×4, first 2 shown]
	v_lshlrev_b32_e32 v62, 2, v158
	v_lshlrev_b32_e32 v152, 2, v162
	v_add3_u32 v149, v157, v156, v142
	v_add3_u32 v146, v165, v164, v201
	;; [unrolled: 1-line block ×4, first 2 shown]
	v_lshlrev_b32_e32 v63, 2, v154
	v_add3_u32 v144, v173, v172, v174
	v_lshlrev_b32_e32 v153, 2, v148
	ds_store_b32 v152, v139 offset:1024
	v_lshlrev_b32_e32 v139, 2, v150
	v_add3_u32 v142, v177, v176, v178
	v_lshlrev_b32_e32 v152, 2, v149
	v_add3_u32 v141, v181, v180, v182
	v_add3_u32 v65, v185, v184, v186
	ds_store_b32 v62, v140 offset:1024
	ds_store_b32 v63, v143 offset:1024
	;; [unrolled: 1-line block ×5, first 2 shown]
	v_dual_lshlrev_b32 v62, 2, v146 :: v_dual_lshlrev_b32 v139, 2, v144
	v_lshlrev_b32_e32 v63, 2, v145
	v_add3_u32 v67, v196, v195, v66
	v_dual_lshlrev_b32 v140, 2, v142 :: v_dual_lshlrev_b32 v143, 2, v141
	v_add3_u32 v66, v199, v198, v167
	ds_store_b32 v62, v159 offset:1024
	ds_store_b32 v63, v163 offset:1024
	;; [unrolled: 1-line block ×5, first 2 shown]
	v_dual_lshlrev_b32 v62, 2, v65 :: v_dual_lshlrev_b32 v139, 2, v68
	v_cmp_lt_u32_e32 vcc_lo, v2, v137
	v_dual_lshlrev_b32 v63, 2, v69 :: v_dual_lshlrev_b32 v140, 2, v67
	v_lshlrev_b32_e32 v143, 2, v66
	ds_store_b32 v62, v179 offset:1024
	ds_store_b32 v63, v183 offset:1024
	;; [unrolled: 1-line block ×5, first 2 shown]
	s_wait_dscnt 0x0
	s_barrier_signal -1
	s_barrier_wait -1
	s_and_saveexec_b32 s15, vcc_lo
	s_cbranch_execnz .LBB523_543
; %bb.475:                              ;   in Loop: Header=BB523_396 Depth=2
	s_or_b32 exec_lo, exec_lo, s15
	v_cmp_lt_u32_e64 s15, v3, v137
	s_and_saveexec_b32 s16, s15
	s_cbranch_execnz .LBB523_544
.LBB523_476:                            ;   in Loop: Header=BB523_396 Depth=2
	s_or_b32 exec_lo, exec_lo, s16
	v_cmp_lt_u32_e64 s16, v70, v137
	s_and_saveexec_b32 s17, s16
	s_cbranch_execnz .LBB523_545
.LBB523_477:                            ;   in Loop: Header=BB523_396 Depth=2
	s_or_b32 exec_lo, exec_lo, s17
	v_cmp_lt_u32_e64 s17, v71, v137
	s_and_saveexec_b32 s18, s17
	s_cbranch_execnz .LBB523_546
.LBB523_478:                            ;   in Loop: Header=BB523_396 Depth=2
	s_or_b32 exec_lo, exec_lo, s18
	v_cmp_lt_u32_e64 s18, v72, v137
	s_and_saveexec_b32 s19, s18
	s_cbranch_execnz .LBB523_547
.LBB523_479:                            ;   in Loop: Header=BB523_396 Depth=2
	s_or_b32 exec_lo, exec_lo, s19
	v_cmp_lt_u32_e64 s19, v73, v137
	s_and_saveexec_b32 s20, s19
	s_cbranch_execnz .LBB523_548
.LBB523_480:                            ;   in Loop: Header=BB523_396 Depth=2
	s_or_b32 exec_lo, exec_lo, s20
	v_cmp_lt_u32_e64 s20, v74, v137
	s_and_saveexec_b32 s21, s20
	s_cbranch_execnz .LBB523_549
.LBB523_481:                            ;   in Loop: Header=BB523_396 Depth=2
	s_or_b32 exec_lo, exec_lo, s21
	v_cmp_lt_u32_e64 s21, v75, v137
	s_and_saveexec_b32 s22, s21
	s_cbranch_execnz .LBB523_550
.LBB523_482:                            ;   in Loop: Header=BB523_396 Depth=2
	s_or_b32 exec_lo, exec_lo, s22
	v_cmp_lt_u32_e64 s22, v76, v137
	s_and_saveexec_b32 s23, s22
	s_cbranch_execnz .LBB523_551
.LBB523_483:                            ;   in Loop: Header=BB523_396 Depth=2
	s_or_b32 exec_lo, exec_lo, s23
	v_cmp_lt_u32_e64 s23, v77, v137
	s_and_saveexec_b32 s24, s23
	s_cbranch_execnz .LBB523_552
.LBB523_484:                            ;   in Loop: Header=BB523_396 Depth=2
	s_or_b32 exec_lo, exec_lo, s24
	v_cmp_lt_u32_e64 s24, v78, v137
	s_and_saveexec_b32 s25, s24
	s_cbranch_execnz .LBB523_553
.LBB523_485:                            ;   in Loop: Header=BB523_396 Depth=2
	s_or_b32 exec_lo, exec_lo, s25
	v_cmp_lt_u32_e64 s25, v79, v137
	s_and_saveexec_b32 s26, s25
	s_cbranch_execnz .LBB523_554
.LBB523_486:                            ;   in Loop: Header=BB523_396 Depth=2
	s_or_b32 exec_lo, exec_lo, s26
	v_cmp_lt_u32_e64 s26, v80, v137
	s_and_saveexec_b32 s27, s26
	s_cbranch_execnz .LBB523_555
.LBB523_487:                            ;   in Loop: Header=BB523_396 Depth=2
	s_or_b32 exec_lo, exec_lo, s27
	v_cmp_lt_u32_e64 s27, v81, v137
	s_and_saveexec_b32 s28, s27
	s_cbranch_execnz .LBB523_556
.LBB523_488:                            ;   in Loop: Header=BB523_396 Depth=2
	s_or_b32 exec_lo, exec_lo, s28
	v_cmp_lt_u32_e64 s28, v82, v137
	s_and_saveexec_b32 s29, s28
	s_cbranch_execnz .LBB523_557
.LBB523_489:                            ;   in Loop: Header=BB523_396 Depth=2
	s_or_b32 exec_lo, exec_lo, s29
	v_cmp_lt_u32_e64 s29, v83, v137
	s_and_saveexec_b32 s57, s29
	s_cbranch_execz .LBB523_491
.LBB523_490:                            ;   in Loop: Header=BB523_396 Depth=2
	ds_load_b32 v62, v93 offset:16384
	s_wait_dscnt 0x0
	v_lshrrev_b32_e32 v63, s43, v62
	v_xor_b32_e32 v62, 0x7fffffff, v62
	s_delay_alu instid0(VALU_DEP_2) | instskip(NEXT) | instid1(VALU_DEP_1)
	v_and_b32_e32 v63, s48, v63
	v_lshlrev_b32_e32 v63, 2, v63
	ds_load_b32 v63, v63
	s_wait_dscnt 0x0
	v_add_nc_u32_e32 v63, v63, v83
	global_store_b32 v63, v62, s[40:41] scale_offset
.LBB523_491:                            ;   in Loop: Header=BB523_396 Depth=2
	s_wait_xcnt 0x0
	s_or_b32 exec_lo, exec_lo, s57
	v_lshl_add_u64 v[62:63], s[30:31], 3, v[26:27]
	v_cmp_lt_u32_e64 s30, v99, v137
	s_and_saveexec_b32 s57, s30
	s_delay_alu instid0(SALU_CYCLE_1)
	s_xor_b32 s30, exec_lo, s57
	s_cbranch_execnz .LBB523_558
; %bb.492:                              ;   in Loop: Header=BB523_396 Depth=2
	s_or_b32 exec_lo, exec_lo, s30
	s_delay_alu instid0(SALU_CYCLE_1)
	s_mov_b32 s57, exec_lo
	v_cmpx_lt_u32_e64 v102, v137
	s_cbranch_execnz .LBB523_559
.LBB523_493:                            ;   in Loop: Header=BB523_396 Depth=2
	s_or_b32 exec_lo, exec_lo, s57
	s_delay_alu instid0(SALU_CYCLE_1)
	s_mov_b32 s57, exec_lo
	v_cmpx_lt_u32_e64 v103, v137
	s_cbranch_execnz .LBB523_560
.LBB523_494:                            ;   in Loop: Header=BB523_396 Depth=2
	s_or_b32 exec_lo, exec_lo, s57
	s_delay_alu instid0(SALU_CYCLE_1)
	s_mov_b32 s57, exec_lo
	v_cmpx_lt_u32_e64 v104, v137
	s_cbranch_execnz .LBB523_561
.LBB523_495:                            ;   in Loop: Header=BB523_396 Depth=2
	s_or_b32 exec_lo, exec_lo, s57
	s_delay_alu instid0(SALU_CYCLE_1)
	s_mov_b32 s57, exec_lo
	v_cmpx_lt_u32_e64 v105, v137
	s_cbranch_execnz .LBB523_562
.LBB523_496:                            ;   in Loop: Header=BB523_396 Depth=2
	s_or_b32 exec_lo, exec_lo, s57
	s_delay_alu instid0(SALU_CYCLE_1)
	s_mov_b32 s57, exec_lo
	v_cmpx_lt_u32_e64 v106, v137
	s_cbranch_execnz .LBB523_563
.LBB523_497:                            ;   in Loop: Header=BB523_396 Depth=2
	s_or_b32 exec_lo, exec_lo, s57
	s_delay_alu instid0(SALU_CYCLE_1)
	s_mov_b32 s57, exec_lo
	v_cmpx_lt_u32_e64 v107, v137
	s_cbranch_execnz .LBB523_564
.LBB523_498:                            ;   in Loop: Header=BB523_396 Depth=2
	s_or_b32 exec_lo, exec_lo, s57
	s_delay_alu instid0(SALU_CYCLE_1)
	s_mov_b32 s57, exec_lo
	v_cmpx_lt_u32_e64 v108, v137
	s_cbranch_execnz .LBB523_565
.LBB523_499:                            ;   in Loop: Header=BB523_396 Depth=2
	s_or_b32 exec_lo, exec_lo, s57
	s_delay_alu instid0(SALU_CYCLE_1)
	s_mov_b32 s57, exec_lo
	v_cmpx_lt_u32_e64 v109, v137
	s_cbranch_execnz .LBB523_566
.LBB523_500:                            ;   in Loop: Header=BB523_396 Depth=2
	s_or_b32 exec_lo, exec_lo, s57
	s_delay_alu instid0(SALU_CYCLE_1)
	s_mov_b32 s57, exec_lo
	v_cmpx_lt_u32_e64 v110, v137
	s_cbranch_execnz .LBB523_567
.LBB523_501:                            ;   in Loop: Header=BB523_396 Depth=2
	s_or_b32 exec_lo, exec_lo, s57
	s_delay_alu instid0(SALU_CYCLE_1)
	s_mov_b32 s57, exec_lo
	v_cmpx_lt_u32_e64 v111, v137
	s_cbranch_execnz .LBB523_568
.LBB523_502:                            ;   in Loop: Header=BB523_396 Depth=2
	s_or_b32 exec_lo, exec_lo, s57
	s_delay_alu instid0(SALU_CYCLE_1)
	s_mov_b32 s57, exec_lo
	v_cmpx_lt_u32_e64 v112, v137
	s_cbranch_execnz .LBB523_569
.LBB523_503:                            ;   in Loop: Header=BB523_396 Depth=2
	s_or_b32 exec_lo, exec_lo, s57
	s_delay_alu instid0(SALU_CYCLE_1)
	s_mov_b32 s57, exec_lo
	v_cmpx_lt_u32_e64 v113, v137
	s_cbranch_execnz .LBB523_570
.LBB523_504:                            ;   in Loop: Header=BB523_396 Depth=2
	s_or_b32 exec_lo, exec_lo, s57
	s_delay_alu instid0(SALU_CYCLE_1)
	s_mov_b32 s57, exec_lo
	v_cmpx_lt_u32_e64 v114, v137
	s_cbranch_execnz .LBB523_571
.LBB523_505:                            ;   in Loop: Header=BB523_396 Depth=2
	s_or_b32 exec_lo, exec_lo, s57
	s_delay_alu instid0(SALU_CYCLE_1)
	s_mov_b32 s57, exec_lo
	v_cmpx_lt_u32_e64 v115, v137
	s_cbranch_execnz .LBB523_572
.LBB523_506:                            ;   in Loop: Header=BB523_396 Depth=2
	s_or_b32 exec_lo, exec_lo, s57
	s_delay_alu instid0(SALU_CYCLE_1)
	s_mov_b32 s57, exec_lo
	v_cmpx_lt_u32_e64 v116, v137
	s_cbranch_execnz .LBB523_573
.LBB523_507:                            ;   in Loop: Header=BB523_396 Depth=2
	s_or_b32 exec_lo, exec_lo, s57
	s_and_saveexec_b32 s30, vcc_lo
	s_cbranch_execnz .LBB523_574
.LBB523_508:                            ;   in Loop: Header=BB523_396 Depth=2
	s_or_b32 exec_lo, exec_lo, s30
	s_and_saveexec_b32 s30, s15
	s_cbranch_execnz .LBB523_575
.LBB523_509:                            ;   in Loop: Header=BB523_396 Depth=2
	s_or_b32 exec_lo, exec_lo, s30
	s_and_saveexec_b32 s30, s16
	s_cbranch_execnz .LBB523_576
.LBB523_510:                            ;   in Loop: Header=BB523_396 Depth=2
	s_or_b32 exec_lo, exec_lo, s30
	s_and_saveexec_b32 s30, s17
	s_cbranch_execnz .LBB523_577
.LBB523_511:                            ;   in Loop: Header=BB523_396 Depth=2
	s_or_b32 exec_lo, exec_lo, s30
	s_and_saveexec_b32 s30, s18
	s_cbranch_execnz .LBB523_578
.LBB523_512:                            ;   in Loop: Header=BB523_396 Depth=2
	s_or_b32 exec_lo, exec_lo, s30
	s_and_saveexec_b32 s30, s19
	s_cbranch_execnz .LBB523_579
.LBB523_513:                            ;   in Loop: Header=BB523_396 Depth=2
	s_or_b32 exec_lo, exec_lo, s30
	s_and_saveexec_b32 s30, s20
	s_cbranch_execnz .LBB523_580
.LBB523_514:                            ;   in Loop: Header=BB523_396 Depth=2
	s_or_b32 exec_lo, exec_lo, s30
	s_and_saveexec_b32 s30, s21
	s_cbranch_execnz .LBB523_581
.LBB523_515:                            ;   in Loop: Header=BB523_396 Depth=2
	s_or_b32 exec_lo, exec_lo, s30
	s_and_saveexec_b32 s30, s22
	s_cbranch_execnz .LBB523_582
.LBB523_516:                            ;   in Loop: Header=BB523_396 Depth=2
	s_or_b32 exec_lo, exec_lo, s30
	s_and_saveexec_b32 s30, s23
	s_cbranch_execnz .LBB523_583
.LBB523_517:                            ;   in Loop: Header=BB523_396 Depth=2
	s_or_b32 exec_lo, exec_lo, s30
	s_and_saveexec_b32 s30, s24
	s_cbranch_execnz .LBB523_584
.LBB523_518:                            ;   in Loop: Header=BB523_396 Depth=2
	s_or_b32 exec_lo, exec_lo, s30
	s_and_saveexec_b32 s30, s25
	s_cbranch_execnz .LBB523_585
.LBB523_519:                            ;   in Loop: Header=BB523_396 Depth=2
	s_or_b32 exec_lo, exec_lo, s30
	s_and_saveexec_b32 s30, s26
	s_cbranch_execnz .LBB523_586
.LBB523_520:                            ;   in Loop: Header=BB523_396 Depth=2
	s_or_b32 exec_lo, exec_lo, s30
	s_and_saveexec_b32 s30, s27
	s_cbranch_execnz .LBB523_587
.LBB523_521:                            ;   in Loop: Header=BB523_396 Depth=2
	s_or_b32 exec_lo, exec_lo, s30
	s_and_saveexec_b32 s30, s28
	s_cbranch_execnz .LBB523_588
.LBB523_522:                            ;   in Loop: Header=BB523_396 Depth=2
	s_or_b32 exec_lo, exec_lo, s30
	s_and_saveexec_b32 s30, s29
	s_cbranch_execz .LBB523_524
.LBB523_523:                            ;   in Loop: Header=BB523_396 Depth=2
	ds_load_b32 v62, v93 offset:16384
	s_wait_dscnt 0x0
	v_lshrrev_b32_e32 v62, s43, v62
	s_delay_alu instid0(VALU_DEP_1)
	v_and_b32_e32 v121, s48, v62
.LBB523_524:                            ;   in Loop: Header=BB523_396 Depth=2
	s_or_b32 exec_lo, exec_lo, s30
	v_dual_lshlrev_b32 v62, 3, v162 :: v_dual_lshlrev_b32 v138, 3, v149
	s_wait_loadcnt 0x0
	s_wait_storecnt 0x0
	s_barrier_signal -1
	s_barrier_wait -1
	ds_store_b64 v62, v[60:61] offset:1024
	v_dual_lshlrev_b32 v62, 3, v158 :: v_dual_lshlrev_b32 v139, 3, v148
	v_lshlrev_b32_e32 v63, 3, v154
	v_lshlrev_b32_e32 v137, 3, v150
	ds_store_b64 v62, v[58:59] offset:1024
	ds_store_b64 v63, v[56:57] offset:1024
	;; [unrolled: 1-line block ×5, first 2 shown]
	v_dual_lshlrev_b32 v62, 3, v146 :: v_dual_lshlrev_b32 v139, 3, v141
	v_dual_lshlrev_b32 v63, 3, v145 :: v_dual_lshlrev_b32 v137, 3, v144
	v_lshlrev_b32_e32 v138, 3, v142
	ds_store_b64 v62, v[48:49] offset:1024
	ds_store_b64 v63, v[46:47] offset:1024
	;; [unrolled: 1-line block ×5, first 2 shown]
	v_lshlrev_b32_e32 v62, 3, v65
	v_dual_lshlrev_b32 v63, 3, v69 :: v_dual_lshlrev_b32 v65, 3, v68
	v_dual_lshlrev_b32 v67, 3, v67 :: v_dual_lshlrev_b32 v66, 3, v66
	ds_store_b64 v62, v[38:39] offset:1024
	ds_store_b64 v63, v[36:37] offset:1024
	ds_store_b64 v65, v[34:35] offset:1024
	ds_store_b64 v67, v[32:33] offset:1024
	ds_store_b64 v66, v[30:31] offset:1024
	s_wait_dscnt 0x0
	s_barrier_signal -1
	s_barrier_wait -1
	s_and_saveexec_b32 s30, vcc_lo
	s_cbranch_execnz .LBB523_589
; %bb.525:                              ;   in Loop: Header=BB523_396 Depth=2
	s_or_b32 exec_lo, exec_lo, s30
	s_and_saveexec_b32 s30, s15
	s_cbranch_execnz .LBB523_590
.LBB523_526:                            ;   in Loop: Header=BB523_396 Depth=2
	s_or_b32 exec_lo, exec_lo, s30
	s_and_saveexec_b32 s15, s16
	s_cbranch_execnz .LBB523_591
.LBB523_527:                            ;   in Loop: Header=BB523_396 Depth=2
	s_or_b32 exec_lo, exec_lo, s15
	s_and_saveexec_b32 s15, s17
	s_cbranch_execnz .LBB523_592
.LBB523_528:                            ;   in Loop: Header=BB523_396 Depth=2
	s_or_b32 exec_lo, exec_lo, s15
	s_and_saveexec_b32 s15, s18
	s_cbranch_execnz .LBB523_593
.LBB523_529:                            ;   in Loop: Header=BB523_396 Depth=2
	s_or_b32 exec_lo, exec_lo, s15
	s_and_saveexec_b32 s15, s19
	s_cbranch_execnz .LBB523_594
.LBB523_530:                            ;   in Loop: Header=BB523_396 Depth=2
	s_or_b32 exec_lo, exec_lo, s15
	s_and_saveexec_b32 s15, s20
	s_cbranch_execnz .LBB523_595
.LBB523_531:                            ;   in Loop: Header=BB523_396 Depth=2
	s_or_b32 exec_lo, exec_lo, s15
	s_and_saveexec_b32 s15, s21
	s_cbranch_execnz .LBB523_596
.LBB523_532:                            ;   in Loop: Header=BB523_396 Depth=2
	s_or_b32 exec_lo, exec_lo, s15
	s_and_saveexec_b32 s15, s22
	s_cbranch_execnz .LBB523_597
.LBB523_533:                            ;   in Loop: Header=BB523_396 Depth=2
	s_or_b32 exec_lo, exec_lo, s15
	s_and_saveexec_b32 s15, s23
	s_cbranch_execnz .LBB523_598
.LBB523_534:                            ;   in Loop: Header=BB523_396 Depth=2
	s_or_b32 exec_lo, exec_lo, s15
	s_and_saveexec_b32 s15, s24
	s_cbranch_execnz .LBB523_599
.LBB523_535:                            ;   in Loop: Header=BB523_396 Depth=2
	s_or_b32 exec_lo, exec_lo, s15
	s_and_saveexec_b32 s15, s25
	s_cbranch_execnz .LBB523_600
.LBB523_536:                            ;   in Loop: Header=BB523_396 Depth=2
	s_or_b32 exec_lo, exec_lo, s15
	s_and_saveexec_b32 s15, s26
	s_cbranch_execnz .LBB523_601
.LBB523_537:                            ;   in Loop: Header=BB523_396 Depth=2
	s_or_b32 exec_lo, exec_lo, s15
	s_and_saveexec_b32 s15, s27
	s_cbranch_execnz .LBB523_602
.LBB523_538:                            ;   in Loop: Header=BB523_396 Depth=2
	s_or_b32 exec_lo, exec_lo, s15
	s_and_saveexec_b32 s15, s28
	s_cbranch_execnz .LBB523_603
.LBB523_539:                            ;   in Loop: Header=BB523_396 Depth=2
	s_or_b32 exec_lo, exec_lo, s15
	s_and_saveexec_b32 s15, s29
	s_cbranch_execz .LBB523_541
.LBB523_540:                            ;   in Loop: Header=BB523_396 Depth=2
	v_dual_lshlrev_b32 v62, 2, v121 :: v_dual_add_nc_u32 v63, v93, v4
	ds_load_b32 v65, v62
	ds_load_b64 v[62:63], v63 offset:31744
	s_wait_dscnt 0x1
	v_add_nc_u32_e32 v65, v65, v83
	s_wait_dscnt 0x0
	global_store_b64 v65, v[62:63], s[46:47] scale_offset
.LBB523_541:                            ;   in Loop: Header=BB523_396 Depth=2
	s_wait_xcnt 0x0
	s_or_b32 exec_lo, exec_lo, s15
	s_wait_storecnt 0x0
	s_barrier_signal -1
	s_barrier_wait -1
	s_and_saveexec_b32 s15, s0
	s_cbranch_execz .LBB523_395
; %bb.542:                              ;   in Loop: Header=BB523_396 Depth=2
	ds_load_b32 v62, v4
	s_wait_dscnt 0x0
	v_add_nc_u32_e32 v62, v62, v64
	ds_store_b32 v4, v62
	s_branch .LBB523_395
.LBB523_543:                            ;   in Loop: Header=BB523_396 Depth=2
	ds_load_b32 v62, v93 offset:1024
	s_wait_dscnt 0x0
	v_lshrrev_b32_e32 v63, s43, v62
	v_xor_b32_e32 v62, 0x7fffffff, v62
	s_delay_alu instid0(VALU_DEP_2) | instskip(NEXT) | instid1(VALU_DEP_1)
	v_and_b32_e32 v63, s48, v63
	v_lshlrev_b32_e32 v63, 2, v63
	ds_load_b32 v63, v63
	s_wait_dscnt 0x0
	v_add_nc_u32_e32 v63, v63, v2
	global_store_b32 v63, v62, s[40:41] scale_offset
	s_wait_xcnt 0x0
	s_or_b32 exec_lo, exec_lo, s15
	v_cmp_lt_u32_e64 s15, v3, v137
	s_and_saveexec_b32 s16, s15
	s_cbranch_execz .LBB523_476
.LBB523_544:                            ;   in Loop: Header=BB523_396 Depth=2
	ds_load_b32 v62, v93 offset:2048
	s_wait_dscnt 0x0
	v_lshrrev_b32_e32 v63, s43, v62
	v_xor_b32_e32 v62, 0x7fffffff, v62
	s_delay_alu instid0(VALU_DEP_2) | instskip(NEXT) | instid1(VALU_DEP_1)
	v_and_b32_e32 v63, s48, v63
	v_lshlrev_b32_e32 v63, 2, v63
	ds_load_b32 v63, v63
	s_wait_dscnt 0x0
	v_add_nc_u32_e32 v63, v63, v3
	global_store_b32 v63, v62, s[40:41] scale_offset
	s_wait_xcnt 0x0
	s_or_b32 exec_lo, exec_lo, s16
	v_cmp_lt_u32_e64 s16, v70, v137
	s_and_saveexec_b32 s17, s16
	s_cbranch_execz .LBB523_477
.LBB523_545:                            ;   in Loop: Header=BB523_396 Depth=2
	ds_load_b32 v62, v93 offset:3072
	s_wait_dscnt 0x0
	v_lshrrev_b32_e32 v63, s43, v62
	v_xor_b32_e32 v62, 0x7fffffff, v62
	s_delay_alu instid0(VALU_DEP_2) | instskip(NEXT) | instid1(VALU_DEP_1)
	v_and_b32_e32 v63, s48, v63
	v_lshlrev_b32_e32 v63, 2, v63
	ds_load_b32 v63, v63
	s_wait_dscnt 0x0
	v_add_nc_u32_e32 v63, v63, v70
	global_store_b32 v63, v62, s[40:41] scale_offset
	s_wait_xcnt 0x0
	s_or_b32 exec_lo, exec_lo, s17
	v_cmp_lt_u32_e64 s17, v71, v137
	s_and_saveexec_b32 s18, s17
	s_cbranch_execz .LBB523_478
.LBB523_546:                            ;   in Loop: Header=BB523_396 Depth=2
	ds_load_b32 v62, v93 offset:4096
	s_wait_dscnt 0x0
	v_lshrrev_b32_e32 v63, s43, v62
	v_xor_b32_e32 v62, 0x7fffffff, v62
	s_delay_alu instid0(VALU_DEP_2) | instskip(NEXT) | instid1(VALU_DEP_1)
	v_and_b32_e32 v63, s48, v63
	v_lshlrev_b32_e32 v63, 2, v63
	ds_load_b32 v63, v63
	s_wait_dscnt 0x0
	v_add_nc_u32_e32 v63, v63, v71
	global_store_b32 v63, v62, s[40:41] scale_offset
	s_wait_xcnt 0x0
	s_or_b32 exec_lo, exec_lo, s18
	v_cmp_lt_u32_e64 s18, v72, v137
	s_and_saveexec_b32 s19, s18
	s_cbranch_execz .LBB523_479
.LBB523_547:                            ;   in Loop: Header=BB523_396 Depth=2
	ds_load_b32 v62, v93 offset:5120
	s_wait_dscnt 0x0
	v_lshrrev_b32_e32 v63, s43, v62
	v_xor_b32_e32 v62, 0x7fffffff, v62
	s_delay_alu instid0(VALU_DEP_2) | instskip(NEXT) | instid1(VALU_DEP_1)
	v_and_b32_e32 v63, s48, v63
	v_lshlrev_b32_e32 v63, 2, v63
	ds_load_b32 v63, v63
	s_wait_dscnt 0x0
	v_add_nc_u32_e32 v63, v63, v72
	global_store_b32 v63, v62, s[40:41] scale_offset
	s_wait_xcnt 0x0
	s_or_b32 exec_lo, exec_lo, s19
	v_cmp_lt_u32_e64 s19, v73, v137
	s_and_saveexec_b32 s20, s19
	s_cbranch_execz .LBB523_480
.LBB523_548:                            ;   in Loop: Header=BB523_396 Depth=2
	ds_load_b32 v62, v93 offset:6144
	s_wait_dscnt 0x0
	v_lshrrev_b32_e32 v63, s43, v62
	v_xor_b32_e32 v62, 0x7fffffff, v62
	s_delay_alu instid0(VALU_DEP_2) | instskip(NEXT) | instid1(VALU_DEP_1)
	v_and_b32_e32 v63, s48, v63
	v_lshlrev_b32_e32 v63, 2, v63
	ds_load_b32 v63, v63
	s_wait_dscnt 0x0
	v_add_nc_u32_e32 v63, v63, v73
	global_store_b32 v63, v62, s[40:41] scale_offset
	s_wait_xcnt 0x0
	s_or_b32 exec_lo, exec_lo, s20
	v_cmp_lt_u32_e64 s20, v74, v137
	s_and_saveexec_b32 s21, s20
	s_cbranch_execz .LBB523_481
.LBB523_549:                            ;   in Loop: Header=BB523_396 Depth=2
	ds_load_b32 v62, v93 offset:7168
	s_wait_dscnt 0x0
	v_lshrrev_b32_e32 v63, s43, v62
	v_xor_b32_e32 v62, 0x7fffffff, v62
	s_delay_alu instid0(VALU_DEP_2) | instskip(NEXT) | instid1(VALU_DEP_1)
	v_and_b32_e32 v63, s48, v63
	v_lshlrev_b32_e32 v63, 2, v63
	ds_load_b32 v63, v63
	s_wait_dscnt 0x0
	v_add_nc_u32_e32 v63, v63, v74
	global_store_b32 v63, v62, s[40:41] scale_offset
	s_wait_xcnt 0x0
	s_or_b32 exec_lo, exec_lo, s21
	v_cmp_lt_u32_e64 s21, v75, v137
	s_and_saveexec_b32 s22, s21
	s_cbranch_execz .LBB523_482
.LBB523_550:                            ;   in Loop: Header=BB523_396 Depth=2
	ds_load_b32 v62, v93 offset:8192
	s_wait_dscnt 0x0
	v_lshrrev_b32_e32 v63, s43, v62
	v_xor_b32_e32 v62, 0x7fffffff, v62
	s_delay_alu instid0(VALU_DEP_2) | instskip(NEXT) | instid1(VALU_DEP_1)
	v_and_b32_e32 v63, s48, v63
	v_lshlrev_b32_e32 v63, 2, v63
	ds_load_b32 v63, v63
	s_wait_dscnt 0x0
	v_add_nc_u32_e32 v63, v63, v75
	global_store_b32 v63, v62, s[40:41] scale_offset
	s_wait_xcnt 0x0
	s_or_b32 exec_lo, exec_lo, s22
	v_cmp_lt_u32_e64 s22, v76, v137
	s_and_saveexec_b32 s23, s22
	s_cbranch_execz .LBB523_483
.LBB523_551:                            ;   in Loop: Header=BB523_396 Depth=2
	ds_load_b32 v62, v93 offset:9216
	s_wait_dscnt 0x0
	v_lshrrev_b32_e32 v63, s43, v62
	v_xor_b32_e32 v62, 0x7fffffff, v62
	s_delay_alu instid0(VALU_DEP_2) | instskip(NEXT) | instid1(VALU_DEP_1)
	v_and_b32_e32 v63, s48, v63
	v_lshlrev_b32_e32 v63, 2, v63
	ds_load_b32 v63, v63
	s_wait_dscnt 0x0
	v_add_nc_u32_e32 v63, v63, v76
	global_store_b32 v63, v62, s[40:41] scale_offset
	s_wait_xcnt 0x0
	s_or_b32 exec_lo, exec_lo, s23
	v_cmp_lt_u32_e64 s23, v77, v137
	s_and_saveexec_b32 s24, s23
	s_cbranch_execz .LBB523_484
.LBB523_552:                            ;   in Loop: Header=BB523_396 Depth=2
	ds_load_b32 v62, v93 offset:10240
	s_wait_dscnt 0x0
	v_lshrrev_b32_e32 v63, s43, v62
	v_xor_b32_e32 v62, 0x7fffffff, v62
	s_delay_alu instid0(VALU_DEP_2) | instskip(NEXT) | instid1(VALU_DEP_1)
	v_and_b32_e32 v63, s48, v63
	v_lshlrev_b32_e32 v63, 2, v63
	ds_load_b32 v63, v63
	s_wait_dscnt 0x0
	v_add_nc_u32_e32 v63, v63, v77
	global_store_b32 v63, v62, s[40:41] scale_offset
	s_wait_xcnt 0x0
	s_or_b32 exec_lo, exec_lo, s24
	v_cmp_lt_u32_e64 s24, v78, v137
	s_and_saveexec_b32 s25, s24
	s_cbranch_execz .LBB523_485
.LBB523_553:                            ;   in Loop: Header=BB523_396 Depth=2
	ds_load_b32 v62, v93 offset:11264
	s_wait_dscnt 0x0
	v_lshrrev_b32_e32 v63, s43, v62
	v_xor_b32_e32 v62, 0x7fffffff, v62
	s_delay_alu instid0(VALU_DEP_2) | instskip(NEXT) | instid1(VALU_DEP_1)
	v_and_b32_e32 v63, s48, v63
	v_lshlrev_b32_e32 v63, 2, v63
	ds_load_b32 v63, v63
	s_wait_dscnt 0x0
	v_add_nc_u32_e32 v63, v63, v78
	global_store_b32 v63, v62, s[40:41] scale_offset
	s_wait_xcnt 0x0
	s_or_b32 exec_lo, exec_lo, s25
	v_cmp_lt_u32_e64 s25, v79, v137
	s_and_saveexec_b32 s26, s25
	s_cbranch_execz .LBB523_486
.LBB523_554:                            ;   in Loop: Header=BB523_396 Depth=2
	ds_load_b32 v62, v93 offset:12288
	s_wait_dscnt 0x0
	v_lshrrev_b32_e32 v63, s43, v62
	v_xor_b32_e32 v62, 0x7fffffff, v62
	s_delay_alu instid0(VALU_DEP_2) | instskip(NEXT) | instid1(VALU_DEP_1)
	v_and_b32_e32 v63, s48, v63
	v_lshlrev_b32_e32 v63, 2, v63
	ds_load_b32 v63, v63
	s_wait_dscnt 0x0
	v_add_nc_u32_e32 v63, v63, v79
	global_store_b32 v63, v62, s[40:41] scale_offset
	s_wait_xcnt 0x0
	s_or_b32 exec_lo, exec_lo, s26
	v_cmp_lt_u32_e64 s26, v80, v137
	s_and_saveexec_b32 s27, s26
	s_cbranch_execz .LBB523_487
.LBB523_555:                            ;   in Loop: Header=BB523_396 Depth=2
	ds_load_b32 v62, v93 offset:13312
	s_wait_dscnt 0x0
	v_lshrrev_b32_e32 v63, s43, v62
	v_xor_b32_e32 v62, 0x7fffffff, v62
	s_delay_alu instid0(VALU_DEP_2) | instskip(NEXT) | instid1(VALU_DEP_1)
	v_and_b32_e32 v63, s48, v63
	v_lshlrev_b32_e32 v63, 2, v63
	ds_load_b32 v63, v63
	s_wait_dscnt 0x0
	v_add_nc_u32_e32 v63, v63, v80
	global_store_b32 v63, v62, s[40:41] scale_offset
	s_wait_xcnt 0x0
	s_or_b32 exec_lo, exec_lo, s27
	v_cmp_lt_u32_e64 s27, v81, v137
	s_and_saveexec_b32 s28, s27
	s_cbranch_execz .LBB523_488
.LBB523_556:                            ;   in Loop: Header=BB523_396 Depth=2
	ds_load_b32 v62, v93 offset:14336
	s_wait_dscnt 0x0
	v_lshrrev_b32_e32 v63, s43, v62
	v_xor_b32_e32 v62, 0x7fffffff, v62
	s_delay_alu instid0(VALU_DEP_2) | instskip(NEXT) | instid1(VALU_DEP_1)
	v_and_b32_e32 v63, s48, v63
	v_lshlrev_b32_e32 v63, 2, v63
	ds_load_b32 v63, v63
	s_wait_dscnt 0x0
	v_add_nc_u32_e32 v63, v63, v81
	global_store_b32 v63, v62, s[40:41] scale_offset
	s_wait_xcnt 0x0
	s_or_b32 exec_lo, exec_lo, s28
	v_cmp_lt_u32_e64 s28, v82, v137
	s_and_saveexec_b32 s29, s28
	s_cbranch_execz .LBB523_489
.LBB523_557:                            ;   in Loop: Header=BB523_396 Depth=2
	ds_load_b32 v62, v93 offset:15360
	s_wait_dscnt 0x0
	v_lshrrev_b32_e32 v63, s43, v62
	v_xor_b32_e32 v62, 0x7fffffff, v62
	s_delay_alu instid0(VALU_DEP_2) | instskip(NEXT) | instid1(VALU_DEP_1)
	v_and_b32_e32 v63, s48, v63
	v_lshlrev_b32_e32 v63, 2, v63
	ds_load_b32 v63, v63
	s_wait_dscnt 0x0
	v_add_nc_u32_e32 v63, v63, v82
	global_store_b32 v63, v62, s[40:41] scale_offset
	s_wait_xcnt 0x0
	s_or_b32 exec_lo, exec_lo, s29
	v_cmp_lt_u32_e64 s29, v83, v137
	s_and_saveexec_b32 s57, s29
	s_cbranch_execnz .LBB523_490
	s_branch .LBB523_491
.LBB523_558:                            ;   in Loop: Header=BB523_396 Depth=2
	global_load_b64 v[60:61], v[62:63], off
	s_wait_xcnt 0x0
	s_or_b32 exec_lo, exec_lo, s30
	s_delay_alu instid0(SALU_CYCLE_1)
	s_mov_b32 s57, exec_lo
	v_cmpx_lt_u32_e64 v102, v137
	s_cbranch_execz .LBB523_493
.LBB523_559:                            ;   in Loop: Header=BB523_396 Depth=2
	global_load_b64 v[58:59], v[62:63], off offset:256
	s_wait_xcnt 0x0
	s_or_b32 exec_lo, exec_lo, s57
	s_delay_alu instid0(SALU_CYCLE_1)
	s_mov_b32 s57, exec_lo
	v_cmpx_lt_u32_e64 v103, v137
	s_cbranch_execz .LBB523_494
.LBB523_560:                            ;   in Loop: Header=BB523_396 Depth=2
	global_load_b64 v[56:57], v[62:63], off offset:512
	s_wait_xcnt 0x0
	s_or_b32 exec_lo, exec_lo, s57
	s_delay_alu instid0(SALU_CYCLE_1)
	s_mov_b32 s57, exec_lo
	v_cmpx_lt_u32_e64 v104, v137
	s_cbranch_execz .LBB523_495
.LBB523_561:                            ;   in Loop: Header=BB523_396 Depth=2
	global_load_b64 v[54:55], v[62:63], off offset:768
	s_wait_xcnt 0x0
	s_or_b32 exec_lo, exec_lo, s57
	s_delay_alu instid0(SALU_CYCLE_1)
	s_mov_b32 s57, exec_lo
	v_cmpx_lt_u32_e64 v105, v137
	s_cbranch_execz .LBB523_496
.LBB523_562:                            ;   in Loop: Header=BB523_396 Depth=2
	global_load_b64 v[52:53], v[62:63], off offset:1024
	s_wait_xcnt 0x0
	s_or_b32 exec_lo, exec_lo, s57
	s_delay_alu instid0(SALU_CYCLE_1)
	s_mov_b32 s57, exec_lo
	v_cmpx_lt_u32_e64 v106, v137
	s_cbranch_execz .LBB523_497
.LBB523_563:                            ;   in Loop: Header=BB523_396 Depth=2
	global_load_b64 v[50:51], v[62:63], off offset:1280
	s_wait_xcnt 0x0
	s_or_b32 exec_lo, exec_lo, s57
	s_delay_alu instid0(SALU_CYCLE_1)
	s_mov_b32 s57, exec_lo
	v_cmpx_lt_u32_e64 v107, v137
	s_cbranch_execz .LBB523_498
.LBB523_564:                            ;   in Loop: Header=BB523_396 Depth=2
	global_load_b64 v[48:49], v[62:63], off offset:1536
	s_wait_xcnt 0x0
	s_or_b32 exec_lo, exec_lo, s57
	s_delay_alu instid0(SALU_CYCLE_1)
	s_mov_b32 s57, exec_lo
	v_cmpx_lt_u32_e64 v108, v137
	s_cbranch_execz .LBB523_499
.LBB523_565:                            ;   in Loop: Header=BB523_396 Depth=2
	global_load_b64 v[46:47], v[62:63], off offset:1792
	s_wait_xcnt 0x0
	s_or_b32 exec_lo, exec_lo, s57
	s_delay_alu instid0(SALU_CYCLE_1)
	s_mov_b32 s57, exec_lo
	v_cmpx_lt_u32_e64 v109, v137
	s_cbranch_execz .LBB523_500
.LBB523_566:                            ;   in Loop: Header=BB523_396 Depth=2
	global_load_b64 v[44:45], v[62:63], off offset:2048
	s_wait_xcnt 0x0
	s_or_b32 exec_lo, exec_lo, s57
	s_delay_alu instid0(SALU_CYCLE_1)
	s_mov_b32 s57, exec_lo
	v_cmpx_lt_u32_e64 v110, v137
	s_cbranch_execz .LBB523_501
.LBB523_567:                            ;   in Loop: Header=BB523_396 Depth=2
	global_load_b64 v[42:43], v[62:63], off offset:2304
	s_wait_xcnt 0x0
	s_or_b32 exec_lo, exec_lo, s57
	s_delay_alu instid0(SALU_CYCLE_1)
	s_mov_b32 s57, exec_lo
	v_cmpx_lt_u32_e64 v111, v137
	s_cbranch_execz .LBB523_502
.LBB523_568:                            ;   in Loop: Header=BB523_396 Depth=2
	global_load_b64 v[40:41], v[62:63], off offset:2560
	s_wait_xcnt 0x0
	s_or_b32 exec_lo, exec_lo, s57
	s_delay_alu instid0(SALU_CYCLE_1)
	s_mov_b32 s57, exec_lo
	v_cmpx_lt_u32_e64 v112, v137
	s_cbranch_execz .LBB523_503
.LBB523_569:                            ;   in Loop: Header=BB523_396 Depth=2
	global_load_b64 v[38:39], v[62:63], off offset:2816
	s_wait_xcnt 0x0
	s_or_b32 exec_lo, exec_lo, s57
	s_delay_alu instid0(SALU_CYCLE_1)
	s_mov_b32 s57, exec_lo
	v_cmpx_lt_u32_e64 v113, v137
	s_cbranch_execz .LBB523_504
.LBB523_570:                            ;   in Loop: Header=BB523_396 Depth=2
	global_load_b64 v[36:37], v[62:63], off offset:3072
	s_wait_xcnt 0x0
	s_or_b32 exec_lo, exec_lo, s57
	s_delay_alu instid0(SALU_CYCLE_1)
	s_mov_b32 s57, exec_lo
	v_cmpx_lt_u32_e64 v114, v137
	s_cbranch_execz .LBB523_505
.LBB523_571:                            ;   in Loop: Header=BB523_396 Depth=2
	global_load_b64 v[34:35], v[62:63], off offset:3328
	s_wait_xcnt 0x0
	s_or_b32 exec_lo, exec_lo, s57
	s_delay_alu instid0(SALU_CYCLE_1)
	s_mov_b32 s57, exec_lo
	v_cmpx_lt_u32_e64 v115, v137
	s_cbranch_execz .LBB523_506
.LBB523_572:                            ;   in Loop: Header=BB523_396 Depth=2
	global_load_b64 v[32:33], v[62:63], off offset:3584
	s_wait_xcnt 0x0
	s_or_b32 exec_lo, exec_lo, s57
	s_delay_alu instid0(SALU_CYCLE_1)
	s_mov_b32 s57, exec_lo
	v_cmpx_lt_u32_e64 v116, v137
	s_cbranch_execz .LBB523_507
.LBB523_573:                            ;   in Loop: Header=BB523_396 Depth=2
	global_load_b64 v[30:31], v[62:63], off offset:3840
	s_wait_xcnt 0x0
	s_or_b32 exec_lo, exec_lo, s57
	s_and_saveexec_b32 s30, vcc_lo
	s_cbranch_execz .LBB523_508
.LBB523_574:                            ;   in Loop: Header=BB523_396 Depth=2
	ds_load_b32 v62, v93 offset:1024
	s_wait_dscnt 0x0
	v_lshrrev_b32_e32 v62, s43, v62
	s_delay_alu instid0(VALU_DEP_1)
	v_and_b32_e32 v136, s48, v62
	s_or_b32 exec_lo, exec_lo, s30
	s_and_saveexec_b32 s30, s15
	s_cbranch_execz .LBB523_509
.LBB523_575:                            ;   in Loop: Header=BB523_396 Depth=2
	ds_load_b32 v62, v93 offset:2048
	s_wait_dscnt 0x0
	v_lshrrev_b32_e32 v62, s43, v62
	s_delay_alu instid0(VALU_DEP_1)
	v_and_b32_e32 v135, s48, v62
	s_or_b32 exec_lo, exec_lo, s30
	s_and_saveexec_b32 s30, s16
	s_cbranch_execz .LBB523_510
.LBB523_576:                            ;   in Loop: Header=BB523_396 Depth=2
	ds_load_b32 v62, v93 offset:3072
	s_wait_dscnt 0x0
	v_lshrrev_b32_e32 v62, s43, v62
	s_delay_alu instid0(VALU_DEP_1)
	v_and_b32_e32 v134, s48, v62
	s_or_b32 exec_lo, exec_lo, s30
	s_and_saveexec_b32 s30, s17
	s_cbranch_execz .LBB523_511
.LBB523_577:                            ;   in Loop: Header=BB523_396 Depth=2
	ds_load_b32 v62, v93 offset:4096
	s_wait_dscnt 0x0
	v_lshrrev_b32_e32 v62, s43, v62
	s_delay_alu instid0(VALU_DEP_1)
	v_and_b32_e32 v133, s48, v62
	s_or_b32 exec_lo, exec_lo, s30
	s_and_saveexec_b32 s30, s18
	s_cbranch_execz .LBB523_512
.LBB523_578:                            ;   in Loop: Header=BB523_396 Depth=2
	ds_load_b32 v62, v93 offset:5120
	s_wait_dscnt 0x0
	v_lshrrev_b32_e32 v62, s43, v62
	s_delay_alu instid0(VALU_DEP_1)
	v_and_b32_e32 v132, s48, v62
	s_or_b32 exec_lo, exec_lo, s30
	s_and_saveexec_b32 s30, s19
	s_cbranch_execz .LBB523_513
.LBB523_579:                            ;   in Loop: Header=BB523_396 Depth=2
	ds_load_b32 v62, v93 offset:6144
	s_wait_dscnt 0x0
	v_lshrrev_b32_e32 v62, s43, v62
	s_delay_alu instid0(VALU_DEP_1)
	v_and_b32_e32 v131, s48, v62
	s_or_b32 exec_lo, exec_lo, s30
	s_and_saveexec_b32 s30, s20
	s_cbranch_execz .LBB523_514
.LBB523_580:                            ;   in Loop: Header=BB523_396 Depth=2
	ds_load_b32 v62, v93 offset:7168
	s_wait_dscnt 0x0
	v_lshrrev_b32_e32 v62, s43, v62
	s_delay_alu instid0(VALU_DEP_1)
	v_and_b32_e32 v130, s48, v62
	s_or_b32 exec_lo, exec_lo, s30
	s_and_saveexec_b32 s30, s21
	s_cbranch_execz .LBB523_515
.LBB523_581:                            ;   in Loop: Header=BB523_396 Depth=2
	ds_load_b32 v62, v93 offset:8192
	s_wait_dscnt 0x0
	v_lshrrev_b32_e32 v62, s43, v62
	s_delay_alu instid0(VALU_DEP_1)
	v_and_b32_e32 v129, s48, v62
	s_or_b32 exec_lo, exec_lo, s30
	s_and_saveexec_b32 s30, s22
	s_cbranch_execz .LBB523_516
.LBB523_582:                            ;   in Loop: Header=BB523_396 Depth=2
	ds_load_b32 v62, v93 offset:9216
	s_wait_dscnt 0x0
	v_lshrrev_b32_e32 v62, s43, v62
	s_delay_alu instid0(VALU_DEP_1)
	v_and_b32_e32 v128, s48, v62
	s_or_b32 exec_lo, exec_lo, s30
	s_and_saveexec_b32 s30, s23
	s_cbranch_execz .LBB523_517
.LBB523_583:                            ;   in Loop: Header=BB523_396 Depth=2
	ds_load_b32 v62, v93 offset:10240
	s_wait_dscnt 0x0
	v_lshrrev_b32_e32 v62, s43, v62
	s_delay_alu instid0(VALU_DEP_1)
	v_and_b32_e32 v127, s48, v62
	s_or_b32 exec_lo, exec_lo, s30
	s_and_saveexec_b32 s30, s24
	s_cbranch_execz .LBB523_518
.LBB523_584:                            ;   in Loop: Header=BB523_396 Depth=2
	ds_load_b32 v62, v93 offset:11264
	s_wait_dscnt 0x0
	v_lshrrev_b32_e32 v62, s43, v62
	s_delay_alu instid0(VALU_DEP_1)
	v_and_b32_e32 v126, s48, v62
	s_or_b32 exec_lo, exec_lo, s30
	s_and_saveexec_b32 s30, s25
	s_cbranch_execz .LBB523_519
.LBB523_585:                            ;   in Loop: Header=BB523_396 Depth=2
	ds_load_b32 v62, v93 offset:12288
	s_wait_dscnt 0x0
	v_lshrrev_b32_e32 v62, s43, v62
	s_delay_alu instid0(VALU_DEP_1)
	v_and_b32_e32 v125, s48, v62
	s_or_b32 exec_lo, exec_lo, s30
	s_and_saveexec_b32 s30, s26
	s_cbranch_execz .LBB523_520
.LBB523_586:                            ;   in Loop: Header=BB523_396 Depth=2
	ds_load_b32 v62, v93 offset:13312
	s_wait_dscnt 0x0
	v_lshrrev_b32_e32 v62, s43, v62
	s_delay_alu instid0(VALU_DEP_1)
	v_and_b32_e32 v124, s48, v62
	s_or_b32 exec_lo, exec_lo, s30
	s_and_saveexec_b32 s30, s27
	s_cbranch_execz .LBB523_521
.LBB523_587:                            ;   in Loop: Header=BB523_396 Depth=2
	ds_load_b32 v62, v93 offset:14336
	s_wait_dscnt 0x0
	v_lshrrev_b32_e32 v62, s43, v62
	s_delay_alu instid0(VALU_DEP_1)
	v_and_b32_e32 v123, s48, v62
	s_or_b32 exec_lo, exec_lo, s30
	s_and_saveexec_b32 s30, s28
	s_cbranch_execz .LBB523_522
.LBB523_588:                            ;   in Loop: Header=BB523_396 Depth=2
	ds_load_b32 v62, v93 offset:15360
	s_wait_dscnt 0x0
	v_lshrrev_b32_e32 v62, s43, v62
	s_delay_alu instid0(VALU_DEP_1)
	v_and_b32_e32 v122, s48, v62
	s_or_b32 exec_lo, exec_lo, s30
	s_and_saveexec_b32 s30, s29
	s_cbranch_execnz .LBB523_523
	s_branch .LBB523_524
.LBB523_589:                            ;   in Loop: Header=BB523_396 Depth=2
	v_lshlrev_b32_e32 v62, 2, v136
	v_add_nc_u32_e32 v63, v93, v4
	ds_load_b32 v65, v62
	ds_load_b64 v[62:63], v63 offset:1024
	s_wait_dscnt 0x1
	v_add_nc_u32_e32 v65, v65, v2
	s_wait_dscnt 0x0
	global_store_b64 v65, v[62:63], s[46:47] scale_offset
	s_wait_xcnt 0x0
	s_or_b32 exec_lo, exec_lo, s30
	s_and_saveexec_b32 s30, s15
	s_cbranch_execz .LBB523_526
.LBB523_590:                            ;   in Loop: Header=BB523_396 Depth=2
	v_dual_lshlrev_b32 v62, 2, v135 :: v_dual_add_nc_u32 v63, v93, v4
	ds_load_b32 v65, v62
	ds_load_b64 v[62:63], v63 offset:3072
	s_wait_dscnt 0x1
	v_add_nc_u32_e32 v65, v65, v3
	s_wait_dscnt 0x0
	global_store_b64 v65, v[62:63], s[46:47] scale_offset
	s_wait_xcnt 0x0
	s_or_b32 exec_lo, exec_lo, s30
	s_and_saveexec_b32 s15, s16
	s_cbranch_execz .LBB523_527
.LBB523_591:                            ;   in Loop: Header=BB523_396 Depth=2
	v_dual_lshlrev_b32 v62, 2, v134 :: v_dual_add_nc_u32 v63, v93, v4
	ds_load_b32 v65, v62
	ds_load_b64 v[62:63], v63 offset:5120
	s_wait_dscnt 0x1
	v_add_nc_u32_e32 v65, v65, v70
	s_wait_dscnt 0x0
	global_store_b64 v65, v[62:63], s[46:47] scale_offset
	s_wait_xcnt 0x0
	s_or_b32 exec_lo, exec_lo, s15
	s_and_saveexec_b32 s15, s17
	s_cbranch_execz .LBB523_528
.LBB523_592:                            ;   in Loop: Header=BB523_396 Depth=2
	v_dual_lshlrev_b32 v62, 2, v133 :: v_dual_add_nc_u32 v63, v93, v4
	ds_load_b32 v65, v62
	ds_load_b64 v[62:63], v63 offset:7168
	s_wait_dscnt 0x1
	v_add_nc_u32_e32 v65, v65, v71
	s_wait_dscnt 0x0
	global_store_b64 v65, v[62:63], s[46:47] scale_offset
	s_wait_xcnt 0x0
	s_or_b32 exec_lo, exec_lo, s15
	s_and_saveexec_b32 s15, s18
	s_cbranch_execz .LBB523_529
.LBB523_593:                            ;   in Loop: Header=BB523_396 Depth=2
	v_lshlrev_b32_e32 v62, 2, v132
	v_add_nc_u32_e32 v63, v93, v4
	ds_load_b32 v65, v62
	ds_load_b64 v[62:63], v63 offset:9216
	s_wait_dscnt 0x1
	v_add_nc_u32_e32 v65, v65, v72
	s_wait_dscnt 0x0
	global_store_b64 v65, v[62:63], s[46:47] scale_offset
	s_wait_xcnt 0x0
	s_or_b32 exec_lo, exec_lo, s15
	s_and_saveexec_b32 s15, s19
	s_cbranch_execz .LBB523_530
.LBB523_594:                            ;   in Loop: Header=BB523_396 Depth=2
	v_dual_lshlrev_b32 v62, 2, v131 :: v_dual_add_nc_u32 v63, v93, v4
	ds_load_b32 v65, v62
	ds_load_b64 v[62:63], v63 offset:11264
	s_wait_dscnt 0x1
	v_add_nc_u32_e32 v65, v65, v73
	s_wait_dscnt 0x0
	global_store_b64 v65, v[62:63], s[46:47] scale_offset
	s_wait_xcnt 0x0
	s_or_b32 exec_lo, exec_lo, s15
	s_and_saveexec_b32 s15, s20
	s_cbranch_execz .LBB523_531
.LBB523_595:                            ;   in Loop: Header=BB523_396 Depth=2
	v_dual_lshlrev_b32 v62, 2, v130 :: v_dual_add_nc_u32 v63, v93, v4
	ds_load_b32 v65, v62
	ds_load_b64 v[62:63], v63 offset:13312
	s_wait_dscnt 0x1
	v_add_nc_u32_e32 v65, v65, v74
	s_wait_dscnt 0x0
	global_store_b64 v65, v[62:63], s[46:47] scale_offset
	s_wait_xcnt 0x0
	s_or_b32 exec_lo, exec_lo, s15
	s_and_saveexec_b32 s15, s21
	s_cbranch_execz .LBB523_532
.LBB523_596:                            ;   in Loop: Header=BB523_396 Depth=2
	v_dual_lshlrev_b32 v62, 2, v129 :: v_dual_add_nc_u32 v63, v93, v4
	ds_load_b32 v65, v62
	ds_load_b64 v[62:63], v63 offset:15360
	s_wait_dscnt 0x1
	v_add_nc_u32_e32 v65, v65, v75
	s_wait_dscnt 0x0
	global_store_b64 v65, v[62:63], s[46:47] scale_offset
	s_wait_xcnt 0x0
	s_or_b32 exec_lo, exec_lo, s15
	s_and_saveexec_b32 s15, s22
	s_cbranch_execz .LBB523_533
.LBB523_597:                            ;   in Loop: Header=BB523_396 Depth=2
	v_lshlrev_b32_e32 v62, 2, v128
	v_add_nc_u32_e32 v63, v93, v4
	ds_load_b32 v65, v62
	ds_load_b64 v[62:63], v63 offset:17408
	s_wait_dscnt 0x1
	v_add_nc_u32_e32 v65, v65, v76
	s_wait_dscnt 0x0
	global_store_b64 v65, v[62:63], s[46:47] scale_offset
	s_wait_xcnt 0x0
	s_or_b32 exec_lo, exec_lo, s15
	s_and_saveexec_b32 s15, s23
	s_cbranch_execz .LBB523_534
.LBB523_598:                            ;   in Loop: Header=BB523_396 Depth=2
	v_dual_lshlrev_b32 v62, 2, v127 :: v_dual_add_nc_u32 v63, v93, v4
	ds_load_b32 v65, v62
	ds_load_b64 v[62:63], v63 offset:19456
	s_wait_dscnt 0x1
	v_add_nc_u32_e32 v65, v65, v77
	s_wait_dscnt 0x0
	global_store_b64 v65, v[62:63], s[46:47] scale_offset
	s_wait_xcnt 0x0
	s_or_b32 exec_lo, exec_lo, s15
	s_and_saveexec_b32 s15, s24
	s_cbranch_execz .LBB523_535
.LBB523_599:                            ;   in Loop: Header=BB523_396 Depth=2
	v_dual_lshlrev_b32 v62, 2, v126 :: v_dual_add_nc_u32 v63, v93, v4
	ds_load_b32 v65, v62
	ds_load_b64 v[62:63], v63 offset:21504
	s_wait_dscnt 0x1
	v_add_nc_u32_e32 v65, v65, v78
	s_wait_dscnt 0x0
	global_store_b64 v65, v[62:63], s[46:47] scale_offset
	s_wait_xcnt 0x0
	s_or_b32 exec_lo, exec_lo, s15
	s_and_saveexec_b32 s15, s25
	s_cbranch_execz .LBB523_536
.LBB523_600:                            ;   in Loop: Header=BB523_396 Depth=2
	v_dual_lshlrev_b32 v62, 2, v125 :: v_dual_add_nc_u32 v63, v93, v4
	ds_load_b32 v65, v62
	ds_load_b64 v[62:63], v63 offset:23552
	s_wait_dscnt 0x1
	v_add_nc_u32_e32 v65, v65, v79
	s_wait_dscnt 0x0
	global_store_b64 v65, v[62:63], s[46:47] scale_offset
	s_wait_xcnt 0x0
	s_or_b32 exec_lo, exec_lo, s15
	s_and_saveexec_b32 s15, s26
	s_cbranch_execz .LBB523_537
.LBB523_601:                            ;   in Loop: Header=BB523_396 Depth=2
	v_lshlrev_b32_e32 v62, 2, v124
	v_add_nc_u32_e32 v63, v93, v4
	ds_load_b32 v65, v62
	ds_load_b64 v[62:63], v63 offset:25600
	s_wait_dscnt 0x1
	v_add_nc_u32_e32 v65, v65, v80
	s_wait_dscnt 0x0
	global_store_b64 v65, v[62:63], s[46:47] scale_offset
	s_wait_xcnt 0x0
	s_or_b32 exec_lo, exec_lo, s15
	s_and_saveexec_b32 s15, s27
	s_cbranch_execz .LBB523_538
.LBB523_602:                            ;   in Loop: Header=BB523_396 Depth=2
	v_dual_lshlrev_b32 v62, 2, v123 :: v_dual_add_nc_u32 v63, v93, v4
	ds_load_b32 v65, v62
	ds_load_b64 v[62:63], v63 offset:27648
	s_wait_dscnt 0x1
	v_add_nc_u32_e32 v65, v65, v81
	s_wait_dscnt 0x0
	global_store_b64 v65, v[62:63], s[46:47] scale_offset
	s_wait_xcnt 0x0
	s_or_b32 exec_lo, exec_lo, s15
	s_and_saveexec_b32 s15, s28
	s_cbranch_execz .LBB523_539
.LBB523_603:                            ;   in Loop: Header=BB523_396 Depth=2
	v_dual_lshlrev_b32 v62, 2, v122 :: v_dual_add_nc_u32 v63, v93, v4
	ds_load_b32 v65, v62
	ds_load_b64 v[62:63], v63 offset:29696
	s_wait_dscnt 0x1
	v_add_nc_u32_e32 v65, v65, v82
	s_wait_dscnt 0x0
	global_store_b64 v65, v[62:63], s[46:47] scale_offset
	s_wait_xcnt 0x0
	s_or_b32 exec_lo, exec_lo, s15
	s_and_saveexec_b32 s15, s29
	s_cbranch_execnz .LBB523_540
	s_branch .LBB523_541
.LBB523_604:                            ;   in Loop: Header=BB523_20 Depth=1
	s_wait_dscnt 0x0
	s_barrier_signal -1
	s_barrier_wait -1
.LBB523_605:                            ;   in Loop: Header=BB523_20 Depth=1
	s_mov_b32 s7, 0
.LBB523_606:                            ;   in Loop: Header=BB523_20 Depth=1
	s_delay_alu instid0(SALU_CYCLE_1)
	s_and_not1_b32 vcc_lo, exec_lo, s7
	s_cbranch_vccnz .LBB523_19
; %bb.607:                              ;   in Loop: Header=BB523_20 Depth=1
	s_and_b32 vcc_lo, exec_lo, s53
	s_mov_b32 s7, -1
	s_cbranch_vccz .LBB523_899
; %bb.608:                              ;   in Loop: Header=BB523_20 Depth=1
	s_mov_b32 s7, s54
	s_mov_b32 s30, s52
	s_barrier_signal -1
	s_barrier_wait -1
                                        ; implicit-def: $vgpr25
                                        ; implicit-def: $vgpr26
                                        ; implicit-def: $vgpr27
                                        ; implicit-def: $vgpr28
                                        ; implicit-def: $vgpr29
                                        ; implicit-def: $vgpr30
                                        ; implicit-def: $vgpr31
                                        ; implicit-def: $vgpr32
                                        ; implicit-def: $vgpr33
                                        ; implicit-def: $vgpr34
                                        ; implicit-def: $vgpr35
                                        ; implicit-def: $vgpr36
                                        ; implicit-def: $vgpr37
                                        ; implicit-def: $vgpr38
                                        ; implicit-def: $vgpr39
                                        ; implicit-def: $vgpr40
	s_branch .LBB523_610
.LBB523_609:                            ;   in Loop: Header=BB523_610 Depth=2
	s_or_b32 exec_lo, exec_lo, s8
	s_addk_co_i32 s7, 0xf000
	s_cmp_ge_u32 s10, s51
	s_mov_b32 s30, s10
	s_cbranch_scc1 .LBB523_678
.LBB523_610:                            ;   Parent Loop BB523_20 Depth=1
                                        ; =>  This Inner Loop Header: Depth=2
	s_add_co_i32 s10, s30, 0x1000
	s_mov_b32 s8, -1
	s_cmp_gt_u32 s10, s51
                                        ; implicit-def: $vgpr41
                                        ; implicit-def: $vgpr42
                                        ; implicit-def: $vgpr43
                                        ; implicit-def: $vgpr44
                                        ; implicit-def: $vgpr45
                                        ; implicit-def: $vgpr46
                                        ; implicit-def: $vgpr47
                                        ; implicit-def: $vgpr48
                                        ; implicit-def: $vgpr49
                                        ; implicit-def: $vgpr50
                                        ; implicit-def: $vgpr51
                                        ; implicit-def: $vgpr52
                                        ; implicit-def: $vgpr53
                                        ; implicit-def: $vgpr54
                                        ; implicit-def: $vgpr55
                                        ; implicit-def: $vgpr56
	s_cbranch_scc1 .LBB523_612
; %bb.611:                              ;   in Loop: Header=BB523_610 Depth=2
	v_lshl_add_u64 v[56:57], s[30:31], 2, v[22:23]
	s_mov_b32 s8, 0
	s_clause 0xf
	global_load_b32 v41, v[56:57], off
	global_load_b32 v42, v[56:57], off offset:1024
	global_load_b32 v43, v[56:57], off offset:2048
	;; [unrolled: 1-line block ×15, first 2 shown]
.LBB523_612:                            ;   in Loop: Header=BB523_610 Depth=2
	s_and_not1_b32 vcc_lo, exec_lo, s8
	s_movk_i32 s8, 0x1000
	s_cbranch_vccnz .LBB523_631
; %bb.613:                              ;   in Loop: Header=BB523_610 Depth=2
	s_lshl_b64 s[8:9], s[30:31], 2
	s_mov_b32 s11, exec_lo
	s_add_nc_u64 s[8:9], s[36:37], s[8:9]
	s_wait_xcnt 0x0
	v_cmpx_gt_u32_e64 s7, v2
	s_cbranch_execnz .LBB523_663
; %bb.614:                              ;   in Loop: Header=BB523_610 Depth=2
	s_or_b32 exec_lo, exec_lo, s11
	s_delay_alu instid0(SALU_CYCLE_1)
	s_mov_b32 s11, exec_lo
	v_cmpx_gt_u32_e64 s7, v3
	s_cbranch_execnz .LBB523_664
.LBB523_615:                            ;   in Loop: Header=BB523_610 Depth=2
	s_or_b32 exec_lo, exec_lo, s11
	s_delay_alu instid0(SALU_CYCLE_1)
	s_mov_b32 s11, exec_lo
	v_cmpx_gt_u32_e64 s7, v70
	s_cbranch_execnz .LBB523_665
.LBB523_616:                            ;   in Loop: Header=BB523_610 Depth=2
	s_or_b32 exec_lo, exec_lo, s11
	s_delay_alu instid0(SALU_CYCLE_1)
	s_mov_b32 s11, exec_lo
	v_cmpx_gt_u32_e64 s7, v71
	s_cbranch_execnz .LBB523_666
.LBB523_617:                            ;   in Loop: Header=BB523_610 Depth=2
	s_or_b32 exec_lo, exec_lo, s11
	s_delay_alu instid0(SALU_CYCLE_1)
	s_mov_b32 s11, exec_lo
	v_cmpx_gt_u32_e64 s7, v72
	s_cbranch_execnz .LBB523_667
.LBB523_618:                            ;   in Loop: Header=BB523_610 Depth=2
	s_or_b32 exec_lo, exec_lo, s11
	s_delay_alu instid0(SALU_CYCLE_1)
	s_mov_b32 s11, exec_lo
	v_cmpx_gt_u32_e64 s7, v73
	s_cbranch_execnz .LBB523_668
.LBB523_619:                            ;   in Loop: Header=BB523_610 Depth=2
	s_or_b32 exec_lo, exec_lo, s11
	s_delay_alu instid0(SALU_CYCLE_1)
	s_mov_b32 s11, exec_lo
	v_cmpx_gt_u32_e64 s7, v74
	s_cbranch_execnz .LBB523_669
.LBB523_620:                            ;   in Loop: Header=BB523_610 Depth=2
	s_or_b32 exec_lo, exec_lo, s11
	s_delay_alu instid0(SALU_CYCLE_1)
	s_mov_b32 s11, exec_lo
	v_cmpx_gt_u32_e64 s7, v75
	s_cbranch_execnz .LBB523_670
.LBB523_621:                            ;   in Loop: Header=BB523_610 Depth=2
	s_or_b32 exec_lo, exec_lo, s11
	s_delay_alu instid0(SALU_CYCLE_1)
	s_mov_b32 s11, exec_lo
	v_cmpx_gt_u32_e64 s7, v76
	s_cbranch_execnz .LBB523_671
.LBB523_622:                            ;   in Loop: Header=BB523_610 Depth=2
	s_or_b32 exec_lo, exec_lo, s11
	s_delay_alu instid0(SALU_CYCLE_1)
	s_mov_b32 s11, exec_lo
	v_cmpx_gt_u32_e64 s7, v77
	s_cbranch_execnz .LBB523_672
.LBB523_623:                            ;   in Loop: Header=BB523_610 Depth=2
	s_or_b32 exec_lo, exec_lo, s11
	s_delay_alu instid0(SALU_CYCLE_1)
	s_mov_b32 s11, exec_lo
	v_cmpx_gt_u32_e64 s7, v78
	s_cbranch_execnz .LBB523_673
.LBB523_624:                            ;   in Loop: Header=BB523_610 Depth=2
	s_or_b32 exec_lo, exec_lo, s11
	s_delay_alu instid0(SALU_CYCLE_1)
	s_mov_b32 s11, exec_lo
	v_cmpx_gt_u32_e64 s7, v79
	s_cbranch_execnz .LBB523_674
.LBB523_625:                            ;   in Loop: Header=BB523_610 Depth=2
	s_or_b32 exec_lo, exec_lo, s11
	s_delay_alu instid0(SALU_CYCLE_1)
	s_mov_b32 s11, exec_lo
	v_cmpx_gt_u32_e64 s7, v80
	s_cbranch_execnz .LBB523_675
.LBB523_626:                            ;   in Loop: Header=BB523_610 Depth=2
	s_or_b32 exec_lo, exec_lo, s11
	s_delay_alu instid0(SALU_CYCLE_1)
	s_mov_b32 s11, exec_lo
	v_cmpx_gt_u32_e64 s7, v81
	s_cbranch_execnz .LBB523_676
.LBB523_627:                            ;   in Loop: Header=BB523_610 Depth=2
	s_or_b32 exec_lo, exec_lo, s11
	s_delay_alu instid0(SALU_CYCLE_1)
	s_mov_b32 s11, exec_lo
	v_cmpx_gt_u32_e64 s7, v82
	s_cbranch_execnz .LBB523_677
.LBB523_628:                            ;   in Loop: Header=BB523_610 Depth=2
	s_or_b32 exec_lo, exec_lo, s11
	s_delay_alu instid0(SALU_CYCLE_1)
	s_mov_b32 s11, exec_lo
	v_cmpx_gt_u32_e64 s7, v83
	s_cbranch_execz .LBB523_630
.LBB523_629:                            ;   in Loop: Header=BB523_610 Depth=2
	global_load_b32 v25, v2, s[8:9] offset:15360 scale_offset
.LBB523_630:                            ;   in Loop: Header=BB523_610 Depth=2
	s_wait_xcnt 0x0
	s_or_b32 exec_lo, exec_lo, s11
	s_wait_loadcnt 0x0
	v_dual_mov_b32 v41, v40 :: v_dual_mov_b32 v42, v39
	v_dual_mov_b32 v43, v38 :: v_dual_mov_b32 v44, v37
	;; [unrolled: 1-line block ×8, first 2 shown]
	s_mov_b32 s8, s7
.LBB523_631:                            ;   in Loop: Header=BB523_610 Depth=2
	s_wait_loadcnt 0x0
	s_delay_alu instid0(VALU_DEP_1)
	v_dual_mov_b32 v25, v56 :: v_dual_mov_b32 v26, v55
	v_dual_mov_b32 v27, v54 :: v_dual_mov_b32 v28, v53
	;; [unrolled: 1-line block ×8, first 2 shown]
	s_mov_b32 s9, exec_lo
	s_wait_xcnt 0x0
	v_cmpx_gt_u32_e64 s8, v2
	s_cbranch_execnz .LBB523_647
; %bb.632:                              ;   in Loop: Header=BB523_610 Depth=2
	s_or_b32 exec_lo, exec_lo, s9
	s_delay_alu instid0(SALU_CYCLE_1)
	s_mov_b32 s9, exec_lo
	v_cmpx_gt_u32_e64 s8, v3
	s_cbranch_execnz .LBB523_648
.LBB523_633:                            ;   in Loop: Header=BB523_610 Depth=2
	s_or_b32 exec_lo, exec_lo, s9
	s_delay_alu instid0(SALU_CYCLE_1)
	s_mov_b32 s9, exec_lo
	v_cmpx_gt_u32_e64 s8, v70
	s_cbranch_execnz .LBB523_649
.LBB523_634:                            ;   in Loop: Header=BB523_610 Depth=2
	s_or_b32 exec_lo, exec_lo, s9
	s_delay_alu instid0(SALU_CYCLE_1)
	s_mov_b32 s9, exec_lo
	v_cmpx_gt_u32_e64 s8, v71
	s_cbranch_execnz .LBB523_650
.LBB523_635:                            ;   in Loop: Header=BB523_610 Depth=2
	s_or_b32 exec_lo, exec_lo, s9
	s_delay_alu instid0(SALU_CYCLE_1)
	s_mov_b32 s9, exec_lo
	v_cmpx_gt_u32_e64 s8, v72
	s_cbranch_execnz .LBB523_651
.LBB523_636:                            ;   in Loop: Header=BB523_610 Depth=2
	s_or_b32 exec_lo, exec_lo, s9
	s_delay_alu instid0(SALU_CYCLE_1)
	s_mov_b32 s9, exec_lo
	v_cmpx_gt_u32_e64 s8, v73
	s_cbranch_execnz .LBB523_652
.LBB523_637:                            ;   in Loop: Header=BB523_610 Depth=2
	s_or_b32 exec_lo, exec_lo, s9
	s_delay_alu instid0(SALU_CYCLE_1)
	s_mov_b32 s9, exec_lo
	v_cmpx_gt_u32_e64 s8, v74
	s_cbranch_execnz .LBB523_653
.LBB523_638:                            ;   in Loop: Header=BB523_610 Depth=2
	s_or_b32 exec_lo, exec_lo, s9
	s_delay_alu instid0(SALU_CYCLE_1)
	s_mov_b32 s9, exec_lo
	v_cmpx_gt_u32_e64 s8, v75
	s_cbranch_execnz .LBB523_654
.LBB523_639:                            ;   in Loop: Header=BB523_610 Depth=2
	s_or_b32 exec_lo, exec_lo, s9
	s_delay_alu instid0(SALU_CYCLE_1)
	s_mov_b32 s9, exec_lo
	v_cmpx_gt_u32_e64 s8, v76
	s_cbranch_execnz .LBB523_655
.LBB523_640:                            ;   in Loop: Header=BB523_610 Depth=2
	s_or_b32 exec_lo, exec_lo, s9
	s_delay_alu instid0(SALU_CYCLE_1)
	s_mov_b32 s9, exec_lo
	v_cmpx_gt_u32_e64 s8, v77
	s_cbranch_execnz .LBB523_656
.LBB523_641:                            ;   in Loop: Header=BB523_610 Depth=2
	s_or_b32 exec_lo, exec_lo, s9
	s_delay_alu instid0(SALU_CYCLE_1)
	s_mov_b32 s9, exec_lo
	v_cmpx_gt_u32_e64 s8, v78
	s_cbranch_execnz .LBB523_657
.LBB523_642:                            ;   in Loop: Header=BB523_610 Depth=2
	s_or_b32 exec_lo, exec_lo, s9
	s_delay_alu instid0(SALU_CYCLE_1)
	s_mov_b32 s9, exec_lo
	v_cmpx_gt_u32_e64 s8, v79
	s_cbranch_execnz .LBB523_658
.LBB523_643:                            ;   in Loop: Header=BB523_610 Depth=2
	s_or_b32 exec_lo, exec_lo, s9
	s_delay_alu instid0(SALU_CYCLE_1)
	s_mov_b32 s9, exec_lo
	v_cmpx_gt_u32_e64 s8, v80
	s_cbranch_execnz .LBB523_659
.LBB523_644:                            ;   in Loop: Header=BB523_610 Depth=2
	s_or_b32 exec_lo, exec_lo, s9
	s_delay_alu instid0(SALU_CYCLE_1)
	s_mov_b32 s9, exec_lo
	v_cmpx_gt_u32_e64 s8, v81
	s_cbranch_execnz .LBB523_660
.LBB523_645:                            ;   in Loop: Header=BB523_610 Depth=2
	s_or_b32 exec_lo, exec_lo, s9
	s_delay_alu instid0(SALU_CYCLE_1)
	s_mov_b32 s9, exec_lo
	v_cmpx_gt_u32_e64 s8, v82
	s_cbranch_execnz .LBB523_661
.LBB523_646:                            ;   in Loop: Header=BB523_610 Depth=2
	s_or_b32 exec_lo, exec_lo, s9
	v_cmp_gt_u32_e32 vcc_lo, s8, v83
	s_and_saveexec_b32 s8, vcc_lo
	s_cbranch_execz .LBB523_609
	s_branch .LBB523_662
.LBB523_647:                            ;   in Loop: Header=BB523_610 Depth=2
	v_xor_b32_e32 v41, 0x7fffffff, v40
	s_delay_alu instid0(VALU_DEP_1) | instskip(NEXT) | instid1(VALU_DEP_1)
	v_lshrrev_b32_e32 v41, s49, v41
	v_and_b32_e32 v41, s48, v41
	s_delay_alu instid0(VALU_DEP_1) | instskip(SKIP_2) | instid1(SALU_CYCLE_1)
	v_lshl_or_b32 v41, v41, 4, v84
	ds_add_u32 v41, v95
	s_or_b32 exec_lo, exec_lo, s9
	s_mov_b32 s9, exec_lo
	v_cmpx_gt_u32_e64 s8, v3
	s_cbranch_execz .LBB523_633
.LBB523_648:                            ;   in Loop: Header=BB523_610 Depth=2
	v_xor_b32_e32 v41, 0x7fffffff, v39
	s_delay_alu instid0(VALU_DEP_1) | instskip(NEXT) | instid1(VALU_DEP_1)
	v_lshrrev_b32_e32 v41, s49, v41
	v_and_b32_e32 v41, s48, v41
	s_delay_alu instid0(VALU_DEP_1) | instskip(SKIP_2) | instid1(SALU_CYCLE_1)
	v_lshl_or_b32 v41, v41, 4, v84
	ds_add_u32 v41, v95
	s_or_b32 exec_lo, exec_lo, s9
	s_mov_b32 s9, exec_lo
	v_cmpx_gt_u32_e64 s8, v70
	s_cbranch_execz .LBB523_634
.LBB523_649:                            ;   in Loop: Header=BB523_610 Depth=2
	v_xor_b32_e32 v41, 0x7fffffff, v38
	s_delay_alu instid0(VALU_DEP_1) | instskip(NEXT) | instid1(VALU_DEP_1)
	v_lshrrev_b32_e32 v41, s49, v41
	v_and_b32_e32 v41, s48, v41
	s_delay_alu instid0(VALU_DEP_1) | instskip(SKIP_2) | instid1(SALU_CYCLE_1)
	v_lshl_or_b32 v41, v41, 4, v84
	ds_add_u32 v41, v95
	s_or_b32 exec_lo, exec_lo, s9
	s_mov_b32 s9, exec_lo
	v_cmpx_gt_u32_e64 s8, v71
	s_cbranch_execz .LBB523_635
.LBB523_650:                            ;   in Loop: Header=BB523_610 Depth=2
	v_xor_b32_e32 v41, 0x7fffffff, v37
	s_delay_alu instid0(VALU_DEP_1) | instskip(NEXT) | instid1(VALU_DEP_1)
	v_lshrrev_b32_e32 v41, s49, v41
	v_and_b32_e32 v41, s48, v41
	s_delay_alu instid0(VALU_DEP_1) | instskip(SKIP_2) | instid1(SALU_CYCLE_1)
	v_lshl_or_b32 v41, v41, 4, v84
	ds_add_u32 v41, v95
	s_or_b32 exec_lo, exec_lo, s9
	s_mov_b32 s9, exec_lo
	v_cmpx_gt_u32_e64 s8, v72
	s_cbranch_execz .LBB523_636
.LBB523_651:                            ;   in Loop: Header=BB523_610 Depth=2
	v_xor_b32_e32 v41, 0x7fffffff, v36
	s_delay_alu instid0(VALU_DEP_1) | instskip(NEXT) | instid1(VALU_DEP_1)
	v_lshrrev_b32_e32 v41, s49, v41
	v_and_b32_e32 v41, s48, v41
	s_delay_alu instid0(VALU_DEP_1) | instskip(SKIP_2) | instid1(SALU_CYCLE_1)
	v_lshl_or_b32 v41, v41, 4, v84
	ds_add_u32 v41, v95
	s_or_b32 exec_lo, exec_lo, s9
	s_mov_b32 s9, exec_lo
	v_cmpx_gt_u32_e64 s8, v73
	s_cbranch_execz .LBB523_637
.LBB523_652:                            ;   in Loop: Header=BB523_610 Depth=2
	v_xor_b32_e32 v41, 0x7fffffff, v35
	s_delay_alu instid0(VALU_DEP_1) | instskip(NEXT) | instid1(VALU_DEP_1)
	v_lshrrev_b32_e32 v41, s49, v41
	v_and_b32_e32 v41, s48, v41
	s_delay_alu instid0(VALU_DEP_1) | instskip(SKIP_2) | instid1(SALU_CYCLE_1)
	v_lshl_or_b32 v41, v41, 4, v84
	ds_add_u32 v41, v95
	s_or_b32 exec_lo, exec_lo, s9
	s_mov_b32 s9, exec_lo
	v_cmpx_gt_u32_e64 s8, v74
	s_cbranch_execz .LBB523_638
.LBB523_653:                            ;   in Loop: Header=BB523_610 Depth=2
	v_xor_b32_e32 v41, 0x7fffffff, v34
	s_delay_alu instid0(VALU_DEP_1) | instskip(NEXT) | instid1(VALU_DEP_1)
	v_lshrrev_b32_e32 v41, s49, v41
	v_and_b32_e32 v41, s48, v41
	s_delay_alu instid0(VALU_DEP_1) | instskip(SKIP_2) | instid1(SALU_CYCLE_1)
	v_lshl_or_b32 v41, v41, 4, v84
	ds_add_u32 v41, v95
	s_or_b32 exec_lo, exec_lo, s9
	s_mov_b32 s9, exec_lo
	v_cmpx_gt_u32_e64 s8, v75
	s_cbranch_execz .LBB523_639
.LBB523_654:                            ;   in Loop: Header=BB523_610 Depth=2
	v_xor_b32_e32 v41, 0x7fffffff, v33
	s_delay_alu instid0(VALU_DEP_1) | instskip(NEXT) | instid1(VALU_DEP_1)
	v_lshrrev_b32_e32 v41, s49, v41
	v_and_b32_e32 v41, s48, v41
	s_delay_alu instid0(VALU_DEP_1) | instskip(SKIP_2) | instid1(SALU_CYCLE_1)
	v_lshl_or_b32 v41, v41, 4, v84
	ds_add_u32 v41, v95
	s_or_b32 exec_lo, exec_lo, s9
	s_mov_b32 s9, exec_lo
	v_cmpx_gt_u32_e64 s8, v76
	s_cbranch_execz .LBB523_640
.LBB523_655:                            ;   in Loop: Header=BB523_610 Depth=2
	v_xor_b32_e32 v41, 0x7fffffff, v32
	s_delay_alu instid0(VALU_DEP_1) | instskip(NEXT) | instid1(VALU_DEP_1)
	v_lshrrev_b32_e32 v41, s49, v41
	v_and_b32_e32 v41, s48, v41
	s_delay_alu instid0(VALU_DEP_1) | instskip(SKIP_2) | instid1(SALU_CYCLE_1)
	v_lshl_or_b32 v41, v41, 4, v84
	ds_add_u32 v41, v95
	s_or_b32 exec_lo, exec_lo, s9
	s_mov_b32 s9, exec_lo
	v_cmpx_gt_u32_e64 s8, v77
	s_cbranch_execz .LBB523_641
.LBB523_656:                            ;   in Loop: Header=BB523_610 Depth=2
	v_xor_b32_e32 v41, 0x7fffffff, v31
	s_delay_alu instid0(VALU_DEP_1) | instskip(NEXT) | instid1(VALU_DEP_1)
	v_lshrrev_b32_e32 v41, s49, v41
	v_and_b32_e32 v41, s48, v41
	s_delay_alu instid0(VALU_DEP_1) | instskip(SKIP_2) | instid1(SALU_CYCLE_1)
	v_lshl_or_b32 v41, v41, 4, v84
	ds_add_u32 v41, v95
	s_or_b32 exec_lo, exec_lo, s9
	s_mov_b32 s9, exec_lo
	v_cmpx_gt_u32_e64 s8, v78
	s_cbranch_execz .LBB523_642
.LBB523_657:                            ;   in Loop: Header=BB523_610 Depth=2
	v_xor_b32_e32 v41, 0x7fffffff, v30
	s_delay_alu instid0(VALU_DEP_1) | instskip(NEXT) | instid1(VALU_DEP_1)
	v_lshrrev_b32_e32 v41, s49, v41
	v_and_b32_e32 v41, s48, v41
	s_delay_alu instid0(VALU_DEP_1) | instskip(SKIP_2) | instid1(SALU_CYCLE_1)
	v_lshl_or_b32 v41, v41, 4, v84
	ds_add_u32 v41, v95
	s_or_b32 exec_lo, exec_lo, s9
	s_mov_b32 s9, exec_lo
	v_cmpx_gt_u32_e64 s8, v79
	s_cbranch_execz .LBB523_643
.LBB523_658:                            ;   in Loop: Header=BB523_610 Depth=2
	v_xor_b32_e32 v41, 0x7fffffff, v29
	s_delay_alu instid0(VALU_DEP_1) | instskip(NEXT) | instid1(VALU_DEP_1)
	v_lshrrev_b32_e32 v41, s49, v41
	v_and_b32_e32 v41, s48, v41
	s_delay_alu instid0(VALU_DEP_1) | instskip(SKIP_2) | instid1(SALU_CYCLE_1)
	v_lshl_or_b32 v41, v41, 4, v84
	ds_add_u32 v41, v95
	s_or_b32 exec_lo, exec_lo, s9
	s_mov_b32 s9, exec_lo
	v_cmpx_gt_u32_e64 s8, v80
	s_cbranch_execz .LBB523_644
.LBB523_659:                            ;   in Loop: Header=BB523_610 Depth=2
	v_xor_b32_e32 v41, 0x7fffffff, v28
	s_delay_alu instid0(VALU_DEP_1) | instskip(NEXT) | instid1(VALU_DEP_1)
	v_lshrrev_b32_e32 v41, s49, v41
	v_and_b32_e32 v41, s48, v41
	s_delay_alu instid0(VALU_DEP_1) | instskip(SKIP_2) | instid1(SALU_CYCLE_1)
	v_lshl_or_b32 v41, v41, 4, v84
	ds_add_u32 v41, v95
	s_or_b32 exec_lo, exec_lo, s9
	s_mov_b32 s9, exec_lo
	v_cmpx_gt_u32_e64 s8, v81
	s_cbranch_execz .LBB523_645
.LBB523_660:                            ;   in Loop: Header=BB523_610 Depth=2
	v_xor_b32_e32 v41, 0x7fffffff, v27
	s_delay_alu instid0(VALU_DEP_1) | instskip(NEXT) | instid1(VALU_DEP_1)
	v_lshrrev_b32_e32 v41, s49, v41
	v_and_b32_e32 v41, s48, v41
	s_delay_alu instid0(VALU_DEP_1) | instskip(SKIP_2) | instid1(SALU_CYCLE_1)
	v_lshl_or_b32 v41, v41, 4, v84
	ds_add_u32 v41, v95
	s_or_b32 exec_lo, exec_lo, s9
	s_mov_b32 s9, exec_lo
	v_cmpx_gt_u32_e64 s8, v82
	s_cbranch_execz .LBB523_646
.LBB523_661:                            ;   in Loop: Header=BB523_610 Depth=2
	v_xor_b32_e32 v41, 0x7fffffff, v26
	s_delay_alu instid0(VALU_DEP_1) | instskip(NEXT) | instid1(VALU_DEP_1)
	v_lshrrev_b32_e32 v41, s49, v41
	v_and_b32_e32 v41, s48, v41
	s_delay_alu instid0(VALU_DEP_1)
	v_lshl_or_b32 v41, v41, 4, v84
	ds_add_u32 v41, v95
	s_or_b32 exec_lo, exec_lo, s9
	v_cmp_gt_u32_e32 vcc_lo, s8, v83
	s_and_saveexec_b32 s8, vcc_lo
	s_cbranch_execz .LBB523_609
.LBB523_662:                            ;   in Loop: Header=BB523_610 Depth=2
	v_xor_b32_e32 v41, 0x7fffffff, v25
	s_delay_alu instid0(VALU_DEP_1) | instskip(NEXT) | instid1(VALU_DEP_1)
	v_lshrrev_b32_e32 v41, s49, v41
	v_and_b32_e32 v41, s48, v41
	s_delay_alu instid0(VALU_DEP_1)
	v_lshl_or_b32 v41, v41, 4, v84
	ds_add_u32 v41, v95
	s_branch .LBB523_609
.LBB523_663:                            ;   in Loop: Header=BB523_610 Depth=2
	global_load_b32 v40, v2, s[8:9] scale_offset
	s_wait_xcnt 0x0
	s_or_b32 exec_lo, exec_lo, s11
	s_delay_alu instid0(SALU_CYCLE_1)
	s_mov_b32 s11, exec_lo
	v_cmpx_gt_u32_e64 s7, v3
	s_cbranch_execz .LBB523_615
.LBB523_664:                            ;   in Loop: Header=BB523_610 Depth=2
	global_load_b32 v39, v2, s[8:9] offset:1024 scale_offset
	s_wait_xcnt 0x0
	s_or_b32 exec_lo, exec_lo, s11
	s_delay_alu instid0(SALU_CYCLE_1)
	s_mov_b32 s11, exec_lo
	v_cmpx_gt_u32_e64 s7, v70
	s_cbranch_execz .LBB523_616
.LBB523_665:                            ;   in Loop: Header=BB523_610 Depth=2
	global_load_b32 v38, v2, s[8:9] offset:2048 scale_offset
	s_wait_xcnt 0x0
	s_or_b32 exec_lo, exec_lo, s11
	s_delay_alu instid0(SALU_CYCLE_1)
	s_mov_b32 s11, exec_lo
	v_cmpx_gt_u32_e64 s7, v71
	s_cbranch_execz .LBB523_617
.LBB523_666:                            ;   in Loop: Header=BB523_610 Depth=2
	global_load_b32 v37, v2, s[8:9] offset:3072 scale_offset
	s_wait_xcnt 0x0
	s_or_b32 exec_lo, exec_lo, s11
	s_delay_alu instid0(SALU_CYCLE_1)
	s_mov_b32 s11, exec_lo
	v_cmpx_gt_u32_e64 s7, v72
	s_cbranch_execz .LBB523_618
.LBB523_667:                            ;   in Loop: Header=BB523_610 Depth=2
	global_load_b32 v36, v2, s[8:9] offset:4096 scale_offset
	s_wait_xcnt 0x0
	s_or_b32 exec_lo, exec_lo, s11
	s_delay_alu instid0(SALU_CYCLE_1)
	s_mov_b32 s11, exec_lo
	v_cmpx_gt_u32_e64 s7, v73
	s_cbranch_execz .LBB523_619
.LBB523_668:                            ;   in Loop: Header=BB523_610 Depth=2
	global_load_b32 v35, v2, s[8:9] offset:5120 scale_offset
	s_wait_xcnt 0x0
	s_or_b32 exec_lo, exec_lo, s11
	s_delay_alu instid0(SALU_CYCLE_1)
	s_mov_b32 s11, exec_lo
	v_cmpx_gt_u32_e64 s7, v74
	s_cbranch_execz .LBB523_620
.LBB523_669:                            ;   in Loop: Header=BB523_610 Depth=2
	global_load_b32 v34, v2, s[8:9] offset:6144 scale_offset
	s_wait_xcnt 0x0
	s_or_b32 exec_lo, exec_lo, s11
	s_delay_alu instid0(SALU_CYCLE_1)
	s_mov_b32 s11, exec_lo
	v_cmpx_gt_u32_e64 s7, v75
	s_cbranch_execz .LBB523_621
.LBB523_670:                            ;   in Loop: Header=BB523_610 Depth=2
	global_load_b32 v33, v2, s[8:9] offset:7168 scale_offset
	s_wait_xcnt 0x0
	s_or_b32 exec_lo, exec_lo, s11
	s_delay_alu instid0(SALU_CYCLE_1)
	s_mov_b32 s11, exec_lo
	v_cmpx_gt_u32_e64 s7, v76
	s_cbranch_execz .LBB523_622
.LBB523_671:                            ;   in Loop: Header=BB523_610 Depth=2
	global_load_b32 v32, v2, s[8:9] offset:8192 scale_offset
	s_wait_xcnt 0x0
	s_or_b32 exec_lo, exec_lo, s11
	s_delay_alu instid0(SALU_CYCLE_1)
	s_mov_b32 s11, exec_lo
	v_cmpx_gt_u32_e64 s7, v77
	s_cbranch_execz .LBB523_623
.LBB523_672:                            ;   in Loop: Header=BB523_610 Depth=2
	global_load_b32 v31, v2, s[8:9] offset:9216 scale_offset
	s_wait_xcnt 0x0
	s_or_b32 exec_lo, exec_lo, s11
	s_delay_alu instid0(SALU_CYCLE_1)
	s_mov_b32 s11, exec_lo
	v_cmpx_gt_u32_e64 s7, v78
	s_cbranch_execz .LBB523_624
.LBB523_673:                            ;   in Loop: Header=BB523_610 Depth=2
	global_load_b32 v30, v2, s[8:9] offset:10240 scale_offset
	s_wait_xcnt 0x0
	s_or_b32 exec_lo, exec_lo, s11
	s_delay_alu instid0(SALU_CYCLE_1)
	s_mov_b32 s11, exec_lo
	v_cmpx_gt_u32_e64 s7, v79
	s_cbranch_execz .LBB523_625
.LBB523_674:                            ;   in Loop: Header=BB523_610 Depth=2
	global_load_b32 v29, v2, s[8:9] offset:11264 scale_offset
	s_wait_xcnt 0x0
	s_or_b32 exec_lo, exec_lo, s11
	s_delay_alu instid0(SALU_CYCLE_1)
	s_mov_b32 s11, exec_lo
	v_cmpx_gt_u32_e64 s7, v80
	s_cbranch_execz .LBB523_626
.LBB523_675:                            ;   in Loop: Header=BB523_610 Depth=2
	global_load_b32 v28, v2, s[8:9] offset:12288 scale_offset
	s_wait_xcnt 0x0
	s_or_b32 exec_lo, exec_lo, s11
	s_delay_alu instid0(SALU_CYCLE_1)
	s_mov_b32 s11, exec_lo
	v_cmpx_gt_u32_e64 s7, v81
	s_cbranch_execz .LBB523_627
.LBB523_676:                            ;   in Loop: Header=BB523_610 Depth=2
	global_load_b32 v27, v2, s[8:9] offset:13312 scale_offset
	s_wait_xcnt 0x0
	s_or_b32 exec_lo, exec_lo, s11
	s_delay_alu instid0(SALU_CYCLE_1)
	s_mov_b32 s11, exec_lo
	v_cmpx_gt_u32_e64 s7, v82
	s_cbranch_execz .LBB523_628
.LBB523_677:                            ;   in Loop: Header=BB523_610 Depth=2
	global_load_b32 v26, v2, s[8:9] offset:14336 scale_offset
	s_wait_xcnt 0x0
	s_or_b32 exec_lo, exec_lo, s11
	s_delay_alu instid0(SALU_CYCLE_1)
	s_mov_b32 s11, exec_lo
	v_cmpx_gt_u32_e64 s7, v83
	s_cbranch_execnz .LBB523_629
	s_branch .LBB523_630
.LBB523_678:                            ;   in Loop: Header=BB523_20 Depth=1
	v_mov_b32_e32 v25, 0
	s_wait_dscnt 0x0
	s_barrier_signal -1
	s_barrier_wait -1
	s_and_saveexec_b32 s7, s0
	s_cbranch_execz .LBB523_680
; %bb.679:                              ;   in Loop: Header=BB523_20 Depth=1
	ds_load_2addr_b64 v[26:29], v86 offset1:1
	s_wait_dscnt 0x0
	v_add_nc_u32_e32 v25, v27, v26
	s_delay_alu instid0(VALU_DEP_1)
	v_add3_u32 v25, v25, v28, v29
.LBB523_680:                            ;   in Loop: Header=BB523_20 Depth=1
	s_or_b32 exec_lo, exec_lo, s7
	s_delay_alu instid0(VALU_DEP_1)
	v_mov_b32_dpp v26, v25 row_shr:1 row_mask:0xf bank_mask:0xf
	v_cmp_eq_u32_e64 s7, 0, v96
	v_cmp_lt_u32_e64 s8, 1, v96
	v_cmp_lt_u32_e64 s9, 3, v96
	;; [unrolled: 1-line block ×3, first 2 shown]
	v_cmp_eq_u32_e64 s11, 0, v98
	v_cndmask_b32_e64 v26, v26, 0, s7
	s_delay_alu instid0(VALU_DEP_1) | instskip(NEXT) | instid1(VALU_DEP_1)
	v_add_nc_u32_e32 v25, v26, v25
	v_mov_b32_dpp v26, v25 row_shr:2 row_mask:0xf bank_mask:0xf
	s_delay_alu instid0(VALU_DEP_1) | instskip(NEXT) | instid1(VALU_DEP_1)
	v_cndmask_b32_e64 v26, 0, v26, s8
	v_add_nc_u32_e32 v25, v25, v26
	s_delay_alu instid0(VALU_DEP_1) | instskip(NEXT) | instid1(VALU_DEP_1)
	v_mov_b32_dpp v26, v25 row_shr:4 row_mask:0xf bank_mask:0xf
	v_cndmask_b32_e64 v26, 0, v26, s9
	s_delay_alu instid0(VALU_DEP_1) | instskip(NEXT) | instid1(VALU_DEP_1)
	v_add_nc_u32_e32 v25, v25, v26
	v_mov_b32_dpp v26, v25 row_shr:8 row_mask:0xf bank_mask:0xf
	s_delay_alu instid0(VALU_DEP_1) | instskip(NEXT) | instid1(VALU_DEP_1)
	v_cndmask_b32_e64 v26, 0, v26, s10
	v_add_nc_u32_e32 v25, v25, v26
	ds_swizzle_b32 v26, v25 offset:swizzle(BROADCAST,32,15)
	s_wait_dscnt 0x0
	v_and_b32_e32 v26, v97, v26
	s_delay_alu instid0(VALU_DEP_1)
	v_add_nc_u32_e32 v25, v25, v26
	s_and_saveexec_b32 s12, s1
; %bb.681:                              ;   in Loop: Header=BB523_20 Depth=1
	ds_store_b32 v87, v25
; %bb.682:                              ;   in Loop: Header=BB523_20 Depth=1
	s_or_b32 exec_lo, exec_lo, s12
	s_wait_dscnt 0x0
	s_barrier_signal -1
	s_barrier_wait -1
	s_and_saveexec_b32 s12, s4
	s_cbranch_execz .LBB523_684
; %bb.683:                              ;   in Loop: Header=BB523_20 Depth=1
	ds_load_b32 v26, v88
	v_cmp_ne_u32_e32 vcc_lo, 0, v100
	s_wait_dscnt 0x0
	v_mov_b32_dpp v27, v26 row_shr:1 row_mask:0xf bank_mask:0xf
	s_delay_alu instid0(VALU_DEP_1) | instskip(SKIP_1) | instid1(VALU_DEP_2)
	v_cndmask_b32_e32 v27, 0, v27, vcc_lo
	v_cmp_lt_u32_e32 vcc_lo, 1, v100
	v_add_nc_u32_e32 v26, v27, v26
	s_delay_alu instid0(VALU_DEP_1) | instskip(NEXT) | instid1(VALU_DEP_1)
	v_mov_b32_dpp v27, v26 row_shr:2 row_mask:0xf bank_mask:0xf
	v_cndmask_b32_e32 v27, 0, v27, vcc_lo
	v_cmp_lt_u32_e32 vcc_lo, 3, v100
	s_delay_alu instid0(VALU_DEP_2) | instskip(NEXT) | instid1(VALU_DEP_1)
	v_add_nc_u32_e32 v26, v26, v27
	v_mov_b32_dpp v27, v26 row_shr:4 row_mask:0xf bank_mask:0xf
	s_delay_alu instid0(VALU_DEP_1) | instskip(NEXT) | instid1(VALU_DEP_1)
	v_cndmask_b32_e32 v27, 0, v27, vcc_lo
	v_add_nc_u32_e32 v26, v26, v27
	ds_store_b32 v88, v26
.LBB523_684:                            ;   in Loop: Header=BB523_20 Depth=1
	s_or_b32 exec_lo, exec_lo, s12
	v_mov_b32_e32 v26, 0
	s_wait_dscnt 0x0
	s_barrier_signal -1
	s_barrier_wait -1
	s_and_saveexec_b32 s12, s5
; %bb.685:                              ;   in Loop: Header=BB523_20 Depth=1
	ds_load_b32 v26, v89
; %bb.686:                              ;   in Loop: Header=BB523_20 Depth=1
	s_or_b32 exec_lo, exec_lo, s12
	v_cmp_gt_i32_e32 vcc_lo, 0, v101
	s_wait_dscnt 0x0
	s_barrier_signal -1
	s_barrier_wait -1
	v_dual_cndmask_b32 v27, v101, v94, vcc_lo :: v_dual_add_nc_u32 v25, v26, v25
	s_delay_alu instid0(VALU_DEP_1)
	v_lshlrev_b32_e32 v120, 2, v27
	ds_bpermute_b32 v25, v120, v25
	s_and_saveexec_b32 s12, s0
	s_cbranch_execz .LBB523_688
; %bb.687:                              ;   in Loop: Header=BB523_20 Depth=1
	s_wait_dscnt 0x0
	v_cndmask_b32_e64 v25, v25, v26, s6
	s_delay_alu instid0(VALU_DEP_1)
	v_add_nc_u32_e32 v25, s52, v25
	ds_store_b32 v4, v25
.LBB523_688:                            ;   in Loop: Header=BB523_20 Depth=1
	s_or_b32 exec_lo, exec_lo, s12
	s_load_b64 s[12:13], s[34:35], 0x0
	s_mov_b32 s55, s54
                                        ; implicit-def: $vgpr32_vgpr33
                                        ; implicit-def: $vgpr34_vgpr35
                                        ; implicit-def: $vgpr36_vgpr37
                                        ; implicit-def: $vgpr38_vgpr39
                                        ; implicit-def: $vgpr40_vgpr41
                                        ; implicit-def: $vgpr42_vgpr43
                                        ; implicit-def: $vgpr44_vgpr45
                                        ; implicit-def: $vgpr46_vgpr47
                                        ; implicit-def: $vgpr48_vgpr49
                                        ; implicit-def: $vgpr50_vgpr51
                                        ; implicit-def: $vgpr52_vgpr53
                                        ; implicit-def: $vgpr54_vgpr55
                                        ; implicit-def: $vgpr56_vgpr57
                                        ; implicit-def: $vgpr58_vgpr59
                                        ; implicit-def: $vgpr60_vgpr61
                                        ; implicit-def: $vgpr121
                                        ; implicit-def: $vgpr122
                                        ; implicit-def: $vgpr123
                                        ; implicit-def: $vgpr124
                                        ; implicit-def: $vgpr125
                                        ; implicit-def: $vgpr126
                                        ; implicit-def: $vgpr127
                                        ; implicit-def: $vgpr128
                                        ; implicit-def: $vgpr129
                                        ; implicit-def: $vgpr130
                                        ; implicit-def: $vgpr131
                                        ; implicit-def: $vgpr132
                                        ; implicit-def: $vgpr133
                                        ; implicit-def: $vgpr134
                                        ; implicit-def: $vgpr135
                                        ; implicit-def: $vgpr136
	s_wait_kmcnt 0x0
	s_cmp_lt_u32 s33, s12
	s_cselect_b32 s30, 12, 18
	s_cmp_lt_u32 s42, s13
	s_mov_b32 s13, s31
	s_cselect_b32 s12, 14, 20
	s_delay_alu instid0(SALU_CYCLE_1)
	s_add_nc_u64 s[12:13], s[34:35], s[12:13]
	s_load_u16 s14, s[12:13], 0x0
	s_wait_xcnt 0x0
	s_add_nc_u64 s[12:13], s[34:35], s[30:31]
	s_mov_b32 s30, s52
	s_load_u16 s12, s[12:13], 0x0
	s_wait_xcnt 0x0
	v_cmp_lt_u32_e64 s13, 1, v100
	s_wait_dscnt 0x0
	s_wait_kmcnt 0x0
	v_mad_u32_u24 v25, v90, s14, v92
	v_cmp_lt_u32_e64 s14, 3, v100
	s_delay_alu instid0(VALU_DEP_2) | instskip(SKIP_2) | instid1(VALU_DEP_3)
	v_mad_u32 v26, v25, s12, v2
	v_mov_b32_e32 v25, v1
	v_cmp_eq_u32_e64 s12, 0, v100
	v_lshrrev_b32_e32 v30, 3, v26
	v_add_nc_u64_e32 v[26:27], v[14:15], v[0:1]
	s_delay_alu instid0(VALU_DEP_4) | instskip(NEXT) | instid1(VALU_DEP_3)
	v_add_nc_u64_e32 v[28:29], v[16:17], v[24:25]
	v_and_b32_e32 v25, 0x1ffffffc, v30
                                        ; implicit-def: $vgpr30_vgpr31
	s_branch .LBB523_690
.LBB523_689:                            ;   in Loop: Header=BB523_690 Depth=2
	s_or_b32 exec_lo, exec_lo, s15
	s_addk_co_i32 s55, 0xf000
	s_cmp_lt_u32 s56, s51
	s_mov_b32 s30, s56
	s_cbranch_scc0 .LBB523_898
.LBB523_690:                            ;   Parent Loop BB523_20 Depth=1
                                        ; =>  This Inner Loop Header: Depth=2
	s_add_co_i32 s56, s30, 0x1000
	s_delay_alu instid0(SALU_CYCLE_1)
	s_cmp_gt_u32 s56, s51
	s_cbranch_scc1 .LBB523_692
; %bb.691:                              ;   in Loop: Header=BB523_690 Depth=2
	s_delay_alu instid0(VALU_DEP_2)
	v_lshl_add_u64 v[62:63], s[30:31], 2, v[28:29]
	s_mov_b32 s15, -1
	s_clause 0xe
	global_load_b32 v139, v[62:63], off
	global_load_b32 v140, v[62:63], off offset:128
	global_load_b32 v143, v[62:63], off offset:256
	;; [unrolled: 1-line block ×14, first 2 shown]
	s_movk_i32 s16, 0x1000
	s_cbranch_execz .LBB523_693
	s_branch .LBB523_724
.LBB523_692:                            ;   in Loop: Header=BB523_690 Depth=2
	s_mov_b32 s15, 0
                                        ; implicit-def: $vgpr139
                                        ; implicit-def: $vgpr140
                                        ; implicit-def: $vgpr143
                                        ; implicit-def: $vgpr147
                                        ; implicit-def: $vgpr151
                                        ; implicit-def: $vgpr155
                                        ; implicit-def: $vgpr159
                                        ; implicit-def: $vgpr163
                                        ; implicit-def: $vgpr166
                                        ; implicit-def: $vgpr69
                                        ; implicit-def: $vgpr68
                                        ; implicit-def: $vgpr67
                                        ; implicit-def: $vgpr66
                                        ; implicit-def: $vgpr65
                                        ; implicit-def: $vgpr64
	s_movk_i32 s16, 0x1000
.LBB523_693:                            ;   in Loop: Header=BB523_690 Depth=2
	s_wait_xcnt 0x0
	v_lshl_add_u64 v[62:63], s[30:31], 2, v[28:29]
	s_wait_loadcnt 0xd
	v_bfrev_b32_e32 v140, 1
	v_bfrev_b32_e32 v139, 1
	s_mov_b32 s15, exec_lo
	v_cmpx_gt_u32_e64 s55, v99
	s_cbranch_execz .LBB523_695
; %bb.694:                              ;   in Loop: Header=BB523_690 Depth=2
	global_load_b32 v139, v[62:63], off
.LBB523_695:                            ;   in Loop: Header=BB523_690 Depth=2
	s_wait_xcnt 0x0
	s_or_b32 exec_lo, exec_lo, s15
	s_delay_alu instid0(SALU_CYCLE_1)
	s_mov_b32 s15, exec_lo
	v_cmpx_gt_u32_e64 s55, v102
	s_cbranch_execz .LBB523_697
; %bb.696:                              ;   in Loop: Header=BB523_690 Depth=2
	global_load_b32 v140, v[62:63], off offset:128
.LBB523_697:                            ;   in Loop: Header=BB523_690 Depth=2
	s_wait_xcnt 0x0
	s_or_b32 exec_lo, exec_lo, s15
	s_wait_loadcnt 0xb
	v_bfrev_b32_e32 v147, 1
	v_bfrev_b32_e32 v143, 1
	s_mov_b32 s15, exec_lo
	v_cmpx_gt_u32_e64 s55, v103
	s_cbranch_execz .LBB523_699
; %bb.698:                              ;   in Loop: Header=BB523_690 Depth=2
	global_load_b32 v143, v[62:63], off offset:256
.LBB523_699:                            ;   in Loop: Header=BB523_690 Depth=2
	s_wait_xcnt 0x0
	s_or_b32 exec_lo, exec_lo, s15
	s_delay_alu instid0(SALU_CYCLE_1)
	s_mov_b32 s15, exec_lo
	v_cmpx_gt_u32_e64 s55, v104
	s_cbranch_execz .LBB523_701
; %bb.700:                              ;   in Loop: Header=BB523_690 Depth=2
	global_load_b32 v147, v[62:63], off offset:384
.LBB523_701:                            ;   in Loop: Header=BB523_690 Depth=2
	s_wait_xcnt 0x0
	s_or_b32 exec_lo, exec_lo, s15
	s_wait_loadcnt 0x9
	v_bfrev_b32_e32 v155, 1
	v_bfrev_b32_e32 v151, 1
	s_mov_b32 s15, exec_lo
	v_cmpx_gt_u32_e64 s55, v105
	s_cbranch_execz .LBB523_703
; %bb.702:                              ;   in Loop: Header=BB523_690 Depth=2
	global_load_b32 v151, v[62:63], off offset:512
.LBB523_703:                            ;   in Loop: Header=BB523_690 Depth=2
	;; [unrolled: 20-line block ×6, first 2 shown]
	s_wait_xcnt 0x0
	s_or_b32 exec_lo, exec_lo, s15
	s_delay_alu instid0(SALU_CYCLE_1)
	s_mov_b32 s15, exec_lo
	v_cmpx_gt_u32_e64 s55, v114
	s_cbranch_execz .LBB523_721
; %bb.720:                              ;   in Loop: Header=BB523_690 Depth=2
	global_load_b32 v65, v[62:63], off offset:1664
.LBB523_721:                            ;   in Loop: Header=BB523_690 Depth=2
	s_wait_xcnt 0x0
	s_or_b32 exec_lo, exec_lo, s15
	s_wait_loadcnt 0x0
	v_bfrev_b32_e32 v64, 1
	s_mov_b32 s15, exec_lo
	v_cmpx_gt_u32_e64 s55, v115
	s_cbranch_execz .LBB523_723
; %bb.722:                              ;   in Loop: Header=BB523_690 Depth=2
	global_load_b32 v64, v[62:63], off offset:1792
.LBB523_723:                            ;   in Loop: Header=BB523_690 Depth=2
	s_wait_xcnt 0x0
	s_or_b32 exec_lo, exec_lo, s15
	v_cmp_gt_u32_e64 s15, s55, v116
	s_sub_co_i32 s16, s51, s30
.LBB523_724:                            ;   in Loop: Header=BB523_690 Depth=2
	v_dual_mov_b32 v138, -1 :: v_dual_mov_b32 v137, s55
	s_wait_xcnt 0x0
	s_and_saveexec_b32 s17, s15
	s_cbranch_execz .LBB523_726
; %bb.725:                              ;   in Loop: Header=BB523_690 Depth=2
	v_lshl_add_u64 v[62:63], s[30:31], 2, v[28:29]
	v_mov_b32_e32 v137, s16
	global_load_b32 v62, v[62:63], off offset:1920
	s_wait_loadcnt 0x0
	v_xor_b32_e32 v138, 0x7fffffff, v62
.LBB523_726:                            ;   in Loop: Header=BB523_690 Depth=2
	s_wait_xcnt 0x0
	s_or_b32 exec_lo, exec_lo, s17
	s_wait_loadcnt 0xe
	v_xor_b32_e32 v139, 0x7fffffff, v139
	ds_store_2addr_b32 v5, v1, v1 offset1:1
	ds_store_2addr_b32 v117, v1, v1 offset1:1
	;; [unrolled: 1-line block ×4, first 2 shown]
	ds_store_b32 v91, v1 offset:1088
	s_wait_loadcnt_dscnt 0x0
	s_barrier_signal -1
	v_lshrrev_b32_e32 v62, s49, v139
	s_barrier_wait -1
	; wave barrier
	s_delay_alu instid0(VALU_DEP_1) | instskip(NEXT) | instid1(VALU_DEP_1)
	v_and_b32_e32 v142, s48, v62
	v_lshlrev_b32_e32 v141, 30, v142
	v_bitop3_b32 v63, v62, 1, s48 bitop3:0x80
	s_delay_alu instid0(VALU_DEP_1) | instskip(NEXT) | instid1(VALU_DEP_1)
	v_add_co_u32 v62, s15, v63, -1
	v_cndmask_b32_e64 v63, 0, 1, s15
	s_delay_alu instid0(VALU_DEP_4) | instskip(NEXT) | instid1(VALU_DEP_2)
	v_cmp_gt_i32_e64 s15, 0, v141
	v_cmp_ne_u32_e32 vcc_lo, 0, v63
	v_not_b32_e32 v63, v141
	s_delay_alu instid0(VALU_DEP_1) | instskip(SKIP_3) | instid1(VALU_DEP_4)
	v_dual_ashrrev_i32 v63, 31, v63 :: v_dual_lshlrev_b32 v144, 29, v142
	v_dual_lshlrev_b32 v145, 28, v142 :: v_dual_lshlrev_b32 v146, 27, v142
	v_dual_lshlrev_b32 v148, 26, v142 :: v_dual_lshlrev_b32 v149, 25, v142
	v_lshlrev_b32_e32 v150, 24, v142
	v_cmp_gt_i32_e64 s16, 0, v144
	v_not_b32_e32 v141, v144
	v_not_b32_e32 v144, v145
	v_cmp_gt_i32_e64 s17, 0, v145
	v_cmp_gt_i32_e64 s18, 0, v146
	v_not_b32_e32 v145, v146
	v_not_b32_e32 v146, v148
	v_dual_ashrrev_i32 v141, 31, v141 :: v_dual_bitop2_b32 v62, vcc_lo, v62 bitop3:0x14
	v_dual_ashrrev_i32 v144, 31, v144 :: v_dual_bitop2_b32 v63, s15, v63 bitop3:0x14
	v_cmp_gt_i32_e64 s19, 0, v148
	v_not_b32_e32 v148, v149
	s_delay_alu instid0(VALU_DEP_3)
	v_dual_ashrrev_i32 v145, 31, v145 :: v_dual_bitop2_b32 v144, s17, v144 bitop3:0x14
	v_dual_ashrrev_i32 v146, 31, v146 :: v_dual_bitop2_b32 v141, s16, v141 bitop3:0x14
	v_bitop3_b32 v62, v62, v63, exec_lo bitop3:0x80
	v_not_b32_e32 v63, v150
	v_cmp_gt_i32_e64 s20, 0, v149
	v_dual_ashrrev_i32 v148, 31, v148 :: v_dual_bitop2_b32 v145, s18, v145 bitop3:0x14
	s_delay_alu instid0(VALU_DEP_4) | instskip(SKIP_2) | instid1(VALU_DEP_4)
	v_bitop3_b32 v62, v62, v144, v141 bitop3:0x80
	v_cmp_gt_i32_e32 vcc_lo, 0, v150
	v_dual_ashrrev_i32 v63, 31, v63 :: v_dual_bitop2_b32 v141, s19, v146 bitop3:0x14
	v_xor_b32_e32 v144, s20, v148
	s_delay_alu instid0(VALU_DEP_2) | instskip(NEXT) | instid1(VALU_DEP_3)
	v_xor_b32_e32 v63, vcc_lo, v63
	v_bitop3_b32 v62, v62, v141, v145 bitop3:0x80
	s_delay_alu instid0(VALU_DEP_1) | instskip(SKIP_1) | instid1(VALU_DEP_2)
	v_bitop3_b32 v62, v62, v63, v144 bitop3:0x80
	v_mul_u32_u24_e32 v63, 36, v142
	v_mbcnt_lo_u32_b32 v141, v62, 0
	v_cmp_ne_u32_e64 s15, 0, v62
	s_delay_alu instid0(VALU_DEP_3) | instskip(NEXT) | instid1(VALU_DEP_3)
	v_add_nc_u32_e32 v142, v25, v63
	v_cmp_eq_u32_e32 vcc_lo, 0, v141
	s_and_b32 s16, s15, vcc_lo
	s_delay_alu instid0(SALU_CYCLE_1)
	s_and_saveexec_b32 s15, s16
; %bb.727:                              ;   in Loop: Header=BB523_690 Depth=2
	v_bcnt_u32_b32 v62, v62, 0
	ds_store_b32 v142, v62 offset:1056
; %bb.728:                              ;   in Loop: Header=BB523_690 Depth=2
	s_or_b32 exec_lo, exec_lo, s15
	v_xor_b32_e32 v140, 0x7fffffff, v140
	; wave barrier
	s_delay_alu instid0(VALU_DEP_1) | instskip(NEXT) | instid1(VALU_DEP_1)
	v_lshrrev_b32_e32 v62, s49, v140
	v_and_b32_e32 v146, s48, v62
	s_delay_alu instid0(VALU_DEP_1) | instskip(SKIP_1) | instid1(VALU_DEP_1)
	v_lshlrev_b32_e32 v144, 30, v146
	v_bitop3_b32 v63, v62, 1, s48 bitop3:0x80
	v_add_co_u32 v62, s15, v63, -1
	s_delay_alu instid0(VALU_DEP_1) | instskip(NEXT) | instid1(VALU_DEP_4)
	v_cndmask_b32_e64 v63, 0, 1, s15
	v_cmp_gt_i32_e64 s15, 0, v144
	s_delay_alu instid0(VALU_DEP_2) | instskip(SKIP_1) | instid1(VALU_DEP_1)
	v_cmp_ne_u32_e32 vcc_lo, 0, v63
	v_not_b32_e32 v63, v144
	v_dual_ashrrev_i32 v63, 31, v63 :: v_dual_lshlrev_b32 v145, 29, v146
	v_dual_lshlrev_b32 v148, 28, v146 :: v_dual_lshlrev_b32 v149, 27, v146
	v_dual_lshlrev_b32 v150, 26, v146 :: v_dual_lshlrev_b32 v152, 25, v146
	v_lshlrev_b32_e32 v153, 24, v146
	s_delay_alu instid0(VALU_DEP_4)
	v_cmp_gt_i32_e64 s16, 0, v145
	v_not_b32_e32 v144, v145
	v_not_b32_e32 v145, v148
	v_cmp_gt_i32_e64 s17, 0, v148
	v_cmp_gt_i32_e64 s18, 0, v149
	v_not_b32_e32 v148, v149
	v_not_b32_e32 v149, v150
	v_dual_ashrrev_i32 v144, 31, v144 :: v_dual_bitop2_b32 v62, vcc_lo, v62 bitop3:0x14
	v_dual_ashrrev_i32 v145, 31, v145 :: v_dual_bitop2_b32 v63, s15, v63 bitop3:0x14
	v_cmp_gt_i32_e64 s19, 0, v150
	s_delay_alu instid0(VALU_DEP_4) | instskip(SKIP_1) | instid1(VALU_DEP_4)
	v_dual_ashrrev_i32 v148, 31, v148 :: v_dual_ashrrev_i32 v149, 31, v149
	v_not_b32_e32 v150, v153
	v_xor_b32_e32 v145, s17, v145
	v_bitop3_b32 v62, v62, v63, exec_lo bitop3:0x80
	v_not_b32_e32 v63, v152
	v_xor_b32_e32 v144, s16, v144
	v_cmp_gt_i32_e64 s20, 0, v152
	v_xor_b32_e32 v148, s18, v148
	s_delay_alu instid0(VALU_DEP_4) | instskip(NEXT) | instid1(VALU_DEP_4)
	v_dual_ashrrev_i32 v63, 31, v63 :: v_dual_bitop2_b32 v149, s19, v149 bitop3:0x14
	v_bitop3_b32 v62, v62, v145, v144 bitop3:0x80
	v_cmp_gt_i32_e32 vcc_lo, 0, v153
	v_ashrrev_i32_e32 v144, 31, v150
	v_mad_u32_u24 v145, v146, 36, v25
	v_xor_b32_e32 v63, s20, v63
	v_bitop3_b32 v62, v62, v149, v148 bitop3:0x80
	s_delay_alu instid0(VALU_DEP_4) | instskip(SKIP_3) | instid1(VALU_DEP_2)
	v_xor_b32_e32 v148, vcc_lo, v144
	ds_load_b32 v144, v145 offset:1056
	; wave barrier
	v_bitop3_b32 v62, v62, v148, v63 bitop3:0x80
	v_mul_u32_u24_e32 v63, 36, v146
	v_mbcnt_lo_u32_b32 v145, v62, 0
	v_cmp_ne_u32_e64 s15, 0, v62
	s_delay_alu instid0(VALU_DEP_3) | instskip(NEXT) | instid1(VALU_DEP_3)
	v_add_nc_u32_e32 v146, v25, v63
	v_cmp_eq_u32_e32 vcc_lo, 0, v145
	s_and_b32 s16, s15, vcc_lo
	s_delay_alu instid0(SALU_CYCLE_1)
	s_and_saveexec_b32 s15, s16
	s_cbranch_execz .LBB523_730
; %bb.729:                              ;   in Loop: Header=BB523_690 Depth=2
	s_wait_dscnt 0x0
	v_bcnt_u32_b32 v62, v62, v144
	ds_store_b32 v146, v62 offset:1056
.LBB523_730:                            ;   in Loop: Header=BB523_690 Depth=2
	s_or_b32 exec_lo, exec_lo, s15
	v_xor_b32_e32 v143, 0x7fffffff, v143
	; wave barrier
	s_delay_alu instid0(VALU_DEP_1) | instskip(NEXT) | instid1(VALU_DEP_1)
	v_lshrrev_b32_e32 v62, s49, v143
	v_and_b32_e32 v150, s48, v62
	s_delay_alu instid0(VALU_DEP_1) | instskip(SKIP_1) | instid1(VALU_DEP_1)
	v_lshlrev_b32_e32 v148, 30, v150
	v_bitop3_b32 v63, v62, 1, s48 bitop3:0x80
	v_add_co_u32 v62, s15, v63, -1
	s_delay_alu instid0(VALU_DEP_1) | instskip(NEXT) | instid1(VALU_DEP_4)
	v_cndmask_b32_e64 v63, 0, 1, s15
	v_cmp_gt_i32_e64 s15, 0, v148
	s_delay_alu instid0(VALU_DEP_2) | instskip(SKIP_1) | instid1(VALU_DEP_1)
	v_cmp_ne_u32_e32 vcc_lo, 0, v63
	v_not_b32_e32 v63, v148
	v_dual_ashrrev_i32 v63, 31, v63 :: v_dual_lshlrev_b32 v149, 29, v150
	v_dual_lshlrev_b32 v152, 28, v150 :: v_dual_lshlrev_b32 v153, 27, v150
	v_dual_lshlrev_b32 v154, 26, v150 :: v_dual_lshlrev_b32 v156, 25, v150
	v_lshlrev_b32_e32 v157, 24, v150
	s_delay_alu instid0(VALU_DEP_4)
	v_cmp_gt_i32_e64 s16, 0, v149
	v_not_b32_e32 v148, v149
	v_not_b32_e32 v149, v152
	v_cmp_gt_i32_e64 s17, 0, v152
	v_cmp_gt_i32_e64 s18, 0, v153
	v_not_b32_e32 v152, v153
	v_not_b32_e32 v153, v154
	v_dual_ashrrev_i32 v148, 31, v148 :: v_dual_bitop2_b32 v62, vcc_lo, v62 bitop3:0x14
	v_dual_ashrrev_i32 v149, 31, v149 :: v_dual_bitop2_b32 v63, s15, v63 bitop3:0x14
	v_cmp_gt_i32_e64 s19, 0, v154
	s_delay_alu instid0(VALU_DEP_4) | instskip(SKIP_1) | instid1(VALU_DEP_4)
	v_dual_ashrrev_i32 v152, 31, v152 :: v_dual_ashrrev_i32 v153, 31, v153
	v_not_b32_e32 v154, v157
	v_xor_b32_e32 v149, s17, v149
	v_bitop3_b32 v62, v62, v63, exec_lo bitop3:0x80
	v_not_b32_e32 v63, v156
	v_xor_b32_e32 v148, s16, v148
	v_cmp_gt_i32_e64 s20, 0, v156
	v_xor_b32_e32 v152, s18, v152
	s_delay_alu instid0(VALU_DEP_4) | instskip(NEXT) | instid1(VALU_DEP_4)
	v_dual_ashrrev_i32 v63, 31, v63 :: v_dual_bitop2_b32 v153, s19, v153 bitop3:0x14
	v_bitop3_b32 v62, v62, v149, v148 bitop3:0x80
	v_cmp_gt_i32_e32 vcc_lo, 0, v157
	v_ashrrev_i32_e32 v148, 31, v154
	v_mad_u32_u24 v149, v150, 36, v25
	v_xor_b32_e32 v63, s20, v63
	v_bitop3_b32 v62, v62, v153, v152 bitop3:0x80
	s_delay_alu instid0(VALU_DEP_4) | instskip(SKIP_3) | instid1(VALU_DEP_2)
	v_xor_b32_e32 v152, vcc_lo, v148
	ds_load_b32 v148, v149 offset:1056
	; wave barrier
	v_bitop3_b32 v62, v62, v152, v63 bitop3:0x80
	v_mul_u32_u24_e32 v63, 36, v150
	v_mbcnt_lo_u32_b32 v149, v62, 0
	v_cmp_ne_u32_e64 s15, 0, v62
	s_delay_alu instid0(VALU_DEP_3) | instskip(NEXT) | instid1(VALU_DEP_3)
	v_add_nc_u32_e32 v150, v25, v63
	v_cmp_eq_u32_e32 vcc_lo, 0, v149
	s_and_b32 s16, s15, vcc_lo
	s_delay_alu instid0(SALU_CYCLE_1)
	s_and_saveexec_b32 s15, s16
	s_cbranch_execz .LBB523_732
; %bb.731:                              ;   in Loop: Header=BB523_690 Depth=2
	s_wait_dscnt 0x0
	v_bcnt_u32_b32 v62, v62, v148
	ds_store_b32 v150, v62 offset:1056
.LBB523_732:                            ;   in Loop: Header=BB523_690 Depth=2
	s_or_b32 exec_lo, exec_lo, s15
	v_xor_b32_e32 v147, 0x7fffffff, v147
	; wave barrier
	s_delay_alu instid0(VALU_DEP_1) | instskip(NEXT) | instid1(VALU_DEP_1)
	v_lshrrev_b32_e32 v62, s49, v147
	v_and_b32_e32 v154, s48, v62
	s_delay_alu instid0(VALU_DEP_1) | instskip(SKIP_1) | instid1(VALU_DEP_1)
	v_lshlrev_b32_e32 v152, 30, v154
	v_bitop3_b32 v63, v62, 1, s48 bitop3:0x80
	v_add_co_u32 v62, s15, v63, -1
	s_delay_alu instid0(VALU_DEP_1) | instskip(NEXT) | instid1(VALU_DEP_4)
	v_cndmask_b32_e64 v63, 0, 1, s15
	v_cmp_gt_i32_e64 s15, 0, v152
	s_delay_alu instid0(VALU_DEP_2) | instskip(SKIP_1) | instid1(VALU_DEP_1)
	v_cmp_ne_u32_e32 vcc_lo, 0, v63
	v_not_b32_e32 v63, v152
	v_dual_ashrrev_i32 v63, 31, v63 :: v_dual_lshlrev_b32 v153, 29, v154
	v_dual_lshlrev_b32 v156, 28, v154 :: v_dual_lshlrev_b32 v157, 27, v154
	v_dual_lshlrev_b32 v158, 26, v154 :: v_dual_lshlrev_b32 v160, 25, v154
	v_lshlrev_b32_e32 v161, 24, v154
	s_delay_alu instid0(VALU_DEP_4)
	v_cmp_gt_i32_e64 s16, 0, v153
	v_not_b32_e32 v152, v153
	v_not_b32_e32 v153, v156
	v_cmp_gt_i32_e64 s17, 0, v156
	v_cmp_gt_i32_e64 s18, 0, v157
	v_not_b32_e32 v156, v157
	v_not_b32_e32 v157, v158
	v_dual_ashrrev_i32 v152, 31, v152 :: v_dual_bitop2_b32 v62, vcc_lo, v62 bitop3:0x14
	v_dual_ashrrev_i32 v153, 31, v153 :: v_dual_bitop2_b32 v63, s15, v63 bitop3:0x14
	v_cmp_gt_i32_e64 s19, 0, v158
	s_delay_alu instid0(VALU_DEP_4) | instskip(SKIP_1) | instid1(VALU_DEP_4)
	v_dual_ashrrev_i32 v156, 31, v156 :: v_dual_ashrrev_i32 v157, 31, v157
	v_not_b32_e32 v158, v161
	v_xor_b32_e32 v153, s17, v153
	v_bitop3_b32 v62, v62, v63, exec_lo bitop3:0x80
	v_not_b32_e32 v63, v160
	v_xor_b32_e32 v152, s16, v152
	v_cmp_gt_i32_e64 s20, 0, v160
	v_xor_b32_e32 v156, s18, v156
	s_delay_alu instid0(VALU_DEP_4) | instskip(NEXT) | instid1(VALU_DEP_4)
	v_dual_ashrrev_i32 v63, 31, v63 :: v_dual_bitop2_b32 v157, s19, v157 bitop3:0x14
	v_bitop3_b32 v62, v62, v153, v152 bitop3:0x80
	v_cmp_gt_i32_e32 vcc_lo, 0, v161
	v_ashrrev_i32_e32 v152, 31, v158
	v_mad_u32_u24 v153, v154, 36, v25
	v_xor_b32_e32 v63, s20, v63
	v_bitop3_b32 v62, v62, v157, v156 bitop3:0x80
	s_delay_alu instid0(VALU_DEP_4) | instskip(SKIP_3) | instid1(VALU_DEP_2)
	v_xor_b32_e32 v156, vcc_lo, v152
	ds_load_b32 v152, v153 offset:1056
	; wave barrier
	v_bitop3_b32 v62, v62, v156, v63 bitop3:0x80
	v_mul_u32_u24_e32 v63, 36, v154
	v_mbcnt_lo_u32_b32 v153, v62, 0
	v_cmp_ne_u32_e64 s15, 0, v62
	s_delay_alu instid0(VALU_DEP_3) | instskip(NEXT) | instid1(VALU_DEP_3)
	v_add_nc_u32_e32 v154, v25, v63
	v_cmp_eq_u32_e32 vcc_lo, 0, v153
	s_and_b32 s16, s15, vcc_lo
	s_delay_alu instid0(SALU_CYCLE_1)
	s_and_saveexec_b32 s15, s16
	s_cbranch_execz .LBB523_734
; %bb.733:                              ;   in Loop: Header=BB523_690 Depth=2
	s_wait_dscnt 0x0
	v_bcnt_u32_b32 v62, v62, v152
	ds_store_b32 v154, v62 offset:1056
.LBB523_734:                            ;   in Loop: Header=BB523_690 Depth=2
	s_or_b32 exec_lo, exec_lo, s15
	v_xor_b32_e32 v151, 0x7fffffff, v151
	; wave barrier
	s_delay_alu instid0(VALU_DEP_1) | instskip(NEXT) | instid1(VALU_DEP_1)
	v_lshrrev_b32_e32 v62, s49, v151
	v_and_b32_e32 v158, s48, v62
	s_delay_alu instid0(VALU_DEP_1) | instskip(SKIP_1) | instid1(VALU_DEP_1)
	v_lshlrev_b32_e32 v156, 30, v158
	v_bitop3_b32 v63, v62, 1, s48 bitop3:0x80
	v_add_co_u32 v62, s15, v63, -1
	s_delay_alu instid0(VALU_DEP_1) | instskip(NEXT) | instid1(VALU_DEP_4)
	v_cndmask_b32_e64 v63, 0, 1, s15
	v_cmp_gt_i32_e64 s15, 0, v156
	s_delay_alu instid0(VALU_DEP_2) | instskip(SKIP_1) | instid1(VALU_DEP_1)
	v_cmp_ne_u32_e32 vcc_lo, 0, v63
	v_not_b32_e32 v63, v156
	v_dual_ashrrev_i32 v63, 31, v63 :: v_dual_lshlrev_b32 v157, 29, v158
	v_dual_lshlrev_b32 v160, 28, v158 :: v_dual_lshlrev_b32 v161, 27, v158
	v_dual_lshlrev_b32 v162, 26, v158 :: v_dual_lshlrev_b32 v164, 25, v158
	v_lshlrev_b32_e32 v165, 24, v158
	s_delay_alu instid0(VALU_DEP_4)
	v_cmp_gt_i32_e64 s16, 0, v157
	v_not_b32_e32 v156, v157
	v_not_b32_e32 v157, v160
	v_cmp_gt_i32_e64 s17, 0, v160
	v_cmp_gt_i32_e64 s18, 0, v161
	v_not_b32_e32 v160, v161
	v_not_b32_e32 v161, v162
	v_dual_ashrrev_i32 v156, 31, v156 :: v_dual_bitop2_b32 v62, vcc_lo, v62 bitop3:0x14
	v_dual_ashrrev_i32 v157, 31, v157 :: v_dual_bitop2_b32 v63, s15, v63 bitop3:0x14
	v_cmp_gt_i32_e64 s19, 0, v162
	s_delay_alu instid0(VALU_DEP_4) | instskip(SKIP_1) | instid1(VALU_DEP_4)
	v_dual_ashrrev_i32 v160, 31, v160 :: v_dual_ashrrev_i32 v161, 31, v161
	v_not_b32_e32 v162, v165
	v_xor_b32_e32 v157, s17, v157
	v_bitop3_b32 v62, v62, v63, exec_lo bitop3:0x80
	v_not_b32_e32 v63, v164
	v_xor_b32_e32 v156, s16, v156
	v_cmp_gt_i32_e64 s20, 0, v164
	v_xor_b32_e32 v160, s18, v160
	s_delay_alu instid0(VALU_DEP_4) | instskip(NEXT) | instid1(VALU_DEP_4)
	v_dual_ashrrev_i32 v63, 31, v63 :: v_dual_bitop2_b32 v161, s19, v161 bitop3:0x14
	v_bitop3_b32 v62, v62, v157, v156 bitop3:0x80
	v_cmp_gt_i32_e32 vcc_lo, 0, v165
	v_ashrrev_i32_e32 v156, 31, v162
	v_mad_u32_u24 v157, v158, 36, v25
	v_xor_b32_e32 v63, s20, v63
	v_bitop3_b32 v62, v62, v161, v160 bitop3:0x80
	s_delay_alu instid0(VALU_DEP_4) | instskip(SKIP_3) | instid1(VALU_DEP_2)
	v_xor_b32_e32 v160, vcc_lo, v156
	ds_load_b32 v156, v157 offset:1056
	; wave barrier
	v_bitop3_b32 v62, v62, v160, v63 bitop3:0x80
	v_mul_u32_u24_e32 v63, 36, v158
	v_mbcnt_lo_u32_b32 v157, v62, 0
	v_cmp_ne_u32_e64 s15, 0, v62
	s_delay_alu instid0(VALU_DEP_3) | instskip(NEXT) | instid1(VALU_DEP_3)
	v_add_nc_u32_e32 v158, v25, v63
	v_cmp_eq_u32_e32 vcc_lo, 0, v157
	s_and_b32 s16, s15, vcc_lo
	s_delay_alu instid0(SALU_CYCLE_1)
	s_and_saveexec_b32 s15, s16
	s_cbranch_execz .LBB523_736
; %bb.735:                              ;   in Loop: Header=BB523_690 Depth=2
	s_wait_dscnt 0x0
	v_bcnt_u32_b32 v62, v62, v156
	ds_store_b32 v158, v62 offset:1056
.LBB523_736:                            ;   in Loop: Header=BB523_690 Depth=2
	s_or_b32 exec_lo, exec_lo, s15
	v_xor_b32_e32 v155, 0x7fffffff, v155
	; wave barrier
	s_delay_alu instid0(VALU_DEP_1) | instskip(NEXT) | instid1(VALU_DEP_1)
	v_lshrrev_b32_e32 v62, s49, v155
	v_and_b32_e32 v162, s48, v62
	s_delay_alu instid0(VALU_DEP_1) | instskip(SKIP_1) | instid1(VALU_DEP_1)
	v_lshlrev_b32_e32 v160, 30, v162
	v_bitop3_b32 v63, v62, 1, s48 bitop3:0x80
	v_add_co_u32 v62, s15, v63, -1
	s_delay_alu instid0(VALU_DEP_1) | instskip(NEXT) | instid1(VALU_DEP_4)
	v_cndmask_b32_e64 v63, 0, 1, s15
	v_cmp_gt_i32_e64 s15, 0, v160
	s_delay_alu instid0(VALU_DEP_2) | instskip(SKIP_1) | instid1(VALU_DEP_1)
	v_cmp_ne_u32_e32 vcc_lo, 0, v63
	v_not_b32_e32 v63, v160
	v_dual_ashrrev_i32 v63, 31, v63 :: v_dual_lshlrev_b32 v161, 29, v162
	v_dual_lshlrev_b32 v164, 28, v162 :: v_dual_lshlrev_b32 v165, 27, v162
	v_dual_lshlrev_b32 v167, 26, v162 :: v_dual_lshlrev_b32 v168, 25, v162
	v_lshlrev_b32_e32 v169, 24, v162
	s_delay_alu instid0(VALU_DEP_4)
	v_cmp_gt_i32_e64 s16, 0, v161
	v_not_b32_e32 v160, v161
	v_not_b32_e32 v161, v164
	v_cmp_gt_i32_e64 s17, 0, v164
	v_cmp_gt_i32_e64 s18, 0, v165
	v_not_b32_e32 v164, v165
	v_not_b32_e32 v165, v167
	v_dual_ashrrev_i32 v160, 31, v160 :: v_dual_bitop2_b32 v62, vcc_lo, v62 bitop3:0x14
	v_dual_ashrrev_i32 v161, 31, v161 :: v_dual_bitop2_b32 v63, s15, v63 bitop3:0x14
	v_cmp_gt_i32_e64 s19, 0, v167
	s_delay_alu instid0(VALU_DEP_4) | instskip(SKIP_1) | instid1(VALU_DEP_4)
	v_dual_ashrrev_i32 v164, 31, v164 :: v_dual_ashrrev_i32 v165, 31, v165
	v_not_b32_e32 v167, v169
	v_xor_b32_e32 v161, s17, v161
	v_bitop3_b32 v62, v62, v63, exec_lo bitop3:0x80
	v_not_b32_e32 v63, v168
	v_xor_b32_e32 v160, s16, v160
	v_cmp_gt_i32_e64 s20, 0, v168
	v_xor_b32_e32 v164, s18, v164
	s_delay_alu instid0(VALU_DEP_4) | instskip(NEXT) | instid1(VALU_DEP_4)
	v_dual_ashrrev_i32 v63, 31, v63 :: v_dual_bitop2_b32 v165, s19, v165 bitop3:0x14
	v_bitop3_b32 v62, v62, v161, v160 bitop3:0x80
	v_cmp_gt_i32_e32 vcc_lo, 0, v169
	v_ashrrev_i32_e32 v160, 31, v167
	v_mad_u32_u24 v161, v162, 36, v25
	v_xor_b32_e32 v63, s20, v63
	v_bitop3_b32 v62, v62, v165, v164 bitop3:0x80
	s_delay_alu instid0(VALU_DEP_4) | instskip(SKIP_3) | instid1(VALU_DEP_2)
	v_xor_b32_e32 v164, vcc_lo, v160
	ds_load_b32 v160, v161 offset:1056
	; wave barrier
	v_bitop3_b32 v62, v62, v164, v63 bitop3:0x80
	v_mul_u32_u24_e32 v63, 36, v162
	v_mbcnt_lo_u32_b32 v161, v62, 0
	v_cmp_ne_u32_e64 s15, 0, v62
	s_delay_alu instid0(VALU_DEP_3) | instskip(NEXT) | instid1(VALU_DEP_3)
	v_add_nc_u32_e32 v162, v25, v63
	v_cmp_eq_u32_e32 vcc_lo, 0, v161
	s_and_b32 s16, s15, vcc_lo
	s_delay_alu instid0(SALU_CYCLE_1)
	s_and_saveexec_b32 s15, s16
	s_cbranch_execz .LBB523_738
; %bb.737:                              ;   in Loop: Header=BB523_690 Depth=2
	s_wait_dscnt 0x0
	v_bcnt_u32_b32 v62, v62, v160
	ds_store_b32 v162, v62 offset:1056
.LBB523_738:                            ;   in Loop: Header=BB523_690 Depth=2
	s_or_b32 exec_lo, exec_lo, s15
	v_xor_b32_e32 v159, 0x7fffffff, v159
	; wave barrier
	s_delay_alu instid0(VALU_DEP_1) | instskip(NEXT) | instid1(VALU_DEP_1)
	v_lshrrev_b32_e32 v62, s49, v159
	v_bitop3_b32 v63, v62, 1, s48 bitop3:0x80
	v_and_b32_e32 v167, s48, v62
	s_delay_alu instid0(VALU_DEP_2) | instskip(NEXT) | instid1(VALU_DEP_1)
	v_add_co_u32 v62, s15, v63, -1
	v_cndmask_b32_e64 v63, 0, 1, s15
	s_delay_alu instid0(VALU_DEP_3) | instskip(NEXT) | instid1(VALU_DEP_2)
	v_lshlrev_b32_e32 v164, 30, v167
	v_cmp_ne_u32_e32 vcc_lo, 0, v63
	s_delay_alu instid0(VALU_DEP_2) | instskip(NEXT) | instid1(VALU_DEP_1)
	v_not_b32_e32 v63, v164
	v_dual_ashrrev_i32 v63, 31, v63 :: v_dual_bitop2_b32 v62, vcc_lo, v62 bitop3:0x14
	v_dual_lshlrev_b32 v165, 29, v167 :: v_dual_lshlrev_b32 v168, 28, v167
	v_dual_lshlrev_b32 v169, 27, v167 :: v_dual_lshlrev_b32 v170, 26, v167
	v_lshlrev_b32_e32 v171, 25, v167
	v_cmp_gt_i32_e64 s15, 0, v164
	s_delay_alu instid0(VALU_DEP_4)
	v_cmp_gt_i32_e64 s16, 0, v165
	v_not_b32_e32 v164, v165
	v_not_b32_e32 v165, v168
	v_lshlrev_b32_e32 v172, 24, v167
	v_cmp_gt_i32_e64 s17, 0, v168
	v_cmp_gt_i32_e64 s18, 0, v169
	v_not_b32_e32 v168, v169
	v_not_b32_e32 v169, v170
	v_dual_ashrrev_i32 v164, 31, v164 :: v_dual_ashrrev_i32 v165, 31, v165
	v_xor_b32_e32 v63, s15, v63
	v_cmp_gt_i32_e64 s19, 0, v170
	s_delay_alu instid0(VALU_DEP_4)
	v_dual_ashrrev_i32 v168, 31, v168 :: v_dual_ashrrev_i32 v169, 31, v169
	v_not_b32_e32 v170, v172
	v_xor_b32_e32 v165, s17, v165
	v_bitop3_b32 v62, v62, v63, exec_lo bitop3:0x80
	v_not_b32_e32 v63, v171
	v_xor_b32_e32 v164, s16, v164
	v_cmp_gt_i32_e64 s20, 0, v171
	v_xor_b32_e32 v168, s18, v168
	s_delay_alu instid0(VALU_DEP_4) | instskip(NEXT) | instid1(VALU_DEP_4)
	v_dual_ashrrev_i32 v63, 31, v63 :: v_dual_bitop2_b32 v169, s19, v169 bitop3:0x14
	v_bitop3_b32 v62, v62, v165, v164 bitop3:0x80
	v_cmp_gt_i32_e32 vcc_lo, 0, v172
	v_ashrrev_i32_e32 v164, 31, v170
	v_mad_u32_u24 v165, v167, 36, v25
	v_xor_b32_e32 v63, s20, v63
	v_bitop3_b32 v62, v62, v169, v168 bitop3:0x80
	s_delay_alu instid0(VALU_DEP_4) | instskip(SKIP_3) | instid1(VALU_DEP_2)
	v_xor_b32_e32 v168, vcc_lo, v164
	ds_load_b32 v164, v165 offset:1056
	; wave barrier
	v_bitop3_b32 v62, v62, v168, v63 bitop3:0x80
	v_mul_u32_u24_e32 v63, 36, v167
	v_mbcnt_lo_u32_b32 v165, v62, 0
	v_cmp_ne_u32_e64 s15, 0, v62
	s_delay_alu instid0(VALU_DEP_3) | instskip(NEXT) | instid1(VALU_DEP_3)
	v_add_nc_u32_e32 v167, v25, v63
	v_cmp_eq_u32_e32 vcc_lo, 0, v165
	s_and_b32 s16, s15, vcc_lo
	s_delay_alu instid0(SALU_CYCLE_1)
	s_and_saveexec_b32 s15, s16
	s_cbranch_execz .LBB523_740
; %bb.739:                              ;   in Loop: Header=BB523_690 Depth=2
	s_wait_dscnt 0x0
	v_bcnt_u32_b32 v62, v62, v164
	ds_store_b32 v167, v62 offset:1056
.LBB523_740:                            ;   in Loop: Header=BB523_690 Depth=2
	s_or_b32 exec_lo, exec_lo, s15
	v_xor_b32_e32 v163, 0x7fffffff, v163
	; wave barrier
	s_delay_alu instid0(VALU_DEP_1) | instskip(NEXT) | instid1(VALU_DEP_1)
	v_lshrrev_b32_e32 v62, s49, v163
	v_and_b32_e32 v170, s48, v62
	s_delay_alu instid0(VALU_DEP_1) | instskip(SKIP_1) | instid1(VALU_DEP_1)
	v_lshlrev_b32_e32 v168, 30, v170
	v_bitop3_b32 v63, v62, 1, s48 bitop3:0x80
	v_add_co_u32 v62, s15, v63, -1
	s_delay_alu instid0(VALU_DEP_1) | instskip(NEXT) | instid1(VALU_DEP_4)
	v_cndmask_b32_e64 v63, 0, 1, s15
	v_cmp_gt_i32_e64 s15, 0, v168
	s_delay_alu instid0(VALU_DEP_2) | instskip(SKIP_1) | instid1(VALU_DEP_1)
	v_cmp_ne_u32_e32 vcc_lo, 0, v63
	v_not_b32_e32 v63, v168
	v_dual_ashrrev_i32 v63, 31, v63 :: v_dual_lshlrev_b32 v169, 29, v170
	v_dual_lshlrev_b32 v171, 28, v170 :: v_dual_lshlrev_b32 v172, 27, v170
	v_dual_lshlrev_b32 v173, 26, v170 :: v_dual_lshlrev_b32 v174, 25, v170
	v_lshlrev_b32_e32 v175, 24, v170
	s_delay_alu instid0(VALU_DEP_4)
	v_cmp_gt_i32_e64 s16, 0, v169
	v_not_b32_e32 v168, v169
	v_not_b32_e32 v169, v171
	v_cmp_gt_i32_e64 s17, 0, v171
	v_cmp_gt_i32_e64 s18, 0, v172
	v_not_b32_e32 v171, v172
	v_not_b32_e32 v172, v173
	v_dual_ashrrev_i32 v168, 31, v168 :: v_dual_bitop2_b32 v62, vcc_lo, v62 bitop3:0x14
	v_dual_ashrrev_i32 v169, 31, v169 :: v_dual_bitop2_b32 v63, s15, v63 bitop3:0x14
	v_cmp_gt_i32_e64 s19, 0, v173
	s_delay_alu instid0(VALU_DEP_4) | instskip(NEXT) | instid1(VALU_DEP_3)
	v_dual_ashrrev_i32 v171, 31, v171 :: v_dual_ashrrev_i32 v172, 31, v172
	v_xor_b32_e32 v169, s17, v169
	s_delay_alu instid0(VALU_DEP_4)
	v_bitop3_b32 v62, v62, v63, exec_lo bitop3:0x80
	v_not_b32_e32 v63, v174
	v_xor_b32_e32 v168, s16, v168
	v_not_b32_e32 v173, v175
	v_cmp_gt_i32_e64 s20, 0, v174
	v_xor_b32_e32 v171, s18, v171
	v_dual_ashrrev_i32 v63, 31, v63 :: v_dual_bitop2_b32 v172, s19, v172 bitop3:0x14
	v_bitop3_b32 v62, v62, v169, v168 bitop3:0x80
	v_cmp_gt_i32_e32 vcc_lo, 0, v175
	v_ashrrev_i32_e32 v168, 31, v173
	v_mad_u32_u24 v169, v170, 36, v25
	v_xor_b32_e32 v63, s20, v63
	v_bitop3_b32 v62, v62, v172, v171 bitop3:0x80
	s_delay_alu instid0(VALU_DEP_4) | instskip(SKIP_3) | instid1(VALU_DEP_2)
	v_xor_b32_e32 v171, vcc_lo, v168
	ds_load_b32 v168, v169 offset:1056
	; wave barrier
	v_bitop3_b32 v62, v62, v171, v63 bitop3:0x80
	v_mul_u32_u24_e32 v63, 36, v170
	v_mbcnt_lo_u32_b32 v169, v62, 0
	v_cmp_ne_u32_e64 s15, 0, v62
	s_delay_alu instid0(VALU_DEP_3) | instskip(NEXT) | instid1(VALU_DEP_3)
	v_add_nc_u32_e32 v170, v25, v63
	v_cmp_eq_u32_e32 vcc_lo, 0, v169
	s_and_b32 s16, s15, vcc_lo
	s_delay_alu instid0(SALU_CYCLE_1)
	s_and_saveexec_b32 s15, s16
	s_cbranch_execz .LBB523_742
; %bb.741:                              ;   in Loop: Header=BB523_690 Depth=2
	s_wait_dscnt 0x0
	v_bcnt_u32_b32 v62, v62, v168
	ds_store_b32 v170, v62 offset:1056
.LBB523_742:                            ;   in Loop: Header=BB523_690 Depth=2
	s_or_b32 exec_lo, exec_lo, s15
	v_xor_b32_e32 v166, 0x7fffffff, v166
	; wave barrier
	s_delay_alu instid0(VALU_DEP_1) | instskip(NEXT) | instid1(VALU_DEP_1)
	v_lshrrev_b32_e32 v62, s49, v166
	v_and_b32_e32 v171, s48, v62
	s_delay_alu instid0(VALU_DEP_1) | instskip(SKIP_1) | instid1(VALU_DEP_1)
	v_lshlrev_b32_e32 v172, 30, v171
	v_bitop3_b32 v63, v62, 1, s48 bitop3:0x80
	v_add_co_u32 v62, s15, v63, -1
	s_delay_alu instid0(VALU_DEP_1) | instskip(NEXT) | instid1(VALU_DEP_4)
	v_cndmask_b32_e64 v63, 0, 1, s15
	v_cmp_gt_i32_e64 s15, 0, v172
	s_delay_alu instid0(VALU_DEP_2) | instskip(SKIP_1) | instid1(VALU_DEP_1)
	v_cmp_ne_u32_e32 vcc_lo, 0, v63
	v_not_b32_e32 v63, v172
	v_ashrrev_i32_e32 v63, 31, v63
	v_dual_lshlrev_b32 v173, 29, v171 :: v_dual_lshlrev_b32 v174, 28, v171
	v_dual_lshlrev_b32 v175, 27, v171 :: v_dual_lshlrev_b32 v176, 26, v171
	v_dual_lshlrev_b32 v177, 25, v171 :: v_dual_lshlrev_b32 v178, 24, v171
	s_delay_alu instid0(VALU_DEP_3)
	v_cmp_gt_i32_e64 s16, 0, v173
	v_not_b32_e32 v172, v173
	v_not_b32_e32 v173, v174
	v_cmp_gt_i32_e64 s17, 0, v174
	v_cmp_gt_i32_e64 s18, 0, v175
	v_not_b32_e32 v174, v175
	v_not_b32_e32 v175, v176
	v_dual_ashrrev_i32 v172, 31, v172 :: v_dual_bitop2_b32 v62, vcc_lo, v62 bitop3:0x14
	v_dual_ashrrev_i32 v173, 31, v173 :: v_dual_bitop2_b32 v63, s15, v63 bitop3:0x14
	v_cmp_gt_i32_e64 s19, 0, v176
	s_delay_alu instid0(VALU_DEP_4) | instskip(SKIP_1) | instid1(VALU_DEP_4)
	v_dual_ashrrev_i32 v174, 31, v174 :: v_dual_ashrrev_i32 v175, 31, v175
	v_not_b32_e32 v176, v178
	v_xor_b32_e32 v173, s17, v173
	v_bitop3_b32 v62, v62, v63, exec_lo bitop3:0x80
	v_not_b32_e32 v63, v177
	v_xor_b32_e32 v172, s16, v172
	v_cmp_gt_i32_e64 s20, 0, v177
	v_xor_b32_e32 v174, s18, v174
	v_xor_b32_e32 v175, s19, v175
	v_ashrrev_i32_e32 v63, 31, v63
	v_bitop3_b32 v62, v62, v173, v172 bitop3:0x80
	v_cmp_gt_i32_e32 vcc_lo, 0, v178
	v_ashrrev_i32_e32 v172, 31, v176
	v_mad_u32_u24 v173, v171, 36, v25
	v_xor_b32_e32 v63, s20, v63
	v_bitop3_b32 v62, v62, v175, v174 bitop3:0x80
	s_delay_alu instid0(VALU_DEP_4) | instskip(SKIP_3) | instid1(VALU_DEP_2)
	v_xor_b32_e32 v174, vcc_lo, v172
	ds_load_b32 v172, v173 offset:1056
	; wave barrier
	v_bitop3_b32 v62, v62, v174, v63 bitop3:0x80
	v_mul_u32_u24_e32 v63, 36, v171
	v_mbcnt_lo_u32_b32 v173, v62, 0
	v_cmp_ne_u32_e64 s15, 0, v62
	s_delay_alu instid0(VALU_DEP_3) | instskip(NEXT) | instid1(VALU_DEP_3)
	v_add_nc_u32_e32 v174, v25, v63
	v_cmp_eq_u32_e32 vcc_lo, 0, v173
	s_and_b32 s16, s15, vcc_lo
	s_delay_alu instid0(SALU_CYCLE_1)
	s_and_saveexec_b32 s15, s16
	s_cbranch_execz .LBB523_744
; %bb.743:                              ;   in Loop: Header=BB523_690 Depth=2
	s_wait_dscnt 0x0
	v_bcnt_u32_b32 v62, v62, v172
	ds_store_b32 v174, v62 offset:1056
.LBB523_744:                            ;   in Loop: Header=BB523_690 Depth=2
	s_or_b32 exec_lo, exec_lo, s15
	v_xor_b32_e32 v171, 0x7fffffff, v69
	; wave barrier
	s_delay_alu instid0(VALU_DEP_1) | instskip(NEXT) | instid1(VALU_DEP_1)
	v_lshrrev_b32_e32 v62, s49, v171
	v_and_b32_e32 v69, s48, v62
	s_delay_alu instid0(VALU_DEP_1) | instskip(SKIP_1) | instid1(VALU_DEP_1)
	v_lshlrev_b32_e32 v175, 30, v69
	v_bitop3_b32 v63, v62, 1, s48 bitop3:0x80
	v_add_co_u32 v62, s15, v63, -1
	s_delay_alu instid0(VALU_DEP_1) | instskip(NEXT) | instid1(VALU_DEP_4)
	v_cndmask_b32_e64 v63, 0, 1, s15
	v_cmp_gt_i32_e64 s15, 0, v175
	s_delay_alu instid0(VALU_DEP_2) | instskip(SKIP_1) | instid1(VALU_DEP_1)
	v_cmp_ne_u32_e32 vcc_lo, 0, v63
	v_not_b32_e32 v63, v175
	v_dual_ashrrev_i32 v63, 31, v63 :: v_dual_lshlrev_b32 v176, 29, v69
	v_dual_lshlrev_b32 v177, 28, v69 :: v_dual_lshlrev_b32 v178, 27, v69
	v_dual_lshlrev_b32 v179, 26, v69 :: v_dual_lshlrev_b32 v180, 25, v69
	v_lshlrev_b32_e32 v181, 24, v69
	s_delay_alu instid0(VALU_DEP_4)
	v_cmp_gt_i32_e64 s16, 0, v176
	v_not_b32_e32 v175, v176
	v_not_b32_e32 v176, v177
	v_cmp_gt_i32_e64 s17, 0, v177
	v_cmp_gt_i32_e64 s18, 0, v178
	v_not_b32_e32 v177, v178
	v_not_b32_e32 v178, v179
	v_dual_ashrrev_i32 v175, 31, v175 :: v_dual_bitop2_b32 v62, vcc_lo, v62 bitop3:0x14
	v_dual_ashrrev_i32 v176, 31, v176 :: v_dual_bitop2_b32 v63, s15, v63 bitop3:0x14
	v_cmp_gt_i32_e64 s19, 0, v179
	s_delay_alu instid0(VALU_DEP_4) | instskip(NEXT) | instid1(VALU_DEP_4)
	v_dual_ashrrev_i32 v177, 31, v177 :: v_dual_ashrrev_i32 v178, 31, v178
	v_xor_b32_e32 v175, s16, v175
	s_delay_alu instid0(VALU_DEP_4)
	v_bitop3_b32 v62, v62, v63, exec_lo bitop3:0x80
	v_not_b32_e32 v63, v180
	v_xor_b32_e32 v176, s17, v176
	v_not_b32_e32 v179, v181
	v_cmp_gt_i32_e64 s20, 0, v180
	v_xor_b32_e32 v177, s18, v177
	v_dual_ashrrev_i32 v63, 31, v63 :: v_dual_bitop2_b32 v178, s19, v178 bitop3:0x14
	v_bitop3_b32 v62, v62, v176, v175 bitop3:0x80
	v_cmp_gt_i32_e32 vcc_lo, 0, v181
	v_ashrrev_i32_e32 v175, 31, v179
	v_mad_u32_u24 v176, v69, 36, v25
	v_xor_b32_e32 v63, s20, v63
	v_bitop3_b32 v62, v62, v178, v177 bitop3:0x80
	s_delay_alu instid0(VALU_DEP_4) | instskip(SKIP_3) | instid1(VALU_DEP_2)
	v_xor_b32_e32 v175, vcc_lo, v175
	ds_load_b32 v176, v176 offset:1056
	; wave barrier
	v_bitop3_b32 v62, v62, v175, v63 bitop3:0x80
	v_mul_u32_u24_e32 v63, 36, v69
	v_mbcnt_lo_u32_b32 v177, v62, 0
	v_cmp_ne_u32_e64 s15, 0, v62
	s_delay_alu instid0(VALU_DEP_3) | instskip(NEXT) | instid1(VALU_DEP_3)
	v_add_nc_u32_e32 v178, v25, v63
	v_cmp_eq_u32_e32 vcc_lo, 0, v177
	s_and_b32 s16, s15, vcc_lo
	s_delay_alu instid0(SALU_CYCLE_1)
	s_and_saveexec_b32 s15, s16
	s_cbranch_execz .LBB523_746
; %bb.745:                              ;   in Loop: Header=BB523_690 Depth=2
	s_wait_dscnt 0x0
	v_bcnt_u32_b32 v62, v62, v176
	ds_store_b32 v178, v62 offset:1056
.LBB523_746:                            ;   in Loop: Header=BB523_690 Depth=2
	s_or_b32 exec_lo, exec_lo, s15
	v_xor_b32_e32 v175, 0x7fffffff, v68
	; wave barrier
	s_delay_alu instid0(VALU_DEP_1) | instskip(NEXT) | instid1(VALU_DEP_1)
	v_lshrrev_b32_e32 v62, s49, v175
	v_and_b32_e32 v68, s48, v62
	s_delay_alu instid0(VALU_DEP_1) | instskip(SKIP_1) | instid1(VALU_DEP_1)
	v_lshlrev_b32_e32 v69, 30, v68
	v_bitop3_b32 v63, v62, 1, s48 bitop3:0x80
	v_add_co_u32 v62, s15, v63, -1
	s_delay_alu instid0(VALU_DEP_1) | instskip(NEXT) | instid1(VALU_DEP_4)
	v_cndmask_b32_e64 v63, 0, 1, s15
	v_cmp_gt_i32_e64 s15, 0, v69
	s_delay_alu instid0(VALU_DEP_2) | instskip(SKIP_1) | instid1(VALU_DEP_1)
	v_cmp_ne_u32_e32 vcc_lo, 0, v63
	v_not_b32_e32 v63, v69
	v_dual_ashrrev_i32 v63, 31, v63 :: v_dual_lshlrev_b32 v179, 29, v68
	v_dual_lshlrev_b32 v180, 28, v68 :: v_dual_lshlrev_b32 v181, 27, v68
	v_dual_lshlrev_b32 v182, 26, v68 :: v_dual_lshlrev_b32 v183, 25, v68
	v_lshlrev_b32_e32 v184, 24, v68
	s_delay_alu instid0(VALU_DEP_4)
	v_cmp_gt_i32_e64 s16, 0, v179
	v_not_b32_e32 v69, v179
	v_not_b32_e32 v179, v180
	v_cmp_gt_i32_e64 s17, 0, v180
	v_cmp_gt_i32_e64 s18, 0, v181
	v_not_b32_e32 v180, v181
	v_not_b32_e32 v181, v182
	v_dual_ashrrev_i32 v69, 31, v69 :: v_dual_bitop2_b32 v62, vcc_lo, v62 bitop3:0x14
	s_delay_alu instid0(VALU_DEP_3) | instskip(NEXT) | instid1(VALU_DEP_3)
	v_dual_ashrrev_i32 v179, 31, v179 :: v_dual_ashrrev_i32 v180, 31, v180
	v_dual_ashrrev_i32 v181, 31, v181 :: v_dual_bitop2_b32 v63, s15, v63 bitop3:0x14
	v_cmp_gt_i32_e64 s19, 0, v182
	v_not_b32_e32 v182, v184
	s_delay_alu instid0(VALU_DEP_4) | instskip(NEXT) | instid1(VALU_DEP_4)
	v_xor_b32_e32 v179, s17, v179
	v_bitop3_b32 v62, v62, v63, exec_lo bitop3:0x80
	v_not_b32_e32 v63, v183
	v_xor_b32_e32 v69, s16, v69
	v_cmp_gt_i32_e64 s20, 0, v183
	v_xor_b32_e32 v180, s18, v180
	s_delay_alu instid0(VALU_DEP_4) | instskip(NEXT) | instid1(VALU_DEP_4)
	v_dual_ashrrev_i32 v63, 31, v63 :: v_dual_bitop2_b32 v181, s19, v181 bitop3:0x14
	v_bitop3_b32 v62, v62, v179, v69 bitop3:0x80
	v_cmp_gt_i32_e32 vcc_lo, 0, v184
	v_ashrrev_i32_e32 v69, 31, v182
	v_mad_u32_u24 v179, v68, 36, v25
	v_xor_b32_e32 v63, s20, v63
	v_bitop3_b32 v62, v62, v181, v180 bitop3:0x80
	s_delay_alu instid0(VALU_DEP_4) | instskip(SKIP_3) | instid1(VALU_DEP_2)
	v_xor_b32_e32 v69, vcc_lo, v69
	ds_load_b32 v180, v179 offset:1056
	; wave barrier
	v_bitop3_b32 v62, v62, v69, v63 bitop3:0x80
	v_mul_u32_u24_e32 v63, 36, v68
	v_mbcnt_lo_u32_b32 v181, v62, 0
	v_cmp_ne_u32_e64 s15, 0, v62
	s_delay_alu instid0(VALU_DEP_3) | instskip(NEXT) | instid1(VALU_DEP_3)
	v_add_nc_u32_e32 v182, v25, v63
	v_cmp_eq_u32_e32 vcc_lo, 0, v181
	s_and_b32 s16, s15, vcc_lo
	s_delay_alu instid0(SALU_CYCLE_1)
	s_and_saveexec_b32 s15, s16
	s_cbranch_execz .LBB523_748
; %bb.747:                              ;   in Loop: Header=BB523_690 Depth=2
	s_wait_dscnt 0x0
	v_bcnt_u32_b32 v62, v62, v180
	ds_store_b32 v182, v62 offset:1056
.LBB523_748:                            ;   in Loop: Header=BB523_690 Depth=2
	s_or_b32 exec_lo, exec_lo, s15
	v_xor_b32_e32 v179, 0x7fffffff, v67
	; wave barrier
	s_delay_alu instid0(VALU_DEP_1) | instskip(NEXT) | instid1(VALU_DEP_1)
	v_lshrrev_b32_e32 v62, s49, v179
	v_bitop3_b32 v63, v62, 1, s48 bitop3:0x80
	v_and_b32_e32 v67, s48, v62
	s_delay_alu instid0(VALU_DEP_2) | instskip(NEXT) | instid1(VALU_DEP_1)
	v_add_co_u32 v62, s15, v63, -1
	v_cndmask_b32_e64 v63, 0, 1, s15
	s_delay_alu instid0(VALU_DEP_3) | instskip(NEXT) | instid1(VALU_DEP_2)
	v_lshlrev_b32_e32 v68, 30, v67
	v_cmp_ne_u32_e32 vcc_lo, 0, v63
	s_delay_alu instid0(VALU_DEP_2) | instskip(NEXT) | instid1(VALU_DEP_1)
	v_not_b32_e32 v63, v68
	v_dual_ashrrev_i32 v63, 31, v63 :: v_dual_bitop2_b32 v62, vcc_lo, v62 bitop3:0x14
	v_dual_lshlrev_b32 v69, 29, v67 :: v_dual_lshlrev_b32 v183, 28, v67
	v_dual_lshlrev_b32 v184, 27, v67 :: v_dual_lshlrev_b32 v185, 26, v67
	v_lshlrev_b32_e32 v186, 25, v67
	v_cmp_gt_i32_e64 s15, 0, v68
	s_delay_alu instid0(VALU_DEP_4)
	v_cmp_gt_i32_e64 s16, 0, v69
	v_not_b32_e32 v68, v69
	v_not_b32_e32 v69, v183
	v_lshlrev_b32_e32 v187, 24, v67
	v_cmp_gt_i32_e64 s17, 0, v183
	v_cmp_gt_i32_e64 s18, 0, v184
	v_not_b32_e32 v183, v184
	v_not_b32_e32 v184, v185
	v_dual_ashrrev_i32 v68, 31, v68 :: v_dual_ashrrev_i32 v69, 31, v69
	v_xor_b32_e32 v63, s15, v63
	v_cmp_gt_i32_e64 s19, 0, v185
	s_delay_alu instid0(VALU_DEP_4) | instskip(NEXT) | instid1(VALU_DEP_4)
	v_dual_ashrrev_i32 v183, 31, v183 :: v_dual_ashrrev_i32 v184, 31, v184
	v_xor_b32_e32 v69, s17, v69
	s_delay_alu instid0(VALU_DEP_4)
	v_bitop3_b32 v62, v62, v63, exec_lo bitop3:0x80
	v_not_b32_e32 v63, v186
	v_xor_b32_e32 v68, s16, v68
	v_not_b32_e32 v185, v187
	v_cmp_gt_i32_e64 s20, 0, v186
	v_xor_b32_e32 v183, s18, v183
	v_dual_ashrrev_i32 v63, 31, v63 :: v_dual_bitop2_b32 v184, s19, v184 bitop3:0x14
	v_bitop3_b32 v62, v62, v69, v68 bitop3:0x80
	v_cmp_gt_i32_e32 vcc_lo, 0, v187
	v_ashrrev_i32_e32 v68, 31, v185
	v_mad_u32_u24 v69, v67, 36, v25
	v_xor_b32_e32 v63, s20, v63
	v_bitop3_b32 v62, v62, v184, v183 bitop3:0x80
	s_delay_alu instid0(VALU_DEP_4) | instskip(SKIP_3) | instid1(VALU_DEP_2)
	v_xor_b32_e32 v68, vcc_lo, v68
	ds_load_b32 v184, v69 offset:1056
	; wave barrier
	v_bitop3_b32 v62, v62, v68, v63 bitop3:0x80
	v_mul_u32_u24_e32 v63, 36, v67
	v_mbcnt_lo_u32_b32 v185, v62, 0
	v_cmp_ne_u32_e64 s15, 0, v62
	s_delay_alu instid0(VALU_DEP_3) | instskip(NEXT) | instid1(VALU_DEP_3)
	v_add_nc_u32_e32 v186, v25, v63
	v_cmp_eq_u32_e32 vcc_lo, 0, v185
	s_and_b32 s16, s15, vcc_lo
	s_delay_alu instid0(SALU_CYCLE_1)
	s_and_saveexec_b32 s15, s16
	s_cbranch_execz .LBB523_750
; %bb.749:                              ;   in Loop: Header=BB523_690 Depth=2
	s_wait_dscnt 0x0
	v_bcnt_u32_b32 v62, v62, v184
	ds_store_b32 v186, v62 offset:1056
.LBB523_750:                            ;   in Loop: Header=BB523_690 Depth=2
	s_or_b32 exec_lo, exec_lo, s15
	v_xor_b32_e32 v183, 0x7fffffff, v66
	; wave barrier
	s_delay_alu instid0(VALU_DEP_1) | instskip(NEXT) | instid1(VALU_DEP_1)
	v_lshrrev_b32_e32 v62, s49, v183
	v_and_b32_e32 v66, s48, v62
	s_delay_alu instid0(VALU_DEP_1) | instskip(SKIP_1) | instid1(VALU_DEP_1)
	v_lshlrev_b32_e32 v67, 30, v66
	v_bitop3_b32 v63, v62, 1, s48 bitop3:0x80
	v_add_co_u32 v62, s15, v63, -1
	s_delay_alu instid0(VALU_DEP_1) | instskip(NEXT) | instid1(VALU_DEP_4)
	v_cndmask_b32_e64 v63, 0, 1, s15
	v_cmp_gt_i32_e64 s15, 0, v67
	s_delay_alu instid0(VALU_DEP_2) | instskip(SKIP_1) | instid1(VALU_DEP_1)
	v_cmp_ne_u32_e32 vcc_lo, 0, v63
	v_not_b32_e32 v63, v67
	v_dual_ashrrev_i32 v63, 31, v63 :: v_dual_lshlrev_b32 v68, 29, v66
	v_dual_lshlrev_b32 v69, 28, v66 :: v_dual_lshlrev_b32 v187, 27, v66
	v_dual_lshlrev_b32 v188, 26, v66 :: v_dual_lshlrev_b32 v189, 25, v66
	v_lshlrev_b32_e32 v190, 24, v66
	s_delay_alu instid0(VALU_DEP_4)
	v_cmp_gt_i32_e64 s16, 0, v68
	v_not_b32_e32 v67, v68
	v_not_b32_e32 v68, v69
	v_cmp_gt_i32_e64 s17, 0, v69
	v_cmp_gt_i32_e64 s18, 0, v187
	v_not_b32_e32 v69, v187
	v_not_b32_e32 v187, v188
	v_dual_ashrrev_i32 v67, 31, v67 :: v_dual_bitop2_b32 v62, vcc_lo, v62 bitop3:0x14
	v_dual_ashrrev_i32 v68, 31, v68 :: v_dual_bitop2_b32 v63, s15, v63 bitop3:0x14
	v_cmp_gt_i32_e64 s19, 0, v188
	s_delay_alu instid0(VALU_DEP_4) | instskip(NEXT) | instid1(VALU_DEP_4)
	v_dual_ashrrev_i32 v69, 31, v69 :: v_dual_ashrrev_i32 v187, 31, v187
	v_xor_b32_e32 v67, s16, v67
	s_delay_alu instid0(VALU_DEP_4)
	v_bitop3_b32 v62, v62, v63, exec_lo bitop3:0x80
	v_not_b32_e32 v63, v189
	v_xor_b32_e32 v68, s17, v68
	v_not_b32_e32 v188, v190
	v_cmp_gt_i32_e64 s20, 0, v189
	v_xor_b32_e32 v69, s18, v69
	v_xor_b32_e32 v187, s19, v187
	v_ashrrev_i32_e32 v63, 31, v63
	v_bitop3_b32 v62, v62, v68, v67 bitop3:0x80
	v_cmp_gt_i32_e32 vcc_lo, 0, v190
	v_ashrrev_i32_e32 v67, 31, v188
	v_mad_u32_u24 v68, v66, 36, v25
	v_xor_b32_e32 v63, s20, v63
	v_bitop3_b32 v62, v62, v187, v69 bitop3:0x80
	s_delay_alu instid0(VALU_DEP_4) | instskip(SKIP_3) | instid1(VALU_DEP_2)
	v_xor_b32_e32 v67, vcc_lo, v67
	ds_load_b32 v188, v68 offset:1056
	; wave barrier
	v_bitop3_b32 v62, v62, v67, v63 bitop3:0x80
	v_mul_u32_u24_e32 v63, 36, v66
	v_mbcnt_lo_u32_b32 v189, v62, 0
	v_cmp_ne_u32_e64 s15, 0, v62
	s_delay_alu instid0(VALU_DEP_3) | instskip(NEXT) | instid1(VALU_DEP_3)
	v_add_nc_u32_e32 v190, v25, v63
	v_cmp_eq_u32_e32 vcc_lo, 0, v189
	s_and_b32 s16, s15, vcc_lo
	s_delay_alu instid0(SALU_CYCLE_1)
	s_and_saveexec_b32 s15, s16
	s_cbranch_execz .LBB523_752
; %bb.751:                              ;   in Loop: Header=BB523_690 Depth=2
	s_wait_dscnt 0x0
	v_bcnt_u32_b32 v62, v62, v188
	ds_store_b32 v190, v62 offset:1056
.LBB523_752:                            ;   in Loop: Header=BB523_690 Depth=2
	s_or_b32 exec_lo, exec_lo, s15
	v_xor_b32_e32 v187, 0x7fffffff, v65
	; wave barrier
	s_delay_alu instid0(VALU_DEP_1) | instskip(NEXT) | instid1(VALU_DEP_1)
	v_lshrrev_b32_e32 v62, s49, v187
	v_and_b32_e32 v65, s48, v62
	s_delay_alu instid0(VALU_DEP_1) | instskip(SKIP_1) | instid1(VALU_DEP_1)
	v_lshlrev_b32_e32 v66, 30, v65
	v_bitop3_b32 v63, v62, 1, s48 bitop3:0x80
	v_add_co_u32 v62, s15, v63, -1
	s_delay_alu instid0(VALU_DEP_1) | instskip(NEXT) | instid1(VALU_DEP_4)
	v_cndmask_b32_e64 v63, 0, 1, s15
	v_cmp_gt_i32_e64 s15, 0, v66
	s_delay_alu instid0(VALU_DEP_2) | instskip(SKIP_1) | instid1(VALU_DEP_1)
	v_cmp_ne_u32_e32 vcc_lo, 0, v63
	v_not_b32_e32 v63, v66
	v_dual_ashrrev_i32 v63, 31, v63 :: v_dual_lshlrev_b32 v67, 29, v65
	v_dual_lshlrev_b32 v68, 28, v65 :: v_dual_lshlrev_b32 v69, 27, v65
	v_dual_lshlrev_b32 v191, 26, v65 :: v_dual_lshlrev_b32 v192, 25, v65
	v_lshlrev_b32_e32 v193, 24, v65
	s_delay_alu instid0(VALU_DEP_4)
	v_cmp_gt_i32_e64 s16, 0, v67
	v_not_b32_e32 v66, v67
	v_not_b32_e32 v67, v68
	v_cmp_gt_i32_e64 s17, 0, v68
	v_cmp_gt_i32_e64 s18, 0, v69
	v_not_b32_e32 v68, v69
	v_not_b32_e32 v69, v191
	v_dual_ashrrev_i32 v67, 31, v67 :: v_dual_bitop2_b32 v62, vcc_lo, v62 bitop3:0x14
	v_dual_ashrrev_i32 v66, 31, v66 :: v_dual_bitop2_b32 v63, s15, v63 bitop3:0x14
	v_cmp_gt_i32_e64 s19, 0, v191
	s_delay_alu instid0(VALU_DEP_4) | instskip(NEXT) | instid1(VALU_DEP_4)
	v_dual_ashrrev_i32 v68, 31, v68 :: v_dual_ashrrev_i32 v69, 31, v69
	v_xor_b32_e32 v67, s17, v67
	s_delay_alu instid0(VALU_DEP_4)
	v_bitop3_b32 v62, v62, v63, exec_lo bitop3:0x80
	v_not_b32_e32 v63, v192
	v_xor_b32_e32 v66, s16, v66
	v_not_b32_e32 v191, v193
	v_cmp_gt_i32_e64 s20, 0, v192
	v_xor_b32_e32 v68, s18, v68
	v_dual_ashrrev_i32 v63, 31, v63 :: v_dual_bitop2_b32 v69, s19, v69 bitop3:0x14
	v_bitop3_b32 v62, v62, v67, v66 bitop3:0x80
	v_cmp_gt_i32_e32 vcc_lo, 0, v193
	v_ashrrev_i32_e32 v66, 31, v191
	v_mad_u32_u24 v67, v65, 36, v25
	v_xor_b32_e32 v63, s20, v63
	v_bitop3_b32 v62, v62, v69, v68 bitop3:0x80
	s_delay_alu instid0(VALU_DEP_4) | instskip(SKIP_3) | instid1(VALU_DEP_2)
	v_xor_b32_e32 v66, vcc_lo, v66
	ds_load_b32 v192, v67 offset:1056
	; wave barrier
	v_bitop3_b32 v62, v62, v66, v63 bitop3:0x80
	v_mul_u32_u24_e32 v63, 36, v65
	v_mbcnt_lo_u32_b32 v193, v62, 0
	v_cmp_ne_u32_e64 s15, 0, v62
	s_delay_alu instid0(VALU_DEP_3) | instskip(NEXT) | instid1(VALU_DEP_3)
	v_add_nc_u32_e32 v194, v25, v63
	v_cmp_eq_u32_e32 vcc_lo, 0, v193
	s_and_b32 s16, s15, vcc_lo
	s_delay_alu instid0(SALU_CYCLE_1)
	s_and_saveexec_b32 s15, s16
	s_cbranch_execz .LBB523_754
; %bb.753:                              ;   in Loop: Header=BB523_690 Depth=2
	s_wait_dscnt 0x0
	v_bcnt_u32_b32 v62, v62, v192
	ds_store_b32 v194, v62 offset:1056
.LBB523_754:                            ;   in Loop: Header=BB523_690 Depth=2
	s_or_b32 exec_lo, exec_lo, s15
	v_xor_b32_e32 v191, 0x7fffffff, v64
	; wave barrier
	s_delay_alu instid0(VALU_DEP_1) | instskip(NEXT) | instid1(VALU_DEP_1)
	v_lshrrev_b32_e32 v62, s49, v191
	v_and_b32_e32 v64, s48, v62
	s_delay_alu instid0(VALU_DEP_1) | instskip(SKIP_1) | instid1(VALU_DEP_1)
	v_lshlrev_b32_e32 v65, 30, v64
	v_bitop3_b32 v63, v62, 1, s48 bitop3:0x80
	v_add_co_u32 v62, s15, v63, -1
	s_delay_alu instid0(VALU_DEP_1) | instskip(NEXT) | instid1(VALU_DEP_4)
	v_cndmask_b32_e64 v63, 0, 1, s15
	v_cmp_gt_i32_e64 s15, 0, v65
	s_delay_alu instid0(VALU_DEP_2) | instskip(SKIP_1) | instid1(VALU_DEP_1)
	v_cmp_ne_u32_e32 vcc_lo, 0, v63
	v_not_b32_e32 v63, v65
	v_dual_ashrrev_i32 v63, 31, v63 :: v_dual_lshlrev_b32 v66, 29, v64
	v_dual_lshlrev_b32 v67, 28, v64 :: v_dual_lshlrev_b32 v68, 27, v64
	v_dual_lshlrev_b32 v69, 26, v64 :: v_dual_lshlrev_b32 v195, 25, v64
	v_lshlrev_b32_e32 v196, 24, v64
	s_delay_alu instid0(VALU_DEP_4)
	v_cmp_gt_i32_e64 s16, 0, v66
	v_not_b32_e32 v65, v66
	v_not_b32_e32 v66, v67
	v_cmp_gt_i32_e64 s17, 0, v67
	v_cmp_gt_i32_e64 s18, 0, v68
	v_not_b32_e32 v67, v68
	v_not_b32_e32 v68, v69
	v_dual_ashrrev_i32 v65, 31, v65 :: v_dual_bitop2_b32 v62, vcc_lo, v62 bitop3:0x14
	v_dual_ashrrev_i32 v66, 31, v66 :: v_dual_bitop2_b32 v63, s15, v63 bitop3:0x14
	v_cmp_gt_i32_e64 s19, 0, v69
	s_delay_alu instid0(VALU_DEP_4) | instskip(SKIP_1) | instid1(VALU_DEP_4)
	v_dual_ashrrev_i32 v67, 31, v67 :: v_dual_ashrrev_i32 v68, 31, v68
	v_not_b32_e32 v69, v196
	v_xor_b32_e32 v66, s17, v66
	v_bitop3_b32 v62, v62, v63, exec_lo bitop3:0x80
	v_not_b32_e32 v63, v195
	v_xor_b32_e32 v65, s16, v65
	v_cmp_gt_i32_e64 s20, 0, v195
	v_xor_b32_e32 v67, s18, v67
	s_delay_alu instid0(VALU_DEP_4) | instskip(NEXT) | instid1(VALU_DEP_4)
	v_dual_ashrrev_i32 v63, 31, v63 :: v_dual_bitop2_b32 v68, s19, v68 bitop3:0x14
	v_bitop3_b32 v62, v62, v66, v65 bitop3:0x80
	v_cmp_gt_i32_e32 vcc_lo, 0, v196
	v_ashrrev_i32_e32 v65, 31, v69
	v_mad_u32_u24 v66, v64, 36, v25
	v_xor_b32_e32 v63, s20, v63
	v_bitop3_b32 v62, v62, v68, v67 bitop3:0x80
	s_delay_alu instid0(VALU_DEP_4) | instskip(SKIP_3) | instid1(VALU_DEP_2)
	v_xor_b32_e32 v65, vcc_lo, v65
	ds_load_b32 v195, v66 offset:1056
	; wave barrier
	v_bitop3_b32 v62, v62, v65, v63 bitop3:0x80
	v_mul_u32_u24_e32 v63, 36, v64
	v_mbcnt_lo_u32_b32 v196, v62, 0
	v_cmp_ne_u32_e64 s15, 0, v62
	s_delay_alu instid0(VALU_DEP_3) | instskip(NEXT) | instid1(VALU_DEP_3)
	v_add_nc_u32_e32 v197, v25, v63
	v_cmp_eq_u32_e32 vcc_lo, 0, v196
	s_and_b32 s16, s15, vcc_lo
	s_delay_alu instid0(SALU_CYCLE_1)
	s_and_saveexec_b32 s15, s16
	s_cbranch_execz .LBB523_756
; %bb.755:                              ;   in Loop: Header=BB523_690 Depth=2
	s_wait_dscnt 0x0
	v_bcnt_u32_b32 v62, v62, v195
	ds_store_b32 v197, v62 offset:1056
.LBB523_756:                            ;   in Loop: Header=BB523_690 Depth=2
	s_or_b32 exec_lo, exec_lo, s15
	v_lshrrev_b32_e32 v62, s49, v138
	; wave barrier
	s_delay_alu instid0(VALU_DEP_1) | instskip(NEXT) | instid1(VALU_DEP_1)
	v_and_b32_e32 v64, s48, v62
	v_lshlrev_b32_e32 v65, 30, v64
	v_bitop3_b32 v63, v62, 1, s48 bitop3:0x80
	s_delay_alu instid0(VALU_DEP_1) | instskip(NEXT) | instid1(VALU_DEP_1)
	v_add_co_u32 v62, s15, v63, -1
	v_cndmask_b32_e64 v63, 0, 1, s15
	s_delay_alu instid0(VALU_DEP_4) | instskip(NEXT) | instid1(VALU_DEP_2)
	v_cmp_gt_i32_e64 s15, 0, v65
	v_cmp_ne_u32_e32 vcc_lo, 0, v63
	v_not_b32_e32 v63, v65
	s_delay_alu instid0(VALU_DEP_1) | instskip(SKIP_3) | instid1(VALU_DEP_4)
	v_dual_ashrrev_i32 v63, 31, v63 :: v_dual_lshlrev_b32 v66, 29, v64
	v_dual_lshlrev_b32 v67, 28, v64 :: v_dual_lshlrev_b32 v68, 27, v64
	v_dual_lshlrev_b32 v69, 26, v64 :: v_dual_lshlrev_b32 v198, 25, v64
	v_lshlrev_b32_e32 v199, 24, v64
	v_cmp_gt_i32_e64 s16, 0, v66
	v_not_b32_e32 v65, v66
	v_not_b32_e32 v66, v67
	v_cmp_gt_i32_e64 s17, 0, v67
	v_xor_b32_e32 v62, vcc_lo, v62
	s_delay_alu instid0(VALU_DEP_4) | instskip(NEXT) | instid1(VALU_DEP_4)
	v_dual_ashrrev_i32 v65, 31, v65 :: v_dual_bitop2_b32 v63, s15, v63 bitop3:0x14
	v_ashrrev_i32_e32 v66, 31, v66
	v_cmp_gt_i32_e64 s18, 0, v68
	v_not_b32_e32 v67, v68
	v_not_b32_e32 v68, v69
	v_xor_b32_e32 v65, s16, v65
	v_xor_b32_e32 v66, s17, v66
	v_bitop3_b32 v62, v62, v63, exec_lo bitop3:0x80
	v_ashrrev_i32_e32 v63, 31, v67
	v_cmp_gt_i32_e32 vcc_lo, 0, v69
	v_ashrrev_i32_e32 v67, 31, v68
	v_not_b32_e32 v68, v198
	v_bitop3_b32 v62, v62, v66, v65 bitop3:0x80
	v_not_b32_e32 v65, v199
	v_xor_b32_e32 v63, s18, v63
	v_xor_b32_e32 v66, vcc_lo, v67
	v_cmp_gt_i32_e32 vcc_lo, 0, v198
	v_ashrrev_i32_e32 v67, 31, v68
	v_cmp_gt_i32_e64 s15, 0, v199
	v_ashrrev_i32_e32 v65, 31, v65
	v_mad_u32_u24 v68, v64, 36, v25
	v_bitop3_b32 v62, v62, v66, v63 bitop3:0x80
	v_xor_b32_e32 v63, vcc_lo, v67
	s_delay_alu instid0(VALU_DEP_4) | instskip(SKIP_3) | instid1(VALU_DEP_2)
	v_xor_b32_e32 v65, s15, v65
	ds_load_b32 v198, v68 offset:1056
	; wave barrier
	v_bitop3_b32 v62, v62, v65, v63 bitop3:0x80
	v_mul_u32_u24_e32 v63, 36, v64
	v_mbcnt_lo_u32_b32 v199, v62, 0
	v_cmp_ne_u32_e64 s15, 0, v62
	s_delay_alu instid0(VALU_DEP_3) | instskip(NEXT) | instid1(VALU_DEP_3)
	v_add_nc_u32_e32 v200, v25, v63
	v_cmp_eq_u32_e32 vcc_lo, 0, v199
	s_and_b32 s16, s15, vcc_lo
	s_delay_alu instid0(SALU_CYCLE_1)
	s_and_saveexec_b32 s15, s16
	s_cbranch_execz .LBB523_758
; %bb.757:                              ;   in Loop: Header=BB523_690 Depth=2
	s_wait_dscnt 0x0
	v_bcnt_u32_b32 v62, v62, v198
	ds_store_b32 v200, v62 offset:1056
.LBB523_758:                            ;   in Loop: Header=BB523_690 Depth=2
	s_or_b32 exec_lo, exec_lo, s15
	; wave barrier
	s_wait_dscnt 0x0
	s_barrier_signal -1
	s_barrier_wait -1
	ds_load_2addr_b32 v[68:69], v117 offset1:1
	ds_load_2addr_b32 v[66:67], v118 offset1:1
	;; [unrolled: 1-line block ×4, first 2 shown]
	ds_load_b32 v201, v91 offset:1088
	s_wait_dscnt 0x3
	v_add3_u32 v202, v69, v68, v66
	s_wait_dscnt 0x2
	s_delay_alu instid0(VALU_DEP_1) | instskip(SKIP_1) | instid1(VALU_DEP_1)
	v_add3_u32 v202, v202, v67, v64
	s_wait_dscnt 0x1
	v_add3_u32 v202, v202, v65, v62
	s_wait_dscnt 0x0
	s_delay_alu instid0(VALU_DEP_1) | instskip(NEXT) | instid1(VALU_DEP_1)
	v_add3_u32 v201, v202, v63, v201
	v_mov_b32_dpp v202, v201 row_shr:1 row_mask:0xf bank_mask:0xf
	s_delay_alu instid0(VALU_DEP_1) | instskip(NEXT) | instid1(VALU_DEP_1)
	v_cndmask_b32_e64 v202, v202, 0, s7
	v_add_nc_u32_e32 v201, v202, v201
	s_delay_alu instid0(VALU_DEP_1) | instskip(NEXT) | instid1(VALU_DEP_1)
	v_mov_b32_dpp v202, v201 row_shr:2 row_mask:0xf bank_mask:0xf
	v_cndmask_b32_e64 v202, 0, v202, s8
	s_delay_alu instid0(VALU_DEP_1) | instskip(NEXT) | instid1(VALU_DEP_1)
	v_add_nc_u32_e32 v201, v201, v202
	v_mov_b32_dpp v202, v201 row_shr:4 row_mask:0xf bank_mask:0xf
	s_delay_alu instid0(VALU_DEP_1) | instskip(NEXT) | instid1(VALU_DEP_1)
	v_cndmask_b32_e64 v202, 0, v202, s9
	v_add_nc_u32_e32 v201, v201, v202
	s_delay_alu instid0(VALU_DEP_1) | instskip(NEXT) | instid1(VALU_DEP_1)
	v_mov_b32_dpp v202, v201 row_shr:8 row_mask:0xf bank_mask:0xf
	v_cndmask_b32_e64 v202, 0, v202, s10
	s_delay_alu instid0(VALU_DEP_1) | instskip(SKIP_3) | instid1(VALU_DEP_1)
	v_add_nc_u32_e32 v201, v201, v202
	ds_swizzle_b32 v202, v201 offset:swizzle(BROADCAST,32,15)
	s_wait_dscnt 0x0
	v_cndmask_b32_e64 v202, v202, 0, s11
	v_add_nc_u32_e32 v201, v201, v202
	s_and_saveexec_b32 s15, s1
; %bb.759:                              ;   in Loop: Header=BB523_690 Depth=2
	ds_store_b32 v85, v201 offset:1024
; %bb.760:                              ;   in Loop: Header=BB523_690 Depth=2
	s_or_b32 exec_lo, exec_lo, s15
	s_wait_dscnt 0x0
	s_barrier_signal -1
	s_barrier_wait -1
	s_and_saveexec_b32 s15, s4
	s_cbranch_execz .LBB523_762
; %bb.761:                              ;   in Loop: Header=BB523_690 Depth=2
	ds_load_b32 v202, v93 offset:1024
	s_wait_dscnt 0x0
	v_mov_b32_dpp v203, v202 row_shr:1 row_mask:0xf bank_mask:0xf
	s_delay_alu instid0(VALU_DEP_1) | instskip(NEXT) | instid1(VALU_DEP_1)
	v_cndmask_b32_e64 v203, v203, 0, s12
	v_add_nc_u32_e32 v202, v203, v202
	s_delay_alu instid0(VALU_DEP_1) | instskip(NEXT) | instid1(VALU_DEP_1)
	v_mov_b32_dpp v203, v202 row_shr:2 row_mask:0xf bank_mask:0xf
	v_cndmask_b32_e64 v203, 0, v203, s13
	s_delay_alu instid0(VALU_DEP_1) | instskip(NEXT) | instid1(VALU_DEP_1)
	v_add_nc_u32_e32 v202, v202, v203
	v_mov_b32_dpp v203, v202 row_shr:4 row_mask:0xf bank_mask:0xf
	s_delay_alu instid0(VALU_DEP_1) | instskip(NEXT) | instid1(VALU_DEP_1)
	v_cndmask_b32_e64 v203, 0, v203, s14
	v_add_nc_u32_e32 v202, v202, v203
	ds_store_b32 v93, v202 offset:1024
.LBB523_762:                            ;   in Loop: Header=BB523_690 Depth=2
	s_or_b32 exec_lo, exec_lo, s15
	v_mov_b32_e32 v202, 0
	s_wait_dscnt 0x0
	s_barrier_signal -1
	s_barrier_wait -1
	s_and_saveexec_b32 s15, s5
; %bb.763:                              ;   in Loop: Header=BB523_690 Depth=2
	ds_load_b32 v202, v85 offset:1020
; %bb.764:                              ;   in Loop: Header=BB523_690 Depth=2
	s_or_b32 exec_lo, exec_lo, s15
	s_wait_dscnt 0x0
	v_add_nc_u32_e32 v201, v202, v201
	ds_bpermute_b32 v201, v120, v201
	s_wait_dscnt 0x0
	v_cndmask_b32_e64 v201, v201, v202, s6
	s_delay_alu instid0(VALU_DEP_1) | instskip(NEXT) | instid1(VALU_DEP_1)
	v_cndmask_b32_e64 v201, v201, 0, s2
	v_add_nc_u32_e32 v68, v201, v68
	s_delay_alu instid0(VALU_DEP_1) | instskip(NEXT) | instid1(VALU_DEP_1)
	v_add_nc_u32_e32 v69, v68, v69
	v_add_nc_u32_e32 v66, v69, v66
	s_delay_alu instid0(VALU_DEP_1) | instskip(NEXT) | instid1(VALU_DEP_1)
	v_add_nc_u32_e32 v67, v66, v67
	;; [unrolled: 3-line block ×3, first 2 shown]
	v_add_nc_u32_e32 v62, v65, v62
	s_delay_alu instid0(VALU_DEP_1)
	v_add_nc_u32_e32 v63, v62, v63
	ds_store_2addr_b32 v5, v65, v62 offset1:1
	ds_store_2addr_b32 v117, v201, v68 offset1:1
	;; [unrolled: 1-line block ×4, first 2 shown]
	ds_store_b32 v91, v63 offset:1088
	s_wait_dscnt 0x0
	s_barrier_signal -1
	s_barrier_wait -1
	ds_load_b32 v65, v142 offset:1056
	ds_load_b32 v67, v146 offset:1056
	;; [unrolled: 1-line block ×17, first 2 shown]
	v_mov_b32_e32 v64, 0x1000
	s_and_saveexec_b32 s15, s3
; %bb.765:                              ;   in Loop: Header=BB523_690 Depth=2
	ds_load_b32 v64, v91 offset:1092
; %bb.766:                              ;   in Loop: Header=BB523_690 Depth=2
	s_or_b32 exec_lo, exec_lo, s15
	s_wait_dscnt 0x0
	s_barrier_signal -1
	s_barrier_wait -1
	s_and_saveexec_b32 s15, s0
	s_cbranch_execz .LBB523_768
; %bb.767:                              ;   in Loop: Header=BB523_690 Depth=2
	ds_load_b32 v154, v4
	s_wait_dscnt 0x0
	v_sub_nc_u32_e32 v150, v154, v150
	ds_store_b32 v4, v150
.LBB523_768:                            ;   in Loop: Header=BB523_690 Depth=2
	s_or_b32 exec_lo, exec_lo, s15
	v_add3_u32 v158, v145, v144, v67
	v_add_nc_u32_e32 v162, v65, v141
	v_add3_u32 v154, v149, v148, v68
	v_add3_u32 v150, v153, v152, v69
	;; [unrolled: 1-line block ×4, first 2 shown]
	v_lshlrev_b32_e32 v62, 2, v158
	v_lshlrev_b32_e32 v152, 2, v162
	v_add3_u32 v149, v157, v156, v142
	v_add3_u32 v146, v165, v164, v201
	;; [unrolled: 1-line block ×4, first 2 shown]
	v_lshlrev_b32_e32 v63, 2, v154
	v_add3_u32 v144, v173, v172, v174
	v_lshlrev_b32_e32 v153, 2, v148
	ds_store_b32 v152, v139 offset:1024
	v_lshlrev_b32_e32 v139, 2, v150
	v_add3_u32 v142, v177, v176, v178
	v_lshlrev_b32_e32 v152, 2, v149
	v_add3_u32 v141, v181, v180, v182
	v_add3_u32 v65, v185, v184, v186
	ds_store_b32 v62, v140 offset:1024
	ds_store_b32 v63, v143 offset:1024
	;; [unrolled: 1-line block ×5, first 2 shown]
	v_dual_lshlrev_b32 v62, 2, v146 :: v_dual_lshlrev_b32 v139, 2, v144
	v_lshlrev_b32_e32 v63, 2, v145
	v_add3_u32 v67, v196, v195, v66
	v_dual_lshlrev_b32 v140, 2, v142 :: v_dual_lshlrev_b32 v143, 2, v141
	v_add3_u32 v66, v199, v198, v167
	ds_store_b32 v62, v159 offset:1024
	ds_store_b32 v63, v163 offset:1024
	;; [unrolled: 1-line block ×5, first 2 shown]
	v_dual_lshlrev_b32 v62, 2, v65 :: v_dual_lshlrev_b32 v139, 2, v68
	v_cmp_lt_u32_e32 vcc_lo, v2, v137
	v_dual_lshlrev_b32 v63, 2, v69 :: v_dual_lshlrev_b32 v140, 2, v67
	v_lshlrev_b32_e32 v143, 2, v66
	ds_store_b32 v62, v179 offset:1024
	ds_store_b32 v63, v183 offset:1024
	ds_store_b32 v139, v187 offset:1024
	ds_store_b32 v140, v191 offset:1024
	ds_store_b32 v143, v138 offset:1024
	s_wait_dscnt 0x0
	s_barrier_signal -1
	s_barrier_wait -1
	s_and_saveexec_b32 s15, vcc_lo
	s_cbranch_execnz .LBB523_837
; %bb.769:                              ;   in Loop: Header=BB523_690 Depth=2
	s_or_b32 exec_lo, exec_lo, s15
	v_cmp_lt_u32_e64 s15, v3, v137
	s_and_saveexec_b32 s16, s15
	s_cbranch_execnz .LBB523_838
.LBB523_770:                            ;   in Loop: Header=BB523_690 Depth=2
	s_or_b32 exec_lo, exec_lo, s16
	v_cmp_lt_u32_e64 s16, v70, v137
	s_and_saveexec_b32 s17, s16
	s_cbranch_execnz .LBB523_839
.LBB523_771:                            ;   in Loop: Header=BB523_690 Depth=2
	s_or_b32 exec_lo, exec_lo, s17
	v_cmp_lt_u32_e64 s17, v71, v137
	s_and_saveexec_b32 s18, s17
	s_cbranch_execnz .LBB523_840
.LBB523_772:                            ;   in Loop: Header=BB523_690 Depth=2
	s_or_b32 exec_lo, exec_lo, s18
	v_cmp_lt_u32_e64 s18, v72, v137
	s_and_saveexec_b32 s19, s18
	s_cbranch_execnz .LBB523_841
.LBB523_773:                            ;   in Loop: Header=BB523_690 Depth=2
	s_or_b32 exec_lo, exec_lo, s19
	v_cmp_lt_u32_e64 s19, v73, v137
	s_and_saveexec_b32 s20, s19
	s_cbranch_execnz .LBB523_842
.LBB523_774:                            ;   in Loop: Header=BB523_690 Depth=2
	s_or_b32 exec_lo, exec_lo, s20
	v_cmp_lt_u32_e64 s20, v74, v137
	s_and_saveexec_b32 s21, s20
	s_cbranch_execnz .LBB523_843
.LBB523_775:                            ;   in Loop: Header=BB523_690 Depth=2
	s_or_b32 exec_lo, exec_lo, s21
	v_cmp_lt_u32_e64 s21, v75, v137
	s_and_saveexec_b32 s22, s21
	s_cbranch_execnz .LBB523_844
.LBB523_776:                            ;   in Loop: Header=BB523_690 Depth=2
	s_or_b32 exec_lo, exec_lo, s22
	v_cmp_lt_u32_e64 s22, v76, v137
	s_and_saveexec_b32 s23, s22
	s_cbranch_execnz .LBB523_845
.LBB523_777:                            ;   in Loop: Header=BB523_690 Depth=2
	s_or_b32 exec_lo, exec_lo, s23
	v_cmp_lt_u32_e64 s23, v77, v137
	s_and_saveexec_b32 s24, s23
	s_cbranch_execnz .LBB523_846
.LBB523_778:                            ;   in Loop: Header=BB523_690 Depth=2
	s_or_b32 exec_lo, exec_lo, s24
	v_cmp_lt_u32_e64 s24, v78, v137
	s_and_saveexec_b32 s25, s24
	s_cbranch_execnz .LBB523_847
.LBB523_779:                            ;   in Loop: Header=BB523_690 Depth=2
	s_or_b32 exec_lo, exec_lo, s25
	v_cmp_lt_u32_e64 s25, v79, v137
	s_and_saveexec_b32 s26, s25
	s_cbranch_execnz .LBB523_848
.LBB523_780:                            ;   in Loop: Header=BB523_690 Depth=2
	s_or_b32 exec_lo, exec_lo, s26
	v_cmp_lt_u32_e64 s26, v80, v137
	s_and_saveexec_b32 s27, s26
	s_cbranch_execnz .LBB523_849
.LBB523_781:                            ;   in Loop: Header=BB523_690 Depth=2
	s_or_b32 exec_lo, exec_lo, s27
	v_cmp_lt_u32_e64 s27, v81, v137
	s_and_saveexec_b32 s28, s27
	s_cbranch_execnz .LBB523_850
.LBB523_782:                            ;   in Loop: Header=BB523_690 Depth=2
	s_or_b32 exec_lo, exec_lo, s28
	v_cmp_lt_u32_e64 s28, v82, v137
	s_and_saveexec_b32 s29, s28
	s_cbranch_execnz .LBB523_851
.LBB523_783:                            ;   in Loop: Header=BB523_690 Depth=2
	s_or_b32 exec_lo, exec_lo, s29
	v_cmp_lt_u32_e64 s29, v83, v137
	s_and_saveexec_b32 s57, s29
	s_cbranch_execz .LBB523_785
.LBB523_784:                            ;   in Loop: Header=BB523_690 Depth=2
	ds_load_b32 v62, v93 offset:16384
	s_wait_dscnt 0x0
	v_lshrrev_b32_e32 v63, s49, v62
	v_xor_b32_e32 v62, 0x7fffffff, v62
	s_delay_alu instid0(VALU_DEP_2) | instskip(NEXT) | instid1(VALU_DEP_1)
	v_and_b32_e32 v63, s48, v63
	v_lshlrev_b32_e32 v63, 2, v63
	ds_load_b32 v63, v63
	s_wait_dscnt 0x0
	v_add_nc_u32_e32 v63, v63, v83
	global_store_b32 v63, v62, s[38:39] scale_offset
.LBB523_785:                            ;   in Loop: Header=BB523_690 Depth=2
	s_wait_xcnt 0x0
	s_or_b32 exec_lo, exec_lo, s57
	v_lshl_add_u64 v[62:63], s[30:31], 3, v[26:27]
	v_cmp_lt_u32_e64 s30, v99, v137
	s_and_saveexec_b32 s57, s30
	s_delay_alu instid0(SALU_CYCLE_1)
	s_xor_b32 s30, exec_lo, s57
	s_cbranch_execnz .LBB523_852
; %bb.786:                              ;   in Loop: Header=BB523_690 Depth=2
	s_or_b32 exec_lo, exec_lo, s30
	s_delay_alu instid0(SALU_CYCLE_1)
	s_mov_b32 s57, exec_lo
	v_cmpx_lt_u32_e64 v102, v137
	s_cbranch_execnz .LBB523_853
.LBB523_787:                            ;   in Loop: Header=BB523_690 Depth=2
	s_or_b32 exec_lo, exec_lo, s57
	s_delay_alu instid0(SALU_CYCLE_1)
	s_mov_b32 s57, exec_lo
	v_cmpx_lt_u32_e64 v103, v137
	s_cbranch_execnz .LBB523_854
.LBB523_788:                            ;   in Loop: Header=BB523_690 Depth=2
	s_or_b32 exec_lo, exec_lo, s57
	s_delay_alu instid0(SALU_CYCLE_1)
	s_mov_b32 s57, exec_lo
	v_cmpx_lt_u32_e64 v104, v137
	s_cbranch_execnz .LBB523_855
.LBB523_789:                            ;   in Loop: Header=BB523_690 Depth=2
	s_or_b32 exec_lo, exec_lo, s57
	s_delay_alu instid0(SALU_CYCLE_1)
	s_mov_b32 s57, exec_lo
	v_cmpx_lt_u32_e64 v105, v137
	s_cbranch_execnz .LBB523_856
.LBB523_790:                            ;   in Loop: Header=BB523_690 Depth=2
	s_or_b32 exec_lo, exec_lo, s57
	s_delay_alu instid0(SALU_CYCLE_1)
	s_mov_b32 s57, exec_lo
	v_cmpx_lt_u32_e64 v106, v137
	s_cbranch_execnz .LBB523_857
.LBB523_791:                            ;   in Loop: Header=BB523_690 Depth=2
	s_or_b32 exec_lo, exec_lo, s57
	s_delay_alu instid0(SALU_CYCLE_1)
	s_mov_b32 s57, exec_lo
	v_cmpx_lt_u32_e64 v107, v137
	s_cbranch_execnz .LBB523_858
.LBB523_792:                            ;   in Loop: Header=BB523_690 Depth=2
	s_or_b32 exec_lo, exec_lo, s57
	s_delay_alu instid0(SALU_CYCLE_1)
	s_mov_b32 s57, exec_lo
	v_cmpx_lt_u32_e64 v108, v137
	s_cbranch_execnz .LBB523_859
.LBB523_793:                            ;   in Loop: Header=BB523_690 Depth=2
	s_or_b32 exec_lo, exec_lo, s57
	s_delay_alu instid0(SALU_CYCLE_1)
	s_mov_b32 s57, exec_lo
	v_cmpx_lt_u32_e64 v109, v137
	s_cbranch_execnz .LBB523_860
.LBB523_794:                            ;   in Loop: Header=BB523_690 Depth=2
	s_or_b32 exec_lo, exec_lo, s57
	s_delay_alu instid0(SALU_CYCLE_1)
	s_mov_b32 s57, exec_lo
	v_cmpx_lt_u32_e64 v110, v137
	s_cbranch_execnz .LBB523_861
.LBB523_795:                            ;   in Loop: Header=BB523_690 Depth=2
	s_or_b32 exec_lo, exec_lo, s57
	s_delay_alu instid0(SALU_CYCLE_1)
	s_mov_b32 s57, exec_lo
	v_cmpx_lt_u32_e64 v111, v137
	s_cbranch_execnz .LBB523_862
.LBB523_796:                            ;   in Loop: Header=BB523_690 Depth=2
	s_or_b32 exec_lo, exec_lo, s57
	s_delay_alu instid0(SALU_CYCLE_1)
	s_mov_b32 s57, exec_lo
	v_cmpx_lt_u32_e64 v112, v137
	s_cbranch_execnz .LBB523_863
.LBB523_797:                            ;   in Loop: Header=BB523_690 Depth=2
	s_or_b32 exec_lo, exec_lo, s57
	s_delay_alu instid0(SALU_CYCLE_1)
	s_mov_b32 s57, exec_lo
	v_cmpx_lt_u32_e64 v113, v137
	s_cbranch_execnz .LBB523_864
.LBB523_798:                            ;   in Loop: Header=BB523_690 Depth=2
	s_or_b32 exec_lo, exec_lo, s57
	s_delay_alu instid0(SALU_CYCLE_1)
	s_mov_b32 s57, exec_lo
	v_cmpx_lt_u32_e64 v114, v137
	s_cbranch_execnz .LBB523_865
.LBB523_799:                            ;   in Loop: Header=BB523_690 Depth=2
	s_or_b32 exec_lo, exec_lo, s57
	s_delay_alu instid0(SALU_CYCLE_1)
	s_mov_b32 s57, exec_lo
	v_cmpx_lt_u32_e64 v115, v137
	s_cbranch_execnz .LBB523_866
.LBB523_800:                            ;   in Loop: Header=BB523_690 Depth=2
	s_or_b32 exec_lo, exec_lo, s57
	s_delay_alu instid0(SALU_CYCLE_1)
	s_mov_b32 s57, exec_lo
	v_cmpx_lt_u32_e64 v116, v137
	s_cbranch_execnz .LBB523_867
.LBB523_801:                            ;   in Loop: Header=BB523_690 Depth=2
	s_or_b32 exec_lo, exec_lo, s57
	s_and_saveexec_b32 s30, vcc_lo
	s_cbranch_execnz .LBB523_868
.LBB523_802:                            ;   in Loop: Header=BB523_690 Depth=2
	s_or_b32 exec_lo, exec_lo, s30
	s_and_saveexec_b32 s30, s15
	s_cbranch_execnz .LBB523_869
.LBB523_803:                            ;   in Loop: Header=BB523_690 Depth=2
	s_or_b32 exec_lo, exec_lo, s30
	s_and_saveexec_b32 s30, s16
	s_cbranch_execnz .LBB523_870
.LBB523_804:                            ;   in Loop: Header=BB523_690 Depth=2
	s_or_b32 exec_lo, exec_lo, s30
	s_and_saveexec_b32 s30, s17
	s_cbranch_execnz .LBB523_871
.LBB523_805:                            ;   in Loop: Header=BB523_690 Depth=2
	s_or_b32 exec_lo, exec_lo, s30
	s_and_saveexec_b32 s30, s18
	s_cbranch_execnz .LBB523_872
.LBB523_806:                            ;   in Loop: Header=BB523_690 Depth=2
	s_or_b32 exec_lo, exec_lo, s30
	s_and_saveexec_b32 s30, s19
	s_cbranch_execnz .LBB523_873
.LBB523_807:                            ;   in Loop: Header=BB523_690 Depth=2
	s_or_b32 exec_lo, exec_lo, s30
	s_and_saveexec_b32 s30, s20
	s_cbranch_execnz .LBB523_874
.LBB523_808:                            ;   in Loop: Header=BB523_690 Depth=2
	s_or_b32 exec_lo, exec_lo, s30
	s_and_saveexec_b32 s30, s21
	s_cbranch_execnz .LBB523_875
.LBB523_809:                            ;   in Loop: Header=BB523_690 Depth=2
	s_or_b32 exec_lo, exec_lo, s30
	s_and_saveexec_b32 s30, s22
	s_cbranch_execnz .LBB523_876
.LBB523_810:                            ;   in Loop: Header=BB523_690 Depth=2
	s_or_b32 exec_lo, exec_lo, s30
	s_and_saveexec_b32 s30, s23
	s_cbranch_execnz .LBB523_877
.LBB523_811:                            ;   in Loop: Header=BB523_690 Depth=2
	s_or_b32 exec_lo, exec_lo, s30
	s_and_saveexec_b32 s30, s24
	s_cbranch_execnz .LBB523_878
.LBB523_812:                            ;   in Loop: Header=BB523_690 Depth=2
	s_or_b32 exec_lo, exec_lo, s30
	s_and_saveexec_b32 s30, s25
	s_cbranch_execnz .LBB523_879
.LBB523_813:                            ;   in Loop: Header=BB523_690 Depth=2
	s_or_b32 exec_lo, exec_lo, s30
	s_and_saveexec_b32 s30, s26
	s_cbranch_execnz .LBB523_880
.LBB523_814:                            ;   in Loop: Header=BB523_690 Depth=2
	s_or_b32 exec_lo, exec_lo, s30
	s_and_saveexec_b32 s30, s27
	s_cbranch_execnz .LBB523_881
.LBB523_815:                            ;   in Loop: Header=BB523_690 Depth=2
	s_or_b32 exec_lo, exec_lo, s30
	s_and_saveexec_b32 s30, s28
	s_cbranch_execnz .LBB523_882
.LBB523_816:                            ;   in Loop: Header=BB523_690 Depth=2
	s_or_b32 exec_lo, exec_lo, s30
	s_and_saveexec_b32 s30, s29
	s_cbranch_execz .LBB523_818
.LBB523_817:                            ;   in Loop: Header=BB523_690 Depth=2
	ds_load_b32 v62, v93 offset:16384
	s_wait_dscnt 0x0
	v_lshrrev_b32_e32 v62, s49, v62
	s_delay_alu instid0(VALU_DEP_1)
	v_and_b32_e32 v121, s48, v62
.LBB523_818:                            ;   in Loop: Header=BB523_690 Depth=2
	s_or_b32 exec_lo, exec_lo, s30
	v_dual_lshlrev_b32 v62, 3, v162 :: v_dual_lshlrev_b32 v138, 3, v149
	s_wait_loadcnt 0x0
	s_wait_storecnt 0x0
	s_barrier_signal -1
	s_barrier_wait -1
	ds_store_b64 v62, v[60:61] offset:1024
	v_dual_lshlrev_b32 v62, 3, v158 :: v_dual_lshlrev_b32 v139, 3, v148
	v_lshlrev_b32_e32 v63, 3, v154
	v_lshlrev_b32_e32 v137, 3, v150
	ds_store_b64 v62, v[58:59] offset:1024
	ds_store_b64 v63, v[56:57] offset:1024
	;; [unrolled: 1-line block ×5, first 2 shown]
	v_dual_lshlrev_b32 v62, 3, v146 :: v_dual_lshlrev_b32 v139, 3, v141
	v_dual_lshlrev_b32 v63, 3, v145 :: v_dual_lshlrev_b32 v137, 3, v144
	v_lshlrev_b32_e32 v138, 3, v142
	ds_store_b64 v62, v[48:49] offset:1024
	ds_store_b64 v63, v[46:47] offset:1024
	;; [unrolled: 1-line block ×5, first 2 shown]
	v_lshlrev_b32_e32 v62, 3, v65
	v_dual_lshlrev_b32 v63, 3, v69 :: v_dual_lshlrev_b32 v65, 3, v68
	v_dual_lshlrev_b32 v67, 3, v67 :: v_dual_lshlrev_b32 v66, 3, v66
	ds_store_b64 v62, v[38:39] offset:1024
	ds_store_b64 v63, v[36:37] offset:1024
	;; [unrolled: 1-line block ×5, first 2 shown]
	s_wait_dscnt 0x0
	s_barrier_signal -1
	s_barrier_wait -1
	s_and_saveexec_b32 s30, vcc_lo
	s_cbranch_execnz .LBB523_883
; %bb.819:                              ;   in Loop: Header=BB523_690 Depth=2
	s_or_b32 exec_lo, exec_lo, s30
	s_and_saveexec_b32 s30, s15
	s_cbranch_execnz .LBB523_884
.LBB523_820:                            ;   in Loop: Header=BB523_690 Depth=2
	s_or_b32 exec_lo, exec_lo, s30
	s_and_saveexec_b32 s15, s16
	s_cbranch_execnz .LBB523_885
.LBB523_821:                            ;   in Loop: Header=BB523_690 Depth=2
	s_or_b32 exec_lo, exec_lo, s15
	s_and_saveexec_b32 s15, s17
	s_cbranch_execnz .LBB523_886
.LBB523_822:                            ;   in Loop: Header=BB523_690 Depth=2
	s_or_b32 exec_lo, exec_lo, s15
	s_and_saveexec_b32 s15, s18
	s_cbranch_execnz .LBB523_887
.LBB523_823:                            ;   in Loop: Header=BB523_690 Depth=2
	s_or_b32 exec_lo, exec_lo, s15
	s_and_saveexec_b32 s15, s19
	s_cbranch_execnz .LBB523_888
.LBB523_824:                            ;   in Loop: Header=BB523_690 Depth=2
	s_or_b32 exec_lo, exec_lo, s15
	s_and_saveexec_b32 s15, s20
	s_cbranch_execnz .LBB523_889
.LBB523_825:                            ;   in Loop: Header=BB523_690 Depth=2
	s_or_b32 exec_lo, exec_lo, s15
	s_and_saveexec_b32 s15, s21
	s_cbranch_execnz .LBB523_890
.LBB523_826:                            ;   in Loop: Header=BB523_690 Depth=2
	s_or_b32 exec_lo, exec_lo, s15
	s_and_saveexec_b32 s15, s22
	s_cbranch_execnz .LBB523_891
.LBB523_827:                            ;   in Loop: Header=BB523_690 Depth=2
	s_or_b32 exec_lo, exec_lo, s15
	s_and_saveexec_b32 s15, s23
	s_cbranch_execnz .LBB523_892
.LBB523_828:                            ;   in Loop: Header=BB523_690 Depth=2
	s_or_b32 exec_lo, exec_lo, s15
	s_and_saveexec_b32 s15, s24
	s_cbranch_execnz .LBB523_893
.LBB523_829:                            ;   in Loop: Header=BB523_690 Depth=2
	s_or_b32 exec_lo, exec_lo, s15
	s_and_saveexec_b32 s15, s25
	s_cbranch_execnz .LBB523_894
.LBB523_830:                            ;   in Loop: Header=BB523_690 Depth=2
	s_or_b32 exec_lo, exec_lo, s15
	s_and_saveexec_b32 s15, s26
	s_cbranch_execnz .LBB523_895
.LBB523_831:                            ;   in Loop: Header=BB523_690 Depth=2
	s_or_b32 exec_lo, exec_lo, s15
	s_and_saveexec_b32 s15, s27
	s_cbranch_execnz .LBB523_896
.LBB523_832:                            ;   in Loop: Header=BB523_690 Depth=2
	s_or_b32 exec_lo, exec_lo, s15
	s_and_saveexec_b32 s15, s28
	s_cbranch_execnz .LBB523_897
.LBB523_833:                            ;   in Loop: Header=BB523_690 Depth=2
	s_or_b32 exec_lo, exec_lo, s15
	s_and_saveexec_b32 s15, s29
	s_cbranch_execz .LBB523_835
.LBB523_834:                            ;   in Loop: Header=BB523_690 Depth=2
	v_dual_lshlrev_b32 v62, 2, v121 :: v_dual_add_nc_u32 v63, v93, v4
	ds_load_b32 v65, v62
	ds_load_b64 v[62:63], v63 offset:31744
	s_wait_dscnt 0x1
	v_add_nc_u32_e32 v65, v65, v83
	s_wait_dscnt 0x0
	global_store_b64 v65, v[62:63], s[44:45] scale_offset
.LBB523_835:                            ;   in Loop: Header=BB523_690 Depth=2
	s_wait_xcnt 0x0
	s_or_b32 exec_lo, exec_lo, s15
	s_wait_storecnt 0x0
	s_barrier_signal -1
	s_barrier_wait -1
	s_and_saveexec_b32 s15, s0
	s_cbranch_execz .LBB523_689
; %bb.836:                              ;   in Loop: Header=BB523_690 Depth=2
	ds_load_b32 v62, v4
	s_wait_dscnt 0x0
	v_add_nc_u32_e32 v62, v62, v64
	ds_store_b32 v4, v62
	s_branch .LBB523_689
.LBB523_837:                            ;   in Loop: Header=BB523_690 Depth=2
	ds_load_b32 v62, v93 offset:1024
	s_wait_dscnt 0x0
	v_lshrrev_b32_e32 v63, s49, v62
	v_xor_b32_e32 v62, 0x7fffffff, v62
	s_delay_alu instid0(VALU_DEP_2) | instskip(NEXT) | instid1(VALU_DEP_1)
	v_and_b32_e32 v63, s48, v63
	v_lshlrev_b32_e32 v63, 2, v63
	ds_load_b32 v63, v63
	s_wait_dscnt 0x0
	v_add_nc_u32_e32 v63, v63, v2
	global_store_b32 v63, v62, s[38:39] scale_offset
	s_wait_xcnt 0x0
	s_or_b32 exec_lo, exec_lo, s15
	v_cmp_lt_u32_e64 s15, v3, v137
	s_and_saveexec_b32 s16, s15
	s_cbranch_execz .LBB523_770
.LBB523_838:                            ;   in Loop: Header=BB523_690 Depth=2
	ds_load_b32 v62, v93 offset:2048
	s_wait_dscnt 0x0
	v_lshrrev_b32_e32 v63, s49, v62
	v_xor_b32_e32 v62, 0x7fffffff, v62
	s_delay_alu instid0(VALU_DEP_2) | instskip(NEXT) | instid1(VALU_DEP_1)
	v_and_b32_e32 v63, s48, v63
	v_lshlrev_b32_e32 v63, 2, v63
	ds_load_b32 v63, v63
	s_wait_dscnt 0x0
	v_add_nc_u32_e32 v63, v63, v3
	global_store_b32 v63, v62, s[38:39] scale_offset
	s_wait_xcnt 0x0
	s_or_b32 exec_lo, exec_lo, s16
	v_cmp_lt_u32_e64 s16, v70, v137
	s_and_saveexec_b32 s17, s16
	s_cbranch_execz .LBB523_771
.LBB523_839:                            ;   in Loop: Header=BB523_690 Depth=2
	ds_load_b32 v62, v93 offset:3072
	s_wait_dscnt 0x0
	v_lshrrev_b32_e32 v63, s49, v62
	v_xor_b32_e32 v62, 0x7fffffff, v62
	s_delay_alu instid0(VALU_DEP_2) | instskip(NEXT) | instid1(VALU_DEP_1)
	v_and_b32_e32 v63, s48, v63
	v_lshlrev_b32_e32 v63, 2, v63
	ds_load_b32 v63, v63
	s_wait_dscnt 0x0
	v_add_nc_u32_e32 v63, v63, v70
	global_store_b32 v63, v62, s[38:39] scale_offset
	s_wait_xcnt 0x0
	s_or_b32 exec_lo, exec_lo, s17
	v_cmp_lt_u32_e64 s17, v71, v137
	s_and_saveexec_b32 s18, s17
	s_cbranch_execz .LBB523_772
.LBB523_840:                            ;   in Loop: Header=BB523_690 Depth=2
	ds_load_b32 v62, v93 offset:4096
	s_wait_dscnt 0x0
	v_lshrrev_b32_e32 v63, s49, v62
	v_xor_b32_e32 v62, 0x7fffffff, v62
	s_delay_alu instid0(VALU_DEP_2) | instskip(NEXT) | instid1(VALU_DEP_1)
	v_and_b32_e32 v63, s48, v63
	v_lshlrev_b32_e32 v63, 2, v63
	ds_load_b32 v63, v63
	s_wait_dscnt 0x0
	v_add_nc_u32_e32 v63, v63, v71
	global_store_b32 v63, v62, s[38:39] scale_offset
	s_wait_xcnt 0x0
	s_or_b32 exec_lo, exec_lo, s18
	v_cmp_lt_u32_e64 s18, v72, v137
	s_and_saveexec_b32 s19, s18
	s_cbranch_execz .LBB523_773
.LBB523_841:                            ;   in Loop: Header=BB523_690 Depth=2
	ds_load_b32 v62, v93 offset:5120
	s_wait_dscnt 0x0
	v_lshrrev_b32_e32 v63, s49, v62
	v_xor_b32_e32 v62, 0x7fffffff, v62
	s_delay_alu instid0(VALU_DEP_2) | instskip(NEXT) | instid1(VALU_DEP_1)
	v_and_b32_e32 v63, s48, v63
	v_lshlrev_b32_e32 v63, 2, v63
	ds_load_b32 v63, v63
	s_wait_dscnt 0x0
	v_add_nc_u32_e32 v63, v63, v72
	global_store_b32 v63, v62, s[38:39] scale_offset
	s_wait_xcnt 0x0
	s_or_b32 exec_lo, exec_lo, s19
	v_cmp_lt_u32_e64 s19, v73, v137
	s_and_saveexec_b32 s20, s19
	s_cbranch_execz .LBB523_774
.LBB523_842:                            ;   in Loop: Header=BB523_690 Depth=2
	ds_load_b32 v62, v93 offset:6144
	s_wait_dscnt 0x0
	v_lshrrev_b32_e32 v63, s49, v62
	v_xor_b32_e32 v62, 0x7fffffff, v62
	s_delay_alu instid0(VALU_DEP_2) | instskip(NEXT) | instid1(VALU_DEP_1)
	v_and_b32_e32 v63, s48, v63
	v_lshlrev_b32_e32 v63, 2, v63
	ds_load_b32 v63, v63
	s_wait_dscnt 0x0
	v_add_nc_u32_e32 v63, v63, v73
	global_store_b32 v63, v62, s[38:39] scale_offset
	s_wait_xcnt 0x0
	s_or_b32 exec_lo, exec_lo, s20
	v_cmp_lt_u32_e64 s20, v74, v137
	s_and_saveexec_b32 s21, s20
	s_cbranch_execz .LBB523_775
.LBB523_843:                            ;   in Loop: Header=BB523_690 Depth=2
	ds_load_b32 v62, v93 offset:7168
	s_wait_dscnt 0x0
	v_lshrrev_b32_e32 v63, s49, v62
	v_xor_b32_e32 v62, 0x7fffffff, v62
	s_delay_alu instid0(VALU_DEP_2) | instskip(NEXT) | instid1(VALU_DEP_1)
	v_and_b32_e32 v63, s48, v63
	v_lshlrev_b32_e32 v63, 2, v63
	ds_load_b32 v63, v63
	s_wait_dscnt 0x0
	v_add_nc_u32_e32 v63, v63, v74
	global_store_b32 v63, v62, s[38:39] scale_offset
	s_wait_xcnt 0x0
	s_or_b32 exec_lo, exec_lo, s21
	v_cmp_lt_u32_e64 s21, v75, v137
	s_and_saveexec_b32 s22, s21
	s_cbranch_execz .LBB523_776
.LBB523_844:                            ;   in Loop: Header=BB523_690 Depth=2
	ds_load_b32 v62, v93 offset:8192
	s_wait_dscnt 0x0
	v_lshrrev_b32_e32 v63, s49, v62
	v_xor_b32_e32 v62, 0x7fffffff, v62
	s_delay_alu instid0(VALU_DEP_2) | instskip(NEXT) | instid1(VALU_DEP_1)
	v_and_b32_e32 v63, s48, v63
	v_lshlrev_b32_e32 v63, 2, v63
	ds_load_b32 v63, v63
	s_wait_dscnt 0x0
	v_add_nc_u32_e32 v63, v63, v75
	global_store_b32 v63, v62, s[38:39] scale_offset
	s_wait_xcnt 0x0
	s_or_b32 exec_lo, exec_lo, s22
	v_cmp_lt_u32_e64 s22, v76, v137
	s_and_saveexec_b32 s23, s22
	s_cbranch_execz .LBB523_777
.LBB523_845:                            ;   in Loop: Header=BB523_690 Depth=2
	ds_load_b32 v62, v93 offset:9216
	s_wait_dscnt 0x0
	v_lshrrev_b32_e32 v63, s49, v62
	v_xor_b32_e32 v62, 0x7fffffff, v62
	s_delay_alu instid0(VALU_DEP_2) | instskip(NEXT) | instid1(VALU_DEP_1)
	v_and_b32_e32 v63, s48, v63
	v_lshlrev_b32_e32 v63, 2, v63
	ds_load_b32 v63, v63
	s_wait_dscnt 0x0
	v_add_nc_u32_e32 v63, v63, v76
	global_store_b32 v63, v62, s[38:39] scale_offset
	s_wait_xcnt 0x0
	s_or_b32 exec_lo, exec_lo, s23
	v_cmp_lt_u32_e64 s23, v77, v137
	s_and_saveexec_b32 s24, s23
	s_cbranch_execz .LBB523_778
.LBB523_846:                            ;   in Loop: Header=BB523_690 Depth=2
	ds_load_b32 v62, v93 offset:10240
	s_wait_dscnt 0x0
	v_lshrrev_b32_e32 v63, s49, v62
	v_xor_b32_e32 v62, 0x7fffffff, v62
	s_delay_alu instid0(VALU_DEP_2) | instskip(NEXT) | instid1(VALU_DEP_1)
	v_and_b32_e32 v63, s48, v63
	v_lshlrev_b32_e32 v63, 2, v63
	ds_load_b32 v63, v63
	s_wait_dscnt 0x0
	v_add_nc_u32_e32 v63, v63, v77
	global_store_b32 v63, v62, s[38:39] scale_offset
	s_wait_xcnt 0x0
	s_or_b32 exec_lo, exec_lo, s24
	v_cmp_lt_u32_e64 s24, v78, v137
	s_and_saveexec_b32 s25, s24
	s_cbranch_execz .LBB523_779
.LBB523_847:                            ;   in Loop: Header=BB523_690 Depth=2
	ds_load_b32 v62, v93 offset:11264
	s_wait_dscnt 0x0
	v_lshrrev_b32_e32 v63, s49, v62
	v_xor_b32_e32 v62, 0x7fffffff, v62
	s_delay_alu instid0(VALU_DEP_2) | instskip(NEXT) | instid1(VALU_DEP_1)
	v_and_b32_e32 v63, s48, v63
	v_lshlrev_b32_e32 v63, 2, v63
	ds_load_b32 v63, v63
	s_wait_dscnt 0x0
	v_add_nc_u32_e32 v63, v63, v78
	global_store_b32 v63, v62, s[38:39] scale_offset
	s_wait_xcnt 0x0
	s_or_b32 exec_lo, exec_lo, s25
	v_cmp_lt_u32_e64 s25, v79, v137
	s_and_saveexec_b32 s26, s25
	s_cbranch_execz .LBB523_780
.LBB523_848:                            ;   in Loop: Header=BB523_690 Depth=2
	ds_load_b32 v62, v93 offset:12288
	s_wait_dscnt 0x0
	v_lshrrev_b32_e32 v63, s49, v62
	v_xor_b32_e32 v62, 0x7fffffff, v62
	s_delay_alu instid0(VALU_DEP_2) | instskip(NEXT) | instid1(VALU_DEP_1)
	v_and_b32_e32 v63, s48, v63
	v_lshlrev_b32_e32 v63, 2, v63
	ds_load_b32 v63, v63
	s_wait_dscnt 0x0
	v_add_nc_u32_e32 v63, v63, v79
	global_store_b32 v63, v62, s[38:39] scale_offset
	s_wait_xcnt 0x0
	s_or_b32 exec_lo, exec_lo, s26
	v_cmp_lt_u32_e64 s26, v80, v137
	s_and_saveexec_b32 s27, s26
	s_cbranch_execz .LBB523_781
.LBB523_849:                            ;   in Loop: Header=BB523_690 Depth=2
	ds_load_b32 v62, v93 offset:13312
	s_wait_dscnt 0x0
	v_lshrrev_b32_e32 v63, s49, v62
	v_xor_b32_e32 v62, 0x7fffffff, v62
	s_delay_alu instid0(VALU_DEP_2) | instskip(NEXT) | instid1(VALU_DEP_1)
	v_and_b32_e32 v63, s48, v63
	v_lshlrev_b32_e32 v63, 2, v63
	ds_load_b32 v63, v63
	s_wait_dscnt 0x0
	v_add_nc_u32_e32 v63, v63, v80
	global_store_b32 v63, v62, s[38:39] scale_offset
	s_wait_xcnt 0x0
	s_or_b32 exec_lo, exec_lo, s27
	v_cmp_lt_u32_e64 s27, v81, v137
	s_and_saveexec_b32 s28, s27
	s_cbranch_execz .LBB523_782
.LBB523_850:                            ;   in Loop: Header=BB523_690 Depth=2
	ds_load_b32 v62, v93 offset:14336
	s_wait_dscnt 0x0
	v_lshrrev_b32_e32 v63, s49, v62
	v_xor_b32_e32 v62, 0x7fffffff, v62
	s_delay_alu instid0(VALU_DEP_2) | instskip(NEXT) | instid1(VALU_DEP_1)
	v_and_b32_e32 v63, s48, v63
	v_lshlrev_b32_e32 v63, 2, v63
	ds_load_b32 v63, v63
	s_wait_dscnt 0x0
	v_add_nc_u32_e32 v63, v63, v81
	global_store_b32 v63, v62, s[38:39] scale_offset
	s_wait_xcnt 0x0
	s_or_b32 exec_lo, exec_lo, s28
	v_cmp_lt_u32_e64 s28, v82, v137
	s_and_saveexec_b32 s29, s28
	s_cbranch_execz .LBB523_783
.LBB523_851:                            ;   in Loop: Header=BB523_690 Depth=2
	ds_load_b32 v62, v93 offset:15360
	s_wait_dscnt 0x0
	v_lshrrev_b32_e32 v63, s49, v62
	v_xor_b32_e32 v62, 0x7fffffff, v62
	s_delay_alu instid0(VALU_DEP_2) | instskip(NEXT) | instid1(VALU_DEP_1)
	v_and_b32_e32 v63, s48, v63
	v_lshlrev_b32_e32 v63, 2, v63
	ds_load_b32 v63, v63
	s_wait_dscnt 0x0
	v_add_nc_u32_e32 v63, v63, v82
	global_store_b32 v63, v62, s[38:39] scale_offset
	s_wait_xcnt 0x0
	s_or_b32 exec_lo, exec_lo, s29
	v_cmp_lt_u32_e64 s29, v83, v137
	s_and_saveexec_b32 s57, s29
	s_cbranch_execnz .LBB523_784
	s_branch .LBB523_785
.LBB523_852:                            ;   in Loop: Header=BB523_690 Depth=2
	global_load_b64 v[60:61], v[62:63], off
	s_wait_xcnt 0x0
	s_or_b32 exec_lo, exec_lo, s30
	s_delay_alu instid0(SALU_CYCLE_1)
	s_mov_b32 s57, exec_lo
	v_cmpx_lt_u32_e64 v102, v137
	s_cbranch_execz .LBB523_787
.LBB523_853:                            ;   in Loop: Header=BB523_690 Depth=2
	global_load_b64 v[58:59], v[62:63], off offset:256
	s_wait_xcnt 0x0
	s_or_b32 exec_lo, exec_lo, s57
	s_delay_alu instid0(SALU_CYCLE_1)
	s_mov_b32 s57, exec_lo
	v_cmpx_lt_u32_e64 v103, v137
	s_cbranch_execz .LBB523_788
.LBB523_854:                            ;   in Loop: Header=BB523_690 Depth=2
	global_load_b64 v[56:57], v[62:63], off offset:512
	s_wait_xcnt 0x0
	s_or_b32 exec_lo, exec_lo, s57
	s_delay_alu instid0(SALU_CYCLE_1)
	s_mov_b32 s57, exec_lo
	v_cmpx_lt_u32_e64 v104, v137
	s_cbranch_execz .LBB523_789
.LBB523_855:                            ;   in Loop: Header=BB523_690 Depth=2
	global_load_b64 v[54:55], v[62:63], off offset:768
	s_wait_xcnt 0x0
	s_or_b32 exec_lo, exec_lo, s57
	s_delay_alu instid0(SALU_CYCLE_1)
	s_mov_b32 s57, exec_lo
	v_cmpx_lt_u32_e64 v105, v137
	s_cbranch_execz .LBB523_790
.LBB523_856:                            ;   in Loop: Header=BB523_690 Depth=2
	global_load_b64 v[52:53], v[62:63], off offset:1024
	s_wait_xcnt 0x0
	s_or_b32 exec_lo, exec_lo, s57
	s_delay_alu instid0(SALU_CYCLE_1)
	s_mov_b32 s57, exec_lo
	v_cmpx_lt_u32_e64 v106, v137
	s_cbranch_execz .LBB523_791
.LBB523_857:                            ;   in Loop: Header=BB523_690 Depth=2
	global_load_b64 v[50:51], v[62:63], off offset:1280
	s_wait_xcnt 0x0
	s_or_b32 exec_lo, exec_lo, s57
	s_delay_alu instid0(SALU_CYCLE_1)
	s_mov_b32 s57, exec_lo
	v_cmpx_lt_u32_e64 v107, v137
	s_cbranch_execz .LBB523_792
.LBB523_858:                            ;   in Loop: Header=BB523_690 Depth=2
	global_load_b64 v[48:49], v[62:63], off offset:1536
	s_wait_xcnt 0x0
	s_or_b32 exec_lo, exec_lo, s57
	s_delay_alu instid0(SALU_CYCLE_1)
	s_mov_b32 s57, exec_lo
	v_cmpx_lt_u32_e64 v108, v137
	s_cbranch_execz .LBB523_793
.LBB523_859:                            ;   in Loop: Header=BB523_690 Depth=2
	global_load_b64 v[46:47], v[62:63], off offset:1792
	s_wait_xcnt 0x0
	s_or_b32 exec_lo, exec_lo, s57
	s_delay_alu instid0(SALU_CYCLE_1)
	s_mov_b32 s57, exec_lo
	v_cmpx_lt_u32_e64 v109, v137
	s_cbranch_execz .LBB523_794
.LBB523_860:                            ;   in Loop: Header=BB523_690 Depth=2
	global_load_b64 v[44:45], v[62:63], off offset:2048
	s_wait_xcnt 0x0
	s_or_b32 exec_lo, exec_lo, s57
	s_delay_alu instid0(SALU_CYCLE_1)
	s_mov_b32 s57, exec_lo
	v_cmpx_lt_u32_e64 v110, v137
	s_cbranch_execz .LBB523_795
.LBB523_861:                            ;   in Loop: Header=BB523_690 Depth=2
	global_load_b64 v[42:43], v[62:63], off offset:2304
	s_wait_xcnt 0x0
	s_or_b32 exec_lo, exec_lo, s57
	s_delay_alu instid0(SALU_CYCLE_1)
	s_mov_b32 s57, exec_lo
	v_cmpx_lt_u32_e64 v111, v137
	s_cbranch_execz .LBB523_796
.LBB523_862:                            ;   in Loop: Header=BB523_690 Depth=2
	global_load_b64 v[40:41], v[62:63], off offset:2560
	s_wait_xcnt 0x0
	s_or_b32 exec_lo, exec_lo, s57
	s_delay_alu instid0(SALU_CYCLE_1)
	s_mov_b32 s57, exec_lo
	v_cmpx_lt_u32_e64 v112, v137
	s_cbranch_execz .LBB523_797
.LBB523_863:                            ;   in Loop: Header=BB523_690 Depth=2
	global_load_b64 v[38:39], v[62:63], off offset:2816
	s_wait_xcnt 0x0
	s_or_b32 exec_lo, exec_lo, s57
	s_delay_alu instid0(SALU_CYCLE_1)
	s_mov_b32 s57, exec_lo
	v_cmpx_lt_u32_e64 v113, v137
	s_cbranch_execz .LBB523_798
.LBB523_864:                            ;   in Loop: Header=BB523_690 Depth=2
	global_load_b64 v[36:37], v[62:63], off offset:3072
	s_wait_xcnt 0x0
	s_or_b32 exec_lo, exec_lo, s57
	s_delay_alu instid0(SALU_CYCLE_1)
	s_mov_b32 s57, exec_lo
	v_cmpx_lt_u32_e64 v114, v137
	s_cbranch_execz .LBB523_799
.LBB523_865:                            ;   in Loop: Header=BB523_690 Depth=2
	global_load_b64 v[34:35], v[62:63], off offset:3328
	s_wait_xcnt 0x0
	s_or_b32 exec_lo, exec_lo, s57
	s_delay_alu instid0(SALU_CYCLE_1)
	s_mov_b32 s57, exec_lo
	v_cmpx_lt_u32_e64 v115, v137
	s_cbranch_execz .LBB523_800
.LBB523_866:                            ;   in Loop: Header=BB523_690 Depth=2
	global_load_b64 v[32:33], v[62:63], off offset:3584
	s_wait_xcnt 0x0
	s_or_b32 exec_lo, exec_lo, s57
	s_delay_alu instid0(SALU_CYCLE_1)
	s_mov_b32 s57, exec_lo
	v_cmpx_lt_u32_e64 v116, v137
	s_cbranch_execz .LBB523_801
.LBB523_867:                            ;   in Loop: Header=BB523_690 Depth=2
	global_load_b64 v[30:31], v[62:63], off offset:3840
	s_wait_xcnt 0x0
	s_or_b32 exec_lo, exec_lo, s57
	s_and_saveexec_b32 s30, vcc_lo
	s_cbranch_execz .LBB523_802
.LBB523_868:                            ;   in Loop: Header=BB523_690 Depth=2
	ds_load_b32 v62, v93 offset:1024
	s_wait_dscnt 0x0
	v_lshrrev_b32_e32 v62, s49, v62
	s_delay_alu instid0(VALU_DEP_1)
	v_and_b32_e32 v136, s48, v62
	s_or_b32 exec_lo, exec_lo, s30
	s_and_saveexec_b32 s30, s15
	s_cbranch_execz .LBB523_803
.LBB523_869:                            ;   in Loop: Header=BB523_690 Depth=2
	ds_load_b32 v62, v93 offset:2048
	s_wait_dscnt 0x0
	v_lshrrev_b32_e32 v62, s49, v62
	s_delay_alu instid0(VALU_DEP_1)
	v_and_b32_e32 v135, s48, v62
	s_or_b32 exec_lo, exec_lo, s30
	s_and_saveexec_b32 s30, s16
	s_cbranch_execz .LBB523_804
.LBB523_870:                            ;   in Loop: Header=BB523_690 Depth=2
	ds_load_b32 v62, v93 offset:3072
	s_wait_dscnt 0x0
	v_lshrrev_b32_e32 v62, s49, v62
	s_delay_alu instid0(VALU_DEP_1)
	v_and_b32_e32 v134, s48, v62
	s_or_b32 exec_lo, exec_lo, s30
	s_and_saveexec_b32 s30, s17
	s_cbranch_execz .LBB523_805
.LBB523_871:                            ;   in Loop: Header=BB523_690 Depth=2
	ds_load_b32 v62, v93 offset:4096
	s_wait_dscnt 0x0
	v_lshrrev_b32_e32 v62, s49, v62
	s_delay_alu instid0(VALU_DEP_1)
	v_and_b32_e32 v133, s48, v62
	s_or_b32 exec_lo, exec_lo, s30
	s_and_saveexec_b32 s30, s18
	s_cbranch_execz .LBB523_806
.LBB523_872:                            ;   in Loop: Header=BB523_690 Depth=2
	ds_load_b32 v62, v93 offset:5120
	s_wait_dscnt 0x0
	v_lshrrev_b32_e32 v62, s49, v62
	s_delay_alu instid0(VALU_DEP_1)
	v_and_b32_e32 v132, s48, v62
	s_or_b32 exec_lo, exec_lo, s30
	s_and_saveexec_b32 s30, s19
	s_cbranch_execz .LBB523_807
.LBB523_873:                            ;   in Loop: Header=BB523_690 Depth=2
	ds_load_b32 v62, v93 offset:6144
	s_wait_dscnt 0x0
	v_lshrrev_b32_e32 v62, s49, v62
	s_delay_alu instid0(VALU_DEP_1)
	v_and_b32_e32 v131, s48, v62
	s_or_b32 exec_lo, exec_lo, s30
	s_and_saveexec_b32 s30, s20
	s_cbranch_execz .LBB523_808
.LBB523_874:                            ;   in Loop: Header=BB523_690 Depth=2
	ds_load_b32 v62, v93 offset:7168
	s_wait_dscnt 0x0
	v_lshrrev_b32_e32 v62, s49, v62
	s_delay_alu instid0(VALU_DEP_1)
	v_and_b32_e32 v130, s48, v62
	s_or_b32 exec_lo, exec_lo, s30
	s_and_saveexec_b32 s30, s21
	s_cbranch_execz .LBB523_809
.LBB523_875:                            ;   in Loop: Header=BB523_690 Depth=2
	ds_load_b32 v62, v93 offset:8192
	s_wait_dscnt 0x0
	v_lshrrev_b32_e32 v62, s49, v62
	s_delay_alu instid0(VALU_DEP_1)
	v_and_b32_e32 v129, s48, v62
	s_or_b32 exec_lo, exec_lo, s30
	s_and_saveexec_b32 s30, s22
	s_cbranch_execz .LBB523_810
.LBB523_876:                            ;   in Loop: Header=BB523_690 Depth=2
	ds_load_b32 v62, v93 offset:9216
	s_wait_dscnt 0x0
	v_lshrrev_b32_e32 v62, s49, v62
	s_delay_alu instid0(VALU_DEP_1)
	v_and_b32_e32 v128, s48, v62
	s_or_b32 exec_lo, exec_lo, s30
	s_and_saveexec_b32 s30, s23
	s_cbranch_execz .LBB523_811
.LBB523_877:                            ;   in Loop: Header=BB523_690 Depth=2
	ds_load_b32 v62, v93 offset:10240
	s_wait_dscnt 0x0
	v_lshrrev_b32_e32 v62, s49, v62
	s_delay_alu instid0(VALU_DEP_1)
	v_and_b32_e32 v127, s48, v62
	s_or_b32 exec_lo, exec_lo, s30
	s_and_saveexec_b32 s30, s24
	s_cbranch_execz .LBB523_812
.LBB523_878:                            ;   in Loop: Header=BB523_690 Depth=2
	ds_load_b32 v62, v93 offset:11264
	s_wait_dscnt 0x0
	v_lshrrev_b32_e32 v62, s49, v62
	s_delay_alu instid0(VALU_DEP_1)
	v_and_b32_e32 v126, s48, v62
	s_or_b32 exec_lo, exec_lo, s30
	s_and_saveexec_b32 s30, s25
	s_cbranch_execz .LBB523_813
.LBB523_879:                            ;   in Loop: Header=BB523_690 Depth=2
	ds_load_b32 v62, v93 offset:12288
	s_wait_dscnt 0x0
	v_lshrrev_b32_e32 v62, s49, v62
	s_delay_alu instid0(VALU_DEP_1)
	v_and_b32_e32 v125, s48, v62
	s_or_b32 exec_lo, exec_lo, s30
	s_and_saveexec_b32 s30, s26
	s_cbranch_execz .LBB523_814
.LBB523_880:                            ;   in Loop: Header=BB523_690 Depth=2
	ds_load_b32 v62, v93 offset:13312
	s_wait_dscnt 0x0
	v_lshrrev_b32_e32 v62, s49, v62
	s_delay_alu instid0(VALU_DEP_1)
	v_and_b32_e32 v124, s48, v62
	s_or_b32 exec_lo, exec_lo, s30
	s_and_saveexec_b32 s30, s27
	s_cbranch_execz .LBB523_815
.LBB523_881:                            ;   in Loop: Header=BB523_690 Depth=2
	ds_load_b32 v62, v93 offset:14336
	s_wait_dscnt 0x0
	v_lshrrev_b32_e32 v62, s49, v62
	s_delay_alu instid0(VALU_DEP_1)
	v_and_b32_e32 v123, s48, v62
	s_or_b32 exec_lo, exec_lo, s30
	s_and_saveexec_b32 s30, s28
	s_cbranch_execz .LBB523_816
.LBB523_882:                            ;   in Loop: Header=BB523_690 Depth=2
	ds_load_b32 v62, v93 offset:15360
	s_wait_dscnt 0x0
	v_lshrrev_b32_e32 v62, s49, v62
	s_delay_alu instid0(VALU_DEP_1)
	v_and_b32_e32 v122, s48, v62
	s_or_b32 exec_lo, exec_lo, s30
	s_and_saveexec_b32 s30, s29
	s_cbranch_execnz .LBB523_817
	s_branch .LBB523_818
.LBB523_883:                            ;   in Loop: Header=BB523_690 Depth=2
	v_lshlrev_b32_e32 v62, 2, v136
	v_add_nc_u32_e32 v63, v93, v4
	ds_load_b32 v65, v62
	ds_load_b64 v[62:63], v63 offset:1024
	s_wait_dscnt 0x1
	v_add_nc_u32_e32 v65, v65, v2
	s_wait_dscnt 0x0
	global_store_b64 v65, v[62:63], s[44:45] scale_offset
	s_wait_xcnt 0x0
	s_or_b32 exec_lo, exec_lo, s30
	s_and_saveexec_b32 s30, s15
	s_cbranch_execz .LBB523_820
.LBB523_884:                            ;   in Loop: Header=BB523_690 Depth=2
	v_dual_lshlrev_b32 v62, 2, v135 :: v_dual_add_nc_u32 v63, v93, v4
	ds_load_b32 v65, v62
	ds_load_b64 v[62:63], v63 offset:3072
	s_wait_dscnt 0x1
	v_add_nc_u32_e32 v65, v65, v3
	s_wait_dscnt 0x0
	global_store_b64 v65, v[62:63], s[44:45] scale_offset
	s_wait_xcnt 0x0
	s_or_b32 exec_lo, exec_lo, s30
	s_and_saveexec_b32 s15, s16
	s_cbranch_execz .LBB523_821
.LBB523_885:                            ;   in Loop: Header=BB523_690 Depth=2
	v_dual_lshlrev_b32 v62, 2, v134 :: v_dual_add_nc_u32 v63, v93, v4
	ds_load_b32 v65, v62
	ds_load_b64 v[62:63], v63 offset:5120
	s_wait_dscnt 0x1
	v_add_nc_u32_e32 v65, v65, v70
	s_wait_dscnt 0x0
	global_store_b64 v65, v[62:63], s[44:45] scale_offset
	s_wait_xcnt 0x0
	s_or_b32 exec_lo, exec_lo, s15
	s_and_saveexec_b32 s15, s17
	s_cbranch_execz .LBB523_822
.LBB523_886:                            ;   in Loop: Header=BB523_690 Depth=2
	v_dual_lshlrev_b32 v62, 2, v133 :: v_dual_add_nc_u32 v63, v93, v4
	ds_load_b32 v65, v62
	ds_load_b64 v[62:63], v63 offset:7168
	s_wait_dscnt 0x1
	v_add_nc_u32_e32 v65, v65, v71
	s_wait_dscnt 0x0
	global_store_b64 v65, v[62:63], s[44:45] scale_offset
	s_wait_xcnt 0x0
	s_or_b32 exec_lo, exec_lo, s15
	s_and_saveexec_b32 s15, s18
	s_cbranch_execz .LBB523_823
.LBB523_887:                            ;   in Loop: Header=BB523_690 Depth=2
	v_lshlrev_b32_e32 v62, 2, v132
	v_add_nc_u32_e32 v63, v93, v4
	ds_load_b32 v65, v62
	ds_load_b64 v[62:63], v63 offset:9216
	s_wait_dscnt 0x1
	v_add_nc_u32_e32 v65, v65, v72
	s_wait_dscnt 0x0
	global_store_b64 v65, v[62:63], s[44:45] scale_offset
	s_wait_xcnt 0x0
	s_or_b32 exec_lo, exec_lo, s15
	s_and_saveexec_b32 s15, s19
	s_cbranch_execz .LBB523_824
.LBB523_888:                            ;   in Loop: Header=BB523_690 Depth=2
	v_dual_lshlrev_b32 v62, 2, v131 :: v_dual_add_nc_u32 v63, v93, v4
	ds_load_b32 v65, v62
	ds_load_b64 v[62:63], v63 offset:11264
	s_wait_dscnt 0x1
	v_add_nc_u32_e32 v65, v65, v73
	s_wait_dscnt 0x0
	global_store_b64 v65, v[62:63], s[44:45] scale_offset
	s_wait_xcnt 0x0
	s_or_b32 exec_lo, exec_lo, s15
	s_and_saveexec_b32 s15, s20
	s_cbranch_execz .LBB523_825
.LBB523_889:                            ;   in Loop: Header=BB523_690 Depth=2
	v_dual_lshlrev_b32 v62, 2, v130 :: v_dual_add_nc_u32 v63, v93, v4
	ds_load_b32 v65, v62
	ds_load_b64 v[62:63], v63 offset:13312
	s_wait_dscnt 0x1
	v_add_nc_u32_e32 v65, v65, v74
	s_wait_dscnt 0x0
	global_store_b64 v65, v[62:63], s[44:45] scale_offset
	s_wait_xcnt 0x0
	s_or_b32 exec_lo, exec_lo, s15
	s_and_saveexec_b32 s15, s21
	s_cbranch_execz .LBB523_826
.LBB523_890:                            ;   in Loop: Header=BB523_690 Depth=2
	v_dual_lshlrev_b32 v62, 2, v129 :: v_dual_add_nc_u32 v63, v93, v4
	ds_load_b32 v65, v62
	ds_load_b64 v[62:63], v63 offset:15360
	s_wait_dscnt 0x1
	v_add_nc_u32_e32 v65, v65, v75
	s_wait_dscnt 0x0
	global_store_b64 v65, v[62:63], s[44:45] scale_offset
	s_wait_xcnt 0x0
	s_or_b32 exec_lo, exec_lo, s15
	s_and_saveexec_b32 s15, s22
	s_cbranch_execz .LBB523_827
.LBB523_891:                            ;   in Loop: Header=BB523_690 Depth=2
	v_lshlrev_b32_e32 v62, 2, v128
	v_add_nc_u32_e32 v63, v93, v4
	ds_load_b32 v65, v62
	ds_load_b64 v[62:63], v63 offset:17408
	s_wait_dscnt 0x1
	v_add_nc_u32_e32 v65, v65, v76
	s_wait_dscnt 0x0
	global_store_b64 v65, v[62:63], s[44:45] scale_offset
	s_wait_xcnt 0x0
	s_or_b32 exec_lo, exec_lo, s15
	s_and_saveexec_b32 s15, s23
	s_cbranch_execz .LBB523_828
.LBB523_892:                            ;   in Loop: Header=BB523_690 Depth=2
	v_dual_lshlrev_b32 v62, 2, v127 :: v_dual_add_nc_u32 v63, v93, v4
	ds_load_b32 v65, v62
	ds_load_b64 v[62:63], v63 offset:19456
	s_wait_dscnt 0x1
	v_add_nc_u32_e32 v65, v65, v77
	s_wait_dscnt 0x0
	global_store_b64 v65, v[62:63], s[44:45] scale_offset
	s_wait_xcnt 0x0
	s_or_b32 exec_lo, exec_lo, s15
	s_and_saveexec_b32 s15, s24
	s_cbranch_execz .LBB523_829
.LBB523_893:                            ;   in Loop: Header=BB523_690 Depth=2
	v_dual_lshlrev_b32 v62, 2, v126 :: v_dual_add_nc_u32 v63, v93, v4
	ds_load_b32 v65, v62
	ds_load_b64 v[62:63], v63 offset:21504
	s_wait_dscnt 0x1
	v_add_nc_u32_e32 v65, v65, v78
	s_wait_dscnt 0x0
	global_store_b64 v65, v[62:63], s[44:45] scale_offset
	s_wait_xcnt 0x0
	s_or_b32 exec_lo, exec_lo, s15
	s_and_saveexec_b32 s15, s25
	s_cbranch_execz .LBB523_830
.LBB523_894:                            ;   in Loop: Header=BB523_690 Depth=2
	v_dual_lshlrev_b32 v62, 2, v125 :: v_dual_add_nc_u32 v63, v93, v4
	ds_load_b32 v65, v62
	ds_load_b64 v[62:63], v63 offset:23552
	s_wait_dscnt 0x1
	v_add_nc_u32_e32 v65, v65, v79
	s_wait_dscnt 0x0
	global_store_b64 v65, v[62:63], s[44:45] scale_offset
	s_wait_xcnt 0x0
	s_or_b32 exec_lo, exec_lo, s15
	s_and_saveexec_b32 s15, s26
	s_cbranch_execz .LBB523_831
.LBB523_895:                            ;   in Loop: Header=BB523_690 Depth=2
	v_lshlrev_b32_e32 v62, 2, v124
	v_add_nc_u32_e32 v63, v93, v4
	ds_load_b32 v65, v62
	ds_load_b64 v[62:63], v63 offset:25600
	s_wait_dscnt 0x1
	v_add_nc_u32_e32 v65, v65, v80
	s_wait_dscnt 0x0
	global_store_b64 v65, v[62:63], s[44:45] scale_offset
	s_wait_xcnt 0x0
	s_or_b32 exec_lo, exec_lo, s15
	s_and_saveexec_b32 s15, s27
	s_cbranch_execz .LBB523_832
.LBB523_896:                            ;   in Loop: Header=BB523_690 Depth=2
	v_dual_lshlrev_b32 v62, 2, v123 :: v_dual_add_nc_u32 v63, v93, v4
	ds_load_b32 v65, v62
	ds_load_b64 v[62:63], v63 offset:27648
	s_wait_dscnt 0x1
	v_add_nc_u32_e32 v65, v65, v81
	s_wait_dscnt 0x0
	global_store_b64 v65, v[62:63], s[44:45] scale_offset
	s_wait_xcnt 0x0
	s_or_b32 exec_lo, exec_lo, s15
	s_and_saveexec_b32 s15, s28
	s_cbranch_execz .LBB523_833
.LBB523_897:                            ;   in Loop: Header=BB523_690 Depth=2
	v_dual_lshlrev_b32 v62, 2, v122 :: v_dual_add_nc_u32 v63, v93, v4
	ds_load_b32 v65, v62
	ds_load_b64 v[62:63], v63 offset:29696
	s_wait_dscnt 0x1
	v_add_nc_u32_e32 v65, v65, v82
	s_wait_dscnt 0x0
	global_store_b64 v65, v[62:63], s[44:45] scale_offset
	s_wait_xcnt 0x0
	s_or_b32 exec_lo, exec_lo, s15
	s_and_saveexec_b32 s15, s29
	s_cbranch_execnz .LBB523_834
	s_branch .LBB523_835
.LBB523_898:                            ;   in Loop: Header=BB523_20 Depth=1
	s_wait_dscnt 0x0
	s_barrier_signal -1
	s_mov_b32 s7, 0
	s_barrier_wait -1
.LBB523_899:                            ;   in Loop: Header=BB523_20 Depth=1
	s_and_b32 vcc_lo, exec_lo, s7
	s_cbranch_vccz .LBB523_19
; %bb.900:                              ;   in Loop: Header=BB523_20 Depth=1
	s_mov_b32 s7, s54
	s_mov_b32 s30, s52
	s_barrier_signal -1
	s_barrier_wait -1
                                        ; implicit-def: $vgpr25
                                        ; implicit-def: $vgpr26
                                        ; implicit-def: $vgpr27
                                        ; implicit-def: $vgpr28
                                        ; implicit-def: $vgpr29
                                        ; implicit-def: $vgpr30
                                        ; implicit-def: $vgpr31
                                        ; implicit-def: $vgpr32
                                        ; implicit-def: $vgpr33
                                        ; implicit-def: $vgpr34
                                        ; implicit-def: $vgpr35
                                        ; implicit-def: $vgpr36
                                        ; implicit-def: $vgpr37
                                        ; implicit-def: $vgpr38
                                        ; implicit-def: $vgpr39
                                        ; implicit-def: $vgpr40
	s_branch .LBB523_902
.LBB523_901:                            ;   in Loop: Header=BB523_902 Depth=2
	s_or_b32 exec_lo, exec_lo, s8
	s_addk_co_i32 s7, 0xf000
	s_cmp_ge_u32 s10, s51
	s_mov_b32 s30, s10
	s_cbranch_scc1 .LBB523_970
.LBB523_902:                            ;   Parent Loop BB523_20 Depth=1
                                        ; =>  This Inner Loop Header: Depth=2
	s_add_co_i32 s10, s30, 0x1000
	s_mov_b32 s8, -1
	s_cmp_gt_u32 s10, s51
                                        ; implicit-def: $vgpr41
                                        ; implicit-def: $vgpr42
                                        ; implicit-def: $vgpr43
                                        ; implicit-def: $vgpr44
                                        ; implicit-def: $vgpr45
                                        ; implicit-def: $vgpr46
                                        ; implicit-def: $vgpr47
                                        ; implicit-def: $vgpr48
                                        ; implicit-def: $vgpr49
                                        ; implicit-def: $vgpr50
                                        ; implicit-def: $vgpr51
                                        ; implicit-def: $vgpr52
                                        ; implicit-def: $vgpr53
                                        ; implicit-def: $vgpr54
                                        ; implicit-def: $vgpr55
                                        ; implicit-def: $vgpr56
	s_cbranch_scc1 .LBB523_904
; %bb.903:                              ;   in Loop: Header=BB523_902 Depth=2
	v_lshl_add_u64 v[56:57], s[30:31], 2, v[22:23]
	s_mov_b32 s8, 0
	s_clause 0xf
	global_load_b32 v41, v[56:57], off
	global_load_b32 v42, v[56:57], off offset:1024
	global_load_b32 v43, v[56:57], off offset:2048
	;; [unrolled: 1-line block ×15, first 2 shown]
.LBB523_904:                            ;   in Loop: Header=BB523_902 Depth=2
	s_and_not1_b32 vcc_lo, exec_lo, s8
	s_movk_i32 s8, 0x1000
	s_cbranch_vccnz .LBB523_923
; %bb.905:                              ;   in Loop: Header=BB523_902 Depth=2
	s_lshl_b64 s[8:9], s[30:31], 2
	s_mov_b32 s11, exec_lo
	s_add_nc_u64 s[8:9], s[36:37], s[8:9]
	s_wait_xcnt 0x0
	v_cmpx_gt_u32_e64 s7, v2
	s_cbranch_execnz .LBB523_955
; %bb.906:                              ;   in Loop: Header=BB523_902 Depth=2
	s_or_b32 exec_lo, exec_lo, s11
	s_delay_alu instid0(SALU_CYCLE_1)
	s_mov_b32 s11, exec_lo
	v_cmpx_gt_u32_e64 s7, v3
	s_cbranch_execnz .LBB523_956
.LBB523_907:                            ;   in Loop: Header=BB523_902 Depth=2
	s_or_b32 exec_lo, exec_lo, s11
	s_delay_alu instid0(SALU_CYCLE_1)
	s_mov_b32 s11, exec_lo
	v_cmpx_gt_u32_e64 s7, v70
	s_cbranch_execnz .LBB523_957
.LBB523_908:                            ;   in Loop: Header=BB523_902 Depth=2
	s_or_b32 exec_lo, exec_lo, s11
	s_delay_alu instid0(SALU_CYCLE_1)
	s_mov_b32 s11, exec_lo
	v_cmpx_gt_u32_e64 s7, v71
	s_cbranch_execnz .LBB523_958
.LBB523_909:                            ;   in Loop: Header=BB523_902 Depth=2
	s_or_b32 exec_lo, exec_lo, s11
	s_delay_alu instid0(SALU_CYCLE_1)
	s_mov_b32 s11, exec_lo
	v_cmpx_gt_u32_e64 s7, v72
	s_cbranch_execnz .LBB523_959
.LBB523_910:                            ;   in Loop: Header=BB523_902 Depth=2
	s_or_b32 exec_lo, exec_lo, s11
	s_delay_alu instid0(SALU_CYCLE_1)
	s_mov_b32 s11, exec_lo
	v_cmpx_gt_u32_e64 s7, v73
	s_cbranch_execnz .LBB523_960
.LBB523_911:                            ;   in Loop: Header=BB523_902 Depth=2
	s_or_b32 exec_lo, exec_lo, s11
	s_delay_alu instid0(SALU_CYCLE_1)
	s_mov_b32 s11, exec_lo
	v_cmpx_gt_u32_e64 s7, v74
	s_cbranch_execnz .LBB523_961
.LBB523_912:                            ;   in Loop: Header=BB523_902 Depth=2
	s_or_b32 exec_lo, exec_lo, s11
	s_delay_alu instid0(SALU_CYCLE_1)
	s_mov_b32 s11, exec_lo
	v_cmpx_gt_u32_e64 s7, v75
	s_cbranch_execnz .LBB523_962
.LBB523_913:                            ;   in Loop: Header=BB523_902 Depth=2
	s_or_b32 exec_lo, exec_lo, s11
	s_delay_alu instid0(SALU_CYCLE_1)
	s_mov_b32 s11, exec_lo
	v_cmpx_gt_u32_e64 s7, v76
	s_cbranch_execnz .LBB523_963
.LBB523_914:                            ;   in Loop: Header=BB523_902 Depth=2
	s_or_b32 exec_lo, exec_lo, s11
	s_delay_alu instid0(SALU_CYCLE_1)
	s_mov_b32 s11, exec_lo
	v_cmpx_gt_u32_e64 s7, v77
	s_cbranch_execnz .LBB523_964
.LBB523_915:                            ;   in Loop: Header=BB523_902 Depth=2
	s_or_b32 exec_lo, exec_lo, s11
	s_delay_alu instid0(SALU_CYCLE_1)
	s_mov_b32 s11, exec_lo
	v_cmpx_gt_u32_e64 s7, v78
	s_cbranch_execnz .LBB523_965
.LBB523_916:                            ;   in Loop: Header=BB523_902 Depth=2
	s_or_b32 exec_lo, exec_lo, s11
	s_delay_alu instid0(SALU_CYCLE_1)
	s_mov_b32 s11, exec_lo
	v_cmpx_gt_u32_e64 s7, v79
	s_cbranch_execnz .LBB523_966
.LBB523_917:                            ;   in Loop: Header=BB523_902 Depth=2
	s_or_b32 exec_lo, exec_lo, s11
	s_delay_alu instid0(SALU_CYCLE_1)
	s_mov_b32 s11, exec_lo
	v_cmpx_gt_u32_e64 s7, v80
	s_cbranch_execnz .LBB523_967
.LBB523_918:                            ;   in Loop: Header=BB523_902 Depth=2
	s_or_b32 exec_lo, exec_lo, s11
	s_delay_alu instid0(SALU_CYCLE_1)
	s_mov_b32 s11, exec_lo
	v_cmpx_gt_u32_e64 s7, v81
	s_cbranch_execnz .LBB523_968
.LBB523_919:                            ;   in Loop: Header=BB523_902 Depth=2
	s_or_b32 exec_lo, exec_lo, s11
	s_delay_alu instid0(SALU_CYCLE_1)
	s_mov_b32 s11, exec_lo
	v_cmpx_gt_u32_e64 s7, v82
	s_cbranch_execnz .LBB523_969
.LBB523_920:                            ;   in Loop: Header=BB523_902 Depth=2
	s_or_b32 exec_lo, exec_lo, s11
	s_delay_alu instid0(SALU_CYCLE_1)
	s_mov_b32 s11, exec_lo
	v_cmpx_gt_u32_e64 s7, v83
	s_cbranch_execz .LBB523_922
.LBB523_921:                            ;   in Loop: Header=BB523_902 Depth=2
	global_load_b32 v25, v2, s[8:9] offset:15360 scale_offset
.LBB523_922:                            ;   in Loop: Header=BB523_902 Depth=2
	s_wait_xcnt 0x0
	s_or_b32 exec_lo, exec_lo, s11
	s_wait_loadcnt 0x0
	v_dual_mov_b32 v41, v40 :: v_dual_mov_b32 v42, v39
	v_dual_mov_b32 v43, v38 :: v_dual_mov_b32 v44, v37
	;; [unrolled: 1-line block ×8, first 2 shown]
	s_mov_b32 s8, s7
.LBB523_923:                            ;   in Loop: Header=BB523_902 Depth=2
	s_wait_loadcnt 0x0
	s_delay_alu instid0(VALU_DEP_1)
	v_dual_mov_b32 v25, v56 :: v_dual_mov_b32 v26, v55
	v_dual_mov_b32 v27, v54 :: v_dual_mov_b32 v28, v53
	;; [unrolled: 1-line block ×8, first 2 shown]
	s_mov_b32 s9, exec_lo
	s_wait_xcnt 0x0
	v_cmpx_gt_u32_e64 s8, v2
	s_cbranch_execnz .LBB523_939
; %bb.924:                              ;   in Loop: Header=BB523_902 Depth=2
	s_or_b32 exec_lo, exec_lo, s9
	s_delay_alu instid0(SALU_CYCLE_1)
	s_mov_b32 s9, exec_lo
	v_cmpx_gt_u32_e64 s8, v3
	s_cbranch_execnz .LBB523_940
.LBB523_925:                            ;   in Loop: Header=BB523_902 Depth=2
	s_or_b32 exec_lo, exec_lo, s9
	s_delay_alu instid0(SALU_CYCLE_1)
	s_mov_b32 s9, exec_lo
	v_cmpx_gt_u32_e64 s8, v70
	s_cbranch_execnz .LBB523_941
.LBB523_926:                            ;   in Loop: Header=BB523_902 Depth=2
	s_or_b32 exec_lo, exec_lo, s9
	s_delay_alu instid0(SALU_CYCLE_1)
	s_mov_b32 s9, exec_lo
	v_cmpx_gt_u32_e64 s8, v71
	s_cbranch_execnz .LBB523_942
.LBB523_927:                            ;   in Loop: Header=BB523_902 Depth=2
	s_or_b32 exec_lo, exec_lo, s9
	s_delay_alu instid0(SALU_CYCLE_1)
	s_mov_b32 s9, exec_lo
	v_cmpx_gt_u32_e64 s8, v72
	s_cbranch_execnz .LBB523_943
.LBB523_928:                            ;   in Loop: Header=BB523_902 Depth=2
	s_or_b32 exec_lo, exec_lo, s9
	s_delay_alu instid0(SALU_CYCLE_1)
	s_mov_b32 s9, exec_lo
	v_cmpx_gt_u32_e64 s8, v73
	s_cbranch_execnz .LBB523_944
.LBB523_929:                            ;   in Loop: Header=BB523_902 Depth=2
	s_or_b32 exec_lo, exec_lo, s9
	s_delay_alu instid0(SALU_CYCLE_1)
	s_mov_b32 s9, exec_lo
	v_cmpx_gt_u32_e64 s8, v74
	s_cbranch_execnz .LBB523_945
.LBB523_930:                            ;   in Loop: Header=BB523_902 Depth=2
	s_or_b32 exec_lo, exec_lo, s9
	s_delay_alu instid0(SALU_CYCLE_1)
	s_mov_b32 s9, exec_lo
	v_cmpx_gt_u32_e64 s8, v75
	s_cbranch_execnz .LBB523_946
.LBB523_931:                            ;   in Loop: Header=BB523_902 Depth=2
	s_or_b32 exec_lo, exec_lo, s9
	s_delay_alu instid0(SALU_CYCLE_1)
	s_mov_b32 s9, exec_lo
	v_cmpx_gt_u32_e64 s8, v76
	s_cbranch_execnz .LBB523_947
.LBB523_932:                            ;   in Loop: Header=BB523_902 Depth=2
	s_or_b32 exec_lo, exec_lo, s9
	s_delay_alu instid0(SALU_CYCLE_1)
	s_mov_b32 s9, exec_lo
	v_cmpx_gt_u32_e64 s8, v77
	s_cbranch_execnz .LBB523_948
.LBB523_933:                            ;   in Loop: Header=BB523_902 Depth=2
	s_or_b32 exec_lo, exec_lo, s9
	s_delay_alu instid0(SALU_CYCLE_1)
	s_mov_b32 s9, exec_lo
	v_cmpx_gt_u32_e64 s8, v78
	s_cbranch_execnz .LBB523_949
.LBB523_934:                            ;   in Loop: Header=BB523_902 Depth=2
	s_or_b32 exec_lo, exec_lo, s9
	s_delay_alu instid0(SALU_CYCLE_1)
	s_mov_b32 s9, exec_lo
	v_cmpx_gt_u32_e64 s8, v79
	s_cbranch_execnz .LBB523_950
.LBB523_935:                            ;   in Loop: Header=BB523_902 Depth=2
	s_or_b32 exec_lo, exec_lo, s9
	s_delay_alu instid0(SALU_CYCLE_1)
	s_mov_b32 s9, exec_lo
	v_cmpx_gt_u32_e64 s8, v80
	s_cbranch_execnz .LBB523_951
.LBB523_936:                            ;   in Loop: Header=BB523_902 Depth=2
	s_or_b32 exec_lo, exec_lo, s9
	s_delay_alu instid0(SALU_CYCLE_1)
	s_mov_b32 s9, exec_lo
	v_cmpx_gt_u32_e64 s8, v81
	s_cbranch_execnz .LBB523_952
.LBB523_937:                            ;   in Loop: Header=BB523_902 Depth=2
	s_or_b32 exec_lo, exec_lo, s9
	s_delay_alu instid0(SALU_CYCLE_1)
	s_mov_b32 s9, exec_lo
	v_cmpx_gt_u32_e64 s8, v82
	s_cbranch_execnz .LBB523_953
.LBB523_938:                            ;   in Loop: Header=BB523_902 Depth=2
	s_or_b32 exec_lo, exec_lo, s9
	v_cmp_gt_u32_e32 vcc_lo, s8, v83
	s_and_saveexec_b32 s8, vcc_lo
	s_cbranch_execz .LBB523_901
	s_branch .LBB523_954
.LBB523_939:                            ;   in Loop: Header=BB523_902 Depth=2
	v_xor_b32_e32 v41, 0x7fffffff, v40
	s_delay_alu instid0(VALU_DEP_1) | instskip(NEXT) | instid1(VALU_DEP_1)
	v_lshrrev_b32_e32 v41, s49, v41
	v_and_b32_e32 v41, s48, v41
	s_delay_alu instid0(VALU_DEP_1) | instskip(SKIP_2) | instid1(SALU_CYCLE_1)
	v_lshl_or_b32 v41, v41, 4, v84
	ds_add_u32 v41, v95
	s_or_b32 exec_lo, exec_lo, s9
	s_mov_b32 s9, exec_lo
	v_cmpx_gt_u32_e64 s8, v3
	s_cbranch_execz .LBB523_925
.LBB523_940:                            ;   in Loop: Header=BB523_902 Depth=2
	v_xor_b32_e32 v41, 0x7fffffff, v39
	s_delay_alu instid0(VALU_DEP_1) | instskip(NEXT) | instid1(VALU_DEP_1)
	v_lshrrev_b32_e32 v41, s49, v41
	v_and_b32_e32 v41, s48, v41
	s_delay_alu instid0(VALU_DEP_1) | instskip(SKIP_2) | instid1(SALU_CYCLE_1)
	v_lshl_or_b32 v41, v41, 4, v84
	ds_add_u32 v41, v95
	s_or_b32 exec_lo, exec_lo, s9
	s_mov_b32 s9, exec_lo
	v_cmpx_gt_u32_e64 s8, v70
	s_cbranch_execz .LBB523_926
.LBB523_941:                            ;   in Loop: Header=BB523_902 Depth=2
	v_xor_b32_e32 v41, 0x7fffffff, v38
	s_delay_alu instid0(VALU_DEP_1) | instskip(NEXT) | instid1(VALU_DEP_1)
	v_lshrrev_b32_e32 v41, s49, v41
	v_and_b32_e32 v41, s48, v41
	s_delay_alu instid0(VALU_DEP_1) | instskip(SKIP_2) | instid1(SALU_CYCLE_1)
	v_lshl_or_b32 v41, v41, 4, v84
	ds_add_u32 v41, v95
	s_or_b32 exec_lo, exec_lo, s9
	s_mov_b32 s9, exec_lo
	v_cmpx_gt_u32_e64 s8, v71
	s_cbranch_execz .LBB523_927
.LBB523_942:                            ;   in Loop: Header=BB523_902 Depth=2
	v_xor_b32_e32 v41, 0x7fffffff, v37
	s_delay_alu instid0(VALU_DEP_1) | instskip(NEXT) | instid1(VALU_DEP_1)
	v_lshrrev_b32_e32 v41, s49, v41
	v_and_b32_e32 v41, s48, v41
	s_delay_alu instid0(VALU_DEP_1) | instskip(SKIP_2) | instid1(SALU_CYCLE_1)
	v_lshl_or_b32 v41, v41, 4, v84
	ds_add_u32 v41, v95
	s_or_b32 exec_lo, exec_lo, s9
	s_mov_b32 s9, exec_lo
	v_cmpx_gt_u32_e64 s8, v72
	s_cbranch_execz .LBB523_928
.LBB523_943:                            ;   in Loop: Header=BB523_902 Depth=2
	v_xor_b32_e32 v41, 0x7fffffff, v36
	s_delay_alu instid0(VALU_DEP_1) | instskip(NEXT) | instid1(VALU_DEP_1)
	v_lshrrev_b32_e32 v41, s49, v41
	v_and_b32_e32 v41, s48, v41
	s_delay_alu instid0(VALU_DEP_1) | instskip(SKIP_2) | instid1(SALU_CYCLE_1)
	v_lshl_or_b32 v41, v41, 4, v84
	ds_add_u32 v41, v95
	s_or_b32 exec_lo, exec_lo, s9
	s_mov_b32 s9, exec_lo
	v_cmpx_gt_u32_e64 s8, v73
	s_cbranch_execz .LBB523_929
.LBB523_944:                            ;   in Loop: Header=BB523_902 Depth=2
	v_xor_b32_e32 v41, 0x7fffffff, v35
	s_delay_alu instid0(VALU_DEP_1) | instskip(NEXT) | instid1(VALU_DEP_1)
	v_lshrrev_b32_e32 v41, s49, v41
	v_and_b32_e32 v41, s48, v41
	s_delay_alu instid0(VALU_DEP_1) | instskip(SKIP_2) | instid1(SALU_CYCLE_1)
	v_lshl_or_b32 v41, v41, 4, v84
	ds_add_u32 v41, v95
	s_or_b32 exec_lo, exec_lo, s9
	s_mov_b32 s9, exec_lo
	v_cmpx_gt_u32_e64 s8, v74
	s_cbranch_execz .LBB523_930
.LBB523_945:                            ;   in Loop: Header=BB523_902 Depth=2
	v_xor_b32_e32 v41, 0x7fffffff, v34
	s_delay_alu instid0(VALU_DEP_1) | instskip(NEXT) | instid1(VALU_DEP_1)
	v_lshrrev_b32_e32 v41, s49, v41
	v_and_b32_e32 v41, s48, v41
	s_delay_alu instid0(VALU_DEP_1) | instskip(SKIP_2) | instid1(SALU_CYCLE_1)
	v_lshl_or_b32 v41, v41, 4, v84
	ds_add_u32 v41, v95
	s_or_b32 exec_lo, exec_lo, s9
	s_mov_b32 s9, exec_lo
	v_cmpx_gt_u32_e64 s8, v75
	s_cbranch_execz .LBB523_931
.LBB523_946:                            ;   in Loop: Header=BB523_902 Depth=2
	v_xor_b32_e32 v41, 0x7fffffff, v33
	s_delay_alu instid0(VALU_DEP_1) | instskip(NEXT) | instid1(VALU_DEP_1)
	v_lshrrev_b32_e32 v41, s49, v41
	v_and_b32_e32 v41, s48, v41
	s_delay_alu instid0(VALU_DEP_1) | instskip(SKIP_2) | instid1(SALU_CYCLE_1)
	v_lshl_or_b32 v41, v41, 4, v84
	ds_add_u32 v41, v95
	s_or_b32 exec_lo, exec_lo, s9
	s_mov_b32 s9, exec_lo
	v_cmpx_gt_u32_e64 s8, v76
	s_cbranch_execz .LBB523_932
.LBB523_947:                            ;   in Loop: Header=BB523_902 Depth=2
	v_xor_b32_e32 v41, 0x7fffffff, v32
	s_delay_alu instid0(VALU_DEP_1) | instskip(NEXT) | instid1(VALU_DEP_1)
	v_lshrrev_b32_e32 v41, s49, v41
	v_and_b32_e32 v41, s48, v41
	s_delay_alu instid0(VALU_DEP_1) | instskip(SKIP_2) | instid1(SALU_CYCLE_1)
	v_lshl_or_b32 v41, v41, 4, v84
	ds_add_u32 v41, v95
	s_or_b32 exec_lo, exec_lo, s9
	s_mov_b32 s9, exec_lo
	v_cmpx_gt_u32_e64 s8, v77
	s_cbranch_execz .LBB523_933
.LBB523_948:                            ;   in Loop: Header=BB523_902 Depth=2
	v_xor_b32_e32 v41, 0x7fffffff, v31
	s_delay_alu instid0(VALU_DEP_1) | instskip(NEXT) | instid1(VALU_DEP_1)
	v_lshrrev_b32_e32 v41, s49, v41
	v_and_b32_e32 v41, s48, v41
	s_delay_alu instid0(VALU_DEP_1) | instskip(SKIP_2) | instid1(SALU_CYCLE_1)
	v_lshl_or_b32 v41, v41, 4, v84
	ds_add_u32 v41, v95
	s_or_b32 exec_lo, exec_lo, s9
	s_mov_b32 s9, exec_lo
	v_cmpx_gt_u32_e64 s8, v78
	s_cbranch_execz .LBB523_934
.LBB523_949:                            ;   in Loop: Header=BB523_902 Depth=2
	v_xor_b32_e32 v41, 0x7fffffff, v30
	s_delay_alu instid0(VALU_DEP_1) | instskip(NEXT) | instid1(VALU_DEP_1)
	v_lshrrev_b32_e32 v41, s49, v41
	v_and_b32_e32 v41, s48, v41
	s_delay_alu instid0(VALU_DEP_1) | instskip(SKIP_2) | instid1(SALU_CYCLE_1)
	v_lshl_or_b32 v41, v41, 4, v84
	ds_add_u32 v41, v95
	s_or_b32 exec_lo, exec_lo, s9
	s_mov_b32 s9, exec_lo
	v_cmpx_gt_u32_e64 s8, v79
	s_cbranch_execz .LBB523_935
.LBB523_950:                            ;   in Loop: Header=BB523_902 Depth=2
	v_xor_b32_e32 v41, 0x7fffffff, v29
	s_delay_alu instid0(VALU_DEP_1) | instskip(NEXT) | instid1(VALU_DEP_1)
	v_lshrrev_b32_e32 v41, s49, v41
	v_and_b32_e32 v41, s48, v41
	s_delay_alu instid0(VALU_DEP_1) | instskip(SKIP_2) | instid1(SALU_CYCLE_1)
	v_lshl_or_b32 v41, v41, 4, v84
	ds_add_u32 v41, v95
	s_or_b32 exec_lo, exec_lo, s9
	s_mov_b32 s9, exec_lo
	v_cmpx_gt_u32_e64 s8, v80
	s_cbranch_execz .LBB523_936
.LBB523_951:                            ;   in Loop: Header=BB523_902 Depth=2
	v_xor_b32_e32 v41, 0x7fffffff, v28
	s_delay_alu instid0(VALU_DEP_1) | instskip(NEXT) | instid1(VALU_DEP_1)
	v_lshrrev_b32_e32 v41, s49, v41
	v_and_b32_e32 v41, s48, v41
	s_delay_alu instid0(VALU_DEP_1) | instskip(SKIP_2) | instid1(SALU_CYCLE_1)
	v_lshl_or_b32 v41, v41, 4, v84
	ds_add_u32 v41, v95
	s_or_b32 exec_lo, exec_lo, s9
	s_mov_b32 s9, exec_lo
	v_cmpx_gt_u32_e64 s8, v81
	s_cbranch_execz .LBB523_937
.LBB523_952:                            ;   in Loop: Header=BB523_902 Depth=2
	v_xor_b32_e32 v41, 0x7fffffff, v27
	s_delay_alu instid0(VALU_DEP_1) | instskip(NEXT) | instid1(VALU_DEP_1)
	v_lshrrev_b32_e32 v41, s49, v41
	v_and_b32_e32 v41, s48, v41
	s_delay_alu instid0(VALU_DEP_1) | instskip(SKIP_2) | instid1(SALU_CYCLE_1)
	v_lshl_or_b32 v41, v41, 4, v84
	ds_add_u32 v41, v95
	s_or_b32 exec_lo, exec_lo, s9
	s_mov_b32 s9, exec_lo
	v_cmpx_gt_u32_e64 s8, v82
	s_cbranch_execz .LBB523_938
.LBB523_953:                            ;   in Loop: Header=BB523_902 Depth=2
	v_xor_b32_e32 v41, 0x7fffffff, v26
	s_delay_alu instid0(VALU_DEP_1) | instskip(NEXT) | instid1(VALU_DEP_1)
	v_lshrrev_b32_e32 v41, s49, v41
	v_and_b32_e32 v41, s48, v41
	s_delay_alu instid0(VALU_DEP_1)
	v_lshl_or_b32 v41, v41, 4, v84
	ds_add_u32 v41, v95
	s_or_b32 exec_lo, exec_lo, s9
	v_cmp_gt_u32_e32 vcc_lo, s8, v83
	s_and_saveexec_b32 s8, vcc_lo
	s_cbranch_execz .LBB523_901
.LBB523_954:                            ;   in Loop: Header=BB523_902 Depth=2
	v_xor_b32_e32 v41, 0x7fffffff, v25
	s_delay_alu instid0(VALU_DEP_1) | instskip(NEXT) | instid1(VALU_DEP_1)
	v_lshrrev_b32_e32 v41, s49, v41
	v_and_b32_e32 v41, s48, v41
	s_delay_alu instid0(VALU_DEP_1)
	v_lshl_or_b32 v41, v41, 4, v84
	ds_add_u32 v41, v95
	s_branch .LBB523_901
.LBB523_955:                            ;   in Loop: Header=BB523_902 Depth=2
	global_load_b32 v40, v2, s[8:9] scale_offset
	s_wait_xcnt 0x0
	s_or_b32 exec_lo, exec_lo, s11
	s_delay_alu instid0(SALU_CYCLE_1)
	s_mov_b32 s11, exec_lo
	v_cmpx_gt_u32_e64 s7, v3
	s_cbranch_execz .LBB523_907
.LBB523_956:                            ;   in Loop: Header=BB523_902 Depth=2
	global_load_b32 v39, v2, s[8:9] offset:1024 scale_offset
	s_wait_xcnt 0x0
	s_or_b32 exec_lo, exec_lo, s11
	s_delay_alu instid0(SALU_CYCLE_1)
	s_mov_b32 s11, exec_lo
	v_cmpx_gt_u32_e64 s7, v70
	s_cbranch_execz .LBB523_908
.LBB523_957:                            ;   in Loop: Header=BB523_902 Depth=2
	global_load_b32 v38, v2, s[8:9] offset:2048 scale_offset
	s_wait_xcnt 0x0
	s_or_b32 exec_lo, exec_lo, s11
	s_delay_alu instid0(SALU_CYCLE_1)
	s_mov_b32 s11, exec_lo
	v_cmpx_gt_u32_e64 s7, v71
	s_cbranch_execz .LBB523_909
.LBB523_958:                            ;   in Loop: Header=BB523_902 Depth=2
	global_load_b32 v37, v2, s[8:9] offset:3072 scale_offset
	s_wait_xcnt 0x0
	s_or_b32 exec_lo, exec_lo, s11
	s_delay_alu instid0(SALU_CYCLE_1)
	s_mov_b32 s11, exec_lo
	v_cmpx_gt_u32_e64 s7, v72
	s_cbranch_execz .LBB523_910
.LBB523_959:                            ;   in Loop: Header=BB523_902 Depth=2
	global_load_b32 v36, v2, s[8:9] offset:4096 scale_offset
	s_wait_xcnt 0x0
	s_or_b32 exec_lo, exec_lo, s11
	s_delay_alu instid0(SALU_CYCLE_1)
	s_mov_b32 s11, exec_lo
	v_cmpx_gt_u32_e64 s7, v73
	s_cbranch_execz .LBB523_911
.LBB523_960:                            ;   in Loop: Header=BB523_902 Depth=2
	global_load_b32 v35, v2, s[8:9] offset:5120 scale_offset
	s_wait_xcnt 0x0
	s_or_b32 exec_lo, exec_lo, s11
	s_delay_alu instid0(SALU_CYCLE_1)
	s_mov_b32 s11, exec_lo
	v_cmpx_gt_u32_e64 s7, v74
	s_cbranch_execz .LBB523_912
.LBB523_961:                            ;   in Loop: Header=BB523_902 Depth=2
	global_load_b32 v34, v2, s[8:9] offset:6144 scale_offset
	s_wait_xcnt 0x0
	s_or_b32 exec_lo, exec_lo, s11
	s_delay_alu instid0(SALU_CYCLE_1)
	s_mov_b32 s11, exec_lo
	v_cmpx_gt_u32_e64 s7, v75
	s_cbranch_execz .LBB523_913
.LBB523_962:                            ;   in Loop: Header=BB523_902 Depth=2
	global_load_b32 v33, v2, s[8:9] offset:7168 scale_offset
	s_wait_xcnt 0x0
	s_or_b32 exec_lo, exec_lo, s11
	s_delay_alu instid0(SALU_CYCLE_1)
	s_mov_b32 s11, exec_lo
	v_cmpx_gt_u32_e64 s7, v76
	s_cbranch_execz .LBB523_914
.LBB523_963:                            ;   in Loop: Header=BB523_902 Depth=2
	global_load_b32 v32, v2, s[8:9] offset:8192 scale_offset
	s_wait_xcnt 0x0
	s_or_b32 exec_lo, exec_lo, s11
	s_delay_alu instid0(SALU_CYCLE_1)
	s_mov_b32 s11, exec_lo
	v_cmpx_gt_u32_e64 s7, v77
	s_cbranch_execz .LBB523_915
.LBB523_964:                            ;   in Loop: Header=BB523_902 Depth=2
	global_load_b32 v31, v2, s[8:9] offset:9216 scale_offset
	s_wait_xcnt 0x0
	s_or_b32 exec_lo, exec_lo, s11
	s_delay_alu instid0(SALU_CYCLE_1)
	s_mov_b32 s11, exec_lo
	v_cmpx_gt_u32_e64 s7, v78
	s_cbranch_execz .LBB523_916
.LBB523_965:                            ;   in Loop: Header=BB523_902 Depth=2
	global_load_b32 v30, v2, s[8:9] offset:10240 scale_offset
	s_wait_xcnt 0x0
	s_or_b32 exec_lo, exec_lo, s11
	s_delay_alu instid0(SALU_CYCLE_1)
	s_mov_b32 s11, exec_lo
	v_cmpx_gt_u32_e64 s7, v79
	s_cbranch_execz .LBB523_917
.LBB523_966:                            ;   in Loop: Header=BB523_902 Depth=2
	global_load_b32 v29, v2, s[8:9] offset:11264 scale_offset
	s_wait_xcnt 0x0
	s_or_b32 exec_lo, exec_lo, s11
	s_delay_alu instid0(SALU_CYCLE_1)
	s_mov_b32 s11, exec_lo
	v_cmpx_gt_u32_e64 s7, v80
	s_cbranch_execz .LBB523_918
.LBB523_967:                            ;   in Loop: Header=BB523_902 Depth=2
	global_load_b32 v28, v2, s[8:9] offset:12288 scale_offset
	s_wait_xcnt 0x0
	s_or_b32 exec_lo, exec_lo, s11
	s_delay_alu instid0(SALU_CYCLE_1)
	s_mov_b32 s11, exec_lo
	v_cmpx_gt_u32_e64 s7, v81
	s_cbranch_execz .LBB523_919
.LBB523_968:                            ;   in Loop: Header=BB523_902 Depth=2
	global_load_b32 v27, v2, s[8:9] offset:13312 scale_offset
	s_wait_xcnt 0x0
	s_or_b32 exec_lo, exec_lo, s11
	s_delay_alu instid0(SALU_CYCLE_1)
	s_mov_b32 s11, exec_lo
	v_cmpx_gt_u32_e64 s7, v82
	s_cbranch_execz .LBB523_920
.LBB523_969:                            ;   in Loop: Header=BB523_902 Depth=2
	global_load_b32 v26, v2, s[8:9] offset:14336 scale_offset
	s_wait_xcnt 0x0
	s_or_b32 exec_lo, exec_lo, s11
	s_delay_alu instid0(SALU_CYCLE_1)
	s_mov_b32 s11, exec_lo
	v_cmpx_gt_u32_e64 s7, v83
	s_cbranch_execnz .LBB523_921
	s_branch .LBB523_922
.LBB523_970:                            ;   in Loop: Header=BB523_20 Depth=1
	v_mov_b32_e32 v25, 0
	s_wait_dscnt 0x0
	s_barrier_signal -1
	s_barrier_wait -1
	s_and_saveexec_b32 s7, s0
	s_cbranch_execz .LBB523_972
; %bb.971:                              ;   in Loop: Header=BB523_20 Depth=1
	ds_load_2addr_b64 v[26:29], v86 offset1:1
	s_wait_dscnt 0x0
	v_add_nc_u32_e32 v25, v27, v26
	s_delay_alu instid0(VALU_DEP_1)
	v_add3_u32 v25, v25, v28, v29
.LBB523_972:                            ;   in Loop: Header=BB523_20 Depth=1
	s_or_b32 exec_lo, exec_lo, s7
	s_delay_alu instid0(VALU_DEP_1)
	v_mov_b32_dpp v26, v25 row_shr:1 row_mask:0xf bank_mask:0xf
	v_cmp_eq_u32_e64 s7, 0, v96
	v_cmp_lt_u32_e64 s8, 1, v96
	v_cmp_lt_u32_e64 s9, 3, v96
	;; [unrolled: 1-line block ×3, first 2 shown]
	v_cmp_eq_u32_e64 s11, 0, v98
	v_cndmask_b32_e64 v26, v26, 0, s7
	s_delay_alu instid0(VALU_DEP_1) | instskip(NEXT) | instid1(VALU_DEP_1)
	v_add_nc_u32_e32 v25, v26, v25
	v_mov_b32_dpp v26, v25 row_shr:2 row_mask:0xf bank_mask:0xf
	s_delay_alu instid0(VALU_DEP_1) | instskip(NEXT) | instid1(VALU_DEP_1)
	v_cndmask_b32_e64 v26, 0, v26, s8
	v_add_nc_u32_e32 v25, v25, v26
	s_delay_alu instid0(VALU_DEP_1) | instskip(NEXT) | instid1(VALU_DEP_1)
	v_mov_b32_dpp v26, v25 row_shr:4 row_mask:0xf bank_mask:0xf
	v_cndmask_b32_e64 v26, 0, v26, s9
	s_delay_alu instid0(VALU_DEP_1) | instskip(NEXT) | instid1(VALU_DEP_1)
	v_add_nc_u32_e32 v25, v25, v26
	v_mov_b32_dpp v26, v25 row_shr:8 row_mask:0xf bank_mask:0xf
	s_delay_alu instid0(VALU_DEP_1) | instskip(NEXT) | instid1(VALU_DEP_1)
	v_cndmask_b32_e64 v26, 0, v26, s10
	v_add_nc_u32_e32 v25, v25, v26
	ds_swizzle_b32 v26, v25 offset:swizzle(BROADCAST,32,15)
	s_wait_dscnt 0x0
	v_and_b32_e32 v26, v97, v26
	s_delay_alu instid0(VALU_DEP_1)
	v_add_nc_u32_e32 v25, v25, v26
	s_and_saveexec_b32 s12, s1
; %bb.973:                              ;   in Loop: Header=BB523_20 Depth=1
	ds_store_b32 v87, v25
; %bb.974:                              ;   in Loop: Header=BB523_20 Depth=1
	s_or_b32 exec_lo, exec_lo, s12
	s_wait_dscnt 0x0
	s_barrier_signal -1
	s_barrier_wait -1
	s_and_saveexec_b32 s12, s4
	s_cbranch_execz .LBB523_976
; %bb.975:                              ;   in Loop: Header=BB523_20 Depth=1
	ds_load_b32 v26, v88
	v_cmp_ne_u32_e32 vcc_lo, 0, v100
	s_wait_dscnt 0x0
	v_mov_b32_dpp v27, v26 row_shr:1 row_mask:0xf bank_mask:0xf
	s_delay_alu instid0(VALU_DEP_1) | instskip(SKIP_1) | instid1(VALU_DEP_2)
	v_cndmask_b32_e32 v27, 0, v27, vcc_lo
	v_cmp_lt_u32_e32 vcc_lo, 1, v100
	v_add_nc_u32_e32 v26, v27, v26
	s_delay_alu instid0(VALU_DEP_1) | instskip(NEXT) | instid1(VALU_DEP_1)
	v_mov_b32_dpp v27, v26 row_shr:2 row_mask:0xf bank_mask:0xf
	v_cndmask_b32_e32 v27, 0, v27, vcc_lo
	v_cmp_lt_u32_e32 vcc_lo, 3, v100
	s_delay_alu instid0(VALU_DEP_2) | instskip(NEXT) | instid1(VALU_DEP_1)
	v_add_nc_u32_e32 v26, v26, v27
	v_mov_b32_dpp v27, v26 row_shr:4 row_mask:0xf bank_mask:0xf
	s_delay_alu instid0(VALU_DEP_1) | instskip(NEXT) | instid1(VALU_DEP_1)
	v_cndmask_b32_e32 v27, 0, v27, vcc_lo
	v_add_nc_u32_e32 v26, v26, v27
	ds_store_b32 v88, v26
.LBB523_976:                            ;   in Loop: Header=BB523_20 Depth=1
	s_or_b32 exec_lo, exec_lo, s12
	v_mov_b32_e32 v26, 0
	s_wait_dscnt 0x0
	s_barrier_signal -1
	s_barrier_wait -1
	s_and_saveexec_b32 s12, s5
; %bb.977:                              ;   in Loop: Header=BB523_20 Depth=1
	ds_load_b32 v26, v89
; %bb.978:                              ;   in Loop: Header=BB523_20 Depth=1
	s_or_b32 exec_lo, exec_lo, s12
	v_cmp_gt_i32_e32 vcc_lo, 0, v101
	s_wait_dscnt 0x0
	s_barrier_signal -1
	s_barrier_wait -1
	v_dual_cndmask_b32 v27, v101, v94, vcc_lo :: v_dual_add_nc_u32 v25, v26, v25
	s_delay_alu instid0(VALU_DEP_1)
	v_lshlrev_b32_e32 v120, 2, v27
	ds_bpermute_b32 v25, v120, v25
	s_and_saveexec_b32 s12, s0
	s_cbranch_execz .LBB523_980
; %bb.979:                              ;   in Loop: Header=BB523_20 Depth=1
	s_wait_dscnt 0x0
	v_cndmask_b32_e64 v25, v25, v26, s6
	s_delay_alu instid0(VALU_DEP_1)
	v_add_nc_u32_e32 v25, s52, v25
	ds_store_b32 v4, v25
.LBB523_980:                            ;   in Loop: Header=BB523_20 Depth=1
	s_or_b32 exec_lo, exec_lo, s12
	s_load_b64 s[12:13], s[34:35], 0x0
	s_mov_b32 s55, s54
                                        ; implicit-def: $vgpr32_vgpr33
                                        ; implicit-def: $vgpr34_vgpr35
                                        ; implicit-def: $vgpr36_vgpr37
                                        ; implicit-def: $vgpr38_vgpr39
                                        ; implicit-def: $vgpr40_vgpr41
                                        ; implicit-def: $vgpr42_vgpr43
                                        ; implicit-def: $vgpr44_vgpr45
                                        ; implicit-def: $vgpr46_vgpr47
                                        ; implicit-def: $vgpr48_vgpr49
                                        ; implicit-def: $vgpr50_vgpr51
                                        ; implicit-def: $vgpr52_vgpr53
                                        ; implicit-def: $vgpr54_vgpr55
                                        ; implicit-def: $vgpr56_vgpr57
                                        ; implicit-def: $vgpr58_vgpr59
                                        ; implicit-def: $vgpr60_vgpr61
                                        ; implicit-def: $vgpr121
                                        ; implicit-def: $vgpr122
                                        ; implicit-def: $vgpr123
                                        ; implicit-def: $vgpr124
                                        ; implicit-def: $vgpr125
                                        ; implicit-def: $vgpr126
                                        ; implicit-def: $vgpr127
                                        ; implicit-def: $vgpr128
                                        ; implicit-def: $vgpr129
                                        ; implicit-def: $vgpr130
                                        ; implicit-def: $vgpr131
                                        ; implicit-def: $vgpr132
                                        ; implicit-def: $vgpr133
                                        ; implicit-def: $vgpr134
                                        ; implicit-def: $vgpr135
                                        ; implicit-def: $vgpr136
	s_wait_kmcnt 0x0
	s_cmp_lt_u32 s33, s12
	s_cselect_b32 s30, 12, 18
	s_cmp_lt_u32 s42, s13
	s_mov_b32 s13, s31
	s_cselect_b32 s12, 14, 20
	s_delay_alu instid0(SALU_CYCLE_1)
	s_add_nc_u64 s[12:13], s[34:35], s[12:13]
	s_load_u16 s14, s[12:13], 0x0
	s_wait_xcnt 0x0
	s_add_nc_u64 s[12:13], s[34:35], s[30:31]
	s_mov_b32 s30, s52
	s_load_u16 s12, s[12:13], 0x0
	s_wait_xcnt 0x0
	v_cmp_lt_u32_e64 s13, 1, v100
	s_wait_dscnt 0x0
	s_wait_kmcnt 0x0
	v_mad_u32_u24 v25, v90, s14, v92
	v_cmp_lt_u32_e64 s14, 3, v100
	s_delay_alu instid0(VALU_DEP_2) | instskip(SKIP_2) | instid1(VALU_DEP_3)
	v_mad_u32 v26, v25, s12, v2
	v_mov_b32_e32 v25, v1
	v_cmp_eq_u32_e64 s12, 0, v100
	v_lshrrev_b32_e32 v30, 3, v26
	v_add_nc_u64_e32 v[26:27], v[14:15], v[0:1]
	s_delay_alu instid0(VALU_DEP_4) | instskip(NEXT) | instid1(VALU_DEP_3)
	v_add_nc_u64_e32 v[28:29], v[16:17], v[24:25]
	v_and_b32_e32 v25, 0x1ffffffc, v30
                                        ; implicit-def: $vgpr30_vgpr31
	s_branch .LBB523_982
.LBB523_981:                            ;   in Loop: Header=BB523_982 Depth=2
	s_or_b32 exec_lo, exec_lo, s15
	s_addk_co_i32 s55, 0xf000
	s_cmp_lt_u32 s56, s51
	s_mov_b32 s30, s56
	s_cbranch_scc0 .LBB523_18
.LBB523_982:                            ;   Parent Loop BB523_20 Depth=1
                                        ; =>  This Inner Loop Header: Depth=2
	s_add_co_i32 s56, s30, 0x1000
	s_delay_alu instid0(SALU_CYCLE_1)
	s_cmp_gt_u32 s56, s51
	s_cbranch_scc1 .LBB523_984
; %bb.983:                              ;   in Loop: Header=BB523_982 Depth=2
	s_delay_alu instid0(VALU_DEP_2)
	v_lshl_add_u64 v[62:63], s[30:31], 2, v[28:29]
	s_mov_b32 s15, -1
	s_clause 0xe
	global_load_b32 v139, v[62:63], off
	global_load_b32 v140, v[62:63], off offset:128
	global_load_b32 v143, v[62:63], off offset:256
	;; [unrolled: 1-line block ×14, first 2 shown]
	s_movk_i32 s16, 0x1000
	s_cbranch_execz .LBB523_985
	s_branch .LBB523_1016
.LBB523_984:                            ;   in Loop: Header=BB523_982 Depth=2
	s_mov_b32 s15, 0
                                        ; implicit-def: $vgpr139
                                        ; implicit-def: $vgpr140
                                        ; implicit-def: $vgpr143
                                        ; implicit-def: $vgpr147
                                        ; implicit-def: $vgpr151
                                        ; implicit-def: $vgpr155
                                        ; implicit-def: $vgpr159
                                        ; implicit-def: $vgpr163
                                        ; implicit-def: $vgpr167
                                        ; implicit-def: $vgpr69
                                        ; implicit-def: $vgpr68
                                        ; implicit-def: $vgpr67
                                        ; implicit-def: $vgpr66
                                        ; implicit-def: $vgpr65
                                        ; implicit-def: $vgpr64
	s_movk_i32 s16, 0x1000
.LBB523_985:                            ;   in Loop: Header=BB523_982 Depth=2
	s_wait_xcnt 0x0
	v_lshl_add_u64 v[62:63], s[30:31], 2, v[28:29]
	s_wait_loadcnt 0xd
	v_bfrev_b32_e32 v140, 1
	v_bfrev_b32_e32 v139, 1
	s_mov_b32 s15, exec_lo
	v_cmpx_gt_u32_e64 s55, v99
	s_cbranch_execz .LBB523_987
; %bb.986:                              ;   in Loop: Header=BB523_982 Depth=2
	global_load_b32 v139, v[62:63], off
.LBB523_987:                            ;   in Loop: Header=BB523_982 Depth=2
	s_wait_xcnt 0x0
	s_or_b32 exec_lo, exec_lo, s15
	s_delay_alu instid0(SALU_CYCLE_1)
	s_mov_b32 s15, exec_lo
	v_cmpx_gt_u32_e64 s55, v102
	s_cbranch_execz .LBB523_989
; %bb.988:                              ;   in Loop: Header=BB523_982 Depth=2
	global_load_b32 v140, v[62:63], off offset:128
.LBB523_989:                            ;   in Loop: Header=BB523_982 Depth=2
	s_wait_xcnt 0x0
	s_or_b32 exec_lo, exec_lo, s15
	s_wait_loadcnt 0xb
	v_bfrev_b32_e32 v147, 1
	v_bfrev_b32_e32 v143, 1
	s_mov_b32 s15, exec_lo
	v_cmpx_gt_u32_e64 s55, v103
	s_cbranch_execz .LBB523_991
; %bb.990:                              ;   in Loop: Header=BB523_982 Depth=2
	global_load_b32 v143, v[62:63], off offset:256
.LBB523_991:                            ;   in Loop: Header=BB523_982 Depth=2
	s_wait_xcnt 0x0
	s_or_b32 exec_lo, exec_lo, s15
	s_delay_alu instid0(SALU_CYCLE_1)
	s_mov_b32 s15, exec_lo
	v_cmpx_gt_u32_e64 s55, v104
	s_cbranch_execz .LBB523_993
; %bb.992:                              ;   in Loop: Header=BB523_982 Depth=2
	global_load_b32 v147, v[62:63], off offset:384
.LBB523_993:                            ;   in Loop: Header=BB523_982 Depth=2
	s_wait_xcnt 0x0
	s_or_b32 exec_lo, exec_lo, s15
	s_wait_loadcnt 0x9
	v_bfrev_b32_e32 v155, 1
	v_bfrev_b32_e32 v151, 1
	s_mov_b32 s15, exec_lo
	v_cmpx_gt_u32_e64 s55, v105
	s_cbranch_execz .LBB523_995
; %bb.994:                              ;   in Loop: Header=BB523_982 Depth=2
	global_load_b32 v151, v[62:63], off offset:512
.LBB523_995:                            ;   in Loop: Header=BB523_982 Depth=2
	;; [unrolled: 20-line block ×3, first 2 shown]
	s_wait_xcnt 0x0
	s_or_b32 exec_lo, exec_lo, s15
	s_delay_alu instid0(SALU_CYCLE_1)
	s_mov_b32 s15, exec_lo
	v_cmpx_gt_u32_e64 s55, v108
	s_cbranch_execz .LBB523_1001
; %bb.1000:                             ;   in Loop: Header=BB523_982 Depth=2
	global_load_b32 v163, v[62:63], off offset:896
.LBB523_1001:                           ;   in Loop: Header=BB523_982 Depth=2
	s_wait_xcnt 0x0
	s_or_b32 exec_lo, exec_lo, s15
	s_wait_loadcnt 0x5
	v_bfrev_b32_e32 v69, 1
	v_bfrev_b32_e32 v167, 1
	s_mov_b32 s15, exec_lo
	v_cmpx_gt_u32_e64 s55, v109
	s_cbranch_execz .LBB523_1003
; %bb.1002:                             ;   in Loop: Header=BB523_982 Depth=2
	global_load_b32 v167, v[62:63], off offset:1024
.LBB523_1003:                           ;   in Loop: Header=BB523_982 Depth=2
	s_wait_xcnt 0x0
	s_or_b32 exec_lo, exec_lo, s15
	s_delay_alu instid0(SALU_CYCLE_1)
	s_mov_b32 s15, exec_lo
	v_cmpx_gt_u32_e64 s55, v110
	s_cbranch_execz .LBB523_1005
; %bb.1004:                             ;   in Loop: Header=BB523_982 Depth=2
	global_load_b32 v69, v[62:63], off offset:1152
.LBB523_1005:                           ;   in Loop: Header=BB523_982 Depth=2
	s_wait_xcnt 0x0
	s_or_b32 exec_lo, exec_lo, s15
	s_wait_loadcnt 0x3
	v_bfrev_b32_e32 v67, 1
	v_bfrev_b32_e32 v68, 1
	s_mov_b32 s15, exec_lo
	v_cmpx_gt_u32_e64 s55, v111
	s_cbranch_execz .LBB523_1007
; %bb.1006:                             ;   in Loop: Header=BB523_982 Depth=2
	global_load_b32 v68, v[62:63], off offset:1280
.LBB523_1007:                           ;   in Loop: Header=BB523_982 Depth=2
	;; [unrolled: 20-line block ×3, first 2 shown]
	s_wait_xcnt 0x0
	s_or_b32 exec_lo, exec_lo, s15
	s_delay_alu instid0(SALU_CYCLE_1)
	s_mov_b32 s15, exec_lo
	v_cmpx_gt_u32_e64 s55, v114
	s_cbranch_execz .LBB523_1013
; %bb.1012:                             ;   in Loop: Header=BB523_982 Depth=2
	global_load_b32 v65, v[62:63], off offset:1664
.LBB523_1013:                           ;   in Loop: Header=BB523_982 Depth=2
	s_wait_xcnt 0x0
	s_or_b32 exec_lo, exec_lo, s15
	s_wait_loadcnt 0x0
	v_bfrev_b32_e32 v64, 1
	s_mov_b32 s15, exec_lo
	v_cmpx_gt_u32_e64 s55, v115
	s_cbranch_execz .LBB523_1015
; %bb.1014:                             ;   in Loop: Header=BB523_982 Depth=2
	global_load_b32 v64, v[62:63], off offset:1792
.LBB523_1015:                           ;   in Loop: Header=BB523_982 Depth=2
	s_wait_xcnt 0x0
	s_or_b32 exec_lo, exec_lo, s15
	v_cmp_gt_u32_e64 s15, s55, v116
	s_sub_co_i32 s16, s51, s30
.LBB523_1016:                           ;   in Loop: Header=BB523_982 Depth=2
	v_dual_mov_b32 v138, -1 :: v_dual_mov_b32 v137, s55
	s_wait_xcnt 0x0
	s_and_saveexec_b32 s17, s15
	s_cbranch_execz .LBB523_1018
; %bb.1017:                             ;   in Loop: Header=BB523_982 Depth=2
	v_lshl_add_u64 v[62:63], s[30:31], 2, v[28:29]
	v_mov_b32_e32 v137, s16
	global_load_b32 v62, v[62:63], off offset:1920
	s_wait_loadcnt 0x0
	v_xor_b32_e32 v138, 0x7fffffff, v62
.LBB523_1018:                           ;   in Loop: Header=BB523_982 Depth=2
	s_wait_xcnt 0x0
	s_or_b32 exec_lo, exec_lo, s17
	s_wait_loadcnt 0xe
	v_xor_b32_e32 v139, 0x7fffffff, v139
	ds_store_2addr_b32 v5, v1, v1 offset1:1
	ds_store_2addr_b32 v117, v1, v1 offset1:1
	;; [unrolled: 1-line block ×4, first 2 shown]
	ds_store_b32 v91, v1 offset:1088
	s_wait_loadcnt_dscnt 0x0
	s_barrier_signal -1
	v_lshrrev_b32_e32 v62, s49, v139
	s_barrier_wait -1
	; wave barrier
	s_delay_alu instid0(VALU_DEP_1) | instskip(NEXT) | instid1(VALU_DEP_1)
	v_and_b32_e32 v142, s48, v62
	v_lshlrev_b32_e32 v141, 30, v142
	v_bitop3_b32 v63, v62, 1, s48 bitop3:0x80
	s_delay_alu instid0(VALU_DEP_1) | instskip(NEXT) | instid1(VALU_DEP_1)
	v_add_co_u32 v62, s15, v63, -1
	v_cndmask_b32_e64 v63, 0, 1, s15
	s_delay_alu instid0(VALU_DEP_4) | instskip(NEXT) | instid1(VALU_DEP_2)
	v_cmp_gt_i32_e64 s15, 0, v141
	v_cmp_ne_u32_e32 vcc_lo, 0, v63
	v_not_b32_e32 v63, v141
	s_delay_alu instid0(VALU_DEP_1) | instskip(SKIP_3) | instid1(VALU_DEP_4)
	v_dual_ashrrev_i32 v63, 31, v63 :: v_dual_lshlrev_b32 v144, 29, v142
	v_dual_lshlrev_b32 v145, 28, v142 :: v_dual_lshlrev_b32 v146, 27, v142
	v_dual_lshlrev_b32 v148, 26, v142 :: v_dual_lshlrev_b32 v149, 25, v142
	v_lshlrev_b32_e32 v150, 24, v142
	v_cmp_gt_i32_e64 s16, 0, v144
	v_not_b32_e32 v141, v144
	v_not_b32_e32 v144, v145
	v_cmp_gt_i32_e64 s17, 0, v145
	v_cmp_gt_i32_e64 s18, 0, v146
	v_not_b32_e32 v145, v146
	v_not_b32_e32 v146, v148
	v_dual_ashrrev_i32 v141, 31, v141 :: v_dual_bitop2_b32 v62, vcc_lo, v62 bitop3:0x14
	v_dual_ashrrev_i32 v144, 31, v144 :: v_dual_bitop2_b32 v63, s15, v63 bitop3:0x14
	v_cmp_gt_i32_e64 s19, 0, v148
	v_not_b32_e32 v148, v149
	s_delay_alu instid0(VALU_DEP_3)
	v_dual_ashrrev_i32 v145, 31, v145 :: v_dual_bitop2_b32 v144, s17, v144 bitop3:0x14
	v_dual_ashrrev_i32 v146, 31, v146 :: v_dual_bitop2_b32 v141, s16, v141 bitop3:0x14
	v_bitop3_b32 v62, v62, v63, exec_lo bitop3:0x80
	v_not_b32_e32 v63, v150
	v_cmp_gt_i32_e64 s20, 0, v149
	v_dual_ashrrev_i32 v148, 31, v148 :: v_dual_bitop2_b32 v145, s18, v145 bitop3:0x14
	s_delay_alu instid0(VALU_DEP_4) | instskip(SKIP_2) | instid1(VALU_DEP_4)
	v_bitop3_b32 v62, v62, v144, v141 bitop3:0x80
	v_cmp_gt_i32_e32 vcc_lo, 0, v150
	v_dual_ashrrev_i32 v63, 31, v63 :: v_dual_bitop2_b32 v141, s19, v146 bitop3:0x14
	v_xor_b32_e32 v144, s20, v148
	s_delay_alu instid0(VALU_DEP_2) | instskip(NEXT) | instid1(VALU_DEP_3)
	v_xor_b32_e32 v63, vcc_lo, v63
	v_bitop3_b32 v62, v62, v141, v145 bitop3:0x80
	s_delay_alu instid0(VALU_DEP_1) | instskip(SKIP_1) | instid1(VALU_DEP_2)
	v_bitop3_b32 v62, v62, v63, v144 bitop3:0x80
	v_mul_u32_u24_e32 v63, 36, v142
	v_mbcnt_lo_u32_b32 v141, v62, 0
	v_cmp_ne_u32_e64 s15, 0, v62
	s_delay_alu instid0(VALU_DEP_3) | instskip(NEXT) | instid1(VALU_DEP_3)
	v_add_nc_u32_e32 v142, v25, v63
	v_cmp_eq_u32_e32 vcc_lo, 0, v141
	s_and_b32 s16, s15, vcc_lo
	s_delay_alu instid0(SALU_CYCLE_1)
	s_and_saveexec_b32 s15, s16
; %bb.1019:                             ;   in Loop: Header=BB523_982 Depth=2
	v_bcnt_u32_b32 v62, v62, 0
	ds_store_b32 v142, v62 offset:1056
; %bb.1020:                             ;   in Loop: Header=BB523_982 Depth=2
	s_or_b32 exec_lo, exec_lo, s15
	v_xor_b32_e32 v140, 0x7fffffff, v140
	; wave barrier
	s_delay_alu instid0(VALU_DEP_1) | instskip(NEXT) | instid1(VALU_DEP_1)
	v_lshrrev_b32_e32 v62, s49, v140
	v_and_b32_e32 v146, s48, v62
	s_delay_alu instid0(VALU_DEP_1) | instskip(SKIP_1) | instid1(VALU_DEP_1)
	v_lshlrev_b32_e32 v144, 30, v146
	v_bitop3_b32 v63, v62, 1, s48 bitop3:0x80
	v_add_co_u32 v62, s15, v63, -1
	s_delay_alu instid0(VALU_DEP_1) | instskip(NEXT) | instid1(VALU_DEP_4)
	v_cndmask_b32_e64 v63, 0, 1, s15
	v_cmp_gt_i32_e64 s15, 0, v144
	s_delay_alu instid0(VALU_DEP_2) | instskip(SKIP_1) | instid1(VALU_DEP_1)
	v_cmp_ne_u32_e32 vcc_lo, 0, v63
	v_not_b32_e32 v63, v144
	v_dual_ashrrev_i32 v63, 31, v63 :: v_dual_lshlrev_b32 v145, 29, v146
	v_dual_lshlrev_b32 v148, 28, v146 :: v_dual_lshlrev_b32 v149, 27, v146
	v_dual_lshlrev_b32 v150, 26, v146 :: v_dual_lshlrev_b32 v152, 25, v146
	v_lshlrev_b32_e32 v153, 24, v146
	s_delay_alu instid0(VALU_DEP_4)
	v_cmp_gt_i32_e64 s16, 0, v145
	v_not_b32_e32 v144, v145
	v_not_b32_e32 v145, v148
	v_cmp_gt_i32_e64 s17, 0, v148
	v_cmp_gt_i32_e64 s18, 0, v149
	v_not_b32_e32 v148, v149
	v_not_b32_e32 v149, v150
	v_dual_ashrrev_i32 v144, 31, v144 :: v_dual_bitop2_b32 v62, vcc_lo, v62 bitop3:0x14
	v_dual_ashrrev_i32 v145, 31, v145 :: v_dual_bitop2_b32 v63, s15, v63 bitop3:0x14
	v_cmp_gt_i32_e64 s19, 0, v150
	s_delay_alu instid0(VALU_DEP_4) | instskip(SKIP_1) | instid1(VALU_DEP_4)
	v_dual_ashrrev_i32 v148, 31, v148 :: v_dual_ashrrev_i32 v149, 31, v149
	v_not_b32_e32 v150, v153
	v_xor_b32_e32 v145, s17, v145
	v_bitop3_b32 v62, v62, v63, exec_lo bitop3:0x80
	v_not_b32_e32 v63, v152
	v_xor_b32_e32 v144, s16, v144
	v_cmp_gt_i32_e64 s20, 0, v152
	v_xor_b32_e32 v148, s18, v148
	s_delay_alu instid0(VALU_DEP_4) | instskip(NEXT) | instid1(VALU_DEP_4)
	v_dual_ashrrev_i32 v63, 31, v63 :: v_dual_bitop2_b32 v149, s19, v149 bitop3:0x14
	v_bitop3_b32 v62, v62, v145, v144 bitop3:0x80
	v_cmp_gt_i32_e32 vcc_lo, 0, v153
	v_ashrrev_i32_e32 v144, 31, v150
	v_mad_u32_u24 v145, v146, 36, v25
	v_xor_b32_e32 v63, s20, v63
	v_bitop3_b32 v62, v62, v149, v148 bitop3:0x80
	s_delay_alu instid0(VALU_DEP_4) | instskip(SKIP_3) | instid1(VALU_DEP_2)
	v_xor_b32_e32 v148, vcc_lo, v144
	ds_load_b32 v144, v145 offset:1056
	; wave barrier
	v_bitop3_b32 v62, v62, v148, v63 bitop3:0x80
	v_mul_u32_u24_e32 v63, 36, v146
	v_mbcnt_lo_u32_b32 v145, v62, 0
	v_cmp_ne_u32_e64 s15, 0, v62
	s_delay_alu instid0(VALU_DEP_3) | instskip(NEXT) | instid1(VALU_DEP_3)
	v_add_nc_u32_e32 v146, v25, v63
	v_cmp_eq_u32_e32 vcc_lo, 0, v145
	s_and_b32 s16, s15, vcc_lo
	s_delay_alu instid0(SALU_CYCLE_1)
	s_and_saveexec_b32 s15, s16
	s_cbranch_execz .LBB523_1022
; %bb.1021:                             ;   in Loop: Header=BB523_982 Depth=2
	s_wait_dscnt 0x0
	v_bcnt_u32_b32 v62, v62, v144
	ds_store_b32 v146, v62 offset:1056
.LBB523_1022:                           ;   in Loop: Header=BB523_982 Depth=2
	s_or_b32 exec_lo, exec_lo, s15
	v_xor_b32_e32 v143, 0x7fffffff, v143
	; wave barrier
	s_delay_alu instid0(VALU_DEP_1) | instskip(NEXT) | instid1(VALU_DEP_1)
	v_lshrrev_b32_e32 v62, s49, v143
	v_and_b32_e32 v150, s48, v62
	s_delay_alu instid0(VALU_DEP_1) | instskip(SKIP_1) | instid1(VALU_DEP_1)
	v_lshlrev_b32_e32 v148, 30, v150
	v_bitop3_b32 v63, v62, 1, s48 bitop3:0x80
	v_add_co_u32 v62, s15, v63, -1
	s_delay_alu instid0(VALU_DEP_1) | instskip(NEXT) | instid1(VALU_DEP_4)
	v_cndmask_b32_e64 v63, 0, 1, s15
	v_cmp_gt_i32_e64 s15, 0, v148
	s_delay_alu instid0(VALU_DEP_2) | instskip(SKIP_1) | instid1(VALU_DEP_1)
	v_cmp_ne_u32_e32 vcc_lo, 0, v63
	v_not_b32_e32 v63, v148
	v_dual_ashrrev_i32 v63, 31, v63 :: v_dual_lshlrev_b32 v149, 29, v150
	v_dual_lshlrev_b32 v152, 28, v150 :: v_dual_lshlrev_b32 v153, 27, v150
	v_dual_lshlrev_b32 v154, 26, v150 :: v_dual_lshlrev_b32 v156, 25, v150
	v_lshlrev_b32_e32 v157, 24, v150
	s_delay_alu instid0(VALU_DEP_4)
	v_cmp_gt_i32_e64 s16, 0, v149
	v_not_b32_e32 v148, v149
	v_not_b32_e32 v149, v152
	v_cmp_gt_i32_e64 s17, 0, v152
	v_cmp_gt_i32_e64 s18, 0, v153
	v_not_b32_e32 v152, v153
	v_not_b32_e32 v153, v154
	v_dual_ashrrev_i32 v148, 31, v148 :: v_dual_bitop2_b32 v62, vcc_lo, v62 bitop3:0x14
	v_dual_ashrrev_i32 v149, 31, v149 :: v_dual_bitop2_b32 v63, s15, v63 bitop3:0x14
	v_cmp_gt_i32_e64 s19, 0, v154
	s_delay_alu instid0(VALU_DEP_4) | instskip(SKIP_1) | instid1(VALU_DEP_4)
	v_dual_ashrrev_i32 v152, 31, v152 :: v_dual_ashrrev_i32 v153, 31, v153
	v_not_b32_e32 v154, v157
	v_xor_b32_e32 v149, s17, v149
	v_bitop3_b32 v62, v62, v63, exec_lo bitop3:0x80
	v_not_b32_e32 v63, v156
	v_xor_b32_e32 v148, s16, v148
	v_cmp_gt_i32_e64 s20, 0, v156
	v_xor_b32_e32 v152, s18, v152
	s_delay_alu instid0(VALU_DEP_4) | instskip(NEXT) | instid1(VALU_DEP_4)
	v_dual_ashrrev_i32 v63, 31, v63 :: v_dual_bitop2_b32 v153, s19, v153 bitop3:0x14
	v_bitop3_b32 v62, v62, v149, v148 bitop3:0x80
	v_cmp_gt_i32_e32 vcc_lo, 0, v157
	v_ashrrev_i32_e32 v148, 31, v154
	v_mad_u32_u24 v149, v150, 36, v25
	v_xor_b32_e32 v63, s20, v63
	v_bitop3_b32 v62, v62, v153, v152 bitop3:0x80
	s_delay_alu instid0(VALU_DEP_4) | instskip(SKIP_3) | instid1(VALU_DEP_2)
	v_xor_b32_e32 v152, vcc_lo, v148
	ds_load_b32 v148, v149 offset:1056
	; wave barrier
	v_bitop3_b32 v62, v62, v152, v63 bitop3:0x80
	v_mul_u32_u24_e32 v63, 36, v150
	v_mbcnt_lo_u32_b32 v149, v62, 0
	v_cmp_ne_u32_e64 s15, 0, v62
	s_delay_alu instid0(VALU_DEP_3) | instskip(NEXT) | instid1(VALU_DEP_3)
	v_add_nc_u32_e32 v150, v25, v63
	v_cmp_eq_u32_e32 vcc_lo, 0, v149
	s_and_b32 s16, s15, vcc_lo
	s_delay_alu instid0(SALU_CYCLE_1)
	s_and_saveexec_b32 s15, s16
	s_cbranch_execz .LBB523_1024
; %bb.1023:                             ;   in Loop: Header=BB523_982 Depth=2
	s_wait_dscnt 0x0
	v_bcnt_u32_b32 v62, v62, v148
	ds_store_b32 v150, v62 offset:1056
.LBB523_1024:                           ;   in Loop: Header=BB523_982 Depth=2
	s_or_b32 exec_lo, exec_lo, s15
	v_xor_b32_e32 v147, 0x7fffffff, v147
	; wave barrier
	s_delay_alu instid0(VALU_DEP_1) | instskip(NEXT) | instid1(VALU_DEP_1)
	v_lshrrev_b32_e32 v62, s49, v147
	v_and_b32_e32 v154, s48, v62
	s_delay_alu instid0(VALU_DEP_1) | instskip(SKIP_1) | instid1(VALU_DEP_1)
	v_lshlrev_b32_e32 v152, 30, v154
	v_bitop3_b32 v63, v62, 1, s48 bitop3:0x80
	v_add_co_u32 v62, s15, v63, -1
	s_delay_alu instid0(VALU_DEP_1) | instskip(NEXT) | instid1(VALU_DEP_4)
	v_cndmask_b32_e64 v63, 0, 1, s15
	v_cmp_gt_i32_e64 s15, 0, v152
	s_delay_alu instid0(VALU_DEP_2) | instskip(SKIP_1) | instid1(VALU_DEP_1)
	v_cmp_ne_u32_e32 vcc_lo, 0, v63
	v_not_b32_e32 v63, v152
	v_dual_ashrrev_i32 v63, 31, v63 :: v_dual_lshlrev_b32 v153, 29, v154
	v_dual_lshlrev_b32 v156, 28, v154 :: v_dual_lshlrev_b32 v157, 27, v154
	v_dual_lshlrev_b32 v158, 26, v154 :: v_dual_lshlrev_b32 v160, 25, v154
	v_lshlrev_b32_e32 v161, 24, v154
	s_delay_alu instid0(VALU_DEP_4)
	v_cmp_gt_i32_e64 s16, 0, v153
	v_not_b32_e32 v152, v153
	v_not_b32_e32 v153, v156
	v_cmp_gt_i32_e64 s17, 0, v156
	v_cmp_gt_i32_e64 s18, 0, v157
	v_not_b32_e32 v156, v157
	v_not_b32_e32 v157, v158
	v_dual_ashrrev_i32 v152, 31, v152 :: v_dual_bitop2_b32 v62, vcc_lo, v62 bitop3:0x14
	v_dual_ashrrev_i32 v153, 31, v153 :: v_dual_bitop2_b32 v63, s15, v63 bitop3:0x14
	v_cmp_gt_i32_e64 s19, 0, v158
	s_delay_alu instid0(VALU_DEP_4) | instskip(SKIP_1) | instid1(VALU_DEP_4)
	v_dual_ashrrev_i32 v156, 31, v156 :: v_dual_ashrrev_i32 v157, 31, v157
	v_not_b32_e32 v158, v161
	v_xor_b32_e32 v153, s17, v153
	v_bitop3_b32 v62, v62, v63, exec_lo bitop3:0x80
	v_not_b32_e32 v63, v160
	v_xor_b32_e32 v152, s16, v152
	v_cmp_gt_i32_e64 s20, 0, v160
	v_xor_b32_e32 v156, s18, v156
	s_delay_alu instid0(VALU_DEP_4) | instskip(NEXT) | instid1(VALU_DEP_4)
	v_dual_ashrrev_i32 v63, 31, v63 :: v_dual_bitop2_b32 v157, s19, v157 bitop3:0x14
	v_bitop3_b32 v62, v62, v153, v152 bitop3:0x80
	v_cmp_gt_i32_e32 vcc_lo, 0, v161
	v_ashrrev_i32_e32 v152, 31, v158
	v_mad_u32_u24 v153, v154, 36, v25
	v_xor_b32_e32 v63, s20, v63
	v_bitop3_b32 v62, v62, v157, v156 bitop3:0x80
	s_delay_alu instid0(VALU_DEP_4) | instskip(SKIP_3) | instid1(VALU_DEP_2)
	v_xor_b32_e32 v156, vcc_lo, v152
	ds_load_b32 v152, v153 offset:1056
	; wave barrier
	v_bitop3_b32 v62, v62, v156, v63 bitop3:0x80
	v_mul_u32_u24_e32 v63, 36, v154
	v_mbcnt_lo_u32_b32 v153, v62, 0
	v_cmp_ne_u32_e64 s15, 0, v62
	s_delay_alu instid0(VALU_DEP_3) | instskip(NEXT) | instid1(VALU_DEP_3)
	v_add_nc_u32_e32 v154, v25, v63
	v_cmp_eq_u32_e32 vcc_lo, 0, v153
	s_and_b32 s16, s15, vcc_lo
	s_delay_alu instid0(SALU_CYCLE_1)
	s_and_saveexec_b32 s15, s16
	s_cbranch_execz .LBB523_1026
; %bb.1025:                             ;   in Loop: Header=BB523_982 Depth=2
	s_wait_dscnt 0x0
	v_bcnt_u32_b32 v62, v62, v152
	ds_store_b32 v154, v62 offset:1056
.LBB523_1026:                           ;   in Loop: Header=BB523_982 Depth=2
	s_or_b32 exec_lo, exec_lo, s15
	v_xor_b32_e32 v151, 0x7fffffff, v151
	; wave barrier
	s_delay_alu instid0(VALU_DEP_1) | instskip(NEXT) | instid1(VALU_DEP_1)
	v_lshrrev_b32_e32 v62, s49, v151
	v_and_b32_e32 v158, s48, v62
	s_delay_alu instid0(VALU_DEP_1) | instskip(SKIP_1) | instid1(VALU_DEP_1)
	v_lshlrev_b32_e32 v156, 30, v158
	v_bitop3_b32 v63, v62, 1, s48 bitop3:0x80
	v_add_co_u32 v62, s15, v63, -1
	s_delay_alu instid0(VALU_DEP_1) | instskip(NEXT) | instid1(VALU_DEP_4)
	v_cndmask_b32_e64 v63, 0, 1, s15
	v_cmp_gt_i32_e64 s15, 0, v156
	s_delay_alu instid0(VALU_DEP_2) | instskip(SKIP_1) | instid1(VALU_DEP_1)
	v_cmp_ne_u32_e32 vcc_lo, 0, v63
	v_not_b32_e32 v63, v156
	v_dual_ashrrev_i32 v63, 31, v63 :: v_dual_lshlrev_b32 v157, 29, v158
	v_dual_lshlrev_b32 v160, 28, v158 :: v_dual_lshlrev_b32 v161, 27, v158
	v_dual_lshlrev_b32 v162, 26, v158 :: v_dual_lshlrev_b32 v164, 25, v158
	v_lshlrev_b32_e32 v165, 24, v158
	s_delay_alu instid0(VALU_DEP_4)
	v_cmp_gt_i32_e64 s16, 0, v157
	v_not_b32_e32 v156, v157
	v_not_b32_e32 v157, v160
	v_cmp_gt_i32_e64 s17, 0, v160
	v_cmp_gt_i32_e64 s18, 0, v161
	v_not_b32_e32 v160, v161
	v_not_b32_e32 v161, v162
	v_dual_ashrrev_i32 v156, 31, v156 :: v_dual_bitop2_b32 v62, vcc_lo, v62 bitop3:0x14
	v_dual_ashrrev_i32 v157, 31, v157 :: v_dual_bitop2_b32 v63, s15, v63 bitop3:0x14
	v_cmp_gt_i32_e64 s19, 0, v162
	s_delay_alu instid0(VALU_DEP_4) | instskip(SKIP_1) | instid1(VALU_DEP_4)
	v_dual_ashrrev_i32 v160, 31, v160 :: v_dual_ashrrev_i32 v161, 31, v161
	v_not_b32_e32 v162, v165
	v_xor_b32_e32 v157, s17, v157
	v_bitop3_b32 v62, v62, v63, exec_lo bitop3:0x80
	v_not_b32_e32 v63, v164
	v_xor_b32_e32 v156, s16, v156
	v_cmp_gt_i32_e64 s20, 0, v164
	v_xor_b32_e32 v160, s18, v160
	s_delay_alu instid0(VALU_DEP_4) | instskip(NEXT) | instid1(VALU_DEP_4)
	v_dual_ashrrev_i32 v63, 31, v63 :: v_dual_bitop2_b32 v161, s19, v161 bitop3:0x14
	v_bitop3_b32 v62, v62, v157, v156 bitop3:0x80
	v_cmp_gt_i32_e32 vcc_lo, 0, v165
	v_ashrrev_i32_e32 v156, 31, v162
	v_mad_u32_u24 v157, v158, 36, v25
	v_xor_b32_e32 v63, s20, v63
	v_bitop3_b32 v62, v62, v161, v160 bitop3:0x80
	s_delay_alu instid0(VALU_DEP_4) | instskip(SKIP_3) | instid1(VALU_DEP_2)
	v_xor_b32_e32 v160, vcc_lo, v156
	ds_load_b32 v156, v157 offset:1056
	; wave barrier
	v_bitop3_b32 v62, v62, v160, v63 bitop3:0x80
	v_mul_u32_u24_e32 v63, 36, v158
	v_mbcnt_lo_u32_b32 v157, v62, 0
	v_cmp_ne_u32_e64 s15, 0, v62
	s_delay_alu instid0(VALU_DEP_3) | instskip(NEXT) | instid1(VALU_DEP_3)
	v_add_nc_u32_e32 v158, v25, v63
	v_cmp_eq_u32_e32 vcc_lo, 0, v157
	s_and_b32 s16, s15, vcc_lo
	s_delay_alu instid0(SALU_CYCLE_1)
	s_and_saveexec_b32 s15, s16
	s_cbranch_execz .LBB523_1028
; %bb.1027:                             ;   in Loop: Header=BB523_982 Depth=2
	s_wait_dscnt 0x0
	v_bcnt_u32_b32 v62, v62, v156
	ds_store_b32 v158, v62 offset:1056
.LBB523_1028:                           ;   in Loop: Header=BB523_982 Depth=2
	s_or_b32 exec_lo, exec_lo, s15
	v_xor_b32_e32 v155, 0x7fffffff, v155
	; wave barrier
	s_delay_alu instid0(VALU_DEP_1) | instskip(NEXT) | instid1(VALU_DEP_1)
	v_lshrrev_b32_e32 v62, s49, v155
	v_and_b32_e32 v162, s48, v62
	s_delay_alu instid0(VALU_DEP_1) | instskip(SKIP_1) | instid1(VALU_DEP_1)
	v_lshlrev_b32_e32 v160, 30, v162
	v_bitop3_b32 v63, v62, 1, s48 bitop3:0x80
	v_add_co_u32 v62, s15, v63, -1
	s_delay_alu instid0(VALU_DEP_1) | instskip(NEXT) | instid1(VALU_DEP_4)
	v_cndmask_b32_e64 v63, 0, 1, s15
	v_cmp_gt_i32_e64 s15, 0, v160
	s_delay_alu instid0(VALU_DEP_2) | instskip(SKIP_1) | instid1(VALU_DEP_1)
	v_cmp_ne_u32_e32 vcc_lo, 0, v63
	v_not_b32_e32 v63, v160
	v_dual_ashrrev_i32 v63, 31, v63 :: v_dual_lshlrev_b32 v161, 29, v162
	v_dual_lshlrev_b32 v164, 28, v162 :: v_dual_lshlrev_b32 v165, 27, v162
	v_dual_lshlrev_b32 v166, 26, v162 :: v_dual_lshlrev_b32 v168, 25, v162
	v_lshlrev_b32_e32 v169, 24, v162
	s_delay_alu instid0(VALU_DEP_4)
	v_cmp_gt_i32_e64 s16, 0, v161
	v_not_b32_e32 v160, v161
	v_not_b32_e32 v161, v164
	v_cmp_gt_i32_e64 s17, 0, v164
	v_cmp_gt_i32_e64 s18, 0, v165
	v_not_b32_e32 v164, v165
	v_not_b32_e32 v165, v166
	v_dual_ashrrev_i32 v160, 31, v160 :: v_dual_bitop2_b32 v62, vcc_lo, v62 bitop3:0x14
	v_dual_ashrrev_i32 v161, 31, v161 :: v_dual_bitop2_b32 v63, s15, v63 bitop3:0x14
	v_cmp_gt_i32_e64 s19, 0, v166
	s_delay_alu instid0(VALU_DEP_4) | instskip(SKIP_1) | instid1(VALU_DEP_4)
	v_dual_ashrrev_i32 v164, 31, v164 :: v_dual_ashrrev_i32 v165, 31, v165
	v_not_b32_e32 v166, v169
	v_xor_b32_e32 v161, s17, v161
	v_bitop3_b32 v62, v62, v63, exec_lo bitop3:0x80
	v_not_b32_e32 v63, v168
	v_xor_b32_e32 v160, s16, v160
	v_cmp_gt_i32_e64 s20, 0, v168
	v_xor_b32_e32 v164, s18, v164
	s_delay_alu instid0(VALU_DEP_4) | instskip(NEXT) | instid1(VALU_DEP_4)
	v_dual_ashrrev_i32 v63, 31, v63 :: v_dual_bitop2_b32 v165, s19, v165 bitop3:0x14
	v_bitop3_b32 v62, v62, v161, v160 bitop3:0x80
	v_cmp_gt_i32_e32 vcc_lo, 0, v169
	v_ashrrev_i32_e32 v160, 31, v166
	v_mad_u32_u24 v161, v162, 36, v25
	v_xor_b32_e32 v63, s20, v63
	v_bitop3_b32 v62, v62, v165, v164 bitop3:0x80
	s_delay_alu instid0(VALU_DEP_4) | instskip(SKIP_3) | instid1(VALU_DEP_2)
	v_xor_b32_e32 v164, vcc_lo, v160
	ds_load_b32 v160, v161 offset:1056
	; wave barrier
	v_bitop3_b32 v62, v62, v164, v63 bitop3:0x80
	v_mul_u32_u24_e32 v63, 36, v162
	v_mbcnt_lo_u32_b32 v161, v62, 0
	v_cmp_ne_u32_e64 s15, 0, v62
	s_delay_alu instid0(VALU_DEP_3) | instskip(NEXT) | instid1(VALU_DEP_3)
	v_add_nc_u32_e32 v162, v25, v63
	v_cmp_eq_u32_e32 vcc_lo, 0, v161
	s_and_b32 s16, s15, vcc_lo
	s_delay_alu instid0(SALU_CYCLE_1)
	s_and_saveexec_b32 s15, s16
	s_cbranch_execz .LBB523_1030
; %bb.1029:                             ;   in Loop: Header=BB523_982 Depth=2
	s_wait_dscnt 0x0
	v_bcnt_u32_b32 v62, v62, v160
	ds_store_b32 v162, v62 offset:1056
.LBB523_1030:                           ;   in Loop: Header=BB523_982 Depth=2
	s_or_b32 exec_lo, exec_lo, s15
	v_xor_b32_e32 v159, 0x7fffffff, v159
	; wave barrier
	s_delay_alu instid0(VALU_DEP_1) | instskip(NEXT) | instid1(VALU_DEP_1)
	v_lshrrev_b32_e32 v62, s49, v159
	v_and_b32_e32 v166, s48, v62
	s_delay_alu instid0(VALU_DEP_1) | instskip(SKIP_1) | instid1(VALU_DEP_1)
	v_lshlrev_b32_e32 v164, 30, v166
	v_bitop3_b32 v63, v62, 1, s48 bitop3:0x80
	v_add_co_u32 v62, s15, v63, -1
	s_delay_alu instid0(VALU_DEP_1) | instskip(NEXT) | instid1(VALU_DEP_4)
	v_cndmask_b32_e64 v63, 0, 1, s15
	v_cmp_gt_i32_e64 s15, 0, v164
	s_delay_alu instid0(VALU_DEP_2) | instskip(SKIP_1) | instid1(VALU_DEP_1)
	v_cmp_ne_u32_e32 vcc_lo, 0, v63
	v_not_b32_e32 v63, v164
	v_dual_ashrrev_i32 v63, 31, v63 :: v_dual_lshlrev_b32 v165, 29, v166
	v_dual_lshlrev_b32 v168, 28, v166 :: v_dual_lshlrev_b32 v169, 27, v166
	v_dual_lshlrev_b32 v170, 26, v166 :: v_dual_lshlrev_b32 v171, 25, v166
	v_lshlrev_b32_e32 v172, 24, v166
	s_delay_alu instid0(VALU_DEP_4)
	v_cmp_gt_i32_e64 s16, 0, v165
	v_not_b32_e32 v164, v165
	v_not_b32_e32 v165, v168
	v_cmp_gt_i32_e64 s17, 0, v168
	v_cmp_gt_i32_e64 s18, 0, v169
	v_not_b32_e32 v168, v169
	v_not_b32_e32 v169, v170
	v_dual_ashrrev_i32 v164, 31, v164 :: v_dual_bitop2_b32 v62, vcc_lo, v62 bitop3:0x14
	v_dual_ashrrev_i32 v165, 31, v165 :: v_dual_bitop2_b32 v63, s15, v63 bitop3:0x14
	v_cmp_gt_i32_e64 s19, 0, v170
	s_delay_alu instid0(VALU_DEP_4) | instskip(SKIP_1) | instid1(VALU_DEP_4)
	v_dual_ashrrev_i32 v168, 31, v168 :: v_dual_ashrrev_i32 v169, 31, v169
	v_not_b32_e32 v170, v172
	v_xor_b32_e32 v165, s17, v165
	v_bitop3_b32 v62, v62, v63, exec_lo bitop3:0x80
	v_not_b32_e32 v63, v171
	v_xor_b32_e32 v164, s16, v164
	v_cmp_gt_i32_e64 s20, 0, v171
	v_xor_b32_e32 v168, s18, v168
	s_delay_alu instid0(VALU_DEP_4) | instskip(NEXT) | instid1(VALU_DEP_4)
	v_dual_ashrrev_i32 v63, 31, v63 :: v_dual_bitop2_b32 v169, s19, v169 bitop3:0x14
	v_bitop3_b32 v62, v62, v165, v164 bitop3:0x80
	v_cmp_gt_i32_e32 vcc_lo, 0, v172
	v_ashrrev_i32_e32 v164, 31, v170
	v_mad_u32_u24 v165, v166, 36, v25
	v_xor_b32_e32 v63, s20, v63
	v_bitop3_b32 v62, v62, v169, v168 bitop3:0x80
	s_delay_alu instid0(VALU_DEP_4) | instskip(SKIP_3) | instid1(VALU_DEP_2)
	v_xor_b32_e32 v168, vcc_lo, v164
	ds_load_b32 v164, v165 offset:1056
	; wave barrier
	v_bitop3_b32 v62, v62, v168, v63 bitop3:0x80
	v_mul_u32_u24_e32 v63, 36, v166
	v_mbcnt_lo_u32_b32 v165, v62, 0
	v_cmp_ne_u32_e64 s15, 0, v62
	s_delay_alu instid0(VALU_DEP_3) | instskip(NEXT) | instid1(VALU_DEP_3)
	v_add_nc_u32_e32 v166, v25, v63
	v_cmp_eq_u32_e32 vcc_lo, 0, v165
	s_and_b32 s16, s15, vcc_lo
	s_delay_alu instid0(SALU_CYCLE_1)
	s_and_saveexec_b32 s15, s16
	s_cbranch_execz .LBB523_1032
; %bb.1031:                             ;   in Loop: Header=BB523_982 Depth=2
	s_wait_dscnt 0x0
	v_bcnt_u32_b32 v62, v62, v164
	ds_store_b32 v166, v62 offset:1056
.LBB523_1032:                           ;   in Loop: Header=BB523_982 Depth=2
	s_or_b32 exec_lo, exec_lo, s15
	v_xor_b32_e32 v163, 0x7fffffff, v163
	; wave barrier
	s_delay_alu instid0(VALU_DEP_1) | instskip(NEXT) | instid1(VALU_DEP_1)
	v_lshrrev_b32_e32 v62, s49, v163
	v_and_b32_e32 v170, s48, v62
	s_delay_alu instid0(VALU_DEP_1) | instskip(SKIP_1) | instid1(VALU_DEP_1)
	v_lshlrev_b32_e32 v168, 30, v170
	v_bitop3_b32 v63, v62, 1, s48 bitop3:0x80
	v_add_co_u32 v62, s15, v63, -1
	s_delay_alu instid0(VALU_DEP_1) | instskip(NEXT) | instid1(VALU_DEP_4)
	v_cndmask_b32_e64 v63, 0, 1, s15
	v_cmp_gt_i32_e64 s15, 0, v168
	s_delay_alu instid0(VALU_DEP_2) | instskip(SKIP_1) | instid1(VALU_DEP_1)
	v_cmp_ne_u32_e32 vcc_lo, 0, v63
	v_not_b32_e32 v63, v168
	v_dual_ashrrev_i32 v63, 31, v63 :: v_dual_lshlrev_b32 v169, 29, v170
	v_dual_lshlrev_b32 v171, 28, v170 :: v_dual_lshlrev_b32 v172, 27, v170
	v_dual_lshlrev_b32 v173, 26, v170 :: v_dual_lshlrev_b32 v174, 25, v170
	v_lshlrev_b32_e32 v175, 24, v170
	s_delay_alu instid0(VALU_DEP_4)
	v_cmp_gt_i32_e64 s16, 0, v169
	v_not_b32_e32 v168, v169
	v_not_b32_e32 v169, v171
	v_cmp_gt_i32_e64 s17, 0, v171
	v_cmp_gt_i32_e64 s18, 0, v172
	v_not_b32_e32 v171, v172
	v_not_b32_e32 v172, v173
	v_dual_ashrrev_i32 v168, 31, v168 :: v_dual_bitop2_b32 v62, vcc_lo, v62 bitop3:0x14
	v_dual_ashrrev_i32 v169, 31, v169 :: v_dual_bitop2_b32 v63, s15, v63 bitop3:0x14
	v_cmp_gt_i32_e64 s19, 0, v173
	s_delay_alu instid0(VALU_DEP_4) | instskip(NEXT) | instid1(VALU_DEP_3)
	v_dual_ashrrev_i32 v171, 31, v171 :: v_dual_ashrrev_i32 v172, 31, v172
	v_xor_b32_e32 v169, s17, v169
	s_delay_alu instid0(VALU_DEP_4)
	v_bitop3_b32 v62, v62, v63, exec_lo bitop3:0x80
	v_not_b32_e32 v63, v174
	v_xor_b32_e32 v168, s16, v168
	v_not_b32_e32 v173, v175
	v_cmp_gt_i32_e64 s20, 0, v174
	v_xor_b32_e32 v171, s18, v171
	v_dual_ashrrev_i32 v63, 31, v63 :: v_dual_bitop2_b32 v172, s19, v172 bitop3:0x14
	v_bitop3_b32 v62, v62, v169, v168 bitop3:0x80
	v_cmp_gt_i32_e32 vcc_lo, 0, v175
	v_ashrrev_i32_e32 v168, 31, v173
	v_mad_u32_u24 v169, v170, 36, v25
	v_xor_b32_e32 v63, s20, v63
	v_bitop3_b32 v62, v62, v172, v171 bitop3:0x80
	s_delay_alu instid0(VALU_DEP_4) | instskip(SKIP_3) | instid1(VALU_DEP_2)
	v_xor_b32_e32 v171, vcc_lo, v168
	ds_load_b32 v168, v169 offset:1056
	; wave barrier
	v_bitop3_b32 v62, v62, v171, v63 bitop3:0x80
	v_mul_u32_u24_e32 v63, 36, v170
	v_mbcnt_lo_u32_b32 v169, v62, 0
	v_cmp_ne_u32_e64 s15, 0, v62
	s_delay_alu instid0(VALU_DEP_3) | instskip(NEXT) | instid1(VALU_DEP_3)
	v_add_nc_u32_e32 v170, v25, v63
	v_cmp_eq_u32_e32 vcc_lo, 0, v169
	s_and_b32 s16, s15, vcc_lo
	s_delay_alu instid0(SALU_CYCLE_1)
	s_and_saveexec_b32 s15, s16
	s_cbranch_execz .LBB523_1034
; %bb.1033:                             ;   in Loop: Header=BB523_982 Depth=2
	s_wait_dscnt 0x0
	v_bcnt_u32_b32 v62, v62, v168
	ds_store_b32 v170, v62 offset:1056
.LBB523_1034:                           ;   in Loop: Header=BB523_982 Depth=2
	s_or_b32 exec_lo, exec_lo, s15
	v_xor_b32_e32 v167, 0x7fffffff, v167
	; wave barrier
	s_delay_alu instid0(VALU_DEP_1) | instskip(NEXT) | instid1(VALU_DEP_1)
	v_lshrrev_b32_e32 v62, s49, v167
	v_bitop3_b32 v63, v62, 1, s48 bitop3:0x80
	v_and_b32_e32 v171, s48, v62
	s_delay_alu instid0(VALU_DEP_2) | instskip(NEXT) | instid1(VALU_DEP_1)
	v_add_co_u32 v62, s15, v63, -1
	v_cndmask_b32_e64 v63, 0, 1, s15
	s_delay_alu instid0(VALU_DEP_3) | instskip(NEXT) | instid1(VALU_DEP_2)
	v_lshlrev_b32_e32 v172, 30, v171
	v_cmp_ne_u32_e32 vcc_lo, 0, v63
	s_delay_alu instid0(VALU_DEP_2) | instskip(NEXT) | instid1(VALU_DEP_1)
	v_not_b32_e32 v63, v172
	v_dual_ashrrev_i32 v63, 31, v63 :: v_dual_bitop2_b32 v62, vcc_lo, v62 bitop3:0x14
	v_dual_lshlrev_b32 v173, 29, v171 :: v_dual_lshlrev_b32 v174, 28, v171
	v_dual_lshlrev_b32 v175, 27, v171 :: v_dual_lshlrev_b32 v176, 26, v171
	v_lshlrev_b32_e32 v177, 25, v171
	v_cmp_gt_i32_e64 s15, 0, v172
	s_delay_alu instid0(VALU_DEP_4)
	v_cmp_gt_i32_e64 s16, 0, v173
	v_not_b32_e32 v172, v173
	v_not_b32_e32 v173, v174
	v_lshlrev_b32_e32 v178, 24, v171
	v_cmp_gt_i32_e64 s17, 0, v174
	v_cmp_gt_i32_e64 s18, 0, v175
	v_not_b32_e32 v174, v175
	v_not_b32_e32 v175, v176
	v_dual_ashrrev_i32 v172, 31, v172 :: v_dual_ashrrev_i32 v173, 31, v173
	v_xor_b32_e32 v63, s15, v63
	v_cmp_gt_i32_e64 s19, 0, v176
	s_delay_alu instid0(VALU_DEP_4)
	v_dual_ashrrev_i32 v174, 31, v174 :: v_dual_ashrrev_i32 v175, 31, v175
	v_not_b32_e32 v176, v178
	v_xor_b32_e32 v173, s17, v173
	v_bitop3_b32 v62, v62, v63, exec_lo bitop3:0x80
	v_not_b32_e32 v63, v177
	v_xor_b32_e32 v172, s16, v172
	v_cmp_gt_i32_e64 s20, 0, v177
	v_xor_b32_e32 v174, s18, v174
	v_xor_b32_e32 v175, s19, v175
	v_ashrrev_i32_e32 v63, 31, v63
	v_bitop3_b32 v62, v62, v173, v172 bitop3:0x80
	v_cmp_gt_i32_e32 vcc_lo, 0, v178
	v_ashrrev_i32_e32 v172, 31, v176
	v_mad_u32_u24 v173, v171, 36, v25
	v_xor_b32_e32 v63, s20, v63
	v_bitop3_b32 v62, v62, v175, v174 bitop3:0x80
	s_delay_alu instid0(VALU_DEP_4) | instskip(SKIP_3) | instid1(VALU_DEP_2)
	v_xor_b32_e32 v174, vcc_lo, v172
	ds_load_b32 v172, v173 offset:1056
	; wave barrier
	v_bitop3_b32 v62, v62, v174, v63 bitop3:0x80
	v_mul_u32_u24_e32 v63, 36, v171
	v_mbcnt_lo_u32_b32 v173, v62, 0
	v_cmp_ne_u32_e64 s15, 0, v62
	s_delay_alu instid0(VALU_DEP_3) | instskip(NEXT) | instid1(VALU_DEP_3)
	v_add_nc_u32_e32 v174, v25, v63
	v_cmp_eq_u32_e32 vcc_lo, 0, v173
	s_and_b32 s16, s15, vcc_lo
	s_delay_alu instid0(SALU_CYCLE_1)
	s_and_saveexec_b32 s15, s16
	s_cbranch_execz .LBB523_1036
; %bb.1035:                             ;   in Loop: Header=BB523_982 Depth=2
	s_wait_dscnt 0x0
	v_bcnt_u32_b32 v62, v62, v172
	ds_store_b32 v174, v62 offset:1056
.LBB523_1036:                           ;   in Loop: Header=BB523_982 Depth=2
	s_or_b32 exec_lo, exec_lo, s15
	v_xor_b32_e32 v171, 0x7fffffff, v69
	; wave barrier
	s_delay_alu instid0(VALU_DEP_1) | instskip(NEXT) | instid1(VALU_DEP_1)
	v_lshrrev_b32_e32 v62, s49, v171
	v_and_b32_e32 v69, s48, v62
	s_delay_alu instid0(VALU_DEP_1) | instskip(SKIP_1) | instid1(VALU_DEP_1)
	v_lshlrev_b32_e32 v175, 30, v69
	v_bitop3_b32 v63, v62, 1, s48 bitop3:0x80
	v_add_co_u32 v62, s15, v63, -1
	s_delay_alu instid0(VALU_DEP_1) | instskip(NEXT) | instid1(VALU_DEP_4)
	v_cndmask_b32_e64 v63, 0, 1, s15
	v_cmp_gt_i32_e64 s15, 0, v175
	s_delay_alu instid0(VALU_DEP_2) | instskip(SKIP_1) | instid1(VALU_DEP_1)
	v_cmp_ne_u32_e32 vcc_lo, 0, v63
	v_not_b32_e32 v63, v175
	v_dual_ashrrev_i32 v63, 31, v63 :: v_dual_lshlrev_b32 v176, 29, v69
	v_dual_lshlrev_b32 v177, 28, v69 :: v_dual_lshlrev_b32 v178, 27, v69
	v_dual_lshlrev_b32 v179, 26, v69 :: v_dual_lshlrev_b32 v180, 25, v69
	v_lshlrev_b32_e32 v181, 24, v69
	s_delay_alu instid0(VALU_DEP_4)
	v_cmp_gt_i32_e64 s16, 0, v176
	v_not_b32_e32 v175, v176
	v_not_b32_e32 v176, v177
	v_cmp_gt_i32_e64 s17, 0, v177
	v_cmp_gt_i32_e64 s18, 0, v178
	v_not_b32_e32 v177, v178
	v_not_b32_e32 v178, v179
	v_dual_ashrrev_i32 v175, 31, v175 :: v_dual_bitop2_b32 v62, vcc_lo, v62 bitop3:0x14
	v_dual_ashrrev_i32 v176, 31, v176 :: v_dual_bitop2_b32 v63, s15, v63 bitop3:0x14
	v_cmp_gt_i32_e64 s19, 0, v179
	s_delay_alu instid0(VALU_DEP_4) | instskip(NEXT) | instid1(VALU_DEP_4)
	v_dual_ashrrev_i32 v177, 31, v177 :: v_dual_ashrrev_i32 v178, 31, v178
	v_xor_b32_e32 v175, s16, v175
	s_delay_alu instid0(VALU_DEP_4)
	v_bitop3_b32 v62, v62, v63, exec_lo bitop3:0x80
	v_not_b32_e32 v63, v180
	v_xor_b32_e32 v176, s17, v176
	v_not_b32_e32 v179, v181
	v_cmp_gt_i32_e64 s20, 0, v180
	v_xor_b32_e32 v177, s18, v177
	v_dual_ashrrev_i32 v63, 31, v63 :: v_dual_bitop2_b32 v178, s19, v178 bitop3:0x14
	v_bitop3_b32 v62, v62, v176, v175 bitop3:0x80
	v_cmp_gt_i32_e32 vcc_lo, 0, v181
	v_ashrrev_i32_e32 v175, 31, v179
	v_mad_u32_u24 v176, v69, 36, v25
	v_xor_b32_e32 v63, s20, v63
	v_bitop3_b32 v62, v62, v178, v177 bitop3:0x80
	s_delay_alu instid0(VALU_DEP_4) | instskip(SKIP_3) | instid1(VALU_DEP_2)
	v_xor_b32_e32 v175, vcc_lo, v175
	ds_load_b32 v176, v176 offset:1056
	; wave barrier
	v_bitop3_b32 v62, v62, v175, v63 bitop3:0x80
	v_mul_u32_u24_e32 v63, 36, v69
	v_mbcnt_lo_u32_b32 v177, v62, 0
	v_cmp_ne_u32_e64 s15, 0, v62
	s_delay_alu instid0(VALU_DEP_3) | instskip(NEXT) | instid1(VALU_DEP_3)
	v_add_nc_u32_e32 v178, v25, v63
	v_cmp_eq_u32_e32 vcc_lo, 0, v177
	s_and_b32 s16, s15, vcc_lo
	s_delay_alu instid0(SALU_CYCLE_1)
	s_and_saveexec_b32 s15, s16
	s_cbranch_execz .LBB523_1038
; %bb.1037:                             ;   in Loop: Header=BB523_982 Depth=2
	s_wait_dscnt 0x0
	v_bcnt_u32_b32 v62, v62, v176
	ds_store_b32 v178, v62 offset:1056
.LBB523_1038:                           ;   in Loop: Header=BB523_982 Depth=2
	s_or_b32 exec_lo, exec_lo, s15
	v_xor_b32_e32 v175, 0x7fffffff, v68
	; wave barrier
	s_delay_alu instid0(VALU_DEP_1) | instskip(NEXT) | instid1(VALU_DEP_1)
	v_lshrrev_b32_e32 v62, s49, v175
	v_and_b32_e32 v68, s48, v62
	s_delay_alu instid0(VALU_DEP_1) | instskip(SKIP_1) | instid1(VALU_DEP_1)
	v_lshlrev_b32_e32 v69, 30, v68
	v_bitop3_b32 v63, v62, 1, s48 bitop3:0x80
	v_add_co_u32 v62, s15, v63, -1
	s_delay_alu instid0(VALU_DEP_1) | instskip(NEXT) | instid1(VALU_DEP_4)
	v_cndmask_b32_e64 v63, 0, 1, s15
	v_cmp_gt_i32_e64 s15, 0, v69
	s_delay_alu instid0(VALU_DEP_2) | instskip(SKIP_1) | instid1(VALU_DEP_1)
	v_cmp_ne_u32_e32 vcc_lo, 0, v63
	v_not_b32_e32 v63, v69
	v_dual_ashrrev_i32 v63, 31, v63 :: v_dual_lshlrev_b32 v179, 29, v68
	v_dual_lshlrev_b32 v180, 28, v68 :: v_dual_lshlrev_b32 v181, 27, v68
	v_dual_lshlrev_b32 v182, 26, v68 :: v_dual_lshlrev_b32 v183, 25, v68
	v_lshlrev_b32_e32 v184, 24, v68
	s_delay_alu instid0(VALU_DEP_4)
	v_cmp_gt_i32_e64 s16, 0, v179
	v_not_b32_e32 v69, v179
	v_not_b32_e32 v179, v180
	v_cmp_gt_i32_e64 s17, 0, v180
	v_cmp_gt_i32_e64 s18, 0, v181
	v_not_b32_e32 v180, v181
	v_not_b32_e32 v181, v182
	v_dual_ashrrev_i32 v69, 31, v69 :: v_dual_bitop2_b32 v62, vcc_lo, v62 bitop3:0x14
	s_delay_alu instid0(VALU_DEP_3) | instskip(NEXT) | instid1(VALU_DEP_3)
	v_dual_ashrrev_i32 v179, 31, v179 :: v_dual_ashrrev_i32 v180, 31, v180
	v_dual_ashrrev_i32 v181, 31, v181 :: v_dual_bitop2_b32 v63, s15, v63 bitop3:0x14
	v_cmp_gt_i32_e64 s19, 0, v182
	v_not_b32_e32 v182, v184
	s_delay_alu instid0(VALU_DEP_4) | instskip(NEXT) | instid1(VALU_DEP_4)
	v_xor_b32_e32 v179, s17, v179
	v_bitop3_b32 v62, v62, v63, exec_lo bitop3:0x80
	v_not_b32_e32 v63, v183
	v_xor_b32_e32 v69, s16, v69
	v_cmp_gt_i32_e64 s20, 0, v183
	v_xor_b32_e32 v180, s18, v180
	s_delay_alu instid0(VALU_DEP_4) | instskip(NEXT) | instid1(VALU_DEP_4)
	v_dual_ashrrev_i32 v63, 31, v63 :: v_dual_bitop2_b32 v181, s19, v181 bitop3:0x14
	v_bitop3_b32 v62, v62, v179, v69 bitop3:0x80
	v_cmp_gt_i32_e32 vcc_lo, 0, v184
	v_ashrrev_i32_e32 v69, 31, v182
	v_mad_u32_u24 v179, v68, 36, v25
	v_xor_b32_e32 v63, s20, v63
	v_bitop3_b32 v62, v62, v181, v180 bitop3:0x80
	s_delay_alu instid0(VALU_DEP_4) | instskip(SKIP_3) | instid1(VALU_DEP_2)
	v_xor_b32_e32 v69, vcc_lo, v69
	ds_load_b32 v180, v179 offset:1056
	; wave barrier
	v_bitop3_b32 v62, v62, v69, v63 bitop3:0x80
	v_mul_u32_u24_e32 v63, 36, v68
	v_mbcnt_lo_u32_b32 v181, v62, 0
	v_cmp_ne_u32_e64 s15, 0, v62
	s_delay_alu instid0(VALU_DEP_3) | instskip(NEXT) | instid1(VALU_DEP_3)
	v_add_nc_u32_e32 v182, v25, v63
	v_cmp_eq_u32_e32 vcc_lo, 0, v181
	s_and_b32 s16, s15, vcc_lo
	s_delay_alu instid0(SALU_CYCLE_1)
	s_and_saveexec_b32 s15, s16
	s_cbranch_execz .LBB523_1040
; %bb.1039:                             ;   in Loop: Header=BB523_982 Depth=2
	s_wait_dscnt 0x0
	v_bcnt_u32_b32 v62, v62, v180
	ds_store_b32 v182, v62 offset:1056
.LBB523_1040:                           ;   in Loop: Header=BB523_982 Depth=2
	s_or_b32 exec_lo, exec_lo, s15
	v_xor_b32_e32 v179, 0x7fffffff, v67
	; wave barrier
	s_delay_alu instid0(VALU_DEP_1) | instskip(NEXT) | instid1(VALU_DEP_1)
	v_lshrrev_b32_e32 v62, s49, v179
	v_bitop3_b32 v63, v62, 1, s48 bitop3:0x80
	v_and_b32_e32 v67, s48, v62
	s_delay_alu instid0(VALU_DEP_2) | instskip(NEXT) | instid1(VALU_DEP_1)
	v_add_co_u32 v62, s15, v63, -1
	v_cndmask_b32_e64 v63, 0, 1, s15
	s_delay_alu instid0(VALU_DEP_3) | instskip(NEXT) | instid1(VALU_DEP_2)
	v_lshlrev_b32_e32 v68, 30, v67
	v_cmp_ne_u32_e32 vcc_lo, 0, v63
	s_delay_alu instid0(VALU_DEP_2) | instskip(NEXT) | instid1(VALU_DEP_1)
	v_not_b32_e32 v63, v68
	v_dual_ashrrev_i32 v63, 31, v63 :: v_dual_bitop2_b32 v62, vcc_lo, v62 bitop3:0x14
	v_dual_lshlrev_b32 v69, 29, v67 :: v_dual_lshlrev_b32 v183, 28, v67
	v_dual_lshlrev_b32 v184, 27, v67 :: v_dual_lshlrev_b32 v185, 26, v67
	v_lshlrev_b32_e32 v186, 25, v67
	v_cmp_gt_i32_e64 s15, 0, v68
	s_delay_alu instid0(VALU_DEP_4)
	v_cmp_gt_i32_e64 s16, 0, v69
	v_not_b32_e32 v68, v69
	v_not_b32_e32 v69, v183
	v_lshlrev_b32_e32 v187, 24, v67
	v_cmp_gt_i32_e64 s17, 0, v183
	v_cmp_gt_i32_e64 s18, 0, v184
	v_not_b32_e32 v183, v184
	v_not_b32_e32 v184, v185
	v_dual_ashrrev_i32 v68, 31, v68 :: v_dual_ashrrev_i32 v69, 31, v69
	v_xor_b32_e32 v63, s15, v63
	v_cmp_gt_i32_e64 s19, 0, v185
	s_delay_alu instid0(VALU_DEP_4) | instskip(NEXT) | instid1(VALU_DEP_4)
	v_dual_ashrrev_i32 v183, 31, v183 :: v_dual_ashrrev_i32 v184, 31, v184
	v_xor_b32_e32 v69, s17, v69
	s_delay_alu instid0(VALU_DEP_4)
	v_bitop3_b32 v62, v62, v63, exec_lo bitop3:0x80
	v_not_b32_e32 v63, v186
	v_xor_b32_e32 v68, s16, v68
	v_not_b32_e32 v185, v187
	v_cmp_gt_i32_e64 s20, 0, v186
	v_xor_b32_e32 v183, s18, v183
	v_dual_ashrrev_i32 v63, 31, v63 :: v_dual_bitop2_b32 v184, s19, v184 bitop3:0x14
	v_bitop3_b32 v62, v62, v69, v68 bitop3:0x80
	v_cmp_gt_i32_e32 vcc_lo, 0, v187
	v_ashrrev_i32_e32 v68, 31, v185
	v_mad_u32_u24 v69, v67, 36, v25
	v_xor_b32_e32 v63, s20, v63
	v_bitop3_b32 v62, v62, v184, v183 bitop3:0x80
	s_delay_alu instid0(VALU_DEP_4) | instskip(SKIP_3) | instid1(VALU_DEP_2)
	v_xor_b32_e32 v68, vcc_lo, v68
	ds_load_b32 v184, v69 offset:1056
	; wave barrier
	v_bitop3_b32 v62, v62, v68, v63 bitop3:0x80
	v_mul_u32_u24_e32 v63, 36, v67
	v_mbcnt_lo_u32_b32 v185, v62, 0
	v_cmp_ne_u32_e64 s15, 0, v62
	s_delay_alu instid0(VALU_DEP_3) | instskip(NEXT) | instid1(VALU_DEP_3)
	v_add_nc_u32_e32 v186, v25, v63
	v_cmp_eq_u32_e32 vcc_lo, 0, v185
	s_and_b32 s16, s15, vcc_lo
	s_delay_alu instid0(SALU_CYCLE_1)
	s_and_saveexec_b32 s15, s16
	s_cbranch_execz .LBB523_1042
; %bb.1041:                             ;   in Loop: Header=BB523_982 Depth=2
	s_wait_dscnt 0x0
	v_bcnt_u32_b32 v62, v62, v184
	ds_store_b32 v186, v62 offset:1056
.LBB523_1042:                           ;   in Loop: Header=BB523_982 Depth=2
	s_or_b32 exec_lo, exec_lo, s15
	v_xor_b32_e32 v183, 0x7fffffff, v66
	; wave barrier
	s_delay_alu instid0(VALU_DEP_1) | instskip(NEXT) | instid1(VALU_DEP_1)
	v_lshrrev_b32_e32 v62, s49, v183
	v_and_b32_e32 v66, s48, v62
	s_delay_alu instid0(VALU_DEP_1) | instskip(SKIP_1) | instid1(VALU_DEP_1)
	v_lshlrev_b32_e32 v67, 30, v66
	v_bitop3_b32 v63, v62, 1, s48 bitop3:0x80
	v_add_co_u32 v62, s15, v63, -1
	s_delay_alu instid0(VALU_DEP_1) | instskip(NEXT) | instid1(VALU_DEP_4)
	v_cndmask_b32_e64 v63, 0, 1, s15
	v_cmp_gt_i32_e64 s15, 0, v67
	s_delay_alu instid0(VALU_DEP_2) | instskip(SKIP_1) | instid1(VALU_DEP_1)
	v_cmp_ne_u32_e32 vcc_lo, 0, v63
	v_not_b32_e32 v63, v67
	v_dual_ashrrev_i32 v63, 31, v63 :: v_dual_lshlrev_b32 v68, 29, v66
	v_dual_lshlrev_b32 v69, 28, v66 :: v_dual_lshlrev_b32 v187, 27, v66
	v_dual_lshlrev_b32 v188, 26, v66 :: v_dual_lshlrev_b32 v189, 25, v66
	v_lshlrev_b32_e32 v190, 24, v66
	s_delay_alu instid0(VALU_DEP_4)
	v_cmp_gt_i32_e64 s16, 0, v68
	v_not_b32_e32 v67, v68
	v_not_b32_e32 v68, v69
	v_cmp_gt_i32_e64 s17, 0, v69
	v_cmp_gt_i32_e64 s18, 0, v187
	v_not_b32_e32 v69, v187
	v_not_b32_e32 v187, v188
	v_dual_ashrrev_i32 v67, 31, v67 :: v_dual_bitop2_b32 v62, vcc_lo, v62 bitop3:0x14
	v_dual_ashrrev_i32 v68, 31, v68 :: v_dual_bitop2_b32 v63, s15, v63 bitop3:0x14
	v_cmp_gt_i32_e64 s19, 0, v188
	s_delay_alu instid0(VALU_DEP_4) | instskip(NEXT) | instid1(VALU_DEP_4)
	v_dual_ashrrev_i32 v69, 31, v69 :: v_dual_ashrrev_i32 v187, 31, v187
	v_xor_b32_e32 v67, s16, v67
	s_delay_alu instid0(VALU_DEP_4)
	v_bitop3_b32 v62, v62, v63, exec_lo bitop3:0x80
	v_not_b32_e32 v63, v189
	v_xor_b32_e32 v68, s17, v68
	v_not_b32_e32 v188, v190
	v_cmp_gt_i32_e64 s20, 0, v189
	v_xor_b32_e32 v69, s18, v69
	v_xor_b32_e32 v187, s19, v187
	v_ashrrev_i32_e32 v63, 31, v63
	v_bitop3_b32 v62, v62, v68, v67 bitop3:0x80
	v_cmp_gt_i32_e32 vcc_lo, 0, v190
	v_ashrrev_i32_e32 v67, 31, v188
	v_mad_u32_u24 v68, v66, 36, v25
	v_xor_b32_e32 v63, s20, v63
	v_bitop3_b32 v62, v62, v187, v69 bitop3:0x80
	s_delay_alu instid0(VALU_DEP_4) | instskip(SKIP_3) | instid1(VALU_DEP_2)
	v_xor_b32_e32 v67, vcc_lo, v67
	ds_load_b32 v188, v68 offset:1056
	; wave barrier
	v_bitop3_b32 v62, v62, v67, v63 bitop3:0x80
	v_mul_u32_u24_e32 v63, 36, v66
	v_mbcnt_lo_u32_b32 v189, v62, 0
	v_cmp_ne_u32_e64 s15, 0, v62
	s_delay_alu instid0(VALU_DEP_3) | instskip(NEXT) | instid1(VALU_DEP_3)
	v_add_nc_u32_e32 v190, v25, v63
	v_cmp_eq_u32_e32 vcc_lo, 0, v189
	s_and_b32 s16, s15, vcc_lo
	s_delay_alu instid0(SALU_CYCLE_1)
	s_and_saveexec_b32 s15, s16
	s_cbranch_execz .LBB523_1044
; %bb.1043:                             ;   in Loop: Header=BB523_982 Depth=2
	s_wait_dscnt 0x0
	v_bcnt_u32_b32 v62, v62, v188
	ds_store_b32 v190, v62 offset:1056
.LBB523_1044:                           ;   in Loop: Header=BB523_982 Depth=2
	s_or_b32 exec_lo, exec_lo, s15
	v_xor_b32_e32 v187, 0x7fffffff, v65
	; wave barrier
	s_delay_alu instid0(VALU_DEP_1) | instskip(NEXT) | instid1(VALU_DEP_1)
	v_lshrrev_b32_e32 v62, s49, v187
	v_bitop3_b32 v63, v62, 1, s48 bitop3:0x80
	v_and_b32_e32 v65, s48, v62
	s_delay_alu instid0(VALU_DEP_2) | instskip(NEXT) | instid1(VALU_DEP_2)
	v_add_co_u32 v62, s15, v63, -1
	v_lshlrev_b32_e32 v63, 30, v65
	v_cndmask_b32_e64 v193, 0, 1, s15
	s_delay_alu instid0(VALU_DEP_2) | instskip(SKIP_1) | instid1(VALU_DEP_3)
	v_cmp_gt_i32_e32 vcc_lo, 0, v63
	v_not_b32_e32 v63, v63
	v_cmp_ne_u32_e64 s19, 0, v193
	s_delay_alu instid0(VALU_DEP_2) | instskip(SKIP_3) | instid1(VALU_DEP_4)
	v_dual_ashrrev_i32 v63, 31, v63 :: v_dual_lshlrev_b32 v66, 29, v65
	v_dual_lshlrev_b32 v67, 28, v65 :: v_dual_lshlrev_b32 v68, 27, v65
	v_dual_lshlrev_b32 v69, 26, v65 :: v_dual_lshlrev_b32 v191, 25, v65
	v_lshlrev_b32_e32 v192, 24, v65
	v_cmp_gt_i32_e64 s15, 0, v66
	v_not_b32_e32 v66, v66
	v_cmp_gt_i32_e64 s16, 0, v67
	v_not_b32_e32 v67, v67
	;; [unrolled: 2-line block ×4, first 2 shown]
	v_dual_ashrrev_i32 v66, 31, v66 :: v_dual_ashrrev_i32 v67, 31, v67
	s_delay_alu instid0(VALU_DEP_4) | instskip(NEXT) | instid1(VALU_DEP_3)
	v_dual_ashrrev_i32 v68, 31, v68 :: v_dual_bitop2_b32 v62, s19, v62 bitop3:0x14
	v_dual_ashrrev_i32 v69, 31, v69 :: v_dual_bitop2_b32 v63, vcc_lo, v63 bitop3:0x14
	v_cmp_gt_i32_e64 s20, 0, v191
	s_delay_alu instid0(VALU_DEP_4) | instskip(SKIP_1) | instid1(VALU_DEP_4)
	v_xor_b32_e32 v67, s16, v67
	v_cmp_gt_i32_e32 vcc_lo, 0, v192
	v_bitop3_b32 v62, v62, v63, exec_lo bitop3:0x80
	v_not_b32_e32 v63, v191
	v_xor_b32_e32 v66, s15, v66
	v_not_b32_e32 v191, v192
	v_xor_b32_e32 v68, s17, v68
	s_delay_alu instid0(VALU_DEP_4) | instskip(NEXT) | instid1(VALU_DEP_4)
	v_dual_ashrrev_i32 v63, 31, v63 :: v_dual_bitop2_b32 v69, s18, v69 bitop3:0x14
	v_bitop3_b32 v62, v62, v67, v66 bitop3:0x80
	s_delay_alu instid0(VALU_DEP_4) | instskip(SKIP_1) | instid1(VALU_DEP_4)
	v_ashrrev_i32_e32 v66, 31, v191
	v_mad_u32_u24 v67, v65, 36, v25
	v_xor_b32_e32 v63, s20, v63
	s_delay_alu instid0(VALU_DEP_4) | instskip(NEXT) | instid1(VALU_DEP_4)
	v_bitop3_b32 v62, v62, v69, v68 bitop3:0x80
	v_xor_b32_e32 v66, vcc_lo, v66
	ds_load_b32 v192, v67 offset:1056
	; wave barrier
	v_bitop3_b32 v62, v62, v66, v63 bitop3:0x80
	v_mul_u32_u24_e32 v63, 36, v65
	s_delay_alu instid0(VALU_DEP_2) | instskip(SKIP_1) | instid1(VALU_DEP_3)
	v_mbcnt_lo_u32_b32 v193, v62, 0
	v_cmp_ne_u32_e64 s15, 0, v62
	v_add_nc_u32_e32 v194, v25, v63
	s_delay_alu instid0(VALU_DEP_3) | instskip(SKIP_1) | instid1(SALU_CYCLE_1)
	v_cmp_eq_u32_e32 vcc_lo, 0, v193
	s_and_b32 s16, s15, vcc_lo
	s_and_saveexec_b32 s15, s16
	s_cbranch_execz .LBB523_1046
; %bb.1045:                             ;   in Loop: Header=BB523_982 Depth=2
	s_wait_dscnt 0x0
	v_bcnt_u32_b32 v62, v62, v192
	ds_store_b32 v194, v62 offset:1056
.LBB523_1046:                           ;   in Loop: Header=BB523_982 Depth=2
	s_or_b32 exec_lo, exec_lo, s15
	v_xor_b32_e32 v191, 0x7fffffff, v64
	; wave barrier
	s_delay_alu instid0(VALU_DEP_1) | instskip(NEXT) | instid1(VALU_DEP_1)
	v_lshrrev_b32_e32 v62, s49, v191
	v_and_b32_e32 v64, s48, v62
	s_delay_alu instid0(VALU_DEP_1) | instskip(SKIP_1) | instid1(VALU_DEP_1)
	v_lshlrev_b32_e32 v65, 30, v64
	v_bitop3_b32 v63, v62, 1, s48 bitop3:0x80
	v_add_co_u32 v62, s15, v63, -1
	s_delay_alu instid0(VALU_DEP_1) | instskip(NEXT) | instid1(VALU_DEP_4)
	v_cndmask_b32_e64 v63, 0, 1, s15
	v_cmp_gt_i32_e64 s15, 0, v65
	s_delay_alu instid0(VALU_DEP_2) | instskip(SKIP_1) | instid1(VALU_DEP_1)
	v_cmp_ne_u32_e32 vcc_lo, 0, v63
	v_not_b32_e32 v63, v65
	v_dual_ashrrev_i32 v63, 31, v63 :: v_dual_lshlrev_b32 v66, 29, v64
	v_dual_lshlrev_b32 v67, 28, v64 :: v_dual_lshlrev_b32 v68, 27, v64
	v_dual_lshlrev_b32 v69, 26, v64 :: v_dual_lshlrev_b32 v195, 25, v64
	v_lshlrev_b32_e32 v196, 24, v64
	s_delay_alu instid0(VALU_DEP_4)
	v_cmp_gt_i32_e64 s16, 0, v66
	v_not_b32_e32 v65, v66
	v_not_b32_e32 v66, v67
	v_cmp_gt_i32_e64 s17, 0, v67
	v_cmp_gt_i32_e64 s18, 0, v68
	v_not_b32_e32 v67, v68
	v_not_b32_e32 v68, v69
	v_dual_ashrrev_i32 v65, 31, v65 :: v_dual_bitop2_b32 v62, vcc_lo, v62 bitop3:0x14
	v_dual_ashrrev_i32 v66, 31, v66 :: v_dual_bitop2_b32 v63, s15, v63 bitop3:0x14
	v_cmp_gt_i32_e64 s19, 0, v69
	s_delay_alu instid0(VALU_DEP_4) | instskip(SKIP_1) | instid1(VALU_DEP_4)
	v_dual_ashrrev_i32 v67, 31, v67 :: v_dual_ashrrev_i32 v68, 31, v68
	v_not_b32_e32 v69, v196
	v_xor_b32_e32 v66, s17, v66
	v_bitop3_b32 v62, v62, v63, exec_lo bitop3:0x80
	v_not_b32_e32 v63, v195
	v_xor_b32_e32 v65, s16, v65
	v_cmp_gt_i32_e64 s20, 0, v195
	v_xor_b32_e32 v67, s18, v67
	s_delay_alu instid0(VALU_DEP_4) | instskip(NEXT) | instid1(VALU_DEP_4)
	v_dual_ashrrev_i32 v63, 31, v63 :: v_dual_bitop2_b32 v68, s19, v68 bitop3:0x14
	v_bitop3_b32 v62, v62, v66, v65 bitop3:0x80
	v_cmp_gt_i32_e32 vcc_lo, 0, v196
	v_ashrrev_i32_e32 v65, 31, v69
	v_mad_u32_u24 v66, v64, 36, v25
	v_xor_b32_e32 v63, s20, v63
	v_bitop3_b32 v62, v62, v68, v67 bitop3:0x80
	s_delay_alu instid0(VALU_DEP_4) | instskip(SKIP_3) | instid1(VALU_DEP_2)
	v_xor_b32_e32 v65, vcc_lo, v65
	ds_load_b32 v195, v66 offset:1056
	; wave barrier
	v_bitop3_b32 v62, v62, v65, v63 bitop3:0x80
	v_mul_u32_u24_e32 v63, 36, v64
	v_mbcnt_lo_u32_b32 v196, v62, 0
	v_cmp_ne_u32_e64 s15, 0, v62
	s_delay_alu instid0(VALU_DEP_3) | instskip(NEXT) | instid1(VALU_DEP_3)
	v_add_nc_u32_e32 v197, v25, v63
	v_cmp_eq_u32_e32 vcc_lo, 0, v196
	s_and_b32 s16, s15, vcc_lo
	s_delay_alu instid0(SALU_CYCLE_1)
	s_and_saveexec_b32 s15, s16
	s_cbranch_execz .LBB523_1048
; %bb.1047:                             ;   in Loop: Header=BB523_982 Depth=2
	s_wait_dscnt 0x0
	v_bcnt_u32_b32 v62, v62, v195
	ds_store_b32 v197, v62 offset:1056
.LBB523_1048:                           ;   in Loop: Header=BB523_982 Depth=2
	s_or_b32 exec_lo, exec_lo, s15
	v_lshrrev_b32_e32 v62, s49, v138
	; wave barrier
	s_delay_alu instid0(VALU_DEP_1) | instskip(NEXT) | instid1(VALU_DEP_1)
	v_and_b32_e32 v64, s48, v62
	v_lshlrev_b32_e32 v65, 30, v64
	v_bitop3_b32 v63, v62, 1, s48 bitop3:0x80
	s_delay_alu instid0(VALU_DEP_1) | instskip(NEXT) | instid1(VALU_DEP_1)
	v_add_co_u32 v62, s15, v63, -1
	v_cndmask_b32_e64 v63, 0, 1, s15
	s_delay_alu instid0(VALU_DEP_4) | instskip(NEXT) | instid1(VALU_DEP_2)
	v_cmp_gt_i32_e64 s15, 0, v65
	v_cmp_ne_u32_e32 vcc_lo, 0, v63
	v_not_b32_e32 v63, v65
	s_delay_alu instid0(VALU_DEP_1) | instskip(SKIP_3) | instid1(VALU_DEP_4)
	v_dual_ashrrev_i32 v63, 31, v63 :: v_dual_lshlrev_b32 v66, 29, v64
	v_dual_lshlrev_b32 v67, 28, v64 :: v_dual_lshlrev_b32 v68, 27, v64
	v_dual_lshlrev_b32 v69, 26, v64 :: v_dual_lshlrev_b32 v198, 25, v64
	v_lshlrev_b32_e32 v199, 24, v64
	v_cmp_gt_i32_e64 s16, 0, v66
	v_not_b32_e32 v65, v66
	v_not_b32_e32 v66, v67
	v_cmp_gt_i32_e64 s17, 0, v67
	v_xor_b32_e32 v62, vcc_lo, v62
	s_delay_alu instid0(VALU_DEP_4) | instskip(NEXT) | instid1(VALU_DEP_4)
	v_dual_ashrrev_i32 v65, 31, v65 :: v_dual_bitop2_b32 v63, s15, v63 bitop3:0x14
	v_ashrrev_i32_e32 v66, 31, v66
	v_cmp_gt_i32_e64 s18, 0, v68
	v_not_b32_e32 v67, v68
	v_not_b32_e32 v68, v69
	v_xor_b32_e32 v65, s16, v65
	v_xor_b32_e32 v66, s17, v66
	v_bitop3_b32 v62, v62, v63, exec_lo bitop3:0x80
	v_ashrrev_i32_e32 v63, 31, v67
	v_cmp_gt_i32_e32 vcc_lo, 0, v69
	v_ashrrev_i32_e32 v67, 31, v68
	v_not_b32_e32 v68, v198
	v_bitop3_b32 v62, v62, v66, v65 bitop3:0x80
	v_not_b32_e32 v65, v199
	v_xor_b32_e32 v63, s18, v63
	v_xor_b32_e32 v66, vcc_lo, v67
	v_cmp_gt_i32_e32 vcc_lo, 0, v198
	v_ashrrev_i32_e32 v67, 31, v68
	v_cmp_gt_i32_e64 s15, 0, v199
	v_ashrrev_i32_e32 v65, 31, v65
	v_mad_u32_u24 v68, v64, 36, v25
	v_bitop3_b32 v62, v62, v66, v63 bitop3:0x80
	v_xor_b32_e32 v63, vcc_lo, v67
	s_delay_alu instid0(VALU_DEP_4) | instskip(SKIP_3) | instid1(VALU_DEP_2)
	v_xor_b32_e32 v65, s15, v65
	ds_load_b32 v198, v68 offset:1056
	; wave barrier
	v_bitop3_b32 v62, v62, v65, v63 bitop3:0x80
	v_mul_u32_u24_e32 v63, 36, v64
	v_mbcnt_lo_u32_b32 v199, v62, 0
	v_cmp_ne_u32_e64 s15, 0, v62
	s_delay_alu instid0(VALU_DEP_3) | instskip(NEXT) | instid1(VALU_DEP_3)
	v_add_nc_u32_e32 v200, v25, v63
	v_cmp_eq_u32_e32 vcc_lo, 0, v199
	s_and_b32 s16, s15, vcc_lo
	s_delay_alu instid0(SALU_CYCLE_1)
	s_and_saveexec_b32 s15, s16
	s_cbranch_execz .LBB523_1050
; %bb.1049:                             ;   in Loop: Header=BB523_982 Depth=2
	s_wait_dscnt 0x0
	v_bcnt_u32_b32 v62, v62, v198
	ds_store_b32 v200, v62 offset:1056
.LBB523_1050:                           ;   in Loop: Header=BB523_982 Depth=2
	s_or_b32 exec_lo, exec_lo, s15
	; wave barrier
	s_wait_dscnt 0x0
	s_barrier_signal -1
	s_barrier_wait -1
	ds_load_2addr_b32 v[68:69], v117 offset1:1
	ds_load_2addr_b32 v[66:67], v118 offset1:1
	;; [unrolled: 1-line block ×4, first 2 shown]
	ds_load_b32 v201, v91 offset:1088
	s_wait_dscnt 0x3
	v_add3_u32 v202, v69, v68, v66
	s_wait_dscnt 0x2
	s_delay_alu instid0(VALU_DEP_1) | instskip(SKIP_1) | instid1(VALU_DEP_1)
	v_add3_u32 v202, v202, v67, v64
	s_wait_dscnt 0x1
	v_add3_u32 v202, v202, v65, v62
	s_wait_dscnt 0x0
	s_delay_alu instid0(VALU_DEP_1) | instskip(NEXT) | instid1(VALU_DEP_1)
	v_add3_u32 v201, v202, v63, v201
	v_mov_b32_dpp v202, v201 row_shr:1 row_mask:0xf bank_mask:0xf
	s_delay_alu instid0(VALU_DEP_1) | instskip(NEXT) | instid1(VALU_DEP_1)
	v_cndmask_b32_e64 v202, v202, 0, s7
	v_add_nc_u32_e32 v201, v202, v201
	s_delay_alu instid0(VALU_DEP_1) | instskip(NEXT) | instid1(VALU_DEP_1)
	v_mov_b32_dpp v202, v201 row_shr:2 row_mask:0xf bank_mask:0xf
	v_cndmask_b32_e64 v202, 0, v202, s8
	s_delay_alu instid0(VALU_DEP_1) | instskip(NEXT) | instid1(VALU_DEP_1)
	v_add_nc_u32_e32 v201, v201, v202
	v_mov_b32_dpp v202, v201 row_shr:4 row_mask:0xf bank_mask:0xf
	s_delay_alu instid0(VALU_DEP_1) | instskip(NEXT) | instid1(VALU_DEP_1)
	v_cndmask_b32_e64 v202, 0, v202, s9
	v_add_nc_u32_e32 v201, v201, v202
	s_delay_alu instid0(VALU_DEP_1) | instskip(NEXT) | instid1(VALU_DEP_1)
	v_mov_b32_dpp v202, v201 row_shr:8 row_mask:0xf bank_mask:0xf
	v_cndmask_b32_e64 v202, 0, v202, s10
	s_delay_alu instid0(VALU_DEP_1) | instskip(SKIP_3) | instid1(VALU_DEP_1)
	v_add_nc_u32_e32 v201, v201, v202
	ds_swizzle_b32 v202, v201 offset:swizzle(BROADCAST,32,15)
	s_wait_dscnt 0x0
	v_cndmask_b32_e64 v202, v202, 0, s11
	v_add_nc_u32_e32 v201, v201, v202
	s_and_saveexec_b32 s15, s1
; %bb.1051:                             ;   in Loop: Header=BB523_982 Depth=2
	ds_store_b32 v85, v201 offset:1024
; %bb.1052:                             ;   in Loop: Header=BB523_982 Depth=2
	s_or_b32 exec_lo, exec_lo, s15
	s_wait_dscnt 0x0
	s_barrier_signal -1
	s_barrier_wait -1
	s_and_saveexec_b32 s15, s4
	s_cbranch_execz .LBB523_1054
; %bb.1053:                             ;   in Loop: Header=BB523_982 Depth=2
	ds_load_b32 v202, v93 offset:1024
	s_wait_dscnt 0x0
	v_mov_b32_dpp v203, v202 row_shr:1 row_mask:0xf bank_mask:0xf
	s_delay_alu instid0(VALU_DEP_1) | instskip(NEXT) | instid1(VALU_DEP_1)
	v_cndmask_b32_e64 v203, v203, 0, s12
	v_add_nc_u32_e32 v202, v203, v202
	s_delay_alu instid0(VALU_DEP_1) | instskip(NEXT) | instid1(VALU_DEP_1)
	v_mov_b32_dpp v203, v202 row_shr:2 row_mask:0xf bank_mask:0xf
	v_cndmask_b32_e64 v203, 0, v203, s13
	s_delay_alu instid0(VALU_DEP_1) | instskip(NEXT) | instid1(VALU_DEP_1)
	v_add_nc_u32_e32 v202, v202, v203
	v_mov_b32_dpp v203, v202 row_shr:4 row_mask:0xf bank_mask:0xf
	s_delay_alu instid0(VALU_DEP_1) | instskip(NEXT) | instid1(VALU_DEP_1)
	v_cndmask_b32_e64 v203, 0, v203, s14
	v_add_nc_u32_e32 v202, v202, v203
	ds_store_b32 v93, v202 offset:1024
.LBB523_1054:                           ;   in Loop: Header=BB523_982 Depth=2
	s_or_b32 exec_lo, exec_lo, s15
	v_mov_b32_e32 v202, 0
	s_wait_dscnt 0x0
	s_barrier_signal -1
	s_barrier_wait -1
	s_and_saveexec_b32 s15, s5
; %bb.1055:                             ;   in Loop: Header=BB523_982 Depth=2
	ds_load_b32 v202, v85 offset:1020
; %bb.1056:                             ;   in Loop: Header=BB523_982 Depth=2
	s_or_b32 exec_lo, exec_lo, s15
	s_wait_dscnt 0x0
	v_add_nc_u32_e32 v201, v202, v201
	ds_bpermute_b32 v201, v120, v201
	s_wait_dscnt 0x0
	v_cndmask_b32_e64 v201, v201, v202, s6
	s_delay_alu instid0(VALU_DEP_1) | instskip(NEXT) | instid1(VALU_DEP_1)
	v_cndmask_b32_e64 v201, v201, 0, s2
	v_add_nc_u32_e32 v68, v201, v68
	s_delay_alu instid0(VALU_DEP_1) | instskip(NEXT) | instid1(VALU_DEP_1)
	v_add_nc_u32_e32 v69, v68, v69
	v_add_nc_u32_e32 v66, v69, v66
	s_delay_alu instid0(VALU_DEP_1) | instskip(NEXT) | instid1(VALU_DEP_1)
	v_add_nc_u32_e32 v67, v66, v67
	v_add_nc_u32_e32 v64, v67, v64
	s_delay_alu instid0(VALU_DEP_1) | instskip(NEXT) | instid1(VALU_DEP_1)
	v_add_nc_u32_e32 v65, v64, v65
	v_add_nc_u32_e32 v62, v65, v62
	s_delay_alu instid0(VALU_DEP_1)
	v_add_nc_u32_e32 v63, v62, v63
	ds_store_2addr_b32 v5, v65, v62 offset1:1
	ds_store_2addr_b32 v117, v201, v68 offset1:1
	;; [unrolled: 1-line block ×4, first 2 shown]
	ds_store_b32 v91, v63 offset:1088
	s_wait_dscnt 0x0
	s_barrier_signal -1
	s_barrier_wait -1
	ds_load_b32 v65, v142 offset:1056
	ds_load_b32 v67, v146 offset:1056
	;; [unrolled: 1-line block ×17, first 2 shown]
	v_mov_b32_e32 v64, 0x1000
	s_and_saveexec_b32 s15, s3
; %bb.1057:                             ;   in Loop: Header=BB523_982 Depth=2
	ds_load_b32 v64, v91 offset:1092
; %bb.1058:                             ;   in Loop: Header=BB523_982 Depth=2
	s_or_b32 exec_lo, exec_lo, s15
	s_wait_dscnt 0x0
	s_barrier_signal -1
	s_barrier_wait -1
	s_and_saveexec_b32 s15, s0
	s_cbranch_execz .LBB523_1060
; %bb.1059:                             ;   in Loop: Header=BB523_982 Depth=2
	ds_load_b32 v154, v4
	s_wait_dscnt 0x0
	v_sub_nc_u32_e32 v150, v154, v150
	ds_store_b32 v4, v150
.LBB523_1060:                           ;   in Loop: Header=BB523_982 Depth=2
	s_or_b32 exec_lo, exec_lo, s15
	v_add3_u32 v158, v145, v144, v67
	v_add_nc_u32_e32 v162, v65, v141
	v_add3_u32 v154, v149, v148, v68
	v_add3_u32 v150, v153, v152, v69
	;; [unrolled: 1-line block ×4, first 2 shown]
	v_lshlrev_b32_e32 v62, 2, v158
	v_lshlrev_b32_e32 v152, 2, v162
	v_add3_u32 v149, v157, v156, v142
	v_add3_u32 v146, v165, v164, v201
	;; [unrolled: 1-line block ×4, first 2 shown]
	v_lshlrev_b32_e32 v63, 2, v154
	v_add3_u32 v144, v173, v172, v174
	v_lshlrev_b32_e32 v153, 2, v148
	ds_store_b32 v152, v139 offset:1024
	v_lshlrev_b32_e32 v139, 2, v150
	v_add3_u32 v142, v177, v176, v178
	v_lshlrev_b32_e32 v152, 2, v149
	v_add3_u32 v141, v181, v180, v182
	v_add3_u32 v65, v185, v184, v186
	ds_store_b32 v62, v140 offset:1024
	ds_store_b32 v63, v143 offset:1024
	;; [unrolled: 1-line block ×5, first 2 shown]
	v_dual_lshlrev_b32 v62, 2, v146 :: v_dual_lshlrev_b32 v139, 2, v144
	v_lshlrev_b32_e32 v63, 2, v145
	v_add3_u32 v67, v196, v195, v66
	v_dual_lshlrev_b32 v140, 2, v142 :: v_dual_lshlrev_b32 v143, 2, v141
	v_add3_u32 v66, v199, v198, v166
	ds_store_b32 v62, v159 offset:1024
	ds_store_b32 v63, v163 offset:1024
	;; [unrolled: 1-line block ×5, first 2 shown]
	v_dual_lshlrev_b32 v62, 2, v65 :: v_dual_lshlrev_b32 v139, 2, v68
	v_cmp_lt_u32_e32 vcc_lo, v2, v137
	v_dual_lshlrev_b32 v63, 2, v69 :: v_dual_lshlrev_b32 v140, 2, v67
	v_lshlrev_b32_e32 v143, 2, v66
	ds_store_b32 v62, v179 offset:1024
	ds_store_b32 v63, v183 offset:1024
	;; [unrolled: 1-line block ×5, first 2 shown]
	s_wait_dscnt 0x0
	s_barrier_signal -1
	s_barrier_wait -1
	s_and_saveexec_b32 s15, vcc_lo
	s_cbranch_execnz .LBB523_1129
; %bb.1061:                             ;   in Loop: Header=BB523_982 Depth=2
	s_or_b32 exec_lo, exec_lo, s15
	v_cmp_lt_u32_e64 s15, v3, v137
	s_and_saveexec_b32 s16, s15
	s_cbranch_execnz .LBB523_1130
.LBB523_1062:                           ;   in Loop: Header=BB523_982 Depth=2
	s_or_b32 exec_lo, exec_lo, s16
	v_cmp_lt_u32_e64 s16, v70, v137
	s_and_saveexec_b32 s17, s16
	s_cbranch_execnz .LBB523_1131
.LBB523_1063:                           ;   in Loop: Header=BB523_982 Depth=2
	s_or_b32 exec_lo, exec_lo, s17
	v_cmp_lt_u32_e64 s17, v71, v137
	s_and_saveexec_b32 s18, s17
	s_cbranch_execnz .LBB523_1132
.LBB523_1064:                           ;   in Loop: Header=BB523_982 Depth=2
	s_or_b32 exec_lo, exec_lo, s18
	v_cmp_lt_u32_e64 s18, v72, v137
	s_and_saveexec_b32 s19, s18
	s_cbranch_execnz .LBB523_1133
.LBB523_1065:                           ;   in Loop: Header=BB523_982 Depth=2
	s_or_b32 exec_lo, exec_lo, s19
	v_cmp_lt_u32_e64 s19, v73, v137
	s_and_saveexec_b32 s20, s19
	s_cbranch_execnz .LBB523_1134
.LBB523_1066:                           ;   in Loop: Header=BB523_982 Depth=2
	s_or_b32 exec_lo, exec_lo, s20
	v_cmp_lt_u32_e64 s20, v74, v137
	s_and_saveexec_b32 s21, s20
	s_cbranch_execnz .LBB523_1135
.LBB523_1067:                           ;   in Loop: Header=BB523_982 Depth=2
	s_or_b32 exec_lo, exec_lo, s21
	v_cmp_lt_u32_e64 s21, v75, v137
	s_and_saveexec_b32 s22, s21
	s_cbranch_execnz .LBB523_1136
.LBB523_1068:                           ;   in Loop: Header=BB523_982 Depth=2
	s_or_b32 exec_lo, exec_lo, s22
	v_cmp_lt_u32_e64 s22, v76, v137
	s_and_saveexec_b32 s23, s22
	s_cbranch_execnz .LBB523_1137
.LBB523_1069:                           ;   in Loop: Header=BB523_982 Depth=2
	s_or_b32 exec_lo, exec_lo, s23
	v_cmp_lt_u32_e64 s23, v77, v137
	s_and_saveexec_b32 s24, s23
	s_cbranch_execnz .LBB523_1138
.LBB523_1070:                           ;   in Loop: Header=BB523_982 Depth=2
	s_or_b32 exec_lo, exec_lo, s24
	v_cmp_lt_u32_e64 s24, v78, v137
	s_and_saveexec_b32 s25, s24
	s_cbranch_execnz .LBB523_1139
.LBB523_1071:                           ;   in Loop: Header=BB523_982 Depth=2
	s_or_b32 exec_lo, exec_lo, s25
	v_cmp_lt_u32_e64 s25, v79, v137
	s_and_saveexec_b32 s26, s25
	s_cbranch_execnz .LBB523_1140
.LBB523_1072:                           ;   in Loop: Header=BB523_982 Depth=2
	s_or_b32 exec_lo, exec_lo, s26
	v_cmp_lt_u32_e64 s26, v80, v137
	s_and_saveexec_b32 s27, s26
	s_cbranch_execnz .LBB523_1141
.LBB523_1073:                           ;   in Loop: Header=BB523_982 Depth=2
	s_or_b32 exec_lo, exec_lo, s27
	v_cmp_lt_u32_e64 s27, v81, v137
	s_and_saveexec_b32 s28, s27
	s_cbranch_execnz .LBB523_1142
.LBB523_1074:                           ;   in Loop: Header=BB523_982 Depth=2
	s_or_b32 exec_lo, exec_lo, s28
	v_cmp_lt_u32_e64 s28, v82, v137
	s_and_saveexec_b32 s29, s28
	s_cbranch_execnz .LBB523_1143
.LBB523_1075:                           ;   in Loop: Header=BB523_982 Depth=2
	s_or_b32 exec_lo, exec_lo, s29
	v_cmp_lt_u32_e64 s29, v83, v137
	s_and_saveexec_b32 s57, s29
	s_cbranch_execz .LBB523_1077
.LBB523_1076:                           ;   in Loop: Header=BB523_982 Depth=2
	ds_load_b32 v62, v93 offset:16384
	s_wait_dscnt 0x0
	v_lshrrev_b32_e32 v63, s49, v62
	v_xor_b32_e32 v62, 0x7fffffff, v62
	s_delay_alu instid0(VALU_DEP_2) | instskip(NEXT) | instid1(VALU_DEP_1)
	v_and_b32_e32 v63, s48, v63
	v_lshlrev_b32_e32 v63, 2, v63
	ds_load_b32 v63, v63
	s_wait_dscnt 0x0
	v_add_nc_u32_e32 v63, v63, v83
	global_store_b32 v63, v62, s[40:41] scale_offset
.LBB523_1077:                           ;   in Loop: Header=BB523_982 Depth=2
	s_wait_xcnt 0x0
	s_or_b32 exec_lo, exec_lo, s57
	v_lshl_add_u64 v[62:63], s[30:31], 3, v[26:27]
	v_cmp_lt_u32_e64 s30, v99, v137
	s_and_saveexec_b32 s57, s30
	s_delay_alu instid0(SALU_CYCLE_1)
	s_xor_b32 s30, exec_lo, s57
	s_cbranch_execnz .LBB523_1144
; %bb.1078:                             ;   in Loop: Header=BB523_982 Depth=2
	s_or_b32 exec_lo, exec_lo, s30
	s_delay_alu instid0(SALU_CYCLE_1)
	s_mov_b32 s57, exec_lo
	v_cmpx_lt_u32_e64 v102, v137
	s_cbranch_execnz .LBB523_1145
.LBB523_1079:                           ;   in Loop: Header=BB523_982 Depth=2
	s_or_b32 exec_lo, exec_lo, s57
	s_delay_alu instid0(SALU_CYCLE_1)
	s_mov_b32 s57, exec_lo
	v_cmpx_lt_u32_e64 v103, v137
	s_cbranch_execnz .LBB523_1146
.LBB523_1080:                           ;   in Loop: Header=BB523_982 Depth=2
	s_or_b32 exec_lo, exec_lo, s57
	s_delay_alu instid0(SALU_CYCLE_1)
	s_mov_b32 s57, exec_lo
	v_cmpx_lt_u32_e64 v104, v137
	s_cbranch_execnz .LBB523_1147
.LBB523_1081:                           ;   in Loop: Header=BB523_982 Depth=2
	s_or_b32 exec_lo, exec_lo, s57
	s_delay_alu instid0(SALU_CYCLE_1)
	s_mov_b32 s57, exec_lo
	v_cmpx_lt_u32_e64 v105, v137
	s_cbranch_execnz .LBB523_1148
.LBB523_1082:                           ;   in Loop: Header=BB523_982 Depth=2
	s_or_b32 exec_lo, exec_lo, s57
	s_delay_alu instid0(SALU_CYCLE_1)
	s_mov_b32 s57, exec_lo
	v_cmpx_lt_u32_e64 v106, v137
	s_cbranch_execnz .LBB523_1149
.LBB523_1083:                           ;   in Loop: Header=BB523_982 Depth=2
	s_or_b32 exec_lo, exec_lo, s57
	s_delay_alu instid0(SALU_CYCLE_1)
	s_mov_b32 s57, exec_lo
	v_cmpx_lt_u32_e64 v107, v137
	s_cbranch_execnz .LBB523_1150
.LBB523_1084:                           ;   in Loop: Header=BB523_982 Depth=2
	s_or_b32 exec_lo, exec_lo, s57
	s_delay_alu instid0(SALU_CYCLE_1)
	s_mov_b32 s57, exec_lo
	v_cmpx_lt_u32_e64 v108, v137
	s_cbranch_execnz .LBB523_1151
.LBB523_1085:                           ;   in Loop: Header=BB523_982 Depth=2
	s_or_b32 exec_lo, exec_lo, s57
	s_delay_alu instid0(SALU_CYCLE_1)
	s_mov_b32 s57, exec_lo
	v_cmpx_lt_u32_e64 v109, v137
	s_cbranch_execnz .LBB523_1152
.LBB523_1086:                           ;   in Loop: Header=BB523_982 Depth=2
	s_or_b32 exec_lo, exec_lo, s57
	s_delay_alu instid0(SALU_CYCLE_1)
	s_mov_b32 s57, exec_lo
	v_cmpx_lt_u32_e64 v110, v137
	s_cbranch_execnz .LBB523_1153
.LBB523_1087:                           ;   in Loop: Header=BB523_982 Depth=2
	s_or_b32 exec_lo, exec_lo, s57
	s_delay_alu instid0(SALU_CYCLE_1)
	s_mov_b32 s57, exec_lo
	v_cmpx_lt_u32_e64 v111, v137
	s_cbranch_execnz .LBB523_1154
.LBB523_1088:                           ;   in Loop: Header=BB523_982 Depth=2
	s_or_b32 exec_lo, exec_lo, s57
	s_delay_alu instid0(SALU_CYCLE_1)
	s_mov_b32 s57, exec_lo
	v_cmpx_lt_u32_e64 v112, v137
	s_cbranch_execnz .LBB523_1155
.LBB523_1089:                           ;   in Loop: Header=BB523_982 Depth=2
	s_or_b32 exec_lo, exec_lo, s57
	s_delay_alu instid0(SALU_CYCLE_1)
	s_mov_b32 s57, exec_lo
	v_cmpx_lt_u32_e64 v113, v137
	s_cbranch_execnz .LBB523_1156
.LBB523_1090:                           ;   in Loop: Header=BB523_982 Depth=2
	s_or_b32 exec_lo, exec_lo, s57
	s_delay_alu instid0(SALU_CYCLE_1)
	s_mov_b32 s57, exec_lo
	v_cmpx_lt_u32_e64 v114, v137
	s_cbranch_execnz .LBB523_1157
.LBB523_1091:                           ;   in Loop: Header=BB523_982 Depth=2
	s_or_b32 exec_lo, exec_lo, s57
	s_delay_alu instid0(SALU_CYCLE_1)
	s_mov_b32 s57, exec_lo
	v_cmpx_lt_u32_e64 v115, v137
	s_cbranch_execnz .LBB523_1158
.LBB523_1092:                           ;   in Loop: Header=BB523_982 Depth=2
	s_or_b32 exec_lo, exec_lo, s57
	s_delay_alu instid0(SALU_CYCLE_1)
	s_mov_b32 s57, exec_lo
	v_cmpx_lt_u32_e64 v116, v137
	s_cbranch_execnz .LBB523_1159
.LBB523_1093:                           ;   in Loop: Header=BB523_982 Depth=2
	s_or_b32 exec_lo, exec_lo, s57
	s_and_saveexec_b32 s30, vcc_lo
	s_cbranch_execnz .LBB523_1160
.LBB523_1094:                           ;   in Loop: Header=BB523_982 Depth=2
	s_or_b32 exec_lo, exec_lo, s30
	s_and_saveexec_b32 s30, s15
	s_cbranch_execnz .LBB523_1161
.LBB523_1095:                           ;   in Loop: Header=BB523_982 Depth=2
	s_or_b32 exec_lo, exec_lo, s30
	s_and_saveexec_b32 s30, s16
	s_cbranch_execnz .LBB523_1162
.LBB523_1096:                           ;   in Loop: Header=BB523_982 Depth=2
	s_or_b32 exec_lo, exec_lo, s30
	s_and_saveexec_b32 s30, s17
	s_cbranch_execnz .LBB523_1163
.LBB523_1097:                           ;   in Loop: Header=BB523_982 Depth=2
	s_or_b32 exec_lo, exec_lo, s30
	s_and_saveexec_b32 s30, s18
	s_cbranch_execnz .LBB523_1164
.LBB523_1098:                           ;   in Loop: Header=BB523_982 Depth=2
	s_or_b32 exec_lo, exec_lo, s30
	s_and_saveexec_b32 s30, s19
	s_cbranch_execnz .LBB523_1165
.LBB523_1099:                           ;   in Loop: Header=BB523_982 Depth=2
	s_or_b32 exec_lo, exec_lo, s30
	s_and_saveexec_b32 s30, s20
	s_cbranch_execnz .LBB523_1166
.LBB523_1100:                           ;   in Loop: Header=BB523_982 Depth=2
	s_or_b32 exec_lo, exec_lo, s30
	s_and_saveexec_b32 s30, s21
	s_cbranch_execnz .LBB523_1167
.LBB523_1101:                           ;   in Loop: Header=BB523_982 Depth=2
	s_or_b32 exec_lo, exec_lo, s30
	s_and_saveexec_b32 s30, s22
	s_cbranch_execnz .LBB523_1168
.LBB523_1102:                           ;   in Loop: Header=BB523_982 Depth=2
	s_or_b32 exec_lo, exec_lo, s30
	s_and_saveexec_b32 s30, s23
	s_cbranch_execnz .LBB523_1169
.LBB523_1103:                           ;   in Loop: Header=BB523_982 Depth=2
	s_or_b32 exec_lo, exec_lo, s30
	s_and_saveexec_b32 s30, s24
	s_cbranch_execnz .LBB523_1170
.LBB523_1104:                           ;   in Loop: Header=BB523_982 Depth=2
	s_or_b32 exec_lo, exec_lo, s30
	s_and_saveexec_b32 s30, s25
	s_cbranch_execnz .LBB523_1171
.LBB523_1105:                           ;   in Loop: Header=BB523_982 Depth=2
	s_or_b32 exec_lo, exec_lo, s30
	s_and_saveexec_b32 s30, s26
	s_cbranch_execnz .LBB523_1172
.LBB523_1106:                           ;   in Loop: Header=BB523_982 Depth=2
	s_or_b32 exec_lo, exec_lo, s30
	s_and_saveexec_b32 s30, s27
	s_cbranch_execnz .LBB523_1173
.LBB523_1107:                           ;   in Loop: Header=BB523_982 Depth=2
	s_or_b32 exec_lo, exec_lo, s30
	s_and_saveexec_b32 s30, s28
	s_cbranch_execnz .LBB523_1174
.LBB523_1108:                           ;   in Loop: Header=BB523_982 Depth=2
	s_or_b32 exec_lo, exec_lo, s30
	s_and_saveexec_b32 s30, s29
	s_cbranch_execz .LBB523_1110
.LBB523_1109:                           ;   in Loop: Header=BB523_982 Depth=2
	ds_load_b32 v62, v93 offset:16384
	s_wait_dscnt 0x0
	v_lshrrev_b32_e32 v62, s49, v62
	s_delay_alu instid0(VALU_DEP_1)
	v_and_b32_e32 v121, s48, v62
.LBB523_1110:                           ;   in Loop: Header=BB523_982 Depth=2
	s_or_b32 exec_lo, exec_lo, s30
	v_dual_lshlrev_b32 v62, 3, v162 :: v_dual_lshlrev_b32 v138, 3, v149
	s_wait_loadcnt 0x0
	s_wait_storecnt 0x0
	s_barrier_signal -1
	s_barrier_wait -1
	ds_store_b64 v62, v[60:61] offset:1024
	v_dual_lshlrev_b32 v62, 3, v158 :: v_dual_lshlrev_b32 v139, 3, v148
	v_lshlrev_b32_e32 v63, 3, v154
	v_lshlrev_b32_e32 v137, 3, v150
	ds_store_b64 v62, v[58:59] offset:1024
	ds_store_b64 v63, v[56:57] offset:1024
	ds_store_b64 v137, v[54:55] offset:1024
	ds_store_b64 v138, v[52:53] offset:1024
	ds_store_b64 v139, v[50:51] offset:1024
	v_dual_lshlrev_b32 v62, 3, v146 :: v_dual_lshlrev_b32 v139, 3, v141
	v_dual_lshlrev_b32 v63, 3, v145 :: v_dual_lshlrev_b32 v137, 3, v144
	v_lshlrev_b32_e32 v138, 3, v142
	ds_store_b64 v62, v[48:49] offset:1024
	ds_store_b64 v63, v[46:47] offset:1024
	ds_store_b64 v137, v[44:45] offset:1024
	ds_store_b64 v138, v[42:43] offset:1024
	ds_store_b64 v139, v[40:41] offset:1024
	v_lshlrev_b32_e32 v62, 3, v65
	v_dual_lshlrev_b32 v63, 3, v69 :: v_dual_lshlrev_b32 v65, 3, v68
	v_dual_lshlrev_b32 v67, 3, v67 :: v_dual_lshlrev_b32 v66, 3, v66
	ds_store_b64 v62, v[38:39] offset:1024
	ds_store_b64 v63, v[36:37] offset:1024
	;; [unrolled: 1-line block ×5, first 2 shown]
	v_add_nc_u32_e32 v62, v93, v4
	s_wait_dscnt 0x0
	s_barrier_signal -1
	s_barrier_wait -1
	s_and_saveexec_b32 s30, vcc_lo
	s_cbranch_execnz .LBB523_1175
; %bb.1111:                             ;   in Loop: Header=BB523_982 Depth=2
	s_or_b32 exec_lo, exec_lo, s30
	s_and_saveexec_b32 s30, s15
	s_cbranch_execnz .LBB523_1176
.LBB523_1112:                           ;   in Loop: Header=BB523_982 Depth=2
	s_or_b32 exec_lo, exec_lo, s30
	s_and_saveexec_b32 s15, s16
	s_cbranch_execnz .LBB523_1177
.LBB523_1113:                           ;   in Loop: Header=BB523_982 Depth=2
	s_or_b32 exec_lo, exec_lo, s15
	s_and_saveexec_b32 s15, s17
	s_cbranch_execnz .LBB523_1178
.LBB523_1114:                           ;   in Loop: Header=BB523_982 Depth=2
	s_or_b32 exec_lo, exec_lo, s15
	s_and_saveexec_b32 s15, s18
	s_cbranch_execnz .LBB523_1179
.LBB523_1115:                           ;   in Loop: Header=BB523_982 Depth=2
	s_or_b32 exec_lo, exec_lo, s15
	s_and_saveexec_b32 s15, s19
	s_cbranch_execnz .LBB523_1180
.LBB523_1116:                           ;   in Loop: Header=BB523_982 Depth=2
	s_or_b32 exec_lo, exec_lo, s15
	s_and_saveexec_b32 s15, s20
	s_cbranch_execnz .LBB523_1181
.LBB523_1117:                           ;   in Loop: Header=BB523_982 Depth=2
	s_or_b32 exec_lo, exec_lo, s15
	s_and_saveexec_b32 s15, s21
	s_cbranch_execnz .LBB523_1182
.LBB523_1118:                           ;   in Loop: Header=BB523_982 Depth=2
	s_or_b32 exec_lo, exec_lo, s15
	s_and_saveexec_b32 s15, s22
	s_cbranch_execnz .LBB523_1183
.LBB523_1119:                           ;   in Loop: Header=BB523_982 Depth=2
	s_or_b32 exec_lo, exec_lo, s15
	s_and_saveexec_b32 s15, s23
	s_cbranch_execnz .LBB523_1184
.LBB523_1120:                           ;   in Loop: Header=BB523_982 Depth=2
	s_or_b32 exec_lo, exec_lo, s15
	s_and_saveexec_b32 s15, s24
	s_cbranch_execnz .LBB523_1185
.LBB523_1121:                           ;   in Loop: Header=BB523_982 Depth=2
	s_or_b32 exec_lo, exec_lo, s15
	s_and_saveexec_b32 s15, s25
	s_cbranch_execnz .LBB523_1186
.LBB523_1122:                           ;   in Loop: Header=BB523_982 Depth=2
	s_or_b32 exec_lo, exec_lo, s15
	s_and_saveexec_b32 s15, s26
	s_cbranch_execnz .LBB523_1187
.LBB523_1123:                           ;   in Loop: Header=BB523_982 Depth=2
	s_or_b32 exec_lo, exec_lo, s15
	s_and_saveexec_b32 s15, s27
	s_cbranch_execnz .LBB523_1188
.LBB523_1124:                           ;   in Loop: Header=BB523_982 Depth=2
	s_or_b32 exec_lo, exec_lo, s15
	s_and_saveexec_b32 s15, s28
	s_cbranch_execnz .LBB523_1189
.LBB523_1125:                           ;   in Loop: Header=BB523_982 Depth=2
	s_or_b32 exec_lo, exec_lo, s15
	s_and_saveexec_b32 s15, s29
	s_cbranch_execz .LBB523_1127
.LBB523_1126:                           ;   in Loop: Header=BB523_982 Depth=2
	v_lshlrev_b32_e32 v63, 2, v121
	ds_load_b32 v65, v63
	ds_load_b64 v[62:63], v62 offset:31744
	s_wait_dscnt 0x1
	v_add_nc_u32_e32 v65, v65, v83
	s_wait_dscnt 0x0
	global_store_b64 v65, v[62:63], s[46:47] scale_offset
.LBB523_1127:                           ;   in Loop: Header=BB523_982 Depth=2
	s_wait_xcnt 0x0
	s_or_b32 exec_lo, exec_lo, s15
	s_wait_storecnt 0x0
	s_barrier_signal -1
	s_barrier_wait -1
	s_and_saveexec_b32 s15, s0
	s_cbranch_execz .LBB523_981
; %bb.1128:                             ;   in Loop: Header=BB523_982 Depth=2
	ds_load_b32 v62, v4
	s_wait_dscnt 0x0
	v_add_nc_u32_e32 v62, v62, v64
	ds_store_b32 v4, v62
	s_branch .LBB523_981
.LBB523_1129:                           ;   in Loop: Header=BB523_982 Depth=2
	ds_load_b32 v62, v93 offset:1024
	s_wait_dscnt 0x0
	v_lshrrev_b32_e32 v63, s49, v62
	v_xor_b32_e32 v62, 0x7fffffff, v62
	s_delay_alu instid0(VALU_DEP_2) | instskip(NEXT) | instid1(VALU_DEP_1)
	v_and_b32_e32 v63, s48, v63
	v_lshlrev_b32_e32 v63, 2, v63
	ds_load_b32 v63, v63
	s_wait_dscnt 0x0
	v_add_nc_u32_e32 v63, v63, v2
	global_store_b32 v63, v62, s[40:41] scale_offset
	s_wait_xcnt 0x0
	s_or_b32 exec_lo, exec_lo, s15
	v_cmp_lt_u32_e64 s15, v3, v137
	s_and_saveexec_b32 s16, s15
	s_cbranch_execz .LBB523_1062
.LBB523_1130:                           ;   in Loop: Header=BB523_982 Depth=2
	ds_load_b32 v62, v93 offset:2048
	s_wait_dscnt 0x0
	v_lshrrev_b32_e32 v63, s49, v62
	v_xor_b32_e32 v62, 0x7fffffff, v62
	s_delay_alu instid0(VALU_DEP_2) | instskip(NEXT) | instid1(VALU_DEP_1)
	v_and_b32_e32 v63, s48, v63
	v_lshlrev_b32_e32 v63, 2, v63
	ds_load_b32 v63, v63
	s_wait_dscnt 0x0
	v_add_nc_u32_e32 v63, v63, v3
	global_store_b32 v63, v62, s[40:41] scale_offset
	s_wait_xcnt 0x0
	s_or_b32 exec_lo, exec_lo, s16
	v_cmp_lt_u32_e64 s16, v70, v137
	s_and_saveexec_b32 s17, s16
	s_cbranch_execz .LBB523_1063
.LBB523_1131:                           ;   in Loop: Header=BB523_982 Depth=2
	ds_load_b32 v62, v93 offset:3072
	s_wait_dscnt 0x0
	v_lshrrev_b32_e32 v63, s49, v62
	v_xor_b32_e32 v62, 0x7fffffff, v62
	s_delay_alu instid0(VALU_DEP_2) | instskip(NEXT) | instid1(VALU_DEP_1)
	v_and_b32_e32 v63, s48, v63
	v_lshlrev_b32_e32 v63, 2, v63
	ds_load_b32 v63, v63
	s_wait_dscnt 0x0
	v_add_nc_u32_e32 v63, v63, v70
	global_store_b32 v63, v62, s[40:41] scale_offset
	s_wait_xcnt 0x0
	s_or_b32 exec_lo, exec_lo, s17
	v_cmp_lt_u32_e64 s17, v71, v137
	s_and_saveexec_b32 s18, s17
	s_cbranch_execz .LBB523_1064
.LBB523_1132:                           ;   in Loop: Header=BB523_982 Depth=2
	ds_load_b32 v62, v93 offset:4096
	s_wait_dscnt 0x0
	v_lshrrev_b32_e32 v63, s49, v62
	v_xor_b32_e32 v62, 0x7fffffff, v62
	s_delay_alu instid0(VALU_DEP_2) | instskip(NEXT) | instid1(VALU_DEP_1)
	v_and_b32_e32 v63, s48, v63
	v_lshlrev_b32_e32 v63, 2, v63
	ds_load_b32 v63, v63
	s_wait_dscnt 0x0
	v_add_nc_u32_e32 v63, v63, v71
	global_store_b32 v63, v62, s[40:41] scale_offset
	s_wait_xcnt 0x0
	s_or_b32 exec_lo, exec_lo, s18
	v_cmp_lt_u32_e64 s18, v72, v137
	s_and_saveexec_b32 s19, s18
	s_cbranch_execz .LBB523_1065
.LBB523_1133:                           ;   in Loop: Header=BB523_982 Depth=2
	ds_load_b32 v62, v93 offset:5120
	s_wait_dscnt 0x0
	v_lshrrev_b32_e32 v63, s49, v62
	v_xor_b32_e32 v62, 0x7fffffff, v62
	s_delay_alu instid0(VALU_DEP_2) | instskip(NEXT) | instid1(VALU_DEP_1)
	v_and_b32_e32 v63, s48, v63
	v_lshlrev_b32_e32 v63, 2, v63
	ds_load_b32 v63, v63
	s_wait_dscnt 0x0
	v_add_nc_u32_e32 v63, v63, v72
	global_store_b32 v63, v62, s[40:41] scale_offset
	s_wait_xcnt 0x0
	s_or_b32 exec_lo, exec_lo, s19
	v_cmp_lt_u32_e64 s19, v73, v137
	s_and_saveexec_b32 s20, s19
	s_cbranch_execz .LBB523_1066
.LBB523_1134:                           ;   in Loop: Header=BB523_982 Depth=2
	ds_load_b32 v62, v93 offset:6144
	s_wait_dscnt 0x0
	v_lshrrev_b32_e32 v63, s49, v62
	v_xor_b32_e32 v62, 0x7fffffff, v62
	s_delay_alu instid0(VALU_DEP_2) | instskip(NEXT) | instid1(VALU_DEP_1)
	v_and_b32_e32 v63, s48, v63
	v_lshlrev_b32_e32 v63, 2, v63
	ds_load_b32 v63, v63
	s_wait_dscnt 0x0
	v_add_nc_u32_e32 v63, v63, v73
	global_store_b32 v63, v62, s[40:41] scale_offset
	s_wait_xcnt 0x0
	s_or_b32 exec_lo, exec_lo, s20
	v_cmp_lt_u32_e64 s20, v74, v137
	s_and_saveexec_b32 s21, s20
	s_cbranch_execz .LBB523_1067
.LBB523_1135:                           ;   in Loop: Header=BB523_982 Depth=2
	ds_load_b32 v62, v93 offset:7168
	s_wait_dscnt 0x0
	v_lshrrev_b32_e32 v63, s49, v62
	v_xor_b32_e32 v62, 0x7fffffff, v62
	s_delay_alu instid0(VALU_DEP_2) | instskip(NEXT) | instid1(VALU_DEP_1)
	v_and_b32_e32 v63, s48, v63
	v_lshlrev_b32_e32 v63, 2, v63
	ds_load_b32 v63, v63
	s_wait_dscnt 0x0
	v_add_nc_u32_e32 v63, v63, v74
	global_store_b32 v63, v62, s[40:41] scale_offset
	s_wait_xcnt 0x0
	s_or_b32 exec_lo, exec_lo, s21
	v_cmp_lt_u32_e64 s21, v75, v137
	s_and_saveexec_b32 s22, s21
	s_cbranch_execz .LBB523_1068
.LBB523_1136:                           ;   in Loop: Header=BB523_982 Depth=2
	ds_load_b32 v62, v93 offset:8192
	s_wait_dscnt 0x0
	v_lshrrev_b32_e32 v63, s49, v62
	v_xor_b32_e32 v62, 0x7fffffff, v62
	s_delay_alu instid0(VALU_DEP_2) | instskip(NEXT) | instid1(VALU_DEP_1)
	v_and_b32_e32 v63, s48, v63
	v_lshlrev_b32_e32 v63, 2, v63
	ds_load_b32 v63, v63
	s_wait_dscnt 0x0
	v_add_nc_u32_e32 v63, v63, v75
	global_store_b32 v63, v62, s[40:41] scale_offset
	s_wait_xcnt 0x0
	s_or_b32 exec_lo, exec_lo, s22
	v_cmp_lt_u32_e64 s22, v76, v137
	s_and_saveexec_b32 s23, s22
	s_cbranch_execz .LBB523_1069
.LBB523_1137:                           ;   in Loop: Header=BB523_982 Depth=2
	ds_load_b32 v62, v93 offset:9216
	s_wait_dscnt 0x0
	v_lshrrev_b32_e32 v63, s49, v62
	v_xor_b32_e32 v62, 0x7fffffff, v62
	s_delay_alu instid0(VALU_DEP_2) | instskip(NEXT) | instid1(VALU_DEP_1)
	v_and_b32_e32 v63, s48, v63
	v_lshlrev_b32_e32 v63, 2, v63
	ds_load_b32 v63, v63
	s_wait_dscnt 0x0
	v_add_nc_u32_e32 v63, v63, v76
	global_store_b32 v63, v62, s[40:41] scale_offset
	s_wait_xcnt 0x0
	s_or_b32 exec_lo, exec_lo, s23
	v_cmp_lt_u32_e64 s23, v77, v137
	s_and_saveexec_b32 s24, s23
	s_cbranch_execz .LBB523_1070
.LBB523_1138:                           ;   in Loop: Header=BB523_982 Depth=2
	ds_load_b32 v62, v93 offset:10240
	s_wait_dscnt 0x0
	v_lshrrev_b32_e32 v63, s49, v62
	v_xor_b32_e32 v62, 0x7fffffff, v62
	s_delay_alu instid0(VALU_DEP_2) | instskip(NEXT) | instid1(VALU_DEP_1)
	v_and_b32_e32 v63, s48, v63
	v_lshlrev_b32_e32 v63, 2, v63
	ds_load_b32 v63, v63
	s_wait_dscnt 0x0
	v_add_nc_u32_e32 v63, v63, v77
	global_store_b32 v63, v62, s[40:41] scale_offset
	s_wait_xcnt 0x0
	s_or_b32 exec_lo, exec_lo, s24
	v_cmp_lt_u32_e64 s24, v78, v137
	s_and_saveexec_b32 s25, s24
	s_cbranch_execz .LBB523_1071
.LBB523_1139:                           ;   in Loop: Header=BB523_982 Depth=2
	ds_load_b32 v62, v93 offset:11264
	s_wait_dscnt 0x0
	v_lshrrev_b32_e32 v63, s49, v62
	v_xor_b32_e32 v62, 0x7fffffff, v62
	s_delay_alu instid0(VALU_DEP_2) | instskip(NEXT) | instid1(VALU_DEP_1)
	v_and_b32_e32 v63, s48, v63
	v_lshlrev_b32_e32 v63, 2, v63
	ds_load_b32 v63, v63
	s_wait_dscnt 0x0
	v_add_nc_u32_e32 v63, v63, v78
	global_store_b32 v63, v62, s[40:41] scale_offset
	s_wait_xcnt 0x0
	s_or_b32 exec_lo, exec_lo, s25
	v_cmp_lt_u32_e64 s25, v79, v137
	s_and_saveexec_b32 s26, s25
	s_cbranch_execz .LBB523_1072
.LBB523_1140:                           ;   in Loop: Header=BB523_982 Depth=2
	ds_load_b32 v62, v93 offset:12288
	s_wait_dscnt 0x0
	v_lshrrev_b32_e32 v63, s49, v62
	v_xor_b32_e32 v62, 0x7fffffff, v62
	s_delay_alu instid0(VALU_DEP_2) | instskip(NEXT) | instid1(VALU_DEP_1)
	v_and_b32_e32 v63, s48, v63
	v_lshlrev_b32_e32 v63, 2, v63
	ds_load_b32 v63, v63
	s_wait_dscnt 0x0
	v_add_nc_u32_e32 v63, v63, v79
	global_store_b32 v63, v62, s[40:41] scale_offset
	s_wait_xcnt 0x0
	s_or_b32 exec_lo, exec_lo, s26
	v_cmp_lt_u32_e64 s26, v80, v137
	s_and_saveexec_b32 s27, s26
	s_cbranch_execz .LBB523_1073
.LBB523_1141:                           ;   in Loop: Header=BB523_982 Depth=2
	ds_load_b32 v62, v93 offset:13312
	s_wait_dscnt 0x0
	v_lshrrev_b32_e32 v63, s49, v62
	v_xor_b32_e32 v62, 0x7fffffff, v62
	s_delay_alu instid0(VALU_DEP_2) | instskip(NEXT) | instid1(VALU_DEP_1)
	v_and_b32_e32 v63, s48, v63
	v_lshlrev_b32_e32 v63, 2, v63
	ds_load_b32 v63, v63
	s_wait_dscnt 0x0
	v_add_nc_u32_e32 v63, v63, v80
	global_store_b32 v63, v62, s[40:41] scale_offset
	s_wait_xcnt 0x0
	s_or_b32 exec_lo, exec_lo, s27
	v_cmp_lt_u32_e64 s27, v81, v137
	s_and_saveexec_b32 s28, s27
	s_cbranch_execz .LBB523_1074
.LBB523_1142:                           ;   in Loop: Header=BB523_982 Depth=2
	ds_load_b32 v62, v93 offset:14336
	s_wait_dscnt 0x0
	v_lshrrev_b32_e32 v63, s49, v62
	v_xor_b32_e32 v62, 0x7fffffff, v62
	s_delay_alu instid0(VALU_DEP_2) | instskip(NEXT) | instid1(VALU_DEP_1)
	v_and_b32_e32 v63, s48, v63
	v_lshlrev_b32_e32 v63, 2, v63
	ds_load_b32 v63, v63
	s_wait_dscnt 0x0
	v_add_nc_u32_e32 v63, v63, v81
	global_store_b32 v63, v62, s[40:41] scale_offset
	s_wait_xcnt 0x0
	s_or_b32 exec_lo, exec_lo, s28
	v_cmp_lt_u32_e64 s28, v82, v137
	s_and_saveexec_b32 s29, s28
	s_cbranch_execz .LBB523_1075
.LBB523_1143:                           ;   in Loop: Header=BB523_982 Depth=2
	ds_load_b32 v62, v93 offset:15360
	s_wait_dscnt 0x0
	v_lshrrev_b32_e32 v63, s49, v62
	v_xor_b32_e32 v62, 0x7fffffff, v62
	s_delay_alu instid0(VALU_DEP_2) | instskip(NEXT) | instid1(VALU_DEP_1)
	v_and_b32_e32 v63, s48, v63
	v_lshlrev_b32_e32 v63, 2, v63
	ds_load_b32 v63, v63
	s_wait_dscnt 0x0
	v_add_nc_u32_e32 v63, v63, v82
	global_store_b32 v63, v62, s[40:41] scale_offset
	s_wait_xcnt 0x0
	s_or_b32 exec_lo, exec_lo, s29
	v_cmp_lt_u32_e64 s29, v83, v137
	s_and_saveexec_b32 s57, s29
	s_cbranch_execnz .LBB523_1076
	s_branch .LBB523_1077
.LBB523_1144:                           ;   in Loop: Header=BB523_982 Depth=2
	global_load_b64 v[60:61], v[62:63], off
	s_wait_xcnt 0x0
	s_or_b32 exec_lo, exec_lo, s30
	s_delay_alu instid0(SALU_CYCLE_1)
	s_mov_b32 s57, exec_lo
	v_cmpx_lt_u32_e64 v102, v137
	s_cbranch_execz .LBB523_1079
.LBB523_1145:                           ;   in Loop: Header=BB523_982 Depth=2
	global_load_b64 v[58:59], v[62:63], off offset:256
	s_wait_xcnt 0x0
	s_or_b32 exec_lo, exec_lo, s57
	s_delay_alu instid0(SALU_CYCLE_1)
	s_mov_b32 s57, exec_lo
	v_cmpx_lt_u32_e64 v103, v137
	s_cbranch_execz .LBB523_1080
.LBB523_1146:                           ;   in Loop: Header=BB523_982 Depth=2
	global_load_b64 v[56:57], v[62:63], off offset:512
	s_wait_xcnt 0x0
	s_or_b32 exec_lo, exec_lo, s57
	s_delay_alu instid0(SALU_CYCLE_1)
	s_mov_b32 s57, exec_lo
	v_cmpx_lt_u32_e64 v104, v137
	s_cbranch_execz .LBB523_1081
.LBB523_1147:                           ;   in Loop: Header=BB523_982 Depth=2
	global_load_b64 v[54:55], v[62:63], off offset:768
	s_wait_xcnt 0x0
	s_or_b32 exec_lo, exec_lo, s57
	s_delay_alu instid0(SALU_CYCLE_1)
	s_mov_b32 s57, exec_lo
	v_cmpx_lt_u32_e64 v105, v137
	s_cbranch_execz .LBB523_1082
.LBB523_1148:                           ;   in Loop: Header=BB523_982 Depth=2
	global_load_b64 v[52:53], v[62:63], off offset:1024
	s_wait_xcnt 0x0
	s_or_b32 exec_lo, exec_lo, s57
	s_delay_alu instid0(SALU_CYCLE_1)
	s_mov_b32 s57, exec_lo
	v_cmpx_lt_u32_e64 v106, v137
	s_cbranch_execz .LBB523_1083
.LBB523_1149:                           ;   in Loop: Header=BB523_982 Depth=2
	global_load_b64 v[50:51], v[62:63], off offset:1280
	s_wait_xcnt 0x0
	s_or_b32 exec_lo, exec_lo, s57
	s_delay_alu instid0(SALU_CYCLE_1)
	s_mov_b32 s57, exec_lo
	v_cmpx_lt_u32_e64 v107, v137
	s_cbranch_execz .LBB523_1084
.LBB523_1150:                           ;   in Loop: Header=BB523_982 Depth=2
	global_load_b64 v[48:49], v[62:63], off offset:1536
	s_wait_xcnt 0x0
	s_or_b32 exec_lo, exec_lo, s57
	s_delay_alu instid0(SALU_CYCLE_1)
	s_mov_b32 s57, exec_lo
	v_cmpx_lt_u32_e64 v108, v137
	s_cbranch_execz .LBB523_1085
.LBB523_1151:                           ;   in Loop: Header=BB523_982 Depth=2
	global_load_b64 v[46:47], v[62:63], off offset:1792
	s_wait_xcnt 0x0
	s_or_b32 exec_lo, exec_lo, s57
	s_delay_alu instid0(SALU_CYCLE_1)
	s_mov_b32 s57, exec_lo
	v_cmpx_lt_u32_e64 v109, v137
	s_cbranch_execz .LBB523_1086
.LBB523_1152:                           ;   in Loop: Header=BB523_982 Depth=2
	global_load_b64 v[44:45], v[62:63], off offset:2048
	s_wait_xcnt 0x0
	s_or_b32 exec_lo, exec_lo, s57
	s_delay_alu instid0(SALU_CYCLE_1)
	s_mov_b32 s57, exec_lo
	v_cmpx_lt_u32_e64 v110, v137
	s_cbranch_execz .LBB523_1087
.LBB523_1153:                           ;   in Loop: Header=BB523_982 Depth=2
	global_load_b64 v[42:43], v[62:63], off offset:2304
	s_wait_xcnt 0x0
	s_or_b32 exec_lo, exec_lo, s57
	s_delay_alu instid0(SALU_CYCLE_1)
	s_mov_b32 s57, exec_lo
	v_cmpx_lt_u32_e64 v111, v137
	s_cbranch_execz .LBB523_1088
.LBB523_1154:                           ;   in Loop: Header=BB523_982 Depth=2
	global_load_b64 v[40:41], v[62:63], off offset:2560
	s_wait_xcnt 0x0
	s_or_b32 exec_lo, exec_lo, s57
	s_delay_alu instid0(SALU_CYCLE_1)
	s_mov_b32 s57, exec_lo
	v_cmpx_lt_u32_e64 v112, v137
	s_cbranch_execz .LBB523_1089
.LBB523_1155:                           ;   in Loop: Header=BB523_982 Depth=2
	global_load_b64 v[38:39], v[62:63], off offset:2816
	s_wait_xcnt 0x0
	s_or_b32 exec_lo, exec_lo, s57
	s_delay_alu instid0(SALU_CYCLE_1)
	s_mov_b32 s57, exec_lo
	v_cmpx_lt_u32_e64 v113, v137
	s_cbranch_execz .LBB523_1090
.LBB523_1156:                           ;   in Loop: Header=BB523_982 Depth=2
	global_load_b64 v[36:37], v[62:63], off offset:3072
	s_wait_xcnt 0x0
	s_or_b32 exec_lo, exec_lo, s57
	s_delay_alu instid0(SALU_CYCLE_1)
	s_mov_b32 s57, exec_lo
	v_cmpx_lt_u32_e64 v114, v137
	s_cbranch_execz .LBB523_1091
.LBB523_1157:                           ;   in Loop: Header=BB523_982 Depth=2
	global_load_b64 v[34:35], v[62:63], off offset:3328
	s_wait_xcnt 0x0
	s_or_b32 exec_lo, exec_lo, s57
	s_delay_alu instid0(SALU_CYCLE_1)
	s_mov_b32 s57, exec_lo
	v_cmpx_lt_u32_e64 v115, v137
	s_cbranch_execz .LBB523_1092
.LBB523_1158:                           ;   in Loop: Header=BB523_982 Depth=2
	global_load_b64 v[32:33], v[62:63], off offset:3584
	s_wait_xcnt 0x0
	s_or_b32 exec_lo, exec_lo, s57
	s_delay_alu instid0(SALU_CYCLE_1)
	s_mov_b32 s57, exec_lo
	v_cmpx_lt_u32_e64 v116, v137
	s_cbranch_execz .LBB523_1093
.LBB523_1159:                           ;   in Loop: Header=BB523_982 Depth=2
	global_load_b64 v[30:31], v[62:63], off offset:3840
	s_wait_xcnt 0x0
	s_or_b32 exec_lo, exec_lo, s57
	s_and_saveexec_b32 s30, vcc_lo
	s_cbranch_execz .LBB523_1094
.LBB523_1160:                           ;   in Loop: Header=BB523_982 Depth=2
	ds_load_b32 v62, v93 offset:1024
	s_wait_dscnt 0x0
	v_lshrrev_b32_e32 v62, s49, v62
	s_delay_alu instid0(VALU_DEP_1)
	v_and_b32_e32 v136, s48, v62
	s_or_b32 exec_lo, exec_lo, s30
	s_and_saveexec_b32 s30, s15
	s_cbranch_execz .LBB523_1095
.LBB523_1161:                           ;   in Loop: Header=BB523_982 Depth=2
	ds_load_b32 v62, v93 offset:2048
	s_wait_dscnt 0x0
	v_lshrrev_b32_e32 v62, s49, v62
	s_delay_alu instid0(VALU_DEP_1)
	v_and_b32_e32 v135, s48, v62
	s_or_b32 exec_lo, exec_lo, s30
	s_and_saveexec_b32 s30, s16
	s_cbranch_execz .LBB523_1096
.LBB523_1162:                           ;   in Loop: Header=BB523_982 Depth=2
	ds_load_b32 v62, v93 offset:3072
	s_wait_dscnt 0x0
	v_lshrrev_b32_e32 v62, s49, v62
	s_delay_alu instid0(VALU_DEP_1)
	v_and_b32_e32 v134, s48, v62
	s_or_b32 exec_lo, exec_lo, s30
	s_and_saveexec_b32 s30, s17
	s_cbranch_execz .LBB523_1097
.LBB523_1163:                           ;   in Loop: Header=BB523_982 Depth=2
	ds_load_b32 v62, v93 offset:4096
	s_wait_dscnt 0x0
	v_lshrrev_b32_e32 v62, s49, v62
	s_delay_alu instid0(VALU_DEP_1)
	v_and_b32_e32 v133, s48, v62
	s_or_b32 exec_lo, exec_lo, s30
	s_and_saveexec_b32 s30, s18
	s_cbranch_execz .LBB523_1098
.LBB523_1164:                           ;   in Loop: Header=BB523_982 Depth=2
	ds_load_b32 v62, v93 offset:5120
	s_wait_dscnt 0x0
	v_lshrrev_b32_e32 v62, s49, v62
	s_delay_alu instid0(VALU_DEP_1)
	v_and_b32_e32 v132, s48, v62
	s_or_b32 exec_lo, exec_lo, s30
	s_and_saveexec_b32 s30, s19
	s_cbranch_execz .LBB523_1099
.LBB523_1165:                           ;   in Loop: Header=BB523_982 Depth=2
	ds_load_b32 v62, v93 offset:6144
	s_wait_dscnt 0x0
	v_lshrrev_b32_e32 v62, s49, v62
	s_delay_alu instid0(VALU_DEP_1)
	v_and_b32_e32 v131, s48, v62
	s_or_b32 exec_lo, exec_lo, s30
	s_and_saveexec_b32 s30, s20
	s_cbranch_execz .LBB523_1100
.LBB523_1166:                           ;   in Loop: Header=BB523_982 Depth=2
	ds_load_b32 v62, v93 offset:7168
	s_wait_dscnt 0x0
	v_lshrrev_b32_e32 v62, s49, v62
	s_delay_alu instid0(VALU_DEP_1)
	v_and_b32_e32 v130, s48, v62
	s_or_b32 exec_lo, exec_lo, s30
	s_and_saveexec_b32 s30, s21
	s_cbranch_execz .LBB523_1101
.LBB523_1167:                           ;   in Loop: Header=BB523_982 Depth=2
	ds_load_b32 v62, v93 offset:8192
	s_wait_dscnt 0x0
	v_lshrrev_b32_e32 v62, s49, v62
	s_delay_alu instid0(VALU_DEP_1)
	v_and_b32_e32 v129, s48, v62
	s_or_b32 exec_lo, exec_lo, s30
	s_and_saveexec_b32 s30, s22
	s_cbranch_execz .LBB523_1102
.LBB523_1168:                           ;   in Loop: Header=BB523_982 Depth=2
	ds_load_b32 v62, v93 offset:9216
	s_wait_dscnt 0x0
	v_lshrrev_b32_e32 v62, s49, v62
	s_delay_alu instid0(VALU_DEP_1)
	v_and_b32_e32 v128, s48, v62
	s_or_b32 exec_lo, exec_lo, s30
	s_and_saveexec_b32 s30, s23
	s_cbranch_execz .LBB523_1103
.LBB523_1169:                           ;   in Loop: Header=BB523_982 Depth=2
	ds_load_b32 v62, v93 offset:10240
	s_wait_dscnt 0x0
	v_lshrrev_b32_e32 v62, s49, v62
	s_delay_alu instid0(VALU_DEP_1)
	v_and_b32_e32 v127, s48, v62
	s_or_b32 exec_lo, exec_lo, s30
	s_and_saveexec_b32 s30, s24
	s_cbranch_execz .LBB523_1104
.LBB523_1170:                           ;   in Loop: Header=BB523_982 Depth=2
	ds_load_b32 v62, v93 offset:11264
	s_wait_dscnt 0x0
	v_lshrrev_b32_e32 v62, s49, v62
	s_delay_alu instid0(VALU_DEP_1)
	v_and_b32_e32 v126, s48, v62
	s_or_b32 exec_lo, exec_lo, s30
	s_and_saveexec_b32 s30, s25
	s_cbranch_execz .LBB523_1105
.LBB523_1171:                           ;   in Loop: Header=BB523_982 Depth=2
	ds_load_b32 v62, v93 offset:12288
	s_wait_dscnt 0x0
	v_lshrrev_b32_e32 v62, s49, v62
	s_delay_alu instid0(VALU_DEP_1)
	v_and_b32_e32 v125, s48, v62
	s_or_b32 exec_lo, exec_lo, s30
	s_and_saveexec_b32 s30, s26
	s_cbranch_execz .LBB523_1106
.LBB523_1172:                           ;   in Loop: Header=BB523_982 Depth=2
	ds_load_b32 v62, v93 offset:13312
	s_wait_dscnt 0x0
	v_lshrrev_b32_e32 v62, s49, v62
	s_delay_alu instid0(VALU_DEP_1)
	v_and_b32_e32 v124, s48, v62
	s_or_b32 exec_lo, exec_lo, s30
	s_and_saveexec_b32 s30, s27
	s_cbranch_execz .LBB523_1107
.LBB523_1173:                           ;   in Loop: Header=BB523_982 Depth=2
	ds_load_b32 v62, v93 offset:14336
	s_wait_dscnt 0x0
	v_lshrrev_b32_e32 v62, s49, v62
	s_delay_alu instid0(VALU_DEP_1)
	v_and_b32_e32 v123, s48, v62
	s_or_b32 exec_lo, exec_lo, s30
	s_and_saveexec_b32 s30, s28
	s_cbranch_execz .LBB523_1108
.LBB523_1174:                           ;   in Loop: Header=BB523_982 Depth=2
	ds_load_b32 v62, v93 offset:15360
	s_wait_dscnt 0x0
	v_lshrrev_b32_e32 v62, s49, v62
	s_delay_alu instid0(VALU_DEP_1)
	v_and_b32_e32 v122, s48, v62
	s_or_b32 exec_lo, exec_lo, s30
	s_and_saveexec_b32 s30, s29
	s_cbranch_execnz .LBB523_1109
	s_branch .LBB523_1110
.LBB523_1175:                           ;   in Loop: Header=BB523_982 Depth=2
	v_lshlrev_b32_e32 v63, 2, v136
	ds_load_b32 v63, v63
	ds_load_b64 v[66:67], v62 offset:1024
	s_wait_dscnt 0x1
	v_add_nc_u32_e32 v63, v63, v2
	s_wait_dscnt 0x0
	global_store_b64 v63, v[66:67], s[46:47] scale_offset
	s_wait_xcnt 0x0
	s_or_b32 exec_lo, exec_lo, s30
	s_and_saveexec_b32 s30, s15
	s_cbranch_execz .LBB523_1112
.LBB523_1176:                           ;   in Loop: Header=BB523_982 Depth=2
	v_lshlrev_b32_e32 v63, 2, v135
	ds_load_b32 v63, v63
	ds_load_b64 v[66:67], v62 offset:3072
	s_wait_dscnt 0x1
	v_add_nc_u32_e32 v63, v63, v3
	s_wait_dscnt 0x0
	global_store_b64 v63, v[66:67], s[46:47] scale_offset
	s_wait_xcnt 0x0
	s_or_b32 exec_lo, exec_lo, s30
	s_and_saveexec_b32 s15, s16
	s_cbranch_execz .LBB523_1113
.LBB523_1177:                           ;   in Loop: Header=BB523_982 Depth=2
	v_lshlrev_b32_e32 v63, 2, v134
	ds_load_b32 v63, v63
	ds_load_b64 v[66:67], v62 offset:5120
	s_wait_dscnt 0x1
	v_add_nc_u32_e32 v63, v63, v70
	s_wait_dscnt 0x0
	global_store_b64 v63, v[66:67], s[46:47] scale_offset
	s_wait_xcnt 0x0
	s_or_b32 exec_lo, exec_lo, s15
	s_and_saveexec_b32 s15, s17
	s_cbranch_execz .LBB523_1114
.LBB523_1178:                           ;   in Loop: Header=BB523_982 Depth=2
	v_lshlrev_b32_e32 v63, 2, v133
	ds_load_b32 v63, v63
	ds_load_b64 v[66:67], v62 offset:7168
	s_wait_dscnt 0x1
	v_add_nc_u32_e32 v63, v63, v71
	s_wait_dscnt 0x0
	global_store_b64 v63, v[66:67], s[46:47] scale_offset
	s_wait_xcnt 0x0
	s_or_b32 exec_lo, exec_lo, s15
	s_and_saveexec_b32 s15, s18
	s_cbranch_execz .LBB523_1115
.LBB523_1179:                           ;   in Loop: Header=BB523_982 Depth=2
	v_lshlrev_b32_e32 v63, 2, v132
	ds_load_b32 v63, v63
	ds_load_b64 v[66:67], v62 offset:9216
	s_wait_dscnt 0x1
	v_add_nc_u32_e32 v63, v63, v72
	s_wait_dscnt 0x0
	global_store_b64 v63, v[66:67], s[46:47] scale_offset
	s_wait_xcnt 0x0
	s_or_b32 exec_lo, exec_lo, s15
	s_and_saveexec_b32 s15, s19
	s_cbranch_execz .LBB523_1116
.LBB523_1180:                           ;   in Loop: Header=BB523_982 Depth=2
	v_lshlrev_b32_e32 v63, 2, v131
	ds_load_b32 v63, v63
	ds_load_b64 v[66:67], v62 offset:11264
	s_wait_dscnt 0x1
	v_add_nc_u32_e32 v63, v63, v73
	s_wait_dscnt 0x0
	global_store_b64 v63, v[66:67], s[46:47] scale_offset
	s_wait_xcnt 0x0
	s_or_b32 exec_lo, exec_lo, s15
	s_and_saveexec_b32 s15, s20
	s_cbranch_execz .LBB523_1117
.LBB523_1181:                           ;   in Loop: Header=BB523_982 Depth=2
	v_lshlrev_b32_e32 v63, 2, v130
	ds_load_b32 v63, v63
	ds_load_b64 v[66:67], v62 offset:13312
	s_wait_dscnt 0x1
	v_add_nc_u32_e32 v63, v63, v74
	s_wait_dscnt 0x0
	global_store_b64 v63, v[66:67], s[46:47] scale_offset
	s_wait_xcnt 0x0
	s_or_b32 exec_lo, exec_lo, s15
	s_and_saveexec_b32 s15, s21
	s_cbranch_execz .LBB523_1118
.LBB523_1182:                           ;   in Loop: Header=BB523_982 Depth=2
	v_lshlrev_b32_e32 v63, 2, v129
	ds_load_b32 v63, v63
	ds_load_b64 v[66:67], v62 offset:15360
	s_wait_dscnt 0x1
	v_add_nc_u32_e32 v63, v63, v75
	s_wait_dscnt 0x0
	global_store_b64 v63, v[66:67], s[46:47] scale_offset
	s_wait_xcnt 0x0
	s_or_b32 exec_lo, exec_lo, s15
	s_and_saveexec_b32 s15, s22
	s_cbranch_execz .LBB523_1119
.LBB523_1183:                           ;   in Loop: Header=BB523_982 Depth=2
	v_lshlrev_b32_e32 v63, 2, v128
	ds_load_b32 v63, v63
	ds_load_b64 v[66:67], v62 offset:17408
	s_wait_dscnt 0x1
	v_add_nc_u32_e32 v63, v63, v76
	s_wait_dscnt 0x0
	global_store_b64 v63, v[66:67], s[46:47] scale_offset
	s_wait_xcnt 0x0
	s_or_b32 exec_lo, exec_lo, s15
	s_and_saveexec_b32 s15, s23
	s_cbranch_execz .LBB523_1120
.LBB523_1184:                           ;   in Loop: Header=BB523_982 Depth=2
	v_lshlrev_b32_e32 v63, 2, v127
	ds_load_b32 v63, v63
	ds_load_b64 v[66:67], v62 offset:19456
	s_wait_dscnt 0x1
	v_add_nc_u32_e32 v63, v63, v77
	s_wait_dscnt 0x0
	global_store_b64 v63, v[66:67], s[46:47] scale_offset
	s_wait_xcnt 0x0
	s_or_b32 exec_lo, exec_lo, s15
	s_and_saveexec_b32 s15, s24
	s_cbranch_execz .LBB523_1121
.LBB523_1185:                           ;   in Loop: Header=BB523_982 Depth=2
	v_lshlrev_b32_e32 v63, 2, v126
	ds_load_b32 v63, v63
	ds_load_b64 v[66:67], v62 offset:21504
	s_wait_dscnt 0x1
	v_add_nc_u32_e32 v63, v63, v78
	s_wait_dscnt 0x0
	global_store_b64 v63, v[66:67], s[46:47] scale_offset
	s_wait_xcnt 0x0
	s_or_b32 exec_lo, exec_lo, s15
	s_and_saveexec_b32 s15, s25
	s_cbranch_execz .LBB523_1122
.LBB523_1186:                           ;   in Loop: Header=BB523_982 Depth=2
	v_lshlrev_b32_e32 v63, 2, v125
	ds_load_b32 v63, v63
	ds_load_b64 v[66:67], v62 offset:23552
	s_wait_dscnt 0x1
	v_add_nc_u32_e32 v63, v63, v79
	s_wait_dscnt 0x0
	global_store_b64 v63, v[66:67], s[46:47] scale_offset
	s_wait_xcnt 0x0
	s_or_b32 exec_lo, exec_lo, s15
	s_and_saveexec_b32 s15, s26
	s_cbranch_execz .LBB523_1123
.LBB523_1187:                           ;   in Loop: Header=BB523_982 Depth=2
	v_lshlrev_b32_e32 v63, 2, v124
	ds_load_b32 v63, v63
	ds_load_b64 v[66:67], v62 offset:25600
	s_wait_dscnt 0x1
	v_add_nc_u32_e32 v63, v63, v80
	s_wait_dscnt 0x0
	global_store_b64 v63, v[66:67], s[46:47] scale_offset
	s_wait_xcnt 0x0
	s_or_b32 exec_lo, exec_lo, s15
	s_and_saveexec_b32 s15, s27
	s_cbranch_execz .LBB523_1124
.LBB523_1188:                           ;   in Loop: Header=BB523_982 Depth=2
	v_lshlrev_b32_e32 v63, 2, v123
	ds_load_b32 v63, v63
	ds_load_b64 v[66:67], v62 offset:27648
	s_wait_dscnt 0x1
	v_add_nc_u32_e32 v63, v63, v81
	s_wait_dscnt 0x0
	global_store_b64 v63, v[66:67], s[46:47] scale_offset
	s_wait_xcnt 0x0
	s_or_b32 exec_lo, exec_lo, s15
	s_and_saveexec_b32 s15, s28
	s_cbranch_execz .LBB523_1125
.LBB523_1189:                           ;   in Loop: Header=BB523_982 Depth=2
	v_lshlrev_b32_e32 v63, 2, v122
	ds_load_b32 v63, v63
	ds_load_b64 v[66:67], v62 offset:29696
	s_wait_dscnt 0x1
	v_add_nc_u32_e32 v63, v63, v82
	s_wait_dscnt 0x0
	global_store_b64 v63, v[66:67], s[46:47] scale_offset
	s_wait_xcnt 0x0
	s_or_b32 exec_lo, exec_lo, s15
	s_and_saveexec_b32 s15, s29
	s_cbranch_execnz .LBB523_1126
	s_branch .LBB523_1127
.LBB523_1190:
	s_endpgm
	.section	.rodata,"a",@progbits
	.p2align	6, 0x0
	.amdhsa_kernel _ZN7rocprim17ROCPRIM_400000_NS6detail17trampoline_kernelINS0_14default_configENS1_36segmented_radix_sort_config_selectorIilEEZNS1_25segmented_radix_sort_implIS3_Lb1EPKiPiPKlPlN2at6native12_GLOBAL__N_18offset_tEEE10hipError_tPvRmT1_PNSt15iterator_traitsISK_E10value_typeET2_T3_PNSL_ISQ_E10value_typeET4_jRbjT5_SW_jjP12ihipStream_tbEUlT_E2_NS1_11comp_targetILNS1_3genE0ELNS1_11target_archE4294967295ELNS1_3gpuE0ELNS1_3repE0EEENS1_30default_config_static_selectorELNS0_4arch9wavefront6targetE0EEEvSK_
		.amdhsa_group_segment_fixed_size 33824
		.amdhsa_private_segment_fixed_size 0
		.amdhsa_kernarg_size 336
		.amdhsa_user_sgpr_count 4
		.amdhsa_user_sgpr_dispatch_ptr 0
		.amdhsa_user_sgpr_queue_ptr 1
		.amdhsa_user_sgpr_kernarg_segment_ptr 1
		.amdhsa_user_sgpr_dispatch_id 0
		.amdhsa_user_sgpr_kernarg_preload_length 0
		.amdhsa_user_sgpr_kernarg_preload_offset 0
		.amdhsa_user_sgpr_private_segment_size 0
		.amdhsa_wavefront_size32 1
		.amdhsa_uses_dynamic_stack 0
		.amdhsa_enable_private_segment 0
		.amdhsa_system_sgpr_workgroup_id_x 1
		.amdhsa_system_sgpr_workgroup_id_y 1
		.amdhsa_system_sgpr_workgroup_id_z 0
		.amdhsa_system_sgpr_workgroup_info 0
		.amdhsa_system_vgpr_workitem_id 2
		.amdhsa_next_free_vgpr 287
		.amdhsa_next_free_sgpr 58
		.amdhsa_named_barrier_count 0
		.amdhsa_reserve_vcc 1
		.amdhsa_float_round_mode_32 0
		.amdhsa_float_round_mode_16_64 0
		.amdhsa_float_denorm_mode_32 3
		.amdhsa_float_denorm_mode_16_64 3
		.amdhsa_fp16_overflow 0
		.amdhsa_memory_ordered 1
		.amdhsa_forward_progress 1
		.amdhsa_inst_pref_size 255
		.amdhsa_round_robin_scheduling 0
		.amdhsa_exception_fp_ieee_invalid_op 0
		.amdhsa_exception_fp_denorm_src 0
		.amdhsa_exception_fp_ieee_div_zero 0
		.amdhsa_exception_fp_ieee_overflow 0
		.amdhsa_exception_fp_ieee_underflow 0
		.amdhsa_exception_fp_ieee_inexact 0
		.amdhsa_exception_int_div_zero 0
	.end_amdhsa_kernel
	.section	.text._ZN7rocprim17ROCPRIM_400000_NS6detail17trampoline_kernelINS0_14default_configENS1_36segmented_radix_sort_config_selectorIilEEZNS1_25segmented_radix_sort_implIS3_Lb1EPKiPiPKlPlN2at6native12_GLOBAL__N_18offset_tEEE10hipError_tPvRmT1_PNSt15iterator_traitsISK_E10value_typeET2_T3_PNSL_ISQ_E10value_typeET4_jRbjT5_SW_jjP12ihipStream_tbEUlT_E2_NS1_11comp_targetILNS1_3genE0ELNS1_11target_archE4294967295ELNS1_3gpuE0ELNS1_3repE0EEENS1_30default_config_static_selectorELNS0_4arch9wavefront6targetE0EEEvSK_,"axG",@progbits,_ZN7rocprim17ROCPRIM_400000_NS6detail17trampoline_kernelINS0_14default_configENS1_36segmented_radix_sort_config_selectorIilEEZNS1_25segmented_radix_sort_implIS3_Lb1EPKiPiPKlPlN2at6native12_GLOBAL__N_18offset_tEEE10hipError_tPvRmT1_PNSt15iterator_traitsISK_E10value_typeET2_T3_PNSL_ISQ_E10value_typeET4_jRbjT5_SW_jjP12ihipStream_tbEUlT_E2_NS1_11comp_targetILNS1_3genE0ELNS1_11target_archE4294967295ELNS1_3gpuE0ELNS1_3repE0EEENS1_30default_config_static_selectorELNS0_4arch9wavefront6targetE0EEEvSK_,comdat
.Lfunc_end523:
	.size	_ZN7rocprim17ROCPRIM_400000_NS6detail17trampoline_kernelINS0_14default_configENS1_36segmented_radix_sort_config_selectorIilEEZNS1_25segmented_radix_sort_implIS3_Lb1EPKiPiPKlPlN2at6native12_GLOBAL__N_18offset_tEEE10hipError_tPvRmT1_PNSt15iterator_traitsISK_E10value_typeET2_T3_PNSL_ISQ_E10value_typeET4_jRbjT5_SW_jjP12ihipStream_tbEUlT_E2_NS1_11comp_targetILNS1_3genE0ELNS1_11target_archE4294967295ELNS1_3gpuE0ELNS1_3repE0EEENS1_30default_config_static_selectorELNS0_4arch9wavefront6targetE0EEEvSK_, .Lfunc_end523-_ZN7rocprim17ROCPRIM_400000_NS6detail17trampoline_kernelINS0_14default_configENS1_36segmented_radix_sort_config_selectorIilEEZNS1_25segmented_radix_sort_implIS3_Lb1EPKiPiPKlPlN2at6native12_GLOBAL__N_18offset_tEEE10hipError_tPvRmT1_PNSt15iterator_traitsISK_E10value_typeET2_T3_PNSL_ISQ_E10value_typeET4_jRbjT5_SW_jjP12ihipStream_tbEUlT_E2_NS1_11comp_targetILNS1_3genE0ELNS1_11target_archE4294967295ELNS1_3gpuE0ELNS1_3repE0EEENS1_30default_config_static_selectorELNS0_4arch9wavefront6targetE0EEEvSK_
                                        ; -- End function
	.set _ZN7rocprim17ROCPRIM_400000_NS6detail17trampoline_kernelINS0_14default_configENS1_36segmented_radix_sort_config_selectorIilEEZNS1_25segmented_radix_sort_implIS3_Lb1EPKiPiPKlPlN2at6native12_GLOBAL__N_18offset_tEEE10hipError_tPvRmT1_PNSt15iterator_traitsISK_E10value_typeET2_T3_PNSL_ISQ_E10value_typeET4_jRbjT5_SW_jjP12ihipStream_tbEUlT_E2_NS1_11comp_targetILNS1_3genE0ELNS1_11target_archE4294967295ELNS1_3gpuE0ELNS1_3repE0EEENS1_30default_config_static_selectorELNS0_4arch9wavefront6targetE0EEEvSK_.num_vgpr, max(204, .L_ZN7rocprim17ROCPRIM_400000_NS6detail26segmented_warp_sort_helperINS1_20WarpSortHelperConfigILj8ELj4ELj256EEEilLi256ELb1EvE4sortIPKiPiPKlPlEEvT_T0_T1_T2_jjjjRNS5_12storage_typeE.num_vgpr, .L_ZN7rocprim17ROCPRIM_400000_NS6detail40segmented_radix_sort_single_block_helperIilLj256ELj16ELb1EE4sortIPKiPiPKlPlEEbT_T0_T1_T2_jjjjRNS3_12storage_typeE.num_vgpr)
	.set _ZN7rocprim17ROCPRIM_400000_NS6detail17trampoline_kernelINS0_14default_configENS1_36segmented_radix_sort_config_selectorIilEEZNS1_25segmented_radix_sort_implIS3_Lb1EPKiPiPKlPlN2at6native12_GLOBAL__N_18offset_tEEE10hipError_tPvRmT1_PNSt15iterator_traitsISK_E10value_typeET2_T3_PNSL_ISQ_E10value_typeET4_jRbjT5_SW_jjP12ihipStream_tbEUlT_E2_NS1_11comp_targetILNS1_3genE0ELNS1_11target_archE4294967295ELNS1_3gpuE0ELNS1_3repE0EEENS1_30default_config_static_selectorELNS0_4arch9wavefront6targetE0EEEvSK_.num_agpr, max(0, .L_ZN7rocprim17ROCPRIM_400000_NS6detail26segmented_warp_sort_helperINS1_20WarpSortHelperConfigILj8ELj4ELj256EEEilLi256ELb1EvE4sortIPKiPiPKlPlEEvT_T0_T1_T2_jjjjRNS5_12storage_typeE.num_agpr, .L_ZN7rocprim17ROCPRIM_400000_NS6detail40segmented_radix_sort_single_block_helperIilLj256ELj16ELb1EE4sortIPKiPiPKlPlEEbT_T0_T1_T2_jjjjRNS3_12storage_typeE.num_agpr)
	.set _ZN7rocprim17ROCPRIM_400000_NS6detail17trampoline_kernelINS0_14default_configENS1_36segmented_radix_sort_config_selectorIilEEZNS1_25segmented_radix_sort_implIS3_Lb1EPKiPiPKlPlN2at6native12_GLOBAL__N_18offset_tEEE10hipError_tPvRmT1_PNSt15iterator_traitsISK_E10value_typeET2_T3_PNSL_ISQ_E10value_typeET4_jRbjT5_SW_jjP12ihipStream_tbEUlT_E2_NS1_11comp_targetILNS1_3genE0ELNS1_11target_archE4294967295ELNS1_3gpuE0ELNS1_3repE0EEENS1_30default_config_static_selectorELNS0_4arch9wavefront6targetE0EEEvSK_.numbered_sgpr, max(58, .L_ZN7rocprim17ROCPRIM_400000_NS6detail26segmented_warp_sort_helperINS1_20WarpSortHelperConfigILj8ELj4ELj256EEEilLi256ELb1EvE4sortIPKiPiPKlPlEEvT_T0_T1_T2_jjjjRNS5_12storage_typeE.numbered_sgpr, .L_ZN7rocprim17ROCPRIM_400000_NS6detail40segmented_radix_sort_single_block_helperIilLj256ELj16ELb1EE4sortIPKiPiPKlPlEEbT_T0_T1_T2_jjjjRNS3_12storage_typeE.numbered_sgpr)
	.set _ZN7rocprim17ROCPRIM_400000_NS6detail17trampoline_kernelINS0_14default_configENS1_36segmented_radix_sort_config_selectorIilEEZNS1_25segmented_radix_sort_implIS3_Lb1EPKiPiPKlPlN2at6native12_GLOBAL__N_18offset_tEEE10hipError_tPvRmT1_PNSt15iterator_traitsISK_E10value_typeET2_T3_PNSL_ISQ_E10value_typeET4_jRbjT5_SW_jjP12ihipStream_tbEUlT_E2_NS1_11comp_targetILNS1_3genE0ELNS1_11target_archE4294967295ELNS1_3gpuE0ELNS1_3repE0EEENS1_30default_config_static_selectorELNS0_4arch9wavefront6targetE0EEEvSK_.num_named_barrier, max(0, .L_ZN7rocprim17ROCPRIM_400000_NS6detail26segmented_warp_sort_helperINS1_20WarpSortHelperConfigILj8ELj4ELj256EEEilLi256ELb1EvE4sortIPKiPiPKlPlEEvT_T0_T1_T2_jjjjRNS5_12storage_typeE.num_named_barrier, .L_ZN7rocprim17ROCPRIM_400000_NS6detail40segmented_radix_sort_single_block_helperIilLj256ELj16ELb1EE4sortIPKiPiPKlPlEEbT_T0_T1_T2_jjjjRNS3_12storage_typeE.num_named_barrier)
	.set _ZN7rocprim17ROCPRIM_400000_NS6detail17trampoline_kernelINS0_14default_configENS1_36segmented_radix_sort_config_selectorIilEEZNS1_25segmented_radix_sort_implIS3_Lb1EPKiPiPKlPlN2at6native12_GLOBAL__N_18offset_tEEE10hipError_tPvRmT1_PNSt15iterator_traitsISK_E10value_typeET2_T3_PNSL_ISQ_E10value_typeET4_jRbjT5_SW_jjP12ihipStream_tbEUlT_E2_NS1_11comp_targetILNS1_3genE0ELNS1_11target_archE4294967295ELNS1_3gpuE0ELNS1_3repE0EEENS1_30default_config_static_selectorELNS0_4arch9wavefront6targetE0EEEvSK_.private_seg_size, 0+max(.L_ZN7rocprim17ROCPRIM_400000_NS6detail26segmented_warp_sort_helperINS1_20WarpSortHelperConfigILj8ELj4ELj256EEEilLi256ELb1EvE4sortIPKiPiPKlPlEEvT_T0_T1_T2_jjjjRNS5_12storage_typeE.private_seg_size, .L_ZN7rocprim17ROCPRIM_400000_NS6detail40segmented_radix_sort_single_block_helperIilLj256ELj16ELb1EE4sortIPKiPiPKlPlEEbT_T0_T1_T2_jjjjRNS3_12storage_typeE.private_seg_size)
	.set _ZN7rocprim17ROCPRIM_400000_NS6detail17trampoline_kernelINS0_14default_configENS1_36segmented_radix_sort_config_selectorIilEEZNS1_25segmented_radix_sort_implIS3_Lb1EPKiPiPKlPlN2at6native12_GLOBAL__N_18offset_tEEE10hipError_tPvRmT1_PNSt15iterator_traitsISK_E10value_typeET2_T3_PNSL_ISQ_E10value_typeET4_jRbjT5_SW_jjP12ihipStream_tbEUlT_E2_NS1_11comp_targetILNS1_3genE0ELNS1_11target_archE4294967295ELNS1_3gpuE0ELNS1_3repE0EEENS1_30default_config_static_selectorELNS0_4arch9wavefront6targetE0EEEvSK_.uses_vcc, or(1, .L_ZN7rocprim17ROCPRIM_400000_NS6detail26segmented_warp_sort_helperINS1_20WarpSortHelperConfigILj8ELj4ELj256EEEilLi256ELb1EvE4sortIPKiPiPKlPlEEvT_T0_T1_T2_jjjjRNS5_12storage_typeE.uses_vcc, .L_ZN7rocprim17ROCPRIM_400000_NS6detail40segmented_radix_sort_single_block_helperIilLj256ELj16ELb1EE4sortIPKiPiPKlPlEEbT_T0_T1_T2_jjjjRNS3_12storage_typeE.uses_vcc)
	.set _ZN7rocprim17ROCPRIM_400000_NS6detail17trampoline_kernelINS0_14default_configENS1_36segmented_radix_sort_config_selectorIilEEZNS1_25segmented_radix_sort_implIS3_Lb1EPKiPiPKlPlN2at6native12_GLOBAL__N_18offset_tEEE10hipError_tPvRmT1_PNSt15iterator_traitsISK_E10value_typeET2_T3_PNSL_ISQ_E10value_typeET4_jRbjT5_SW_jjP12ihipStream_tbEUlT_E2_NS1_11comp_targetILNS1_3genE0ELNS1_11target_archE4294967295ELNS1_3gpuE0ELNS1_3repE0EEENS1_30default_config_static_selectorELNS0_4arch9wavefront6targetE0EEEvSK_.uses_flat_scratch, or(0, .L_ZN7rocprim17ROCPRIM_400000_NS6detail26segmented_warp_sort_helperINS1_20WarpSortHelperConfigILj8ELj4ELj256EEEilLi256ELb1EvE4sortIPKiPiPKlPlEEvT_T0_T1_T2_jjjjRNS5_12storage_typeE.uses_flat_scratch, .L_ZN7rocprim17ROCPRIM_400000_NS6detail40segmented_radix_sort_single_block_helperIilLj256ELj16ELb1EE4sortIPKiPiPKlPlEEbT_T0_T1_T2_jjjjRNS3_12storage_typeE.uses_flat_scratch)
	.set _ZN7rocprim17ROCPRIM_400000_NS6detail17trampoline_kernelINS0_14default_configENS1_36segmented_radix_sort_config_selectorIilEEZNS1_25segmented_radix_sort_implIS3_Lb1EPKiPiPKlPlN2at6native12_GLOBAL__N_18offset_tEEE10hipError_tPvRmT1_PNSt15iterator_traitsISK_E10value_typeET2_T3_PNSL_ISQ_E10value_typeET4_jRbjT5_SW_jjP12ihipStream_tbEUlT_E2_NS1_11comp_targetILNS1_3genE0ELNS1_11target_archE4294967295ELNS1_3gpuE0ELNS1_3repE0EEENS1_30default_config_static_selectorELNS0_4arch9wavefront6targetE0EEEvSK_.has_dyn_sized_stack, or(0, .L_ZN7rocprim17ROCPRIM_400000_NS6detail26segmented_warp_sort_helperINS1_20WarpSortHelperConfigILj8ELj4ELj256EEEilLi256ELb1EvE4sortIPKiPiPKlPlEEvT_T0_T1_T2_jjjjRNS5_12storage_typeE.has_dyn_sized_stack, .L_ZN7rocprim17ROCPRIM_400000_NS6detail40segmented_radix_sort_single_block_helperIilLj256ELj16ELb1EE4sortIPKiPiPKlPlEEbT_T0_T1_T2_jjjjRNS3_12storage_typeE.has_dyn_sized_stack)
	.set _ZN7rocprim17ROCPRIM_400000_NS6detail17trampoline_kernelINS0_14default_configENS1_36segmented_radix_sort_config_selectorIilEEZNS1_25segmented_radix_sort_implIS3_Lb1EPKiPiPKlPlN2at6native12_GLOBAL__N_18offset_tEEE10hipError_tPvRmT1_PNSt15iterator_traitsISK_E10value_typeET2_T3_PNSL_ISQ_E10value_typeET4_jRbjT5_SW_jjP12ihipStream_tbEUlT_E2_NS1_11comp_targetILNS1_3genE0ELNS1_11target_archE4294967295ELNS1_3gpuE0ELNS1_3repE0EEENS1_30default_config_static_selectorELNS0_4arch9wavefront6targetE0EEEvSK_.has_recursion, or(0, .L_ZN7rocprim17ROCPRIM_400000_NS6detail26segmented_warp_sort_helperINS1_20WarpSortHelperConfigILj8ELj4ELj256EEEilLi256ELb1EvE4sortIPKiPiPKlPlEEvT_T0_T1_T2_jjjjRNS5_12storage_typeE.has_recursion, .L_ZN7rocprim17ROCPRIM_400000_NS6detail40segmented_radix_sort_single_block_helperIilLj256ELj16ELb1EE4sortIPKiPiPKlPlEEbT_T0_T1_T2_jjjjRNS3_12storage_typeE.has_recursion)
	.set _ZN7rocprim17ROCPRIM_400000_NS6detail17trampoline_kernelINS0_14default_configENS1_36segmented_radix_sort_config_selectorIilEEZNS1_25segmented_radix_sort_implIS3_Lb1EPKiPiPKlPlN2at6native12_GLOBAL__N_18offset_tEEE10hipError_tPvRmT1_PNSt15iterator_traitsISK_E10value_typeET2_T3_PNSL_ISQ_E10value_typeET4_jRbjT5_SW_jjP12ihipStream_tbEUlT_E2_NS1_11comp_targetILNS1_3genE0ELNS1_11target_archE4294967295ELNS1_3gpuE0ELNS1_3repE0EEENS1_30default_config_static_selectorELNS0_4arch9wavefront6targetE0EEEvSK_.has_indirect_call, or(0, .L_ZN7rocprim17ROCPRIM_400000_NS6detail26segmented_warp_sort_helperINS1_20WarpSortHelperConfigILj8ELj4ELj256EEEilLi256ELb1EvE4sortIPKiPiPKlPlEEvT_T0_T1_T2_jjjjRNS5_12storage_typeE.has_indirect_call, .L_ZN7rocprim17ROCPRIM_400000_NS6detail40segmented_radix_sort_single_block_helperIilLj256ELj16ELb1EE4sortIPKiPiPKlPlEEbT_T0_T1_T2_jjjjRNS3_12storage_typeE.has_indirect_call)
	.section	.AMDGPU.csdata,"",@progbits
; Kernel info:
; codeLenInByte = 68696
; TotalNumSgprs: 60
; NumVgprs: 287
; ScratchSize: 0
; MemoryBound: 0
; FloatMode: 240
; IeeeMode: 1
; LDSByteSize: 33824 bytes/workgroup (compile time only)
; SGPRBlocks: 0
; VGPRBlocks: 17
; NumSGPRsForWavesPerEU: 60
; NumVGPRsForWavesPerEU: 287
; NamedBarCnt: 0
; Occupancy: 3
; WaveLimiterHint : 1
; COMPUTE_PGM_RSRC2:SCRATCH_EN: 0
; COMPUTE_PGM_RSRC2:USER_SGPR: 4
; COMPUTE_PGM_RSRC2:TRAP_HANDLER: 0
; COMPUTE_PGM_RSRC2:TGID_X_EN: 1
; COMPUTE_PGM_RSRC2:TGID_Y_EN: 1
; COMPUTE_PGM_RSRC2:TGID_Z_EN: 0
; COMPUTE_PGM_RSRC2:TIDIG_COMP_CNT: 2
	.section	.text._ZN7rocprim17ROCPRIM_400000_NS6detail17trampoline_kernelINS0_14default_configENS1_36segmented_radix_sort_config_selectorIilEEZNS1_25segmented_radix_sort_implIS3_Lb1EPKiPiPKlPlN2at6native12_GLOBAL__N_18offset_tEEE10hipError_tPvRmT1_PNSt15iterator_traitsISK_E10value_typeET2_T3_PNSL_ISQ_E10value_typeET4_jRbjT5_SW_jjP12ihipStream_tbEUlT_E2_NS1_11comp_targetILNS1_3genE5ELNS1_11target_archE942ELNS1_3gpuE9ELNS1_3repE0EEENS1_30default_config_static_selectorELNS0_4arch9wavefront6targetE0EEEvSK_,"axG",@progbits,_ZN7rocprim17ROCPRIM_400000_NS6detail17trampoline_kernelINS0_14default_configENS1_36segmented_radix_sort_config_selectorIilEEZNS1_25segmented_radix_sort_implIS3_Lb1EPKiPiPKlPlN2at6native12_GLOBAL__N_18offset_tEEE10hipError_tPvRmT1_PNSt15iterator_traitsISK_E10value_typeET2_T3_PNSL_ISQ_E10value_typeET4_jRbjT5_SW_jjP12ihipStream_tbEUlT_E2_NS1_11comp_targetILNS1_3genE5ELNS1_11target_archE942ELNS1_3gpuE9ELNS1_3repE0EEENS1_30default_config_static_selectorELNS0_4arch9wavefront6targetE0EEEvSK_,comdat
	.globl	_ZN7rocprim17ROCPRIM_400000_NS6detail17trampoline_kernelINS0_14default_configENS1_36segmented_radix_sort_config_selectorIilEEZNS1_25segmented_radix_sort_implIS3_Lb1EPKiPiPKlPlN2at6native12_GLOBAL__N_18offset_tEEE10hipError_tPvRmT1_PNSt15iterator_traitsISK_E10value_typeET2_T3_PNSL_ISQ_E10value_typeET4_jRbjT5_SW_jjP12ihipStream_tbEUlT_E2_NS1_11comp_targetILNS1_3genE5ELNS1_11target_archE942ELNS1_3gpuE9ELNS1_3repE0EEENS1_30default_config_static_selectorELNS0_4arch9wavefront6targetE0EEEvSK_ ; -- Begin function _ZN7rocprim17ROCPRIM_400000_NS6detail17trampoline_kernelINS0_14default_configENS1_36segmented_radix_sort_config_selectorIilEEZNS1_25segmented_radix_sort_implIS3_Lb1EPKiPiPKlPlN2at6native12_GLOBAL__N_18offset_tEEE10hipError_tPvRmT1_PNSt15iterator_traitsISK_E10value_typeET2_T3_PNSL_ISQ_E10value_typeET4_jRbjT5_SW_jjP12ihipStream_tbEUlT_E2_NS1_11comp_targetILNS1_3genE5ELNS1_11target_archE942ELNS1_3gpuE9ELNS1_3repE0EEENS1_30default_config_static_selectorELNS0_4arch9wavefront6targetE0EEEvSK_
	.p2align	8
	.type	_ZN7rocprim17ROCPRIM_400000_NS6detail17trampoline_kernelINS0_14default_configENS1_36segmented_radix_sort_config_selectorIilEEZNS1_25segmented_radix_sort_implIS3_Lb1EPKiPiPKlPlN2at6native12_GLOBAL__N_18offset_tEEE10hipError_tPvRmT1_PNSt15iterator_traitsISK_E10value_typeET2_T3_PNSL_ISQ_E10value_typeET4_jRbjT5_SW_jjP12ihipStream_tbEUlT_E2_NS1_11comp_targetILNS1_3genE5ELNS1_11target_archE942ELNS1_3gpuE9ELNS1_3repE0EEENS1_30default_config_static_selectorELNS0_4arch9wavefront6targetE0EEEvSK_,@function
_ZN7rocprim17ROCPRIM_400000_NS6detail17trampoline_kernelINS0_14default_configENS1_36segmented_radix_sort_config_selectorIilEEZNS1_25segmented_radix_sort_implIS3_Lb1EPKiPiPKlPlN2at6native12_GLOBAL__N_18offset_tEEE10hipError_tPvRmT1_PNSt15iterator_traitsISK_E10value_typeET2_T3_PNSL_ISQ_E10value_typeET4_jRbjT5_SW_jjP12ihipStream_tbEUlT_E2_NS1_11comp_targetILNS1_3genE5ELNS1_11target_archE942ELNS1_3gpuE9ELNS1_3repE0EEENS1_30default_config_static_selectorELNS0_4arch9wavefront6targetE0EEEvSK_: ; @_ZN7rocprim17ROCPRIM_400000_NS6detail17trampoline_kernelINS0_14default_configENS1_36segmented_radix_sort_config_selectorIilEEZNS1_25segmented_radix_sort_implIS3_Lb1EPKiPiPKlPlN2at6native12_GLOBAL__N_18offset_tEEE10hipError_tPvRmT1_PNSt15iterator_traitsISK_E10value_typeET2_T3_PNSL_ISQ_E10value_typeET4_jRbjT5_SW_jjP12ihipStream_tbEUlT_E2_NS1_11comp_targetILNS1_3genE5ELNS1_11target_archE942ELNS1_3gpuE9ELNS1_3repE0EEENS1_30default_config_static_selectorELNS0_4arch9wavefront6targetE0EEEvSK_
; %bb.0:
	.section	.rodata,"a",@progbits
	.p2align	6, 0x0
	.amdhsa_kernel _ZN7rocprim17ROCPRIM_400000_NS6detail17trampoline_kernelINS0_14default_configENS1_36segmented_radix_sort_config_selectorIilEEZNS1_25segmented_radix_sort_implIS3_Lb1EPKiPiPKlPlN2at6native12_GLOBAL__N_18offset_tEEE10hipError_tPvRmT1_PNSt15iterator_traitsISK_E10value_typeET2_T3_PNSL_ISQ_E10value_typeET4_jRbjT5_SW_jjP12ihipStream_tbEUlT_E2_NS1_11comp_targetILNS1_3genE5ELNS1_11target_archE942ELNS1_3gpuE9ELNS1_3repE0EEENS1_30default_config_static_selectorELNS0_4arch9wavefront6targetE0EEEvSK_
		.amdhsa_group_segment_fixed_size 0
		.amdhsa_private_segment_fixed_size 0
		.amdhsa_kernarg_size 80
		.amdhsa_user_sgpr_count 2
		.amdhsa_user_sgpr_dispatch_ptr 0
		.amdhsa_user_sgpr_queue_ptr 0
		.amdhsa_user_sgpr_kernarg_segment_ptr 1
		.amdhsa_user_sgpr_dispatch_id 0
		.amdhsa_user_sgpr_kernarg_preload_length 0
		.amdhsa_user_sgpr_kernarg_preload_offset 0
		.amdhsa_user_sgpr_private_segment_size 0
		.amdhsa_wavefront_size32 1
		.amdhsa_uses_dynamic_stack 0
		.amdhsa_enable_private_segment 0
		.amdhsa_system_sgpr_workgroup_id_x 1
		.amdhsa_system_sgpr_workgroup_id_y 0
		.amdhsa_system_sgpr_workgroup_id_z 0
		.amdhsa_system_sgpr_workgroup_info 0
		.amdhsa_system_vgpr_workitem_id 0
		.amdhsa_next_free_vgpr 1
		.amdhsa_next_free_sgpr 1
		.amdhsa_named_barrier_count 0
		.amdhsa_reserve_vcc 0
		.amdhsa_float_round_mode_32 0
		.amdhsa_float_round_mode_16_64 0
		.amdhsa_float_denorm_mode_32 3
		.amdhsa_float_denorm_mode_16_64 3
		.amdhsa_fp16_overflow 0
		.amdhsa_memory_ordered 1
		.amdhsa_forward_progress 1
		.amdhsa_inst_pref_size 0
		.amdhsa_round_robin_scheduling 0
		.amdhsa_exception_fp_ieee_invalid_op 0
		.amdhsa_exception_fp_denorm_src 0
		.amdhsa_exception_fp_ieee_div_zero 0
		.amdhsa_exception_fp_ieee_overflow 0
		.amdhsa_exception_fp_ieee_underflow 0
		.amdhsa_exception_fp_ieee_inexact 0
		.amdhsa_exception_int_div_zero 0
	.end_amdhsa_kernel
	.section	.text._ZN7rocprim17ROCPRIM_400000_NS6detail17trampoline_kernelINS0_14default_configENS1_36segmented_radix_sort_config_selectorIilEEZNS1_25segmented_radix_sort_implIS3_Lb1EPKiPiPKlPlN2at6native12_GLOBAL__N_18offset_tEEE10hipError_tPvRmT1_PNSt15iterator_traitsISK_E10value_typeET2_T3_PNSL_ISQ_E10value_typeET4_jRbjT5_SW_jjP12ihipStream_tbEUlT_E2_NS1_11comp_targetILNS1_3genE5ELNS1_11target_archE942ELNS1_3gpuE9ELNS1_3repE0EEENS1_30default_config_static_selectorELNS0_4arch9wavefront6targetE0EEEvSK_,"axG",@progbits,_ZN7rocprim17ROCPRIM_400000_NS6detail17trampoline_kernelINS0_14default_configENS1_36segmented_radix_sort_config_selectorIilEEZNS1_25segmented_radix_sort_implIS3_Lb1EPKiPiPKlPlN2at6native12_GLOBAL__N_18offset_tEEE10hipError_tPvRmT1_PNSt15iterator_traitsISK_E10value_typeET2_T3_PNSL_ISQ_E10value_typeET4_jRbjT5_SW_jjP12ihipStream_tbEUlT_E2_NS1_11comp_targetILNS1_3genE5ELNS1_11target_archE942ELNS1_3gpuE9ELNS1_3repE0EEENS1_30default_config_static_selectorELNS0_4arch9wavefront6targetE0EEEvSK_,comdat
.Lfunc_end524:
	.size	_ZN7rocprim17ROCPRIM_400000_NS6detail17trampoline_kernelINS0_14default_configENS1_36segmented_radix_sort_config_selectorIilEEZNS1_25segmented_radix_sort_implIS3_Lb1EPKiPiPKlPlN2at6native12_GLOBAL__N_18offset_tEEE10hipError_tPvRmT1_PNSt15iterator_traitsISK_E10value_typeET2_T3_PNSL_ISQ_E10value_typeET4_jRbjT5_SW_jjP12ihipStream_tbEUlT_E2_NS1_11comp_targetILNS1_3genE5ELNS1_11target_archE942ELNS1_3gpuE9ELNS1_3repE0EEENS1_30default_config_static_selectorELNS0_4arch9wavefront6targetE0EEEvSK_, .Lfunc_end524-_ZN7rocprim17ROCPRIM_400000_NS6detail17trampoline_kernelINS0_14default_configENS1_36segmented_radix_sort_config_selectorIilEEZNS1_25segmented_radix_sort_implIS3_Lb1EPKiPiPKlPlN2at6native12_GLOBAL__N_18offset_tEEE10hipError_tPvRmT1_PNSt15iterator_traitsISK_E10value_typeET2_T3_PNSL_ISQ_E10value_typeET4_jRbjT5_SW_jjP12ihipStream_tbEUlT_E2_NS1_11comp_targetILNS1_3genE5ELNS1_11target_archE942ELNS1_3gpuE9ELNS1_3repE0EEENS1_30default_config_static_selectorELNS0_4arch9wavefront6targetE0EEEvSK_
                                        ; -- End function
	.set _ZN7rocprim17ROCPRIM_400000_NS6detail17trampoline_kernelINS0_14default_configENS1_36segmented_radix_sort_config_selectorIilEEZNS1_25segmented_radix_sort_implIS3_Lb1EPKiPiPKlPlN2at6native12_GLOBAL__N_18offset_tEEE10hipError_tPvRmT1_PNSt15iterator_traitsISK_E10value_typeET2_T3_PNSL_ISQ_E10value_typeET4_jRbjT5_SW_jjP12ihipStream_tbEUlT_E2_NS1_11comp_targetILNS1_3genE5ELNS1_11target_archE942ELNS1_3gpuE9ELNS1_3repE0EEENS1_30default_config_static_selectorELNS0_4arch9wavefront6targetE0EEEvSK_.num_vgpr, 0
	.set _ZN7rocprim17ROCPRIM_400000_NS6detail17trampoline_kernelINS0_14default_configENS1_36segmented_radix_sort_config_selectorIilEEZNS1_25segmented_radix_sort_implIS3_Lb1EPKiPiPKlPlN2at6native12_GLOBAL__N_18offset_tEEE10hipError_tPvRmT1_PNSt15iterator_traitsISK_E10value_typeET2_T3_PNSL_ISQ_E10value_typeET4_jRbjT5_SW_jjP12ihipStream_tbEUlT_E2_NS1_11comp_targetILNS1_3genE5ELNS1_11target_archE942ELNS1_3gpuE9ELNS1_3repE0EEENS1_30default_config_static_selectorELNS0_4arch9wavefront6targetE0EEEvSK_.num_agpr, 0
	.set _ZN7rocprim17ROCPRIM_400000_NS6detail17trampoline_kernelINS0_14default_configENS1_36segmented_radix_sort_config_selectorIilEEZNS1_25segmented_radix_sort_implIS3_Lb1EPKiPiPKlPlN2at6native12_GLOBAL__N_18offset_tEEE10hipError_tPvRmT1_PNSt15iterator_traitsISK_E10value_typeET2_T3_PNSL_ISQ_E10value_typeET4_jRbjT5_SW_jjP12ihipStream_tbEUlT_E2_NS1_11comp_targetILNS1_3genE5ELNS1_11target_archE942ELNS1_3gpuE9ELNS1_3repE0EEENS1_30default_config_static_selectorELNS0_4arch9wavefront6targetE0EEEvSK_.numbered_sgpr, 0
	.set _ZN7rocprim17ROCPRIM_400000_NS6detail17trampoline_kernelINS0_14default_configENS1_36segmented_radix_sort_config_selectorIilEEZNS1_25segmented_radix_sort_implIS3_Lb1EPKiPiPKlPlN2at6native12_GLOBAL__N_18offset_tEEE10hipError_tPvRmT1_PNSt15iterator_traitsISK_E10value_typeET2_T3_PNSL_ISQ_E10value_typeET4_jRbjT5_SW_jjP12ihipStream_tbEUlT_E2_NS1_11comp_targetILNS1_3genE5ELNS1_11target_archE942ELNS1_3gpuE9ELNS1_3repE0EEENS1_30default_config_static_selectorELNS0_4arch9wavefront6targetE0EEEvSK_.num_named_barrier, 0
	.set _ZN7rocprim17ROCPRIM_400000_NS6detail17trampoline_kernelINS0_14default_configENS1_36segmented_radix_sort_config_selectorIilEEZNS1_25segmented_radix_sort_implIS3_Lb1EPKiPiPKlPlN2at6native12_GLOBAL__N_18offset_tEEE10hipError_tPvRmT1_PNSt15iterator_traitsISK_E10value_typeET2_T3_PNSL_ISQ_E10value_typeET4_jRbjT5_SW_jjP12ihipStream_tbEUlT_E2_NS1_11comp_targetILNS1_3genE5ELNS1_11target_archE942ELNS1_3gpuE9ELNS1_3repE0EEENS1_30default_config_static_selectorELNS0_4arch9wavefront6targetE0EEEvSK_.private_seg_size, 0
	.set _ZN7rocprim17ROCPRIM_400000_NS6detail17trampoline_kernelINS0_14default_configENS1_36segmented_radix_sort_config_selectorIilEEZNS1_25segmented_radix_sort_implIS3_Lb1EPKiPiPKlPlN2at6native12_GLOBAL__N_18offset_tEEE10hipError_tPvRmT1_PNSt15iterator_traitsISK_E10value_typeET2_T3_PNSL_ISQ_E10value_typeET4_jRbjT5_SW_jjP12ihipStream_tbEUlT_E2_NS1_11comp_targetILNS1_3genE5ELNS1_11target_archE942ELNS1_3gpuE9ELNS1_3repE0EEENS1_30default_config_static_selectorELNS0_4arch9wavefront6targetE0EEEvSK_.uses_vcc, 0
	.set _ZN7rocprim17ROCPRIM_400000_NS6detail17trampoline_kernelINS0_14default_configENS1_36segmented_radix_sort_config_selectorIilEEZNS1_25segmented_radix_sort_implIS3_Lb1EPKiPiPKlPlN2at6native12_GLOBAL__N_18offset_tEEE10hipError_tPvRmT1_PNSt15iterator_traitsISK_E10value_typeET2_T3_PNSL_ISQ_E10value_typeET4_jRbjT5_SW_jjP12ihipStream_tbEUlT_E2_NS1_11comp_targetILNS1_3genE5ELNS1_11target_archE942ELNS1_3gpuE9ELNS1_3repE0EEENS1_30default_config_static_selectorELNS0_4arch9wavefront6targetE0EEEvSK_.uses_flat_scratch, 0
	.set _ZN7rocprim17ROCPRIM_400000_NS6detail17trampoline_kernelINS0_14default_configENS1_36segmented_radix_sort_config_selectorIilEEZNS1_25segmented_radix_sort_implIS3_Lb1EPKiPiPKlPlN2at6native12_GLOBAL__N_18offset_tEEE10hipError_tPvRmT1_PNSt15iterator_traitsISK_E10value_typeET2_T3_PNSL_ISQ_E10value_typeET4_jRbjT5_SW_jjP12ihipStream_tbEUlT_E2_NS1_11comp_targetILNS1_3genE5ELNS1_11target_archE942ELNS1_3gpuE9ELNS1_3repE0EEENS1_30default_config_static_selectorELNS0_4arch9wavefront6targetE0EEEvSK_.has_dyn_sized_stack, 0
	.set _ZN7rocprim17ROCPRIM_400000_NS6detail17trampoline_kernelINS0_14default_configENS1_36segmented_radix_sort_config_selectorIilEEZNS1_25segmented_radix_sort_implIS3_Lb1EPKiPiPKlPlN2at6native12_GLOBAL__N_18offset_tEEE10hipError_tPvRmT1_PNSt15iterator_traitsISK_E10value_typeET2_T3_PNSL_ISQ_E10value_typeET4_jRbjT5_SW_jjP12ihipStream_tbEUlT_E2_NS1_11comp_targetILNS1_3genE5ELNS1_11target_archE942ELNS1_3gpuE9ELNS1_3repE0EEENS1_30default_config_static_selectorELNS0_4arch9wavefront6targetE0EEEvSK_.has_recursion, 0
	.set _ZN7rocprim17ROCPRIM_400000_NS6detail17trampoline_kernelINS0_14default_configENS1_36segmented_radix_sort_config_selectorIilEEZNS1_25segmented_radix_sort_implIS3_Lb1EPKiPiPKlPlN2at6native12_GLOBAL__N_18offset_tEEE10hipError_tPvRmT1_PNSt15iterator_traitsISK_E10value_typeET2_T3_PNSL_ISQ_E10value_typeET4_jRbjT5_SW_jjP12ihipStream_tbEUlT_E2_NS1_11comp_targetILNS1_3genE5ELNS1_11target_archE942ELNS1_3gpuE9ELNS1_3repE0EEENS1_30default_config_static_selectorELNS0_4arch9wavefront6targetE0EEEvSK_.has_indirect_call, 0
	.section	.AMDGPU.csdata,"",@progbits
; Kernel info:
; codeLenInByte = 0
; TotalNumSgprs: 0
; NumVgprs: 0
; ScratchSize: 0
; MemoryBound: 0
; FloatMode: 240
; IeeeMode: 1
; LDSByteSize: 0 bytes/workgroup (compile time only)
; SGPRBlocks: 0
; VGPRBlocks: 0
; NumSGPRsForWavesPerEU: 1
; NumVGPRsForWavesPerEU: 1
; NamedBarCnt: 0
; Occupancy: 16
; WaveLimiterHint : 0
; COMPUTE_PGM_RSRC2:SCRATCH_EN: 0
; COMPUTE_PGM_RSRC2:USER_SGPR: 2
; COMPUTE_PGM_RSRC2:TRAP_HANDLER: 0
; COMPUTE_PGM_RSRC2:TGID_X_EN: 1
; COMPUTE_PGM_RSRC2:TGID_Y_EN: 0
; COMPUTE_PGM_RSRC2:TGID_Z_EN: 0
; COMPUTE_PGM_RSRC2:TIDIG_COMP_CNT: 0
	.section	.text._ZN7rocprim17ROCPRIM_400000_NS6detail17trampoline_kernelINS0_14default_configENS1_36segmented_radix_sort_config_selectorIilEEZNS1_25segmented_radix_sort_implIS3_Lb1EPKiPiPKlPlN2at6native12_GLOBAL__N_18offset_tEEE10hipError_tPvRmT1_PNSt15iterator_traitsISK_E10value_typeET2_T3_PNSL_ISQ_E10value_typeET4_jRbjT5_SW_jjP12ihipStream_tbEUlT_E2_NS1_11comp_targetILNS1_3genE4ELNS1_11target_archE910ELNS1_3gpuE8ELNS1_3repE0EEENS1_30default_config_static_selectorELNS0_4arch9wavefront6targetE0EEEvSK_,"axG",@progbits,_ZN7rocprim17ROCPRIM_400000_NS6detail17trampoline_kernelINS0_14default_configENS1_36segmented_radix_sort_config_selectorIilEEZNS1_25segmented_radix_sort_implIS3_Lb1EPKiPiPKlPlN2at6native12_GLOBAL__N_18offset_tEEE10hipError_tPvRmT1_PNSt15iterator_traitsISK_E10value_typeET2_T3_PNSL_ISQ_E10value_typeET4_jRbjT5_SW_jjP12ihipStream_tbEUlT_E2_NS1_11comp_targetILNS1_3genE4ELNS1_11target_archE910ELNS1_3gpuE8ELNS1_3repE0EEENS1_30default_config_static_selectorELNS0_4arch9wavefront6targetE0EEEvSK_,comdat
	.globl	_ZN7rocprim17ROCPRIM_400000_NS6detail17trampoline_kernelINS0_14default_configENS1_36segmented_radix_sort_config_selectorIilEEZNS1_25segmented_radix_sort_implIS3_Lb1EPKiPiPKlPlN2at6native12_GLOBAL__N_18offset_tEEE10hipError_tPvRmT1_PNSt15iterator_traitsISK_E10value_typeET2_T3_PNSL_ISQ_E10value_typeET4_jRbjT5_SW_jjP12ihipStream_tbEUlT_E2_NS1_11comp_targetILNS1_3genE4ELNS1_11target_archE910ELNS1_3gpuE8ELNS1_3repE0EEENS1_30default_config_static_selectorELNS0_4arch9wavefront6targetE0EEEvSK_ ; -- Begin function _ZN7rocprim17ROCPRIM_400000_NS6detail17trampoline_kernelINS0_14default_configENS1_36segmented_radix_sort_config_selectorIilEEZNS1_25segmented_radix_sort_implIS3_Lb1EPKiPiPKlPlN2at6native12_GLOBAL__N_18offset_tEEE10hipError_tPvRmT1_PNSt15iterator_traitsISK_E10value_typeET2_T3_PNSL_ISQ_E10value_typeET4_jRbjT5_SW_jjP12ihipStream_tbEUlT_E2_NS1_11comp_targetILNS1_3genE4ELNS1_11target_archE910ELNS1_3gpuE8ELNS1_3repE0EEENS1_30default_config_static_selectorELNS0_4arch9wavefront6targetE0EEEvSK_
	.p2align	8
	.type	_ZN7rocprim17ROCPRIM_400000_NS6detail17trampoline_kernelINS0_14default_configENS1_36segmented_radix_sort_config_selectorIilEEZNS1_25segmented_radix_sort_implIS3_Lb1EPKiPiPKlPlN2at6native12_GLOBAL__N_18offset_tEEE10hipError_tPvRmT1_PNSt15iterator_traitsISK_E10value_typeET2_T3_PNSL_ISQ_E10value_typeET4_jRbjT5_SW_jjP12ihipStream_tbEUlT_E2_NS1_11comp_targetILNS1_3genE4ELNS1_11target_archE910ELNS1_3gpuE8ELNS1_3repE0EEENS1_30default_config_static_selectorELNS0_4arch9wavefront6targetE0EEEvSK_,@function
_ZN7rocprim17ROCPRIM_400000_NS6detail17trampoline_kernelINS0_14default_configENS1_36segmented_radix_sort_config_selectorIilEEZNS1_25segmented_radix_sort_implIS3_Lb1EPKiPiPKlPlN2at6native12_GLOBAL__N_18offset_tEEE10hipError_tPvRmT1_PNSt15iterator_traitsISK_E10value_typeET2_T3_PNSL_ISQ_E10value_typeET4_jRbjT5_SW_jjP12ihipStream_tbEUlT_E2_NS1_11comp_targetILNS1_3genE4ELNS1_11target_archE910ELNS1_3gpuE8ELNS1_3repE0EEENS1_30default_config_static_selectorELNS0_4arch9wavefront6targetE0EEEvSK_: ; @_ZN7rocprim17ROCPRIM_400000_NS6detail17trampoline_kernelINS0_14default_configENS1_36segmented_radix_sort_config_selectorIilEEZNS1_25segmented_radix_sort_implIS3_Lb1EPKiPiPKlPlN2at6native12_GLOBAL__N_18offset_tEEE10hipError_tPvRmT1_PNSt15iterator_traitsISK_E10value_typeET2_T3_PNSL_ISQ_E10value_typeET4_jRbjT5_SW_jjP12ihipStream_tbEUlT_E2_NS1_11comp_targetILNS1_3genE4ELNS1_11target_archE910ELNS1_3gpuE8ELNS1_3repE0EEENS1_30default_config_static_selectorELNS0_4arch9wavefront6targetE0EEEvSK_
; %bb.0:
	.section	.rodata,"a",@progbits
	.p2align	6, 0x0
	.amdhsa_kernel _ZN7rocprim17ROCPRIM_400000_NS6detail17trampoline_kernelINS0_14default_configENS1_36segmented_radix_sort_config_selectorIilEEZNS1_25segmented_radix_sort_implIS3_Lb1EPKiPiPKlPlN2at6native12_GLOBAL__N_18offset_tEEE10hipError_tPvRmT1_PNSt15iterator_traitsISK_E10value_typeET2_T3_PNSL_ISQ_E10value_typeET4_jRbjT5_SW_jjP12ihipStream_tbEUlT_E2_NS1_11comp_targetILNS1_3genE4ELNS1_11target_archE910ELNS1_3gpuE8ELNS1_3repE0EEENS1_30default_config_static_selectorELNS0_4arch9wavefront6targetE0EEEvSK_
		.amdhsa_group_segment_fixed_size 0
		.amdhsa_private_segment_fixed_size 0
		.amdhsa_kernarg_size 80
		.amdhsa_user_sgpr_count 2
		.amdhsa_user_sgpr_dispatch_ptr 0
		.amdhsa_user_sgpr_queue_ptr 0
		.amdhsa_user_sgpr_kernarg_segment_ptr 1
		.amdhsa_user_sgpr_dispatch_id 0
		.amdhsa_user_sgpr_kernarg_preload_length 0
		.amdhsa_user_sgpr_kernarg_preload_offset 0
		.amdhsa_user_sgpr_private_segment_size 0
		.amdhsa_wavefront_size32 1
		.amdhsa_uses_dynamic_stack 0
		.amdhsa_enable_private_segment 0
		.amdhsa_system_sgpr_workgroup_id_x 1
		.amdhsa_system_sgpr_workgroup_id_y 0
		.amdhsa_system_sgpr_workgroup_id_z 0
		.amdhsa_system_sgpr_workgroup_info 0
		.amdhsa_system_vgpr_workitem_id 0
		.amdhsa_next_free_vgpr 1
		.amdhsa_next_free_sgpr 1
		.amdhsa_named_barrier_count 0
		.amdhsa_reserve_vcc 0
		.amdhsa_float_round_mode_32 0
		.amdhsa_float_round_mode_16_64 0
		.amdhsa_float_denorm_mode_32 3
		.amdhsa_float_denorm_mode_16_64 3
		.amdhsa_fp16_overflow 0
		.amdhsa_memory_ordered 1
		.amdhsa_forward_progress 1
		.amdhsa_inst_pref_size 0
		.amdhsa_round_robin_scheduling 0
		.amdhsa_exception_fp_ieee_invalid_op 0
		.amdhsa_exception_fp_denorm_src 0
		.amdhsa_exception_fp_ieee_div_zero 0
		.amdhsa_exception_fp_ieee_overflow 0
		.amdhsa_exception_fp_ieee_underflow 0
		.amdhsa_exception_fp_ieee_inexact 0
		.amdhsa_exception_int_div_zero 0
	.end_amdhsa_kernel
	.section	.text._ZN7rocprim17ROCPRIM_400000_NS6detail17trampoline_kernelINS0_14default_configENS1_36segmented_radix_sort_config_selectorIilEEZNS1_25segmented_radix_sort_implIS3_Lb1EPKiPiPKlPlN2at6native12_GLOBAL__N_18offset_tEEE10hipError_tPvRmT1_PNSt15iterator_traitsISK_E10value_typeET2_T3_PNSL_ISQ_E10value_typeET4_jRbjT5_SW_jjP12ihipStream_tbEUlT_E2_NS1_11comp_targetILNS1_3genE4ELNS1_11target_archE910ELNS1_3gpuE8ELNS1_3repE0EEENS1_30default_config_static_selectorELNS0_4arch9wavefront6targetE0EEEvSK_,"axG",@progbits,_ZN7rocprim17ROCPRIM_400000_NS6detail17trampoline_kernelINS0_14default_configENS1_36segmented_radix_sort_config_selectorIilEEZNS1_25segmented_radix_sort_implIS3_Lb1EPKiPiPKlPlN2at6native12_GLOBAL__N_18offset_tEEE10hipError_tPvRmT1_PNSt15iterator_traitsISK_E10value_typeET2_T3_PNSL_ISQ_E10value_typeET4_jRbjT5_SW_jjP12ihipStream_tbEUlT_E2_NS1_11comp_targetILNS1_3genE4ELNS1_11target_archE910ELNS1_3gpuE8ELNS1_3repE0EEENS1_30default_config_static_selectorELNS0_4arch9wavefront6targetE0EEEvSK_,comdat
.Lfunc_end525:
	.size	_ZN7rocprim17ROCPRIM_400000_NS6detail17trampoline_kernelINS0_14default_configENS1_36segmented_radix_sort_config_selectorIilEEZNS1_25segmented_radix_sort_implIS3_Lb1EPKiPiPKlPlN2at6native12_GLOBAL__N_18offset_tEEE10hipError_tPvRmT1_PNSt15iterator_traitsISK_E10value_typeET2_T3_PNSL_ISQ_E10value_typeET4_jRbjT5_SW_jjP12ihipStream_tbEUlT_E2_NS1_11comp_targetILNS1_3genE4ELNS1_11target_archE910ELNS1_3gpuE8ELNS1_3repE0EEENS1_30default_config_static_selectorELNS0_4arch9wavefront6targetE0EEEvSK_, .Lfunc_end525-_ZN7rocprim17ROCPRIM_400000_NS6detail17trampoline_kernelINS0_14default_configENS1_36segmented_radix_sort_config_selectorIilEEZNS1_25segmented_radix_sort_implIS3_Lb1EPKiPiPKlPlN2at6native12_GLOBAL__N_18offset_tEEE10hipError_tPvRmT1_PNSt15iterator_traitsISK_E10value_typeET2_T3_PNSL_ISQ_E10value_typeET4_jRbjT5_SW_jjP12ihipStream_tbEUlT_E2_NS1_11comp_targetILNS1_3genE4ELNS1_11target_archE910ELNS1_3gpuE8ELNS1_3repE0EEENS1_30default_config_static_selectorELNS0_4arch9wavefront6targetE0EEEvSK_
                                        ; -- End function
	.set _ZN7rocprim17ROCPRIM_400000_NS6detail17trampoline_kernelINS0_14default_configENS1_36segmented_radix_sort_config_selectorIilEEZNS1_25segmented_radix_sort_implIS3_Lb1EPKiPiPKlPlN2at6native12_GLOBAL__N_18offset_tEEE10hipError_tPvRmT1_PNSt15iterator_traitsISK_E10value_typeET2_T3_PNSL_ISQ_E10value_typeET4_jRbjT5_SW_jjP12ihipStream_tbEUlT_E2_NS1_11comp_targetILNS1_3genE4ELNS1_11target_archE910ELNS1_3gpuE8ELNS1_3repE0EEENS1_30default_config_static_selectorELNS0_4arch9wavefront6targetE0EEEvSK_.num_vgpr, 0
	.set _ZN7rocprim17ROCPRIM_400000_NS6detail17trampoline_kernelINS0_14default_configENS1_36segmented_radix_sort_config_selectorIilEEZNS1_25segmented_radix_sort_implIS3_Lb1EPKiPiPKlPlN2at6native12_GLOBAL__N_18offset_tEEE10hipError_tPvRmT1_PNSt15iterator_traitsISK_E10value_typeET2_T3_PNSL_ISQ_E10value_typeET4_jRbjT5_SW_jjP12ihipStream_tbEUlT_E2_NS1_11comp_targetILNS1_3genE4ELNS1_11target_archE910ELNS1_3gpuE8ELNS1_3repE0EEENS1_30default_config_static_selectorELNS0_4arch9wavefront6targetE0EEEvSK_.num_agpr, 0
	.set _ZN7rocprim17ROCPRIM_400000_NS6detail17trampoline_kernelINS0_14default_configENS1_36segmented_radix_sort_config_selectorIilEEZNS1_25segmented_radix_sort_implIS3_Lb1EPKiPiPKlPlN2at6native12_GLOBAL__N_18offset_tEEE10hipError_tPvRmT1_PNSt15iterator_traitsISK_E10value_typeET2_T3_PNSL_ISQ_E10value_typeET4_jRbjT5_SW_jjP12ihipStream_tbEUlT_E2_NS1_11comp_targetILNS1_3genE4ELNS1_11target_archE910ELNS1_3gpuE8ELNS1_3repE0EEENS1_30default_config_static_selectorELNS0_4arch9wavefront6targetE0EEEvSK_.numbered_sgpr, 0
	.set _ZN7rocprim17ROCPRIM_400000_NS6detail17trampoline_kernelINS0_14default_configENS1_36segmented_radix_sort_config_selectorIilEEZNS1_25segmented_radix_sort_implIS3_Lb1EPKiPiPKlPlN2at6native12_GLOBAL__N_18offset_tEEE10hipError_tPvRmT1_PNSt15iterator_traitsISK_E10value_typeET2_T3_PNSL_ISQ_E10value_typeET4_jRbjT5_SW_jjP12ihipStream_tbEUlT_E2_NS1_11comp_targetILNS1_3genE4ELNS1_11target_archE910ELNS1_3gpuE8ELNS1_3repE0EEENS1_30default_config_static_selectorELNS0_4arch9wavefront6targetE0EEEvSK_.num_named_barrier, 0
	.set _ZN7rocprim17ROCPRIM_400000_NS6detail17trampoline_kernelINS0_14default_configENS1_36segmented_radix_sort_config_selectorIilEEZNS1_25segmented_radix_sort_implIS3_Lb1EPKiPiPKlPlN2at6native12_GLOBAL__N_18offset_tEEE10hipError_tPvRmT1_PNSt15iterator_traitsISK_E10value_typeET2_T3_PNSL_ISQ_E10value_typeET4_jRbjT5_SW_jjP12ihipStream_tbEUlT_E2_NS1_11comp_targetILNS1_3genE4ELNS1_11target_archE910ELNS1_3gpuE8ELNS1_3repE0EEENS1_30default_config_static_selectorELNS0_4arch9wavefront6targetE0EEEvSK_.private_seg_size, 0
	.set _ZN7rocprim17ROCPRIM_400000_NS6detail17trampoline_kernelINS0_14default_configENS1_36segmented_radix_sort_config_selectorIilEEZNS1_25segmented_radix_sort_implIS3_Lb1EPKiPiPKlPlN2at6native12_GLOBAL__N_18offset_tEEE10hipError_tPvRmT1_PNSt15iterator_traitsISK_E10value_typeET2_T3_PNSL_ISQ_E10value_typeET4_jRbjT5_SW_jjP12ihipStream_tbEUlT_E2_NS1_11comp_targetILNS1_3genE4ELNS1_11target_archE910ELNS1_3gpuE8ELNS1_3repE0EEENS1_30default_config_static_selectorELNS0_4arch9wavefront6targetE0EEEvSK_.uses_vcc, 0
	.set _ZN7rocprim17ROCPRIM_400000_NS6detail17trampoline_kernelINS0_14default_configENS1_36segmented_radix_sort_config_selectorIilEEZNS1_25segmented_radix_sort_implIS3_Lb1EPKiPiPKlPlN2at6native12_GLOBAL__N_18offset_tEEE10hipError_tPvRmT1_PNSt15iterator_traitsISK_E10value_typeET2_T3_PNSL_ISQ_E10value_typeET4_jRbjT5_SW_jjP12ihipStream_tbEUlT_E2_NS1_11comp_targetILNS1_3genE4ELNS1_11target_archE910ELNS1_3gpuE8ELNS1_3repE0EEENS1_30default_config_static_selectorELNS0_4arch9wavefront6targetE0EEEvSK_.uses_flat_scratch, 0
	.set _ZN7rocprim17ROCPRIM_400000_NS6detail17trampoline_kernelINS0_14default_configENS1_36segmented_radix_sort_config_selectorIilEEZNS1_25segmented_radix_sort_implIS3_Lb1EPKiPiPKlPlN2at6native12_GLOBAL__N_18offset_tEEE10hipError_tPvRmT1_PNSt15iterator_traitsISK_E10value_typeET2_T3_PNSL_ISQ_E10value_typeET4_jRbjT5_SW_jjP12ihipStream_tbEUlT_E2_NS1_11comp_targetILNS1_3genE4ELNS1_11target_archE910ELNS1_3gpuE8ELNS1_3repE0EEENS1_30default_config_static_selectorELNS0_4arch9wavefront6targetE0EEEvSK_.has_dyn_sized_stack, 0
	.set _ZN7rocprim17ROCPRIM_400000_NS6detail17trampoline_kernelINS0_14default_configENS1_36segmented_radix_sort_config_selectorIilEEZNS1_25segmented_radix_sort_implIS3_Lb1EPKiPiPKlPlN2at6native12_GLOBAL__N_18offset_tEEE10hipError_tPvRmT1_PNSt15iterator_traitsISK_E10value_typeET2_T3_PNSL_ISQ_E10value_typeET4_jRbjT5_SW_jjP12ihipStream_tbEUlT_E2_NS1_11comp_targetILNS1_3genE4ELNS1_11target_archE910ELNS1_3gpuE8ELNS1_3repE0EEENS1_30default_config_static_selectorELNS0_4arch9wavefront6targetE0EEEvSK_.has_recursion, 0
	.set _ZN7rocprim17ROCPRIM_400000_NS6detail17trampoline_kernelINS0_14default_configENS1_36segmented_radix_sort_config_selectorIilEEZNS1_25segmented_radix_sort_implIS3_Lb1EPKiPiPKlPlN2at6native12_GLOBAL__N_18offset_tEEE10hipError_tPvRmT1_PNSt15iterator_traitsISK_E10value_typeET2_T3_PNSL_ISQ_E10value_typeET4_jRbjT5_SW_jjP12ihipStream_tbEUlT_E2_NS1_11comp_targetILNS1_3genE4ELNS1_11target_archE910ELNS1_3gpuE8ELNS1_3repE0EEENS1_30default_config_static_selectorELNS0_4arch9wavefront6targetE0EEEvSK_.has_indirect_call, 0
	.section	.AMDGPU.csdata,"",@progbits
; Kernel info:
; codeLenInByte = 0
; TotalNumSgprs: 0
; NumVgprs: 0
; ScratchSize: 0
; MemoryBound: 0
; FloatMode: 240
; IeeeMode: 1
; LDSByteSize: 0 bytes/workgroup (compile time only)
; SGPRBlocks: 0
; VGPRBlocks: 0
; NumSGPRsForWavesPerEU: 1
; NumVGPRsForWavesPerEU: 1
; NamedBarCnt: 0
; Occupancy: 16
; WaveLimiterHint : 0
; COMPUTE_PGM_RSRC2:SCRATCH_EN: 0
; COMPUTE_PGM_RSRC2:USER_SGPR: 2
; COMPUTE_PGM_RSRC2:TRAP_HANDLER: 0
; COMPUTE_PGM_RSRC2:TGID_X_EN: 1
; COMPUTE_PGM_RSRC2:TGID_Y_EN: 0
; COMPUTE_PGM_RSRC2:TGID_Z_EN: 0
; COMPUTE_PGM_RSRC2:TIDIG_COMP_CNT: 0
	.section	.text._ZN7rocprim17ROCPRIM_400000_NS6detail17trampoline_kernelINS0_14default_configENS1_36segmented_radix_sort_config_selectorIilEEZNS1_25segmented_radix_sort_implIS3_Lb1EPKiPiPKlPlN2at6native12_GLOBAL__N_18offset_tEEE10hipError_tPvRmT1_PNSt15iterator_traitsISK_E10value_typeET2_T3_PNSL_ISQ_E10value_typeET4_jRbjT5_SW_jjP12ihipStream_tbEUlT_E2_NS1_11comp_targetILNS1_3genE3ELNS1_11target_archE908ELNS1_3gpuE7ELNS1_3repE0EEENS1_30default_config_static_selectorELNS0_4arch9wavefront6targetE0EEEvSK_,"axG",@progbits,_ZN7rocprim17ROCPRIM_400000_NS6detail17trampoline_kernelINS0_14default_configENS1_36segmented_radix_sort_config_selectorIilEEZNS1_25segmented_radix_sort_implIS3_Lb1EPKiPiPKlPlN2at6native12_GLOBAL__N_18offset_tEEE10hipError_tPvRmT1_PNSt15iterator_traitsISK_E10value_typeET2_T3_PNSL_ISQ_E10value_typeET4_jRbjT5_SW_jjP12ihipStream_tbEUlT_E2_NS1_11comp_targetILNS1_3genE3ELNS1_11target_archE908ELNS1_3gpuE7ELNS1_3repE0EEENS1_30default_config_static_selectorELNS0_4arch9wavefront6targetE0EEEvSK_,comdat
	.globl	_ZN7rocprim17ROCPRIM_400000_NS6detail17trampoline_kernelINS0_14default_configENS1_36segmented_radix_sort_config_selectorIilEEZNS1_25segmented_radix_sort_implIS3_Lb1EPKiPiPKlPlN2at6native12_GLOBAL__N_18offset_tEEE10hipError_tPvRmT1_PNSt15iterator_traitsISK_E10value_typeET2_T3_PNSL_ISQ_E10value_typeET4_jRbjT5_SW_jjP12ihipStream_tbEUlT_E2_NS1_11comp_targetILNS1_3genE3ELNS1_11target_archE908ELNS1_3gpuE7ELNS1_3repE0EEENS1_30default_config_static_selectorELNS0_4arch9wavefront6targetE0EEEvSK_ ; -- Begin function _ZN7rocprim17ROCPRIM_400000_NS6detail17trampoline_kernelINS0_14default_configENS1_36segmented_radix_sort_config_selectorIilEEZNS1_25segmented_radix_sort_implIS3_Lb1EPKiPiPKlPlN2at6native12_GLOBAL__N_18offset_tEEE10hipError_tPvRmT1_PNSt15iterator_traitsISK_E10value_typeET2_T3_PNSL_ISQ_E10value_typeET4_jRbjT5_SW_jjP12ihipStream_tbEUlT_E2_NS1_11comp_targetILNS1_3genE3ELNS1_11target_archE908ELNS1_3gpuE7ELNS1_3repE0EEENS1_30default_config_static_selectorELNS0_4arch9wavefront6targetE0EEEvSK_
	.p2align	8
	.type	_ZN7rocprim17ROCPRIM_400000_NS6detail17trampoline_kernelINS0_14default_configENS1_36segmented_radix_sort_config_selectorIilEEZNS1_25segmented_radix_sort_implIS3_Lb1EPKiPiPKlPlN2at6native12_GLOBAL__N_18offset_tEEE10hipError_tPvRmT1_PNSt15iterator_traitsISK_E10value_typeET2_T3_PNSL_ISQ_E10value_typeET4_jRbjT5_SW_jjP12ihipStream_tbEUlT_E2_NS1_11comp_targetILNS1_3genE3ELNS1_11target_archE908ELNS1_3gpuE7ELNS1_3repE0EEENS1_30default_config_static_selectorELNS0_4arch9wavefront6targetE0EEEvSK_,@function
_ZN7rocprim17ROCPRIM_400000_NS6detail17trampoline_kernelINS0_14default_configENS1_36segmented_radix_sort_config_selectorIilEEZNS1_25segmented_radix_sort_implIS3_Lb1EPKiPiPKlPlN2at6native12_GLOBAL__N_18offset_tEEE10hipError_tPvRmT1_PNSt15iterator_traitsISK_E10value_typeET2_T3_PNSL_ISQ_E10value_typeET4_jRbjT5_SW_jjP12ihipStream_tbEUlT_E2_NS1_11comp_targetILNS1_3genE3ELNS1_11target_archE908ELNS1_3gpuE7ELNS1_3repE0EEENS1_30default_config_static_selectorELNS0_4arch9wavefront6targetE0EEEvSK_: ; @_ZN7rocprim17ROCPRIM_400000_NS6detail17trampoline_kernelINS0_14default_configENS1_36segmented_radix_sort_config_selectorIilEEZNS1_25segmented_radix_sort_implIS3_Lb1EPKiPiPKlPlN2at6native12_GLOBAL__N_18offset_tEEE10hipError_tPvRmT1_PNSt15iterator_traitsISK_E10value_typeET2_T3_PNSL_ISQ_E10value_typeET4_jRbjT5_SW_jjP12ihipStream_tbEUlT_E2_NS1_11comp_targetILNS1_3genE3ELNS1_11target_archE908ELNS1_3gpuE7ELNS1_3repE0EEENS1_30default_config_static_selectorELNS0_4arch9wavefront6targetE0EEEvSK_
; %bb.0:
	.section	.rodata,"a",@progbits
	.p2align	6, 0x0
	.amdhsa_kernel _ZN7rocprim17ROCPRIM_400000_NS6detail17trampoline_kernelINS0_14default_configENS1_36segmented_radix_sort_config_selectorIilEEZNS1_25segmented_radix_sort_implIS3_Lb1EPKiPiPKlPlN2at6native12_GLOBAL__N_18offset_tEEE10hipError_tPvRmT1_PNSt15iterator_traitsISK_E10value_typeET2_T3_PNSL_ISQ_E10value_typeET4_jRbjT5_SW_jjP12ihipStream_tbEUlT_E2_NS1_11comp_targetILNS1_3genE3ELNS1_11target_archE908ELNS1_3gpuE7ELNS1_3repE0EEENS1_30default_config_static_selectorELNS0_4arch9wavefront6targetE0EEEvSK_
		.amdhsa_group_segment_fixed_size 0
		.amdhsa_private_segment_fixed_size 0
		.amdhsa_kernarg_size 80
		.amdhsa_user_sgpr_count 2
		.amdhsa_user_sgpr_dispatch_ptr 0
		.amdhsa_user_sgpr_queue_ptr 0
		.amdhsa_user_sgpr_kernarg_segment_ptr 1
		.amdhsa_user_sgpr_dispatch_id 0
		.amdhsa_user_sgpr_kernarg_preload_length 0
		.amdhsa_user_sgpr_kernarg_preload_offset 0
		.amdhsa_user_sgpr_private_segment_size 0
		.amdhsa_wavefront_size32 1
		.amdhsa_uses_dynamic_stack 0
		.amdhsa_enable_private_segment 0
		.amdhsa_system_sgpr_workgroup_id_x 1
		.amdhsa_system_sgpr_workgroup_id_y 0
		.amdhsa_system_sgpr_workgroup_id_z 0
		.amdhsa_system_sgpr_workgroup_info 0
		.amdhsa_system_vgpr_workitem_id 0
		.amdhsa_next_free_vgpr 1
		.amdhsa_next_free_sgpr 1
		.amdhsa_named_barrier_count 0
		.amdhsa_reserve_vcc 0
		.amdhsa_float_round_mode_32 0
		.amdhsa_float_round_mode_16_64 0
		.amdhsa_float_denorm_mode_32 3
		.amdhsa_float_denorm_mode_16_64 3
		.amdhsa_fp16_overflow 0
		.amdhsa_memory_ordered 1
		.amdhsa_forward_progress 1
		.amdhsa_inst_pref_size 0
		.amdhsa_round_robin_scheduling 0
		.amdhsa_exception_fp_ieee_invalid_op 0
		.amdhsa_exception_fp_denorm_src 0
		.amdhsa_exception_fp_ieee_div_zero 0
		.amdhsa_exception_fp_ieee_overflow 0
		.amdhsa_exception_fp_ieee_underflow 0
		.amdhsa_exception_fp_ieee_inexact 0
		.amdhsa_exception_int_div_zero 0
	.end_amdhsa_kernel
	.section	.text._ZN7rocprim17ROCPRIM_400000_NS6detail17trampoline_kernelINS0_14default_configENS1_36segmented_radix_sort_config_selectorIilEEZNS1_25segmented_radix_sort_implIS3_Lb1EPKiPiPKlPlN2at6native12_GLOBAL__N_18offset_tEEE10hipError_tPvRmT1_PNSt15iterator_traitsISK_E10value_typeET2_T3_PNSL_ISQ_E10value_typeET4_jRbjT5_SW_jjP12ihipStream_tbEUlT_E2_NS1_11comp_targetILNS1_3genE3ELNS1_11target_archE908ELNS1_3gpuE7ELNS1_3repE0EEENS1_30default_config_static_selectorELNS0_4arch9wavefront6targetE0EEEvSK_,"axG",@progbits,_ZN7rocprim17ROCPRIM_400000_NS6detail17trampoline_kernelINS0_14default_configENS1_36segmented_radix_sort_config_selectorIilEEZNS1_25segmented_radix_sort_implIS3_Lb1EPKiPiPKlPlN2at6native12_GLOBAL__N_18offset_tEEE10hipError_tPvRmT1_PNSt15iterator_traitsISK_E10value_typeET2_T3_PNSL_ISQ_E10value_typeET4_jRbjT5_SW_jjP12ihipStream_tbEUlT_E2_NS1_11comp_targetILNS1_3genE3ELNS1_11target_archE908ELNS1_3gpuE7ELNS1_3repE0EEENS1_30default_config_static_selectorELNS0_4arch9wavefront6targetE0EEEvSK_,comdat
.Lfunc_end526:
	.size	_ZN7rocprim17ROCPRIM_400000_NS6detail17trampoline_kernelINS0_14default_configENS1_36segmented_radix_sort_config_selectorIilEEZNS1_25segmented_radix_sort_implIS3_Lb1EPKiPiPKlPlN2at6native12_GLOBAL__N_18offset_tEEE10hipError_tPvRmT1_PNSt15iterator_traitsISK_E10value_typeET2_T3_PNSL_ISQ_E10value_typeET4_jRbjT5_SW_jjP12ihipStream_tbEUlT_E2_NS1_11comp_targetILNS1_3genE3ELNS1_11target_archE908ELNS1_3gpuE7ELNS1_3repE0EEENS1_30default_config_static_selectorELNS0_4arch9wavefront6targetE0EEEvSK_, .Lfunc_end526-_ZN7rocprim17ROCPRIM_400000_NS6detail17trampoline_kernelINS0_14default_configENS1_36segmented_radix_sort_config_selectorIilEEZNS1_25segmented_radix_sort_implIS3_Lb1EPKiPiPKlPlN2at6native12_GLOBAL__N_18offset_tEEE10hipError_tPvRmT1_PNSt15iterator_traitsISK_E10value_typeET2_T3_PNSL_ISQ_E10value_typeET4_jRbjT5_SW_jjP12ihipStream_tbEUlT_E2_NS1_11comp_targetILNS1_3genE3ELNS1_11target_archE908ELNS1_3gpuE7ELNS1_3repE0EEENS1_30default_config_static_selectorELNS0_4arch9wavefront6targetE0EEEvSK_
                                        ; -- End function
	.set _ZN7rocprim17ROCPRIM_400000_NS6detail17trampoline_kernelINS0_14default_configENS1_36segmented_radix_sort_config_selectorIilEEZNS1_25segmented_radix_sort_implIS3_Lb1EPKiPiPKlPlN2at6native12_GLOBAL__N_18offset_tEEE10hipError_tPvRmT1_PNSt15iterator_traitsISK_E10value_typeET2_T3_PNSL_ISQ_E10value_typeET4_jRbjT5_SW_jjP12ihipStream_tbEUlT_E2_NS1_11comp_targetILNS1_3genE3ELNS1_11target_archE908ELNS1_3gpuE7ELNS1_3repE0EEENS1_30default_config_static_selectorELNS0_4arch9wavefront6targetE0EEEvSK_.num_vgpr, 0
	.set _ZN7rocprim17ROCPRIM_400000_NS6detail17trampoline_kernelINS0_14default_configENS1_36segmented_radix_sort_config_selectorIilEEZNS1_25segmented_radix_sort_implIS3_Lb1EPKiPiPKlPlN2at6native12_GLOBAL__N_18offset_tEEE10hipError_tPvRmT1_PNSt15iterator_traitsISK_E10value_typeET2_T3_PNSL_ISQ_E10value_typeET4_jRbjT5_SW_jjP12ihipStream_tbEUlT_E2_NS1_11comp_targetILNS1_3genE3ELNS1_11target_archE908ELNS1_3gpuE7ELNS1_3repE0EEENS1_30default_config_static_selectorELNS0_4arch9wavefront6targetE0EEEvSK_.num_agpr, 0
	.set _ZN7rocprim17ROCPRIM_400000_NS6detail17trampoline_kernelINS0_14default_configENS1_36segmented_radix_sort_config_selectorIilEEZNS1_25segmented_radix_sort_implIS3_Lb1EPKiPiPKlPlN2at6native12_GLOBAL__N_18offset_tEEE10hipError_tPvRmT1_PNSt15iterator_traitsISK_E10value_typeET2_T3_PNSL_ISQ_E10value_typeET4_jRbjT5_SW_jjP12ihipStream_tbEUlT_E2_NS1_11comp_targetILNS1_3genE3ELNS1_11target_archE908ELNS1_3gpuE7ELNS1_3repE0EEENS1_30default_config_static_selectorELNS0_4arch9wavefront6targetE0EEEvSK_.numbered_sgpr, 0
	.set _ZN7rocprim17ROCPRIM_400000_NS6detail17trampoline_kernelINS0_14default_configENS1_36segmented_radix_sort_config_selectorIilEEZNS1_25segmented_radix_sort_implIS3_Lb1EPKiPiPKlPlN2at6native12_GLOBAL__N_18offset_tEEE10hipError_tPvRmT1_PNSt15iterator_traitsISK_E10value_typeET2_T3_PNSL_ISQ_E10value_typeET4_jRbjT5_SW_jjP12ihipStream_tbEUlT_E2_NS1_11comp_targetILNS1_3genE3ELNS1_11target_archE908ELNS1_3gpuE7ELNS1_3repE0EEENS1_30default_config_static_selectorELNS0_4arch9wavefront6targetE0EEEvSK_.num_named_barrier, 0
	.set _ZN7rocprim17ROCPRIM_400000_NS6detail17trampoline_kernelINS0_14default_configENS1_36segmented_radix_sort_config_selectorIilEEZNS1_25segmented_radix_sort_implIS3_Lb1EPKiPiPKlPlN2at6native12_GLOBAL__N_18offset_tEEE10hipError_tPvRmT1_PNSt15iterator_traitsISK_E10value_typeET2_T3_PNSL_ISQ_E10value_typeET4_jRbjT5_SW_jjP12ihipStream_tbEUlT_E2_NS1_11comp_targetILNS1_3genE3ELNS1_11target_archE908ELNS1_3gpuE7ELNS1_3repE0EEENS1_30default_config_static_selectorELNS0_4arch9wavefront6targetE0EEEvSK_.private_seg_size, 0
	.set _ZN7rocprim17ROCPRIM_400000_NS6detail17trampoline_kernelINS0_14default_configENS1_36segmented_radix_sort_config_selectorIilEEZNS1_25segmented_radix_sort_implIS3_Lb1EPKiPiPKlPlN2at6native12_GLOBAL__N_18offset_tEEE10hipError_tPvRmT1_PNSt15iterator_traitsISK_E10value_typeET2_T3_PNSL_ISQ_E10value_typeET4_jRbjT5_SW_jjP12ihipStream_tbEUlT_E2_NS1_11comp_targetILNS1_3genE3ELNS1_11target_archE908ELNS1_3gpuE7ELNS1_3repE0EEENS1_30default_config_static_selectorELNS0_4arch9wavefront6targetE0EEEvSK_.uses_vcc, 0
	.set _ZN7rocprim17ROCPRIM_400000_NS6detail17trampoline_kernelINS0_14default_configENS1_36segmented_radix_sort_config_selectorIilEEZNS1_25segmented_radix_sort_implIS3_Lb1EPKiPiPKlPlN2at6native12_GLOBAL__N_18offset_tEEE10hipError_tPvRmT1_PNSt15iterator_traitsISK_E10value_typeET2_T3_PNSL_ISQ_E10value_typeET4_jRbjT5_SW_jjP12ihipStream_tbEUlT_E2_NS1_11comp_targetILNS1_3genE3ELNS1_11target_archE908ELNS1_3gpuE7ELNS1_3repE0EEENS1_30default_config_static_selectorELNS0_4arch9wavefront6targetE0EEEvSK_.uses_flat_scratch, 0
	.set _ZN7rocprim17ROCPRIM_400000_NS6detail17trampoline_kernelINS0_14default_configENS1_36segmented_radix_sort_config_selectorIilEEZNS1_25segmented_radix_sort_implIS3_Lb1EPKiPiPKlPlN2at6native12_GLOBAL__N_18offset_tEEE10hipError_tPvRmT1_PNSt15iterator_traitsISK_E10value_typeET2_T3_PNSL_ISQ_E10value_typeET4_jRbjT5_SW_jjP12ihipStream_tbEUlT_E2_NS1_11comp_targetILNS1_3genE3ELNS1_11target_archE908ELNS1_3gpuE7ELNS1_3repE0EEENS1_30default_config_static_selectorELNS0_4arch9wavefront6targetE0EEEvSK_.has_dyn_sized_stack, 0
	.set _ZN7rocprim17ROCPRIM_400000_NS6detail17trampoline_kernelINS0_14default_configENS1_36segmented_radix_sort_config_selectorIilEEZNS1_25segmented_radix_sort_implIS3_Lb1EPKiPiPKlPlN2at6native12_GLOBAL__N_18offset_tEEE10hipError_tPvRmT1_PNSt15iterator_traitsISK_E10value_typeET2_T3_PNSL_ISQ_E10value_typeET4_jRbjT5_SW_jjP12ihipStream_tbEUlT_E2_NS1_11comp_targetILNS1_3genE3ELNS1_11target_archE908ELNS1_3gpuE7ELNS1_3repE0EEENS1_30default_config_static_selectorELNS0_4arch9wavefront6targetE0EEEvSK_.has_recursion, 0
	.set _ZN7rocprim17ROCPRIM_400000_NS6detail17trampoline_kernelINS0_14default_configENS1_36segmented_radix_sort_config_selectorIilEEZNS1_25segmented_radix_sort_implIS3_Lb1EPKiPiPKlPlN2at6native12_GLOBAL__N_18offset_tEEE10hipError_tPvRmT1_PNSt15iterator_traitsISK_E10value_typeET2_T3_PNSL_ISQ_E10value_typeET4_jRbjT5_SW_jjP12ihipStream_tbEUlT_E2_NS1_11comp_targetILNS1_3genE3ELNS1_11target_archE908ELNS1_3gpuE7ELNS1_3repE0EEENS1_30default_config_static_selectorELNS0_4arch9wavefront6targetE0EEEvSK_.has_indirect_call, 0
	.section	.AMDGPU.csdata,"",@progbits
; Kernel info:
; codeLenInByte = 0
; TotalNumSgprs: 0
; NumVgprs: 0
; ScratchSize: 0
; MemoryBound: 0
; FloatMode: 240
; IeeeMode: 1
; LDSByteSize: 0 bytes/workgroup (compile time only)
; SGPRBlocks: 0
; VGPRBlocks: 0
; NumSGPRsForWavesPerEU: 1
; NumVGPRsForWavesPerEU: 1
; NamedBarCnt: 0
; Occupancy: 16
; WaveLimiterHint : 0
; COMPUTE_PGM_RSRC2:SCRATCH_EN: 0
; COMPUTE_PGM_RSRC2:USER_SGPR: 2
; COMPUTE_PGM_RSRC2:TRAP_HANDLER: 0
; COMPUTE_PGM_RSRC2:TGID_X_EN: 1
; COMPUTE_PGM_RSRC2:TGID_Y_EN: 0
; COMPUTE_PGM_RSRC2:TGID_Z_EN: 0
; COMPUTE_PGM_RSRC2:TIDIG_COMP_CNT: 0
	.section	.text._ZN7rocprim17ROCPRIM_400000_NS6detail17trampoline_kernelINS0_14default_configENS1_36segmented_radix_sort_config_selectorIilEEZNS1_25segmented_radix_sort_implIS3_Lb1EPKiPiPKlPlN2at6native12_GLOBAL__N_18offset_tEEE10hipError_tPvRmT1_PNSt15iterator_traitsISK_E10value_typeET2_T3_PNSL_ISQ_E10value_typeET4_jRbjT5_SW_jjP12ihipStream_tbEUlT_E2_NS1_11comp_targetILNS1_3genE2ELNS1_11target_archE906ELNS1_3gpuE6ELNS1_3repE0EEENS1_30default_config_static_selectorELNS0_4arch9wavefront6targetE0EEEvSK_,"axG",@progbits,_ZN7rocprim17ROCPRIM_400000_NS6detail17trampoline_kernelINS0_14default_configENS1_36segmented_radix_sort_config_selectorIilEEZNS1_25segmented_radix_sort_implIS3_Lb1EPKiPiPKlPlN2at6native12_GLOBAL__N_18offset_tEEE10hipError_tPvRmT1_PNSt15iterator_traitsISK_E10value_typeET2_T3_PNSL_ISQ_E10value_typeET4_jRbjT5_SW_jjP12ihipStream_tbEUlT_E2_NS1_11comp_targetILNS1_3genE2ELNS1_11target_archE906ELNS1_3gpuE6ELNS1_3repE0EEENS1_30default_config_static_selectorELNS0_4arch9wavefront6targetE0EEEvSK_,comdat
	.globl	_ZN7rocprim17ROCPRIM_400000_NS6detail17trampoline_kernelINS0_14default_configENS1_36segmented_radix_sort_config_selectorIilEEZNS1_25segmented_radix_sort_implIS3_Lb1EPKiPiPKlPlN2at6native12_GLOBAL__N_18offset_tEEE10hipError_tPvRmT1_PNSt15iterator_traitsISK_E10value_typeET2_T3_PNSL_ISQ_E10value_typeET4_jRbjT5_SW_jjP12ihipStream_tbEUlT_E2_NS1_11comp_targetILNS1_3genE2ELNS1_11target_archE906ELNS1_3gpuE6ELNS1_3repE0EEENS1_30default_config_static_selectorELNS0_4arch9wavefront6targetE0EEEvSK_ ; -- Begin function _ZN7rocprim17ROCPRIM_400000_NS6detail17trampoline_kernelINS0_14default_configENS1_36segmented_radix_sort_config_selectorIilEEZNS1_25segmented_radix_sort_implIS3_Lb1EPKiPiPKlPlN2at6native12_GLOBAL__N_18offset_tEEE10hipError_tPvRmT1_PNSt15iterator_traitsISK_E10value_typeET2_T3_PNSL_ISQ_E10value_typeET4_jRbjT5_SW_jjP12ihipStream_tbEUlT_E2_NS1_11comp_targetILNS1_3genE2ELNS1_11target_archE906ELNS1_3gpuE6ELNS1_3repE0EEENS1_30default_config_static_selectorELNS0_4arch9wavefront6targetE0EEEvSK_
	.p2align	8
	.type	_ZN7rocprim17ROCPRIM_400000_NS6detail17trampoline_kernelINS0_14default_configENS1_36segmented_radix_sort_config_selectorIilEEZNS1_25segmented_radix_sort_implIS3_Lb1EPKiPiPKlPlN2at6native12_GLOBAL__N_18offset_tEEE10hipError_tPvRmT1_PNSt15iterator_traitsISK_E10value_typeET2_T3_PNSL_ISQ_E10value_typeET4_jRbjT5_SW_jjP12ihipStream_tbEUlT_E2_NS1_11comp_targetILNS1_3genE2ELNS1_11target_archE906ELNS1_3gpuE6ELNS1_3repE0EEENS1_30default_config_static_selectorELNS0_4arch9wavefront6targetE0EEEvSK_,@function
_ZN7rocprim17ROCPRIM_400000_NS6detail17trampoline_kernelINS0_14default_configENS1_36segmented_radix_sort_config_selectorIilEEZNS1_25segmented_radix_sort_implIS3_Lb1EPKiPiPKlPlN2at6native12_GLOBAL__N_18offset_tEEE10hipError_tPvRmT1_PNSt15iterator_traitsISK_E10value_typeET2_T3_PNSL_ISQ_E10value_typeET4_jRbjT5_SW_jjP12ihipStream_tbEUlT_E2_NS1_11comp_targetILNS1_3genE2ELNS1_11target_archE906ELNS1_3gpuE6ELNS1_3repE0EEENS1_30default_config_static_selectorELNS0_4arch9wavefront6targetE0EEEvSK_: ; @_ZN7rocprim17ROCPRIM_400000_NS6detail17trampoline_kernelINS0_14default_configENS1_36segmented_radix_sort_config_selectorIilEEZNS1_25segmented_radix_sort_implIS3_Lb1EPKiPiPKlPlN2at6native12_GLOBAL__N_18offset_tEEE10hipError_tPvRmT1_PNSt15iterator_traitsISK_E10value_typeET2_T3_PNSL_ISQ_E10value_typeET4_jRbjT5_SW_jjP12ihipStream_tbEUlT_E2_NS1_11comp_targetILNS1_3genE2ELNS1_11target_archE906ELNS1_3gpuE6ELNS1_3repE0EEENS1_30default_config_static_selectorELNS0_4arch9wavefront6targetE0EEEvSK_
; %bb.0:
	.section	.rodata,"a",@progbits
	.p2align	6, 0x0
	.amdhsa_kernel _ZN7rocprim17ROCPRIM_400000_NS6detail17trampoline_kernelINS0_14default_configENS1_36segmented_radix_sort_config_selectorIilEEZNS1_25segmented_radix_sort_implIS3_Lb1EPKiPiPKlPlN2at6native12_GLOBAL__N_18offset_tEEE10hipError_tPvRmT1_PNSt15iterator_traitsISK_E10value_typeET2_T3_PNSL_ISQ_E10value_typeET4_jRbjT5_SW_jjP12ihipStream_tbEUlT_E2_NS1_11comp_targetILNS1_3genE2ELNS1_11target_archE906ELNS1_3gpuE6ELNS1_3repE0EEENS1_30default_config_static_selectorELNS0_4arch9wavefront6targetE0EEEvSK_
		.amdhsa_group_segment_fixed_size 0
		.amdhsa_private_segment_fixed_size 0
		.amdhsa_kernarg_size 80
		.amdhsa_user_sgpr_count 2
		.amdhsa_user_sgpr_dispatch_ptr 0
		.amdhsa_user_sgpr_queue_ptr 0
		.amdhsa_user_sgpr_kernarg_segment_ptr 1
		.amdhsa_user_sgpr_dispatch_id 0
		.amdhsa_user_sgpr_kernarg_preload_length 0
		.amdhsa_user_sgpr_kernarg_preload_offset 0
		.amdhsa_user_sgpr_private_segment_size 0
		.amdhsa_wavefront_size32 1
		.amdhsa_uses_dynamic_stack 0
		.amdhsa_enable_private_segment 0
		.amdhsa_system_sgpr_workgroup_id_x 1
		.amdhsa_system_sgpr_workgroup_id_y 0
		.amdhsa_system_sgpr_workgroup_id_z 0
		.amdhsa_system_sgpr_workgroup_info 0
		.amdhsa_system_vgpr_workitem_id 0
		.amdhsa_next_free_vgpr 1
		.amdhsa_next_free_sgpr 1
		.amdhsa_named_barrier_count 0
		.amdhsa_reserve_vcc 0
		.amdhsa_float_round_mode_32 0
		.amdhsa_float_round_mode_16_64 0
		.amdhsa_float_denorm_mode_32 3
		.amdhsa_float_denorm_mode_16_64 3
		.amdhsa_fp16_overflow 0
		.amdhsa_memory_ordered 1
		.amdhsa_forward_progress 1
		.amdhsa_inst_pref_size 0
		.amdhsa_round_robin_scheduling 0
		.amdhsa_exception_fp_ieee_invalid_op 0
		.amdhsa_exception_fp_denorm_src 0
		.amdhsa_exception_fp_ieee_div_zero 0
		.amdhsa_exception_fp_ieee_overflow 0
		.amdhsa_exception_fp_ieee_underflow 0
		.amdhsa_exception_fp_ieee_inexact 0
		.amdhsa_exception_int_div_zero 0
	.end_amdhsa_kernel
	.section	.text._ZN7rocprim17ROCPRIM_400000_NS6detail17trampoline_kernelINS0_14default_configENS1_36segmented_radix_sort_config_selectorIilEEZNS1_25segmented_radix_sort_implIS3_Lb1EPKiPiPKlPlN2at6native12_GLOBAL__N_18offset_tEEE10hipError_tPvRmT1_PNSt15iterator_traitsISK_E10value_typeET2_T3_PNSL_ISQ_E10value_typeET4_jRbjT5_SW_jjP12ihipStream_tbEUlT_E2_NS1_11comp_targetILNS1_3genE2ELNS1_11target_archE906ELNS1_3gpuE6ELNS1_3repE0EEENS1_30default_config_static_selectorELNS0_4arch9wavefront6targetE0EEEvSK_,"axG",@progbits,_ZN7rocprim17ROCPRIM_400000_NS6detail17trampoline_kernelINS0_14default_configENS1_36segmented_radix_sort_config_selectorIilEEZNS1_25segmented_radix_sort_implIS3_Lb1EPKiPiPKlPlN2at6native12_GLOBAL__N_18offset_tEEE10hipError_tPvRmT1_PNSt15iterator_traitsISK_E10value_typeET2_T3_PNSL_ISQ_E10value_typeET4_jRbjT5_SW_jjP12ihipStream_tbEUlT_E2_NS1_11comp_targetILNS1_3genE2ELNS1_11target_archE906ELNS1_3gpuE6ELNS1_3repE0EEENS1_30default_config_static_selectorELNS0_4arch9wavefront6targetE0EEEvSK_,comdat
.Lfunc_end527:
	.size	_ZN7rocprim17ROCPRIM_400000_NS6detail17trampoline_kernelINS0_14default_configENS1_36segmented_radix_sort_config_selectorIilEEZNS1_25segmented_radix_sort_implIS3_Lb1EPKiPiPKlPlN2at6native12_GLOBAL__N_18offset_tEEE10hipError_tPvRmT1_PNSt15iterator_traitsISK_E10value_typeET2_T3_PNSL_ISQ_E10value_typeET4_jRbjT5_SW_jjP12ihipStream_tbEUlT_E2_NS1_11comp_targetILNS1_3genE2ELNS1_11target_archE906ELNS1_3gpuE6ELNS1_3repE0EEENS1_30default_config_static_selectorELNS0_4arch9wavefront6targetE0EEEvSK_, .Lfunc_end527-_ZN7rocprim17ROCPRIM_400000_NS6detail17trampoline_kernelINS0_14default_configENS1_36segmented_radix_sort_config_selectorIilEEZNS1_25segmented_radix_sort_implIS3_Lb1EPKiPiPKlPlN2at6native12_GLOBAL__N_18offset_tEEE10hipError_tPvRmT1_PNSt15iterator_traitsISK_E10value_typeET2_T3_PNSL_ISQ_E10value_typeET4_jRbjT5_SW_jjP12ihipStream_tbEUlT_E2_NS1_11comp_targetILNS1_3genE2ELNS1_11target_archE906ELNS1_3gpuE6ELNS1_3repE0EEENS1_30default_config_static_selectorELNS0_4arch9wavefront6targetE0EEEvSK_
                                        ; -- End function
	.set _ZN7rocprim17ROCPRIM_400000_NS6detail17trampoline_kernelINS0_14default_configENS1_36segmented_radix_sort_config_selectorIilEEZNS1_25segmented_radix_sort_implIS3_Lb1EPKiPiPKlPlN2at6native12_GLOBAL__N_18offset_tEEE10hipError_tPvRmT1_PNSt15iterator_traitsISK_E10value_typeET2_T3_PNSL_ISQ_E10value_typeET4_jRbjT5_SW_jjP12ihipStream_tbEUlT_E2_NS1_11comp_targetILNS1_3genE2ELNS1_11target_archE906ELNS1_3gpuE6ELNS1_3repE0EEENS1_30default_config_static_selectorELNS0_4arch9wavefront6targetE0EEEvSK_.num_vgpr, 0
	.set _ZN7rocprim17ROCPRIM_400000_NS6detail17trampoline_kernelINS0_14default_configENS1_36segmented_radix_sort_config_selectorIilEEZNS1_25segmented_radix_sort_implIS3_Lb1EPKiPiPKlPlN2at6native12_GLOBAL__N_18offset_tEEE10hipError_tPvRmT1_PNSt15iterator_traitsISK_E10value_typeET2_T3_PNSL_ISQ_E10value_typeET4_jRbjT5_SW_jjP12ihipStream_tbEUlT_E2_NS1_11comp_targetILNS1_3genE2ELNS1_11target_archE906ELNS1_3gpuE6ELNS1_3repE0EEENS1_30default_config_static_selectorELNS0_4arch9wavefront6targetE0EEEvSK_.num_agpr, 0
	.set _ZN7rocprim17ROCPRIM_400000_NS6detail17trampoline_kernelINS0_14default_configENS1_36segmented_radix_sort_config_selectorIilEEZNS1_25segmented_radix_sort_implIS3_Lb1EPKiPiPKlPlN2at6native12_GLOBAL__N_18offset_tEEE10hipError_tPvRmT1_PNSt15iterator_traitsISK_E10value_typeET2_T3_PNSL_ISQ_E10value_typeET4_jRbjT5_SW_jjP12ihipStream_tbEUlT_E2_NS1_11comp_targetILNS1_3genE2ELNS1_11target_archE906ELNS1_3gpuE6ELNS1_3repE0EEENS1_30default_config_static_selectorELNS0_4arch9wavefront6targetE0EEEvSK_.numbered_sgpr, 0
	.set _ZN7rocprim17ROCPRIM_400000_NS6detail17trampoline_kernelINS0_14default_configENS1_36segmented_radix_sort_config_selectorIilEEZNS1_25segmented_radix_sort_implIS3_Lb1EPKiPiPKlPlN2at6native12_GLOBAL__N_18offset_tEEE10hipError_tPvRmT1_PNSt15iterator_traitsISK_E10value_typeET2_T3_PNSL_ISQ_E10value_typeET4_jRbjT5_SW_jjP12ihipStream_tbEUlT_E2_NS1_11comp_targetILNS1_3genE2ELNS1_11target_archE906ELNS1_3gpuE6ELNS1_3repE0EEENS1_30default_config_static_selectorELNS0_4arch9wavefront6targetE0EEEvSK_.num_named_barrier, 0
	.set _ZN7rocprim17ROCPRIM_400000_NS6detail17trampoline_kernelINS0_14default_configENS1_36segmented_radix_sort_config_selectorIilEEZNS1_25segmented_radix_sort_implIS3_Lb1EPKiPiPKlPlN2at6native12_GLOBAL__N_18offset_tEEE10hipError_tPvRmT1_PNSt15iterator_traitsISK_E10value_typeET2_T3_PNSL_ISQ_E10value_typeET4_jRbjT5_SW_jjP12ihipStream_tbEUlT_E2_NS1_11comp_targetILNS1_3genE2ELNS1_11target_archE906ELNS1_3gpuE6ELNS1_3repE0EEENS1_30default_config_static_selectorELNS0_4arch9wavefront6targetE0EEEvSK_.private_seg_size, 0
	.set _ZN7rocprim17ROCPRIM_400000_NS6detail17trampoline_kernelINS0_14default_configENS1_36segmented_radix_sort_config_selectorIilEEZNS1_25segmented_radix_sort_implIS3_Lb1EPKiPiPKlPlN2at6native12_GLOBAL__N_18offset_tEEE10hipError_tPvRmT1_PNSt15iterator_traitsISK_E10value_typeET2_T3_PNSL_ISQ_E10value_typeET4_jRbjT5_SW_jjP12ihipStream_tbEUlT_E2_NS1_11comp_targetILNS1_3genE2ELNS1_11target_archE906ELNS1_3gpuE6ELNS1_3repE0EEENS1_30default_config_static_selectorELNS0_4arch9wavefront6targetE0EEEvSK_.uses_vcc, 0
	.set _ZN7rocprim17ROCPRIM_400000_NS6detail17trampoline_kernelINS0_14default_configENS1_36segmented_radix_sort_config_selectorIilEEZNS1_25segmented_radix_sort_implIS3_Lb1EPKiPiPKlPlN2at6native12_GLOBAL__N_18offset_tEEE10hipError_tPvRmT1_PNSt15iterator_traitsISK_E10value_typeET2_T3_PNSL_ISQ_E10value_typeET4_jRbjT5_SW_jjP12ihipStream_tbEUlT_E2_NS1_11comp_targetILNS1_3genE2ELNS1_11target_archE906ELNS1_3gpuE6ELNS1_3repE0EEENS1_30default_config_static_selectorELNS0_4arch9wavefront6targetE0EEEvSK_.uses_flat_scratch, 0
	.set _ZN7rocprim17ROCPRIM_400000_NS6detail17trampoline_kernelINS0_14default_configENS1_36segmented_radix_sort_config_selectorIilEEZNS1_25segmented_radix_sort_implIS3_Lb1EPKiPiPKlPlN2at6native12_GLOBAL__N_18offset_tEEE10hipError_tPvRmT1_PNSt15iterator_traitsISK_E10value_typeET2_T3_PNSL_ISQ_E10value_typeET4_jRbjT5_SW_jjP12ihipStream_tbEUlT_E2_NS1_11comp_targetILNS1_3genE2ELNS1_11target_archE906ELNS1_3gpuE6ELNS1_3repE0EEENS1_30default_config_static_selectorELNS0_4arch9wavefront6targetE0EEEvSK_.has_dyn_sized_stack, 0
	.set _ZN7rocprim17ROCPRIM_400000_NS6detail17trampoline_kernelINS0_14default_configENS1_36segmented_radix_sort_config_selectorIilEEZNS1_25segmented_radix_sort_implIS3_Lb1EPKiPiPKlPlN2at6native12_GLOBAL__N_18offset_tEEE10hipError_tPvRmT1_PNSt15iterator_traitsISK_E10value_typeET2_T3_PNSL_ISQ_E10value_typeET4_jRbjT5_SW_jjP12ihipStream_tbEUlT_E2_NS1_11comp_targetILNS1_3genE2ELNS1_11target_archE906ELNS1_3gpuE6ELNS1_3repE0EEENS1_30default_config_static_selectorELNS0_4arch9wavefront6targetE0EEEvSK_.has_recursion, 0
	.set _ZN7rocprim17ROCPRIM_400000_NS6detail17trampoline_kernelINS0_14default_configENS1_36segmented_radix_sort_config_selectorIilEEZNS1_25segmented_radix_sort_implIS3_Lb1EPKiPiPKlPlN2at6native12_GLOBAL__N_18offset_tEEE10hipError_tPvRmT1_PNSt15iterator_traitsISK_E10value_typeET2_T3_PNSL_ISQ_E10value_typeET4_jRbjT5_SW_jjP12ihipStream_tbEUlT_E2_NS1_11comp_targetILNS1_3genE2ELNS1_11target_archE906ELNS1_3gpuE6ELNS1_3repE0EEENS1_30default_config_static_selectorELNS0_4arch9wavefront6targetE0EEEvSK_.has_indirect_call, 0
	.section	.AMDGPU.csdata,"",@progbits
; Kernel info:
; codeLenInByte = 0
; TotalNumSgprs: 0
; NumVgprs: 0
; ScratchSize: 0
; MemoryBound: 0
; FloatMode: 240
; IeeeMode: 1
; LDSByteSize: 0 bytes/workgroup (compile time only)
; SGPRBlocks: 0
; VGPRBlocks: 0
; NumSGPRsForWavesPerEU: 1
; NumVGPRsForWavesPerEU: 1
; NamedBarCnt: 0
; Occupancy: 16
; WaveLimiterHint : 0
; COMPUTE_PGM_RSRC2:SCRATCH_EN: 0
; COMPUTE_PGM_RSRC2:USER_SGPR: 2
; COMPUTE_PGM_RSRC2:TRAP_HANDLER: 0
; COMPUTE_PGM_RSRC2:TGID_X_EN: 1
; COMPUTE_PGM_RSRC2:TGID_Y_EN: 0
; COMPUTE_PGM_RSRC2:TGID_Z_EN: 0
; COMPUTE_PGM_RSRC2:TIDIG_COMP_CNT: 0
	.section	.text._ZN7rocprim17ROCPRIM_400000_NS6detail17trampoline_kernelINS0_14default_configENS1_36segmented_radix_sort_config_selectorIilEEZNS1_25segmented_radix_sort_implIS3_Lb1EPKiPiPKlPlN2at6native12_GLOBAL__N_18offset_tEEE10hipError_tPvRmT1_PNSt15iterator_traitsISK_E10value_typeET2_T3_PNSL_ISQ_E10value_typeET4_jRbjT5_SW_jjP12ihipStream_tbEUlT_E2_NS1_11comp_targetILNS1_3genE10ELNS1_11target_archE1201ELNS1_3gpuE5ELNS1_3repE0EEENS1_30default_config_static_selectorELNS0_4arch9wavefront6targetE0EEEvSK_,"axG",@progbits,_ZN7rocprim17ROCPRIM_400000_NS6detail17trampoline_kernelINS0_14default_configENS1_36segmented_radix_sort_config_selectorIilEEZNS1_25segmented_radix_sort_implIS3_Lb1EPKiPiPKlPlN2at6native12_GLOBAL__N_18offset_tEEE10hipError_tPvRmT1_PNSt15iterator_traitsISK_E10value_typeET2_T3_PNSL_ISQ_E10value_typeET4_jRbjT5_SW_jjP12ihipStream_tbEUlT_E2_NS1_11comp_targetILNS1_3genE10ELNS1_11target_archE1201ELNS1_3gpuE5ELNS1_3repE0EEENS1_30default_config_static_selectorELNS0_4arch9wavefront6targetE0EEEvSK_,comdat
	.globl	_ZN7rocprim17ROCPRIM_400000_NS6detail17trampoline_kernelINS0_14default_configENS1_36segmented_radix_sort_config_selectorIilEEZNS1_25segmented_radix_sort_implIS3_Lb1EPKiPiPKlPlN2at6native12_GLOBAL__N_18offset_tEEE10hipError_tPvRmT1_PNSt15iterator_traitsISK_E10value_typeET2_T3_PNSL_ISQ_E10value_typeET4_jRbjT5_SW_jjP12ihipStream_tbEUlT_E2_NS1_11comp_targetILNS1_3genE10ELNS1_11target_archE1201ELNS1_3gpuE5ELNS1_3repE0EEENS1_30default_config_static_selectorELNS0_4arch9wavefront6targetE0EEEvSK_ ; -- Begin function _ZN7rocprim17ROCPRIM_400000_NS6detail17trampoline_kernelINS0_14default_configENS1_36segmented_radix_sort_config_selectorIilEEZNS1_25segmented_radix_sort_implIS3_Lb1EPKiPiPKlPlN2at6native12_GLOBAL__N_18offset_tEEE10hipError_tPvRmT1_PNSt15iterator_traitsISK_E10value_typeET2_T3_PNSL_ISQ_E10value_typeET4_jRbjT5_SW_jjP12ihipStream_tbEUlT_E2_NS1_11comp_targetILNS1_3genE10ELNS1_11target_archE1201ELNS1_3gpuE5ELNS1_3repE0EEENS1_30default_config_static_selectorELNS0_4arch9wavefront6targetE0EEEvSK_
	.p2align	8
	.type	_ZN7rocprim17ROCPRIM_400000_NS6detail17trampoline_kernelINS0_14default_configENS1_36segmented_radix_sort_config_selectorIilEEZNS1_25segmented_radix_sort_implIS3_Lb1EPKiPiPKlPlN2at6native12_GLOBAL__N_18offset_tEEE10hipError_tPvRmT1_PNSt15iterator_traitsISK_E10value_typeET2_T3_PNSL_ISQ_E10value_typeET4_jRbjT5_SW_jjP12ihipStream_tbEUlT_E2_NS1_11comp_targetILNS1_3genE10ELNS1_11target_archE1201ELNS1_3gpuE5ELNS1_3repE0EEENS1_30default_config_static_selectorELNS0_4arch9wavefront6targetE0EEEvSK_,@function
_ZN7rocprim17ROCPRIM_400000_NS6detail17trampoline_kernelINS0_14default_configENS1_36segmented_radix_sort_config_selectorIilEEZNS1_25segmented_radix_sort_implIS3_Lb1EPKiPiPKlPlN2at6native12_GLOBAL__N_18offset_tEEE10hipError_tPvRmT1_PNSt15iterator_traitsISK_E10value_typeET2_T3_PNSL_ISQ_E10value_typeET4_jRbjT5_SW_jjP12ihipStream_tbEUlT_E2_NS1_11comp_targetILNS1_3genE10ELNS1_11target_archE1201ELNS1_3gpuE5ELNS1_3repE0EEENS1_30default_config_static_selectorELNS0_4arch9wavefront6targetE0EEEvSK_: ; @_ZN7rocprim17ROCPRIM_400000_NS6detail17trampoline_kernelINS0_14default_configENS1_36segmented_radix_sort_config_selectorIilEEZNS1_25segmented_radix_sort_implIS3_Lb1EPKiPiPKlPlN2at6native12_GLOBAL__N_18offset_tEEE10hipError_tPvRmT1_PNSt15iterator_traitsISK_E10value_typeET2_T3_PNSL_ISQ_E10value_typeET4_jRbjT5_SW_jjP12ihipStream_tbEUlT_E2_NS1_11comp_targetILNS1_3genE10ELNS1_11target_archE1201ELNS1_3gpuE5ELNS1_3repE0EEENS1_30default_config_static_selectorELNS0_4arch9wavefront6targetE0EEEvSK_
; %bb.0:
	.section	.rodata,"a",@progbits
	.p2align	6, 0x0
	.amdhsa_kernel _ZN7rocprim17ROCPRIM_400000_NS6detail17trampoline_kernelINS0_14default_configENS1_36segmented_radix_sort_config_selectorIilEEZNS1_25segmented_radix_sort_implIS3_Lb1EPKiPiPKlPlN2at6native12_GLOBAL__N_18offset_tEEE10hipError_tPvRmT1_PNSt15iterator_traitsISK_E10value_typeET2_T3_PNSL_ISQ_E10value_typeET4_jRbjT5_SW_jjP12ihipStream_tbEUlT_E2_NS1_11comp_targetILNS1_3genE10ELNS1_11target_archE1201ELNS1_3gpuE5ELNS1_3repE0EEENS1_30default_config_static_selectorELNS0_4arch9wavefront6targetE0EEEvSK_
		.amdhsa_group_segment_fixed_size 0
		.amdhsa_private_segment_fixed_size 0
		.amdhsa_kernarg_size 80
		.amdhsa_user_sgpr_count 2
		.amdhsa_user_sgpr_dispatch_ptr 0
		.amdhsa_user_sgpr_queue_ptr 0
		.amdhsa_user_sgpr_kernarg_segment_ptr 1
		.amdhsa_user_sgpr_dispatch_id 0
		.amdhsa_user_sgpr_kernarg_preload_length 0
		.amdhsa_user_sgpr_kernarg_preload_offset 0
		.amdhsa_user_sgpr_private_segment_size 0
		.amdhsa_wavefront_size32 1
		.amdhsa_uses_dynamic_stack 0
		.amdhsa_enable_private_segment 0
		.amdhsa_system_sgpr_workgroup_id_x 1
		.amdhsa_system_sgpr_workgroup_id_y 0
		.amdhsa_system_sgpr_workgroup_id_z 0
		.amdhsa_system_sgpr_workgroup_info 0
		.amdhsa_system_vgpr_workitem_id 0
		.amdhsa_next_free_vgpr 1
		.amdhsa_next_free_sgpr 1
		.amdhsa_named_barrier_count 0
		.amdhsa_reserve_vcc 0
		.amdhsa_float_round_mode_32 0
		.amdhsa_float_round_mode_16_64 0
		.amdhsa_float_denorm_mode_32 3
		.amdhsa_float_denorm_mode_16_64 3
		.amdhsa_fp16_overflow 0
		.amdhsa_memory_ordered 1
		.amdhsa_forward_progress 1
		.amdhsa_inst_pref_size 0
		.amdhsa_round_robin_scheduling 0
		.amdhsa_exception_fp_ieee_invalid_op 0
		.amdhsa_exception_fp_denorm_src 0
		.amdhsa_exception_fp_ieee_div_zero 0
		.amdhsa_exception_fp_ieee_overflow 0
		.amdhsa_exception_fp_ieee_underflow 0
		.amdhsa_exception_fp_ieee_inexact 0
		.amdhsa_exception_int_div_zero 0
	.end_amdhsa_kernel
	.section	.text._ZN7rocprim17ROCPRIM_400000_NS6detail17trampoline_kernelINS0_14default_configENS1_36segmented_radix_sort_config_selectorIilEEZNS1_25segmented_radix_sort_implIS3_Lb1EPKiPiPKlPlN2at6native12_GLOBAL__N_18offset_tEEE10hipError_tPvRmT1_PNSt15iterator_traitsISK_E10value_typeET2_T3_PNSL_ISQ_E10value_typeET4_jRbjT5_SW_jjP12ihipStream_tbEUlT_E2_NS1_11comp_targetILNS1_3genE10ELNS1_11target_archE1201ELNS1_3gpuE5ELNS1_3repE0EEENS1_30default_config_static_selectorELNS0_4arch9wavefront6targetE0EEEvSK_,"axG",@progbits,_ZN7rocprim17ROCPRIM_400000_NS6detail17trampoline_kernelINS0_14default_configENS1_36segmented_radix_sort_config_selectorIilEEZNS1_25segmented_radix_sort_implIS3_Lb1EPKiPiPKlPlN2at6native12_GLOBAL__N_18offset_tEEE10hipError_tPvRmT1_PNSt15iterator_traitsISK_E10value_typeET2_T3_PNSL_ISQ_E10value_typeET4_jRbjT5_SW_jjP12ihipStream_tbEUlT_E2_NS1_11comp_targetILNS1_3genE10ELNS1_11target_archE1201ELNS1_3gpuE5ELNS1_3repE0EEENS1_30default_config_static_selectorELNS0_4arch9wavefront6targetE0EEEvSK_,comdat
.Lfunc_end528:
	.size	_ZN7rocprim17ROCPRIM_400000_NS6detail17trampoline_kernelINS0_14default_configENS1_36segmented_radix_sort_config_selectorIilEEZNS1_25segmented_radix_sort_implIS3_Lb1EPKiPiPKlPlN2at6native12_GLOBAL__N_18offset_tEEE10hipError_tPvRmT1_PNSt15iterator_traitsISK_E10value_typeET2_T3_PNSL_ISQ_E10value_typeET4_jRbjT5_SW_jjP12ihipStream_tbEUlT_E2_NS1_11comp_targetILNS1_3genE10ELNS1_11target_archE1201ELNS1_3gpuE5ELNS1_3repE0EEENS1_30default_config_static_selectorELNS0_4arch9wavefront6targetE0EEEvSK_, .Lfunc_end528-_ZN7rocprim17ROCPRIM_400000_NS6detail17trampoline_kernelINS0_14default_configENS1_36segmented_radix_sort_config_selectorIilEEZNS1_25segmented_radix_sort_implIS3_Lb1EPKiPiPKlPlN2at6native12_GLOBAL__N_18offset_tEEE10hipError_tPvRmT1_PNSt15iterator_traitsISK_E10value_typeET2_T3_PNSL_ISQ_E10value_typeET4_jRbjT5_SW_jjP12ihipStream_tbEUlT_E2_NS1_11comp_targetILNS1_3genE10ELNS1_11target_archE1201ELNS1_3gpuE5ELNS1_3repE0EEENS1_30default_config_static_selectorELNS0_4arch9wavefront6targetE0EEEvSK_
                                        ; -- End function
	.set _ZN7rocprim17ROCPRIM_400000_NS6detail17trampoline_kernelINS0_14default_configENS1_36segmented_radix_sort_config_selectorIilEEZNS1_25segmented_radix_sort_implIS3_Lb1EPKiPiPKlPlN2at6native12_GLOBAL__N_18offset_tEEE10hipError_tPvRmT1_PNSt15iterator_traitsISK_E10value_typeET2_T3_PNSL_ISQ_E10value_typeET4_jRbjT5_SW_jjP12ihipStream_tbEUlT_E2_NS1_11comp_targetILNS1_3genE10ELNS1_11target_archE1201ELNS1_3gpuE5ELNS1_3repE0EEENS1_30default_config_static_selectorELNS0_4arch9wavefront6targetE0EEEvSK_.num_vgpr, 0
	.set _ZN7rocprim17ROCPRIM_400000_NS6detail17trampoline_kernelINS0_14default_configENS1_36segmented_radix_sort_config_selectorIilEEZNS1_25segmented_radix_sort_implIS3_Lb1EPKiPiPKlPlN2at6native12_GLOBAL__N_18offset_tEEE10hipError_tPvRmT1_PNSt15iterator_traitsISK_E10value_typeET2_T3_PNSL_ISQ_E10value_typeET4_jRbjT5_SW_jjP12ihipStream_tbEUlT_E2_NS1_11comp_targetILNS1_3genE10ELNS1_11target_archE1201ELNS1_3gpuE5ELNS1_3repE0EEENS1_30default_config_static_selectorELNS0_4arch9wavefront6targetE0EEEvSK_.num_agpr, 0
	.set _ZN7rocprim17ROCPRIM_400000_NS6detail17trampoline_kernelINS0_14default_configENS1_36segmented_radix_sort_config_selectorIilEEZNS1_25segmented_radix_sort_implIS3_Lb1EPKiPiPKlPlN2at6native12_GLOBAL__N_18offset_tEEE10hipError_tPvRmT1_PNSt15iterator_traitsISK_E10value_typeET2_T3_PNSL_ISQ_E10value_typeET4_jRbjT5_SW_jjP12ihipStream_tbEUlT_E2_NS1_11comp_targetILNS1_3genE10ELNS1_11target_archE1201ELNS1_3gpuE5ELNS1_3repE0EEENS1_30default_config_static_selectorELNS0_4arch9wavefront6targetE0EEEvSK_.numbered_sgpr, 0
	.set _ZN7rocprim17ROCPRIM_400000_NS6detail17trampoline_kernelINS0_14default_configENS1_36segmented_radix_sort_config_selectorIilEEZNS1_25segmented_radix_sort_implIS3_Lb1EPKiPiPKlPlN2at6native12_GLOBAL__N_18offset_tEEE10hipError_tPvRmT1_PNSt15iterator_traitsISK_E10value_typeET2_T3_PNSL_ISQ_E10value_typeET4_jRbjT5_SW_jjP12ihipStream_tbEUlT_E2_NS1_11comp_targetILNS1_3genE10ELNS1_11target_archE1201ELNS1_3gpuE5ELNS1_3repE0EEENS1_30default_config_static_selectorELNS0_4arch9wavefront6targetE0EEEvSK_.num_named_barrier, 0
	.set _ZN7rocprim17ROCPRIM_400000_NS6detail17trampoline_kernelINS0_14default_configENS1_36segmented_radix_sort_config_selectorIilEEZNS1_25segmented_radix_sort_implIS3_Lb1EPKiPiPKlPlN2at6native12_GLOBAL__N_18offset_tEEE10hipError_tPvRmT1_PNSt15iterator_traitsISK_E10value_typeET2_T3_PNSL_ISQ_E10value_typeET4_jRbjT5_SW_jjP12ihipStream_tbEUlT_E2_NS1_11comp_targetILNS1_3genE10ELNS1_11target_archE1201ELNS1_3gpuE5ELNS1_3repE0EEENS1_30default_config_static_selectorELNS0_4arch9wavefront6targetE0EEEvSK_.private_seg_size, 0
	.set _ZN7rocprim17ROCPRIM_400000_NS6detail17trampoline_kernelINS0_14default_configENS1_36segmented_radix_sort_config_selectorIilEEZNS1_25segmented_radix_sort_implIS3_Lb1EPKiPiPKlPlN2at6native12_GLOBAL__N_18offset_tEEE10hipError_tPvRmT1_PNSt15iterator_traitsISK_E10value_typeET2_T3_PNSL_ISQ_E10value_typeET4_jRbjT5_SW_jjP12ihipStream_tbEUlT_E2_NS1_11comp_targetILNS1_3genE10ELNS1_11target_archE1201ELNS1_3gpuE5ELNS1_3repE0EEENS1_30default_config_static_selectorELNS0_4arch9wavefront6targetE0EEEvSK_.uses_vcc, 0
	.set _ZN7rocprim17ROCPRIM_400000_NS6detail17trampoline_kernelINS0_14default_configENS1_36segmented_radix_sort_config_selectorIilEEZNS1_25segmented_radix_sort_implIS3_Lb1EPKiPiPKlPlN2at6native12_GLOBAL__N_18offset_tEEE10hipError_tPvRmT1_PNSt15iterator_traitsISK_E10value_typeET2_T3_PNSL_ISQ_E10value_typeET4_jRbjT5_SW_jjP12ihipStream_tbEUlT_E2_NS1_11comp_targetILNS1_3genE10ELNS1_11target_archE1201ELNS1_3gpuE5ELNS1_3repE0EEENS1_30default_config_static_selectorELNS0_4arch9wavefront6targetE0EEEvSK_.uses_flat_scratch, 0
	.set _ZN7rocprim17ROCPRIM_400000_NS6detail17trampoline_kernelINS0_14default_configENS1_36segmented_radix_sort_config_selectorIilEEZNS1_25segmented_radix_sort_implIS3_Lb1EPKiPiPKlPlN2at6native12_GLOBAL__N_18offset_tEEE10hipError_tPvRmT1_PNSt15iterator_traitsISK_E10value_typeET2_T3_PNSL_ISQ_E10value_typeET4_jRbjT5_SW_jjP12ihipStream_tbEUlT_E2_NS1_11comp_targetILNS1_3genE10ELNS1_11target_archE1201ELNS1_3gpuE5ELNS1_3repE0EEENS1_30default_config_static_selectorELNS0_4arch9wavefront6targetE0EEEvSK_.has_dyn_sized_stack, 0
	.set _ZN7rocprim17ROCPRIM_400000_NS6detail17trampoline_kernelINS0_14default_configENS1_36segmented_radix_sort_config_selectorIilEEZNS1_25segmented_radix_sort_implIS3_Lb1EPKiPiPKlPlN2at6native12_GLOBAL__N_18offset_tEEE10hipError_tPvRmT1_PNSt15iterator_traitsISK_E10value_typeET2_T3_PNSL_ISQ_E10value_typeET4_jRbjT5_SW_jjP12ihipStream_tbEUlT_E2_NS1_11comp_targetILNS1_3genE10ELNS1_11target_archE1201ELNS1_3gpuE5ELNS1_3repE0EEENS1_30default_config_static_selectorELNS0_4arch9wavefront6targetE0EEEvSK_.has_recursion, 0
	.set _ZN7rocprim17ROCPRIM_400000_NS6detail17trampoline_kernelINS0_14default_configENS1_36segmented_radix_sort_config_selectorIilEEZNS1_25segmented_radix_sort_implIS3_Lb1EPKiPiPKlPlN2at6native12_GLOBAL__N_18offset_tEEE10hipError_tPvRmT1_PNSt15iterator_traitsISK_E10value_typeET2_T3_PNSL_ISQ_E10value_typeET4_jRbjT5_SW_jjP12ihipStream_tbEUlT_E2_NS1_11comp_targetILNS1_3genE10ELNS1_11target_archE1201ELNS1_3gpuE5ELNS1_3repE0EEENS1_30default_config_static_selectorELNS0_4arch9wavefront6targetE0EEEvSK_.has_indirect_call, 0
	.section	.AMDGPU.csdata,"",@progbits
; Kernel info:
; codeLenInByte = 0
; TotalNumSgprs: 0
; NumVgprs: 0
; ScratchSize: 0
; MemoryBound: 0
; FloatMode: 240
; IeeeMode: 1
; LDSByteSize: 0 bytes/workgroup (compile time only)
; SGPRBlocks: 0
; VGPRBlocks: 0
; NumSGPRsForWavesPerEU: 1
; NumVGPRsForWavesPerEU: 1
; NamedBarCnt: 0
; Occupancy: 16
; WaveLimiterHint : 0
; COMPUTE_PGM_RSRC2:SCRATCH_EN: 0
; COMPUTE_PGM_RSRC2:USER_SGPR: 2
; COMPUTE_PGM_RSRC2:TRAP_HANDLER: 0
; COMPUTE_PGM_RSRC2:TGID_X_EN: 1
; COMPUTE_PGM_RSRC2:TGID_Y_EN: 0
; COMPUTE_PGM_RSRC2:TGID_Z_EN: 0
; COMPUTE_PGM_RSRC2:TIDIG_COMP_CNT: 0
	.section	.text._ZN7rocprim17ROCPRIM_400000_NS6detail17trampoline_kernelINS0_14default_configENS1_36segmented_radix_sort_config_selectorIilEEZNS1_25segmented_radix_sort_implIS3_Lb1EPKiPiPKlPlN2at6native12_GLOBAL__N_18offset_tEEE10hipError_tPvRmT1_PNSt15iterator_traitsISK_E10value_typeET2_T3_PNSL_ISQ_E10value_typeET4_jRbjT5_SW_jjP12ihipStream_tbEUlT_E2_NS1_11comp_targetILNS1_3genE10ELNS1_11target_archE1200ELNS1_3gpuE4ELNS1_3repE0EEENS1_30default_config_static_selectorELNS0_4arch9wavefront6targetE0EEEvSK_,"axG",@progbits,_ZN7rocprim17ROCPRIM_400000_NS6detail17trampoline_kernelINS0_14default_configENS1_36segmented_radix_sort_config_selectorIilEEZNS1_25segmented_radix_sort_implIS3_Lb1EPKiPiPKlPlN2at6native12_GLOBAL__N_18offset_tEEE10hipError_tPvRmT1_PNSt15iterator_traitsISK_E10value_typeET2_T3_PNSL_ISQ_E10value_typeET4_jRbjT5_SW_jjP12ihipStream_tbEUlT_E2_NS1_11comp_targetILNS1_3genE10ELNS1_11target_archE1200ELNS1_3gpuE4ELNS1_3repE0EEENS1_30default_config_static_selectorELNS0_4arch9wavefront6targetE0EEEvSK_,comdat
	.globl	_ZN7rocprim17ROCPRIM_400000_NS6detail17trampoline_kernelINS0_14default_configENS1_36segmented_radix_sort_config_selectorIilEEZNS1_25segmented_radix_sort_implIS3_Lb1EPKiPiPKlPlN2at6native12_GLOBAL__N_18offset_tEEE10hipError_tPvRmT1_PNSt15iterator_traitsISK_E10value_typeET2_T3_PNSL_ISQ_E10value_typeET4_jRbjT5_SW_jjP12ihipStream_tbEUlT_E2_NS1_11comp_targetILNS1_3genE10ELNS1_11target_archE1200ELNS1_3gpuE4ELNS1_3repE0EEENS1_30default_config_static_selectorELNS0_4arch9wavefront6targetE0EEEvSK_ ; -- Begin function _ZN7rocprim17ROCPRIM_400000_NS6detail17trampoline_kernelINS0_14default_configENS1_36segmented_radix_sort_config_selectorIilEEZNS1_25segmented_radix_sort_implIS3_Lb1EPKiPiPKlPlN2at6native12_GLOBAL__N_18offset_tEEE10hipError_tPvRmT1_PNSt15iterator_traitsISK_E10value_typeET2_T3_PNSL_ISQ_E10value_typeET4_jRbjT5_SW_jjP12ihipStream_tbEUlT_E2_NS1_11comp_targetILNS1_3genE10ELNS1_11target_archE1200ELNS1_3gpuE4ELNS1_3repE0EEENS1_30default_config_static_selectorELNS0_4arch9wavefront6targetE0EEEvSK_
	.p2align	8
	.type	_ZN7rocprim17ROCPRIM_400000_NS6detail17trampoline_kernelINS0_14default_configENS1_36segmented_radix_sort_config_selectorIilEEZNS1_25segmented_radix_sort_implIS3_Lb1EPKiPiPKlPlN2at6native12_GLOBAL__N_18offset_tEEE10hipError_tPvRmT1_PNSt15iterator_traitsISK_E10value_typeET2_T3_PNSL_ISQ_E10value_typeET4_jRbjT5_SW_jjP12ihipStream_tbEUlT_E2_NS1_11comp_targetILNS1_3genE10ELNS1_11target_archE1200ELNS1_3gpuE4ELNS1_3repE0EEENS1_30default_config_static_selectorELNS0_4arch9wavefront6targetE0EEEvSK_,@function
_ZN7rocprim17ROCPRIM_400000_NS6detail17trampoline_kernelINS0_14default_configENS1_36segmented_radix_sort_config_selectorIilEEZNS1_25segmented_radix_sort_implIS3_Lb1EPKiPiPKlPlN2at6native12_GLOBAL__N_18offset_tEEE10hipError_tPvRmT1_PNSt15iterator_traitsISK_E10value_typeET2_T3_PNSL_ISQ_E10value_typeET4_jRbjT5_SW_jjP12ihipStream_tbEUlT_E2_NS1_11comp_targetILNS1_3genE10ELNS1_11target_archE1200ELNS1_3gpuE4ELNS1_3repE0EEENS1_30default_config_static_selectorELNS0_4arch9wavefront6targetE0EEEvSK_: ; @_ZN7rocprim17ROCPRIM_400000_NS6detail17trampoline_kernelINS0_14default_configENS1_36segmented_radix_sort_config_selectorIilEEZNS1_25segmented_radix_sort_implIS3_Lb1EPKiPiPKlPlN2at6native12_GLOBAL__N_18offset_tEEE10hipError_tPvRmT1_PNSt15iterator_traitsISK_E10value_typeET2_T3_PNSL_ISQ_E10value_typeET4_jRbjT5_SW_jjP12ihipStream_tbEUlT_E2_NS1_11comp_targetILNS1_3genE10ELNS1_11target_archE1200ELNS1_3gpuE4ELNS1_3repE0EEENS1_30default_config_static_selectorELNS0_4arch9wavefront6targetE0EEEvSK_
; %bb.0:
	.section	.rodata,"a",@progbits
	.p2align	6, 0x0
	.amdhsa_kernel _ZN7rocprim17ROCPRIM_400000_NS6detail17trampoline_kernelINS0_14default_configENS1_36segmented_radix_sort_config_selectorIilEEZNS1_25segmented_radix_sort_implIS3_Lb1EPKiPiPKlPlN2at6native12_GLOBAL__N_18offset_tEEE10hipError_tPvRmT1_PNSt15iterator_traitsISK_E10value_typeET2_T3_PNSL_ISQ_E10value_typeET4_jRbjT5_SW_jjP12ihipStream_tbEUlT_E2_NS1_11comp_targetILNS1_3genE10ELNS1_11target_archE1200ELNS1_3gpuE4ELNS1_3repE0EEENS1_30default_config_static_selectorELNS0_4arch9wavefront6targetE0EEEvSK_
		.amdhsa_group_segment_fixed_size 0
		.amdhsa_private_segment_fixed_size 0
		.amdhsa_kernarg_size 80
		.amdhsa_user_sgpr_count 2
		.amdhsa_user_sgpr_dispatch_ptr 0
		.amdhsa_user_sgpr_queue_ptr 0
		.amdhsa_user_sgpr_kernarg_segment_ptr 1
		.amdhsa_user_sgpr_dispatch_id 0
		.amdhsa_user_sgpr_kernarg_preload_length 0
		.amdhsa_user_sgpr_kernarg_preload_offset 0
		.amdhsa_user_sgpr_private_segment_size 0
		.amdhsa_wavefront_size32 1
		.amdhsa_uses_dynamic_stack 0
		.amdhsa_enable_private_segment 0
		.amdhsa_system_sgpr_workgroup_id_x 1
		.amdhsa_system_sgpr_workgroup_id_y 0
		.amdhsa_system_sgpr_workgroup_id_z 0
		.amdhsa_system_sgpr_workgroup_info 0
		.amdhsa_system_vgpr_workitem_id 0
		.amdhsa_next_free_vgpr 1
		.amdhsa_next_free_sgpr 1
		.amdhsa_named_barrier_count 0
		.amdhsa_reserve_vcc 0
		.amdhsa_float_round_mode_32 0
		.amdhsa_float_round_mode_16_64 0
		.amdhsa_float_denorm_mode_32 3
		.amdhsa_float_denorm_mode_16_64 3
		.amdhsa_fp16_overflow 0
		.amdhsa_memory_ordered 1
		.amdhsa_forward_progress 1
		.amdhsa_inst_pref_size 0
		.amdhsa_round_robin_scheduling 0
		.amdhsa_exception_fp_ieee_invalid_op 0
		.amdhsa_exception_fp_denorm_src 0
		.amdhsa_exception_fp_ieee_div_zero 0
		.amdhsa_exception_fp_ieee_overflow 0
		.amdhsa_exception_fp_ieee_underflow 0
		.amdhsa_exception_fp_ieee_inexact 0
		.amdhsa_exception_int_div_zero 0
	.end_amdhsa_kernel
	.section	.text._ZN7rocprim17ROCPRIM_400000_NS6detail17trampoline_kernelINS0_14default_configENS1_36segmented_radix_sort_config_selectorIilEEZNS1_25segmented_radix_sort_implIS3_Lb1EPKiPiPKlPlN2at6native12_GLOBAL__N_18offset_tEEE10hipError_tPvRmT1_PNSt15iterator_traitsISK_E10value_typeET2_T3_PNSL_ISQ_E10value_typeET4_jRbjT5_SW_jjP12ihipStream_tbEUlT_E2_NS1_11comp_targetILNS1_3genE10ELNS1_11target_archE1200ELNS1_3gpuE4ELNS1_3repE0EEENS1_30default_config_static_selectorELNS0_4arch9wavefront6targetE0EEEvSK_,"axG",@progbits,_ZN7rocprim17ROCPRIM_400000_NS6detail17trampoline_kernelINS0_14default_configENS1_36segmented_radix_sort_config_selectorIilEEZNS1_25segmented_radix_sort_implIS3_Lb1EPKiPiPKlPlN2at6native12_GLOBAL__N_18offset_tEEE10hipError_tPvRmT1_PNSt15iterator_traitsISK_E10value_typeET2_T3_PNSL_ISQ_E10value_typeET4_jRbjT5_SW_jjP12ihipStream_tbEUlT_E2_NS1_11comp_targetILNS1_3genE10ELNS1_11target_archE1200ELNS1_3gpuE4ELNS1_3repE0EEENS1_30default_config_static_selectorELNS0_4arch9wavefront6targetE0EEEvSK_,comdat
.Lfunc_end529:
	.size	_ZN7rocprim17ROCPRIM_400000_NS6detail17trampoline_kernelINS0_14default_configENS1_36segmented_radix_sort_config_selectorIilEEZNS1_25segmented_radix_sort_implIS3_Lb1EPKiPiPKlPlN2at6native12_GLOBAL__N_18offset_tEEE10hipError_tPvRmT1_PNSt15iterator_traitsISK_E10value_typeET2_T3_PNSL_ISQ_E10value_typeET4_jRbjT5_SW_jjP12ihipStream_tbEUlT_E2_NS1_11comp_targetILNS1_3genE10ELNS1_11target_archE1200ELNS1_3gpuE4ELNS1_3repE0EEENS1_30default_config_static_selectorELNS0_4arch9wavefront6targetE0EEEvSK_, .Lfunc_end529-_ZN7rocprim17ROCPRIM_400000_NS6detail17trampoline_kernelINS0_14default_configENS1_36segmented_radix_sort_config_selectorIilEEZNS1_25segmented_radix_sort_implIS3_Lb1EPKiPiPKlPlN2at6native12_GLOBAL__N_18offset_tEEE10hipError_tPvRmT1_PNSt15iterator_traitsISK_E10value_typeET2_T3_PNSL_ISQ_E10value_typeET4_jRbjT5_SW_jjP12ihipStream_tbEUlT_E2_NS1_11comp_targetILNS1_3genE10ELNS1_11target_archE1200ELNS1_3gpuE4ELNS1_3repE0EEENS1_30default_config_static_selectorELNS0_4arch9wavefront6targetE0EEEvSK_
                                        ; -- End function
	.set _ZN7rocprim17ROCPRIM_400000_NS6detail17trampoline_kernelINS0_14default_configENS1_36segmented_radix_sort_config_selectorIilEEZNS1_25segmented_radix_sort_implIS3_Lb1EPKiPiPKlPlN2at6native12_GLOBAL__N_18offset_tEEE10hipError_tPvRmT1_PNSt15iterator_traitsISK_E10value_typeET2_T3_PNSL_ISQ_E10value_typeET4_jRbjT5_SW_jjP12ihipStream_tbEUlT_E2_NS1_11comp_targetILNS1_3genE10ELNS1_11target_archE1200ELNS1_3gpuE4ELNS1_3repE0EEENS1_30default_config_static_selectorELNS0_4arch9wavefront6targetE0EEEvSK_.num_vgpr, 0
	.set _ZN7rocprim17ROCPRIM_400000_NS6detail17trampoline_kernelINS0_14default_configENS1_36segmented_radix_sort_config_selectorIilEEZNS1_25segmented_radix_sort_implIS3_Lb1EPKiPiPKlPlN2at6native12_GLOBAL__N_18offset_tEEE10hipError_tPvRmT1_PNSt15iterator_traitsISK_E10value_typeET2_T3_PNSL_ISQ_E10value_typeET4_jRbjT5_SW_jjP12ihipStream_tbEUlT_E2_NS1_11comp_targetILNS1_3genE10ELNS1_11target_archE1200ELNS1_3gpuE4ELNS1_3repE0EEENS1_30default_config_static_selectorELNS0_4arch9wavefront6targetE0EEEvSK_.num_agpr, 0
	.set _ZN7rocprim17ROCPRIM_400000_NS6detail17trampoline_kernelINS0_14default_configENS1_36segmented_radix_sort_config_selectorIilEEZNS1_25segmented_radix_sort_implIS3_Lb1EPKiPiPKlPlN2at6native12_GLOBAL__N_18offset_tEEE10hipError_tPvRmT1_PNSt15iterator_traitsISK_E10value_typeET2_T3_PNSL_ISQ_E10value_typeET4_jRbjT5_SW_jjP12ihipStream_tbEUlT_E2_NS1_11comp_targetILNS1_3genE10ELNS1_11target_archE1200ELNS1_3gpuE4ELNS1_3repE0EEENS1_30default_config_static_selectorELNS0_4arch9wavefront6targetE0EEEvSK_.numbered_sgpr, 0
	.set _ZN7rocprim17ROCPRIM_400000_NS6detail17trampoline_kernelINS0_14default_configENS1_36segmented_radix_sort_config_selectorIilEEZNS1_25segmented_radix_sort_implIS3_Lb1EPKiPiPKlPlN2at6native12_GLOBAL__N_18offset_tEEE10hipError_tPvRmT1_PNSt15iterator_traitsISK_E10value_typeET2_T3_PNSL_ISQ_E10value_typeET4_jRbjT5_SW_jjP12ihipStream_tbEUlT_E2_NS1_11comp_targetILNS1_3genE10ELNS1_11target_archE1200ELNS1_3gpuE4ELNS1_3repE0EEENS1_30default_config_static_selectorELNS0_4arch9wavefront6targetE0EEEvSK_.num_named_barrier, 0
	.set _ZN7rocprim17ROCPRIM_400000_NS6detail17trampoline_kernelINS0_14default_configENS1_36segmented_radix_sort_config_selectorIilEEZNS1_25segmented_radix_sort_implIS3_Lb1EPKiPiPKlPlN2at6native12_GLOBAL__N_18offset_tEEE10hipError_tPvRmT1_PNSt15iterator_traitsISK_E10value_typeET2_T3_PNSL_ISQ_E10value_typeET4_jRbjT5_SW_jjP12ihipStream_tbEUlT_E2_NS1_11comp_targetILNS1_3genE10ELNS1_11target_archE1200ELNS1_3gpuE4ELNS1_3repE0EEENS1_30default_config_static_selectorELNS0_4arch9wavefront6targetE0EEEvSK_.private_seg_size, 0
	.set _ZN7rocprim17ROCPRIM_400000_NS6detail17trampoline_kernelINS0_14default_configENS1_36segmented_radix_sort_config_selectorIilEEZNS1_25segmented_radix_sort_implIS3_Lb1EPKiPiPKlPlN2at6native12_GLOBAL__N_18offset_tEEE10hipError_tPvRmT1_PNSt15iterator_traitsISK_E10value_typeET2_T3_PNSL_ISQ_E10value_typeET4_jRbjT5_SW_jjP12ihipStream_tbEUlT_E2_NS1_11comp_targetILNS1_3genE10ELNS1_11target_archE1200ELNS1_3gpuE4ELNS1_3repE0EEENS1_30default_config_static_selectorELNS0_4arch9wavefront6targetE0EEEvSK_.uses_vcc, 0
	.set _ZN7rocprim17ROCPRIM_400000_NS6detail17trampoline_kernelINS0_14default_configENS1_36segmented_radix_sort_config_selectorIilEEZNS1_25segmented_radix_sort_implIS3_Lb1EPKiPiPKlPlN2at6native12_GLOBAL__N_18offset_tEEE10hipError_tPvRmT1_PNSt15iterator_traitsISK_E10value_typeET2_T3_PNSL_ISQ_E10value_typeET4_jRbjT5_SW_jjP12ihipStream_tbEUlT_E2_NS1_11comp_targetILNS1_3genE10ELNS1_11target_archE1200ELNS1_3gpuE4ELNS1_3repE0EEENS1_30default_config_static_selectorELNS0_4arch9wavefront6targetE0EEEvSK_.uses_flat_scratch, 0
	.set _ZN7rocprim17ROCPRIM_400000_NS6detail17trampoline_kernelINS0_14default_configENS1_36segmented_radix_sort_config_selectorIilEEZNS1_25segmented_radix_sort_implIS3_Lb1EPKiPiPKlPlN2at6native12_GLOBAL__N_18offset_tEEE10hipError_tPvRmT1_PNSt15iterator_traitsISK_E10value_typeET2_T3_PNSL_ISQ_E10value_typeET4_jRbjT5_SW_jjP12ihipStream_tbEUlT_E2_NS1_11comp_targetILNS1_3genE10ELNS1_11target_archE1200ELNS1_3gpuE4ELNS1_3repE0EEENS1_30default_config_static_selectorELNS0_4arch9wavefront6targetE0EEEvSK_.has_dyn_sized_stack, 0
	.set _ZN7rocprim17ROCPRIM_400000_NS6detail17trampoline_kernelINS0_14default_configENS1_36segmented_radix_sort_config_selectorIilEEZNS1_25segmented_radix_sort_implIS3_Lb1EPKiPiPKlPlN2at6native12_GLOBAL__N_18offset_tEEE10hipError_tPvRmT1_PNSt15iterator_traitsISK_E10value_typeET2_T3_PNSL_ISQ_E10value_typeET4_jRbjT5_SW_jjP12ihipStream_tbEUlT_E2_NS1_11comp_targetILNS1_3genE10ELNS1_11target_archE1200ELNS1_3gpuE4ELNS1_3repE0EEENS1_30default_config_static_selectorELNS0_4arch9wavefront6targetE0EEEvSK_.has_recursion, 0
	.set _ZN7rocprim17ROCPRIM_400000_NS6detail17trampoline_kernelINS0_14default_configENS1_36segmented_radix_sort_config_selectorIilEEZNS1_25segmented_radix_sort_implIS3_Lb1EPKiPiPKlPlN2at6native12_GLOBAL__N_18offset_tEEE10hipError_tPvRmT1_PNSt15iterator_traitsISK_E10value_typeET2_T3_PNSL_ISQ_E10value_typeET4_jRbjT5_SW_jjP12ihipStream_tbEUlT_E2_NS1_11comp_targetILNS1_3genE10ELNS1_11target_archE1200ELNS1_3gpuE4ELNS1_3repE0EEENS1_30default_config_static_selectorELNS0_4arch9wavefront6targetE0EEEvSK_.has_indirect_call, 0
	.section	.AMDGPU.csdata,"",@progbits
; Kernel info:
; codeLenInByte = 0
; TotalNumSgprs: 0
; NumVgprs: 0
; ScratchSize: 0
; MemoryBound: 0
; FloatMode: 240
; IeeeMode: 1
; LDSByteSize: 0 bytes/workgroup (compile time only)
; SGPRBlocks: 0
; VGPRBlocks: 0
; NumSGPRsForWavesPerEU: 1
; NumVGPRsForWavesPerEU: 1
; NamedBarCnt: 0
; Occupancy: 16
; WaveLimiterHint : 0
; COMPUTE_PGM_RSRC2:SCRATCH_EN: 0
; COMPUTE_PGM_RSRC2:USER_SGPR: 2
; COMPUTE_PGM_RSRC2:TRAP_HANDLER: 0
; COMPUTE_PGM_RSRC2:TGID_X_EN: 1
; COMPUTE_PGM_RSRC2:TGID_Y_EN: 0
; COMPUTE_PGM_RSRC2:TGID_Z_EN: 0
; COMPUTE_PGM_RSRC2:TIDIG_COMP_CNT: 0
	.section	.text._ZN7rocprim17ROCPRIM_400000_NS6detail17trampoline_kernelINS0_14default_configENS1_36segmented_radix_sort_config_selectorIilEEZNS1_25segmented_radix_sort_implIS3_Lb1EPKiPiPKlPlN2at6native12_GLOBAL__N_18offset_tEEE10hipError_tPvRmT1_PNSt15iterator_traitsISK_E10value_typeET2_T3_PNSL_ISQ_E10value_typeET4_jRbjT5_SW_jjP12ihipStream_tbEUlT_E2_NS1_11comp_targetILNS1_3genE9ELNS1_11target_archE1100ELNS1_3gpuE3ELNS1_3repE0EEENS1_30default_config_static_selectorELNS0_4arch9wavefront6targetE0EEEvSK_,"axG",@progbits,_ZN7rocprim17ROCPRIM_400000_NS6detail17trampoline_kernelINS0_14default_configENS1_36segmented_radix_sort_config_selectorIilEEZNS1_25segmented_radix_sort_implIS3_Lb1EPKiPiPKlPlN2at6native12_GLOBAL__N_18offset_tEEE10hipError_tPvRmT1_PNSt15iterator_traitsISK_E10value_typeET2_T3_PNSL_ISQ_E10value_typeET4_jRbjT5_SW_jjP12ihipStream_tbEUlT_E2_NS1_11comp_targetILNS1_3genE9ELNS1_11target_archE1100ELNS1_3gpuE3ELNS1_3repE0EEENS1_30default_config_static_selectorELNS0_4arch9wavefront6targetE0EEEvSK_,comdat
	.globl	_ZN7rocprim17ROCPRIM_400000_NS6detail17trampoline_kernelINS0_14default_configENS1_36segmented_radix_sort_config_selectorIilEEZNS1_25segmented_radix_sort_implIS3_Lb1EPKiPiPKlPlN2at6native12_GLOBAL__N_18offset_tEEE10hipError_tPvRmT1_PNSt15iterator_traitsISK_E10value_typeET2_T3_PNSL_ISQ_E10value_typeET4_jRbjT5_SW_jjP12ihipStream_tbEUlT_E2_NS1_11comp_targetILNS1_3genE9ELNS1_11target_archE1100ELNS1_3gpuE3ELNS1_3repE0EEENS1_30default_config_static_selectorELNS0_4arch9wavefront6targetE0EEEvSK_ ; -- Begin function _ZN7rocprim17ROCPRIM_400000_NS6detail17trampoline_kernelINS0_14default_configENS1_36segmented_radix_sort_config_selectorIilEEZNS1_25segmented_radix_sort_implIS3_Lb1EPKiPiPKlPlN2at6native12_GLOBAL__N_18offset_tEEE10hipError_tPvRmT1_PNSt15iterator_traitsISK_E10value_typeET2_T3_PNSL_ISQ_E10value_typeET4_jRbjT5_SW_jjP12ihipStream_tbEUlT_E2_NS1_11comp_targetILNS1_3genE9ELNS1_11target_archE1100ELNS1_3gpuE3ELNS1_3repE0EEENS1_30default_config_static_selectorELNS0_4arch9wavefront6targetE0EEEvSK_
	.p2align	8
	.type	_ZN7rocprim17ROCPRIM_400000_NS6detail17trampoline_kernelINS0_14default_configENS1_36segmented_radix_sort_config_selectorIilEEZNS1_25segmented_radix_sort_implIS3_Lb1EPKiPiPKlPlN2at6native12_GLOBAL__N_18offset_tEEE10hipError_tPvRmT1_PNSt15iterator_traitsISK_E10value_typeET2_T3_PNSL_ISQ_E10value_typeET4_jRbjT5_SW_jjP12ihipStream_tbEUlT_E2_NS1_11comp_targetILNS1_3genE9ELNS1_11target_archE1100ELNS1_3gpuE3ELNS1_3repE0EEENS1_30default_config_static_selectorELNS0_4arch9wavefront6targetE0EEEvSK_,@function
_ZN7rocprim17ROCPRIM_400000_NS6detail17trampoline_kernelINS0_14default_configENS1_36segmented_radix_sort_config_selectorIilEEZNS1_25segmented_radix_sort_implIS3_Lb1EPKiPiPKlPlN2at6native12_GLOBAL__N_18offset_tEEE10hipError_tPvRmT1_PNSt15iterator_traitsISK_E10value_typeET2_T3_PNSL_ISQ_E10value_typeET4_jRbjT5_SW_jjP12ihipStream_tbEUlT_E2_NS1_11comp_targetILNS1_3genE9ELNS1_11target_archE1100ELNS1_3gpuE3ELNS1_3repE0EEENS1_30default_config_static_selectorELNS0_4arch9wavefront6targetE0EEEvSK_: ; @_ZN7rocprim17ROCPRIM_400000_NS6detail17trampoline_kernelINS0_14default_configENS1_36segmented_radix_sort_config_selectorIilEEZNS1_25segmented_radix_sort_implIS3_Lb1EPKiPiPKlPlN2at6native12_GLOBAL__N_18offset_tEEE10hipError_tPvRmT1_PNSt15iterator_traitsISK_E10value_typeET2_T3_PNSL_ISQ_E10value_typeET4_jRbjT5_SW_jjP12ihipStream_tbEUlT_E2_NS1_11comp_targetILNS1_3genE9ELNS1_11target_archE1100ELNS1_3gpuE3ELNS1_3repE0EEENS1_30default_config_static_selectorELNS0_4arch9wavefront6targetE0EEEvSK_
; %bb.0:
	.section	.rodata,"a",@progbits
	.p2align	6, 0x0
	.amdhsa_kernel _ZN7rocprim17ROCPRIM_400000_NS6detail17trampoline_kernelINS0_14default_configENS1_36segmented_radix_sort_config_selectorIilEEZNS1_25segmented_radix_sort_implIS3_Lb1EPKiPiPKlPlN2at6native12_GLOBAL__N_18offset_tEEE10hipError_tPvRmT1_PNSt15iterator_traitsISK_E10value_typeET2_T3_PNSL_ISQ_E10value_typeET4_jRbjT5_SW_jjP12ihipStream_tbEUlT_E2_NS1_11comp_targetILNS1_3genE9ELNS1_11target_archE1100ELNS1_3gpuE3ELNS1_3repE0EEENS1_30default_config_static_selectorELNS0_4arch9wavefront6targetE0EEEvSK_
		.amdhsa_group_segment_fixed_size 0
		.amdhsa_private_segment_fixed_size 0
		.amdhsa_kernarg_size 80
		.amdhsa_user_sgpr_count 2
		.amdhsa_user_sgpr_dispatch_ptr 0
		.amdhsa_user_sgpr_queue_ptr 0
		.amdhsa_user_sgpr_kernarg_segment_ptr 1
		.amdhsa_user_sgpr_dispatch_id 0
		.amdhsa_user_sgpr_kernarg_preload_length 0
		.amdhsa_user_sgpr_kernarg_preload_offset 0
		.amdhsa_user_sgpr_private_segment_size 0
		.amdhsa_wavefront_size32 1
		.amdhsa_uses_dynamic_stack 0
		.amdhsa_enable_private_segment 0
		.amdhsa_system_sgpr_workgroup_id_x 1
		.amdhsa_system_sgpr_workgroup_id_y 0
		.amdhsa_system_sgpr_workgroup_id_z 0
		.amdhsa_system_sgpr_workgroup_info 0
		.amdhsa_system_vgpr_workitem_id 0
		.amdhsa_next_free_vgpr 1
		.amdhsa_next_free_sgpr 1
		.amdhsa_named_barrier_count 0
		.amdhsa_reserve_vcc 0
		.amdhsa_float_round_mode_32 0
		.amdhsa_float_round_mode_16_64 0
		.amdhsa_float_denorm_mode_32 3
		.amdhsa_float_denorm_mode_16_64 3
		.amdhsa_fp16_overflow 0
		.amdhsa_memory_ordered 1
		.amdhsa_forward_progress 1
		.amdhsa_inst_pref_size 0
		.amdhsa_round_robin_scheduling 0
		.amdhsa_exception_fp_ieee_invalid_op 0
		.amdhsa_exception_fp_denorm_src 0
		.amdhsa_exception_fp_ieee_div_zero 0
		.amdhsa_exception_fp_ieee_overflow 0
		.amdhsa_exception_fp_ieee_underflow 0
		.amdhsa_exception_fp_ieee_inexact 0
		.amdhsa_exception_int_div_zero 0
	.end_amdhsa_kernel
	.section	.text._ZN7rocprim17ROCPRIM_400000_NS6detail17trampoline_kernelINS0_14default_configENS1_36segmented_radix_sort_config_selectorIilEEZNS1_25segmented_radix_sort_implIS3_Lb1EPKiPiPKlPlN2at6native12_GLOBAL__N_18offset_tEEE10hipError_tPvRmT1_PNSt15iterator_traitsISK_E10value_typeET2_T3_PNSL_ISQ_E10value_typeET4_jRbjT5_SW_jjP12ihipStream_tbEUlT_E2_NS1_11comp_targetILNS1_3genE9ELNS1_11target_archE1100ELNS1_3gpuE3ELNS1_3repE0EEENS1_30default_config_static_selectorELNS0_4arch9wavefront6targetE0EEEvSK_,"axG",@progbits,_ZN7rocprim17ROCPRIM_400000_NS6detail17trampoline_kernelINS0_14default_configENS1_36segmented_radix_sort_config_selectorIilEEZNS1_25segmented_radix_sort_implIS3_Lb1EPKiPiPKlPlN2at6native12_GLOBAL__N_18offset_tEEE10hipError_tPvRmT1_PNSt15iterator_traitsISK_E10value_typeET2_T3_PNSL_ISQ_E10value_typeET4_jRbjT5_SW_jjP12ihipStream_tbEUlT_E2_NS1_11comp_targetILNS1_3genE9ELNS1_11target_archE1100ELNS1_3gpuE3ELNS1_3repE0EEENS1_30default_config_static_selectorELNS0_4arch9wavefront6targetE0EEEvSK_,comdat
.Lfunc_end530:
	.size	_ZN7rocprim17ROCPRIM_400000_NS6detail17trampoline_kernelINS0_14default_configENS1_36segmented_radix_sort_config_selectorIilEEZNS1_25segmented_radix_sort_implIS3_Lb1EPKiPiPKlPlN2at6native12_GLOBAL__N_18offset_tEEE10hipError_tPvRmT1_PNSt15iterator_traitsISK_E10value_typeET2_T3_PNSL_ISQ_E10value_typeET4_jRbjT5_SW_jjP12ihipStream_tbEUlT_E2_NS1_11comp_targetILNS1_3genE9ELNS1_11target_archE1100ELNS1_3gpuE3ELNS1_3repE0EEENS1_30default_config_static_selectorELNS0_4arch9wavefront6targetE0EEEvSK_, .Lfunc_end530-_ZN7rocprim17ROCPRIM_400000_NS6detail17trampoline_kernelINS0_14default_configENS1_36segmented_radix_sort_config_selectorIilEEZNS1_25segmented_radix_sort_implIS3_Lb1EPKiPiPKlPlN2at6native12_GLOBAL__N_18offset_tEEE10hipError_tPvRmT1_PNSt15iterator_traitsISK_E10value_typeET2_T3_PNSL_ISQ_E10value_typeET4_jRbjT5_SW_jjP12ihipStream_tbEUlT_E2_NS1_11comp_targetILNS1_3genE9ELNS1_11target_archE1100ELNS1_3gpuE3ELNS1_3repE0EEENS1_30default_config_static_selectorELNS0_4arch9wavefront6targetE0EEEvSK_
                                        ; -- End function
	.set _ZN7rocprim17ROCPRIM_400000_NS6detail17trampoline_kernelINS0_14default_configENS1_36segmented_radix_sort_config_selectorIilEEZNS1_25segmented_radix_sort_implIS3_Lb1EPKiPiPKlPlN2at6native12_GLOBAL__N_18offset_tEEE10hipError_tPvRmT1_PNSt15iterator_traitsISK_E10value_typeET2_T3_PNSL_ISQ_E10value_typeET4_jRbjT5_SW_jjP12ihipStream_tbEUlT_E2_NS1_11comp_targetILNS1_3genE9ELNS1_11target_archE1100ELNS1_3gpuE3ELNS1_3repE0EEENS1_30default_config_static_selectorELNS0_4arch9wavefront6targetE0EEEvSK_.num_vgpr, 0
	.set _ZN7rocprim17ROCPRIM_400000_NS6detail17trampoline_kernelINS0_14default_configENS1_36segmented_radix_sort_config_selectorIilEEZNS1_25segmented_radix_sort_implIS3_Lb1EPKiPiPKlPlN2at6native12_GLOBAL__N_18offset_tEEE10hipError_tPvRmT1_PNSt15iterator_traitsISK_E10value_typeET2_T3_PNSL_ISQ_E10value_typeET4_jRbjT5_SW_jjP12ihipStream_tbEUlT_E2_NS1_11comp_targetILNS1_3genE9ELNS1_11target_archE1100ELNS1_3gpuE3ELNS1_3repE0EEENS1_30default_config_static_selectorELNS0_4arch9wavefront6targetE0EEEvSK_.num_agpr, 0
	.set _ZN7rocprim17ROCPRIM_400000_NS6detail17trampoline_kernelINS0_14default_configENS1_36segmented_radix_sort_config_selectorIilEEZNS1_25segmented_radix_sort_implIS3_Lb1EPKiPiPKlPlN2at6native12_GLOBAL__N_18offset_tEEE10hipError_tPvRmT1_PNSt15iterator_traitsISK_E10value_typeET2_T3_PNSL_ISQ_E10value_typeET4_jRbjT5_SW_jjP12ihipStream_tbEUlT_E2_NS1_11comp_targetILNS1_3genE9ELNS1_11target_archE1100ELNS1_3gpuE3ELNS1_3repE0EEENS1_30default_config_static_selectorELNS0_4arch9wavefront6targetE0EEEvSK_.numbered_sgpr, 0
	.set _ZN7rocprim17ROCPRIM_400000_NS6detail17trampoline_kernelINS0_14default_configENS1_36segmented_radix_sort_config_selectorIilEEZNS1_25segmented_radix_sort_implIS3_Lb1EPKiPiPKlPlN2at6native12_GLOBAL__N_18offset_tEEE10hipError_tPvRmT1_PNSt15iterator_traitsISK_E10value_typeET2_T3_PNSL_ISQ_E10value_typeET4_jRbjT5_SW_jjP12ihipStream_tbEUlT_E2_NS1_11comp_targetILNS1_3genE9ELNS1_11target_archE1100ELNS1_3gpuE3ELNS1_3repE0EEENS1_30default_config_static_selectorELNS0_4arch9wavefront6targetE0EEEvSK_.num_named_barrier, 0
	.set _ZN7rocprim17ROCPRIM_400000_NS6detail17trampoline_kernelINS0_14default_configENS1_36segmented_radix_sort_config_selectorIilEEZNS1_25segmented_radix_sort_implIS3_Lb1EPKiPiPKlPlN2at6native12_GLOBAL__N_18offset_tEEE10hipError_tPvRmT1_PNSt15iterator_traitsISK_E10value_typeET2_T3_PNSL_ISQ_E10value_typeET4_jRbjT5_SW_jjP12ihipStream_tbEUlT_E2_NS1_11comp_targetILNS1_3genE9ELNS1_11target_archE1100ELNS1_3gpuE3ELNS1_3repE0EEENS1_30default_config_static_selectorELNS0_4arch9wavefront6targetE0EEEvSK_.private_seg_size, 0
	.set _ZN7rocprim17ROCPRIM_400000_NS6detail17trampoline_kernelINS0_14default_configENS1_36segmented_radix_sort_config_selectorIilEEZNS1_25segmented_radix_sort_implIS3_Lb1EPKiPiPKlPlN2at6native12_GLOBAL__N_18offset_tEEE10hipError_tPvRmT1_PNSt15iterator_traitsISK_E10value_typeET2_T3_PNSL_ISQ_E10value_typeET4_jRbjT5_SW_jjP12ihipStream_tbEUlT_E2_NS1_11comp_targetILNS1_3genE9ELNS1_11target_archE1100ELNS1_3gpuE3ELNS1_3repE0EEENS1_30default_config_static_selectorELNS0_4arch9wavefront6targetE0EEEvSK_.uses_vcc, 0
	.set _ZN7rocprim17ROCPRIM_400000_NS6detail17trampoline_kernelINS0_14default_configENS1_36segmented_radix_sort_config_selectorIilEEZNS1_25segmented_radix_sort_implIS3_Lb1EPKiPiPKlPlN2at6native12_GLOBAL__N_18offset_tEEE10hipError_tPvRmT1_PNSt15iterator_traitsISK_E10value_typeET2_T3_PNSL_ISQ_E10value_typeET4_jRbjT5_SW_jjP12ihipStream_tbEUlT_E2_NS1_11comp_targetILNS1_3genE9ELNS1_11target_archE1100ELNS1_3gpuE3ELNS1_3repE0EEENS1_30default_config_static_selectorELNS0_4arch9wavefront6targetE0EEEvSK_.uses_flat_scratch, 0
	.set _ZN7rocprim17ROCPRIM_400000_NS6detail17trampoline_kernelINS0_14default_configENS1_36segmented_radix_sort_config_selectorIilEEZNS1_25segmented_radix_sort_implIS3_Lb1EPKiPiPKlPlN2at6native12_GLOBAL__N_18offset_tEEE10hipError_tPvRmT1_PNSt15iterator_traitsISK_E10value_typeET2_T3_PNSL_ISQ_E10value_typeET4_jRbjT5_SW_jjP12ihipStream_tbEUlT_E2_NS1_11comp_targetILNS1_3genE9ELNS1_11target_archE1100ELNS1_3gpuE3ELNS1_3repE0EEENS1_30default_config_static_selectorELNS0_4arch9wavefront6targetE0EEEvSK_.has_dyn_sized_stack, 0
	.set _ZN7rocprim17ROCPRIM_400000_NS6detail17trampoline_kernelINS0_14default_configENS1_36segmented_radix_sort_config_selectorIilEEZNS1_25segmented_radix_sort_implIS3_Lb1EPKiPiPKlPlN2at6native12_GLOBAL__N_18offset_tEEE10hipError_tPvRmT1_PNSt15iterator_traitsISK_E10value_typeET2_T3_PNSL_ISQ_E10value_typeET4_jRbjT5_SW_jjP12ihipStream_tbEUlT_E2_NS1_11comp_targetILNS1_3genE9ELNS1_11target_archE1100ELNS1_3gpuE3ELNS1_3repE0EEENS1_30default_config_static_selectorELNS0_4arch9wavefront6targetE0EEEvSK_.has_recursion, 0
	.set _ZN7rocprim17ROCPRIM_400000_NS6detail17trampoline_kernelINS0_14default_configENS1_36segmented_radix_sort_config_selectorIilEEZNS1_25segmented_radix_sort_implIS3_Lb1EPKiPiPKlPlN2at6native12_GLOBAL__N_18offset_tEEE10hipError_tPvRmT1_PNSt15iterator_traitsISK_E10value_typeET2_T3_PNSL_ISQ_E10value_typeET4_jRbjT5_SW_jjP12ihipStream_tbEUlT_E2_NS1_11comp_targetILNS1_3genE9ELNS1_11target_archE1100ELNS1_3gpuE3ELNS1_3repE0EEENS1_30default_config_static_selectorELNS0_4arch9wavefront6targetE0EEEvSK_.has_indirect_call, 0
	.section	.AMDGPU.csdata,"",@progbits
; Kernel info:
; codeLenInByte = 0
; TotalNumSgprs: 0
; NumVgprs: 0
; ScratchSize: 0
; MemoryBound: 0
; FloatMode: 240
; IeeeMode: 1
; LDSByteSize: 0 bytes/workgroup (compile time only)
; SGPRBlocks: 0
; VGPRBlocks: 0
; NumSGPRsForWavesPerEU: 1
; NumVGPRsForWavesPerEU: 1
; NamedBarCnt: 0
; Occupancy: 16
; WaveLimiterHint : 0
; COMPUTE_PGM_RSRC2:SCRATCH_EN: 0
; COMPUTE_PGM_RSRC2:USER_SGPR: 2
; COMPUTE_PGM_RSRC2:TRAP_HANDLER: 0
; COMPUTE_PGM_RSRC2:TGID_X_EN: 1
; COMPUTE_PGM_RSRC2:TGID_Y_EN: 0
; COMPUTE_PGM_RSRC2:TGID_Z_EN: 0
; COMPUTE_PGM_RSRC2:TIDIG_COMP_CNT: 0
	.section	.text._ZN7rocprim17ROCPRIM_400000_NS6detail17trampoline_kernelINS0_14default_configENS1_36segmented_radix_sort_config_selectorIilEEZNS1_25segmented_radix_sort_implIS3_Lb1EPKiPiPKlPlN2at6native12_GLOBAL__N_18offset_tEEE10hipError_tPvRmT1_PNSt15iterator_traitsISK_E10value_typeET2_T3_PNSL_ISQ_E10value_typeET4_jRbjT5_SW_jjP12ihipStream_tbEUlT_E2_NS1_11comp_targetILNS1_3genE8ELNS1_11target_archE1030ELNS1_3gpuE2ELNS1_3repE0EEENS1_30default_config_static_selectorELNS0_4arch9wavefront6targetE0EEEvSK_,"axG",@progbits,_ZN7rocprim17ROCPRIM_400000_NS6detail17trampoline_kernelINS0_14default_configENS1_36segmented_radix_sort_config_selectorIilEEZNS1_25segmented_radix_sort_implIS3_Lb1EPKiPiPKlPlN2at6native12_GLOBAL__N_18offset_tEEE10hipError_tPvRmT1_PNSt15iterator_traitsISK_E10value_typeET2_T3_PNSL_ISQ_E10value_typeET4_jRbjT5_SW_jjP12ihipStream_tbEUlT_E2_NS1_11comp_targetILNS1_3genE8ELNS1_11target_archE1030ELNS1_3gpuE2ELNS1_3repE0EEENS1_30default_config_static_selectorELNS0_4arch9wavefront6targetE0EEEvSK_,comdat
	.globl	_ZN7rocprim17ROCPRIM_400000_NS6detail17trampoline_kernelINS0_14default_configENS1_36segmented_radix_sort_config_selectorIilEEZNS1_25segmented_radix_sort_implIS3_Lb1EPKiPiPKlPlN2at6native12_GLOBAL__N_18offset_tEEE10hipError_tPvRmT1_PNSt15iterator_traitsISK_E10value_typeET2_T3_PNSL_ISQ_E10value_typeET4_jRbjT5_SW_jjP12ihipStream_tbEUlT_E2_NS1_11comp_targetILNS1_3genE8ELNS1_11target_archE1030ELNS1_3gpuE2ELNS1_3repE0EEENS1_30default_config_static_selectorELNS0_4arch9wavefront6targetE0EEEvSK_ ; -- Begin function _ZN7rocprim17ROCPRIM_400000_NS6detail17trampoline_kernelINS0_14default_configENS1_36segmented_radix_sort_config_selectorIilEEZNS1_25segmented_radix_sort_implIS3_Lb1EPKiPiPKlPlN2at6native12_GLOBAL__N_18offset_tEEE10hipError_tPvRmT1_PNSt15iterator_traitsISK_E10value_typeET2_T3_PNSL_ISQ_E10value_typeET4_jRbjT5_SW_jjP12ihipStream_tbEUlT_E2_NS1_11comp_targetILNS1_3genE8ELNS1_11target_archE1030ELNS1_3gpuE2ELNS1_3repE0EEENS1_30default_config_static_selectorELNS0_4arch9wavefront6targetE0EEEvSK_
	.p2align	8
	.type	_ZN7rocprim17ROCPRIM_400000_NS6detail17trampoline_kernelINS0_14default_configENS1_36segmented_radix_sort_config_selectorIilEEZNS1_25segmented_radix_sort_implIS3_Lb1EPKiPiPKlPlN2at6native12_GLOBAL__N_18offset_tEEE10hipError_tPvRmT1_PNSt15iterator_traitsISK_E10value_typeET2_T3_PNSL_ISQ_E10value_typeET4_jRbjT5_SW_jjP12ihipStream_tbEUlT_E2_NS1_11comp_targetILNS1_3genE8ELNS1_11target_archE1030ELNS1_3gpuE2ELNS1_3repE0EEENS1_30default_config_static_selectorELNS0_4arch9wavefront6targetE0EEEvSK_,@function
_ZN7rocprim17ROCPRIM_400000_NS6detail17trampoline_kernelINS0_14default_configENS1_36segmented_radix_sort_config_selectorIilEEZNS1_25segmented_radix_sort_implIS3_Lb1EPKiPiPKlPlN2at6native12_GLOBAL__N_18offset_tEEE10hipError_tPvRmT1_PNSt15iterator_traitsISK_E10value_typeET2_T3_PNSL_ISQ_E10value_typeET4_jRbjT5_SW_jjP12ihipStream_tbEUlT_E2_NS1_11comp_targetILNS1_3genE8ELNS1_11target_archE1030ELNS1_3gpuE2ELNS1_3repE0EEENS1_30default_config_static_selectorELNS0_4arch9wavefront6targetE0EEEvSK_: ; @_ZN7rocprim17ROCPRIM_400000_NS6detail17trampoline_kernelINS0_14default_configENS1_36segmented_radix_sort_config_selectorIilEEZNS1_25segmented_radix_sort_implIS3_Lb1EPKiPiPKlPlN2at6native12_GLOBAL__N_18offset_tEEE10hipError_tPvRmT1_PNSt15iterator_traitsISK_E10value_typeET2_T3_PNSL_ISQ_E10value_typeET4_jRbjT5_SW_jjP12ihipStream_tbEUlT_E2_NS1_11comp_targetILNS1_3genE8ELNS1_11target_archE1030ELNS1_3gpuE2ELNS1_3repE0EEENS1_30default_config_static_selectorELNS0_4arch9wavefront6targetE0EEEvSK_
; %bb.0:
	.section	.rodata,"a",@progbits
	.p2align	6, 0x0
	.amdhsa_kernel _ZN7rocprim17ROCPRIM_400000_NS6detail17trampoline_kernelINS0_14default_configENS1_36segmented_radix_sort_config_selectorIilEEZNS1_25segmented_radix_sort_implIS3_Lb1EPKiPiPKlPlN2at6native12_GLOBAL__N_18offset_tEEE10hipError_tPvRmT1_PNSt15iterator_traitsISK_E10value_typeET2_T3_PNSL_ISQ_E10value_typeET4_jRbjT5_SW_jjP12ihipStream_tbEUlT_E2_NS1_11comp_targetILNS1_3genE8ELNS1_11target_archE1030ELNS1_3gpuE2ELNS1_3repE0EEENS1_30default_config_static_selectorELNS0_4arch9wavefront6targetE0EEEvSK_
		.amdhsa_group_segment_fixed_size 0
		.amdhsa_private_segment_fixed_size 0
		.amdhsa_kernarg_size 80
		.amdhsa_user_sgpr_count 2
		.amdhsa_user_sgpr_dispatch_ptr 0
		.amdhsa_user_sgpr_queue_ptr 0
		.amdhsa_user_sgpr_kernarg_segment_ptr 1
		.amdhsa_user_sgpr_dispatch_id 0
		.amdhsa_user_sgpr_kernarg_preload_length 0
		.amdhsa_user_sgpr_kernarg_preload_offset 0
		.amdhsa_user_sgpr_private_segment_size 0
		.amdhsa_wavefront_size32 1
		.amdhsa_uses_dynamic_stack 0
		.amdhsa_enable_private_segment 0
		.amdhsa_system_sgpr_workgroup_id_x 1
		.amdhsa_system_sgpr_workgroup_id_y 0
		.amdhsa_system_sgpr_workgroup_id_z 0
		.amdhsa_system_sgpr_workgroup_info 0
		.amdhsa_system_vgpr_workitem_id 0
		.amdhsa_next_free_vgpr 1
		.amdhsa_next_free_sgpr 1
		.amdhsa_named_barrier_count 0
		.amdhsa_reserve_vcc 0
		.amdhsa_float_round_mode_32 0
		.amdhsa_float_round_mode_16_64 0
		.amdhsa_float_denorm_mode_32 3
		.amdhsa_float_denorm_mode_16_64 3
		.amdhsa_fp16_overflow 0
		.amdhsa_memory_ordered 1
		.amdhsa_forward_progress 1
		.amdhsa_inst_pref_size 0
		.amdhsa_round_robin_scheduling 0
		.amdhsa_exception_fp_ieee_invalid_op 0
		.amdhsa_exception_fp_denorm_src 0
		.amdhsa_exception_fp_ieee_div_zero 0
		.amdhsa_exception_fp_ieee_overflow 0
		.amdhsa_exception_fp_ieee_underflow 0
		.amdhsa_exception_fp_ieee_inexact 0
		.amdhsa_exception_int_div_zero 0
	.end_amdhsa_kernel
	.section	.text._ZN7rocprim17ROCPRIM_400000_NS6detail17trampoline_kernelINS0_14default_configENS1_36segmented_radix_sort_config_selectorIilEEZNS1_25segmented_radix_sort_implIS3_Lb1EPKiPiPKlPlN2at6native12_GLOBAL__N_18offset_tEEE10hipError_tPvRmT1_PNSt15iterator_traitsISK_E10value_typeET2_T3_PNSL_ISQ_E10value_typeET4_jRbjT5_SW_jjP12ihipStream_tbEUlT_E2_NS1_11comp_targetILNS1_3genE8ELNS1_11target_archE1030ELNS1_3gpuE2ELNS1_3repE0EEENS1_30default_config_static_selectorELNS0_4arch9wavefront6targetE0EEEvSK_,"axG",@progbits,_ZN7rocprim17ROCPRIM_400000_NS6detail17trampoline_kernelINS0_14default_configENS1_36segmented_radix_sort_config_selectorIilEEZNS1_25segmented_radix_sort_implIS3_Lb1EPKiPiPKlPlN2at6native12_GLOBAL__N_18offset_tEEE10hipError_tPvRmT1_PNSt15iterator_traitsISK_E10value_typeET2_T3_PNSL_ISQ_E10value_typeET4_jRbjT5_SW_jjP12ihipStream_tbEUlT_E2_NS1_11comp_targetILNS1_3genE8ELNS1_11target_archE1030ELNS1_3gpuE2ELNS1_3repE0EEENS1_30default_config_static_selectorELNS0_4arch9wavefront6targetE0EEEvSK_,comdat
.Lfunc_end531:
	.size	_ZN7rocprim17ROCPRIM_400000_NS6detail17trampoline_kernelINS0_14default_configENS1_36segmented_radix_sort_config_selectorIilEEZNS1_25segmented_radix_sort_implIS3_Lb1EPKiPiPKlPlN2at6native12_GLOBAL__N_18offset_tEEE10hipError_tPvRmT1_PNSt15iterator_traitsISK_E10value_typeET2_T3_PNSL_ISQ_E10value_typeET4_jRbjT5_SW_jjP12ihipStream_tbEUlT_E2_NS1_11comp_targetILNS1_3genE8ELNS1_11target_archE1030ELNS1_3gpuE2ELNS1_3repE0EEENS1_30default_config_static_selectorELNS0_4arch9wavefront6targetE0EEEvSK_, .Lfunc_end531-_ZN7rocprim17ROCPRIM_400000_NS6detail17trampoline_kernelINS0_14default_configENS1_36segmented_radix_sort_config_selectorIilEEZNS1_25segmented_radix_sort_implIS3_Lb1EPKiPiPKlPlN2at6native12_GLOBAL__N_18offset_tEEE10hipError_tPvRmT1_PNSt15iterator_traitsISK_E10value_typeET2_T3_PNSL_ISQ_E10value_typeET4_jRbjT5_SW_jjP12ihipStream_tbEUlT_E2_NS1_11comp_targetILNS1_3genE8ELNS1_11target_archE1030ELNS1_3gpuE2ELNS1_3repE0EEENS1_30default_config_static_selectorELNS0_4arch9wavefront6targetE0EEEvSK_
                                        ; -- End function
	.set _ZN7rocprim17ROCPRIM_400000_NS6detail17trampoline_kernelINS0_14default_configENS1_36segmented_radix_sort_config_selectorIilEEZNS1_25segmented_radix_sort_implIS3_Lb1EPKiPiPKlPlN2at6native12_GLOBAL__N_18offset_tEEE10hipError_tPvRmT1_PNSt15iterator_traitsISK_E10value_typeET2_T3_PNSL_ISQ_E10value_typeET4_jRbjT5_SW_jjP12ihipStream_tbEUlT_E2_NS1_11comp_targetILNS1_3genE8ELNS1_11target_archE1030ELNS1_3gpuE2ELNS1_3repE0EEENS1_30default_config_static_selectorELNS0_4arch9wavefront6targetE0EEEvSK_.num_vgpr, 0
	.set _ZN7rocprim17ROCPRIM_400000_NS6detail17trampoline_kernelINS0_14default_configENS1_36segmented_radix_sort_config_selectorIilEEZNS1_25segmented_radix_sort_implIS3_Lb1EPKiPiPKlPlN2at6native12_GLOBAL__N_18offset_tEEE10hipError_tPvRmT1_PNSt15iterator_traitsISK_E10value_typeET2_T3_PNSL_ISQ_E10value_typeET4_jRbjT5_SW_jjP12ihipStream_tbEUlT_E2_NS1_11comp_targetILNS1_3genE8ELNS1_11target_archE1030ELNS1_3gpuE2ELNS1_3repE0EEENS1_30default_config_static_selectorELNS0_4arch9wavefront6targetE0EEEvSK_.num_agpr, 0
	.set _ZN7rocprim17ROCPRIM_400000_NS6detail17trampoline_kernelINS0_14default_configENS1_36segmented_radix_sort_config_selectorIilEEZNS1_25segmented_radix_sort_implIS3_Lb1EPKiPiPKlPlN2at6native12_GLOBAL__N_18offset_tEEE10hipError_tPvRmT1_PNSt15iterator_traitsISK_E10value_typeET2_T3_PNSL_ISQ_E10value_typeET4_jRbjT5_SW_jjP12ihipStream_tbEUlT_E2_NS1_11comp_targetILNS1_3genE8ELNS1_11target_archE1030ELNS1_3gpuE2ELNS1_3repE0EEENS1_30default_config_static_selectorELNS0_4arch9wavefront6targetE0EEEvSK_.numbered_sgpr, 0
	.set _ZN7rocprim17ROCPRIM_400000_NS6detail17trampoline_kernelINS0_14default_configENS1_36segmented_radix_sort_config_selectorIilEEZNS1_25segmented_radix_sort_implIS3_Lb1EPKiPiPKlPlN2at6native12_GLOBAL__N_18offset_tEEE10hipError_tPvRmT1_PNSt15iterator_traitsISK_E10value_typeET2_T3_PNSL_ISQ_E10value_typeET4_jRbjT5_SW_jjP12ihipStream_tbEUlT_E2_NS1_11comp_targetILNS1_3genE8ELNS1_11target_archE1030ELNS1_3gpuE2ELNS1_3repE0EEENS1_30default_config_static_selectorELNS0_4arch9wavefront6targetE0EEEvSK_.num_named_barrier, 0
	.set _ZN7rocprim17ROCPRIM_400000_NS6detail17trampoline_kernelINS0_14default_configENS1_36segmented_radix_sort_config_selectorIilEEZNS1_25segmented_radix_sort_implIS3_Lb1EPKiPiPKlPlN2at6native12_GLOBAL__N_18offset_tEEE10hipError_tPvRmT1_PNSt15iterator_traitsISK_E10value_typeET2_T3_PNSL_ISQ_E10value_typeET4_jRbjT5_SW_jjP12ihipStream_tbEUlT_E2_NS1_11comp_targetILNS1_3genE8ELNS1_11target_archE1030ELNS1_3gpuE2ELNS1_3repE0EEENS1_30default_config_static_selectorELNS0_4arch9wavefront6targetE0EEEvSK_.private_seg_size, 0
	.set _ZN7rocprim17ROCPRIM_400000_NS6detail17trampoline_kernelINS0_14default_configENS1_36segmented_radix_sort_config_selectorIilEEZNS1_25segmented_radix_sort_implIS3_Lb1EPKiPiPKlPlN2at6native12_GLOBAL__N_18offset_tEEE10hipError_tPvRmT1_PNSt15iterator_traitsISK_E10value_typeET2_T3_PNSL_ISQ_E10value_typeET4_jRbjT5_SW_jjP12ihipStream_tbEUlT_E2_NS1_11comp_targetILNS1_3genE8ELNS1_11target_archE1030ELNS1_3gpuE2ELNS1_3repE0EEENS1_30default_config_static_selectorELNS0_4arch9wavefront6targetE0EEEvSK_.uses_vcc, 0
	.set _ZN7rocprim17ROCPRIM_400000_NS6detail17trampoline_kernelINS0_14default_configENS1_36segmented_radix_sort_config_selectorIilEEZNS1_25segmented_radix_sort_implIS3_Lb1EPKiPiPKlPlN2at6native12_GLOBAL__N_18offset_tEEE10hipError_tPvRmT1_PNSt15iterator_traitsISK_E10value_typeET2_T3_PNSL_ISQ_E10value_typeET4_jRbjT5_SW_jjP12ihipStream_tbEUlT_E2_NS1_11comp_targetILNS1_3genE8ELNS1_11target_archE1030ELNS1_3gpuE2ELNS1_3repE0EEENS1_30default_config_static_selectorELNS0_4arch9wavefront6targetE0EEEvSK_.uses_flat_scratch, 0
	.set _ZN7rocprim17ROCPRIM_400000_NS6detail17trampoline_kernelINS0_14default_configENS1_36segmented_radix_sort_config_selectorIilEEZNS1_25segmented_radix_sort_implIS3_Lb1EPKiPiPKlPlN2at6native12_GLOBAL__N_18offset_tEEE10hipError_tPvRmT1_PNSt15iterator_traitsISK_E10value_typeET2_T3_PNSL_ISQ_E10value_typeET4_jRbjT5_SW_jjP12ihipStream_tbEUlT_E2_NS1_11comp_targetILNS1_3genE8ELNS1_11target_archE1030ELNS1_3gpuE2ELNS1_3repE0EEENS1_30default_config_static_selectorELNS0_4arch9wavefront6targetE0EEEvSK_.has_dyn_sized_stack, 0
	.set _ZN7rocprim17ROCPRIM_400000_NS6detail17trampoline_kernelINS0_14default_configENS1_36segmented_radix_sort_config_selectorIilEEZNS1_25segmented_radix_sort_implIS3_Lb1EPKiPiPKlPlN2at6native12_GLOBAL__N_18offset_tEEE10hipError_tPvRmT1_PNSt15iterator_traitsISK_E10value_typeET2_T3_PNSL_ISQ_E10value_typeET4_jRbjT5_SW_jjP12ihipStream_tbEUlT_E2_NS1_11comp_targetILNS1_3genE8ELNS1_11target_archE1030ELNS1_3gpuE2ELNS1_3repE0EEENS1_30default_config_static_selectorELNS0_4arch9wavefront6targetE0EEEvSK_.has_recursion, 0
	.set _ZN7rocprim17ROCPRIM_400000_NS6detail17trampoline_kernelINS0_14default_configENS1_36segmented_radix_sort_config_selectorIilEEZNS1_25segmented_radix_sort_implIS3_Lb1EPKiPiPKlPlN2at6native12_GLOBAL__N_18offset_tEEE10hipError_tPvRmT1_PNSt15iterator_traitsISK_E10value_typeET2_T3_PNSL_ISQ_E10value_typeET4_jRbjT5_SW_jjP12ihipStream_tbEUlT_E2_NS1_11comp_targetILNS1_3genE8ELNS1_11target_archE1030ELNS1_3gpuE2ELNS1_3repE0EEENS1_30default_config_static_selectorELNS0_4arch9wavefront6targetE0EEEvSK_.has_indirect_call, 0
	.section	.AMDGPU.csdata,"",@progbits
; Kernel info:
; codeLenInByte = 0
; TotalNumSgprs: 0
; NumVgprs: 0
; ScratchSize: 0
; MemoryBound: 0
; FloatMode: 240
; IeeeMode: 1
; LDSByteSize: 0 bytes/workgroup (compile time only)
; SGPRBlocks: 0
; VGPRBlocks: 0
; NumSGPRsForWavesPerEU: 1
; NumVGPRsForWavesPerEU: 1
; NamedBarCnt: 0
; Occupancy: 16
; WaveLimiterHint : 0
; COMPUTE_PGM_RSRC2:SCRATCH_EN: 0
; COMPUTE_PGM_RSRC2:USER_SGPR: 2
; COMPUTE_PGM_RSRC2:TRAP_HANDLER: 0
; COMPUTE_PGM_RSRC2:TGID_X_EN: 1
; COMPUTE_PGM_RSRC2:TGID_Y_EN: 0
; COMPUTE_PGM_RSRC2:TGID_Z_EN: 0
; COMPUTE_PGM_RSRC2:TIDIG_COMP_CNT: 0
	.section	.text._ZN7rocprim17ROCPRIM_400000_NS6detail17trampoline_kernelINS0_13select_configILj256ELj13ELNS0_17block_load_methodE3ELS4_3ELS4_3ELNS0_20block_scan_algorithmE0ELj4294967295EEENS1_25partition_config_selectorILNS1_17partition_subalgoE4EjNS0_10empty_typeEbEEZZNS1_14partition_implILS8_4ELb0ES6_15HIP_vector_typeIjLj2EENS0_17counting_iteratorIjlEEPS9_SG_NS0_5tupleIJPjSI_NS0_16reverse_iteratorISI_EEEEENSH_IJSG_SG_SG_EEES9_SI_JZNS1_25segmented_radix_sort_implINS0_14default_configELb0EPKiPiPKlPlN2at6native12_GLOBAL__N_18offset_tEEE10hipError_tPvRmT1_PNSt15iterator_traitsIS12_E10value_typeET2_T3_PNS13_IS18_E10value_typeET4_jRbjT5_S1E_jjP12ihipStream_tbEUljE_ZNSN_ISO_Lb0ESQ_SR_ST_SU_SY_EESZ_S10_S11_S12_S16_S17_S18_S1B_S1C_jS1D_jS1E_S1E_jjS1G_bEUljE0_EEESZ_S10_S11_S18_S1C_S1E_T6_T7_T9_mT8_S1G_bDpT10_ENKUlT_T0_E_clISt17integral_constantIbLb0EES1U_EEDaS1P_S1Q_EUlS1P_E_NS1_11comp_targetILNS1_3genE0ELNS1_11target_archE4294967295ELNS1_3gpuE0ELNS1_3repE0EEENS1_30default_config_static_selectorELNS0_4arch9wavefront6targetE0EEEvS12_,"axG",@progbits,_ZN7rocprim17ROCPRIM_400000_NS6detail17trampoline_kernelINS0_13select_configILj256ELj13ELNS0_17block_load_methodE3ELS4_3ELS4_3ELNS0_20block_scan_algorithmE0ELj4294967295EEENS1_25partition_config_selectorILNS1_17partition_subalgoE4EjNS0_10empty_typeEbEEZZNS1_14partition_implILS8_4ELb0ES6_15HIP_vector_typeIjLj2EENS0_17counting_iteratorIjlEEPS9_SG_NS0_5tupleIJPjSI_NS0_16reverse_iteratorISI_EEEEENSH_IJSG_SG_SG_EEES9_SI_JZNS1_25segmented_radix_sort_implINS0_14default_configELb0EPKiPiPKlPlN2at6native12_GLOBAL__N_18offset_tEEE10hipError_tPvRmT1_PNSt15iterator_traitsIS12_E10value_typeET2_T3_PNS13_IS18_E10value_typeET4_jRbjT5_S1E_jjP12ihipStream_tbEUljE_ZNSN_ISO_Lb0ESQ_SR_ST_SU_SY_EESZ_S10_S11_S12_S16_S17_S18_S1B_S1C_jS1D_jS1E_S1E_jjS1G_bEUljE0_EEESZ_S10_S11_S18_S1C_S1E_T6_T7_T9_mT8_S1G_bDpT10_ENKUlT_T0_E_clISt17integral_constantIbLb0EES1U_EEDaS1P_S1Q_EUlS1P_E_NS1_11comp_targetILNS1_3genE0ELNS1_11target_archE4294967295ELNS1_3gpuE0ELNS1_3repE0EEENS1_30default_config_static_selectorELNS0_4arch9wavefront6targetE0EEEvS12_,comdat
	.globl	_ZN7rocprim17ROCPRIM_400000_NS6detail17trampoline_kernelINS0_13select_configILj256ELj13ELNS0_17block_load_methodE3ELS4_3ELS4_3ELNS0_20block_scan_algorithmE0ELj4294967295EEENS1_25partition_config_selectorILNS1_17partition_subalgoE4EjNS0_10empty_typeEbEEZZNS1_14partition_implILS8_4ELb0ES6_15HIP_vector_typeIjLj2EENS0_17counting_iteratorIjlEEPS9_SG_NS0_5tupleIJPjSI_NS0_16reverse_iteratorISI_EEEEENSH_IJSG_SG_SG_EEES9_SI_JZNS1_25segmented_radix_sort_implINS0_14default_configELb0EPKiPiPKlPlN2at6native12_GLOBAL__N_18offset_tEEE10hipError_tPvRmT1_PNSt15iterator_traitsIS12_E10value_typeET2_T3_PNS13_IS18_E10value_typeET4_jRbjT5_S1E_jjP12ihipStream_tbEUljE_ZNSN_ISO_Lb0ESQ_SR_ST_SU_SY_EESZ_S10_S11_S12_S16_S17_S18_S1B_S1C_jS1D_jS1E_S1E_jjS1G_bEUljE0_EEESZ_S10_S11_S18_S1C_S1E_T6_T7_T9_mT8_S1G_bDpT10_ENKUlT_T0_E_clISt17integral_constantIbLb0EES1U_EEDaS1P_S1Q_EUlS1P_E_NS1_11comp_targetILNS1_3genE0ELNS1_11target_archE4294967295ELNS1_3gpuE0ELNS1_3repE0EEENS1_30default_config_static_selectorELNS0_4arch9wavefront6targetE0EEEvS12_ ; -- Begin function _ZN7rocprim17ROCPRIM_400000_NS6detail17trampoline_kernelINS0_13select_configILj256ELj13ELNS0_17block_load_methodE3ELS4_3ELS4_3ELNS0_20block_scan_algorithmE0ELj4294967295EEENS1_25partition_config_selectorILNS1_17partition_subalgoE4EjNS0_10empty_typeEbEEZZNS1_14partition_implILS8_4ELb0ES6_15HIP_vector_typeIjLj2EENS0_17counting_iteratorIjlEEPS9_SG_NS0_5tupleIJPjSI_NS0_16reverse_iteratorISI_EEEEENSH_IJSG_SG_SG_EEES9_SI_JZNS1_25segmented_radix_sort_implINS0_14default_configELb0EPKiPiPKlPlN2at6native12_GLOBAL__N_18offset_tEEE10hipError_tPvRmT1_PNSt15iterator_traitsIS12_E10value_typeET2_T3_PNS13_IS18_E10value_typeET4_jRbjT5_S1E_jjP12ihipStream_tbEUljE_ZNSN_ISO_Lb0ESQ_SR_ST_SU_SY_EESZ_S10_S11_S12_S16_S17_S18_S1B_S1C_jS1D_jS1E_S1E_jjS1G_bEUljE0_EEESZ_S10_S11_S18_S1C_S1E_T6_T7_T9_mT8_S1G_bDpT10_ENKUlT_T0_E_clISt17integral_constantIbLb0EES1U_EEDaS1P_S1Q_EUlS1P_E_NS1_11comp_targetILNS1_3genE0ELNS1_11target_archE4294967295ELNS1_3gpuE0ELNS1_3repE0EEENS1_30default_config_static_selectorELNS0_4arch9wavefront6targetE0EEEvS12_
	.p2align	8
	.type	_ZN7rocprim17ROCPRIM_400000_NS6detail17trampoline_kernelINS0_13select_configILj256ELj13ELNS0_17block_load_methodE3ELS4_3ELS4_3ELNS0_20block_scan_algorithmE0ELj4294967295EEENS1_25partition_config_selectorILNS1_17partition_subalgoE4EjNS0_10empty_typeEbEEZZNS1_14partition_implILS8_4ELb0ES6_15HIP_vector_typeIjLj2EENS0_17counting_iteratorIjlEEPS9_SG_NS0_5tupleIJPjSI_NS0_16reverse_iteratorISI_EEEEENSH_IJSG_SG_SG_EEES9_SI_JZNS1_25segmented_radix_sort_implINS0_14default_configELb0EPKiPiPKlPlN2at6native12_GLOBAL__N_18offset_tEEE10hipError_tPvRmT1_PNSt15iterator_traitsIS12_E10value_typeET2_T3_PNS13_IS18_E10value_typeET4_jRbjT5_S1E_jjP12ihipStream_tbEUljE_ZNSN_ISO_Lb0ESQ_SR_ST_SU_SY_EESZ_S10_S11_S12_S16_S17_S18_S1B_S1C_jS1D_jS1E_S1E_jjS1G_bEUljE0_EEESZ_S10_S11_S18_S1C_S1E_T6_T7_T9_mT8_S1G_bDpT10_ENKUlT_T0_E_clISt17integral_constantIbLb0EES1U_EEDaS1P_S1Q_EUlS1P_E_NS1_11comp_targetILNS1_3genE0ELNS1_11target_archE4294967295ELNS1_3gpuE0ELNS1_3repE0EEENS1_30default_config_static_selectorELNS0_4arch9wavefront6targetE0EEEvS12_,@function
_ZN7rocprim17ROCPRIM_400000_NS6detail17trampoline_kernelINS0_13select_configILj256ELj13ELNS0_17block_load_methodE3ELS4_3ELS4_3ELNS0_20block_scan_algorithmE0ELj4294967295EEENS1_25partition_config_selectorILNS1_17partition_subalgoE4EjNS0_10empty_typeEbEEZZNS1_14partition_implILS8_4ELb0ES6_15HIP_vector_typeIjLj2EENS0_17counting_iteratorIjlEEPS9_SG_NS0_5tupleIJPjSI_NS0_16reverse_iteratorISI_EEEEENSH_IJSG_SG_SG_EEES9_SI_JZNS1_25segmented_radix_sort_implINS0_14default_configELb0EPKiPiPKlPlN2at6native12_GLOBAL__N_18offset_tEEE10hipError_tPvRmT1_PNSt15iterator_traitsIS12_E10value_typeET2_T3_PNS13_IS18_E10value_typeET4_jRbjT5_S1E_jjP12ihipStream_tbEUljE_ZNSN_ISO_Lb0ESQ_SR_ST_SU_SY_EESZ_S10_S11_S12_S16_S17_S18_S1B_S1C_jS1D_jS1E_S1E_jjS1G_bEUljE0_EEESZ_S10_S11_S18_S1C_S1E_T6_T7_T9_mT8_S1G_bDpT10_ENKUlT_T0_E_clISt17integral_constantIbLb0EES1U_EEDaS1P_S1Q_EUlS1P_E_NS1_11comp_targetILNS1_3genE0ELNS1_11target_archE4294967295ELNS1_3gpuE0ELNS1_3repE0EEENS1_30default_config_static_selectorELNS0_4arch9wavefront6targetE0EEEvS12_: ; @_ZN7rocprim17ROCPRIM_400000_NS6detail17trampoline_kernelINS0_13select_configILj256ELj13ELNS0_17block_load_methodE3ELS4_3ELS4_3ELNS0_20block_scan_algorithmE0ELj4294967295EEENS1_25partition_config_selectorILNS1_17partition_subalgoE4EjNS0_10empty_typeEbEEZZNS1_14partition_implILS8_4ELb0ES6_15HIP_vector_typeIjLj2EENS0_17counting_iteratorIjlEEPS9_SG_NS0_5tupleIJPjSI_NS0_16reverse_iteratorISI_EEEEENSH_IJSG_SG_SG_EEES9_SI_JZNS1_25segmented_radix_sort_implINS0_14default_configELb0EPKiPiPKlPlN2at6native12_GLOBAL__N_18offset_tEEE10hipError_tPvRmT1_PNSt15iterator_traitsIS12_E10value_typeET2_T3_PNS13_IS18_E10value_typeET4_jRbjT5_S1E_jjP12ihipStream_tbEUljE_ZNSN_ISO_Lb0ESQ_SR_ST_SU_SY_EESZ_S10_S11_S12_S16_S17_S18_S1B_S1C_jS1D_jS1E_S1E_jjS1G_bEUljE0_EEESZ_S10_S11_S18_S1C_S1E_T6_T7_T9_mT8_S1G_bDpT10_ENKUlT_T0_E_clISt17integral_constantIbLb0EES1U_EEDaS1P_S1Q_EUlS1P_E_NS1_11comp_targetILNS1_3genE0ELNS1_11target_archE4294967295ELNS1_3gpuE0ELNS1_3repE0EEENS1_30default_config_static_selectorELNS0_4arch9wavefront6targetE0EEEvS12_
; %bb.0:
	s_clause 0x4
	s_load_b128 s[24:27], s[0:1], 0x58
	s_load_b32 s4, s[0:1], 0x80
	s_load_b64 s[34:35], s[0:1], 0x10
	s_load_b64 s[2:3], s[0:1], 0x68
	s_load_b32 s8, s[0:1], 0x8
	s_bfe_u32 s5, ttmp6, 0x4000c
	s_and_b32 s6, ttmp6, 15
	s_add_co_i32 s5, s5, 1
	s_getreg_b32 s7, hwreg(HW_REG_IB_STS2, 6, 4)
	s_mul_i32 s5, ttmp9, s5
	s_load_b64 s[42:43], s[0:1], 0xa8
	s_add_co_i32 s6, s6, s5
	s_cmp_eq_u32 s7, 0
	s_load_b256 s[16:23], s[0:1], 0x88
	s_cselect_b32 s33, ttmp9, s6
	s_mov_b32 s5, 0
	s_mul_i32 s40, s33, 0xd00
	s_wait_kmcnt 0x0
	s_add_co_i32 s9, s4, -1
	s_mulk_i32 s4, 0xd00
	s_load_b128 s[28:31], s[26:27], 0x0
	s_cmp_eq_u32 s33, s9
	s_add_nc_u64 s[6:7], s[34:35], s[4:5]
	s_cselect_b32 s15, -1, 0
	s_cmp_lg_u32 s33, s9
	v_cmp_gt_u64_e64 s3, s[2:3], s[6:7]
	s_cselect_b32 s5, -1, 0
	s_add_co_i32 s6, s8, s40
	s_delay_alu instid0(SALU_CYCLE_1) | instskip(NEXT) | instid1(SALU_CYCLE_1)
	s_add_co_i32 s6, s6, s34
	v_add_nc_u32_e32 v1, s6, v0
	s_or_b32 s3, s5, s3
	s_mov_b32 s5, -1
	s_and_b32 vcc_lo, exec_lo, s3
	s_delay_alu instid0(VALU_DEP_1)
	v_add_nc_u32_e32 v2, 0x100, v1
	v_add_nc_u32_e32 v3, 0x200, v1
	;; [unrolled: 1-line block ×12, first 2 shown]
	s_cbranch_vccz .LBB532_2
; %bb.1:
	v_lshlrev_b32_e32 v14, 2, v0
	s_mov_b32 s5, 0
	ds_store_2addr_stride64_b32 v14, v1, v2 offset1:4
	ds_store_2addr_stride64_b32 v14, v3, v4 offset0:8 offset1:12
	ds_store_2addr_stride64_b32 v14, v5, v6 offset0:16 offset1:20
	;; [unrolled: 1-line block ×5, first 2 shown]
	ds_store_b32 v14, v13 offset:12288
	s_wait_dscnt 0x0
	s_barrier_signal -1
	s_barrier_wait -1
.LBB532_2:
	s_and_not1_b32 vcc_lo, exec_lo, s5
	s_add_co_i32 s4, s4, s34
	s_cbranch_vccnz .LBB532_4
; %bb.3:
	v_lshlrev_b32_e32 v14, 2, v0
	ds_store_2addr_stride64_b32 v14, v1, v2 offset1:4
	ds_store_2addr_stride64_b32 v14, v3, v4 offset0:8 offset1:12
	ds_store_2addr_stride64_b32 v14, v5, v6 offset0:16 offset1:20
	;; [unrolled: 1-line block ×5, first 2 shown]
	ds_store_b32 v14, v13 offset:12288
	s_wait_dscnt 0x0
	s_barrier_signal -1
	s_barrier_wait -1
.LBB532_4:
	v_mul_u32_u24_e32 v30, 13, v0
	s_load_b128 s[36:39], s[0:1], 0x28
	s_wait_xcnt 0x0
	s_load_b64 s[26:27], s[0:1], 0x38
	v_cndmask_b32_e64 v29, 0, 1, s3
	s_sub_co_i32 s41, s2, s4
	v_lshlrev_b32_e32 v1, 2, v30
	s_and_not1_b32 vcc_lo, exec_lo, s3
	ds_load_b32 v28, v1 offset:48
	ds_load_2addr_b32 v[10:11], v1 offset0:10 offset1:11
	ds_load_2addr_b32 v[12:13], v1 offset0:8 offset1:9
	;; [unrolled: 1-line block ×4, first 2 shown]
	ds_load_2addr_b32 v[20:21], v1 offset1:1
	ds_load_2addr_b32 v[18:19], v1 offset0:2 offset1:3
	s_wait_dscnt 0x0
	s_barrier_signal -1
	s_barrier_wait -1
	s_cbranch_vccnz .LBB532_32
; %bb.5:
	v_dual_add_nc_u32 v1, s17, v20 :: v_dual_add_nc_u32 v2, s19, v20
	s_mov_b32 s45, 0
	s_mov_b32 s44, 0
	s_mov_b32 s3, exec_lo
	s_delay_alu instid0(VALU_DEP_1) | instskip(SKIP_1) | instid1(VALU_DEP_1)
	v_mul_lo_u32 v1, v1, s16
	v_mul_lo_u32 v2, v2, s18
	v_sub_nc_u32_e32 v1, v1, v2
	s_delay_alu instid0(VALU_DEP_1)
	v_cmp_lt_u32_e32 vcc_lo, s20, v1
	v_cmpx_ge_u32_e64 s20, v1
	s_cbranch_execz .LBB532_7
; %bb.6:
	v_dual_add_nc_u32 v1, s22, v20 :: v_dual_add_nc_u32 v2, s42, v20
	s_delay_alu instid0(VALU_DEP_1) | instskip(NEXT) | instid1(VALU_DEP_2)
	v_mul_lo_u32 v1, v1, s21
	v_mul_lo_u32 v2, v2, s23
	s_delay_alu instid0(VALU_DEP_1) | instskip(NEXT) | instid1(VALU_DEP_1)
	v_sub_nc_u32_e32 v1, v1, v2
	v_cmp_lt_u32_e64 s2, s43, v1
	s_and_b32 s44, s2, exec_lo
.LBB532_7:
	s_or_b32 exec_lo, exec_lo, s3
	v_dual_add_nc_u32 v1, s17, v21 :: v_dual_add_nc_u32 v2, s19, v21
	s_mov_b32 s4, exec_lo
	s_delay_alu instid0(VALU_DEP_1) | instskip(NEXT) | instid1(VALU_DEP_2)
	v_mul_lo_u32 v1, v1, s16
	v_mul_lo_u32 v2, v2, s18
	s_delay_alu instid0(VALU_DEP_1) | instskip(NEXT) | instid1(VALU_DEP_1)
	v_sub_nc_u32_e32 v1, v1, v2
	v_cmp_lt_u32_e64 s2, s20, v1
	v_cmpx_ge_u32_e64 s20, v1
	s_cbranch_execz .LBB532_9
; %bb.8:
	v_dual_add_nc_u32 v1, s22, v21 :: v_dual_add_nc_u32 v2, s42, v21
	s_delay_alu instid0(VALU_DEP_1) | instskip(NEXT) | instid1(VALU_DEP_2)
	v_mul_lo_u32 v1, v1, s21
	v_mul_lo_u32 v2, v2, s23
	s_delay_alu instid0(VALU_DEP_1) | instskip(NEXT) | instid1(VALU_DEP_1)
	v_sub_nc_u32_e32 v1, v1, v2
	v_cmp_lt_u32_e64 s3, s43, v1
	s_and_b32 s45, s3, exec_lo
.LBB532_9:
	s_or_b32 exec_lo, exec_lo, s4
	v_dual_add_nc_u32 v1, s17, v18 :: v_dual_add_nc_u32 v2, s19, v18
	s_mov_b32 s47, 0
	s_mov_b32 s46, 0
	s_mov_b32 s5, exec_lo
	s_delay_alu instid0(VALU_DEP_1) | instskip(SKIP_1) | instid1(VALU_DEP_1)
	v_mul_lo_u32 v1, v1, s16
	v_mul_lo_u32 v2, v2, s18
	v_sub_nc_u32_e32 v1, v1, v2
	s_delay_alu instid0(VALU_DEP_1)
	v_cmp_lt_u32_e64 s3, s20, v1
	v_cmpx_ge_u32_e64 s20, v1
	s_cbranch_execz .LBB532_11
; %bb.10:
	v_dual_add_nc_u32 v1, s22, v18 :: v_dual_add_nc_u32 v2, s42, v18
	s_delay_alu instid0(VALU_DEP_1) | instskip(NEXT) | instid1(VALU_DEP_2)
	v_mul_lo_u32 v1, v1, s21
	v_mul_lo_u32 v2, v2, s23
	s_delay_alu instid0(VALU_DEP_1) | instskip(NEXT) | instid1(VALU_DEP_1)
	v_sub_nc_u32_e32 v1, v1, v2
	v_cmp_lt_u32_e64 s4, s43, v1
	s_and_b32 s46, s4, exec_lo
.LBB532_11:
	s_or_b32 exec_lo, exec_lo, s5
	v_dual_add_nc_u32 v1, s17, v19 :: v_dual_add_nc_u32 v2, s19, v19
	s_mov_b32 s6, exec_lo
	s_delay_alu instid0(VALU_DEP_1) | instskip(NEXT) | instid1(VALU_DEP_2)
	v_mul_lo_u32 v1, v1, s16
	v_mul_lo_u32 v2, v2, s18
	s_delay_alu instid0(VALU_DEP_1) | instskip(NEXT) | instid1(VALU_DEP_1)
	v_sub_nc_u32_e32 v1, v1, v2
	v_cmp_lt_u32_e64 s4, s20, v1
	v_cmpx_ge_u32_e64 s20, v1
	s_cbranch_execz .LBB532_13
; %bb.12:
	v_dual_add_nc_u32 v1, s22, v19 :: v_dual_add_nc_u32 v2, s42, v19
	s_delay_alu instid0(VALU_DEP_1) | instskip(NEXT) | instid1(VALU_DEP_2)
	v_mul_lo_u32 v1, v1, s21
	v_mul_lo_u32 v2, v2, s23
	s_delay_alu instid0(VALU_DEP_1) | instskip(NEXT) | instid1(VALU_DEP_1)
	v_sub_nc_u32_e32 v1, v1, v2
	v_cmp_lt_u32_e64 s5, s43, v1
	s_and_b32 s47, s5, exec_lo
.LBB532_13:
	s_or_b32 exec_lo, exec_lo, s6
	v_dual_add_nc_u32 v1, s17, v16 :: v_dual_add_nc_u32 v2, s19, v16
	s_mov_b32 s49, 0
	s_mov_b32 s48, 0
	s_mov_b32 s7, exec_lo
	s_delay_alu instid0(VALU_DEP_1) | instskip(SKIP_1) | instid1(VALU_DEP_1)
	v_mul_lo_u32 v1, v1, s16
	v_mul_lo_u32 v2, v2, s18
	v_sub_nc_u32_e32 v1, v1, v2
	s_delay_alu instid0(VALU_DEP_1)
	v_cmp_lt_u32_e64 s5, s20, v1
	;; [unrolled: 44-line block ×6, first 2 shown]
	v_cmpx_ge_u32_e64 s20, v1
	s_cbranch_execz .LBB532_31
; %bb.30:
	v_dual_add_nc_u32 v1, s22, v28 :: v_dual_add_nc_u32 v2, s42, v28
	s_delay_alu instid0(VALU_DEP_1) | instskip(NEXT) | instid1(VALU_DEP_2)
	v_mul_lo_u32 v1, v1, s21
	v_mul_lo_u32 v2, v2, s23
	s_delay_alu instid0(VALU_DEP_1) | instskip(NEXT) | instid1(VALU_DEP_1)
	v_sub_nc_u32_e32 v1, v1, v2
	v_cmp_lt_u32_e64 s14, s43, v1
	s_and_b32 s57, s14, exec_lo
.LBB532_31:
	s_or_b32 exec_lo, exec_lo, s58
	v_cndmask_b32_e64 v2, 0, 1, s2
	v_cndmask_b32_e64 v4, 0, 1, s4
	v_cndmask_b32_e64 v1, 0, 1, vcc_lo
	v_cndmask_b32_e64 v3, 0, 1, s3
	v_cndmask_b32_e64 v6, 0, 1, s6
	v_lshlrev_b16 v2, 8, v2
	v_lshlrev_b16 v4, 8, v4
	v_cndmask_b32_e64 v8, 0, 1, s8
	v_cndmask_b32_e64 v22, 0, 1, s10
	;; [unrolled: 1-line block ×3, first 2 shown]
	v_or_b32_e32 v1, v1, v2
	v_or_b32_e32 v2, v3, v4
	v_cndmask_b32_e64 v4, 0, 1, s46
	v_cndmask_b32_e64 v5, 0, 1, s5
	;; [unrolled: 1-line block ×4, first 2 shown]
	v_lshlrev_b32_e32 v2, 16, v2
	v_and_b32_e32 v1, 0xffff, v1
	v_cndmask_b32_e64 v33, 0, 1, s50
	v_cndmask_b32_e64 v36, 0, 1, s48
	;; [unrolled: 1-line block ×4, first 2 shown]
	v_or_b32_e32 v31, v1, v2
	v_lshlrev_b16 v1, 8, v6
	v_lshlrev_b16 v2, 8, v8
	;; [unrolled: 1-line block ×5, first 2 shown]
	v_cndmask_b32_e64 v7, 0, 1, s7
	v_cndmask_b32_e64 v24, 0, 1, s56
	;; [unrolled: 1-line block ×6, first 2 shown]
	v_lshlrev_b16 v22, 8, v39
	v_or_b32_e32 v4, v37, v4
	v_or_b32_e32 v1, v5, v1
	;; [unrolled: 1-line block ×4, first 2 shown]
	v_lshlrev_b16 v8, 8, v36
	v_lshlrev_b16 v9, 8, v33
	v_cndmask_b32_e64 v26, 0, 1, s54
	v_cndmask_b32_e64 v32, 0, 1, s51
	v_lshlrev_b16 v23, 8, v24
	v_or_b32_e32 v3, v3, v8
	v_or_b32_e32 v8, v35, v9
	;; [unrolled: 1-line block ×4, first 2 shown]
	v_lshlrev_b16 v22, 8, v27
	v_and_b32_e32 v5, 0xffff, v5
	v_lshlrev_b32_e32 v4, 16, v4
	v_and_b32_e32 v1, 0xffff, v1
	v_and_b32_e32 v7, 0xffff, v7
	v_or_b32_e32 v9, v32, v22
	v_or_b32_e32 v22, v26, v23
	v_and_b32_e32 v3, 0xffff, v3
	v_dual_lshlrev_b32 v8, 16, v8 :: v_dual_lshlrev_b32 v2, 16, v2
	s_delay_alu instid0(VALU_DEP_4) | instskip(NEXT) | instid1(VALU_DEP_4)
	v_and_b32_e32 v9, 0xffff, v9
	v_lshlrev_b32_e32 v22, 16, v22
	v_lshlrev_b32_e32 v6, 16, v6
	v_cndmask_b32_e64 v34, 0, 1, s55
	v_cndmask_b32_e64 v38, 0, 1, s57
	v_or_b32_e32 v33, v1, v2
	v_or_b32_e32 v37, v7, v4
	;; [unrolled: 1-line block ×5, first 2 shown]
	s_load_b64 s[4:5], s[0:1], 0x78
	s_and_b32 vcc_lo, exec_lo, s52
	s_add_co_i32 s6, s41, 0xd00
	s_cbranch_vccnz .LBB532_33
	s_branch .LBB532_110
.LBB532_32:
                                        ; implicit-def: $vgpr38
                                        ; implicit-def: $vgpr34
                                        ; implicit-def: $vgpr35
                                        ; implicit-def: $vgpr32
                                        ; implicit-def: $vgpr37
                                        ; implicit-def: $vgpr36
                                        ; implicit-def: $vgpr33
                                        ; implicit-def: $vgpr31
	s_load_b64 s[4:5], s[0:1], 0x78
	s_add_co_i32 s6, s41, 0xd00
	s_cbranch_execz .LBB532_110
.LBB532_33:
	v_dual_mov_b32 v2, 0 :: v_dual_mov_b32 v1, 0
	s_wait_xcnt 0x0
	s_mov_b32 s1, exec_lo
	v_cmpx_gt_u32_e64 s6, v30
	s_cbranch_execz .LBB532_37
; %bb.34:
	v_dual_add_nc_u32 v1, s17, v20 :: v_dual_add_nc_u32 v2, s19, v20
	s_mov_b32 s3, 0
	s_mov_b32 s2, exec_lo
	s_delay_alu instid0(VALU_DEP_1) | instskip(NEXT) | instid1(VALU_DEP_2)
	v_mul_lo_u32 v1, v1, s16
	v_mul_lo_u32 v2, v2, s18
	s_delay_alu instid0(VALU_DEP_1) | instskip(NEXT) | instid1(VALU_DEP_1)
	v_sub_nc_u32_e32 v1, v1, v2
	v_cmp_lt_u32_e32 vcc_lo, s20, v1
	v_cmpx_ge_u32_e64 s20, v1
	s_cbranch_execz .LBB532_36
; %bb.35:
	v_dual_add_nc_u32 v1, s22, v20 :: v_dual_add_nc_u32 v2, s42, v20
	s_delay_alu instid0(VALU_DEP_1) | instskip(NEXT) | instid1(VALU_DEP_2)
	v_mul_lo_u32 v1, v1, s21
	v_mul_lo_u32 v2, v2, s23
	s_delay_alu instid0(VALU_DEP_1) | instskip(NEXT) | instid1(VALU_DEP_1)
	v_sub_nc_u32_e32 v1, v1, v2
	v_cmp_lt_u32_e64 s0, s43, v1
	s_and_b32 s3, s0, exec_lo
.LBB532_36:
	s_or_b32 exec_lo, exec_lo, s2
	v_cndmask_b32_e64 v2, 0, 1, s3
	v_cndmask_b32_e64 v1, 0, 1, vcc_lo
.LBB532_37:
	s_or_b32 exec_lo, exec_lo, s1
	s_delay_alu instid0(VALU_DEP_2) | instskip(SKIP_2) | instid1(VALU_DEP_3)
	v_lshlrev_b16 v2, 8, v2
	v_add_nc_u32_e32 v3, 1, v30
	v_lshlrev_b16 v9, 8, 0
                                        ; implicit-def: $vgpr5
                                        ; implicit-def: $vgpr7
                                        ; implicit-def: $vgpr4
                                        ; implicit-def: $vgpr8
	v_and_b32_e32 v6, 0xffff, v2
	s_delay_alu instid0(VALU_DEP_3) | instskip(NEXT) | instid1(VALU_DEP_2)
	v_cmp_le_u32_e32 vcc_lo, s6, v3
                                        ; implicit-def: $vgpr3
                                        ; implicit-def: $vgpr2
	v_lshrrev_b32_e32 v22, 8, v6
	s_and_saveexec_b32 s0, vcc_lo
	s_delay_alu instid0(SALU_CYCLE_1)
	s_xor_b32 s0, exec_lo, s0
	s_cbranch_execz .LBB532_39
; %bb.38:
	s_delay_alu instid0(VALU_DEP_1) | instskip(SKIP_3) | instid1(VALU_DEP_4)
	v_lshlrev_b16 v2, 8, v22
	v_bitop3_b16 v3, 0, v9, 0xff bitop3:0xec
	v_and_b32_e32 v8, 0xff, v1
                                        ; implicit-def: $vgpr1
                                        ; implicit-def: $vgpr9
                                        ; implicit-def: $vgpr22
	v_mov_b32_e32 v5, 0
	v_bitop3_b16 v6, v6, v2, 0xff bitop3:0xec
	v_mov_b32_e32 v2, 0
	v_and_b32_e32 v4, 0xffff, v3
	v_and_b32_e32 v3, 0xffff, v3
	s_delay_alu instid0(VALU_DEP_4)
	v_and_b32_e32 v7, 0xffff, v6
                                        ; implicit-def: $vgpr6
.LBB532_39:
	s_and_not1_saveexec_b32 s1, s0
	s_cbranch_execz .LBB532_43
; %bb.40:
	v_dual_add_nc_u32 v2, s17, v21 :: v_dual_add_nc_u32 v3, s19, v21
	s_mov_b32 s2, 0
	s_mov_b32 s3, exec_lo
	s_delay_alu instid0(VALU_DEP_1) | instskip(NEXT) | instid1(VALU_DEP_2)
	v_mul_lo_u32 v2, v2, s16
	v_mul_lo_u32 v3, v3, s18
	s_delay_alu instid0(VALU_DEP_1) | instskip(NEXT) | instid1(VALU_DEP_1)
	v_sub_nc_u32_e32 v2, v2, v3
	v_cmp_lt_u32_e32 vcc_lo, s20, v2
	v_cmpx_ge_u32_e64 s20, v2
	s_cbranch_execz .LBB532_42
; %bb.41:
	v_dual_add_nc_u32 v2, s22, v21 :: v_dual_add_nc_u32 v3, s42, v21
	s_delay_alu instid0(VALU_DEP_1) | instskip(NEXT) | instid1(VALU_DEP_2)
	v_mul_lo_u32 v2, v2, s21
	v_mul_lo_u32 v3, v3, s23
	s_delay_alu instid0(VALU_DEP_1) | instskip(NEXT) | instid1(VALU_DEP_1)
	v_sub_nc_u32_e32 v2, v2, v3
	v_cmp_lt_u32_e64 s0, s43, v2
	s_and_b32 s2, s0, exec_lo
.LBB532_42:
	s_or_b32 exec_lo, exec_lo, s3
	v_cndmask_b32_e64 v2, 0, 1, vcc_lo
	v_lshlrev_b16 v3, 8, v22
	v_cndmask_b32_e64 v7, 0, 1, s2
	v_mov_b32_e32 v5, 0
	s_delay_alu instid0(VALU_DEP_4) | instskip(NEXT) | instid1(VALU_DEP_4)
	v_lshlrev_b16 v2, 8, v2
	v_bitop3_b16 v3, v6, v3, 0xff bitop3:0xec
	v_bitop3_b16 v6, 0, v9, 0xff bitop3:0xec
	s_delay_alu instid0(VALU_DEP_3) | instskip(NEXT) | instid1(VALU_DEP_3)
	v_bitop3_b16 v1, v1, v2, 0xff bitop3:0xec
	v_and_b32_e32 v3, 0xffff, v3
	v_mov_b32_e32 v2, 0
	s_delay_alu instid0(VALU_DEP_4) | instskip(NEXT) | instid1(VALU_DEP_4)
	v_and_b32_e32 v4, 0xffff, v6
	v_and_b32_e32 v8, 0xffff, v1
	s_delay_alu instid0(VALU_DEP_4)
	v_lshl_or_b32 v7, v7, 16, v3
	v_and_b32_e32 v3, 0xffff, v6
.LBB532_43:
	s_or_b32 exec_lo, exec_lo, s1
	s_delay_alu instid0(VALU_DEP_3) | instskip(NEXT) | instid1(VALU_DEP_1)
	v_dual_add_nc_u32 v1, 2, v30 :: v_dual_lshrrev_b32 v9, 8, v8
                                        ; implicit-def: $vgpr6
	v_cmp_le_u32_e32 vcc_lo, s6, v1
                                        ; implicit-def: $vgpr1
	s_and_saveexec_b32 s0, vcc_lo
	s_delay_alu instid0(SALU_CYCLE_1)
	s_xor_b32 s0, exec_lo, s0
	s_cbranch_execz .LBB532_45
; %bb.44:
	v_lshlrev_b16 v1, 8, v9
	v_and_b32_e32 v9, 0xff0000, v7
	v_perm_b32 v4, v4, v4, 0x3060504
	s_delay_alu instid0(VALU_DEP_3) | instskip(NEXT) | instid1(VALU_DEP_1)
	v_bitop3_b16 v1, v8, v1, 0xff bitop3:0xec
	v_and_b32_e32 v1, 0xffff, v1
	s_delay_alu instid0(VALU_DEP_1)
	v_and_or_b32 v6, 0xff000000, v8, v1
	v_perm_b32 v1, v7, v9, 0x3020504
                                        ; implicit-def: $vgpr9
                                        ; implicit-def: $vgpr8
                                        ; implicit-def: $vgpr7
.LBB532_45:
	s_and_not1_saveexec_b32 s1, s0
	s_cbranch_execz .LBB532_49
; %bb.46:
	v_dual_add_nc_u32 v1, s17, v18 :: v_dual_add_nc_u32 v6, s19, v18
	s_mov_b32 s2, 0
	s_mov_b32 s3, exec_lo
	s_delay_alu instid0(VALU_DEP_1) | instskip(NEXT) | instid1(VALU_DEP_2)
	v_mul_lo_u32 v1, v1, s16
	v_mul_lo_u32 v6, v6, s18
	s_delay_alu instid0(VALU_DEP_1) | instskip(NEXT) | instid1(VALU_DEP_1)
	v_sub_nc_u32_e32 v1, v1, v6
	v_cmp_lt_u32_e32 vcc_lo, s20, v1
	v_cmpx_ge_u32_e64 s20, v1
	s_cbranch_execz .LBB532_48
; %bb.47:
	v_dual_add_nc_u32 v1, s22, v18 :: v_dual_add_nc_u32 v6, s42, v18
	s_delay_alu instid0(VALU_DEP_1) | instskip(NEXT) | instid1(VALU_DEP_2)
	v_mul_lo_u32 v1, v1, s21
	v_mul_lo_u32 v6, v6, s23
	s_delay_alu instid0(VALU_DEP_1) | instskip(NEXT) | instid1(VALU_DEP_1)
	v_sub_nc_u32_e32 v1, v1, v6
	v_cmp_lt_u32_e64 s0, s43, v1
	s_and_b32 s2, s0, exec_lo
.LBB532_48:
	s_or_b32 exec_lo, exec_lo, s3
	v_dual_lshrrev_b32 v1, 24, v8 :: v_dual_lshrrev_b32 v23, 8, v7
	v_cndmask_b32_e64 v6, 0, 1, s2
	v_cndmask_b32_e64 v22, 0, 1, vcc_lo
	v_lshlrev_b16 v9, 8, v9
	s_delay_alu instid0(VALU_DEP_4)
	v_lshlrev_b16 v1, 8, v1
	v_lshrrev_b32_e32 v24, 16, v7
	v_lshlrev_b16 v6, 8, v6
	v_lshlrev_b16 v23, 8, v23
	v_bitop3_b16 v8, v8, v9, 0xff bitop3:0xec
	v_or_b32_e32 v1, v22, v1
	s_delay_alu instid0(VALU_DEP_4) | instskip(NEXT) | instid1(VALU_DEP_4)
	v_bitop3_b16 v6, v24, v6, 0xff bitop3:0xec
	v_bitop3_b16 v7, v7, v23, 0xff bitop3:0xec
	s_delay_alu instid0(VALU_DEP_4) | instskip(NEXT) | instid1(VALU_DEP_3)
	v_and_b32_e32 v8, 0xffff, v8
	v_dual_lshlrev_b32 v1, 16, v1 :: v_dual_lshlrev_b32 v9, 16, v6
	s_delay_alu instid0(VALU_DEP_3) | instskip(NEXT) | instid1(VALU_DEP_2)
	v_and_b32_e32 v7, 0xffff, v7
	v_or_b32_e32 v6, v8, v1
	s_delay_alu instid0(VALU_DEP_2)
	v_or_b32_e32 v1, v7, v9
.LBB532_49:
	s_or_b32 exec_lo, exec_lo, s1
	v_dual_add_nc_u32 v8, 3, v30 :: v_dual_lshrrev_b32 v9, 24, v5
	v_lshrrev_b32_e32 v7, 16, v5
                                        ; implicit-def: $vgpr31
	s_delay_alu instid0(VALU_DEP_2) | instskip(SKIP_2) | instid1(SALU_CYCLE_1)
	v_cmp_le_u32_e32 vcc_lo, s6, v8
	v_lshrrev_b32_e32 v8, 8, v5
                                        ; implicit-def: $vgpr5
	s_and_saveexec_b32 s0, vcc_lo
	s_xor_b32 s0, exec_lo, s0
	s_cbranch_execz .LBB532_51
; %bb.50:
	v_lshlrev_b16 v5, 8, v9
	v_lshlrev_b16 v8, 8, v8
	v_perm_b32 v4, v4, v4, 0x3060504
	v_perm_b32 v3, v3, v3, 0x3060504
                                        ; implicit-def: $vgpr9
	s_delay_alu instid0(VALU_DEP_4) | instskip(SKIP_2) | instid1(VALU_DEP_3)
	v_bitop3_b16 v5, v7, v5, 0xff bitop3:0xec
	v_and_b32_e32 v7, 0xff0000, v6
	v_and_b32_e32 v8, 0xffff, v8
	v_lshlrev_b32_e32 v5, 16, v5
	s_delay_alu instid0(VALU_DEP_3) | instskip(NEXT) | instid1(VALU_DEP_2)
	v_perm_b32 v31, v6, v7, 0x3020504
                                        ; implicit-def: $vgpr6
                                        ; implicit-def: $vgpr7
	v_or_b32_e32 v5, v8, v5
                                        ; implicit-def: $vgpr8
.LBB532_51:
	s_and_not1_saveexec_b32 s1, s0
	s_cbranch_execz .LBB532_55
; %bb.52:
	v_dual_add_nc_u32 v5, s17, v19 :: v_dual_add_nc_u32 v22, s19, v19
	s_mov_b32 s2, 0
	s_mov_b32 s3, exec_lo
	s_delay_alu instid0(VALU_DEP_1) | instskip(NEXT) | instid1(VALU_DEP_2)
	v_mul_lo_u32 v5, v5, s16
	v_mul_lo_u32 v22, v22, s18
	s_delay_alu instid0(VALU_DEP_1) | instskip(NEXT) | instid1(VALU_DEP_1)
	v_sub_nc_u32_e32 v5, v5, v22
	v_cmp_lt_u32_e32 vcc_lo, s20, v5
	v_cmpx_ge_u32_e64 s20, v5
	s_cbranch_execz .LBB532_54
; %bb.53:
	v_dual_add_nc_u32 v5, s22, v19 :: v_dual_add_nc_u32 v22, s42, v19
	s_delay_alu instid0(VALU_DEP_1) | instskip(NEXT) | instid1(VALU_DEP_2)
	v_mul_lo_u32 v5, v5, s21
	v_mul_lo_u32 v22, v22, s23
	s_delay_alu instid0(VALU_DEP_1) | instskip(NEXT) | instid1(VALU_DEP_1)
	v_sub_nc_u32_e32 v5, v5, v22
	v_cmp_lt_u32_e64 s0, s43, v5
	s_and_b32 s2, s0, exec_lo
.LBB532_54:
	s_or_b32 exec_lo, exec_lo, s3
	v_cndmask_b32_e64 v5, 0, 1, vcc_lo
	v_dual_lshrrev_b32 v22, 8, v6 :: v_dual_lshrrev_b32 v24, 16, v6
	v_cndmask_b32_e64 v23, 0, 1, s2
	v_lshlrev_b16 v9, 8, v9
	s_delay_alu instid0(VALU_DEP_4) | instskip(NEXT) | instid1(VALU_DEP_4)
	v_lshlrev_b16 v5, 8, v5
	v_lshlrev_b16 v22, 8, v22
	;; [unrolled: 1-line block ×3, first 2 shown]
	s_delay_alu instid0(VALU_DEP_4) | instskip(NEXT) | instid1(VALU_DEP_4)
	v_bitop3_b16 v7, v7, v9, 0xff bitop3:0xec
	v_bitop3_b16 v5, v24, v5, 0xff bitop3:0xec
	s_delay_alu instid0(VALU_DEP_4) | instskip(NEXT) | instid1(VALU_DEP_3)
	v_bitop3_b16 v6, v6, v22, 0xff bitop3:0xec
	v_dual_lshlrev_b32 v7, 16, v7 :: v_dual_bitop2_b32 v8, v23, v8 bitop3:0x54
	s_delay_alu instid0(VALU_DEP_3) | instskip(NEXT) | instid1(VALU_DEP_3)
	v_lshlrev_b32_e32 v5, 16, v5
	v_and_b32_e32 v6, 0xffff, v6
	s_delay_alu instid0(VALU_DEP_3) | instskip(NEXT) | instid1(VALU_DEP_2)
	v_and_b32_e32 v8, 0xffff, v8
	v_or_b32_e32 v31, v6, v5
	s_delay_alu instid0(VALU_DEP_2)
	v_or_b32_e32 v5, v8, v7
.LBB532_55:
	s_or_b32 exec_lo, exec_lo, s1
	v_dual_add_nc_u32 v6, 4, v30 :: v_dual_lshrrev_b32 v22, 8, v4
	v_dual_lshrrev_b32 v7, 16, v4 :: v_dual_lshrrev_b32 v23, 24, v4
	s_delay_alu instid0(VALU_DEP_3) | instskip(NEXT) | instid1(VALU_DEP_3)
	v_dual_lshrrev_b32 v9, 24, v5 :: v_dual_lshrrev_b32 v8, 16, v5
	v_cmp_le_u32_e32 vcc_lo, s6, v6
                                        ; implicit-def: $vgpr4
                                        ; implicit-def: $vgpr6
	s_and_saveexec_b32 s0, vcc_lo
	s_delay_alu instid0(SALU_CYCLE_1)
	s_xor_b32 s0, exec_lo, s0
	s_cbranch_execz .LBB532_57
; %bb.56:
	v_lshlrev_b16 v4, 8, v23
	v_lshlrev_b16 v6, 8, v22
	;; [unrolled: 1-line block ×3, first 2 shown]
	v_perm_b32 v3, v3, v3, 0x3060504
                                        ; implicit-def: $vgpr22
                                        ; implicit-def: $vgpr23
	s_delay_alu instid0(VALU_DEP_4) | instskip(NEXT) | instid1(VALU_DEP_4)
	v_bitop3_b16 v4, v7, v4, 0xff bitop3:0xec
	v_and_b32_e32 v6, 0xffff, v6
	s_delay_alu instid0(VALU_DEP_4) | instskip(NEXT) | instid1(VALU_DEP_3)
	v_bitop3_b16 v7, v8, v9, 0xff bitop3:0xec
                                        ; implicit-def: $vgpr9
	v_lshlrev_b32_e32 v8, 16, v4
	s_delay_alu instid0(VALU_DEP_2) | instskip(NEXT) | instid1(VALU_DEP_2)
	v_perm_b32 v4, v7, v5, 0x5040c00
                                        ; implicit-def: $vgpr5
                                        ; implicit-def: $vgpr7
	v_or_b32_e32 v6, v6, v8
                                        ; implicit-def: $vgpr8
.LBB532_57:
	s_and_not1_saveexec_b32 s1, s0
	s_cbranch_execz .LBB532_61
; %bb.58:
	v_dual_add_nc_u32 v4, s17, v16 :: v_dual_add_nc_u32 v6, s19, v16
	s_mov_b32 s2, 0
	s_mov_b32 s3, exec_lo
	s_delay_alu instid0(VALU_DEP_1) | instskip(NEXT) | instid1(VALU_DEP_2)
	v_mul_lo_u32 v4, v4, s16
	v_mul_lo_u32 v6, v6, s18
	s_delay_alu instid0(VALU_DEP_1) | instskip(NEXT) | instid1(VALU_DEP_1)
	v_sub_nc_u32_e32 v4, v4, v6
	v_cmp_lt_u32_e32 vcc_lo, s20, v4
	v_cmpx_ge_u32_e64 s20, v4
	s_cbranch_execz .LBB532_60
; %bb.59:
	v_dual_add_nc_u32 v4, s22, v16 :: v_dual_add_nc_u32 v6, s42, v16
	s_delay_alu instid0(VALU_DEP_1) | instskip(NEXT) | instid1(VALU_DEP_2)
	v_mul_lo_u32 v4, v4, s21
	v_mul_lo_u32 v6, v6, s23
	s_delay_alu instid0(VALU_DEP_1) | instskip(NEXT) | instid1(VALU_DEP_1)
	v_sub_nc_u32_e32 v4, v4, v6
	v_cmp_lt_u32_e64 s0, s43, v4
	s_and_b32 s2, s0, exec_lo
.LBB532_60:
	s_or_b32 exec_lo, exec_lo, s3
	v_cndmask_b32_e64 v4, 0, 1, s2
	v_cndmask_b32_e64 v6, 0, 1, vcc_lo
	v_lshlrev_b16 v23, 8, v23
	v_lshlrev_b16 v22, 8, v22
	;; [unrolled: 1-line block ×4, first 2 shown]
	s_delay_alu instid0(VALU_DEP_4) | instskip(NEXT) | instid1(VALU_DEP_4)
	v_bitop3_b16 v7, v7, v23, 0xff bitop3:0xec
	v_or_b32_e32 v6, v6, v22
	s_delay_alu instid0(VALU_DEP_4) | instskip(NEXT) | instid1(VALU_DEP_4)
	v_bitop3_b16 v8, v8, v9, 0xff bitop3:0xec
	v_bitop3_b16 v4, v5, v4, 0xff bitop3:0xec
	s_delay_alu instid0(VALU_DEP_4) | instskip(NEXT) | instid1(VALU_DEP_4)
	v_lshlrev_b32_e32 v5, 16, v7
	v_and_b32_e32 v6, 0xffff, v6
	s_delay_alu instid0(VALU_DEP_4) | instskip(NEXT) | instid1(VALU_DEP_4)
	v_lshlrev_b32_e32 v7, 16, v8
	v_and_b32_e32 v4, 0xffff, v4
	s_delay_alu instid0(VALU_DEP_3) | instskip(NEXT) | instid1(VALU_DEP_2)
	v_or_b32_e32 v6, v6, v5
	v_or_b32_e32 v4, v4, v7
.LBB532_61:
	s_or_b32 exec_lo, exec_lo, s1
	s_delay_alu instid0(VALU_DEP_1) | instskip(NEXT) | instid1(VALU_DEP_2)
	v_dual_add_nc_u32 v5, 5, v30 :: v_dual_lshrrev_b32 v22, 8, v4
	v_dual_lshrrev_b32 v8, 16, v6 :: v_dual_lshrrev_b32 v9, 24, v6
                                        ; implicit-def: $vgpr7
	s_delay_alu instid0(VALU_DEP_2) | instskip(SKIP_1) | instid1(SALU_CYCLE_1)
	v_cmp_le_u32_e32 vcc_lo, s6, v5
                                        ; implicit-def: $vgpr5
	s_and_saveexec_b32 s0, vcc_lo
	s_xor_b32 s0, exec_lo, s0
	s_cbranch_execz .LBB532_63
; %bb.62:
	v_lshlrev_b16 v5, 8, v22
	v_lshlrev_b16 v7, 8, v9
	v_perm_b32 v3, v3, v3, 0x3060504
                                        ; implicit-def: $vgpr9
                                        ; implicit-def: $vgpr22
	s_delay_alu instid0(VALU_DEP_3) | instskip(NEXT) | instid1(VALU_DEP_3)
	v_bitop3_b16 v5, v4, v5, 0xff bitop3:0xec
	v_bitop3_b16 v7, v8, v7, 0xff bitop3:0xec
                                        ; implicit-def: $vgpr8
	s_delay_alu instid0(VALU_DEP_2) | instskip(NEXT) | instid1(VALU_DEP_2)
	v_and_b32_e32 v5, 0xffff, v5
	v_perm_b32 v7, v7, v6, 0x5040c00
                                        ; implicit-def: $vgpr6
	s_delay_alu instid0(VALU_DEP_2)
	v_and_or_b32 v5, 0xff000000, v4, v5
                                        ; implicit-def: $vgpr4
.LBB532_63:
	s_and_not1_saveexec_b32 s1, s0
	s_cbranch_execz .LBB532_67
; %bb.64:
	v_dual_add_nc_u32 v5, s17, v17 :: v_dual_add_nc_u32 v7, s19, v17
	s_mov_b32 s2, 0
	s_mov_b32 s3, exec_lo
	s_delay_alu instid0(VALU_DEP_1) | instskip(NEXT) | instid1(VALU_DEP_2)
	v_mul_lo_u32 v5, v5, s16
	v_mul_lo_u32 v7, v7, s18
	s_delay_alu instid0(VALU_DEP_1) | instskip(NEXT) | instid1(VALU_DEP_1)
	v_sub_nc_u32_e32 v5, v5, v7
	v_cmp_lt_u32_e32 vcc_lo, s20, v5
	v_cmpx_ge_u32_e64 s20, v5
	s_cbranch_execz .LBB532_66
; %bb.65:
	v_dual_add_nc_u32 v5, s22, v17 :: v_dual_add_nc_u32 v7, s42, v17
	s_delay_alu instid0(VALU_DEP_1) | instskip(NEXT) | instid1(VALU_DEP_2)
	v_mul_lo_u32 v5, v5, s21
	v_mul_lo_u32 v7, v7, s23
	s_delay_alu instid0(VALU_DEP_1) | instskip(NEXT) | instid1(VALU_DEP_1)
	v_sub_nc_u32_e32 v5, v5, v7
	v_cmp_lt_u32_e64 s0, s43, v5
	s_and_b32 s2, s0, exec_lo
.LBB532_66:
	s_or_b32 exec_lo, exec_lo, s3
	v_cndmask_b32_e64 v5, 0, 1, vcc_lo
	v_lshrrev_b32_e32 v7, 24, v4
	v_cndmask_b32_e64 v23, 0, 1, s2
	v_lshlrev_b16 v9, 8, v9
	v_lshlrev_b16 v22, 8, v22
	;; [unrolled: 1-line block ×4, first 2 shown]
	s_delay_alu instid0(VALU_DEP_4) | instskip(NEXT) | instid1(VALU_DEP_4)
	v_bitop3_b16 v8, v8, v9, 0xff bitop3:0xec
	v_bitop3_b16 v4, v4, v22, 0xff bitop3:0xec
	s_delay_alu instid0(VALU_DEP_4) | instskip(NEXT) | instid1(VALU_DEP_3)
	v_bitop3_b16 v5, v6, v5, 0xff bitop3:0xec
	v_dual_lshlrev_b32 v7, 16, v8 :: v_dual_bitop2_b32 v6, v23, v7 bitop3:0x54
	s_delay_alu instid0(VALU_DEP_3) | instskip(NEXT) | instid1(VALU_DEP_3)
	v_and_b32_e32 v4, 0xffff, v4
	v_and_b32_e32 v5, 0xffff, v5
	s_delay_alu instid0(VALU_DEP_1) | instskip(NEXT) | instid1(VALU_DEP_1)
	v_dual_lshlrev_b32 v6, 16, v6 :: v_dual_bitop2_b32 v7, v5, v7 bitop3:0x54
	v_or_b32_e32 v5, v4, v6
.LBB532_67:
	s_or_b32 exec_lo, exec_lo, s1
	s_delay_alu instid0(VALU_DEP_2) | instskip(NEXT) | instid1(VALU_DEP_1)
	v_dual_add_nc_u32 v4, 6, v30 :: v_dual_lshrrev_b32 v6, 8, v7
                                        ; implicit-def: $vgpr32
	v_cmp_le_u32_e32 vcc_lo, s6, v4
                                        ; implicit-def: $vgpr4
	s_and_saveexec_b32 s0, vcc_lo
	s_delay_alu instid0(SALU_CYCLE_1)
	s_xor_b32 s0, exec_lo, s0
	s_cbranch_execz .LBB532_69
; %bb.68:
	v_lshlrev_b16 v4, 8, v6
	v_and_b32_e32 v6, 0xff0000, v5
	v_perm_b32 v3, v3, v3, 0x3060504
	s_delay_alu instid0(VALU_DEP_3) | instskip(NEXT) | instid1(VALU_DEP_3)
	v_bitop3_b16 v4, v7, v4, 0xff bitop3:0xec
	v_perm_b32 v32, v5, v6, 0x3020504
                                        ; implicit-def: $vgpr6
                                        ; implicit-def: $vgpr5
	s_delay_alu instid0(VALU_DEP_2) | instskip(NEXT) | instid1(VALU_DEP_1)
	v_and_b32_e32 v4, 0xffff, v4
	v_and_or_b32 v4, 0xff000000, v7, v4
                                        ; implicit-def: $vgpr7
.LBB532_69:
	s_and_not1_saveexec_b32 s1, s0
	s_cbranch_execz .LBB532_73
; %bb.70:
	v_dual_add_nc_u32 v4, s17, v14 :: v_dual_add_nc_u32 v8, s19, v14
	s_mov_b32 s2, 0
	s_mov_b32 s3, exec_lo
	s_delay_alu instid0(VALU_DEP_1) | instskip(NEXT) | instid1(VALU_DEP_2)
	v_mul_lo_u32 v4, v4, s16
	v_mul_lo_u32 v8, v8, s18
	s_delay_alu instid0(VALU_DEP_1) | instskip(NEXT) | instid1(VALU_DEP_1)
	v_sub_nc_u32_e32 v4, v4, v8
	v_cmp_lt_u32_e32 vcc_lo, s20, v4
	v_cmpx_ge_u32_e64 s20, v4
	s_cbranch_execz .LBB532_72
; %bb.71:
	v_dual_add_nc_u32 v4, s22, v14 :: v_dual_add_nc_u32 v8, s42, v14
	s_delay_alu instid0(VALU_DEP_1) | instskip(NEXT) | instid1(VALU_DEP_2)
	v_mul_lo_u32 v4, v4, s21
	v_mul_lo_u32 v8, v8, s23
	s_delay_alu instid0(VALU_DEP_1) | instskip(NEXT) | instid1(VALU_DEP_1)
	v_sub_nc_u32_e32 v4, v4, v8
	v_cmp_lt_u32_e64 s0, s43, v4
	s_and_b32 s2, s0, exec_lo
.LBB532_72:
	s_or_b32 exec_lo, exec_lo, s3
	v_dual_lshrrev_b32 v4, 24, v7 :: v_dual_lshrrev_b32 v22, 8, v5
	v_cndmask_b32_e64 v8, 0, 1, s2
	v_cndmask_b32_e64 v9, 0, 1, vcc_lo
	v_lshlrev_b16 v6, 8, v6
	s_delay_alu instid0(VALU_DEP_4)
	v_lshlrev_b16 v4, 8, v4
	v_lshrrev_b32_e32 v23, 16, v5
	v_lshlrev_b16 v8, 8, v8
	v_lshlrev_b16 v22, 8, v22
	v_bitop3_b16 v6, v7, v6, 0xff bitop3:0xec
	v_or_b32_e32 v4, v9, v4
	s_delay_alu instid0(VALU_DEP_4) | instskip(NEXT) | instid1(VALU_DEP_4)
	v_bitop3_b16 v7, v23, v8, 0xff bitop3:0xec
	v_bitop3_b16 v5, v5, v22, 0xff bitop3:0xec
	s_delay_alu instid0(VALU_DEP_4) | instskip(NEXT) | instid1(VALU_DEP_3)
	v_and_b32_e32 v6, 0xffff, v6
	v_dual_lshlrev_b32 v4, 16, v4 :: v_dual_lshlrev_b32 v7, 16, v7
	s_delay_alu instid0(VALU_DEP_3) | instskip(NEXT) | instid1(VALU_DEP_2)
	v_and_b32_e32 v5, 0xffff, v5
	v_or_b32_e32 v4, v6, v4
	s_delay_alu instid0(VALU_DEP_2)
	v_or_b32_e32 v32, v5, v7
.LBB532_73:
	s_or_b32 exec_lo, exec_lo, s1
	v_dual_add_nc_u32 v7, 7, v30 :: v_dual_lshrrev_b32 v5, 8, v3
	v_lshrrev_b32_e32 v6, 16, v3
                                        ; implicit-def: $vgpr33
	s_delay_alu instid0(VALU_DEP_2) | instskip(SKIP_2) | instid1(SALU_CYCLE_1)
	v_cmp_le_u32_e32 vcc_lo, s6, v7
	v_lshrrev_b32_e32 v7, 24, v3
                                        ; implicit-def: $vgpr3
	s_and_saveexec_b32 s0, vcc_lo
	s_xor_b32 s0, exec_lo, s0
	s_cbranch_execz .LBB532_75
; %bb.74:
	s_delay_alu instid0(VALU_DEP_1) | instskip(SKIP_1) | instid1(VALU_DEP_2)
	v_lshlrev_b16 v3, 8, v7
	v_lshlrev_b16 v5, 8, v5
                                        ; implicit-def: $vgpr7
	v_bitop3_b16 v3, v6, v3, 0xff bitop3:0xec
	v_and_b32_e32 v6, 0xff0000, v4
	s_delay_alu instid0(VALU_DEP_3) | instskip(NEXT) | instid1(VALU_DEP_3)
	v_and_b32_e32 v5, 0xffff, v5
	v_lshlrev_b32_e32 v3, 16, v3
	s_delay_alu instid0(VALU_DEP_3) | instskip(NEXT) | instid1(VALU_DEP_2)
	v_perm_b32 v33, v4, v6, 0x3020504
                                        ; implicit-def: $vgpr4
                                        ; implicit-def: $vgpr6
	v_or_b32_e32 v3, v5, v3
                                        ; implicit-def: $vgpr5
.LBB532_75:
	s_and_not1_saveexec_b32 s1, s0
	s_cbranch_execz .LBB532_79
; %bb.76:
	v_dual_add_nc_u32 v3, s17, v15 :: v_dual_add_nc_u32 v8, s19, v15
	s_mov_b32 s2, 0
	s_mov_b32 s3, exec_lo
	s_delay_alu instid0(VALU_DEP_1) | instskip(NEXT) | instid1(VALU_DEP_2)
	v_mul_lo_u32 v3, v3, s16
	v_mul_lo_u32 v8, v8, s18
	s_delay_alu instid0(VALU_DEP_1) | instskip(NEXT) | instid1(VALU_DEP_1)
	v_sub_nc_u32_e32 v3, v3, v8
	v_cmp_lt_u32_e32 vcc_lo, s20, v3
	v_cmpx_ge_u32_e64 s20, v3
	s_cbranch_execz .LBB532_78
; %bb.77:
	v_dual_add_nc_u32 v3, s22, v15 :: v_dual_add_nc_u32 v8, s42, v15
	s_delay_alu instid0(VALU_DEP_1) | instskip(NEXT) | instid1(VALU_DEP_2)
	v_mul_lo_u32 v3, v3, s21
	v_mul_lo_u32 v8, v8, s23
	s_delay_alu instid0(VALU_DEP_1) | instskip(NEXT) | instid1(VALU_DEP_1)
	v_sub_nc_u32_e32 v3, v3, v8
	v_cmp_lt_u32_e64 s0, s43, v3
	s_and_b32 s2, s0, exec_lo
.LBB532_78:
	s_or_b32 exec_lo, exec_lo, s3
	v_cndmask_b32_e64 v3, 0, 1, vcc_lo
	v_dual_lshrrev_b32 v8, 8, v4 :: v_dual_lshrrev_b32 v22, 16, v4
	v_cndmask_b32_e64 v9, 0, 1, s2
	v_lshlrev_b16 v7, 8, v7
	s_delay_alu instid0(VALU_DEP_4) | instskip(NEXT) | instid1(VALU_DEP_4)
	v_lshlrev_b16 v3, 8, v3
	v_lshlrev_b16 v8, 8, v8
	;; [unrolled: 1-line block ×3, first 2 shown]
	s_delay_alu instid0(VALU_DEP_4) | instskip(NEXT) | instid1(VALU_DEP_4)
	v_bitop3_b16 v6, v6, v7, 0xff bitop3:0xec
	v_bitop3_b16 v3, v22, v3, 0xff bitop3:0xec
	s_delay_alu instid0(VALU_DEP_4) | instskip(NEXT) | instid1(VALU_DEP_3)
	v_bitop3_b16 v4, v4, v8, 0xff bitop3:0xec
	v_dual_lshlrev_b32 v6, 16, v6 :: v_dual_bitop2_b32 v5, v9, v5 bitop3:0x54
	s_delay_alu instid0(VALU_DEP_3) | instskip(NEXT) | instid1(VALU_DEP_3)
	v_lshlrev_b32_e32 v3, 16, v3
	v_and_b32_e32 v4, 0xffff, v4
	s_delay_alu instid0(VALU_DEP_3) | instskip(NEXT) | instid1(VALU_DEP_2)
	v_and_b32_e32 v5, 0xffff, v5
	v_or_b32_e32 v33, v4, v3
	s_delay_alu instid0(VALU_DEP_2)
	v_or_b32_e32 v3, v5, v6
.LBB532_79:
	s_or_b32 exec_lo, exec_lo, s1
	s_delay_alu instid0(VALU_DEP_1) | instskip(SKIP_2) | instid1(VALU_DEP_3)
	v_dual_add_nc_u32 v4, 8, v30 :: v_dual_lshrrev_b32 v5, 16, v3
	v_dual_lshrrev_b32 v6, 24, v3 :: v_dual_lshrrev_b32 v9, 24, v2
	v_dual_lshrrev_b32 v7, 16, v2 :: v_dual_lshrrev_b32 v8, 8, v2
	v_cmp_le_u32_e32 vcc_lo, s6, v4
                                        ; implicit-def: $vgpr2
                                        ; implicit-def: $vgpr4
	s_and_saveexec_b32 s0, vcc_lo
	s_delay_alu instid0(SALU_CYCLE_1)
	s_xor_b32 s0, exec_lo, s0
	s_cbranch_execz .LBB532_81
; %bb.80:
	v_lshlrev_b16 v2, 8, v9
	v_lshlrev_b16 v4, 8, v8
	;; [unrolled: 1-line block ×3, first 2 shown]
	v_perm_b32 v1, v1, v1, 0x3060504
                                        ; implicit-def: $vgpr9
                                        ; implicit-def: $vgpr8
	s_delay_alu instid0(VALU_DEP_4) | instskip(NEXT) | instid1(VALU_DEP_4)
	v_bitop3_b16 v2, v7, v2, 0xff bitop3:0xec
	v_and_b32_e32 v4, 0xffff, v4
	s_delay_alu instid0(VALU_DEP_4) | instskip(NEXT) | instid1(VALU_DEP_3)
	v_bitop3_b16 v5, v5, v6, 0xff bitop3:0xec
                                        ; implicit-def: $vgpr6
                                        ; implicit-def: $vgpr7
	v_lshlrev_b32_e32 v2, 16, v2
	s_delay_alu instid0(VALU_DEP_1) | instskip(NEXT) | instid1(VALU_DEP_3)
	v_or_b32_e32 v4, v4, v2
	v_perm_b32 v2, v5, v3, 0x5040c00
                                        ; implicit-def: $vgpr3
                                        ; implicit-def: $vgpr5
.LBB532_81:
	s_and_not1_saveexec_b32 s1, s0
	s_cbranch_execz .LBB532_85
; %bb.82:
	v_dual_add_nc_u32 v2, s17, v12 :: v_dual_add_nc_u32 v4, s19, v12
	s_mov_b32 s2, 0
	s_mov_b32 s3, exec_lo
	s_delay_alu instid0(VALU_DEP_1) | instskip(NEXT) | instid1(VALU_DEP_2)
	v_mul_lo_u32 v2, v2, s16
	v_mul_lo_u32 v4, v4, s18
	s_delay_alu instid0(VALU_DEP_1) | instskip(NEXT) | instid1(VALU_DEP_1)
	v_sub_nc_u32_e32 v2, v2, v4
	v_cmp_lt_u32_e32 vcc_lo, s20, v2
	v_cmpx_ge_u32_e64 s20, v2
	s_cbranch_execz .LBB532_84
; %bb.83:
	v_dual_add_nc_u32 v2, s22, v12 :: v_dual_add_nc_u32 v4, s42, v12
	s_delay_alu instid0(VALU_DEP_1) | instskip(NEXT) | instid1(VALU_DEP_2)
	v_mul_lo_u32 v2, v2, s21
	v_mul_lo_u32 v4, v4, s23
	s_delay_alu instid0(VALU_DEP_1) | instskip(NEXT) | instid1(VALU_DEP_1)
	v_sub_nc_u32_e32 v2, v2, v4
	v_cmp_lt_u32_e64 s0, s43, v2
	s_and_b32 s2, s0, exec_lo
.LBB532_84:
	s_or_b32 exec_lo, exec_lo, s3
	v_cndmask_b32_e64 v2, 0, 1, s2
	v_cndmask_b32_e64 v4, 0, 1, vcc_lo
	v_lshlrev_b16 v9, 8, v9
	v_lshlrev_b16 v8, 8, v8
	;; [unrolled: 1-line block ×4, first 2 shown]
	s_delay_alu instid0(VALU_DEP_4) | instskip(NEXT) | instid1(VALU_DEP_4)
	v_bitop3_b16 v7, v7, v9, 0xff bitop3:0xec
	v_or_b32_e32 v4, v4, v8
	s_delay_alu instid0(VALU_DEP_4) | instskip(NEXT) | instid1(VALU_DEP_4)
	v_bitop3_b16 v5, v5, v6, 0xff bitop3:0xec
	v_bitop3_b16 v2, v3, v2, 0xff bitop3:0xec
	s_delay_alu instid0(VALU_DEP_4) | instskip(NEXT) | instid1(VALU_DEP_4)
	v_lshlrev_b32_e32 v3, 16, v7
	v_and_b32_e32 v4, 0xffff, v4
	s_delay_alu instid0(VALU_DEP_4) | instskip(NEXT) | instid1(VALU_DEP_4)
	v_lshlrev_b32_e32 v5, 16, v5
	v_and_b32_e32 v2, 0xffff, v2
	s_delay_alu instid0(VALU_DEP_3) | instskip(NEXT) | instid1(VALU_DEP_2)
	v_or_b32_e32 v4, v4, v3
	v_or_b32_e32 v2, v2, v5
.LBB532_85:
	s_or_b32 exec_lo, exec_lo, s1
	s_delay_alu instid0(VALU_DEP_2) | instskip(NEXT) | instid1(VALU_DEP_2)
	v_dual_add_nc_u32 v3, 9, v30 :: v_dual_lshrrev_b32 v8, 24, v4
	v_dual_lshrrev_b32 v7, 8, v2 :: v_dual_lshrrev_b32 v6, 16, v4
                                        ; implicit-def: $vgpr5
	s_delay_alu instid0(VALU_DEP_2) | instskip(SKIP_1) | instid1(SALU_CYCLE_1)
	v_cmp_le_u32_e32 vcc_lo, s6, v3
                                        ; implicit-def: $vgpr3
	s_and_saveexec_b32 s0, vcc_lo
	s_xor_b32 s0, exec_lo, s0
	s_cbranch_execz .LBB532_87
; %bb.86:
	v_lshlrev_b16 v3, 8, v7
	v_lshlrev_b16 v5, 8, v8
	v_perm_b32 v1, v1, v1, 0x3060504
                                        ; implicit-def: $vgpr7
                                        ; implicit-def: $vgpr8
	s_delay_alu instid0(VALU_DEP_3) | instskip(NEXT) | instid1(VALU_DEP_3)
	v_bitop3_b16 v3, v2, v3, 0xff bitop3:0xec
	v_bitop3_b16 v5, v6, v5, 0xff bitop3:0xec
                                        ; implicit-def: $vgpr6
	s_delay_alu instid0(VALU_DEP_2) | instskip(NEXT) | instid1(VALU_DEP_2)
	v_and_b32_e32 v3, 0xffff, v3
	v_perm_b32 v5, v5, v4, 0x5040c00
                                        ; implicit-def: $vgpr4
	s_delay_alu instid0(VALU_DEP_2)
	v_and_or_b32 v3, 0xff000000, v2, v3
                                        ; implicit-def: $vgpr2
.LBB532_87:
	s_and_not1_saveexec_b32 s1, s0
	s_cbranch_execz .LBB532_91
; %bb.88:
	v_dual_add_nc_u32 v3, s17, v13 :: v_dual_add_nc_u32 v5, s19, v13
	s_mov_b32 s2, 0
	s_mov_b32 s3, exec_lo
	s_delay_alu instid0(VALU_DEP_1) | instskip(NEXT) | instid1(VALU_DEP_2)
	v_mul_lo_u32 v3, v3, s16
	v_mul_lo_u32 v5, v5, s18
	s_delay_alu instid0(VALU_DEP_1) | instskip(NEXT) | instid1(VALU_DEP_1)
	v_sub_nc_u32_e32 v3, v3, v5
	v_cmp_lt_u32_e32 vcc_lo, s20, v3
	v_cmpx_ge_u32_e64 s20, v3
	s_cbranch_execz .LBB532_90
; %bb.89:
	v_dual_add_nc_u32 v3, s22, v13 :: v_dual_add_nc_u32 v5, s42, v13
	s_delay_alu instid0(VALU_DEP_1) | instskip(NEXT) | instid1(VALU_DEP_2)
	v_mul_lo_u32 v3, v3, s21
	v_mul_lo_u32 v5, v5, s23
	s_delay_alu instid0(VALU_DEP_1) | instskip(NEXT) | instid1(VALU_DEP_1)
	v_sub_nc_u32_e32 v3, v3, v5
	v_cmp_lt_u32_e64 s0, s43, v3
	s_and_b32 s2, s0, exec_lo
.LBB532_90:
	s_or_b32 exec_lo, exec_lo, s3
	v_cndmask_b32_e64 v3, 0, 1, vcc_lo
	v_lshrrev_b32_e32 v5, 24, v2
	v_cndmask_b32_e64 v9, 0, 1, s2
	v_lshlrev_b16 v8, 8, v8
	v_lshlrev_b16 v7, 8, v7
	;; [unrolled: 1-line block ×4, first 2 shown]
	s_delay_alu instid0(VALU_DEP_4) | instskip(NEXT) | instid1(VALU_DEP_4)
	v_bitop3_b16 v6, v6, v8, 0xff bitop3:0xec
	v_bitop3_b16 v2, v2, v7, 0xff bitop3:0xec
	s_delay_alu instid0(VALU_DEP_4) | instskip(NEXT) | instid1(VALU_DEP_3)
	v_bitop3_b16 v3, v4, v3, 0xff bitop3:0xec
	v_dual_lshlrev_b32 v5, 16, v6 :: v_dual_bitop2_b32 v4, v9, v5 bitop3:0x54
	s_delay_alu instid0(VALU_DEP_3) | instskip(NEXT) | instid1(VALU_DEP_3)
	v_and_b32_e32 v2, 0xffff, v2
	v_and_b32_e32 v3, 0xffff, v3
	s_delay_alu instid0(VALU_DEP_1) | instskip(NEXT) | instid1(VALU_DEP_1)
	v_dual_lshlrev_b32 v4, 16, v4 :: v_dual_bitop2_b32 v5, v3, v5 bitop3:0x54
	v_or_b32_e32 v3, v2, v4
.LBB532_91:
	s_or_b32 exec_lo, exec_lo, s1
	s_delay_alu instid0(VALU_DEP_2) | instskip(NEXT) | instid1(VALU_DEP_1)
	v_dual_add_nc_u32 v2, 10, v30 :: v_dual_lshrrev_b32 v4, 8, v5
                                        ; implicit-def: $vgpr35
	v_cmp_le_u32_e32 vcc_lo, s6, v2
                                        ; implicit-def: $vgpr2
	s_and_saveexec_b32 s0, vcc_lo
	s_delay_alu instid0(SALU_CYCLE_1)
	s_xor_b32 s0, exec_lo, s0
	s_cbranch_execz .LBB532_93
; %bb.92:
	v_lshlrev_b16 v2, 8, v4
	v_and_b32_e32 v4, 0xff0000, v3
	v_perm_b32 v1, v1, v1, 0x3060504
	s_delay_alu instid0(VALU_DEP_3) | instskip(NEXT) | instid1(VALU_DEP_3)
	v_bitop3_b16 v2, v5, v2, 0xff bitop3:0xec
	v_perm_b32 v35, v3, v4, 0x3020504
                                        ; implicit-def: $vgpr4
                                        ; implicit-def: $vgpr3
	s_delay_alu instid0(VALU_DEP_2) | instskip(NEXT) | instid1(VALU_DEP_1)
	v_and_b32_e32 v2, 0xffff, v2
	v_and_or_b32 v2, 0xff000000, v5, v2
                                        ; implicit-def: $vgpr5
.LBB532_93:
	s_and_not1_saveexec_b32 s1, s0
	s_cbranch_execz .LBB532_97
; %bb.94:
	v_dual_add_nc_u32 v2, s17, v10 :: v_dual_add_nc_u32 v6, s19, v10
	s_mov_b32 s2, 0
	s_mov_b32 s3, exec_lo
	s_delay_alu instid0(VALU_DEP_1) | instskip(NEXT) | instid1(VALU_DEP_2)
	v_mul_lo_u32 v2, v2, s16
	v_mul_lo_u32 v6, v6, s18
	s_delay_alu instid0(VALU_DEP_1) | instskip(NEXT) | instid1(VALU_DEP_1)
	v_sub_nc_u32_e32 v2, v2, v6
	v_cmp_lt_u32_e32 vcc_lo, s20, v2
	v_cmpx_ge_u32_e64 s20, v2
	s_cbranch_execz .LBB532_96
; %bb.95:
	v_dual_add_nc_u32 v2, s22, v10 :: v_dual_add_nc_u32 v6, s42, v10
	s_delay_alu instid0(VALU_DEP_1) | instskip(NEXT) | instid1(VALU_DEP_2)
	v_mul_lo_u32 v2, v2, s21
	v_mul_lo_u32 v6, v6, s23
	s_delay_alu instid0(VALU_DEP_1) | instskip(NEXT) | instid1(VALU_DEP_1)
	v_sub_nc_u32_e32 v2, v2, v6
	v_cmp_lt_u32_e64 s0, s43, v2
	s_and_b32 s2, s0, exec_lo
.LBB532_96:
	s_or_b32 exec_lo, exec_lo, s3
	v_dual_lshrrev_b32 v2, 24, v5 :: v_dual_lshrrev_b32 v8, 8, v3
	v_cndmask_b32_e64 v6, 0, 1, s2
	v_cndmask_b32_e64 v7, 0, 1, vcc_lo
	v_lshlrev_b16 v4, 8, v4
	s_delay_alu instid0(VALU_DEP_4)
	v_lshlrev_b16 v2, 8, v2
	v_lshrrev_b32_e32 v9, 16, v3
	v_lshlrev_b16 v6, 8, v6
	v_lshlrev_b16 v8, 8, v8
	v_bitop3_b16 v4, v5, v4, 0xff bitop3:0xec
	v_or_b32_e32 v2, v7, v2
	s_delay_alu instid0(VALU_DEP_4) | instskip(NEXT) | instid1(VALU_DEP_4)
	v_bitop3_b16 v5, v9, v6, 0xff bitop3:0xec
	v_bitop3_b16 v3, v3, v8, 0xff bitop3:0xec
	s_delay_alu instid0(VALU_DEP_4) | instskip(NEXT) | instid1(VALU_DEP_3)
	v_and_b32_e32 v4, 0xffff, v4
	v_dual_lshlrev_b32 v2, 16, v2 :: v_dual_lshlrev_b32 v5, 16, v5
	s_delay_alu instid0(VALU_DEP_3) | instskip(NEXT) | instid1(VALU_DEP_2)
	v_and_b32_e32 v3, 0xffff, v3
	v_or_b32_e32 v2, v4, v2
	s_delay_alu instid0(VALU_DEP_2)
	v_or_b32_e32 v35, v3, v5
.LBB532_97:
	s_or_b32 exec_lo, exec_lo, s1
	v_dual_mov_b32 v34, 0 :: v_dual_add_nc_u32 v3, 11, v30
	s_mov_b32 s0, exec_lo
                                        ; implicit-def: $vgpr36
	s_delay_alu instid0(VALU_DEP_1)
	v_cmpx_le_u32_e64 s6, v3
	s_xor_b32 s0, exec_lo, s0
; %bb.98:
	v_and_b32_e32 v3, 0xff0000, v2
	v_perm_b32 v1, v1, v1, 0x3060504
	s_delay_alu instid0(VALU_DEP_2)
	v_perm_b32 v36, v2, v3, 0x3020504
                                        ; implicit-def: $vgpr2
; %bb.99:
	s_and_not1_saveexec_b32 s1, s0
	s_cbranch_execz .LBB532_103
; %bb.100:
	v_dual_add_nc_u32 v3, s17, v11 :: v_dual_add_nc_u32 v4, s19, v11
	s_mov_b32 s2, 0
	s_mov_b32 s3, exec_lo
	s_delay_alu instid0(VALU_DEP_1) | instskip(NEXT) | instid1(VALU_DEP_2)
	v_mul_lo_u32 v3, v3, s16
	v_mul_lo_u32 v4, v4, s18
	s_delay_alu instid0(VALU_DEP_1) | instskip(NEXT) | instid1(VALU_DEP_1)
	v_sub_nc_u32_e32 v3, v3, v4
	v_cmp_lt_u32_e32 vcc_lo, s20, v3
	v_cmpx_ge_u32_e64 s20, v3
	s_cbranch_execz .LBB532_102
; %bb.101:
	v_dual_add_nc_u32 v3, s22, v11 :: v_dual_add_nc_u32 v4, s42, v11
	s_delay_alu instid0(VALU_DEP_1) | instskip(NEXT) | instid1(VALU_DEP_2)
	v_mul_lo_u32 v3, v3, s21
	v_mul_lo_u32 v4, v4, s23
	s_delay_alu instid0(VALU_DEP_1) | instskip(NEXT) | instid1(VALU_DEP_1)
	v_sub_nc_u32_e32 v3, v3, v4
	v_cmp_lt_u32_e64 s0, s43, v3
	s_and_b32 s2, s0, exec_lo
.LBB532_102:
	s_or_b32 exec_lo, exec_lo, s3
	v_cndmask_b32_e64 v3, 0, 1, vcc_lo
	v_dual_lshrrev_b32 v4, 8, v2 :: v_dual_lshrrev_b32 v5, 16, v2
	v_cndmask_b32_e64 v34, 0, 1, s2
	s_delay_alu instid0(VALU_DEP_3) | instskip(NEXT) | instid1(VALU_DEP_3)
	v_lshlrev_b16 v3, 8, v3
	v_lshlrev_b16 v4, 8, v4
	s_delay_alu instid0(VALU_DEP_2) | instskip(NEXT) | instid1(VALU_DEP_2)
	v_bitop3_b16 v3, v5, v3, 0xff bitop3:0xec
	v_bitop3_b16 v2, v2, v4, 0xff bitop3:0xec
	s_delay_alu instid0(VALU_DEP_2) | instskip(NEXT) | instid1(VALU_DEP_2)
	v_lshlrev_b32_e32 v3, 16, v3
	v_and_b32_e32 v2, 0xffff, v2
	s_delay_alu instid0(VALU_DEP_1)
	v_or_b32_e32 v36, v2, v3
.LBB532_103:
	s_or_b32 exec_lo, exec_lo, s1
	v_dual_add_nc_u32 v4, 12, v30 :: v_dual_lshrrev_b32 v2, 8, v1
	v_dual_lshrrev_b32 v3, 16, v1 :: v_dual_lshrrev_b32 v1, 24, v1
	s_mov_b32 s0, exec_lo
                                        ; implicit-def: $vgpr37
	s_delay_alu instid0(VALU_DEP_2)
	v_cmpx_le_u32_e64 s6, v4
	s_xor_b32 s0, exec_lo, s0
; %bb.104:
	s_delay_alu instid0(VALU_DEP_2) | instskip(SKIP_1) | instid1(VALU_DEP_2)
	v_lshlrev_b16 v1, 8, v1
	v_lshlrev_b16 v2, 8, v2
	v_bitop3_b16 v1, v3, v1, 0xff bitop3:0xec
	s_delay_alu instid0(VALU_DEP_2) | instskip(NEXT) | instid1(VALU_DEP_2)
	v_and_b32_e32 v2, 0xffff, v2
                                        ; implicit-def: $vgpr3
	v_lshlrev_b32_e32 v1, 16, v1
	s_delay_alu instid0(VALU_DEP_1)
	v_or_b32_e32 v37, v2, v1
                                        ; implicit-def: $vgpr1
                                        ; implicit-def: $vgpr2
; %bb.105:
	s_or_saveexec_b32 s1, s0
	v_mov_b32_e32 v38, 0
	s_xor_b32 exec_lo, exec_lo, s1
	s_cbranch_execz .LBB532_109
; %bb.106:
	v_dual_add_nc_u32 v4, s19, v28 :: v_dual_add_nc_u32 v5, s17, v28
	s_mov_b32 s2, 0
	s_mov_b32 s3, exec_lo
	s_delay_alu instid0(VALU_DEP_1) | instskip(NEXT) | instid1(VALU_DEP_2)
	v_mul_lo_u32 v4, v4, s18
	v_mul_lo_u32 v5, v5, s16
	s_delay_alu instid0(VALU_DEP_1) | instskip(NEXT) | instid1(VALU_DEP_1)
	v_sub_nc_u32_e32 v4, v5, v4
	v_cmp_lt_u32_e32 vcc_lo, s20, v4
	v_cmpx_ge_u32_e64 s20, v4
	s_cbranch_execz .LBB532_108
; %bb.107:
	v_dual_add_nc_u32 v4, s42, v28 :: v_dual_add_nc_u32 v5, s22, v28
	s_delay_alu instid0(VALU_DEP_1) | instskip(NEXT) | instid1(VALU_DEP_2)
	v_mul_lo_u32 v4, v4, s23
	v_mul_lo_u32 v5, v5, s21
	s_delay_alu instid0(VALU_DEP_1) | instskip(NEXT) | instid1(VALU_DEP_1)
	v_sub_nc_u32_e32 v4, v5, v4
	v_cmp_lt_u32_e64 s0, s43, v4
	s_and_b32 s2, s0, exec_lo
.LBB532_108:
	s_or_b32 exec_lo, exec_lo, s3
	v_cndmask_b32_e64 v4, 0, 1, vcc_lo
	v_lshlrev_b16 v1, 8, v1
	v_lshlrev_b16 v2, 8, v2
	v_cndmask_b32_e64 v38, 0, 1, s2
	s_delay_alu instid0(VALU_DEP_3) | instskip(NEXT) | instid1(VALU_DEP_1)
	v_bitop3_b16 v1, v3, v1, 0xff bitop3:0xec
	v_dual_lshlrev_b32 v1, 16, v1 :: v_dual_bitop2_b32 v2, v4, v2 bitop3:0x54
	s_delay_alu instid0(VALU_DEP_1) | instskip(NEXT) | instid1(VALU_DEP_1)
	v_and_b32_e32 v2, 0xffff, v2
	v_or_b32_e32 v37, v2, v1
.LBB532_109:
	s_or_b32 exec_lo, exec_lo, s1
.LBB532_110:
	v_and_b32_e32 v61, 0xff, v31
	s_delay_alu instid0(VALU_DEP_2)
	v_bfe_u32 v62, v37, 8, 8
	v_bfe_u32 v59, v31, 8, 8
	;; [unrolled: 1-line block ×4, first 2 shown]
	v_dual_lshrrev_b32 v44, 24, v37 :: v_dual_lshrrev_b32 v43, 24, v31
	v_and_b32_e32 v57, 0xff, v32
	v_and_b32_e32 v55, 0xff, v33
	v_bfe_u32 v56, v32, 8, 8
	v_add3_u32 v1, v59, v61, v58
	v_add3_u32 v2, v60, v62, v44
	v_bfe_u32 v53, v33, 8, 8
	v_bfe_u32 v54, v32, 16, 8
	;; [unrolled: 1-line block ×3, first 2 shown]
	v_dual_lshrrev_b32 v42, 24, v32 :: v_dual_lshrrev_b32 v41, 24, v33
	v_add3_u32 v1, v1, v43, v55
	v_add3_u32 v2, v2, v57, v56
	v_and_b32_e32 v52, 0xff, v35
	v_and_b32_e32 v48, 0xff, v36
	v_bfe_u32 v50, v35, 8, 8
	v_add3_u32 v1, v1, v53, v51
	v_add3_u32 v2, v2, v54, v42
	v_bfe_u32 v47, v36, 8, 8
	v_bfe_u32 v49, v35, 16, 8
	;; [unrolled: 1-line block ×3, first 2 shown]
	v_dual_lshrrev_b32 v40, 24, v35 :: v_dual_lshrrev_b32 v39, 24, v36
	v_add3_u32 v1, v1, v41, v48
	v_add3_u32 v2, v2, v52, v50
	v_mbcnt_lo_u32_b32 v63, -1, 0
	v_and_b32_e32 v45, 0xff, v34
	v_and_b32_e32 v3, 0xff, v37
	;; [unrolled: 1-line block ×3, first 2 shown]
	v_add3_u32 v1, v1, v47, v46
	v_add3_u32 v2, v2, v49, v40
	v_dual_lshrrev_b32 v64, 5, v0 :: v_dual_bitop2_b32 v65, 15, v63 bitop3:0x40
	v_and_b32_e32 v67, 16, v63
	s_delay_alu instid0(VALU_DEP_4) | instskip(NEXT) | instid1(VALU_DEP_4)
	v_add3_u32 v68, v1, v39, v3
	v_add3_u32 v69, v2, v45, v4
	s_wait_xcnt 0x0
	v_cmp_eq_u32_e64 s1, 0, v65
	v_cmp_lt_u32_e64 s0, 1, v65
	v_cmp_lt_u32_e64 s2, 3, v65
	v_or_b32_e32 v66, 31, v0
	s_cmp_lg_u32 s33, 0
	s_mov_b32 s3, -1
	v_cmp_lt_u32_e32 vcc_lo, 7, v65
	s_cbranch_scc0 .LBB532_131
; %bb.111:
	v_mov_b32_dpp v1, v69 row_shr:1 row_mask:0xf bank_mask:0xf
	v_mov_b32_dpp v2, v68 row_shr:1 row_mask:0xf bank_mask:0xf
	s_mov_b32 s3, exec_lo
	s_delay_alu instid0(VALU_DEP_1) | instskip(NEXT) | instid1(VALU_DEP_1)
	v_dual_add_nc_u32 v1, v1, v69 :: v_dual_add_nc_u32 v2, v2, v68
	v_dual_cndmask_b32 v1, v1, v69, s1 :: v_dual_cndmask_b32 v2, v2, v68, s1
	s_delay_alu instid0(VALU_DEP_1) | instskip(NEXT) | instid1(VALU_DEP_2)
	v_mov_b32_dpp v3, v1 row_shr:2 row_mask:0xf bank_mask:0xf
	v_mov_b32_dpp v4, v2 row_shr:2 row_mask:0xf bank_mask:0xf
	s_delay_alu instid0(VALU_DEP_1) | instskip(NEXT) | instid1(VALU_DEP_1)
	v_dual_add_nc_u32 v3, v1, v3 :: v_dual_add_nc_u32 v4, v2, v4
	v_dual_cndmask_b32 v1, v1, v3, s0 :: v_dual_cndmask_b32 v2, v2, v4, s0
	s_delay_alu instid0(VALU_DEP_1) | instskip(NEXT) | instid1(VALU_DEP_2)
	v_mov_b32_dpp v3, v1 row_shr:4 row_mask:0xf bank_mask:0xf
	v_mov_b32_dpp v4, v2 row_shr:4 row_mask:0xf bank_mask:0xf
	;; [unrolled: 6-line block ×3, first 2 shown]
	s_delay_alu instid0(VALU_DEP_1) | instskip(NEXT) | instid1(VALU_DEP_1)
	v_dual_add_nc_u32 v3, v1, v3 :: v_dual_add_nc_u32 v4, v2, v4
	v_dual_cndmask_b32 v1, v1, v3 :: v_dual_cndmask_b32 v2, v2, v4
	v_cmp_eq_u32_e32 vcc_lo, 0, v67
	ds_swizzle_b32 v3, v1 offset:swizzle(BROADCAST,32,15)
	ds_swizzle_b32 v4, v2 offset:swizzle(BROADCAST,32,15)
	s_wait_dscnt 0x0
	v_dual_add_nc_u32 v3, v1, v3 :: v_dual_add_nc_u32 v4, v2, v4
	v_cmpx_eq_u32_e64 v0, v66
; %bb.112:
	s_delay_alu instid0(VALU_DEP_2) | instskip(NEXT) | instid1(VALU_DEP_3)
	v_dual_lshlrev_b32 v5, 3, v64 :: v_dual_cndmask_b32 v7, v3, v1, vcc_lo
	v_cndmask_b32_e32 v6, v4, v2, vcc_lo
	ds_store_b64 v5, v[6:7]
; %bb.113:
	s_or_b32 exec_lo, exec_lo, s3
	s_delay_alu instid0(SALU_CYCLE_1)
	s_mov_b32 s3, exec_lo
	s_wait_dscnt 0x0
	s_barrier_signal -1
	s_barrier_wait -1
	v_cmpx_gt_u32_e32 8, v0
	s_cbranch_execz .LBB532_115
; %bb.114:
	v_dual_lshlrev_b32 v5, 3, v0 :: v_dual_bitop2_b32 v22, 7, v63 bitop3:0x40
	ds_load_b64 v[6:7], v5
	v_cmp_eq_u32_e64 s2, 0, v22
	s_wait_dscnt 0x0
	v_mov_b32_dpp v8, v6 row_shr:1 row_mask:0xf bank_mask:0xf
	v_mov_b32_dpp v9, v7 row_shr:1 row_mask:0xf bank_mask:0xf
	s_delay_alu instid0(VALU_DEP_1) | instskip(NEXT) | instid1(VALU_DEP_1)
	v_dual_add_nc_u32 v8, v8, v6 :: v_dual_add_nc_u32 v9, v9, v7
	v_dual_cndmask_b32 v6, v8, v6, s2 :: v_dual_cndmask_b32 v7, v9, v7, s2
	v_cmp_lt_u32_e64 s2, 1, v22
	s_delay_alu instid0(VALU_DEP_2) | instskip(NEXT) | instid1(VALU_DEP_3)
	v_mov_b32_dpp v8, v6 row_shr:2 row_mask:0xf bank_mask:0xf
	v_mov_b32_dpp v9, v7 row_shr:2 row_mask:0xf bank_mask:0xf
	s_delay_alu instid0(VALU_DEP_1) | instskip(NEXT) | instid1(VALU_DEP_1)
	v_dual_add_nc_u32 v8, v6, v8 :: v_dual_add_nc_u32 v9, v7, v9
	v_dual_cndmask_b32 v6, v6, v8, s2 :: v_dual_cndmask_b32 v7, v7, v9, s2
	v_cmp_lt_u32_e64 s2, 3, v22
	s_delay_alu instid0(VALU_DEP_2) | instskip(NEXT) | instid1(VALU_DEP_3)
	v_mov_b32_dpp v8, v6 row_shr:4 row_mask:0xf bank_mask:0xf
	v_mov_b32_dpp v9, v7 row_shr:4 row_mask:0xf bank_mask:0xf
	s_delay_alu instid0(VALU_DEP_1) | instskip(NEXT) | instid1(VALU_DEP_1)
	v_dual_cndmask_b32 v8, 0, v8, s2 :: v_dual_cndmask_b32 v9, 0, v9, s2
	v_dual_add_nc_u32 v6, v8, v6 :: v_dual_add_nc_u32 v7, v9, v7
	ds_store_b64 v5, v[6:7]
.LBB532_115:
	s_or_b32 exec_lo, exec_lo, s3
	v_dual_cndmask_b32 v1, v3, v1 :: v_dual_cndmask_b32 v2, v4, v2
	s_mov_b32 s3, exec_lo
	v_cmp_gt_u32_e32 vcc_lo, 32, v0
	s_wait_dscnt 0x0
	s_barrier_signal -1
	s_barrier_wait -1
                                        ; implicit-def: $vgpr22
	v_cmpx_lt_u32_e32 31, v0
	s_cbranch_execz .LBB532_117
; %bb.116:
	v_lshl_add_u32 v3, v64, 3, -8
	ds_load_b64 v[22:23], v3
	s_wait_dscnt 0x0
	v_dual_add_nc_u32 v1, v23, v1 :: v_dual_add_nc_u32 v2, v22, v2
.LBB532_117:
	s_or_b32 exec_lo, exec_lo, s3
	v_sub_co_u32 v3, s2, v63, 1
	s_delay_alu instid0(VALU_DEP_1) | instskip(NEXT) | instid1(VALU_DEP_1)
	v_cmp_gt_i32_e64 s3, 0, v3
	v_cndmask_b32_e64 v3, v3, v63, s3
	s_delay_alu instid0(VALU_DEP_1)
	v_lshlrev_b32_e32 v3, 2, v3
	ds_bpermute_b32 v70, v3, v2
	ds_bpermute_b32 v1, v3, v1
	s_and_saveexec_b32 s3, vcc_lo
	s_cbranch_execz .LBB532_136
; %bb.118:
	v_mov_b32_e32 v5, 0
	ds_load_b64 v[2:3], v5 offset:56
	s_and_saveexec_b32 s7, s2
	s_cbranch_execz .LBB532_120
; %bb.119:
	s_add_co_i32 s8, s33, 32
	s_mov_b32 s9, 0
	v_mov_b32_e32 v4, 1
	s_lshl_b64 s[8:9], s[8:9], 4
	s_wait_kmcnt 0x0
	s_add_nc_u64 s[8:9], s[4:5], s[8:9]
	s_delay_alu instid0(SALU_CYCLE_1)
	v_mov_b64_e32 v[6:7], s[8:9]
	s_wait_dscnt 0x0
	;;#ASMSTART
	global_store_b128 v[6:7], v[2:5] off scope:SCOPE_DEV	
s_wait_storecnt 0x0
	;;#ASMEND
.LBB532_120:
	s_or_b32 exec_lo, exec_lo, s7
	v_xad_u32 v24, v63, -1, s33
	s_mov_b32 s8, 0
	s_mov_b32 s7, exec_lo
	s_delay_alu instid0(VALU_DEP_1) | instskip(SKIP_1) | instid1(VALU_DEP_1)
	v_add_nc_u32_e32 v4, 32, v24
	s_wait_kmcnt 0x0
	v_lshl_add_u64 v[4:5], v[4:5], 4, s[4:5]
	;;#ASMSTART
	global_load_b128 v[6:9], v[4:5] off scope:SCOPE_DEV	
s_wait_loadcnt 0x0
	;;#ASMEND
	v_and_b32_e32 v9, 0xff, v8
	s_delay_alu instid0(VALU_DEP_1)
	v_cmpx_eq_u16_e32 0, v9
	s_cbranch_execz .LBB532_123
.LBB532_121:                            ; =>This Inner Loop Header: Depth=1
	;;#ASMSTART
	global_load_b128 v[6:9], v[4:5] off scope:SCOPE_DEV	
s_wait_loadcnt 0x0
	;;#ASMEND
	v_and_b32_e32 v9, 0xff, v8
	s_delay_alu instid0(VALU_DEP_1) | instskip(SKIP_1) | instid1(SALU_CYCLE_1)
	v_cmp_ne_u16_e32 vcc_lo, 0, v9
	s_or_b32 s8, vcc_lo, s8
	s_and_not1_b32 exec_lo, exec_lo, s8
	s_cbranch_execnz .LBB532_121
; %bb.122:
	s_or_b32 exec_lo, exec_lo, s8
.LBB532_123:
	s_delay_alu instid0(SALU_CYCLE_1)
	s_or_b32 exec_lo, exec_lo, s7
	v_cmp_ne_u32_e32 vcc_lo, 31, v63
	v_lshlrev_b32_e64 v72, v63, -1
	v_lshl_or_b32 v79, v63, 2, 64
	v_dual_add_nc_u32 v76, 4, v63 :: v_dual_add_nc_u32 v80, 16, v63
	v_add_co_ci_u32_e64 v4, null, 0, v63, vcc_lo
	s_delay_alu instid0(VALU_DEP_1)
	v_lshlrev_b32_e32 v71, 2, v4
	v_and_b32_e32 v4, 0xff, v8
	ds_bpermute_b32 v5, v71, v7
	v_cmp_eq_u16_e32 vcc_lo, 2, v4
	s_wait_dscnt 0x0
	v_add_nc_u32_e32 v5, v5, v7
	ds_bpermute_b32 v4, v71, v6
	v_and_b32_e32 v9, vcc_lo, v72
	v_cmp_gt_u32_e32 vcc_lo, 30, v63
	v_cndmask_b32_e64 v25, 0, 2, vcc_lo
	s_delay_alu instid0(VALU_DEP_1) | instskip(SKIP_3) | instid1(VALU_DEP_1)
	v_add_lshl_u32 v73, v25, v63, 2
	s_wait_dscnt 0x0
	v_add_nc_u32_e32 v4, v4, v6
	v_or_b32_e32 v9, 0x80000000, v9
	v_ctz_i32_b32_e32 v9, v9
	s_delay_alu instid0(VALU_DEP_1) | instskip(NEXT) | instid1(VALU_DEP_4)
	v_cmp_lt_u32_e32 vcc_lo, v63, v9
	v_dual_cndmask_b32 v5, v7, v5 :: v_dual_cndmask_b32 v4, v6, v4
	v_cmp_gt_u32_e32 vcc_lo, 28, v63
	ds_bpermute_b32 v6, v73, v5
	ds_bpermute_b32 v7, v73, v4
	v_add_nc_u32_e32 v74, 2, v63
	v_cndmask_b32_e64 v25, 0, 4, vcc_lo
	s_delay_alu instid0(VALU_DEP_1) | instskip(SKIP_4) | instid1(VALU_DEP_2)
	v_add_lshl_u32 v75, v25, v63, 2
	s_wait_dscnt 0x1
	v_add_nc_u32_e32 v6, v5, v6
	v_cmp_gt_u32_e32 vcc_lo, v74, v9
	s_wait_dscnt 0x0
	v_dual_add_nc_u32 v7, v4, v7 :: v_dual_cndmask_b32 v5, v6, v5, vcc_lo
	s_delay_alu instid0(VALU_DEP_1)
	v_cndmask_b32_e32 v4, v7, v4, vcc_lo
	v_cmp_gt_u32_e32 vcc_lo, 24, v63
	ds_bpermute_b32 v6, v75, v5
	ds_bpermute_b32 v7, v75, v4
	v_cndmask_b32_e64 v25, 0, 8, vcc_lo
	v_cmp_gt_u32_e32 vcc_lo, v76, v9
	s_delay_alu instid0(VALU_DEP_2) | instskip(SKIP_3) | instid1(VALU_DEP_1)
	v_add_lshl_u32 v77, v25, v63, 2
	s_wait_dscnt 0x1
	v_dual_mov_b32 v25, 0 :: v_dual_add_nc_u32 v6, v5, v6
	s_wait_dscnt 0x0
	v_dual_add_nc_u32 v7, v4, v7 :: v_dual_cndmask_b32 v5, v6, v5, vcc_lo
	s_delay_alu instid0(VALU_DEP_1) | instskip(SKIP_4) | instid1(VALU_DEP_1)
	v_cndmask_b32_e32 v4, v7, v4, vcc_lo
	ds_bpermute_b32 v6, v77, v5
	ds_bpermute_b32 v7, v77, v4
	s_wait_dscnt 0x1
	v_dual_add_nc_u32 v78, 8, v63 :: v_dual_add_nc_u32 v6, v5, v6
	v_cmp_gt_u32_e32 vcc_lo, v78, v9
	s_wait_dscnt 0x0
	s_delay_alu instid0(VALU_DEP_2) | instskip(NEXT) | instid1(VALU_DEP_1)
	v_dual_add_nc_u32 v7, v4, v7 :: v_dual_cndmask_b32 v5, v6, v5, vcc_lo
	v_cndmask_b32_e32 v4, v7, v4, vcc_lo
	v_cmp_le_u32_e32 vcc_lo, v80, v9
	ds_bpermute_b32 v7, v79, v5
	ds_bpermute_b32 v6, v79, v4
	s_wait_dscnt 0x0
	v_dual_cndmask_b32 v7, 0, v7 :: v_dual_cndmask_b32 v6, 0, v6
	s_delay_alu instid0(VALU_DEP_1)
	v_dual_add_nc_u32 v7, v7, v5 :: v_dual_add_nc_u32 v6, v6, v4
	s_branch .LBB532_127
.LBB532_124:                            ;   in Loop: Header=BB532_127 Depth=1
	s_or_b32 exec_lo, exec_lo, s8
.LBB532_125:                            ;   in Loop: Header=BB532_127 Depth=1
	s_delay_alu instid0(SALU_CYCLE_1)
	s_or_b32 exec_lo, exec_lo, s7
	ds_bpermute_b32 v9, v71, v6
	ds_bpermute_b32 v26, v71, v7
	v_and_b32_e32 v27, 0xff, v8
	v_subrev_nc_u32_e32 v24, 32, v24
	s_mov_b32 s7, 0
	s_delay_alu instid0(VALU_DEP_2) | instskip(SKIP_1) | instid1(VALU_DEP_1)
	v_cmp_eq_u16_e32 vcc_lo, 2, v27
	v_and_or_b32 v27, vcc_lo, v72, 0x80000000
	v_ctz_i32_b32_e32 v27, v27
	s_wait_dscnt 0x0
	v_dual_add_nc_u32 v9, v9, v6 :: v_dual_add_nc_u32 v26, v26, v7
	s_delay_alu instid0(VALU_DEP_2) | instskip(NEXT) | instid1(VALU_DEP_2)
	v_cmp_lt_u32_e32 vcc_lo, v63, v27
	v_dual_cndmask_b32 v7, v7, v26 :: v_dual_cndmask_b32 v6, v6, v9
	v_cmp_gt_u32_e32 vcc_lo, v74, v27
	ds_bpermute_b32 v26, v73, v7
	ds_bpermute_b32 v9, v73, v6
	s_wait_dscnt 0x0
	v_dual_add_nc_u32 v26, v7, v26 :: v_dual_add_nc_u32 v9, v6, v9
	s_delay_alu instid0(VALU_DEP_1)
	v_dual_cndmask_b32 v7, v26, v7 :: v_dual_cndmask_b32 v6, v9, v6
	v_cmp_gt_u32_e32 vcc_lo, v76, v27
	ds_bpermute_b32 v26, v75, v7
	ds_bpermute_b32 v9, v75, v6
	s_wait_dscnt 0x0
	v_dual_add_nc_u32 v26, v7, v26 :: v_dual_add_nc_u32 v9, v6, v9
	s_delay_alu instid0(VALU_DEP_1)
	;; [unrolled: 7-line block ×3, first 2 shown]
	v_dual_cndmask_b32 v7, v26, v7 :: v_dual_cndmask_b32 v6, v9, v6
	v_cmp_le_u32_e32 vcc_lo, v80, v27
	ds_bpermute_b32 v26, v79, v7
	ds_bpermute_b32 v9, v79, v6
	s_wait_dscnt 0x0
	v_dual_cndmask_b32 v26, 0, v26 :: v_dual_cndmask_b32 v9, 0, v9
	s_delay_alu instid0(VALU_DEP_1) | instskip(NEXT) | instid1(VALU_DEP_2)
	v_add3_u32 v7, v7, v5, v26
	v_add3_u32 v6, v6, v4, v9
.LBB532_126:                            ;   in Loop: Header=BB532_127 Depth=1
	s_and_b32 vcc_lo, exec_lo, s7
	s_cbranch_vccnz .LBB532_132
.LBB532_127:                            ; =>This Loop Header: Depth=1
                                        ;     Child Loop BB532_130 Depth 2
	v_and_b32_e32 v4, 0xff, v8
	s_mov_b32 s7, -1
                                        ; implicit-def: $vgpr8
	s_delay_alu instid0(VALU_DEP_1)
	v_cmp_ne_u16_e32 vcc_lo, 2, v4
	v_mov_b64_e32 v[4:5], v[6:7]
                                        ; implicit-def: $vgpr6_vgpr7
	s_cmp_lg_u32 vcc_lo, exec_lo
	s_cbranch_scc1 .LBB532_126
; %bb.128:                              ;   in Loop: Header=BB532_127 Depth=1
	v_lshl_add_u64 v[26:27], v[24:25], 4, s[4:5]
	;;#ASMSTART
	global_load_b128 v[6:9], v[26:27] off scope:SCOPE_DEV	
s_wait_loadcnt 0x0
	;;#ASMEND
	v_and_b32_e32 v9, 0xff, v8
	s_mov_b32 s7, exec_lo
	s_delay_alu instid0(VALU_DEP_1)
	v_cmpx_eq_u16_e32 0, v9
	s_cbranch_execz .LBB532_125
; %bb.129:                              ;   in Loop: Header=BB532_127 Depth=1
	s_mov_b32 s8, 0
.LBB532_130:                            ;   Parent Loop BB532_127 Depth=1
                                        ; =>  This Inner Loop Header: Depth=2
	;;#ASMSTART
	global_load_b128 v[6:9], v[26:27] off scope:SCOPE_DEV	
s_wait_loadcnt 0x0
	;;#ASMEND
	v_and_b32_e32 v9, 0xff, v8
	s_delay_alu instid0(VALU_DEP_1) | instskip(SKIP_1) | instid1(SALU_CYCLE_1)
	v_cmp_ne_u16_e32 vcc_lo, 0, v9
	s_or_b32 s8, vcc_lo, s8
	s_and_not1_b32 exec_lo, exec_lo, s8
	s_cbranch_execnz .LBB532_130
	s_branch .LBB532_124
.LBB532_131:
                                        ; implicit-def: $vgpr1
                                        ; implicit-def: $vgpr4
                                        ; implicit-def: $vgpr6
                                        ; implicit-def: $vgpr8
                                        ; implicit-def: $vgpr22
	s_and_b32 vcc_lo, exec_lo, s3
	s_cbranch_vccnz .LBB532_137
	s_branch .LBB532_146
.LBB532_132:
	s_and_saveexec_b32 s7, s2
	s_cbranch_execz .LBB532_134
; %bb.133:
	s_add_co_i32 s8, s33, 32
	s_mov_b32 s9, 0
	v_dual_mov_b32 v8, 2 :: v_dual_mov_b32 v9, 0
	s_lshl_b64 s[8:9], s[8:9], 4
	v_dual_add_nc_u32 v7, v5, v3 :: v_dual_add_nc_u32 v6, v4, v2
	s_add_nc_u64 s[8:9], s[4:5], s[8:9]
	s_delay_alu instid0(SALU_CYCLE_1)
	v_mov_b64_e32 v[24:25], s[8:9]
	;;#ASMSTART
	global_store_b128 v[24:25], v[6:9] off scope:SCOPE_DEV	
s_wait_storecnt 0x0
	;;#ASMEND
	ds_store_b128 v9, v[2:5] offset:13312
.LBB532_134:
	s_or_b32 exec_lo, exec_lo, s7
	v_cmp_eq_u32_e32 vcc_lo, 0, v0
	s_and_b32 exec_lo, exec_lo, vcc_lo
; %bb.135:
	v_mov_b32_e32 v2, 0
	ds_store_b64 v2, v[4:5] offset:56
.LBB532_136:
	s_or_b32 exec_lo, exec_lo, s3
	s_wait_dscnt 0x0
	v_dual_mov_b32 v2, 0 :: v_dual_cndmask_b32 v1, v1, v23, s2
	s_barrier_signal -1
	s_barrier_wait -1
	ds_load_b64 v[8:9], v2 offset:56
	s_wait_dscnt 0x0
	s_barrier_signal -1
	s_barrier_wait -1
	ds_load_b128 v[2:5], v2 offset:13312
	v_cndmask_b32_e64 v6, v70, v22, s2
	v_cmp_eq_u32_e32 vcc_lo, 0, v0
	s_delay_alu instid0(VALU_DEP_2) | instskip(SKIP_2) | instid1(VALU_DEP_2)
	v_dual_add_nc_u32 v1, v9, v1 :: v_dual_add_nc_u32 v7, v8, v6
	s_wait_dscnt 0x0
	v_mov_b32_e32 v6, v5
	v_dual_cndmask_b32 v1, v1, v9 :: v_dual_cndmask_b32 v22, v7, v8
	v_mov_b32_e32 v8, v3
	s_branch .LBB532_146
.LBB532_137:
	v_mov_b32_dpp v1, v68 row_shr:1 row_mask:0xf bank_mask:0xf
	v_mov_b32_dpp v2, v69 row_shr:1 row_mask:0xf bank_mask:0xf
	v_cmp_lt_u32_e32 vcc_lo, 3, v65
	s_delay_alu instid0(VALU_DEP_2) | instskip(NEXT) | instid1(VALU_DEP_1)
	v_dual_add_nc_u32 v1, v1, v68 :: v_dual_add_nc_u32 v2, v2, v69
	v_dual_cndmask_b32 v1, v1, v68, s1 :: v_dual_cndmask_b32 v2, v2, v69, s1
	s_mov_b32 s1, exec_lo
	s_delay_alu instid0(VALU_DEP_1) | instskip(NEXT) | instid1(VALU_DEP_2)
	v_mov_b32_dpp v3, v1 row_shr:2 row_mask:0xf bank_mask:0xf
	v_mov_b32_dpp v4, v2 row_shr:2 row_mask:0xf bank_mask:0xf
	s_delay_alu instid0(VALU_DEP_1) | instskip(NEXT) | instid1(VALU_DEP_1)
	v_dual_add_nc_u32 v3, v1, v3 :: v_dual_add_nc_u32 v4, v2, v4
	v_dual_cndmask_b32 v1, v1, v3, s0 :: v_dual_cndmask_b32 v2, v2, v4, s0
	s_delay_alu instid0(VALU_DEP_1) | instskip(NEXT) | instid1(VALU_DEP_2)
	v_mov_b32_dpp v3, v1 row_shr:4 row_mask:0xf bank_mask:0xf
	v_mov_b32_dpp v4, v2 row_shr:4 row_mask:0xf bank_mask:0xf
	s_delay_alu instid0(VALU_DEP_1) | instskip(NEXT) | instid1(VALU_DEP_1)
	v_dual_add_nc_u32 v3, v1, v3 :: v_dual_add_nc_u32 v4, v2, v4
	v_dual_cndmask_b32 v3, v1, v3 :: v_dual_cndmask_b32 v2, v2, v4
	v_cmp_lt_u32_e32 vcc_lo, 7, v65
	s_delay_alu instid0(VALU_DEP_2) | instskip(NEXT) | instid1(VALU_DEP_3)
	v_mov_b32_dpp v1, v3 row_shr:8 row_mask:0xf bank_mask:0xf
	v_mov_b32_dpp v4, v2 row_shr:8 row_mask:0xf bank_mask:0xf
	s_delay_alu instid0(VALU_DEP_1) | instskip(NEXT) | instid1(VALU_DEP_1)
	v_dual_add_nc_u32 v5, v3, v1 :: v_dual_add_nc_u32 v1, v2, v4
	v_cndmask_b32_e32 v1, v2, v1, vcc_lo
	s_delay_alu instid0(VALU_DEP_2)
	v_cndmask_b32_e32 v2, v3, v5, vcc_lo
	v_cmp_eq_u32_e32 vcc_lo, 0, v67
	ds_swizzle_b32 v4, v2 offset:swizzle(BROADCAST,32,15)
	s_wait_dscnt 0x0
	v_add_nc_u32_e32 v4, v2, v4
	ds_swizzle_b32 v3, v1 offset:swizzle(BROADCAST,32,15)
	s_wait_dscnt 0x0
	v_add_nc_u32_e32 v3, v1, v3
	v_cmpx_eq_u32_e64 v0, v66
; %bb.138:
	s_delay_alu instid0(VALU_DEP_2)
	v_dual_cndmask_b32 v6, v4, v2 :: v_dual_cndmask_b32 v7, v3, v1
	v_lshlrev_b32_e32 v5, 3, v64
	ds_store_b64 v5, v[6:7]
; %bb.139:
	s_or_b32 exec_lo, exec_lo, s1
	s_delay_alu instid0(SALU_CYCLE_1)
	s_mov_b32 s1, exec_lo
	s_wait_dscnt 0x0
	s_barrier_signal -1
	s_barrier_wait -1
	v_cmpx_gt_u32_e32 8, v0
	s_cbranch_execz .LBB532_141
; %bb.140:
	v_dual_lshlrev_b32 v5, 3, v0 :: v_dual_bitop2_b32 v22, 7, v63 bitop3:0x40
	ds_load_b64 v[6:7], v5
	v_cmp_eq_u32_e64 s0, 0, v22
	s_wait_dscnt 0x0
	v_mov_b32_dpp v8, v6 row_shr:1 row_mask:0xf bank_mask:0xf
	v_mov_b32_dpp v9, v7 row_shr:1 row_mask:0xf bank_mask:0xf
	s_delay_alu instid0(VALU_DEP_1) | instskip(NEXT) | instid1(VALU_DEP_1)
	v_dual_add_nc_u32 v8, v8, v6 :: v_dual_add_nc_u32 v9, v9, v7
	v_dual_cndmask_b32 v6, v8, v6, s0 :: v_dual_cndmask_b32 v7, v9, v7, s0
	v_cmp_lt_u32_e64 s0, 1, v22
	s_delay_alu instid0(VALU_DEP_2) | instskip(NEXT) | instid1(VALU_DEP_3)
	v_mov_b32_dpp v8, v6 row_shr:2 row_mask:0xf bank_mask:0xf
	v_mov_b32_dpp v9, v7 row_shr:2 row_mask:0xf bank_mask:0xf
	s_delay_alu instid0(VALU_DEP_1) | instskip(NEXT) | instid1(VALU_DEP_1)
	v_dual_add_nc_u32 v8, v6, v8 :: v_dual_add_nc_u32 v9, v7, v9
	v_dual_cndmask_b32 v6, v6, v8, s0 :: v_dual_cndmask_b32 v7, v7, v9, s0
	v_cmp_lt_u32_e64 s0, 3, v22
	s_delay_alu instid0(VALU_DEP_2) | instskip(NEXT) | instid1(VALU_DEP_3)
	v_mov_b32_dpp v8, v6 row_shr:4 row_mask:0xf bank_mask:0xf
	v_mov_b32_dpp v9, v7 row_shr:4 row_mask:0xf bank_mask:0xf
	s_delay_alu instid0(VALU_DEP_1) | instskip(NEXT) | instid1(VALU_DEP_1)
	v_dual_cndmask_b32 v8, 0, v8, s0 :: v_dual_cndmask_b32 v9, 0, v9, s0
	v_dual_add_nc_u32 v6, v8, v6 :: v_dual_add_nc_u32 v7, v9, v7
	ds_store_b64 v5, v[6:7]
.LBB532_141:
	s_or_b32 exec_lo, exec_lo, s1
	v_dual_mov_b32 v5, 0 :: v_dual_mov_b32 v6, 0
	v_mov_b32_e32 v7, 0
	s_mov_b32 s1, exec_lo
	s_wait_dscnt 0x0
	s_barrier_signal -1
	s_barrier_wait -1
	v_cmpx_lt_u32_e32 31, v0
; %bb.142:
	v_lshl_add_u32 v6, v64, 3, -8
	ds_load_b64 v[6:7], v6
; %bb.143:
	s_or_b32 exec_lo, exec_lo, s1
	v_sub_co_u32 v8, s0, v63, 1
	v_dual_cndmask_b32 v2, v4, v2 :: v_dual_cndmask_b32 v1, v3, v1
	v_cmp_eq_u32_e32 vcc_lo, 0, v0
	s_delay_alu instid0(VALU_DEP_3) | instskip(SKIP_1) | instid1(VALU_DEP_1)
	v_cmp_gt_i32_e64 s1, 0, v8
	s_wait_dscnt 0x0
	v_dual_add_nc_u32 v2, v6, v2 :: v_dual_cndmask_b32 v4, v8, v63, s1
	s_delay_alu instid0(VALU_DEP_1)
	v_dual_lshlrev_b32 v3, 2, v4 :: v_dual_add_nc_u32 v4, v7, v1
	ds_bpermute_b32 v1, v3, v2
	ds_bpermute_b32 v8, v3, v4
	ds_load_b64 v[2:3], v5 offset:56
	s_and_saveexec_b32 s1, vcc_lo
	s_cbranch_execz .LBB532_145
; %bb.144:
	s_wait_kmcnt 0x0
	s_add_nc_u64 s[2:3], s[4:5], 0x200
	v_dual_mov_b32 v4, 2 :: v_dual_mov_b32 v5, 0
	v_mov_b64_e32 v[22:23], s[2:3]
	s_wait_dscnt 0x0
	;;#ASMSTART
	global_store_b128 v[22:23], v[2:5] off scope:SCOPE_DEV	
s_wait_storecnt 0x0
	;;#ASMEND
.LBB532_145:
	s_or_b32 exec_lo, exec_lo, s1
	s_wait_dscnt 0x1
	v_dual_cndmask_b32 v5, v8, v7, s0 :: v_dual_cndmask_b32 v7, v1, v6, s0
	v_dual_mov_b32 v6, 0 :: v_dual_mov_b32 v4, 0
	s_wait_dscnt 0x0
	v_mov_b32_e32 v8, v3
	s_delay_alu instid0(VALU_DEP_3)
	v_cndmask_b32_e64 v1, v5, 0, vcc_lo
	v_cndmask_b32_e64 v22, v7, 0, vcc_lo
	s_barrier_signal -1
	s_barrier_wait -1
.LBB532_146:
	s_delay_alu instid0(VALU_DEP_1) | instskip(SKIP_1) | instid1(VALU_DEP_2)
	v_dual_add_nc_u32 v62, v1, v62 :: v_dual_add_nc_u32 v70, v22, v61
	v_dual_mov_b32 v5, 0 :: v_dual_lshrrev_b32 v68, 16, v37
	v_dual_lshrrev_b32 v3, 8, v37 :: v_dual_add_nc_u32 v71, v62, v60
	s_delay_alu instid0(VALU_DEP_3) | instskip(SKIP_1) | instid1(VALU_DEP_3)
	v_dual_add_nc_u32 v59, v70, v59 :: v_dual_lshlrev_b32 v60, 1, v2
	v_dual_sub_nc_u32 v72, v22, v4 :: v_dual_sub_nc_u32 v1, v1, v6
	v_dual_add_nc_u32 v73, v71, v44 :: v_dual_bitop2_b32 v74, 1, v31 bitop3:0x40
	s_delay_alu instid0(VALU_DEP_3) | instskip(NEXT) | instid1(VALU_DEP_3)
	v_dual_add_nc_u32 v58, v59, v58 :: v_dual_bitop2_b32 v75, 1, v3 bitop3:0x40
	v_dual_add_nc_u32 v1, v1, v2 :: v_dual_sub_nc_u32 v70, v70, v4
	s_delay_alu instid0(VALU_DEP_2)
	v_dual_add_nc_u32 v57, v73, v57 :: v_dual_add_nc_u32 v76, v58, v43
	v_mov_b32_e32 v61, v5
	s_wait_kmcnt 0x0
	v_add_nc_u64_e32 v[22:23], s[28:29], v[4:5]
	v_dual_mov_b32 v3, v5 :: v_dual_mov_b32 v7, v5
	v_dual_add_nc_u32 v55, v76, v55 :: v_dual_add_nc_u32 v56, v57, v56
	v_cmp_eq_u32_e32 vcc_lo, 1, v75
	v_dual_lshrrev_b32 v69, 8, v31 :: v_dual_lshrrev_b32 v67, 16, v31
	s_delay_alu instid0(VALU_DEP_3) | instskip(NEXT) | instid1(VALU_DEP_4)
	v_dual_add_nc_u32 v53, v55, v53 :: v_dual_mov_b32 v9, v5
	v_add_nc_u32_e32 v54, v56, v54
	v_add3_u32 v5, v60, v8, v30
	s_delay_alu instid0(VALU_DEP_3) | instskip(NEXT) | instid1(VALU_DEP_3)
	v_dual_sub_nc_u32 v62, v62, v6 :: v_dual_add_nc_u32 v51, v53, v51
	v_dual_add_nc_u32 v78, v72, v1 :: v_dual_add_nc_u32 v77, v54, v42
	s_delay_alu instid0(VALU_DEP_2) | instskip(NEXT) | instid1(VALU_DEP_2)
	v_dual_sub_nc_u32 v59, v59, v4 :: v_dual_add_nc_u32 v62, v62, v2
	v_dual_add_nc_u32 v79, v51, v41 :: v_dual_sub_nc_u32 v78, v5, v78
	s_delay_alu instid0(VALU_DEP_3) | instskip(SKIP_1) | instid1(VALU_DEP_3)
	v_add_nc_u32_e32 v52, v77, v52
	v_dual_sub_nc_u32 v73, v73, v6 :: v_dual_sub_nc_u32 v58, v58, v4
	v_add_nc_u32_e32 v48, v79, v48
	s_delay_alu instid0(VALU_DEP_4) | instskip(SKIP_2) | instid1(VALU_DEP_4)
	v_dual_sub_nc_u32 v71, v71, v6 :: v_dual_cndmask_b32 v1, v78, v1, vcc_lo
	v_cmp_eq_u32_e32 vcc_lo, 1, v74
	v_add_nc_u32_e32 v50, v52, v50
	v_dual_add_nc_u32 v80, v62, v70 :: v_dual_add_nc_u32 v47, v48, v47
	v_dual_lshrrev_b32 v66, 8, v32 :: v_dual_lshrrev_b32 v65, 16, v32
	v_dual_cndmask_b32 v1, v1, v72, vcc_lo :: v_dual_add_nc_u32 v71, v71, v2
	s_delay_alu instid0(VALU_DEP_3) | instskip(NEXT) | instid1(VALU_DEP_4)
	v_dual_add_nc_u32 v49, v50, v49 :: v_dual_add_nc_u32 v46, v47, v46
	v_sub_nc_u32_e32 v74, v5, v80
	s_delay_alu instid0(VALU_DEP_3) | instskip(NEXT) | instid1(VALU_DEP_3)
	v_dual_add_nc_u32 v75, v71, v59 :: v_dual_bitop2_b32 v68, 1, v68 bitop3:0x40
	v_dual_add_nc_u32 v72, v49, v40 :: v_dual_bitop2_b32 v69, 1, v69 bitop3:0x40
	s_delay_alu instid0(VALU_DEP_3) | instskip(NEXT) | instid1(VALU_DEP_3)
	v_add_nc_u32_e32 v74, 1, v74
	v_cmp_eq_u32_e32 vcc_lo, 1, v68
	s_delay_alu instid0(VALU_DEP_3) | instskip(SKIP_1) | instid1(VALU_DEP_4)
	v_dual_sub_nc_u32 v75, v5, v75 :: v_dual_add_nc_u32 v45, v72, v45
	v_dual_add_nc_u32 v68, v73, v2 :: v_dual_bitop2_b32 v44, 1, v44 bitop3:0x40
	v_cndmask_b32_e32 v62, v74, v62, vcc_lo
	v_cmp_eq_u32_e32 vcc_lo, 1, v69
	s_delay_alu instid0(VALU_DEP_3)
	v_dual_add_nc_u32 v73, 2, v75 :: v_dual_add_nc_u32 v69, v58, v68
	v_dual_lshlrev_b32 v1, 2, v1 :: v_dual_bitop2_b32 v67, 1, v67 bitop3:0x40
	v_add_nc_u32_e32 v78, v46, v39
	v_cndmask_b32_e32 v62, v62, v70, vcc_lo
	v_cmp_eq_u32_e32 vcc_lo, 1, v44
	v_dual_sub_nc_u32 v57, v57, v6 :: v_dual_bitop2_b32 v43, 1, v43 bitop3:0x40
	ds_store_b32 v1, v20
	v_dual_lshlrev_b32 v20, 2, v62 :: v_dual_cndmask_b32 v44, v73, v71, vcc_lo
	v_cmp_eq_u32_e32 vcc_lo, 1, v67
	v_sub_nc_u32_e32 v1, v5, v69
	v_dual_lshrrev_b32 v63, 16, v33 :: v_dual_lshrrev_b32 v64, 8, v33
	ds_store_b32 v20, v21
	v_dual_cndmask_b32 v44, v44, v59, vcc_lo :: v_dual_bitop2_b32 v32, 1, v32 bitop3:0x40
	v_dual_add_nc_u32 v1, 3, v1 :: v_dual_add_nc_u32 v57, v57, v2
	v_dual_sub_nc_u32 v54, v54, v6 :: v_dual_lshrrev_b32 v25, 16, v35
	v_lshrrev_b32_e32 v27, 8, v35
	s_delay_alu instid0(VALU_DEP_4)
	v_cmp_eq_u32_e32 vcc_lo, 1, v32
	v_sub_nc_u32_e32 v56, v56, v6
	v_sub_nc_u32_e32 v32, v76, v4
	v_dual_lshrrev_b32 v26, 8, v36 :: v_dual_lshrrev_b32 v24, 16, v36
	v_cndmask_b32_e32 v1, v1, v68, vcc_lo
	v_cmp_eq_u32_e32 vcc_lo, 1, v43
	v_dual_sub_nc_u32 v55, v55, v4 :: v_dual_add_nc_u32 v56, v56, v2
	v_dual_add_nc_u32 v43, v32, v57 :: v_dual_lshlrev_b32 v21, 2, v44
	s_delay_alu instid0(VALU_DEP_4) | instskip(NEXT) | instid1(VALU_DEP_2)
	v_dual_cndmask_b32 v1, v1, v58, vcc_lo :: v_dual_bitop2_b32 v58, 1, v65 bitop3:0x40
	v_dual_add_nc_u32 v20, v55, v56 :: v_dual_sub_nc_u32 v43, v5, v43
	s_delay_alu instid0(VALU_DEP_2) | instskip(NEXT) | instid1(VALU_DEP_2)
	v_dual_lshlrev_b32 v1, 2, v1 :: v_dual_bitop2_b32 v44, 1, v66 bitop3:0x40
	v_dual_sub_nc_u32 v20, v5, v20 :: v_dual_bitop2_b32 v33, 1, v33 bitop3:0x40
	s_delay_alu instid0(VALU_DEP_3) | instskip(NEXT) | instid1(VALU_DEP_3)
	v_add_nc_u32_e32 v43, 4, v43
	v_cmp_eq_u32_e32 vcc_lo, 1, v44
	v_dual_sub_nc_u32 v53, v53, v4 :: v_dual_add_nc_u32 v54, v54, v2
	s_delay_alu instid0(VALU_DEP_4)
	v_add_nc_u32_e32 v20, 5, v20
	ds_store_b32 v21, v18
	v_cndmask_b32_e32 v43, v43, v57, vcc_lo
	v_cmp_eq_u32_e32 vcc_lo, 1, v58
	v_and_b32_e32 v44, 1, v64
	ds_store_b32 v1, v19
	v_and_b32_e32 v21, 1, v63
	v_sub_nc_u64_e32 v[30:31], s[30:31], v[2:3]
	v_dual_cndmask_b32 v20, v20, v56, vcc_lo :: v_dual_add_nc_u32 v56, v53, v54
	v_cmp_eq_u32_e32 vcc_lo, 1, v33
	v_sub_nc_u32_e32 v33, v52, v6
	s_mov_b32 s41, 0
	s_delay_alu instid0(VALU_DEP_3)
	v_dual_sub_nc_u32 v18, v5, v56 :: v_dual_bitop2_b32 v27, 1, v27 bitop3:0x40
	v_cndmask_b32_e32 v32, v43, v32, vcc_lo
	v_cmp_eq_u32_e32 vcc_lo, 1, v44
	v_add_nc_u64_e32 v[30:31], v[30:31], v[6:7]
	s_add_nc_u64 s[0:1], s[34:35], s[40:41]
	v_dual_add_nc_u32 v18, 6, v18 :: v_dual_cndmask_b32 v20, v20, v55, vcc_lo
	v_dual_lshlrev_b32 v1, 2, v32 :: v_dual_sub_nc_u32 v32, v77, v6
	s_delay_alu instid0(VALU_DEP_2)
	v_dual_lshlrev_b32 v19, 2, v20 :: v_dual_bitop2_b32 v20, 1, v42 bitop3:0x40
	v_sub_nc_u32_e32 v42, v79, v4
	ds_store_b32 v1, v16
	ds_store_b32 v19, v17
	v_cmp_eq_u32_e32 vcc_lo, 1, v20
	v_dual_sub_nc_u32 v20, v51, v4 :: v_dual_add_nc_u32 v32, v32, v2
	v_dual_add_nc_u32 v33, v33, v2 :: v_dual_bitop2_b32 v19, 1, v35 bitop3:0x40
	v_cndmask_b32_e32 v18, v18, v54, vcc_lo
	v_cmp_eq_u32_e32 vcc_lo, 1, v21
	s_delay_alu instid0(VALU_DEP_4) | instskip(NEXT) | instid1(VALU_DEP_3)
	v_add_nc_u32_e32 v21, v20, v32
	v_dual_cndmask_b32 v18, v18, v53 :: v_dual_sub_nc_u32 v35, v48, v4
	v_add_nc_u32_e32 v1, v42, v33
	s_delay_alu instid0(VALU_DEP_3) | instskip(SKIP_1) | instid1(VALU_DEP_4)
	v_dual_sub_nc_u32 v17, v5, v21 :: v_dual_sub_nc_u32 v21, v50, v6
	v_cmp_eq_u32_e32 vcc_lo, 1, v19
	v_dual_lshlrev_b32 v16, 2, v18 :: v_dual_bitop2_b32 v18, 1, v41 bitop3:0x40
	s_delay_alu instid0(VALU_DEP_4) | instskip(NEXT) | instid1(VALU_DEP_4)
	v_sub_nc_u32_e32 v1, v5, v1
	v_dual_add_nc_u32 v17, 7, v17 :: v_dual_add_nc_u32 v21, v21, v2
	ds_store_b32 v16, v14
	v_dual_add_nc_u32 v1, 8, v1 :: v_dual_cndmask_b32 v17, v17, v32, vcc_lo
	v_cmp_eq_u32_e32 vcc_lo, 1, v27
	v_dual_add_nc_u32 v27, v35, v21 :: v_dual_bitop2_b32 v19, 1, v36 bitop3:0x40
	s_delay_alu instid0(VALU_DEP_3) | instskip(SKIP_1) | instid1(VALU_DEP_3)
	v_cndmask_b32_e32 v1, v1, v33, vcc_lo
	v_cmp_eq_u32_e32 vcc_lo, 1, v18
	v_dual_sub_nc_u32 v14, v5, v27 :: v_dual_bitop2_b32 v18, 1, v25 bitop3:0x40
	v_cndmask_b32_e32 v17, v17, v20, vcc_lo
	v_cmp_eq_u32_e32 vcc_lo, 1, v19
	v_dual_sub_nc_u32 v19, v47, v4 :: v_dual_cndmask_b32 v1, v1, v42, vcc_lo
	s_delay_alu instid0(VALU_DEP_4) | instskip(NEXT) | instid1(VALU_DEP_2)
	v_cmp_eq_u32_e32 vcc_lo, 1, v18
	v_lshlrev_b32_e32 v1, 2, v1
	v_dual_lshlrev_b32 v16, 2, v17 :: v_dual_sub_nc_u32 v17, v49, v6
	ds_store_b32 v16, v15
	v_add_nc_u32_e32 v17, v17, v2
	v_add_nc_u32_e32 v14, 9, v14
	ds_store_b32 v1, v12
	v_dual_sub_nc_u32 v16, v45, v6 :: v_dual_add_nc_u32 v15, v19, v17
	v_dual_cndmask_b32 v14, v14, v21, vcc_lo :: v_dual_bitop2_b32 v20, 1, v26 bitop3:0x40
	v_sub_nc_u32_e32 v12, v72, v6
	s_delay_alu instid0(VALU_DEP_3) | instskip(NEXT) | instid1(VALU_DEP_3)
	v_add_nc_u32_e32 v16, v16, v2
	v_cmp_eq_u32_e32 vcc_lo, 1, v20
	v_sub_nc_u32_e32 v20, v78, v4
	v_cndmask_b32_e32 v1, v14, v35, vcc_lo
	v_dual_sub_nc_u32 v14, v5, v15 :: v_dual_bitop2_b32 v15, 1, v40 bitop3:0x40
	v_dual_sub_nc_u32 v18, v46, v4 :: v_dual_add_nc_u32 v12, v12, v2
	s_delay_alu instid0(VALU_DEP_2) | instskip(NEXT) | instid1(VALU_DEP_3)
	v_dual_add_nc_u32 v14, 10, v14 :: v_dual_bitop2_b32 v4, 1, v24 bitop3:0x40
	v_cmp_eq_u32_e32 vcc_lo, 1, v15
	v_add_nc_u32_e32 v15, v20, v16
	s_delay_alu instid0(VALU_DEP_4) | instskip(NEXT) | instid1(VALU_DEP_4)
	v_dual_add_nc_u32 v21, v18, v12 :: v_dual_lshlrev_b32 v1, 2, v1
	v_cndmask_b32_e32 v14, v14, v17, vcc_lo
	v_cmp_eq_u32_e32 vcc_lo, 1, v4
	s_delay_alu instid0(VALU_DEP_3) | instskip(SKIP_4) | instid1(VALU_DEP_3)
	v_dual_sub_nc_u32 v17, v5, v21 :: v_dual_sub_nc_u32 v4, v5, v15
	ds_store_b32 v1, v13
	v_dual_cndmask_b32 v14, v14, v19, vcc_lo :: v_dual_bitop2_b32 v19, 1, v34 bitop3:0x40
	v_dual_add_nc_u32 v17, 11, v17 :: v_dual_bitop2_b32 v15, 1, v39 bitop3:0x40
	v_dual_add_nc_u32 v24, 12, v4 :: v_dual_bitop2_b32 v21, 1, v38 bitop3:0x40
	v_cmp_eq_u32_e32 vcc_lo, 1, v19
	v_add_nc_u64_e32 v[4:5], v[8:9], v[60:61]
	s_delay_alu instid0(VALU_DEP_4) | instskip(SKIP_2) | instid1(VALU_DEP_4)
	v_dual_lshlrev_b32 v14, 2, v14 :: v_dual_cndmask_b32 v12, v17, v12, vcc_lo
	v_and_b32_e32 v17, 1, v37
	v_cmp_eq_u32_e32 vcc_lo, 1, v21
	v_add_nc_u64_e32 v[4:5], v[4:5], v[30:31]
	ds_store_b32 v14, v10
	v_cndmask_b32_e32 v16, v24, v16, vcc_lo
	v_cmp_eq_u32_e32 vcc_lo, 1, v15
	v_add_nc_u64_e32 v[4:5], v[4:5], v[22:23]
	v_cndmask_b32_e32 v12, v12, v18, vcc_lo
	v_cmp_eq_u32_e32 vcc_lo, 1, v17
	v_cndmask_b32_e32 v15, v16, v20, vcc_lo
	v_cmp_ne_u32_e32 vcc_lo, 1, v29
	s_delay_alu instid0(VALU_DEP_2)
	v_dual_lshlrev_b32 v10, 2, v15 :: v_dual_lshlrev_b32 v1, 2, v12
	v_lshlrev_b64_e32 v[12:13], 2, v[30:31]
	v_lshlrev_b64_e32 v[14:15], 2, v[22:23]
	s_and_b32 vcc_lo, exec_lo, vcc_lo
	ds_store_b32 v1, v11
	ds_store_b32 v10, v28
	v_sub_nc_u64_e32 v[10:11], s[0:1], v[4:5]
	v_add_nc_u64_e32 v[4:5], s[38:39], v[12:13]
	v_add_nc_u64_e32 v[12:13], s[36:37], v[14:15]
	v_add_nc_u32_e32 v14, v2, v8
	s_mov_b32 s0, -1
	s_wait_dscnt 0x0
	s_barrier_signal -1
	s_barrier_wait -1
	s_cbranch_vccz .LBB532_150
; %bb.147:
	s_and_b32 vcc_lo, exec_lo, s0
	s_cbranch_vccnz .LBB532_255
.LBB532_148:
	v_cmp_eq_u32_e32 vcc_lo, 0, v0
	s_and_b32 s0, vcc_lo, s15
	s_delay_alu instid0(SALU_CYCLE_1)
	s_and_saveexec_b32 s1, s0
	s_cbranch_execnz .LBB532_373
.LBB532_149:
	s_sendmsg sendmsg(MSG_DEALLOC_VGPRS)
	s_endpgm
.LBB532_150:
	s_mov_b32 s0, exec_lo
	v_cmpx_ge_u32_e64 v0, v2
	s_xor_b32 s0, exec_lo, s0
	s_cbranch_execz .LBB532_156
; %bb.151:
	v_mov_b32_e32 v1, 0
	s_mov_b32 s1, exec_lo
	v_cmpx_ge_u32_e64 v0, v14
	s_xor_b32 s1, exec_lo, s1
	s_cbranch_execz .LBB532_153
; %bb.152:
	v_lshlrev_b32_e32 v15, 2, v0
	v_add_nc_u64_e32 v[16:17], v[10:11], v[0:1]
	ds_load_b32 v1, v15
	v_lshlrev_b64_e32 v[16:17], 2, v[16:17]
	s_delay_alu instid0(VALU_DEP_1)
	v_sub_nc_u64_e32 v[16:17], s[26:27], v[16:17]
	s_wait_dscnt 0x0
	global_store_b32 v[16:17], v1, off offset:-4
.LBB532_153:
	s_wait_xcnt 0x0
	s_and_not1_saveexec_b32 s1, s1
	s_cbranch_execz .LBB532_155
; %bb.154:
	v_lshlrev_b32_e32 v1, 2, v0
	v_readfirstlane_b32 s2, v4
	v_readfirstlane_b32 s3, v5
	ds_load_b32 v1, v1
	s_wait_dscnt 0x0
	global_store_b32 v0, v1, s[2:3] scale_offset
.LBB532_155:
	s_wait_xcnt 0x0
	s_or_b32 exec_lo, exec_lo, s1
.LBB532_156:
	s_and_not1_saveexec_b32 s0, s0
	s_cbranch_execz .LBB532_158
; %bb.157:
	v_lshlrev_b32_e32 v1, 2, v0
	v_readfirstlane_b32 s2, v12
	v_readfirstlane_b32 s3, v13
	ds_load_b32 v1, v1
	s_wait_dscnt 0x0
	global_store_b32 v0, v1, s[2:3] scale_offset
.LBB532_158:
	s_wait_xcnt 0x0
	s_or_b32 exec_lo, exec_lo, s0
	v_or_b32_e32 v1, 0x100, v0
	s_mov_b32 s0, exec_lo
	s_delay_alu instid0(VALU_DEP_1)
	v_cmpx_ge_u32_e64 v1, v2
	s_xor_b32 s0, exec_lo, s0
	s_cbranch_execz .LBB532_164
; %bb.159:
	s_mov_b32 s1, exec_lo
	v_cmpx_ge_u32_e64 v1, v14
	s_xor_b32 s1, exec_lo, s1
	s_cbranch_execz .LBB532_161
; %bb.160:
	v_dual_mov_b32 v1, 0 :: v_dual_lshlrev_b32 v15, 2, v0
	s_delay_alu instid0(VALU_DEP_1) | instskip(SKIP_2) | instid1(VALU_DEP_1)
	v_add_nc_u64_e32 v[16:17], v[10:11], v[0:1]
	ds_load_b32 v1, v15 offset:1024
	v_lshlrev_b64_e32 v[16:17], 2, v[16:17]
	v_sub_nc_u64_e32 v[16:17], s[26:27], v[16:17]
	s_wait_dscnt 0x0
	global_store_b32 v[16:17], v1, off offset:-1028
.LBB532_161:
	s_wait_xcnt 0x0
	s_and_not1_saveexec_b32 s1, s1
	s_cbranch_execz .LBB532_163
; %bb.162:
	v_lshlrev_b32_e32 v1, 2, v0
	v_readfirstlane_b32 s2, v4
	v_readfirstlane_b32 s3, v5
	ds_load_b32 v1, v1 offset:1024
	s_wait_dscnt 0x0
	global_store_b32 v0, v1, s[2:3] offset:1024 scale_offset
.LBB532_163:
	s_wait_xcnt 0x0
	s_or_b32 exec_lo, exec_lo, s1
.LBB532_164:
	s_and_not1_saveexec_b32 s0, s0
	s_cbranch_execz .LBB532_166
; %bb.165:
	v_lshlrev_b32_e32 v1, 2, v0
	v_readfirstlane_b32 s2, v12
	v_readfirstlane_b32 s3, v13
	ds_load_b32 v1, v1 offset:1024
	s_wait_dscnt 0x0
	global_store_b32 v0, v1, s[2:3] offset:1024 scale_offset
.LBB532_166:
	s_wait_xcnt 0x0
	s_or_b32 exec_lo, exec_lo, s0
	v_or_b32_e32 v1, 0x200, v0
	s_mov_b32 s0, exec_lo
	s_delay_alu instid0(VALU_DEP_1)
	v_cmpx_ge_u32_e64 v1, v2
	s_xor_b32 s0, exec_lo, s0
	s_cbranch_execz .LBB532_172
; %bb.167:
	s_mov_b32 s1, exec_lo
	v_cmpx_ge_u32_e64 v1, v14
	s_xor_b32 s1, exec_lo, s1
	s_cbranch_execz .LBB532_169
; %bb.168:
	v_dual_mov_b32 v1, 0 :: v_dual_lshlrev_b32 v15, 2, v0
	s_delay_alu instid0(VALU_DEP_1) | instskip(SKIP_2) | instid1(VALU_DEP_1)
	v_add_nc_u64_e32 v[16:17], v[10:11], v[0:1]
	ds_load_b32 v1, v15 offset:2048
	v_lshlrev_b64_e32 v[16:17], 2, v[16:17]
	v_sub_nc_u64_e32 v[16:17], s[26:27], v[16:17]
	s_wait_dscnt 0x0
	global_store_b32 v[16:17], v1, off offset:-2052
.LBB532_169:
	s_wait_xcnt 0x0
	s_and_not1_saveexec_b32 s1, s1
	s_cbranch_execz .LBB532_171
; %bb.170:
	v_lshlrev_b32_e32 v1, 2, v0
	v_readfirstlane_b32 s2, v4
	v_readfirstlane_b32 s3, v5
	ds_load_b32 v1, v1 offset:2048
	s_wait_dscnt 0x0
	global_store_b32 v0, v1, s[2:3] offset:2048 scale_offset
.LBB532_171:
	s_wait_xcnt 0x0
	s_or_b32 exec_lo, exec_lo, s1
.LBB532_172:
	s_and_not1_saveexec_b32 s0, s0
	s_cbranch_execz .LBB532_174
; %bb.173:
	v_lshlrev_b32_e32 v1, 2, v0
	v_readfirstlane_b32 s2, v12
	v_readfirstlane_b32 s3, v13
	ds_load_b32 v1, v1 offset:2048
	s_wait_dscnt 0x0
	global_store_b32 v0, v1, s[2:3] offset:2048 scale_offset
.LBB532_174:
	;; [unrolled: 47-line block ×12, first 2 shown]
	s_wait_xcnt 0x0
	s_or_b32 exec_lo, exec_lo, s0
	s_branch .LBB532_148
.LBB532_255:
	s_mov_b32 s0, exec_lo
	v_cmpx_gt_u32_e64 s6, v0
	s_cbranch_execz .LBB532_264
; %bb.256:
	s_mov_b32 s1, exec_lo
	v_cmpx_ge_u32_e64 v0, v2
	s_xor_b32 s1, exec_lo, s1
	s_cbranch_execz .LBB532_262
; %bb.257:
	v_mov_b32_e32 v1, 0
	s_mov_b32 s2, exec_lo
	v_cmpx_ge_u32_e64 v0, v14
	s_xor_b32 s2, exec_lo, s2
	s_cbranch_execz .LBB532_259
; %bb.258:
	v_lshlrev_b32_e32 v15, 2, v0
	v_add_nc_u64_e32 v[16:17], v[10:11], v[0:1]
	ds_load_b32 v1, v15
	v_lshlrev_b64_e32 v[16:17], 2, v[16:17]
	s_delay_alu instid0(VALU_DEP_1)
	v_sub_nc_u64_e32 v[16:17], s[26:27], v[16:17]
	s_wait_dscnt 0x0
	global_store_b32 v[16:17], v1, off offset:-4
.LBB532_259:
	s_wait_xcnt 0x0
	s_and_not1_saveexec_b32 s2, s2
	s_cbranch_execz .LBB532_261
; %bb.260:
	v_lshlrev_b32_e32 v1, 2, v0
	v_readfirstlane_b32 s4, v4
	v_readfirstlane_b32 s5, v5
	ds_load_b32 v1, v1
	s_wait_dscnt 0x0
	global_store_b32 v0, v1, s[4:5] scale_offset
.LBB532_261:
	s_wait_xcnt 0x0
	s_or_b32 exec_lo, exec_lo, s2
.LBB532_262:
	s_and_not1_saveexec_b32 s1, s1
	s_cbranch_execz .LBB532_264
; %bb.263:
	v_lshlrev_b32_e32 v1, 2, v0
	v_readfirstlane_b32 s2, v12
	v_readfirstlane_b32 s3, v13
	ds_load_b32 v1, v1
	s_wait_dscnt 0x0
	global_store_b32 v0, v1, s[2:3] scale_offset
.LBB532_264:
	s_wait_xcnt 0x0
	s_or_b32 exec_lo, exec_lo, s0
	v_or_b32_e32 v1, 0x100, v0
	s_mov_b32 s0, exec_lo
	s_delay_alu instid0(VALU_DEP_1)
	v_cmpx_gt_u32_e64 s6, v1
	s_cbranch_execz .LBB532_273
; %bb.265:
	s_mov_b32 s1, exec_lo
	v_cmpx_ge_u32_e64 v1, v2
	s_xor_b32 s1, exec_lo, s1
	s_cbranch_execz .LBB532_271
; %bb.266:
	s_mov_b32 s2, exec_lo
	v_cmpx_ge_u32_e64 v1, v14
	s_xor_b32 s2, exec_lo, s2
	s_cbranch_execz .LBB532_268
; %bb.267:
	v_dual_mov_b32 v1, 0 :: v_dual_lshlrev_b32 v15, 2, v0
	s_delay_alu instid0(VALU_DEP_1) | instskip(SKIP_2) | instid1(VALU_DEP_1)
	v_add_nc_u64_e32 v[16:17], v[10:11], v[0:1]
	ds_load_b32 v1, v15 offset:1024
	v_lshlrev_b64_e32 v[16:17], 2, v[16:17]
	v_sub_nc_u64_e32 v[16:17], s[26:27], v[16:17]
	s_wait_dscnt 0x0
	global_store_b32 v[16:17], v1, off offset:-1028
.LBB532_268:
	s_wait_xcnt 0x0
	s_and_not1_saveexec_b32 s2, s2
	s_cbranch_execz .LBB532_270
; %bb.269:
	v_lshlrev_b32_e32 v1, 2, v0
	v_readfirstlane_b32 s4, v4
	v_readfirstlane_b32 s5, v5
	ds_load_b32 v1, v1 offset:1024
	s_wait_dscnt 0x0
	global_store_b32 v0, v1, s[4:5] offset:1024 scale_offset
.LBB532_270:
	s_wait_xcnt 0x0
	s_or_b32 exec_lo, exec_lo, s2
.LBB532_271:
	s_and_not1_saveexec_b32 s1, s1
	s_cbranch_execz .LBB532_273
; %bb.272:
	v_lshlrev_b32_e32 v1, 2, v0
	v_readfirstlane_b32 s2, v12
	v_readfirstlane_b32 s3, v13
	ds_load_b32 v1, v1 offset:1024
	s_wait_dscnt 0x0
	global_store_b32 v0, v1, s[2:3] offset:1024 scale_offset
.LBB532_273:
	s_wait_xcnt 0x0
	s_or_b32 exec_lo, exec_lo, s0
	v_or_b32_e32 v1, 0x200, v0
	s_mov_b32 s0, exec_lo
	s_delay_alu instid0(VALU_DEP_1)
	v_cmpx_gt_u32_e64 s6, v1
	s_cbranch_execz .LBB532_282
; %bb.274:
	s_mov_b32 s1, exec_lo
	v_cmpx_ge_u32_e64 v1, v2
	s_xor_b32 s1, exec_lo, s1
	s_cbranch_execz .LBB532_280
; %bb.275:
	s_mov_b32 s2, exec_lo
	v_cmpx_ge_u32_e64 v1, v14
	s_xor_b32 s2, exec_lo, s2
	s_cbranch_execz .LBB532_277
; %bb.276:
	v_dual_mov_b32 v1, 0 :: v_dual_lshlrev_b32 v15, 2, v0
	s_delay_alu instid0(VALU_DEP_1) | instskip(SKIP_2) | instid1(VALU_DEP_1)
	v_add_nc_u64_e32 v[16:17], v[10:11], v[0:1]
	ds_load_b32 v1, v15 offset:2048
	v_lshlrev_b64_e32 v[16:17], 2, v[16:17]
	v_sub_nc_u64_e32 v[16:17], s[26:27], v[16:17]
	s_wait_dscnt 0x0
	global_store_b32 v[16:17], v1, off offset:-2052
.LBB532_277:
	s_wait_xcnt 0x0
	s_and_not1_saveexec_b32 s2, s2
	s_cbranch_execz .LBB532_279
; %bb.278:
	v_lshlrev_b32_e32 v1, 2, v0
	v_readfirstlane_b32 s4, v4
	v_readfirstlane_b32 s5, v5
	ds_load_b32 v1, v1 offset:2048
	s_wait_dscnt 0x0
	global_store_b32 v0, v1, s[4:5] offset:2048 scale_offset
.LBB532_279:
	s_wait_xcnt 0x0
	s_or_b32 exec_lo, exec_lo, s2
.LBB532_280:
	s_and_not1_saveexec_b32 s1, s1
	s_cbranch_execz .LBB532_282
; %bb.281:
	v_lshlrev_b32_e32 v1, 2, v0
	v_readfirstlane_b32 s2, v12
	v_readfirstlane_b32 s3, v13
	ds_load_b32 v1, v1 offset:2048
	s_wait_dscnt 0x0
	global_store_b32 v0, v1, s[2:3] offset:2048 scale_offset
.LBB532_282:
	;; [unrolled: 51-line block ×11, first 2 shown]
	s_wait_xcnt 0x0
	s_or_b32 exec_lo, exec_lo, s0
	v_or_b32_e32 v1, 0xc00, v0
	s_mov_b32 s0, exec_lo
	s_delay_alu instid0(VALU_DEP_1)
	v_cmpx_gt_u32_e64 s6, v1
	s_cbranch_execz .LBB532_372
; %bb.364:
	s_mov_b32 s1, exec_lo
	v_cmpx_ge_u32_e64 v1, v2
	s_xor_b32 s1, exec_lo, s1
	s_cbranch_execz .LBB532_370
; %bb.365:
	s_mov_b32 s2, exec_lo
	v_cmpx_ge_u32_e64 v1, v14
	s_xor_b32 s2, exec_lo, s2
	s_cbranch_execz .LBB532_367
; %bb.366:
	v_dual_mov_b32 v1, 0 :: v_dual_lshlrev_b32 v12, 2, v0
	s_delay_alu instid0(VALU_DEP_1) | instskip(SKIP_2) | instid1(VALU_DEP_1)
	v_add_nc_u64_e32 v[4:5], v[10:11], v[0:1]
	ds_load_b32 v1, v12 offset:12288
	v_lshlrev_b64_e32 v[4:5], 2, v[4:5]
	v_sub_nc_u64_e32 v[4:5], s[26:27], v[4:5]
	s_wait_dscnt 0x0
	global_store_b32 v[4:5], v1, off offset:-12292
                                        ; implicit-def: $vgpr4_vgpr5
.LBB532_367:
	s_wait_xcnt 0x0
	s_and_not1_saveexec_b32 s2, s2
	s_cbranch_execz .LBB532_369
; %bb.368:
	v_lshlrev_b32_e32 v1, 2, v0
	v_readfirstlane_b32 s4, v4
	v_readfirstlane_b32 s5, v5
	ds_load_b32 v1, v1 offset:12288
	s_wait_dscnt 0x0
	global_store_b32 v0, v1, s[4:5] offset:12288 scale_offset
.LBB532_369:
	s_wait_xcnt 0x0
	s_or_b32 exec_lo, exec_lo, s2
                                        ; implicit-def: $vgpr12_vgpr13
.LBB532_370:
	s_and_not1_saveexec_b32 s1, s1
	s_cbranch_execz .LBB532_372
; %bb.371:
	v_lshlrev_b32_e32 v1, 2, v0
	v_readfirstlane_b32 s2, v12
	v_readfirstlane_b32 s3, v13
	ds_load_b32 v1, v1 offset:12288
	s_wait_dscnt 0x0
	global_store_b32 v0, v1, s[2:3] offset:12288 scale_offset
.LBB532_372:
	s_wait_xcnt 0x0
	s_or_b32 exec_lo, exec_lo, s0
	v_cmp_eq_u32_e32 vcc_lo, 0, v0
	s_and_b32 s0, vcc_lo, s15
	s_delay_alu instid0(SALU_CYCLE_1)
	s_and_saveexec_b32 s1, s0
	s_cbranch_execz .LBB532_149
.LBB532_373:
	v_add_nc_u64_e32 v[0:1], s[30:31], v[8:9]
	v_add_nc_u64_e32 v[2:3], v[22:23], v[2:3]
	s_delay_alu instid0(VALU_DEP_2)
	v_add_nc_u64_e32 v[4:5], v[0:1], v[6:7]
	v_mov_b32_e32 v0, 0
	global_store_b128 v0, v[2:5], s[24:25]
	s_sendmsg sendmsg(MSG_DEALLOC_VGPRS)
	s_endpgm
	.section	.rodata,"a",@progbits
	.p2align	6, 0x0
	.amdhsa_kernel _ZN7rocprim17ROCPRIM_400000_NS6detail17trampoline_kernelINS0_13select_configILj256ELj13ELNS0_17block_load_methodE3ELS4_3ELS4_3ELNS0_20block_scan_algorithmE0ELj4294967295EEENS1_25partition_config_selectorILNS1_17partition_subalgoE4EjNS0_10empty_typeEbEEZZNS1_14partition_implILS8_4ELb0ES6_15HIP_vector_typeIjLj2EENS0_17counting_iteratorIjlEEPS9_SG_NS0_5tupleIJPjSI_NS0_16reverse_iteratorISI_EEEEENSH_IJSG_SG_SG_EEES9_SI_JZNS1_25segmented_radix_sort_implINS0_14default_configELb0EPKiPiPKlPlN2at6native12_GLOBAL__N_18offset_tEEE10hipError_tPvRmT1_PNSt15iterator_traitsIS12_E10value_typeET2_T3_PNS13_IS18_E10value_typeET4_jRbjT5_S1E_jjP12ihipStream_tbEUljE_ZNSN_ISO_Lb0ESQ_SR_ST_SU_SY_EESZ_S10_S11_S12_S16_S17_S18_S1B_S1C_jS1D_jS1E_S1E_jjS1G_bEUljE0_EEESZ_S10_S11_S18_S1C_S1E_T6_T7_T9_mT8_S1G_bDpT10_ENKUlT_T0_E_clISt17integral_constantIbLb0EES1U_EEDaS1P_S1Q_EUlS1P_E_NS1_11comp_targetILNS1_3genE0ELNS1_11target_archE4294967295ELNS1_3gpuE0ELNS1_3repE0EEENS1_30default_config_static_selectorELNS0_4arch9wavefront6targetE0EEEvS12_
		.amdhsa_group_segment_fixed_size 13328
		.amdhsa_private_segment_fixed_size 0
		.amdhsa_kernarg_size 176
		.amdhsa_user_sgpr_count 2
		.amdhsa_user_sgpr_dispatch_ptr 0
		.amdhsa_user_sgpr_queue_ptr 0
		.amdhsa_user_sgpr_kernarg_segment_ptr 1
		.amdhsa_user_sgpr_dispatch_id 0
		.amdhsa_user_sgpr_kernarg_preload_length 0
		.amdhsa_user_sgpr_kernarg_preload_offset 0
		.amdhsa_user_sgpr_private_segment_size 0
		.amdhsa_wavefront_size32 1
		.amdhsa_uses_dynamic_stack 0
		.amdhsa_enable_private_segment 0
		.amdhsa_system_sgpr_workgroup_id_x 1
		.amdhsa_system_sgpr_workgroup_id_y 0
		.amdhsa_system_sgpr_workgroup_id_z 0
		.amdhsa_system_sgpr_workgroup_info 0
		.amdhsa_system_vgpr_workitem_id 0
		.amdhsa_next_free_vgpr 81
		.amdhsa_next_free_sgpr 59
		.amdhsa_named_barrier_count 0
		.amdhsa_reserve_vcc 1
		.amdhsa_float_round_mode_32 0
		.amdhsa_float_round_mode_16_64 0
		.amdhsa_float_denorm_mode_32 3
		.amdhsa_float_denorm_mode_16_64 3
		.amdhsa_fp16_overflow 0
		.amdhsa_memory_ordered 1
		.amdhsa_forward_progress 1
		.amdhsa_inst_pref_size 139
		.amdhsa_round_robin_scheduling 0
		.amdhsa_exception_fp_ieee_invalid_op 0
		.amdhsa_exception_fp_denorm_src 0
		.amdhsa_exception_fp_ieee_div_zero 0
		.amdhsa_exception_fp_ieee_overflow 0
		.amdhsa_exception_fp_ieee_underflow 0
		.amdhsa_exception_fp_ieee_inexact 0
		.amdhsa_exception_int_div_zero 0
	.end_amdhsa_kernel
	.section	.text._ZN7rocprim17ROCPRIM_400000_NS6detail17trampoline_kernelINS0_13select_configILj256ELj13ELNS0_17block_load_methodE3ELS4_3ELS4_3ELNS0_20block_scan_algorithmE0ELj4294967295EEENS1_25partition_config_selectorILNS1_17partition_subalgoE4EjNS0_10empty_typeEbEEZZNS1_14partition_implILS8_4ELb0ES6_15HIP_vector_typeIjLj2EENS0_17counting_iteratorIjlEEPS9_SG_NS0_5tupleIJPjSI_NS0_16reverse_iteratorISI_EEEEENSH_IJSG_SG_SG_EEES9_SI_JZNS1_25segmented_radix_sort_implINS0_14default_configELb0EPKiPiPKlPlN2at6native12_GLOBAL__N_18offset_tEEE10hipError_tPvRmT1_PNSt15iterator_traitsIS12_E10value_typeET2_T3_PNS13_IS18_E10value_typeET4_jRbjT5_S1E_jjP12ihipStream_tbEUljE_ZNSN_ISO_Lb0ESQ_SR_ST_SU_SY_EESZ_S10_S11_S12_S16_S17_S18_S1B_S1C_jS1D_jS1E_S1E_jjS1G_bEUljE0_EEESZ_S10_S11_S18_S1C_S1E_T6_T7_T9_mT8_S1G_bDpT10_ENKUlT_T0_E_clISt17integral_constantIbLb0EES1U_EEDaS1P_S1Q_EUlS1P_E_NS1_11comp_targetILNS1_3genE0ELNS1_11target_archE4294967295ELNS1_3gpuE0ELNS1_3repE0EEENS1_30default_config_static_selectorELNS0_4arch9wavefront6targetE0EEEvS12_,"axG",@progbits,_ZN7rocprim17ROCPRIM_400000_NS6detail17trampoline_kernelINS0_13select_configILj256ELj13ELNS0_17block_load_methodE3ELS4_3ELS4_3ELNS0_20block_scan_algorithmE0ELj4294967295EEENS1_25partition_config_selectorILNS1_17partition_subalgoE4EjNS0_10empty_typeEbEEZZNS1_14partition_implILS8_4ELb0ES6_15HIP_vector_typeIjLj2EENS0_17counting_iteratorIjlEEPS9_SG_NS0_5tupleIJPjSI_NS0_16reverse_iteratorISI_EEEEENSH_IJSG_SG_SG_EEES9_SI_JZNS1_25segmented_radix_sort_implINS0_14default_configELb0EPKiPiPKlPlN2at6native12_GLOBAL__N_18offset_tEEE10hipError_tPvRmT1_PNSt15iterator_traitsIS12_E10value_typeET2_T3_PNS13_IS18_E10value_typeET4_jRbjT5_S1E_jjP12ihipStream_tbEUljE_ZNSN_ISO_Lb0ESQ_SR_ST_SU_SY_EESZ_S10_S11_S12_S16_S17_S18_S1B_S1C_jS1D_jS1E_S1E_jjS1G_bEUljE0_EEESZ_S10_S11_S18_S1C_S1E_T6_T7_T9_mT8_S1G_bDpT10_ENKUlT_T0_E_clISt17integral_constantIbLb0EES1U_EEDaS1P_S1Q_EUlS1P_E_NS1_11comp_targetILNS1_3genE0ELNS1_11target_archE4294967295ELNS1_3gpuE0ELNS1_3repE0EEENS1_30default_config_static_selectorELNS0_4arch9wavefront6targetE0EEEvS12_,comdat
.Lfunc_end532:
	.size	_ZN7rocprim17ROCPRIM_400000_NS6detail17trampoline_kernelINS0_13select_configILj256ELj13ELNS0_17block_load_methodE3ELS4_3ELS4_3ELNS0_20block_scan_algorithmE0ELj4294967295EEENS1_25partition_config_selectorILNS1_17partition_subalgoE4EjNS0_10empty_typeEbEEZZNS1_14partition_implILS8_4ELb0ES6_15HIP_vector_typeIjLj2EENS0_17counting_iteratorIjlEEPS9_SG_NS0_5tupleIJPjSI_NS0_16reverse_iteratorISI_EEEEENSH_IJSG_SG_SG_EEES9_SI_JZNS1_25segmented_radix_sort_implINS0_14default_configELb0EPKiPiPKlPlN2at6native12_GLOBAL__N_18offset_tEEE10hipError_tPvRmT1_PNSt15iterator_traitsIS12_E10value_typeET2_T3_PNS13_IS18_E10value_typeET4_jRbjT5_S1E_jjP12ihipStream_tbEUljE_ZNSN_ISO_Lb0ESQ_SR_ST_SU_SY_EESZ_S10_S11_S12_S16_S17_S18_S1B_S1C_jS1D_jS1E_S1E_jjS1G_bEUljE0_EEESZ_S10_S11_S18_S1C_S1E_T6_T7_T9_mT8_S1G_bDpT10_ENKUlT_T0_E_clISt17integral_constantIbLb0EES1U_EEDaS1P_S1Q_EUlS1P_E_NS1_11comp_targetILNS1_3genE0ELNS1_11target_archE4294967295ELNS1_3gpuE0ELNS1_3repE0EEENS1_30default_config_static_selectorELNS0_4arch9wavefront6targetE0EEEvS12_, .Lfunc_end532-_ZN7rocprim17ROCPRIM_400000_NS6detail17trampoline_kernelINS0_13select_configILj256ELj13ELNS0_17block_load_methodE3ELS4_3ELS4_3ELNS0_20block_scan_algorithmE0ELj4294967295EEENS1_25partition_config_selectorILNS1_17partition_subalgoE4EjNS0_10empty_typeEbEEZZNS1_14partition_implILS8_4ELb0ES6_15HIP_vector_typeIjLj2EENS0_17counting_iteratorIjlEEPS9_SG_NS0_5tupleIJPjSI_NS0_16reverse_iteratorISI_EEEEENSH_IJSG_SG_SG_EEES9_SI_JZNS1_25segmented_radix_sort_implINS0_14default_configELb0EPKiPiPKlPlN2at6native12_GLOBAL__N_18offset_tEEE10hipError_tPvRmT1_PNSt15iterator_traitsIS12_E10value_typeET2_T3_PNS13_IS18_E10value_typeET4_jRbjT5_S1E_jjP12ihipStream_tbEUljE_ZNSN_ISO_Lb0ESQ_SR_ST_SU_SY_EESZ_S10_S11_S12_S16_S17_S18_S1B_S1C_jS1D_jS1E_S1E_jjS1G_bEUljE0_EEESZ_S10_S11_S18_S1C_S1E_T6_T7_T9_mT8_S1G_bDpT10_ENKUlT_T0_E_clISt17integral_constantIbLb0EES1U_EEDaS1P_S1Q_EUlS1P_E_NS1_11comp_targetILNS1_3genE0ELNS1_11target_archE4294967295ELNS1_3gpuE0ELNS1_3repE0EEENS1_30default_config_static_selectorELNS0_4arch9wavefront6targetE0EEEvS12_
                                        ; -- End function
	.set _ZN7rocprim17ROCPRIM_400000_NS6detail17trampoline_kernelINS0_13select_configILj256ELj13ELNS0_17block_load_methodE3ELS4_3ELS4_3ELNS0_20block_scan_algorithmE0ELj4294967295EEENS1_25partition_config_selectorILNS1_17partition_subalgoE4EjNS0_10empty_typeEbEEZZNS1_14partition_implILS8_4ELb0ES6_15HIP_vector_typeIjLj2EENS0_17counting_iteratorIjlEEPS9_SG_NS0_5tupleIJPjSI_NS0_16reverse_iteratorISI_EEEEENSH_IJSG_SG_SG_EEES9_SI_JZNS1_25segmented_radix_sort_implINS0_14default_configELb0EPKiPiPKlPlN2at6native12_GLOBAL__N_18offset_tEEE10hipError_tPvRmT1_PNSt15iterator_traitsIS12_E10value_typeET2_T3_PNS13_IS18_E10value_typeET4_jRbjT5_S1E_jjP12ihipStream_tbEUljE_ZNSN_ISO_Lb0ESQ_SR_ST_SU_SY_EESZ_S10_S11_S12_S16_S17_S18_S1B_S1C_jS1D_jS1E_S1E_jjS1G_bEUljE0_EEESZ_S10_S11_S18_S1C_S1E_T6_T7_T9_mT8_S1G_bDpT10_ENKUlT_T0_E_clISt17integral_constantIbLb0EES1U_EEDaS1P_S1Q_EUlS1P_E_NS1_11comp_targetILNS1_3genE0ELNS1_11target_archE4294967295ELNS1_3gpuE0ELNS1_3repE0EEENS1_30default_config_static_selectorELNS0_4arch9wavefront6targetE0EEEvS12_.num_vgpr, 81
	.set _ZN7rocprim17ROCPRIM_400000_NS6detail17trampoline_kernelINS0_13select_configILj256ELj13ELNS0_17block_load_methodE3ELS4_3ELS4_3ELNS0_20block_scan_algorithmE0ELj4294967295EEENS1_25partition_config_selectorILNS1_17partition_subalgoE4EjNS0_10empty_typeEbEEZZNS1_14partition_implILS8_4ELb0ES6_15HIP_vector_typeIjLj2EENS0_17counting_iteratorIjlEEPS9_SG_NS0_5tupleIJPjSI_NS0_16reverse_iteratorISI_EEEEENSH_IJSG_SG_SG_EEES9_SI_JZNS1_25segmented_radix_sort_implINS0_14default_configELb0EPKiPiPKlPlN2at6native12_GLOBAL__N_18offset_tEEE10hipError_tPvRmT1_PNSt15iterator_traitsIS12_E10value_typeET2_T3_PNS13_IS18_E10value_typeET4_jRbjT5_S1E_jjP12ihipStream_tbEUljE_ZNSN_ISO_Lb0ESQ_SR_ST_SU_SY_EESZ_S10_S11_S12_S16_S17_S18_S1B_S1C_jS1D_jS1E_S1E_jjS1G_bEUljE0_EEESZ_S10_S11_S18_S1C_S1E_T6_T7_T9_mT8_S1G_bDpT10_ENKUlT_T0_E_clISt17integral_constantIbLb0EES1U_EEDaS1P_S1Q_EUlS1P_E_NS1_11comp_targetILNS1_3genE0ELNS1_11target_archE4294967295ELNS1_3gpuE0ELNS1_3repE0EEENS1_30default_config_static_selectorELNS0_4arch9wavefront6targetE0EEEvS12_.num_agpr, 0
	.set _ZN7rocprim17ROCPRIM_400000_NS6detail17trampoline_kernelINS0_13select_configILj256ELj13ELNS0_17block_load_methodE3ELS4_3ELS4_3ELNS0_20block_scan_algorithmE0ELj4294967295EEENS1_25partition_config_selectorILNS1_17partition_subalgoE4EjNS0_10empty_typeEbEEZZNS1_14partition_implILS8_4ELb0ES6_15HIP_vector_typeIjLj2EENS0_17counting_iteratorIjlEEPS9_SG_NS0_5tupleIJPjSI_NS0_16reverse_iteratorISI_EEEEENSH_IJSG_SG_SG_EEES9_SI_JZNS1_25segmented_radix_sort_implINS0_14default_configELb0EPKiPiPKlPlN2at6native12_GLOBAL__N_18offset_tEEE10hipError_tPvRmT1_PNSt15iterator_traitsIS12_E10value_typeET2_T3_PNS13_IS18_E10value_typeET4_jRbjT5_S1E_jjP12ihipStream_tbEUljE_ZNSN_ISO_Lb0ESQ_SR_ST_SU_SY_EESZ_S10_S11_S12_S16_S17_S18_S1B_S1C_jS1D_jS1E_S1E_jjS1G_bEUljE0_EEESZ_S10_S11_S18_S1C_S1E_T6_T7_T9_mT8_S1G_bDpT10_ENKUlT_T0_E_clISt17integral_constantIbLb0EES1U_EEDaS1P_S1Q_EUlS1P_E_NS1_11comp_targetILNS1_3genE0ELNS1_11target_archE4294967295ELNS1_3gpuE0ELNS1_3repE0EEENS1_30default_config_static_selectorELNS0_4arch9wavefront6targetE0EEEvS12_.numbered_sgpr, 59
	.set _ZN7rocprim17ROCPRIM_400000_NS6detail17trampoline_kernelINS0_13select_configILj256ELj13ELNS0_17block_load_methodE3ELS4_3ELS4_3ELNS0_20block_scan_algorithmE0ELj4294967295EEENS1_25partition_config_selectorILNS1_17partition_subalgoE4EjNS0_10empty_typeEbEEZZNS1_14partition_implILS8_4ELb0ES6_15HIP_vector_typeIjLj2EENS0_17counting_iteratorIjlEEPS9_SG_NS0_5tupleIJPjSI_NS0_16reverse_iteratorISI_EEEEENSH_IJSG_SG_SG_EEES9_SI_JZNS1_25segmented_radix_sort_implINS0_14default_configELb0EPKiPiPKlPlN2at6native12_GLOBAL__N_18offset_tEEE10hipError_tPvRmT1_PNSt15iterator_traitsIS12_E10value_typeET2_T3_PNS13_IS18_E10value_typeET4_jRbjT5_S1E_jjP12ihipStream_tbEUljE_ZNSN_ISO_Lb0ESQ_SR_ST_SU_SY_EESZ_S10_S11_S12_S16_S17_S18_S1B_S1C_jS1D_jS1E_S1E_jjS1G_bEUljE0_EEESZ_S10_S11_S18_S1C_S1E_T6_T7_T9_mT8_S1G_bDpT10_ENKUlT_T0_E_clISt17integral_constantIbLb0EES1U_EEDaS1P_S1Q_EUlS1P_E_NS1_11comp_targetILNS1_3genE0ELNS1_11target_archE4294967295ELNS1_3gpuE0ELNS1_3repE0EEENS1_30default_config_static_selectorELNS0_4arch9wavefront6targetE0EEEvS12_.num_named_barrier, 0
	.set _ZN7rocprim17ROCPRIM_400000_NS6detail17trampoline_kernelINS0_13select_configILj256ELj13ELNS0_17block_load_methodE3ELS4_3ELS4_3ELNS0_20block_scan_algorithmE0ELj4294967295EEENS1_25partition_config_selectorILNS1_17partition_subalgoE4EjNS0_10empty_typeEbEEZZNS1_14partition_implILS8_4ELb0ES6_15HIP_vector_typeIjLj2EENS0_17counting_iteratorIjlEEPS9_SG_NS0_5tupleIJPjSI_NS0_16reverse_iteratorISI_EEEEENSH_IJSG_SG_SG_EEES9_SI_JZNS1_25segmented_radix_sort_implINS0_14default_configELb0EPKiPiPKlPlN2at6native12_GLOBAL__N_18offset_tEEE10hipError_tPvRmT1_PNSt15iterator_traitsIS12_E10value_typeET2_T3_PNS13_IS18_E10value_typeET4_jRbjT5_S1E_jjP12ihipStream_tbEUljE_ZNSN_ISO_Lb0ESQ_SR_ST_SU_SY_EESZ_S10_S11_S12_S16_S17_S18_S1B_S1C_jS1D_jS1E_S1E_jjS1G_bEUljE0_EEESZ_S10_S11_S18_S1C_S1E_T6_T7_T9_mT8_S1G_bDpT10_ENKUlT_T0_E_clISt17integral_constantIbLb0EES1U_EEDaS1P_S1Q_EUlS1P_E_NS1_11comp_targetILNS1_3genE0ELNS1_11target_archE4294967295ELNS1_3gpuE0ELNS1_3repE0EEENS1_30default_config_static_selectorELNS0_4arch9wavefront6targetE0EEEvS12_.private_seg_size, 0
	.set _ZN7rocprim17ROCPRIM_400000_NS6detail17trampoline_kernelINS0_13select_configILj256ELj13ELNS0_17block_load_methodE3ELS4_3ELS4_3ELNS0_20block_scan_algorithmE0ELj4294967295EEENS1_25partition_config_selectorILNS1_17partition_subalgoE4EjNS0_10empty_typeEbEEZZNS1_14partition_implILS8_4ELb0ES6_15HIP_vector_typeIjLj2EENS0_17counting_iteratorIjlEEPS9_SG_NS0_5tupleIJPjSI_NS0_16reverse_iteratorISI_EEEEENSH_IJSG_SG_SG_EEES9_SI_JZNS1_25segmented_radix_sort_implINS0_14default_configELb0EPKiPiPKlPlN2at6native12_GLOBAL__N_18offset_tEEE10hipError_tPvRmT1_PNSt15iterator_traitsIS12_E10value_typeET2_T3_PNS13_IS18_E10value_typeET4_jRbjT5_S1E_jjP12ihipStream_tbEUljE_ZNSN_ISO_Lb0ESQ_SR_ST_SU_SY_EESZ_S10_S11_S12_S16_S17_S18_S1B_S1C_jS1D_jS1E_S1E_jjS1G_bEUljE0_EEESZ_S10_S11_S18_S1C_S1E_T6_T7_T9_mT8_S1G_bDpT10_ENKUlT_T0_E_clISt17integral_constantIbLb0EES1U_EEDaS1P_S1Q_EUlS1P_E_NS1_11comp_targetILNS1_3genE0ELNS1_11target_archE4294967295ELNS1_3gpuE0ELNS1_3repE0EEENS1_30default_config_static_selectorELNS0_4arch9wavefront6targetE0EEEvS12_.uses_vcc, 1
	.set _ZN7rocprim17ROCPRIM_400000_NS6detail17trampoline_kernelINS0_13select_configILj256ELj13ELNS0_17block_load_methodE3ELS4_3ELS4_3ELNS0_20block_scan_algorithmE0ELj4294967295EEENS1_25partition_config_selectorILNS1_17partition_subalgoE4EjNS0_10empty_typeEbEEZZNS1_14partition_implILS8_4ELb0ES6_15HIP_vector_typeIjLj2EENS0_17counting_iteratorIjlEEPS9_SG_NS0_5tupleIJPjSI_NS0_16reverse_iteratorISI_EEEEENSH_IJSG_SG_SG_EEES9_SI_JZNS1_25segmented_radix_sort_implINS0_14default_configELb0EPKiPiPKlPlN2at6native12_GLOBAL__N_18offset_tEEE10hipError_tPvRmT1_PNSt15iterator_traitsIS12_E10value_typeET2_T3_PNS13_IS18_E10value_typeET4_jRbjT5_S1E_jjP12ihipStream_tbEUljE_ZNSN_ISO_Lb0ESQ_SR_ST_SU_SY_EESZ_S10_S11_S12_S16_S17_S18_S1B_S1C_jS1D_jS1E_S1E_jjS1G_bEUljE0_EEESZ_S10_S11_S18_S1C_S1E_T6_T7_T9_mT8_S1G_bDpT10_ENKUlT_T0_E_clISt17integral_constantIbLb0EES1U_EEDaS1P_S1Q_EUlS1P_E_NS1_11comp_targetILNS1_3genE0ELNS1_11target_archE4294967295ELNS1_3gpuE0ELNS1_3repE0EEENS1_30default_config_static_selectorELNS0_4arch9wavefront6targetE0EEEvS12_.uses_flat_scratch, 0
	.set _ZN7rocprim17ROCPRIM_400000_NS6detail17trampoline_kernelINS0_13select_configILj256ELj13ELNS0_17block_load_methodE3ELS4_3ELS4_3ELNS0_20block_scan_algorithmE0ELj4294967295EEENS1_25partition_config_selectorILNS1_17partition_subalgoE4EjNS0_10empty_typeEbEEZZNS1_14partition_implILS8_4ELb0ES6_15HIP_vector_typeIjLj2EENS0_17counting_iteratorIjlEEPS9_SG_NS0_5tupleIJPjSI_NS0_16reverse_iteratorISI_EEEEENSH_IJSG_SG_SG_EEES9_SI_JZNS1_25segmented_radix_sort_implINS0_14default_configELb0EPKiPiPKlPlN2at6native12_GLOBAL__N_18offset_tEEE10hipError_tPvRmT1_PNSt15iterator_traitsIS12_E10value_typeET2_T3_PNS13_IS18_E10value_typeET4_jRbjT5_S1E_jjP12ihipStream_tbEUljE_ZNSN_ISO_Lb0ESQ_SR_ST_SU_SY_EESZ_S10_S11_S12_S16_S17_S18_S1B_S1C_jS1D_jS1E_S1E_jjS1G_bEUljE0_EEESZ_S10_S11_S18_S1C_S1E_T6_T7_T9_mT8_S1G_bDpT10_ENKUlT_T0_E_clISt17integral_constantIbLb0EES1U_EEDaS1P_S1Q_EUlS1P_E_NS1_11comp_targetILNS1_3genE0ELNS1_11target_archE4294967295ELNS1_3gpuE0ELNS1_3repE0EEENS1_30default_config_static_selectorELNS0_4arch9wavefront6targetE0EEEvS12_.has_dyn_sized_stack, 0
	.set _ZN7rocprim17ROCPRIM_400000_NS6detail17trampoline_kernelINS0_13select_configILj256ELj13ELNS0_17block_load_methodE3ELS4_3ELS4_3ELNS0_20block_scan_algorithmE0ELj4294967295EEENS1_25partition_config_selectorILNS1_17partition_subalgoE4EjNS0_10empty_typeEbEEZZNS1_14partition_implILS8_4ELb0ES6_15HIP_vector_typeIjLj2EENS0_17counting_iteratorIjlEEPS9_SG_NS0_5tupleIJPjSI_NS0_16reverse_iteratorISI_EEEEENSH_IJSG_SG_SG_EEES9_SI_JZNS1_25segmented_radix_sort_implINS0_14default_configELb0EPKiPiPKlPlN2at6native12_GLOBAL__N_18offset_tEEE10hipError_tPvRmT1_PNSt15iterator_traitsIS12_E10value_typeET2_T3_PNS13_IS18_E10value_typeET4_jRbjT5_S1E_jjP12ihipStream_tbEUljE_ZNSN_ISO_Lb0ESQ_SR_ST_SU_SY_EESZ_S10_S11_S12_S16_S17_S18_S1B_S1C_jS1D_jS1E_S1E_jjS1G_bEUljE0_EEESZ_S10_S11_S18_S1C_S1E_T6_T7_T9_mT8_S1G_bDpT10_ENKUlT_T0_E_clISt17integral_constantIbLb0EES1U_EEDaS1P_S1Q_EUlS1P_E_NS1_11comp_targetILNS1_3genE0ELNS1_11target_archE4294967295ELNS1_3gpuE0ELNS1_3repE0EEENS1_30default_config_static_selectorELNS0_4arch9wavefront6targetE0EEEvS12_.has_recursion, 0
	.set _ZN7rocprim17ROCPRIM_400000_NS6detail17trampoline_kernelINS0_13select_configILj256ELj13ELNS0_17block_load_methodE3ELS4_3ELS4_3ELNS0_20block_scan_algorithmE0ELj4294967295EEENS1_25partition_config_selectorILNS1_17partition_subalgoE4EjNS0_10empty_typeEbEEZZNS1_14partition_implILS8_4ELb0ES6_15HIP_vector_typeIjLj2EENS0_17counting_iteratorIjlEEPS9_SG_NS0_5tupleIJPjSI_NS0_16reverse_iteratorISI_EEEEENSH_IJSG_SG_SG_EEES9_SI_JZNS1_25segmented_radix_sort_implINS0_14default_configELb0EPKiPiPKlPlN2at6native12_GLOBAL__N_18offset_tEEE10hipError_tPvRmT1_PNSt15iterator_traitsIS12_E10value_typeET2_T3_PNS13_IS18_E10value_typeET4_jRbjT5_S1E_jjP12ihipStream_tbEUljE_ZNSN_ISO_Lb0ESQ_SR_ST_SU_SY_EESZ_S10_S11_S12_S16_S17_S18_S1B_S1C_jS1D_jS1E_S1E_jjS1G_bEUljE0_EEESZ_S10_S11_S18_S1C_S1E_T6_T7_T9_mT8_S1G_bDpT10_ENKUlT_T0_E_clISt17integral_constantIbLb0EES1U_EEDaS1P_S1Q_EUlS1P_E_NS1_11comp_targetILNS1_3genE0ELNS1_11target_archE4294967295ELNS1_3gpuE0ELNS1_3repE0EEENS1_30default_config_static_selectorELNS0_4arch9wavefront6targetE0EEEvS12_.has_indirect_call, 0
	.section	.AMDGPU.csdata,"",@progbits
; Kernel info:
; codeLenInByte = 17784
; TotalNumSgprs: 61
; NumVgprs: 81
; ScratchSize: 0
; MemoryBound: 0
; FloatMode: 240
; IeeeMode: 1
; LDSByteSize: 13328 bytes/workgroup (compile time only)
; SGPRBlocks: 0
; VGPRBlocks: 5
; NumSGPRsForWavesPerEU: 61
; NumVGPRsForWavesPerEU: 81
; NamedBarCnt: 0
; Occupancy: 10
; WaveLimiterHint : 1
; COMPUTE_PGM_RSRC2:SCRATCH_EN: 0
; COMPUTE_PGM_RSRC2:USER_SGPR: 2
; COMPUTE_PGM_RSRC2:TRAP_HANDLER: 0
; COMPUTE_PGM_RSRC2:TGID_X_EN: 1
; COMPUTE_PGM_RSRC2:TGID_Y_EN: 0
; COMPUTE_PGM_RSRC2:TGID_Z_EN: 0
; COMPUTE_PGM_RSRC2:TIDIG_COMP_CNT: 0
	.section	.text._ZN7rocprim17ROCPRIM_400000_NS6detail17trampoline_kernelINS0_13select_configILj256ELj13ELNS0_17block_load_methodE3ELS4_3ELS4_3ELNS0_20block_scan_algorithmE0ELj4294967295EEENS1_25partition_config_selectorILNS1_17partition_subalgoE4EjNS0_10empty_typeEbEEZZNS1_14partition_implILS8_4ELb0ES6_15HIP_vector_typeIjLj2EENS0_17counting_iteratorIjlEEPS9_SG_NS0_5tupleIJPjSI_NS0_16reverse_iteratorISI_EEEEENSH_IJSG_SG_SG_EEES9_SI_JZNS1_25segmented_radix_sort_implINS0_14default_configELb0EPKiPiPKlPlN2at6native12_GLOBAL__N_18offset_tEEE10hipError_tPvRmT1_PNSt15iterator_traitsIS12_E10value_typeET2_T3_PNS13_IS18_E10value_typeET4_jRbjT5_S1E_jjP12ihipStream_tbEUljE_ZNSN_ISO_Lb0ESQ_SR_ST_SU_SY_EESZ_S10_S11_S12_S16_S17_S18_S1B_S1C_jS1D_jS1E_S1E_jjS1G_bEUljE0_EEESZ_S10_S11_S18_S1C_S1E_T6_T7_T9_mT8_S1G_bDpT10_ENKUlT_T0_E_clISt17integral_constantIbLb0EES1U_EEDaS1P_S1Q_EUlS1P_E_NS1_11comp_targetILNS1_3genE5ELNS1_11target_archE942ELNS1_3gpuE9ELNS1_3repE0EEENS1_30default_config_static_selectorELNS0_4arch9wavefront6targetE0EEEvS12_,"axG",@progbits,_ZN7rocprim17ROCPRIM_400000_NS6detail17trampoline_kernelINS0_13select_configILj256ELj13ELNS0_17block_load_methodE3ELS4_3ELS4_3ELNS0_20block_scan_algorithmE0ELj4294967295EEENS1_25partition_config_selectorILNS1_17partition_subalgoE4EjNS0_10empty_typeEbEEZZNS1_14partition_implILS8_4ELb0ES6_15HIP_vector_typeIjLj2EENS0_17counting_iteratorIjlEEPS9_SG_NS0_5tupleIJPjSI_NS0_16reverse_iteratorISI_EEEEENSH_IJSG_SG_SG_EEES9_SI_JZNS1_25segmented_radix_sort_implINS0_14default_configELb0EPKiPiPKlPlN2at6native12_GLOBAL__N_18offset_tEEE10hipError_tPvRmT1_PNSt15iterator_traitsIS12_E10value_typeET2_T3_PNS13_IS18_E10value_typeET4_jRbjT5_S1E_jjP12ihipStream_tbEUljE_ZNSN_ISO_Lb0ESQ_SR_ST_SU_SY_EESZ_S10_S11_S12_S16_S17_S18_S1B_S1C_jS1D_jS1E_S1E_jjS1G_bEUljE0_EEESZ_S10_S11_S18_S1C_S1E_T6_T7_T9_mT8_S1G_bDpT10_ENKUlT_T0_E_clISt17integral_constantIbLb0EES1U_EEDaS1P_S1Q_EUlS1P_E_NS1_11comp_targetILNS1_3genE5ELNS1_11target_archE942ELNS1_3gpuE9ELNS1_3repE0EEENS1_30default_config_static_selectorELNS0_4arch9wavefront6targetE0EEEvS12_,comdat
	.globl	_ZN7rocprim17ROCPRIM_400000_NS6detail17trampoline_kernelINS0_13select_configILj256ELj13ELNS0_17block_load_methodE3ELS4_3ELS4_3ELNS0_20block_scan_algorithmE0ELj4294967295EEENS1_25partition_config_selectorILNS1_17partition_subalgoE4EjNS0_10empty_typeEbEEZZNS1_14partition_implILS8_4ELb0ES6_15HIP_vector_typeIjLj2EENS0_17counting_iteratorIjlEEPS9_SG_NS0_5tupleIJPjSI_NS0_16reverse_iteratorISI_EEEEENSH_IJSG_SG_SG_EEES9_SI_JZNS1_25segmented_radix_sort_implINS0_14default_configELb0EPKiPiPKlPlN2at6native12_GLOBAL__N_18offset_tEEE10hipError_tPvRmT1_PNSt15iterator_traitsIS12_E10value_typeET2_T3_PNS13_IS18_E10value_typeET4_jRbjT5_S1E_jjP12ihipStream_tbEUljE_ZNSN_ISO_Lb0ESQ_SR_ST_SU_SY_EESZ_S10_S11_S12_S16_S17_S18_S1B_S1C_jS1D_jS1E_S1E_jjS1G_bEUljE0_EEESZ_S10_S11_S18_S1C_S1E_T6_T7_T9_mT8_S1G_bDpT10_ENKUlT_T0_E_clISt17integral_constantIbLb0EES1U_EEDaS1P_S1Q_EUlS1P_E_NS1_11comp_targetILNS1_3genE5ELNS1_11target_archE942ELNS1_3gpuE9ELNS1_3repE0EEENS1_30default_config_static_selectorELNS0_4arch9wavefront6targetE0EEEvS12_ ; -- Begin function _ZN7rocprim17ROCPRIM_400000_NS6detail17trampoline_kernelINS0_13select_configILj256ELj13ELNS0_17block_load_methodE3ELS4_3ELS4_3ELNS0_20block_scan_algorithmE0ELj4294967295EEENS1_25partition_config_selectorILNS1_17partition_subalgoE4EjNS0_10empty_typeEbEEZZNS1_14partition_implILS8_4ELb0ES6_15HIP_vector_typeIjLj2EENS0_17counting_iteratorIjlEEPS9_SG_NS0_5tupleIJPjSI_NS0_16reverse_iteratorISI_EEEEENSH_IJSG_SG_SG_EEES9_SI_JZNS1_25segmented_radix_sort_implINS0_14default_configELb0EPKiPiPKlPlN2at6native12_GLOBAL__N_18offset_tEEE10hipError_tPvRmT1_PNSt15iterator_traitsIS12_E10value_typeET2_T3_PNS13_IS18_E10value_typeET4_jRbjT5_S1E_jjP12ihipStream_tbEUljE_ZNSN_ISO_Lb0ESQ_SR_ST_SU_SY_EESZ_S10_S11_S12_S16_S17_S18_S1B_S1C_jS1D_jS1E_S1E_jjS1G_bEUljE0_EEESZ_S10_S11_S18_S1C_S1E_T6_T7_T9_mT8_S1G_bDpT10_ENKUlT_T0_E_clISt17integral_constantIbLb0EES1U_EEDaS1P_S1Q_EUlS1P_E_NS1_11comp_targetILNS1_3genE5ELNS1_11target_archE942ELNS1_3gpuE9ELNS1_3repE0EEENS1_30default_config_static_selectorELNS0_4arch9wavefront6targetE0EEEvS12_
	.p2align	8
	.type	_ZN7rocprim17ROCPRIM_400000_NS6detail17trampoline_kernelINS0_13select_configILj256ELj13ELNS0_17block_load_methodE3ELS4_3ELS4_3ELNS0_20block_scan_algorithmE0ELj4294967295EEENS1_25partition_config_selectorILNS1_17partition_subalgoE4EjNS0_10empty_typeEbEEZZNS1_14partition_implILS8_4ELb0ES6_15HIP_vector_typeIjLj2EENS0_17counting_iteratorIjlEEPS9_SG_NS0_5tupleIJPjSI_NS0_16reverse_iteratorISI_EEEEENSH_IJSG_SG_SG_EEES9_SI_JZNS1_25segmented_radix_sort_implINS0_14default_configELb0EPKiPiPKlPlN2at6native12_GLOBAL__N_18offset_tEEE10hipError_tPvRmT1_PNSt15iterator_traitsIS12_E10value_typeET2_T3_PNS13_IS18_E10value_typeET4_jRbjT5_S1E_jjP12ihipStream_tbEUljE_ZNSN_ISO_Lb0ESQ_SR_ST_SU_SY_EESZ_S10_S11_S12_S16_S17_S18_S1B_S1C_jS1D_jS1E_S1E_jjS1G_bEUljE0_EEESZ_S10_S11_S18_S1C_S1E_T6_T7_T9_mT8_S1G_bDpT10_ENKUlT_T0_E_clISt17integral_constantIbLb0EES1U_EEDaS1P_S1Q_EUlS1P_E_NS1_11comp_targetILNS1_3genE5ELNS1_11target_archE942ELNS1_3gpuE9ELNS1_3repE0EEENS1_30default_config_static_selectorELNS0_4arch9wavefront6targetE0EEEvS12_,@function
_ZN7rocprim17ROCPRIM_400000_NS6detail17trampoline_kernelINS0_13select_configILj256ELj13ELNS0_17block_load_methodE3ELS4_3ELS4_3ELNS0_20block_scan_algorithmE0ELj4294967295EEENS1_25partition_config_selectorILNS1_17partition_subalgoE4EjNS0_10empty_typeEbEEZZNS1_14partition_implILS8_4ELb0ES6_15HIP_vector_typeIjLj2EENS0_17counting_iteratorIjlEEPS9_SG_NS0_5tupleIJPjSI_NS0_16reverse_iteratorISI_EEEEENSH_IJSG_SG_SG_EEES9_SI_JZNS1_25segmented_radix_sort_implINS0_14default_configELb0EPKiPiPKlPlN2at6native12_GLOBAL__N_18offset_tEEE10hipError_tPvRmT1_PNSt15iterator_traitsIS12_E10value_typeET2_T3_PNS13_IS18_E10value_typeET4_jRbjT5_S1E_jjP12ihipStream_tbEUljE_ZNSN_ISO_Lb0ESQ_SR_ST_SU_SY_EESZ_S10_S11_S12_S16_S17_S18_S1B_S1C_jS1D_jS1E_S1E_jjS1G_bEUljE0_EEESZ_S10_S11_S18_S1C_S1E_T6_T7_T9_mT8_S1G_bDpT10_ENKUlT_T0_E_clISt17integral_constantIbLb0EES1U_EEDaS1P_S1Q_EUlS1P_E_NS1_11comp_targetILNS1_3genE5ELNS1_11target_archE942ELNS1_3gpuE9ELNS1_3repE0EEENS1_30default_config_static_selectorELNS0_4arch9wavefront6targetE0EEEvS12_: ; @_ZN7rocprim17ROCPRIM_400000_NS6detail17trampoline_kernelINS0_13select_configILj256ELj13ELNS0_17block_load_methodE3ELS4_3ELS4_3ELNS0_20block_scan_algorithmE0ELj4294967295EEENS1_25partition_config_selectorILNS1_17partition_subalgoE4EjNS0_10empty_typeEbEEZZNS1_14partition_implILS8_4ELb0ES6_15HIP_vector_typeIjLj2EENS0_17counting_iteratorIjlEEPS9_SG_NS0_5tupleIJPjSI_NS0_16reverse_iteratorISI_EEEEENSH_IJSG_SG_SG_EEES9_SI_JZNS1_25segmented_radix_sort_implINS0_14default_configELb0EPKiPiPKlPlN2at6native12_GLOBAL__N_18offset_tEEE10hipError_tPvRmT1_PNSt15iterator_traitsIS12_E10value_typeET2_T3_PNS13_IS18_E10value_typeET4_jRbjT5_S1E_jjP12ihipStream_tbEUljE_ZNSN_ISO_Lb0ESQ_SR_ST_SU_SY_EESZ_S10_S11_S12_S16_S17_S18_S1B_S1C_jS1D_jS1E_S1E_jjS1G_bEUljE0_EEESZ_S10_S11_S18_S1C_S1E_T6_T7_T9_mT8_S1G_bDpT10_ENKUlT_T0_E_clISt17integral_constantIbLb0EES1U_EEDaS1P_S1Q_EUlS1P_E_NS1_11comp_targetILNS1_3genE5ELNS1_11target_archE942ELNS1_3gpuE9ELNS1_3repE0EEENS1_30default_config_static_selectorELNS0_4arch9wavefront6targetE0EEEvS12_
; %bb.0:
	.section	.rodata,"a",@progbits
	.p2align	6, 0x0
	.amdhsa_kernel _ZN7rocprim17ROCPRIM_400000_NS6detail17trampoline_kernelINS0_13select_configILj256ELj13ELNS0_17block_load_methodE3ELS4_3ELS4_3ELNS0_20block_scan_algorithmE0ELj4294967295EEENS1_25partition_config_selectorILNS1_17partition_subalgoE4EjNS0_10empty_typeEbEEZZNS1_14partition_implILS8_4ELb0ES6_15HIP_vector_typeIjLj2EENS0_17counting_iteratorIjlEEPS9_SG_NS0_5tupleIJPjSI_NS0_16reverse_iteratorISI_EEEEENSH_IJSG_SG_SG_EEES9_SI_JZNS1_25segmented_radix_sort_implINS0_14default_configELb0EPKiPiPKlPlN2at6native12_GLOBAL__N_18offset_tEEE10hipError_tPvRmT1_PNSt15iterator_traitsIS12_E10value_typeET2_T3_PNS13_IS18_E10value_typeET4_jRbjT5_S1E_jjP12ihipStream_tbEUljE_ZNSN_ISO_Lb0ESQ_SR_ST_SU_SY_EESZ_S10_S11_S12_S16_S17_S18_S1B_S1C_jS1D_jS1E_S1E_jjS1G_bEUljE0_EEESZ_S10_S11_S18_S1C_S1E_T6_T7_T9_mT8_S1G_bDpT10_ENKUlT_T0_E_clISt17integral_constantIbLb0EES1U_EEDaS1P_S1Q_EUlS1P_E_NS1_11comp_targetILNS1_3genE5ELNS1_11target_archE942ELNS1_3gpuE9ELNS1_3repE0EEENS1_30default_config_static_selectorELNS0_4arch9wavefront6targetE0EEEvS12_
		.amdhsa_group_segment_fixed_size 0
		.amdhsa_private_segment_fixed_size 0
		.amdhsa_kernarg_size 176
		.amdhsa_user_sgpr_count 2
		.amdhsa_user_sgpr_dispatch_ptr 0
		.amdhsa_user_sgpr_queue_ptr 0
		.amdhsa_user_sgpr_kernarg_segment_ptr 1
		.amdhsa_user_sgpr_dispatch_id 0
		.amdhsa_user_sgpr_kernarg_preload_length 0
		.amdhsa_user_sgpr_kernarg_preload_offset 0
		.amdhsa_user_sgpr_private_segment_size 0
		.amdhsa_wavefront_size32 1
		.amdhsa_uses_dynamic_stack 0
		.amdhsa_enable_private_segment 0
		.amdhsa_system_sgpr_workgroup_id_x 1
		.amdhsa_system_sgpr_workgroup_id_y 0
		.amdhsa_system_sgpr_workgroup_id_z 0
		.amdhsa_system_sgpr_workgroup_info 0
		.amdhsa_system_vgpr_workitem_id 0
		.amdhsa_next_free_vgpr 1
		.amdhsa_next_free_sgpr 1
		.amdhsa_named_barrier_count 0
		.amdhsa_reserve_vcc 0
		.amdhsa_float_round_mode_32 0
		.amdhsa_float_round_mode_16_64 0
		.amdhsa_float_denorm_mode_32 3
		.amdhsa_float_denorm_mode_16_64 3
		.amdhsa_fp16_overflow 0
		.amdhsa_memory_ordered 1
		.amdhsa_forward_progress 1
		.amdhsa_inst_pref_size 0
		.amdhsa_round_robin_scheduling 0
		.amdhsa_exception_fp_ieee_invalid_op 0
		.amdhsa_exception_fp_denorm_src 0
		.amdhsa_exception_fp_ieee_div_zero 0
		.amdhsa_exception_fp_ieee_overflow 0
		.amdhsa_exception_fp_ieee_underflow 0
		.amdhsa_exception_fp_ieee_inexact 0
		.amdhsa_exception_int_div_zero 0
	.end_amdhsa_kernel
	.section	.text._ZN7rocprim17ROCPRIM_400000_NS6detail17trampoline_kernelINS0_13select_configILj256ELj13ELNS0_17block_load_methodE3ELS4_3ELS4_3ELNS0_20block_scan_algorithmE0ELj4294967295EEENS1_25partition_config_selectorILNS1_17partition_subalgoE4EjNS0_10empty_typeEbEEZZNS1_14partition_implILS8_4ELb0ES6_15HIP_vector_typeIjLj2EENS0_17counting_iteratorIjlEEPS9_SG_NS0_5tupleIJPjSI_NS0_16reverse_iteratorISI_EEEEENSH_IJSG_SG_SG_EEES9_SI_JZNS1_25segmented_radix_sort_implINS0_14default_configELb0EPKiPiPKlPlN2at6native12_GLOBAL__N_18offset_tEEE10hipError_tPvRmT1_PNSt15iterator_traitsIS12_E10value_typeET2_T3_PNS13_IS18_E10value_typeET4_jRbjT5_S1E_jjP12ihipStream_tbEUljE_ZNSN_ISO_Lb0ESQ_SR_ST_SU_SY_EESZ_S10_S11_S12_S16_S17_S18_S1B_S1C_jS1D_jS1E_S1E_jjS1G_bEUljE0_EEESZ_S10_S11_S18_S1C_S1E_T6_T7_T9_mT8_S1G_bDpT10_ENKUlT_T0_E_clISt17integral_constantIbLb0EES1U_EEDaS1P_S1Q_EUlS1P_E_NS1_11comp_targetILNS1_3genE5ELNS1_11target_archE942ELNS1_3gpuE9ELNS1_3repE0EEENS1_30default_config_static_selectorELNS0_4arch9wavefront6targetE0EEEvS12_,"axG",@progbits,_ZN7rocprim17ROCPRIM_400000_NS6detail17trampoline_kernelINS0_13select_configILj256ELj13ELNS0_17block_load_methodE3ELS4_3ELS4_3ELNS0_20block_scan_algorithmE0ELj4294967295EEENS1_25partition_config_selectorILNS1_17partition_subalgoE4EjNS0_10empty_typeEbEEZZNS1_14partition_implILS8_4ELb0ES6_15HIP_vector_typeIjLj2EENS0_17counting_iteratorIjlEEPS9_SG_NS0_5tupleIJPjSI_NS0_16reverse_iteratorISI_EEEEENSH_IJSG_SG_SG_EEES9_SI_JZNS1_25segmented_radix_sort_implINS0_14default_configELb0EPKiPiPKlPlN2at6native12_GLOBAL__N_18offset_tEEE10hipError_tPvRmT1_PNSt15iterator_traitsIS12_E10value_typeET2_T3_PNS13_IS18_E10value_typeET4_jRbjT5_S1E_jjP12ihipStream_tbEUljE_ZNSN_ISO_Lb0ESQ_SR_ST_SU_SY_EESZ_S10_S11_S12_S16_S17_S18_S1B_S1C_jS1D_jS1E_S1E_jjS1G_bEUljE0_EEESZ_S10_S11_S18_S1C_S1E_T6_T7_T9_mT8_S1G_bDpT10_ENKUlT_T0_E_clISt17integral_constantIbLb0EES1U_EEDaS1P_S1Q_EUlS1P_E_NS1_11comp_targetILNS1_3genE5ELNS1_11target_archE942ELNS1_3gpuE9ELNS1_3repE0EEENS1_30default_config_static_selectorELNS0_4arch9wavefront6targetE0EEEvS12_,comdat
.Lfunc_end533:
	.size	_ZN7rocprim17ROCPRIM_400000_NS6detail17trampoline_kernelINS0_13select_configILj256ELj13ELNS0_17block_load_methodE3ELS4_3ELS4_3ELNS0_20block_scan_algorithmE0ELj4294967295EEENS1_25partition_config_selectorILNS1_17partition_subalgoE4EjNS0_10empty_typeEbEEZZNS1_14partition_implILS8_4ELb0ES6_15HIP_vector_typeIjLj2EENS0_17counting_iteratorIjlEEPS9_SG_NS0_5tupleIJPjSI_NS0_16reverse_iteratorISI_EEEEENSH_IJSG_SG_SG_EEES9_SI_JZNS1_25segmented_radix_sort_implINS0_14default_configELb0EPKiPiPKlPlN2at6native12_GLOBAL__N_18offset_tEEE10hipError_tPvRmT1_PNSt15iterator_traitsIS12_E10value_typeET2_T3_PNS13_IS18_E10value_typeET4_jRbjT5_S1E_jjP12ihipStream_tbEUljE_ZNSN_ISO_Lb0ESQ_SR_ST_SU_SY_EESZ_S10_S11_S12_S16_S17_S18_S1B_S1C_jS1D_jS1E_S1E_jjS1G_bEUljE0_EEESZ_S10_S11_S18_S1C_S1E_T6_T7_T9_mT8_S1G_bDpT10_ENKUlT_T0_E_clISt17integral_constantIbLb0EES1U_EEDaS1P_S1Q_EUlS1P_E_NS1_11comp_targetILNS1_3genE5ELNS1_11target_archE942ELNS1_3gpuE9ELNS1_3repE0EEENS1_30default_config_static_selectorELNS0_4arch9wavefront6targetE0EEEvS12_, .Lfunc_end533-_ZN7rocprim17ROCPRIM_400000_NS6detail17trampoline_kernelINS0_13select_configILj256ELj13ELNS0_17block_load_methodE3ELS4_3ELS4_3ELNS0_20block_scan_algorithmE0ELj4294967295EEENS1_25partition_config_selectorILNS1_17partition_subalgoE4EjNS0_10empty_typeEbEEZZNS1_14partition_implILS8_4ELb0ES6_15HIP_vector_typeIjLj2EENS0_17counting_iteratorIjlEEPS9_SG_NS0_5tupleIJPjSI_NS0_16reverse_iteratorISI_EEEEENSH_IJSG_SG_SG_EEES9_SI_JZNS1_25segmented_radix_sort_implINS0_14default_configELb0EPKiPiPKlPlN2at6native12_GLOBAL__N_18offset_tEEE10hipError_tPvRmT1_PNSt15iterator_traitsIS12_E10value_typeET2_T3_PNS13_IS18_E10value_typeET4_jRbjT5_S1E_jjP12ihipStream_tbEUljE_ZNSN_ISO_Lb0ESQ_SR_ST_SU_SY_EESZ_S10_S11_S12_S16_S17_S18_S1B_S1C_jS1D_jS1E_S1E_jjS1G_bEUljE0_EEESZ_S10_S11_S18_S1C_S1E_T6_T7_T9_mT8_S1G_bDpT10_ENKUlT_T0_E_clISt17integral_constantIbLb0EES1U_EEDaS1P_S1Q_EUlS1P_E_NS1_11comp_targetILNS1_3genE5ELNS1_11target_archE942ELNS1_3gpuE9ELNS1_3repE0EEENS1_30default_config_static_selectorELNS0_4arch9wavefront6targetE0EEEvS12_
                                        ; -- End function
	.set _ZN7rocprim17ROCPRIM_400000_NS6detail17trampoline_kernelINS0_13select_configILj256ELj13ELNS0_17block_load_methodE3ELS4_3ELS4_3ELNS0_20block_scan_algorithmE0ELj4294967295EEENS1_25partition_config_selectorILNS1_17partition_subalgoE4EjNS0_10empty_typeEbEEZZNS1_14partition_implILS8_4ELb0ES6_15HIP_vector_typeIjLj2EENS0_17counting_iteratorIjlEEPS9_SG_NS0_5tupleIJPjSI_NS0_16reverse_iteratorISI_EEEEENSH_IJSG_SG_SG_EEES9_SI_JZNS1_25segmented_radix_sort_implINS0_14default_configELb0EPKiPiPKlPlN2at6native12_GLOBAL__N_18offset_tEEE10hipError_tPvRmT1_PNSt15iterator_traitsIS12_E10value_typeET2_T3_PNS13_IS18_E10value_typeET4_jRbjT5_S1E_jjP12ihipStream_tbEUljE_ZNSN_ISO_Lb0ESQ_SR_ST_SU_SY_EESZ_S10_S11_S12_S16_S17_S18_S1B_S1C_jS1D_jS1E_S1E_jjS1G_bEUljE0_EEESZ_S10_S11_S18_S1C_S1E_T6_T7_T9_mT8_S1G_bDpT10_ENKUlT_T0_E_clISt17integral_constantIbLb0EES1U_EEDaS1P_S1Q_EUlS1P_E_NS1_11comp_targetILNS1_3genE5ELNS1_11target_archE942ELNS1_3gpuE9ELNS1_3repE0EEENS1_30default_config_static_selectorELNS0_4arch9wavefront6targetE0EEEvS12_.num_vgpr, 0
	.set _ZN7rocprim17ROCPRIM_400000_NS6detail17trampoline_kernelINS0_13select_configILj256ELj13ELNS0_17block_load_methodE3ELS4_3ELS4_3ELNS0_20block_scan_algorithmE0ELj4294967295EEENS1_25partition_config_selectorILNS1_17partition_subalgoE4EjNS0_10empty_typeEbEEZZNS1_14partition_implILS8_4ELb0ES6_15HIP_vector_typeIjLj2EENS0_17counting_iteratorIjlEEPS9_SG_NS0_5tupleIJPjSI_NS0_16reverse_iteratorISI_EEEEENSH_IJSG_SG_SG_EEES9_SI_JZNS1_25segmented_radix_sort_implINS0_14default_configELb0EPKiPiPKlPlN2at6native12_GLOBAL__N_18offset_tEEE10hipError_tPvRmT1_PNSt15iterator_traitsIS12_E10value_typeET2_T3_PNS13_IS18_E10value_typeET4_jRbjT5_S1E_jjP12ihipStream_tbEUljE_ZNSN_ISO_Lb0ESQ_SR_ST_SU_SY_EESZ_S10_S11_S12_S16_S17_S18_S1B_S1C_jS1D_jS1E_S1E_jjS1G_bEUljE0_EEESZ_S10_S11_S18_S1C_S1E_T6_T7_T9_mT8_S1G_bDpT10_ENKUlT_T0_E_clISt17integral_constantIbLb0EES1U_EEDaS1P_S1Q_EUlS1P_E_NS1_11comp_targetILNS1_3genE5ELNS1_11target_archE942ELNS1_3gpuE9ELNS1_3repE0EEENS1_30default_config_static_selectorELNS0_4arch9wavefront6targetE0EEEvS12_.num_agpr, 0
	.set _ZN7rocprim17ROCPRIM_400000_NS6detail17trampoline_kernelINS0_13select_configILj256ELj13ELNS0_17block_load_methodE3ELS4_3ELS4_3ELNS0_20block_scan_algorithmE0ELj4294967295EEENS1_25partition_config_selectorILNS1_17partition_subalgoE4EjNS0_10empty_typeEbEEZZNS1_14partition_implILS8_4ELb0ES6_15HIP_vector_typeIjLj2EENS0_17counting_iteratorIjlEEPS9_SG_NS0_5tupleIJPjSI_NS0_16reverse_iteratorISI_EEEEENSH_IJSG_SG_SG_EEES9_SI_JZNS1_25segmented_radix_sort_implINS0_14default_configELb0EPKiPiPKlPlN2at6native12_GLOBAL__N_18offset_tEEE10hipError_tPvRmT1_PNSt15iterator_traitsIS12_E10value_typeET2_T3_PNS13_IS18_E10value_typeET4_jRbjT5_S1E_jjP12ihipStream_tbEUljE_ZNSN_ISO_Lb0ESQ_SR_ST_SU_SY_EESZ_S10_S11_S12_S16_S17_S18_S1B_S1C_jS1D_jS1E_S1E_jjS1G_bEUljE0_EEESZ_S10_S11_S18_S1C_S1E_T6_T7_T9_mT8_S1G_bDpT10_ENKUlT_T0_E_clISt17integral_constantIbLb0EES1U_EEDaS1P_S1Q_EUlS1P_E_NS1_11comp_targetILNS1_3genE5ELNS1_11target_archE942ELNS1_3gpuE9ELNS1_3repE0EEENS1_30default_config_static_selectorELNS0_4arch9wavefront6targetE0EEEvS12_.numbered_sgpr, 0
	.set _ZN7rocprim17ROCPRIM_400000_NS6detail17trampoline_kernelINS0_13select_configILj256ELj13ELNS0_17block_load_methodE3ELS4_3ELS4_3ELNS0_20block_scan_algorithmE0ELj4294967295EEENS1_25partition_config_selectorILNS1_17partition_subalgoE4EjNS0_10empty_typeEbEEZZNS1_14partition_implILS8_4ELb0ES6_15HIP_vector_typeIjLj2EENS0_17counting_iteratorIjlEEPS9_SG_NS0_5tupleIJPjSI_NS0_16reverse_iteratorISI_EEEEENSH_IJSG_SG_SG_EEES9_SI_JZNS1_25segmented_radix_sort_implINS0_14default_configELb0EPKiPiPKlPlN2at6native12_GLOBAL__N_18offset_tEEE10hipError_tPvRmT1_PNSt15iterator_traitsIS12_E10value_typeET2_T3_PNS13_IS18_E10value_typeET4_jRbjT5_S1E_jjP12ihipStream_tbEUljE_ZNSN_ISO_Lb0ESQ_SR_ST_SU_SY_EESZ_S10_S11_S12_S16_S17_S18_S1B_S1C_jS1D_jS1E_S1E_jjS1G_bEUljE0_EEESZ_S10_S11_S18_S1C_S1E_T6_T7_T9_mT8_S1G_bDpT10_ENKUlT_T0_E_clISt17integral_constantIbLb0EES1U_EEDaS1P_S1Q_EUlS1P_E_NS1_11comp_targetILNS1_3genE5ELNS1_11target_archE942ELNS1_3gpuE9ELNS1_3repE0EEENS1_30default_config_static_selectorELNS0_4arch9wavefront6targetE0EEEvS12_.num_named_barrier, 0
	.set _ZN7rocprim17ROCPRIM_400000_NS6detail17trampoline_kernelINS0_13select_configILj256ELj13ELNS0_17block_load_methodE3ELS4_3ELS4_3ELNS0_20block_scan_algorithmE0ELj4294967295EEENS1_25partition_config_selectorILNS1_17partition_subalgoE4EjNS0_10empty_typeEbEEZZNS1_14partition_implILS8_4ELb0ES6_15HIP_vector_typeIjLj2EENS0_17counting_iteratorIjlEEPS9_SG_NS0_5tupleIJPjSI_NS0_16reverse_iteratorISI_EEEEENSH_IJSG_SG_SG_EEES9_SI_JZNS1_25segmented_radix_sort_implINS0_14default_configELb0EPKiPiPKlPlN2at6native12_GLOBAL__N_18offset_tEEE10hipError_tPvRmT1_PNSt15iterator_traitsIS12_E10value_typeET2_T3_PNS13_IS18_E10value_typeET4_jRbjT5_S1E_jjP12ihipStream_tbEUljE_ZNSN_ISO_Lb0ESQ_SR_ST_SU_SY_EESZ_S10_S11_S12_S16_S17_S18_S1B_S1C_jS1D_jS1E_S1E_jjS1G_bEUljE0_EEESZ_S10_S11_S18_S1C_S1E_T6_T7_T9_mT8_S1G_bDpT10_ENKUlT_T0_E_clISt17integral_constantIbLb0EES1U_EEDaS1P_S1Q_EUlS1P_E_NS1_11comp_targetILNS1_3genE5ELNS1_11target_archE942ELNS1_3gpuE9ELNS1_3repE0EEENS1_30default_config_static_selectorELNS0_4arch9wavefront6targetE0EEEvS12_.private_seg_size, 0
	.set _ZN7rocprim17ROCPRIM_400000_NS6detail17trampoline_kernelINS0_13select_configILj256ELj13ELNS0_17block_load_methodE3ELS4_3ELS4_3ELNS0_20block_scan_algorithmE0ELj4294967295EEENS1_25partition_config_selectorILNS1_17partition_subalgoE4EjNS0_10empty_typeEbEEZZNS1_14partition_implILS8_4ELb0ES6_15HIP_vector_typeIjLj2EENS0_17counting_iteratorIjlEEPS9_SG_NS0_5tupleIJPjSI_NS0_16reverse_iteratorISI_EEEEENSH_IJSG_SG_SG_EEES9_SI_JZNS1_25segmented_radix_sort_implINS0_14default_configELb0EPKiPiPKlPlN2at6native12_GLOBAL__N_18offset_tEEE10hipError_tPvRmT1_PNSt15iterator_traitsIS12_E10value_typeET2_T3_PNS13_IS18_E10value_typeET4_jRbjT5_S1E_jjP12ihipStream_tbEUljE_ZNSN_ISO_Lb0ESQ_SR_ST_SU_SY_EESZ_S10_S11_S12_S16_S17_S18_S1B_S1C_jS1D_jS1E_S1E_jjS1G_bEUljE0_EEESZ_S10_S11_S18_S1C_S1E_T6_T7_T9_mT8_S1G_bDpT10_ENKUlT_T0_E_clISt17integral_constantIbLb0EES1U_EEDaS1P_S1Q_EUlS1P_E_NS1_11comp_targetILNS1_3genE5ELNS1_11target_archE942ELNS1_3gpuE9ELNS1_3repE0EEENS1_30default_config_static_selectorELNS0_4arch9wavefront6targetE0EEEvS12_.uses_vcc, 0
	.set _ZN7rocprim17ROCPRIM_400000_NS6detail17trampoline_kernelINS0_13select_configILj256ELj13ELNS0_17block_load_methodE3ELS4_3ELS4_3ELNS0_20block_scan_algorithmE0ELj4294967295EEENS1_25partition_config_selectorILNS1_17partition_subalgoE4EjNS0_10empty_typeEbEEZZNS1_14partition_implILS8_4ELb0ES6_15HIP_vector_typeIjLj2EENS0_17counting_iteratorIjlEEPS9_SG_NS0_5tupleIJPjSI_NS0_16reverse_iteratorISI_EEEEENSH_IJSG_SG_SG_EEES9_SI_JZNS1_25segmented_radix_sort_implINS0_14default_configELb0EPKiPiPKlPlN2at6native12_GLOBAL__N_18offset_tEEE10hipError_tPvRmT1_PNSt15iterator_traitsIS12_E10value_typeET2_T3_PNS13_IS18_E10value_typeET4_jRbjT5_S1E_jjP12ihipStream_tbEUljE_ZNSN_ISO_Lb0ESQ_SR_ST_SU_SY_EESZ_S10_S11_S12_S16_S17_S18_S1B_S1C_jS1D_jS1E_S1E_jjS1G_bEUljE0_EEESZ_S10_S11_S18_S1C_S1E_T6_T7_T9_mT8_S1G_bDpT10_ENKUlT_T0_E_clISt17integral_constantIbLb0EES1U_EEDaS1P_S1Q_EUlS1P_E_NS1_11comp_targetILNS1_3genE5ELNS1_11target_archE942ELNS1_3gpuE9ELNS1_3repE0EEENS1_30default_config_static_selectorELNS0_4arch9wavefront6targetE0EEEvS12_.uses_flat_scratch, 0
	.set _ZN7rocprim17ROCPRIM_400000_NS6detail17trampoline_kernelINS0_13select_configILj256ELj13ELNS0_17block_load_methodE3ELS4_3ELS4_3ELNS0_20block_scan_algorithmE0ELj4294967295EEENS1_25partition_config_selectorILNS1_17partition_subalgoE4EjNS0_10empty_typeEbEEZZNS1_14partition_implILS8_4ELb0ES6_15HIP_vector_typeIjLj2EENS0_17counting_iteratorIjlEEPS9_SG_NS0_5tupleIJPjSI_NS0_16reverse_iteratorISI_EEEEENSH_IJSG_SG_SG_EEES9_SI_JZNS1_25segmented_radix_sort_implINS0_14default_configELb0EPKiPiPKlPlN2at6native12_GLOBAL__N_18offset_tEEE10hipError_tPvRmT1_PNSt15iterator_traitsIS12_E10value_typeET2_T3_PNS13_IS18_E10value_typeET4_jRbjT5_S1E_jjP12ihipStream_tbEUljE_ZNSN_ISO_Lb0ESQ_SR_ST_SU_SY_EESZ_S10_S11_S12_S16_S17_S18_S1B_S1C_jS1D_jS1E_S1E_jjS1G_bEUljE0_EEESZ_S10_S11_S18_S1C_S1E_T6_T7_T9_mT8_S1G_bDpT10_ENKUlT_T0_E_clISt17integral_constantIbLb0EES1U_EEDaS1P_S1Q_EUlS1P_E_NS1_11comp_targetILNS1_3genE5ELNS1_11target_archE942ELNS1_3gpuE9ELNS1_3repE0EEENS1_30default_config_static_selectorELNS0_4arch9wavefront6targetE0EEEvS12_.has_dyn_sized_stack, 0
	.set _ZN7rocprim17ROCPRIM_400000_NS6detail17trampoline_kernelINS0_13select_configILj256ELj13ELNS0_17block_load_methodE3ELS4_3ELS4_3ELNS0_20block_scan_algorithmE0ELj4294967295EEENS1_25partition_config_selectorILNS1_17partition_subalgoE4EjNS0_10empty_typeEbEEZZNS1_14partition_implILS8_4ELb0ES6_15HIP_vector_typeIjLj2EENS0_17counting_iteratorIjlEEPS9_SG_NS0_5tupleIJPjSI_NS0_16reverse_iteratorISI_EEEEENSH_IJSG_SG_SG_EEES9_SI_JZNS1_25segmented_radix_sort_implINS0_14default_configELb0EPKiPiPKlPlN2at6native12_GLOBAL__N_18offset_tEEE10hipError_tPvRmT1_PNSt15iterator_traitsIS12_E10value_typeET2_T3_PNS13_IS18_E10value_typeET4_jRbjT5_S1E_jjP12ihipStream_tbEUljE_ZNSN_ISO_Lb0ESQ_SR_ST_SU_SY_EESZ_S10_S11_S12_S16_S17_S18_S1B_S1C_jS1D_jS1E_S1E_jjS1G_bEUljE0_EEESZ_S10_S11_S18_S1C_S1E_T6_T7_T9_mT8_S1G_bDpT10_ENKUlT_T0_E_clISt17integral_constantIbLb0EES1U_EEDaS1P_S1Q_EUlS1P_E_NS1_11comp_targetILNS1_3genE5ELNS1_11target_archE942ELNS1_3gpuE9ELNS1_3repE0EEENS1_30default_config_static_selectorELNS0_4arch9wavefront6targetE0EEEvS12_.has_recursion, 0
	.set _ZN7rocprim17ROCPRIM_400000_NS6detail17trampoline_kernelINS0_13select_configILj256ELj13ELNS0_17block_load_methodE3ELS4_3ELS4_3ELNS0_20block_scan_algorithmE0ELj4294967295EEENS1_25partition_config_selectorILNS1_17partition_subalgoE4EjNS0_10empty_typeEbEEZZNS1_14partition_implILS8_4ELb0ES6_15HIP_vector_typeIjLj2EENS0_17counting_iteratorIjlEEPS9_SG_NS0_5tupleIJPjSI_NS0_16reverse_iteratorISI_EEEEENSH_IJSG_SG_SG_EEES9_SI_JZNS1_25segmented_radix_sort_implINS0_14default_configELb0EPKiPiPKlPlN2at6native12_GLOBAL__N_18offset_tEEE10hipError_tPvRmT1_PNSt15iterator_traitsIS12_E10value_typeET2_T3_PNS13_IS18_E10value_typeET4_jRbjT5_S1E_jjP12ihipStream_tbEUljE_ZNSN_ISO_Lb0ESQ_SR_ST_SU_SY_EESZ_S10_S11_S12_S16_S17_S18_S1B_S1C_jS1D_jS1E_S1E_jjS1G_bEUljE0_EEESZ_S10_S11_S18_S1C_S1E_T6_T7_T9_mT8_S1G_bDpT10_ENKUlT_T0_E_clISt17integral_constantIbLb0EES1U_EEDaS1P_S1Q_EUlS1P_E_NS1_11comp_targetILNS1_3genE5ELNS1_11target_archE942ELNS1_3gpuE9ELNS1_3repE0EEENS1_30default_config_static_selectorELNS0_4arch9wavefront6targetE0EEEvS12_.has_indirect_call, 0
	.section	.AMDGPU.csdata,"",@progbits
; Kernel info:
; codeLenInByte = 0
; TotalNumSgprs: 0
; NumVgprs: 0
; ScratchSize: 0
; MemoryBound: 0
; FloatMode: 240
; IeeeMode: 1
; LDSByteSize: 0 bytes/workgroup (compile time only)
; SGPRBlocks: 0
; VGPRBlocks: 0
; NumSGPRsForWavesPerEU: 1
; NumVGPRsForWavesPerEU: 1
; NamedBarCnt: 0
; Occupancy: 16
; WaveLimiterHint : 0
; COMPUTE_PGM_RSRC2:SCRATCH_EN: 0
; COMPUTE_PGM_RSRC2:USER_SGPR: 2
; COMPUTE_PGM_RSRC2:TRAP_HANDLER: 0
; COMPUTE_PGM_RSRC2:TGID_X_EN: 1
; COMPUTE_PGM_RSRC2:TGID_Y_EN: 0
; COMPUTE_PGM_RSRC2:TGID_Z_EN: 0
; COMPUTE_PGM_RSRC2:TIDIG_COMP_CNT: 0
	.section	.text._ZN7rocprim17ROCPRIM_400000_NS6detail17trampoline_kernelINS0_13select_configILj256ELj13ELNS0_17block_load_methodE3ELS4_3ELS4_3ELNS0_20block_scan_algorithmE0ELj4294967295EEENS1_25partition_config_selectorILNS1_17partition_subalgoE4EjNS0_10empty_typeEbEEZZNS1_14partition_implILS8_4ELb0ES6_15HIP_vector_typeIjLj2EENS0_17counting_iteratorIjlEEPS9_SG_NS0_5tupleIJPjSI_NS0_16reverse_iteratorISI_EEEEENSH_IJSG_SG_SG_EEES9_SI_JZNS1_25segmented_radix_sort_implINS0_14default_configELb0EPKiPiPKlPlN2at6native12_GLOBAL__N_18offset_tEEE10hipError_tPvRmT1_PNSt15iterator_traitsIS12_E10value_typeET2_T3_PNS13_IS18_E10value_typeET4_jRbjT5_S1E_jjP12ihipStream_tbEUljE_ZNSN_ISO_Lb0ESQ_SR_ST_SU_SY_EESZ_S10_S11_S12_S16_S17_S18_S1B_S1C_jS1D_jS1E_S1E_jjS1G_bEUljE0_EEESZ_S10_S11_S18_S1C_S1E_T6_T7_T9_mT8_S1G_bDpT10_ENKUlT_T0_E_clISt17integral_constantIbLb0EES1U_EEDaS1P_S1Q_EUlS1P_E_NS1_11comp_targetILNS1_3genE4ELNS1_11target_archE910ELNS1_3gpuE8ELNS1_3repE0EEENS1_30default_config_static_selectorELNS0_4arch9wavefront6targetE0EEEvS12_,"axG",@progbits,_ZN7rocprim17ROCPRIM_400000_NS6detail17trampoline_kernelINS0_13select_configILj256ELj13ELNS0_17block_load_methodE3ELS4_3ELS4_3ELNS0_20block_scan_algorithmE0ELj4294967295EEENS1_25partition_config_selectorILNS1_17partition_subalgoE4EjNS0_10empty_typeEbEEZZNS1_14partition_implILS8_4ELb0ES6_15HIP_vector_typeIjLj2EENS0_17counting_iteratorIjlEEPS9_SG_NS0_5tupleIJPjSI_NS0_16reverse_iteratorISI_EEEEENSH_IJSG_SG_SG_EEES9_SI_JZNS1_25segmented_radix_sort_implINS0_14default_configELb0EPKiPiPKlPlN2at6native12_GLOBAL__N_18offset_tEEE10hipError_tPvRmT1_PNSt15iterator_traitsIS12_E10value_typeET2_T3_PNS13_IS18_E10value_typeET4_jRbjT5_S1E_jjP12ihipStream_tbEUljE_ZNSN_ISO_Lb0ESQ_SR_ST_SU_SY_EESZ_S10_S11_S12_S16_S17_S18_S1B_S1C_jS1D_jS1E_S1E_jjS1G_bEUljE0_EEESZ_S10_S11_S18_S1C_S1E_T6_T7_T9_mT8_S1G_bDpT10_ENKUlT_T0_E_clISt17integral_constantIbLb0EES1U_EEDaS1P_S1Q_EUlS1P_E_NS1_11comp_targetILNS1_3genE4ELNS1_11target_archE910ELNS1_3gpuE8ELNS1_3repE0EEENS1_30default_config_static_selectorELNS0_4arch9wavefront6targetE0EEEvS12_,comdat
	.globl	_ZN7rocprim17ROCPRIM_400000_NS6detail17trampoline_kernelINS0_13select_configILj256ELj13ELNS0_17block_load_methodE3ELS4_3ELS4_3ELNS0_20block_scan_algorithmE0ELj4294967295EEENS1_25partition_config_selectorILNS1_17partition_subalgoE4EjNS0_10empty_typeEbEEZZNS1_14partition_implILS8_4ELb0ES6_15HIP_vector_typeIjLj2EENS0_17counting_iteratorIjlEEPS9_SG_NS0_5tupleIJPjSI_NS0_16reverse_iteratorISI_EEEEENSH_IJSG_SG_SG_EEES9_SI_JZNS1_25segmented_radix_sort_implINS0_14default_configELb0EPKiPiPKlPlN2at6native12_GLOBAL__N_18offset_tEEE10hipError_tPvRmT1_PNSt15iterator_traitsIS12_E10value_typeET2_T3_PNS13_IS18_E10value_typeET4_jRbjT5_S1E_jjP12ihipStream_tbEUljE_ZNSN_ISO_Lb0ESQ_SR_ST_SU_SY_EESZ_S10_S11_S12_S16_S17_S18_S1B_S1C_jS1D_jS1E_S1E_jjS1G_bEUljE0_EEESZ_S10_S11_S18_S1C_S1E_T6_T7_T9_mT8_S1G_bDpT10_ENKUlT_T0_E_clISt17integral_constantIbLb0EES1U_EEDaS1P_S1Q_EUlS1P_E_NS1_11comp_targetILNS1_3genE4ELNS1_11target_archE910ELNS1_3gpuE8ELNS1_3repE0EEENS1_30default_config_static_selectorELNS0_4arch9wavefront6targetE0EEEvS12_ ; -- Begin function _ZN7rocprim17ROCPRIM_400000_NS6detail17trampoline_kernelINS0_13select_configILj256ELj13ELNS0_17block_load_methodE3ELS4_3ELS4_3ELNS0_20block_scan_algorithmE0ELj4294967295EEENS1_25partition_config_selectorILNS1_17partition_subalgoE4EjNS0_10empty_typeEbEEZZNS1_14partition_implILS8_4ELb0ES6_15HIP_vector_typeIjLj2EENS0_17counting_iteratorIjlEEPS9_SG_NS0_5tupleIJPjSI_NS0_16reverse_iteratorISI_EEEEENSH_IJSG_SG_SG_EEES9_SI_JZNS1_25segmented_radix_sort_implINS0_14default_configELb0EPKiPiPKlPlN2at6native12_GLOBAL__N_18offset_tEEE10hipError_tPvRmT1_PNSt15iterator_traitsIS12_E10value_typeET2_T3_PNS13_IS18_E10value_typeET4_jRbjT5_S1E_jjP12ihipStream_tbEUljE_ZNSN_ISO_Lb0ESQ_SR_ST_SU_SY_EESZ_S10_S11_S12_S16_S17_S18_S1B_S1C_jS1D_jS1E_S1E_jjS1G_bEUljE0_EEESZ_S10_S11_S18_S1C_S1E_T6_T7_T9_mT8_S1G_bDpT10_ENKUlT_T0_E_clISt17integral_constantIbLb0EES1U_EEDaS1P_S1Q_EUlS1P_E_NS1_11comp_targetILNS1_3genE4ELNS1_11target_archE910ELNS1_3gpuE8ELNS1_3repE0EEENS1_30default_config_static_selectorELNS0_4arch9wavefront6targetE0EEEvS12_
	.p2align	8
	.type	_ZN7rocprim17ROCPRIM_400000_NS6detail17trampoline_kernelINS0_13select_configILj256ELj13ELNS0_17block_load_methodE3ELS4_3ELS4_3ELNS0_20block_scan_algorithmE0ELj4294967295EEENS1_25partition_config_selectorILNS1_17partition_subalgoE4EjNS0_10empty_typeEbEEZZNS1_14partition_implILS8_4ELb0ES6_15HIP_vector_typeIjLj2EENS0_17counting_iteratorIjlEEPS9_SG_NS0_5tupleIJPjSI_NS0_16reverse_iteratorISI_EEEEENSH_IJSG_SG_SG_EEES9_SI_JZNS1_25segmented_radix_sort_implINS0_14default_configELb0EPKiPiPKlPlN2at6native12_GLOBAL__N_18offset_tEEE10hipError_tPvRmT1_PNSt15iterator_traitsIS12_E10value_typeET2_T3_PNS13_IS18_E10value_typeET4_jRbjT5_S1E_jjP12ihipStream_tbEUljE_ZNSN_ISO_Lb0ESQ_SR_ST_SU_SY_EESZ_S10_S11_S12_S16_S17_S18_S1B_S1C_jS1D_jS1E_S1E_jjS1G_bEUljE0_EEESZ_S10_S11_S18_S1C_S1E_T6_T7_T9_mT8_S1G_bDpT10_ENKUlT_T0_E_clISt17integral_constantIbLb0EES1U_EEDaS1P_S1Q_EUlS1P_E_NS1_11comp_targetILNS1_3genE4ELNS1_11target_archE910ELNS1_3gpuE8ELNS1_3repE0EEENS1_30default_config_static_selectorELNS0_4arch9wavefront6targetE0EEEvS12_,@function
_ZN7rocprim17ROCPRIM_400000_NS6detail17trampoline_kernelINS0_13select_configILj256ELj13ELNS0_17block_load_methodE3ELS4_3ELS4_3ELNS0_20block_scan_algorithmE0ELj4294967295EEENS1_25partition_config_selectorILNS1_17partition_subalgoE4EjNS0_10empty_typeEbEEZZNS1_14partition_implILS8_4ELb0ES6_15HIP_vector_typeIjLj2EENS0_17counting_iteratorIjlEEPS9_SG_NS0_5tupleIJPjSI_NS0_16reverse_iteratorISI_EEEEENSH_IJSG_SG_SG_EEES9_SI_JZNS1_25segmented_radix_sort_implINS0_14default_configELb0EPKiPiPKlPlN2at6native12_GLOBAL__N_18offset_tEEE10hipError_tPvRmT1_PNSt15iterator_traitsIS12_E10value_typeET2_T3_PNS13_IS18_E10value_typeET4_jRbjT5_S1E_jjP12ihipStream_tbEUljE_ZNSN_ISO_Lb0ESQ_SR_ST_SU_SY_EESZ_S10_S11_S12_S16_S17_S18_S1B_S1C_jS1D_jS1E_S1E_jjS1G_bEUljE0_EEESZ_S10_S11_S18_S1C_S1E_T6_T7_T9_mT8_S1G_bDpT10_ENKUlT_T0_E_clISt17integral_constantIbLb0EES1U_EEDaS1P_S1Q_EUlS1P_E_NS1_11comp_targetILNS1_3genE4ELNS1_11target_archE910ELNS1_3gpuE8ELNS1_3repE0EEENS1_30default_config_static_selectorELNS0_4arch9wavefront6targetE0EEEvS12_: ; @_ZN7rocprim17ROCPRIM_400000_NS6detail17trampoline_kernelINS0_13select_configILj256ELj13ELNS0_17block_load_methodE3ELS4_3ELS4_3ELNS0_20block_scan_algorithmE0ELj4294967295EEENS1_25partition_config_selectorILNS1_17partition_subalgoE4EjNS0_10empty_typeEbEEZZNS1_14partition_implILS8_4ELb0ES6_15HIP_vector_typeIjLj2EENS0_17counting_iteratorIjlEEPS9_SG_NS0_5tupleIJPjSI_NS0_16reverse_iteratorISI_EEEEENSH_IJSG_SG_SG_EEES9_SI_JZNS1_25segmented_radix_sort_implINS0_14default_configELb0EPKiPiPKlPlN2at6native12_GLOBAL__N_18offset_tEEE10hipError_tPvRmT1_PNSt15iterator_traitsIS12_E10value_typeET2_T3_PNS13_IS18_E10value_typeET4_jRbjT5_S1E_jjP12ihipStream_tbEUljE_ZNSN_ISO_Lb0ESQ_SR_ST_SU_SY_EESZ_S10_S11_S12_S16_S17_S18_S1B_S1C_jS1D_jS1E_S1E_jjS1G_bEUljE0_EEESZ_S10_S11_S18_S1C_S1E_T6_T7_T9_mT8_S1G_bDpT10_ENKUlT_T0_E_clISt17integral_constantIbLb0EES1U_EEDaS1P_S1Q_EUlS1P_E_NS1_11comp_targetILNS1_3genE4ELNS1_11target_archE910ELNS1_3gpuE8ELNS1_3repE0EEENS1_30default_config_static_selectorELNS0_4arch9wavefront6targetE0EEEvS12_
; %bb.0:
	.section	.rodata,"a",@progbits
	.p2align	6, 0x0
	.amdhsa_kernel _ZN7rocprim17ROCPRIM_400000_NS6detail17trampoline_kernelINS0_13select_configILj256ELj13ELNS0_17block_load_methodE3ELS4_3ELS4_3ELNS0_20block_scan_algorithmE0ELj4294967295EEENS1_25partition_config_selectorILNS1_17partition_subalgoE4EjNS0_10empty_typeEbEEZZNS1_14partition_implILS8_4ELb0ES6_15HIP_vector_typeIjLj2EENS0_17counting_iteratorIjlEEPS9_SG_NS0_5tupleIJPjSI_NS0_16reverse_iteratorISI_EEEEENSH_IJSG_SG_SG_EEES9_SI_JZNS1_25segmented_radix_sort_implINS0_14default_configELb0EPKiPiPKlPlN2at6native12_GLOBAL__N_18offset_tEEE10hipError_tPvRmT1_PNSt15iterator_traitsIS12_E10value_typeET2_T3_PNS13_IS18_E10value_typeET4_jRbjT5_S1E_jjP12ihipStream_tbEUljE_ZNSN_ISO_Lb0ESQ_SR_ST_SU_SY_EESZ_S10_S11_S12_S16_S17_S18_S1B_S1C_jS1D_jS1E_S1E_jjS1G_bEUljE0_EEESZ_S10_S11_S18_S1C_S1E_T6_T7_T9_mT8_S1G_bDpT10_ENKUlT_T0_E_clISt17integral_constantIbLb0EES1U_EEDaS1P_S1Q_EUlS1P_E_NS1_11comp_targetILNS1_3genE4ELNS1_11target_archE910ELNS1_3gpuE8ELNS1_3repE0EEENS1_30default_config_static_selectorELNS0_4arch9wavefront6targetE0EEEvS12_
		.amdhsa_group_segment_fixed_size 0
		.amdhsa_private_segment_fixed_size 0
		.amdhsa_kernarg_size 176
		.amdhsa_user_sgpr_count 2
		.amdhsa_user_sgpr_dispatch_ptr 0
		.amdhsa_user_sgpr_queue_ptr 0
		.amdhsa_user_sgpr_kernarg_segment_ptr 1
		.amdhsa_user_sgpr_dispatch_id 0
		.amdhsa_user_sgpr_kernarg_preload_length 0
		.amdhsa_user_sgpr_kernarg_preload_offset 0
		.amdhsa_user_sgpr_private_segment_size 0
		.amdhsa_wavefront_size32 1
		.amdhsa_uses_dynamic_stack 0
		.amdhsa_enable_private_segment 0
		.amdhsa_system_sgpr_workgroup_id_x 1
		.amdhsa_system_sgpr_workgroup_id_y 0
		.amdhsa_system_sgpr_workgroup_id_z 0
		.amdhsa_system_sgpr_workgroup_info 0
		.amdhsa_system_vgpr_workitem_id 0
		.amdhsa_next_free_vgpr 1
		.amdhsa_next_free_sgpr 1
		.amdhsa_named_barrier_count 0
		.amdhsa_reserve_vcc 0
		.amdhsa_float_round_mode_32 0
		.amdhsa_float_round_mode_16_64 0
		.amdhsa_float_denorm_mode_32 3
		.amdhsa_float_denorm_mode_16_64 3
		.amdhsa_fp16_overflow 0
		.amdhsa_memory_ordered 1
		.amdhsa_forward_progress 1
		.amdhsa_inst_pref_size 0
		.amdhsa_round_robin_scheduling 0
		.amdhsa_exception_fp_ieee_invalid_op 0
		.amdhsa_exception_fp_denorm_src 0
		.amdhsa_exception_fp_ieee_div_zero 0
		.amdhsa_exception_fp_ieee_overflow 0
		.amdhsa_exception_fp_ieee_underflow 0
		.amdhsa_exception_fp_ieee_inexact 0
		.amdhsa_exception_int_div_zero 0
	.end_amdhsa_kernel
	.section	.text._ZN7rocprim17ROCPRIM_400000_NS6detail17trampoline_kernelINS0_13select_configILj256ELj13ELNS0_17block_load_methodE3ELS4_3ELS4_3ELNS0_20block_scan_algorithmE0ELj4294967295EEENS1_25partition_config_selectorILNS1_17partition_subalgoE4EjNS0_10empty_typeEbEEZZNS1_14partition_implILS8_4ELb0ES6_15HIP_vector_typeIjLj2EENS0_17counting_iteratorIjlEEPS9_SG_NS0_5tupleIJPjSI_NS0_16reverse_iteratorISI_EEEEENSH_IJSG_SG_SG_EEES9_SI_JZNS1_25segmented_radix_sort_implINS0_14default_configELb0EPKiPiPKlPlN2at6native12_GLOBAL__N_18offset_tEEE10hipError_tPvRmT1_PNSt15iterator_traitsIS12_E10value_typeET2_T3_PNS13_IS18_E10value_typeET4_jRbjT5_S1E_jjP12ihipStream_tbEUljE_ZNSN_ISO_Lb0ESQ_SR_ST_SU_SY_EESZ_S10_S11_S12_S16_S17_S18_S1B_S1C_jS1D_jS1E_S1E_jjS1G_bEUljE0_EEESZ_S10_S11_S18_S1C_S1E_T6_T7_T9_mT8_S1G_bDpT10_ENKUlT_T0_E_clISt17integral_constantIbLb0EES1U_EEDaS1P_S1Q_EUlS1P_E_NS1_11comp_targetILNS1_3genE4ELNS1_11target_archE910ELNS1_3gpuE8ELNS1_3repE0EEENS1_30default_config_static_selectorELNS0_4arch9wavefront6targetE0EEEvS12_,"axG",@progbits,_ZN7rocprim17ROCPRIM_400000_NS6detail17trampoline_kernelINS0_13select_configILj256ELj13ELNS0_17block_load_methodE3ELS4_3ELS4_3ELNS0_20block_scan_algorithmE0ELj4294967295EEENS1_25partition_config_selectorILNS1_17partition_subalgoE4EjNS0_10empty_typeEbEEZZNS1_14partition_implILS8_4ELb0ES6_15HIP_vector_typeIjLj2EENS0_17counting_iteratorIjlEEPS9_SG_NS0_5tupleIJPjSI_NS0_16reverse_iteratorISI_EEEEENSH_IJSG_SG_SG_EEES9_SI_JZNS1_25segmented_radix_sort_implINS0_14default_configELb0EPKiPiPKlPlN2at6native12_GLOBAL__N_18offset_tEEE10hipError_tPvRmT1_PNSt15iterator_traitsIS12_E10value_typeET2_T3_PNS13_IS18_E10value_typeET4_jRbjT5_S1E_jjP12ihipStream_tbEUljE_ZNSN_ISO_Lb0ESQ_SR_ST_SU_SY_EESZ_S10_S11_S12_S16_S17_S18_S1B_S1C_jS1D_jS1E_S1E_jjS1G_bEUljE0_EEESZ_S10_S11_S18_S1C_S1E_T6_T7_T9_mT8_S1G_bDpT10_ENKUlT_T0_E_clISt17integral_constantIbLb0EES1U_EEDaS1P_S1Q_EUlS1P_E_NS1_11comp_targetILNS1_3genE4ELNS1_11target_archE910ELNS1_3gpuE8ELNS1_3repE0EEENS1_30default_config_static_selectorELNS0_4arch9wavefront6targetE0EEEvS12_,comdat
.Lfunc_end534:
	.size	_ZN7rocprim17ROCPRIM_400000_NS6detail17trampoline_kernelINS0_13select_configILj256ELj13ELNS0_17block_load_methodE3ELS4_3ELS4_3ELNS0_20block_scan_algorithmE0ELj4294967295EEENS1_25partition_config_selectorILNS1_17partition_subalgoE4EjNS0_10empty_typeEbEEZZNS1_14partition_implILS8_4ELb0ES6_15HIP_vector_typeIjLj2EENS0_17counting_iteratorIjlEEPS9_SG_NS0_5tupleIJPjSI_NS0_16reverse_iteratorISI_EEEEENSH_IJSG_SG_SG_EEES9_SI_JZNS1_25segmented_radix_sort_implINS0_14default_configELb0EPKiPiPKlPlN2at6native12_GLOBAL__N_18offset_tEEE10hipError_tPvRmT1_PNSt15iterator_traitsIS12_E10value_typeET2_T3_PNS13_IS18_E10value_typeET4_jRbjT5_S1E_jjP12ihipStream_tbEUljE_ZNSN_ISO_Lb0ESQ_SR_ST_SU_SY_EESZ_S10_S11_S12_S16_S17_S18_S1B_S1C_jS1D_jS1E_S1E_jjS1G_bEUljE0_EEESZ_S10_S11_S18_S1C_S1E_T6_T7_T9_mT8_S1G_bDpT10_ENKUlT_T0_E_clISt17integral_constantIbLb0EES1U_EEDaS1P_S1Q_EUlS1P_E_NS1_11comp_targetILNS1_3genE4ELNS1_11target_archE910ELNS1_3gpuE8ELNS1_3repE0EEENS1_30default_config_static_selectorELNS0_4arch9wavefront6targetE0EEEvS12_, .Lfunc_end534-_ZN7rocprim17ROCPRIM_400000_NS6detail17trampoline_kernelINS0_13select_configILj256ELj13ELNS0_17block_load_methodE3ELS4_3ELS4_3ELNS0_20block_scan_algorithmE0ELj4294967295EEENS1_25partition_config_selectorILNS1_17partition_subalgoE4EjNS0_10empty_typeEbEEZZNS1_14partition_implILS8_4ELb0ES6_15HIP_vector_typeIjLj2EENS0_17counting_iteratorIjlEEPS9_SG_NS0_5tupleIJPjSI_NS0_16reverse_iteratorISI_EEEEENSH_IJSG_SG_SG_EEES9_SI_JZNS1_25segmented_radix_sort_implINS0_14default_configELb0EPKiPiPKlPlN2at6native12_GLOBAL__N_18offset_tEEE10hipError_tPvRmT1_PNSt15iterator_traitsIS12_E10value_typeET2_T3_PNS13_IS18_E10value_typeET4_jRbjT5_S1E_jjP12ihipStream_tbEUljE_ZNSN_ISO_Lb0ESQ_SR_ST_SU_SY_EESZ_S10_S11_S12_S16_S17_S18_S1B_S1C_jS1D_jS1E_S1E_jjS1G_bEUljE0_EEESZ_S10_S11_S18_S1C_S1E_T6_T7_T9_mT8_S1G_bDpT10_ENKUlT_T0_E_clISt17integral_constantIbLb0EES1U_EEDaS1P_S1Q_EUlS1P_E_NS1_11comp_targetILNS1_3genE4ELNS1_11target_archE910ELNS1_3gpuE8ELNS1_3repE0EEENS1_30default_config_static_selectorELNS0_4arch9wavefront6targetE0EEEvS12_
                                        ; -- End function
	.set _ZN7rocprim17ROCPRIM_400000_NS6detail17trampoline_kernelINS0_13select_configILj256ELj13ELNS0_17block_load_methodE3ELS4_3ELS4_3ELNS0_20block_scan_algorithmE0ELj4294967295EEENS1_25partition_config_selectorILNS1_17partition_subalgoE4EjNS0_10empty_typeEbEEZZNS1_14partition_implILS8_4ELb0ES6_15HIP_vector_typeIjLj2EENS0_17counting_iteratorIjlEEPS9_SG_NS0_5tupleIJPjSI_NS0_16reverse_iteratorISI_EEEEENSH_IJSG_SG_SG_EEES9_SI_JZNS1_25segmented_radix_sort_implINS0_14default_configELb0EPKiPiPKlPlN2at6native12_GLOBAL__N_18offset_tEEE10hipError_tPvRmT1_PNSt15iterator_traitsIS12_E10value_typeET2_T3_PNS13_IS18_E10value_typeET4_jRbjT5_S1E_jjP12ihipStream_tbEUljE_ZNSN_ISO_Lb0ESQ_SR_ST_SU_SY_EESZ_S10_S11_S12_S16_S17_S18_S1B_S1C_jS1D_jS1E_S1E_jjS1G_bEUljE0_EEESZ_S10_S11_S18_S1C_S1E_T6_T7_T9_mT8_S1G_bDpT10_ENKUlT_T0_E_clISt17integral_constantIbLb0EES1U_EEDaS1P_S1Q_EUlS1P_E_NS1_11comp_targetILNS1_3genE4ELNS1_11target_archE910ELNS1_3gpuE8ELNS1_3repE0EEENS1_30default_config_static_selectorELNS0_4arch9wavefront6targetE0EEEvS12_.num_vgpr, 0
	.set _ZN7rocprim17ROCPRIM_400000_NS6detail17trampoline_kernelINS0_13select_configILj256ELj13ELNS0_17block_load_methodE3ELS4_3ELS4_3ELNS0_20block_scan_algorithmE0ELj4294967295EEENS1_25partition_config_selectorILNS1_17partition_subalgoE4EjNS0_10empty_typeEbEEZZNS1_14partition_implILS8_4ELb0ES6_15HIP_vector_typeIjLj2EENS0_17counting_iteratorIjlEEPS9_SG_NS0_5tupleIJPjSI_NS0_16reverse_iteratorISI_EEEEENSH_IJSG_SG_SG_EEES9_SI_JZNS1_25segmented_radix_sort_implINS0_14default_configELb0EPKiPiPKlPlN2at6native12_GLOBAL__N_18offset_tEEE10hipError_tPvRmT1_PNSt15iterator_traitsIS12_E10value_typeET2_T3_PNS13_IS18_E10value_typeET4_jRbjT5_S1E_jjP12ihipStream_tbEUljE_ZNSN_ISO_Lb0ESQ_SR_ST_SU_SY_EESZ_S10_S11_S12_S16_S17_S18_S1B_S1C_jS1D_jS1E_S1E_jjS1G_bEUljE0_EEESZ_S10_S11_S18_S1C_S1E_T6_T7_T9_mT8_S1G_bDpT10_ENKUlT_T0_E_clISt17integral_constantIbLb0EES1U_EEDaS1P_S1Q_EUlS1P_E_NS1_11comp_targetILNS1_3genE4ELNS1_11target_archE910ELNS1_3gpuE8ELNS1_3repE0EEENS1_30default_config_static_selectorELNS0_4arch9wavefront6targetE0EEEvS12_.num_agpr, 0
	.set _ZN7rocprim17ROCPRIM_400000_NS6detail17trampoline_kernelINS0_13select_configILj256ELj13ELNS0_17block_load_methodE3ELS4_3ELS4_3ELNS0_20block_scan_algorithmE0ELj4294967295EEENS1_25partition_config_selectorILNS1_17partition_subalgoE4EjNS0_10empty_typeEbEEZZNS1_14partition_implILS8_4ELb0ES6_15HIP_vector_typeIjLj2EENS0_17counting_iteratorIjlEEPS9_SG_NS0_5tupleIJPjSI_NS0_16reverse_iteratorISI_EEEEENSH_IJSG_SG_SG_EEES9_SI_JZNS1_25segmented_radix_sort_implINS0_14default_configELb0EPKiPiPKlPlN2at6native12_GLOBAL__N_18offset_tEEE10hipError_tPvRmT1_PNSt15iterator_traitsIS12_E10value_typeET2_T3_PNS13_IS18_E10value_typeET4_jRbjT5_S1E_jjP12ihipStream_tbEUljE_ZNSN_ISO_Lb0ESQ_SR_ST_SU_SY_EESZ_S10_S11_S12_S16_S17_S18_S1B_S1C_jS1D_jS1E_S1E_jjS1G_bEUljE0_EEESZ_S10_S11_S18_S1C_S1E_T6_T7_T9_mT8_S1G_bDpT10_ENKUlT_T0_E_clISt17integral_constantIbLb0EES1U_EEDaS1P_S1Q_EUlS1P_E_NS1_11comp_targetILNS1_3genE4ELNS1_11target_archE910ELNS1_3gpuE8ELNS1_3repE0EEENS1_30default_config_static_selectorELNS0_4arch9wavefront6targetE0EEEvS12_.numbered_sgpr, 0
	.set _ZN7rocprim17ROCPRIM_400000_NS6detail17trampoline_kernelINS0_13select_configILj256ELj13ELNS0_17block_load_methodE3ELS4_3ELS4_3ELNS0_20block_scan_algorithmE0ELj4294967295EEENS1_25partition_config_selectorILNS1_17partition_subalgoE4EjNS0_10empty_typeEbEEZZNS1_14partition_implILS8_4ELb0ES6_15HIP_vector_typeIjLj2EENS0_17counting_iteratorIjlEEPS9_SG_NS0_5tupleIJPjSI_NS0_16reverse_iteratorISI_EEEEENSH_IJSG_SG_SG_EEES9_SI_JZNS1_25segmented_radix_sort_implINS0_14default_configELb0EPKiPiPKlPlN2at6native12_GLOBAL__N_18offset_tEEE10hipError_tPvRmT1_PNSt15iterator_traitsIS12_E10value_typeET2_T3_PNS13_IS18_E10value_typeET4_jRbjT5_S1E_jjP12ihipStream_tbEUljE_ZNSN_ISO_Lb0ESQ_SR_ST_SU_SY_EESZ_S10_S11_S12_S16_S17_S18_S1B_S1C_jS1D_jS1E_S1E_jjS1G_bEUljE0_EEESZ_S10_S11_S18_S1C_S1E_T6_T7_T9_mT8_S1G_bDpT10_ENKUlT_T0_E_clISt17integral_constantIbLb0EES1U_EEDaS1P_S1Q_EUlS1P_E_NS1_11comp_targetILNS1_3genE4ELNS1_11target_archE910ELNS1_3gpuE8ELNS1_3repE0EEENS1_30default_config_static_selectorELNS0_4arch9wavefront6targetE0EEEvS12_.num_named_barrier, 0
	.set _ZN7rocprim17ROCPRIM_400000_NS6detail17trampoline_kernelINS0_13select_configILj256ELj13ELNS0_17block_load_methodE3ELS4_3ELS4_3ELNS0_20block_scan_algorithmE0ELj4294967295EEENS1_25partition_config_selectorILNS1_17partition_subalgoE4EjNS0_10empty_typeEbEEZZNS1_14partition_implILS8_4ELb0ES6_15HIP_vector_typeIjLj2EENS0_17counting_iteratorIjlEEPS9_SG_NS0_5tupleIJPjSI_NS0_16reverse_iteratorISI_EEEEENSH_IJSG_SG_SG_EEES9_SI_JZNS1_25segmented_radix_sort_implINS0_14default_configELb0EPKiPiPKlPlN2at6native12_GLOBAL__N_18offset_tEEE10hipError_tPvRmT1_PNSt15iterator_traitsIS12_E10value_typeET2_T3_PNS13_IS18_E10value_typeET4_jRbjT5_S1E_jjP12ihipStream_tbEUljE_ZNSN_ISO_Lb0ESQ_SR_ST_SU_SY_EESZ_S10_S11_S12_S16_S17_S18_S1B_S1C_jS1D_jS1E_S1E_jjS1G_bEUljE0_EEESZ_S10_S11_S18_S1C_S1E_T6_T7_T9_mT8_S1G_bDpT10_ENKUlT_T0_E_clISt17integral_constantIbLb0EES1U_EEDaS1P_S1Q_EUlS1P_E_NS1_11comp_targetILNS1_3genE4ELNS1_11target_archE910ELNS1_3gpuE8ELNS1_3repE0EEENS1_30default_config_static_selectorELNS0_4arch9wavefront6targetE0EEEvS12_.private_seg_size, 0
	.set _ZN7rocprim17ROCPRIM_400000_NS6detail17trampoline_kernelINS0_13select_configILj256ELj13ELNS0_17block_load_methodE3ELS4_3ELS4_3ELNS0_20block_scan_algorithmE0ELj4294967295EEENS1_25partition_config_selectorILNS1_17partition_subalgoE4EjNS0_10empty_typeEbEEZZNS1_14partition_implILS8_4ELb0ES6_15HIP_vector_typeIjLj2EENS0_17counting_iteratorIjlEEPS9_SG_NS0_5tupleIJPjSI_NS0_16reverse_iteratorISI_EEEEENSH_IJSG_SG_SG_EEES9_SI_JZNS1_25segmented_radix_sort_implINS0_14default_configELb0EPKiPiPKlPlN2at6native12_GLOBAL__N_18offset_tEEE10hipError_tPvRmT1_PNSt15iterator_traitsIS12_E10value_typeET2_T3_PNS13_IS18_E10value_typeET4_jRbjT5_S1E_jjP12ihipStream_tbEUljE_ZNSN_ISO_Lb0ESQ_SR_ST_SU_SY_EESZ_S10_S11_S12_S16_S17_S18_S1B_S1C_jS1D_jS1E_S1E_jjS1G_bEUljE0_EEESZ_S10_S11_S18_S1C_S1E_T6_T7_T9_mT8_S1G_bDpT10_ENKUlT_T0_E_clISt17integral_constantIbLb0EES1U_EEDaS1P_S1Q_EUlS1P_E_NS1_11comp_targetILNS1_3genE4ELNS1_11target_archE910ELNS1_3gpuE8ELNS1_3repE0EEENS1_30default_config_static_selectorELNS0_4arch9wavefront6targetE0EEEvS12_.uses_vcc, 0
	.set _ZN7rocprim17ROCPRIM_400000_NS6detail17trampoline_kernelINS0_13select_configILj256ELj13ELNS0_17block_load_methodE3ELS4_3ELS4_3ELNS0_20block_scan_algorithmE0ELj4294967295EEENS1_25partition_config_selectorILNS1_17partition_subalgoE4EjNS0_10empty_typeEbEEZZNS1_14partition_implILS8_4ELb0ES6_15HIP_vector_typeIjLj2EENS0_17counting_iteratorIjlEEPS9_SG_NS0_5tupleIJPjSI_NS0_16reverse_iteratorISI_EEEEENSH_IJSG_SG_SG_EEES9_SI_JZNS1_25segmented_radix_sort_implINS0_14default_configELb0EPKiPiPKlPlN2at6native12_GLOBAL__N_18offset_tEEE10hipError_tPvRmT1_PNSt15iterator_traitsIS12_E10value_typeET2_T3_PNS13_IS18_E10value_typeET4_jRbjT5_S1E_jjP12ihipStream_tbEUljE_ZNSN_ISO_Lb0ESQ_SR_ST_SU_SY_EESZ_S10_S11_S12_S16_S17_S18_S1B_S1C_jS1D_jS1E_S1E_jjS1G_bEUljE0_EEESZ_S10_S11_S18_S1C_S1E_T6_T7_T9_mT8_S1G_bDpT10_ENKUlT_T0_E_clISt17integral_constantIbLb0EES1U_EEDaS1P_S1Q_EUlS1P_E_NS1_11comp_targetILNS1_3genE4ELNS1_11target_archE910ELNS1_3gpuE8ELNS1_3repE0EEENS1_30default_config_static_selectorELNS0_4arch9wavefront6targetE0EEEvS12_.uses_flat_scratch, 0
	.set _ZN7rocprim17ROCPRIM_400000_NS6detail17trampoline_kernelINS0_13select_configILj256ELj13ELNS0_17block_load_methodE3ELS4_3ELS4_3ELNS0_20block_scan_algorithmE0ELj4294967295EEENS1_25partition_config_selectorILNS1_17partition_subalgoE4EjNS0_10empty_typeEbEEZZNS1_14partition_implILS8_4ELb0ES6_15HIP_vector_typeIjLj2EENS0_17counting_iteratorIjlEEPS9_SG_NS0_5tupleIJPjSI_NS0_16reverse_iteratorISI_EEEEENSH_IJSG_SG_SG_EEES9_SI_JZNS1_25segmented_radix_sort_implINS0_14default_configELb0EPKiPiPKlPlN2at6native12_GLOBAL__N_18offset_tEEE10hipError_tPvRmT1_PNSt15iterator_traitsIS12_E10value_typeET2_T3_PNS13_IS18_E10value_typeET4_jRbjT5_S1E_jjP12ihipStream_tbEUljE_ZNSN_ISO_Lb0ESQ_SR_ST_SU_SY_EESZ_S10_S11_S12_S16_S17_S18_S1B_S1C_jS1D_jS1E_S1E_jjS1G_bEUljE0_EEESZ_S10_S11_S18_S1C_S1E_T6_T7_T9_mT8_S1G_bDpT10_ENKUlT_T0_E_clISt17integral_constantIbLb0EES1U_EEDaS1P_S1Q_EUlS1P_E_NS1_11comp_targetILNS1_3genE4ELNS1_11target_archE910ELNS1_3gpuE8ELNS1_3repE0EEENS1_30default_config_static_selectorELNS0_4arch9wavefront6targetE0EEEvS12_.has_dyn_sized_stack, 0
	.set _ZN7rocprim17ROCPRIM_400000_NS6detail17trampoline_kernelINS0_13select_configILj256ELj13ELNS0_17block_load_methodE3ELS4_3ELS4_3ELNS0_20block_scan_algorithmE0ELj4294967295EEENS1_25partition_config_selectorILNS1_17partition_subalgoE4EjNS0_10empty_typeEbEEZZNS1_14partition_implILS8_4ELb0ES6_15HIP_vector_typeIjLj2EENS0_17counting_iteratorIjlEEPS9_SG_NS0_5tupleIJPjSI_NS0_16reverse_iteratorISI_EEEEENSH_IJSG_SG_SG_EEES9_SI_JZNS1_25segmented_radix_sort_implINS0_14default_configELb0EPKiPiPKlPlN2at6native12_GLOBAL__N_18offset_tEEE10hipError_tPvRmT1_PNSt15iterator_traitsIS12_E10value_typeET2_T3_PNS13_IS18_E10value_typeET4_jRbjT5_S1E_jjP12ihipStream_tbEUljE_ZNSN_ISO_Lb0ESQ_SR_ST_SU_SY_EESZ_S10_S11_S12_S16_S17_S18_S1B_S1C_jS1D_jS1E_S1E_jjS1G_bEUljE0_EEESZ_S10_S11_S18_S1C_S1E_T6_T7_T9_mT8_S1G_bDpT10_ENKUlT_T0_E_clISt17integral_constantIbLb0EES1U_EEDaS1P_S1Q_EUlS1P_E_NS1_11comp_targetILNS1_3genE4ELNS1_11target_archE910ELNS1_3gpuE8ELNS1_3repE0EEENS1_30default_config_static_selectorELNS0_4arch9wavefront6targetE0EEEvS12_.has_recursion, 0
	.set _ZN7rocprim17ROCPRIM_400000_NS6detail17trampoline_kernelINS0_13select_configILj256ELj13ELNS0_17block_load_methodE3ELS4_3ELS4_3ELNS0_20block_scan_algorithmE0ELj4294967295EEENS1_25partition_config_selectorILNS1_17partition_subalgoE4EjNS0_10empty_typeEbEEZZNS1_14partition_implILS8_4ELb0ES6_15HIP_vector_typeIjLj2EENS0_17counting_iteratorIjlEEPS9_SG_NS0_5tupleIJPjSI_NS0_16reverse_iteratorISI_EEEEENSH_IJSG_SG_SG_EEES9_SI_JZNS1_25segmented_radix_sort_implINS0_14default_configELb0EPKiPiPKlPlN2at6native12_GLOBAL__N_18offset_tEEE10hipError_tPvRmT1_PNSt15iterator_traitsIS12_E10value_typeET2_T3_PNS13_IS18_E10value_typeET4_jRbjT5_S1E_jjP12ihipStream_tbEUljE_ZNSN_ISO_Lb0ESQ_SR_ST_SU_SY_EESZ_S10_S11_S12_S16_S17_S18_S1B_S1C_jS1D_jS1E_S1E_jjS1G_bEUljE0_EEESZ_S10_S11_S18_S1C_S1E_T6_T7_T9_mT8_S1G_bDpT10_ENKUlT_T0_E_clISt17integral_constantIbLb0EES1U_EEDaS1P_S1Q_EUlS1P_E_NS1_11comp_targetILNS1_3genE4ELNS1_11target_archE910ELNS1_3gpuE8ELNS1_3repE0EEENS1_30default_config_static_selectorELNS0_4arch9wavefront6targetE0EEEvS12_.has_indirect_call, 0
	.section	.AMDGPU.csdata,"",@progbits
; Kernel info:
; codeLenInByte = 0
; TotalNumSgprs: 0
; NumVgprs: 0
; ScratchSize: 0
; MemoryBound: 0
; FloatMode: 240
; IeeeMode: 1
; LDSByteSize: 0 bytes/workgroup (compile time only)
; SGPRBlocks: 0
; VGPRBlocks: 0
; NumSGPRsForWavesPerEU: 1
; NumVGPRsForWavesPerEU: 1
; NamedBarCnt: 0
; Occupancy: 16
; WaveLimiterHint : 0
; COMPUTE_PGM_RSRC2:SCRATCH_EN: 0
; COMPUTE_PGM_RSRC2:USER_SGPR: 2
; COMPUTE_PGM_RSRC2:TRAP_HANDLER: 0
; COMPUTE_PGM_RSRC2:TGID_X_EN: 1
; COMPUTE_PGM_RSRC2:TGID_Y_EN: 0
; COMPUTE_PGM_RSRC2:TGID_Z_EN: 0
; COMPUTE_PGM_RSRC2:TIDIG_COMP_CNT: 0
	.section	.text._ZN7rocprim17ROCPRIM_400000_NS6detail17trampoline_kernelINS0_13select_configILj256ELj13ELNS0_17block_load_methodE3ELS4_3ELS4_3ELNS0_20block_scan_algorithmE0ELj4294967295EEENS1_25partition_config_selectorILNS1_17partition_subalgoE4EjNS0_10empty_typeEbEEZZNS1_14partition_implILS8_4ELb0ES6_15HIP_vector_typeIjLj2EENS0_17counting_iteratorIjlEEPS9_SG_NS0_5tupleIJPjSI_NS0_16reverse_iteratorISI_EEEEENSH_IJSG_SG_SG_EEES9_SI_JZNS1_25segmented_radix_sort_implINS0_14default_configELb0EPKiPiPKlPlN2at6native12_GLOBAL__N_18offset_tEEE10hipError_tPvRmT1_PNSt15iterator_traitsIS12_E10value_typeET2_T3_PNS13_IS18_E10value_typeET4_jRbjT5_S1E_jjP12ihipStream_tbEUljE_ZNSN_ISO_Lb0ESQ_SR_ST_SU_SY_EESZ_S10_S11_S12_S16_S17_S18_S1B_S1C_jS1D_jS1E_S1E_jjS1G_bEUljE0_EEESZ_S10_S11_S18_S1C_S1E_T6_T7_T9_mT8_S1G_bDpT10_ENKUlT_T0_E_clISt17integral_constantIbLb0EES1U_EEDaS1P_S1Q_EUlS1P_E_NS1_11comp_targetILNS1_3genE3ELNS1_11target_archE908ELNS1_3gpuE7ELNS1_3repE0EEENS1_30default_config_static_selectorELNS0_4arch9wavefront6targetE0EEEvS12_,"axG",@progbits,_ZN7rocprim17ROCPRIM_400000_NS6detail17trampoline_kernelINS0_13select_configILj256ELj13ELNS0_17block_load_methodE3ELS4_3ELS4_3ELNS0_20block_scan_algorithmE0ELj4294967295EEENS1_25partition_config_selectorILNS1_17partition_subalgoE4EjNS0_10empty_typeEbEEZZNS1_14partition_implILS8_4ELb0ES6_15HIP_vector_typeIjLj2EENS0_17counting_iteratorIjlEEPS9_SG_NS0_5tupleIJPjSI_NS0_16reverse_iteratorISI_EEEEENSH_IJSG_SG_SG_EEES9_SI_JZNS1_25segmented_radix_sort_implINS0_14default_configELb0EPKiPiPKlPlN2at6native12_GLOBAL__N_18offset_tEEE10hipError_tPvRmT1_PNSt15iterator_traitsIS12_E10value_typeET2_T3_PNS13_IS18_E10value_typeET4_jRbjT5_S1E_jjP12ihipStream_tbEUljE_ZNSN_ISO_Lb0ESQ_SR_ST_SU_SY_EESZ_S10_S11_S12_S16_S17_S18_S1B_S1C_jS1D_jS1E_S1E_jjS1G_bEUljE0_EEESZ_S10_S11_S18_S1C_S1E_T6_T7_T9_mT8_S1G_bDpT10_ENKUlT_T0_E_clISt17integral_constantIbLb0EES1U_EEDaS1P_S1Q_EUlS1P_E_NS1_11comp_targetILNS1_3genE3ELNS1_11target_archE908ELNS1_3gpuE7ELNS1_3repE0EEENS1_30default_config_static_selectorELNS0_4arch9wavefront6targetE0EEEvS12_,comdat
	.globl	_ZN7rocprim17ROCPRIM_400000_NS6detail17trampoline_kernelINS0_13select_configILj256ELj13ELNS0_17block_load_methodE3ELS4_3ELS4_3ELNS0_20block_scan_algorithmE0ELj4294967295EEENS1_25partition_config_selectorILNS1_17partition_subalgoE4EjNS0_10empty_typeEbEEZZNS1_14partition_implILS8_4ELb0ES6_15HIP_vector_typeIjLj2EENS0_17counting_iteratorIjlEEPS9_SG_NS0_5tupleIJPjSI_NS0_16reverse_iteratorISI_EEEEENSH_IJSG_SG_SG_EEES9_SI_JZNS1_25segmented_radix_sort_implINS0_14default_configELb0EPKiPiPKlPlN2at6native12_GLOBAL__N_18offset_tEEE10hipError_tPvRmT1_PNSt15iterator_traitsIS12_E10value_typeET2_T3_PNS13_IS18_E10value_typeET4_jRbjT5_S1E_jjP12ihipStream_tbEUljE_ZNSN_ISO_Lb0ESQ_SR_ST_SU_SY_EESZ_S10_S11_S12_S16_S17_S18_S1B_S1C_jS1D_jS1E_S1E_jjS1G_bEUljE0_EEESZ_S10_S11_S18_S1C_S1E_T6_T7_T9_mT8_S1G_bDpT10_ENKUlT_T0_E_clISt17integral_constantIbLb0EES1U_EEDaS1P_S1Q_EUlS1P_E_NS1_11comp_targetILNS1_3genE3ELNS1_11target_archE908ELNS1_3gpuE7ELNS1_3repE0EEENS1_30default_config_static_selectorELNS0_4arch9wavefront6targetE0EEEvS12_ ; -- Begin function _ZN7rocprim17ROCPRIM_400000_NS6detail17trampoline_kernelINS0_13select_configILj256ELj13ELNS0_17block_load_methodE3ELS4_3ELS4_3ELNS0_20block_scan_algorithmE0ELj4294967295EEENS1_25partition_config_selectorILNS1_17partition_subalgoE4EjNS0_10empty_typeEbEEZZNS1_14partition_implILS8_4ELb0ES6_15HIP_vector_typeIjLj2EENS0_17counting_iteratorIjlEEPS9_SG_NS0_5tupleIJPjSI_NS0_16reverse_iteratorISI_EEEEENSH_IJSG_SG_SG_EEES9_SI_JZNS1_25segmented_radix_sort_implINS0_14default_configELb0EPKiPiPKlPlN2at6native12_GLOBAL__N_18offset_tEEE10hipError_tPvRmT1_PNSt15iterator_traitsIS12_E10value_typeET2_T3_PNS13_IS18_E10value_typeET4_jRbjT5_S1E_jjP12ihipStream_tbEUljE_ZNSN_ISO_Lb0ESQ_SR_ST_SU_SY_EESZ_S10_S11_S12_S16_S17_S18_S1B_S1C_jS1D_jS1E_S1E_jjS1G_bEUljE0_EEESZ_S10_S11_S18_S1C_S1E_T6_T7_T9_mT8_S1G_bDpT10_ENKUlT_T0_E_clISt17integral_constantIbLb0EES1U_EEDaS1P_S1Q_EUlS1P_E_NS1_11comp_targetILNS1_3genE3ELNS1_11target_archE908ELNS1_3gpuE7ELNS1_3repE0EEENS1_30default_config_static_selectorELNS0_4arch9wavefront6targetE0EEEvS12_
	.p2align	8
	.type	_ZN7rocprim17ROCPRIM_400000_NS6detail17trampoline_kernelINS0_13select_configILj256ELj13ELNS0_17block_load_methodE3ELS4_3ELS4_3ELNS0_20block_scan_algorithmE0ELj4294967295EEENS1_25partition_config_selectorILNS1_17partition_subalgoE4EjNS0_10empty_typeEbEEZZNS1_14partition_implILS8_4ELb0ES6_15HIP_vector_typeIjLj2EENS0_17counting_iteratorIjlEEPS9_SG_NS0_5tupleIJPjSI_NS0_16reverse_iteratorISI_EEEEENSH_IJSG_SG_SG_EEES9_SI_JZNS1_25segmented_radix_sort_implINS0_14default_configELb0EPKiPiPKlPlN2at6native12_GLOBAL__N_18offset_tEEE10hipError_tPvRmT1_PNSt15iterator_traitsIS12_E10value_typeET2_T3_PNS13_IS18_E10value_typeET4_jRbjT5_S1E_jjP12ihipStream_tbEUljE_ZNSN_ISO_Lb0ESQ_SR_ST_SU_SY_EESZ_S10_S11_S12_S16_S17_S18_S1B_S1C_jS1D_jS1E_S1E_jjS1G_bEUljE0_EEESZ_S10_S11_S18_S1C_S1E_T6_T7_T9_mT8_S1G_bDpT10_ENKUlT_T0_E_clISt17integral_constantIbLb0EES1U_EEDaS1P_S1Q_EUlS1P_E_NS1_11comp_targetILNS1_3genE3ELNS1_11target_archE908ELNS1_3gpuE7ELNS1_3repE0EEENS1_30default_config_static_selectorELNS0_4arch9wavefront6targetE0EEEvS12_,@function
_ZN7rocprim17ROCPRIM_400000_NS6detail17trampoline_kernelINS0_13select_configILj256ELj13ELNS0_17block_load_methodE3ELS4_3ELS4_3ELNS0_20block_scan_algorithmE0ELj4294967295EEENS1_25partition_config_selectorILNS1_17partition_subalgoE4EjNS0_10empty_typeEbEEZZNS1_14partition_implILS8_4ELb0ES6_15HIP_vector_typeIjLj2EENS0_17counting_iteratorIjlEEPS9_SG_NS0_5tupleIJPjSI_NS0_16reverse_iteratorISI_EEEEENSH_IJSG_SG_SG_EEES9_SI_JZNS1_25segmented_radix_sort_implINS0_14default_configELb0EPKiPiPKlPlN2at6native12_GLOBAL__N_18offset_tEEE10hipError_tPvRmT1_PNSt15iterator_traitsIS12_E10value_typeET2_T3_PNS13_IS18_E10value_typeET4_jRbjT5_S1E_jjP12ihipStream_tbEUljE_ZNSN_ISO_Lb0ESQ_SR_ST_SU_SY_EESZ_S10_S11_S12_S16_S17_S18_S1B_S1C_jS1D_jS1E_S1E_jjS1G_bEUljE0_EEESZ_S10_S11_S18_S1C_S1E_T6_T7_T9_mT8_S1G_bDpT10_ENKUlT_T0_E_clISt17integral_constantIbLb0EES1U_EEDaS1P_S1Q_EUlS1P_E_NS1_11comp_targetILNS1_3genE3ELNS1_11target_archE908ELNS1_3gpuE7ELNS1_3repE0EEENS1_30default_config_static_selectorELNS0_4arch9wavefront6targetE0EEEvS12_: ; @_ZN7rocprim17ROCPRIM_400000_NS6detail17trampoline_kernelINS0_13select_configILj256ELj13ELNS0_17block_load_methodE3ELS4_3ELS4_3ELNS0_20block_scan_algorithmE0ELj4294967295EEENS1_25partition_config_selectorILNS1_17partition_subalgoE4EjNS0_10empty_typeEbEEZZNS1_14partition_implILS8_4ELb0ES6_15HIP_vector_typeIjLj2EENS0_17counting_iteratorIjlEEPS9_SG_NS0_5tupleIJPjSI_NS0_16reverse_iteratorISI_EEEEENSH_IJSG_SG_SG_EEES9_SI_JZNS1_25segmented_radix_sort_implINS0_14default_configELb0EPKiPiPKlPlN2at6native12_GLOBAL__N_18offset_tEEE10hipError_tPvRmT1_PNSt15iterator_traitsIS12_E10value_typeET2_T3_PNS13_IS18_E10value_typeET4_jRbjT5_S1E_jjP12ihipStream_tbEUljE_ZNSN_ISO_Lb0ESQ_SR_ST_SU_SY_EESZ_S10_S11_S12_S16_S17_S18_S1B_S1C_jS1D_jS1E_S1E_jjS1G_bEUljE0_EEESZ_S10_S11_S18_S1C_S1E_T6_T7_T9_mT8_S1G_bDpT10_ENKUlT_T0_E_clISt17integral_constantIbLb0EES1U_EEDaS1P_S1Q_EUlS1P_E_NS1_11comp_targetILNS1_3genE3ELNS1_11target_archE908ELNS1_3gpuE7ELNS1_3repE0EEENS1_30default_config_static_selectorELNS0_4arch9wavefront6targetE0EEEvS12_
; %bb.0:
	.section	.rodata,"a",@progbits
	.p2align	6, 0x0
	.amdhsa_kernel _ZN7rocprim17ROCPRIM_400000_NS6detail17trampoline_kernelINS0_13select_configILj256ELj13ELNS0_17block_load_methodE3ELS4_3ELS4_3ELNS0_20block_scan_algorithmE0ELj4294967295EEENS1_25partition_config_selectorILNS1_17partition_subalgoE4EjNS0_10empty_typeEbEEZZNS1_14partition_implILS8_4ELb0ES6_15HIP_vector_typeIjLj2EENS0_17counting_iteratorIjlEEPS9_SG_NS0_5tupleIJPjSI_NS0_16reverse_iteratorISI_EEEEENSH_IJSG_SG_SG_EEES9_SI_JZNS1_25segmented_radix_sort_implINS0_14default_configELb0EPKiPiPKlPlN2at6native12_GLOBAL__N_18offset_tEEE10hipError_tPvRmT1_PNSt15iterator_traitsIS12_E10value_typeET2_T3_PNS13_IS18_E10value_typeET4_jRbjT5_S1E_jjP12ihipStream_tbEUljE_ZNSN_ISO_Lb0ESQ_SR_ST_SU_SY_EESZ_S10_S11_S12_S16_S17_S18_S1B_S1C_jS1D_jS1E_S1E_jjS1G_bEUljE0_EEESZ_S10_S11_S18_S1C_S1E_T6_T7_T9_mT8_S1G_bDpT10_ENKUlT_T0_E_clISt17integral_constantIbLb0EES1U_EEDaS1P_S1Q_EUlS1P_E_NS1_11comp_targetILNS1_3genE3ELNS1_11target_archE908ELNS1_3gpuE7ELNS1_3repE0EEENS1_30default_config_static_selectorELNS0_4arch9wavefront6targetE0EEEvS12_
		.amdhsa_group_segment_fixed_size 0
		.amdhsa_private_segment_fixed_size 0
		.amdhsa_kernarg_size 176
		.amdhsa_user_sgpr_count 2
		.amdhsa_user_sgpr_dispatch_ptr 0
		.amdhsa_user_sgpr_queue_ptr 0
		.amdhsa_user_sgpr_kernarg_segment_ptr 1
		.amdhsa_user_sgpr_dispatch_id 0
		.amdhsa_user_sgpr_kernarg_preload_length 0
		.amdhsa_user_sgpr_kernarg_preload_offset 0
		.amdhsa_user_sgpr_private_segment_size 0
		.amdhsa_wavefront_size32 1
		.amdhsa_uses_dynamic_stack 0
		.amdhsa_enable_private_segment 0
		.amdhsa_system_sgpr_workgroup_id_x 1
		.amdhsa_system_sgpr_workgroup_id_y 0
		.amdhsa_system_sgpr_workgroup_id_z 0
		.amdhsa_system_sgpr_workgroup_info 0
		.amdhsa_system_vgpr_workitem_id 0
		.amdhsa_next_free_vgpr 1
		.amdhsa_next_free_sgpr 1
		.amdhsa_named_barrier_count 0
		.amdhsa_reserve_vcc 0
		.amdhsa_float_round_mode_32 0
		.amdhsa_float_round_mode_16_64 0
		.amdhsa_float_denorm_mode_32 3
		.amdhsa_float_denorm_mode_16_64 3
		.amdhsa_fp16_overflow 0
		.amdhsa_memory_ordered 1
		.amdhsa_forward_progress 1
		.amdhsa_inst_pref_size 0
		.amdhsa_round_robin_scheduling 0
		.amdhsa_exception_fp_ieee_invalid_op 0
		.amdhsa_exception_fp_denorm_src 0
		.amdhsa_exception_fp_ieee_div_zero 0
		.amdhsa_exception_fp_ieee_overflow 0
		.amdhsa_exception_fp_ieee_underflow 0
		.amdhsa_exception_fp_ieee_inexact 0
		.amdhsa_exception_int_div_zero 0
	.end_amdhsa_kernel
	.section	.text._ZN7rocprim17ROCPRIM_400000_NS6detail17trampoline_kernelINS0_13select_configILj256ELj13ELNS0_17block_load_methodE3ELS4_3ELS4_3ELNS0_20block_scan_algorithmE0ELj4294967295EEENS1_25partition_config_selectorILNS1_17partition_subalgoE4EjNS0_10empty_typeEbEEZZNS1_14partition_implILS8_4ELb0ES6_15HIP_vector_typeIjLj2EENS0_17counting_iteratorIjlEEPS9_SG_NS0_5tupleIJPjSI_NS0_16reverse_iteratorISI_EEEEENSH_IJSG_SG_SG_EEES9_SI_JZNS1_25segmented_radix_sort_implINS0_14default_configELb0EPKiPiPKlPlN2at6native12_GLOBAL__N_18offset_tEEE10hipError_tPvRmT1_PNSt15iterator_traitsIS12_E10value_typeET2_T3_PNS13_IS18_E10value_typeET4_jRbjT5_S1E_jjP12ihipStream_tbEUljE_ZNSN_ISO_Lb0ESQ_SR_ST_SU_SY_EESZ_S10_S11_S12_S16_S17_S18_S1B_S1C_jS1D_jS1E_S1E_jjS1G_bEUljE0_EEESZ_S10_S11_S18_S1C_S1E_T6_T7_T9_mT8_S1G_bDpT10_ENKUlT_T0_E_clISt17integral_constantIbLb0EES1U_EEDaS1P_S1Q_EUlS1P_E_NS1_11comp_targetILNS1_3genE3ELNS1_11target_archE908ELNS1_3gpuE7ELNS1_3repE0EEENS1_30default_config_static_selectorELNS0_4arch9wavefront6targetE0EEEvS12_,"axG",@progbits,_ZN7rocprim17ROCPRIM_400000_NS6detail17trampoline_kernelINS0_13select_configILj256ELj13ELNS0_17block_load_methodE3ELS4_3ELS4_3ELNS0_20block_scan_algorithmE0ELj4294967295EEENS1_25partition_config_selectorILNS1_17partition_subalgoE4EjNS0_10empty_typeEbEEZZNS1_14partition_implILS8_4ELb0ES6_15HIP_vector_typeIjLj2EENS0_17counting_iteratorIjlEEPS9_SG_NS0_5tupleIJPjSI_NS0_16reverse_iteratorISI_EEEEENSH_IJSG_SG_SG_EEES9_SI_JZNS1_25segmented_radix_sort_implINS0_14default_configELb0EPKiPiPKlPlN2at6native12_GLOBAL__N_18offset_tEEE10hipError_tPvRmT1_PNSt15iterator_traitsIS12_E10value_typeET2_T3_PNS13_IS18_E10value_typeET4_jRbjT5_S1E_jjP12ihipStream_tbEUljE_ZNSN_ISO_Lb0ESQ_SR_ST_SU_SY_EESZ_S10_S11_S12_S16_S17_S18_S1B_S1C_jS1D_jS1E_S1E_jjS1G_bEUljE0_EEESZ_S10_S11_S18_S1C_S1E_T6_T7_T9_mT8_S1G_bDpT10_ENKUlT_T0_E_clISt17integral_constantIbLb0EES1U_EEDaS1P_S1Q_EUlS1P_E_NS1_11comp_targetILNS1_3genE3ELNS1_11target_archE908ELNS1_3gpuE7ELNS1_3repE0EEENS1_30default_config_static_selectorELNS0_4arch9wavefront6targetE0EEEvS12_,comdat
.Lfunc_end535:
	.size	_ZN7rocprim17ROCPRIM_400000_NS6detail17trampoline_kernelINS0_13select_configILj256ELj13ELNS0_17block_load_methodE3ELS4_3ELS4_3ELNS0_20block_scan_algorithmE0ELj4294967295EEENS1_25partition_config_selectorILNS1_17partition_subalgoE4EjNS0_10empty_typeEbEEZZNS1_14partition_implILS8_4ELb0ES6_15HIP_vector_typeIjLj2EENS0_17counting_iteratorIjlEEPS9_SG_NS0_5tupleIJPjSI_NS0_16reverse_iteratorISI_EEEEENSH_IJSG_SG_SG_EEES9_SI_JZNS1_25segmented_radix_sort_implINS0_14default_configELb0EPKiPiPKlPlN2at6native12_GLOBAL__N_18offset_tEEE10hipError_tPvRmT1_PNSt15iterator_traitsIS12_E10value_typeET2_T3_PNS13_IS18_E10value_typeET4_jRbjT5_S1E_jjP12ihipStream_tbEUljE_ZNSN_ISO_Lb0ESQ_SR_ST_SU_SY_EESZ_S10_S11_S12_S16_S17_S18_S1B_S1C_jS1D_jS1E_S1E_jjS1G_bEUljE0_EEESZ_S10_S11_S18_S1C_S1E_T6_T7_T9_mT8_S1G_bDpT10_ENKUlT_T0_E_clISt17integral_constantIbLb0EES1U_EEDaS1P_S1Q_EUlS1P_E_NS1_11comp_targetILNS1_3genE3ELNS1_11target_archE908ELNS1_3gpuE7ELNS1_3repE0EEENS1_30default_config_static_selectorELNS0_4arch9wavefront6targetE0EEEvS12_, .Lfunc_end535-_ZN7rocprim17ROCPRIM_400000_NS6detail17trampoline_kernelINS0_13select_configILj256ELj13ELNS0_17block_load_methodE3ELS4_3ELS4_3ELNS0_20block_scan_algorithmE0ELj4294967295EEENS1_25partition_config_selectorILNS1_17partition_subalgoE4EjNS0_10empty_typeEbEEZZNS1_14partition_implILS8_4ELb0ES6_15HIP_vector_typeIjLj2EENS0_17counting_iteratorIjlEEPS9_SG_NS0_5tupleIJPjSI_NS0_16reverse_iteratorISI_EEEEENSH_IJSG_SG_SG_EEES9_SI_JZNS1_25segmented_radix_sort_implINS0_14default_configELb0EPKiPiPKlPlN2at6native12_GLOBAL__N_18offset_tEEE10hipError_tPvRmT1_PNSt15iterator_traitsIS12_E10value_typeET2_T3_PNS13_IS18_E10value_typeET4_jRbjT5_S1E_jjP12ihipStream_tbEUljE_ZNSN_ISO_Lb0ESQ_SR_ST_SU_SY_EESZ_S10_S11_S12_S16_S17_S18_S1B_S1C_jS1D_jS1E_S1E_jjS1G_bEUljE0_EEESZ_S10_S11_S18_S1C_S1E_T6_T7_T9_mT8_S1G_bDpT10_ENKUlT_T0_E_clISt17integral_constantIbLb0EES1U_EEDaS1P_S1Q_EUlS1P_E_NS1_11comp_targetILNS1_3genE3ELNS1_11target_archE908ELNS1_3gpuE7ELNS1_3repE0EEENS1_30default_config_static_selectorELNS0_4arch9wavefront6targetE0EEEvS12_
                                        ; -- End function
	.set _ZN7rocprim17ROCPRIM_400000_NS6detail17trampoline_kernelINS0_13select_configILj256ELj13ELNS0_17block_load_methodE3ELS4_3ELS4_3ELNS0_20block_scan_algorithmE0ELj4294967295EEENS1_25partition_config_selectorILNS1_17partition_subalgoE4EjNS0_10empty_typeEbEEZZNS1_14partition_implILS8_4ELb0ES6_15HIP_vector_typeIjLj2EENS0_17counting_iteratorIjlEEPS9_SG_NS0_5tupleIJPjSI_NS0_16reverse_iteratorISI_EEEEENSH_IJSG_SG_SG_EEES9_SI_JZNS1_25segmented_radix_sort_implINS0_14default_configELb0EPKiPiPKlPlN2at6native12_GLOBAL__N_18offset_tEEE10hipError_tPvRmT1_PNSt15iterator_traitsIS12_E10value_typeET2_T3_PNS13_IS18_E10value_typeET4_jRbjT5_S1E_jjP12ihipStream_tbEUljE_ZNSN_ISO_Lb0ESQ_SR_ST_SU_SY_EESZ_S10_S11_S12_S16_S17_S18_S1B_S1C_jS1D_jS1E_S1E_jjS1G_bEUljE0_EEESZ_S10_S11_S18_S1C_S1E_T6_T7_T9_mT8_S1G_bDpT10_ENKUlT_T0_E_clISt17integral_constantIbLb0EES1U_EEDaS1P_S1Q_EUlS1P_E_NS1_11comp_targetILNS1_3genE3ELNS1_11target_archE908ELNS1_3gpuE7ELNS1_3repE0EEENS1_30default_config_static_selectorELNS0_4arch9wavefront6targetE0EEEvS12_.num_vgpr, 0
	.set _ZN7rocprim17ROCPRIM_400000_NS6detail17trampoline_kernelINS0_13select_configILj256ELj13ELNS0_17block_load_methodE3ELS4_3ELS4_3ELNS0_20block_scan_algorithmE0ELj4294967295EEENS1_25partition_config_selectorILNS1_17partition_subalgoE4EjNS0_10empty_typeEbEEZZNS1_14partition_implILS8_4ELb0ES6_15HIP_vector_typeIjLj2EENS0_17counting_iteratorIjlEEPS9_SG_NS0_5tupleIJPjSI_NS0_16reverse_iteratorISI_EEEEENSH_IJSG_SG_SG_EEES9_SI_JZNS1_25segmented_radix_sort_implINS0_14default_configELb0EPKiPiPKlPlN2at6native12_GLOBAL__N_18offset_tEEE10hipError_tPvRmT1_PNSt15iterator_traitsIS12_E10value_typeET2_T3_PNS13_IS18_E10value_typeET4_jRbjT5_S1E_jjP12ihipStream_tbEUljE_ZNSN_ISO_Lb0ESQ_SR_ST_SU_SY_EESZ_S10_S11_S12_S16_S17_S18_S1B_S1C_jS1D_jS1E_S1E_jjS1G_bEUljE0_EEESZ_S10_S11_S18_S1C_S1E_T6_T7_T9_mT8_S1G_bDpT10_ENKUlT_T0_E_clISt17integral_constantIbLb0EES1U_EEDaS1P_S1Q_EUlS1P_E_NS1_11comp_targetILNS1_3genE3ELNS1_11target_archE908ELNS1_3gpuE7ELNS1_3repE0EEENS1_30default_config_static_selectorELNS0_4arch9wavefront6targetE0EEEvS12_.num_agpr, 0
	.set _ZN7rocprim17ROCPRIM_400000_NS6detail17trampoline_kernelINS0_13select_configILj256ELj13ELNS0_17block_load_methodE3ELS4_3ELS4_3ELNS0_20block_scan_algorithmE0ELj4294967295EEENS1_25partition_config_selectorILNS1_17partition_subalgoE4EjNS0_10empty_typeEbEEZZNS1_14partition_implILS8_4ELb0ES6_15HIP_vector_typeIjLj2EENS0_17counting_iteratorIjlEEPS9_SG_NS0_5tupleIJPjSI_NS0_16reverse_iteratorISI_EEEEENSH_IJSG_SG_SG_EEES9_SI_JZNS1_25segmented_radix_sort_implINS0_14default_configELb0EPKiPiPKlPlN2at6native12_GLOBAL__N_18offset_tEEE10hipError_tPvRmT1_PNSt15iterator_traitsIS12_E10value_typeET2_T3_PNS13_IS18_E10value_typeET4_jRbjT5_S1E_jjP12ihipStream_tbEUljE_ZNSN_ISO_Lb0ESQ_SR_ST_SU_SY_EESZ_S10_S11_S12_S16_S17_S18_S1B_S1C_jS1D_jS1E_S1E_jjS1G_bEUljE0_EEESZ_S10_S11_S18_S1C_S1E_T6_T7_T9_mT8_S1G_bDpT10_ENKUlT_T0_E_clISt17integral_constantIbLb0EES1U_EEDaS1P_S1Q_EUlS1P_E_NS1_11comp_targetILNS1_3genE3ELNS1_11target_archE908ELNS1_3gpuE7ELNS1_3repE0EEENS1_30default_config_static_selectorELNS0_4arch9wavefront6targetE0EEEvS12_.numbered_sgpr, 0
	.set _ZN7rocprim17ROCPRIM_400000_NS6detail17trampoline_kernelINS0_13select_configILj256ELj13ELNS0_17block_load_methodE3ELS4_3ELS4_3ELNS0_20block_scan_algorithmE0ELj4294967295EEENS1_25partition_config_selectorILNS1_17partition_subalgoE4EjNS0_10empty_typeEbEEZZNS1_14partition_implILS8_4ELb0ES6_15HIP_vector_typeIjLj2EENS0_17counting_iteratorIjlEEPS9_SG_NS0_5tupleIJPjSI_NS0_16reverse_iteratorISI_EEEEENSH_IJSG_SG_SG_EEES9_SI_JZNS1_25segmented_radix_sort_implINS0_14default_configELb0EPKiPiPKlPlN2at6native12_GLOBAL__N_18offset_tEEE10hipError_tPvRmT1_PNSt15iterator_traitsIS12_E10value_typeET2_T3_PNS13_IS18_E10value_typeET4_jRbjT5_S1E_jjP12ihipStream_tbEUljE_ZNSN_ISO_Lb0ESQ_SR_ST_SU_SY_EESZ_S10_S11_S12_S16_S17_S18_S1B_S1C_jS1D_jS1E_S1E_jjS1G_bEUljE0_EEESZ_S10_S11_S18_S1C_S1E_T6_T7_T9_mT8_S1G_bDpT10_ENKUlT_T0_E_clISt17integral_constantIbLb0EES1U_EEDaS1P_S1Q_EUlS1P_E_NS1_11comp_targetILNS1_3genE3ELNS1_11target_archE908ELNS1_3gpuE7ELNS1_3repE0EEENS1_30default_config_static_selectorELNS0_4arch9wavefront6targetE0EEEvS12_.num_named_barrier, 0
	.set _ZN7rocprim17ROCPRIM_400000_NS6detail17trampoline_kernelINS0_13select_configILj256ELj13ELNS0_17block_load_methodE3ELS4_3ELS4_3ELNS0_20block_scan_algorithmE0ELj4294967295EEENS1_25partition_config_selectorILNS1_17partition_subalgoE4EjNS0_10empty_typeEbEEZZNS1_14partition_implILS8_4ELb0ES6_15HIP_vector_typeIjLj2EENS0_17counting_iteratorIjlEEPS9_SG_NS0_5tupleIJPjSI_NS0_16reverse_iteratorISI_EEEEENSH_IJSG_SG_SG_EEES9_SI_JZNS1_25segmented_radix_sort_implINS0_14default_configELb0EPKiPiPKlPlN2at6native12_GLOBAL__N_18offset_tEEE10hipError_tPvRmT1_PNSt15iterator_traitsIS12_E10value_typeET2_T3_PNS13_IS18_E10value_typeET4_jRbjT5_S1E_jjP12ihipStream_tbEUljE_ZNSN_ISO_Lb0ESQ_SR_ST_SU_SY_EESZ_S10_S11_S12_S16_S17_S18_S1B_S1C_jS1D_jS1E_S1E_jjS1G_bEUljE0_EEESZ_S10_S11_S18_S1C_S1E_T6_T7_T9_mT8_S1G_bDpT10_ENKUlT_T0_E_clISt17integral_constantIbLb0EES1U_EEDaS1P_S1Q_EUlS1P_E_NS1_11comp_targetILNS1_3genE3ELNS1_11target_archE908ELNS1_3gpuE7ELNS1_3repE0EEENS1_30default_config_static_selectorELNS0_4arch9wavefront6targetE0EEEvS12_.private_seg_size, 0
	.set _ZN7rocprim17ROCPRIM_400000_NS6detail17trampoline_kernelINS0_13select_configILj256ELj13ELNS0_17block_load_methodE3ELS4_3ELS4_3ELNS0_20block_scan_algorithmE0ELj4294967295EEENS1_25partition_config_selectorILNS1_17partition_subalgoE4EjNS0_10empty_typeEbEEZZNS1_14partition_implILS8_4ELb0ES6_15HIP_vector_typeIjLj2EENS0_17counting_iteratorIjlEEPS9_SG_NS0_5tupleIJPjSI_NS0_16reverse_iteratorISI_EEEEENSH_IJSG_SG_SG_EEES9_SI_JZNS1_25segmented_radix_sort_implINS0_14default_configELb0EPKiPiPKlPlN2at6native12_GLOBAL__N_18offset_tEEE10hipError_tPvRmT1_PNSt15iterator_traitsIS12_E10value_typeET2_T3_PNS13_IS18_E10value_typeET4_jRbjT5_S1E_jjP12ihipStream_tbEUljE_ZNSN_ISO_Lb0ESQ_SR_ST_SU_SY_EESZ_S10_S11_S12_S16_S17_S18_S1B_S1C_jS1D_jS1E_S1E_jjS1G_bEUljE0_EEESZ_S10_S11_S18_S1C_S1E_T6_T7_T9_mT8_S1G_bDpT10_ENKUlT_T0_E_clISt17integral_constantIbLb0EES1U_EEDaS1P_S1Q_EUlS1P_E_NS1_11comp_targetILNS1_3genE3ELNS1_11target_archE908ELNS1_3gpuE7ELNS1_3repE0EEENS1_30default_config_static_selectorELNS0_4arch9wavefront6targetE0EEEvS12_.uses_vcc, 0
	.set _ZN7rocprim17ROCPRIM_400000_NS6detail17trampoline_kernelINS0_13select_configILj256ELj13ELNS0_17block_load_methodE3ELS4_3ELS4_3ELNS0_20block_scan_algorithmE0ELj4294967295EEENS1_25partition_config_selectorILNS1_17partition_subalgoE4EjNS0_10empty_typeEbEEZZNS1_14partition_implILS8_4ELb0ES6_15HIP_vector_typeIjLj2EENS0_17counting_iteratorIjlEEPS9_SG_NS0_5tupleIJPjSI_NS0_16reverse_iteratorISI_EEEEENSH_IJSG_SG_SG_EEES9_SI_JZNS1_25segmented_radix_sort_implINS0_14default_configELb0EPKiPiPKlPlN2at6native12_GLOBAL__N_18offset_tEEE10hipError_tPvRmT1_PNSt15iterator_traitsIS12_E10value_typeET2_T3_PNS13_IS18_E10value_typeET4_jRbjT5_S1E_jjP12ihipStream_tbEUljE_ZNSN_ISO_Lb0ESQ_SR_ST_SU_SY_EESZ_S10_S11_S12_S16_S17_S18_S1B_S1C_jS1D_jS1E_S1E_jjS1G_bEUljE0_EEESZ_S10_S11_S18_S1C_S1E_T6_T7_T9_mT8_S1G_bDpT10_ENKUlT_T0_E_clISt17integral_constantIbLb0EES1U_EEDaS1P_S1Q_EUlS1P_E_NS1_11comp_targetILNS1_3genE3ELNS1_11target_archE908ELNS1_3gpuE7ELNS1_3repE0EEENS1_30default_config_static_selectorELNS0_4arch9wavefront6targetE0EEEvS12_.uses_flat_scratch, 0
	.set _ZN7rocprim17ROCPRIM_400000_NS6detail17trampoline_kernelINS0_13select_configILj256ELj13ELNS0_17block_load_methodE3ELS4_3ELS4_3ELNS0_20block_scan_algorithmE0ELj4294967295EEENS1_25partition_config_selectorILNS1_17partition_subalgoE4EjNS0_10empty_typeEbEEZZNS1_14partition_implILS8_4ELb0ES6_15HIP_vector_typeIjLj2EENS0_17counting_iteratorIjlEEPS9_SG_NS0_5tupleIJPjSI_NS0_16reverse_iteratorISI_EEEEENSH_IJSG_SG_SG_EEES9_SI_JZNS1_25segmented_radix_sort_implINS0_14default_configELb0EPKiPiPKlPlN2at6native12_GLOBAL__N_18offset_tEEE10hipError_tPvRmT1_PNSt15iterator_traitsIS12_E10value_typeET2_T3_PNS13_IS18_E10value_typeET4_jRbjT5_S1E_jjP12ihipStream_tbEUljE_ZNSN_ISO_Lb0ESQ_SR_ST_SU_SY_EESZ_S10_S11_S12_S16_S17_S18_S1B_S1C_jS1D_jS1E_S1E_jjS1G_bEUljE0_EEESZ_S10_S11_S18_S1C_S1E_T6_T7_T9_mT8_S1G_bDpT10_ENKUlT_T0_E_clISt17integral_constantIbLb0EES1U_EEDaS1P_S1Q_EUlS1P_E_NS1_11comp_targetILNS1_3genE3ELNS1_11target_archE908ELNS1_3gpuE7ELNS1_3repE0EEENS1_30default_config_static_selectorELNS0_4arch9wavefront6targetE0EEEvS12_.has_dyn_sized_stack, 0
	.set _ZN7rocprim17ROCPRIM_400000_NS6detail17trampoline_kernelINS0_13select_configILj256ELj13ELNS0_17block_load_methodE3ELS4_3ELS4_3ELNS0_20block_scan_algorithmE0ELj4294967295EEENS1_25partition_config_selectorILNS1_17partition_subalgoE4EjNS0_10empty_typeEbEEZZNS1_14partition_implILS8_4ELb0ES6_15HIP_vector_typeIjLj2EENS0_17counting_iteratorIjlEEPS9_SG_NS0_5tupleIJPjSI_NS0_16reverse_iteratorISI_EEEEENSH_IJSG_SG_SG_EEES9_SI_JZNS1_25segmented_radix_sort_implINS0_14default_configELb0EPKiPiPKlPlN2at6native12_GLOBAL__N_18offset_tEEE10hipError_tPvRmT1_PNSt15iterator_traitsIS12_E10value_typeET2_T3_PNS13_IS18_E10value_typeET4_jRbjT5_S1E_jjP12ihipStream_tbEUljE_ZNSN_ISO_Lb0ESQ_SR_ST_SU_SY_EESZ_S10_S11_S12_S16_S17_S18_S1B_S1C_jS1D_jS1E_S1E_jjS1G_bEUljE0_EEESZ_S10_S11_S18_S1C_S1E_T6_T7_T9_mT8_S1G_bDpT10_ENKUlT_T0_E_clISt17integral_constantIbLb0EES1U_EEDaS1P_S1Q_EUlS1P_E_NS1_11comp_targetILNS1_3genE3ELNS1_11target_archE908ELNS1_3gpuE7ELNS1_3repE0EEENS1_30default_config_static_selectorELNS0_4arch9wavefront6targetE0EEEvS12_.has_recursion, 0
	.set _ZN7rocprim17ROCPRIM_400000_NS6detail17trampoline_kernelINS0_13select_configILj256ELj13ELNS0_17block_load_methodE3ELS4_3ELS4_3ELNS0_20block_scan_algorithmE0ELj4294967295EEENS1_25partition_config_selectorILNS1_17partition_subalgoE4EjNS0_10empty_typeEbEEZZNS1_14partition_implILS8_4ELb0ES6_15HIP_vector_typeIjLj2EENS0_17counting_iteratorIjlEEPS9_SG_NS0_5tupleIJPjSI_NS0_16reverse_iteratorISI_EEEEENSH_IJSG_SG_SG_EEES9_SI_JZNS1_25segmented_radix_sort_implINS0_14default_configELb0EPKiPiPKlPlN2at6native12_GLOBAL__N_18offset_tEEE10hipError_tPvRmT1_PNSt15iterator_traitsIS12_E10value_typeET2_T3_PNS13_IS18_E10value_typeET4_jRbjT5_S1E_jjP12ihipStream_tbEUljE_ZNSN_ISO_Lb0ESQ_SR_ST_SU_SY_EESZ_S10_S11_S12_S16_S17_S18_S1B_S1C_jS1D_jS1E_S1E_jjS1G_bEUljE0_EEESZ_S10_S11_S18_S1C_S1E_T6_T7_T9_mT8_S1G_bDpT10_ENKUlT_T0_E_clISt17integral_constantIbLb0EES1U_EEDaS1P_S1Q_EUlS1P_E_NS1_11comp_targetILNS1_3genE3ELNS1_11target_archE908ELNS1_3gpuE7ELNS1_3repE0EEENS1_30default_config_static_selectorELNS0_4arch9wavefront6targetE0EEEvS12_.has_indirect_call, 0
	.section	.AMDGPU.csdata,"",@progbits
; Kernel info:
; codeLenInByte = 0
; TotalNumSgprs: 0
; NumVgprs: 0
; ScratchSize: 0
; MemoryBound: 0
; FloatMode: 240
; IeeeMode: 1
; LDSByteSize: 0 bytes/workgroup (compile time only)
; SGPRBlocks: 0
; VGPRBlocks: 0
; NumSGPRsForWavesPerEU: 1
; NumVGPRsForWavesPerEU: 1
; NamedBarCnt: 0
; Occupancy: 16
; WaveLimiterHint : 0
; COMPUTE_PGM_RSRC2:SCRATCH_EN: 0
; COMPUTE_PGM_RSRC2:USER_SGPR: 2
; COMPUTE_PGM_RSRC2:TRAP_HANDLER: 0
; COMPUTE_PGM_RSRC2:TGID_X_EN: 1
; COMPUTE_PGM_RSRC2:TGID_Y_EN: 0
; COMPUTE_PGM_RSRC2:TGID_Z_EN: 0
; COMPUTE_PGM_RSRC2:TIDIG_COMP_CNT: 0
	.section	.text._ZN7rocprim17ROCPRIM_400000_NS6detail17trampoline_kernelINS0_13select_configILj256ELj13ELNS0_17block_load_methodE3ELS4_3ELS4_3ELNS0_20block_scan_algorithmE0ELj4294967295EEENS1_25partition_config_selectorILNS1_17partition_subalgoE4EjNS0_10empty_typeEbEEZZNS1_14partition_implILS8_4ELb0ES6_15HIP_vector_typeIjLj2EENS0_17counting_iteratorIjlEEPS9_SG_NS0_5tupleIJPjSI_NS0_16reverse_iteratorISI_EEEEENSH_IJSG_SG_SG_EEES9_SI_JZNS1_25segmented_radix_sort_implINS0_14default_configELb0EPKiPiPKlPlN2at6native12_GLOBAL__N_18offset_tEEE10hipError_tPvRmT1_PNSt15iterator_traitsIS12_E10value_typeET2_T3_PNS13_IS18_E10value_typeET4_jRbjT5_S1E_jjP12ihipStream_tbEUljE_ZNSN_ISO_Lb0ESQ_SR_ST_SU_SY_EESZ_S10_S11_S12_S16_S17_S18_S1B_S1C_jS1D_jS1E_S1E_jjS1G_bEUljE0_EEESZ_S10_S11_S18_S1C_S1E_T6_T7_T9_mT8_S1G_bDpT10_ENKUlT_T0_E_clISt17integral_constantIbLb0EES1U_EEDaS1P_S1Q_EUlS1P_E_NS1_11comp_targetILNS1_3genE2ELNS1_11target_archE906ELNS1_3gpuE6ELNS1_3repE0EEENS1_30default_config_static_selectorELNS0_4arch9wavefront6targetE0EEEvS12_,"axG",@progbits,_ZN7rocprim17ROCPRIM_400000_NS6detail17trampoline_kernelINS0_13select_configILj256ELj13ELNS0_17block_load_methodE3ELS4_3ELS4_3ELNS0_20block_scan_algorithmE0ELj4294967295EEENS1_25partition_config_selectorILNS1_17partition_subalgoE4EjNS0_10empty_typeEbEEZZNS1_14partition_implILS8_4ELb0ES6_15HIP_vector_typeIjLj2EENS0_17counting_iteratorIjlEEPS9_SG_NS0_5tupleIJPjSI_NS0_16reverse_iteratorISI_EEEEENSH_IJSG_SG_SG_EEES9_SI_JZNS1_25segmented_radix_sort_implINS0_14default_configELb0EPKiPiPKlPlN2at6native12_GLOBAL__N_18offset_tEEE10hipError_tPvRmT1_PNSt15iterator_traitsIS12_E10value_typeET2_T3_PNS13_IS18_E10value_typeET4_jRbjT5_S1E_jjP12ihipStream_tbEUljE_ZNSN_ISO_Lb0ESQ_SR_ST_SU_SY_EESZ_S10_S11_S12_S16_S17_S18_S1B_S1C_jS1D_jS1E_S1E_jjS1G_bEUljE0_EEESZ_S10_S11_S18_S1C_S1E_T6_T7_T9_mT8_S1G_bDpT10_ENKUlT_T0_E_clISt17integral_constantIbLb0EES1U_EEDaS1P_S1Q_EUlS1P_E_NS1_11comp_targetILNS1_3genE2ELNS1_11target_archE906ELNS1_3gpuE6ELNS1_3repE0EEENS1_30default_config_static_selectorELNS0_4arch9wavefront6targetE0EEEvS12_,comdat
	.globl	_ZN7rocprim17ROCPRIM_400000_NS6detail17trampoline_kernelINS0_13select_configILj256ELj13ELNS0_17block_load_methodE3ELS4_3ELS4_3ELNS0_20block_scan_algorithmE0ELj4294967295EEENS1_25partition_config_selectorILNS1_17partition_subalgoE4EjNS0_10empty_typeEbEEZZNS1_14partition_implILS8_4ELb0ES6_15HIP_vector_typeIjLj2EENS0_17counting_iteratorIjlEEPS9_SG_NS0_5tupleIJPjSI_NS0_16reverse_iteratorISI_EEEEENSH_IJSG_SG_SG_EEES9_SI_JZNS1_25segmented_radix_sort_implINS0_14default_configELb0EPKiPiPKlPlN2at6native12_GLOBAL__N_18offset_tEEE10hipError_tPvRmT1_PNSt15iterator_traitsIS12_E10value_typeET2_T3_PNS13_IS18_E10value_typeET4_jRbjT5_S1E_jjP12ihipStream_tbEUljE_ZNSN_ISO_Lb0ESQ_SR_ST_SU_SY_EESZ_S10_S11_S12_S16_S17_S18_S1B_S1C_jS1D_jS1E_S1E_jjS1G_bEUljE0_EEESZ_S10_S11_S18_S1C_S1E_T6_T7_T9_mT8_S1G_bDpT10_ENKUlT_T0_E_clISt17integral_constantIbLb0EES1U_EEDaS1P_S1Q_EUlS1P_E_NS1_11comp_targetILNS1_3genE2ELNS1_11target_archE906ELNS1_3gpuE6ELNS1_3repE0EEENS1_30default_config_static_selectorELNS0_4arch9wavefront6targetE0EEEvS12_ ; -- Begin function _ZN7rocprim17ROCPRIM_400000_NS6detail17trampoline_kernelINS0_13select_configILj256ELj13ELNS0_17block_load_methodE3ELS4_3ELS4_3ELNS0_20block_scan_algorithmE0ELj4294967295EEENS1_25partition_config_selectorILNS1_17partition_subalgoE4EjNS0_10empty_typeEbEEZZNS1_14partition_implILS8_4ELb0ES6_15HIP_vector_typeIjLj2EENS0_17counting_iteratorIjlEEPS9_SG_NS0_5tupleIJPjSI_NS0_16reverse_iteratorISI_EEEEENSH_IJSG_SG_SG_EEES9_SI_JZNS1_25segmented_radix_sort_implINS0_14default_configELb0EPKiPiPKlPlN2at6native12_GLOBAL__N_18offset_tEEE10hipError_tPvRmT1_PNSt15iterator_traitsIS12_E10value_typeET2_T3_PNS13_IS18_E10value_typeET4_jRbjT5_S1E_jjP12ihipStream_tbEUljE_ZNSN_ISO_Lb0ESQ_SR_ST_SU_SY_EESZ_S10_S11_S12_S16_S17_S18_S1B_S1C_jS1D_jS1E_S1E_jjS1G_bEUljE0_EEESZ_S10_S11_S18_S1C_S1E_T6_T7_T9_mT8_S1G_bDpT10_ENKUlT_T0_E_clISt17integral_constantIbLb0EES1U_EEDaS1P_S1Q_EUlS1P_E_NS1_11comp_targetILNS1_3genE2ELNS1_11target_archE906ELNS1_3gpuE6ELNS1_3repE0EEENS1_30default_config_static_selectorELNS0_4arch9wavefront6targetE0EEEvS12_
	.p2align	8
	.type	_ZN7rocprim17ROCPRIM_400000_NS6detail17trampoline_kernelINS0_13select_configILj256ELj13ELNS0_17block_load_methodE3ELS4_3ELS4_3ELNS0_20block_scan_algorithmE0ELj4294967295EEENS1_25partition_config_selectorILNS1_17partition_subalgoE4EjNS0_10empty_typeEbEEZZNS1_14partition_implILS8_4ELb0ES6_15HIP_vector_typeIjLj2EENS0_17counting_iteratorIjlEEPS9_SG_NS0_5tupleIJPjSI_NS0_16reverse_iteratorISI_EEEEENSH_IJSG_SG_SG_EEES9_SI_JZNS1_25segmented_radix_sort_implINS0_14default_configELb0EPKiPiPKlPlN2at6native12_GLOBAL__N_18offset_tEEE10hipError_tPvRmT1_PNSt15iterator_traitsIS12_E10value_typeET2_T3_PNS13_IS18_E10value_typeET4_jRbjT5_S1E_jjP12ihipStream_tbEUljE_ZNSN_ISO_Lb0ESQ_SR_ST_SU_SY_EESZ_S10_S11_S12_S16_S17_S18_S1B_S1C_jS1D_jS1E_S1E_jjS1G_bEUljE0_EEESZ_S10_S11_S18_S1C_S1E_T6_T7_T9_mT8_S1G_bDpT10_ENKUlT_T0_E_clISt17integral_constantIbLb0EES1U_EEDaS1P_S1Q_EUlS1P_E_NS1_11comp_targetILNS1_3genE2ELNS1_11target_archE906ELNS1_3gpuE6ELNS1_3repE0EEENS1_30default_config_static_selectorELNS0_4arch9wavefront6targetE0EEEvS12_,@function
_ZN7rocprim17ROCPRIM_400000_NS6detail17trampoline_kernelINS0_13select_configILj256ELj13ELNS0_17block_load_methodE3ELS4_3ELS4_3ELNS0_20block_scan_algorithmE0ELj4294967295EEENS1_25partition_config_selectorILNS1_17partition_subalgoE4EjNS0_10empty_typeEbEEZZNS1_14partition_implILS8_4ELb0ES6_15HIP_vector_typeIjLj2EENS0_17counting_iteratorIjlEEPS9_SG_NS0_5tupleIJPjSI_NS0_16reverse_iteratorISI_EEEEENSH_IJSG_SG_SG_EEES9_SI_JZNS1_25segmented_radix_sort_implINS0_14default_configELb0EPKiPiPKlPlN2at6native12_GLOBAL__N_18offset_tEEE10hipError_tPvRmT1_PNSt15iterator_traitsIS12_E10value_typeET2_T3_PNS13_IS18_E10value_typeET4_jRbjT5_S1E_jjP12ihipStream_tbEUljE_ZNSN_ISO_Lb0ESQ_SR_ST_SU_SY_EESZ_S10_S11_S12_S16_S17_S18_S1B_S1C_jS1D_jS1E_S1E_jjS1G_bEUljE0_EEESZ_S10_S11_S18_S1C_S1E_T6_T7_T9_mT8_S1G_bDpT10_ENKUlT_T0_E_clISt17integral_constantIbLb0EES1U_EEDaS1P_S1Q_EUlS1P_E_NS1_11comp_targetILNS1_3genE2ELNS1_11target_archE906ELNS1_3gpuE6ELNS1_3repE0EEENS1_30default_config_static_selectorELNS0_4arch9wavefront6targetE0EEEvS12_: ; @_ZN7rocprim17ROCPRIM_400000_NS6detail17trampoline_kernelINS0_13select_configILj256ELj13ELNS0_17block_load_methodE3ELS4_3ELS4_3ELNS0_20block_scan_algorithmE0ELj4294967295EEENS1_25partition_config_selectorILNS1_17partition_subalgoE4EjNS0_10empty_typeEbEEZZNS1_14partition_implILS8_4ELb0ES6_15HIP_vector_typeIjLj2EENS0_17counting_iteratorIjlEEPS9_SG_NS0_5tupleIJPjSI_NS0_16reverse_iteratorISI_EEEEENSH_IJSG_SG_SG_EEES9_SI_JZNS1_25segmented_radix_sort_implINS0_14default_configELb0EPKiPiPKlPlN2at6native12_GLOBAL__N_18offset_tEEE10hipError_tPvRmT1_PNSt15iterator_traitsIS12_E10value_typeET2_T3_PNS13_IS18_E10value_typeET4_jRbjT5_S1E_jjP12ihipStream_tbEUljE_ZNSN_ISO_Lb0ESQ_SR_ST_SU_SY_EESZ_S10_S11_S12_S16_S17_S18_S1B_S1C_jS1D_jS1E_S1E_jjS1G_bEUljE0_EEESZ_S10_S11_S18_S1C_S1E_T6_T7_T9_mT8_S1G_bDpT10_ENKUlT_T0_E_clISt17integral_constantIbLb0EES1U_EEDaS1P_S1Q_EUlS1P_E_NS1_11comp_targetILNS1_3genE2ELNS1_11target_archE906ELNS1_3gpuE6ELNS1_3repE0EEENS1_30default_config_static_selectorELNS0_4arch9wavefront6targetE0EEEvS12_
; %bb.0:
	.section	.rodata,"a",@progbits
	.p2align	6, 0x0
	.amdhsa_kernel _ZN7rocprim17ROCPRIM_400000_NS6detail17trampoline_kernelINS0_13select_configILj256ELj13ELNS0_17block_load_methodE3ELS4_3ELS4_3ELNS0_20block_scan_algorithmE0ELj4294967295EEENS1_25partition_config_selectorILNS1_17partition_subalgoE4EjNS0_10empty_typeEbEEZZNS1_14partition_implILS8_4ELb0ES6_15HIP_vector_typeIjLj2EENS0_17counting_iteratorIjlEEPS9_SG_NS0_5tupleIJPjSI_NS0_16reverse_iteratorISI_EEEEENSH_IJSG_SG_SG_EEES9_SI_JZNS1_25segmented_radix_sort_implINS0_14default_configELb0EPKiPiPKlPlN2at6native12_GLOBAL__N_18offset_tEEE10hipError_tPvRmT1_PNSt15iterator_traitsIS12_E10value_typeET2_T3_PNS13_IS18_E10value_typeET4_jRbjT5_S1E_jjP12ihipStream_tbEUljE_ZNSN_ISO_Lb0ESQ_SR_ST_SU_SY_EESZ_S10_S11_S12_S16_S17_S18_S1B_S1C_jS1D_jS1E_S1E_jjS1G_bEUljE0_EEESZ_S10_S11_S18_S1C_S1E_T6_T7_T9_mT8_S1G_bDpT10_ENKUlT_T0_E_clISt17integral_constantIbLb0EES1U_EEDaS1P_S1Q_EUlS1P_E_NS1_11comp_targetILNS1_3genE2ELNS1_11target_archE906ELNS1_3gpuE6ELNS1_3repE0EEENS1_30default_config_static_selectorELNS0_4arch9wavefront6targetE0EEEvS12_
		.amdhsa_group_segment_fixed_size 0
		.amdhsa_private_segment_fixed_size 0
		.amdhsa_kernarg_size 176
		.amdhsa_user_sgpr_count 2
		.amdhsa_user_sgpr_dispatch_ptr 0
		.amdhsa_user_sgpr_queue_ptr 0
		.amdhsa_user_sgpr_kernarg_segment_ptr 1
		.amdhsa_user_sgpr_dispatch_id 0
		.amdhsa_user_sgpr_kernarg_preload_length 0
		.amdhsa_user_sgpr_kernarg_preload_offset 0
		.amdhsa_user_sgpr_private_segment_size 0
		.amdhsa_wavefront_size32 1
		.amdhsa_uses_dynamic_stack 0
		.amdhsa_enable_private_segment 0
		.amdhsa_system_sgpr_workgroup_id_x 1
		.amdhsa_system_sgpr_workgroup_id_y 0
		.amdhsa_system_sgpr_workgroup_id_z 0
		.amdhsa_system_sgpr_workgroup_info 0
		.amdhsa_system_vgpr_workitem_id 0
		.amdhsa_next_free_vgpr 1
		.amdhsa_next_free_sgpr 1
		.amdhsa_named_barrier_count 0
		.amdhsa_reserve_vcc 0
		.amdhsa_float_round_mode_32 0
		.amdhsa_float_round_mode_16_64 0
		.amdhsa_float_denorm_mode_32 3
		.amdhsa_float_denorm_mode_16_64 3
		.amdhsa_fp16_overflow 0
		.amdhsa_memory_ordered 1
		.amdhsa_forward_progress 1
		.amdhsa_inst_pref_size 0
		.amdhsa_round_robin_scheduling 0
		.amdhsa_exception_fp_ieee_invalid_op 0
		.amdhsa_exception_fp_denorm_src 0
		.amdhsa_exception_fp_ieee_div_zero 0
		.amdhsa_exception_fp_ieee_overflow 0
		.amdhsa_exception_fp_ieee_underflow 0
		.amdhsa_exception_fp_ieee_inexact 0
		.amdhsa_exception_int_div_zero 0
	.end_amdhsa_kernel
	.section	.text._ZN7rocprim17ROCPRIM_400000_NS6detail17trampoline_kernelINS0_13select_configILj256ELj13ELNS0_17block_load_methodE3ELS4_3ELS4_3ELNS0_20block_scan_algorithmE0ELj4294967295EEENS1_25partition_config_selectorILNS1_17partition_subalgoE4EjNS0_10empty_typeEbEEZZNS1_14partition_implILS8_4ELb0ES6_15HIP_vector_typeIjLj2EENS0_17counting_iteratorIjlEEPS9_SG_NS0_5tupleIJPjSI_NS0_16reverse_iteratorISI_EEEEENSH_IJSG_SG_SG_EEES9_SI_JZNS1_25segmented_radix_sort_implINS0_14default_configELb0EPKiPiPKlPlN2at6native12_GLOBAL__N_18offset_tEEE10hipError_tPvRmT1_PNSt15iterator_traitsIS12_E10value_typeET2_T3_PNS13_IS18_E10value_typeET4_jRbjT5_S1E_jjP12ihipStream_tbEUljE_ZNSN_ISO_Lb0ESQ_SR_ST_SU_SY_EESZ_S10_S11_S12_S16_S17_S18_S1B_S1C_jS1D_jS1E_S1E_jjS1G_bEUljE0_EEESZ_S10_S11_S18_S1C_S1E_T6_T7_T9_mT8_S1G_bDpT10_ENKUlT_T0_E_clISt17integral_constantIbLb0EES1U_EEDaS1P_S1Q_EUlS1P_E_NS1_11comp_targetILNS1_3genE2ELNS1_11target_archE906ELNS1_3gpuE6ELNS1_3repE0EEENS1_30default_config_static_selectorELNS0_4arch9wavefront6targetE0EEEvS12_,"axG",@progbits,_ZN7rocprim17ROCPRIM_400000_NS6detail17trampoline_kernelINS0_13select_configILj256ELj13ELNS0_17block_load_methodE3ELS4_3ELS4_3ELNS0_20block_scan_algorithmE0ELj4294967295EEENS1_25partition_config_selectorILNS1_17partition_subalgoE4EjNS0_10empty_typeEbEEZZNS1_14partition_implILS8_4ELb0ES6_15HIP_vector_typeIjLj2EENS0_17counting_iteratorIjlEEPS9_SG_NS0_5tupleIJPjSI_NS0_16reverse_iteratorISI_EEEEENSH_IJSG_SG_SG_EEES9_SI_JZNS1_25segmented_radix_sort_implINS0_14default_configELb0EPKiPiPKlPlN2at6native12_GLOBAL__N_18offset_tEEE10hipError_tPvRmT1_PNSt15iterator_traitsIS12_E10value_typeET2_T3_PNS13_IS18_E10value_typeET4_jRbjT5_S1E_jjP12ihipStream_tbEUljE_ZNSN_ISO_Lb0ESQ_SR_ST_SU_SY_EESZ_S10_S11_S12_S16_S17_S18_S1B_S1C_jS1D_jS1E_S1E_jjS1G_bEUljE0_EEESZ_S10_S11_S18_S1C_S1E_T6_T7_T9_mT8_S1G_bDpT10_ENKUlT_T0_E_clISt17integral_constantIbLb0EES1U_EEDaS1P_S1Q_EUlS1P_E_NS1_11comp_targetILNS1_3genE2ELNS1_11target_archE906ELNS1_3gpuE6ELNS1_3repE0EEENS1_30default_config_static_selectorELNS0_4arch9wavefront6targetE0EEEvS12_,comdat
.Lfunc_end536:
	.size	_ZN7rocprim17ROCPRIM_400000_NS6detail17trampoline_kernelINS0_13select_configILj256ELj13ELNS0_17block_load_methodE3ELS4_3ELS4_3ELNS0_20block_scan_algorithmE0ELj4294967295EEENS1_25partition_config_selectorILNS1_17partition_subalgoE4EjNS0_10empty_typeEbEEZZNS1_14partition_implILS8_4ELb0ES6_15HIP_vector_typeIjLj2EENS0_17counting_iteratorIjlEEPS9_SG_NS0_5tupleIJPjSI_NS0_16reverse_iteratorISI_EEEEENSH_IJSG_SG_SG_EEES9_SI_JZNS1_25segmented_radix_sort_implINS0_14default_configELb0EPKiPiPKlPlN2at6native12_GLOBAL__N_18offset_tEEE10hipError_tPvRmT1_PNSt15iterator_traitsIS12_E10value_typeET2_T3_PNS13_IS18_E10value_typeET4_jRbjT5_S1E_jjP12ihipStream_tbEUljE_ZNSN_ISO_Lb0ESQ_SR_ST_SU_SY_EESZ_S10_S11_S12_S16_S17_S18_S1B_S1C_jS1D_jS1E_S1E_jjS1G_bEUljE0_EEESZ_S10_S11_S18_S1C_S1E_T6_T7_T9_mT8_S1G_bDpT10_ENKUlT_T0_E_clISt17integral_constantIbLb0EES1U_EEDaS1P_S1Q_EUlS1P_E_NS1_11comp_targetILNS1_3genE2ELNS1_11target_archE906ELNS1_3gpuE6ELNS1_3repE0EEENS1_30default_config_static_selectorELNS0_4arch9wavefront6targetE0EEEvS12_, .Lfunc_end536-_ZN7rocprim17ROCPRIM_400000_NS6detail17trampoline_kernelINS0_13select_configILj256ELj13ELNS0_17block_load_methodE3ELS4_3ELS4_3ELNS0_20block_scan_algorithmE0ELj4294967295EEENS1_25partition_config_selectorILNS1_17partition_subalgoE4EjNS0_10empty_typeEbEEZZNS1_14partition_implILS8_4ELb0ES6_15HIP_vector_typeIjLj2EENS0_17counting_iteratorIjlEEPS9_SG_NS0_5tupleIJPjSI_NS0_16reverse_iteratorISI_EEEEENSH_IJSG_SG_SG_EEES9_SI_JZNS1_25segmented_radix_sort_implINS0_14default_configELb0EPKiPiPKlPlN2at6native12_GLOBAL__N_18offset_tEEE10hipError_tPvRmT1_PNSt15iterator_traitsIS12_E10value_typeET2_T3_PNS13_IS18_E10value_typeET4_jRbjT5_S1E_jjP12ihipStream_tbEUljE_ZNSN_ISO_Lb0ESQ_SR_ST_SU_SY_EESZ_S10_S11_S12_S16_S17_S18_S1B_S1C_jS1D_jS1E_S1E_jjS1G_bEUljE0_EEESZ_S10_S11_S18_S1C_S1E_T6_T7_T9_mT8_S1G_bDpT10_ENKUlT_T0_E_clISt17integral_constantIbLb0EES1U_EEDaS1P_S1Q_EUlS1P_E_NS1_11comp_targetILNS1_3genE2ELNS1_11target_archE906ELNS1_3gpuE6ELNS1_3repE0EEENS1_30default_config_static_selectorELNS0_4arch9wavefront6targetE0EEEvS12_
                                        ; -- End function
	.set _ZN7rocprim17ROCPRIM_400000_NS6detail17trampoline_kernelINS0_13select_configILj256ELj13ELNS0_17block_load_methodE3ELS4_3ELS4_3ELNS0_20block_scan_algorithmE0ELj4294967295EEENS1_25partition_config_selectorILNS1_17partition_subalgoE4EjNS0_10empty_typeEbEEZZNS1_14partition_implILS8_4ELb0ES6_15HIP_vector_typeIjLj2EENS0_17counting_iteratorIjlEEPS9_SG_NS0_5tupleIJPjSI_NS0_16reverse_iteratorISI_EEEEENSH_IJSG_SG_SG_EEES9_SI_JZNS1_25segmented_radix_sort_implINS0_14default_configELb0EPKiPiPKlPlN2at6native12_GLOBAL__N_18offset_tEEE10hipError_tPvRmT1_PNSt15iterator_traitsIS12_E10value_typeET2_T3_PNS13_IS18_E10value_typeET4_jRbjT5_S1E_jjP12ihipStream_tbEUljE_ZNSN_ISO_Lb0ESQ_SR_ST_SU_SY_EESZ_S10_S11_S12_S16_S17_S18_S1B_S1C_jS1D_jS1E_S1E_jjS1G_bEUljE0_EEESZ_S10_S11_S18_S1C_S1E_T6_T7_T9_mT8_S1G_bDpT10_ENKUlT_T0_E_clISt17integral_constantIbLb0EES1U_EEDaS1P_S1Q_EUlS1P_E_NS1_11comp_targetILNS1_3genE2ELNS1_11target_archE906ELNS1_3gpuE6ELNS1_3repE0EEENS1_30default_config_static_selectorELNS0_4arch9wavefront6targetE0EEEvS12_.num_vgpr, 0
	.set _ZN7rocprim17ROCPRIM_400000_NS6detail17trampoline_kernelINS0_13select_configILj256ELj13ELNS0_17block_load_methodE3ELS4_3ELS4_3ELNS0_20block_scan_algorithmE0ELj4294967295EEENS1_25partition_config_selectorILNS1_17partition_subalgoE4EjNS0_10empty_typeEbEEZZNS1_14partition_implILS8_4ELb0ES6_15HIP_vector_typeIjLj2EENS0_17counting_iteratorIjlEEPS9_SG_NS0_5tupleIJPjSI_NS0_16reverse_iteratorISI_EEEEENSH_IJSG_SG_SG_EEES9_SI_JZNS1_25segmented_radix_sort_implINS0_14default_configELb0EPKiPiPKlPlN2at6native12_GLOBAL__N_18offset_tEEE10hipError_tPvRmT1_PNSt15iterator_traitsIS12_E10value_typeET2_T3_PNS13_IS18_E10value_typeET4_jRbjT5_S1E_jjP12ihipStream_tbEUljE_ZNSN_ISO_Lb0ESQ_SR_ST_SU_SY_EESZ_S10_S11_S12_S16_S17_S18_S1B_S1C_jS1D_jS1E_S1E_jjS1G_bEUljE0_EEESZ_S10_S11_S18_S1C_S1E_T6_T7_T9_mT8_S1G_bDpT10_ENKUlT_T0_E_clISt17integral_constantIbLb0EES1U_EEDaS1P_S1Q_EUlS1P_E_NS1_11comp_targetILNS1_3genE2ELNS1_11target_archE906ELNS1_3gpuE6ELNS1_3repE0EEENS1_30default_config_static_selectorELNS0_4arch9wavefront6targetE0EEEvS12_.num_agpr, 0
	.set _ZN7rocprim17ROCPRIM_400000_NS6detail17trampoline_kernelINS0_13select_configILj256ELj13ELNS0_17block_load_methodE3ELS4_3ELS4_3ELNS0_20block_scan_algorithmE0ELj4294967295EEENS1_25partition_config_selectorILNS1_17partition_subalgoE4EjNS0_10empty_typeEbEEZZNS1_14partition_implILS8_4ELb0ES6_15HIP_vector_typeIjLj2EENS0_17counting_iteratorIjlEEPS9_SG_NS0_5tupleIJPjSI_NS0_16reverse_iteratorISI_EEEEENSH_IJSG_SG_SG_EEES9_SI_JZNS1_25segmented_radix_sort_implINS0_14default_configELb0EPKiPiPKlPlN2at6native12_GLOBAL__N_18offset_tEEE10hipError_tPvRmT1_PNSt15iterator_traitsIS12_E10value_typeET2_T3_PNS13_IS18_E10value_typeET4_jRbjT5_S1E_jjP12ihipStream_tbEUljE_ZNSN_ISO_Lb0ESQ_SR_ST_SU_SY_EESZ_S10_S11_S12_S16_S17_S18_S1B_S1C_jS1D_jS1E_S1E_jjS1G_bEUljE0_EEESZ_S10_S11_S18_S1C_S1E_T6_T7_T9_mT8_S1G_bDpT10_ENKUlT_T0_E_clISt17integral_constantIbLb0EES1U_EEDaS1P_S1Q_EUlS1P_E_NS1_11comp_targetILNS1_3genE2ELNS1_11target_archE906ELNS1_3gpuE6ELNS1_3repE0EEENS1_30default_config_static_selectorELNS0_4arch9wavefront6targetE0EEEvS12_.numbered_sgpr, 0
	.set _ZN7rocprim17ROCPRIM_400000_NS6detail17trampoline_kernelINS0_13select_configILj256ELj13ELNS0_17block_load_methodE3ELS4_3ELS4_3ELNS0_20block_scan_algorithmE0ELj4294967295EEENS1_25partition_config_selectorILNS1_17partition_subalgoE4EjNS0_10empty_typeEbEEZZNS1_14partition_implILS8_4ELb0ES6_15HIP_vector_typeIjLj2EENS0_17counting_iteratorIjlEEPS9_SG_NS0_5tupleIJPjSI_NS0_16reverse_iteratorISI_EEEEENSH_IJSG_SG_SG_EEES9_SI_JZNS1_25segmented_radix_sort_implINS0_14default_configELb0EPKiPiPKlPlN2at6native12_GLOBAL__N_18offset_tEEE10hipError_tPvRmT1_PNSt15iterator_traitsIS12_E10value_typeET2_T3_PNS13_IS18_E10value_typeET4_jRbjT5_S1E_jjP12ihipStream_tbEUljE_ZNSN_ISO_Lb0ESQ_SR_ST_SU_SY_EESZ_S10_S11_S12_S16_S17_S18_S1B_S1C_jS1D_jS1E_S1E_jjS1G_bEUljE0_EEESZ_S10_S11_S18_S1C_S1E_T6_T7_T9_mT8_S1G_bDpT10_ENKUlT_T0_E_clISt17integral_constantIbLb0EES1U_EEDaS1P_S1Q_EUlS1P_E_NS1_11comp_targetILNS1_3genE2ELNS1_11target_archE906ELNS1_3gpuE6ELNS1_3repE0EEENS1_30default_config_static_selectorELNS0_4arch9wavefront6targetE0EEEvS12_.num_named_barrier, 0
	.set _ZN7rocprim17ROCPRIM_400000_NS6detail17trampoline_kernelINS0_13select_configILj256ELj13ELNS0_17block_load_methodE3ELS4_3ELS4_3ELNS0_20block_scan_algorithmE0ELj4294967295EEENS1_25partition_config_selectorILNS1_17partition_subalgoE4EjNS0_10empty_typeEbEEZZNS1_14partition_implILS8_4ELb0ES6_15HIP_vector_typeIjLj2EENS0_17counting_iteratorIjlEEPS9_SG_NS0_5tupleIJPjSI_NS0_16reverse_iteratorISI_EEEEENSH_IJSG_SG_SG_EEES9_SI_JZNS1_25segmented_radix_sort_implINS0_14default_configELb0EPKiPiPKlPlN2at6native12_GLOBAL__N_18offset_tEEE10hipError_tPvRmT1_PNSt15iterator_traitsIS12_E10value_typeET2_T3_PNS13_IS18_E10value_typeET4_jRbjT5_S1E_jjP12ihipStream_tbEUljE_ZNSN_ISO_Lb0ESQ_SR_ST_SU_SY_EESZ_S10_S11_S12_S16_S17_S18_S1B_S1C_jS1D_jS1E_S1E_jjS1G_bEUljE0_EEESZ_S10_S11_S18_S1C_S1E_T6_T7_T9_mT8_S1G_bDpT10_ENKUlT_T0_E_clISt17integral_constantIbLb0EES1U_EEDaS1P_S1Q_EUlS1P_E_NS1_11comp_targetILNS1_3genE2ELNS1_11target_archE906ELNS1_3gpuE6ELNS1_3repE0EEENS1_30default_config_static_selectorELNS0_4arch9wavefront6targetE0EEEvS12_.private_seg_size, 0
	.set _ZN7rocprim17ROCPRIM_400000_NS6detail17trampoline_kernelINS0_13select_configILj256ELj13ELNS0_17block_load_methodE3ELS4_3ELS4_3ELNS0_20block_scan_algorithmE0ELj4294967295EEENS1_25partition_config_selectorILNS1_17partition_subalgoE4EjNS0_10empty_typeEbEEZZNS1_14partition_implILS8_4ELb0ES6_15HIP_vector_typeIjLj2EENS0_17counting_iteratorIjlEEPS9_SG_NS0_5tupleIJPjSI_NS0_16reverse_iteratorISI_EEEEENSH_IJSG_SG_SG_EEES9_SI_JZNS1_25segmented_radix_sort_implINS0_14default_configELb0EPKiPiPKlPlN2at6native12_GLOBAL__N_18offset_tEEE10hipError_tPvRmT1_PNSt15iterator_traitsIS12_E10value_typeET2_T3_PNS13_IS18_E10value_typeET4_jRbjT5_S1E_jjP12ihipStream_tbEUljE_ZNSN_ISO_Lb0ESQ_SR_ST_SU_SY_EESZ_S10_S11_S12_S16_S17_S18_S1B_S1C_jS1D_jS1E_S1E_jjS1G_bEUljE0_EEESZ_S10_S11_S18_S1C_S1E_T6_T7_T9_mT8_S1G_bDpT10_ENKUlT_T0_E_clISt17integral_constantIbLb0EES1U_EEDaS1P_S1Q_EUlS1P_E_NS1_11comp_targetILNS1_3genE2ELNS1_11target_archE906ELNS1_3gpuE6ELNS1_3repE0EEENS1_30default_config_static_selectorELNS0_4arch9wavefront6targetE0EEEvS12_.uses_vcc, 0
	.set _ZN7rocprim17ROCPRIM_400000_NS6detail17trampoline_kernelINS0_13select_configILj256ELj13ELNS0_17block_load_methodE3ELS4_3ELS4_3ELNS0_20block_scan_algorithmE0ELj4294967295EEENS1_25partition_config_selectorILNS1_17partition_subalgoE4EjNS0_10empty_typeEbEEZZNS1_14partition_implILS8_4ELb0ES6_15HIP_vector_typeIjLj2EENS0_17counting_iteratorIjlEEPS9_SG_NS0_5tupleIJPjSI_NS0_16reverse_iteratorISI_EEEEENSH_IJSG_SG_SG_EEES9_SI_JZNS1_25segmented_radix_sort_implINS0_14default_configELb0EPKiPiPKlPlN2at6native12_GLOBAL__N_18offset_tEEE10hipError_tPvRmT1_PNSt15iterator_traitsIS12_E10value_typeET2_T3_PNS13_IS18_E10value_typeET4_jRbjT5_S1E_jjP12ihipStream_tbEUljE_ZNSN_ISO_Lb0ESQ_SR_ST_SU_SY_EESZ_S10_S11_S12_S16_S17_S18_S1B_S1C_jS1D_jS1E_S1E_jjS1G_bEUljE0_EEESZ_S10_S11_S18_S1C_S1E_T6_T7_T9_mT8_S1G_bDpT10_ENKUlT_T0_E_clISt17integral_constantIbLb0EES1U_EEDaS1P_S1Q_EUlS1P_E_NS1_11comp_targetILNS1_3genE2ELNS1_11target_archE906ELNS1_3gpuE6ELNS1_3repE0EEENS1_30default_config_static_selectorELNS0_4arch9wavefront6targetE0EEEvS12_.uses_flat_scratch, 0
	.set _ZN7rocprim17ROCPRIM_400000_NS6detail17trampoline_kernelINS0_13select_configILj256ELj13ELNS0_17block_load_methodE3ELS4_3ELS4_3ELNS0_20block_scan_algorithmE0ELj4294967295EEENS1_25partition_config_selectorILNS1_17partition_subalgoE4EjNS0_10empty_typeEbEEZZNS1_14partition_implILS8_4ELb0ES6_15HIP_vector_typeIjLj2EENS0_17counting_iteratorIjlEEPS9_SG_NS0_5tupleIJPjSI_NS0_16reverse_iteratorISI_EEEEENSH_IJSG_SG_SG_EEES9_SI_JZNS1_25segmented_radix_sort_implINS0_14default_configELb0EPKiPiPKlPlN2at6native12_GLOBAL__N_18offset_tEEE10hipError_tPvRmT1_PNSt15iterator_traitsIS12_E10value_typeET2_T3_PNS13_IS18_E10value_typeET4_jRbjT5_S1E_jjP12ihipStream_tbEUljE_ZNSN_ISO_Lb0ESQ_SR_ST_SU_SY_EESZ_S10_S11_S12_S16_S17_S18_S1B_S1C_jS1D_jS1E_S1E_jjS1G_bEUljE0_EEESZ_S10_S11_S18_S1C_S1E_T6_T7_T9_mT8_S1G_bDpT10_ENKUlT_T0_E_clISt17integral_constantIbLb0EES1U_EEDaS1P_S1Q_EUlS1P_E_NS1_11comp_targetILNS1_3genE2ELNS1_11target_archE906ELNS1_3gpuE6ELNS1_3repE0EEENS1_30default_config_static_selectorELNS0_4arch9wavefront6targetE0EEEvS12_.has_dyn_sized_stack, 0
	.set _ZN7rocprim17ROCPRIM_400000_NS6detail17trampoline_kernelINS0_13select_configILj256ELj13ELNS0_17block_load_methodE3ELS4_3ELS4_3ELNS0_20block_scan_algorithmE0ELj4294967295EEENS1_25partition_config_selectorILNS1_17partition_subalgoE4EjNS0_10empty_typeEbEEZZNS1_14partition_implILS8_4ELb0ES6_15HIP_vector_typeIjLj2EENS0_17counting_iteratorIjlEEPS9_SG_NS0_5tupleIJPjSI_NS0_16reverse_iteratorISI_EEEEENSH_IJSG_SG_SG_EEES9_SI_JZNS1_25segmented_radix_sort_implINS0_14default_configELb0EPKiPiPKlPlN2at6native12_GLOBAL__N_18offset_tEEE10hipError_tPvRmT1_PNSt15iterator_traitsIS12_E10value_typeET2_T3_PNS13_IS18_E10value_typeET4_jRbjT5_S1E_jjP12ihipStream_tbEUljE_ZNSN_ISO_Lb0ESQ_SR_ST_SU_SY_EESZ_S10_S11_S12_S16_S17_S18_S1B_S1C_jS1D_jS1E_S1E_jjS1G_bEUljE0_EEESZ_S10_S11_S18_S1C_S1E_T6_T7_T9_mT8_S1G_bDpT10_ENKUlT_T0_E_clISt17integral_constantIbLb0EES1U_EEDaS1P_S1Q_EUlS1P_E_NS1_11comp_targetILNS1_3genE2ELNS1_11target_archE906ELNS1_3gpuE6ELNS1_3repE0EEENS1_30default_config_static_selectorELNS0_4arch9wavefront6targetE0EEEvS12_.has_recursion, 0
	.set _ZN7rocprim17ROCPRIM_400000_NS6detail17trampoline_kernelINS0_13select_configILj256ELj13ELNS0_17block_load_methodE3ELS4_3ELS4_3ELNS0_20block_scan_algorithmE0ELj4294967295EEENS1_25partition_config_selectorILNS1_17partition_subalgoE4EjNS0_10empty_typeEbEEZZNS1_14partition_implILS8_4ELb0ES6_15HIP_vector_typeIjLj2EENS0_17counting_iteratorIjlEEPS9_SG_NS0_5tupleIJPjSI_NS0_16reverse_iteratorISI_EEEEENSH_IJSG_SG_SG_EEES9_SI_JZNS1_25segmented_radix_sort_implINS0_14default_configELb0EPKiPiPKlPlN2at6native12_GLOBAL__N_18offset_tEEE10hipError_tPvRmT1_PNSt15iterator_traitsIS12_E10value_typeET2_T3_PNS13_IS18_E10value_typeET4_jRbjT5_S1E_jjP12ihipStream_tbEUljE_ZNSN_ISO_Lb0ESQ_SR_ST_SU_SY_EESZ_S10_S11_S12_S16_S17_S18_S1B_S1C_jS1D_jS1E_S1E_jjS1G_bEUljE0_EEESZ_S10_S11_S18_S1C_S1E_T6_T7_T9_mT8_S1G_bDpT10_ENKUlT_T0_E_clISt17integral_constantIbLb0EES1U_EEDaS1P_S1Q_EUlS1P_E_NS1_11comp_targetILNS1_3genE2ELNS1_11target_archE906ELNS1_3gpuE6ELNS1_3repE0EEENS1_30default_config_static_selectorELNS0_4arch9wavefront6targetE0EEEvS12_.has_indirect_call, 0
	.section	.AMDGPU.csdata,"",@progbits
; Kernel info:
; codeLenInByte = 0
; TotalNumSgprs: 0
; NumVgprs: 0
; ScratchSize: 0
; MemoryBound: 0
; FloatMode: 240
; IeeeMode: 1
; LDSByteSize: 0 bytes/workgroup (compile time only)
; SGPRBlocks: 0
; VGPRBlocks: 0
; NumSGPRsForWavesPerEU: 1
; NumVGPRsForWavesPerEU: 1
; NamedBarCnt: 0
; Occupancy: 16
; WaveLimiterHint : 0
; COMPUTE_PGM_RSRC2:SCRATCH_EN: 0
; COMPUTE_PGM_RSRC2:USER_SGPR: 2
; COMPUTE_PGM_RSRC2:TRAP_HANDLER: 0
; COMPUTE_PGM_RSRC2:TGID_X_EN: 1
; COMPUTE_PGM_RSRC2:TGID_Y_EN: 0
; COMPUTE_PGM_RSRC2:TGID_Z_EN: 0
; COMPUTE_PGM_RSRC2:TIDIG_COMP_CNT: 0
	.section	.text._ZN7rocprim17ROCPRIM_400000_NS6detail17trampoline_kernelINS0_13select_configILj256ELj13ELNS0_17block_load_methodE3ELS4_3ELS4_3ELNS0_20block_scan_algorithmE0ELj4294967295EEENS1_25partition_config_selectorILNS1_17partition_subalgoE4EjNS0_10empty_typeEbEEZZNS1_14partition_implILS8_4ELb0ES6_15HIP_vector_typeIjLj2EENS0_17counting_iteratorIjlEEPS9_SG_NS0_5tupleIJPjSI_NS0_16reverse_iteratorISI_EEEEENSH_IJSG_SG_SG_EEES9_SI_JZNS1_25segmented_radix_sort_implINS0_14default_configELb0EPKiPiPKlPlN2at6native12_GLOBAL__N_18offset_tEEE10hipError_tPvRmT1_PNSt15iterator_traitsIS12_E10value_typeET2_T3_PNS13_IS18_E10value_typeET4_jRbjT5_S1E_jjP12ihipStream_tbEUljE_ZNSN_ISO_Lb0ESQ_SR_ST_SU_SY_EESZ_S10_S11_S12_S16_S17_S18_S1B_S1C_jS1D_jS1E_S1E_jjS1G_bEUljE0_EEESZ_S10_S11_S18_S1C_S1E_T6_T7_T9_mT8_S1G_bDpT10_ENKUlT_T0_E_clISt17integral_constantIbLb0EES1U_EEDaS1P_S1Q_EUlS1P_E_NS1_11comp_targetILNS1_3genE10ELNS1_11target_archE1200ELNS1_3gpuE4ELNS1_3repE0EEENS1_30default_config_static_selectorELNS0_4arch9wavefront6targetE0EEEvS12_,"axG",@progbits,_ZN7rocprim17ROCPRIM_400000_NS6detail17trampoline_kernelINS0_13select_configILj256ELj13ELNS0_17block_load_methodE3ELS4_3ELS4_3ELNS0_20block_scan_algorithmE0ELj4294967295EEENS1_25partition_config_selectorILNS1_17partition_subalgoE4EjNS0_10empty_typeEbEEZZNS1_14partition_implILS8_4ELb0ES6_15HIP_vector_typeIjLj2EENS0_17counting_iteratorIjlEEPS9_SG_NS0_5tupleIJPjSI_NS0_16reverse_iteratorISI_EEEEENSH_IJSG_SG_SG_EEES9_SI_JZNS1_25segmented_radix_sort_implINS0_14default_configELb0EPKiPiPKlPlN2at6native12_GLOBAL__N_18offset_tEEE10hipError_tPvRmT1_PNSt15iterator_traitsIS12_E10value_typeET2_T3_PNS13_IS18_E10value_typeET4_jRbjT5_S1E_jjP12ihipStream_tbEUljE_ZNSN_ISO_Lb0ESQ_SR_ST_SU_SY_EESZ_S10_S11_S12_S16_S17_S18_S1B_S1C_jS1D_jS1E_S1E_jjS1G_bEUljE0_EEESZ_S10_S11_S18_S1C_S1E_T6_T7_T9_mT8_S1G_bDpT10_ENKUlT_T0_E_clISt17integral_constantIbLb0EES1U_EEDaS1P_S1Q_EUlS1P_E_NS1_11comp_targetILNS1_3genE10ELNS1_11target_archE1200ELNS1_3gpuE4ELNS1_3repE0EEENS1_30default_config_static_selectorELNS0_4arch9wavefront6targetE0EEEvS12_,comdat
	.globl	_ZN7rocprim17ROCPRIM_400000_NS6detail17trampoline_kernelINS0_13select_configILj256ELj13ELNS0_17block_load_methodE3ELS4_3ELS4_3ELNS0_20block_scan_algorithmE0ELj4294967295EEENS1_25partition_config_selectorILNS1_17partition_subalgoE4EjNS0_10empty_typeEbEEZZNS1_14partition_implILS8_4ELb0ES6_15HIP_vector_typeIjLj2EENS0_17counting_iteratorIjlEEPS9_SG_NS0_5tupleIJPjSI_NS0_16reverse_iteratorISI_EEEEENSH_IJSG_SG_SG_EEES9_SI_JZNS1_25segmented_radix_sort_implINS0_14default_configELb0EPKiPiPKlPlN2at6native12_GLOBAL__N_18offset_tEEE10hipError_tPvRmT1_PNSt15iterator_traitsIS12_E10value_typeET2_T3_PNS13_IS18_E10value_typeET4_jRbjT5_S1E_jjP12ihipStream_tbEUljE_ZNSN_ISO_Lb0ESQ_SR_ST_SU_SY_EESZ_S10_S11_S12_S16_S17_S18_S1B_S1C_jS1D_jS1E_S1E_jjS1G_bEUljE0_EEESZ_S10_S11_S18_S1C_S1E_T6_T7_T9_mT8_S1G_bDpT10_ENKUlT_T0_E_clISt17integral_constantIbLb0EES1U_EEDaS1P_S1Q_EUlS1P_E_NS1_11comp_targetILNS1_3genE10ELNS1_11target_archE1200ELNS1_3gpuE4ELNS1_3repE0EEENS1_30default_config_static_selectorELNS0_4arch9wavefront6targetE0EEEvS12_ ; -- Begin function _ZN7rocprim17ROCPRIM_400000_NS6detail17trampoline_kernelINS0_13select_configILj256ELj13ELNS0_17block_load_methodE3ELS4_3ELS4_3ELNS0_20block_scan_algorithmE0ELj4294967295EEENS1_25partition_config_selectorILNS1_17partition_subalgoE4EjNS0_10empty_typeEbEEZZNS1_14partition_implILS8_4ELb0ES6_15HIP_vector_typeIjLj2EENS0_17counting_iteratorIjlEEPS9_SG_NS0_5tupleIJPjSI_NS0_16reverse_iteratorISI_EEEEENSH_IJSG_SG_SG_EEES9_SI_JZNS1_25segmented_radix_sort_implINS0_14default_configELb0EPKiPiPKlPlN2at6native12_GLOBAL__N_18offset_tEEE10hipError_tPvRmT1_PNSt15iterator_traitsIS12_E10value_typeET2_T3_PNS13_IS18_E10value_typeET4_jRbjT5_S1E_jjP12ihipStream_tbEUljE_ZNSN_ISO_Lb0ESQ_SR_ST_SU_SY_EESZ_S10_S11_S12_S16_S17_S18_S1B_S1C_jS1D_jS1E_S1E_jjS1G_bEUljE0_EEESZ_S10_S11_S18_S1C_S1E_T6_T7_T9_mT8_S1G_bDpT10_ENKUlT_T0_E_clISt17integral_constantIbLb0EES1U_EEDaS1P_S1Q_EUlS1P_E_NS1_11comp_targetILNS1_3genE10ELNS1_11target_archE1200ELNS1_3gpuE4ELNS1_3repE0EEENS1_30default_config_static_selectorELNS0_4arch9wavefront6targetE0EEEvS12_
	.p2align	8
	.type	_ZN7rocprim17ROCPRIM_400000_NS6detail17trampoline_kernelINS0_13select_configILj256ELj13ELNS0_17block_load_methodE3ELS4_3ELS4_3ELNS0_20block_scan_algorithmE0ELj4294967295EEENS1_25partition_config_selectorILNS1_17partition_subalgoE4EjNS0_10empty_typeEbEEZZNS1_14partition_implILS8_4ELb0ES6_15HIP_vector_typeIjLj2EENS0_17counting_iteratorIjlEEPS9_SG_NS0_5tupleIJPjSI_NS0_16reverse_iteratorISI_EEEEENSH_IJSG_SG_SG_EEES9_SI_JZNS1_25segmented_radix_sort_implINS0_14default_configELb0EPKiPiPKlPlN2at6native12_GLOBAL__N_18offset_tEEE10hipError_tPvRmT1_PNSt15iterator_traitsIS12_E10value_typeET2_T3_PNS13_IS18_E10value_typeET4_jRbjT5_S1E_jjP12ihipStream_tbEUljE_ZNSN_ISO_Lb0ESQ_SR_ST_SU_SY_EESZ_S10_S11_S12_S16_S17_S18_S1B_S1C_jS1D_jS1E_S1E_jjS1G_bEUljE0_EEESZ_S10_S11_S18_S1C_S1E_T6_T7_T9_mT8_S1G_bDpT10_ENKUlT_T0_E_clISt17integral_constantIbLb0EES1U_EEDaS1P_S1Q_EUlS1P_E_NS1_11comp_targetILNS1_3genE10ELNS1_11target_archE1200ELNS1_3gpuE4ELNS1_3repE0EEENS1_30default_config_static_selectorELNS0_4arch9wavefront6targetE0EEEvS12_,@function
_ZN7rocprim17ROCPRIM_400000_NS6detail17trampoline_kernelINS0_13select_configILj256ELj13ELNS0_17block_load_methodE3ELS4_3ELS4_3ELNS0_20block_scan_algorithmE0ELj4294967295EEENS1_25partition_config_selectorILNS1_17partition_subalgoE4EjNS0_10empty_typeEbEEZZNS1_14partition_implILS8_4ELb0ES6_15HIP_vector_typeIjLj2EENS0_17counting_iteratorIjlEEPS9_SG_NS0_5tupleIJPjSI_NS0_16reverse_iteratorISI_EEEEENSH_IJSG_SG_SG_EEES9_SI_JZNS1_25segmented_radix_sort_implINS0_14default_configELb0EPKiPiPKlPlN2at6native12_GLOBAL__N_18offset_tEEE10hipError_tPvRmT1_PNSt15iterator_traitsIS12_E10value_typeET2_T3_PNS13_IS18_E10value_typeET4_jRbjT5_S1E_jjP12ihipStream_tbEUljE_ZNSN_ISO_Lb0ESQ_SR_ST_SU_SY_EESZ_S10_S11_S12_S16_S17_S18_S1B_S1C_jS1D_jS1E_S1E_jjS1G_bEUljE0_EEESZ_S10_S11_S18_S1C_S1E_T6_T7_T9_mT8_S1G_bDpT10_ENKUlT_T0_E_clISt17integral_constantIbLb0EES1U_EEDaS1P_S1Q_EUlS1P_E_NS1_11comp_targetILNS1_3genE10ELNS1_11target_archE1200ELNS1_3gpuE4ELNS1_3repE0EEENS1_30default_config_static_selectorELNS0_4arch9wavefront6targetE0EEEvS12_: ; @_ZN7rocprim17ROCPRIM_400000_NS6detail17trampoline_kernelINS0_13select_configILj256ELj13ELNS0_17block_load_methodE3ELS4_3ELS4_3ELNS0_20block_scan_algorithmE0ELj4294967295EEENS1_25partition_config_selectorILNS1_17partition_subalgoE4EjNS0_10empty_typeEbEEZZNS1_14partition_implILS8_4ELb0ES6_15HIP_vector_typeIjLj2EENS0_17counting_iteratorIjlEEPS9_SG_NS0_5tupleIJPjSI_NS0_16reverse_iteratorISI_EEEEENSH_IJSG_SG_SG_EEES9_SI_JZNS1_25segmented_radix_sort_implINS0_14default_configELb0EPKiPiPKlPlN2at6native12_GLOBAL__N_18offset_tEEE10hipError_tPvRmT1_PNSt15iterator_traitsIS12_E10value_typeET2_T3_PNS13_IS18_E10value_typeET4_jRbjT5_S1E_jjP12ihipStream_tbEUljE_ZNSN_ISO_Lb0ESQ_SR_ST_SU_SY_EESZ_S10_S11_S12_S16_S17_S18_S1B_S1C_jS1D_jS1E_S1E_jjS1G_bEUljE0_EEESZ_S10_S11_S18_S1C_S1E_T6_T7_T9_mT8_S1G_bDpT10_ENKUlT_T0_E_clISt17integral_constantIbLb0EES1U_EEDaS1P_S1Q_EUlS1P_E_NS1_11comp_targetILNS1_3genE10ELNS1_11target_archE1200ELNS1_3gpuE4ELNS1_3repE0EEENS1_30default_config_static_selectorELNS0_4arch9wavefront6targetE0EEEvS12_
; %bb.0:
	.section	.rodata,"a",@progbits
	.p2align	6, 0x0
	.amdhsa_kernel _ZN7rocprim17ROCPRIM_400000_NS6detail17trampoline_kernelINS0_13select_configILj256ELj13ELNS0_17block_load_methodE3ELS4_3ELS4_3ELNS0_20block_scan_algorithmE0ELj4294967295EEENS1_25partition_config_selectorILNS1_17partition_subalgoE4EjNS0_10empty_typeEbEEZZNS1_14partition_implILS8_4ELb0ES6_15HIP_vector_typeIjLj2EENS0_17counting_iteratorIjlEEPS9_SG_NS0_5tupleIJPjSI_NS0_16reverse_iteratorISI_EEEEENSH_IJSG_SG_SG_EEES9_SI_JZNS1_25segmented_radix_sort_implINS0_14default_configELb0EPKiPiPKlPlN2at6native12_GLOBAL__N_18offset_tEEE10hipError_tPvRmT1_PNSt15iterator_traitsIS12_E10value_typeET2_T3_PNS13_IS18_E10value_typeET4_jRbjT5_S1E_jjP12ihipStream_tbEUljE_ZNSN_ISO_Lb0ESQ_SR_ST_SU_SY_EESZ_S10_S11_S12_S16_S17_S18_S1B_S1C_jS1D_jS1E_S1E_jjS1G_bEUljE0_EEESZ_S10_S11_S18_S1C_S1E_T6_T7_T9_mT8_S1G_bDpT10_ENKUlT_T0_E_clISt17integral_constantIbLb0EES1U_EEDaS1P_S1Q_EUlS1P_E_NS1_11comp_targetILNS1_3genE10ELNS1_11target_archE1200ELNS1_3gpuE4ELNS1_3repE0EEENS1_30default_config_static_selectorELNS0_4arch9wavefront6targetE0EEEvS12_
		.amdhsa_group_segment_fixed_size 0
		.amdhsa_private_segment_fixed_size 0
		.amdhsa_kernarg_size 176
		.amdhsa_user_sgpr_count 2
		.amdhsa_user_sgpr_dispatch_ptr 0
		.amdhsa_user_sgpr_queue_ptr 0
		.amdhsa_user_sgpr_kernarg_segment_ptr 1
		.amdhsa_user_sgpr_dispatch_id 0
		.amdhsa_user_sgpr_kernarg_preload_length 0
		.amdhsa_user_sgpr_kernarg_preload_offset 0
		.amdhsa_user_sgpr_private_segment_size 0
		.amdhsa_wavefront_size32 1
		.amdhsa_uses_dynamic_stack 0
		.amdhsa_enable_private_segment 0
		.amdhsa_system_sgpr_workgroup_id_x 1
		.amdhsa_system_sgpr_workgroup_id_y 0
		.amdhsa_system_sgpr_workgroup_id_z 0
		.amdhsa_system_sgpr_workgroup_info 0
		.amdhsa_system_vgpr_workitem_id 0
		.amdhsa_next_free_vgpr 1
		.amdhsa_next_free_sgpr 1
		.amdhsa_named_barrier_count 0
		.amdhsa_reserve_vcc 0
		.amdhsa_float_round_mode_32 0
		.amdhsa_float_round_mode_16_64 0
		.amdhsa_float_denorm_mode_32 3
		.amdhsa_float_denorm_mode_16_64 3
		.amdhsa_fp16_overflow 0
		.amdhsa_memory_ordered 1
		.amdhsa_forward_progress 1
		.amdhsa_inst_pref_size 0
		.amdhsa_round_robin_scheduling 0
		.amdhsa_exception_fp_ieee_invalid_op 0
		.amdhsa_exception_fp_denorm_src 0
		.amdhsa_exception_fp_ieee_div_zero 0
		.amdhsa_exception_fp_ieee_overflow 0
		.amdhsa_exception_fp_ieee_underflow 0
		.amdhsa_exception_fp_ieee_inexact 0
		.amdhsa_exception_int_div_zero 0
	.end_amdhsa_kernel
	.section	.text._ZN7rocprim17ROCPRIM_400000_NS6detail17trampoline_kernelINS0_13select_configILj256ELj13ELNS0_17block_load_methodE3ELS4_3ELS4_3ELNS0_20block_scan_algorithmE0ELj4294967295EEENS1_25partition_config_selectorILNS1_17partition_subalgoE4EjNS0_10empty_typeEbEEZZNS1_14partition_implILS8_4ELb0ES6_15HIP_vector_typeIjLj2EENS0_17counting_iteratorIjlEEPS9_SG_NS0_5tupleIJPjSI_NS0_16reverse_iteratorISI_EEEEENSH_IJSG_SG_SG_EEES9_SI_JZNS1_25segmented_radix_sort_implINS0_14default_configELb0EPKiPiPKlPlN2at6native12_GLOBAL__N_18offset_tEEE10hipError_tPvRmT1_PNSt15iterator_traitsIS12_E10value_typeET2_T3_PNS13_IS18_E10value_typeET4_jRbjT5_S1E_jjP12ihipStream_tbEUljE_ZNSN_ISO_Lb0ESQ_SR_ST_SU_SY_EESZ_S10_S11_S12_S16_S17_S18_S1B_S1C_jS1D_jS1E_S1E_jjS1G_bEUljE0_EEESZ_S10_S11_S18_S1C_S1E_T6_T7_T9_mT8_S1G_bDpT10_ENKUlT_T0_E_clISt17integral_constantIbLb0EES1U_EEDaS1P_S1Q_EUlS1P_E_NS1_11comp_targetILNS1_3genE10ELNS1_11target_archE1200ELNS1_3gpuE4ELNS1_3repE0EEENS1_30default_config_static_selectorELNS0_4arch9wavefront6targetE0EEEvS12_,"axG",@progbits,_ZN7rocprim17ROCPRIM_400000_NS6detail17trampoline_kernelINS0_13select_configILj256ELj13ELNS0_17block_load_methodE3ELS4_3ELS4_3ELNS0_20block_scan_algorithmE0ELj4294967295EEENS1_25partition_config_selectorILNS1_17partition_subalgoE4EjNS0_10empty_typeEbEEZZNS1_14partition_implILS8_4ELb0ES6_15HIP_vector_typeIjLj2EENS0_17counting_iteratorIjlEEPS9_SG_NS0_5tupleIJPjSI_NS0_16reverse_iteratorISI_EEEEENSH_IJSG_SG_SG_EEES9_SI_JZNS1_25segmented_radix_sort_implINS0_14default_configELb0EPKiPiPKlPlN2at6native12_GLOBAL__N_18offset_tEEE10hipError_tPvRmT1_PNSt15iterator_traitsIS12_E10value_typeET2_T3_PNS13_IS18_E10value_typeET4_jRbjT5_S1E_jjP12ihipStream_tbEUljE_ZNSN_ISO_Lb0ESQ_SR_ST_SU_SY_EESZ_S10_S11_S12_S16_S17_S18_S1B_S1C_jS1D_jS1E_S1E_jjS1G_bEUljE0_EEESZ_S10_S11_S18_S1C_S1E_T6_T7_T9_mT8_S1G_bDpT10_ENKUlT_T0_E_clISt17integral_constantIbLb0EES1U_EEDaS1P_S1Q_EUlS1P_E_NS1_11comp_targetILNS1_3genE10ELNS1_11target_archE1200ELNS1_3gpuE4ELNS1_3repE0EEENS1_30default_config_static_selectorELNS0_4arch9wavefront6targetE0EEEvS12_,comdat
.Lfunc_end537:
	.size	_ZN7rocprim17ROCPRIM_400000_NS6detail17trampoline_kernelINS0_13select_configILj256ELj13ELNS0_17block_load_methodE3ELS4_3ELS4_3ELNS0_20block_scan_algorithmE0ELj4294967295EEENS1_25partition_config_selectorILNS1_17partition_subalgoE4EjNS0_10empty_typeEbEEZZNS1_14partition_implILS8_4ELb0ES6_15HIP_vector_typeIjLj2EENS0_17counting_iteratorIjlEEPS9_SG_NS0_5tupleIJPjSI_NS0_16reverse_iteratorISI_EEEEENSH_IJSG_SG_SG_EEES9_SI_JZNS1_25segmented_radix_sort_implINS0_14default_configELb0EPKiPiPKlPlN2at6native12_GLOBAL__N_18offset_tEEE10hipError_tPvRmT1_PNSt15iterator_traitsIS12_E10value_typeET2_T3_PNS13_IS18_E10value_typeET4_jRbjT5_S1E_jjP12ihipStream_tbEUljE_ZNSN_ISO_Lb0ESQ_SR_ST_SU_SY_EESZ_S10_S11_S12_S16_S17_S18_S1B_S1C_jS1D_jS1E_S1E_jjS1G_bEUljE0_EEESZ_S10_S11_S18_S1C_S1E_T6_T7_T9_mT8_S1G_bDpT10_ENKUlT_T0_E_clISt17integral_constantIbLb0EES1U_EEDaS1P_S1Q_EUlS1P_E_NS1_11comp_targetILNS1_3genE10ELNS1_11target_archE1200ELNS1_3gpuE4ELNS1_3repE0EEENS1_30default_config_static_selectorELNS0_4arch9wavefront6targetE0EEEvS12_, .Lfunc_end537-_ZN7rocprim17ROCPRIM_400000_NS6detail17trampoline_kernelINS0_13select_configILj256ELj13ELNS0_17block_load_methodE3ELS4_3ELS4_3ELNS0_20block_scan_algorithmE0ELj4294967295EEENS1_25partition_config_selectorILNS1_17partition_subalgoE4EjNS0_10empty_typeEbEEZZNS1_14partition_implILS8_4ELb0ES6_15HIP_vector_typeIjLj2EENS0_17counting_iteratorIjlEEPS9_SG_NS0_5tupleIJPjSI_NS0_16reverse_iteratorISI_EEEEENSH_IJSG_SG_SG_EEES9_SI_JZNS1_25segmented_radix_sort_implINS0_14default_configELb0EPKiPiPKlPlN2at6native12_GLOBAL__N_18offset_tEEE10hipError_tPvRmT1_PNSt15iterator_traitsIS12_E10value_typeET2_T3_PNS13_IS18_E10value_typeET4_jRbjT5_S1E_jjP12ihipStream_tbEUljE_ZNSN_ISO_Lb0ESQ_SR_ST_SU_SY_EESZ_S10_S11_S12_S16_S17_S18_S1B_S1C_jS1D_jS1E_S1E_jjS1G_bEUljE0_EEESZ_S10_S11_S18_S1C_S1E_T6_T7_T9_mT8_S1G_bDpT10_ENKUlT_T0_E_clISt17integral_constantIbLb0EES1U_EEDaS1P_S1Q_EUlS1P_E_NS1_11comp_targetILNS1_3genE10ELNS1_11target_archE1200ELNS1_3gpuE4ELNS1_3repE0EEENS1_30default_config_static_selectorELNS0_4arch9wavefront6targetE0EEEvS12_
                                        ; -- End function
	.set _ZN7rocprim17ROCPRIM_400000_NS6detail17trampoline_kernelINS0_13select_configILj256ELj13ELNS0_17block_load_methodE3ELS4_3ELS4_3ELNS0_20block_scan_algorithmE0ELj4294967295EEENS1_25partition_config_selectorILNS1_17partition_subalgoE4EjNS0_10empty_typeEbEEZZNS1_14partition_implILS8_4ELb0ES6_15HIP_vector_typeIjLj2EENS0_17counting_iteratorIjlEEPS9_SG_NS0_5tupleIJPjSI_NS0_16reverse_iteratorISI_EEEEENSH_IJSG_SG_SG_EEES9_SI_JZNS1_25segmented_radix_sort_implINS0_14default_configELb0EPKiPiPKlPlN2at6native12_GLOBAL__N_18offset_tEEE10hipError_tPvRmT1_PNSt15iterator_traitsIS12_E10value_typeET2_T3_PNS13_IS18_E10value_typeET4_jRbjT5_S1E_jjP12ihipStream_tbEUljE_ZNSN_ISO_Lb0ESQ_SR_ST_SU_SY_EESZ_S10_S11_S12_S16_S17_S18_S1B_S1C_jS1D_jS1E_S1E_jjS1G_bEUljE0_EEESZ_S10_S11_S18_S1C_S1E_T6_T7_T9_mT8_S1G_bDpT10_ENKUlT_T0_E_clISt17integral_constantIbLb0EES1U_EEDaS1P_S1Q_EUlS1P_E_NS1_11comp_targetILNS1_3genE10ELNS1_11target_archE1200ELNS1_3gpuE4ELNS1_3repE0EEENS1_30default_config_static_selectorELNS0_4arch9wavefront6targetE0EEEvS12_.num_vgpr, 0
	.set _ZN7rocprim17ROCPRIM_400000_NS6detail17trampoline_kernelINS0_13select_configILj256ELj13ELNS0_17block_load_methodE3ELS4_3ELS4_3ELNS0_20block_scan_algorithmE0ELj4294967295EEENS1_25partition_config_selectorILNS1_17partition_subalgoE4EjNS0_10empty_typeEbEEZZNS1_14partition_implILS8_4ELb0ES6_15HIP_vector_typeIjLj2EENS0_17counting_iteratorIjlEEPS9_SG_NS0_5tupleIJPjSI_NS0_16reverse_iteratorISI_EEEEENSH_IJSG_SG_SG_EEES9_SI_JZNS1_25segmented_radix_sort_implINS0_14default_configELb0EPKiPiPKlPlN2at6native12_GLOBAL__N_18offset_tEEE10hipError_tPvRmT1_PNSt15iterator_traitsIS12_E10value_typeET2_T3_PNS13_IS18_E10value_typeET4_jRbjT5_S1E_jjP12ihipStream_tbEUljE_ZNSN_ISO_Lb0ESQ_SR_ST_SU_SY_EESZ_S10_S11_S12_S16_S17_S18_S1B_S1C_jS1D_jS1E_S1E_jjS1G_bEUljE0_EEESZ_S10_S11_S18_S1C_S1E_T6_T7_T9_mT8_S1G_bDpT10_ENKUlT_T0_E_clISt17integral_constantIbLb0EES1U_EEDaS1P_S1Q_EUlS1P_E_NS1_11comp_targetILNS1_3genE10ELNS1_11target_archE1200ELNS1_3gpuE4ELNS1_3repE0EEENS1_30default_config_static_selectorELNS0_4arch9wavefront6targetE0EEEvS12_.num_agpr, 0
	.set _ZN7rocprim17ROCPRIM_400000_NS6detail17trampoline_kernelINS0_13select_configILj256ELj13ELNS0_17block_load_methodE3ELS4_3ELS4_3ELNS0_20block_scan_algorithmE0ELj4294967295EEENS1_25partition_config_selectorILNS1_17partition_subalgoE4EjNS0_10empty_typeEbEEZZNS1_14partition_implILS8_4ELb0ES6_15HIP_vector_typeIjLj2EENS0_17counting_iteratorIjlEEPS9_SG_NS0_5tupleIJPjSI_NS0_16reverse_iteratorISI_EEEEENSH_IJSG_SG_SG_EEES9_SI_JZNS1_25segmented_radix_sort_implINS0_14default_configELb0EPKiPiPKlPlN2at6native12_GLOBAL__N_18offset_tEEE10hipError_tPvRmT1_PNSt15iterator_traitsIS12_E10value_typeET2_T3_PNS13_IS18_E10value_typeET4_jRbjT5_S1E_jjP12ihipStream_tbEUljE_ZNSN_ISO_Lb0ESQ_SR_ST_SU_SY_EESZ_S10_S11_S12_S16_S17_S18_S1B_S1C_jS1D_jS1E_S1E_jjS1G_bEUljE0_EEESZ_S10_S11_S18_S1C_S1E_T6_T7_T9_mT8_S1G_bDpT10_ENKUlT_T0_E_clISt17integral_constantIbLb0EES1U_EEDaS1P_S1Q_EUlS1P_E_NS1_11comp_targetILNS1_3genE10ELNS1_11target_archE1200ELNS1_3gpuE4ELNS1_3repE0EEENS1_30default_config_static_selectorELNS0_4arch9wavefront6targetE0EEEvS12_.numbered_sgpr, 0
	.set _ZN7rocprim17ROCPRIM_400000_NS6detail17trampoline_kernelINS0_13select_configILj256ELj13ELNS0_17block_load_methodE3ELS4_3ELS4_3ELNS0_20block_scan_algorithmE0ELj4294967295EEENS1_25partition_config_selectorILNS1_17partition_subalgoE4EjNS0_10empty_typeEbEEZZNS1_14partition_implILS8_4ELb0ES6_15HIP_vector_typeIjLj2EENS0_17counting_iteratorIjlEEPS9_SG_NS0_5tupleIJPjSI_NS0_16reverse_iteratorISI_EEEEENSH_IJSG_SG_SG_EEES9_SI_JZNS1_25segmented_radix_sort_implINS0_14default_configELb0EPKiPiPKlPlN2at6native12_GLOBAL__N_18offset_tEEE10hipError_tPvRmT1_PNSt15iterator_traitsIS12_E10value_typeET2_T3_PNS13_IS18_E10value_typeET4_jRbjT5_S1E_jjP12ihipStream_tbEUljE_ZNSN_ISO_Lb0ESQ_SR_ST_SU_SY_EESZ_S10_S11_S12_S16_S17_S18_S1B_S1C_jS1D_jS1E_S1E_jjS1G_bEUljE0_EEESZ_S10_S11_S18_S1C_S1E_T6_T7_T9_mT8_S1G_bDpT10_ENKUlT_T0_E_clISt17integral_constantIbLb0EES1U_EEDaS1P_S1Q_EUlS1P_E_NS1_11comp_targetILNS1_3genE10ELNS1_11target_archE1200ELNS1_3gpuE4ELNS1_3repE0EEENS1_30default_config_static_selectorELNS0_4arch9wavefront6targetE0EEEvS12_.num_named_barrier, 0
	.set _ZN7rocprim17ROCPRIM_400000_NS6detail17trampoline_kernelINS0_13select_configILj256ELj13ELNS0_17block_load_methodE3ELS4_3ELS4_3ELNS0_20block_scan_algorithmE0ELj4294967295EEENS1_25partition_config_selectorILNS1_17partition_subalgoE4EjNS0_10empty_typeEbEEZZNS1_14partition_implILS8_4ELb0ES6_15HIP_vector_typeIjLj2EENS0_17counting_iteratorIjlEEPS9_SG_NS0_5tupleIJPjSI_NS0_16reverse_iteratorISI_EEEEENSH_IJSG_SG_SG_EEES9_SI_JZNS1_25segmented_radix_sort_implINS0_14default_configELb0EPKiPiPKlPlN2at6native12_GLOBAL__N_18offset_tEEE10hipError_tPvRmT1_PNSt15iterator_traitsIS12_E10value_typeET2_T3_PNS13_IS18_E10value_typeET4_jRbjT5_S1E_jjP12ihipStream_tbEUljE_ZNSN_ISO_Lb0ESQ_SR_ST_SU_SY_EESZ_S10_S11_S12_S16_S17_S18_S1B_S1C_jS1D_jS1E_S1E_jjS1G_bEUljE0_EEESZ_S10_S11_S18_S1C_S1E_T6_T7_T9_mT8_S1G_bDpT10_ENKUlT_T0_E_clISt17integral_constantIbLb0EES1U_EEDaS1P_S1Q_EUlS1P_E_NS1_11comp_targetILNS1_3genE10ELNS1_11target_archE1200ELNS1_3gpuE4ELNS1_3repE0EEENS1_30default_config_static_selectorELNS0_4arch9wavefront6targetE0EEEvS12_.private_seg_size, 0
	.set _ZN7rocprim17ROCPRIM_400000_NS6detail17trampoline_kernelINS0_13select_configILj256ELj13ELNS0_17block_load_methodE3ELS4_3ELS4_3ELNS0_20block_scan_algorithmE0ELj4294967295EEENS1_25partition_config_selectorILNS1_17partition_subalgoE4EjNS0_10empty_typeEbEEZZNS1_14partition_implILS8_4ELb0ES6_15HIP_vector_typeIjLj2EENS0_17counting_iteratorIjlEEPS9_SG_NS0_5tupleIJPjSI_NS0_16reverse_iteratorISI_EEEEENSH_IJSG_SG_SG_EEES9_SI_JZNS1_25segmented_radix_sort_implINS0_14default_configELb0EPKiPiPKlPlN2at6native12_GLOBAL__N_18offset_tEEE10hipError_tPvRmT1_PNSt15iterator_traitsIS12_E10value_typeET2_T3_PNS13_IS18_E10value_typeET4_jRbjT5_S1E_jjP12ihipStream_tbEUljE_ZNSN_ISO_Lb0ESQ_SR_ST_SU_SY_EESZ_S10_S11_S12_S16_S17_S18_S1B_S1C_jS1D_jS1E_S1E_jjS1G_bEUljE0_EEESZ_S10_S11_S18_S1C_S1E_T6_T7_T9_mT8_S1G_bDpT10_ENKUlT_T0_E_clISt17integral_constantIbLb0EES1U_EEDaS1P_S1Q_EUlS1P_E_NS1_11comp_targetILNS1_3genE10ELNS1_11target_archE1200ELNS1_3gpuE4ELNS1_3repE0EEENS1_30default_config_static_selectorELNS0_4arch9wavefront6targetE0EEEvS12_.uses_vcc, 0
	.set _ZN7rocprim17ROCPRIM_400000_NS6detail17trampoline_kernelINS0_13select_configILj256ELj13ELNS0_17block_load_methodE3ELS4_3ELS4_3ELNS0_20block_scan_algorithmE0ELj4294967295EEENS1_25partition_config_selectorILNS1_17partition_subalgoE4EjNS0_10empty_typeEbEEZZNS1_14partition_implILS8_4ELb0ES6_15HIP_vector_typeIjLj2EENS0_17counting_iteratorIjlEEPS9_SG_NS0_5tupleIJPjSI_NS0_16reverse_iteratorISI_EEEEENSH_IJSG_SG_SG_EEES9_SI_JZNS1_25segmented_radix_sort_implINS0_14default_configELb0EPKiPiPKlPlN2at6native12_GLOBAL__N_18offset_tEEE10hipError_tPvRmT1_PNSt15iterator_traitsIS12_E10value_typeET2_T3_PNS13_IS18_E10value_typeET4_jRbjT5_S1E_jjP12ihipStream_tbEUljE_ZNSN_ISO_Lb0ESQ_SR_ST_SU_SY_EESZ_S10_S11_S12_S16_S17_S18_S1B_S1C_jS1D_jS1E_S1E_jjS1G_bEUljE0_EEESZ_S10_S11_S18_S1C_S1E_T6_T7_T9_mT8_S1G_bDpT10_ENKUlT_T0_E_clISt17integral_constantIbLb0EES1U_EEDaS1P_S1Q_EUlS1P_E_NS1_11comp_targetILNS1_3genE10ELNS1_11target_archE1200ELNS1_3gpuE4ELNS1_3repE0EEENS1_30default_config_static_selectorELNS0_4arch9wavefront6targetE0EEEvS12_.uses_flat_scratch, 0
	.set _ZN7rocprim17ROCPRIM_400000_NS6detail17trampoline_kernelINS0_13select_configILj256ELj13ELNS0_17block_load_methodE3ELS4_3ELS4_3ELNS0_20block_scan_algorithmE0ELj4294967295EEENS1_25partition_config_selectorILNS1_17partition_subalgoE4EjNS0_10empty_typeEbEEZZNS1_14partition_implILS8_4ELb0ES6_15HIP_vector_typeIjLj2EENS0_17counting_iteratorIjlEEPS9_SG_NS0_5tupleIJPjSI_NS0_16reverse_iteratorISI_EEEEENSH_IJSG_SG_SG_EEES9_SI_JZNS1_25segmented_radix_sort_implINS0_14default_configELb0EPKiPiPKlPlN2at6native12_GLOBAL__N_18offset_tEEE10hipError_tPvRmT1_PNSt15iterator_traitsIS12_E10value_typeET2_T3_PNS13_IS18_E10value_typeET4_jRbjT5_S1E_jjP12ihipStream_tbEUljE_ZNSN_ISO_Lb0ESQ_SR_ST_SU_SY_EESZ_S10_S11_S12_S16_S17_S18_S1B_S1C_jS1D_jS1E_S1E_jjS1G_bEUljE0_EEESZ_S10_S11_S18_S1C_S1E_T6_T7_T9_mT8_S1G_bDpT10_ENKUlT_T0_E_clISt17integral_constantIbLb0EES1U_EEDaS1P_S1Q_EUlS1P_E_NS1_11comp_targetILNS1_3genE10ELNS1_11target_archE1200ELNS1_3gpuE4ELNS1_3repE0EEENS1_30default_config_static_selectorELNS0_4arch9wavefront6targetE0EEEvS12_.has_dyn_sized_stack, 0
	.set _ZN7rocprim17ROCPRIM_400000_NS6detail17trampoline_kernelINS0_13select_configILj256ELj13ELNS0_17block_load_methodE3ELS4_3ELS4_3ELNS0_20block_scan_algorithmE0ELj4294967295EEENS1_25partition_config_selectorILNS1_17partition_subalgoE4EjNS0_10empty_typeEbEEZZNS1_14partition_implILS8_4ELb0ES6_15HIP_vector_typeIjLj2EENS0_17counting_iteratorIjlEEPS9_SG_NS0_5tupleIJPjSI_NS0_16reverse_iteratorISI_EEEEENSH_IJSG_SG_SG_EEES9_SI_JZNS1_25segmented_radix_sort_implINS0_14default_configELb0EPKiPiPKlPlN2at6native12_GLOBAL__N_18offset_tEEE10hipError_tPvRmT1_PNSt15iterator_traitsIS12_E10value_typeET2_T3_PNS13_IS18_E10value_typeET4_jRbjT5_S1E_jjP12ihipStream_tbEUljE_ZNSN_ISO_Lb0ESQ_SR_ST_SU_SY_EESZ_S10_S11_S12_S16_S17_S18_S1B_S1C_jS1D_jS1E_S1E_jjS1G_bEUljE0_EEESZ_S10_S11_S18_S1C_S1E_T6_T7_T9_mT8_S1G_bDpT10_ENKUlT_T0_E_clISt17integral_constantIbLb0EES1U_EEDaS1P_S1Q_EUlS1P_E_NS1_11comp_targetILNS1_3genE10ELNS1_11target_archE1200ELNS1_3gpuE4ELNS1_3repE0EEENS1_30default_config_static_selectorELNS0_4arch9wavefront6targetE0EEEvS12_.has_recursion, 0
	.set _ZN7rocprim17ROCPRIM_400000_NS6detail17trampoline_kernelINS0_13select_configILj256ELj13ELNS0_17block_load_methodE3ELS4_3ELS4_3ELNS0_20block_scan_algorithmE0ELj4294967295EEENS1_25partition_config_selectorILNS1_17partition_subalgoE4EjNS0_10empty_typeEbEEZZNS1_14partition_implILS8_4ELb0ES6_15HIP_vector_typeIjLj2EENS0_17counting_iteratorIjlEEPS9_SG_NS0_5tupleIJPjSI_NS0_16reverse_iteratorISI_EEEEENSH_IJSG_SG_SG_EEES9_SI_JZNS1_25segmented_radix_sort_implINS0_14default_configELb0EPKiPiPKlPlN2at6native12_GLOBAL__N_18offset_tEEE10hipError_tPvRmT1_PNSt15iterator_traitsIS12_E10value_typeET2_T3_PNS13_IS18_E10value_typeET4_jRbjT5_S1E_jjP12ihipStream_tbEUljE_ZNSN_ISO_Lb0ESQ_SR_ST_SU_SY_EESZ_S10_S11_S12_S16_S17_S18_S1B_S1C_jS1D_jS1E_S1E_jjS1G_bEUljE0_EEESZ_S10_S11_S18_S1C_S1E_T6_T7_T9_mT8_S1G_bDpT10_ENKUlT_T0_E_clISt17integral_constantIbLb0EES1U_EEDaS1P_S1Q_EUlS1P_E_NS1_11comp_targetILNS1_3genE10ELNS1_11target_archE1200ELNS1_3gpuE4ELNS1_3repE0EEENS1_30default_config_static_selectorELNS0_4arch9wavefront6targetE0EEEvS12_.has_indirect_call, 0
	.section	.AMDGPU.csdata,"",@progbits
; Kernel info:
; codeLenInByte = 0
; TotalNumSgprs: 0
; NumVgprs: 0
; ScratchSize: 0
; MemoryBound: 0
; FloatMode: 240
; IeeeMode: 1
; LDSByteSize: 0 bytes/workgroup (compile time only)
; SGPRBlocks: 0
; VGPRBlocks: 0
; NumSGPRsForWavesPerEU: 1
; NumVGPRsForWavesPerEU: 1
; NamedBarCnt: 0
; Occupancy: 16
; WaveLimiterHint : 0
; COMPUTE_PGM_RSRC2:SCRATCH_EN: 0
; COMPUTE_PGM_RSRC2:USER_SGPR: 2
; COMPUTE_PGM_RSRC2:TRAP_HANDLER: 0
; COMPUTE_PGM_RSRC2:TGID_X_EN: 1
; COMPUTE_PGM_RSRC2:TGID_Y_EN: 0
; COMPUTE_PGM_RSRC2:TGID_Z_EN: 0
; COMPUTE_PGM_RSRC2:TIDIG_COMP_CNT: 0
	.section	.text._ZN7rocprim17ROCPRIM_400000_NS6detail17trampoline_kernelINS0_13select_configILj256ELj13ELNS0_17block_load_methodE3ELS4_3ELS4_3ELNS0_20block_scan_algorithmE0ELj4294967295EEENS1_25partition_config_selectorILNS1_17partition_subalgoE4EjNS0_10empty_typeEbEEZZNS1_14partition_implILS8_4ELb0ES6_15HIP_vector_typeIjLj2EENS0_17counting_iteratorIjlEEPS9_SG_NS0_5tupleIJPjSI_NS0_16reverse_iteratorISI_EEEEENSH_IJSG_SG_SG_EEES9_SI_JZNS1_25segmented_radix_sort_implINS0_14default_configELb0EPKiPiPKlPlN2at6native12_GLOBAL__N_18offset_tEEE10hipError_tPvRmT1_PNSt15iterator_traitsIS12_E10value_typeET2_T3_PNS13_IS18_E10value_typeET4_jRbjT5_S1E_jjP12ihipStream_tbEUljE_ZNSN_ISO_Lb0ESQ_SR_ST_SU_SY_EESZ_S10_S11_S12_S16_S17_S18_S1B_S1C_jS1D_jS1E_S1E_jjS1G_bEUljE0_EEESZ_S10_S11_S18_S1C_S1E_T6_T7_T9_mT8_S1G_bDpT10_ENKUlT_T0_E_clISt17integral_constantIbLb0EES1U_EEDaS1P_S1Q_EUlS1P_E_NS1_11comp_targetILNS1_3genE9ELNS1_11target_archE1100ELNS1_3gpuE3ELNS1_3repE0EEENS1_30default_config_static_selectorELNS0_4arch9wavefront6targetE0EEEvS12_,"axG",@progbits,_ZN7rocprim17ROCPRIM_400000_NS6detail17trampoline_kernelINS0_13select_configILj256ELj13ELNS0_17block_load_methodE3ELS4_3ELS4_3ELNS0_20block_scan_algorithmE0ELj4294967295EEENS1_25partition_config_selectorILNS1_17partition_subalgoE4EjNS0_10empty_typeEbEEZZNS1_14partition_implILS8_4ELb0ES6_15HIP_vector_typeIjLj2EENS0_17counting_iteratorIjlEEPS9_SG_NS0_5tupleIJPjSI_NS0_16reverse_iteratorISI_EEEEENSH_IJSG_SG_SG_EEES9_SI_JZNS1_25segmented_radix_sort_implINS0_14default_configELb0EPKiPiPKlPlN2at6native12_GLOBAL__N_18offset_tEEE10hipError_tPvRmT1_PNSt15iterator_traitsIS12_E10value_typeET2_T3_PNS13_IS18_E10value_typeET4_jRbjT5_S1E_jjP12ihipStream_tbEUljE_ZNSN_ISO_Lb0ESQ_SR_ST_SU_SY_EESZ_S10_S11_S12_S16_S17_S18_S1B_S1C_jS1D_jS1E_S1E_jjS1G_bEUljE0_EEESZ_S10_S11_S18_S1C_S1E_T6_T7_T9_mT8_S1G_bDpT10_ENKUlT_T0_E_clISt17integral_constantIbLb0EES1U_EEDaS1P_S1Q_EUlS1P_E_NS1_11comp_targetILNS1_3genE9ELNS1_11target_archE1100ELNS1_3gpuE3ELNS1_3repE0EEENS1_30default_config_static_selectorELNS0_4arch9wavefront6targetE0EEEvS12_,comdat
	.globl	_ZN7rocprim17ROCPRIM_400000_NS6detail17trampoline_kernelINS0_13select_configILj256ELj13ELNS0_17block_load_methodE3ELS4_3ELS4_3ELNS0_20block_scan_algorithmE0ELj4294967295EEENS1_25partition_config_selectorILNS1_17partition_subalgoE4EjNS0_10empty_typeEbEEZZNS1_14partition_implILS8_4ELb0ES6_15HIP_vector_typeIjLj2EENS0_17counting_iteratorIjlEEPS9_SG_NS0_5tupleIJPjSI_NS0_16reverse_iteratorISI_EEEEENSH_IJSG_SG_SG_EEES9_SI_JZNS1_25segmented_radix_sort_implINS0_14default_configELb0EPKiPiPKlPlN2at6native12_GLOBAL__N_18offset_tEEE10hipError_tPvRmT1_PNSt15iterator_traitsIS12_E10value_typeET2_T3_PNS13_IS18_E10value_typeET4_jRbjT5_S1E_jjP12ihipStream_tbEUljE_ZNSN_ISO_Lb0ESQ_SR_ST_SU_SY_EESZ_S10_S11_S12_S16_S17_S18_S1B_S1C_jS1D_jS1E_S1E_jjS1G_bEUljE0_EEESZ_S10_S11_S18_S1C_S1E_T6_T7_T9_mT8_S1G_bDpT10_ENKUlT_T0_E_clISt17integral_constantIbLb0EES1U_EEDaS1P_S1Q_EUlS1P_E_NS1_11comp_targetILNS1_3genE9ELNS1_11target_archE1100ELNS1_3gpuE3ELNS1_3repE0EEENS1_30default_config_static_selectorELNS0_4arch9wavefront6targetE0EEEvS12_ ; -- Begin function _ZN7rocprim17ROCPRIM_400000_NS6detail17trampoline_kernelINS0_13select_configILj256ELj13ELNS0_17block_load_methodE3ELS4_3ELS4_3ELNS0_20block_scan_algorithmE0ELj4294967295EEENS1_25partition_config_selectorILNS1_17partition_subalgoE4EjNS0_10empty_typeEbEEZZNS1_14partition_implILS8_4ELb0ES6_15HIP_vector_typeIjLj2EENS0_17counting_iteratorIjlEEPS9_SG_NS0_5tupleIJPjSI_NS0_16reverse_iteratorISI_EEEEENSH_IJSG_SG_SG_EEES9_SI_JZNS1_25segmented_radix_sort_implINS0_14default_configELb0EPKiPiPKlPlN2at6native12_GLOBAL__N_18offset_tEEE10hipError_tPvRmT1_PNSt15iterator_traitsIS12_E10value_typeET2_T3_PNS13_IS18_E10value_typeET4_jRbjT5_S1E_jjP12ihipStream_tbEUljE_ZNSN_ISO_Lb0ESQ_SR_ST_SU_SY_EESZ_S10_S11_S12_S16_S17_S18_S1B_S1C_jS1D_jS1E_S1E_jjS1G_bEUljE0_EEESZ_S10_S11_S18_S1C_S1E_T6_T7_T9_mT8_S1G_bDpT10_ENKUlT_T0_E_clISt17integral_constantIbLb0EES1U_EEDaS1P_S1Q_EUlS1P_E_NS1_11comp_targetILNS1_3genE9ELNS1_11target_archE1100ELNS1_3gpuE3ELNS1_3repE0EEENS1_30default_config_static_selectorELNS0_4arch9wavefront6targetE0EEEvS12_
	.p2align	8
	.type	_ZN7rocprim17ROCPRIM_400000_NS6detail17trampoline_kernelINS0_13select_configILj256ELj13ELNS0_17block_load_methodE3ELS4_3ELS4_3ELNS0_20block_scan_algorithmE0ELj4294967295EEENS1_25partition_config_selectorILNS1_17partition_subalgoE4EjNS0_10empty_typeEbEEZZNS1_14partition_implILS8_4ELb0ES6_15HIP_vector_typeIjLj2EENS0_17counting_iteratorIjlEEPS9_SG_NS0_5tupleIJPjSI_NS0_16reverse_iteratorISI_EEEEENSH_IJSG_SG_SG_EEES9_SI_JZNS1_25segmented_radix_sort_implINS0_14default_configELb0EPKiPiPKlPlN2at6native12_GLOBAL__N_18offset_tEEE10hipError_tPvRmT1_PNSt15iterator_traitsIS12_E10value_typeET2_T3_PNS13_IS18_E10value_typeET4_jRbjT5_S1E_jjP12ihipStream_tbEUljE_ZNSN_ISO_Lb0ESQ_SR_ST_SU_SY_EESZ_S10_S11_S12_S16_S17_S18_S1B_S1C_jS1D_jS1E_S1E_jjS1G_bEUljE0_EEESZ_S10_S11_S18_S1C_S1E_T6_T7_T9_mT8_S1G_bDpT10_ENKUlT_T0_E_clISt17integral_constantIbLb0EES1U_EEDaS1P_S1Q_EUlS1P_E_NS1_11comp_targetILNS1_3genE9ELNS1_11target_archE1100ELNS1_3gpuE3ELNS1_3repE0EEENS1_30default_config_static_selectorELNS0_4arch9wavefront6targetE0EEEvS12_,@function
_ZN7rocprim17ROCPRIM_400000_NS6detail17trampoline_kernelINS0_13select_configILj256ELj13ELNS0_17block_load_methodE3ELS4_3ELS4_3ELNS0_20block_scan_algorithmE0ELj4294967295EEENS1_25partition_config_selectorILNS1_17partition_subalgoE4EjNS0_10empty_typeEbEEZZNS1_14partition_implILS8_4ELb0ES6_15HIP_vector_typeIjLj2EENS0_17counting_iteratorIjlEEPS9_SG_NS0_5tupleIJPjSI_NS0_16reverse_iteratorISI_EEEEENSH_IJSG_SG_SG_EEES9_SI_JZNS1_25segmented_radix_sort_implINS0_14default_configELb0EPKiPiPKlPlN2at6native12_GLOBAL__N_18offset_tEEE10hipError_tPvRmT1_PNSt15iterator_traitsIS12_E10value_typeET2_T3_PNS13_IS18_E10value_typeET4_jRbjT5_S1E_jjP12ihipStream_tbEUljE_ZNSN_ISO_Lb0ESQ_SR_ST_SU_SY_EESZ_S10_S11_S12_S16_S17_S18_S1B_S1C_jS1D_jS1E_S1E_jjS1G_bEUljE0_EEESZ_S10_S11_S18_S1C_S1E_T6_T7_T9_mT8_S1G_bDpT10_ENKUlT_T0_E_clISt17integral_constantIbLb0EES1U_EEDaS1P_S1Q_EUlS1P_E_NS1_11comp_targetILNS1_3genE9ELNS1_11target_archE1100ELNS1_3gpuE3ELNS1_3repE0EEENS1_30default_config_static_selectorELNS0_4arch9wavefront6targetE0EEEvS12_: ; @_ZN7rocprim17ROCPRIM_400000_NS6detail17trampoline_kernelINS0_13select_configILj256ELj13ELNS0_17block_load_methodE3ELS4_3ELS4_3ELNS0_20block_scan_algorithmE0ELj4294967295EEENS1_25partition_config_selectorILNS1_17partition_subalgoE4EjNS0_10empty_typeEbEEZZNS1_14partition_implILS8_4ELb0ES6_15HIP_vector_typeIjLj2EENS0_17counting_iteratorIjlEEPS9_SG_NS0_5tupleIJPjSI_NS0_16reverse_iteratorISI_EEEEENSH_IJSG_SG_SG_EEES9_SI_JZNS1_25segmented_radix_sort_implINS0_14default_configELb0EPKiPiPKlPlN2at6native12_GLOBAL__N_18offset_tEEE10hipError_tPvRmT1_PNSt15iterator_traitsIS12_E10value_typeET2_T3_PNS13_IS18_E10value_typeET4_jRbjT5_S1E_jjP12ihipStream_tbEUljE_ZNSN_ISO_Lb0ESQ_SR_ST_SU_SY_EESZ_S10_S11_S12_S16_S17_S18_S1B_S1C_jS1D_jS1E_S1E_jjS1G_bEUljE0_EEESZ_S10_S11_S18_S1C_S1E_T6_T7_T9_mT8_S1G_bDpT10_ENKUlT_T0_E_clISt17integral_constantIbLb0EES1U_EEDaS1P_S1Q_EUlS1P_E_NS1_11comp_targetILNS1_3genE9ELNS1_11target_archE1100ELNS1_3gpuE3ELNS1_3repE0EEENS1_30default_config_static_selectorELNS0_4arch9wavefront6targetE0EEEvS12_
; %bb.0:
	.section	.rodata,"a",@progbits
	.p2align	6, 0x0
	.amdhsa_kernel _ZN7rocprim17ROCPRIM_400000_NS6detail17trampoline_kernelINS0_13select_configILj256ELj13ELNS0_17block_load_methodE3ELS4_3ELS4_3ELNS0_20block_scan_algorithmE0ELj4294967295EEENS1_25partition_config_selectorILNS1_17partition_subalgoE4EjNS0_10empty_typeEbEEZZNS1_14partition_implILS8_4ELb0ES6_15HIP_vector_typeIjLj2EENS0_17counting_iteratorIjlEEPS9_SG_NS0_5tupleIJPjSI_NS0_16reverse_iteratorISI_EEEEENSH_IJSG_SG_SG_EEES9_SI_JZNS1_25segmented_radix_sort_implINS0_14default_configELb0EPKiPiPKlPlN2at6native12_GLOBAL__N_18offset_tEEE10hipError_tPvRmT1_PNSt15iterator_traitsIS12_E10value_typeET2_T3_PNS13_IS18_E10value_typeET4_jRbjT5_S1E_jjP12ihipStream_tbEUljE_ZNSN_ISO_Lb0ESQ_SR_ST_SU_SY_EESZ_S10_S11_S12_S16_S17_S18_S1B_S1C_jS1D_jS1E_S1E_jjS1G_bEUljE0_EEESZ_S10_S11_S18_S1C_S1E_T6_T7_T9_mT8_S1G_bDpT10_ENKUlT_T0_E_clISt17integral_constantIbLb0EES1U_EEDaS1P_S1Q_EUlS1P_E_NS1_11comp_targetILNS1_3genE9ELNS1_11target_archE1100ELNS1_3gpuE3ELNS1_3repE0EEENS1_30default_config_static_selectorELNS0_4arch9wavefront6targetE0EEEvS12_
		.amdhsa_group_segment_fixed_size 0
		.amdhsa_private_segment_fixed_size 0
		.amdhsa_kernarg_size 176
		.amdhsa_user_sgpr_count 2
		.amdhsa_user_sgpr_dispatch_ptr 0
		.amdhsa_user_sgpr_queue_ptr 0
		.amdhsa_user_sgpr_kernarg_segment_ptr 1
		.amdhsa_user_sgpr_dispatch_id 0
		.amdhsa_user_sgpr_kernarg_preload_length 0
		.amdhsa_user_sgpr_kernarg_preload_offset 0
		.amdhsa_user_sgpr_private_segment_size 0
		.amdhsa_wavefront_size32 1
		.amdhsa_uses_dynamic_stack 0
		.amdhsa_enable_private_segment 0
		.amdhsa_system_sgpr_workgroup_id_x 1
		.amdhsa_system_sgpr_workgroup_id_y 0
		.amdhsa_system_sgpr_workgroup_id_z 0
		.amdhsa_system_sgpr_workgroup_info 0
		.amdhsa_system_vgpr_workitem_id 0
		.amdhsa_next_free_vgpr 1
		.amdhsa_next_free_sgpr 1
		.amdhsa_named_barrier_count 0
		.amdhsa_reserve_vcc 0
		.amdhsa_float_round_mode_32 0
		.amdhsa_float_round_mode_16_64 0
		.amdhsa_float_denorm_mode_32 3
		.amdhsa_float_denorm_mode_16_64 3
		.amdhsa_fp16_overflow 0
		.amdhsa_memory_ordered 1
		.amdhsa_forward_progress 1
		.amdhsa_inst_pref_size 0
		.amdhsa_round_robin_scheduling 0
		.amdhsa_exception_fp_ieee_invalid_op 0
		.amdhsa_exception_fp_denorm_src 0
		.amdhsa_exception_fp_ieee_div_zero 0
		.amdhsa_exception_fp_ieee_overflow 0
		.amdhsa_exception_fp_ieee_underflow 0
		.amdhsa_exception_fp_ieee_inexact 0
		.amdhsa_exception_int_div_zero 0
	.end_amdhsa_kernel
	.section	.text._ZN7rocprim17ROCPRIM_400000_NS6detail17trampoline_kernelINS0_13select_configILj256ELj13ELNS0_17block_load_methodE3ELS4_3ELS4_3ELNS0_20block_scan_algorithmE0ELj4294967295EEENS1_25partition_config_selectorILNS1_17partition_subalgoE4EjNS0_10empty_typeEbEEZZNS1_14partition_implILS8_4ELb0ES6_15HIP_vector_typeIjLj2EENS0_17counting_iteratorIjlEEPS9_SG_NS0_5tupleIJPjSI_NS0_16reverse_iteratorISI_EEEEENSH_IJSG_SG_SG_EEES9_SI_JZNS1_25segmented_radix_sort_implINS0_14default_configELb0EPKiPiPKlPlN2at6native12_GLOBAL__N_18offset_tEEE10hipError_tPvRmT1_PNSt15iterator_traitsIS12_E10value_typeET2_T3_PNS13_IS18_E10value_typeET4_jRbjT5_S1E_jjP12ihipStream_tbEUljE_ZNSN_ISO_Lb0ESQ_SR_ST_SU_SY_EESZ_S10_S11_S12_S16_S17_S18_S1B_S1C_jS1D_jS1E_S1E_jjS1G_bEUljE0_EEESZ_S10_S11_S18_S1C_S1E_T6_T7_T9_mT8_S1G_bDpT10_ENKUlT_T0_E_clISt17integral_constantIbLb0EES1U_EEDaS1P_S1Q_EUlS1P_E_NS1_11comp_targetILNS1_3genE9ELNS1_11target_archE1100ELNS1_3gpuE3ELNS1_3repE0EEENS1_30default_config_static_selectorELNS0_4arch9wavefront6targetE0EEEvS12_,"axG",@progbits,_ZN7rocprim17ROCPRIM_400000_NS6detail17trampoline_kernelINS0_13select_configILj256ELj13ELNS0_17block_load_methodE3ELS4_3ELS4_3ELNS0_20block_scan_algorithmE0ELj4294967295EEENS1_25partition_config_selectorILNS1_17partition_subalgoE4EjNS0_10empty_typeEbEEZZNS1_14partition_implILS8_4ELb0ES6_15HIP_vector_typeIjLj2EENS0_17counting_iteratorIjlEEPS9_SG_NS0_5tupleIJPjSI_NS0_16reverse_iteratorISI_EEEEENSH_IJSG_SG_SG_EEES9_SI_JZNS1_25segmented_radix_sort_implINS0_14default_configELb0EPKiPiPKlPlN2at6native12_GLOBAL__N_18offset_tEEE10hipError_tPvRmT1_PNSt15iterator_traitsIS12_E10value_typeET2_T3_PNS13_IS18_E10value_typeET4_jRbjT5_S1E_jjP12ihipStream_tbEUljE_ZNSN_ISO_Lb0ESQ_SR_ST_SU_SY_EESZ_S10_S11_S12_S16_S17_S18_S1B_S1C_jS1D_jS1E_S1E_jjS1G_bEUljE0_EEESZ_S10_S11_S18_S1C_S1E_T6_T7_T9_mT8_S1G_bDpT10_ENKUlT_T0_E_clISt17integral_constantIbLb0EES1U_EEDaS1P_S1Q_EUlS1P_E_NS1_11comp_targetILNS1_3genE9ELNS1_11target_archE1100ELNS1_3gpuE3ELNS1_3repE0EEENS1_30default_config_static_selectorELNS0_4arch9wavefront6targetE0EEEvS12_,comdat
.Lfunc_end538:
	.size	_ZN7rocprim17ROCPRIM_400000_NS6detail17trampoline_kernelINS0_13select_configILj256ELj13ELNS0_17block_load_methodE3ELS4_3ELS4_3ELNS0_20block_scan_algorithmE0ELj4294967295EEENS1_25partition_config_selectorILNS1_17partition_subalgoE4EjNS0_10empty_typeEbEEZZNS1_14partition_implILS8_4ELb0ES6_15HIP_vector_typeIjLj2EENS0_17counting_iteratorIjlEEPS9_SG_NS0_5tupleIJPjSI_NS0_16reverse_iteratorISI_EEEEENSH_IJSG_SG_SG_EEES9_SI_JZNS1_25segmented_radix_sort_implINS0_14default_configELb0EPKiPiPKlPlN2at6native12_GLOBAL__N_18offset_tEEE10hipError_tPvRmT1_PNSt15iterator_traitsIS12_E10value_typeET2_T3_PNS13_IS18_E10value_typeET4_jRbjT5_S1E_jjP12ihipStream_tbEUljE_ZNSN_ISO_Lb0ESQ_SR_ST_SU_SY_EESZ_S10_S11_S12_S16_S17_S18_S1B_S1C_jS1D_jS1E_S1E_jjS1G_bEUljE0_EEESZ_S10_S11_S18_S1C_S1E_T6_T7_T9_mT8_S1G_bDpT10_ENKUlT_T0_E_clISt17integral_constantIbLb0EES1U_EEDaS1P_S1Q_EUlS1P_E_NS1_11comp_targetILNS1_3genE9ELNS1_11target_archE1100ELNS1_3gpuE3ELNS1_3repE0EEENS1_30default_config_static_selectorELNS0_4arch9wavefront6targetE0EEEvS12_, .Lfunc_end538-_ZN7rocprim17ROCPRIM_400000_NS6detail17trampoline_kernelINS0_13select_configILj256ELj13ELNS0_17block_load_methodE3ELS4_3ELS4_3ELNS0_20block_scan_algorithmE0ELj4294967295EEENS1_25partition_config_selectorILNS1_17partition_subalgoE4EjNS0_10empty_typeEbEEZZNS1_14partition_implILS8_4ELb0ES6_15HIP_vector_typeIjLj2EENS0_17counting_iteratorIjlEEPS9_SG_NS0_5tupleIJPjSI_NS0_16reverse_iteratorISI_EEEEENSH_IJSG_SG_SG_EEES9_SI_JZNS1_25segmented_radix_sort_implINS0_14default_configELb0EPKiPiPKlPlN2at6native12_GLOBAL__N_18offset_tEEE10hipError_tPvRmT1_PNSt15iterator_traitsIS12_E10value_typeET2_T3_PNS13_IS18_E10value_typeET4_jRbjT5_S1E_jjP12ihipStream_tbEUljE_ZNSN_ISO_Lb0ESQ_SR_ST_SU_SY_EESZ_S10_S11_S12_S16_S17_S18_S1B_S1C_jS1D_jS1E_S1E_jjS1G_bEUljE0_EEESZ_S10_S11_S18_S1C_S1E_T6_T7_T9_mT8_S1G_bDpT10_ENKUlT_T0_E_clISt17integral_constantIbLb0EES1U_EEDaS1P_S1Q_EUlS1P_E_NS1_11comp_targetILNS1_3genE9ELNS1_11target_archE1100ELNS1_3gpuE3ELNS1_3repE0EEENS1_30default_config_static_selectorELNS0_4arch9wavefront6targetE0EEEvS12_
                                        ; -- End function
	.set _ZN7rocprim17ROCPRIM_400000_NS6detail17trampoline_kernelINS0_13select_configILj256ELj13ELNS0_17block_load_methodE3ELS4_3ELS4_3ELNS0_20block_scan_algorithmE0ELj4294967295EEENS1_25partition_config_selectorILNS1_17partition_subalgoE4EjNS0_10empty_typeEbEEZZNS1_14partition_implILS8_4ELb0ES6_15HIP_vector_typeIjLj2EENS0_17counting_iteratorIjlEEPS9_SG_NS0_5tupleIJPjSI_NS0_16reverse_iteratorISI_EEEEENSH_IJSG_SG_SG_EEES9_SI_JZNS1_25segmented_radix_sort_implINS0_14default_configELb0EPKiPiPKlPlN2at6native12_GLOBAL__N_18offset_tEEE10hipError_tPvRmT1_PNSt15iterator_traitsIS12_E10value_typeET2_T3_PNS13_IS18_E10value_typeET4_jRbjT5_S1E_jjP12ihipStream_tbEUljE_ZNSN_ISO_Lb0ESQ_SR_ST_SU_SY_EESZ_S10_S11_S12_S16_S17_S18_S1B_S1C_jS1D_jS1E_S1E_jjS1G_bEUljE0_EEESZ_S10_S11_S18_S1C_S1E_T6_T7_T9_mT8_S1G_bDpT10_ENKUlT_T0_E_clISt17integral_constantIbLb0EES1U_EEDaS1P_S1Q_EUlS1P_E_NS1_11comp_targetILNS1_3genE9ELNS1_11target_archE1100ELNS1_3gpuE3ELNS1_3repE0EEENS1_30default_config_static_selectorELNS0_4arch9wavefront6targetE0EEEvS12_.num_vgpr, 0
	.set _ZN7rocprim17ROCPRIM_400000_NS6detail17trampoline_kernelINS0_13select_configILj256ELj13ELNS0_17block_load_methodE3ELS4_3ELS4_3ELNS0_20block_scan_algorithmE0ELj4294967295EEENS1_25partition_config_selectorILNS1_17partition_subalgoE4EjNS0_10empty_typeEbEEZZNS1_14partition_implILS8_4ELb0ES6_15HIP_vector_typeIjLj2EENS0_17counting_iteratorIjlEEPS9_SG_NS0_5tupleIJPjSI_NS0_16reverse_iteratorISI_EEEEENSH_IJSG_SG_SG_EEES9_SI_JZNS1_25segmented_radix_sort_implINS0_14default_configELb0EPKiPiPKlPlN2at6native12_GLOBAL__N_18offset_tEEE10hipError_tPvRmT1_PNSt15iterator_traitsIS12_E10value_typeET2_T3_PNS13_IS18_E10value_typeET4_jRbjT5_S1E_jjP12ihipStream_tbEUljE_ZNSN_ISO_Lb0ESQ_SR_ST_SU_SY_EESZ_S10_S11_S12_S16_S17_S18_S1B_S1C_jS1D_jS1E_S1E_jjS1G_bEUljE0_EEESZ_S10_S11_S18_S1C_S1E_T6_T7_T9_mT8_S1G_bDpT10_ENKUlT_T0_E_clISt17integral_constantIbLb0EES1U_EEDaS1P_S1Q_EUlS1P_E_NS1_11comp_targetILNS1_3genE9ELNS1_11target_archE1100ELNS1_3gpuE3ELNS1_3repE0EEENS1_30default_config_static_selectorELNS0_4arch9wavefront6targetE0EEEvS12_.num_agpr, 0
	.set _ZN7rocprim17ROCPRIM_400000_NS6detail17trampoline_kernelINS0_13select_configILj256ELj13ELNS0_17block_load_methodE3ELS4_3ELS4_3ELNS0_20block_scan_algorithmE0ELj4294967295EEENS1_25partition_config_selectorILNS1_17partition_subalgoE4EjNS0_10empty_typeEbEEZZNS1_14partition_implILS8_4ELb0ES6_15HIP_vector_typeIjLj2EENS0_17counting_iteratorIjlEEPS9_SG_NS0_5tupleIJPjSI_NS0_16reverse_iteratorISI_EEEEENSH_IJSG_SG_SG_EEES9_SI_JZNS1_25segmented_radix_sort_implINS0_14default_configELb0EPKiPiPKlPlN2at6native12_GLOBAL__N_18offset_tEEE10hipError_tPvRmT1_PNSt15iterator_traitsIS12_E10value_typeET2_T3_PNS13_IS18_E10value_typeET4_jRbjT5_S1E_jjP12ihipStream_tbEUljE_ZNSN_ISO_Lb0ESQ_SR_ST_SU_SY_EESZ_S10_S11_S12_S16_S17_S18_S1B_S1C_jS1D_jS1E_S1E_jjS1G_bEUljE0_EEESZ_S10_S11_S18_S1C_S1E_T6_T7_T9_mT8_S1G_bDpT10_ENKUlT_T0_E_clISt17integral_constantIbLb0EES1U_EEDaS1P_S1Q_EUlS1P_E_NS1_11comp_targetILNS1_3genE9ELNS1_11target_archE1100ELNS1_3gpuE3ELNS1_3repE0EEENS1_30default_config_static_selectorELNS0_4arch9wavefront6targetE0EEEvS12_.numbered_sgpr, 0
	.set _ZN7rocprim17ROCPRIM_400000_NS6detail17trampoline_kernelINS0_13select_configILj256ELj13ELNS0_17block_load_methodE3ELS4_3ELS4_3ELNS0_20block_scan_algorithmE0ELj4294967295EEENS1_25partition_config_selectorILNS1_17partition_subalgoE4EjNS0_10empty_typeEbEEZZNS1_14partition_implILS8_4ELb0ES6_15HIP_vector_typeIjLj2EENS0_17counting_iteratorIjlEEPS9_SG_NS0_5tupleIJPjSI_NS0_16reverse_iteratorISI_EEEEENSH_IJSG_SG_SG_EEES9_SI_JZNS1_25segmented_radix_sort_implINS0_14default_configELb0EPKiPiPKlPlN2at6native12_GLOBAL__N_18offset_tEEE10hipError_tPvRmT1_PNSt15iterator_traitsIS12_E10value_typeET2_T3_PNS13_IS18_E10value_typeET4_jRbjT5_S1E_jjP12ihipStream_tbEUljE_ZNSN_ISO_Lb0ESQ_SR_ST_SU_SY_EESZ_S10_S11_S12_S16_S17_S18_S1B_S1C_jS1D_jS1E_S1E_jjS1G_bEUljE0_EEESZ_S10_S11_S18_S1C_S1E_T6_T7_T9_mT8_S1G_bDpT10_ENKUlT_T0_E_clISt17integral_constantIbLb0EES1U_EEDaS1P_S1Q_EUlS1P_E_NS1_11comp_targetILNS1_3genE9ELNS1_11target_archE1100ELNS1_3gpuE3ELNS1_3repE0EEENS1_30default_config_static_selectorELNS0_4arch9wavefront6targetE0EEEvS12_.num_named_barrier, 0
	.set _ZN7rocprim17ROCPRIM_400000_NS6detail17trampoline_kernelINS0_13select_configILj256ELj13ELNS0_17block_load_methodE3ELS4_3ELS4_3ELNS0_20block_scan_algorithmE0ELj4294967295EEENS1_25partition_config_selectorILNS1_17partition_subalgoE4EjNS0_10empty_typeEbEEZZNS1_14partition_implILS8_4ELb0ES6_15HIP_vector_typeIjLj2EENS0_17counting_iteratorIjlEEPS9_SG_NS0_5tupleIJPjSI_NS0_16reverse_iteratorISI_EEEEENSH_IJSG_SG_SG_EEES9_SI_JZNS1_25segmented_radix_sort_implINS0_14default_configELb0EPKiPiPKlPlN2at6native12_GLOBAL__N_18offset_tEEE10hipError_tPvRmT1_PNSt15iterator_traitsIS12_E10value_typeET2_T3_PNS13_IS18_E10value_typeET4_jRbjT5_S1E_jjP12ihipStream_tbEUljE_ZNSN_ISO_Lb0ESQ_SR_ST_SU_SY_EESZ_S10_S11_S12_S16_S17_S18_S1B_S1C_jS1D_jS1E_S1E_jjS1G_bEUljE0_EEESZ_S10_S11_S18_S1C_S1E_T6_T7_T9_mT8_S1G_bDpT10_ENKUlT_T0_E_clISt17integral_constantIbLb0EES1U_EEDaS1P_S1Q_EUlS1P_E_NS1_11comp_targetILNS1_3genE9ELNS1_11target_archE1100ELNS1_3gpuE3ELNS1_3repE0EEENS1_30default_config_static_selectorELNS0_4arch9wavefront6targetE0EEEvS12_.private_seg_size, 0
	.set _ZN7rocprim17ROCPRIM_400000_NS6detail17trampoline_kernelINS0_13select_configILj256ELj13ELNS0_17block_load_methodE3ELS4_3ELS4_3ELNS0_20block_scan_algorithmE0ELj4294967295EEENS1_25partition_config_selectorILNS1_17partition_subalgoE4EjNS0_10empty_typeEbEEZZNS1_14partition_implILS8_4ELb0ES6_15HIP_vector_typeIjLj2EENS0_17counting_iteratorIjlEEPS9_SG_NS0_5tupleIJPjSI_NS0_16reverse_iteratorISI_EEEEENSH_IJSG_SG_SG_EEES9_SI_JZNS1_25segmented_radix_sort_implINS0_14default_configELb0EPKiPiPKlPlN2at6native12_GLOBAL__N_18offset_tEEE10hipError_tPvRmT1_PNSt15iterator_traitsIS12_E10value_typeET2_T3_PNS13_IS18_E10value_typeET4_jRbjT5_S1E_jjP12ihipStream_tbEUljE_ZNSN_ISO_Lb0ESQ_SR_ST_SU_SY_EESZ_S10_S11_S12_S16_S17_S18_S1B_S1C_jS1D_jS1E_S1E_jjS1G_bEUljE0_EEESZ_S10_S11_S18_S1C_S1E_T6_T7_T9_mT8_S1G_bDpT10_ENKUlT_T0_E_clISt17integral_constantIbLb0EES1U_EEDaS1P_S1Q_EUlS1P_E_NS1_11comp_targetILNS1_3genE9ELNS1_11target_archE1100ELNS1_3gpuE3ELNS1_3repE0EEENS1_30default_config_static_selectorELNS0_4arch9wavefront6targetE0EEEvS12_.uses_vcc, 0
	.set _ZN7rocprim17ROCPRIM_400000_NS6detail17trampoline_kernelINS0_13select_configILj256ELj13ELNS0_17block_load_methodE3ELS4_3ELS4_3ELNS0_20block_scan_algorithmE0ELj4294967295EEENS1_25partition_config_selectorILNS1_17partition_subalgoE4EjNS0_10empty_typeEbEEZZNS1_14partition_implILS8_4ELb0ES6_15HIP_vector_typeIjLj2EENS0_17counting_iteratorIjlEEPS9_SG_NS0_5tupleIJPjSI_NS0_16reverse_iteratorISI_EEEEENSH_IJSG_SG_SG_EEES9_SI_JZNS1_25segmented_radix_sort_implINS0_14default_configELb0EPKiPiPKlPlN2at6native12_GLOBAL__N_18offset_tEEE10hipError_tPvRmT1_PNSt15iterator_traitsIS12_E10value_typeET2_T3_PNS13_IS18_E10value_typeET4_jRbjT5_S1E_jjP12ihipStream_tbEUljE_ZNSN_ISO_Lb0ESQ_SR_ST_SU_SY_EESZ_S10_S11_S12_S16_S17_S18_S1B_S1C_jS1D_jS1E_S1E_jjS1G_bEUljE0_EEESZ_S10_S11_S18_S1C_S1E_T6_T7_T9_mT8_S1G_bDpT10_ENKUlT_T0_E_clISt17integral_constantIbLb0EES1U_EEDaS1P_S1Q_EUlS1P_E_NS1_11comp_targetILNS1_3genE9ELNS1_11target_archE1100ELNS1_3gpuE3ELNS1_3repE0EEENS1_30default_config_static_selectorELNS0_4arch9wavefront6targetE0EEEvS12_.uses_flat_scratch, 0
	.set _ZN7rocprim17ROCPRIM_400000_NS6detail17trampoline_kernelINS0_13select_configILj256ELj13ELNS0_17block_load_methodE3ELS4_3ELS4_3ELNS0_20block_scan_algorithmE0ELj4294967295EEENS1_25partition_config_selectorILNS1_17partition_subalgoE4EjNS0_10empty_typeEbEEZZNS1_14partition_implILS8_4ELb0ES6_15HIP_vector_typeIjLj2EENS0_17counting_iteratorIjlEEPS9_SG_NS0_5tupleIJPjSI_NS0_16reverse_iteratorISI_EEEEENSH_IJSG_SG_SG_EEES9_SI_JZNS1_25segmented_radix_sort_implINS0_14default_configELb0EPKiPiPKlPlN2at6native12_GLOBAL__N_18offset_tEEE10hipError_tPvRmT1_PNSt15iterator_traitsIS12_E10value_typeET2_T3_PNS13_IS18_E10value_typeET4_jRbjT5_S1E_jjP12ihipStream_tbEUljE_ZNSN_ISO_Lb0ESQ_SR_ST_SU_SY_EESZ_S10_S11_S12_S16_S17_S18_S1B_S1C_jS1D_jS1E_S1E_jjS1G_bEUljE0_EEESZ_S10_S11_S18_S1C_S1E_T6_T7_T9_mT8_S1G_bDpT10_ENKUlT_T0_E_clISt17integral_constantIbLb0EES1U_EEDaS1P_S1Q_EUlS1P_E_NS1_11comp_targetILNS1_3genE9ELNS1_11target_archE1100ELNS1_3gpuE3ELNS1_3repE0EEENS1_30default_config_static_selectorELNS0_4arch9wavefront6targetE0EEEvS12_.has_dyn_sized_stack, 0
	.set _ZN7rocprim17ROCPRIM_400000_NS6detail17trampoline_kernelINS0_13select_configILj256ELj13ELNS0_17block_load_methodE3ELS4_3ELS4_3ELNS0_20block_scan_algorithmE0ELj4294967295EEENS1_25partition_config_selectorILNS1_17partition_subalgoE4EjNS0_10empty_typeEbEEZZNS1_14partition_implILS8_4ELb0ES6_15HIP_vector_typeIjLj2EENS0_17counting_iteratorIjlEEPS9_SG_NS0_5tupleIJPjSI_NS0_16reverse_iteratorISI_EEEEENSH_IJSG_SG_SG_EEES9_SI_JZNS1_25segmented_radix_sort_implINS0_14default_configELb0EPKiPiPKlPlN2at6native12_GLOBAL__N_18offset_tEEE10hipError_tPvRmT1_PNSt15iterator_traitsIS12_E10value_typeET2_T3_PNS13_IS18_E10value_typeET4_jRbjT5_S1E_jjP12ihipStream_tbEUljE_ZNSN_ISO_Lb0ESQ_SR_ST_SU_SY_EESZ_S10_S11_S12_S16_S17_S18_S1B_S1C_jS1D_jS1E_S1E_jjS1G_bEUljE0_EEESZ_S10_S11_S18_S1C_S1E_T6_T7_T9_mT8_S1G_bDpT10_ENKUlT_T0_E_clISt17integral_constantIbLb0EES1U_EEDaS1P_S1Q_EUlS1P_E_NS1_11comp_targetILNS1_3genE9ELNS1_11target_archE1100ELNS1_3gpuE3ELNS1_3repE0EEENS1_30default_config_static_selectorELNS0_4arch9wavefront6targetE0EEEvS12_.has_recursion, 0
	.set _ZN7rocprim17ROCPRIM_400000_NS6detail17trampoline_kernelINS0_13select_configILj256ELj13ELNS0_17block_load_methodE3ELS4_3ELS4_3ELNS0_20block_scan_algorithmE0ELj4294967295EEENS1_25partition_config_selectorILNS1_17partition_subalgoE4EjNS0_10empty_typeEbEEZZNS1_14partition_implILS8_4ELb0ES6_15HIP_vector_typeIjLj2EENS0_17counting_iteratorIjlEEPS9_SG_NS0_5tupleIJPjSI_NS0_16reverse_iteratorISI_EEEEENSH_IJSG_SG_SG_EEES9_SI_JZNS1_25segmented_radix_sort_implINS0_14default_configELb0EPKiPiPKlPlN2at6native12_GLOBAL__N_18offset_tEEE10hipError_tPvRmT1_PNSt15iterator_traitsIS12_E10value_typeET2_T3_PNS13_IS18_E10value_typeET4_jRbjT5_S1E_jjP12ihipStream_tbEUljE_ZNSN_ISO_Lb0ESQ_SR_ST_SU_SY_EESZ_S10_S11_S12_S16_S17_S18_S1B_S1C_jS1D_jS1E_S1E_jjS1G_bEUljE0_EEESZ_S10_S11_S18_S1C_S1E_T6_T7_T9_mT8_S1G_bDpT10_ENKUlT_T0_E_clISt17integral_constantIbLb0EES1U_EEDaS1P_S1Q_EUlS1P_E_NS1_11comp_targetILNS1_3genE9ELNS1_11target_archE1100ELNS1_3gpuE3ELNS1_3repE0EEENS1_30default_config_static_selectorELNS0_4arch9wavefront6targetE0EEEvS12_.has_indirect_call, 0
	.section	.AMDGPU.csdata,"",@progbits
; Kernel info:
; codeLenInByte = 0
; TotalNumSgprs: 0
; NumVgprs: 0
; ScratchSize: 0
; MemoryBound: 0
; FloatMode: 240
; IeeeMode: 1
; LDSByteSize: 0 bytes/workgroup (compile time only)
; SGPRBlocks: 0
; VGPRBlocks: 0
; NumSGPRsForWavesPerEU: 1
; NumVGPRsForWavesPerEU: 1
; NamedBarCnt: 0
; Occupancy: 16
; WaveLimiterHint : 0
; COMPUTE_PGM_RSRC2:SCRATCH_EN: 0
; COMPUTE_PGM_RSRC2:USER_SGPR: 2
; COMPUTE_PGM_RSRC2:TRAP_HANDLER: 0
; COMPUTE_PGM_RSRC2:TGID_X_EN: 1
; COMPUTE_PGM_RSRC2:TGID_Y_EN: 0
; COMPUTE_PGM_RSRC2:TGID_Z_EN: 0
; COMPUTE_PGM_RSRC2:TIDIG_COMP_CNT: 0
	.section	.text._ZN7rocprim17ROCPRIM_400000_NS6detail17trampoline_kernelINS0_13select_configILj256ELj13ELNS0_17block_load_methodE3ELS4_3ELS4_3ELNS0_20block_scan_algorithmE0ELj4294967295EEENS1_25partition_config_selectorILNS1_17partition_subalgoE4EjNS0_10empty_typeEbEEZZNS1_14partition_implILS8_4ELb0ES6_15HIP_vector_typeIjLj2EENS0_17counting_iteratorIjlEEPS9_SG_NS0_5tupleIJPjSI_NS0_16reverse_iteratorISI_EEEEENSH_IJSG_SG_SG_EEES9_SI_JZNS1_25segmented_radix_sort_implINS0_14default_configELb0EPKiPiPKlPlN2at6native12_GLOBAL__N_18offset_tEEE10hipError_tPvRmT1_PNSt15iterator_traitsIS12_E10value_typeET2_T3_PNS13_IS18_E10value_typeET4_jRbjT5_S1E_jjP12ihipStream_tbEUljE_ZNSN_ISO_Lb0ESQ_SR_ST_SU_SY_EESZ_S10_S11_S12_S16_S17_S18_S1B_S1C_jS1D_jS1E_S1E_jjS1G_bEUljE0_EEESZ_S10_S11_S18_S1C_S1E_T6_T7_T9_mT8_S1G_bDpT10_ENKUlT_T0_E_clISt17integral_constantIbLb0EES1U_EEDaS1P_S1Q_EUlS1P_E_NS1_11comp_targetILNS1_3genE8ELNS1_11target_archE1030ELNS1_3gpuE2ELNS1_3repE0EEENS1_30default_config_static_selectorELNS0_4arch9wavefront6targetE0EEEvS12_,"axG",@progbits,_ZN7rocprim17ROCPRIM_400000_NS6detail17trampoline_kernelINS0_13select_configILj256ELj13ELNS0_17block_load_methodE3ELS4_3ELS4_3ELNS0_20block_scan_algorithmE0ELj4294967295EEENS1_25partition_config_selectorILNS1_17partition_subalgoE4EjNS0_10empty_typeEbEEZZNS1_14partition_implILS8_4ELb0ES6_15HIP_vector_typeIjLj2EENS0_17counting_iteratorIjlEEPS9_SG_NS0_5tupleIJPjSI_NS0_16reverse_iteratorISI_EEEEENSH_IJSG_SG_SG_EEES9_SI_JZNS1_25segmented_radix_sort_implINS0_14default_configELb0EPKiPiPKlPlN2at6native12_GLOBAL__N_18offset_tEEE10hipError_tPvRmT1_PNSt15iterator_traitsIS12_E10value_typeET2_T3_PNS13_IS18_E10value_typeET4_jRbjT5_S1E_jjP12ihipStream_tbEUljE_ZNSN_ISO_Lb0ESQ_SR_ST_SU_SY_EESZ_S10_S11_S12_S16_S17_S18_S1B_S1C_jS1D_jS1E_S1E_jjS1G_bEUljE0_EEESZ_S10_S11_S18_S1C_S1E_T6_T7_T9_mT8_S1G_bDpT10_ENKUlT_T0_E_clISt17integral_constantIbLb0EES1U_EEDaS1P_S1Q_EUlS1P_E_NS1_11comp_targetILNS1_3genE8ELNS1_11target_archE1030ELNS1_3gpuE2ELNS1_3repE0EEENS1_30default_config_static_selectorELNS0_4arch9wavefront6targetE0EEEvS12_,comdat
	.globl	_ZN7rocprim17ROCPRIM_400000_NS6detail17trampoline_kernelINS0_13select_configILj256ELj13ELNS0_17block_load_methodE3ELS4_3ELS4_3ELNS0_20block_scan_algorithmE0ELj4294967295EEENS1_25partition_config_selectorILNS1_17partition_subalgoE4EjNS0_10empty_typeEbEEZZNS1_14partition_implILS8_4ELb0ES6_15HIP_vector_typeIjLj2EENS0_17counting_iteratorIjlEEPS9_SG_NS0_5tupleIJPjSI_NS0_16reverse_iteratorISI_EEEEENSH_IJSG_SG_SG_EEES9_SI_JZNS1_25segmented_radix_sort_implINS0_14default_configELb0EPKiPiPKlPlN2at6native12_GLOBAL__N_18offset_tEEE10hipError_tPvRmT1_PNSt15iterator_traitsIS12_E10value_typeET2_T3_PNS13_IS18_E10value_typeET4_jRbjT5_S1E_jjP12ihipStream_tbEUljE_ZNSN_ISO_Lb0ESQ_SR_ST_SU_SY_EESZ_S10_S11_S12_S16_S17_S18_S1B_S1C_jS1D_jS1E_S1E_jjS1G_bEUljE0_EEESZ_S10_S11_S18_S1C_S1E_T6_T7_T9_mT8_S1G_bDpT10_ENKUlT_T0_E_clISt17integral_constantIbLb0EES1U_EEDaS1P_S1Q_EUlS1P_E_NS1_11comp_targetILNS1_3genE8ELNS1_11target_archE1030ELNS1_3gpuE2ELNS1_3repE0EEENS1_30default_config_static_selectorELNS0_4arch9wavefront6targetE0EEEvS12_ ; -- Begin function _ZN7rocprim17ROCPRIM_400000_NS6detail17trampoline_kernelINS0_13select_configILj256ELj13ELNS0_17block_load_methodE3ELS4_3ELS4_3ELNS0_20block_scan_algorithmE0ELj4294967295EEENS1_25partition_config_selectorILNS1_17partition_subalgoE4EjNS0_10empty_typeEbEEZZNS1_14partition_implILS8_4ELb0ES6_15HIP_vector_typeIjLj2EENS0_17counting_iteratorIjlEEPS9_SG_NS0_5tupleIJPjSI_NS0_16reverse_iteratorISI_EEEEENSH_IJSG_SG_SG_EEES9_SI_JZNS1_25segmented_radix_sort_implINS0_14default_configELb0EPKiPiPKlPlN2at6native12_GLOBAL__N_18offset_tEEE10hipError_tPvRmT1_PNSt15iterator_traitsIS12_E10value_typeET2_T3_PNS13_IS18_E10value_typeET4_jRbjT5_S1E_jjP12ihipStream_tbEUljE_ZNSN_ISO_Lb0ESQ_SR_ST_SU_SY_EESZ_S10_S11_S12_S16_S17_S18_S1B_S1C_jS1D_jS1E_S1E_jjS1G_bEUljE0_EEESZ_S10_S11_S18_S1C_S1E_T6_T7_T9_mT8_S1G_bDpT10_ENKUlT_T0_E_clISt17integral_constantIbLb0EES1U_EEDaS1P_S1Q_EUlS1P_E_NS1_11comp_targetILNS1_3genE8ELNS1_11target_archE1030ELNS1_3gpuE2ELNS1_3repE0EEENS1_30default_config_static_selectorELNS0_4arch9wavefront6targetE0EEEvS12_
	.p2align	8
	.type	_ZN7rocprim17ROCPRIM_400000_NS6detail17trampoline_kernelINS0_13select_configILj256ELj13ELNS0_17block_load_methodE3ELS4_3ELS4_3ELNS0_20block_scan_algorithmE0ELj4294967295EEENS1_25partition_config_selectorILNS1_17partition_subalgoE4EjNS0_10empty_typeEbEEZZNS1_14partition_implILS8_4ELb0ES6_15HIP_vector_typeIjLj2EENS0_17counting_iteratorIjlEEPS9_SG_NS0_5tupleIJPjSI_NS0_16reverse_iteratorISI_EEEEENSH_IJSG_SG_SG_EEES9_SI_JZNS1_25segmented_radix_sort_implINS0_14default_configELb0EPKiPiPKlPlN2at6native12_GLOBAL__N_18offset_tEEE10hipError_tPvRmT1_PNSt15iterator_traitsIS12_E10value_typeET2_T3_PNS13_IS18_E10value_typeET4_jRbjT5_S1E_jjP12ihipStream_tbEUljE_ZNSN_ISO_Lb0ESQ_SR_ST_SU_SY_EESZ_S10_S11_S12_S16_S17_S18_S1B_S1C_jS1D_jS1E_S1E_jjS1G_bEUljE0_EEESZ_S10_S11_S18_S1C_S1E_T6_T7_T9_mT8_S1G_bDpT10_ENKUlT_T0_E_clISt17integral_constantIbLb0EES1U_EEDaS1P_S1Q_EUlS1P_E_NS1_11comp_targetILNS1_3genE8ELNS1_11target_archE1030ELNS1_3gpuE2ELNS1_3repE0EEENS1_30default_config_static_selectorELNS0_4arch9wavefront6targetE0EEEvS12_,@function
_ZN7rocprim17ROCPRIM_400000_NS6detail17trampoline_kernelINS0_13select_configILj256ELj13ELNS0_17block_load_methodE3ELS4_3ELS4_3ELNS0_20block_scan_algorithmE0ELj4294967295EEENS1_25partition_config_selectorILNS1_17partition_subalgoE4EjNS0_10empty_typeEbEEZZNS1_14partition_implILS8_4ELb0ES6_15HIP_vector_typeIjLj2EENS0_17counting_iteratorIjlEEPS9_SG_NS0_5tupleIJPjSI_NS0_16reverse_iteratorISI_EEEEENSH_IJSG_SG_SG_EEES9_SI_JZNS1_25segmented_radix_sort_implINS0_14default_configELb0EPKiPiPKlPlN2at6native12_GLOBAL__N_18offset_tEEE10hipError_tPvRmT1_PNSt15iterator_traitsIS12_E10value_typeET2_T3_PNS13_IS18_E10value_typeET4_jRbjT5_S1E_jjP12ihipStream_tbEUljE_ZNSN_ISO_Lb0ESQ_SR_ST_SU_SY_EESZ_S10_S11_S12_S16_S17_S18_S1B_S1C_jS1D_jS1E_S1E_jjS1G_bEUljE0_EEESZ_S10_S11_S18_S1C_S1E_T6_T7_T9_mT8_S1G_bDpT10_ENKUlT_T0_E_clISt17integral_constantIbLb0EES1U_EEDaS1P_S1Q_EUlS1P_E_NS1_11comp_targetILNS1_3genE8ELNS1_11target_archE1030ELNS1_3gpuE2ELNS1_3repE0EEENS1_30default_config_static_selectorELNS0_4arch9wavefront6targetE0EEEvS12_: ; @_ZN7rocprim17ROCPRIM_400000_NS6detail17trampoline_kernelINS0_13select_configILj256ELj13ELNS0_17block_load_methodE3ELS4_3ELS4_3ELNS0_20block_scan_algorithmE0ELj4294967295EEENS1_25partition_config_selectorILNS1_17partition_subalgoE4EjNS0_10empty_typeEbEEZZNS1_14partition_implILS8_4ELb0ES6_15HIP_vector_typeIjLj2EENS0_17counting_iteratorIjlEEPS9_SG_NS0_5tupleIJPjSI_NS0_16reverse_iteratorISI_EEEEENSH_IJSG_SG_SG_EEES9_SI_JZNS1_25segmented_radix_sort_implINS0_14default_configELb0EPKiPiPKlPlN2at6native12_GLOBAL__N_18offset_tEEE10hipError_tPvRmT1_PNSt15iterator_traitsIS12_E10value_typeET2_T3_PNS13_IS18_E10value_typeET4_jRbjT5_S1E_jjP12ihipStream_tbEUljE_ZNSN_ISO_Lb0ESQ_SR_ST_SU_SY_EESZ_S10_S11_S12_S16_S17_S18_S1B_S1C_jS1D_jS1E_S1E_jjS1G_bEUljE0_EEESZ_S10_S11_S18_S1C_S1E_T6_T7_T9_mT8_S1G_bDpT10_ENKUlT_T0_E_clISt17integral_constantIbLb0EES1U_EEDaS1P_S1Q_EUlS1P_E_NS1_11comp_targetILNS1_3genE8ELNS1_11target_archE1030ELNS1_3gpuE2ELNS1_3repE0EEENS1_30default_config_static_selectorELNS0_4arch9wavefront6targetE0EEEvS12_
; %bb.0:
	.section	.rodata,"a",@progbits
	.p2align	6, 0x0
	.amdhsa_kernel _ZN7rocprim17ROCPRIM_400000_NS6detail17trampoline_kernelINS0_13select_configILj256ELj13ELNS0_17block_load_methodE3ELS4_3ELS4_3ELNS0_20block_scan_algorithmE0ELj4294967295EEENS1_25partition_config_selectorILNS1_17partition_subalgoE4EjNS0_10empty_typeEbEEZZNS1_14partition_implILS8_4ELb0ES6_15HIP_vector_typeIjLj2EENS0_17counting_iteratorIjlEEPS9_SG_NS0_5tupleIJPjSI_NS0_16reverse_iteratorISI_EEEEENSH_IJSG_SG_SG_EEES9_SI_JZNS1_25segmented_radix_sort_implINS0_14default_configELb0EPKiPiPKlPlN2at6native12_GLOBAL__N_18offset_tEEE10hipError_tPvRmT1_PNSt15iterator_traitsIS12_E10value_typeET2_T3_PNS13_IS18_E10value_typeET4_jRbjT5_S1E_jjP12ihipStream_tbEUljE_ZNSN_ISO_Lb0ESQ_SR_ST_SU_SY_EESZ_S10_S11_S12_S16_S17_S18_S1B_S1C_jS1D_jS1E_S1E_jjS1G_bEUljE0_EEESZ_S10_S11_S18_S1C_S1E_T6_T7_T9_mT8_S1G_bDpT10_ENKUlT_T0_E_clISt17integral_constantIbLb0EES1U_EEDaS1P_S1Q_EUlS1P_E_NS1_11comp_targetILNS1_3genE8ELNS1_11target_archE1030ELNS1_3gpuE2ELNS1_3repE0EEENS1_30default_config_static_selectorELNS0_4arch9wavefront6targetE0EEEvS12_
		.amdhsa_group_segment_fixed_size 0
		.amdhsa_private_segment_fixed_size 0
		.amdhsa_kernarg_size 176
		.amdhsa_user_sgpr_count 2
		.amdhsa_user_sgpr_dispatch_ptr 0
		.amdhsa_user_sgpr_queue_ptr 0
		.amdhsa_user_sgpr_kernarg_segment_ptr 1
		.amdhsa_user_sgpr_dispatch_id 0
		.amdhsa_user_sgpr_kernarg_preload_length 0
		.amdhsa_user_sgpr_kernarg_preload_offset 0
		.amdhsa_user_sgpr_private_segment_size 0
		.amdhsa_wavefront_size32 1
		.amdhsa_uses_dynamic_stack 0
		.amdhsa_enable_private_segment 0
		.amdhsa_system_sgpr_workgroup_id_x 1
		.amdhsa_system_sgpr_workgroup_id_y 0
		.amdhsa_system_sgpr_workgroup_id_z 0
		.amdhsa_system_sgpr_workgroup_info 0
		.amdhsa_system_vgpr_workitem_id 0
		.amdhsa_next_free_vgpr 1
		.amdhsa_next_free_sgpr 1
		.amdhsa_named_barrier_count 0
		.amdhsa_reserve_vcc 0
		.amdhsa_float_round_mode_32 0
		.amdhsa_float_round_mode_16_64 0
		.amdhsa_float_denorm_mode_32 3
		.amdhsa_float_denorm_mode_16_64 3
		.amdhsa_fp16_overflow 0
		.amdhsa_memory_ordered 1
		.amdhsa_forward_progress 1
		.amdhsa_inst_pref_size 0
		.amdhsa_round_robin_scheduling 0
		.amdhsa_exception_fp_ieee_invalid_op 0
		.amdhsa_exception_fp_denorm_src 0
		.amdhsa_exception_fp_ieee_div_zero 0
		.amdhsa_exception_fp_ieee_overflow 0
		.amdhsa_exception_fp_ieee_underflow 0
		.amdhsa_exception_fp_ieee_inexact 0
		.amdhsa_exception_int_div_zero 0
	.end_amdhsa_kernel
	.section	.text._ZN7rocprim17ROCPRIM_400000_NS6detail17trampoline_kernelINS0_13select_configILj256ELj13ELNS0_17block_load_methodE3ELS4_3ELS4_3ELNS0_20block_scan_algorithmE0ELj4294967295EEENS1_25partition_config_selectorILNS1_17partition_subalgoE4EjNS0_10empty_typeEbEEZZNS1_14partition_implILS8_4ELb0ES6_15HIP_vector_typeIjLj2EENS0_17counting_iteratorIjlEEPS9_SG_NS0_5tupleIJPjSI_NS0_16reverse_iteratorISI_EEEEENSH_IJSG_SG_SG_EEES9_SI_JZNS1_25segmented_radix_sort_implINS0_14default_configELb0EPKiPiPKlPlN2at6native12_GLOBAL__N_18offset_tEEE10hipError_tPvRmT1_PNSt15iterator_traitsIS12_E10value_typeET2_T3_PNS13_IS18_E10value_typeET4_jRbjT5_S1E_jjP12ihipStream_tbEUljE_ZNSN_ISO_Lb0ESQ_SR_ST_SU_SY_EESZ_S10_S11_S12_S16_S17_S18_S1B_S1C_jS1D_jS1E_S1E_jjS1G_bEUljE0_EEESZ_S10_S11_S18_S1C_S1E_T6_T7_T9_mT8_S1G_bDpT10_ENKUlT_T0_E_clISt17integral_constantIbLb0EES1U_EEDaS1P_S1Q_EUlS1P_E_NS1_11comp_targetILNS1_3genE8ELNS1_11target_archE1030ELNS1_3gpuE2ELNS1_3repE0EEENS1_30default_config_static_selectorELNS0_4arch9wavefront6targetE0EEEvS12_,"axG",@progbits,_ZN7rocprim17ROCPRIM_400000_NS6detail17trampoline_kernelINS0_13select_configILj256ELj13ELNS0_17block_load_methodE3ELS4_3ELS4_3ELNS0_20block_scan_algorithmE0ELj4294967295EEENS1_25partition_config_selectorILNS1_17partition_subalgoE4EjNS0_10empty_typeEbEEZZNS1_14partition_implILS8_4ELb0ES6_15HIP_vector_typeIjLj2EENS0_17counting_iteratorIjlEEPS9_SG_NS0_5tupleIJPjSI_NS0_16reverse_iteratorISI_EEEEENSH_IJSG_SG_SG_EEES9_SI_JZNS1_25segmented_radix_sort_implINS0_14default_configELb0EPKiPiPKlPlN2at6native12_GLOBAL__N_18offset_tEEE10hipError_tPvRmT1_PNSt15iterator_traitsIS12_E10value_typeET2_T3_PNS13_IS18_E10value_typeET4_jRbjT5_S1E_jjP12ihipStream_tbEUljE_ZNSN_ISO_Lb0ESQ_SR_ST_SU_SY_EESZ_S10_S11_S12_S16_S17_S18_S1B_S1C_jS1D_jS1E_S1E_jjS1G_bEUljE0_EEESZ_S10_S11_S18_S1C_S1E_T6_T7_T9_mT8_S1G_bDpT10_ENKUlT_T0_E_clISt17integral_constantIbLb0EES1U_EEDaS1P_S1Q_EUlS1P_E_NS1_11comp_targetILNS1_3genE8ELNS1_11target_archE1030ELNS1_3gpuE2ELNS1_3repE0EEENS1_30default_config_static_selectorELNS0_4arch9wavefront6targetE0EEEvS12_,comdat
.Lfunc_end539:
	.size	_ZN7rocprim17ROCPRIM_400000_NS6detail17trampoline_kernelINS0_13select_configILj256ELj13ELNS0_17block_load_methodE3ELS4_3ELS4_3ELNS0_20block_scan_algorithmE0ELj4294967295EEENS1_25partition_config_selectorILNS1_17partition_subalgoE4EjNS0_10empty_typeEbEEZZNS1_14partition_implILS8_4ELb0ES6_15HIP_vector_typeIjLj2EENS0_17counting_iteratorIjlEEPS9_SG_NS0_5tupleIJPjSI_NS0_16reverse_iteratorISI_EEEEENSH_IJSG_SG_SG_EEES9_SI_JZNS1_25segmented_radix_sort_implINS0_14default_configELb0EPKiPiPKlPlN2at6native12_GLOBAL__N_18offset_tEEE10hipError_tPvRmT1_PNSt15iterator_traitsIS12_E10value_typeET2_T3_PNS13_IS18_E10value_typeET4_jRbjT5_S1E_jjP12ihipStream_tbEUljE_ZNSN_ISO_Lb0ESQ_SR_ST_SU_SY_EESZ_S10_S11_S12_S16_S17_S18_S1B_S1C_jS1D_jS1E_S1E_jjS1G_bEUljE0_EEESZ_S10_S11_S18_S1C_S1E_T6_T7_T9_mT8_S1G_bDpT10_ENKUlT_T0_E_clISt17integral_constantIbLb0EES1U_EEDaS1P_S1Q_EUlS1P_E_NS1_11comp_targetILNS1_3genE8ELNS1_11target_archE1030ELNS1_3gpuE2ELNS1_3repE0EEENS1_30default_config_static_selectorELNS0_4arch9wavefront6targetE0EEEvS12_, .Lfunc_end539-_ZN7rocprim17ROCPRIM_400000_NS6detail17trampoline_kernelINS0_13select_configILj256ELj13ELNS0_17block_load_methodE3ELS4_3ELS4_3ELNS0_20block_scan_algorithmE0ELj4294967295EEENS1_25partition_config_selectorILNS1_17partition_subalgoE4EjNS0_10empty_typeEbEEZZNS1_14partition_implILS8_4ELb0ES6_15HIP_vector_typeIjLj2EENS0_17counting_iteratorIjlEEPS9_SG_NS0_5tupleIJPjSI_NS0_16reverse_iteratorISI_EEEEENSH_IJSG_SG_SG_EEES9_SI_JZNS1_25segmented_radix_sort_implINS0_14default_configELb0EPKiPiPKlPlN2at6native12_GLOBAL__N_18offset_tEEE10hipError_tPvRmT1_PNSt15iterator_traitsIS12_E10value_typeET2_T3_PNS13_IS18_E10value_typeET4_jRbjT5_S1E_jjP12ihipStream_tbEUljE_ZNSN_ISO_Lb0ESQ_SR_ST_SU_SY_EESZ_S10_S11_S12_S16_S17_S18_S1B_S1C_jS1D_jS1E_S1E_jjS1G_bEUljE0_EEESZ_S10_S11_S18_S1C_S1E_T6_T7_T9_mT8_S1G_bDpT10_ENKUlT_T0_E_clISt17integral_constantIbLb0EES1U_EEDaS1P_S1Q_EUlS1P_E_NS1_11comp_targetILNS1_3genE8ELNS1_11target_archE1030ELNS1_3gpuE2ELNS1_3repE0EEENS1_30default_config_static_selectorELNS0_4arch9wavefront6targetE0EEEvS12_
                                        ; -- End function
	.set _ZN7rocprim17ROCPRIM_400000_NS6detail17trampoline_kernelINS0_13select_configILj256ELj13ELNS0_17block_load_methodE3ELS4_3ELS4_3ELNS0_20block_scan_algorithmE0ELj4294967295EEENS1_25partition_config_selectorILNS1_17partition_subalgoE4EjNS0_10empty_typeEbEEZZNS1_14partition_implILS8_4ELb0ES6_15HIP_vector_typeIjLj2EENS0_17counting_iteratorIjlEEPS9_SG_NS0_5tupleIJPjSI_NS0_16reverse_iteratorISI_EEEEENSH_IJSG_SG_SG_EEES9_SI_JZNS1_25segmented_radix_sort_implINS0_14default_configELb0EPKiPiPKlPlN2at6native12_GLOBAL__N_18offset_tEEE10hipError_tPvRmT1_PNSt15iterator_traitsIS12_E10value_typeET2_T3_PNS13_IS18_E10value_typeET4_jRbjT5_S1E_jjP12ihipStream_tbEUljE_ZNSN_ISO_Lb0ESQ_SR_ST_SU_SY_EESZ_S10_S11_S12_S16_S17_S18_S1B_S1C_jS1D_jS1E_S1E_jjS1G_bEUljE0_EEESZ_S10_S11_S18_S1C_S1E_T6_T7_T9_mT8_S1G_bDpT10_ENKUlT_T0_E_clISt17integral_constantIbLb0EES1U_EEDaS1P_S1Q_EUlS1P_E_NS1_11comp_targetILNS1_3genE8ELNS1_11target_archE1030ELNS1_3gpuE2ELNS1_3repE0EEENS1_30default_config_static_selectorELNS0_4arch9wavefront6targetE0EEEvS12_.num_vgpr, 0
	.set _ZN7rocprim17ROCPRIM_400000_NS6detail17trampoline_kernelINS0_13select_configILj256ELj13ELNS0_17block_load_methodE3ELS4_3ELS4_3ELNS0_20block_scan_algorithmE0ELj4294967295EEENS1_25partition_config_selectorILNS1_17partition_subalgoE4EjNS0_10empty_typeEbEEZZNS1_14partition_implILS8_4ELb0ES6_15HIP_vector_typeIjLj2EENS0_17counting_iteratorIjlEEPS9_SG_NS0_5tupleIJPjSI_NS0_16reverse_iteratorISI_EEEEENSH_IJSG_SG_SG_EEES9_SI_JZNS1_25segmented_radix_sort_implINS0_14default_configELb0EPKiPiPKlPlN2at6native12_GLOBAL__N_18offset_tEEE10hipError_tPvRmT1_PNSt15iterator_traitsIS12_E10value_typeET2_T3_PNS13_IS18_E10value_typeET4_jRbjT5_S1E_jjP12ihipStream_tbEUljE_ZNSN_ISO_Lb0ESQ_SR_ST_SU_SY_EESZ_S10_S11_S12_S16_S17_S18_S1B_S1C_jS1D_jS1E_S1E_jjS1G_bEUljE0_EEESZ_S10_S11_S18_S1C_S1E_T6_T7_T9_mT8_S1G_bDpT10_ENKUlT_T0_E_clISt17integral_constantIbLb0EES1U_EEDaS1P_S1Q_EUlS1P_E_NS1_11comp_targetILNS1_3genE8ELNS1_11target_archE1030ELNS1_3gpuE2ELNS1_3repE0EEENS1_30default_config_static_selectorELNS0_4arch9wavefront6targetE0EEEvS12_.num_agpr, 0
	.set _ZN7rocprim17ROCPRIM_400000_NS6detail17trampoline_kernelINS0_13select_configILj256ELj13ELNS0_17block_load_methodE3ELS4_3ELS4_3ELNS0_20block_scan_algorithmE0ELj4294967295EEENS1_25partition_config_selectorILNS1_17partition_subalgoE4EjNS0_10empty_typeEbEEZZNS1_14partition_implILS8_4ELb0ES6_15HIP_vector_typeIjLj2EENS0_17counting_iteratorIjlEEPS9_SG_NS0_5tupleIJPjSI_NS0_16reverse_iteratorISI_EEEEENSH_IJSG_SG_SG_EEES9_SI_JZNS1_25segmented_radix_sort_implINS0_14default_configELb0EPKiPiPKlPlN2at6native12_GLOBAL__N_18offset_tEEE10hipError_tPvRmT1_PNSt15iterator_traitsIS12_E10value_typeET2_T3_PNS13_IS18_E10value_typeET4_jRbjT5_S1E_jjP12ihipStream_tbEUljE_ZNSN_ISO_Lb0ESQ_SR_ST_SU_SY_EESZ_S10_S11_S12_S16_S17_S18_S1B_S1C_jS1D_jS1E_S1E_jjS1G_bEUljE0_EEESZ_S10_S11_S18_S1C_S1E_T6_T7_T9_mT8_S1G_bDpT10_ENKUlT_T0_E_clISt17integral_constantIbLb0EES1U_EEDaS1P_S1Q_EUlS1P_E_NS1_11comp_targetILNS1_3genE8ELNS1_11target_archE1030ELNS1_3gpuE2ELNS1_3repE0EEENS1_30default_config_static_selectorELNS0_4arch9wavefront6targetE0EEEvS12_.numbered_sgpr, 0
	.set _ZN7rocprim17ROCPRIM_400000_NS6detail17trampoline_kernelINS0_13select_configILj256ELj13ELNS0_17block_load_methodE3ELS4_3ELS4_3ELNS0_20block_scan_algorithmE0ELj4294967295EEENS1_25partition_config_selectorILNS1_17partition_subalgoE4EjNS0_10empty_typeEbEEZZNS1_14partition_implILS8_4ELb0ES6_15HIP_vector_typeIjLj2EENS0_17counting_iteratorIjlEEPS9_SG_NS0_5tupleIJPjSI_NS0_16reverse_iteratorISI_EEEEENSH_IJSG_SG_SG_EEES9_SI_JZNS1_25segmented_radix_sort_implINS0_14default_configELb0EPKiPiPKlPlN2at6native12_GLOBAL__N_18offset_tEEE10hipError_tPvRmT1_PNSt15iterator_traitsIS12_E10value_typeET2_T3_PNS13_IS18_E10value_typeET4_jRbjT5_S1E_jjP12ihipStream_tbEUljE_ZNSN_ISO_Lb0ESQ_SR_ST_SU_SY_EESZ_S10_S11_S12_S16_S17_S18_S1B_S1C_jS1D_jS1E_S1E_jjS1G_bEUljE0_EEESZ_S10_S11_S18_S1C_S1E_T6_T7_T9_mT8_S1G_bDpT10_ENKUlT_T0_E_clISt17integral_constantIbLb0EES1U_EEDaS1P_S1Q_EUlS1P_E_NS1_11comp_targetILNS1_3genE8ELNS1_11target_archE1030ELNS1_3gpuE2ELNS1_3repE0EEENS1_30default_config_static_selectorELNS0_4arch9wavefront6targetE0EEEvS12_.num_named_barrier, 0
	.set _ZN7rocprim17ROCPRIM_400000_NS6detail17trampoline_kernelINS0_13select_configILj256ELj13ELNS0_17block_load_methodE3ELS4_3ELS4_3ELNS0_20block_scan_algorithmE0ELj4294967295EEENS1_25partition_config_selectorILNS1_17partition_subalgoE4EjNS0_10empty_typeEbEEZZNS1_14partition_implILS8_4ELb0ES6_15HIP_vector_typeIjLj2EENS0_17counting_iteratorIjlEEPS9_SG_NS0_5tupleIJPjSI_NS0_16reverse_iteratorISI_EEEEENSH_IJSG_SG_SG_EEES9_SI_JZNS1_25segmented_radix_sort_implINS0_14default_configELb0EPKiPiPKlPlN2at6native12_GLOBAL__N_18offset_tEEE10hipError_tPvRmT1_PNSt15iterator_traitsIS12_E10value_typeET2_T3_PNS13_IS18_E10value_typeET4_jRbjT5_S1E_jjP12ihipStream_tbEUljE_ZNSN_ISO_Lb0ESQ_SR_ST_SU_SY_EESZ_S10_S11_S12_S16_S17_S18_S1B_S1C_jS1D_jS1E_S1E_jjS1G_bEUljE0_EEESZ_S10_S11_S18_S1C_S1E_T6_T7_T9_mT8_S1G_bDpT10_ENKUlT_T0_E_clISt17integral_constantIbLb0EES1U_EEDaS1P_S1Q_EUlS1P_E_NS1_11comp_targetILNS1_3genE8ELNS1_11target_archE1030ELNS1_3gpuE2ELNS1_3repE0EEENS1_30default_config_static_selectorELNS0_4arch9wavefront6targetE0EEEvS12_.private_seg_size, 0
	.set _ZN7rocprim17ROCPRIM_400000_NS6detail17trampoline_kernelINS0_13select_configILj256ELj13ELNS0_17block_load_methodE3ELS4_3ELS4_3ELNS0_20block_scan_algorithmE0ELj4294967295EEENS1_25partition_config_selectorILNS1_17partition_subalgoE4EjNS0_10empty_typeEbEEZZNS1_14partition_implILS8_4ELb0ES6_15HIP_vector_typeIjLj2EENS0_17counting_iteratorIjlEEPS9_SG_NS0_5tupleIJPjSI_NS0_16reverse_iteratorISI_EEEEENSH_IJSG_SG_SG_EEES9_SI_JZNS1_25segmented_radix_sort_implINS0_14default_configELb0EPKiPiPKlPlN2at6native12_GLOBAL__N_18offset_tEEE10hipError_tPvRmT1_PNSt15iterator_traitsIS12_E10value_typeET2_T3_PNS13_IS18_E10value_typeET4_jRbjT5_S1E_jjP12ihipStream_tbEUljE_ZNSN_ISO_Lb0ESQ_SR_ST_SU_SY_EESZ_S10_S11_S12_S16_S17_S18_S1B_S1C_jS1D_jS1E_S1E_jjS1G_bEUljE0_EEESZ_S10_S11_S18_S1C_S1E_T6_T7_T9_mT8_S1G_bDpT10_ENKUlT_T0_E_clISt17integral_constantIbLb0EES1U_EEDaS1P_S1Q_EUlS1P_E_NS1_11comp_targetILNS1_3genE8ELNS1_11target_archE1030ELNS1_3gpuE2ELNS1_3repE0EEENS1_30default_config_static_selectorELNS0_4arch9wavefront6targetE0EEEvS12_.uses_vcc, 0
	.set _ZN7rocprim17ROCPRIM_400000_NS6detail17trampoline_kernelINS0_13select_configILj256ELj13ELNS0_17block_load_methodE3ELS4_3ELS4_3ELNS0_20block_scan_algorithmE0ELj4294967295EEENS1_25partition_config_selectorILNS1_17partition_subalgoE4EjNS0_10empty_typeEbEEZZNS1_14partition_implILS8_4ELb0ES6_15HIP_vector_typeIjLj2EENS0_17counting_iteratorIjlEEPS9_SG_NS0_5tupleIJPjSI_NS0_16reverse_iteratorISI_EEEEENSH_IJSG_SG_SG_EEES9_SI_JZNS1_25segmented_radix_sort_implINS0_14default_configELb0EPKiPiPKlPlN2at6native12_GLOBAL__N_18offset_tEEE10hipError_tPvRmT1_PNSt15iterator_traitsIS12_E10value_typeET2_T3_PNS13_IS18_E10value_typeET4_jRbjT5_S1E_jjP12ihipStream_tbEUljE_ZNSN_ISO_Lb0ESQ_SR_ST_SU_SY_EESZ_S10_S11_S12_S16_S17_S18_S1B_S1C_jS1D_jS1E_S1E_jjS1G_bEUljE0_EEESZ_S10_S11_S18_S1C_S1E_T6_T7_T9_mT8_S1G_bDpT10_ENKUlT_T0_E_clISt17integral_constantIbLb0EES1U_EEDaS1P_S1Q_EUlS1P_E_NS1_11comp_targetILNS1_3genE8ELNS1_11target_archE1030ELNS1_3gpuE2ELNS1_3repE0EEENS1_30default_config_static_selectorELNS0_4arch9wavefront6targetE0EEEvS12_.uses_flat_scratch, 0
	.set _ZN7rocprim17ROCPRIM_400000_NS6detail17trampoline_kernelINS0_13select_configILj256ELj13ELNS0_17block_load_methodE3ELS4_3ELS4_3ELNS0_20block_scan_algorithmE0ELj4294967295EEENS1_25partition_config_selectorILNS1_17partition_subalgoE4EjNS0_10empty_typeEbEEZZNS1_14partition_implILS8_4ELb0ES6_15HIP_vector_typeIjLj2EENS0_17counting_iteratorIjlEEPS9_SG_NS0_5tupleIJPjSI_NS0_16reverse_iteratorISI_EEEEENSH_IJSG_SG_SG_EEES9_SI_JZNS1_25segmented_radix_sort_implINS0_14default_configELb0EPKiPiPKlPlN2at6native12_GLOBAL__N_18offset_tEEE10hipError_tPvRmT1_PNSt15iterator_traitsIS12_E10value_typeET2_T3_PNS13_IS18_E10value_typeET4_jRbjT5_S1E_jjP12ihipStream_tbEUljE_ZNSN_ISO_Lb0ESQ_SR_ST_SU_SY_EESZ_S10_S11_S12_S16_S17_S18_S1B_S1C_jS1D_jS1E_S1E_jjS1G_bEUljE0_EEESZ_S10_S11_S18_S1C_S1E_T6_T7_T9_mT8_S1G_bDpT10_ENKUlT_T0_E_clISt17integral_constantIbLb0EES1U_EEDaS1P_S1Q_EUlS1P_E_NS1_11comp_targetILNS1_3genE8ELNS1_11target_archE1030ELNS1_3gpuE2ELNS1_3repE0EEENS1_30default_config_static_selectorELNS0_4arch9wavefront6targetE0EEEvS12_.has_dyn_sized_stack, 0
	.set _ZN7rocprim17ROCPRIM_400000_NS6detail17trampoline_kernelINS0_13select_configILj256ELj13ELNS0_17block_load_methodE3ELS4_3ELS4_3ELNS0_20block_scan_algorithmE0ELj4294967295EEENS1_25partition_config_selectorILNS1_17partition_subalgoE4EjNS0_10empty_typeEbEEZZNS1_14partition_implILS8_4ELb0ES6_15HIP_vector_typeIjLj2EENS0_17counting_iteratorIjlEEPS9_SG_NS0_5tupleIJPjSI_NS0_16reverse_iteratorISI_EEEEENSH_IJSG_SG_SG_EEES9_SI_JZNS1_25segmented_radix_sort_implINS0_14default_configELb0EPKiPiPKlPlN2at6native12_GLOBAL__N_18offset_tEEE10hipError_tPvRmT1_PNSt15iterator_traitsIS12_E10value_typeET2_T3_PNS13_IS18_E10value_typeET4_jRbjT5_S1E_jjP12ihipStream_tbEUljE_ZNSN_ISO_Lb0ESQ_SR_ST_SU_SY_EESZ_S10_S11_S12_S16_S17_S18_S1B_S1C_jS1D_jS1E_S1E_jjS1G_bEUljE0_EEESZ_S10_S11_S18_S1C_S1E_T6_T7_T9_mT8_S1G_bDpT10_ENKUlT_T0_E_clISt17integral_constantIbLb0EES1U_EEDaS1P_S1Q_EUlS1P_E_NS1_11comp_targetILNS1_3genE8ELNS1_11target_archE1030ELNS1_3gpuE2ELNS1_3repE0EEENS1_30default_config_static_selectorELNS0_4arch9wavefront6targetE0EEEvS12_.has_recursion, 0
	.set _ZN7rocprim17ROCPRIM_400000_NS6detail17trampoline_kernelINS0_13select_configILj256ELj13ELNS0_17block_load_methodE3ELS4_3ELS4_3ELNS0_20block_scan_algorithmE0ELj4294967295EEENS1_25partition_config_selectorILNS1_17partition_subalgoE4EjNS0_10empty_typeEbEEZZNS1_14partition_implILS8_4ELb0ES6_15HIP_vector_typeIjLj2EENS0_17counting_iteratorIjlEEPS9_SG_NS0_5tupleIJPjSI_NS0_16reverse_iteratorISI_EEEEENSH_IJSG_SG_SG_EEES9_SI_JZNS1_25segmented_radix_sort_implINS0_14default_configELb0EPKiPiPKlPlN2at6native12_GLOBAL__N_18offset_tEEE10hipError_tPvRmT1_PNSt15iterator_traitsIS12_E10value_typeET2_T3_PNS13_IS18_E10value_typeET4_jRbjT5_S1E_jjP12ihipStream_tbEUljE_ZNSN_ISO_Lb0ESQ_SR_ST_SU_SY_EESZ_S10_S11_S12_S16_S17_S18_S1B_S1C_jS1D_jS1E_S1E_jjS1G_bEUljE0_EEESZ_S10_S11_S18_S1C_S1E_T6_T7_T9_mT8_S1G_bDpT10_ENKUlT_T0_E_clISt17integral_constantIbLb0EES1U_EEDaS1P_S1Q_EUlS1P_E_NS1_11comp_targetILNS1_3genE8ELNS1_11target_archE1030ELNS1_3gpuE2ELNS1_3repE0EEENS1_30default_config_static_selectorELNS0_4arch9wavefront6targetE0EEEvS12_.has_indirect_call, 0
	.section	.AMDGPU.csdata,"",@progbits
; Kernel info:
; codeLenInByte = 0
; TotalNumSgprs: 0
; NumVgprs: 0
; ScratchSize: 0
; MemoryBound: 0
; FloatMode: 240
; IeeeMode: 1
; LDSByteSize: 0 bytes/workgroup (compile time only)
; SGPRBlocks: 0
; VGPRBlocks: 0
; NumSGPRsForWavesPerEU: 1
; NumVGPRsForWavesPerEU: 1
; NamedBarCnt: 0
; Occupancy: 16
; WaveLimiterHint : 0
; COMPUTE_PGM_RSRC2:SCRATCH_EN: 0
; COMPUTE_PGM_RSRC2:USER_SGPR: 2
; COMPUTE_PGM_RSRC2:TRAP_HANDLER: 0
; COMPUTE_PGM_RSRC2:TGID_X_EN: 1
; COMPUTE_PGM_RSRC2:TGID_Y_EN: 0
; COMPUTE_PGM_RSRC2:TGID_Z_EN: 0
; COMPUTE_PGM_RSRC2:TIDIG_COMP_CNT: 0
	.section	.text._ZN7rocprim17ROCPRIM_400000_NS6detail17trampoline_kernelINS0_13select_configILj256ELj13ELNS0_17block_load_methodE3ELS4_3ELS4_3ELNS0_20block_scan_algorithmE0ELj4294967295EEENS1_25partition_config_selectorILNS1_17partition_subalgoE4EjNS0_10empty_typeEbEEZZNS1_14partition_implILS8_4ELb0ES6_15HIP_vector_typeIjLj2EENS0_17counting_iteratorIjlEEPS9_SG_NS0_5tupleIJPjSI_NS0_16reverse_iteratorISI_EEEEENSH_IJSG_SG_SG_EEES9_SI_JZNS1_25segmented_radix_sort_implINS0_14default_configELb0EPKiPiPKlPlN2at6native12_GLOBAL__N_18offset_tEEE10hipError_tPvRmT1_PNSt15iterator_traitsIS12_E10value_typeET2_T3_PNS13_IS18_E10value_typeET4_jRbjT5_S1E_jjP12ihipStream_tbEUljE_ZNSN_ISO_Lb0ESQ_SR_ST_SU_SY_EESZ_S10_S11_S12_S16_S17_S18_S1B_S1C_jS1D_jS1E_S1E_jjS1G_bEUljE0_EEESZ_S10_S11_S18_S1C_S1E_T6_T7_T9_mT8_S1G_bDpT10_ENKUlT_T0_E_clISt17integral_constantIbLb1EES1U_EEDaS1P_S1Q_EUlS1P_E_NS1_11comp_targetILNS1_3genE0ELNS1_11target_archE4294967295ELNS1_3gpuE0ELNS1_3repE0EEENS1_30default_config_static_selectorELNS0_4arch9wavefront6targetE0EEEvS12_,"axG",@progbits,_ZN7rocprim17ROCPRIM_400000_NS6detail17trampoline_kernelINS0_13select_configILj256ELj13ELNS0_17block_load_methodE3ELS4_3ELS4_3ELNS0_20block_scan_algorithmE0ELj4294967295EEENS1_25partition_config_selectorILNS1_17partition_subalgoE4EjNS0_10empty_typeEbEEZZNS1_14partition_implILS8_4ELb0ES6_15HIP_vector_typeIjLj2EENS0_17counting_iteratorIjlEEPS9_SG_NS0_5tupleIJPjSI_NS0_16reverse_iteratorISI_EEEEENSH_IJSG_SG_SG_EEES9_SI_JZNS1_25segmented_radix_sort_implINS0_14default_configELb0EPKiPiPKlPlN2at6native12_GLOBAL__N_18offset_tEEE10hipError_tPvRmT1_PNSt15iterator_traitsIS12_E10value_typeET2_T3_PNS13_IS18_E10value_typeET4_jRbjT5_S1E_jjP12ihipStream_tbEUljE_ZNSN_ISO_Lb0ESQ_SR_ST_SU_SY_EESZ_S10_S11_S12_S16_S17_S18_S1B_S1C_jS1D_jS1E_S1E_jjS1G_bEUljE0_EEESZ_S10_S11_S18_S1C_S1E_T6_T7_T9_mT8_S1G_bDpT10_ENKUlT_T0_E_clISt17integral_constantIbLb1EES1U_EEDaS1P_S1Q_EUlS1P_E_NS1_11comp_targetILNS1_3genE0ELNS1_11target_archE4294967295ELNS1_3gpuE0ELNS1_3repE0EEENS1_30default_config_static_selectorELNS0_4arch9wavefront6targetE0EEEvS12_,comdat
	.globl	_ZN7rocprim17ROCPRIM_400000_NS6detail17trampoline_kernelINS0_13select_configILj256ELj13ELNS0_17block_load_methodE3ELS4_3ELS4_3ELNS0_20block_scan_algorithmE0ELj4294967295EEENS1_25partition_config_selectorILNS1_17partition_subalgoE4EjNS0_10empty_typeEbEEZZNS1_14partition_implILS8_4ELb0ES6_15HIP_vector_typeIjLj2EENS0_17counting_iteratorIjlEEPS9_SG_NS0_5tupleIJPjSI_NS0_16reverse_iteratorISI_EEEEENSH_IJSG_SG_SG_EEES9_SI_JZNS1_25segmented_radix_sort_implINS0_14default_configELb0EPKiPiPKlPlN2at6native12_GLOBAL__N_18offset_tEEE10hipError_tPvRmT1_PNSt15iterator_traitsIS12_E10value_typeET2_T3_PNS13_IS18_E10value_typeET4_jRbjT5_S1E_jjP12ihipStream_tbEUljE_ZNSN_ISO_Lb0ESQ_SR_ST_SU_SY_EESZ_S10_S11_S12_S16_S17_S18_S1B_S1C_jS1D_jS1E_S1E_jjS1G_bEUljE0_EEESZ_S10_S11_S18_S1C_S1E_T6_T7_T9_mT8_S1G_bDpT10_ENKUlT_T0_E_clISt17integral_constantIbLb1EES1U_EEDaS1P_S1Q_EUlS1P_E_NS1_11comp_targetILNS1_3genE0ELNS1_11target_archE4294967295ELNS1_3gpuE0ELNS1_3repE0EEENS1_30default_config_static_selectorELNS0_4arch9wavefront6targetE0EEEvS12_ ; -- Begin function _ZN7rocprim17ROCPRIM_400000_NS6detail17trampoline_kernelINS0_13select_configILj256ELj13ELNS0_17block_load_methodE3ELS4_3ELS4_3ELNS0_20block_scan_algorithmE0ELj4294967295EEENS1_25partition_config_selectorILNS1_17partition_subalgoE4EjNS0_10empty_typeEbEEZZNS1_14partition_implILS8_4ELb0ES6_15HIP_vector_typeIjLj2EENS0_17counting_iteratorIjlEEPS9_SG_NS0_5tupleIJPjSI_NS0_16reverse_iteratorISI_EEEEENSH_IJSG_SG_SG_EEES9_SI_JZNS1_25segmented_radix_sort_implINS0_14default_configELb0EPKiPiPKlPlN2at6native12_GLOBAL__N_18offset_tEEE10hipError_tPvRmT1_PNSt15iterator_traitsIS12_E10value_typeET2_T3_PNS13_IS18_E10value_typeET4_jRbjT5_S1E_jjP12ihipStream_tbEUljE_ZNSN_ISO_Lb0ESQ_SR_ST_SU_SY_EESZ_S10_S11_S12_S16_S17_S18_S1B_S1C_jS1D_jS1E_S1E_jjS1G_bEUljE0_EEESZ_S10_S11_S18_S1C_S1E_T6_T7_T9_mT8_S1G_bDpT10_ENKUlT_T0_E_clISt17integral_constantIbLb1EES1U_EEDaS1P_S1Q_EUlS1P_E_NS1_11comp_targetILNS1_3genE0ELNS1_11target_archE4294967295ELNS1_3gpuE0ELNS1_3repE0EEENS1_30default_config_static_selectorELNS0_4arch9wavefront6targetE0EEEvS12_
	.p2align	8
	.type	_ZN7rocprim17ROCPRIM_400000_NS6detail17trampoline_kernelINS0_13select_configILj256ELj13ELNS0_17block_load_methodE3ELS4_3ELS4_3ELNS0_20block_scan_algorithmE0ELj4294967295EEENS1_25partition_config_selectorILNS1_17partition_subalgoE4EjNS0_10empty_typeEbEEZZNS1_14partition_implILS8_4ELb0ES6_15HIP_vector_typeIjLj2EENS0_17counting_iteratorIjlEEPS9_SG_NS0_5tupleIJPjSI_NS0_16reverse_iteratorISI_EEEEENSH_IJSG_SG_SG_EEES9_SI_JZNS1_25segmented_radix_sort_implINS0_14default_configELb0EPKiPiPKlPlN2at6native12_GLOBAL__N_18offset_tEEE10hipError_tPvRmT1_PNSt15iterator_traitsIS12_E10value_typeET2_T3_PNS13_IS18_E10value_typeET4_jRbjT5_S1E_jjP12ihipStream_tbEUljE_ZNSN_ISO_Lb0ESQ_SR_ST_SU_SY_EESZ_S10_S11_S12_S16_S17_S18_S1B_S1C_jS1D_jS1E_S1E_jjS1G_bEUljE0_EEESZ_S10_S11_S18_S1C_S1E_T6_T7_T9_mT8_S1G_bDpT10_ENKUlT_T0_E_clISt17integral_constantIbLb1EES1U_EEDaS1P_S1Q_EUlS1P_E_NS1_11comp_targetILNS1_3genE0ELNS1_11target_archE4294967295ELNS1_3gpuE0ELNS1_3repE0EEENS1_30default_config_static_selectorELNS0_4arch9wavefront6targetE0EEEvS12_,@function
_ZN7rocprim17ROCPRIM_400000_NS6detail17trampoline_kernelINS0_13select_configILj256ELj13ELNS0_17block_load_methodE3ELS4_3ELS4_3ELNS0_20block_scan_algorithmE0ELj4294967295EEENS1_25partition_config_selectorILNS1_17partition_subalgoE4EjNS0_10empty_typeEbEEZZNS1_14partition_implILS8_4ELb0ES6_15HIP_vector_typeIjLj2EENS0_17counting_iteratorIjlEEPS9_SG_NS0_5tupleIJPjSI_NS0_16reverse_iteratorISI_EEEEENSH_IJSG_SG_SG_EEES9_SI_JZNS1_25segmented_radix_sort_implINS0_14default_configELb0EPKiPiPKlPlN2at6native12_GLOBAL__N_18offset_tEEE10hipError_tPvRmT1_PNSt15iterator_traitsIS12_E10value_typeET2_T3_PNS13_IS18_E10value_typeET4_jRbjT5_S1E_jjP12ihipStream_tbEUljE_ZNSN_ISO_Lb0ESQ_SR_ST_SU_SY_EESZ_S10_S11_S12_S16_S17_S18_S1B_S1C_jS1D_jS1E_S1E_jjS1G_bEUljE0_EEESZ_S10_S11_S18_S1C_S1E_T6_T7_T9_mT8_S1G_bDpT10_ENKUlT_T0_E_clISt17integral_constantIbLb1EES1U_EEDaS1P_S1Q_EUlS1P_E_NS1_11comp_targetILNS1_3genE0ELNS1_11target_archE4294967295ELNS1_3gpuE0ELNS1_3repE0EEENS1_30default_config_static_selectorELNS0_4arch9wavefront6targetE0EEEvS12_: ; @_ZN7rocprim17ROCPRIM_400000_NS6detail17trampoline_kernelINS0_13select_configILj256ELj13ELNS0_17block_load_methodE3ELS4_3ELS4_3ELNS0_20block_scan_algorithmE0ELj4294967295EEENS1_25partition_config_selectorILNS1_17partition_subalgoE4EjNS0_10empty_typeEbEEZZNS1_14partition_implILS8_4ELb0ES6_15HIP_vector_typeIjLj2EENS0_17counting_iteratorIjlEEPS9_SG_NS0_5tupleIJPjSI_NS0_16reverse_iteratorISI_EEEEENSH_IJSG_SG_SG_EEES9_SI_JZNS1_25segmented_radix_sort_implINS0_14default_configELb0EPKiPiPKlPlN2at6native12_GLOBAL__N_18offset_tEEE10hipError_tPvRmT1_PNSt15iterator_traitsIS12_E10value_typeET2_T3_PNS13_IS18_E10value_typeET4_jRbjT5_S1E_jjP12ihipStream_tbEUljE_ZNSN_ISO_Lb0ESQ_SR_ST_SU_SY_EESZ_S10_S11_S12_S16_S17_S18_S1B_S1C_jS1D_jS1E_S1E_jjS1G_bEUljE0_EEESZ_S10_S11_S18_S1C_S1E_T6_T7_T9_mT8_S1G_bDpT10_ENKUlT_T0_E_clISt17integral_constantIbLb1EES1U_EEDaS1P_S1Q_EUlS1P_E_NS1_11comp_targetILNS1_3genE0ELNS1_11target_archE4294967295ELNS1_3gpuE0ELNS1_3repE0EEENS1_30default_config_static_selectorELNS0_4arch9wavefront6targetE0EEEvS12_
; %bb.0:
	s_endpgm
	.section	.rodata,"a",@progbits
	.p2align	6, 0x0
	.amdhsa_kernel _ZN7rocprim17ROCPRIM_400000_NS6detail17trampoline_kernelINS0_13select_configILj256ELj13ELNS0_17block_load_methodE3ELS4_3ELS4_3ELNS0_20block_scan_algorithmE0ELj4294967295EEENS1_25partition_config_selectorILNS1_17partition_subalgoE4EjNS0_10empty_typeEbEEZZNS1_14partition_implILS8_4ELb0ES6_15HIP_vector_typeIjLj2EENS0_17counting_iteratorIjlEEPS9_SG_NS0_5tupleIJPjSI_NS0_16reverse_iteratorISI_EEEEENSH_IJSG_SG_SG_EEES9_SI_JZNS1_25segmented_radix_sort_implINS0_14default_configELb0EPKiPiPKlPlN2at6native12_GLOBAL__N_18offset_tEEE10hipError_tPvRmT1_PNSt15iterator_traitsIS12_E10value_typeET2_T3_PNS13_IS18_E10value_typeET4_jRbjT5_S1E_jjP12ihipStream_tbEUljE_ZNSN_ISO_Lb0ESQ_SR_ST_SU_SY_EESZ_S10_S11_S12_S16_S17_S18_S1B_S1C_jS1D_jS1E_S1E_jjS1G_bEUljE0_EEESZ_S10_S11_S18_S1C_S1E_T6_T7_T9_mT8_S1G_bDpT10_ENKUlT_T0_E_clISt17integral_constantIbLb1EES1U_EEDaS1P_S1Q_EUlS1P_E_NS1_11comp_targetILNS1_3genE0ELNS1_11target_archE4294967295ELNS1_3gpuE0ELNS1_3repE0EEENS1_30default_config_static_selectorELNS0_4arch9wavefront6targetE0EEEvS12_
		.amdhsa_group_segment_fixed_size 0
		.amdhsa_private_segment_fixed_size 0
		.amdhsa_kernarg_size 184
		.amdhsa_user_sgpr_count 2
		.amdhsa_user_sgpr_dispatch_ptr 0
		.amdhsa_user_sgpr_queue_ptr 0
		.amdhsa_user_sgpr_kernarg_segment_ptr 1
		.amdhsa_user_sgpr_dispatch_id 0
		.amdhsa_user_sgpr_kernarg_preload_length 0
		.amdhsa_user_sgpr_kernarg_preload_offset 0
		.amdhsa_user_sgpr_private_segment_size 0
		.amdhsa_wavefront_size32 1
		.amdhsa_uses_dynamic_stack 0
		.amdhsa_enable_private_segment 0
		.amdhsa_system_sgpr_workgroup_id_x 1
		.amdhsa_system_sgpr_workgroup_id_y 0
		.amdhsa_system_sgpr_workgroup_id_z 0
		.amdhsa_system_sgpr_workgroup_info 0
		.amdhsa_system_vgpr_workitem_id 0
		.amdhsa_next_free_vgpr 1
		.amdhsa_next_free_sgpr 1
		.amdhsa_named_barrier_count 0
		.amdhsa_reserve_vcc 0
		.amdhsa_float_round_mode_32 0
		.amdhsa_float_round_mode_16_64 0
		.amdhsa_float_denorm_mode_32 3
		.amdhsa_float_denorm_mode_16_64 3
		.amdhsa_fp16_overflow 0
		.amdhsa_memory_ordered 1
		.amdhsa_forward_progress 1
		.amdhsa_inst_pref_size 1
		.amdhsa_round_robin_scheduling 0
		.amdhsa_exception_fp_ieee_invalid_op 0
		.amdhsa_exception_fp_denorm_src 0
		.amdhsa_exception_fp_ieee_div_zero 0
		.amdhsa_exception_fp_ieee_overflow 0
		.amdhsa_exception_fp_ieee_underflow 0
		.amdhsa_exception_fp_ieee_inexact 0
		.amdhsa_exception_int_div_zero 0
	.end_amdhsa_kernel
	.section	.text._ZN7rocprim17ROCPRIM_400000_NS6detail17trampoline_kernelINS0_13select_configILj256ELj13ELNS0_17block_load_methodE3ELS4_3ELS4_3ELNS0_20block_scan_algorithmE0ELj4294967295EEENS1_25partition_config_selectorILNS1_17partition_subalgoE4EjNS0_10empty_typeEbEEZZNS1_14partition_implILS8_4ELb0ES6_15HIP_vector_typeIjLj2EENS0_17counting_iteratorIjlEEPS9_SG_NS0_5tupleIJPjSI_NS0_16reverse_iteratorISI_EEEEENSH_IJSG_SG_SG_EEES9_SI_JZNS1_25segmented_radix_sort_implINS0_14default_configELb0EPKiPiPKlPlN2at6native12_GLOBAL__N_18offset_tEEE10hipError_tPvRmT1_PNSt15iterator_traitsIS12_E10value_typeET2_T3_PNS13_IS18_E10value_typeET4_jRbjT5_S1E_jjP12ihipStream_tbEUljE_ZNSN_ISO_Lb0ESQ_SR_ST_SU_SY_EESZ_S10_S11_S12_S16_S17_S18_S1B_S1C_jS1D_jS1E_S1E_jjS1G_bEUljE0_EEESZ_S10_S11_S18_S1C_S1E_T6_T7_T9_mT8_S1G_bDpT10_ENKUlT_T0_E_clISt17integral_constantIbLb1EES1U_EEDaS1P_S1Q_EUlS1P_E_NS1_11comp_targetILNS1_3genE0ELNS1_11target_archE4294967295ELNS1_3gpuE0ELNS1_3repE0EEENS1_30default_config_static_selectorELNS0_4arch9wavefront6targetE0EEEvS12_,"axG",@progbits,_ZN7rocprim17ROCPRIM_400000_NS6detail17trampoline_kernelINS0_13select_configILj256ELj13ELNS0_17block_load_methodE3ELS4_3ELS4_3ELNS0_20block_scan_algorithmE0ELj4294967295EEENS1_25partition_config_selectorILNS1_17partition_subalgoE4EjNS0_10empty_typeEbEEZZNS1_14partition_implILS8_4ELb0ES6_15HIP_vector_typeIjLj2EENS0_17counting_iteratorIjlEEPS9_SG_NS0_5tupleIJPjSI_NS0_16reverse_iteratorISI_EEEEENSH_IJSG_SG_SG_EEES9_SI_JZNS1_25segmented_radix_sort_implINS0_14default_configELb0EPKiPiPKlPlN2at6native12_GLOBAL__N_18offset_tEEE10hipError_tPvRmT1_PNSt15iterator_traitsIS12_E10value_typeET2_T3_PNS13_IS18_E10value_typeET4_jRbjT5_S1E_jjP12ihipStream_tbEUljE_ZNSN_ISO_Lb0ESQ_SR_ST_SU_SY_EESZ_S10_S11_S12_S16_S17_S18_S1B_S1C_jS1D_jS1E_S1E_jjS1G_bEUljE0_EEESZ_S10_S11_S18_S1C_S1E_T6_T7_T9_mT8_S1G_bDpT10_ENKUlT_T0_E_clISt17integral_constantIbLb1EES1U_EEDaS1P_S1Q_EUlS1P_E_NS1_11comp_targetILNS1_3genE0ELNS1_11target_archE4294967295ELNS1_3gpuE0ELNS1_3repE0EEENS1_30default_config_static_selectorELNS0_4arch9wavefront6targetE0EEEvS12_,comdat
.Lfunc_end540:
	.size	_ZN7rocprim17ROCPRIM_400000_NS6detail17trampoline_kernelINS0_13select_configILj256ELj13ELNS0_17block_load_methodE3ELS4_3ELS4_3ELNS0_20block_scan_algorithmE0ELj4294967295EEENS1_25partition_config_selectorILNS1_17partition_subalgoE4EjNS0_10empty_typeEbEEZZNS1_14partition_implILS8_4ELb0ES6_15HIP_vector_typeIjLj2EENS0_17counting_iteratorIjlEEPS9_SG_NS0_5tupleIJPjSI_NS0_16reverse_iteratorISI_EEEEENSH_IJSG_SG_SG_EEES9_SI_JZNS1_25segmented_radix_sort_implINS0_14default_configELb0EPKiPiPKlPlN2at6native12_GLOBAL__N_18offset_tEEE10hipError_tPvRmT1_PNSt15iterator_traitsIS12_E10value_typeET2_T3_PNS13_IS18_E10value_typeET4_jRbjT5_S1E_jjP12ihipStream_tbEUljE_ZNSN_ISO_Lb0ESQ_SR_ST_SU_SY_EESZ_S10_S11_S12_S16_S17_S18_S1B_S1C_jS1D_jS1E_S1E_jjS1G_bEUljE0_EEESZ_S10_S11_S18_S1C_S1E_T6_T7_T9_mT8_S1G_bDpT10_ENKUlT_T0_E_clISt17integral_constantIbLb1EES1U_EEDaS1P_S1Q_EUlS1P_E_NS1_11comp_targetILNS1_3genE0ELNS1_11target_archE4294967295ELNS1_3gpuE0ELNS1_3repE0EEENS1_30default_config_static_selectorELNS0_4arch9wavefront6targetE0EEEvS12_, .Lfunc_end540-_ZN7rocprim17ROCPRIM_400000_NS6detail17trampoline_kernelINS0_13select_configILj256ELj13ELNS0_17block_load_methodE3ELS4_3ELS4_3ELNS0_20block_scan_algorithmE0ELj4294967295EEENS1_25partition_config_selectorILNS1_17partition_subalgoE4EjNS0_10empty_typeEbEEZZNS1_14partition_implILS8_4ELb0ES6_15HIP_vector_typeIjLj2EENS0_17counting_iteratorIjlEEPS9_SG_NS0_5tupleIJPjSI_NS0_16reverse_iteratorISI_EEEEENSH_IJSG_SG_SG_EEES9_SI_JZNS1_25segmented_radix_sort_implINS0_14default_configELb0EPKiPiPKlPlN2at6native12_GLOBAL__N_18offset_tEEE10hipError_tPvRmT1_PNSt15iterator_traitsIS12_E10value_typeET2_T3_PNS13_IS18_E10value_typeET4_jRbjT5_S1E_jjP12ihipStream_tbEUljE_ZNSN_ISO_Lb0ESQ_SR_ST_SU_SY_EESZ_S10_S11_S12_S16_S17_S18_S1B_S1C_jS1D_jS1E_S1E_jjS1G_bEUljE0_EEESZ_S10_S11_S18_S1C_S1E_T6_T7_T9_mT8_S1G_bDpT10_ENKUlT_T0_E_clISt17integral_constantIbLb1EES1U_EEDaS1P_S1Q_EUlS1P_E_NS1_11comp_targetILNS1_3genE0ELNS1_11target_archE4294967295ELNS1_3gpuE0ELNS1_3repE0EEENS1_30default_config_static_selectorELNS0_4arch9wavefront6targetE0EEEvS12_
                                        ; -- End function
	.set _ZN7rocprim17ROCPRIM_400000_NS6detail17trampoline_kernelINS0_13select_configILj256ELj13ELNS0_17block_load_methodE3ELS4_3ELS4_3ELNS0_20block_scan_algorithmE0ELj4294967295EEENS1_25partition_config_selectorILNS1_17partition_subalgoE4EjNS0_10empty_typeEbEEZZNS1_14partition_implILS8_4ELb0ES6_15HIP_vector_typeIjLj2EENS0_17counting_iteratorIjlEEPS9_SG_NS0_5tupleIJPjSI_NS0_16reverse_iteratorISI_EEEEENSH_IJSG_SG_SG_EEES9_SI_JZNS1_25segmented_radix_sort_implINS0_14default_configELb0EPKiPiPKlPlN2at6native12_GLOBAL__N_18offset_tEEE10hipError_tPvRmT1_PNSt15iterator_traitsIS12_E10value_typeET2_T3_PNS13_IS18_E10value_typeET4_jRbjT5_S1E_jjP12ihipStream_tbEUljE_ZNSN_ISO_Lb0ESQ_SR_ST_SU_SY_EESZ_S10_S11_S12_S16_S17_S18_S1B_S1C_jS1D_jS1E_S1E_jjS1G_bEUljE0_EEESZ_S10_S11_S18_S1C_S1E_T6_T7_T9_mT8_S1G_bDpT10_ENKUlT_T0_E_clISt17integral_constantIbLb1EES1U_EEDaS1P_S1Q_EUlS1P_E_NS1_11comp_targetILNS1_3genE0ELNS1_11target_archE4294967295ELNS1_3gpuE0ELNS1_3repE0EEENS1_30default_config_static_selectorELNS0_4arch9wavefront6targetE0EEEvS12_.num_vgpr, 0
	.set _ZN7rocprim17ROCPRIM_400000_NS6detail17trampoline_kernelINS0_13select_configILj256ELj13ELNS0_17block_load_methodE3ELS4_3ELS4_3ELNS0_20block_scan_algorithmE0ELj4294967295EEENS1_25partition_config_selectorILNS1_17partition_subalgoE4EjNS0_10empty_typeEbEEZZNS1_14partition_implILS8_4ELb0ES6_15HIP_vector_typeIjLj2EENS0_17counting_iteratorIjlEEPS9_SG_NS0_5tupleIJPjSI_NS0_16reverse_iteratorISI_EEEEENSH_IJSG_SG_SG_EEES9_SI_JZNS1_25segmented_radix_sort_implINS0_14default_configELb0EPKiPiPKlPlN2at6native12_GLOBAL__N_18offset_tEEE10hipError_tPvRmT1_PNSt15iterator_traitsIS12_E10value_typeET2_T3_PNS13_IS18_E10value_typeET4_jRbjT5_S1E_jjP12ihipStream_tbEUljE_ZNSN_ISO_Lb0ESQ_SR_ST_SU_SY_EESZ_S10_S11_S12_S16_S17_S18_S1B_S1C_jS1D_jS1E_S1E_jjS1G_bEUljE0_EEESZ_S10_S11_S18_S1C_S1E_T6_T7_T9_mT8_S1G_bDpT10_ENKUlT_T0_E_clISt17integral_constantIbLb1EES1U_EEDaS1P_S1Q_EUlS1P_E_NS1_11comp_targetILNS1_3genE0ELNS1_11target_archE4294967295ELNS1_3gpuE0ELNS1_3repE0EEENS1_30default_config_static_selectorELNS0_4arch9wavefront6targetE0EEEvS12_.num_agpr, 0
	.set _ZN7rocprim17ROCPRIM_400000_NS6detail17trampoline_kernelINS0_13select_configILj256ELj13ELNS0_17block_load_methodE3ELS4_3ELS4_3ELNS0_20block_scan_algorithmE0ELj4294967295EEENS1_25partition_config_selectorILNS1_17partition_subalgoE4EjNS0_10empty_typeEbEEZZNS1_14partition_implILS8_4ELb0ES6_15HIP_vector_typeIjLj2EENS0_17counting_iteratorIjlEEPS9_SG_NS0_5tupleIJPjSI_NS0_16reverse_iteratorISI_EEEEENSH_IJSG_SG_SG_EEES9_SI_JZNS1_25segmented_radix_sort_implINS0_14default_configELb0EPKiPiPKlPlN2at6native12_GLOBAL__N_18offset_tEEE10hipError_tPvRmT1_PNSt15iterator_traitsIS12_E10value_typeET2_T3_PNS13_IS18_E10value_typeET4_jRbjT5_S1E_jjP12ihipStream_tbEUljE_ZNSN_ISO_Lb0ESQ_SR_ST_SU_SY_EESZ_S10_S11_S12_S16_S17_S18_S1B_S1C_jS1D_jS1E_S1E_jjS1G_bEUljE0_EEESZ_S10_S11_S18_S1C_S1E_T6_T7_T9_mT8_S1G_bDpT10_ENKUlT_T0_E_clISt17integral_constantIbLb1EES1U_EEDaS1P_S1Q_EUlS1P_E_NS1_11comp_targetILNS1_3genE0ELNS1_11target_archE4294967295ELNS1_3gpuE0ELNS1_3repE0EEENS1_30default_config_static_selectorELNS0_4arch9wavefront6targetE0EEEvS12_.numbered_sgpr, 0
	.set _ZN7rocprim17ROCPRIM_400000_NS6detail17trampoline_kernelINS0_13select_configILj256ELj13ELNS0_17block_load_methodE3ELS4_3ELS4_3ELNS0_20block_scan_algorithmE0ELj4294967295EEENS1_25partition_config_selectorILNS1_17partition_subalgoE4EjNS0_10empty_typeEbEEZZNS1_14partition_implILS8_4ELb0ES6_15HIP_vector_typeIjLj2EENS0_17counting_iteratorIjlEEPS9_SG_NS0_5tupleIJPjSI_NS0_16reverse_iteratorISI_EEEEENSH_IJSG_SG_SG_EEES9_SI_JZNS1_25segmented_radix_sort_implINS0_14default_configELb0EPKiPiPKlPlN2at6native12_GLOBAL__N_18offset_tEEE10hipError_tPvRmT1_PNSt15iterator_traitsIS12_E10value_typeET2_T3_PNS13_IS18_E10value_typeET4_jRbjT5_S1E_jjP12ihipStream_tbEUljE_ZNSN_ISO_Lb0ESQ_SR_ST_SU_SY_EESZ_S10_S11_S12_S16_S17_S18_S1B_S1C_jS1D_jS1E_S1E_jjS1G_bEUljE0_EEESZ_S10_S11_S18_S1C_S1E_T6_T7_T9_mT8_S1G_bDpT10_ENKUlT_T0_E_clISt17integral_constantIbLb1EES1U_EEDaS1P_S1Q_EUlS1P_E_NS1_11comp_targetILNS1_3genE0ELNS1_11target_archE4294967295ELNS1_3gpuE0ELNS1_3repE0EEENS1_30default_config_static_selectorELNS0_4arch9wavefront6targetE0EEEvS12_.num_named_barrier, 0
	.set _ZN7rocprim17ROCPRIM_400000_NS6detail17trampoline_kernelINS0_13select_configILj256ELj13ELNS0_17block_load_methodE3ELS4_3ELS4_3ELNS0_20block_scan_algorithmE0ELj4294967295EEENS1_25partition_config_selectorILNS1_17partition_subalgoE4EjNS0_10empty_typeEbEEZZNS1_14partition_implILS8_4ELb0ES6_15HIP_vector_typeIjLj2EENS0_17counting_iteratorIjlEEPS9_SG_NS0_5tupleIJPjSI_NS0_16reverse_iteratorISI_EEEEENSH_IJSG_SG_SG_EEES9_SI_JZNS1_25segmented_radix_sort_implINS0_14default_configELb0EPKiPiPKlPlN2at6native12_GLOBAL__N_18offset_tEEE10hipError_tPvRmT1_PNSt15iterator_traitsIS12_E10value_typeET2_T3_PNS13_IS18_E10value_typeET4_jRbjT5_S1E_jjP12ihipStream_tbEUljE_ZNSN_ISO_Lb0ESQ_SR_ST_SU_SY_EESZ_S10_S11_S12_S16_S17_S18_S1B_S1C_jS1D_jS1E_S1E_jjS1G_bEUljE0_EEESZ_S10_S11_S18_S1C_S1E_T6_T7_T9_mT8_S1G_bDpT10_ENKUlT_T0_E_clISt17integral_constantIbLb1EES1U_EEDaS1P_S1Q_EUlS1P_E_NS1_11comp_targetILNS1_3genE0ELNS1_11target_archE4294967295ELNS1_3gpuE0ELNS1_3repE0EEENS1_30default_config_static_selectorELNS0_4arch9wavefront6targetE0EEEvS12_.private_seg_size, 0
	.set _ZN7rocprim17ROCPRIM_400000_NS6detail17trampoline_kernelINS0_13select_configILj256ELj13ELNS0_17block_load_methodE3ELS4_3ELS4_3ELNS0_20block_scan_algorithmE0ELj4294967295EEENS1_25partition_config_selectorILNS1_17partition_subalgoE4EjNS0_10empty_typeEbEEZZNS1_14partition_implILS8_4ELb0ES6_15HIP_vector_typeIjLj2EENS0_17counting_iteratorIjlEEPS9_SG_NS0_5tupleIJPjSI_NS0_16reverse_iteratorISI_EEEEENSH_IJSG_SG_SG_EEES9_SI_JZNS1_25segmented_radix_sort_implINS0_14default_configELb0EPKiPiPKlPlN2at6native12_GLOBAL__N_18offset_tEEE10hipError_tPvRmT1_PNSt15iterator_traitsIS12_E10value_typeET2_T3_PNS13_IS18_E10value_typeET4_jRbjT5_S1E_jjP12ihipStream_tbEUljE_ZNSN_ISO_Lb0ESQ_SR_ST_SU_SY_EESZ_S10_S11_S12_S16_S17_S18_S1B_S1C_jS1D_jS1E_S1E_jjS1G_bEUljE0_EEESZ_S10_S11_S18_S1C_S1E_T6_T7_T9_mT8_S1G_bDpT10_ENKUlT_T0_E_clISt17integral_constantIbLb1EES1U_EEDaS1P_S1Q_EUlS1P_E_NS1_11comp_targetILNS1_3genE0ELNS1_11target_archE4294967295ELNS1_3gpuE0ELNS1_3repE0EEENS1_30default_config_static_selectorELNS0_4arch9wavefront6targetE0EEEvS12_.uses_vcc, 0
	.set _ZN7rocprim17ROCPRIM_400000_NS6detail17trampoline_kernelINS0_13select_configILj256ELj13ELNS0_17block_load_methodE3ELS4_3ELS4_3ELNS0_20block_scan_algorithmE0ELj4294967295EEENS1_25partition_config_selectorILNS1_17partition_subalgoE4EjNS0_10empty_typeEbEEZZNS1_14partition_implILS8_4ELb0ES6_15HIP_vector_typeIjLj2EENS0_17counting_iteratorIjlEEPS9_SG_NS0_5tupleIJPjSI_NS0_16reverse_iteratorISI_EEEEENSH_IJSG_SG_SG_EEES9_SI_JZNS1_25segmented_radix_sort_implINS0_14default_configELb0EPKiPiPKlPlN2at6native12_GLOBAL__N_18offset_tEEE10hipError_tPvRmT1_PNSt15iterator_traitsIS12_E10value_typeET2_T3_PNS13_IS18_E10value_typeET4_jRbjT5_S1E_jjP12ihipStream_tbEUljE_ZNSN_ISO_Lb0ESQ_SR_ST_SU_SY_EESZ_S10_S11_S12_S16_S17_S18_S1B_S1C_jS1D_jS1E_S1E_jjS1G_bEUljE0_EEESZ_S10_S11_S18_S1C_S1E_T6_T7_T9_mT8_S1G_bDpT10_ENKUlT_T0_E_clISt17integral_constantIbLb1EES1U_EEDaS1P_S1Q_EUlS1P_E_NS1_11comp_targetILNS1_3genE0ELNS1_11target_archE4294967295ELNS1_3gpuE0ELNS1_3repE0EEENS1_30default_config_static_selectorELNS0_4arch9wavefront6targetE0EEEvS12_.uses_flat_scratch, 0
	.set _ZN7rocprim17ROCPRIM_400000_NS6detail17trampoline_kernelINS0_13select_configILj256ELj13ELNS0_17block_load_methodE3ELS4_3ELS4_3ELNS0_20block_scan_algorithmE0ELj4294967295EEENS1_25partition_config_selectorILNS1_17partition_subalgoE4EjNS0_10empty_typeEbEEZZNS1_14partition_implILS8_4ELb0ES6_15HIP_vector_typeIjLj2EENS0_17counting_iteratorIjlEEPS9_SG_NS0_5tupleIJPjSI_NS0_16reverse_iteratorISI_EEEEENSH_IJSG_SG_SG_EEES9_SI_JZNS1_25segmented_radix_sort_implINS0_14default_configELb0EPKiPiPKlPlN2at6native12_GLOBAL__N_18offset_tEEE10hipError_tPvRmT1_PNSt15iterator_traitsIS12_E10value_typeET2_T3_PNS13_IS18_E10value_typeET4_jRbjT5_S1E_jjP12ihipStream_tbEUljE_ZNSN_ISO_Lb0ESQ_SR_ST_SU_SY_EESZ_S10_S11_S12_S16_S17_S18_S1B_S1C_jS1D_jS1E_S1E_jjS1G_bEUljE0_EEESZ_S10_S11_S18_S1C_S1E_T6_T7_T9_mT8_S1G_bDpT10_ENKUlT_T0_E_clISt17integral_constantIbLb1EES1U_EEDaS1P_S1Q_EUlS1P_E_NS1_11comp_targetILNS1_3genE0ELNS1_11target_archE4294967295ELNS1_3gpuE0ELNS1_3repE0EEENS1_30default_config_static_selectorELNS0_4arch9wavefront6targetE0EEEvS12_.has_dyn_sized_stack, 0
	.set _ZN7rocprim17ROCPRIM_400000_NS6detail17trampoline_kernelINS0_13select_configILj256ELj13ELNS0_17block_load_methodE3ELS4_3ELS4_3ELNS0_20block_scan_algorithmE0ELj4294967295EEENS1_25partition_config_selectorILNS1_17partition_subalgoE4EjNS0_10empty_typeEbEEZZNS1_14partition_implILS8_4ELb0ES6_15HIP_vector_typeIjLj2EENS0_17counting_iteratorIjlEEPS9_SG_NS0_5tupleIJPjSI_NS0_16reverse_iteratorISI_EEEEENSH_IJSG_SG_SG_EEES9_SI_JZNS1_25segmented_radix_sort_implINS0_14default_configELb0EPKiPiPKlPlN2at6native12_GLOBAL__N_18offset_tEEE10hipError_tPvRmT1_PNSt15iterator_traitsIS12_E10value_typeET2_T3_PNS13_IS18_E10value_typeET4_jRbjT5_S1E_jjP12ihipStream_tbEUljE_ZNSN_ISO_Lb0ESQ_SR_ST_SU_SY_EESZ_S10_S11_S12_S16_S17_S18_S1B_S1C_jS1D_jS1E_S1E_jjS1G_bEUljE0_EEESZ_S10_S11_S18_S1C_S1E_T6_T7_T9_mT8_S1G_bDpT10_ENKUlT_T0_E_clISt17integral_constantIbLb1EES1U_EEDaS1P_S1Q_EUlS1P_E_NS1_11comp_targetILNS1_3genE0ELNS1_11target_archE4294967295ELNS1_3gpuE0ELNS1_3repE0EEENS1_30default_config_static_selectorELNS0_4arch9wavefront6targetE0EEEvS12_.has_recursion, 0
	.set _ZN7rocprim17ROCPRIM_400000_NS6detail17trampoline_kernelINS0_13select_configILj256ELj13ELNS0_17block_load_methodE3ELS4_3ELS4_3ELNS0_20block_scan_algorithmE0ELj4294967295EEENS1_25partition_config_selectorILNS1_17partition_subalgoE4EjNS0_10empty_typeEbEEZZNS1_14partition_implILS8_4ELb0ES6_15HIP_vector_typeIjLj2EENS0_17counting_iteratorIjlEEPS9_SG_NS0_5tupleIJPjSI_NS0_16reverse_iteratorISI_EEEEENSH_IJSG_SG_SG_EEES9_SI_JZNS1_25segmented_radix_sort_implINS0_14default_configELb0EPKiPiPKlPlN2at6native12_GLOBAL__N_18offset_tEEE10hipError_tPvRmT1_PNSt15iterator_traitsIS12_E10value_typeET2_T3_PNS13_IS18_E10value_typeET4_jRbjT5_S1E_jjP12ihipStream_tbEUljE_ZNSN_ISO_Lb0ESQ_SR_ST_SU_SY_EESZ_S10_S11_S12_S16_S17_S18_S1B_S1C_jS1D_jS1E_S1E_jjS1G_bEUljE0_EEESZ_S10_S11_S18_S1C_S1E_T6_T7_T9_mT8_S1G_bDpT10_ENKUlT_T0_E_clISt17integral_constantIbLb1EES1U_EEDaS1P_S1Q_EUlS1P_E_NS1_11comp_targetILNS1_3genE0ELNS1_11target_archE4294967295ELNS1_3gpuE0ELNS1_3repE0EEENS1_30default_config_static_selectorELNS0_4arch9wavefront6targetE0EEEvS12_.has_indirect_call, 0
	.section	.AMDGPU.csdata,"",@progbits
; Kernel info:
; codeLenInByte = 4
; TotalNumSgprs: 0
; NumVgprs: 0
; ScratchSize: 0
; MemoryBound: 0
; FloatMode: 240
; IeeeMode: 1
; LDSByteSize: 0 bytes/workgroup (compile time only)
; SGPRBlocks: 0
; VGPRBlocks: 0
; NumSGPRsForWavesPerEU: 1
; NumVGPRsForWavesPerEU: 1
; NamedBarCnt: 0
; Occupancy: 16
; WaveLimiterHint : 0
; COMPUTE_PGM_RSRC2:SCRATCH_EN: 0
; COMPUTE_PGM_RSRC2:USER_SGPR: 2
; COMPUTE_PGM_RSRC2:TRAP_HANDLER: 0
; COMPUTE_PGM_RSRC2:TGID_X_EN: 1
; COMPUTE_PGM_RSRC2:TGID_Y_EN: 0
; COMPUTE_PGM_RSRC2:TGID_Z_EN: 0
; COMPUTE_PGM_RSRC2:TIDIG_COMP_CNT: 0
	.section	.text._ZN7rocprim17ROCPRIM_400000_NS6detail17trampoline_kernelINS0_13select_configILj256ELj13ELNS0_17block_load_methodE3ELS4_3ELS4_3ELNS0_20block_scan_algorithmE0ELj4294967295EEENS1_25partition_config_selectorILNS1_17partition_subalgoE4EjNS0_10empty_typeEbEEZZNS1_14partition_implILS8_4ELb0ES6_15HIP_vector_typeIjLj2EENS0_17counting_iteratorIjlEEPS9_SG_NS0_5tupleIJPjSI_NS0_16reverse_iteratorISI_EEEEENSH_IJSG_SG_SG_EEES9_SI_JZNS1_25segmented_radix_sort_implINS0_14default_configELb0EPKiPiPKlPlN2at6native12_GLOBAL__N_18offset_tEEE10hipError_tPvRmT1_PNSt15iterator_traitsIS12_E10value_typeET2_T3_PNS13_IS18_E10value_typeET4_jRbjT5_S1E_jjP12ihipStream_tbEUljE_ZNSN_ISO_Lb0ESQ_SR_ST_SU_SY_EESZ_S10_S11_S12_S16_S17_S18_S1B_S1C_jS1D_jS1E_S1E_jjS1G_bEUljE0_EEESZ_S10_S11_S18_S1C_S1E_T6_T7_T9_mT8_S1G_bDpT10_ENKUlT_T0_E_clISt17integral_constantIbLb1EES1U_EEDaS1P_S1Q_EUlS1P_E_NS1_11comp_targetILNS1_3genE5ELNS1_11target_archE942ELNS1_3gpuE9ELNS1_3repE0EEENS1_30default_config_static_selectorELNS0_4arch9wavefront6targetE0EEEvS12_,"axG",@progbits,_ZN7rocprim17ROCPRIM_400000_NS6detail17trampoline_kernelINS0_13select_configILj256ELj13ELNS0_17block_load_methodE3ELS4_3ELS4_3ELNS0_20block_scan_algorithmE0ELj4294967295EEENS1_25partition_config_selectorILNS1_17partition_subalgoE4EjNS0_10empty_typeEbEEZZNS1_14partition_implILS8_4ELb0ES6_15HIP_vector_typeIjLj2EENS0_17counting_iteratorIjlEEPS9_SG_NS0_5tupleIJPjSI_NS0_16reverse_iteratorISI_EEEEENSH_IJSG_SG_SG_EEES9_SI_JZNS1_25segmented_radix_sort_implINS0_14default_configELb0EPKiPiPKlPlN2at6native12_GLOBAL__N_18offset_tEEE10hipError_tPvRmT1_PNSt15iterator_traitsIS12_E10value_typeET2_T3_PNS13_IS18_E10value_typeET4_jRbjT5_S1E_jjP12ihipStream_tbEUljE_ZNSN_ISO_Lb0ESQ_SR_ST_SU_SY_EESZ_S10_S11_S12_S16_S17_S18_S1B_S1C_jS1D_jS1E_S1E_jjS1G_bEUljE0_EEESZ_S10_S11_S18_S1C_S1E_T6_T7_T9_mT8_S1G_bDpT10_ENKUlT_T0_E_clISt17integral_constantIbLb1EES1U_EEDaS1P_S1Q_EUlS1P_E_NS1_11comp_targetILNS1_3genE5ELNS1_11target_archE942ELNS1_3gpuE9ELNS1_3repE0EEENS1_30default_config_static_selectorELNS0_4arch9wavefront6targetE0EEEvS12_,comdat
	.globl	_ZN7rocprim17ROCPRIM_400000_NS6detail17trampoline_kernelINS0_13select_configILj256ELj13ELNS0_17block_load_methodE3ELS4_3ELS4_3ELNS0_20block_scan_algorithmE0ELj4294967295EEENS1_25partition_config_selectorILNS1_17partition_subalgoE4EjNS0_10empty_typeEbEEZZNS1_14partition_implILS8_4ELb0ES6_15HIP_vector_typeIjLj2EENS0_17counting_iteratorIjlEEPS9_SG_NS0_5tupleIJPjSI_NS0_16reverse_iteratorISI_EEEEENSH_IJSG_SG_SG_EEES9_SI_JZNS1_25segmented_radix_sort_implINS0_14default_configELb0EPKiPiPKlPlN2at6native12_GLOBAL__N_18offset_tEEE10hipError_tPvRmT1_PNSt15iterator_traitsIS12_E10value_typeET2_T3_PNS13_IS18_E10value_typeET4_jRbjT5_S1E_jjP12ihipStream_tbEUljE_ZNSN_ISO_Lb0ESQ_SR_ST_SU_SY_EESZ_S10_S11_S12_S16_S17_S18_S1B_S1C_jS1D_jS1E_S1E_jjS1G_bEUljE0_EEESZ_S10_S11_S18_S1C_S1E_T6_T7_T9_mT8_S1G_bDpT10_ENKUlT_T0_E_clISt17integral_constantIbLb1EES1U_EEDaS1P_S1Q_EUlS1P_E_NS1_11comp_targetILNS1_3genE5ELNS1_11target_archE942ELNS1_3gpuE9ELNS1_3repE0EEENS1_30default_config_static_selectorELNS0_4arch9wavefront6targetE0EEEvS12_ ; -- Begin function _ZN7rocprim17ROCPRIM_400000_NS6detail17trampoline_kernelINS0_13select_configILj256ELj13ELNS0_17block_load_methodE3ELS4_3ELS4_3ELNS0_20block_scan_algorithmE0ELj4294967295EEENS1_25partition_config_selectorILNS1_17partition_subalgoE4EjNS0_10empty_typeEbEEZZNS1_14partition_implILS8_4ELb0ES6_15HIP_vector_typeIjLj2EENS0_17counting_iteratorIjlEEPS9_SG_NS0_5tupleIJPjSI_NS0_16reverse_iteratorISI_EEEEENSH_IJSG_SG_SG_EEES9_SI_JZNS1_25segmented_radix_sort_implINS0_14default_configELb0EPKiPiPKlPlN2at6native12_GLOBAL__N_18offset_tEEE10hipError_tPvRmT1_PNSt15iterator_traitsIS12_E10value_typeET2_T3_PNS13_IS18_E10value_typeET4_jRbjT5_S1E_jjP12ihipStream_tbEUljE_ZNSN_ISO_Lb0ESQ_SR_ST_SU_SY_EESZ_S10_S11_S12_S16_S17_S18_S1B_S1C_jS1D_jS1E_S1E_jjS1G_bEUljE0_EEESZ_S10_S11_S18_S1C_S1E_T6_T7_T9_mT8_S1G_bDpT10_ENKUlT_T0_E_clISt17integral_constantIbLb1EES1U_EEDaS1P_S1Q_EUlS1P_E_NS1_11comp_targetILNS1_3genE5ELNS1_11target_archE942ELNS1_3gpuE9ELNS1_3repE0EEENS1_30default_config_static_selectorELNS0_4arch9wavefront6targetE0EEEvS12_
	.p2align	8
	.type	_ZN7rocprim17ROCPRIM_400000_NS6detail17trampoline_kernelINS0_13select_configILj256ELj13ELNS0_17block_load_methodE3ELS4_3ELS4_3ELNS0_20block_scan_algorithmE0ELj4294967295EEENS1_25partition_config_selectorILNS1_17partition_subalgoE4EjNS0_10empty_typeEbEEZZNS1_14partition_implILS8_4ELb0ES6_15HIP_vector_typeIjLj2EENS0_17counting_iteratorIjlEEPS9_SG_NS0_5tupleIJPjSI_NS0_16reverse_iteratorISI_EEEEENSH_IJSG_SG_SG_EEES9_SI_JZNS1_25segmented_radix_sort_implINS0_14default_configELb0EPKiPiPKlPlN2at6native12_GLOBAL__N_18offset_tEEE10hipError_tPvRmT1_PNSt15iterator_traitsIS12_E10value_typeET2_T3_PNS13_IS18_E10value_typeET4_jRbjT5_S1E_jjP12ihipStream_tbEUljE_ZNSN_ISO_Lb0ESQ_SR_ST_SU_SY_EESZ_S10_S11_S12_S16_S17_S18_S1B_S1C_jS1D_jS1E_S1E_jjS1G_bEUljE0_EEESZ_S10_S11_S18_S1C_S1E_T6_T7_T9_mT8_S1G_bDpT10_ENKUlT_T0_E_clISt17integral_constantIbLb1EES1U_EEDaS1P_S1Q_EUlS1P_E_NS1_11comp_targetILNS1_3genE5ELNS1_11target_archE942ELNS1_3gpuE9ELNS1_3repE0EEENS1_30default_config_static_selectorELNS0_4arch9wavefront6targetE0EEEvS12_,@function
_ZN7rocprim17ROCPRIM_400000_NS6detail17trampoline_kernelINS0_13select_configILj256ELj13ELNS0_17block_load_methodE3ELS4_3ELS4_3ELNS0_20block_scan_algorithmE0ELj4294967295EEENS1_25partition_config_selectorILNS1_17partition_subalgoE4EjNS0_10empty_typeEbEEZZNS1_14partition_implILS8_4ELb0ES6_15HIP_vector_typeIjLj2EENS0_17counting_iteratorIjlEEPS9_SG_NS0_5tupleIJPjSI_NS0_16reverse_iteratorISI_EEEEENSH_IJSG_SG_SG_EEES9_SI_JZNS1_25segmented_radix_sort_implINS0_14default_configELb0EPKiPiPKlPlN2at6native12_GLOBAL__N_18offset_tEEE10hipError_tPvRmT1_PNSt15iterator_traitsIS12_E10value_typeET2_T3_PNS13_IS18_E10value_typeET4_jRbjT5_S1E_jjP12ihipStream_tbEUljE_ZNSN_ISO_Lb0ESQ_SR_ST_SU_SY_EESZ_S10_S11_S12_S16_S17_S18_S1B_S1C_jS1D_jS1E_S1E_jjS1G_bEUljE0_EEESZ_S10_S11_S18_S1C_S1E_T6_T7_T9_mT8_S1G_bDpT10_ENKUlT_T0_E_clISt17integral_constantIbLb1EES1U_EEDaS1P_S1Q_EUlS1P_E_NS1_11comp_targetILNS1_3genE5ELNS1_11target_archE942ELNS1_3gpuE9ELNS1_3repE0EEENS1_30default_config_static_selectorELNS0_4arch9wavefront6targetE0EEEvS12_: ; @_ZN7rocprim17ROCPRIM_400000_NS6detail17trampoline_kernelINS0_13select_configILj256ELj13ELNS0_17block_load_methodE3ELS4_3ELS4_3ELNS0_20block_scan_algorithmE0ELj4294967295EEENS1_25partition_config_selectorILNS1_17partition_subalgoE4EjNS0_10empty_typeEbEEZZNS1_14partition_implILS8_4ELb0ES6_15HIP_vector_typeIjLj2EENS0_17counting_iteratorIjlEEPS9_SG_NS0_5tupleIJPjSI_NS0_16reverse_iteratorISI_EEEEENSH_IJSG_SG_SG_EEES9_SI_JZNS1_25segmented_radix_sort_implINS0_14default_configELb0EPKiPiPKlPlN2at6native12_GLOBAL__N_18offset_tEEE10hipError_tPvRmT1_PNSt15iterator_traitsIS12_E10value_typeET2_T3_PNS13_IS18_E10value_typeET4_jRbjT5_S1E_jjP12ihipStream_tbEUljE_ZNSN_ISO_Lb0ESQ_SR_ST_SU_SY_EESZ_S10_S11_S12_S16_S17_S18_S1B_S1C_jS1D_jS1E_S1E_jjS1G_bEUljE0_EEESZ_S10_S11_S18_S1C_S1E_T6_T7_T9_mT8_S1G_bDpT10_ENKUlT_T0_E_clISt17integral_constantIbLb1EES1U_EEDaS1P_S1Q_EUlS1P_E_NS1_11comp_targetILNS1_3genE5ELNS1_11target_archE942ELNS1_3gpuE9ELNS1_3repE0EEENS1_30default_config_static_selectorELNS0_4arch9wavefront6targetE0EEEvS12_
; %bb.0:
	.section	.rodata,"a",@progbits
	.p2align	6, 0x0
	.amdhsa_kernel _ZN7rocprim17ROCPRIM_400000_NS6detail17trampoline_kernelINS0_13select_configILj256ELj13ELNS0_17block_load_methodE3ELS4_3ELS4_3ELNS0_20block_scan_algorithmE0ELj4294967295EEENS1_25partition_config_selectorILNS1_17partition_subalgoE4EjNS0_10empty_typeEbEEZZNS1_14partition_implILS8_4ELb0ES6_15HIP_vector_typeIjLj2EENS0_17counting_iteratorIjlEEPS9_SG_NS0_5tupleIJPjSI_NS0_16reverse_iteratorISI_EEEEENSH_IJSG_SG_SG_EEES9_SI_JZNS1_25segmented_radix_sort_implINS0_14default_configELb0EPKiPiPKlPlN2at6native12_GLOBAL__N_18offset_tEEE10hipError_tPvRmT1_PNSt15iterator_traitsIS12_E10value_typeET2_T3_PNS13_IS18_E10value_typeET4_jRbjT5_S1E_jjP12ihipStream_tbEUljE_ZNSN_ISO_Lb0ESQ_SR_ST_SU_SY_EESZ_S10_S11_S12_S16_S17_S18_S1B_S1C_jS1D_jS1E_S1E_jjS1G_bEUljE0_EEESZ_S10_S11_S18_S1C_S1E_T6_T7_T9_mT8_S1G_bDpT10_ENKUlT_T0_E_clISt17integral_constantIbLb1EES1U_EEDaS1P_S1Q_EUlS1P_E_NS1_11comp_targetILNS1_3genE5ELNS1_11target_archE942ELNS1_3gpuE9ELNS1_3repE0EEENS1_30default_config_static_selectorELNS0_4arch9wavefront6targetE0EEEvS12_
		.amdhsa_group_segment_fixed_size 0
		.amdhsa_private_segment_fixed_size 0
		.amdhsa_kernarg_size 184
		.amdhsa_user_sgpr_count 2
		.amdhsa_user_sgpr_dispatch_ptr 0
		.amdhsa_user_sgpr_queue_ptr 0
		.amdhsa_user_sgpr_kernarg_segment_ptr 1
		.amdhsa_user_sgpr_dispatch_id 0
		.amdhsa_user_sgpr_kernarg_preload_length 0
		.amdhsa_user_sgpr_kernarg_preload_offset 0
		.amdhsa_user_sgpr_private_segment_size 0
		.amdhsa_wavefront_size32 1
		.amdhsa_uses_dynamic_stack 0
		.amdhsa_enable_private_segment 0
		.amdhsa_system_sgpr_workgroup_id_x 1
		.amdhsa_system_sgpr_workgroup_id_y 0
		.amdhsa_system_sgpr_workgroup_id_z 0
		.amdhsa_system_sgpr_workgroup_info 0
		.amdhsa_system_vgpr_workitem_id 0
		.amdhsa_next_free_vgpr 1
		.amdhsa_next_free_sgpr 1
		.amdhsa_named_barrier_count 0
		.amdhsa_reserve_vcc 0
		.amdhsa_float_round_mode_32 0
		.amdhsa_float_round_mode_16_64 0
		.amdhsa_float_denorm_mode_32 3
		.amdhsa_float_denorm_mode_16_64 3
		.amdhsa_fp16_overflow 0
		.amdhsa_memory_ordered 1
		.amdhsa_forward_progress 1
		.amdhsa_inst_pref_size 0
		.amdhsa_round_robin_scheduling 0
		.amdhsa_exception_fp_ieee_invalid_op 0
		.amdhsa_exception_fp_denorm_src 0
		.amdhsa_exception_fp_ieee_div_zero 0
		.amdhsa_exception_fp_ieee_overflow 0
		.amdhsa_exception_fp_ieee_underflow 0
		.amdhsa_exception_fp_ieee_inexact 0
		.amdhsa_exception_int_div_zero 0
	.end_amdhsa_kernel
	.section	.text._ZN7rocprim17ROCPRIM_400000_NS6detail17trampoline_kernelINS0_13select_configILj256ELj13ELNS0_17block_load_methodE3ELS4_3ELS4_3ELNS0_20block_scan_algorithmE0ELj4294967295EEENS1_25partition_config_selectorILNS1_17partition_subalgoE4EjNS0_10empty_typeEbEEZZNS1_14partition_implILS8_4ELb0ES6_15HIP_vector_typeIjLj2EENS0_17counting_iteratorIjlEEPS9_SG_NS0_5tupleIJPjSI_NS0_16reverse_iteratorISI_EEEEENSH_IJSG_SG_SG_EEES9_SI_JZNS1_25segmented_radix_sort_implINS0_14default_configELb0EPKiPiPKlPlN2at6native12_GLOBAL__N_18offset_tEEE10hipError_tPvRmT1_PNSt15iterator_traitsIS12_E10value_typeET2_T3_PNS13_IS18_E10value_typeET4_jRbjT5_S1E_jjP12ihipStream_tbEUljE_ZNSN_ISO_Lb0ESQ_SR_ST_SU_SY_EESZ_S10_S11_S12_S16_S17_S18_S1B_S1C_jS1D_jS1E_S1E_jjS1G_bEUljE0_EEESZ_S10_S11_S18_S1C_S1E_T6_T7_T9_mT8_S1G_bDpT10_ENKUlT_T0_E_clISt17integral_constantIbLb1EES1U_EEDaS1P_S1Q_EUlS1P_E_NS1_11comp_targetILNS1_3genE5ELNS1_11target_archE942ELNS1_3gpuE9ELNS1_3repE0EEENS1_30default_config_static_selectorELNS0_4arch9wavefront6targetE0EEEvS12_,"axG",@progbits,_ZN7rocprim17ROCPRIM_400000_NS6detail17trampoline_kernelINS0_13select_configILj256ELj13ELNS0_17block_load_methodE3ELS4_3ELS4_3ELNS0_20block_scan_algorithmE0ELj4294967295EEENS1_25partition_config_selectorILNS1_17partition_subalgoE4EjNS0_10empty_typeEbEEZZNS1_14partition_implILS8_4ELb0ES6_15HIP_vector_typeIjLj2EENS0_17counting_iteratorIjlEEPS9_SG_NS0_5tupleIJPjSI_NS0_16reverse_iteratorISI_EEEEENSH_IJSG_SG_SG_EEES9_SI_JZNS1_25segmented_radix_sort_implINS0_14default_configELb0EPKiPiPKlPlN2at6native12_GLOBAL__N_18offset_tEEE10hipError_tPvRmT1_PNSt15iterator_traitsIS12_E10value_typeET2_T3_PNS13_IS18_E10value_typeET4_jRbjT5_S1E_jjP12ihipStream_tbEUljE_ZNSN_ISO_Lb0ESQ_SR_ST_SU_SY_EESZ_S10_S11_S12_S16_S17_S18_S1B_S1C_jS1D_jS1E_S1E_jjS1G_bEUljE0_EEESZ_S10_S11_S18_S1C_S1E_T6_T7_T9_mT8_S1G_bDpT10_ENKUlT_T0_E_clISt17integral_constantIbLb1EES1U_EEDaS1P_S1Q_EUlS1P_E_NS1_11comp_targetILNS1_3genE5ELNS1_11target_archE942ELNS1_3gpuE9ELNS1_3repE0EEENS1_30default_config_static_selectorELNS0_4arch9wavefront6targetE0EEEvS12_,comdat
.Lfunc_end541:
	.size	_ZN7rocprim17ROCPRIM_400000_NS6detail17trampoline_kernelINS0_13select_configILj256ELj13ELNS0_17block_load_methodE3ELS4_3ELS4_3ELNS0_20block_scan_algorithmE0ELj4294967295EEENS1_25partition_config_selectorILNS1_17partition_subalgoE4EjNS0_10empty_typeEbEEZZNS1_14partition_implILS8_4ELb0ES6_15HIP_vector_typeIjLj2EENS0_17counting_iteratorIjlEEPS9_SG_NS0_5tupleIJPjSI_NS0_16reverse_iteratorISI_EEEEENSH_IJSG_SG_SG_EEES9_SI_JZNS1_25segmented_radix_sort_implINS0_14default_configELb0EPKiPiPKlPlN2at6native12_GLOBAL__N_18offset_tEEE10hipError_tPvRmT1_PNSt15iterator_traitsIS12_E10value_typeET2_T3_PNS13_IS18_E10value_typeET4_jRbjT5_S1E_jjP12ihipStream_tbEUljE_ZNSN_ISO_Lb0ESQ_SR_ST_SU_SY_EESZ_S10_S11_S12_S16_S17_S18_S1B_S1C_jS1D_jS1E_S1E_jjS1G_bEUljE0_EEESZ_S10_S11_S18_S1C_S1E_T6_T7_T9_mT8_S1G_bDpT10_ENKUlT_T0_E_clISt17integral_constantIbLb1EES1U_EEDaS1P_S1Q_EUlS1P_E_NS1_11comp_targetILNS1_3genE5ELNS1_11target_archE942ELNS1_3gpuE9ELNS1_3repE0EEENS1_30default_config_static_selectorELNS0_4arch9wavefront6targetE0EEEvS12_, .Lfunc_end541-_ZN7rocprim17ROCPRIM_400000_NS6detail17trampoline_kernelINS0_13select_configILj256ELj13ELNS0_17block_load_methodE3ELS4_3ELS4_3ELNS0_20block_scan_algorithmE0ELj4294967295EEENS1_25partition_config_selectorILNS1_17partition_subalgoE4EjNS0_10empty_typeEbEEZZNS1_14partition_implILS8_4ELb0ES6_15HIP_vector_typeIjLj2EENS0_17counting_iteratorIjlEEPS9_SG_NS0_5tupleIJPjSI_NS0_16reverse_iteratorISI_EEEEENSH_IJSG_SG_SG_EEES9_SI_JZNS1_25segmented_radix_sort_implINS0_14default_configELb0EPKiPiPKlPlN2at6native12_GLOBAL__N_18offset_tEEE10hipError_tPvRmT1_PNSt15iterator_traitsIS12_E10value_typeET2_T3_PNS13_IS18_E10value_typeET4_jRbjT5_S1E_jjP12ihipStream_tbEUljE_ZNSN_ISO_Lb0ESQ_SR_ST_SU_SY_EESZ_S10_S11_S12_S16_S17_S18_S1B_S1C_jS1D_jS1E_S1E_jjS1G_bEUljE0_EEESZ_S10_S11_S18_S1C_S1E_T6_T7_T9_mT8_S1G_bDpT10_ENKUlT_T0_E_clISt17integral_constantIbLb1EES1U_EEDaS1P_S1Q_EUlS1P_E_NS1_11comp_targetILNS1_3genE5ELNS1_11target_archE942ELNS1_3gpuE9ELNS1_3repE0EEENS1_30default_config_static_selectorELNS0_4arch9wavefront6targetE0EEEvS12_
                                        ; -- End function
	.set _ZN7rocprim17ROCPRIM_400000_NS6detail17trampoline_kernelINS0_13select_configILj256ELj13ELNS0_17block_load_methodE3ELS4_3ELS4_3ELNS0_20block_scan_algorithmE0ELj4294967295EEENS1_25partition_config_selectorILNS1_17partition_subalgoE4EjNS0_10empty_typeEbEEZZNS1_14partition_implILS8_4ELb0ES6_15HIP_vector_typeIjLj2EENS0_17counting_iteratorIjlEEPS9_SG_NS0_5tupleIJPjSI_NS0_16reverse_iteratorISI_EEEEENSH_IJSG_SG_SG_EEES9_SI_JZNS1_25segmented_radix_sort_implINS0_14default_configELb0EPKiPiPKlPlN2at6native12_GLOBAL__N_18offset_tEEE10hipError_tPvRmT1_PNSt15iterator_traitsIS12_E10value_typeET2_T3_PNS13_IS18_E10value_typeET4_jRbjT5_S1E_jjP12ihipStream_tbEUljE_ZNSN_ISO_Lb0ESQ_SR_ST_SU_SY_EESZ_S10_S11_S12_S16_S17_S18_S1B_S1C_jS1D_jS1E_S1E_jjS1G_bEUljE0_EEESZ_S10_S11_S18_S1C_S1E_T6_T7_T9_mT8_S1G_bDpT10_ENKUlT_T0_E_clISt17integral_constantIbLb1EES1U_EEDaS1P_S1Q_EUlS1P_E_NS1_11comp_targetILNS1_3genE5ELNS1_11target_archE942ELNS1_3gpuE9ELNS1_3repE0EEENS1_30default_config_static_selectorELNS0_4arch9wavefront6targetE0EEEvS12_.num_vgpr, 0
	.set _ZN7rocprim17ROCPRIM_400000_NS6detail17trampoline_kernelINS0_13select_configILj256ELj13ELNS0_17block_load_methodE3ELS4_3ELS4_3ELNS0_20block_scan_algorithmE0ELj4294967295EEENS1_25partition_config_selectorILNS1_17partition_subalgoE4EjNS0_10empty_typeEbEEZZNS1_14partition_implILS8_4ELb0ES6_15HIP_vector_typeIjLj2EENS0_17counting_iteratorIjlEEPS9_SG_NS0_5tupleIJPjSI_NS0_16reverse_iteratorISI_EEEEENSH_IJSG_SG_SG_EEES9_SI_JZNS1_25segmented_radix_sort_implINS0_14default_configELb0EPKiPiPKlPlN2at6native12_GLOBAL__N_18offset_tEEE10hipError_tPvRmT1_PNSt15iterator_traitsIS12_E10value_typeET2_T3_PNS13_IS18_E10value_typeET4_jRbjT5_S1E_jjP12ihipStream_tbEUljE_ZNSN_ISO_Lb0ESQ_SR_ST_SU_SY_EESZ_S10_S11_S12_S16_S17_S18_S1B_S1C_jS1D_jS1E_S1E_jjS1G_bEUljE0_EEESZ_S10_S11_S18_S1C_S1E_T6_T7_T9_mT8_S1G_bDpT10_ENKUlT_T0_E_clISt17integral_constantIbLb1EES1U_EEDaS1P_S1Q_EUlS1P_E_NS1_11comp_targetILNS1_3genE5ELNS1_11target_archE942ELNS1_3gpuE9ELNS1_3repE0EEENS1_30default_config_static_selectorELNS0_4arch9wavefront6targetE0EEEvS12_.num_agpr, 0
	.set _ZN7rocprim17ROCPRIM_400000_NS6detail17trampoline_kernelINS0_13select_configILj256ELj13ELNS0_17block_load_methodE3ELS4_3ELS4_3ELNS0_20block_scan_algorithmE0ELj4294967295EEENS1_25partition_config_selectorILNS1_17partition_subalgoE4EjNS0_10empty_typeEbEEZZNS1_14partition_implILS8_4ELb0ES6_15HIP_vector_typeIjLj2EENS0_17counting_iteratorIjlEEPS9_SG_NS0_5tupleIJPjSI_NS0_16reverse_iteratorISI_EEEEENSH_IJSG_SG_SG_EEES9_SI_JZNS1_25segmented_radix_sort_implINS0_14default_configELb0EPKiPiPKlPlN2at6native12_GLOBAL__N_18offset_tEEE10hipError_tPvRmT1_PNSt15iterator_traitsIS12_E10value_typeET2_T3_PNS13_IS18_E10value_typeET4_jRbjT5_S1E_jjP12ihipStream_tbEUljE_ZNSN_ISO_Lb0ESQ_SR_ST_SU_SY_EESZ_S10_S11_S12_S16_S17_S18_S1B_S1C_jS1D_jS1E_S1E_jjS1G_bEUljE0_EEESZ_S10_S11_S18_S1C_S1E_T6_T7_T9_mT8_S1G_bDpT10_ENKUlT_T0_E_clISt17integral_constantIbLb1EES1U_EEDaS1P_S1Q_EUlS1P_E_NS1_11comp_targetILNS1_3genE5ELNS1_11target_archE942ELNS1_3gpuE9ELNS1_3repE0EEENS1_30default_config_static_selectorELNS0_4arch9wavefront6targetE0EEEvS12_.numbered_sgpr, 0
	.set _ZN7rocprim17ROCPRIM_400000_NS6detail17trampoline_kernelINS0_13select_configILj256ELj13ELNS0_17block_load_methodE3ELS4_3ELS4_3ELNS0_20block_scan_algorithmE0ELj4294967295EEENS1_25partition_config_selectorILNS1_17partition_subalgoE4EjNS0_10empty_typeEbEEZZNS1_14partition_implILS8_4ELb0ES6_15HIP_vector_typeIjLj2EENS0_17counting_iteratorIjlEEPS9_SG_NS0_5tupleIJPjSI_NS0_16reverse_iteratorISI_EEEEENSH_IJSG_SG_SG_EEES9_SI_JZNS1_25segmented_radix_sort_implINS0_14default_configELb0EPKiPiPKlPlN2at6native12_GLOBAL__N_18offset_tEEE10hipError_tPvRmT1_PNSt15iterator_traitsIS12_E10value_typeET2_T3_PNS13_IS18_E10value_typeET4_jRbjT5_S1E_jjP12ihipStream_tbEUljE_ZNSN_ISO_Lb0ESQ_SR_ST_SU_SY_EESZ_S10_S11_S12_S16_S17_S18_S1B_S1C_jS1D_jS1E_S1E_jjS1G_bEUljE0_EEESZ_S10_S11_S18_S1C_S1E_T6_T7_T9_mT8_S1G_bDpT10_ENKUlT_T0_E_clISt17integral_constantIbLb1EES1U_EEDaS1P_S1Q_EUlS1P_E_NS1_11comp_targetILNS1_3genE5ELNS1_11target_archE942ELNS1_3gpuE9ELNS1_3repE0EEENS1_30default_config_static_selectorELNS0_4arch9wavefront6targetE0EEEvS12_.num_named_barrier, 0
	.set _ZN7rocprim17ROCPRIM_400000_NS6detail17trampoline_kernelINS0_13select_configILj256ELj13ELNS0_17block_load_methodE3ELS4_3ELS4_3ELNS0_20block_scan_algorithmE0ELj4294967295EEENS1_25partition_config_selectorILNS1_17partition_subalgoE4EjNS0_10empty_typeEbEEZZNS1_14partition_implILS8_4ELb0ES6_15HIP_vector_typeIjLj2EENS0_17counting_iteratorIjlEEPS9_SG_NS0_5tupleIJPjSI_NS0_16reverse_iteratorISI_EEEEENSH_IJSG_SG_SG_EEES9_SI_JZNS1_25segmented_radix_sort_implINS0_14default_configELb0EPKiPiPKlPlN2at6native12_GLOBAL__N_18offset_tEEE10hipError_tPvRmT1_PNSt15iterator_traitsIS12_E10value_typeET2_T3_PNS13_IS18_E10value_typeET4_jRbjT5_S1E_jjP12ihipStream_tbEUljE_ZNSN_ISO_Lb0ESQ_SR_ST_SU_SY_EESZ_S10_S11_S12_S16_S17_S18_S1B_S1C_jS1D_jS1E_S1E_jjS1G_bEUljE0_EEESZ_S10_S11_S18_S1C_S1E_T6_T7_T9_mT8_S1G_bDpT10_ENKUlT_T0_E_clISt17integral_constantIbLb1EES1U_EEDaS1P_S1Q_EUlS1P_E_NS1_11comp_targetILNS1_3genE5ELNS1_11target_archE942ELNS1_3gpuE9ELNS1_3repE0EEENS1_30default_config_static_selectorELNS0_4arch9wavefront6targetE0EEEvS12_.private_seg_size, 0
	.set _ZN7rocprim17ROCPRIM_400000_NS6detail17trampoline_kernelINS0_13select_configILj256ELj13ELNS0_17block_load_methodE3ELS4_3ELS4_3ELNS0_20block_scan_algorithmE0ELj4294967295EEENS1_25partition_config_selectorILNS1_17partition_subalgoE4EjNS0_10empty_typeEbEEZZNS1_14partition_implILS8_4ELb0ES6_15HIP_vector_typeIjLj2EENS0_17counting_iteratorIjlEEPS9_SG_NS0_5tupleIJPjSI_NS0_16reverse_iteratorISI_EEEEENSH_IJSG_SG_SG_EEES9_SI_JZNS1_25segmented_radix_sort_implINS0_14default_configELb0EPKiPiPKlPlN2at6native12_GLOBAL__N_18offset_tEEE10hipError_tPvRmT1_PNSt15iterator_traitsIS12_E10value_typeET2_T3_PNS13_IS18_E10value_typeET4_jRbjT5_S1E_jjP12ihipStream_tbEUljE_ZNSN_ISO_Lb0ESQ_SR_ST_SU_SY_EESZ_S10_S11_S12_S16_S17_S18_S1B_S1C_jS1D_jS1E_S1E_jjS1G_bEUljE0_EEESZ_S10_S11_S18_S1C_S1E_T6_T7_T9_mT8_S1G_bDpT10_ENKUlT_T0_E_clISt17integral_constantIbLb1EES1U_EEDaS1P_S1Q_EUlS1P_E_NS1_11comp_targetILNS1_3genE5ELNS1_11target_archE942ELNS1_3gpuE9ELNS1_3repE0EEENS1_30default_config_static_selectorELNS0_4arch9wavefront6targetE0EEEvS12_.uses_vcc, 0
	.set _ZN7rocprim17ROCPRIM_400000_NS6detail17trampoline_kernelINS0_13select_configILj256ELj13ELNS0_17block_load_methodE3ELS4_3ELS4_3ELNS0_20block_scan_algorithmE0ELj4294967295EEENS1_25partition_config_selectorILNS1_17partition_subalgoE4EjNS0_10empty_typeEbEEZZNS1_14partition_implILS8_4ELb0ES6_15HIP_vector_typeIjLj2EENS0_17counting_iteratorIjlEEPS9_SG_NS0_5tupleIJPjSI_NS0_16reverse_iteratorISI_EEEEENSH_IJSG_SG_SG_EEES9_SI_JZNS1_25segmented_radix_sort_implINS0_14default_configELb0EPKiPiPKlPlN2at6native12_GLOBAL__N_18offset_tEEE10hipError_tPvRmT1_PNSt15iterator_traitsIS12_E10value_typeET2_T3_PNS13_IS18_E10value_typeET4_jRbjT5_S1E_jjP12ihipStream_tbEUljE_ZNSN_ISO_Lb0ESQ_SR_ST_SU_SY_EESZ_S10_S11_S12_S16_S17_S18_S1B_S1C_jS1D_jS1E_S1E_jjS1G_bEUljE0_EEESZ_S10_S11_S18_S1C_S1E_T6_T7_T9_mT8_S1G_bDpT10_ENKUlT_T0_E_clISt17integral_constantIbLb1EES1U_EEDaS1P_S1Q_EUlS1P_E_NS1_11comp_targetILNS1_3genE5ELNS1_11target_archE942ELNS1_3gpuE9ELNS1_3repE0EEENS1_30default_config_static_selectorELNS0_4arch9wavefront6targetE0EEEvS12_.uses_flat_scratch, 0
	.set _ZN7rocprim17ROCPRIM_400000_NS6detail17trampoline_kernelINS0_13select_configILj256ELj13ELNS0_17block_load_methodE3ELS4_3ELS4_3ELNS0_20block_scan_algorithmE0ELj4294967295EEENS1_25partition_config_selectorILNS1_17partition_subalgoE4EjNS0_10empty_typeEbEEZZNS1_14partition_implILS8_4ELb0ES6_15HIP_vector_typeIjLj2EENS0_17counting_iteratorIjlEEPS9_SG_NS0_5tupleIJPjSI_NS0_16reverse_iteratorISI_EEEEENSH_IJSG_SG_SG_EEES9_SI_JZNS1_25segmented_radix_sort_implINS0_14default_configELb0EPKiPiPKlPlN2at6native12_GLOBAL__N_18offset_tEEE10hipError_tPvRmT1_PNSt15iterator_traitsIS12_E10value_typeET2_T3_PNS13_IS18_E10value_typeET4_jRbjT5_S1E_jjP12ihipStream_tbEUljE_ZNSN_ISO_Lb0ESQ_SR_ST_SU_SY_EESZ_S10_S11_S12_S16_S17_S18_S1B_S1C_jS1D_jS1E_S1E_jjS1G_bEUljE0_EEESZ_S10_S11_S18_S1C_S1E_T6_T7_T9_mT8_S1G_bDpT10_ENKUlT_T0_E_clISt17integral_constantIbLb1EES1U_EEDaS1P_S1Q_EUlS1P_E_NS1_11comp_targetILNS1_3genE5ELNS1_11target_archE942ELNS1_3gpuE9ELNS1_3repE0EEENS1_30default_config_static_selectorELNS0_4arch9wavefront6targetE0EEEvS12_.has_dyn_sized_stack, 0
	.set _ZN7rocprim17ROCPRIM_400000_NS6detail17trampoline_kernelINS0_13select_configILj256ELj13ELNS0_17block_load_methodE3ELS4_3ELS4_3ELNS0_20block_scan_algorithmE0ELj4294967295EEENS1_25partition_config_selectorILNS1_17partition_subalgoE4EjNS0_10empty_typeEbEEZZNS1_14partition_implILS8_4ELb0ES6_15HIP_vector_typeIjLj2EENS0_17counting_iteratorIjlEEPS9_SG_NS0_5tupleIJPjSI_NS0_16reverse_iteratorISI_EEEEENSH_IJSG_SG_SG_EEES9_SI_JZNS1_25segmented_radix_sort_implINS0_14default_configELb0EPKiPiPKlPlN2at6native12_GLOBAL__N_18offset_tEEE10hipError_tPvRmT1_PNSt15iterator_traitsIS12_E10value_typeET2_T3_PNS13_IS18_E10value_typeET4_jRbjT5_S1E_jjP12ihipStream_tbEUljE_ZNSN_ISO_Lb0ESQ_SR_ST_SU_SY_EESZ_S10_S11_S12_S16_S17_S18_S1B_S1C_jS1D_jS1E_S1E_jjS1G_bEUljE0_EEESZ_S10_S11_S18_S1C_S1E_T6_T7_T9_mT8_S1G_bDpT10_ENKUlT_T0_E_clISt17integral_constantIbLb1EES1U_EEDaS1P_S1Q_EUlS1P_E_NS1_11comp_targetILNS1_3genE5ELNS1_11target_archE942ELNS1_3gpuE9ELNS1_3repE0EEENS1_30default_config_static_selectorELNS0_4arch9wavefront6targetE0EEEvS12_.has_recursion, 0
	.set _ZN7rocprim17ROCPRIM_400000_NS6detail17trampoline_kernelINS0_13select_configILj256ELj13ELNS0_17block_load_methodE3ELS4_3ELS4_3ELNS0_20block_scan_algorithmE0ELj4294967295EEENS1_25partition_config_selectorILNS1_17partition_subalgoE4EjNS0_10empty_typeEbEEZZNS1_14partition_implILS8_4ELb0ES6_15HIP_vector_typeIjLj2EENS0_17counting_iteratorIjlEEPS9_SG_NS0_5tupleIJPjSI_NS0_16reverse_iteratorISI_EEEEENSH_IJSG_SG_SG_EEES9_SI_JZNS1_25segmented_radix_sort_implINS0_14default_configELb0EPKiPiPKlPlN2at6native12_GLOBAL__N_18offset_tEEE10hipError_tPvRmT1_PNSt15iterator_traitsIS12_E10value_typeET2_T3_PNS13_IS18_E10value_typeET4_jRbjT5_S1E_jjP12ihipStream_tbEUljE_ZNSN_ISO_Lb0ESQ_SR_ST_SU_SY_EESZ_S10_S11_S12_S16_S17_S18_S1B_S1C_jS1D_jS1E_S1E_jjS1G_bEUljE0_EEESZ_S10_S11_S18_S1C_S1E_T6_T7_T9_mT8_S1G_bDpT10_ENKUlT_T0_E_clISt17integral_constantIbLb1EES1U_EEDaS1P_S1Q_EUlS1P_E_NS1_11comp_targetILNS1_3genE5ELNS1_11target_archE942ELNS1_3gpuE9ELNS1_3repE0EEENS1_30default_config_static_selectorELNS0_4arch9wavefront6targetE0EEEvS12_.has_indirect_call, 0
	.section	.AMDGPU.csdata,"",@progbits
; Kernel info:
; codeLenInByte = 0
; TotalNumSgprs: 0
; NumVgprs: 0
; ScratchSize: 0
; MemoryBound: 0
; FloatMode: 240
; IeeeMode: 1
; LDSByteSize: 0 bytes/workgroup (compile time only)
; SGPRBlocks: 0
; VGPRBlocks: 0
; NumSGPRsForWavesPerEU: 1
; NumVGPRsForWavesPerEU: 1
; NamedBarCnt: 0
; Occupancy: 16
; WaveLimiterHint : 0
; COMPUTE_PGM_RSRC2:SCRATCH_EN: 0
; COMPUTE_PGM_RSRC2:USER_SGPR: 2
; COMPUTE_PGM_RSRC2:TRAP_HANDLER: 0
; COMPUTE_PGM_RSRC2:TGID_X_EN: 1
; COMPUTE_PGM_RSRC2:TGID_Y_EN: 0
; COMPUTE_PGM_RSRC2:TGID_Z_EN: 0
; COMPUTE_PGM_RSRC2:TIDIG_COMP_CNT: 0
	.section	.text._ZN7rocprim17ROCPRIM_400000_NS6detail17trampoline_kernelINS0_13select_configILj256ELj13ELNS0_17block_load_methodE3ELS4_3ELS4_3ELNS0_20block_scan_algorithmE0ELj4294967295EEENS1_25partition_config_selectorILNS1_17partition_subalgoE4EjNS0_10empty_typeEbEEZZNS1_14partition_implILS8_4ELb0ES6_15HIP_vector_typeIjLj2EENS0_17counting_iteratorIjlEEPS9_SG_NS0_5tupleIJPjSI_NS0_16reverse_iteratorISI_EEEEENSH_IJSG_SG_SG_EEES9_SI_JZNS1_25segmented_radix_sort_implINS0_14default_configELb0EPKiPiPKlPlN2at6native12_GLOBAL__N_18offset_tEEE10hipError_tPvRmT1_PNSt15iterator_traitsIS12_E10value_typeET2_T3_PNS13_IS18_E10value_typeET4_jRbjT5_S1E_jjP12ihipStream_tbEUljE_ZNSN_ISO_Lb0ESQ_SR_ST_SU_SY_EESZ_S10_S11_S12_S16_S17_S18_S1B_S1C_jS1D_jS1E_S1E_jjS1G_bEUljE0_EEESZ_S10_S11_S18_S1C_S1E_T6_T7_T9_mT8_S1G_bDpT10_ENKUlT_T0_E_clISt17integral_constantIbLb1EES1U_EEDaS1P_S1Q_EUlS1P_E_NS1_11comp_targetILNS1_3genE4ELNS1_11target_archE910ELNS1_3gpuE8ELNS1_3repE0EEENS1_30default_config_static_selectorELNS0_4arch9wavefront6targetE0EEEvS12_,"axG",@progbits,_ZN7rocprim17ROCPRIM_400000_NS6detail17trampoline_kernelINS0_13select_configILj256ELj13ELNS0_17block_load_methodE3ELS4_3ELS4_3ELNS0_20block_scan_algorithmE0ELj4294967295EEENS1_25partition_config_selectorILNS1_17partition_subalgoE4EjNS0_10empty_typeEbEEZZNS1_14partition_implILS8_4ELb0ES6_15HIP_vector_typeIjLj2EENS0_17counting_iteratorIjlEEPS9_SG_NS0_5tupleIJPjSI_NS0_16reverse_iteratorISI_EEEEENSH_IJSG_SG_SG_EEES9_SI_JZNS1_25segmented_radix_sort_implINS0_14default_configELb0EPKiPiPKlPlN2at6native12_GLOBAL__N_18offset_tEEE10hipError_tPvRmT1_PNSt15iterator_traitsIS12_E10value_typeET2_T3_PNS13_IS18_E10value_typeET4_jRbjT5_S1E_jjP12ihipStream_tbEUljE_ZNSN_ISO_Lb0ESQ_SR_ST_SU_SY_EESZ_S10_S11_S12_S16_S17_S18_S1B_S1C_jS1D_jS1E_S1E_jjS1G_bEUljE0_EEESZ_S10_S11_S18_S1C_S1E_T6_T7_T9_mT8_S1G_bDpT10_ENKUlT_T0_E_clISt17integral_constantIbLb1EES1U_EEDaS1P_S1Q_EUlS1P_E_NS1_11comp_targetILNS1_3genE4ELNS1_11target_archE910ELNS1_3gpuE8ELNS1_3repE0EEENS1_30default_config_static_selectorELNS0_4arch9wavefront6targetE0EEEvS12_,comdat
	.globl	_ZN7rocprim17ROCPRIM_400000_NS6detail17trampoline_kernelINS0_13select_configILj256ELj13ELNS0_17block_load_methodE3ELS4_3ELS4_3ELNS0_20block_scan_algorithmE0ELj4294967295EEENS1_25partition_config_selectorILNS1_17partition_subalgoE4EjNS0_10empty_typeEbEEZZNS1_14partition_implILS8_4ELb0ES6_15HIP_vector_typeIjLj2EENS0_17counting_iteratorIjlEEPS9_SG_NS0_5tupleIJPjSI_NS0_16reverse_iteratorISI_EEEEENSH_IJSG_SG_SG_EEES9_SI_JZNS1_25segmented_radix_sort_implINS0_14default_configELb0EPKiPiPKlPlN2at6native12_GLOBAL__N_18offset_tEEE10hipError_tPvRmT1_PNSt15iterator_traitsIS12_E10value_typeET2_T3_PNS13_IS18_E10value_typeET4_jRbjT5_S1E_jjP12ihipStream_tbEUljE_ZNSN_ISO_Lb0ESQ_SR_ST_SU_SY_EESZ_S10_S11_S12_S16_S17_S18_S1B_S1C_jS1D_jS1E_S1E_jjS1G_bEUljE0_EEESZ_S10_S11_S18_S1C_S1E_T6_T7_T9_mT8_S1G_bDpT10_ENKUlT_T0_E_clISt17integral_constantIbLb1EES1U_EEDaS1P_S1Q_EUlS1P_E_NS1_11comp_targetILNS1_3genE4ELNS1_11target_archE910ELNS1_3gpuE8ELNS1_3repE0EEENS1_30default_config_static_selectorELNS0_4arch9wavefront6targetE0EEEvS12_ ; -- Begin function _ZN7rocprim17ROCPRIM_400000_NS6detail17trampoline_kernelINS0_13select_configILj256ELj13ELNS0_17block_load_methodE3ELS4_3ELS4_3ELNS0_20block_scan_algorithmE0ELj4294967295EEENS1_25partition_config_selectorILNS1_17partition_subalgoE4EjNS0_10empty_typeEbEEZZNS1_14partition_implILS8_4ELb0ES6_15HIP_vector_typeIjLj2EENS0_17counting_iteratorIjlEEPS9_SG_NS0_5tupleIJPjSI_NS0_16reverse_iteratorISI_EEEEENSH_IJSG_SG_SG_EEES9_SI_JZNS1_25segmented_radix_sort_implINS0_14default_configELb0EPKiPiPKlPlN2at6native12_GLOBAL__N_18offset_tEEE10hipError_tPvRmT1_PNSt15iterator_traitsIS12_E10value_typeET2_T3_PNS13_IS18_E10value_typeET4_jRbjT5_S1E_jjP12ihipStream_tbEUljE_ZNSN_ISO_Lb0ESQ_SR_ST_SU_SY_EESZ_S10_S11_S12_S16_S17_S18_S1B_S1C_jS1D_jS1E_S1E_jjS1G_bEUljE0_EEESZ_S10_S11_S18_S1C_S1E_T6_T7_T9_mT8_S1G_bDpT10_ENKUlT_T0_E_clISt17integral_constantIbLb1EES1U_EEDaS1P_S1Q_EUlS1P_E_NS1_11comp_targetILNS1_3genE4ELNS1_11target_archE910ELNS1_3gpuE8ELNS1_3repE0EEENS1_30default_config_static_selectorELNS0_4arch9wavefront6targetE0EEEvS12_
	.p2align	8
	.type	_ZN7rocprim17ROCPRIM_400000_NS6detail17trampoline_kernelINS0_13select_configILj256ELj13ELNS0_17block_load_methodE3ELS4_3ELS4_3ELNS0_20block_scan_algorithmE0ELj4294967295EEENS1_25partition_config_selectorILNS1_17partition_subalgoE4EjNS0_10empty_typeEbEEZZNS1_14partition_implILS8_4ELb0ES6_15HIP_vector_typeIjLj2EENS0_17counting_iteratorIjlEEPS9_SG_NS0_5tupleIJPjSI_NS0_16reverse_iteratorISI_EEEEENSH_IJSG_SG_SG_EEES9_SI_JZNS1_25segmented_radix_sort_implINS0_14default_configELb0EPKiPiPKlPlN2at6native12_GLOBAL__N_18offset_tEEE10hipError_tPvRmT1_PNSt15iterator_traitsIS12_E10value_typeET2_T3_PNS13_IS18_E10value_typeET4_jRbjT5_S1E_jjP12ihipStream_tbEUljE_ZNSN_ISO_Lb0ESQ_SR_ST_SU_SY_EESZ_S10_S11_S12_S16_S17_S18_S1B_S1C_jS1D_jS1E_S1E_jjS1G_bEUljE0_EEESZ_S10_S11_S18_S1C_S1E_T6_T7_T9_mT8_S1G_bDpT10_ENKUlT_T0_E_clISt17integral_constantIbLb1EES1U_EEDaS1P_S1Q_EUlS1P_E_NS1_11comp_targetILNS1_3genE4ELNS1_11target_archE910ELNS1_3gpuE8ELNS1_3repE0EEENS1_30default_config_static_selectorELNS0_4arch9wavefront6targetE0EEEvS12_,@function
_ZN7rocprim17ROCPRIM_400000_NS6detail17trampoline_kernelINS0_13select_configILj256ELj13ELNS0_17block_load_methodE3ELS4_3ELS4_3ELNS0_20block_scan_algorithmE0ELj4294967295EEENS1_25partition_config_selectorILNS1_17partition_subalgoE4EjNS0_10empty_typeEbEEZZNS1_14partition_implILS8_4ELb0ES6_15HIP_vector_typeIjLj2EENS0_17counting_iteratorIjlEEPS9_SG_NS0_5tupleIJPjSI_NS0_16reverse_iteratorISI_EEEEENSH_IJSG_SG_SG_EEES9_SI_JZNS1_25segmented_radix_sort_implINS0_14default_configELb0EPKiPiPKlPlN2at6native12_GLOBAL__N_18offset_tEEE10hipError_tPvRmT1_PNSt15iterator_traitsIS12_E10value_typeET2_T3_PNS13_IS18_E10value_typeET4_jRbjT5_S1E_jjP12ihipStream_tbEUljE_ZNSN_ISO_Lb0ESQ_SR_ST_SU_SY_EESZ_S10_S11_S12_S16_S17_S18_S1B_S1C_jS1D_jS1E_S1E_jjS1G_bEUljE0_EEESZ_S10_S11_S18_S1C_S1E_T6_T7_T9_mT8_S1G_bDpT10_ENKUlT_T0_E_clISt17integral_constantIbLb1EES1U_EEDaS1P_S1Q_EUlS1P_E_NS1_11comp_targetILNS1_3genE4ELNS1_11target_archE910ELNS1_3gpuE8ELNS1_3repE0EEENS1_30default_config_static_selectorELNS0_4arch9wavefront6targetE0EEEvS12_: ; @_ZN7rocprim17ROCPRIM_400000_NS6detail17trampoline_kernelINS0_13select_configILj256ELj13ELNS0_17block_load_methodE3ELS4_3ELS4_3ELNS0_20block_scan_algorithmE0ELj4294967295EEENS1_25partition_config_selectorILNS1_17partition_subalgoE4EjNS0_10empty_typeEbEEZZNS1_14partition_implILS8_4ELb0ES6_15HIP_vector_typeIjLj2EENS0_17counting_iteratorIjlEEPS9_SG_NS0_5tupleIJPjSI_NS0_16reverse_iteratorISI_EEEEENSH_IJSG_SG_SG_EEES9_SI_JZNS1_25segmented_radix_sort_implINS0_14default_configELb0EPKiPiPKlPlN2at6native12_GLOBAL__N_18offset_tEEE10hipError_tPvRmT1_PNSt15iterator_traitsIS12_E10value_typeET2_T3_PNS13_IS18_E10value_typeET4_jRbjT5_S1E_jjP12ihipStream_tbEUljE_ZNSN_ISO_Lb0ESQ_SR_ST_SU_SY_EESZ_S10_S11_S12_S16_S17_S18_S1B_S1C_jS1D_jS1E_S1E_jjS1G_bEUljE0_EEESZ_S10_S11_S18_S1C_S1E_T6_T7_T9_mT8_S1G_bDpT10_ENKUlT_T0_E_clISt17integral_constantIbLb1EES1U_EEDaS1P_S1Q_EUlS1P_E_NS1_11comp_targetILNS1_3genE4ELNS1_11target_archE910ELNS1_3gpuE8ELNS1_3repE0EEENS1_30default_config_static_selectorELNS0_4arch9wavefront6targetE0EEEvS12_
; %bb.0:
	.section	.rodata,"a",@progbits
	.p2align	6, 0x0
	.amdhsa_kernel _ZN7rocprim17ROCPRIM_400000_NS6detail17trampoline_kernelINS0_13select_configILj256ELj13ELNS0_17block_load_methodE3ELS4_3ELS4_3ELNS0_20block_scan_algorithmE0ELj4294967295EEENS1_25partition_config_selectorILNS1_17partition_subalgoE4EjNS0_10empty_typeEbEEZZNS1_14partition_implILS8_4ELb0ES6_15HIP_vector_typeIjLj2EENS0_17counting_iteratorIjlEEPS9_SG_NS0_5tupleIJPjSI_NS0_16reverse_iteratorISI_EEEEENSH_IJSG_SG_SG_EEES9_SI_JZNS1_25segmented_radix_sort_implINS0_14default_configELb0EPKiPiPKlPlN2at6native12_GLOBAL__N_18offset_tEEE10hipError_tPvRmT1_PNSt15iterator_traitsIS12_E10value_typeET2_T3_PNS13_IS18_E10value_typeET4_jRbjT5_S1E_jjP12ihipStream_tbEUljE_ZNSN_ISO_Lb0ESQ_SR_ST_SU_SY_EESZ_S10_S11_S12_S16_S17_S18_S1B_S1C_jS1D_jS1E_S1E_jjS1G_bEUljE0_EEESZ_S10_S11_S18_S1C_S1E_T6_T7_T9_mT8_S1G_bDpT10_ENKUlT_T0_E_clISt17integral_constantIbLb1EES1U_EEDaS1P_S1Q_EUlS1P_E_NS1_11comp_targetILNS1_3genE4ELNS1_11target_archE910ELNS1_3gpuE8ELNS1_3repE0EEENS1_30default_config_static_selectorELNS0_4arch9wavefront6targetE0EEEvS12_
		.amdhsa_group_segment_fixed_size 0
		.amdhsa_private_segment_fixed_size 0
		.amdhsa_kernarg_size 184
		.amdhsa_user_sgpr_count 2
		.amdhsa_user_sgpr_dispatch_ptr 0
		.amdhsa_user_sgpr_queue_ptr 0
		.amdhsa_user_sgpr_kernarg_segment_ptr 1
		.amdhsa_user_sgpr_dispatch_id 0
		.amdhsa_user_sgpr_kernarg_preload_length 0
		.amdhsa_user_sgpr_kernarg_preload_offset 0
		.amdhsa_user_sgpr_private_segment_size 0
		.amdhsa_wavefront_size32 1
		.amdhsa_uses_dynamic_stack 0
		.amdhsa_enable_private_segment 0
		.amdhsa_system_sgpr_workgroup_id_x 1
		.amdhsa_system_sgpr_workgroup_id_y 0
		.amdhsa_system_sgpr_workgroup_id_z 0
		.amdhsa_system_sgpr_workgroup_info 0
		.amdhsa_system_vgpr_workitem_id 0
		.amdhsa_next_free_vgpr 1
		.amdhsa_next_free_sgpr 1
		.amdhsa_named_barrier_count 0
		.amdhsa_reserve_vcc 0
		.amdhsa_float_round_mode_32 0
		.amdhsa_float_round_mode_16_64 0
		.amdhsa_float_denorm_mode_32 3
		.amdhsa_float_denorm_mode_16_64 3
		.amdhsa_fp16_overflow 0
		.amdhsa_memory_ordered 1
		.amdhsa_forward_progress 1
		.amdhsa_inst_pref_size 0
		.amdhsa_round_robin_scheduling 0
		.amdhsa_exception_fp_ieee_invalid_op 0
		.amdhsa_exception_fp_denorm_src 0
		.amdhsa_exception_fp_ieee_div_zero 0
		.amdhsa_exception_fp_ieee_overflow 0
		.amdhsa_exception_fp_ieee_underflow 0
		.amdhsa_exception_fp_ieee_inexact 0
		.amdhsa_exception_int_div_zero 0
	.end_amdhsa_kernel
	.section	.text._ZN7rocprim17ROCPRIM_400000_NS6detail17trampoline_kernelINS0_13select_configILj256ELj13ELNS0_17block_load_methodE3ELS4_3ELS4_3ELNS0_20block_scan_algorithmE0ELj4294967295EEENS1_25partition_config_selectorILNS1_17partition_subalgoE4EjNS0_10empty_typeEbEEZZNS1_14partition_implILS8_4ELb0ES6_15HIP_vector_typeIjLj2EENS0_17counting_iteratorIjlEEPS9_SG_NS0_5tupleIJPjSI_NS0_16reverse_iteratorISI_EEEEENSH_IJSG_SG_SG_EEES9_SI_JZNS1_25segmented_radix_sort_implINS0_14default_configELb0EPKiPiPKlPlN2at6native12_GLOBAL__N_18offset_tEEE10hipError_tPvRmT1_PNSt15iterator_traitsIS12_E10value_typeET2_T3_PNS13_IS18_E10value_typeET4_jRbjT5_S1E_jjP12ihipStream_tbEUljE_ZNSN_ISO_Lb0ESQ_SR_ST_SU_SY_EESZ_S10_S11_S12_S16_S17_S18_S1B_S1C_jS1D_jS1E_S1E_jjS1G_bEUljE0_EEESZ_S10_S11_S18_S1C_S1E_T6_T7_T9_mT8_S1G_bDpT10_ENKUlT_T0_E_clISt17integral_constantIbLb1EES1U_EEDaS1P_S1Q_EUlS1P_E_NS1_11comp_targetILNS1_3genE4ELNS1_11target_archE910ELNS1_3gpuE8ELNS1_3repE0EEENS1_30default_config_static_selectorELNS0_4arch9wavefront6targetE0EEEvS12_,"axG",@progbits,_ZN7rocprim17ROCPRIM_400000_NS6detail17trampoline_kernelINS0_13select_configILj256ELj13ELNS0_17block_load_methodE3ELS4_3ELS4_3ELNS0_20block_scan_algorithmE0ELj4294967295EEENS1_25partition_config_selectorILNS1_17partition_subalgoE4EjNS0_10empty_typeEbEEZZNS1_14partition_implILS8_4ELb0ES6_15HIP_vector_typeIjLj2EENS0_17counting_iteratorIjlEEPS9_SG_NS0_5tupleIJPjSI_NS0_16reverse_iteratorISI_EEEEENSH_IJSG_SG_SG_EEES9_SI_JZNS1_25segmented_radix_sort_implINS0_14default_configELb0EPKiPiPKlPlN2at6native12_GLOBAL__N_18offset_tEEE10hipError_tPvRmT1_PNSt15iterator_traitsIS12_E10value_typeET2_T3_PNS13_IS18_E10value_typeET4_jRbjT5_S1E_jjP12ihipStream_tbEUljE_ZNSN_ISO_Lb0ESQ_SR_ST_SU_SY_EESZ_S10_S11_S12_S16_S17_S18_S1B_S1C_jS1D_jS1E_S1E_jjS1G_bEUljE0_EEESZ_S10_S11_S18_S1C_S1E_T6_T7_T9_mT8_S1G_bDpT10_ENKUlT_T0_E_clISt17integral_constantIbLb1EES1U_EEDaS1P_S1Q_EUlS1P_E_NS1_11comp_targetILNS1_3genE4ELNS1_11target_archE910ELNS1_3gpuE8ELNS1_3repE0EEENS1_30default_config_static_selectorELNS0_4arch9wavefront6targetE0EEEvS12_,comdat
.Lfunc_end542:
	.size	_ZN7rocprim17ROCPRIM_400000_NS6detail17trampoline_kernelINS0_13select_configILj256ELj13ELNS0_17block_load_methodE3ELS4_3ELS4_3ELNS0_20block_scan_algorithmE0ELj4294967295EEENS1_25partition_config_selectorILNS1_17partition_subalgoE4EjNS0_10empty_typeEbEEZZNS1_14partition_implILS8_4ELb0ES6_15HIP_vector_typeIjLj2EENS0_17counting_iteratorIjlEEPS9_SG_NS0_5tupleIJPjSI_NS0_16reverse_iteratorISI_EEEEENSH_IJSG_SG_SG_EEES9_SI_JZNS1_25segmented_radix_sort_implINS0_14default_configELb0EPKiPiPKlPlN2at6native12_GLOBAL__N_18offset_tEEE10hipError_tPvRmT1_PNSt15iterator_traitsIS12_E10value_typeET2_T3_PNS13_IS18_E10value_typeET4_jRbjT5_S1E_jjP12ihipStream_tbEUljE_ZNSN_ISO_Lb0ESQ_SR_ST_SU_SY_EESZ_S10_S11_S12_S16_S17_S18_S1B_S1C_jS1D_jS1E_S1E_jjS1G_bEUljE0_EEESZ_S10_S11_S18_S1C_S1E_T6_T7_T9_mT8_S1G_bDpT10_ENKUlT_T0_E_clISt17integral_constantIbLb1EES1U_EEDaS1P_S1Q_EUlS1P_E_NS1_11comp_targetILNS1_3genE4ELNS1_11target_archE910ELNS1_3gpuE8ELNS1_3repE0EEENS1_30default_config_static_selectorELNS0_4arch9wavefront6targetE0EEEvS12_, .Lfunc_end542-_ZN7rocprim17ROCPRIM_400000_NS6detail17trampoline_kernelINS0_13select_configILj256ELj13ELNS0_17block_load_methodE3ELS4_3ELS4_3ELNS0_20block_scan_algorithmE0ELj4294967295EEENS1_25partition_config_selectorILNS1_17partition_subalgoE4EjNS0_10empty_typeEbEEZZNS1_14partition_implILS8_4ELb0ES6_15HIP_vector_typeIjLj2EENS0_17counting_iteratorIjlEEPS9_SG_NS0_5tupleIJPjSI_NS0_16reverse_iteratorISI_EEEEENSH_IJSG_SG_SG_EEES9_SI_JZNS1_25segmented_radix_sort_implINS0_14default_configELb0EPKiPiPKlPlN2at6native12_GLOBAL__N_18offset_tEEE10hipError_tPvRmT1_PNSt15iterator_traitsIS12_E10value_typeET2_T3_PNS13_IS18_E10value_typeET4_jRbjT5_S1E_jjP12ihipStream_tbEUljE_ZNSN_ISO_Lb0ESQ_SR_ST_SU_SY_EESZ_S10_S11_S12_S16_S17_S18_S1B_S1C_jS1D_jS1E_S1E_jjS1G_bEUljE0_EEESZ_S10_S11_S18_S1C_S1E_T6_T7_T9_mT8_S1G_bDpT10_ENKUlT_T0_E_clISt17integral_constantIbLb1EES1U_EEDaS1P_S1Q_EUlS1P_E_NS1_11comp_targetILNS1_3genE4ELNS1_11target_archE910ELNS1_3gpuE8ELNS1_3repE0EEENS1_30default_config_static_selectorELNS0_4arch9wavefront6targetE0EEEvS12_
                                        ; -- End function
	.set _ZN7rocprim17ROCPRIM_400000_NS6detail17trampoline_kernelINS0_13select_configILj256ELj13ELNS0_17block_load_methodE3ELS4_3ELS4_3ELNS0_20block_scan_algorithmE0ELj4294967295EEENS1_25partition_config_selectorILNS1_17partition_subalgoE4EjNS0_10empty_typeEbEEZZNS1_14partition_implILS8_4ELb0ES6_15HIP_vector_typeIjLj2EENS0_17counting_iteratorIjlEEPS9_SG_NS0_5tupleIJPjSI_NS0_16reverse_iteratorISI_EEEEENSH_IJSG_SG_SG_EEES9_SI_JZNS1_25segmented_radix_sort_implINS0_14default_configELb0EPKiPiPKlPlN2at6native12_GLOBAL__N_18offset_tEEE10hipError_tPvRmT1_PNSt15iterator_traitsIS12_E10value_typeET2_T3_PNS13_IS18_E10value_typeET4_jRbjT5_S1E_jjP12ihipStream_tbEUljE_ZNSN_ISO_Lb0ESQ_SR_ST_SU_SY_EESZ_S10_S11_S12_S16_S17_S18_S1B_S1C_jS1D_jS1E_S1E_jjS1G_bEUljE0_EEESZ_S10_S11_S18_S1C_S1E_T6_T7_T9_mT8_S1G_bDpT10_ENKUlT_T0_E_clISt17integral_constantIbLb1EES1U_EEDaS1P_S1Q_EUlS1P_E_NS1_11comp_targetILNS1_3genE4ELNS1_11target_archE910ELNS1_3gpuE8ELNS1_3repE0EEENS1_30default_config_static_selectorELNS0_4arch9wavefront6targetE0EEEvS12_.num_vgpr, 0
	.set _ZN7rocprim17ROCPRIM_400000_NS6detail17trampoline_kernelINS0_13select_configILj256ELj13ELNS0_17block_load_methodE3ELS4_3ELS4_3ELNS0_20block_scan_algorithmE0ELj4294967295EEENS1_25partition_config_selectorILNS1_17partition_subalgoE4EjNS0_10empty_typeEbEEZZNS1_14partition_implILS8_4ELb0ES6_15HIP_vector_typeIjLj2EENS0_17counting_iteratorIjlEEPS9_SG_NS0_5tupleIJPjSI_NS0_16reverse_iteratorISI_EEEEENSH_IJSG_SG_SG_EEES9_SI_JZNS1_25segmented_radix_sort_implINS0_14default_configELb0EPKiPiPKlPlN2at6native12_GLOBAL__N_18offset_tEEE10hipError_tPvRmT1_PNSt15iterator_traitsIS12_E10value_typeET2_T3_PNS13_IS18_E10value_typeET4_jRbjT5_S1E_jjP12ihipStream_tbEUljE_ZNSN_ISO_Lb0ESQ_SR_ST_SU_SY_EESZ_S10_S11_S12_S16_S17_S18_S1B_S1C_jS1D_jS1E_S1E_jjS1G_bEUljE0_EEESZ_S10_S11_S18_S1C_S1E_T6_T7_T9_mT8_S1G_bDpT10_ENKUlT_T0_E_clISt17integral_constantIbLb1EES1U_EEDaS1P_S1Q_EUlS1P_E_NS1_11comp_targetILNS1_3genE4ELNS1_11target_archE910ELNS1_3gpuE8ELNS1_3repE0EEENS1_30default_config_static_selectorELNS0_4arch9wavefront6targetE0EEEvS12_.num_agpr, 0
	.set _ZN7rocprim17ROCPRIM_400000_NS6detail17trampoline_kernelINS0_13select_configILj256ELj13ELNS0_17block_load_methodE3ELS4_3ELS4_3ELNS0_20block_scan_algorithmE0ELj4294967295EEENS1_25partition_config_selectorILNS1_17partition_subalgoE4EjNS0_10empty_typeEbEEZZNS1_14partition_implILS8_4ELb0ES6_15HIP_vector_typeIjLj2EENS0_17counting_iteratorIjlEEPS9_SG_NS0_5tupleIJPjSI_NS0_16reverse_iteratorISI_EEEEENSH_IJSG_SG_SG_EEES9_SI_JZNS1_25segmented_radix_sort_implINS0_14default_configELb0EPKiPiPKlPlN2at6native12_GLOBAL__N_18offset_tEEE10hipError_tPvRmT1_PNSt15iterator_traitsIS12_E10value_typeET2_T3_PNS13_IS18_E10value_typeET4_jRbjT5_S1E_jjP12ihipStream_tbEUljE_ZNSN_ISO_Lb0ESQ_SR_ST_SU_SY_EESZ_S10_S11_S12_S16_S17_S18_S1B_S1C_jS1D_jS1E_S1E_jjS1G_bEUljE0_EEESZ_S10_S11_S18_S1C_S1E_T6_T7_T9_mT8_S1G_bDpT10_ENKUlT_T0_E_clISt17integral_constantIbLb1EES1U_EEDaS1P_S1Q_EUlS1P_E_NS1_11comp_targetILNS1_3genE4ELNS1_11target_archE910ELNS1_3gpuE8ELNS1_3repE0EEENS1_30default_config_static_selectorELNS0_4arch9wavefront6targetE0EEEvS12_.numbered_sgpr, 0
	.set _ZN7rocprim17ROCPRIM_400000_NS6detail17trampoline_kernelINS0_13select_configILj256ELj13ELNS0_17block_load_methodE3ELS4_3ELS4_3ELNS0_20block_scan_algorithmE0ELj4294967295EEENS1_25partition_config_selectorILNS1_17partition_subalgoE4EjNS0_10empty_typeEbEEZZNS1_14partition_implILS8_4ELb0ES6_15HIP_vector_typeIjLj2EENS0_17counting_iteratorIjlEEPS9_SG_NS0_5tupleIJPjSI_NS0_16reverse_iteratorISI_EEEEENSH_IJSG_SG_SG_EEES9_SI_JZNS1_25segmented_radix_sort_implINS0_14default_configELb0EPKiPiPKlPlN2at6native12_GLOBAL__N_18offset_tEEE10hipError_tPvRmT1_PNSt15iterator_traitsIS12_E10value_typeET2_T3_PNS13_IS18_E10value_typeET4_jRbjT5_S1E_jjP12ihipStream_tbEUljE_ZNSN_ISO_Lb0ESQ_SR_ST_SU_SY_EESZ_S10_S11_S12_S16_S17_S18_S1B_S1C_jS1D_jS1E_S1E_jjS1G_bEUljE0_EEESZ_S10_S11_S18_S1C_S1E_T6_T7_T9_mT8_S1G_bDpT10_ENKUlT_T0_E_clISt17integral_constantIbLb1EES1U_EEDaS1P_S1Q_EUlS1P_E_NS1_11comp_targetILNS1_3genE4ELNS1_11target_archE910ELNS1_3gpuE8ELNS1_3repE0EEENS1_30default_config_static_selectorELNS0_4arch9wavefront6targetE0EEEvS12_.num_named_barrier, 0
	.set _ZN7rocprim17ROCPRIM_400000_NS6detail17trampoline_kernelINS0_13select_configILj256ELj13ELNS0_17block_load_methodE3ELS4_3ELS4_3ELNS0_20block_scan_algorithmE0ELj4294967295EEENS1_25partition_config_selectorILNS1_17partition_subalgoE4EjNS0_10empty_typeEbEEZZNS1_14partition_implILS8_4ELb0ES6_15HIP_vector_typeIjLj2EENS0_17counting_iteratorIjlEEPS9_SG_NS0_5tupleIJPjSI_NS0_16reverse_iteratorISI_EEEEENSH_IJSG_SG_SG_EEES9_SI_JZNS1_25segmented_radix_sort_implINS0_14default_configELb0EPKiPiPKlPlN2at6native12_GLOBAL__N_18offset_tEEE10hipError_tPvRmT1_PNSt15iterator_traitsIS12_E10value_typeET2_T3_PNS13_IS18_E10value_typeET4_jRbjT5_S1E_jjP12ihipStream_tbEUljE_ZNSN_ISO_Lb0ESQ_SR_ST_SU_SY_EESZ_S10_S11_S12_S16_S17_S18_S1B_S1C_jS1D_jS1E_S1E_jjS1G_bEUljE0_EEESZ_S10_S11_S18_S1C_S1E_T6_T7_T9_mT8_S1G_bDpT10_ENKUlT_T0_E_clISt17integral_constantIbLb1EES1U_EEDaS1P_S1Q_EUlS1P_E_NS1_11comp_targetILNS1_3genE4ELNS1_11target_archE910ELNS1_3gpuE8ELNS1_3repE0EEENS1_30default_config_static_selectorELNS0_4arch9wavefront6targetE0EEEvS12_.private_seg_size, 0
	.set _ZN7rocprim17ROCPRIM_400000_NS6detail17trampoline_kernelINS0_13select_configILj256ELj13ELNS0_17block_load_methodE3ELS4_3ELS4_3ELNS0_20block_scan_algorithmE0ELj4294967295EEENS1_25partition_config_selectorILNS1_17partition_subalgoE4EjNS0_10empty_typeEbEEZZNS1_14partition_implILS8_4ELb0ES6_15HIP_vector_typeIjLj2EENS0_17counting_iteratorIjlEEPS9_SG_NS0_5tupleIJPjSI_NS0_16reverse_iteratorISI_EEEEENSH_IJSG_SG_SG_EEES9_SI_JZNS1_25segmented_radix_sort_implINS0_14default_configELb0EPKiPiPKlPlN2at6native12_GLOBAL__N_18offset_tEEE10hipError_tPvRmT1_PNSt15iterator_traitsIS12_E10value_typeET2_T3_PNS13_IS18_E10value_typeET4_jRbjT5_S1E_jjP12ihipStream_tbEUljE_ZNSN_ISO_Lb0ESQ_SR_ST_SU_SY_EESZ_S10_S11_S12_S16_S17_S18_S1B_S1C_jS1D_jS1E_S1E_jjS1G_bEUljE0_EEESZ_S10_S11_S18_S1C_S1E_T6_T7_T9_mT8_S1G_bDpT10_ENKUlT_T0_E_clISt17integral_constantIbLb1EES1U_EEDaS1P_S1Q_EUlS1P_E_NS1_11comp_targetILNS1_3genE4ELNS1_11target_archE910ELNS1_3gpuE8ELNS1_3repE0EEENS1_30default_config_static_selectorELNS0_4arch9wavefront6targetE0EEEvS12_.uses_vcc, 0
	.set _ZN7rocprim17ROCPRIM_400000_NS6detail17trampoline_kernelINS0_13select_configILj256ELj13ELNS0_17block_load_methodE3ELS4_3ELS4_3ELNS0_20block_scan_algorithmE0ELj4294967295EEENS1_25partition_config_selectorILNS1_17partition_subalgoE4EjNS0_10empty_typeEbEEZZNS1_14partition_implILS8_4ELb0ES6_15HIP_vector_typeIjLj2EENS0_17counting_iteratorIjlEEPS9_SG_NS0_5tupleIJPjSI_NS0_16reverse_iteratorISI_EEEEENSH_IJSG_SG_SG_EEES9_SI_JZNS1_25segmented_radix_sort_implINS0_14default_configELb0EPKiPiPKlPlN2at6native12_GLOBAL__N_18offset_tEEE10hipError_tPvRmT1_PNSt15iterator_traitsIS12_E10value_typeET2_T3_PNS13_IS18_E10value_typeET4_jRbjT5_S1E_jjP12ihipStream_tbEUljE_ZNSN_ISO_Lb0ESQ_SR_ST_SU_SY_EESZ_S10_S11_S12_S16_S17_S18_S1B_S1C_jS1D_jS1E_S1E_jjS1G_bEUljE0_EEESZ_S10_S11_S18_S1C_S1E_T6_T7_T9_mT8_S1G_bDpT10_ENKUlT_T0_E_clISt17integral_constantIbLb1EES1U_EEDaS1P_S1Q_EUlS1P_E_NS1_11comp_targetILNS1_3genE4ELNS1_11target_archE910ELNS1_3gpuE8ELNS1_3repE0EEENS1_30default_config_static_selectorELNS0_4arch9wavefront6targetE0EEEvS12_.uses_flat_scratch, 0
	.set _ZN7rocprim17ROCPRIM_400000_NS6detail17trampoline_kernelINS0_13select_configILj256ELj13ELNS0_17block_load_methodE3ELS4_3ELS4_3ELNS0_20block_scan_algorithmE0ELj4294967295EEENS1_25partition_config_selectorILNS1_17partition_subalgoE4EjNS0_10empty_typeEbEEZZNS1_14partition_implILS8_4ELb0ES6_15HIP_vector_typeIjLj2EENS0_17counting_iteratorIjlEEPS9_SG_NS0_5tupleIJPjSI_NS0_16reverse_iteratorISI_EEEEENSH_IJSG_SG_SG_EEES9_SI_JZNS1_25segmented_radix_sort_implINS0_14default_configELb0EPKiPiPKlPlN2at6native12_GLOBAL__N_18offset_tEEE10hipError_tPvRmT1_PNSt15iterator_traitsIS12_E10value_typeET2_T3_PNS13_IS18_E10value_typeET4_jRbjT5_S1E_jjP12ihipStream_tbEUljE_ZNSN_ISO_Lb0ESQ_SR_ST_SU_SY_EESZ_S10_S11_S12_S16_S17_S18_S1B_S1C_jS1D_jS1E_S1E_jjS1G_bEUljE0_EEESZ_S10_S11_S18_S1C_S1E_T6_T7_T9_mT8_S1G_bDpT10_ENKUlT_T0_E_clISt17integral_constantIbLb1EES1U_EEDaS1P_S1Q_EUlS1P_E_NS1_11comp_targetILNS1_3genE4ELNS1_11target_archE910ELNS1_3gpuE8ELNS1_3repE0EEENS1_30default_config_static_selectorELNS0_4arch9wavefront6targetE0EEEvS12_.has_dyn_sized_stack, 0
	.set _ZN7rocprim17ROCPRIM_400000_NS6detail17trampoline_kernelINS0_13select_configILj256ELj13ELNS0_17block_load_methodE3ELS4_3ELS4_3ELNS0_20block_scan_algorithmE0ELj4294967295EEENS1_25partition_config_selectorILNS1_17partition_subalgoE4EjNS0_10empty_typeEbEEZZNS1_14partition_implILS8_4ELb0ES6_15HIP_vector_typeIjLj2EENS0_17counting_iteratorIjlEEPS9_SG_NS0_5tupleIJPjSI_NS0_16reverse_iteratorISI_EEEEENSH_IJSG_SG_SG_EEES9_SI_JZNS1_25segmented_radix_sort_implINS0_14default_configELb0EPKiPiPKlPlN2at6native12_GLOBAL__N_18offset_tEEE10hipError_tPvRmT1_PNSt15iterator_traitsIS12_E10value_typeET2_T3_PNS13_IS18_E10value_typeET4_jRbjT5_S1E_jjP12ihipStream_tbEUljE_ZNSN_ISO_Lb0ESQ_SR_ST_SU_SY_EESZ_S10_S11_S12_S16_S17_S18_S1B_S1C_jS1D_jS1E_S1E_jjS1G_bEUljE0_EEESZ_S10_S11_S18_S1C_S1E_T6_T7_T9_mT8_S1G_bDpT10_ENKUlT_T0_E_clISt17integral_constantIbLb1EES1U_EEDaS1P_S1Q_EUlS1P_E_NS1_11comp_targetILNS1_3genE4ELNS1_11target_archE910ELNS1_3gpuE8ELNS1_3repE0EEENS1_30default_config_static_selectorELNS0_4arch9wavefront6targetE0EEEvS12_.has_recursion, 0
	.set _ZN7rocprim17ROCPRIM_400000_NS6detail17trampoline_kernelINS0_13select_configILj256ELj13ELNS0_17block_load_methodE3ELS4_3ELS4_3ELNS0_20block_scan_algorithmE0ELj4294967295EEENS1_25partition_config_selectorILNS1_17partition_subalgoE4EjNS0_10empty_typeEbEEZZNS1_14partition_implILS8_4ELb0ES6_15HIP_vector_typeIjLj2EENS0_17counting_iteratorIjlEEPS9_SG_NS0_5tupleIJPjSI_NS0_16reverse_iteratorISI_EEEEENSH_IJSG_SG_SG_EEES9_SI_JZNS1_25segmented_radix_sort_implINS0_14default_configELb0EPKiPiPKlPlN2at6native12_GLOBAL__N_18offset_tEEE10hipError_tPvRmT1_PNSt15iterator_traitsIS12_E10value_typeET2_T3_PNS13_IS18_E10value_typeET4_jRbjT5_S1E_jjP12ihipStream_tbEUljE_ZNSN_ISO_Lb0ESQ_SR_ST_SU_SY_EESZ_S10_S11_S12_S16_S17_S18_S1B_S1C_jS1D_jS1E_S1E_jjS1G_bEUljE0_EEESZ_S10_S11_S18_S1C_S1E_T6_T7_T9_mT8_S1G_bDpT10_ENKUlT_T0_E_clISt17integral_constantIbLb1EES1U_EEDaS1P_S1Q_EUlS1P_E_NS1_11comp_targetILNS1_3genE4ELNS1_11target_archE910ELNS1_3gpuE8ELNS1_3repE0EEENS1_30default_config_static_selectorELNS0_4arch9wavefront6targetE0EEEvS12_.has_indirect_call, 0
	.section	.AMDGPU.csdata,"",@progbits
; Kernel info:
; codeLenInByte = 0
; TotalNumSgprs: 0
; NumVgprs: 0
; ScratchSize: 0
; MemoryBound: 0
; FloatMode: 240
; IeeeMode: 1
; LDSByteSize: 0 bytes/workgroup (compile time only)
; SGPRBlocks: 0
; VGPRBlocks: 0
; NumSGPRsForWavesPerEU: 1
; NumVGPRsForWavesPerEU: 1
; NamedBarCnt: 0
; Occupancy: 16
; WaveLimiterHint : 0
; COMPUTE_PGM_RSRC2:SCRATCH_EN: 0
; COMPUTE_PGM_RSRC2:USER_SGPR: 2
; COMPUTE_PGM_RSRC2:TRAP_HANDLER: 0
; COMPUTE_PGM_RSRC2:TGID_X_EN: 1
; COMPUTE_PGM_RSRC2:TGID_Y_EN: 0
; COMPUTE_PGM_RSRC2:TGID_Z_EN: 0
; COMPUTE_PGM_RSRC2:TIDIG_COMP_CNT: 0
	.section	.text._ZN7rocprim17ROCPRIM_400000_NS6detail17trampoline_kernelINS0_13select_configILj256ELj13ELNS0_17block_load_methodE3ELS4_3ELS4_3ELNS0_20block_scan_algorithmE0ELj4294967295EEENS1_25partition_config_selectorILNS1_17partition_subalgoE4EjNS0_10empty_typeEbEEZZNS1_14partition_implILS8_4ELb0ES6_15HIP_vector_typeIjLj2EENS0_17counting_iteratorIjlEEPS9_SG_NS0_5tupleIJPjSI_NS0_16reverse_iteratorISI_EEEEENSH_IJSG_SG_SG_EEES9_SI_JZNS1_25segmented_radix_sort_implINS0_14default_configELb0EPKiPiPKlPlN2at6native12_GLOBAL__N_18offset_tEEE10hipError_tPvRmT1_PNSt15iterator_traitsIS12_E10value_typeET2_T3_PNS13_IS18_E10value_typeET4_jRbjT5_S1E_jjP12ihipStream_tbEUljE_ZNSN_ISO_Lb0ESQ_SR_ST_SU_SY_EESZ_S10_S11_S12_S16_S17_S18_S1B_S1C_jS1D_jS1E_S1E_jjS1G_bEUljE0_EEESZ_S10_S11_S18_S1C_S1E_T6_T7_T9_mT8_S1G_bDpT10_ENKUlT_T0_E_clISt17integral_constantIbLb1EES1U_EEDaS1P_S1Q_EUlS1P_E_NS1_11comp_targetILNS1_3genE3ELNS1_11target_archE908ELNS1_3gpuE7ELNS1_3repE0EEENS1_30default_config_static_selectorELNS0_4arch9wavefront6targetE0EEEvS12_,"axG",@progbits,_ZN7rocprim17ROCPRIM_400000_NS6detail17trampoline_kernelINS0_13select_configILj256ELj13ELNS0_17block_load_methodE3ELS4_3ELS4_3ELNS0_20block_scan_algorithmE0ELj4294967295EEENS1_25partition_config_selectorILNS1_17partition_subalgoE4EjNS0_10empty_typeEbEEZZNS1_14partition_implILS8_4ELb0ES6_15HIP_vector_typeIjLj2EENS0_17counting_iteratorIjlEEPS9_SG_NS0_5tupleIJPjSI_NS0_16reverse_iteratorISI_EEEEENSH_IJSG_SG_SG_EEES9_SI_JZNS1_25segmented_radix_sort_implINS0_14default_configELb0EPKiPiPKlPlN2at6native12_GLOBAL__N_18offset_tEEE10hipError_tPvRmT1_PNSt15iterator_traitsIS12_E10value_typeET2_T3_PNS13_IS18_E10value_typeET4_jRbjT5_S1E_jjP12ihipStream_tbEUljE_ZNSN_ISO_Lb0ESQ_SR_ST_SU_SY_EESZ_S10_S11_S12_S16_S17_S18_S1B_S1C_jS1D_jS1E_S1E_jjS1G_bEUljE0_EEESZ_S10_S11_S18_S1C_S1E_T6_T7_T9_mT8_S1G_bDpT10_ENKUlT_T0_E_clISt17integral_constantIbLb1EES1U_EEDaS1P_S1Q_EUlS1P_E_NS1_11comp_targetILNS1_3genE3ELNS1_11target_archE908ELNS1_3gpuE7ELNS1_3repE0EEENS1_30default_config_static_selectorELNS0_4arch9wavefront6targetE0EEEvS12_,comdat
	.globl	_ZN7rocprim17ROCPRIM_400000_NS6detail17trampoline_kernelINS0_13select_configILj256ELj13ELNS0_17block_load_methodE3ELS4_3ELS4_3ELNS0_20block_scan_algorithmE0ELj4294967295EEENS1_25partition_config_selectorILNS1_17partition_subalgoE4EjNS0_10empty_typeEbEEZZNS1_14partition_implILS8_4ELb0ES6_15HIP_vector_typeIjLj2EENS0_17counting_iteratorIjlEEPS9_SG_NS0_5tupleIJPjSI_NS0_16reverse_iteratorISI_EEEEENSH_IJSG_SG_SG_EEES9_SI_JZNS1_25segmented_radix_sort_implINS0_14default_configELb0EPKiPiPKlPlN2at6native12_GLOBAL__N_18offset_tEEE10hipError_tPvRmT1_PNSt15iterator_traitsIS12_E10value_typeET2_T3_PNS13_IS18_E10value_typeET4_jRbjT5_S1E_jjP12ihipStream_tbEUljE_ZNSN_ISO_Lb0ESQ_SR_ST_SU_SY_EESZ_S10_S11_S12_S16_S17_S18_S1B_S1C_jS1D_jS1E_S1E_jjS1G_bEUljE0_EEESZ_S10_S11_S18_S1C_S1E_T6_T7_T9_mT8_S1G_bDpT10_ENKUlT_T0_E_clISt17integral_constantIbLb1EES1U_EEDaS1P_S1Q_EUlS1P_E_NS1_11comp_targetILNS1_3genE3ELNS1_11target_archE908ELNS1_3gpuE7ELNS1_3repE0EEENS1_30default_config_static_selectorELNS0_4arch9wavefront6targetE0EEEvS12_ ; -- Begin function _ZN7rocprim17ROCPRIM_400000_NS6detail17trampoline_kernelINS0_13select_configILj256ELj13ELNS0_17block_load_methodE3ELS4_3ELS4_3ELNS0_20block_scan_algorithmE0ELj4294967295EEENS1_25partition_config_selectorILNS1_17partition_subalgoE4EjNS0_10empty_typeEbEEZZNS1_14partition_implILS8_4ELb0ES6_15HIP_vector_typeIjLj2EENS0_17counting_iteratorIjlEEPS9_SG_NS0_5tupleIJPjSI_NS0_16reverse_iteratorISI_EEEEENSH_IJSG_SG_SG_EEES9_SI_JZNS1_25segmented_radix_sort_implINS0_14default_configELb0EPKiPiPKlPlN2at6native12_GLOBAL__N_18offset_tEEE10hipError_tPvRmT1_PNSt15iterator_traitsIS12_E10value_typeET2_T3_PNS13_IS18_E10value_typeET4_jRbjT5_S1E_jjP12ihipStream_tbEUljE_ZNSN_ISO_Lb0ESQ_SR_ST_SU_SY_EESZ_S10_S11_S12_S16_S17_S18_S1B_S1C_jS1D_jS1E_S1E_jjS1G_bEUljE0_EEESZ_S10_S11_S18_S1C_S1E_T6_T7_T9_mT8_S1G_bDpT10_ENKUlT_T0_E_clISt17integral_constantIbLb1EES1U_EEDaS1P_S1Q_EUlS1P_E_NS1_11comp_targetILNS1_3genE3ELNS1_11target_archE908ELNS1_3gpuE7ELNS1_3repE0EEENS1_30default_config_static_selectorELNS0_4arch9wavefront6targetE0EEEvS12_
	.p2align	8
	.type	_ZN7rocprim17ROCPRIM_400000_NS6detail17trampoline_kernelINS0_13select_configILj256ELj13ELNS0_17block_load_methodE3ELS4_3ELS4_3ELNS0_20block_scan_algorithmE0ELj4294967295EEENS1_25partition_config_selectorILNS1_17partition_subalgoE4EjNS0_10empty_typeEbEEZZNS1_14partition_implILS8_4ELb0ES6_15HIP_vector_typeIjLj2EENS0_17counting_iteratorIjlEEPS9_SG_NS0_5tupleIJPjSI_NS0_16reverse_iteratorISI_EEEEENSH_IJSG_SG_SG_EEES9_SI_JZNS1_25segmented_radix_sort_implINS0_14default_configELb0EPKiPiPKlPlN2at6native12_GLOBAL__N_18offset_tEEE10hipError_tPvRmT1_PNSt15iterator_traitsIS12_E10value_typeET2_T3_PNS13_IS18_E10value_typeET4_jRbjT5_S1E_jjP12ihipStream_tbEUljE_ZNSN_ISO_Lb0ESQ_SR_ST_SU_SY_EESZ_S10_S11_S12_S16_S17_S18_S1B_S1C_jS1D_jS1E_S1E_jjS1G_bEUljE0_EEESZ_S10_S11_S18_S1C_S1E_T6_T7_T9_mT8_S1G_bDpT10_ENKUlT_T0_E_clISt17integral_constantIbLb1EES1U_EEDaS1P_S1Q_EUlS1P_E_NS1_11comp_targetILNS1_3genE3ELNS1_11target_archE908ELNS1_3gpuE7ELNS1_3repE0EEENS1_30default_config_static_selectorELNS0_4arch9wavefront6targetE0EEEvS12_,@function
_ZN7rocprim17ROCPRIM_400000_NS6detail17trampoline_kernelINS0_13select_configILj256ELj13ELNS0_17block_load_methodE3ELS4_3ELS4_3ELNS0_20block_scan_algorithmE0ELj4294967295EEENS1_25partition_config_selectorILNS1_17partition_subalgoE4EjNS0_10empty_typeEbEEZZNS1_14partition_implILS8_4ELb0ES6_15HIP_vector_typeIjLj2EENS0_17counting_iteratorIjlEEPS9_SG_NS0_5tupleIJPjSI_NS0_16reverse_iteratorISI_EEEEENSH_IJSG_SG_SG_EEES9_SI_JZNS1_25segmented_radix_sort_implINS0_14default_configELb0EPKiPiPKlPlN2at6native12_GLOBAL__N_18offset_tEEE10hipError_tPvRmT1_PNSt15iterator_traitsIS12_E10value_typeET2_T3_PNS13_IS18_E10value_typeET4_jRbjT5_S1E_jjP12ihipStream_tbEUljE_ZNSN_ISO_Lb0ESQ_SR_ST_SU_SY_EESZ_S10_S11_S12_S16_S17_S18_S1B_S1C_jS1D_jS1E_S1E_jjS1G_bEUljE0_EEESZ_S10_S11_S18_S1C_S1E_T6_T7_T9_mT8_S1G_bDpT10_ENKUlT_T0_E_clISt17integral_constantIbLb1EES1U_EEDaS1P_S1Q_EUlS1P_E_NS1_11comp_targetILNS1_3genE3ELNS1_11target_archE908ELNS1_3gpuE7ELNS1_3repE0EEENS1_30default_config_static_selectorELNS0_4arch9wavefront6targetE0EEEvS12_: ; @_ZN7rocprim17ROCPRIM_400000_NS6detail17trampoline_kernelINS0_13select_configILj256ELj13ELNS0_17block_load_methodE3ELS4_3ELS4_3ELNS0_20block_scan_algorithmE0ELj4294967295EEENS1_25partition_config_selectorILNS1_17partition_subalgoE4EjNS0_10empty_typeEbEEZZNS1_14partition_implILS8_4ELb0ES6_15HIP_vector_typeIjLj2EENS0_17counting_iteratorIjlEEPS9_SG_NS0_5tupleIJPjSI_NS0_16reverse_iteratorISI_EEEEENSH_IJSG_SG_SG_EEES9_SI_JZNS1_25segmented_radix_sort_implINS0_14default_configELb0EPKiPiPKlPlN2at6native12_GLOBAL__N_18offset_tEEE10hipError_tPvRmT1_PNSt15iterator_traitsIS12_E10value_typeET2_T3_PNS13_IS18_E10value_typeET4_jRbjT5_S1E_jjP12ihipStream_tbEUljE_ZNSN_ISO_Lb0ESQ_SR_ST_SU_SY_EESZ_S10_S11_S12_S16_S17_S18_S1B_S1C_jS1D_jS1E_S1E_jjS1G_bEUljE0_EEESZ_S10_S11_S18_S1C_S1E_T6_T7_T9_mT8_S1G_bDpT10_ENKUlT_T0_E_clISt17integral_constantIbLb1EES1U_EEDaS1P_S1Q_EUlS1P_E_NS1_11comp_targetILNS1_3genE3ELNS1_11target_archE908ELNS1_3gpuE7ELNS1_3repE0EEENS1_30default_config_static_selectorELNS0_4arch9wavefront6targetE0EEEvS12_
; %bb.0:
	.section	.rodata,"a",@progbits
	.p2align	6, 0x0
	.amdhsa_kernel _ZN7rocprim17ROCPRIM_400000_NS6detail17trampoline_kernelINS0_13select_configILj256ELj13ELNS0_17block_load_methodE3ELS4_3ELS4_3ELNS0_20block_scan_algorithmE0ELj4294967295EEENS1_25partition_config_selectorILNS1_17partition_subalgoE4EjNS0_10empty_typeEbEEZZNS1_14partition_implILS8_4ELb0ES6_15HIP_vector_typeIjLj2EENS0_17counting_iteratorIjlEEPS9_SG_NS0_5tupleIJPjSI_NS0_16reverse_iteratorISI_EEEEENSH_IJSG_SG_SG_EEES9_SI_JZNS1_25segmented_radix_sort_implINS0_14default_configELb0EPKiPiPKlPlN2at6native12_GLOBAL__N_18offset_tEEE10hipError_tPvRmT1_PNSt15iterator_traitsIS12_E10value_typeET2_T3_PNS13_IS18_E10value_typeET4_jRbjT5_S1E_jjP12ihipStream_tbEUljE_ZNSN_ISO_Lb0ESQ_SR_ST_SU_SY_EESZ_S10_S11_S12_S16_S17_S18_S1B_S1C_jS1D_jS1E_S1E_jjS1G_bEUljE0_EEESZ_S10_S11_S18_S1C_S1E_T6_T7_T9_mT8_S1G_bDpT10_ENKUlT_T0_E_clISt17integral_constantIbLb1EES1U_EEDaS1P_S1Q_EUlS1P_E_NS1_11comp_targetILNS1_3genE3ELNS1_11target_archE908ELNS1_3gpuE7ELNS1_3repE0EEENS1_30default_config_static_selectorELNS0_4arch9wavefront6targetE0EEEvS12_
		.amdhsa_group_segment_fixed_size 0
		.amdhsa_private_segment_fixed_size 0
		.amdhsa_kernarg_size 184
		.amdhsa_user_sgpr_count 2
		.amdhsa_user_sgpr_dispatch_ptr 0
		.amdhsa_user_sgpr_queue_ptr 0
		.amdhsa_user_sgpr_kernarg_segment_ptr 1
		.amdhsa_user_sgpr_dispatch_id 0
		.amdhsa_user_sgpr_kernarg_preload_length 0
		.amdhsa_user_sgpr_kernarg_preload_offset 0
		.amdhsa_user_sgpr_private_segment_size 0
		.amdhsa_wavefront_size32 1
		.amdhsa_uses_dynamic_stack 0
		.amdhsa_enable_private_segment 0
		.amdhsa_system_sgpr_workgroup_id_x 1
		.amdhsa_system_sgpr_workgroup_id_y 0
		.amdhsa_system_sgpr_workgroup_id_z 0
		.amdhsa_system_sgpr_workgroup_info 0
		.amdhsa_system_vgpr_workitem_id 0
		.amdhsa_next_free_vgpr 1
		.amdhsa_next_free_sgpr 1
		.amdhsa_named_barrier_count 0
		.amdhsa_reserve_vcc 0
		.amdhsa_float_round_mode_32 0
		.amdhsa_float_round_mode_16_64 0
		.amdhsa_float_denorm_mode_32 3
		.amdhsa_float_denorm_mode_16_64 3
		.amdhsa_fp16_overflow 0
		.amdhsa_memory_ordered 1
		.amdhsa_forward_progress 1
		.amdhsa_inst_pref_size 0
		.amdhsa_round_robin_scheduling 0
		.amdhsa_exception_fp_ieee_invalid_op 0
		.amdhsa_exception_fp_denorm_src 0
		.amdhsa_exception_fp_ieee_div_zero 0
		.amdhsa_exception_fp_ieee_overflow 0
		.amdhsa_exception_fp_ieee_underflow 0
		.amdhsa_exception_fp_ieee_inexact 0
		.amdhsa_exception_int_div_zero 0
	.end_amdhsa_kernel
	.section	.text._ZN7rocprim17ROCPRIM_400000_NS6detail17trampoline_kernelINS0_13select_configILj256ELj13ELNS0_17block_load_methodE3ELS4_3ELS4_3ELNS0_20block_scan_algorithmE0ELj4294967295EEENS1_25partition_config_selectorILNS1_17partition_subalgoE4EjNS0_10empty_typeEbEEZZNS1_14partition_implILS8_4ELb0ES6_15HIP_vector_typeIjLj2EENS0_17counting_iteratorIjlEEPS9_SG_NS0_5tupleIJPjSI_NS0_16reverse_iteratorISI_EEEEENSH_IJSG_SG_SG_EEES9_SI_JZNS1_25segmented_radix_sort_implINS0_14default_configELb0EPKiPiPKlPlN2at6native12_GLOBAL__N_18offset_tEEE10hipError_tPvRmT1_PNSt15iterator_traitsIS12_E10value_typeET2_T3_PNS13_IS18_E10value_typeET4_jRbjT5_S1E_jjP12ihipStream_tbEUljE_ZNSN_ISO_Lb0ESQ_SR_ST_SU_SY_EESZ_S10_S11_S12_S16_S17_S18_S1B_S1C_jS1D_jS1E_S1E_jjS1G_bEUljE0_EEESZ_S10_S11_S18_S1C_S1E_T6_T7_T9_mT8_S1G_bDpT10_ENKUlT_T0_E_clISt17integral_constantIbLb1EES1U_EEDaS1P_S1Q_EUlS1P_E_NS1_11comp_targetILNS1_3genE3ELNS1_11target_archE908ELNS1_3gpuE7ELNS1_3repE0EEENS1_30default_config_static_selectorELNS0_4arch9wavefront6targetE0EEEvS12_,"axG",@progbits,_ZN7rocprim17ROCPRIM_400000_NS6detail17trampoline_kernelINS0_13select_configILj256ELj13ELNS0_17block_load_methodE3ELS4_3ELS4_3ELNS0_20block_scan_algorithmE0ELj4294967295EEENS1_25partition_config_selectorILNS1_17partition_subalgoE4EjNS0_10empty_typeEbEEZZNS1_14partition_implILS8_4ELb0ES6_15HIP_vector_typeIjLj2EENS0_17counting_iteratorIjlEEPS9_SG_NS0_5tupleIJPjSI_NS0_16reverse_iteratorISI_EEEEENSH_IJSG_SG_SG_EEES9_SI_JZNS1_25segmented_radix_sort_implINS0_14default_configELb0EPKiPiPKlPlN2at6native12_GLOBAL__N_18offset_tEEE10hipError_tPvRmT1_PNSt15iterator_traitsIS12_E10value_typeET2_T3_PNS13_IS18_E10value_typeET4_jRbjT5_S1E_jjP12ihipStream_tbEUljE_ZNSN_ISO_Lb0ESQ_SR_ST_SU_SY_EESZ_S10_S11_S12_S16_S17_S18_S1B_S1C_jS1D_jS1E_S1E_jjS1G_bEUljE0_EEESZ_S10_S11_S18_S1C_S1E_T6_T7_T9_mT8_S1G_bDpT10_ENKUlT_T0_E_clISt17integral_constantIbLb1EES1U_EEDaS1P_S1Q_EUlS1P_E_NS1_11comp_targetILNS1_3genE3ELNS1_11target_archE908ELNS1_3gpuE7ELNS1_3repE0EEENS1_30default_config_static_selectorELNS0_4arch9wavefront6targetE0EEEvS12_,comdat
.Lfunc_end543:
	.size	_ZN7rocprim17ROCPRIM_400000_NS6detail17trampoline_kernelINS0_13select_configILj256ELj13ELNS0_17block_load_methodE3ELS4_3ELS4_3ELNS0_20block_scan_algorithmE0ELj4294967295EEENS1_25partition_config_selectorILNS1_17partition_subalgoE4EjNS0_10empty_typeEbEEZZNS1_14partition_implILS8_4ELb0ES6_15HIP_vector_typeIjLj2EENS0_17counting_iteratorIjlEEPS9_SG_NS0_5tupleIJPjSI_NS0_16reverse_iteratorISI_EEEEENSH_IJSG_SG_SG_EEES9_SI_JZNS1_25segmented_radix_sort_implINS0_14default_configELb0EPKiPiPKlPlN2at6native12_GLOBAL__N_18offset_tEEE10hipError_tPvRmT1_PNSt15iterator_traitsIS12_E10value_typeET2_T3_PNS13_IS18_E10value_typeET4_jRbjT5_S1E_jjP12ihipStream_tbEUljE_ZNSN_ISO_Lb0ESQ_SR_ST_SU_SY_EESZ_S10_S11_S12_S16_S17_S18_S1B_S1C_jS1D_jS1E_S1E_jjS1G_bEUljE0_EEESZ_S10_S11_S18_S1C_S1E_T6_T7_T9_mT8_S1G_bDpT10_ENKUlT_T0_E_clISt17integral_constantIbLb1EES1U_EEDaS1P_S1Q_EUlS1P_E_NS1_11comp_targetILNS1_3genE3ELNS1_11target_archE908ELNS1_3gpuE7ELNS1_3repE0EEENS1_30default_config_static_selectorELNS0_4arch9wavefront6targetE0EEEvS12_, .Lfunc_end543-_ZN7rocprim17ROCPRIM_400000_NS6detail17trampoline_kernelINS0_13select_configILj256ELj13ELNS0_17block_load_methodE3ELS4_3ELS4_3ELNS0_20block_scan_algorithmE0ELj4294967295EEENS1_25partition_config_selectorILNS1_17partition_subalgoE4EjNS0_10empty_typeEbEEZZNS1_14partition_implILS8_4ELb0ES6_15HIP_vector_typeIjLj2EENS0_17counting_iteratorIjlEEPS9_SG_NS0_5tupleIJPjSI_NS0_16reverse_iteratorISI_EEEEENSH_IJSG_SG_SG_EEES9_SI_JZNS1_25segmented_radix_sort_implINS0_14default_configELb0EPKiPiPKlPlN2at6native12_GLOBAL__N_18offset_tEEE10hipError_tPvRmT1_PNSt15iterator_traitsIS12_E10value_typeET2_T3_PNS13_IS18_E10value_typeET4_jRbjT5_S1E_jjP12ihipStream_tbEUljE_ZNSN_ISO_Lb0ESQ_SR_ST_SU_SY_EESZ_S10_S11_S12_S16_S17_S18_S1B_S1C_jS1D_jS1E_S1E_jjS1G_bEUljE0_EEESZ_S10_S11_S18_S1C_S1E_T6_T7_T9_mT8_S1G_bDpT10_ENKUlT_T0_E_clISt17integral_constantIbLb1EES1U_EEDaS1P_S1Q_EUlS1P_E_NS1_11comp_targetILNS1_3genE3ELNS1_11target_archE908ELNS1_3gpuE7ELNS1_3repE0EEENS1_30default_config_static_selectorELNS0_4arch9wavefront6targetE0EEEvS12_
                                        ; -- End function
	.set _ZN7rocprim17ROCPRIM_400000_NS6detail17trampoline_kernelINS0_13select_configILj256ELj13ELNS0_17block_load_methodE3ELS4_3ELS4_3ELNS0_20block_scan_algorithmE0ELj4294967295EEENS1_25partition_config_selectorILNS1_17partition_subalgoE4EjNS0_10empty_typeEbEEZZNS1_14partition_implILS8_4ELb0ES6_15HIP_vector_typeIjLj2EENS0_17counting_iteratorIjlEEPS9_SG_NS0_5tupleIJPjSI_NS0_16reverse_iteratorISI_EEEEENSH_IJSG_SG_SG_EEES9_SI_JZNS1_25segmented_radix_sort_implINS0_14default_configELb0EPKiPiPKlPlN2at6native12_GLOBAL__N_18offset_tEEE10hipError_tPvRmT1_PNSt15iterator_traitsIS12_E10value_typeET2_T3_PNS13_IS18_E10value_typeET4_jRbjT5_S1E_jjP12ihipStream_tbEUljE_ZNSN_ISO_Lb0ESQ_SR_ST_SU_SY_EESZ_S10_S11_S12_S16_S17_S18_S1B_S1C_jS1D_jS1E_S1E_jjS1G_bEUljE0_EEESZ_S10_S11_S18_S1C_S1E_T6_T7_T9_mT8_S1G_bDpT10_ENKUlT_T0_E_clISt17integral_constantIbLb1EES1U_EEDaS1P_S1Q_EUlS1P_E_NS1_11comp_targetILNS1_3genE3ELNS1_11target_archE908ELNS1_3gpuE7ELNS1_3repE0EEENS1_30default_config_static_selectorELNS0_4arch9wavefront6targetE0EEEvS12_.num_vgpr, 0
	.set _ZN7rocprim17ROCPRIM_400000_NS6detail17trampoline_kernelINS0_13select_configILj256ELj13ELNS0_17block_load_methodE3ELS4_3ELS4_3ELNS0_20block_scan_algorithmE0ELj4294967295EEENS1_25partition_config_selectorILNS1_17partition_subalgoE4EjNS0_10empty_typeEbEEZZNS1_14partition_implILS8_4ELb0ES6_15HIP_vector_typeIjLj2EENS0_17counting_iteratorIjlEEPS9_SG_NS0_5tupleIJPjSI_NS0_16reverse_iteratorISI_EEEEENSH_IJSG_SG_SG_EEES9_SI_JZNS1_25segmented_radix_sort_implINS0_14default_configELb0EPKiPiPKlPlN2at6native12_GLOBAL__N_18offset_tEEE10hipError_tPvRmT1_PNSt15iterator_traitsIS12_E10value_typeET2_T3_PNS13_IS18_E10value_typeET4_jRbjT5_S1E_jjP12ihipStream_tbEUljE_ZNSN_ISO_Lb0ESQ_SR_ST_SU_SY_EESZ_S10_S11_S12_S16_S17_S18_S1B_S1C_jS1D_jS1E_S1E_jjS1G_bEUljE0_EEESZ_S10_S11_S18_S1C_S1E_T6_T7_T9_mT8_S1G_bDpT10_ENKUlT_T0_E_clISt17integral_constantIbLb1EES1U_EEDaS1P_S1Q_EUlS1P_E_NS1_11comp_targetILNS1_3genE3ELNS1_11target_archE908ELNS1_3gpuE7ELNS1_3repE0EEENS1_30default_config_static_selectorELNS0_4arch9wavefront6targetE0EEEvS12_.num_agpr, 0
	.set _ZN7rocprim17ROCPRIM_400000_NS6detail17trampoline_kernelINS0_13select_configILj256ELj13ELNS0_17block_load_methodE3ELS4_3ELS4_3ELNS0_20block_scan_algorithmE0ELj4294967295EEENS1_25partition_config_selectorILNS1_17partition_subalgoE4EjNS0_10empty_typeEbEEZZNS1_14partition_implILS8_4ELb0ES6_15HIP_vector_typeIjLj2EENS0_17counting_iteratorIjlEEPS9_SG_NS0_5tupleIJPjSI_NS0_16reverse_iteratorISI_EEEEENSH_IJSG_SG_SG_EEES9_SI_JZNS1_25segmented_radix_sort_implINS0_14default_configELb0EPKiPiPKlPlN2at6native12_GLOBAL__N_18offset_tEEE10hipError_tPvRmT1_PNSt15iterator_traitsIS12_E10value_typeET2_T3_PNS13_IS18_E10value_typeET4_jRbjT5_S1E_jjP12ihipStream_tbEUljE_ZNSN_ISO_Lb0ESQ_SR_ST_SU_SY_EESZ_S10_S11_S12_S16_S17_S18_S1B_S1C_jS1D_jS1E_S1E_jjS1G_bEUljE0_EEESZ_S10_S11_S18_S1C_S1E_T6_T7_T9_mT8_S1G_bDpT10_ENKUlT_T0_E_clISt17integral_constantIbLb1EES1U_EEDaS1P_S1Q_EUlS1P_E_NS1_11comp_targetILNS1_3genE3ELNS1_11target_archE908ELNS1_3gpuE7ELNS1_3repE0EEENS1_30default_config_static_selectorELNS0_4arch9wavefront6targetE0EEEvS12_.numbered_sgpr, 0
	.set _ZN7rocprim17ROCPRIM_400000_NS6detail17trampoline_kernelINS0_13select_configILj256ELj13ELNS0_17block_load_methodE3ELS4_3ELS4_3ELNS0_20block_scan_algorithmE0ELj4294967295EEENS1_25partition_config_selectorILNS1_17partition_subalgoE4EjNS0_10empty_typeEbEEZZNS1_14partition_implILS8_4ELb0ES6_15HIP_vector_typeIjLj2EENS0_17counting_iteratorIjlEEPS9_SG_NS0_5tupleIJPjSI_NS0_16reverse_iteratorISI_EEEEENSH_IJSG_SG_SG_EEES9_SI_JZNS1_25segmented_radix_sort_implINS0_14default_configELb0EPKiPiPKlPlN2at6native12_GLOBAL__N_18offset_tEEE10hipError_tPvRmT1_PNSt15iterator_traitsIS12_E10value_typeET2_T3_PNS13_IS18_E10value_typeET4_jRbjT5_S1E_jjP12ihipStream_tbEUljE_ZNSN_ISO_Lb0ESQ_SR_ST_SU_SY_EESZ_S10_S11_S12_S16_S17_S18_S1B_S1C_jS1D_jS1E_S1E_jjS1G_bEUljE0_EEESZ_S10_S11_S18_S1C_S1E_T6_T7_T9_mT8_S1G_bDpT10_ENKUlT_T0_E_clISt17integral_constantIbLb1EES1U_EEDaS1P_S1Q_EUlS1P_E_NS1_11comp_targetILNS1_3genE3ELNS1_11target_archE908ELNS1_3gpuE7ELNS1_3repE0EEENS1_30default_config_static_selectorELNS0_4arch9wavefront6targetE0EEEvS12_.num_named_barrier, 0
	.set _ZN7rocprim17ROCPRIM_400000_NS6detail17trampoline_kernelINS0_13select_configILj256ELj13ELNS0_17block_load_methodE3ELS4_3ELS4_3ELNS0_20block_scan_algorithmE0ELj4294967295EEENS1_25partition_config_selectorILNS1_17partition_subalgoE4EjNS0_10empty_typeEbEEZZNS1_14partition_implILS8_4ELb0ES6_15HIP_vector_typeIjLj2EENS0_17counting_iteratorIjlEEPS9_SG_NS0_5tupleIJPjSI_NS0_16reverse_iteratorISI_EEEEENSH_IJSG_SG_SG_EEES9_SI_JZNS1_25segmented_radix_sort_implINS0_14default_configELb0EPKiPiPKlPlN2at6native12_GLOBAL__N_18offset_tEEE10hipError_tPvRmT1_PNSt15iterator_traitsIS12_E10value_typeET2_T3_PNS13_IS18_E10value_typeET4_jRbjT5_S1E_jjP12ihipStream_tbEUljE_ZNSN_ISO_Lb0ESQ_SR_ST_SU_SY_EESZ_S10_S11_S12_S16_S17_S18_S1B_S1C_jS1D_jS1E_S1E_jjS1G_bEUljE0_EEESZ_S10_S11_S18_S1C_S1E_T6_T7_T9_mT8_S1G_bDpT10_ENKUlT_T0_E_clISt17integral_constantIbLb1EES1U_EEDaS1P_S1Q_EUlS1P_E_NS1_11comp_targetILNS1_3genE3ELNS1_11target_archE908ELNS1_3gpuE7ELNS1_3repE0EEENS1_30default_config_static_selectorELNS0_4arch9wavefront6targetE0EEEvS12_.private_seg_size, 0
	.set _ZN7rocprim17ROCPRIM_400000_NS6detail17trampoline_kernelINS0_13select_configILj256ELj13ELNS0_17block_load_methodE3ELS4_3ELS4_3ELNS0_20block_scan_algorithmE0ELj4294967295EEENS1_25partition_config_selectorILNS1_17partition_subalgoE4EjNS0_10empty_typeEbEEZZNS1_14partition_implILS8_4ELb0ES6_15HIP_vector_typeIjLj2EENS0_17counting_iteratorIjlEEPS9_SG_NS0_5tupleIJPjSI_NS0_16reverse_iteratorISI_EEEEENSH_IJSG_SG_SG_EEES9_SI_JZNS1_25segmented_radix_sort_implINS0_14default_configELb0EPKiPiPKlPlN2at6native12_GLOBAL__N_18offset_tEEE10hipError_tPvRmT1_PNSt15iterator_traitsIS12_E10value_typeET2_T3_PNS13_IS18_E10value_typeET4_jRbjT5_S1E_jjP12ihipStream_tbEUljE_ZNSN_ISO_Lb0ESQ_SR_ST_SU_SY_EESZ_S10_S11_S12_S16_S17_S18_S1B_S1C_jS1D_jS1E_S1E_jjS1G_bEUljE0_EEESZ_S10_S11_S18_S1C_S1E_T6_T7_T9_mT8_S1G_bDpT10_ENKUlT_T0_E_clISt17integral_constantIbLb1EES1U_EEDaS1P_S1Q_EUlS1P_E_NS1_11comp_targetILNS1_3genE3ELNS1_11target_archE908ELNS1_3gpuE7ELNS1_3repE0EEENS1_30default_config_static_selectorELNS0_4arch9wavefront6targetE0EEEvS12_.uses_vcc, 0
	.set _ZN7rocprim17ROCPRIM_400000_NS6detail17trampoline_kernelINS0_13select_configILj256ELj13ELNS0_17block_load_methodE3ELS4_3ELS4_3ELNS0_20block_scan_algorithmE0ELj4294967295EEENS1_25partition_config_selectorILNS1_17partition_subalgoE4EjNS0_10empty_typeEbEEZZNS1_14partition_implILS8_4ELb0ES6_15HIP_vector_typeIjLj2EENS0_17counting_iteratorIjlEEPS9_SG_NS0_5tupleIJPjSI_NS0_16reverse_iteratorISI_EEEEENSH_IJSG_SG_SG_EEES9_SI_JZNS1_25segmented_radix_sort_implINS0_14default_configELb0EPKiPiPKlPlN2at6native12_GLOBAL__N_18offset_tEEE10hipError_tPvRmT1_PNSt15iterator_traitsIS12_E10value_typeET2_T3_PNS13_IS18_E10value_typeET4_jRbjT5_S1E_jjP12ihipStream_tbEUljE_ZNSN_ISO_Lb0ESQ_SR_ST_SU_SY_EESZ_S10_S11_S12_S16_S17_S18_S1B_S1C_jS1D_jS1E_S1E_jjS1G_bEUljE0_EEESZ_S10_S11_S18_S1C_S1E_T6_T7_T9_mT8_S1G_bDpT10_ENKUlT_T0_E_clISt17integral_constantIbLb1EES1U_EEDaS1P_S1Q_EUlS1P_E_NS1_11comp_targetILNS1_3genE3ELNS1_11target_archE908ELNS1_3gpuE7ELNS1_3repE0EEENS1_30default_config_static_selectorELNS0_4arch9wavefront6targetE0EEEvS12_.uses_flat_scratch, 0
	.set _ZN7rocprim17ROCPRIM_400000_NS6detail17trampoline_kernelINS0_13select_configILj256ELj13ELNS0_17block_load_methodE3ELS4_3ELS4_3ELNS0_20block_scan_algorithmE0ELj4294967295EEENS1_25partition_config_selectorILNS1_17partition_subalgoE4EjNS0_10empty_typeEbEEZZNS1_14partition_implILS8_4ELb0ES6_15HIP_vector_typeIjLj2EENS0_17counting_iteratorIjlEEPS9_SG_NS0_5tupleIJPjSI_NS0_16reverse_iteratorISI_EEEEENSH_IJSG_SG_SG_EEES9_SI_JZNS1_25segmented_radix_sort_implINS0_14default_configELb0EPKiPiPKlPlN2at6native12_GLOBAL__N_18offset_tEEE10hipError_tPvRmT1_PNSt15iterator_traitsIS12_E10value_typeET2_T3_PNS13_IS18_E10value_typeET4_jRbjT5_S1E_jjP12ihipStream_tbEUljE_ZNSN_ISO_Lb0ESQ_SR_ST_SU_SY_EESZ_S10_S11_S12_S16_S17_S18_S1B_S1C_jS1D_jS1E_S1E_jjS1G_bEUljE0_EEESZ_S10_S11_S18_S1C_S1E_T6_T7_T9_mT8_S1G_bDpT10_ENKUlT_T0_E_clISt17integral_constantIbLb1EES1U_EEDaS1P_S1Q_EUlS1P_E_NS1_11comp_targetILNS1_3genE3ELNS1_11target_archE908ELNS1_3gpuE7ELNS1_3repE0EEENS1_30default_config_static_selectorELNS0_4arch9wavefront6targetE0EEEvS12_.has_dyn_sized_stack, 0
	.set _ZN7rocprim17ROCPRIM_400000_NS6detail17trampoline_kernelINS0_13select_configILj256ELj13ELNS0_17block_load_methodE3ELS4_3ELS4_3ELNS0_20block_scan_algorithmE0ELj4294967295EEENS1_25partition_config_selectorILNS1_17partition_subalgoE4EjNS0_10empty_typeEbEEZZNS1_14partition_implILS8_4ELb0ES6_15HIP_vector_typeIjLj2EENS0_17counting_iteratorIjlEEPS9_SG_NS0_5tupleIJPjSI_NS0_16reverse_iteratorISI_EEEEENSH_IJSG_SG_SG_EEES9_SI_JZNS1_25segmented_radix_sort_implINS0_14default_configELb0EPKiPiPKlPlN2at6native12_GLOBAL__N_18offset_tEEE10hipError_tPvRmT1_PNSt15iterator_traitsIS12_E10value_typeET2_T3_PNS13_IS18_E10value_typeET4_jRbjT5_S1E_jjP12ihipStream_tbEUljE_ZNSN_ISO_Lb0ESQ_SR_ST_SU_SY_EESZ_S10_S11_S12_S16_S17_S18_S1B_S1C_jS1D_jS1E_S1E_jjS1G_bEUljE0_EEESZ_S10_S11_S18_S1C_S1E_T6_T7_T9_mT8_S1G_bDpT10_ENKUlT_T0_E_clISt17integral_constantIbLb1EES1U_EEDaS1P_S1Q_EUlS1P_E_NS1_11comp_targetILNS1_3genE3ELNS1_11target_archE908ELNS1_3gpuE7ELNS1_3repE0EEENS1_30default_config_static_selectorELNS0_4arch9wavefront6targetE0EEEvS12_.has_recursion, 0
	.set _ZN7rocprim17ROCPRIM_400000_NS6detail17trampoline_kernelINS0_13select_configILj256ELj13ELNS0_17block_load_methodE3ELS4_3ELS4_3ELNS0_20block_scan_algorithmE0ELj4294967295EEENS1_25partition_config_selectorILNS1_17partition_subalgoE4EjNS0_10empty_typeEbEEZZNS1_14partition_implILS8_4ELb0ES6_15HIP_vector_typeIjLj2EENS0_17counting_iteratorIjlEEPS9_SG_NS0_5tupleIJPjSI_NS0_16reverse_iteratorISI_EEEEENSH_IJSG_SG_SG_EEES9_SI_JZNS1_25segmented_radix_sort_implINS0_14default_configELb0EPKiPiPKlPlN2at6native12_GLOBAL__N_18offset_tEEE10hipError_tPvRmT1_PNSt15iterator_traitsIS12_E10value_typeET2_T3_PNS13_IS18_E10value_typeET4_jRbjT5_S1E_jjP12ihipStream_tbEUljE_ZNSN_ISO_Lb0ESQ_SR_ST_SU_SY_EESZ_S10_S11_S12_S16_S17_S18_S1B_S1C_jS1D_jS1E_S1E_jjS1G_bEUljE0_EEESZ_S10_S11_S18_S1C_S1E_T6_T7_T9_mT8_S1G_bDpT10_ENKUlT_T0_E_clISt17integral_constantIbLb1EES1U_EEDaS1P_S1Q_EUlS1P_E_NS1_11comp_targetILNS1_3genE3ELNS1_11target_archE908ELNS1_3gpuE7ELNS1_3repE0EEENS1_30default_config_static_selectorELNS0_4arch9wavefront6targetE0EEEvS12_.has_indirect_call, 0
	.section	.AMDGPU.csdata,"",@progbits
; Kernel info:
; codeLenInByte = 0
; TotalNumSgprs: 0
; NumVgprs: 0
; ScratchSize: 0
; MemoryBound: 0
; FloatMode: 240
; IeeeMode: 1
; LDSByteSize: 0 bytes/workgroup (compile time only)
; SGPRBlocks: 0
; VGPRBlocks: 0
; NumSGPRsForWavesPerEU: 1
; NumVGPRsForWavesPerEU: 1
; NamedBarCnt: 0
; Occupancy: 16
; WaveLimiterHint : 0
; COMPUTE_PGM_RSRC2:SCRATCH_EN: 0
; COMPUTE_PGM_RSRC2:USER_SGPR: 2
; COMPUTE_PGM_RSRC2:TRAP_HANDLER: 0
; COMPUTE_PGM_RSRC2:TGID_X_EN: 1
; COMPUTE_PGM_RSRC2:TGID_Y_EN: 0
; COMPUTE_PGM_RSRC2:TGID_Z_EN: 0
; COMPUTE_PGM_RSRC2:TIDIG_COMP_CNT: 0
	.section	.text._ZN7rocprim17ROCPRIM_400000_NS6detail17trampoline_kernelINS0_13select_configILj256ELj13ELNS0_17block_load_methodE3ELS4_3ELS4_3ELNS0_20block_scan_algorithmE0ELj4294967295EEENS1_25partition_config_selectorILNS1_17partition_subalgoE4EjNS0_10empty_typeEbEEZZNS1_14partition_implILS8_4ELb0ES6_15HIP_vector_typeIjLj2EENS0_17counting_iteratorIjlEEPS9_SG_NS0_5tupleIJPjSI_NS0_16reverse_iteratorISI_EEEEENSH_IJSG_SG_SG_EEES9_SI_JZNS1_25segmented_radix_sort_implINS0_14default_configELb0EPKiPiPKlPlN2at6native12_GLOBAL__N_18offset_tEEE10hipError_tPvRmT1_PNSt15iterator_traitsIS12_E10value_typeET2_T3_PNS13_IS18_E10value_typeET4_jRbjT5_S1E_jjP12ihipStream_tbEUljE_ZNSN_ISO_Lb0ESQ_SR_ST_SU_SY_EESZ_S10_S11_S12_S16_S17_S18_S1B_S1C_jS1D_jS1E_S1E_jjS1G_bEUljE0_EEESZ_S10_S11_S18_S1C_S1E_T6_T7_T9_mT8_S1G_bDpT10_ENKUlT_T0_E_clISt17integral_constantIbLb1EES1U_EEDaS1P_S1Q_EUlS1P_E_NS1_11comp_targetILNS1_3genE2ELNS1_11target_archE906ELNS1_3gpuE6ELNS1_3repE0EEENS1_30default_config_static_selectorELNS0_4arch9wavefront6targetE0EEEvS12_,"axG",@progbits,_ZN7rocprim17ROCPRIM_400000_NS6detail17trampoline_kernelINS0_13select_configILj256ELj13ELNS0_17block_load_methodE3ELS4_3ELS4_3ELNS0_20block_scan_algorithmE0ELj4294967295EEENS1_25partition_config_selectorILNS1_17partition_subalgoE4EjNS0_10empty_typeEbEEZZNS1_14partition_implILS8_4ELb0ES6_15HIP_vector_typeIjLj2EENS0_17counting_iteratorIjlEEPS9_SG_NS0_5tupleIJPjSI_NS0_16reverse_iteratorISI_EEEEENSH_IJSG_SG_SG_EEES9_SI_JZNS1_25segmented_radix_sort_implINS0_14default_configELb0EPKiPiPKlPlN2at6native12_GLOBAL__N_18offset_tEEE10hipError_tPvRmT1_PNSt15iterator_traitsIS12_E10value_typeET2_T3_PNS13_IS18_E10value_typeET4_jRbjT5_S1E_jjP12ihipStream_tbEUljE_ZNSN_ISO_Lb0ESQ_SR_ST_SU_SY_EESZ_S10_S11_S12_S16_S17_S18_S1B_S1C_jS1D_jS1E_S1E_jjS1G_bEUljE0_EEESZ_S10_S11_S18_S1C_S1E_T6_T7_T9_mT8_S1G_bDpT10_ENKUlT_T0_E_clISt17integral_constantIbLb1EES1U_EEDaS1P_S1Q_EUlS1P_E_NS1_11comp_targetILNS1_3genE2ELNS1_11target_archE906ELNS1_3gpuE6ELNS1_3repE0EEENS1_30default_config_static_selectorELNS0_4arch9wavefront6targetE0EEEvS12_,comdat
	.globl	_ZN7rocprim17ROCPRIM_400000_NS6detail17trampoline_kernelINS0_13select_configILj256ELj13ELNS0_17block_load_methodE3ELS4_3ELS4_3ELNS0_20block_scan_algorithmE0ELj4294967295EEENS1_25partition_config_selectorILNS1_17partition_subalgoE4EjNS0_10empty_typeEbEEZZNS1_14partition_implILS8_4ELb0ES6_15HIP_vector_typeIjLj2EENS0_17counting_iteratorIjlEEPS9_SG_NS0_5tupleIJPjSI_NS0_16reverse_iteratorISI_EEEEENSH_IJSG_SG_SG_EEES9_SI_JZNS1_25segmented_radix_sort_implINS0_14default_configELb0EPKiPiPKlPlN2at6native12_GLOBAL__N_18offset_tEEE10hipError_tPvRmT1_PNSt15iterator_traitsIS12_E10value_typeET2_T3_PNS13_IS18_E10value_typeET4_jRbjT5_S1E_jjP12ihipStream_tbEUljE_ZNSN_ISO_Lb0ESQ_SR_ST_SU_SY_EESZ_S10_S11_S12_S16_S17_S18_S1B_S1C_jS1D_jS1E_S1E_jjS1G_bEUljE0_EEESZ_S10_S11_S18_S1C_S1E_T6_T7_T9_mT8_S1G_bDpT10_ENKUlT_T0_E_clISt17integral_constantIbLb1EES1U_EEDaS1P_S1Q_EUlS1P_E_NS1_11comp_targetILNS1_3genE2ELNS1_11target_archE906ELNS1_3gpuE6ELNS1_3repE0EEENS1_30default_config_static_selectorELNS0_4arch9wavefront6targetE0EEEvS12_ ; -- Begin function _ZN7rocprim17ROCPRIM_400000_NS6detail17trampoline_kernelINS0_13select_configILj256ELj13ELNS0_17block_load_methodE3ELS4_3ELS4_3ELNS0_20block_scan_algorithmE0ELj4294967295EEENS1_25partition_config_selectorILNS1_17partition_subalgoE4EjNS0_10empty_typeEbEEZZNS1_14partition_implILS8_4ELb0ES6_15HIP_vector_typeIjLj2EENS0_17counting_iteratorIjlEEPS9_SG_NS0_5tupleIJPjSI_NS0_16reverse_iteratorISI_EEEEENSH_IJSG_SG_SG_EEES9_SI_JZNS1_25segmented_radix_sort_implINS0_14default_configELb0EPKiPiPKlPlN2at6native12_GLOBAL__N_18offset_tEEE10hipError_tPvRmT1_PNSt15iterator_traitsIS12_E10value_typeET2_T3_PNS13_IS18_E10value_typeET4_jRbjT5_S1E_jjP12ihipStream_tbEUljE_ZNSN_ISO_Lb0ESQ_SR_ST_SU_SY_EESZ_S10_S11_S12_S16_S17_S18_S1B_S1C_jS1D_jS1E_S1E_jjS1G_bEUljE0_EEESZ_S10_S11_S18_S1C_S1E_T6_T7_T9_mT8_S1G_bDpT10_ENKUlT_T0_E_clISt17integral_constantIbLb1EES1U_EEDaS1P_S1Q_EUlS1P_E_NS1_11comp_targetILNS1_3genE2ELNS1_11target_archE906ELNS1_3gpuE6ELNS1_3repE0EEENS1_30default_config_static_selectorELNS0_4arch9wavefront6targetE0EEEvS12_
	.p2align	8
	.type	_ZN7rocprim17ROCPRIM_400000_NS6detail17trampoline_kernelINS0_13select_configILj256ELj13ELNS0_17block_load_methodE3ELS4_3ELS4_3ELNS0_20block_scan_algorithmE0ELj4294967295EEENS1_25partition_config_selectorILNS1_17partition_subalgoE4EjNS0_10empty_typeEbEEZZNS1_14partition_implILS8_4ELb0ES6_15HIP_vector_typeIjLj2EENS0_17counting_iteratorIjlEEPS9_SG_NS0_5tupleIJPjSI_NS0_16reverse_iteratorISI_EEEEENSH_IJSG_SG_SG_EEES9_SI_JZNS1_25segmented_radix_sort_implINS0_14default_configELb0EPKiPiPKlPlN2at6native12_GLOBAL__N_18offset_tEEE10hipError_tPvRmT1_PNSt15iterator_traitsIS12_E10value_typeET2_T3_PNS13_IS18_E10value_typeET4_jRbjT5_S1E_jjP12ihipStream_tbEUljE_ZNSN_ISO_Lb0ESQ_SR_ST_SU_SY_EESZ_S10_S11_S12_S16_S17_S18_S1B_S1C_jS1D_jS1E_S1E_jjS1G_bEUljE0_EEESZ_S10_S11_S18_S1C_S1E_T6_T7_T9_mT8_S1G_bDpT10_ENKUlT_T0_E_clISt17integral_constantIbLb1EES1U_EEDaS1P_S1Q_EUlS1P_E_NS1_11comp_targetILNS1_3genE2ELNS1_11target_archE906ELNS1_3gpuE6ELNS1_3repE0EEENS1_30default_config_static_selectorELNS0_4arch9wavefront6targetE0EEEvS12_,@function
_ZN7rocprim17ROCPRIM_400000_NS6detail17trampoline_kernelINS0_13select_configILj256ELj13ELNS0_17block_load_methodE3ELS4_3ELS4_3ELNS0_20block_scan_algorithmE0ELj4294967295EEENS1_25partition_config_selectorILNS1_17partition_subalgoE4EjNS0_10empty_typeEbEEZZNS1_14partition_implILS8_4ELb0ES6_15HIP_vector_typeIjLj2EENS0_17counting_iteratorIjlEEPS9_SG_NS0_5tupleIJPjSI_NS0_16reverse_iteratorISI_EEEEENSH_IJSG_SG_SG_EEES9_SI_JZNS1_25segmented_radix_sort_implINS0_14default_configELb0EPKiPiPKlPlN2at6native12_GLOBAL__N_18offset_tEEE10hipError_tPvRmT1_PNSt15iterator_traitsIS12_E10value_typeET2_T3_PNS13_IS18_E10value_typeET4_jRbjT5_S1E_jjP12ihipStream_tbEUljE_ZNSN_ISO_Lb0ESQ_SR_ST_SU_SY_EESZ_S10_S11_S12_S16_S17_S18_S1B_S1C_jS1D_jS1E_S1E_jjS1G_bEUljE0_EEESZ_S10_S11_S18_S1C_S1E_T6_T7_T9_mT8_S1G_bDpT10_ENKUlT_T0_E_clISt17integral_constantIbLb1EES1U_EEDaS1P_S1Q_EUlS1P_E_NS1_11comp_targetILNS1_3genE2ELNS1_11target_archE906ELNS1_3gpuE6ELNS1_3repE0EEENS1_30default_config_static_selectorELNS0_4arch9wavefront6targetE0EEEvS12_: ; @_ZN7rocprim17ROCPRIM_400000_NS6detail17trampoline_kernelINS0_13select_configILj256ELj13ELNS0_17block_load_methodE3ELS4_3ELS4_3ELNS0_20block_scan_algorithmE0ELj4294967295EEENS1_25partition_config_selectorILNS1_17partition_subalgoE4EjNS0_10empty_typeEbEEZZNS1_14partition_implILS8_4ELb0ES6_15HIP_vector_typeIjLj2EENS0_17counting_iteratorIjlEEPS9_SG_NS0_5tupleIJPjSI_NS0_16reverse_iteratorISI_EEEEENSH_IJSG_SG_SG_EEES9_SI_JZNS1_25segmented_radix_sort_implINS0_14default_configELb0EPKiPiPKlPlN2at6native12_GLOBAL__N_18offset_tEEE10hipError_tPvRmT1_PNSt15iterator_traitsIS12_E10value_typeET2_T3_PNS13_IS18_E10value_typeET4_jRbjT5_S1E_jjP12ihipStream_tbEUljE_ZNSN_ISO_Lb0ESQ_SR_ST_SU_SY_EESZ_S10_S11_S12_S16_S17_S18_S1B_S1C_jS1D_jS1E_S1E_jjS1G_bEUljE0_EEESZ_S10_S11_S18_S1C_S1E_T6_T7_T9_mT8_S1G_bDpT10_ENKUlT_T0_E_clISt17integral_constantIbLb1EES1U_EEDaS1P_S1Q_EUlS1P_E_NS1_11comp_targetILNS1_3genE2ELNS1_11target_archE906ELNS1_3gpuE6ELNS1_3repE0EEENS1_30default_config_static_selectorELNS0_4arch9wavefront6targetE0EEEvS12_
; %bb.0:
	.section	.rodata,"a",@progbits
	.p2align	6, 0x0
	.amdhsa_kernel _ZN7rocprim17ROCPRIM_400000_NS6detail17trampoline_kernelINS0_13select_configILj256ELj13ELNS0_17block_load_methodE3ELS4_3ELS4_3ELNS0_20block_scan_algorithmE0ELj4294967295EEENS1_25partition_config_selectorILNS1_17partition_subalgoE4EjNS0_10empty_typeEbEEZZNS1_14partition_implILS8_4ELb0ES6_15HIP_vector_typeIjLj2EENS0_17counting_iteratorIjlEEPS9_SG_NS0_5tupleIJPjSI_NS0_16reverse_iteratorISI_EEEEENSH_IJSG_SG_SG_EEES9_SI_JZNS1_25segmented_radix_sort_implINS0_14default_configELb0EPKiPiPKlPlN2at6native12_GLOBAL__N_18offset_tEEE10hipError_tPvRmT1_PNSt15iterator_traitsIS12_E10value_typeET2_T3_PNS13_IS18_E10value_typeET4_jRbjT5_S1E_jjP12ihipStream_tbEUljE_ZNSN_ISO_Lb0ESQ_SR_ST_SU_SY_EESZ_S10_S11_S12_S16_S17_S18_S1B_S1C_jS1D_jS1E_S1E_jjS1G_bEUljE0_EEESZ_S10_S11_S18_S1C_S1E_T6_T7_T9_mT8_S1G_bDpT10_ENKUlT_T0_E_clISt17integral_constantIbLb1EES1U_EEDaS1P_S1Q_EUlS1P_E_NS1_11comp_targetILNS1_3genE2ELNS1_11target_archE906ELNS1_3gpuE6ELNS1_3repE0EEENS1_30default_config_static_selectorELNS0_4arch9wavefront6targetE0EEEvS12_
		.amdhsa_group_segment_fixed_size 0
		.amdhsa_private_segment_fixed_size 0
		.amdhsa_kernarg_size 184
		.amdhsa_user_sgpr_count 2
		.amdhsa_user_sgpr_dispatch_ptr 0
		.amdhsa_user_sgpr_queue_ptr 0
		.amdhsa_user_sgpr_kernarg_segment_ptr 1
		.amdhsa_user_sgpr_dispatch_id 0
		.amdhsa_user_sgpr_kernarg_preload_length 0
		.amdhsa_user_sgpr_kernarg_preload_offset 0
		.amdhsa_user_sgpr_private_segment_size 0
		.amdhsa_wavefront_size32 1
		.amdhsa_uses_dynamic_stack 0
		.amdhsa_enable_private_segment 0
		.amdhsa_system_sgpr_workgroup_id_x 1
		.amdhsa_system_sgpr_workgroup_id_y 0
		.amdhsa_system_sgpr_workgroup_id_z 0
		.amdhsa_system_sgpr_workgroup_info 0
		.amdhsa_system_vgpr_workitem_id 0
		.amdhsa_next_free_vgpr 1
		.amdhsa_next_free_sgpr 1
		.amdhsa_named_barrier_count 0
		.amdhsa_reserve_vcc 0
		.amdhsa_float_round_mode_32 0
		.amdhsa_float_round_mode_16_64 0
		.amdhsa_float_denorm_mode_32 3
		.amdhsa_float_denorm_mode_16_64 3
		.amdhsa_fp16_overflow 0
		.amdhsa_memory_ordered 1
		.amdhsa_forward_progress 1
		.amdhsa_inst_pref_size 0
		.amdhsa_round_robin_scheduling 0
		.amdhsa_exception_fp_ieee_invalid_op 0
		.amdhsa_exception_fp_denorm_src 0
		.amdhsa_exception_fp_ieee_div_zero 0
		.amdhsa_exception_fp_ieee_overflow 0
		.amdhsa_exception_fp_ieee_underflow 0
		.amdhsa_exception_fp_ieee_inexact 0
		.amdhsa_exception_int_div_zero 0
	.end_amdhsa_kernel
	.section	.text._ZN7rocprim17ROCPRIM_400000_NS6detail17trampoline_kernelINS0_13select_configILj256ELj13ELNS0_17block_load_methodE3ELS4_3ELS4_3ELNS0_20block_scan_algorithmE0ELj4294967295EEENS1_25partition_config_selectorILNS1_17partition_subalgoE4EjNS0_10empty_typeEbEEZZNS1_14partition_implILS8_4ELb0ES6_15HIP_vector_typeIjLj2EENS0_17counting_iteratorIjlEEPS9_SG_NS0_5tupleIJPjSI_NS0_16reverse_iteratorISI_EEEEENSH_IJSG_SG_SG_EEES9_SI_JZNS1_25segmented_radix_sort_implINS0_14default_configELb0EPKiPiPKlPlN2at6native12_GLOBAL__N_18offset_tEEE10hipError_tPvRmT1_PNSt15iterator_traitsIS12_E10value_typeET2_T3_PNS13_IS18_E10value_typeET4_jRbjT5_S1E_jjP12ihipStream_tbEUljE_ZNSN_ISO_Lb0ESQ_SR_ST_SU_SY_EESZ_S10_S11_S12_S16_S17_S18_S1B_S1C_jS1D_jS1E_S1E_jjS1G_bEUljE0_EEESZ_S10_S11_S18_S1C_S1E_T6_T7_T9_mT8_S1G_bDpT10_ENKUlT_T0_E_clISt17integral_constantIbLb1EES1U_EEDaS1P_S1Q_EUlS1P_E_NS1_11comp_targetILNS1_3genE2ELNS1_11target_archE906ELNS1_3gpuE6ELNS1_3repE0EEENS1_30default_config_static_selectorELNS0_4arch9wavefront6targetE0EEEvS12_,"axG",@progbits,_ZN7rocprim17ROCPRIM_400000_NS6detail17trampoline_kernelINS0_13select_configILj256ELj13ELNS0_17block_load_methodE3ELS4_3ELS4_3ELNS0_20block_scan_algorithmE0ELj4294967295EEENS1_25partition_config_selectorILNS1_17partition_subalgoE4EjNS0_10empty_typeEbEEZZNS1_14partition_implILS8_4ELb0ES6_15HIP_vector_typeIjLj2EENS0_17counting_iteratorIjlEEPS9_SG_NS0_5tupleIJPjSI_NS0_16reverse_iteratorISI_EEEEENSH_IJSG_SG_SG_EEES9_SI_JZNS1_25segmented_radix_sort_implINS0_14default_configELb0EPKiPiPKlPlN2at6native12_GLOBAL__N_18offset_tEEE10hipError_tPvRmT1_PNSt15iterator_traitsIS12_E10value_typeET2_T3_PNS13_IS18_E10value_typeET4_jRbjT5_S1E_jjP12ihipStream_tbEUljE_ZNSN_ISO_Lb0ESQ_SR_ST_SU_SY_EESZ_S10_S11_S12_S16_S17_S18_S1B_S1C_jS1D_jS1E_S1E_jjS1G_bEUljE0_EEESZ_S10_S11_S18_S1C_S1E_T6_T7_T9_mT8_S1G_bDpT10_ENKUlT_T0_E_clISt17integral_constantIbLb1EES1U_EEDaS1P_S1Q_EUlS1P_E_NS1_11comp_targetILNS1_3genE2ELNS1_11target_archE906ELNS1_3gpuE6ELNS1_3repE0EEENS1_30default_config_static_selectorELNS0_4arch9wavefront6targetE0EEEvS12_,comdat
.Lfunc_end544:
	.size	_ZN7rocprim17ROCPRIM_400000_NS6detail17trampoline_kernelINS0_13select_configILj256ELj13ELNS0_17block_load_methodE3ELS4_3ELS4_3ELNS0_20block_scan_algorithmE0ELj4294967295EEENS1_25partition_config_selectorILNS1_17partition_subalgoE4EjNS0_10empty_typeEbEEZZNS1_14partition_implILS8_4ELb0ES6_15HIP_vector_typeIjLj2EENS0_17counting_iteratorIjlEEPS9_SG_NS0_5tupleIJPjSI_NS0_16reverse_iteratorISI_EEEEENSH_IJSG_SG_SG_EEES9_SI_JZNS1_25segmented_radix_sort_implINS0_14default_configELb0EPKiPiPKlPlN2at6native12_GLOBAL__N_18offset_tEEE10hipError_tPvRmT1_PNSt15iterator_traitsIS12_E10value_typeET2_T3_PNS13_IS18_E10value_typeET4_jRbjT5_S1E_jjP12ihipStream_tbEUljE_ZNSN_ISO_Lb0ESQ_SR_ST_SU_SY_EESZ_S10_S11_S12_S16_S17_S18_S1B_S1C_jS1D_jS1E_S1E_jjS1G_bEUljE0_EEESZ_S10_S11_S18_S1C_S1E_T6_T7_T9_mT8_S1G_bDpT10_ENKUlT_T0_E_clISt17integral_constantIbLb1EES1U_EEDaS1P_S1Q_EUlS1P_E_NS1_11comp_targetILNS1_3genE2ELNS1_11target_archE906ELNS1_3gpuE6ELNS1_3repE0EEENS1_30default_config_static_selectorELNS0_4arch9wavefront6targetE0EEEvS12_, .Lfunc_end544-_ZN7rocprim17ROCPRIM_400000_NS6detail17trampoline_kernelINS0_13select_configILj256ELj13ELNS0_17block_load_methodE3ELS4_3ELS4_3ELNS0_20block_scan_algorithmE0ELj4294967295EEENS1_25partition_config_selectorILNS1_17partition_subalgoE4EjNS0_10empty_typeEbEEZZNS1_14partition_implILS8_4ELb0ES6_15HIP_vector_typeIjLj2EENS0_17counting_iteratorIjlEEPS9_SG_NS0_5tupleIJPjSI_NS0_16reverse_iteratorISI_EEEEENSH_IJSG_SG_SG_EEES9_SI_JZNS1_25segmented_radix_sort_implINS0_14default_configELb0EPKiPiPKlPlN2at6native12_GLOBAL__N_18offset_tEEE10hipError_tPvRmT1_PNSt15iterator_traitsIS12_E10value_typeET2_T3_PNS13_IS18_E10value_typeET4_jRbjT5_S1E_jjP12ihipStream_tbEUljE_ZNSN_ISO_Lb0ESQ_SR_ST_SU_SY_EESZ_S10_S11_S12_S16_S17_S18_S1B_S1C_jS1D_jS1E_S1E_jjS1G_bEUljE0_EEESZ_S10_S11_S18_S1C_S1E_T6_T7_T9_mT8_S1G_bDpT10_ENKUlT_T0_E_clISt17integral_constantIbLb1EES1U_EEDaS1P_S1Q_EUlS1P_E_NS1_11comp_targetILNS1_3genE2ELNS1_11target_archE906ELNS1_3gpuE6ELNS1_3repE0EEENS1_30default_config_static_selectorELNS0_4arch9wavefront6targetE0EEEvS12_
                                        ; -- End function
	.set _ZN7rocprim17ROCPRIM_400000_NS6detail17trampoline_kernelINS0_13select_configILj256ELj13ELNS0_17block_load_methodE3ELS4_3ELS4_3ELNS0_20block_scan_algorithmE0ELj4294967295EEENS1_25partition_config_selectorILNS1_17partition_subalgoE4EjNS0_10empty_typeEbEEZZNS1_14partition_implILS8_4ELb0ES6_15HIP_vector_typeIjLj2EENS0_17counting_iteratorIjlEEPS9_SG_NS0_5tupleIJPjSI_NS0_16reverse_iteratorISI_EEEEENSH_IJSG_SG_SG_EEES9_SI_JZNS1_25segmented_radix_sort_implINS0_14default_configELb0EPKiPiPKlPlN2at6native12_GLOBAL__N_18offset_tEEE10hipError_tPvRmT1_PNSt15iterator_traitsIS12_E10value_typeET2_T3_PNS13_IS18_E10value_typeET4_jRbjT5_S1E_jjP12ihipStream_tbEUljE_ZNSN_ISO_Lb0ESQ_SR_ST_SU_SY_EESZ_S10_S11_S12_S16_S17_S18_S1B_S1C_jS1D_jS1E_S1E_jjS1G_bEUljE0_EEESZ_S10_S11_S18_S1C_S1E_T6_T7_T9_mT8_S1G_bDpT10_ENKUlT_T0_E_clISt17integral_constantIbLb1EES1U_EEDaS1P_S1Q_EUlS1P_E_NS1_11comp_targetILNS1_3genE2ELNS1_11target_archE906ELNS1_3gpuE6ELNS1_3repE0EEENS1_30default_config_static_selectorELNS0_4arch9wavefront6targetE0EEEvS12_.num_vgpr, 0
	.set _ZN7rocprim17ROCPRIM_400000_NS6detail17trampoline_kernelINS0_13select_configILj256ELj13ELNS0_17block_load_methodE3ELS4_3ELS4_3ELNS0_20block_scan_algorithmE0ELj4294967295EEENS1_25partition_config_selectorILNS1_17partition_subalgoE4EjNS0_10empty_typeEbEEZZNS1_14partition_implILS8_4ELb0ES6_15HIP_vector_typeIjLj2EENS0_17counting_iteratorIjlEEPS9_SG_NS0_5tupleIJPjSI_NS0_16reverse_iteratorISI_EEEEENSH_IJSG_SG_SG_EEES9_SI_JZNS1_25segmented_radix_sort_implINS0_14default_configELb0EPKiPiPKlPlN2at6native12_GLOBAL__N_18offset_tEEE10hipError_tPvRmT1_PNSt15iterator_traitsIS12_E10value_typeET2_T3_PNS13_IS18_E10value_typeET4_jRbjT5_S1E_jjP12ihipStream_tbEUljE_ZNSN_ISO_Lb0ESQ_SR_ST_SU_SY_EESZ_S10_S11_S12_S16_S17_S18_S1B_S1C_jS1D_jS1E_S1E_jjS1G_bEUljE0_EEESZ_S10_S11_S18_S1C_S1E_T6_T7_T9_mT8_S1G_bDpT10_ENKUlT_T0_E_clISt17integral_constantIbLb1EES1U_EEDaS1P_S1Q_EUlS1P_E_NS1_11comp_targetILNS1_3genE2ELNS1_11target_archE906ELNS1_3gpuE6ELNS1_3repE0EEENS1_30default_config_static_selectorELNS0_4arch9wavefront6targetE0EEEvS12_.num_agpr, 0
	.set _ZN7rocprim17ROCPRIM_400000_NS6detail17trampoline_kernelINS0_13select_configILj256ELj13ELNS0_17block_load_methodE3ELS4_3ELS4_3ELNS0_20block_scan_algorithmE0ELj4294967295EEENS1_25partition_config_selectorILNS1_17partition_subalgoE4EjNS0_10empty_typeEbEEZZNS1_14partition_implILS8_4ELb0ES6_15HIP_vector_typeIjLj2EENS0_17counting_iteratorIjlEEPS9_SG_NS0_5tupleIJPjSI_NS0_16reverse_iteratorISI_EEEEENSH_IJSG_SG_SG_EEES9_SI_JZNS1_25segmented_radix_sort_implINS0_14default_configELb0EPKiPiPKlPlN2at6native12_GLOBAL__N_18offset_tEEE10hipError_tPvRmT1_PNSt15iterator_traitsIS12_E10value_typeET2_T3_PNS13_IS18_E10value_typeET4_jRbjT5_S1E_jjP12ihipStream_tbEUljE_ZNSN_ISO_Lb0ESQ_SR_ST_SU_SY_EESZ_S10_S11_S12_S16_S17_S18_S1B_S1C_jS1D_jS1E_S1E_jjS1G_bEUljE0_EEESZ_S10_S11_S18_S1C_S1E_T6_T7_T9_mT8_S1G_bDpT10_ENKUlT_T0_E_clISt17integral_constantIbLb1EES1U_EEDaS1P_S1Q_EUlS1P_E_NS1_11comp_targetILNS1_3genE2ELNS1_11target_archE906ELNS1_3gpuE6ELNS1_3repE0EEENS1_30default_config_static_selectorELNS0_4arch9wavefront6targetE0EEEvS12_.numbered_sgpr, 0
	.set _ZN7rocprim17ROCPRIM_400000_NS6detail17trampoline_kernelINS0_13select_configILj256ELj13ELNS0_17block_load_methodE3ELS4_3ELS4_3ELNS0_20block_scan_algorithmE0ELj4294967295EEENS1_25partition_config_selectorILNS1_17partition_subalgoE4EjNS0_10empty_typeEbEEZZNS1_14partition_implILS8_4ELb0ES6_15HIP_vector_typeIjLj2EENS0_17counting_iteratorIjlEEPS9_SG_NS0_5tupleIJPjSI_NS0_16reverse_iteratorISI_EEEEENSH_IJSG_SG_SG_EEES9_SI_JZNS1_25segmented_radix_sort_implINS0_14default_configELb0EPKiPiPKlPlN2at6native12_GLOBAL__N_18offset_tEEE10hipError_tPvRmT1_PNSt15iterator_traitsIS12_E10value_typeET2_T3_PNS13_IS18_E10value_typeET4_jRbjT5_S1E_jjP12ihipStream_tbEUljE_ZNSN_ISO_Lb0ESQ_SR_ST_SU_SY_EESZ_S10_S11_S12_S16_S17_S18_S1B_S1C_jS1D_jS1E_S1E_jjS1G_bEUljE0_EEESZ_S10_S11_S18_S1C_S1E_T6_T7_T9_mT8_S1G_bDpT10_ENKUlT_T0_E_clISt17integral_constantIbLb1EES1U_EEDaS1P_S1Q_EUlS1P_E_NS1_11comp_targetILNS1_3genE2ELNS1_11target_archE906ELNS1_3gpuE6ELNS1_3repE0EEENS1_30default_config_static_selectorELNS0_4arch9wavefront6targetE0EEEvS12_.num_named_barrier, 0
	.set _ZN7rocprim17ROCPRIM_400000_NS6detail17trampoline_kernelINS0_13select_configILj256ELj13ELNS0_17block_load_methodE3ELS4_3ELS4_3ELNS0_20block_scan_algorithmE0ELj4294967295EEENS1_25partition_config_selectorILNS1_17partition_subalgoE4EjNS0_10empty_typeEbEEZZNS1_14partition_implILS8_4ELb0ES6_15HIP_vector_typeIjLj2EENS0_17counting_iteratorIjlEEPS9_SG_NS0_5tupleIJPjSI_NS0_16reverse_iteratorISI_EEEEENSH_IJSG_SG_SG_EEES9_SI_JZNS1_25segmented_radix_sort_implINS0_14default_configELb0EPKiPiPKlPlN2at6native12_GLOBAL__N_18offset_tEEE10hipError_tPvRmT1_PNSt15iterator_traitsIS12_E10value_typeET2_T3_PNS13_IS18_E10value_typeET4_jRbjT5_S1E_jjP12ihipStream_tbEUljE_ZNSN_ISO_Lb0ESQ_SR_ST_SU_SY_EESZ_S10_S11_S12_S16_S17_S18_S1B_S1C_jS1D_jS1E_S1E_jjS1G_bEUljE0_EEESZ_S10_S11_S18_S1C_S1E_T6_T7_T9_mT8_S1G_bDpT10_ENKUlT_T0_E_clISt17integral_constantIbLb1EES1U_EEDaS1P_S1Q_EUlS1P_E_NS1_11comp_targetILNS1_3genE2ELNS1_11target_archE906ELNS1_3gpuE6ELNS1_3repE0EEENS1_30default_config_static_selectorELNS0_4arch9wavefront6targetE0EEEvS12_.private_seg_size, 0
	.set _ZN7rocprim17ROCPRIM_400000_NS6detail17trampoline_kernelINS0_13select_configILj256ELj13ELNS0_17block_load_methodE3ELS4_3ELS4_3ELNS0_20block_scan_algorithmE0ELj4294967295EEENS1_25partition_config_selectorILNS1_17partition_subalgoE4EjNS0_10empty_typeEbEEZZNS1_14partition_implILS8_4ELb0ES6_15HIP_vector_typeIjLj2EENS0_17counting_iteratorIjlEEPS9_SG_NS0_5tupleIJPjSI_NS0_16reverse_iteratorISI_EEEEENSH_IJSG_SG_SG_EEES9_SI_JZNS1_25segmented_radix_sort_implINS0_14default_configELb0EPKiPiPKlPlN2at6native12_GLOBAL__N_18offset_tEEE10hipError_tPvRmT1_PNSt15iterator_traitsIS12_E10value_typeET2_T3_PNS13_IS18_E10value_typeET4_jRbjT5_S1E_jjP12ihipStream_tbEUljE_ZNSN_ISO_Lb0ESQ_SR_ST_SU_SY_EESZ_S10_S11_S12_S16_S17_S18_S1B_S1C_jS1D_jS1E_S1E_jjS1G_bEUljE0_EEESZ_S10_S11_S18_S1C_S1E_T6_T7_T9_mT8_S1G_bDpT10_ENKUlT_T0_E_clISt17integral_constantIbLb1EES1U_EEDaS1P_S1Q_EUlS1P_E_NS1_11comp_targetILNS1_3genE2ELNS1_11target_archE906ELNS1_3gpuE6ELNS1_3repE0EEENS1_30default_config_static_selectorELNS0_4arch9wavefront6targetE0EEEvS12_.uses_vcc, 0
	.set _ZN7rocprim17ROCPRIM_400000_NS6detail17trampoline_kernelINS0_13select_configILj256ELj13ELNS0_17block_load_methodE3ELS4_3ELS4_3ELNS0_20block_scan_algorithmE0ELj4294967295EEENS1_25partition_config_selectorILNS1_17partition_subalgoE4EjNS0_10empty_typeEbEEZZNS1_14partition_implILS8_4ELb0ES6_15HIP_vector_typeIjLj2EENS0_17counting_iteratorIjlEEPS9_SG_NS0_5tupleIJPjSI_NS0_16reverse_iteratorISI_EEEEENSH_IJSG_SG_SG_EEES9_SI_JZNS1_25segmented_radix_sort_implINS0_14default_configELb0EPKiPiPKlPlN2at6native12_GLOBAL__N_18offset_tEEE10hipError_tPvRmT1_PNSt15iterator_traitsIS12_E10value_typeET2_T3_PNS13_IS18_E10value_typeET4_jRbjT5_S1E_jjP12ihipStream_tbEUljE_ZNSN_ISO_Lb0ESQ_SR_ST_SU_SY_EESZ_S10_S11_S12_S16_S17_S18_S1B_S1C_jS1D_jS1E_S1E_jjS1G_bEUljE0_EEESZ_S10_S11_S18_S1C_S1E_T6_T7_T9_mT8_S1G_bDpT10_ENKUlT_T0_E_clISt17integral_constantIbLb1EES1U_EEDaS1P_S1Q_EUlS1P_E_NS1_11comp_targetILNS1_3genE2ELNS1_11target_archE906ELNS1_3gpuE6ELNS1_3repE0EEENS1_30default_config_static_selectorELNS0_4arch9wavefront6targetE0EEEvS12_.uses_flat_scratch, 0
	.set _ZN7rocprim17ROCPRIM_400000_NS6detail17trampoline_kernelINS0_13select_configILj256ELj13ELNS0_17block_load_methodE3ELS4_3ELS4_3ELNS0_20block_scan_algorithmE0ELj4294967295EEENS1_25partition_config_selectorILNS1_17partition_subalgoE4EjNS0_10empty_typeEbEEZZNS1_14partition_implILS8_4ELb0ES6_15HIP_vector_typeIjLj2EENS0_17counting_iteratorIjlEEPS9_SG_NS0_5tupleIJPjSI_NS0_16reverse_iteratorISI_EEEEENSH_IJSG_SG_SG_EEES9_SI_JZNS1_25segmented_radix_sort_implINS0_14default_configELb0EPKiPiPKlPlN2at6native12_GLOBAL__N_18offset_tEEE10hipError_tPvRmT1_PNSt15iterator_traitsIS12_E10value_typeET2_T3_PNS13_IS18_E10value_typeET4_jRbjT5_S1E_jjP12ihipStream_tbEUljE_ZNSN_ISO_Lb0ESQ_SR_ST_SU_SY_EESZ_S10_S11_S12_S16_S17_S18_S1B_S1C_jS1D_jS1E_S1E_jjS1G_bEUljE0_EEESZ_S10_S11_S18_S1C_S1E_T6_T7_T9_mT8_S1G_bDpT10_ENKUlT_T0_E_clISt17integral_constantIbLb1EES1U_EEDaS1P_S1Q_EUlS1P_E_NS1_11comp_targetILNS1_3genE2ELNS1_11target_archE906ELNS1_3gpuE6ELNS1_3repE0EEENS1_30default_config_static_selectorELNS0_4arch9wavefront6targetE0EEEvS12_.has_dyn_sized_stack, 0
	.set _ZN7rocprim17ROCPRIM_400000_NS6detail17trampoline_kernelINS0_13select_configILj256ELj13ELNS0_17block_load_methodE3ELS4_3ELS4_3ELNS0_20block_scan_algorithmE0ELj4294967295EEENS1_25partition_config_selectorILNS1_17partition_subalgoE4EjNS0_10empty_typeEbEEZZNS1_14partition_implILS8_4ELb0ES6_15HIP_vector_typeIjLj2EENS0_17counting_iteratorIjlEEPS9_SG_NS0_5tupleIJPjSI_NS0_16reverse_iteratorISI_EEEEENSH_IJSG_SG_SG_EEES9_SI_JZNS1_25segmented_radix_sort_implINS0_14default_configELb0EPKiPiPKlPlN2at6native12_GLOBAL__N_18offset_tEEE10hipError_tPvRmT1_PNSt15iterator_traitsIS12_E10value_typeET2_T3_PNS13_IS18_E10value_typeET4_jRbjT5_S1E_jjP12ihipStream_tbEUljE_ZNSN_ISO_Lb0ESQ_SR_ST_SU_SY_EESZ_S10_S11_S12_S16_S17_S18_S1B_S1C_jS1D_jS1E_S1E_jjS1G_bEUljE0_EEESZ_S10_S11_S18_S1C_S1E_T6_T7_T9_mT8_S1G_bDpT10_ENKUlT_T0_E_clISt17integral_constantIbLb1EES1U_EEDaS1P_S1Q_EUlS1P_E_NS1_11comp_targetILNS1_3genE2ELNS1_11target_archE906ELNS1_3gpuE6ELNS1_3repE0EEENS1_30default_config_static_selectorELNS0_4arch9wavefront6targetE0EEEvS12_.has_recursion, 0
	.set _ZN7rocprim17ROCPRIM_400000_NS6detail17trampoline_kernelINS0_13select_configILj256ELj13ELNS0_17block_load_methodE3ELS4_3ELS4_3ELNS0_20block_scan_algorithmE0ELj4294967295EEENS1_25partition_config_selectorILNS1_17partition_subalgoE4EjNS0_10empty_typeEbEEZZNS1_14partition_implILS8_4ELb0ES6_15HIP_vector_typeIjLj2EENS0_17counting_iteratorIjlEEPS9_SG_NS0_5tupleIJPjSI_NS0_16reverse_iteratorISI_EEEEENSH_IJSG_SG_SG_EEES9_SI_JZNS1_25segmented_radix_sort_implINS0_14default_configELb0EPKiPiPKlPlN2at6native12_GLOBAL__N_18offset_tEEE10hipError_tPvRmT1_PNSt15iterator_traitsIS12_E10value_typeET2_T3_PNS13_IS18_E10value_typeET4_jRbjT5_S1E_jjP12ihipStream_tbEUljE_ZNSN_ISO_Lb0ESQ_SR_ST_SU_SY_EESZ_S10_S11_S12_S16_S17_S18_S1B_S1C_jS1D_jS1E_S1E_jjS1G_bEUljE0_EEESZ_S10_S11_S18_S1C_S1E_T6_T7_T9_mT8_S1G_bDpT10_ENKUlT_T0_E_clISt17integral_constantIbLb1EES1U_EEDaS1P_S1Q_EUlS1P_E_NS1_11comp_targetILNS1_3genE2ELNS1_11target_archE906ELNS1_3gpuE6ELNS1_3repE0EEENS1_30default_config_static_selectorELNS0_4arch9wavefront6targetE0EEEvS12_.has_indirect_call, 0
	.section	.AMDGPU.csdata,"",@progbits
; Kernel info:
; codeLenInByte = 0
; TotalNumSgprs: 0
; NumVgprs: 0
; ScratchSize: 0
; MemoryBound: 0
; FloatMode: 240
; IeeeMode: 1
; LDSByteSize: 0 bytes/workgroup (compile time only)
; SGPRBlocks: 0
; VGPRBlocks: 0
; NumSGPRsForWavesPerEU: 1
; NumVGPRsForWavesPerEU: 1
; NamedBarCnt: 0
; Occupancy: 16
; WaveLimiterHint : 0
; COMPUTE_PGM_RSRC2:SCRATCH_EN: 0
; COMPUTE_PGM_RSRC2:USER_SGPR: 2
; COMPUTE_PGM_RSRC2:TRAP_HANDLER: 0
; COMPUTE_PGM_RSRC2:TGID_X_EN: 1
; COMPUTE_PGM_RSRC2:TGID_Y_EN: 0
; COMPUTE_PGM_RSRC2:TGID_Z_EN: 0
; COMPUTE_PGM_RSRC2:TIDIG_COMP_CNT: 0
	.section	.text._ZN7rocprim17ROCPRIM_400000_NS6detail17trampoline_kernelINS0_13select_configILj256ELj13ELNS0_17block_load_methodE3ELS4_3ELS4_3ELNS0_20block_scan_algorithmE0ELj4294967295EEENS1_25partition_config_selectorILNS1_17partition_subalgoE4EjNS0_10empty_typeEbEEZZNS1_14partition_implILS8_4ELb0ES6_15HIP_vector_typeIjLj2EENS0_17counting_iteratorIjlEEPS9_SG_NS0_5tupleIJPjSI_NS0_16reverse_iteratorISI_EEEEENSH_IJSG_SG_SG_EEES9_SI_JZNS1_25segmented_radix_sort_implINS0_14default_configELb0EPKiPiPKlPlN2at6native12_GLOBAL__N_18offset_tEEE10hipError_tPvRmT1_PNSt15iterator_traitsIS12_E10value_typeET2_T3_PNS13_IS18_E10value_typeET4_jRbjT5_S1E_jjP12ihipStream_tbEUljE_ZNSN_ISO_Lb0ESQ_SR_ST_SU_SY_EESZ_S10_S11_S12_S16_S17_S18_S1B_S1C_jS1D_jS1E_S1E_jjS1G_bEUljE0_EEESZ_S10_S11_S18_S1C_S1E_T6_T7_T9_mT8_S1G_bDpT10_ENKUlT_T0_E_clISt17integral_constantIbLb1EES1U_EEDaS1P_S1Q_EUlS1P_E_NS1_11comp_targetILNS1_3genE10ELNS1_11target_archE1200ELNS1_3gpuE4ELNS1_3repE0EEENS1_30default_config_static_selectorELNS0_4arch9wavefront6targetE0EEEvS12_,"axG",@progbits,_ZN7rocprim17ROCPRIM_400000_NS6detail17trampoline_kernelINS0_13select_configILj256ELj13ELNS0_17block_load_methodE3ELS4_3ELS4_3ELNS0_20block_scan_algorithmE0ELj4294967295EEENS1_25partition_config_selectorILNS1_17partition_subalgoE4EjNS0_10empty_typeEbEEZZNS1_14partition_implILS8_4ELb0ES6_15HIP_vector_typeIjLj2EENS0_17counting_iteratorIjlEEPS9_SG_NS0_5tupleIJPjSI_NS0_16reverse_iteratorISI_EEEEENSH_IJSG_SG_SG_EEES9_SI_JZNS1_25segmented_radix_sort_implINS0_14default_configELb0EPKiPiPKlPlN2at6native12_GLOBAL__N_18offset_tEEE10hipError_tPvRmT1_PNSt15iterator_traitsIS12_E10value_typeET2_T3_PNS13_IS18_E10value_typeET4_jRbjT5_S1E_jjP12ihipStream_tbEUljE_ZNSN_ISO_Lb0ESQ_SR_ST_SU_SY_EESZ_S10_S11_S12_S16_S17_S18_S1B_S1C_jS1D_jS1E_S1E_jjS1G_bEUljE0_EEESZ_S10_S11_S18_S1C_S1E_T6_T7_T9_mT8_S1G_bDpT10_ENKUlT_T0_E_clISt17integral_constantIbLb1EES1U_EEDaS1P_S1Q_EUlS1P_E_NS1_11comp_targetILNS1_3genE10ELNS1_11target_archE1200ELNS1_3gpuE4ELNS1_3repE0EEENS1_30default_config_static_selectorELNS0_4arch9wavefront6targetE0EEEvS12_,comdat
	.globl	_ZN7rocprim17ROCPRIM_400000_NS6detail17trampoline_kernelINS0_13select_configILj256ELj13ELNS0_17block_load_methodE3ELS4_3ELS4_3ELNS0_20block_scan_algorithmE0ELj4294967295EEENS1_25partition_config_selectorILNS1_17partition_subalgoE4EjNS0_10empty_typeEbEEZZNS1_14partition_implILS8_4ELb0ES6_15HIP_vector_typeIjLj2EENS0_17counting_iteratorIjlEEPS9_SG_NS0_5tupleIJPjSI_NS0_16reverse_iteratorISI_EEEEENSH_IJSG_SG_SG_EEES9_SI_JZNS1_25segmented_radix_sort_implINS0_14default_configELb0EPKiPiPKlPlN2at6native12_GLOBAL__N_18offset_tEEE10hipError_tPvRmT1_PNSt15iterator_traitsIS12_E10value_typeET2_T3_PNS13_IS18_E10value_typeET4_jRbjT5_S1E_jjP12ihipStream_tbEUljE_ZNSN_ISO_Lb0ESQ_SR_ST_SU_SY_EESZ_S10_S11_S12_S16_S17_S18_S1B_S1C_jS1D_jS1E_S1E_jjS1G_bEUljE0_EEESZ_S10_S11_S18_S1C_S1E_T6_T7_T9_mT8_S1G_bDpT10_ENKUlT_T0_E_clISt17integral_constantIbLb1EES1U_EEDaS1P_S1Q_EUlS1P_E_NS1_11comp_targetILNS1_3genE10ELNS1_11target_archE1200ELNS1_3gpuE4ELNS1_3repE0EEENS1_30default_config_static_selectorELNS0_4arch9wavefront6targetE0EEEvS12_ ; -- Begin function _ZN7rocprim17ROCPRIM_400000_NS6detail17trampoline_kernelINS0_13select_configILj256ELj13ELNS0_17block_load_methodE3ELS4_3ELS4_3ELNS0_20block_scan_algorithmE0ELj4294967295EEENS1_25partition_config_selectorILNS1_17partition_subalgoE4EjNS0_10empty_typeEbEEZZNS1_14partition_implILS8_4ELb0ES6_15HIP_vector_typeIjLj2EENS0_17counting_iteratorIjlEEPS9_SG_NS0_5tupleIJPjSI_NS0_16reverse_iteratorISI_EEEEENSH_IJSG_SG_SG_EEES9_SI_JZNS1_25segmented_radix_sort_implINS0_14default_configELb0EPKiPiPKlPlN2at6native12_GLOBAL__N_18offset_tEEE10hipError_tPvRmT1_PNSt15iterator_traitsIS12_E10value_typeET2_T3_PNS13_IS18_E10value_typeET4_jRbjT5_S1E_jjP12ihipStream_tbEUljE_ZNSN_ISO_Lb0ESQ_SR_ST_SU_SY_EESZ_S10_S11_S12_S16_S17_S18_S1B_S1C_jS1D_jS1E_S1E_jjS1G_bEUljE0_EEESZ_S10_S11_S18_S1C_S1E_T6_T7_T9_mT8_S1G_bDpT10_ENKUlT_T0_E_clISt17integral_constantIbLb1EES1U_EEDaS1P_S1Q_EUlS1P_E_NS1_11comp_targetILNS1_3genE10ELNS1_11target_archE1200ELNS1_3gpuE4ELNS1_3repE0EEENS1_30default_config_static_selectorELNS0_4arch9wavefront6targetE0EEEvS12_
	.p2align	8
	.type	_ZN7rocprim17ROCPRIM_400000_NS6detail17trampoline_kernelINS0_13select_configILj256ELj13ELNS0_17block_load_methodE3ELS4_3ELS4_3ELNS0_20block_scan_algorithmE0ELj4294967295EEENS1_25partition_config_selectorILNS1_17partition_subalgoE4EjNS0_10empty_typeEbEEZZNS1_14partition_implILS8_4ELb0ES6_15HIP_vector_typeIjLj2EENS0_17counting_iteratorIjlEEPS9_SG_NS0_5tupleIJPjSI_NS0_16reverse_iteratorISI_EEEEENSH_IJSG_SG_SG_EEES9_SI_JZNS1_25segmented_radix_sort_implINS0_14default_configELb0EPKiPiPKlPlN2at6native12_GLOBAL__N_18offset_tEEE10hipError_tPvRmT1_PNSt15iterator_traitsIS12_E10value_typeET2_T3_PNS13_IS18_E10value_typeET4_jRbjT5_S1E_jjP12ihipStream_tbEUljE_ZNSN_ISO_Lb0ESQ_SR_ST_SU_SY_EESZ_S10_S11_S12_S16_S17_S18_S1B_S1C_jS1D_jS1E_S1E_jjS1G_bEUljE0_EEESZ_S10_S11_S18_S1C_S1E_T6_T7_T9_mT8_S1G_bDpT10_ENKUlT_T0_E_clISt17integral_constantIbLb1EES1U_EEDaS1P_S1Q_EUlS1P_E_NS1_11comp_targetILNS1_3genE10ELNS1_11target_archE1200ELNS1_3gpuE4ELNS1_3repE0EEENS1_30default_config_static_selectorELNS0_4arch9wavefront6targetE0EEEvS12_,@function
_ZN7rocprim17ROCPRIM_400000_NS6detail17trampoline_kernelINS0_13select_configILj256ELj13ELNS0_17block_load_methodE3ELS4_3ELS4_3ELNS0_20block_scan_algorithmE0ELj4294967295EEENS1_25partition_config_selectorILNS1_17partition_subalgoE4EjNS0_10empty_typeEbEEZZNS1_14partition_implILS8_4ELb0ES6_15HIP_vector_typeIjLj2EENS0_17counting_iteratorIjlEEPS9_SG_NS0_5tupleIJPjSI_NS0_16reverse_iteratorISI_EEEEENSH_IJSG_SG_SG_EEES9_SI_JZNS1_25segmented_radix_sort_implINS0_14default_configELb0EPKiPiPKlPlN2at6native12_GLOBAL__N_18offset_tEEE10hipError_tPvRmT1_PNSt15iterator_traitsIS12_E10value_typeET2_T3_PNS13_IS18_E10value_typeET4_jRbjT5_S1E_jjP12ihipStream_tbEUljE_ZNSN_ISO_Lb0ESQ_SR_ST_SU_SY_EESZ_S10_S11_S12_S16_S17_S18_S1B_S1C_jS1D_jS1E_S1E_jjS1G_bEUljE0_EEESZ_S10_S11_S18_S1C_S1E_T6_T7_T9_mT8_S1G_bDpT10_ENKUlT_T0_E_clISt17integral_constantIbLb1EES1U_EEDaS1P_S1Q_EUlS1P_E_NS1_11comp_targetILNS1_3genE10ELNS1_11target_archE1200ELNS1_3gpuE4ELNS1_3repE0EEENS1_30default_config_static_selectorELNS0_4arch9wavefront6targetE0EEEvS12_: ; @_ZN7rocprim17ROCPRIM_400000_NS6detail17trampoline_kernelINS0_13select_configILj256ELj13ELNS0_17block_load_methodE3ELS4_3ELS4_3ELNS0_20block_scan_algorithmE0ELj4294967295EEENS1_25partition_config_selectorILNS1_17partition_subalgoE4EjNS0_10empty_typeEbEEZZNS1_14partition_implILS8_4ELb0ES6_15HIP_vector_typeIjLj2EENS0_17counting_iteratorIjlEEPS9_SG_NS0_5tupleIJPjSI_NS0_16reverse_iteratorISI_EEEEENSH_IJSG_SG_SG_EEES9_SI_JZNS1_25segmented_radix_sort_implINS0_14default_configELb0EPKiPiPKlPlN2at6native12_GLOBAL__N_18offset_tEEE10hipError_tPvRmT1_PNSt15iterator_traitsIS12_E10value_typeET2_T3_PNS13_IS18_E10value_typeET4_jRbjT5_S1E_jjP12ihipStream_tbEUljE_ZNSN_ISO_Lb0ESQ_SR_ST_SU_SY_EESZ_S10_S11_S12_S16_S17_S18_S1B_S1C_jS1D_jS1E_S1E_jjS1G_bEUljE0_EEESZ_S10_S11_S18_S1C_S1E_T6_T7_T9_mT8_S1G_bDpT10_ENKUlT_T0_E_clISt17integral_constantIbLb1EES1U_EEDaS1P_S1Q_EUlS1P_E_NS1_11comp_targetILNS1_3genE10ELNS1_11target_archE1200ELNS1_3gpuE4ELNS1_3repE0EEENS1_30default_config_static_selectorELNS0_4arch9wavefront6targetE0EEEvS12_
; %bb.0:
	.section	.rodata,"a",@progbits
	.p2align	6, 0x0
	.amdhsa_kernel _ZN7rocprim17ROCPRIM_400000_NS6detail17trampoline_kernelINS0_13select_configILj256ELj13ELNS0_17block_load_methodE3ELS4_3ELS4_3ELNS0_20block_scan_algorithmE0ELj4294967295EEENS1_25partition_config_selectorILNS1_17partition_subalgoE4EjNS0_10empty_typeEbEEZZNS1_14partition_implILS8_4ELb0ES6_15HIP_vector_typeIjLj2EENS0_17counting_iteratorIjlEEPS9_SG_NS0_5tupleIJPjSI_NS0_16reverse_iteratorISI_EEEEENSH_IJSG_SG_SG_EEES9_SI_JZNS1_25segmented_radix_sort_implINS0_14default_configELb0EPKiPiPKlPlN2at6native12_GLOBAL__N_18offset_tEEE10hipError_tPvRmT1_PNSt15iterator_traitsIS12_E10value_typeET2_T3_PNS13_IS18_E10value_typeET4_jRbjT5_S1E_jjP12ihipStream_tbEUljE_ZNSN_ISO_Lb0ESQ_SR_ST_SU_SY_EESZ_S10_S11_S12_S16_S17_S18_S1B_S1C_jS1D_jS1E_S1E_jjS1G_bEUljE0_EEESZ_S10_S11_S18_S1C_S1E_T6_T7_T9_mT8_S1G_bDpT10_ENKUlT_T0_E_clISt17integral_constantIbLb1EES1U_EEDaS1P_S1Q_EUlS1P_E_NS1_11comp_targetILNS1_3genE10ELNS1_11target_archE1200ELNS1_3gpuE4ELNS1_3repE0EEENS1_30default_config_static_selectorELNS0_4arch9wavefront6targetE0EEEvS12_
		.amdhsa_group_segment_fixed_size 0
		.amdhsa_private_segment_fixed_size 0
		.amdhsa_kernarg_size 184
		.amdhsa_user_sgpr_count 2
		.amdhsa_user_sgpr_dispatch_ptr 0
		.amdhsa_user_sgpr_queue_ptr 0
		.amdhsa_user_sgpr_kernarg_segment_ptr 1
		.amdhsa_user_sgpr_dispatch_id 0
		.amdhsa_user_sgpr_kernarg_preload_length 0
		.amdhsa_user_sgpr_kernarg_preload_offset 0
		.amdhsa_user_sgpr_private_segment_size 0
		.amdhsa_wavefront_size32 1
		.amdhsa_uses_dynamic_stack 0
		.amdhsa_enable_private_segment 0
		.amdhsa_system_sgpr_workgroup_id_x 1
		.amdhsa_system_sgpr_workgroup_id_y 0
		.amdhsa_system_sgpr_workgroup_id_z 0
		.amdhsa_system_sgpr_workgroup_info 0
		.amdhsa_system_vgpr_workitem_id 0
		.amdhsa_next_free_vgpr 1
		.amdhsa_next_free_sgpr 1
		.amdhsa_named_barrier_count 0
		.amdhsa_reserve_vcc 0
		.amdhsa_float_round_mode_32 0
		.amdhsa_float_round_mode_16_64 0
		.amdhsa_float_denorm_mode_32 3
		.amdhsa_float_denorm_mode_16_64 3
		.amdhsa_fp16_overflow 0
		.amdhsa_memory_ordered 1
		.amdhsa_forward_progress 1
		.amdhsa_inst_pref_size 0
		.amdhsa_round_robin_scheduling 0
		.amdhsa_exception_fp_ieee_invalid_op 0
		.amdhsa_exception_fp_denorm_src 0
		.amdhsa_exception_fp_ieee_div_zero 0
		.amdhsa_exception_fp_ieee_overflow 0
		.amdhsa_exception_fp_ieee_underflow 0
		.amdhsa_exception_fp_ieee_inexact 0
		.amdhsa_exception_int_div_zero 0
	.end_amdhsa_kernel
	.section	.text._ZN7rocprim17ROCPRIM_400000_NS6detail17trampoline_kernelINS0_13select_configILj256ELj13ELNS0_17block_load_methodE3ELS4_3ELS4_3ELNS0_20block_scan_algorithmE0ELj4294967295EEENS1_25partition_config_selectorILNS1_17partition_subalgoE4EjNS0_10empty_typeEbEEZZNS1_14partition_implILS8_4ELb0ES6_15HIP_vector_typeIjLj2EENS0_17counting_iteratorIjlEEPS9_SG_NS0_5tupleIJPjSI_NS0_16reverse_iteratorISI_EEEEENSH_IJSG_SG_SG_EEES9_SI_JZNS1_25segmented_radix_sort_implINS0_14default_configELb0EPKiPiPKlPlN2at6native12_GLOBAL__N_18offset_tEEE10hipError_tPvRmT1_PNSt15iterator_traitsIS12_E10value_typeET2_T3_PNS13_IS18_E10value_typeET4_jRbjT5_S1E_jjP12ihipStream_tbEUljE_ZNSN_ISO_Lb0ESQ_SR_ST_SU_SY_EESZ_S10_S11_S12_S16_S17_S18_S1B_S1C_jS1D_jS1E_S1E_jjS1G_bEUljE0_EEESZ_S10_S11_S18_S1C_S1E_T6_T7_T9_mT8_S1G_bDpT10_ENKUlT_T0_E_clISt17integral_constantIbLb1EES1U_EEDaS1P_S1Q_EUlS1P_E_NS1_11comp_targetILNS1_3genE10ELNS1_11target_archE1200ELNS1_3gpuE4ELNS1_3repE0EEENS1_30default_config_static_selectorELNS0_4arch9wavefront6targetE0EEEvS12_,"axG",@progbits,_ZN7rocprim17ROCPRIM_400000_NS6detail17trampoline_kernelINS0_13select_configILj256ELj13ELNS0_17block_load_methodE3ELS4_3ELS4_3ELNS0_20block_scan_algorithmE0ELj4294967295EEENS1_25partition_config_selectorILNS1_17partition_subalgoE4EjNS0_10empty_typeEbEEZZNS1_14partition_implILS8_4ELb0ES6_15HIP_vector_typeIjLj2EENS0_17counting_iteratorIjlEEPS9_SG_NS0_5tupleIJPjSI_NS0_16reverse_iteratorISI_EEEEENSH_IJSG_SG_SG_EEES9_SI_JZNS1_25segmented_radix_sort_implINS0_14default_configELb0EPKiPiPKlPlN2at6native12_GLOBAL__N_18offset_tEEE10hipError_tPvRmT1_PNSt15iterator_traitsIS12_E10value_typeET2_T3_PNS13_IS18_E10value_typeET4_jRbjT5_S1E_jjP12ihipStream_tbEUljE_ZNSN_ISO_Lb0ESQ_SR_ST_SU_SY_EESZ_S10_S11_S12_S16_S17_S18_S1B_S1C_jS1D_jS1E_S1E_jjS1G_bEUljE0_EEESZ_S10_S11_S18_S1C_S1E_T6_T7_T9_mT8_S1G_bDpT10_ENKUlT_T0_E_clISt17integral_constantIbLb1EES1U_EEDaS1P_S1Q_EUlS1P_E_NS1_11comp_targetILNS1_3genE10ELNS1_11target_archE1200ELNS1_3gpuE4ELNS1_3repE0EEENS1_30default_config_static_selectorELNS0_4arch9wavefront6targetE0EEEvS12_,comdat
.Lfunc_end545:
	.size	_ZN7rocprim17ROCPRIM_400000_NS6detail17trampoline_kernelINS0_13select_configILj256ELj13ELNS0_17block_load_methodE3ELS4_3ELS4_3ELNS0_20block_scan_algorithmE0ELj4294967295EEENS1_25partition_config_selectorILNS1_17partition_subalgoE4EjNS0_10empty_typeEbEEZZNS1_14partition_implILS8_4ELb0ES6_15HIP_vector_typeIjLj2EENS0_17counting_iteratorIjlEEPS9_SG_NS0_5tupleIJPjSI_NS0_16reverse_iteratorISI_EEEEENSH_IJSG_SG_SG_EEES9_SI_JZNS1_25segmented_radix_sort_implINS0_14default_configELb0EPKiPiPKlPlN2at6native12_GLOBAL__N_18offset_tEEE10hipError_tPvRmT1_PNSt15iterator_traitsIS12_E10value_typeET2_T3_PNS13_IS18_E10value_typeET4_jRbjT5_S1E_jjP12ihipStream_tbEUljE_ZNSN_ISO_Lb0ESQ_SR_ST_SU_SY_EESZ_S10_S11_S12_S16_S17_S18_S1B_S1C_jS1D_jS1E_S1E_jjS1G_bEUljE0_EEESZ_S10_S11_S18_S1C_S1E_T6_T7_T9_mT8_S1G_bDpT10_ENKUlT_T0_E_clISt17integral_constantIbLb1EES1U_EEDaS1P_S1Q_EUlS1P_E_NS1_11comp_targetILNS1_3genE10ELNS1_11target_archE1200ELNS1_3gpuE4ELNS1_3repE0EEENS1_30default_config_static_selectorELNS0_4arch9wavefront6targetE0EEEvS12_, .Lfunc_end545-_ZN7rocprim17ROCPRIM_400000_NS6detail17trampoline_kernelINS0_13select_configILj256ELj13ELNS0_17block_load_methodE3ELS4_3ELS4_3ELNS0_20block_scan_algorithmE0ELj4294967295EEENS1_25partition_config_selectorILNS1_17partition_subalgoE4EjNS0_10empty_typeEbEEZZNS1_14partition_implILS8_4ELb0ES6_15HIP_vector_typeIjLj2EENS0_17counting_iteratorIjlEEPS9_SG_NS0_5tupleIJPjSI_NS0_16reverse_iteratorISI_EEEEENSH_IJSG_SG_SG_EEES9_SI_JZNS1_25segmented_radix_sort_implINS0_14default_configELb0EPKiPiPKlPlN2at6native12_GLOBAL__N_18offset_tEEE10hipError_tPvRmT1_PNSt15iterator_traitsIS12_E10value_typeET2_T3_PNS13_IS18_E10value_typeET4_jRbjT5_S1E_jjP12ihipStream_tbEUljE_ZNSN_ISO_Lb0ESQ_SR_ST_SU_SY_EESZ_S10_S11_S12_S16_S17_S18_S1B_S1C_jS1D_jS1E_S1E_jjS1G_bEUljE0_EEESZ_S10_S11_S18_S1C_S1E_T6_T7_T9_mT8_S1G_bDpT10_ENKUlT_T0_E_clISt17integral_constantIbLb1EES1U_EEDaS1P_S1Q_EUlS1P_E_NS1_11comp_targetILNS1_3genE10ELNS1_11target_archE1200ELNS1_3gpuE4ELNS1_3repE0EEENS1_30default_config_static_selectorELNS0_4arch9wavefront6targetE0EEEvS12_
                                        ; -- End function
	.set _ZN7rocprim17ROCPRIM_400000_NS6detail17trampoline_kernelINS0_13select_configILj256ELj13ELNS0_17block_load_methodE3ELS4_3ELS4_3ELNS0_20block_scan_algorithmE0ELj4294967295EEENS1_25partition_config_selectorILNS1_17partition_subalgoE4EjNS0_10empty_typeEbEEZZNS1_14partition_implILS8_4ELb0ES6_15HIP_vector_typeIjLj2EENS0_17counting_iteratorIjlEEPS9_SG_NS0_5tupleIJPjSI_NS0_16reverse_iteratorISI_EEEEENSH_IJSG_SG_SG_EEES9_SI_JZNS1_25segmented_radix_sort_implINS0_14default_configELb0EPKiPiPKlPlN2at6native12_GLOBAL__N_18offset_tEEE10hipError_tPvRmT1_PNSt15iterator_traitsIS12_E10value_typeET2_T3_PNS13_IS18_E10value_typeET4_jRbjT5_S1E_jjP12ihipStream_tbEUljE_ZNSN_ISO_Lb0ESQ_SR_ST_SU_SY_EESZ_S10_S11_S12_S16_S17_S18_S1B_S1C_jS1D_jS1E_S1E_jjS1G_bEUljE0_EEESZ_S10_S11_S18_S1C_S1E_T6_T7_T9_mT8_S1G_bDpT10_ENKUlT_T0_E_clISt17integral_constantIbLb1EES1U_EEDaS1P_S1Q_EUlS1P_E_NS1_11comp_targetILNS1_3genE10ELNS1_11target_archE1200ELNS1_3gpuE4ELNS1_3repE0EEENS1_30default_config_static_selectorELNS0_4arch9wavefront6targetE0EEEvS12_.num_vgpr, 0
	.set _ZN7rocprim17ROCPRIM_400000_NS6detail17trampoline_kernelINS0_13select_configILj256ELj13ELNS0_17block_load_methodE3ELS4_3ELS4_3ELNS0_20block_scan_algorithmE0ELj4294967295EEENS1_25partition_config_selectorILNS1_17partition_subalgoE4EjNS0_10empty_typeEbEEZZNS1_14partition_implILS8_4ELb0ES6_15HIP_vector_typeIjLj2EENS0_17counting_iteratorIjlEEPS9_SG_NS0_5tupleIJPjSI_NS0_16reverse_iteratorISI_EEEEENSH_IJSG_SG_SG_EEES9_SI_JZNS1_25segmented_radix_sort_implINS0_14default_configELb0EPKiPiPKlPlN2at6native12_GLOBAL__N_18offset_tEEE10hipError_tPvRmT1_PNSt15iterator_traitsIS12_E10value_typeET2_T3_PNS13_IS18_E10value_typeET4_jRbjT5_S1E_jjP12ihipStream_tbEUljE_ZNSN_ISO_Lb0ESQ_SR_ST_SU_SY_EESZ_S10_S11_S12_S16_S17_S18_S1B_S1C_jS1D_jS1E_S1E_jjS1G_bEUljE0_EEESZ_S10_S11_S18_S1C_S1E_T6_T7_T9_mT8_S1G_bDpT10_ENKUlT_T0_E_clISt17integral_constantIbLb1EES1U_EEDaS1P_S1Q_EUlS1P_E_NS1_11comp_targetILNS1_3genE10ELNS1_11target_archE1200ELNS1_3gpuE4ELNS1_3repE0EEENS1_30default_config_static_selectorELNS0_4arch9wavefront6targetE0EEEvS12_.num_agpr, 0
	.set _ZN7rocprim17ROCPRIM_400000_NS6detail17trampoline_kernelINS0_13select_configILj256ELj13ELNS0_17block_load_methodE3ELS4_3ELS4_3ELNS0_20block_scan_algorithmE0ELj4294967295EEENS1_25partition_config_selectorILNS1_17partition_subalgoE4EjNS0_10empty_typeEbEEZZNS1_14partition_implILS8_4ELb0ES6_15HIP_vector_typeIjLj2EENS0_17counting_iteratorIjlEEPS9_SG_NS0_5tupleIJPjSI_NS0_16reverse_iteratorISI_EEEEENSH_IJSG_SG_SG_EEES9_SI_JZNS1_25segmented_radix_sort_implINS0_14default_configELb0EPKiPiPKlPlN2at6native12_GLOBAL__N_18offset_tEEE10hipError_tPvRmT1_PNSt15iterator_traitsIS12_E10value_typeET2_T3_PNS13_IS18_E10value_typeET4_jRbjT5_S1E_jjP12ihipStream_tbEUljE_ZNSN_ISO_Lb0ESQ_SR_ST_SU_SY_EESZ_S10_S11_S12_S16_S17_S18_S1B_S1C_jS1D_jS1E_S1E_jjS1G_bEUljE0_EEESZ_S10_S11_S18_S1C_S1E_T6_T7_T9_mT8_S1G_bDpT10_ENKUlT_T0_E_clISt17integral_constantIbLb1EES1U_EEDaS1P_S1Q_EUlS1P_E_NS1_11comp_targetILNS1_3genE10ELNS1_11target_archE1200ELNS1_3gpuE4ELNS1_3repE0EEENS1_30default_config_static_selectorELNS0_4arch9wavefront6targetE0EEEvS12_.numbered_sgpr, 0
	.set _ZN7rocprim17ROCPRIM_400000_NS6detail17trampoline_kernelINS0_13select_configILj256ELj13ELNS0_17block_load_methodE3ELS4_3ELS4_3ELNS0_20block_scan_algorithmE0ELj4294967295EEENS1_25partition_config_selectorILNS1_17partition_subalgoE4EjNS0_10empty_typeEbEEZZNS1_14partition_implILS8_4ELb0ES6_15HIP_vector_typeIjLj2EENS0_17counting_iteratorIjlEEPS9_SG_NS0_5tupleIJPjSI_NS0_16reverse_iteratorISI_EEEEENSH_IJSG_SG_SG_EEES9_SI_JZNS1_25segmented_radix_sort_implINS0_14default_configELb0EPKiPiPKlPlN2at6native12_GLOBAL__N_18offset_tEEE10hipError_tPvRmT1_PNSt15iterator_traitsIS12_E10value_typeET2_T3_PNS13_IS18_E10value_typeET4_jRbjT5_S1E_jjP12ihipStream_tbEUljE_ZNSN_ISO_Lb0ESQ_SR_ST_SU_SY_EESZ_S10_S11_S12_S16_S17_S18_S1B_S1C_jS1D_jS1E_S1E_jjS1G_bEUljE0_EEESZ_S10_S11_S18_S1C_S1E_T6_T7_T9_mT8_S1G_bDpT10_ENKUlT_T0_E_clISt17integral_constantIbLb1EES1U_EEDaS1P_S1Q_EUlS1P_E_NS1_11comp_targetILNS1_3genE10ELNS1_11target_archE1200ELNS1_3gpuE4ELNS1_3repE0EEENS1_30default_config_static_selectorELNS0_4arch9wavefront6targetE0EEEvS12_.num_named_barrier, 0
	.set _ZN7rocprim17ROCPRIM_400000_NS6detail17trampoline_kernelINS0_13select_configILj256ELj13ELNS0_17block_load_methodE3ELS4_3ELS4_3ELNS0_20block_scan_algorithmE0ELj4294967295EEENS1_25partition_config_selectorILNS1_17partition_subalgoE4EjNS0_10empty_typeEbEEZZNS1_14partition_implILS8_4ELb0ES6_15HIP_vector_typeIjLj2EENS0_17counting_iteratorIjlEEPS9_SG_NS0_5tupleIJPjSI_NS0_16reverse_iteratorISI_EEEEENSH_IJSG_SG_SG_EEES9_SI_JZNS1_25segmented_radix_sort_implINS0_14default_configELb0EPKiPiPKlPlN2at6native12_GLOBAL__N_18offset_tEEE10hipError_tPvRmT1_PNSt15iterator_traitsIS12_E10value_typeET2_T3_PNS13_IS18_E10value_typeET4_jRbjT5_S1E_jjP12ihipStream_tbEUljE_ZNSN_ISO_Lb0ESQ_SR_ST_SU_SY_EESZ_S10_S11_S12_S16_S17_S18_S1B_S1C_jS1D_jS1E_S1E_jjS1G_bEUljE0_EEESZ_S10_S11_S18_S1C_S1E_T6_T7_T9_mT8_S1G_bDpT10_ENKUlT_T0_E_clISt17integral_constantIbLb1EES1U_EEDaS1P_S1Q_EUlS1P_E_NS1_11comp_targetILNS1_3genE10ELNS1_11target_archE1200ELNS1_3gpuE4ELNS1_3repE0EEENS1_30default_config_static_selectorELNS0_4arch9wavefront6targetE0EEEvS12_.private_seg_size, 0
	.set _ZN7rocprim17ROCPRIM_400000_NS6detail17trampoline_kernelINS0_13select_configILj256ELj13ELNS0_17block_load_methodE3ELS4_3ELS4_3ELNS0_20block_scan_algorithmE0ELj4294967295EEENS1_25partition_config_selectorILNS1_17partition_subalgoE4EjNS0_10empty_typeEbEEZZNS1_14partition_implILS8_4ELb0ES6_15HIP_vector_typeIjLj2EENS0_17counting_iteratorIjlEEPS9_SG_NS0_5tupleIJPjSI_NS0_16reverse_iteratorISI_EEEEENSH_IJSG_SG_SG_EEES9_SI_JZNS1_25segmented_radix_sort_implINS0_14default_configELb0EPKiPiPKlPlN2at6native12_GLOBAL__N_18offset_tEEE10hipError_tPvRmT1_PNSt15iterator_traitsIS12_E10value_typeET2_T3_PNS13_IS18_E10value_typeET4_jRbjT5_S1E_jjP12ihipStream_tbEUljE_ZNSN_ISO_Lb0ESQ_SR_ST_SU_SY_EESZ_S10_S11_S12_S16_S17_S18_S1B_S1C_jS1D_jS1E_S1E_jjS1G_bEUljE0_EEESZ_S10_S11_S18_S1C_S1E_T6_T7_T9_mT8_S1G_bDpT10_ENKUlT_T0_E_clISt17integral_constantIbLb1EES1U_EEDaS1P_S1Q_EUlS1P_E_NS1_11comp_targetILNS1_3genE10ELNS1_11target_archE1200ELNS1_3gpuE4ELNS1_3repE0EEENS1_30default_config_static_selectorELNS0_4arch9wavefront6targetE0EEEvS12_.uses_vcc, 0
	.set _ZN7rocprim17ROCPRIM_400000_NS6detail17trampoline_kernelINS0_13select_configILj256ELj13ELNS0_17block_load_methodE3ELS4_3ELS4_3ELNS0_20block_scan_algorithmE0ELj4294967295EEENS1_25partition_config_selectorILNS1_17partition_subalgoE4EjNS0_10empty_typeEbEEZZNS1_14partition_implILS8_4ELb0ES6_15HIP_vector_typeIjLj2EENS0_17counting_iteratorIjlEEPS9_SG_NS0_5tupleIJPjSI_NS0_16reverse_iteratorISI_EEEEENSH_IJSG_SG_SG_EEES9_SI_JZNS1_25segmented_radix_sort_implINS0_14default_configELb0EPKiPiPKlPlN2at6native12_GLOBAL__N_18offset_tEEE10hipError_tPvRmT1_PNSt15iterator_traitsIS12_E10value_typeET2_T3_PNS13_IS18_E10value_typeET4_jRbjT5_S1E_jjP12ihipStream_tbEUljE_ZNSN_ISO_Lb0ESQ_SR_ST_SU_SY_EESZ_S10_S11_S12_S16_S17_S18_S1B_S1C_jS1D_jS1E_S1E_jjS1G_bEUljE0_EEESZ_S10_S11_S18_S1C_S1E_T6_T7_T9_mT8_S1G_bDpT10_ENKUlT_T0_E_clISt17integral_constantIbLb1EES1U_EEDaS1P_S1Q_EUlS1P_E_NS1_11comp_targetILNS1_3genE10ELNS1_11target_archE1200ELNS1_3gpuE4ELNS1_3repE0EEENS1_30default_config_static_selectorELNS0_4arch9wavefront6targetE0EEEvS12_.uses_flat_scratch, 0
	.set _ZN7rocprim17ROCPRIM_400000_NS6detail17trampoline_kernelINS0_13select_configILj256ELj13ELNS0_17block_load_methodE3ELS4_3ELS4_3ELNS0_20block_scan_algorithmE0ELj4294967295EEENS1_25partition_config_selectorILNS1_17partition_subalgoE4EjNS0_10empty_typeEbEEZZNS1_14partition_implILS8_4ELb0ES6_15HIP_vector_typeIjLj2EENS0_17counting_iteratorIjlEEPS9_SG_NS0_5tupleIJPjSI_NS0_16reverse_iteratorISI_EEEEENSH_IJSG_SG_SG_EEES9_SI_JZNS1_25segmented_radix_sort_implINS0_14default_configELb0EPKiPiPKlPlN2at6native12_GLOBAL__N_18offset_tEEE10hipError_tPvRmT1_PNSt15iterator_traitsIS12_E10value_typeET2_T3_PNS13_IS18_E10value_typeET4_jRbjT5_S1E_jjP12ihipStream_tbEUljE_ZNSN_ISO_Lb0ESQ_SR_ST_SU_SY_EESZ_S10_S11_S12_S16_S17_S18_S1B_S1C_jS1D_jS1E_S1E_jjS1G_bEUljE0_EEESZ_S10_S11_S18_S1C_S1E_T6_T7_T9_mT8_S1G_bDpT10_ENKUlT_T0_E_clISt17integral_constantIbLb1EES1U_EEDaS1P_S1Q_EUlS1P_E_NS1_11comp_targetILNS1_3genE10ELNS1_11target_archE1200ELNS1_3gpuE4ELNS1_3repE0EEENS1_30default_config_static_selectorELNS0_4arch9wavefront6targetE0EEEvS12_.has_dyn_sized_stack, 0
	.set _ZN7rocprim17ROCPRIM_400000_NS6detail17trampoline_kernelINS0_13select_configILj256ELj13ELNS0_17block_load_methodE3ELS4_3ELS4_3ELNS0_20block_scan_algorithmE0ELj4294967295EEENS1_25partition_config_selectorILNS1_17partition_subalgoE4EjNS0_10empty_typeEbEEZZNS1_14partition_implILS8_4ELb0ES6_15HIP_vector_typeIjLj2EENS0_17counting_iteratorIjlEEPS9_SG_NS0_5tupleIJPjSI_NS0_16reverse_iteratorISI_EEEEENSH_IJSG_SG_SG_EEES9_SI_JZNS1_25segmented_radix_sort_implINS0_14default_configELb0EPKiPiPKlPlN2at6native12_GLOBAL__N_18offset_tEEE10hipError_tPvRmT1_PNSt15iterator_traitsIS12_E10value_typeET2_T3_PNS13_IS18_E10value_typeET4_jRbjT5_S1E_jjP12ihipStream_tbEUljE_ZNSN_ISO_Lb0ESQ_SR_ST_SU_SY_EESZ_S10_S11_S12_S16_S17_S18_S1B_S1C_jS1D_jS1E_S1E_jjS1G_bEUljE0_EEESZ_S10_S11_S18_S1C_S1E_T6_T7_T9_mT8_S1G_bDpT10_ENKUlT_T0_E_clISt17integral_constantIbLb1EES1U_EEDaS1P_S1Q_EUlS1P_E_NS1_11comp_targetILNS1_3genE10ELNS1_11target_archE1200ELNS1_3gpuE4ELNS1_3repE0EEENS1_30default_config_static_selectorELNS0_4arch9wavefront6targetE0EEEvS12_.has_recursion, 0
	.set _ZN7rocprim17ROCPRIM_400000_NS6detail17trampoline_kernelINS0_13select_configILj256ELj13ELNS0_17block_load_methodE3ELS4_3ELS4_3ELNS0_20block_scan_algorithmE0ELj4294967295EEENS1_25partition_config_selectorILNS1_17partition_subalgoE4EjNS0_10empty_typeEbEEZZNS1_14partition_implILS8_4ELb0ES6_15HIP_vector_typeIjLj2EENS0_17counting_iteratorIjlEEPS9_SG_NS0_5tupleIJPjSI_NS0_16reverse_iteratorISI_EEEEENSH_IJSG_SG_SG_EEES9_SI_JZNS1_25segmented_radix_sort_implINS0_14default_configELb0EPKiPiPKlPlN2at6native12_GLOBAL__N_18offset_tEEE10hipError_tPvRmT1_PNSt15iterator_traitsIS12_E10value_typeET2_T3_PNS13_IS18_E10value_typeET4_jRbjT5_S1E_jjP12ihipStream_tbEUljE_ZNSN_ISO_Lb0ESQ_SR_ST_SU_SY_EESZ_S10_S11_S12_S16_S17_S18_S1B_S1C_jS1D_jS1E_S1E_jjS1G_bEUljE0_EEESZ_S10_S11_S18_S1C_S1E_T6_T7_T9_mT8_S1G_bDpT10_ENKUlT_T0_E_clISt17integral_constantIbLb1EES1U_EEDaS1P_S1Q_EUlS1P_E_NS1_11comp_targetILNS1_3genE10ELNS1_11target_archE1200ELNS1_3gpuE4ELNS1_3repE0EEENS1_30default_config_static_selectorELNS0_4arch9wavefront6targetE0EEEvS12_.has_indirect_call, 0
	.section	.AMDGPU.csdata,"",@progbits
; Kernel info:
; codeLenInByte = 0
; TotalNumSgprs: 0
; NumVgprs: 0
; ScratchSize: 0
; MemoryBound: 0
; FloatMode: 240
; IeeeMode: 1
; LDSByteSize: 0 bytes/workgroup (compile time only)
; SGPRBlocks: 0
; VGPRBlocks: 0
; NumSGPRsForWavesPerEU: 1
; NumVGPRsForWavesPerEU: 1
; NamedBarCnt: 0
; Occupancy: 16
; WaveLimiterHint : 0
; COMPUTE_PGM_RSRC2:SCRATCH_EN: 0
; COMPUTE_PGM_RSRC2:USER_SGPR: 2
; COMPUTE_PGM_RSRC2:TRAP_HANDLER: 0
; COMPUTE_PGM_RSRC2:TGID_X_EN: 1
; COMPUTE_PGM_RSRC2:TGID_Y_EN: 0
; COMPUTE_PGM_RSRC2:TGID_Z_EN: 0
; COMPUTE_PGM_RSRC2:TIDIG_COMP_CNT: 0
	.section	.text._ZN7rocprim17ROCPRIM_400000_NS6detail17trampoline_kernelINS0_13select_configILj256ELj13ELNS0_17block_load_methodE3ELS4_3ELS4_3ELNS0_20block_scan_algorithmE0ELj4294967295EEENS1_25partition_config_selectorILNS1_17partition_subalgoE4EjNS0_10empty_typeEbEEZZNS1_14partition_implILS8_4ELb0ES6_15HIP_vector_typeIjLj2EENS0_17counting_iteratorIjlEEPS9_SG_NS0_5tupleIJPjSI_NS0_16reverse_iteratorISI_EEEEENSH_IJSG_SG_SG_EEES9_SI_JZNS1_25segmented_radix_sort_implINS0_14default_configELb0EPKiPiPKlPlN2at6native12_GLOBAL__N_18offset_tEEE10hipError_tPvRmT1_PNSt15iterator_traitsIS12_E10value_typeET2_T3_PNS13_IS18_E10value_typeET4_jRbjT5_S1E_jjP12ihipStream_tbEUljE_ZNSN_ISO_Lb0ESQ_SR_ST_SU_SY_EESZ_S10_S11_S12_S16_S17_S18_S1B_S1C_jS1D_jS1E_S1E_jjS1G_bEUljE0_EEESZ_S10_S11_S18_S1C_S1E_T6_T7_T9_mT8_S1G_bDpT10_ENKUlT_T0_E_clISt17integral_constantIbLb1EES1U_EEDaS1P_S1Q_EUlS1P_E_NS1_11comp_targetILNS1_3genE9ELNS1_11target_archE1100ELNS1_3gpuE3ELNS1_3repE0EEENS1_30default_config_static_selectorELNS0_4arch9wavefront6targetE0EEEvS12_,"axG",@progbits,_ZN7rocprim17ROCPRIM_400000_NS6detail17trampoline_kernelINS0_13select_configILj256ELj13ELNS0_17block_load_methodE3ELS4_3ELS4_3ELNS0_20block_scan_algorithmE0ELj4294967295EEENS1_25partition_config_selectorILNS1_17partition_subalgoE4EjNS0_10empty_typeEbEEZZNS1_14partition_implILS8_4ELb0ES6_15HIP_vector_typeIjLj2EENS0_17counting_iteratorIjlEEPS9_SG_NS0_5tupleIJPjSI_NS0_16reverse_iteratorISI_EEEEENSH_IJSG_SG_SG_EEES9_SI_JZNS1_25segmented_radix_sort_implINS0_14default_configELb0EPKiPiPKlPlN2at6native12_GLOBAL__N_18offset_tEEE10hipError_tPvRmT1_PNSt15iterator_traitsIS12_E10value_typeET2_T3_PNS13_IS18_E10value_typeET4_jRbjT5_S1E_jjP12ihipStream_tbEUljE_ZNSN_ISO_Lb0ESQ_SR_ST_SU_SY_EESZ_S10_S11_S12_S16_S17_S18_S1B_S1C_jS1D_jS1E_S1E_jjS1G_bEUljE0_EEESZ_S10_S11_S18_S1C_S1E_T6_T7_T9_mT8_S1G_bDpT10_ENKUlT_T0_E_clISt17integral_constantIbLb1EES1U_EEDaS1P_S1Q_EUlS1P_E_NS1_11comp_targetILNS1_3genE9ELNS1_11target_archE1100ELNS1_3gpuE3ELNS1_3repE0EEENS1_30default_config_static_selectorELNS0_4arch9wavefront6targetE0EEEvS12_,comdat
	.globl	_ZN7rocprim17ROCPRIM_400000_NS6detail17trampoline_kernelINS0_13select_configILj256ELj13ELNS0_17block_load_methodE3ELS4_3ELS4_3ELNS0_20block_scan_algorithmE0ELj4294967295EEENS1_25partition_config_selectorILNS1_17partition_subalgoE4EjNS0_10empty_typeEbEEZZNS1_14partition_implILS8_4ELb0ES6_15HIP_vector_typeIjLj2EENS0_17counting_iteratorIjlEEPS9_SG_NS0_5tupleIJPjSI_NS0_16reverse_iteratorISI_EEEEENSH_IJSG_SG_SG_EEES9_SI_JZNS1_25segmented_radix_sort_implINS0_14default_configELb0EPKiPiPKlPlN2at6native12_GLOBAL__N_18offset_tEEE10hipError_tPvRmT1_PNSt15iterator_traitsIS12_E10value_typeET2_T3_PNS13_IS18_E10value_typeET4_jRbjT5_S1E_jjP12ihipStream_tbEUljE_ZNSN_ISO_Lb0ESQ_SR_ST_SU_SY_EESZ_S10_S11_S12_S16_S17_S18_S1B_S1C_jS1D_jS1E_S1E_jjS1G_bEUljE0_EEESZ_S10_S11_S18_S1C_S1E_T6_T7_T9_mT8_S1G_bDpT10_ENKUlT_T0_E_clISt17integral_constantIbLb1EES1U_EEDaS1P_S1Q_EUlS1P_E_NS1_11comp_targetILNS1_3genE9ELNS1_11target_archE1100ELNS1_3gpuE3ELNS1_3repE0EEENS1_30default_config_static_selectorELNS0_4arch9wavefront6targetE0EEEvS12_ ; -- Begin function _ZN7rocprim17ROCPRIM_400000_NS6detail17trampoline_kernelINS0_13select_configILj256ELj13ELNS0_17block_load_methodE3ELS4_3ELS4_3ELNS0_20block_scan_algorithmE0ELj4294967295EEENS1_25partition_config_selectorILNS1_17partition_subalgoE4EjNS0_10empty_typeEbEEZZNS1_14partition_implILS8_4ELb0ES6_15HIP_vector_typeIjLj2EENS0_17counting_iteratorIjlEEPS9_SG_NS0_5tupleIJPjSI_NS0_16reverse_iteratorISI_EEEEENSH_IJSG_SG_SG_EEES9_SI_JZNS1_25segmented_radix_sort_implINS0_14default_configELb0EPKiPiPKlPlN2at6native12_GLOBAL__N_18offset_tEEE10hipError_tPvRmT1_PNSt15iterator_traitsIS12_E10value_typeET2_T3_PNS13_IS18_E10value_typeET4_jRbjT5_S1E_jjP12ihipStream_tbEUljE_ZNSN_ISO_Lb0ESQ_SR_ST_SU_SY_EESZ_S10_S11_S12_S16_S17_S18_S1B_S1C_jS1D_jS1E_S1E_jjS1G_bEUljE0_EEESZ_S10_S11_S18_S1C_S1E_T6_T7_T9_mT8_S1G_bDpT10_ENKUlT_T0_E_clISt17integral_constantIbLb1EES1U_EEDaS1P_S1Q_EUlS1P_E_NS1_11comp_targetILNS1_3genE9ELNS1_11target_archE1100ELNS1_3gpuE3ELNS1_3repE0EEENS1_30default_config_static_selectorELNS0_4arch9wavefront6targetE0EEEvS12_
	.p2align	8
	.type	_ZN7rocprim17ROCPRIM_400000_NS6detail17trampoline_kernelINS0_13select_configILj256ELj13ELNS0_17block_load_methodE3ELS4_3ELS4_3ELNS0_20block_scan_algorithmE0ELj4294967295EEENS1_25partition_config_selectorILNS1_17partition_subalgoE4EjNS0_10empty_typeEbEEZZNS1_14partition_implILS8_4ELb0ES6_15HIP_vector_typeIjLj2EENS0_17counting_iteratorIjlEEPS9_SG_NS0_5tupleIJPjSI_NS0_16reverse_iteratorISI_EEEEENSH_IJSG_SG_SG_EEES9_SI_JZNS1_25segmented_radix_sort_implINS0_14default_configELb0EPKiPiPKlPlN2at6native12_GLOBAL__N_18offset_tEEE10hipError_tPvRmT1_PNSt15iterator_traitsIS12_E10value_typeET2_T3_PNS13_IS18_E10value_typeET4_jRbjT5_S1E_jjP12ihipStream_tbEUljE_ZNSN_ISO_Lb0ESQ_SR_ST_SU_SY_EESZ_S10_S11_S12_S16_S17_S18_S1B_S1C_jS1D_jS1E_S1E_jjS1G_bEUljE0_EEESZ_S10_S11_S18_S1C_S1E_T6_T7_T9_mT8_S1G_bDpT10_ENKUlT_T0_E_clISt17integral_constantIbLb1EES1U_EEDaS1P_S1Q_EUlS1P_E_NS1_11comp_targetILNS1_3genE9ELNS1_11target_archE1100ELNS1_3gpuE3ELNS1_3repE0EEENS1_30default_config_static_selectorELNS0_4arch9wavefront6targetE0EEEvS12_,@function
_ZN7rocprim17ROCPRIM_400000_NS6detail17trampoline_kernelINS0_13select_configILj256ELj13ELNS0_17block_load_methodE3ELS4_3ELS4_3ELNS0_20block_scan_algorithmE0ELj4294967295EEENS1_25partition_config_selectorILNS1_17partition_subalgoE4EjNS0_10empty_typeEbEEZZNS1_14partition_implILS8_4ELb0ES6_15HIP_vector_typeIjLj2EENS0_17counting_iteratorIjlEEPS9_SG_NS0_5tupleIJPjSI_NS0_16reverse_iteratorISI_EEEEENSH_IJSG_SG_SG_EEES9_SI_JZNS1_25segmented_radix_sort_implINS0_14default_configELb0EPKiPiPKlPlN2at6native12_GLOBAL__N_18offset_tEEE10hipError_tPvRmT1_PNSt15iterator_traitsIS12_E10value_typeET2_T3_PNS13_IS18_E10value_typeET4_jRbjT5_S1E_jjP12ihipStream_tbEUljE_ZNSN_ISO_Lb0ESQ_SR_ST_SU_SY_EESZ_S10_S11_S12_S16_S17_S18_S1B_S1C_jS1D_jS1E_S1E_jjS1G_bEUljE0_EEESZ_S10_S11_S18_S1C_S1E_T6_T7_T9_mT8_S1G_bDpT10_ENKUlT_T0_E_clISt17integral_constantIbLb1EES1U_EEDaS1P_S1Q_EUlS1P_E_NS1_11comp_targetILNS1_3genE9ELNS1_11target_archE1100ELNS1_3gpuE3ELNS1_3repE0EEENS1_30default_config_static_selectorELNS0_4arch9wavefront6targetE0EEEvS12_: ; @_ZN7rocprim17ROCPRIM_400000_NS6detail17trampoline_kernelINS0_13select_configILj256ELj13ELNS0_17block_load_methodE3ELS4_3ELS4_3ELNS0_20block_scan_algorithmE0ELj4294967295EEENS1_25partition_config_selectorILNS1_17partition_subalgoE4EjNS0_10empty_typeEbEEZZNS1_14partition_implILS8_4ELb0ES6_15HIP_vector_typeIjLj2EENS0_17counting_iteratorIjlEEPS9_SG_NS0_5tupleIJPjSI_NS0_16reverse_iteratorISI_EEEEENSH_IJSG_SG_SG_EEES9_SI_JZNS1_25segmented_radix_sort_implINS0_14default_configELb0EPKiPiPKlPlN2at6native12_GLOBAL__N_18offset_tEEE10hipError_tPvRmT1_PNSt15iterator_traitsIS12_E10value_typeET2_T3_PNS13_IS18_E10value_typeET4_jRbjT5_S1E_jjP12ihipStream_tbEUljE_ZNSN_ISO_Lb0ESQ_SR_ST_SU_SY_EESZ_S10_S11_S12_S16_S17_S18_S1B_S1C_jS1D_jS1E_S1E_jjS1G_bEUljE0_EEESZ_S10_S11_S18_S1C_S1E_T6_T7_T9_mT8_S1G_bDpT10_ENKUlT_T0_E_clISt17integral_constantIbLb1EES1U_EEDaS1P_S1Q_EUlS1P_E_NS1_11comp_targetILNS1_3genE9ELNS1_11target_archE1100ELNS1_3gpuE3ELNS1_3repE0EEENS1_30default_config_static_selectorELNS0_4arch9wavefront6targetE0EEEvS12_
; %bb.0:
	.section	.rodata,"a",@progbits
	.p2align	6, 0x0
	.amdhsa_kernel _ZN7rocprim17ROCPRIM_400000_NS6detail17trampoline_kernelINS0_13select_configILj256ELj13ELNS0_17block_load_methodE3ELS4_3ELS4_3ELNS0_20block_scan_algorithmE0ELj4294967295EEENS1_25partition_config_selectorILNS1_17partition_subalgoE4EjNS0_10empty_typeEbEEZZNS1_14partition_implILS8_4ELb0ES6_15HIP_vector_typeIjLj2EENS0_17counting_iteratorIjlEEPS9_SG_NS0_5tupleIJPjSI_NS0_16reverse_iteratorISI_EEEEENSH_IJSG_SG_SG_EEES9_SI_JZNS1_25segmented_radix_sort_implINS0_14default_configELb0EPKiPiPKlPlN2at6native12_GLOBAL__N_18offset_tEEE10hipError_tPvRmT1_PNSt15iterator_traitsIS12_E10value_typeET2_T3_PNS13_IS18_E10value_typeET4_jRbjT5_S1E_jjP12ihipStream_tbEUljE_ZNSN_ISO_Lb0ESQ_SR_ST_SU_SY_EESZ_S10_S11_S12_S16_S17_S18_S1B_S1C_jS1D_jS1E_S1E_jjS1G_bEUljE0_EEESZ_S10_S11_S18_S1C_S1E_T6_T7_T9_mT8_S1G_bDpT10_ENKUlT_T0_E_clISt17integral_constantIbLb1EES1U_EEDaS1P_S1Q_EUlS1P_E_NS1_11comp_targetILNS1_3genE9ELNS1_11target_archE1100ELNS1_3gpuE3ELNS1_3repE0EEENS1_30default_config_static_selectorELNS0_4arch9wavefront6targetE0EEEvS12_
		.amdhsa_group_segment_fixed_size 0
		.amdhsa_private_segment_fixed_size 0
		.amdhsa_kernarg_size 184
		.amdhsa_user_sgpr_count 2
		.amdhsa_user_sgpr_dispatch_ptr 0
		.amdhsa_user_sgpr_queue_ptr 0
		.amdhsa_user_sgpr_kernarg_segment_ptr 1
		.amdhsa_user_sgpr_dispatch_id 0
		.amdhsa_user_sgpr_kernarg_preload_length 0
		.amdhsa_user_sgpr_kernarg_preload_offset 0
		.amdhsa_user_sgpr_private_segment_size 0
		.amdhsa_wavefront_size32 1
		.amdhsa_uses_dynamic_stack 0
		.amdhsa_enable_private_segment 0
		.amdhsa_system_sgpr_workgroup_id_x 1
		.amdhsa_system_sgpr_workgroup_id_y 0
		.amdhsa_system_sgpr_workgroup_id_z 0
		.amdhsa_system_sgpr_workgroup_info 0
		.amdhsa_system_vgpr_workitem_id 0
		.amdhsa_next_free_vgpr 1
		.amdhsa_next_free_sgpr 1
		.amdhsa_named_barrier_count 0
		.amdhsa_reserve_vcc 0
		.amdhsa_float_round_mode_32 0
		.amdhsa_float_round_mode_16_64 0
		.amdhsa_float_denorm_mode_32 3
		.amdhsa_float_denorm_mode_16_64 3
		.amdhsa_fp16_overflow 0
		.amdhsa_memory_ordered 1
		.amdhsa_forward_progress 1
		.amdhsa_inst_pref_size 0
		.amdhsa_round_robin_scheduling 0
		.amdhsa_exception_fp_ieee_invalid_op 0
		.amdhsa_exception_fp_denorm_src 0
		.amdhsa_exception_fp_ieee_div_zero 0
		.amdhsa_exception_fp_ieee_overflow 0
		.amdhsa_exception_fp_ieee_underflow 0
		.amdhsa_exception_fp_ieee_inexact 0
		.amdhsa_exception_int_div_zero 0
	.end_amdhsa_kernel
	.section	.text._ZN7rocprim17ROCPRIM_400000_NS6detail17trampoline_kernelINS0_13select_configILj256ELj13ELNS0_17block_load_methodE3ELS4_3ELS4_3ELNS0_20block_scan_algorithmE0ELj4294967295EEENS1_25partition_config_selectorILNS1_17partition_subalgoE4EjNS0_10empty_typeEbEEZZNS1_14partition_implILS8_4ELb0ES6_15HIP_vector_typeIjLj2EENS0_17counting_iteratorIjlEEPS9_SG_NS0_5tupleIJPjSI_NS0_16reverse_iteratorISI_EEEEENSH_IJSG_SG_SG_EEES9_SI_JZNS1_25segmented_radix_sort_implINS0_14default_configELb0EPKiPiPKlPlN2at6native12_GLOBAL__N_18offset_tEEE10hipError_tPvRmT1_PNSt15iterator_traitsIS12_E10value_typeET2_T3_PNS13_IS18_E10value_typeET4_jRbjT5_S1E_jjP12ihipStream_tbEUljE_ZNSN_ISO_Lb0ESQ_SR_ST_SU_SY_EESZ_S10_S11_S12_S16_S17_S18_S1B_S1C_jS1D_jS1E_S1E_jjS1G_bEUljE0_EEESZ_S10_S11_S18_S1C_S1E_T6_T7_T9_mT8_S1G_bDpT10_ENKUlT_T0_E_clISt17integral_constantIbLb1EES1U_EEDaS1P_S1Q_EUlS1P_E_NS1_11comp_targetILNS1_3genE9ELNS1_11target_archE1100ELNS1_3gpuE3ELNS1_3repE0EEENS1_30default_config_static_selectorELNS0_4arch9wavefront6targetE0EEEvS12_,"axG",@progbits,_ZN7rocprim17ROCPRIM_400000_NS6detail17trampoline_kernelINS0_13select_configILj256ELj13ELNS0_17block_load_methodE3ELS4_3ELS4_3ELNS0_20block_scan_algorithmE0ELj4294967295EEENS1_25partition_config_selectorILNS1_17partition_subalgoE4EjNS0_10empty_typeEbEEZZNS1_14partition_implILS8_4ELb0ES6_15HIP_vector_typeIjLj2EENS0_17counting_iteratorIjlEEPS9_SG_NS0_5tupleIJPjSI_NS0_16reverse_iteratorISI_EEEEENSH_IJSG_SG_SG_EEES9_SI_JZNS1_25segmented_radix_sort_implINS0_14default_configELb0EPKiPiPKlPlN2at6native12_GLOBAL__N_18offset_tEEE10hipError_tPvRmT1_PNSt15iterator_traitsIS12_E10value_typeET2_T3_PNS13_IS18_E10value_typeET4_jRbjT5_S1E_jjP12ihipStream_tbEUljE_ZNSN_ISO_Lb0ESQ_SR_ST_SU_SY_EESZ_S10_S11_S12_S16_S17_S18_S1B_S1C_jS1D_jS1E_S1E_jjS1G_bEUljE0_EEESZ_S10_S11_S18_S1C_S1E_T6_T7_T9_mT8_S1G_bDpT10_ENKUlT_T0_E_clISt17integral_constantIbLb1EES1U_EEDaS1P_S1Q_EUlS1P_E_NS1_11comp_targetILNS1_3genE9ELNS1_11target_archE1100ELNS1_3gpuE3ELNS1_3repE0EEENS1_30default_config_static_selectorELNS0_4arch9wavefront6targetE0EEEvS12_,comdat
.Lfunc_end546:
	.size	_ZN7rocprim17ROCPRIM_400000_NS6detail17trampoline_kernelINS0_13select_configILj256ELj13ELNS0_17block_load_methodE3ELS4_3ELS4_3ELNS0_20block_scan_algorithmE0ELj4294967295EEENS1_25partition_config_selectorILNS1_17partition_subalgoE4EjNS0_10empty_typeEbEEZZNS1_14partition_implILS8_4ELb0ES6_15HIP_vector_typeIjLj2EENS0_17counting_iteratorIjlEEPS9_SG_NS0_5tupleIJPjSI_NS0_16reverse_iteratorISI_EEEEENSH_IJSG_SG_SG_EEES9_SI_JZNS1_25segmented_radix_sort_implINS0_14default_configELb0EPKiPiPKlPlN2at6native12_GLOBAL__N_18offset_tEEE10hipError_tPvRmT1_PNSt15iterator_traitsIS12_E10value_typeET2_T3_PNS13_IS18_E10value_typeET4_jRbjT5_S1E_jjP12ihipStream_tbEUljE_ZNSN_ISO_Lb0ESQ_SR_ST_SU_SY_EESZ_S10_S11_S12_S16_S17_S18_S1B_S1C_jS1D_jS1E_S1E_jjS1G_bEUljE0_EEESZ_S10_S11_S18_S1C_S1E_T6_T7_T9_mT8_S1G_bDpT10_ENKUlT_T0_E_clISt17integral_constantIbLb1EES1U_EEDaS1P_S1Q_EUlS1P_E_NS1_11comp_targetILNS1_3genE9ELNS1_11target_archE1100ELNS1_3gpuE3ELNS1_3repE0EEENS1_30default_config_static_selectorELNS0_4arch9wavefront6targetE0EEEvS12_, .Lfunc_end546-_ZN7rocprim17ROCPRIM_400000_NS6detail17trampoline_kernelINS0_13select_configILj256ELj13ELNS0_17block_load_methodE3ELS4_3ELS4_3ELNS0_20block_scan_algorithmE0ELj4294967295EEENS1_25partition_config_selectorILNS1_17partition_subalgoE4EjNS0_10empty_typeEbEEZZNS1_14partition_implILS8_4ELb0ES6_15HIP_vector_typeIjLj2EENS0_17counting_iteratorIjlEEPS9_SG_NS0_5tupleIJPjSI_NS0_16reverse_iteratorISI_EEEEENSH_IJSG_SG_SG_EEES9_SI_JZNS1_25segmented_radix_sort_implINS0_14default_configELb0EPKiPiPKlPlN2at6native12_GLOBAL__N_18offset_tEEE10hipError_tPvRmT1_PNSt15iterator_traitsIS12_E10value_typeET2_T3_PNS13_IS18_E10value_typeET4_jRbjT5_S1E_jjP12ihipStream_tbEUljE_ZNSN_ISO_Lb0ESQ_SR_ST_SU_SY_EESZ_S10_S11_S12_S16_S17_S18_S1B_S1C_jS1D_jS1E_S1E_jjS1G_bEUljE0_EEESZ_S10_S11_S18_S1C_S1E_T6_T7_T9_mT8_S1G_bDpT10_ENKUlT_T0_E_clISt17integral_constantIbLb1EES1U_EEDaS1P_S1Q_EUlS1P_E_NS1_11comp_targetILNS1_3genE9ELNS1_11target_archE1100ELNS1_3gpuE3ELNS1_3repE0EEENS1_30default_config_static_selectorELNS0_4arch9wavefront6targetE0EEEvS12_
                                        ; -- End function
	.set _ZN7rocprim17ROCPRIM_400000_NS6detail17trampoline_kernelINS0_13select_configILj256ELj13ELNS0_17block_load_methodE3ELS4_3ELS4_3ELNS0_20block_scan_algorithmE0ELj4294967295EEENS1_25partition_config_selectorILNS1_17partition_subalgoE4EjNS0_10empty_typeEbEEZZNS1_14partition_implILS8_4ELb0ES6_15HIP_vector_typeIjLj2EENS0_17counting_iteratorIjlEEPS9_SG_NS0_5tupleIJPjSI_NS0_16reverse_iteratorISI_EEEEENSH_IJSG_SG_SG_EEES9_SI_JZNS1_25segmented_radix_sort_implINS0_14default_configELb0EPKiPiPKlPlN2at6native12_GLOBAL__N_18offset_tEEE10hipError_tPvRmT1_PNSt15iterator_traitsIS12_E10value_typeET2_T3_PNS13_IS18_E10value_typeET4_jRbjT5_S1E_jjP12ihipStream_tbEUljE_ZNSN_ISO_Lb0ESQ_SR_ST_SU_SY_EESZ_S10_S11_S12_S16_S17_S18_S1B_S1C_jS1D_jS1E_S1E_jjS1G_bEUljE0_EEESZ_S10_S11_S18_S1C_S1E_T6_T7_T9_mT8_S1G_bDpT10_ENKUlT_T0_E_clISt17integral_constantIbLb1EES1U_EEDaS1P_S1Q_EUlS1P_E_NS1_11comp_targetILNS1_3genE9ELNS1_11target_archE1100ELNS1_3gpuE3ELNS1_3repE0EEENS1_30default_config_static_selectorELNS0_4arch9wavefront6targetE0EEEvS12_.num_vgpr, 0
	.set _ZN7rocprim17ROCPRIM_400000_NS6detail17trampoline_kernelINS0_13select_configILj256ELj13ELNS0_17block_load_methodE3ELS4_3ELS4_3ELNS0_20block_scan_algorithmE0ELj4294967295EEENS1_25partition_config_selectorILNS1_17partition_subalgoE4EjNS0_10empty_typeEbEEZZNS1_14partition_implILS8_4ELb0ES6_15HIP_vector_typeIjLj2EENS0_17counting_iteratorIjlEEPS9_SG_NS0_5tupleIJPjSI_NS0_16reverse_iteratorISI_EEEEENSH_IJSG_SG_SG_EEES9_SI_JZNS1_25segmented_radix_sort_implINS0_14default_configELb0EPKiPiPKlPlN2at6native12_GLOBAL__N_18offset_tEEE10hipError_tPvRmT1_PNSt15iterator_traitsIS12_E10value_typeET2_T3_PNS13_IS18_E10value_typeET4_jRbjT5_S1E_jjP12ihipStream_tbEUljE_ZNSN_ISO_Lb0ESQ_SR_ST_SU_SY_EESZ_S10_S11_S12_S16_S17_S18_S1B_S1C_jS1D_jS1E_S1E_jjS1G_bEUljE0_EEESZ_S10_S11_S18_S1C_S1E_T6_T7_T9_mT8_S1G_bDpT10_ENKUlT_T0_E_clISt17integral_constantIbLb1EES1U_EEDaS1P_S1Q_EUlS1P_E_NS1_11comp_targetILNS1_3genE9ELNS1_11target_archE1100ELNS1_3gpuE3ELNS1_3repE0EEENS1_30default_config_static_selectorELNS0_4arch9wavefront6targetE0EEEvS12_.num_agpr, 0
	.set _ZN7rocprim17ROCPRIM_400000_NS6detail17trampoline_kernelINS0_13select_configILj256ELj13ELNS0_17block_load_methodE3ELS4_3ELS4_3ELNS0_20block_scan_algorithmE0ELj4294967295EEENS1_25partition_config_selectorILNS1_17partition_subalgoE4EjNS0_10empty_typeEbEEZZNS1_14partition_implILS8_4ELb0ES6_15HIP_vector_typeIjLj2EENS0_17counting_iteratorIjlEEPS9_SG_NS0_5tupleIJPjSI_NS0_16reverse_iteratorISI_EEEEENSH_IJSG_SG_SG_EEES9_SI_JZNS1_25segmented_radix_sort_implINS0_14default_configELb0EPKiPiPKlPlN2at6native12_GLOBAL__N_18offset_tEEE10hipError_tPvRmT1_PNSt15iterator_traitsIS12_E10value_typeET2_T3_PNS13_IS18_E10value_typeET4_jRbjT5_S1E_jjP12ihipStream_tbEUljE_ZNSN_ISO_Lb0ESQ_SR_ST_SU_SY_EESZ_S10_S11_S12_S16_S17_S18_S1B_S1C_jS1D_jS1E_S1E_jjS1G_bEUljE0_EEESZ_S10_S11_S18_S1C_S1E_T6_T7_T9_mT8_S1G_bDpT10_ENKUlT_T0_E_clISt17integral_constantIbLb1EES1U_EEDaS1P_S1Q_EUlS1P_E_NS1_11comp_targetILNS1_3genE9ELNS1_11target_archE1100ELNS1_3gpuE3ELNS1_3repE0EEENS1_30default_config_static_selectorELNS0_4arch9wavefront6targetE0EEEvS12_.numbered_sgpr, 0
	.set _ZN7rocprim17ROCPRIM_400000_NS6detail17trampoline_kernelINS0_13select_configILj256ELj13ELNS0_17block_load_methodE3ELS4_3ELS4_3ELNS0_20block_scan_algorithmE0ELj4294967295EEENS1_25partition_config_selectorILNS1_17partition_subalgoE4EjNS0_10empty_typeEbEEZZNS1_14partition_implILS8_4ELb0ES6_15HIP_vector_typeIjLj2EENS0_17counting_iteratorIjlEEPS9_SG_NS0_5tupleIJPjSI_NS0_16reverse_iteratorISI_EEEEENSH_IJSG_SG_SG_EEES9_SI_JZNS1_25segmented_radix_sort_implINS0_14default_configELb0EPKiPiPKlPlN2at6native12_GLOBAL__N_18offset_tEEE10hipError_tPvRmT1_PNSt15iterator_traitsIS12_E10value_typeET2_T3_PNS13_IS18_E10value_typeET4_jRbjT5_S1E_jjP12ihipStream_tbEUljE_ZNSN_ISO_Lb0ESQ_SR_ST_SU_SY_EESZ_S10_S11_S12_S16_S17_S18_S1B_S1C_jS1D_jS1E_S1E_jjS1G_bEUljE0_EEESZ_S10_S11_S18_S1C_S1E_T6_T7_T9_mT8_S1G_bDpT10_ENKUlT_T0_E_clISt17integral_constantIbLb1EES1U_EEDaS1P_S1Q_EUlS1P_E_NS1_11comp_targetILNS1_3genE9ELNS1_11target_archE1100ELNS1_3gpuE3ELNS1_3repE0EEENS1_30default_config_static_selectorELNS0_4arch9wavefront6targetE0EEEvS12_.num_named_barrier, 0
	.set _ZN7rocprim17ROCPRIM_400000_NS6detail17trampoline_kernelINS0_13select_configILj256ELj13ELNS0_17block_load_methodE3ELS4_3ELS4_3ELNS0_20block_scan_algorithmE0ELj4294967295EEENS1_25partition_config_selectorILNS1_17partition_subalgoE4EjNS0_10empty_typeEbEEZZNS1_14partition_implILS8_4ELb0ES6_15HIP_vector_typeIjLj2EENS0_17counting_iteratorIjlEEPS9_SG_NS0_5tupleIJPjSI_NS0_16reverse_iteratorISI_EEEEENSH_IJSG_SG_SG_EEES9_SI_JZNS1_25segmented_radix_sort_implINS0_14default_configELb0EPKiPiPKlPlN2at6native12_GLOBAL__N_18offset_tEEE10hipError_tPvRmT1_PNSt15iterator_traitsIS12_E10value_typeET2_T3_PNS13_IS18_E10value_typeET4_jRbjT5_S1E_jjP12ihipStream_tbEUljE_ZNSN_ISO_Lb0ESQ_SR_ST_SU_SY_EESZ_S10_S11_S12_S16_S17_S18_S1B_S1C_jS1D_jS1E_S1E_jjS1G_bEUljE0_EEESZ_S10_S11_S18_S1C_S1E_T6_T7_T9_mT8_S1G_bDpT10_ENKUlT_T0_E_clISt17integral_constantIbLb1EES1U_EEDaS1P_S1Q_EUlS1P_E_NS1_11comp_targetILNS1_3genE9ELNS1_11target_archE1100ELNS1_3gpuE3ELNS1_3repE0EEENS1_30default_config_static_selectorELNS0_4arch9wavefront6targetE0EEEvS12_.private_seg_size, 0
	.set _ZN7rocprim17ROCPRIM_400000_NS6detail17trampoline_kernelINS0_13select_configILj256ELj13ELNS0_17block_load_methodE3ELS4_3ELS4_3ELNS0_20block_scan_algorithmE0ELj4294967295EEENS1_25partition_config_selectorILNS1_17partition_subalgoE4EjNS0_10empty_typeEbEEZZNS1_14partition_implILS8_4ELb0ES6_15HIP_vector_typeIjLj2EENS0_17counting_iteratorIjlEEPS9_SG_NS0_5tupleIJPjSI_NS0_16reverse_iteratorISI_EEEEENSH_IJSG_SG_SG_EEES9_SI_JZNS1_25segmented_radix_sort_implINS0_14default_configELb0EPKiPiPKlPlN2at6native12_GLOBAL__N_18offset_tEEE10hipError_tPvRmT1_PNSt15iterator_traitsIS12_E10value_typeET2_T3_PNS13_IS18_E10value_typeET4_jRbjT5_S1E_jjP12ihipStream_tbEUljE_ZNSN_ISO_Lb0ESQ_SR_ST_SU_SY_EESZ_S10_S11_S12_S16_S17_S18_S1B_S1C_jS1D_jS1E_S1E_jjS1G_bEUljE0_EEESZ_S10_S11_S18_S1C_S1E_T6_T7_T9_mT8_S1G_bDpT10_ENKUlT_T0_E_clISt17integral_constantIbLb1EES1U_EEDaS1P_S1Q_EUlS1P_E_NS1_11comp_targetILNS1_3genE9ELNS1_11target_archE1100ELNS1_3gpuE3ELNS1_3repE0EEENS1_30default_config_static_selectorELNS0_4arch9wavefront6targetE0EEEvS12_.uses_vcc, 0
	.set _ZN7rocprim17ROCPRIM_400000_NS6detail17trampoline_kernelINS0_13select_configILj256ELj13ELNS0_17block_load_methodE3ELS4_3ELS4_3ELNS0_20block_scan_algorithmE0ELj4294967295EEENS1_25partition_config_selectorILNS1_17partition_subalgoE4EjNS0_10empty_typeEbEEZZNS1_14partition_implILS8_4ELb0ES6_15HIP_vector_typeIjLj2EENS0_17counting_iteratorIjlEEPS9_SG_NS0_5tupleIJPjSI_NS0_16reverse_iteratorISI_EEEEENSH_IJSG_SG_SG_EEES9_SI_JZNS1_25segmented_radix_sort_implINS0_14default_configELb0EPKiPiPKlPlN2at6native12_GLOBAL__N_18offset_tEEE10hipError_tPvRmT1_PNSt15iterator_traitsIS12_E10value_typeET2_T3_PNS13_IS18_E10value_typeET4_jRbjT5_S1E_jjP12ihipStream_tbEUljE_ZNSN_ISO_Lb0ESQ_SR_ST_SU_SY_EESZ_S10_S11_S12_S16_S17_S18_S1B_S1C_jS1D_jS1E_S1E_jjS1G_bEUljE0_EEESZ_S10_S11_S18_S1C_S1E_T6_T7_T9_mT8_S1G_bDpT10_ENKUlT_T0_E_clISt17integral_constantIbLb1EES1U_EEDaS1P_S1Q_EUlS1P_E_NS1_11comp_targetILNS1_3genE9ELNS1_11target_archE1100ELNS1_3gpuE3ELNS1_3repE0EEENS1_30default_config_static_selectorELNS0_4arch9wavefront6targetE0EEEvS12_.uses_flat_scratch, 0
	.set _ZN7rocprim17ROCPRIM_400000_NS6detail17trampoline_kernelINS0_13select_configILj256ELj13ELNS0_17block_load_methodE3ELS4_3ELS4_3ELNS0_20block_scan_algorithmE0ELj4294967295EEENS1_25partition_config_selectorILNS1_17partition_subalgoE4EjNS0_10empty_typeEbEEZZNS1_14partition_implILS8_4ELb0ES6_15HIP_vector_typeIjLj2EENS0_17counting_iteratorIjlEEPS9_SG_NS0_5tupleIJPjSI_NS0_16reverse_iteratorISI_EEEEENSH_IJSG_SG_SG_EEES9_SI_JZNS1_25segmented_radix_sort_implINS0_14default_configELb0EPKiPiPKlPlN2at6native12_GLOBAL__N_18offset_tEEE10hipError_tPvRmT1_PNSt15iterator_traitsIS12_E10value_typeET2_T3_PNS13_IS18_E10value_typeET4_jRbjT5_S1E_jjP12ihipStream_tbEUljE_ZNSN_ISO_Lb0ESQ_SR_ST_SU_SY_EESZ_S10_S11_S12_S16_S17_S18_S1B_S1C_jS1D_jS1E_S1E_jjS1G_bEUljE0_EEESZ_S10_S11_S18_S1C_S1E_T6_T7_T9_mT8_S1G_bDpT10_ENKUlT_T0_E_clISt17integral_constantIbLb1EES1U_EEDaS1P_S1Q_EUlS1P_E_NS1_11comp_targetILNS1_3genE9ELNS1_11target_archE1100ELNS1_3gpuE3ELNS1_3repE0EEENS1_30default_config_static_selectorELNS0_4arch9wavefront6targetE0EEEvS12_.has_dyn_sized_stack, 0
	.set _ZN7rocprim17ROCPRIM_400000_NS6detail17trampoline_kernelINS0_13select_configILj256ELj13ELNS0_17block_load_methodE3ELS4_3ELS4_3ELNS0_20block_scan_algorithmE0ELj4294967295EEENS1_25partition_config_selectorILNS1_17partition_subalgoE4EjNS0_10empty_typeEbEEZZNS1_14partition_implILS8_4ELb0ES6_15HIP_vector_typeIjLj2EENS0_17counting_iteratorIjlEEPS9_SG_NS0_5tupleIJPjSI_NS0_16reverse_iteratorISI_EEEEENSH_IJSG_SG_SG_EEES9_SI_JZNS1_25segmented_radix_sort_implINS0_14default_configELb0EPKiPiPKlPlN2at6native12_GLOBAL__N_18offset_tEEE10hipError_tPvRmT1_PNSt15iterator_traitsIS12_E10value_typeET2_T3_PNS13_IS18_E10value_typeET4_jRbjT5_S1E_jjP12ihipStream_tbEUljE_ZNSN_ISO_Lb0ESQ_SR_ST_SU_SY_EESZ_S10_S11_S12_S16_S17_S18_S1B_S1C_jS1D_jS1E_S1E_jjS1G_bEUljE0_EEESZ_S10_S11_S18_S1C_S1E_T6_T7_T9_mT8_S1G_bDpT10_ENKUlT_T0_E_clISt17integral_constantIbLb1EES1U_EEDaS1P_S1Q_EUlS1P_E_NS1_11comp_targetILNS1_3genE9ELNS1_11target_archE1100ELNS1_3gpuE3ELNS1_3repE0EEENS1_30default_config_static_selectorELNS0_4arch9wavefront6targetE0EEEvS12_.has_recursion, 0
	.set _ZN7rocprim17ROCPRIM_400000_NS6detail17trampoline_kernelINS0_13select_configILj256ELj13ELNS0_17block_load_methodE3ELS4_3ELS4_3ELNS0_20block_scan_algorithmE0ELj4294967295EEENS1_25partition_config_selectorILNS1_17partition_subalgoE4EjNS0_10empty_typeEbEEZZNS1_14partition_implILS8_4ELb0ES6_15HIP_vector_typeIjLj2EENS0_17counting_iteratorIjlEEPS9_SG_NS0_5tupleIJPjSI_NS0_16reverse_iteratorISI_EEEEENSH_IJSG_SG_SG_EEES9_SI_JZNS1_25segmented_radix_sort_implINS0_14default_configELb0EPKiPiPKlPlN2at6native12_GLOBAL__N_18offset_tEEE10hipError_tPvRmT1_PNSt15iterator_traitsIS12_E10value_typeET2_T3_PNS13_IS18_E10value_typeET4_jRbjT5_S1E_jjP12ihipStream_tbEUljE_ZNSN_ISO_Lb0ESQ_SR_ST_SU_SY_EESZ_S10_S11_S12_S16_S17_S18_S1B_S1C_jS1D_jS1E_S1E_jjS1G_bEUljE0_EEESZ_S10_S11_S18_S1C_S1E_T6_T7_T9_mT8_S1G_bDpT10_ENKUlT_T0_E_clISt17integral_constantIbLb1EES1U_EEDaS1P_S1Q_EUlS1P_E_NS1_11comp_targetILNS1_3genE9ELNS1_11target_archE1100ELNS1_3gpuE3ELNS1_3repE0EEENS1_30default_config_static_selectorELNS0_4arch9wavefront6targetE0EEEvS12_.has_indirect_call, 0
	.section	.AMDGPU.csdata,"",@progbits
; Kernel info:
; codeLenInByte = 0
; TotalNumSgprs: 0
; NumVgprs: 0
; ScratchSize: 0
; MemoryBound: 0
; FloatMode: 240
; IeeeMode: 1
; LDSByteSize: 0 bytes/workgroup (compile time only)
; SGPRBlocks: 0
; VGPRBlocks: 0
; NumSGPRsForWavesPerEU: 1
; NumVGPRsForWavesPerEU: 1
; NamedBarCnt: 0
; Occupancy: 16
; WaveLimiterHint : 0
; COMPUTE_PGM_RSRC2:SCRATCH_EN: 0
; COMPUTE_PGM_RSRC2:USER_SGPR: 2
; COMPUTE_PGM_RSRC2:TRAP_HANDLER: 0
; COMPUTE_PGM_RSRC2:TGID_X_EN: 1
; COMPUTE_PGM_RSRC2:TGID_Y_EN: 0
; COMPUTE_PGM_RSRC2:TGID_Z_EN: 0
; COMPUTE_PGM_RSRC2:TIDIG_COMP_CNT: 0
	.section	.text._ZN7rocprim17ROCPRIM_400000_NS6detail17trampoline_kernelINS0_13select_configILj256ELj13ELNS0_17block_load_methodE3ELS4_3ELS4_3ELNS0_20block_scan_algorithmE0ELj4294967295EEENS1_25partition_config_selectorILNS1_17partition_subalgoE4EjNS0_10empty_typeEbEEZZNS1_14partition_implILS8_4ELb0ES6_15HIP_vector_typeIjLj2EENS0_17counting_iteratorIjlEEPS9_SG_NS0_5tupleIJPjSI_NS0_16reverse_iteratorISI_EEEEENSH_IJSG_SG_SG_EEES9_SI_JZNS1_25segmented_radix_sort_implINS0_14default_configELb0EPKiPiPKlPlN2at6native12_GLOBAL__N_18offset_tEEE10hipError_tPvRmT1_PNSt15iterator_traitsIS12_E10value_typeET2_T3_PNS13_IS18_E10value_typeET4_jRbjT5_S1E_jjP12ihipStream_tbEUljE_ZNSN_ISO_Lb0ESQ_SR_ST_SU_SY_EESZ_S10_S11_S12_S16_S17_S18_S1B_S1C_jS1D_jS1E_S1E_jjS1G_bEUljE0_EEESZ_S10_S11_S18_S1C_S1E_T6_T7_T9_mT8_S1G_bDpT10_ENKUlT_T0_E_clISt17integral_constantIbLb1EES1U_EEDaS1P_S1Q_EUlS1P_E_NS1_11comp_targetILNS1_3genE8ELNS1_11target_archE1030ELNS1_3gpuE2ELNS1_3repE0EEENS1_30default_config_static_selectorELNS0_4arch9wavefront6targetE0EEEvS12_,"axG",@progbits,_ZN7rocprim17ROCPRIM_400000_NS6detail17trampoline_kernelINS0_13select_configILj256ELj13ELNS0_17block_load_methodE3ELS4_3ELS4_3ELNS0_20block_scan_algorithmE0ELj4294967295EEENS1_25partition_config_selectorILNS1_17partition_subalgoE4EjNS0_10empty_typeEbEEZZNS1_14partition_implILS8_4ELb0ES6_15HIP_vector_typeIjLj2EENS0_17counting_iteratorIjlEEPS9_SG_NS0_5tupleIJPjSI_NS0_16reverse_iteratorISI_EEEEENSH_IJSG_SG_SG_EEES9_SI_JZNS1_25segmented_radix_sort_implINS0_14default_configELb0EPKiPiPKlPlN2at6native12_GLOBAL__N_18offset_tEEE10hipError_tPvRmT1_PNSt15iterator_traitsIS12_E10value_typeET2_T3_PNS13_IS18_E10value_typeET4_jRbjT5_S1E_jjP12ihipStream_tbEUljE_ZNSN_ISO_Lb0ESQ_SR_ST_SU_SY_EESZ_S10_S11_S12_S16_S17_S18_S1B_S1C_jS1D_jS1E_S1E_jjS1G_bEUljE0_EEESZ_S10_S11_S18_S1C_S1E_T6_T7_T9_mT8_S1G_bDpT10_ENKUlT_T0_E_clISt17integral_constantIbLb1EES1U_EEDaS1P_S1Q_EUlS1P_E_NS1_11comp_targetILNS1_3genE8ELNS1_11target_archE1030ELNS1_3gpuE2ELNS1_3repE0EEENS1_30default_config_static_selectorELNS0_4arch9wavefront6targetE0EEEvS12_,comdat
	.globl	_ZN7rocprim17ROCPRIM_400000_NS6detail17trampoline_kernelINS0_13select_configILj256ELj13ELNS0_17block_load_methodE3ELS4_3ELS4_3ELNS0_20block_scan_algorithmE0ELj4294967295EEENS1_25partition_config_selectorILNS1_17partition_subalgoE4EjNS0_10empty_typeEbEEZZNS1_14partition_implILS8_4ELb0ES6_15HIP_vector_typeIjLj2EENS0_17counting_iteratorIjlEEPS9_SG_NS0_5tupleIJPjSI_NS0_16reverse_iteratorISI_EEEEENSH_IJSG_SG_SG_EEES9_SI_JZNS1_25segmented_radix_sort_implINS0_14default_configELb0EPKiPiPKlPlN2at6native12_GLOBAL__N_18offset_tEEE10hipError_tPvRmT1_PNSt15iterator_traitsIS12_E10value_typeET2_T3_PNS13_IS18_E10value_typeET4_jRbjT5_S1E_jjP12ihipStream_tbEUljE_ZNSN_ISO_Lb0ESQ_SR_ST_SU_SY_EESZ_S10_S11_S12_S16_S17_S18_S1B_S1C_jS1D_jS1E_S1E_jjS1G_bEUljE0_EEESZ_S10_S11_S18_S1C_S1E_T6_T7_T9_mT8_S1G_bDpT10_ENKUlT_T0_E_clISt17integral_constantIbLb1EES1U_EEDaS1P_S1Q_EUlS1P_E_NS1_11comp_targetILNS1_3genE8ELNS1_11target_archE1030ELNS1_3gpuE2ELNS1_3repE0EEENS1_30default_config_static_selectorELNS0_4arch9wavefront6targetE0EEEvS12_ ; -- Begin function _ZN7rocprim17ROCPRIM_400000_NS6detail17trampoline_kernelINS0_13select_configILj256ELj13ELNS0_17block_load_methodE3ELS4_3ELS4_3ELNS0_20block_scan_algorithmE0ELj4294967295EEENS1_25partition_config_selectorILNS1_17partition_subalgoE4EjNS0_10empty_typeEbEEZZNS1_14partition_implILS8_4ELb0ES6_15HIP_vector_typeIjLj2EENS0_17counting_iteratorIjlEEPS9_SG_NS0_5tupleIJPjSI_NS0_16reverse_iteratorISI_EEEEENSH_IJSG_SG_SG_EEES9_SI_JZNS1_25segmented_radix_sort_implINS0_14default_configELb0EPKiPiPKlPlN2at6native12_GLOBAL__N_18offset_tEEE10hipError_tPvRmT1_PNSt15iterator_traitsIS12_E10value_typeET2_T3_PNS13_IS18_E10value_typeET4_jRbjT5_S1E_jjP12ihipStream_tbEUljE_ZNSN_ISO_Lb0ESQ_SR_ST_SU_SY_EESZ_S10_S11_S12_S16_S17_S18_S1B_S1C_jS1D_jS1E_S1E_jjS1G_bEUljE0_EEESZ_S10_S11_S18_S1C_S1E_T6_T7_T9_mT8_S1G_bDpT10_ENKUlT_T0_E_clISt17integral_constantIbLb1EES1U_EEDaS1P_S1Q_EUlS1P_E_NS1_11comp_targetILNS1_3genE8ELNS1_11target_archE1030ELNS1_3gpuE2ELNS1_3repE0EEENS1_30default_config_static_selectorELNS0_4arch9wavefront6targetE0EEEvS12_
	.p2align	8
	.type	_ZN7rocprim17ROCPRIM_400000_NS6detail17trampoline_kernelINS0_13select_configILj256ELj13ELNS0_17block_load_methodE3ELS4_3ELS4_3ELNS0_20block_scan_algorithmE0ELj4294967295EEENS1_25partition_config_selectorILNS1_17partition_subalgoE4EjNS0_10empty_typeEbEEZZNS1_14partition_implILS8_4ELb0ES6_15HIP_vector_typeIjLj2EENS0_17counting_iteratorIjlEEPS9_SG_NS0_5tupleIJPjSI_NS0_16reverse_iteratorISI_EEEEENSH_IJSG_SG_SG_EEES9_SI_JZNS1_25segmented_radix_sort_implINS0_14default_configELb0EPKiPiPKlPlN2at6native12_GLOBAL__N_18offset_tEEE10hipError_tPvRmT1_PNSt15iterator_traitsIS12_E10value_typeET2_T3_PNS13_IS18_E10value_typeET4_jRbjT5_S1E_jjP12ihipStream_tbEUljE_ZNSN_ISO_Lb0ESQ_SR_ST_SU_SY_EESZ_S10_S11_S12_S16_S17_S18_S1B_S1C_jS1D_jS1E_S1E_jjS1G_bEUljE0_EEESZ_S10_S11_S18_S1C_S1E_T6_T7_T9_mT8_S1G_bDpT10_ENKUlT_T0_E_clISt17integral_constantIbLb1EES1U_EEDaS1P_S1Q_EUlS1P_E_NS1_11comp_targetILNS1_3genE8ELNS1_11target_archE1030ELNS1_3gpuE2ELNS1_3repE0EEENS1_30default_config_static_selectorELNS0_4arch9wavefront6targetE0EEEvS12_,@function
_ZN7rocprim17ROCPRIM_400000_NS6detail17trampoline_kernelINS0_13select_configILj256ELj13ELNS0_17block_load_methodE3ELS4_3ELS4_3ELNS0_20block_scan_algorithmE0ELj4294967295EEENS1_25partition_config_selectorILNS1_17partition_subalgoE4EjNS0_10empty_typeEbEEZZNS1_14partition_implILS8_4ELb0ES6_15HIP_vector_typeIjLj2EENS0_17counting_iteratorIjlEEPS9_SG_NS0_5tupleIJPjSI_NS0_16reverse_iteratorISI_EEEEENSH_IJSG_SG_SG_EEES9_SI_JZNS1_25segmented_radix_sort_implINS0_14default_configELb0EPKiPiPKlPlN2at6native12_GLOBAL__N_18offset_tEEE10hipError_tPvRmT1_PNSt15iterator_traitsIS12_E10value_typeET2_T3_PNS13_IS18_E10value_typeET4_jRbjT5_S1E_jjP12ihipStream_tbEUljE_ZNSN_ISO_Lb0ESQ_SR_ST_SU_SY_EESZ_S10_S11_S12_S16_S17_S18_S1B_S1C_jS1D_jS1E_S1E_jjS1G_bEUljE0_EEESZ_S10_S11_S18_S1C_S1E_T6_T7_T9_mT8_S1G_bDpT10_ENKUlT_T0_E_clISt17integral_constantIbLb1EES1U_EEDaS1P_S1Q_EUlS1P_E_NS1_11comp_targetILNS1_3genE8ELNS1_11target_archE1030ELNS1_3gpuE2ELNS1_3repE0EEENS1_30default_config_static_selectorELNS0_4arch9wavefront6targetE0EEEvS12_: ; @_ZN7rocprim17ROCPRIM_400000_NS6detail17trampoline_kernelINS0_13select_configILj256ELj13ELNS0_17block_load_methodE3ELS4_3ELS4_3ELNS0_20block_scan_algorithmE0ELj4294967295EEENS1_25partition_config_selectorILNS1_17partition_subalgoE4EjNS0_10empty_typeEbEEZZNS1_14partition_implILS8_4ELb0ES6_15HIP_vector_typeIjLj2EENS0_17counting_iteratorIjlEEPS9_SG_NS0_5tupleIJPjSI_NS0_16reverse_iteratorISI_EEEEENSH_IJSG_SG_SG_EEES9_SI_JZNS1_25segmented_radix_sort_implINS0_14default_configELb0EPKiPiPKlPlN2at6native12_GLOBAL__N_18offset_tEEE10hipError_tPvRmT1_PNSt15iterator_traitsIS12_E10value_typeET2_T3_PNS13_IS18_E10value_typeET4_jRbjT5_S1E_jjP12ihipStream_tbEUljE_ZNSN_ISO_Lb0ESQ_SR_ST_SU_SY_EESZ_S10_S11_S12_S16_S17_S18_S1B_S1C_jS1D_jS1E_S1E_jjS1G_bEUljE0_EEESZ_S10_S11_S18_S1C_S1E_T6_T7_T9_mT8_S1G_bDpT10_ENKUlT_T0_E_clISt17integral_constantIbLb1EES1U_EEDaS1P_S1Q_EUlS1P_E_NS1_11comp_targetILNS1_3genE8ELNS1_11target_archE1030ELNS1_3gpuE2ELNS1_3repE0EEENS1_30default_config_static_selectorELNS0_4arch9wavefront6targetE0EEEvS12_
; %bb.0:
	.section	.rodata,"a",@progbits
	.p2align	6, 0x0
	.amdhsa_kernel _ZN7rocprim17ROCPRIM_400000_NS6detail17trampoline_kernelINS0_13select_configILj256ELj13ELNS0_17block_load_methodE3ELS4_3ELS4_3ELNS0_20block_scan_algorithmE0ELj4294967295EEENS1_25partition_config_selectorILNS1_17partition_subalgoE4EjNS0_10empty_typeEbEEZZNS1_14partition_implILS8_4ELb0ES6_15HIP_vector_typeIjLj2EENS0_17counting_iteratorIjlEEPS9_SG_NS0_5tupleIJPjSI_NS0_16reverse_iteratorISI_EEEEENSH_IJSG_SG_SG_EEES9_SI_JZNS1_25segmented_radix_sort_implINS0_14default_configELb0EPKiPiPKlPlN2at6native12_GLOBAL__N_18offset_tEEE10hipError_tPvRmT1_PNSt15iterator_traitsIS12_E10value_typeET2_T3_PNS13_IS18_E10value_typeET4_jRbjT5_S1E_jjP12ihipStream_tbEUljE_ZNSN_ISO_Lb0ESQ_SR_ST_SU_SY_EESZ_S10_S11_S12_S16_S17_S18_S1B_S1C_jS1D_jS1E_S1E_jjS1G_bEUljE0_EEESZ_S10_S11_S18_S1C_S1E_T6_T7_T9_mT8_S1G_bDpT10_ENKUlT_T0_E_clISt17integral_constantIbLb1EES1U_EEDaS1P_S1Q_EUlS1P_E_NS1_11comp_targetILNS1_3genE8ELNS1_11target_archE1030ELNS1_3gpuE2ELNS1_3repE0EEENS1_30default_config_static_selectorELNS0_4arch9wavefront6targetE0EEEvS12_
		.amdhsa_group_segment_fixed_size 0
		.amdhsa_private_segment_fixed_size 0
		.amdhsa_kernarg_size 184
		.amdhsa_user_sgpr_count 2
		.amdhsa_user_sgpr_dispatch_ptr 0
		.amdhsa_user_sgpr_queue_ptr 0
		.amdhsa_user_sgpr_kernarg_segment_ptr 1
		.amdhsa_user_sgpr_dispatch_id 0
		.amdhsa_user_sgpr_kernarg_preload_length 0
		.amdhsa_user_sgpr_kernarg_preload_offset 0
		.amdhsa_user_sgpr_private_segment_size 0
		.amdhsa_wavefront_size32 1
		.amdhsa_uses_dynamic_stack 0
		.amdhsa_enable_private_segment 0
		.amdhsa_system_sgpr_workgroup_id_x 1
		.amdhsa_system_sgpr_workgroup_id_y 0
		.amdhsa_system_sgpr_workgroup_id_z 0
		.amdhsa_system_sgpr_workgroup_info 0
		.amdhsa_system_vgpr_workitem_id 0
		.amdhsa_next_free_vgpr 1
		.amdhsa_next_free_sgpr 1
		.amdhsa_named_barrier_count 0
		.amdhsa_reserve_vcc 0
		.amdhsa_float_round_mode_32 0
		.amdhsa_float_round_mode_16_64 0
		.amdhsa_float_denorm_mode_32 3
		.amdhsa_float_denorm_mode_16_64 3
		.amdhsa_fp16_overflow 0
		.amdhsa_memory_ordered 1
		.amdhsa_forward_progress 1
		.amdhsa_inst_pref_size 0
		.amdhsa_round_robin_scheduling 0
		.amdhsa_exception_fp_ieee_invalid_op 0
		.amdhsa_exception_fp_denorm_src 0
		.amdhsa_exception_fp_ieee_div_zero 0
		.amdhsa_exception_fp_ieee_overflow 0
		.amdhsa_exception_fp_ieee_underflow 0
		.amdhsa_exception_fp_ieee_inexact 0
		.amdhsa_exception_int_div_zero 0
	.end_amdhsa_kernel
	.section	.text._ZN7rocprim17ROCPRIM_400000_NS6detail17trampoline_kernelINS0_13select_configILj256ELj13ELNS0_17block_load_methodE3ELS4_3ELS4_3ELNS0_20block_scan_algorithmE0ELj4294967295EEENS1_25partition_config_selectorILNS1_17partition_subalgoE4EjNS0_10empty_typeEbEEZZNS1_14partition_implILS8_4ELb0ES6_15HIP_vector_typeIjLj2EENS0_17counting_iteratorIjlEEPS9_SG_NS0_5tupleIJPjSI_NS0_16reverse_iteratorISI_EEEEENSH_IJSG_SG_SG_EEES9_SI_JZNS1_25segmented_radix_sort_implINS0_14default_configELb0EPKiPiPKlPlN2at6native12_GLOBAL__N_18offset_tEEE10hipError_tPvRmT1_PNSt15iterator_traitsIS12_E10value_typeET2_T3_PNS13_IS18_E10value_typeET4_jRbjT5_S1E_jjP12ihipStream_tbEUljE_ZNSN_ISO_Lb0ESQ_SR_ST_SU_SY_EESZ_S10_S11_S12_S16_S17_S18_S1B_S1C_jS1D_jS1E_S1E_jjS1G_bEUljE0_EEESZ_S10_S11_S18_S1C_S1E_T6_T7_T9_mT8_S1G_bDpT10_ENKUlT_T0_E_clISt17integral_constantIbLb1EES1U_EEDaS1P_S1Q_EUlS1P_E_NS1_11comp_targetILNS1_3genE8ELNS1_11target_archE1030ELNS1_3gpuE2ELNS1_3repE0EEENS1_30default_config_static_selectorELNS0_4arch9wavefront6targetE0EEEvS12_,"axG",@progbits,_ZN7rocprim17ROCPRIM_400000_NS6detail17trampoline_kernelINS0_13select_configILj256ELj13ELNS0_17block_load_methodE3ELS4_3ELS4_3ELNS0_20block_scan_algorithmE0ELj4294967295EEENS1_25partition_config_selectorILNS1_17partition_subalgoE4EjNS0_10empty_typeEbEEZZNS1_14partition_implILS8_4ELb0ES6_15HIP_vector_typeIjLj2EENS0_17counting_iteratorIjlEEPS9_SG_NS0_5tupleIJPjSI_NS0_16reverse_iteratorISI_EEEEENSH_IJSG_SG_SG_EEES9_SI_JZNS1_25segmented_radix_sort_implINS0_14default_configELb0EPKiPiPKlPlN2at6native12_GLOBAL__N_18offset_tEEE10hipError_tPvRmT1_PNSt15iterator_traitsIS12_E10value_typeET2_T3_PNS13_IS18_E10value_typeET4_jRbjT5_S1E_jjP12ihipStream_tbEUljE_ZNSN_ISO_Lb0ESQ_SR_ST_SU_SY_EESZ_S10_S11_S12_S16_S17_S18_S1B_S1C_jS1D_jS1E_S1E_jjS1G_bEUljE0_EEESZ_S10_S11_S18_S1C_S1E_T6_T7_T9_mT8_S1G_bDpT10_ENKUlT_T0_E_clISt17integral_constantIbLb1EES1U_EEDaS1P_S1Q_EUlS1P_E_NS1_11comp_targetILNS1_3genE8ELNS1_11target_archE1030ELNS1_3gpuE2ELNS1_3repE0EEENS1_30default_config_static_selectorELNS0_4arch9wavefront6targetE0EEEvS12_,comdat
.Lfunc_end547:
	.size	_ZN7rocprim17ROCPRIM_400000_NS6detail17trampoline_kernelINS0_13select_configILj256ELj13ELNS0_17block_load_methodE3ELS4_3ELS4_3ELNS0_20block_scan_algorithmE0ELj4294967295EEENS1_25partition_config_selectorILNS1_17partition_subalgoE4EjNS0_10empty_typeEbEEZZNS1_14partition_implILS8_4ELb0ES6_15HIP_vector_typeIjLj2EENS0_17counting_iteratorIjlEEPS9_SG_NS0_5tupleIJPjSI_NS0_16reverse_iteratorISI_EEEEENSH_IJSG_SG_SG_EEES9_SI_JZNS1_25segmented_radix_sort_implINS0_14default_configELb0EPKiPiPKlPlN2at6native12_GLOBAL__N_18offset_tEEE10hipError_tPvRmT1_PNSt15iterator_traitsIS12_E10value_typeET2_T3_PNS13_IS18_E10value_typeET4_jRbjT5_S1E_jjP12ihipStream_tbEUljE_ZNSN_ISO_Lb0ESQ_SR_ST_SU_SY_EESZ_S10_S11_S12_S16_S17_S18_S1B_S1C_jS1D_jS1E_S1E_jjS1G_bEUljE0_EEESZ_S10_S11_S18_S1C_S1E_T6_T7_T9_mT8_S1G_bDpT10_ENKUlT_T0_E_clISt17integral_constantIbLb1EES1U_EEDaS1P_S1Q_EUlS1P_E_NS1_11comp_targetILNS1_3genE8ELNS1_11target_archE1030ELNS1_3gpuE2ELNS1_3repE0EEENS1_30default_config_static_selectorELNS0_4arch9wavefront6targetE0EEEvS12_, .Lfunc_end547-_ZN7rocprim17ROCPRIM_400000_NS6detail17trampoline_kernelINS0_13select_configILj256ELj13ELNS0_17block_load_methodE3ELS4_3ELS4_3ELNS0_20block_scan_algorithmE0ELj4294967295EEENS1_25partition_config_selectorILNS1_17partition_subalgoE4EjNS0_10empty_typeEbEEZZNS1_14partition_implILS8_4ELb0ES6_15HIP_vector_typeIjLj2EENS0_17counting_iteratorIjlEEPS9_SG_NS0_5tupleIJPjSI_NS0_16reverse_iteratorISI_EEEEENSH_IJSG_SG_SG_EEES9_SI_JZNS1_25segmented_radix_sort_implINS0_14default_configELb0EPKiPiPKlPlN2at6native12_GLOBAL__N_18offset_tEEE10hipError_tPvRmT1_PNSt15iterator_traitsIS12_E10value_typeET2_T3_PNS13_IS18_E10value_typeET4_jRbjT5_S1E_jjP12ihipStream_tbEUljE_ZNSN_ISO_Lb0ESQ_SR_ST_SU_SY_EESZ_S10_S11_S12_S16_S17_S18_S1B_S1C_jS1D_jS1E_S1E_jjS1G_bEUljE0_EEESZ_S10_S11_S18_S1C_S1E_T6_T7_T9_mT8_S1G_bDpT10_ENKUlT_T0_E_clISt17integral_constantIbLb1EES1U_EEDaS1P_S1Q_EUlS1P_E_NS1_11comp_targetILNS1_3genE8ELNS1_11target_archE1030ELNS1_3gpuE2ELNS1_3repE0EEENS1_30default_config_static_selectorELNS0_4arch9wavefront6targetE0EEEvS12_
                                        ; -- End function
	.set _ZN7rocprim17ROCPRIM_400000_NS6detail17trampoline_kernelINS0_13select_configILj256ELj13ELNS0_17block_load_methodE3ELS4_3ELS4_3ELNS0_20block_scan_algorithmE0ELj4294967295EEENS1_25partition_config_selectorILNS1_17partition_subalgoE4EjNS0_10empty_typeEbEEZZNS1_14partition_implILS8_4ELb0ES6_15HIP_vector_typeIjLj2EENS0_17counting_iteratorIjlEEPS9_SG_NS0_5tupleIJPjSI_NS0_16reverse_iteratorISI_EEEEENSH_IJSG_SG_SG_EEES9_SI_JZNS1_25segmented_radix_sort_implINS0_14default_configELb0EPKiPiPKlPlN2at6native12_GLOBAL__N_18offset_tEEE10hipError_tPvRmT1_PNSt15iterator_traitsIS12_E10value_typeET2_T3_PNS13_IS18_E10value_typeET4_jRbjT5_S1E_jjP12ihipStream_tbEUljE_ZNSN_ISO_Lb0ESQ_SR_ST_SU_SY_EESZ_S10_S11_S12_S16_S17_S18_S1B_S1C_jS1D_jS1E_S1E_jjS1G_bEUljE0_EEESZ_S10_S11_S18_S1C_S1E_T6_T7_T9_mT8_S1G_bDpT10_ENKUlT_T0_E_clISt17integral_constantIbLb1EES1U_EEDaS1P_S1Q_EUlS1P_E_NS1_11comp_targetILNS1_3genE8ELNS1_11target_archE1030ELNS1_3gpuE2ELNS1_3repE0EEENS1_30default_config_static_selectorELNS0_4arch9wavefront6targetE0EEEvS12_.num_vgpr, 0
	.set _ZN7rocprim17ROCPRIM_400000_NS6detail17trampoline_kernelINS0_13select_configILj256ELj13ELNS0_17block_load_methodE3ELS4_3ELS4_3ELNS0_20block_scan_algorithmE0ELj4294967295EEENS1_25partition_config_selectorILNS1_17partition_subalgoE4EjNS0_10empty_typeEbEEZZNS1_14partition_implILS8_4ELb0ES6_15HIP_vector_typeIjLj2EENS0_17counting_iteratorIjlEEPS9_SG_NS0_5tupleIJPjSI_NS0_16reverse_iteratorISI_EEEEENSH_IJSG_SG_SG_EEES9_SI_JZNS1_25segmented_radix_sort_implINS0_14default_configELb0EPKiPiPKlPlN2at6native12_GLOBAL__N_18offset_tEEE10hipError_tPvRmT1_PNSt15iterator_traitsIS12_E10value_typeET2_T3_PNS13_IS18_E10value_typeET4_jRbjT5_S1E_jjP12ihipStream_tbEUljE_ZNSN_ISO_Lb0ESQ_SR_ST_SU_SY_EESZ_S10_S11_S12_S16_S17_S18_S1B_S1C_jS1D_jS1E_S1E_jjS1G_bEUljE0_EEESZ_S10_S11_S18_S1C_S1E_T6_T7_T9_mT8_S1G_bDpT10_ENKUlT_T0_E_clISt17integral_constantIbLb1EES1U_EEDaS1P_S1Q_EUlS1P_E_NS1_11comp_targetILNS1_3genE8ELNS1_11target_archE1030ELNS1_3gpuE2ELNS1_3repE0EEENS1_30default_config_static_selectorELNS0_4arch9wavefront6targetE0EEEvS12_.num_agpr, 0
	.set _ZN7rocprim17ROCPRIM_400000_NS6detail17trampoline_kernelINS0_13select_configILj256ELj13ELNS0_17block_load_methodE3ELS4_3ELS4_3ELNS0_20block_scan_algorithmE0ELj4294967295EEENS1_25partition_config_selectorILNS1_17partition_subalgoE4EjNS0_10empty_typeEbEEZZNS1_14partition_implILS8_4ELb0ES6_15HIP_vector_typeIjLj2EENS0_17counting_iteratorIjlEEPS9_SG_NS0_5tupleIJPjSI_NS0_16reverse_iteratorISI_EEEEENSH_IJSG_SG_SG_EEES9_SI_JZNS1_25segmented_radix_sort_implINS0_14default_configELb0EPKiPiPKlPlN2at6native12_GLOBAL__N_18offset_tEEE10hipError_tPvRmT1_PNSt15iterator_traitsIS12_E10value_typeET2_T3_PNS13_IS18_E10value_typeET4_jRbjT5_S1E_jjP12ihipStream_tbEUljE_ZNSN_ISO_Lb0ESQ_SR_ST_SU_SY_EESZ_S10_S11_S12_S16_S17_S18_S1B_S1C_jS1D_jS1E_S1E_jjS1G_bEUljE0_EEESZ_S10_S11_S18_S1C_S1E_T6_T7_T9_mT8_S1G_bDpT10_ENKUlT_T0_E_clISt17integral_constantIbLb1EES1U_EEDaS1P_S1Q_EUlS1P_E_NS1_11comp_targetILNS1_3genE8ELNS1_11target_archE1030ELNS1_3gpuE2ELNS1_3repE0EEENS1_30default_config_static_selectorELNS0_4arch9wavefront6targetE0EEEvS12_.numbered_sgpr, 0
	.set _ZN7rocprim17ROCPRIM_400000_NS6detail17trampoline_kernelINS0_13select_configILj256ELj13ELNS0_17block_load_methodE3ELS4_3ELS4_3ELNS0_20block_scan_algorithmE0ELj4294967295EEENS1_25partition_config_selectorILNS1_17partition_subalgoE4EjNS0_10empty_typeEbEEZZNS1_14partition_implILS8_4ELb0ES6_15HIP_vector_typeIjLj2EENS0_17counting_iteratorIjlEEPS9_SG_NS0_5tupleIJPjSI_NS0_16reverse_iteratorISI_EEEEENSH_IJSG_SG_SG_EEES9_SI_JZNS1_25segmented_radix_sort_implINS0_14default_configELb0EPKiPiPKlPlN2at6native12_GLOBAL__N_18offset_tEEE10hipError_tPvRmT1_PNSt15iterator_traitsIS12_E10value_typeET2_T3_PNS13_IS18_E10value_typeET4_jRbjT5_S1E_jjP12ihipStream_tbEUljE_ZNSN_ISO_Lb0ESQ_SR_ST_SU_SY_EESZ_S10_S11_S12_S16_S17_S18_S1B_S1C_jS1D_jS1E_S1E_jjS1G_bEUljE0_EEESZ_S10_S11_S18_S1C_S1E_T6_T7_T9_mT8_S1G_bDpT10_ENKUlT_T0_E_clISt17integral_constantIbLb1EES1U_EEDaS1P_S1Q_EUlS1P_E_NS1_11comp_targetILNS1_3genE8ELNS1_11target_archE1030ELNS1_3gpuE2ELNS1_3repE0EEENS1_30default_config_static_selectorELNS0_4arch9wavefront6targetE0EEEvS12_.num_named_barrier, 0
	.set _ZN7rocprim17ROCPRIM_400000_NS6detail17trampoline_kernelINS0_13select_configILj256ELj13ELNS0_17block_load_methodE3ELS4_3ELS4_3ELNS0_20block_scan_algorithmE0ELj4294967295EEENS1_25partition_config_selectorILNS1_17partition_subalgoE4EjNS0_10empty_typeEbEEZZNS1_14partition_implILS8_4ELb0ES6_15HIP_vector_typeIjLj2EENS0_17counting_iteratorIjlEEPS9_SG_NS0_5tupleIJPjSI_NS0_16reverse_iteratorISI_EEEEENSH_IJSG_SG_SG_EEES9_SI_JZNS1_25segmented_radix_sort_implINS0_14default_configELb0EPKiPiPKlPlN2at6native12_GLOBAL__N_18offset_tEEE10hipError_tPvRmT1_PNSt15iterator_traitsIS12_E10value_typeET2_T3_PNS13_IS18_E10value_typeET4_jRbjT5_S1E_jjP12ihipStream_tbEUljE_ZNSN_ISO_Lb0ESQ_SR_ST_SU_SY_EESZ_S10_S11_S12_S16_S17_S18_S1B_S1C_jS1D_jS1E_S1E_jjS1G_bEUljE0_EEESZ_S10_S11_S18_S1C_S1E_T6_T7_T9_mT8_S1G_bDpT10_ENKUlT_T0_E_clISt17integral_constantIbLb1EES1U_EEDaS1P_S1Q_EUlS1P_E_NS1_11comp_targetILNS1_3genE8ELNS1_11target_archE1030ELNS1_3gpuE2ELNS1_3repE0EEENS1_30default_config_static_selectorELNS0_4arch9wavefront6targetE0EEEvS12_.private_seg_size, 0
	.set _ZN7rocprim17ROCPRIM_400000_NS6detail17trampoline_kernelINS0_13select_configILj256ELj13ELNS0_17block_load_methodE3ELS4_3ELS4_3ELNS0_20block_scan_algorithmE0ELj4294967295EEENS1_25partition_config_selectorILNS1_17partition_subalgoE4EjNS0_10empty_typeEbEEZZNS1_14partition_implILS8_4ELb0ES6_15HIP_vector_typeIjLj2EENS0_17counting_iteratorIjlEEPS9_SG_NS0_5tupleIJPjSI_NS0_16reverse_iteratorISI_EEEEENSH_IJSG_SG_SG_EEES9_SI_JZNS1_25segmented_radix_sort_implINS0_14default_configELb0EPKiPiPKlPlN2at6native12_GLOBAL__N_18offset_tEEE10hipError_tPvRmT1_PNSt15iterator_traitsIS12_E10value_typeET2_T3_PNS13_IS18_E10value_typeET4_jRbjT5_S1E_jjP12ihipStream_tbEUljE_ZNSN_ISO_Lb0ESQ_SR_ST_SU_SY_EESZ_S10_S11_S12_S16_S17_S18_S1B_S1C_jS1D_jS1E_S1E_jjS1G_bEUljE0_EEESZ_S10_S11_S18_S1C_S1E_T6_T7_T9_mT8_S1G_bDpT10_ENKUlT_T0_E_clISt17integral_constantIbLb1EES1U_EEDaS1P_S1Q_EUlS1P_E_NS1_11comp_targetILNS1_3genE8ELNS1_11target_archE1030ELNS1_3gpuE2ELNS1_3repE0EEENS1_30default_config_static_selectorELNS0_4arch9wavefront6targetE0EEEvS12_.uses_vcc, 0
	.set _ZN7rocprim17ROCPRIM_400000_NS6detail17trampoline_kernelINS0_13select_configILj256ELj13ELNS0_17block_load_methodE3ELS4_3ELS4_3ELNS0_20block_scan_algorithmE0ELj4294967295EEENS1_25partition_config_selectorILNS1_17partition_subalgoE4EjNS0_10empty_typeEbEEZZNS1_14partition_implILS8_4ELb0ES6_15HIP_vector_typeIjLj2EENS0_17counting_iteratorIjlEEPS9_SG_NS0_5tupleIJPjSI_NS0_16reverse_iteratorISI_EEEEENSH_IJSG_SG_SG_EEES9_SI_JZNS1_25segmented_radix_sort_implINS0_14default_configELb0EPKiPiPKlPlN2at6native12_GLOBAL__N_18offset_tEEE10hipError_tPvRmT1_PNSt15iterator_traitsIS12_E10value_typeET2_T3_PNS13_IS18_E10value_typeET4_jRbjT5_S1E_jjP12ihipStream_tbEUljE_ZNSN_ISO_Lb0ESQ_SR_ST_SU_SY_EESZ_S10_S11_S12_S16_S17_S18_S1B_S1C_jS1D_jS1E_S1E_jjS1G_bEUljE0_EEESZ_S10_S11_S18_S1C_S1E_T6_T7_T9_mT8_S1G_bDpT10_ENKUlT_T0_E_clISt17integral_constantIbLb1EES1U_EEDaS1P_S1Q_EUlS1P_E_NS1_11comp_targetILNS1_3genE8ELNS1_11target_archE1030ELNS1_3gpuE2ELNS1_3repE0EEENS1_30default_config_static_selectorELNS0_4arch9wavefront6targetE0EEEvS12_.uses_flat_scratch, 0
	.set _ZN7rocprim17ROCPRIM_400000_NS6detail17trampoline_kernelINS0_13select_configILj256ELj13ELNS0_17block_load_methodE3ELS4_3ELS4_3ELNS0_20block_scan_algorithmE0ELj4294967295EEENS1_25partition_config_selectorILNS1_17partition_subalgoE4EjNS0_10empty_typeEbEEZZNS1_14partition_implILS8_4ELb0ES6_15HIP_vector_typeIjLj2EENS0_17counting_iteratorIjlEEPS9_SG_NS0_5tupleIJPjSI_NS0_16reverse_iteratorISI_EEEEENSH_IJSG_SG_SG_EEES9_SI_JZNS1_25segmented_radix_sort_implINS0_14default_configELb0EPKiPiPKlPlN2at6native12_GLOBAL__N_18offset_tEEE10hipError_tPvRmT1_PNSt15iterator_traitsIS12_E10value_typeET2_T3_PNS13_IS18_E10value_typeET4_jRbjT5_S1E_jjP12ihipStream_tbEUljE_ZNSN_ISO_Lb0ESQ_SR_ST_SU_SY_EESZ_S10_S11_S12_S16_S17_S18_S1B_S1C_jS1D_jS1E_S1E_jjS1G_bEUljE0_EEESZ_S10_S11_S18_S1C_S1E_T6_T7_T9_mT8_S1G_bDpT10_ENKUlT_T0_E_clISt17integral_constantIbLb1EES1U_EEDaS1P_S1Q_EUlS1P_E_NS1_11comp_targetILNS1_3genE8ELNS1_11target_archE1030ELNS1_3gpuE2ELNS1_3repE0EEENS1_30default_config_static_selectorELNS0_4arch9wavefront6targetE0EEEvS12_.has_dyn_sized_stack, 0
	.set _ZN7rocprim17ROCPRIM_400000_NS6detail17trampoline_kernelINS0_13select_configILj256ELj13ELNS0_17block_load_methodE3ELS4_3ELS4_3ELNS0_20block_scan_algorithmE0ELj4294967295EEENS1_25partition_config_selectorILNS1_17partition_subalgoE4EjNS0_10empty_typeEbEEZZNS1_14partition_implILS8_4ELb0ES6_15HIP_vector_typeIjLj2EENS0_17counting_iteratorIjlEEPS9_SG_NS0_5tupleIJPjSI_NS0_16reverse_iteratorISI_EEEEENSH_IJSG_SG_SG_EEES9_SI_JZNS1_25segmented_radix_sort_implINS0_14default_configELb0EPKiPiPKlPlN2at6native12_GLOBAL__N_18offset_tEEE10hipError_tPvRmT1_PNSt15iterator_traitsIS12_E10value_typeET2_T3_PNS13_IS18_E10value_typeET4_jRbjT5_S1E_jjP12ihipStream_tbEUljE_ZNSN_ISO_Lb0ESQ_SR_ST_SU_SY_EESZ_S10_S11_S12_S16_S17_S18_S1B_S1C_jS1D_jS1E_S1E_jjS1G_bEUljE0_EEESZ_S10_S11_S18_S1C_S1E_T6_T7_T9_mT8_S1G_bDpT10_ENKUlT_T0_E_clISt17integral_constantIbLb1EES1U_EEDaS1P_S1Q_EUlS1P_E_NS1_11comp_targetILNS1_3genE8ELNS1_11target_archE1030ELNS1_3gpuE2ELNS1_3repE0EEENS1_30default_config_static_selectorELNS0_4arch9wavefront6targetE0EEEvS12_.has_recursion, 0
	.set _ZN7rocprim17ROCPRIM_400000_NS6detail17trampoline_kernelINS0_13select_configILj256ELj13ELNS0_17block_load_methodE3ELS4_3ELS4_3ELNS0_20block_scan_algorithmE0ELj4294967295EEENS1_25partition_config_selectorILNS1_17partition_subalgoE4EjNS0_10empty_typeEbEEZZNS1_14partition_implILS8_4ELb0ES6_15HIP_vector_typeIjLj2EENS0_17counting_iteratorIjlEEPS9_SG_NS0_5tupleIJPjSI_NS0_16reverse_iteratorISI_EEEEENSH_IJSG_SG_SG_EEES9_SI_JZNS1_25segmented_radix_sort_implINS0_14default_configELb0EPKiPiPKlPlN2at6native12_GLOBAL__N_18offset_tEEE10hipError_tPvRmT1_PNSt15iterator_traitsIS12_E10value_typeET2_T3_PNS13_IS18_E10value_typeET4_jRbjT5_S1E_jjP12ihipStream_tbEUljE_ZNSN_ISO_Lb0ESQ_SR_ST_SU_SY_EESZ_S10_S11_S12_S16_S17_S18_S1B_S1C_jS1D_jS1E_S1E_jjS1G_bEUljE0_EEESZ_S10_S11_S18_S1C_S1E_T6_T7_T9_mT8_S1G_bDpT10_ENKUlT_T0_E_clISt17integral_constantIbLb1EES1U_EEDaS1P_S1Q_EUlS1P_E_NS1_11comp_targetILNS1_3genE8ELNS1_11target_archE1030ELNS1_3gpuE2ELNS1_3repE0EEENS1_30default_config_static_selectorELNS0_4arch9wavefront6targetE0EEEvS12_.has_indirect_call, 0
	.section	.AMDGPU.csdata,"",@progbits
; Kernel info:
; codeLenInByte = 0
; TotalNumSgprs: 0
; NumVgprs: 0
; ScratchSize: 0
; MemoryBound: 0
; FloatMode: 240
; IeeeMode: 1
; LDSByteSize: 0 bytes/workgroup (compile time only)
; SGPRBlocks: 0
; VGPRBlocks: 0
; NumSGPRsForWavesPerEU: 1
; NumVGPRsForWavesPerEU: 1
; NamedBarCnt: 0
; Occupancy: 16
; WaveLimiterHint : 0
; COMPUTE_PGM_RSRC2:SCRATCH_EN: 0
; COMPUTE_PGM_RSRC2:USER_SGPR: 2
; COMPUTE_PGM_RSRC2:TRAP_HANDLER: 0
; COMPUTE_PGM_RSRC2:TGID_X_EN: 1
; COMPUTE_PGM_RSRC2:TGID_Y_EN: 0
; COMPUTE_PGM_RSRC2:TGID_Z_EN: 0
; COMPUTE_PGM_RSRC2:TIDIG_COMP_CNT: 0
	.section	.text._ZN7rocprim17ROCPRIM_400000_NS6detail17trampoline_kernelINS0_13select_configILj256ELj13ELNS0_17block_load_methodE3ELS4_3ELS4_3ELNS0_20block_scan_algorithmE0ELj4294967295EEENS1_25partition_config_selectorILNS1_17partition_subalgoE4EjNS0_10empty_typeEbEEZZNS1_14partition_implILS8_4ELb0ES6_15HIP_vector_typeIjLj2EENS0_17counting_iteratorIjlEEPS9_SG_NS0_5tupleIJPjSI_NS0_16reverse_iteratorISI_EEEEENSH_IJSG_SG_SG_EEES9_SI_JZNS1_25segmented_radix_sort_implINS0_14default_configELb0EPKiPiPKlPlN2at6native12_GLOBAL__N_18offset_tEEE10hipError_tPvRmT1_PNSt15iterator_traitsIS12_E10value_typeET2_T3_PNS13_IS18_E10value_typeET4_jRbjT5_S1E_jjP12ihipStream_tbEUljE_ZNSN_ISO_Lb0ESQ_SR_ST_SU_SY_EESZ_S10_S11_S12_S16_S17_S18_S1B_S1C_jS1D_jS1E_S1E_jjS1G_bEUljE0_EEESZ_S10_S11_S18_S1C_S1E_T6_T7_T9_mT8_S1G_bDpT10_ENKUlT_T0_E_clISt17integral_constantIbLb1EES1T_IbLb0EEEEDaS1P_S1Q_EUlS1P_E_NS1_11comp_targetILNS1_3genE0ELNS1_11target_archE4294967295ELNS1_3gpuE0ELNS1_3repE0EEENS1_30default_config_static_selectorELNS0_4arch9wavefront6targetE0EEEvS12_,"axG",@progbits,_ZN7rocprim17ROCPRIM_400000_NS6detail17trampoline_kernelINS0_13select_configILj256ELj13ELNS0_17block_load_methodE3ELS4_3ELS4_3ELNS0_20block_scan_algorithmE0ELj4294967295EEENS1_25partition_config_selectorILNS1_17partition_subalgoE4EjNS0_10empty_typeEbEEZZNS1_14partition_implILS8_4ELb0ES6_15HIP_vector_typeIjLj2EENS0_17counting_iteratorIjlEEPS9_SG_NS0_5tupleIJPjSI_NS0_16reverse_iteratorISI_EEEEENSH_IJSG_SG_SG_EEES9_SI_JZNS1_25segmented_radix_sort_implINS0_14default_configELb0EPKiPiPKlPlN2at6native12_GLOBAL__N_18offset_tEEE10hipError_tPvRmT1_PNSt15iterator_traitsIS12_E10value_typeET2_T3_PNS13_IS18_E10value_typeET4_jRbjT5_S1E_jjP12ihipStream_tbEUljE_ZNSN_ISO_Lb0ESQ_SR_ST_SU_SY_EESZ_S10_S11_S12_S16_S17_S18_S1B_S1C_jS1D_jS1E_S1E_jjS1G_bEUljE0_EEESZ_S10_S11_S18_S1C_S1E_T6_T7_T9_mT8_S1G_bDpT10_ENKUlT_T0_E_clISt17integral_constantIbLb1EES1T_IbLb0EEEEDaS1P_S1Q_EUlS1P_E_NS1_11comp_targetILNS1_3genE0ELNS1_11target_archE4294967295ELNS1_3gpuE0ELNS1_3repE0EEENS1_30default_config_static_selectorELNS0_4arch9wavefront6targetE0EEEvS12_,comdat
	.globl	_ZN7rocprim17ROCPRIM_400000_NS6detail17trampoline_kernelINS0_13select_configILj256ELj13ELNS0_17block_load_methodE3ELS4_3ELS4_3ELNS0_20block_scan_algorithmE0ELj4294967295EEENS1_25partition_config_selectorILNS1_17partition_subalgoE4EjNS0_10empty_typeEbEEZZNS1_14partition_implILS8_4ELb0ES6_15HIP_vector_typeIjLj2EENS0_17counting_iteratorIjlEEPS9_SG_NS0_5tupleIJPjSI_NS0_16reverse_iteratorISI_EEEEENSH_IJSG_SG_SG_EEES9_SI_JZNS1_25segmented_radix_sort_implINS0_14default_configELb0EPKiPiPKlPlN2at6native12_GLOBAL__N_18offset_tEEE10hipError_tPvRmT1_PNSt15iterator_traitsIS12_E10value_typeET2_T3_PNS13_IS18_E10value_typeET4_jRbjT5_S1E_jjP12ihipStream_tbEUljE_ZNSN_ISO_Lb0ESQ_SR_ST_SU_SY_EESZ_S10_S11_S12_S16_S17_S18_S1B_S1C_jS1D_jS1E_S1E_jjS1G_bEUljE0_EEESZ_S10_S11_S18_S1C_S1E_T6_T7_T9_mT8_S1G_bDpT10_ENKUlT_T0_E_clISt17integral_constantIbLb1EES1T_IbLb0EEEEDaS1P_S1Q_EUlS1P_E_NS1_11comp_targetILNS1_3genE0ELNS1_11target_archE4294967295ELNS1_3gpuE0ELNS1_3repE0EEENS1_30default_config_static_selectorELNS0_4arch9wavefront6targetE0EEEvS12_ ; -- Begin function _ZN7rocprim17ROCPRIM_400000_NS6detail17trampoline_kernelINS0_13select_configILj256ELj13ELNS0_17block_load_methodE3ELS4_3ELS4_3ELNS0_20block_scan_algorithmE0ELj4294967295EEENS1_25partition_config_selectorILNS1_17partition_subalgoE4EjNS0_10empty_typeEbEEZZNS1_14partition_implILS8_4ELb0ES6_15HIP_vector_typeIjLj2EENS0_17counting_iteratorIjlEEPS9_SG_NS0_5tupleIJPjSI_NS0_16reverse_iteratorISI_EEEEENSH_IJSG_SG_SG_EEES9_SI_JZNS1_25segmented_radix_sort_implINS0_14default_configELb0EPKiPiPKlPlN2at6native12_GLOBAL__N_18offset_tEEE10hipError_tPvRmT1_PNSt15iterator_traitsIS12_E10value_typeET2_T3_PNS13_IS18_E10value_typeET4_jRbjT5_S1E_jjP12ihipStream_tbEUljE_ZNSN_ISO_Lb0ESQ_SR_ST_SU_SY_EESZ_S10_S11_S12_S16_S17_S18_S1B_S1C_jS1D_jS1E_S1E_jjS1G_bEUljE0_EEESZ_S10_S11_S18_S1C_S1E_T6_T7_T9_mT8_S1G_bDpT10_ENKUlT_T0_E_clISt17integral_constantIbLb1EES1T_IbLb0EEEEDaS1P_S1Q_EUlS1P_E_NS1_11comp_targetILNS1_3genE0ELNS1_11target_archE4294967295ELNS1_3gpuE0ELNS1_3repE0EEENS1_30default_config_static_selectorELNS0_4arch9wavefront6targetE0EEEvS12_
	.p2align	8
	.type	_ZN7rocprim17ROCPRIM_400000_NS6detail17trampoline_kernelINS0_13select_configILj256ELj13ELNS0_17block_load_methodE3ELS4_3ELS4_3ELNS0_20block_scan_algorithmE0ELj4294967295EEENS1_25partition_config_selectorILNS1_17partition_subalgoE4EjNS0_10empty_typeEbEEZZNS1_14partition_implILS8_4ELb0ES6_15HIP_vector_typeIjLj2EENS0_17counting_iteratorIjlEEPS9_SG_NS0_5tupleIJPjSI_NS0_16reverse_iteratorISI_EEEEENSH_IJSG_SG_SG_EEES9_SI_JZNS1_25segmented_radix_sort_implINS0_14default_configELb0EPKiPiPKlPlN2at6native12_GLOBAL__N_18offset_tEEE10hipError_tPvRmT1_PNSt15iterator_traitsIS12_E10value_typeET2_T3_PNS13_IS18_E10value_typeET4_jRbjT5_S1E_jjP12ihipStream_tbEUljE_ZNSN_ISO_Lb0ESQ_SR_ST_SU_SY_EESZ_S10_S11_S12_S16_S17_S18_S1B_S1C_jS1D_jS1E_S1E_jjS1G_bEUljE0_EEESZ_S10_S11_S18_S1C_S1E_T6_T7_T9_mT8_S1G_bDpT10_ENKUlT_T0_E_clISt17integral_constantIbLb1EES1T_IbLb0EEEEDaS1P_S1Q_EUlS1P_E_NS1_11comp_targetILNS1_3genE0ELNS1_11target_archE4294967295ELNS1_3gpuE0ELNS1_3repE0EEENS1_30default_config_static_selectorELNS0_4arch9wavefront6targetE0EEEvS12_,@function
_ZN7rocprim17ROCPRIM_400000_NS6detail17trampoline_kernelINS0_13select_configILj256ELj13ELNS0_17block_load_methodE3ELS4_3ELS4_3ELNS0_20block_scan_algorithmE0ELj4294967295EEENS1_25partition_config_selectorILNS1_17partition_subalgoE4EjNS0_10empty_typeEbEEZZNS1_14partition_implILS8_4ELb0ES6_15HIP_vector_typeIjLj2EENS0_17counting_iteratorIjlEEPS9_SG_NS0_5tupleIJPjSI_NS0_16reverse_iteratorISI_EEEEENSH_IJSG_SG_SG_EEES9_SI_JZNS1_25segmented_radix_sort_implINS0_14default_configELb0EPKiPiPKlPlN2at6native12_GLOBAL__N_18offset_tEEE10hipError_tPvRmT1_PNSt15iterator_traitsIS12_E10value_typeET2_T3_PNS13_IS18_E10value_typeET4_jRbjT5_S1E_jjP12ihipStream_tbEUljE_ZNSN_ISO_Lb0ESQ_SR_ST_SU_SY_EESZ_S10_S11_S12_S16_S17_S18_S1B_S1C_jS1D_jS1E_S1E_jjS1G_bEUljE0_EEESZ_S10_S11_S18_S1C_S1E_T6_T7_T9_mT8_S1G_bDpT10_ENKUlT_T0_E_clISt17integral_constantIbLb1EES1T_IbLb0EEEEDaS1P_S1Q_EUlS1P_E_NS1_11comp_targetILNS1_3genE0ELNS1_11target_archE4294967295ELNS1_3gpuE0ELNS1_3repE0EEENS1_30default_config_static_selectorELNS0_4arch9wavefront6targetE0EEEvS12_: ; @_ZN7rocprim17ROCPRIM_400000_NS6detail17trampoline_kernelINS0_13select_configILj256ELj13ELNS0_17block_load_methodE3ELS4_3ELS4_3ELNS0_20block_scan_algorithmE0ELj4294967295EEENS1_25partition_config_selectorILNS1_17partition_subalgoE4EjNS0_10empty_typeEbEEZZNS1_14partition_implILS8_4ELb0ES6_15HIP_vector_typeIjLj2EENS0_17counting_iteratorIjlEEPS9_SG_NS0_5tupleIJPjSI_NS0_16reverse_iteratorISI_EEEEENSH_IJSG_SG_SG_EEES9_SI_JZNS1_25segmented_radix_sort_implINS0_14default_configELb0EPKiPiPKlPlN2at6native12_GLOBAL__N_18offset_tEEE10hipError_tPvRmT1_PNSt15iterator_traitsIS12_E10value_typeET2_T3_PNS13_IS18_E10value_typeET4_jRbjT5_S1E_jjP12ihipStream_tbEUljE_ZNSN_ISO_Lb0ESQ_SR_ST_SU_SY_EESZ_S10_S11_S12_S16_S17_S18_S1B_S1C_jS1D_jS1E_S1E_jjS1G_bEUljE0_EEESZ_S10_S11_S18_S1C_S1E_T6_T7_T9_mT8_S1G_bDpT10_ENKUlT_T0_E_clISt17integral_constantIbLb1EES1T_IbLb0EEEEDaS1P_S1Q_EUlS1P_E_NS1_11comp_targetILNS1_3genE0ELNS1_11target_archE4294967295ELNS1_3gpuE0ELNS1_3repE0EEENS1_30default_config_static_selectorELNS0_4arch9wavefront6targetE0EEEvS12_
; %bb.0:
	s_endpgm
	.section	.rodata,"a",@progbits
	.p2align	6, 0x0
	.amdhsa_kernel _ZN7rocprim17ROCPRIM_400000_NS6detail17trampoline_kernelINS0_13select_configILj256ELj13ELNS0_17block_load_methodE3ELS4_3ELS4_3ELNS0_20block_scan_algorithmE0ELj4294967295EEENS1_25partition_config_selectorILNS1_17partition_subalgoE4EjNS0_10empty_typeEbEEZZNS1_14partition_implILS8_4ELb0ES6_15HIP_vector_typeIjLj2EENS0_17counting_iteratorIjlEEPS9_SG_NS0_5tupleIJPjSI_NS0_16reverse_iteratorISI_EEEEENSH_IJSG_SG_SG_EEES9_SI_JZNS1_25segmented_radix_sort_implINS0_14default_configELb0EPKiPiPKlPlN2at6native12_GLOBAL__N_18offset_tEEE10hipError_tPvRmT1_PNSt15iterator_traitsIS12_E10value_typeET2_T3_PNS13_IS18_E10value_typeET4_jRbjT5_S1E_jjP12ihipStream_tbEUljE_ZNSN_ISO_Lb0ESQ_SR_ST_SU_SY_EESZ_S10_S11_S12_S16_S17_S18_S1B_S1C_jS1D_jS1E_S1E_jjS1G_bEUljE0_EEESZ_S10_S11_S18_S1C_S1E_T6_T7_T9_mT8_S1G_bDpT10_ENKUlT_T0_E_clISt17integral_constantIbLb1EES1T_IbLb0EEEEDaS1P_S1Q_EUlS1P_E_NS1_11comp_targetILNS1_3genE0ELNS1_11target_archE4294967295ELNS1_3gpuE0ELNS1_3repE0EEENS1_30default_config_static_selectorELNS0_4arch9wavefront6targetE0EEEvS12_
		.amdhsa_group_segment_fixed_size 0
		.amdhsa_private_segment_fixed_size 0
		.amdhsa_kernarg_size 176
		.amdhsa_user_sgpr_count 2
		.amdhsa_user_sgpr_dispatch_ptr 0
		.amdhsa_user_sgpr_queue_ptr 0
		.amdhsa_user_sgpr_kernarg_segment_ptr 1
		.amdhsa_user_sgpr_dispatch_id 0
		.amdhsa_user_sgpr_kernarg_preload_length 0
		.amdhsa_user_sgpr_kernarg_preload_offset 0
		.amdhsa_user_sgpr_private_segment_size 0
		.amdhsa_wavefront_size32 1
		.amdhsa_uses_dynamic_stack 0
		.amdhsa_enable_private_segment 0
		.amdhsa_system_sgpr_workgroup_id_x 1
		.amdhsa_system_sgpr_workgroup_id_y 0
		.amdhsa_system_sgpr_workgroup_id_z 0
		.amdhsa_system_sgpr_workgroup_info 0
		.amdhsa_system_vgpr_workitem_id 0
		.amdhsa_next_free_vgpr 1
		.amdhsa_next_free_sgpr 1
		.amdhsa_named_barrier_count 0
		.amdhsa_reserve_vcc 0
		.amdhsa_float_round_mode_32 0
		.amdhsa_float_round_mode_16_64 0
		.amdhsa_float_denorm_mode_32 3
		.amdhsa_float_denorm_mode_16_64 3
		.amdhsa_fp16_overflow 0
		.amdhsa_memory_ordered 1
		.amdhsa_forward_progress 1
		.amdhsa_inst_pref_size 1
		.amdhsa_round_robin_scheduling 0
		.amdhsa_exception_fp_ieee_invalid_op 0
		.amdhsa_exception_fp_denorm_src 0
		.amdhsa_exception_fp_ieee_div_zero 0
		.amdhsa_exception_fp_ieee_overflow 0
		.amdhsa_exception_fp_ieee_underflow 0
		.amdhsa_exception_fp_ieee_inexact 0
		.amdhsa_exception_int_div_zero 0
	.end_amdhsa_kernel
	.section	.text._ZN7rocprim17ROCPRIM_400000_NS6detail17trampoline_kernelINS0_13select_configILj256ELj13ELNS0_17block_load_methodE3ELS4_3ELS4_3ELNS0_20block_scan_algorithmE0ELj4294967295EEENS1_25partition_config_selectorILNS1_17partition_subalgoE4EjNS0_10empty_typeEbEEZZNS1_14partition_implILS8_4ELb0ES6_15HIP_vector_typeIjLj2EENS0_17counting_iteratorIjlEEPS9_SG_NS0_5tupleIJPjSI_NS0_16reverse_iteratorISI_EEEEENSH_IJSG_SG_SG_EEES9_SI_JZNS1_25segmented_radix_sort_implINS0_14default_configELb0EPKiPiPKlPlN2at6native12_GLOBAL__N_18offset_tEEE10hipError_tPvRmT1_PNSt15iterator_traitsIS12_E10value_typeET2_T3_PNS13_IS18_E10value_typeET4_jRbjT5_S1E_jjP12ihipStream_tbEUljE_ZNSN_ISO_Lb0ESQ_SR_ST_SU_SY_EESZ_S10_S11_S12_S16_S17_S18_S1B_S1C_jS1D_jS1E_S1E_jjS1G_bEUljE0_EEESZ_S10_S11_S18_S1C_S1E_T6_T7_T9_mT8_S1G_bDpT10_ENKUlT_T0_E_clISt17integral_constantIbLb1EES1T_IbLb0EEEEDaS1P_S1Q_EUlS1P_E_NS1_11comp_targetILNS1_3genE0ELNS1_11target_archE4294967295ELNS1_3gpuE0ELNS1_3repE0EEENS1_30default_config_static_selectorELNS0_4arch9wavefront6targetE0EEEvS12_,"axG",@progbits,_ZN7rocprim17ROCPRIM_400000_NS6detail17trampoline_kernelINS0_13select_configILj256ELj13ELNS0_17block_load_methodE3ELS4_3ELS4_3ELNS0_20block_scan_algorithmE0ELj4294967295EEENS1_25partition_config_selectorILNS1_17partition_subalgoE4EjNS0_10empty_typeEbEEZZNS1_14partition_implILS8_4ELb0ES6_15HIP_vector_typeIjLj2EENS0_17counting_iteratorIjlEEPS9_SG_NS0_5tupleIJPjSI_NS0_16reverse_iteratorISI_EEEEENSH_IJSG_SG_SG_EEES9_SI_JZNS1_25segmented_radix_sort_implINS0_14default_configELb0EPKiPiPKlPlN2at6native12_GLOBAL__N_18offset_tEEE10hipError_tPvRmT1_PNSt15iterator_traitsIS12_E10value_typeET2_T3_PNS13_IS18_E10value_typeET4_jRbjT5_S1E_jjP12ihipStream_tbEUljE_ZNSN_ISO_Lb0ESQ_SR_ST_SU_SY_EESZ_S10_S11_S12_S16_S17_S18_S1B_S1C_jS1D_jS1E_S1E_jjS1G_bEUljE0_EEESZ_S10_S11_S18_S1C_S1E_T6_T7_T9_mT8_S1G_bDpT10_ENKUlT_T0_E_clISt17integral_constantIbLb1EES1T_IbLb0EEEEDaS1P_S1Q_EUlS1P_E_NS1_11comp_targetILNS1_3genE0ELNS1_11target_archE4294967295ELNS1_3gpuE0ELNS1_3repE0EEENS1_30default_config_static_selectorELNS0_4arch9wavefront6targetE0EEEvS12_,comdat
.Lfunc_end548:
	.size	_ZN7rocprim17ROCPRIM_400000_NS6detail17trampoline_kernelINS0_13select_configILj256ELj13ELNS0_17block_load_methodE3ELS4_3ELS4_3ELNS0_20block_scan_algorithmE0ELj4294967295EEENS1_25partition_config_selectorILNS1_17partition_subalgoE4EjNS0_10empty_typeEbEEZZNS1_14partition_implILS8_4ELb0ES6_15HIP_vector_typeIjLj2EENS0_17counting_iteratorIjlEEPS9_SG_NS0_5tupleIJPjSI_NS0_16reverse_iteratorISI_EEEEENSH_IJSG_SG_SG_EEES9_SI_JZNS1_25segmented_radix_sort_implINS0_14default_configELb0EPKiPiPKlPlN2at6native12_GLOBAL__N_18offset_tEEE10hipError_tPvRmT1_PNSt15iterator_traitsIS12_E10value_typeET2_T3_PNS13_IS18_E10value_typeET4_jRbjT5_S1E_jjP12ihipStream_tbEUljE_ZNSN_ISO_Lb0ESQ_SR_ST_SU_SY_EESZ_S10_S11_S12_S16_S17_S18_S1B_S1C_jS1D_jS1E_S1E_jjS1G_bEUljE0_EEESZ_S10_S11_S18_S1C_S1E_T6_T7_T9_mT8_S1G_bDpT10_ENKUlT_T0_E_clISt17integral_constantIbLb1EES1T_IbLb0EEEEDaS1P_S1Q_EUlS1P_E_NS1_11comp_targetILNS1_3genE0ELNS1_11target_archE4294967295ELNS1_3gpuE0ELNS1_3repE0EEENS1_30default_config_static_selectorELNS0_4arch9wavefront6targetE0EEEvS12_, .Lfunc_end548-_ZN7rocprim17ROCPRIM_400000_NS6detail17trampoline_kernelINS0_13select_configILj256ELj13ELNS0_17block_load_methodE3ELS4_3ELS4_3ELNS0_20block_scan_algorithmE0ELj4294967295EEENS1_25partition_config_selectorILNS1_17partition_subalgoE4EjNS0_10empty_typeEbEEZZNS1_14partition_implILS8_4ELb0ES6_15HIP_vector_typeIjLj2EENS0_17counting_iteratorIjlEEPS9_SG_NS0_5tupleIJPjSI_NS0_16reverse_iteratorISI_EEEEENSH_IJSG_SG_SG_EEES9_SI_JZNS1_25segmented_radix_sort_implINS0_14default_configELb0EPKiPiPKlPlN2at6native12_GLOBAL__N_18offset_tEEE10hipError_tPvRmT1_PNSt15iterator_traitsIS12_E10value_typeET2_T3_PNS13_IS18_E10value_typeET4_jRbjT5_S1E_jjP12ihipStream_tbEUljE_ZNSN_ISO_Lb0ESQ_SR_ST_SU_SY_EESZ_S10_S11_S12_S16_S17_S18_S1B_S1C_jS1D_jS1E_S1E_jjS1G_bEUljE0_EEESZ_S10_S11_S18_S1C_S1E_T6_T7_T9_mT8_S1G_bDpT10_ENKUlT_T0_E_clISt17integral_constantIbLb1EES1T_IbLb0EEEEDaS1P_S1Q_EUlS1P_E_NS1_11comp_targetILNS1_3genE0ELNS1_11target_archE4294967295ELNS1_3gpuE0ELNS1_3repE0EEENS1_30default_config_static_selectorELNS0_4arch9wavefront6targetE0EEEvS12_
                                        ; -- End function
	.set _ZN7rocprim17ROCPRIM_400000_NS6detail17trampoline_kernelINS0_13select_configILj256ELj13ELNS0_17block_load_methodE3ELS4_3ELS4_3ELNS0_20block_scan_algorithmE0ELj4294967295EEENS1_25partition_config_selectorILNS1_17partition_subalgoE4EjNS0_10empty_typeEbEEZZNS1_14partition_implILS8_4ELb0ES6_15HIP_vector_typeIjLj2EENS0_17counting_iteratorIjlEEPS9_SG_NS0_5tupleIJPjSI_NS0_16reverse_iteratorISI_EEEEENSH_IJSG_SG_SG_EEES9_SI_JZNS1_25segmented_radix_sort_implINS0_14default_configELb0EPKiPiPKlPlN2at6native12_GLOBAL__N_18offset_tEEE10hipError_tPvRmT1_PNSt15iterator_traitsIS12_E10value_typeET2_T3_PNS13_IS18_E10value_typeET4_jRbjT5_S1E_jjP12ihipStream_tbEUljE_ZNSN_ISO_Lb0ESQ_SR_ST_SU_SY_EESZ_S10_S11_S12_S16_S17_S18_S1B_S1C_jS1D_jS1E_S1E_jjS1G_bEUljE0_EEESZ_S10_S11_S18_S1C_S1E_T6_T7_T9_mT8_S1G_bDpT10_ENKUlT_T0_E_clISt17integral_constantIbLb1EES1T_IbLb0EEEEDaS1P_S1Q_EUlS1P_E_NS1_11comp_targetILNS1_3genE0ELNS1_11target_archE4294967295ELNS1_3gpuE0ELNS1_3repE0EEENS1_30default_config_static_selectorELNS0_4arch9wavefront6targetE0EEEvS12_.num_vgpr, 0
	.set _ZN7rocprim17ROCPRIM_400000_NS6detail17trampoline_kernelINS0_13select_configILj256ELj13ELNS0_17block_load_methodE3ELS4_3ELS4_3ELNS0_20block_scan_algorithmE0ELj4294967295EEENS1_25partition_config_selectorILNS1_17partition_subalgoE4EjNS0_10empty_typeEbEEZZNS1_14partition_implILS8_4ELb0ES6_15HIP_vector_typeIjLj2EENS0_17counting_iteratorIjlEEPS9_SG_NS0_5tupleIJPjSI_NS0_16reverse_iteratorISI_EEEEENSH_IJSG_SG_SG_EEES9_SI_JZNS1_25segmented_radix_sort_implINS0_14default_configELb0EPKiPiPKlPlN2at6native12_GLOBAL__N_18offset_tEEE10hipError_tPvRmT1_PNSt15iterator_traitsIS12_E10value_typeET2_T3_PNS13_IS18_E10value_typeET4_jRbjT5_S1E_jjP12ihipStream_tbEUljE_ZNSN_ISO_Lb0ESQ_SR_ST_SU_SY_EESZ_S10_S11_S12_S16_S17_S18_S1B_S1C_jS1D_jS1E_S1E_jjS1G_bEUljE0_EEESZ_S10_S11_S18_S1C_S1E_T6_T7_T9_mT8_S1G_bDpT10_ENKUlT_T0_E_clISt17integral_constantIbLb1EES1T_IbLb0EEEEDaS1P_S1Q_EUlS1P_E_NS1_11comp_targetILNS1_3genE0ELNS1_11target_archE4294967295ELNS1_3gpuE0ELNS1_3repE0EEENS1_30default_config_static_selectorELNS0_4arch9wavefront6targetE0EEEvS12_.num_agpr, 0
	.set _ZN7rocprim17ROCPRIM_400000_NS6detail17trampoline_kernelINS0_13select_configILj256ELj13ELNS0_17block_load_methodE3ELS4_3ELS4_3ELNS0_20block_scan_algorithmE0ELj4294967295EEENS1_25partition_config_selectorILNS1_17partition_subalgoE4EjNS0_10empty_typeEbEEZZNS1_14partition_implILS8_4ELb0ES6_15HIP_vector_typeIjLj2EENS0_17counting_iteratorIjlEEPS9_SG_NS0_5tupleIJPjSI_NS0_16reverse_iteratorISI_EEEEENSH_IJSG_SG_SG_EEES9_SI_JZNS1_25segmented_radix_sort_implINS0_14default_configELb0EPKiPiPKlPlN2at6native12_GLOBAL__N_18offset_tEEE10hipError_tPvRmT1_PNSt15iterator_traitsIS12_E10value_typeET2_T3_PNS13_IS18_E10value_typeET4_jRbjT5_S1E_jjP12ihipStream_tbEUljE_ZNSN_ISO_Lb0ESQ_SR_ST_SU_SY_EESZ_S10_S11_S12_S16_S17_S18_S1B_S1C_jS1D_jS1E_S1E_jjS1G_bEUljE0_EEESZ_S10_S11_S18_S1C_S1E_T6_T7_T9_mT8_S1G_bDpT10_ENKUlT_T0_E_clISt17integral_constantIbLb1EES1T_IbLb0EEEEDaS1P_S1Q_EUlS1P_E_NS1_11comp_targetILNS1_3genE0ELNS1_11target_archE4294967295ELNS1_3gpuE0ELNS1_3repE0EEENS1_30default_config_static_selectorELNS0_4arch9wavefront6targetE0EEEvS12_.numbered_sgpr, 0
	.set _ZN7rocprim17ROCPRIM_400000_NS6detail17trampoline_kernelINS0_13select_configILj256ELj13ELNS0_17block_load_methodE3ELS4_3ELS4_3ELNS0_20block_scan_algorithmE0ELj4294967295EEENS1_25partition_config_selectorILNS1_17partition_subalgoE4EjNS0_10empty_typeEbEEZZNS1_14partition_implILS8_4ELb0ES6_15HIP_vector_typeIjLj2EENS0_17counting_iteratorIjlEEPS9_SG_NS0_5tupleIJPjSI_NS0_16reverse_iteratorISI_EEEEENSH_IJSG_SG_SG_EEES9_SI_JZNS1_25segmented_radix_sort_implINS0_14default_configELb0EPKiPiPKlPlN2at6native12_GLOBAL__N_18offset_tEEE10hipError_tPvRmT1_PNSt15iterator_traitsIS12_E10value_typeET2_T3_PNS13_IS18_E10value_typeET4_jRbjT5_S1E_jjP12ihipStream_tbEUljE_ZNSN_ISO_Lb0ESQ_SR_ST_SU_SY_EESZ_S10_S11_S12_S16_S17_S18_S1B_S1C_jS1D_jS1E_S1E_jjS1G_bEUljE0_EEESZ_S10_S11_S18_S1C_S1E_T6_T7_T9_mT8_S1G_bDpT10_ENKUlT_T0_E_clISt17integral_constantIbLb1EES1T_IbLb0EEEEDaS1P_S1Q_EUlS1P_E_NS1_11comp_targetILNS1_3genE0ELNS1_11target_archE4294967295ELNS1_3gpuE0ELNS1_3repE0EEENS1_30default_config_static_selectorELNS0_4arch9wavefront6targetE0EEEvS12_.num_named_barrier, 0
	.set _ZN7rocprim17ROCPRIM_400000_NS6detail17trampoline_kernelINS0_13select_configILj256ELj13ELNS0_17block_load_methodE3ELS4_3ELS4_3ELNS0_20block_scan_algorithmE0ELj4294967295EEENS1_25partition_config_selectorILNS1_17partition_subalgoE4EjNS0_10empty_typeEbEEZZNS1_14partition_implILS8_4ELb0ES6_15HIP_vector_typeIjLj2EENS0_17counting_iteratorIjlEEPS9_SG_NS0_5tupleIJPjSI_NS0_16reverse_iteratorISI_EEEEENSH_IJSG_SG_SG_EEES9_SI_JZNS1_25segmented_radix_sort_implINS0_14default_configELb0EPKiPiPKlPlN2at6native12_GLOBAL__N_18offset_tEEE10hipError_tPvRmT1_PNSt15iterator_traitsIS12_E10value_typeET2_T3_PNS13_IS18_E10value_typeET4_jRbjT5_S1E_jjP12ihipStream_tbEUljE_ZNSN_ISO_Lb0ESQ_SR_ST_SU_SY_EESZ_S10_S11_S12_S16_S17_S18_S1B_S1C_jS1D_jS1E_S1E_jjS1G_bEUljE0_EEESZ_S10_S11_S18_S1C_S1E_T6_T7_T9_mT8_S1G_bDpT10_ENKUlT_T0_E_clISt17integral_constantIbLb1EES1T_IbLb0EEEEDaS1P_S1Q_EUlS1P_E_NS1_11comp_targetILNS1_3genE0ELNS1_11target_archE4294967295ELNS1_3gpuE0ELNS1_3repE0EEENS1_30default_config_static_selectorELNS0_4arch9wavefront6targetE0EEEvS12_.private_seg_size, 0
	.set _ZN7rocprim17ROCPRIM_400000_NS6detail17trampoline_kernelINS0_13select_configILj256ELj13ELNS0_17block_load_methodE3ELS4_3ELS4_3ELNS0_20block_scan_algorithmE0ELj4294967295EEENS1_25partition_config_selectorILNS1_17partition_subalgoE4EjNS0_10empty_typeEbEEZZNS1_14partition_implILS8_4ELb0ES6_15HIP_vector_typeIjLj2EENS0_17counting_iteratorIjlEEPS9_SG_NS0_5tupleIJPjSI_NS0_16reverse_iteratorISI_EEEEENSH_IJSG_SG_SG_EEES9_SI_JZNS1_25segmented_radix_sort_implINS0_14default_configELb0EPKiPiPKlPlN2at6native12_GLOBAL__N_18offset_tEEE10hipError_tPvRmT1_PNSt15iterator_traitsIS12_E10value_typeET2_T3_PNS13_IS18_E10value_typeET4_jRbjT5_S1E_jjP12ihipStream_tbEUljE_ZNSN_ISO_Lb0ESQ_SR_ST_SU_SY_EESZ_S10_S11_S12_S16_S17_S18_S1B_S1C_jS1D_jS1E_S1E_jjS1G_bEUljE0_EEESZ_S10_S11_S18_S1C_S1E_T6_T7_T9_mT8_S1G_bDpT10_ENKUlT_T0_E_clISt17integral_constantIbLb1EES1T_IbLb0EEEEDaS1P_S1Q_EUlS1P_E_NS1_11comp_targetILNS1_3genE0ELNS1_11target_archE4294967295ELNS1_3gpuE0ELNS1_3repE0EEENS1_30default_config_static_selectorELNS0_4arch9wavefront6targetE0EEEvS12_.uses_vcc, 0
	.set _ZN7rocprim17ROCPRIM_400000_NS6detail17trampoline_kernelINS0_13select_configILj256ELj13ELNS0_17block_load_methodE3ELS4_3ELS4_3ELNS0_20block_scan_algorithmE0ELj4294967295EEENS1_25partition_config_selectorILNS1_17partition_subalgoE4EjNS0_10empty_typeEbEEZZNS1_14partition_implILS8_4ELb0ES6_15HIP_vector_typeIjLj2EENS0_17counting_iteratorIjlEEPS9_SG_NS0_5tupleIJPjSI_NS0_16reverse_iteratorISI_EEEEENSH_IJSG_SG_SG_EEES9_SI_JZNS1_25segmented_radix_sort_implINS0_14default_configELb0EPKiPiPKlPlN2at6native12_GLOBAL__N_18offset_tEEE10hipError_tPvRmT1_PNSt15iterator_traitsIS12_E10value_typeET2_T3_PNS13_IS18_E10value_typeET4_jRbjT5_S1E_jjP12ihipStream_tbEUljE_ZNSN_ISO_Lb0ESQ_SR_ST_SU_SY_EESZ_S10_S11_S12_S16_S17_S18_S1B_S1C_jS1D_jS1E_S1E_jjS1G_bEUljE0_EEESZ_S10_S11_S18_S1C_S1E_T6_T7_T9_mT8_S1G_bDpT10_ENKUlT_T0_E_clISt17integral_constantIbLb1EES1T_IbLb0EEEEDaS1P_S1Q_EUlS1P_E_NS1_11comp_targetILNS1_3genE0ELNS1_11target_archE4294967295ELNS1_3gpuE0ELNS1_3repE0EEENS1_30default_config_static_selectorELNS0_4arch9wavefront6targetE0EEEvS12_.uses_flat_scratch, 0
	.set _ZN7rocprim17ROCPRIM_400000_NS6detail17trampoline_kernelINS0_13select_configILj256ELj13ELNS0_17block_load_methodE3ELS4_3ELS4_3ELNS0_20block_scan_algorithmE0ELj4294967295EEENS1_25partition_config_selectorILNS1_17partition_subalgoE4EjNS0_10empty_typeEbEEZZNS1_14partition_implILS8_4ELb0ES6_15HIP_vector_typeIjLj2EENS0_17counting_iteratorIjlEEPS9_SG_NS0_5tupleIJPjSI_NS0_16reverse_iteratorISI_EEEEENSH_IJSG_SG_SG_EEES9_SI_JZNS1_25segmented_radix_sort_implINS0_14default_configELb0EPKiPiPKlPlN2at6native12_GLOBAL__N_18offset_tEEE10hipError_tPvRmT1_PNSt15iterator_traitsIS12_E10value_typeET2_T3_PNS13_IS18_E10value_typeET4_jRbjT5_S1E_jjP12ihipStream_tbEUljE_ZNSN_ISO_Lb0ESQ_SR_ST_SU_SY_EESZ_S10_S11_S12_S16_S17_S18_S1B_S1C_jS1D_jS1E_S1E_jjS1G_bEUljE0_EEESZ_S10_S11_S18_S1C_S1E_T6_T7_T9_mT8_S1G_bDpT10_ENKUlT_T0_E_clISt17integral_constantIbLb1EES1T_IbLb0EEEEDaS1P_S1Q_EUlS1P_E_NS1_11comp_targetILNS1_3genE0ELNS1_11target_archE4294967295ELNS1_3gpuE0ELNS1_3repE0EEENS1_30default_config_static_selectorELNS0_4arch9wavefront6targetE0EEEvS12_.has_dyn_sized_stack, 0
	.set _ZN7rocprim17ROCPRIM_400000_NS6detail17trampoline_kernelINS0_13select_configILj256ELj13ELNS0_17block_load_methodE3ELS4_3ELS4_3ELNS0_20block_scan_algorithmE0ELj4294967295EEENS1_25partition_config_selectorILNS1_17partition_subalgoE4EjNS0_10empty_typeEbEEZZNS1_14partition_implILS8_4ELb0ES6_15HIP_vector_typeIjLj2EENS0_17counting_iteratorIjlEEPS9_SG_NS0_5tupleIJPjSI_NS0_16reverse_iteratorISI_EEEEENSH_IJSG_SG_SG_EEES9_SI_JZNS1_25segmented_radix_sort_implINS0_14default_configELb0EPKiPiPKlPlN2at6native12_GLOBAL__N_18offset_tEEE10hipError_tPvRmT1_PNSt15iterator_traitsIS12_E10value_typeET2_T3_PNS13_IS18_E10value_typeET4_jRbjT5_S1E_jjP12ihipStream_tbEUljE_ZNSN_ISO_Lb0ESQ_SR_ST_SU_SY_EESZ_S10_S11_S12_S16_S17_S18_S1B_S1C_jS1D_jS1E_S1E_jjS1G_bEUljE0_EEESZ_S10_S11_S18_S1C_S1E_T6_T7_T9_mT8_S1G_bDpT10_ENKUlT_T0_E_clISt17integral_constantIbLb1EES1T_IbLb0EEEEDaS1P_S1Q_EUlS1P_E_NS1_11comp_targetILNS1_3genE0ELNS1_11target_archE4294967295ELNS1_3gpuE0ELNS1_3repE0EEENS1_30default_config_static_selectorELNS0_4arch9wavefront6targetE0EEEvS12_.has_recursion, 0
	.set _ZN7rocprim17ROCPRIM_400000_NS6detail17trampoline_kernelINS0_13select_configILj256ELj13ELNS0_17block_load_methodE3ELS4_3ELS4_3ELNS0_20block_scan_algorithmE0ELj4294967295EEENS1_25partition_config_selectorILNS1_17partition_subalgoE4EjNS0_10empty_typeEbEEZZNS1_14partition_implILS8_4ELb0ES6_15HIP_vector_typeIjLj2EENS0_17counting_iteratorIjlEEPS9_SG_NS0_5tupleIJPjSI_NS0_16reverse_iteratorISI_EEEEENSH_IJSG_SG_SG_EEES9_SI_JZNS1_25segmented_radix_sort_implINS0_14default_configELb0EPKiPiPKlPlN2at6native12_GLOBAL__N_18offset_tEEE10hipError_tPvRmT1_PNSt15iterator_traitsIS12_E10value_typeET2_T3_PNS13_IS18_E10value_typeET4_jRbjT5_S1E_jjP12ihipStream_tbEUljE_ZNSN_ISO_Lb0ESQ_SR_ST_SU_SY_EESZ_S10_S11_S12_S16_S17_S18_S1B_S1C_jS1D_jS1E_S1E_jjS1G_bEUljE0_EEESZ_S10_S11_S18_S1C_S1E_T6_T7_T9_mT8_S1G_bDpT10_ENKUlT_T0_E_clISt17integral_constantIbLb1EES1T_IbLb0EEEEDaS1P_S1Q_EUlS1P_E_NS1_11comp_targetILNS1_3genE0ELNS1_11target_archE4294967295ELNS1_3gpuE0ELNS1_3repE0EEENS1_30default_config_static_selectorELNS0_4arch9wavefront6targetE0EEEvS12_.has_indirect_call, 0
	.section	.AMDGPU.csdata,"",@progbits
; Kernel info:
; codeLenInByte = 4
; TotalNumSgprs: 0
; NumVgprs: 0
; ScratchSize: 0
; MemoryBound: 0
; FloatMode: 240
; IeeeMode: 1
; LDSByteSize: 0 bytes/workgroup (compile time only)
; SGPRBlocks: 0
; VGPRBlocks: 0
; NumSGPRsForWavesPerEU: 1
; NumVGPRsForWavesPerEU: 1
; NamedBarCnt: 0
; Occupancy: 16
; WaveLimiterHint : 0
; COMPUTE_PGM_RSRC2:SCRATCH_EN: 0
; COMPUTE_PGM_RSRC2:USER_SGPR: 2
; COMPUTE_PGM_RSRC2:TRAP_HANDLER: 0
; COMPUTE_PGM_RSRC2:TGID_X_EN: 1
; COMPUTE_PGM_RSRC2:TGID_Y_EN: 0
; COMPUTE_PGM_RSRC2:TGID_Z_EN: 0
; COMPUTE_PGM_RSRC2:TIDIG_COMP_CNT: 0
	.section	.text._ZN7rocprim17ROCPRIM_400000_NS6detail17trampoline_kernelINS0_13select_configILj256ELj13ELNS0_17block_load_methodE3ELS4_3ELS4_3ELNS0_20block_scan_algorithmE0ELj4294967295EEENS1_25partition_config_selectorILNS1_17partition_subalgoE4EjNS0_10empty_typeEbEEZZNS1_14partition_implILS8_4ELb0ES6_15HIP_vector_typeIjLj2EENS0_17counting_iteratorIjlEEPS9_SG_NS0_5tupleIJPjSI_NS0_16reverse_iteratorISI_EEEEENSH_IJSG_SG_SG_EEES9_SI_JZNS1_25segmented_radix_sort_implINS0_14default_configELb0EPKiPiPKlPlN2at6native12_GLOBAL__N_18offset_tEEE10hipError_tPvRmT1_PNSt15iterator_traitsIS12_E10value_typeET2_T3_PNS13_IS18_E10value_typeET4_jRbjT5_S1E_jjP12ihipStream_tbEUljE_ZNSN_ISO_Lb0ESQ_SR_ST_SU_SY_EESZ_S10_S11_S12_S16_S17_S18_S1B_S1C_jS1D_jS1E_S1E_jjS1G_bEUljE0_EEESZ_S10_S11_S18_S1C_S1E_T6_T7_T9_mT8_S1G_bDpT10_ENKUlT_T0_E_clISt17integral_constantIbLb1EES1T_IbLb0EEEEDaS1P_S1Q_EUlS1P_E_NS1_11comp_targetILNS1_3genE5ELNS1_11target_archE942ELNS1_3gpuE9ELNS1_3repE0EEENS1_30default_config_static_selectorELNS0_4arch9wavefront6targetE0EEEvS12_,"axG",@progbits,_ZN7rocprim17ROCPRIM_400000_NS6detail17trampoline_kernelINS0_13select_configILj256ELj13ELNS0_17block_load_methodE3ELS4_3ELS4_3ELNS0_20block_scan_algorithmE0ELj4294967295EEENS1_25partition_config_selectorILNS1_17partition_subalgoE4EjNS0_10empty_typeEbEEZZNS1_14partition_implILS8_4ELb0ES6_15HIP_vector_typeIjLj2EENS0_17counting_iteratorIjlEEPS9_SG_NS0_5tupleIJPjSI_NS0_16reverse_iteratorISI_EEEEENSH_IJSG_SG_SG_EEES9_SI_JZNS1_25segmented_radix_sort_implINS0_14default_configELb0EPKiPiPKlPlN2at6native12_GLOBAL__N_18offset_tEEE10hipError_tPvRmT1_PNSt15iterator_traitsIS12_E10value_typeET2_T3_PNS13_IS18_E10value_typeET4_jRbjT5_S1E_jjP12ihipStream_tbEUljE_ZNSN_ISO_Lb0ESQ_SR_ST_SU_SY_EESZ_S10_S11_S12_S16_S17_S18_S1B_S1C_jS1D_jS1E_S1E_jjS1G_bEUljE0_EEESZ_S10_S11_S18_S1C_S1E_T6_T7_T9_mT8_S1G_bDpT10_ENKUlT_T0_E_clISt17integral_constantIbLb1EES1T_IbLb0EEEEDaS1P_S1Q_EUlS1P_E_NS1_11comp_targetILNS1_3genE5ELNS1_11target_archE942ELNS1_3gpuE9ELNS1_3repE0EEENS1_30default_config_static_selectorELNS0_4arch9wavefront6targetE0EEEvS12_,comdat
	.globl	_ZN7rocprim17ROCPRIM_400000_NS6detail17trampoline_kernelINS0_13select_configILj256ELj13ELNS0_17block_load_methodE3ELS4_3ELS4_3ELNS0_20block_scan_algorithmE0ELj4294967295EEENS1_25partition_config_selectorILNS1_17partition_subalgoE4EjNS0_10empty_typeEbEEZZNS1_14partition_implILS8_4ELb0ES6_15HIP_vector_typeIjLj2EENS0_17counting_iteratorIjlEEPS9_SG_NS0_5tupleIJPjSI_NS0_16reverse_iteratorISI_EEEEENSH_IJSG_SG_SG_EEES9_SI_JZNS1_25segmented_radix_sort_implINS0_14default_configELb0EPKiPiPKlPlN2at6native12_GLOBAL__N_18offset_tEEE10hipError_tPvRmT1_PNSt15iterator_traitsIS12_E10value_typeET2_T3_PNS13_IS18_E10value_typeET4_jRbjT5_S1E_jjP12ihipStream_tbEUljE_ZNSN_ISO_Lb0ESQ_SR_ST_SU_SY_EESZ_S10_S11_S12_S16_S17_S18_S1B_S1C_jS1D_jS1E_S1E_jjS1G_bEUljE0_EEESZ_S10_S11_S18_S1C_S1E_T6_T7_T9_mT8_S1G_bDpT10_ENKUlT_T0_E_clISt17integral_constantIbLb1EES1T_IbLb0EEEEDaS1P_S1Q_EUlS1P_E_NS1_11comp_targetILNS1_3genE5ELNS1_11target_archE942ELNS1_3gpuE9ELNS1_3repE0EEENS1_30default_config_static_selectorELNS0_4arch9wavefront6targetE0EEEvS12_ ; -- Begin function _ZN7rocprim17ROCPRIM_400000_NS6detail17trampoline_kernelINS0_13select_configILj256ELj13ELNS0_17block_load_methodE3ELS4_3ELS4_3ELNS0_20block_scan_algorithmE0ELj4294967295EEENS1_25partition_config_selectorILNS1_17partition_subalgoE4EjNS0_10empty_typeEbEEZZNS1_14partition_implILS8_4ELb0ES6_15HIP_vector_typeIjLj2EENS0_17counting_iteratorIjlEEPS9_SG_NS0_5tupleIJPjSI_NS0_16reverse_iteratorISI_EEEEENSH_IJSG_SG_SG_EEES9_SI_JZNS1_25segmented_radix_sort_implINS0_14default_configELb0EPKiPiPKlPlN2at6native12_GLOBAL__N_18offset_tEEE10hipError_tPvRmT1_PNSt15iterator_traitsIS12_E10value_typeET2_T3_PNS13_IS18_E10value_typeET4_jRbjT5_S1E_jjP12ihipStream_tbEUljE_ZNSN_ISO_Lb0ESQ_SR_ST_SU_SY_EESZ_S10_S11_S12_S16_S17_S18_S1B_S1C_jS1D_jS1E_S1E_jjS1G_bEUljE0_EEESZ_S10_S11_S18_S1C_S1E_T6_T7_T9_mT8_S1G_bDpT10_ENKUlT_T0_E_clISt17integral_constantIbLb1EES1T_IbLb0EEEEDaS1P_S1Q_EUlS1P_E_NS1_11comp_targetILNS1_3genE5ELNS1_11target_archE942ELNS1_3gpuE9ELNS1_3repE0EEENS1_30default_config_static_selectorELNS0_4arch9wavefront6targetE0EEEvS12_
	.p2align	8
	.type	_ZN7rocprim17ROCPRIM_400000_NS6detail17trampoline_kernelINS0_13select_configILj256ELj13ELNS0_17block_load_methodE3ELS4_3ELS4_3ELNS0_20block_scan_algorithmE0ELj4294967295EEENS1_25partition_config_selectorILNS1_17partition_subalgoE4EjNS0_10empty_typeEbEEZZNS1_14partition_implILS8_4ELb0ES6_15HIP_vector_typeIjLj2EENS0_17counting_iteratorIjlEEPS9_SG_NS0_5tupleIJPjSI_NS0_16reverse_iteratorISI_EEEEENSH_IJSG_SG_SG_EEES9_SI_JZNS1_25segmented_radix_sort_implINS0_14default_configELb0EPKiPiPKlPlN2at6native12_GLOBAL__N_18offset_tEEE10hipError_tPvRmT1_PNSt15iterator_traitsIS12_E10value_typeET2_T3_PNS13_IS18_E10value_typeET4_jRbjT5_S1E_jjP12ihipStream_tbEUljE_ZNSN_ISO_Lb0ESQ_SR_ST_SU_SY_EESZ_S10_S11_S12_S16_S17_S18_S1B_S1C_jS1D_jS1E_S1E_jjS1G_bEUljE0_EEESZ_S10_S11_S18_S1C_S1E_T6_T7_T9_mT8_S1G_bDpT10_ENKUlT_T0_E_clISt17integral_constantIbLb1EES1T_IbLb0EEEEDaS1P_S1Q_EUlS1P_E_NS1_11comp_targetILNS1_3genE5ELNS1_11target_archE942ELNS1_3gpuE9ELNS1_3repE0EEENS1_30default_config_static_selectorELNS0_4arch9wavefront6targetE0EEEvS12_,@function
_ZN7rocprim17ROCPRIM_400000_NS6detail17trampoline_kernelINS0_13select_configILj256ELj13ELNS0_17block_load_methodE3ELS4_3ELS4_3ELNS0_20block_scan_algorithmE0ELj4294967295EEENS1_25partition_config_selectorILNS1_17partition_subalgoE4EjNS0_10empty_typeEbEEZZNS1_14partition_implILS8_4ELb0ES6_15HIP_vector_typeIjLj2EENS0_17counting_iteratorIjlEEPS9_SG_NS0_5tupleIJPjSI_NS0_16reverse_iteratorISI_EEEEENSH_IJSG_SG_SG_EEES9_SI_JZNS1_25segmented_radix_sort_implINS0_14default_configELb0EPKiPiPKlPlN2at6native12_GLOBAL__N_18offset_tEEE10hipError_tPvRmT1_PNSt15iterator_traitsIS12_E10value_typeET2_T3_PNS13_IS18_E10value_typeET4_jRbjT5_S1E_jjP12ihipStream_tbEUljE_ZNSN_ISO_Lb0ESQ_SR_ST_SU_SY_EESZ_S10_S11_S12_S16_S17_S18_S1B_S1C_jS1D_jS1E_S1E_jjS1G_bEUljE0_EEESZ_S10_S11_S18_S1C_S1E_T6_T7_T9_mT8_S1G_bDpT10_ENKUlT_T0_E_clISt17integral_constantIbLb1EES1T_IbLb0EEEEDaS1P_S1Q_EUlS1P_E_NS1_11comp_targetILNS1_3genE5ELNS1_11target_archE942ELNS1_3gpuE9ELNS1_3repE0EEENS1_30default_config_static_selectorELNS0_4arch9wavefront6targetE0EEEvS12_: ; @_ZN7rocprim17ROCPRIM_400000_NS6detail17trampoline_kernelINS0_13select_configILj256ELj13ELNS0_17block_load_methodE3ELS4_3ELS4_3ELNS0_20block_scan_algorithmE0ELj4294967295EEENS1_25partition_config_selectorILNS1_17partition_subalgoE4EjNS0_10empty_typeEbEEZZNS1_14partition_implILS8_4ELb0ES6_15HIP_vector_typeIjLj2EENS0_17counting_iteratorIjlEEPS9_SG_NS0_5tupleIJPjSI_NS0_16reverse_iteratorISI_EEEEENSH_IJSG_SG_SG_EEES9_SI_JZNS1_25segmented_radix_sort_implINS0_14default_configELb0EPKiPiPKlPlN2at6native12_GLOBAL__N_18offset_tEEE10hipError_tPvRmT1_PNSt15iterator_traitsIS12_E10value_typeET2_T3_PNS13_IS18_E10value_typeET4_jRbjT5_S1E_jjP12ihipStream_tbEUljE_ZNSN_ISO_Lb0ESQ_SR_ST_SU_SY_EESZ_S10_S11_S12_S16_S17_S18_S1B_S1C_jS1D_jS1E_S1E_jjS1G_bEUljE0_EEESZ_S10_S11_S18_S1C_S1E_T6_T7_T9_mT8_S1G_bDpT10_ENKUlT_T0_E_clISt17integral_constantIbLb1EES1T_IbLb0EEEEDaS1P_S1Q_EUlS1P_E_NS1_11comp_targetILNS1_3genE5ELNS1_11target_archE942ELNS1_3gpuE9ELNS1_3repE0EEENS1_30default_config_static_selectorELNS0_4arch9wavefront6targetE0EEEvS12_
; %bb.0:
	.section	.rodata,"a",@progbits
	.p2align	6, 0x0
	.amdhsa_kernel _ZN7rocprim17ROCPRIM_400000_NS6detail17trampoline_kernelINS0_13select_configILj256ELj13ELNS0_17block_load_methodE3ELS4_3ELS4_3ELNS0_20block_scan_algorithmE0ELj4294967295EEENS1_25partition_config_selectorILNS1_17partition_subalgoE4EjNS0_10empty_typeEbEEZZNS1_14partition_implILS8_4ELb0ES6_15HIP_vector_typeIjLj2EENS0_17counting_iteratorIjlEEPS9_SG_NS0_5tupleIJPjSI_NS0_16reverse_iteratorISI_EEEEENSH_IJSG_SG_SG_EEES9_SI_JZNS1_25segmented_radix_sort_implINS0_14default_configELb0EPKiPiPKlPlN2at6native12_GLOBAL__N_18offset_tEEE10hipError_tPvRmT1_PNSt15iterator_traitsIS12_E10value_typeET2_T3_PNS13_IS18_E10value_typeET4_jRbjT5_S1E_jjP12ihipStream_tbEUljE_ZNSN_ISO_Lb0ESQ_SR_ST_SU_SY_EESZ_S10_S11_S12_S16_S17_S18_S1B_S1C_jS1D_jS1E_S1E_jjS1G_bEUljE0_EEESZ_S10_S11_S18_S1C_S1E_T6_T7_T9_mT8_S1G_bDpT10_ENKUlT_T0_E_clISt17integral_constantIbLb1EES1T_IbLb0EEEEDaS1P_S1Q_EUlS1P_E_NS1_11comp_targetILNS1_3genE5ELNS1_11target_archE942ELNS1_3gpuE9ELNS1_3repE0EEENS1_30default_config_static_selectorELNS0_4arch9wavefront6targetE0EEEvS12_
		.amdhsa_group_segment_fixed_size 0
		.amdhsa_private_segment_fixed_size 0
		.amdhsa_kernarg_size 176
		.amdhsa_user_sgpr_count 2
		.amdhsa_user_sgpr_dispatch_ptr 0
		.amdhsa_user_sgpr_queue_ptr 0
		.amdhsa_user_sgpr_kernarg_segment_ptr 1
		.amdhsa_user_sgpr_dispatch_id 0
		.amdhsa_user_sgpr_kernarg_preload_length 0
		.amdhsa_user_sgpr_kernarg_preload_offset 0
		.amdhsa_user_sgpr_private_segment_size 0
		.amdhsa_wavefront_size32 1
		.amdhsa_uses_dynamic_stack 0
		.amdhsa_enable_private_segment 0
		.amdhsa_system_sgpr_workgroup_id_x 1
		.amdhsa_system_sgpr_workgroup_id_y 0
		.amdhsa_system_sgpr_workgroup_id_z 0
		.amdhsa_system_sgpr_workgroup_info 0
		.amdhsa_system_vgpr_workitem_id 0
		.amdhsa_next_free_vgpr 1
		.amdhsa_next_free_sgpr 1
		.amdhsa_named_barrier_count 0
		.amdhsa_reserve_vcc 0
		.amdhsa_float_round_mode_32 0
		.amdhsa_float_round_mode_16_64 0
		.amdhsa_float_denorm_mode_32 3
		.amdhsa_float_denorm_mode_16_64 3
		.amdhsa_fp16_overflow 0
		.amdhsa_memory_ordered 1
		.amdhsa_forward_progress 1
		.amdhsa_inst_pref_size 0
		.amdhsa_round_robin_scheduling 0
		.amdhsa_exception_fp_ieee_invalid_op 0
		.amdhsa_exception_fp_denorm_src 0
		.amdhsa_exception_fp_ieee_div_zero 0
		.amdhsa_exception_fp_ieee_overflow 0
		.amdhsa_exception_fp_ieee_underflow 0
		.amdhsa_exception_fp_ieee_inexact 0
		.amdhsa_exception_int_div_zero 0
	.end_amdhsa_kernel
	.section	.text._ZN7rocprim17ROCPRIM_400000_NS6detail17trampoline_kernelINS0_13select_configILj256ELj13ELNS0_17block_load_methodE3ELS4_3ELS4_3ELNS0_20block_scan_algorithmE0ELj4294967295EEENS1_25partition_config_selectorILNS1_17partition_subalgoE4EjNS0_10empty_typeEbEEZZNS1_14partition_implILS8_4ELb0ES6_15HIP_vector_typeIjLj2EENS0_17counting_iteratorIjlEEPS9_SG_NS0_5tupleIJPjSI_NS0_16reverse_iteratorISI_EEEEENSH_IJSG_SG_SG_EEES9_SI_JZNS1_25segmented_radix_sort_implINS0_14default_configELb0EPKiPiPKlPlN2at6native12_GLOBAL__N_18offset_tEEE10hipError_tPvRmT1_PNSt15iterator_traitsIS12_E10value_typeET2_T3_PNS13_IS18_E10value_typeET4_jRbjT5_S1E_jjP12ihipStream_tbEUljE_ZNSN_ISO_Lb0ESQ_SR_ST_SU_SY_EESZ_S10_S11_S12_S16_S17_S18_S1B_S1C_jS1D_jS1E_S1E_jjS1G_bEUljE0_EEESZ_S10_S11_S18_S1C_S1E_T6_T7_T9_mT8_S1G_bDpT10_ENKUlT_T0_E_clISt17integral_constantIbLb1EES1T_IbLb0EEEEDaS1P_S1Q_EUlS1P_E_NS1_11comp_targetILNS1_3genE5ELNS1_11target_archE942ELNS1_3gpuE9ELNS1_3repE0EEENS1_30default_config_static_selectorELNS0_4arch9wavefront6targetE0EEEvS12_,"axG",@progbits,_ZN7rocprim17ROCPRIM_400000_NS6detail17trampoline_kernelINS0_13select_configILj256ELj13ELNS0_17block_load_methodE3ELS4_3ELS4_3ELNS0_20block_scan_algorithmE0ELj4294967295EEENS1_25partition_config_selectorILNS1_17partition_subalgoE4EjNS0_10empty_typeEbEEZZNS1_14partition_implILS8_4ELb0ES6_15HIP_vector_typeIjLj2EENS0_17counting_iteratorIjlEEPS9_SG_NS0_5tupleIJPjSI_NS0_16reverse_iteratorISI_EEEEENSH_IJSG_SG_SG_EEES9_SI_JZNS1_25segmented_radix_sort_implINS0_14default_configELb0EPKiPiPKlPlN2at6native12_GLOBAL__N_18offset_tEEE10hipError_tPvRmT1_PNSt15iterator_traitsIS12_E10value_typeET2_T3_PNS13_IS18_E10value_typeET4_jRbjT5_S1E_jjP12ihipStream_tbEUljE_ZNSN_ISO_Lb0ESQ_SR_ST_SU_SY_EESZ_S10_S11_S12_S16_S17_S18_S1B_S1C_jS1D_jS1E_S1E_jjS1G_bEUljE0_EEESZ_S10_S11_S18_S1C_S1E_T6_T7_T9_mT8_S1G_bDpT10_ENKUlT_T0_E_clISt17integral_constantIbLb1EES1T_IbLb0EEEEDaS1P_S1Q_EUlS1P_E_NS1_11comp_targetILNS1_3genE5ELNS1_11target_archE942ELNS1_3gpuE9ELNS1_3repE0EEENS1_30default_config_static_selectorELNS0_4arch9wavefront6targetE0EEEvS12_,comdat
.Lfunc_end549:
	.size	_ZN7rocprim17ROCPRIM_400000_NS6detail17trampoline_kernelINS0_13select_configILj256ELj13ELNS0_17block_load_methodE3ELS4_3ELS4_3ELNS0_20block_scan_algorithmE0ELj4294967295EEENS1_25partition_config_selectorILNS1_17partition_subalgoE4EjNS0_10empty_typeEbEEZZNS1_14partition_implILS8_4ELb0ES6_15HIP_vector_typeIjLj2EENS0_17counting_iteratorIjlEEPS9_SG_NS0_5tupleIJPjSI_NS0_16reverse_iteratorISI_EEEEENSH_IJSG_SG_SG_EEES9_SI_JZNS1_25segmented_radix_sort_implINS0_14default_configELb0EPKiPiPKlPlN2at6native12_GLOBAL__N_18offset_tEEE10hipError_tPvRmT1_PNSt15iterator_traitsIS12_E10value_typeET2_T3_PNS13_IS18_E10value_typeET4_jRbjT5_S1E_jjP12ihipStream_tbEUljE_ZNSN_ISO_Lb0ESQ_SR_ST_SU_SY_EESZ_S10_S11_S12_S16_S17_S18_S1B_S1C_jS1D_jS1E_S1E_jjS1G_bEUljE0_EEESZ_S10_S11_S18_S1C_S1E_T6_T7_T9_mT8_S1G_bDpT10_ENKUlT_T0_E_clISt17integral_constantIbLb1EES1T_IbLb0EEEEDaS1P_S1Q_EUlS1P_E_NS1_11comp_targetILNS1_3genE5ELNS1_11target_archE942ELNS1_3gpuE9ELNS1_3repE0EEENS1_30default_config_static_selectorELNS0_4arch9wavefront6targetE0EEEvS12_, .Lfunc_end549-_ZN7rocprim17ROCPRIM_400000_NS6detail17trampoline_kernelINS0_13select_configILj256ELj13ELNS0_17block_load_methodE3ELS4_3ELS4_3ELNS0_20block_scan_algorithmE0ELj4294967295EEENS1_25partition_config_selectorILNS1_17partition_subalgoE4EjNS0_10empty_typeEbEEZZNS1_14partition_implILS8_4ELb0ES6_15HIP_vector_typeIjLj2EENS0_17counting_iteratorIjlEEPS9_SG_NS0_5tupleIJPjSI_NS0_16reverse_iteratorISI_EEEEENSH_IJSG_SG_SG_EEES9_SI_JZNS1_25segmented_radix_sort_implINS0_14default_configELb0EPKiPiPKlPlN2at6native12_GLOBAL__N_18offset_tEEE10hipError_tPvRmT1_PNSt15iterator_traitsIS12_E10value_typeET2_T3_PNS13_IS18_E10value_typeET4_jRbjT5_S1E_jjP12ihipStream_tbEUljE_ZNSN_ISO_Lb0ESQ_SR_ST_SU_SY_EESZ_S10_S11_S12_S16_S17_S18_S1B_S1C_jS1D_jS1E_S1E_jjS1G_bEUljE0_EEESZ_S10_S11_S18_S1C_S1E_T6_T7_T9_mT8_S1G_bDpT10_ENKUlT_T0_E_clISt17integral_constantIbLb1EES1T_IbLb0EEEEDaS1P_S1Q_EUlS1P_E_NS1_11comp_targetILNS1_3genE5ELNS1_11target_archE942ELNS1_3gpuE9ELNS1_3repE0EEENS1_30default_config_static_selectorELNS0_4arch9wavefront6targetE0EEEvS12_
                                        ; -- End function
	.set _ZN7rocprim17ROCPRIM_400000_NS6detail17trampoline_kernelINS0_13select_configILj256ELj13ELNS0_17block_load_methodE3ELS4_3ELS4_3ELNS0_20block_scan_algorithmE0ELj4294967295EEENS1_25partition_config_selectorILNS1_17partition_subalgoE4EjNS0_10empty_typeEbEEZZNS1_14partition_implILS8_4ELb0ES6_15HIP_vector_typeIjLj2EENS0_17counting_iteratorIjlEEPS9_SG_NS0_5tupleIJPjSI_NS0_16reverse_iteratorISI_EEEEENSH_IJSG_SG_SG_EEES9_SI_JZNS1_25segmented_radix_sort_implINS0_14default_configELb0EPKiPiPKlPlN2at6native12_GLOBAL__N_18offset_tEEE10hipError_tPvRmT1_PNSt15iterator_traitsIS12_E10value_typeET2_T3_PNS13_IS18_E10value_typeET4_jRbjT5_S1E_jjP12ihipStream_tbEUljE_ZNSN_ISO_Lb0ESQ_SR_ST_SU_SY_EESZ_S10_S11_S12_S16_S17_S18_S1B_S1C_jS1D_jS1E_S1E_jjS1G_bEUljE0_EEESZ_S10_S11_S18_S1C_S1E_T6_T7_T9_mT8_S1G_bDpT10_ENKUlT_T0_E_clISt17integral_constantIbLb1EES1T_IbLb0EEEEDaS1P_S1Q_EUlS1P_E_NS1_11comp_targetILNS1_3genE5ELNS1_11target_archE942ELNS1_3gpuE9ELNS1_3repE0EEENS1_30default_config_static_selectorELNS0_4arch9wavefront6targetE0EEEvS12_.num_vgpr, 0
	.set _ZN7rocprim17ROCPRIM_400000_NS6detail17trampoline_kernelINS0_13select_configILj256ELj13ELNS0_17block_load_methodE3ELS4_3ELS4_3ELNS0_20block_scan_algorithmE0ELj4294967295EEENS1_25partition_config_selectorILNS1_17partition_subalgoE4EjNS0_10empty_typeEbEEZZNS1_14partition_implILS8_4ELb0ES6_15HIP_vector_typeIjLj2EENS0_17counting_iteratorIjlEEPS9_SG_NS0_5tupleIJPjSI_NS0_16reverse_iteratorISI_EEEEENSH_IJSG_SG_SG_EEES9_SI_JZNS1_25segmented_radix_sort_implINS0_14default_configELb0EPKiPiPKlPlN2at6native12_GLOBAL__N_18offset_tEEE10hipError_tPvRmT1_PNSt15iterator_traitsIS12_E10value_typeET2_T3_PNS13_IS18_E10value_typeET4_jRbjT5_S1E_jjP12ihipStream_tbEUljE_ZNSN_ISO_Lb0ESQ_SR_ST_SU_SY_EESZ_S10_S11_S12_S16_S17_S18_S1B_S1C_jS1D_jS1E_S1E_jjS1G_bEUljE0_EEESZ_S10_S11_S18_S1C_S1E_T6_T7_T9_mT8_S1G_bDpT10_ENKUlT_T0_E_clISt17integral_constantIbLb1EES1T_IbLb0EEEEDaS1P_S1Q_EUlS1P_E_NS1_11comp_targetILNS1_3genE5ELNS1_11target_archE942ELNS1_3gpuE9ELNS1_3repE0EEENS1_30default_config_static_selectorELNS0_4arch9wavefront6targetE0EEEvS12_.num_agpr, 0
	.set _ZN7rocprim17ROCPRIM_400000_NS6detail17trampoline_kernelINS0_13select_configILj256ELj13ELNS0_17block_load_methodE3ELS4_3ELS4_3ELNS0_20block_scan_algorithmE0ELj4294967295EEENS1_25partition_config_selectorILNS1_17partition_subalgoE4EjNS0_10empty_typeEbEEZZNS1_14partition_implILS8_4ELb0ES6_15HIP_vector_typeIjLj2EENS0_17counting_iteratorIjlEEPS9_SG_NS0_5tupleIJPjSI_NS0_16reverse_iteratorISI_EEEEENSH_IJSG_SG_SG_EEES9_SI_JZNS1_25segmented_radix_sort_implINS0_14default_configELb0EPKiPiPKlPlN2at6native12_GLOBAL__N_18offset_tEEE10hipError_tPvRmT1_PNSt15iterator_traitsIS12_E10value_typeET2_T3_PNS13_IS18_E10value_typeET4_jRbjT5_S1E_jjP12ihipStream_tbEUljE_ZNSN_ISO_Lb0ESQ_SR_ST_SU_SY_EESZ_S10_S11_S12_S16_S17_S18_S1B_S1C_jS1D_jS1E_S1E_jjS1G_bEUljE0_EEESZ_S10_S11_S18_S1C_S1E_T6_T7_T9_mT8_S1G_bDpT10_ENKUlT_T0_E_clISt17integral_constantIbLb1EES1T_IbLb0EEEEDaS1P_S1Q_EUlS1P_E_NS1_11comp_targetILNS1_3genE5ELNS1_11target_archE942ELNS1_3gpuE9ELNS1_3repE0EEENS1_30default_config_static_selectorELNS0_4arch9wavefront6targetE0EEEvS12_.numbered_sgpr, 0
	.set _ZN7rocprim17ROCPRIM_400000_NS6detail17trampoline_kernelINS0_13select_configILj256ELj13ELNS0_17block_load_methodE3ELS4_3ELS4_3ELNS0_20block_scan_algorithmE0ELj4294967295EEENS1_25partition_config_selectorILNS1_17partition_subalgoE4EjNS0_10empty_typeEbEEZZNS1_14partition_implILS8_4ELb0ES6_15HIP_vector_typeIjLj2EENS0_17counting_iteratorIjlEEPS9_SG_NS0_5tupleIJPjSI_NS0_16reverse_iteratorISI_EEEEENSH_IJSG_SG_SG_EEES9_SI_JZNS1_25segmented_radix_sort_implINS0_14default_configELb0EPKiPiPKlPlN2at6native12_GLOBAL__N_18offset_tEEE10hipError_tPvRmT1_PNSt15iterator_traitsIS12_E10value_typeET2_T3_PNS13_IS18_E10value_typeET4_jRbjT5_S1E_jjP12ihipStream_tbEUljE_ZNSN_ISO_Lb0ESQ_SR_ST_SU_SY_EESZ_S10_S11_S12_S16_S17_S18_S1B_S1C_jS1D_jS1E_S1E_jjS1G_bEUljE0_EEESZ_S10_S11_S18_S1C_S1E_T6_T7_T9_mT8_S1G_bDpT10_ENKUlT_T0_E_clISt17integral_constantIbLb1EES1T_IbLb0EEEEDaS1P_S1Q_EUlS1P_E_NS1_11comp_targetILNS1_3genE5ELNS1_11target_archE942ELNS1_3gpuE9ELNS1_3repE0EEENS1_30default_config_static_selectorELNS0_4arch9wavefront6targetE0EEEvS12_.num_named_barrier, 0
	.set _ZN7rocprim17ROCPRIM_400000_NS6detail17trampoline_kernelINS0_13select_configILj256ELj13ELNS0_17block_load_methodE3ELS4_3ELS4_3ELNS0_20block_scan_algorithmE0ELj4294967295EEENS1_25partition_config_selectorILNS1_17partition_subalgoE4EjNS0_10empty_typeEbEEZZNS1_14partition_implILS8_4ELb0ES6_15HIP_vector_typeIjLj2EENS0_17counting_iteratorIjlEEPS9_SG_NS0_5tupleIJPjSI_NS0_16reverse_iteratorISI_EEEEENSH_IJSG_SG_SG_EEES9_SI_JZNS1_25segmented_radix_sort_implINS0_14default_configELb0EPKiPiPKlPlN2at6native12_GLOBAL__N_18offset_tEEE10hipError_tPvRmT1_PNSt15iterator_traitsIS12_E10value_typeET2_T3_PNS13_IS18_E10value_typeET4_jRbjT5_S1E_jjP12ihipStream_tbEUljE_ZNSN_ISO_Lb0ESQ_SR_ST_SU_SY_EESZ_S10_S11_S12_S16_S17_S18_S1B_S1C_jS1D_jS1E_S1E_jjS1G_bEUljE0_EEESZ_S10_S11_S18_S1C_S1E_T6_T7_T9_mT8_S1G_bDpT10_ENKUlT_T0_E_clISt17integral_constantIbLb1EES1T_IbLb0EEEEDaS1P_S1Q_EUlS1P_E_NS1_11comp_targetILNS1_3genE5ELNS1_11target_archE942ELNS1_3gpuE9ELNS1_3repE0EEENS1_30default_config_static_selectorELNS0_4arch9wavefront6targetE0EEEvS12_.private_seg_size, 0
	.set _ZN7rocprim17ROCPRIM_400000_NS6detail17trampoline_kernelINS0_13select_configILj256ELj13ELNS0_17block_load_methodE3ELS4_3ELS4_3ELNS0_20block_scan_algorithmE0ELj4294967295EEENS1_25partition_config_selectorILNS1_17partition_subalgoE4EjNS0_10empty_typeEbEEZZNS1_14partition_implILS8_4ELb0ES6_15HIP_vector_typeIjLj2EENS0_17counting_iteratorIjlEEPS9_SG_NS0_5tupleIJPjSI_NS0_16reverse_iteratorISI_EEEEENSH_IJSG_SG_SG_EEES9_SI_JZNS1_25segmented_radix_sort_implINS0_14default_configELb0EPKiPiPKlPlN2at6native12_GLOBAL__N_18offset_tEEE10hipError_tPvRmT1_PNSt15iterator_traitsIS12_E10value_typeET2_T3_PNS13_IS18_E10value_typeET4_jRbjT5_S1E_jjP12ihipStream_tbEUljE_ZNSN_ISO_Lb0ESQ_SR_ST_SU_SY_EESZ_S10_S11_S12_S16_S17_S18_S1B_S1C_jS1D_jS1E_S1E_jjS1G_bEUljE0_EEESZ_S10_S11_S18_S1C_S1E_T6_T7_T9_mT8_S1G_bDpT10_ENKUlT_T0_E_clISt17integral_constantIbLb1EES1T_IbLb0EEEEDaS1P_S1Q_EUlS1P_E_NS1_11comp_targetILNS1_3genE5ELNS1_11target_archE942ELNS1_3gpuE9ELNS1_3repE0EEENS1_30default_config_static_selectorELNS0_4arch9wavefront6targetE0EEEvS12_.uses_vcc, 0
	.set _ZN7rocprim17ROCPRIM_400000_NS6detail17trampoline_kernelINS0_13select_configILj256ELj13ELNS0_17block_load_methodE3ELS4_3ELS4_3ELNS0_20block_scan_algorithmE0ELj4294967295EEENS1_25partition_config_selectorILNS1_17partition_subalgoE4EjNS0_10empty_typeEbEEZZNS1_14partition_implILS8_4ELb0ES6_15HIP_vector_typeIjLj2EENS0_17counting_iteratorIjlEEPS9_SG_NS0_5tupleIJPjSI_NS0_16reverse_iteratorISI_EEEEENSH_IJSG_SG_SG_EEES9_SI_JZNS1_25segmented_radix_sort_implINS0_14default_configELb0EPKiPiPKlPlN2at6native12_GLOBAL__N_18offset_tEEE10hipError_tPvRmT1_PNSt15iterator_traitsIS12_E10value_typeET2_T3_PNS13_IS18_E10value_typeET4_jRbjT5_S1E_jjP12ihipStream_tbEUljE_ZNSN_ISO_Lb0ESQ_SR_ST_SU_SY_EESZ_S10_S11_S12_S16_S17_S18_S1B_S1C_jS1D_jS1E_S1E_jjS1G_bEUljE0_EEESZ_S10_S11_S18_S1C_S1E_T6_T7_T9_mT8_S1G_bDpT10_ENKUlT_T0_E_clISt17integral_constantIbLb1EES1T_IbLb0EEEEDaS1P_S1Q_EUlS1P_E_NS1_11comp_targetILNS1_3genE5ELNS1_11target_archE942ELNS1_3gpuE9ELNS1_3repE0EEENS1_30default_config_static_selectorELNS0_4arch9wavefront6targetE0EEEvS12_.uses_flat_scratch, 0
	.set _ZN7rocprim17ROCPRIM_400000_NS6detail17trampoline_kernelINS0_13select_configILj256ELj13ELNS0_17block_load_methodE3ELS4_3ELS4_3ELNS0_20block_scan_algorithmE0ELj4294967295EEENS1_25partition_config_selectorILNS1_17partition_subalgoE4EjNS0_10empty_typeEbEEZZNS1_14partition_implILS8_4ELb0ES6_15HIP_vector_typeIjLj2EENS0_17counting_iteratorIjlEEPS9_SG_NS0_5tupleIJPjSI_NS0_16reverse_iteratorISI_EEEEENSH_IJSG_SG_SG_EEES9_SI_JZNS1_25segmented_radix_sort_implINS0_14default_configELb0EPKiPiPKlPlN2at6native12_GLOBAL__N_18offset_tEEE10hipError_tPvRmT1_PNSt15iterator_traitsIS12_E10value_typeET2_T3_PNS13_IS18_E10value_typeET4_jRbjT5_S1E_jjP12ihipStream_tbEUljE_ZNSN_ISO_Lb0ESQ_SR_ST_SU_SY_EESZ_S10_S11_S12_S16_S17_S18_S1B_S1C_jS1D_jS1E_S1E_jjS1G_bEUljE0_EEESZ_S10_S11_S18_S1C_S1E_T6_T7_T9_mT8_S1G_bDpT10_ENKUlT_T0_E_clISt17integral_constantIbLb1EES1T_IbLb0EEEEDaS1P_S1Q_EUlS1P_E_NS1_11comp_targetILNS1_3genE5ELNS1_11target_archE942ELNS1_3gpuE9ELNS1_3repE0EEENS1_30default_config_static_selectorELNS0_4arch9wavefront6targetE0EEEvS12_.has_dyn_sized_stack, 0
	.set _ZN7rocprim17ROCPRIM_400000_NS6detail17trampoline_kernelINS0_13select_configILj256ELj13ELNS0_17block_load_methodE3ELS4_3ELS4_3ELNS0_20block_scan_algorithmE0ELj4294967295EEENS1_25partition_config_selectorILNS1_17partition_subalgoE4EjNS0_10empty_typeEbEEZZNS1_14partition_implILS8_4ELb0ES6_15HIP_vector_typeIjLj2EENS0_17counting_iteratorIjlEEPS9_SG_NS0_5tupleIJPjSI_NS0_16reverse_iteratorISI_EEEEENSH_IJSG_SG_SG_EEES9_SI_JZNS1_25segmented_radix_sort_implINS0_14default_configELb0EPKiPiPKlPlN2at6native12_GLOBAL__N_18offset_tEEE10hipError_tPvRmT1_PNSt15iterator_traitsIS12_E10value_typeET2_T3_PNS13_IS18_E10value_typeET4_jRbjT5_S1E_jjP12ihipStream_tbEUljE_ZNSN_ISO_Lb0ESQ_SR_ST_SU_SY_EESZ_S10_S11_S12_S16_S17_S18_S1B_S1C_jS1D_jS1E_S1E_jjS1G_bEUljE0_EEESZ_S10_S11_S18_S1C_S1E_T6_T7_T9_mT8_S1G_bDpT10_ENKUlT_T0_E_clISt17integral_constantIbLb1EES1T_IbLb0EEEEDaS1P_S1Q_EUlS1P_E_NS1_11comp_targetILNS1_3genE5ELNS1_11target_archE942ELNS1_3gpuE9ELNS1_3repE0EEENS1_30default_config_static_selectorELNS0_4arch9wavefront6targetE0EEEvS12_.has_recursion, 0
	.set _ZN7rocprim17ROCPRIM_400000_NS6detail17trampoline_kernelINS0_13select_configILj256ELj13ELNS0_17block_load_methodE3ELS4_3ELS4_3ELNS0_20block_scan_algorithmE0ELj4294967295EEENS1_25partition_config_selectorILNS1_17partition_subalgoE4EjNS0_10empty_typeEbEEZZNS1_14partition_implILS8_4ELb0ES6_15HIP_vector_typeIjLj2EENS0_17counting_iteratorIjlEEPS9_SG_NS0_5tupleIJPjSI_NS0_16reverse_iteratorISI_EEEEENSH_IJSG_SG_SG_EEES9_SI_JZNS1_25segmented_radix_sort_implINS0_14default_configELb0EPKiPiPKlPlN2at6native12_GLOBAL__N_18offset_tEEE10hipError_tPvRmT1_PNSt15iterator_traitsIS12_E10value_typeET2_T3_PNS13_IS18_E10value_typeET4_jRbjT5_S1E_jjP12ihipStream_tbEUljE_ZNSN_ISO_Lb0ESQ_SR_ST_SU_SY_EESZ_S10_S11_S12_S16_S17_S18_S1B_S1C_jS1D_jS1E_S1E_jjS1G_bEUljE0_EEESZ_S10_S11_S18_S1C_S1E_T6_T7_T9_mT8_S1G_bDpT10_ENKUlT_T0_E_clISt17integral_constantIbLb1EES1T_IbLb0EEEEDaS1P_S1Q_EUlS1P_E_NS1_11comp_targetILNS1_3genE5ELNS1_11target_archE942ELNS1_3gpuE9ELNS1_3repE0EEENS1_30default_config_static_selectorELNS0_4arch9wavefront6targetE0EEEvS12_.has_indirect_call, 0
	.section	.AMDGPU.csdata,"",@progbits
; Kernel info:
; codeLenInByte = 0
; TotalNumSgprs: 0
; NumVgprs: 0
; ScratchSize: 0
; MemoryBound: 0
; FloatMode: 240
; IeeeMode: 1
; LDSByteSize: 0 bytes/workgroup (compile time only)
; SGPRBlocks: 0
; VGPRBlocks: 0
; NumSGPRsForWavesPerEU: 1
; NumVGPRsForWavesPerEU: 1
; NamedBarCnt: 0
; Occupancy: 16
; WaveLimiterHint : 0
; COMPUTE_PGM_RSRC2:SCRATCH_EN: 0
; COMPUTE_PGM_RSRC2:USER_SGPR: 2
; COMPUTE_PGM_RSRC2:TRAP_HANDLER: 0
; COMPUTE_PGM_RSRC2:TGID_X_EN: 1
; COMPUTE_PGM_RSRC2:TGID_Y_EN: 0
; COMPUTE_PGM_RSRC2:TGID_Z_EN: 0
; COMPUTE_PGM_RSRC2:TIDIG_COMP_CNT: 0
	.section	.text._ZN7rocprim17ROCPRIM_400000_NS6detail17trampoline_kernelINS0_13select_configILj256ELj13ELNS0_17block_load_methodE3ELS4_3ELS4_3ELNS0_20block_scan_algorithmE0ELj4294967295EEENS1_25partition_config_selectorILNS1_17partition_subalgoE4EjNS0_10empty_typeEbEEZZNS1_14partition_implILS8_4ELb0ES6_15HIP_vector_typeIjLj2EENS0_17counting_iteratorIjlEEPS9_SG_NS0_5tupleIJPjSI_NS0_16reverse_iteratorISI_EEEEENSH_IJSG_SG_SG_EEES9_SI_JZNS1_25segmented_radix_sort_implINS0_14default_configELb0EPKiPiPKlPlN2at6native12_GLOBAL__N_18offset_tEEE10hipError_tPvRmT1_PNSt15iterator_traitsIS12_E10value_typeET2_T3_PNS13_IS18_E10value_typeET4_jRbjT5_S1E_jjP12ihipStream_tbEUljE_ZNSN_ISO_Lb0ESQ_SR_ST_SU_SY_EESZ_S10_S11_S12_S16_S17_S18_S1B_S1C_jS1D_jS1E_S1E_jjS1G_bEUljE0_EEESZ_S10_S11_S18_S1C_S1E_T6_T7_T9_mT8_S1G_bDpT10_ENKUlT_T0_E_clISt17integral_constantIbLb1EES1T_IbLb0EEEEDaS1P_S1Q_EUlS1P_E_NS1_11comp_targetILNS1_3genE4ELNS1_11target_archE910ELNS1_3gpuE8ELNS1_3repE0EEENS1_30default_config_static_selectorELNS0_4arch9wavefront6targetE0EEEvS12_,"axG",@progbits,_ZN7rocprim17ROCPRIM_400000_NS6detail17trampoline_kernelINS0_13select_configILj256ELj13ELNS0_17block_load_methodE3ELS4_3ELS4_3ELNS0_20block_scan_algorithmE0ELj4294967295EEENS1_25partition_config_selectorILNS1_17partition_subalgoE4EjNS0_10empty_typeEbEEZZNS1_14partition_implILS8_4ELb0ES6_15HIP_vector_typeIjLj2EENS0_17counting_iteratorIjlEEPS9_SG_NS0_5tupleIJPjSI_NS0_16reverse_iteratorISI_EEEEENSH_IJSG_SG_SG_EEES9_SI_JZNS1_25segmented_radix_sort_implINS0_14default_configELb0EPKiPiPKlPlN2at6native12_GLOBAL__N_18offset_tEEE10hipError_tPvRmT1_PNSt15iterator_traitsIS12_E10value_typeET2_T3_PNS13_IS18_E10value_typeET4_jRbjT5_S1E_jjP12ihipStream_tbEUljE_ZNSN_ISO_Lb0ESQ_SR_ST_SU_SY_EESZ_S10_S11_S12_S16_S17_S18_S1B_S1C_jS1D_jS1E_S1E_jjS1G_bEUljE0_EEESZ_S10_S11_S18_S1C_S1E_T6_T7_T9_mT8_S1G_bDpT10_ENKUlT_T0_E_clISt17integral_constantIbLb1EES1T_IbLb0EEEEDaS1P_S1Q_EUlS1P_E_NS1_11comp_targetILNS1_3genE4ELNS1_11target_archE910ELNS1_3gpuE8ELNS1_3repE0EEENS1_30default_config_static_selectorELNS0_4arch9wavefront6targetE0EEEvS12_,comdat
	.globl	_ZN7rocprim17ROCPRIM_400000_NS6detail17trampoline_kernelINS0_13select_configILj256ELj13ELNS0_17block_load_methodE3ELS4_3ELS4_3ELNS0_20block_scan_algorithmE0ELj4294967295EEENS1_25partition_config_selectorILNS1_17partition_subalgoE4EjNS0_10empty_typeEbEEZZNS1_14partition_implILS8_4ELb0ES6_15HIP_vector_typeIjLj2EENS0_17counting_iteratorIjlEEPS9_SG_NS0_5tupleIJPjSI_NS0_16reverse_iteratorISI_EEEEENSH_IJSG_SG_SG_EEES9_SI_JZNS1_25segmented_radix_sort_implINS0_14default_configELb0EPKiPiPKlPlN2at6native12_GLOBAL__N_18offset_tEEE10hipError_tPvRmT1_PNSt15iterator_traitsIS12_E10value_typeET2_T3_PNS13_IS18_E10value_typeET4_jRbjT5_S1E_jjP12ihipStream_tbEUljE_ZNSN_ISO_Lb0ESQ_SR_ST_SU_SY_EESZ_S10_S11_S12_S16_S17_S18_S1B_S1C_jS1D_jS1E_S1E_jjS1G_bEUljE0_EEESZ_S10_S11_S18_S1C_S1E_T6_T7_T9_mT8_S1G_bDpT10_ENKUlT_T0_E_clISt17integral_constantIbLb1EES1T_IbLb0EEEEDaS1P_S1Q_EUlS1P_E_NS1_11comp_targetILNS1_3genE4ELNS1_11target_archE910ELNS1_3gpuE8ELNS1_3repE0EEENS1_30default_config_static_selectorELNS0_4arch9wavefront6targetE0EEEvS12_ ; -- Begin function _ZN7rocprim17ROCPRIM_400000_NS6detail17trampoline_kernelINS0_13select_configILj256ELj13ELNS0_17block_load_methodE3ELS4_3ELS4_3ELNS0_20block_scan_algorithmE0ELj4294967295EEENS1_25partition_config_selectorILNS1_17partition_subalgoE4EjNS0_10empty_typeEbEEZZNS1_14partition_implILS8_4ELb0ES6_15HIP_vector_typeIjLj2EENS0_17counting_iteratorIjlEEPS9_SG_NS0_5tupleIJPjSI_NS0_16reverse_iteratorISI_EEEEENSH_IJSG_SG_SG_EEES9_SI_JZNS1_25segmented_radix_sort_implINS0_14default_configELb0EPKiPiPKlPlN2at6native12_GLOBAL__N_18offset_tEEE10hipError_tPvRmT1_PNSt15iterator_traitsIS12_E10value_typeET2_T3_PNS13_IS18_E10value_typeET4_jRbjT5_S1E_jjP12ihipStream_tbEUljE_ZNSN_ISO_Lb0ESQ_SR_ST_SU_SY_EESZ_S10_S11_S12_S16_S17_S18_S1B_S1C_jS1D_jS1E_S1E_jjS1G_bEUljE0_EEESZ_S10_S11_S18_S1C_S1E_T6_T7_T9_mT8_S1G_bDpT10_ENKUlT_T0_E_clISt17integral_constantIbLb1EES1T_IbLb0EEEEDaS1P_S1Q_EUlS1P_E_NS1_11comp_targetILNS1_3genE4ELNS1_11target_archE910ELNS1_3gpuE8ELNS1_3repE0EEENS1_30default_config_static_selectorELNS0_4arch9wavefront6targetE0EEEvS12_
	.p2align	8
	.type	_ZN7rocprim17ROCPRIM_400000_NS6detail17trampoline_kernelINS0_13select_configILj256ELj13ELNS0_17block_load_methodE3ELS4_3ELS4_3ELNS0_20block_scan_algorithmE0ELj4294967295EEENS1_25partition_config_selectorILNS1_17partition_subalgoE4EjNS0_10empty_typeEbEEZZNS1_14partition_implILS8_4ELb0ES6_15HIP_vector_typeIjLj2EENS0_17counting_iteratorIjlEEPS9_SG_NS0_5tupleIJPjSI_NS0_16reverse_iteratorISI_EEEEENSH_IJSG_SG_SG_EEES9_SI_JZNS1_25segmented_radix_sort_implINS0_14default_configELb0EPKiPiPKlPlN2at6native12_GLOBAL__N_18offset_tEEE10hipError_tPvRmT1_PNSt15iterator_traitsIS12_E10value_typeET2_T3_PNS13_IS18_E10value_typeET4_jRbjT5_S1E_jjP12ihipStream_tbEUljE_ZNSN_ISO_Lb0ESQ_SR_ST_SU_SY_EESZ_S10_S11_S12_S16_S17_S18_S1B_S1C_jS1D_jS1E_S1E_jjS1G_bEUljE0_EEESZ_S10_S11_S18_S1C_S1E_T6_T7_T9_mT8_S1G_bDpT10_ENKUlT_T0_E_clISt17integral_constantIbLb1EES1T_IbLb0EEEEDaS1P_S1Q_EUlS1P_E_NS1_11comp_targetILNS1_3genE4ELNS1_11target_archE910ELNS1_3gpuE8ELNS1_3repE0EEENS1_30default_config_static_selectorELNS0_4arch9wavefront6targetE0EEEvS12_,@function
_ZN7rocprim17ROCPRIM_400000_NS6detail17trampoline_kernelINS0_13select_configILj256ELj13ELNS0_17block_load_methodE3ELS4_3ELS4_3ELNS0_20block_scan_algorithmE0ELj4294967295EEENS1_25partition_config_selectorILNS1_17partition_subalgoE4EjNS0_10empty_typeEbEEZZNS1_14partition_implILS8_4ELb0ES6_15HIP_vector_typeIjLj2EENS0_17counting_iteratorIjlEEPS9_SG_NS0_5tupleIJPjSI_NS0_16reverse_iteratorISI_EEEEENSH_IJSG_SG_SG_EEES9_SI_JZNS1_25segmented_radix_sort_implINS0_14default_configELb0EPKiPiPKlPlN2at6native12_GLOBAL__N_18offset_tEEE10hipError_tPvRmT1_PNSt15iterator_traitsIS12_E10value_typeET2_T3_PNS13_IS18_E10value_typeET4_jRbjT5_S1E_jjP12ihipStream_tbEUljE_ZNSN_ISO_Lb0ESQ_SR_ST_SU_SY_EESZ_S10_S11_S12_S16_S17_S18_S1B_S1C_jS1D_jS1E_S1E_jjS1G_bEUljE0_EEESZ_S10_S11_S18_S1C_S1E_T6_T7_T9_mT8_S1G_bDpT10_ENKUlT_T0_E_clISt17integral_constantIbLb1EES1T_IbLb0EEEEDaS1P_S1Q_EUlS1P_E_NS1_11comp_targetILNS1_3genE4ELNS1_11target_archE910ELNS1_3gpuE8ELNS1_3repE0EEENS1_30default_config_static_selectorELNS0_4arch9wavefront6targetE0EEEvS12_: ; @_ZN7rocprim17ROCPRIM_400000_NS6detail17trampoline_kernelINS0_13select_configILj256ELj13ELNS0_17block_load_methodE3ELS4_3ELS4_3ELNS0_20block_scan_algorithmE0ELj4294967295EEENS1_25partition_config_selectorILNS1_17partition_subalgoE4EjNS0_10empty_typeEbEEZZNS1_14partition_implILS8_4ELb0ES6_15HIP_vector_typeIjLj2EENS0_17counting_iteratorIjlEEPS9_SG_NS0_5tupleIJPjSI_NS0_16reverse_iteratorISI_EEEEENSH_IJSG_SG_SG_EEES9_SI_JZNS1_25segmented_radix_sort_implINS0_14default_configELb0EPKiPiPKlPlN2at6native12_GLOBAL__N_18offset_tEEE10hipError_tPvRmT1_PNSt15iterator_traitsIS12_E10value_typeET2_T3_PNS13_IS18_E10value_typeET4_jRbjT5_S1E_jjP12ihipStream_tbEUljE_ZNSN_ISO_Lb0ESQ_SR_ST_SU_SY_EESZ_S10_S11_S12_S16_S17_S18_S1B_S1C_jS1D_jS1E_S1E_jjS1G_bEUljE0_EEESZ_S10_S11_S18_S1C_S1E_T6_T7_T9_mT8_S1G_bDpT10_ENKUlT_T0_E_clISt17integral_constantIbLb1EES1T_IbLb0EEEEDaS1P_S1Q_EUlS1P_E_NS1_11comp_targetILNS1_3genE4ELNS1_11target_archE910ELNS1_3gpuE8ELNS1_3repE0EEENS1_30default_config_static_selectorELNS0_4arch9wavefront6targetE0EEEvS12_
; %bb.0:
	.section	.rodata,"a",@progbits
	.p2align	6, 0x0
	.amdhsa_kernel _ZN7rocprim17ROCPRIM_400000_NS6detail17trampoline_kernelINS0_13select_configILj256ELj13ELNS0_17block_load_methodE3ELS4_3ELS4_3ELNS0_20block_scan_algorithmE0ELj4294967295EEENS1_25partition_config_selectorILNS1_17partition_subalgoE4EjNS0_10empty_typeEbEEZZNS1_14partition_implILS8_4ELb0ES6_15HIP_vector_typeIjLj2EENS0_17counting_iteratorIjlEEPS9_SG_NS0_5tupleIJPjSI_NS0_16reverse_iteratorISI_EEEEENSH_IJSG_SG_SG_EEES9_SI_JZNS1_25segmented_radix_sort_implINS0_14default_configELb0EPKiPiPKlPlN2at6native12_GLOBAL__N_18offset_tEEE10hipError_tPvRmT1_PNSt15iterator_traitsIS12_E10value_typeET2_T3_PNS13_IS18_E10value_typeET4_jRbjT5_S1E_jjP12ihipStream_tbEUljE_ZNSN_ISO_Lb0ESQ_SR_ST_SU_SY_EESZ_S10_S11_S12_S16_S17_S18_S1B_S1C_jS1D_jS1E_S1E_jjS1G_bEUljE0_EEESZ_S10_S11_S18_S1C_S1E_T6_T7_T9_mT8_S1G_bDpT10_ENKUlT_T0_E_clISt17integral_constantIbLb1EES1T_IbLb0EEEEDaS1P_S1Q_EUlS1P_E_NS1_11comp_targetILNS1_3genE4ELNS1_11target_archE910ELNS1_3gpuE8ELNS1_3repE0EEENS1_30default_config_static_selectorELNS0_4arch9wavefront6targetE0EEEvS12_
		.amdhsa_group_segment_fixed_size 0
		.amdhsa_private_segment_fixed_size 0
		.amdhsa_kernarg_size 176
		.amdhsa_user_sgpr_count 2
		.amdhsa_user_sgpr_dispatch_ptr 0
		.amdhsa_user_sgpr_queue_ptr 0
		.amdhsa_user_sgpr_kernarg_segment_ptr 1
		.amdhsa_user_sgpr_dispatch_id 0
		.amdhsa_user_sgpr_kernarg_preload_length 0
		.amdhsa_user_sgpr_kernarg_preload_offset 0
		.amdhsa_user_sgpr_private_segment_size 0
		.amdhsa_wavefront_size32 1
		.amdhsa_uses_dynamic_stack 0
		.amdhsa_enable_private_segment 0
		.amdhsa_system_sgpr_workgroup_id_x 1
		.amdhsa_system_sgpr_workgroup_id_y 0
		.amdhsa_system_sgpr_workgroup_id_z 0
		.amdhsa_system_sgpr_workgroup_info 0
		.amdhsa_system_vgpr_workitem_id 0
		.amdhsa_next_free_vgpr 1
		.amdhsa_next_free_sgpr 1
		.amdhsa_named_barrier_count 0
		.amdhsa_reserve_vcc 0
		.amdhsa_float_round_mode_32 0
		.amdhsa_float_round_mode_16_64 0
		.amdhsa_float_denorm_mode_32 3
		.amdhsa_float_denorm_mode_16_64 3
		.amdhsa_fp16_overflow 0
		.amdhsa_memory_ordered 1
		.amdhsa_forward_progress 1
		.amdhsa_inst_pref_size 0
		.amdhsa_round_robin_scheduling 0
		.amdhsa_exception_fp_ieee_invalid_op 0
		.amdhsa_exception_fp_denorm_src 0
		.amdhsa_exception_fp_ieee_div_zero 0
		.amdhsa_exception_fp_ieee_overflow 0
		.amdhsa_exception_fp_ieee_underflow 0
		.amdhsa_exception_fp_ieee_inexact 0
		.amdhsa_exception_int_div_zero 0
	.end_amdhsa_kernel
	.section	.text._ZN7rocprim17ROCPRIM_400000_NS6detail17trampoline_kernelINS0_13select_configILj256ELj13ELNS0_17block_load_methodE3ELS4_3ELS4_3ELNS0_20block_scan_algorithmE0ELj4294967295EEENS1_25partition_config_selectorILNS1_17partition_subalgoE4EjNS0_10empty_typeEbEEZZNS1_14partition_implILS8_4ELb0ES6_15HIP_vector_typeIjLj2EENS0_17counting_iteratorIjlEEPS9_SG_NS0_5tupleIJPjSI_NS0_16reverse_iteratorISI_EEEEENSH_IJSG_SG_SG_EEES9_SI_JZNS1_25segmented_radix_sort_implINS0_14default_configELb0EPKiPiPKlPlN2at6native12_GLOBAL__N_18offset_tEEE10hipError_tPvRmT1_PNSt15iterator_traitsIS12_E10value_typeET2_T3_PNS13_IS18_E10value_typeET4_jRbjT5_S1E_jjP12ihipStream_tbEUljE_ZNSN_ISO_Lb0ESQ_SR_ST_SU_SY_EESZ_S10_S11_S12_S16_S17_S18_S1B_S1C_jS1D_jS1E_S1E_jjS1G_bEUljE0_EEESZ_S10_S11_S18_S1C_S1E_T6_T7_T9_mT8_S1G_bDpT10_ENKUlT_T0_E_clISt17integral_constantIbLb1EES1T_IbLb0EEEEDaS1P_S1Q_EUlS1P_E_NS1_11comp_targetILNS1_3genE4ELNS1_11target_archE910ELNS1_3gpuE8ELNS1_3repE0EEENS1_30default_config_static_selectorELNS0_4arch9wavefront6targetE0EEEvS12_,"axG",@progbits,_ZN7rocprim17ROCPRIM_400000_NS6detail17trampoline_kernelINS0_13select_configILj256ELj13ELNS0_17block_load_methodE3ELS4_3ELS4_3ELNS0_20block_scan_algorithmE0ELj4294967295EEENS1_25partition_config_selectorILNS1_17partition_subalgoE4EjNS0_10empty_typeEbEEZZNS1_14partition_implILS8_4ELb0ES6_15HIP_vector_typeIjLj2EENS0_17counting_iteratorIjlEEPS9_SG_NS0_5tupleIJPjSI_NS0_16reverse_iteratorISI_EEEEENSH_IJSG_SG_SG_EEES9_SI_JZNS1_25segmented_radix_sort_implINS0_14default_configELb0EPKiPiPKlPlN2at6native12_GLOBAL__N_18offset_tEEE10hipError_tPvRmT1_PNSt15iterator_traitsIS12_E10value_typeET2_T3_PNS13_IS18_E10value_typeET4_jRbjT5_S1E_jjP12ihipStream_tbEUljE_ZNSN_ISO_Lb0ESQ_SR_ST_SU_SY_EESZ_S10_S11_S12_S16_S17_S18_S1B_S1C_jS1D_jS1E_S1E_jjS1G_bEUljE0_EEESZ_S10_S11_S18_S1C_S1E_T6_T7_T9_mT8_S1G_bDpT10_ENKUlT_T0_E_clISt17integral_constantIbLb1EES1T_IbLb0EEEEDaS1P_S1Q_EUlS1P_E_NS1_11comp_targetILNS1_3genE4ELNS1_11target_archE910ELNS1_3gpuE8ELNS1_3repE0EEENS1_30default_config_static_selectorELNS0_4arch9wavefront6targetE0EEEvS12_,comdat
.Lfunc_end550:
	.size	_ZN7rocprim17ROCPRIM_400000_NS6detail17trampoline_kernelINS0_13select_configILj256ELj13ELNS0_17block_load_methodE3ELS4_3ELS4_3ELNS0_20block_scan_algorithmE0ELj4294967295EEENS1_25partition_config_selectorILNS1_17partition_subalgoE4EjNS0_10empty_typeEbEEZZNS1_14partition_implILS8_4ELb0ES6_15HIP_vector_typeIjLj2EENS0_17counting_iteratorIjlEEPS9_SG_NS0_5tupleIJPjSI_NS0_16reverse_iteratorISI_EEEEENSH_IJSG_SG_SG_EEES9_SI_JZNS1_25segmented_radix_sort_implINS0_14default_configELb0EPKiPiPKlPlN2at6native12_GLOBAL__N_18offset_tEEE10hipError_tPvRmT1_PNSt15iterator_traitsIS12_E10value_typeET2_T3_PNS13_IS18_E10value_typeET4_jRbjT5_S1E_jjP12ihipStream_tbEUljE_ZNSN_ISO_Lb0ESQ_SR_ST_SU_SY_EESZ_S10_S11_S12_S16_S17_S18_S1B_S1C_jS1D_jS1E_S1E_jjS1G_bEUljE0_EEESZ_S10_S11_S18_S1C_S1E_T6_T7_T9_mT8_S1G_bDpT10_ENKUlT_T0_E_clISt17integral_constantIbLb1EES1T_IbLb0EEEEDaS1P_S1Q_EUlS1P_E_NS1_11comp_targetILNS1_3genE4ELNS1_11target_archE910ELNS1_3gpuE8ELNS1_3repE0EEENS1_30default_config_static_selectorELNS0_4arch9wavefront6targetE0EEEvS12_, .Lfunc_end550-_ZN7rocprim17ROCPRIM_400000_NS6detail17trampoline_kernelINS0_13select_configILj256ELj13ELNS0_17block_load_methodE3ELS4_3ELS4_3ELNS0_20block_scan_algorithmE0ELj4294967295EEENS1_25partition_config_selectorILNS1_17partition_subalgoE4EjNS0_10empty_typeEbEEZZNS1_14partition_implILS8_4ELb0ES6_15HIP_vector_typeIjLj2EENS0_17counting_iteratorIjlEEPS9_SG_NS0_5tupleIJPjSI_NS0_16reverse_iteratorISI_EEEEENSH_IJSG_SG_SG_EEES9_SI_JZNS1_25segmented_radix_sort_implINS0_14default_configELb0EPKiPiPKlPlN2at6native12_GLOBAL__N_18offset_tEEE10hipError_tPvRmT1_PNSt15iterator_traitsIS12_E10value_typeET2_T3_PNS13_IS18_E10value_typeET4_jRbjT5_S1E_jjP12ihipStream_tbEUljE_ZNSN_ISO_Lb0ESQ_SR_ST_SU_SY_EESZ_S10_S11_S12_S16_S17_S18_S1B_S1C_jS1D_jS1E_S1E_jjS1G_bEUljE0_EEESZ_S10_S11_S18_S1C_S1E_T6_T7_T9_mT8_S1G_bDpT10_ENKUlT_T0_E_clISt17integral_constantIbLb1EES1T_IbLb0EEEEDaS1P_S1Q_EUlS1P_E_NS1_11comp_targetILNS1_3genE4ELNS1_11target_archE910ELNS1_3gpuE8ELNS1_3repE0EEENS1_30default_config_static_selectorELNS0_4arch9wavefront6targetE0EEEvS12_
                                        ; -- End function
	.set _ZN7rocprim17ROCPRIM_400000_NS6detail17trampoline_kernelINS0_13select_configILj256ELj13ELNS0_17block_load_methodE3ELS4_3ELS4_3ELNS0_20block_scan_algorithmE0ELj4294967295EEENS1_25partition_config_selectorILNS1_17partition_subalgoE4EjNS0_10empty_typeEbEEZZNS1_14partition_implILS8_4ELb0ES6_15HIP_vector_typeIjLj2EENS0_17counting_iteratorIjlEEPS9_SG_NS0_5tupleIJPjSI_NS0_16reverse_iteratorISI_EEEEENSH_IJSG_SG_SG_EEES9_SI_JZNS1_25segmented_radix_sort_implINS0_14default_configELb0EPKiPiPKlPlN2at6native12_GLOBAL__N_18offset_tEEE10hipError_tPvRmT1_PNSt15iterator_traitsIS12_E10value_typeET2_T3_PNS13_IS18_E10value_typeET4_jRbjT5_S1E_jjP12ihipStream_tbEUljE_ZNSN_ISO_Lb0ESQ_SR_ST_SU_SY_EESZ_S10_S11_S12_S16_S17_S18_S1B_S1C_jS1D_jS1E_S1E_jjS1G_bEUljE0_EEESZ_S10_S11_S18_S1C_S1E_T6_T7_T9_mT8_S1G_bDpT10_ENKUlT_T0_E_clISt17integral_constantIbLb1EES1T_IbLb0EEEEDaS1P_S1Q_EUlS1P_E_NS1_11comp_targetILNS1_3genE4ELNS1_11target_archE910ELNS1_3gpuE8ELNS1_3repE0EEENS1_30default_config_static_selectorELNS0_4arch9wavefront6targetE0EEEvS12_.num_vgpr, 0
	.set _ZN7rocprim17ROCPRIM_400000_NS6detail17trampoline_kernelINS0_13select_configILj256ELj13ELNS0_17block_load_methodE3ELS4_3ELS4_3ELNS0_20block_scan_algorithmE0ELj4294967295EEENS1_25partition_config_selectorILNS1_17partition_subalgoE4EjNS0_10empty_typeEbEEZZNS1_14partition_implILS8_4ELb0ES6_15HIP_vector_typeIjLj2EENS0_17counting_iteratorIjlEEPS9_SG_NS0_5tupleIJPjSI_NS0_16reverse_iteratorISI_EEEEENSH_IJSG_SG_SG_EEES9_SI_JZNS1_25segmented_radix_sort_implINS0_14default_configELb0EPKiPiPKlPlN2at6native12_GLOBAL__N_18offset_tEEE10hipError_tPvRmT1_PNSt15iterator_traitsIS12_E10value_typeET2_T3_PNS13_IS18_E10value_typeET4_jRbjT5_S1E_jjP12ihipStream_tbEUljE_ZNSN_ISO_Lb0ESQ_SR_ST_SU_SY_EESZ_S10_S11_S12_S16_S17_S18_S1B_S1C_jS1D_jS1E_S1E_jjS1G_bEUljE0_EEESZ_S10_S11_S18_S1C_S1E_T6_T7_T9_mT8_S1G_bDpT10_ENKUlT_T0_E_clISt17integral_constantIbLb1EES1T_IbLb0EEEEDaS1P_S1Q_EUlS1P_E_NS1_11comp_targetILNS1_3genE4ELNS1_11target_archE910ELNS1_3gpuE8ELNS1_3repE0EEENS1_30default_config_static_selectorELNS0_4arch9wavefront6targetE0EEEvS12_.num_agpr, 0
	.set _ZN7rocprim17ROCPRIM_400000_NS6detail17trampoline_kernelINS0_13select_configILj256ELj13ELNS0_17block_load_methodE3ELS4_3ELS4_3ELNS0_20block_scan_algorithmE0ELj4294967295EEENS1_25partition_config_selectorILNS1_17partition_subalgoE4EjNS0_10empty_typeEbEEZZNS1_14partition_implILS8_4ELb0ES6_15HIP_vector_typeIjLj2EENS0_17counting_iteratorIjlEEPS9_SG_NS0_5tupleIJPjSI_NS0_16reverse_iteratorISI_EEEEENSH_IJSG_SG_SG_EEES9_SI_JZNS1_25segmented_radix_sort_implINS0_14default_configELb0EPKiPiPKlPlN2at6native12_GLOBAL__N_18offset_tEEE10hipError_tPvRmT1_PNSt15iterator_traitsIS12_E10value_typeET2_T3_PNS13_IS18_E10value_typeET4_jRbjT5_S1E_jjP12ihipStream_tbEUljE_ZNSN_ISO_Lb0ESQ_SR_ST_SU_SY_EESZ_S10_S11_S12_S16_S17_S18_S1B_S1C_jS1D_jS1E_S1E_jjS1G_bEUljE0_EEESZ_S10_S11_S18_S1C_S1E_T6_T7_T9_mT8_S1G_bDpT10_ENKUlT_T0_E_clISt17integral_constantIbLb1EES1T_IbLb0EEEEDaS1P_S1Q_EUlS1P_E_NS1_11comp_targetILNS1_3genE4ELNS1_11target_archE910ELNS1_3gpuE8ELNS1_3repE0EEENS1_30default_config_static_selectorELNS0_4arch9wavefront6targetE0EEEvS12_.numbered_sgpr, 0
	.set _ZN7rocprim17ROCPRIM_400000_NS6detail17trampoline_kernelINS0_13select_configILj256ELj13ELNS0_17block_load_methodE3ELS4_3ELS4_3ELNS0_20block_scan_algorithmE0ELj4294967295EEENS1_25partition_config_selectorILNS1_17partition_subalgoE4EjNS0_10empty_typeEbEEZZNS1_14partition_implILS8_4ELb0ES6_15HIP_vector_typeIjLj2EENS0_17counting_iteratorIjlEEPS9_SG_NS0_5tupleIJPjSI_NS0_16reverse_iteratorISI_EEEEENSH_IJSG_SG_SG_EEES9_SI_JZNS1_25segmented_radix_sort_implINS0_14default_configELb0EPKiPiPKlPlN2at6native12_GLOBAL__N_18offset_tEEE10hipError_tPvRmT1_PNSt15iterator_traitsIS12_E10value_typeET2_T3_PNS13_IS18_E10value_typeET4_jRbjT5_S1E_jjP12ihipStream_tbEUljE_ZNSN_ISO_Lb0ESQ_SR_ST_SU_SY_EESZ_S10_S11_S12_S16_S17_S18_S1B_S1C_jS1D_jS1E_S1E_jjS1G_bEUljE0_EEESZ_S10_S11_S18_S1C_S1E_T6_T7_T9_mT8_S1G_bDpT10_ENKUlT_T0_E_clISt17integral_constantIbLb1EES1T_IbLb0EEEEDaS1P_S1Q_EUlS1P_E_NS1_11comp_targetILNS1_3genE4ELNS1_11target_archE910ELNS1_3gpuE8ELNS1_3repE0EEENS1_30default_config_static_selectorELNS0_4arch9wavefront6targetE0EEEvS12_.num_named_barrier, 0
	.set _ZN7rocprim17ROCPRIM_400000_NS6detail17trampoline_kernelINS0_13select_configILj256ELj13ELNS0_17block_load_methodE3ELS4_3ELS4_3ELNS0_20block_scan_algorithmE0ELj4294967295EEENS1_25partition_config_selectorILNS1_17partition_subalgoE4EjNS0_10empty_typeEbEEZZNS1_14partition_implILS8_4ELb0ES6_15HIP_vector_typeIjLj2EENS0_17counting_iteratorIjlEEPS9_SG_NS0_5tupleIJPjSI_NS0_16reverse_iteratorISI_EEEEENSH_IJSG_SG_SG_EEES9_SI_JZNS1_25segmented_radix_sort_implINS0_14default_configELb0EPKiPiPKlPlN2at6native12_GLOBAL__N_18offset_tEEE10hipError_tPvRmT1_PNSt15iterator_traitsIS12_E10value_typeET2_T3_PNS13_IS18_E10value_typeET4_jRbjT5_S1E_jjP12ihipStream_tbEUljE_ZNSN_ISO_Lb0ESQ_SR_ST_SU_SY_EESZ_S10_S11_S12_S16_S17_S18_S1B_S1C_jS1D_jS1E_S1E_jjS1G_bEUljE0_EEESZ_S10_S11_S18_S1C_S1E_T6_T7_T9_mT8_S1G_bDpT10_ENKUlT_T0_E_clISt17integral_constantIbLb1EES1T_IbLb0EEEEDaS1P_S1Q_EUlS1P_E_NS1_11comp_targetILNS1_3genE4ELNS1_11target_archE910ELNS1_3gpuE8ELNS1_3repE0EEENS1_30default_config_static_selectorELNS0_4arch9wavefront6targetE0EEEvS12_.private_seg_size, 0
	.set _ZN7rocprim17ROCPRIM_400000_NS6detail17trampoline_kernelINS0_13select_configILj256ELj13ELNS0_17block_load_methodE3ELS4_3ELS4_3ELNS0_20block_scan_algorithmE0ELj4294967295EEENS1_25partition_config_selectorILNS1_17partition_subalgoE4EjNS0_10empty_typeEbEEZZNS1_14partition_implILS8_4ELb0ES6_15HIP_vector_typeIjLj2EENS0_17counting_iteratorIjlEEPS9_SG_NS0_5tupleIJPjSI_NS0_16reverse_iteratorISI_EEEEENSH_IJSG_SG_SG_EEES9_SI_JZNS1_25segmented_radix_sort_implINS0_14default_configELb0EPKiPiPKlPlN2at6native12_GLOBAL__N_18offset_tEEE10hipError_tPvRmT1_PNSt15iterator_traitsIS12_E10value_typeET2_T3_PNS13_IS18_E10value_typeET4_jRbjT5_S1E_jjP12ihipStream_tbEUljE_ZNSN_ISO_Lb0ESQ_SR_ST_SU_SY_EESZ_S10_S11_S12_S16_S17_S18_S1B_S1C_jS1D_jS1E_S1E_jjS1G_bEUljE0_EEESZ_S10_S11_S18_S1C_S1E_T6_T7_T9_mT8_S1G_bDpT10_ENKUlT_T0_E_clISt17integral_constantIbLb1EES1T_IbLb0EEEEDaS1P_S1Q_EUlS1P_E_NS1_11comp_targetILNS1_3genE4ELNS1_11target_archE910ELNS1_3gpuE8ELNS1_3repE0EEENS1_30default_config_static_selectorELNS0_4arch9wavefront6targetE0EEEvS12_.uses_vcc, 0
	.set _ZN7rocprim17ROCPRIM_400000_NS6detail17trampoline_kernelINS0_13select_configILj256ELj13ELNS0_17block_load_methodE3ELS4_3ELS4_3ELNS0_20block_scan_algorithmE0ELj4294967295EEENS1_25partition_config_selectorILNS1_17partition_subalgoE4EjNS0_10empty_typeEbEEZZNS1_14partition_implILS8_4ELb0ES6_15HIP_vector_typeIjLj2EENS0_17counting_iteratorIjlEEPS9_SG_NS0_5tupleIJPjSI_NS0_16reverse_iteratorISI_EEEEENSH_IJSG_SG_SG_EEES9_SI_JZNS1_25segmented_radix_sort_implINS0_14default_configELb0EPKiPiPKlPlN2at6native12_GLOBAL__N_18offset_tEEE10hipError_tPvRmT1_PNSt15iterator_traitsIS12_E10value_typeET2_T3_PNS13_IS18_E10value_typeET4_jRbjT5_S1E_jjP12ihipStream_tbEUljE_ZNSN_ISO_Lb0ESQ_SR_ST_SU_SY_EESZ_S10_S11_S12_S16_S17_S18_S1B_S1C_jS1D_jS1E_S1E_jjS1G_bEUljE0_EEESZ_S10_S11_S18_S1C_S1E_T6_T7_T9_mT8_S1G_bDpT10_ENKUlT_T0_E_clISt17integral_constantIbLb1EES1T_IbLb0EEEEDaS1P_S1Q_EUlS1P_E_NS1_11comp_targetILNS1_3genE4ELNS1_11target_archE910ELNS1_3gpuE8ELNS1_3repE0EEENS1_30default_config_static_selectorELNS0_4arch9wavefront6targetE0EEEvS12_.uses_flat_scratch, 0
	.set _ZN7rocprim17ROCPRIM_400000_NS6detail17trampoline_kernelINS0_13select_configILj256ELj13ELNS0_17block_load_methodE3ELS4_3ELS4_3ELNS0_20block_scan_algorithmE0ELj4294967295EEENS1_25partition_config_selectorILNS1_17partition_subalgoE4EjNS0_10empty_typeEbEEZZNS1_14partition_implILS8_4ELb0ES6_15HIP_vector_typeIjLj2EENS0_17counting_iteratorIjlEEPS9_SG_NS0_5tupleIJPjSI_NS0_16reverse_iteratorISI_EEEEENSH_IJSG_SG_SG_EEES9_SI_JZNS1_25segmented_radix_sort_implINS0_14default_configELb0EPKiPiPKlPlN2at6native12_GLOBAL__N_18offset_tEEE10hipError_tPvRmT1_PNSt15iterator_traitsIS12_E10value_typeET2_T3_PNS13_IS18_E10value_typeET4_jRbjT5_S1E_jjP12ihipStream_tbEUljE_ZNSN_ISO_Lb0ESQ_SR_ST_SU_SY_EESZ_S10_S11_S12_S16_S17_S18_S1B_S1C_jS1D_jS1E_S1E_jjS1G_bEUljE0_EEESZ_S10_S11_S18_S1C_S1E_T6_T7_T9_mT8_S1G_bDpT10_ENKUlT_T0_E_clISt17integral_constantIbLb1EES1T_IbLb0EEEEDaS1P_S1Q_EUlS1P_E_NS1_11comp_targetILNS1_3genE4ELNS1_11target_archE910ELNS1_3gpuE8ELNS1_3repE0EEENS1_30default_config_static_selectorELNS0_4arch9wavefront6targetE0EEEvS12_.has_dyn_sized_stack, 0
	.set _ZN7rocprim17ROCPRIM_400000_NS6detail17trampoline_kernelINS0_13select_configILj256ELj13ELNS0_17block_load_methodE3ELS4_3ELS4_3ELNS0_20block_scan_algorithmE0ELj4294967295EEENS1_25partition_config_selectorILNS1_17partition_subalgoE4EjNS0_10empty_typeEbEEZZNS1_14partition_implILS8_4ELb0ES6_15HIP_vector_typeIjLj2EENS0_17counting_iteratorIjlEEPS9_SG_NS0_5tupleIJPjSI_NS0_16reverse_iteratorISI_EEEEENSH_IJSG_SG_SG_EEES9_SI_JZNS1_25segmented_radix_sort_implINS0_14default_configELb0EPKiPiPKlPlN2at6native12_GLOBAL__N_18offset_tEEE10hipError_tPvRmT1_PNSt15iterator_traitsIS12_E10value_typeET2_T3_PNS13_IS18_E10value_typeET4_jRbjT5_S1E_jjP12ihipStream_tbEUljE_ZNSN_ISO_Lb0ESQ_SR_ST_SU_SY_EESZ_S10_S11_S12_S16_S17_S18_S1B_S1C_jS1D_jS1E_S1E_jjS1G_bEUljE0_EEESZ_S10_S11_S18_S1C_S1E_T6_T7_T9_mT8_S1G_bDpT10_ENKUlT_T0_E_clISt17integral_constantIbLb1EES1T_IbLb0EEEEDaS1P_S1Q_EUlS1P_E_NS1_11comp_targetILNS1_3genE4ELNS1_11target_archE910ELNS1_3gpuE8ELNS1_3repE0EEENS1_30default_config_static_selectorELNS0_4arch9wavefront6targetE0EEEvS12_.has_recursion, 0
	.set _ZN7rocprim17ROCPRIM_400000_NS6detail17trampoline_kernelINS0_13select_configILj256ELj13ELNS0_17block_load_methodE3ELS4_3ELS4_3ELNS0_20block_scan_algorithmE0ELj4294967295EEENS1_25partition_config_selectorILNS1_17partition_subalgoE4EjNS0_10empty_typeEbEEZZNS1_14partition_implILS8_4ELb0ES6_15HIP_vector_typeIjLj2EENS0_17counting_iteratorIjlEEPS9_SG_NS0_5tupleIJPjSI_NS0_16reverse_iteratorISI_EEEEENSH_IJSG_SG_SG_EEES9_SI_JZNS1_25segmented_radix_sort_implINS0_14default_configELb0EPKiPiPKlPlN2at6native12_GLOBAL__N_18offset_tEEE10hipError_tPvRmT1_PNSt15iterator_traitsIS12_E10value_typeET2_T3_PNS13_IS18_E10value_typeET4_jRbjT5_S1E_jjP12ihipStream_tbEUljE_ZNSN_ISO_Lb0ESQ_SR_ST_SU_SY_EESZ_S10_S11_S12_S16_S17_S18_S1B_S1C_jS1D_jS1E_S1E_jjS1G_bEUljE0_EEESZ_S10_S11_S18_S1C_S1E_T6_T7_T9_mT8_S1G_bDpT10_ENKUlT_T0_E_clISt17integral_constantIbLb1EES1T_IbLb0EEEEDaS1P_S1Q_EUlS1P_E_NS1_11comp_targetILNS1_3genE4ELNS1_11target_archE910ELNS1_3gpuE8ELNS1_3repE0EEENS1_30default_config_static_selectorELNS0_4arch9wavefront6targetE0EEEvS12_.has_indirect_call, 0
	.section	.AMDGPU.csdata,"",@progbits
; Kernel info:
; codeLenInByte = 0
; TotalNumSgprs: 0
; NumVgprs: 0
; ScratchSize: 0
; MemoryBound: 0
; FloatMode: 240
; IeeeMode: 1
; LDSByteSize: 0 bytes/workgroup (compile time only)
; SGPRBlocks: 0
; VGPRBlocks: 0
; NumSGPRsForWavesPerEU: 1
; NumVGPRsForWavesPerEU: 1
; NamedBarCnt: 0
; Occupancy: 16
; WaveLimiterHint : 0
; COMPUTE_PGM_RSRC2:SCRATCH_EN: 0
; COMPUTE_PGM_RSRC2:USER_SGPR: 2
; COMPUTE_PGM_RSRC2:TRAP_HANDLER: 0
; COMPUTE_PGM_RSRC2:TGID_X_EN: 1
; COMPUTE_PGM_RSRC2:TGID_Y_EN: 0
; COMPUTE_PGM_RSRC2:TGID_Z_EN: 0
; COMPUTE_PGM_RSRC2:TIDIG_COMP_CNT: 0
	.section	.text._ZN7rocprim17ROCPRIM_400000_NS6detail17trampoline_kernelINS0_13select_configILj256ELj13ELNS0_17block_load_methodE3ELS4_3ELS4_3ELNS0_20block_scan_algorithmE0ELj4294967295EEENS1_25partition_config_selectorILNS1_17partition_subalgoE4EjNS0_10empty_typeEbEEZZNS1_14partition_implILS8_4ELb0ES6_15HIP_vector_typeIjLj2EENS0_17counting_iteratorIjlEEPS9_SG_NS0_5tupleIJPjSI_NS0_16reverse_iteratorISI_EEEEENSH_IJSG_SG_SG_EEES9_SI_JZNS1_25segmented_radix_sort_implINS0_14default_configELb0EPKiPiPKlPlN2at6native12_GLOBAL__N_18offset_tEEE10hipError_tPvRmT1_PNSt15iterator_traitsIS12_E10value_typeET2_T3_PNS13_IS18_E10value_typeET4_jRbjT5_S1E_jjP12ihipStream_tbEUljE_ZNSN_ISO_Lb0ESQ_SR_ST_SU_SY_EESZ_S10_S11_S12_S16_S17_S18_S1B_S1C_jS1D_jS1E_S1E_jjS1G_bEUljE0_EEESZ_S10_S11_S18_S1C_S1E_T6_T7_T9_mT8_S1G_bDpT10_ENKUlT_T0_E_clISt17integral_constantIbLb1EES1T_IbLb0EEEEDaS1P_S1Q_EUlS1P_E_NS1_11comp_targetILNS1_3genE3ELNS1_11target_archE908ELNS1_3gpuE7ELNS1_3repE0EEENS1_30default_config_static_selectorELNS0_4arch9wavefront6targetE0EEEvS12_,"axG",@progbits,_ZN7rocprim17ROCPRIM_400000_NS6detail17trampoline_kernelINS0_13select_configILj256ELj13ELNS0_17block_load_methodE3ELS4_3ELS4_3ELNS0_20block_scan_algorithmE0ELj4294967295EEENS1_25partition_config_selectorILNS1_17partition_subalgoE4EjNS0_10empty_typeEbEEZZNS1_14partition_implILS8_4ELb0ES6_15HIP_vector_typeIjLj2EENS0_17counting_iteratorIjlEEPS9_SG_NS0_5tupleIJPjSI_NS0_16reverse_iteratorISI_EEEEENSH_IJSG_SG_SG_EEES9_SI_JZNS1_25segmented_radix_sort_implINS0_14default_configELb0EPKiPiPKlPlN2at6native12_GLOBAL__N_18offset_tEEE10hipError_tPvRmT1_PNSt15iterator_traitsIS12_E10value_typeET2_T3_PNS13_IS18_E10value_typeET4_jRbjT5_S1E_jjP12ihipStream_tbEUljE_ZNSN_ISO_Lb0ESQ_SR_ST_SU_SY_EESZ_S10_S11_S12_S16_S17_S18_S1B_S1C_jS1D_jS1E_S1E_jjS1G_bEUljE0_EEESZ_S10_S11_S18_S1C_S1E_T6_T7_T9_mT8_S1G_bDpT10_ENKUlT_T0_E_clISt17integral_constantIbLb1EES1T_IbLb0EEEEDaS1P_S1Q_EUlS1P_E_NS1_11comp_targetILNS1_3genE3ELNS1_11target_archE908ELNS1_3gpuE7ELNS1_3repE0EEENS1_30default_config_static_selectorELNS0_4arch9wavefront6targetE0EEEvS12_,comdat
	.globl	_ZN7rocprim17ROCPRIM_400000_NS6detail17trampoline_kernelINS0_13select_configILj256ELj13ELNS0_17block_load_methodE3ELS4_3ELS4_3ELNS0_20block_scan_algorithmE0ELj4294967295EEENS1_25partition_config_selectorILNS1_17partition_subalgoE4EjNS0_10empty_typeEbEEZZNS1_14partition_implILS8_4ELb0ES6_15HIP_vector_typeIjLj2EENS0_17counting_iteratorIjlEEPS9_SG_NS0_5tupleIJPjSI_NS0_16reverse_iteratorISI_EEEEENSH_IJSG_SG_SG_EEES9_SI_JZNS1_25segmented_radix_sort_implINS0_14default_configELb0EPKiPiPKlPlN2at6native12_GLOBAL__N_18offset_tEEE10hipError_tPvRmT1_PNSt15iterator_traitsIS12_E10value_typeET2_T3_PNS13_IS18_E10value_typeET4_jRbjT5_S1E_jjP12ihipStream_tbEUljE_ZNSN_ISO_Lb0ESQ_SR_ST_SU_SY_EESZ_S10_S11_S12_S16_S17_S18_S1B_S1C_jS1D_jS1E_S1E_jjS1G_bEUljE0_EEESZ_S10_S11_S18_S1C_S1E_T6_T7_T9_mT8_S1G_bDpT10_ENKUlT_T0_E_clISt17integral_constantIbLb1EES1T_IbLb0EEEEDaS1P_S1Q_EUlS1P_E_NS1_11comp_targetILNS1_3genE3ELNS1_11target_archE908ELNS1_3gpuE7ELNS1_3repE0EEENS1_30default_config_static_selectorELNS0_4arch9wavefront6targetE0EEEvS12_ ; -- Begin function _ZN7rocprim17ROCPRIM_400000_NS6detail17trampoline_kernelINS0_13select_configILj256ELj13ELNS0_17block_load_methodE3ELS4_3ELS4_3ELNS0_20block_scan_algorithmE0ELj4294967295EEENS1_25partition_config_selectorILNS1_17partition_subalgoE4EjNS0_10empty_typeEbEEZZNS1_14partition_implILS8_4ELb0ES6_15HIP_vector_typeIjLj2EENS0_17counting_iteratorIjlEEPS9_SG_NS0_5tupleIJPjSI_NS0_16reverse_iteratorISI_EEEEENSH_IJSG_SG_SG_EEES9_SI_JZNS1_25segmented_radix_sort_implINS0_14default_configELb0EPKiPiPKlPlN2at6native12_GLOBAL__N_18offset_tEEE10hipError_tPvRmT1_PNSt15iterator_traitsIS12_E10value_typeET2_T3_PNS13_IS18_E10value_typeET4_jRbjT5_S1E_jjP12ihipStream_tbEUljE_ZNSN_ISO_Lb0ESQ_SR_ST_SU_SY_EESZ_S10_S11_S12_S16_S17_S18_S1B_S1C_jS1D_jS1E_S1E_jjS1G_bEUljE0_EEESZ_S10_S11_S18_S1C_S1E_T6_T7_T9_mT8_S1G_bDpT10_ENKUlT_T0_E_clISt17integral_constantIbLb1EES1T_IbLb0EEEEDaS1P_S1Q_EUlS1P_E_NS1_11comp_targetILNS1_3genE3ELNS1_11target_archE908ELNS1_3gpuE7ELNS1_3repE0EEENS1_30default_config_static_selectorELNS0_4arch9wavefront6targetE0EEEvS12_
	.p2align	8
	.type	_ZN7rocprim17ROCPRIM_400000_NS6detail17trampoline_kernelINS0_13select_configILj256ELj13ELNS0_17block_load_methodE3ELS4_3ELS4_3ELNS0_20block_scan_algorithmE0ELj4294967295EEENS1_25partition_config_selectorILNS1_17partition_subalgoE4EjNS0_10empty_typeEbEEZZNS1_14partition_implILS8_4ELb0ES6_15HIP_vector_typeIjLj2EENS0_17counting_iteratorIjlEEPS9_SG_NS0_5tupleIJPjSI_NS0_16reverse_iteratorISI_EEEEENSH_IJSG_SG_SG_EEES9_SI_JZNS1_25segmented_radix_sort_implINS0_14default_configELb0EPKiPiPKlPlN2at6native12_GLOBAL__N_18offset_tEEE10hipError_tPvRmT1_PNSt15iterator_traitsIS12_E10value_typeET2_T3_PNS13_IS18_E10value_typeET4_jRbjT5_S1E_jjP12ihipStream_tbEUljE_ZNSN_ISO_Lb0ESQ_SR_ST_SU_SY_EESZ_S10_S11_S12_S16_S17_S18_S1B_S1C_jS1D_jS1E_S1E_jjS1G_bEUljE0_EEESZ_S10_S11_S18_S1C_S1E_T6_T7_T9_mT8_S1G_bDpT10_ENKUlT_T0_E_clISt17integral_constantIbLb1EES1T_IbLb0EEEEDaS1P_S1Q_EUlS1P_E_NS1_11comp_targetILNS1_3genE3ELNS1_11target_archE908ELNS1_3gpuE7ELNS1_3repE0EEENS1_30default_config_static_selectorELNS0_4arch9wavefront6targetE0EEEvS12_,@function
_ZN7rocprim17ROCPRIM_400000_NS6detail17trampoline_kernelINS0_13select_configILj256ELj13ELNS0_17block_load_methodE3ELS4_3ELS4_3ELNS0_20block_scan_algorithmE0ELj4294967295EEENS1_25partition_config_selectorILNS1_17partition_subalgoE4EjNS0_10empty_typeEbEEZZNS1_14partition_implILS8_4ELb0ES6_15HIP_vector_typeIjLj2EENS0_17counting_iteratorIjlEEPS9_SG_NS0_5tupleIJPjSI_NS0_16reverse_iteratorISI_EEEEENSH_IJSG_SG_SG_EEES9_SI_JZNS1_25segmented_radix_sort_implINS0_14default_configELb0EPKiPiPKlPlN2at6native12_GLOBAL__N_18offset_tEEE10hipError_tPvRmT1_PNSt15iterator_traitsIS12_E10value_typeET2_T3_PNS13_IS18_E10value_typeET4_jRbjT5_S1E_jjP12ihipStream_tbEUljE_ZNSN_ISO_Lb0ESQ_SR_ST_SU_SY_EESZ_S10_S11_S12_S16_S17_S18_S1B_S1C_jS1D_jS1E_S1E_jjS1G_bEUljE0_EEESZ_S10_S11_S18_S1C_S1E_T6_T7_T9_mT8_S1G_bDpT10_ENKUlT_T0_E_clISt17integral_constantIbLb1EES1T_IbLb0EEEEDaS1P_S1Q_EUlS1P_E_NS1_11comp_targetILNS1_3genE3ELNS1_11target_archE908ELNS1_3gpuE7ELNS1_3repE0EEENS1_30default_config_static_selectorELNS0_4arch9wavefront6targetE0EEEvS12_: ; @_ZN7rocprim17ROCPRIM_400000_NS6detail17trampoline_kernelINS0_13select_configILj256ELj13ELNS0_17block_load_methodE3ELS4_3ELS4_3ELNS0_20block_scan_algorithmE0ELj4294967295EEENS1_25partition_config_selectorILNS1_17partition_subalgoE4EjNS0_10empty_typeEbEEZZNS1_14partition_implILS8_4ELb0ES6_15HIP_vector_typeIjLj2EENS0_17counting_iteratorIjlEEPS9_SG_NS0_5tupleIJPjSI_NS0_16reverse_iteratorISI_EEEEENSH_IJSG_SG_SG_EEES9_SI_JZNS1_25segmented_radix_sort_implINS0_14default_configELb0EPKiPiPKlPlN2at6native12_GLOBAL__N_18offset_tEEE10hipError_tPvRmT1_PNSt15iterator_traitsIS12_E10value_typeET2_T3_PNS13_IS18_E10value_typeET4_jRbjT5_S1E_jjP12ihipStream_tbEUljE_ZNSN_ISO_Lb0ESQ_SR_ST_SU_SY_EESZ_S10_S11_S12_S16_S17_S18_S1B_S1C_jS1D_jS1E_S1E_jjS1G_bEUljE0_EEESZ_S10_S11_S18_S1C_S1E_T6_T7_T9_mT8_S1G_bDpT10_ENKUlT_T0_E_clISt17integral_constantIbLb1EES1T_IbLb0EEEEDaS1P_S1Q_EUlS1P_E_NS1_11comp_targetILNS1_3genE3ELNS1_11target_archE908ELNS1_3gpuE7ELNS1_3repE0EEENS1_30default_config_static_selectorELNS0_4arch9wavefront6targetE0EEEvS12_
; %bb.0:
	.section	.rodata,"a",@progbits
	.p2align	6, 0x0
	.amdhsa_kernel _ZN7rocprim17ROCPRIM_400000_NS6detail17trampoline_kernelINS0_13select_configILj256ELj13ELNS0_17block_load_methodE3ELS4_3ELS4_3ELNS0_20block_scan_algorithmE0ELj4294967295EEENS1_25partition_config_selectorILNS1_17partition_subalgoE4EjNS0_10empty_typeEbEEZZNS1_14partition_implILS8_4ELb0ES6_15HIP_vector_typeIjLj2EENS0_17counting_iteratorIjlEEPS9_SG_NS0_5tupleIJPjSI_NS0_16reverse_iteratorISI_EEEEENSH_IJSG_SG_SG_EEES9_SI_JZNS1_25segmented_radix_sort_implINS0_14default_configELb0EPKiPiPKlPlN2at6native12_GLOBAL__N_18offset_tEEE10hipError_tPvRmT1_PNSt15iterator_traitsIS12_E10value_typeET2_T3_PNS13_IS18_E10value_typeET4_jRbjT5_S1E_jjP12ihipStream_tbEUljE_ZNSN_ISO_Lb0ESQ_SR_ST_SU_SY_EESZ_S10_S11_S12_S16_S17_S18_S1B_S1C_jS1D_jS1E_S1E_jjS1G_bEUljE0_EEESZ_S10_S11_S18_S1C_S1E_T6_T7_T9_mT8_S1G_bDpT10_ENKUlT_T0_E_clISt17integral_constantIbLb1EES1T_IbLb0EEEEDaS1P_S1Q_EUlS1P_E_NS1_11comp_targetILNS1_3genE3ELNS1_11target_archE908ELNS1_3gpuE7ELNS1_3repE0EEENS1_30default_config_static_selectorELNS0_4arch9wavefront6targetE0EEEvS12_
		.amdhsa_group_segment_fixed_size 0
		.amdhsa_private_segment_fixed_size 0
		.amdhsa_kernarg_size 176
		.amdhsa_user_sgpr_count 2
		.amdhsa_user_sgpr_dispatch_ptr 0
		.amdhsa_user_sgpr_queue_ptr 0
		.amdhsa_user_sgpr_kernarg_segment_ptr 1
		.amdhsa_user_sgpr_dispatch_id 0
		.amdhsa_user_sgpr_kernarg_preload_length 0
		.amdhsa_user_sgpr_kernarg_preload_offset 0
		.amdhsa_user_sgpr_private_segment_size 0
		.amdhsa_wavefront_size32 1
		.amdhsa_uses_dynamic_stack 0
		.amdhsa_enable_private_segment 0
		.amdhsa_system_sgpr_workgroup_id_x 1
		.amdhsa_system_sgpr_workgroup_id_y 0
		.amdhsa_system_sgpr_workgroup_id_z 0
		.amdhsa_system_sgpr_workgroup_info 0
		.amdhsa_system_vgpr_workitem_id 0
		.amdhsa_next_free_vgpr 1
		.amdhsa_next_free_sgpr 1
		.amdhsa_named_barrier_count 0
		.amdhsa_reserve_vcc 0
		.amdhsa_float_round_mode_32 0
		.amdhsa_float_round_mode_16_64 0
		.amdhsa_float_denorm_mode_32 3
		.amdhsa_float_denorm_mode_16_64 3
		.amdhsa_fp16_overflow 0
		.amdhsa_memory_ordered 1
		.amdhsa_forward_progress 1
		.amdhsa_inst_pref_size 0
		.amdhsa_round_robin_scheduling 0
		.amdhsa_exception_fp_ieee_invalid_op 0
		.amdhsa_exception_fp_denorm_src 0
		.amdhsa_exception_fp_ieee_div_zero 0
		.amdhsa_exception_fp_ieee_overflow 0
		.amdhsa_exception_fp_ieee_underflow 0
		.amdhsa_exception_fp_ieee_inexact 0
		.amdhsa_exception_int_div_zero 0
	.end_amdhsa_kernel
	.section	.text._ZN7rocprim17ROCPRIM_400000_NS6detail17trampoline_kernelINS0_13select_configILj256ELj13ELNS0_17block_load_methodE3ELS4_3ELS4_3ELNS0_20block_scan_algorithmE0ELj4294967295EEENS1_25partition_config_selectorILNS1_17partition_subalgoE4EjNS0_10empty_typeEbEEZZNS1_14partition_implILS8_4ELb0ES6_15HIP_vector_typeIjLj2EENS0_17counting_iteratorIjlEEPS9_SG_NS0_5tupleIJPjSI_NS0_16reverse_iteratorISI_EEEEENSH_IJSG_SG_SG_EEES9_SI_JZNS1_25segmented_radix_sort_implINS0_14default_configELb0EPKiPiPKlPlN2at6native12_GLOBAL__N_18offset_tEEE10hipError_tPvRmT1_PNSt15iterator_traitsIS12_E10value_typeET2_T3_PNS13_IS18_E10value_typeET4_jRbjT5_S1E_jjP12ihipStream_tbEUljE_ZNSN_ISO_Lb0ESQ_SR_ST_SU_SY_EESZ_S10_S11_S12_S16_S17_S18_S1B_S1C_jS1D_jS1E_S1E_jjS1G_bEUljE0_EEESZ_S10_S11_S18_S1C_S1E_T6_T7_T9_mT8_S1G_bDpT10_ENKUlT_T0_E_clISt17integral_constantIbLb1EES1T_IbLb0EEEEDaS1P_S1Q_EUlS1P_E_NS1_11comp_targetILNS1_3genE3ELNS1_11target_archE908ELNS1_3gpuE7ELNS1_3repE0EEENS1_30default_config_static_selectorELNS0_4arch9wavefront6targetE0EEEvS12_,"axG",@progbits,_ZN7rocprim17ROCPRIM_400000_NS6detail17trampoline_kernelINS0_13select_configILj256ELj13ELNS0_17block_load_methodE3ELS4_3ELS4_3ELNS0_20block_scan_algorithmE0ELj4294967295EEENS1_25partition_config_selectorILNS1_17partition_subalgoE4EjNS0_10empty_typeEbEEZZNS1_14partition_implILS8_4ELb0ES6_15HIP_vector_typeIjLj2EENS0_17counting_iteratorIjlEEPS9_SG_NS0_5tupleIJPjSI_NS0_16reverse_iteratorISI_EEEEENSH_IJSG_SG_SG_EEES9_SI_JZNS1_25segmented_radix_sort_implINS0_14default_configELb0EPKiPiPKlPlN2at6native12_GLOBAL__N_18offset_tEEE10hipError_tPvRmT1_PNSt15iterator_traitsIS12_E10value_typeET2_T3_PNS13_IS18_E10value_typeET4_jRbjT5_S1E_jjP12ihipStream_tbEUljE_ZNSN_ISO_Lb0ESQ_SR_ST_SU_SY_EESZ_S10_S11_S12_S16_S17_S18_S1B_S1C_jS1D_jS1E_S1E_jjS1G_bEUljE0_EEESZ_S10_S11_S18_S1C_S1E_T6_T7_T9_mT8_S1G_bDpT10_ENKUlT_T0_E_clISt17integral_constantIbLb1EES1T_IbLb0EEEEDaS1P_S1Q_EUlS1P_E_NS1_11comp_targetILNS1_3genE3ELNS1_11target_archE908ELNS1_3gpuE7ELNS1_3repE0EEENS1_30default_config_static_selectorELNS0_4arch9wavefront6targetE0EEEvS12_,comdat
.Lfunc_end551:
	.size	_ZN7rocprim17ROCPRIM_400000_NS6detail17trampoline_kernelINS0_13select_configILj256ELj13ELNS0_17block_load_methodE3ELS4_3ELS4_3ELNS0_20block_scan_algorithmE0ELj4294967295EEENS1_25partition_config_selectorILNS1_17partition_subalgoE4EjNS0_10empty_typeEbEEZZNS1_14partition_implILS8_4ELb0ES6_15HIP_vector_typeIjLj2EENS0_17counting_iteratorIjlEEPS9_SG_NS0_5tupleIJPjSI_NS0_16reverse_iteratorISI_EEEEENSH_IJSG_SG_SG_EEES9_SI_JZNS1_25segmented_radix_sort_implINS0_14default_configELb0EPKiPiPKlPlN2at6native12_GLOBAL__N_18offset_tEEE10hipError_tPvRmT1_PNSt15iterator_traitsIS12_E10value_typeET2_T3_PNS13_IS18_E10value_typeET4_jRbjT5_S1E_jjP12ihipStream_tbEUljE_ZNSN_ISO_Lb0ESQ_SR_ST_SU_SY_EESZ_S10_S11_S12_S16_S17_S18_S1B_S1C_jS1D_jS1E_S1E_jjS1G_bEUljE0_EEESZ_S10_S11_S18_S1C_S1E_T6_T7_T9_mT8_S1G_bDpT10_ENKUlT_T0_E_clISt17integral_constantIbLb1EES1T_IbLb0EEEEDaS1P_S1Q_EUlS1P_E_NS1_11comp_targetILNS1_3genE3ELNS1_11target_archE908ELNS1_3gpuE7ELNS1_3repE0EEENS1_30default_config_static_selectorELNS0_4arch9wavefront6targetE0EEEvS12_, .Lfunc_end551-_ZN7rocprim17ROCPRIM_400000_NS6detail17trampoline_kernelINS0_13select_configILj256ELj13ELNS0_17block_load_methodE3ELS4_3ELS4_3ELNS0_20block_scan_algorithmE0ELj4294967295EEENS1_25partition_config_selectorILNS1_17partition_subalgoE4EjNS0_10empty_typeEbEEZZNS1_14partition_implILS8_4ELb0ES6_15HIP_vector_typeIjLj2EENS0_17counting_iteratorIjlEEPS9_SG_NS0_5tupleIJPjSI_NS0_16reverse_iteratorISI_EEEEENSH_IJSG_SG_SG_EEES9_SI_JZNS1_25segmented_radix_sort_implINS0_14default_configELb0EPKiPiPKlPlN2at6native12_GLOBAL__N_18offset_tEEE10hipError_tPvRmT1_PNSt15iterator_traitsIS12_E10value_typeET2_T3_PNS13_IS18_E10value_typeET4_jRbjT5_S1E_jjP12ihipStream_tbEUljE_ZNSN_ISO_Lb0ESQ_SR_ST_SU_SY_EESZ_S10_S11_S12_S16_S17_S18_S1B_S1C_jS1D_jS1E_S1E_jjS1G_bEUljE0_EEESZ_S10_S11_S18_S1C_S1E_T6_T7_T9_mT8_S1G_bDpT10_ENKUlT_T0_E_clISt17integral_constantIbLb1EES1T_IbLb0EEEEDaS1P_S1Q_EUlS1P_E_NS1_11comp_targetILNS1_3genE3ELNS1_11target_archE908ELNS1_3gpuE7ELNS1_3repE0EEENS1_30default_config_static_selectorELNS0_4arch9wavefront6targetE0EEEvS12_
                                        ; -- End function
	.set _ZN7rocprim17ROCPRIM_400000_NS6detail17trampoline_kernelINS0_13select_configILj256ELj13ELNS0_17block_load_methodE3ELS4_3ELS4_3ELNS0_20block_scan_algorithmE0ELj4294967295EEENS1_25partition_config_selectorILNS1_17partition_subalgoE4EjNS0_10empty_typeEbEEZZNS1_14partition_implILS8_4ELb0ES6_15HIP_vector_typeIjLj2EENS0_17counting_iteratorIjlEEPS9_SG_NS0_5tupleIJPjSI_NS0_16reverse_iteratorISI_EEEEENSH_IJSG_SG_SG_EEES9_SI_JZNS1_25segmented_radix_sort_implINS0_14default_configELb0EPKiPiPKlPlN2at6native12_GLOBAL__N_18offset_tEEE10hipError_tPvRmT1_PNSt15iterator_traitsIS12_E10value_typeET2_T3_PNS13_IS18_E10value_typeET4_jRbjT5_S1E_jjP12ihipStream_tbEUljE_ZNSN_ISO_Lb0ESQ_SR_ST_SU_SY_EESZ_S10_S11_S12_S16_S17_S18_S1B_S1C_jS1D_jS1E_S1E_jjS1G_bEUljE0_EEESZ_S10_S11_S18_S1C_S1E_T6_T7_T9_mT8_S1G_bDpT10_ENKUlT_T0_E_clISt17integral_constantIbLb1EES1T_IbLb0EEEEDaS1P_S1Q_EUlS1P_E_NS1_11comp_targetILNS1_3genE3ELNS1_11target_archE908ELNS1_3gpuE7ELNS1_3repE0EEENS1_30default_config_static_selectorELNS0_4arch9wavefront6targetE0EEEvS12_.num_vgpr, 0
	.set _ZN7rocprim17ROCPRIM_400000_NS6detail17trampoline_kernelINS0_13select_configILj256ELj13ELNS0_17block_load_methodE3ELS4_3ELS4_3ELNS0_20block_scan_algorithmE0ELj4294967295EEENS1_25partition_config_selectorILNS1_17partition_subalgoE4EjNS0_10empty_typeEbEEZZNS1_14partition_implILS8_4ELb0ES6_15HIP_vector_typeIjLj2EENS0_17counting_iteratorIjlEEPS9_SG_NS0_5tupleIJPjSI_NS0_16reverse_iteratorISI_EEEEENSH_IJSG_SG_SG_EEES9_SI_JZNS1_25segmented_radix_sort_implINS0_14default_configELb0EPKiPiPKlPlN2at6native12_GLOBAL__N_18offset_tEEE10hipError_tPvRmT1_PNSt15iterator_traitsIS12_E10value_typeET2_T3_PNS13_IS18_E10value_typeET4_jRbjT5_S1E_jjP12ihipStream_tbEUljE_ZNSN_ISO_Lb0ESQ_SR_ST_SU_SY_EESZ_S10_S11_S12_S16_S17_S18_S1B_S1C_jS1D_jS1E_S1E_jjS1G_bEUljE0_EEESZ_S10_S11_S18_S1C_S1E_T6_T7_T9_mT8_S1G_bDpT10_ENKUlT_T0_E_clISt17integral_constantIbLb1EES1T_IbLb0EEEEDaS1P_S1Q_EUlS1P_E_NS1_11comp_targetILNS1_3genE3ELNS1_11target_archE908ELNS1_3gpuE7ELNS1_3repE0EEENS1_30default_config_static_selectorELNS0_4arch9wavefront6targetE0EEEvS12_.num_agpr, 0
	.set _ZN7rocprim17ROCPRIM_400000_NS6detail17trampoline_kernelINS0_13select_configILj256ELj13ELNS0_17block_load_methodE3ELS4_3ELS4_3ELNS0_20block_scan_algorithmE0ELj4294967295EEENS1_25partition_config_selectorILNS1_17partition_subalgoE4EjNS0_10empty_typeEbEEZZNS1_14partition_implILS8_4ELb0ES6_15HIP_vector_typeIjLj2EENS0_17counting_iteratorIjlEEPS9_SG_NS0_5tupleIJPjSI_NS0_16reverse_iteratorISI_EEEEENSH_IJSG_SG_SG_EEES9_SI_JZNS1_25segmented_radix_sort_implINS0_14default_configELb0EPKiPiPKlPlN2at6native12_GLOBAL__N_18offset_tEEE10hipError_tPvRmT1_PNSt15iterator_traitsIS12_E10value_typeET2_T3_PNS13_IS18_E10value_typeET4_jRbjT5_S1E_jjP12ihipStream_tbEUljE_ZNSN_ISO_Lb0ESQ_SR_ST_SU_SY_EESZ_S10_S11_S12_S16_S17_S18_S1B_S1C_jS1D_jS1E_S1E_jjS1G_bEUljE0_EEESZ_S10_S11_S18_S1C_S1E_T6_T7_T9_mT8_S1G_bDpT10_ENKUlT_T0_E_clISt17integral_constantIbLb1EES1T_IbLb0EEEEDaS1P_S1Q_EUlS1P_E_NS1_11comp_targetILNS1_3genE3ELNS1_11target_archE908ELNS1_3gpuE7ELNS1_3repE0EEENS1_30default_config_static_selectorELNS0_4arch9wavefront6targetE0EEEvS12_.numbered_sgpr, 0
	.set _ZN7rocprim17ROCPRIM_400000_NS6detail17trampoline_kernelINS0_13select_configILj256ELj13ELNS0_17block_load_methodE3ELS4_3ELS4_3ELNS0_20block_scan_algorithmE0ELj4294967295EEENS1_25partition_config_selectorILNS1_17partition_subalgoE4EjNS0_10empty_typeEbEEZZNS1_14partition_implILS8_4ELb0ES6_15HIP_vector_typeIjLj2EENS0_17counting_iteratorIjlEEPS9_SG_NS0_5tupleIJPjSI_NS0_16reverse_iteratorISI_EEEEENSH_IJSG_SG_SG_EEES9_SI_JZNS1_25segmented_radix_sort_implINS0_14default_configELb0EPKiPiPKlPlN2at6native12_GLOBAL__N_18offset_tEEE10hipError_tPvRmT1_PNSt15iterator_traitsIS12_E10value_typeET2_T3_PNS13_IS18_E10value_typeET4_jRbjT5_S1E_jjP12ihipStream_tbEUljE_ZNSN_ISO_Lb0ESQ_SR_ST_SU_SY_EESZ_S10_S11_S12_S16_S17_S18_S1B_S1C_jS1D_jS1E_S1E_jjS1G_bEUljE0_EEESZ_S10_S11_S18_S1C_S1E_T6_T7_T9_mT8_S1G_bDpT10_ENKUlT_T0_E_clISt17integral_constantIbLb1EES1T_IbLb0EEEEDaS1P_S1Q_EUlS1P_E_NS1_11comp_targetILNS1_3genE3ELNS1_11target_archE908ELNS1_3gpuE7ELNS1_3repE0EEENS1_30default_config_static_selectorELNS0_4arch9wavefront6targetE0EEEvS12_.num_named_barrier, 0
	.set _ZN7rocprim17ROCPRIM_400000_NS6detail17trampoline_kernelINS0_13select_configILj256ELj13ELNS0_17block_load_methodE3ELS4_3ELS4_3ELNS0_20block_scan_algorithmE0ELj4294967295EEENS1_25partition_config_selectorILNS1_17partition_subalgoE4EjNS0_10empty_typeEbEEZZNS1_14partition_implILS8_4ELb0ES6_15HIP_vector_typeIjLj2EENS0_17counting_iteratorIjlEEPS9_SG_NS0_5tupleIJPjSI_NS0_16reverse_iteratorISI_EEEEENSH_IJSG_SG_SG_EEES9_SI_JZNS1_25segmented_radix_sort_implINS0_14default_configELb0EPKiPiPKlPlN2at6native12_GLOBAL__N_18offset_tEEE10hipError_tPvRmT1_PNSt15iterator_traitsIS12_E10value_typeET2_T3_PNS13_IS18_E10value_typeET4_jRbjT5_S1E_jjP12ihipStream_tbEUljE_ZNSN_ISO_Lb0ESQ_SR_ST_SU_SY_EESZ_S10_S11_S12_S16_S17_S18_S1B_S1C_jS1D_jS1E_S1E_jjS1G_bEUljE0_EEESZ_S10_S11_S18_S1C_S1E_T6_T7_T9_mT8_S1G_bDpT10_ENKUlT_T0_E_clISt17integral_constantIbLb1EES1T_IbLb0EEEEDaS1P_S1Q_EUlS1P_E_NS1_11comp_targetILNS1_3genE3ELNS1_11target_archE908ELNS1_3gpuE7ELNS1_3repE0EEENS1_30default_config_static_selectorELNS0_4arch9wavefront6targetE0EEEvS12_.private_seg_size, 0
	.set _ZN7rocprim17ROCPRIM_400000_NS6detail17trampoline_kernelINS0_13select_configILj256ELj13ELNS0_17block_load_methodE3ELS4_3ELS4_3ELNS0_20block_scan_algorithmE0ELj4294967295EEENS1_25partition_config_selectorILNS1_17partition_subalgoE4EjNS0_10empty_typeEbEEZZNS1_14partition_implILS8_4ELb0ES6_15HIP_vector_typeIjLj2EENS0_17counting_iteratorIjlEEPS9_SG_NS0_5tupleIJPjSI_NS0_16reverse_iteratorISI_EEEEENSH_IJSG_SG_SG_EEES9_SI_JZNS1_25segmented_radix_sort_implINS0_14default_configELb0EPKiPiPKlPlN2at6native12_GLOBAL__N_18offset_tEEE10hipError_tPvRmT1_PNSt15iterator_traitsIS12_E10value_typeET2_T3_PNS13_IS18_E10value_typeET4_jRbjT5_S1E_jjP12ihipStream_tbEUljE_ZNSN_ISO_Lb0ESQ_SR_ST_SU_SY_EESZ_S10_S11_S12_S16_S17_S18_S1B_S1C_jS1D_jS1E_S1E_jjS1G_bEUljE0_EEESZ_S10_S11_S18_S1C_S1E_T6_T7_T9_mT8_S1G_bDpT10_ENKUlT_T0_E_clISt17integral_constantIbLb1EES1T_IbLb0EEEEDaS1P_S1Q_EUlS1P_E_NS1_11comp_targetILNS1_3genE3ELNS1_11target_archE908ELNS1_3gpuE7ELNS1_3repE0EEENS1_30default_config_static_selectorELNS0_4arch9wavefront6targetE0EEEvS12_.uses_vcc, 0
	.set _ZN7rocprim17ROCPRIM_400000_NS6detail17trampoline_kernelINS0_13select_configILj256ELj13ELNS0_17block_load_methodE3ELS4_3ELS4_3ELNS0_20block_scan_algorithmE0ELj4294967295EEENS1_25partition_config_selectorILNS1_17partition_subalgoE4EjNS0_10empty_typeEbEEZZNS1_14partition_implILS8_4ELb0ES6_15HIP_vector_typeIjLj2EENS0_17counting_iteratorIjlEEPS9_SG_NS0_5tupleIJPjSI_NS0_16reverse_iteratorISI_EEEEENSH_IJSG_SG_SG_EEES9_SI_JZNS1_25segmented_radix_sort_implINS0_14default_configELb0EPKiPiPKlPlN2at6native12_GLOBAL__N_18offset_tEEE10hipError_tPvRmT1_PNSt15iterator_traitsIS12_E10value_typeET2_T3_PNS13_IS18_E10value_typeET4_jRbjT5_S1E_jjP12ihipStream_tbEUljE_ZNSN_ISO_Lb0ESQ_SR_ST_SU_SY_EESZ_S10_S11_S12_S16_S17_S18_S1B_S1C_jS1D_jS1E_S1E_jjS1G_bEUljE0_EEESZ_S10_S11_S18_S1C_S1E_T6_T7_T9_mT8_S1G_bDpT10_ENKUlT_T0_E_clISt17integral_constantIbLb1EES1T_IbLb0EEEEDaS1P_S1Q_EUlS1P_E_NS1_11comp_targetILNS1_3genE3ELNS1_11target_archE908ELNS1_3gpuE7ELNS1_3repE0EEENS1_30default_config_static_selectorELNS0_4arch9wavefront6targetE0EEEvS12_.uses_flat_scratch, 0
	.set _ZN7rocprim17ROCPRIM_400000_NS6detail17trampoline_kernelINS0_13select_configILj256ELj13ELNS0_17block_load_methodE3ELS4_3ELS4_3ELNS0_20block_scan_algorithmE0ELj4294967295EEENS1_25partition_config_selectorILNS1_17partition_subalgoE4EjNS0_10empty_typeEbEEZZNS1_14partition_implILS8_4ELb0ES6_15HIP_vector_typeIjLj2EENS0_17counting_iteratorIjlEEPS9_SG_NS0_5tupleIJPjSI_NS0_16reverse_iteratorISI_EEEEENSH_IJSG_SG_SG_EEES9_SI_JZNS1_25segmented_radix_sort_implINS0_14default_configELb0EPKiPiPKlPlN2at6native12_GLOBAL__N_18offset_tEEE10hipError_tPvRmT1_PNSt15iterator_traitsIS12_E10value_typeET2_T3_PNS13_IS18_E10value_typeET4_jRbjT5_S1E_jjP12ihipStream_tbEUljE_ZNSN_ISO_Lb0ESQ_SR_ST_SU_SY_EESZ_S10_S11_S12_S16_S17_S18_S1B_S1C_jS1D_jS1E_S1E_jjS1G_bEUljE0_EEESZ_S10_S11_S18_S1C_S1E_T6_T7_T9_mT8_S1G_bDpT10_ENKUlT_T0_E_clISt17integral_constantIbLb1EES1T_IbLb0EEEEDaS1P_S1Q_EUlS1P_E_NS1_11comp_targetILNS1_3genE3ELNS1_11target_archE908ELNS1_3gpuE7ELNS1_3repE0EEENS1_30default_config_static_selectorELNS0_4arch9wavefront6targetE0EEEvS12_.has_dyn_sized_stack, 0
	.set _ZN7rocprim17ROCPRIM_400000_NS6detail17trampoline_kernelINS0_13select_configILj256ELj13ELNS0_17block_load_methodE3ELS4_3ELS4_3ELNS0_20block_scan_algorithmE0ELj4294967295EEENS1_25partition_config_selectorILNS1_17partition_subalgoE4EjNS0_10empty_typeEbEEZZNS1_14partition_implILS8_4ELb0ES6_15HIP_vector_typeIjLj2EENS0_17counting_iteratorIjlEEPS9_SG_NS0_5tupleIJPjSI_NS0_16reverse_iteratorISI_EEEEENSH_IJSG_SG_SG_EEES9_SI_JZNS1_25segmented_radix_sort_implINS0_14default_configELb0EPKiPiPKlPlN2at6native12_GLOBAL__N_18offset_tEEE10hipError_tPvRmT1_PNSt15iterator_traitsIS12_E10value_typeET2_T3_PNS13_IS18_E10value_typeET4_jRbjT5_S1E_jjP12ihipStream_tbEUljE_ZNSN_ISO_Lb0ESQ_SR_ST_SU_SY_EESZ_S10_S11_S12_S16_S17_S18_S1B_S1C_jS1D_jS1E_S1E_jjS1G_bEUljE0_EEESZ_S10_S11_S18_S1C_S1E_T6_T7_T9_mT8_S1G_bDpT10_ENKUlT_T0_E_clISt17integral_constantIbLb1EES1T_IbLb0EEEEDaS1P_S1Q_EUlS1P_E_NS1_11comp_targetILNS1_3genE3ELNS1_11target_archE908ELNS1_3gpuE7ELNS1_3repE0EEENS1_30default_config_static_selectorELNS0_4arch9wavefront6targetE0EEEvS12_.has_recursion, 0
	.set _ZN7rocprim17ROCPRIM_400000_NS6detail17trampoline_kernelINS0_13select_configILj256ELj13ELNS0_17block_load_methodE3ELS4_3ELS4_3ELNS0_20block_scan_algorithmE0ELj4294967295EEENS1_25partition_config_selectorILNS1_17partition_subalgoE4EjNS0_10empty_typeEbEEZZNS1_14partition_implILS8_4ELb0ES6_15HIP_vector_typeIjLj2EENS0_17counting_iteratorIjlEEPS9_SG_NS0_5tupleIJPjSI_NS0_16reverse_iteratorISI_EEEEENSH_IJSG_SG_SG_EEES9_SI_JZNS1_25segmented_radix_sort_implINS0_14default_configELb0EPKiPiPKlPlN2at6native12_GLOBAL__N_18offset_tEEE10hipError_tPvRmT1_PNSt15iterator_traitsIS12_E10value_typeET2_T3_PNS13_IS18_E10value_typeET4_jRbjT5_S1E_jjP12ihipStream_tbEUljE_ZNSN_ISO_Lb0ESQ_SR_ST_SU_SY_EESZ_S10_S11_S12_S16_S17_S18_S1B_S1C_jS1D_jS1E_S1E_jjS1G_bEUljE0_EEESZ_S10_S11_S18_S1C_S1E_T6_T7_T9_mT8_S1G_bDpT10_ENKUlT_T0_E_clISt17integral_constantIbLb1EES1T_IbLb0EEEEDaS1P_S1Q_EUlS1P_E_NS1_11comp_targetILNS1_3genE3ELNS1_11target_archE908ELNS1_3gpuE7ELNS1_3repE0EEENS1_30default_config_static_selectorELNS0_4arch9wavefront6targetE0EEEvS12_.has_indirect_call, 0
	.section	.AMDGPU.csdata,"",@progbits
; Kernel info:
; codeLenInByte = 0
; TotalNumSgprs: 0
; NumVgprs: 0
; ScratchSize: 0
; MemoryBound: 0
; FloatMode: 240
; IeeeMode: 1
; LDSByteSize: 0 bytes/workgroup (compile time only)
; SGPRBlocks: 0
; VGPRBlocks: 0
; NumSGPRsForWavesPerEU: 1
; NumVGPRsForWavesPerEU: 1
; NamedBarCnt: 0
; Occupancy: 16
; WaveLimiterHint : 0
; COMPUTE_PGM_RSRC2:SCRATCH_EN: 0
; COMPUTE_PGM_RSRC2:USER_SGPR: 2
; COMPUTE_PGM_RSRC2:TRAP_HANDLER: 0
; COMPUTE_PGM_RSRC2:TGID_X_EN: 1
; COMPUTE_PGM_RSRC2:TGID_Y_EN: 0
; COMPUTE_PGM_RSRC2:TGID_Z_EN: 0
; COMPUTE_PGM_RSRC2:TIDIG_COMP_CNT: 0
	.section	.text._ZN7rocprim17ROCPRIM_400000_NS6detail17trampoline_kernelINS0_13select_configILj256ELj13ELNS0_17block_load_methodE3ELS4_3ELS4_3ELNS0_20block_scan_algorithmE0ELj4294967295EEENS1_25partition_config_selectorILNS1_17partition_subalgoE4EjNS0_10empty_typeEbEEZZNS1_14partition_implILS8_4ELb0ES6_15HIP_vector_typeIjLj2EENS0_17counting_iteratorIjlEEPS9_SG_NS0_5tupleIJPjSI_NS0_16reverse_iteratorISI_EEEEENSH_IJSG_SG_SG_EEES9_SI_JZNS1_25segmented_radix_sort_implINS0_14default_configELb0EPKiPiPKlPlN2at6native12_GLOBAL__N_18offset_tEEE10hipError_tPvRmT1_PNSt15iterator_traitsIS12_E10value_typeET2_T3_PNS13_IS18_E10value_typeET4_jRbjT5_S1E_jjP12ihipStream_tbEUljE_ZNSN_ISO_Lb0ESQ_SR_ST_SU_SY_EESZ_S10_S11_S12_S16_S17_S18_S1B_S1C_jS1D_jS1E_S1E_jjS1G_bEUljE0_EEESZ_S10_S11_S18_S1C_S1E_T6_T7_T9_mT8_S1G_bDpT10_ENKUlT_T0_E_clISt17integral_constantIbLb1EES1T_IbLb0EEEEDaS1P_S1Q_EUlS1P_E_NS1_11comp_targetILNS1_3genE2ELNS1_11target_archE906ELNS1_3gpuE6ELNS1_3repE0EEENS1_30default_config_static_selectorELNS0_4arch9wavefront6targetE0EEEvS12_,"axG",@progbits,_ZN7rocprim17ROCPRIM_400000_NS6detail17trampoline_kernelINS0_13select_configILj256ELj13ELNS0_17block_load_methodE3ELS4_3ELS4_3ELNS0_20block_scan_algorithmE0ELj4294967295EEENS1_25partition_config_selectorILNS1_17partition_subalgoE4EjNS0_10empty_typeEbEEZZNS1_14partition_implILS8_4ELb0ES6_15HIP_vector_typeIjLj2EENS0_17counting_iteratorIjlEEPS9_SG_NS0_5tupleIJPjSI_NS0_16reverse_iteratorISI_EEEEENSH_IJSG_SG_SG_EEES9_SI_JZNS1_25segmented_radix_sort_implINS0_14default_configELb0EPKiPiPKlPlN2at6native12_GLOBAL__N_18offset_tEEE10hipError_tPvRmT1_PNSt15iterator_traitsIS12_E10value_typeET2_T3_PNS13_IS18_E10value_typeET4_jRbjT5_S1E_jjP12ihipStream_tbEUljE_ZNSN_ISO_Lb0ESQ_SR_ST_SU_SY_EESZ_S10_S11_S12_S16_S17_S18_S1B_S1C_jS1D_jS1E_S1E_jjS1G_bEUljE0_EEESZ_S10_S11_S18_S1C_S1E_T6_T7_T9_mT8_S1G_bDpT10_ENKUlT_T0_E_clISt17integral_constantIbLb1EES1T_IbLb0EEEEDaS1P_S1Q_EUlS1P_E_NS1_11comp_targetILNS1_3genE2ELNS1_11target_archE906ELNS1_3gpuE6ELNS1_3repE0EEENS1_30default_config_static_selectorELNS0_4arch9wavefront6targetE0EEEvS12_,comdat
	.globl	_ZN7rocprim17ROCPRIM_400000_NS6detail17trampoline_kernelINS0_13select_configILj256ELj13ELNS0_17block_load_methodE3ELS4_3ELS4_3ELNS0_20block_scan_algorithmE0ELj4294967295EEENS1_25partition_config_selectorILNS1_17partition_subalgoE4EjNS0_10empty_typeEbEEZZNS1_14partition_implILS8_4ELb0ES6_15HIP_vector_typeIjLj2EENS0_17counting_iteratorIjlEEPS9_SG_NS0_5tupleIJPjSI_NS0_16reverse_iteratorISI_EEEEENSH_IJSG_SG_SG_EEES9_SI_JZNS1_25segmented_radix_sort_implINS0_14default_configELb0EPKiPiPKlPlN2at6native12_GLOBAL__N_18offset_tEEE10hipError_tPvRmT1_PNSt15iterator_traitsIS12_E10value_typeET2_T3_PNS13_IS18_E10value_typeET4_jRbjT5_S1E_jjP12ihipStream_tbEUljE_ZNSN_ISO_Lb0ESQ_SR_ST_SU_SY_EESZ_S10_S11_S12_S16_S17_S18_S1B_S1C_jS1D_jS1E_S1E_jjS1G_bEUljE0_EEESZ_S10_S11_S18_S1C_S1E_T6_T7_T9_mT8_S1G_bDpT10_ENKUlT_T0_E_clISt17integral_constantIbLb1EES1T_IbLb0EEEEDaS1P_S1Q_EUlS1P_E_NS1_11comp_targetILNS1_3genE2ELNS1_11target_archE906ELNS1_3gpuE6ELNS1_3repE0EEENS1_30default_config_static_selectorELNS0_4arch9wavefront6targetE0EEEvS12_ ; -- Begin function _ZN7rocprim17ROCPRIM_400000_NS6detail17trampoline_kernelINS0_13select_configILj256ELj13ELNS0_17block_load_methodE3ELS4_3ELS4_3ELNS0_20block_scan_algorithmE0ELj4294967295EEENS1_25partition_config_selectorILNS1_17partition_subalgoE4EjNS0_10empty_typeEbEEZZNS1_14partition_implILS8_4ELb0ES6_15HIP_vector_typeIjLj2EENS0_17counting_iteratorIjlEEPS9_SG_NS0_5tupleIJPjSI_NS0_16reverse_iteratorISI_EEEEENSH_IJSG_SG_SG_EEES9_SI_JZNS1_25segmented_radix_sort_implINS0_14default_configELb0EPKiPiPKlPlN2at6native12_GLOBAL__N_18offset_tEEE10hipError_tPvRmT1_PNSt15iterator_traitsIS12_E10value_typeET2_T3_PNS13_IS18_E10value_typeET4_jRbjT5_S1E_jjP12ihipStream_tbEUljE_ZNSN_ISO_Lb0ESQ_SR_ST_SU_SY_EESZ_S10_S11_S12_S16_S17_S18_S1B_S1C_jS1D_jS1E_S1E_jjS1G_bEUljE0_EEESZ_S10_S11_S18_S1C_S1E_T6_T7_T9_mT8_S1G_bDpT10_ENKUlT_T0_E_clISt17integral_constantIbLb1EES1T_IbLb0EEEEDaS1P_S1Q_EUlS1P_E_NS1_11comp_targetILNS1_3genE2ELNS1_11target_archE906ELNS1_3gpuE6ELNS1_3repE0EEENS1_30default_config_static_selectorELNS0_4arch9wavefront6targetE0EEEvS12_
	.p2align	8
	.type	_ZN7rocprim17ROCPRIM_400000_NS6detail17trampoline_kernelINS0_13select_configILj256ELj13ELNS0_17block_load_methodE3ELS4_3ELS4_3ELNS0_20block_scan_algorithmE0ELj4294967295EEENS1_25partition_config_selectorILNS1_17partition_subalgoE4EjNS0_10empty_typeEbEEZZNS1_14partition_implILS8_4ELb0ES6_15HIP_vector_typeIjLj2EENS0_17counting_iteratorIjlEEPS9_SG_NS0_5tupleIJPjSI_NS0_16reverse_iteratorISI_EEEEENSH_IJSG_SG_SG_EEES9_SI_JZNS1_25segmented_radix_sort_implINS0_14default_configELb0EPKiPiPKlPlN2at6native12_GLOBAL__N_18offset_tEEE10hipError_tPvRmT1_PNSt15iterator_traitsIS12_E10value_typeET2_T3_PNS13_IS18_E10value_typeET4_jRbjT5_S1E_jjP12ihipStream_tbEUljE_ZNSN_ISO_Lb0ESQ_SR_ST_SU_SY_EESZ_S10_S11_S12_S16_S17_S18_S1B_S1C_jS1D_jS1E_S1E_jjS1G_bEUljE0_EEESZ_S10_S11_S18_S1C_S1E_T6_T7_T9_mT8_S1G_bDpT10_ENKUlT_T0_E_clISt17integral_constantIbLb1EES1T_IbLb0EEEEDaS1P_S1Q_EUlS1P_E_NS1_11comp_targetILNS1_3genE2ELNS1_11target_archE906ELNS1_3gpuE6ELNS1_3repE0EEENS1_30default_config_static_selectorELNS0_4arch9wavefront6targetE0EEEvS12_,@function
_ZN7rocprim17ROCPRIM_400000_NS6detail17trampoline_kernelINS0_13select_configILj256ELj13ELNS0_17block_load_methodE3ELS4_3ELS4_3ELNS0_20block_scan_algorithmE0ELj4294967295EEENS1_25partition_config_selectorILNS1_17partition_subalgoE4EjNS0_10empty_typeEbEEZZNS1_14partition_implILS8_4ELb0ES6_15HIP_vector_typeIjLj2EENS0_17counting_iteratorIjlEEPS9_SG_NS0_5tupleIJPjSI_NS0_16reverse_iteratorISI_EEEEENSH_IJSG_SG_SG_EEES9_SI_JZNS1_25segmented_radix_sort_implINS0_14default_configELb0EPKiPiPKlPlN2at6native12_GLOBAL__N_18offset_tEEE10hipError_tPvRmT1_PNSt15iterator_traitsIS12_E10value_typeET2_T3_PNS13_IS18_E10value_typeET4_jRbjT5_S1E_jjP12ihipStream_tbEUljE_ZNSN_ISO_Lb0ESQ_SR_ST_SU_SY_EESZ_S10_S11_S12_S16_S17_S18_S1B_S1C_jS1D_jS1E_S1E_jjS1G_bEUljE0_EEESZ_S10_S11_S18_S1C_S1E_T6_T7_T9_mT8_S1G_bDpT10_ENKUlT_T0_E_clISt17integral_constantIbLb1EES1T_IbLb0EEEEDaS1P_S1Q_EUlS1P_E_NS1_11comp_targetILNS1_3genE2ELNS1_11target_archE906ELNS1_3gpuE6ELNS1_3repE0EEENS1_30default_config_static_selectorELNS0_4arch9wavefront6targetE0EEEvS12_: ; @_ZN7rocprim17ROCPRIM_400000_NS6detail17trampoline_kernelINS0_13select_configILj256ELj13ELNS0_17block_load_methodE3ELS4_3ELS4_3ELNS0_20block_scan_algorithmE0ELj4294967295EEENS1_25partition_config_selectorILNS1_17partition_subalgoE4EjNS0_10empty_typeEbEEZZNS1_14partition_implILS8_4ELb0ES6_15HIP_vector_typeIjLj2EENS0_17counting_iteratorIjlEEPS9_SG_NS0_5tupleIJPjSI_NS0_16reverse_iteratorISI_EEEEENSH_IJSG_SG_SG_EEES9_SI_JZNS1_25segmented_radix_sort_implINS0_14default_configELb0EPKiPiPKlPlN2at6native12_GLOBAL__N_18offset_tEEE10hipError_tPvRmT1_PNSt15iterator_traitsIS12_E10value_typeET2_T3_PNS13_IS18_E10value_typeET4_jRbjT5_S1E_jjP12ihipStream_tbEUljE_ZNSN_ISO_Lb0ESQ_SR_ST_SU_SY_EESZ_S10_S11_S12_S16_S17_S18_S1B_S1C_jS1D_jS1E_S1E_jjS1G_bEUljE0_EEESZ_S10_S11_S18_S1C_S1E_T6_T7_T9_mT8_S1G_bDpT10_ENKUlT_T0_E_clISt17integral_constantIbLb1EES1T_IbLb0EEEEDaS1P_S1Q_EUlS1P_E_NS1_11comp_targetILNS1_3genE2ELNS1_11target_archE906ELNS1_3gpuE6ELNS1_3repE0EEENS1_30default_config_static_selectorELNS0_4arch9wavefront6targetE0EEEvS12_
; %bb.0:
	.section	.rodata,"a",@progbits
	.p2align	6, 0x0
	.amdhsa_kernel _ZN7rocprim17ROCPRIM_400000_NS6detail17trampoline_kernelINS0_13select_configILj256ELj13ELNS0_17block_load_methodE3ELS4_3ELS4_3ELNS0_20block_scan_algorithmE0ELj4294967295EEENS1_25partition_config_selectorILNS1_17partition_subalgoE4EjNS0_10empty_typeEbEEZZNS1_14partition_implILS8_4ELb0ES6_15HIP_vector_typeIjLj2EENS0_17counting_iteratorIjlEEPS9_SG_NS0_5tupleIJPjSI_NS0_16reverse_iteratorISI_EEEEENSH_IJSG_SG_SG_EEES9_SI_JZNS1_25segmented_radix_sort_implINS0_14default_configELb0EPKiPiPKlPlN2at6native12_GLOBAL__N_18offset_tEEE10hipError_tPvRmT1_PNSt15iterator_traitsIS12_E10value_typeET2_T3_PNS13_IS18_E10value_typeET4_jRbjT5_S1E_jjP12ihipStream_tbEUljE_ZNSN_ISO_Lb0ESQ_SR_ST_SU_SY_EESZ_S10_S11_S12_S16_S17_S18_S1B_S1C_jS1D_jS1E_S1E_jjS1G_bEUljE0_EEESZ_S10_S11_S18_S1C_S1E_T6_T7_T9_mT8_S1G_bDpT10_ENKUlT_T0_E_clISt17integral_constantIbLb1EES1T_IbLb0EEEEDaS1P_S1Q_EUlS1P_E_NS1_11comp_targetILNS1_3genE2ELNS1_11target_archE906ELNS1_3gpuE6ELNS1_3repE0EEENS1_30default_config_static_selectorELNS0_4arch9wavefront6targetE0EEEvS12_
		.amdhsa_group_segment_fixed_size 0
		.amdhsa_private_segment_fixed_size 0
		.amdhsa_kernarg_size 176
		.amdhsa_user_sgpr_count 2
		.amdhsa_user_sgpr_dispatch_ptr 0
		.amdhsa_user_sgpr_queue_ptr 0
		.amdhsa_user_sgpr_kernarg_segment_ptr 1
		.amdhsa_user_sgpr_dispatch_id 0
		.amdhsa_user_sgpr_kernarg_preload_length 0
		.amdhsa_user_sgpr_kernarg_preload_offset 0
		.amdhsa_user_sgpr_private_segment_size 0
		.amdhsa_wavefront_size32 1
		.amdhsa_uses_dynamic_stack 0
		.amdhsa_enable_private_segment 0
		.amdhsa_system_sgpr_workgroup_id_x 1
		.amdhsa_system_sgpr_workgroup_id_y 0
		.amdhsa_system_sgpr_workgroup_id_z 0
		.amdhsa_system_sgpr_workgroup_info 0
		.amdhsa_system_vgpr_workitem_id 0
		.amdhsa_next_free_vgpr 1
		.amdhsa_next_free_sgpr 1
		.amdhsa_named_barrier_count 0
		.amdhsa_reserve_vcc 0
		.amdhsa_float_round_mode_32 0
		.amdhsa_float_round_mode_16_64 0
		.amdhsa_float_denorm_mode_32 3
		.amdhsa_float_denorm_mode_16_64 3
		.amdhsa_fp16_overflow 0
		.amdhsa_memory_ordered 1
		.amdhsa_forward_progress 1
		.amdhsa_inst_pref_size 0
		.amdhsa_round_robin_scheduling 0
		.amdhsa_exception_fp_ieee_invalid_op 0
		.amdhsa_exception_fp_denorm_src 0
		.amdhsa_exception_fp_ieee_div_zero 0
		.amdhsa_exception_fp_ieee_overflow 0
		.amdhsa_exception_fp_ieee_underflow 0
		.amdhsa_exception_fp_ieee_inexact 0
		.amdhsa_exception_int_div_zero 0
	.end_amdhsa_kernel
	.section	.text._ZN7rocprim17ROCPRIM_400000_NS6detail17trampoline_kernelINS0_13select_configILj256ELj13ELNS0_17block_load_methodE3ELS4_3ELS4_3ELNS0_20block_scan_algorithmE0ELj4294967295EEENS1_25partition_config_selectorILNS1_17partition_subalgoE4EjNS0_10empty_typeEbEEZZNS1_14partition_implILS8_4ELb0ES6_15HIP_vector_typeIjLj2EENS0_17counting_iteratorIjlEEPS9_SG_NS0_5tupleIJPjSI_NS0_16reverse_iteratorISI_EEEEENSH_IJSG_SG_SG_EEES9_SI_JZNS1_25segmented_radix_sort_implINS0_14default_configELb0EPKiPiPKlPlN2at6native12_GLOBAL__N_18offset_tEEE10hipError_tPvRmT1_PNSt15iterator_traitsIS12_E10value_typeET2_T3_PNS13_IS18_E10value_typeET4_jRbjT5_S1E_jjP12ihipStream_tbEUljE_ZNSN_ISO_Lb0ESQ_SR_ST_SU_SY_EESZ_S10_S11_S12_S16_S17_S18_S1B_S1C_jS1D_jS1E_S1E_jjS1G_bEUljE0_EEESZ_S10_S11_S18_S1C_S1E_T6_T7_T9_mT8_S1G_bDpT10_ENKUlT_T0_E_clISt17integral_constantIbLb1EES1T_IbLb0EEEEDaS1P_S1Q_EUlS1P_E_NS1_11comp_targetILNS1_3genE2ELNS1_11target_archE906ELNS1_3gpuE6ELNS1_3repE0EEENS1_30default_config_static_selectorELNS0_4arch9wavefront6targetE0EEEvS12_,"axG",@progbits,_ZN7rocprim17ROCPRIM_400000_NS6detail17trampoline_kernelINS0_13select_configILj256ELj13ELNS0_17block_load_methodE3ELS4_3ELS4_3ELNS0_20block_scan_algorithmE0ELj4294967295EEENS1_25partition_config_selectorILNS1_17partition_subalgoE4EjNS0_10empty_typeEbEEZZNS1_14partition_implILS8_4ELb0ES6_15HIP_vector_typeIjLj2EENS0_17counting_iteratorIjlEEPS9_SG_NS0_5tupleIJPjSI_NS0_16reverse_iteratorISI_EEEEENSH_IJSG_SG_SG_EEES9_SI_JZNS1_25segmented_radix_sort_implINS0_14default_configELb0EPKiPiPKlPlN2at6native12_GLOBAL__N_18offset_tEEE10hipError_tPvRmT1_PNSt15iterator_traitsIS12_E10value_typeET2_T3_PNS13_IS18_E10value_typeET4_jRbjT5_S1E_jjP12ihipStream_tbEUljE_ZNSN_ISO_Lb0ESQ_SR_ST_SU_SY_EESZ_S10_S11_S12_S16_S17_S18_S1B_S1C_jS1D_jS1E_S1E_jjS1G_bEUljE0_EEESZ_S10_S11_S18_S1C_S1E_T6_T7_T9_mT8_S1G_bDpT10_ENKUlT_T0_E_clISt17integral_constantIbLb1EES1T_IbLb0EEEEDaS1P_S1Q_EUlS1P_E_NS1_11comp_targetILNS1_3genE2ELNS1_11target_archE906ELNS1_3gpuE6ELNS1_3repE0EEENS1_30default_config_static_selectorELNS0_4arch9wavefront6targetE0EEEvS12_,comdat
.Lfunc_end552:
	.size	_ZN7rocprim17ROCPRIM_400000_NS6detail17trampoline_kernelINS0_13select_configILj256ELj13ELNS0_17block_load_methodE3ELS4_3ELS4_3ELNS0_20block_scan_algorithmE0ELj4294967295EEENS1_25partition_config_selectorILNS1_17partition_subalgoE4EjNS0_10empty_typeEbEEZZNS1_14partition_implILS8_4ELb0ES6_15HIP_vector_typeIjLj2EENS0_17counting_iteratorIjlEEPS9_SG_NS0_5tupleIJPjSI_NS0_16reverse_iteratorISI_EEEEENSH_IJSG_SG_SG_EEES9_SI_JZNS1_25segmented_radix_sort_implINS0_14default_configELb0EPKiPiPKlPlN2at6native12_GLOBAL__N_18offset_tEEE10hipError_tPvRmT1_PNSt15iterator_traitsIS12_E10value_typeET2_T3_PNS13_IS18_E10value_typeET4_jRbjT5_S1E_jjP12ihipStream_tbEUljE_ZNSN_ISO_Lb0ESQ_SR_ST_SU_SY_EESZ_S10_S11_S12_S16_S17_S18_S1B_S1C_jS1D_jS1E_S1E_jjS1G_bEUljE0_EEESZ_S10_S11_S18_S1C_S1E_T6_T7_T9_mT8_S1G_bDpT10_ENKUlT_T0_E_clISt17integral_constantIbLb1EES1T_IbLb0EEEEDaS1P_S1Q_EUlS1P_E_NS1_11comp_targetILNS1_3genE2ELNS1_11target_archE906ELNS1_3gpuE6ELNS1_3repE0EEENS1_30default_config_static_selectorELNS0_4arch9wavefront6targetE0EEEvS12_, .Lfunc_end552-_ZN7rocprim17ROCPRIM_400000_NS6detail17trampoline_kernelINS0_13select_configILj256ELj13ELNS0_17block_load_methodE3ELS4_3ELS4_3ELNS0_20block_scan_algorithmE0ELj4294967295EEENS1_25partition_config_selectorILNS1_17partition_subalgoE4EjNS0_10empty_typeEbEEZZNS1_14partition_implILS8_4ELb0ES6_15HIP_vector_typeIjLj2EENS0_17counting_iteratorIjlEEPS9_SG_NS0_5tupleIJPjSI_NS0_16reverse_iteratorISI_EEEEENSH_IJSG_SG_SG_EEES9_SI_JZNS1_25segmented_radix_sort_implINS0_14default_configELb0EPKiPiPKlPlN2at6native12_GLOBAL__N_18offset_tEEE10hipError_tPvRmT1_PNSt15iterator_traitsIS12_E10value_typeET2_T3_PNS13_IS18_E10value_typeET4_jRbjT5_S1E_jjP12ihipStream_tbEUljE_ZNSN_ISO_Lb0ESQ_SR_ST_SU_SY_EESZ_S10_S11_S12_S16_S17_S18_S1B_S1C_jS1D_jS1E_S1E_jjS1G_bEUljE0_EEESZ_S10_S11_S18_S1C_S1E_T6_T7_T9_mT8_S1G_bDpT10_ENKUlT_T0_E_clISt17integral_constantIbLb1EES1T_IbLb0EEEEDaS1P_S1Q_EUlS1P_E_NS1_11comp_targetILNS1_3genE2ELNS1_11target_archE906ELNS1_3gpuE6ELNS1_3repE0EEENS1_30default_config_static_selectorELNS0_4arch9wavefront6targetE0EEEvS12_
                                        ; -- End function
	.set _ZN7rocprim17ROCPRIM_400000_NS6detail17trampoline_kernelINS0_13select_configILj256ELj13ELNS0_17block_load_methodE3ELS4_3ELS4_3ELNS0_20block_scan_algorithmE0ELj4294967295EEENS1_25partition_config_selectorILNS1_17partition_subalgoE4EjNS0_10empty_typeEbEEZZNS1_14partition_implILS8_4ELb0ES6_15HIP_vector_typeIjLj2EENS0_17counting_iteratorIjlEEPS9_SG_NS0_5tupleIJPjSI_NS0_16reverse_iteratorISI_EEEEENSH_IJSG_SG_SG_EEES9_SI_JZNS1_25segmented_radix_sort_implINS0_14default_configELb0EPKiPiPKlPlN2at6native12_GLOBAL__N_18offset_tEEE10hipError_tPvRmT1_PNSt15iterator_traitsIS12_E10value_typeET2_T3_PNS13_IS18_E10value_typeET4_jRbjT5_S1E_jjP12ihipStream_tbEUljE_ZNSN_ISO_Lb0ESQ_SR_ST_SU_SY_EESZ_S10_S11_S12_S16_S17_S18_S1B_S1C_jS1D_jS1E_S1E_jjS1G_bEUljE0_EEESZ_S10_S11_S18_S1C_S1E_T6_T7_T9_mT8_S1G_bDpT10_ENKUlT_T0_E_clISt17integral_constantIbLb1EES1T_IbLb0EEEEDaS1P_S1Q_EUlS1P_E_NS1_11comp_targetILNS1_3genE2ELNS1_11target_archE906ELNS1_3gpuE6ELNS1_3repE0EEENS1_30default_config_static_selectorELNS0_4arch9wavefront6targetE0EEEvS12_.num_vgpr, 0
	.set _ZN7rocprim17ROCPRIM_400000_NS6detail17trampoline_kernelINS0_13select_configILj256ELj13ELNS0_17block_load_methodE3ELS4_3ELS4_3ELNS0_20block_scan_algorithmE0ELj4294967295EEENS1_25partition_config_selectorILNS1_17partition_subalgoE4EjNS0_10empty_typeEbEEZZNS1_14partition_implILS8_4ELb0ES6_15HIP_vector_typeIjLj2EENS0_17counting_iteratorIjlEEPS9_SG_NS0_5tupleIJPjSI_NS0_16reverse_iteratorISI_EEEEENSH_IJSG_SG_SG_EEES9_SI_JZNS1_25segmented_radix_sort_implINS0_14default_configELb0EPKiPiPKlPlN2at6native12_GLOBAL__N_18offset_tEEE10hipError_tPvRmT1_PNSt15iterator_traitsIS12_E10value_typeET2_T3_PNS13_IS18_E10value_typeET4_jRbjT5_S1E_jjP12ihipStream_tbEUljE_ZNSN_ISO_Lb0ESQ_SR_ST_SU_SY_EESZ_S10_S11_S12_S16_S17_S18_S1B_S1C_jS1D_jS1E_S1E_jjS1G_bEUljE0_EEESZ_S10_S11_S18_S1C_S1E_T6_T7_T9_mT8_S1G_bDpT10_ENKUlT_T0_E_clISt17integral_constantIbLb1EES1T_IbLb0EEEEDaS1P_S1Q_EUlS1P_E_NS1_11comp_targetILNS1_3genE2ELNS1_11target_archE906ELNS1_3gpuE6ELNS1_3repE0EEENS1_30default_config_static_selectorELNS0_4arch9wavefront6targetE0EEEvS12_.num_agpr, 0
	.set _ZN7rocprim17ROCPRIM_400000_NS6detail17trampoline_kernelINS0_13select_configILj256ELj13ELNS0_17block_load_methodE3ELS4_3ELS4_3ELNS0_20block_scan_algorithmE0ELj4294967295EEENS1_25partition_config_selectorILNS1_17partition_subalgoE4EjNS0_10empty_typeEbEEZZNS1_14partition_implILS8_4ELb0ES6_15HIP_vector_typeIjLj2EENS0_17counting_iteratorIjlEEPS9_SG_NS0_5tupleIJPjSI_NS0_16reverse_iteratorISI_EEEEENSH_IJSG_SG_SG_EEES9_SI_JZNS1_25segmented_radix_sort_implINS0_14default_configELb0EPKiPiPKlPlN2at6native12_GLOBAL__N_18offset_tEEE10hipError_tPvRmT1_PNSt15iterator_traitsIS12_E10value_typeET2_T3_PNS13_IS18_E10value_typeET4_jRbjT5_S1E_jjP12ihipStream_tbEUljE_ZNSN_ISO_Lb0ESQ_SR_ST_SU_SY_EESZ_S10_S11_S12_S16_S17_S18_S1B_S1C_jS1D_jS1E_S1E_jjS1G_bEUljE0_EEESZ_S10_S11_S18_S1C_S1E_T6_T7_T9_mT8_S1G_bDpT10_ENKUlT_T0_E_clISt17integral_constantIbLb1EES1T_IbLb0EEEEDaS1P_S1Q_EUlS1P_E_NS1_11comp_targetILNS1_3genE2ELNS1_11target_archE906ELNS1_3gpuE6ELNS1_3repE0EEENS1_30default_config_static_selectorELNS0_4arch9wavefront6targetE0EEEvS12_.numbered_sgpr, 0
	.set _ZN7rocprim17ROCPRIM_400000_NS6detail17trampoline_kernelINS0_13select_configILj256ELj13ELNS0_17block_load_methodE3ELS4_3ELS4_3ELNS0_20block_scan_algorithmE0ELj4294967295EEENS1_25partition_config_selectorILNS1_17partition_subalgoE4EjNS0_10empty_typeEbEEZZNS1_14partition_implILS8_4ELb0ES6_15HIP_vector_typeIjLj2EENS0_17counting_iteratorIjlEEPS9_SG_NS0_5tupleIJPjSI_NS0_16reverse_iteratorISI_EEEEENSH_IJSG_SG_SG_EEES9_SI_JZNS1_25segmented_radix_sort_implINS0_14default_configELb0EPKiPiPKlPlN2at6native12_GLOBAL__N_18offset_tEEE10hipError_tPvRmT1_PNSt15iterator_traitsIS12_E10value_typeET2_T3_PNS13_IS18_E10value_typeET4_jRbjT5_S1E_jjP12ihipStream_tbEUljE_ZNSN_ISO_Lb0ESQ_SR_ST_SU_SY_EESZ_S10_S11_S12_S16_S17_S18_S1B_S1C_jS1D_jS1E_S1E_jjS1G_bEUljE0_EEESZ_S10_S11_S18_S1C_S1E_T6_T7_T9_mT8_S1G_bDpT10_ENKUlT_T0_E_clISt17integral_constantIbLb1EES1T_IbLb0EEEEDaS1P_S1Q_EUlS1P_E_NS1_11comp_targetILNS1_3genE2ELNS1_11target_archE906ELNS1_3gpuE6ELNS1_3repE0EEENS1_30default_config_static_selectorELNS0_4arch9wavefront6targetE0EEEvS12_.num_named_barrier, 0
	.set _ZN7rocprim17ROCPRIM_400000_NS6detail17trampoline_kernelINS0_13select_configILj256ELj13ELNS0_17block_load_methodE3ELS4_3ELS4_3ELNS0_20block_scan_algorithmE0ELj4294967295EEENS1_25partition_config_selectorILNS1_17partition_subalgoE4EjNS0_10empty_typeEbEEZZNS1_14partition_implILS8_4ELb0ES6_15HIP_vector_typeIjLj2EENS0_17counting_iteratorIjlEEPS9_SG_NS0_5tupleIJPjSI_NS0_16reverse_iteratorISI_EEEEENSH_IJSG_SG_SG_EEES9_SI_JZNS1_25segmented_radix_sort_implINS0_14default_configELb0EPKiPiPKlPlN2at6native12_GLOBAL__N_18offset_tEEE10hipError_tPvRmT1_PNSt15iterator_traitsIS12_E10value_typeET2_T3_PNS13_IS18_E10value_typeET4_jRbjT5_S1E_jjP12ihipStream_tbEUljE_ZNSN_ISO_Lb0ESQ_SR_ST_SU_SY_EESZ_S10_S11_S12_S16_S17_S18_S1B_S1C_jS1D_jS1E_S1E_jjS1G_bEUljE0_EEESZ_S10_S11_S18_S1C_S1E_T6_T7_T9_mT8_S1G_bDpT10_ENKUlT_T0_E_clISt17integral_constantIbLb1EES1T_IbLb0EEEEDaS1P_S1Q_EUlS1P_E_NS1_11comp_targetILNS1_3genE2ELNS1_11target_archE906ELNS1_3gpuE6ELNS1_3repE0EEENS1_30default_config_static_selectorELNS0_4arch9wavefront6targetE0EEEvS12_.private_seg_size, 0
	.set _ZN7rocprim17ROCPRIM_400000_NS6detail17trampoline_kernelINS0_13select_configILj256ELj13ELNS0_17block_load_methodE3ELS4_3ELS4_3ELNS0_20block_scan_algorithmE0ELj4294967295EEENS1_25partition_config_selectorILNS1_17partition_subalgoE4EjNS0_10empty_typeEbEEZZNS1_14partition_implILS8_4ELb0ES6_15HIP_vector_typeIjLj2EENS0_17counting_iteratorIjlEEPS9_SG_NS0_5tupleIJPjSI_NS0_16reverse_iteratorISI_EEEEENSH_IJSG_SG_SG_EEES9_SI_JZNS1_25segmented_radix_sort_implINS0_14default_configELb0EPKiPiPKlPlN2at6native12_GLOBAL__N_18offset_tEEE10hipError_tPvRmT1_PNSt15iterator_traitsIS12_E10value_typeET2_T3_PNS13_IS18_E10value_typeET4_jRbjT5_S1E_jjP12ihipStream_tbEUljE_ZNSN_ISO_Lb0ESQ_SR_ST_SU_SY_EESZ_S10_S11_S12_S16_S17_S18_S1B_S1C_jS1D_jS1E_S1E_jjS1G_bEUljE0_EEESZ_S10_S11_S18_S1C_S1E_T6_T7_T9_mT8_S1G_bDpT10_ENKUlT_T0_E_clISt17integral_constantIbLb1EES1T_IbLb0EEEEDaS1P_S1Q_EUlS1P_E_NS1_11comp_targetILNS1_3genE2ELNS1_11target_archE906ELNS1_3gpuE6ELNS1_3repE0EEENS1_30default_config_static_selectorELNS0_4arch9wavefront6targetE0EEEvS12_.uses_vcc, 0
	.set _ZN7rocprim17ROCPRIM_400000_NS6detail17trampoline_kernelINS0_13select_configILj256ELj13ELNS0_17block_load_methodE3ELS4_3ELS4_3ELNS0_20block_scan_algorithmE0ELj4294967295EEENS1_25partition_config_selectorILNS1_17partition_subalgoE4EjNS0_10empty_typeEbEEZZNS1_14partition_implILS8_4ELb0ES6_15HIP_vector_typeIjLj2EENS0_17counting_iteratorIjlEEPS9_SG_NS0_5tupleIJPjSI_NS0_16reverse_iteratorISI_EEEEENSH_IJSG_SG_SG_EEES9_SI_JZNS1_25segmented_radix_sort_implINS0_14default_configELb0EPKiPiPKlPlN2at6native12_GLOBAL__N_18offset_tEEE10hipError_tPvRmT1_PNSt15iterator_traitsIS12_E10value_typeET2_T3_PNS13_IS18_E10value_typeET4_jRbjT5_S1E_jjP12ihipStream_tbEUljE_ZNSN_ISO_Lb0ESQ_SR_ST_SU_SY_EESZ_S10_S11_S12_S16_S17_S18_S1B_S1C_jS1D_jS1E_S1E_jjS1G_bEUljE0_EEESZ_S10_S11_S18_S1C_S1E_T6_T7_T9_mT8_S1G_bDpT10_ENKUlT_T0_E_clISt17integral_constantIbLb1EES1T_IbLb0EEEEDaS1P_S1Q_EUlS1P_E_NS1_11comp_targetILNS1_3genE2ELNS1_11target_archE906ELNS1_3gpuE6ELNS1_3repE0EEENS1_30default_config_static_selectorELNS0_4arch9wavefront6targetE0EEEvS12_.uses_flat_scratch, 0
	.set _ZN7rocprim17ROCPRIM_400000_NS6detail17trampoline_kernelINS0_13select_configILj256ELj13ELNS0_17block_load_methodE3ELS4_3ELS4_3ELNS0_20block_scan_algorithmE0ELj4294967295EEENS1_25partition_config_selectorILNS1_17partition_subalgoE4EjNS0_10empty_typeEbEEZZNS1_14partition_implILS8_4ELb0ES6_15HIP_vector_typeIjLj2EENS0_17counting_iteratorIjlEEPS9_SG_NS0_5tupleIJPjSI_NS0_16reverse_iteratorISI_EEEEENSH_IJSG_SG_SG_EEES9_SI_JZNS1_25segmented_radix_sort_implINS0_14default_configELb0EPKiPiPKlPlN2at6native12_GLOBAL__N_18offset_tEEE10hipError_tPvRmT1_PNSt15iterator_traitsIS12_E10value_typeET2_T3_PNS13_IS18_E10value_typeET4_jRbjT5_S1E_jjP12ihipStream_tbEUljE_ZNSN_ISO_Lb0ESQ_SR_ST_SU_SY_EESZ_S10_S11_S12_S16_S17_S18_S1B_S1C_jS1D_jS1E_S1E_jjS1G_bEUljE0_EEESZ_S10_S11_S18_S1C_S1E_T6_T7_T9_mT8_S1G_bDpT10_ENKUlT_T0_E_clISt17integral_constantIbLb1EES1T_IbLb0EEEEDaS1P_S1Q_EUlS1P_E_NS1_11comp_targetILNS1_3genE2ELNS1_11target_archE906ELNS1_3gpuE6ELNS1_3repE0EEENS1_30default_config_static_selectorELNS0_4arch9wavefront6targetE0EEEvS12_.has_dyn_sized_stack, 0
	.set _ZN7rocprim17ROCPRIM_400000_NS6detail17trampoline_kernelINS0_13select_configILj256ELj13ELNS0_17block_load_methodE3ELS4_3ELS4_3ELNS0_20block_scan_algorithmE0ELj4294967295EEENS1_25partition_config_selectorILNS1_17partition_subalgoE4EjNS0_10empty_typeEbEEZZNS1_14partition_implILS8_4ELb0ES6_15HIP_vector_typeIjLj2EENS0_17counting_iteratorIjlEEPS9_SG_NS0_5tupleIJPjSI_NS0_16reverse_iteratorISI_EEEEENSH_IJSG_SG_SG_EEES9_SI_JZNS1_25segmented_radix_sort_implINS0_14default_configELb0EPKiPiPKlPlN2at6native12_GLOBAL__N_18offset_tEEE10hipError_tPvRmT1_PNSt15iterator_traitsIS12_E10value_typeET2_T3_PNS13_IS18_E10value_typeET4_jRbjT5_S1E_jjP12ihipStream_tbEUljE_ZNSN_ISO_Lb0ESQ_SR_ST_SU_SY_EESZ_S10_S11_S12_S16_S17_S18_S1B_S1C_jS1D_jS1E_S1E_jjS1G_bEUljE0_EEESZ_S10_S11_S18_S1C_S1E_T6_T7_T9_mT8_S1G_bDpT10_ENKUlT_T0_E_clISt17integral_constantIbLb1EES1T_IbLb0EEEEDaS1P_S1Q_EUlS1P_E_NS1_11comp_targetILNS1_3genE2ELNS1_11target_archE906ELNS1_3gpuE6ELNS1_3repE0EEENS1_30default_config_static_selectorELNS0_4arch9wavefront6targetE0EEEvS12_.has_recursion, 0
	.set _ZN7rocprim17ROCPRIM_400000_NS6detail17trampoline_kernelINS0_13select_configILj256ELj13ELNS0_17block_load_methodE3ELS4_3ELS4_3ELNS0_20block_scan_algorithmE0ELj4294967295EEENS1_25partition_config_selectorILNS1_17partition_subalgoE4EjNS0_10empty_typeEbEEZZNS1_14partition_implILS8_4ELb0ES6_15HIP_vector_typeIjLj2EENS0_17counting_iteratorIjlEEPS9_SG_NS0_5tupleIJPjSI_NS0_16reverse_iteratorISI_EEEEENSH_IJSG_SG_SG_EEES9_SI_JZNS1_25segmented_radix_sort_implINS0_14default_configELb0EPKiPiPKlPlN2at6native12_GLOBAL__N_18offset_tEEE10hipError_tPvRmT1_PNSt15iterator_traitsIS12_E10value_typeET2_T3_PNS13_IS18_E10value_typeET4_jRbjT5_S1E_jjP12ihipStream_tbEUljE_ZNSN_ISO_Lb0ESQ_SR_ST_SU_SY_EESZ_S10_S11_S12_S16_S17_S18_S1B_S1C_jS1D_jS1E_S1E_jjS1G_bEUljE0_EEESZ_S10_S11_S18_S1C_S1E_T6_T7_T9_mT8_S1G_bDpT10_ENKUlT_T0_E_clISt17integral_constantIbLb1EES1T_IbLb0EEEEDaS1P_S1Q_EUlS1P_E_NS1_11comp_targetILNS1_3genE2ELNS1_11target_archE906ELNS1_3gpuE6ELNS1_3repE0EEENS1_30default_config_static_selectorELNS0_4arch9wavefront6targetE0EEEvS12_.has_indirect_call, 0
	.section	.AMDGPU.csdata,"",@progbits
; Kernel info:
; codeLenInByte = 0
; TotalNumSgprs: 0
; NumVgprs: 0
; ScratchSize: 0
; MemoryBound: 0
; FloatMode: 240
; IeeeMode: 1
; LDSByteSize: 0 bytes/workgroup (compile time only)
; SGPRBlocks: 0
; VGPRBlocks: 0
; NumSGPRsForWavesPerEU: 1
; NumVGPRsForWavesPerEU: 1
; NamedBarCnt: 0
; Occupancy: 16
; WaveLimiterHint : 0
; COMPUTE_PGM_RSRC2:SCRATCH_EN: 0
; COMPUTE_PGM_RSRC2:USER_SGPR: 2
; COMPUTE_PGM_RSRC2:TRAP_HANDLER: 0
; COMPUTE_PGM_RSRC2:TGID_X_EN: 1
; COMPUTE_PGM_RSRC2:TGID_Y_EN: 0
; COMPUTE_PGM_RSRC2:TGID_Z_EN: 0
; COMPUTE_PGM_RSRC2:TIDIG_COMP_CNT: 0
	.section	.text._ZN7rocprim17ROCPRIM_400000_NS6detail17trampoline_kernelINS0_13select_configILj256ELj13ELNS0_17block_load_methodE3ELS4_3ELS4_3ELNS0_20block_scan_algorithmE0ELj4294967295EEENS1_25partition_config_selectorILNS1_17partition_subalgoE4EjNS0_10empty_typeEbEEZZNS1_14partition_implILS8_4ELb0ES6_15HIP_vector_typeIjLj2EENS0_17counting_iteratorIjlEEPS9_SG_NS0_5tupleIJPjSI_NS0_16reverse_iteratorISI_EEEEENSH_IJSG_SG_SG_EEES9_SI_JZNS1_25segmented_radix_sort_implINS0_14default_configELb0EPKiPiPKlPlN2at6native12_GLOBAL__N_18offset_tEEE10hipError_tPvRmT1_PNSt15iterator_traitsIS12_E10value_typeET2_T3_PNS13_IS18_E10value_typeET4_jRbjT5_S1E_jjP12ihipStream_tbEUljE_ZNSN_ISO_Lb0ESQ_SR_ST_SU_SY_EESZ_S10_S11_S12_S16_S17_S18_S1B_S1C_jS1D_jS1E_S1E_jjS1G_bEUljE0_EEESZ_S10_S11_S18_S1C_S1E_T6_T7_T9_mT8_S1G_bDpT10_ENKUlT_T0_E_clISt17integral_constantIbLb1EES1T_IbLb0EEEEDaS1P_S1Q_EUlS1P_E_NS1_11comp_targetILNS1_3genE10ELNS1_11target_archE1200ELNS1_3gpuE4ELNS1_3repE0EEENS1_30default_config_static_selectorELNS0_4arch9wavefront6targetE0EEEvS12_,"axG",@progbits,_ZN7rocprim17ROCPRIM_400000_NS6detail17trampoline_kernelINS0_13select_configILj256ELj13ELNS0_17block_load_methodE3ELS4_3ELS4_3ELNS0_20block_scan_algorithmE0ELj4294967295EEENS1_25partition_config_selectorILNS1_17partition_subalgoE4EjNS0_10empty_typeEbEEZZNS1_14partition_implILS8_4ELb0ES6_15HIP_vector_typeIjLj2EENS0_17counting_iteratorIjlEEPS9_SG_NS0_5tupleIJPjSI_NS0_16reverse_iteratorISI_EEEEENSH_IJSG_SG_SG_EEES9_SI_JZNS1_25segmented_radix_sort_implINS0_14default_configELb0EPKiPiPKlPlN2at6native12_GLOBAL__N_18offset_tEEE10hipError_tPvRmT1_PNSt15iterator_traitsIS12_E10value_typeET2_T3_PNS13_IS18_E10value_typeET4_jRbjT5_S1E_jjP12ihipStream_tbEUljE_ZNSN_ISO_Lb0ESQ_SR_ST_SU_SY_EESZ_S10_S11_S12_S16_S17_S18_S1B_S1C_jS1D_jS1E_S1E_jjS1G_bEUljE0_EEESZ_S10_S11_S18_S1C_S1E_T6_T7_T9_mT8_S1G_bDpT10_ENKUlT_T0_E_clISt17integral_constantIbLb1EES1T_IbLb0EEEEDaS1P_S1Q_EUlS1P_E_NS1_11comp_targetILNS1_3genE10ELNS1_11target_archE1200ELNS1_3gpuE4ELNS1_3repE0EEENS1_30default_config_static_selectorELNS0_4arch9wavefront6targetE0EEEvS12_,comdat
	.globl	_ZN7rocprim17ROCPRIM_400000_NS6detail17trampoline_kernelINS0_13select_configILj256ELj13ELNS0_17block_load_methodE3ELS4_3ELS4_3ELNS0_20block_scan_algorithmE0ELj4294967295EEENS1_25partition_config_selectorILNS1_17partition_subalgoE4EjNS0_10empty_typeEbEEZZNS1_14partition_implILS8_4ELb0ES6_15HIP_vector_typeIjLj2EENS0_17counting_iteratorIjlEEPS9_SG_NS0_5tupleIJPjSI_NS0_16reverse_iteratorISI_EEEEENSH_IJSG_SG_SG_EEES9_SI_JZNS1_25segmented_radix_sort_implINS0_14default_configELb0EPKiPiPKlPlN2at6native12_GLOBAL__N_18offset_tEEE10hipError_tPvRmT1_PNSt15iterator_traitsIS12_E10value_typeET2_T3_PNS13_IS18_E10value_typeET4_jRbjT5_S1E_jjP12ihipStream_tbEUljE_ZNSN_ISO_Lb0ESQ_SR_ST_SU_SY_EESZ_S10_S11_S12_S16_S17_S18_S1B_S1C_jS1D_jS1E_S1E_jjS1G_bEUljE0_EEESZ_S10_S11_S18_S1C_S1E_T6_T7_T9_mT8_S1G_bDpT10_ENKUlT_T0_E_clISt17integral_constantIbLb1EES1T_IbLb0EEEEDaS1P_S1Q_EUlS1P_E_NS1_11comp_targetILNS1_3genE10ELNS1_11target_archE1200ELNS1_3gpuE4ELNS1_3repE0EEENS1_30default_config_static_selectorELNS0_4arch9wavefront6targetE0EEEvS12_ ; -- Begin function _ZN7rocprim17ROCPRIM_400000_NS6detail17trampoline_kernelINS0_13select_configILj256ELj13ELNS0_17block_load_methodE3ELS4_3ELS4_3ELNS0_20block_scan_algorithmE0ELj4294967295EEENS1_25partition_config_selectorILNS1_17partition_subalgoE4EjNS0_10empty_typeEbEEZZNS1_14partition_implILS8_4ELb0ES6_15HIP_vector_typeIjLj2EENS0_17counting_iteratorIjlEEPS9_SG_NS0_5tupleIJPjSI_NS0_16reverse_iteratorISI_EEEEENSH_IJSG_SG_SG_EEES9_SI_JZNS1_25segmented_radix_sort_implINS0_14default_configELb0EPKiPiPKlPlN2at6native12_GLOBAL__N_18offset_tEEE10hipError_tPvRmT1_PNSt15iterator_traitsIS12_E10value_typeET2_T3_PNS13_IS18_E10value_typeET4_jRbjT5_S1E_jjP12ihipStream_tbEUljE_ZNSN_ISO_Lb0ESQ_SR_ST_SU_SY_EESZ_S10_S11_S12_S16_S17_S18_S1B_S1C_jS1D_jS1E_S1E_jjS1G_bEUljE0_EEESZ_S10_S11_S18_S1C_S1E_T6_T7_T9_mT8_S1G_bDpT10_ENKUlT_T0_E_clISt17integral_constantIbLb1EES1T_IbLb0EEEEDaS1P_S1Q_EUlS1P_E_NS1_11comp_targetILNS1_3genE10ELNS1_11target_archE1200ELNS1_3gpuE4ELNS1_3repE0EEENS1_30default_config_static_selectorELNS0_4arch9wavefront6targetE0EEEvS12_
	.p2align	8
	.type	_ZN7rocprim17ROCPRIM_400000_NS6detail17trampoline_kernelINS0_13select_configILj256ELj13ELNS0_17block_load_methodE3ELS4_3ELS4_3ELNS0_20block_scan_algorithmE0ELj4294967295EEENS1_25partition_config_selectorILNS1_17partition_subalgoE4EjNS0_10empty_typeEbEEZZNS1_14partition_implILS8_4ELb0ES6_15HIP_vector_typeIjLj2EENS0_17counting_iteratorIjlEEPS9_SG_NS0_5tupleIJPjSI_NS0_16reverse_iteratorISI_EEEEENSH_IJSG_SG_SG_EEES9_SI_JZNS1_25segmented_radix_sort_implINS0_14default_configELb0EPKiPiPKlPlN2at6native12_GLOBAL__N_18offset_tEEE10hipError_tPvRmT1_PNSt15iterator_traitsIS12_E10value_typeET2_T3_PNS13_IS18_E10value_typeET4_jRbjT5_S1E_jjP12ihipStream_tbEUljE_ZNSN_ISO_Lb0ESQ_SR_ST_SU_SY_EESZ_S10_S11_S12_S16_S17_S18_S1B_S1C_jS1D_jS1E_S1E_jjS1G_bEUljE0_EEESZ_S10_S11_S18_S1C_S1E_T6_T7_T9_mT8_S1G_bDpT10_ENKUlT_T0_E_clISt17integral_constantIbLb1EES1T_IbLb0EEEEDaS1P_S1Q_EUlS1P_E_NS1_11comp_targetILNS1_3genE10ELNS1_11target_archE1200ELNS1_3gpuE4ELNS1_3repE0EEENS1_30default_config_static_selectorELNS0_4arch9wavefront6targetE0EEEvS12_,@function
_ZN7rocprim17ROCPRIM_400000_NS6detail17trampoline_kernelINS0_13select_configILj256ELj13ELNS0_17block_load_methodE3ELS4_3ELS4_3ELNS0_20block_scan_algorithmE0ELj4294967295EEENS1_25partition_config_selectorILNS1_17partition_subalgoE4EjNS0_10empty_typeEbEEZZNS1_14partition_implILS8_4ELb0ES6_15HIP_vector_typeIjLj2EENS0_17counting_iteratorIjlEEPS9_SG_NS0_5tupleIJPjSI_NS0_16reverse_iteratorISI_EEEEENSH_IJSG_SG_SG_EEES9_SI_JZNS1_25segmented_radix_sort_implINS0_14default_configELb0EPKiPiPKlPlN2at6native12_GLOBAL__N_18offset_tEEE10hipError_tPvRmT1_PNSt15iterator_traitsIS12_E10value_typeET2_T3_PNS13_IS18_E10value_typeET4_jRbjT5_S1E_jjP12ihipStream_tbEUljE_ZNSN_ISO_Lb0ESQ_SR_ST_SU_SY_EESZ_S10_S11_S12_S16_S17_S18_S1B_S1C_jS1D_jS1E_S1E_jjS1G_bEUljE0_EEESZ_S10_S11_S18_S1C_S1E_T6_T7_T9_mT8_S1G_bDpT10_ENKUlT_T0_E_clISt17integral_constantIbLb1EES1T_IbLb0EEEEDaS1P_S1Q_EUlS1P_E_NS1_11comp_targetILNS1_3genE10ELNS1_11target_archE1200ELNS1_3gpuE4ELNS1_3repE0EEENS1_30default_config_static_selectorELNS0_4arch9wavefront6targetE0EEEvS12_: ; @_ZN7rocprim17ROCPRIM_400000_NS6detail17trampoline_kernelINS0_13select_configILj256ELj13ELNS0_17block_load_methodE3ELS4_3ELS4_3ELNS0_20block_scan_algorithmE0ELj4294967295EEENS1_25partition_config_selectorILNS1_17partition_subalgoE4EjNS0_10empty_typeEbEEZZNS1_14partition_implILS8_4ELb0ES6_15HIP_vector_typeIjLj2EENS0_17counting_iteratorIjlEEPS9_SG_NS0_5tupleIJPjSI_NS0_16reverse_iteratorISI_EEEEENSH_IJSG_SG_SG_EEES9_SI_JZNS1_25segmented_radix_sort_implINS0_14default_configELb0EPKiPiPKlPlN2at6native12_GLOBAL__N_18offset_tEEE10hipError_tPvRmT1_PNSt15iterator_traitsIS12_E10value_typeET2_T3_PNS13_IS18_E10value_typeET4_jRbjT5_S1E_jjP12ihipStream_tbEUljE_ZNSN_ISO_Lb0ESQ_SR_ST_SU_SY_EESZ_S10_S11_S12_S16_S17_S18_S1B_S1C_jS1D_jS1E_S1E_jjS1G_bEUljE0_EEESZ_S10_S11_S18_S1C_S1E_T6_T7_T9_mT8_S1G_bDpT10_ENKUlT_T0_E_clISt17integral_constantIbLb1EES1T_IbLb0EEEEDaS1P_S1Q_EUlS1P_E_NS1_11comp_targetILNS1_3genE10ELNS1_11target_archE1200ELNS1_3gpuE4ELNS1_3repE0EEENS1_30default_config_static_selectorELNS0_4arch9wavefront6targetE0EEEvS12_
; %bb.0:
	.section	.rodata,"a",@progbits
	.p2align	6, 0x0
	.amdhsa_kernel _ZN7rocprim17ROCPRIM_400000_NS6detail17trampoline_kernelINS0_13select_configILj256ELj13ELNS0_17block_load_methodE3ELS4_3ELS4_3ELNS0_20block_scan_algorithmE0ELj4294967295EEENS1_25partition_config_selectorILNS1_17partition_subalgoE4EjNS0_10empty_typeEbEEZZNS1_14partition_implILS8_4ELb0ES6_15HIP_vector_typeIjLj2EENS0_17counting_iteratorIjlEEPS9_SG_NS0_5tupleIJPjSI_NS0_16reverse_iteratorISI_EEEEENSH_IJSG_SG_SG_EEES9_SI_JZNS1_25segmented_radix_sort_implINS0_14default_configELb0EPKiPiPKlPlN2at6native12_GLOBAL__N_18offset_tEEE10hipError_tPvRmT1_PNSt15iterator_traitsIS12_E10value_typeET2_T3_PNS13_IS18_E10value_typeET4_jRbjT5_S1E_jjP12ihipStream_tbEUljE_ZNSN_ISO_Lb0ESQ_SR_ST_SU_SY_EESZ_S10_S11_S12_S16_S17_S18_S1B_S1C_jS1D_jS1E_S1E_jjS1G_bEUljE0_EEESZ_S10_S11_S18_S1C_S1E_T6_T7_T9_mT8_S1G_bDpT10_ENKUlT_T0_E_clISt17integral_constantIbLb1EES1T_IbLb0EEEEDaS1P_S1Q_EUlS1P_E_NS1_11comp_targetILNS1_3genE10ELNS1_11target_archE1200ELNS1_3gpuE4ELNS1_3repE0EEENS1_30default_config_static_selectorELNS0_4arch9wavefront6targetE0EEEvS12_
		.amdhsa_group_segment_fixed_size 0
		.amdhsa_private_segment_fixed_size 0
		.amdhsa_kernarg_size 176
		.amdhsa_user_sgpr_count 2
		.amdhsa_user_sgpr_dispatch_ptr 0
		.amdhsa_user_sgpr_queue_ptr 0
		.amdhsa_user_sgpr_kernarg_segment_ptr 1
		.amdhsa_user_sgpr_dispatch_id 0
		.amdhsa_user_sgpr_kernarg_preload_length 0
		.amdhsa_user_sgpr_kernarg_preload_offset 0
		.amdhsa_user_sgpr_private_segment_size 0
		.amdhsa_wavefront_size32 1
		.amdhsa_uses_dynamic_stack 0
		.amdhsa_enable_private_segment 0
		.amdhsa_system_sgpr_workgroup_id_x 1
		.amdhsa_system_sgpr_workgroup_id_y 0
		.amdhsa_system_sgpr_workgroup_id_z 0
		.amdhsa_system_sgpr_workgroup_info 0
		.amdhsa_system_vgpr_workitem_id 0
		.amdhsa_next_free_vgpr 1
		.amdhsa_next_free_sgpr 1
		.amdhsa_named_barrier_count 0
		.amdhsa_reserve_vcc 0
		.amdhsa_float_round_mode_32 0
		.amdhsa_float_round_mode_16_64 0
		.amdhsa_float_denorm_mode_32 3
		.amdhsa_float_denorm_mode_16_64 3
		.amdhsa_fp16_overflow 0
		.amdhsa_memory_ordered 1
		.amdhsa_forward_progress 1
		.amdhsa_inst_pref_size 0
		.amdhsa_round_robin_scheduling 0
		.amdhsa_exception_fp_ieee_invalid_op 0
		.amdhsa_exception_fp_denorm_src 0
		.amdhsa_exception_fp_ieee_div_zero 0
		.amdhsa_exception_fp_ieee_overflow 0
		.amdhsa_exception_fp_ieee_underflow 0
		.amdhsa_exception_fp_ieee_inexact 0
		.amdhsa_exception_int_div_zero 0
	.end_amdhsa_kernel
	.section	.text._ZN7rocprim17ROCPRIM_400000_NS6detail17trampoline_kernelINS0_13select_configILj256ELj13ELNS0_17block_load_methodE3ELS4_3ELS4_3ELNS0_20block_scan_algorithmE0ELj4294967295EEENS1_25partition_config_selectorILNS1_17partition_subalgoE4EjNS0_10empty_typeEbEEZZNS1_14partition_implILS8_4ELb0ES6_15HIP_vector_typeIjLj2EENS0_17counting_iteratorIjlEEPS9_SG_NS0_5tupleIJPjSI_NS0_16reverse_iteratorISI_EEEEENSH_IJSG_SG_SG_EEES9_SI_JZNS1_25segmented_radix_sort_implINS0_14default_configELb0EPKiPiPKlPlN2at6native12_GLOBAL__N_18offset_tEEE10hipError_tPvRmT1_PNSt15iterator_traitsIS12_E10value_typeET2_T3_PNS13_IS18_E10value_typeET4_jRbjT5_S1E_jjP12ihipStream_tbEUljE_ZNSN_ISO_Lb0ESQ_SR_ST_SU_SY_EESZ_S10_S11_S12_S16_S17_S18_S1B_S1C_jS1D_jS1E_S1E_jjS1G_bEUljE0_EEESZ_S10_S11_S18_S1C_S1E_T6_T7_T9_mT8_S1G_bDpT10_ENKUlT_T0_E_clISt17integral_constantIbLb1EES1T_IbLb0EEEEDaS1P_S1Q_EUlS1P_E_NS1_11comp_targetILNS1_3genE10ELNS1_11target_archE1200ELNS1_3gpuE4ELNS1_3repE0EEENS1_30default_config_static_selectorELNS0_4arch9wavefront6targetE0EEEvS12_,"axG",@progbits,_ZN7rocprim17ROCPRIM_400000_NS6detail17trampoline_kernelINS0_13select_configILj256ELj13ELNS0_17block_load_methodE3ELS4_3ELS4_3ELNS0_20block_scan_algorithmE0ELj4294967295EEENS1_25partition_config_selectorILNS1_17partition_subalgoE4EjNS0_10empty_typeEbEEZZNS1_14partition_implILS8_4ELb0ES6_15HIP_vector_typeIjLj2EENS0_17counting_iteratorIjlEEPS9_SG_NS0_5tupleIJPjSI_NS0_16reverse_iteratorISI_EEEEENSH_IJSG_SG_SG_EEES9_SI_JZNS1_25segmented_radix_sort_implINS0_14default_configELb0EPKiPiPKlPlN2at6native12_GLOBAL__N_18offset_tEEE10hipError_tPvRmT1_PNSt15iterator_traitsIS12_E10value_typeET2_T3_PNS13_IS18_E10value_typeET4_jRbjT5_S1E_jjP12ihipStream_tbEUljE_ZNSN_ISO_Lb0ESQ_SR_ST_SU_SY_EESZ_S10_S11_S12_S16_S17_S18_S1B_S1C_jS1D_jS1E_S1E_jjS1G_bEUljE0_EEESZ_S10_S11_S18_S1C_S1E_T6_T7_T9_mT8_S1G_bDpT10_ENKUlT_T0_E_clISt17integral_constantIbLb1EES1T_IbLb0EEEEDaS1P_S1Q_EUlS1P_E_NS1_11comp_targetILNS1_3genE10ELNS1_11target_archE1200ELNS1_3gpuE4ELNS1_3repE0EEENS1_30default_config_static_selectorELNS0_4arch9wavefront6targetE0EEEvS12_,comdat
.Lfunc_end553:
	.size	_ZN7rocprim17ROCPRIM_400000_NS6detail17trampoline_kernelINS0_13select_configILj256ELj13ELNS0_17block_load_methodE3ELS4_3ELS4_3ELNS0_20block_scan_algorithmE0ELj4294967295EEENS1_25partition_config_selectorILNS1_17partition_subalgoE4EjNS0_10empty_typeEbEEZZNS1_14partition_implILS8_4ELb0ES6_15HIP_vector_typeIjLj2EENS0_17counting_iteratorIjlEEPS9_SG_NS0_5tupleIJPjSI_NS0_16reverse_iteratorISI_EEEEENSH_IJSG_SG_SG_EEES9_SI_JZNS1_25segmented_radix_sort_implINS0_14default_configELb0EPKiPiPKlPlN2at6native12_GLOBAL__N_18offset_tEEE10hipError_tPvRmT1_PNSt15iterator_traitsIS12_E10value_typeET2_T3_PNS13_IS18_E10value_typeET4_jRbjT5_S1E_jjP12ihipStream_tbEUljE_ZNSN_ISO_Lb0ESQ_SR_ST_SU_SY_EESZ_S10_S11_S12_S16_S17_S18_S1B_S1C_jS1D_jS1E_S1E_jjS1G_bEUljE0_EEESZ_S10_S11_S18_S1C_S1E_T6_T7_T9_mT8_S1G_bDpT10_ENKUlT_T0_E_clISt17integral_constantIbLb1EES1T_IbLb0EEEEDaS1P_S1Q_EUlS1P_E_NS1_11comp_targetILNS1_3genE10ELNS1_11target_archE1200ELNS1_3gpuE4ELNS1_3repE0EEENS1_30default_config_static_selectorELNS0_4arch9wavefront6targetE0EEEvS12_, .Lfunc_end553-_ZN7rocprim17ROCPRIM_400000_NS6detail17trampoline_kernelINS0_13select_configILj256ELj13ELNS0_17block_load_methodE3ELS4_3ELS4_3ELNS0_20block_scan_algorithmE0ELj4294967295EEENS1_25partition_config_selectorILNS1_17partition_subalgoE4EjNS0_10empty_typeEbEEZZNS1_14partition_implILS8_4ELb0ES6_15HIP_vector_typeIjLj2EENS0_17counting_iteratorIjlEEPS9_SG_NS0_5tupleIJPjSI_NS0_16reverse_iteratorISI_EEEEENSH_IJSG_SG_SG_EEES9_SI_JZNS1_25segmented_radix_sort_implINS0_14default_configELb0EPKiPiPKlPlN2at6native12_GLOBAL__N_18offset_tEEE10hipError_tPvRmT1_PNSt15iterator_traitsIS12_E10value_typeET2_T3_PNS13_IS18_E10value_typeET4_jRbjT5_S1E_jjP12ihipStream_tbEUljE_ZNSN_ISO_Lb0ESQ_SR_ST_SU_SY_EESZ_S10_S11_S12_S16_S17_S18_S1B_S1C_jS1D_jS1E_S1E_jjS1G_bEUljE0_EEESZ_S10_S11_S18_S1C_S1E_T6_T7_T9_mT8_S1G_bDpT10_ENKUlT_T0_E_clISt17integral_constantIbLb1EES1T_IbLb0EEEEDaS1P_S1Q_EUlS1P_E_NS1_11comp_targetILNS1_3genE10ELNS1_11target_archE1200ELNS1_3gpuE4ELNS1_3repE0EEENS1_30default_config_static_selectorELNS0_4arch9wavefront6targetE0EEEvS12_
                                        ; -- End function
	.set _ZN7rocprim17ROCPRIM_400000_NS6detail17trampoline_kernelINS0_13select_configILj256ELj13ELNS0_17block_load_methodE3ELS4_3ELS4_3ELNS0_20block_scan_algorithmE0ELj4294967295EEENS1_25partition_config_selectorILNS1_17partition_subalgoE4EjNS0_10empty_typeEbEEZZNS1_14partition_implILS8_4ELb0ES6_15HIP_vector_typeIjLj2EENS0_17counting_iteratorIjlEEPS9_SG_NS0_5tupleIJPjSI_NS0_16reverse_iteratorISI_EEEEENSH_IJSG_SG_SG_EEES9_SI_JZNS1_25segmented_radix_sort_implINS0_14default_configELb0EPKiPiPKlPlN2at6native12_GLOBAL__N_18offset_tEEE10hipError_tPvRmT1_PNSt15iterator_traitsIS12_E10value_typeET2_T3_PNS13_IS18_E10value_typeET4_jRbjT5_S1E_jjP12ihipStream_tbEUljE_ZNSN_ISO_Lb0ESQ_SR_ST_SU_SY_EESZ_S10_S11_S12_S16_S17_S18_S1B_S1C_jS1D_jS1E_S1E_jjS1G_bEUljE0_EEESZ_S10_S11_S18_S1C_S1E_T6_T7_T9_mT8_S1G_bDpT10_ENKUlT_T0_E_clISt17integral_constantIbLb1EES1T_IbLb0EEEEDaS1P_S1Q_EUlS1P_E_NS1_11comp_targetILNS1_3genE10ELNS1_11target_archE1200ELNS1_3gpuE4ELNS1_3repE0EEENS1_30default_config_static_selectorELNS0_4arch9wavefront6targetE0EEEvS12_.num_vgpr, 0
	.set _ZN7rocprim17ROCPRIM_400000_NS6detail17trampoline_kernelINS0_13select_configILj256ELj13ELNS0_17block_load_methodE3ELS4_3ELS4_3ELNS0_20block_scan_algorithmE0ELj4294967295EEENS1_25partition_config_selectorILNS1_17partition_subalgoE4EjNS0_10empty_typeEbEEZZNS1_14partition_implILS8_4ELb0ES6_15HIP_vector_typeIjLj2EENS0_17counting_iteratorIjlEEPS9_SG_NS0_5tupleIJPjSI_NS0_16reverse_iteratorISI_EEEEENSH_IJSG_SG_SG_EEES9_SI_JZNS1_25segmented_radix_sort_implINS0_14default_configELb0EPKiPiPKlPlN2at6native12_GLOBAL__N_18offset_tEEE10hipError_tPvRmT1_PNSt15iterator_traitsIS12_E10value_typeET2_T3_PNS13_IS18_E10value_typeET4_jRbjT5_S1E_jjP12ihipStream_tbEUljE_ZNSN_ISO_Lb0ESQ_SR_ST_SU_SY_EESZ_S10_S11_S12_S16_S17_S18_S1B_S1C_jS1D_jS1E_S1E_jjS1G_bEUljE0_EEESZ_S10_S11_S18_S1C_S1E_T6_T7_T9_mT8_S1G_bDpT10_ENKUlT_T0_E_clISt17integral_constantIbLb1EES1T_IbLb0EEEEDaS1P_S1Q_EUlS1P_E_NS1_11comp_targetILNS1_3genE10ELNS1_11target_archE1200ELNS1_3gpuE4ELNS1_3repE0EEENS1_30default_config_static_selectorELNS0_4arch9wavefront6targetE0EEEvS12_.num_agpr, 0
	.set _ZN7rocprim17ROCPRIM_400000_NS6detail17trampoline_kernelINS0_13select_configILj256ELj13ELNS0_17block_load_methodE3ELS4_3ELS4_3ELNS0_20block_scan_algorithmE0ELj4294967295EEENS1_25partition_config_selectorILNS1_17partition_subalgoE4EjNS0_10empty_typeEbEEZZNS1_14partition_implILS8_4ELb0ES6_15HIP_vector_typeIjLj2EENS0_17counting_iteratorIjlEEPS9_SG_NS0_5tupleIJPjSI_NS0_16reverse_iteratorISI_EEEEENSH_IJSG_SG_SG_EEES9_SI_JZNS1_25segmented_radix_sort_implINS0_14default_configELb0EPKiPiPKlPlN2at6native12_GLOBAL__N_18offset_tEEE10hipError_tPvRmT1_PNSt15iterator_traitsIS12_E10value_typeET2_T3_PNS13_IS18_E10value_typeET4_jRbjT5_S1E_jjP12ihipStream_tbEUljE_ZNSN_ISO_Lb0ESQ_SR_ST_SU_SY_EESZ_S10_S11_S12_S16_S17_S18_S1B_S1C_jS1D_jS1E_S1E_jjS1G_bEUljE0_EEESZ_S10_S11_S18_S1C_S1E_T6_T7_T9_mT8_S1G_bDpT10_ENKUlT_T0_E_clISt17integral_constantIbLb1EES1T_IbLb0EEEEDaS1P_S1Q_EUlS1P_E_NS1_11comp_targetILNS1_3genE10ELNS1_11target_archE1200ELNS1_3gpuE4ELNS1_3repE0EEENS1_30default_config_static_selectorELNS0_4arch9wavefront6targetE0EEEvS12_.numbered_sgpr, 0
	.set _ZN7rocprim17ROCPRIM_400000_NS6detail17trampoline_kernelINS0_13select_configILj256ELj13ELNS0_17block_load_methodE3ELS4_3ELS4_3ELNS0_20block_scan_algorithmE0ELj4294967295EEENS1_25partition_config_selectorILNS1_17partition_subalgoE4EjNS0_10empty_typeEbEEZZNS1_14partition_implILS8_4ELb0ES6_15HIP_vector_typeIjLj2EENS0_17counting_iteratorIjlEEPS9_SG_NS0_5tupleIJPjSI_NS0_16reverse_iteratorISI_EEEEENSH_IJSG_SG_SG_EEES9_SI_JZNS1_25segmented_radix_sort_implINS0_14default_configELb0EPKiPiPKlPlN2at6native12_GLOBAL__N_18offset_tEEE10hipError_tPvRmT1_PNSt15iterator_traitsIS12_E10value_typeET2_T3_PNS13_IS18_E10value_typeET4_jRbjT5_S1E_jjP12ihipStream_tbEUljE_ZNSN_ISO_Lb0ESQ_SR_ST_SU_SY_EESZ_S10_S11_S12_S16_S17_S18_S1B_S1C_jS1D_jS1E_S1E_jjS1G_bEUljE0_EEESZ_S10_S11_S18_S1C_S1E_T6_T7_T9_mT8_S1G_bDpT10_ENKUlT_T0_E_clISt17integral_constantIbLb1EES1T_IbLb0EEEEDaS1P_S1Q_EUlS1P_E_NS1_11comp_targetILNS1_3genE10ELNS1_11target_archE1200ELNS1_3gpuE4ELNS1_3repE0EEENS1_30default_config_static_selectorELNS0_4arch9wavefront6targetE0EEEvS12_.num_named_barrier, 0
	.set _ZN7rocprim17ROCPRIM_400000_NS6detail17trampoline_kernelINS0_13select_configILj256ELj13ELNS0_17block_load_methodE3ELS4_3ELS4_3ELNS0_20block_scan_algorithmE0ELj4294967295EEENS1_25partition_config_selectorILNS1_17partition_subalgoE4EjNS0_10empty_typeEbEEZZNS1_14partition_implILS8_4ELb0ES6_15HIP_vector_typeIjLj2EENS0_17counting_iteratorIjlEEPS9_SG_NS0_5tupleIJPjSI_NS0_16reverse_iteratorISI_EEEEENSH_IJSG_SG_SG_EEES9_SI_JZNS1_25segmented_radix_sort_implINS0_14default_configELb0EPKiPiPKlPlN2at6native12_GLOBAL__N_18offset_tEEE10hipError_tPvRmT1_PNSt15iterator_traitsIS12_E10value_typeET2_T3_PNS13_IS18_E10value_typeET4_jRbjT5_S1E_jjP12ihipStream_tbEUljE_ZNSN_ISO_Lb0ESQ_SR_ST_SU_SY_EESZ_S10_S11_S12_S16_S17_S18_S1B_S1C_jS1D_jS1E_S1E_jjS1G_bEUljE0_EEESZ_S10_S11_S18_S1C_S1E_T6_T7_T9_mT8_S1G_bDpT10_ENKUlT_T0_E_clISt17integral_constantIbLb1EES1T_IbLb0EEEEDaS1P_S1Q_EUlS1P_E_NS1_11comp_targetILNS1_3genE10ELNS1_11target_archE1200ELNS1_3gpuE4ELNS1_3repE0EEENS1_30default_config_static_selectorELNS0_4arch9wavefront6targetE0EEEvS12_.private_seg_size, 0
	.set _ZN7rocprim17ROCPRIM_400000_NS6detail17trampoline_kernelINS0_13select_configILj256ELj13ELNS0_17block_load_methodE3ELS4_3ELS4_3ELNS0_20block_scan_algorithmE0ELj4294967295EEENS1_25partition_config_selectorILNS1_17partition_subalgoE4EjNS0_10empty_typeEbEEZZNS1_14partition_implILS8_4ELb0ES6_15HIP_vector_typeIjLj2EENS0_17counting_iteratorIjlEEPS9_SG_NS0_5tupleIJPjSI_NS0_16reverse_iteratorISI_EEEEENSH_IJSG_SG_SG_EEES9_SI_JZNS1_25segmented_radix_sort_implINS0_14default_configELb0EPKiPiPKlPlN2at6native12_GLOBAL__N_18offset_tEEE10hipError_tPvRmT1_PNSt15iterator_traitsIS12_E10value_typeET2_T3_PNS13_IS18_E10value_typeET4_jRbjT5_S1E_jjP12ihipStream_tbEUljE_ZNSN_ISO_Lb0ESQ_SR_ST_SU_SY_EESZ_S10_S11_S12_S16_S17_S18_S1B_S1C_jS1D_jS1E_S1E_jjS1G_bEUljE0_EEESZ_S10_S11_S18_S1C_S1E_T6_T7_T9_mT8_S1G_bDpT10_ENKUlT_T0_E_clISt17integral_constantIbLb1EES1T_IbLb0EEEEDaS1P_S1Q_EUlS1P_E_NS1_11comp_targetILNS1_3genE10ELNS1_11target_archE1200ELNS1_3gpuE4ELNS1_3repE0EEENS1_30default_config_static_selectorELNS0_4arch9wavefront6targetE0EEEvS12_.uses_vcc, 0
	.set _ZN7rocprim17ROCPRIM_400000_NS6detail17trampoline_kernelINS0_13select_configILj256ELj13ELNS0_17block_load_methodE3ELS4_3ELS4_3ELNS0_20block_scan_algorithmE0ELj4294967295EEENS1_25partition_config_selectorILNS1_17partition_subalgoE4EjNS0_10empty_typeEbEEZZNS1_14partition_implILS8_4ELb0ES6_15HIP_vector_typeIjLj2EENS0_17counting_iteratorIjlEEPS9_SG_NS0_5tupleIJPjSI_NS0_16reverse_iteratorISI_EEEEENSH_IJSG_SG_SG_EEES9_SI_JZNS1_25segmented_radix_sort_implINS0_14default_configELb0EPKiPiPKlPlN2at6native12_GLOBAL__N_18offset_tEEE10hipError_tPvRmT1_PNSt15iterator_traitsIS12_E10value_typeET2_T3_PNS13_IS18_E10value_typeET4_jRbjT5_S1E_jjP12ihipStream_tbEUljE_ZNSN_ISO_Lb0ESQ_SR_ST_SU_SY_EESZ_S10_S11_S12_S16_S17_S18_S1B_S1C_jS1D_jS1E_S1E_jjS1G_bEUljE0_EEESZ_S10_S11_S18_S1C_S1E_T6_T7_T9_mT8_S1G_bDpT10_ENKUlT_T0_E_clISt17integral_constantIbLb1EES1T_IbLb0EEEEDaS1P_S1Q_EUlS1P_E_NS1_11comp_targetILNS1_3genE10ELNS1_11target_archE1200ELNS1_3gpuE4ELNS1_3repE0EEENS1_30default_config_static_selectorELNS0_4arch9wavefront6targetE0EEEvS12_.uses_flat_scratch, 0
	.set _ZN7rocprim17ROCPRIM_400000_NS6detail17trampoline_kernelINS0_13select_configILj256ELj13ELNS0_17block_load_methodE3ELS4_3ELS4_3ELNS0_20block_scan_algorithmE0ELj4294967295EEENS1_25partition_config_selectorILNS1_17partition_subalgoE4EjNS0_10empty_typeEbEEZZNS1_14partition_implILS8_4ELb0ES6_15HIP_vector_typeIjLj2EENS0_17counting_iteratorIjlEEPS9_SG_NS0_5tupleIJPjSI_NS0_16reverse_iteratorISI_EEEEENSH_IJSG_SG_SG_EEES9_SI_JZNS1_25segmented_radix_sort_implINS0_14default_configELb0EPKiPiPKlPlN2at6native12_GLOBAL__N_18offset_tEEE10hipError_tPvRmT1_PNSt15iterator_traitsIS12_E10value_typeET2_T3_PNS13_IS18_E10value_typeET4_jRbjT5_S1E_jjP12ihipStream_tbEUljE_ZNSN_ISO_Lb0ESQ_SR_ST_SU_SY_EESZ_S10_S11_S12_S16_S17_S18_S1B_S1C_jS1D_jS1E_S1E_jjS1G_bEUljE0_EEESZ_S10_S11_S18_S1C_S1E_T6_T7_T9_mT8_S1G_bDpT10_ENKUlT_T0_E_clISt17integral_constantIbLb1EES1T_IbLb0EEEEDaS1P_S1Q_EUlS1P_E_NS1_11comp_targetILNS1_3genE10ELNS1_11target_archE1200ELNS1_3gpuE4ELNS1_3repE0EEENS1_30default_config_static_selectorELNS0_4arch9wavefront6targetE0EEEvS12_.has_dyn_sized_stack, 0
	.set _ZN7rocprim17ROCPRIM_400000_NS6detail17trampoline_kernelINS0_13select_configILj256ELj13ELNS0_17block_load_methodE3ELS4_3ELS4_3ELNS0_20block_scan_algorithmE0ELj4294967295EEENS1_25partition_config_selectorILNS1_17partition_subalgoE4EjNS0_10empty_typeEbEEZZNS1_14partition_implILS8_4ELb0ES6_15HIP_vector_typeIjLj2EENS0_17counting_iteratorIjlEEPS9_SG_NS0_5tupleIJPjSI_NS0_16reverse_iteratorISI_EEEEENSH_IJSG_SG_SG_EEES9_SI_JZNS1_25segmented_radix_sort_implINS0_14default_configELb0EPKiPiPKlPlN2at6native12_GLOBAL__N_18offset_tEEE10hipError_tPvRmT1_PNSt15iterator_traitsIS12_E10value_typeET2_T3_PNS13_IS18_E10value_typeET4_jRbjT5_S1E_jjP12ihipStream_tbEUljE_ZNSN_ISO_Lb0ESQ_SR_ST_SU_SY_EESZ_S10_S11_S12_S16_S17_S18_S1B_S1C_jS1D_jS1E_S1E_jjS1G_bEUljE0_EEESZ_S10_S11_S18_S1C_S1E_T6_T7_T9_mT8_S1G_bDpT10_ENKUlT_T0_E_clISt17integral_constantIbLb1EES1T_IbLb0EEEEDaS1P_S1Q_EUlS1P_E_NS1_11comp_targetILNS1_3genE10ELNS1_11target_archE1200ELNS1_3gpuE4ELNS1_3repE0EEENS1_30default_config_static_selectorELNS0_4arch9wavefront6targetE0EEEvS12_.has_recursion, 0
	.set _ZN7rocprim17ROCPRIM_400000_NS6detail17trampoline_kernelINS0_13select_configILj256ELj13ELNS0_17block_load_methodE3ELS4_3ELS4_3ELNS0_20block_scan_algorithmE0ELj4294967295EEENS1_25partition_config_selectorILNS1_17partition_subalgoE4EjNS0_10empty_typeEbEEZZNS1_14partition_implILS8_4ELb0ES6_15HIP_vector_typeIjLj2EENS0_17counting_iteratorIjlEEPS9_SG_NS0_5tupleIJPjSI_NS0_16reverse_iteratorISI_EEEEENSH_IJSG_SG_SG_EEES9_SI_JZNS1_25segmented_radix_sort_implINS0_14default_configELb0EPKiPiPKlPlN2at6native12_GLOBAL__N_18offset_tEEE10hipError_tPvRmT1_PNSt15iterator_traitsIS12_E10value_typeET2_T3_PNS13_IS18_E10value_typeET4_jRbjT5_S1E_jjP12ihipStream_tbEUljE_ZNSN_ISO_Lb0ESQ_SR_ST_SU_SY_EESZ_S10_S11_S12_S16_S17_S18_S1B_S1C_jS1D_jS1E_S1E_jjS1G_bEUljE0_EEESZ_S10_S11_S18_S1C_S1E_T6_T7_T9_mT8_S1G_bDpT10_ENKUlT_T0_E_clISt17integral_constantIbLb1EES1T_IbLb0EEEEDaS1P_S1Q_EUlS1P_E_NS1_11comp_targetILNS1_3genE10ELNS1_11target_archE1200ELNS1_3gpuE4ELNS1_3repE0EEENS1_30default_config_static_selectorELNS0_4arch9wavefront6targetE0EEEvS12_.has_indirect_call, 0
	.section	.AMDGPU.csdata,"",@progbits
; Kernel info:
; codeLenInByte = 0
; TotalNumSgprs: 0
; NumVgprs: 0
; ScratchSize: 0
; MemoryBound: 0
; FloatMode: 240
; IeeeMode: 1
; LDSByteSize: 0 bytes/workgroup (compile time only)
; SGPRBlocks: 0
; VGPRBlocks: 0
; NumSGPRsForWavesPerEU: 1
; NumVGPRsForWavesPerEU: 1
; NamedBarCnt: 0
; Occupancy: 16
; WaveLimiterHint : 0
; COMPUTE_PGM_RSRC2:SCRATCH_EN: 0
; COMPUTE_PGM_RSRC2:USER_SGPR: 2
; COMPUTE_PGM_RSRC2:TRAP_HANDLER: 0
; COMPUTE_PGM_RSRC2:TGID_X_EN: 1
; COMPUTE_PGM_RSRC2:TGID_Y_EN: 0
; COMPUTE_PGM_RSRC2:TGID_Z_EN: 0
; COMPUTE_PGM_RSRC2:TIDIG_COMP_CNT: 0
	.section	.text._ZN7rocprim17ROCPRIM_400000_NS6detail17trampoline_kernelINS0_13select_configILj256ELj13ELNS0_17block_load_methodE3ELS4_3ELS4_3ELNS0_20block_scan_algorithmE0ELj4294967295EEENS1_25partition_config_selectorILNS1_17partition_subalgoE4EjNS0_10empty_typeEbEEZZNS1_14partition_implILS8_4ELb0ES6_15HIP_vector_typeIjLj2EENS0_17counting_iteratorIjlEEPS9_SG_NS0_5tupleIJPjSI_NS0_16reverse_iteratorISI_EEEEENSH_IJSG_SG_SG_EEES9_SI_JZNS1_25segmented_radix_sort_implINS0_14default_configELb0EPKiPiPKlPlN2at6native12_GLOBAL__N_18offset_tEEE10hipError_tPvRmT1_PNSt15iterator_traitsIS12_E10value_typeET2_T3_PNS13_IS18_E10value_typeET4_jRbjT5_S1E_jjP12ihipStream_tbEUljE_ZNSN_ISO_Lb0ESQ_SR_ST_SU_SY_EESZ_S10_S11_S12_S16_S17_S18_S1B_S1C_jS1D_jS1E_S1E_jjS1G_bEUljE0_EEESZ_S10_S11_S18_S1C_S1E_T6_T7_T9_mT8_S1G_bDpT10_ENKUlT_T0_E_clISt17integral_constantIbLb1EES1T_IbLb0EEEEDaS1P_S1Q_EUlS1P_E_NS1_11comp_targetILNS1_3genE9ELNS1_11target_archE1100ELNS1_3gpuE3ELNS1_3repE0EEENS1_30default_config_static_selectorELNS0_4arch9wavefront6targetE0EEEvS12_,"axG",@progbits,_ZN7rocprim17ROCPRIM_400000_NS6detail17trampoline_kernelINS0_13select_configILj256ELj13ELNS0_17block_load_methodE3ELS4_3ELS4_3ELNS0_20block_scan_algorithmE0ELj4294967295EEENS1_25partition_config_selectorILNS1_17partition_subalgoE4EjNS0_10empty_typeEbEEZZNS1_14partition_implILS8_4ELb0ES6_15HIP_vector_typeIjLj2EENS0_17counting_iteratorIjlEEPS9_SG_NS0_5tupleIJPjSI_NS0_16reverse_iteratorISI_EEEEENSH_IJSG_SG_SG_EEES9_SI_JZNS1_25segmented_radix_sort_implINS0_14default_configELb0EPKiPiPKlPlN2at6native12_GLOBAL__N_18offset_tEEE10hipError_tPvRmT1_PNSt15iterator_traitsIS12_E10value_typeET2_T3_PNS13_IS18_E10value_typeET4_jRbjT5_S1E_jjP12ihipStream_tbEUljE_ZNSN_ISO_Lb0ESQ_SR_ST_SU_SY_EESZ_S10_S11_S12_S16_S17_S18_S1B_S1C_jS1D_jS1E_S1E_jjS1G_bEUljE0_EEESZ_S10_S11_S18_S1C_S1E_T6_T7_T9_mT8_S1G_bDpT10_ENKUlT_T0_E_clISt17integral_constantIbLb1EES1T_IbLb0EEEEDaS1P_S1Q_EUlS1P_E_NS1_11comp_targetILNS1_3genE9ELNS1_11target_archE1100ELNS1_3gpuE3ELNS1_3repE0EEENS1_30default_config_static_selectorELNS0_4arch9wavefront6targetE0EEEvS12_,comdat
	.globl	_ZN7rocprim17ROCPRIM_400000_NS6detail17trampoline_kernelINS0_13select_configILj256ELj13ELNS0_17block_load_methodE3ELS4_3ELS4_3ELNS0_20block_scan_algorithmE0ELj4294967295EEENS1_25partition_config_selectorILNS1_17partition_subalgoE4EjNS0_10empty_typeEbEEZZNS1_14partition_implILS8_4ELb0ES6_15HIP_vector_typeIjLj2EENS0_17counting_iteratorIjlEEPS9_SG_NS0_5tupleIJPjSI_NS0_16reverse_iteratorISI_EEEEENSH_IJSG_SG_SG_EEES9_SI_JZNS1_25segmented_radix_sort_implINS0_14default_configELb0EPKiPiPKlPlN2at6native12_GLOBAL__N_18offset_tEEE10hipError_tPvRmT1_PNSt15iterator_traitsIS12_E10value_typeET2_T3_PNS13_IS18_E10value_typeET4_jRbjT5_S1E_jjP12ihipStream_tbEUljE_ZNSN_ISO_Lb0ESQ_SR_ST_SU_SY_EESZ_S10_S11_S12_S16_S17_S18_S1B_S1C_jS1D_jS1E_S1E_jjS1G_bEUljE0_EEESZ_S10_S11_S18_S1C_S1E_T6_T7_T9_mT8_S1G_bDpT10_ENKUlT_T0_E_clISt17integral_constantIbLb1EES1T_IbLb0EEEEDaS1P_S1Q_EUlS1P_E_NS1_11comp_targetILNS1_3genE9ELNS1_11target_archE1100ELNS1_3gpuE3ELNS1_3repE0EEENS1_30default_config_static_selectorELNS0_4arch9wavefront6targetE0EEEvS12_ ; -- Begin function _ZN7rocprim17ROCPRIM_400000_NS6detail17trampoline_kernelINS0_13select_configILj256ELj13ELNS0_17block_load_methodE3ELS4_3ELS4_3ELNS0_20block_scan_algorithmE0ELj4294967295EEENS1_25partition_config_selectorILNS1_17partition_subalgoE4EjNS0_10empty_typeEbEEZZNS1_14partition_implILS8_4ELb0ES6_15HIP_vector_typeIjLj2EENS0_17counting_iteratorIjlEEPS9_SG_NS0_5tupleIJPjSI_NS0_16reverse_iteratorISI_EEEEENSH_IJSG_SG_SG_EEES9_SI_JZNS1_25segmented_radix_sort_implINS0_14default_configELb0EPKiPiPKlPlN2at6native12_GLOBAL__N_18offset_tEEE10hipError_tPvRmT1_PNSt15iterator_traitsIS12_E10value_typeET2_T3_PNS13_IS18_E10value_typeET4_jRbjT5_S1E_jjP12ihipStream_tbEUljE_ZNSN_ISO_Lb0ESQ_SR_ST_SU_SY_EESZ_S10_S11_S12_S16_S17_S18_S1B_S1C_jS1D_jS1E_S1E_jjS1G_bEUljE0_EEESZ_S10_S11_S18_S1C_S1E_T6_T7_T9_mT8_S1G_bDpT10_ENKUlT_T0_E_clISt17integral_constantIbLb1EES1T_IbLb0EEEEDaS1P_S1Q_EUlS1P_E_NS1_11comp_targetILNS1_3genE9ELNS1_11target_archE1100ELNS1_3gpuE3ELNS1_3repE0EEENS1_30default_config_static_selectorELNS0_4arch9wavefront6targetE0EEEvS12_
	.p2align	8
	.type	_ZN7rocprim17ROCPRIM_400000_NS6detail17trampoline_kernelINS0_13select_configILj256ELj13ELNS0_17block_load_methodE3ELS4_3ELS4_3ELNS0_20block_scan_algorithmE0ELj4294967295EEENS1_25partition_config_selectorILNS1_17partition_subalgoE4EjNS0_10empty_typeEbEEZZNS1_14partition_implILS8_4ELb0ES6_15HIP_vector_typeIjLj2EENS0_17counting_iteratorIjlEEPS9_SG_NS0_5tupleIJPjSI_NS0_16reverse_iteratorISI_EEEEENSH_IJSG_SG_SG_EEES9_SI_JZNS1_25segmented_radix_sort_implINS0_14default_configELb0EPKiPiPKlPlN2at6native12_GLOBAL__N_18offset_tEEE10hipError_tPvRmT1_PNSt15iterator_traitsIS12_E10value_typeET2_T3_PNS13_IS18_E10value_typeET4_jRbjT5_S1E_jjP12ihipStream_tbEUljE_ZNSN_ISO_Lb0ESQ_SR_ST_SU_SY_EESZ_S10_S11_S12_S16_S17_S18_S1B_S1C_jS1D_jS1E_S1E_jjS1G_bEUljE0_EEESZ_S10_S11_S18_S1C_S1E_T6_T7_T9_mT8_S1G_bDpT10_ENKUlT_T0_E_clISt17integral_constantIbLb1EES1T_IbLb0EEEEDaS1P_S1Q_EUlS1P_E_NS1_11comp_targetILNS1_3genE9ELNS1_11target_archE1100ELNS1_3gpuE3ELNS1_3repE0EEENS1_30default_config_static_selectorELNS0_4arch9wavefront6targetE0EEEvS12_,@function
_ZN7rocprim17ROCPRIM_400000_NS6detail17trampoline_kernelINS0_13select_configILj256ELj13ELNS0_17block_load_methodE3ELS4_3ELS4_3ELNS0_20block_scan_algorithmE0ELj4294967295EEENS1_25partition_config_selectorILNS1_17partition_subalgoE4EjNS0_10empty_typeEbEEZZNS1_14partition_implILS8_4ELb0ES6_15HIP_vector_typeIjLj2EENS0_17counting_iteratorIjlEEPS9_SG_NS0_5tupleIJPjSI_NS0_16reverse_iteratorISI_EEEEENSH_IJSG_SG_SG_EEES9_SI_JZNS1_25segmented_radix_sort_implINS0_14default_configELb0EPKiPiPKlPlN2at6native12_GLOBAL__N_18offset_tEEE10hipError_tPvRmT1_PNSt15iterator_traitsIS12_E10value_typeET2_T3_PNS13_IS18_E10value_typeET4_jRbjT5_S1E_jjP12ihipStream_tbEUljE_ZNSN_ISO_Lb0ESQ_SR_ST_SU_SY_EESZ_S10_S11_S12_S16_S17_S18_S1B_S1C_jS1D_jS1E_S1E_jjS1G_bEUljE0_EEESZ_S10_S11_S18_S1C_S1E_T6_T7_T9_mT8_S1G_bDpT10_ENKUlT_T0_E_clISt17integral_constantIbLb1EES1T_IbLb0EEEEDaS1P_S1Q_EUlS1P_E_NS1_11comp_targetILNS1_3genE9ELNS1_11target_archE1100ELNS1_3gpuE3ELNS1_3repE0EEENS1_30default_config_static_selectorELNS0_4arch9wavefront6targetE0EEEvS12_: ; @_ZN7rocprim17ROCPRIM_400000_NS6detail17trampoline_kernelINS0_13select_configILj256ELj13ELNS0_17block_load_methodE3ELS4_3ELS4_3ELNS0_20block_scan_algorithmE0ELj4294967295EEENS1_25partition_config_selectorILNS1_17partition_subalgoE4EjNS0_10empty_typeEbEEZZNS1_14partition_implILS8_4ELb0ES6_15HIP_vector_typeIjLj2EENS0_17counting_iteratorIjlEEPS9_SG_NS0_5tupleIJPjSI_NS0_16reverse_iteratorISI_EEEEENSH_IJSG_SG_SG_EEES9_SI_JZNS1_25segmented_radix_sort_implINS0_14default_configELb0EPKiPiPKlPlN2at6native12_GLOBAL__N_18offset_tEEE10hipError_tPvRmT1_PNSt15iterator_traitsIS12_E10value_typeET2_T3_PNS13_IS18_E10value_typeET4_jRbjT5_S1E_jjP12ihipStream_tbEUljE_ZNSN_ISO_Lb0ESQ_SR_ST_SU_SY_EESZ_S10_S11_S12_S16_S17_S18_S1B_S1C_jS1D_jS1E_S1E_jjS1G_bEUljE0_EEESZ_S10_S11_S18_S1C_S1E_T6_T7_T9_mT8_S1G_bDpT10_ENKUlT_T0_E_clISt17integral_constantIbLb1EES1T_IbLb0EEEEDaS1P_S1Q_EUlS1P_E_NS1_11comp_targetILNS1_3genE9ELNS1_11target_archE1100ELNS1_3gpuE3ELNS1_3repE0EEENS1_30default_config_static_selectorELNS0_4arch9wavefront6targetE0EEEvS12_
; %bb.0:
	.section	.rodata,"a",@progbits
	.p2align	6, 0x0
	.amdhsa_kernel _ZN7rocprim17ROCPRIM_400000_NS6detail17trampoline_kernelINS0_13select_configILj256ELj13ELNS0_17block_load_methodE3ELS4_3ELS4_3ELNS0_20block_scan_algorithmE0ELj4294967295EEENS1_25partition_config_selectorILNS1_17partition_subalgoE4EjNS0_10empty_typeEbEEZZNS1_14partition_implILS8_4ELb0ES6_15HIP_vector_typeIjLj2EENS0_17counting_iteratorIjlEEPS9_SG_NS0_5tupleIJPjSI_NS0_16reverse_iteratorISI_EEEEENSH_IJSG_SG_SG_EEES9_SI_JZNS1_25segmented_radix_sort_implINS0_14default_configELb0EPKiPiPKlPlN2at6native12_GLOBAL__N_18offset_tEEE10hipError_tPvRmT1_PNSt15iterator_traitsIS12_E10value_typeET2_T3_PNS13_IS18_E10value_typeET4_jRbjT5_S1E_jjP12ihipStream_tbEUljE_ZNSN_ISO_Lb0ESQ_SR_ST_SU_SY_EESZ_S10_S11_S12_S16_S17_S18_S1B_S1C_jS1D_jS1E_S1E_jjS1G_bEUljE0_EEESZ_S10_S11_S18_S1C_S1E_T6_T7_T9_mT8_S1G_bDpT10_ENKUlT_T0_E_clISt17integral_constantIbLb1EES1T_IbLb0EEEEDaS1P_S1Q_EUlS1P_E_NS1_11comp_targetILNS1_3genE9ELNS1_11target_archE1100ELNS1_3gpuE3ELNS1_3repE0EEENS1_30default_config_static_selectorELNS0_4arch9wavefront6targetE0EEEvS12_
		.amdhsa_group_segment_fixed_size 0
		.amdhsa_private_segment_fixed_size 0
		.amdhsa_kernarg_size 176
		.amdhsa_user_sgpr_count 2
		.amdhsa_user_sgpr_dispatch_ptr 0
		.amdhsa_user_sgpr_queue_ptr 0
		.amdhsa_user_sgpr_kernarg_segment_ptr 1
		.amdhsa_user_sgpr_dispatch_id 0
		.amdhsa_user_sgpr_kernarg_preload_length 0
		.amdhsa_user_sgpr_kernarg_preload_offset 0
		.amdhsa_user_sgpr_private_segment_size 0
		.amdhsa_wavefront_size32 1
		.amdhsa_uses_dynamic_stack 0
		.amdhsa_enable_private_segment 0
		.amdhsa_system_sgpr_workgroup_id_x 1
		.amdhsa_system_sgpr_workgroup_id_y 0
		.amdhsa_system_sgpr_workgroup_id_z 0
		.amdhsa_system_sgpr_workgroup_info 0
		.amdhsa_system_vgpr_workitem_id 0
		.amdhsa_next_free_vgpr 1
		.amdhsa_next_free_sgpr 1
		.amdhsa_named_barrier_count 0
		.amdhsa_reserve_vcc 0
		.amdhsa_float_round_mode_32 0
		.amdhsa_float_round_mode_16_64 0
		.amdhsa_float_denorm_mode_32 3
		.amdhsa_float_denorm_mode_16_64 3
		.amdhsa_fp16_overflow 0
		.amdhsa_memory_ordered 1
		.amdhsa_forward_progress 1
		.amdhsa_inst_pref_size 0
		.amdhsa_round_robin_scheduling 0
		.amdhsa_exception_fp_ieee_invalid_op 0
		.amdhsa_exception_fp_denorm_src 0
		.amdhsa_exception_fp_ieee_div_zero 0
		.amdhsa_exception_fp_ieee_overflow 0
		.amdhsa_exception_fp_ieee_underflow 0
		.amdhsa_exception_fp_ieee_inexact 0
		.amdhsa_exception_int_div_zero 0
	.end_amdhsa_kernel
	.section	.text._ZN7rocprim17ROCPRIM_400000_NS6detail17trampoline_kernelINS0_13select_configILj256ELj13ELNS0_17block_load_methodE3ELS4_3ELS4_3ELNS0_20block_scan_algorithmE0ELj4294967295EEENS1_25partition_config_selectorILNS1_17partition_subalgoE4EjNS0_10empty_typeEbEEZZNS1_14partition_implILS8_4ELb0ES6_15HIP_vector_typeIjLj2EENS0_17counting_iteratorIjlEEPS9_SG_NS0_5tupleIJPjSI_NS0_16reverse_iteratorISI_EEEEENSH_IJSG_SG_SG_EEES9_SI_JZNS1_25segmented_radix_sort_implINS0_14default_configELb0EPKiPiPKlPlN2at6native12_GLOBAL__N_18offset_tEEE10hipError_tPvRmT1_PNSt15iterator_traitsIS12_E10value_typeET2_T3_PNS13_IS18_E10value_typeET4_jRbjT5_S1E_jjP12ihipStream_tbEUljE_ZNSN_ISO_Lb0ESQ_SR_ST_SU_SY_EESZ_S10_S11_S12_S16_S17_S18_S1B_S1C_jS1D_jS1E_S1E_jjS1G_bEUljE0_EEESZ_S10_S11_S18_S1C_S1E_T6_T7_T9_mT8_S1G_bDpT10_ENKUlT_T0_E_clISt17integral_constantIbLb1EES1T_IbLb0EEEEDaS1P_S1Q_EUlS1P_E_NS1_11comp_targetILNS1_3genE9ELNS1_11target_archE1100ELNS1_3gpuE3ELNS1_3repE0EEENS1_30default_config_static_selectorELNS0_4arch9wavefront6targetE0EEEvS12_,"axG",@progbits,_ZN7rocprim17ROCPRIM_400000_NS6detail17trampoline_kernelINS0_13select_configILj256ELj13ELNS0_17block_load_methodE3ELS4_3ELS4_3ELNS0_20block_scan_algorithmE0ELj4294967295EEENS1_25partition_config_selectorILNS1_17partition_subalgoE4EjNS0_10empty_typeEbEEZZNS1_14partition_implILS8_4ELb0ES6_15HIP_vector_typeIjLj2EENS0_17counting_iteratorIjlEEPS9_SG_NS0_5tupleIJPjSI_NS0_16reverse_iteratorISI_EEEEENSH_IJSG_SG_SG_EEES9_SI_JZNS1_25segmented_radix_sort_implINS0_14default_configELb0EPKiPiPKlPlN2at6native12_GLOBAL__N_18offset_tEEE10hipError_tPvRmT1_PNSt15iterator_traitsIS12_E10value_typeET2_T3_PNS13_IS18_E10value_typeET4_jRbjT5_S1E_jjP12ihipStream_tbEUljE_ZNSN_ISO_Lb0ESQ_SR_ST_SU_SY_EESZ_S10_S11_S12_S16_S17_S18_S1B_S1C_jS1D_jS1E_S1E_jjS1G_bEUljE0_EEESZ_S10_S11_S18_S1C_S1E_T6_T7_T9_mT8_S1G_bDpT10_ENKUlT_T0_E_clISt17integral_constantIbLb1EES1T_IbLb0EEEEDaS1P_S1Q_EUlS1P_E_NS1_11comp_targetILNS1_3genE9ELNS1_11target_archE1100ELNS1_3gpuE3ELNS1_3repE0EEENS1_30default_config_static_selectorELNS0_4arch9wavefront6targetE0EEEvS12_,comdat
.Lfunc_end554:
	.size	_ZN7rocprim17ROCPRIM_400000_NS6detail17trampoline_kernelINS0_13select_configILj256ELj13ELNS0_17block_load_methodE3ELS4_3ELS4_3ELNS0_20block_scan_algorithmE0ELj4294967295EEENS1_25partition_config_selectorILNS1_17partition_subalgoE4EjNS0_10empty_typeEbEEZZNS1_14partition_implILS8_4ELb0ES6_15HIP_vector_typeIjLj2EENS0_17counting_iteratorIjlEEPS9_SG_NS0_5tupleIJPjSI_NS0_16reverse_iteratorISI_EEEEENSH_IJSG_SG_SG_EEES9_SI_JZNS1_25segmented_radix_sort_implINS0_14default_configELb0EPKiPiPKlPlN2at6native12_GLOBAL__N_18offset_tEEE10hipError_tPvRmT1_PNSt15iterator_traitsIS12_E10value_typeET2_T3_PNS13_IS18_E10value_typeET4_jRbjT5_S1E_jjP12ihipStream_tbEUljE_ZNSN_ISO_Lb0ESQ_SR_ST_SU_SY_EESZ_S10_S11_S12_S16_S17_S18_S1B_S1C_jS1D_jS1E_S1E_jjS1G_bEUljE0_EEESZ_S10_S11_S18_S1C_S1E_T6_T7_T9_mT8_S1G_bDpT10_ENKUlT_T0_E_clISt17integral_constantIbLb1EES1T_IbLb0EEEEDaS1P_S1Q_EUlS1P_E_NS1_11comp_targetILNS1_3genE9ELNS1_11target_archE1100ELNS1_3gpuE3ELNS1_3repE0EEENS1_30default_config_static_selectorELNS0_4arch9wavefront6targetE0EEEvS12_, .Lfunc_end554-_ZN7rocprim17ROCPRIM_400000_NS6detail17trampoline_kernelINS0_13select_configILj256ELj13ELNS0_17block_load_methodE3ELS4_3ELS4_3ELNS0_20block_scan_algorithmE0ELj4294967295EEENS1_25partition_config_selectorILNS1_17partition_subalgoE4EjNS0_10empty_typeEbEEZZNS1_14partition_implILS8_4ELb0ES6_15HIP_vector_typeIjLj2EENS0_17counting_iteratorIjlEEPS9_SG_NS0_5tupleIJPjSI_NS0_16reverse_iteratorISI_EEEEENSH_IJSG_SG_SG_EEES9_SI_JZNS1_25segmented_radix_sort_implINS0_14default_configELb0EPKiPiPKlPlN2at6native12_GLOBAL__N_18offset_tEEE10hipError_tPvRmT1_PNSt15iterator_traitsIS12_E10value_typeET2_T3_PNS13_IS18_E10value_typeET4_jRbjT5_S1E_jjP12ihipStream_tbEUljE_ZNSN_ISO_Lb0ESQ_SR_ST_SU_SY_EESZ_S10_S11_S12_S16_S17_S18_S1B_S1C_jS1D_jS1E_S1E_jjS1G_bEUljE0_EEESZ_S10_S11_S18_S1C_S1E_T6_T7_T9_mT8_S1G_bDpT10_ENKUlT_T0_E_clISt17integral_constantIbLb1EES1T_IbLb0EEEEDaS1P_S1Q_EUlS1P_E_NS1_11comp_targetILNS1_3genE9ELNS1_11target_archE1100ELNS1_3gpuE3ELNS1_3repE0EEENS1_30default_config_static_selectorELNS0_4arch9wavefront6targetE0EEEvS12_
                                        ; -- End function
	.set _ZN7rocprim17ROCPRIM_400000_NS6detail17trampoline_kernelINS0_13select_configILj256ELj13ELNS0_17block_load_methodE3ELS4_3ELS4_3ELNS0_20block_scan_algorithmE0ELj4294967295EEENS1_25partition_config_selectorILNS1_17partition_subalgoE4EjNS0_10empty_typeEbEEZZNS1_14partition_implILS8_4ELb0ES6_15HIP_vector_typeIjLj2EENS0_17counting_iteratorIjlEEPS9_SG_NS0_5tupleIJPjSI_NS0_16reverse_iteratorISI_EEEEENSH_IJSG_SG_SG_EEES9_SI_JZNS1_25segmented_radix_sort_implINS0_14default_configELb0EPKiPiPKlPlN2at6native12_GLOBAL__N_18offset_tEEE10hipError_tPvRmT1_PNSt15iterator_traitsIS12_E10value_typeET2_T3_PNS13_IS18_E10value_typeET4_jRbjT5_S1E_jjP12ihipStream_tbEUljE_ZNSN_ISO_Lb0ESQ_SR_ST_SU_SY_EESZ_S10_S11_S12_S16_S17_S18_S1B_S1C_jS1D_jS1E_S1E_jjS1G_bEUljE0_EEESZ_S10_S11_S18_S1C_S1E_T6_T7_T9_mT8_S1G_bDpT10_ENKUlT_T0_E_clISt17integral_constantIbLb1EES1T_IbLb0EEEEDaS1P_S1Q_EUlS1P_E_NS1_11comp_targetILNS1_3genE9ELNS1_11target_archE1100ELNS1_3gpuE3ELNS1_3repE0EEENS1_30default_config_static_selectorELNS0_4arch9wavefront6targetE0EEEvS12_.num_vgpr, 0
	.set _ZN7rocprim17ROCPRIM_400000_NS6detail17trampoline_kernelINS0_13select_configILj256ELj13ELNS0_17block_load_methodE3ELS4_3ELS4_3ELNS0_20block_scan_algorithmE0ELj4294967295EEENS1_25partition_config_selectorILNS1_17partition_subalgoE4EjNS0_10empty_typeEbEEZZNS1_14partition_implILS8_4ELb0ES6_15HIP_vector_typeIjLj2EENS0_17counting_iteratorIjlEEPS9_SG_NS0_5tupleIJPjSI_NS0_16reverse_iteratorISI_EEEEENSH_IJSG_SG_SG_EEES9_SI_JZNS1_25segmented_radix_sort_implINS0_14default_configELb0EPKiPiPKlPlN2at6native12_GLOBAL__N_18offset_tEEE10hipError_tPvRmT1_PNSt15iterator_traitsIS12_E10value_typeET2_T3_PNS13_IS18_E10value_typeET4_jRbjT5_S1E_jjP12ihipStream_tbEUljE_ZNSN_ISO_Lb0ESQ_SR_ST_SU_SY_EESZ_S10_S11_S12_S16_S17_S18_S1B_S1C_jS1D_jS1E_S1E_jjS1G_bEUljE0_EEESZ_S10_S11_S18_S1C_S1E_T6_T7_T9_mT8_S1G_bDpT10_ENKUlT_T0_E_clISt17integral_constantIbLb1EES1T_IbLb0EEEEDaS1P_S1Q_EUlS1P_E_NS1_11comp_targetILNS1_3genE9ELNS1_11target_archE1100ELNS1_3gpuE3ELNS1_3repE0EEENS1_30default_config_static_selectorELNS0_4arch9wavefront6targetE0EEEvS12_.num_agpr, 0
	.set _ZN7rocprim17ROCPRIM_400000_NS6detail17trampoline_kernelINS0_13select_configILj256ELj13ELNS0_17block_load_methodE3ELS4_3ELS4_3ELNS0_20block_scan_algorithmE0ELj4294967295EEENS1_25partition_config_selectorILNS1_17partition_subalgoE4EjNS0_10empty_typeEbEEZZNS1_14partition_implILS8_4ELb0ES6_15HIP_vector_typeIjLj2EENS0_17counting_iteratorIjlEEPS9_SG_NS0_5tupleIJPjSI_NS0_16reverse_iteratorISI_EEEEENSH_IJSG_SG_SG_EEES9_SI_JZNS1_25segmented_radix_sort_implINS0_14default_configELb0EPKiPiPKlPlN2at6native12_GLOBAL__N_18offset_tEEE10hipError_tPvRmT1_PNSt15iterator_traitsIS12_E10value_typeET2_T3_PNS13_IS18_E10value_typeET4_jRbjT5_S1E_jjP12ihipStream_tbEUljE_ZNSN_ISO_Lb0ESQ_SR_ST_SU_SY_EESZ_S10_S11_S12_S16_S17_S18_S1B_S1C_jS1D_jS1E_S1E_jjS1G_bEUljE0_EEESZ_S10_S11_S18_S1C_S1E_T6_T7_T9_mT8_S1G_bDpT10_ENKUlT_T0_E_clISt17integral_constantIbLb1EES1T_IbLb0EEEEDaS1P_S1Q_EUlS1P_E_NS1_11comp_targetILNS1_3genE9ELNS1_11target_archE1100ELNS1_3gpuE3ELNS1_3repE0EEENS1_30default_config_static_selectorELNS0_4arch9wavefront6targetE0EEEvS12_.numbered_sgpr, 0
	.set _ZN7rocprim17ROCPRIM_400000_NS6detail17trampoline_kernelINS0_13select_configILj256ELj13ELNS0_17block_load_methodE3ELS4_3ELS4_3ELNS0_20block_scan_algorithmE0ELj4294967295EEENS1_25partition_config_selectorILNS1_17partition_subalgoE4EjNS0_10empty_typeEbEEZZNS1_14partition_implILS8_4ELb0ES6_15HIP_vector_typeIjLj2EENS0_17counting_iteratorIjlEEPS9_SG_NS0_5tupleIJPjSI_NS0_16reverse_iteratorISI_EEEEENSH_IJSG_SG_SG_EEES9_SI_JZNS1_25segmented_radix_sort_implINS0_14default_configELb0EPKiPiPKlPlN2at6native12_GLOBAL__N_18offset_tEEE10hipError_tPvRmT1_PNSt15iterator_traitsIS12_E10value_typeET2_T3_PNS13_IS18_E10value_typeET4_jRbjT5_S1E_jjP12ihipStream_tbEUljE_ZNSN_ISO_Lb0ESQ_SR_ST_SU_SY_EESZ_S10_S11_S12_S16_S17_S18_S1B_S1C_jS1D_jS1E_S1E_jjS1G_bEUljE0_EEESZ_S10_S11_S18_S1C_S1E_T6_T7_T9_mT8_S1G_bDpT10_ENKUlT_T0_E_clISt17integral_constantIbLb1EES1T_IbLb0EEEEDaS1P_S1Q_EUlS1P_E_NS1_11comp_targetILNS1_3genE9ELNS1_11target_archE1100ELNS1_3gpuE3ELNS1_3repE0EEENS1_30default_config_static_selectorELNS0_4arch9wavefront6targetE0EEEvS12_.num_named_barrier, 0
	.set _ZN7rocprim17ROCPRIM_400000_NS6detail17trampoline_kernelINS0_13select_configILj256ELj13ELNS0_17block_load_methodE3ELS4_3ELS4_3ELNS0_20block_scan_algorithmE0ELj4294967295EEENS1_25partition_config_selectorILNS1_17partition_subalgoE4EjNS0_10empty_typeEbEEZZNS1_14partition_implILS8_4ELb0ES6_15HIP_vector_typeIjLj2EENS0_17counting_iteratorIjlEEPS9_SG_NS0_5tupleIJPjSI_NS0_16reverse_iteratorISI_EEEEENSH_IJSG_SG_SG_EEES9_SI_JZNS1_25segmented_radix_sort_implINS0_14default_configELb0EPKiPiPKlPlN2at6native12_GLOBAL__N_18offset_tEEE10hipError_tPvRmT1_PNSt15iterator_traitsIS12_E10value_typeET2_T3_PNS13_IS18_E10value_typeET4_jRbjT5_S1E_jjP12ihipStream_tbEUljE_ZNSN_ISO_Lb0ESQ_SR_ST_SU_SY_EESZ_S10_S11_S12_S16_S17_S18_S1B_S1C_jS1D_jS1E_S1E_jjS1G_bEUljE0_EEESZ_S10_S11_S18_S1C_S1E_T6_T7_T9_mT8_S1G_bDpT10_ENKUlT_T0_E_clISt17integral_constantIbLb1EES1T_IbLb0EEEEDaS1P_S1Q_EUlS1P_E_NS1_11comp_targetILNS1_3genE9ELNS1_11target_archE1100ELNS1_3gpuE3ELNS1_3repE0EEENS1_30default_config_static_selectorELNS0_4arch9wavefront6targetE0EEEvS12_.private_seg_size, 0
	.set _ZN7rocprim17ROCPRIM_400000_NS6detail17trampoline_kernelINS0_13select_configILj256ELj13ELNS0_17block_load_methodE3ELS4_3ELS4_3ELNS0_20block_scan_algorithmE0ELj4294967295EEENS1_25partition_config_selectorILNS1_17partition_subalgoE4EjNS0_10empty_typeEbEEZZNS1_14partition_implILS8_4ELb0ES6_15HIP_vector_typeIjLj2EENS0_17counting_iteratorIjlEEPS9_SG_NS0_5tupleIJPjSI_NS0_16reverse_iteratorISI_EEEEENSH_IJSG_SG_SG_EEES9_SI_JZNS1_25segmented_radix_sort_implINS0_14default_configELb0EPKiPiPKlPlN2at6native12_GLOBAL__N_18offset_tEEE10hipError_tPvRmT1_PNSt15iterator_traitsIS12_E10value_typeET2_T3_PNS13_IS18_E10value_typeET4_jRbjT5_S1E_jjP12ihipStream_tbEUljE_ZNSN_ISO_Lb0ESQ_SR_ST_SU_SY_EESZ_S10_S11_S12_S16_S17_S18_S1B_S1C_jS1D_jS1E_S1E_jjS1G_bEUljE0_EEESZ_S10_S11_S18_S1C_S1E_T6_T7_T9_mT8_S1G_bDpT10_ENKUlT_T0_E_clISt17integral_constantIbLb1EES1T_IbLb0EEEEDaS1P_S1Q_EUlS1P_E_NS1_11comp_targetILNS1_3genE9ELNS1_11target_archE1100ELNS1_3gpuE3ELNS1_3repE0EEENS1_30default_config_static_selectorELNS0_4arch9wavefront6targetE0EEEvS12_.uses_vcc, 0
	.set _ZN7rocprim17ROCPRIM_400000_NS6detail17trampoline_kernelINS0_13select_configILj256ELj13ELNS0_17block_load_methodE3ELS4_3ELS4_3ELNS0_20block_scan_algorithmE0ELj4294967295EEENS1_25partition_config_selectorILNS1_17partition_subalgoE4EjNS0_10empty_typeEbEEZZNS1_14partition_implILS8_4ELb0ES6_15HIP_vector_typeIjLj2EENS0_17counting_iteratorIjlEEPS9_SG_NS0_5tupleIJPjSI_NS0_16reverse_iteratorISI_EEEEENSH_IJSG_SG_SG_EEES9_SI_JZNS1_25segmented_radix_sort_implINS0_14default_configELb0EPKiPiPKlPlN2at6native12_GLOBAL__N_18offset_tEEE10hipError_tPvRmT1_PNSt15iterator_traitsIS12_E10value_typeET2_T3_PNS13_IS18_E10value_typeET4_jRbjT5_S1E_jjP12ihipStream_tbEUljE_ZNSN_ISO_Lb0ESQ_SR_ST_SU_SY_EESZ_S10_S11_S12_S16_S17_S18_S1B_S1C_jS1D_jS1E_S1E_jjS1G_bEUljE0_EEESZ_S10_S11_S18_S1C_S1E_T6_T7_T9_mT8_S1G_bDpT10_ENKUlT_T0_E_clISt17integral_constantIbLb1EES1T_IbLb0EEEEDaS1P_S1Q_EUlS1P_E_NS1_11comp_targetILNS1_3genE9ELNS1_11target_archE1100ELNS1_3gpuE3ELNS1_3repE0EEENS1_30default_config_static_selectorELNS0_4arch9wavefront6targetE0EEEvS12_.uses_flat_scratch, 0
	.set _ZN7rocprim17ROCPRIM_400000_NS6detail17trampoline_kernelINS0_13select_configILj256ELj13ELNS0_17block_load_methodE3ELS4_3ELS4_3ELNS0_20block_scan_algorithmE0ELj4294967295EEENS1_25partition_config_selectorILNS1_17partition_subalgoE4EjNS0_10empty_typeEbEEZZNS1_14partition_implILS8_4ELb0ES6_15HIP_vector_typeIjLj2EENS0_17counting_iteratorIjlEEPS9_SG_NS0_5tupleIJPjSI_NS0_16reverse_iteratorISI_EEEEENSH_IJSG_SG_SG_EEES9_SI_JZNS1_25segmented_radix_sort_implINS0_14default_configELb0EPKiPiPKlPlN2at6native12_GLOBAL__N_18offset_tEEE10hipError_tPvRmT1_PNSt15iterator_traitsIS12_E10value_typeET2_T3_PNS13_IS18_E10value_typeET4_jRbjT5_S1E_jjP12ihipStream_tbEUljE_ZNSN_ISO_Lb0ESQ_SR_ST_SU_SY_EESZ_S10_S11_S12_S16_S17_S18_S1B_S1C_jS1D_jS1E_S1E_jjS1G_bEUljE0_EEESZ_S10_S11_S18_S1C_S1E_T6_T7_T9_mT8_S1G_bDpT10_ENKUlT_T0_E_clISt17integral_constantIbLb1EES1T_IbLb0EEEEDaS1P_S1Q_EUlS1P_E_NS1_11comp_targetILNS1_3genE9ELNS1_11target_archE1100ELNS1_3gpuE3ELNS1_3repE0EEENS1_30default_config_static_selectorELNS0_4arch9wavefront6targetE0EEEvS12_.has_dyn_sized_stack, 0
	.set _ZN7rocprim17ROCPRIM_400000_NS6detail17trampoline_kernelINS0_13select_configILj256ELj13ELNS0_17block_load_methodE3ELS4_3ELS4_3ELNS0_20block_scan_algorithmE0ELj4294967295EEENS1_25partition_config_selectorILNS1_17partition_subalgoE4EjNS0_10empty_typeEbEEZZNS1_14partition_implILS8_4ELb0ES6_15HIP_vector_typeIjLj2EENS0_17counting_iteratorIjlEEPS9_SG_NS0_5tupleIJPjSI_NS0_16reverse_iteratorISI_EEEEENSH_IJSG_SG_SG_EEES9_SI_JZNS1_25segmented_radix_sort_implINS0_14default_configELb0EPKiPiPKlPlN2at6native12_GLOBAL__N_18offset_tEEE10hipError_tPvRmT1_PNSt15iterator_traitsIS12_E10value_typeET2_T3_PNS13_IS18_E10value_typeET4_jRbjT5_S1E_jjP12ihipStream_tbEUljE_ZNSN_ISO_Lb0ESQ_SR_ST_SU_SY_EESZ_S10_S11_S12_S16_S17_S18_S1B_S1C_jS1D_jS1E_S1E_jjS1G_bEUljE0_EEESZ_S10_S11_S18_S1C_S1E_T6_T7_T9_mT8_S1G_bDpT10_ENKUlT_T0_E_clISt17integral_constantIbLb1EES1T_IbLb0EEEEDaS1P_S1Q_EUlS1P_E_NS1_11comp_targetILNS1_3genE9ELNS1_11target_archE1100ELNS1_3gpuE3ELNS1_3repE0EEENS1_30default_config_static_selectorELNS0_4arch9wavefront6targetE0EEEvS12_.has_recursion, 0
	.set _ZN7rocprim17ROCPRIM_400000_NS6detail17trampoline_kernelINS0_13select_configILj256ELj13ELNS0_17block_load_methodE3ELS4_3ELS4_3ELNS0_20block_scan_algorithmE0ELj4294967295EEENS1_25partition_config_selectorILNS1_17partition_subalgoE4EjNS0_10empty_typeEbEEZZNS1_14partition_implILS8_4ELb0ES6_15HIP_vector_typeIjLj2EENS0_17counting_iteratorIjlEEPS9_SG_NS0_5tupleIJPjSI_NS0_16reverse_iteratorISI_EEEEENSH_IJSG_SG_SG_EEES9_SI_JZNS1_25segmented_radix_sort_implINS0_14default_configELb0EPKiPiPKlPlN2at6native12_GLOBAL__N_18offset_tEEE10hipError_tPvRmT1_PNSt15iterator_traitsIS12_E10value_typeET2_T3_PNS13_IS18_E10value_typeET4_jRbjT5_S1E_jjP12ihipStream_tbEUljE_ZNSN_ISO_Lb0ESQ_SR_ST_SU_SY_EESZ_S10_S11_S12_S16_S17_S18_S1B_S1C_jS1D_jS1E_S1E_jjS1G_bEUljE0_EEESZ_S10_S11_S18_S1C_S1E_T6_T7_T9_mT8_S1G_bDpT10_ENKUlT_T0_E_clISt17integral_constantIbLb1EES1T_IbLb0EEEEDaS1P_S1Q_EUlS1P_E_NS1_11comp_targetILNS1_3genE9ELNS1_11target_archE1100ELNS1_3gpuE3ELNS1_3repE0EEENS1_30default_config_static_selectorELNS0_4arch9wavefront6targetE0EEEvS12_.has_indirect_call, 0
	.section	.AMDGPU.csdata,"",@progbits
; Kernel info:
; codeLenInByte = 0
; TotalNumSgprs: 0
; NumVgprs: 0
; ScratchSize: 0
; MemoryBound: 0
; FloatMode: 240
; IeeeMode: 1
; LDSByteSize: 0 bytes/workgroup (compile time only)
; SGPRBlocks: 0
; VGPRBlocks: 0
; NumSGPRsForWavesPerEU: 1
; NumVGPRsForWavesPerEU: 1
; NamedBarCnt: 0
; Occupancy: 16
; WaveLimiterHint : 0
; COMPUTE_PGM_RSRC2:SCRATCH_EN: 0
; COMPUTE_PGM_RSRC2:USER_SGPR: 2
; COMPUTE_PGM_RSRC2:TRAP_HANDLER: 0
; COMPUTE_PGM_RSRC2:TGID_X_EN: 1
; COMPUTE_PGM_RSRC2:TGID_Y_EN: 0
; COMPUTE_PGM_RSRC2:TGID_Z_EN: 0
; COMPUTE_PGM_RSRC2:TIDIG_COMP_CNT: 0
	.section	.text._ZN7rocprim17ROCPRIM_400000_NS6detail17trampoline_kernelINS0_13select_configILj256ELj13ELNS0_17block_load_methodE3ELS4_3ELS4_3ELNS0_20block_scan_algorithmE0ELj4294967295EEENS1_25partition_config_selectorILNS1_17partition_subalgoE4EjNS0_10empty_typeEbEEZZNS1_14partition_implILS8_4ELb0ES6_15HIP_vector_typeIjLj2EENS0_17counting_iteratorIjlEEPS9_SG_NS0_5tupleIJPjSI_NS0_16reverse_iteratorISI_EEEEENSH_IJSG_SG_SG_EEES9_SI_JZNS1_25segmented_radix_sort_implINS0_14default_configELb0EPKiPiPKlPlN2at6native12_GLOBAL__N_18offset_tEEE10hipError_tPvRmT1_PNSt15iterator_traitsIS12_E10value_typeET2_T3_PNS13_IS18_E10value_typeET4_jRbjT5_S1E_jjP12ihipStream_tbEUljE_ZNSN_ISO_Lb0ESQ_SR_ST_SU_SY_EESZ_S10_S11_S12_S16_S17_S18_S1B_S1C_jS1D_jS1E_S1E_jjS1G_bEUljE0_EEESZ_S10_S11_S18_S1C_S1E_T6_T7_T9_mT8_S1G_bDpT10_ENKUlT_T0_E_clISt17integral_constantIbLb1EES1T_IbLb0EEEEDaS1P_S1Q_EUlS1P_E_NS1_11comp_targetILNS1_3genE8ELNS1_11target_archE1030ELNS1_3gpuE2ELNS1_3repE0EEENS1_30default_config_static_selectorELNS0_4arch9wavefront6targetE0EEEvS12_,"axG",@progbits,_ZN7rocprim17ROCPRIM_400000_NS6detail17trampoline_kernelINS0_13select_configILj256ELj13ELNS0_17block_load_methodE3ELS4_3ELS4_3ELNS0_20block_scan_algorithmE0ELj4294967295EEENS1_25partition_config_selectorILNS1_17partition_subalgoE4EjNS0_10empty_typeEbEEZZNS1_14partition_implILS8_4ELb0ES6_15HIP_vector_typeIjLj2EENS0_17counting_iteratorIjlEEPS9_SG_NS0_5tupleIJPjSI_NS0_16reverse_iteratorISI_EEEEENSH_IJSG_SG_SG_EEES9_SI_JZNS1_25segmented_radix_sort_implINS0_14default_configELb0EPKiPiPKlPlN2at6native12_GLOBAL__N_18offset_tEEE10hipError_tPvRmT1_PNSt15iterator_traitsIS12_E10value_typeET2_T3_PNS13_IS18_E10value_typeET4_jRbjT5_S1E_jjP12ihipStream_tbEUljE_ZNSN_ISO_Lb0ESQ_SR_ST_SU_SY_EESZ_S10_S11_S12_S16_S17_S18_S1B_S1C_jS1D_jS1E_S1E_jjS1G_bEUljE0_EEESZ_S10_S11_S18_S1C_S1E_T6_T7_T9_mT8_S1G_bDpT10_ENKUlT_T0_E_clISt17integral_constantIbLb1EES1T_IbLb0EEEEDaS1P_S1Q_EUlS1P_E_NS1_11comp_targetILNS1_3genE8ELNS1_11target_archE1030ELNS1_3gpuE2ELNS1_3repE0EEENS1_30default_config_static_selectorELNS0_4arch9wavefront6targetE0EEEvS12_,comdat
	.globl	_ZN7rocprim17ROCPRIM_400000_NS6detail17trampoline_kernelINS0_13select_configILj256ELj13ELNS0_17block_load_methodE3ELS4_3ELS4_3ELNS0_20block_scan_algorithmE0ELj4294967295EEENS1_25partition_config_selectorILNS1_17partition_subalgoE4EjNS0_10empty_typeEbEEZZNS1_14partition_implILS8_4ELb0ES6_15HIP_vector_typeIjLj2EENS0_17counting_iteratorIjlEEPS9_SG_NS0_5tupleIJPjSI_NS0_16reverse_iteratorISI_EEEEENSH_IJSG_SG_SG_EEES9_SI_JZNS1_25segmented_radix_sort_implINS0_14default_configELb0EPKiPiPKlPlN2at6native12_GLOBAL__N_18offset_tEEE10hipError_tPvRmT1_PNSt15iterator_traitsIS12_E10value_typeET2_T3_PNS13_IS18_E10value_typeET4_jRbjT5_S1E_jjP12ihipStream_tbEUljE_ZNSN_ISO_Lb0ESQ_SR_ST_SU_SY_EESZ_S10_S11_S12_S16_S17_S18_S1B_S1C_jS1D_jS1E_S1E_jjS1G_bEUljE0_EEESZ_S10_S11_S18_S1C_S1E_T6_T7_T9_mT8_S1G_bDpT10_ENKUlT_T0_E_clISt17integral_constantIbLb1EES1T_IbLb0EEEEDaS1P_S1Q_EUlS1P_E_NS1_11comp_targetILNS1_3genE8ELNS1_11target_archE1030ELNS1_3gpuE2ELNS1_3repE0EEENS1_30default_config_static_selectorELNS0_4arch9wavefront6targetE0EEEvS12_ ; -- Begin function _ZN7rocprim17ROCPRIM_400000_NS6detail17trampoline_kernelINS0_13select_configILj256ELj13ELNS0_17block_load_methodE3ELS4_3ELS4_3ELNS0_20block_scan_algorithmE0ELj4294967295EEENS1_25partition_config_selectorILNS1_17partition_subalgoE4EjNS0_10empty_typeEbEEZZNS1_14partition_implILS8_4ELb0ES6_15HIP_vector_typeIjLj2EENS0_17counting_iteratorIjlEEPS9_SG_NS0_5tupleIJPjSI_NS0_16reverse_iteratorISI_EEEEENSH_IJSG_SG_SG_EEES9_SI_JZNS1_25segmented_radix_sort_implINS0_14default_configELb0EPKiPiPKlPlN2at6native12_GLOBAL__N_18offset_tEEE10hipError_tPvRmT1_PNSt15iterator_traitsIS12_E10value_typeET2_T3_PNS13_IS18_E10value_typeET4_jRbjT5_S1E_jjP12ihipStream_tbEUljE_ZNSN_ISO_Lb0ESQ_SR_ST_SU_SY_EESZ_S10_S11_S12_S16_S17_S18_S1B_S1C_jS1D_jS1E_S1E_jjS1G_bEUljE0_EEESZ_S10_S11_S18_S1C_S1E_T6_T7_T9_mT8_S1G_bDpT10_ENKUlT_T0_E_clISt17integral_constantIbLb1EES1T_IbLb0EEEEDaS1P_S1Q_EUlS1P_E_NS1_11comp_targetILNS1_3genE8ELNS1_11target_archE1030ELNS1_3gpuE2ELNS1_3repE0EEENS1_30default_config_static_selectorELNS0_4arch9wavefront6targetE0EEEvS12_
	.p2align	8
	.type	_ZN7rocprim17ROCPRIM_400000_NS6detail17trampoline_kernelINS0_13select_configILj256ELj13ELNS0_17block_load_methodE3ELS4_3ELS4_3ELNS0_20block_scan_algorithmE0ELj4294967295EEENS1_25partition_config_selectorILNS1_17partition_subalgoE4EjNS0_10empty_typeEbEEZZNS1_14partition_implILS8_4ELb0ES6_15HIP_vector_typeIjLj2EENS0_17counting_iteratorIjlEEPS9_SG_NS0_5tupleIJPjSI_NS0_16reverse_iteratorISI_EEEEENSH_IJSG_SG_SG_EEES9_SI_JZNS1_25segmented_radix_sort_implINS0_14default_configELb0EPKiPiPKlPlN2at6native12_GLOBAL__N_18offset_tEEE10hipError_tPvRmT1_PNSt15iterator_traitsIS12_E10value_typeET2_T3_PNS13_IS18_E10value_typeET4_jRbjT5_S1E_jjP12ihipStream_tbEUljE_ZNSN_ISO_Lb0ESQ_SR_ST_SU_SY_EESZ_S10_S11_S12_S16_S17_S18_S1B_S1C_jS1D_jS1E_S1E_jjS1G_bEUljE0_EEESZ_S10_S11_S18_S1C_S1E_T6_T7_T9_mT8_S1G_bDpT10_ENKUlT_T0_E_clISt17integral_constantIbLb1EES1T_IbLb0EEEEDaS1P_S1Q_EUlS1P_E_NS1_11comp_targetILNS1_3genE8ELNS1_11target_archE1030ELNS1_3gpuE2ELNS1_3repE0EEENS1_30default_config_static_selectorELNS0_4arch9wavefront6targetE0EEEvS12_,@function
_ZN7rocprim17ROCPRIM_400000_NS6detail17trampoline_kernelINS0_13select_configILj256ELj13ELNS0_17block_load_methodE3ELS4_3ELS4_3ELNS0_20block_scan_algorithmE0ELj4294967295EEENS1_25partition_config_selectorILNS1_17partition_subalgoE4EjNS0_10empty_typeEbEEZZNS1_14partition_implILS8_4ELb0ES6_15HIP_vector_typeIjLj2EENS0_17counting_iteratorIjlEEPS9_SG_NS0_5tupleIJPjSI_NS0_16reverse_iteratorISI_EEEEENSH_IJSG_SG_SG_EEES9_SI_JZNS1_25segmented_radix_sort_implINS0_14default_configELb0EPKiPiPKlPlN2at6native12_GLOBAL__N_18offset_tEEE10hipError_tPvRmT1_PNSt15iterator_traitsIS12_E10value_typeET2_T3_PNS13_IS18_E10value_typeET4_jRbjT5_S1E_jjP12ihipStream_tbEUljE_ZNSN_ISO_Lb0ESQ_SR_ST_SU_SY_EESZ_S10_S11_S12_S16_S17_S18_S1B_S1C_jS1D_jS1E_S1E_jjS1G_bEUljE0_EEESZ_S10_S11_S18_S1C_S1E_T6_T7_T9_mT8_S1G_bDpT10_ENKUlT_T0_E_clISt17integral_constantIbLb1EES1T_IbLb0EEEEDaS1P_S1Q_EUlS1P_E_NS1_11comp_targetILNS1_3genE8ELNS1_11target_archE1030ELNS1_3gpuE2ELNS1_3repE0EEENS1_30default_config_static_selectorELNS0_4arch9wavefront6targetE0EEEvS12_: ; @_ZN7rocprim17ROCPRIM_400000_NS6detail17trampoline_kernelINS0_13select_configILj256ELj13ELNS0_17block_load_methodE3ELS4_3ELS4_3ELNS0_20block_scan_algorithmE0ELj4294967295EEENS1_25partition_config_selectorILNS1_17partition_subalgoE4EjNS0_10empty_typeEbEEZZNS1_14partition_implILS8_4ELb0ES6_15HIP_vector_typeIjLj2EENS0_17counting_iteratorIjlEEPS9_SG_NS0_5tupleIJPjSI_NS0_16reverse_iteratorISI_EEEEENSH_IJSG_SG_SG_EEES9_SI_JZNS1_25segmented_radix_sort_implINS0_14default_configELb0EPKiPiPKlPlN2at6native12_GLOBAL__N_18offset_tEEE10hipError_tPvRmT1_PNSt15iterator_traitsIS12_E10value_typeET2_T3_PNS13_IS18_E10value_typeET4_jRbjT5_S1E_jjP12ihipStream_tbEUljE_ZNSN_ISO_Lb0ESQ_SR_ST_SU_SY_EESZ_S10_S11_S12_S16_S17_S18_S1B_S1C_jS1D_jS1E_S1E_jjS1G_bEUljE0_EEESZ_S10_S11_S18_S1C_S1E_T6_T7_T9_mT8_S1G_bDpT10_ENKUlT_T0_E_clISt17integral_constantIbLb1EES1T_IbLb0EEEEDaS1P_S1Q_EUlS1P_E_NS1_11comp_targetILNS1_3genE8ELNS1_11target_archE1030ELNS1_3gpuE2ELNS1_3repE0EEENS1_30default_config_static_selectorELNS0_4arch9wavefront6targetE0EEEvS12_
; %bb.0:
	.section	.rodata,"a",@progbits
	.p2align	6, 0x0
	.amdhsa_kernel _ZN7rocprim17ROCPRIM_400000_NS6detail17trampoline_kernelINS0_13select_configILj256ELj13ELNS0_17block_load_methodE3ELS4_3ELS4_3ELNS0_20block_scan_algorithmE0ELj4294967295EEENS1_25partition_config_selectorILNS1_17partition_subalgoE4EjNS0_10empty_typeEbEEZZNS1_14partition_implILS8_4ELb0ES6_15HIP_vector_typeIjLj2EENS0_17counting_iteratorIjlEEPS9_SG_NS0_5tupleIJPjSI_NS0_16reverse_iteratorISI_EEEEENSH_IJSG_SG_SG_EEES9_SI_JZNS1_25segmented_radix_sort_implINS0_14default_configELb0EPKiPiPKlPlN2at6native12_GLOBAL__N_18offset_tEEE10hipError_tPvRmT1_PNSt15iterator_traitsIS12_E10value_typeET2_T3_PNS13_IS18_E10value_typeET4_jRbjT5_S1E_jjP12ihipStream_tbEUljE_ZNSN_ISO_Lb0ESQ_SR_ST_SU_SY_EESZ_S10_S11_S12_S16_S17_S18_S1B_S1C_jS1D_jS1E_S1E_jjS1G_bEUljE0_EEESZ_S10_S11_S18_S1C_S1E_T6_T7_T9_mT8_S1G_bDpT10_ENKUlT_T0_E_clISt17integral_constantIbLb1EES1T_IbLb0EEEEDaS1P_S1Q_EUlS1P_E_NS1_11comp_targetILNS1_3genE8ELNS1_11target_archE1030ELNS1_3gpuE2ELNS1_3repE0EEENS1_30default_config_static_selectorELNS0_4arch9wavefront6targetE0EEEvS12_
		.amdhsa_group_segment_fixed_size 0
		.amdhsa_private_segment_fixed_size 0
		.amdhsa_kernarg_size 176
		.amdhsa_user_sgpr_count 2
		.amdhsa_user_sgpr_dispatch_ptr 0
		.amdhsa_user_sgpr_queue_ptr 0
		.amdhsa_user_sgpr_kernarg_segment_ptr 1
		.amdhsa_user_sgpr_dispatch_id 0
		.amdhsa_user_sgpr_kernarg_preload_length 0
		.amdhsa_user_sgpr_kernarg_preload_offset 0
		.amdhsa_user_sgpr_private_segment_size 0
		.amdhsa_wavefront_size32 1
		.amdhsa_uses_dynamic_stack 0
		.amdhsa_enable_private_segment 0
		.amdhsa_system_sgpr_workgroup_id_x 1
		.amdhsa_system_sgpr_workgroup_id_y 0
		.amdhsa_system_sgpr_workgroup_id_z 0
		.amdhsa_system_sgpr_workgroup_info 0
		.amdhsa_system_vgpr_workitem_id 0
		.amdhsa_next_free_vgpr 1
		.amdhsa_next_free_sgpr 1
		.amdhsa_named_barrier_count 0
		.amdhsa_reserve_vcc 0
		.amdhsa_float_round_mode_32 0
		.amdhsa_float_round_mode_16_64 0
		.amdhsa_float_denorm_mode_32 3
		.amdhsa_float_denorm_mode_16_64 3
		.amdhsa_fp16_overflow 0
		.amdhsa_memory_ordered 1
		.amdhsa_forward_progress 1
		.amdhsa_inst_pref_size 0
		.amdhsa_round_robin_scheduling 0
		.amdhsa_exception_fp_ieee_invalid_op 0
		.amdhsa_exception_fp_denorm_src 0
		.amdhsa_exception_fp_ieee_div_zero 0
		.amdhsa_exception_fp_ieee_overflow 0
		.amdhsa_exception_fp_ieee_underflow 0
		.amdhsa_exception_fp_ieee_inexact 0
		.amdhsa_exception_int_div_zero 0
	.end_amdhsa_kernel
	.section	.text._ZN7rocprim17ROCPRIM_400000_NS6detail17trampoline_kernelINS0_13select_configILj256ELj13ELNS0_17block_load_methodE3ELS4_3ELS4_3ELNS0_20block_scan_algorithmE0ELj4294967295EEENS1_25partition_config_selectorILNS1_17partition_subalgoE4EjNS0_10empty_typeEbEEZZNS1_14partition_implILS8_4ELb0ES6_15HIP_vector_typeIjLj2EENS0_17counting_iteratorIjlEEPS9_SG_NS0_5tupleIJPjSI_NS0_16reverse_iteratorISI_EEEEENSH_IJSG_SG_SG_EEES9_SI_JZNS1_25segmented_radix_sort_implINS0_14default_configELb0EPKiPiPKlPlN2at6native12_GLOBAL__N_18offset_tEEE10hipError_tPvRmT1_PNSt15iterator_traitsIS12_E10value_typeET2_T3_PNS13_IS18_E10value_typeET4_jRbjT5_S1E_jjP12ihipStream_tbEUljE_ZNSN_ISO_Lb0ESQ_SR_ST_SU_SY_EESZ_S10_S11_S12_S16_S17_S18_S1B_S1C_jS1D_jS1E_S1E_jjS1G_bEUljE0_EEESZ_S10_S11_S18_S1C_S1E_T6_T7_T9_mT8_S1G_bDpT10_ENKUlT_T0_E_clISt17integral_constantIbLb1EES1T_IbLb0EEEEDaS1P_S1Q_EUlS1P_E_NS1_11comp_targetILNS1_3genE8ELNS1_11target_archE1030ELNS1_3gpuE2ELNS1_3repE0EEENS1_30default_config_static_selectorELNS0_4arch9wavefront6targetE0EEEvS12_,"axG",@progbits,_ZN7rocprim17ROCPRIM_400000_NS6detail17trampoline_kernelINS0_13select_configILj256ELj13ELNS0_17block_load_methodE3ELS4_3ELS4_3ELNS0_20block_scan_algorithmE0ELj4294967295EEENS1_25partition_config_selectorILNS1_17partition_subalgoE4EjNS0_10empty_typeEbEEZZNS1_14partition_implILS8_4ELb0ES6_15HIP_vector_typeIjLj2EENS0_17counting_iteratorIjlEEPS9_SG_NS0_5tupleIJPjSI_NS0_16reverse_iteratorISI_EEEEENSH_IJSG_SG_SG_EEES9_SI_JZNS1_25segmented_radix_sort_implINS0_14default_configELb0EPKiPiPKlPlN2at6native12_GLOBAL__N_18offset_tEEE10hipError_tPvRmT1_PNSt15iterator_traitsIS12_E10value_typeET2_T3_PNS13_IS18_E10value_typeET4_jRbjT5_S1E_jjP12ihipStream_tbEUljE_ZNSN_ISO_Lb0ESQ_SR_ST_SU_SY_EESZ_S10_S11_S12_S16_S17_S18_S1B_S1C_jS1D_jS1E_S1E_jjS1G_bEUljE0_EEESZ_S10_S11_S18_S1C_S1E_T6_T7_T9_mT8_S1G_bDpT10_ENKUlT_T0_E_clISt17integral_constantIbLb1EES1T_IbLb0EEEEDaS1P_S1Q_EUlS1P_E_NS1_11comp_targetILNS1_3genE8ELNS1_11target_archE1030ELNS1_3gpuE2ELNS1_3repE0EEENS1_30default_config_static_selectorELNS0_4arch9wavefront6targetE0EEEvS12_,comdat
.Lfunc_end555:
	.size	_ZN7rocprim17ROCPRIM_400000_NS6detail17trampoline_kernelINS0_13select_configILj256ELj13ELNS0_17block_load_methodE3ELS4_3ELS4_3ELNS0_20block_scan_algorithmE0ELj4294967295EEENS1_25partition_config_selectorILNS1_17partition_subalgoE4EjNS0_10empty_typeEbEEZZNS1_14partition_implILS8_4ELb0ES6_15HIP_vector_typeIjLj2EENS0_17counting_iteratorIjlEEPS9_SG_NS0_5tupleIJPjSI_NS0_16reverse_iteratorISI_EEEEENSH_IJSG_SG_SG_EEES9_SI_JZNS1_25segmented_radix_sort_implINS0_14default_configELb0EPKiPiPKlPlN2at6native12_GLOBAL__N_18offset_tEEE10hipError_tPvRmT1_PNSt15iterator_traitsIS12_E10value_typeET2_T3_PNS13_IS18_E10value_typeET4_jRbjT5_S1E_jjP12ihipStream_tbEUljE_ZNSN_ISO_Lb0ESQ_SR_ST_SU_SY_EESZ_S10_S11_S12_S16_S17_S18_S1B_S1C_jS1D_jS1E_S1E_jjS1G_bEUljE0_EEESZ_S10_S11_S18_S1C_S1E_T6_T7_T9_mT8_S1G_bDpT10_ENKUlT_T0_E_clISt17integral_constantIbLb1EES1T_IbLb0EEEEDaS1P_S1Q_EUlS1P_E_NS1_11comp_targetILNS1_3genE8ELNS1_11target_archE1030ELNS1_3gpuE2ELNS1_3repE0EEENS1_30default_config_static_selectorELNS0_4arch9wavefront6targetE0EEEvS12_, .Lfunc_end555-_ZN7rocprim17ROCPRIM_400000_NS6detail17trampoline_kernelINS0_13select_configILj256ELj13ELNS0_17block_load_methodE3ELS4_3ELS4_3ELNS0_20block_scan_algorithmE0ELj4294967295EEENS1_25partition_config_selectorILNS1_17partition_subalgoE4EjNS0_10empty_typeEbEEZZNS1_14partition_implILS8_4ELb0ES6_15HIP_vector_typeIjLj2EENS0_17counting_iteratorIjlEEPS9_SG_NS0_5tupleIJPjSI_NS0_16reverse_iteratorISI_EEEEENSH_IJSG_SG_SG_EEES9_SI_JZNS1_25segmented_radix_sort_implINS0_14default_configELb0EPKiPiPKlPlN2at6native12_GLOBAL__N_18offset_tEEE10hipError_tPvRmT1_PNSt15iterator_traitsIS12_E10value_typeET2_T3_PNS13_IS18_E10value_typeET4_jRbjT5_S1E_jjP12ihipStream_tbEUljE_ZNSN_ISO_Lb0ESQ_SR_ST_SU_SY_EESZ_S10_S11_S12_S16_S17_S18_S1B_S1C_jS1D_jS1E_S1E_jjS1G_bEUljE0_EEESZ_S10_S11_S18_S1C_S1E_T6_T7_T9_mT8_S1G_bDpT10_ENKUlT_T0_E_clISt17integral_constantIbLb1EES1T_IbLb0EEEEDaS1P_S1Q_EUlS1P_E_NS1_11comp_targetILNS1_3genE8ELNS1_11target_archE1030ELNS1_3gpuE2ELNS1_3repE0EEENS1_30default_config_static_selectorELNS0_4arch9wavefront6targetE0EEEvS12_
                                        ; -- End function
	.set _ZN7rocprim17ROCPRIM_400000_NS6detail17trampoline_kernelINS0_13select_configILj256ELj13ELNS0_17block_load_methodE3ELS4_3ELS4_3ELNS0_20block_scan_algorithmE0ELj4294967295EEENS1_25partition_config_selectorILNS1_17partition_subalgoE4EjNS0_10empty_typeEbEEZZNS1_14partition_implILS8_4ELb0ES6_15HIP_vector_typeIjLj2EENS0_17counting_iteratorIjlEEPS9_SG_NS0_5tupleIJPjSI_NS0_16reverse_iteratorISI_EEEEENSH_IJSG_SG_SG_EEES9_SI_JZNS1_25segmented_radix_sort_implINS0_14default_configELb0EPKiPiPKlPlN2at6native12_GLOBAL__N_18offset_tEEE10hipError_tPvRmT1_PNSt15iterator_traitsIS12_E10value_typeET2_T3_PNS13_IS18_E10value_typeET4_jRbjT5_S1E_jjP12ihipStream_tbEUljE_ZNSN_ISO_Lb0ESQ_SR_ST_SU_SY_EESZ_S10_S11_S12_S16_S17_S18_S1B_S1C_jS1D_jS1E_S1E_jjS1G_bEUljE0_EEESZ_S10_S11_S18_S1C_S1E_T6_T7_T9_mT8_S1G_bDpT10_ENKUlT_T0_E_clISt17integral_constantIbLb1EES1T_IbLb0EEEEDaS1P_S1Q_EUlS1P_E_NS1_11comp_targetILNS1_3genE8ELNS1_11target_archE1030ELNS1_3gpuE2ELNS1_3repE0EEENS1_30default_config_static_selectorELNS0_4arch9wavefront6targetE0EEEvS12_.num_vgpr, 0
	.set _ZN7rocprim17ROCPRIM_400000_NS6detail17trampoline_kernelINS0_13select_configILj256ELj13ELNS0_17block_load_methodE3ELS4_3ELS4_3ELNS0_20block_scan_algorithmE0ELj4294967295EEENS1_25partition_config_selectorILNS1_17partition_subalgoE4EjNS0_10empty_typeEbEEZZNS1_14partition_implILS8_4ELb0ES6_15HIP_vector_typeIjLj2EENS0_17counting_iteratorIjlEEPS9_SG_NS0_5tupleIJPjSI_NS0_16reverse_iteratorISI_EEEEENSH_IJSG_SG_SG_EEES9_SI_JZNS1_25segmented_radix_sort_implINS0_14default_configELb0EPKiPiPKlPlN2at6native12_GLOBAL__N_18offset_tEEE10hipError_tPvRmT1_PNSt15iterator_traitsIS12_E10value_typeET2_T3_PNS13_IS18_E10value_typeET4_jRbjT5_S1E_jjP12ihipStream_tbEUljE_ZNSN_ISO_Lb0ESQ_SR_ST_SU_SY_EESZ_S10_S11_S12_S16_S17_S18_S1B_S1C_jS1D_jS1E_S1E_jjS1G_bEUljE0_EEESZ_S10_S11_S18_S1C_S1E_T6_T7_T9_mT8_S1G_bDpT10_ENKUlT_T0_E_clISt17integral_constantIbLb1EES1T_IbLb0EEEEDaS1P_S1Q_EUlS1P_E_NS1_11comp_targetILNS1_3genE8ELNS1_11target_archE1030ELNS1_3gpuE2ELNS1_3repE0EEENS1_30default_config_static_selectorELNS0_4arch9wavefront6targetE0EEEvS12_.num_agpr, 0
	.set _ZN7rocprim17ROCPRIM_400000_NS6detail17trampoline_kernelINS0_13select_configILj256ELj13ELNS0_17block_load_methodE3ELS4_3ELS4_3ELNS0_20block_scan_algorithmE0ELj4294967295EEENS1_25partition_config_selectorILNS1_17partition_subalgoE4EjNS0_10empty_typeEbEEZZNS1_14partition_implILS8_4ELb0ES6_15HIP_vector_typeIjLj2EENS0_17counting_iteratorIjlEEPS9_SG_NS0_5tupleIJPjSI_NS0_16reverse_iteratorISI_EEEEENSH_IJSG_SG_SG_EEES9_SI_JZNS1_25segmented_radix_sort_implINS0_14default_configELb0EPKiPiPKlPlN2at6native12_GLOBAL__N_18offset_tEEE10hipError_tPvRmT1_PNSt15iterator_traitsIS12_E10value_typeET2_T3_PNS13_IS18_E10value_typeET4_jRbjT5_S1E_jjP12ihipStream_tbEUljE_ZNSN_ISO_Lb0ESQ_SR_ST_SU_SY_EESZ_S10_S11_S12_S16_S17_S18_S1B_S1C_jS1D_jS1E_S1E_jjS1G_bEUljE0_EEESZ_S10_S11_S18_S1C_S1E_T6_T7_T9_mT8_S1G_bDpT10_ENKUlT_T0_E_clISt17integral_constantIbLb1EES1T_IbLb0EEEEDaS1P_S1Q_EUlS1P_E_NS1_11comp_targetILNS1_3genE8ELNS1_11target_archE1030ELNS1_3gpuE2ELNS1_3repE0EEENS1_30default_config_static_selectorELNS0_4arch9wavefront6targetE0EEEvS12_.numbered_sgpr, 0
	.set _ZN7rocprim17ROCPRIM_400000_NS6detail17trampoline_kernelINS0_13select_configILj256ELj13ELNS0_17block_load_methodE3ELS4_3ELS4_3ELNS0_20block_scan_algorithmE0ELj4294967295EEENS1_25partition_config_selectorILNS1_17partition_subalgoE4EjNS0_10empty_typeEbEEZZNS1_14partition_implILS8_4ELb0ES6_15HIP_vector_typeIjLj2EENS0_17counting_iteratorIjlEEPS9_SG_NS0_5tupleIJPjSI_NS0_16reverse_iteratorISI_EEEEENSH_IJSG_SG_SG_EEES9_SI_JZNS1_25segmented_radix_sort_implINS0_14default_configELb0EPKiPiPKlPlN2at6native12_GLOBAL__N_18offset_tEEE10hipError_tPvRmT1_PNSt15iterator_traitsIS12_E10value_typeET2_T3_PNS13_IS18_E10value_typeET4_jRbjT5_S1E_jjP12ihipStream_tbEUljE_ZNSN_ISO_Lb0ESQ_SR_ST_SU_SY_EESZ_S10_S11_S12_S16_S17_S18_S1B_S1C_jS1D_jS1E_S1E_jjS1G_bEUljE0_EEESZ_S10_S11_S18_S1C_S1E_T6_T7_T9_mT8_S1G_bDpT10_ENKUlT_T0_E_clISt17integral_constantIbLb1EES1T_IbLb0EEEEDaS1P_S1Q_EUlS1P_E_NS1_11comp_targetILNS1_3genE8ELNS1_11target_archE1030ELNS1_3gpuE2ELNS1_3repE0EEENS1_30default_config_static_selectorELNS0_4arch9wavefront6targetE0EEEvS12_.num_named_barrier, 0
	.set _ZN7rocprim17ROCPRIM_400000_NS6detail17trampoline_kernelINS0_13select_configILj256ELj13ELNS0_17block_load_methodE3ELS4_3ELS4_3ELNS0_20block_scan_algorithmE0ELj4294967295EEENS1_25partition_config_selectorILNS1_17partition_subalgoE4EjNS0_10empty_typeEbEEZZNS1_14partition_implILS8_4ELb0ES6_15HIP_vector_typeIjLj2EENS0_17counting_iteratorIjlEEPS9_SG_NS0_5tupleIJPjSI_NS0_16reverse_iteratorISI_EEEEENSH_IJSG_SG_SG_EEES9_SI_JZNS1_25segmented_radix_sort_implINS0_14default_configELb0EPKiPiPKlPlN2at6native12_GLOBAL__N_18offset_tEEE10hipError_tPvRmT1_PNSt15iterator_traitsIS12_E10value_typeET2_T3_PNS13_IS18_E10value_typeET4_jRbjT5_S1E_jjP12ihipStream_tbEUljE_ZNSN_ISO_Lb0ESQ_SR_ST_SU_SY_EESZ_S10_S11_S12_S16_S17_S18_S1B_S1C_jS1D_jS1E_S1E_jjS1G_bEUljE0_EEESZ_S10_S11_S18_S1C_S1E_T6_T7_T9_mT8_S1G_bDpT10_ENKUlT_T0_E_clISt17integral_constantIbLb1EES1T_IbLb0EEEEDaS1P_S1Q_EUlS1P_E_NS1_11comp_targetILNS1_3genE8ELNS1_11target_archE1030ELNS1_3gpuE2ELNS1_3repE0EEENS1_30default_config_static_selectorELNS0_4arch9wavefront6targetE0EEEvS12_.private_seg_size, 0
	.set _ZN7rocprim17ROCPRIM_400000_NS6detail17trampoline_kernelINS0_13select_configILj256ELj13ELNS0_17block_load_methodE3ELS4_3ELS4_3ELNS0_20block_scan_algorithmE0ELj4294967295EEENS1_25partition_config_selectorILNS1_17partition_subalgoE4EjNS0_10empty_typeEbEEZZNS1_14partition_implILS8_4ELb0ES6_15HIP_vector_typeIjLj2EENS0_17counting_iteratorIjlEEPS9_SG_NS0_5tupleIJPjSI_NS0_16reverse_iteratorISI_EEEEENSH_IJSG_SG_SG_EEES9_SI_JZNS1_25segmented_radix_sort_implINS0_14default_configELb0EPKiPiPKlPlN2at6native12_GLOBAL__N_18offset_tEEE10hipError_tPvRmT1_PNSt15iterator_traitsIS12_E10value_typeET2_T3_PNS13_IS18_E10value_typeET4_jRbjT5_S1E_jjP12ihipStream_tbEUljE_ZNSN_ISO_Lb0ESQ_SR_ST_SU_SY_EESZ_S10_S11_S12_S16_S17_S18_S1B_S1C_jS1D_jS1E_S1E_jjS1G_bEUljE0_EEESZ_S10_S11_S18_S1C_S1E_T6_T7_T9_mT8_S1G_bDpT10_ENKUlT_T0_E_clISt17integral_constantIbLb1EES1T_IbLb0EEEEDaS1P_S1Q_EUlS1P_E_NS1_11comp_targetILNS1_3genE8ELNS1_11target_archE1030ELNS1_3gpuE2ELNS1_3repE0EEENS1_30default_config_static_selectorELNS0_4arch9wavefront6targetE0EEEvS12_.uses_vcc, 0
	.set _ZN7rocprim17ROCPRIM_400000_NS6detail17trampoline_kernelINS0_13select_configILj256ELj13ELNS0_17block_load_methodE3ELS4_3ELS4_3ELNS0_20block_scan_algorithmE0ELj4294967295EEENS1_25partition_config_selectorILNS1_17partition_subalgoE4EjNS0_10empty_typeEbEEZZNS1_14partition_implILS8_4ELb0ES6_15HIP_vector_typeIjLj2EENS0_17counting_iteratorIjlEEPS9_SG_NS0_5tupleIJPjSI_NS0_16reverse_iteratorISI_EEEEENSH_IJSG_SG_SG_EEES9_SI_JZNS1_25segmented_radix_sort_implINS0_14default_configELb0EPKiPiPKlPlN2at6native12_GLOBAL__N_18offset_tEEE10hipError_tPvRmT1_PNSt15iterator_traitsIS12_E10value_typeET2_T3_PNS13_IS18_E10value_typeET4_jRbjT5_S1E_jjP12ihipStream_tbEUljE_ZNSN_ISO_Lb0ESQ_SR_ST_SU_SY_EESZ_S10_S11_S12_S16_S17_S18_S1B_S1C_jS1D_jS1E_S1E_jjS1G_bEUljE0_EEESZ_S10_S11_S18_S1C_S1E_T6_T7_T9_mT8_S1G_bDpT10_ENKUlT_T0_E_clISt17integral_constantIbLb1EES1T_IbLb0EEEEDaS1P_S1Q_EUlS1P_E_NS1_11comp_targetILNS1_3genE8ELNS1_11target_archE1030ELNS1_3gpuE2ELNS1_3repE0EEENS1_30default_config_static_selectorELNS0_4arch9wavefront6targetE0EEEvS12_.uses_flat_scratch, 0
	.set _ZN7rocprim17ROCPRIM_400000_NS6detail17trampoline_kernelINS0_13select_configILj256ELj13ELNS0_17block_load_methodE3ELS4_3ELS4_3ELNS0_20block_scan_algorithmE0ELj4294967295EEENS1_25partition_config_selectorILNS1_17partition_subalgoE4EjNS0_10empty_typeEbEEZZNS1_14partition_implILS8_4ELb0ES6_15HIP_vector_typeIjLj2EENS0_17counting_iteratorIjlEEPS9_SG_NS0_5tupleIJPjSI_NS0_16reverse_iteratorISI_EEEEENSH_IJSG_SG_SG_EEES9_SI_JZNS1_25segmented_radix_sort_implINS0_14default_configELb0EPKiPiPKlPlN2at6native12_GLOBAL__N_18offset_tEEE10hipError_tPvRmT1_PNSt15iterator_traitsIS12_E10value_typeET2_T3_PNS13_IS18_E10value_typeET4_jRbjT5_S1E_jjP12ihipStream_tbEUljE_ZNSN_ISO_Lb0ESQ_SR_ST_SU_SY_EESZ_S10_S11_S12_S16_S17_S18_S1B_S1C_jS1D_jS1E_S1E_jjS1G_bEUljE0_EEESZ_S10_S11_S18_S1C_S1E_T6_T7_T9_mT8_S1G_bDpT10_ENKUlT_T0_E_clISt17integral_constantIbLb1EES1T_IbLb0EEEEDaS1P_S1Q_EUlS1P_E_NS1_11comp_targetILNS1_3genE8ELNS1_11target_archE1030ELNS1_3gpuE2ELNS1_3repE0EEENS1_30default_config_static_selectorELNS0_4arch9wavefront6targetE0EEEvS12_.has_dyn_sized_stack, 0
	.set _ZN7rocprim17ROCPRIM_400000_NS6detail17trampoline_kernelINS0_13select_configILj256ELj13ELNS0_17block_load_methodE3ELS4_3ELS4_3ELNS0_20block_scan_algorithmE0ELj4294967295EEENS1_25partition_config_selectorILNS1_17partition_subalgoE4EjNS0_10empty_typeEbEEZZNS1_14partition_implILS8_4ELb0ES6_15HIP_vector_typeIjLj2EENS0_17counting_iteratorIjlEEPS9_SG_NS0_5tupleIJPjSI_NS0_16reverse_iteratorISI_EEEEENSH_IJSG_SG_SG_EEES9_SI_JZNS1_25segmented_radix_sort_implINS0_14default_configELb0EPKiPiPKlPlN2at6native12_GLOBAL__N_18offset_tEEE10hipError_tPvRmT1_PNSt15iterator_traitsIS12_E10value_typeET2_T3_PNS13_IS18_E10value_typeET4_jRbjT5_S1E_jjP12ihipStream_tbEUljE_ZNSN_ISO_Lb0ESQ_SR_ST_SU_SY_EESZ_S10_S11_S12_S16_S17_S18_S1B_S1C_jS1D_jS1E_S1E_jjS1G_bEUljE0_EEESZ_S10_S11_S18_S1C_S1E_T6_T7_T9_mT8_S1G_bDpT10_ENKUlT_T0_E_clISt17integral_constantIbLb1EES1T_IbLb0EEEEDaS1P_S1Q_EUlS1P_E_NS1_11comp_targetILNS1_3genE8ELNS1_11target_archE1030ELNS1_3gpuE2ELNS1_3repE0EEENS1_30default_config_static_selectorELNS0_4arch9wavefront6targetE0EEEvS12_.has_recursion, 0
	.set _ZN7rocprim17ROCPRIM_400000_NS6detail17trampoline_kernelINS0_13select_configILj256ELj13ELNS0_17block_load_methodE3ELS4_3ELS4_3ELNS0_20block_scan_algorithmE0ELj4294967295EEENS1_25partition_config_selectorILNS1_17partition_subalgoE4EjNS0_10empty_typeEbEEZZNS1_14partition_implILS8_4ELb0ES6_15HIP_vector_typeIjLj2EENS0_17counting_iteratorIjlEEPS9_SG_NS0_5tupleIJPjSI_NS0_16reverse_iteratorISI_EEEEENSH_IJSG_SG_SG_EEES9_SI_JZNS1_25segmented_radix_sort_implINS0_14default_configELb0EPKiPiPKlPlN2at6native12_GLOBAL__N_18offset_tEEE10hipError_tPvRmT1_PNSt15iterator_traitsIS12_E10value_typeET2_T3_PNS13_IS18_E10value_typeET4_jRbjT5_S1E_jjP12ihipStream_tbEUljE_ZNSN_ISO_Lb0ESQ_SR_ST_SU_SY_EESZ_S10_S11_S12_S16_S17_S18_S1B_S1C_jS1D_jS1E_S1E_jjS1G_bEUljE0_EEESZ_S10_S11_S18_S1C_S1E_T6_T7_T9_mT8_S1G_bDpT10_ENKUlT_T0_E_clISt17integral_constantIbLb1EES1T_IbLb0EEEEDaS1P_S1Q_EUlS1P_E_NS1_11comp_targetILNS1_3genE8ELNS1_11target_archE1030ELNS1_3gpuE2ELNS1_3repE0EEENS1_30default_config_static_selectorELNS0_4arch9wavefront6targetE0EEEvS12_.has_indirect_call, 0
	.section	.AMDGPU.csdata,"",@progbits
; Kernel info:
; codeLenInByte = 0
; TotalNumSgprs: 0
; NumVgprs: 0
; ScratchSize: 0
; MemoryBound: 0
; FloatMode: 240
; IeeeMode: 1
; LDSByteSize: 0 bytes/workgroup (compile time only)
; SGPRBlocks: 0
; VGPRBlocks: 0
; NumSGPRsForWavesPerEU: 1
; NumVGPRsForWavesPerEU: 1
; NamedBarCnt: 0
; Occupancy: 16
; WaveLimiterHint : 0
; COMPUTE_PGM_RSRC2:SCRATCH_EN: 0
; COMPUTE_PGM_RSRC2:USER_SGPR: 2
; COMPUTE_PGM_RSRC2:TRAP_HANDLER: 0
; COMPUTE_PGM_RSRC2:TGID_X_EN: 1
; COMPUTE_PGM_RSRC2:TGID_Y_EN: 0
; COMPUTE_PGM_RSRC2:TGID_Z_EN: 0
; COMPUTE_PGM_RSRC2:TIDIG_COMP_CNT: 0
	.section	.text._ZN7rocprim17ROCPRIM_400000_NS6detail17trampoline_kernelINS0_13select_configILj256ELj13ELNS0_17block_load_methodE3ELS4_3ELS4_3ELNS0_20block_scan_algorithmE0ELj4294967295EEENS1_25partition_config_selectorILNS1_17partition_subalgoE4EjNS0_10empty_typeEbEEZZNS1_14partition_implILS8_4ELb0ES6_15HIP_vector_typeIjLj2EENS0_17counting_iteratorIjlEEPS9_SG_NS0_5tupleIJPjSI_NS0_16reverse_iteratorISI_EEEEENSH_IJSG_SG_SG_EEES9_SI_JZNS1_25segmented_radix_sort_implINS0_14default_configELb0EPKiPiPKlPlN2at6native12_GLOBAL__N_18offset_tEEE10hipError_tPvRmT1_PNSt15iterator_traitsIS12_E10value_typeET2_T3_PNS13_IS18_E10value_typeET4_jRbjT5_S1E_jjP12ihipStream_tbEUljE_ZNSN_ISO_Lb0ESQ_SR_ST_SU_SY_EESZ_S10_S11_S12_S16_S17_S18_S1B_S1C_jS1D_jS1E_S1E_jjS1G_bEUljE0_EEESZ_S10_S11_S18_S1C_S1E_T6_T7_T9_mT8_S1G_bDpT10_ENKUlT_T0_E_clISt17integral_constantIbLb0EES1T_IbLb1EEEEDaS1P_S1Q_EUlS1P_E_NS1_11comp_targetILNS1_3genE0ELNS1_11target_archE4294967295ELNS1_3gpuE0ELNS1_3repE0EEENS1_30default_config_static_selectorELNS0_4arch9wavefront6targetE0EEEvS12_,"axG",@progbits,_ZN7rocprim17ROCPRIM_400000_NS6detail17trampoline_kernelINS0_13select_configILj256ELj13ELNS0_17block_load_methodE3ELS4_3ELS4_3ELNS0_20block_scan_algorithmE0ELj4294967295EEENS1_25partition_config_selectorILNS1_17partition_subalgoE4EjNS0_10empty_typeEbEEZZNS1_14partition_implILS8_4ELb0ES6_15HIP_vector_typeIjLj2EENS0_17counting_iteratorIjlEEPS9_SG_NS0_5tupleIJPjSI_NS0_16reverse_iteratorISI_EEEEENSH_IJSG_SG_SG_EEES9_SI_JZNS1_25segmented_radix_sort_implINS0_14default_configELb0EPKiPiPKlPlN2at6native12_GLOBAL__N_18offset_tEEE10hipError_tPvRmT1_PNSt15iterator_traitsIS12_E10value_typeET2_T3_PNS13_IS18_E10value_typeET4_jRbjT5_S1E_jjP12ihipStream_tbEUljE_ZNSN_ISO_Lb0ESQ_SR_ST_SU_SY_EESZ_S10_S11_S12_S16_S17_S18_S1B_S1C_jS1D_jS1E_S1E_jjS1G_bEUljE0_EEESZ_S10_S11_S18_S1C_S1E_T6_T7_T9_mT8_S1G_bDpT10_ENKUlT_T0_E_clISt17integral_constantIbLb0EES1T_IbLb1EEEEDaS1P_S1Q_EUlS1P_E_NS1_11comp_targetILNS1_3genE0ELNS1_11target_archE4294967295ELNS1_3gpuE0ELNS1_3repE0EEENS1_30default_config_static_selectorELNS0_4arch9wavefront6targetE0EEEvS12_,comdat
	.globl	_ZN7rocprim17ROCPRIM_400000_NS6detail17trampoline_kernelINS0_13select_configILj256ELj13ELNS0_17block_load_methodE3ELS4_3ELS4_3ELNS0_20block_scan_algorithmE0ELj4294967295EEENS1_25partition_config_selectorILNS1_17partition_subalgoE4EjNS0_10empty_typeEbEEZZNS1_14partition_implILS8_4ELb0ES6_15HIP_vector_typeIjLj2EENS0_17counting_iteratorIjlEEPS9_SG_NS0_5tupleIJPjSI_NS0_16reverse_iteratorISI_EEEEENSH_IJSG_SG_SG_EEES9_SI_JZNS1_25segmented_radix_sort_implINS0_14default_configELb0EPKiPiPKlPlN2at6native12_GLOBAL__N_18offset_tEEE10hipError_tPvRmT1_PNSt15iterator_traitsIS12_E10value_typeET2_T3_PNS13_IS18_E10value_typeET4_jRbjT5_S1E_jjP12ihipStream_tbEUljE_ZNSN_ISO_Lb0ESQ_SR_ST_SU_SY_EESZ_S10_S11_S12_S16_S17_S18_S1B_S1C_jS1D_jS1E_S1E_jjS1G_bEUljE0_EEESZ_S10_S11_S18_S1C_S1E_T6_T7_T9_mT8_S1G_bDpT10_ENKUlT_T0_E_clISt17integral_constantIbLb0EES1T_IbLb1EEEEDaS1P_S1Q_EUlS1P_E_NS1_11comp_targetILNS1_3genE0ELNS1_11target_archE4294967295ELNS1_3gpuE0ELNS1_3repE0EEENS1_30default_config_static_selectorELNS0_4arch9wavefront6targetE0EEEvS12_ ; -- Begin function _ZN7rocprim17ROCPRIM_400000_NS6detail17trampoline_kernelINS0_13select_configILj256ELj13ELNS0_17block_load_methodE3ELS4_3ELS4_3ELNS0_20block_scan_algorithmE0ELj4294967295EEENS1_25partition_config_selectorILNS1_17partition_subalgoE4EjNS0_10empty_typeEbEEZZNS1_14partition_implILS8_4ELb0ES6_15HIP_vector_typeIjLj2EENS0_17counting_iteratorIjlEEPS9_SG_NS0_5tupleIJPjSI_NS0_16reverse_iteratorISI_EEEEENSH_IJSG_SG_SG_EEES9_SI_JZNS1_25segmented_radix_sort_implINS0_14default_configELb0EPKiPiPKlPlN2at6native12_GLOBAL__N_18offset_tEEE10hipError_tPvRmT1_PNSt15iterator_traitsIS12_E10value_typeET2_T3_PNS13_IS18_E10value_typeET4_jRbjT5_S1E_jjP12ihipStream_tbEUljE_ZNSN_ISO_Lb0ESQ_SR_ST_SU_SY_EESZ_S10_S11_S12_S16_S17_S18_S1B_S1C_jS1D_jS1E_S1E_jjS1G_bEUljE0_EEESZ_S10_S11_S18_S1C_S1E_T6_T7_T9_mT8_S1G_bDpT10_ENKUlT_T0_E_clISt17integral_constantIbLb0EES1T_IbLb1EEEEDaS1P_S1Q_EUlS1P_E_NS1_11comp_targetILNS1_3genE0ELNS1_11target_archE4294967295ELNS1_3gpuE0ELNS1_3repE0EEENS1_30default_config_static_selectorELNS0_4arch9wavefront6targetE0EEEvS12_
	.p2align	8
	.type	_ZN7rocprim17ROCPRIM_400000_NS6detail17trampoline_kernelINS0_13select_configILj256ELj13ELNS0_17block_load_methodE3ELS4_3ELS4_3ELNS0_20block_scan_algorithmE0ELj4294967295EEENS1_25partition_config_selectorILNS1_17partition_subalgoE4EjNS0_10empty_typeEbEEZZNS1_14partition_implILS8_4ELb0ES6_15HIP_vector_typeIjLj2EENS0_17counting_iteratorIjlEEPS9_SG_NS0_5tupleIJPjSI_NS0_16reverse_iteratorISI_EEEEENSH_IJSG_SG_SG_EEES9_SI_JZNS1_25segmented_radix_sort_implINS0_14default_configELb0EPKiPiPKlPlN2at6native12_GLOBAL__N_18offset_tEEE10hipError_tPvRmT1_PNSt15iterator_traitsIS12_E10value_typeET2_T3_PNS13_IS18_E10value_typeET4_jRbjT5_S1E_jjP12ihipStream_tbEUljE_ZNSN_ISO_Lb0ESQ_SR_ST_SU_SY_EESZ_S10_S11_S12_S16_S17_S18_S1B_S1C_jS1D_jS1E_S1E_jjS1G_bEUljE0_EEESZ_S10_S11_S18_S1C_S1E_T6_T7_T9_mT8_S1G_bDpT10_ENKUlT_T0_E_clISt17integral_constantIbLb0EES1T_IbLb1EEEEDaS1P_S1Q_EUlS1P_E_NS1_11comp_targetILNS1_3genE0ELNS1_11target_archE4294967295ELNS1_3gpuE0ELNS1_3repE0EEENS1_30default_config_static_selectorELNS0_4arch9wavefront6targetE0EEEvS12_,@function
_ZN7rocprim17ROCPRIM_400000_NS6detail17trampoline_kernelINS0_13select_configILj256ELj13ELNS0_17block_load_methodE3ELS4_3ELS4_3ELNS0_20block_scan_algorithmE0ELj4294967295EEENS1_25partition_config_selectorILNS1_17partition_subalgoE4EjNS0_10empty_typeEbEEZZNS1_14partition_implILS8_4ELb0ES6_15HIP_vector_typeIjLj2EENS0_17counting_iteratorIjlEEPS9_SG_NS0_5tupleIJPjSI_NS0_16reverse_iteratorISI_EEEEENSH_IJSG_SG_SG_EEES9_SI_JZNS1_25segmented_radix_sort_implINS0_14default_configELb0EPKiPiPKlPlN2at6native12_GLOBAL__N_18offset_tEEE10hipError_tPvRmT1_PNSt15iterator_traitsIS12_E10value_typeET2_T3_PNS13_IS18_E10value_typeET4_jRbjT5_S1E_jjP12ihipStream_tbEUljE_ZNSN_ISO_Lb0ESQ_SR_ST_SU_SY_EESZ_S10_S11_S12_S16_S17_S18_S1B_S1C_jS1D_jS1E_S1E_jjS1G_bEUljE0_EEESZ_S10_S11_S18_S1C_S1E_T6_T7_T9_mT8_S1G_bDpT10_ENKUlT_T0_E_clISt17integral_constantIbLb0EES1T_IbLb1EEEEDaS1P_S1Q_EUlS1P_E_NS1_11comp_targetILNS1_3genE0ELNS1_11target_archE4294967295ELNS1_3gpuE0ELNS1_3repE0EEENS1_30default_config_static_selectorELNS0_4arch9wavefront6targetE0EEEvS12_: ; @_ZN7rocprim17ROCPRIM_400000_NS6detail17trampoline_kernelINS0_13select_configILj256ELj13ELNS0_17block_load_methodE3ELS4_3ELS4_3ELNS0_20block_scan_algorithmE0ELj4294967295EEENS1_25partition_config_selectorILNS1_17partition_subalgoE4EjNS0_10empty_typeEbEEZZNS1_14partition_implILS8_4ELb0ES6_15HIP_vector_typeIjLj2EENS0_17counting_iteratorIjlEEPS9_SG_NS0_5tupleIJPjSI_NS0_16reverse_iteratorISI_EEEEENSH_IJSG_SG_SG_EEES9_SI_JZNS1_25segmented_radix_sort_implINS0_14default_configELb0EPKiPiPKlPlN2at6native12_GLOBAL__N_18offset_tEEE10hipError_tPvRmT1_PNSt15iterator_traitsIS12_E10value_typeET2_T3_PNS13_IS18_E10value_typeET4_jRbjT5_S1E_jjP12ihipStream_tbEUljE_ZNSN_ISO_Lb0ESQ_SR_ST_SU_SY_EESZ_S10_S11_S12_S16_S17_S18_S1B_S1C_jS1D_jS1E_S1E_jjS1G_bEUljE0_EEESZ_S10_S11_S18_S1C_S1E_T6_T7_T9_mT8_S1G_bDpT10_ENKUlT_T0_E_clISt17integral_constantIbLb0EES1T_IbLb1EEEEDaS1P_S1Q_EUlS1P_E_NS1_11comp_targetILNS1_3genE0ELNS1_11target_archE4294967295ELNS1_3gpuE0ELNS1_3repE0EEENS1_30default_config_static_selectorELNS0_4arch9wavefront6targetE0EEEvS12_
; %bb.0:
	s_clause 0x7
	s_load_b64 s[34:35], s[0:1], 0x10
	s_load_b128 s[28:31], s[0:1], 0x28
	s_load_b64 s[14:15], s[0:1], 0x38
	s_load_b128 s[24:27], s[0:1], 0x58
	s_load_b64 s[4:5], s[0:1], 0x68
	s_load_b64 s[36:37], s[0:1], 0x78
	;; [unrolled: 1-line block ×3, first 2 shown]
	s_load_b256 s[16:23], s[0:1], 0x90
	v_cmp_eq_u32_e64 s2, 0, v0
	s_and_saveexec_b32 s3, s2
	s_cbranch_execz .LBB556_4
; %bb.1:
	s_mov_b32 s7, exec_lo
	s_mov_b32 s6, exec_lo
	v_mbcnt_lo_u32_b32 v1, s7, 0
                                        ; implicit-def: $vgpr2
	s_delay_alu instid0(VALU_DEP_1)
	v_cmpx_eq_u32_e32 0, v1
	s_cbranch_execz .LBB556_3
; %bb.2:
	s_load_b64 s[8:9], s[0:1], 0x88
	s_bcnt1_i32_b32 s7, s7
	s_delay_alu instid0(SALU_CYCLE_1)
	v_dual_mov_b32 v2, 0 :: v_dual_mov_b32 v3, s7
	s_wait_xcnt 0x0
	s_wait_kmcnt 0x0
	global_atomic_add_u32 v2, v2, v3, s[8:9] th:TH_ATOMIC_RETURN scope:SCOPE_DEV
.LBB556_3:
	s_wait_xcnt 0x0
	s_or_b32 exec_lo, exec_lo, s6
	s_wait_loadcnt 0x0
	v_readfirstlane_b32 s6, v2
	s_delay_alu instid0(VALU_DEP_1)
	v_dual_mov_b32 v2, 0 :: v_dual_add_nc_u32 v1, s6, v1
	ds_store_b32 v2, v1
.LBB556_4:
	s_or_b32 exec_lo, exec_lo, s3
	v_mov_b32_e32 v1, 0
	s_clause 0x1
	s_load_b32 s3, s[0:1], 0x8
	s_load_b32 s6, s[0:1], 0x80
	s_wait_dscnt 0x0
	s_barrier_signal -1
	s_barrier_wait -1
	ds_load_b32 v6, v1
	s_wait_dscnt 0x0
	s_barrier_signal -1
	s_barrier_wait -1
	s_wait_kmcnt 0x0
	global_load_b128 v[2:5], v1, s[26:27]
	s_mov_b32 s1, 0
	s_add_co_i32 s3, s3, s34
	s_mul_i32 s0, s6, 0xd00
	s_add_co_i32 s6, s6, -1
	s_add_nc_u64 s[8:9], s[34:35], s[0:1]
	s_delay_alu instid0(SALU_CYCLE_1)
	v_cmp_gt_u64_e64 s1, s[4:5], s[8:9]
	v_mul_lo_u32 v14, 0xd00, v6
	s_wait_xcnt 0x0
	v_readfirstlane_b32 s27, v6
	v_cmp_ne_u32_e32 vcc_lo, s6, v6
	s_cmp_eq_u32 s27, s6
	s_cselect_b32 s26, -1, 0
	s_or_b32 s1, s1, vcc_lo
	v_add3_u32 v1, v14, s3, v0
	s_and_b32 vcc_lo, exec_lo, s1
	s_mov_b32 s3, -1
	s_delay_alu instid0(VALU_DEP_1)
	v_add_nc_u32_e32 v6, 0x100, v1
	v_add_nc_u32_e32 v7, 0x200, v1
	;; [unrolled: 1-line block ×12, first 2 shown]
	s_cbranch_vccz .LBB556_6
; %bb.5:
	v_lshlrev_b32_e32 v19, 2, v0
	s_mov_b32 s3, 0
	ds_store_2addr_stride64_b32 v19, v1, v6 offset1:4
	ds_store_2addr_stride64_b32 v19, v7, v8 offset0:8 offset1:12
	ds_store_2addr_stride64_b32 v19, v9, v10 offset0:16 offset1:20
	;; [unrolled: 1-line block ×5, first 2 shown]
	ds_store_b32 v19, v18 offset:12288
	s_wait_loadcnt_dscnt 0x0
	s_barrier_signal -1
	s_barrier_wait -1
.LBB556_6:
	s_and_not1_b32 vcc_lo, exec_lo, s3
	s_add_co_i32 s0, s0, s34
	s_cbranch_vccnz .LBB556_8
; %bb.7:
	v_lshlrev_b32_e32 v19, 2, v0
	ds_store_2addr_stride64_b32 v19, v1, v6 offset1:4
	ds_store_2addr_stride64_b32 v19, v7, v8 offset0:8 offset1:12
	ds_store_2addr_stride64_b32 v19, v9, v10 offset0:16 offset1:20
	;; [unrolled: 1-line block ×5, first 2 shown]
	ds_store_b32 v19, v18 offset:12288
	s_wait_loadcnt_dscnt 0x0
	s_barrier_signal -1
	s_barrier_wait -1
.LBB556_8:
	v_mul_u32_u24_e32 v15, 13, v0
	s_wait_loadcnt 0x0
	v_cndmask_b32_e64 v35, 0, 1, s1
	s_sub_co_i32 s33, s4, s0
	s_and_not1_b32 vcc_lo, exec_lo, s1
	v_lshlrev_b32_e32 v1, 2, v15
	ds_load_b32 v34, v1 offset:48
	ds_load_2addr_b32 v[16:17], v1 offset0:10 offset1:11
	ds_load_2addr_b32 v[18:19], v1 offset0:8 offset1:9
	;; [unrolled: 1-line block ×4, first 2 shown]
	ds_load_2addr_b32 v[26:27], v1 offset1:1
	ds_load_2addr_b32 v[24:25], v1 offset0:2 offset1:3
	s_wait_dscnt 0x0
	s_barrier_signal -1
	s_barrier_wait -1
	s_cbranch_vccnz .LBB556_36
; %bb.9:
	v_dual_add_nc_u32 v1, s17, v26 :: v_dual_add_nc_u32 v6, s19, v26
	s_mov_b32 s41, 0
	s_mov_b32 s40, 0
	s_mov_b32 s1, exec_lo
	s_delay_alu instid0(VALU_DEP_1) | instskip(SKIP_1) | instid1(VALU_DEP_1)
	v_mul_lo_u32 v1, v1, s16
	v_mul_lo_u32 v6, v6, s18
	v_sub_nc_u32_e32 v1, v1, v6
	s_delay_alu instid0(VALU_DEP_1)
	v_cmp_lt_u32_e32 vcc_lo, s20, v1
	v_cmpx_ge_u32_e64 s20, v1
	s_cbranch_execz .LBB556_11
; %bb.10:
	v_dual_add_nc_u32 v1, s22, v26 :: v_dual_add_nc_u32 v6, s38, v26
	s_delay_alu instid0(VALU_DEP_1) | instskip(NEXT) | instid1(VALU_DEP_2)
	v_mul_lo_u32 v1, v1, s21
	v_mul_lo_u32 v6, v6, s23
	s_delay_alu instid0(VALU_DEP_1) | instskip(NEXT) | instid1(VALU_DEP_1)
	v_sub_nc_u32_e32 v1, v1, v6
	v_cmp_lt_u32_e64 s0, s39, v1
	s_and_b32 s40, s0, exec_lo
.LBB556_11:
	s_or_b32 exec_lo, exec_lo, s1
	v_dual_add_nc_u32 v1, s17, v27 :: v_dual_add_nc_u32 v6, s19, v27
	s_mov_b32 s3, exec_lo
	s_delay_alu instid0(VALU_DEP_1) | instskip(NEXT) | instid1(VALU_DEP_2)
	v_mul_lo_u32 v1, v1, s16
	v_mul_lo_u32 v6, v6, s18
	s_delay_alu instid0(VALU_DEP_1) | instskip(NEXT) | instid1(VALU_DEP_1)
	v_sub_nc_u32_e32 v1, v1, v6
	v_cmp_lt_u32_e64 s0, s20, v1
	v_cmpx_ge_u32_e64 s20, v1
	s_cbranch_execz .LBB556_13
; %bb.12:
	v_dual_add_nc_u32 v1, s22, v27 :: v_dual_add_nc_u32 v6, s38, v27
	s_delay_alu instid0(VALU_DEP_1) | instskip(NEXT) | instid1(VALU_DEP_2)
	v_mul_lo_u32 v1, v1, s21
	v_mul_lo_u32 v6, v6, s23
	s_delay_alu instid0(VALU_DEP_1) | instskip(NEXT) | instid1(VALU_DEP_1)
	v_sub_nc_u32_e32 v1, v1, v6
	v_cmp_lt_u32_e64 s1, s39, v1
	s_and_b32 s41, s1, exec_lo
.LBB556_13:
	s_or_b32 exec_lo, exec_lo, s3
	v_dual_add_nc_u32 v1, s17, v24 :: v_dual_add_nc_u32 v6, s19, v24
	s_mov_b32 s43, 0
	s_mov_b32 s42, 0
	s_mov_b32 s4, exec_lo
	s_delay_alu instid0(VALU_DEP_1) | instskip(SKIP_1) | instid1(VALU_DEP_1)
	v_mul_lo_u32 v1, v1, s16
	v_mul_lo_u32 v6, v6, s18
	v_sub_nc_u32_e32 v1, v1, v6
	s_delay_alu instid0(VALU_DEP_1)
	v_cmp_lt_u32_e64 s1, s20, v1
	v_cmpx_ge_u32_e64 s20, v1
	s_cbranch_execz .LBB556_15
; %bb.14:
	v_dual_add_nc_u32 v1, s22, v24 :: v_dual_add_nc_u32 v6, s38, v24
	s_delay_alu instid0(VALU_DEP_1) | instskip(NEXT) | instid1(VALU_DEP_2)
	v_mul_lo_u32 v1, v1, s21
	v_mul_lo_u32 v6, v6, s23
	s_delay_alu instid0(VALU_DEP_1) | instskip(NEXT) | instid1(VALU_DEP_1)
	v_sub_nc_u32_e32 v1, v1, v6
	v_cmp_lt_u32_e64 s3, s39, v1
	s_and_b32 s42, s3, exec_lo
.LBB556_15:
	s_or_b32 exec_lo, exec_lo, s4
	v_dual_add_nc_u32 v1, s17, v25 :: v_dual_add_nc_u32 v6, s19, v25
	s_mov_b32 s5, exec_lo
	s_delay_alu instid0(VALU_DEP_1) | instskip(NEXT) | instid1(VALU_DEP_2)
	v_mul_lo_u32 v1, v1, s16
	v_mul_lo_u32 v6, v6, s18
	s_delay_alu instid0(VALU_DEP_1) | instskip(NEXT) | instid1(VALU_DEP_1)
	v_sub_nc_u32_e32 v1, v1, v6
	v_cmp_lt_u32_e64 s3, s20, v1
	v_cmpx_ge_u32_e64 s20, v1
	s_cbranch_execz .LBB556_17
; %bb.16:
	v_dual_add_nc_u32 v1, s22, v25 :: v_dual_add_nc_u32 v6, s38, v25
	s_delay_alu instid0(VALU_DEP_1) | instskip(NEXT) | instid1(VALU_DEP_2)
	v_mul_lo_u32 v1, v1, s21
	v_mul_lo_u32 v6, v6, s23
	s_delay_alu instid0(VALU_DEP_1) | instskip(NEXT) | instid1(VALU_DEP_1)
	v_sub_nc_u32_e32 v1, v1, v6
	v_cmp_lt_u32_e64 s4, s39, v1
	s_and_b32 s43, s4, exec_lo
.LBB556_17:
	s_or_b32 exec_lo, exec_lo, s5
	v_dual_add_nc_u32 v1, s17, v22 :: v_dual_add_nc_u32 v6, s19, v22
	s_mov_b32 s45, 0
	s_mov_b32 s44, 0
	s_mov_b32 s6, exec_lo
	s_delay_alu instid0(VALU_DEP_1) | instskip(SKIP_1) | instid1(VALU_DEP_1)
	v_mul_lo_u32 v1, v1, s16
	v_mul_lo_u32 v6, v6, s18
	v_sub_nc_u32_e32 v1, v1, v6
	s_delay_alu instid0(VALU_DEP_1)
	v_cmp_lt_u32_e64 s4, s20, v1
	;; [unrolled: 44-line block ×6, first 2 shown]
	v_cmpx_ge_u32_e64 s20, v1
	s_cbranch_execz .LBB556_35
; %bb.34:
	v_dual_add_nc_u32 v1, s22, v34 :: v_dual_add_nc_u32 v6, s38, v34
	s_delay_alu instid0(VALU_DEP_1) | instskip(NEXT) | instid1(VALU_DEP_2)
	v_mul_lo_u32 v1, v1, s21
	v_mul_lo_u32 v6, v6, s23
	s_delay_alu instid0(VALU_DEP_1) | instskip(NEXT) | instid1(VALU_DEP_1)
	v_sub_nc_u32_e32 v1, v1, v6
	v_cmp_lt_u32_e64 s13, s39, v1
	s_and_b32 s53, s13, exec_lo
.LBB556_35:
	s_or_b32 exec_lo, exec_lo, s54
	v_cndmask_b32_e64 v6, 0, 1, s0
	v_cndmask_b32_e64 v8, 0, 1, s3
	v_cndmask_b32_e64 v1, 0, 1, vcc_lo
	v_cndmask_b32_e64 v7, 0, 1, s1
	v_cndmask_b32_e64 v10, 0, 1, s5
	v_lshlrev_b16 v6, 8, v6
	v_lshlrev_b16 v8, 8, v8
	v_cndmask_b32_e64 v12, 0, 1, s7
	v_cndmask_b32_e64 v28, 0, 1, s9
	;; [unrolled: 1-line block ×3, first 2 shown]
	v_or_b32_e32 v1, v1, v6
	v_or_b32_e32 v6, v7, v8
	v_cndmask_b32_e64 v8, 0, 1, s42
	v_cndmask_b32_e64 v9, 0, 1, s4
	;; [unrolled: 1-line block ×4, first 2 shown]
	v_lshlrev_b32_e32 v6, 16, v6
	v_and_b32_e32 v1, 0xffff, v1
	v_cndmask_b32_e64 v38, 0, 1, s46
	v_cndmask_b32_e64 v41, 0, 1, s44
	;; [unrolled: 1-line block ×4, first 2 shown]
	v_or_b32_e32 v36, v1, v6
	v_lshlrev_b16 v1, 8, v10
	v_lshlrev_b16 v6, 8, v12
	;; [unrolled: 1-line block ×5, first 2 shown]
	v_cndmask_b32_e64 v11, 0, 1, s6
	v_cndmask_b32_e64 v30, 0, 1, s52
	;; [unrolled: 1-line block ×6, first 2 shown]
	v_lshlrev_b16 v28, 8, v44
	v_or_b32_e32 v8, v42, v8
	v_or_b32_e32 v1, v9, v1
	;; [unrolled: 1-line block ×4, first 2 shown]
	v_lshlrev_b16 v12, 8, v41
	v_lshlrev_b16 v13, 8, v38
	v_cndmask_b32_e64 v32, 0, 1, s50
	v_cndmask_b32_e64 v37, 0, 1, s47
	v_lshlrev_b16 v29, 8, v30
	v_or_b32_e32 v7, v7, v12
	v_or_b32_e32 v12, v40, v13
	;; [unrolled: 1-line block ×4, first 2 shown]
	v_lshlrev_b16 v28, 8, v33
	v_dual_lshlrev_b32 v10, 16, v10 :: v_dual_lshlrev_b32 v8, 16, v8
	v_and_b32_e32 v1, 0xffff, v1
	s_delay_alu instid0(VALU_DEP_4) | instskip(NEXT) | instid1(VALU_DEP_4)
	v_and_b32_e32 v11, 0xffff, v11
	v_or_b32_e32 v13, v37, v28
	v_or_b32_e32 v28, v32, v29
	v_and_b32_e32 v7, 0xffff, v7
	v_dual_lshlrev_b32 v12, 16, v12 :: v_dual_lshlrev_b32 v6, 16, v6
	s_delay_alu instid0(VALU_DEP_4) | instskip(NEXT) | instid1(VALU_DEP_4)
	v_and_b32_e32 v13, 0xffff, v13
	v_lshlrev_b32_e32 v28, 16, v28
	v_and_b32_e32 v9, 0xffff, v9
	v_cndmask_b32_e64 v39, 0, 1, s51
	v_cndmask_b32_e64 v43, 0, 1, s53
	v_or_b32_e32 v38, v1, v6
	v_or_b32_e32 v42, v11, v8
	;; [unrolled: 1-line block ×5, first 2 shown]
	s_and_b32 vcc_lo, exec_lo, s48
	s_add_co_i32 s5, s33, 0xd00
	s_cbranch_vccnz .LBB556_37
	s_branch .LBB556_114
.LBB556_36:
                                        ; implicit-def: $vgpr43
                                        ; implicit-def: $vgpr39
                                        ; implicit-def: $vgpr40
                                        ; implicit-def: $vgpr37
                                        ; implicit-def: $vgpr42
                                        ; implicit-def: $vgpr41
                                        ; implicit-def: $vgpr38
                                        ; implicit-def: $vgpr36
	s_add_co_i32 s5, s33, 0xd00
	s_cbranch_execz .LBB556_114
.LBB556_37:
	v_dual_mov_b32 v6, 0 :: v_dual_mov_b32 v1, 0
	s_mov_b32 s1, exec_lo
	v_cmpx_gt_u32_e64 s5, v15
	s_cbranch_execz .LBB556_41
; %bb.38:
	v_dual_add_nc_u32 v1, s17, v26 :: v_dual_add_nc_u32 v6, s19, v26
	s_mov_b32 s4, 0
	s_mov_b32 s3, exec_lo
	s_delay_alu instid0(VALU_DEP_1) | instskip(NEXT) | instid1(VALU_DEP_2)
	v_mul_lo_u32 v1, v1, s16
	v_mul_lo_u32 v6, v6, s18
	s_delay_alu instid0(VALU_DEP_1) | instskip(NEXT) | instid1(VALU_DEP_1)
	v_sub_nc_u32_e32 v1, v1, v6
	v_cmp_lt_u32_e32 vcc_lo, s20, v1
	v_cmpx_ge_u32_e64 s20, v1
	s_cbranch_execz .LBB556_40
; %bb.39:
	v_dual_add_nc_u32 v1, s22, v26 :: v_dual_add_nc_u32 v6, s38, v26
	s_delay_alu instid0(VALU_DEP_1) | instskip(NEXT) | instid1(VALU_DEP_2)
	v_mul_lo_u32 v1, v1, s21
	v_mul_lo_u32 v6, v6, s23
	s_delay_alu instid0(VALU_DEP_1) | instskip(NEXT) | instid1(VALU_DEP_1)
	v_sub_nc_u32_e32 v1, v1, v6
	v_cmp_lt_u32_e64 s0, s39, v1
	s_and_b32 s4, s0, exec_lo
.LBB556_40:
	s_or_b32 exec_lo, exec_lo, s3
	v_cndmask_b32_e64 v6, 0, 1, s4
	v_cndmask_b32_e64 v1, 0, 1, vcc_lo
.LBB556_41:
	s_or_b32 exec_lo, exec_lo, s1
	s_delay_alu instid0(VALU_DEP_2) | instskip(SKIP_1) | instid1(VALU_DEP_2)
	v_lshlrev_b16 v6, 8, v6
	v_lshlrev_b16 v13, 8, 0
                                        ; implicit-def: $vgpr9
                                        ; implicit-def: $vgpr11
                                        ; implicit-def: $vgpr8
                                        ; implicit-def: $vgpr12
	v_and_b32_e32 v10, 0xffff, v6
	v_add_nc_u32_e32 v7, 1, v15
                                        ; implicit-def: $vgpr6
	s_delay_alu instid0(VALU_DEP_2) | instskip(NEXT) | instid1(VALU_DEP_2)
	v_lshrrev_b32_e32 v28, 8, v10
	v_cmp_le_u32_e32 vcc_lo, s5, v7
                                        ; implicit-def: $vgpr7
	s_and_saveexec_b32 s0, vcc_lo
	s_delay_alu instid0(SALU_CYCLE_1)
	s_xor_b32 s0, exec_lo, s0
	s_cbranch_execz .LBB556_43
; %bb.42:
	v_lshlrev_b16 v6, 8, v28
	v_bitop3_b16 v7, 0, v13, 0xff bitop3:0xec
	v_and_b32_e32 v12, 0xff, v1
                                        ; implicit-def: $vgpr1
                                        ; implicit-def: $vgpr13
                                        ; implicit-def: $vgpr28
	v_mov_b32_e32 v9, 0
	s_delay_alu instid0(VALU_DEP_4) | instskip(SKIP_3) | instid1(VALU_DEP_4)
	v_bitop3_b16 v10, v10, v6, 0xff bitop3:0xec
	v_mov_b32_e32 v6, 0
	v_and_b32_e32 v8, 0xffff, v7
	v_and_b32_e32 v7, 0xffff, v7
	;; [unrolled: 1-line block ×3, first 2 shown]
                                        ; implicit-def: $vgpr10
.LBB556_43:
	s_and_not1_saveexec_b32 s1, s0
	s_cbranch_execz .LBB556_47
; %bb.44:
	v_dual_add_nc_u32 v6, s17, v27 :: v_dual_add_nc_u32 v7, s19, v27
	s_mov_b32 s3, 0
	s_mov_b32 s4, exec_lo
	s_delay_alu instid0(VALU_DEP_1) | instskip(NEXT) | instid1(VALU_DEP_2)
	v_mul_lo_u32 v6, v6, s16
	v_mul_lo_u32 v7, v7, s18
	s_delay_alu instid0(VALU_DEP_1) | instskip(NEXT) | instid1(VALU_DEP_1)
	v_sub_nc_u32_e32 v6, v6, v7
	v_cmp_lt_u32_e32 vcc_lo, s20, v6
	v_cmpx_ge_u32_e64 s20, v6
	s_cbranch_execz .LBB556_46
; %bb.45:
	v_dual_add_nc_u32 v6, s22, v27 :: v_dual_add_nc_u32 v7, s38, v27
	s_delay_alu instid0(VALU_DEP_1) | instskip(NEXT) | instid1(VALU_DEP_2)
	v_mul_lo_u32 v6, v6, s21
	v_mul_lo_u32 v7, v7, s23
	s_delay_alu instid0(VALU_DEP_1) | instskip(NEXT) | instid1(VALU_DEP_1)
	v_sub_nc_u32_e32 v6, v6, v7
	v_cmp_lt_u32_e64 s0, s39, v6
	s_and_b32 s3, s0, exec_lo
.LBB556_46:
	s_or_b32 exec_lo, exec_lo, s4
	v_cndmask_b32_e64 v6, 0, 1, vcc_lo
	v_lshlrev_b16 v7, 8, v28
	v_cndmask_b32_e64 v11, 0, 1, s3
	v_mov_b32_e32 v9, 0
	s_delay_alu instid0(VALU_DEP_4) | instskip(NEXT) | instid1(VALU_DEP_4)
	v_lshlrev_b16 v6, 8, v6
	v_bitop3_b16 v7, v10, v7, 0xff bitop3:0xec
	v_bitop3_b16 v10, 0, v13, 0xff bitop3:0xec
	s_delay_alu instid0(VALU_DEP_3) | instskip(NEXT) | instid1(VALU_DEP_3)
	v_bitop3_b16 v1, v1, v6, 0xff bitop3:0xec
	v_and_b32_e32 v7, 0xffff, v7
	v_mov_b32_e32 v6, 0
	s_delay_alu instid0(VALU_DEP_4) | instskip(NEXT) | instid1(VALU_DEP_4)
	v_and_b32_e32 v8, 0xffff, v10
	v_and_b32_e32 v12, 0xffff, v1
	s_delay_alu instid0(VALU_DEP_4)
	v_lshl_or_b32 v11, v11, 16, v7
	v_and_b32_e32 v7, 0xffff, v10
.LBB556_47:
	s_or_b32 exec_lo, exec_lo, s1
	s_delay_alu instid0(VALU_DEP_3) | instskip(NEXT) | instid1(VALU_DEP_1)
	v_dual_add_nc_u32 v1, 2, v15 :: v_dual_lshrrev_b32 v13, 8, v12
                                        ; implicit-def: $vgpr10
	v_cmp_le_u32_e32 vcc_lo, s5, v1
                                        ; implicit-def: $vgpr1
	s_and_saveexec_b32 s0, vcc_lo
	s_delay_alu instid0(SALU_CYCLE_1)
	s_xor_b32 s0, exec_lo, s0
	s_cbranch_execz .LBB556_49
; %bb.48:
	v_lshlrev_b16 v1, 8, v13
	v_and_b32_e32 v13, 0xff0000, v11
	v_perm_b32 v8, v8, v8, 0x3060504
	s_delay_alu instid0(VALU_DEP_3) | instskip(NEXT) | instid1(VALU_DEP_1)
	v_bitop3_b16 v1, v12, v1, 0xff bitop3:0xec
	v_and_b32_e32 v1, 0xffff, v1
	s_delay_alu instid0(VALU_DEP_1)
	v_and_or_b32 v10, 0xff000000, v12, v1
	v_perm_b32 v1, v11, v13, 0x3020504
                                        ; implicit-def: $vgpr13
                                        ; implicit-def: $vgpr12
                                        ; implicit-def: $vgpr11
.LBB556_49:
	s_and_not1_saveexec_b32 s1, s0
	s_cbranch_execz .LBB556_53
; %bb.50:
	v_dual_add_nc_u32 v1, s17, v24 :: v_dual_add_nc_u32 v10, s19, v24
	s_mov_b32 s3, 0
	s_mov_b32 s4, exec_lo
	s_delay_alu instid0(VALU_DEP_1) | instskip(NEXT) | instid1(VALU_DEP_2)
	v_mul_lo_u32 v1, v1, s16
	v_mul_lo_u32 v10, v10, s18
	s_delay_alu instid0(VALU_DEP_1) | instskip(NEXT) | instid1(VALU_DEP_1)
	v_sub_nc_u32_e32 v1, v1, v10
	v_cmp_lt_u32_e32 vcc_lo, s20, v1
	v_cmpx_ge_u32_e64 s20, v1
	s_cbranch_execz .LBB556_52
; %bb.51:
	v_dual_add_nc_u32 v1, s22, v24 :: v_dual_add_nc_u32 v10, s38, v24
	s_delay_alu instid0(VALU_DEP_1) | instskip(NEXT) | instid1(VALU_DEP_2)
	v_mul_lo_u32 v1, v1, s21
	v_mul_lo_u32 v10, v10, s23
	s_delay_alu instid0(VALU_DEP_1) | instskip(NEXT) | instid1(VALU_DEP_1)
	v_sub_nc_u32_e32 v1, v1, v10
	v_cmp_lt_u32_e64 s0, s39, v1
	s_and_b32 s3, s0, exec_lo
.LBB556_52:
	s_or_b32 exec_lo, exec_lo, s4
	v_dual_lshrrev_b32 v1, 24, v12 :: v_dual_lshrrev_b32 v29, 8, v11
	v_cndmask_b32_e64 v10, 0, 1, s3
	v_cndmask_b32_e64 v28, 0, 1, vcc_lo
	v_lshlrev_b16 v13, 8, v13
	s_delay_alu instid0(VALU_DEP_4)
	v_lshlrev_b16 v1, 8, v1
	v_lshrrev_b32_e32 v30, 16, v11
	v_lshlrev_b16 v10, 8, v10
	v_lshlrev_b16 v29, 8, v29
	v_bitop3_b16 v12, v12, v13, 0xff bitop3:0xec
	v_or_b32_e32 v1, v28, v1
	s_delay_alu instid0(VALU_DEP_4) | instskip(NEXT) | instid1(VALU_DEP_4)
	v_bitop3_b16 v10, v30, v10, 0xff bitop3:0xec
	v_bitop3_b16 v11, v11, v29, 0xff bitop3:0xec
	s_delay_alu instid0(VALU_DEP_4) | instskip(NEXT) | instid1(VALU_DEP_3)
	v_and_b32_e32 v12, 0xffff, v12
	v_dual_lshlrev_b32 v1, 16, v1 :: v_dual_lshlrev_b32 v13, 16, v10
	s_delay_alu instid0(VALU_DEP_3) | instskip(NEXT) | instid1(VALU_DEP_2)
	v_and_b32_e32 v11, 0xffff, v11
	v_or_b32_e32 v10, v12, v1
	s_delay_alu instid0(VALU_DEP_2)
	v_or_b32_e32 v1, v11, v13
.LBB556_53:
	s_or_b32 exec_lo, exec_lo, s1
	v_dual_add_nc_u32 v12, 3, v15 :: v_dual_lshrrev_b32 v13, 24, v9
	v_lshrrev_b32_e32 v11, 16, v9
                                        ; implicit-def: $vgpr36
	s_delay_alu instid0(VALU_DEP_2) | instskip(SKIP_2) | instid1(SALU_CYCLE_1)
	v_cmp_le_u32_e32 vcc_lo, s5, v12
	v_lshrrev_b32_e32 v12, 8, v9
                                        ; implicit-def: $vgpr9
	s_and_saveexec_b32 s0, vcc_lo
	s_xor_b32 s0, exec_lo, s0
	s_cbranch_execz .LBB556_55
; %bb.54:
	v_lshlrev_b16 v9, 8, v13
	v_lshlrev_b16 v12, 8, v12
	v_perm_b32 v8, v8, v8, 0x3060504
	v_perm_b32 v7, v7, v7, 0x3060504
                                        ; implicit-def: $vgpr13
	s_delay_alu instid0(VALU_DEP_4) | instskip(SKIP_2) | instid1(VALU_DEP_3)
	v_bitop3_b16 v9, v11, v9, 0xff bitop3:0xec
	v_and_b32_e32 v11, 0xff0000, v10
	v_and_b32_e32 v12, 0xffff, v12
	v_lshlrev_b32_e32 v9, 16, v9
	s_delay_alu instid0(VALU_DEP_3) | instskip(NEXT) | instid1(VALU_DEP_2)
	v_perm_b32 v36, v10, v11, 0x3020504
                                        ; implicit-def: $vgpr10
                                        ; implicit-def: $vgpr11
	v_or_b32_e32 v9, v12, v9
                                        ; implicit-def: $vgpr12
.LBB556_55:
	s_and_not1_saveexec_b32 s1, s0
	s_cbranch_execz .LBB556_59
; %bb.56:
	v_dual_add_nc_u32 v9, s17, v25 :: v_dual_add_nc_u32 v28, s19, v25
	s_mov_b32 s3, 0
	s_mov_b32 s4, exec_lo
	s_delay_alu instid0(VALU_DEP_1) | instskip(NEXT) | instid1(VALU_DEP_2)
	v_mul_lo_u32 v9, v9, s16
	v_mul_lo_u32 v28, v28, s18
	s_delay_alu instid0(VALU_DEP_1) | instskip(NEXT) | instid1(VALU_DEP_1)
	v_sub_nc_u32_e32 v9, v9, v28
	v_cmp_lt_u32_e32 vcc_lo, s20, v9
	v_cmpx_ge_u32_e64 s20, v9
	s_cbranch_execz .LBB556_58
; %bb.57:
	v_dual_add_nc_u32 v9, s22, v25 :: v_dual_add_nc_u32 v28, s38, v25
	s_delay_alu instid0(VALU_DEP_1) | instskip(NEXT) | instid1(VALU_DEP_2)
	v_mul_lo_u32 v9, v9, s21
	v_mul_lo_u32 v28, v28, s23
	s_delay_alu instid0(VALU_DEP_1) | instskip(NEXT) | instid1(VALU_DEP_1)
	v_sub_nc_u32_e32 v9, v9, v28
	v_cmp_lt_u32_e64 s0, s39, v9
	s_and_b32 s3, s0, exec_lo
.LBB556_58:
	s_or_b32 exec_lo, exec_lo, s4
	v_cndmask_b32_e64 v9, 0, 1, vcc_lo
	v_dual_lshrrev_b32 v28, 8, v10 :: v_dual_lshrrev_b32 v30, 16, v10
	v_cndmask_b32_e64 v29, 0, 1, s3
	v_lshlrev_b16 v13, 8, v13
	s_delay_alu instid0(VALU_DEP_4) | instskip(NEXT) | instid1(VALU_DEP_4)
	v_lshlrev_b16 v9, 8, v9
	v_lshlrev_b16 v28, 8, v28
	;; [unrolled: 1-line block ×3, first 2 shown]
	s_delay_alu instid0(VALU_DEP_4) | instskip(NEXT) | instid1(VALU_DEP_4)
	v_bitop3_b16 v11, v11, v13, 0xff bitop3:0xec
	v_bitop3_b16 v9, v30, v9, 0xff bitop3:0xec
	s_delay_alu instid0(VALU_DEP_4) | instskip(NEXT) | instid1(VALU_DEP_3)
	v_bitop3_b16 v10, v10, v28, 0xff bitop3:0xec
	v_dual_lshlrev_b32 v11, 16, v11 :: v_dual_bitop2_b32 v12, v29, v12 bitop3:0x54
	s_delay_alu instid0(VALU_DEP_3) | instskip(NEXT) | instid1(VALU_DEP_3)
	v_lshlrev_b32_e32 v9, 16, v9
	v_and_b32_e32 v10, 0xffff, v10
	s_delay_alu instid0(VALU_DEP_3) | instskip(NEXT) | instid1(VALU_DEP_2)
	v_and_b32_e32 v12, 0xffff, v12
	v_or_b32_e32 v36, v10, v9
	s_delay_alu instid0(VALU_DEP_2)
	v_or_b32_e32 v9, v12, v11
.LBB556_59:
	s_or_b32 exec_lo, exec_lo, s1
	v_dual_add_nc_u32 v10, 4, v15 :: v_dual_lshrrev_b32 v28, 8, v8
	v_dual_lshrrev_b32 v11, 16, v8 :: v_dual_lshrrev_b32 v29, 24, v8
	s_delay_alu instid0(VALU_DEP_3) | instskip(NEXT) | instid1(VALU_DEP_3)
	v_dual_lshrrev_b32 v13, 24, v9 :: v_dual_lshrrev_b32 v12, 16, v9
	v_cmp_le_u32_e32 vcc_lo, s5, v10
                                        ; implicit-def: $vgpr8
                                        ; implicit-def: $vgpr10
	s_and_saveexec_b32 s0, vcc_lo
	s_delay_alu instid0(SALU_CYCLE_1)
	s_xor_b32 s0, exec_lo, s0
	s_cbranch_execz .LBB556_61
; %bb.60:
	v_lshlrev_b16 v8, 8, v29
	v_lshlrev_b16 v10, 8, v28
	;; [unrolled: 1-line block ×3, first 2 shown]
	v_perm_b32 v7, v7, v7, 0x3060504
                                        ; implicit-def: $vgpr28
                                        ; implicit-def: $vgpr29
	s_delay_alu instid0(VALU_DEP_4) | instskip(NEXT) | instid1(VALU_DEP_4)
	v_bitop3_b16 v8, v11, v8, 0xff bitop3:0xec
	v_and_b32_e32 v10, 0xffff, v10
	s_delay_alu instid0(VALU_DEP_4) | instskip(NEXT) | instid1(VALU_DEP_3)
	v_bitop3_b16 v11, v12, v13, 0xff bitop3:0xec
                                        ; implicit-def: $vgpr13
	v_lshlrev_b32_e32 v12, 16, v8
	s_delay_alu instid0(VALU_DEP_2) | instskip(NEXT) | instid1(VALU_DEP_2)
	v_perm_b32 v8, v11, v9, 0x5040c00
                                        ; implicit-def: $vgpr9
                                        ; implicit-def: $vgpr11
	v_or_b32_e32 v10, v10, v12
                                        ; implicit-def: $vgpr12
.LBB556_61:
	s_and_not1_saveexec_b32 s1, s0
	s_cbranch_execz .LBB556_65
; %bb.62:
	v_dual_add_nc_u32 v8, s17, v22 :: v_dual_add_nc_u32 v10, s19, v22
	s_mov_b32 s3, 0
	s_mov_b32 s4, exec_lo
	s_delay_alu instid0(VALU_DEP_1) | instskip(NEXT) | instid1(VALU_DEP_2)
	v_mul_lo_u32 v8, v8, s16
	v_mul_lo_u32 v10, v10, s18
	s_delay_alu instid0(VALU_DEP_1) | instskip(NEXT) | instid1(VALU_DEP_1)
	v_sub_nc_u32_e32 v8, v8, v10
	v_cmp_lt_u32_e32 vcc_lo, s20, v8
	v_cmpx_ge_u32_e64 s20, v8
	s_cbranch_execz .LBB556_64
; %bb.63:
	v_dual_add_nc_u32 v8, s22, v22 :: v_dual_add_nc_u32 v10, s38, v22
	s_delay_alu instid0(VALU_DEP_1) | instskip(NEXT) | instid1(VALU_DEP_2)
	v_mul_lo_u32 v8, v8, s21
	v_mul_lo_u32 v10, v10, s23
	s_delay_alu instid0(VALU_DEP_1) | instskip(NEXT) | instid1(VALU_DEP_1)
	v_sub_nc_u32_e32 v8, v8, v10
	v_cmp_lt_u32_e64 s0, s39, v8
	s_and_b32 s3, s0, exec_lo
.LBB556_64:
	s_or_b32 exec_lo, exec_lo, s4
	v_cndmask_b32_e64 v8, 0, 1, s3
	v_cndmask_b32_e64 v10, 0, 1, vcc_lo
	v_lshlrev_b16 v29, 8, v29
	v_lshlrev_b16 v28, 8, v28
	;; [unrolled: 1-line block ×4, first 2 shown]
	s_delay_alu instid0(VALU_DEP_4) | instskip(NEXT) | instid1(VALU_DEP_4)
	v_bitop3_b16 v11, v11, v29, 0xff bitop3:0xec
	v_or_b32_e32 v10, v10, v28
	s_delay_alu instid0(VALU_DEP_4) | instskip(NEXT) | instid1(VALU_DEP_4)
	v_bitop3_b16 v12, v12, v13, 0xff bitop3:0xec
	v_bitop3_b16 v8, v9, v8, 0xff bitop3:0xec
	s_delay_alu instid0(VALU_DEP_4) | instskip(NEXT) | instid1(VALU_DEP_4)
	v_lshlrev_b32_e32 v9, 16, v11
	v_and_b32_e32 v10, 0xffff, v10
	s_delay_alu instid0(VALU_DEP_4) | instskip(NEXT) | instid1(VALU_DEP_4)
	v_lshlrev_b32_e32 v11, 16, v12
	v_and_b32_e32 v8, 0xffff, v8
	s_delay_alu instid0(VALU_DEP_3) | instskip(NEXT) | instid1(VALU_DEP_2)
	v_or_b32_e32 v10, v10, v9
	v_or_b32_e32 v8, v8, v11
.LBB556_65:
	s_or_b32 exec_lo, exec_lo, s1
	s_delay_alu instid0(VALU_DEP_1) | instskip(NEXT) | instid1(VALU_DEP_2)
	v_dual_add_nc_u32 v9, 5, v15 :: v_dual_lshrrev_b32 v12, 16, v10
	v_dual_lshrrev_b32 v13, 24, v10 :: v_dual_lshrrev_b32 v28, 8, v8
                                        ; implicit-def: $vgpr11
	s_delay_alu instid0(VALU_DEP_2) | instskip(SKIP_1) | instid1(SALU_CYCLE_1)
	v_cmp_le_u32_e32 vcc_lo, s5, v9
                                        ; implicit-def: $vgpr9
	s_and_saveexec_b32 s0, vcc_lo
	s_xor_b32 s0, exec_lo, s0
	s_cbranch_execz .LBB556_67
; %bb.66:
	v_lshlrev_b16 v9, 8, v28
	v_lshlrev_b16 v11, 8, v13
	v_perm_b32 v7, v7, v7, 0x3060504
                                        ; implicit-def: $vgpr13
                                        ; implicit-def: $vgpr28
	s_delay_alu instid0(VALU_DEP_3) | instskip(NEXT) | instid1(VALU_DEP_3)
	v_bitop3_b16 v9, v8, v9, 0xff bitop3:0xec
	v_bitop3_b16 v11, v12, v11, 0xff bitop3:0xec
                                        ; implicit-def: $vgpr12
	s_delay_alu instid0(VALU_DEP_2) | instskip(NEXT) | instid1(VALU_DEP_2)
	v_and_b32_e32 v9, 0xffff, v9
	v_perm_b32 v11, v11, v10, 0x5040c00
                                        ; implicit-def: $vgpr10
	s_delay_alu instid0(VALU_DEP_2)
	v_and_or_b32 v9, 0xff000000, v8, v9
                                        ; implicit-def: $vgpr8
.LBB556_67:
	s_and_not1_saveexec_b32 s1, s0
	s_cbranch_execz .LBB556_71
; %bb.68:
	v_dual_add_nc_u32 v9, s17, v23 :: v_dual_add_nc_u32 v11, s19, v23
	s_mov_b32 s3, 0
	s_mov_b32 s4, exec_lo
	s_delay_alu instid0(VALU_DEP_1) | instskip(NEXT) | instid1(VALU_DEP_2)
	v_mul_lo_u32 v9, v9, s16
	v_mul_lo_u32 v11, v11, s18
	s_delay_alu instid0(VALU_DEP_1) | instskip(NEXT) | instid1(VALU_DEP_1)
	v_sub_nc_u32_e32 v9, v9, v11
	v_cmp_lt_u32_e32 vcc_lo, s20, v9
	v_cmpx_ge_u32_e64 s20, v9
	s_cbranch_execz .LBB556_70
; %bb.69:
	v_dual_add_nc_u32 v9, s22, v23 :: v_dual_add_nc_u32 v11, s38, v23
	s_delay_alu instid0(VALU_DEP_1) | instskip(NEXT) | instid1(VALU_DEP_2)
	v_mul_lo_u32 v9, v9, s21
	v_mul_lo_u32 v11, v11, s23
	s_delay_alu instid0(VALU_DEP_1) | instskip(NEXT) | instid1(VALU_DEP_1)
	v_sub_nc_u32_e32 v9, v9, v11
	v_cmp_lt_u32_e64 s0, s39, v9
	s_and_b32 s3, s0, exec_lo
.LBB556_70:
	s_or_b32 exec_lo, exec_lo, s4
	v_cndmask_b32_e64 v9, 0, 1, vcc_lo
	v_lshrrev_b32_e32 v11, 24, v8
	v_cndmask_b32_e64 v29, 0, 1, s3
	v_lshlrev_b16 v13, 8, v13
	v_lshlrev_b16 v28, 8, v28
	;; [unrolled: 1-line block ×4, first 2 shown]
	s_delay_alu instid0(VALU_DEP_4) | instskip(NEXT) | instid1(VALU_DEP_4)
	v_bitop3_b16 v12, v12, v13, 0xff bitop3:0xec
	v_bitop3_b16 v8, v8, v28, 0xff bitop3:0xec
	s_delay_alu instid0(VALU_DEP_4) | instskip(NEXT) | instid1(VALU_DEP_3)
	v_bitop3_b16 v9, v10, v9, 0xff bitop3:0xec
	v_dual_lshlrev_b32 v11, 16, v12 :: v_dual_bitop2_b32 v10, v29, v11 bitop3:0x54
	s_delay_alu instid0(VALU_DEP_3) | instskip(NEXT) | instid1(VALU_DEP_3)
	v_and_b32_e32 v8, 0xffff, v8
	v_and_b32_e32 v9, 0xffff, v9
	s_delay_alu instid0(VALU_DEP_1) | instskip(NEXT) | instid1(VALU_DEP_1)
	v_dual_lshlrev_b32 v10, 16, v10 :: v_dual_bitop2_b32 v11, v9, v11 bitop3:0x54
	v_or_b32_e32 v9, v8, v10
.LBB556_71:
	s_or_b32 exec_lo, exec_lo, s1
	v_add_nc_u32_e32 v8, 6, v15
	s_delay_alu instid0(VALU_DEP_3) | instskip(NEXT) | instid1(VALU_DEP_2)
	v_lshrrev_b32_e32 v10, 8, v11
                                        ; implicit-def: $vgpr37
	v_cmp_le_u32_e32 vcc_lo, s5, v8
                                        ; implicit-def: $vgpr8
	s_and_saveexec_b32 s0, vcc_lo
	s_delay_alu instid0(SALU_CYCLE_1)
	s_xor_b32 s0, exec_lo, s0
	s_cbranch_execz .LBB556_73
; %bb.72:
	v_lshlrev_b16 v8, 8, v10
	v_and_b32_e32 v10, 0xff0000, v9
	v_perm_b32 v7, v7, v7, 0x3060504
	s_delay_alu instid0(VALU_DEP_3) | instskip(NEXT) | instid1(VALU_DEP_3)
	v_bitop3_b16 v8, v11, v8, 0xff bitop3:0xec
	v_perm_b32 v37, v9, v10, 0x3020504
                                        ; implicit-def: $vgpr10
                                        ; implicit-def: $vgpr9
	s_delay_alu instid0(VALU_DEP_2) | instskip(NEXT) | instid1(VALU_DEP_1)
	v_and_b32_e32 v8, 0xffff, v8
	v_and_or_b32 v8, 0xff000000, v11, v8
                                        ; implicit-def: $vgpr11
.LBB556_73:
	s_and_not1_saveexec_b32 s1, s0
	s_cbranch_execz .LBB556_77
; %bb.74:
	v_dual_add_nc_u32 v8, s17, v20 :: v_dual_add_nc_u32 v12, s19, v20
	s_mov_b32 s3, 0
	s_mov_b32 s4, exec_lo
	s_delay_alu instid0(VALU_DEP_1) | instskip(NEXT) | instid1(VALU_DEP_2)
	v_mul_lo_u32 v8, v8, s16
	v_mul_lo_u32 v12, v12, s18
	s_delay_alu instid0(VALU_DEP_1) | instskip(NEXT) | instid1(VALU_DEP_1)
	v_sub_nc_u32_e32 v8, v8, v12
	v_cmp_lt_u32_e32 vcc_lo, s20, v8
	v_cmpx_ge_u32_e64 s20, v8
	s_cbranch_execz .LBB556_76
; %bb.75:
	v_dual_add_nc_u32 v8, s22, v20 :: v_dual_add_nc_u32 v12, s38, v20
	s_delay_alu instid0(VALU_DEP_1) | instskip(NEXT) | instid1(VALU_DEP_2)
	v_mul_lo_u32 v8, v8, s21
	v_mul_lo_u32 v12, v12, s23
	s_delay_alu instid0(VALU_DEP_1) | instskip(NEXT) | instid1(VALU_DEP_1)
	v_sub_nc_u32_e32 v8, v8, v12
	v_cmp_lt_u32_e64 s0, s39, v8
	s_and_b32 s3, s0, exec_lo
.LBB556_76:
	s_or_b32 exec_lo, exec_lo, s4
	v_dual_lshrrev_b32 v8, 24, v11 :: v_dual_lshrrev_b32 v28, 8, v9
	v_cndmask_b32_e64 v12, 0, 1, s3
	v_cndmask_b32_e64 v13, 0, 1, vcc_lo
	v_lshlrev_b16 v10, 8, v10
	s_delay_alu instid0(VALU_DEP_4)
	v_lshlrev_b16 v8, 8, v8
	v_lshrrev_b32_e32 v29, 16, v9
	v_lshlrev_b16 v12, 8, v12
	v_lshlrev_b16 v28, 8, v28
	v_bitop3_b16 v10, v11, v10, 0xff bitop3:0xec
	v_or_b32_e32 v8, v13, v8
	s_delay_alu instid0(VALU_DEP_4) | instskip(NEXT) | instid1(VALU_DEP_4)
	v_bitop3_b16 v11, v29, v12, 0xff bitop3:0xec
	v_bitop3_b16 v9, v9, v28, 0xff bitop3:0xec
	s_delay_alu instid0(VALU_DEP_4) | instskip(NEXT) | instid1(VALU_DEP_3)
	v_and_b32_e32 v10, 0xffff, v10
	v_dual_lshlrev_b32 v8, 16, v8 :: v_dual_lshlrev_b32 v11, 16, v11
	s_delay_alu instid0(VALU_DEP_3) | instskip(NEXT) | instid1(VALU_DEP_2)
	v_and_b32_e32 v9, 0xffff, v9
	v_or_b32_e32 v8, v10, v8
	s_delay_alu instid0(VALU_DEP_2)
	v_or_b32_e32 v37, v9, v11
.LBB556_77:
	s_or_b32 exec_lo, exec_lo, s1
	v_add_nc_u32_e32 v11, 7, v15
	v_dual_lshrrev_b32 v9, 8, v7 :: v_dual_lshrrev_b32 v10, 16, v7
                                        ; implicit-def: $vgpr38
	s_delay_alu instid0(VALU_DEP_2) | instskip(SKIP_2) | instid1(SALU_CYCLE_1)
	v_cmp_le_u32_e32 vcc_lo, s5, v11
	v_lshrrev_b32_e32 v11, 24, v7
                                        ; implicit-def: $vgpr7
	s_and_saveexec_b32 s0, vcc_lo
	s_xor_b32 s0, exec_lo, s0
	s_cbranch_execz .LBB556_79
; %bb.78:
	s_delay_alu instid0(VALU_DEP_1) | instskip(SKIP_1) | instid1(VALU_DEP_2)
	v_lshlrev_b16 v7, 8, v11
	v_lshlrev_b16 v9, 8, v9
                                        ; implicit-def: $vgpr11
	v_bitop3_b16 v7, v10, v7, 0xff bitop3:0xec
	v_and_b32_e32 v10, 0xff0000, v8
	s_delay_alu instid0(VALU_DEP_3) | instskip(NEXT) | instid1(VALU_DEP_3)
	v_and_b32_e32 v9, 0xffff, v9
	v_lshlrev_b32_e32 v7, 16, v7
	s_delay_alu instid0(VALU_DEP_3) | instskip(NEXT) | instid1(VALU_DEP_2)
	v_perm_b32 v38, v8, v10, 0x3020504
                                        ; implicit-def: $vgpr8
                                        ; implicit-def: $vgpr10
	v_or_b32_e32 v7, v9, v7
                                        ; implicit-def: $vgpr9
.LBB556_79:
	s_and_not1_saveexec_b32 s1, s0
	s_cbranch_execz .LBB556_83
; %bb.80:
	v_dual_add_nc_u32 v7, s17, v21 :: v_dual_add_nc_u32 v12, s19, v21
	s_mov_b32 s3, 0
	s_mov_b32 s4, exec_lo
	s_delay_alu instid0(VALU_DEP_1) | instskip(NEXT) | instid1(VALU_DEP_2)
	v_mul_lo_u32 v7, v7, s16
	v_mul_lo_u32 v12, v12, s18
	s_delay_alu instid0(VALU_DEP_1) | instskip(NEXT) | instid1(VALU_DEP_1)
	v_sub_nc_u32_e32 v7, v7, v12
	v_cmp_lt_u32_e32 vcc_lo, s20, v7
	v_cmpx_ge_u32_e64 s20, v7
	s_cbranch_execz .LBB556_82
; %bb.81:
	v_dual_add_nc_u32 v7, s22, v21 :: v_dual_add_nc_u32 v12, s38, v21
	s_delay_alu instid0(VALU_DEP_1) | instskip(NEXT) | instid1(VALU_DEP_2)
	v_mul_lo_u32 v7, v7, s21
	v_mul_lo_u32 v12, v12, s23
	s_delay_alu instid0(VALU_DEP_1) | instskip(NEXT) | instid1(VALU_DEP_1)
	v_sub_nc_u32_e32 v7, v7, v12
	v_cmp_lt_u32_e64 s0, s39, v7
	s_and_b32 s3, s0, exec_lo
.LBB556_82:
	s_or_b32 exec_lo, exec_lo, s4
	v_cndmask_b32_e64 v7, 0, 1, vcc_lo
	v_dual_lshrrev_b32 v12, 8, v8 :: v_dual_lshrrev_b32 v28, 16, v8
	v_cndmask_b32_e64 v13, 0, 1, s3
	v_lshlrev_b16 v11, 8, v11
	s_delay_alu instid0(VALU_DEP_4) | instskip(NEXT) | instid1(VALU_DEP_4)
	v_lshlrev_b16 v7, 8, v7
	v_lshlrev_b16 v12, 8, v12
	;; [unrolled: 1-line block ×3, first 2 shown]
	s_delay_alu instid0(VALU_DEP_4) | instskip(NEXT) | instid1(VALU_DEP_4)
	v_bitop3_b16 v10, v10, v11, 0xff bitop3:0xec
	v_bitop3_b16 v7, v28, v7, 0xff bitop3:0xec
	s_delay_alu instid0(VALU_DEP_4) | instskip(NEXT) | instid1(VALU_DEP_3)
	v_bitop3_b16 v8, v8, v12, 0xff bitop3:0xec
	v_dual_lshlrev_b32 v10, 16, v10 :: v_dual_bitop2_b32 v9, v13, v9 bitop3:0x54
	s_delay_alu instid0(VALU_DEP_3) | instskip(NEXT) | instid1(VALU_DEP_3)
	v_lshlrev_b32_e32 v7, 16, v7
	v_and_b32_e32 v8, 0xffff, v8
	s_delay_alu instid0(VALU_DEP_3) | instskip(NEXT) | instid1(VALU_DEP_2)
	v_and_b32_e32 v9, 0xffff, v9
	v_or_b32_e32 v38, v8, v7
	s_delay_alu instid0(VALU_DEP_2)
	v_or_b32_e32 v7, v9, v10
.LBB556_83:
	s_or_b32 exec_lo, exec_lo, s1
	v_dual_add_nc_u32 v8, 8, v15 :: v_dual_lshrrev_b32 v13, 24, v6
	s_delay_alu instid0(VALU_DEP_2) | instskip(SKIP_1) | instid1(VALU_DEP_3)
	v_dual_lshrrev_b32 v9, 16, v7 :: v_dual_lshrrev_b32 v10, 24, v7
	v_dual_lshrrev_b32 v11, 16, v6 :: v_dual_lshrrev_b32 v12, 8, v6
	v_cmp_le_u32_e32 vcc_lo, s5, v8
                                        ; implicit-def: $vgpr6
                                        ; implicit-def: $vgpr8
	s_and_saveexec_b32 s0, vcc_lo
	s_delay_alu instid0(SALU_CYCLE_1)
	s_xor_b32 s0, exec_lo, s0
	s_cbranch_execz .LBB556_85
; %bb.84:
	v_lshlrev_b16 v6, 8, v13
	v_lshlrev_b16 v8, 8, v12
	;; [unrolled: 1-line block ×3, first 2 shown]
	v_perm_b32 v1, v1, v1, 0x3060504
                                        ; implicit-def: $vgpr13
                                        ; implicit-def: $vgpr12
	s_delay_alu instid0(VALU_DEP_4) | instskip(NEXT) | instid1(VALU_DEP_4)
	v_bitop3_b16 v6, v11, v6, 0xff bitop3:0xec
	v_and_b32_e32 v8, 0xffff, v8
	s_delay_alu instid0(VALU_DEP_4) | instskip(NEXT) | instid1(VALU_DEP_3)
	v_bitop3_b16 v9, v9, v10, 0xff bitop3:0xec
                                        ; implicit-def: $vgpr10
                                        ; implicit-def: $vgpr11
	v_lshlrev_b32_e32 v6, 16, v6
	s_delay_alu instid0(VALU_DEP_1) | instskip(NEXT) | instid1(VALU_DEP_3)
	v_or_b32_e32 v8, v8, v6
	v_perm_b32 v6, v9, v7, 0x5040c00
                                        ; implicit-def: $vgpr7
                                        ; implicit-def: $vgpr9
.LBB556_85:
	s_and_not1_saveexec_b32 s1, s0
	s_cbranch_execz .LBB556_89
; %bb.86:
	v_dual_add_nc_u32 v6, s17, v18 :: v_dual_add_nc_u32 v8, s19, v18
	s_mov_b32 s3, 0
	s_mov_b32 s4, exec_lo
	s_delay_alu instid0(VALU_DEP_1) | instskip(NEXT) | instid1(VALU_DEP_2)
	v_mul_lo_u32 v6, v6, s16
	v_mul_lo_u32 v8, v8, s18
	s_delay_alu instid0(VALU_DEP_1) | instskip(NEXT) | instid1(VALU_DEP_1)
	v_sub_nc_u32_e32 v6, v6, v8
	v_cmp_lt_u32_e32 vcc_lo, s20, v6
	v_cmpx_ge_u32_e64 s20, v6
	s_cbranch_execz .LBB556_88
; %bb.87:
	v_dual_add_nc_u32 v6, s22, v18 :: v_dual_add_nc_u32 v8, s38, v18
	s_delay_alu instid0(VALU_DEP_1) | instskip(NEXT) | instid1(VALU_DEP_2)
	v_mul_lo_u32 v6, v6, s21
	v_mul_lo_u32 v8, v8, s23
	s_delay_alu instid0(VALU_DEP_1) | instskip(NEXT) | instid1(VALU_DEP_1)
	v_sub_nc_u32_e32 v6, v6, v8
	v_cmp_lt_u32_e64 s0, s39, v6
	s_and_b32 s3, s0, exec_lo
.LBB556_88:
	s_or_b32 exec_lo, exec_lo, s4
	v_cndmask_b32_e64 v6, 0, 1, s3
	v_cndmask_b32_e64 v8, 0, 1, vcc_lo
	v_lshlrev_b16 v13, 8, v13
	v_lshlrev_b16 v12, 8, v12
	;; [unrolled: 1-line block ×4, first 2 shown]
	s_delay_alu instid0(VALU_DEP_4) | instskip(NEXT) | instid1(VALU_DEP_4)
	v_bitop3_b16 v11, v11, v13, 0xff bitop3:0xec
	v_or_b32_e32 v8, v8, v12
	s_delay_alu instid0(VALU_DEP_4) | instskip(NEXT) | instid1(VALU_DEP_4)
	v_bitop3_b16 v9, v9, v10, 0xff bitop3:0xec
	v_bitop3_b16 v6, v7, v6, 0xff bitop3:0xec
	s_delay_alu instid0(VALU_DEP_4) | instskip(NEXT) | instid1(VALU_DEP_4)
	v_lshlrev_b32_e32 v7, 16, v11
	v_and_b32_e32 v8, 0xffff, v8
	s_delay_alu instid0(VALU_DEP_4) | instskip(NEXT) | instid1(VALU_DEP_4)
	v_lshlrev_b32_e32 v9, 16, v9
	v_and_b32_e32 v6, 0xffff, v6
	s_delay_alu instid0(VALU_DEP_3) | instskip(NEXT) | instid1(VALU_DEP_2)
	v_or_b32_e32 v8, v8, v7
	v_or_b32_e32 v6, v6, v9
.LBB556_89:
	s_or_b32 exec_lo, exec_lo, s1
	s_delay_alu instid0(VALU_DEP_1) | instskip(NEXT) | instid1(VALU_DEP_3)
	v_dual_add_nc_u32 v7, 9, v15 :: v_dual_lshrrev_b32 v11, 8, v6
	v_dual_lshrrev_b32 v12, 24, v8 :: v_dual_lshrrev_b32 v10, 16, v8
                                        ; implicit-def: $vgpr9
	s_delay_alu instid0(VALU_DEP_2) | instskip(SKIP_1) | instid1(SALU_CYCLE_1)
	v_cmp_le_u32_e32 vcc_lo, s5, v7
                                        ; implicit-def: $vgpr7
	s_and_saveexec_b32 s0, vcc_lo
	s_xor_b32 s0, exec_lo, s0
	s_cbranch_execz .LBB556_91
; %bb.90:
	v_lshlrev_b16 v7, 8, v11
	v_lshlrev_b16 v9, 8, v12
	v_perm_b32 v1, v1, v1, 0x3060504
                                        ; implicit-def: $vgpr11
                                        ; implicit-def: $vgpr12
	s_delay_alu instid0(VALU_DEP_3) | instskip(NEXT) | instid1(VALU_DEP_3)
	v_bitop3_b16 v7, v6, v7, 0xff bitop3:0xec
	v_bitop3_b16 v9, v10, v9, 0xff bitop3:0xec
                                        ; implicit-def: $vgpr10
	s_delay_alu instid0(VALU_DEP_2) | instskip(NEXT) | instid1(VALU_DEP_2)
	v_and_b32_e32 v7, 0xffff, v7
	v_perm_b32 v9, v9, v8, 0x5040c00
                                        ; implicit-def: $vgpr8
	s_delay_alu instid0(VALU_DEP_2)
	v_and_or_b32 v7, 0xff000000, v6, v7
                                        ; implicit-def: $vgpr6
.LBB556_91:
	s_and_not1_saveexec_b32 s1, s0
	s_cbranch_execz .LBB556_95
; %bb.92:
	v_dual_add_nc_u32 v7, s17, v19 :: v_dual_add_nc_u32 v9, s19, v19
	s_mov_b32 s3, 0
	s_mov_b32 s4, exec_lo
	s_delay_alu instid0(VALU_DEP_1) | instskip(NEXT) | instid1(VALU_DEP_2)
	v_mul_lo_u32 v7, v7, s16
	v_mul_lo_u32 v9, v9, s18
	s_delay_alu instid0(VALU_DEP_1) | instskip(NEXT) | instid1(VALU_DEP_1)
	v_sub_nc_u32_e32 v7, v7, v9
	v_cmp_lt_u32_e32 vcc_lo, s20, v7
	v_cmpx_ge_u32_e64 s20, v7
	s_cbranch_execz .LBB556_94
; %bb.93:
	v_dual_add_nc_u32 v7, s22, v19 :: v_dual_add_nc_u32 v9, s38, v19
	s_delay_alu instid0(VALU_DEP_1) | instskip(NEXT) | instid1(VALU_DEP_2)
	v_mul_lo_u32 v7, v7, s21
	v_mul_lo_u32 v9, v9, s23
	s_delay_alu instid0(VALU_DEP_1) | instskip(NEXT) | instid1(VALU_DEP_1)
	v_sub_nc_u32_e32 v7, v7, v9
	v_cmp_lt_u32_e64 s0, s39, v7
	s_and_b32 s3, s0, exec_lo
.LBB556_94:
	s_or_b32 exec_lo, exec_lo, s4
	v_cndmask_b32_e64 v7, 0, 1, vcc_lo
	v_lshrrev_b32_e32 v9, 24, v6
	v_cndmask_b32_e64 v13, 0, 1, s3
	v_lshlrev_b16 v12, 8, v12
	v_lshlrev_b16 v11, 8, v11
	;; [unrolled: 1-line block ×4, first 2 shown]
	s_delay_alu instid0(VALU_DEP_4) | instskip(NEXT) | instid1(VALU_DEP_4)
	v_bitop3_b16 v10, v10, v12, 0xff bitop3:0xec
	v_bitop3_b16 v6, v6, v11, 0xff bitop3:0xec
	s_delay_alu instid0(VALU_DEP_4) | instskip(NEXT) | instid1(VALU_DEP_3)
	v_bitop3_b16 v7, v8, v7, 0xff bitop3:0xec
	v_dual_lshlrev_b32 v9, 16, v10 :: v_dual_bitop2_b32 v8, v13, v9 bitop3:0x54
	s_delay_alu instid0(VALU_DEP_3) | instskip(NEXT) | instid1(VALU_DEP_3)
	v_and_b32_e32 v6, 0xffff, v6
	v_and_b32_e32 v7, 0xffff, v7
	s_delay_alu instid0(VALU_DEP_1) | instskip(NEXT) | instid1(VALU_DEP_1)
	v_dual_lshlrev_b32 v8, 16, v8 :: v_dual_bitop2_b32 v9, v7, v9 bitop3:0x54
	v_or_b32_e32 v7, v6, v8
.LBB556_95:
	s_or_b32 exec_lo, exec_lo, s1
	s_delay_alu instid0(VALU_DEP_2) | instskip(NEXT) | instid1(VALU_DEP_1)
	v_dual_add_nc_u32 v6, 10, v15 :: v_dual_lshrrev_b32 v8, 8, v9
                                        ; implicit-def: $vgpr40
	v_cmp_le_u32_e32 vcc_lo, s5, v6
                                        ; implicit-def: $vgpr6
	s_and_saveexec_b32 s0, vcc_lo
	s_delay_alu instid0(SALU_CYCLE_1)
	s_xor_b32 s0, exec_lo, s0
	s_cbranch_execz .LBB556_97
; %bb.96:
	v_lshlrev_b16 v6, 8, v8
	v_and_b32_e32 v8, 0xff0000, v7
	v_perm_b32 v1, v1, v1, 0x3060504
	s_delay_alu instid0(VALU_DEP_3) | instskip(NEXT) | instid1(VALU_DEP_3)
	v_bitop3_b16 v6, v9, v6, 0xff bitop3:0xec
	v_perm_b32 v40, v7, v8, 0x3020504
                                        ; implicit-def: $vgpr8
                                        ; implicit-def: $vgpr7
	s_delay_alu instid0(VALU_DEP_2) | instskip(NEXT) | instid1(VALU_DEP_1)
	v_and_b32_e32 v6, 0xffff, v6
	v_and_or_b32 v6, 0xff000000, v9, v6
                                        ; implicit-def: $vgpr9
.LBB556_97:
	s_and_not1_saveexec_b32 s1, s0
	s_cbranch_execz .LBB556_101
; %bb.98:
	v_dual_add_nc_u32 v6, s17, v16 :: v_dual_add_nc_u32 v10, s19, v16
	s_mov_b32 s3, 0
	s_mov_b32 s4, exec_lo
	s_delay_alu instid0(VALU_DEP_1) | instskip(NEXT) | instid1(VALU_DEP_2)
	v_mul_lo_u32 v6, v6, s16
	v_mul_lo_u32 v10, v10, s18
	s_delay_alu instid0(VALU_DEP_1) | instskip(NEXT) | instid1(VALU_DEP_1)
	v_sub_nc_u32_e32 v6, v6, v10
	v_cmp_lt_u32_e32 vcc_lo, s20, v6
	v_cmpx_ge_u32_e64 s20, v6
	s_cbranch_execz .LBB556_100
; %bb.99:
	v_dual_add_nc_u32 v6, s22, v16 :: v_dual_add_nc_u32 v10, s38, v16
	s_delay_alu instid0(VALU_DEP_1) | instskip(NEXT) | instid1(VALU_DEP_2)
	v_mul_lo_u32 v6, v6, s21
	v_mul_lo_u32 v10, v10, s23
	s_delay_alu instid0(VALU_DEP_1) | instskip(NEXT) | instid1(VALU_DEP_1)
	v_sub_nc_u32_e32 v6, v6, v10
	v_cmp_lt_u32_e64 s0, s39, v6
	s_and_b32 s3, s0, exec_lo
.LBB556_100:
	s_or_b32 exec_lo, exec_lo, s4
	v_dual_lshrrev_b32 v6, 24, v9 :: v_dual_lshrrev_b32 v12, 8, v7
	v_cndmask_b32_e64 v10, 0, 1, s3
	v_cndmask_b32_e64 v11, 0, 1, vcc_lo
	v_lshlrev_b16 v8, 8, v8
	s_delay_alu instid0(VALU_DEP_4)
	v_lshlrev_b16 v6, 8, v6
	v_lshrrev_b32_e32 v13, 16, v7
	v_lshlrev_b16 v10, 8, v10
	v_lshlrev_b16 v12, 8, v12
	v_bitop3_b16 v8, v9, v8, 0xff bitop3:0xec
	v_or_b32_e32 v6, v11, v6
	s_delay_alu instid0(VALU_DEP_4) | instskip(NEXT) | instid1(VALU_DEP_4)
	v_bitop3_b16 v9, v13, v10, 0xff bitop3:0xec
	v_bitop3_b16 v7, v7, v12, 0xff bitop3:0xec
	s_delay_alu instid0(VALU_DEP_4) | instskip(NEXT) | instid1(VALU_DEP_3)
	v_and_b32_e32 v8, 0xffff, v8
	v_dual_lshlrev_b32 v6, 16, v6 :: v_dual_lshlrev_b32 v9, 16, v9
	s_delay_alu instid0(VALU_DEP_3) | instskip(NEXT) | instid1(VALU_DEP_2)
	v_and_b32_e32 v7, 0xffff, v7
	v_or_b32_e32 v6, v8, v6
	s_delay_alu instid0(VALU_DEP_2)
	v_or_b32_e32 v40, v7, v9
.LBB556_101:
	s_or_b32 exec_lo, exec_lo, s1
	v_dual_add_nc_u32 v7, 11, v15 :: v_dual_mov_b32 v39, 0
	s_mov_b32 s0, exec_lo
                                        ; implicit-def: $vgpr41
	s_delay_alu instid0(VALU_DEP_1)
	v_cmpx_le_u32_e64 s5, v7
	s_xor_b32 s0, exec_lo, s0
; %bb.102:
	v_and_b32_e32 v7, 0xff0000, v6
	v_perm_b32 v1, v1, v1, 0x3060504
	s_delay_alu instid0(VALU_DEP_2)
	v_perm_b32 v41, v6, v7, 0x3020504
                                        ; implicit-def: $vgpr6
; %bb.103:
	s_and_not1_saveexec_b32 s1, s0
	s_cbranch_execz .LBB556_107
; %bb.104:
	v_dual_add_nc_u32 v7, s17, v17 :: v_dual_add_nc_u32 v8, s19, v17
	s_mov_b32 s3, 0
	s_mov_b32 s4, exec_lo
	s_delay_alu instid0(VALU_DEP_1) | instskip(NEXT) | instid1(VALU_DEP_2)
	v_mul_lo_u32 v7, v7, s16
	v_mul_lo_u32 v8, v8, s18
	s_delay_alu instid0(VALU_DEP_1) | instskip(NEXT) | instid1(VALU_DEP_1)
	v_sub_nc_u32_e32 v7, v7, v8
	v_cmp_lt_u32_e32 vcc_lo, s20, v7
	v_cmpx_ge_u32_e64 s20, v7
	s_cbranch_execz .LBB556_106
; %bb.105:
	v_dual_add_nc_u32 v7, s22, v17 :: v_dual_add_nc_u32 v8, s38, v17
	s_delay_alu instid0(VALU_DEP_1) | instskip(NEXT) | instid1(VALU_DEP_2)
	v_mul_lo_u32 v7, v7, s21
	v_mul_lo_u32 v8, v8, s23
	s_delay_alu instid0(VALU_DEP_1) | instskip(NEXT) | instid1(VALU_DEP_1)
	v_sub_nc_u32_e32 v7, v7, v8
	v_cmp_lt_u32_e64 s0, s39, v7
	s_and_b32 s3, s0, exec_lo
.LBB556_106:
	s_or_b32 exec_lo, exec_lo, s4
	v_cndmask_b32_e64 v7, 0, 1, vcc_lo
	v_dual_lshrrev_b32 v8, 8, v6 :: v_dual_lshrrev_b32 v9, 16, v6
	v_cndmask_b32_e64 v39, 0, 1, s3
	s_delay_alu instid0(VALU_DEP_3) | instskip(NEXT) | instid1(VALU_DEP_3)
	v_lshlrev_b16 v7, 8, v7
	v_lshlrev_b16 v8, 8, v8
	s_delay_alu instid0(VALU_DEP_2) | instskip(NEXT) | instid1(VALU_DEP_2)
	v_bitop3_b16 v7, v9, v7, 0xff bitop3:0xec
	v_bitop3_b16 v6, v6, v8, 0xff bitop3:0xec
	s_delay_alu instid0(VALU_DEP_2) | instskip(NEXT) | instid1(VALU_DEP_2)
	v_lshlrev_b32_e32 v7, 16, v7
	v_and_b32_e32 v6, 0xffff, v6
	s_delay_alu instid0(VALU_DEP_1)
	v_or_b32_e32 v41, v6, v7
.LBB556_107:
	s_or_b32 exec_lo, exec_lo, s1
	v_dual_add_nc_u32 v8, 12, v15 :: v_dual_lshrrev_b32 v6, 8, v1
	v_dual_lshrrev_b32 v7, 16, v1 :: v_dual_lshrrev_b32 v1, 24, v1
	s_mov_b32 s0, exec_lo
                                        ; implicit-def: $vgpr42
	s_delay_alu instid0(VALU_DEP_2)
	v_cmpx_le_u32_e64 s5, v8
	s_xor_b32 s0, exec_lo, s0
; %bb.108:
	s_delay_alu instid0(VALU_DEP_2) | instskip(SKIP_1) | instid1(VALU_DEP_2)
	v_lshlrev_b16 v1, 8, v1
	v_lshlrev_b16 v6, 8, v6
	v_bitop3_b16 v1, v7, v1, 0xff bitop3:0xec
	s_delay_alu instid0(VALU_DEP_2) | instskip(NEXT) | instid1(VALU_DEP_2)
	v_and_b32_e32 v6, 0xffff, v6
                                        ; implicit-def: $vgpr7
	v_lshlrev_b32_e32 v1, 16, v1
	s_delay_alu instid0(VALU_DEP_1)
	v_or_b32_e32 v42, v6, v1
                                        ; implicit-def: $vgpr1
                                        ; implicit-def: $vgpr6
; %bb.109:
	s_or_saveexec_b32 s1, s0
	v_mov_b32_e32 v43, 0
	s_xor_b32 exec_lo, exec_lo, s1
	s_cbranch_execz .LBB556_113
; %bb.110:
	v_dual_add_nc_u32 v8, s19, v34 :: v_dual_add_nc_u32 v9, s17, v34
	s_mov_b32 s3, 0
	s_mov_b32 s4, exec_lo
	s_delay_alu instid0(VALU_DEP_1) | instskip(NEXT) | instid1(VALU_DEP_2)
	v_mul_lo_u32 v8, v8, s18
	v_mul_lo_u32 v9, v9, s16
	s_delay_alu instid0(VALU_DEP_1) | instskip(NEXT) | instid1(VALU_DEP_1)
	v_sub_nc_u32_e32 v8, v9, v8
	v_cmp_lt_u32_e32 vcc_lo, s20, v8
	v_cmpx_ge_u32_e64 s20, v8
	s_cbranch_execz .LBB556_112
; %bb.111:
	v_dual_add_nc_u32 v8, s38, v34 :: v_dual_add_nc_u32 v9, s22, v34
	s_delay_alu instid0(VALU_DEP_1) | instskip(NEXT) | instid1(VALU_DEP_2)
	v_mul_lo_u32 v8, v8, s23
	v_mul_lo_u32 v9, v9, s21
	s_delay_alu instid0(VALU_DEP_1) | instskip(NEXT) | instid1(VALU_DEP_1)
	v_sub_nc_u32_e32 v8, v9, v8
	v_cmp_lt_u32_e64 s0, s39, v8
	s_and_b32 s3, s0, exec_lo
.LBB556_112:
	s_or_b32 exec_lo, exec_lo, s4
	v_cndmask_b32_e64 v8, 0, 1, vcc_lo
	v_lshlrev_b16 v1, 8, v1
	v_lshlrev_b16 v6, 8, v6
	v_cndmask_b32_e64 v43, 0, 1, s3
	s_delay_alu instid0(VALU_DEP_3) | instskip(NEXT) | instid1(VALU_DEP_1)
	v_bitop3_b16 v1, v7, v1, 0xff bitop3:0xec
	v_dual_lshlrev_b32 v1, 16, v1 :: v_dual_bitop2_b32 v6, v8, v6 bitop3:0x54
	s_delay_alu instid0(VALU_DEP_1) | instskip(NEXT) | instid1(VALU_DEP_1)
	v_and_b32_e32 v6, 0xffff, v6
	v_or_b32_e32 v42, v6, v1
.LBB556_113:
	s_or_b32 exec_lo, exec_lo, s1
.LBB556_114:
	v_and_b32_e32 v66, 0xff, v36
	s_delay_alu instid0(VALU_DEP_2)
	v_bfe_u32 v67, v42, 8, 8
	v_bfe_u32 v64, v36, 8, 8
	;; [unrolled: 1-line block ×4, first 2 shown]
	v_dual_lshrrev_b32 v49, 24, v42 :: v_dual_lshrrev_b32 v48, 24, v36
	v_and_b32_e32 v62, 0xff, v37
	v_and_b32_e32 v60, 0xff, v38
	v_bfe_u32 v61, v37, 8, 8
	v_add3_u32 v1, v64, v66, v63
	v_add3_u32 v6, v65, v67, v49
	v_bfe_u32 v58, v38, 8, 8
	v_bfe_u32 v59, v37, 16, 8
	;; [unrolled: 1-line block ×3, first 2 shown]
	v_dual_lshrrev_b32 v47, 24, v37 :: v_dual_lshrrev_b32 v46, 24, v38
	v_add3_u32 v1, v1, v48, v60
	v_add3_u32 v6, v6, v62, v61
	v_and_b32_e32 v57, 0xff, v40
	v_and_b32_e32 v53, 0xff, v41
	v_bfe_u32 v55, v40, 8, 8
	v_add3_u32 v1, v1, v58, v56
	v_add3_u32 v6, v6, v59, v47
	v_bfe_u32 v52, v41, 8, 8
	v_bfe_u32 v54, v40, 16, 8
	;; [unrolled: 1-line block ×3, first 2 shown]
	v_dual_lshrrev_b32 v45, 24, v40 :: v_dual_lshrrev_b32 v44, 24, v41
	v_add3_u32 v1, v1, v46, v53
	v_add3_u32 v6, v6, v57, v55
	v_mbcnt_lo_u32_b32 v68, -1, 0
	v_and_b32_e32 v50, 0xff, v39
	v_and_b32_e32 v7, 0xff, v42
	;; [unrolled: 1-line block ×3, first 2 shown]
	v_add3_u32 v1, v1, v52, v51
	v_add3_u32 v6, v6, v54, v45
	v_and_b32_e32 v70, 15, v68
	v_and_b32_e32 v72, 16, v68
	v_dual_lshrrev_b32 v69, 5, v0 :: v_dual_bitop2_b32 v71, 31, v0 bitop3:0x54
	v_add3_u32 v73, v1, v44, v7
	v_add3_u32 v74, v6, v50, v8
	v_cmp_eq_u32_e64 s1, 0, v70
	v_cmp_lt_u32_e64 s0, 1, v70
	v_cmp_lt_u32_e64 s3, 3, v70
	s_cmp_lg_u32 s27, 0
	s_mov_b32 s4, -1
	v_cmp_lt_u32_e32 vcc_lo, 7, v70
	s_cbranch_scc0 .LBB556_135
; %bb.115:
	v_mov_b32_dpp v1, v74 row_shr:1 row_mask:0xf bank_mask:0xf
	v_mov_b32_dpp v6, v73 row_shr:1 row_mask:0xf bank_mask:0xf
	s_mov_b32 s4, exec_lo
	s_delay_alu instid0(VALU_DEP_1) | instskip(NEXT) | instid1(VALU_DEP_1)
	v_dual_add_nc_u32 v1, v1, v74 :: v_dual_add_nc_u32 v6, v6, v73
	v_dual_cndmask_b32 v1, v1, v74, s1 :: v_dual_cndmask_b32 v6, v6, v73, s1
	s_delay_alu instid0(VALU_DEP_1) | instskip(NEXT) | instid1(VALU_DEP_2)
	v_mov_b32_dpp v7, v1 row_shr:2 row_mask:0xf bank_mask:0xf
	v_mov_b32_dpp v8, v6 row_shr:2 row_mask:0xf bank_mask:0xf
	s_delay_alu instid0(VALU_DEP_1) | instskip(NEXT) | instid1(VALU_DEP_1)
	v_dual_add_nc_u32 v7, v1, v7 :: v_dual_add_nc_u32 v8, v6, v8
	v_dual_cndmask_b32 v1, v1, v7, s0 :: v_dual_cndmask_b32 v6, v6, v8, s0
	s_delay_alu instid0(VALU_DEP_1) | instskip(NEXT) | instid1(VALU_DEP_2)
	v_mov_b32_dpp v7, v1 row_shr:4 row_mask:0xf bank_mask:0xf
	v_mov_b32_dpp v8, v6 row_shr:4 row_mask:0xf bank_mask:0xf
	;; [unrolled: 6-line block ×3, first 2 shown]
	s_delay_alu instid0(VALU_DEP_1) | instskip(NEXT) | instid1(VALU_DEP_1)
	v_dual_add_nc_u32 v7, v1, v7 :: v_dual_add_nc_u32 v8, v6, v8
	v_dual_cndmask_b32 v1, v1, v7 :: v_dual_cndmask_b32 v6, v6, v8
	v_cmp_eq_u32_e32 vcc_lo, 0, v72
	ds_swizzle_b32 v7, v1 offset:swizzle(BROADCAST,32,15)
	ds_swizzle_b32 v8, v6 offset:swizzle(BROADCAST,32,15)
	s_wait_dscnt 0x0
	v_dual_add_nc_u32 v7, v1, v7 :: v_dual_add_nc_u32 v8, v6, v8
	v_cmpx_eq_u32_e64 v0, v71
; %bb.116:
	s_delay_alu instid0(VALU_DEP_2) | instskip(NEXT) | instid1(VALU_DEP_3)
	v_dual_cndmask_b32 v10, v8, v6 :: v_dual_lshlrev_b32 v9, 3, v69
	v_cndmask_b32_e32 v11, v7, v1, vcc_lo
	ds_store_b64 v9, v[10:11]
; %bb.117:
	s_or_b32 exec_lo, exec_lo, s4
	s_delay_alu instid0(SALU_CYCLE_1)
	s_mov_b32 s4, exec_lo
	s_wait_dscnt 0x0
	s_barrier_signal -1
	s_barrier_wait -1
	v_cmpx_gt_u32_e32 8, v0
	s_cbranch_execz .LBB556_119
; %bb.118:
	v_lshlrev_b32_e32 v9, 3, v0
	ds_load_b64 v[10:11], v9
	s_wait_dscnt 0x0
	v_mov_b32_dpp v12, v10 row_shr:1 row_mask:0xf bank_mask:0xf
	v_mov_b32_dpp v13, v11 row_shr:1 row_mask:0xf bank_mask:0xf
	s_delay_alu instid0(VALU_DEP_2) | instskip(NEXT) | instid1(VALU_DEP_2)
	v_dual_add_nc_u32 v12, v12, v10 :: v_dual_bitop2_b32 v28, 7, v68 bitop3:0x40
	v_add_nc_u32_e32 v13, v13, v11
	s_delay_alu instid0(VALU_DEP_2) | instskip(NEXT) | instid1(VALU_DEP_1)
	v_cmp_eq_u32_e64 s3, 0, v28
	v_dual_cndmask_b32 v11, v13, v11, s3 :: v_dual_cndmask_b32 v10, v12, v10, s3
	v_cmp_lt_u32_e64 s3, 1, v28
	s_delay_alu instid0(VALU_DEP_2) | instskip(NEXT) | instid1(VALU_DEP_3)
	v_mov_b32_dpp v13, v11 row_shr:2 row_mask:0xf bank_mask:0xf
	v_mov_b32_dpp v12, v10 row_shr:2 row_mask:0xf bank_mask:0xf
	s_delay_alu instid0(VALU_DEP_1) | instskip(NEXT) | instid1(VALU_DEP_1)
	v_dual_add_nc_u32 v13, v11, v13 :: v_dual_add_nc_u32 v12, v10, v12
	v_dual_cndmask_b32 v11, v11, v13, s3 :: v_dual_cndmask_b32 v10, v10, v12, s3
	v_cmp_lt_u32_e64 s3, 3, v28
	s_delay_alu instid0(VALU_DEP_2) | instskip(NEXT) | instid1(VALU_DEP_3)
	v_mov_b32_dpp v13, v11 row_shr:4 row_mask:0xf bank_mask:0xf
	v_mov_b32_dpp v12, v10 row_shr:4 row_mask:0xf bank_mask:0xf
	s_delay_alu instid0(VALU_DEP_1) | instskip(NEXT) | instid1(VALU_DEP_1)
	v_dual_cndmask_b32 v13, 0, v13, s3 :: v_dual_cndmask_b32 v12, 0, v12, s3
	v_dual_add_nc_u32 v11, v13, v11 :: v_dual_add_nc_u32 v10, v12, v10
	ds_store_b64 v9, v[10:11]
.LBB556_119:
	s_or_b32 exec_lo, exec_lo, s4
	v_dual_cndmask_b32 v1, v7, v1 :: v_dual_cndmask_b32 v6, v8, v6
	s_mov_b32 s4, exec_lo
	v_cmp_gt_u32_e32 vcc_lo, 32, v0
	s_wait_dscnt 0x0
	s_barrier_signal -1
	s_barrier_wait -1
                                        ; implicit-def: $vgpr28
	v_cmpx_lt_u32_e32 31, v0
	s_cbranch_execz .LBB556_121
; %bb.120:
	v_lshl_add_u32 v7, v69, 3, -8
	ds_load_b64 v[28:29], v7
	s_wait_dscnt 0x0
	v_dual_add_nc_u32 v1, v29, v1 :: v_dual_add_nc_u32 v6, v28, v6
.LBB556_121:
	s_or_b32 exec_lo, exec_lo, s4
	v_sub_co_u32 v7, s3, v68, 1
	s_delay_alu instid0(VALU_DEP_1) | instskip(NEXT) | instid1(VALU_DEP_1)
	v_cmp_gt_i32_e64 s4, 0, v7
	v_cndmask_b32_e64 v7, v7, v68, s4
	s_delay_alu instid0(VALU_DEP_1)
	v_lshlrev_b32_e32 v7, 2, v7
	ds_bpermute_b32 v75, v7, v6
	ds_bpermute_b32 v1, v7, v1
	s_and_saveexec_b32 s4, vcc_lo
	s_cbranch_execz .LBB556_140
; %bb.122:
	v_mov_b32_e32 v9, 0
	ds_load_b64 v[6:7], v9 offset:56
	s_and_saveexec_b32 s6, s3
	s_cbranch_execz .LBB556_124
; %bb.123:
	s_add_co_i32 s8, s27, 32
	s_mov_b32 s9, 0
	v_mov_b32_e32 v8, 1
	s_lshl_b64 s[8:9], s[8:9], 4
	s_delay_alu instid0(SALU_CYCLE_1) | instskip(NEXT) | instid1(SALU_CYCLE_1)
	s_add_nc_u64 s[8:9], s[36:37], s[8:9]
	v_mov_b64_e32 v[10:11], s[8:9]
	s_wait_dscnt 0x0
	;;#ASMSTART
	global_store_b128 v[10:11], v[6:9] off scope:SCOPE_DEV	
s_wait_storecnt 0x0
	;;#ASMEND
.LBB556_124:
	s_or_b32 exec_lo, exec_lo, s6
	v_xad_u32 v30, v68, -1, s27
	s_mov_b32 s7, 0
	s_mov_b32 s6, exec_lo
	s_delay_alu instid0(VALU_DEP_1) | instskip(NEXT) | instid1(VALU_DEP_1)
	v_add_nc_u32_e32 v8, 32, v30
	v_lshl_add_u64 v[8:9], v[8:9], 4, s[36:37]
	;;#ASMSTART
	global_load_b128 v[10:13], v[8:9] off scope:SCOPE_DEV	
s_wait_loadcnt 0x0
	;;#ASMEND
	v_and_b32_e32 v13, 0xff, v12
	s_delay_alu instid0(VALU_DEP_1)
	v_cmpx_eq_u16_e32 0, v13
	s_cbranch_execz .LBB556_127
.LBB556_125:                            ; =>This Inner Loop Header: Depth=1
	;;#ASMSTART
	global_load_b128 v[10:13], v[8:9] off scope:SCOPE_DEV	
s_wait_loadcnt 0x0
	;;#ASMEND
	v_and_b32_e32 v13, 0xff, v12
	s_delay_alu instid0(VALU_DEP_1) | instskip(SKIP_1) | instid1(SALU_CYCLE_1)
	v_cmp_ne_u16_e32 vcc_lo, 0, v13
	s_or_b32 s7, vcc_lo, s7
	s_and_not1_b32 exec_lo, exec_lo, s7
	s_cbranch_execnz .LBB556_125
; %bb.126:
	s_or_b32 exec_lo, exec_lo, s7
.LBB556_127:
	s_delay_alu instid0(SALU_CYCLE_1) | instskip(SKIP_4) | instid1(VALU_DEP_1)
	s_or_b32 exec_lo, exec_lo, s6
	v_cmp_ne_u32_e32 vcc_lo, 31, v68
	v_lshlrev_b32_e64 v77, v68, -1
	v_lshl_or_b32 v84, v68, 2, 64
	v_add_co_ci_u32_e64 v8, null, 0, v68, vcc_lo
	v_lshlrev_b32_e32 v76, 2, v8
	v_and_b32_e32 v8, 0xff, v12
	s_delay_alu instid0(VALU_DEP_1)
	v_cmp_eq_u16_e32 vcc_lo, 2, v8
	v_and_b32_e32 v13, vcc_lo, v77
	ds_bpermute_b32 v9, v76, v11
	ds_bpermute_b32 v8, v76, v10
	v_cmp_gt_u32_e32 vcc_lo, 30, v68
	v_or_b32_e32 v13, 0x80000000, v13
	v_cndmask_b32_e64 v31, 0, 2, vcc_lo
	s_delay_alu instid0(VALU_DEP_2) | instskip(NEXT) | instid1(VALU_DEP_2)
	v_ctz_i32_b32_e32 v13, v13
	v_add_lshl_u32 v78, v31, v68, 2
	s_delay_alu instid0(VALU_DEP_2) | instskip(SKIP_2) | instid1(VALU_DEP_1)
	v_cmp_lt_u32_e32 vcc_lo, v68, v13
	s_wait_dscnt 0x0
	v_dual_add_nc_u32 v9, v9, v11 :: v_dual_add_nc_u32 v8, v8, v10
	v_dual_cndmask_b32 v9, v11, v9 :: v_dual_cndmask_b32 v8, v10, v8
	v_cmp_gt_u32_e32 vcc_lo, 28, v68
	ds_bpermute_b32 v10, v78, v9
	ds_bpermute_b32 v11, v78, v8
	v_add_nc_u32_e32 v79, 2, v68
	v_cndmask_b32_e64 v31, 0, 4, vcc_lo
	s_delay_alu instid0(VALU_DEP_1) | instskip(SKIP_4) | instid1(VALU_DEP_2)
	v_add_lshl_u32 v80, v31, v68, 2
	s_wait_dscnt 0x1
	v_add_nc_u32_e32 v10, v9, v10
	v_cmp_gt_u32_e32 vcc_lo, v79, v13
	s_wait_dscnt 0x0
	v_dual_add_nc_u32 v11, v8, v11 :: v_dual_cndmask_b32 v9, v10, v9, vcc_lo
	ds_bpermute_b32 v10, v80, v9
	v_cndmask_b32_e32 v8, v11, v8, vcc_lo
	v_cmp_gt_u32_e32 vcc_lo, 24, v68
	v_cndmask_b32_e64 v31, 0, 8, vcc_lo
	s_delay_alu instid0(VALU_DEP_1)
	v_add_lshl_u32 v82, v31, v68, 2
	s_wait_dscnt 0x0
	v_dual_mov_b32 v31, 0 :: v_dual_add_nc_u32 v10, v9, v10
	ds_bpermute_b32 v11, v80, v8
	s_wait_dscnt 0x0
	v_dual_add_nc_u32 v81, 4, v68 :: v_dual_add_nc_u32 v11, v8, v11
	s_delay_alu instid0(VALU_DEP_1) | instskip(NEXT) | instid1(VALU_DEP_2)
	v_cmp_gt_u32_e32 vcc_lo, v81, v13
	v_dual_cndmask_b32 v9, v10, v9 :: v_dual_cndmask_b32 v8, v11, v8
	ds_bpermute_b32 v10, v82, v9
	ds_bpermute_b32 v11, v82, v8
	s_wait_dscnt 0x1
	v_dual_add_nc_u32 v83, 8, v68 :: v_dual_add_nc_u32 v10, v9, v10
	s_delay_alu instid0(VALU_DEP_1) | instskip(SKIP_1) | instid1(VALU_DEP_2)
	v_cmp_gt_u32_e32 vcc_lo, v83, v13
	s_wait_dscnt 0x0
	v_dual_add_nc_u32 v11, v8, v11 :: v_dual_cndmask_b32 v9, v10, v9, vcc_lo
	s_delay_alu instid0(VALU_DEP_1) | instskip(SKIP_3) | instid1(VALU_DEP_1)
	v_cndmask_b32_e32 v8, v11, v8, vcc_lo
	ds_bpermute_b32 v11, v84, v9
	ds_bpermute_b32 v10, v84, v8
	v_add_nc_u32_e32 v85, 16, v68
	v_cmp_le_u32_e32 vcc_lo, v85, v13
	s_wait_dscnt 0x0
	v_dual_cndmask_b32 v11, 0, v11 :: v_dual_cndmask_b32 v10, 0, v10
	s_delay_alu instid0(VALU_DEP_1)
	v_dual_add_nc_u32 v11, v11, v9 :: v_dual_add_nc_u32 v10, v10, v8
	s_branch .LBB556_131
.LBB556_128:                            ;   in Loop: Header=BB556_131 Depth=1
	s_or_b32 exec_lo, exec_lo, s7
.LBB556_129:                            ;   in Loop: Header=BB556_131 Depth=1
	s_delay_alu instid0(SALU_CYCLE_1)
	s_or_b32 exec_lo, exec_lo, s6
	ds_bpermute_b32 v13, v76, v10
	ds_bpermute_b32 v32, v76, v11
	v_and_b32_e32 v33, 0xff, v12
	v_subrev_nc_u32_e32 v30, 32, v30
	s_mov_b32 s6, 0
	s_delay_alu instid0(VALU_DEP_2) | instskip(SKIP_1) | instid1(VALU_DEP_1)
	v_cmp_eq_u16_e32 vcc_lo, 2, v33
	v_and_or_b32 v33, vcc_lo, v77, 0x80000000
	v_ctz_i32_b32_e32 v33, v33
	s_wait_dscnt 0x0
	v_dual_add_nc_u32 v13, v13, v10 :: v_dual_add_nc_u32 v32, v32, v11
	s_delay_alu instid0(VALU_DEP_2) | instskip(NEXT) | instid1(VALU_DEP_2)
	v_cmp_lt_u32_e32 vcc_lo, v68, v33
	v_dual_cndmask_b32 v11, v11, v32 :: v_dual_cndmask_b32 v10, v10, v13
	v_cmp_gt_u32_e32 vcc_lo, v79, v33
	ds_bpermute_b32 v32, v78, v11
	ds_bpermute_b32 v13, v78, v10
	s_wait_dscnt 0x0
	v_dual_add_nc_u32 v32, v11, v32 :: v_dual_add_nc_u32 v13, v10, v13
	s_delay_alu instid0(VALU_DEP_1)
	v_dual_cndmask_b32 v11, v32, v11 :: v_dual_cndmask_b32 v10, v13, v10
	v_cmp_gt_u32_e32 vcc_lo, v81, v33
	ds_bpermute_b32 v32, v80, v11
	ds_bpermute_b32 v13, v80, v10
	s_wait_dscnt 0x0
	v_dual_add_nc_u32 v32, v11, v32 :: v_dual_add_nc_u32 v13, v10, v13
	s_delay_alu instid0(VALU_DEP_1)
	;; [unrolled: 7-line block ×3, first 2 shown]
	v_dual_cndmask_b32 v11, v32, v11 :: v_dual_cndmask_b32 v10, v13, v10
	v_cmp_le_u32_e32 vcc_lo, v85, v33
	ds_bpermute_b32 v32, v84, v11
	ds_bpermute_b32 v13, v84, v10
	s_wait_dscnt 0x0
	v_dual_cndmask_b32 v32, 0, v32 :: v_dual_cndmask_b32 v13, 0, v13
	s_delay_alu instid0(VALU_DEP_1) | instskip(NEXT) | instid1(VALU_DEP_2)
	v_add3_u32 v11, v11, v9, v32
	v_add3_u32 v10, v10, v8, v13
.LBB556_130:                            ;   in Loop: Header=BB556_131 Depth=1
	s_and_b32 vcc_lo, exec_lo, s6
	s_cbranch_vccnz .LBB556_136
.LBB556_131:                            ; =>This Loop Header: Depth=1
                                        ;     Child Loop BB556_134 Depth 2
	v_and_b32_e32 v8, 0xff, v12
	s_mov_b32 s6, -1
                                        ; implicit-def: $vgpr12
	s_delay_alu instid0(VALU_DEP_1)
	v_cmp_ne_u16_e32 vcc_lo, 2, v8
	v_mov_b64_e32 v[8:9], v[10:11]
                                        ; implicit-def: $vgpr10_vgpr11
	s_cmp_lg_u32 vcc_lo, exec_lo
	s_cbranch_scc1 .LBB556_130
; %bb.132:                              ;   in Loop: Header=BB556_131 Depth=1
	v_lshl_add_u64 v[32:33], v[30:31], 4, s[36:37]
	;;#ASMSTART
	global_load_b128 v[10:13], v[32:33] off scope:SCOPE_DEV	
s_wait_loadcnt 0x0
	;;#ASMEND
	v_and_b32_e32 v13, 0xff, v12
	s_mov_b32 s6, exec_lo
	s_delay_alu instid0(VALU_DEP_1)
	v_cmpx_eq_u16_e32 0, v13
	s_cbranch_execz .LBB556_129
; %bb.133:                              ;   in Loop: Header=BB556_131 Depth=1
	s_mov_b32 s7, 0
.LBB556_134:                            ;   Parent Loop BB556_131 Depth=1
                                        ; =>  This Inner Loop Header: Depth=2
	;;#ASMSTART
	global_load_b128 v[10:13], v[32:33] off scope:SCOPE_DEV	
s_wait_loadcnt 0x0
	;;#ASMEND
	v_and_b32_e32 v13, 0xff, v12
	s_delay_alu instid0(VALU_DEP_1) | instskip(SKIP_1) | instid1(SALU_CYCLE_1)
	v_cmp_ne_u16_e32 vcc_lo, 0, v13
	s_or_b32 s7, vcc_lo, s7
	s_and_not1_b32 exec_lo, exec_lo, s7
	s_cbranch_execnz .LBB556_134
	s_branch .LBB556_128
.LBB556_135:
                                        ; implicit-def: $vgpr1
                                        ; implicit-def: $vgpr8
                                        ; implicit-def: $vgpr10
                                        ; implicit-def: $vgpr12
                                        ; implicit-def: $vgpr28
	s_and_b32 vcc_lo, exec_lo, s4
	s_cbranch_vccnz .LBB556_141
	s_branch .LBB556_150
.LBB556_136:
	s_and_saveexec_b32 s6, s3
	s_cbranch_execz .LBB556_138
; %bb.137:
	s_add_co_i32 s8, s27, 32
	s_mov_b32 s9, 0
	v_dual_mov_b32 v12, 2 :: v_dual_mov_b32 v13, 0
	s_lshl_b64 s[8:9], s[8:9], 4
	v_dual_add_nc_u32 v11, v9, v7 :: v_dual_add_nc_u32 v10, v8, v6
	s_add_nc_u64 s[8:9], s[36:37], s[8:9]
	s_delay_alu instid0(SALU_CYCLE_1)
	v_mov_b64_e32 v[30:31], s[8:9]
	;;#ASMSTART
	global_store_b128 v[30:31], v[10:13] off scope:SCOPE_DEV	
s_wait_storecnt 0x0
	;;#ASMEND
	ds_store_b128 v13, v[6:9] offset:13312
.LBB556_138:
	s_or_b32 exec_lo, exec_lo, s6
	s_delay_alu instid0(SALU_CYCLE_1)
	s_and_b32 exec_lo, exec_lo, s2
; %bb.139:
	v_mov_b32_e32 v6, 0
	ds_store_b64 v6, v[8:9] offset:56
.LBB556_140:
	s_or_b32 exec_lo, exec_lo, s4
	s_wait_dscnt 0x0
	v_dual_mov_b32 v6, 0 :: v_dual_cndmask_b32 v1, v1, v29, s3
	s_barrier_signal -1
	s_barrier_wait -1
	ds_load_b64 v[12:13], v6 offset:56
	s_wait_dscnt 0x0
	s_barrier_signal -1
	s_barrier_wait -1
	ds_load_b128 v[6:9], v6 offset:13312
	v_cndmask_b32_e64 v10, v75, v28, s3
	s_delay_alu instid0(VALU_DEP_1) | instskip(SKIP_2) | instid1(VALU_DEP_2)
	v_dual_add_nc_u32 v1, v13, v1 :: v_dual_add_nc_u32 v11, v12, v10
	s_wait_dscnt 0x0
	v_mov_b32_e32 v10, v9
	v_dual_cndmask_b32 v1, v1, v13, s2 :: v_dual_cndmask_b32 v28, v11, v12, s2
	v_mov_b32_e32 v12, v7
	s_branch .LBB556_150
.LBB556_141:
	v_mov_b32_dpp v1, v73 row_shr:1 row_mask:0xf bank_mask:0xf
	v_mov_b32_dpp v6, v74 row_shr:1 row_mask:0xf bank_mask:0xf
	v_cmp_lt_u32_e32 vcc_lo, 3, v70
	s_delay_alu instid0(VALU_DEP_2) | instskip(NEXT) | instid1(VALU_DEP_1)
	v_dual_add_nc_u32 v1, v1, v73 :: v_dual_add_nc_u32 v6, v6, v74
	v_dual_cndmask_b32 v1, v1, v73, s1 :: v_dual_cndmask_b32 v6, v6, v74, s1
	s_mov_b32 s1, exec_lo
	s_delay_alu instid0(VALU_DEP_1) | instskip(NEXT) | instid1(VALU_DEP_2)
	v_mov_b32_dpp v7, v1 row_shr:2 row_mask:0xf bank_mask:0xf
	v_mov_b32_dpp v8, v6 row_shr:2 row_mask:0xf bank_mask:0xf
	s_delay_alu instid0(VALU_DEP_1) | instskip(NEXT) | instid1(VALU_DEP_1)
	v_dual_add_nc_u32 v7, v1, v7 :: v_dual_add_nc_u32 v8, v6, v8
	v_dual_cndmask_b32 v1, v1, v7, s0 :: v_dual_cndmask_b32 v6, v6, v8, s0
	s_delay_alu instid0(VALU_DEP_1) | instskip(NEXT) | instid1(VALU_DEP_2)
	v_mov_b32_dpp v7, v1 row_shr:4 row_mask:0xf bank_mask:0xf
	v_mov_b32_dpp v8, v6 row_shr:4 row_mask:0xf bank_mask:0xf
	s_delay_alu instid0(VALU_DEP_1) | instskip(NEXT) | instid1(VALU_DEP_1)
	v_dual_add_nc_u32 v7, v1, v7 :: v_dual_add_nc_u32 v8, v6, v8
	v_dual_cndmask_b32 v7, v1, v7 :: v_dual_cndmask_b32 v6, v6, v8
	v_cmp_lt_u32_e32 vcc_lo, 7, v70
	s_delay_alu instid0(VALU_DEP_2) | instskip(NEXT) | instid1(VALU_DEP_3)
	v_mov_b32_dpp v1, v7 row_shr:8 row_mask:0xf bank_mask:0xf
	v_mov_b32_dpp v8, v6 row_shr:8 row_mask:0xf bank_mask:0xf
	s_delay_alu instid0(VALU_DEP_1) | instskip(NEXT) | instid1(VALU_DEP_1)
	v_dual_add_nc_u32 v9, v7, v1 :: v_dual_add_nc_u32 v1, v6, v8
	v_cndmask_b32_e32 v1, v6, v1, vcc_lo
	s_delay_alu instid0(VALU_DEP_2)
	v_cndmask_b32_e32 v6, v7, v9, vcc_lo
	v_cmp_eq_u32_e32 vcc_lo, 0, v72
	ds_swizzle_b32 v8, v6 offset:swizzle(BROADCAST,32,15)
	s_wait_dscnt 0x0
	v_add_nc_u32_e32 v8, v6, v8
	ds_swizzle_b32 v7, v1 offset:swizzle(BROADCAST,32,15)
	s_wait_dscnt 0x0
	v_add_nc_u32_e32 v7, v1, v7
	v_cmpx_eq_u32_e64 v0, v71
; %bb.142:
	s_delay_alu instid0(VALU_DEP_2)
	v_dual_cndmask_b32 v10, v8, v6 :: v_dual_cndmask_b32 v11, v7, v1
	v_lshlrev_b32_e32 v9, 3, v69
	ds_store_b64 v9, v[10:11]
; %bb.143:
	s_or_b32 exec_lo, exec_lo, s1
	s_delay_alu instid0(SALU_CYCLE_1)
	s_mov_b32 s1, exec_lo
	s_wait_dscnt 0x0
	s_barrier_signal -1
	s_barrier_wait -1
	v_cmpx_gt_u32_e32 8, v0
	s_cbranch_execz .LBB556_145
; %bb.144:
	v_lshlrev_b32_e32 v9, 3, v0
	ds_load_b64 v[10:11], v9
	s_wait_dscnt 0x0
	v_mov_b32_dpp v12, v10 row_shr:1 row_mask:0xf bank_mask:0xf
	v_mov_b32_dpp v13, v11 row_shr:1 row_mask:0xf bank_mask:0xf
	s_delay_alu instid0(VALU_DEP_2) | instskip(NEXT) | instid1(VALU_DEP_2)
	v_dual_add_nc_u32 v12, v12, v10 :: v_dual_bitop2_b32 v28, 7, v68 bitop3:0x40
	v_add_nc_u32_e32 v13, v13, v11
	s_delay_alu instid0(VALU_DEP_2) | instskip(NEXT) | instid1(VALU_DEP_1)
	v_cmp_eq_u32_e64 s0, 0, v28
	v_dual_cndmask_b32 v11, v13, v11, s0 :: v_dual_cndmask_b32 v10, v12, v10, s0
	v_cmp_lt_u32_e64 s0, 1, v28
	s_delay_alu instid0(VALU_DEP_2) | instskip(NEXT) | instid1(VALU_DEP_3)
	v_mov_b32_dpp v13, v11 row_shr:2 row_mask:0xf bank_mask:0xf
	v_mov_b32_dpp v12, v10 row_shr:2 row_mask:0xf bank_mask:0xf
	s_delay_alu instid0(VALU_DEP_1) | instskip(NEXT) | instid1(VALU_DEP_1)
	v_dual_add_nc_u32 v13, v11, v13 :: v_dual_add_nc_u32 v12, v10, v12
	v_dual_cndmask_b32 v11, v11, v13, s0 :: v_dual_cndmask_b32 v10, v10, v12, s0
	v_cmp_lt_u32_e64 s0, 3, v28
	s_delay_alu instid0(VALU_DEP_2) | instskip(NEXT) | instid1(VALU_DEP_3)
	v_mov_b32_dpp v13, v11 row_shr:4 row_mask:0xf bank_mask:0xf
	v_mov_b32_dpp v12, v10 row_shr:4 row_mask:0xf bank_mask:0xf
	s_delay_alu instid0(VALU_DEP_1) | instskip(NEXT) | instid1(VALU_DEP_1)
	v_dual_cndmask_b32 v13, 0, v13, s0 :: v_dual_cndmask_b32 v12, 0, v12, s0
	v_dual_add_nc_u32 v11, v13, v11 :: v_dual_add_nc_u32 v10, v12, v10
	ds_store_b64 v9, v[10:11]
.LBB556_145:
	s_or_b32 exec_lo, exec_lo, s1
	v_dual_mov_b32 v9, 0 :: v_dual_mov_b32 v10, 0
	v_mov_b32_e32 v11, 0
	s_mov_b32 s1, exec_lo
	s_wait_dscnt 0x0
	s_barrier_signal -1
	s_barrier_wait -1
	v_cmpx_lt_u32_e32 31, v0
; %bb.146:
	v_lshl_add_u32 v10, v69, 3, -8
	ds_load_b64 v[10:11], v10
; %bb.147:
	s_or_b32 exec_lo, exec_lo, s1
	v_sub_co_u32 v12, s0, v68, 1
	v_dual_cndmask_b32 v6, v8, v6 :: v_dual_cndmask_b32 v1, v7, v1
	s_delay_alu instid0(VALU_DEP_2) | instskip(SKIP_1) | instid1(VALU_DEP_1)
	v_cmp_gt_i32_e64 s1, 0, v12
	s_wait_dscnt 0x0
	v_dual_add_nc_u32 v6, v10, v6 :: v_dual_cndmask_b32 v8, v12, v68, s1
	s_delay_alu instid0(VALU_DEP_1)
	v_dual_lshlrev_b32 v7, 2, v8 :: v_dual_add_nc_u32 v8, v11, v1
	ds_bpermute_b32 v1, v7, v6
	ds_bpermute_b32 v12, v7, v8
	ds_load_b64 v[6:7], v9 offset:56
	s_and_saveexec_b32 s1, s2
	s_cbranch_execz .LBB556_149
; %bb.148:
	s_add_nc_u64 s[6:7], s[36:37], 0x200
	v_dual_mov_b32 v8, 2 :: v_dual_mov_b32 v9, 0
	v_mov_b64_e32 v[28:29], s[6:7]
	s_wait_dscnt 0x0
	;;#ASMSTART
	global_store_b128 v[28:29], v[6:9] off scope:SCOPE_DEV	
s_wait_storecnt 0x0
	;;#ASMEND
.LBB556_149:
	s_or_b32 exec_lo, exec_lo, s1
	s_wait_dscnt 0x1
	v_dual_cndmask_b32 v9, v12, v11, s0 :: v_dual_cndmask_b32 v11, v1, v10, s0
	v_dual_mov_b32 v10, 0 :: v_dual_mov_b32 v8, 0
	s_wait_dscnt 0x0
	v_mov_b32_e32 v12, v7
	s_delay_alu instid0(VALU_DEP_3)
	v_cndmask_b32_e64 v1, v9, 0, s2
	v_cndmask_b32_e64 v28, v11, 0, s2
	s_barrier_signal -1
	s_barrier_wait -1
.LBB556_150:
	s_delay_alu instid0(VALU_DEP_1) | instskip(SKIP_2) | instid1(VALU_DEP_3)
	v_dual_add_nc_u32 v74, v1, v67 :: v_dual_add_nc_u32 v75, v28, v66
	v_dual_lshrrev_b32 v72, 16, v42 :: v_dual_lshrrev_b32 v7, 8, v42
	v_dual_lshrrev_b32 v73, 8, v36 :: v_dual_lshrrev_b32 v71, 16, v36
	v_dual_add_nc_u32 v65, v74, v65 :: v_dual_add_nc_u32 v64, v75, v64
	v_dual_mov_b32 v9, 0 :: v_dual_lshlrev_b32 v66, 1, v6
	s_delay_alu instid0(VALU_DEP_2) | instskip(NEXT) | instid1(VALU_DEP_3)
	v_dual_add_nc_u32 v76, v65, v49 :: v_dual_bitop2_b32 v36, 1, v36 bitop3:0x40
	v_add_nc_u32_e32 v63, v64, v63
	v_dual_sub_nc_u32 v28, v28, v8 :: v_dual_sub_nc_u32 v1, v1, v10
	s_delay_alu instid0(VALU_DEP_3) | instskip(NEXT) | instid1(VALU_DEP_3)
	v_dual_add_nc_u32 v62, v76, v62 :: v_dual_bitop2_b32 v77, 1, v7 bitop3:0x40
	v_dual_mov_b32 v7, v9 :: v_dual_add_nc_u32 v78, v63, v48
	v_mov_b32_e32 v11, v9
	s_delay_alu instid0(VALU_DEP_3) | instskip(SKIP_1) | instid1(VALU_DEP_4)
	v_dual_add_nc_u32 v1, v1, v6 :: v_dual_add_nc_u32 v61, v62, v61
	v_add3_u32 v15, v66, v12, v15
	v_add_nc_u32_e32 v60, v78, v60
	s_delay_alu instid0(VALU_DEP_3) | instskip(NEXT) | instid1(VALU_DEP_4)
	v_dual_sub_nc_u32 v74, v74, v10 :: v_dual_add_nc_u32 v81, v28, v1
	v_dual_add_nc_u32 v79, v61, v59 :: v_dual_sub_nc_u32 v75, v75, v8
	s_delay_alu instid0(VALU_DEP_3) | instskip(SKIP_1) | instid1(VALU_DEP_4)
	v_add_nc_u32_e32 v80, v60, v58
	v_cmp_eq_u32_e32 vcc_lo, 1, v77
	v_dual_add_nc_u32 v74, v74, v6 :: v_dual_sub_nc_u32 v64, v64, v8
	s_delay_alu instid0(VALU_DEP_3) | instskip(SKIP_2) | instid1(VALU_DEP_3)
	v_dual_add_nc_u32 v82, v79, v47 :: v_dual_add_nc_u32 v56, v80, v56
	v_dual_sub_nc_u32 v81, v15, v81 :: v_dual_sub_nc_u32 v65, v65, v10
	v_sub_nc_u64_e32 v[58:59], v[4:5], v[6:7]
	v_dual_add_nc_u32 v57, v82, v57 :: v_dual_add_nc_u32 v83, v56, v46
	s_delay_alu instid0(VALU_DEP_3) | instskip(SKIP_1) | instid1(VALU_DEP_3)
	v_dual_cndmask_b32 v1, v81, v1, vcc_lo :: v_dual_add_nc_u32 v81, v74, v75
	v_cmp_eq_u32_e32 vcc_lo, 1, v36
	v_dual_add_nc_u32 v55, v57, v55 :: v_dual_add_nc_u32 v77, v83, v53
	v_and_b32_e32 v72, 1, v72
	v_dual_sub_nc_u32 v63, v63, v8 :: v_dual_bitop2_b32 v49, 1, v49 bitop3:0x40
	s_delay_alu instid0(VALU_DEP_3) | instskip(NEXT) | instid1(VALU_DEP_4)
	v_dual_cndmask_b32 v1, v1, v28 :: v_dual_add_nc_u32 v28, v55, v54
	v_add_nc_u32_e32 v36, v77, v52
	v_add_nc_u32_e32 v54, v65, v6
	v_add_nc_u64_e32 v[52:53], v[58:59], v[10:11]
	s_delay_alu instid0(VALU_DEP_4)
	v_lshlrev_b32_e32 v1, 2, v1
	v_add_nc_u32_e32 v58, v28, v45
	v_dual_add_nc_u32 v51, v36, v51 :: v_dual_sub_nc_u32 v59, v15, v81
	v_add_nc_u32_e32 v65, v54, v64
	ds_store_b32 v1, v26
	v_dual_add_nc_u32 v1, v58, v50 :: v_dual_add_nc_u32 v26, v51, v44
	v_dual_sub_nc_u32 v73, v76, v10 :: v_dual_bitop2_b32 v50, 1, v73 bitop3:0x40
	v_dual_sub_nc_u32 v65, v15, v65 :: v_dual_add_nc_u32 v59, 1, v59
	v_cmp_eq_u32_e32 vcc_lo, 1, v72
	s_delay_alu instid0(VALU_DEP_3) | instskip(NEXT) | instid1(VALU_DEP_3)
	v_dual_add_nc_u32 v73, v73, v6 :: v_dual_bitop2_b32 v71, 1, v71 bitop3:0x40
	v_add_nc_u32_e32 v65, 2, v65
	v_dual_lshrrev_b32 v70, 8, v37 :: v_dual_lshrrev_b32 v69, 16, v37
	v_cndmask_b32_e32 v59, v59, v74, vcc_lo
	v_cmp_eq_u32_e32 vcc_lo, 1, v49
	v_dual_add_nc_u32 v72, v63, v73 :: v_dual_lshrrev_b32 v33, 16, v38
	v_dual_lshrrev_b32 v68, 8, v38 :: v_dual_lshrrev_b32 v31, 16, v40
	v_dual_cndmask_b32 v49, v65, v54 :: v_dual_lshrrev_b32 v32, 8, v40
	v_cmp_eq_u32_e32 vcc_lo, 1, v50
	s_delay_alu instid0(VALU_DEP_4)
	v_dual_sub_nc_u32 v54, v15, v72 :: v_dual_lshrrev_b32 v30, 8, v41
	v_dual_lshrrev_b32 v29, 16, v41 :: v_dual_sub_nc_u32 v1, v1, v10
	v_cndmask_b32_e32 v50, v59, v75, vcc_lo
	v_cmp_eq_u32_e32 vcc_lo, 1, v71
	v_dual_sub_nc_u32 v59, v62, v10 :: v_dual_bitop2_b32 v37, 1, v37 bitop3:0x40
	v_dual_add_nc_u32 v54, 3, v54 :: v_dual_bitop2_b32 v48, 1, v48 bitop3:0x40
	v_cndmask_b32_e32 v49, v49, v64, vcc_lo
	v_dual_sub_nc_u32 v62, v78, v8 :: v_dual_lshlrev_b32 v50, 2, v50
	s_delay_alu instid0(VALU_DEP_4) | instskip(SKIP_1) | instid1(VALU_DEP_4)
	v_add_nc_u32_e32 v59, v59, v6
	v_cmp_eq_u32_e32 vcc_lo, 1, v37
	v_lshlrev_b32_e32 v49, 2, v49
	v_add_nc_u64_e32 v[2:3], v[2:3], v[8:9]
	ds_store_b32 v50, v27
	v_dual_sub_nc_u32 v27, v61, v10 :: v_dual_cndmask_b32 v37, v54, v73, vcc_lo
	v_add_nc_u32_e32 v54, v62, v59
	v_cmp_eq_u32_e32 vcc_lo, 1, v48
	ds_store_b32 v49, v24
	v_dual_sub_nc_u32 v48, v60, v8 :: v_dual_sub_nc_u32 v50, v79, v10
	v_dual_cndmask_b32 v37, v37, v63 :: v_dual_sub_nc_u32 v24, v15, v54
	v_dual_add_nc_u32 v27, v27, v6 :: v_dual_mov_b32 v67, v9
	s_delay_alu instid0(VALU_DEP_2) | instskip(NEXT) | instid1(VALU_DEP_3)
	v_dual_mov_b32 v13, v9 :: v_dual_add_nc_u32 v24, 4, v24
	v_dual_lshlrev_b32 v37, 2, v37 :: v_dual_bitop2_b32 v49, 1, v70 bitop3:0x40
	s_delay_alu instid0(VALU_DEP_3)
	v_add_nc_u32_e32 v54, v48, v27
	s_mov_b32 s0, -1
	v_and_b32_e32 v40, 1, v40
	ds_store_b32 v37, v25
	v_cmp_eq_u32_e32 vcc_lo, 1, v49
	v_dual_sub_nc_u32 v49, v80, v8 :: v_dual_bitop2_b32 v38, 1, v38 bitop3:0x40
	v_dual_add_nc_u32 v50, v50, v6 :: v_dual_bitop2_b32 v37, 1, v69 bitop3:0x40
	v_cndmask_b32_e32 v24, v24, v59, vcc_lo
	s_delay_alu instid0(VALU_DEP_3) | instskip(SKIP_1) | instid1(VALU_DEP_3)
	v_cmp_eq_u32_e32 vcc_lo, 1, v38
	v_and_b32_e32 v32, 1, v32
	v_dual_cndmask_b32 v24, v24, v62, vcc_lo :: v_dual_bitop2_b32 v31, 1, v31 bitop3:0x40
	v_sub_nc_u32_e32 v54, v15, v54
	v_cmp_eq_u32_e32 vcc_lo, 1, v37
	s_delay_alu instid0(VALU_DEP_3) | instskip(NEXT) | instid1(VALU_DEP_3)
	v_dual_sub_nc_u32 v37, v57, v10 :: v_dual_lshlrev_b32 v24, 2, v24
	v_add_nc_u32_e32 v38, 5, v54
	v_dual_add_nc_u32 v25, v49, v50 :: v_dual_bitop2_b32 v54, 1, v68 bitop3:0x40
	ds_store_b32 v24, v22
	v_dual_cndmask_b32 v27, v38, v27, vcc_lo :: v_dual_sub_nc_u32 v25, v15, v25
	v_and_b32_e32 v22, 1, v47
	v_cmp_eq_u32_e32 vcc_lo, 1, v54
	v_dual_sub_nc_u32 v38, v55, v10 :: v_dual_sub_nc_u32 v47, v77, v8
	s_delay_alu instid0(VALU_DEP_4) | instskip(SKIP_3) | instid1(VALU_DEP_3)
	v_dual_cndmask_b32 v25, v27, v48 :: v_dual_add_nc_u32 v24, 6, v25
	v_sub_nc_u32_e32 v27, v82, v10
	v_cmp_eq_u32_e32 vcc_lo, 1, v22
	v_and_b32_e32 v33, 1, v33
	v_dual_lshlrev_b32 v25, 2, v25 :: v_dual_add_nc_u32 v27, v27, v6
	v_cndmask_b32_e32 v22, v24, v50, vcc_lo
	v_sub_nc_u32_e32 v24, v56, v8
	s_delay_alu instid0(VALU_DEP_4)
	v_cmp_eq_u32_e32 vcc_lo, 1, v33
	ds_store_b32 v25, v23
	v_dual_sub_nc_u32 v23, v83, v8 :: v_dual_add_nc_u32 v25, v37, v6
	v_dual_cndmask_b32 v22, v22, v49 :: v_dual_add_nc_u32 v33, v24, v27
	v_and_b32_e32 v37, 1, v46
	v_cmp_eq_u32_e32 vcc_lo, 1, v40
	s_delay_alu instid0(VALU_DEP_4) | instskip(NEXT) | instid1(VALU_DEP_4)
	v_add_nc_u32_e32 v46, v23, v25
	v_dual_sub_nc_u32 v33, v15, v33 :: v_dual_lshlrev_b32 v22, 2, v22
	s_delay_alu instid0(VALU_DEP_1)
	v_dual_sub_nc_u32 v46, v15, v46 :: v_dual_add_nc_u32 v33, 7, v33
	v_add_nc_u32_e32 v38, v38, v6
	ds_store_b32 v22, v20
	v_dual_cndmask_b32 v27, v33, v27, vcc_lo :: v_dual_bitop2_b32 v22, 1, v45 bitop3:0x40
	v_cmp_eq_u32_e32 vcc_lo, 1, v37
	v_add_nc_u32_e32 v33, v47, v38
	s_delay_alu instid0(VALU_DEP_3) | instskip(SKIP_2) | instid1(VALU_DEP_3)
	v_dual_add_nc_u32 v40, 8, v46 :: v_dual_cndmask_b32 v24, v27, v24, vcc_lo
	v_and_b32_e32 v27, 1, v41
	v_cmp_eq_u32_e32 vcc_lo, 1, v32
	v_dual_sub_nc_u32 v33, v15, v33 :: v_dual_lshlrev_b32 v24, 2, v24
	s_delay_alu instid0(VALU_DEP_4) | instskip(NEXT) | instid1(VALU_DEP_4)
	v_cndmask_b32_e32 v25, v40, v25, vcc_lo
	v_cmp_eq_u32_e32 vcc_lo, 1, v27
	s_delay_alu instid0(VALU_DEP_3) | instskip(NEXT) | instid1(VALU_DEP_3)
	v_dual_add_nc_u32 v32, 9, v33 :: v_dual_bitop2_b32 v27, 1, v30 bitop3:0x40
	v_dual_cndmask_b32 v23, v25, v23 :: v_dual_sub_nc_u32 v30, v36, v8
	v_sub_nc_u32_e32 v25, v28, v10
	v_cmp_eq_u32_e32 vcc_lo, 1, v31
	s_delay_alu instid0(VALU_DEP_2)
	v_dual_lshlrev_b32 v23, 2, v23 :: v_dual_add_nc_u32 v25, v25, v6
	v_cndmask_b32_e32 v28, v32, v38, vcc_lo
	v_cmp_eq_u32_e32 vcc_lo, 1, v27
	ds_store_b32 v24, v21
	ds_store_b32 v23, v18
	v_sub_nc_u32_e32 v21, v58, v10
	v_dual_add_nc_u32 v20, v30, v25 :: v_dual_sub_nc_u32 v23, v51, v8
	v_dual_cndmask_b32 v27, v28, v47 :: v_dual_sub_nc_u32 v8, v26, v8
	s_delay_alu instid0(VALU_DEP_2) | instskip(NEXT) | instid1(VALU_DEP_2)
	v_dual_add_nc_u32 v1, v1, v6 :: v_dual_sub_nc_u32 v20, v15, v20
	v_dual_add_nc_u32 v21, v21, v6 :: v_dual_lshlrev_b32 v18, 2, v27
	v_cmp_eq_u32_e32 vcc_lo, 1, v22
	s_delay_alu instid0(VALU_DEP_3) | instskip(SKIP_3) | instid1(VALU_DEP_1)
	v_dual_add_nc_u32 v22, v8, v1 :: v_dual_add_nc_u32 v20, 10, v20
	ds_store_b32 v18, v19
	v_cndmask_b32_e32 v20, v20, v25, vcc_lo
	v_add_nc_u32_e32 v26, v23, v21
	v_dual_sub_nc_u32 v18, v15, v26 :: v_dual_bitop2_b32 v24, 1, v29 bitop3:0x40
	s_delay_alu instid0(VALU_DEP_1) | instskip(SKIP_1) | instid1(VALU_DEP_3)
	v_cmp_eq_u32_e32 vcc_lo, 1, v24
	v_dual_sub_nc_u32 v15, v15, v22 :: v_dual_bitop2_b32 v24, 1, v39 bitop3:0x40
	v_dual_add_nc_u32 v25, 11, v18 :: v_dual_bitop2_b32 v22, 1, v44 bitop3:0x40
	v_cndmask_b32_e32 v20, v20, v30, vcc_lo
	s_delay_alu instid0(VALU_DEP_3) | instskip(SKIP_4) | instid1(VALU_DEP_4)
	v_cmp_eq_u32_e32 vcc_lo, 1, v24
	v_and_b32_e32 v26, 1, v43
	v_dual_add_nc_u32 v15, 12, v15 :: v_dual_bitop2_b32 v24, 1, v42 bitop3:0x40
	v_add_nc_u64_e32 v[18:19], v[12:13], v[66:67]
	v_cndmask_b32_e32 v21, v25, v21, vcc_lo
	v_cmp_eq_u32_e32 vcc_lo, 1, v26
	s_delay_alu instid0(VALU_DEP_4)
	v_dual_cndmask_b32 v1, v15, v1 :: v_dual_lshlrev_b32 v20, 2, v20
	v_cmp_eq_u32_e32 vcc_lo, 1, v22
	v_add_nc_u64_e32 v[18:19], v[18:19], v[52:53]
	v_mov_b32_e32 v15, v9
	ds_store_b32 v20, v16
	v_cndmask_b32_e32 v21, v21, v23, vcc_lo
	v_cmp_eq_u32_e32 vcc_lo, 1, v24
	s_delay_alu instid0(VALU_DEP_2)
	v_dual_cndmask_b32 v1, v1, v8 :: v_dual_lshlrev_b32 v22, 2, v21
	v_add_nc_u64_e32 v[8:9], s[34:35], v[14:15]
	v_add_nc_u64_e32 v[14:15], v[18:19], v[2:3]
	v_lshlrev_b64_e32 v[18:19], 2, v[52:53]
	v_lshlrev_b64_e32 v[20:21], 2, v[2:3]
	v_lshlrev_b32_e32 v1, 2, v1
	v_cmp_ne_u32_e32 vcc_lo, 1, v35
	v_sub_nc_u64_e32 v[14:15], v[8:9], v[14:15]
	v_add_nc_u64_e32 v[8:9], s[30:31], v[18:19]
	v_add_nc_u32_e32 v18, v6, v12
	ds_store_b32 v22, v17
	ds_store_b32 v1, v34
	v_add_nc_u64_e32 v[16:17], s[28:29], v[20:21]
	s_wait_dscnt 0x0
	s_barrier_signal -1
	s_barrier_wait -1
	s_cbranch_vccz .LBB556_154
; %bb.151:
	s_and_b32 vcc_lo, exec_lo, s0
	s_cbranch_vccnz .LBB556_259
.LBB556_152:
	s_and_b32 s0, s2, s26
	s_delay_alu instid0(SALU_CYCLE_1)
	s_and_saveexec_b32 s1, s0
	s_cbranch_execnz .LBB556_377
.LBB556_153:
	s_sendmsg sendmsg(MSG_DEALLOC_VGPRS)
	s_endpgm
.LBB556_154:
	s_mov_b32 s0, exec_lo
	v_cmpx_ge_u32_e64 v0, v6
	s_xor_b32 s0, exec_lo, s0
	s_cbranch_execz .LBB556_160
; %bb.155:
	v_mov_b32_e32 v1, 0
	s_mov_b32 s1, exec_lo
	v_cmpx_ge_u32_e64 v0, v18
	s_xor_b32 s1, exec_lo, s1
	s_cbranch_execz .LBB556_157
; %bb.156:
	v_lshlrev_b32_e32 v19, 2, v0
	v_add_nc_u64_e32 v[20:21], v[14:15], v[0:1]
	ds_load_b32 v1, v19
	v_lshlrev_b64_e32 v[20:21], 2, v[20:21]
	s_delay_alu instid0(VALU_DEP_1)
	v_sub_nc_u64_e32 v[20:21], s[14:15], v[20:21]
	s_wait_dscnt 0x0
	global_store_b32 v[20:21], v1, off offset:-4
.LBB556_157:
	s_wait_xcnt 0x0
	s_and_not1_saveexec_b32 s1, s1
	s_cbranch_execz .LBB556_159
; %bb.158:
	v_lshlrev_b32_e32 v1, 2, v0
	v_readfirstlane_b32 s6, v8
	v_readfirstlane_b32 s7, v9
	ds_load_b32 v1, v1
	s_wait_dscnt 0x0
	global_store_b32 v0, v1, s[6:7] scale_offset
.LBB556_159:
	s_wait_xcnt 0x0
	s_or_b32 exec_lo, exec_lo, s1
.LBB556_160:
	s_and_not1_saveexec_b32 s0, s0
	s_cbranch_execz .LBB556_162
; %bb.161:
	v_lshlrev_b32_e32 v1, 2, v0
	v_readfirstlane_b32 s6, v16
	v_readfirstlane_b32 s7, v17
	ds_load_b32 v1, v1
	s_wait_dscnt 0x0
	global_store_b32 v0, v1, s[6:7] scale_offset
.LBB556_162:
	s_wait_xcnt 0x0
	s_or_b32 exec_lo, exec_lo, s0
	v_or_b32_e32 v1, 0x100, v0
	s_mov_b32 s0, exec_lo
	s_delay_alu instid0(VALU_DEP_1)
	v_cmpx_ge_u32_e64 v1, v6
	s_xor_b32 s0, exec_lo, s0
	s_cbranch_execz .LBB556_168
; %bb.163:
	s_mov_b32 s1, exec_lo
	v_cmpx_ge_u32_e64 v1, v18
	s_xor_b32 s1, exec_lo, s1
	s_cbranch_execz .LBB556_165
; %bb.164:
	v_dual_mov_b32 v1, 0 :: v_dual_lshlrev_b32 v19, 2, v0
	s_delay_alu instid0(VALU_DEP_1) | instskip(SKIP_2) | instid1(VALU_DEP_1)
	v_add_nc_u64_e32 v[20:21], v[14:15], v[0:1]
	ds_load_b32 v1, v19 offset:1024
	v_lshlrev_b64_e32 v[20:21], 2, v[20:21]
	v_sub_nc_u64_e32 v[20:21], s[14:15], v[20:21]
	s_wait_dscnt 0x0
	global_store_b32 v[20:21], v1, off offset:-1028
.LBB556_165:
	s_wait_xcnt 0x0
	s_and_not1_saveexec_b32 s1, s1
	s_cbranch_execz .LBB556_167
; %bb.166:
	v_lshlrev_b32_e32 v1, 2, v0
	v_readfirstlane_b32 s6, v8
	v_readfirstlane_b32 s7, v9
	ds_load_b32 v1, v1 offset:1024
	s_wait_dscnt 0x0
	global_store_b32 v0, v1, s[6:7] offset:1024 scale_offset
.LBB556_167:
	s_wait_xcnt 0x0
	s_or_b32 exec_lo, exec_lo, s1
.LBB556_168:
	s_and_not1_saveexec_b32 s0, s0
	s_cbranch_execz .LBB556_170
; %bb.169:
	v_lshlrev_b32_e32 v1, 2, v0
	v_readfirstlane_b32 s6, v16
	v_readfirstlane_b32 s7, v17
	ds_load_b32 v1, v1 offset:1024
	s_wait_dscnt 0x0
	global_store_b32 v0, v1, s[6:7] offset:1024 scale_offset
.LBB556_170:
	s_wait_xcnt 0x0
	s_or_b32 exec_lo, exec_lo, s0
	v_or_b32_e32 v1, 0x200, v0
	s_mov_b32 s0, exec_lo
	s_delay_alu instid0(VALU_DEP_1)
	v_cmpx_ge_u32_e64 v1, v6
	s_xor_b32 s0, exec_lo, s0
	s_cbranch_execz .LBB556_176
; %bb.171:
	s_mov_b32 s1, exec_lo
	v_cmpx_ge_u32_e64 v1, v18
	s_xor_b32 s1, exec_lo, s1
	s_cbranch_execz .LBB556_173
; %bb.172:
	v_dual_mov_b32 v1, 0 :: v_dual_lshlrev_b32 v19, 2, v0
	s_delay_alu instid0(VALU_DEP_1) | instskip(SKIP_2) | instid1(VALU_DEP_1)
	v_add_nc_u64_e32 v[20:21], v[14:15], v[0:1]
	ds_load_b32 v1, v19 offset:2048
	v_lshlrev_b64_e32 v[20:21], 2, v[20:21]
	v_sub_nc_u64_e32 v[20:21], s[14:15], v[20:21]
	s_wait_dscnt 0x0
	global_store_b32 v[20:21], v1, off offset:-2052
.LBB556_173:
	s_wait_xcnt 0x0
	s_and_not1_saveexec_b32 s1, s1
	s_cbranch_execz .LBB556_175
; %bb.174:
	v_lshlrev_b32_e32 v1, 2, v0
	v_readfirstlane_b32 s6, v8
	v_readfirstlane_b32 s7, v9
	ds_load_b32 v1, v1 offset:2048
	s_wait_dscnt 0x0
	global_store_b32 v0, v1, s[6:7] offset:2048 scale_offset
.LBB556_175:
	s_wait_xcnt 0x0
	s_or_b32 exec_lo, exec_lo, s1
.LBB556_176:
	s_and_not1_saveexec_b32 s0, s0
	s_cbranch_execz .LBB556_178
; %bb.177:
	v_lshlrev_b32_e32 v1, 2, v0
	v_readfirstlane_b32 s6, v16
	v_readfirstlane_b32 s7, v17
	ds_load_b32 v1, v1 offset:2048
	s_wait_dscnt 0x0
	global_store_b32 v0, v1, s[6:7] offset:2048 scale_offset
.LBB556_178:
	;; [unrolled: 47-line block ×12, first 2 shown]
	s_wait_xcnt 0x0
	s_or_b32 exec_lo, exec_lo, s0
	s_branch .LBB556_152
.LBB556_259:
	s_mov_b32 s0, exec_lo
	v_cmpx_gt_u32_e64 s5, v0
	s_cbranch_execz .LBB556_268
; %bb.260:
	s_mov_b32 s1, exec_lo
	v_cmpx_ge_u32_e64 v0, v6
	s_xor_b32 s1, exec_lo, s1
	s_cbranch_execz .LBB556_266
; %bb.261:
	v_mov_b32_e32 v1, 0
	s_mov_b32 s3, exec_lo
	v_cmpx_ge_u32_e64 v0, v18
	s_xor_b32 s3, exec_lo, s3
	s_cbranch_execz .LBB556_263
; %bb.262:
	v_lshlrev_b32_e32 v19, 2, v0
	v_add_nc_u64_e32 v[20:21], v[14:15], v[0:1]
	ds_load_b32 v1, v19
	v_lshlrev_b64_e32 v[20:21], 2, v[20:21]
	s_delay_alu instid0(VALU_DEP_1)
	v_sub_nc_u64_e32 v[20:21], s[14:15], v[20:21]
	s_wait_dscnt 0x0
	global_store_b32 v[20:21], v1, off offset:-4
.LBB556_263:
	s_wait_xcnt 0x0
	s_and_not1_saveexec_b32 s3, s3
	s_cbranch_execz .LBB556_265
; %bb.264:
	v_lshlrev_b32_e32 v1, 2, v0
	v_readfirstlane_b32 s6, v8
	v_readfirstlane_b32 s7, v9
	ds_load_b32 v1, v1
	s_wait_dscnt 0x0
	global_store_b32 v0, v1, s[6:7] scale_offset
.LBB556_265:
	s_wait_xcnt 0x0
	s_or_b32 exec_lo, exec_lo, s3
.LBB556_266:
	s_and_not1_saveexec_b32 s1, s1
	s_cbranch_execz .LBB556_268
; %bb.267:
	v_lshlrev_b32_e32 v1, 2, v0
	v_readfirstlane_b32 s6, v16
	v_readfirstlane_b32 s7, v17
	ds_load_b32 v1, v1
	s_wait_dscnt 0x0
	global_store_b32 v0, v1, s[6:7] scale_offset
.LBB556_268:
	s_wait_xcnt 0x0
	s_or_b32 exec_lo, exec_lo, s0
	v_or_b32_e32 v1, 0x100, v0
	s_mov_b32 s0, exec_lo
	s_delay_alu instid0(VALU_DEP_1)
	v_cmpx_gt_u32_e64 s5, v1
	s_cbranch_execz .LBB556_277
; %bb.269:
	s_mov_b32 s1, exec_lo
	v_cmpx_ge_u32_e64 v1, v6
	s_xor_b32 s1, exec_lo, s1
	s_cbranch_execz .LBB556_275
; %bb.270:
	s_mov_b32 s3, exec_lo
	v_cmpx_ge_u32_e64 v1, v18
	s_xor_b32 s3, exec_lo, s3
	s_cbranch_execz .LBB556_272
; %bb.271:
	v_dual_mov_b32 v1, 0 :: v_dual_lshlrev_b32 v19, 2, v0
	s_delay_alu instid0(VALU_DEP_1) | instskip(SKIP_2) | instid1(VALU_DEP_1)
	v_add_nc_u64_e32 v[20:21], v[14:15], v[0:1]
	ds_load_b32 v1, v19 offset:1024
	v_lshlrev_b64_e32 v[20:21], 2, v[20:21]
	v_sub_nc_u64_e32 v[20:21], s[14:15], v[20:21]
	s_wait_dscnt 0x0
	global_store_b32 v[20:21], v1, off offset:-1028
.LBB556_272:
	s_wait_xcnt 0x0
	s_and_not1_saveexec_b32 s3, s3
	s_cbranch_execz .LBB556_274
; %bb.273:
	v_lshlrev_b32_e32 v1, 2, v0
	v_readfirstlane_b32 s6, v8
	v_readfirstlane_b32 s7, v9
	ds_load_b32 v1, v1 offset:1024
	s_wait_dscnt 0x0
	global_store_b32 v0, v1, s[6:7] offset:1024 scale_offset
.LBB556_274:
	s_wait_xcnt 0x0
	s_or_b32 exec_lo, exec_lo, s3
.LBB556_275:
	s_and_not1_saveexec_b32 s1, s1
	s_cbranch_execz .LBB556_277
; %bb.276:
	v_lshlrev_b32_e32 v1, 2, v0
	v_readfirstlane_b32 s6, v16
	v_readfirstlane_b32 s7, v17
	ds_load_b32 v1, v1 offset:1024
	s_wait_dscnt 0x0
	global_store_b32 v0, v1, s[6:7] offset:1024 scale_offset
.LBB556_277:
	s_wait_xcnt 0x0
	s_or_b32 exec_lo, exec_lo, s0
	v_or_b32_e32 v1, 0x200, v0
	s_mov_b32 s0, exec_lo
	s_delay_alu instid0(VALU_DEP_1)
	v_cmpx_gt_u32_e64 s5, v1
	s_cbranch_execz .LBB556_286
; %bb.278:
	s_mov_b32 s1, exec_lo
	v_cmpx_ge_u32_e64 v1, v6
	s_xor_b32 s1, exec_lo, s1
	s_cbranch_execz .LBB556_284
; %bb.279:
	s_mov_b32 s3, exec_lo
	v_cmpx_ge_u32_e64 v1, v18
	s_xor_b32 s3, exec_lo, s3
	s_cbranch_execz .LBB556_281
; %bb.280:
	v_dual_mov_b32 v1, 0 :: v_dual_lshlrev_b32 v19, 2, v0
	s_delay_alu instid0(VALU_DEP_1) | instskip(SKIP_2) | instid1(VALU_DEP_1)
	v_add_nc_u64_e32 v[20:21], v[14:15], v[0:1]
	ds_load_b32 v1, v19 offset:2048
	v_lshlrev_b64_e32 v[20:21], 2, v[20:21]
	v_sub_nc_u64_e32 v[20:21], s[14:15], v[20:21]
	s_wait_dscnt 0x0
	global_store_b32 v[20:21], v1, off offset:-2052
.LBB556_281:
	s_wait_xcnt 0x0
	s_and_not1_saveexec_b32 s3, s3
	s_cbranch_execz .LBB556_283
; %bb.282:
	v_lshlrev_b32_e32 v1, 2, v0
	v_readfirstlane_b32 s6, v8
	v_readfirstlane_b32 s7, v9
	ds_load_b32 v1, v1 offset:2048
	s_wait_dscnt 0x0
	global_store_b32 v0, v1, s[6:7] offset:2048 scale_offset
.LBB556_283:
	s_wait_xcnt 0x0
	s_or_b32 exec_lo, exec_lo, s3
.LBB556_284:
	s_and_not1_saveexec_b32 s1, s1
	s_cbranch_execz .LBB556_286
; %bb.285:
	v_lshlrev_b32_e32 v1, 2, v0
	v_readfirstlane_b32 s6, v16
	v_readfirstlane_b32 s7, v17
	ds_load_b32 v1, v1 offset:2048
	s_wait_dscnt 0x0
	global_store_b32 v0, v1, s[6:7] offset:2048 scale_offset
.LBB556_286:
	;; [unrolled: 51-line block ×11, first 2 shown]
	s_wait_xcnt 0x0
	s_or_b32 exec_lo, exec_lo, s0
	v_or_b32_e32 v1, 0xc00, v0
	s_mov_b32 s0, exec_lo
	s_delay_alu instid0(VALU_DEP_1)
	v_cmpx_gt_u32_e64 s5, v1
	s_cbranch_execz .LBB556_376
; %bb.368:
	s_mov_b32 s1, exec_lo
	v_cmpx_ge_u32_e64 v1, v6
	s_xor_b32 s1, exec_lo, s1
	s_cbranch_execz .LBB556_374
; %bb.369:
	s_mov_b32 s3, exec_lo
	v_cmpx_ge_u32_e64 v1, v18
	s_xor_b32 s3, exec_lo, s3
	s_cbranch_execz .LBB556_371
; %bb.370:
	v_dual_mov_b32 v1, 0 :: v_dual_lshlrev_b32 v8, 2, v0
	s_delay_alu instid0(VALU_DEP_1) | instskip(SKIP_2) | instid1(VALU_DEP_1)
	v_add_nc_u64_e32 v[0:1], v[14:15], v[0:1]
	ds_load_b32 v8, v8 offset:12288
	v_lshlrev_b64_e32 v[0:1], 2, v[0:1]
	v_sub_nc_u64_e32 v[0:1], s[14:15], v[0:1]
	s_wait_dscnt 0x0
	global_store_b32 v[0:1], v8, off offset:-12292
                                        ; implicit-def: $vgpr0
                                        ; implicit-def: $vgpr8_vgpr9
.LBB556_371:
	s_wait_xcnt 0x0
	s_and_not1_saveexec_b32 s3, s3
	s_cbranch_execz .LBB556_373
; %bb.372:
	v_lshlrev_b32_e32 v1, 2, v0
	v_readfirstlane_b32 s4, v8
	v_readfirstlane_b32 s5, v9
	ds_load_b32 v1, v1 offset:12288
	s_wait_dscnt 0x0
	global_store_b32 v0, v1, s[4:5] offset:12288 scale_offset
.LBB556_373:
	s_wait_xcnt 0x0
	s_or_b32 exec_lo, exec_lo, s3
                                        ; implicit-def: $vgpr0
                                        ; implicit-def: $vgpr16_vgpr17
.LBB556_374:
	s_and_not1_saveexec_b32 s1, s1
	s_cbranch_execz .LBB556_376
; %bb.375:
	v_lshlrev_b32_e32 v1, 2, v0
	v_readfirstlane_b32 s4, v16
	v_readfirstlane_b32 s5, v17
	ds_load_b32 v1, v1 offset:12288
	s_wait_dscnt 0x0
	global_store_b32 v0, v1, s[4:5] offset:12288 scale_offset
.LBB556_376:
	s_wait_xcnt 0x0
	s_or_b32 exec_lo, exec_lo, s0
	s_and_b32 s0, s2, s26
	s_delay_alu instid0(SALU_CYCLE_1)
	s_and_saveexec_b32 s1, s0
	s_cbranch_execz .LBB556_153
.LBB556_377:
	v_add_nc_u64_e32 v[0:1], v[4:5], v[12:13]
	v_add_nc_u64_e32 v[2:3], v[2:3], v[6:7]
	s_delay_alu instid0(VALU_DEP_2)
	v_add_nc_u64_e32 v[4:5], v[0:1], v[10:11]
	v_mov_b32_e32 v0, 0
	global_store_b128 v0, v[2:5], s[24:25]
	s_sendmsg sendmsg(MSG_DEALLOC_VGPRS)
	s_endpgm
	.section	.rodata,"a",@progbits
	.p2align	6, 0x0
	.amdhsa_kernel _ZN7rocprim17ROCPRIM_400000_NS6detail17trampoline_kernelINS0_13select_configILj256ELj13ELNS0_17block_load_methodE3ELS4_3ELS4_3ELNS0_20block_scan_algorithmE0ELj4294967295EEENS1_25partition_config_selectorILNS1_17partition_subalgoE4EjNS0_10empty_typeEbEEZZNS1_14partition_implILS8_4ELb0ES6_15HIP_vector_typeIjLj2EENS0_17counting_iteratorIjlEEPS9_SG_NS0_5tupleIJPjSI_NS0_16reverse_iteratorISI_EEEEENSH_IJSG_SG_SG_EEES9_SI_JZNS1_25segmented_radix_sort_implINS0_14default_configELb0EPKiPiPKlPlN2at6native12_GLOBAL__N_18offset_tEEE10hipError_tPvRmT1_PNSt15iterator_traitsIS12_E10value_typeET2_T3_PNS13_IS18_E10value_typeET4_jRbjT5_S1E_jjP12ihipStream_tbEUljE_ZNSN_ISO_Lb0ESQ_SR_ST_SU_SY_EESZ_S10_S11_S12_S16_S17_S18_S1B_S1C_jS1D_jS1E_S1E_jjS1G_bEUljE0_EEESZ_S10_S11_S18_S1C_S1E_T6_T7_T9_mT8_S1G_bDpT10_ENKUlT_T0_E_clISt17integral_constantIbLb0EES1T_IbLb1EEEEDaS1P_S1Q_EUlS1P_E_NS1_11comp_targetILNS1_3genE0ELNS1_11target_archE4294967295ELNS1_3gpuE0ELNS1_3repE0EEENS1_30default_config_static_selectorELNS0_4arch9wavefront6targetE0EEEvS12_
		.amdhsa_group_segment_fixed_size 13328
		.amdhsa_private_segment_fixed_size 0
		.amdhsa_kernarg_size 184
		.amdhsa_user_sgpr_count 2
		.amdhsa_user_sgpr_dispatch_ptr 0
		.amdhsa_user_sgpr_queue_ptr 0
		.amdhsa_user_sgpr_kernarg_segment_ptr 1
		.amdhsa_user_sgpr_dispatch_id 0
		.amdhsa_user_sgpr_kernarg_preload_length 0
		.amdhsa_user_sgpr_kernarg_preload_offset 0
		.amdhsa_user_sgpr_private_segment_size 0
		.amdhsa_wavefront_size32 1
		.amdhsa_uses_dynamic_stack 0
		.amdhsa_enable_private_segment 0
		.amdhsa_system_sgpr_workgroup_id_x 1
		.amdhsa_system_sgpr_workgroup_id_y 0
		.amdhsa_system_sgpr_workgroup_id_z 0
		.amdhsa_system_sgpr_workgroup_info 0
		.amdhsa_system_vgpr_workitem_id 0
		.amdhsa_next_free_vgpr 86
		.amdhsa_next_free_sgpr 55
		.amdhsa_named_barrier_count 0
		.amdhsa_reserve_vcc 1
		.amdhsa_float_round_mode_32 0
		.amdhsa_float_round_mode_16_64 0
		.amdhsa_float_denorm_mode_32 3
		.amdhsa_float_denorm_mode_16_64 3
		.amdhsa_fp16_overflow 0
		.amdhsa_memory_ordered 1
		.amdhsa_forward_progress 1
		.amdhsa_inst_pref_size 140
		.amdhsa_round_robin_scheduling 0
		.amdhsa_exception_fp_ieee_invalid_op 0
		.amdhsa_exception_fp_denorm_src 0
		.amdhsa_exception_fp_ieee_div_zero 0
		.amdhsa_exception_fp_ieee_overflow 0
		.amdhsa_exception_fp_ieee_underflow 0
		.amdhsa_exception_fp_ieee_inexact 0
		.amdhsa_exception_int_div_zero 0
	.end_amdhsa_kernel
	.section	.text._ZN7rocprim17ROCPRIM_400000_NS6detail17trampoline_kernelINS0_13select_configILj256ELj13ELNS0_17block_load_methodE3ELS4_3ELS4_3ELNS0_20block_scan_algorithmE0ELj4294967295EEENS1_25partition_config_selectorILNS1_17partition_subalgoE4EjNS0_10empty_typeEbEEZZNS1_14partition_implILS8_4ELb0ES6_15HIP_vector_typeIjLj2EENS0_17counting_iteratorIjlEEPS9_SG_NS0_5tupleIJPjSI_NS0_16reverse_iteratorISI_EEEEENSH_IJSG_SG_SG_EEES9_SI_JZNS1_25segmented_radix_sort_implINS0_14default_configELb0EPKiPiPKlPlN2at6native12_GLOBAL__N_18offset_tEEE10hipError_tPvRmT1_PNSt15iterator_traitsIS12_E10value_typeET2_T3_PNS13_IS18_E10value_typeET4_jRbjT5_S1E_jjP12ihipStream_tbEUljE_ZNSN_ISO_Lb0ESQ_SR_ST_SU_SY_EESZ_S10_S11_S12_S16_S17_S18_S1B_S1C_jS1D_jS1E_S1E_jjS1G_bEUljE0_EEESZ_S10_S11_S18_S1C_S1E_T6_T7_T9_mT8_S1G_bDpT10_ENKUlT_T0_E_clISt17integral_constantIbLb0EES1T_IbLb1EEEEDaS1P_S1Q_EUlS1P_E_NS1_11comp_targetILNS1_3genE0ELNS1_11target_archE4294967295ELNS1_3gpuE0ELNS1_3repE0EEENS1_30default_config_static_selectorELNS0_4arch9wavefront6targetE0EEEvS12_,"axG",@progbits,_ZN7rocprim17ROCPRIM_400000_NS6detail17trampoline_kernelINS0_13select_configILj256ELj13ELNS0_17block_load_methodE3ELS4_3ELS4_3ELNS0_20block_scan_algorithmE0ELj4294967295EEENS1_25partition_config_selectorILNS1_17partition_subalgoE4EjNS0_10empty_typeEbEEZZNS1_14partition_implILS8_4ELb0ES6_15HIP_vector_typeIjLj2EENS0_17counting_iteratorIjlEEPS9_SG_NS0_5tupleIJPjSI_NS0_16reverse_iteratorISI_EEEEENSH_IJSG_SG_SG_EEES9_SI_JZNS1_25segmented_radix_sort_implINS0_14default_configELb0EPKiPiPKlPlN2at6native12_GLOBAL__N_18offset_tEEE10hipError_tPvRmT1_PNSt15iterator_traitsIS12_E10value_typeET2_T3_PNS13_IS18_E10value_typeET4_jRbjT5_S1E_jjP12ihipStream_tbEUljE_ZNSN_ISO_Lb0ESQ_SR_ST_SU_SY_EESZ_S10_S11_S12_S16_S17_S18_S1B_S1C_jS1D_jS1E_S1E_jjS1G_bEUljE0_EEESZ_S10_S11_S18_S1C_S1E_T6_T7_T9_mT8_S1G_bDpT10_ENKUlT_T0_E_clISt17integral_constantIbLb0EES1T_IbLb1EEEEDaS1P_S1Q_EUlS1P_E_NS1_11comp_targetILNS1_3genE0ELNS1_11target_archE4294967295ELNS1_3gpuE0ELNS1_3repE0EEENS1_30default_config_static_selectorELNS0_4arch9wavefront6targetE0EEEvS12_,comdat
.Lfunc_end556:
	.size	_ZN7rocprim17ROCPRIM_400000_NS6detail17trampoline_kernelINS0_13select_configILj256ELj13ELNS0_17block_load_methodE3ELS4_3ELS4_3ELNS0_20block_scan_algorithmE0ELj4294967295EEENS1_25partition_config_selectorILNS1_17partition_subalgoE4EjNS0_10empty_typeEbEEZZNS1_14partition_implILS8_4ELb0ES6_15HIP_vector_typeIjLj2EENS0_17counting_iteratorIjlEEPS9_SG_NS0_5tupleIJPjSI_NS0_16reverse_iteratorISI_EEEEENSH_IJSG_SG_SG_EEES9_SI_JZNS1_25segmented_radix_sort_implINS0_14default_configELb0EPKiPiPKlPlN2at6native12_GLOBAL__N_18offset_tEEE10hipError_tPvRmT1_PNSt15iterator_traitsIS12_E10value_typeET2_T3_PNS13_IS18_E10value_typeET4_jRbjT5_S1E_jjP12ihipStream_tbEUljE_ZNSN_ISO_Lb0ESQ_SR_ST_SU_SY_EESZ_S10_S11_S12_S16_S17_S18_S1B_S1C_jS1D_jS1E_S1E_jjS1G_bEUljE0_EEESZ_S10_S11_S18_S1C_S1E_T6_T7_T9_mT8_S1G_bDpT10_ENKUlT_T0_E_clISt17integral_constantIbLb0EES1T_IbLb1EEEEDaS1P_S1Q_EUlS1P_E_NS1_11comp_targetILNS1_3genE0ELNS1_11target_archE4294967295ELNS1_3gpuE0ELNS1_3repE0EEENS1_30default_config_static_selectorELNS0_4arch9wavefront6targetE0EEEvS12_, .Lfunc_end556-_ZN7rocprim17ROCPRIM_400000_NS6detail17trampoline_kernelINS0_13select_configILj256ELj13ELNS0_17block_load_methodE3ELS4_3ELS4_3ELNS0_20block_scan_algorithmE0ELj4294967295EEENS1_25partition_config_selectorILNS1_17partition_subalgoE4EjNS0_10empty_typeEbEEZZNS1_14partition_implILS8_4ELb0ES6_15HIP_vector_typeIjLj2EENS0_17counting_iteratorIjlEEPS9_SG_NS0_5tupleIJPjSI_NS0_16reverse_iteratorISI_EEEEENSH_IJSG_SG_SG_EEES9_SI_JZNS1_25segmented_radix_sort_implINS0_14default_configELb0EPKiPiPKlPlN2at6native12_GLOBAL__N_18offset_tEEE10hipError_tPvRmT1_PNSt15iterator_traitsIS12_E10value_typeET2_T3_PNS13_IS18_E10value_typeET4_jRbjT5_S1E_jjP12ihipStream_tbEUljE_ZNSN_ISO_Lb0ESQ_SR_ST_SU_SY_EESZ_S10_S11_S12_S16_S17_S18_S1B_S1C_jS1D_jS1E_S1E_jjS1G_bEUljE0_EEESZ_S10_S11_S18_S1C_S1E_T6_T7_T9_mT8_S1G_bDpT10_ENKUlT_T0_E_clISt17integral_constantIbLb0EES1T_IbLb1EEEEDaS1P_S1Q_EUlS1P_E_NS1_11comp_targetILNS1_3genE0ELNS1_11target_archE4294967295ELNS1_3gpuE0ELNS1_3repE0EEENS1_30default_config_static_selectorELNS0_4arch9wavefront6targetE0EEEvS12_
                                        ; -- End function
	.set _ZN7rocprim17ROCPRIM_400000_NS6detail17trampoline_kernelINS0_13select_configILj256ELj13ELNS0_17block_load_methodE3ELS4_3ELS4_3ELNS0_20block_scan_algorithmE0ELj4294967295EEENS1_25partition_config_selectorILNS1_17partition_subalgoE4EjNS0_10empty_typeEbEEZZNS1_14partition_implILS8_4ELb0ES6_15HIP_vector_typeIjLj2EENS0_17counting_iteratorIjlEEPS9_SG_NS0_5tupleIJPjSI_NS0_16reverse_iteratorISI_EEEEENSH_IJSG_SG_SG_EEES9_SI_JZNS1_25segmented_radix_sort_implINS0_14default_configELb0EPKiPiPKlPlN2at6native12_GLOBAL__N_18offset_tEEE10hipError_tPvRmT1_PNSt15iterator_traitsIS12_E10value_typeET2_T3_PNS13_IS18_E10value_typeET4_jRbjT5_S1E_jjP12ihipStream_tbEUljE_ZNSN_ISO_Lb0ESQ_SR_ST_SU_SY_EESZ_S10_S11_S12_S16_S17_S18_S1B_S1C_jS1D_jS1E_S1E_jjS1G_bEUljE0_EEESZ_S10_S11_S18_S1C_S1E_T6_T7_T9_mT8_S1G_bDpT10_ENKUlT_T0_E_clISt17integral_constantIbLb0EES1T_IbLb1EEEEDaS1P_S1Q_EUlS1P_E_NS1_11comp_targetILNS1_3genE0ELNS1_11target_archE4294967295ELNS1_3gpuE0ELNS1_3repE0EEENS1_30default_config_static_selectorELNS0_4arch9wavefront6targetE0EEEvS12_.num_vgpr, 86
	.set _ZN7rocprim17ROCPRIM_400000_NS6detail17trampoline_kernelINS0_13select_configILj256ELj13ELNS0_17block_load_methodE3ELS4_3ELS4_3ELNS0_20block_scan_algorithmE0ELj4294967295EEENS1_25partition_config_selectorILNS1_17partition_subalgoE4EjNS0_10empty_typeEbEEZZNS1_14partition_implILS8_4ELb0ES6_15HIP_vector_typeIjLj2EENS0_17counting_iteratorIjlEEPS9_SG_NS0_5tupleIJPjSI_NS0_16reverse_iteratorISI_EEEEENSH_IJSG_SG_SG_EEES9_SI_JZNS1_25segmented_radix_sort_implINS0_14default_configELb0EPKiPiPKlPlN2at6native12_GLOBAL__N_18offset_tEEE10hipError_tPvRmT1_PNSt15iterator_traitsIS12_E10value_typeET2_T3_PNS13_IS18_E10value_typeET4_jRbjT5_S1E_jjP12ihipStream_tbEUljE_ZNSN_ISO_Lb0ESQ_SR_ST_SU_SY_EESZ_S10_S11_S12_S16_S17_S18_S1B_S1C_jS1D_jS1E_S1E_jjS1G_bEUljE0_EEESZ_S10_S11_S18_S1C_S1E_T6_T7_T9_mT8_S1G_bDpT10_ENKUlT_T0_E_clISt17integral_constantIbLb0EES1T_IbLb1EEEEDaS1P_S1Q_EUlS1P_E_NS1_11comp_targetILNS1_3genE0ELNS1_11target_archE4294967295ELNS1_3gpuE0ELNS1_3repE0EEENS1_30default_config_static_selectorELNS0_4arch9wavefront6targetE0EEEvS12_.num_agpr, 0
	.set _ZN7rocprim17ROCPRIM_400000_NS6detail17trampoline_kernelINS0_13select_configILj256ELj13ELNS0_17block_load_methodE3ELS4_3ELS4_3ELNS0_20block_scan_algorithmE0ELj4294967295EEENS1_25partition_config_selectorILNS1_17partition_subalgoE4EjNS0_10empty_typeEbEEZZNS1_14partition_implILS8_4ELb0ES6_15HIP_vector_typeIjLj2EENS0_17counting_iteratorIjlEEPS9_SG_NS0_5tupleIJPjSI_NS0_16reverse_iteratorISI_EEEEENSH_IJSG_SG_SG_EEES9_SI_JZNS1_25segmented_radix_sort_implINS0_14default_configELb0EPKiPiPKlPlN2at6native12_GLOBAL__N_18offset_tEEE10hipError_tPvRmT1_PNSt15iterator_traitsIS12_E10value_typeET2_T3_PNS13_IS18_E10value_typeET4_jRbjT5_S1E_jjP12ihipStream_tbEUljE_ZNSN_ISO_Lb0ESQ_SR_ST_SU_SY_EESZ_S10_S11_S12_S16_S17_S18_S1B_S1C_jS1D_jS1E_S1E_jjS1G_bEUljE0_EEESZ_S10_S11_S18_S1C_S1E_T6_T7_T9_mT8_S1G_bDpT10_ENKUlT_T0_E_clISt17integral_constantIbLb0EES1T_IbLb1EEEEDaS1P_S1Q_EUlS1P_E_NS1_11comp_targetILNS1_3genE0ELNS1_11target_archE4294967295ELNS1_3gpuE0ELNS1_3repE0EEENS1_30default_config_static_selectorELNS0_4arch9wavefront6targetE0EEEvS12_.numbered_sgpr, 55
	.set _ZN7rocprim17ROCPRIM_400000_NS6detail17trampoline_kernelINS0_13select_configILj256ELj13ELNS0_17block_load_methodE3ELS4_3ELS4_3ELNS0_20block_scan_algorithmE0ELj4294967295EEENS1_25partition_config_selectorILNS1_17partition_subalgoE4EjNS0_10empty_typeEbEEZZNS1_14partition_implILS8_4ELb0ES6_15HIP_vector_typeIjLj2EENS0_17counting_iteratorIjlEEPS9_SG_NS0_5tupleIJPjSI_NS0_16reverse_iteratorISI_EEEEENSH_IJSG_SG_SG_EEES9_SI_JZNS1_25segmented_radix_sort_implINS0_14default_configELb0EPKiPiPKlPlN2at6native12_GLOBAL__N_18offset_tEEE10hipError_tPvRmT1_PNSt15iterator_traitsIS12_E10value_typeET2_T3_PNS13_IS18_E10value_typeET4_jRbjT5_S1E_jjP12ihipStream_tbEUljE_ZNSN_ISO_Lb0ESQ_SR_ST_SU_SY_EESZ_S10_S11_S12_S16_S17_S18_S1B_S1C_jS1D_jS1E_S1E_jjS1G_bEUljE0_EEESZ_S10_S11_S18_S1C_S1E_T6_T7_T9_mT8_S1G_bDpT10_ENKUlT_T0_E_clISt17integral_constantIbLb0EES1T_IbLb1EEEEDaS1P_S1Q_EUlS1P_E_NS1_11comp_targetILNS1_3genE0ELNS1_11target_archE4294967295ELNS1_3gpuE0ELNS1_3repE0EEENS1_30default_config_static_selectorELNS0_4arch9wavefront6targetE0EEEvS12_.num_named_barrier, 0
	.set _ZN7rocprim17ROCPRIM_400000_NS6detail17trampoline_kernelINS0_13select_configILj256ELj13ELNS0_17block_load_methodE3ELS4_3ELS4_3ELNS0_20block_scan_algorithmE0ELj4294967295EEENS1_25partition_config_selectorILNS1_17partition_subalgoE4EjNS0_10empty_typeEbEEZZNS1_14partition_implILS8_4ELb0ES6_15HIP_vector_typeIjLj2EENS0_17counting_iteratorIjlEEPS9_SG_NS0_5tupleIJPjSI_NS0_16reverse_iteratorISI_EEEEENSH_IJSG_SG_SG_EEES9_SI_JZNS1_25segmented_radix_sort_implINS0_14default_configELb0EPKiPiPKlPlN2at6native12_GLOBAL__N_18offset_tEEE10hipError_tPvRmT1_PNSt15iterator_traitsIS12_E10value_typeET2_T3_PNS13_IS18_E10value_typeET4_jRbjT5_S1E_jjP12ihipStream_tbEUljE_ZNSN_ISO_Lb0ESQ_SR_ST_SU_SY_EESZ_S10_S11_S12_S16_S17_S18_S1B_S1C_jS1D_jS1E_S1E_jjS1G_bEUljE0_EEESZ_S10_S11_S18_S1C_S1E_T6_T7_T9_mT8_S1G_bDpT10_ENKUlT_T0_E_clISt17integral_constantIbLb0EES1T_IbLb1EEEEDaS1P_S1Q_EUlS1P_E_NS1_11comp_targetILNS1_3genE0ELNS1_11target_archE4294967295ELNS1_3gpuE0ELNS1_3repE0EEENS1_30default_config_static_selectorELNS0_4arch9wavefront6targetE0EEEvS12_.private_seg_size, 0
	.set _ZN7rocprim17ROCPRIM_400000_NS6detail17trampoline_kernelINS0_13select_configILj256ELj13ELNS0_17block_load_methodE3ELS4_3ELS4_3ELNS0_20block_scan_algorithmE0ELj4294967295EEENS1_25partition_config_selectorILNS1_17partition_subalgoE4EjNS0_10empty_typeEbEEZZNS1_14partition_implILS8_4ELb0ES6_15HIP_vector_typeIjLj2EENS0_17counting_iteratorIjlEEPS9_SG_NS0_5tupleIJPjSI_NS0_16reverse_iteratorISI_EEEEENSH_IJSG_SG_SG_EEES9_SI_JZNS1_25segmented_radix_sort_implINS0_14default_configELb0EPKiPiPKlPlN2at6native12_GLOBAL__N_18offset_tEEE10hipError_tPvRmT1_PNSt15iterator_traitsIS12_E10value_typeET2_T3_PNS13_IS18_E10value_typeET4_jRbjT5_S1E_jjP12ihipStream_tbEUljE_ZNSN_ISO_Lb0ESQ_SR_ST_SU_SY_EESZ_S10_S11_S12_S16_S17_S18_S1B_S1C_jS1D_jS1E_S1E_jjS1G_bEUljE0_EEESZ_S10_S11_S18_S1C_S1E_T6_T7_T9_mT8_S1G_bDpT10_ENKUlT_T0_E_clISt17integral_constantIbLb0EES1T_IbLb1EEEEDaS1P_S1Q_EUlS1P_E_NS1_11comp_targetILNS1_3genE0ELNS1_11target_archE4294967295ELNS1_3gpuE0ELNS1_3repE0EEENS1_30default_config_static_selectorELNS0_4arch9wavefront6targetE0EEEvS12_.uses_vcc, 1
	.set _ZN7rocprim17ROCPRIM_400000_NS6detail17trampoline_kernelINS0_13select_configILj256ELj13ELNS0_17block_load_methodE3ELS4_3ELS4_3ELNS0_20block_scan_algorithmE0ELj4294967295EEENS1_25partition_config_selectorILNS1_17partition_subalgoE4EjNS0_10empty_typeEbEEZZNS1_14partition_implILS8_4ELb0ES6_15HIP_vector_typeIjLj2EENS0_17counting_iteratorIjlEEPS9_SG_NS0_5tupleIJPjSI_NS0_16reverse_iteratorISI_EEEEENSH_IJSG_SG_SG_EEES9_SI_JZNS1_25segmented_radix_sort_implINS0_14default_configELb0EPKiPiPKlPlN2at6native12_GLOBAL__N_18offset_tEEE10hipError_tPvRmT1_PNSt15iterator_traitsIS12_E10value_typeET2_T3_PNS13_IS18_E10value_typeET4_jRbjT5_S1E_jjP12ihipStream_tbEUljE_ZNSN_ISO_Lb0ESQ_SR_ST_SU_SY_EESZ_S10_S11_S12_S16_S17_S18_S1B_S1C_jS1D_jS1E_S1E_jjS1G_bEUljE0_EEESZ_S10_S11_S18_S1C_S1E_T6_T7_T9_mT8_S1G_bDpT10_ENKUlT_T0_E_clISt17integral_constantIbLb0EES1T_IbLb1EEEEDaS1P_S1Q_EUlS1P_E_NS1_11comp_targetILNS1_3genE0ELNS1_11target_archE4294967295ELNS1_3gpuE0ELNS1_3repE0EEENS1_30default_config_static_selectorELNS0_4arch9wavefront6targetE0EEEvS12_.uses_flat_scratch, 0
	.set _ZN7rocprim17ROCPRIM_400000_NS6detail17trampoline_kernelINS0_13select_configILj256ELj13ELNS0_17block_load_methodE3ELS4_3ELS4_3ELNS0_20block_scan_algorithmE0ELj4294967295EEENS1_25partition_config_selectorILNS1_17partition_subalgoE4EjNS0_10empty_typeEbEEZZNS1_14partition_implILS8_4ELb0ES6_15HIP_vector_typeIjLj2EENS0_17counting_iteratorIjlEEPS9_SG_NS0_5tupleIJPjSI_NS0_16reverse_iteratorISI_EEEEENSH_IJSG_SG_SG_EEES9_SI_JZNS1_25segmented_radix_sort_implINS0_14default_configELb0EPKiPiPKlPlN2at6native12_GLOBAL__N_18offset_tEEE10hipError_tPvRmT1_PNSt15iterator_traitsIS12_E10value_typeET2_T3_PNS13_IS18_E10value_typeET4_jRbjT5_S1E_jjP12ihipStream_tbEUljE_ZNSN_ISO_Lb0ESQ_SR_ST_SU_SY_EESZ_S10_S11_S12_S16_S17_S18_S1B_S1C_jS1D_jS1E_S1E_jjS1G_bEUljE0_EEESZ_S10_S11_S18_S1C_S1E_T6_T7_T9_mT8_S1G_bDpT10_ENKUlT_T0_E_clISt17integral_constantIbLb0EES1T_IbLb1EEEEDaS1P_S1Q_EUlS1P_E_NS1_11comp_targetILNS1_3genE0ELNS1_11target_archE4294967295ELNS1_3gpuE0ELNS1_3repE0EEENS1_30default_config_static_selectorELNS0_4arch9wavefront6targetE0EEEvS12_.has_dyn_sized_stack, 0
	.set _ZN7rocprim17ROCPRIM_400000_NS6detail17trampoline_kernelINS0_13select_configILj256ELj13ELNS0_17block_load_methodE3ELS4_3ELS4_3ELNS0_20block_scan_algorithmE0ELj4294967295EEENS1_25partition_config_selectorILNS1_17partition_subalgoE4EjNS0_10empty_typeEbEEZZNS1_14partition_implILS8_4ELb0ES6_15HIP_vector_typeIjLj2EENS0_17counting_iteratorIjlEEPS9_SG_NS0_5tupleIJPjSI_NS0_16reverse_iteratorISI_EEEEENSH_IJSG_SG_SG_EEES9_SI_JZNS1_25segmented_radix_sort_implINS0_14default_configELb0EPKiPiPKlPlN2at6native12_GLOBAL__N_18offset_tEEE10hipError_tPvRmT1_PNSt15iterator_traitsIS12_E10value_typeET2_T3_PNS13_IS18_E10value_typeET4_jRbjT5_S1E_jjP12ihipStream_tbEUljE_ZNSN_ISO_Lb0ESQ_SR_ST_SU_SY_EESZ_S10_S11_S12_S16_S17_S18_S1B_S1C_jS1D_jS1E_S1E_jjS1G_bEUljE0_EEESZ_S10_S11_S18_S1C_S1E_T6_T7_T9_mT8_S1G_bDpT10_ENKUlT_T0_E_clISt17integral_constantIbLb0EES1T_IbLb1EEEEDaS1P_S1Q_EUlS1P_E_NS1_11comp_targetILNS1_3genE0ELNS1_11target_archE4294967295ELNS1_3gpuE0ELNS1_3repE0EEENS1_30default_config_static_selectorELNS0_4arch9wavefront6targetE0EEEvS12_.has_recursion, 0
	.set _ZN7rocprim17ROCPRIM_400000_NS6detail17trampoline_kernelINS0_13select_configILj256ELj13ELNS0_17block_load_methodE3ELS4_3ELS4_3ELNS0_20block_scan_algorithmE0ELj4294967295EEENS1_25partition_config_selectorILNS1_17partition_subalgoE4EjNS0_10empty_typeEbEEZZNS1_14partition_implILS8_4ELb0ES6_15HIP_vector_typeIjLj2EENS0_17counting_iteratorIjlEEPS9_SG_NS0_5tupleIJPjSI_NS0_16reverse_iteratorISI_EEEEENSH_IJSG_SG_SG_EEES9_SI_JZNS1_25segmented_radix_sort_implINS0_14default_configELb0EPKiPiPKlPlN2at6native12_GLOBAL__N_18offset_tEEE10hipError_tPvRmT1_PNSt15iterator_traitsIS12_E10value_typeET2_T3_PNS13_IS18_E10value_typeET4_jRbjT5_S1E_jjP12ihipStream_tbEUljE_ZNSN_ISO_Lb0ESQ_SR_ST_SU_SY_EESZ_S10_S11_S12_S16_S17_S18_S1B_S1C_jS1D_jS1E_S1E_jjS1G_bEUljE0_EEESZ_S10_S11_S18_S1C_S1E_T6_T7_T9_mT8_S1G_bDpT10_ENKUlT_T0_E_clISt17integral_constantIbLb0EES1T_IbLb1EEEEDaS1P_S1Q_EUlS1P_E_NS1_11comp_targetILNS1_3genE0ELNS1_11target_archE4294967295ELNS1_3gpuE0ELNS1_3repE0EEENS1_30default_config_static_selectorELNS0_4arch9wavefront6targetE0EEEvS12_.has_indirect_call, 0
	.section	.AMDGPU.csdata,"",@progbits
; Kernel info:
; codeLenInByte = 17828
; TotalNumSgprs: 57
; NumVgprs: 86
; ScratchSize: 0
; MemoryBound: 0
; FloatMode: 240
; IeeeMode: 1
; LDSByteSize: 13328 bytes/workgroup (compile time only)
; SGPRBlocks: 0
; VGPRBlocks: 5
; NumSGPRsForWavesPerEU: 57
; NumVGPRsForWavesPerEU: 86
; NamedBarCnt: 0
; Occupancy: 10
; WaveLimiterHint : 1
; COMPUTE_PGM_RSRC2:SCRATCH_EN: 0
; COMPUTE_PGM_RSRC2:USER_SGPR: 2
; COMPUTE_PGM_RSRC2:TRAP_HANDLER: 0
; COMPUTE_PGM_RSRC2:TGID_X_EN: 1
; COMPUTE_PGM_RSRC2:TGID_Y_EN: 0
; COMPUTE_PGM_RSRC2:TGID_Z_EN: 0
; COMPUTE_PGM_RSRC2:TIDIG_COMP_CNT: 0
	.section	.text._ZN7rocprim17ROCPRIM_400000_NS6detail17trampoline_kernelINS0_13select_configILj256ELj13ELNS0_17block_load_methodE3ELS4_3ELS4_3ELNS0_20block_scan_algorithmE0ELj4294967295EEENS1_25partition_config_selectorILNS1_17partition_subalgoE4EjNS0_10empty_typeEbEEZZNS1_14partition_implILS8_4ELb0ES6_15HIP_vector_typeIjLj2EENS0_17counting_iteratorIjlEEPS9_SG_NS0_5tupleIJPjSI_NS0_16reverse_iteratorISI_EEEEENSH_IJSG_SG_SG_EEES9_SI_JZNS1_25segmented_radix_sort_implINS0_14default_configELb0EPKiPiPKlPlN2at6native12_GLOBAL__N_18offset_tEEE10hipError_tPvRmT1_PNSt15iterator_traitsIS12_E10value_typeET2_T3_PNS13_IS18_E10value_typeET4_jRbjT5_S1E_jjP12ihipStream_tbEUljE_ZNSN_ISO_Lb0ESQ_SR_ST_SU_SY_EESZ_S10_S11_S12_S16_S17_S18_S1B_S1C_jS1D_jS1E_S1E_jjS1G_bEUljE0_EEESZ_S10_S11_S18_S1C_S1E_T6_T7_T9_mT8_S1G_bDpT10_ENKUlT_T0_E_clISt17integral_constantIbLb0EES1T_IbLb1EEEEDaS1P_S1Q_EUlS1P_E_NS1_11comp_targetILNS1_3genE5ELNS1_11target_archE942ELNS1_3gpuE9ELNS1_3repE0EEENS1_30default_config_static_selectorELNS0_4arch9wavefront6targetE0EEEvS12_,"axG",@progbits,_ZN7rocprim17ROCPRIM_400000_NS6detail17trampoline_kernelINS0_13select_configILj256ELj13ELNS0_17block_load_methodE3ELS4_3ELS4_3ELNS0_20block_scan_algorithmE0ELj4294967295EEENS1_25partition_config_selectorILNS1_17partition_subalgoE4EjNS0_10empty_typeEbEEZZNS1_14partition_implILS8_4ELb0ES6_15HIP_vector_typeIjLj2EENS0_17counting_iteratorIjlEEPS9_SG_NS0_5tupleIJPjSI_NS0_16reverse_iteratorISI_EEEEENSH_IJSG_SG_SG_EEES9_SI_JZNS1_25segmented_radix_sort_implINS0_14default_configELb0EPKiPiPKlPlN2at6native12_GLOBAL__N_18offset_tEEE10hipError_tPvRmT1_PNSt15iterator_traitsIS12_E10value_typeET2_T3_PNS13_IS18_E10value_typeET4_jRbjT5_S1E_jjP12ihipStream_tbEUljE_ZNSN_ISO_Lb0ESQ_SR_ST_SU_SY_EESZ_S10_S11_S12_S16_S17_S18_S1B_S1C_jS1D_jS1E_S1E_jjS1G_bEUljE0_EEESZ_S10_S11_S18_S1C_S1E_T6_T7_T9_mT8_S1G_bDpT10_ENKUlT_T0_E_clISt17integral_constantIbLb0EES1T_IbLb1EEEEDaS1P_S1Q_EUlS1P_E_NS1_11comp_targetILNS1_3genE5ELNS1_11target_archE942ELNS1_3gpuE9ELNS1_3repE0EEENS1_30default_config_static_selectorELNS0_4arch9wavefront6targetE0EEEvS12_,comdat
	.globl	_ZN7rocprim17ROCPRIM_400000_NS6detail17trampoline_kernelINS0_13select_configILj256ELj13ELNS0_17block_load_methodE3ELS4_3ELS4_3ELNS0_20block_scan_algorithmE0ELj4294967295EEENS1_25partition_config_selectorILNS1_17partition_subalgoE4EjNS0_10empty_typeEbEEZZNS1_14partition_implILS8_4ELb0ES6_15HIP_vector_typeIjLj2EENS0_17counting_iteratorIjlEEPS9_SG_NS0_5tupleIJPjSI_NS0_16reverse_iteratorISI_EEEEENSH_IJSG_SG_SG_EEES9_SI_JZNS1_25segmented_radix_sort_implINS0_14default_configELb0EPKiPiPKlPlN2at6native12_GLOBAL__N_18offset_tEEE10hipError_tPvRmT1_PNSt15iterator_traitsIS12_E10value_typeET2_T3_PNS13_IS18_E10value_typeET4_jRbjT5_S1E_jjP12ihipStream_tbEUljE_ZNSN_ISO_Lb0ESQ_SR_ST_SU_SY_EESZ_S10_S11_S12_S16_S17_S18_S1B_S1C_jS1D_jS1E_S1E_jjS1G_bEUljE0_EEESZ_S10_S11_S18_S1C_S1E_T6_T7_T9_mT8_S1G_bDpT10_ENKUlT_T0_E_clISt17integral_constantIbLb0EES1T_IbLb1EEEEDaS1P_S1Q_EUlS1P_E_NS1_11comp_targetILNS1_3genE5ELNS1_11target_archE942ELNS1_3gpuE9ELNS1_3repE0EEENS1_30default_config_static_selectorELNS0_4arch9wavefront6targetE0EEEvS12_ ; -- Begin function _ZN7rocprim17ROCPRIM_400000_NS6detail17trampoline_kernelINS0_13select_configILj256ELj13ELNS0_17block_load_methodE3ELS4_3ELS4_3ELNS0_20block_scan_algorithmE0ELj4294967295EEENS1_25partition_config_selectorILNS1_17partition_subalgoE4EjNS0_10empty_typeEbEEZZNS1_14partition_implILS8_4ELb0ES6_15HIP_vector_typeIjLj2EENS0_17counting_iteratorIjlEEPS9_SG_NS0_5tupleIJPjSI_NS0_16reverse_iteratorISI_EEEEENSH_IJSG_SG_SG_EEES9_SI_JZNS1_25segmented_radix_sort_implINS0_14default_configELb0EPKiPiPKlPlN2at6native12_GLOBAL__N_18offset_tEEE10hipError_tPvRmT1_PNSt15iterator_traitsIS12_E10value_typeET2_T3_PNS13_IS18_E10value_typeET4_jRbjT5_S1E_jjP12ihipStream_tbEUljE_ZNSN_ISO_Lb0ESQ_SR_ST_SU_SY_EESZ_S10_S11_S12_S16_S17_S18_S1B_S1C_jS1D_jS1E_S1E_jjS1G_bEUljE0_EEESZ_S10_S11_S18_S1C_S1E_T6_T7_T9_mT8_S1G_bDpT10_ENKUlT_T0_E_clISt17integral_constantIbLb0EES1T_IbLb1EEEEDaS1P_S1Q_EUlS1P_E_NS1_11comp_targetILNS1_3genE5ELNS1_11target_archE942ELNS1_3gpuE9ELNS1_3repE0EEENS1_30default_config_static_selectorELNS0_4arch9wavefront6targetE0EEEvS12_
	.p2align	8
	.type	_ZN7rocprim17ROCPRIM_400000_NS6detail17trampoline_kernelINS0_13select_configILj256ELj13ELNS0_17block_load_methodE3ELS4_3ELS4_3ELNS0_20block_scan_algorithmE0ELj4294967295EEENS1_25partition_config_selectorILNS1_17partition_subalgoE4EjNS0_10empty_typeEbEEZZNS1_14partition_implILS8_4ELb0ES6_15HIP_vector_typeIjLj2EENS0_17counting_iteratorIjlEEPS9_SG_NS0_5tupleIJPjSI_NS0_16reverse_iteratorISI_EEEEENSH_IJSG_SG_SG_EEES9_SI_JZNS1_25segmented_radix_sort_implINS0_14default_configELb0EPKiPiPKlPlN2at6native12_GLOBAL__N_18offset_tEEE10hipError_tPvRmT1_PNSt15iterator_traitsIS12_E10value_typeET2_T3_PNS13_IS18_E10value_typeET4_jRbjT5_S1E_jjP12ihipStream_tbEUljE_ZNSN_ISO_Lb0ESQ_SR_ST_SU_SY_EESZ_S10_S11_S12_S16_S17_S18_S1B_S1C_jS1D_jS1E_S1E_jjS1G_bEUljE0_EEESZ_S10_S11_S18_S1C_S1E_T6_T7_T9_mT8_S1G_bDpT10_ENKUlT_T0_E_clISt17integral_constantIbLb0EES1T_IbLb1EEEEDaS1P_S1Q_EUlS1P_E_NS1_11comp_targetILNS1_3genE5ELNS1_11target_archE942ELNS1_3gpuE9ELNS1_3repE0EEENS1_30default_config_static_selectorELNS0_4arch9wavefront6targetE0EEEvS12_,@function
_ZN7rocprim17ROCPRIM_400000_NS6detail17trampoline_kernelINS0_13select_configILj256ELj13ELNS0_17block_load_methodE3ELS4_3ELS4_3ELNS0_20block_scan_algorithmE0ELj4294967295EEENS1_25partition_config_selectorILNS1_17partition_subalgoE4EjNS0_10empty_typeEbEEZZNS1_14partition_implILS8_4ELb0ES6_15HIP_vector_typeIjLj2EENS0_17counting_iteratorIjlEEPS9_SG_NS0_5tupleIJPjSI_NS0_16reverse_iteratorISI_EEEEENSH_IJSG_SG_SG_EEES9_SI_JZNS1_25segmented_radix_sort_implINS0_14default_configELb0EPKiPiPKlPlN2at6native12_GLOBAL__N_18offset_tEEE10hipError_tPvRmT1_PNSt15iterator_traitsIS12_E10value_typeET2_T3_PNS13_IS18_E10value_typeET4_jRbjT5_S1E_jjP12ihipStream_tbEUljE_ZNSN_ISO_Lb0ESQ_SR_ST_SU_SY_EESZ_S10_S11_S12_S16_S17_S18_S1B_S1C_jS1D_jS1E_S1E_jjS1G_bEUljE0_EEESZ_S10_S11_S18_S1C_S1E_T6_T7_T9_mT8_S1G_bDpT10_ENKUlT_T0_E_clISt17integral_constantIbLb0EES1T_IbLb1EEEEDaS1P_S1Q_EUlS1P_E_NS1_11comp_targetILNS1_3genE5ELNS1_11target_archE942ELNS1_3gpuE9ELNS1_3repE0EEENS1_30default_config_static_selectorELNS0_4arch9wavefront6targetE0EEEvS12_: ; @_ZN7rocprim17ROCPRIM_400000_NS6detail17trampoline_kernelINS0_13select_configILj256ELj13ELNS0_17block_load_methodE3ELS4_3ELS4_3ELNS0_20block_scan_algorithmE0ELj4294967295EEENS1_25partition_config_selectorILNS1_17partition_subalgoE4EjNS0_10empty_typeEbEEZZNS1_14partition_implILS8_4ELb0ES6_15HIP_vector_typeIjLj2EENS0_17counting_iteratorIjlEEPS9_SG_NS0_5tupleIJPjSI_NS0_16reverse_iteratorISI_EEEEENSH_IJSG_SG_SG_EEES9_SI_JZNS1_25segmented_radix_sort_implINS0_14default_configELb0EPKiPiPKlPlN2at6native12_GLOBAL__N_18offset_tEEE10hipError_tPvRmT1_PNSt15iterator_traitsIS12_E10value_typeET2_T3_PNS13_IS18_E10value_typeET4_jRbjT5_S1E_jjP12ihipStream_tbEUljE_ZNSN_ISO_Lb0ESQ_SR_ST_SU_SY_EESZ_S10_S11_S12_S16_S17_S18_S1B_S1C_jS1D_jS1E_S1E_jjS1G_bEUljE0_EEESZ_S10_S11_S18_S1C_S1E_T6_T7_T9_mT8_S1G_bDpT10_ENKUlT_T0_E_clISt17integral_constantIbLb0EES1T_IbLb1EEEEDaS1P_S1Q_EUlS1P_E_NS1_11comp_targetILNS1_3genE5ELNS1_11target_archE942ELNS1_3gpuE9ELNS1_3repE0EEENS1_30default_config_static_selectorELNS0_4arch9wavefront6targetE0EEEvS12_
; %bb.0:
	.section	.rodata,"a",@progbits
	.p2align	6, 0x0
	.amdhsa_kernel _ZN7rocprim17ROCPRIM_400000_NS6detail17trampoline_kernelINS0_13select_configILj256ELj13ELNS0_17block_load_methodE3ELS4_3ELS4_3ELNS0_20block_scan_algorithmE0ELj4294967295EEENS1_25partition_config_selectorILNS1_17partition_subalgoE4EjNS0_10empty_typeEbEEZZNS1_14partition_implILS8_4ELb0ES6_15HIP_vector_typeIjLj2EENS0_17counting_iteratorIjlEEPS9_SG_NS0_5tupleIJPjSI_NS0_16reverse_iteratorISI_EEEEENSH_IJSG_SG_SG_EEES9_SI_JZNS1_25segmented_radix_sort_implINS0_14default_configELb0EPKiPiPKlPlN2at6native12_GLOBAL__N_18offset_tEEE10hipError_tPvRmT1_PNSt15iterator_traitsIS12_E10value_typeET2_T3_PNS13_IS18_E10value_typeET4_jRbjT5_S1E_jjP12ihipStream_tbEUljE_ZNSN_ISO_Lb0ESQ_SR_ST_SU_SY_EESZ_S10_S11_S12_S16_S17_S18_S1B_S1C_jS1D_jS1E_S1E_jjS1G_bEUljE0_EEESZ_S10_S11_S18_S1C_S1E_T6_T7_T9_mT8_S1G_bDpT10_ENKUlT_T0_E_clISt17integral_constantIbLb0EES1T_IbLb1EEEEDaS1P_S1Q_EUlS1P_E_NS1_11comp_targetILNS1_3genE5ELNS1_11target_archE942ELNS1_3gpuE9ELNS1_3repE0EEENS1_30default_config_static_selectorELNS0_4arch9wavefront6targetE0EEEvS12_
		.amdhsa_group_segment_fixed_size 0
		.amdhsa_private_segment_fixed_size 0
		.amdhsa_kernarg_size 184
		.amdhsa_user_sgpr_count 2
		.amdhsa_user_sgpr_dispatch_ptr 0
		.amdhsa_user_sgpr_queue_ptr 0
		.amdhsa_user_sgpr_kernarg_segment_ptr 1
		.amdhsa_user_sgpr_dispatch_id 0
		.amdhsa_user_sgpr_kernarg_preload_length 0
		.amdhsa_user_sgpr_kernarg_preload_offset 0
		.amdhsa_user_sgpr_private_segment_size 0
		.amdhsa_wavefront_size32 1
		.amdhsa_uses_dynamic_stack 0
		.amdhsa_enable_private_segment 0
		.amdhsa_system_sgpr_workgroup_id_x 1
		.amdhsa_system_sgpr_workgroup_id_y 0
		.amdhsa_system_sgpr_workgroup_id_z 0
		.amdhsa_system_sgpr_workgroup_info 0
		.amdhsa_system_vgpr_workitem_id 0
		.amdhsa_next_free_vgpr 1
		.amdhsa_next_free_sgpr 1
		.amdhsa_named_barrier_count 0
		.amdhsa_reserve_vcc 0
		.amdhsa_float_round_mode_32 0
		.amdhsa_float_round_mode_16_64 0
		.amdhsa_float_denorm_mode_32 3
		.amdhsa_float_denorm_mode_16_64 3
		.amdhsa_fp16_overflow 0
		.amdhsa_memory_ordered 1
		.amdhsa_forward_progress 1
		.amdhsa_inst_pref_size 0
		.amdhsa_round_robin_scheduling 0
		.amdhsa_exception_fp_ieee_invalid_op 0
		.amdhsa_exception_fp_denorm_src 0
		.amdhsa_exception_fp_ieee_div_zero 0
		.amdhsa_exception_fp_ieee_overflow 0
		.amdhsa_exception_fp_ieee_underflow 0
		.amdhsa_exception_fp_ieee_inexact 0
		.amdhsa_exception_int_div_zero 0
	.end_amdhsa_kernel
	.section	.text._ZN7rocprim17ROCPRIM_400000_NS6detail17trampoline_kernelINS0_13select_configILj256ELj13ELNS0_17block_load_methodE3ELS4_3ELS4_3ELNS0_20block_scan_algorithmE0ELj4294967295EEENS1_25partition_config_selectorILNS1_17partition_subalgoE4EjNS0_10empty_typeEbEEZZNS1_14partition_implILS8_4ELb0ES6_15HIP_vector_typeIjLj2EENS0_17counting_iteratorIjlEEPS9_SG_NS0_5tupleIJPjSI_NS0_16reverse_iteratorISI_EEEEENSH_IJSG_SG_SG_EEES9_SI_JZNS1_25segmented_radix_sort_implINS0_14default_configELb0EPKiPiPKlPlN2at6native12_GLOBAL__N_18offset_tEEE10hipError_tPvRmT1_PNSt15iterator_traitsIS12_E10value_typeET2_T3_PNS13_IS18_E10value_typeET4_jRbjT5_S1E_jjP12ihipStream_tbEUljE_ZNSN_ISO_Lb0ESQ_SR_ST_SU_SY_EESZ_S10_S11_S12_S16_S17_S18_S1B_S1C_jS1D_jS1E_S1E_jjS1G_bEUljE0_EEESZ_S10_S11_S18_S1C_S1E_T6_T7_T9_mT8_S1G_bDpT10_ENKUlT_T0_E_clISt17integral_constantIbLb0EES1T_IbLb1EEEEDaS1P_S1Q_EUlS1P_E_NS1_11comp_targetILNS1_3genE5ELNS1_11target_archE942ELNS1_3gpuE9ELNS1_3repE0EEENS1_30default_config_static_selectorELNS0_4arch9wavefront6targetE0EEEvS12_,"axG",@progbits,_ZN7rocprim17ROCPRIM_400000_NS6detail17trampoline_kernelINS0_13select_configILj256ELj13ELNS0_17block_load_methodE3ELS4_3ELS4_3ELNS0_20block_scan_algorithmE0ELj4294967295EEENS1_25partition_config_selectorILNS1_17partition_subalgoE4EjNS0_10empty_typeEbEEZZNS1_14partition_implILS8_4ELb0ES6_15HIP_vector_typeIjLj2EENS0_17counting_iteratorIjlEEPS9_SG_NS0_5tupleIJPjSI_NS0_16reverse_iteratorISI_EEEEENSH_IJSG_SG_SG_EEES9_SI_JZNS1_25segmented_radix_sort_implINS0_14default_configELb0EPKiPiPKlPlN2at6native12_GLOBAL__N_18offset_tEEE10hipError_tPvRmT1_PNSt15iterator_traitsIS12_E10value_typeET2_T3_PNS13_IS18_E10value_typeET4_jRbjT5_S1E_jjP12ihipStream_tbEUljE_ZNSN_ISO_Lb0ESQ_SR_ST_SU_SY_EESZ_S10_S11_S12_S16_S17_S18_S1B_S1C_jS1D_jS1E_S1E_jjS1G_bEUljE0_EEESZ_S10_S11_S18_S1C_S1E_T6_T7_T9_mT8_S1G_bDpT10_ENKUlT_T0_E_clISt17integral_constantIbLb0EES1T_IbLb1EEEEDaS1P_S1Q_EUlS1P_E_NS1_11comp_targetILNS1_3genE5ELNS1_11target_archE942ELNS1_3gpuE9ELNS1_3repE0EEENS1_30default_config_static_selectorELNS0_4arch9wavefront6targetE0EEEvS12_,comdat
.Lfunc_end557:
	.size	_ZN7rocprim17ROCPRIM_400000_NS6detail17trampoline_kernelINS0_13select_configILj256ELj13ELNS0_17block_load_methodE3ELS4_3ELS4_3ELNS0_20block_scan_algorithmE0ELj4294967295EEENS1_25partition_config_selectorILNS1_17partition_subalgoE4EjNS0_10empty_typeEbEEZZNS1_14partition_implILS8_4ELb0ES6_15HIP_vector_typeIjLj2EENS0_17counting_iteratorIjlEEPS9_SG_NS0_5tupleIJPjSI_NS0_16reverse_iteratorISI_EEEEENSH_IJSG_SG_SG_EEES9_SI_JZNS1_25segmented_radix_sort_implINS0_14default_configELb0EPKiPiPKlPlN2at6native12_GLOBAL__N_18offset_tEEE10hipError_tPvRmT1_PNSt15iterator_traitsIS12_E10value_typeET2_T3_PNS13_IS18_E10value_typeET4_jRbjT5_S1E_jjP12ihipStream_tbEUljE_ZNSN_ISO_Lb0ESQ_SR_ST_SU_SY_EESZ_S10_S11_S12_S16_S17_S18_S1B_S1C_jS1D_jS1E_S1E_jjS1G_bEUljE0_EEESZ_S10_S11_S18_S1C_S1E_T6_T7_T9_mT8_S1G_bDpT10_ENKUlT_T0_E_clISt17integral_constantIbLb0EES1T_IbLb1EEEEDaS1P_S1Q_EUlS1P_E_NS1_11comp_targetILNS1_3genE5ELNS1_11target_archE942ELNS1_3gpuE9ELNS1_3repE0EEENS1_30default_config_static_selectorELNS0_4arch9wavefront6targetE0EEEvS12_, .Lfunc_end557-_ZN7rocprim17ROCPRIM_400000_NS6detail17trampoline_kernelINS0_13select_configILj256ELj13ELNS0_17block_load_methodE3ELS4_3ELS4_3ELNS0_20block_scan_algorithmE0ELj4294967295EEENS1_25partition_config_selectorILNS1_17partition_subalgoE4EjNS0_10empty_typeEbEEZZNS1_14partition_implILS8_4ELb0ES6_15HIP_vector_typeIjLj2EENS0_17counting_iteratorIjlEEPS9_SG_NS0_5tupleIJPjSI_NS0_16reverse_iteratorISI_EEEEENSH_IJSG_SG_SG_EEES9_SI_JZNS1_25segmented_radix_sort_implINS0_14default_configELb0EPKiPiPKlPlN2at6native12_GLOBAL__N_18offset_tEEE10hipError_tPvRmT1_PNSt15iterator_traitsIS12_E10value_typeET2_T3_PNS13_IS18_E10value_typeET4_jRbjT5_S1E_jjP12ihipStream_tbEUljE_ZNSN_ISO_Lb0ESQ_SR_ST_SU_SY_EESZ_S10_S11_S12_S16_S17_S18_S1B_S1C_jS1D_jS1E_S1E_jjS1G_bEUljE0_EEESZ_S10_S11_S18_S1C_S1E_T6_T7_T9_mT8_S1G_bDpT10_ENKUlT_T0_E_clISt17integral_constantIbLb0EES1T_IbLb1EEEEDaS1P_S1Q_EUlS1P_E_NS1_11comp_targetILNS1_3genE5ELNS1_11target_archE942ELNS1_3gpuE9ELNS1_3repE0EEENS1_30default_config_static_selectorELNS0_4arch9wavefront6targetE0EEEvS12_
                                        ; -- End function
	.set _ZN7rocprim17ROCPRIM_400000_NS6detail17trampoline_kernelINS0_13select_configILj256ELj13ELNS0_17block_load_methodE3ELS4_3ELS4_3ELNS0_20block_scan_algorithmE0ELj4294967295EEENS1_25partition_config_selectorILNS1_17partition_subalgoE4EjNS0_10empty_typeEbEEZZNS1_14partition_implILS8_4ELb0ES6_15HIP_vector_typeIjLj2EENS0_17counting_iteratorIjlEEPS9_SG_NS0_5tupleIJPjSI_NS0_16reverse_iteratorISI_EEEEENSH_IJSG_SG_SG_EEES9_SI_JZNS1_25segmented_radix_sort_implINS0_14default_configELb0EPKiPiPKlPlN2at6native12_GLOBAL__N_18offset_tEEE10hipError_tPvRmT1_PNSt15iterator_traitsIS12_E10value_typeET2_T3_PNS13_IS18_E10value_typeET4_jRbjT5_S1E_jjP12ihipStream_tbEUljE_ZNSN_ISO_Lb0ESQ_SR_ST_SU_SY_EESZ_S10_S11_S12_S16_S17_S18_S1B_S1C_jS1D_jS1E_S1E_jjS1G_bEUljE0_EEESZ_S10_S11_S18_S1C_S1E_T6_T7_T9_mT8_S1G_bDpT10_ENKUlT_T0_E_clISt17integral_constantIbLb0EES1T_IbLb1EEEEDaS1P_S1Q_EUlS1P_E_NS1_11comp_targetILNS1_3genE5ELNS1_11target_archE942ELNS1_3gpuE9ELNS1_3repE0EEENS1_30default_config_static_selectorELNS0_4arch9wavefront6targetE0EEEvS12_.num_vgpr, 0
	.set _ZN7rocprim17ROCPRIM_400000_NS6detail17trampoline_kernelINS0_13select_configILj256ELj13ELNS0_17block_load_methodE3ELS4_3ELS4_3ELNS0_20block_scan_algorithmE0ELj4294967295EEENS1_25partition_config_selectorILNS1_17partition_subalgoE4EjNS0_10empty_typeEbEEZZNS1_14partition_implILS8_4ELb0ES6_15HIP_vector_typeIjLj2EENS0_17counting_iteratorIjlEEPS9_SG_NS0_5tupleIJPjSI_NS0_16reverse_iteratorISI_EEEEENSH_IJSG_SG_SG_EEES9_SI_JZNS1_25segmented_radix_sort_implINS0_14default_configELb0EPKiPiPKlPlN2at6native12_GLOBAL__N_18offset_tEEE10hipError_tPvRmT1_PNSt15iterator_traitsIS12_E10value_typeET2_T3_PNS13_IS18_E10value_typeET4_jRbjT5_S1E_jjP12ihipStream_tbEUljE_ZNSN_ISO_Lb0ESQ_SR_ST_SU_SY_EESZ_S10_S11_S12_S16_S17_S18_S1B_S1C_jS1D_jS1E_S1E_jjS1G_bEUljE0_EEESZ_S10_S11_S18_S1C_S1E_T6_T7_T9_mT8_S1G_bDpT10_ENKUlT_T0_E_clISt17integral_constantIbLb0EES1T_IbLb1EEEEDaS1P_S1Q_EUlS1P_E_NS1_11comp_targetILNS1_3genE5ELNS1_11target_archE942ELNS1_3gpuE9ELNS1_3repE0EEENS1_30default_config_static_selectorELNS0_4arch9wavefront6targetE0EEEvS12_.num_agpr, 0
	.set _ZN7rocprim17ROCPRIM_400000_NS6detail17trampoline_kernelINS0_13select_configILj256ELj13ELNS0_17block_load_methodE3ELS4_3ELS4_3ELNS0_20block_scan_algorithmE0ELj4294967295EEENS1_25partition_config_selectorILNS1_17partition_subalgoE4EjNS0_10empty_typeEbEEZZNS1_14partition_implILS8_4ELb0ES6_15HIP_vector_typeIjLj2EENS0_17counting_iteratorIjlEEPS9_SG_NS0_5tupleIJPjSI_NS0_16reverse_iteratorISI_EEEEENSH_IJSG_SG_SG_EEES9_SI_JZNS1_25segmented_radix_sort_implINS0_14default_configELb0EPKiPiPKlPlN2at6native12_GLOBAL__N_18offset_tEEE10hipError_tPvRmT1_PNSt15iterator_traitsIS12_E10value_typeET2_T3_PNS13_IS18_E10value_typeET4_jRbjT5_S1E_jjP12ihipStream_tbEUljE_ZNSN_ISO_Lb0ESQ_SR_ST_SU_SY_EESZ_S10_S11_S12_S16_S17_S18_S1B_S1C_jS1D_jS1E_S1E_jjS1G_bEUljE0_EEESZ_S10_S11_S18_S1C_S1E_T6_T7_T9_mT8_S1G_bDpT10_ENKUlT_T0_E_clISt17integral_constantIbLb0EES1T_IbLb1EEEEDaS1P_S1Q_EUlS1P_E_NS1_11comp_targetILNS1_3genE5ELNS1_11target_archE942ELNS1_3gpuE9ELNS1_3repE0EEENS1_30default_config_static_selectorELNS0_4arch9wavefront6targetE0EEEvS12_.numbered_sgpr, 0
	.set _ZN7rocprim17ROCPRIM_400000_NS6detail17trampoline_kernelINS0_13select_configILj256ELj13ELNS0_17block_load_methodE3ELS4_3ELS4_3ELNS0_20block_scan_algorithmE0ELj4294967295EEENS1_25partition_config_selectorILNS1_17partition_subalgoE4EjNS0_10empty_typeEbEEZZNS1_14partition_implILS8_4ELb0ES6_15HIP_vector_typeIjLj2EENS0_17counting_iteratorIjlEEPS9_SG_NS0_5tupleIJPjSI_NS0_16reverse_iteratorISI_EEEEENSH_IJSG_SG_SG_EEES9_SI_JZNS1_25segmented_radix_sort_implINS0_14default_configELb0EPKiPiPKlPlN2at6native12_GLOBAL__N_18offset_tEEE10hipError_tPvRmT1_PNSt15iterator_traitsIS12_E10value_typeET2_T3_PNS13_IS18_E10value_typeET4_jRbjT5_S1E_jjP12ihipStream_tbEUljE_ZNSN_ISO_Lb0ESQ_SR_ST_SU_SY_EESZ_S10_S11_S12_S16_S17_S18_S1B_S1C_jS1D_jS1E_S1E_jjS1G_bEUljE0_EEESZ_S10_S11_S18_S1C_S1E_T6_T7_T9_mT8_S1G_bDpT10_ENKUlT_T0_E_clISt17integral_constantIbLb0EES1T_IbLb1EEEEDaS1P_S1Q_EUlS1P_E_NS1_11comp_targetILNS1_3genE5ELNS1_11target_archE942ELNS1_3gpuE9ELNS1_3repE0EEENS1_30default_config_static_selectorELNS0_4arch9wavefront6targetE0EEEvS12_.num_named_barrier, 0
	.set _ZN7rocprim17ROCPRIM_400000_NS6detail17trampoline_kernelINS0_13select_configILj256ELj13ELNS0_17block_load_methodE3ELS4_3ELS4_3ELNS0_20block_scan_algorithmE0ELj4294967295EEENS1_25partition_config_selectorILNS1_17partition_subalgoE4EjNS0_10empty_typeEbEEZZNS1_14partition_implILS8_4ELb0ES6_15HIP_vector_typeIjLj2EENS0_17counting_iteratorIjlEEPS9_SG_NS0_5tupleIJPjSI_NS0_16reverse_iteratorISI_EEEEENSH_IJSG_SG_SG_EEES9_SI_JZNS1_25segmented_radix_sort_implINS0_14default_configELb0EPKiPiPKlPlN2at6native12_GLOBAL__N_18offset_tEEE10hipError_tPvRmT1_PNSt15iterator_traitsIS12_E10value_typeET2_T3_PNS13_IS18_E10value_typeET4_jRbjT5_S1E_jjP12ihipStream_tbEUljE_ZNSN_ISO_Lb0ESQ_SR_ST_SU_SY_EESZ_S10_S11_S12_S16_S17_S18_S1B_S1C_jS1D_jS1E_S1E_jjS1G_bEUljE0_EEESZ_S10_S11_S18_S1C_S1E_T6_T7_T9_mT8_S1G_bDpT10_ENKUlT_T0_E_clISt17integral_constantIbLb0EES1T_IbLb1EEEEDaS1P_S1Q_EUlS1P_E_NS1_11comp_targetILNS1_3genE5ELNS1_11target_archE942ELNS1_3gpuE9ELNS1_3repE0EEENS1_30default_config_static_selectorELNS0_4arch9wavefront6targetE0EEEvS12_.private_seg_size, 0
	.set _ZN7rocprim17ROCPRIM_400000_NS6detail17trampoline_kernelINS0_13select_configILj256ELj13ELNS0_17block_load_methodE3ELS4_3ELS4_3ELNS0_20block_scan_algorithmE0ELj4294967295EEENS1_25partition_config_selectorILNS1_17partition_subalgoE4EjNS0_10empty_typeEbEEZZNS1_14partition_implILS8_4ELb0ES6_15HIP_vector_typeIjLj2EENS0_17counting_iteratorIjlEEPS9_SG_NS0_5tupleIJPjSI_NS0_16reverse_iteratorISI_EEEEENSH_IJSG_SG_SG_EEES9_SI_JZNS1_25segmented_radix_sort_implINS0_14default_configELb0EPKiPiPKlPlN2at6native12_GLOBAL__N_18offset_tEEE10hipError_tPvRmT1_PNSt15iterator_traitsIS12_E10value_typeET2_T3_PNS13_IS18_E10value_typeET4_jRbjT5_S1E_jjP12ihipStream_tbEUljE_ZNSN_ISO_Lb0ESQ_SR_ST_SU_SY_EESZ_S10_S11_S12_S16_S17_S18_S1B_S1C_jS1D_jS1E_S1E_jjS1G_bEUljE0_EEESZ_S10_S11_S18_S1C_S1E_T6_T7_T9_mT8_S1G_bDpT10_ENKUlT_T0_E_clISt17integral_constantIbLb0EES1T_IbLb1EEEEDaS1P_S1Q_EUlS1P_E_NS1_11comp_targetILNS1_3genE5ELNS1_11target_archE942ELNS1_3gpuE9ELNS1_3repE0EEENS1_30default_config_static_selectorELNS0_4arch9wavefront6targetE0EEEvS12_.uses_vcc, 0
	.set _ZN7rocprim17ROCPRIM_400000_NS6detail17trampoline_kernelINS0_13select_configILj256ELj13ELNS0_17block_load_methodE3ELS4_3ELS4_3ELNS0_20block_scan_algorithmE0ELj4294967295EEENS1_25partition_config_selectorILNS1_17partition_subalgoE4EjNS0_10empty_typeEbEEZZNS1_14partition_implILS8_4ELb0ES6_15HIP_vector_typeIjLj2EENS0_17counting_iteratorIjlEEPS9_SG_NS0_5tupleIJPjSI_NS0_16reverse_iteratorISI_EEEEENSH_IJSG_SG_SG_EEES9_SI_JZNS1_25segmented_radix_sort_implINS0_14default_configELb0EPKiPiPKlPlN2at6native12_GLOBAL__N_18offset_tEEE10hipError_tPvRmT1_PNSt15iterator_traitsIS12_E10value_typeET2_T3_PNS13_IS18_E10value_typeET4_jRbjT5_S1E_jjP12ihipStream_tbEUljE_ZNSN_ISO_Lb0ESQ_SR_ST_SU_SY_EESZ_S10_S11_S12_S16_S17_S18_S1B_S1C_jS1D_jS1E_S1E_jjS1G_bEUljE0_EEESZ_S10_S11_S18_S1C_S1E_T6_T7_T9_mT8_S1G_bDpT10_ENKUlT_T0_E_clISt17integral_constantIbLb0EES1T_IbLb1EEEEDaS1P_S1Q_EUlS1P_E_NS1_11comp_targetILNS1_3genE5ELNS1_11target_archE942ELNS1_3gpuE9ELNS1_3repE0EEENS1_30default_config_static_selectorELNS0_4arch9wavefront6targetE0EEEvS12_.uses_flat_scratch, 0
	.set _ZN7rocprim17ROCPRIM_400000_NS6detail17trampoline_kernelINS0_13select_configILj256ELj13ELNS0_17block_load_methodE3ELS4_3ELS4_3ELNS0_20block_scan_algorithmE0ELj4294967295EEENS1_25partition_config_selectorILNS1_17partition_subalgoE4EjNS0_10empty_typeEbEEZZNS1_14partition_implILS8_4ELb0ES6_15HIP_vector_typeIjLj2EENS0_17counting_iteratorIjlEEPS9_SG_NS0_5tupleIJPjSI_NS0_16reverse_iteratorISI_EEEEENSH_IJSG_SG_SG_EEES9_SI_JZNS1_25segmented_radix_sort_implINS0_14default_configELb0EPKiPiPKlPlN2at6native12_GLOBAL__N_18offset_tEEE10hipError_tPvRmT1_PNSt15iterator_traitsIS12_E10value_typeET2_T3_PNS13_IS18_E10value_typeET4_jRbjT5_S1E_jjP12ihipStream_tbEUljE_ZNSN_ISO_Lb0ESQ_SR_ST_SU_SY_EESZ_S10_S11_S12_S16_S17_S18_S1B_S1C_jS1D_jS1E_S1E_jjS1G_bEUljE0_EEESZ_S10_S11_S18_S1C_S1E_T6_T7_T9_mT8_S1G_bDpT10_ENKUlT_T0_E_clISt17integral_constantIbLb0EES1T_IbLb1EEEEDaS1P_S1Q_EUlS1P_E_NS1_11comp_targetILNS1_3genE5ELNS1_11target_archE942ELNS1_3gpuE9ELNS1_3repE0EEENS1_30default_config_static_selectorELNS0_4arch9wavefront6targetE0EEEvS12_.has_dyn_sized_stack, 0
	.set _ZN7rocprim17ROCPRIM_400000_NS6detail17trampoline_kernelINS0_13select_configILj256ELj13ELNS0_17block_load_methodE3ELS4_3ELS4_3ELNS0_20block_scan_algorithmE0ELj4294967295EEENS1_25partition_config_selectorILNS1_17partition_subalgoE4EjNS0_10empty_typeEbEEZZNS1_14partition_implILS8_4ELb0ES6_15HIP_vector_typeIjLj2EENS0_17counting_iteratorIjlEEPS9_SG_NS0_5tupleIJPjSI_NS0_16reverse_iteratorISI_EEEEENSH_IJSG_SG_SG_EEES9_SI_JZNS1_25segmented_radix_sort_implINS0_14default_configELb0EPKiPiPKlPlN2at6native12_GLOBAL__N_18offset_tEEE10hipError_tPvRmT1_PNSt15iterator_traitsIS12_E10value_typeET2_T3_PNS13_IS18_E10value_typeET4_jRbjT5_S1E_jjP12ihipStream_tbEUljE_ZNSN_ISO_Lb0ESQ_SR_ST_SU_SY_EESZ_S10_S11_S12_S16_S17_S18_S1B_S1C_jS1D_jS1E_S1E_jjS1G_bEUljE0_EEESZ_S10_S11_S18_S1C_S1E_T6_T7_T9_mT8_S1G_bDpT10_ENKUlT_T0_E_clISt17integral_constantIbLb0EES1T_IbLb1EEEEDaS1P_S1Q_EUlS1P_E_NS1_11comp_targetILNS1_3genE5ELNS1_11target_archE942ELNS1_3gpuE9ELNS1_3repE0EEENS1_30default_config_static_selectorELNS0_4arch9wavefront6targetE0EEEvS12_.has_recursion, 0
	.set _ZN7rocprim17ROCPRIM_400000_NS6detail17trampoline_kernelINS0_13select_configILj256ELj13ELNS0_17block_load_methodE3ELS4_3ELS4_3ELNS0_20block_scan_algorithmE0ELj4294967295EEENS1_25partition_config_selectorILNS1_17partition_subalgoE4EjNS0_10empty_typeEbEEZZNS1_14partition_implILS8_4ELb0ES6_15HIP_vector_typeIjLj2EENS0_17counting_iteratorIjlEEPS9_SG_NS0_5tupleIJPjSI_NS0_16reverse_iteratorISI_EEEEENSH_IJSG_SG_SG_EEES9_SI_JZNS1_25segmented_radix_sort_implINS0_14default_configELb0EPKiPiPKlPlN2at6native12_GLOBAL__N_18offset_tEEE10hipError_tPvRmT1_PNSt15iterator_traitsIS12_E10value_typeET2_T3_PNS13_IS18_E10value_typeET4_jRbjT5_S1E_jjP12ihipStream_tbEUljE_ZNSN_ISO_Lb0ESQ_SR_ST_SU_SY_EESZ_S10_S11_S12_S16_S17_S18_S1B_S1C_jS1D_jS1E_S1E_jjS1G_bEUljE0_EEESZ_S10_S11_S18_S1C_S1E_T6_T7_T9_mT8_S1G_bDpT10_ENKUlT_T0_E_clISt17integral_constantIbLb0EES1T_IbLb1EEEEDaS1P_S1Q_EUlS1P_E_NS1_11comp_targetILNS1_3genE5ELNS1_11target_archE942ELNS1_3gpuE9ELNS1_3repE0EEENS1_30default_config_static_selectorELNS0_4arch9wavefront6targetE0EEEvS12_.has_indirect_call, 0
	.section	.AMDGPU.csdata,"",@progbits
; Kernel info:
; codeLenInByte = 0
; TotalNumSgprs: 0
; NumVgprs: 0
; ScratchSize: 0
; MemoryBound: 0
; FloatMode: 240
; IeeeMode: 1
; LDSByteSize: 0 bytes/workgroup (compile time only)
; SGPRBlocks: 0
; VGPRBlocks: 0
; NumSGPRsForWavesPerEU: 1
; NumVGPRsForWavesPerEU: 1
; NamedBarCnt: 0
; Occupancy: 16
; WaveLimiterHint : 0
; COMPUTE_PGM_RSRC2:SCRATCH_EN: 0
; COMPUTE_PGM_RSRC2:USER_SGPR: 2
; COMPUTE_PGM_RSRC2:TRAP_HANDLER: 0
; COMPUTE_PGM_RSRC2:TGID_X_EN: 1
; COMPUTE_PGM_RSRC2:TGID_Y_EN: 0
; COMPUTE_PGM_RSRC2:TGID_Z_EN: 0
; COMPUTE_PGM_RSRC2:TIDIG_COMP_CNT: 0
	.section	.text._ZN7rocprim17ROCPRIM_400000_NS6detail17trampoline_kernelINS0_13select_configILj256ELj13ELNS0_17block_load_methodE3ELS4_3ELS4_3ELNS0_20block_scan_algorithmE0ELj4294967295EEENS1_25partition_config_selectorILNS1_17partition_subalgoE4EjNS0_10empty_typeEbEEZZNS1_14partition_implILS8_4ELb0ES6_15HIP_vector_typeIjLj2EENS0_17counting_iteratorIjlEEPS9_SG_NS0_5tupleIJPjSI_NS0_16reverse_iteratorISI_EEEEENSH_IJSG_SG_SG_EEES9_SI_JZNS1_25segmented_radix_sort_implINS0_14default_configELb0EPKiPiPKlPlN2at6native12_GLOBAL__N_18offset_tEEE10hipError_tPvRmT1_PNSt15iterator_traitsIS12_E10value_typeET2_T3_PNS13_IS18_E10value_typeET4_jRbjT5_S1E_jjP12ihipStream_tbEUljE_ZNSN_ISO_Lb0ESQ_SR_ST_SU_SY_EESZ_S10_S11_S12_S16_S17_S18_S1B_S1C_jS1D_jS1E_S1E_jjS1G_bEUljE0_EEESZ_S10_S11_S18_S1C_S1E_T6_T7_T9_mT8_S1G_bDpT10_ENKUlT_T0_E_clISt17integral_constantIbLb0EES1T_IbLb1EEEEDaS1P_S1Q_EUlS1P_E_NS1_11comp_targetILNS1_3genE4ELNS1_11target_archE910ELNS1_3gpuE8ELNS1_3repE0EEENS1_30default_config_static_selectorELNS0_4arch9wavefront6targetE0EEEvS12_,"axG",@progbits,_ZN7rocprim17ROCPRIM_400000_NS6detail17trampoline_kernelINS0_13select_configILj256ELj13ELNS0_17block_load_methodE3ELS4_3ELS4_3ELNS0_20block_scan_algorithmE0ELj4294967295EEENS1_25partition_config_selectorILNS1_17partition_subalgoE4EjNS0_10empty_typeEbEEZZNS1_14partition_implILS8_4ELb0ES6_15HIP_vector_typeIjLj2EENS0_17counting_iteratorIjlEEPS9_SG_NS0_5tupleIJPjSI_NS0_16reverse_iteratorISI_EEEEENSH_IJSG_SG_SG_EEES9_SI_JZNS1_25segmented_radix_sort_implINS0_14default_configELb0EPKiPiPKlPlN2at6native12_GLOBAL__N_18offset_tEEE10hipError_tPvRmT1_PNSt15iterator_traitsIS12_E10value_typeET2_T3_PNS13_IS18_E10value_typeET4_jRbjT5_S1E_jjP12ihipStream_tbEUljE_ZNSN_ISO_Lb0ESQ_SR_ST_SU_SY_EESZ_S10_S11_S12_S16_S17_S18_S1B_S1C_jS1D_jS1E_S1E_jjS1G_bEUljE0_EEESZ_S10_S11_S18_S1C_S1E_T6_T7_T9_mT8_S1G_bDpT10_ENKUlT_T0_E_clISt17integral_constantIbLb0EES1T_IbLb1EEEEDaS1P_S1Q_EUlS1P_E_NS1_11comp_targetILNS1_3genE4ELNS1_11target_archE910ELNS1_3gpuE8ELNS1_3repE0EEENS1_30default_config_static_selectorELNS0_4arch9wavefront6targetE0EEEvS12_,comdat
	.globl	_ZN7rocprim17ROCPRIM_400000_NS6detail17trampoline_kernelINS0_13select_configILj256ELj13ELNS0_17block_load_methodE3ELS4_3ELS4_3ELNS0_20block_scan_algorithmE0ELj4294967295EEENS1_25partition_config_selectorILNS1_17partition_subalgoE4EjNS0_10empty_typeEbEEZZNS1_14partition_implILS8_4ELb0ES6_15HIP_vector_typeIjLj2EENS0_17counting_iteratorIjlEEPS9_SG_NS0_5tupleIJPjSI_NS0_16reverse_iteratorISI_EEEEENSH_IJSG_SG_SG_EEES9_SI_JZNS1_25segmented_radix_sort_implINS0_14default_configELb0EPKiPiPKlPlN2at6native12_GLOBAL__N_18offset_tEEE10hipError_tPvRmT1_PNSt15iterator_traitsIS12_E10value_typeET2_T3_PNS13_IS18_E10value_typeET4_jRbjT5_S1E_jjP12ihipStream_tbEUljE_ZNSN_ISO_Lb0ESQ_SR_ST_SU_SY_EESZ_S10_S11_S12_S16_S17_S18_S1B_S1C_jS1D_jS1E_S1E_jjS1G_bEUljE0_EEESZ_S10_S11_S18_S1C_S1E_T6_T7_T9_mT8_S1G_bDpT10_ENKUlT_T0_E_clISt17integral_constantIbLb0EES1T_IbLb1EEEEDaS1P_S1Q_EUlS1P_E_NS1_11comp_targetILNS1_3genE4ELNS1_11target_archE910ELNS1_3gpuE8ELNS1_3repE0EEENS1_30default_config_static_selectorELNS0_4arch9wavefront6targetE0EEEvS12_ ; -- Begin function _ZN7rocprim17ROCPRIM_400000_NS6detail17trampoline_kernelINS0_13select_configILj256ELj13ELNS0_17block_load_methodE3ELS4_3ELS4_3ELNS0_20block_scan_algorithmE0ELj4294967295EEENS1_25partition_config_selectorILNS1_17partition_subalgoE4EjNS0_10empty_typeEbEEZZNS1_14partition_implILS8_4ELb0ES6_15HIP_vector_typeIjLj2EENS0_17counting_iteratorIjlEEPS9_SG_NS0_5tupleIJPjSI_NS0_16reverse_iteratorISI_EEEEENSH_IJSG_SG_SG_EEES9_SI_JZNS1_25segmented_radix_sort_implINS0_14default_configELb0EPKiPiPKlPlN2at6native12_GLOBAL__N_18offset_tEEE10hipError_tPvRmT1_PNSt15iterator_traitsIS12_E10value_typeET2_T3_PNS13_IS18_E10value_typeET4_jRbjT5_S1E_jjP12ihipStream_tbEUljE_ZNSN_ISO_Lb0ESQ_SR_ST_SU_SY_EESZ_S10_S11_S12_S16_S17_S18_S1B_S1C_jS1D_jS1E_S1E_jjS1G_bEUljE0_EEESZ_S10_S11_S18_S1C_S1E_T6_T7_T9_mT8_S1G_bDpT10_ENKUlT_T0_E_clISt17integral_constantIbLb0EES1T_IbLb1EEEEDaS1P_S1Q_EUlS1P_E_NS1_11comp_targetILNS1_3genE4ELNS1_11target_archE910ELNS1_3gpuE8ELNS1_3repE0EEENS1_30default_config_static_selectorELNS0_4arch9wavefront6targetE0EEEvS12_
	.p2align	8
	.type	_ZN7rocprim17ROCPRIM_400000_NS6detail17trampoline_kernelINS0_13select_configILj256ELj13ELNS0_17block_load_methodE3ELS4_3ELS4_3ELNS0_20block_scan_algorithmE0ELj4294967295EEENS1_25partition_config_selectorILNS1_17partition_subalgoE4EjNS0_10empty_typeEbEEZZNS1_14partition_implILS8_4ELb0ES6_15HIP_vector_typeIjLj2EENS0_17counting_iteratorIjlEEPS9_SG_NS0_5tupleIJPjSI_NS0_16reverse_iteratorISI_EEEEENSH_IJSG_SG_SG_EEES9_SI_JZNS1_25segmented_radix_sort_implINS0_14default_configELb0EPKiPiPKlPlN2at6native12_GLOBAL__N_18offset_tEEE10hipError_tPvRmT1_PNSt15iterator_traitsIS12_E10value_typeET2_T3_PNS13_IS18_E10value_typeET4_jRbjT5_S1E_jjP12ihipStream_tbEUljE_ZNSN_ISO_Lb0ESQ_SR_ST_SU_SY_EESZ_S10_S11_S12_S16_S17_S18_S1B_S1C_jS1D_jS1E_S1E_jjS1G_bEUljE0_EEESZ_S10_S11_S18_S1C_S1E_T6_T7_T9_mT8_S1G_bDpT10_ENKUlT_T0_E_clISt17integral_constantIbLb0EES1T_IbLb1EEEEDaS1P_S1Q_EUlS1P_E_NS1_11comp_targetILNS1_3genE4ELNS1_11target_archE910ELNS1_3gpuE8ELNS1_3repE0EEENS1_30default_config_static_selectorELNS0_4arch9wavefront6targetE0EEEvS12_,@function
_ZN7rocprim17ROCPRIM_400000_NS6detail17trampoline_kernelINS0_13select_configILj256ELj13ELNS0_17block_load_methodE3ELS4_3ELS4_3ELNS0_20block_scan_algorithmE0ELj4294967295EEENS1_25partition_config_selectorILNS1_17partition_subalgoE4EjNS0_10empty_typeEbEEZZNS1_14partition_implILS8_4ELb0ES6_15HIP_vector_typeIjLj2EENS0_17counting_iteratorIjlEEPS9_SG_NS0_5tupleIJPjSI_NS0_16reverse_iteratorISI_EEEEENSH_IJSG_SG_SG_EEES9_SI_JZNS1_25segmented_radix_sort_implINS0_14default_configELb0EPKiPiPKlPlN2at6native12_GLOBAL__N_18offset_tEEE10hipError_tPvRmT1_PNSt15iterator_traitsIS12_E10value_typeET2_T3_PNS13_IS18_E10value_typeET4_jRbjT5_S1E_jjP12ihipStream_tbEUljE_ZNSN_ISO_Lb0ESQ_SR_ST_SU_SY_EESZ_S10_S11_S12_S16_S17_S18_S1B_S1C_jS1D_jS1E_S1E_jjS1G_bEUljE0_EEESZ_S10_S11_S18_S1C_S1E_T6_T7_T9_mT8_S1G_bDpT10_ENKUlT_T0_E_clISt17integral_constantIbLb0EES1T_IbLb1EEEEDaS1P_S1Q_EUlS1P_E_NS1_11comp_targetILNS1_3genE4ELNS1_11target_archE910ELNS1_3gpuE8ELNS1_3repE0EEENS1_30default_config_static_selectorELNS0_4arch9wavefront6targetE0EEEvS12_: ; @_ZN7rocprim17ROCPRIM_400000_NS6detail17trampoline_kernelINS0_13select_configILj256ELj13ELNS0_17block_load_methodE3ELS4_3ELS4_3ELNS0_20block_scan_algorithmE0ELj4294967295EEENS1_25partition_config_selectorILNS1_17partition_subalgoE4EjNS0_10empty_typeEbEEZZNS1_14partition_implILS8_4ELb0ES6_15HIP_vector_typeIjLj2EENS0_17counting_iteratorIjlEEPS9_SG_NS0_5tupleIJPjSI_NS0_16reverse_iteratorISI_EEEEENSH_IJSG_SG_SG_EEES9_SI_JZNS1_25segmented_radix_sort_implINS0_14default_configELb0EPKiPiPKlPlN2at6native12_GLOBAL__N_18offset_tEEE10hipError_tPvRmT1_PNSt15iterator_traitsIS12_E10value_typeET2_T3_PNS13_IS18_E10value_typeET4_jRbjT5_S1E_jjP12ihipStream_tbEUljE_ZNSN_ISO_Lb0ESQ_SR_ST_SU_SY_EESZ_S10_S11_S12_S16_S17_S18_S1B_S1C_jS1D_jS1E_S1E_jjS1G_bEUljE0_EEESZ_S10_S11_S18_S1C_S1E_T6_T7_T9_mT8_S1G_bDpT10_ENKUlT_T0_E_clISt17integral_constantIbLb0EES1T_IbLb1EEEEDaS1P_S1Q_EUlS1P_E_NS1_11comp_targetILNS1_3genE4ELNS1_11target_archE910ELNS1_3gpuE8ELNS1_3repE0EEENS1_30default_config_static_selectorELNS0_4arch9wavefront6targetE0EEEvS12_
; %bb.0:
	.section	.rodata,"a",@progbits
	.p2align	6, 0x0
	.amdhsa_kernel _ZN7rocprim17ROCPRIM_400000_NS6detail17trampoline_kernelINS0_13select_configILj256ELj13ELNS0_17block_load_methodE3ELS4_3ELS4_3ELNS0_20block_scan_algorithmE0ELj4294967295EEENS1_25partition_config_selectorILNS1_17partition_subalgoE4EjNS0_10empty_typeEbEEZZNS1_14partition_implILS8_4ELb0ES6_15HIP_vector_typeIjLj2EENS0_17counting_iteratorIjlEEPS9_SG_NS0_5tupleIJPjSI_NS0_16reverse_iteratorISI_EEEEENSH_IJSG_SG_SG_EEES9_SI_JZNS1_25segmented_radix_sort_implINS0_14default_configELb0EPKiPiPKlPlN2at6native12_GLOBAL__N_18offset_tEEE10hipError_tPvRmT1_PNSt15iterator_traitsIS12_E10value_typeET2_T3_PNS13_IS18_E10value_typeET4_jRbjT5_S1E_jjP12ihipStream_tbEUljE_ZNSN_ISO_Lb0ESQ_SR_ST_SU_SY_EESZ_S10_S11_S12_S16_S17_S18_S1B_S1C_jS1D_jS1E_S1E_jjS1G_bEUljE0_EEESZ_S10_S11_S18_S1C_S1E_T6_T7_T9_mT8_S1G_bDpT10_ENKUlT_T0_E_clISt17integral_constantIbLb0EES1T_IbLb1EEEEDaS1P_S1Q_EUlS1P_E_NS1_11comp_targetILNS1_3genE4ELNS1_11target_archE910ELNS1_3gpuE8ELNS1_3repE0EEENS1_30default_config_static_selectorELNS0_4arch9wavefront6targetE0EEEvS12_
		.amdhsa_group_segment_fixed_size 0
		.amdhsa_private_segment_fixed_size 0
		.amdhsa_kernarg_size 184
		.amdhsa_user_sgpr_count 2
		.amdhsa_user_sgpr_dispatch_ptr 0
		.amdhsa_user_sgpr_queue_ptr 0
		.amdhsa_user_sgpr_kernarg_segment_ptr 1
		.amdhsa_user_sgpr_dispatch_id 0
		.amdhsa_user_sgpr_kernarg_preload_length 0
		.amdhsa_user_sgpr_kernarg_preload_offset 0
		.amdhsa_user_sgpr_private_segment_size 0
		.amdhsa_wavefront_size32 1
		.amdhsa_uses_dynamic_stack 0
		.amdhsa_enable_private_segment 0
		.amdhsa_system_sgpr_workgroup_id_x 1
		.amdhsa_system_sgpr_workgroup_id_y 0
		.amdhsa_system_sgpr_workgroup_id_z 0
		.amdhsa_system_sgpr_workgroup_info 0
		.amdhsa_system_vgpr_workitem_id 0
		.amdhsa_next_free_vgpr 1
		.amdhsa_next_free_sgpr 1
		.amdhsa_named_barrier_count 0
		.amdhsa_reserve_vcc 0
		.amdhsa_float_round_mode_32 0
		.amdhsa_float_round_mode_16_64 0
		.amdhsa_float_denorm_mode_32 3
		.amdhsa_float_denorm_mode_16_64 3
		.amdhsa_fp16_overflow 0
		.amdhsa_memory_ordered 1
		.amdhsa_forward_progress 1
		.amdhsa_inst_pref_size 0
		.amdhsa_round_robin_scheduling 0
		.amdhsa_exception_fp_ieee_invalid_op 0
		.amdhsa_exception_fp_denorm_src 0
		.amdhsa_exception_fp_ieee_div_zero 0
		.amdhsa_exception_fp_ieee_overflow 0
		.amdhsa_exception_fp_ieee_underflow 0
		.amdhsa_exception_fp_ieee_inexact 0
		.amdhsa_exception_int_div_zero 0
	.end_amdhsa_kernel
	.section	.text._ZN7rocprim17ROCPRIM_400000_NS6detail17trampoline_kernelINS0_13select_configILj256ELj13ELNS0_17block_load_methodE3ELS4_3ELS4_3ELNS0_20block_scan_algorithmE0ELj4294967295EEENS1_25partition_config_selectorILNS1_17partition_subalgoE4EjNS0_10empty_typeEbEEZZNS1_14partition_implILS8_4ELb0ES6_15HIP_vector_typeIjLj2EENS0_17counting_iteratorIjlEEPS9_SG_NS0_5tupleIJPjSI_NS0_16reverse_iteratorISI_EEEEENSH_IJSG_SG_SG_EEES9_SI_JZNS1_25segmented_radix_sort_implINS0_14default_configELb0EPKiPiPKlPlN2at6native12_GLOBAL__N_18offset_tEEE10hipError_tPvRmT1_PNSt15iterator_traitsIS12_E10value_typeET2_T3_PNS13_IS18_E10value_typeET4_jRbjT5_S1E_jjP12ihipStream_tbEUljE_ZNSN_ISO_Lb0ESQ_SR_ST_SU_SY_EESZ_S10_S11_S12_S16_S17_S18_S1B_S1C_jS1D_jS1E_S1E_jjS1G_bEUljE0_EEESZ_S10_S11_S18_S1C_S1E_T6_T7_T9_mT8_S1G_bDpT10_ENKUlT_T0_E_clISt17integral_constantIbLb0EES1T_IbLb1EEEEDaS1P_S1Q_EUlS1P_E_NS1_11comp_targetILNS1_3genE4ELNS1_11target_archE910ELNS1_3gpuE8ELNS1_3repE0EEENS1_30default_config_static_selectorELNS0_4arch9wavefront6targetE0EEEvS12_,"axG",@progbits,_ZN7rocprim17ROCPRIM_400000_NS6detail17trampoline_kernelINS0_13select_configILj256ELj13ELNS0_17block_load_methodE3ELS4_3ELS4_3ELNS0_20block_scan_algorithmE0ELj4294967295EEENS1_25partition_config_selectorILNS1_17partition_subalgoE4EjNS0_10empty_typeEbEEZZNS1_14partition_implILS8_4ELb0ES6_15HIP_vector_typeIjLj2EENS0_17counting_iteratorIjlEEPS9_SG_NS0_5tupleIJPjSI_NS0_16reverse_iteratorISI_EEEEENSH_IJSG_SG_SG_EEES9_SI_JZNS1_25segmented_radix_sort_implINS0_14default_configELb0EPKiPiPKlPlN2at6native12_GLOBAL__N_18offset_tEEE10hipError_tPvRmT1_PNSt15iterator_traitsIS12_E10value_typeET2_T3_PNS13_IS18_E10value_typeET4_jRbjT5_S1E_jjP12ihipStream_tbEUljE_ZNSN_ISO_Lb0ESQ_SR_ST_SU_SY_EESZ_S10_S11_S12_S16_S17_S18_S1B_S1C_jS1D_jS1E_S1E_jjS1G_bEUljE0_EEESZ_S10_S11_S18_S1C_S1E_T6_T7_T9_mT8_S1G_bDpT10_ENKUlT_T0_E_clISt17integral_constantIbLb0EES1T_IbLb1EEEEDaS1P_S1Q_EUlS1P_E_NS1_11comp_targetILNS1_3genE4ELNS1_11target_archE910ELNS1_3gpuE8ELNS1_3repE0EEENS1_30default_config_static_selectorELNS0_4arch9wavefront6targetE0EEEvS12_,comdat
.Lfunc_end558:
	.size	_ZN7rocprim17ROCPRIM_400000_NS6detail17trampoline_kernelINS0_13select_configILj256ELj13ELNS0_17block_load_methodE3ELS4_3ELS4_3ELNS0_20block_scan_algorithmE0ELj4294967295EEENS1_25partition_config_selectorILNS1_17partition_subalgoE4EjNS0_10empty_typeEbEEZZNS1_14partition_implILS8_4ELb0ES6_15HIP_vector_typeIjLj2EENS0_17counting_iteratorIjlEEPS9_SG_NS0_5tupleIJPjSI_NS0_16reverse_iteratorISI_EEEEENSH_IJSG_SG_SG_EEES9_SI_JZNS1_25segmented_radix_sort_implINS0_14default_configELb0EPKiPiPKlPlN2at6native12_GLOBAL__N_18offset_tEEE10hipError_tPvRmT1_PNSt15iterator_traitsIS12_E10value_typeET2_T3_PNS13_IS18_E10value_typeET4_jRbjT5_S1E_jjP12ihipStream_tbEUljE_ZNSN_ISO_Lb0ESQ_SR_ST_SU_SY_EESZ_S10_S11_S12_S16_S17_S18_S1B_S1C_jS1D_jS1E_S1E_jjS1G_bEUljE0_EEESZ_S10_S11_S18_S1C_S1E_T6_T7_T9_mT8_S1G_bDpT10_ENKUlT_T0_E_clISt17integral_constantIbLb0EES1T_IbLb1EEEEDaS1P_S1Q_EUlS1P_E_NS1_11comp_targetILNS1_3genE4ELNS1_11target_archE910ELNS1_3gpuE8ELNS1_3repE0EEENS1_30default_config_static_selectorELNS0_4arch9wavefront6targetE0EEEvS12_, .Lfunc_end558-_ZN7rocprim17ROCPRIM_400000_NS6detail17trampoline_kernelINS0_13select_configILj256ELj13ELNS0_17block_load_methodE3ELS4_3ELS4_3ELNS0_20block_scan_algorithmE0ELj4294967295EEENS1_25partition_config_selectorILNS1_17partition_subalgoE4EjNS0_10empty_typeEbEEZZNS1_14partition_implILS8_4ELb0ES6_15HIP_vector_typeIjLj2EENS0_17counting_iteratorIjlEEPS9_SG_NS0_5tupleIJPjSI_NS0_16reverse_iteratorISI_EEEEENSH_IJSG_SG_SG_EEES9_SI_JZNS1_25segmented_radix_sort_implINS0_14default_configELb0EPKiPiPKlPlN2at6native12_GLOBAL__N_18offset_tEEE10hipError_tPvRmT1_PNSt15iterator_traitsIS12_E10value_typeET2_T3_PNS13_IS18_E10value_typeET4_jRbjT5_S1E_jjP12ihipStream_tbEUljE_ZNSN_ISO_Lb0ESQ_SR_ST_SU_SY_EESZ_S10_S11_S12_S16_S17_S18_S1B_S1C_jS1D_jS1E_S1E_jjS1G_bEUljE0_EEESZ_S10_S11_S18_S1C_S1E_T6_T7_T9_mT8_S1G_bDpT10_ENKUlT_T0_E_clISt17integral_constantIbLb0EES1T_IbLb1EEEEDaS1P_S1Q_EUlS1P_E_NS1_11comp_targetILNS1_3genE4ELNS1_11target_archE910ELNS1_3gpuE8ELNS1_3repE0EEENS1_30default_config_static_selectorELNS0_4arch9wavefront6targetE0EEEvS12_
                                        ; -- End function
	.set _ZN7rocprim17ROCPRIM_400000_NS6detail17trampoline_kernelINS0_13select_configILj256ELj13ELNS0_17block_load_methodE3ELS4_3ELS4_3ELNS0_20block_scan_algorithmE0ELj4294967295EEENS1_25partition_config_selectorILNS1_17partition_subalgoE4EjNS0_10empty_typeEbEEZZNS1_14partition_implILS8_4ELb0ES6_15HIP_vector_typeIjLj2EENS0_17counting_iteratorIjlEEPS9_SG_NS0_5tupleIJPjSI_NS0_16reverse_iteratorISI_EEEEENSH_IJSG_SG_SG_EEES9_SI_JZNS1_25segmented_radix_sort_implINS0_14default_configELb0EPKiPiPKlPlN2at6native12_GLOBAL__N_18offset_tEEE10hipError_tPvRmT1_PNSt15iterator_traitsIS12_E10value_typeET2_T3_PNS13_IS18_E10value_typeET4_jRbjT5_S1E_jjP12ihipStream_tbEUljE_ZNSN_ISO_Lb0ESQ_SR_ST_SU_SY_EESZ_S10_S11_S12_S16_S17_S18_S1B_S1C_jS1D_jS1E_S1E_jjS1G_bEUljE0_EEESZ_S10_S11_S18_S1C_S1E_T6_T7_T9_mT8_S1G_bDpT10_ENKUlT_T0_E_clISt17integral_constantIbLb0EES1T_IbLb1EEEEDaS1P_S1Q_EUlS1P_E_NS1_11comp_targetILNS1_3genE4ELNS1_11target_archE910ELNS1_3gpuE8ELNS1_3repE0EEENS1_30default_config_static_selectorELNS0_4arch9wavefront6targetE0EEEvS12_.num_vgpr, 0
	.set _ZN7rocprim17ROCPRIM_400000_NS6detail17trampoline_kernelINS0_13select_configILj256ELj13ELNS0_17block_load_methodE3ELS4_3ELS4_3ELNS0_20block_scan_algorithmE0ELj4294967295EEENS1_25partition_config_selectorILNS1_17partition_subalgoE4EjNS0_10empty_typeEbEEZZNS1_14partition_implILS8_4ELb0ES6_15HIP_vector_typeIjLj2EENS0_17counting_iteratorIjlEEPS9_SG_NS0_5tupleIJPjSI_NS0_16reverse_iteratorISI_EEEEENSH_IJSG_SG_SG_EEES9_SI_JZNS1_25segmented_radix_sort_implINS0_14default_configELb0EPKiPiPKlPlN2at6native12_GLOBAL__N_18offset_tEEE10hipError_tPvRmT1_PNSt15iterator_traitsIS12_E10value_typeET2_T3_PNS13_IS18_E10value_typeET4_jRbjT5_S1E_jjP12ihipStream_tbEUljE_ZNSN_ISO_Lb0ESQ_SR_ST_SU_SY_EESZ_S10_S11_S12_S16_S17_S18_S1B_S1C_jS1D_jS1E_S1E_jjS1G_bEUljE0_EEESZ_S10_S11_S18_S1C_S1E_T6_T7_T9_mT8_S1G_bDpT10_ENKUlT_T0_E_clISt17integral_constantIbLb0EES1T_IbLb1EEEEDaS1P_S1Q_EUlS1P_E_NS1_11comp_targetILNS1_3genE4ELNS1_11target_archE910ELNS1_3gpuE8ELNS1_3repE0EEENS1_30default_config_static_selectorELNS0_4arch9wavefront6targetE0EEEvS12_.num_agpr, 0
	.set _ZN7rocprim17ROCPRIM_400000_NS6detail17trampoline_kernelINS0_13select_configILj256ELj13ELNS0_17block_load_methodE3ELS4_3ELS4_3ELNS0_20block_scan_algorithmE0ELj4294967295EEENS1_25partition_config_selectorILNS1_17partition_subalgoE4EjNS0_10empty_typeEbEEZZNS1_14partition_implILS8_4ELb0ES6_15HIP_vector_typeIjLj2EENS0_17counting_iteratorIjlEEPS9_SG_NS0_5tupleIJPjSI_NS0_16reverse_iteratorISI_EEEEENSH_IJSG_SG_SG_EEES9_SI_JZNS1_25segmented_radix_sort_implINS0_14default_configELb0EPKiPiPKlPlN2at6native12_GLOBAL__N_18offset_tEEE10hipError_tPvRmT1_PNSt15iterator_traitsIS12_E10value_typeET2_T3_PNS13_IS18_E10value_typeET4_jRbjT5_S1E_jjP12ihipStream_tbEUljE_ZNSN_ISO_Lb0ESQ_SR_ST_SU_SY_EESZ_S10_S11_S12_S16_S17_S18_S1B_S1C_jS1D_jS1E_S1E_jjS1G_bEUljE0_EEESZ_S10_S11_S18_S1C_S1E_T6_T7_T9_mT8_S1G_bDpT10_ENKUlT_T0_E_clISt17integral_constantIbLb0EES1T_IbLb1EEEEDaS1P_S1Q_EUlS1P_E_NS1_11comp_targetILNS1_3genE4ELNS1_11target_archE910ELNS1_3gpuE8ELNS1_3repE0EEENS1_30default_config_static_selectorELNS0_4arch9wavefront6targetE0EEEvS12_.numbered_sgpr, 0
	.set _ZN7rocprim17ROCPRIM_400000_NS6detail17trampoline_kernelINS0_13select_configILj256ELj13ELNS0_17block_load_methodE3ELS4_3ELS4_3ELNS0_20block_scan_algorithmE0ELj4294967295EEENS1_25partition_config_selectorILNS1_17partition_subalgoE4EjNS0_10empty_typeEbEEZZNS1_14partition_implILS8_4ELb0ES6_15HIP_vector_typeIjLj2EENS0_17counting_iteratorIjlEEPS9_SG_NS0_5tupleIJPjSI_NS0_16reverse_iteratorISI_EEEEENSH_IJSG_SG_SG_EEES9_SI_JZNS1_25segmented_radix_sort_implINS0_14default_configELb0EPKiPiPKlPlN2at6native12_GLOBAL__N_18offset_tEEE10hipError_tPvRmT1_PNSt15iterator_traitsIS12_E10value_typeET2_T3_PNS13_IS18_E10value_typeET4_jRbjT5_S1E_jjP12ihipStream_tbEUljE_ZNSN_ISO_Lb0ESQ_SR_ST_SU_SY_EESZ_S10_S11_S12_S16_S17_S18_S1B_S1C_jS1D_jS1E_S1E_jjS1G_bEUljE0_EEESZ_S10_S11_S18_S1C_S1E_T6_T7_T9_mT8_S1G_bDpT10_ENKUlT_T0_E_clISt17integral_constantIbLb0EES1T_IbLb1EEEEDaS1P_S1Q_EUlS1P_E_NS1_11comp_targetILNS1_3genE4ELNS1_11target_archE910ELNS1_3gpuE8ELNS1_3repE0EEENS1_30default_config_static_selectorELNS0_4arch9wavefront6targetE0EEEvS12_.num_named_barrier, 0
	.set _ZN7rocprim17ROCPRIM_400000_NS6detail17trampoline_kernelINS0_13select_configILj256ELj13ELNS0_17block_load_methodE3ELS4_3ELS4_3ELNS0_20block_scan_algorithmE0ELj4294967295EEENS1_25partition_config_selectorILNS1_17partition_subalgoE4EjNS0_10empty_typeEbEEZZNS1_14partition_implILS8_4ELb0ES6_15HIP_vector_typeIjLj2EENS0_17counting_iteratorIjlEEPS9_SG_NS0_5tupleIJPjSI_NS0_16reverse_iteratorISI_EEEEENSH_IJSG_SG_SG_EEES9_SI_JZNS1_25segmented_radix_sort_implINS0_14default_configELb0EPKiPiPKlPlN2at6native12_GLOBAL__N_18offset_tEEE10hipError_tPvRmT1_PNSt15iterator_traitsIS12_E10value_typeET2_T3_PNS13_IS18_E10value_typeET4_jRbjT5_S1E_jjP12ihipStream_tbEUljE_ZNSN_ISO_Lb0ESQ_SR_ST_SU_SY_EESZ_S10_S11_S12_S16_S17_S18_S1B_S1C_jS1D_jS1E_S1E_jjS1G_bEUljE0_EEESZ_S10_S11_S18_S1C_S1E_T6_T7_T9_mT8_S1G_bDpT10_ENKUlT_T0_E_clISt17integral_constantIbLb0EES1T_IbLb1EEEEDaS1P_S1Q_EUlS1P_E_NS1_11comp_targetILNS1_3genE4ELNS1_11target_archE910ELNS1_3gpuE8ELNS1_3repE0EEENS1_30default_config_static_selectorELNS0_4arch9wavefront6targetE0EEEvS12_.private_seg_size, 0
	.set _ZN7rocprim17ROCPRIM_400000_NS6detail17trampoline_kernelINS0_13select_configILj256ELj13ELNS0_17block_load_methodE3ELS4_3ELS4_3ELNS0_20block_scan_algorithmE0ELj4294967295EEENS1_25partition_config_selectorILNS1_17partition_subalgoE4EjNS0_10empty_typeEbEEZZNS1_14partition_implILS8_4ELb0ES6_15HIP_vector_typeIjLj2EENS0_17counting_iteratorIjlEEPS9_SG_NS0_5tupleIJPjSI_NS0_16reverse_iteratorISI_EEEEENSH_IJSG_SG_SG_EEES9_SI_JZNS1_25segmented_radix_sort_implINS0_14default_configELb0EPKiPiPKlPlN2at6native12_GLOBAL__N_18offset_tEEE10hipError_tPvRmT1_PNSt15iterator_traitsIS12_E10value_typeET2_T3_PNS13_IS18_E10value_typeET4_jRbjT5_S1E_jjP12ihipStream_tbEUljE_ZNSN_ISO_Lb0ESQ_SR_ST_SU_SY_EESZ_S10_S11_S12_S16_S17_S18_S1B_S1C_jS1D_jS1E_S1E_jjS1G_bEUljE0_EEESZ_S10_S11_S18_S1C_S1E_T6_T7_T9_mT8_S1G_bDpT10_ENKUlT_T0_E_clISt17integral_constantIbLb0EES1T_IbLb1EEEEDaS1P_S1Q_EUlS1P_E_NS1_11comp_targetILNS1_3genE4ELNS1_11target_archE910ELNS1_3gpuE8ELNS1_3repE0EEENS1_30default_config_static_selectorELNS0_4arch9wavefront6targetE0EEEvS12_.uses_vcc, 0
	.set _ZN7rocprim17ROCPRIM_400000_NS6detail17trampoline_kernelINS0_13select_configILj256ELj13ELNS0_17block_load_methodE3ELS4_3ELS4_3ELNS0_20block_scan_algorithmE0ELj4294967295EEENS1_25partition_config_selectorILNS1_17partition_subalgoE4EjNS0_10empty_typeEbEEZZNS1_14partition_implILS8_4ELb0ES6_15HIP_vector_typeIjLj2EENS0_17counting_iteratorIjlEEPS9_SG_NS0_5tupleIJPjSI_NS0_16reverse_iteratorISI_EEEEENSH_IJSG_SG_SG_EEES9_SI_JZNS1_25segmented_radix_sort_implINS0_14default_configELb0EPKiPiPKlPlN2at6native12_GLOBAL__N_18offset_tEEE10hipError_tPvRmT1_PNSt15iterator_traitsIS12_E10value_typeET2_T3_PNS13_IS18_E10value_typeET4_jRbjT5_S1E_jjP12ihipStream_tbEUljE_ZNSN_ISO_Lb0ESQ_SR_ST_SU_SY_EESZ_S10_S11_S12_S16_S17_S18_S1B_S1C_jS1D_jS1E_S1E_jjS1G_bEUljE0_EEESZ_S10_S11_S18_S1C_S1E_T6_T7_T9_mT8_S1G_bDpT10_ENKUlT_T0_E_clISt17integral_constantIbLb0EES1T_IbLb1EEEEDaS1P_S1Q_EUlS1P_E_NS1_11comp_targetILNS1_3genE4ELNS1_11target_archE910ELNS1_3gpuE8ELNS1_3repE0EEENS1_30default_config_static_selectorELNS0_4arch9wavefront6targetE0EEEvS12_.uses_flat_scratch, 0
	.set _ZN7rocprim17ROCPRIM_400000_NS6detail17trampoline_kernelINS0_13select_configILj256ELj13ELNS0_17block_load_methodE3ELS4_3ELS4_3ELNS0_20block_scan_algorithmE0ELj4294967295EEENS1_25partition_config_selectorILNS1_17partition_subalgoE4EjNS0_10empty_typeEbEEZZNS1_14partition_implILS8_4ELb0ES6_15HIP_vector_typeIjLj2EENS0_17counting_iteratorIjlEEPS9_SG_NS0_5tupleIJPjSI_NS0_16reverse_iteratorISI_EEEEENSH_IJSG_SG_SG_EEES9_SI_JZNS1_25segmented_radix_sort_implINS0_14default_configELb0EPKiPiPKlPlN2at6native12_GLOBAL__N_18offset_tEEE10hipError_tPvRmT1_PNSt15iterator_traitsIS12_E10value_typeET2_T3_PNS13_IS18_E10value_typeET4_jRbjT5_S1E_jjP12ihipStream_tbEUljE_ZNSN_ISO_Lb0ESQ_SR_ST_SU_SY_EESZ_S10_S11_S12_S16_S17_S18_S1B_S1C_jS1D_jS1E_S1E_jjS1G_bEUljE0_EEESZ_S10_S11_S18_S1C_S1E_T6_T7_T9_mT8_S1G_bDpT10_ENKUlT_T0_E_clISt17integral_constantIbLb0EES1T_IbLb1EEEEDaS1P_S1Q_EUlS1P_E_NS1_11comp_targetILNS1_3genE4ELNS1_11target_archE910ELNS1_3gpuE8ELNS1_3repE0EEENS1_30default_config_static_selectorELNS0_4arch9wavefront6targetE0EEEvS12_.has_dyn_sized_stack, 0
	.set _ZN7rocprim17ROCPRIM_400000_NS6detail17trampoline_kernelINS0_13select_configILj256ELj13ELNS0_17block_load_methodE3ELS4_3ELS4_3ELNS0_20block_scan_algorithmE0ELj4294967295EEENS1_25partition_config_selectorILNS1_17partition_subalgoE4EjNS0_10empty_typeEbEEZZNS1_14partition_implILS8_4ELb0ES6_15HIP_vector_typeIjLj2EENS0_17counting_iteratorIjlEEPS9_SG_NS0_5tupleIJPjSI_NS0_16reverse_iteratorISI_EEEEENSH_IJSG_SG_SG_EEES9_SI_JZNS1_25segmented_radix_sort_implINS0_14default_configELb0EPKiPiPKlPlN2at6native12_GLOBAL__N_18offset_tEEE10hipError_tPvRmT1_PNSt15iterator_traitsIS12_E10value_typeET2_T3_PNS13_IS18_E10value_typeET4_jRbjT5_S1E_jjP12ihipStream_tbEUljE_ZNSN_ISO_Lb0ESQ_SR_ST_SU_SY_EESZ_S10_S11_S12_S16_S17_S18_S1B_S1C_jS1D_jS1E_S1E_jjS1G_bEUljE0_EEESZ_S10_S11_S18_S1C_S1E_T6_T7_T9_mT8_S1G_bDpT10_ENKUlT_T0_E_clISt17integral_constantIbLb0EES1T_IbLb1EEEEDaS1P_S1Q_EUlS1P_E_NS1_11comp_targetILNS1_3genE4ELNS1_11target_archE910ELNS1_3gpuE8ELNS1_3repE0EEENS1_30default_config_static_selectorELNS0_4arch9wavefront6targetE0EEEvS12_.has_recursion, 0
	.set _ZN7rocprim17ROCPRIM_400000_NS6detail17trampoline_kernelINS0_13select_configILj256ELj13ELNS0_17block_load_methodE3ELS4_3ELS4_3ELNS0_20block_scan_algorithmE0ELj4294967295EEENS1_25partition_config_selectorILNS1_17partition_subalgoE4EjNS0_10empty_typeEbEEZZNS1_14partition_implILS8_4ELb0ES6_15HIP_vector_typeIjLj2EENS0_17counting_iteratorIjlEEPS9_SG_NS0_5tupleIJPjSI_NS0_16reverse_iteratorISI_EEEEENSH_IJSG_SG_SG_EEES9_SI_JZNS1_25segmented_radix_sort_implINS0_14default_configELb0EPKiPiPKlPlN2at6native12_GLOBAL__N_18offset_tEEE10hipError_tPvRmT1_PNSt15iterator_traitsIS12_E10value_typeET2_T3_PNS13_IS18_E10value_typeET4_jRbjT5_S1E_jjP12ihipStream_tbEUljE_ZNSN_ISO_Lb0ESQ_SR_ST_SU_SY_EESZ_S10_S11_S12_S16_S17_S18_S1B_S1C_jS1D_jS1E_S1E_jjS1G_bEUljE0_EEESZ_S10_S11_S18_S1C_S1E_T6_T7_T9_mT8_S1G_bDpT10_ENKUlT_T0_E_clISt17integral_constantIbLb0EES1T_IbLb1EEEEDaS1P_S1Q_EUlS1P_E_NS1_11comp_targetILNS1_3genE4ELNS1_11target_archE910ELNS1_3gpuE8ELNS1_3repE0EEENS1_30default_config_static_selectorELNS0_4arch9wavefront6targetE0EEEvS12_.has_indirect_call, 0
	.section	.AMDGPU.csdata,"",@progbits
; Kernel info:
; codeLenInByte = 0
; TotalNumSgprs: 0
; NumVgprs: 0
; ScratchSize: 0
; MemoryBound: 0
; FloatMode: 240
; IeeeMode: 1
; LDSByteSize: 0 bytes/workgroup (compile time only)
; SGPRBlocks: 0
; VGPRBlocks: 0
; NumSGPRsForWavesPerEU: 1
; NumVGPRsForWavesPerEU: 1
; NamedBarCnt: 0
; Occupancy: 16
; WaveLimiterHint : 0
; COMPUTE_PGM_RSRC2:SCRATCH_EN: 0
; COMPUTE_PGM_RSRC2:USER_SGPR: 2
; COMPUTE_PGM_RSRC2:TRAP_HANDLER: 0
; COMPUTE_PGM_RSRC2:TGID_X_EN: 1
; COMPUTE_PGM_RSRC2:TGID_Y_EN: 0
; COMPUTE_PGM_RSRC2:TGID_Z_EN: 0
; COMPUTE_PGM_RSRC2:TIDIG_COMP_CNT: 0
	.section	.text._ZN7rocprim17ROCPRIM_400000_NS6detail17trampoline_kernelINS0_13select_configILj256ELj13ELNS0_17block_load_methodE3ELS4_3ELS4_3ELNS0_20block_scan_algorithmE0ELj4294967295EEENS1_25partition_config_selectorILNS1_17partition_subalgoE4EjNS0_10empty_typeEbEEZZNS1_14partition_implILS8_4ELb0ES6_15HIP_vector_typeIjLj2EENS0_17counting_iteratorIjlEEPS9_SG_NS0_5tupleIJPjSI_NS0_16reverse_iteratorISI_EEEEENSH_IJSG_SG_SG_EEES9_SI_JZNS1_25segmented_radix_sort_implINS0_14default_configELb0EPKiPiPKlPlN2at6native12_GLOBAL__N_18offset_tEEE10hipError_tPvRmT1_PNSt15iterator_traitsIS12_E10value_typeET2_T3_PNS13_IS18_E10value_typeET4_jRbjT5_S1E_jjP12ihipStream_tbEUljE_ZNSN_ISO_Lb0ESQ_SR_ST_SU_SY_EESZ_S10_S11_S12_S16_S17_S18_S1B_S1C_jS1D_jS1E_S1E_jjS1G_bEUljE0_EEESZ_S10_S11_S18_S1C_S1E_T6_T7_T9_mT8_S1G_bDpT10_ENKUlT_T0_E_clISt17integral_constantIbLb0EES1T_IbLb1EEEEDaS1P_S1Q_EUlS1P_E_NS1_11comp_targetILNS1_3genE3ELNS1_11target_archE908ELNS1_3gpuE7ELNS1_3repE0EEENS1_30default_config_static_selectorELNS0_4arch9wavefront6targetE0EEEvS12_,"axG",@progbits,_ZN7rocprim17ROCPRIM_400000_NS6detail17trampoline_kernelINS0_13select_configILj256ELj13ELNS0_17block_load_methodE3ELS4_3ELS4_3ELNS0_20block_scan_algorithmE0ELj4294967295EEENS1_25partition_config_selectorILNS1_17partition_subalgoE4EjNS0_10empty_typeEbEEZZNS1_14partition_implILS8_4ELb0ES6_15HIP_vector_typeIjLj2EENS0_17counting_iteratorIjlEEPS9_SG_NS0_5tupleIJPjSI_NS0_16reverse_iteratorISI_EEEEENSH_IJSG_SG_SG_EEES9_SI_JZNS1_25segmented_radix_sort_implINS0_14default_configELb0EPKiPiPKlPlN2at6native12_GLOBAL__N_18offset_tEEE10hipError_tPvRmT1_PNSt15iterator_traitsIS12_E10value_typeET2_T3_PNS13_IS18_E10value_typeET4_jRbjT5_S1E_jjP12ihipStream_tbEUljE_ZNSN_ISO_Lb0ESQ_SR_ST_SU_SY_EESZ_S10_S11_S12_S16_S17_S18_S1B_S1C_jS1D_jS1E_S1E_jjS1G_bEUljE0_EEESZ_S10_S11_S18_S1C_S1E_T6_T7_T9_mT8_S1G_bDpT10_ENKUlT_T0_E_clISt17integral_constantIbLb0EES1T_IbLb1EEEEDaS1P_S1Q_EUlS1P_E_NS1_11comp_targetILNS1_3genE3ELNS1_11target_archE908ELNS1_3gpuE7ELNS1_3repE0EEENS1_30default_config_static_selectorELNS0_4arch9wavefront6targetE0EEEvS12_,comdat
	.globl	_ZN7rocprim17ROCPRIM_400000_NS6detail17trampoline_kernelINS0_13select_configILj256ELj13ELNS0_17block_load_methodE3ELS4_3ELS4_3ELNS0_20block_scan_algorithmE0ELj4294967295EEENS1_25partition_config_selectorILNS1_17partition_subalgoE4EjNS0_10empty_typeEbEEZZNS1_14partition_implILS8_4ELb0ES6_15HIP_vector_typeIjLj2EENS0_17counting_iteratorIjlEEPS9_SG_NS0_5tupleIJPjSI_NS0_16reverse_iteratorISI_EEEEENSH_IJSG_SG_SG_EEES9_SI_JZNS1_25segmented_radix_sort_implINS0_14default_configELb0EPKiPiPKlPlN2at6native12_GLOBAL__N_18offset_tEEE10hipError_tPvRmT1_PNSt15iterator_traitsIS12_E10value_typeET2_T3_PNS13_IS18_E10value_typeET4_jRbjT5_S1E_jjP12ihipStream_tbEUljE_ZNSN_ISO_Lb0ESQ_SR_ST_SU_SY_EESZ_S10_S11_S12_S16_S17_S18_S1B_S1C_jS1D_jS1E_S1E_jjS1G_bEUljE0_EEESZ_S10_S11_S18_S1C_S1E_T6_T7_T9_mT8_S1G_bDpT10_ENKUlT_T0_E_clISt17integral_constantIbLb0EES1T_IbLb1EEEEDaS1P_S1Q_EUlS1P_E_NS1_11comp_targetILNS1_3genE3ELNS1_11target_archE908ELNS1_3gpuE7ELNS1_3repE0EEENS1_30default_config_static_selectorELNS0_4arch9wavefront6targetE0EEEvS12_ ; -- Begin function _ZN7rocprim17ROCPRIM_400000_NS6detail17trampoline_kernelINS0_13select_configILj256ELj13ELNS0_17block_load_methodE3ELS4_3ELS4_3ELNS0_20block_scan_algorithmE0ELj4294967295EEENS1_25partition_config_selectorILNS1_17partition_subalgoE4EjNS0_10empty_typeEbEEZZNS1_14partition_implILS8_4ELb0ES6_15HIP_vector_typeIjLj2EENS0_17counting_iteratorIjlEEPS9_SG_NS0_5tupleIJPjSI_NS0_16reverse_iteratorISI_EEEEENSH_IJSG_SG_SG_EEES9_SI_JZNS1_25segmented_radix_sort_implINS0_14default_configELb0EPKiPiPKlPlN2at6native12_GLOBAL__N_18offset_tEEE10hipError_tPvRmT1_PNSt15iterator_traitsIS12_E10value_typeET2_T3_PNS13_IS18_E10value_typeET4_jRbjT5_S1E_jjP12ihipStream_tbEUljE_ZNSN_ISO_Lb0ESQ_SR_ST_SU_SY_EESZ_S10_S11_S12_S16_S17_S18_S1B_S1C_jS1D_jS1E_S1E_jjS1G_bEUljE0_EEESZ_S10_S11_S18_S1C_S1E_T6_T7_T9_mT8_S1G_bDpT10_ENKUlT_T0_E_clISt17integral_constantIbLb0EES1T_IbLb1EEEEDaS1P_S1Q_EUlS1P_E_NS1_11comp_targetILNS1_3genE3ELNS1_11target_archE908ELNS1_3gpuE7ELNS1_3repE0EEENS1_30default_config_static_selectorELNS0_4arch9wavefront6targetE0EEEvS12_
	.p2align	8
	.type	_ZN7rocprim17ROCPRIM_400000_NS6detail17trampoline_kernelINS0_13select_configILj256ELj13ELNS0_17block_load_methodE3ELS4_3ELS4_3ELNS0_20block_scan_algorithmE0ELj4294967295EEENS1_25partition_config_selectorILNS1_17partition_subalgoE4EjNS0_10empty_typeEbEEZZNS1_14partition_implILS8_4ELb0ES6_15HIP_vector_typeIjLj2EENS0_17counting_iteratorIjlEEPS9_SG_NS0_5tupleIJPjSI_NS0_16reverse_iteratorISI_EEEEENSH_IJSG_SG_SG_EEES9_SI_JZNS1_25segmented_radix_sort_implINS0_14default_configELb0EPKiPiPKlPlN2at6native12_GLOBAL__N_18offset_tEEE10hipError_tPvRmT1_PNSt15iterator_traitsIS12_E10value_typeET2_T3_PNS13_IS18_E10value_typeET4_jRbjT5_S1E_jjP12ihipStream_tbEUljE_ZNSN_ISO_Lb0ESQ_SR_ST_SU_SY_EESZ_S10_S11_S12_S16_S17_S18_S1B_S1C_jS1D_jS1E_S1E_jjS1G_bEUljE0_EEESZ_S10_S11_S18_S1C_S1E_T6_T7_T9_mT8_S1G_bDpT10_ENKUlT_T0_E_clISt17integral_constantIbLb0EES1T_IbLb1EEEEDaS1P_S1Q_EUlS1P_E_NS1_11comp_targetILNS1_3genE3ELNS1_11target_archE908ELNS1_3gpuE7ELNS1_3repE0EEENS1_30default_config_static_selectorELNS0_4arch9wavefront6targetE0EEEvS12_,@function
_ZN7rocprim17ROCPRIM_400000_NS6detail17trampoline_kernelINS0_13select_configILj256ELj13ELNS0_17block_load_methodE3ELS4_3ELS4_3ELNS0_20block_scan_algorithmE0ELj4294967295EEENS1_25partition_config_selectorILNS1_17partition_subalgoE4EjNS0_10empty_typeEbEEZZNS1_14partition_implILS8_4ELb0ES6_15HIP_vector_typeIjLj2EENS0_17counting_iteratorIjlEEPS9_SG_NS0_5tupleIJPjSI_NS0_16reverse_iteratorISI_EEEEENSH_IJSG_SG_SG_EEES9_SI_JZNS1_25segmented_radix_sort_implINS0_14default_configELb0EPKiPiPKlPlN2at6native12_GLOBAL__N_18offset_tEEE10hipError_tPvRmT1_PNSt15iterator_traitsIS12_E10value_typeET2_T3_PNS13_IS18_E10value_typeET4_jRbjT5_S1E_jjP12ihipStream_tbEUljE_ZNSN_ISO_Lb0ESQ_SR_ST_SU_SY_EESZ_S10_S11_S12_S16_S17_S18_S1B_S1C_jS1D_jS1E_S1E_jjS1G_bEUljE0_EEESZ_S10_S11_S18_S1C_S1E_T6_T7_T9_mT8_S1G_bDpT10_ENKUlT_T0_E_clISt17integral_constantIbLb0EES1T_IbLb1EEEEDaS1P_S1Q_EUlS1P_E_NS1_11comp_targetILNS1_3genE3ELNS1_11target_archE908ELNS1_3gpuE7ELNS1_3repE0EEENS1_30default_config_static_selectorELNS0_4arch9wavefront6targetE0EEEvS12_: ; @_ZN7rocprim17ROCPRIM_400000_NS6detail17trampoline_kernelINS0_13select_configILj256ELj13ELNS0_17block_load_methodE3ELS4_3ELS4_3ELNS0_20block_scan_algorithmE0ELj4294967295EEENS1_25partition_config_selectorILNS1_17partition_subalgoE4EjNS0_10empty_typeEbEEZZNS1_14partition_implILS8_4ELb0ES6_15HIP_vector_typeIjLj2EENS0_17counting_iteratorIjlEEPS9_SG_NS0_5tupleIJPjSI_NS0_16reverse_iteratorISI_EEEEENSH_IJSG_SG_SG_EEES9_SI_JZNS1_25segmented_radix_sort_implINS0_14default_configELb0EPKiPiPKlPlN2at6native12_GLOBAL__N_18offset_tEEE10hipError_tPvRmT1_PNSt15iterator_traitsIS12_E10value_typeET2_T3_PNS13_IS18_E10value_typeET4_jRbjT5_S1E_jjP12ihipStream_tbEUljE_ZNSN_ISO_Lb0ESQ_SR_ST_SU_SY_EESZ_S10_S11_S12_S16_S17_S18_S1B_S1C_jS1D_jS1E_S1E_jjS1G_bEUljE0_EEESZ_S10_S11_S18_S1C_S1E_T6_T7_T9_mT8_S1G_bDpT10_ENKUlT_T0_E_clISt17integral_constantIbLb0EES1T_IbLb1EEEEDaS1P_S1Q_EUlS1P_E_NS1_11comp_targetILNS1_3genE3ELNS1_11target_archE908ELNS1_3gpuE7ELNS1_3repE0EEENS1_30default_config_static_selectorELNS0_4arch9wavefront6targetE0EEEvS12_
; %bb.0:
	.section	.rodata,"a",@progbits
	.p2align	6, 0x0
	.amdhsa_kernel _ZN7rocprim17ROCPRIM_400000_NS6detail17trampoline_kernelINS0_13select_configILj256ELj13ELNS0_17block_load_methodE3ELS4_3ELS4_3ELNS0_20block_scan_algorithmE0ELj4294967295EEENS1_25partition_config_selectorILNS1_17partition_subalgoE4EjNS0_10empty_typeEbEEZZNS1_14partition_implILS8_4ELb0ES6_15HIP_vector_typeIjLj2EENS0_17counting_iteratorIjlEEPS9_SG_NS0_5tupleIJPjSI_NS0_16reverse_iteratorISI_EEEEENSH_IJSG_SG_SG_EEES9_SI_JZNS1_25segmented_radix_sort_implINS0_14default_configELb0EPKiPiPKlPlN2at6native12_GLOBAL__N_18offset_tEEE10hipError_tPvRmT1_PNSt15iterator_traitsIS12_E10value_typeET2_T3_PNS13_IS18_E10value_typeET4_jRbjT5_S1E_jjP12ihipStream_tbEUljE_ZNSN_ISO_Lb0ESQ_SR_ST_SU_SY_EESZ_S10_S11_S12_S16_S17_S18_S1B_S1C_jS1D_jS1E_S1E_jjS1G_bEUljE0_EEESZ_S10_S11_S18_S1C_S1E_T6_T7_T9_mT8_S1G_bDpT10_ENKUlT_T0_E_clISt17integral_constantIbLb0EES1T_IbLb1EEEEDaS1P_S1Q_EUlS1P_E_NS1_11comp_targetILNS1_3genE3ELNS1_11target_archE908ELNS1_3gpuE7ELNS1_3repE0EEENS1_30default_config_static_selectorELNS0_4arch9wavefront6targetE0EEEvS12_
		.amdhsa_group_segment_fixed_size 0
		.amdhsa_private_segment_fixed_size 0
		.amdhsa_kernarg_size 184
		.amdhsa_user_sgpr_count 2
		.amdhsa_user_sgpr_dispatch_ptr 0
		.amdhsa_user_sgpr_queue_ptr 0
		.amdhsa_user_sgpr_kernarg_segment_ptr 1
		.amdhsa_user_sgpr_dispatch_id 0
		.amdhsa_user_sgpr_kernarg_preload_length 0
		.amdhsa_user_sgpr_kernarg_preload_offset 0
		.amdhsa_user_sgpr_private_segment_size 0
		.amdhsa_wavefront_size32 1
		.amdhsa_uses_dynamic_stack 0
		.amdhsa_enable_private_segment 0
		.amdhsa_system_sgpr_workgroup_id_x 1
		.amdhsa_system_sgpr_workgroup_id_y 0
		.amdhsa_system_sgpr_workgroup_id_z 0
		.amdhsa_system_sgpr_workgroup_info 0
		.amdhsa_system_vgpr_workitem_id 0
		.amdhsa_next_free_vgpr 1
		.amdhsa_next_free_sgpr 1
		.amdhsa_named_barrier_count 0
		.amdhsa_reserve_vcc 0
		.amdhsa_float_round_mode_32 0
		.amdhsa_float_round_mode_16_64 0
		.amdhsa_float_denorm_mode_32 3
		.amdhsa_float_denorm_mode_16_64 3
		.amdhsa_fp16_overflow 0
		.amdhsa_memory_ordered 1
		.amdhsa_forward_progress 1
		.amdhsa_inst_pref_size 0
		.amdhsa_round_robin_scheduling 0
		.amdhsa_exception_fp_ieee_invalid_op 0
		.amdhsa_exception_fp_denorm_src 0
		.amdhsa_exception_fp_ieee_div_zero 0
		.amdhsa_exception_fp_ieee_overflow 0
		.amdhsa_exception_fp_ieee_underflow 0
		.amdhsa_exception_fp_ieee_inexact 0
		.amdhsa_exception_int_div_zero 0
	.end_amdhsa_kernel
	.section	.text._ZN7rocprim17ROCPRIM_400000_NS6detail17trampoline_kernelINS0_13select_configILj256ELj13ELNS0_17block_load_methodE3ELS4_3ELS4_3ELNS0_20block_scan_algorithmE0ELj4294967295EEENS1_25partition_config_selectorILNS1_17partition_subalgoE4EjNS0_10empty_typeEbEEZZNS1_14partition_implILS8_4ELb0ES6_15HIP_vector_typeIjLj2EENS0_17counting_iteratorIjlEEPS9_SG_NS0_5tupleIJPjSI_NS0_16reverse_iteratorISI_EEEEENSH_IJSG_SG_SG_EEES9_SI_JZNS1_25segmented_radix_sort_implINS0_14default_configELb0EPKiPiPKlPlN2at6native12_GLOBAL__N_18offset_tEEE10hipError_tPvRmT1_PNSt15iterator_traitsIS12_E10value_typeET2_T3_PNS13_IS18_E10value_typeET4_jRbjT5_S1E_jjP12ihipStream_tbEUljE_ZNSN_ISO_Lb0ESQ_SR_ST_SU_SY_EESZ_S10_S11_S12_S16_S17_S18_S1B_S1C_jS1D_jS1E_S1E_jjS1G_bEUljE0_EEESZ_S10_S11_S18_S1C_S1E_T6_T7_T9_mT8_S1G_bDpT10_ENKUlT_T0_E_clISt17integral_constantIbLb0EES1T_IbLb1EEEEDaS1P_S1Q_EUlS1P_E_NS1_11comp_targetILNS1_3genE3ELNS1_11target_archE908ELNS1_3gpuE7ELNS1_3repE0EEENS1_30default_config_static_selectorELNS0_4arch9wavefront6targetE0EEEvS12_,"axG",@progbits,_ZN7rocprim17ROCPRIM_400000_NS6detail17trampoline_kernelINS0_13select_configILj256ELj13ELNS0_17block_load_methodE3ELS4_3ELS4_3ELNS0_20block_scan_algorithmE0ELj4294967295EEENS1_25partition_config_selectorILNS1_17partition_subalgoE4EjNS0_10empty_typeEbEEZZNS1_14partition_implILS8_4ELb0ES6_15HIP_vector_typeIjLj2EENS0_17counting_iteratorIjlEEPS9_SG_NS0_5tupleIJPjSI_NS0_16reverse_iteratorISI_EEEEENSH_IJSG_SG_SG_EEES9_SI_JZNS1_25segmented_radix_sort_implINS0_14default_configELb0EPKiPiPKlPlN2at6native12_GLOBAL__N_18offset_tEEE10hipError_tPvRmT1_PNSt15iterator_traitsIS12_E10value_typeET2_T3_PNS13_IS18_E10value_typeET4_jRbjT5_S1E_jjP12ihipStream_tbEUljE_ZNSN_ISO_Lb0ESQ_SR_ST_SU_SY_EESZ_S10_S11_S12_S16_S17_S18_S1B_S1C_jS1D_jS1E_S1E_jjS1G_bEUljE0_EEESZ_S10_S11_S18_S1C_S1E_T6_T7_T9_mT8_S1G_bDpT10_ENKUlT_T0_E_clISt17integral_constantIbLb0EES1T_IbLb1EEEEDaS1P_S1Q_EUlS1P_E_NS1_11comp_targetILNS1_3genE3ELNS1_11target_archE908ELNS1_3gpuE7ELNS1_3repE0EEENS1_30default_config_static_selectorELNS0_4arch9wavefront6targetE0EEEvS12_,comdat
.Lfunc_end559:
	.size	_ZN7rocprim17ROCPRIM_400000_NS6detail17trampoline_kernelINS0_13select_configILj256ELj13ELNS0_17block_load_methodE3ELS4_3ELS4_3ELNS0_20block_scan_algorithmE0ELj4294967295EEENS1_25partition_config_selectorILNS1_17partition_subalgoE4EjNS0_10empty_typeEbEEZZNS1_14partition_implILS8_4ELb0ES6_15HIP_vector_typeIjLj2EENS0_17counting_iteratorIjlEEPS9_SG_NS0_5tupleIJPjSI_NS0_16reverse_iteratorISI_EEEEENSH_IJSG_SG_SG_EEES9_SI_JZNS1_25segmented_radix_sort_implINS0_14default_configELb0EPKiPiPKlPlN2at6native12_GLOBAL__N_18offset_tEEE10hipError_tPvRmT1_PNSt15iterator_traitsIS12_E10value_typeET2_T3_PNS13_IS18_E10value_typeET4_jRbjT5_S1E_jjP12ihipStream_tbEUljE_ZNSN_ISO_Lb0ESQ_SR_ST_SU_SY_EESZ_S10_S11_S12_S16_S17_S18_S1B_S1C_jS1D_jS1E_S1E_jjS1G_bEUljE0_EEESZ_S10_S11_S18_S1C_S1E_T6_T7_T9_mT8_S1G_bDpT10_ENKUlT_T0_E_clISt17integral_constantIbLb0EES1T_IbLb1EEEEDaS1P_S1Q_EUlS1P_E_NS1_11comp_targetILNS1_3genE3ELNS1_11target_archE908ELNS1_3gpuE7ELNS1_3repE0EEENS1_30default_config_static_selectorELNS0_4arch9wavefront6targetE0EEEvS12_, .Lfunc_end559-_ZN7rocprim17ROCPRIM_400000_NS6detail17trampoline_kernelINS0_13select_configILj256ELj13ELNS0_17block_load_methodE3ELS4_3ELS4_3ELNS0_20block_scan_algorithmE0ELj4294967295EEENS1_25partition_config_selectorILNS1_17partition_subalgoE4EjNS0_10empty_typeEbEEZZNS1_14partition_implILS8_4ELb0ES6_15HIP_vector_typeIjLj2EENS0_17counting_iteratorIjlEEPS9_SG_NS0_5tupleIJPjSI_NS0_16reverse_iteratorISI_EEEEENSH_IJSG_SG_SG_EEES9_SI_JZNS1_25segmented_radix_sort_implINS0_14default_configELb0EPKiPiPKlPlN2at6native12_GLOBAL__N_18offset_tEEE10hipError_tPvRmT1_PNSt15iterator_traitsIS12_E10value_typeET2_T3_PNS13_IS18_E10value_typeET4_jRbjT5_S1E_jjP12ihipStream_tbEUljE_ZNSN_ISO_Lb0ESQ_SR_ST_SU_SY_EESZ_S10_S11_S12_S16_S17_S18_S1B_S1C_jS1D_jS1E_S1E_jjS1G_bEUljE0_EEESZ_S10_S11_S18_S1C_S1E_T6_T7_T9_mT8_S1G_bDpT10_ENKUlT_T0_E_clISt17integral_constantIbLb0EES1T_IbLb1EEEEDaS1P_S1Q_EUlS1P_E_NS1_11comp_targetILNS1_3genE3ELNS1_11target_archE908ELNS1_3gpuE7ELNS1_3repE0EEENS1_30default_config_static_selectorELNS0_4arch9wavefront6targetE0EEEvS12_
                                        ; -- End function
	.set _ZN7rocprim17ROCPRIM_400000_NS6detail17trampoline_kernelINS0_13select_configILj256ELj13ELNS0_17block_load_methodE3ELS4_3ELS4_3ELNS0_20block_scan_algorithmE0ELj4294967295EEENS1_25partition_config_selectorILNS1_17partition_subalgoE4EjNS0_10empty_typeEbEEZZNS1_14partition_implILS8_4ELb0ES6_15HIP_vector_typeIjLj2EENS0_17counting_iteratorIjlEEPS9_SG_NS0_5tupleIJPjSI_NS0_16reverse_iteratorISI_EEEEENSH_IJSG_SG_SG_EEES9_SI_JZNS1_25segmented_radix_sort_implINS0_14default_configELb0EPKiPiPKlPlN2at6native12_GLOBAL__N_18offset_tEEE10hipError_tPvRmT1_PNSt15iterator_traitsIS12_E10value_typeET2_T3_PNS13_IS18_E10value_typeET4_jRbjT5_S1E_jjP12ihipStream_tbEUljE_ZNSN_ISO_Lb0ESQ_SR_ST_SU_SY_EESZ_S10_S11_S12_S16_S17_S18_S1B_S1C_jS1D_jS1E_S1E_jjS1G_bEUljE0_EEESZ_S10_S11_S18_S1C_S1E_T6_T7_T9_mT8_S1G_bDpT10_ENKUlT_T0_E_clISt17integral_constantIbLb0EES1T_IbLb1EEEEDaS1P_S1Q_EUlS1P_E_NS1_11comp_targetILNS1_3genE3ELNS1_11target_archE908ELNS1_3gpuE7ELNS1_3repE0EEENS1_30default_config_static_selectorELNS0_4arch9wavefront6targetE0EEEvS12_.num_vgpr, 0
	.set _ZN7rocprim17ROCPRIM_400000_NS6detail17trampoline_kernelINS0_13select_configILj256ELj13ELNS0_17block_load_methodE3ELS4_3ELS4_3ELNS0_20block_scan_algorithmE0ELj4294967295EEENS1_25partition_config_selectorILNS1_17partition_subalgoE4EjNS0_10empty_typeEbEEZZNS1_14partition_implILS8_4ELb0ES6_15HIP_vector_typeIjLj2EENS0_17counting_iteratorIjlEEPS9_SG_NS0_5tupleIJPjSI_NS0_16reverse_iteratorISI_EEEEENSH_IJSG_SG_SG_EEES9_SI_JZNS1_25segmented_radix_sort_implINS0_14default_configELb0EPKiPiPKlPlN2at6native12_GLOBAL__N_18offset_tEEE10hipError_tPvRmT1_PNSt15iterator_traitsIS12_E10value_typeET2_T3_PNS13_IS18_E10value_typeET4_jRbjT5_S1E_jjP12ihipStream_tbEUljE_ZNSN_ISO_Lb0ESQ_SR_ST_SU_SY_EESZ_S10_S11_S12_S16_S17_S18_S1B_S1C_jS1D_jS1E_S1E_jjS1G_bEUljE0_EEESZ_S10_S11_S18_S1C_S1E_T6_T7_T9_mT8_S1G_bDpT10_ENKUlT_T0_E_clISt17integral_constantIbLb0EES1T_IbLb1EEEEDaS1P_S1Q_EUlS1P_E_NS1_11comp_targetILNS1_3genE3ELNS1_11target_archE908ELNS1_3gpuE7ELNS1_3repE0EEENS1_30default_config_static_selectorELNS0_4arch9wavefront6targetE0EEEvS12_.num_agpr, 0
	.set _ZN7rocprim17ROCPRIM_400000_NS6detail17trampoline_kernelINS0_13select_configILj256ELj13ELNS0_17block_load_methodE3ELS4_3ELS4_3ELNS0_20block_scan_algorithmE0ELj4294967295EEENS1_25partition_config_selectorILNS1_17partition_subalgoE4EjNS0_10empty_typeEbEEZZNS1_14partition_implILS8_4ELb0ES6_15HIP_vector_typeIjLj2EENS0_17counting_iteratorIjlEEPS9_SG_NS0_5tupleIJPjSI_NS0_16reverse_iteratorISI_EEEEENSH_IJSG_SG_SG_EEES9_SI_JZNS1_25segmented_radix_sort_implINS0_14default_configELb0EPKiPiPKlPlN2at6native12_GLOBAL__N_18offset_tEEE10hipError_tPvRmT1_PNSt15iterator_traitsIS12_E10value_typeET2_T3_PNS13_IS18_E10value_typeET4_jRbjT5_S1E_jjP12ihipStream_tbEUljE_ZNSN_ISO_Lb0ESQ_SR_ST_SU_SY_EESZ_S10_S11_S12_S16_S17_S18_S1B_S1C_jS1D_jS1E_S1E_jjS1G_bEUljE0_EEESZ_S10_S11_S18_S1C_S1E_T6_T7_T9_mT8_S1G_bDpT10_ENKUlT_T0_E_clISt17integral_constantIbLb0EES1T_IbLb1EEEEDaS1P_S1Q_EUlS1P_E_NS1_11comp_targetILNS1_3genE3ELNS1_11target_archE908ELNS1_3gpuE7ELNS1_3repE0EEENS1_30default_config_static_selectorELNS0_4arch9wavefront6targetE0EEEvS12_.numbered_sgpr, 0
	.set _ZN7rocprim17ROCPRIM_400000_NS6detail17trampoline_kernelINS0_13select_configILj256ELj13ELNS0_17block_load_methodE3ELS4_3ELS4_3ELNS0_20block_scan_algorithmE0ELj4294967295EEENS1_25partition_config_selectorILNS1_17partition_subalgoE4EjNS0_10empty_typeEbEEZZNS1_14partition_implILS8_4ELb0ES6_15HIP_vector_typeIjLj2EENS0_17counting_iteratorIjlEEPS9_SG_NS0_5tupleIJPjSI_NS0_16reverse_iteratorISI_EEEEENSH_IJSG_SG_SG_EEES9_SI_JZNS1_25segmented_radix_sort_implINS0_14default_configELb0EPKiPiPKlPlN2at6native12_GLOBAL__N_18offset_tEEE10hipError_tPvRmT1_PNSt15iterator_traitsIS12_E10value_typeET2_T3_PNS13_IS18_E10value_typeET4_jRbjT5_S1E_jjP12ihipStream_tbEUljE_ZNSN_ISO_Lb0ESQ_SR_ST_SU_SY_EESZ_S10_S11_S12_S16_S17_S18_S1B_S1C_jS1D_jS1E_S1E_jjS1G_bEUljE0_EEESZ_S10_S11_S18_S1C_S1E_T6_T7_T9_mT8_S1G_bDpT10_ENKUlT_T0_E_clISt17integral_constantIbLb0EES1T_IbLb1EEEEDaS1P_S1Q_EUlS1P_E_NS1_11comp_targetILNS1_3genE3ELNS1_11target_archE908ELNS1_3gpuE7ELNS1_3repE0EEENS1_30default_config_static_selectorELNS0_4arch9wavefront6targetE0EEEvS12_.num_named_barrier, 0
	.set _ZN7rocprim17ROCPRIM_400000_NS6detail17trampoline_kernelINS0_13select_configILj256ELj13ELNS0_17block_load_methodE3ELS4_3ELS4_3ELNS0_20block_scan_algorithmE0ELj4294967295EEENS1_25partition_config_selectorILNS1_17partition_subalgoE4EjNS0_10empty_typeEbEEZZNS1_14partition_implILS8_4ELb0ES6_15HIP_vector_typeIjLj2EENS0_17counting_iteratorIjlEEPS9_SG_NS0_5tupleIJPjSI_NS0_16reverse_iteratorISI_EEEEENSH_IJSG_SG_SG_EEES9_SI_JZNS1_25segmented_radix_sort_implINS0_14default_configELb0EPKiPiPKlPlN2at6native12_GLOBAL__N_18offset_tEEE10hipError_tPvRmT1_PNSt15iterator_traitsIS12_E10value_typeET2_T3_PNS13_IS18_E10value_typeET4_jRbjT5_S1E_jjP12ihipStream_tbEUljE_ZNSN_ISO_Lb0ESQ_SR_ST_SU_SY_EESZ_S10_S11_S12_S16_S17_S18_S1B_S1C_jS1D_jS1E_S1E_jjS1G_bEUljE0_EEESZ_S10_S11_S18_S1C_S1E_T6_T7_T9_mT8_S1G_bDpT10_ENKUlT_T0_E_clISt17integral_constantIbLb0EES1T_IbLb1EEEEDaS1P_S1Q_EUlS1P_E_NS1_11comp_targetILNS1_3genE3ELNS1_11target_archE908ELNS1_3gpuE7ELNS1_3repE0EEENS1_30default_config_static_selectorELNS0_4arch9wavefront6targetE0EEEvS12_.private_seg_size, 0
	.set _ZN7rocprim17ROCPRIM_400000_NS6detail17trampoline_kernelINS0_13select_configILj256ELj13ELNS0_17block_load_methodE3ELS4_3ELS4_3ELNS0_20block_scan_algorithmE0ELj4294967295EEENS1_25partition_config_selectorILNS1_17partition_subalgoE4EjNS0_10empty_typeEbEEZZNS1_14partition_implILS8_4ELb0ES6_15HIP_vector_typeIjLj2EENS0_17counting_iteratorIjlEEPS9_SG_NS0_5tupleIJPjSI_NS0_16reverse_iteratorISI_EEEEENSH_IJSG_SG_SG_EEES9_SI_JZNS1_25segmented_radix_sort_implINS0_14default_configELb0EPKiPiPKlPlN2at6native12_GLOBAL__N_18offset_tEEE10hipError_tPvRmT1_PNSt15iterator_traitsIS12_E10value_typeET2_T3_PNS13_IS18_E10value_typeET4_jRbjT5_S1E_jjP12ihipStream_tbEUljE_ZNSN_ISO_Lb0ESQ_SR_ST_SU_SY_EESZ_S10_S11_S12_S16_S17_S18_S1B_S1C_jS1D_jS1E_S1E_jjS1G_bEUljE0_EEESZ_S10_S11_S18_S1C_S1E_T6_T7_T9_mT8_S1G_bDpT10_ENKUlT_T0_E_clISt17integral_constantIbLb0EES1T_IbLb1EEEEDaS1P_S1Q_EUlS1P_E_NS1_11comp_targetILNS1_3genE3ELNS1_11target_archE908ELNS1_3gpuE7ELNS1_3repE0EEENS1_30default_config_static_selectorELNS0_4arch9wavefront6targetE0EEEvS12_.uses_vcc, 0
	.set _ZN7rocprim17ROCPRIM_400000_NS6detail17trampoline_kernelINS0_13select_configILj256ELj13ELNS0_17block_load_methodE3ELS4_3ELS4_3ELNS0_20block_scan_algorithmE0ELj4294967295EEENS1_25partition_config_selectorILNS1_17partition_subalgoE4EjNS0_10empty_typeEbEEZZNS1_14partition_implILS8_4ELb0ES6_15HIP_vector_typeIjLj2EENS0_17counting_iteratorIjlEEPS9_SG_NS0_5tupleIJPjSI_NS0_16reverse_iteratorISI_EEEEENSH_IJSG_SG_SG_EEES9_SI_JZNS1_25segmented_radix_sort_implINS0_14default_configELb0EPKiPiPKlPlN2at6native12_GLOBAL__N_18offset_tEEE10hipError_tPvRmT1_PNSt15iterator_traitsIS12_E10value_typeET2_T3_PNS13_IS18_E10value_typeET4_jRbjT5_S1E_jjP12ihipStream_tbEUljE_ZNSN_ISO_Lb0ESQ_SR_ST_SU_SY_EESZ_S10_S11_S12_S16_S17_S18_S1B_S1C_jS1D_jS1E_S1E_jjS1G_bEUljE0_EEESZ_S10_S11_S18_S1C_S1E_T6_T7_T9_mT8_S1G_bDpT10_ENKUlT_T0_E_clISt17integral_constantIbLb0EES1T_IbLb1EEEEDaS1P_S1Q_EUlS1P_E_NS1_11comp_targetILNS1_3genE3ELNS1_11target_archE908ELNS1_3gpuE7ELNS1_3repE0EEENS1_30default_config_static_selectorELNS0_4arch9wavefront6targetE0EEEvS12_.uses_flat_scratch, 0
	.set _ZN7rocprim17ROCPRIM_400000_NS6detail17trampoline_kernelINS0_13select_configILj256ELj13ELNS0_17block_load_methodE3ELS4_3ELS4_3ELNS0_20block_scan_algorithmE0ELj4294967295EEENS1_25partition_config_selectorILNS1_17partition_subalgoE4EjNS0_10empty_typeEbEEZZNS1_14partition_implILS8_4ELb0ES6_15HIP_vector_typeIjLj2EENS0_17counting_iteratorIjlEEPS9_SG_NS0_5tupleIJPjSI_NS0_16reverse_iteratorISI_EEEEENSH_IJSG_SG_SG_EEES9_SI_JZNS1_25segmented_radix_sort_implINS0_14default_configELb0EPKiPiPKlPlN2at6native12_GLOBAL__N_18offset_tEEE10hipError_tPvRmT1_PNSt15iterator_traitsIS12_E10value_typeET2_T3_PNS13_IS18_E10value_typeET4_jRbjT5_S1E_jjP12ihipStream_tbEUljE_ZNSN_ISO_Lb0ESQ_SR_ST_SU_SY_EESZ_S10_S11_S12_S16_S17_S18_S1B_S1C_jS1D_jS1E_S1E_jjS1G_bEUljE0_EEESZ_S10_S11_S18_S1C_S1E_T6_T7_T9_mT8_S1G_bDpT10_ENKUlT_T0_E_clISt17integral_constantIbLb0EES1T_IbLb1EEEEDaS1P_S1Q_EUlS1P_E_NS1_11comp_targetILNS1_3genE3ELNS1_11target_archE908ELNS1_3gpuE7ELNS1_3repE0EEENS1_30default_config_static_selectorELNS0_4arch9wavefront6targetE0EEEvS12_.has_dyn_sized_stack, 0
	.set _ZN7rocprim17ROCPRIM_400000_NS6detail17trampoline_kernelINS0_13select_configILj256ELj13ELNS0_17block_load_methodE3ELS4_3ELS4_3ELNS0_20block_scan_algorithmE0ELj4294967295EEENS1_25partition_config_selectorILNS1_17partition_subalgoE4EjNS0_10empty_typeEbEEZZNS1_14partition_implILS8_4ELb0ES6_15HIP_vector_typeIjLj2EENS0_17counting_iteratorIjlEEPS9_SG_NS0_5tupleIJPjSI_NS0_16reverse_iteratorISI_EEEEENSH_IJSG_SG_SG_EEES9_SI_JZNS1_25segmented_radix_sort_implINS0_14default_configELb0EPKiPiPKlPlN2at6native12_GLOBAL__N_18offset_tEEE10hipError_tPvRmT1_PNSt15iterator_traitsIS12_E10value_typeET2_T3_PNS13_IS18_E10value_typeET4_jRbjT5_S1E_jjP12ihipStream_tbEUljE_ZNSN_ISO_Lb0ESQ_SR_ST_SU_SY_EESZ_S10_S11_S12_S16_S17_S18_S1B_S1C_jS1D_jS1E_S1E_jjS1G_bEUljE0_EEESZ_S10_S11_S18_S1C_S1E_T6_T7_T9_mT8_S1G_bDpT10_ENKUlT_T0_E_clISt17integral_constantIbLb0EES1T_IbLb1EEEEDaS1P_S1Q_EUlS1P_E_NS1_11comp_targetILNS1_3genE3ELNS1_11target_archE908ELNS1_3gpuE7ELNS1_3repE0EEENS1_30default_config_static_selectorELNS0_4arch9wavefront6targetE0EEEvS12_.has_recursion, 0
	.set _ZN7rocprim17ROCPRIM_400000_NS6detail17trampoline_kernelINS0_13select_configILj256ELj13ELNS0_17block_load_methodE3ELS4_3ELS4_3ELNS0_20block_scan_algorithmE0ELj4294967295EEENS1_25partition_config_selectorILNS1_17partition_subalgoE4EjNS0_10empty_typeEbEEZZNS1_14partition_implILS8_4ELb0ES6_15HIP_vector_typeIjLj2EENS0_17counting_iteratorIjlEEPS9_SG_NS0_5tupleIJPjSI_NS0_16reverse_iteratorISI_EEEEENSH_IJSG_SG_SG_EEES9_SI_JZNS1_25segmented_radix_sort_implINS0_14default_configELb0EPKiPiPKlPlN2at6native12_GLOBAL__N_18offset_tEEE10hipError_tPvRmT1_PNSt15iterator_traitsIS12_E10value_typeET2_T3_PNS13_IS18_E10value_typeET4_jRbjT5_S1E_jjP12ihipStream_tbEUljE_ZNSN_ISO_Lb0ESQ_SR_ST_SU_SY_EESZ_S10_S11_S12_S16_S17_S18_S1B_S1C_jS1D_jS1E_S1E_jjS1G_bEUljE0_EEESZ_S10_S11_S18_S1C_S1E_T6_T7_T9_mT8_S1G_bDpT10_ENKUlT_T0_E_clISt17integral_constantIbLb0EES1T_IbLb1EEEEDaS1P_S1Q_EUlS1P_E_NS1_11comp_targetILNS1_3genE3ELNS1_11target_archE908ELNS1_3gpuE7ELNS1_3repE0EEENS1_30default_config_static_selectorELNS0_4arch9wavefront6targetE0EEEvS12_.has_indirect_call, 0
	.section	.AMDGPU.csdata,"",@progbits
; Kernel info:
; codeLenInByte = 0
; TotalNumSgprs: 0
; NumVgprs: 0
; ScratchSize: 0
; MemoryBound: 0
; FloatMode: 240
; IeeeMode: 1
; LDSByteSize: 0 bytes/workgroup (compile time only)
; SGPRBlocks: 0
; VGPRBlocks: 0
; NumSGPRsForWavesPerEU: 1
; NumVGPRsForWavesPerEU: 1
; NamedBarCnt: 0
; Occupancy: 16
; WaveLimiterHint : 0
; COMPUTE_PGM_RSRC2:SCRATCH_EN: 0
; COMPUTE_PGM_RSRC2:USER_SGPR: 2
; COMPUTE_PGM_RSRC2:TRAP_HANDLER: 0
; COMPUTE_PGM_RSRC2:TGID_X_EN: 1
; COMPUTE_PGM_RSRC2:TGID_Y_EN: 0
; COMPUTE_PGM_RSRC2:TGID_Z_EN: 0
; COMPUTE_PGM_RSRC2:TIDIG_COMP_CNT: 0
	.section	.text._ZN7rocprim17ROCPRIM_400000_NS6detail17trampoline_kernelINS0_13select_configILj256ELj13ELNS0_17block_load_methodE3ELS4_3ELS4_3ELNS0_20block_scan_algorithmE0ELj4294967295EEENS1_25partition_config_selectorILNS1_17partition_subalgoE4EjNS0_10empty_typeEbEEZZNS1_14partition_implILS8_4ELb0ES6_15HIP_vector_typeIjLj2EENS0_17counting_iteratorIjlEEPS9_SG_NS0_5tupleIJPjSI_NS0_16reverse_iteratorISI_EEEEENSH_IJSG_SG_SG_EEES9_SI_JZNS1_25segmented_radix_sort_implINS0_14default_configELb0EPKiPiPKlPlN2at6native12_GLOBAL__N_18offset_tEEE10hipError_tPvRmT1_PNSt15iterator_traitsIS12_E10value_typeET2_T3_PNS13_IS18_E10value_typeET4_jRbjT5_S1E_jjP12ihipStream_tbEUljE_ZNSN_ISO_Lb0ESQ_SR_ST_SU_SY_EESZ_S10_S11_S12_S16_S17_S18_S1B_S1C_jS1D_jS1E_S1E_jjS1G_bEUljE0_EEESZ_S10_S11_S18_S1C_S1E_T6_T7_T9_mT8_S1G_bDpT10_ENKUlT_T0_E_clISt17integral_constantIbLb0EES1T_IbLb1EEEEDaS1P_S1Q_EUlS1P_E_NS1_11comp_targetILNS1_3genE2ELNS1_11target_archE906ELNS1_3gpuE6ELNS1_3repE0EEENS1_30default_config_static_selectorELNS0_4arch9wavefront6targetE0EEEvS12_,"axG",@progbits,_ZN7rocprim17ROCPRIM_400000_NS6detail17trampoline_kernelINS0_13select_configILj256ELj13ELNS0_17block_load_methodE3ELS4_3ELS4_3ELNS0_20block_scan_algorithmE0ELj4294967295EEENS1_25partition_config_selectorILNS1_17partition_subalgoE4EjNS0_10empty_typeEbEEZZNS1_14partition_implILS8_4ELb0ES6_15HIP_vector_typeIjLj2EENS0_17counting_iteratorIjlEEPS9_SG_NS0_5tupleIJPjSI_NS0_16reverse_iteratorISI_EEEEENSH_IJSG_SG_SG_EEES9_SI_JZNS1_25segmented_radix_sort_implINS0_14default_configELb0EPKiPiPKlPlN2at6native12_GLOBAL__N_18offset_tEEE10hipError_tPvRmT1_PNSt15iterator_traitsIS12_E10value_typeET2_T3_PNS13_IS18_E10value_typeET4_jRbjT5_S1E_jjP12ihipStream_tbEUljE_ZNSN_ISO_Lb0ESQ_SR_ST_SU_SY_EESZ_S10_S11_S12_S16_S17_S18_S1B_S1C_jS1D_jS1E_S1E_jjS1G_bEUljE0_EEESZ_S10_S11_S18_S1C_S1E_T6_T7_T9_mT8_S1G_bDpT10_ENKUlT_T0_E_clISt17integral_constantIbLb0EES1T_IbLb1EEEEDaS1P_S1Q_EUlS1P_E_NS1_11comp_targetILNS1_3genE2ELNS1_11target_archE906ELNS1_3gpuE6ELNS1_3repE0EEENS1_30default_config_static_selectorELNS0_4arch9wavefront6targetE0EEEvS12_,comdat
	.globl	_ZN7rocprim17ROCPRIM_400000_NS6detail17trampoline_kernelINS0_13select_configILj256ELj13ELNS0_17block_load_methodE3ELS4_3ELS4_3ELNS0_20block_scan_algorithmE0ELj4294967295EEENS1_25partition_config_selectorILNS1_17partition_subalgoE4EjNS0_10empty_typeEbEEZZNS1_14partition_implILS8_4ELb0ES6_15HIP_vector_typeIjLj2EENS0_17counting_iteratorIjlEEPS9_SG_NS0_5tupleIJPjSI_NS0_16reverse_iteratorISI_EEEEENSH_IJSG_SG_SG_EEES9_SI_JZNS1_25segmented_radix_sort_implINS0_14default_configELb0EPKiPiPKlPlN2at6native12_GLOBAL__N_18offset_tEEE10hipError_tPvRmT1_PNSt15iterator_traitsIS12_E10value_typeET2_T3_PNS13_IS18_E10value_typeET4_jRbjT5_S1E_jjP12ihipStream_tbEUljE_ZNSN_ISO_Lb0ESQ_SR_ST_SU_SY_EESZ_S10_S11_S12_S16_S17_S18_S1B_S1C_jS1D_jS1E_S1E_jjS1G_bEUljE0_EEESZ_S10_S11_S18_S1C_S1E_T6_T7_T9_mT8_S1G_bDpT10_ENKUlT_T0_E_clISt17integral_constantIbLb0EES1T_IbLb1EEEEDaS1P_S1Q_EUlS1P_E_NS1_11comp_targetILNS1_3genE2ELNS1_11target_archE906ELNS1_3gpuE6ELNS1_3repE0EEENS1_30default_config_static_selectorELNS0_4arch9wavefront6targetE0EEEvS12_ ; -- Begin function _ZN7rocprim17ROCPRIM_400000_NS6detail17trampoline_kernelINS0_13select_configILj256ELj13ELNS0_17block_load_methodE3ELS4_3ELS4_3ELNS0_20block_scan_algorithmE0ELj4294967295EEENS1_25partition_config_selectorILNS1_17partition_subalgoE4EjNS0_10empty_typeEbEEZZNS1_14partition_implILS8_4ELb0ES6_15HIP_vector_typeIjLj2EENS0_17counting_iteratorIjlEEPS9_SG_NS0_5tupleIJPjSI_NS0_16reverse_iteratorISI_EEEEENSH_IJSG_SG_SG_EEES9_SI_JZNS1_25segmented_radix_sort_implINS0_14default_configELb0EPKiPiPKlPlN2at6native12_GLOBAL__N_18offset_tEEE10hipError_tPvRmT1_PNSt15iterator_traitsIS12_E10value_typeET2_T3_PNS13_IS18_E10value_typeET4_jRbjT5_S1E_jjP12ihipStream_tbEUljE_ZNSN_ISO_Lb0ESQ_SR_ST_SU_SY_EESZ_S10_S11_S12_S16_S17_S18_S1B_S1C_jS1D_jS1E_S1E_jjS1G_bEUljE0_EEESZ_S10_S11_S18_S1C_S1E_T6_T7_T9_mT8_S1G_bDpT10_ENKUlT_T0_E_clISt17integral_constantIbLb0EES1T_IbLb1EEEEDaS1P_S1Q_EUlS1P_E_NS1_11comp_targetILNS1_3genE2ELNS1_11target_archE906ELNS1_3gpuE6ELNS1_3repE0EEENS1_30default_config_static_selectorELNS0_4arch9wavefront6targetE0EEEvS12_
	.p2align	8
	.type	_ZN7rocprim17ROCPRIM_400000_NS6detail17trampoline_kernelINS0_13select_configILj256ELj13ELNS0_17block_load_methodE3ELS4_3ELS4_3ELNS0_20block_scan_algorithmE0ELj4294967295EEENS1_25partition_config_selectorILNS1_17partition_subalgoE4EjNS0_10empty_typeEbEEZZNS1_14partition_implILS8_4ELb0ES6_15HIP_vector_typeIjLj2EENS0_17counting_iteratorIjlEEPS9_SG_NS0_5tupleIJPjSI_NS0_16reverse_iteratorISI_EEEEENSH_IJSG_SG_SG_EEES9_SI_JZNS1_25segmented_radix_sort_implINS0_14default_configELb0EPKiPiPKlPlN2at6native12_GLOBAL__N_18offset_tEEE10hipError_tPvRmT1_PNSt15iterator_traitsIS12_E10value_typeET2_T3_PNS13_IS18_E10value_typeET4_jRbjT5_S1E_jjP12ihipStream_tbEUljE_ZNSN_ISO_Lb0ESQ_SR_ST_SU_SY_EESZ_S10_S11_S12_S16_S17_S18_S1B_S1C_jS1D_jS1E_S1E_jjS1G_bEUljE0_EEESZ_S10_S11_S18_S1C_S1E_T6_T7_T9_mT8_S1G_bDpT10_ENKUlT_T0_E_clISt17integral_constantIbLb0EES1T_IbLb1EEEEDaS1P_S1Q_EUlS1P_E_NS1_11comp_targetILNS1_3genE2ELNS1_11target_archE906ELNS1_3gpuE6ELNS1_3repE0EEENS1_30default_config_static_selectorELNS0_4arch9wavefront6targetE0EEEvS12_,@function
_ZN7rocprim17ROCPRIM_400000_NS6detail17trampoline_kernelINS0_13select_configILj256ELj13ELNS0_17block_load_methodE3ELS4_3ELS4_3ELNS0_20block_scan_algorithmE0ELj4294967295EEENS1_25partition_config_selectorILNS1_17partition_subalgoE4EjNS0_10empty_typeEbEEZZNS1_14partition_implILS8_4ELb0ES6_15HIP_vector_typeIjLj2EENS0_17counting_iteratorIjlEEPS9_SG_NS0_5tupleIJPjSI_NS0_16reverse_iteratorISI_EEEEENSH_IJSG_SG_SG_EEES9_SI_JZNS1_25segmented_radix_sort_implINS0_14default_configELb0EPKiPiPKlPlN2at6native12_GLOBAL__N_18offset_tEEE10hipError_tPvRmT1_PNSt15iterator_traitsIS12_E10value_typeET2_T3_PNS13_IS18_E10value_typeET4_jRbjT5_S1E_jjP12ihipStream_tbEUljE_ZNSN_ISO_Lb0ESQ_SR_ST_SU_SY_EESZ_S10_S11_S12_S16_S17_S18_S1B_S1C_jS1D_jS1E_S1E_jjS1G_bEUljE0_EEESZ_S10_S11_S18_S1C_S1E_T6_T7_T9_mT8_S1G_bDpT10_ENKUlT_T0_E_clISt17integral_constantIbLb0EES1T_IbLb1EEEEDaS1P_S1Q_EUlS1P_E_NS1_11comp_targetILNS1_3genE2ELNS1_11target_archE906ELNS1_3gpuE6ELNS1_3repE0EEENS1_30default_config_static_selectorELNS0_4arch9wavefront6targetE0EEEvS12_: ; @_ZN7rocprim17ROCPRIM_400000_NS6detail17trampoline_kernelINS0_13select_configILj256ELj13ELNS0_17block_load_methodE3ELS4_3ELS4_3ELNS0_20block_scan_algorithmE0ELj4294967295EEENS1_25partition_config_selectorILNS1_17partition_subalgoE4EjNS0_10empty_typeEbEEZZNS1_14partition_implILS8_4ELb0ES6_15HIP_vector_typeIjLj2EENS0_17counting_iteratorIjlEEPS9_SG_NS0_5tupleIJPjSI_NS0_16reverse_iteratorISI_EEEEENSH_IJSG_SG_SG_EEES9_SI_JZNS1_25segmented_radix_sort_implINS0_14default_configELb0EPKiPiPKlPlN2at6native12_GLOBAL__N_18offset_tEEE10hipError_tPvRmT1_PNSt15iterator_traitsIS12_E10value_typeET2_T3_PNS13_IS18_E10value_typeET4_jRbjT5_S1E_jjP12ihipStream_tbEUljE_ZNSN_ISO_Lb0ESQ_SR_ST_SU_SY_EESZ_S10_S11_S12_S16_S17_S18_S1B_S1C_jS1D_jS1E_S1E_jjS1G_bEUljE0_EEESZ_S10_S11_S18_S1C_S1E_T6_T7_T9_mT8_S1G_bDpT10_ENKUlT_T0_E_clISt17integral_constantIbLb0EES1T_IbLb1EEEEDaS1P_S1Q_EUlS1P_E_NS1_11comp_targetILNS1_3genE2ELNS1_11target_archE906ELNS1_3gpuE6ELNS1_3repE0EEENS1_30default_config_static_selectorELNS0_4arch9wavefront6targetE0EEEvS12_
; %bb.0:
	.section	.rodata,"a",@progbits
	.p2align	6, 0x0
	.amdhsa_kernel _ZN7rocprim17ROCPRIM_400000_NS6detail17trampoline_kernelINS0_13select_configILj256ELj13ELNS0_17block_load_methodE3ELS4_3ELS4_3ELNS0_20block_scan_algorithmE0ELj4294967295EEENS1_25partition_config_selectorILNS1_17partition_subalgoE4EjNS0_10empty_typeEbEEZZNS1_14partition_implILS8_4ELb0ES6_15HIP_vector_typeIjLj2EENS0_17counting_iteratorIjlEEPS9_SG_NS0_5tupleIJPjSI_NS0_16reverse_iteratorISI_EEEEENSH_IJSG_SG_SG_EEES9_SI_JZNS1_25segmented_radix_sort_implINS0_14default_configELb0EPKiPiPKlPlN2at6native12_GLOBAL__N_18offset_tEEE10hipError_tPvRmT1_PNSt15iterator_traitsIS12_E10value_typeET2_T3_PNS13_IS18_E10value_typeET4_jRbjT5_S1E_jjP12ihipStream_tbEUljE_ZNSN_ISO_Lb0ESQ_SR_ST_SU_SY_EESZ_S10_S11_S12_S16_S17_S18_S1B_S1C_jS1D_jS1E_S1E_jjS1G_bEUljE0_EEESZ_S10_S11_S18_S1C_S1E_T6_T7_T9_mT8_S1G_bDpT10_ENKUlT_T0_E_clISt17integral_constantIbLb0EES1T_IbLb1EEEEDaS1P_S1Q_EUlS1P_E_NS1_11comp_targetILNS1_3genE2ELNS1_11target_archE906ELNS1_3gpuE6ELNS1_3repE0EEENS1_30default_config_static_selectorELNS0_4arch9wavefront6targetE0EEEvS12_
		.amdhsa_group_segment_fixed_size 0
		.amdhsa_private_segment_fixed_size 0
		.amdhsa_kernarg_size 184
		.amdhsa_user_sgpr_count 2
		.amdhsa_user_sgpr_dispatch_ptr 0
		.amdhsa_user_sgpr_queue_ptr 0
		.amdhsa_user_sgpr_kernarg_segment_ptr 1
		.amdhsa_user_sgpr_dispatch_id 0
		.amdhsa_user_sgpr_kernarg_preload_length 0
		.amdhsa_user_sgpr_kernarg_preload_offset 0
		.amdhsa_user_sgpr_private_segment_size 0
		.amdhsa_wavefront_size32 1
		.amdhsa_uses_dynamic_stack 0
		.amdhsa_enable_private_segment 0
		.amdhsa_system_sgpr_workgroup_id_x 1
		.amdhsa_system_sgpr_workgroup_id_y 0
		.amdhsa_system_sgpr_workgroup_id_z 0
		.amdhsa_system_sgpr_workgroup_info 0
		.amdhsa_system_vgpr_workitem_id 0
		.amdhsa_next_free_vgpr 1
		.amdhsa_next_free_sgpr 1
		.amdhsa_named_barrier_count 0
		.amdhsa_reserve_vcc 0
		.amdhsa_float_round_mode_32 0
		.amdhsa_float_round_mode_16_64 0
		.amdhsa_float_denorm_mode_32 3
		.amdhsa_float_denorm_mode_16_64 3
		.amdhsa_fp16_overflow 0
		.amdhsa_memory_ordered 1
		.amdhsa_forward_progress 1
		.amdhsa_inst_pref_size 0
		.amdhsa_round_robin_scheduling 0
		.amdhsa_exception_fp_ieee_invalid_op 0
		.amdhsa_exception_fp_denorm_src 0
		.amdhsa_exception_fp_ieee_div_zero 0
		.amdhsa_exception_fp_ieee_overflow 0
		.amdhsa_exception_fp_ieee_underflow 0
		.amdhsa_exception_fp_ieee_inexact 0
		.amdhsa_exception_int_div_zero 0
	.end_amdhsa_kernel
	.section	.text._ZN7rocprim17ROCPRIM_400000_NS6detail17trampoline_kernelINS0_13select_configILj256ELj13ELNS0_17block_load_methodE3ELS4_3ELS4_3ELNS0_20block_scan_algorithmE0ELj4294967295EEENS1_25partition_config_selectorILNS1_17partition_subalgoE4EjNS0_10empty_typeEbEEZZNS1_14partition_implILS8_4ELb0ES6_15HIP_vector_typeIjLj2EENS0_17counting_iteratorIjlEEPS9_SG_NS0_5tupleIJPjSI_NS0_16reverse_iteratorISI_EEEEENSH_IJSG_SG_SG_EEES9_SI_JZNS1_25segmented_radix_sort_implINS0_14default_configELb0EPKiPiPKlPlN2at6native12_GLOBAL__N_18offset_tEEE10hipError_tPvRmT1_PNSt15iterator_traitsIS12_E10value_typeET2_T3_PNS13_IS18_E10value_typeET4_jRbjT5_S1E_jjP12ihipStream_tbEUljE_ZNSN_ISO_Lb0ESQ_SR_ST_SU_SY_EESZ_S10_S11_S12_S16_S17_S18_S1B_S1C_jS1D_jS1E_S1E_jjS1G_bEUljE0_EEESZ_S10_S11_S18_S1C_S1E_T6_T7_T9_mT8_S1G_bDpT10_ENKUlT_T0_E_clISt17integral_constantIbLb0EES1T_IbLb1EEEEDaS1P_S1Q_EUlS1P_E_NS1_11comp_targetILNS1_3genE2ELNS1_11target_archE906ELNS1_3gpuE6ELNS1_3repE0EEENS1_30default_config_static_selectorELNS0_4arch9wavefront6targetE0EEEvS12_,"axG",@progbits,_ZN7rocprim17ROCPRIM_400000_NS6detail17trampoline_kernelINS0_13select_configILj256ELj13ELNS0_17block_load_methodE3ELS4_3ELS4_3ELNS0_20block_scan_algorithmE0ELj4294967295EEENS1_25partition_config_selectorILNS1_17partition_subalgoE4EjNS0_10empty_typeEbEEZZNS1_14partition_implILS8_4ELb0ES6_15HIP_vector_typeIjLj2EENS0_17counting_iteratorIjlEEPS9_SG_NS0_5tupleIJPjSI_NS0_16reverse_iteratorISI_EEEEENSH_IJSG_SG_SG_EEES9_SI_JZNS1_25segmented_radix_sort_implINS0_14default_configELb0EPKiPiPKlPlN2at6native12_GLOBAL__N_18offset_tEEE10hipError_tPvRmT1_PNSt15iterator_traitsIS12_E10value_typeET2_T3_PNS13_IS18_E10value_typeET4_jRbjT5_S1E_jjP12ihipStream_tbEUljE_ZNSN_ISO_Lb0ESQ_SR_ST_SU_SY_EESZ_S10_S11_S12_S16_S17_S18_S1B_S1C_jS1D_jS1E_S1E_jjS1G_bEUljE0_EEESZ_S10_S11_S18_S1C_S1E_T6_T7_T9_mT8_S1G_bDpT10_ENKUlT_T0_E_clISt17integral_constantIbLb0EES1T_IbLb1EEEEDaS1P_S1Q_EUlS1P_E_NS1_11comp_targetILNS1_3genE2ELNS1_11target_archE906ELNS1_3gpuE6ELNS1_3repE0EEENS1_30default_config_static_selectorELNS0_4arch9wavefront6targetE0EEEvS12_,comdat
.Lfunc_end560:
	.size	_ZN7rocprim17ROCPRIM_400000_NS6detail17trampoline_kernelINS0_13select_configILj256ELj13ELNS0_17block_load_methodE3ELS4_3ELS4_3ELNS0_20block_scan_algorithmE0ELj4294967295EEENS1_25partition_config_selectorILNS1_17partition_subalgoE4EjNS0_10empty_typeEbEEZZNS1_14partition_implILS8_4ELb0ES6_15HIP_vector_typeIjLj2EENS0_17counting_iteratorIjlEEPS9_SG_NS0_5tupleIJPjSI_NS0_16reverse_iteratorISI_EEEEENSH_IJSG_SG_SG_EEES9_SI_JZNS1_25segmented_radix_sort_implINS0_14default_configELb0EPKiPiPKlPlN2at6native12_GLOBAL__N_18offset_tEEE10hipError_tPvRmT1_PNSt15iterator_traitsIS12_E10value_typeET2_T3_PNS13_IS18_E10value_typeET4_jRbjT5_S1E_jjP12ihipStream_tbEUljE_ZNSN_ISO_Lb0ESQ_SR_ST_SU_SY_EESZ_S10_S11_S12_S16_S17_S18_S1B_S1C_jS1D_jS1E_S1E_jjS1G_bEUljE0_EEESZ_S10_S11_S18_S1C_S1E_T6_T7_T9_mT8_S1G_bDpT10_ENKUlT_T0_E_clISt17integral_constantIbLb0EES1T_IbLb1EEEEDaS1P_S1Q_EUlS1P_E_NS1_11comp_targetILNS1_3genE2ELNS1_11target_archE906ELNS1_3gpuE6ELNS1_3repE0EEENS1_30default_config_static_selectorELNS0_4arch9wavefront6targetE0EEEvS12_, .Lfunc_end560-_ZN7rocprim17ROCPRIM_400000_NS6detail17trampoline_kernelINS0_13select_configILj256ELj13ELNS0_17block_load_methodE3ELS4_3ELS4_3ELNS0_20block_scan_algorithmE0ELj4294967295EEENS1_25partition_config_selectorILNS1_17partition_subalgoE4EjNS0_10empty_typeEbEEZZNS1_14partition_implILS8_4ELb0ES6_15HIP_vector_typeIjLj2EENS0_17counting_iteratorIjlEEPS9_SG_NS0_5tupleIJPjSI_NS0_16reverse_iteratorISI_EEEEENSH_IJSG_SG_SG_EEES9_SI_JZNS1_25segmented_radix_sort_implINS0_14default_configELb0EPKiPiPKlPlN2at6native12_GLOBAL__N_18offset_tEEE10hipError_tPvRmT1_PNSt15iterator_traitsIS12_E10value_typeET2_T3_PNS13_IS18_E10value_typeET4_jRbjT5_S1E_jjP12ihipStream_tbEUljE_ZNSN_ISO_Lb0ESQ_SR_ST_SU_SY_EESZ_S10_S11_S12_S16_S17_S18_S1B_S1C_jS1D_jS1E_S1E_jjS1G_bEUljE0_EEESZ_S10_S11_S18_S1C_S1E_T6_T7_T9_mT8_S1G_bDpT10_ENKUlT_T0_E_clISt17integral_constantIbLb0EES1T_IbLb1EEEEDaS1P_S1Q_EUlS1P_E_NS1_11comp_targetILNS1_3genE2ELNS1_11target_archE906ELNS1_3gpuE6ELNS1_3repE0EEENS1_30default_config_static_selectorELNS0_4arch9wavefront6targetE0EEEvS12_
                                        ; -- End function
	.set _ZN7rocprim17ROCPRIM_400000_NS6detail17trampoline_kernelINS0_13select_configILj256ELj13ELNS0_17block_load_methodE3ELS4_3ELS4_3ELNS0_20block_scan_algorithmE0ELj4294967295EEENS1_25partition_config_selectorILNS1_17partition_subalgoE4EjNS0_10empty_typeEbEEZZNS1_14partition_implILS8_4ELb0ES6_15HIP_vector_typeIjLj2EENS0_17counting_iteratorIjlEEPS9_SG_NS0_5tupleIJPjSI_NS0_16reverse_iteratorISI_EEEEENSH_IJSG_SG_SG_EEES9_SI_JZNS1_25segmented_radix_sort_implINS0_14default_configELb0EPKiPiPKlPlN2at6native12_GLOBAL__N_18offset_tEEE10hipError_tPvRmT1_PNSt15iterator_traitsIS12_E10value_typeET2_T3_PNS13_IS18_E10value_typeET4_jRbjT5_S1E_jjP12ihipStream_tbEUljE_ZNSN_ISO_Lb0ESQ_SR_ST_SU_SY_EESZ_S10_S11_S12_S16_S17_S18_S1B_S1C_jS1D_jS1E_S1E_jjS1G_bEUljE0_EEESZ_S10_S11_S18_S1C_S1E_T6_T7_T9_mT8_S1G_bDpT10_ENKUlT_T0_E_clISt17integral_constantIbLb0EES1T_IbLb1EEEEDaS1P_S1Q_EUlS1P_E_NS1_11comp_targetILNS1_3genE2ELNS1_11target_archE906ELNS1_3gpuE6ELNS1_3repE0EEENS1_30default_config_static_selectorELNS0_4arch9wavefront6targetE0EEEvS12_.num_vgpr, 0
	.set _ZN7rocprim17ROCPRIM_400000_NS6detail17trampoline_kernelINS0_13select_configILj256ELj13ELNS0_17block_load_methodE3ELS4_3ELS4_3ELNS0_20block_scan_algorithmE0ELj4294967295EEENS1_25partition_config_selectorILNS1_17partition_subalgoE4EjNS0_10empty_typeEbEEZZNS1_14partition_implILS8_4ELb0ES6_15HIP_vector_typeIjLj2EENS0_17counting_iteratorIjlEEPS9_SG_NS0_5tupleIJPjSI_NS0_16reverse_iteratorISI_EEEEENSH_IJSG_SG_SG_EEES9_SI_JZNS1_25segmented_radix_sort_implINS0_14default_configELb0EPKiPiPKlPlN2at6native12_GLOBAL__N_18offset_tEEE10hipError_tPvRmT1_PNSt15iterator_traitsIS12_E10value_typeET2_T3_PNS13_IS18_E10value_typeET4_jRbjT5_S1E_jjP12ihipStream_tbEUljE_ZNSN_ISO_Lb0ESQ_SR_ST_SU_SY_EESZ_S10_S11_S12_S16_S17_S18_S1B_S1C_jS1D_jS1E_S1E_jjS1G_bEUljE0_EEESZ_S10_S11_S18_S1C_S1E_T6_T7_T9_mT8_S1G_bDpT10_ENKUlT_T0_E_clISt17integral_constantIbLb0EES1T_IbLb1EEEEDaS1P_S1Q_EUlS1P_E_NS1_11comp_targetILNS1_3genE2ELNS1_11target_archE906ELNS1_3gpuE6ELNS1_3repE0EEENS1_30default_config_static_selectorELNS0_4arch9wavefront6targetE0EEEvS12_.num_agpr, 0
	.set _ZN7rocprim17ROCPRIM_400000_NS6detail17trampoline_kernelINS0_13select_configILj256ELj13ELNS0_17block_load_methodE3ELS4_3ELS4_3ELNS0_20block_scan_algorithmE0ELj4294967295EEENS1_25partition_config_selectorILNS1_17partition_subalgoE4EjNS0_10empty_typeEbEEZZNS1_14partition_implILS8_4ELb0ES6_15HIP_vector_typeIjLj2EENS0_17counting_iteratorIjlEEPS9_SG_NS0_5tupleIJPjSI_NS0_16reverse_iteratorISI_EEEEENSH_IJSG_SG_SG_EEES9_SI_JZNS1_25segmented_radix_sort_implINS0_14default_configELb0EPKiPiPKlPlN2at6native12_GLOBAL__N_18offset_tEEE10hipError_tPvRmT1_PNSt15iterator_traitsIS12_E10value_typeET2_T3_PNS13_IS18_E10value_typeET4_jRbjT5_S1E_jjP12ihipStream_tbEUljE_ZNSN_ISO_Lb0ESQ_SR_ST_SU_SY_EESZ_S10_S11_S12_S16_S17_S18_S1B_S1C_jS1D_jS1E_S1E_jjS1G_bEUljE0_EEESZ_S10_S11_S18_S1C_S1E_T6_T7_T9_mT8_S1G_bDpT10_ENKUlT_T0_E_clISt17integral_constantIbLb0EES1T_IbLb1EEEEDaS1P_S1Q_EUlS1P_E_NS1_11comp_targetILNS1_3genE2ELNS1_11target_archE906ELNS1_3gpuE6ELNS1_3repE0EEENS1_30default_config_static_selectorELNS0_4arch9wavefront6targetE0EEEvS12_.numbered_sgpr, 0
	.set _ZN7rocprim17ROCPRIM_400000_NS6detail17trampoline_kernelINS0_13select_configILj256ELj13ELNS0_17block_load_methodE3ELS4_3ELS4_3ELNS0_20block_scan_algorithmE0ELj4294967295EEENS1_25partition_config_selectorILNS1_17partition_subalgoE4EjNS0_10empty_typeEbEEZZNS1_14partition_implILS8_4ELb0ES6_15HIP_vector_typeIjLj2EENS0_17counting_iteratorIjlEEPS9_SG_NS0_5tupleIJPjSI_NS0_16reverse_iteratorISI_EEEEENSH_IJSG_SG_SG_EEES9_SI_JZNS1_25segmented_radix_sort_implINS0_14default_configELb0EPKiPiPKlPlN2at6native12_GLOBAL__N_18offset_tEEE10hipError_tPvRmT1_PNSt15iterator_traitsIS12_E10value_typeET2_T3_PNS13_IS18_E10value_typeET4_jRbjT5_S1E_jjP12ihipStream_tbEUljE_ZNSN_ISO_Lb0ESQ_SR_ST_SU_SY_EESZ_S10_S11_S12_S16_S17_S18_S1B_S1C_jS1D_jS1E_S1E_jjS1G_bEUljE0_EEESZ_S10_S11_S18_S1C_S1E_T6_T7_T9_mT8_S1G_bDpT10_ENKUlT_T0_E_clISt17integral_constantIbLb0EES1T_IbLb1EEEEDaS1P_S1Q_EUlS1P_E_NS1_11comp_targetILNS1_3genE2ELNS1_11target_archE906ELNS1_3gpuE6ELNS1_3repE0EEENS1_30default_config_static_selectorELNS0_4arch9wavefront6targetE0EEEvS12_.num_named_barrier, 0
	.set _ZN7rocprim17ROCPRIM_400000_NS6detail17trampoline_kernelINS0_13select_configILj256ELj13ELNS0_17block_load_methodE3ELS4_3ELS4_3ELNS0_20block_scan_algorithmE0ELj4294967295EEENS1_25partition_config_selectorILNS1_17partition_subalgoE4EjNS0_10empty_typeEbEEZZNS1_14partition_implILS8_4ELb0ES6_15HIP_vector_typeIjLj2EENS0_17counting_iteratorIjlEEPS9_SG_NS0_5tupleIJPjSI_NS0_16reverse_iteratorISI_EEEEENSH_IJSG_SG_SG_EEES9_SI_JZNS1_25segmented_radix_sort_implINS0_14default_configELb0EPKiPiPKlPlN2at6native12_GLOBAL__N_18offset_tEEE10hipError_tPvRmT1_PNSt15iterator_traitsIS12_E10value_typeET2_T3_PNS13_IS18_E10value_typeET4_jRbjT5_S1E_jjP12ihipStream_tbEUljE_ZNSN_ISO_Lb0ESQ_SR_ST_SU_SY_EESZ_S10_S11_S12_S16_S17_S18_S1B_S1C_jS1D_jS1E_S1E_jjS1G_bEUljE0_EEESZ_S10_S11_S18_S1C_S1E_T6_T7_T9_mT8_S1G_bDpT10_ENKUlT_T0_E_clISt17integral_constantIbLb0EES1T_IbLb1EEEEDaS1P_S1Q_EUlS1P_E_NS1_11comp_targetILNS1_3genE2ELNS1_11target_archE906ELNS1_3gpuE6ELNS1_3repE0EEENS1_30default_config_static_selectorELNS0_4arch9wavefront6targetE0EEEvS12_.private_seg_size, 0
	.set _ZN7rocprim17ROCPRIM_400000_NS6detail17trampoline_kernelINS0_13select_configILj256ELj13ELNS0_17block_load_methodE3ELS4_3ELS4_3ELNS0_20block_scan_algorithmE0ELj4294967295EEENS1_25partition_config_selectorILNS1_17partition_subalgoE4EjNS0_10empty_typeEbEEZZNS1_14partition_implILS8_4ELb0ES6_15HIP_vector_typeIjLj2EENS0_17counting_iteratorIjlEEPS9_SG_NS0_5tupleIJPjSI_NS0_16reverse_iteratorISI_EEEEENSH_IJSG_SG_SG_EEES9_SI_JZNS1_25segmented_radix_sort_implINS0_14default_configELb0EPKiPiPKlPlN2at6native12_GLOBAL__N_18offset_tEEE10hipError_tPvRmT1_PNSt15iterator_traitsIS12_E10value_typeET2_T3_PNS13_IS18_E10value_typeET4_jRbjT5_S1E_jjP12ihipStream_tbEUljE_ZNSN_ISO_Lb0ESQ_SR_ST_SU_SY_EESZ_S10_S11_S12_S16_S17_S18_S1B_S1C_jS1D_jS1E_S1E_jjS1G_bEUljE0_EEESZ_S10_S11_S18_S1C_S1E_T6_T7_T9_mT8_S1G_bDpT10_ENKUlT_T0_E_clISt17integral_constantIbLb0EES1T_IbLb1EEEEDaS1P_S1Q_EUlS1P_E_NS1_11comp_targetILNS1_3genE2ELNS1_11target_archE906ELNS1_3gpuE6ELNS1_3repE0EEENS1_30default_config_static_selectorELNS0_4arch9wavefront6targetE0EEEvS12_.uses_vcc, 0
	.set _ZN7rocprim17ROCPRIM_400000_NS6detail17trampoline_kernelINS0_13select_configILj256ELj13ELNS0_17block_load_methodE3ELS4_3ELS4_3ELNS0_20block_scan_algorithmE0ELj4294967295EEENS1_25partition_config_selectorILNS1_17partition_subalgoE4EjNS0_10empty_typeEbEEZZNS1_14partition_implILS8_4ELb0ES6_15HIP_vector_typeIjLj2EENS0_17counting_iteratorIjlEEPS9_SG_NS0_5tupleIJPjSI_NS0_16reverse_iteratorISI_EEEEENSH_IJSG_SG_SG_EEES9_SI_JZNS1_25segmented_radix_sort_implINS0_14default_configELb0EPKiPiPKlPlN2at6native12_GLOBAL__N_18offset_tEEE10hipError_tPvRmT1_PNSt15iterator_traitsIS12_E10value_typeET2_T3_PNS13_IS18_E10value_typeET4_jRbjT5_S1E_jjP12ihipStream_tbEUljE_ZNSN_ISO_Lb0ESQ_SR_ST_SU_SY_EESZ_S10_S11_S12_S16_S17_S18_S1B_S1C_jS1D_jS1E_S1E_jjS1G_bEUljE0_EEESZ_S10_S11_S18_S1C_S1E_T6_T7_T9_mT8_S1G_bDpT10_ENKUlT_T0_E_clISt17integral_constantIbLb0EES1T_IbLb1EEEEDaS1P_S1Q_EUlS1P_E_NS1_11comp_targetILNS1_3genE2ELNS1_11target_archE906ELNS1_3gpuE6ELNS1_3repE0EEENS1_30default_config_static_selectorELNS0_4arch9wavefront6targetE0EEEvS12_.uses_flat_scratch, 0
	.set _ZN7rocprim17ROCPRIM_400000_NS6detail17trampoline_kernelINS0_13select_configILj256ELj13ELNS0_17block_load_methodE3ELS4_3ELS4_3ELNS0_20block_scan_algorithmE0ELj4294967295EEENS1_25partition_config_selectorILNS1_17partition_subalgoE4EjNS0_10empty_typeEbEEZZNS1_14partition_implILS8_4ELb0ES6_15HIP_vector_typeIjLj2EENS0_17counting_iteratorIjlEEPS9_SG_NS0_5tupleIJPjSI_NS0_16reverse_iteratorISI_EEEEENSH_IJSG_SG_SG_EEES9_SI_JZNS1_25segmented_radix_sort_implINS0_14default_configELb0EPKiPiPKlPlN2at6native12_GLOBAL__N_18offset_tEEE10hipError_tPvRmT1_PNSt15iterator_traitsIS12_E10value_typeET2_T3_PNS13_IS18_E10value_typeET4_jRbjT5_S1E_jjP12ihipStream_tbEUljE_ZNSN_ISO_Lb0ESQ_SR_ST_SU_SY_EESZ_S10_S11_S12_S16_S17_S18_S1B_S1C_jS1D_jS1E_S1E_jjS1G_bEUljE0_EEESZ_S10_S11_S18_S1C_S1E_T6_T7_T9_mT8_S1G_bDpT10_ENKUlT_T0_E_clISt17integral_constantIbLb0EES1T_IbLb1EEEEDaS1P_S1Q_EUlS1P_E_NS1_11comp_targetILNS1_3genE2ELNS1_11target_archE906ELNS1_3gpuE6ELNS1_3repE0EEENS1_30default_config_static_selectorELNS0_4arch9wavefront6targetE0EEEvS12_.has_dyn_sized_stack, 0
	.set _ZN7rocprim17ROCPRIM_400000_NS6detail17trampoline_kernelINS0_13select_configILj256ELj13ELNS0_17block_load_methodE3ELS4_3ELS4_3ELNS0_20block_scan_algorithmE0ELj4294967295EEENS1_25partition_config_selectorILNS1_17partition_subalgoE4EjNS0_10empty_typeEbEEZZNS1_14partition_implILS8_4ELb0ES6_15HIP_vector_typeIjLj2EENS0_17counting_iteratorIjlEEPS9_SG_NS0_5tupleIJPjSI_NS0_16reverse_iteratorISI_EEEEENSH_IJSG_SG_SG_EEES9_SI_JZNS1_25segmented_radix_sort_implINS0_14default_configELb0EPKiPiPKlPlN2at6native12_GLOBAL__N_18offset_tEEE10hipError_tPvRmT1_PNSt15iterator_traitsIS12_E10value_typeET2_T3_PNS13_IS18_E10value_typeET4_jRbjT5_S1E_jjP12ihipStream_tbEUljE_ZNSN_ISO_Lb0ESQ_SR_ST_SU_SY_EESZ_S10_S11_S12_S16_S17_S18_S1B_S1C_jS1D_jS1E_S1E_jjS1G_bEUljE0_EEESZ_S10_S11_S18_S1C_S1E_T6_T7_T9_mT8_S1G_bDpT10_ENKUlT_T0_E_clISt17integral_constantIbLb0EES1T_IbLb1EEEEDaS1P_S1Q_EUlS1P_E_NS1_11comp_targetILNS1_3genE2ELNS1_11target_archE906ELNS1_3gpuE6ELNS1_3repE0EEENS1_30default_config_static_selectorELNS0_4arch9wavefront6targetE0EEEvS12_.has_recursion, 0
	.set _ZN7rocprim17ROCPRIM_400000_NS6detail17trampoline_kernelINS0_13select_configILj256ELj13ELNS0_17block_load_methodE3ELS4_3ELS4_3ELNS0_20block_scan_algorithmE0ELj4294967295EEENS1_25partition_config_selectorILNS1_17partition_subalgoE4EjNS0_10empty_typeEbEEZZNS1_14partition_implILS8_4ELb0ES6_15HIP_vector_typeIjLj2EENS0_17counting_iteratorIjlEEPS9_SG_NS0_5tupleIJPjSI_NS0_16reverse_iteratorISI_EEEEENSH_IJSG_SG_SG_EEES9_SI_JZNS1_25segmented_radix_sort_implINS0_14default_configELb0EPKiPiPKlPlN2at6native12_GLOBAL__N_18offset_tEEE10hipError_tPvRmT1_PNSt15iterator_traitsIS12_E10value_typeET2_T3_PNS13_IS18_E10value_typeET4_jRbjT5_S1E_jjP12ihipStream_tbEUljE_ZNSN_ISO_Lb0ESQ_SR_ST_SU_SY_EESZ_S10_S11_S12_S16_S17_S18_S1B_S1C_jS1D_jS1E_S1E_jjS1G_bEUljE0_EEESZ_S10_S11_S18_S1C_S1E_T6_T7_T9_mT8_S1G_bDpT10_ENKUlT_T0_E_clISt17integral_constantIbLb0EES1T_IbLb1EEEEDaS1P_S1Q_EUlS1P_E_NS1_11comp_targetILNS1_3genE2ELNS1_11target_archE906ELNS1_3gpuE6ELNS1_3repE0EEENS1_30default_config_static_selectorELNS0_4arch9wavefront6targetE0EEEvS12_.has_indirect_call, 0
	.section	.AMDGPU.csdata,"",@progbits
; Kernel info:
; codeLenInByte = 0
; TotalNumSgprs: 0
; NumVgprs: 0
; ScratchSize: 0
; MemoryBound: 0
; FloatMode: 240
; IeeeMode: 1
; LDSByteSize: 0 bytes/workgroup (compile time only)
; SGPRBlocks: 0
; VGPRBlocks: 0
; NumSGPRsForWavesPerEU: 1
; NumVGPRsForWavesPerEU: 1
; NamedBarCnt: 0
; Occupancy: 16
; WaveLimiterHint : 0
; COMPUTE_PGM_RSRC2:SCRATCH_EN: 0
; COMPUTE_PGM_RSRC2:USER_SGPR: 2
; COMPUTE_PGM_RSRC2:TRAP_HANDLER: 0
; COMPUTE_PGM_RSRC2:TGID_X_EN: 1
; COMPUTE_PGM_RSRC2:TGID_Y_EN: 0
; COMPUTE_PGM_RSRC2:TGID_Z_EN: 0
; COMPUTE_PGM_RSRC2:TIDIG_COMP_CNT: 0
	.section	.text._ZN7rocprim17ROCPRIM_400000_NS6detail17trampoline_kernelINS0_13select_configILj256ELj13ELNS0_17block_load_methodE3ELS4_3ELS4_3ELNS0_20block_scan_algorithmE0ELj4294967295EEENS1_25partition_config_selectorILNS1_17partition_subalgoE4EjNS0_10empty_typeEbEEZZNS1_14partition_implILS8_4ELb0ES6_15HIP_vector_typeIjLj2EENS0_17counting_iteratorIjlEEPS9_SG_NS0_5tupleIJPjSI_NS0_16reverse_iteratorISI_EEEEENSH_IJSG_SG_SG_EEES9_SI_JZNS1_25segmented_radix_sort_implINS0_14default_configELb0EPKiPiPKlPlN2at6native12_GLOBAL__N_18offset_tEEE10hipError_tPvRmT1_PNSt15iterator_traitsIS12_E10value_typeET2_T3_PNS13_IS18_E10value_typeET4_jRbjT5_S1E_jjP12ihipStream_tbEUljE_ZNSN_ISO_Lb0ESQ_SR_ST_SU_SY_EESZ_S10_S11_S12_S16_S17_S18_S1B_S1C_jS1D_jS1E_S1E_jjS1G_bEUljE0_EEESZ_S10_S11_S18_S1C_S1E_T6_T7_T9_mT8_S1G_bDpT10_ENKUlT_T0_E_clISt17integral_constantIbLb0EES1T_IbLb1EEEEDaS1P_S1Q_EUlS1P_E_NS1_11comp_targetILNS1_3genE10ELNS1_11target_archE1200ELNS1_3gpuE4ELNS1_3repE0EEENS1_30default_config_static_selectorELNS0_4arch9wavefront6targetE0EEEvS12_,"axG",@progbits,_ZN7rocprim17ROCPRIM_400000_NS6detail17trampoline_kernelINS0_13select_configILj256ELj13ELNS0_17block_load_methodE3ELS4_3ELS4_3ELNS0_20block_scan_algorithmE0ELj4294967295EEENS1_25partition_config_selectorILNS1_17partition_subalgoE4EjNS0_10empty_typeEbEEZZNS1_14partition_implILS8_4ELb0ES6_15HIP_vector_typeIjLj2EENS0_17counting_iteratorIjlEEPS9_SG_NS0_5tupleIJPjSI_NS0_16reverse_iteratorISI_EEEEENSH_IJSG_SG_SG_EEES9_SI_JZNS1_25segmented_radix_sort_implINS0_14default_configELb0EPKiPiPKlPlN2at6native12_GLOBAL__N_18offset_tEEE10hipError_tPvRmT1_PNSt15iterator_traitsIS12_E10value_typeET2_T3_PNS13_IS18_E10value_typeET4_jRbjT5_S1E_jjP12ihipStream_tbEUljE_ZNSN_ISO_Lb0ESQ_SR_ST_SU_SY_EESZ_S10_S11_S12_S16_S17_S18_S1B_S1C_jS1D_jS1E_S1E_jjS1G_bEUljE0_EEESZ_S10_S11_S18_S1C_S1E_T6_T7_T9_mT8_S1G_bDpT10_ENKUlT_T0_E_clISt17integral_constantIbLb0EES1T_IbLb1EEEEDaS1P_S1Q_EUlS1P_E_NS1_11comp_targetILNS1_3genE10ELNS1_11target_archE1200ELNS1_3gpuE4ELNS1_3repE0EEENS1_30default_config_static_selectorELNS0_4arch9wavefront6targetE0EEEvS12_,comdat
	.globl	_ZN7rocprim17ROCPRIM_400000_NS6detail17trampoline_kernelINS0_13select_configILj256ELj13ELNS0_17block_load_methodE3ELS4_3ELS4_3ELNS0_20block_scan_algorithmE0ELj4294967295EEENS1_25partition_config_selectorILNS1_17partition_subalgoE4EjNS0_10empty_typeEbEEZZNS1_14partition_implILS8_4ELb0ES6_15HIP_vector_typeIjLj2EENS0_17counting_iteratorIjlEEPS9_SG_NS0_5tupleIJPjSI_NS0_16reverse_iteratorISI_EEEEENSH_IJSG_SG_SG_EEES9_SI_JZNS1_25segmented_radix_sort_implINS0_14default_configELb0EPKiPiPKlPlN2at6native12_GLOBAL__N_18offset_tEEE10hipError_tPvRmT1_PNSt15iterator_traitsIS12_E10value_typeET2_T3_PNS13_IS18_E10value_typeET4_jRbjT5_S1E_jjP12ihipStream_tbEUljE_ZNSN_ISO_Lb0ESQ_SR_ST_SU_SY_EESZ_S10_S11_S12_S16_S17_S18_S1B_S1C_jS1D_jS1E_S1E_jjS1G_bEUljE0_EEESZ_S10_S11_S18_S1C_S1E_T6_T7_T9_mT8_S1G_bDpT10_ENKUlT_T0_E_clISt17integral_constantIbLb0EES1T_IbLb1EEEEDaS1P_S1Q_EUlS1P_E_NS1_11comp_targetILNS1_3genE10ELNS1_11target_archE1200ELNS1_3gpuE4ELNS1_3repE0EEENS1_30default_config_static_selectorELNS0_4arch9wavefront6targetE0EEEvS12_ ; -- Begin function _ZN7rocprim17ROCPRIM_400000_NS6detail17trampoline_kernelINS0_13select_configILj256ELj13ELNS0_17block_load_methodE3ELS4_3ELS4_3ELNS0_20block_scan_algorithmE0ELj4294967295EEENS1_25partition_config_selectorILNS1_17partition_subalgoE4EjNS0_10empty_typeEbEEZZNS1_14partition_implILS8_4ELb0ES6_15HIP_vector_typeIjLj2EENS0_17counting_iteratorIjlEEPS9_SG_NS0_5tupleIJPjSI_NS0_16reverse_iteratorISI_EEEEENSH_IJSG_SG_SG_EEES9_SI_JZNS1_25segmented_radix_sort_implINS0_14default_configELb0EPKiPiPKlPlN2at6native12_GLOBAL__N_18offset_tEEE10hipError_tPvRmT1_PNSt15iterator_traitsIS12_E10value_typeET2_T3_PNS13_IS18_E10value_typeET4_jRbjT5_S1E_jjP12ihipStream_tbEUljE_ZNSN_ISO_Lb0ESQ_SR_ST_SU_SY_EESZ_S10_S11_S12_S16_S17_S18_S1B_S1C_jS1D_jS1E_S1E_jjS1G_bEUljE0_EEESZ_S10_S11_S18_S1C_S1E_T6_T7_T9_mT8_S1G_bDpT10_ENKUlT_T0_E_clISt17integral_constantIbLb0EES1T_IbLb1EEEEDaS1P_S1Q_EUlS1P_E_NS1_11comp_targetILNS1_3genE10ELNS1_11target_archE1200ELNS1_3gpuE4ELNS1_3repE0EEENS1_30default_config_static_selectorELNS0_4arch9wavefront6targetE0EEEvS12_
	.p2align	8
	.type	_ZN7rocprim17ROCPRIM_400000_NS6detail17trampoline_kernelINS0_13select_configILj256ELj13ELNS0_17block_load_methodE3ELS4_3ELS4_3ELNS0_20block_scan_algorithmE0ELj4294967295EEENS1_25partition_config_selectorILNS1_17partition_subalgoE4EjNS0_10empty_typeEbEEZZNS1_14partition_implILS8_4ELb0ES6_15HIP_vector_typeIjLj2EENS0_17counting_iteratorIjlEEPS9_SG_NS0_5tupleIJPjSI_NS0_16reverse_iteratorISI_EEEEENSH_IJSG_SG_SG_EEES9_SI_JZNS1_25segmented_radix_sort_implINS0_14default_configELb0EPKiPiPKlPlN2at6native12_GLOBAL__N_18offset_tEEE10hipError_tPvRmT1_PNSt15iterator_traitsIS12_E10value_typeET2_T3_PNS13_IS18_E10value_typeET4_jRbjT5_S1E_jjP12ihipStream_tbEUljE_ZNSN_ISO_Lb0ESQ_SR_ST_SU_SY_EESZ_S10_S11_S12_S16_S17_S18_S1B_S1C_jS1D_jS1E_S1E_jjS1G_bEUljE0_EEESZ_S10_S11_S18_S1C_S1E_T6_T7_T9_mT8_S1G_bDpT10_ENKUlT_T0_E_clISt17integral_constantIbLb0EES1T_IbLb1EEEEDaS1P_S1Q_EUlS1P_E_NS1_11comp_targetILNS1_3genE10ELNS1_11target_archE1200ELNS1_3gpuE4ELNS1_3repE0EEENS1_30default_config_static_selectorELNS0_4arch9wavefront6targetE0EEEvS12_,@function
_ZN7rocprim17ROCPRIM_400000_NS6detail17trampoline_kernelINS0_13select_configILj256ELj13ELNS0_17block_load_methodE3ELS4_3ELS4_3ELNS0_20block_scan_algorithmE0ELj4294967295EEENS1_25partition_config_selectorILNS1_17partition_subalgoE4EjNS0_10empty_typeEbEEZZNS1_14partition_implILS8_4ELb0ES6_15HIP_vector_typeIjLj2EENS0_17counting_iteratorIjlEEPS9_SG_NS0_5tupleIJPjSI_NS0_16reverse_iteratorISI_EEEEENSH_IJSG_SG_SG_EEES9_SI_JZNS1_25segmented_radix_sort_implINS0_14default_configELb0EPKiPiPKlPlN2at6native12_GLOBAL__N_18offset_tEEE10hipError_tPvRmT1_PNSt15iterator_traitsIS12_E10value_typeET2_T3_PNS13_IS18_E10value_typeET4_jRbjT5_S1E_jjP12ihipStream_tbEUljE_ZNSN_ISO_Lb0ESQ_SR_ST_SU_SY_EESZ_S10_S11_S12_S16_S17_S18_S1B_S1C_jS1D_jS1E_S1E_jjS1G_bEUljE0_EEESZ_S10_S11_S18_S1C_S1E_T6_T7_T9_mT8_S1G_bDpT10_ENKUlT_T0_E_clISt17integral_constantIbLb0EES1T_IbLb1EEEEDaS1P_S1Q_EUlS1P_E_NS1_11comp_targetILNS1_3genE10ELNS1_11target_archE1200ELNS1_3gpuE4ELNS1_3repE0EEENS1_30default_config_static_selectorELNS0_4arch9wavefront6targetE0EEEvS12_: ; @_ZN7rocprim17ROCPRIM_400000_NS6detail17trampoline_kernelINS0_13select_configILj256ELj13ELNS0_17block_load_methodE3ELS4_3ELS4_3ELNS0_20block_scan_algorithmE0ELj4294967295EEENS1_25partition_config_selectorILNS1_17partition_subalgoE4EjNS0_10empty_typeEbEEZZNS1_14partition_implILS8_4ELb0ES6_15HIP_vector_typeIjLj2EENS0_17counting_iteratorIjlEEPS9_SG_NS0_5tupleIJPjSI_NS0_16reverse_iteratorISI_EEEEENSH_IJSG_SG_SG_EEES9_SI_JZNS1_25segmented_radix_sort_implINS0_14default_configELb0EPKiPiPKlPlN2at6native12_GLOBAL__N_18offset_tEEE10hipError_tPvRmT1_PNSt15iterator_traitsIS12_E10value_typeET2_T3_PNS13_IS18_E10value_typeET4_jRbjT5_S1E_jjP12ihipStream_tbEUljE_ZNSN_ISO_Lb0ESQ_SR_ST_SU_SY_EESZ_S10_S11_S12_S16_S17_S18_S1B_S1C_jS1D_jS1E_S1E_jjS1G_bEUljE0_EEESZ_S10_S11_S18_S1C_S1E_T6_T7_T9_mT8_S1G_bDpT10_ENKUlT_T0_E_clISt17integral_constantIbLb0EES1T_IbLb1EEEEDaS1P_S1Q_EUlS1P_E_NS1_11comp_targetILNS1_3genE10ELNS1_11target_archE1200ELNS1_3gpuE4ELNS1_3repE0EEENS1_30default_config_static_selectorELNS0_4arch9wavefront6targetE0EEEvS12_
; %bb.0:
	.section	.rodata,"a",@progbits
	.p2align	6, 0x0
	.amdhsa_kernel _ZN7rocprim17ROCPRIM_400000_NS6detail17trampoline_kernelINS0_13select_configILj256ELj13ELNS0_17block_load_methodE3ELS4_3ELS4_3ELNS0_20block_scan_algorithmE0ELj4294967295EEENS1_25partition_config_selectorILNS1_17partition_subalgoE4EjNS0_10empty_typeEbEEZZNS1_14partition_implILS8_4ELb0ES6_15HIP_vector_typeIjLj2EENS0_17counting_iteratorIjlEEPS9_SG_NS0_5tupleIJPjSI_NS0_16reverse_iteratorISI_EEEEENSH_IJSG_SG_SG_EEES9_SI_JZNS1_25segmented_radix_sort_implINS0_14default_configELb0EPKiPiPKlPlN2at6native12_GLOBAL__N_18offset_tEEE10hipError_tPvRmT1_PNSt15iterator_traitsIS12_E10value_typeET2_T3_PNS13_IS18_E10value_typeET4_jRbjT5_S1E_jjP12ihipStream_tbEUljE_ZNSN_ISO_Lb0ESQ_SR_ST_SU_SY_EESZ_S10_S11_S12_S16_S17_S18_S1B_S1C_jS1D_jS1E_S1E_jjS1G_bEUljE0_EEESZ_S10_S11_S18_S1C_S1E_T6_T7_T9_mT8_S1G_bDpT10_ENKUlT_T0_E_clISt17integral_constantIbLb0EES1T_IbLb1EEEEDaS1P_S1Q_EUlS1P_E_NS1_11comp_targetILNS1_3genE10ELNS1_11target_archE1200ELNS1_3gpuE4ELNS1_3repE0EEENS1_30default_config_static_selectorELNS0_4arch9wavefront6targetE0EEEvS12_
		.amdhsa_group_segment_fixed_size 0
		.amdhsa_private_segment_fixed_size 0
		.amdhsa_kernarg_size 184
		.amdhsa_user_sgpr_count 2
		.amdhsa_user_sgpr_dispatch_ptr 0
		.amdhsa_user_sgpr_queue_ptr 0
		.amdhsa_user_sgpr_kernarg_segment_ptr 1
		.amdhsa_user_sgpr_dispatch_id 0
		.amdhsa_user_sgpr_kernarg_preload_length 0
		.amdhsa_user_sgpr_kernarg_preload_offset 0
		.amdhsa_user_sgpr_private_segment_size 0
		.amdhsa_wavefront_size32 1
		.amdhsa_uses_dynamic_stack 0
		.amdhsa_enable_private_segment 0
		.amdhsa_system_sgpr_workgroup_id_x 1
		.amdhsa_system_sgpr_workgroup_id_y 0
		.amdhsa_system_sgpr_workgroup_id_z 0
		.amdhsa_system_sgpr_workgroup_info 0
		.amdhsa_system_vgpr_workitem_id 0
		.amdhsa_next_free_vgpr 1
		.amdhsa_next_free_sgpr 1
		.amdhsa_named_barrier_count 0
		.amdhsa_reserve_vcc 0
		.amdhsa_float_round_mode_32 0
		.amdhsa_float_round_mode_16_64 0
		.amdhsa_float_denorm_mode_32 3
		.amdhsa_float_denorm_mode_16_64 3
		.amdhsa_fp16_overflow 0
		.amdhsa_memory_ordered 1
		.amdhsa_forward_progress 1
		.amdhsa_inst_pref_size 0
		.amdhsa_round_robin_scheduling 0
		.amdhsa_exception_fp_ieee_invalid_op 0
		.amdhsa_exception_fp_denorm_src 0
		.amdhsa_exception_fp_ieee_div_zero 0
		.amdhsa_exception_fp_ieee_overflow 0
		.amdhsa_exception_fp_ieee_underflow 0
		.amdhsa_exception_fp_ieee_inexact 0
		.amdhsa_exception_int_div_zero 0
	.end_amdhsa_kernel
	.section	.text._ZN7rocprim17ROCPRIM_400000_NS6detail17trampoline_kernelINS0_13select_configILj256ELj13ELNS0_17block_load_methodE3ELS4_3ELS4_3ELNS0_20block_scan_algorithmE0ELj4294967295EEENS1_25partition_config_selectorILNS1_17partition_subalgoE4EjNS0_10empty_typeEbEEZZNS1_14partition_implILS8_4ELb0ES6_15HIP_vector_typeIjLj2EENS0_17counting_iteratorIjlEEPS9_SG_NS0_5tupleIJPjSI_NS0_16reverse_iteratorISI_EEEEENSH_IJSG_SG_SG_EEES9_SI_JZNS1_25segmented_radix_sort_implINS0_14default_configELb0EPKiPiPKlPlN2at6native12_GLOBAL__N_18offset_tEEE10hipError_tPvRmT1_PNSt15iterator_traitsIS12_E10value_typeET2_T3_PNS13_IS18_E10value_typeET4_jRbjT5_S1E_jjP12ihipStream_tbEUljE_ZNSN_ISO_Lb0ESQ_SR_ST_SU_SY_EESZ_S10_S11_S12_S16_S17_S18_S1B_S1C_jS1D_jS1E_S1E_jjS1G_bEUljE0_EEESZ_S10_S11_S18_S1C_S1E_T6_T7_T9_mT8_S1G_bDpT10_ENKUlT_T0_E_clISt17integral_constantIbLb0EES1T_IbLb1EEEEDaS1P_S1Q_EUlS1P_E_NS1_11comp_targetILNS1_3genE10ELNS1_11target_archE1200ELNS1_3gpuE4ELNS1_3repE0EEENS1_30default_config_static_selectorELNS0_4arch9wavefront6targetE0EEEvS12_,"axG",@progbits,_ZN7rocprim17ROCPRIM_400000_NS6detail17trampoline_kernelINS0_13select_configILj256ELj13ELNS0_17block_load_methodE3ELS4_3ELS4_3ELNS0_20block_scan_algorithmE0ELj4294967295EEENS1_25partition_config_selectorILNS1_17partition_subalgoE4EjNS0_10empty_typeEbEEZZNS1_14partition_implILS8_4ELb0ES6_15HIP_vector_typeIjLj2EENS0_17counting_iteratorIjlEEPS9_SG_NS0_5tupleIJPjSI_NS0_16reverse_iteratorISI_EEEEENSH_IJSG_SG_SG_EEES9_SI_JZNS1_25segmented_radix_sort_implINS0_14default_configELb0EPKiPiPKlPlN2at6native12_GLOBAL__N_18offset_tEEE10hipError_tPvRmT1_PNSt15iterator_traitsIS12_E10value_typeET2_T3_PNS13_IS18_E10value_typeET4_jRbjT5_S1E_jjP12ihipStream_tbEUljE_ZNSN_ISO_Lb0ESQ_SR_ST_SU_SY_EESZ_S10_S11_S12_S16_S17_S18_S1B_S1C_jS1D_jS1E_S1E_jjS1G_bEUljE0_EEESZ_S10_S11_S18_S1C_S1E_T6_T7_T9_mT8_S1G_bDpT10_ENKUlT_T0_E_clISt17integral_constantIbLb0EES1T_IbLb1EEEEDaS1P_S1Q_EUlS1P_E_NS1_11comp_targetILNS1_3genE10ELNS1_11target_archE1200ELNS1_3gpuE4ELNS1_3repE0EEENS1_30default_config_static_selectorELNS0_4arch9wavefront6targetE0EEEvS12_,comdat
.Lfunc_end561:
	.size	_ZN7rocprim17ROCPRIM_400000_NS6detail17trampoline_kernelINS0_13select_configILj256ELj13ELNS0_17block_load_methodE3ELS4_3ELS4_3ELNS0_20block_scan_algorithmE0ELj4294967295EEENS1_25partition_config_selectorILNS1_17partition_subalgoE4EjNS0_10empty_typeEbEEZZNS1_14partition_implILS8_4ELb0ES6_15HIP_vector_typeIjLj2EENS0_17counting_iteratorIjlEEPS9_SG_NS0_5tupleIJPjSI_NS0_16reverse_iteratorISI_EEEEENSH_IJSG_SG_SG_EEES9_SI_JZNS1_25segmented_radix_sort_implINS0_14default_configELb0EPKiPiPKlPlN2at6native12_GLOBAL__N_18offset_tEEE10hipError_tPvRmT1_PNSt15iterator_traitsIS12_E10value_typeET2_T3_PNS13_IS18_E10value_typeET4_jRbjT5_S1E_jjP12ihipStream_tbEUljE_ZNSN_ISO_Lb0ESQ_SR_ST_SU_SY_EESZ_S10_S11_S12_S16_S17_S18_S1B_S1C_jS1D_jS1E_S1E_jjS1G_bEUljE0_EEESZ_S10_S11_S18_S1C_S1E_T6_T7_T9_mT8_S1G_bDpT10_ENKUlT_T0_E_clISt17integral_constantIbLb0EES1T_IbLb1EEEEDaS1P_S1Q_EUlS1P_E_NS1_11comp_targetILNS1_3genE10ELNS1_11target_archE1200ELNS1_3gpuE4ELNS1_3repE0EEENS1_30default_config_static_selectorELNS0_4arch9wavefront6targetE0EEEvS12_, .Lfunc_end561-_ZN7rocprim17ROCPRIM_400000_NS6detail17trampoline_kernelINS0_13select_configILj256ELj13ELNS0_17block_load_methodE3ELS4_3ELS4_3ELNS0_20block_scan_algorithmE0ELj4294967295EEENS1_25partition_config_selectorILNS1_17partition_subalgoE4EjNS0_10empty_typeEbEEZZNS1_14partition_implILS8_4ELb0ES6_15HIP_vector_typeIjLj2EENS0_17counting_iteratorIjlEEPS9_SG_NS0_5tupleIJPjSI_NS0_16reverse_iteratorISI_EEEEENSH_IJSG_SG_SG_EEES9_SI_JZNS1_25segmented_radix_sort_implINS0_14default_configELb0EPKiPiPKlPlN2at6native12_GLOBAL__N_18offset_tEEE10hipError_tPvRmT1_PNSt15iterator_traitsIS12_E10value_typeET2_T3_PNS13_IS18_E10value_typeET4_jRbjT5_S1E_jjP12ihipStream_tbEUljE_ZNSN_ISO_Lb0ESQ_SR_ST_SU_SY_EESZ_S10_S11_S12_S16_S17_S18_S1B_S1C_jS1D_jS1E_S1E_jjS1G_bEUljE0_EEESZ_S10_S11_S18_S1C_S1E_T6_T7_T9_mT8_S1G_bDpT10_ENKUlT_T0_E_clISt17integral_constantIbLb0EES1T_IbLb1EEEEDaS1P_S1Q_EUlS1P_E_NS1_11comp_targetILNS1_3genE10ELNS1_11target_archE1200ELNS1_3gpuE4ELNS1_3repE0EEENS1_30default_config_static_selectorELNS0_4arch9wavefront6targetE0EEEvS12_
                                        ; -- End function
	.set _ZN7rocprim17ROCPRIM_400000_NS6detail17trampoline_kernelINS0_13select_configILj256ELj13ELNS0_17block_load_methodE3ELS4_3ELS4_3ELNS0_20block_scan_algorithmE0ELj4294967295EEENS1_25partition_config_selectorILNS1_17partition_subalgoE4EjNS0_10empty_typeEbEEZZNS1_14partition_implILS8_4ELb0ES6_15HIP_vector_typeIjLj2EENS0_17counting_iteratorIjlEEPS9_SG_NS0_5tupleIJPjSI_NS0_16reverse_iteratorISI_EEEEENSH_IJSG_SG_SG_EEES9_SI_JZNS1_25segmented_radix_sort_implINS0_14default_configELb0EPKiPiPKlPlN2at6native12_GLOBAL__N_18offset_tEEE10hipError_tPvRmT1_PNSt15iterator_traitsIS12_E10value_typeET2_T3_PNS13_IS18_E10value_typeET4_jRbjT5_S1E_jjP12ihipStream_tbEUljE_ZNSN_ISO_Lb0ESQ_SR_ST_SU_SY_EESZ_S10_S11_S12_S16_S17_S18_S1B_S1C_jS1D_jS1E_S1E_jjS1G_bEUljE0_EEESZ_S10_S11_S18_S1C_S1E_T6_T7_T9_mT8_S1G_bDpT10_ENKUlT_T0_E_clISt17integral_constantIbLb0EES1T_IbLb1EEEEDaS1P_S1Q_EUlS1P_E_NS1_11comp_targetILNS1_3genE10ELNS1_11target_archE1200ELNS1_3gpuE4ELNS1_3repE0EEENS1_30default_config_static_selectorELNS0_4arch9wavefront6targetE0EEEvS12_.num_vgpr, 0
	.set _ZN7rocprim17ROCPRIM_400000_NS6detail17trampoline_kernelINS0_13select_configILj256ELj13ELNS0_17block_load_methodE3ELS4_3ELS4_3ELNS0_20block_scan_algorithmE0ELj4294967295EEENS1_25partition_config_selectorILNS1_17partition_subalgoE4EjNS0_10empty_typeEbEEZZNS1_14partition_implILS8_4ELb0ES6_15HIP_vector_typeIjLj2EENS0_17counting_iteratorIjlEEPS9_SG_NS0_5tupleIJPjSI_NS0_16reverse_iteratorISI_EEEEENSH_IJSG_SG_SG_EEES9_SI_JZNS1_25segmented_radix_sort_implINS0_14default_configELb0EPKiPiPKlPlN2at6native12_GLOBAL__N_18offset_tEEE10hipError_tPvRmT1_PNSt15iterator_traitsIS12_E10value_typeET2_T3_PNS13_IS18_E10value_typeET4_jRbjT5_S1E_jjP12ihipStream_tbEUljE_ZNSN_ISO_Lb0ESQ_SR_ST_SU_SY_EESZ_S10_S11_S12_S16_S17_S18_S1B_S1C_jS1D_jS1E_S1E_jjS1G_bEUljE0_EEESZ_S10_S11_S18_S1C_S1E_T6_T7_T9_mT8_S1G_bDpT10_ENKUlT_T0_E_clISt17integral_constantIbLb0EES1T_IbLb1EEEEDaS1P_S1Q_EUlS1P_E_NS1_11comp_targetILNS1_3genE10ELNS1_11target_archE1200ELNS1_3gpuE4ELNS1_3repE0EEENS1_30default_config_static_selectorELNS0_4arch9wavefront6targetE0EEEvS12_.num_agpr, 0
	.set _ZN7rocprim17ROCPRIM_400000_NS6detail17trampoline_kernelINS0_13select_configILj256ELj13ELNS0_17block_load_methodE3ELS4_3ELS4_3ELNS0_20block_scan_algorithmE0ELj4294967295EEENS1_25partition_config_selectorILNS1_17partition_subalgoE4EjNS0_10empty_typeEbEEZZNS1_14partition_implILS8_4ELb0ES6_15HIP_vector_typeIjLj2EENS0_17counting_iteratorIjlEEPS9_SG_NS0_5tupleIJPjSI_NS0_16reverse_iteratorISI_EEEEENSH_IJSG_SG_SG_EEES9_SI_JZNS1_25segmented_radix_sort_implINS0_14default_configELb0EPKiPiPKlPlN2at6native12_GLOBAL__N_18offset_tEEE10hipError_tPvRmT1_PNSt15iterator_traitsIS12_E10value_typeET2_T3_PNS13_IS18_E10value_typeET4_jRbjT5_S1E_jjP12ihipStream_tbEUljE_ZNSN_ISO_Lb0ESQ_SR_ST_SU_SY_EESZ_S10_S11_S12_S16_S17_S18_S1B_S1C_jS1D_jS1E_S1E_jjS1G_bEUljE0_EEESZ_S10_S11_S18_S1C_S1E_T6_T7_T9_mT8_S1G_bDpT10_ENKUlT_T0_E_clISt17integral_constantIbLb0EES1T_IbLb1EEEEDaS1P_S1Q_EUlS1P_E_NS1_11comp_targetILNS1_3genE10ELNS1_11target_archE1200ELNS1_3gpuE4ELNS1_3repE0EEENS1_30default_config_static_selectorELNS0_4arch9wavefront6targetE0EEEvS12_.numbered_sgpr, 0
	.set _ZN7rocprim17ROCPRIM_400000_NS6detail17trampoline_kernelINS0_13select_configILj256ELj13ELNS0_17block_load_methodE3ELS4_3ELS4_3ELNS0_20block_scan_algorithmE0ELj4294967295EEENS1_25partition_config_selectorILNS1_17partition_subalgoE4EjNS0_10empty_typeEbEEZZNS1_14partition_implILS8_4ELb0ES6_15HIP_vector_typeIjLj2EENS0_17counting_iteratorIjlEEPS9_SG_NS0_5tupleIJPjSI_NS0_16reverse_iteratorISI_EEEEENSH_IJSG_SG_SG_EEES9_SI_JZNS1_25segmented_radix_sort_implINS0_14default_configELb0EPKiPiPKlPlN2at6native12_GLOBAL__N_18offset_tEEE10hipError_tPvRmT1_PNSt15iterator_traitsIS12_E10value_typeET2_T3_PNS13_IS18_E10value_typeET4_jRbjT5_S1E_jjP12ihipStream_tbEUljE_ZNSN_ISO_Lb0ESQ_SR_ST_SU_SY_EESZ_S10_S11_S12_S16_S17_S18_S1B_S1C_jS1D_jS1E_S1E_jjS1G_bEUljE0_EEESZ_S10_S11_S18_S1C_S1E_T6_T7_T9_mT8_S1G_bDpT10_ENKUlT_T0_E_clISt17integral_constantIbLb0EES1T_IbLb1EEEEDaS1P_S1Q_EUlS1P_E_NS1_11comp_targetILNS1_3genE10ELNS1_11target_archE1200ELNS1_3gpuE4ELNS1_3repE0EEENS1_30default_config_static_selectorELNS0_4arch9wavefront6targetE0EEEvS12_.num_named_barrier, 0
	.set _ZN7rocprim17ROCPRIM_400000_NS6detail17trampoline_kernelINS0_13select_configILj256ELj13ELNS0_17block_load_methodE3ELS4_3ELS4_3ELNS0_20block_scan_algorithmE0ELj4294967295EEENS1_25partition_config_selectorILNS1_17partition_subalgoE4EjNS0_10empty_typeEbEEZZNS1_14partition_implILS8_4ELb0ES6_15HIP_vector_typeIjLj2EENS0_17counting_iteratorIjlEEPS9_SG_NS0_5tupleIJPjSI_NS0_16reverse_iteratorISI_EEEEENSH_IJSG_SG_SG_EEES9_SI_JZNS1_25segmented_radix_sort_implINS0_14default_configELb0EPKiPiPKlPlN2at6native12_GLOBAL__N_18offset_tEEE10hipError_tPvRmT1_PNSt15iterator_traitsIS12_E10value_typeET2_T3_PNS13_IS18_E10value_typeET4_jRbjT5_S1E_jjP12ihipStream_tbEUljE_ZNSN_ISO_Lb0ESQ_SR_ST_SU_SY_EESZ_S10_S11_S12_S16_S17_S18_S1B_S1C_jS1D_jS1E_S1E_jjS1G_bEUljE0_EEESZ_S10_S11_S18_S1C_S1E_T6_T7_T9_mT8_S1G_bDpT10_ENKUlT_T0_E_clISt17integral_constantIbLb0EES1T_IbLb1EEEEDaS1P_S1Q_EUlS1P_E_NS1_11comp_targetILNS1_3genE10ELNS1_11target_archE1200ELNS1_3gpuE4ELNS1_3repE0EEENS1_30default_config_static_selectorELNS0_4arch9wavefront6targetE0EEEvS12_.private_seg_size, 0
	.set _ZN7rocprim17ROCPRIM_400000_NS6detail17trampoline_kernelINS0_13select_configILj256ELj13ELNS0_17block_load_methodE3ELS4_3ELS4_3ELNS0_20block_scan_algorithmE0ELj4294967295EEENS1_25partition_config_selectorILNS1_17partition_subalgoE4EjNS0_10empty_typeEbEEZZNS1_14partition_implILS8_4ELb0ES6_15HIP_vector_typeIjLj2EENS0_17counting_iteratorIjlEEPS9_SG_NS0_5tupleIJPjSI_NS0_16reverse_iteratorISI_EEEEENSH_IJSG_SG_SG_EEES9_SI_JZNS1_25segmented_radix_sort_implINS0_14default_configELb0EPKiPiPKlPlN2at6native12_GLOBAL__N_18offset_tEEE10hipError_tPvRmT1_PNSt15iterator_traitsIS12_E10value_typeET2_T3_PNS13_IS18_E10value_typeET4_jRbjT5_S1E_jjP12ihipStream_tbEUljE_ZNSN_ISO_Lb0ESQ_SR_ST_SU_SY_EESZ_S10_S11_S12_S16_S17_S18_S1B_S1C_jS1D_jS1E_S1E_jjS1G_bEUljE0_EEESZ_S10_S11_S18_S1C_S1E_T6_T7_T9_mT8_S1G_bDpT10_ENKUlT_T0_E_clISt17integral_constantIbLb0EES1T_IbLb1EEEEDaS1P_S1Q_EUlS1P_E_NS1_11comp_targetILNS1_3genE10ELNS1_11target_archE1200ELNS1_3gpuE4ELNS1_3repE0EEENS1_30default_config_static_selectorELNS0_4arch9wavefront6targetE0EEEvS12_.uses_vcc, 0
	.set _ZN7rocprim17ROCPRIM_400000_NS6detail17trampoline_kernelINS0_13select_configILj256ELj13ELNS0_17block_load_methodE3ELS4_3ELS4_3ELNS0_20block_scan_algorithmE0ELj4294967295EEENS1_25partition_config_selectorILNS1_17partition_subalgoE4EjNS0_10empty_typeEbEEZZNS1_14partition_implILS8_4ELb0ES6_15HIP_vector_typeIjLj2EENS0_17counting_iteratorIjlEEPS9_SG_NS0_5tupleIJPjSI_NS0_16reverse_iteratorISI_EEEEENSH_IJSG_SG_SG_EEES9_SI_JZNS1_25segmented_radix_sort_implINS0_14default_configELb0EPKiPiPKlPlN2at6native12_GLOBAL__N_18offset_tEEE10hipError_tPvRmT1_PNSt15iterator_traitsIS12_E10value_typeET2_T3_PNS13_IS18_E10value_typeET4_jRbjT5_S1E_jjP12ihipStream_tbEUljE_ZNSN_ISO_Lb0ESQ_SR_ST_SU_SY_EESZ_S10_S11_S12_S16_S17_S18_S1B_S1C_jS1D_jS1E_S1E_jjS1G_bEUljE0_EEESZ_S10_S11_S18_S1C_S1E_T6_T7_T9_mT8_S1G_bDpT10_ENKUlT_T0_E_clISt17integral_constantIbLb0EES1T_IbLb1EEEEDaS1P_S1Q_EUlS1P_E_NS1_11comp_targetILNS1_3genE10ELNS1_11target_archE1200ELNS1_3gpuE4ELNS1_3repE0EEENS1_30default_config_static_selectorELNS0_4arch9wavefront6targetE0EEEvS12_.uses_flat_scratch, 0
	.set _ZN7rocprim17ROCPRIM_400000_NS6detail17trampoline_kernelINS0_13select_configILj256ELj13ELNS0_17block_load_methodE3ELS4_3ELS4_3ELNS0_20block_scan_algorithmE0ELj4294967295EEENS1_25partition_config_selectorILNS1_17partition_subalgoE4EjNS0_10empty_typeEbEEZZNS1_14partition_implILS8_4ELb0ES6_15HIP_vector_typeIjLj2EENS0_17counting_iteratorIjlEEPS9_SG_NS0_5tupleIJPjSI_NS0_16reverse_iteratorISI_EEEEENSH_IJSG_SG_SG_EEES9_SI_JZNS1_25segmented_radix_sort_implINS0_14default_configELb0EPKiPiPKlPlN2at6native12_GLOBAL__N_18offset_tEEE10hipError_tPvRmT1_PNSt15iterator_traitsIS12_E10value_typeET2_T3_PNS13_IS18_E10value_typeET4_jRbjT5_S1E_jjP12ihipStream_tbEUljE_ZNSN_ISO_Lb0ESQ_SR_ST_SU_SY_EESZ_S10_S11_S12_S16_S17_S18_S1B_S1C_jS1D_jS1E_S1E_jjS1G_bEUljE0_EEESZ_S10_S11_S18_S1C_S1E_T6_T7_T9_mT8_S1G_bDpT10_ENKUlT_T0_E_clISt17integral_constantIbLb0EES1T_IbLb1EEEEDaS1P_S1Q_EUlS1P_E_NS1_11comp_targetILNS1_3genE10ELNS1_11target_archE1200ELNS1_3gpuE4ELNS1_3repE0EEENS1_30default_config_static_selectorELNS0_4arch9wavefront6targetE0EEEvS12_.has_dyn_sized_stack, 0
	.set _ZN7rocprim17ROCPRIM_400000_NS6detail17trampoline_kernelINS0_13select_configILj256ELj13ELNS0_17block_load_methodE3ELS4_3ELS4_3ELNS0_20block_scan_algorithmE0ELj4294967295EEENS1_25partition_config_selectorILNS1_17partition_subalgoE4EjNS0_10empty_typeEbEEZZNS1_14partition_implILS8_4ELb0ES6_15HIP_vector_typeIjLj2EENS0_17counting_iteratorIjlEEPS9_SG_NS0_5tupleIJPjSI_NS0_16reverse_iteratorISI_EEEEENSH_IJSG_SG_SG_EEES9_SI_JZNS1_25segmented_radix_sort_implINS0_14default_configELb0EPKiPiPKlPlN2at6native12_GLOBAL__N_18offset_tEEE10hipError_tPvRmT1_PNSt15iterator_traitsIS12_E10value_typeET2_T3_PNS13_IS18_E10value_typeET4_jRbjT5_S1E_jjP12ihipStream_tbEUljE_ZNSN_ISO_Lb0ESQ_SR_ST_SU_SY_EESZ_S10_S11_S12_S16_S17_S18_S1B_S1C_jS1D_jS1E_S1E_jjS1G_bEUljE0_EEESZ_S10_S11_S18_S1C_S1E_T6_T7_T9_mT8_S1G_bDpT10_ENKUlT_T0_E_clISt17integral_constantIbLb0EES1T_IbLb1EEEEDaS1P_S1Q_EUlS1P_E_NS1_11comp_targetILNS1_3genE10ELNS1_11target_archE1200ELNS1_3gpuE4ELNS1_3repE0EEENS1_30default_config_static_selectorELNS0_4arch9wavefront6targetE0EEEvS12_.has_recursion, 0
	.set _ZN7rocprim17ROCPRIM_400000_NS6detail17trampoline_kernelINS0_13select_configILj256ELj13ELNS0_17block_load_methodE3ELS4_3ELS4_3ELNS0_20block_scan_algorithmE0ELj4294967295EEENS1_25partition_config_selectorILNS1_17partition_subalgoE4EjNS0_10empty_typeEbEEZZNS1_14partition_implILS8_4ELb0ES6_15HIP_vector_typeIjLj2EENS0_17counting_iteratorIjlEEPS9_SG_NS0_5tupleIJPjSI_NS0_16reverse_iteratorISI_EEEEENSH_IJSG_SG_SG_EEES9_SI_JZNS1_25segmented_radix_sort_implINS0_14default_configELb0EPKiPiPKlPlN2at6native12_GLOBAL__N_18offset_tEEE10hipError_tPvRmT1_PNSt15iterator_traitsIS12_E10value_typeET2_T3_PNS13_IS18_E10value_typeET4_jRbjT5_S1E_jjP12ihipStream_tbEUljE_ZNSN_ISO_Lb0ESQ_SR_ST_SU_SY_EESZ_S10_S11_S12_S16_S17_S18_S1B_S1C_jS1D_jS1E_S1E_jjS1G_bEUljE0_EEESZ_S10_S11_S18_S1C_S1E_T6_T7_T9_mT8_S1G_bDpT10_ENKUlT_T0_E_clISt17integral_constantIbLb0EES1T_IbLb1EEEEDaS1P_S1Q_EUlS1P_E_NS1_11comp_targetILNS1_3genE10ELNS1_11target_archE1200ELNS1_3gpuE4ELNS1_3repE0EEENS1_30default_config_static_selectorELNS0_4arch9wavefront6targetE0EEEvS12_.has_indirect_call, 0
	.section	.AMDGPU.csdata,"",@progbits
; Kernel info:
; codeLenInByte = 0
; TotalNumSgprs: 0
; NumVgprs: 0
; ScratchSize: 0
; MemoryBound: 0
; FloatMode: 240
; IeeeMode: 1
; LDSByteSize: 0 bytes/workgroup (compile time only)
; SGPRBlocks: 0
; VGPRBlocks: 0
; NumSGPRsForWavesPerEU: 1
; NumVGPRsForWavesPerEU: 1
; NamedBarCnt: 0
; Occupancy: 16
; WaveLimiterHint : 0
; COMPUTE_PGM_RSRC2:SCRATCH_EN: 0
; COMPUTE_PGM_RSRC2:USER_SGPR: 2
; COMPUTE_PGM_RSRC2:TRAP_HANDLER: 0
; COMPUTE_PGM_RSRC2:TGID_X_EN: 1
; COMPUTE_PGM_RSRC2:TGID_Y_EN: 0
; COMPUTE_PGM_RSRC2:TGID_Z_EN: 0
; COMPUTE_PGM_RSRC2:TIDIG_COMP_CNT: 0
	.section	.text._ZN7rocprim17ROCPRIM_400000_NS6detail17trampoline_kernelINS0_13select_configILj256ELj13ELNS0_17block_load_methodE3ELS4_3ELS4_3ELNS0_20block_scan_algorithmE0ELj4294967295EEENS1_25partition_config_selectorILNS1_17partition_subalgoE4EjNS0_10empty_typeEbEEZZNS1_14partition_implILS8_4ELb0ES6_15HIP_vector_typeIjLj2EENS0_17counting_iteratorIjlEEPS9_SG_NS0_5tupleIJPjSI_NS0_16reverse_iteratorISI_EEEEENSH_IJSG_SG_SG_EEES9_SI_JZNS1_25segmented_radix_sort_implINS0_14default_configELb0EPKiPiPKlPlN2at6native12_GLOBAL__N_18offset_tEEE10hipError_tPvRmT1_PNSt15iterator_traitsIS12_E10value_typeET2_T3_PNS13_IS18_E10value_typeET4_jRbjT5_S1E_jjP12ihipStream_tbEUljE_ZNSN_ISO_Lb0ESQ_SR_ST_SU_SY_EESZ_S10_S11_S12_S16_S17_S18_S1B_S1C_jS1D_jS1E_S1E_jjS1G_bEUljE0_EEESZ_S10_S11_S18_S1C_S1E_T6_T7_T9_mT8_S1G_bDpT10_ENKUlT_T0_E_clISt17integral_constantIbLb0EES1T_IbLb1EEEEDaS1P_S1Q_EUlS1P_E_NS1_11comp_targetILNS1_3genE9ELNS1_11target_archE1100ELNS1_3gpuE3ELNS1_3repE0EEENS1_30default_config_static_selectorELNS0_4arch9wavefront6targetE0EEEvS12_,"axG",@progbits,_ZN7rocprim17ROCPRIM_400000_NS6detail17trampoline_kernelINS0_13select_configILj256ELj13ELNS0_17block_load_methodE3ELS4_3ELS4_3ELNS0_20block_scan_algorithmE0ELj4294967295EEENS1_25partition_config_selectorILNS1_17partition_subalgoE4EjNS0_10empty_typeEbEEZZNS1_14partition_implILS8_4ELb0ES6_15HIP_vector_typeIjLj2EENS0_17counting_iteratorIjlEEPS9_SG_NS0_5tupleIJPjSI_NS0_16reverse_iteratorISI_EEEEENSH_IJSG_SG_SG_EEES9_SI_JZNS1_25segmented_radix_sort_implINS0_14default_configELb0EPKiPiPKlPlN2at6native12_GLOBAL__N_18offset_tEEE10hipError_tPvRmT1_PNSt15iterator_traitsIS12_E10value_typeET2_T3_PNS13_IS18_E10value_typeET4_jRbjT5_S1E_jjP12ihipStream_tbEUljE_ZNSN_ISO_Lb0ESQ_SR_ST_SU_SY_EESZ_S10_S11_S12_S16_S17_S18_S1B_S1C_jS1D_jS1E_S1E_jjS1G_bEUljE0_EEESZ_S10_S11_S18_S1C_S1E_T6_T7_T9_mT8_S1G_bDpT10_ENKUlT_T0_E_clISt17integral_constantIbLb0EES1T_IbLb1EEEEDaS1P_S1Q_EUlS1P_E_NS1_11comp_targetILNS1_3genE9ELNS1_11target_archE1100ELNS1_3gpuE3ELNS1_3repE0EEENS1_30default_config_static_selectorELNS0_4arch9wavefront6targetE0EEEvS12_,comdat
	.globl	_ZN7rocprim17ROCPRIM_400000_NS6detail17trampoline_kernelINS0_13select_configILj256ELj13ELNS0_17block_load_methodE3ELS4_3ELS4_3ELNS0_20block_scan_algorithmE0ELj4294967295EEENS1_25partition_config_selectorILNS1_17partition_subalgoE4EjNS0_10empty_typeEbEEZZNS1_14partition_implILS8_4ELb0ES6_15HIP_vector_typeIjLj2EENS0_17counting_iteratorIjlEEPS9_SG_NS0_5tupleIJPjSI_NS0_16reverse_iteratorISI_EEEEENSH_IJSG_SG_SG_EEES9_SI_JZNS1_25segmented_radix_sort_implINS0_14default_configELb0EPKiPiPKlPlN2at6native12_GLOBAL__N_18offset_tEEE10hipError_tPvRmT1_PNSt15iterator_traitsIS12_E10value_typeET2_T3_PNS13_IS18_E10value_typeET4_jRbjT5_S1E_jjP12ihipStream_tbEUljE_ZNSN_ISO_Lb0ESQ_SR_ST_SU_SY_EESZ_S10_S11_S12_S16_S17_S18_S1B_S1C_jS1D_jS1E_S1E_jjS1G_bEUljE0_EEESZ_S10_S11_S18_S1C_S1E_T6_T7_T9_mT8_S1G_bDpT10_ENKUlT_T0_E_clISt17integral_constantIbLb0EES1T_IbLb1EEEEDaS1P_S1Q_EUlS1P_E_NS1_11comp_targetILNS1_3genE9ELNS1_11target_archE1100ELNS1_3gpuE3ELNS1_3repE0EEENS1_30default_config_static_selectorELNS0_4arch9wavefront6targetE0EEEvS12_ ; -- Begin function _ZN7rocprim17ROCPRIM_400000_NS6detail17trampoline_kernelINS0_13select_configILj256ELj13ELNS0_17block_load_methodE3ELS4_3ELS4_3ELNS0_20block_scan_algorithmE0ELj4294967295EEENS1_25partition_config_selectorILNS1_17partition_subalgoE4EjNS0_10empty_typeEbEEZZNS1_14partition_implILS8_4ELb0ES6_15HIP_vector_typeIjLj2EENS0_17counting_iteratorIjlEEPS9_SG_NS0_5tupleIJPjSI_NS0_16reverse_iteratorISI_EEEEENSH_IJSG_SG_SG_EEES9_SI_JZNS1_25segmented_radix_sort_implINS0_14default_configELb0EPKiPiPKlPlN2at6native12_GLOBAL__N_18offset_tEEE10hipError_tPvRmT1_PNSt15iterator_traitsIS12_E10value_typeET2_T3_PNS13_IS18_E10value_typeET4_jRbjT5_S1E_jjP12ihipStream_tbEUljE_ZNSN_ISO_Lb0ESQ_SR_ST_SU_SY_EESZ_S10_S11_S12_S16_S17_S18_S1B_S1C_jS1D_jS1E_S1E_jjS1G_bEUljE0_EEESZ_S10_S11_S18_S1C_S1E_T6_T7_T9_mT8_S1G_bDpT10_ENKUlT_T0_E_clISt17integral_constantIbLb0EES1T_IbLb1EEEEDaS1P_S1Q_EUlS1P_E_NS1_11comp_targetILNS1_3genE9ELNS1_11target_archE1100ELNS1_3gpuE3ELNS1_3repE0EEENS1_30default_config_static_selectorELNS0_4arch9wavefront6targetE0EEEvS12_
	.p2align	8
	.type	_ZN7rocprim17ROCPRIM_400000_NS6detail17trampoline_kernelINS0_13select_configILj256ELj13ELNS0_17block_load_methodE3ELS4_3ELS4_3ELNS0_20block_scan_algorithmE0ELj4294967295EEENS1_25partition_config_selectorILNS1_17partition_subalgoE4EjNS0_10empty_typeEbEEZZNS1_14partition_implILS8_4ELb0ES6_15HIP_vector_typeIjLj2EENS0_17counting_iteratorIjlEEPS9_SG_NS0_5tupleIJPjSI_NS0_16reverse_iteratorISI_EEEEENSH_IJSG_SG_SG_EEES9_SI_JZNS1_25segmented_radix_sort_implINS0_14default_configELb0EPKiPiPKlPlN2at6native12_GLOBAL__N_18offset_tEEE10hipError_tPvRmT1_PNSt15iterator_traitsIS12_E10value_typeET2_T3_PNS13_IS18_E10value_typeET4_jRbjT5_S1E_jjP12ihipStream_tbEUljE_ZNSN_ISO_Lb0ESQ_SR_ST_SU_SY_EESZ_S10_S11_S12_S16_S17_S18_S1B_S1C_jS1D_jS1E_S1E_jjS1G_bEUljE0_EEESZ_S10_S11_S18_S1C_S1E_T6_T7_T9_mT8_S1G_bDpT10_ENKUlT_T0_E_clISt17integral_constantIbLb0EES1T_IbLb1EEEEDaS1P_S1Q_EUlS1P_E_NS1_11comp_targetILNS1_3genE9ELNS1_11target_archE1100ELNS1_3gpuE3ELNS1_3repE0EEENS1_30default_config_static_selectorELNS0_4arch9wavefront6targetE0EEEvS12_,@function
_ZN7rocprim17ROCPRIM_400000_NS6detail17trampoline_kernelINS0_13select_configILj256ELj13ELNS0_17block_load_methodE3ELS4_3ELS4_3ELNS0_20block_scan_algorithmE0ELj4294967295EEENS1_25partition_config_selectorILNS1_17partition_subalgoE4EjNS0_10empty_typeEbEEZZNS1_14partition_implILS8_4ELb0ES6_15HIP_vector_typeIjLj2EENS0_17counting_iteratorIjlEEPS9_SG_NS0_5tupleIJPjSI_NS0_16reverse_iteratorISI_EEEEENSH_IJSG_SG_SG_EEES9_SI_JZNS1_25segmented_radix_sort_implINS0_14default_configELb0EPKiPiPKlPlN2at6native12_GLOBAL__N_18offset_tEEE10hipError_tPvRmT1_PNSt15iterator_traitsIS12_E10value_typeET2_T3_PNS13_IS18_E10value_typeET4_jRbjT5_S1E_jjP12ihipStream_tbEUljE_ZNSN_ISO_Lb0ESQ_SR_ST_SU_SY_EESZ_S10_S11_S12_S16_S17_S18_S1B_S1C_jS1D_jS1E_S1E_jjS1G_bEUljE0_EEESZ_S10_S11_S18_S1C_S1E_T6_T7_T9_mT8_S1G_bDpT10_ENKUlT_T0_E_clISt17integral_constantIbLb0EES1T_IbLb1EEEEDaS1P_S1Q_EUlS1P_E_NS1_11comp_targetILNS1_3genE9ELNS1_11target_archE1100ELNS1_3gpuE3ELNS1_3repE0EEENS1_30default_config_static_selectorELNS0_4arch9wavefront6targetE0EEEvS12_: ; @_ZN7rocprim17ROCPRIM_400000_NS6detail17trampoline_kernelINS0_13select_configILj256ELj13ELNS0_17block_load_methodE3ELS4_3ELS4_3ELNS0_20block_scan_algorithmE0ELj4294967295EEENS1_25partition_config_selectorILNS1_17partition_subalgoE4EjNS0_10empty_typeEbEEZZNS1_14partition_implILS8_4ELb0ES6_15HIP_vector_typeIjLj2EENS0_17counting_iteratorIjlEEPS9_SG_NS0_5tupleIJPjSI_NS0_16reverse_iteratorISI_EEEEENSH_IJSG_SG_SG_EEES9_SI_JZNS1_25segmented_radix_sort_implINS0_14default_configELb0EPKiPiPKlPlN2at6native12_GLOBAL__N_18offset_tEEE10hipError_tPvRmT1_PNSt15iterator_traitsIS12_E10value_typeET2_T3_PNS13_IS18_E10value_typeET4_jRbjT5_S1E_jjP12ihipStream_tbEUljE_ZNSN_ISO_Lb0ESQ_SR_ST_SU_SY_EESZ_S10_S11_S12_S16_S17_S18_S1B_S1C_jS1D_jS1E_S1E_jjS1G_bEUljE0_EEESZ_S10_S11_S18_S1C_S1E_T6_T7_T9_mT8_S1G_bDpT10_ENKUlT_T0_E_clISt17integral_constantIbLb0EES1T_IbLb1EEEEDaS1P_S1Q_EUlS1P_E_NS1_11comp_targetILNS1_3genE9ELNS1_11target_archE1100ELNS1_3gpuE3ELNS1_3repE0EEENS1_30default_config_static_selectorELNS0_4arch9wavefront6targetE0EEEvS12_
; %bb.0:
	.section	.rodata,"a",@progbits
	.p2align	6, 0x0
	.amdhsa_kernel _ZN7rocprim17ROCPRIM_400000_NS6detail17trampoline_kernelINS0_13select_configILj256ELj13ELNS0_17block_load_methodE3ELS4_3ELS4_3ELNS0_20block_scan_algorithmE0ELj4294967295EEENS1_25partition_config_selectorILNS1_17partition_subalgoE4EjNS0_10empty_typeEbEEZZNS1_14partition_implILS8_4ELb0ES6_15HIP_vector_typeIjLj2EENS0_17counting_iteratorIjlEEPS9_SG_NS0_5tupleIJPjSI_NS0_16reverse_iteratorISI_EEEEENSH_IJSG_SG_SG_EEES9_SI_JZNS1_25segmented_radix_sort_implINS0_14default_configELb0EPKiPiPKlPlN2at6native12_GLOBAL__N_18offset_tEEE10hipError_tPvRmT1_PNSt15iterator_traitsIS12_E10value_typeET2_T3_PNS13_IS18_E10value_typeET4_jRbjT5_S1E_jjP12ihipStream_tbEUljE_ZNSN_ISO_Lb0ESQ_SR_ST_SU_SY_EESZ_S10_S11_S12_S16_S17_S18_S1B_S1C_jS1D_jS1E_S1E_jjS1G_bEUljE0_EEESZ_S10_S11_S18_S1C_S1E_T6_T7_T9_mT8_S1G_bDpT10_ENKUlT_T0_E_clISt17integral_constantIbLb0EES1T_IbLb1EEEEDaS1P_S1Q_EUlS1P_E_NS1_11comp_targetILNS1_3genE9ELNS1_11target_archE1100ELNS1_3gpuE3ELNS1_3repE0EEENS1_30default_config_static_selectorELNS0_4arch9wavefront6targetE0EEEvS12_
		.amdhsa_group_segment_fixed_size 0
		.amdhsa_private_segment_fixed_size 0
		.amdhsa_kernarg_size 184
		.amdhsa_user_sgpr_count 2
		.amdhsa_user_sgpr_dispatch_ptr 0
		.amdhsa_user_sgpr_queue_ptr 0
		.amdhsa_user_sgpr_kernarg_segment_ptr 1
		.amdhsa_user_sgpr_dispatch_id 0
		.amdhsa_user_sgpr_kernarg_preload_length 0
		.amdhsa_user_sgpr_kernarg_preload_offset 0
		.amdhsa_user_sgpr_private_segment_size 0
		.amdhsa_wavefront_size32 1
		.amdhsa_uses_dynamic_stack 0
		.amdhsa_enable_private_segment 0
		.amdhsa_system_sgpr_workgroup_id_x 1
		.amdhsa_system_sgpr_workgroup_id_y 0
		.amdhsa_system_sgpr_workgroup_id_z 0
		.amdhsa_system_sgpr_workgroup_info 0
		.amdhsa_system_vgpr_workitem_id 0
		.amdhsa_next_free_vgpr 1
		.amdhsa_next_free_sgpr 1
		.amdhsa_named_barrier_count 0
		.amdhsa_reserve_vcc 0
		.amdhsa_float_round_mode_32 0
		.amdhsa_float_round_mode_16_64 0
		.amdhsa_float_denorm_mode_32 3
		.amdhsa_float_denorm_mode_16_64 3
		.amdhsa_fp16_overflow 0
		.amdhsa_memory_ordered 1
		.amdhsa_forward_progress 1
		.amdhsa_inst_pref_size 0
		.amdhsa_round_robin_scheduling 0
		.amdhsa_exception_fp_ieee_invalid_op 0
		.amdhsa_exception_fp_denorm_src 0
		.amdhsa_exception_fp_ieee_div_zero 0
		.amdhsa_exception_fp_ieee_overflow 0
		.amdhsa_exception_fp_ieee_underflow 0
		.amdhsa_exception_fp_ieee_inexact 0
		.amdhsa_exception_int_div_zero 0
	.end_amdhsa_kernel
	.section	.text._ZN7rocprim17ROCPRIM_400000_NS6detail17trampoline_kernelINS0_13select_configILj256ELj13ELNS0_17block_load_methodE3ELS4_3ELS4_3ELNS0_20block_scan_algorithmE0ELj4294967295EEENS1_25partition_config_selectorILNS1_17partition_subalgoE4EjNS0_10empty_typeEbEEZZNS1_14partition_implILS8_4ELb0ES6_15HIP_vector_typeIjLj2EENS0_17counting_iteratorIjlEEPS9_SG_NS0_5tupleIJPjSI_NS0_16reverse_iteratorISI_EEEEENSH_IJSG_SG_SG_EEES9_SI_JZNS1_25segmented_radix_sort_implINS0_14default_configELb0EPKiPiPKlPlN2at6native12_GLOBAL__N_18offset_tEEE10hipError_tPvRmT1_PNSt15iterator_traitsIS12_E10value_typeET2_T3_PNS13_IS18_E10value_typeET4_jRbjT5_S1E_jjP12ihipStream_tbEUljE_ZNSN_ISO_Lb0ESQ_SR_ST_SU_SY_EESZ_S10_S11_S12_S16_S17_S18_S1B_S1C_jS1D_jS1E_S1E_jjS1G_bEUljE0_EEESZ_S10_S11_S18_S1C_S1E_T6_T7_T9_mT8_S1G_bDpT10_ENKUlT_T0_E_clISt17integral_constantIbLb0EES1T_IbLb1EEEEDaS1P_S1Q_EUlS1P_E_NS1_11comp_targetILNS1_3genE9ELNS1_11target_archE1100ELNS1_3gpuE3ELNS1_3repE0EEENS1_30default_config_static_selectorELNS0_4arch9wavefront6targetE0EEEvS12_,"axG",@progbits,_ZN7rocprim17ROCPRIM_400000_NS6detail17trampoline_kernelINS0_13select_configILj256ELj13ELNS0_17block_load_methodE3ELS4_3ELS4_3ELNS0_20block_scan_algorithmE0ELj4294967295EEENS1_25partition_config_selectorILNS1_17partition_subalgoE4EjNS0_10empty_typeEbEEZZNS1_14partition_implILS8_4ELb0ES6_15HIP_vector_typeIjLj2EENS0_17counting_iteratorIjlEEPS9_SG_NS0_5tupleIJPjSI_NS0_16reverse_iteratorISI_EEEEENSH_IJSG_SG_SG_EEES9_SI_JZNS1_25segmented_radix_sort_implINS0_14default_configELb0EPKiPiPKlPlN2at6native12_GLOBAL__N_18offset_tEEE10hipError_tPvRmT1_PNSt15iterator_traitsIS12_E10value_typeET2_T3_PNS13_IS18_E10value_typeET4_jRbjT5_S1E_jjP12ihipStream_tbEUljE_ZNSN_ISO_Lb0ESQ_SR_ST_SU_SY_EESZ_S10_S11_S12_S16_S17_S18_S1B_S1C_jS1D_jS1E_S1E_jjS1G_bEUljE0_EEESZ_S10_S11_S18_S1C_S1E_T6_T7_T9_mT8_S1G_bDpT10_ENKUlT_T0_E_clISt17integral_constantIbLb0EES1T_IbLb1EEEEDaS1P_S1Q_EUlS1P_E_NS1_11comp_targetILNS1_3genE9ELNS1_11target_archE1100ELNS1_3gpuE3ELNS1_3repE0EEENS1_30default_config_static_selectorELNS0_4arch9wavefront6targetE0EEEvS12_,comdat
.Lfunc_end562:
	.size	_ZN7rocprim17ROCPRIM_400000_NS6detail17trampoline_kernelINS0_13select_configILj256ELj13ELNS0_17block_load_methodE3ELS4_3ELS4_3ELNS0_20block_scan_algorithmE0ELj4294967295EEENS1_25partition_config_selectorILNS1_17partition_subalgoE4EjNS0_10empty_typeEbEEZZNS1_14partition_implILS8_4ELb0ES6_15HIP_vector_typeIjLj2EENS0_17counting_iteratorIjlEEPS9_SG_NS0_5tupleIJPjSI_NS0_16reverse_iteratorISI_EEEEENSH_IJSG_SG_SG_EEES9_SI_JZNS1_25segmented_radix_sort_implINS0_14default_configELb0EPKiPiPKlPlN2at6native12_GLOBAL__N_18offset_tEEE10hipError_tPvRmT1_PNSt15iterator_traitsIS12_E10value_typeET2_T3_PNS13_IS18_E10value_typeET4_jRbjT5_S1E_jjP12ihipStream_tbEUljE_ZNSN_ISO_Lb0ESQ_SR_ST_SU_SY_EESZ_S10_S11_S12_S16_S17_S18_S1B_S1C_jS1D_jS1E_S1E_jjS1G_bEUljE0_EEESZ_S10_S11_S18_S1C_S1E_T6_T7_T9_mT8_S1G_bDpT10_ENKUlT_T0_E_clISt17integral_constantIbLb0EES1T_IbLb1EEEEDaS1P_S1Q_EUlS1P_E_NS1_11comp_targetILNS1_3genE9ELNS1_11target_archE1100ELNS1_3gpuE3ELNS1_3repE0EEENS1_30default_config_static_selectorELNS0_4arch9wavefront6targetE0EEEvS12_, .Lfunc_end562-_ZN7rocprim17ROCPRIM_400000_NS6detail17trampoline_kernelINS0_13select_configILj256ELj13ELNS0_17block_load_methodE3ELS4_3ELS4_3ELNS0_20block_scan_algorithmE0ELj4294967295EEENS1_25partition_config_selectorILNS1_17partition_subalgoE4EjNS0_10empty_typeEbEEZZNS1_14partition_implILS8_4ELb0ES6_15HIP_vector_typeIjLj2EENS0_17counting_iteratorIjlEEPS9_SG_NS0_5tupleIJPjSI_NS0_16reverse_iteratorISI_EEEEENSH_IJSG_SG_SG_EEES9_SI_JZNS1_25segmented_radix_sort_implINS0_14default_configELb0EPKiPiPKlPlN2at6native12_GLOBAL__N_18offset_tEEE10hipError_tPvRmT1_PNSt15iterator_traitsIS12_E10value_typeET2_T3_PNS13_IS18_E10value_typeET4_jRbjT5_S1E_jjP12ihipStream_tbEUljE_ZNSN_ISO_Lb0ESQ_SR_ST_SU_SY_EESZ_S10_S11_S12_S16_S17_S18_S1B_S1C_jS1D_jS1E_S1E_jjS1G_bEUljE0_EEESZ_S10_S11_S18_S1C_S1E_T6_T7_T9_mT8_S1G_bDpT10_ENKUlT_T0_E_clISt17integral_constantIbLb0EES1T_IbLb1EEEEDaS1P_S1Q_EUlS1P_E_NS1_11comp_targetILNS1_3genE9ELNS1_11target_archE1100ELNS1_3gpuE3ELNS1_3repE0EEENS1_30default_config_static_selectorELNS0_4arch9wavefront6targetE0EEEvS12_
                                        ; -- End function
	.set _ZN7rocprim17ROCPRIM_400000_NS6detail17trampoline_kernelINS0_13select_configILj256ELj13ELNS0_17block_load_methodE3ELS4_3ELS4_3ELNS0_20block_scan_algorithmE0ELj4294967295EEENS1_25partition_config_selectorILNS1_17partition_subalgoE4EjNS0_10empty_typeEbEEZZNS1_14partition_implILS8_4ELb0ES6_15HIP_vector_typeIjLj2EENS0_17counting_iteratorIjlEEPS9_SG_NS0_5tupleIJPjSI_NS0_16reverse_iteratorISI_EEEEENSH_IJSG_SG_SG_EEES9_SI_JZNS1_25segmented_radix_sort_implINS0_14default_configELb0EPKiPiPKlPlN2at6native12_GLOBAL__N_18offset_tEEE10hipError_tPvRmT1_PNSt15iterator_traitsIS12_E10value_typeET2_T3_PNS13_IS18_E10value_typeET4_jRbjT5_S1E_jjP12ihipStream_tbEUljE_ZNSN_ISO_Lb0ESQ_SR_ST_SU_SY_EESZ_S10_S11_S12_S16_S17_S18_S1B_S1C_jS1D_jS1E_S1E_jjS1G_bEUljE0_EEESZ_S10_S11_S18_S1C_S1E_T6_T7_T9_mT8_S1G_bDpT10_ENKUlT_T0_E_clISt17integral_constantIbLb0EES1T_IbLb1EEEEDaS1P_S1Q_EUlS1P_E_NS1_11comp_targetILNS1_3genE9ELNS1_11target_archE1100ELNS1_3gpuE3ELNS1_3repE0EEENS1_30default_config_static_selectorELNS0_4arch9wavefront6targetE0EEEvS12_.num_vgpr, 0
	.set _ZN7rocprim17ROCPRIM_400000_NS6detail17trampoline_kernelINS0_13select_configILj256ELj13ELNS0_17block_load_methodE3ELS4_3ELS4_3ELNS0_20block_scan_algorithmE0ELj4294967295EEENS1_25partition_config_selectorILNS1_17partition_subalgoE4EjNS0_10empty_typeEbEEZZNS1_14partition_implILS8_4ELb0ES6_15HIP_vector_typeIjLj2EENS0_17counting_iteratorIjlEEPS9_SG_NS0_5tupleIJPjSI_NS0_16reverse_iteratorISI_EEEEENSH_IJSG_SG_SG_EEES9_SI_JZNS1_25segmented_radix_sort_implINS0_14default_configELb0EPKiPiPKlPlN2at6native12_GLOBAL__N_18offset_tEEE10hipError_tPvRmT1_PNSt15iterator_traitsIS12_E10value_typeET2_T3_PNS13_IS18_E10value_typeET4_jRbjT5_S1E_jjP12ihipStream_tbEUljE_ZNSN_ISO_Lb0ESQ_SR_ST_SU_SY_EESZ_S10_S11_S12_S16_S17_S18_S1B_S1C_jS1D_jS1E_S1E_jjS1G_bEUljE0_EEESZ_S10_S11_S18_S1C_S1E_T6_T7_T9_mT8_S1G_bDpT10_ENKUlT_T0_E_clISt17integral_constantIbLb0EES1T_IbLb1EEEEDaS1P_S1Q_EUlS1P_E_NS1_11comp_targetILNS1_3genE9ELNS1_11target_archE1100ELNS1_3gpuE3ELNS1_3repE0EEENS1_30default_config_static_selectorELNS0_4arch9wavefront6targetE0EEEvS12_.num_agpr, 0
	.set _ZN7rocprim17ROCPRIM_400000_NS6detail17trampoline_kernelINS0_13select_configILj256ELj13ELNS0_17block_load_methodE3ELS4_3ELS4_3ELNS0_20block_scan_algorithmE0ELj4294967295EEENS1_25partition_config_selectorILNS1_17partition_subalgoE4EjNS0_10empty_typeEbEEZZNS1_14partition_implILS8_4ELb0ES6_15HIP_vector_typeIjLj2EENS0_17counting_iteratorIjlEEPS9_SG_NS0_5tupleIJPjSI_NS0_16reverse_iteratorISI_EEEEENSH_IJSG_SG_SG_EEES9_SI_JZNS1_25segmented_radix_sort_implINS0_14default_configELb0EPKiPiPKlPlN2at6native12_GLOBAL__N_18offset_tEEE10hipError_tPvRmT1_PNSt15iterator_traitsIS12_E10value_typeET2_T3_PNS13_IS18_E10value_typeET4_jRbjT5_S1E_jjP12ihipStream_tbEUljE_ZNSN_ISO_Lb0ESQ_SR_ST_SU_SY_EESZ_S10_S11_S12_S16_S17_S18_S1B_S1C_jS1D_jS1E_S1E_jjS1G_bEUljE0_EEESZ_S10_S11_S18_S1C_S1E_T6_T7_T9_mT8_S1G_bDpT10_ENKUlT_T0_E_clISt17integral_constantIbLb0EES1T_IbLb1EEEEDaS1P_S1Q_EUlS1P_E_NS1_11comp_targetILNS1_3genE9ELNS1_11target_archE1100ELNS1_3gpuE3ELNS1_3repE0EEENS1_30default_config_static_selectorELNS0_4arch9wavefront6targetE0EEEvS12_.numbered_sgpr, 0
	.set _ZN7rocprim17ROCPRIM_400000_NS6detail17trampoline_kernelINS0_13select_configILj256ELj13ELNS0_17block_load_methodE3ELS4_3ELS4_3ELNS0_20block_scan_algorithmE0ELj4294967295EEENS1_25partition_config_selectorILNS1_17partition_subalgoE4EjNS0_10empty_typeEbEEZZNS1_14partition_implILS8_4ELb0ES6_15HIP_vector_typeIjLj2EENS0_17counting_iteratorIjlEEPS9_SG_NS0_5tupleIJPjSI_NS0_16reverse_iteratorISI_EEEEENSH_IJSG_SG_SG_EEES9_SI_JZNS1_25segmented_radix_sort_implINS0_14default_configELb0EPKiPiPKlPlN2at6native12_GLOBAL__N_18offset_tEEE10hipError_tPvRmT1_PNSt15iterator_traitsIS12_E10value_typeET2_T3_PNS13_IS18_E10value_typeET4_jRbjT5_S1E_jjP12ihipStream_tbEUljE_ZNSN_ISO_Lb0ESQ_SR_ST_SU_SY_EESZ_S10_S11_S12_S16_S17_S18_S1B_S1C_jS1D_jS1E_S1E_jjS1G_bEUljE0_EEESZ_S10_S11_S18_S1C_S1E_T6_T7_T9_mT8_S1G_bDpT10_ENKUlT_T0_E_clISt17integral_constantIbLb0EES1T_IbLb1EEEEDaS1P_S1Q_EUlS1P_E_NS1_11comp_targetILNS1_3genE9ELNS1_11target_archE1100ELNS1_3gpuE3ELNS1_3repE0EEENS1_30default_config_static_selectorELNS0_4arch9wavefront6targetE0EEEvS12_.num_named_barrier, 0
	.set _ZN7rocprim17ROCPRIM_400000_NS6detail17trampoline_kernelINS0_13select_configILj256ELj13ELNS0_17block_load_methodE3ELS4_3ELS4_3ELNS0_20block_scan_algorithmE0ELj4294967295EEENS1_25partition_config_selectorILNS1_17partition_subalgoE4EjNS0_10empty_typeEbEEZZNS1_14partition_implILS8_4ELb0ES6_15HIP_vector_typeIjLj2EENS0_17counting_iteratorIjlEEPS9_SG_NS0_5tupleIJPjSI_NS0_16reverse_iteratorISI_EEEEENSH_IJSG_SG_SG_EEES9_SI_JZNS1_25segmented_radix_sort_implINS0_14default_configELb0EPKiPiPKlPlN2at6native12_GLOBAL__N_18offset_tEEE10hipError_tPvRmT1_PNSt15iterator_traitsIS12_E10value_typeET2_T3_PNS13_IS18_E10value_typeET4_jRbjT5_S1E_jjP12ihipStream_tbEUljE_ZNSN_ISO_Lb0ESQ_SR_ST_SU_SY_EESZ_S10_S11_S12_S16_S17_S18_S1B_S1C_jS1D_jS1E_S1E_jjS1G_bEUljE0_EEESZ_S10_S11_S18_S1C_S1E_T6_T7_T9_mT8_S1G_bDpT10_ENKUlT_T0_E_clISt17integral_constantIbLb0EES1T_IbLb1EEEEDaS1P_S1Q_EUlS1P_E_NS1_11comp_targetILNS1_3genE9ELNS1_11target_archE1100ELNS1_3gpuE3ELNS1_3repE0EEENS1_30default_config_static_selectorELNS0_4arch9wavefront6targetE0EEEvS12_.private_seg_size, 0
	.set _ZN7rocprim17ROCPRIM_400000_NS6detail17trampoline_kernelINS0_13select_configILj256ELj13ELNS0_17block_load_methodE3ELS4_3ELS4_3ELNS0_20block_scan_algorithmE0ELj4294967295EEENS1_25partition_config_selectorILNS1_17partition_subalgoE4EjNS0_10empty_typeEbEEZZNS1_14partition_implILS8_4ELb0ES6_15HIP_vector_typeIjLj2EENS0_17counting_iteratorIjlEEPS9_SG_NS0_5tupleIJPjSI_NS0_16reverse_iteratorISI_EEEEENSH_IJSG_SG_SG_EEES9_SI_JZNS1_25segmented_radix_sort_implINS0_14default_configELb0EPKiPiPKlPlN2at6native12_GLOBAL__N_18offset_tEEE10hipError_tPvRmT1_PNSt15iterator_traitsIS12_E10value_typeET2_T3_PNS13_IS18_E10value_typeET4_jRbjT5_S1E_jjP12ihipStream_tbEUljE_ZNSN_ISO_Lb0ESQ_SR_ST_SU_SY_EESZ_S10_S11_S12_S16_S17_S18_S1B_S1C_jS1D_jS1E_S1E_jjS1G_bEUljE0_EEESZ_S10_S11_S18_S1C_S1E_T6_T7_T9_mT8_S1G_bDpT10_ENKUlT_T0_E_clISt17integral_constantIbLb0EES1T_IbLb1EEEEDaS1P_S1Q_EUlS1P_E_NS1_11comp_targetILNS1_3genE9ELNS1_11target_archE1100ELNS1_3gpuE3ELNS1_3repE0EEENS1_30default_config_static_selectorELNS0_4arch9wavefront6targetE0EEEvS12_.uses_vcc, 0
	.set _ZN7rocprim17ROCPRIM_400000_NS6detail17trampoline_kernelINS0_13select_configILj256ELj13ELNS0_17block_load_methodE3ELS4_3ELS4_3ELNS0_20block_scan_algorithmE0ELj4294967295EEENS1_25partition_config_selectorILNS1_17partition_subalgoE4EjNS0_10empty_typeEbEEZZNS1_14partition_implILS8_4ELb0ES6_15HIP_vector_typeIjLj2EENS0_17counting_iteratorIjlEEPS9_SG_NS0_5tupleIJPjSI_NS0_16reverse_iteratorISI_EEEEENSH_IJSG_SG_SG_EEES9_SI_JZNS1_25segmented_radix_sort_implINS0_14default_configELb0EPKiPiPKlPlN2at6native12_GLOBAL__N_18offset_tEEE10hipError_tPvRmT1_PNSt15iterator_traitsIS12_E10value_typeET2_T3_PNS13_IS18_E10value_typeET4_jRbjT5_S1E_jjP12ihipStream_tbEUljE_ZNSN_ISO_Lb0ESQ_SR_ST_SU_SY_EESZ_S10_S11_S12_S16_S17_S18_S1B_S1C_jS1D_jS1E_S1E_jjS1G_bEUljE0_EEESZ_S10_S11_S18_S1C_S1E_T6_T7_T9_mT8_S1G_bDpT10_ENKUlT_T0_E_clISt17integral_constantIbLb0EES1T_IbLb1EEEEDaS1P_S1Q_EUlS1P_E_NS1_11comp_targetILNS1_3genE9ELNS1_11target_archE1100ELNS1_3gpuE3ELNS1_3repE0EEENS1_30default_config_static_selectorELNS0_4arch9wavefront6targetE0EEEvS12_.uses_flat_scratch, 0
	.set _ZN7rocprim17ROCPRIM_400000_NS6detail17trampoline_kernelINS0_13select_configILj256ELj13ELNS0_17block_load_methodE3ELS4_3ELS4_3ELNS0_20block_scan_algorithmE0ELj4294967295EEENS1_25partition_config_selectorILNS1_17partition_subalgoE4EjNS0_10empty_typeEbEEZZNS1_14partition_implILS8_4ELb0ES6_15HIP_vector_typeIjLj2EENS0_17counting_iteratorIjlEEPS9_SG_NS0_5tupleIJPjSI_NS0_16reverse_iteratorISI_EEEEENSH_IJSG_SG_SG_EEES9_SI_JZNS1_25segmented_radix_sort_implINS0_14default_configELb0EPKiPiPKlPlN2at6native12_GLOBAL__N_18offset_tEEE10hipError_tPvRmT1_PNSt15iterator_traitsIS12_E10value_typeET2_T3_PNS13_IS18_E10value_typeET4_jRbjT5_S1E_jjP12ihipStream_tbEUljE_ZNSN_ISO_Lb0ESQ_SR_ST_SU_SY_EESZ_S10_S11_S12_S16_S17_S18_S1B_S1C_jS1D_jS1E_S1E_jjS1G_bEUljE0_EEESZ_S10_S11_S18_S1C_S1E_T6_T7_T9_mT8_S1G_bDpT10_ENKUlT_T0_E_clISt17integral_constantIbLb0EES1T_IbLb1EEEEDaS1P_S1Q_EUlS1P_E_NS1_11comp_targetILNS1_3genE9ELNS1_11target_archE1100ELNS1_3gpuE3ELNS1_3repE0EEENS1_30default_config_static_selectorELNS0_4arch9wavefront6targetE0EEEvS12_.has_dyn_sized_stack, 0
	.set _ZN7rocprim17ROCPRIM_400000_NS6detail17trampoline_kernelINS0_13select_configILj256ELj13ELNS0_17block_load_methodE3ELS4_3ELS4_3ELNS0_20block_scan_algorithmE0ELj4294967295EEENS1_25partition_config_selectorILNS1_17partition_subalgoE4EjNS0_10empty_typeEbEEZZNS1_14partition_implILS8_4ELb0ES6_15HIP_vector_typeIjLj2EENS0_17counting_iteratorIjlEEPS9_SG_NS0_5tupleIJPjSI_NS0_16reverse_iteratorISI_EEEEENSH_IJSG_SG_SG_EEES9_SI_JZNS1_25segmented_radix_sort_implINS0_14default_configELb0EPKiPiPKlPlN2at6native12_GLOBAL__N_18offset_tEEE10hipError_tPvRmT1_PNSt15iterator_traitsIS12_E10value_typeET2_T3_PNS13_IS18_E10value_typeET4_jRbjT5_S1E_jjP12ihipStream_tbEUljE_ZNSN_ISO_Lb0ESQ_SR_ST_SU_SY_EESZ_S10_S11_S12_S16_S17_S18_S1B_S1C_jS1D_jS1E_S1E_jjS1G_bEUljE0_EEESZ_S10_S11_S18_S1C_S1E_T6_T7_T9_mT8_S1G_bDpT10_ENKUlT_T0_E_clISt17integral_constantIbLb0EES1T_IbLb1EEEEDaS1P_S1Q_EUlS1P_E_NS1_11comp_targetILNS1_3genE9ELNS1_11target_archE1100ELNS1_3gpuE3ELNS1_3repE0EEENS1_30default_config_static_selectorELNS0_4arch9wavefront6targetE0EEEvS12_.has_recursion, 0
	.set _ZN7rocprim17ROCPRIM_400000_NS6detail17trampoline_kernelINS0_13select_configILj256ELj13ELNS0_17block_load_methodE3ELS4_3ELS4_3ELNS0_20block_scan_algorithmE0ELj4294967295EEENS1_25partition_config_selectorILNS1_17partition_subalgoE4EjNS0_10empty_typeEbEEZZNS1_14partition_implILS8_4ELb0ES6_15HIP_vector_typeIjLj2EENS0_17counting_iteratorIjlEEPS9_SG_NS0_5tupleIJPjSI_NS0_16reverse_iteratorISI_EEEEENSH_IJSG_SG_SG_EEES9_SI_JZNS1_25segmented_radix_sort_implINS0_14default_configELb0EPKiPiPKlPlN2at6native12_GLOBAL__N_18offset_tEEE10hipError_tPvRmT1_PNSt15iterator_traitsIS12_E10value_typeET2_T3_PNS13_IS18_E10value_typeET4_jRbjT5_S1E_jjP12ihipStream_tbEUljE_ZNSN_ISO_Lb0ESQ_SR_ST_SU_SY_EESZ_S10_S11_S12_S16_S17_S18_S1B_S1C_jS1D_jS1E_S1E_jjS1G_bEUljE0_EEESZ_S10_S11_S18_S1C_S1E_T6_T7_T9_mT8_S1G_bDpT10_ENKUlT_T0_E_clISt17integral_constantIbLb0EES1T_IbLb1EEEEDaS1P_S1Q_EUlS1P_E_NS1_11comp_targetILNS1_3genE9ELNS1_11target_archE1100ELNS1_3gpuE3ELNS1_3repE0EEENS1_30default_config_static_selectorELNS0_4arch9wavefront6targetE0EEEvS12_.has_indirect_call, 0
	.section	.AMDGPU.csdata,"",@progbits
; Kernel info:
; codeLenInByte = 0
; TotalNumSgprs: 0
; NumVgprs: 0
; ScratchSize: 0
; MemoryBound: 0
; FloatMode: 240
; IeeeMode: 1
; LDSByteSize: 0 bytes/workgroup (compile time only)
; SGPRBlocks: 0
; VGPRBlocks: 0
; NumSGPRsForWavesPerEU: 1
; NumVGPRsForWavesPerEU: 1
; NamedBarCnt: 0
; Occupancy: 16
; WaveLimiterHint : 0
; COMPUTE_PGM_RSRC2:SCRATCH_EN: 0
; COMPUTE_PGM_RSRC2:USER_SGPR: 2
; COMPUTE_PGM_RSRC2:TRAP_HANDLER: 0
; COMPUTE_PGM_RSRC2:TGID_X_EN: 1
; COMPUTE_PGM_RSRC2:TGID_Y_EN: 0
; COMPUTE_PGM_RSRC2:TGID_Z_EN: 0
; COMPUTE_PGM_RSRC2:TIDIG_COMP_CNT: 0
	.section	.text._ZN7rocprim17ROCPRIM_400000_NS6detail17trampoline_kernelINS0_13select_configILj256ELj13ELNS0_17block_load_methodE3ELS4_3ELS4_3ELNS0_20block_scan_algorithmE0ELj4294967295EEENS1_25partition_config_selectorILNS1_17partition_subalgoE4EjNS0_10empty_typeEbEEZZNS1_14partition_implILS8_4ELb0ES6_15HIP_vector_typeIjLj2EENS0_17counting_iteratorIjlEEPS9_SG_NS0_5tupleIJPjSI_NS0_16reverse_iteratorISI_EEEEENSH_IJSG_SG_SG_EEES9_SI_JZNS1_25segmented_radix_sort_implINS0_14default_configELb0EPKiPiPKlPlN2at6native12_GLOBAL__N_18offset_tEEE10hipError_tPvRmT1_PNSt15iterator_traitsIS12_E10value_typeET2_T3_PNS13_IS18_E10value_typeET4_jRbjT5_S1E_jjP12ihipStream_tbEUljE_ZNSN_ISO_Lb0ESQ_SR_ST_SU_SY_EESZ_S10_S11_S12_S16_S17_S18_S1B_S1C_jS1D_jS1E_S1E_jjS1G_bEUljE0_EEESZ_S10_S11_S18_S1C_S1E_T6_T7_T9_mT8_S1G_bDpT10_ENKUlT_T0_E_clISt17integral_constantIbLb0EES1T_IbLb1EEEEDaS1P_S1Q_EUlS1P_E_NS1_11comp_targetILNS1_3genE8ELNS1_11target_archE1030ELNS1_3gpuE2ELNS1_3repE0EEENS1_30default_config_static_selectorELNS0_4arch9wavefront6targetE0EEEvS12_,"axG",@progbits,_ZN7rocprim17ROCPRIM_400000_NS6detail17trampoline_kernelINS0_13select_configILj256ELj13ELNS0_17block_load_methodE3ELS4_3ELS4_3ELNS0_20block_scan_algorithmE0ELj4294967295EEENS1_25partition_config_selectorILNS1_17partition_subalgoE4EjNS0_10empty_typeEbEEZZNS1_14partition_implILS8_4ELb0ES6_15HIP_vector_typeIjLj2EENS0_17counting_iteratorIjlEEPS9_SG_NS0_5tupleIJPjSI_NS0_16reverse_iteratorISI_EEEEENSH_IJSG_SG_SG_EEES9_SI_JZNS1_25segmented_radix_sort_implINS0_14default_configELb0EPKiPiPKlPlN2at6native12_GLOBAL__N_18offset_tEEE10hipError_tPvRmT1_PNSt15iterator_traitsIS12_E10value_typeET2_T3_PNS13_IS18_E10value_typeET4_jRbjT5_S1E_jjP12ihipStream_tbEUljE_ZNSN_ISO_Lb0ESQ_SR_ST_SU_SY_EESZ_S10_S11_S12_S16_S17_S18_S1B_S1C_jS1D_jS1E_S1E_jjS1G_bEUljE0_EEESZ_S10_S11_S18_S1C_S1E_T6_T7_T9_mT8_S1G_bDpT10_ENKUlT_T0_E_clISt17integral_constantIbLb0EES1T_IbLb1EEEEDaS1P_S1Q_EUlS1P_E_NS1_11comp_targetILNS1_3genE8ELNS1_11target_archE1030ELNS1_3gpuE2ELNS1_3repE0EEENS1_30default_config_static_selectorELNS0_4arch9wavefront6targetE0EEEvS12_,comdat
	.globl	_ZN7rocprim17ROCPRIM_400000_NS6detail17trampoline_kernelINS0_13select_configILj256ELj13ELNS0_17block_load_methodE3ELS4_3ELS4_3ELNS0_20block_scan_algorithmE0ELj4294967295EEENS1_25partition_config_selectorILNS1_17partition_subalgoE4EjNS0_10empty_typeEbEEZZNS1_14partition_implILS8_4ELb0ES6_15HIP_vector_typeIjLj2EENS0_17counting_iteratorIjlEEPS9_SG_NS0_5tupleIJPjSI_NS0_16reverse_iteratorISI_EEEEENSH_IJSG_SG_SG_EEES9_SI_JZNS1_25segmented_radix_sort_implINS0_14default_configELb0EPKiPiPKlPlN2at6native12_GLOBAL__N_18offset_tEEE10hipError_tPvRmT1_PNSt15iterator_traitsIS12_E10value_typeET2_T3_PNS13_IS18_E10value_typeET4_jRbjT5_S1E_jjP12ihipStream_tbEUljE_ZNSN_ISO_Lb0ESQ_SR_ST_SU_SY_EESZ_S10_S11_S12_S16_S17_S18_S1B_S1C_jS1D_jS1E_S1E_jjS1G_bEUljE0_EEESZ_S10_S11_S18_S1C_S1E_T6_T7_T9_mT8_S1G_bDpT10_ENKUlT_T0_E_clISt17integral_constantIbLb0EES1T_IbLb1EEEEDaS1P_S1Q_EUlS1P_E_NS1_11comp_targetILNS1_3genE8ELNS1_11target_archE1030ELNS1_3gpuE2ELNS1_3repE0EEENS1_30default_config_static_selectorELNS0_4arch9wavefront6targetE0EEEvS12_ ; -- Begin function _ZN7rocprim17ROCPRIM_400000_NS6detail17trampoline_kernelINS0_13select_configILj256ELj13ELNS0_17block_load_methodE3ELS4_3ELS4_3ELNS0_20block_scan_algorithmE0ELj4294967295EEENS1_25partition_config_selectorILNS1_17partition_subalgoE4EjNS0_10empty_typeEbEEZZNS1_14partition_implILS8_4ELb0ES6_15HIP_vector_typeIjLj2EENS0_17counting_iteratorIjlEEPS9_SG_NS0_5tupleIJPjSI_NS0_16reverse_iteratorISI_EEEEENSH_IJSG_SG_SG_EEES9_SI_JZNS1_25segmented_radix_sort_implINS0_14default_configELb0EPKiPiPKlPlN2at6native12_GLOBAL__N_18offset_tEEE10hipError_tPvRmT1_PNSt15iterator_traitsIS12_E10value_typeET2_T3_PNS13_IS18_E10value_typeET4_jRbjT5_S1E_jjP12ihipStream_tbEUljE_ZNSN_ISO_Lb0ESQ_SR_ST_SU_SY_EESZ_S10_S11_S12_S16_S17_S18_S1B_S1C_jS1D_jS1E_S1E_jjS1G_bEUljE0_EEESZ_S10_S11_S18_S1C_S1E_T6_T7_T9_mT8_S1G_bDpT10_ENKUlT_T0_E_clISt17integral_constantIbLb0EES1T_IbLb1EEEEDaS1P_S1Q_EUlS1P_E_NS1_11comp_targetILNS1_3genE8ELNS1_11target_archE1030ELNS1_3gpuE2ELNS1_3repE0EEENS1_30default_config_static_selectorELNS0_4arch9wavefront6targetE0EEEvS12_
	.p2align	8
	.type	_ZN7rocprim17ROCPRIM_400000_NS6detail17trampoline_kernelINS0_13select_configILj256ELj13ELNS0_17block_load_methodE3ELS4_3ELS4_3ELNS0_20block_scan_algorithmE0ELj4294967295EEENS1_25partition_config_selectorILNS1_17partition_subalgoE4EjNS0_10empty_typeEbEEZZNS1_14partition_implILS8_4ELb0ES6_15HIP_vector_typeIjLj2EENS0_17counting_iteratorIjlEEPS9_SG_NS0_5tupleIJPjSI_NS0_16reverse_iteratorISI_EEEEENSH_IJSG_SG_SG_EEES9_SI_JZNS1_25segmented_radix_sort_implINS0_14default_configELb0EPKiPiPKlPlN2at6native12_GLOBAL__N_18offset_tEEE10hipError_tPvRmT1_PNSt15iterator_traitsIS12_E10value_typeET2_T3_PNS13_IS18_E10value_typeET4_jRbjT5_S1E_jjP12ihipStream_tbEUljE_ZNSN_ISO_Lb0ESQ_SR_ST_SU_SY_EESZ_S10_S11_S12_S16_S17_S18_S1B_S1C_jS1D_jS1E_S1E_jjS1G_bEUljE0_EEESZ_S10_S11_S18_S1C_S1E_T6_T7_T9_mT8_S1G_bDpT10_ENKUlT_T0_E_clISt17integral_constantIbLb0EES1T_IbLb1EEEEDaS1P_S1Q_EUlS1P_E_NS1_11comp_targetILNS1_3genE8ELNS1_11target_archE1030ELNS1_3gpuE2ELNS1_3repE0EEENS1_30default_config_static_selectorELNS0_4arch9wavefront6targetE0EEEvS12_,@function
_ZN7rocprim17ROCPRIM_400000_NS6detail17trampoline_kernelINS0_13select_configILj256ELj13ELNS0_17block_load_methodE3ELS4_3ELS4_3ELNS0_20block_scan_algorithmE0ELj4294967295EEENS1_25partition_config_selectorILNS1_17partition_subalgoE4EjNS0_10empty_typeEbEEZZNS1_14partition_implILS8_4ELb0ES6_15HIP_vector_typeIjLj2EENS0_17counting_iteratorIjlEEPS9_SG_NS0_5tupleIJPjSI_NS0_16reverse_iteratorISI_EEEEENSH_IJSG_SG_SG_EEES9_SI_JZNS1_25segmented_radix_sort_implINS0_14default_configELb0EPKiPiPKlPlN2at6native12_GLOBAL__N_18offset_tEEE10hipError_tPvRmT1_PNSt15iterator_traitsIS12_E10value_typeET2_T3_PNS13_IS18_E10value_typeET4_jRbjT5_S1E_jjP12ihipStream_tbEUljE_ZNSN_ISO_Lb0ESQ_SR_ST_SU_SY_EESZ_S10_S11_S12_S16_S17_S18_S1B_S1C_jS1D_jS1E_S1E_jjS1G_bEUljE0_EEESZ_S10_S11_S18_S1C_S1E_T6_T7_T9_mT8_S1G_bDpT10_ENKUlT_T0_E_clISt17integral_constantIbLb0EES1T_IbLb1EEEEDaS1P_S1Q_EUlS1P_E_NS1_11comp_targetILNS1_3genE8ELNS1_11target_archE1030ELNS1_3gpuE2ELNS1_3repE0EEENS1_30default_config_static_selectorELNS0_4arch9wavefront6targetE0EEEvS12_: ; @_ZN7rocprim17ROCPRIM_400000_NS6detail17trampoline_kernelINS0_13select_configILj256ELj13ELNS0_17block_load_methodE3ELS4_3ELS4_3ELNS0_20block_scan_algorithmE0ELj4294967295EEENS1_25partition_config_selectorILNS1_17partition_subalgoE4EjNS0_10empty_typeEbEEZZNS1_14partition_implILS8_4ELb0ES6_15HIP_vector_typeIjLj2EENS0_17counting_iteratorIjlEEPS9_SG_NS0_5tupleIJPjSI_NS0_16reverse_iteratorISI_EEEEENSH_IJSG_SG_SG_EEES9_SI_JZNS1_25segmented_radix_sort_implINS0_14default_configELb0EPKiPiPKlPlN2at6native12_GLOBAL__N_18offset_tEEE10hipError_tPvRmT1_PNSt15iterator_traitsIS12_E10value_typeET2_T3_PNS13_IS18_E10value_typeET4_jRbjT5_S1E_jjP12ihipStream_tbEUljE_ZNSN_ISO_Lb0ESQ_SR_ST_SU_SY_EESZ_S10_S11_S12_S16_S17_S18_S1B_S1C_jS1D_jS1E_S1E_jjS1G_bEUljE0_EEESZ_S10_S11_S18_S1C_S1E_T6_T7_T9_mT8_S1G_bDpT10_ENKUlT_T0_E_clISt17integral_constantIbLb0EES1T_IbLb1EEEEDaS1P_S1Q_EUlS1P_E_NS1_11comp_targetILNS1_3genE8ELNS1_11target_archE1030ELNS1_3gpuE2ELNS1_3repE0EEENS1_30default_config_static_selectorELNS0_4arch9wavefront6targetE0EEEvS12_
; %bb.0:
	.section	.rodata,"a",@progbits
	.p2align	6, 0x0
	.amdhsa_kernel _ZN7rocprim17ROCPRIM_400000_NS6detail17trampoline_kernelINS0_13select_configILj256ELj13ELNS0_17block_load_methodE3ELS4_3ELS4_3ELNS0_20block_scan_algorithmE0ELj4294967295EEENS1_25partition_config_selectorILNS1_17partition_subalgoE4EjNS0_10empty_typeEbEEZZNS1_14partition_implILS8_4ELb0ES6_15HIP_vector_typeIjLj2EENS0_17counting_iteratorIjlEEPS9_SG_NS0_5tupleIJPjSI_NS0_16reverse_iteratorISI_EEEEENSH_IJSG_SG_SG_EEES9_SI_JZNS1_25segmented_radix_sort_implINS0_14default_configELb0EPKiPiPKlPlN2at6native12_GLOBAL__N_18offset_tEEE10hipError_tPvRmT1_PNSt15iterator_traitsIS12_E10value_typeET2_T3_PNS13_IS18_E10value_typeET4_jRbjT5_S1E_jjP12ihipStream_tbEUljE_ZNSN_ISO_Lb0ESQ_SR_ST_SU_SY_EESZ_S10_S11_S12_S16_S17_S18_S1B_S1C_jS1D_jS1E_S1E_jjS1G_bEUljE0_EEESZ_S10_S11_S18_S1C_S1E_T6_T7_T9_mT8_S1G_bDpT10_ENKUlT_T0_E_clISt17integral_constantIbLb0EES1T_IbLb1EEEEDaS1P_S1Q_EUlS1P_E_NS1_11comp_targetILNS1_3genE8ELNS1_11target_archE1030ELNS1_3gpuE2ELNS1_3repE0EEENS1_30default_config_static_selectorELNS0_4arch9wavefront6targetE0EEEvS12_
		.amdhsa_group_segment_fixed_size 0
		.amdhsa_private_segment_fixed_size 0
		.amdhsa_kernarg_size 184
		.amdhsa_user_sgpr_count 2
		.amdhsa_user_sgpr_dispatch_ptr 0
		.amdhsa_user_sgpr_queue_ptr 0
		.amdhsa_user_sgpr_kernarg_segment_ptr 1
		.amdhsa_user_sgpr_dispatch_id 0
		.amdhsa_user_sgpr_kernarg_preload_length 0
		.amdhsa_user_sgpr_kernarg_preload_offset 0
		.amdhsa_user_sgpr_private_segment_size 0
		.amdhsa_wavefront_size32 1
		.amdhsa_uses_dynamic_stack 0
		.amdhsa_enable_private_segment 0
		.amdhsa_system_sgpr_workgroup_id_x 1
		.amdhsa_system_sgpr_workgroup_id_y 0
		.amdhsa_system_sgpr_workgroup_id_z 0
		.amdhsa_system_sgpr_workgroup_info 0
		.amdhsa_system_vgpr_workitem_id 0
		.amdhsa_next_free_vgpr 1
		.amdhsa_next_free_sgpr 1
		.amdhsa_named_barrier_count 0
		.amdhsa_reserve_vcc 0
		.amdhsa_float_round_mode_32 0
		.amdhsa_float_round_mode_16_64 0
		.amdhsa_float_denorm_mode_32 3
		.amdhsa_float_denorm_mode_16_64 3
		.amdhsa_fp16_overflow 0
		.amdhsa_memory_ordered 1
		.amdhsa_forward_progress 1
		.amdhsa_inst_pref_size 0
		.amdhsa_round_robin_scheduling 0
		.amdhsa_exception_fp_ieee_invalid_op 0
		.amdhsa_exception_fp_denorm_src 0
		.amdhsa_exception_fp_ieee_div_zero 0
		.amdhsa_exception_fp_ieee_overflow 0
		.amdhsa_exception_fp_ieee_underflow 0
		.amdhsa_exception_fp_ieee_inexact 0
		.amdhsa_exception_int_div_zero 0
	.end_amdhsa_kernel
	.section	.text._ZN7rocprim17ROCPRIM_400000_NS6detail17trampoline_kernelINS0_13select_configILj256ELj13ELNS0_17block_load_methodE3ELS4_3ELS4_3ELNS0_20block_scan_algorithmE0ELj4294967295EEENS1_25partition_config_selectorILNS1_17partition_subalgoE4EjNS0_10empty_typeEbEEZZNS1_14partition_implILS8_4ELb0ES6_15HIP_vector_typeIjLj2EENS0_17counting_iteratorIjlEEPS9_SG_NS0_5tupleIJPjSI_NS0_16reverse_iteratorISI_EEEEENSH_IJSG_SG_SG_EEES9_SI_JZNS1_25segmented_radix_sort_implINS0_14default_configELb0EPKiPiPKlPlN2at6native12_GLOBAL__N_18offset_tEEE10hipError_tPvRmT1_PNSt15iterator_traitsIS12_E10value_typeET2_T3_PNS13_IS18_E10value_typeET4_jRbjT5_S1E_jjP12ihipStream_tbEUljE_ZNSN_ISO_Lb0ESQ_SR_ST_SU_SY_EESZ_S10_S11_S12_S16_S17_S18_S1B_S1C_jS1D_jS1E_S1E_jjS1G_bEUljE0_EEESZ_S10_S11_S18_S1C_S1E_T6_T7_T9_mT8_S1G_bDpT10_ENKUlT_T0_E_clISt17integral_constantIbLb0EES1T_IbLb1EEEEDaS1P_S1Q_EUlS1P_E_NS1_11comp_targetILNS1_3genE8ELNS1_11target_archE1030ELNS1_3gpuE2ELNS1_3repE0EEENS1_30default_config_static_selectorELNS0_4arch9wavefront6targetE0EEEvS12_,"axG",@progbits,_ZN7rocprim17ROCPRIM_400000_NS6detail17trampoline_kernelINS0_13select_configILj256ELj13ELNS0_17block_load_methodE3ELS4_3ELS4_3ELNS0_20block_scan_algorithmE0ELj4294967295EEENS1_25partition_config_selectorILNS1_17partition_subalgoE4EjNS0_10empty_typeEbEEZZNS1_14partition_implILS8_4ELb0ES6_15HIP_vector_typeIjLj2EENS0_17counting_iteratorIjlEEPS9_SG_NS0_5tupleIJPjSI_NS0_16reverse_iteratorISI_EEEEENSH_IJSG_SG_SG_EEES9_SI_JZNS1_25segmented_radix_sort_implINS0_14default_configELb0EPKiPiPKlPlN2at6native12_GLOBAL__N_18offset_tEEE10hipError_tPvRmT1_PNSt15iterator_traitsIS12_E10value_typeET2_T3_PNS13_IS18_E10value_typeET4_jRbjT5_S1E_jjP12ihipStream_tbEUljE_ZNSN_ISO_Lb0ESQ_SR_ST_SU_SY_EESZ_S10_S11_S12_S16_S17_S18_S1B_S1C_jS1D_jS1E_S1E_jjS1G_bEUljE0_EEESZ_S10_S11_S18_S1C_S1E_T6_T7_T9_mT8_S1G_bDpT10_ENKUlT_T0_E_clISt17integral_constantIbLb0EES1T_IbLb1EEEEDaS1P_S1Q_EUlS1P_E_NS1_11comp_targetILNS1_3genE8ELNS1_11target_archE1030ELNS1_3gpuE2ELNS1_3repE0EEENS1_30default_config_static_selectorELNS0_4arch9wavefront6targetE0EEEvS12_,comdat
.Lfunc_end563:
	.size	_ZN7rocprim17ROCPRIM_400000_NS6detail17trampoline_kernelINS0_13select_configILj256ELj13ELNS0_17block_load_methodE3ELS4_3ELS4_3ELNS0_20block_scan_algorithmE0ELj4294967295EEENS1_25partition_config_selectorILNS1_17partition_subalgoE4EjNS0_10empty_typeEbEEZZNS1_14partition_implILS8_4ELb0ES6_15HIP_vector_typeIjLj2EENS0_17counting_iteratorIjlEEPS9_SG_NS0_5tupleIJPjSI_NS0_16reverse_iteratorISI_EEEEENSH_IJSG_SG_SG_EEES9_SI_JZNS1_25segmented_radix_sort_implINS0_14default_configELb0EPKiPiPKlPlN2at6native12_GLOBAL__N_18offset_tEEE10hipError_tPvRmT1_PNSt15iterator_traitsIS12_E10value_typeET2_T3_PNS13_IS18_E10value_typeET4_jRbjT5_S1E_jjP12ihipStream_tbEUljE_ZNSN_ISO_Lb0ESQ_SR_ST_SU_SY_EESZ_S10_S11_S12_S16_S17_S18_S1B_S1C_jS1D_jS1E_S1E_jjS1G_bEUljE0_EEESZ_S10_S11_S18_S1C_S1E_T6_T7_T9_mT8_S1G_bDpT10_ENKUlT_T0_E_clISt17integral_constantIbLb0EES1T_IbLb1EEEEDaS1P_S1Q_EUlS1P_E_NS1_11comp_targetILNS1_3genE8ELNS1_11target_archE1030ELNS1_3gpuE2ELNS1_3repE0EEENS1_30default_config_static_selectorELNS0_4arch9wavefront6targetE0EEEvS12_, .Lfunc_end563-_ZN7rocprim17ROCPRIM_400000_NS6detail17trampoline_kernelINS0_13select_configILj256ELj13ELNS0_17block_load_methodE3ELS4_3ELS4_3ELNS0_20block_scan_algorithmE0ELj4294967295EEENS1_25partition_config_selectorILNS1_17partition_subalgoE4EjNS0_10empty_typeEbEEZZNS1_14partition_implILS8_4ELb0ES6_15HIP_vector_typeIjLj2EENS0_17counting_iteratorIjlEEPS9_SG_NS0_5tupleIJPjSI_NS0_16reverse_iteratorISI_EEEEENSH_IJSG_SG_SG_EEES9_SI_JZNS1_25segmented_radix_sort_implINS0_14default_configELb0EPKiPiPKlPlN2at6native12_GLOBAL__N_18offset_tEEE10hipError_tPvRmT1_PNSt15iterator_traitsIS12_E10value_typeET2_T3_PNS13_IS18_E10value_typeET4_jRbjT5_S1E_jjP12ihipStream_tbEUljE_ZNSN_ISO_Lb0ESQ_SR_ST_SU_SY_EESZ_S10_S11_S12_S16_S17_S18_S1B_S1C_jS1D_jS1E_S1E_jjS1G_bEUljE0_EEESZ_S10_S11_S18_S1C_S1E_T6_T7_T9_mT8_S1G_bDpT10_ENKUlT_T0_E_clISt17integral_constantIbLb0EES1T_IbLb1EEEEDaS1P_S1Q_EUlS1P_E_NS1_11comp_targetILNS1_3genE8ELNS1_11target_archE1030ELNS1_3gpuE2ELNS1_3repE0EEENS1_30default_config_static_selectorELNS0_4arch9wavefront6targetE0EEEvS12_
                                        ; -- End function
	.set _ZN7rocprim17ROCPRIM_400000_NS6detail17trampoline_kernelINS0_13select_configILj256ELj13ELNS0_17block_load_methodE3ELS4_3ELS4_3ELNS0_20block_scan_algorithmE0ELj4294967295EEENS1_25partition_config_selectorILNS1_17partition_subalgoE4EjNS0_10empty_typeEbEEZZNS1_14partition_implILS8_4ELb0ES6_15HIP_vector_typeIjLj2EENS0_17counting_iteratorIjlEEPS9_SG_NS0_5tupleIJPjSI_NS0_16reverse_iteratorISI_EEEEENSH_IJSG_SG_SG_EEES9_SI_JZNS1_25segmented_radix_sort_implINS0_14default_configELb0EPKiPiPKlPlN2at6native12_GLOBAL__N_18offset_tEEE10hipError_tPvRmT1_PNSt15iterator_traitsIS12_E10value_typeET2_T3_PNS13_IS18_E10value_typeET4_jRbjT5_S1E_jjP12ihipStream_tbEUljE_ZNSN_ISO_Lb0ESQ_SR_ST_SU_SY_EESZ_S10_S11_S12_S16_S17_S18_S1B_S1C_jS1D_jS1E_S1E_jjS1G_bEUljE0_EEESZ_S10_S11_S18_S1C_S1E_T6_T7_T9_mT8_S1G_bDpT10_ENKUlT_T0_E_clISt17integral_constantIbLb0EES1T_IbLb1EEEEDaS1P_S1Q_EUlS1P_E_NS1_11comp_targetILNS1_3genE8ELNS1_11target_archE1030ELNS1_3gpuE2ELNS1_3repE0EEENS1_30default_config_static_selectorELNS0_4arch9wavefront6targetE0EEEvS12_.num_vgpr, 0
	.set _ZN7rocprim17ROCPRIM_400000_NS6detail17trampoline_kernelINS0_13select_configILj256ELj13ELNS0_17block_load_methodE3ELS4_3ELS4_3ELNS0_20block_scan_algorithmE0ELj4294967295EEENS1_25partition_config_selectorILNS1_17partition_subalgoE4EjNS0_10empty_typeEbEEZZNS1_14partition_implILS8_4ELb0ES6_15HIP_vector_typeIjLj2EENS0_17counting_iteratorIjlEEPS9_SG_NS0_5tupleIJPjSI_NS0_16reverse_iteratorISI_EEEEENSH_IJSG_SG_SG_EEES9_SI_JZNS1_25segmented_radix_sort_implINS0_14default_configELb0EPKiPiPKlPlN2at6native12_GLOBAL__N_18offset_tEEE10hipError_tPvRmT1_PNSt15iterator_traitsIS12_E10value_typeET2_T3_PNS13_IS18_E10value_typeET4_jRbjT5_S1E_jjP12ihipStream_tbEUljE_ZNSN_ISO_Lb0ESQ_SR_ST_SU_SY_EESZ_S10_S11_S12_S16_S17_S18_S1B_S1C_jS1D_jS1E_S1E_jjS1G_bEUljE0_EEESZ_S10_S11_S18_S1C_S1E_T6_T7_T9_mT8_S1G_bDpT10_ENKUlT_T0_E_clISt17integral_constantIbLb0EES1T_IbLb1EEEEDaS1P_S1Q_EUlS1P_E_NS1_11comp_targetILNS1_3genE8ELNS1_11target_archE1030ELNS1_3gpuE2ELNS1_3repE0EEENS1_30default_config_static_selectorELNS0_4arch9wavefront6targetE0EEEvS12_.num_agpr, 0
	.set _ZN7rocprim17ROCPRIM_400000_NS6detail17trampoline_kernelINS0_13select_configILj256ELj13ELNS0_17block_load_methodE3ELS4_3ELS4_3ELNS0_20block_scan_algorithmE0ELj4294967295EEENS1_25partition_config_selectorILNS1_17partition_subalgoE4EjNS0_10empty_typeEbEEZZNS1_14partition_implILS8_4ELb0ES6_15HIP_vector_typeIjLj2EENS0_17counting_iteratorIjlEEPS9_SG_NS0_5tupleIJPjSI_NS0_16reverse_iteratorISI_EEEEENSH_IJSG_SG_SG_EEES9_SI_JZNS1_25segmented_radix_sort_implINS0_14default_configELb0EPKiPiPKlPlN2at6native12_GLOBAL__N_18offset_tEEE10hipError_tPvRmT1_PNSt15iterator_traitsIS12_E10value_typeET2_T3_PNS13_IS18_E10value_typeET4_jRbjT5_S1E_jjP12ihipStream_tbEUljE_ZNSN_ISO_Lb0ESQ_SR_ST_SU_SY_EESZ_S10_S11_S12_S16_S17_S18_S1B_S1C_jS1D_jS1E_S1E_jjS1G_bEUljE0_EEESZ_S10_S11_S18_S1C_S1E_T6_T7_T9_mT8_S1G_bDpT10_ENKUlT_T0_E_clISt17integral_constantIbLb0EES1T_IbLb1EEEEDaS1P_S1Q_EUlS1P_E_NS1_11comp_targetILNS1_3genE8ELNS1_11target_archE1030ELNS1_3gpuE2ELNS1_3repE0EEENS1_30default_config_static_selectorELNS0_4arch9wavefront6targetE0EEEvS12_.numbered_sgpr, 0
	.set _ZN7rocprim17ROCPRIM_400000_NS6detail17trampoline_kernelINS0_13select_configILj256ELj13ELNS0_17block_load_methodE3ELS4_3ELS4_3ELNS0_20block_scan_algorithmE0ELj4294967295EEENS1_25partition_config_selectorILNS1_17partition_subalgoE4EjNS0_10empty_typeEbEEZZNS1_14partition_implILS8_4ELb0ES6_15HIP_vector_typeIjLj2EENS0_17counting_iteratorIjlEEPS9_SG_NS0_5tupleIJPjSI_NS0_16reverse_iteratorISI_EEEEENSH_IJSG_SG_SG_EEES9_SI_JZNS1_25segmented_radix_sort_implINS0_14default_configELb0EPKiPiPKlPlN2at6native12_GLOBAL__N_18offset_tEEE10hipError_tPvRmT1_PNSt15iterator_traitsIS12_E10value_typeET2_T3_PNS13_IS18_E10value_typeET4_jRbjT5_S1E_jjP12ihipStream_tbEUljE_ZNSN_ISO_Lb0ESQ_SR_ST_SU_SY_EESZ_S10_S11_S12_S16_S17_S18_S1B_S1C_jS1D_jS1E_S1E_jjS1G_bEUljE0_EEESZ_S10_S11_S18_S1C_S1E_T6_T7_T9_mT8_S1G_bDpT10_ENKUlT_T0_E_clISt17integral_constantIbLb0EES1T_IbLb1EEEEDaS1P_S1Q_EUlS1P_E_NS1_11comp_targetILNS1_3genE8ELNS1_11target_archE1030ELNS1_3gpuE2ELNS1_3repE0EEENS1_30default_config_static_selectorELNS0_4arch9wavefront6targetE0EEEvS12_.num_named_barrier, 0
	.set _ZN7rocprim17ROCPRIM_400000_NS6detail17trampoline_kernelINS0_13select_configILj256ELj13ELNS0_17block_load_methodE3ELS4_3ELS4_3ELNS0_20block_scan_algorithmE0ELj4294967295EEENS1_25partition_config_selectorILNS1_17partition_subalgoE4EjNS0_10empty_typeEbEEZZNS1_14partition_implILS8_4ELb0ES6_15HIP_vector_typeIjLj2EENS0_17counting_iteratorIjlEEPS9_SG_NS0_5tupleIJPjSI_NS0_16reverse_iteratorISI_EEEEENSH_IJSG_SG_SG_EEES9_SI_JZNS1_25segmented_radix_sort_implINS0_14default_configELb0EPKiPiPKlPlN2at6native12_GLOBAL__N_18offset_tEEE10hipError_tPvRmT1_PNSt15iterator_traitsIS12_E10value_typeET2_T3_PNS13_IS18_E10value_typeET4_jRbjT5_S1E_jjP12ihipStream_tbEUljE_ZNSN_ISO_Lb0ESQ_SR_ST_SU_SY_EESZ_S10_S11_S12_S16_S17_S18_S1B_S1C_jS1D_jS1E_S1E_jjS1G_bEUljE0_EEESZ_S10_S11_S18_S1C_S1E_T6_T7_T9_mT8_S1G_bDpT10_ENKUlT_T0_E_clISt17integral_constantIbLb0EES1T_IbLb1EEEEDaS1P_S1Q_EUlS1P_E_NS1_11comp_targetILNS1_3genE8ELNS1_11target_archE1030ELNS1_3gpuE2ELNS1_3repE0EEENS1_30default_config_static_selectorELNS0_4arch9wavefront6targetE0EEEvS12_.private_seg_size, 0
	.set _ZN7rocprim17ROCPRIM_400000_NS6detail17trampoline_kernelINS0_13select_configILj256ELj13ELNS0_17block_load_methodE3ELS4_3ELS4_3ELNS0_20block_scan_algorithmE0ELj4294967295EEENS1_25partition_config_selectorILNS1_17partition_subalgoE4EjNS0_10empty_typeEbEEZZNS1_14partition_implILS8_4ELb0ES6_15HIP_vector_typeIjLj2EENS0_17counting_iteratorIjlEEPS9_SG_NS0_5tupleIJPjSI_NS0_16reverse_iteratorISI_EEEEENSH_IJSG_SG_SG_EEES9_SI_JZNS1_25segmented_radix_sort_implINS0_14default_configELb0EPKiPiPKlPlN2at6native12_GLOBAL__N_18offset_tEEE10hipError_tPvRmT1_PNSt15iterator_traitsIS12_E10value_typeET2_T3_PNS13_IS18_E10value_typeET4_jRbjT5_S1E_jjP12ihipStream_tbEUljE_ZNSN_ISO_Lb0ESQ_SR_ST_SU_SY_EESZ_S10_S11_S12_S16_S17_S18_S1B_S1C_jS1D_jS1E_S1E_jjS1G_bEUljE0_EEESZ_S10_S11_S18_S1C_S1E_T6_T7_T9_mT8_S1G_bDpT10_ENKUlT_T0_E_clISt17integral_constantIbLb0EES1T_IbLb1EEEEDaS1P_S1Q_EUlS1P_E_NS1_11comp_targetILNS1_3genE8ELNS1_11target_archE1030ELNS1_3gpuE2ELNS1_3repE0EEENS1_30default_config_static_selectorELNS0_4arch9wavefront6targetE0EEEvS12_.uses_vcc, 0
	.set _ZN7rocprim17ROCPRIM_400000_NS6detail17trampoline_kernelINS0_13select_configILj256ELj13ELNS0_17block_load_methodE3ELS4_3ELS4_3ELNS0_20block_scan_algorithmE0ELj4294967295EEENS1_25partition_config_selectorILNS1_17partition_subalgoE4EjNS0_10empty_typeEbEEZZNS1_14partition_implILS8_4ELb0ES6_15HIP_vector_typeIjLj2EENS0_17counting_iteratorIjlEEPS9_SG_NS0_5tupleIJPjSI_NS0_16reverse_iteratorISI_EEEEENSH_IJSG_SG_SG_EEES9_SI_JZNS1_25segmented_radix_sort_implINS0_14default_configELb0EPKiPiPKlPlN2at6native12_GLOBAL__N_18offset_tEEE10hipError_tPvRmT1_PNSt15iterator_traitsIS12_E10value_typeET2_T3_PNS13_IS18_E10value_typeET4_jRbjT5_S1E_jjP12ihipStream_tbEUljE_ZNSN_ISO_Lb0ESQ_SR_ST_SU_SY_EESZ_S10_S11_S12_S16_S17_S18_S1B_S1C_jS1D_jS1E_S1E_jjS1G_bEUljE0_EEESZ_S10_S11_S18_S1C_S1E_T6_T7_T9_mT8_S1G_bDpT10_ENKUlT_T0_E_clISt17integral_constantIbLb0EES1T_IbLb1EEEEDaS1P_S1Q_EUlS1P_E_NS1_11comp_targetILNS1_3genE8ELNS1_11target_archE1030ELNS1_3gpuE2ELNS1_3repE0EEENS1_30default_config_static_selectorELNS0_4arch9wavefront6targetE0EEEvS12_.uses_flat_scratch, 0
	.set _ZN7rocprim17ROCPRIM_400000_NS6detail17trampoline_kernelINS0_13select_configILj256ELj13ELNS0_17block_load_methodE3ELS4_3ELS4_3ELNS0_20block_scan_algorithmE0ELj4294967295EEENS1_25partition_config_selectorILNS1_17partition_subalgoE4EjNS0_10empty_typeEbEEZZNS1_14partition_implILS8_4ELb0ES6_15HIP_vector_typeIjLj2EENS0_17counting_iteratorIjlEEPS9_SG_NS0_5tupleIJPjSI_NS0_16reverse_iteratorISI_EEEEENSH_IJSG_SG_SG_EEES9_SI_JZNS1_25segmented_radix_sort_implINS0_14default_configELb0EPKiPiPKlPlN2at6native12_GLOBAL__N_18offset_tEEE10hipError_tPvRmT1_PNSt15iterator_traitsIS12_E10value_typeET2_T3_PNS13_IS18_E10value_typeET4_jRbjT5_S1E_jjP12ihipStream_tbEUljE_ZNSN_ISO_Lb0ESQ_SR_ST_SU_SY_EESZ_S10_S11_S12_S16_S17_S18_S1B_S1C_jS1D_jS1E_S1E_jjS1G_bEUljE0_EEESZ_S10_S11_S18_S1C_S1E_T6_T7_T9_mT8_S1G_bDpT10_ENKUlT_T0_E_clISt17integral_constantIbLb0EES1T_IbLb1EEEEDaS1P_S1Q_EUlS1P_E_NS1_11comp_targetILNS1_3genE8ELNS1_11target_archE1030ELNS1_3gpuE2ELNS1_3repE0EEENS1_30default_config_static_selectorELNS0_4arch9wavefront6targetE0EEEvS12_.has_dyn_sized_stack, 0
	.set _ZN7rocprim17ROCPRIM_400000_NS6detail17trampoline_kernelINS0_13select_configILj256ELj13ELNS0_17block_load_methodE3ELS4_3ELS4_3ELNS0_20block_scan_algorithmE0ELj4294967295EEENS1_25partition_config_selectorILNS1_17partition_subalgoE4EjNS0_10empty_typeEbEEZZNS1_14partition_implILS8_4ELb0ES6_15HIP_vector_typeIjLj2EENS0_17counting_iteratorIjlEEPS9_SG_NS0_5tupleIJPjSI_NS0_16reverse_iteratorISI_EEEEENSH_IJSG_SG_SG_EEES9_SI_JZNS1_25segmented_radix_sort_implINS0_14default_configELb0EPKiPiPKlPlN2at6native12_GLOBAL__N_18offset_tEEE10hipError_tPvRmT1_PNSt15iterator_traitsIS12_E10value_typeET2_T3_PNS13_IS18_E10value_typeET4_jRbjT5_S1E_jjP12ihipStream_tbEUljE_ZNSN_ISO_Lb0ESQ_SR_ST_SU_SY_EESZ_S10_S11_S12_S16_S17_S18_S1B_S1C_jS1D_jS1E_S1E_jjS1G_bEUljE0_EEESZ_S10_S11_S18_S1C_S1E_T6_T7_T9_mT8_S1G_bDpT10_ENKUlT_T0_E_clISt17integral_constantIbLb0EES1T_IbLb1EEEEDaS1P_S1Q_EUlS1P_E_NS1_11comp_targetILNS1_3genE8ELNS1_11target_archE1030ELNS1_3gpuE2ELNS1_3repE0EEENS1_30default_config_static_selectorELNS0_4arch9wavefront6targetE0EEEvS12_.has_recursion, 0
	.set _ZN7rocprim17ROCPRIM_400000_NS6detail17trampoline_kernelINS0_13select_configILj256ELj13ELNS0_17block_load_methodE3ELS4_3ELS4_3ELNS0_20block_scan_algorithmE0ELj4294967295EEENS1_25partition_config_selectorILNS1_17partition_subalgoE4EjNS0_10empty_typeEbEEZZNS1_14partition_implILS8_4ELb0ES6_15HIP_vector_typeIjLj2EENS0_17counting_iteratorIjlEEPS9_SG_NS0_5tupleIJPjSI_NS0_16reverse_iteratorISI_EEEEENSH_IJSG_SG_SG_EEES9_SI_JZNS1_25segmented_radix_sort_implINS0_14default_configELb0EPKiPiPKlPlN2at6native12_GLOBAL__N_18offset_tEEE10hipError_tPvRmT1_PNSt15iterator_traitsIS12_E10value_typeET2_T3_PNS13_IS18_E10value_typeET4_jRbjT5_S1E_jjP12ihipStream_tbEUljE_ZNSN_ISO_Lb0ESQ_SR_ST_SU_SY_EESZ_S10_S11_S12_S16_S17_S18_S1B_S1C_jS1D_jS1E_S1E_jjS1G_bEUljE0_EEESZ_S10_S11_S18_S1C_S1E_T6_T7_T9_mT8_S1G_bDpT10_ENKUlT_T0_E_clISt17integral_constantIbLb0EES1T_IbLb1EEEEDaS1P_S1Q_EUlS1P_E_NS1_11comp_targetILNS1_3genE8ELNS1_11target_archE1030ELNS1_3gpuE2ELNS1_3repE0EEENS1_30default_config_static_selectorELNS0_4arch9wavefront6targetE0EEEvS12_.has_indirect_call, 0
	.section	.AMDGPU.csdata,"",@progbits
; Kernel info:
; codeLenInByte = 0
; TotalNumSgprs: 0
; NumVgprs: 0
; ScratchSize: 0
; MemoryBound: 0
; FloatMode: 240
; IeeeMode: 1
; LDSByteSize: 0 bytes/workgroup (compile time only)
; SGPRBlocks: 0
; VGPRBlocks: 0
; NumSGPRsForWavesPerEU: 1
; NumVGPRsForWavesPerEU: 1
; NamedBarCnt: 0
; Occupancy: 16
; WaveLimiterHint : 0
; COMPUTE_PGM_RSRC2:SCRATCH_EN: 0
; COMPUTE_PGM_RSRC2:USER_SGPR: 2
; COMPUTE_PGM_RSRC2:TRAP_HANDLER: 0
; COMPUTE_PGM_RSRC2:TGID_X_EN: 1
; COMPUTE_PGM_RSRC2:TGID_Y_EN: 0
; COMPUTE_PGM_RSRC2:TGID_Z_EN: 0
; COMPUTE_PGM_RSRC2:TIDIG_COMP_CNT: 0
	.section	.text._ZN7rocprim17ROCPRIM_400000_NS6detail17trampoline_kernelINS0_13select_configILj256ELj13ELNS0_17block_load_methodE3ELS4_3ELS4_3ELNS0_20block_scan_algorithmE0ELj4294967295EEENS1_25partition_config_selectorILNS1_17partition_subalgoE3EjNS0_10empty_typeEbEEZZNS1_14partition_implILS8_3ELb0ES6_jNS0_17counting_iteratorIjlEEPS9_SE_NS0_5tupleIJPjSE_EEENSF_IJSE_SE_EEES9_SG_JZNS1_25segmented_radix_sort_implINS0_14default_configELb0EPKiPiPKlPlN2at6native12_GLOBAL__N_18offset_tEEE10hipError_tPvRmT1_PNSt15iterator_traitsISY_E10value_typeET2_T3_PNSZ_IS14_E10value_typeET4_jRbjT5_S1A_jjP12ihipStream_tbEUljE_EEESV_SW_SX_S14_S18_S1A_T6_T7_T9_mT8_S1C_bDpT10_ENKUlT_T0_E_clISt17integral_constantIbLb0EES1P_EEDaS1K_S1L_EUlS1K_E_NS1_11comp_targetILNS1_3genE0ELNS1_11target_archE4294967295ELNS1_3gpuE0ELNS1_3repE0EEENS1_30default_config_static_selectorELNS0_4arch9wavefront6targetE0EEEvSY_,"axG",@progbits,_ZN7rocprim17ROCPRIM_400000_NS6detail17trampoline_kernelINS0_13select_configILj256ELj13ELNS0_17block_load_methodE3ELS4_3ELS4_3ELNS0_20block_scan_algorithmE0ELj4294967295EEENS1_25partition_config_selectorILNS1_17partition_subalgoE3EjNS0_10empty_typeEbEEZZNS1_14partition_implILS8_3ELb0ES6_jNS0_17counting_iteratorIjlEEPS9_SE_NS0_5tupleIJPjSE_EEENSF_IJSE_SE_EEES9_SG_JZNS1_25segmented_radix_sort_implINS0_14default_configELb0EPKiPiPKlPlN2at6native12_GLOBAL__N_18offset_tEEE10hipError_tPvRmT1_PNSt15iterator_traitsISY_E10value_typeET2_T3_PNSZ_IS14_E10value_typeET4_jRbjT5_S1A_jjP12ihipStream_tbEUljE_EEESV_SW_SX_S14_S18_S1A_T6_T7_T9_mT8_S1C_bDpT10_ENKUlT_T0_E_clISt17integral_constantIbLb0EES1P_EEDaS1K_S1L_EUlS1K_E_NS1_11comp_targetILNS1_3genE0ELNS1_11target_archE4294967295ELNS1_3gpuE0ELNS1_3repE0EEENS1_30default_config_static_selectorELNS0_4arch9wavefront6targetE0EEEvSY_,comdat
	.globl	_ZN7rocprim17ROCPRIM_400000_NS6detail17trampoline_kernelINS0_13select_configILj256ELj13ELNS0_17block_load_methodE3ELS4_3ELS4_3ELNS0_20block_scan_algorithmE0ELj4294967295EEENS1_25partition_config_selectorILNS1_17partition_subalgoE3EjNS0_10empty_typeEbEEZZNS1_14partition_implILS8_3ELb0ES6_jNS0_17counting_iteratorIjlEEPS9_SE_NS0_5tupleIJPjSE_EEENSF_IJSE_SE_EEES9_SG_JZNS1_25segmented_radix_sort_implINS0_14default_configELb0EPKiPiPKlPlN2at6native12_GLOBAL__N_18offset_tEEE10hipError_tPvRmT1_PNSt15iterator_traitsISY_E10value_typeET2_T3_PNSZ_IS14_E10value_typeET4_jRbjT5_S1A_jjP12ihipStream_tbEUljE_EEESV_SW_SX_S14_S18_S1A_T6_T7_T9_mT8_S1C_bDpT10_ENKUlT_T0_E_clISt17integral_constantIbLb0EES1P_EEDaS1K_S1L_EUlS1K_E_NS1_11comp_targetILNS1_3genE0ELNS1_11target_archE4294967295ELNS1_3gpuE0ELNS1_3repE0EEENS1_30default_config_static_selectorELNS0_4arch9wavefront6targetE0EEEvSY_ ; -- Begin function _ZN7rocprim17ROCPRIM_400000_NS6detail17trampoline_kernelINS0_13select_configILj256ELj13ELNS0_17block_load_methodE3ELS4_3ELS4_3ELNS0_20block_scan_algorithmE0ELj4294967295EEENS1_25partition_config_selectorILNS1_17partition_subalgoE3EjNS0_10empty_typeEbEEZZNS1_14partition_implILS8_3ELb0ES6_jNS0_17counting_iteratorIjlEEPS9_SE_NS0_5tupleIJPjSE_EEENSF_IJSE_SE_EEES9_SG_JZNS1_25segmented_radix_sort_implINS0_14default_configELb0EPKiPiPKlPlN2at6native12_GLOBAL__N_18offset_tEEE10hipError_tPvRmT1_PNSt15iterator_traitsISY_E10value_typeET2_T3_PNSZ_IS14_E10value_typeET4_jRbjT5_S1A_jjP12ihipStream_tbEUljE_EEESV_SW_SX_S14_S18_S1A_T6_T7_T9_mT8_S1C_bDpT10_ENKUlT_T0_E_clISt17integral_constantIbLb0EES1P_EEDaS1K_S1L_EUlS1K_E_NS1_11comp_targetILNS1_3genE0ELNS1_11target_archE4294967295ELNS1_3gpuE0ELNS1_3repE0EEENS1_30default_config_static_selectorELNS0_4arch9wavefront6targetE0EEEvSY_
	.p2align	8
	.type	_ZN7rocprim17ROCPRIM_400000_NS6detail17trampoline_kernelINS0_13select_configILj256ELj13ELNS0_17block_load_methodE3ELS4_3ELS4_3ELNS0_20block_scan_algorithmE0ELj4294967295EEENS1_25partition_config_selectorILNS1_17partition_subalgoE3EjNS0_10empty_typeEbEEZZNS1_14partition_implILS8_3ELb0ES6_jNS0_17counting_iteratorIjlEEPS9_SE_NS0_5tupleIJPjSE_EEENSF_IJSE_SE_EEES9_SG_JZNS1_25segmented_radix_sort_implINS0_14default_configELb0EPKiPiPKlPlN2at6native12_GLOBAL__N_18offset_tEEE10hipError_tPvRmT1_PNSt15iterator_traitsISY_E10value_typeET2_T3_PNSZ_IS14_E10value_typeET4_jRbjT5_S1A_jjP12ihipStream_tbEUljE_EEESV_SW_SX_S14_S18_S1A_T6_T7_T9_mT8_S1C_bDpT10_ENKUlT_T0_E_clISt17integral_constantIbLb0EES1P_EEDaS1K_S1L_EUlS1K_E_NS1_11comp_targetILNS1_3genE0ELNS1_11target_archE4294967295ELNS1_3gpuE0ELNS1_3repE0EEENS1_30default_config_static_selectorELNS0_4arch9wavefront6targetE0EEEvSY_,@function
_ZN7rocprim17ROCPRIM_400000_NS6detail17trampoline_kernelINS0_13select_configILj256ELj13ELNS0_17block_load_methodE3ELS4_3ELS4_3ELNS0_20block_scan_algorithmE0ELj4294967295EEENS1_25partition_config_selectorILNS1_17partition_subalgoE3EjNS0_10empty_typeEbEEZZNS1_14partition_implILS8_3ELb0ES6_jNS0_17counting_iteratorIjlEEPS9_SE_NS0_5tupleIJPjSE_EEENSF_IJSE_SE_EEES9_SG_JZNS1_25segmented_radix_sort_implINS0_14default_configELb0EPKiPiPKlPlN2at6native12_GLOBAL__N_18offset_tEEE10hipError_tPvRmT1_PNSt15iterator_traitsISY_E10value_typeET2_T3_PNSZ_IS14_E10value_typeET4_jRbjT5_S1A_jjP12ihipStream_tbEUljE_EEESV_SW_SX_S14_S18_S1A_T6_T7_T9_mT8_S1C_bDpT10_ENKUlT_T0_E_clISt17integral_constantIbLb0EES1P_EEDaS1K_S1L_EUlS1K_E_NS1_11comp_targetILNS1_3genE0ELNS1_11target_archE4294967295ELNS1_3gpuE0ELNS1_3repE0EEENS1_30default_config_static_selectorELNS0_4arch9wavefront6targetE0EEEvSY_: ; @_ZN7rocprim17ROCPRIM_400000_NS6detail17trampoline_kernelINS0_13select_configILj256ELj13ELNS0_17block_load_methodE3ELS4_3ELS4_3ELNS0_20block_scan_algorithmE0ELj4294967295EEENS1_25partition_config_selectorILNS1_17partition_subalgoE3EjNS0_10empty_typeEbEEZZNS1_14partition_implILS8_3ELb0ES6_jNS0_17counting_iteratorIjlEEPS9_SE_NS0_5tupleIJPjSE_EEENSF_IJSE_SE_EEES9_SG_JZNS1_25segmented_radix_sort_implINS0_14default_configELb0EPKiPiPKlPlN2at6native12_GLOBAL__N_18offset_tEEE10hipError_tPvRmT1_PNSt15iterator_traitsISY_E10value_typeET2_T3_PNSZ_IS14_E10value_typeET4_jRbjT5_S1A_jjP12ihipStream_tbEUljE_EEESV_SW_SX_S14_S18_S1A_T6_T7_T9_mT8_S1C_bDpT10_ENKUlT_T0_E_clISt17integral_constantIbLb0EES1P_EEDaS1K_S1L_EUlS1K_E_NS1_11comp_targetILNS1_3genE0ELNS1_11target_archE4294967295ELNS1_3gpuE0ELNS1_3repE0EEENS1_30default_config_static_selectorELNS0_4arch9wavefront6targetE0EEEvSY_
; %bb.0:
	s_clause 0x4
	s_load_b128 s[8:11], s[0:1], 0x48
	s_load_b32 s2, s[0:1], 0x70
	s_load_b64 s[12:13], s[0:1], 0x10
	s_load_b64 s[14:15], s[0:1], 0x58
	s_load_b32 s20, s[0:1], 0x8
	s_bfe_u32 s3, ttmp6, 0x4000c
	s_and_b32 s4, ttmp6, 15
	s_add_co_i32 s3, s3, 1
	s_getreg_b32 s5, hwreg(HW_REG_IB_STS2, 6, 4)
	s_mul_i32 s3, ttmp9, s3
	s_mov_b32 s17, 0
	s_add_co_i32 s16, s4, s3
	s_cmp_eq_u32 s5, 0
	s_clause 0x1
	s_load_b32 s3, s[0:1], 0x88
	s_load_b128 s[4:7], s[0:1], 0x78
	s_cselect_b32 s24, ttmp9, s16
	v_lshlrev_b32_e32 v19, 2, v0
	s_wait_kmcnt 0x0
	s_load_b64 s[18:19], s[10:11], 0x0
	s_mul_i32 s16, s2, 0xd00
	s_add_co_i32 s2, s2, -1
	s_add_co_i32 s21, s16, s12
	s_wait_xcnt 0x0
	s_add_nc_u64 s[10:11], s[12:13], s[16:17]
	s_sub_co_i32 s23, s14, s21
	v_cmp_gt_u64_e64 s11, s[14:15], s[10:11]
	s_addk_co_i32 s23, 0xd00
	s_cmp_eq_u32 s24, s2
	s_mul_i32 s10, s24, 0xd00
	s_cselect_b32 s22, -1, 0
	s_cmp_lg_u32 s24, s2
	s_mov_b32 s17, -1
	s_cselect_b32 s2, -1, 0
	s_add_co_i32 s16, s20, s10
	s_or_b32 s11, s2, s11
	s_add_co_i32 s16, s16, s12
	s_and_b32 vcc_lo, exec_lo, s11
	v_add_nc_u32_e32 v1, s16, v0
	s_cbranch_vccz .LBB564_2
; %bb.1:
	s_delay_alu instid0(VALU_DEP_1)
	v_add_nc_u32_e32 v2, 0x100, v1
	v_add_nc_u32_e32 v3, 0x200, v1
	;; [unrolled: 1-line block ×12, first 2 shown]
	ds_store_2addr_stride64_b32 v19, v1, v2 offset1:4
	ds_store_2addr_stride64_b32 v19, v3, v4 offset0:8 offset1:12
	ds_store_2addr_stride64_b32 v19, v5, v6 offset0:16 offset1:20
	ds_store_2addr_stride64_b32 v19, v7, v8 offset0:24 offset1:28
	ds_store_2addr_stride64_b32 v19, v9, v10 offset0:32 offset1:36
	ds_store_2addr_stride64_b32 v19, v11, v12 offset0:40 offset1:44
	ds_store_b32 v19, v13 offset:12288
	s_wait_dscnt 0x0
	s_barrier_signal -1
	s_mov_b32 s17, 0
	s_barrier_wait -1
.LBB564_2:
	v_cmp_gt_u32_e64 s2, s23, v0
	v_or_b32_e32 v40, 0x100, v0
	v_or_b32_e32 v38, 0x200, v0
	;; [unrolled: 1-line block ×12, first 2 shown]
	s_and_not1_b32 vcc_lo, exec_lo, s17
	s_cbranch_vccnz .LBB564_4
; %bb.3:
	v_dual_add_nc_u32 v2, s16, v40 :: v_dual_cndmask_b32 v1, 0, v1, s2
	v_cmp_gt_u32_e32 vcc_lo, s23, v40
	v_dual_add_nc_u32 v3, s16, v38 :: v_dual_add_nc_u32 v4, s16, v36
	v_dual_add_nc_u32 v7, s16, v30 :: v_dual_add_nc_u32 v8, s16, v28
	s_delay_alu instid0(VALU_DEP_4)
	v_cndmask_b32_e32 v2, 0, v2, vcc_lo
	v_cmp_gt_u32_e32 vcc_lo, s23, v38
	v_dual_add_nc_u32 v11, s16, v22 :: v_dual_add_nc_u32 v12, s16, v20
	v_cndmask_b32_e32 v3, 0, v3, vcc_lo
	v_cmp_gt_u32_e32 vcc_lo, s23, v36
	v_dual_cndmask_b32 v4, 0, v4 :: v_dual_add_nc_u32 v5, s16, v34
	v_cmp_gt_u32_e32 vcc_lo, s23, v34
	s_delay_alu instid0(VALU_DEP_2) | instskip(SKIP_1) | instid1(VALU_DEP_2)
	v_dual_cndmask_b32 v5, 0, v5 :: v_dual_add_nc_u32 v6, s16, v32
	v_cmp_gt_u32_e32 vcc_lo, s23, v32
	v_cndmask_b32_e32 v6, 0, v6, vcc_lo
	v_cmp_gt_u32_e32 vcc_lo, s23, v30
	v_cndmask_b32_e32 v7, 0, v7, vcc_lo
	v_cmp_gt_u32_e32 vcc_lo, s23, v28
	v_dual_cndmask_b32 v8, 0, v8 :: v_dual_add_nc_u32 v9, s16, v26
	v_cmp_gt_u32_e32 vcc_lo, s23, v26
	s_delay_alu instid0(VALU_DEP_2) | instskip(SKIP_1) | instid1(VALU_DEP_2)
	v_dual_cndmask_b32 v9, 0, v9 :: v_dual_add_nc_u32 v10, s16, v24
	v_cmp_gt_u32_e32 vcc_lo, s23, v24
	v_cndmask_b32_e32 v10, 0, v10, vcc_lo
	v_cmp_gt_u32_e32 vcc_lo, s23, v22
	v_cndmask_b32_e32 v11, 0, v11, vcc_lo
	v_cmp_gt_u32_e32 vcc_lo, s23, v20
	v_dual_cndmask_b32 v12, 0, v12 :: v_dual_add_nc_u32 v13, s16, v18
	v_cmp_gt_u32_e32 vcc_lo, s23, v18
	s_delay_alu instid0(VALU_DEP_2)
	v_cndmask_b32_e32 v13, 0, v13, vcc_lo
	ds_store_2addr_stride64_b32 v19, v1, v2 offset1:4
	ds_store_2addr_stride64_b32 v19, v3, v4 offset0:8 offset1:12
	ds_store_2addr_stride64_b32 v19, v5, v6 offset0:16 offset1:20
	ds_store_2addr_stride64_b32 v19, v7, v8 offset0:24 offset1:28
	ds_store_2addr_stride64_b32 v19, v9, v10 offset0:32 offset1:36
	ds_store_2addr_stride64_b32 v19, v11, v12 offset0:40 offset1:44
	ds_store_b32 v19, v13 offset:12288
	s_wait_dscnt 0x0
	s_barrier_signal -1
	s_barrier_wait -1
.LBB564_4:
	v_mul_u32_u24_e32 v23, 13, v0
	v_cndmask_b32_e64 v21, 0, 1, s11
	s_and_not1_b32 vcc_lo, exec_lo, s11
	s_delay_alu instid0(VALU_DEP_2)
	v_lshlrev_b32_e32 v2, 2, v23
	ds_load_2addr_b32 v[50:51], v2 offset0:2 offset1:3
	ds_load_2addr_b32 v[46:47], v2 offset0:6 offset1:7
	;; [unrolled: 1-line block ×3, first 2 shown]
	ds_load_2addr_b32 v[52:53], v2 offset1:1
	ds_load_2addr_b32 v[42:43], v2 offset0:10 offset1:11
	ds_load_b32 v1, v2 offset:48
	ds_load_2addr_b32 v[44:45], v2 offset0:8 offset1:9
	s_wait_dscnt 0x0
	s_barrier_signal -1
	s_barrier_wait -1
	s_cbranch_vccnz .LBB564_6
; %bb.5:
	v_dual_add_nc_u32 v2, s5, v51 :: v_dual_add_nc_u32 v3, s5, v53
	v_dual_add_nc_u32 v4, s5, v52 :: v_dual_add_nc_u32 v5, s5, v50
	;; [unrolled: 1-line block ×4, first 2 shown]
	s_delay_alu instid0(VALU_DEP_3) | instskip(NEXT) | instid1(VALU_DEP_4)
	v_mul_lo_u32 v5, v5, s4
	v_mul_lo_u32 v4, v4, s4
	;; [unrolled: 1-line block ×8, first 2 shown]
	v_dual_add_nc_u32 v10, s5, v48 :: v_dual_add_nc_u32 v11, s7, v48
	v_dual_add_nc_u32 v14, s7, v43 :: v_dual_add_nc_u32 v15, s5, v42
	;; [unrolled: 1-line block ×3, first 2 shown]
	s_delay_alu instid0(VALU_DEP_3)
	v_mul_lo_u32 v10, v10, s4
	v_dual_sub_nc_u32 v2, v2, v6 :: v_dual_sub_nc_u32 v3, v3, v7
	v_dual_sub_nc_u32 v4, v4, v8 :: v_dual_sub_nc_u32 v5, v5, v9
	v_dual_add_nc_u32 v6, s5, v49 :: v_dual_add_nc_u32 v7, s7, v49
	v_dual_add_nc_u32 v8, s5, v47 :: v_dual_add_nc_u32 v9, s7, v47
	v_mul_lo_u32 v11, v11, s6
	s_delay_alu instid0(VALU_DEP_3) | instskip(NEXT) | instid1(VALU_DEP_4)
	v_mul_lo_u32 v6, v6, s4
	v_mul_lo_u32 v7, v7, s6
	s_delay_alu instid0(VALU_DEP_4)
	v_mul_lo_u32 v8, v8, s4
	v_mul_lo_u32 v9, v9, s6
	v_cmp_lt_u32_e32 vcc_lo, s3, v2
	v_dual_add_nc_u32 v12, s5, v46 :: v_dual_add_nc_u32 v13, s5, v44
	v_mul_lo_u32 v14, v14, s6
	v_mul_lo_u32 v16, v16, s6
	v_cndmask_b32_e64 v2, 0, 1, vcc_lo
	v_cmp_lt_u32_e32 vcc_lo, s3, v3
	v_mul_lo_u32 v13, v13, s4
	v_dual_sub_nc_u32 v6, v6, v7 :: v_dual_add_nc_u32 v7, s7, v46
	v_dual_sub_nc_u32 v8, v8, v9 :: v_dual_sub_nc_u32 v9, v10, v11
	v_dual_add_nc_u32 v11, s5, v45 :: v_dual_add_nc_u32 v10, s5, v43
	v_cndmask_b32_e64 v3, 0, 1, vcc_lo
	s_delay_alu instid0(VALU_DEP_4)
	v_cmp_lt_u32_e32 vcc_lo, s3, v6
	v_mul_lo_u32 v12, v12, s4
	v_mul_lo_u32 v7, v7, s6
	;; [unrolled: 1-line block ×4, first 2 shown]
	v_cndmask_b32_e64 v6, 0, 1, vcc_lo
	v_cmp_lt_u32_e32 vcc_lo, s3, v8
	v_lshlrev_b16 v3, 8, v3
	v_add_nc_u32_e32 v25, s7, v42
	v_mul_lo_u32 v17, v17, s6
	v_lshlrev_b16 v6, 8, v6
	v_cndmask_b32_e64 v8, 0, 1, vcc_lo
	v_cmp_lt_u32_e32 vcc_lo, s3, v4
	v_dual_sub_nc_u32 v7, v12, v7 :: v_dual_sub_nc_u32 v10, v10, v14
	v_mul_lo_u32 v12, v15, s4
	v_mul_lo_u32 v15, v25, s6
	v_dual_add_nc_u32 v25, s7, v1 :: v_dual_lshrrev_b32 v3, 8, v3
	v_sub_nc_u32_e32 v11, v11, v16
	v_cndmask_b32_e64 v4, 0, 1, vcc_lo
	v_cmp_lt_u32_e32 vcc_lo, s3, v10
	v_dual_lshrrev_b32 v6, 8, v6 :: v_dual_add_nc_u32 v14, s5, v1
	v_mul_lo_u32 v16, v25, s6
	v_lshlrev_b16 v2, 8, v2
	v_cndmask_b32_e64 v10, 0, 1, vcc_lo
	v_cmp_lt_u32_e32 vcc_lo, s3, v11
	v_mul_lo_u32 v14, v14, s4
	v_dual_sub_nc_u32 v13, v13, v17 :: v_dual_sub_nc_u32 v12, v12, v15
	v_lshlrev_b16 v3, 8, v3
	v_cndmask_b32_e64 v11, 0, 1, vcc_lo
	v_cmp_lt_u32_e32 vcc_lo, s3, v5
	v_lshrrev_b32_e32 v2, 8, v2
	v_lshlrev_b16 v8, 8, v8
	v_or_b32_e32 v3, v4, v3
	v_lshlrev_b16 v4, 8, v10
	v_cndmask_b32_e64 v5, 0, 1, vcc_lo
	v_cmp_lt_u32_e32 vcc_lo, s3, v9
	v_lshlrev_b16 v10, 8, v11
	v_sub_nc_u32_e32 v11, v14, v16
	v_lshlrev_b16 v2, 8, v2
	v_lshrrev_b32_e32 v4, 8, v4
	v_cndmask_b32_e64 v9, 0, 1, vcc_lo
	v_cmp_lt_u32_e32 vcc_lo, s3, v7
	v_lshrrev_b32_e32 v10, 8, v10
	v_lshlrev_b16 v6, 8, v6
	v_or_b32_e32 v2, v5, v2
	v_lshlrev_b16 v4, 8, v4
	v_cndmask_b32_e64 v7, 0, 1, vcc_lo
	v_cmp_lt_u32_e32 vcc_lo, s3, v13
	v_lshlrev_b16 v10, 8, v10
	v_or_b32_e32 v5, v9, v6
	v_and_b32_e32 v3, 0xffff, v3
	v_dual_lshlrev_b32 v2, 16, v2 :: v_dual_bitop2_b32 v6, v7, v8 bitop3:0x54
	v_cndmask_b32_e64 v13, 0, 1, vcc_lo
	v_cmp_lt_u32_e32 vcc_lo, s3, v12
	s_delay_alu instid0(VALU_DEP_3) | instskip(SKIP_4) | instid1(VALU_DEP_4)
	v_lshlrev_b32_e32 v6, 16, v6
	v_and_b32_e32 v5, 0xffff, v5
	v_or_b32_e32 v35, v3, v2
	v_cndmask_b32_e64 v12, 0, 1, vcc_lo
	v_cmp_lt_u32_e32 vcc_lo, s3, v11
	v_or_b32_e32 v31, v5, v6
	s_delay_alu instid0(VALU_DEP_3) | instskip(SKIP_2) | instid1(VALU_DEP_3)
	v_or_b32_e32 v4, v12, v4
	v_or_b32_e32 v7, v13, v10
	v_cndmask_b32_e64 v25, 0, 1, vcc_lo
	v_lshlrev_b32_e32 v4, 16, v4
	s_delay_alu instid0(VALU_DEP_3) | instskip(NEXT) | instid1(VALU_DEP_1)
	v_and_b32_e32 v7, 0xffff, v7
	v_or_b32_e32 v27, v7, v4
	s_load_b64 s[20:21], s[0:1], 0x68
	s_cbranch_execz .LBB564_7
	s_branch .LBB564_34
.LBB564_6:
                                        ; implicit-def: $vgpr25
                                        ; implicit-def: $vgpr27
                                        ; implicit-def: $vgpr31
                                        ; implicit-def: $vgpr35
	s_load_b64 s[20:21], s[0:1], 0x68
.LBB564_7:
	v_dual_mov_b32 v3, 0 :: v_dual_mov_b32 v2, 0
	s_mov_b32 s2, exec_lo
	v_cmpx_gt_u32_e64 s23, v23
	s_cbranch_execz .LBB564_9
; %bb.8:
	v_dual_add_nc_u32 v2, s5, v52 :: v_dual_add_nc_u32 v4, s7, v52
	s_delay_alu instid0(VALU_DEP_1) | instskip(NEXT) | instid1(VALU_DEP_2)
	v_mul_lo_u32 v2, v2, s4
	v_mul_lo_u32 v4, v4, s6
	s_delay_alu instid0(VALU_DEP_1) | instskip(NEXT) | instid1(VALU_DEP_1)
	v_sub_nc_u32_e32 v2, v2, v4
	v_cmp_lt_u32_e32 vcc_lo, s3, v2
	v_cndmask_b32_e64 v2, 0, 1, vcc_lo
.LBB564_9:
	s_or_b32 exec_lo, exec_lo, s2
	v_add_nc_u32_e32 v4, 1, v23
	s_mov_b32 s2, exec_lo
	s_delay_alu instid0(VALU_DEP_1)
	v_cmpx_gt_u32_e64 s23, v4
	s_cbranch_execz .LBB564_11
; %bb.10:
	v_dual_add_nc_u32 v3, s5, v53 :: v_dual_add_nc_u32 v4, s7, v53
	s_delay_alu instid0(VALU_DEP_1) | instskip(NEXT) | instid1(VALU_DEP_2)
	v_mul_lo_u32 v3, v3, s4
	v_mul_lo_u32 v4, v4, s6
	s_delay_alu instid0(VALU_DEP_1) | instskip(NEXT) | instid1(VALU_DEP_1)
	v_sub_nc_u32_e32 v3, v3, v4
	v_cmp_lt_u32_e32 vcc_lo, s3, v3
	v_cndmask_b32_e64 v3, 0, 1, vcc_lo
.LBB564_11:
	s_or_b32 exec_lo, exec_lo, s2
	v_dual_mov_b32 v5, 0 :: v_dual_add_nc_u32 v4, 2, v23
	s_delay_alu instid0(VALU_DEP_1)
	v_cmp_gt_u32_e32 vcc_lo, s23, v4
	v_mov_b32_e32 v4, 0
	s_and_saveexec_b32 s2, vcc_lo
	s_cbranch_execz .LBB564_13
; %bb.12:
	v_dual_add_nc_u32 v4, s5, v50 :: v_dual_add_nc_u32 v6, s7, v50
	s_delay_alu instid0(VALU_DEP_1) | instskip(NEXT) | instid1(VALU_DEP_2)
	v_mul_lo_u32 v4, v4, s4
	v_mul_lo_u32 v6, v6, s6
	s_delay_alu instid0(VALU_DEP_1) | instskip(NEXT) | instid1(VALU_DEP_1)
	v_sub_nc_u32_e32 v4, v4, v6
	v_cmp_lt_u32_e32 vcc_lo, s3, v4
	v_cndmask_b32_e64 v4, 0, 1, vcc_lo
.LBB564_13:
	s_or_b32 exec_lo, exec_lo, s2
	v_add_nc_u32_e32 v6, 3, v23
	s_mov_b32 s2, exec_lo
	s_delay_alu instid0(VALU_DEP_1)
	v_cmpx_gt_u32_e64 s23, v6
	s_cbranch_execz .LBB564_15
; %bb.14:
	v_dual_add_nc_u32 v5, s5, v51 :: v_dual_add_nc_u32 v6, s7, v51
	s_delay_alu instid0(VALU_DEP_1) | instskip(NEXT) | instid1(VALU_DEP_2)
	v_mul_lo_u32 v5, v5, s4
	v_mul_lo_u32 v6, v6, s6
	s_delay_alu instid0(VALU_DEP_1) | instskip(NEXT) | instid1(VALU_DEP_1)
	v_sub_nc_u32_e32 v5, v5, v6
	v_cmp_lt_u32_e32 vcc_lo, s3, v5
	v_cndmask_b32_e64 v5, 0, 1, vcc_lo
.LBB564_15:
	s_or_b32 exec_lo, exec_lo, s2
	v_dual_mov_b32 v7, 0 :: v_dual_add_nc_u32 v6, 4, v23
	s_delay_alu instid0(VALU_DEP_1)
	v_cmp_gt_u32_e32 vcc_lo, s23, v6
	v_mov_b32_e32 v6, 0
	s_and_saveexec_b32 s2, vcc_lo
	;; [unrolled: 33-line block ×5, first 2 shown]
	s_cbranch_execz .LBB564_29
; %bb.28:
	v_dual_add_nc_u32 v12, s5, v42 :: v_dual_add_nc_u32 v14, s7, v42
	s_delay_alu instid0(VALU_DEP_1) | instskip(NEXT) | instid1(VALU_DEP_2)
	v_mul_lo_u32 v12, v12, s4
	v_mul_lo_u32 v14, v14, s6
	s_delay_alu instid0(VALU_DEP_1) | instskip(NEXT) | instid1(VALU_DEP_1)
	v_sub_nc_u32_e32 v12, v12, v14
	v_cmp_lt_u32_e32 vcc_lo, s3, v12
	v_cndmask_b32_e64 v12, 0, 1, vcc_lo
.LBB564_29:
	s_or_b32 exec_lo, exec_lo, s2
	v_add_nc_u32_e32 v14, 11, v23
	s_mov_b32 s2, exec_lo
	s_delay_alu instid0(VALU_DEP_1)
	v_cmpx_gt_u32_e64 s23, v14
	s_cbranch_execz .LBB564_31
; %bb.30:
	v_dual_add_nc_u32 v13, s5, v43 :: v_dual_add_nc_u32 v14, s7, v43
	s_delay_alu instid0(VALU_DEP_1) | instskip(NEXT) | instid1(VALU_DEP_2)
	v_mul_lo_u32 v13, v13, s4
	v_mul_lo_u32 v14, v14, s6
	s_delay_alu instid0(VALU_DEP_1) | instskip(NEXT) | instid1(VALU_DEP_1)
	v_sub_nc_u32_e32 v13, v13, v14
	v_cmp_lt_u32_e32 vcc_lo, s3, v13
	v_cndmask_b32_e64 v13, 0, 1, vcc_lo
.LBB564_31:
	s_or_b32 exec_lo, exec_lo, s2
	v_dual_mov_b32 v25, 0 :: v_dual_add_nc_u32 v14, 12, v23
	s_mov_b32 s2, exec_lo
	s_delay_alu instid0(VALU_DEP_1)
	v_cmpx_gt_u32_e64 s23, v14
	s_cbranch_execz .LBB564_33
; %bb.32:
	v_dual_add_nc_u32 v14, s7, v1 :: v_dual_add_nc_u32 v15, s5, v1
	s_delay_alu instid0(VALU_DEP_1) | instskip(NEXT) | instid1(VALU_DEP_2)
	v_mul_lo_u32 v14, v14, s6
	v_mul_lo_u32 v15, v15, s4
	s_delay_alu instid0(VALU_DEP_1) | instskip(NEXT) | instid1(VALU_DEP_1)
	v_sub_nc_u32_e32 v14, v15, v14
	v_cmp_lt_u32_e32 vcc_lo, s3, v14
	v_cndmask_b32_e64 v25, 0, 1, vcc_lo
.LBB564_33:
	s_or_b32 exec_lo, exec_lo, s2
	v_lshlrev_b16 v5, 8, v5
	v_lshlrev_b16 v7, 8, v7
	;; [unrolled: 1-line block ×5, first 2 shown]
	v_or_b32_e32 v4, v4, v5
	v_or_b32_e32 v5, v6, v7
	;; [unrolled: 1-line block ×3, first 2 shown]
	s_delay_alu instid0(VALU_DEP_4) | instskip(NEXT) | instid1(VALU_DEP_3)
	v_or_b32_e32 v7, v10, v11
	v_and_b32_e32 v5, 0xffff, v5
	s_delay_alu instid0(VALU_DEP_3) | instskip(SKIP_3) | instid1(VALU_DEP_4)
	v_dual_lshlrev_b32 v6, 16, v6 :: v_dual_bitop2_b32 v2, v2, v3 bitop3:0x54
	v_lshlrev_b32_e32 v4, 16, v4
	v_lshlrev_b16 v3, 8, v13
	v_and_b32_e32 v7, 0xffff, v7
	v_or_b32_e32 v31, v5, v6
	v_and_b32_e32 v2, 0xffff, v2
	s_delay_alu instid0(VALU_DEP_4) | instskip(NEXT) | instid1(VALU_DEP_1)
	v_or_b32_e32 v3, v12, v3
	v_dual_lshlrev_b32 v3, 16, v3 :: v_dual_bitop2_b32 v35, v2, v4 bitop3:0x54
	s_delay_alu instid0(VALU_DEP_1)
	v_or_b32_e32 v27, v7, v3
.LBB564_34:
	s_delay_alu instid0(VALU_DEP_2)
	v_bfe_u32 v39, v35, 16, 8
	v_bfe_u32 v41, v35, 8, 8
	v_and_b32_e32 v55, 0xff, v35
	v_and_b32_e32 v56, 0xff, v31
	v_mbcnt_lo_u32_b32 v62, -1, 0
	v_lshrrev_b32_e32 v37, 24, v35
	v_bfe_u32 v57, v31, 16, 8
	v_add3_u32 v2, v41, v55, v39
	v_bfe_u32 v58, v31, 8, 8
	v_and_b32_e32 v4, 15, v62
	s_load_b64 s[16:17], s[0:1], 0x28
	v_dual_lshrrev_b32 v33, 24, v31 :: v_dual_lshrrev_b32 v63, 5, v0
	v_add3_u32 v2, v2, v37, v56
	v_and_b32_e32 v59, 0xff, v27
	v_bfe_u32 v60, v27, 16, 8
	v_bfe_u32 v61, v27, 8, 8
	v_dual_lshrrev_b32 v29, 24, v27 :: v_dual_bitop2_b32 v5, 31, v0 bitop3:0x54
	v_add3_u32 v2, v2, v58, v57
	v_and_b32_e32 v3, 0xff, v25
	v_and_b32_e32 v6, 16, v62
	v_cmp_eq_u32_e64 s5, 0, v4
	v_cmp_lt_u32_e64 s4, 1, v4
	v_add3_u32 v2, v2, v33, v59
	v_cmp_lt_u32_e64 s3, 3, v4
	v_cmp_lt_u32_e64 s2, 7, v4
	s_wait_xcnt 0x0
	v_cmp_eq_u32_e64 s1, 0, v6
	v_cmp_eq_u32_e64 s0, v0, v5
	v_add3_u32 v2, v2, v61, v60
	s_cmp_lg_u32 s24, 0
	s_mov_b32 s6, -1
	s_delay_alu instid0(VALU_DEP_1)
	v_add3_u32 v64, v2, v29, v3
	s_cbranch_scc0 .LBB564_56
; %bb.35:
	s_delay_alu instid0(VALU_DEP_1) | instskip(NEXT) | instid1(VALU_DEP_1)
	v_mov_b32_dpp v2, v64 row_shr:1 row_mask:0xf bank_mask:0xf
	v_cndmask_b32_e64 v2, v2, 0, s5
	s_delay_alu instid0(VALU_DEP_1) | instskip(NEXT) | instid1(VALU_DEP_1)
	v_add_nc_u32_e32 v2, v2, v64
	v_mov_b32_dpp v3, v2 row_shr:2 row_mask:0xf bank_mask:0xf
	s_delay_alu instid0(VALU_DEP_1) | instskip(NEXT) | instid1(VALU_DEP_1)
	v_cndmask_b32_e64 v3, 0, v3, s4
	v_add_nc_u32_e32 v2, v2, v3
	s_delay_alu instid0(VALU_DEP_1) | instskip(NEXT) | instid1(VALU_DEP_1)
	v_mov_b32_dpp v3, v2 row_shr:4 row_mask:0xf bank_mask:0xf
	v_cndmask_b32_e64 v3, 0, v3, s3
	s_delay_alu instid0(VALU_DEP_1) | instskip(NEXT) | instid1(VALU_DEP_1)
	v_add_nc_u32_e32 v2, v2, v3
	v_mov_b32_dpp v3, v2 row_shr:8 row_mask:0xf bank_mask:0xf
	s_delay_alu instid0(VALU_DEP_1) | instskip(NEXT) | instid1(VALU_DEP_1)
	v_cndmask_b32_e64 v3, 0, v3, s2
	v_add_nc_u32_e32 v2, v2, v3
	ds_swizzle_b32 v3, v2 offset:swizzle(BROADCAST,32,15)
	s_wait_dscnt 0x0
	v_cndmask_b32_e64 v3, v3, 0, s1
	s_delay_alu instid0(VALU_DEP_1)
	v_add_nc_u32_e32 v2, v2, v3
	s_and_saveexec_b32 s6, s0
; %bb.36:
	v_lshlrev_b32_e32 v3, 2, v63
	ds_store_b32 v3, v2
; %bb.37:
	s_or_b32 exec_lo, exec_lo, s6
	s_delay_alu instid0(SALU_CYCLE_1)
	s_mov_b32 s6, exec_lo
	s_wait_dscnt 0x0
	s_barrier_signal -1
	s_barrier_wait -1
	v_cmpx_gt_u32_e32 8, v0
	s_cbranch_execz .LBB564_39
; %bb.38:
	ds_load_b32 v3, v19
	s_wait_dscnt 0x0
	v_mov_b32_dpp v5, v3 row_shr:1 row_mask:0xf bank_mask:0xf
	v_and_b32_e32 v4, 7, v62
	s_delay_alu instid0(VALU_DEP_1) | instskip(NEXT) | instid1(VALU_DEP_3)
	v_cmp_ne_u32_e32 vcc_lo, 0, v4
	v_cndmask_b32_e32 v5, 0, v5, vcc_lo
	v_cmp_lt_u32_e32 vcc_lo, 1, v4
	s_delay_alu instid0(VALU_DEP_2) | instskip(NEXT) | instid1(VALU_DEP_1)
	v_add_nc_u32_e32 v3, v5, v3
	v_mov_b32_dpp v5, v3 row_shr:2 row_mask:0xf bank_mask:0xf
	s_delay_alu instid0(VALU_DEP_1) | instskip(SKIP_1) | instid1(VALU_DEP_2)
	v_cndmask_b32_e32 v5, 0, v5, vcc_lo
	v_cmp_lt_u32_e32 vcc_lo, 3, v4
	v_add_nc_u32_e32 v3, v3, v5
	s_delay_alu instid0(VALU_DEP_1) | instskip(NEXT) | instid1(VALU_DEP_1)
	v_mov_b32_dpp v5, v3 row_shr:4 row_mask:0xf bank_mask:0xf
	v_cndmask_b32_e32 v4, 0, v5, vcc_lo
	s_delay_alu instid0(VALU_DEP_1)
	v_add_nc_u32_e32 v3, v3, v4
	ds_store_b32 v19, v3
.LBB564_39:
	s_or_b32 exec_lo, exec_lo, s6
	s_delay_alu instid0(SALU_CYCLE_1)
	s_mov_b32 s7, exec_lo
	v_cmp_gt_u32_e32 vcc_lo, 32, v0
	s_wait_dscnt 0x0
	s_barrier_signal -1
	s_barrier_wait -1
                                        ; implicit-def: $vgpr10
	v_cmpx_lt_u32_e32 31, v0
	s_cbranch_execz .LBB564_41
; %bb.40:
	v_lshl_add_u32 v3, v63, 2, -4
	ds_load_b32 v10, v3
	s_wait_dscnt 0x0
	v_add_nc_u32_e32 v2, v10, v2
.LBB564_41:
	s_or_b32 exec_lo, exec_lo, s7
	v_sub_co_u32 v3, s6, v62, 1
	s_delay_alu instid0(VALU_DEP_1) | instskip(NEXT) | instid1(VALU_DEP_1)
	v_cmp_gt_i32_e64 s7, 0, v3
	v_cndmask_b32_e64 v3, v3, v62, s7
	s_delay_alu instid0(VALU_DEP_1)
	v_lshlrev_b32_e32 v3, 2, v3
	ds_bpermute_b32 v11, v3, v2
	s_and_saveexec_b32 s7, vcc_lo
	s_cbranch_execz .LBB564_61
; %bb.42:
	v_mov_b32_e32 v9, 0
	ds_load_b32 v2, v9 offset:28
	s_and_saveexec_b32 s11, s6
	s_cbranch_execz .LBB564_44
; %bb.43:
	s_add_co_i32 s25, s24, 32
	s_delay_alu instid0(SALU_CYCLE_1)
	v_dual_mov_b32 v3, 1 :: v_dual_mov_b32 v4, s25
	s_wait_dscnt 0x0
	s_wait_kmcnt 0x0
	global_store_b64 v4, v[2:3], s[20:21] scale_offset scope:SCOPE_DEV
.LBB564_44:
	s_wait_xcnt 0x0
	s_or_b32 exec_lo, exec_lo, s11
	v_xad_u32 v4, v62, -1, s24
	s_mov_b32 s25, 0
	s_mov_b32 s11, exec_lo
	s_delay_alu instid0(VALU_DEP_1)
	v_add_nc_u32_e32 v8, 32, v4
	s_wait_kmcnt 0x0
	global_load_b64 v[6:7], v8, s[20:21] scale_offset scope:SCOPE_DEV
	s_wait_loadcnt 0x0
	v_and_b32_e32 v3, 0xff, v7
	s_wait_xcnt 0x0
	s_delay_alu instid0(VALU_DEP_1)
	v_cmpx_eq_u16_e32 0, v3
	s_cbranch_execz .LBB564_48
; %bb.45:
	v_lshl_add_u64 v[8:9], v[8:9], 3, s[20:21]
.LBB564_46:                             ; =>This Inner Loop Header: Depth=1
	global_load_b64 v[6:7], v[8:9], off scope:SCOPE_DEV
	s_wait_loadcnt 0x0
	v_and_b32_e32 v3, 0xff, v7
	s_delay_alu instid0(VALU_DEP_1)
	v_cmp_ne_u16_e32 vcc_lo, 0, v3
	s_or_b32 s25, vcc_lo, s25
	s_wait_xcnt 0x0
	s_and_not1_b32 exec_lo, exec_lo, s25
	s_cbranch_execnz .LBB564_46
; %bb.47:
	s_or_b32 exec_lo, exec_lo, s25
.LBB564_48:
	s_delay_alu instid0(SALU_CYCLE_1)
	s_or_b32 exec_lo, exec_lo, s11
	v_cmp_ne_u32_e32 vcc_lo, 31, v62
	v_lshlrev_b32_e64 v13, v62, -1
	v_dual_add_nc_u32 v15, 2, v62 :: v_dual_add_nc_u32 v17, 4, v62
	v_dual_add_nc_u32 v65, 8, v62 :: v_dual_add_nc_u32 v67, 16, v62
	v_add_co_ci_u32_e64 v3, null, 0, v62, vcc_lo
	v_lshl_or_b32 v66, v62, 2, 64
	s_delay_alu instid0(VALU_DEP_2)
	v_lshlrev_b32_e32 v12, 2, v3
	v_and_b32_e32 v3, 0xff, v7
	ds_bpermute_b32 v5, v12, v6
	v_cmp_eq_u16_e32 vcc_lo, 2, v3
	v_and_or_b32 v3, vcc_lo, v13, 0x80000000
	v_cmp_gt_u32_e32 vcc_lo, 30, v62
	s_delay_alu instid0(VALU_DEP_2) | instskip(SKIP_1) | instid1(VALU_DEP_2)
	v_ctz_i32_b32_e32 v3, v3
	v_cndmask_b32_e64 v8, 0, 2, vcc_lo
	v_cmp_lt_u32_e32 vcc_lo, v62, v3
	s_delay_alu instid0(VALU_DEP_2)
	v_add_lshl_u32 v14, v8, v62, 2
	s_wait_dscnt 0x0
	v_cndmask_b32_e32 v5, 0, v5, vcc_lo
	v_cmp_gt_u32_e32 vcc_lo, 28, v62
	v_cndmask_b32_e64 v8, 0, 4, vcc_lo
	v_cmp_le_u32_e32 vcc_lo, v15, v3
	s_delay_alu instid0(VALU_DEP_4) | instskip(NEXT) | instid1(VALU_DEP_3)
	v_add_nc_u32_e32 v5, v5, v6
	v_add_lshl_u32 v16, v8, v62, 2
	ds_bpermute_b32 v6, v14, v5
	s_wait_dscnt 0x0
	v_cndmask_b32_e32 v6, 0, v6, vcc_lo
	v_cmp_gt_u32_e32 vcc_lo, 24, v62
	v_cndmask_b32_e64 v8, 0, 8, vcc_lo
	v_cmp_le_u32_e32 vcc_lo, v17, v3
	s_delay_alu instid0(VALU_DEP_4) | instskip(NEXT) | instid1(VALU_DEP_3)
	v_add_nc_u32_e32 v5, v5, v6
	v_add_lshl_u32 v54, v8, v62, 2
	ds_bpermute_b32 v6, v16, v5
	s_wait_dscnt 0x0
	v_cndmask_b32_e32 v6, 0, v6, vcc_lo
	v_cmp_le_u32_e32 vcc_lo, v65, v3
	s_delay_alu instid0(VALU_DEP_2) | instskip(SKIP_4) | instid1(VALU_DEP_2)
	v_add_nc_u32_e32 v5, v5, v6
	ds_bpermute_b32 v6, v54, v5
	s_wait_dscnt 0x0
	v_cndmask_b32_e32 v6, 0, v6, vcc_lo
	v_cmp_le_u32_e32 vcc_lo, v67, v3
	v_add_nc_u32_e32 v5, v5, v6
	ds_bpermute_b32 v6, v66, v5
	s_wait_dscnt 0x0
	v_cndmask_b32_e32 v3, 0, v6, vcc_lo
	s_delay_alu instid0(VALU_DEP_1)
	v_dual_mov_b32 v5, 0 :: v_dual_add_nc_u32 v6, v5, v3
	s_branch .LBB564_52
.LBB564_49:                             ;   in Loop: Header=BB564_52 Depth=1
	s_or_b32 exec_lo, exec_lo, s25
.LBB564_50:                             ;   in Loop: Header=BB564_52 Depth=1
	s_delay_alu instid0(SALU_CYCLE_1)
	s_or_b32 exec_lo, exec_lo, s11
	v_and_b32_e32 v8, 0xff, v7
	ds_bpermute_b32 v9, v12, v6
	v_subrev_nc_u32_e32 v4, 32, v4
	s_mov_b32 s11, 0
	v_cmp_eq_u16_e32 vcc_lo, 2, v8
	v_and_or_b32 v8, vcc_lo, v13, 0x80000000
	s_delay_alu instid0(VALU_DEP_1) | instskip(NEXT) | instid1(VALU_DEP_1)
	v_ctz_i32_b32_e32 v8, v8
	v_cmp_lt_u32_e32 vcc_lo, v62, v8
	s_wait_dscnt 0x0
	v_cndmask_b32_e32 v9, 0, v9, vcc_lo
	v_cmp_le_u32_e32 vcc_lo, v15, v8
	s_delay_alu instid0(VALU_DEP_2) | instskip(SKIP_4) | instid1(VALU_DEP_2)
	v_add_nc_u32_e32 v6, v9, v6
	ds_bpermute_b32 v9, v14, v6
	s_wait_dscnt 0x0
	v_cndmask_b32_e32 v9, 0, v9, vcc_lo
	v_cmp_le_u32_e32 vcc_lo, v17, v8
	v_add_nc_u32_e32 v6, v6, v9
	ds_bpermute_b32 v9, v16, v6
	s_wait_dscnt 0x0
	v_cndmask_b32_e32 v9, 0, v9, vcc_lo
	v_cmp_le_u32_e32 vcc_lo, v65, v8
	s_delay_alu instid0(VALU_DEP_2) | instskip(SKIP_4) | instid1(VALU_DEP_2)
	v_add_nc_u32_e32 v6, v6, v9
	ds_bpermute_b32 v9, v54, v6
	s_wait_dscnt 0x0
	v_cndmask_b32_e32 v9, 0, v9, vcc_lo
	v_cmp_le_u32_e32 vcc_lo, v67, v8
	v_add_nc_u32_e32 v6, v6, v9
	ds_bpermute_b32 v9, v66, v6
	s_wait_dscnt 0x0
	v_cndmask_b32_e32 v8, 0, v9, vcc_lo
	s_delay_alu instid0(VALU_DEP_1)
	v_add3_u32 v6, v8, v3, v6
.LBB564_51:                             ;   in Loop: Header=BB564_52 Depth=1
	s_and_b32 vcc_lo, exec_lo, s11
	s_cbranch_vccnz .LBB564_57
.LBB564_52:                             ; =>This Loop Header: Depth=1
                                        ;     Child Loop BB564_55 Depth 2
	v_and_b32_e32 v3, 0xff, v7
	s_mov_b32 s11, -1
                                        ; implicit-def: $vgpr7
	s_delay_alu instid0(VALU_DEP_1)
	v_cmp_ne_u16_e32 vcc_lo, 2, v3
	v_mov_b32_e32 v3, v6
                                        ; implicit-def: $vgpr6
	s_cmp_lg_u32 vcc_lo, exec_lo
	s_cbranch_scc1 .LBB564_51
; %bb.53:                               ;   in Loop: Header=BB564_52 Depth=1
	global_load_b64 v[6:7], v4, s[20:21] scale_offset scope:SCOPE_DEV
	s_mov_b32 s11, exec_lo
	s_wait_loadcnt 0x0
	v_and_b32_e32 v8, 0xff, v7
	s_wait_xcnt 0x0
	s_delay_alu instid0(VALU_DEP_1)
	v_cmpx_eq_u16_e32 0, v8
	s_cbranch_execz .LBB564_50
; %bb.54:                               ;   in Loop: Header=BB564_52 Depth=1
	v_lshl_add_u64 v[8:9], v[4:5], 3, s[20:21]
	s_mov_b32 s25, 0
.LBB564_55:                             ;   Parent Loop BB564_52 Depth=1
                                        ; =>  This Inner Loop Header: Depth=2
	global_load_b64 v[6:7], v[8:9], off scope:SCOPE_DEV
	s_wait_loadcnt 0x0
	v_and_b32_e32 v68, 0xff, v7
	s_delay_alu instid0(VALU_DEP_1)
	v_cmp_ne_u16_e32 vcc_lo, 0, v68
	s_or_b32 s25, vcc_lo, s25
	s_wait_xcnt 0x0
	s_and_not1_b32 exec_lo, exec_lo, s25
	s_cbranch_execnz .LBB564_55
	s_branch .LBB564_49
.LBB564_56:
                                        ; implicit-def: $vgpr2_vgpr3_vgpr4_vgpr5_vgpr6_vgpr7_vgpr8_vgpr9_vgpr10_vgpr11_vgpr12_vgpr13_vgpr14_vgpr15_vgpr16_vgpr17
                                        ; implicit-def: $vgpr54
                                        ; implicit-def: $vgpr16
	s_and_b32 vcc_lo, exec_lo, s6
	s_cbranch_vccnz .LBB564_62
	s_branch .LBB564_71
.LBB564_57:
	s_and_saveexec_b32 s11, s6
	s_cbranch_execz .LBB564_59
; %bb.58:
	s_add_co_i32 s24, s24, 32
	v_dual_mov_b32 v5, 2 :: v_dual_add_nc_u32 v4, v3, v2
	v_dual_mov_b32 v6, s24 :: v_dual_mov_b32 v7, 0
	global_store_b64 v6, v[4:5], s[20:21] scale_offset scope:SCOPE_DEV
	ds_store_b64 v7, v[2:3] offset:13312
.LBB564_59:
	s_wait_xcnt 0x0
	s_or_b32 exec_lo, exec_lo, s11
	v_cmp_eq_u32_e32 vcc_lo, 0, v0
	s_and_b32 exec_lo, exec_lo, vcc_lo
; %bb.60:
	v_mov_b32_e32 v2, 0
	ds_store_b32 v2, v3 offset:28
.LBB564_61:
	s_or_b32 exec_lo, exec_lo, s7
	s_wait_dscnt 0x0
	v_dual_mov_b32 v12, 0 :: v_dual_cndmask_b32 v3, v11, v10, s6
	s_wait_storecnt 0x0
	s_barrier_signal -1
	s_barrier_wait -1
	ds_load_b32 v2, v12 offset:28
	v_cmp_ne_u32_e32 vcc_lo, 0, v0
	s_wait_dscnt 0x0
	s_barrier_signal -1
	s_barrier_wait -1
	v_cndmask_b32_e32 v3, 0, v3, vcc_lo
	ds_load_b64 v[16:17], v12 offset:13312
	v_add_nc_u32_e32 v2, v2, v3
	s_wait_dscnt 0x0
	s_delay_alu instid0(VALU_DEP_1) | instskip(NEXT) | instid1(VALU_DEP_1)
	v_dual_mov_b32 v54, v17 :: v_dual_add_nc_u32 v3, v2, v55
	v_add_nc_u32_e32 v4, v3, v41
	s_delay_alu instid0(VALU_DEP_1) | instskip(NEXT) | instid1(VALU_DEP_1)
	v_add_nc_u32_e32 v5, v4, v39
	v_add_nc_u32_e32 v6, v5, v37
	s_delay_alu instid0(VALU_DEP_1) | instskip(NEXT) | instid1(VALU_DEP_1)
	v_add_nc_u32_e32 v7, v6, v56
	;; [unrolled: 3-line block ×5, first 2 shown]
	v_add_nc_u32_e32 v14, v13, v29
	s_branch .LBB564_71
.LBB564_62:
	v_mov_b32_dpp v2, v64 row_shr:1 row_mask:0xf bank_mask:0xf
	s_delay_alu instid0(VALU_DEP_1) | instskip(NEXT) | instid1(VALU_DEP_1)
	v_cndmask_b32_e64 v2, v2, 0, s5
	v_add_nc_u32_e32 v2, v2, v64
	s_delay_alu instid0(VALU_DEP_1) | instskip(NEXT) | instid1(VALU_DEP_1)
	v_mov_b32_dpp v3, v2 row_shr:2 row_mask:0xf bank_mask:0xf
	v_cndmask_b32_e64 v3, 0, v3, s4
	s_delay_alu instid0(VALU_DEP_1) | instskip(NEXT) | instid1(VALU_DEP_1)
	v_add_nc_u32_e32 v2, v2, v3
	v_mov_b32_dpp v3, v2 row_shr:4 row_mask:0xf bank_mask:0xf
	s_delay_alu instid0(VALU_DEP_1) | instskip(NEXT) | instid1(VALU_DEP_1)
	v_cndmask_b32_e64 v3, 0, v3, s3
	v_add_nc_u32_e32 v2, v2, v3
	s_delay_alu instid0(VALU_DEP_1) | instskip(NEXT) | instid1(VALU_DEP_1)
	v_mov_b32_dpp v3, v2 row_shr:8 row_mask:0xf bank_mask:0xf
	v_cndmask_b32_e64 v3, 0, v3, s2
	s_delay_alu instid0(VALU_DEP_1) | instskip(SKIP_3) | instid1(VALU_DEP_1)
	v_add_nc_u32_e32 v2, v2, v3
	ds_swizzle_b32 v3, v2 offset:swizzle(BROADCAST,32,15)
	s_wait_dscnt 0x0
	v_cndmask_b32_e64 v3, v3, 0, s1
	v_add_nc_u32_e32 v2, v2, v3
	s_and_saveexec_b32 s1, s0
; %bb.63:
	v_lshlrev_b32_e32 v3, 2, v63
	ds_store_b32 v3, v2
; %bb.64:
	s_or_b32 exec_lo, exec_lo, s1
	s_delay_alu instid0(SALU_CYCLE_1)
	s_mov_b32 s0, exec_lo
	s_wait_dscnt 0x0
	s_barrier_signal -1
	s_barrier_wait -1
	v_cmpx_gt_u32_e32 8, v0
	s_cbranch_execz .LBB564_66
; %bb.65:
	ds_load_b32 v3, v19
	s_wait_dscnt 0x0
	v_mov_b32_dpp v5, v3 row_shr:1 row_mask:0xf bank_mask:0xf
	v_and_b32_e32 v4, 7, v62
	s_delay_alu instid0(VALU_DEP_1) | instskip(NEXT) | instid1(VALU_DEP_3)
	v_cmp_ne_u32_e32 vcc_lo, 0, v4
	v_cndmask_b32_e32 v5, 0, v5, vcc_lo
	v_cmp_lt_u32_e32 vcc_lo, 1, v4
	s_delay_alu instid0(VALU_DEP_2) | instskip(NEXT) | instid1(VALU_DEP_1)
	v_add_nc_u32_e32 v3, v5, v3
	v_mov_b32_dpp v5, v3 row_shr:2 row_mask:0xf bank_mask:0xf
	s_delay_alu instid0(VALU_DEP_1) | instskip(SKIP_1) | instid1(VALU_DEP_2)
	v_cndmask_b32_e32 v5, 0, v5, vcc_lo
	v_cmp_lt_u32_e32 vcc_lo, 3, v4
	v_add_nc_u32_e32 v3, v3, v5
	s_delay_alu instid0(VALU_DEP_1) | instskip(NEXT) | instid1(VALU_DEP_1)
	v_mov_b32_dpp v5, v3 row_shr:4 row_mask:0xf bank_mask:0xf
	v_cndmask_b32_e32 v4, 0, v5, vcc_lo
	s_delay_alu instid0(VALU_DEP_1)
	v_add_nc_u32_e32 v3, v3, v4
	ds_store_b32 v19, v3
.LBB564_66:
	s_or_b32 exec_lo, exec_lo, s0
	v_dual_mov_b32 v4, 0 :: v_dual_mov_b32 v3, 0
	s_mov_b32 s0, exec_lo
	s_wait_dscnt 0x0
	s_barrier_signal -1
	s_barrier_wait -1
	v_cmpx_lt_u32_e32 31, v0
; %bb.67:
	v_lshl_add_u32 v3, v63, 2, -4
	ds_load_b32 v3, v3
; %bb.68:
	s_or_b32 exec_lo, exec_lo, s0
	v_sub_co_u32 v5, vcc_lo, v62, 1
	ds_load_b32 v16, v4 offset:28
	v_cmp_gt_i32_e64 s0, 0, v5
	s_delay_alu instid0(VALU_DEP_1) | instskip(SKIP_3) | instid1(VALU_DEP_3)
	v_cndmask_b32_e64 v5, v5, v62, s0
	s_wait_dscnt 0x1
	v_add_nc_u32_e32 v2, v3, v2
	v_cmp_eq_u32_e64 s0, 0, v0
	v_lshlrev_b32_e32 v5, 2, v5
	ds_bpermute_b32 v2, v5, v2
	s_and_saveexec_b32 s1, s0
	s_cbranch_execz .LBB564_70
; %bb.69:
	v_dual_mov_b32 v4, 0 :: v_dual_mov_b32 v17, 2
	s_wait_dscnt 0x1
	s_wait_kmcnt 0x0
	global_store_b64 v4, v[16:17], s[20:21] offset:256 scope:SCOPE_DEV
.LBB564_70:
	s_wait_xcnt 0x0
	s_or_b32 exec_lo, exec_lo, s1
	s_wait_dscnt 0x0
	v_cndmask_b32_e32 v2, v2, v3, vcc_lo
	s_wait_storecnt 0x0
	s_barrier_signal -1
	s_barrier_wait -1
	s_delay_alu instid0(VALU_DEP_1) | instskip(NEXT) | instid1(VALU_DEP_1)
	v_cndmask_b32_e64 v2, v2, 0, s0
	v_dual_mov_b32 v54, 0 :: v_dual_add_nc_u32 v3, v2, v55
	s_delay_alu instid0(VALU_DEP_1) | instskip(NEXT) | instid1(VALU_DEP_1)
	v_add_nc_u32_e32 v4, v3, v41
	v_add_nc_u32_e32 v5, v4, v39
	s_delay_alu instid0(VALU_DEP_1) | instskip(NEXT) | instid1(VALU_DEP_1)
	v_add_nc_u32_e32 v6, v5, v37
	v_add_nc_u32_e32 v7, v6, v56
	;; [unrolled: 3-line block ×5, first 2 shown]
	s_delay_alu instid0(VALU_DEP_1)
	v_add_nc_u32_e32 v14, v13, v29
.LBB564_71:
	v_dual_lshrrev_b32 v55, 16, v35 :: v_dual_lshrrev_b32 v56, 8, v35
	v_dual_add_nc_u32 v23, v16, v23 :: v_dual_sub_nc_u32 v3, v3, v54
	v_dual_sub_nc_u32 v2, v2, v54 :: v_dual_bitop2_b32 v35, 1, v35 bitop3:0x40
	s_delay_alu instid0(VALU_DEP_3) | instskip(NEXT) | instid1(VALU_DEP_4)
	v_dual_sub_nc_u32 v4, v4, v54 :: v_dual_bitop2_b32 v56, 1, v56 bitop3:0x40
	v_and_b32_e32 v55, 1, v55
	s_delay_alu instid0(VALU_DEP_3) | instskip(NEXT) | instid1(VALU_DEP_4)
	v_dual_sub_nc_u32 v57, v23, v3 :: v_dual_sub_nc_u32 v58, v23, v2
	v_cmp_eq_u32_e32 vcc_lo, 1, v35
	s_delay_alu instid0(VALU_DEP_4) | instskip(NEXT) | instid1(VALU_DEP_3)
	v_dual_sub_nc_u32 v5, v5, v54 :: v_dual_sub_nc_u32 v59, v23, v4
	v_dual_add_nc_u32 v57, 1, v57 :: v_dual_sub_nc_u32 v6, v6, v54
	s_delay_alu instid0(VALU_DEP_4) | instskip(SKIP_1) | instid1(VALU_DEP_4)
	v_cndmask_b32_e32 v2, v58, v2, vcc_lo
	v_cmp_eq_u32_e32 vcc_lo, 1, v56
	v_dual_sub_nc_u32 v35, v23, v5 :: v_dual_add_nc_u32 v56, 2, v59
	v_dual_lshrrev_b32 v41, 8, v31 :: v_dual_lshrrev_b32 v39, 16, v31
	v_dual_cndmask_b32 v3, v57, v3, vcc_lo :: v_dual_bitop2_b32 v37, 1, v37 bitop3:0x40
	v_lshlrev_b32_e32 v2, 2, v2
	v_cmp_eq_u32_e32 vcc_lo, 1, v55
	v_add_nc_u32_e32 v35, 3, v35
	s_delay_alu instid0(VALU_DEP_4)
	v_lshlrev_b32_e32 v3, 2, v3
	v_dual_lshrrev_b32 v15, 16, v27 :: v_dual_lshrrev_b32 v17, 8, v27
	v_cndmask_b32_e32 v4, v56, v4, vcc_lo
	v_cmp_eq_u32_e32 vcc_lo, 1, v37
	ds_store_b32 v2, v52
	ds_store_b32 v3, v53
	v_dual_lshlrev_b32 v3, 2, v4 :: v_dual_cndmask_b32 v5, v35, v5, vcc_lo
	s_delay_alu instid0(VALU_DEP_1) | instskip(SKIP_1) | instid1(VALU_DEP_2)
	v_dual_sub_nc_u32 v2, v23, v6 :: v_dual_lshlrev_b32 v4, 2, v5
	v_dual_sub_nc_u32 v5, v7, v54 :: v_dual_bitop2_b32 v7, 1, v31 bitop3:0x40
	v_add_nc_u32_e32 v2, 4, v2
	ds_store_b32 v3, v50
	ds_store_b32 v4, v51
	v_sub_nc_u32_e32 v3, v23, v5
	v_cmp_eq_u32_e32 vcc_lo, 1, v7
	s_delay_alu instid0(VALU_DEP_2) | instskip(SKIP_1) | instid1(VALU_DEP_2)
	v_dual_sub_nc_u32 v4, v8, v54 :: v_dual_add_nc_u32 v3, 5, v3
	v_dual_cndmask_b32 v2, v2, v6, vcc_lo :: v_dual_bitop2_b32 v6, 1, v41 bitop3:0x40
	v_dual_sub_nc_u32 v7, v9, v54 :: v_dual_sub_nc_u32 v8, v23, v4
	s_delay_alu instid0(VALU_DEP_2) | instskip(NEXT) | instid1(VALU_DEP_2)
	v_cmp_eq_u32_e32 vcc_lo, 1, v6
	v_dual_lshlrev_b32 v2, 2, v2 :: v_dual_add_nc_u32 v8, 6, v8
	v_cndmask_b32_e32 v3, v3, v5, vcc_lo
	s_delay_alu instid0(VALU_DEP_4)
	v_sub_nc_u32_e32 v5, v23, v7
	v_and_b32_e32 v6, 1, v39
	ds_store_b32 v2, v48
	v_dual_lshlrev_b32 v3, 2, v3 :: v_dual_add_nc_u32 v5, 7, v5
	v_cmp_eq_u32_e32 vcc_lo, 1, v6
	v_dual_sub_nc_u32 v6, v11, v54 :: v_dual_bitop2_b32 v2, 1, v33 bitop3:0x40
	ds_store_b32 v3, v49
	v_cndmask_b32_e32 v4, v8, v4, vcc_lo
	v_cmp_eq_u32_e32 vcc_lo, 1, v2
	s_delay_alu instid0(VALU_DEP_2)
	v_dual_lshlrev_b32 v4, 2, v4 :: v_dual_cndmask_b32 v2, v5, v7, vcc_lo
	v_dual_sub_nc_u32 v5, v10, v54 :: v_dual_bitop2_b32 v7, 1, v17 bitop3:0x40
	v_sub_nc_u32_e32 v3, v23, v6
	ds_store_b32 v4, v46
	v_dual_sub_nc_u32 v4, v23, v5 :: v_dual_lshlrev_b32 v2, 2, v2
	v_add_nc_u32_e32 v3, 9, v3
	v_cmp_eq_u32_e32 vcc_lo, 1, v7
	s_delay_alu instid0(VALU_DEP_3) | instskip(SKIP_3) | instid1(VALU_DEP_2)
	v_dual_sub_nc_u32 v7, v12, v54 :: v_dual_add_nc_u32 v4, 8, v4
	ds_store_b32 v2, v47
	v_dual_cndmask_b32 v3, v3, v6, vcc_lo :: v_dual_bitop2_b32 v2, 1, v27 bitop3:0x40
	v_dual_sub_nc_u32 v6, v13, v54 :: v_dual_sub_nc_u32 v8, v14, v54
	v_cmp_eq_u32_e32 vcc_lo, 1, v2
	v_dual_cndmask_b32 v2, v4, v5 :: v_dual_sub_nc_u32 v5, v23, v7
	s_delay_alu instid0(VALU_DEP_3) | instskip(SKIP_1) | instid1(VALU_DEP_3)
	v_dual_sub_nc_u32 v4, v23, v6 :: v_dual_sub_nc_u32 v9, v23, v8
	v_and_b32_e32 v10, 1, v15
	v_dual_lshlrev_b32 v2, 2, v2 :: v_dual_bitop2_b32 v12, 1, v25 bitop3:0x40
	s_delay_alu instid0(VALU_DEP_3) | instskip(NEXT) | instid1(VALU_DEP_1)
	v_dual_add_nc_u32 v4, 11, v4 :: v_dual_bitop2_b32 v11, 1, v29 bitop3:0x40
	v_cmp_eq_u32_e32 vcc_lo, 1, v11
	s_delay_alu instid0(VALU_DEP_2) | instskip(SKIP_3) | instid1(VALU_DEP_1)
	v_cndmask_b32_e32 v4, v4, v6, vcc_lo
	v_cmp_eq_u32_e32 vcc_lo, 1, v10
	v_add_nc_u32_e32 v9, 12, v9
	v_add_nc_u32_e32 v5, 10, v5
	v_cndmask_b32_e32 v5, v5, v7, vcc_lo
	v_cmp_eq_u32_e32 vcc_lo, 1, v12
	s_delay_alu instid0(VALU_DEP_2) | instskip(SKIP_3) | instid1(VALU_DEP_3)
	v_dual_lshlrev_b32 v3, 2, v3 :: v_dual_lshlrev_b32 v5, 2, v5
	v_cndmask_b32_e32 v6, v9, v8, vcc_lo
	v_lshlrev_b32_e32 v4, 2, v4
	v_cmp_ne_u32_e32 vcc_lo, 1, v21
	v_lshlrev_b32_e32 v6, 2, v6
	ds_store_b32 v2, v44
	ds_store_b32 v3, v45
	;; [unrolled: 1-line block ×5, first 2 shown]
	s_wait_dscnt 0x0
	s_barrier_signal -1
	s_barrier_wait -1
	ds_load_2addr_stride64_b32 v[14:15], v19 offset1:4
	ds_load_2addr_stride64_b32 v[12:13], v19 offset0:8 offset1:12
	ds_load_2addr_stride64_b32 v[10:11], v19 offset0:16 offset1:20
	;; [unrolled: 1-line block ×5, first 2 shown]
	ds_load_b32 v46, v19 offset:12288
	v_mov_b32_e32 v1, 0
	s_and_b32 vcc_lo, exec_lo, vcc_lo
	s_delay_alu instid0(VALU_DEP_1) | instskip(SKIP_3) | instid1(VALU_DEP_3)
	v_dual_mov_b32 v29, v1 :: v_dual_mov_b32 v55, v1
	v_dual_mov_b32 v41, v1 :: v_dual_mov_b32 v39, v1
	v_dual_mov_b32 v37, v1 :: v_dual_mov_b32 v35, v1
	s_wait_kmcnt 0x0
	v_add_nc_u64_e32 v[2:3], s[18:19], v[54:55]
	v_dual_mov_b32 v33, v1 :: v_dual_mov_b32 v31, v1
	v_dual_mov_b32 v27, v1 :: v_dual_mov_b32 v25, v1
	;; [unrolled: 1-line block ×3, first 2 shown]
	v_mov_b32_e32 v19, v1
	s_cbranch_vccnz .LBB564_125
; %bb.72:
	v_mov_b32_e32 v17, v1
	s_mov_b32 s11, 0
	v_sub_nc_u64_e64 v[42:43], v[2:3], s[12:13]
	s_sub_nc_u64 s[0:1], s[14:15], s[10:11]
	s_delay_alu instid0(VALU_DEP_2) | instid1(SALU_CYCLE_1)
	v_add_nc_u64_e32 v[44:45], s[0:1], v[16:17]
	s_mov_b32 s0, exec_lo
	s_delay_alu instid0(VALU_DEP_1)
	v_add_nc_u64_e32 v[42:43], v[44:45], v[42:43]
                                        ; implicit-def: $vgpr44_vgpr45
	v_cmpx_ge_u32_e64 v0, v16
	s_xor_b32 s0, exec_lo, s0
; %bb.73:
	v_not_b32_e32 v44, v0
	s_delay_alu instid0(VALU_DEP_1) | instskip(NEXT) | instid1(VALU_DEP_1)
	v_ashrrev_i32_e32 v45, 31, v44
	v_add_nc_u64_e32 v[44:45], v[42:43], v[44:45]
; %bb.74:
	s_and_not1_saveexec_b32 s0, s0
; %bb.75:
	v_add_nc_u64_e32 v[44:45], v[2:3], v[0:1]
; %bb.76:
	s_or_b32 exec_lo, exec_lo, s0
	s_delay_alu instid0(VALU_DEP_1)
	v_lshl_add_u64 v[44:45], v[44:45], 2, s[16:17]
	s_mov_b32 s0, exec_lo
	s_wait_dscnt 0x6
	global_store_b32 v[44:45], v14, off
                                        ; implicit-def: $vgpr44_vgpr45
	s_wait_xcnt 0x0
	v_cmpx_ge_u32_e64 v40, v16
	s_xor_b32 s0, exec_lo, s0
; %bb.77:
	v_xor_b32_e32 v44, 0xfffffeff, v0
	s_delay_alu instid0(VALU_DEP_1) | instskip(NEXT) | instid1(VALU_DEP_1)
	v_ashrrev_i32_e32 v45, 31, v44
	v_add_nc_u64_e32 v[44:45], v[42:43], v[44:45]
; %bb.78:
	s_and_not1_saveexec_b32 s0, s0
; %bb.79:
	v_add_nc_u64_e32 v[44:45], v[2:3], v[40:41]
; %bb.80:
	s_or_b32 exec_lo, exec_lo, s0
	s_delay_alu instid0(VALU_DEP_1)
	v_lshl_add_u64 v[44:45], v[44:45], 2, s[16:17]
	s_mov_b32 s0, exec_lo
	global_store_b32 v[44:45], v15, off
                                        ; implicit-def: $vgpr44_vgpr45
	s_wait_xcnt 0x0
	v_cmpx_ge_u32_e64 v38, v16
	s_xor_b32 s0, exec_lo, s0
; %bb.81:
	v_xor_b32_e32 v44, 0xfffffdff, v0
	s_delay_alu instid0(VALU_DEP_1) | instskip(NEXT) | instid1(VALU_DEP_1)
	v_ashrrev_i32_e32 v45, 31, v44
	v_add_nc_u64_e32 v[44:45], v[42:43], v[44:45]
; %bb.82:
	s_and_not1_saveexec_b32 s0, s0
; %bb.83:
	v_add_nc_u64_e32 v[44:45], v[2:3], v[38:39]
; %bb.84:
	s_or_b32 exec_lo, exec_lo, s0
	s_delay_alu instid0(VALU_DEP_1)
	v_lshl_add_u64 v[44:45], v[44:45], 2, s[16:17]
	s_mov_b32 s0, exec_lo
	s_wait_dscnt 0x5
	global_store_b32 v[44:45], v12, off
                                        ; implicit-def: $vgpr44_vgpr45
	s_wait_xcnt 0x0
	v_cmpx_ge_u32_e64 v36, v16
	s_xor_b32 s0, exec_lo, s0
; %bb.85:
	v_xor_b32_e32 v44, 0xfffffcff, v0
	s_delay_alu instid0(VALU_DEP_1) | instskip(NEXT) | instid1(VALU_DEP_1)
	v_ashrrev_i32_e32 v45, 31, v44
	v_add_nc_u64_e32 v[44:45], v[42:43], v[44:45]
; %bb.86:
	s_and_not1_saveexec_b32 s0, s0
; %bb.87:
	v_add_nc_u64_e32 v[44:45], v[2:3], v[36:37]
; %bb.88:
	s_or_b32 exec_lo, exec_lo, s0
	s_delay_alu instid0(VALU_DEP_1)
	v_lshl_add_u64 v[44:45], v[44:45], 2, s[16:17]
	s_mov_b32 s0, exec_lo
	global_store_b32 v[44:45], v13, off
                                        ; implicit-def: $vgpr44_vgpr45
	s_wait_xcnt 0x0
	v_cmpx_ge_u32_e64 v34, v16
	s_xor_b32 s0, exec_lo, s0
; %bb.89:
	v_xor_b32_e32 v44, 0xfffffbff, v0
	;; [unrolled: 39-line block ×6, first 2 shown]
	s_delay_alu instid0(VALU_DEP_1) | instskip(NEXT) | instid1(VALU_DEP_1)
	v_ashrrev_i32_e32 v45, 31, v44
	v_add_nc_u64_e32 v[44:45], v[42:43], v[44:45]
; %bb.122:
	s_and_not1_saveexec_b32 s0, s0
; %bb.123:
	v_add_nc_u64_e32 v[44:45], v[2:3], v[18:19]
; %bb.124:
	s_or_b32 exec_lo, exec_lo, s0
	s_mov_b32 s0, -1
	s_branch .LBB564_205
.LBB564_125:
	s_mov_b32 s0, 0
                                        ; implicit-def: $vgpr44_vgpr45
	s_cbranch_execz .LBB564_205
; %bb.126:
	s_mov_b32 s11, 0
	v_mov_b32_e32 v17, 0
	s_add_nc_u64 s[2:3], s[12:13], s[10:11]
	s_mov_b32 s1, exec_lo
	s_sub_nc_u64 s[2:3], s[14:15], s[2:3]
	s_delay_alu instid0(VALU_DEP_1) | instid1(SALU_CYCLE_1)
	v_add_nc_u64_e32 v[42:43], s[2:3], v[16:17]
	s_delay_alu instid0(VALU_DEP_1)
	v_add_nc_u64_e32 v[42:43], v[42:43], v[2:3]
	v_cmpx_gt_u32_e64 s23, v0
	s_cbranch_execz .LBB564_162
; %bb.127:
	s_mov_b32 s2, exec_lo
                                        ; implicit-def: $vgpr44_vgpr45
	v_cmpx_ge_u32_e64 v0, v16
	s_xor_b32 s2, exec_lo, s2
; %bb.128:
	v_not_b32_e32 v44, v0
	s_delay_alu instid0(VALU_DEP_1) | instskip(NEXT) | instid1(VALU_DEP_1)
	v_ashrrev_i32_e32 v45, 31, v44
	v_add_nc_u64_e32 v[44:45], v[42:43], v[44:45]
; %bb.129:
	s_and_not1_saveexec_b32 s2, s2
; %bb.130:
	v_add_nc_u64_e32 v[44:45], v[2:3], v[0:1]
; %bb.131:
	s_or_b32 exec_lo, exec_lo, s2
	s_delay_alu instid0(VALU_DEP_1) | instskip(SKIP_4) | instid1(SALU_CYCLE_1)
	v_lshl_add_u64 v[44:45], v[44:45], 2, s[16:17]
	s_wait_dscnt 0x6
	global_store_b32 v[44:45], v14, off
	s_wait_xcnt 0x0
	s_or_b32 exec_lo, exec_lo, s1
	s_mov_b32 s1, exec_lo
	v_cmpx_gt_u32_e64 s23, v40
	s_cbranch_execnz .LBB564_163
.LBB564_132:
	s_or_b32 exec_lo, exec_lo, s1
	s_delay_alu instid0(SALU_CYCLE_1)
	s_mov_b32 s1, exec_lo
	v_cmpx_gt_u32_e64 s23, v38
	s_cbranch_execz .LBB564_168
.LBB564_133:
	s_mov_b32 s2, exec_lo
                                        ; implicit-def: $vgpr14_vgpr15
	v_cmpx_ge_u32_e64 v38, v16
	s_xor_b32 s2, exec_lo, s2
	s_cbranch_execz .LBB564_135
; %bb.134:
	s_wait_dscnt 0x6
	v_xor_b32_e32 v14, 0xfffffdff, v0
                                        ; implicit-def: $vgpr38_vgpr39
	s_delay_alu instid0(VALU_DEP_1) | instskip(NEXT) | instid1(VALU_DEP_1)
	v_ashrrev_i32_e32 v15, 31, v14
	v_add_nc_u64_e32 v[14:15], v[42:43], v[14:15]
.LBB564_135:
	s_and_not1_saveexec_b32 s2, s2
	s_cbranch_execz .LBB564_137
; %bb.136:
	s_wait_dscnt 0x6
	v_add_nc_u64_e32 v[14:15], v[2:3], v[38:39]
.LBB564_137:
	s_or_b32 exec_lo, exec_lo, s2
	s_wait_dscnt 0x6
	s_delay_alu instid0(VALU_DEP_1) | instskip(SKIP_4) | instid1(SALU_CYCLE_1)
	v_lshl_add_u64 v[14:15], v[14:15], 2, s[16:17]
	s_wait_dscnt 0x5
	global_store_b32 v[14:15], v12, off
	s_wait_xcnt 0x0
	s_or_b32 exec_lo, exec_lo, s1
	s_mov_b32 s1, exec_lo
	v_cmpx_gt_u32_e64 s23, v36
	s_cbranch_execnz .LBB564_169
.LBB564_138:
	s_or_b32 exec_lo, exec_lo, s1
	s_delay_alu instid0(SALU_CYCLE_1)
	s_mov_b32 s1, exec_lo
	v_cmpx_gt_u32_e64 s23, v34
	s_cbranch_execz .LBB564_174
.LBB564_139:
	s_mov_b32 s2, exec_lo
                                        ; implicit-def: $vgpr12_vgpr13
	v_cmpx_ge_u32_e64 v34, v16
	s_xor_b32 s2, exec_lo, s2
	s_cbranch_execz .LBB564_141
; %bb.140:
	s_wait_dscnt 0x5
	v_xor_b32_e32 v12, 0xfffffbff, v0
                                        ; implicit-def: $vgpr34_vgpr35
	s_delay_alu instid0(VALU_DEP_1) | instskip(NEXT) | instid1(VALU_DEP_1)
	v_ashrrev_i32_e32 v13, 31, v12
	v_add_nc_u64_e32 v[12:13], v[42:43], v[12:13]
.LBB564_141:
	s_and_not1_saveexec_b32 s2, s2
	s_cbranch_execz .LBB564_143
; %bb.142:
	s_wait_dscnt 0x5
	v_add_nc_u64_e32 v[12:13], v[2:3], v[34:35]
.LBB564_143:
	s_or_b32 exec_lo, exec_lo, s2
	s_wait_dscnt 0x5
	s_delay_alu instid0(VALU_DEP_1) | instskip(SKIP_4) | instid1(SALU_CYCLE_1)
	v_lshl_add_u64 v[12:13], v[12:13], 2, s[16:17]
	s_wait_dscnt 0x4
	global_store_b32 v[12:13], v10, off
	s_wait_xcnt 0x0
	s_or_b32 exec_lo, exec_lo, s1
	s_mov_b32 s1, exec_lo
	v_cmpx_gt_u32_e64 s23, v32
	s_cbranch_execnz .LBB564_175
.LBB564_144:
	s_or_b32 exec_lo, exec_lo, s1
	s_delay_alu instid0(SALU_CYCLE_1)
	s_mov_b32 s1, exec_lo
	v_cmpx_gt_u32_e64 s23, v30
	s_cbranch_execz .LBB564_180
.LBB564_145:
	s_mov_b32 s2, exec_lo
                                        ; implicit-def: $vgpr10_vgpr11
	v_cmpx_ge_u32_e64 v30, v16
	s_xor_b32 s2, exec_lo, s2
	s_cbranch_execz .LBB564_147
; %bb.146:
	s_wait_dscnt 0x4
	v_xor_b32_e32 v10, 0xfffff9ff, v0
                                        ; implicit-def: $vgpr30_vgpr31
	s_delay_alu instid0(VALU_DEP_1) | instskip(NEXT) | instid1(VALU_DEP_1)
	v_ashrrev_i32_e32 v11, 31, v10
	v_add_nc_u64_e32 v[10:11], v[42:43], v[10:11]
.LBB564_147:
	s_and_not1_saveexec_b32 s2, s2
	s_cbranch_execz .LBB564_149
; %bb.148:
	s_wait_dscnt 0x4
	v_add_nc_u64_e32 v[10:11], v[2:3], v[30:31]
.LBB564_149:
	s_or_b32 exec_lo, exec_lo, s2
	s_wait_dscnt 0x4
	s_delay_alu instid0(VALU_DEP_1) | instskip(SKIP_4) | instid1(SALU_CYCLE_1)
	v_lshl_add_u64 v[10:11], v[10:11], 2, s[16:17]
	s_wait_dscnt 0x3
	global_store_b32 v[10:11], v8, off
	s_wait_xcnt 0x0
	s_or_b32 exec_lo, exec_lo, s1
	s_mov_b32 s1, exec_lo
	v_cmpx_gt_u32_e64 s23, v28
	s_cbranch_execnz .LBB564_181
.LBB564_150:
	s_or_b32 exec_lo, exec_lo, s1
	s_delay_alu instid0(SALU_CYCLE_1)
	s_mov_b32 s1, exec_lo
	v_cmpx_gt_u32_e64 s23, v26
	s_cbranch_execz .LBB564_186
.LBB564_151:
	s_mov_b32 s2, exec_lo
                                        ; implicit-def: $vgpr8_vgpr9
	v_cmpx_ge_u32_e64 v26, v16
	s_xor_b32 s2, exec_lo, s2
	s_cbranch_execz .LBB564_153
; %bb.152:
	s_wait_dscnt 0x3
	v_xor_b32_e32 v8, 0xfffff7ff, v0
                                        ; implicit-def: $vgpr26_vgpr27
	s_delay_alu instid0(VALU_DEP_1) | instskip(NEXT) | instid1(VALU_DEP_1)
	v_ashrrev_i32_e32 v9, 31, v8
	v_add_nc_u64_e32 v[8:9], v[42:43], v[8:9]
.LBB564_153:
	s_and_not1_saveexec_b32 s2, s2
	s_cbranch_execz .LBB564_155
; %bb.154:
	s_wait_dscnt 0x3
	v_add_nc_u64_e32 v[8:9], v[2:3], v[26:27]
.LBB564_155:
	s_or_b32 exec_lo, exec_lo, s2
	s_wait_dscnt 0x3
	s_delay_alu instid0(VALU_DEP_1) | instskip(SKIP_4) | instid1(SALU_CYCLE_1)
	v_lshl_add_u64 v[8:9], v[8:9], 2, s[16:17]
	s_wait_dscnt 0x2
	global_store_b32 v[8:9], v6, off
	s_wait_xcnt 0x0
	s_or_b32 exec_lo, exec_lo, s1
	s_mov_b32 s1, exec_lo
	v_cmpx_gt_u32_e64 s23, v24
	s_cbranch_execnz .LBB564_187
.LBB564_156:
	s_or_b32 exec_lo, exec_lo, s1
	s_delay_alu instid0(SALU_CYCLE_1)
	s_mov_b32 s1, exec_lo
	v_cmpx_gt_u32_e64 s23, v22
	s_cbranch_execz .LBB564_192
.LBB564_157:
	s_mov_b32 s2, exec_lo
                                        ; implicit-def: $vgpr6_vgpr7
	v_cmpx_ge_u32_e64 v22, v16
	s_xor_b32 s2, exec_lo, s2
	s_cbranch_execz .LBB564_159
; %bb.158:
	s_wait_dscnt 0x2
	v_xor_b32_e32 v6, 0xfffff5ff, v0
                                        ; implicit-def: $vgpr22_vgpr23
	s_delay_alu instid0(VALU_DEP_1) | instskip(NEXT) | instid1(VALU_DEP_1)
	v_ashrrev_i32_e32 v7, 31, v6
	v_add_nc_u64_e32 v[6:7], v[42:43], v[6:7]
.LBB564_159:
	s_and_not1_saveexec_b32 s2, s2
	s_cbranch_execz .LBB564_161
; %bb.160:
	s_wait_dscnt 0x2
	v_add_nc_u64_e32 v[6:7], v[2:3], v[22:23]
.LBB564_161:
	s_or_b32 exec_lo, exec_lo, s2
	s_wait_dscnt 0x2
	s_delay_alu instid0(VALU_DEP_1) | instskip(SKIP_4) | instid1(SALU_CYCLE_1)
	v_lshl_add_u64 v[6:7], v[6:7], 2, s[16:17]
	s_wait_dscnt 0x1
	global_store_b32 v[6:7], v4, off
	s_wait_xcnt 0x0
	s_or_b32 exec_lo, exec_lo, s1
	s_mov_b32 s1, exec_lo
	v_cmpx_gt_u32_e64 s23, v20
	s_cbranch_execz .LBB564_198
	s_branch .LBB564_193
.LBB564_162:
	s_or_b32 exec_lo, exec_lo, s1
	s_delay_alu instid0(SALU_CYCLE_1)
	s_mov_b32 s1, exec_lo
	v_cmpx_gt_u32_e64 s23, v40
	s_cbranch_execz .LBB564_132
.LBB564_163:
	s_mov_b32 s2, exec_lo
                                        ; implicit-def: $vgpr44_vgpr45
	v_cmpx_ge_u32_e64 v40, v16
	s_xor_b32 s2, exec_lo, s2
; %bb.164:
	v_xor_b32_e32 v40, 0xfffffeff, v0
	s_delay_alu instid0(VALU_DEP_1) | instskip(NEXT) | instid1(VALU_DEP_1)
	v_ashrrev_i32_e32 v41, 31, v40
	v_add_nc_u64_e32 v[44:45], v[42:43], v[40:41]
                                        ; implicit-def: $vgpr40_vgpr41
; %bb.165:
	s_and_not1_saveexec_b32 s2, s2
; %bb.166:
	v_add_nc_u64_e32 v[44:45], v[2:3], v[40:41]
; %bb.167:
	s_or_b32 exec_lo, exec_lo, s2
	s_delay_alu instid0(VALU_DEP_1) | instskip(SKIP_4) | instid1(SALU_CYCLE_1)
	v_lshl_add_u64 v[40:41], v[44:45], 2, s[16:17]
	s_wait_dscnt 0x6
	global_store_b32 v[40:41], v15, off
	s_wait_xcnt 0x0
	s_or_b32 exec_lo, exec_lo, s1
	s_mov_b32 s1, exec_lo
	v_cmpx_gt_u32_e64 s23, v38
	s_cbranch_execnz .LBB564_133
.LBB564_168:
	s_or_b32 exec_lo, exec_lo, s1
	s_delay_alu instid0(SALU_CYCLE_1)
	s_mov_b32 s1, exec_lo
	v_cmpx_gt_u32_e64 s23, v36
	s_cbranch_execz .LBB564_138
.LBB564_169:
	s_mov_b32 s2, exec_lo
                                        ; implicit-def: $vgpr14_vgpr15
	v_cmpx_ge_u32_e64 v36, v16
	s_xor_b32 s2, exec_lo, s2
	s_cbranch_execz .LBB564_171
; %bb.170:
	s_wait_dscnt 0x6
	v_xor_b32_e32 v14, 0xfffffcff, v0
                                        ; implicit-def: $vgpr36_vgpr37
	s_delay_alu instid0(VALU_DEP_1) | instskip(NEXT) | instid1(VALU_DEP_1)
	v_ashrrev_i32_e32 v15, 31, v14
	v_add_nc_u64_e32 v[14:15], v[42:43], v[14:15]
.LBB564_171:
	s_and_not1_saveexec_b32 s2, s2
	s_cbranch_execz .LBB564_173
; %bb.172:
	s_wait_dscnt 0x6
	v_add_nc_u64_e32 v[14:15], v[2:3], v[36:37]
.LBB564_173:
	s_or_b32 exec_lo, exec_lo, s2
	s_wait_dscnt 0x6
	s_delay_alu instid0(VALU_DEP_1) | instskip(SKIP_4) | instid1(SALU_CYCLE_1)
	v_lshl_add_u64 v[14:15], v[14:15], 2, s[16:17]
	s_wait_dscnt 0x5
	global_store_b32 v[14:15], v13, off
	s_wait_xcnt 0x0
	s_or_b32 exec_lo, exec_lo, s1
	s_mov_b32 s1, exec_lo
	v_cmpx_gt_u32_e64 s23, v34
	s_cbranch_execnz .LBB564_139
.LBB564_174:
	s_or_b32 exec_lo, exec_lo, s1
	s_delay_alu instid0(SALU_CYCLE_1)
	s_mov_b32 s1, exec_lo
	v_cmpx_gt_u32_e64 s23, v32
	s_cbranch_execz .LBB564_144
.LBB564_175:
	s_mov_b32 s2, exec_lo
                                        ; implicit-def: $vgpr12_vgpr13
	v_cmpx_ge_u32_e64 v32, v16
	s_xor_b32 s2, exec_lo, s2
	s_cbranch_execz .LBB564_177
; %bb.176:
	s_wait_dscnt 0x5
	v_xor_b32_e32 v12, 0xfffffaff, v0
                                        ; implicit-def: $vgpr32_vgpr33
	s_delay_alu instid0(VALU_DEP_1) | instskip(NEXT) | instid1(VALU_DEP_1)
	v_ashrrev_i32_e32 v13, 31, v12
	v_add_nc_u64_e32 v[12:13], v[42:43], v[12:13]
.LBB564_177:
	s_and_not1_saveexec_b32 s2, s2
	s_cbranch_execz .LBB564_179
; %bb.178:
	s_wait_dscnt 0x5
	v_add_nc_u64_e32 v[12:13], v[2:3], v[32:33]
.LBB564_179:
	s_or_b32 exec_lo, exec_lo, s2
	s_wait_dscnt 0x5
	s_delay_alu instid0(VALU_DEP_1) | instskip(SKIP_4) | instid1(SALU_CYCLE_1)
	v_lshl_add_u64 v[12:13], v[12:13], 2, s[16:17]
	s_wait_dscnt 0x4
	global_store_b32 v[12:13], v11, off
	s_wait_xcnt 0x0
	s_or_b32 exec_lo, exec_lo, s1
	s_mov_b32 s1, exec_lo
	v_cmpx_gt_u32_e64 s23, v30
	s_cbranch_execnz .LBB564_145
.LBB564_180:
	s_or_b32 exec_lo, exec_lo, s1
	s_delay_alu instid0(SALU_CYCLE_1)
	s_mov_b32 s1, exec_lo
	v_cmpx_gt_u32_e64 s23, v28
	s_cbranch_execz .LBB564_150
.LBB564_181:
	s_mov_b32 s2, exec_lo
                                        ; implicit-def: $vgpr10_vgpr11
	v_cmpx_ge_u32_e64 v28, v16
	s_xor_b32 s2, exec_lo, s2
	s_cbranch_execz .LBB564_183
; %bb.182:
	s_wait_dscnt 0x4
	v_xor_b32_e32 v10, 0xfffff8ff, v0
                                        ; implicit-def: $vgpr28_vgpr29
	s_delay_alu instid0(VALU_DEP_1) | instskip(NEXT) | instid1(VALU_DEP_1)
	v_ashrrev_i32_e32 v11, 31, v10
	v_add_nc_u64_e32 v[10:11], v[42:43], v[10:11]
.LBB564_183:
	s_and_not1_saveexec_b32 s2, s2
	s_cbranch_execz .LBB564_185
; %bb.184:
	s_wait_dscnt 0x4
	v_add_nc_u64_e32 v[10:11], v[2:3], v[28:29]
.LBB564_185:
	s_or_b32 exec_lo, exec_lo, s2
	s_wait_dscnt 0x4
	s_delay_alu instid0(VALU_DEP_1) | instskip(SKIP_4) | instid1(SALU_CYCLE_1)
	v_lshl_add_u64 v[10:11], v[10:11], 2, s[16:17]
	s_wait_dscnt 0x3
	global_store_b32 v[10:11], v9, off
	s_wait_xcnt 0x0
	s_or_b32 exec_lo, exec_lo, s1
	s_mov_b32 s1, exec_lo
	v_cmpx_gt_u32_e64 s23, v26
	s_cbranch_execnz .LBB564_151
.LBB564_186:
	s_or_b32 exec_lo, exec_lo, s1
	s_delay_alu instid0(SALU_CYCLE_1)
	s_mov_b32 s1, exec_lo
	v_cmpx_gt_u32_e64 s23, v24
	s_cbranch_execz .LBB564_156
.LBB564_187:
	s_mov_b32 s2, exec_lo
                                        ; implicit-def: $vgpr8_vgpr9
	v_cmpx_ge_u32_e64 v24, v16
	s_xor_b32 s2, exec_lo, s2
	s_cbranch_execz .LBB564_189
; %bb.188:
	s_wait_dscnt 0x3
	v_xor_b32_e32 v8, 0xfffff6ff, v0
                                        ; implicit-def: $vgpr24_vgpr25
	s_delay_alu instid0(VALU_DEP_1) | instskip(NEXT) | instid1(VALU_DEP_1)
	v_ashrrev_i32_e32 v9, 31, v8
	v_add_nc_u64_e32 v[8:9], v[42:43], v[8:9]
.LBB564_189:
	s_and_not1_saveexec_b32 s2, s2
	s_cbranch_execz .LBB564_191
; %bb.190:
	s_wait_dscnt 0x3
	v_add_nc_u64_e32 v[8:9], v[2:3], v[24:25]
.LBB564_191:
	s_or_b32 exec_lo, exec_lo, s2
	s_wait_dscnt 0x3
	s_delay_alu instid0(VALU_DEP_1) | instskip(SKIP_4) | instid1(SALU_CYCLE_1)
	v_lshl_add_u64 v[8:9], v[8:9], 2, s[16:17]
	s_wait_dscnt 0x2
	global_store_b32 v[8:9], v7, off
	s_wait_xcnt 0x0
	s_or_b32 exec_lo, exec_lo, s1
	s_mov_b32 s1, exec_lo
	v_cmpx_gt_u32_e64 s23, v22
	s_cbranch_execnz .LBB564_157
.LBB564_192:
	s_or_b32 exec_lo, exec_lo, s1
	s_delay_alu instid0(SALU_CYCLE_1)
	s_mov_b32 s1, exec_lo
	v_cmpx_gt_u32_e64 s23, v20
	s_cbranch_execz .LBB564_198
.LBB564_193:
	s_mov_b32 s2, exec_lo
                                        ; implicit-def: $vgpr6_vgpr7
	v_cmpx_ge_u32_e64 v20, v16
	s_xor_b32 s2, exec_lo, s2
	s_cbranch_execz .LBB564_195
; %bb.194:
	s_wait_dscnt 0x2
	v_xor_b32_e32 v6, 0xfffff4ff, v0
                                        ; implicit-def: $vgpr20_vgpr21
	s_delay_alu instid0(VALU_DEP_1) | instskip(NEXT) | instid1(VALU_DEP_1)
	v_ashrrev_i32_e32 v7, 31, v6
	v_add_nc_u64_e32 v[6:7], v[42:43], v[6:7]
.LBB564_195:
	s_and_not1_saveexec_b32 s2, s2
	s_cbranch_execz .LBB564_197
; %bb.196:
	s_wait_dscnt 0x2
	v_add_nc_u64_e32 v[6:7], v[2:3], v[20:21]
.LBB564_197:
	s_or_b32 exec_lo, exec_lo, s2
	s_wait_dscnt 0x2
	s_delay_alu instid0(VALU_DEP_1)
	v_lshl_add_u64 v[6:7], v[6:7], 2, s[16:17]
	s_wait_dscnt 0x1
	global_store_b32 v[6:7], v5, off
.LBB564_198:
	s_wait_xcnt 0x0
	s_or_b32 exec_lo, exec_lo, s1
	s_delay_alu instid0(SALU_CYCLE_1)
	s_mov_b32 s1, exec_lo
                                        ; implicit-def: $vgpr44_vgpr45
	v_cmpx_gt_u32_e64 s23, v18
	s_cbranch_execz .LBB564_204
; %bb.199:
	s_mov_b32 s2, exec_lo
                                        ; implicit-def: $vgpr44_vgpr45
	v_cmpx_ge_u32_e64 v18, v16
	s_xor_b32 s2, exec_lo, s2
	s_cbranch_execz .LBB564_201
; %bb.200:
	s_wait_dscnt 0x1
	v_xor_b32_e32 v4, 0xfffff3ff, v0
                                        ; implicit-def: $vgpr18_vgpr19
	s_delay_alu instid0(VALU_DEP_1) | instskip(NEXT) | instid1(VALU_DEP_1)
	v_ashrrev_i32_e32 v5, 31, v4
	v_add_nc_u64_e32 v[44:45], v[42:43], v[4:5]
.LBB564_201:
	s_and_not1_saveexec_b32 s2, s2
; %bb.202:
	v_add_nc_u64_e32 v[44:45], v[2:3], v[18:19]
; %bb.203:
	s_or_b32 exec_lo, exec_lo, s2
	s_delay_alu instid0(SALU_CYCLE_1)
	s_or_b32 s0, s0, exec_lo
.LBB564_204:
	s_or_b32 exec_lo, exec_lo, s1
.LBB564_205:
	s_and_saveexec_b32 s1, s0
	s_cbranch_execz .LBB564_207
; %bb.206:
	s_wait_dscnt 0x1
	v_lshl_add_u64 v[4:5], v[44:45], 2, s[16:17]
	s_wait_dscnt 0x0
	global_store_b32 v[4:5], v46, off
.LBB564_207:
	s_wait_xcnt 0x0
	s_or_b32 exec_lo, exec_lo, s1
	v_cmp_eq_u32_e32 vcc_lo, 0, v0
	s_and_b32 s0, vcc_lo, s22
	s_delay_alu instid0(SALU_CYCLE_1)
	s_and_saveexec_b32 s1, s0
	s_cbranch_execz .LBB564_209
; %bb.208:
	v_mov_b32_e32 v17, 0
	s_delay_alu instid0(VALU_DEP_1)
	v_add_nc_u64_e32 v[0:1], v[2:3], v[16:17]
	global_store_b64 v17, v[0:1], s[8:9]
.LBB564_209:
	s_sendmsg sendmsg(MSG_DEALLOC_VGPRS)
	s_endpgm
	.section	.rodata,"a",@progbits
	.p2align	6, 0x0
	.amdhsa_kernel _ZN7rocprim17ROCPRIM_400000_NS6detail17trampoline_kernelINS0_13select_configILj256ELj13ELNS0_17block_load_methodE3ELS4_3ELS4_3ELNS0_20block_scan_algorithmE0ELj4294967295EEENS1_25partition_config_selectorILNS1_17partition_subalgoE3EjNS0_10empty_typeEbEEZZNS1_14partition_implILS8_3ELb0ES6_jNS0_17counting_iteratorIjlEEPS9_SE_NS0_5tupleIJPjSE_EEENSF_IJSE_SE_EEES9_SG_JZNS1_25segmented_radix_sort_implINS0_14default_configELb0EPKiPiPKlPlN2at6native12_GLOBAL__N_18offset_tEEE10hipError_tPvRmT1_PNSt15iterator_traitsISY_E10value_typeET2_T3_PNSZ_IS14_E10value_typeET4_jRbjT5_S1A_jjP12ihipStream_tbEUljE_EEESV_SW_SX_S14_S18_S1A_T6_T7_T9_mT8_S1C_bDpT10_ENKUlT_T0_E_clISt17integral_constantIbLb0EES1P_EEDaS1K_S1L_EUlS1K_E_NS1_11comp_targetILNS1_3genE0ELNS1_11target_archE4294967295ELNS1_3gpuE0ELNS1_3repE0EEENS1_30default_config_static_selectorELNS0_4arch9wavefront6targetE0EEEvSY_
		.amdhsa_group_segment_fixed_size 13320
		.amdhsa_private_segment_fixed_size 0
		.amdhsa_kernarg_size 144
		.amdhsa_user_sgpr_count 2
		.amdhsa_user_sgpr_dispatch_ptr 0
		.amdhsa_user_sgpr_queue_ptr 0
		.amdhsa_user_sgpr_kernarg_segment_ptr 1
		.amdhsa_user_sgpr_dispatch_id 0
		.amdhsa_user_sgpr_kernarg_preload_length 0
		.amdhsa_user_sgpr_kernarg_preload_offset 0
		.amdhsa_user_sgpr_private_segment_size 0
		.amdhsa_wavefront_size32 1
		.amdhsa_uses_dynamic_stack 0
		.amdhsa_enable_private_segment 0
		.amdhsa_system_sgpr_workgroup_id_x 1
		.amdhsa_system_sgpr_workgroup_id_y 0
		.amdhsa_system_sgpr_workgroup_id_z 0
		.amdhsa_system_sgpr_workgroup_info 0
		.amdhsa_system_vgpr_workitem_id 0
		.amdhsa_next_free_vgpr 69
		.amdhsa_next_free_sgpr 26
		.amdhsa_named_barrier_count 0
		.amdhsa_reserve_vcc 1
		.amdhsa_float_round_mode_32 0
		.amdhsa_float_round_mode_16_64 0
		.amdhsa_float_denorm_mode_32 3
		.amdhsa_float_denorm_mode_16_64 3
		.amdhsa_fp16_overflow 0
		.amdhsa_memory_ordered 1
		.amdhsa_forward_progress 1
		.amdhsa_inst_pref_size 70
		.amdhsa_round_robin_scheduling 0
		.amdhsa_exception_fp_ieee_invalid_op 0
		.amdhsa_exception_fp_denorm_src 0
		.amdhsa_exception_fp_ieee_div_zero 0
		.amdhsa_exception_fp_ieee_overflow 0
		.amdhsa_exception_fp_ieee_underflow 0
		.amdhsa_exception_fp_ieee_inexact 0
		.amdhsa_exception_int_div_zero 0
	.end_amdhsa_kernel
	.section	.text._ZN7rocprim17ROCPRIM_400000_NS6detail17trampoline_kernelINS0_13select_configILj256ELj13ELNS0_17block_load_methodE3ELS4_3ELS4_3ELNS0_20block_scan_algorithmE0ELj4294967295EEENS1_25partition_config_selectorILNS1_17partition_subalgoE3EjNS0_10empty_typeEbEEZZNS1_14partition_implILS8_3ELb0ES6_jNS0_17counting_iteratorIjlEEPS9_SE_NS0_5tupleIJPjSE_EEENSF_IJSE_SE_EEES9_SG_JZNS1_25segmented_radix_sort_implINS0_14default_configELb0EPKiPiPKlPlN2at6native12_GLOBAL__N_18offset_tEEE10hipError_tPvRmT1_PNSt15iterator_traitsISY_E10value_typeET2_T3_PNSZ_IS14_E10value_typeET4_jRbjT5_S1A_jjP12ihipStream_tbEUljE_EEESV_SW_SX_S14_S18_S1A_T6_T7_T9_mT8_S1C_bDpT10_ENKUlT_T0_E_clISt17integral_constantIbLb0EES1P_EEDaS1K_S1L_EUlS1K_E_NS1_11comp_targetILNS1_3genE0ELNS1_11target_archE4294967295ELNS1_3gpuE0ELNS1_3repE0EEENS1_30default_config_static_selectorELNS0_4arch9wavefront6targetE0EEEvSY_,"axG",@progbits,_ZN7rocprim17ROCPRIM_400000_NS6detail17trampoline_kernelINS0_13select_configILj256ELj13ELNS0_17block_load_methodE3ELS4_3ELS4_3ELNS0_20block_scan_algorithmE0ELj4294967295EEENS1_25partition_config_selectorILNS1_17partition_subalgoE3EjNS0_10empty_typeEbEEZZNS1_14partition_implILS8_3ELb0ES6_jNS0_17counting_iteratorIjlEEPS9_SE_NS0_5tupleIJPjSE_EEENSF_IJSE_SE_EEES9_SG_JZNS1_25segmented_radix_sort_implINS0_14default_configELb0EPKiPiPKlPlN2at6native12_GLOBAL__N_18offset_tEEE10hipError_tPvRmT1_PNSt15iterator_traitsISY_E10value_typeET2_T3_PNSZ_IS14_E10value_typeET4_jRbjT5_S1A_jjP12ihipStream_tbEUljE_EEESV_SW_SX_S14_S18_S1A_T6_T7_T9_mT8_S1C_bDpT10_ENKUlT_T0_E_clISt17integral_constantIbLb0EES1P_EEDaS1K_S1L_EUlS1K_E_NS1_11comp_targetILNS1_3genE0ELNS1_11target_archE4294967295ELNS1_3gpuE0ELNS1_3repE0EEENS1_30default_config_static_selectorELNS0_4arch9wavefront6targetE0EEEvSY_,comdat
.Lfunc_end564:
	.size	_ZN7rocprim17ROCPRIM_400000_NS6detail17trampoline_kernelINS0_13select_configILj256ELj13ELNS0_17block_load_methodE3ELS4_3ELS4_3ELNS0_20block_scan_algorithmE0ELj4294967295EEENS1_25partition_config_selectorILNS1_17partition_subalgoE3EjNS0_10empty_typeEbEEZZNS1_14partition_implILS8_3ELb0ES6_jNS0_17counting_iteratorIjlEEPS9_SE_NS0_5tupleIJPjSE_EEENSF_IJSE_SE_EEES9_SG_JZNS1_25segmented_radix_sort_implINS0_14default_configELb0EPKiPiPKlPlN2at6native12_GLOBAL__N_18offset_tEEE10hipError_tPvRmT1_PNSt15iterator_traitsISY_E10value_typeET2_T3_PNSZ_IS14_E10value_typeET4_jRbjT5_S1A_jjP12ihipStream_tbEUljE_EEESV_SW_SX_S14_S18_S1A_T6_T7_T9_mT8_S1C_bDpT10_ENKUlT_T0_E_clISt17integral_constantIbLb0EES1P_EEDaS1K_S1L_EUlS1K_E_NS1_11comp_targetILNS1_3genE0ELNS1_11target_archE4294967295ELNS1_3gpuE0ELNS1_3repE0EEENS1_30default_config_static_selectorELNS0_4arch9wavefront6targetE0EEEvSY_, .Lfunc_end564-_ZN7rocprim17ROCPRIM_400000_NS6detail17trampoline_kernelINS0_13select_configILj256ELj13ELNS0_17block_load_methodE3ELS4_3ELS4_3ELNS0_20block_scan_algorithmE0ELj4294967295EEENS1_25partition_config_selectorILNS1_17partition_subalgoE3EjNS0_10empty_typeEbEEZZNS1_14partition_implILS8_3ELb0ES6_jNS0_17counting_iteratorIjlEEPS9_SE_NS0_5tupleIJPjSE_EEENSF_IJSE_SE_EEES9_SG_JZNS1_25segmented_radix_sort_implINS0_14default_configELb0EPKiPiPKlPlN2at6native12_GLOBAL__N_18offset_tEEE10hipError_tPvRmT1_PNSt15iterator_traitsISY_E10value_typeET2_T3_PNSZ_IS14_E10value_typeET4_jRbjT5_S1A_jjP12ihipStream_tbEUljE_EEESV_SW_SX_S14_S18_S1A_T6_T7_T9_mT8_S1C_bDpT10_ENKUlT_T0_E_clISt17integral_constantIbLb0EES1P_EEDaS1K_S1L_EUlS1K_E_NS1_11comp_targetILNS1_3genE0ELNS1_11target_archE4294967295ELNS1_3gpuE0ELNS1_3repE0EEENS1_30default_config_static_selectorELNS0_4arch9wavefront6targetE0EEEvSY_
                                        ; -- End function
	.set _ZN7rocprim17ROCPRIM_400000_NS6detail17trampoline_kernelINS0_13select_configILj256ELj13ELNS0_17block_load_methodE3ELS4_3ELS4_3ELNS0_20block_scan_algorithmE0ELj4294967295EEENS1_25partition_config_selectorILNS1_17partition_subalgoE3EjNS0_10empty_typeEbEEZZNS1_14partition_implILS8_3ELb0ES6_jNS0_17counting_iteratorIjlEEPS9_SE_NS0_5tupleIJPjSE_EEENSF_IJSE_SE_EEES9_SG_JZNS1_25segmented_radix_sort_implINS0_14default_configELb0EPKiPiPKlPlN2at6native12_GLOBAL__N_18offset_tEEE10hipError_tPvRmT1_PNSt15iterator_traitsISY_E10value_typeET2_T3_PNSZ_IS14_E10value_typeET4_jRbjT5_S1A_jjP12ihipStream_tbEUljE_EEESV_SW_SX_S14_S18_S1A_T6_T7_T9_mT8_S1C_bDpT10_ENKUlT_T0_E_clISt17integral_constantIbLb0EES1P_EEDaS1K_S1L_EUlS1K_E_NS1_11comp_targetILNS1_3genE0ELNS1_11target_archE4294967295ELNS1_3gpuE0ELNS1_3repE0EEENS1_30default_config_static_selectorELNS0_4arch9wavefront6targetE0EEEvSY_.num_vgpr, 69
	.set _ZN7rocprim17ROCPRIM_400000_NS6detail17trampoline_kernelINS0_13select_configILj256ELj13ELNS0_17block_load_methodE3ELS4_3ELS4_3ELNS0_20block_scan_algorithmE0ELj4294967295EEENS1_25partition_config_selectorILNS1_17partition_subalgoE3EjNS0_10empty_typeEbEEZZNS1_14partition_implILS8_3ELb0ES6_jNS0_17counting_iteratorIjlEEPS9_SE_NS0_5tupleIJPjSE_EEENSF_IJSE_SE_EEES9_SG_JZNS1_25segmented_radix_sort_implINS0_14default_configELb0EPKiPiPKlPlN2at6native12_GLOBAL__N_18offset_tEEE10hipError_tPvRmT1_PNSt15iterator_traitsISY_E10value_typeET2_T3_PNSZ_IS14_E10value_typeET4_jRbjT5_S1A_jjP12ihipStream_tbEUljE_EEESV_SW_SX_S14_S18_S1A_T6_T7_T9_mT8_S1C_bDpT10_ENKUlT_T0_E_clISt17integral_constantIbLb0EES1P_EEDaS1K_S1L_EUlS1K_E_NS1_11comp_targetILNS1_3genE0ELNS1_11target_archE4294967295ELNS1_3gpuE0ELNS1_3repE0EEENS1_30default_config_static_selectorELNS0_4arch9wavefront6targetE0EEEvSY_.num_agpr, 0
	.set _ZN7rocprim17ROCPRIM_400000_NS6detail17trampoline_kernelINS0_13select_configILj256ELj13ELNS0_17block_load_methodE3ELS4_3ELS4_3ELNS0_20block_scan_algorithmE0ELj4294967295EEENS1_25partition_config_selectorILNS1_17partition_subalgoE3EjNS0_10empty_typeEbEEZZNS1_14partition_implILS8_3ELb0ES6_jNS0_17counting_iteratorIjlEEPS9_SE_NS0_5tupleIJPjSE_EEENSF_IJSE_SE_EEES9_SG_JZNS1_25segmented_radix_sort_implINS0_14default_configELb0EPKiPiPKlPlN2at6native12_GLOBAL__N_18offset_tEEE10hipError_tPvRmT1_PNSt15iterator_traitsISY_E10value_typeET2_T3_PNSZ_IS14_E10value_typeET4_jRbjT5_S1A_jjP12ihipStream_tbEUljE_EEESV_SW_SX_S14_S18_S1A_T6_T7_T9_mT8_S1C_bDpT10_ENKUlT_T0_E_clISt17integral_constantIbLb0EES1P_EEDaS1K_S1L_EUlS1K_E_NS1_11comp_targetILNS1_3genE0ELNS1_11target_archE4294967295ELNS1_3gpuE0ELNS1_3repE0EEENS1_30default_config_static_selectorELNS0_4arch9wavefront6targetE0EEEvSY_.numbered_sgpr, 26
	.set _ZN7rocprim17ROCPRIM_400000_NS6detail17trampoline_kernelINS0_13select_configILj256ELj13ELNS0_17block_load_methodE3ELS4_3ELS4_3ELNS0_20block_scan_algorithmE0ELj4294967295EEENS1_25partition_config_selectorILNS1_17partition_subalgoE3EjNS0_10empty_typeEbEEZZNS1_14partition_implILS8_3ELb0ES6_jNS0_17counting_iteratorIjlEEPS9_SE_NS0_5tupleIJPjSE_EEENSF_IJSE_SE_EEES9_SG_JZNS1_25segmented_radix_sort_implINS0_14default_configELb0EPKiPiPKlPlN2at6native12_GLOBAL__N_18offset_tEEE10hipError_tPvRmT1_PNSt15iterator_traitsISY_E10value_typeET2_T3_PNSZ_IS14_E10value_typeET4_jRbjT5_S1A_jjP12ihipStream_tbEUljE_EEESV_SW_SX_S14_S18_S1A_T6_T7_T9_mT8_S1C_bDpT10_ENKUlT_T0_E_clISt17integral_constantIbLb0EES1P_EEDaS1K_S1L_EUlS1K_E_NS1_11comp_targetILNS1_3genE0ELNS1_11target_archE4294967295ELNS1_3gpuE0ELNS1_3repE0EEENS1_30default_config_static_selectorELNS0_4arch9wavefront6targetE0EEEvSY_.num_named_barrier, 0
	.set _ZN7rocprim17ROCPRIM_400000_NS6detail17trampoline_kernelINS0_13select_configILj256ELj13ELNS0_17block_load_methodE3ELS4_3ELS4_3ELNS0_20block_scan_algorithmE0ELj4294967295EEENS1_25partition_config_selectorILNS1_17partition_subalgoE3EjNS0_10empty_typeEbEEZZNS1_14partition_implILS8_3ELb0ES6_jNS0_17counting_iteratorIjlEEPS9_SE_NS0_5tupleIJPjSE_EEENSF_IJSE_SE_EEES9_SG_JZNS1_25segmented_radix_sort_implINS0_14default_configELb0EPKiPiPKlPlN2at6native12_GLOBAL__N_18offset_tEEE10hipError_tPvRmT1_PNSt15iterator_traitsISY_E10value_typeET2_T3_PNSZ_IS14_E10value_typeET4_jRbjT5_S1A_jjP12ihipStream_tbEUljE_EEESV_SW_SX_S14_S18_S1A_T6_T7_T9_mT8_S1C_bDpT10_ENKUlT_T0_E_clISt17integral_constantIbLb0EES1P_EEDaS1K_S1L_EUlS1K_E_NS1_11comp_targetILNS1_3genE0ELNS1_11target_archE4294967295ELNS1_3gpuE0ELNS1_3repE0EEENS1_30default_config_static_selectorELNS0_4arch9wavefront6targetE0EEEvSY_.private_seg_size, 0
	.set _ZN7rocprim17ROCPRIM_400000_NS6detail17trampoline_kernelINS0_13select_configILj256ELj13ELNS0_17block_load_methodE3ELS4_3ELS4_3ELNS0_20block_scan_algorithmE0ELj4294967295EEENS1_25partition_config_selectorILNS1_17partition_subalgoE3EjNS0_10empty_typeEbEEZZNS1_14partition_implILS8_3ELb0ES6_jNS0_17counting_iteratorIjlEEPS9_SE_NS0_5tupleIJPjSE_EEENSF_IJSE_SE_EEES9_SG_JZNS1_25segmented_radix_sort_implINS0_14default_configELb0EPKiPiPKlPlN2at6native12_GLOBAL__N_18offset_tEEE10hipError_tPvRmT1_PNSt15iterator_traitsISY_E10value_typeET2_T3_PNSZ_IS14_E10value_typeET4_jRbjT5_S1A_jjP12ihipStream_tbEUljE_EEESV_SW_SX_S14_S18_S1A_T6_T7_T9_mT8_S1C_bDpT10_ENKUlT_T0_E_clISt17integral_constantIbLb0EES1P_EEDaS1K_S1L_EUlS1K_E_NS1_11comp_targetILNS1_3genE0ELNS1_11target_archE4294967295ELNS1_3gpuE0ELNS1_3repE0EEENS1_30default_config_static_selectorELNS0_4arch9wavefront6targetE0EEEvSY_.uses_vcc, 1
	.set _ZN7rocprim17ROCPRIM_400000_NS6detail17trampoline_kernelINS0_13select_configILj256ELj13ELNS0_17block_load_methodE3ELS4_3ELS4_3ELNS0_20block_scan_algorithmE0ELj4294967295EEENS1_25partition_config_selectorILNS1_17partition_subalgoE3EjNS0_10empty_typeEbEEZZNS1_14partition_implILS8_3ELb0ES6_jNS0_17counting_iteratorIjlEEPS9_SE_NS0_5tupleIJPjSE_EEENSF_IJSE_SE_EEES9_SG_JZNS1_25segmented_radix_sort_implINS0_14default_configELb0EPKiPiPKlPlN2at6native12_GLOBAL__N_18offset_tEEE10hipError_tPvRmT1_PNSt15iterator_traitsISY_E10value_typeET2_T3_PNSZ_IS14_E10value_typeET4_jRbjT5_S1A_jjP12ihipStream_tbEUljE_EEESV_SW_SX_S14_S18_S1A_T6_T7_T9_mT8_S1C_bDpT10_ENKUlT_T0_E_clISt17integral_constantIbLb0EES1P_EEDaS1K_S1L_EUlS1K_E_NS1_11comp_targetILNS1_3genE0ELNS1_11target_archE4294967295ELNS1_3gpuE0ELNS1_3repE0EEENS1_30default_config_static_selectorELNS0_4arch9wavefront6targetE0EEEvSY_.uses_flat_scratch, 0
	.set _ZN7rocprim17ROCPRIM_400000_NS6detail17trampoline_kernelINS0_13select_configILj256ELj13ELNS0_17block_load_methodE3ELS4_3ELS4_3ELNS0_20block_scan_algorithmE0ELj4294967295EEENS1_25partition_config_selectorILNS1_17partition_subalgoE3EjNS0_10empty_typeEbEEZZNS1_14partition_implILS8_3ELb0ES6_jNS0_17counting_iteratorIjlEEPS9_SE_NS0_5tupleIJPjSE_EEENSF_IJSE_SE_EEES9_SG_JZNS1_25segmented_radix_sort_implINS0_14default_configELb0EPKiPiPKlPlN2at6native12_GLOBAL__N_18offset_tEEE10hipError_tPvRmT1_PNSt15iterator_traitsISY_E10value_typeET2_T3_PNSZ_IS14_E10value_typeET4_jRbjT5_S1A_jjP12ihipStream_tbEUljE_EEESV_SW_SX_S14_S18_S1A_T6_T7_T9_mT8_S1C_bDpT10_ENKUlT_T0_E_clISt17integral_constantIbLb0EES1P_EEDaS1K_S1L_EUlS1K_E_NS1_11comp_targetILNS1_3genE0ELNS1_11target_archE4294967295ELNS1_3gpuE0ELNS1_3repE0EEENS1_30default_config_static_selectorELNS0_4arch9wavefront6targetE0EEEvSY_.has_dyn_sized_stack, 0
	.set _ZN7rocprim17ROCPRIM_400000_NS6detail17trampoline_kernelINS0_13select_configILj256ELj13ELNS0_17block_load_methodE3ELS4_3ELS4_3ELNS0_20block_scan_algorithmE0ELj4294967295EEENS1_25partition_config_selectorILNS1_17partition_subalgoE3EjNS0_10empty_typeEbEEZZNS1_14partition_implILS8_3ELb0ES6_jNS0_17counting_iteratorIjlEEPS9_SE_NS0_5tupleIJPjSE_EEENSF_IJSE_SE_EEES9_SG_JZNS1_25segmented_radix_sort_implINS0_14default_configELb0EPKiPiPKlPlN2at6native12_GLOBAL__N_18offset_tEEE10hipError_tPvRmT1_PNSt15iterator_traitsISY_E10value_typeET2_T3_PNSZ_IS14_E10value_typeET4_jRbjT5_S1A_jjP12ihipStream_tbEUljE_EEESV_SW_SX_S14_S18_S1A_T6_T7_T9_mT8_S1C_bDpT10_ENKUlT_T0_E_clISt17integral_constantIbLb0EES1P_EEDaS1K_S1L_EUlS1K_E_NS1_11comp_targetILNS1_3genE0ELNS1_11target_archE4294967295ELNS1_3gpuE0ELNS1_3repE0EEENS1_30default_config_static_selectorELNS0_4arch9wavefront6targetE0EEEvSY_.has_recursion, 0
	.set _ZN7rocprim17ROCPRIM_400000_NS6detail17trampoline_kernelINS0_13select_configILj256ELj13ELNS0_17block_load_methodE3ELS4_3ELS4_3ELNS0_20block_scan_algorithmE0ELj4294967295EEENS1_25partition_config_selectorILNS1_17partition_subalgoE3EjNS0_10empty_typeEbEEZZNS1_14partition_implILS8_3ELb0ES6_jNS0_17counting_iteratorIjlEEPS9_SE_NS0_5tupleIJPjSE_EEENSF_IJSE_SE_EEES9_SG_JZNS1_25segmented_radix_sort_implINS0_14default_configELb0EPKiPiPKlPlN2at6native12_GLOBAL__N_18offset_tEEE10hipError_tPvRmT1_PNSt15iterator_traitsISY_E10value_typeET2_T3_PNSZ_IS14_E10value_typeET4_jRbjT5_S1A_jjP12ihipStream_tbEUljE_EEESV_SW_SX_S14_S18_S1A_T6_T7_T9_mT8_S1C_bDpT10_ENKUlT_T0_E_clISt17integral_constantIbLb0EES1P_EEDaS1K_S1L_EUlS1K_E_NS1_11comp_targetILNS1_3genE0ELNS1_11target_archE4294967295ELNS1_3gpuE0ELNS1_3repE0EEENS1_30default_config_static_selectorELNS0_4arch9wavefront6targetE0EEEvSY_.has_indirect_call, 0
	.section	.AMDGPU.csdata,"",@progbits
; Kernel info:
; codeLenInByte = 8920
; TotalNumSgprs: 28
; NumVgprs: 69
; ScratchSize: 0
; MemoryBound: 0
; FloatMode: 240
; IeeeMode: 1
; LDSByteSize: 13320 bytes/workgroup (compile time only)
; SGPRBlocks: 0
; VGPRBlocks: 4
; NumSGPRsForWavesPerEU: 28
; NumVGPRsForWavesPerEU: 69
; NamedBarCnt: 0
; Occupancy: 12
; WaveLimiterHint : 0
; COMPUTE_PGM_RSRC2:SCRATCH_EN: 0
; COMPUTE_PGM_RSRC2:USER_SGPR: 2
; COMPUTE_PGM_RSRC2:TRAP_HANDLER: 0
; COMPUTE_PGM_RSRC2:TGID_X_EN: 1
; COMPUTE_PGM_RSRC2:TGID_Y_EN: 0
; COMPUTE_PGM_RSRC2:TGID_Z_EN: 0
; COMPUTE_PGM_RSRC2:TIDIG_COMP_CNT: 0
	.section	.text._ZN7rocprim17ROCPRIM_400000_NS6detail17trampoline_kernelINS0_13select_configILj256ELj13ELNS0_17block_load_methodE3ELS4_3ELS4_3ELNS0_20block_scan_algorithmE0ELj4294967295EEENS1_25partition_config_selectorILNS1_17partition_subalgoE3EjNS0_10empty_typeEbEEZZNS1_14partition_implILS8_3ELb0ES6_jNS0_17counting_iteratorIjlEEPS9_SE_NS0_5tupleIJPjSE_EEENSF_IJSE_SE_EEES9_SG_JZNS1_25segmented_radix_sort_implINS0_14default_configELb0EPKiPiPKlPlN2at6native12_GLOBAL__N_18offset_tEEE10hipError_tPvRmT1_PNSt15iterator_traitsISY_E10value_typeET2_T3_PNSZ_IS14_E10value_typeET4_jRbjT5_S1A_jjP12ihipStream_tbEUljE_EEESV_SW_SX_S14_S18_S1A_T6_T7_T9_mT8_S1C_bDpT10_ENKUlT_T0_E_clISt17integral_constantIbLb0EES1P_EEDaS1K_S1L_EUlS1K_E_NS1_11comp_targetILNS1_3genE5ELNS1_11target_archE942ELNS1_3gpuE9ELNS1_3repE0EEENS1_30default_config_static_selectorELNS0_4arch9wavefront6targetE0EEEvSY_,"axG",@progbits,_ZN7rocprim17ROCPRIM_400000_NS6detail17trampoline_kernelINS0_13select_configILj256ELj13ELNS0_17block_load_methodE3ELS4_3ELS4_3ELNS0_20block_scan_algorithmE0ELj4294967295EEENS1_25partition_config_selectorILNS1_17partition_subalgoE3EjNS0_10empty_typeEbEEZZNS1_14partition_implILS8_3ELb0ES6_jNS0_17counting_iteratorIjlEEPS9_SE_NS0_5tupleIJPjSE_EEENSF_IJSE_SE_EEES9_SG_JZNS1_25segmented_radix_sort_implINS0_14default_configELb0EPKiPiPKlPlN2at6native12_GLOBAL__N_18offset_tEEE10hipError_tPvRmT1_PNSt15iterator_traitsISY_E10value_typeET2_T3_PNSZ_IS14_E10value_typeET4_jRbjT5_S1A_jjP12ihipStream_tbEUljE_EEESV_SW_SX_S14_S18_S1A_T6_T7_T9_mT8_S1C_bDpT10_ENKUlT_T0_E_clISt17integral_constantIbLb0EES1P_EEDaS1K_S1L_EUlS1K_E_NS1_11comp_targetILNS1_3genE5ELNS1_11target_archE942ELNS1_3gpuE9ELNS1_3repE0EEENS1_30default_config_static_selectorELNS0_4arch9wavefront6targetE0EEEvSY_,comdat
	.globl	_ZN7rocprim17ROCPRIM_400000_NS6detail17trampoline_kernelINS0_13select_configILj256ELj13ELNS0_17block_load_methodE3ELS4_3ELS4_3ELNS0_20block_scan_algorithmE0ELj4294967295EEENS1_25partition_config_selectorILNS1_17partition_subalgoE3EjNS0_10empty_typeEbEEZZNS1_14partition_implILS8_3ELb0ES6_jNS0_17counting_iteratorIjlEEPS9_SE_NS0_5tupleIJPjSE_EEENSF_IJSE_SE_EEES9_SG_JZNS1_25segmented_radix_sort_implINS0_14default_configELb0EPKiPiPKlPlN2at6native12_GLOBAL__N_18offset_tEEE10hipError_tPvRmT1_PNSt15iterator_traitsISY_E10value_typeET2_T3_PNSZ_IS14_E10value_typeET4_jRbjT5_S1A_jjP12ihipStream_tbEUljE_EEESV_SW_SX_S14_S18_S1A_T6_T7_T9_mT8_S1C_bDpT10_ENKUlT_T0_E_clISt17integral_constantIbLb0EES1P_EEDaS1K_S1L_EUlS1K_E_NS1_11comp_targetILNS1_3genE5ELNS1_11target_archE942ELNS1_3gpuE9ELNS1_3repE0EEENS1_30default_config_static_selectorELNS0_4arch9wavefront6targetE0EEEvSY_ ; -- Begin function _ZN7rocprim17ROCPRIM_400000_NS6detail17trampoline_kernelINS0_13select_configILj256ELj13ELNS0_17block_load_methodE3ELS4_3ELS4_3ELNS0_20block_scan_algorithmE0ELj4294967295EEENS1_25partition_config_selectorILNS1_17partition_subalgoE3EjNS0_10empty_typeEbEEZZNS1_14partition_implILS8_3ELb0ES6_jNS0_17counting_iteratorIjlEEPS9_SE_NS0_5tupleIJPjSE_EEENSF_IJSE_SE_EEES9_SG_JZNS1_25segmented_radix_sort_implINS0_14default_configELb0EPKiPiPKlPlN2at6native12_GLOBAL__N_18offset_tEEE10hipError_tPvRmT1_PNSt15iterator_traitsISY_E10value_typeET2_T3_PNSZ_IS14_E10value_typeET4_jRbjT5_S1A_jjP12ihipStream_tbEUljE_EEESV_SW_SX_S14_S18_S1A_T6_T7_T9_mT8_S1C_bDpT10_ENKUlT_T0_E_clISt17integral_constantIbLb0EES1P_EEDaS1K_S1L_EUlS1K_E_NS1_11comp_targetILNS1_3genE5ELNS1_11target_archE942ELNS1_3gpuE9ELNS1_3repE0EEENS1_30default_config_static_selectorELNS0_4arch9wavefront6targetE0EEEvSY_
	.p2align	8
	.type	_ZN7rocprim17ROCPRIM_400000_NS6detail17trampoline_kernelINS0_13select_configILj256ELj13ELNS0_17block_load_methodE3ELS4_3ELS4_3ELNS0_20block_scan_algorithmE0ELj4294967295EEENS1_25partition_config_selectorILNS1_17partition_subalgoE3EjNS0_10empty_typeEbEEZZNS1_14partition_implILS8_3ELb0ES6_jNS0_17counting_iteratorIjlEEPS9_SE_NS0_5tupleIJPjSE_EEENSF_IJSE_SE_EEES9_SG_JZNS1_25segmented_radix_sort_implINS0_14default_configELb0EPKiPiPKlPlN2at6native12_GLOBAL__N_18offset_tEEE10hipError_tPvRmT1_PNSt15iterator_traitsISY_E10value_typeET2_T3_PNSZ_IS14_E10value_typeET4_jRbjT5_S1A_jjP12ihipStream_tbEUljE_EEESV_SW_SX_S14_S18_S1A_T6_T7_T9_mT8_S1C_bDpT10_ENKUlT_T0_E_clISt17integral_constantIbLb0EES1P_EEDaS1K_S1L_EUlS1K_E_NS1_11comp_targetILNS1_3genE5ELNS1_11target_archE942ELNS1_3gpuE9ELNS1_3repE0EEENS1_30default_config_static_selectorELNS0_4arch9wavefront6targetE0EEEvSY_,@function
_ZN7rocprim17ROCPRIM_400000_NS6detail17trampoline_kernelINS0_13select_configILj256ELj13ELNS0_17block_load_methodE3ELS4_3ELS4_3ELNS0_20block_scan_algorithmE0ELj4294967295EEENS1_25partition_config_selectorILNS1_17partition_subalgoE3EjNS0_10empty_typeEbEEZZNS1_14partition_implILS8_3ELb0ES6_jNS0_17counting_iteratorIjlEEPS9_SE_NS0_5tupleIJPjSE_EEENSF_IJSE_SE_EEES9_SG_JZNS1_25segmented_radix_sort_implINS0_14default_configELb0EPKiPiPKlPlN2at6native12_GLOBAL__N_18offset_tEEE10hipError_tPvRmT1_PNSt15iterator_traitsISY_E10value_typeET2_T3_PNSZ_IS14_E10value_typeET4_jRbjT5_S1A_jjP12ihipStream_tbEUljE_EEESV_SW_SX_S14_S18_S1A_T6_T7_T9_mT8_S1C_bDpT10_ENKUlT_T0_E_clISt17integral_constantIbLb0EES1P_EEDaS1K_S1L_EUlS1K_E_NS1_11comp_targetILNS1_3genE5ELNS1_11target_archE942ELNS1_3gpuE9ELNS1_3repE0EEENS1_30default_config_static_selectorELNS0_4arch9wavefront6targetE0EEEvSY_: ; @_ZN7rocprim17ROCPRIM_400000_NS6detail17trampoline_kernelINS0_13select_configILj256ELj13ELNS0_17block_load_methodE3ELS4_3ELS4_3ELNS0_20block_scan_algorithmE0ELj4294967295EEENS1_25partition_config_selectorILNS1_17partition_subalgoE3EjNS0_10empty_typeEbEEZZNS1_14partition_implILS8_3ELb0ES6_jNS0_17counting_iteratorIjlEEPS9_SE_NS0_5tupleIJPjSE_EEENSF_IJSE_SE_EEES9_SG_JZNS1_25segmented_radix_sort_implINS0_14default_configELb0EPKiPiPKlPlN2at6native12_GLOBAL__N_18offset_tEEE10hipError_tPvRmT1_PNSt15iterator_traitsISY_E10value_typeET2_T3_PNSZ_IS14_E10value_typeET4_jRbjT5_S1A_jjP12ihipStream_tbEUljE_EEESV_SW_SX_S14_S18_S1A_T6_T7_T9_mT8_S1C_bDpT10_ENKUlT_T0_E_clISt17integral_constantIbLb0EES1P_EEDaS1K_S1L_EUlS1K_E_NS1_11comp_targetILNS1_3genE5ELNS1_11target_archE942ELNS1_3gpuE9ELNS1_3repE0EEENS1_30default_config_static_selectorELNS0_4arch9wavefront6targetE0EEEvSY_
; %bb.0:
	.section	.rodata,"a",@progbits
	.p2align	6, 0x0
	.amdhsa_kernel _ZN7rocprim17ROCPRIM_400000_NS6detail17trampoline_kernelINS0_13select_configILj256ELj13ELNS0_17block_load_methodE3ELS4_3ELS4_3ELNS0_20block_scan_algorithmE0ELj4294967295EEENS1_25partition_config_selectorILNS1_17partition_subalgoE3EjNS0_10empty_typeEbEEZZNS1_14partition_implILS8_3ELb0ES6_jNS0_17counting_iteratorIjlEEPS9_SE_NS0_5tupleIJPjSE_EEENSF_IJSE_SE_EEES9_SG_JZNS1_25segmented_radix_sort_implINS0_14default_configELb0EPKiPiPKlPlN2at6native12_GLOBAL__N_18offset_tEEE10hipError_tPvRmT1_PNSt15iterator_traitsISY_E10value_typeET2_T3_PNSZ_IS14_E10value_typeET4_jRbjT5_S1A_jjP12ihipStream_tbEUljE_EEESV_SW_SX_S14_S18_S1A_T6_T7_T9_mT8_S1C_bDpT10_ENKUlT_T0_E_clISt17integral_constantIbLb0EES1P_EEDaS1K_S1L_EUlS1K_E_NS1_11comp_targetILNS1_3genE5ELNS1_11target_archE942ELNS1_3gpuE9ELNS1_3repE0EEENS1_30default_config_static_selectorELNS0_4arch9wavefront6targetE0EEEvSY_
		.amdhsa_group_segment_fixed_size 0
		.amdhsa_private_segment_fixed_size 0
		.amdhsa_kernarg_size 144
		.amdhsa_user_sgpr_count 2
		.amdhsa_user_sgpr_dispatch_ptr 0
		.amdhsa_user_sgpr_queue_ptr 0
		.amdhsa_user_sgpr_kernarg_segment_ptr 1
		.amdhsa_user_sgpr_dispatch_id 0
		.amdhsa_user_sgpr_kernarg_preload_length 0
		.amdhsa_user_sgpr_kernarg_preload_offset 0
		.amdhsa_user_sgpr_private_segment_size 0
		.amdhsa_wavefront_size32 1
		.amdhsa_uses_dynamic_stack 0
		.amdhsa_enable_private_segment 0
		.amdhsa_system_sgpr_workgroup_id_x 1
		.amdhsa_system_sgpr_workgroup_id_y 0
		.amdhsa_system_sgpr_workgroup_id_z 0
		.amdhsa_system_sgpr_workgroup_info 0
		.amdhsa_system_vgpr_workitem_id 0
		.amdhsa_next_free_vgpr 1
		.amdhsa_next_free_sgpr 1
		.amdhsa_named_barrier_count 0
		.amdhsa_reserve_vcc 0
		.amdhsa_float_round_mode_32 0
		.amdhsa_float_round_mode_16_64 0
		.amdhsa_float_denorm_mode_32 3
		.amdhsa_float_denorm_mode_16_64 3
		.amdhsa_fp16_overflow 0
		.amdhsa_memory_ordered 1
		.amdhsa_forward_progress 1
		.amdhsa_inst_pref_size 0
		.amdhsa_round_robin_scheduling 0
		.amdhsa_exception_fp_ieee_invalid_op 0
		.amdhsa_exception_fp_denorm_src 0
		.amdhsa_exception_fp_ieee_div_zero 0
		.amdhsa_exception_fp_ieee_overflow 0
		.amdhsa_exception_fp_ieee_underflow 0
		.amdhsa_exception_fp_ieee_inexact 0
		.amdhsa_exception_int_div_zero 0
	.end_amdhsa_kernel
	.section	.text._ZN7rocprim17ROCPRIM_400000_NS6detail17trampoline_kernelINS0_13select_configILj256ELj13ELNS0_17block_load_methodE3ELS4_3ELS4_3ELNS0_20block_scan_algorithmE0ELj4294967295EEENS1_25partition_config_selectorILNS1_17partition_subalgoE3EjNS0_10empty_typeEbEEZZNS1_14partition_implILS8_3ELb0ES6_jNS0_17counting_iteratorIjlEEPS9_SE_NS0_5tupleIJPjSE_EEENSF_IJSE_SE_EEES9_SG_JZNS1_25segmented_radix_sort_implINS0_14default_configELb0EPKiPiPKlPlN2at6native12_GLOBAL__N_18offset_tEEE10hipError_tPvRmT1_PNSt15iterator_traitsISY_E10value_typeET2_T3_PNSZ_IS14_E10value_typeET4_jRbjT5_S1A_jjP12ihipStream_tbEUljE_EEESV_SW_SX_S14_S18_S1A_T6_T7_T9_mT8_S1C_bDpT10_ENKUlT_T0_E_clISt17integral_constantIbLb0EES1P_EEDaS1K_S1L_EUlS1K_E_NS1_11comp_targetILNS1_3genE5ELNS1_11target_archE942ELNS1_3gpuE9ELNS1_3repE0EEENS1_30default_config_static_selectorELNS0_4arch9wavefront6targetE0EEEvSY_,"axG",@progbits,_ZN7rocprim17ROCPRIM_400000_NS6detail17trampoline_kernelINS0_13select_configILj256ELj13ELNS0_17block_load_methodE3ELS4_3ELS4_3ELNS0_20block_scan_algorithmE0ELj4294967295EEENS1_25partition_config_selectorILNS1_17partition_subalgoE3EjNS0_10empty_typeEbEEZZNS1_14partition_implILS8_3ELb0ES6_jNS0_17counting_iteratorIjlEEPS9_SE_NS0_5tupleIJPjSE_EEENSF_IJSE_SE_EEES9_SG_JZNS1_25segmented_radix_sort_implINS0_14default_configELb0EPKiPiPKlPlN2at6native12_GLOBAL__N_18offset_tEEE10hipError_tPvRmT1_PNSt15iterator_traitsISY_E10value_typeET2_T3_PNSZ_IS14_E10value_typeET4_jRbjT5_S1A_jjP12ihipStream_tbEUljE_EEESV_SW_SX_S14_S18_S1A_T6_T7_T9_mT8_S1C_bDpT10_ENKUlT_T0_E_clISt17integral_constantIbLb0EES1P_EEDaS1K_S1L_EUlS1K_E_NS1_11comp_targetILNS1_3genE5ELNS1_11target_archE942ELNS1_3gpuE9ELNS1_3repE0EEENS1_30default_config_static_selectorELNS0_4arch9wavefront6targetE0EEEvSY_,comdat
.Lfunc_end565:
	.size	_ZN7rocprim17ROCPRIM_400000_NS6detail17trampoline_kernelINS0_13select_configILj256ELj13ELNS0_17block_load_methodE3ELS4_3ELS4_3ELNS0_20block_scan_algorithmE0ELj4294967295EEENS1_25partition_config_selectorILNS1_17partition_subalgoE3EjNS0_10empty_typeEbEEZZNS1_14partition_implILS8_3ELb0ES6_jNS0_17counting_iteratorIjlEEPS9_SE_NS0_5tupleIJPjSE_EEENSF_IJSE_SE_EEES9_SG_JZNS1_25segmented_radix_sort_implINS0_14default_configELb0EPKiPiPKlPlN2at6native12_GLOBAL__N_18offset_tEEE10hipError_tPvRmT1_PNSt15iterator_traitsISY_E10value_typeET2_T3_PNSZ_IS14_E10value_typeET4_jRbjT5_S1A_jjP12ihipStream_tbEUljE_EEESV_SW_SX_S14_S18_S1A_T6_T7_T9_mT8_S1C_bDpT10_ENKUlT_T0_E_clISt17integral_constantIbLb0EES1P_EEDaS1K_S1L_EUlS1K_E_NS1_11comp_targetILNS1_3genE5ELNS1_11target_archE942ELNS1_3gpuE9ELNS1_3repE0EEENS1_30default_config_static_selectorELNS0_4arch9wavefront6targetE0EEEvSY_, .Lfunc_end565-_ZN7rocprim17ROCPRIM_400000_NS6detail17trampoline_kernelINS0_13select_configILj256ELj13ELNS0_17block_load_methodE3ELS4_3ELS4_3ELNS0_20block_scan_algorithmE0ELj4294967295EEENS1_25partition_config_selectorILNS1_17partition_subalgoE3EjNS0_10empty_typeEbEEZZNS1_14partition_implILS8_3ELb0ES6_jNS0_17counting_iteratorIjlEEPS9_SE_NS0_5tupleIJPjSE_EEENSF_IJSE_SE_EEES9_SG_JZNS1_25segmented_radix_sort_implINS0_14default_configELb0EPKiPiPKlPlN2at6native12_GLOBAL__N_18offset_tEEE10hipError_tPvRmT1_PNSt15iterator_traitsISY_E10value_typeET2_T3_PNSZ_IS14_E10value_typeET4_jRbjT5_S1A_jjP12ihipStream_tbEUljE_EEESV_SW_SX_S14_S18_S1A_T6_T7_T9_mT8_S1C_bDpT10_ENKUlT_T0_E_clISt17integral_constantIbLb0EES1P_EEDaS1K_S1L_EUlS1K_E_NS1_11comp_targetILNS1_3genE5ELNS1_11target_archE942ELNS1_3gpuE9ELNS1_3repE0EEENS1_30default_config_static_selectorELNS0_4arch9wavefront6targetE0EEEvSY_
                                        ; -- End function
	.set _ZN7rocprim17ROCPRIM_400000_NS6detail17trampoline_kernelINS0_13select_configILj256ELj13ELNS0_17block_load_methodE3ELS4_3ELS4_3ELNS0_20block_scan_algorithmE0ELj4294967295EEENS1_25partition_config_selectorILNS1_17partition_subalgoE3EjNS0_10empty_typeEbEEZZNS1_14partition_implILS8_3ELb0ES6_jNS0_17counting_iteratorIjlEEPS9_SE_NS0_5tupleIJPjSE_EEENSF_IJSE_SE_EEES9_SG_JZNS1_25segmented_radix_sort_implINS0_14default_configELb0EPKiPiPKlPlN2at6native12_GLOBAL__N_18offset_tEEE10hipError_tPvRmT1_PNSt15iterator_traitsISY_E10value_typeET2_T3_PNSZ_IS14_E10value_typeET4_jRbjT5_S1A_jjP12ihipStream_tbEUljE_EEESV_SW_SX_S14_S18_S1A_T6_T7_T9_mT8_S1C_bDpT10_ENKUlT_T0_E_clISt17integral_constantIbLb0EES1P_EEDaS1K_S1L_EUlS1K_E_NS1_11comp_targetILNS1_3genE5ELNS1_11target_archE942ELNS1_3gpuE9ELNS1_3repE0EEENS1_30default_config_static_selectorELNS0_4arch9wavefront6targetE0EEEvSY_.num_vgpr, 0
	.set _ZN7rocprim17ROCPRIM_400000_NS6detail17trampoline_kernelINS0_13select_configILj256ELj13ELNS0_17block_load_methodE3ELS4_3ELS4_3ELNS0_20block_scan_algorithmE0ELj4294967295EEENS1_25partition_config_selectorILNS1_17partition_subalgoE3EjNS0_10empty_typeEbEEZZNS1_14partition_implILS8_3ELb0ES6_jNS0_17counting_iteratorIjlEEPS9_SE_NS0_5tupleIJPjSE_EEENSF_IJSE_SE_EEES9_SG_JZNS1_25segmented_radix_sort_implINS0_14default_configELb0EPKiPiPKlPlN2at6native12_GLOBAL__N_18offset_tEEE10hipError_tPvRmT1_PNSt15iterator_traitsISY_E10value_typeET2_T3_PNSZ_IS14_E10value_typeET4_jRbjT5_S1A_jjP12ihipStream_tbEUljE_EEESV_SW_SX_S14_S18_S1A_T6_T7_T9_mT8_S1C_bDpT10_ENKUlT_T0_E_clISt17integral_constantIbLb0EES1P_EEDaS1K_S1L_EUlS1K_E_NS1_11comp_targetILNS1_3genE5ELNS1_11target_archE942ELNS1_3gpuE9ELNS1_3repE0EEENS1_30default_config_static_selectorELNS0_4arch9wavefront6targetE0EEEvSY_.num_agpr, 0
	.set _ZN7rocprim17ROCPRIM_400000_NS6detail17trampoline_kernelINS0_13select_configILj256ELj13ELNS0_17block_load_methodE3ELS4_3ELS4_3ELNS0_20block_scan_algorithmE0ELj4294967295EEENS1_25partition_config_selectorILNS1_17partition_subalgoE3EjNS0_10empty_typeEbEEZZNS1_14partition_implILS8_3ELb0ES6_jNS0_17counting_iteratorIjlEEPS9_SE_NS0_5tupleIJPjSE_EEENSF_IJSE_SE_EEES9_SG_JZNS1_25segmented_radix_sort_implINS0_14default_configELb0EPKiPiPKlPlN2at6native12_GLOBAL__N_18offset_tEEE10hipError_tPvRmT1_PNSt15iterator_traitsISY_E10value_typeET2_T3_PNSZ_IS14_E10value_typeET4_jRbjT5_S1A_jjP12ihipStream_tbEUljE_EEESV_SW_SX_S14_S18_S1A_T6_T7_T9_mT8_S1C_bDpT10_ENKUlT_T0_E_clISt17integral_constantIbLb0EES1P_EEDaS1K_S1L_EUlS1K_E_NS1_11comp_targetILNS1_3genE5ELNS1_11target_archE942ELNS1_3gpuE9ELNS1_3repE0EEENS1_30default_config_static_selectorELNS0_4arch9wavefront6targetE0EEEvSY_.numbered_sgpr, 0
	.set _ZN7rocprim17ROCPRIM_400000_NS6detail17trampoline_kernelINS0_13select_configILj256ELj13ELNS0_17block_load_methodE3ELS4_3ELS4_3ELNS0_20block_scan_algorithmE0ELj4294967295EEENS1_25partition_config_selectorILNS1_17partition_subalgoE3EjNS0_10empty_typeEbEEZZNS1_14partition_implILS8_3ELb0ES6_jNS0_17counting_iteratorIjlEEPS9_SE_NS0_5tupleIJPjSE_EEENSF_IJSE_SE_EEES9_SG_JZNS1_25segmented_radix_sort_implINS0_14default_configELb0EPKiPiPKlPlN2at6native12_GLOBAL__N_18offset_tEEE10hipError_tPvRmT1_PNSt15iterator_traitsISY_E10value_typeET2_T3_PNSZ_IS14_E10value_typeET4_jRbjT5_S1A_jjP12ihipStream_tbEUljE_EEESV_SW_SX_S14_S18_S1A_T6_T7_T9_mT8_S1C_bDpT10_ENKUlT_T0_E_clISt17integral_constantIbLb0EES1P_EEDaS1K_S1L_EUlS1K_E_NS1_11comp_targetILNS1_3genE5ELNS1_11target_archE942ELNS1_3gpuE9ELNS1_3repE0EEENS1_30default_config_static_selectorELNS0_4arch9wavefront6targetE0EEEvSY_.num_named_barrier, 0
	.set _ZN7rocprim17ROCPRIM_400000_NS6detail17trampoline_kernelINS0_13select_configILj256ELj13ELNS0_17block_load_methodE3ELS4_3ELS4_3ELNS0_20block_scan_algorithmE0ELj4294967295EEENS1_25partition_config_selectorILNS1_17partition_subalgoE3EjNS0_10empty_typeEbEEZZNS1_14partition_implILS8_3ELb0ES6_jNS0_17counting_iteratorIjlEEPS9_SE_NS0_5tupleIJPjSE_EEENSF_IJSE_SE_EEES9_SG_JZNS1_25segmented_radix_sort_implINS0_14default_configELb0EPKiPiPKlPlN2at6native12_GLOBAL__N_18offset_tEEE10hipError_tPvRmT1_PNSt15iterator_traitsISY_E10value_typeET2_T3_PNSZ_IS14_E10value_typeET4_jRbjT5_S1A_jjP12ihipStream_tbEUljE_EEESV_SW_SX_S14_S18_S1A_T6_T7_T9_mT8_S1C_bDpT10_ENKUlT_T0_E_clISt17integral_constantIbLb0EES1P_EEDaS1K_S1L_EUlS1K_E_NS1_11comp_targetILNS1_3genE5ELNS1_11target_archE942ELNS1_3gpuE9ELNS1_3repE0EEENS1_30default_config_static_selectorELNS0_4arch9wavefront6targetE0EEEvSY_.private_seg_size, 0
	.set _ZN7rocprim17ROCPRIM_400000_NS6detail17trampoline_kernelINS0_13select_configILj256ELj13ELNS0_17block_load_methodE3ELS4_3ELS4_3ELNS0_20block_scan_algorithmE0ELj4294967295EEENS1_25partition_config_selectorILNS1_17partition_subalgoE3EjNS0_10empty_typeEbEEZZNS1_14partition_implILS8_3ELb0ES6_jNS0_17counting_iteratorIjlEEPS9_SE_NS0_5tupleIJPjSE_EEENSF_IJSE_SE_EEES9_SG_JZNS1_25segmented_radix_sort_implINS0_14default_configELb0EPKiPiPKlPlN2at6native12_GLOBAL__N_18offset_tEEE10hipError_tPvRmT1_PNSt15iterator_traitsISY_E10value_typeET2_T3_PNSZ_IS14_E10value_typeET4_jRbjT5_S1A_jjP12ihipStream_tbEUljE_EEESV_SW_SX_S14_S18_S1A_T6_T7_T9_mT8_S1C_bDpT10_ENKUlT_T0_E_clISt17integral_constantIbLb0EES1P_EEDaS1K_S1L_EUlS1K_E_NS1_11comp_targetILNS1_3genE5ELNS1_11target_archE942ELNS1_3gpuE9ELNS1_3repE0EEENS1_30default_config_static_selectorELNS0_4arch9wavefront6targetE0EEEvSY_.uses_vcc, 0
	.set _ZN7rocprim17ROCPRIM_400000_NS6detail17trampoline_kernelINS0_13select_configILj256ELj13ELNS0_17block_load_methodE3ELS4_3ELS4_3ELNS0_20block_scan_algorithmE0ELj4294967295EEENS1_25partition_config_selectorILNS1_17partition_subalgoE3EjNS0_10empty_typeEbEEZZNS1_14partition_implILS8_3ELb0ES6_jNS0_17counting_iteratorIjlEEPS9_SE_NS0_5tupleIJPjSE_EEENSF_IJSE_SE_EEES9_SG_JZNS1_25segmented_radix_sort_implINS0_14default_configELb0EPKiPiPKlPlN2at6native12_GLOBAL__N_18offset_tEEE10hipError_tPvRmT1_PNSt15iterator_traitsISY_E10value_typeET2_T3_PNSZ_IS14_E10value_typeET4_jRbjT5_S1A_jjP12ihipStream_tbEUljE_EEESV_SW_SX_S14_S18_S1A_T6_T7_T9_mT8_S1C_bDpT10_ENKUlT_T0_E_clISt17integral_constantIbLb0EES1P_EEDaS1K_S1L_EUlS1K_E_NS1_11comp_targetILNS1_3genE5ELNS1_11target_archE942ELNS1_3gpuE9ELNS1_3repE0EEENS1_30default_config_static_selectorELNS0_4arch9wavefront6targetE0EEEvSY_.uses_flat_scratch, 0
	.set _ZN7rocprim17ROCPRIM_400000_NS6detail17trampoline_kernelINS0_13select_configILj256ELj13ELNS0_17block_load_methodE3ELS4_3ELS4_3ELNS0_20block_scan_algorithmE0ELj4294967295EEENS1_25partition_config_selectorILNS1_17partition_subalgoE3EjNS0_10empty_typeEbEEZZNS1_14partition_implILS8_3ELb0ES6_jNS0_17counting_iteratorIjlEEPS9_SE_NS0_5tupleIJPjSE_EEENSF_IJSE_SE_EEES9_SG_JZNS1_25segmented_radix_sort_implINS0_14default_configELb0EPKiPiPKlPlN2at6native12_GLOBAL__N_18offset_tEEE10hipError_tPvRmT1_PNSt15iterator_traitsISY_E10value_typeET2_T3_PNSZ_IS14_E10value_typeET4_jRbjT5_S1A_jjP12ihipStream_tbEUljE_EEESV_SW_SX_S14_S18_S1A_T6_T7_T9_mT8_S1C_bDpT10_ENKUlT_T0_E_clISt17integral_constantIbLb0EES1P_EEDaS1K_S1L_EUlS1K_E_NS1_11comp_targetILNS1_3genE5ELNS1_11target_archE942ELNS1_3gpuE9ELNS1_3repE0EEENS1_30default_config_static_selectorELNS0_4arch9wavefront6targetE0EEEvSY_.has_dyn_sized_stack, 0
	.set _ZN7rocprim17ROCPRIM_400000_NS6detail17trampoline_kernelINS0_13select_configILj256ELj13ELNS0_17block_load_methodE3ELS4_3ELS4_3ELNS0_20block_scan_algorithmE0ELj4294967295EEENS1_25partition_config_selectorILNS1_17partition_subalgoE3EjNS0_10empty_typeEbEEZZNS1_14partition_implILS8_3ELb0ES6_jNS0_17counting_iteratorIjlEEPS9_SE_NS0_5tupleIJPjSE_EEENSF_IJSE_SE_EEES9_SG_JZNS1_25segmented_radix_sort_implINS0_14default_configELb0EPKiPiPKlPlN2at6native12_GLOBAL__N_18offset_tEEE10hipError_tPvRmT1_PNSt15iterator_traitsISY_E10value_typeET2_T3_PNSZ_IS14_E10value_typeET4_jRbjT5_S1A_jjP12ihipStream_tbEUljE_EEESV_SW_SX_S14_S18_S1A_T6_T7_T9_mT8_S1C_bDpT10_ENKUlT_T0_E_clISt17integral_constantIbLb0EES1P_EEDaS1K_S1L_EUlS1K_E_NS1_11comp_targetILNS1_3genE5ELNS1_11target_archE942ELNS1_3gpuE9ELNS1_3repE0EEENS1_30default_config_static_selectorELNS0_4arch9wavefront6targetE0EEEvSY_.has_recursion, 0
	.set _ZN7rocprim17ROCPRIM_400000_NS6detail17trampoline_kernelINS0_13select_configILj256ELj13ELNS0_17block_load_methodE3ELS4_3ELS4_3ELNS0_20block_scan_algorithmE0ELj4294967295EEENS1_25partition_config_selectorILNS1_17partition_subalgoE3EjNS0_10empty_typeEbEEZZNS1_14partition_implILS8_3ELb0ES6_jNS0_17counting_iteratorIjlEEPS9_SE_NS0_5tupleIJPjSE_EEENSF_IJSE_SE_EEES9_SG_JZNS1_25segmented_radix_sort_implINS0_14default_configELb0EPKiPiPKlPlN2at6native12_GLOBAL__N_18offset_tEEE10hipError_tPvRmT1_PNSt15iterator_traitsISY_E10value_typeET2_T3_PNSZ_IS14_E10value_typeET4_jRbjT5_S1A_jjP12ihipStream_tbEUljE_EEESV_SW_SX_S14_S18_S1A_T6_T7_T9_mT8_S1C_bDpT10_ENKUlT_T0_E_clISt17integral_constantIbLb0EES1P_EEDaS1K_S1L_EUlS1K_E_NS1_11comp_targetILNS1_3genE5ELNS1_11target_archE942ELNS1_3gpuE9ELNS1_3repE0EEENS1_30default_config_static_selectorELNS0_4arch9wavefront6targetE0EEEvSY_.has_indirect_call, 0
	.section	.AMDGPU.csdata,"",@progbits
; Kernel info:
; codeLenInByte = 0
; TotalNumSgprs: 0
; NumVgprs: 0
; ScratchSize: 0
; MemoryBound: 0
; FloatMode: 240
; IeeeMode: 1
; LDSByteSize: 0 bytes/workgroup (compile time only)
; SGPRBlocks: 0
; VGPRBlocks: 0
; NumSGPRsForWavesPerEU: 1
; NumVGPRsForWavesPerEU: 1
; NamedBarCnt: 0
; Occupancy: 16
; WaveLimiterHint : 0
; COMPUTE_PGM_RSRC2:SCRATCH_EN: 0
; COMPUTE_PGM_RSRC2:USER_SGPR: 2
; COMPUTE_PGM_RSRC2:TRAP_HANDLER: 0
; COMPUTE_PGM_RSRC2:TGID_X_EN: 1
; COMPUTE_PGM_RSRC2:TGID_Y_EN: 0
; COMPUTE_PGM_RSRC2:TGID_Z_EN: 0
; COMPUTE_PGM_RSRC2:TIDIG_COMP_CNT: 0
	.section	.text._ZN7rocprim17ROCPRIM_400000_NS6detail17trampoline_kernelINS0_13select_configILj256ELj13ELNS0_17block_load_methodE3ELS4_3ELS4_3ELNS0_20block_scan_algorithmE0ELj4294967295EEENS1_25partition_config_selectorILNS1_17partition_subalgoE3EjNS0_10empty_typeEbEEZZNS1_14partition_implILS8_3ELb0ES6_jNS0_17counting_iteratorIjlEEPS9_SE_NS0_5tupleIJPjSE_EEENSF_IJSE_SE_EEES9_SG_JZNS1_25segmented_radix_sort_implINS0_14default_configELb0EPKiPiPKlPlN2at6native12_GLOBAL__N_18offset_tEEE10hipError_tPvRmT1_PNSt15iterator_traitsISY_E10value_typeET2_T3_PNSZ_IS14_E10value_typeET4_jRbjT5_S1A_jjP12ihipStream_tbEUljE_EEESV_SW_SX_S14_S18_S1A_T6_T7_T9_mT8_S1C_bDpT10_ENKUlT_T0_E_clISt17integral_constantIbLb0EES1P_EEDaS1K_S1L_EUlS1K_E_NS1_11comp_targetILNS1_3genE4ELNS1_11target_archE910ELNS1_3gpuE8ELNS1_3repE0EEENS1_30default_config_static_selectorELNS0_4arch9wavefront6targetE0EEEvSY_,"axG",@progbits,_ZN7rocprim17ROCPRIM_400000_NS6detail17trampoline_kernelINS0_13select_configILj256ELj13ELNS0_17block_load_methodE3ELS4_3ELS4_3ELNS0_20block_scan_algorithmE0ELj4294967295EEENS1_25partition_config_selectorILNS1_17partition_subalgoE3EjNS0_10empty_typeEbEEZZNS1_14partition_implILS8_3ELb0ES6_jNS0_17counting_iteratorIjlEEPS9_SE_NS0_5tupleIJPjSE_EEENSF_IJSE_SE_EEES9_SG_JZNS1_25segmented_radix_sort_implINS0_14default_configELb0EPKiPiPKlPlN2at6native12_GLOBAL__N_18offset_tEEE10hipError_tPvRmT1_PNSt15iterator_traitsISY_E10value_typeET2_T3_PNSZ_IS14_E10value_typeET4_jRbjT5_S1A_jjP12ihipStream_tbEUljE_EEESV_SW_SX_S14_S18_S1A_T6_T7_T9_mT8_S1C_bDpT10_ENKUlT_T0_E_clISt17integral_constantIbLb0EES1P_EEDaS1K_S1L_EUlS1K_E_NS1_11comp_targetILNS1_3genE4ELNS1_11target_archE910ELNS1_3gpuE8ELNS1_3repE0EEENS1_30default_config_static_selectorELNS0_4arch9wavefront6targetE0EEEvSY_,comdat
	.globl	_ZN7rocprim17ROCPRIM_400000_NS6detail17trampoline_kernelINS0_13select_configILj256ELj13ELNS0_17block_load_methodE3ELS4_3ELS4_3ELNS0_20block_scan_algorithmE0ELj4294967295EEENS1_25partition_config_selectorILNS1_17partition_subalgoE3EjNS0_10empty_typeEbEEZZNS1_14partition_implILS8_3ELb0ES6_jNS0_17counting_iteratorIjlEEPS9_SE_NS0_5tupleIJPjSE_EEENSF_IJSE_SE_EEES9_SG_JZNS1_25segmented_radix_sort_implINS0_14default_configELb0EPKiPiPKlPlN2at6native12_GLOBAL__N_18offset_tEEE10hipError_tPvRmT1_PNSt15iterator_traitsISY_E10value_typeET2_T3_PNSZ_IS14_E10value_typeET4_jRbjT5_S1A_jjP12ihipStream_tbEUljE_EEESV_SW_SX_S14_S18_S1A_T6_T7_T9_mT8_S1C_bDpT10_ENKUlT_T0_E_clISt17integral_constantIbLb0EES1P_EEDaS1K_S1L_EUlS1K_E_NS1_11comp_targetILNS1_3genE4ELNS1_11target_archE910ELNS1_3gpuE8ELNS1_3repE0EEENS1_30default_config_static_selectorELNS0_4arch9wavefront6targetE0EEEvSY_ ; -- Begin function _ZN7rocprim17ROCPRIM_400000_NS6detail17trampoline_kernelINS0_13select_configILj256ELj13ELNS0_17block_load_methodE3ELS4_3ELS4_3ELNS0_20block_scan_algorithmE0ELj4294967295EEENS1_25partition_config_selectorILNS1_17partition_subalgoE3EjNS0_10empty_typeEbEEZZNS1_14partition_implILS8_3ELb0ES6_jNS0_17counting_iteratorIjlEEPS9_SE_NS0_5tupleIJPjSE_EEENSF_IJSE_SE_EEES9_SG_JZNS1_25segmented_radix_sort_implINS0_14default_configELb0EPKiPiPKlPlN2at6native12_GLOBAL__N_18offset_tEEE10hipError_tPvRmT1_PNSt15iterator_traitsISY_E10value_typeET2_T3_PNSZ_IS14_E10value_typeET4_jRbjT5_S1A_jjP12ihipStream_tbEUljE_EEESV_SW_SX_S14_S18_S1A_T6_T7_T9_mT8_S1C_bDpT10_ENKUlT_T0_E_clISt17integral_constantIbLb0EES1P_EEDaS1K_S1L_EUlS1K_E_NS1_11comp_targetILNS1_3genE4ELNS1_11target_archE910ELNS1_3gpuE8ELNS1_3repE0EEENS1_30default_config_static_selectorELNS0_4arch9wavefront6targetE0EEEvSY_
	.p2align	8
	.type	_ZN7rocprim17ROCPRIM_400000_NS6detail17trampoline_kernelINS0_13select_configILj256ELj13ELNS0_17block_load_methodE3ELS4_3ELS4_3ELNS0_20block_scan_algorithmE0ELj4294967295EEENS1_25partition_config_selectorILNS1_17partition_subalgoE3EjNS0_10empty_typeEbEEZZNS1_14partition_implILS8_3ELb0ES6_jNS0_17counting_iteratorIjlEEPS9_SE_NS0_5tupleIJPjSE_EEENSF_IJSE_SE_EEES9_SG_JZNS1_25segmented_radix_sort_implINS0_14default_configELb0EPKiPiPKlPlN2at6native12_GLOBAL__N_18offset_tEEE10hipError_tPvRmT1_PNSt15iterator_traitsISY_E10value_typeET2_T3_PNSZ_IS14_E10value_typeET4_jRbjT5_S1A_jjP12ihipStream_tbEUljE_EEESV_SW_SX_S14_S18_S1A_T6_T7_T9_mT8_S1C_bDpT10_ENKUlT_T0_E_clISt17integral_constantIbLb0EES1P_EEDaS1K_S1L_EUlS1K_E_NS1_11comp_targetILNS1_3genE4ELNS1_11target_archE910ELNS1_3gpuE8ELNS1_3repE0EEENS1_30default_config_static_selectorELNS0_4arch9wavefront6targetE0EEEvSY_,@function
_ZN7rocprim17ROCPRIM_400000_NS6detail17trampoline_kernelINS0_13select_configILj256ELj13ELNS0_17block_load_methodE3ELS4_3ELS4_3ELNS0_20block_scan_algorithmE0ELj4294967295EEENS1_25partition_config_selectorILNS1_17partition_subalgoE3EjNS0_10empty_typeEbEEZZNS1_14partition_implILS8_3ELb0ES6_jNS0_17counting_iteratorIjlEEPS9_SE_NS0_5tupleIJPjSE_EEENSF_IJSE_SE_EEES9_SG_JZNS1_25segmented_radix_sort_implINS0_14default_configELb0EPKiPiPKlPlN2at6native12_GLOBAL__N_18offset_tEEE10hipError_tPvRmT1_PNSt15iterator_traitsISY_E10value_typeET2_T3_PNSZ_IS14_E10value_typeET4_jRbjT5_S1A_jjP12ihipStream_tbEUljE_EEESV_SW_SX_S14_S18_S1A_T6_T7_T9_mT8_S1C_bDpT10_ENKUlT_T0_E_clISt17integral_constantIbLb0EES1P_EEDaS1K_S1L_EUlS1K_E_NS1_11comp_targetILNS1_3genE4ELNS1_11target_archE910ELNS1_3gpuE8ELNS1_3repE0EEENS1_30default_config_static_selectorELNS0_4arch9wavefront6targetE0EEEvSY_: ; @_ZN7rocprim17ROCPRIM_400000_NS6detail17trampoline_kernelINS0_13select_configILj256ELj13ELNS0_17block_load_methodE3ELS4_3ELS4_3ELNS0_20block_scan_algorithmE0ELj4294967295EEENS1_25partition_config_selectorILNS1_17partition_subalgoE3EjNS0_10empty_typeEbEEZZNS1_14partition_implILS8_3ELb0ES6_jNS0_17counting_iteratorIjlEEPS9_SE_NS0_5tupleIJPjSE_EEENSF_IJSE_SE_EEES9_SG_JZNS1_25segmented_radix_sort_implINS0_14default_configELb0EPKiPiPKlPlN2at6native12_GLOBAL__N_18offset_tEEE10hipError_tPvRmT1_PNSt15iterator_traitsISY_E10value_typeET2_T3_PNSZ_IS14_E10value_typeET4_jRbjT5_S1A_jjP12ihipStream_tbEUljE_EEESV_SW_SX_S14_S18_S1A_T6_T7_T9_mT8_S1C_bDpT10_ENKUlT_T0_E_clISt17integral_constantIbLb0EES1P_EEDaS1K_S1L_EUlS1K_E_NS1_11comp_targetILNS1_3genE4ELNS1_11target_archE910ELNS1_3gpuE8ELNS1_3repE0EEENS1_30default_config_static_selectorELNS0_4arch9wavefront6targetE0EEEvSY_
; %bb.0:
	.section	.rodata,"a",@progbits
	.p2align	6, 0x0
	.amdhsa_kernel _ZN7rocprim17ROCPRIM_400000_NS6detail17trampoline_kernelINS0_13select_configILj256ELj13ELNS0_17block_load_methodE3ELS4_3ELS4_3ELNS0_20block_scan_algorithmE0ELj4294967295EEENS1_25partition_config_selectorILNS1_17partition_subalgoE3EjNS0_10empty_typeEbEEZZNS1_14partition_implILS8_3ELb0ES6_jNS0_17counting_iteratorIjlEEPS9_SE_NS0_5tupleIJPjSE_EEENSF_IJSE_SE_EEES9_SG_JZNS1_25segmented_radix_sort_implINS0_14default_configELb0EPKiPiPKlPlN2at6native12_GLOBAL__N_18offset_tEEE10hipError_tPvRmT1_PNSt15iterator_traitsISY_E10value_typeET2_T3_PNSZ_IS14_E10value_typeET4_jRbjT5_S1A_jjP12ihipStream_tbEUljE_EEESV_SW_SX_S14_S18_S1A_T6_T7_T9_mT8_S1C_bDpT10_ENKUlT_T0_E_clISt17integral_constantIbLb0EES1P_EEDaS1K_S1L_EUlS1K_E_NS1_11comp_targetILNS1_3genE4ELNS1_11target_archE910ELNS1_3gpuE8ELNS1_3repE0EEENS1_30default_config_static_selectorELNS0_4arch9wavefront6targetE0EEEvSY_
		.amdhsa_group_segment_fixed_size 0
		.amdhsa_private_segment_fixed_size 0
		.amdhsa_kernarg_size 144
		.amdhsa_user_sgpr_count 2
		.amdhsa_user_sgpr_dispatch_ptr 0
		.amdhsa_user_sgpr_queue_ptr 0
		.amdhsa_user_sgpr_kernarg_segment_ptr 1
		.amdhsa_user_sgpr_dispatch_id 0
		.amdhsa_user_sgpr_kernarg_preload_length 0
		.amdhsa_user_sgpr_kernarg_preload_offset 0
		.amdhsa_user_sgpr_private_segment_size 0
		.amdhsa_wavefront_size32 1
		.amdhsa_uses_dynamic_stack 0
		.amdhsa_enable_private_segment 0
		.amdhsa_system_sgpr_workgroup_id_x 1
		.amdhsa_system_sgpr_workgroup_id_y 0
		.amdhsa_system_sgpr_workgroup_id_z 0
		.amdhsa_system_sgpr_workgroup_info 0
		.amdhsa_system_vgpr_workitem_id 0
		.amdhsa_next_free_vgpr 1
		.amdhsa_next_free_sgpr 1
		.amdhsa_named_barrier_count 0
		.amdhsa_reserve_vcc 0
		.amdhsa_float_round_mode_32 0
		.amdhsa_float_round_mode_16_64 0
		.amdhsa_float_denorm_mode_32 3
		.amdhsa_float_denorm_mode_16_64 3
		.amdhsa_fp16_overflow 0
		.amdhsa_memory_ordered 1
		.amdhsa_forward_progress 1
		.amdhsa_inst_pref_size 0
		.amdhsa_round_robin_scheduling 0
		.amdhsa_exception_fp_ieee_invalid_op 0
		.amdhsa_exception_fp_denorm_src 0
		.amdhsa_exception_fp_ieee_div_zero 0
		.amdhsa_exception_fp_ieee_overflow 0
		.amdhsa_exception_fp_ieee_underflow 0
		.amdhsa_exception_fp_ieee_inexact 0
		.amdhsa_exception_int_div_zero 0
	.end_amdhsa_kernel
	.section	.text._ZN7rocprim17ROCPRIM_400000_NS6detail17trampoline_kernelINS0_13select_configILj256ELj13ELNS0_17block_load_methodE3ELS4_3ELS4_3ELNS0_20block_scan_algorithmE0ELj4294967295EEENS1_25partition_config_selectorILNS1_17partition_subalgoE3EjNS0_10empty_typeEbEEZZNS1_14partition_implILS8_3ELb0ES6_jNS0_17counting_iteratorIjlEEPS9_SE_NS0_5tupleIJPjSE_EEENSF_IJSE_SE_EEES9_SG_JZNS1_25segmented_radix_sort_implINS0_14default_configELb0EPKiPiPKlPlN2at6native12_GLOBAL__N_18offset_tEEE10hipError_tPvRmT1_PNSt15iterator_traitsISY_E10value_typeET2_T3_PNSZ_IS14_E10value_typeET4_jRbjT5_S1A_jjP12ihipStream_tbEUljE_EEESV_SW_SX_S14_S18_S1A_T6_T7_T9_mT8_S1C_bDpT10_ENKUlT_T0_E_clISt17integral_constantIbLb0EES1P_EEDaS1K_S1L_EUlS1K_E_NS1_11comp_targetILNS1_3genE4ELNS1_11target_archE910ELNS1_3gpuE8ELNS1_3repE0EEENS1_30default_config_static_selectorELNS0_4arch9wavefront6targetE0EEEvSY_,"axG",@progbits,_ZN7rocprim17ROCPRIM_400000_NS6detail17trampoline_kernelINS0_13select_configILj256ELj13ELNS0_17block_load_methodE3ELS4_3ELS4_3ELNS0_20block_scan_algorithmE0ELj4294967295EEENS1_25partition_config_selectorILNS1_17partition_subalgoE3EjNS0_10empty_typeEbEEZZNS1_14partition_implILS8_3ELb0ES6_jNS0_17counting_iteratorIjlEEPS9_SE_NS0_5tupleIJPjSE_EEENSF_IJSE_SE_EEES9_SG_JZNS1_25segmented_radix_sort_implINS0_14default_configELb0EPKiPiPKlPlN2at6native12_GLOBAL__N_18offset_tEEE10hipError_tPvRmT1_PNSt15iterator_traitsISY_E10value_typeET2_T3_PNSZ_IS14_E10value_typeET4_jRbjT5_S1A_jjP12ihipStream_tbEUljE_EEESV_SW_SX_S14_S18_S1A_T6_T7_T9_mT8_S1C_bDpT10_ENKUlT_T0_E_clISt17integral_constantIbLb0EES1P_EEDaS1K_S1L_EUlS1K_E_NS1_11comp_targetILNS1_3genE4ELNS1_11target_archE910ELNS1_3gpuE8ELNS1_3repE0EEENS1_30default_config_static_selectorELNS0_4arch9wavefront6targetE0EEEvSY_,comdat
.Lfunc_end566:
	.size	_ZN7rocprim17ROCPRIM_400000_NS6detail17trampoline_kernelINS0_13select_configILj256ELj13ELNS0_17block_load_methodE3ELS4_3ELS4_3ELNS0_20block_scan_algorithmE0ELj4294967295EEENS1_25partition_config_selectorILNS1_17partition_subalgoE3EjNS0_10empty_typeEbEEZZNS1_14partition_implILS8_3ELb0ES6_jNS0_17counting_iteratorIjlEEPS9_SE_NS0_5tupleIJPjSE_EEENSF_IJSE_SE_EEES9_SG_JZNS1_25segmented_radix_sort_implINS0_14default_configELb0EPKiPiPKlPlN2at6native12_GLOBAL__N_18offset_tEEE10hipError_tPvRmT1_PNSt15iterator_traitsISY_E10value_typeET2_T3_PNSZ_IS14_E10value_typeET4_jRbjT5_S1A_jjP12ihipStream_tbEUljE_EEESV_SW_SX_S14_S18_S1A_T6_T7_T9_mT8_S1C_bDpT10_ENKUlT_T0_E_clISt17integral_constantIbLb0EES1P_EEDaS1K_S1L_EUlS1K_E_NS1_11comp_targetILNS1_3genE4ELNS1_11target_archE910ELNS1_3gpuE8ELNS1_3repE0EEENS1_30default_config_static_selectorELNS0_4arch9wavefront6targetE0EEEvSY_, .Lfunc_end566-_ZN7rocprim17ROCPRIM_400000_NS6detail17trampoline_kernelINS0_13select_configILj256ELj13ELNS0_17block_load_methodE3ELS4_3ELS4_3ELNS0_20block_scan_algorithmE0ELj4294967295EEENS1_25partition_config_selectorILNS1_17partition_subalgoE3EjNS0_10empty_typeEbEEZZNS1_14partition_implILS8_3ELb0ES6_jNS0_17counting_iteratorIjlEEPS9_SE_NS0_5tupleIJPjSE_EEENSF_IJSE_SE_EEES9_SG_JZNS1_25segmented_radix_sort_implINS0_14default_configELb0EPKiPiPKlPlN2at6native12_GLOBAL__N_18offset_tEEE10hipError_tPvRmT1_PNSt15iterator_traitsISY_E10value_typeET2_T3_PNSZ_IS14_E10value_typeET4_jRbjT5_S1A_jjP12ihipStream_tbEUljE_EEESV_SW_SX_S14_S18_S1A_T6_T7_T9_mT8_S1C_bDpT10_ENKUlT_T0_E_clISt17integral_constantIbLb0EES1P_EEDaS1K_S1L_EUlS1K_E_NS1_11comp_targetILNS1_3genE4ELNS1_11target_archE910ELNS1_3gpuE8ELNS1_3repE0EEENS1_30default_config_static_selectorELNS0_4arch9wavefront6targetE0EEEvSY_
                                        ; -- End function
	.set _ZN7rocprim17ROCPRIM_400000_NS6detail17trampoline_kernelINS0_13select_configILj256ELj13ELNS0_17block_load_methodE3ELS4_3ELS4_3ELNS0_20block_scan_algorithmE0ELj4294967295EEENS1_25partition_config_selectorILNS1_17partition_subalgoE3EjNS0_10empty_typeEbEEZZNS1_14partition_implILS8_3ELb0ES6_jNS0_17counting_iteratorIjlEEPS9_SE_NS0_5tupleIJPjSE_EEENSF_IJSE_SE_EEES9_SG_JZNS1_25segmented_radix_sort_implINS0_14default_configELb0EPKiPiPKlPlN2at6native12_GLOBAL__N_18offset_tEEE10hipError_tPvRmT1_PNSt15iterator_traitsISY_E10value_typeET2_T3_PNSZ_IS14_E10value_typeET4_jRbjT5_S1A_jjP12ihipStream_tbEUljE_EEESV_SW_SX_S14_S18_S1A_T6_T7_T9_mT8_S1C_bDpT10_ENKUlT_T0_E_clISt17integral_constantIbLb0EES1P_EEDaS1K_S1L_EUlS1K_E_NS1_11comp_targetILNS1_3genE4ELNS1_11target_archE910ELNS1_3gpuE8ELNS1_3repE0EEENS1_30default_config_static_selectorELNS0_4arch9wavefront6targetE0EEEvSY_.num_vgpr, 0
	.set _ZN7rocprim17ROCPRIM_400000_NS6detail17trampoline_kernelINS0_13select_configILj256ELj13ELNS0_17block_load_methodE3ELS4_3ELS4_3ELNS0_20block_scan_algorithmE0ELj4294967295EEENS1_25partition_config_selectorILNS1_17partition_subalgoE3EjNS0_10empty_typeEbEEZZNS1_14partition_implILS8_3ELb0ES6_jNS0_17counting_iteratorIjlEEPS9_SE_NS0_5tupleIJPjSE_EEENSF_IJSE_SE_EEES9_SG_JZNS1_25segmented_radix_sort_implINS0_14default_configELb0EPKiPiPKlPlN2at6native12_GLOBAL__N_18offset_tEEE10hipError_tPvRmT1_PNSt15iterator_traitsISY_E10value_typeET2_T3_PNSZ_IS14_E10value_typeET4_jRbjT5_S1A_jjP12ihipStream_tbEUljE_EEESV_SW_SX_S14_S18_S1A_T6_T7_T9_mT8_S1C_bDpT10_ENKUlT_T0_E_clISt17integral_constantIbLb0EES1P_EEDaS1K_S1L_EUlS1K_E_NS1_11comp_targetILNS1_3genE4ELNS1_11target_archE910ELNS1_3gpuE8ELNS1_3repE0EEENS1_30default_config_static_selectorELNS0_4arch9wavefront6targetE0EEEvSY_.num_agpr, 0
	.set _ZN7rocprim17ROCPRIM_400000_NS6detail17trampoline_kernelINS0_13select_configILj256ELj13ELNS0_17block_load_methodE3ELS4_3ELS4_3ELNS0_20block_scan_algorithmE0ELj4294967295EEENS1_25partition_config_selectorILNS1_17partition_subalgoE3EjNS0_10empty_typeEbEEZZNS1_14partition_implILS8_3ELb0ES6_jNS0_17counting_iteratorIjlEEPS9_SE_NS0_5tupleIJPjSE_EEENSF_IJSE_SE_EEES9_SG_JZNS1_25segmented_radix_sort_implINS0_14default_configELb0EPKiPiPKlPlN2at6native12_GLOBAL__N_18offset_tEEE10hipError_tPvRmT1_PNSt15iterator_traitsISY_E10value_typeET2_T3_PNSZ_IS14_E10value_typeET4_jRbjT5_S1A_jjP12ihipStream_tbEUljE_EEESV_SW_SX_S14_S18_S1A_T6_T7_T9_mT8_S1C_bDpT10_ENKUlT_T0_E_clISt17integral_constantIbLb0EES1P_EEDaS1K_S1L_EUlS1K_E_NS1_11comp_targetILNS1_3genE4ELNS1_11target_archE910ELNS1_3gpuE8ELNS1_3repE0EEENS1_30default_config_static_selectorELNS0_4arch9wavefront6targetE0EEEvSY_.numbered_sgpr, 0
	.set _ZN7rocprim17ROCPRIM_400000_NS6detail17trampoline_kernelINS0_13select_configILj256ELj13ELNS0_17block_load_methodE3ELS4_3ELS4_3ELNS0_20block_scan_algorithmE0ELj4294967295EEENS1_25partition_config_selectorILNS1_17partition_subalgoE3EjNS0_10empty_typeEbEEZZNS1_14partition_implILS8_3ELb0ES6_jNS0_17counting_iteratorIjlEEPS9_SE_NS0_5tupleIJPjSE_EEENSF_IJSE_SE_EEES9_SG_JZNS1_25segmented_radix_sort_implINS0_14default_configELb0EPKiPiPKlPlN2at6native12_GLOBAL__N_18offset_tEEE10hipError_tPvRmT1_PNSt15iterator_traitsISY_E10value_typeET2_T3_PNSZ_IS14_E10value_typeET4_jRbjT5_S1A_jjP12ihipStream_tbEUljE_EEESV_SW_SX_S14_S18_S1A_T6_T7_T9_mT8_S1C_bDpT10_ENKUlT_T0_E_clISt17integral_constantIbLb0EES1P_EEDaS1K_S1L_EUlS1K_E_NS1_11comp_targetILNS1_3genE4ELNS1_11target_archE910ELNS1_3gpuE8ELNS1_3repE0EEENS1_30default_config_static_selectorELNS0_4arch9wavefront6targetE0EEEvSY_.num_named_barrier, 0
	.set _ZN7rocprim17ROCPRIM_400000_NS6detail17trampoline_kernelINS0_13select_configILj256ELj13ELNS0_17block_load_methodE3ELS4_3ELS4_3ELNS0_20block_scan_algorithmE0ELj4294967295EEENS1_25partition_config_selectorILNS1_17partition_subalgoE3EjNS0_10empty_typeEbEEZZNS1_14partition_implILS8_3ELb0ES6_jNS0_17counting_iteratorIjlEEPS9_SE_NS0_5tupleIJPjSE_EEENSF_IJSE_SE_EEES9_SG_JZNS1_25segmented_radix_sort_implINS0_14default_configELb0EPKiPiPKlPlN2at6native12_GLOBAL__N_18offset_tEEE10hipError_tPvRmT1_PNSt15iterator_traitsISY_E10value_typeET2_T3_PNSZ_IS14_E10value_typeET4_jRbjT5_S1A_jjP12ihipStream_tbEUljE_EEESV_SW_SX_S14_S18_S1A_T6_T7_T9_mT8_S1C_bDpT10_ENKUlT_T0_E_clISt17integral_constantIbLb0EES1P_EEDaS1K_S1L_EUlS1K_E_NS1_11comp_targetILNS1_3genE4ELNS1_11target_archE910ELNS1_3gpuE8ELNS1_3repE0EEENS1_30default_config_static_selectorELNS0_4arch9wavefront6targetE0EEEvSY_.private_seg_size, 0
	.set _ZN7rocprim17ROCPRIM_400000_NS6detail17trampoline_kernelINS0_13select_configILj256ELj13ELNS0_17block_load_methodE3ELS4_3ELS4_3ELNS0_20block_scan_algorithmE0ELj4294967295EEENS1_25partition_config_selectorILNS1_17partition_subalgoE3EjNS0_10empty_typeEbEEZZNS1_14partition_implILS8_3ELb0ES6_jNS0_17counting_iteratorIjlEEPS9_SE_NS0_5tupleIJPjSE_EEENSF_IJSE_SE_EEES9_SG_JZNS1_25segmented_radix_sort_implINS0_14default_configELb0EPKiPiPKlPlN2at6native12_GLOBAL__N_18offset_tEEE10hipError_tPvRmT1_PNSt15iterator_traitsISY_E10value_typeET2_T3_PNSZ_IS14_E10value_typeET4_jRbjT5_S1A_jjP12ihipStream_tbEUljE_EEESV_SW_SX_S14_S18_S1A_T6_T7_T9_mT8_S1C_bDpT10_ENKUlT_T0_E_clISt17integral_constantIbLb0EES1P_EEDaS1K_S1L_EUlS1K_E_NS1_11comp_targetILNS1_3genE4ELNS1_11target_archE910ELNS1_3gpuE8ELNS1_3repE0EEENS1_30default_config_static_selectorELNS0_4arch9wavefront6targetE0EEEvSY_.uses_vcc, 0
	.set _ZN7rocprim17ROCPRIM_400000_NS6detail17trampoline_kernelINS0_13select_configILj256ELj13ELNS0_17block_load_methodE3ELS4_3ELS4_3ELNS0_20block_scan_algorithmE0ELj4294967295EEENS1_25partition_config_selectorILNS1_17partition_subalgoE3EjNS0_10empty_typeEbEEZZNS1_14partition_implILS8_3ELb0ES6_jNS0_17counting_iteratorIjlEEPS9_SE_NS0_5tupleIJPjSE_EEENSF_IJSE_SE_EEES9_SG_JZNS1_25segmented_radix_sort_implINS0_14default_configELb0EPKiPiPKlPlN2at6native12_GLOBAL__N_18offset_tEEE10hipError_tPvRmT1_PNSt15iterator_traitsISY_E10value_typeET2_T3_PNSZ_IS14_E10value_typeET4_jRbjT5_S1A_jjP12ihipStream_tbEUljE_EEESV_SW_SX_S14_S18_S1A_T6_T7_T9_mT8_S1C_bDpT10_ENKUlT_T0_E_clISt17integral_constantIbLb0EES1P_EEDaS1K_S1L_EUlS1K_E_NS1_11comp_targetILNS1_3genE4ELNS1_11target_archE910ELNS1_3gpuE8ELNS1_3repE0EEENS1_30default_config_static_selectorELNS0_4arch9wavefront6targetE0EEEvSY_.uses_flat_scratch, 0
	.set _ZN7rocprim17ROCPRIM_400000_NS6detail17trampoline_kernelINS0_13select_configILj256ELj13ELNS0_17block_load_methodE3ELS4_3ELS4_3ELNS0_20block_scan_algorithmE0ELj4294967295EEENS1_25partition_config_selectorILNS1_17partition_subalgoE3EjNS0_10empty_typeEbEEZZNS1_14partition_implILS8_3ELb0ES6_jNS0_17counting_iteratorIjlEEPS9_SE_NS0_5tupleIJPjSE_EEENSF_IJSE_SE_EEES9_SG_JZNS1_25segmented_radix_sort_implINS0_14default_configELb0EPKiPiPKlPlN2at6native12_GLOBAL__N_18offset_tEEE10hipError_tPvRmT1_PNSt15iterator_traitsISY_E10value_typeET2_T3_PNSZ_IS14_E10value_typeET4_jRbjT5_S1A_jjP12ihipStream_tbEUljE_EEESV_SW_SX_S14_S18_S1A_T6_T7_T9_mT8_S1C_bDpT10_ENKUlT_T0_E_clISt17integral_constantIbLb0EES1P_EEDaS1K_S1L_EUlS1K_E_NS1_11comp_targetILNS1_3genE4ELNS1_11target_archE910ELNS1_3gpuE8ELNS1_3repE0EEENS1_30default_config_static_selectorELNS0_4arch9wavefront6targetE0EEEvSY_.has_dyn_sized_stack, 0
	.set _ZN7rocprim17ROCPRIM_400000_NS6detail17trampoline_kernelINS0_13select_configILj256ELj13ELNS0_17block_load_methodE3ELS4_3ELS4_3ELNS0_20block_scan_algorithmE0ELj4294967295EEENS1_25partition_config_selectorILNS1_17partition_subalgoE3EjNS0_10empty_typeEbEEZZNS1_14partition_implILS8_3ELb0ES6_jNS0_17counting_iteratorIjlEEPS9_SE_NS0_5tupleIJPjSE_EEENSF_IJSE_SE_EEES9_SG_JZNS1_25segmented_radix_sort_implINS0_14default_configELb0EPKiPiPKlPlN2at6native12_GLOBAL__N_18offset_tEEE10hipError_tPvRmT1_PNSt15iterator_traitsISY_E10value_typeET2_T3_PNSZ_IS14_E10value_typeET4_jRbjT5_S1A_jjP12ihipStream_tbEUljE_EEESV_SW_SX_S14_S18_S1A_T6_T7_T9_mT8_S1C_bDpT10_ENKUlT_T0_E_clISt17integral_constantIbLb0EES1P_EEDaS1K_S1L_EUlS1K_E_NS1_11comp_targetILNS1_3genE4ELNS1_11target_archE910ELNS1_3gpuE8ELNS1_3repE0EEENS1_30default_config_static_selectorELNS0_4arch9wavefront6targetE0EEEvSY_.has_recursion, 0
	.set _ZN7rocprim17ROCPRIM_400000_NS6detail17trampoline_kernelINS0_13select_configILj256ELj13ELNS0_17block_load_methodE3ELS4_3ELS4_3ELNS0_20block_scan_algorithmE0ELj4294967295EEENS1_25partition_config_selectorILNS1_17partition_subalgoE3EjNS0_10empty_typeEbEEZZNS1_14partition_implILS8_3ELb0ES6_jNS0_17counting_iteratorIjlEEPS9_SE_NS0_5tupleIJPjSE_EEENSF_IJSE_SE_EEES9_SG_JZNS1_25segmented_radix_sort_implINS0_14default_configELb0EPKiPiPKlPlN2at6native12_GLOBAL__N_18offset_tEEE10hipError_tPvRmT1_PNSt15iterator_traitsISY_E10value_typeET2_T3_PNSZ_IS14_E10value_typeET4_jRbjT5_S1A_jjP12ihipStream_tbEUljE_EEESV_SW_SX_S14_S18_S1A_T6_T7_T9_mT8_S1C_bDpT10_ENKUlT_T0_E_clISt17integral_constantIbLb0EES1P_EEDaS1K_S1L_EUlS1K_E_NS1_11comp_targetILNS1_3genE4ELNS1_11target_archE910ELNS1_3gpuE8ELNS1_3repE0EEENS1_30default_config_static_selectorELNS0_4arch9wavefront6targetE0EEEvSY_.has_indirect_call, 0
	.section	.AMDGPU.csdata,"",@progbits
; Kernel info:
; codeLenInByte = 0
; TotalNumSgprs: 0
; NumVgprs: 0
; ScratchSize: 0
; MemoryBound: 0
; FloatMode: 240
; IeeeMode: 1
; LDSByteSize: 0 bytes/workgroup (compile time only)
; SGPRBlocks: 0
; VGPRBlocks: 0
; NumSGPRsForWavesPerEU: 1
; NumVGPRsForWavesPerEU: 1
; NamedBarCnt: 0
; Occupancy: 16
; WaveLimiterHint : 0
; COMPUTE_PGM_RSRC2:SCRATCH_EN: 0
; COMPUTE_PGM_RSRC2:USER_SGPR: 2
; COMPUTE_PGM_RSRC2:TRAP_HANDLER: 0
; COMPUTE_PGM_RSRC2:TGID_X_EN: 1
; COMPUTE_PGM_RSRC2:TGID_Y_EN: 0
; COMPUTE_PGM_RSRC2:TGID_Z_EN: 0
; COMPUTE_PGM_RSRC2:TIDIG_COMP_CNT: 0
	.section	.text._ZN7rocprim17ROCPRIM_400000_NS6detail17trampoline_kernelINS0_13select_configILj256ELj13ELNS0_17block_load_methodE3ELS4_3ELS4_3ELNS0_20block_scan_algorithmE0ELj4294967295EEENS1_25partition_config_selectorILNS1_17partition_subalgoE3EjNS0_10empty_typeEbEEZZNS1_14partition_implILS8_3ELb0ES6_jNS0_17counting_iteratorIjlEEPS9_SE_NS0_5tupleIJPjSE_EEENSF_IJSE_SE_EEES9_SG_JZNS1_25segmented_radix_sort_implINS0_14default_configELb0EPKiPiPKlPlN2at6native12_GLOBAL__N_18offset_tEEE10hipError_tPvRmT1_PNSt15iterator_traitsISY_E10value_typeET2_T3_PNSZ_IS14_E10value_typeET4_jRbjT5_S1A_jjP12ihipStream_tbEUljE_EEESV_SW_SX_S14_S18_S1A_T6_T7_T9_mT8_S1C_bDpT10_ENKUlT_T0_E_clISt17integral_constantIbLb0EES1P_EEDaS1K_S1L_EUlS1K_E_NS1_11comp_targetILNS1_3genE3ELNS1_11target_archE908ELNS1_3gpuE7ELNS1_3repE0EEENS1_30default_config_static_selectorELNS0_4arch9wavefront6targetE0EEEvSY_,"axG",@progbits,_ZN7rocprim17ROCPRIM_400000_NS6detail17trampoline_kernelINS0_13select_configILj256ELj13ELNS0_17block_load_methodE3ELS4_3ELS4_3ELNS0_20block_scan_algorithmE0ELj4294967295EEENS1_25partition_config_selectorILNS1_17partition_subalgoE3EjNS0_10empty_typeEbEEZZNS1_14partition_implILS8_3ELb0ES6_jNS0_17counting_iteratorIjlEEPS9_SE_NS0_5tupleIJPjSE_EEENSF_IJSE_SE_EEES9_SG_JZNS1_25segmented_radix_sort_implINS0_14default_configELb0EPKiPiPKlPlN2at6native12_GLOBAL__N_18offset_tEEE10hipError_tPvRmT1_PNSt15iterator_traitsISY_E10value_typeET2_T3_PNSZ_IS14_E10value_typeET4_jRbjT5_S1A_jjP12ihipStream_tbEUljE_EEESV_SW_SX_S14_S18_S1A_T6_T7_T9_mT8_S1C_bDpT10_ENKUlT_T0_E_clISt17integral_constantIbLb0EES1P_EEDaS1K_S1L_EUlS1K_E_NS1_11comp_targetILNS1_3genE3ELNS1_11target_archE908ELNS1_3gpuE7ELNS1_3repE0EEENS1_30default_config_static_selectorELNS0_4arch9wavefront6targetE0EEEvSY_,comdat
	.globl	_ZN7rocprim17ROCPRIM_400000_NS6detail17trampoline_kernelINS0_13select_configILj256ELj13ELNS0_17block_load_methodE3ELS4_3ELS4_3ELNS0_20block_scan_algorithmE0ELj4294967295EEENS1_25partition_config_selectorILNS1_17partition_subalgoE3EjNS0_10empty_typeEbEEZZNS1_14partition_implILS8_3ELb0ES6_jNS0_17counting_iteratorIjlEEPS9_SE_NS0_5tupleIJPjSE_EEENSF_IJSE_SE_EEES9_SG_JZNS1_25segmented_radix_sort_implINS0_14default_configELb0EPKiPiPKlPlN2at6native12_GLOBAL__N_18offset_tEEE10hipError_tPvRmT1_PNSt15iterator_traitsISY_E10value_typeET2_T3_PNSZ_IS14_E10value_typeET4_jRbjT5_S1A_jjP12ihipStream_tbEUljE_EEESV_SW_SX_S14_S18_S1A_T6_T7_T9_mT8_S1C_bDpT10_ENKUlT_T0_E_clISt17integral_constantIbLb0EES1P_EEDaS1K_S1L_EUlS1K_E_NS1_11comp_targetILNS1_3genE3ELNS1_11target_archE908ELNS1_3gpuE7ELNS1_3repE0EEENS1_30default_config_static_selectorELNS0_4arch9wavefront6targetE0EEEvSY_ ; -- Begin function _ZN7rocprim17ROCPRIM_400000_NS6detail17trampoline_kernelINS0_13select_configILj256ELj13ELNS0_17block_load_methodE3ELS4_3ELS4_3ELNS0_20block_scan_algorithmE0ELj4294967295EEENS1_25partition_config_selectorILNS1_17partition_subalgoE3EjNS0_10empty_typeEbEEZZNS1_14partition_implILS8_3ELb0ES6_jNS0_17counting_iteratorIjlEEPS9_SE_NS0_5tupleIJPjSE_EEENSF_IJSE_SE_EEES9_SG_JZNS1_25segmented_radix_sort_implINS0_14default_configELb0EPKiPiPKlPlN2at6native12_GLOBAL__N_18offset_tEEE10hipError_tPvRmT1_PNSt15iterator_traitsISY_E10value_typeET2_T3_PNSZ_IS14_E10value_typeET4_jRbjT5_S1A_jjP12ihipStream_tbEUljE_EEESV_SW_SX_S14_S18_S1A_T6_T7_T9_mT8_S1C_bDpT10_ENKUlT_T0_E_clISt17integral_constantIbLb0EES1P_EEDaS1K_S1L_EUlS1K_E_NS1_11comp_targetILNS1_3genE3ELNS1_11target_archE908ELNS1_3gpuE7ELNS1_3repE0EEENS1_30default_config_static_selectorELNS0_4arch9wavefront6targetE0EEEvSY_
	.p2align	8
	.type	_ZN7rocprim17ROCPRIM_400000_NS6detail17trampoline_kernelINS0_13select_configILj256ELj13ELNS0_17block_load_methodE3ELS4_3ELS4_3ELNS0_20block_scan_algorithmE0ELj4294967295EEENS1_25partition_config_selectorILNS1_17partition_subalgoE3EjNS0_10empty_typeEbEEZZNS1_14partition_implILS8_3ELb0ES6_jNS0_17counting_iteratorIjlEEPS9_SE_NS0_5tupleIJPjSE_EEENSF_IJSE_SE_EEES9_SG_JZNS1_25segmented_radix_sort_implINS0_14default_configELb0EPKiPiPKlPlN2at6native12_GLOBAL__N_18offset_tEEE10hipError_tPvRmT1_PNSt15iterator_traitsISY_E10value_typeET2_T3_PNSZ_IS14_E10value_typeET4_jRbjT5_S1A_jjP12ihipStream_tbEUljE_EEESV_SW_SX_S14_S18_S1A_T6_T7_T9_mT8_S1C_bDpT10_ENKUlT_T0_E_clISt17integral_constantIbLb0EES1P_EEDaS1K_S1L_EUlS1K_E_NS1_11comp_targetILNS1_3genE3ELNS1_11target_archE908ELNS1_3gpuE7ELNS1_3repE0EEENS1_30default_config_static_selectorELNS0_4arch9wavefront6targetE0EEEvSY_,@function
_ZN7rocprim17ROCPRIM_400000_NS6detail17trampoline_kernelINS0_13select_configILj256ELj13ELNS0_17block_load_methodE3ELS4_3ELS4_3ELNS0_20block_scan_algorithmE0ELj4294967295EEENS1_25partition_config_selectorILNS1_17partition_subalgoE3EjNS0_10empty_typeEbEEZZNS1_14partition_implILS8_3ELb0ES6_jNS0_17counting_iteratorIjlEEPS9_SE_NS0_5tupleIJPjSE_EEENSF_IJSE_SE_EEES9_SG_JZNS1_25segmented_radix_sort_implINS0_14default_configELb0EPKiPiPKlPlN2at6native12_GLOBAL__N_18offset_tEEE10hipError_tPvRmT1_PNSt15iterator_traitsISY_E10value_typeET2_T3_PNSZ_IS14_E10value_typeET4_jRbjT5_S1A_jjP12ihipStream_tbEUljE_EEESV_SW_SX_S14_S18_S1A_T6_T7_T9_mT8_S1C_bDpT10_ENKUlT_T0_E_clISt17integral_constantIbLb0EES1P_EEDaS1K_S1L_EUlS1K_E_NS1_11comp_targetILNS1_3genE3ELNS1_11target_archE908ELNS1_3gpuE7ELNS1_3repE0EEENS1_30default_config_static_selectorELNS0_4arch9wavefront6targetE0EEEvSY_: ; @_ZN7rocprim17ROCPRIM_400000_NS6detail17trampoline_kernelINS0_13select_configILj256ELj13ELNS0_17block_load_methodE3ELS4_3ELS4_3ELNS0_20block_scan_algorithmE0ELj4294967295EEENS1_25partition_config_selectorILNS1_17partition_subalgoE3EjNS0_10empty_typeEbEEZZNS1_14partition_implILS8_3ELb0ES6_jNS0_17counting_iteratorIjlEEPS9_SE_NS0_5tupleIJPjSE_EEENSF_IJSE_SE_EEES9_SG_JZNS1_25segmented_radix_sort_implINS0_14default_configELb0EPKiPiPKlPlN2at6native12_GLOBAL__N_18offset_tEEE10hipError_tPvRmT1_PNSt15iterator_traitsISY_E10value_typeET2_T3_PNSZ_IS14_E10value_typeET4_jRbjT5_S1A_jjP12ihipStream_tbEUljE_EEESV_SW_SX_S14_S18_S1A_T6_T7_T9_mT8_S1C_bDpT10_ENKUlT_T0_E_clISt17integral_constantIbLb0EES1P_EEDaS1K_S1L_EUlS1K_E_NS1_11comp_targetILNS1_3genE3ELNS1_11target_archE908ELNS1_3gpuE7ELNS1_3repE0EEENS1_30default_config_static_selectorELNS0_4arch9wavefront6targetE0EEEvSY_
; %bb.0:
	.section	.rodata,"a",@progbits
	.p2align	6, 0x0
	.amdhsa_kernel _ZN7rocprim17ROCPRIM_400000_NS6detail17trampoline_kernelINS0_13select_configILj256ELj13ELNS0_17block_load_methodE3ELS4_3ELS4_3ELNS0_20block_scan_algorithmE0ELj4294967295EEENS1_25partition_config_selectorILNS1_17partition_subalgoE3EjNS0_10empty_typeEbEEZZNS1_14partition_implILS8_3ELb0ES6_jNS0_17counting_iteratorIjlEEPS9_SE_NS0_5tupleIJPjSE_EEENSF_IJSE_SE_EEES9_SG_JZNS1_25segmented_radix_sort_implINS0_14default_configELb0EPKiPiPKlPlN2at6native12_GLOBAL__N_18offset_tEEE10hipError_tPvRmT1_PNSt15iterator_traitsISY_E10value_typeET2_T3_PNSZ_IS14_E10value_typeET4_jRbjT5_S1A_jjP12ihipStream_tbEUljE_EEESV_SW_SX_S14_S18_S1A_T6_T7_T9_mT8_S1C_bDpT10_ENKUlT_T0_E_clISt17integral_constantIbLb0EES1P_EEDaS1K_S1L_EUlS1K_E_NS1_11comp_targetILNS1_3genE3ELNS1_11target_archE908ELNS1_3gpuE7ELNS1_3repE0EEENS1_30default_config_static_selectorELNS0_4arch9wavefront6targetE0EEEvSY_
		.amdhsa_group_segment_fixed_size 0
		.amdhsa_private_segment_fixed_size 0
		.amdhsa_kernarg_size 144
		.amdhsa_user_sgpr_count 2
		.amdhsa_user_sgpr_dispatch_ptr 0
		.amdhsa_user_sgpr_queue_ptr 0
		.amdhsa_user_sgpr_kernarg_segment_ptr 1
		.amdhsa_user_sgpr_dispatch_id 0
		.amdhsa_user_sgpr_kernarg_preload_length 0
		.amdhsa_user_sgpr_kernarg_preload_offset 0
		.amdhsa_user_sgpr_private_segment_size 0
		.amdhsa_wavefront_size32 1
		.amdhsa_uses_dynamic_stack 0
		.amdhsa_enable_private_segment 0
		.amdhsa_system_sgpr_workgroup_id_x 1
		.amdhsa_system_sgpr_workgroup_id_y 0
		.amdhsa_system_sgpr_workgroup_id_z 0
		.amdhsa_system_sgpr_workgroup_info 0
		.amdhsa_system_vgpr_workitem_id 0
		.amdhsa_next_free_vgpr 1
		.amdhsa_next_free_sgpr 1
		.amdhsa_named_barrier_count 0
		.amdhsa_reserve_vcc 0
		.amdhsa_float_round_mode_32 0
		.amdhsa_float_round_mode_16_64 0
		.amdhsa_float_denorm_mode_32 3
		.amdhsa_float_denorm_mode_16_64 3
		.amdhsa_fp16_overflow 0
		.amdhsa_memory_ordered 1
		.amdhsa_forward_progress 1
		.amdhsa_inst_pref_size 0
		.amdhsa_round_robin_scheduling 0
		.amdhsa_exception_fp_ieee_invalid_op 0
		.amdhsa_exception_fp_denorm_src 0
		.amdhsa_exception_fp_ieee_div_zero 0
		.amdhsa_exception_fp_ieee_overflow 0
		.amdhsa_exception_fp_ieee_underflow 0
		.amdhsa_exception_fp_ieee_inexact 0
		.amdhsa_exception_int_div_zero 0
	.end_amdhsa_kernel
	.section	.text._ZN7rocprim17ROCPRIM_400000_NS6detail17trampoline_kernelINS0_13select_configILj256ELj13ELNS0_17block_load_methodE3ELS4_3ELS4_3ELNS0_20block_scan_algorithmE0ELj4294967295EEENS1_25partition_config_selectorILNS1_17partition_subalgoE3EjNS0_10empty_typeEbEEZZNS1_14partition_implILS8_3ELb0ES6_jNS0_17counting_iteratorIjlEEPS9_SE_NS0_5tupleIJPjSE_EEENSF_IJSE_SE_EEES9_SG_JZNS1_25segmented_radix_sort_implINS0_14default_configELb0EPKiPiPKlPlN2at6native12_GLOBAL__N_18offset_tEEE10hipError_tPvRmT1_PNSt15iterator_traitsISY_E10value_typeET2_T3_PNSZ_IS14_E10value_typeET4_jRbjT5_S1A_jjP12ihipStream_tbEUljE_EEESV_SW_SX_S14_S18_S1A_T6_T7_T9_mT8_S1C_bDpT10_ENKUlT_T0_E_clISt17integral_constantIbLb0EES1P_EEDaS1K_S1L_EUlS1K_E_NS1_11comp_targetILNS1_3genE3ELNS1_11target_archE908ELNS1_3gpuE7ELNS1_3repE0EEENS1_30default_config_static_selectorELNS0_4arch9wavefront6targetE0EEEvSY_,"axG",@progbits,_ZN7rocprim17ROCPRIM_400000_NS6detail17trampoline_kernelINS0_13select_configILj256ELj13ELNS0_17block_load_methodE3ELS4_3ELS4_3ELNS0_20block_scan_algorithmE0ELj4294967295EEENS1_25partition_config_selectorILNS1_17partition_subalgoE3EjNS0_10empty_typeEbEEZZNS1_14partition_implILS8_3ELb0ES6_jNS0_17counting_iteratorIjlEEPS9_SE_NS0_5tupleIJPjSE_EEENSF_IJSE_SE_EEES9_SG_JZNS1_25segmented_radix_sort_implINS0_14default_configELb0EPKiPiPKlPlN2at6native12_GLOBAL__N_18offset_tEEE10hipError_tPvRmT1_PNSt15iterator_traitsISY_E10value_typeET2_T3_PNSZ_IS14_E10value_typeET4_jRbjT5_S1A_jjP12ihipStream_tbEUljE_EEESV_SW_SX_S14_S18_S1A_T6_T7_T9_mT8_S1C_bDpT10_ENKUlT_T0_E_clISt17integral_constantIbLb0EES1P_EEDaS1K_S1L_EUlS1K_E_NS1_11comp_targetILNS1_3genE3ELNS1_11target_archE908ELNS1_3gpuE7ELNS1_3repE0EEENS1_30default_config_static_selectorELNS0_4arch9wavefront6targetE0EEEvSY_,comdat
.Lfunc_end567:
	.size	_ZN7rocprim17ROCPRIM_400000_NS6detail17trampoline_kernelINS0_13select_configILj256ELj13ELNS0_17block_load_methodE3ELS4_3ELS4_3ELNS0_20block_scan_algorithmE0ELj4294967295EEENS1_25partition_config_selectorILNS1_17partition_subalgoE3EjNS0_10empty_typeEbEEZZNS1_14partition_implILS8_3ELb0ES6_jNS0_17counting_iteratorIjlEEPS9_SE_NS0_5tupleIJPjSE_EEENSF_IJSE_SE_EEES9_SG_JZNS1_25segmented_radix_sort_implINS0_14default_configELb0EPKiPiPKlPlN2at6native12_GLOBAL__N_18offset_tEEE10hipError_tPvRmT1_PNSt15iterator_traitsISY_E10value_typeET2_T3_PNSZ_IS14_E10value_typeET4_jRbjT5_S1A_jjP12ihipStream_tbEUljE_EEESV_SW_SX_S14_S18_S1A_T6_T7_T9_mT8_S1C_bDpT10_ENKUlT_T0_E_clISt17integral_constantIbLb0EES1P_EEDaS1K_S1L_EUlS1K_E_NS1_11comp_targetILNS1_3genE3ELNS1_11target_archE908ELNS1_3gpuE7ELNS1_3repE0EEENS1_30default_config_static_selectorELNS0_4arch9wavefront6targetE0EEEvSY_, .Lfunc_end567-_ZN7rocprim17ROCPRIM_400000_NS6detail17trampoline_kernelINS0_13select_configILj256ELj13ELNS0_17block_load_methodE3ELS4_3ELS4_3ELNS0_20block_scan_algorithmE0ELj4294967295EEENS1_25partition_config_selectorILNS1_17partition_subalgoE3EjNS0_10empty_typeEbEEZZNS1_14partition_implILS8_3ELb0ES6_jNS0_17counting_iteratorIjlEEPS9_SE_NS0_5tupleIJPjSE_EEENSF_IJSE_SE_EEES9_SG_JZNS1_25segmented_radix_sort_implINS0_14default_configELb0EPKiPiPKlPlN2at6native12_GLOBAL__N_18offset_tEEE10hipError_tPvRmT1_PNSt15iterator_traitsISY_E10value_typeET2_T3_PNSZ_IS14_E10value_typeET4_jRbjT5_S1A_jjP12ihipStream_tbEUljE_EEESV_SW_SX_S14_S18_S1A_T6_T7_T9_mT8_S1C_bDpT10_ENKUlT_T0_E_clISt17integral_constantIbLb0EES1P_EEDaS1K_S1L_EUlS1K_E_NS1_11comp_targetILNS1_3genE3ELNS1_11target_archE908ELNS1_3gpuE7ELNS1_3repE0EEENS1_30default_config_static_selectorELNS0_4arch9wavefront6targetE0EEEvSY_
                                        ; -- End function
	.set _ZN7rocprim17ROCPRIM_400000_NS6detail17trampoline_kernelINS0_13select_configILj256ELj13ELNS0_17block_load_methodE3ELS4_3ELS4_3ELNS0_20block_scan_algorithmE0ELj4294967295EEENS1_25partition_config_selectorILNS1_17partition_subalgoE3EjNS0_10empty_typeEbEEZZNS1_14partition_implILS8_3ELb0ES6_jNS0_17counting_iteratorIjlEEPS9_SE_NS0_5tupleIJPjSE_EEENSF_IJSE_SE_EEES9_SG_JZNS1_25segmented_radix_sort_implINS0_14default_configELb0EPKiPiPKlPlN2at6native12_GLOBAL__N_18offset_tEEE10hipError_tPvRmT1_PNSt15iterator_traitsISY_E10value_typeET2_T3_PNSZ_IS14_E10value_typeET4_jRbjT5_S1A_jjP12ihipStream_tbEUljE_EEESV_SW_SX_S14_S18_S1A_T6_T7_T9_mT8_S1C_bDpT10_ENKUlT_T0_E_clISt17integral_constantIbLb0EES1P_EEDaS1K_S1L_EUlS1K_E_NS1_11comp_targetILNS1_3genE3ELNS1_11target_archE908ELNS1_3gpuE7ELNS1_3repE0EEENS1_30default_config_static_selectorELNS0_4arch9wavefront6targetE0EEEvSY_.num_vgpr, 0
	.set _ZN7rocprim17ROCPRIM_400000_NS6detail17trampoline_kernelINS0_13select_configILj256ELj13ELNS0_17block_load_methodE3ELS4_3ELS4_3ELNS0_20block_scan_algorithmE0ELj4294967295EEENS1_25partition_config_selectorILNS1_17partition_subalgoE3EjNS0_10empty_typeEbEEZZNS1_14partition_implILS8_3ELb0ES6_jNS0_17counting_iteratorIjlEEPS9_SE_NS0_5tupleIJPjSE_EEENSF_IJSE_SE_EEES9_SG_JZNS1_25segmented_radix_sort_implINS0_14default_configELb0EPKiPiPKlPlN2at6native12_GLOBAL__N_18offset_tEEE10hipError_tPvRmT1_PNSt15iterator_traitsISY_E10value_typeET2_T3_PNSZ_IS14_E10value_typeET4_jRbjT5_S1A_jjP12ihipStream_tbEUljE_EEESV_SW_SX_S14_S18_S1A_T6_T7_T9_mT8_S1C_bDpT10_ENKUlT_T0_E_clISt17integral_constantIbLb0EES1P_EEDaS1K_S1L_EUlS1K_E_NS1_11comp_targetILNS1_3genE3ELNS1_11target_archE908ELNS1_3gpuE7ELNS1_3repE0EEENS1_30default_config_static_selectorELNS0_4arch9wavefront6targetE0EEEvSY_.num_agpr, 0
	.set _ZN7rocprim17ROCPRIM_400000_NS6detail17trampoline_kernelINS0_13select_configILj256ELj13ELNS0_17block_load_methodE3ELS4_3ELS4_3ELNS0_20block_scan_algorithmE0ELj4294967295EEENS1_25partition_config_selectorILNS1_17partition_subalgoE3EjNS0_10empty_typeEbEEZZNS1_14partition_implILS8_3ELb0ES6_jNS0_17counting_iteratorIjlEEPS9_SE_NS0_5tupleIJPjSE_EEENSF_IJSE_SE_EEES9_SG_JZNS1_25segmented_radix_sort_implINS0_14default_configELb0EPKiPiPKlPlN2at6native12_GLOBAL__N_18offset_tEEE10hipError_tPvRmT1_PNSt15iterator_traitsISY_E10value_typeET2_T3_PNSZ_IS14_E10value_typeET4_jRbjT5_S1A_jjP12ihipStream_tbEUljE_EEESV_SW_SX_S14_S18_S1A_T6_T7_T9_mT8_S1C_bDpT10_ENKUlT_T0_E_clISt17integral_constantIbLb0EES1P_EEDaS1K_S1L_EUlS1K_E_NS1_11comp_targetILNS1_3genE3ELNS1_11target_archE908ELNS1_3gpuE7ELNS1_3repE0EEENS1_30default_config_static_selectorELNS0_4arch9wavefront6targetE0EEEvSY_.numbered_sgpr, 0
	.set _ZN7rocprim17ROCPRIM_400000_NS6detail17trampoline_kernelINS0_13select_configILj256ELj13ELNS0_17block_load_methodE3ELS4_3ELS4_3ELNS0_20block_scan_algorithmE0ELj4294967295EEENS1_25partition_config_selectorILNS1_17partition_subalgoE3EjNS0_10empty_typeEbEEZZNS1_14partition_implILS8_3ELb0ES6_jNS0_17counting_iteratorIjlEEPS9_SE_NS0_5tupleIJPjSE_EEENSF_IJSE_SE_EEES9_SG_JZNS1_25segmented_radix_sort_implINS0_14default_configELb0EPKiPiPKlPlN2at6native12_GLOBAL__N_18offset_tEEE10hipError_tPvRmT1_PNSt15iterator_traitsISY_E10value_typeET2_T3_PNSZ_IS14_E10value_typeET4_jRbjT5_S1A_jjP12ihipStream_tbEUljE_EEESV_SW_SX_S14_S18_S1A_T6_T7_T9_mT8_S1C_bDpT10_ENKUlT_T0_E_clISt17integral_constantIbLb0EES1P_EEDaS1K_S1L_EUlS1K_E_NS1_11comp_targetILNS1_3genE3ELNS1_11target_archE908ELNS1_3gpuE7ELNS1_3repE0EEENS1_30default_config_static_selectorELNS0_4arch9wavefront6targetE0EEEvSY_.num_named_barrier, 0
	.set _ZN7rocprim17ROCPRIM_400000_NS6detail17trampoline_kernelINS0_13select_configILj256ELj13ELNS0_17block_load_methodE3ELS4_3ELS4_3ELNS0_20block_scan_algorithmE0ELj4294967295EEENS1_25partition_config_selectorILNS1_17partition_subalgoE3EjNS0_10empty_typeEbEEZZNS1_14partition_implILS8_3ELb0ES6_jNS0_17counting_iteratorIjlEEPS9_SE_NS0_5tupleIJPjSE_EEENSF_IJSE_SE_EEES9_SG_JZNS1_25segmented_radix_sort_implINS0_14default_configELb0EPKiPiPKlPlN2at6native12_GLOBAL__N_18offset_tEEE10hipError_tPvRmT1_PNSt15iterator_traitsISY_E10value_typeET2_T3_PNSZ_IS14_E10value_typeET4_jRbjT5_S1A_jjP12ihipStream_tbEUljE_EEESV_SW_SX_S14_S18_S1A_T6_T7_T9_mT8_S1C_bDpT10_ENKUlT_T0_E_clISt17integral_constantIbLb0EES1P_EEDaS1K_S1L_EUlS1K_E_NS1_11comp_targetILNS1_3genE3ELNS1_11target_archE908ELNS1_3gpuE7ELNS1_3repE0EEENS1_30default_config_static_selectorELNS0_4arch9wavefront6targetE0EEEvSY_.private_seg_size, 0
	.set _ZN7rocprim17ROCPRIM_400000_NS6detail17trampoline_kernelINS0_13select_configILj256ELj13ELNS0_17block_load_methodE3ELS4_3ELS4_3ELNS0_20block_scan_algorithmE0ELj4294967295EEENS1_25partition_config_selectorILNS1_17partition_subalgoE3EjNS0_10empty_typeEbEEZZNS1_14partition_implILS8_3ELb0ES6_jNS0_17counting_iteratorIjlEEPS9_SE_NS0_5tupleIJPjSE_EEENSF_IJSE_SE_EEES9_SG_JZNS1_25segmented_radix_sort_implINS0_14default_configELb0EPKiPiPKlPlN2at6native12_GLOBAL__N_18offset_tEEE10hipError_tPvRmT1_PNSt15iterator_traitsISY_E10value_typeET2_T3_PNSZ_IS14_E10value_typeET4_jRbjT5_S1A_jjP12ihipStream_tbEUljE_EEESV_SW_SX_S14_S18_S1A_T6_T7_T9_mT8_S1C_bDpT10_ENKUlT_T0_E_clISt17integral_constantIbLb0EES1P_EEDaS1K_S1L_EUlS1K_E_NS1_11comp_targetILNS1_3genE3ELNS1_11target_archE908ELNS1_3gpuE7ELNS1_3repE0EEENS1_30default_config_static_selectorELNS0_4arch9wavefront6targetE0EEEvSY_.uses_vcc, 0
	.set _ZN7rocprim17ROCPRIM_400000_NS6detail17trampoline_kernelINS0_13select_configILj256ELj13ELNS0_17block_load_methodE3ELS4_3ELS4_3ELNS0_20block_scan_algorithmE0ELj4294967295EEENS1_25partition_config_selectorILNS1_17partition_subalgoE3EjNS0_10empty_typeEbEEZZNS1_14partition_implILS8_3ELb0ES6_jNS0_17counting_iteratorIjlEEPS9_SE_NS0_5tupleIJPjSE_EEENSF_IJSE_SE_EEES9_SG_JZNS1_25segmented_radix_sort_implINS0_14default_configELb0EPKiPiPKlPlN2at6native12_GLOBAL__N_18offset_tEEE10hipError_tPvRmT1_PNSt15iterator_traitsISY_E10value_typeET2_T3_PNSZ_IS14_E10value_typeET4_jRbjT5_S1A_jjP12ihipStream_tbEUljE_EEESV_SW_SX_S14_S18_S1A_T6_T7_T9_mT8_S1C_bDpT10_ENKUlT_T0_E_clISt17integral_constantIbLb0EES1P_EEDaS1K_S1L_EUlS1K_E_NS1_11comp_targetILNS1_3genE3ELNS1_11target_archE908ELNS1_3gpuE7ELNS1_3repE0EEENS1_30default_config_static_selectorELNS0_4arch9wavefront6targetE0EEEvSY_.uses_flat_scratch, 0
	.set _ZN7rocprim17ROCPRIM_400000_NS6detail17trampoline_kernelINS0_13select_configILj256ELj13ELNS0_17block_load_methodE3ELS4_3ELS4_3ELNS0_20block_scan_algorithmE0ELj4294967295EEENS1_25partition_config_selectorILNS1_17partition_subalgoE3EjNS0_10empty_typeEbEEZZNS1_14partition_implILS8_3ELb0ES6_jNS0_17counting_iteratorIjlEEPS9_SE_NS0_5tupleIJPjSE_EEENSF_IJSE_SE_EEES9_SG_JZNS1_25segmented_radix_sort_implINS0_14default_configELb0EPKiPiPKlPlN2at6native12_GLOBAL__N_18offset_tEEE10hipError_tPvRmT1_PNSt15iterator_traitsISY_E10value_typeET2_T3_PNSZ_IS14_E10value_typeET4_jRbjT5_S1A_jjP12ihipStream_tbEUljE_EEESV_SW_SX_S14_S18_S1A_T6_T7_T9_mT8_S1C_bDpT10_ENKUlT_T0_E_clISt17integral_constantIbLb0EES1P_EEDaS1K_S1L_EUlS1K_E_NS1_11comp_targetILNS1_3genE3ELNS1_11target_archE908ELNS1_3gpuE7ELNS1_3repE0EEENS1_30default_config_static_selectorELNS0_4arch9wavefront6targetE0EEEvSY_.has_dyn_sized_stack, 0
	.set _ZN7rocprim17ROCPRIM_400000_NS6detail17trampoline_kernelINS0_13select_configILj256ELj13ELNS0_17block_load_methodE3ELS4_3ELS4_3ELNS0_20block_scan_algorithmE0ELj4294967295EEENS1_25partition_config_selectorILNS1_17partition_subalgoE3EjNS0_10empty_typeEbEEZZNS1_14partition_implILS8_3ELb0ES6_jNS0_17counting_iteratorIjlEEPS9_SE_NS0_5tupleIJPjSE_EEENSF_IJSE_SE_EEES9_SG_JZNS1_25segmented_radix_sort_implINS0_14default_configELb0EPKiPiPKlPlN2at6native12_GLOBAL__N_18offset_tEEE10hipError_tPvRmT1_PNSt15iterator_traitsISY_E10value_typeET2_T3_PNSZ_IS14_E10value_typeET4_jRbjT5_S1A_jjP12ihipStream_tbEUljE_EEESV_SW_SX_S14_S18_S1A_T6_T7_T9_mT8_S1C_bDpT10_ENKUlT_T0_E_clISt17integral_constantIbLb0EES1P_EEDaS1K_S1L_EUlS1K_E_NS1_11comp_targetILNS1_3genE3ELNS1_11target_archE908ELNS1_3gpuE7ELNS1_3repE0EEENS1_30default_config_static_selectorELNS0_4arch9wavefront6targetE0EEEvSY_.has_recursion, 0
	.set _ZN7rocprim17ROCPRIM_400000_NS6detail17trampoline_kernelINS0_13select_configILj256ELj13ELNS0_17block_load_methodE3ELS4_3ELS4_3ELNS0_20block_scan_algorithmE0ELj4294967295EEENS1_25partition_config_selectorILNS1_17partition_subalgoE3EjNS0_10empty_typeEbEEZZNS1_14partition_implILS8_3ELb0ES6_jNS0_17counting_iteratorIjlEEPS9_SE_NS0_5tupleIJPjSE_EEENSF_IJSE_SE_EEES9_SG_JZNS1_25segmented_radix_sort_implINS0_14default_configELb0EPKiPiPKlPlN2at6native12_GLOBAL__N_18offset_tEEE10hipError_tPvRmT1_PNSt15iterator_traitsISY_E10value_typeET2_T3_PNSZ_IS14_E10value_typeET4_jRbjT5_S1A_jjP12ihipStream_tbEUljE_EEESV_SW_SX_S14_S18_S1A_T6_T7_T9_mT8_S1C_bDpT10_ENKUlT_T0_E_clISt17integral_constantIbLb0EES1P_EEDaS1K_S1L_EUlS1K_E_NS1_11comp_targetILNS1_3genE3ELNS1_11target_archE908ELNS1_3gpuE7ELNS1_3repE0EEENS1_30default_config_static_selectorELNS0_4arch9wavefront6targetE0EEEvSY_.has_indirect_call, 0
	.section	.AMDGPU.csdata,"",@progbits
; Kernel info:
; codeLenInByte = 0
; TotalNumSgprs: 0
; NumVgprs: 0
; ScratchSize: 0
; MemoryBound: 0
; FloatMode: 240
; IeeeMode: 1
; LDSByteSize: 0 bytes/workgroup (compile time only)
; SGPRBlocks: 0
; VGPRBlocks: 0
; NumSGPRsForWavesPerEU: 1
; NumVGPRsForWavesPerEU: 1
; NamedBarCnt: 0
; Occupancy: 16
; WaveLimiterHint : 0
; COMPUTE_PGM_RSRC2:SCRATCH_EN: 0
; COMPUTE_PGM_RSRC2:USER_SGPR: 2
; COMPUTE_PGM_RSRC2:TRAP_HANDLER: 0
; COMPUTE_PGM_RSRC2:TGID_X_EN: 1
; COMPUTE_PGM_RSRC2:TGID_Y_EN: 0
; COMPUTE_PGM_RSRC2:TGID_Z_EN: 0
; COMPUTE_PGM_RSRC2:TIDIG_COMP_CNT: 0
	.section	.text._ZN7rocprim17ROCPRIM_400000_NS6detail17trampoline_kernelINS0_13select_configILj256ELj13ELNS0_17block_load_methodE3ELS4_3ELS4_3ELNS0_20block_scan_algorithmE0ELj4294967295EEENS1_25partition_config_selectorILNS1_17partition_subalgoE3EjNS0_10empty_typeEbEEZZNS1_14partition_implILS8_3ELb0ES6_jNS0_17counting_iteratorIjlEEPS9_SE_NS0_5tupleIJPjSE_EEENSF_IJSE_SE_EEES9_SG_JZNS1_25segmented_radix_sort_implINS0_14default_configELb0EPKiPiPKlPlN2at6native12_GLOBAL__N_18offset_tEEE10hipError_tPvRmT1_PNSt15iterator_traitsISY_E10value_typeET2_T3_PNSZ_IS14_E10value_typeET4_jRbjT5_S1A_jjP12ihipStream_tbEUljE_EEESV_SW_SX_S14_S18_S1A_T6_T7_T9_mT8_S1C_bDpT10_ENKUlT_T0_E_clISt17integral_constantIbLb0EES1P_EEDaS1K_S1L_EUlS1K_E_NS1_11comp_targetILNS1_3genE2ELNS1_11target_archE906ELNS1_3gpuE6ELNS1_3repE0EEENS1_30default_config_static_selectorELNS0_4arch9wavefront6targetE0EEEvSY_,"axG",@progbits,_ZN7rocprim17ROCPRIM_400000_NS6detail17trampoline_kernelINS0_13select_configILj256ELj13ELNS0_17block_load_methodE3ELS4_3ELS4_3ELNS0_20block_scan_algorithmE0ELj4294967295EEENS1_25partition_config_selectorILNS1_17partition_subalgoE3EjNS0_10empty_typeEbEEZZNS1_14partition_implILS8_3ELb0ES6_jNS0_17counting_iteratorIjlEEPS9_SE_NS0_5tupleIJPjSE_EEENSF_IJSE_SE_EEES9_SG_JZNS1_25segmented_radix_sort_implINS0_14default_configELb0EPKiPiPKlPlN2at6native12_GLOBAL__N_18offset_tEEE10hipError_tPvRmT1_PNSt15iterator_traitsISY_E10value_typeET2_T3_PNSZ_IS14_E10value_typeET4_jRbjT5_S1A_jjP12ihipStream_tbEUljE_EEESV_SW_SX_S14_S18_S1A_T6_T7_T9_mT8_S1C_bDpT10_ENKUlT_T0_E_clISt17integral_constantIbLb0EES1P_EEDaS1K_S1L_EUlS1K_E_NS1_11comp_targetILNS1_3genE2ELNS1_11target_archE906ELNS1_3gpuE6ELNS1_3repE0EEENS1_30default_config_static_selectorELNS0_4arch9wavefront6targetE0EEEvSY_,comdat
	.globl	_ZN7rocprim17ROCPRIM_400000_NS6detail17trampoline_kernelINS0_13select_configILj256ELj13ELNS0_17block_load_methodE3ELS4_3ELS4_3ELNS0_20block_scan_algorithmE0ELj4294967295EEENS1_25partition_config_selectorILNS1_17partition_subalgoE3EjNS0_10empty_typeEbEEZZNS1_14partition_implILS8_3ELb0ES6_jNS0_17counting_iteratorIjlEEPS9_SE_NS0_5tupleIJPjSE_EEENSF_IJSE_SE_EEES9_SG_JZNS1_25segmented_radix_sort_implINS0_14default_configELb0EPKiPiPKlPlN2at6native12_GLOBAL__N_18offset_tEEE10hipError_tPvRmT1_PNSt15iterator_traitsISY_E10value_typeET2_T3_PNSZ_IS14_E10value_typeET4_jRbjT5_S1A_jjP12ihipStream_tbEUljE_EEESV_SW_SX_S14_S18_S1A_T6_T7_T9_mT8_S1C_bDpT10_ENKUlT_T0_E_clISt17integral_constantIbLb0EES1P_EEDaS1K_S1L_EUlS1K_E_NS1_11comp_targetILNS1_3genE2ELNS1_11target_archE906ELNS1_3gpuE6ELNS1_3repE0EEENS1_30default_config_static_selectorELNS0_4arch9wavefront6targetE0EEEvSY_ ; -- Begin function _ZN7rocprim17ROCPRIM_400000_NS6detail17trampoline_kernelINS0_13select_configILj256ELj13ELNS0_17block_load_methodE3ELS4_3ELS4_3ELNS0_20block_scan_algorithmE0ELj4294967295EEENS1_25partition_config_selectorILNS1_17partition_subalgoE3EjNS0_10empty_typeEbEEZZNS1_14partition_implILS8_3ELb0ES6_jNS0_17counting_iteratorIjlEEPS9_SE_NS0_5tupleIJPjSE_EEENSF_IJSE_SE_EEES9_SG_JZNS1_25segmented_radix_sort_implINS0_14default_configELb0EPKiPiPKlPlN2at6native12_GLOBAL__N_18offset_tEEE10hipError_tPvRmT1_PNSt15iterator_traitsISY_E10value_typeET2_T3_PNSZ_IS14_E10value_typeET4_jRbjT5_S1A_jjP12ihipStream_tbEUljE_EEESV_SW_SX_S14_S18_S1A_T6_T7_T9_mT8_S1C_bDpT10_ENKUlT_T0_E_clISt17integral_constantIbLb0EES1P_EEDaS1K_S1L_EUlS1K_E_NS1_11comp_targetILNS1_3genE2ELNS1_11target_archE906ELNS1_3gpuE6ELNS1_3repE0EEENS1_30default_config_static_selectorELNS0_4arch9wavefront6targetE0EEEvSY_
	.p2align	8
	.type	_ZN7rocprim17ROCPRIM_400000_NS6detail17trampoline_kernelINS0_13select_configILj256ELj13ELNS0_17block_load_methodE3ELS4_3ELS4_3ELNS0_20block_scan_algorithmE0ELj4294967295EEENS1_25partition_config_selectorILNS1_17partition_subalgoE3EjNS0_10empty_typeEbEEZZNS1_14partition_implILS8_3ELb0ES6_jNS0_17counting_iteratorIjlEEPS9_SE_NS0_5tupleIJPjSE_EEENSF_IJSE_SE_EEES9_SG_JZNS1_25segmented_radix_sort_implINS0_14default_configELb0EPKiPiPKlPlN2at6native12_GLOBAL__N_18offset_tEEE10hipError_tPvRmT1_PNSt15iterator_traitsISY_E10value_typeET2_T3_PNSZ_IS14_E10value_typeET4_jRbjT5_S1A_jjP12ihipStream_tbEUljE_EEESV_SW_SX_S14_S18_S1A_T6_T7_T9_mT8_S1C_bDpT10_ENKUlT_T0_E_clISt17integral_constantIbLb0EES1P_EEDaS1K_S1L_EUlS1K_E_NS1_11comp_targetILNS1_3genE2ELNS1_11target_archE906ELNS1_3gpuE6ELNS1_3repE0EEENS1_30default_config_static_selectorELNS0_4arch9wavefront6targetE0EEEvSY_,@function
_ZN7rocprim17ROCPRIM_400000_NS6detail17trampoline_kernelINS0_13select_configILj256ELj13ELNS0_17block_load_methodE3ELS4_3ELS4_3ELNS0_20block_scan_algorithmE0ELj4294967295EEENS1_25partition_config_selectorILNS1_17partition_subalgoE3EjNS0_10empty_typeEbEEZZNS1_14partition_implILS8_3ELb0ES6_jNS0_17counting_iteratorIjlEEPS9_SE_NS0_5tupleIJPjSE_EEENSF_IJSE_SE_EEES9_SG_JZNS1_25segmented_radix_sort_implINS0_14default_configELb0EPKiPiPKlPlN2at6native12_GLOBAL__N_18offset_tEEE10hipError_tPvRmT1_PNSt15iterator_traitsISY_E10value_typeET2_T3_PNSZ_IS14_E10value_typeET4_jRbjT5_S1A_jjP12ihipStream_tbEUljE_EEESV_SW_SX_S14_S18_S1A_T6_T7_T9_mT8_S1C_bDpT10_ENKUlT_T0_E_clISt17integral_constantIbLb0EES1P_EEDaS1K_S1L_EUlS1K_E_NS1_11comp_targetILNS1_3genE2ELNS1_11target_archE906ELNS1_3gpuE6ELNS1_3repE0EEENS1_30default_config_static_selectorELNS0_4arch9wavefront6targetE0EEEvSY_: ; @_ZN7rocprim17ROCPRIM_400000_NS6detail17trampoline_kernelINS0_13select_configILj256ELj13ELNS0_17block_load_methodE3ELS4_3ELS4_3ELNS0_20block_scan_algorithmE0ELj4294967295EEENS1_25partition_config_selectorILNS1_17partition_subalgoE3EjNS0_10empty_typeEbEEZZNS1_14partition_implILS8_3ELb0ES6_jNS0_17counting_iteratorIjlEEPS9_SE_NS0_5tupleIJPjSE_EEENSF_IJSE_SE_EEES9_SG_JZNS1_25segmented_radix_sort_implINS0_14default_configELb0EPKiPiPKlPlN2at6native12_GLOBAL__N_18offset_tEEE10hipError_tPvRmT1_PNSt15iterator_traitsISY_E10value_typeET2_T3_PNSZ_IS14_E10value_typeET4_jRbjT5_S1A_jjP12ihipStream_tbEUljE_EEESV_SW_SX_S14_S18_S1A_T6_T7_T9_mT8_S1C_bDpT10_ENKUlT_T0_E_clISt17integral_constantIbLb0EES1P_EEDaS1K_S1L_EUlS1K_E_NS1_11comp_targetILNS1_3genE2ELNS1_11target_archE906ELNS1_3gpuE6ELNS1_3repE0EEENS1_30default_config_static_selectorELNS0_4arch9wavefront6targetE0EEEvSY_
; %bb.0:
	.section	.rodata,"a",@progbits
	.p2align	6, 0x0
	.amdhsa_kernel _ZN7rocprim17ROCPRIM_400000_NS6detail17trampoline_kernelINS0_13select_configILj256ELj13ELNS0_17block_load_methodE3ELS4_3ELS4_3ELNS0_20block_scan_algorithmE0ELj4294967295EEENS1_25partition_config_selectorILNS1_17partition_subalgoE3EjNS0_10empty_typeEbEEZZNS1_14partition_implILS8_3ELb0ES6_jNS0_17counting_iteratorIjlEEPS9_SE_NS0_5tupleIJPjSE_EEENSF_IJSE_SE_EEES9_SG_JZNS1_25segmented_radix_sort_implINS0_14default_configELb0EPKiPiPKlPlN2at6native12_GLOBAL__N_18offset_tEEE10hipError_tPvRmT1_PNSt15iterator_traitsISY_E10value_typeET2_T3_PNSZ_IS14_E10value_typeET4_jRbjT5_S1A_jjP12ihipStream_tbEUljE_EEESV_SW_SX_S14_S18_S1A_T6_T7_T9_mT8_S1C_bDpT10_ENKUlT_T0_E_clISt17integral_constantIbLb0EES1P_EEDaS1K_S1L_EUlS1K_E_NS1_11comp_targetILNS1_3genE2ELNS1_11target_archE906ELNS1_3gpuE6ELNS1_3repE0EEENS1_30default_config_static_selectorELNS0_4arch9wavefront6targetE0EEEvSY_
		.amdhsa_group_segment_fixed_size 0
		.amdhsa_private_segment_fixed_size 0
		.amdhsa_kernarg_size 144
		.amdhsa_user_sgpr_count 2
		.amdhsa_user_sgpr_dispatch_ptr 0
		.amdhsa_user_sgpr_queue_ptr 0
		.amdhsa_user_sgpr_kernarg_segment_ptr 1
		.amdhsa_user_sgpr_dispatch_id 0
		.amdhsa_user_sgpr_kernarg_preload_length 0
		.amdhsa_user_sgpr_kernarg_preload_offset 0
		.amdhsa_user_sgpr_private_segment_size 0
		.amdhsa_wavefront_size32 1
		.amdhsa_uses_dynamic_stack 0
		.amdhsa_enable_private_segment 0
		.amdhsa_system_sgpr_workgroup_id_x 1
		.amdhsa_system_sgpr_workgroup_id_y 0
		.amdhsa_system_sgpr_workgroup_id_z 0
		.amdhsa_system_sgpr_workgroup_info 0
		.amdhsa_system_vgpr_workitem_id 0
		.amdhsa_next_free_vgpr 1
		.amdhsa_next_free_sgpr 1
		.amdhsa_named_barrier_count 0
		.amdhsa_reserve_vcc 0
		.amdhsa_float_round_mode_32 0
		.amdhsa_float_round_mode_16_64 0
		.amdhsa_float_denorm_mode_32 3
		.amdhsa_float_denorm_mode_16_64 3
		.amdhsa_fp16_overflow 0
		.amdhsa_memory_ordered 1
		.amdhsa_forward_progress 1
		.amdhsa_inst_pref_size 0
		.amdhsa_round_robin_scheduling 0
		.amdhsa_exception_fp_ieee_invalid_op 0
		.amdhsa_exception_fp_denorm_src 0
		.amdhsa_exception_fp_ieee_div_zero 0
		.amdhsa_exception_fp_ieee_overflow 0
		.amdhsa_exception_fp_ieee_underflow 0
		.amdhsa_exception_fp_ieee_inexact 0
		.amdhsa_exception_int_div_zero 0
	.end_amdhsa_kernel
	.section	.text._ZN7rocprim17ROCPRIM_400000_NS6detail17trampoline_kernelINS0_13select_configILj256ELj13ELNS0_17block_load_methodE3ELS4_3ELS4_3ELNS0_20block_scan_algorithmE0ELj4294967295EEENS1_25partition_config_selectorILNS1_17partition_subalgoE3EjNS0_10empty_typeEbEEZZNS1_14partition_implILS8_3ELb0ES6_jNS0_17counting_iteratorIjlEEPS9_SE_NS0_5tupleIJPjSE_EEENSF_IJSE_SE_EEES9_SG_JZNS1_25segmented_radix_sort_implINS0_14default_configELb0EPKiPiPKlPlN2at6native12_GLOBAL__N_18offset_tEEE10hipError_tPvRmT1_PNSt15iterator_traitsISY_E10value_typeET2_T3_PNSZ_IS14_E10value_typeET4_jRbjT5_S1A_jjP12ihipStream_tbEUljE_EEESV_SW_SX_S14_S18_S1A_T6_T7_T9_mT8_S1C_bDpT10_ENKUlT_T0_E_clISt17integral_constantIbLb0EES1P_EEDaS1K_S1L_EUlS1K_E_NS1_11comp_targetILNS1_3genE2ELNS1_11target_archE906ELNS1_3gpuE6ELNS1_3repE0EEENS1_30default_config_static_selectorELNS0_4arch9wavefront6targetE0EEEvSY_,"axG",@progbits,_ZN7rocprim17ROCPRIM_400000_NS6detail17trampoline_kernelINS0_13select_configILj256ELj13ELNS0_17block_load_methodE3ELS4_3ELS4_3ELNS0_20block_scan_algorithmE0ELj4294967295EEENS1_25partition_config_selectorILNS1_17partition_subalgoE3EjNS0_10empty_typeEbEEZZNS1_14partition_implILS8_3ELb0ES6_jNS0_17counting_iteratorIjlEEPS9_SE_NS0_5tupleIJPjSE_EEENSF_IJSE_SE_EEES9_SG_JZNS1_25segmented_radix_sort_implINS0_14default_configELb0EPKiPiPKlPlN2at6native12_GLOBAL__N_18offset_tEEE10hipError_tPvRmT1_PNSt15iterator_traitsISY_E10value_typeET2_T3_PNSZ_IS14_E10value_typeET4_jRbjT5_S1A_jjP12ihipStream_tbEUljE_EEESV_SW_SX_S14_S18_S1A_T6_T7_T9_mT8_S1C_bDpT10_ENKUlT_T0_E_clISt17integral_constantIbLb0EES1P_EEDaS1K_S1L_EUlS1K_E_NS1_11comp_targetILNS1_3genE2ELNS1_11target_archE906ELNS1_3gpuE6ELNS1_3repE0EEENS1_30default_config_static_selectorELNS0_4arch9wavefront6targetE0EEEvSY_,comdat
.Lfunc_end568:
	.size	_ZN7rocprim17ROCPRIM_400000_NS6detail17trampoline_kernelINS0_13select_configILj256ELj13ELNS0_17block_load_methodE3ELS4_3ELS4_3ELNS0_20block_scan_algorithmE0ELj4294967295EEENS1_25partition_config_selectorILNS1_17partition_subalgoE3EjNS0_10empty_typeEbEEZZNS1_14partition_implILS8_3ELb0ES6_jNS0_17counting_iteratorIjlEEPS9_SE_NS0_5tupleIJPjSE_EEENSF_IJSE_SE_EEES9_SG_JZNS1_25segmented_radix_sort_implINS0_14default_configELb0EPKiPiPKlPlN2at6native12_GLOBAL__N_18offset_tEEE10hipError_tPvRmT1_PNSt15iterator_traitsISY_E10value_typeET2_T3_PNSZ_IS14_E10value_typeET4_jRbjT5_S1A_jjP12ihipStream_tbEUljE_EEESV_SW_SX_S14_S18_S1A_T6_T7_T9_mT8_S1C_bDpT10_ENKUlT_T0_E_clISt17integral_constantIbLb0EES1P_EEDaS1K_S1L_EUlS1K_E_NS1_11comp_targetILNS1_3genE2ELNS1_11target_archE906ELNS1_3gpuE6ELNS1_3repE0EEENS1_30default_config_static_selectorELNS0_4arch9wavefront6targetE0EEEvSY_, .Lfunc_end568-_ZN7rocprim17ROCPRIM_400000_NS6detail17trampoline_kernelINS0_13select_configILj256ELj13ELNS0_17block_load_methodE3ELS4_3ELS4_3ELNS0_20block_scan_algorithmE0ELj4294967295EEENS1_25partition_config_selectorILNS1_17partition_subalgoE3EjNS0_10empty_typeEbEEZZNS1_14partition_implILS8_3ELb0ES6_jNS0_17counting_iteratorIjlEEPS9_SE_NS0_5tupleIJPjSE_EEENSF_IJSE_SE_EEES9_SG_JZNS1_25segmented_radix_sort_implINS0_14default_configELb0EPKiPiPKlPlN2at6native12_GLOBAL__N_18offset_tEEE10hipError_tPvRmT1_PNSt15iterator_traitsISY_E10value_typeET2_T3_PNSZ_IS14_E10value_typeET4_jRbjT5_S1A_jjP12ihipStream_tbEUljE_EEESV_SW_SX_S14_S18_S1A_T6_T7_T9_mT8_S1C_bDpT10_ENKUlT_T0_E_clISt17integral_constantIbLb0EES1P_EEDaS1K_S1L_EUlS1K_E_NS1_11comp_targetILNS1_3genE2ELNS1_11target_archE906ELNS1_3gpuE6ELNS1_3repE0EEENS1_30default_config_static_selectorELNS0_4arch9wavefront6targetE0EEEvSY_
                                        ; -- End function
	.set _ZN7rocprim17ROCPRIM_400000_NS6detail17trampoline_kernelINS0_13select_configILj256ELj13ELNS0_17block_load_methodE3ELS4_3ELS4_3ELNS0_20block_scan_algorithmE0ELj4294967295EEENS1_25partition_config_selectorILNS1_17partition_subalgoE3EjNS0_10empty_typeEbEEZZNS1_14partition_implILS8_3ELb0ES6_jNS0_17counting_iteratorIjlEEPS9_SE_NS0_5tupleIJPjSE_EEENSF_IJSE_SE_EEES9_SG_JZNS1_25segmented_radix_sort_implINS0_14default_configELb0EPKiPiPKlPlN2at6native12_GLOBAL__N_18offset_tEEE10hipError_tPvRmT1_PNSt15iterator_traitsISY_E10value_typeET2_T3_PNSZ_IS14_E10value_typeET4_jRbjT5_S1A_jjP12ihipStream_tbEUljE_EEESV_SW_SX_S14_S18_S1A_T6_T7_T9_mT8_S1C_bDpT10_ENKUlT_T0_E_clISt17integral_constantIbLb0EES1P_EEDaS1K_S1L_EUlS1K_E_NS1_11comp_targetILNS1_3genE2ELNS1_11target_archE906ELNS1_3gpuE6ELNS1_3repE0EEENS1_30default_config_static_selectorELNS0_4arch9wavefront6targetE0EEEvSY_.num_vgpr, 0
	.set _ZN7rocprim17ROCPRIM_400000_NS6detail17trampoline_kernelINS0_13select_configILj256ELj13ELNS0_17block_load_methodE3ELS4_3ELS4_3ELNS0_20block_scan_algorithmE0ELj4294967295EEENS1_25partition_config_selectorILNS1_17partition_subalgoE3EjNS0_10empty_typeEbEEZZNS1_14partition_implILS8_3ELb0ES6_jNS0_17counting_iteratorIjlEEPS9_SE_NS0_5tupleIJPjSE_EEENSF_IJSE_SE_EEES9_SG_JZNS1_25segmented_radix_sort_implINS0_14default_configELb0EPKiPiPKlPlN2at6native12_GLOBAL__N_18offset_tEEE10hipError_tPvRmT1_PNSt15iterator_traitsISY_E10value_typeET2_T3_PNSZ_IS14_E10value_typeET4_jRbjT5_S1A_jjP12ihipStream_tbEUljE_EEESV_SW_SX_S14_S18_S1A_T6_T7_T9_mT8_S1C_bDpT10_ENKUlT_T0_E_clISt17integral_constantIbLb0EES1P_EEDaS1K_S1L_EUlS1K_E_NS1_11comp_targetILNS1_3genE2ELNS1_11target_archE906ELNS1_3gpuE6ELNS1_3repE0EEENS1_30default_config_static_selectorELNS0_4arch9wavefront6targetE0EEEvSY_.num_agpr, 0
	.set _ZN7rocprim17ROCPRIM_400000_NS6detail17trampoline_kernelINS0_13select_configILj256ELj13ELNS0_17block_load_methodE3ELS4_3ELS4_3ELNS0_20block_scan_algorithmE0ELj4294967295EEENS1_25partition_config_selectorILNS1_17partition_subalgoE3EjNS0_10empty_typeEbEEZZNS1_14partition_implILS8_3ELb0ES6_jNS0_17counting_iteratorIjlEEPS9_SE_NS0_5tupleIJPjSE_EEENSF_IJSE_SE_EEES9_SG_JZNS1_25segmented_radix_sort_implINS0_14default_configELb0EPKiPiPKlPlN2at6native12_GLOBAL__N_18offset_tEEE10hipError_tPvRmT1_PNSt15iterator_traitsISY_E10value_typeET2_T3_PNSZ_IS14_E10value_typeET4_jRbjT5_S1A_jjP12ihipStream_tbEUljE_EEESV_SW_SX_S14_S18_S1A_T6_T7_T9_mT8_S1C_bDpT10_ENKUlT_T0_E_clISt17integral_constantIbLb0EES1P_EEDaS1K_S1L_EUlS1K_E_NS1_11comp_targetILNS1_3genE2ELNS1_11target_archE906ELNS1_3gpuE6ELNS1_3repE0EEENS1_30default_config_static_selectorELNS0_4arch9wavefront6targetE0EEEvSY_.numbered_sgpr, 0
	.set _ZN7rocprim17ROCPRIM_400000_NS6detail17trampoline_kernelINS0_13select_configILj256ELj13ELNS0_17block_load_methodE3ELS4_3ELS4_3ELNS0_20block_scan_algorithmE0ELj4294967295EEENS1_25partition_config_selectorILNS1_17partition_subalgoE3EjNS0_10empty_typeEbEEZZNS1_14partition_implILS8_3ELb0ES6_jNS0_17counting_iteratorIjlEEPS9_SE_NS0_5tupleIJPjSE_EEENSF_IJSE_SE_EEES9_SG_JZNS1_25segmented_radix_sort_implINS0_14default_configELb0EPKiPiPKlPlN2at6native12_GLOBAL__N_18offset_tEEE10hipError_tPvRmT1_PNSt15iterator_traitsISY_E10value_typeET2_T3_PNSZ_IS14_E10value_typeET4_jRbjT5_S1A_jjP12ihipStream_tbEUljE_EEESV_SW_SX_S14_S18_S1A_T6_T7_T9_mT8_S1C_bDpT10_ENKUlT_T0_E_clISt17integral_constantIbLb0EES1P_EEDaS1K_S1L_EUlS1K_E_NS1_11comp_targetILNS1_3genE2ELNS1_11target_archE906ELNS1_3gpuE6ELNS1_3repE0EEENS1_30default_config_static_selectorELNS0_4arch9wavefront6targetE0EEEvSY_.num_named_barrier, 0
	.set _ZN7rocprim17ROCPRIM_400000_NS6detail17trampoline_kernelINS0_13select_configILj256ELj13ELNS0_17block_load_methodE3ELS4_3ELS4_3ELNS0_20block_scan_algorithmE0ELj4294967295EEENS1_25partition_config_selectorILNS1_17partition_subalgoE3EjNS0_10empty_typeEbEEZZNS1_14partition_implILS8_3ELb0ES6_jNS0_17counting_iteratorIjlEEPS9_SE_NS0_5tupleIJPjSE_EEENSF_IJSE_SE_EEES9_SG_JZNS1_25segmented_radix_sort_implINS0_14default_configELb0EPKiPiPKlPlN2at6native12_GLOBAL__N_18offset_tEEE10hipError_tPvRmT1_PNSt15iterator_traitsISY_E10value_typeET2_T3_PNSZ_IS14_E10value_typeET4_jRbjT5_S1A_jjP12ihipStream_tbEUljE_EEESV_SW_SX_S14_S18_S1A_T6_T7_T9_mT8_S1C_bDpT10_ENKUlT_T0_E_clISt17integral_constantIbLb0EES1P_EEDaS1K_S1L_EUlS1K_E_NS1_11comp_targetILNS1_3genE2ELNS1_11target_archE906ELNS1_3gpuE6ELNS1_3repE0EEENS1_30default_config_static_selectorELNS0_4arch9wavefront6targetE0EEEvSY_.private_seg_size, 0
	.set _ZN7rocprim17ROCPRIM_400000_NS6detail17trampoline_kernelINS0_13select_configILj256ELj13ELNS0_17block_load_methodE3ELS4_3ELS4_3ELNS0_20block_scan_algorithmE0ELj4294967295EEENS1_25partition_config_selectorILNS1_17partition_subalgoE3EjNS0_10empty_typeEbEEZZNS1_14partition_implILS8_3ELb0ES6_jNS0_17counting_iteratorIjlEEPS9_SE_NS0_5tupleIJPjSE_EEENSF_IJSE_SE_EEES9_SG_JZNS1_25segmented_radix_sort_implINS0_14default_configELb0EPKiPiPKlPlN2at6native12_GLOBAL__N_18offset_tEEE10hipError_tPvRmT1_PNSt15iterator_traitsISY_E10value_typeET2_T3_PNSZ_IS14_E10value_typeET4_jRbjT5_S1A_jjP12ihipStream_tbEUljE_EEESV_SW_SX_S14_S18_S1A_T6_T7_T9_mT8_S1C_bDpT10_ENKUlT_T0_E_clISt17integral_constantIbLb0EES1P_EEDaS1K_S1L_EUlS1K_E_NS1_11comp_targetILNS1_3genE2ELNS1_11target_archE906ELNS1_3gpuE6ELNS1_3repE0EEENS1_30default_config_static_selectorELNS0_4arch9wavefront6targetE0EEEvSY_.uses_vcc, 0
	.set _ZN7rocprim17ROCPRIM_400000_NS6detail17trampoline_kernelINS0_13select_configILj256ELj13ELNS0_17block_load_methodE3ELS4_3ELS4_3ELNS0_20block_scan_algorithmE0ELj4294967295EEENS1_25partition_config_selectorILNS1_17partition_subalgoE3EjNS0_10empty_typeEbEEZZNS1_14partition_implILS8_3ELb0ES6_jNS0_17counting_iteratorIjlEEPS9_SE_NS0_5tupleIJPjSE_EEENSF_IJSE_SE_EEES9_SG_JZNS1_25segmented_radix_sort_implINS0_14default_configELb0EPKiPiPKlPlN2at6native12_GLOBAL__N_18offset_tEEE10hipError_tPvRmT1_PNSt15iterator_traitsISY_E10value_typeET2_T3_PNSZ_IS14_E10value_typeET4_jRbjT5_S1A_jjP12ihipStream_tbEUljE_EEESV_SW_SX_S14_S18_S1A_T6_T7_T9_mT8_S1C_bDpT10_ENKUlT_T0_E_clISt17integral_constantIbLb0EES1P_EEDaS1K_S1L_EUlS1K_E_NS1_11comp_targetILNS1_3genE2ELNS1_11target_archE906ELNS1_3gpuE6ELNS1_3repE0EEENS1_30default_config_static_selectorELNS0_4arch9wavefront6targetE0EEEvSY_.uses_flat_scratch, 0
	.set _ZN7rocprim17ROCPRIM_400000_NS6detail17trampoline_kernelINS0_13select_configILj256ELj13ELNS0_17block_load_methodE3ELS4_3ELS4_3ELNS0_20block_scan_algorithmE0ELj4294967295EEENS1_25partition_config_selectorILNS1_17partition_subalgoE3EjNS0_10empty_typeEbEEZZNS1_14partition_implILS8_3ELb0ES6_jNS0_17counting_iteratorIjlEEPS9_SE_NS0_5tupleIJPjSE_EEENSF_IJSE_SE_EEES9_SG_JZNS1_25segmented_radix_sort_implINS0_14default_configELb0EPKiPiPKlPlN2at6native12_GLOBAL__N_18offset_tEEE10hipError_tPvRmT1_PNSt15iterator_traitsISY_E10value_typeET2_T3_PNSZ_IS14_E10value_typeET4_jRbjT5_S1A_jjP12ihipStream_tbEUljE_EEESV_SW_SX_S14_S18_S1A_T6_T7_T9_mT8_S1C_bDpT10_ENKUlT_T0_E_clISt17integral_constantIbLb0EES1P_EEDaS1K_S1L_EUlS1K_E_NS1_11comp_targetILNS1_3genE2ELNS1_11target_archE906ELNS1_3gpuE6ELNS1_3repE0EEENS1_30default_config_static_selectorELNS0_4arch9wavefront6targetE0EEEvSY_.has_dyn_sized_stack, 0
	.set _ZN7rocprim17ROCPRIM_400000_NS6detail17trampoline_kernelINS0_13select_configILj256ELj13ELNS0_17block_load_methodE3ELS4_3ELS4_3ELNS0_20block_scan_algorithmE0ELj4294967295EEENS1_25partition_config_selectorILNS1_17partition_subalgoE3EjNS0_10empty_typeEbEEZZNS1_14partition_implILS8_3ELb0ES6_jNS0_17counting_iteratorIjlEEPS9_SE_NS0_5tupleIJPjSE_EEENSF_IJSE_SE_EEES9_SG_JZNS1_25segmented_radix_sort_implINS0_14default_configELb0EPKiPiPKlPlN2at6native12_GLOBAL__N_18offset_tEEE10hipError_tPvRmT1_PNSt15iterator_traitsISY_E10value_typeET2_T3_PNSZ_IS14_E10value_typeET4_jRbjT5_S1A_jjP12ihipStream_tbEUljE_EEESV_SW_SX_S14_S18_S1A_T6_T7_T9_mT8_S1C_bDpT10_ENKUlT_T0_E_clISt17integral_constantIbLb0EES1P_EEDaS1K_S1L_EUlS1K_E_NS1_11comp_targetILNS1_3genE2ELNS1_11target_archE906ELNS1_3gpuE6ELNS1_3repE0EEENS1_30default_config_static_selectorELNS0_4arch9wavefront6targetE0EEEvSY_.has_recursion, 0
	.set _ZN7rocprim17ROCPRIM_400000_NS6detail17trampoline_kernelINS0_13select_configILj256ELj13ELNS0_17block_load_methodE3ELS4_3ELS4_3ELNS0_20block_scan_algorithmE0ELj4294967295EEENS1_25partition_config_selectorILNS1_17partition_subalgoE3EjNS0_10empty_typeEbEEZZNS1_14partition_implILS8_3ELb0ES6_jNS0_17counting_iteratorIjlEEPS9_SE_NS0_5tupleIJPjSE_EEENSF_IJSE_SE_EEES9_SG_JZNS1_25segmented_radix_sort_implINS0_14default_configELb0EPKiPiPKlPlN2at6native12_GLOBAL__N_18offset_tEEE10hipError_tPvRmT1_PNSt15iterator_traitsISY_E10value_typeET2_T3_PNSZ_IS14_E10value_typeET4_jRbjT5_S1A_jjP12ihipStream_tbEUljE_EEESV_SW_SX_S14_S18_S1A_T6_T7_T9_mT8_S1C_bDpT10_ENKUlT_T0_E_clISt17integral_constantIbLb0EES1P_EEDaS1K_S1L_EUlS1K_E_NS1_11comp_targetILNS1_3genE2ELNS1_11target_archE906ELNS1_3gpuE6ELNS1_3repE0EEENS1_30default_config_static_selectorELNS0_4arch9wavefront6targetE0EEEvSY_.has_indirect_call, 0
	.section	.AMDGPU.csdata,"",@progbits
; Kernel info:
; codeLenInByte = 0
; TotalNumSgprs: 0
; NumVgprs: 0
; ScratchSize: 0
; MemoryBound: 0
; FloatMode: 240
; IeeeMode: 1
; LDSByteSize: 0 bytes/workgroup (compile time only)
; SGPRBlocks: 0
; VGPRBlocks: 0
; NumSGPRsForWavesPerEU: 1
; NumVGPRsForWavesPerEU: 1
; NamedBarCnt: 0
; Occupancy: 16
; WaveLimiterHint : 0
; COMPUTE_PGM_RSRC2:SCRATCH_EN: 0
; COMPUTE_PGM_RSRC2:USER_SGPR: 2
; COMPUTE_PGM_RSRC2:TRAP_HANDLER: 0
; COMPUTE_PGM_RSRC2:TGID_X_EN: 1
; COMPUTE_PGM_RSRC2:TGID_Y_EN: 0
; COMPUTE_PGM_RSRC2:TGID_Z_EN: 0
; COMPUTE_PGM_RSRC2:TIDIG_COMP_CNT: 0
	.section	.text._ZN7rocprim17ROCPRIM_400000_NS6detail17trampoline_kernelINS0_13select_configILj256ELj13ELNS0_17block_load_methodE3ELS4_3ELS4_3ELNS0_20block_scan_algorithmE0ELj4294967295EEENS1_25partition_config_selectorILNS1_17partition_subalgoE3EjNS0_10empty_typeEbEEZZNS1_14partition_implILS8_3ELb0ES6_jNS0_17counting_iteratorIjlEEPS9_SE_NS0_5tupleIJPjSE_EEENSF_IJSE_SE_EEES9_SG_JZNS1_25segmented_radix_sort_implINS0_14default_configELb0EPKiPiPKlPlN2at6native12_GLOBAL__N_18offset_tEEE10hipError_tPvRmT1_PNSt15iterator_traitsISY_E10value_typeET2_T3_PNSZ_IS14_E10value_typeET4_jRbjT5_S1A_jjP12ihipStream_tbEUljE_EEESV_SW_SX_S14_S18_S1A_T6_T7_T9_mT8_S1C_bDpT10_ENKUlT_T0_E_clISt17integral_constantIbLb0EES1P_EEDaS1K_S1L_EUlS1K_E_NS1_11comp_targetILNS1_3genE10ELNS1_11target_archE1200ELNS1_3gpuE4ELNS1_3repE0EEENS1_30default_config_static_selectorELNS0_4arch9wavefront6targetE0EEEvSY_,"axG",@progbits,_ZN7rocprim17ROCPRIM_400000_NS6detail17trampoline_kernelINS0_13select_configILj256ELj13ELNS0_17block_load_methodE3ELS4_3ELS4_3ELNS0_20block_scan_algorithmE0ELj4294967295EEENS1_25partition_config_selectorILNS1_17partition_subalgoE3EjNS0_10empty_typeEbEEZZNS1_14partition_implILS8_3ELb0ES6_jNS0_17counting_iteratorIjlEEPS9_SE_NS0_5tupleIJPjSE_EEENSF_IJSE_SE_EEES9_SG_JZNS1_25segmented_radix_sort_implINS0_14default_configELb0EPKiPiPKlPlN2at6native12_GLOBAL__N_18offset_tEEE10hipError_tPvRmT1_PNSt15iterator_traitsISY_E10value_typeET2_T3_PNSZ_IS14_E10value_typeET4_jRbjT5_S1A_jjP12ihipStream_tbEUljE_EEESV_SW_SX_S14_S18_S1A_T6_T7_T9_mT8_S1C_bDpT10_ENKUlT_T0_E_clISt17integral_constantIbLb0EES1P_EEDaS1K_S1L_EUlS1K_E_NS1_11comp_targetILNS1_3genE10ELNS1_11target_archE1200ELNS1_3gpuE4ELNS1_3repE0EEENS1_30default_config_static_selectorELNS0_4arch9wavefront6targetE0EEEvSY_,comdat
	.globl	_ZN7rocprim17ROCPRIM_400000_NS6detail17trampoline_kernelINS0_13select_configILj256ELj13ELNS0_17block_load_methodE3ELS4_3ELS4_3ELNS0_20block_scan_algorithmE0ELj4294967295EEENS1_25partition_config_selectorILNS1_17partition_subalgoE3EjNS0_10empty_typeEbEEZZNS1_14partition_implILS8_3ELb0ES6_jNS0_17counting_iteratorIjlEEPS9_SE_NS0_5tupleIJPjSE_EEENSF_IJSE_SE_EEES9_SG_JZNS1_25segmented_radix_sort_implINS0_14default_configELb0EPKiPiPKlPlN2at6native12_GLOBAL__N_18offset_tEEE10hipError_tPvRmT1_PNSt15iterator_traitsISY_E10value_typeET2_T3_PNSZ_IS14_E10value_typeET4_jRbjT5_S1A_jjP12ihipStream_tbEUljE_EEESV_SW_SX_S14_S18_S1A_T6_T7_T9_mT8_S1C_bDpT10_ENKUlT_T0_E_clISt17integral_constantIbLb0EES1P_EEDaS1K_S1L_EUlS1K_E_NS1_11comp_targetILNS1_3genE10ELNS1_11target_archE1200ELNS1_3gpuE4ELNS1_3repE0EEENS1_30default_config_static_selectorELNS0_4arch9wavefront6targetE0EEEvSY_ ; -- Begin function _ZN7rocprim17ROCPRIM_400000_NS6detail17trampoline_kernelINS0_13select_configILj256ELj13ELNS0_17block_load_methodE3ELS4_3ELS4_3ELNS0_20block_scan_algorithmE0ELj4294967295EEENS1_25partition_config_selectorILNS1_17partition_subalgoE3EjNS0_10empty_typeEbEEZZNS1_14partition_implILS8_3ELb0ES6_jNS0_17counting_iteratorIjlEEPS9_SE_NS0_5tupleIJPjSE_EEENSF_IJSE_SE_EEES9_SG_JZNS1_25segmented_radix_sort_implINS0_14default_configELb0EPKiPiPKlPlN2at6native12_GLOBAL__N_18offset_tEEE10hipError_tPvRmT1_PNSt15iterator_traitsISY_E10value_typeET2_T3_PNSZ_IS14_E10value_typeET4_jRbjT5_S1A_jjP12ihipStream_tbEUljE_EEESV_SW_SX_S14_S18_S1A_T6_T7_T9_mT8_S1C_bDpT10_ENKUlT_T0_E_clISt17integral_constantIbLb0EES1P_EEDaS1K_S1L_EUlS1K_E_NS1_11comp_targetILNS1_3genE10ELNS1_11target_archE1200ELNS1_3gpuE4ELNS1_3repE0EEENS1_30default_config_static_selectorELNS0_4arch9wavefront6targetE0EEEvSY_
	.p2align	8
	.type	_ZN7rocprim17ROCPRIM_400000_NS6detail17trampoline_kernelINS0_13select_configILj256ELj13ELNS0_17block_load_methodE3ELS4_3ELS4_3ELNS0_20block_scan_algorithmE0ELj4294967295EEENS1_25partition_config_selectorILNS1_17partition_subalgoE3EjNS0_10empty_typeEbEEZZNS1_14partition_implILS8_3ELb0ES6_jNS0_17counting_iteratorIjlEEPS9_SE_NS0_5tupleIJPjSE_EEENSF_IJSE_SE_EEES9_SG_JZNS1_25segmented_radix_sort_implINS0_14default_configELb0EPKiPiPKlPlN2at6native12_GLOBAL__N_18offset_tEEE10hipError_tPvRmT1_PNSt15iterator_traitsISY_E10value_typeET2_T3_PNSZ_IS14_E10value_typeET4_jRbjT5_S1A_jjP12ihipStream_tbEUljE_EEESV_SW_SX_S14_S18_S1A_T6_T7_T9_mT8_S1C_bDpT10_ENKUlT_T0_E_clISt17integral_constantIbLb0EES1P_EEDaS1K_S1L_EUlS1K_E_NS1_11comp_targetILNS1_3genE10ELNS1_11target_archE1200ELNS1_3gpuE4ELNS1_3repE0EEENS1_30default_config_static_selectorELNS0_4arch9wavefront6targetE0EEEvSY_,@function
_ZN7rocprim17ROCPRIM_400000_NS6detail17trampoline_kernelINS0_13select_configILj256ELj13ELNS0_17block_load_methodE3ELS4_3ELS4_3ELNS0_20block_scan_algorithmE0ELj4294967295EEENS1_25partition_config_selectorILNS1_17partition_subalgoE3EjNS0_10empty_typeEbEEZZNS1_14partition_implILS8_3ELb0ES6_jNS0_17counting_iteratorIjlEEPS9_SE_NS0_5tupleIJPjSE_EEENSF_IJSE_SE_EEES9_SG_JZNS1_25segmented_radix_sort_implINS0_14default_configELb0EPKiPiPKlPlN2at6native12_GLOBAL__N_18offset_tEEE10hipError_tPvRmT1_PNSt15iterator_traitsISY_E10value_typeET2_T3_PNSZ_IS14_E10value_typeET4_jRbjT5_S1A_jjP12ihipStream_tbEUljE_EEESV_SW_SX_S14_S18_S1A_T6_T7_T9_mT8_S1C_bDpT10_ENKUlT_T0_E_clISt17integral_constantIbLb0EES1P_EEDaS1K_S1L_EUlS1K_E_NS1_11comp_targetILNS1_3genE10ELNS1_11target_archE1200ELNS1_3gpuE4ELNS1_3repE0EEENS1_30default_config_static_selectorELNS0_4arch9wavefront6targetE0EEEvSY_: ; @_ZN7rocprim17ROCPRIM_400000_NS6detail17trampoline_kernelINS0_13select_configILj256ELj13ELNS0_17block_load_methodE3ELS4_3ELS4_3ELNS0_20block_scan_algorithmE0ELj4294967295EEENS1_25partition_config_selectorILNS1_17partition_subalgoE3EjNS0_10empty_typeEbEEZZNS1_14partition_implILS8_3ELb0ES6_jNS0_17counting_iteratorIjlEEPS9_SE_NS0_5tupleIJPjSE_EEENSF_IJSE_SE_EEES9_SG_JZNS1_25segmented_radix_sort_implINS0_14default_configELb0EPKiPiPKlPlN2at6native12_GLOBAL__N_18offset_tEEE10hipError_tPvRmT1_PNSt15iterator_traitsISY_E10value_typeET2_T3_PNSZ_IS14_E10value_typeET4_jRbjT5_S1A_jjP12ihipStream_tbEUljE_EEESV_SW_SX_S14_S18_S1A_T6_T7_T9_mT8_S1C_bDpT10_ENKUlT_T0_E_clISt17integral_constantIbLb0EES1P_EEDaS1K_S1L_EUlS1K_E_NS1_11comp_targetILNS1_3genE10ELNS1_11target_archE1200ELNS1_3gpuE4ELNS1_3repE0EEENS1_30default_config_static_selectorELNS0_4arch9wavefront6targetE0EEEvSY_
; %bb.0:
	.section	.rodata,"a",@progbits
	.p2align	6, 0x0
	.amdhsa_kernel _ZN7rocprim17ROCPRIM_400000_NS6detail17trampoline_kernelINS0_13select_configILj256ELj13ELNS0_17block_load_methodE3ELS4_3ELS4_3ELNS0_20block_scan_algorithmE0ELj4294967295EEENS1_25partition_config_selectorILNS1_17partition_subalgoE3EjNS0_10empty_typeEbEEZZNS1_14partition_implILS8_3ELb0ES6_jNS0_17counting_iteratorIjlEEPS9_SE_NS0_5tupleIJPjSE_EEENSF_IJSE_SE_EEES9_SG_JZNS1_25segmented_radix_sort_implINS0_14default_configELb0EPKiPiPKlPlN2at6native12_GLOBAL__N_18offset_tEEE10hipError_tPvRmT1_PNSt15iterator_traitsISY_E10value_typeET2_T3_PNSZ_IS14_E10value_typeET4_jRbjT5_S1A_jjP12ihipStream_tbEUljE_EEESV_SW_SX_S14_S18_S1A_T6_T7_T9_mT8_S1C_bDpT10_ENKUlT_T0_E_clISt17integral_constantIbLb0EES1P_EEDaS1K_S1L_EUlS1K_E_NS1_11comp_targetILNS1_3genE10ELNS1_11target_archE1200ELNS1_3gpuE4ELNS1_3repE0EEENS1_30default_config_static_selectorELNS0_4arch9wavefront6targetE0EEEvSY_
		.amdhsa_group_segment_fixed_size 0
		.amdhsa_private_segment_fixed_size 0
		.amdhsa_kernarg_size 144
		.amdhsa_user_sgpr_count 2
		.amdhsa_user_sgpr_dispatch_ptr 0
		.amdhsa_user_sgpr_queue_ptr 0
		.amdhsa_user_sgpr_kernarg_segment_ptr 1
		.amdhsa_user_sgpr_dispatch_id 0
		.amdhsa_user_sgpr_kernarg_preload_length 0
		.amdhsa_user_sgpr_kernarg_preload_offset 0
		.amdhsa_user_sgpr_private_segment_size 0
		.amdhsa_wavefront_size32 1
		.amdhsa_uses_dynamic_stack 0
		.amdhsa_enable_private_segment 0
		.amdhsa_system_sgpr_workgroup_id_x 1
		.amdhsa_system_sgpr_workgroup_id_y 0
		.amdhsa_system_sgpr_workgroup_id_z 0
		.amdhsa_system_sgpr_workgroup_info 0
		.amdhsa_system_vgpr_workitem_id 0
		.amdhsa_next_free_vgpr 1
		.amdhsa_next_free_sgpr 1
		.amdhsa_named_barrier_count 0
		.amdhsa_reserve_vcc 0
		.amdhsa_float_round_mode_32 0
		.amdhsa_float_round_mode_16_64 0
		.amdhsa_float_denorm_mode_32 3
		.amdhsa_float_denorm_mode_16_64 3
		.amdhsa_fp16_overflow 0
		.amdhsa_memory_ordered 1
		.amdhsa_forward_progress 1
		.amdhsa_inst_pref_size 0
		.amdhsa_round_robin_scheduling 0
		.amdhsa_exception_fp_ieee_invalid_op 0
		.amdhsa_exception_fp_denorm_src 0
		.amdhsa_exception_fp_ieee_div_zero 0
		.amdhsa_exception_fp_ieee_overflow 0
		.amdhsa_exception_fp_ieee_underflow 0
		.amdhsa_exception_fp_ieee_inexact 0
		.amdhsa_exception_int_div_zero 0
	.end_amdhsa_kernel
	.section	.text._ZN7rocprim17ROCPRIM_400000_NS6detail17trampoline_kernelINS0_13select_configILj256ELj13ELNS0_17block_load_methodE3ELS4_3ELS4_3ELNS0_20block_scan_algorithmE0ELj4294967295EEENS1_25partition_config_selectorILNS1_17partition_subalgoE3EjNS0_10empty_typeEbEEZZNS1_14partition_implILS8_3ELb0ES6_jNS0_17counting_iteratorIjlEEPS9_SE_NS0_5tupleIJPjSE_EEENSF_IJSE_SE_EEES9_SG_JZNS1_25segmented_radix_sort_implINS0_14default_configELb0EPKiPiPKlPlN2at6native12_GLOBAL__N_18offset_tEEE10hipError_tPvRmT1_PNSt15iterator_traitsISY_E10value_typeET2_T3_PNSZ_IS14_E10value_typeET4_jRbjT5_S1A_jjP12ihipStream_tbEUljE_EEESV_SW_SX_S14_S18_S1A_T6_T7_T9_mT8_S1C_bDpT10_ENKUlT_T0_E_clISt17integral_constantIbLb0EES1P_EEDaS1K_S1L_EUlS1K_E_NS1_11comp_targetILNS1_3genE10ELNS1_11target_archE1200ELNS1_3gpuE4ELNS1_3repE0EEENS1_30default_config_static_selectorELNS0_4arch9wavefront6targetE0EEEvSY_,"axG",@progbits,_ZN7rocprim17ROCPRIM_400000_NS6detail17trampoline_kernelINS0_13select_configILj256ELj13ELNS0_17block_load_methodE3ELS4_3ELS4_3ELNS0_20block_scan_algorithmE0ELj4294967295EEENS1_25partition_config_selectorILNS1_17partition_subalgoE3EjNS0_10empty_typeEbEEZZNS1_14partition_implILS8_3ELb0ES6_jNS0_17counting_iteratorIjlEEPS9_SE_NS0_5tupleIJPjSE_EEENSF_IJSE_SE_EEES9_SG_JZNS1_25segmented_radix_sort_implINS0_14default_configELb0EPKiPiPKlPlN2at6native12_GLOBAL__N_18offset_tEEE10hipError_tPvRmT1_PNSt15iterator_traitsISY_E10value_typeET2_T3_PNSZ_IS14_E10value_typeET4_jRbjT5_S1A_jjP12ihipStream_tbEUljE_EEESV_SW_SX_S14_S18_S1A_T6_T7_T9_mT8_S1C_bDpT10_ENKUlT_T0_E_clISt17integral_constantIbLb0EES1P_EEDaS1K_S1L_EUlS1K_E_NS1_11comp_targetILNS1_3genE10ELNS1_11target_archE1200ELNS1_3gpuE4ELNS1_3repE0EEENS1_30default_config_static_selectorELNS0_4arch9wavefront6targetE0EEEvSY_,comdat
.Lfunc_end569:
	.size	_ZN7rocprim17ROCPRIM_400000_NS6detail17trampoline_kernelINS0_13select_configILj256ELj13ELNS0_17block_load_methodE3ELS4_3ELS4_3ELNS0_20block_scan_algorithmE0ELj4294967295EEENS1_25partition_config_selectorILNS1_17partition_subalgoE3EjNS0_10empty_typeEbEEZZNS1_14partition_implILS8_3ELb0ES6_jNS0_17counting_iteratorIjlEEPS9_SE_NS0_5tupleIJPjSE_EEENSF_IJSE_SE_EEES9_SG_JZNS1_25segmented_radix_sort_implINS0_14default_configELb0EPKiPiPKlPlN2at6native12_GLOBAL__N_18offset_tEEE10hipError_tPvRmT1_PNSt15iterator_traitsISY_E10value_typeET2_T3_PNSZ_IS14_E10value_typeET4_jRbjT5_S1A_jjP12ihipStream_tbEUljE_EEESV_SW_SX_S14_S18_S1A_T6_T7_T9_mT8_S1C_bDpT10_ENKUlT_T0_E_clISt17integral_constantIbLb0EES1P_EEDaS1K_S1L_EUlS1K_E_NS1_11comp_targetILNS1_3genE10ELNS1_11target_archE1200ELNS1_3gpuE4ELNS1_3repE0EEENS1_30default_config_static_selectorELNS0_4arch9wavefront6targetE0EEEvSY_, .Lfunc_end569-_ZN7rocprim17ROCPRIM_400000_NS6detail17trampoline_kernelINS0_13select_configILj256ELj13ELNS0_17block_load_methodE3ELS4_3ELS4_3ELNS0_20block_scan_algorithmE0ELj4294967295EEENS1_25partition_config_selectorILNS1_17partition_subalgoE3EjNS0_10empty_typeEbEEZZNS1_14partition_implILS8_3ELb0ES6_jNS0_17counting_iteratorIjlEEPS9_SE_NS0_5tupleIJPjSE_EEENSF_IJSE_SE_EEES9_SG_JZNS1_25segmented_radix_sort_implINS0_14default_configELb0EPKiPiPKlPlN2at6native12_GLOBAL__N_18offset_tEEE10hipError_tPvRmT1_PNSt15iterator_traitsISY_E10value_typeET2_T3_PNSZ_IS14_E10value_typeET4_jRbjT5_S1A_jjP12ihipStream_tbEUljE_EEESV_SW_SX_S14_S18_S1A_T6_T7_T9_mT8_S1C_bDpT10_ENKUlT_T0_E_clISt17integral_constantIbLb0EES1P_EEDaS1K_S1L_EUlS1K_E_NS1_11comp_targetILNS1_3genE10ELNS1_11target_archE1200ELNS1_3gpuE4ELNS1_3repE0EEENS1_30default_config_static_selectorELNS0_4arch9wavefront6targetE0EEEvSY_
                                        ; -- End function
	.set _ZN7rocprim17ROCPRIM_400000_NS6detail17trampoline_kernelINS0_13select_configILj256ELj13ELNS0_17block_load_methodE3ELS4_3ELS4_3ELNS0_20block_scan_algorithmE0ELj4294967295EEENS1_25partition_config_selectorILNS1_17partition_subalgoE3EjNS0_10empty_typeEbEEZZNS1_14partition_implILS8_3ELb0ES6_jNS0_17counting_iteratorIjlEEPS9_SE_NS0_5tupleIJPjSE_EEENSF_IJSE_SE_EEES9_SG_JZNS1_25segmented_radix_sort_implINS0_14default_configELb0EPKiPiPKlPlN2at6native12_GLOBAL__N_18offset_tEEE10hipError_tPvRmT1_PNSt15iterator_traitsISY_E10value_typeET2_T3_PNSZ_IS14_E10value_typeET4_jRbjT5_S1A_jjP12ihipStream_tbEUljE_EEESV_SW_SX_S14_S18_S1A_T6_T7_T9_mT8_S1C_bDpT10_ENKUlT_T0_E_clISt17integral_constantIbLb0EES1P_EEDaS1K_S1L_EUlS1K_E_NS1_11comp_targetILNS1_3genE10ELNS1_11target_archE1200ELNS1_3gpuE4ELNS1_3repE0EEENS1_30default_config_static_selectorELNS0_4arch9wavefront6targetE0EEEvSY_.num_vgpr, 0
	.set _ZN7rocprim17ROCPRIM_400000_NS6detail17trampoline_kernelINS0_13select_configILj256ELj13ELNS0_17block_load_methodE3ELS4_3ELS4_3ELNS0_20block_scan_algorithmE0ELj4294967295EEENS1_25partition_config_selectorILNS1_17partition_subalgoE3EjNS0_10empty_typeEbEEZZNS1_14partition_implILS8_3ELb0ES6_jNS0_17counting_iteratorIjlEEPS9_SE_NS0_5tupleIJPjSE_EEENSF_IJSE_SE_EEES9_SG_JZNS1_25segmented_radix_sort_implINS0_14default_configELb0EPKiPiPKlPlN2at6native12_GLOBAL__N_18offset_tEEE10hipError_tPvRmT1_PNSt15iterator_traitsISY_E10value_typeET2_T3_PNSZ_IS14_E10value_typeET4_jRbjT5_S1A_jjP12ihipStream_tbEUljE_EEESV_SW_SX_S14_S18_S1A_T6_T7_T9_mT8_S1C_bDpT10_ENKUlT_T0_E_clISt17integral_constantIbLb0EES1P_EEDaS1K_S1L_EUlS1K_E_NS1_11comp_targetILNS1_3genE10ELNS1_11target_archE1200ELNS1_3gpuE4ELNS1_3repE0EEENS1_30default_config_static_selectorELNS0_4arch9wavefront6targetE0EEEvSY_.num_agpr, 0
	.set _ZN7rocprim17ROCPRIM_400000_NS6detail17trampoline_kernelINS0_13select_configILj256ELj13ELNS0_17block_load_methodE3ELS4_3ELS4_3ELNS0_20block_scan_algorithmE0ELj4294967295EEENS1_25partition_config_selectorILNS1_17partition_subalgoE3EjNS0_10empty_typeEbEEZZNS1_14partition_implILS8_3ELb0ES6_jNS0_17counting_iteratorIjlEEPS9_SE_NS0_5tupleIJPjSE_EEENSF_IJSE_SE_EEES9_SG_JZNS1_25segmented_radix_sort_implINS0_14default_configELb0EPKiPiPKlPlN2at6native12_GLOBAL__N_18offset_tEEE10hipError_tPvRmT1_PNSt15iterator_traitsISY_E10value_typeET2_T3_PNSZ_IS14_E10value_typeET4_jRbjT5_S1A_jjP12ihipStream_tbEUljE_EEESV_SW_SX_S14_S18_S1A_T6_T7_T9_mT8_S1C_bDpT10_ENKUlT_T0_E_clISt17integral_constantIbLb0EES1P_EEDaS1K_S1L_EUlS1K_E_NS1_11comp_targetILNS1_3genE10ELNS1_11target_archE1200ELNS1_3gpuE4ELNS1_3repE0EEENS1_30default_config_static_selectorELNS0_4arch9wavefront6targetE0EEEvSY_.numbered_sgpr, 0
	.set _ZN7rocprim17ROCPRIM_400000_NS6detail17trampoline_kernelINS0_13select_configILj256ELj13ELNS0_17block_load_methodE3ELS4_3ELS4_3ELNS0_20block_scan_algorithmE0ELj4294967295EEENS1_25partition_config_selectorILNS1_17partition_subalgoE3EjNS0_10empty_typeEbEEZZNS1_14partition_implILS8_3ELb0ES6_jNS0_17counting_iteratorIjlEEPS9_SE_NS0_5tupleIJPjSE_EEENSF_IJSE_SE_EEES9_SG_JZNS1_25segmented_radix_sort_implINS0_14default_configELb0EPKiPiPKlPlN2at6native12_GLOBAL__N_18offset_tEEE10hipError_tPvRmT1_PNSt15iterator_traitsISY_E10value_typeET2_T3_PNSZ_IS14_E10value_typeET4_jRbjT5_S1A_jjP12ihipStream_tbEUljE_EEESV_SW_SX_S14_S18_S1A_T6_T7_T9_mT8_S1C_bDpT10_ENKUlT_T0_E_clISt17integral_constantIbLb0EES1P_EEDaS1K_S1L_EUlS1K_E_NS1_11comp_targetILNS1_3genE10ELNS1_11target_archE1200ELNS1_3gpuE4ELNS1_3repE0EEENS1_30default_config_static_selectorELNS0_4arch9wavefront6targetE0EEEvSY_.num_named_barrier, 0
	.set _ZN7rocprim17ROCPRIM_400000_NS6detail17trampoline_kernelINS0_13select_configILj256ELj13ELNS0_17block_load_methodE3ELS4_3ELS4_3ELNS0_20block_scan_algorithmE0ELj4294967295EEENS1_25partition_config_selectorILNS1_17partition_subalgoE3EjNS0_10empty_typeEbEEZZNS1_14partition_implILS8_3ELb0ES6_jNS0_17counting_iteratorIjlEEPS9_SE_NS0_5tupleIJPjSE_EEENSF_IJSE_SE_EEES9_SG_JZNS1_25segmented_radix_sort_implINS0_14default_configELb0EPKiPiPKlPlN2at6native12_GLOBAL__N_18offset_tEEE10hipError_tPvRmT1_PNSt15iterator_traitsISY_E10value_typeET2_T3_PNSZ_IS14_E10value_typeET4_jRbjT5_S1A_jjP12ihipStream_tbEUljE_EEESV_SW_SX_S14_S18_S1A_T6_T7_T9_mT8_S1C_bDpT10_ENKUlT_T0_E_clISt17integral_constantIbLb0EES1P_EEDaS1K_S1L_EUlS1K_E_NS1_11comp_targetILNS1_3genE10ELNS1_11target_archE1200ELNS1_3gpuE4ELNS1_3repE0EEENS1_30default_config_static_selectorELNS0_4arch9wavefront6targetE0EEEvSY_.private_seg_size, 0
	.set _ZN7rocprim17ROCPRIM_400000_NS6detail17trampoline_kernelINS0_13select_configILj256ELj13ELNS0_17block_load_methodE3ELS4_3ELS4_3ELNS0_20block_scan_algorithmE0ELj4294967295EEENS1_25partition_config_selectorILNS1_17partition_subalgoE3EjNS0_10empty_typeEbEEZZNS1_14partition_implILS8_3ELb0ES6_jNS0_17counting_iteratorIjlEEPS9_SE_NS0_5tupleIJPjSE_EEENSF_IJSE_SE_EEES9_SG_JZNS1_25segmented_radix_sort_implINS0_14default_configELb0EPKiPiPKlPlN2at6native12_GLOBAL__N_18offset_tEEE10hipError_tPvRmT1_PNSt15iterator_traitsISY_E10value_typeET2_T3_PNSZ_IS14_E10value_typeET4_jRbjT5_S1A_jjP12ihipStream_tbEUljE_EEESV_SW_SX_S14_S18_S1A_T6_T7_T9_mT8_S1C_bDpT10_ENKUlT_T0_E_clISt17integral_constantIbLb0EES1P_EEDaS1K_S1L_EUlS1K_E_NS1_11comp_targetILNS1_3genE10ELNS1_11target_archE1200ELNS1_3gpuE4ELNS1_3repE0EEENS1_30default_config_static_selectorELNS0_4arch9wavefront6targetE0EEEvSY_.uses_vcc, 0
	.set _ZN7rocprim17ROCPRIM_400000_NS6detail17trampoline_kernelINS0_13select_configILj256ELj13ELNS0_17block_load_methodE3ELS4_3ELS4_3ELNS0_20block_scan_algorithmE0ELj4294967295EEENS1_25partition_config_selectorILNS1_17partition_subalgoE3EjNS0_10empty_typeEbEEZZNS1_14partition_implILS8_3ELb0ES6_jNS0_17counting_iteratorIjlEEPS9_SE_NS0_5tupleIJPjSE_EEENSF_IJSE_SE_EEES9_SG_JZNS1_25segmented_radix_sort_implINS0_14default_configELb0EPKiPiPKlPlN2at6native12_GLOBAL__N_18offset_tEEE10hipError_tPvRmT1_PNSt15iterator_traitsISY_E10value_typeET2_T3_PNSZ_IS14_E10value_typeET4_jRbjT5_S1A_jjP12ihipStream_tbEUljE_EEESV_SW_SX_S14_S18_S1A_T6_T7_T9_mT8_S1C_bDpT10_ENKUlT_T0_E_clISt17integral_constantIbLb0EES1P_EEDaS1K_S1L_EUlS1K_E_NS1_11comp_targetILNS1_3genE10ELNS1_11target_archE1200ELNS1_3gpuE4ELNS1_3repE0EEENS1_30default_config_static_selectorELNS0_4arch9wavefront6targetE0EEEvSY_.uses_flat_scratch, 0
	.set _ZN7rocprim17ROCPRIM_400000_NS6detail17trampoline_kernelINS0_13select_configILj256ELj13ELNS0_17block_load_methodE3ELS4_3ELS4_3ELNS0_20block_scan_algorithmE0ELj4294967295EEENS1_25partition_config_selectorILNS1_17partition_subalgoE3EjNS0_10empty_typeEbEEZZNS1_14partition_implILS8_3ELb0ES6_jNS0_17counting_iteratorIjlEEPS9_SE_NS0_5tupleIJPjSE_EEENSF_IJSE_SE_EEES9_SG_JZNS1_25segmented_radix_sort_implINS0_14default_configELb0EPKiPiPKlPlN2at6native12_GLOBAL__N_18offset_tEEE10hipError_tPvRmT1_PNSt15iterator_traitsISY_E10value_typeET2_T3_PNSZ_IS14_E10value_typeET4_jRbjT5_S1A_jjP12ihipStream_tbEUljE_EEESV_SW_SX_S14_S18_S1A_T6_T7_T9_mT8_S1C_bDpT10_ENKUlT_T0_E_clISt17integral_constantIbLb0EES1P_EEDaS1K_S1L_EUlS1K_E_NS1_11comp_targetILNS1_3genE10ELNS1_11target_archE1200ELNS1_3gpuE4ELNS1_3repE0EEENS1_30default_config_static_selectorELNS0_4arch9wavefront6targetE0EEEvSY_.has_dyn_sized_stack, 0
	.set _ZN7rocprim17ROCPRIM_400000_NS6detail17trampoline_kernelINS0_13select_configILj256ELj13ELNS0_17block_load_methodE3ELS4_3ELS4_3ELNS0_20block_scan_algorithmE0ELj4294967295EEENS1_25partition_config_selectorILNS1_17partition_subalgoE3EjNS0_10empty_typeEbEEZZNS1_14partition_implILS8_3ELb0ES6_jNS0_17counting_iteratorIjlEEPS9_SE_NS0_5tupleIJPjSE_EEENSF_IJSE_SE_EEES9_SG_JZNS1_25segmented_radix_sort_implINS0_14default_configELb0EPKiPiPKlPlN2at6native12_GLOBAL__N_18offset_tEEE10hipError_tPvRmT1_PNSt15iterator_traitsISY_E10value_typeET2_T3_PNSZ_IS14_E10value_typeET4_jRbjT5_S1A_jjP12ihipStream_tbEUljE_EEESV_SW_SX_S14_S18_S1A_T6_T7_T9_mT8_S1C_bDpT10_ENKUlT_T0_E_clISt17integral_constantIbLb0EES1P_EEDaS1K_S1L_EUlS1K_E_NS1_11comp_targetILNS1_3genE10ELNS1_11target_archE1200ELNS1_3gpuE4ELNS1_3repE0EEENS1_30default_config_static_selectorELNS0_4arch9wavefront6targetE0EEEvSY_.has_recursion, 0
	.set _ZN7rocprim17ROCPRIM_400000_NS6detail17trampoline_kernelINS0_13select_configILj256ELj13ELNS0_17block_load_methodE3ELS4_3ELS4_3ELNS0_20block_scan_algorithmE0ELj4294967295EEENS1_25partition_config_selectorILNS1_17partition_subalgoE3EjNS0_10empty_typeEbEEZZNS1_14partition_implILS8_3ELb0ES6_jNS0_17counting_iteratorIjlEEPS9_SE_NS0_5tupleIJPjSE_EEENSF_IJSE_SE_EEES9_SG_JZNS1_25segmented_radix_sort_implINS0_14default_configELb0EPKiPiPKlPlN2at6native12_GLOBAL__N_18offset_tEEE10hipError_tPvRmT1_PNSt15iterator_traitsISY_E10value_typeET2_T3_PNSZ_IS14_E10value_typeET4_jRbjT5_S1A_jjP12ihipStream_tbEUljE_EEESV_SW_SX_S14_S18_S1A_T6_T7_T9_mT8_S1C_bDpT10_ENKUlT_T0_E_clISt17integral_constantIbLb0EES1P_EEDaS1K_S1L_EUlS1K_E_NS1_11comp_targetILNS1_3genE10ELNS1_11target_archE1200ELNS1_3gpuE4ELNS1_3repE0EEENS1_30default_config_static_selectorELNS0_4arch9wavefront6targetE0EEEvSY_.has_indirect_call, 0
	.section	.AMDGPU.csdata,"",@progbits
; Kernel info:
; codeLenInByte = 0
; TotalNumSgprs: 0
; NumVgprs: 0
; ScratchSize: 0
; MemoryBound: 0
; FloatMode: 240
; IeeeMode: 1
; LDSByteSize: 0 bytes/workgroup (compile time only)
; SGPRBlocks: 0
; VGPRBlocks: 0
; NumSGPRsForWavesPerEU: 1
; NumVGPRsForWavesPerEU: 1
; NamedBarCnt: 0
; Occupancy: 16
; WaveLimiterHint : 0
; COMPUTE_PGM_RSRC2:SCRATCH_EN: 0
; COMPUTE_PGM_RSRC2:USER_SGPR: 2
; COMPUTE_PGM_RSRC2:TRAP_HANDLER: 0
; COMPUTE_PGM_RSRC2:TGID_X_EN: 1
; COMPUTE_PGM_RSRC2:TGID_Y_EN: 0
; COMPUTE_PGM_RSRC2:TGID_Z_EN: 0
; COMPUTE_PGM_RSRC2:TIDIG_COMP_CNT: 0
	.section	.text._ZN7rocprim17ROCPRIM_400000_NS6detail17trampoline_kernelINS0_13select_configILj256ELj13ELNS0_17block_load_methodE3ELS4_3ELS4_3ELNS0_20block_scan_algorithmE0ELj4294967295EEENS1_25partition_config_selectorILNS1_17partition_subalgoE3EjNS0_10empty_typeEbEEZZNS1_14partition_implILS8_3ELb0ES6_jNS0_17counting_iteratorIjlEEPS9_SE_NS0_5tupleIJPjSE_EEENSF_IJSE_SE_EEES9_SG_JZNS1_25segmented_radix_sort_implINS0_14default_configELb0EPKiPiPKlPlN2at6native12_GLOBAL__N_18offset_tEEE10hipError_tPvRmT1_PNSt15iterator_traitsISY_E10value_typeET2_T3_PNSZ_IS14_E10value_typeET4_jRbjT5_S1A_jjP12ihipStream_tbEUljE_EEESV_SW_SX_S14_S18_S1A_T6_T7_T9_mT8_S1C_bDpT10_ENKUlT_T0_E_clISt17integral_constantIbLb0EES1P_EEDaS1K_S1L_EUlS1K_E_NS1_11comp_targetILNS1_3genE9ELNS1_11target_archE1100ELNS1_3gpuE3ELNS1_3repE0EEENS1_30default_config_static_selectorELNS0_4arch9wavefront6targetE0EEEvSY_,"axG",@progbits,_ZN7rocprim17ROCPRIM_400000_NS6detail17trampoline_kernelINS0_13select_configILj256ELj13ELNS0_17block_load_methodE3ELS4_3ELS4_3ELNS0_20block_scan_algorithmE0ELj4294967295EEENS1_25partition_config_selectorILNS1_17partition_subalgoE3EjNS0_10empty_typeEbEEZZNS1_14partition_implILS8_3ELb0ES6_jNS0_17counting_iteratorIjlEEPS9_SE_NS0_5tupleIJPjSE_EEENSF_IJSE_SE_EEES9_SG_JZNS1_25segmented_radix_sort_implINS0_14default_configELb0EPKiPiPKlPlN2at6native12_GLOBAL__N_18offset_tEEE10hipError_tPvRmT1_PNSt15iterator_traitsISY_E10value_typeET2_T3_PNSZ_IS14_E10value_typeET4_jRbjT5_S1A_jjP12ihipStream_tbEUljE_EEESV_SW_SX_S14_S18_S1A_T6_T7_T9_mT8_S1C_bDpT10_ENKUlT_T0_E_clISt17integral_constantIbLb0EES1P_EEDaS1K_S1L_EUlS1K_E_NS1_11comp_targetILNS1_3genE9ELNS1_11target_archE1100ELNS1_3gpuE3ELNS1_3repE0EEENS1_30default_config_static_selectorELNS0_4arch9wavefront6targetE0EEEvSY_,comdat
	.globl	_ZN7rocprim17ROCPRIM_400000_NS6detail17trampoline_kernelINS0_13select_configILj256ELj13ELNS0_17block_load_methodE3ELS4_3ELS4_3ELNS0_20block_scan_algorithmE0ELj4294967295EEENS1_25partition_config_selectorILNS1_17partition_subalgoE3EjNS0_10empty_typeEbEEZZNS1_14partition_implILS8_3ELb0ES6_jNS0_17counting_iteratorIjlEEPS9_SE_NS0_5tupleIJPjSE_EEENSF_IJSE_SE_EEES9_SG_JZNS1_25segmented_radix_sort_implINS0_14default_configELb0EPKiPiPKlPlN2at6native12_GLOBAL__N_18offset_tEEE10hipError_tPvRmT1_PNSt15iterator_traitsISY_E10value_typeET2_T3_PNSZ_IS14_E10value_typeET4_jRbjT5_S1A_jjP12ihipStream_tbEUljE_EEESV_SW_SX_S14_S18_S1A_T6_T7_T9_mT8_S1C_bDpT10_ENKUlT_T0_E_clISt17integral_constantIbLb0EES1P_EEDaS1K_S1L_EUlS1K_E_NS1_11comp_targetILNS1_3genE9ELNS1_11target_archE1100ELNS1_3gpuE3ELNS1_3repE0EEENS1_30default_config_static_selectorELNS0_4arch9wavefront6targetE0EEEvSY_ ; -- Begin function _ZN7rocprim17ROCPRIM_400000_NS6detail17trampoline_kernelINS0_13select_configILj256ELj13ELNS0_17block_load_methodE3ELS4_3ELS4_3ELNS0_20block_scan_algorithmE0ELj4294967295EEENS1_25partition_config_selectorILNS1_17partition_subalgoE3EjNS0_10empty_typeEbEEZZNS1_14partition_implILS8_3ELb0ES6_jNS0_17counting_iteratorIjlEEPS9_SE_NS0_5tupleIJPjSE_EEENSF_IJSE_SE_EEES9_SG_JZNS1_25segmented_radix_sort_implINS0_14default_configELb0EPKiPiPKlPlN2at6native12_GLOBAL__N_18offset_tEEE10hipError_tPvRmT1_PNSt15iterator_traitsISY_E10value_typeET2_T3_PNSZ_IS14_E10value_typeET4_jRbjT5_S1A_jjP12ihipStream_tbEUljE_EEESV_SW_SX_S14_S18_S1A_T6_T7_T9_mT8_S1C_bDpT10_ENKUlT_T0_E_clISt17integral_constantIbLb0EES1P_EEDaS1K_S1L_EUlS1K_E_NS1_11comp_targetILNS1_3genE9ELNS1_11target_archE1100ELNS1_3gpuE3ELNS1_3repE0EEENS1_30default_config_static_selectorELNS0_4arch9wavefront6targetE0EEEvSY_
	.p2align	8
	.type	_ZN7rocprim17ROCPRIM_400000_NS6detail17trampoline_kernelINS0_13select_configILj256ELj13ELNS0_17block_load_methodE3ELS4_3ELS4_3ELNS0_20block_scan_algorithmE0ELj4294967295EEENS1_25partition_config_selectorILNS1_17partition_subalgoE3EjNS0_10empty_typeEbEEZZNS1_14partition_implILS8_3ELb0ES6_jNS0_17counting_iteratorIjlEEPS9_SE_NS0_5tupleIJPjSE_EEENSF_IJSE_SE_EEES9_SG_JZNS1_25segmented_radix_sort_implINS0_14default_configELb0EPKiPiPKlPlN2at6native12_GLOBAL__N_18offset_tEEE10hipError_tPvRmT1_PNSt15iterator_traitsISY_E10value_typeET2_T3_PNSZ_IS14_E10value_typeET4_jRbjT5_S1A_jjP12ihipStream_tbEUljE_EEESV_SW_SX_S14_S18_S1A_T6_T7_T9_mT8_S1C_bDpT10_ENKUlT_T0_E_clISt17integral_constantIbLb0EES1P_EEDaS1K_S1L_EUlS1K_E_NS1_11comp_targetILNS1_3genE9ELNS1_11target_archE1100ELNS1_3gpuE3ELNS1_3repE0EEENS1_30default_config_static_selectorELNS0_4arch9wavefront6targetE0EEEvSY_,@function
_ZN7rocprim17ROCPRIM_400000_NS6detail17trampoline_kernelINS0_13select_configILj256ELj13ELNS0_17block_load_methodE3ELS4_3ELS4_3ELNS0_20block_scan_algorithmE0ELj4294967295EEENS1_25partition_config_selectorILNS1_17partition_subalgoE3EjNS0_10empty_typeEbEEZZNS1_14partition_implILS8_3ELb0ES6_jNS0_17counting_iteratorIjlEEPS9_SE_NS0_5tupleIJPjSE_EEENSF_IJSE_SE_EEES9_SG_JZNS1_25segmented_radix_sort_implINS0_14default_configELb0EPKiPiPKlPlN2at6native12_GLOBAL__N_18offset_tEEE10hipError_tPvRmT1_PNSt15iterator_traitsISY_E10value_typeET2_T3_PNSZ_IS14_E10value_typeET4_jRbjT5_S1A_jjP12ihipStream_tbEUljE_EEESV_SW_SX_S14_S18_S1A_T6_T7_T9_mT8_S1C_bDpT10_ENKUlT_T0_E_clISt17integral_constantIbLb0EES1P_EEDaS1K_S1L_EUlS1K_E_NS1_11comp_targetILNS1_3genE9ELNS1_11target_archE1100ELNS1_3gpuE3ELNS1_3repE0EEENS1_30default_config_static_selectorELNS0_4arch9wavefront6targetE0EEEvSY_: ; @_ZN7rocprim17ROCPRIM_400000_NS6detail17trampoline_kernelINS0_13select_configILj256ELj13ELNS0_17block_load_methodE3ELS4_3ELS4_3ELNS0_20block_scan_algorithmE0ELj4294967295EEENS1_25partition_config_selectorILNS1_17partition_subalgoE3EjNS0_10empty_typeEbEEZZNS1_14partition_implILS8_3ELb0ES6_jNS0_17counting_iteratorIjlEEPS9_SE_NS0_5tupleIJPjSE_EEENSF_IJSE_SE_EEES9_SG_JZNS1_25segmented_radix_sort_implINS0_14default_configELb0EPKiPiPKlPlN2at6native12_GLOBAL__N_18offset_tEEE10hipError_tPvRmT1_PNSt15iterator_traitsISY_E10value_typeET2_T3_PNSZ_IS14_E10value_typeET4_jRbjT5_S1A_jjP12ihipStream_tbEUljE_EEESV_SW_SX_S14_S18_S1A_T6_T7_T9_mT8_S1C_bDpT10_ENKUlT_T0_E_clISt17integral_constantIbLb0EES1P_EEDaS1K_S1L_EUlS1K_E_NS1_11comp_targetILNS1_3genE9ELNS1_11target_archE1100ELNS1_3gpuE3ELNS1_3repE0EEENS1_30default_config_static_selectorELNS0_4arch9wavefront6targetE0EEEvSY_
; %bb.0:
	.section	.rodata,"a",@progbits
	.p2align	6, 0x0
	.amdhsa_kernel _ZN7rocprim17ROCPRIM_400000_NS6detail17trampoline_kernelINS0_13select_configILj256ELj13ELNS0_17block_load_methodE3ELS4_3ELS4_3ELNS0_20block_scan_algorithmE0ELj4294967295EEENS1_25partition_config_selectorILNS1_17partition_subalgoE3EjNS0_10empty_typeEbEEZZNS1_14partition_implILS8_3ELb0ES6_jNS0_17counting_iteratorIjlEEPS9_SE_NS0_5tupleIJPjSE_EEENSF_IJSE_SE_EEES9_SG_JZNS1_25segmented_radix_sort_implINS0_14default_configELb0EPKiPiPKlPlN2at6native12_GLOBAL__N_18offset_tEEE10hipError_tPvRmT1_PNSt15iterator_traitsISY_E10value_typeET2_T3_PNSZ_IS14_E10value_typeET4_jRbjT5_S1A_jjP12ihipStream_tbEUljE_EEESV_SW_SX_S14_S18_S1A_T6_T7_T9_mT8_S1C_bDpT10_ENKUlT_T0_E_clISt17integral_constantIbLb0EES1P_EEDaS1K_S1L_EUlS1K_E_NS1_11comp_targetILNS1_3genE9ELNS1_11target_archE1100ELNS1_3gpuE3ELNS1_3repE0EEENS1_30default_config_static_selectorELNS0_4arch9wavefront6targetE0EEEvSY_
		.amdhsa_group_segment_fixed_size 0
		.amdhsa_private_segment_fixed_size 0
		.amdhsa_kernarg_size 144
		.amdhsa_user_sgpr_count 2
		.amdhsa_user_sgpr_dispatch_ptr 0
		.amdhsa_user_sgpr_queue_ptr 0
		.amdhsa_user_sgpr_kernarg_segment_ptr 1
		.amdhsa_user_sgpr_dispatch_id 0
		.amdhsa_user_sgpr_kernarg_preload_length 0
		.amdhsa_user_sgpr_kernarg_preload_offset 0
		.amdhsa_user_sgpr_private_segment_size 0
		.amdhsa_wavefront_size32 1
		.amdhsa_uses_dynamic_stack 0
		.amdhsa_enable_private_segment 0
		.amdhsa_system_sgpr_workgroup_id_x 1
		.amdhsa_system_sgpr_workgroup_id_y 0
		.amdhsa_system_sgpr_workgroup_id_z 0
		.amdhsa_system_sgpr_workgroup_info 0
		.amdhsa_system_vgpr_workitem_id 0
		.amdhsa_next_free_vgpr 1
		.amdhsa_next_free_sgpr 1
		.amdhsa_named_barrier_count 0
		.amdhsa_reserve_vcc 0
		.amdhsa_float_round_mode_32 0
		.amdhsa_float_round_mode_16_64 0
		.amdhsa_float_denorm_mode_32 3
		.amdhsa_float_denorm_mode_16_64 3
		.amdhsa_fp16_overflow 0
		.amdhsa_memory_ordered 1
		.amdhsa_forward_progress 1
		.amdhsa_inst_pref_size 0
		.amdhsa_round_robin_scheduling 0
		.amdhsa_exception_fp_ieee_invalid_op 0
		.amdhsa_exception_fp_denorm_src 0
		.amdhsa_exception_fp_ieee_div_zero 0
		.amdhsa_exception_fp_ieee_overflow 0
		.amdhsa_exception_fp_ieee_underflow 0
		.amdhsa_exception_fp_ieee_inexact 0
		.amdhsa_exception_int_div_zero 0
	.end_amdhsa_kernel
	.section	.text._ZN7rocprim17ROCPRIM_400000_NS6detail17trampoline_kernelINS0_13select_configILj256ELj13ELNS0_17block_load_methodE3ELS4_3ELS4_3ELNS0_20block_scan_algorithmE0ELj4294967295EEENS1_25partition_config_selectorILNS1_17partition_subalgoE3EjNS0_10empty_typeEbEEZZNS1_14partition_implILS8_3ELb0ES6_jNS0_17counting_iteratorIjlEEPS9_SE_NS0_5tupleIJPjSE_EEENSF_IJSE_SE_EEES9_SG_JZNS1_25segmented_radix_sort_implINS0_14default_configELb0EPKiPiPKlPlN2at6native12_GLOBAL__N_18offset_tEEE10hipError_tPvRmT1_PNSt15iterator_traitsISY_E10value_typeET2_T3_PNSZ_IS14_E10value_typeET4_jRbjT5_S1A_jjP12ihipStream_tbEUljE_EEESV_SW_SX_S14_S18_S1A_T6_T7_T9_mT8_S1C_bDpT10_ENKUlT_T0_E_clISt17integral_constantIbLb0EES1P_EEDaS1K_S1L_EUlS1K_E_NS1_11comp_targetILNS1_3genE9ELNS1_11target_archE1100ELNS1_3gpuE3ELNS1_3repE0EEENS1_30default_config_static_selectorELNS0_4arch9wavefront6targetE0EEEvSY_,"axG",@progbits,_ZN7rocprim17ROCPRIM_400000_NS6detail17trampoline_kernelINS0_13select_configILj256ELj13ELNS0_17block_load_methodE3ELS4_3ELS4_3ELNS0_20block_scan_algorithmE0ELj4294967295EEENS1_25partition_config_selectorILNS1_17partition_subalgoE3EjNS0_10empty_typeEbEEZZNS1_14partition_implILS8_3ELb0ES6_jNS0_17counting_iteratorIjlEEPS9_SE_NS0_5tupleIJPjSE_EEENSF_IJSE_SE_EEES9_SG_JZNS1_25segmented_radix_sort_implINS0_14default_configELb0EPKiPiPKlPlN2at6native12_GLOBAL__N_18offset_tEEE10hipError_tPvRmT1_PNSt15iterator_traitsISY_E10value_typeET2_T3_PNSZ_IS14_E10value_typeET4_jRbjT5_S1A_jjP12ihipStream_tbEUljE_EEESV_SW_SX_S14_S18_S1A_T6_T7_T9_mT8_S1C_bDpT10_ENKUlT_T0_E_clISt17integral_constantIbLb0EES1P_EEDaS1K_S1L_EUlS1K_E_NS1_11comp_targetILNS1_3genE9ELNS1_11target_archE1100ELNS1_3gpuE3ELNS1_3repE0EEENS1_30default_config_static_selectorELNS0_4arch9wavefront6targetE0EEEvSY_,comdat
.Lfunc_end570:
	.size	_ZN7rocprim17ROCPRIM_400000_NS6detail17trampoline_kernelINS0_13select_configILj256ELj13ELNS0_17block_load_methodE3ELS4_3ELS4_3ELNS0_20block_scan_algorithmE0ELj4294967295EEENS1_25partition_config_selectorILNS1_17partition_subalgoE3EjNS0_10empty_typeEbEEZZNS1_14partition_implILS8_3ELb0ES6_jNS0_17counting_iteratorIjlEEPS9_SE_NS0_5tupleIJPjSE_EEENSF_IJSE_SE_EEES9_SG_JZNS1_25segmented_radix_sort_implINS0_14default_configELb0EPKiPiPKlPlN2at6native12_GLOBAL__N_18offset_tEEE10hipError_tPvRmT1_PNSt15iterator_traitsISY_E10value_typeET2_T3_PNSZ_IS14_E10value_typeET4_jRbjT5_S1A_jjP12ihipStream_tbEUljE_EEESV_SW_SX_S14_S18_S1A_T6_T7_T9_mT8_S1C_bDpT10_ENKUlT_T0_E_clISt17integral_constantIbLb0EES1P_EEDaS1K_S1L_EUlS1K_E_NS1_11comp_targetILNS1_3genE9ELNS1_11target_archE1100ELNS1_3gpuE3ELNS1_3repE0EEENS1_30default_config_static_selectorELNS0_4arch9wavefront6targetE0EEEvSY_, .Lfunc_end570-_ZN7rocprim17ROCPRIM_400000_NS6detail17trampoline_kernelINS0_13select_configILj256ELj13ELNS0_17block_load_methodE3ELS4_3ELS4_3ELNS0_20block_scan_algorithmE0ELj4294967295EEENS1_25partition_config_selectorILNS1_17partition_subalgoE3EjNS0_10empty_typeEbEEZZNS1_14partition_implILS8_3ELb0ES6_jNS0_17counting_iteratorIjlEEPS9_SE_NS0_5tupleIJPjSE_EEENSF_IJSE_SE_EEES9_SG_JZNS1_25segmented_radix_sort_implINS0_14default_configELb0EPKiPiPKlPlN2at6native12_GLOBAL__N_18offset_tEEE10hipError_tPvRmT1_PNSt15iterator_traitsISY_E10value_typeET2_T3_PNSZ_IS14_E10value_typeET4_jRbjT5_S1A_jjP12ihipStream_tbEUljE_EEESV_SW_SX_S14_S18_S1A_T6_T7_T9_mT8_S1C_bDpT10_ENKUlT_T0_E_clISt17integral_constantIbLb0EES1P_EEDaS1K_S1L_EUlS1K_E_NS1_11comp_targetILNS1_3genE9ELNS1_11target_archE1100ELNS1_3gpuE3ELNS1_3repE0EEENS1_30default_config_static_selectorELNS0_4arch9wavefront6targetE0EEEvSY_
                                        ; -- End function
	.set _ZN7rocprim17ROCPRIM_400000_NS6detail17trampoline_kernelINS0_13select_configILj256ELj13ELNS0_17block_load_methodE3ELS4_3ELS4_3ELNS0_20block_scan_algorithmE0ELj4294967295EEENS1_25partition_config_selectorILNS1_17partition_subalgoE3EjNS0_10empty_typeEbEEZZNS1_14partition_implILS8_3ELb0ES6_jNS0_17counting_iteratorIjlEEPS9_SE_NS0_5tupleIJPjSE_EEENSF_IJSE_SE_EEES9_SG_JZNS1_25segmented_radix_sort_implINS0_14default_configELb0EPKiPiPKlPlN2at6native12_GLOBAL__N_18offset_tEEE10hipError_tPvRmT1_PNSt15iterator_traitsISY_E10value_typeET2_T3_PNSZ_IS14_E10value_typeET4_jRbjT5_S1A_jjP12ihipStream_tbEUljE_EEESV_SW_SX_S14_S18_S1A_T6_T7_T9_mT8_S1C_bDpT10_ENKUlT_T0_E_clISt17integral_constantIbLb0EES1P_EEDaS1K_S1L_EUlS1K_E_NS1_11comp_targetILNS1_3genE9ELNS1_11target_archE1100ELNS1_3gpuE3ELNS1_3repE0EEENS1_30default_config_static_selectorELNS0_4arch9wavefront6targetE0EEEvSY_.num_vgpr, 0
	.set _ZN7rocprim17ROCPRIM_400000_NS6detail17trampoline_kernelINS0_13select_configILj256ELj13ELNS0_17block_load_methodE3ELS4_3ELS4_3ELNS0_20block_scan_algorithmE0ELj4294967295EEENS1_25partition_config_selectorILNS1_17partition_subalgoE3EjNS0_10empty_typeEbEEZZNS1_14partition_implILS8_3ELb0ES6_jNS0_17counting_iteratorIjlEEPS9_SE_NS0_5tupleIJPjSE_EEENSF_IJSE_SE_EEES9_SG_JZNS1_25segmented_radix_sort_implINS0_14default_configELb0EPKiPiPKlPlN2at6native12_GLOBAL__N_18offset_tEEE10hipError_tPvRmT1_PNSt15iterator_traitsISY_E10value_typeET2_T3_PNSZ_IS14_E10value_typeET4_jRbjT5_S1A_jjP12ihipStream_tbEUljE_EEESV_SW_SX_S14_S18_S1A_T6_T7_T9_mT8_S1C_bDpT10_ENKUlT_T0_E_clISt17integral_constantIbLb0EES1P_EEDaS1K_S1L_EUlS1K_E_NS1_11comp_targetILNS1_3genE9ELNS1_11target_archE1100ELNS1_3gpuE3ELNS1_3repE0EEENS1_30default_config_static_selectorELNS0_4arch9wavefront6targetE0EEEvSY_.num_agpr, 0
	.set _ZN7rocprim17ROCPRIM_400000_NS6detail17trampoline_kernelINS0_13select_configILj256ELj13ELNS0_17block_load_methodE3ELS4_3ELS4_3ELNS0_20block_scan_algorithmE0ELj4294967295EEENS1_25partition_config_selectorILNS1_17partition_subalgoE3EjNS0_10empty_typeEbEEZZNS1_14partition_implILS8_3ELb0ES6_jNS0_17counting_iteratorIjlEEPS9_SE_NS0_5tupleIJPjSE_EEENSF_IJSE_SE_EEES9_SG_JZNS1_25segmented_radix_sort_implINS0_14default_configELb0EPKiPiPKlPlN2at6native12_GLOBAL__N_18offset_tEEE10hipError_tPvRmT1_PNSt15iterator_traitsISY_E10value_typeET2_T3_PNSZ_IS14_E10value_typeET4_jRbjT5_S1A_jjP12ihipStream_tbEUljE_EEESV_SW_SX_S14_S18_S1A_T6_T7_T9_mT8_S1C_bDpT10_ENKUlT_T0_E_clISt17integral_constantIbLb0EES1P_EEDaS1K_S1L_EUlS1K_E_NS1_11comp_targetILNS1_3genE9ELNS1_11target_archE1100ELNS1_3gpuE3ELNS1_3repE0EEENS1_30default_config_static_selectorELNS0_4arch9wavefront6targetE0EEEvSY_.numbered_sgpr, 0
	.set _ZN7rocprim17ROCPRIM_400000_NS6detail17trampoline_kernelINS0_13select_configILj256ELj13ELNS0_17block_load_methodE3ELS4_3ELS4_3ELNS0_20block_scan_algorithmE0ELj4294967295EEENS1_25partition_config_selectorILNS1_17partition_subalgoE3EjNS0_10empty_typeEbEEZZNS1_14partition_implILS8_3ELb0ES6_jNS0_17counting_iteratorIjlEEPS9_SE_NS0_5tupleIJPjSE_EEENSF_IJSE_SE_EEES9_SG_JZNS1_25segmented_radix_sort_implINS0_14default_configELb0EPKiPiPKlPlN2at6native12_GLOBAL__N_18offset_tEEE10hipError_tPvRmT1_PNSt15iterator_traitsISY_E10value_typeET2_T3_PNSZ_IS14_E10value_typeET4_jRbjT5_S1A_jjP12ihipStream_tbEUljE_EEESV_SW_SX_S14_S18_S1A_T6_T7_T9_mT8_S1C_bDpT10_ENKUlT_T0_E_clISt17integral_constantIbLb0EES1P_EEDaS1K_S1L_EUlS1K_E_NS1_11comp_targetILNS1_3genE9ELNS1_11target_archE1100ELNS1_3gpuE3ELNS1_3repE0EEENS1_30default_config_static_selectorELNS0_4arch9wavefront6targetE0EEEvSY_.num_named_barrier, 0
	.set _ZN7rocprim17ROCPRIM_400000_NS6detail17trampoline_kernelINS0_13select_configILj256ELj13ELNS0_17block_load_methodE3ELS4_3ELS4_3ELNS0_20block_scan_algorithmE0ELj4294967295EEENS1_25partition_config_selectorILNS1_17partition_subalgoE3EjNS0_10empty_typeEbEEZZNS1_14partition_implILS8_3ELb0ES6_jNS0_17counting_iteratorIjlEEPS9_SE_NS0_5tupleIJPjSE_EEENSF_IJSE_SE_EEES9_SG_JZNS1_25segmented_radix_sort_implINS0_14default_configELb0EPKiPiPKlPlN2at6native12_GLOBAL__N_18offset_tEEE10hipError_tPvRmT1_PNSt15iterator_traitsISY_E10value_typeET2_T3_PNSZ_IS14_E10value_typeET4_jRbjT5_S1A_jjP12ihipStream_tbEUljE_EEESV_SW_SX_S14_S18_S1A_T6_T7_T9_mT8_S1C_bDpT10_ENKUlT_T0_E_clISt17integral_constantIbLb0EES1P_EEDaS1K_S1L_EUlS1K_E_NS1_11comp_targetILNS1_3genE9ELNS1_11target_archE1100ELNS1_3gpuE3ELNS1_3repE0EEENS1_30default_config_static_selectorELNS0_4arch9wavefront6targetE0EEEvSY_.private_seg_size, 0
	.set _ZN7rocprim17ROCPRIM_400000_NS6detail17trampoline_kernelINS0_13select_configILj256ELj13ELNS0_17block_load_methodE3ELS4_3ELS4_3ELNS0_20block_scan_algorithmE0ELj4294967295EEENS1_25partition_config_selectorILNS1_17partition_subalgoE3EjNS0_10empty_typeEbEEZZNS1_14partition_implILS8_3ELb0ES6_jNS0_17counting_iteratorIjlEEPS9_SE_NS0_5tupleIJPjSE_EEENSF_IJSE_SE_EEES9_SG_JZNS1_25segmented_radix_sort_implINS0_14default_configELb0EPKiPiPKlPlN2at6native12_GLOBAL__N_18offset_tEEE10hipError_tPvRmT1_PNSt15iterator_traitsISY_E10value_typeET2_T3_PNSZ_IS14_E10value_typeET4_jRbjT5_S1A_jjP12ihipStream_tbEUljE_EEESV_SW_SX_S14_S18_S1A_T6_T7_T9_mT8_S1C_bDpT10_ENKUlT_T0_E_clISt17integral_constantIbLb0EES1P_EEDaS1K_S1L_EUlS1K_E_NS1_11comp_targetILNS1_3genE9ELNS1_11target_archE1100ELNS1_3gpuE3ELNS1_3repE0EEENS1_30default_config_static_selectorELNS0_4arch9wavefront6targetE0EEEvSY_.uses_vcc, 0
	.set _ZN7rocprim17ROCPRIM_400000_NS6detail17trampoline_kernelINS0_13select_configILj256ELj13ELNS0_17block_load_methodE3ELS4_3ELS4_3ELNS0_20block_scan_algorithmE0ELj4294967295EEENS1_25partition_config_selectorILNS1_17partition_subalgoE3EjNS0_10empty_typeEbEEZZNS1_14partition_implILS8_3ELb0ES6_jNS0_17counting_iteratorIjlEEPS9_SE_NS0_5tupleIJPjSE_EEENSF_IJSE_SE_EEES9_SG_JZNS1_25segmented_radix_sort_implINS0_14default_configELb0EPKiPiPKlPlN2at6native12_GLOBAL__N_18offset_tEEE10hipError_tPvRmT1_PNSt15iterator_traitsISY_E10value_typeET2_T3_PNSZ_IS14_E10value_typeET4_jRbjT5_S1A_jjP12ihipStream_tbEUljE_EEESV_SW_SX_S14_S18_S1A_T6_T7_T9_mT8_S1C_bDpT10_ENKUlT_T0_E_clISt17integral_constantIbLb0EES1P_EEDaS1K_S1L_EUlS1K_E_NS1_11comp_targetILNS1_3genE9ELNS1_11target_archE1100ELNS1_3gpuE3ELNS1_3repE0EEENS1_30default_config_static_selectorELNS0_4arch9wavefront6targetE0EEEvSY_.uses_flat_scratch, 0
	.set _ZN7rocprim17ROCPRIM_400000_NS6detail17trampoline_kernelINS0_13select_configILj256ELj13ELNS0_17block_load_methodE3ELS4_3ELS4_3ELNS0_20block_scan_algorithmE0ELj4294967295EEENS1_25partition_config_selectorILNS1_17partition_subalgoE3EjNS0_10empty_typeEbEEZZNS1_14partition_implILS8_3ELb0ES6_jNS0_17counting_iteratorIjlEEPS9_SE_NS0_5tupleIJPjSE_EEENSF_IJSE_SE_EEES9_SG_JZNS1_25segmented_radix_sort_implINS0_14default_configELb0EPKiPiPKlPlN2at6native12_GLOBAL__N_18offset_tEEE10hipError_tPvRmT1_PNSt15iterator_traitsISY_E10value_typeET2_T3_PNSZ_IS14_E10value_typeET4_jRbjT5_S1A_jjP12ihipStream_tbEUljE_EEESV_SW_SX_S14_S18_S1A_T6_T7_T9_mT8_S1C_bDpT10_ENKUlT_T0_E_clISt17integral_constantIbLb0EES1P_EEDaS1K_S1L_EUlS1K_E_NS1_11comp_targetILNS1_3genE9ELNS1_11target_archE1100ELNS1_3gpuE3ELNS1_3repE0EEENS1_30default_config_static_selectorELNS0_4arch9wavefront6targetE0EEEvSY_.has_dyn_sized_stack, 0
	.set _ZN7rocprim17ROCPRIM_400000_NS6detail17trampoline_kernelINS0_13select_configILj256ELj13ELNS0_17block_load_methodE3ELS4_3ELS4_3ELNS0_20block_scan_algorithmE0ELj4294967295EEENS1_25partition_config_selectorILNS1_17partition_subalgoE3EjNS0_10empty_typeEbEEZZNS1_14partition_implILS8_3ELb0ES6_jNS0_17counting_iteratorIjlEEPS9_SE_NS0_5tupleIJPjSE_EEENSF_IJSE_SE_EEES9_SG_JZNS1_25segmented_radix_sort_implINS0_14default_configELb0EPKiPiPKlPlN2at6native12_GLOBAL__N_18offset_tEEE10hipError_tPvRmT1_PNSt15iterator_traitsISY_E10value_typeET2_T3_PNSZ_IS14_E10value_typeET4_jRbjT5_S1A_jjP12ihipStream_tbEUljE_EEESV_SW_SX_S14_S18_S1A_T6_T7_T9_mT8_S1C_bDpT10_ENKUlT_T0_E_clISt17integral_constantIbLb0EES1P_EEDaS1K_S1L_EUlS1K_E_NS1_11comp_targetILNS1_3genE9ELNS1_11target_archE1100ELNS1_3gpuE3ELNS1_3repE0EEENS1_30default_config_static_selectorELNS0_4arch9wavefront6targetE0EEEvSY_.has_recursion, 0
	.set _ZN7rocprim17ROCPRIM_400000_NS6detail17trampoline_kernelINS0_13select_configILj256ELj13ELNS0_17block_load_methodE3ELS4_3ELS4_3ELNS0_20block_scan_algorithmE0ELj4294967295EEENS1_25partition_config_selectorILNS1_17partition_subalgoE3EjNS0_10empty_typeEbEEZZNS1_14partition_implILS8_3ELb0ES6_jNS0_17counting_iteratorIjlEEPS9_SE_NS0_5tupleIJPjSE_EEENSF_IJSE_SE_EEES9_SG_JZNS1_25segmented_radix_sort_implINS0_14default_configELb0EPKiPiPKlPlN2at6native12_GLOBAL__N_18offset_tEEE10hipError_tPvRmT1_PNSt15iterator_traitsISY_E10value_typeET2_T3_PNSZ_IS14_E10value_typeET4_jRbjT5_S1A_jjP12ihipStream_tbEUljE_EEESV_SW_SX_S14_S18_S1A_T6_T7_T9_mT8_S1C_bDpT10_ENKUlT_T0_E_clISt17integral_constantIbLb0EES1P_EEDaS1K_S1L_EUlS1K_E_NS1_11comp_targetILNS1_3genE9ELNS1_11target_archE1100ELNS1_3gpuE3ELNS1_3repE0EEENS1_30default_config_static_selectorELNS0_4arch9wavefront6targetE0EEEvSY_.has_indirect_call, 0
	.section	.AMDGPU.csdata,"",@progbits
; Kernel info:
; codeLenInByte = 0
; TotalNumSgprs: 0
; NumVgprs: 0
; ScratchSize: 0
; MemoryBound: 0
; FloatMode: 240
; IeeeMode: 1
; LDSByteSize: 0 bytes/workgroup (compile time only)
; SGPRBlocks: 0
; VGPRBlocks: 0
; NumSGPRsForWavesPerEU: 1
; NumVGPRsForWavesPerEU: 1
; NamedBarCnt: 0
; Occupancy: 16
; WaveLimiterHint : 0
; COMPUTE_PGM_RSRC2:SCRATCH_EN: 0
; COMPUTE_PGM_RSRC2:USER_SGPR: 2
; COMPUTE_PGM_RSRC2:TRAP_HANDLER: 0
; COMPUTE_PGM_RSRC2:TGID_X_EN: 1
; COMPUTE_PGM_RSRC2:TGID_Y_EN: 0
; COMPUTE_PGM_RSRC2:TGID_Z_EN: 0
; COMPUTE_PGM_RSRC2:TIDIG_COMP_CNT: 0
	.section	.text._ZN7rocprim17ROCPRIM_400000_NS6detail17trampoline_kernelINS0_13select_configILj256ELj13ELNS0_17block_load_methodE3ELS4_3ELS4_3ELNS0_20block_scan_algorithmE0ELj4294967295EEENS1_25partition_config_selectorILNS1_17partition_subalgoE3EjNS0_10empty_typeEbEEZZNS1_14partition_implILS8_3ELb0ES6_jNS0_17counting_iteratorIjlEEPS9_SE_NS0_5tupleIJPjSE_EEENSF_IJSE_SE_EEES9_SG_JZNS1_25segmented_radix_sort_implINS0_14default_configELb0EPKiPiPKlPlN2at6native12_GLOBAL__N_18offset_tEEE10hipError_tPvRmT1_PNSt15iterator_traitsISY_E10value_typeET2_T3_PNSZ_IS14_E10value_typeET4_jRbjT5_S1A_jjP12ihipStream_tbEUljE_EEESV_SW_SX_S14_S18_S1A_T6_T7_T9_mT8_S1C_bDpT10_ENKUlT_T0_E_clISt17integral_constantIbLb0EES1P_EEDaS1K_S1L_EUlS1K_E_NS1_11comp_targetILNS1_3genE8ELNS1_11target_archE1030ELNS1_3gpuE2ELNS1_3repE0EEENS1_30default_config_static_selectorELNS0_4arch9wavefront6targetE0EEEvSY_,"axG",@progbits,_ZN7rocprim17ROCPRIM_400000_NS6detail17trampoline_kernelINS0_13select_configILj256ELj13ELNS0_17block_load_methodE3ELS4_3ELS4_3ELNS0_20block_scan_algorithmE0ELj4294967295EEENS1_25partition_config_selectorILNS1_17partition_subalgoE3EjNS0_10empty_typeEbEEZZNS1_14partition_implILS8_3ELb0ES6_jNS0_17counting_iteratorIjlEEPS9_SE_NS0_5tupleIJPjSE_EEENSF_IJSE_SE_EEES9_SG_JZNS1_25segmented_radix_sort_implINS0_14default_configELb0EPKiPiPKlPlN2at6native12_GLOBAL__N_18offset_tEEE10hipError_tPvRmT1_PNSt15iterator_traitsISY_E10value_typeET2_T3_PNSZ_IS14_E10value_typeET4_jRbjT5_S1A_jjP12ihipStream_tbEUljE_EEESV_SW_SX_S14_S18_S1A_T6_T7_T9_mT8_S1C_bDpT10_ENKUlT_T0_E_clISt17integral_constantIbLb0EES1P_EEDaS1K_S1L_EUlS1K_E_NS1_11comp_targetILNS1_3genE8ELNS1_11target_archE1030ELNS1_3gpuE2ELNS1_3repE0EEENS1_30default_config_static_selectorELNS0_4arch9wavefront6targetE0EEEvSY_,comdat
	.globl	_ZN7rocprim17ROCPRIM_400000_NS6detail17trampoline_kernelINS0_13select_configILj256ELj13ELNS0_17block_load_methodE3ELS4_3ELS4_3ELNS0_20block_scan_algorithmE0ELj4294967295EEENS1_25partition_config_selectorILNS1_17partition_subalgoE3EjNS0_10empty_typeEbEEZZNS1_14partition_implILS8_3ELb0ES6_jNS0_17counting_iteratorIjlEEPS9_SE_NS0_5tupleIJPjSE_EEENSF_IJSE_SE_EEES9_SG_JZNS1_25segmented_radix_sort_implINS0_14default_configELb0EPKiPiPKlPlN2at6native12_GLOBAL__N_18offset_tEEE10hipError_tPvRmT1_PNSt15iterator_traitsISY_E10value_typeET2_T3_PNSZ_IS14_E10value_typeET4_jRbjT5_S1A_jjP12ihipStream_tbEUljE_EEESV_SW_SX_S14_S18_S1A_T6_T7_T9_mT8_S1C_bDpT10_ENKUlT_T0_E_clISt17integral_constantIbLb0EES1P_EEDaS1K_S1L_EUlS1K_E_NS1_11comp_targetILNS1_3genE8ELNS1_11target_archE1030ELNS1_3gpuE2ELNS1_3repE0EEENS1_30default_config_static_selectorELNS0_4arch9wavefront6targetE0EEEvSY_ ; -- Begin function _ZN7rocprim17ROCPRIM_400000_NS6detail17trampoline_kernelINS0_13select_configILj256ELj13ELNS0_17block_load_methodE3ELS4_3ELS4_3ELNS0_20block_scan_algorithmE0ELj4294967295EEENS1_25partition_config_selectorILNS1_17partition_subalgoE3EjNS0_10empty_typeEbEEZZNS1_14partition_implILS8_3ELb0ES6_jNS0_17counting_iteratorIjlEEPS9_SE_NS0_5tupleIJPjSE_EEENSF_IJSE_SE_EEES9_SG_JZNS1_25segmented_radix_sort_implINS0_14default_configELb0EPKiPiPKlPlN2at6native12_GLOBAL__N_18offset_tEEE10hipError_tPvRmT1_PNSt15iterator_traitsISY_E10value_typeET2_T3_PNSZ_IS14_E10value_typeET4_jRbjT5_S1A_jjP12ihipStream_tbEUljE_EEESV_SW_SX_S14_S18_S1A_T6_T7_T9_mT8_S1C_bDpT10_ENKUlT_T0_E_clISt17integral_constantIbLb0EES1P_EEDaS1K_S1L_EUlS1K_E_NS1_11comp_targetILNS1_3genE8ELNS1_11target_archE1030ELNS1_3gpuE2ELNS1_3repE0EEENS1_30default_config_static_selectorELNS0_4arch9wavefront6targetE0EEEvSY_
	.p2align	8
	.type	_ZN7rocprim17ROCPRIM_400000_NS6detail17trampoline_kernelINS0_13select_configILj256ELj13ELNS0_17block_load_methodE3ELS4_3ELS4_3ELNS0_20block_scan_algorithmE0ELj4294967295EEENS1_25partition_config_selectorILNS1_17partition_subalgoE3EjNS0_10empty_typeEbEEZZNS1_14partition_implILS8_3ELb0ES6_jNS0_17counting_iteratorIjlEEPS9_SE_NS0_5tupleIJPjSE_EEENSF_IJSE_SE_EEES9_SG_JZNS1_25segmented_radix_sort_implINS0_14default_configELb0EPKiPiPKlPlN2at6native12_GLOBAL__N_18offset_tEEE10hipError_tPvRmT1_PNSt15iterator_traitsISY_E10value_typeET2_T3_PNSZ_IS14_E10value_typeET4_jRbjT5_S1A_jjP12ihipStream_tbEUljE_EEESV_SW_SX_S14_S18_S1A_T6_T7_T9_mT8_S1C_bDpT10_ENKUlT_T0_E_clISt17integral_constantIbLb0EES1P_EEDaS1K_S1L_EUlS1K_E_NS1_11comp_targetILNS1_3genE8ELNS1_11target_archE1030ELNS1_3gpuE2ELNS1_3repE0EEENS1_30default_config_static_selectorELNS0_4arch9wavefront6targetE0EEEvSY_,@function
_ZN7rocprim17ROCPRIM_400000_NS6detail17trampoline_kernelINS0_13select_configILj256ELj13ELNS0_17block_load_methodE3ELS4_3ELS4_3ELNS0_20block_scan_algorithmE0ELj4294967295EEENS1_25partition_config_selectorILNS1_17partition_subalgoE3EjNS0_10empty_typeEbEEZZNS1_14partition_implILS8_3ELb0ES6_jNS0_17counting_iteratorIjlEEPS9_SE_NS0_5tupleIJPjSE_EEENSF_IJSE_SE_EEES9_SG_JZNS1_25segmented_radix_sort_implINS0_14default_configELb0EPKiPiPKlPlN2at6native12_GLOBAL__N_18offset_tEEE10hipError_tPvRmT1_PNSt15iterator_traitsISY_E10value_typeET2_T3_PNSZ_IS14_E10value_typeET4_jRbjT5_S1A_jjP12ihipStream_tbEUljE_EEESV_SW_SX_S14_S18_S1A_T6_T7_T9_mT8_S1C_bDpT10_ENKUlT_T0_E_clISt17integral_constantIbLb0EES1P_EEDaS1K_S1L_EUlS1K_E_NS1_11comp_targetILNS1_3genE8ELNS1_11target_archE1030ELNS1_3gpuE2ELNS1_3repE0EEENS1_30default_config_static_selectorELNS0_4arch9wavefront6targetE0EEEvSY_: ; @_ZN7rocprim17ROCPRIM_400000_NS6detail17trampoline_kernelINS0_13select_configILj256ELj13ELNS0_17block_load_methodE3ELS4_3ELS4_3ELNS0_20block_scan_algorithmE0ELj4294967295EEENS1_25partition_config_selectorILNS1_17partition_subalgoE3EjNS0_10empty_typeEbEEZZNS1_14partition_implILS8_3ELb0ES6_jNS0_17counting_iteratorIjlEEPS9_SE_NS0_5tupleIJPjSE_EEENSF_IJSE_SE_EEES9_SG_JZNS1_25segmented_radix_sort_implINS0_14default_configELb0EPKiPiPKlPlN2at6native12_GLOBAL__N_18offset_tEEE10hipError_tPvRmT1_PNSt15iterator_traitsISY_E10value_typeET2_T3_PNSZ_IS14_E10value_typeET4_jRbjT5_S1A_jjP12ihipStream_tbEUljE_EEESV_SW_SX_S14_S18_S1A_T6_T7_T9_mT8_S1C_bDpT10_ENKUlT_T0_E_clISt17integral_constantIbLb0EES1P_EEDaS1K_S1L_EUlS1K_E_NS1_11comp_targetILNS1_3genE8ELNS1_11target_archE1030ELNS1_3gpuE2ELNS1_3repE0EEENS1_30default_config_static_selectorELNS0_4arch9wavefront6targetE0EEEvSY_
; %bb.0:
	.section	.rodata,"a",@progbits
	.p2align	6, 0x0
	.amdhsa_kernel _ZN7rocprim17ROCPRIM_400000_NS6detail17trampoline_kernelINS0_13select_configILj256ELj13ELNS0_17block_load_methodE3ELS4_3ELS4_3ELNS0_20block_scan_algorithmE0ELj4294967295EEENS1_25partition_config_selectorILNS1_17partition_subalgoE3EjNS0_10empty_typeEbEEZZNS1_14partition_implILS8_3ELb0ES6_jNS0_17counting_iteratorIjlEEPS9_SE_NS0_5tupleIJPjSE_EEENSF_IJSE_SE_EEES9_SG_JZNS1_25segmented_radix_sort_implINS0_14default_configELb0EPKiPiPKlPlN2at6native12_GLOBAL__N_18offset_tEEE10hipError_tPvRmT1_PNSt15iterator_traitsISY_E10value_typeET2_T3_PNSZ_IS14_E10value_typeET4_jRbjT5_S1A_jjP12ihipStream_tbEUljE_EEESV_SW_SX_S14_S18_S1A_T6_T7_T9_mT8_S1C_bDpT10_ENKUlT_T0_E_clISt17integral_constantIbLb0EES1P_EEDaS1K_S1L_EUlS1K_E_NS1_11comp_targetILNS1_3genE8ELNS1_11target_archE1030ELNS1_3gpuE2ELNS1_3repE0EEENS1_30default_config_static_selectorELNS0_4arch9wavefront6targetE0EEEvSY_
		.amdhsa_group_segment_fixed_size 0
		.amdhsa_private_segment_fixed_size 0
		.amdhsa_kernarg_size 144
		.amdhsa_user_sgpr_count 2
		.amdhsa_user_sgpr_dispatch_ptr 0
		.amdhsa_user_sgpr_queue_ptr 0
		.amdhsa_user_sgpr_kernarg_segment_ptr 1
		.amdhsa_user_sgpr_dispatch_id 0
		.amdhsa_user_sgpr_kernarg_preload_length 0
		.amdhsa_user_sgpr_kernarg_preload_offset 0
		.amdhsa_user_sgpr_private_segment_size 0
		.amdhsa_wavefront_size32 1
		.amdhsa_uses_dynamic_stack 0
		.amdhsa_enable_private_segment 0
		.amdhsa_system_sgpr_workgroup_id_x 1
		.amdhsa_system_sgpr_workgroup_id_y 0
		.amdhsa_system_sgpr_workgroup_id_z 0
		.amdhsa_system_sgpr_workgroup_info 0
		.amdhsa_system_vgpr_workitem_id 0
		.amdhsa_next_free_vgpr 1
		.amdhsa_next_free_sgpr 1
		.amdhsa_named_barrier_count 0
		.amdhsa_reserve_vcc 0
		.amdhsa_float_round_mode_32 0
		.amdhsa_float_round_mode_16_64 0
		.amdhsa_float_denorm_mode_32 3
		.amdhsa_float_denorm_mode_16_64 3
		.amdhsa_fp16_overflow 0
		.amdhsa_memory_ordered 1
		.amdhsa_forward_progress 1
		.amdhsa_inst_pref_size 0
		.amdhsa_round_robin_scheduling 0
		.amdhsa_exception_fp_ieee_invalid_op 0
		.amdhsa_exception_fp_denorm_src 0
		.amdhsa_exception_fp_ieee_div_zero 0
		.amdhsa_exception_fp_ieee_overflow 0
		.amdhsa_exception_fp_ieee_underflow 0
		.amdhsa_exception_fp_ieee_inexact 0
		.amdhsa_exception_int_div_zero 0
	.end_amdhsa_kernel
	.section	.text._ZN7rocprim17ROCPRIM_400000_NS6detail17trampoline_kernelINS0_13select_configILj256ELj13ELNS0_17block_load_methodE3ELS4_3ELS4_3ELNS0_20block_scan_algorithmE0ELj4294967295EEENS1_25partition_config_selectorILNS1_17partition_subalgoE3EjNS0_10empty_typeEbEEZZNS1_14partition_implILS8_3ELb0ES6_jNS0_17counting_iteratorIjlEEPS9_SE_NS0_5tupleIJPjSE_EEENSF_IJSE_SE_EEES9_SG_JZNS1_25segmented_radix_sort_implINS0_14default_configELb0EPKiPiPKlPlN2at6native12_GLOBAL__N_18offset_tEEE10hipError_tPvRmT1_PNSt15iterator_traitsISY_E10value_typeET2_T3_PNSZ_IS14_E10value_typeET4_jRbjT5_S1A_jjP12ihipStream_tbEUljE_EEESV_SW_SX_S14_S18_S1A_T6_T7_T9_mT8_S1C_bDpT10_ENKUlT_T0_E_clISt17integral_constantIbLb0EES1P_EEDaS1K_S1L_EUlS1K_E_NS1_11comp_targetILNS1_3genE8ELNS1_11target_archE1030ELNS1_3gpuE2ELNS1_3repE0EEENS1_30default_config_static_selectorELNS0_4arch9wavefront6targetE0EEEvSY_,"axG",@progbits,_ZN7rocprim17ROCPRIM_400000_NS6detail17trampoline_kernelINS0_13select_configILj256ELj13ELNS0_17block_load_methodE3ELS4_3ELS4_3ELNS0_20block_scan_algorithmE0ELj4294967295EEENS1_25partition_config_selectorILNS1_17partition_subalgoE3EjNS0_10empty_typeEbEEZZNS1_14partition_implILS8_3ELb0ES6_jNS0_17counting_iteratorIjlEEPS9_SE_NS0_5tupleIJPjSE_EEENSF_IJSE_SE_EEES9_SG_JZNS1_25segmented_radix_sort_implINS0_14default_configELb0EPKiPiPKlPlN2at6native12_GLOBAL__N_18offset_tEEE10hipError_tPvRmT1_PNSt15iterator_traitsISY_E10value_typeET2_T3_PNSZ_IS14_E10value_typeET4_jRbjT5_S1A_jjP12ihipStream_tbEUljE_EEESV_SW_SX_S14_S18_S1A_T6_T7_T9_mT8_S1C_bDpT10_ENKUlT_T0_E_clISt17integral_constantIbLb0EES1P_EEDaS1K_S1L_EUlS1K_E_NS1_11comp_targetILNS1_3genE8ELNS1_11target_archE1030ELNS1_3gpuE2ELNS1_3repE0EEENS1_30default_config_static_selectorELNS0_4arch9wavefront6targetE0EEEvSY_,comdat
.Lfunc_end571:
	.size	_ZN7rocprim17ROCPRIM_400000_NS6detail17trampoline_kernelINS0_13select_configILj256ELj13ELNS0_17block_load_methodE3ELS4_3ELS4_3ELNS0_20block_scan_algorithmE0ELj4294967295EEENS1_25partition_config_selectorILNS1_17partition_subalgoE3EjNS0_10empty_typeEbEEZZNS1_14partition_implILS8_3ELb0ES6_jNS0_17counting_iteratorIjlEEPS9_SE_NS0_5tupleIJPjSE_EEENSF_IJSE_SE_EEES9_SG_JZNS1_25segmented_radix_sort_implINS0_14default_configELb0EPKiPiPKlPlN2at6native12_GLOBAL__N_18offset_tEEE10hipError_tPvRmT1_PNSt15iterator_traitsISY_E10value_typeET2_T3_PNSZ_IS14_E10value_typeET4_jRbjT5_S1A_jjP12ihipStream_tbEUljE_EEESV_SW_SX_S14_S18_S1A_T6_T7_T9_mT8_S1C_bDpT10_ENKUlT_T0_E_clISt17integral_constantIbLb0EES1P_EEDaS1K_S1L_EUlS1K_E_NS1_11comp_targetILNS1_3genE8ELNS1_11target_archE1030ELNS1_3gpuE2ELNS1_3repE0EEENS1_30default_config_static_selectorELNS0_4arch9wavefront6targetE0EEEvSY_, .Lfunc_end571-_ZN7rocprim17ROCPRIM_400000_NS6detail17trampoline_kernelINS0_13select_configILj256ELj13ELNS0_17block_load_methodE3ELS4_3ELS4_3ELNS0_20block_scan_algorithmE0ELj4294967295EEENS1_25partition_config_selectorILNS1_17partition_subalgoE3EjNS0_10empty_typeEbEEZZNS1_14partition_implILS8_3ELb0ES6_jNS0_17counting_iteratorIjlEEPS9_SE_NS0_5tupleIJPjSE_EEENSF_IJSE_SE_EEES9_SG_JZNS1_25segmented_radix_sort_implINS0_14default_configELb0EPKiPiPKlPlN2at6native12_GLOBAL__N_18offset_tEEE10hipError_tPvRmT1_PNSt15iterator_traitsISY_E10value_typeET2_T3_PNSZ_IS14_E10value_typeET4_jRbjT5_S1A_jjP12ihipStream_tbEUljE_EEESV_SW_SX_S14_S18_S1A_T6_T7_T9_mT8_S1C_bDpT10_ENKUlT_T0_E_clISt17integral_constantIbLb0EES1P_EEDaS1K_S1L_EUlS1K_E_NS1_11comp_targetILNS1_3genE8ELNS1_11target_archE1030ELNS1_3gpuE2ELNS1_3repE0EEENS1_30default_config_static_selectorELNS0_4arch9wavefront6targetE0EEEvSY_
                                        ; -- End function
	.set _ZN7rocprim17ROCPRIM_400000_NS6detail17trampoline_kernelINS0_13select_configILj256ELj13ELNS0_17block_load_methodE3ELS4_3ELS4_3ELNS0_20block_scan_algorithmE0ELj4294967295EEENS1_25partition_config_selectorILNS1_17partition_subalgoE3EjNS0_10empty_typeEbEEZZNS1_14partition_implILS8_3ELb0ES6_jNS0_17counting_iteratorIjlEEPS9_SE_NS0_5tupleIJPjSE_EEENSF_IJSE_SE_EEES9_SG_JZNS1_25segmented_radix_sort_implINS0_14default_configELb0EPKiPiPKlPlN2at6native12_GLOBAL__N_18offset_tEEE10hipError_tPvRmT1_PNSt15iterator_traitsISY_E10value_typeET2_T3_PNSZ_IS14_E10value_typeET4_jRbjT5_S1A_jjP12ihipStream_tbEUljE_EEESV_SW_SX_S14_S18_S1A_T6_T7_T9_mT8_S1C_bDpT10_ENKUlT_T0_E_clISt17integral_constantIbLb0EES1P_EEDaS1K_S1L_EUlS1K_E_NS1_11comp_targetILNS1_3genE8ELNS1_11target_archE1030ELNS1_3gpuE2ELNS1_3repE0EEENS1_30default_config_static_selectorELNS0_4arch9wavefront6targetE0EEEvSY_.num_vgpr, 0
	.set _ZN7rocprim17ROCPRIM_400000_NS6detail17trampoline_kernelINS0_13select_configILj256ELj13ELNS0_17block_load_methodE3ELS4_3ELS4_3ELNS0_20block_scan_algorithmE0ELj4294967295EEENS1_25partition_config_selectorILNS1_17partition_subalgoE3EjNS0_10empty_typeEbEEZZNS1_14partition_implILS8_3ELb0ES6_jNS0_17counting_iteratorIjlEEPS9_SE_NS0_5tupleIJPjSE_EEENSF_IJSE_SE_EEES9_SG_JZNS1_25segmented_radix_sort_implINS0_14default_configELb0EPKiPiPKlPlN2at6native12_GLOBAL__N_18offset_tEEE10hipError_tPvRmT1_PNSt15iterator_traitsISY_E10value_typeET2_T3_PNSZ_IS14_E10value_typeET4_jRbjT5_S1A_jjP12ihipStream_tbEUljE_EEESV_SW_SX_S14_S18_S1A_T6_T7_T9_mT8_S1C_bDpT10_ENKUlT_T0_E_clISt17integral_constantIbLb0EES1P_EEDaS1K_S1L_EUlS1K_E_NS1_11comp_targetILNS1_3genE8ELNS1_11target_archE1030ELNS1_3gpuE2ELNS1_3repE0EEENS1_30default_config_static_selectorELNS0_4arch9wavefront6targetE0EEEvSY_.num_agpr, 0
	.set _ZN7rocprim17ROCPRIM_400000_NS6detail17trampoline_kernelINS0_13select_configILj256ELj13ELNS0_17block_load_methodE3ELS4_3ELS4_3ELNS0_20block_scan_algorithmE0ELj4294967295EEENS1_25partition_config_selectorILNS1_17partition_subalgoE3EjNS0_10empty_typeEbEEZZNS1_14partition_implILS8_3ELb0ES6_jNS0_17counting_iteratorIjlEEPS9_SE_NS0_5tupleIJPjSE_EEENSF_IJSE_SE_EEES9_SG_JZNS1_25segmented_radix_sort_implINS0_14default_configELb0EPKiPiPKlPlN2at6native12_GLOBAL__N_18offset_tEEE10hipError_tPvRmT1_PNSt15iterator_traitsISY_E10value_typeET2_T3_PNSZ_IS14_E10value_typeET4_jRbjT5_S1A_jjP12ihipStream_tbEUljE_EEESV_SW_SX_S14_S18_S1A_T6_T7_T9_mT8_S1C_bDpT10_ENKUlT_T0_E_clISt17integral_constantIbLb0EES1P_EEDaS1K_S1L_EUlS1K_E_NS1_11comp_targetILNS1_3genE8ELNS1_11target_archE1030ELNS1_3gpuE2ELNS1_3repE0EEENS1_30default_config_static_selectorELNS0_4arch9wavefront6targetE0EEEvSY_.numbered_sgpr, 0
	.set _ZN7rocprim17ROCPRIM_400000_NS6detail17trampoline_kernelINS0_13select_configILj256ELj13ELNS0_17block_load_methodE3ELS4_3ELS4_3ELNS0_20block_scan_algorithmE0ELj4294967295EEENS1_25partition_config_selectorILNS1_17partition_subalgoE3EjNS0_10empty_typeEbEEZZNS1_14partition_implILS8_3ELb0ES6_jNS0_17counting_iteratorIjlEEPS9_SE_NS0_5tupleIJPjSE_EEENSF_IJSE_SE_EEES9_SG_JZNS1_25segmented_radix_sort_implINS0_14default_configELb0EPKiPiPKlPlN2at6native12_GLOBAL__N_18offset_tEEE10hipError_tPvRmT1_PNSt15iterator_traitsISY_E10value_typeET2_T3_PNSZ_IS14_E10value_typeET4_jRbjT5_S1A_jjP12ihipStream_tbEUljE_EEESV_SW_SX_S14_S18_S1A_T6_T7_T9_mT8_S1C_bDpT10_ENKUlT_T0_E_clISt17integral_constantIbLb0EES1P_EEDaS1K_S1L_EUlS1K_E_NS1_11comp_targetILNS1_3genE8ELNS1_11target_archE1030ELNS1_3gpuE2ELNS1_3repE0EEENS1_30default_config_static_selectorELNS0_4arch9wavefront6targetE0EEEvSY_.num_named_barrier, 0
	.set _ZN7rocprim17ROCPRIM_400000_NS6detail17trampoline_kernelINS0_13select_configILj256ELj13ELNS0_17block_load_methodE3ELS4_3ELS4_3ELNS0_20block_scan_algorithmE0ELj4294967295EEENS1_25partition_config_selectorILNS1_17partition_subalgoE3EjNS0_10empty_typeEbEEZZNS1_14partition_implILS8_3ELb0ES6_jNS0_17counting_iteratorIjlEEPS9_SE_NS0_5tupleIJPjSE_EEENSF_IJSE_SE_EEES9_SG_JZNS1_25segmented_radix_sort_implINS0_14default_configELb0EPKiPiPKlPlN2at6native12_GLOBAL__N_18offset_tEEE10hipError_tPvRmT1_PNSt15iterator_traitsISY_E10value_typeET2_T3_PNSZ_IS14_E10value_typeET4_jRbjT5_S1A_jjP12ihipStream_tbEUljE_EEESV_SW_SX_S14_S18_S1A_T6_T7_T9_mT8_S1C_bDpT10_ENKUlT_T0_E_clISt17integral_constantIbLb0EES1P_EEDaS1K_S1L_EUlS1K_E_NS1_11comp_targetILNS1_3genE8ELNS1_11target_archE1030ELNS1_3gpuE2ELNS1_3repE0EEENS1_30default_config_static_selectorELNS0_4arch9wavefront6targetE0EEEvSY_.private_seg_size, 0
	.set _ZN7rocprim17ROCPRIM_400000_NS6detail17trampoline_kernelINS0_13select_configILj256ELj13ELNS0_17block_load_methodE3ELS4_3ELS4_3ELNS0_20block_scan_algorithmE0ELj4294967295EEENS1_25partition_config_selectorILNS1_17partition_subalgoE3EjNS0_10empty_typeEbEEZZNS1_14partition_implILS8_3ELb0ES6_jNS0_17counting_iteratorIjlEEPS9_SE_NS0_5tupleIJPjSE_EEENSF_IJSE_SE_EEES9_SG_JZNS1_25segmented_radix_sort_implINS0_14default_configELb0EPKiPiPKlPlN2at6native12_GLOBAL__N_18offset_tEEE10hipError_tPvRmT1_PNSt15iterator_traitsISY_E10value_typeET2_T3_PNSZ_IS14_E10value_typeET4_jRbjT5_S1A_jjP12ihipStream_tbEUljE_EEESV_SW_SX_S14_S18_S1A_T6_T7_T9_mT8_S1C_bDpT10_ENKUlT_T0_E_clISt17integral_constantIbLb0EES1P_EEDaS1K_S1L_EUlS1K_E_NS1_11comp_targetILNS1_3genE8ELNS1_11target_archE1030ELNS1_3gpuE2ELNS1_3repE0EEENS1_30default_config_static_selectorELNS0_4arch9wavefront6targetE0EEEvSY_.uses_vcc, 0
	.set _ZN7rocprim17ROCPRIM_400000_NS6detail17trampoline_kernelINS0_13select_configILj256ELj13ELNS0_17block_load_methodE3ELS4_3ELS4_3ELNS0_20block_scan_algorithmE0ELj4294967295EEENS1_25partition_config_selectorILNS1_17partition_subalgoE3EjNS0_10empty_typeEbEEZZNS1_14partition_implILS8_3ELb0ES6_jNS0_17counting_iteratorIjlEEPS9_SE_NS0_5tupleIJPjSE_EEENSF_IJSE_SE_EEES9_SG_JZNS1_25segmented_radix_sort_implINS0_14default_configELb0EPKiPiPKlPlN2at6native12_GLOBAL__N_18offset_tEEE10hipError_tPvRmT1_PNSt15iterator_traitsISY_E10value_typeET2_T3_PNSZ_IS14_E10value_typeET4_jRbjT5_S1A_jjP12ihipStream_tbEUljE_EEESV_SW_SX_S14_S18_S1A_T6_T7_T9_mT8_S1C_bDpT10_ENKUlT_T0_E_clISt17integral_constantIbLb0EES1P_EEDaS1K_S1L_EUlS1K_E_NS1_11comp_targetILNS1_3genE8ELNS1_11target_archE1030ELNS1_3gpuE2ELNS1_3repE0EEENS1_30default_config_static_selectorELNS0_4arch9wavefront6targetE0EEEvSY_.uses_flat_scratch, 0
	.set _ZN7rocprim17ROCPRIM_400000_NS6detail17trampoline_kernelINS0_13select_configILj256ELj13ELNS0_17block_load_methodE3ELS4_3ELS4_3ELNS0_20block_scan_algorithmE0ELj4294967295EEENS1_25partition_config_selectorILNS1_17partition_subalgoE3EjNS0_10empty_typeEbEEZZNS1_14partition_implILS8_3ELb0ES6_jNS0_17counting_iteratorIjlEEPS9_SE_NS0_5tupleIJPjSE_EEENSF_IJSE_SE_EEES9_SG_JZNS1_25segmented_radix_sort_implINS0_14default_configELb0EPKiPiPKlPlN2at6native12_GLOBAL__N_18offset_tEEE10hipError_tPvRmT1_PNSt15iterator_traitsISY_E10value_typeET2_T3_PNSZ_IS14_E10value_typeET4_jRbjT5_S1A_jjP12ihipStream_tbEUljE_EEESV_SW_SX_S14_S18_S1A_T6_T7_T9_mT8_S1C_bDpT10_ENKUlT_T0_E_clISt17integral_constantIbLb0EES1P_EEDaS1K_S1L_EUlS1K_E_NS1_11comp_targetILNS1_3genE8ELNS1_11target_archE1030ELNS1_3gpuE2ELNS1_3repE0EEENS1_30default_config_static_selectorELNS0_4arch9wavefront6targetE0EEEvSY_.has_dyn_sized_stack, 0
	.set _ZN7rocprim17ROCPRIM_400000_NS6detail17trampoline_kernelINS0_13select_configILj256ELj13ELNS0_17block_load_methodE3ELS4_3ELS4_3ELNS0_20block_scan_algorithmE0ELj4294967295EEENS1_25partition_config_selectorILNS1_17partition_subalgoE3EjNS0_10empty_typeEbEEZZNS1_14partition_implILS8_3ELb0ES6_jNS0_17counting_iteratorIjlEEPS9_SE_NS0_5tupleIJPjSE_EEENSF_IJSE_SE_EEES9_SG_JZNS1_25segmented_radix_sort_implINS0_14default_configELb0EPKiPiPKlPlN2at6native12_GLOBAL__N_18offset_tEEE10hipError_tPvRmT1_PNSt15iterator_traitsISY_E10value_typeET2_T3_PNSZ_IS14_E10value_typeET4_jRbjT5_S1A_jjP12ihipStream_tbEUljE_EEESV_SW_SX_S14_S18_S1A_T6_T7_T9_mT8_S1C_bDpT10_ENKUlT_T0_E_clISt17integral_constantIbLb0EES1P_EEDaS1K_S1L_EUlS1K_E_NS1_11comp_targetILNS1_3genE8ELNS1_11target_archE1030ELNS1_3gpuE2ELNS1_3repE0EEENS1_30default_config_static_selectorELNS0_4arch9wavefront6targetE0EEEvSY_.has_recursion, 0
	.set _ZN7rocprim17ROCPRIM_400000_NS6detail17trampoline_kernelINS0_13select_configILj256ELj13ELNS0_17block_load_methodE3ELS4_3ELS4_3ELNS0_20block_scan_algorithmE0ELj4294967295EEENS1_25partition_config_selectorILNS1_17partition_subalgoE3EjNS0_10empty_typeEbEEZZNS1_14partition_implILS8_3ELb0ES6_jNS0_17counting_iteratorIjlEEPS9_SE_NS0_5tupleIJPjSE_EEENSF_IJSE_SE_EEES9_SG_JZNS1_25segmented_radix_sort_implINS0_14default_configELb0EPKiPiPKlPlN2at6native12_GLOBAL__N_18offset_tEEE10hipError_tPvRmT1_PNSt15iterator_traitsISY_E10value_typeET2_T3_PNSZ_IS14_E10value_typeET4_jRbjT5_S1A_jjP12ihipStream_tbEUljE_EEESV_SW_SX_S14_S18_S1A_T6_T7_T9_mT8_S1C_bDpT10_ENKUlT_T0_E_clISt17integral_constantIbLb0EES1P_EEDaS1K_S1L_EUlS1K_E_NS1_11comp_targetILNS1_3genE8ELNS1_11target_archE1030ELNS1_3gpuE2ELNS1_3repE0EEENS1_30default_config_static_selectorELNS0_4arch9wavefront6targetE0EEEvSY_.has_indirect_call, 0
	.section	.AMDGPU.csdata,"",@progbits
; Kernel info:
; codeLenInByte = 0
; TotalNumSgprs: 0
; NumVgprs: 0
; ScratchSize: 0
; MemoryBound: 0
; FloatMode: 240
; IeeeMode: 1
; LDSByteSize: 0 bytes/workgroup (compile time only)
; SGPRBlocks: 0
; VGPRBlocks: 0
; NumSGPRsForWavesPerEU: 1
; NumVGPRsForWavesPerEU: 1
; NamedBarCnt: 0
; Occupancy: 16
; WaveLimiterHint : 0
; COMPUTE_PGM_RSRC2:SCRATCH_EN: 0
; COMPUTE_PGM_RSRC2:USER_SGPR: 2
; COMPUTE_PGM_RSRC2:TRAP_HANDLER: 0
; COMPUTE_PGM_RSRC2:TGID_X_EN: 1
; COMPUTE_PGM_RSRC2:TGID_Y_EN: 0
; COMPUTE_PGM_RSRC2:TGID_Z_EN: 0
; COMPUTE_PGM_RSRC2:TIDIG_COMP_CNT: 0
	.section	.text._ZN7rocprim17ROCPRIM_400000_NS6detail17trampoline_kernelINS0_13select_configILj256ELj13ELNS0_17block_load_methodE3ELS4_3ELS4_3ELNS0_20block_scan_algorithmE0ELj4294967295EEENS1_25partition_config_selectorILNS1_17partition_subalgoE3EjNS0_10empty_typeEbEEZZNS1_14partition_implILS8_3ELb0ES6_jNS0_17counting_iteratorIjlEEPS9_SE_NS0_5tupleIJPjSE_EEENSF_IJSE_SE_EEES9_SG_JZNS1_25segmented_radix_sort_implINS0_14default_configELb0EPKiPiPKlPlN2at6native12_GLOBAL__N_18offset_tEEE10hipError_tPvRmT1_PNSt15iterator_traitsISY_E10value_typeET2_T3_PNSZ_IS14_E10value_typeET4_jRbjT5_S1A_jjP12ihipStream_tbEUljE_EEESV_SW_SX_S14_S18_S1A_T6_T7_T9_mT8_S1C_bDpT10_ENKUlT_T0_E_clISt17integral_constantIbLb1EES1P_EEDaS1K_S1L_EUlS1K_E_NS1_11comp_targetILNS1_3genE0ELNS1_11target_archE4294967295ELNS1_3gpuE0ELNS1_3repE0EEENS1_30default_config_static_selectorELNS0_4arch9wavefront6targetE0EEEvSY_,"axG",@progbits,_ZN7rocprim17ROCPRIM_400000_NS6detail17trampoline_kernelINS0_13select_configILj256ELj13ELNS0_17block_load_methodE3ELS4_3ELS4_3ELNS0_20block_scan_algorithmE0ELj4294967295EEENS1_25partition_config_selectorILNS1_17partition_subalgoE3EjNS0_10empty_typeEbEEZZNS1_14partition_implILS8_3ELb0ES6_jNS0_17counting_iteratorIjlEEPS9_SE_NS0_5tupleIJPjSE_EEENSF_IJSE_SE_EEES9_SG_JZNS1_25segmented_radix_sort_implINS0_14default_configELb0EPKiPiPKlPlN2at6native12_GLOBAL__N_18offset_tEEE10hipError_tPvRmT1_PNSt15iterator_traitsISY_E10value_typeET2_T3_PNSZ_IS14_E10value_typeET4_jRbjT5_S1A_jjP12ihipStream_tbEUljE_EEESV_SW_SX_S14_S18_S1A_T6_T7_T9_mT8_S1C_bDpT10_ENKUlT_T0_E_clISt17integral_constantIbLb1EES1P_EEDaS1K_S1L_EUlS1K_E_NS1_11comp_targetILNS1_3genE0ELNS1_11target_archE4294967295ELNS1_3gpuE0ELNS1_3repE0EEENS1_30default_config_static_selectorELNS0_4arch9wavefront6targetE0EEEvSY_,comdat
	.globl	_ZN7rocprim17ROCPRIM_400000_NS6detail17trampoline_kernelINS0_13select_configILj256ELj13ELNS0_17block_load_methodE3ELS4_3ELS4_3ELNS0_20block_scan_algorithmE0ELj4294967295EEENS1_25partition_config_selectorILNS1_17partition_subalgoE3EjNS0_10empty_typeEbEEZZNS1_14partition_implILS8_3ELb0ES6_jNS0_17counting_iteratorIjlEEPS9_SE_NS0_5tupleIJPjSE_EEENSF_IJSE_SE_EEES9_SG_JZNS1_25segmented_radix_sort_implINS0_14default_configELb0EPKiPiPKlPlN2at6native12_GLOBAL__N_18offset_tEEE10hipError_tPvRmT1_PNSt15iterator_traitsISY_E10value_typeET2_T3_PNSZ_IS14_E10value_typeET4_jRbjT5_S1A_jjP12ihipStream_tbEUljE_EEESV_SW_SX_S14_S18_S1A_T6_T7_T9_mT8_S1C_bDpT10_ENKUlT_T0_E_clISt17integral_constantIbLb1EES1P_EEDaS1K_S1L_EUlS1K_E_NS1_11comp_targetILNS1_3genE0ELNS1_11target_archE4294967295ELNS1_3gpuE0ELNS1_3repE0EEENS1_30default_config_static_selectorELNS0_4arch9wavefront6targetE0EEEvSY_ ; -- Begin function _ZN7rocprim17ROCPRIM_400000_NS6detail17trampoline_kernelINS0_13select_configILj256ELj13ELNS0_17block_load_methodE3ELS4_3ELS4_3ELNS0_20block_scan_algorithmE0ELj4294967295EEENS1_25partition_config_selectorILNS1_17partition_subalgoE3EjNS0_10empty_typeEbEEZZNS1_14partition_implILS8_3ELb0ES6_jNS0_17counting_iteratorIjlEEPS9_SE_NS0_5tupleIJPjSE_EEENSF_IJSE_SE_EEES9_SG_JZNS1_25segmented_radix_sort_implINS0_14default_configELb0EPKiPiPKlPlN2at6native12_GLOBAL__N_18offset_tEEE10hipError_tPvRmT1_PNSt15iterator_traitsISY_E10value_typeET2_T3_PNSZ_IS14_E10value_typeET4_jRbjT5_S1A_jjP12ihipStream_tbEUljE_EEESV_SW_SX_S14_S18_S1A_T6_T7_T9_mT8_S1C_bDpT10_ENKUlT_T0_E_clISt17integral_constantIbLb1EES1P_EEDaS1K_S1L_EUlS1K_E_NS1_11comp_targetILNS1_3genE0ELNS1_11target_archE4294967295ELNS1_3gpuE0ELNS1_3repE0EEENS1_30default_config_static_selectorELNS0_4arch9wavefront6targetE0EEEvSY_
	.p2align	8
	.type	_ZN7rocprim17ROCPRIM_400000_NS6detail17trampoline_kernelINS0_13select_configILj256ELj13ELNS0_17block_load_methodE3ELS4_3ELS4_3ELNS0_20block_scan_algorithmE0ELj4294967295EEENS1_25partition_config_selectorILNS1_17partition_subalgoE3EjNS0_10empty_typeEbEEZZNS1_14partition_implILS8_3ELb0ES6_jNS0_17counting_iteratorIjlEEPS9_SE_NS0_5tupleIJPjSE_EEENSF_IJSE_SE_EEES9_SG_JZNS1_25segmented_radix_sort_implINS0_14default_configELb0EPKiPiPKlPlN2at6native12_GLOBAL__N_18offset_tEEE10hipError_tPvRmT1_PNSt15iterator_traitsISY_E10value_typeET2_T3_PNSZ_IS14_E10value_typeET4_jRbjT5_S1A_jjP12ihipStream_tbEUljE_EEESV_SW_SX_S14_S18_S1A_T6_T7_T9_mT8_S1C_bDpT10_ENKUlT_T0_E_clISt17integral_constantIbLb1EES1P_EEDaS1K_S1L_EUlS1K_E_NS1_11comp_targetILNS1_3genE0ELNS1_11target_archE4294967295ELNS1_3gpuE0ELNS1_3repE0EEENS1_30default_config_static_selectorELNS0_4arch9wavefront6targetE0EEEvSY_,@function
_ZN7rocprim17ROCPRIM_400000_NS6detail17trampoline_kernelINS0_13select_configILj256ELj13ELNS0_17block_load_methodE3ELS4_3ELS4_3ELNS0_20block_scan_algorithmE0ELj4294967295EEENS1_25partition_config_selectorILNS1_17partition_subalgoE3EjNS0_10empty_typeEbEEZZNS1_14partition_implILS8_3ELb0ES6_jNS0_17counting_iteratorIjlEEPS9_SE_NS0_5tupleIJPjSE_EEENSF_IJSE_SE_EEES9_SG_JZNS1_25segmented_radix_sort_implINS0_14default_configELb0EPKiPiPKlPlN2at6native12_GLOBAL__N_18offset_tEEE10hipError_tPvRmT1_PNSt15iterator_traitsISY_E10value_typeET2_T3_PNSZ_IS14_E10value_typeET4_jRbjT5_S1A_jjP12ihipStream_tbEUljE_EEESV_SW_SX_S14_S18_S1A_T6_T7_T9_mT8_S1C_bDpT10_ENKUlT_T0_E_clISt17integral_constantIbLb1EES1P_EEDaS1K_S1L_EUlS1K_E_NS1_11comp_targetILNS1_3genE0ELNS1_11target_archE4294967295ELNS1_3gpuE0ELNS1_3repE0EEENS1_30default_config_static_selectorELNS0_4arch9wavefront6targetE0EEEvSY_: ; @_ZN7rocprim17ROCPRIM_400000_NS6detail17trampoline_kernelINS0_13select_configILj256ELj13ELNS0_17block_load_methodE3ELS4_3ELS4_3ELNS0_20block_scan_algorithmE0ELj4294967295EEENS1_25partition_config_selectorILNS1_17partition_subalgoE3EjNS0_10empty_typeEbEEZZNS1_14partition_implILS8_3ELb0ES6_jNS0_17counting_iteratorIjlEEPS9_SE_NS0_5tupleIJPjSE_EEENSF_IJSE_SE_EEES9_SG_JZNS1_25segmented_radix_sort_implINS0_14default_configELb0EPKiPiPKlPlN2at6native12_GLOBAL__N_18offset_tEEE10hipError_tPvRmT1_PNSt15iterator_traitsISY_E10value_typeET2_T3_PNSZ_IS14_E10value_typeET4_jRbjT5_S1A_jjP12ihipStream_tbEUljE_EEESV_SW_SX_S14_S18_S1A_T6_T7_T9_mT8_S1C_bDpT10_ENKUlT_T0_E_clISt17integral_constantIbLb1EES1P_EEDaS1K_S1L_EUlS1K_E_NS1_11comp_targetILNS1_3genE0ELNS1_11target_archE4294967295ELNS1_3gpuE0ELNS1_3repE0EEENS1_30default_config_static_selectorELNS0_4arch9wavefront6targetE0EEEvSY_
; %bb.0:
	s_endpgm
	.section	.rodata,"a",@progbits
	.p2align	6, 0x0
	.amdhsa_kernel _ZN7rocprim17ROCPRIM_400000_NS6detail17trampoline_kernelINS0_13select_configILj256ELj13ELNS0_17block_load_methodE3ELS4_3ELS4_3ELNS0_20block_scan_algorithmE0ELj4294967295EEENS1_25partition_config_selectorILNS1_17partition_subalgoE3EjNS0_10empty_typeEbEEZZNS1_14partition_implILS8_3ELb0ES6_jNS0_17counting_iteratorIjlEEPS9_SE_NS0_5tupleIJPjSE_EEENSF_IJSE_SE_EEES9_SG_JZNS1_25segmented_radix_sort_implINS0_14default_configELb0EPKiPiPKlPlN2at6native12_GLOBAL__N_18offset_tEEE10hipError_tPvRmT1_PNSt15iterator_traitsISY_E10value_typeET2_T3_PNSZ_IS14_E10value_typeET4_jRbjT5_S1A_jjP12ihipStream_tbEUljE_EEESV_SW_SX_S14_S18_S1A_T6_T7_T9_mT8_S1C_bDpT10_ENKUlT_T0_E_clISt17integral_constantIbLb1EES1P_EEDaS1K_S1L_EUlS1K_E_NS1_11comp_targetILNS1_3genE0ELNS1_11target_archE4294967295ELNS1_3gpuE0ELNS1_3repE0EEENS1_30default_config_static_selectorELNS0_4arch9wavefront6targetE0EEEvSY_
		.amdhsa_group_segment_fixed_size 0
		.amdhsa_private_segment_fixed_size 0
		.amdhsa_kernarg_size 152
		.amdhsa_user_sgpr_count 2
		.amdhsa_user_sgpr_dispatch_ptr 0
		.amdhsa_user_sgpr_queue_ptr 0
		.amdhsa_user_sgpr_kernarg_segment_ptr 1
		.amdhsa_user_sgpr_dispatch_id 0
		.amdhsa_user_sgpr_kernarg_preload_length 0
		.amdhsa_user_sgpr_kernarg_preload_offset 0
		.amdhsa_user_sgpr_private_segment_size 0
		.amdhsa_wavefront_size32 1
		.amdhsa_uses_dynamic_stack 0
		.amdhsa_enable_private_segment 0
		.amdhsa_system_sgpr_workgroup_id_x 1
		.amdhsa_system_sgpr_workgroup_id_y 0
		.amdhsa_system_sgpr_workgroup_id_z 0
		.amdhsa_system_sgpr_workgroup_info 0
		.amdhsa_system_vgpr_workitem_id 0
		.amdhsa_next_free_vgpr 1
		.amdhsa_next_free_sgpr 1
		.amdhsa_named_barrier_count 0
		.amdhsa_reserve_vcc 0
		.amdhsa_float_round_mode_32 0
		.amdhsa_float_round_mode_16_64 0
		.amdhsa_float_denorm_mode_32 3
		.amdhsa_float_denorm_mode_16_64 3
		.amdhsa_fp16_overflow 0
		.amdhsa_memory_ordered 1
		.amdhsa_forward_progress 1
		.amdhsa_inst_pref_size 1
		.amdhsa_round_robin_scheduling 0
		.amdhsa_exception_fp_ieee_invalid_op 0
		.amdhsa_exception_fp_denorm_src 0
		.amdhsa_exception_fp_ieee_div_zero 0
		.amdhsa_exception_fp_ieee_overflow 0
		.amdhsa_exception_fp_ieee_underflow 0
		.amdhsa_exception_fp_ieee_inexact 0
		.amdhsa_exception_int_div_zero 0
	.end_amdhsa_kernel
	.section	.text._ZN7rocprim17ROCPRIM_400000_NS6detail17trampoline_kernelINS0_13select_configILj256ELj13ELNS0_17block_load_methodE3ELS4_3ELS4_3ELNS0_20block_scan_algorithmE0ELj4294967295EEENS1_25partition_config_selectorILNS1_17partition_subalgoE3EjNS0_10empty_typeEbEEZZNS1_14partition_implILS8_3ELb0ES6_jNS0_17counting_iteratorIjlEEPS9_SE_NS0_5tupleIJPjSE_EEENSF_IJSE_SE_EEES9_SG_JZNS1_25segmented_radix_sort_implINS0_14default_configELb0EPKiPiPKlPlN2at6native12_GLOBAL__N_18offset_tEEE10hipError_tPvRmT1_PNSt15iterator_traitsISY_E10value_typeET2_T3_PNSZ_IS14_E10value_typeET4_jRbjT5_S1A_jjP12ihipStream_tbEUljE_EEESV_SW_SX_S14_S18_S1A_T6_T7_T9_mT8_S1C_bDpT10_ENKUlT_T0_E_clISt17integral_constantIbLb1EES1P_EEDaS1K_S1L_EUlS1K_E_NS1_11comp_targetILNS1_3genE0ELNS1_11target_archE4294967295ELNS1_3gpuE0ELNS1_3repE0EEENS1_30default_config_static_selectorELNS0_4arch9wavefront6targetE0EEEvSY_,"axG",@progbits,_ZN7rocprim17ROCPRIM_400000_NS6detail17trampoline_kernelINS0_13select_configILj256ELj13ELNS0_17block_load_methodE3ELS4_3ELS4_3ELNS0_20block_scan_algorithmE0ELj4294967295EEENS1_25partition_config_selectorILNS1_17partition_subalgoE3EjNS0_10empty_typeEbEEZZNS1_14partition_implILS8_3ELb0ES6_jNS0_17counting_iteratorIjlEEPS9_SE_NS0_5tupleIJPjSE_EEENSF_IJSE_SE_EEES9_SG_JZNS1_25segmented_radix_sort_implINS0_14default_configELb0EPKiPiPKlPlN2at6native12_GLOBAL__N_18offset_tEEE10hipError_tPvRmT1_PNSt15iterator_traitsISY_E10value_typeET2_T3_PNSZ_IS14_E10value_typeET4_jRbjT5_S1A_jjP12ihipStream_tbEUljE_EEESV_SW_SX_S14_S18_S1A_T6_T7_T9_mT8_S1C_bDpT10_ENKUlT_T0_E_clISt17integral_constantIbLb1EES1P_EEDaS1K_S1L_EUlS1K_E_NS1_11comp_targetILNS1_3genE0ELNS1_11target_archE4294967295ELNS1_3gpuE0ELNS1_3repE0EEENS1_30default_config_static_selectorELNS0_4arch9wavefront6targetE0EEEvSY_,comdat
.Lfunc_end572:
	.size	_ZN7rocprim17ROCPRIM_400000_NS6detail17trampoline_kernelINS0_13select_configILj256ELj13ELNS0_17block_load_methodE3ELS4_3ELS4_3ELNS0_20block_scan_algorithmE0ELj4294967295EEENS1_25partition_config_selectorILNS1_17partition_subalgoE3EjNS0_10empty_typeEbEEZZNS1_14partition_implILS8_3ELb0ES6_jNS0_17counting_iteratorIjlEEPS9_SE_NS0_5tupleIJPjSE_EEENSF_IJSE_SE_EEES9_SG_JZNS1_25segmented_radix_sort_implINS0_14default_configELb0EPKiPiPKlPlN2at6native12_GLOBAL__N_18offset_tEEE10hipError_tPvRmT1_PNSt15iterator_traitsISY_E10value_typeET2_T3_PNSZ_IS14_E10value_typeET4_jRbjT5_S1A_jjP12ihipStream_tbEUljE_EEESV_SW_SX_S14_S18_S1A_T6_T7_T9_mT8_S1C_bDpT10_ENKUlT_T0_E_clISt17integral_constantIbLb1EES1P_EEDaS1K_S1L_EUlS1K_E_NS1_11comp_targetILNS1_3genE0ELNS1_11target_archE4294967295ELNS1_3gpuE0ELNS1_3repE0EEENS1_30default_config_static_selectorELNS0_4arch9wavefront6targetE0EEEvSY_, .Lfunc_end572-_ZN7rocprim17ROCPRIM_400000_NS6detail17trampoline_kernelINS0_13select_configILj256ELj13ELNS0_17block_load_methodE3ELS4_3ELS4_3ELNS0_20block_scan_algorithmE0ELj4294967295EEENS1_25partition_config_selectorILNS1_17partition_subalgoE3EjNS0_10empty_typeEbEEZZNS1_14partition_implILS8_3ELb0ES6_jNS0_17counting_iteratorIjlEEPS9_SE_NS0_5tupleIJPjSE_EEENSF_IJSE_SE_EEES9_SG_JZNS1_25segmented_radix_sort_implINS0_14default_configELb0EPKiPiPKlPlN2at6native12_GLOBAL__N_18offset_tEEE10hipError_tPvRmT1_PNSt15iterator_traitsISY_E10value_typeET2_T3_PNSZ_IS14_E10value_typeET4_jRbjT5_S1A_jjP12ihipStream_tbEUljE_EEESV_SW_SX_S14_S18_S1A_T6_T7_T9_mT8_S1C_bDpT10_ENKUlT_T0_E_clISt17integral_constantIbLb1EES1P_EEDaS1K_S1L_EUlS1K_E_NS1_11comp_targetILNS1_3genE0ELNS1_11target_archE4294967295ELNS1_3gpuE0ELNS1_3repE0EEENS1_30default_config_static_selectorELNS0_4arch9wavefront6targetE0EEEvSY_
                                        ; -- End function
	.set _ZN7rocprim17ROCPRIM_400000_NS6detail17trampoline_kernelINS0_13select_configILj256ELj13ELNS0_17block_load_methodE3ELS4_3ELS4_3ELNS0_20block_scan_algorithmE0ELj4294967295EEENS1_25partition_config_selectorILNS1_17partition_subalgoE3EjNS0_10empty_typeEbEEZZNS1_14partition_implILS8_3ELb0ES6_jNS0_17counting_iteratorIjlEEPS9_SE_NS0_5tupleIJPjSE_EEENSF_IJSE_SE_EEES9_SG_JZNS1_25segmented_radix_sort_implINS0_14default_configELb0EPKiPiPKlPlN2at6native12_GLOBAL__N_18offset_tEEE10hipError_tPvRmT1_PNSt15iterator_traitsISY_E10value_typeET2_T3_PNSZ_IS14_E10value_typeET4_jRbjT5_S1A_jjP12ihipStream_tbEUljE_EEESV_SW_SX_S14_S18_S1A_T6_T7_T9_mT8_S1C_bDpT10_ENKUlT_T0_E_clISt17integral_constantIbLb1EES1P_EEDaS1K_S1L_EUlS1K_E_NS1_11comp_targetILNS1_3genE0ELNS1_11target_archE4294967295ELNS1_3gpuE0ELNS1_3repE0EEENS1_30default_config_static_selectorELNS0_4arch9wavefront6targetE0EEEvSY_.num_vgpr, 0
	.set _ZN7rocprim17ROCPRIM_400000_NS6detail17trampoline_kernelINS0_13select_configILj256ELj13ELNS0_17block_load_methodE3ELS4_3ELS4_3ELNS0_20block_scan_algorithmE0ELj4294967295EEENS1_25partition_config_selectorILNS1_17partition_subalgoE3EjNS0_10empty_typeEbEEZZNS1_14partition_implILS8_3ELb0ES6_jNS0_17counting_iteratorIjlEEPS9_SE_NS0_5tupleIJPjSE_EEENSF_IJSE_SE_EEES9_SG_JZNS1_25segmented_radix_sort_implINS0_14default_configELb0EPKiPiPKlPlN2at6native12_GLOBAL__N_18offset_tEEE10hipError_tPvRmT1_PNSt15iterator_traitsISY_E10value_typeET2_T3_PNSZ_IS14_E10value_typeET4_jRbjT5_S1A_jjP12ihipStream_tbEUljE_EEESV_SW_SX_S14_S18_S1A_T6_T7_T9_mT8_S1C_bDpT10_ENKUlT_T0_E_clISt17integral_constantIbLb1EES1P_EEDaS1K_S1L_EUlS1K_E_NS1_11comp_targetILNS1_3genE0ELNS1_11target_archE4294967295ELNS1_3gpuE0ELNS1_3repE0EEENS1_30default_config_static_selectorELNS0_4arch9wavefront6targetE0EEEvSY_.num_agpr, 0
	.set _ZN7rocprim17ROCPRIM_400000_NS6detail17trampoline_kernelINS0_13select_configILj256ELj13ELNS0_17block_load_methodE3ELS4_3ELS4_3ELNS0_20block_scan_algorithmE0ELj4294967295EEENS1_25partition_config_selectorILNS1_17partition_subalgoE3EjNS0_10empty_typeEbEEZZNS1_14partition_implILS8_3ELb0ES6_jNS0_17counting_iteratorIjlEEPS9_SE_NS0_5tupleIJPjSE_EEENSF_IJSE_SE_EEES9_SG_JZNS1_25segmented_radix_sort_implINS0_14default_configELb0EPKiPiPKlPlN2at6native12_GLOBAL__N_18offset_tEEE10hipError_tPvRmT1_PNSt15iterator_traitsISY_E10value_typeET2_T3_PNSZ_IS14_E10value_typeET4_jRbjT5_S1A_jjP12ihipStream_tbEUljE_EEESV_SW_SX_S14_S18_S1A_T6_T7_T9_mT8_S1C_bDpT10_ENKUlT_T0_E_clISt17integral_constantIbLb1EES1P_EEDaS1K_S1L_EUlS1K_E_NS1_11comp_targetILNS1_3genE0ELNS1_11target_archE4294967295ELNS1_3gpuE0ELNS1_3repE0EEENS1_30default_config_static_selectorELNS0_4arch9wavefront6targetE0EEEvSY_.numbered_sgpr, 0
	.set _ZN7rocprim17ROCPRIM_400000_NS6detail17trampoline_kernelINS0_13select_configILj256ELj13ELNS0_17block_load_methodE3ELS4_3ELS4_3ELNS0_20block_scan_algorithmE0ELj4294967295EEENS1_25partition_config_selectorILNS1_17partition_subalgoE3EjNS0_10empty_typeEbEEZZNS1_14partition_implILS8_3ELb0ES6_jNS0_17counting_iteratorIjlEEPS9_SE_NS0_5tupleIJPjSE_EEENSF_IJSE_SE_EEES9_SG_JZNS1_25segmented_radix_sort_implINS0_14default_configELb0EPKiPiPKlPlN2at6native12_GLOBAL__N_18offset_tEEE10hipError_tPvRmT1_PNSt15iterator_traitsISY_E10value_typeET2_T3_PNSZ_IS14_E10value_typeET4_jRbjT5_S1A_jjP12ihipStream_tbEUljE_EEESV_SW_SX_S14_S18_S1A_T6_T7_T9_mT8_S1C_bDpT10_ENKUlT_T0_E_clISt17integral_constantIbLb1EES1P_EEDaS1K_S1L_EUlS1K_E_NS1_11comp_targetILNS1_3genE0ELNS1_11target_archE4294967295ELNS1_3gpuE0ELNS1_3repE0EEENS1_30default_config_static_selectorELNS0_4arch9wavefront6targetE0EEEvSY_.num_named_barrier, 0
	.set _ZN7rocprim17ROCPRIM_400000_NS6detail17trampoline_kernelINS0_13select_configILj256ELj13ELNS0_17block_load_methodE3ELS4_3ELS4_3ELNS0_20block_scan_algorithmE0ELj4294967295EEENS1_25partition_config_selectorILNS1_17partition_subalgoE3EjNS0_10empty_typeEbEEZZNS1_14partition_implILS8_3ELb0ES6_jNS0_17counting_iteratorIjlEEPS9_SE_NS0_5tupleIJPjSE_EEENSF_IJSE_SE_EEES9_SG_JZNS1_25segmented_radix_sort_implINS0_14default_configELb0EPKiPiPKlPlN2at6native12_GLOBAL__N_18offset_tEEE10hipError_tPvRmT1_PNSt15iterator_traitsISY_E10value_typeET2_T3_PNSZ_IS14_E10value_typeET4_jRbjT5_S1A_jjP12ihipStream_tbEUljE_EEESV_SW_SX_S14_S18_S1A_T6_T7_T9_mT8_S1C_bDpT10_ENKUlT_T0_E_clISt17integral_constantIbLb1EES1P_EEDaS1K_S1L_EUlS1K_E_NS1_11comp_targetILNS1_3genE0ELNS1_11target_archE4294967295ELNS1_3gpuE0ELNS1_3repE0EEENS1_30default_config_static_selectorELNS0_4arch9wavefront6targetE0EEEvSY_.private_seg_size, 0
	.set _ZN7rocprim17ROCPRIM_400000_NS6detail17trampoline_kernelINS0_13select_configILj256ELj13ELNS0_17block_load_methodE3ELS4_3ELS4_3ELNS0_20block_scan_algorithmE0ELj4294967295EEENS1_25partition_config_selectorILNS1_17partition_subalgoE3EjNS0_10empty_typeEbEEZZNS1_14partition_implILS8_3ELb0ES6_jNS0_17counting_iteratorIjlEEPS9_SE_NS0_5tupleIJPjSE_EEENSF_IJSE_SE_EEES9_SG_JZNS1_25segmented_radix_sort_implINS0_14default_configELb0EPKiPiPKlPlN2at6native12_GLOBAL__N_18offset_tEEE10hipError_tPvRmT1_PNSt15iterator_traitsISY_E10value_typeET2_T3_PNSZ_IS14_E10value_typeET4_jRbjT5_S1A_jjP12ihipStream_tbEUljE_EEESV_SW_SX_S14_S18_S1A_T6_T7_T9_mT8_S1C_bDpT10_ENKUlT_T0_E_clISt17integral_constantIbLb1EES1P_EEDaS1K_S1L_EUlS1K_E_NS1_11comp_targetILNS1_3genE0ELNS1_11target_archE4294967295ELNS1_3gpuE0ELNS1_3repE0EEENS1_30default_config_static_selectorELNS0_4arch9wavefront6targetE0EEEvSY_.uses_vcc, 0
	.set _ZN7rocprim17ROCPRIM_400000_NS6detail17trampoline_kernelINS0_13select_configILj256ELj13ELNS0_17block_load_methodE3ELS4_3ELS4_3ELNS0_20block_scan_algorithmE0ELj4294967295EEENS1_25partition_config_selectorILNS1_17partition_subalgoE3EjNS0_10empty_typeEbEEZZNS1_14partition_implILS8_3ELb0ES6_jNS0_17counting_iteratorIjlEEPS9_SE_NS0_5tupleIJPjSE_EEENSF_IJSE_SE_EEES9_SG_JZNS1_25segmented_radix_sort_implINS0_14default_configELb0EPKiPiPKlPlN2at6native12_GLOBAL__N_18offset_tEEE10hipError_tPvRmT1_PNSt15iterator_traitsISY_E10value_typeET2_T3_PNSZ_IS14_E10value_typeET4_jRbjT5_S1A_jjP12ihipStream_tbEUljE_EEESV_SW_SX_S14_S18_S1A_T6_T7_T9_mT8_S1C_bDpT10_ENKUlT_T0_E_clISt17integral_constantIbLb1EES1P_EEDaS1K_S1L_EUlS1K_E_NS1_11comp_targetILNS1_3genE0ELNS1_11target_archE4294967295ELNS1_3gpuE0ELNS1_3repE0EEENS1_30default_config_static_selectorELNS0_4arch9wavefront6targetE0EEEvSY_.uses_flat_scratch, 0
	.set _ZN7rocprim17ROCPRIM_400000_NS6detail17trampoline_kernelINS0_13select_configILj256ELj13ELNS0_17block_load_methodE3ELS4_3ELS4_3ELNS0_20block_scan_algorithmE0ELj4294967295EEENS1_25partition_config_selectorILNS1_17partition_subalgoE3EjNS0_10empty_typeEbEEZZNS1_14partition_implILS8_3ELb0ES6_jNS0_17counting_iteratorIjlEEPS9_SE_NS0_5tupleIJPjSE_EEENSF_IJSE_SE_EEES9_SG_JZNS1_25segmented_radix_sort_implINS0_14default_configELb0EPKiPiPKlPlN2at6native12_GLOBAL__N_18offset_tEEE10hipError_tPvRmT1_PNSt15iterator_traitsISY_E10value_typeET2_T3_PNSZ_IS14_E10value_typeET4_jRbjT5_S1A_jjP12ihipStream_tbEUljE_EEESV_SW_SX_S14_S18_S1A_T6_T7_T9_mT8_S1C_bDpT10_ENKUlT_T0_E_clISt17integral_constantIbLb1EES1P_EEDaS1K_S1L_EUlS1K_E_NS1_11comp_targetILNS1_3genE0ELNS1_11target_archE4294967295ELNS1_3gpuE0ELNS1_3repE0EEENS1_30default_config_static_selectorELNS0_4arch9wavefront6targetE0EEEvSY_.has_dyn_sized_stack, 0
	.set _ZN7rocprim17ROCPRIM_400000_NS6detail17trampoline_kernelINS0_13select_configILj256ELj13ELNS0_17block_load_methodE3ELS4_3ELS4_3ELNS0_20block_scan_algorithmE0ELj4294967295EEENS1_25partition_config_selectorILNS1_17partition_subalgoE3EjNS0_10empty_typeEbEEZZNS1_14partition_implILS8_3ELb0ES6_jNS0_17counting_iteratorIjlEEPS9_SE_NS0_5tupleIJPjSE_EEENSF_IJSE_SE_EEES9_SG_JZNS1_25segmented_radix_sort_implINS0_14default_configELb0EPKiPiPKlPlN2at6native12_GLOBAL__N_18offset_tEEE10hipError_tPvRmT1_PNSt15iterator_traitsISY_E10value_typeET2_T3_PNSZ_IS14_E10value_typeET4_jRbjT5_S1A_jjP12ihipStream_tbEUljE_EEESV_SW_SX_S14_S18_S1A_T6_T7_T9_mT8_S1C_bDpT10_ENKUlT_T0_E_clISt17integral_constantIbLb1EES1P_EEDaS1K_S1L_EUlS1K_E_NS1_11comp_targetILNS1_3genE0ELNS1_11target_archE4294967295ELNS1_3gpuE0ELNS1_3repE0EEENS1_30default_config_static_selectorELNS0_4arch9wavefront6targetE0EEEvSY_.has_recursion, 0
	.set _ZN7rocprim17ROCPRIM_400000_NS6detail17trampoline_kernelINS0_13select_configILj256ELj13ELNS0_17block_load_methodE3ELS4_3ELS4_3ELNS0_20block_scan_algorithmE0ELj4294967295EEENS1_25partition_config_selectorILNS1_17partition_subalgoE3EjNS0_10empty_typeEbEEZZNS1_14partition_implILS8_3ELb0ES6_jNS0_17counting_iteratorIjlEEPS9_SE_NS0_5tupleIJPjSE_EEENSF_IJSE_SE_EEES9_SG_JZNS1_25segmented_radix_sort_implINS0_14default_configELb0EPKiPiPKlPlN2at6native12_GLOBAL__N_18offset_tEEE10hipError_tPvRmT1_PNSt15iterator_traitsISY_E10value_typeET2_T3_PNSZ_IS14_E10value_typeET4_jRbjT5_S1A_jjP12ihipStream_tbEUljE_EEESV_SW_SX_S14_S18_S1A_T6_T7_T9_mT8_S1C_bDpT10_ENKUlT_T0_E_clISt17integral_constantIbLb1EES1P_EEDaS1K_S1L_EUlS1K_E_NS1_11comp_targetILNS1_3genE0ELNS1_11target_archE4294967295ELNS1_3gpuE0ELNS1_3repE0EEENS1_30default_config_static_selectorELNS0_4arch9wavefront6targetE0EEEvSY_.has_indirect_call, 0
	.section	.AMDGPU.csdata,"",@progbits
; Kernel info:
; codeLenInByte = 4
; TotalNumSgprs: 0
; NumVgprs: 0
; ScratchSize: 0
; MemoryBound: 0
; FloatMode: 240
; IeeeMode: 1
; LDSByteSize: 0 bytes/workgroup (compile time only)
; SGPRBlocks: 0
; VGPRBlocks: 0
; NumSGPRsForWavesPerEU: 1
; NumVGPRsForWavesPerEU: 1
; NamedBarCnt: 0
; Occupancy: 16
; WaveLimiterHint : 0
; COMPUTE_PGM_RSRC2:SCRATCH_EN: 0
; COMPUTE_PGM_RSRC2:USER_SGPR: 2
; COMPUTE_PGM_RSRC2:TRAP_HANDLER: 0
; COMPUTE_PGM_RSRC2:TGID_X_EN: 1
; COMPUTE_PGM_RSRC2:TGID_Y_EN: 0
; COMPUTE_PGM_RSRC2:TGID_Z_EN: 0
; COMPUTE_PGM_RSRC2:TIDIG_COMP_CNT: 0
	.section	.text._ZN7rocprim17ROCPRIM_400000_NS6detail17trampoline_kernelINS0_13select_configILj256ELj13ELNS0_17block_load_methodE3ELS4_3ELS4_3ELNS0_20block_scan_algorithmE0ELj4294967295EEENS1_25partition_config_selectorILNS1_17partition_subalgoE3EjNS0_10empty_typeEbEEZZNS1_14partition_implILS8_3ELb0ES6_jNS0_17counting_iteratorIjlEEPS9_SE_NS0_5tupleIJPjSE_EEENSF_IJSE_SE_EEES9_SG_JZNS1_25segmented_radix_sort_implINS0_14default_configELb0EPKiPiPKlPlN2at6native12_GLOBAL__N_18offset_tEEE10hipError_tPvRmT1_PNSt15iterator_traitsISY_E10value_typeET2_T3_PNSZ_IS14_E10value_typeET4_jRbjT5_S1A_jjP12ihipStream_tbEUljE_EEESV_SW_SX_S14_S18_S1A_T6_T7_T9_mT8_S1C_bDpT10_ENKUlT_T0_E_clISt17integral_constantIbLb1EES1P_EEDaS1K_S1L_EUlS1K_E_NS1_11comp_targetILNS1_3genE5ELNS1_11target_archE942ELNS1_3gpuE9ELNS1_3repE0EEENS1_30default_config_static_selectorELNS0_4arch9wavefront6targetE0EEEvSY_,"axG",@progbits,_ZN7rocprim17ROCPRIM_400000_NS6detail17trampoline_kernelINS0_13select_configILj256ELj13ELNS0_17block_load_methodE3ELS4_3ELS4_3ELNS0_20block_scan_algorithmE0ELj4294967295EEENS1_25partition_config_selectorILNS1_17partition_subalgoE3EjNS0_10empty_typeEbEEZZNS1_14partition_implILS8_3ELb0ES6_jNS0_17counting_iteratorIjlEEPS9_SE_NS0_5tupleIJPjSE_EEENSF_IJSE_SE_EEES9_SG_JZNS1_25segmented_radix_sort_implINS0_14default_configELb0EPKiPiPKlPlN2at6native12_GLOBAL__N_18offset_tEEE10hipError_tPvRmT1_PNSt15iterator_traitsISY_E10value_typeET2_T3_PNSZ_IS14_E10value_typeET4_jRbjT5_S1A_jjP12ihipStream_tbEUljE_EEESV_SW_SX_S14_S18_S1A_T6_T7_T9_mT8_S1C_bDpT10_ENKUlT_T0_E_clISt17integral_constantIbLb1EES1P_EEDaS1K_S1L_EUlS1K_E_NS1_11comp_targetILNS1_3genE5ELNS1_11target_archE942ELNS1_3gpuE9ELNS1_3repE0EEENS1_30default_config_static_selectorELNS0_4arch9wavefront6targetE0EEEvSY_,comdat
	.globl	_ZN7rocprim17ROCPRIM_400000_NS6detail17trampoline_kernelINS0_13select_configILj256ELj13ELNS0_17block_load_methodE3ELS4_3ELS4_3ELNS0_20block_scan_algorithmE0ELj4294967295EEENS1_25partition_config_selectorILNS1_17partition_subalgoE3EjNS0_10empty_typeEbEEZZNS1_14partition_implILS8_3ELb0ES6_jNS0_17counting_iteratorIjlEEPS9_SE_NS0_5tupleIJPjSE_EEENSF_IJSE_SE_EEES9_SG_JZNS1_25segmented_radix_sort_implINS0_14default_configELb0EPKiPiPKlPlN2at6native12_GLOBAL__N_18offset_tEEE10hipError_tPvRmT1_PNSt15iterator_traitsISY_E10value_typeET2_T3_PNSZ_IS14_E10value_typeET4_jRbjT5_S1A_jjP12ihipStream_tbEUljE_EEESV_SW_SX_S14_S18_S1A_T6_T7_T9_mT8_S1C_bDpT10_ENKUlT_T0_E_clISt17integral_constantIbLb1EES1P_EEDaS1K_S1L_EUlS1K_E_NS1_11comp_targetILNS1_3genE5ELNS1_11target_archE942ELNS1_3gpuE9ELNS1_3repE0EEENS1_30default_config_static_selectorELNS0_4arch9wavefront6targetE0EEEvSY_ ; -- Begin function _ZN7rocprim17ROCPRIM_400000_NS6detail17trampoline_kernelINS0_13select_configILj256ELj13ELNS0_17block_load_methodE3ELS4_3ELS4_3ELNS0_20block_scan_algorithmE0ELj4294967295EEENS1_25partition_config_selectorILNS1_17partition_subalgoE3EjNS0_10empty_typeEbEEZZNS1_14partition_implILS8_3ELb0ES6_jNS0_17counting_iteratorIjlEEPS9_SE_NS0_5tupleIJPjSE_EEENSF_IJSE_SE_EEES9_SG_JZNS1_25segmented_radix_sort_implINS0_14default_configELb0EPKiPiPKlPlN2at6native12_GLOBAL__N_18offset_tEEE10hipError_tPvRmT1_PNSt15iterator_traitsISY_E10value_typeET2_T3_PNSZ_IS14_E10value_typeET4_jRbjT5_S1A_jjP12ihipStream_tbEUljE_EEESV_SW_SX_S14_S18_S1A_T6_T7_T9_mT8_S1C_bDpT10_ENKUlT_T0_E_clISt17integral_constantIbLb1EES1P_EEDaS1K_S1L_EUlS1K_E_NS1_11comp_targetILNS1_3genE5ELNS1_11target_archE942ELNS1_3gpuE9ELNS1_3repE0EEENS1_30default_config_static_selectorELNS0_4arch9wavefront6targetE0EEEvSY_
	.p2align	8
	.type	_ZN7rocprim17ROCPRIM_400000_NS6detail17trampoline_kernelINS0_13select_configILj256ELj13ELNS0_17block_load_methodE3ELS4_3ELS4_3ELNS0_20block_scan_algorithmE0ELj4294967295EEENS1_25partition_config_selectorILNS1_17partition_subalgoE3EjNS0_10empty_typeEbEEZZNS1_14partition_implILS8_3ELb0ES6_jNS0_17counting_iteratorIjlEEPS9_SE_NS0_5tupleIJPjSE_EEENSF_IJSE_SE_EEES9_SG_JZNS1_25segmented_radix_sort_implINS0_14default_configELb0EPKiPiPKlPlN2at6native12_GLOBAL__N_18offset_tEEE10hipError_tPvRmT1_PNSt15iterator_traitsISY_E10value_typeET2_T3_PNSZ_IS14_E10value_typeET4_jRbjT5_S1A_jjP12ihipStream_tbEUljE_EEESV_SW_SX_S14_S18_S1A_T6_T7_T9_mT8_S1C_bDpT10_ENKUlT_T0_E_clISt17integral_constantIbLb1EES1P_EEDaS1K_S1L_EUlS1K_E_NS1_11comp_targetILNS1_3genE5ELNS1_11target_archE942ELNS1_3gpuE9ELNS1_3repE0EEENS1_30default_config_static_selectorELNS0_4arch9wavefront6targetE0EEEvSY_,@function
_ZN7rocprim17ROCPRIM_400000_NS6detail17trampoline_kernelINS0_13select_configILj256ELj13ELNS0_17block_load_methodE3ELS4_3ELS4_3ELNS0_20block_scan_algorithmE0ELj4294967295EEENS1_25partition_config_selectorILNS1_17partition_subalgoE3EjNS0_10empty_typeEbEEZZNS1_14partition_implILS8_3ELb0ES6_jNS0_17counting_iteratorIjlEEPS9_SE_NS0_5tupleIJPjSE_EEENSF_IJSE_SE_EEES9_SG_JZNS1_25segmented_radix_sort_implINS0_14default_configELb0EPKiPiPKlPlN2at6native12_GLOBAL__N_18offset_tEEE10hipError_tPvRmT1_PNSt15iterator_traitsISY_E10value_typeET2_T3_PNSZ_IS14_E10value_typeET4_jRbjT5_S1A_jjP12ihipStream_tbEUljE_EEESV_SW_SX_S14_S18_S1A_T6_T7_T9_mT8_S1C_bDpT10_ENKUlT_T0_E_clISt17integral_constantIbLb1EES1P_EEDaS1K_S1L_EUlS1K_E_NS1_11comp_targetILNS1_3genE5ELNS1_11target_archE942ELNS1_3gpuE9ELNS1_3repE0EEENS1_30default_config_static_selectorELNS0_4arch9wavefront6targetE0EEEvSY_: ; @_ZN7rocprim17ROCPRIM_400000_NS6detail17trampoline_kernelINS0_13select_configILj256ELj13ELNS0_17block_load_methodE3ELS4_3ELS4_3ELNS0_20block_scan_algorithmE0ELj4294967295EEENS1_25partition_config_selectorILNS1_17partition_subalgoE3EjNS0_10empty_typeEbEEZZNS1_14partition_implILS8_3ELb0ES6_jNS0_17counting_iteratorIjlEEPS9_SE_NS0_5tupleIJPjSE_EEENSF_IJSE_SE_EEES9_SG_JZNS1_25segmented_radix_sort_implINS0_14default_configELb0EPKiPiPKlPlN2at6native12_GLOBAL__N_18offset_tEEE10hipError_tPvRmT1_PNSt15iterator_traitsISY_E10value_typeET2_T3_PNSZ_IS14_E10value_typeET4_jRbjT5_S1A_jjP12ihipStream_tbEUljE_EEESV_SW_SX_S14_S18_S1A_T6_T7_T9_mT8_S1C_bDpT10_ENKUlT_T0_E_clISt17integral_constantIbLb1EES1P_EEDaS1K_S1L_EUlS1K_E_NS1_11comp_targetILNS1_3genE5ELNS1_11target_archE942ELNS1_3gpuE9ELNS1_3repE0EEENS1_30default_config_static_selectorELNS0_4arch9wavefront6targetE0EEEvSY_
; %bb.0:
	.section	.rodata,"a",@progbits
	.p2align	6, 0x0
	.amdhsa_kernel _ZN7rocprim17ROCPRIM_400000_NS6detail17trampoline_kernelINS0_13select_configILj256ELj13ELNS0_17block_load_methodE3ELS4_3ELS4_3ELNS0_20block_scan_algorithmE0ELj4294967295EEENS1_25partition_config_selectorILNS1_17partition_subalgoE3EjNS0_10empty_typeEbEEZZNS1_14partition_implILS8_3ELb0ES6_jNS0_17counting_iteratorIjlEEPS9_SE_NS0_5tupleIJPjSE_EEENSF_IJSE_SE_EEES9_SG_JZNS1_25segmented_radix_sort_implINS0_14default_configELb0EPKiPiPKlPlN2at6native12_GLOBAL__N_18offset_tEEE10hipError_tPvRmT1_PNSt15iterator_traitsISY_E10value_typeET2_T3_PNSZ_IS14_E10value_typeET4_jRbjT5_S1A_jjP12ihipStream_tbEUljE_EEESV_SW_SX_S14_S18_S1A_T6_T7_T9_mT8_S1C_bDpT10_ENKUlT_T0_E_clISt17integral_constantIbLb1EES1P_EEDaS1K_S1L_EUlS1K_E_NS1_11comp_targetILNS1_3genE5ELNS1_11target_archE942ELNS1_3gpuE9ELNS1_3repE0EEENS1_30default_config_static_selectorELNS0_4arch9wavefront6targetE0EEEvSY_
		.amdhsa_group_segment_fixed_size 0
		.amdhsa_private_segment_fixed_size 0
		.amdhsa_kernarg_size 152
		.amdhsa_user_sgpr_count 2
		.amdhsa_user_sgpr_dispatch_ptr 0
		.amdhsa_user_sgpr_queue_ptr 0
		.amdhsa_user_sgpr_kernarg_segment_ptr 1
		.amdhsa_user_sgpr_dispatch_id 0
		.amdhsa_user_sgpr_kernarg_preload_length 0
		.amdhsa_user_sgpr_kernarg_preload_offset 0
		.amdhsa_user_sgpr_private_segment_size 0
		.amdhsa_wavefront_size32 1
		.amdhsa_uses_dynamic_stack 0
		.amdhsa_enable_private_segment 0
		.amdhsa_system_sgpr_workgroup_id_x 1
		.amdhsa_system_sgpr_workgroup_id_y 0
		.amdhsa_system_sgpr_workgroup_id_z 0
		.amdhsa_system_sgpr_workgroup_info 0
		.amdhsa_system_vgpr_workitem_id 0
		.amdhsa_next_free_vgpr 1
		.amdhsa_next_free_sgpr 1
		.amdhsa_named_barrier_count 0
		.amdhsa_reserve_vcc 0
		.amdhsa_float_round_mode_32 0
		.amdhsa_float_round_mode_16_64 0
		.amdhsa_float_denorm_mode_32 3
		.amdhsa_float_denorm_mode_16_64 3
		.amdhsa_fp16_overflow 0
		.amdhsa_memory_ordered 1
		.amdhsa_forward_progress 1
		.amdhsa_inst_pref_size 0
		.amdhsa_round_robin_scheduling 0
		.amdhsa_exception_fp_ieee_invalid_op 0
		.amdhsa_exception_fp_denorm_src 0
		.amdhsa_exception_fp_ieee_div_zero 0
		.amdhsa_exception_fp_ieee_overflow 0
		.amdhsa_exception_fp_ieee_underflow 0
		.amdhsa_exception_fp_ieee_inexact 0
		.amdhsa_exception_int_div_zero 0
	.end_amdhsa_kernel
	.section	.text._ZN7rocprim17ROCPRIM_400000_NS6detail17trampoline_kernelINS0_13select_configILj256ELj13ELNS0_17block_load_methodE3ELS4_3ELS4_3ELNS0_20block_scan_algorithmE0ELj4294967295EEENS1_25partition_config_selectorILNS1_17partition_subalgoE3EjNS0_10empty_typeEbEEZZNS1_14partition_implILS8_3ELb0ES6_jNS0_17counting_iteratorIjlEEPS9_SE_NS0_5tupleIJPjSE_EEENSF_IJSE_SE_EEES9_SG_JZNS1_25segmented_radix_sort_implINS0_14default_configELb0EPKiPiPKlPlN2at6native12_GLOBAL__N_18offset_tEEE10hipError_tPvRmT1_PNSt15iterator_traitsISY_E10value_typeET2_T3_PNSZ_IS14_E10value_typeET4_jRbjT5_S1A_jjP12ihipStream_tbEUljE_EEESV_SW_SX_S14_S18_S1A_T6_T7_T9_mT8_S1C_bDpT10_ENKUlT_T0_E_clISt17integral_constantIbLb1EES1P_EEDaS1K_S1L_EUlS1K_E_NS1_11comp_targetILNS1_3genE5ELNS1_11target_archE942ELNS1_3gpuE9ELNS1_3repE0EEENS1_30default_config_static_selectorELNS0_4arch9wavefront6targetE0EEEvSY_,"axG",@progbits,_ZN7rocprim17ROCPRIM_400000_NS6detail17trampoline_kernelINS0_13select_configILj256ELj13ELNS0_17block_load_methodE3ELS4_3ELS4_3ELNS0_20block_scan_algorithmE0ELj4294967295EEENS1_25partition_config_selectorILNS1_17partition_subalgoE3EjNS0_10empty_typeEbEEZZNS1_14partition_implILS8_3ELb0ES6_jNS0_17counting_iteratorIjlEEPS9_SE_NS0_5tupleIJPjSE_EEENSF_IJSE_SE_EEES9_SG_JZNS1_25segmented_radix_sort_implINS0_14default_configELb0EPKiPiPKlPlN2at6native12_GLOBAL__N_18offset_tEEE10hipError_tPvRmT1_PNSt15iterator_traitsISY_E10value_typeET2_T3_PNSZ_IS14_E10value_typeET4_jRbjT5_S1A_jjP12ihipStream_tbEUljE_EEESV_SW_SX_S14_S18_S1A_T6_T7_T9_mT8_S1C_bDpT10_ENKUlT_T0_E_clISt17integral_constantIbLb1EES1P_EEDaS1K_S1L_EUlS1K_E_NS1_11comp_targetILNS1_3genE5ELNS1_11target_archE942ELNS1_3gpuE9ELNS1_3repE0EEENS1_30default_config_static_selectorELNS0_4arch9wavefront6targetE0EEEvSY_,comdat
.Lfunc_end573:
	.size	_ZN7rocprim17ROCPRIM_400000_NS6detail17trampoline_kernelINS0_13select_configILj256ELj13ELNS0_17block_load_methodE3ELS4_3ELS4_3ELNS0_20block_scan_algorithmE0ELj4294967295EEENS1_25partition_config_selectorILNS1_17partition_subalgoE3EjNS0_10empty_typeEbEEZZNS1_14partition_implILS8_3ELb0ES6_jNS0_17counting_iteratorIjlEEPS9_SE_NS0_5tupleIJPjSE_EEENSF_IJSE_SE_EEES9_SG_JZNS1_25segmented_radix_sort_implINS0_14default_configELb0EPKiPiPKlPlN2at6native12_GLOBAL__N_18offset_tEEE10hipError_tPvRmT1_PNSt15iterator_traitsISY_E10value_typeET2_T3_PNSZ_IS14_E10value_typeET4_jRbjT5_S1A_jjP12ihipStream_tbEUljE_EEESV_SW_SX_S14_S18_S1A_T6_T7_T9_mT8_S1C_bDpT10_ENKUlT_T0_E_clISt17integral_constantIbLb1EES1P_EEDaS1K_S1L_EUlS1K_E_NS1_11comp_targetILNS1_3genE5ELNS1_11target_archE942ELNS1_3gpuE9ELNS1_3repE0EEENS1_30default_config_static_selectorELNS0_4arch9wavefront6targetE0EEEvSY_, .Lfunc_end573-_ZN7rocprim17ROCPRIM_400000_NS6detail17trampoline_kernelINS0_13select_configILj256ELj13ELNS0_17block_load_methodE3ELS4_3ELS4_3ELNS0_20block_scan_algorithmE0ELj4294967295EEENS1_25partition_config_selectorILNS1_17partition_subalgoE3EjNS0_10empty_typeEbEEZZNS1_14partition_implILS8_3ELb0ES6_jNS0_17counting_iteratorIjlEEPS9_SE_NS0_5tupleIJPjSE_EEENSF_IJSE_SE_EEES9_SG_JZNS1_25segmented_radix_sort_implINS0_14default_configELb0EPKiPiPKlPlN2at6native12_GLOBAL__N_18offset_tEEE10hipError_tPvRmT1_PNSt15iterator_traitsISY_E10value_typeET2_T3_PNSZ_IS14_E10value_typeET4_jRbjT5_S1A_jjP12ihipStream_tbEUljE_EEESV_SW_SX_S14_S18_S1A_T6_T7_T9_mT8_S1C_bDpT10_ENKUlT_T0_E_clISt17integral_constantIbLb1EES1P_EEDaS1K_S1L_EUlS1K_E_NS1_11comp_targetILNS1_3genE5ELNS1_11target_archE942ELNS1_3gpuE9ELNS1_3repE0EEENS1_30default_config_static_selectorELNS0_4arch9wavefront6targetE0EEEvSY_
                                        ; -- End function
	.set _ZN7rocprim17ROCPRIM_400000_NS6detail17trampoline_kernelINS0_13select_configILj256ELj13ELNS0_17block_load_methodE3ELS4_3ELS4_3ELNS0_20block_scan_algorithmE0ELj4294967295EEENS1_25partition_config_selectorILNS1_17partition_subalgoE3EjNS0_10empty_typeEbEEZZNS1_14partition_implILS8_3ELb0ES6_jNS0_17counting_iteratorIjlEEPS9_SE_NS0_5tupleIJPjSE_EEENSF_IJSE_SE_EEES9_SG_JZNS1_25segmented_radix_sort_implINS0_14default_configELb0EPKiPiPKlPlN2at6native12_GLOBAL__N_18offset_tEEE10hipError_tPvRmT1_PNSt15iterator_traitsISY_E10value_typeET2_T3_PNSZ_IS14_E10value_typeET4_jRbjT5_S1A_jjP12ihipStream_tbEUljE_EEESV_SW_SX_S14_S18_S1A_T6_T7_T9_mT8_S1C_bDpT10_ENKUlT_T0_E_clISt17integral_constantIbLb1EES1P_EEDaS1K_S1L_EUlS1K_E_NS1_11comp_targetILNS1_3genE5ELNS1_11target_archE942ELNS1_3gpuE9ELNS1_3repE0EEENS1_30default_config_static_selectorELNS0_4arch9wavefront6targetE0EEEvSY_.num_vgpr, 0
	.set _ZN7rocprim17ROCPRIM_400000_NS6detail17trampoline_kernelINS0_13select_configILj256ELj13ELNS0_17block_load_methodE3ELS4_3ELS4_3ELNS0_20block_scan_algorithmE0ELj4294967295EEENS1_25partition_config_selectorILNS1_17partition_subalgoE3EjNS0_10empty_typeEbEEZZNS1_14partition_implILS8_3ELb0ES6_jNS0_17counting_iteratorIjlEEPS9_SE_NS0_5tupleIJPjSE_EEENSF_IJSE_SE_EEES9_SG_JZNS1_25segmented_radix_sort_implINS0_14default_configELb0EPKiPiPKlPlN2at6native12_GLOBAL__N_18offset_tEEE10hipError_tPvRmT1_PNSt15iterator_traitsISY_E10value_typeET2_T3_PNSZ_IS14_E10value_typeET4_jRbjT5_S1A_jjP12ihipStream_tbEUljE_EEESV_SW_SX_S14_S18_S1A_T6_T7_T9_mT8_S1C_bDpT10_ENKUlT_T0_E_clISt17integral_constantIbLb1EES1P_EEDaS1K_S1L_EUlS1K_E_NS1_11comp_targetILNS1_3genE5ELNS1_11target_archE942ELNS1_3gpuE9ELNS1_3repE0EEENS1_30default_config_static_selectorELNS0_4arch9wavefront6targetE0EEEvSY_.num_agpr, 0
	.set _ZN7rocprim17ROCPRIM_400000_NS6detail17trampoline_kernelINS0_13select_configILj256ELj13ELNS0_17block_load_methodE3ELS4_3ELS4_3ELNS0_20block_scan_algorithmE0ELj4294967295EEENS1_25partition_config_selectorILNS1_17partition_subalgoE3EjNS0_10empty_typeEbEEZZNS1_14partition_implILS8_3ELb0ES6_jNS0_17counting_iteratorIjlEEPS9_SE_NS0_5tupleIJPjSE_EEENSF_IJSE_SE_EEES9_SG_JZNS1_25segmented_radix_sort_implINS0_14default_configELb0EPKiPiPKlPlN2at6native12_GLOBAL__N_18offset_tEEE10hipError_tPvRmT1_PNSt15iterator_traitsISY_E10value_typeET2_T3_PNSZ_IS14_E10value_typeET4_jRbjT5_S1A_jjP12ihipStream_tbEUljE_EEESV_SW_SX_S14_S18_S1A_T6_T7_T9_mT8_S1C_bDpT10_ENKUlT_T0_E_clISt17integral_constantIbLb1EES1P_EEDaS1K_S1L_EUlS1K_E_NS1_11comp_targetILNS1_3genE5ELNS1_11target_archE942ELNS1_3gpuE9ELNS1_3repE0EEENS1_30default_config_static_selectorELNS0_4arch9wavefront6targetE0EEEvSY_.numbered_sgpr, 0
	.set _ZN7rocprim17ROCPRIM_400000_NS6detail17trampoline_kernelINS0_13select_configILj256ELj13ELNS0_17block_load_methodE3ELS4_3ELS4_3ELNS0_20block_scan_algorithmE0ELj4294967295EEENS1_25partition_config_selectorILNS1_17partition_subalgoE3EjNS0_10empty_typeEbEEZZNS1_14partition_implILS8_3ELb0ES6_jNS0_17counting_iteratorIjlEEPS9_SE_NS0_5tupleIJPjSE_EEENSF_IJSE_SE_EEES9_SG_JZNS1_25segmented_radix_sort_implINS0_14default_configELb0EPKiPiPKlPlN2at6native12_GLOBAL__N_18offset_tEEE10hipError_tPvRmT1_PNSt15iterator_traitsISY_E10value_typeET2_T3_PNSZ_IS14_E10value_typeET4_jRbjT5_S1A_jjP12ihipStream_tbEUljE_EEESV_SW_SX_S14_S18_S1A_T6_T7_T9_mT8_S1C_bDpT10_ENKUlT_T0_E_clISt17integral_constantIbLb1EES1P_EEDaS1K_S1L_EUlS1K_E_NS1_11comp_targetILNS1_3genE5ELNS1_11target_archE942ELNS1_3gpuE9ELNS1_3repE0EEENS1_30default_config_static_selectorELNS0_4arch9wavefront6targetE0EEEvSY_.num_named_barrier, 0
	.set _ZN7rocprim17ROCPRIM_400000_NS6detail17trampoline_kernelINS0_13select_configILj256ELj13ELNS0_17block_load_methodE3ELS4_3ELS4_3ELNS0_20block_scan_algorithmE0ELj4294967295EEENS1_25partition_config_selectorILNS1_17partition_subalgoE3EjNS0_10empty_typeEbEEZZNS1_14partition_implILS8_3ELb0ES6_jNS0_17counting_iteratorIjlEEPS9_SE_NS0_5tupleIJPjSE_EEENSF_IJSE_SE_EEES9_SG_JZNS1_25segmented_radix_sort_implINS0_14default_configELb0EPKiPiPKlPlN2at6native12_GLOBAL__N_18offset_tEEE10hipError_tPvRmT1_PNSt15iterator_traitsISY_E10value_typeET2_T3_PNSZ_IS14_E10value_typeET4_jRbjT5_S1A_jjP12ihipStream_tbEUljE_EEESV_SW_SX_S14_S18_S1A_T6_T7_T9_mT8_S1C_bDpT10_ENKUlT_T0_E_clISt17integral_constantIbLb1EES1P_EEDaS1K_S1L_EUlS1K_E_NS1_11comp_targetILNS1_3genE5ELNS1_11target_archE942ELNS1_3gpuE9ELNS1_3repE0EEENS1_30default_config_static_selectorELNS0_4arch9wavefront6targetE0EEEvSY_.private_seg_size, 0
	.set _ZN7rocprim17ROCPRIM_400000_NS6detail17trampoline_kernelINS0_13select_configILj256ELj13ELNS0_17block_load_methodE3ELS4_3ELS4_3ELNS0_20block_scan_algorithmE0ELj4294967295EEENS1_25partition_config_selectorILNS1_17partition_subalgoE3EjNS0_10empty_typeEbEEZZNS1_14partition_implILS8_3ELb0ES6_jNS0_17counting_iteratorIjlEEPS9_SE_NS0_5tupleIJPjSE_EEENSF_IJSE_SE_EEES9_SG_JZNS1_25segmented_radix_sort_implINS0_14default_configELb0EPKiPiPKlPlN2at6native12_GLOBAL__N_18offset_tEEE10hipError_tPvRmT1_PNSt15iterator_traitsISY_E10value_typeET2_T3_PNSZ_IS14_E10value_typeET4_jRbjT5_S1A_jjP12ihipStream_tbEUljE_EEESV_SW_SX_S14_S18_S1A_T6_T7_T9_mT8_S1C_bDpT10_ENKUlT_T0_E_clISt17integral_constantIbLb1EES1P_EEDaS1K_S1L_EUlS1K_E_NS1_11comp_targetILNS1_3genE5ELNS1_11target_archE942ELNS1_3gpuE9ELNS1_3repE0EEENS1_30default_config_static_selectorELNS0_4arch9wavefront6targetE0EEEvSY_.uses_vcc, 0
	.set _ZN7rocprim17ROCPRIM_400000_NS6detail17trampoline_kernelINS0_13select_configILj256ELj13ELNS0_17block_load_methodE3ELS4_3ELS4_3ELNS0_20block_scan_algorithmE0ELj4294967295EEENS1_25partition_config_selectorILNS1_17partition_subalgoE3EjNS0_10empty_typeEbEEZZNS1_14partition_implILS8_3ELb0ES6_jNS0_17counting_iteratorIjlEEPS9_SE_NS0_5tupleIJPjSE_EEENSF_IJSE_SE_EEES9_SG_JZNS1_25segmented_radix_sort_implINS0_14default_configELb0EPKiPiPKlPlN2at6native12_GLOBAL__N_18offset_tEEE10hipError_tPvRmT1_PNSt15iterator_traitsISY_E10value_typeET2_T3_PNSZ_IS14_E10value_typeET4_jRbjT5_S1A_jjP12ihipStream_tbEUljE_EEESV_SW_SX_S14_S18_S1A_T6_T7_T9_mT8_S1C_bDpT10_ENKUlT_T0_E_clISt17integral_constantIbLb1EES1P_EEDaS1K_S1L_EUlS1K_E_NS1_11comp_targetILNS1_3genE5ELNS1_11target_archE942ELNS1_3gpuE9ELNS1_3repE0EEENS1_30default_config_static_selectorELNS0_4arch9wavefront6targetE0EEEvSY_.uses_flat_scratch, 0
	.set _ZN7rocprim17ROCPRIM_400000_NS6detail17trampoline_kernelINS0_13select_configILj256ELj13ELNS0_17block_load_methodE3ELS4_3ELS4_3ELNS0_20block_scan_algorithmE0ELj4294967295EEENS1_25partition_config_selectorILNS1_17partition_subalgoE3EjNS0_10empty_typeEbEEZZNS1_14partition_implILS8_3ELb0ES6_jNS0_17counting_iteratorIjlEEPS9_SE_NS0_5tupleIJPjSE_EEENSF_IJSE_SE_EEES9_SG_JZNS1_25segmented_radix_sort_implINS0_14default_configELb0EPKiPiPKlPlN2at6native12_GLOBAL__N_18offset_tEEE10hipError_tPvRmT1_PNSt15iterator_traitsISY_E10value_typeET2_T3_PNSZ_IS14_E10value_typeET4_jRbjT5_S1A_jjP12ihipStream_tbEUljE_EEESV_SW_SX_S14_S18_S1A_T6_T7_T9_mT8_S1C_bDpT10_ENKUlT_T0_E_clISt17integral_constantIbLb1EES1P_EEDaS1K_S1L_EUlS1K_E_NS1_11comp_targetILNS1_3genE5ELNS1_11target_archE942ELNS1_3gpuE9ELNS1_3repE0EEENS1_30default_config_static_selectorELNS0_4arch9wavefront6targetE0EEEvSY_.has_dyn_sized_stack, 0
	.set _ZN7rocprim17ROCPRIM_400000_NS6detail17trampoline_kernelINS0_13select_configILj256ELj13ELNS0_17block_load_methodE3ELS4_3ELS4_3ELNS0_20block_scan_algorithmE0ELj4294967295EEENS1_25partition_config_selectorILNS1_17partition_subalgoE3EjNS0_10empty_typeEbEEZZNS1_14partition_implILS8_3ELb0ES6_jNS0_17counting_iteratorIjlEEPS9_SE_NS0_5tupleIJPjSE_EEENSF_IJSE_SE_EEES9_SG_JZNS1_25segmented_radix_sort_implINS0_14default_configELb0EPKiPiPKlPlN2at6native12_GLOBAL__N_18offset_tEEE10hipError_tPvRmT1_PNSt15iterator_traitsISY_E10value_typeET2_T3_PNSZ_IS14_E10value_typeET4_jRbjT5_S1A_jjP12ihipStream_tbEUljE_EEESV_SW_SX_S14_S18_S1A_T6_T7_T9_mT8_S1C_bDpT10_ENKUlT_T0_E_clISt17integral_constantIbLb1EES1P_EEDaS1K_S1L_EUlS1K_E_NS1_11comp_targetILNS1_3genE5ELNS1_11target_archE942ELNS1_3gpuE9ELNS1_3repE0EEENS1_30default_config_static_selectorELNS0_4arch9wavefront6targetE0EEEvSY_.has_recursion, 0
	.set _ZN7rocprim17ROCPRIM_400000_NS6detail17trampoline_kernelINS0_13select_configILj256ELj13ELNS0_17block_load_methodE3ELS4_3ELS4_3ELNS0_20block_scan_algorithmE0ELj4294967295EEENS1_25partition_config_selectorILNS1_17partition_subalgoE3EjNS0_10empty_typeEbEEZZNS1_14partition_implILS8_3ELb0ES6_jNS0_17counting_iteratorIjlEEPS9_SE_NS0_5tupleIJPjSE_EEENSF_IJSE_SE_EEES9_SG_JZNS1_25segmented_radix_sort_implINS0_14default_configELb0EPKiPiPKlPlN2at6native12_GLOBAL__N_18offset_tEEE10hipError_tPvRmT1_PNSt15iterator_traitsISY_E10value_typeET2_T3_PNSZ_IS14_E10value_typeET4_jRbjT5_S1A_jjP12ihipStream_tbEUljE_EEESV_SW_SX_S14_S18_S1A_T6_T7_T9_mT8_S1C_bDpT10_ENKUlT_T0_E_clISt17integral_constantIbLb1EES1P_EEDaS1K_S1L_EUlS1K_E_NS1_11comp_targetILNS1_3genE5ELNS1_11target_archE942ELNS1_3gpuE9ELNS1_3repE0EEENS1_30default_config_static_selectorELNS0_4arch9wavefront6targetE0EEEvSY_.has_indirect_call, 0
	.section	.AMDGPU.csdata,"",@progbits
; Kernel info:
; codeLenInByte = 0
; TotalNumSgprs: 0
; NumVgprs: 0
; ScratchSize: 0
; MemoryBound: 0
; FloatMode: 240
; IeeeMode: 1
; LDSByteSize: 0 bytes/workgroup (compile time only)
; SGPRBlocks: 0
; VGPRBlocks: 0
; NumSGPRsForWavesPerEU: 1
; NumVGPRsForWavesPerEU: 1
; NamedBarCnt: 0
; Occupancy: 16
; WaveLimiterHint : 0
; COMPUTE_PGM_RSRC2:SCRATCH_EN: 0
; COMPUTE_PGM_RSRC2:USER_SGPR: 2
; COMPUTE_PGM_RSRC2:TRAP_HANDLER: 0
; COMPUTE_PGM_RSRC2:TGID_X_EN: 1
; COMPUTE_PGM_RSRC2:TGID_Y_EN: 0
; COMPUTE_PGM_RSRC2:TGID_Z_EN: 0
; COMPUTE_PGM_RSRC2:TIDIG_COMP_CNT: 0
	.section	.text._ZN7rocprim17ROCPRIM_400000_NS6detail17trampoline_kernelINS0_13select_configILj256ELj13ELNS0_17block_load_methodE3ELS4_3ELS4_3ELNS0_20block_scan_algorithmE0ELj4294967295EEENS1_25partition_config_selectorILNS1_17partition_subalgoE3EjNS0_10empty_typeEbEEZZNS1_14partition_implILS8_3ELb0ES6_jNS0_17counting_iteratorIjlEEPS9_SE_NS0_5tupleIJPjSE_EEENSF_IJSE_SE_EEES9_SG_JZNS1_25segmented_radix_sort_implINS0_14default_configELb0EPKiPiPKlPlN2at6native12_GLOBAL__N_18offset_tEEE10hipError_tPvRmT1_PNSt15iterator_traitsISY_E10value_typeET2_T3_PNSZ_IS14_E10value_typeET4_jRbjT5_S1A_jjP12ihipStream_tbEUljE_EEESV_SW_SX_S14_S18_S1A_T6_T7_T9_mT8_S1C_bDpT10_ENKUlT_T0_E_clISt17integral_constantIbLb1EES1P_EEDaS1K_S1L_EUlS1K_E_NS1_11comp_targetILNS1_3genE4ELNS1_11target_archE910ELNS1_3gpuE8ELNS1_3repE0EEENS1_30default_config_static_selectorELNS0_4arch9wavefront6targetE0EEEvSY_,"axG",@progbits,_ZN7rocprim17ROCPRIM_400000_NS6detail17trampoline_kernelINS0_13select_configILj256ELj13ELNS0_17block_load_methodE3ELS4_3ELS4_3ELNS0_20block_scan_algorithmE0ELj4294967295EEENS1_25partition_config_selectorILNS1_17partition_subalgoE3EjNS0_10empty_typeEbEEZZNS1_14partition_implILS8_3ELb0ES6_jNS0_17counting_iteratorIjlEEPS9_SE_NS0_5tupleIJPjSE_EEENSF_IJSE_SE_EEES9_SG_JZNS1_25segmented_radix_sort_implINS0_14default_configELb0EPKiPiPKlPlN2at6native12_GLOBAL__N_18offset_tEEE10hipError_tPvRmT1_PNSt15iterator_traitsISY_E10value_typeET2_T3_PNSZ_IS14_E10value_typeET4_jRbjT5_S1A_jjP12ihipStream_tbEUljE_EEESV_SW_SX_S14_S18_S1A_T6_T7_T9_mT8_S1C_bDpT10_ENKUlT_T0_E_clISt17integral_constantIbLb1EES1P_EEDaS1K_S1L_EUlS1K_E_NS1_11comp_targetILNS1_3genE4ELNS1_11target_archE910ELNS1_3gpuE8ELNS1_3repE0EEENS1_30default_config_static_selectorELNS0_4arch9wavefront6targetE0EEEvSY_,comdat
	.globl	_ZN7rocprim17ROCPRIM_400000_NS6detail17trampoline_kernelINS0_13select_configILj256ELj13ELNS0_17block_load_methodE3ELS4_3ELS4_3ELNS0_20block_scan_algorithmE0ELj4294967295EEENS1_25partition_config_selectorILNS1_17partition_subalgoE3EjNS0_10empty_typeEbEEZZNS1_14partition_implILS8_3ELb0ES6_jNS0_17counting_iteratorIjlEEPS9_SE_NS0_5tupleIJPjSE_EEENSF_IJSE_SE_EEES9_SG_JZNS1_25segmented_radix_sort_implINS0_14default_configELb0EPKiPiPKlPlN2at6native12_GLOBAL__N_18offset_tEEE10hipError_tPvRmT1_PNSt15iterator_traitsISY_E10value_typeET2_T3_PNSZ_IS14_E10value_typeET4_jRbjT5_S1A_jjP12ihipStream_tbEUljE_EEESV_SW_SX_S14_S18_S1A_T6_T7_T9_mT8_S1C_bDpT10_ENKUlT_T0_E_clISt17integral_constantIbLb1EES1P_EEDaS1K_S1L_EUlS1K_E_NS1_11comp_targetILNS1_3genE4ELNS1_11target_archE910ELNS1_3gpuE8ELNS1_3repE0EEENS1_30default_config_static_selectorELNS0_4arch9wavefront6targetE0EEEvSY_ ; -- Begin function _ZN7rocprim17ROCPRIM_400000_NS6detail17trampoline_kernelINS0_13select_configILj256ELj13ELNS0_17block_load_methodE3ELS4_3ELS4_3ELNS0_20block_scan_algorithmE0ELj4294967295EEENS1_25partition_config_selectorILNS1_17partition_subalgoE3EjNS0_10empty_typeEbEEZZNS1_14partition_implILS8_3ELb0ES6_jNS0_17counting_iteratorIjlEEPS9_SE_NS0_5tupleIJPjSE_EEENSF_IJSE_SE_EEES9_SG_JZNS1_25segmented_radix_sort_implINS0_14default_configELb0EPKiPiPKlPlN2at6native12_GLOBAL__N_18offset_tEEE10hipError_tPvRmT1_PNSt15iterator_traitsISY_E10value_typeET2_T3_PNSZ_IS14_E10value_typeET4_jRbjT5_S1A_jjP12ihipStream_tbEUljE_EEESV_SW_SX_S14_S18_S1A_T6_T7_T9_mT8_S1C_bDpT10_ENKUlT_T0_E_clISt17integral_constantIbLb1EES1P_EEDaS1K_S1L_EUlS1K_E_NS1_11comp_targetILNS1_3genE4ELNS1_11target_archE910ELNS1_3gpuE8ELNS1_3repE0EEENS1_30default_config_static_selectorELNS0_4arch9wavefront6targetE0EEEvSY_
	.p2align	8
	.type	_ZN7rocprim17ROCPRIM_400000_NS6detail17trampoline_kernelINS0_13select_configILj256ELj13ELNS0_17block_load_methodE3ELS4_3ELS4_3ELNS0_20block_scan_algorithmE0ELj4294967295EEENS1_25partition_config_selectorILNS1_17partition_subalgoE3EjNS0_10empty_typeEbEEZZNS1_14partition_implILS8_3ELb0ES6_jNS0_17counting_iteratorIjlEEPS9_SE_NS0_5tupleIJPjSE_EEENSF_IJSE_SE_EEES9_SG_JZNS1_25segmented_radix_sort_implINS0_14default_configELb0EPKiPiPKlPlN2at6native12_GLOBAL__N_18offset_tEEE10hipError_tPvRmT1_PNSt15iterator_traitsISY_E10value_typeET2_T3_PNSZ_IS14_E10value_typeET4_jRbjT5_S1A_jjP12ihipStream_tbEUljE_EEESV_SW_SX_S14_S18_S1A_T6_T7_T9_mT8_S1C_bDpT10_ENKUlT_T0_E_clISt17integral_constantIbLb1EES1P_EEDaS1K_S1L_EUlS1K_E_NS1_11comp_targetILNS1_3genE4ELNS1_11target_archE910ELNS1_3gpuE8ELNS1_3repE0EEENS1_30default_config_static_selectorELNS0_4arch9wavefront6targetE0EEEvSY_,@function
_ZN7rocprim17ROCPRIM_400000_NS6detail17trampoline_kernelINS0_13select_configILj256ELj13ELNS0_17block_load_methodE3ELS4_3ELS4_3ELNS0_20block_scan_algorithmE0ELj4294967295EEENS1_25partition_config_selectorILNS1_17partition_subalgoE3EjNS0_10empty_typeEbEEZZNS1_14partition_implILS8_3ELb0ES6_jNS0_17counting_iteratorIjlEEPS9_SE_NS0_5tupleIJPjSE_EEENSF_IJSE_SE_EEES9_SG_JZNS1_25segmented_radix_sort_implINS0_14default_configELb0EPKiPiPKlPlN2at6native12_GLOBAL__N_18offset_tEEE10hipError_tPvRmT1_PNSt15iterator_traitsISY_E10value_typeET2_T3_PNSZ_IS14_E10value_typeET4_jRbjT5_S1A_jjP12ihipStream_tbEUljE_EEESV_SW_SX_S14_S18_S1A_T6_T7_T9_mT8_S1C_bDpT10_ENKUlT_T0_E_clISt17integral_constantIbLb1EES1P_EEDaS1K_S1L_EUlS1K_E_NS1_11comp_targetILNS1_3genE4ELNS1_11target_archE910ELNS1_3gpuE8ELNS1_3repE0EEENS1_30default_config_static_selectorELNS0_4arch9wavefront6targetE0EEEvSY_: ; @_ZN7rocprim17ROCPRIM_400000_NS6detail17trampoline_kernelINS0_13select_configILj256ELj13ELNS0_17block_load_methodE3ELS4_3ELS4_3ELNS0_20block_scan_algorithmE0ELj4294967295EEENS1_25partition_config_selectorILNS1_17partition_subalgoE3EjNS0_10empty_typeEbEEZZNS1_14partition_implILS8_3ELb0ES6_jNS0_17counting_iteratorIjlEEPS9_SE_NS0_5tupleIJPjSE_EEENSF_IJSE_SE_EEES9_SG_JZNS1_25segmented_radix_sort_implINS0_14default_configELb0EPKiPiPKlPlN2at6native12_GLOBAL__N_18offset_tEEE10hipError_tPvRmT1_PNSt15iterator_traitsISY_E10value_typeET2_T3_PNSZ_IS14_E10value_typeET4_jRbjT5_S1A_jjP12ihipStream_tbEUljE_EEESV_SW_SX_S14_S18_S1A_T6_T7_T9_mT8_S1C_bDpT10_ENKUlT_T0_E_clISt17integral_constantIbLb1EES1P_EEDaS1K_S1L_EUlS1K_E_NS1_11comp_targetILNS1_3genE4ELNS1_11target_archE910ELNS1_3gpuE8ELNS1_3repE0EEENS1_30default_config_static_selectorELNS0_4arch9wavefront6targetE0EEEvSY_
; %bb.0:
	.section	.rodata,"a",@progbits
	.p2align	6, 0x0
	.amdhsa_kernel _ZN7rocprim17ROCPRIM_400000_NS6detail17trampoline_kernelINS0_13select_configILj256ELj13ELNS0_17block_load_methodE3ELS4_3ELS4_3ELNS0_20block_scan_algorithmE0ELj4294967295EEENS1_25partition_config_selectorILNS1_17partition_subalgoE3EjNS0_10empty_typeEbEEZZNS1_14partition_implILS8_3ELb0ES6_jNS0_17counting_iteratorIjlEEPS9_SE_NS0_5tupleIJPjSE_EEENSF_IJSE_SE_EEES9_SG_JZNS1_25segmented_radix_sort_implINS0_14default_configELb0EPKiPiPKlPlN2at6native12_GLOBAL__N_18offset_tEEE10hipError_tPvRmT1_PNSt15iterator_traitsISY_E10value_typeET2_T3_PNSZ_IS14_E10value_typeET4_jRbjT5_S1A_jjP12ihipStream_tbEUljE_EEESV_SW_SX_S14_S18_S1A_T6_T7_T9_mT8_S1C_bDpT10_ENKUlT_T0_E_clISt17integral_constantIbLb1EES1P_EEDaS1K_S1L_EUlS1K_E_NS1_11comp_targetILNS1_3genE4ELNS1_11target_archE910ELNS1_3gpuE8ELNS1_3repE0EEENS1_30default_config_static_selectorELNS0_4arch9wavefront6targetE0EEEvSY_
		.amdhsa_group_segment_fixed_size 0
		.amdhsa_private_segment_fixed_size 0
		.amdhsa_kernarg_size 152
		.amdhsa_user_sgpr_count 2
		.amdhsa_user_sgpr_dispatch_ptr 0
		.amdhsa_user_sgpr_queue_ptr 0
		.amdhsa_user_sgpr_kernarg_segment_ptr 1
		.amdhsa_user_sgpr_dispatch_id 0
		.amdhsa_user_sgpr_kernarg_preload_length 0
		.amdhsa_user_sgpr_kernarg_preload_offset 0
		.amdhsa_user_sgpr_private_segment_size 0
		.amdhsa_wavefront_size32 1
		.amdhsa_uses_dynamic_stack 0
		.amdhsa_enable_private_segment 0
		.amdhsa_system_sgpr_workgroup_id_x 1
		.amdhsa_system_sgpr_workgroup_id_y 0
		.amdhsa_system_sgpr_workgroup_id_z 0
		.amdhsa_system_sgpr_workgroup_info 0
		.amdhsa_system_vgpr_workitem_id 0
		.amdhsa_next_free_vgpr 1
		.amdhsa_next_free_sgpr 1
		.amdhsa_named_barrier_count 0
		.amdhsa_reserve_vcc 0
		.amdhsa_float_round_mode_32 0
		.amdhsa_float_round_mode_16_64 0
		.amdhsa_float_denorm_mode_32 3
		.amdhsa_float_denorm_mode_16_64 3
		.amdhsa_fp16_overflow 0
		.amdhsa_memory_ordered 1
		.amdhsa_forward_progress 1
		.amdhsa_inst_pref_size 0
		.amdhsa_round_robin_scheduling 0
		.amdhsa_exception_fp_ieee_invalid_op 0
		.amdhsa_exception_fp_denorm_src 0
		.amdhsa_exception_fp_ieee_div_zero 0
		.amdhsa_exception_fp_ieee_overflow 0
		.amdhsa_exception_fp_ieee_underflow 0
		.amdhsa_exception_fp_ieee_inexact 0
		.amdhsa_exception_int_div_zero 0
	.end_amdhsa_kernel
	.section	.text._ZN7rocprim17ROCPRIM_400000_NS6detail17trampoline_kernelINS0_13select_configILj256ELj13ELNS0_17block_load_methodE3ELS4_3ELS4_3ELNS0_20block_scan_algorithmE0ELj4294967295EEENS1_25partition_config_selectorILNS1_17partition_subalgoE3EjNS0_10empty_typeEbEEZZNS1_14partition_implILS8_3ELb0ES6_jNS0_17counting_iteratorIjlEEPS9_SE_NS0_5tupleIJPjSE_EEENSF_IJSE_SE_EEES9_SG_JZNS1_25segmented_radix_sort_implINS0_14default_configELb0EPKiPiPKlPlN2at6native12_GLOBAL__N_18offset_tEEE10hipError_tPvRmT1_PNSt15iterator_traitsISY_E10value_typeET2_T3_PNSZ_IS14_E10value_typeET4_jRbjT5_S1A_jjP12ihipStream_tbEUljE_EEESV_SW_SX_S14_S18_S1A_T6_T7_T9_mT8_S1C_bDpT10_ENKUlT_T0_E_clISt17integral_constantIbLb1EES1P_EEDaS1K_S1L_EUlS1K_E_NS1_11comp_targetILNS1_3genE4ELNS1_11target_archE910ELNS1_3gpuE8ELNS1_3repE0EEENS1_30default_config_static_selectorELNS0_4arch9wavefront6targetE0EEEvSY_,"axG",@progbits,_ZN7rocprim17ROCPRIM_400000_NS6detail17trampoline_kernelINS0_13select_configILj256ELj13ELNS0_17block_load_methodE3ELS4_3ELS4_3ELNS0_20block_scan_algorithmE0ELj4294967295EEENS1_25partition_config_selectorILNS1_17partition_subalgoE3EjNS0_10empty_typeEbEEZZNS1_14partition_implILS8_3ELb0ES6_jNS0_17counting_iteratorIjlEEPS9_SE_NS0_5tupleIJPjSE_EEENSF_IJSE_SE_EEES9_SG_JZNS1_25segmented_radix_sort_implINS0_14default_configELb0EPKiPiPKlPlN2at6native12_GLOBAL__N_18offset_tEEE10hipError_tPvRmT1_PNSt15iterator_traitsISY_E10value_typeET2_T3_PNSZ_IS14_E10value_typeET4_jRbjT5_S1A_jjP12ihipStream_tbEUljE_EEESV_SW_SX_S14_S18_S1A_T6_T7_T9_mT8_S1C_bDpT10_ENKUlT_T0_E_clISt17integral_constantIbLb1EES1P_EEDaS1K_S1L_EUlS1K_E_NS1_11comp_targetILNS1_3genE4ELNS1_11target_archE910ELNS1_3gpuE8ELNS1_3repE0EEENS1_30default_config_static_selectorELNS0_4arch9wavefront6targetE0EEEvSY_,comdat
.Lfunc_end574:
	.size	_ZN7rocprim17ROCPRIM_400000_NS6detail17trampoline_kernelINS0_13select_configILj256ELj13ELNS0_17block_load_methodE3ELS4_3ELS4_3ELNS0_20block_scan_algorithmE0ELj4294967295EEENS1_25partition_config_selectorILNS1_17partition_subalgoE3EjNS0_10empty_typeEbEEZZNS1_14partition_implILS8_3ELb0ES6_jNS0_17counting_iteratorIjlEEPS9_SE_NS0_5tupleIJPjSE_EEENSF_IJSE_SE_EEES9_SG_JZNS1_25segmented_radix_sort_implINS0_14default_configELb0EPKiPiPKlPlN2at6native12_GLOBAL__N_18offset_tEEE10hipError_tPvRmT1_PNSt15iterator_traitsISY_E10value_typeET2_T3_PNSZ_IS14_E10value_typeET4_jRbjT5_S1A_jjP12ihipStream_tbEUljE_EEESV_SW_SX_S14_S18_S1A_T6_T7_T9_mT8_S1C_bDpT10_ENKUlT_T0_E_clISt17integral_constantIbLb1EES1P_EEDaS1K_S1L_EUlS1K_E_NS1_11comp_targetILNS1_3genE4ELNS1_11target_archE910ELNS1_3gpuE8ELNS1_3repE0EEENS1_30default_config_static_selectorELNS0_4arch9wavefront6targetE0EEEvSY_, .Lfunc_end574-_ZN7rocprim17ROCPRIM_400000_NS6detail17trampoline_kernelINS0_13select_configILj256ELj13ELNS0_17block_load_methodE3ELS4_3ELS4_3ELNS0_20block_scan_algorithmE0ELj4294967295EEENS1_25partition_config_selectorILNS1_17partition_subalgoE3EjNS0_10empty_typeEbEEZZNS1_14partition_implILS8_3ELb0ES6_jNS0_17counting_iteratorIjlEEPS9_SE_NS0_5tupleIJPjSE_EEENSF_IJSE_SE_EEES9_SG_JZNS1_25segmented_radix_sort_implINS0_14default_configELb0EPKiPiPKlPlN2at6native12_GLOBAL__N_18offset_tEEE10hipError_tPvRmT1_PNSt15iterator_traitsISY_E10value_typeET2_T3_PNSZ_IS14_E10value_typeET4_jRbjT5_S1A_jjP12ihipStream_tbEUljE_EEESV_SW_SX_S14_S18_S1A_T6_T7_T9_mT8_S1C_bDpT10_ENKUlT_T0_E_clISt17integral_constantIbLb1EES1P_EEDaS1K_S1L_EUlS1K_E_NS1_11comp_targetILNS1_3genE4ELNS1_11target_archE910ELNS1_3gpuE8ELNS1_3repE0EEENS1_30default_config_static_selectorELNS0_4arch9wavefront6targetE0EEEvSY_
                                        ; -- End function
	.set _ZN7rocprim17ROCPRIM_400000_NS6detail17trampoline_kernelINS0_13select_configILj256ELj13ELNS0_17block_load_methodE3ELS4_3ELS4_3ELNS0_20block_scan_algorithmE0ELj4294967295EEENS1_25partition_config_selectorILNS1_17partition_subalgoE3EjNS0_10empty_typeEbEEZZNS1_14partition_implILS8_3ELb0ES6_jNS0_17counting_iteratorIjlEEPS9_SE_NS0_5tupleIJPjSE_EEENSF_IJSE_SE_EEES9_SG_JZNS1_25segmented_radix_sort_implINS0_14default_configELb0EPKiPiPKlPlN2at6native12_GLOBAL__N_18offset_tEEE10hipError_tPvRmT1_PNSt15iterator_traitsISY_E10value_typeET2_T3_PNSZ_IS14_E10value_typeET4_jRbjT5_S1A_jjP12ihipStream_tbEUljE_EEESV_SW_SX_S14_S18_S1A_T6_T7_T9_mT8_S1C_bDpT10_ENKUlT_T0_E_clISt17integral_constantIbLb1EES1P_EEDaS1K_S1L_EUlS1K_E_NS1_11comp_targetILNS1_3genE4ELNS1_11target_archE910ELNS1_3gpuE8ELNS1_3repE0EEENS1_30default_config_static_selectorELNS0_4arch9wavefront6targetE0EEEvSY_.num_vgpr, 0
	.set _ZN7rocprim17ROCPRIM_400000_NS6detail17trampoline_kernelINS0_13select_configILj256ELj13ELNS0_17block_load_methodE3ELS4_3ELS4_3ELNS0_20block_scan_algorithmE0ELj4294967295EEENS1_25partition_config_selectorILNS1_17partition_subalgoE3EjNS0_10empty_typeEbEEZZNS1_14partition_implILS8_3ELb0ES6_jNS0_17counting_iteratorIjlEEPS9_SE_NS0_5tupleIJPjSE_EEENSF_IJSE_SE_EEES9_SG_JZNS1_25segmented_radix_sort_implINS0_14default_configELb0EPKiPiPKlPlN2at6native12_GLOBAL__N_18offset_tEEE10hipError_tPvRmT1_PNSt15iterator_traitsISY_E10value_typeET2_T3_PNSZ_IS14_E10value_typeET4_jRbjT5_S1A_jjP12ihipStream_tbEUljE_EEESV_SW_SX_S14_S18_S1A_T6_T7_T9_mT8_S1C_bDpT10_ENKUlT_T0_E_clISt17integral_constantIbLb1EES1P_EEDaS1K_S1L_EUlS1K_E_NS1_11comp_targetILNS1_3genE4ELNS1_11target_archE910ELNS1_3gpuE8ELNS1_3repE0EEENS1_30default_config_static_selectorELNS0_4arch9wavefront6targetE0EEEvSY_.num_agpr, 0
	.set _ZN7rocprim17ROCPRIM_400000_NS6detail17trampoline_kernelINS0_13select_configILj256ELj13ELNS0_17block_load_methodE3ELS4_3ELS4_3ELNS0_20block_scan_algorithmE0ELj4294967295EEENS1_25partition_config_selectorILNS1_17partition_subalgoE3EjNS0_10empty_typeEbEEZZNS1_14partition_implILS8_3ELb0ES6_jNS0_17counting_iteratorIjlEEPS9_SE_NS0_5tupleIJPjSE_EEENSF_IJSE_SE_EEES9_SG_JZNS1_25segmented_radix_sort_implINS0_14default_configELb0EPKiPiPKlPlN2at6native12_GLOBAL__N_18offset_tEEE10hipError_tPvRmT1_PNSt15iterator_traitsISY_E10value_typeET2_T3_PNSZ_IS14_E10value_typeET4_jRbjT5_S1A_jjP12ihipStream_tbEUljE_EEESV_SW_SX_S14_S18_S1A_T6_T7_T9_mT8_S1C_bDpT10_ENKUlT_T0_E_clISt17integral_constantIbLb1EES1P_EEDaS1K_S1L_EUlS1K_E_NS1_11comp_targetILNS1_3genE4ELNS1_11target_archE910ELNS1_3gpuE8ELNS1_3repE0EEENS1_30default_config_static_selectorELNS0_4arch9wavefront6targetE0EEEvSY_.numbered_sgpr, 0
	.set _ZN7rocprim17ROCPRIM_400000_NS6detail17trampoline_kernelINS0_13select_configILj256ELj13ELNS0_17block_load_methodE3ELS4_3ELS4_3ELNS0_20block_scan_algorithmE0ELj4294967295EEENS1_25partition_config_selectorILNS1_17partition_subalgoE3EjNS0_10empty_typeEbEEZZNS1_14partition_implILS8_3ELb0ES6_jNS0_17counting_iteratorIjlEEPS9_SE_NS0_5tupleIJPjSE_EEENSF_IJSE_SE_EEES9_SG_JZNS1_25segmented_radix_sort_implINS0_14default_configELb0EPKiPiPKlPlN2at6native12_GLOBAL__N_18offset_tEEE10hipError_tPvRmT1_PNSt15iterator_traitsISY_E10value_typeET2_T3_PNSZ_IS14_E10value_typeET4_jRbjT5_S1A_jjP12ihipStream_tbEUljE_EEESV_SW_SX_S14_S18_S1A_T6_T7_T9_mT8_S1C_bDpT10_ENKUlT_T0_E_clISt17integral_constantIbLb1EES1P_EEDaS1K_S1L_EUlS1K_E_NS1_11comp_targetILNS1_3genE4ELNS1_11target_archE910ELNS1_3gpuE8ELNS1_3repE0EEENS1_30default_config_static_selectorELNS0_4arch9wavefront6targetE0EEEvSY_.num_named_barrier, 0
	.set _ZN7rocprim17ROCPRIM_400000_NS6detail17trampoline_kernelINS0_13select_configILj256ELj13ELNS0_17block_load_methodE3ELS4_3ELS4_3ELNS0_20block_scan_algorithmE0ELj4294967295EEENS1_25partition_config_selectorILNS1_17partition_subalgoE3EjNS0_10empty_typeEbEEZZNS1_14partition_implILS8_3ELb0ES6_jNS0_17counting_iteratorIjlEEPS9_SE_NS0_5tupleIJPjSE_EEENSF_IJSE_SE_EEES9_SG_JZNS1_25segmented_radix_sort_implINS0_14default_configELb0EPKiPiPKlPlN2at6native12_GLOBAL__N_18offset_tEEE10hipError_tPvRmT1_PNSt15iterator_traitsISY_E10value_typeET2_T3_PNSZ_IS14_E10value_typeET4_jRbjT5_S1A_jjP12ihipStream_tbEUljE_EEESV_SW_SX_S14_S18_S1A_T6_T7_T9_mT8_S1C_bDpT10_ENKUlT_T0_E_clISt17integral_constantIbLb1EES1P_EEDaS1K_S1L_EUlS1K_E_NS1_11comp_targetILNS1_3genE4ELNS1_11target_archE910ELNS1_3gpuE8ELNS1_3repE0EEENS1_30default_config_static_selectorELNS0_4arch9wavefront6targetE0EEEvSY_.private_seg_size, 0
	.set _ZN7rocprim17ROCPRIM_400000_NS6detail17trampoline_kernelINS0_13select_configILj256ELj13ELNS0_17block_load_methodE3ELS4_3ELS4_3ELNS0_20block_scan_algorithmE0ELj4294967295EEENS1_25partition_config_selectorILNS1_17partition_subalgoE3EjNS0_10empty_typeEbEEZZNS1_14partition_implILS8_3ELb0ES6_jNS0_17counting_iteratorIjlEEPS9_SE_NS0_5tupleIJPjSE_EEENSF_IJSE_SE_EEES9_SG_JZNS1_25segmented_radix_sort_implINS0_14default_configELb0EPKiPiPKlPlN2at6native12_GLOBAL__N_18offset_tEEE10hipError_tPvRmT1_PNSt15iterator_traitsISY_E10value_typeET2_T3_PNSZ_IS14_E10value_typeET4_jRbjT5_S1A_jjP12ihipStream_tbEUljE_EEESV_SW_SX_S14_S18_S1A_T6_T7_T9_mT8_S1C_bDpT10_ENKUlT_T0_E_clISt17integral_constantIbLb1EES1P_EEDaS1K_S1L_EUlS1K_E_NS1_11comp_targetILNS1_3genE4ELNS1_11target_archE910ELNS1_3gpuE8ELNS1_3repE0EEENS1_30default_config_static_selectorELNS0_4arch9wavefront6targetE0EEEvSY_.uses_vcc, 0
	.set _ZN7rocprim17ROCPRIM_400000_NS6detail17trampoline_kernelINS0_13select_configILj256ELj13ELNS0_17block_load_methodE3ELS4_3ELS4_3ELNS0_20block_scan_algorithmE0ELj4294967295EEENS1_25partition_config_selectorILNS1_17partition_subalgoE3EjNS0_10empty_typeEbEEZZNS1_14partition_implILS8_3ELb0ES6_jNS0_17counting_iteratorIjlEEPS9_SE_NS0_5tupleIJPjSE_EEENSF_IJSE_SE_EEES9_SG_JZNS1_25segmented_radix_sort_implINS0_14default_configELb0EPKiPiPKlPlN2at6native12_GLOBAL__N_18offset_tEEE10hipError_tPvRmT1_PNSt15iterator_traitsISY_E10value_typeET2_T3_PNSZ_IS14_E10value_typeET4_jRbjT5_S1A_jjP12ihipStream_tbEUljE_EEESV_SW_SX_S14_S18_S1A_T6_T7_T9_mT8_S1C_bDpT10_ENKUlT_T0_E_clISt17integral_constantIbLb1EES1P_EEDaS1K_S1L_EUlS1K_E_NS1_11comp_targetILNS1_3genE4ELNS1_11target_archE910ELNS1_3gpuE8ELNS1_3repE0EEENS1_30default_config_static_selectorELNS0_4arch9wavefront6targetE0EEEvSY_.uses_flat_scratch, 0
	.set _ZN7rocprim17ROCPRIM_400000_NS6detail17trampoline_kernelINS0_13select_configILj256ELj13ELNS0_17block_load_methodE3ELS4_3ELS4_3ELNS0_20block_scan_algorithmE0ELj4294967295EEENS1_25partition_config_selectorILNS1_17partition_subalgoE3EjNS0_10empty_typeEbEEZZNS1_14partition_implILS8_3ELb0ES6_jNS0_17counting_iteratorIjlEEPS9_SE_NS0_5tupleIJPjSE_EEENSF_IJSE_SE_EEES9_SG_JZNS1_25segmented_radix_sort_implINS0_14default_configELb0EPKiPiPKlPlN2at6native12_GLOBAL__N_18offset_tEEE10hipError_tPvRmT1_PNSt15iterator_traitsISY_E10value_typeET2_T3_PNSZ_IS14_E10value_typeET4_jRbjT5_S1A_jjP12ihipStream_tbEUljE_EEESV_SW_SX_S14_S18_S1A_T6_T7_T9_mT8_S1C_bDpT10_ENKUlT_T0_E_clISt17integral_constantIbLb1EES1P_EEDaS1K_S1L_EUlS1K_E_NS1_11comp_targetILNS1_3genE4ELNS1_11target_archE910ELNS1_3gpuE8ELNS1_3repE0EEENS1_30default_config_static_selectorELNS0_4arch9wavefront6targetE0EEEvSY_.has_dyn_sized_stack, 0
	.set _ZN7rocprim17ROCPRIM_400000_NS6detail17trampoline_kernelINS0_13select_configILj256ELj13ELNS0_17block_load_methodE3ELS4_3ELS4_3ELNS0_20block_scan_algorithmE0ELj4294967295EEENS1_25partition_config_selectorILNS1_17partition_subalgoE3EjNS0_10empty_typeEbEEZZNS1_14partition_implILS8_3ELb0ES6_jNS0_17counting_iteratorIjlEEPS9_SE_NS0_5tupleIJPjSE_EEENSF_IJSE_SE_EEES9_SG_JZNS1_25segmented_radix_sort_implINS0_14default_configELb0EPKiPiPKlPlN2at6native12_GLOBAL__N_18offset_tEEE10hipError_tPvRmT1_PNSt15iterator_traitsISY_E10value_typeET2_T3_PNSZ_IS14_E10value_typeET4_jRbjT5_S1A_jjP12ihipStream_tbEUljE_EEESV_SW_SX_S14_S18_S1A_T6_T7_T9_mT8_S1C_bDpT10_ENKUlT_T0_E_clISt17integral_constantIbLb1EES1P_EEDaS1K_S1L_EUlS1K_E_NS1_11comp_targetILNS1_3genE4ELNS1_11target_archE910ELNS1_3gpuE8ELNS1_3repE0EEENS1_30default_config_static_selectorELNS0_4arch9wavefront6targetE0EEEvSY_.has_recursion, 0
	.set _ZN7rocprim17ROCPRIM_400000_NS6detail17trampoline_kernelINS0_13select_configILj256ELj13ELNS0_17block_load_methodE3ELS4_3ELS4_3ELNS0_20block_scan_algorithmE0ELj4294967295EEENS1_25partition_config_selectorILNS1_17partition_subalgoE3EjNS0_10empty_typeEbEEZZNS1_14partition_implILS8_3ELb0ES6_jNS0_17counting_iteratorIjlEEPS9_SE_NS0_5tupleIJPjSE_EEENSF_IJSE_SE_EEES9_SG_JZNS1_25segmented_radix_sort_implINS0_14default_configELb0EPKiPiPKlPlN2at6native12_GLOBAL__N_18offset_tEEE10hipError_tPvRmT1_PNSt15iterator_traitsISY_E10value_typeET2_T3_PNSZ_IS14_E10value_typeET4_jRbjT5_S1A_jjP12ihipStream_tbEUljE_EEESV_SW_SX_S14_S18_S1A_T6_T7_T9_mT8_S1C_bDpT10_ENKUlT_T0_E_clISt17integral_constantIbLb1EES1P_EEDaS1K_S1L_EUlS1K_E_NS1_11comp_targetILNS1_3genE4ELNS1_11target_archE910ELNS1_3gpuE8ELNS1_3repE0EEENS1_30default_config_static_selectorELNS0_4arch9wavefront6targetE0EEEvSY_.has_indirect_call, 0
	.section	.AMDGPU.csdata,"",@progbits
; Kernel info:
; codeLenInByte = 0
; TotalNumSgprs: 0
; NumVgprs: 0
; ScratchSize: 0
; MemoryBound: 0
; FloatMode: 240
; IeeeMode: 1
; LDSByteSize: 0 bytes/workgroup (compile time only)
; SGPRBlocks: 0
; VGPRBlocks: 0
; NumSGPRsForWavesPerEU: 1
; NumVGPRsForWavesPerEU: 1
; NamedBarCnt: 0
; Occupancy: 16
; WaveLimiterHint : 0
; COMPUTE_PGM_RSRC2:SCRATCH_EN: 0
; COMPUTE_PGM_RSRC2:USER_SGPR: 2
; COMPUTE_PGM_RSRC2:TRAP_HANDLER: 0
; COMPUTE_PGM_RSRC2:TGID_X_EN: 1
; COMPUTE_PGM_RSRC2:TGID_Y_EN: 0
; COMPUTE_PGM_RSRC2:TGID_Z_EN: 0
; COMPUTE_PGM_RSRC2:TIDIG_COMP_CNT: 0
	.section	.text._ZN7rocprim17ROCPRIM_400000_NS6detail17trampoline_kernelINS0_13select_configILj256ELj13ELNS0_17block_load_methodE3ELS4_3ELS4_3ELNS0_20block_scan_algorithmE0ELj4294967295EEENS1_25partition_config_selectorILNS1_17partition_subalgoE3EjNS0_10empty_typeEbEEZZNS1_14partition_implILS8_3ELb0ES6_jNS0_17counting_iteratorIjlEEPS9_SE_NS0_5tupleIJPjSE_EEENSF_IJSE_SE_EEES9_SG_JZNS1_25segmented_radix_sort_implINS0_14default_configELb0EPKiPiPKlPlN2at6native12_GLOBAL__N_18offset_tEEE10hipError_tPvRmT1_PNSt15iterator_traitsISY_E10value_typeET2_T3_PNSZ_IS14_E10value_typeET4_jRbjT5_S1A_jjP12ihipStream_tbEUljE_EEESV_SW_SX_S14_S18_S1A_T6_T7_T9_mT8_S1C_bDpT10_ENKUlT_T0_E_clISt17integral_constantIbLb1EES1P_EEDaS1K_S1L_EUlS1K_E_NS1_11comp_targetILNS1_3genE3ELNS1_11target_archE908ELNS1_3gpuE7ELNS1_3repE0EEENS1_30default_config_static_selectorELNS0_4arch9wavefront6targetE0EEEvSY_,"axG",@progbits,_ZN7rocprim17ROCPRIM_400000_NS6detail17trampoline_kernelINS0_13select_configILj256ELj13ELNS0_17block_load_methodE3ELS4_3ELS4_3ELNS0_20block_scan_algorithmE0ELj4294967295EEENS1_25partition_config_selectorILNS1_17partition_subalgoE3EjNS0_10empty_typeEbEEZZNS1_14partition_implILS8_3ELb0ES6_jNS0_17counting_iteratorIjlEEPS9_SE_NS0_5tupleIJPjSE_EEENSF_IJSE_SE_EEES9_SG_JZNS1_25segmented_radix_sort_implINS0_14default_configELb0EPKiPiPKlPlN2at6native12_GLOBAL__N_18offset_tEEE10hipError_tPvRmT1_PNSt15iterator_traitsISY_E10value_typeET2_T3_PNSZ_IS14_E10value_typeET4_jRbjT5_S1A_jjP12ihipStream_tbEUljE_EEESV_SW_SX_S14_S18_S1A_T6_T7_T9_mT8_S1C_bDpT10_ENKUlT_T0_E_clISt17integral_constantIbLb1EES1P_EEDaS1K_S1L_EUlS1K_E_NS1_11comp_targetILNS1_3genE3ELNS1_11target_archE908ELNS1_3gpuE7ELNS1_3repE0EEENS1_30default_config_static_selectorELNS0_4arch9wavefront6targetE0EEEvSY_,comdat
	.globl	_ZN7rocprim17ROCPRIM_400000_NS6detail17trampoline_kernelINS0_13select_configILj256ELj13ELNS0_17block_load_methodE3ELS4_3ELS4_3ELNS0_20block_scan_algorithmE0ELj4294967295EEENS1_25partition_config_selectorILNS1_17partition_subalgoE3EjNS0_10empty_typeEbEEZZNS1_14partition_implILS8_3ELb0ES6_jNS0_17counting_iteratorIjlEEPS9_SE_NS0_5tupleIJPjSE_EEENSF_IJSE_SE_EEES9_SG_JZNS1_25segmented_radix_sort_implINS0_14default_configELb0EPKiPiPKlPlN2at6native12_GLOBAL__N_18offset_tEEE10hipError_tPvRmT1_PNSt15iterator_traitsISY_E10value_typeET2_T3_PNSZ_IS14_E10value_typeET4_jRbjT5_S1A_jjP12ihipStream_tbEUljE_EEESV_SW_SX_S14_S18_S1A_T6_T7_T9_mT8_S1C_bDpT10_ENKUlT_T0_E_clISt17integral_constantIbLb1EES1P_EEDaS1K_S1L_EUlS1K_E_NS1_11comp_targetILNS1_3genE3ELNS1_11target_archE908ELNS1_3gpuE7ELNS1_3repE0EEENS1_30default_config_static_selectorELNS0_4arch9wavefront6targetE0EEEvSY_ ; -- Begin function _ZN7rocprim17ROCPRIM_400000_NS6detail17trampoline_kernelINS0_13select_configILj256ELj13ELNS0_17block_load_methodE3ELS4_3ELS4_3ELNS0_20block_scan_algorithmE0ELj4294967295EEENS1_25partition_config_selectorILNS1_17partition_subalgoE3EjNS0_10empty_typeEbEEZZNS1_14partition_implILS8_3ELb0ES6_jNS0_17counting_iteratorIjlEEPS9_SE_NS0_5tupleIJPjSE_EEENSF_IJSE_SE_EEES9_SG_JZNS1_25segmented_radix_sort_implINS0_14default_configELb0EPKiPiPKlPlN2at6native12_GLOBAL__N_18offset_tEEE10hipError_tPvRmT1_PNSt15iterator_traitsISY_E10value_typeET2_T3_PNSZ_IS14_E10value_typeET4_jRbjT5_S1A_jjP12ihipStream_tbEUljE_EEESV_SW_SX_S14_S18_S1A_T6_T7_T9_mT8_S1C_bDpT10_ENKUlT_T0_E_clISt17integral_constantIbLb1EES1P_EEDaS1K_S1L_EUlS1K_E_NS1_11comp_targetILNS1_3genE3ELNS1_11target_archE908ELNS1_3gpuE7ELNS1_3repE0EEENS1_30default_config_static_selectorELNS0_4arch9wavefront6targetE0EEEvSY_
	.p2align	8
	.type	_ZN7rocprim17ROCPRIM_400000_NS6detail17trampoline_kernelINS0_13select_configILj256ELj13ELNS0_17block_load_methodE3ELS4_3ELS4_3ELNS0_20block_scan_algorithmE0ELj4294967295EEENS1_25partition_config_selectorILNS1_17partition_subalgoE3EjNS0_10empty_typeEbEEZZNS1_14partition_implILS8_3ELb0ES6_jNS0_17counting_iteratorIjlEEPS9_SE_NS0_5tupleIJPjSE_EEENSF_IJSE_SE_EEES9_SG_JZNS1_25segmented_radix_sort_implINS0_14default_configELb0EPKiPiPKlPlN2at6native12_GLOBAL__N_18offset_tEEE10hipError_tPvRmT1_PNSt15iterator_traitsISY_E10value_typeET2_T3_PNSZ_IS14_E10value_typeET4_jRbjT5_S1A_jjP12ihipStream_tbEUljE_EEESV_SW_SX_S14_S18_S1A_T6_T7_T9_mT8_S1C_bDpT10_ENKUlT_T0_E_clISt17integral_constantIbLb1EES1P_EEDaS1K_S1L_EUlS1K_E_NS1_11comp_targetILNS1_3genE3ELNS1_11target_archE908ELNS1_3gpuE7ELNS1_3repE0EEENS1_30default_config_static_selectorELNS0_4arch9wavefront6targetE0EEEvSY_,@function
_ZN7rocprim17ROCPRIM_400000_NS6detail17trampoline_kernelINS0_13select_configILj256ELj13ELNS0_17block_load_methodE3ELS4_3ELS4_3ELNS0_20block_scan_algorithmE0ELj4294967295EEENS1_25partition_config_selectorILNS1_17partition_subalgoE3EjNS0_10empty_typeEbEEZZNS1_14partition_implILS8_3ELb0ES6_jNS0_17counting_iteratorIjlEEPS9_SE_NS0_5tupleIJPjSE_EEENSF_IJSE_SE_EEES9_SG_JZNS1_25segmented_radix_sort_implINS0_14default_configELb0EPKiPiPKlPlN2at6native12_GLOBAL__N_18offset_tEEE10hipError_tPvRmT1_PNSt15iterator_traitsISY_E10value_typeET2_T3_PNSZ_IS14_E10value_typeET4_jRbjT5_S1A_jjP12ihipStream_tbEUljE_EEESV_SW_SX_S14_S18_S1A_T6_T7_T9_mT8_S1C_bDpT10_ENKUlT_T0_E_clISt17integral_constantIbLb1EES1P_EEDaS1K_S1L_EUlS1K_E_NS1_11comp_targetILNS1_3genE3ELNS1_11target_archE908ELNS1_3gpuE7ELNS1_3repE0EEENS1_30default_config_static_selectorELNS0_4arch9wavefront6targetE0EEEvSY_: ; @_ZN7rocprim17ROCPRIM_400000_NS6detail17trampoline_kernelINS0_13select_configILj256ELj13ELNS0_17block_load_methodE3ELS4_3ELS4_3ELNS0_20block_scan_algorithmE0ELj4294967295EEENS1_25partition_config_selectorILNS1_17partition_subalgoE3EjNS0_10empty_typeEbEEZZNS1_14partition_implILS8_3ELb0ES6_jNS0_17counting_iteratorIjlEEPS9_SE_NS0_5tupleIJPjSE_EEENSF_IJSE_SE_EEES9_SG_JZNS1_25segmented_radix_sort_implINS0_14default_configELb0EPKiPiPKlPlN2at6native12_GLOBAL__N_18offset_tEEE10hipError_tPvRmT1_PNSt15iterator_traitsISY_E10value_typeET2_T3_PNSZ_IS14_E10value_typeET4_jRbjT5_S1A_jjP12ihipStream_tbEUljE_EEESV_SW_SX_S14_S18_S1A_T6_T7_T9_mT8_S1C_bDpT10_ENKUlT_T0_E_clISt17integral_constantIbLb1EES1P_EEDaS1K_S1L_EUlS1K_E_NS1_11comp_targetILNS1_3genE3ELNS1_11target_archE908ELNS1_3gpuE7ELNS1_3repE0EEENS1_30default_config_static_selectorELNS0_4arch9wavefront6targetE0EEEvSY_
; %bb.0:
	.section	.rodata,"a",@progbits
	.p2align	6, 0x0
	.amdhsa_kernel _ZN7rocprim17ROCPRIM_400000_NS6detail17trampoline_kernelINS0_13select_configILj256ELj13ELNS0_17block_load_methodE3ELS4_3ELS4_3ELNS0_20block_scan_algorithmE0ELj4294967295EEENS1_25partition_config_selectorILNS1_17partition_subalgoE3EjNS0_10empty_typeEbEEZZNS1_14partition_implILS8_3ELb0ES6_jNS0_17counting_iteratorIjlEEPS9_SE_NS0_5tupleIJPjSE_EEENSF_IJSE_SE_EEES9_SG_JZNS1_25segmented_radix_sort_implINS0_14default_configELb0EPKiPiPKlPlN2at6native12_GLOBAL__N_18offset_tEEE10hipError_tPvRmT1_PNSt15iterator_traitsISY_E10value_typeET2_T3_PNSZ_IS14_E10value_typeET4_jRbjT5_S1A_jjP12ihipStream_tbEUljE_EEESV_SW_SX_S14_S18_S1A_T6_T7_T9_mT8_S1C_bDpT10_ENKUlT_T0_E_clISt17integral_constantIbLb1EES1P_EEDaS1K_S1L_EUlS1K_E_NS1_11comp_targetILNS1_3genE3ELNS1_11target_archE908ELNS1_3gpuE7ELNS1_3repE0EEENS1_30default_config_static_selectorELNS0_4arch9wavefront6targetE0EEEvSY_
		.amdhsa_group_segment_fixed_size 0
		.amdhsa_private_segment_fixed_size 0
		.amdhsa_kernarg_size 152
		.amdhsa_user_sgpr_count 2
		.amdhsa_user_sgpr_dispatch_ptr 0
		.amdhsa_user_sgpr_queue_ptr 0
		.amdhsa_user_sgpr_kernarg_segment_ptr 1
		.amdhsa_user_sgpr_dispatch_id 0
		.amdhsa_user_sgpr_kernarg_preload_length 0
		.amdhsa_user_sgpr_kernarg_preload_offset 0
		.amdhsa_user_sgpr_private_segment_size 0
		.amdhsa_wavefront_size32 1
		.amdhsa_uses_dynamic_stack 0
		.amdhsa_enable_private_segment 0
		.amdhsa_system_sgpr_workgroup_id_x 1
		.amdhsa_system_sgpr_workgroup_id_y 0
		.amdhsa_system_sgpr_workgroup_id_z 0
		.amdhsa_system_sgpr_workgroup_info 0
		.amdhsa_system_vgpr_workitem_id 0
		.amdhsa_next_free_vgpr 1
		.amdhsa_next_free_sgpr 1
		.amdhsa_named_barrier_count 0
		.amdhsa_reserve_vcc 0
		.amdhsa_float_round_mode_32 0
		.amdhsa_float_round_mode_16_64 0
		.amdhsa_float_denorm_mode_32 3
		.amdhsa_float_denorm_mode_16_64 3
		.amdhsa_fp16_overflow 0
		.amdhsa_memory_ordered 1
		.amdhsa_forward_progress 1
		.amdhsa_inst_pref_size 0
		.amdhsa_round_robin_scheduling 0
		.amdhsa_exception_fp_ieee_invalid_op 0
		.amdhsa_exception_fp_denorm_src 0
		.amdhsa_exception_fp_ieee_div_zero 0
		.amdhsa_exception_fp_ieee_overflow 0
		.amdhsa_exception_fp_ieee_underflow 0
		.amdhsa_exception_fp_ieee_inexact 0
		.amdhsa_exception_int_div_zero 0
	.end_amdhsa_kernel
	.section	.text._ZN7rocprim17ROCPRIM_400000_NS6detail17trampoline_kernelINS0_13select_configILj256ELj13ELNS0_17block_load_methodE3ELS4_3ELS4_3ELNS0_20block_scan_algorithmE0ELj4294967295EEENS1_25partition_config_selectorILNS1_17partition_subalgoE3EjNS0_10empty_typeEbEEZZNS1_14partition_implILS8_3ELb0ES6_jNS0_17counting_iteratorIjlEEPS9_SE_NS0_5tupleIJPjSE_EEENSF_IJSE_SE_EEES9_SG_JZNS1_25segmented_radix_sort_implINS0_14default_configELb0EPKiPiPKlPlN2at6native12_GLOBAL__N_18offset_tEEE10hipError_tPvRmT1_PNSt15iterator_traitsISY_E10value_typeET2_T3_PNSZ_IS14_E10value_typeET4_jRbjT5_S1A_jjP12ihipStream_tbEUljE_EEESV_SW_SX_S14_S18_S1A_T6_T7_T9_mT8_S1C_bDpT10_ENKUlT_T0_E_clISt17integral_constantIbLb1EES1P_EEDaS1K_S1L_EUlS1K_E_NS1_11comp_targetILNS1_3genE3ELNS1_11target_archE908ELNS1_3gpuE7ELNS1_3repE0EEENS1_30default_config_static_selectorELNS0_4arch9wavefront6targetE0EEEvSY_,"axG",@progbits,_ZN7rocprim17ROCPRIM_400000_NS6detail17trampoline_kernelINS0_13select_configILj256ELj13ELNS0_17block_load_methodE3ELS4_3ELS4_3ELNS0_20block_scan_algorithmE0ELj4294967295EEENS1_25partition_config_selectorILNS1_17partition_subalgoE3EjNS0_10empty_typeEbEEZZNS1_14partition_implILS8_3ELb0ES6_jNS0_17counting_iteratorIjlEEPS9_SE_NS0_5tupleIJPjSE_EEENSF_IJSE_SE_EEES9_SG_JZNS1_25segmented_radix_sort_implINS0_14default_configELb0EPKiPiPKlPlN2at6native12_GLOBAL__N_18offset_tEEE10hipError_tPvRmT1_PNSt15iterator_traitsISY_E10value_typeET2_T3_PNSZ_IS14_E10value_typeET4_jRbjT5_S1A_jjP12ihipStream_tbEUljE_EEESV_SW_SX_S14_S18_S1A_T6_T7_T9_mT8_S1C_bDpT10_ENKUlT_T0_E_clISt17integral_constantIbLb1EES1P_EEDaS1K_S1L_EUlS1K_E_NS1_11comp_targetILNS1_3genE3ELNS1_11target_archE908ELNS1_3gpuE7ELNS1_3repE0EEENS1_30default_config_static_selectorELNS0_4arch9wavefront6targetE0EEEvSY_,comdat
.Lfunc_end575:
	.size	_ZN7rocprim17ROCPRIM_400000_NS6detail17trampoline_kernelINS0_13select_configILj256ELj13ELNS0_17block_load_methodE3ELS4_3ELS4_3ELNS0_20block_scan_algorithmE0ELj4294967295EEENS1_25partition_config_selectorILNS1_17partition_subalgoE3EjNS0_10empty_typeEbEEZZNS1_14partition_implILS8_3ELb0ES6_jNS0_17counting_iteratorIjlEEPS9_SE_NS0_5tupleIJPjSE_EEENSF_IJSE_SE_EEES9_SG_JZNS1_25segmented_radix_sort_implINS0_14default_configELb0EPKiPiPKlPlN2at6native12_GLOBAL__N_18offset_tEEE10hipError_tPvRmT1_PNSt15iterator_traitsISY_E10value_typeET2_T3_PNSZ_IS14_E10value_typeET4_jRbjT5_S1A_jjP12ihipStream_tbEUljE_EEESV_SW_SX_S14_S18_S1A_T6_T7_T9_mT8_S1C_bDpT10_ENKUlT_T0_E_clISt17integral_constantIbLb1EES1P_EEDaS1K_S1L_EUlS1K_E_NS1_11comp_targetILNS1_3genE3ELNS1_11target_archE908ELNS1_3gpuE7ELNS1_3repE0EEENS1_30default_config_static_selectorELNS0_4arch9wavefront6targetE0EEEvSY_, .Lfunc_end575-_ZN7rocprim17ROCPRIM_400000_NS6detail17trampoline_kernelINS0_13select_configILj256ELj13ELNS0_17block_load_methodE3ELS4_3ELS4_3ELNS0_20block_scan_algorithmE0ELj4294967295EEENS1_25partition_config_selectorILNS1_17partition_subalgoE3EjNS0_10empty_typeEbEEZZNS1_14partition_implILS8_3ELb0ES6_jNS0_17counting_iteratorIjlEEPS9_SE_NS0_5tupleIJPjSE_EEENSF_IJSE_SE_EEES9_SG_JZNS1_25segmented_radix_sort_implINS0_14default_configELb0EPKiPiPKlPlN2at6native12_GLOBAL__N_18offset_tEEE10hipError_tPvRmT1_PNSt15iterator_traitsISY_E10value_typeET2_T3_PNSZ_IS14_E10value_typeET4_jRbjT5_S1A_jjP12ihipStream_tbEUljE_EEESV_SW_SX_S14_S18_S1A_T6_T7_T9_mT8_S1C_bDpT10_ENKUlT_T0_E_clISt17integral_constantIbLb1EES1P_EEDaS1K_S1L_EUlS1K_E_NS1_11comp_targetILNS1_3genE3ELNS1_11target_archE908ELNS1_3gpuE7ELNS1_3repE0EEENS1_30default_config_static_selectorELNS0_4arch9wavefront6targetE0EEEvSY_
                                        ; -- End function
	.set _ZN7rocprim17ROCPRIM_400000_NS6detail17trampoline_kernelINS0_13select_configILj256ELj13ELNS0_17block_load_methodE3ELS4_3ELS4_3ELNS0_20block_scan_algorithmE0ELj4294967295EEENS1_25partition_config_selectorILNS1_17partition_subalgoE3EjNS0_10empty_typeEbEEZZNS1_14partition_implILS8_3ELb0ES6_jNS0_17counting_iteratorIjlEEPS9_SE_NS0_5tupleIJPjSE_EEENSF_IJSE_SE_EEES9_SG_JZNS1_25segmented_radix_sort_implINS0_14default_configELb0EPKiPiPKlPlN2at6native12_GLOBAL__N_18offset_tEEE10hipError_tPvRmT1_PNSt15iterator_traitsISY_E10value_typeET2_T3_PNSZ_IS14_E10value_typeET4_jRbjT5_S1A_jjP12ihipStream_tbEUljE_EEESV_SW_SX_S14_S18_S1A_T6_T7_T9_mT8_S1C_bDpT10_ENKUlT_T0_E_clISt17integral_constantIbLb1EES1P_EEDaS1K_S1L_EUlS1K_E_NS1_11comp_targetILNS1_3genE3ELNS1_11target_archE908ELNS1_3gpuE7ELNS1_3repE0EEENS1_30default_config_static_selectorELNS0_4arch9wavefront6targetE0EEEvSY_.num_vgpr, 0
	.set _ZN7rocprim17ROCPRIM_400000_NS6detail17trampoline_kernelINS0_13select_configILj256ELj13ELNS0_17block_load_methodE3ELS4_3ELS4_3ELNS0_20block_scan_algorithmE0ELj4294967295EEENS1_25partition_config_selectorILNS1_17partition_subalgoE3EjNS0_10empty_typeEbEEZZNS1_14partition_implILS8_3ELb0ES6_jNS0_17counting_iteratorIjlEEPS9_SE_NS0_5tupleIJPjSE_EEENSF_IJSE_SE_EEES9_SG_JZNS1_25segmented_radix_sort_implINS0_14default_configELb0EPKiPiPKlPlN2at6native12_GLOBAL__N_18offset_tEEE10hipError_tPvRmT1_PNSt15iterator_traitsISY_E10value_typeET2_T3_PNSZ_IS14_E10value_typeET4_jRbjT5_S1A_jjP12ihipStream_tbEUljE_EEESV_SW_SX_S14_S18_S1A_T6_T7_T9_mT8_S1C_bDpT10_ENKUlT_T0_E_clISt17integral_constantIbLb1EES1P_EEDaS1K_S1L_EUlS1K_E_NS1_11comp_targetILNS1_3genE3ELNS1_11target_archE908ELNS1_3gpuE7ELNS1_3repE0EEENS1_30default_config_static_selectorELNS0_4arch9wavefront6targetE0EEEvSY_.num_agpr, 0
	.set _ZN7rocprim17ROCPRIM_400000_NS6detail17trampoline_kernelINS0_13select_configILj256ELj13ELNS0_17block_load_methodE3ELS4_3ELS4_3ELNS0_20block_scan_algorithmE0ELj4294967295EEENS1_25partition_config_selectorILNS1_17partition_subalgoE3EjNS0_10empty_typeEbEEZZNS1_14partition_implILS8_3ELb0ES6_jNS0_17counting_iteratorIjlEEPS9_SE_NS0_5tupleIJPjSE_EEENSF_IJSE_SE_EEES9_SG_JZNS1_25segmented_radix_sort_implINS0_14default_configELb0EPKiPiPKlPlN2at6native12_GLOBAL__N_18offset_tEEE10hipError_tPvRmT1_PNSt15iterator_traitsISY_E10value_typeET2_T3_PNSZ_IS14_E10value_typeET4_jRbjT5_S1A_jjP12ihipStream_tbEUljE_EEESV_SW_SX_S14_S18_S1A_T6_T7_T9_mT8_S1C_bDpT10_ENKUlT_T0_E_clISt17integral_constantIbLb1EES1P_EEDaS1K_S1L_EUlS1K_E_NS1_11comp_targetILNS1_3genE3ELNS1_11target_archE908ELNS1_3gpuE7ELNS1_3repE0EEENS1_30default_config_static_selectorELNS0_4arch9wavefront6targetE0EEEvSY_.numbered_sgpr, 0
	.set _ZN7rocprim17ROCPRIM_400000_NS6detail17trampoline_kernelINS0_13select_configILj256ELj13ELNS0_17block_load_methodE3ELS4_3ELS4_3ELNS0_20block_scan_algorithmE0ELj4294967295EEENS1_25partition_config_selectorILNS1_17partition_subalgoE3EjNS0_10empty_typeEbEEZZNS1_14partition_implILS8_3ELb0ES6_jNS0_17counting_iteratorIjlEEPS9_SE_NS0_5tupleIJPjSE_EEENSF_IJSE_SE_EEES9_SG_JZNS1_25segmented_radix_sort_implINS0_14default_configELb0EPKiPiPKlPlN2at6native12_GLOBAL__N_18offset_tEEE10hipError_tPvRmT1_PNSt15iterator_traitsISY_E10value_typeET2_T3_PNSZ_IS14_E10value_typeET4_jRbjT5_S1A_jjP12ihipStream_tbEUljE_EEESV_SW_SX_S14_S18_S1A_T6_T7_T9_mT8_S1C_bDpT10_ENKUlT_T0_E_clISt17integral_constantIbLb1EES1P_EEDaS1K_S1L_EUlS1K_E_NS1_11comp_targetILNS1_3genE3ELNS1_11target_archE908ELNS1_3gpuE7ELNS1_3repE0EEENS1_30default_config_static_selectorELNS0_4arch9wavefront6targetE0EEEvSY_.num_named_barrier, 0
	.set _ZN7rocprim17ROCPRIM_400000_NS6detail17trampoline_kernelINS0_13select_configILj256ELj13ELNS0_17block_load_methodE3ELS4_3ELS4_3ELNS0_20block_scan_algorithmE0ELj4294967295EEENS1_25partition_config_selectorILNS1_17partition_subalgoE3EjNS0_10empty_typeEbEEZZNS1_14partition_implILS8_3ELb0ES6_jNS0_17counting_iteratorIjlEEPS9_SE_NS0_5tupleIJPjSE_EEENSF_IJSE_SE_EEES9_SG_JZNS1_25segmented_radix_sort_implINS0_14default_configELb0EPKiPiPKlPlN2at6native12_GLOBAL__N_18offset_tEEE10hipError_tPvRmT1_PNSt15iterator_traitsISY_E10value_typeET2_T3_PNSZ_IS14_E10value_typeET4_jRbjT5_S1A_jjP12ihipStream_tbEUljE_EEESV_SW_SX_S14_S18_S1A_T6_T7_T9_mT8_S1C_bDpT10_ENKUlT_T0_E_clISt17integral_constantIbLb1EES1P_EEDaS1K_S1L_EUlS1K_E_NS1_11comp_targetILNS1_3genE3ELNS1_11target_archE908ELNS1_3gpuE7ELNS1_3repE0EEENS1_30default_config_static_selectorELNS0_4arch9wavefront6targetE0EEEvSY_.private_seg_size, 0
	.set _ZN7rocprim17ROCPRIM_400000_NS6detail17trampoline_kernelINS0_13select_configILj256ELj13ELNS0_17block_load_methodE3ELS4_3ELS4_3ELNS0_20block_scan_algorithmE0ELj4294967295EEENS1_25partition_config_selectorILNS1_17partition_subalgoE3EjNS0_10empty_typeEbEEZZNS1_14partition_implILS8_3ELb0ES6_jNS0_17counting_iteratorIjlEEPS9_SE_NS0_5tupleIJPjSE_EEENSF_IJSE_SE_EEES9_SG_JZNS1_25segmented_radix_sort_implINS0_14default_configELb0EPKiPiPKlPlN2at6native12_GLOBAL__N_18offset_tEEE10hipError_tPvRmT1_PNSt15iterator_traitsISY_E10value_typeET2_T3_PNSZ_IS14_E10value_typeET4_jRbjT5_S1A_jjP12ihipStream_tbEUljE_EEESV_SW_SX_S14_S18_S1A_T6_T7_T9_mT8_S1C_bDpT10_ENKUlT_T0_E_clISt17integral_constantIbLb1EES1P_EEDaS1K_S1L_EUlS1K_E_NS1_11comp_targetILNS1_3genE3ELNS1_11target_archE908ELNS1_3gpuE7ELNS1_3repE0EEENS1_30default_config_static_selectorELNS0_4arch9wavefront6targetE0EEEvSY_.uses_vcc, 0
	.set _ZN7rocprim17ROCPRIM_400000_NS6detail17trampoline_kernelINS0_13select_configILj256ELj13ELNS0_17block_load_methodE3ELS4_3ELS4_3ELNS0_20block_scan_algorithmE0ELj4294967295EEENS1_25partition_config_selectorILNS1_17partition_subalgoE3EjNS0_10empty_typeEbEEZZNS1_14partition_implILS8_3ELb0ES6_jNS0_17counting_iteratorIjlEEPS9_SE_NS0_5tupleIJPjSE_EEENSF_IJSE_SE_EEES9_SG_JZNS1_25segmented_radix_sort_implINS0_14default_configELb0EPKiPiPKlPlN2at6native12_GLOBAL__N_18offset_tEEE10hipError_tPvRmT1_PNSt15iterator_traitsISY_E10value_typeET2_T3_PNSZ_IS14_E10value_typeET4_jRbjT5_S1A_jjP12ihipStream_tbEUljE_EEESV_SW_SX_S14_S18_S1A_T6_T7_T9_mT8_S1C_bDpT10_ENKUlT_T0_E_clISt17integral_constantIbLb1EES1P_EEDaS1K_S1L_EUlS1K_E_NS1_11comp_targetILNS1_3genE3ELNS1_11target_archE908ELNS1_3gpuE7ELNS1_3repE0EEENS1_30default_config_static_selectorELNS0_4arch9wavefront6targetE0EEEvSY_.uses_flat_scratch, 0
	.set _ZN7rocprim17ROCPRIM_400000_NS6detail17trampoline_kernelINS0_13select_configILj256ELj13ELNS0_17block_load_methodE3ELS4_3ELS4_3ELNS0_20block_scan_algorithmE0ELj4294967295EEENS1_25partition_config_selectorILNS1_17partition_subalgoE3EjNS0_10empty_typeEbEEZZNS1_14partition_implILS8_3ELb0ES6_jNS0_17counting_iteratorIjlEEPS9_SE_NS0_5tupleIJPjSE_EEENSF_IJSE_SE_EEES9_SG_JZNS1_25segmented_radix_sort_implINS0_14default_configELb0EPKiPiPKlPlN2at6native12_GLOBAL__N_18offset_tEEE10hipError_tPvRmT1_PNSt15iterator_traitsISY_E10value_typeET2_T3_PNSZ_IS14_E10value_typeET4_jRbjT5_S1A_jjP12ihipStream_tbEUljE_EEESV_SW_SX_S14_S18_S1A_T6_T7_T9_mT8_S1C_bDpT10_ENKUlT_T0_E_clISt17integral_constantIbLb1EES1P_EEDaS1K_S1L_EUlS1K_E_NS1_11comp_targetILNS1_3genE3ELNS1_11target_archE908ELNS1_3gpuE7ELNS1_3repE0EEENS1_30default_config_static_selectorELNS0_4arch9wavefront6targetE0EEEvSY_.has_dyn_sized_stack, 0
	.set _ZN7rocprim17ROCPRIM_400000_NS6detail17trampoline_kernelINS0_13select_configILj256ELj13ELNS0_17block_load_methodE3ELS4_3ELS4_3ELNS0_20block_scan_algorithmE0ELj4294967295EEENS1_25partition_config_selectorILNS1_17partition_subalgoE3EjNS0_10empty_typeEbEEZZNS1_14partition_implILS8_3ELb0ES6_jNS0_17counting_iteratorIjlEEPS9_SE_NS0_5tupleIJPjSE_EEENSF_IJSE_SE_EEES9_SG_JZNS1_25segmented_radix_sort_implINS0_14default_configELb0EPKiPiPKlPlN2at6native12_GLOBAL__N_18offset_tEEE10hipError_tPvRmT1_PNSt15iterator_traitsISY_E10value_typeET2_T3_PNSZ_IS14_E10value_typeET4_jRbjT5_S1A_jjP12ihipStream_tbEUljE_EEESV_SW_SX_S14_S18_S1A_T6_T7_T9_mT8_S1C_bDpT10_ENKUlT_T0_E_clISt17integral_constantIbLb1EES1P_EEDaS1K_S1L_EUlS1K_E_NS1_11comp_targetILNS1_3genE3ELNS1_11target_archE908ELNS1_3gpuE7ELNS1_3repE0EEENS1_30default_config_static_selectorELNS0_4arch9wavefront6targetE0EEEvSY_.has_recursion, 0
	.set _ZN7rocprim17ROCPRIM_400000_NS6detail17trampoline_kernelINS0_13select_configILj256ELj13ELNS0_17block_load_methodE3ELS4_3ELS4_3ELNS0_20block_scan_algorithmE0ELj4294967295EEENS1_25partition_config_selectorILNS1_17partition_subalgoE3EjNS0_10empty_typeEbEEZZNS1_14partition_implILS8_3ELb0ES6_jNS0_17counting_iteratorIjlEEPS9_SE_NS0_5tupleIJPjSE_EEENSF_IJSE_SE_EEES9_SG_JZNS1_25segmented_radix_sort_implINS0_14default_configELb0EPKiPiPKlPlN2at6native12_GLOBAL__N_18offset_tEEE10hipError_tPvRmT1_PNSt15iterator_traitsISY_E10value_typeET2_T3_PNSZ_IS14_E10value_typeET4_jRbjT5_S1A_jjP12ihipStream_tbEUljE_EEESV_SW_SX_S14_S18_S1A_T6_T7_T9_mT8_S1C_bDpT10_ENKUlT_T0_E_clISt17integral_constantIbLb1EES1P_EEDaS1K_S1L_EUlS1K_E_NS1_11comp_targetILNS1_3genE3ELNS1_11target_archE908ELNS1_3gpuE7ELNS1_3repE0EEENS1_30default_config_static_selectorELNS0_4arch9wavefront6targetE0EEEvSY_.has_indirect_call, 0
	.section	.AMDGPU.csdata,"",@progbits
; Kernel info:
; codeLenInByte = 0
; TotalNumSgprs: 0
; NumVgprs: 0
; ScratchSize: 0
; MemoryBound: 0
; FloatMode: 240
; IeeeMode: 1
; LDSByteSize: 0 bytes/workgroup (compile time only)
; SGPRBlocks: 0
; VGPRBlocks: 0
; NumSGPRsForWavesPerEU: 1
; NumVGPRsForWavesPerEU: 1
; NamedBarCnt: 0
; Occupancy: 16
; WaveLimiterHint : 0
; COMPUTE_PGM_RSRC2:SCRATCH_EN: 0
; COMPUTE_PGM_RSRC2:USER_SGPR: 2
; COMPUTE_PGM_RSRC2:TRAP_HANDLER: 0
; COMPUTE_PGM_RSRC2:TGID_X_EN: 1
; COMPUTE_PGM_RSRC2:TGID_Y_EN: 0
; COMPUTE_PGM_RSRC2:TGID_Z_EN: 0
; COMPUTE_PGM_RSRC2:TIDIG_COMP_CNT: 0
	.section	.text._ZN7rocprim17ROCPRIM_400000_NS6detail17trampoline_kernelINS0_13select_configILj256ELj13ELNS0_17block_load_methodE3ELS4_3ELS4_3ELNS0_20block_scan_algorithmE0ELj4294967295EEENS1_25partition_config_selectorILNS1_17partition_subalgoE3EjNS0_10empty_typeEbEEZZNS1_14partition_implILS8_3ELb0ES6_jNS0_17counting_iteratorIjlEEPS9_SE_NS0_5tupleIJPjSE_EEENSF_IJSE_SE_EEES9_SG_JZNS1_25segmented_radix_sort_implINS0_14default_configELb0EPKiPiPKlPlN2at6native12_GLOBAL__N_18offset_tEEE10hipError_tPvRmT1_PNSt15iterator_traitsISY_E10value_typeET2_T3_PNSZ_IS14_E10value_typeET4_jRbjT5_S1A_jjP12ihipStream_tbEUljE_EEESV_SW_SX_S14_S18_S1A_T6_T7_T9_mT8_S1C_bDpT10_ENKUlT_T0_E_clISt17integral_constantIbLb1EES1P_EEDaS1K_S1L_EUlS1K_E_NS1_11comp_targetILNS1_3genE2ELNS1_11target_archE906ELNS1_3gpuE6ELNS1_3repE0EEENS1_30default_config_static_selectorELNS0_4arch9wavefront6targetE0EEEvSY_,"axG",@progbits,_ZN7rocprim17ROCPRIM_400000_NS6detail17trampoline_kernelINS0_13select_configILj256ELj13ELNS0_17block_load_methodE3ELS4_3ELS4_3ELNS0_20block_scan_algorithmE0ELj4294967295EEENS1_25partition_config_selectorILNS1_17partition_subalgoE3EjNS0_10empty_typeEbEEZZNS1_14partition_implILS8_3ELb0ES6_jNS0_17counting_iteratorIjlEEPS9_SE_NS0_5tupleIJPjSE_EEENSF_IJSE_SE_EEES9_SG_JZNS1_25segmented_radix_sort_implINS0_14default_configELb0EPKiPiPKlPlN2at6native12_GLOBAL__N_18offset_tEEE10hipError_tPvRmT1_PNSt15iterator_traitsISY_E10value_typeET2_T3_PNSZ_IS14_E10value_typeET4_jRbjT5_S1A_jjP12ihipStream_tbEUljE_EEESV_SW_SX_S14_S18_S1A_T6_T7_T9_mT8_S1C_bDpT10_ENKUlT_T0_E_clISt17integral_constantIbLb1EES1P_EEDaS1K_S1L_EUlS1K_E_NS1_11comp_targetILNS1_3genE2ELNS1_11target_archE906ELNS1_3gpuE6ELNS1_3repE0EEENS1_30default_config_static_selectorELNS0_4arch9wavefront6targetE0EEEvSY_,comdat
	.globl	_ZN7rocprim17ROCPRIM_400000_NS6detail17trampoline_kernelINS0_13select_configILj256ELj13ELNS0_17block_load_methodE3ELS4_3ELS4_3ELNS0_20block_scan_algorithmE0ELj4294967295EEENS1_25partition_config_selectorILNS1_17partition_subalgoE3EjNS0_10empty_typeEbEEZZNS1_14partition_implILS8_3ELb0ES6_jNS0_17counting_iteratorIjlEEPS9_SE_NS0_5tupleIJPjSE_EEENSF_IJSE_SE_EEES9_SG_JZNS1_25segmented_radix_sort_implINS0_14default_configELb0EPKiPiPKlPlN2at6native12_GLOBAL__N_18offset_tEEE10hipError_tPvRmT1_PNSt15iterator_traitsISY_E10value_typeET2_T3_PNSZ_IS14_E10value_typeET4_jRbjT5_S1A_jjP12ihipStream_tbEUljE_EEESV_SW_SX_S14_S18_S1A_T6_T7_T9_mT8_S1C_bDpT10_ENKUlT_T0_E_clISt17integral_constantIbLb1EES1P_EEDaS1K_S1L_EUlS1K_E_NS1_11comp_targetILNS1_3genE2ELNS1_11target_archE906ELNS1_3gpuE6ELNS1_3repE0EEENS1_30default_config_static_selectorELNS0_4arch9wavefront6targetE0EEEvSY_ ; -- Begin function _ZN7rocprim17ROCPRIM_400000_NS6detail17trampoline_kernelINS0_13select_configILj256ELj13ELNS0_17block_load_methodE3ELS4_3ELS4_3ELNS0_20block_scan_algorithmE0ELj4294967295EEENS1_25partition_config_selectorILNS1_17partition_subalgoE3EjNS0_10empty_typeEbEEZZNS1_14partition_implILS8_3ELb0ES6_jNS0_17counting_iteratorIjlEEPS9_SE_NS0_5tupleIJPjSE_EEENSF_IJSE_SE_EEES9_SG_JZNS1_25segmented_radix_sort_implINS0_14default_configELb0EPKiPiPKlPlN2at6native12_GLOBAL__N_18offset_tEEE10hipError_tPvRmT1_PNSt15iterator_traitsISY_E10value_typeET2_T3_PNSZ_IS14_E10value_typeET4_jRbjT5_S1A_jjP12ihipStream_tbEUljE_EEESV_SW_SX_S14_S18_S1A_T6_T7_T9_mT8_S1C_bDpT10_ENKUlT_T0_E_clISt17integral_constantIbLb1EES1P_EEDaS1K_S1L_EUlS1K_E_NS1_11comp_targetILNS1_3genE2ELNS1_11target_archE906ELNS1_3gpuE6ELNS1_3repE0EEENS1_30default_config_static_selectorELNS0_4arch9wavefront6targetE0EEEvSY_
	.p2align	8
	.type	_ZN7rocprim17ROCPRIM_400000_NS6detail17trampoline_kernelINS0_13select_configILj256ELj13ELNS0_17block_load_methodE3ELS4_3ELS4_3ELNS0_20block_scan_algorithmE0ELj4294967295EEENS1_25partition_config_selectorILNS1_17partition_subalgoE3EjNS0_10empty_typeEbEEZZNS1_14partition_implILS8_3ELb0ES6_jNS0_17counting_iteratorIjlEEPS9_SE_NS0_5tupleIJPjSE_EEENSF_IJSE_SE_EEES9_SG_JZNS1_25segmented_radix_sort_implINS0_14default_configELb0EPKiPiPKlPlN2at6native12_GLOBAL__N_18offset_tEEE10hipError_tPvRmT1_PNSt15iterator_traitsISY_E10value_typeET2_T3_PNSZ_IS14_E10value_typeET4_jRbjT5_S1A_jjP12ihipStream_tbEUljE_EEESV_SW_SX_S14_S18_S1A_T6_T7_T9_mT8_S1C_bDpT10_ENKUlT_T0_E_clISt17integral_constantIbLb1EES1P_EEDaS1K_S1L_EUlS1K_E_NS1_11comp_targetILNS1_3genE2ELNS1_11target_archE906ELNS1_3gpuE6ELNS1_3repE0EEENS1_30default_config_static_selectorELNS0_4arch9wavefront6targetE0EEEvSY_,@function
_ZN7rocprim17ROCPRIM_400000_NS6detail17trampoline_kernelINS0_13select_configILj256ELj13ELNS0_17block_load_methodE3ELS4_3ELS4_3ELNS0_20block_scan_algorithmE0ELj4294967295EEENS1_25partition_config_selectorILNS1_17partition_subalgoE3EjNS0_10empty_typeEbEEZZNS1_14partition_implILS8_3ELb0ES6_jNS0_17counting_iteratorIjlEEPS9_SE_NS0_5tupleIJPjSE_EEENSF_IJSE_SE_EEES9_SG_JZNS1_25segmented_radix_sort_implINS0_14default_configELb0EPKiPiPKlPlN2at6native12_GLOBAL__N_18offset_tEEE10hipError_tPvRmT1_PNSt15iterator_traitsISY_E10value_typeET2_T3_PNSZ_IS14_E10value_typeET4_jRbjT5_S1A_jjP12ihipStream_tbEUljE_EEESV_SW_SX_S14_S18_S1A_T6_T7_T9_mT8_S1C_bDpT10_ENKUlT_T0_E_clISt17integral_constantIbLb1EES1P_EEDaS1K_S1L_EUlS1K_E_NS1_11comp_targetILNS1_3genE2ELNS1_11target_archE906ELNS1_3gpuE6ELNS1_3repE0EEENS1_30default_config_static_selectorELNS0_4arch9wavefront6targetE0EEEvSY_: ; @_ZN7rocprim17ROCPRIM_400000_NS6detail17trampoline_kernelINS0_13select_configILj256ELj13ELNS0_17block_load_methodE3ELS4_3ELS4_3ELNS0_20block_scan_algorithmE0ELj4294967295EEENS1_25partition_config_selectorILNS1_17partition_subalgoE3EjNS0_10empty_typeEbEEZZNS1_14partition_implILS8_3ELb0ES6_jNS0_17counting_iteratorIjlEEPS9_SE_NS0_5tupleIJPjSE_EEENSF_IJSE_SE_EEES9_SG_JZNS1_25segmented_radix_sort_implINS0_14default_configELb0EPKiPiPKlPlN2at6native12_GLOBAL__N_18offset_tEEE10hipError_tPvRmT1_PNSt15iterator_traitsISY_E10value_typeET2_T3_PNSZ_IS14_E10value_typeET4_jRbjT5_S1A_jjP12ihipStream_tbEUljE_EEESV_SW_SX_S14_S18_S1A_T6_T7_T9_mT8_S1C_bDpT10_ENKUlT_T0_E_clISt17integral_constantIbLb1EES1P_EEDaS1K_S1L_EUlS1K_E_NS1_11comp_targetILNS1_3genE2ELNS1_11target_archE906ELNS1_3gpuE6ELNS1_3repE0EEENS1_30default_config_static_selectorELNS0_4arch9wavefront6targetE0EEEvSY_
; %bb.0:
	.section	.rodata,"a",@progbits
	.p2align	6, 0x0
	.amdhsa_kernel _ZN7rocprim17ROCPRIM_400000_NS6detail17trampoline_kernelINS0_13select_configILj256ELj13ELNS0_17block_load_methodE3ELS4_3ELS4_3ELNS0_20block_scan_algorithmE0ELj4294967295EEENS1_25partition_config_selectorILNS1_17partition_subalgoE3EjNS0_10empty_typeEbEEZZNS1_14partition_implILS8_3ELb0ES6_jNS0_17counting_iteratorIjlEEPS9_SE_NS0_5tupleIJPjSE_EEENSF_IJSE_SE_EEES9_SG_JZNS1_25segmented_radix_sort_implINS0_14default_configELb0EPKiPiPKlPlN2at6native12_GLOBAL__N_18offset_tEEE10hipError_tPvRmT1_PNSt15iterator_traitsISY_E10value_typeET2_T3_PNSZ_IS14_E10value_typeET4_jRbjT5_S1A_jjP12ihipStream_tbEUljE_EEESV_SW_SX_S14_S18_S1A_T6_T7_T9_mT8_S1C_bDpT10_ENKUlT_T0_E_clISt17integral_constantIbLb1EES1P_EEDaS1K_S1L_EUlS1K_E_NS1_11comp_targetILNS1_3genE2ELNS1_11target_archE906ELNS1_3gpuE6ELNS1_3repE0EEENS1_30default_config_static_selectorELNS0_4arch9wavefront6targetE0EEEvSY_
		.amdhsa_group_segment_fixed_size 0
		.amdhsa_private_segment_fixed_size 0
		.amdhsa_kernarg_size 152
		.amdhsa_user_sgpr_count 2
		.amdhsa_user_sgpr_dispatch_ptr 0
		.amdhsa_user_sgpr_queue_ptr 0
		.amdhsa_user_sgpr_kernarg_segment_ptr 1
		.amdhsa_user_sgpr_dispatch_id 0
		.amdhsa_user_sgpr_kernarg_preload_length 0
		.amdhsa_user_sgpr_kernarg_preload_offset 0
		.amdhsa_user_sgpr_private_segment_size 0
		.amdhsa_wavefront_size32 1
		.amdhsa_uses_dynamic_stack 0
		.amdhsa_enable_private_segment 0
		.amdhsa_system_sgpr_workgroup_id_x 1
		.amdhsa_system_sgpr_workgroup_id_y 0
		.amdhsa_system_sgpr_workgroup_id_z 0
		.amdhsa_system_sgpr_workgroup_info 0
		.amdhsa_system_vgpr_workitem_id 0
		.amdhsa_next_free_vgpr 1
		.amdhsa_next_free_sgpr 1
		.amdhsa_named_barrier_count 0
		.amdhsa_reserve_vcc 0
		.amdhsa_float_round_mode_32 0
		.amdhsa_float_round_mode_16_64 0
		.amdhsa_float_denorm_mode_32 3
		.amdhsa_float_denorm_mode_16_64 3
		.amdhsa_fp16_overflow 0
		.amdhsa_memory_ordered 1
		.amdhsa_forward_progress 1
		.amdhsa_inst_pref_size 0
		.amdhsa_round_robin_scheduling 0
		.amdhsa_exception_fp_ieee_invalid_op 0
		.amdhsa_exception_fp_denorm_src 0
		.amdhsa_exception_fp_ieee_div_zero 0
		.amdhsa_exception_fp_ieee_overflow 0
		.amdhsa_exception_fp_ieee_underflow 0
		.amdhsa_exception_fp_ieee_inexact 0
		.amdhsa_exception_int_div_zero 0
	.end_amdhsa_kernel
	.section	.text._ZN7rocprim17ROCPRIM_400000_NS6detail17trampoline_kernelINS0_13select_configILj256ELj13ELNS0_17block_load_methodE3ELS4_3ELS4_3ELNS0_20block_scan_algorithmE0ELj4294967295EEENS1_25partition_config_selectorILNS1_17partition_subalgoE3EjNS0_10empty_typeEbEEZZNS1_14partition_implILS8_3ELb0ES6_jNS0_17counting_iteratorIjlEEPS9_SE_NS0_5tupleIJPjSE_EEENSF_IJSE_SE_EEES9_SG_JZNS1_25segmented_radix_sort_implINS0_14default_configELb0EPKiPiPKlPlN2at6native12_GLOBAL__N_18offset_tEEE10hipError_tPvRmT1_PNSt15iterator_traitsISY_E10value_typeET2_T3_PNSZ_IS14_E10value_typeET4_jRbjT5_S1A_jjP12ihipStream_tbEUljE_EEESV_SW_SX_S14_S18_S1A_T6_T7_T9_mT8_S1C_bDpT10_ENKUlT_T0_E_clISt17integral_constantIbLb1EES1P_EEDaS1K_S1L_EUlS1K_E_NS1_11comp_targetILNS1_3genE2ELNS1_11target_archE906ELNS1_3gpuE6ELNS1_3repE0EEENS1_30default_config_static_selectorELNS0_4arch9wavefront6targetE0EEEvSY_,"axG",@progbits,_ZN7rocprim17ROCPRIM_400000_NS6detail17trampoline_kernelINS0_13select_configILj256ELj13ELNS0_17block_load_methodE3ELS4_3ELS4_3ELNS0_20block_scan_algorithmE0ELj4294967295EEENS1_25partition_config_selectorILNS1_17partition_subalgoE3EjNS0_10empty_typeEbEEZZNS1_14partition_implILS8_3ELb0ES6_jNS0_17counting_iteratorIjlEEPS9_SE_NS0_5tupleIJPjSE_EEENSF_IJSE_SE_EEES9_SG_JZNS1_25segmented_radix_sort_implINS0_14default_configELb0EPKiPiPKlPlN2at6native12_GLOBAL__N_18offset_tEEE10hipError_tPvRmT1_PNSt15iterator_traitsISY_E10value_typeET2_T3_PNSZ_IS14_E10value_typeET4_jRbjT5_S1A_jjP12ihipStream_tbEUljE_EEESV_SW_SX_S14_S18_S1A_T6_T7_T9_mT8_S1C_bDpT10_ENKUlT_T0_E_clISt17integral_constantIbLb1EES1P_EEDaS1K_S1L_EUlS1K_E_NS1_11comp_targetILNS1_3genE2ELNS1_11target_archE906ELNS1_3gpuE6ELNS1_3repE0EEENS1_30default_config_static_selectorELNS0_4arch9wavefront6targetE0EEEvSY_,comdat
.Lfunc_end576:
	.size	_ZN7rocprim17ROCPRIM_400000_NS6detail17trampoline_kernelINS0_13select_configILj256ELj13ELNS0_17block_load_methodE3ELS4_3ELS4_3ELNS0_20block_scan_algorithmE0ELj4294967295EEENS1_25partition_config_selectorILNS1_17partition_subalgoE3EjNS0_10empty_typeEbEEZZNS1_14partition_implILS8_3ELb0ES6_jNS0_17counting_iteratorIjlEEPS9_SE_NS0_5tupleIJPjSE_EEENSF_IJSE_SE_EEES9_SG_JZNS1_25segmented_radix_sort_implINS0_14default_configELb0EPKiPiPKlPlN2at6native12_GLOBAL__N_18offset_tEEE10hipError_tPvRmT1_PNSt15iterator_traitsISY_E10value_typeET2_T3_PNSZ_IS14_E10value_typeET4_jRbjT5_S1A_jjP12ihipStream_tbEUljE_EEESV_SW_SX_S14_S18_S1A_T6_T7_T9_mT8_S1C_bDpT10_ENKUlT_T0_E_clISt17integral_constantIbLb1EES1P_EEDaS1K_S1L_EUlS1K_E_NS1_11comp_targetILNS1_3genE2ELNS1_11target_archE906ELNS1_3gpuE6ELNS1_3repE0EEENS1_30default_config_static_selectorELNS0_4arch9wavefront6targetE0EEEvSY_, .Lfunc_end576-_ZN7rocprim17ROCPRIM_400000_NS6detail17trampoline_kernelINS0_13select_configILj256ELj13ELNS0_17block_load_methodE3ELS4_3ELS4_3ELNS0_20block_scan_algorithmE0ELj4294967295EEENS1_25partition_config_selectorILNS1_17partition_subalgoE3EjNS0_10empty_typeEbEEZZNS1_14partition_implILS8_3ELb0ES6_jNS0_17counting_iteratorIjlEEPS9_SE_NS0_5tupleIJPjSE_EEENSF_IJSE_SE_EEES9_SG_JZNS1_25segmented_radix_sort_implINS0_14default_configELb0EPKiPiPKlPlN2at6native12_GLOBAL__N_18offset_tEEE10hipError_tPvRmT1_PNSt15iterator_traitsISY_E10value_typeET2_T3_PNSZ_IS14_E10value_typeET4_jRbjT5_S1A_jjP12ihipStream_tbEUljE_EEESV_SW_SX_S14_S18_S1A_T6_T7_T9_mT8_S1C_bDpT10_ENKUlT_T0_E_clISt17integral_constantIbLb1EES1P_EEDaS1K_S1L_EUlS1K_E_NS1_11comp_targetILNS1_3genE2ELNS1_11target_archE906ELNS1_3gpuE6ELNS1_3repE0EEENS1_30default_config_static_selectorELNS0_4arch9wavefront6targetE0EEEvSY_
                                        ; -- End function
	.set _ZN7rocprim17ROCPRIM_400000_NS6detail17trampoline_kernelINS0_13select_configILj256ELj13ELNS0_17block_load_methodE3ELS4_3ELS4_3ELNS0_20block_scan_algorithmE0ELj4294967295EEENS1_25partition_config_selectorILNS1_17partition_subalgoE3EjNS0_10empty_typeEbEEZZNS1_14partition_implILS8_3ELb0ES6_jNS0_17counting_iteratorIjlEEPS9_SE_NS0_5tupleIJPjSE_EEENSF_IJSE_SE_EEES9_SG_JZNS1_25segmented_radix_sort_implINS0_14default_configELb0EPKiPiPKlPlN2at6native12_GLOBAL__N_18offset_tEEE10hipError_tPvRmT1_PNSt15iterator_traitsISY_E10value_typeET2_T3_PNSZ_IS14_E10value_typeET4_jRbjT5_S1A_jjP12ihipStream_tbEUljE_EEESV_SW_SX_S14_S18_S1A_T6_T7_T9_mT8_S1C_bDpT10_ENKUlT_T0_E_clISt17integral_constantIbLb1EES1P_EEDaS1K_S1L_EUlS1K_E_NS1_11comp_targetILNS1_3genE2ELNS1_11target_archE906ELNS1_3gpuE6ELNS1_3repE0EEENS1_30default_config_static_selectorELNS0_4arch9wavefront6targetE0EEEvSY_.num_vgpr, 0
	.set _ZN7rocprim17ROCPRIM_400000_NS6detail17trampoline_kernelINS0_13select_configILj256ELj13ELNS0_17block_load_methodE3ELS4_3ELS4_3ELNS0_20block_scan_algorithmE0ELj4294967295EEENS1_25partition_config_selectorILNS1_17partition_subalgoE3EjNS0_10empty_typeEbEEZZNS1_14partition_implILS8_3ELb0ES6_jNS0_17counting_iteratorIjlEEPS9_SE_NS0_5tupleIJPjSE_EEENSF_IJSE_SE_EEES9_SG_JZNS1_25segmented_radix_sort_implINS0_14default_configELb0EPKiPiPKlPlN2at6native12_GLOBAL__N_18offset_tEEE10hipError_tPvRmT1_PNSt15iterator_traitsISY_E10value_typeET2_T3_PNSZ_IS14_E10value_typeET4_jRbjT5_S1A_jjP12ihipStream_tbEUljE_EEESV_SW_SX_S14_S18_S1A_T6_T7_T9_mT8_S1C_bDpT10_ENKUlT_T0_E_clISt17integral_constantIbLb1EES1P_EEDaS1K_S1L_EUlS1K_E_NS1_11comp_targetILNS1_3genE2ELNS1_11target_archE906ELNS1_3gpuE6ELNS1_3repE0EEENS1_30default_config_static_selectorELNS0_4arch9wavefront6targetE0EEEvSY_.num_agpr, 0
	.set _ZN7rocprim17ROCPRIM_400000_NS6detail17trampoline_kernelINS0_13select_configILj256ELj13ELNS0_17block_load_methodE3ELS4_3ELS4_3ELNS0_20block_scan_algorithmE0ELj4294967295EEENS1_25partition_config_selectorILNS1_17partition_subalgoE3EjNS0_10empty_typeEbEEZZNS1_14partition_implILS8_3ELb0ES6_jNS0_17counting_iteratorIjlEEPS9_SE_NS0_5tupleIJPjSE_EEENSF_IJSE_SE_EEES9_SG_JZNS1_25segmented_radix_sort_implINS0_14default_configELb0EPKiPiPKlPlN2at6native12_GLOBAL__N_18offset_tEEE10hipError_tPvRmT1_PNSt15iterator_traitsISY_E10value_typeET2_T3_PNSZ_IS14_E10value_typeET4_jRbjT5_S1A_jjP12ihipStream_tbEUljE_EEESV_SW_SX_S14_S18_S1A_T6_T7_T9_mT8_S1C_bDpT10_ENKUlT_T0_E_clISt17integral_constantIbLb1EES1P_EEDaS1K_S1L_EUlS1K_E_NS1_11comp_targetILNS1_3genE2ELNS1_11target_archE906ELNS1_3gpuE6ELNS1_3repE0EEENS1_30default_config_static_selectorELNS0_4arch9wavefront6targetE0EEEvSY_.numbered_sgpr, 0
	.set _ZN7rocprim17ROCPRIM_400000_NS6detail17trampoline_kernelINS0_13select_configILj256ELj13ELNS0_17block_load_methodE3ELS4_3ELS4_3ELNS0_20block_scan_algorithmE0ELj4294967295EEENS1_25partition_config_selectorILNS1_17partition_subalgoE3EjNS0_10empty_typeEbEEZZNS1_14partition_implILS8_3ELb0ES6_jNS0_17counting_iteratorIjlEEPS9_SE_NS0_5tupleIJPjSE_EEENSF_IJSE_SE_EEES9_SG_JZNS1_25segmented_radix_sort_implINS0_14default_configELb0EPKiPiPKlPlN2at6native12_GLOBAL__N_18offset_tEEE10hipError_tPvRmT1_PNSt15iterator_traitsISY_E10value_typeET2_T3_PNSZ_IS14_E10value_typeET4_jRbjT5_S1A_jjP12ihipStream_tbEUljE_EEESV_SW_SX_S14_S18_S1A_T6_T7_T9_mT8_S1C_bDpT10_ENKUlT_T0_E_clISt17integral_constantIbLb1EES1P_EEDaS1K_S1L_EUlS1K_E_NS1_11comp_targetILNS1_3genE2ELNS1_11target_archE906ELNS1_3gpuE6ELNS1_3repE0EEENS1_30default_config_static_selectorELNS0_4arch9wavefront6targetE0EEEvSY_.num_named_barrier, 0
	.set _ZN7rocprim17ROCPRIM_400000_NS6detail17trampoline_kernelINS0_13select_configILj256ELj13ELNS0_17block_load_methodE3ELS4_3ELS4_3ELNS0_20block_scan_algorithmE0ELj4294967295EEENS1_25partition_config_selectorILNS1_17partition_subalgoE3EjNS0_10empty_typeEbEEZZNS1_14partition_implILS8_3ELb0ES6_jNS0_17counting_iteratorIjlEEPS9_SE_NS0_5tupleIJPjSE_EEENSF_IJSE_SE_EEES9_SG_JZNS1_25segmented_radix_sort_implINS0_14default_configELb0EPKiPiPKlPlN2at6native12_GLOBAL__N_18offset_tEEE10hipError_tPvRmT1_PNSt15iterator_traitsISY_E10value_typeET2_T3_PNSZ_IS14_E10value_typeET4_jRbjT5_S1A_jjP12ihipStream_tbEUljE_EEESV_SW_SX_S14_S18_S1A_T6_T7_T9_mT8_S1C_bDpT10_ENKUlT_T0_E_clISt17integral_constantIbLb1EES1P_EEDaS1K_S1L_EUlS1K_E_NS1_11comp_targetILNS1_3genE2ELNS1_11target_archE906ELNS1_3gpuE6ELNS1_3repE0EEENS1_30default_config_static_selectorELNS0_4arch9wavefront6targetE0EEEvSY_.private_seg_size, 0
	.set _ZN7rocprim17ROCPRIM_400000_NS6detail17trampoline_kernelINS0_13select_configILj256ELj13ELNS0_17block_load_methodE3ELS4_3ELS4_3ELNS0_20block_scan_algorithmE0ELj4294967295EEENS1_25partition_config_selectorILNS1_17partition_subalgoE3EjNS0_10empty_typeEbEEZZNS1_14partition_implILS8_3ELb0ES6_jNS0_17counting_iteratorIjlEEPS9_SE_NS0_5tupleIJPjSE_EEENSF_IJSE_SE_EEES9_SG_JZNS1_25segmented_radix_sort_implINS0_14default_configELb0EPKiPiPKlPlN2at6native12_GLOBAL__N_18offset_tEEE10hipError_tPvRmT1_PNSt15iterator_traitsISY_E10value_typeET2_T3_PNSZ_IS14_E10value_typeET4_jRbjT5_S1A_jjP12ihipStream_tbEUljE_EEESV_SW_SX_S14_S18_S1A_T6_T7_T9_mT8_S1C_bDpT10_ENKUlT_T0_E_clISt17integral_constantIbLb1EES1P_EEDaS1K_S1L_EUlS1K_E_NS1_11comp_targetILNS1_3genE2ELNS1_11target_archE906ELNS1_3gpuE6ELNS1_3repE0EEENS1_30default_config_static_selectorELNS0_4arch9wavefront6targetE0EEEvSY_.uses_vcc, 0
	.set _ZN7rocprim17ROCPRIM_400000_NS6detail17trampoline_kernelINS0_13select_configILj256ELj13ELNS0_17block_load_methodE3ELS4_3ELS4_3ELNS0_20block_scan_algorithmE0ELj4294967295EEENS1_25partition_config_selectorILNS1_17partition_subalgoE3EjNS0_10empty_typeEbEEZZNS1_14partition_implILS8_3ELb0ES6_jNS0_17counting_iteratorIjlEEPS9_SE_NS0_5tupleIJPjSE_EEENSF_IJSE_SE_EEES9_SG_JZNS1_25segmented_radix_sort_implINS0_14default_configELb0EPKiPiPKlPlN2at6native12_GLOBAL__N_18offset_tEEE10hipError_tPvRmT1_PNSt15iterator_traitsISY_E10value_typeET2_T3_PNSZ_IS14_E10value_typeET4_jRbjT5_S1A_jjP12ihipStream_tbEUljE_EEESV_SW_SX_S14_S18_S1A_T6_T7_T9_mT8_S1C_bDpT10_ENKUlT_T0_E_clISt17integral_constantIbLb1EES1P_EEDaS1K_S1L_EUlS1K_E_NS1_11comp_targetILNS1_3genE2ELNS1_11target_archE906ELNS1_3gpuE6ELNS1_3repE0EEENS1_30default_config_static_selectorELNS0_4arch9wavefront6targetE0EEEvSY_.uses_flat_scratch, 0
	.set _ZN7rocprim17ROCPRIM_400000_NS6detail17trampoline_kernelINS0_13select_configILj256ELj13ELNS0_17block_load_methodE3ELS4_3ELS4_3ELNS0_20block_scan_algorithmE0ELj4294967295EEENS1_25partition_config_selectorILNS1_17partition_subalgoE3EjNS0_10empty_typeEbEEZZNS1_14partition_implILS8_3ELb0ES6_jNS0_17counting_iteratorIjlEEPS9_SE_NS0_5tupleIJPjSE_EEENSF_IJSE_SE_EEES9_SG_JZNS1_25segmented_radix_sort_implINS0_14default_configELb0EPKiPiPKlPlN2at6native12_GLOBAL__N_18offset_tEEE10hipError_tPvRmT1_PNSt15iterator_traitsISY_E10value_typeET2_T3_PNSZ_IS14_E10value_typeET4_jRbjT5_S1A_jjP12ihipStream_tbEUljE_EEESV_SW_SX_S14_S18_S1A_T6_T7_T9_mT8_S1C_bDpT10_ENKUlT_T0_E_clISt17integral_constantIbLb1EES1P_EEDaS1K_S1L_EUlS1K_E_NS1_11comp_targetILNS1_3genE2ELNS1_11target_archE906ELNS1_3gpuE6ELNS1_3repE0EEENS1_30default_config_static_selectorELNS0_4arch9wavefront6targetE0EEEvSY_.has_dyn_sized_stack, 0
	.set _ZN7rocprim17ROCPRIM_400000_NS6detail17trampoline_kernelINS0_13select_configILj256ELj13ELNS0_17block_load_methodE3ELS4_3ELS4_3ELNS0_20block_scan_algorithmE0ELj4294967295EEENS1_25partition_config_selectorILNS1_17partition_subalgoE3EjNS0_10empty_typeEbEEZZNS1_14partition_implILS8_3ELb0ES6_jNS0_17counting_iteratorIjlEEPS9_SE_NS0_5tupleIJPjSE_EEENSF_IJSE_SE_EEES9_SG_JZNS1_25segmented_radix_sort_implINS0_14default_configELb0EPKiPiPKlPlN2at6native12_GLOBAL__N_18offset_tEEE10hipError_tPvRmT1_PNSt15iterator_traitsISY_E10value_typeET2_T3_PNSZ_IS14_E10value_typeET4_jRbjT5_S1A_jjP12ihipStream_tbEUljE_EEESV_SW_SX_S14_S18_S1A_T6_T7_T9_mT8_S1C_bDpT10_ENKUlT_T0_E_clISt17integral_constantIbLb1EES1P_EEDaS1K_S1L_EUlS1K_E_NS1_11comp_targetILNS1_3genE2ELNS1_11target_archE906ELNS1_3gpuE6ELNS1_3repE0EEENS1_30default_config_static_selectorELNS0_4arch9wavefront6targetE0EEEvSY_.has_recursion, 0
	.set _ZN7rocprim17ROCPRIM_400000_NS6detail17trampoline_kernelINS0_13select_configILj256ELj13ELNS0_17block_load_methodE3ELS4_3ELS4_3ELNS0_20block_scan_algorithmE0ELj4294967295EEENS1_25partition_config_selectorILNS1_17partition_subalgoE3EjNS0_10empty_typeEbEEZZNS1_14partition_implILS8_3ELb0ES6_jNS0_17counting_iteratorIjlEEPS9_SE_NS0_5tupleIJPjSE_EEENSF_IJSE_SE_EEES9_SG_JZNS1_25segmented_radix_sort_implINS0_14default_configELb0EPKiPiPKlPlN2at6native12_GLOBAL__N_18offset_tEEE10hipError_tPvRmT1_PNSt15iterator_traitsISY_E10value_typeET2_T3_PNSZ_IS14_E10value_typeET4_jRbjT5_S1A_jjP12ihipStream_tbEUljE_EEESV_SW_SX_S14_S18_S1A_T6_T7_T9_mT8_S1C_bDpT10_ENKUlT_T0_E_clISt17integral_constantIbLb1EES1P_EEDaS1K_S1L_EUlS1K_E_NS1_11comp_targetILNS1_3genE2ELNS1_11target_archE906ELNS1_3gpuE6ELNS1_3repE0EEENS1_30default_config_static_selectorELNS0_4arch9wavefront6targetE0EEEvSY_.has_indirect_call, 0
	.section	.AMDGPU.csdata,"",@progbits
; Kernel info:
; codeLenInByte = 0
; TotalNumSgprs: 0
; NumVgprs: 0
; ScratchSize: 0
; MemoryBound: 0
; FloatMode: 240
; IeeeMode: 1
; LDSByteSize: 0 bytes/workgroup (compile time only)
; SGPRBlocks: 0
; VGPRBlocks: 0
; NumSGPRsForWavesPerEU: 1
; NumVGPRsForWavesPerEU: 1
; NamedBarCnt: 0
; Occupancy: 16
; WaveLimiterHint : 0
; COMPUTE_PGM_RSRC2:SCRATCH_EN: 0
; COMPUTE_PGM_RSRC2:USER_SGPR: 2
; COMPUTE_PGM_RSRC2:TRAP_HANDLER: 0
; COMPUTE_PGM_RSRC2:TGID_X_EN: 1
; COMPUTE_PGM_RSRC2:TGID_Y_EN: 0
; COMPUTE_PGM_RSRC2:TGID_Z_EN: 0
; COMPUTE_PGM_RSRC2:TIDIG_COMP_CNT: 0
	.section	.text._ZN7rocprim17ROCPRIM_400000_NS6detail17trampoline_kernelINS0_13select_configILj256ELj13ELNS0_17block_load_methodE3ELS4_3ELS4_3ELNS0_20block_scan_algorithmE0ELj4294967295EEENS1_25partition_config_selectorILNS1_17partition_subalgoE3EjNS0_10empty_typeEbEEZZNS1_14partition_implILS8_3ELb0ES6_jNS0_17counting_iteratorIjlEEPS9_SE_NS0_5tupleIJPjSE_EEENSF_IJSE_SE_EEES9_SG_JZNS1_25segmented_radix_sort_implINS0_14default_configELb0EPKiPiPKlPlN2at6native12_GLOBAL__N_18offset_tEEE10hipError_tPvRmT1_PNSt15iterator_traitsISY_E10value_typeET2_T3_PNSZ_IS14_E10value_typeET4_jRbjT5_S1A_jjP12ihipStream_tbEUljE_EEESV_SW_SX_S14_S18_S1A_T6_T7_T9_mT8_S1C_bDpT10_ENKUlT_T0_E_clISt17integral_constantIbLb1EES1P_EEDaS1K_S1L_EUlS1K_E_NS1_11comp_targetILNS1_3genE10ELNS1_11target_archE1200ELNS1_3gpuE4ELNS1_3repE0EEENS1_30default_config_static_selectorELNS0_4arch9wavefront6targetE0EEEvSY_,"axG",@progbits,_ZN7rocprim17ROCPRIM_400000_NS6detail17trampoline_kernelINS0_13select_configILj256ELj13ELNS0_17block_load_methodE3ELS4_3ELS4_3ELNS0_20block_scan_algorithmE0ELj4294967295EEENS1_25partition_config_selectorILNS1_17partition_subalgoE3EjNS0_10empty_typeEbEEZZNS1_14partition_implILS8_3ELb0ES6_jNS0_17counting_iteratorIjlEEPS9_SE_NS0_5tupleIJPjSE_EEENSF_IJSE_SE_EEES9_SG_JZNS1_25segmented_radix_sort_implINS0_14default_configELb0EPKiPiPKlPlN2at6native12_GLOBAL__N_18offset_tEEE10hipError_tPvRmT1_PNSt15iterator_traitsISY_E10value_typeET2_T3_PNSZ_IS14_E10value_typeET4_jRbjT5_S1A_jjP12ihipStream_tbEUljE_EEESV_SW_SX_S14_S18_S1A_T6_T7_T9_mT8_S1C_bDpT10_ENKUlT_T0_E_clISt17integral_constantIbLb1EES1P_EEDaS1K_S1L_EUlS1K_E_NS1_11comp_targetILNS1_3genE10ELNS1_11target_archE1200ELNS1_3gpuE4ELNS1_3repE0EEENS1_30default_config_static_selectorELNS0_4arch9wavefront6targetE0EEEvSY_,comdat
	.globl	_ZN7rocprim17ROCPRIM_400000_NS6detail17trampoline_kernelINS0_13select_configILj256ELj13ELNS0_17block_load_methodE3ELS4_3ELS4_3ELNS0_20block_scan_algorithmE0ELj4294967295EEENS1_25partition_config_selectorILNS1_17partition_subalgoE3EjNS0_10empty_typeEbEEZZNS1_14partition_implILS8_3ELb0ES6_jNS0_17counting_iteratorIjlEEPS9_SE_NS0_5tupleIJPjSE_EEENSF_IJSE_SE_EEES9_SG_JZNS1_25segmented_radix_sort_implINS0_14default_configELb0EPKiPiPKlPlN2at6native12_GLOBAL__N_18offset_tEEE10hipError_tPvRmT1_PNSt15iterator_traitsISY_E10value_typeET2_T3_PNSZ_IS14_E10value_typeET4_jRbjT5_S1A_jjP12ihipStream_tbEUljE_EEESV_SW_SX_S14_S18_S1A_T6_T7_T9_mT8_S1C_bDpT10_ENKUlT_T0_E_clISt17integral_constantIbLb1EES1P_EEDaS1K_S1L_EUlS1K_E_NS1_11comp_targetILNS1_3genE10ELNS1_11target_archE1200ELNS1_3gpuE4ELNS1_3repE0EEENS1_30default_config_static_selectorELNS0_4arch9wavefront6targetE0EEEvSY_ ; -- Begin function _ZN7rocprim17ROCPRIM_400000_NS6detail17trampoline_kernelINS0_13select_configILj256ELj13ELNS0_17block_load_methodE3ELS4_3ELS4_3ELNS0_20block_scan_algorithmE0ELj4294967295EEENS1_25partition_config_selectorILNS1_17partition_subalgoE3EjNS0_10empty_typeEbEEZZNS1_14partition_implILS8_3ELb0ES6_jNS0_17counting_iteratorIjlEEPS9_SE_NS0_5tupleIJPjSE_EEENSF_IJSE_SE_EEES9_SG_JZNS1_25segmented_radix_sort_implINS0_14default_configELb0EPKiPiPKlPlN2at6native12_GLOBAL__N_18offset_tEEE10hipError_tPvRmT1_PNSt15iterator_traitsISY_E10value_typeET2_T3_PNSZ_IS14_E10value_typeET4_jRbjT5_S1A_jjP12ihipStream_tbEUljE_EEESV_SW_SX_S14_S18_S1A_T6_T7_T9_mT8_S1C_bDpT10_ENKUlT_T0_E_clISt17integral_constantIbLb1EES1P_EEDaS1K_S1L_EUlS1K_E_NS1_11comp_targetILNS1_3genE10ELNS1_11target_archE1200ELNS1_3gpuE4ELNS1_3repE0EEENS1_30default_config_static_selectorELNS0_4arch9wavefront6targetE0EEEvSY_
	.p2align	8
	.type	_ZN7rocprim17ROCPRIM_400000_NS6detail17trampoline_kernelINS0_13select_configILj256ELj13ELNS0_17block_load_methodE3ELS4_3ELS4_3ELNS0_20block_scan_algorithmE0ELj4294967295EEENS1_25partition_config_selectorILNS1_17partition_subalgoE3EjNS0_10empty_typeEbEEZZNS1_14partition_implILS8_3ELb0ES6_jNS0_17counting_iteratorIjlEEPS9_SE_NS0_5tupleIJPjSE_EEENSF_IJSE_SE_EEES9_SG_JZNS1_25segmented_radix_sort_implINS0_14default_configELb0EPKiPiPKlPlN2at6native12_GLOBAL__N_18offset_tEEE10hipError_tPvRmT1_PNSt15iterator_traitsISY_E10value_typeET2_T3_PNSZ_IS14_E10value_typeET4_jRbjT5_S1A_jjP12ihipStream_tbEUljE_EEESV_SW_SX_S14_S18_S1A_T6_T7_T9_mT8_S1C_bDpT10_ENKUlT_T0_E_clISt17integral_constantIbLb1EES1P_EEDaS1K_S1L_EUlS1K_E_NS1_11comp_targetILNS1_3genE10ELNS1_11target_archE1200ELNS1_3gpuE4ELNS1_3repE0EEENS1_30default_config_static_selectorELNS0_4arch9wavefront6targetE0EEEvSY_,@function
_ZN7rocprim17ROCPRIM_400000_NS6detail17trampoline_kernelINS0_13select_configILj256ELj13ELNS0_17block_load_methodE3ELS4_3ELS4_3ELNS0_20block_scan_algorithmE0ELj4294967295EEENS1_25partition_config_selectorILNS1_17partition_subalgoE3EjNS0_10empty_typeEbEEZZNS1_14partition_implILS8_3ELb0ES6_jNS0_17counting_iteratorIjlEEPS9_SE_NS0_5tupleIJPjSE_EEENSF_IJSE_SE_EEES9_SG_JZNS1_25segmented_radix_sort_implINS0_14default_configELb0EPKiPiPKlPlN2at6native12_GLOBAL__N_18offset_tEEE10hipError_tPvRmT1_PNSt15iterator_traitsISY_E10value_typeET2_T3_PNSZ_IS14_E10value_typeET4_jRbjT5_S1A_jjP12ihipStream_tbEUljE_EEESV_SW_SX_S14_S18_S1A_T6_T7_T9_mT8_S1C_bDpT10_ENKUlT_T0_E_clISt17integral_constantIbLb1EES1P_EEDaS1K_S1L_EUlS1K_E_NS1_11comp_targetILNS1_3genE10ELNS1_11target_archE1200ELNS1_3gpuE4ELNS1_3repE0EEENS1_30default_config_static_selectorELNS0_4arch9wavefront6targetE0EEEvSY_: ; @_ZN7rocprim17ROCPRIM_400000_NS6detail17trampoline_kernelINS0_13select_configILj256ELj13ELNS0_17block_load_methodE3ELS4_3ELS4_3ELNS0_20block_scan_algorithmE0ELj4294967295EEENS1_25partition_config_selectorILNS1_17partition_subalgoE3EjNS0_10empty_typeEbEEZZNS1_14partition_implILS8_3ELb0ES6_jNS0_17counting_iteratorIjlEEPS9_SE_NS0_5tupleIJPjSE_EEENSF_IJSE_SE_EEES9_SG_JZNS1_25segmented_radix_sort_implINS0_14default_configELb0EPKiPiPKlPlN2at6native12_GLOBAL__N_18offset_tEEE10hipError_tPvRmT1_PNSt15iterator_traitsISY_E10value_typeET2_T3_PNSZ_IS14_E10value_typeET4_jRbjT5_S1A_jjP12ihipStream_tbEUljE_EEESV_SW_SX_S14_S18_S1A_T6_T7_T9_mT8_S1C_bDpT10_ENKUlT_T0_E_clISt17integral_constantIbLb1EES1P_EEDaS1K_S1L_EUlS1K_E_NS1_11comp_targetILNS1_3genE10ELNS1_11target_archE1200ELNS1_3gpuE4ELNS1_3repE0EEENS1_30default_config_static_selectorELNS0_4arch9wavefront6targetE0EEEvSY_
; %bb.0:
	.section	.rodata,"a",@progbits
	.p2align	6, 0x0
	.amdhsa_kernel _ZN7rocprim17ROCPRIM_400000_NS6detail17trampoline_kernelINS0_13select_configILj256ELj13ELNS0_17block_load_methodE3ELS4_3ELS4_3ELNS0_20block_scan_algorithmE0ELj4294967295EEENS1_25partition_config_selectorILNS1_17partition_subalgoE3EjNS0_10empty_typeEbEEZZNS1_14partition_implILS8_3ELb0ES6_jNS0_17counting_iteratorIjlEEPS9_SE_NS0_5tupleIJPjSE_EEENSF_IJSE_SE_EEES9_SG_JZNS1_25segmented_radix_sort_implINS0_14default_configELb0EPKiPiPKlPlN2at6native12_GLOBAL__N_18offset_tEEE10hipError_tPvRmT1_PNSt15iterator_traitsISY_E10value_typeET2_T3_PNSZ_IS14_E10value_typeET4_jRbjT5_S1A_jjP12ihipStream_tbEUljE_EEESV_SW_SX_S14_S18_S1A_T6_T7_T9_mT8_S1C_bDpT10_ENKUlT_T0_E_clISt17integral_constantIbLb1EES1P_EEDaS1K_S1L_EUlS1K_E_NS1_11comp_targetILNS1_3genE10ELNS1_11target_archE1200ELNS1_3gpuE4ELNS1_3repE0EEENS1_30default_config_static_selectorELNS0_4arch9wavefront6targetE0EEEvSY_
		.amdhsa_group_segment_fixed_size 0
		.amdhsa_private_segment_fixed_size 0
		.amdhsa_kernarg_size 152
		.amdhsa_user_sgpr_count 2
		.amdhsa_user_sgpr_dispatch_ptr 0
		.amdhsa_user_sgpr_queue_ptr 0
		.amdhsa_user_sgpr_kernarg_segment_ptr 1
		.amdhsa_user_sgpr_dispatch_id 0
		.amdhsa_user_sgpr_kernarg_preload_length 0
		.amdhsa_user_sgpr_kernarg_preload_offset 0
		.amdhsa_user_sgpr_private_segment_size 0
		.amdhsa_wavefront_size32 1
		.amdhsa_uses_dynamic_stack 0
		.amdhsa_enable_private_segment 0
		.amdhsa_system_sgpr_workgroup_id_x 1
		.amdhsa_system_sgpr_workgroup_id_y 0
		.amdhsa_system_sgpr_workgroup_id_z 0
		.amdhsa_system_sgpr_workgroup_info 0
		.amdhsa_system_vgpr_workitem_id 0
		.amdhsa_next_free_vgpr 1
		.amdhsa_next_free_sgpr 1
		.amdhsa_named_barrier_count 0
		.amdhsa_reserve_vcc 0
		.amdhsa_float_round_mode_32 0
		.amdhsa_float_round_mode_16_64 0
		.amdhsa_float_denorm_mode_32 3
		.amdhsa_float_denorm_mode_16_64 3
		.amdhsa_fp16_overflow 0
		.amdhsa_memory_ordered 1
		.amdhsa_forward_progress 1
		.amdhsa_inst_pref_size 0
		.amdhsa_round_robin_scheduling 0
		.amdhsa_exception_fp_ieee_invalid_op 0
		.amdhsa_exception_fp_denorm_src 0
		.amdhsa_exception_fp_ieee_div_zero 0
		.amdhsa_exception_fp_ieee_overflow 0
		.amdhsa_exception_fp_ieee_underflow 0
		.amdhsa_exception_fp_ieee_inexact 0
		.amdhsa_exception_int_div_zero 0
	.end_amdhsa_kernel
	.section	.text._ZN7rocprim17ROCPRIM_400000_NS6detail17trampoline_kernelINS0_13select_configILj256ELj13ELNS0_17block_load_methodE3ELS4_3ELS4_3ELNS0_20block_scan_algorithmE0ELj4294967295EEENS1_25partition_config_selectorILNS1_17partition_subalgoE3EjNS0_10empty_typeEbEEZZNS1_14partition_implILS8_3ELb0ES6_jNS0_17counting_iteratorIjlEEPS9_SE_NS0_5tupleIJPjSE_EEENSF_IJSE_SE_EEES9_SG_JZNS1_25segmented_radix_sort_implINS0_14default_configELb0EPKiPiPKlPlN2at6native12_GLOBAL__N_18offset_tEEE10hipError_tPvRmT1_PNSt15iterator_traitsISY_E10value_typeET2_T3_PNSZ_IS14_E10value_typeET4_jRbjT5_S1A_jjP12ihipStream_tbEUljE_EEESV_SW_SX_S14_S18_S1A_T6_T7_T9_mT8_S1C_bDpT10_ENKUlT_T0_E_clISt17integral_constantIbLb1EES1P_EEDaS1K_S1L_EUlS1K_E_NS1_11comp_targetILNS1_3genE10ELNS1_11target_archE1200ELNS1_3gpuE4ELNS1_3repE0EEENS1_30default_config_static_selectorELNS0_4arch9wavefront6targetE0EEEvSY_,"axG",@progbits,_ZN7rocprim17ROCPRIM_400000_NS6detail17trampoline_kernelINS0_13select_configILj256ELj13ELNS0_17block_load_methodE3ELS4_3ELS4_3ELNS0_20block_scan_algorithmE0ELj4294967295EEENS1_25partition_config_selectorILNS1_17partition_subalgoE3EjNS0_10empty_typeEbEEZZNS1_14partition_implILS8_3ELb0ES6_jNS0_17counting_iteratorIjlEEPS9_SE_NS0_5tupleIJPjSE_EEENSF_IJSE_SE_EEES9_SG_JZNS1_25segmented_radix_sort_implINS0_14default_configELb0EPKiPiPKlPlN2at6native12_GLOBAL__N_18offset_tEEE10hipError_tPvRmT1_PNSt15iterator_traitsISY_E10value_typeET2_T3_PNSZ_IS14_E10value_typeET4_jRbjT5_S1A_jjP12ihipStream_tbEUljE_EEESV_SW_SX_S14_S18_S1A_T6_T7_T9_mT8_S1C_bDpT10_ENKUlT_T0_E_clISt17integral_constantIbLb1EES1P_EEDaS1K_S1L_EUlS1K_E_NS1_11comp_targetILNS1_3genE10ELNS1_11target_archE1200ELNS1_3gpuE4ELNS1_3repE0EEENS1_30default_config_static_selectorELNS0_4arch9wavefront6targetE0EEEvSY_,comdat
.Lfunc_end577:
	.size	_ZN7rocprim17ROCPRIM_400000_NS6detail17trampoline_kernelINS0_13select_configILj256ELj13ELNS0_17block_load_methodE3ELS4_3ELS4_3ELNS0_20block_scan_algorithmE0ELj4294967295EEENS1_25partition_config_selectorILNS1_17partition_subalgoE3EjNS0_10empty_typeEbEEZZNS1_14partition_implILS8_3ELb0ES6_jNS0_17counting_iteratorIjlEEPS9_SE_NS0_5tupleIJPjSE_EEENSF_IJSE_SE_EEES9_SG_JZNS1_25segmented_radix_sort_implINS0_14default_configELb0EPKiPiPKlPlN2at6native12_GLOBAL__N_18offset_tEEE10hipError_tPvRmT1_PNSt15iterator_traitsISY_E10value_typeET2_T3_PNSZ_IS14_E10value_typeET4_jRbjT5_S1A_jjP12ihipStream_tbEUljE_EEESV_SW_SX_S14_S18_S1A_T6_T7_T9_mT8_S1C_bDpT10_ENKUlT_T0_E_clISt17integral_constantIbLb1EES1P_EEDaS1K_S1L_EUlS1K_E_NS1_11comp_targetILNS1_3genE10ELNS1_11target_archE1200ELNS1_3gpuE4ELNS1_3repE0EEENS1_30default_config_static_selectorELNS0_4arch9wavefront6targetE0EEEvSY_, .Lfunc_end577-_ZN7rocprim17ROCPRIM_400000_NS6detail17trampoline_kernelINS0_13select_configILj256ELj13ELNS0_17block_load_methodE3ELS4_3ELS4_3ELNS0_20block_scan_algorithmE0ELj4294967295EEENS1_25partition_config_selectorILNS1_17partition_subalgoE3EjNS0_10empty_typeEbEEZZNS1_14partition_implILS8_3ELb0ES6_jNS0_17counting_iteratorIjlEEPS9_SE_NS0_5tupleIJPjSE_EEENSF_IJSE_SE_EEES9_SG_JZNS1_25segmented_radix_sort_implINS0_14default_configELb0EPKiPiPKlPlN2at6native12_GLOBAL__N_18offset_tEEE10hipError_tPvRmT1_PNSt15iterator_traitsISY_E10value_typeET2_T3_PNSZ_IS14_E10value_typeET4_jRbjT5_S1A_jjP12ihipStream_tbEUljE_EEESV_SW_SX_S14_S18_S1A_T6_T7_T9_mT8_S1C_bDpT10_ENKUlT_T0_E_clISt17integral_constantIbLb1EES1P_EEDaS1K_S1L_EUlS1K_E_NS1_11comp_targetILNS1_3genE10ELNS1_11target_archE1200ELNS1_3gpuE4ELNS1_3repE0EEENS1_30default_config_static_selectorELNS0_4arch9wavefront6targetE0EEEvSY_
                                        ; -- End function
	.set _ZN7rocprim17ROCPRIM_400000_NS6detail17trampoline_kernelINS0_13select_configILj256ELj13ELNS0_17block_load_methodE3ELS4_3ELS4_3ELNS0_20block_scan_algorithmE0ELj4294967295EEENS1_25partition_config_selectorILNS1_17partition_subalgoE3EjNS0_10empty_typeEbEEZZNS1_14partition_implILS8_3ELb0ES6_jNS0_17counting_iteratorIjlEEPS9_SE_NS0_5tupleIJPjSE_EEENSF_IJSE_SE_EEES9_SG_JZNS1_25segmented_radix_sort_implINS0_14default_configELb0EPKiPiPKlPlN2at6native12_GLOBAL__N_18offset_tEEE10hipError_tPvRmT1_PNSt15iterator_traitsISY_E10value_typeET2_T3_PNSZ_IS14_E10value_typeET4_jRbjT5_S1A_jjP12ihipStream_tbEUljE_EEESV_SW_SX_S14_S18_S1A_T6_T7_T9_mT8_S1C_bDpT10_ENKUlT_T0_E_clISt17integral_constantIbLb1EES1P_EEDaS1K_S1L_EUlS1K_E_NS1_11comp_targetILNS1_3genE10ELNS1_11target_archE1200ELNS1_3gpuE4ELNS1_3repE0EEENS1_30default_config_static_selectorELNS0_4arch9wavefront6targetE0EEEvSY_.num_vgpr, 0
	.set _ZN7rocprim17ROCPRIM_400000_NS6detail17trampoline_kernelINS0_13select_configILj256ELj13ELNS0_17block_load_methodE3ELS4_3ELS4_3ELNS0_20block_scan_algorithmE0ELj4294967295EEENS1_25partition_config_selectorILNS1_17partition_subalgoE3EjNS0_10empty_typeEbEEZZNS1_14partition_implILS8_3ELb0ES6_jNS0_17counting_iteratorIjlEEPS9_SE_NS0_5tupleIJPjSE_EEENSF_IJSE_SE_EEES9_SG_JZNS1_25segmented_radix_sort_implINS0_14default_configELb0EPKiPiPKlPlN2at6native12_GLOBAL__N_18offset_tEEE10hipError_tPvRmT1_PNSt15iterator_traitsISY_E10value_typeET2_T3_PNSZ_IS14_E10value_typeET4_jRbjT5_S1A_jjP12ihipStream_tbEUljE_EEESV_SW_SX_S14_S18_S1A_T6_T7_T9_mT8_S1C_bDpT10_ENKUlT_T0_E_clISt17integral_constantIbLb1EES1P_EEDaS1K_S1L_EUlS1K_E_NS1_11comp_targetILNS1_3genE10ELNS1_11target_archE1200ELNS1_3gpuE4ELNS1_3repE0EEENS1_30default_config_static_selectorELNS0_4arch9wavefront6targetE0EEEvSY_.num_agpr, 0
	.set _ZN7rocprim17ROCPRIM_400000_NS6detail17trampoline_kernelINS0_13select_configILj256ELj13ELNS0_17block_load_methodE3ELS4_3ELS4_3ELNS0_20block_scan_algorithmE0ELj4294967295EEENS1_25partition_config_selectorILNS1_17partition_subalgoE3EjNS0_10empty_typeEbEEZZNS1_14partition_implILS8_3ELb0ES6_jNS0_17counting_iteratorIjlEEPS9_SE_NS0_5tupleIJPjSE_EEENSF_IJSE_SE_EEES9_SG_JZNS1_25segmented_radix_sort_implINS0_14default_configELb0EPKiPiPKlPlN2at6native12_GLOBAL__N_18offset_tEEE10hipError_tPvRmT1_PNSt15iterator_traitsISY_E10value_typeET2_T3_PNSZ_IS14_E10value_typeET4_jRbjT5_S1A_jjP12ihipStream_tbEUljE_EEESV_SW_SX_S14_S18_S1A_T6_T7_T9_mT8_S1C_bDpT10_ENKUlT_T0_E_clISt17integral_constantIbLb1EES1P_EEDaS1K_S1L_EUlS1K_E_NS1_11comp_targetILNS1_3genE10ELNS1_11target_archE1200ELNS1_3gpuE4ELNS1_3repE0EEENS1_30default_config_static_selectorELNS0_4arch9wavefront6targetE0EEEvSY_.numbered_sgpr, 0
	.set _ZN7rocprim17ROCPRIM_400000_NS6detail17trampoline_kernelINS0_13select_configILj256ELj13ELNS0_17block_load_methodE3ELS4_3ELS4_3ELNS0_20block_scan_algorithmE0ELj4294967295EEENS1_25partition_config_selectorILNS1_17partition_subalgoE3EjNS0_10empty_typeEbEEZZNS1_14partition_implILS8_3ELb0ES6_jNS0_17counting_iteratorIjlEEPS9_SE_NS0_5tupleIJPjSE_EEENSF_IJSE_SE_EEES9_SG_JZNS1_25segmented_radix_sort_implINS0_14default_configELb0EPKiPiPKlPlN2at6native12_GLOBAL__N_18offset_tEEE10hipError_tPvRmT1_PNSt15iterator_traitsISY_E10value_typeET2_T3_PNSZ_IS14_E10value_typeET4_jRbjT5_S1A_jjP12ihipStream_tbEUljE_EEESV_SW_SX_S14_S18_S1A_T6_T7_T9_mT8_S1C_bDpT10_ENKUlT_T0_E_clISt17integral_constantIbLb1EES1P_EEDaS1K_S1L_EUlS1K_E_NS1_11comp_targetILNS1_3genE10ELNS1_11target_archE1200ELNS1_3gpuE4ELNS1_3repE0EEENS1_30default_config_static_selectorELNS0_4arch9wavefront6targetE0EEEvSY_.num_named_barrier, 0
	.set _ZN7rocprim17ROCPRIM_400000_NS6detail17trampoline_kernelINS0_13select_configILj256ELj13ELNS0_17block_load_methodE3ELS4_3ELS4_3ELNS0_20block_scan_algorithmE0ELj4294967295EEENS1_25partition_config_selectorILNS1_17partition_subalgoE3EjNS0_10empty_typeEbEEZZNS1_14partition_implILS8_3ELb0ES6_jNS0_17counting_iteratorIjlEEPS9_SE_NS0_5tupleIJPjSE_EEENSF_IJSE_SE_EEES9_SG_JZNS1_25segmented_radix_sort_implINS0_14default_configELb0EPKiPiPKlPlN2at6native12_GLOBAL__N_18offset_tEEE10hipError_tPvRmT1_PNSt15iterator_traitsISY_E10value_typeET2_T3_PNSZ_IS14_E10value_typeET4_jRbjT5_S1A_jjP12ihipStream_tbEUljE_EEESV_SW_SX_S14_S18_S1A_T6_T7_T9_mT8_S1C_bDpT10_ENKUlT_T0_E_clISt17integral_constantIbLb1EES1P_EEDaS1K_S1L_EUlS1K_E_NS1_11comp_targetILNS1_3genE10ELNS1_11target_archE1200ELNS1_3gpuE4ELNS1_3repE0EEENS1_30default_config_static_selectorELNS0_4arch9wavefront6targetE0EEEvSY_.private_seg_size, 0
	.set _ZN7rocprim17ROCPRIM_400000_NS6detail17trampoline_kernelINS0_13select_configILj256ELj13ELNS0_17block_load_methodE3ELS4_3ELS4_3ELNS0_20block_scan_algorithmE0ELj4294967295EEENS1_25partition_config_selectorILNS1_17partition_subalgoE3EjNS0_10empty_typeEbEEZZNS1_14partition_implILS8_3ELb0ES6_jNS0_17counting_iteratorIjlEEPS9_SE_NS0_5tupleIJPjSE_EEENSF_IJSE_SE_EEES9_SG_JZNS1_25segmented_radix_sort_implINS0_14default_configELb0EPKiPiPKlPlN2at6native12_GLOBAL__N_18offset_tEEE10hipError_tPvRmT1_PNSt15iterator_traitsISY_E10value_typeET2_T3_PNSZ_IS14_E10value_typeET4_jRbjT5_S1A_jjP12ihipStream_tbEUljE_EEESV_SW_SX_S14_S18_S1A_T6_T7_T9_mT8_S1C_bDpT10_ENKUlT_T0_E_clISt17integral_constantIbLb1EES1P_EEDaS1K_S1L_EUlS1K_E_NS1_11comp_targetILNS1_3genE10ELNS1_11target_archE1200ELNS1_3gpuE4ELNS1_3repE0EEENS1_30default_config_static_selectorELNS0_4arch9wavefront6targetE0EEEvSY_.uses_vcc, 0
	.set _ZN7rocprim17ROCPRIM_400000_NS6detail17trampoline_kernelINS0_13select_configILj256ELj13ELNS0_17block_load_methodE3ELS4_3ELS4_3ELNS0_20block_scan_algorithmE0ELj4294967295EEENS1_25partition_config_selectorILNS1_17partition_subalgoE3EjNS0_10empty_typeEbEEZZNS1_14partition_implILS8_3ELb0ES6_jNS0_17counting_iteratorIjlEEPS9_SE_NS0_5tupleIJPjSE_EEENSF_IJSE_SE_EEES9_SG_JZNS1_25segmented_radix_sort_implINS0_14default_configELb0EPKiPiPKlPlN2at6native12_GLOBAL__N_18offset_tEEE10hipError_tPvRmT1_PNSt15iterator_traitsISY_E10value_typeET2_T3_PNSZ_IS14_E10value_typeET4_jRbjT5_S1A_jjP12ihipStream_tbEUljE_EEESV_SW_SX_S14_S18_S1A_T6_T7_T9_mT8_S1C_bDpT10_ENKUlT_T0_E_clISt17integral_constantIbLb1EES1P_EEDaS1K_S1L_EUlS1K_E_NS1_11comp_targetILNS1_3genE10ELNS1_11target_archE1200ELNS1_3gpuE4ELNS1_3repE0EEENS1_30default_config_static_selectorELNS0_4arch9wavefront6targetE0EEEvSY_.uses_flat_scratch, 0
	.set _ZN7rocprim17ROCPRIM_400000_NS6detail17trampoline_kernelINS0_13select_configILj256ELj13ELNS0_17block_load_methodE3ELS4_3ELS4_3ELNS0_20block_scan_algorithmE0ELj4294967295EEENS1_25partition_config_selectorILNS1_17partition_subalgoE3EjNS0_10empty_typeEbEEZZNS1_14partition_implILS8_3ELb0ES6_jNS0_17counting_iteratorIjlEEPS9_SE_NS0_5tupleIJPjSE_EEENSF_IJSE_SE_EEES9_SG_JZNS1_25segmented_radix_sort_implINS0_14default_configELb0EPKiPiPKlPlN2at6native12_GLOBAL__N_18offset_tEEE10hipError_tPvRmT1_PNSt15iterator_traitsISY_E10value_typeET2_T3_PNSZ_IS14_E10value_typeET4_jRbjT5_S1A_jjP12ihipStream_tbEUljE_EEESV_SW_SX_S14_S18_S1A_T6_T7_T9_mT8_S1C_bDpT10_ENKUlT_T0_E_clISt17integral_constantIbLb1EES1P_EEDaS1K_S1L_EUlS1K_E_NS1_11comp_targetILNS1_3genE10ELNS1_11target_archE1200ELNS1_3gpuE4ELNS1_3repE0EEENS1_30default_config_static_selectorELNS0_4arch9wavefront6targetE0EEEvSY_.has_dyn_sized_stack, 0
	.set _ZN7rocprim17ROCPRIM_400000_NS6detail17trampoline_kernelINS0_13select_configILj256ELj13ELNS0_17block_load_methodE3ELS4_3ELS4_3ELNS0_20block_scan_algorithmE0ELj4294967295EEENS1_25partition_config_selectorILNS1_17partition_subalgoE3EjNS0_10empty_typeEbEEZZNS1_14partition_implILS8_3ELb0ES6_jNS0_17counting_iteratorIjlEEPS9_SE_NS0_5tupleIJPjSE_EEENSF_IJSE_SE_EEES9_SG_JZNS1_25segmented_radix_sort_implINS0_14default_configELb0EPKiPiPKlPlN2at6native12_GLOBAL__N_18offset_tEEE10hipError_tPvRmT1_PNSt15iterator_traitsISY_E10value_typeET2_T3_PNSZ_IS14_E10value_typeET4_jRbjT5_S1A_jjP12ihipStream_tbEUljE_EEESV_SW_SX_S14_S18_S1A_T6_T7_T9_mT8_S1C_bDpT10_ENKUlT_T0_E_clISt17integral_constantIbLb1EES1P_EEDaS1K_S1L_EUlS1K_E_NS1_11comp_targetILNS1_3genE10ELNS1_11target_archE1200ELNS1_3gpuE4ELNS1_3repE0EEENS1_30default_config_static_selectorELNS0_4arch9wavefront6targetE0EEEvSY_.has_recursion, 0
	.set _ZN7rocprim17ROCPRIM_400000_NS6detail17trampoline_kernelINS0_13select_configILj256ELj13ELNS0_17block_load_methodE3ELS4_3ELS4_3ELNS0_20block_scan_algorithmE0ELj4294967295EEENS1_25partition_config_selectorILNS1_17partition_subalgoE3EjNS0_10empty_typeEbEEZZNS1_14partition_implILS8_3ELb0ES6_jNS0_17counting_iteratorIjlEEPS9_SE_NS0_5tupleIJPjSE_EEENSF_IJSE_SE_EEES9_SG_JZNS1_25segmented_radix_sort_implINS0_14default_configELb0EPKiPiPKlPlN2at6native12_GLOBAL__N_18offset_tEEE10hipError_tPvRmT1_PNSt15iterator_traitsISY_E10value_typeET2_T3_PNSZ_IS14_E10value_typeET4_jRbjT5_S1A_jjP12ihipStream_tbEUljE_EEESV_SW_SX_S14_S18_S1A_T6_T7_T9_mT8_S1C_bDpT10_ENKUlT_T0_E_clISt17integral_constantIbLb1EES1P_EEDaS1K_S1L_EUlS1K_E_NS1_11comp_targetILNS1_3genE10ELNS1_11target_archE1200ELNS1_3gpuE4ELNS1_3repE0EEENS1_30default_config_static_selectorELNS0_4arch9wavefront6targetE0EEEvSY_.has_indirect_call, 0
	.section	.AMDGPU.csdata,"",@progbits
; Kernel info:
; codeLenInByte = 0
; TotalNumSgprs: 0
; NumVgprs: 0
; ScratchSize: 0
; MemoryBound: 0
; FloatMode: 240
; IeeeMode: 1
; LDSByteSize: 0 bytes/workgroup (compile time only)
; SGPRBlocks: 0
; VGPRBlocks: 0
; NumSGPRsForWavesPerEU: 1
; NumVGPRsForWavesPerEU: 1
; NamedBarCnt: 0
; Occupancy: 16
; WaveLimiterHint : 0
; COMPUTE_PGM_RSRC2:SCRATCH_EN: 0
; COMPUTE_PGM_RSRC2:USER_SGPR: 2
; COMPUTE_PGM_RSRC2:TRAP_HANDLER: 0
; COMPUTE_PGM_RSRC2:TGID_X_EN: 1
; COMPUTE_PGM_RSRC2:TGID_Y_EN: 0
; COMPUTE_PGM_RSRC2:TGID_Z_EN: 0
; COMPUTE_PGM_RSRC2:TIDIG_COMP_CNT: 0
	.section	.text._ZN7rocprim17ROCPRIM_400000_NS6detail17trampoline_kernelINS0_13select_configILj256ELj13ELNS0_17block_load_methodE3ELS4_3ELS4_3ELNS0_20block_scan_algorithmE0ELj4294967295EEENS1_25partition_config_selectorILNS1_17partition_subalgoE3EjNS0_10empty_typeEbEEZZNS1_14partition_implILS8_3ELb0ES6_jNS0_17counting_iteratorIjlEEPS9_SE_NS0_5tupleIJPjSE_EEENSF_IJSE_SE_EEES9_SG_JZNS1_25segmented_radix_sort_implINS0_14default_configELb0EPKiPiPKlPlN2at6native12_GLOBAL__N_18offset_tEEE10hipError_tPvRmT1_PNSt15iterator_traitsISY_E10value_typeET2_T3_PNSZ_IS14_E10value_typeET4_jRbjT5_S1A_jjP12ihipStream_tbEUljE_EEESV_SW_SX_S14_S18_S1A_T6_T7_T9_mT8_S1C_bDpT10_ENKUlT_T0_E_clISt17integral_constantIbLb1EES1P_EEDaS1K_S1L_EUlS1K_E_NS1_11comp_targetILNS1_3genE9ELNS1_11target_archE1100ELNS1_3gpuE3ELNS1_3repE0EEENS1_30default_config_static_selectorELNS0_4arch9wavefront6targetE0EEEvSY_,"axG",@progbits,_ZN7rocprim17ROCPRIM_400000_NS6detail17trampoline_kernelINS0_13select_configILj256ELj13ELNS0_17block_load_methodE3ELS4_3ELS4_3ELNS0_20block_scan_algorithmE0ELj4294967295EEENS1_25partition_config_selectorILNS1_17partition_subalgoE3EjNS0_10empty_typeEbEEZZNS1_14partition_implILS8_3ELb0ES6_jNS0_17counting_iteratorIjlEEPS9_SE_NS0_5tupleIJPjSE_EEENSF_IJSE_SE_EEES9_SG_JZNS1_25segmented_radix_sort_implINS0_14default_configELb0EPKiPiPKlPlN2at6native12_GLOBAL__N_18offset_tEEE10hipError_tPvRmT1_PNSt15iterator_traitsISY_E10value_typeET2_T3_PNSZ_IS14_E10value_typeET4_jRbjT5_S1A_jjP12ihipStream_tbEUljE_EEESV_SW_SX_S14_S18_S1A_T6_T7_T9_mT8_S1C_bDpT10_ENKUlT_T0_E_clISt17integral_constantIbLb1EES1P_EEDaS1K_S1L_EUlS1K_E_NS1_11comp_targetILNS1_3genE9ELNS1_11target_archE1100ELNS1_3gpuE3ELNS1_3repE0EEENS1_30default_config_static_selectorELNS0_4arch9wavefront6targetE0EEEvSY_,comdat
	.globl	_ZN7rocprim17ROCPRIM_400000_NS6detail17trampoline_kernelINS0_13select_configILj256ELj13ELNS0_17block_load_methodE3ELS4_3ELS4_3ELNS0_20block_scan_algorithmE0ELj4294967295EEENS1_25partition_config_selectorILNS1_17partition_subalgoE3EjNS0_10empty_typeEbEEZZNS1_14partition_implILS8_3ELb0ES6_jNS0_17counting_iteratorIjlEEPS9_SE_NS0_5tupleIJPjSE_EEENSF_IJSE_SE_EEES9_SG_JZNS1_25segmented_radix_sort_implINS0_14default_configELb0EPKiPiPKlPlN2at6native12_GLOBAL__N_18offset_tEEE10hipError_tPvRmT1_PNSt15iterator_traitsISY_E10value_typeET2_T3_PNSZ_IS14_E10value_typeET4_jRbjT5_S1A_jjP12ihipStream_tbEUljE_EEESV_SW_SX_S14_S18_S1A_T6_T7_T9_mT8_S1C_bDpT10_ENKUlT_T0_E_clISt17integral_constantIbLb1EES1P_EEDaS1K_S1L_EUlS1K_E_NS1_11comp_targetILNS1_3genE9ELNS1_11target_archE1100ELNS1_3gpuE3ELNS1_3repE0EEENS1_30default_config_static_selectorELNS0_4arch9wavefront6targetE0EEEvSY_ ; -- Begin function _ZN7rocprim17ROCPRIM_400000_NS6detail17trampoline_kernelINS0_13select_configILj256ELj13ELNS0_17block_load_methodE3ELS4_3ELS4_3ELNS0_20block_scan_algorithmE0ELj4294967295EEENS1_25partition_config_selectorILNS1_17partition_subalgoE3EjNS0_10empty_typeEbEEZZNS1_14partition_implILS8_3ELb0ES6_jNS0_17counting_iteratorIjlEEPS9_SE_NS0_5tupleIJPjSE_EEENSF_IJSE_SE_EEES9_SG_JZNS1_25segmented_radix_sort_implINS0_14default_configELb0EPKiPiPKlPlN2at6native12_GLOBAL__N_18offset_tEEE10hipError_tPvRmT1_PNSt15iterator_traitsISY_E10value_typeET2_T3_PNSZ_IS14_E10value_typeET4_jRbjT5_S1A_jjP12ihipStream_tbEUljE_EEESV_SW_SX_S14_S18_S1A_T6_T7_T9_mT8_S1C_bDpT10_ENKUlT_T0_E_clISt17integral_constantIbLb1EES1P_EEDaS1K_S1L_EUlS1K_E_NS1_11comp_targetILNS1_3genE9ELNS1_11target_archE1100ELNS1_3gpuE3ELNS1_3repE0EEENS1_30default_config_static_selectorELNS0_4arch9wavefront6targetE0EEEvSY_
	.p2align	8
	.type	_ZN7rocprim17ROCPRIM_400000_NS6detail17trampoline_kernelINS0_13select_configILj256ELj13ELNS0_17block_load_methodE3ELS4_3ELS4_3ELNS0_20block_scan_algorithmE0ELj4294967295EEENS1_25partition_config_selectorILNS1_17partition_subalgoE3EjNS0_10empty_typeEbEEZZNS1_14partition_implILS8_3ELb0ES6_jNS0_17counting_iteratorIjlEEPS9_SE_NS0_5tupleIJPjSE_EEENSF_IJSE_SE_EEES9_SG_JZNS1_25segmented_radix_sort_implINS0_14default_configELb0EPKiPiPKlPlN2at6native12_GLOBAL__N_18offset_tEEE10hipError_tPvRmT1_PNSt15iterator_traitsISY_E10value_typeET2_T3_PNSZ_IS14_E10value_typeET4_jRbjT5_S1A_jjP12ihipStream_tbEUljE_EEESV_SW_SX_S14_S18_S1A_T6_T7_T9_mT8_S1C_bDpT10_ENKUlT_T0_E_clISt17integral_constantIbLb1EES1P_EEDaS1K_S1L_EUlS1K_E_NS1_11comp_targetILNS1_3genE9ELNS1_11target_archE1100ELNS1_3gpuE3ELNS1_3repE0EEENS1_30default_config_static_selectorELNS0_4arch9wavefront6targetE0EEEvSY_,@function
_ZN7rocprim17ROCPRIM_400000_NS6detail17trampoline_kernelINS0_13select_configILj256ELj13ELNS0_17block_load_methodE3ELS4_3ELS4_3ELNS0_20block_scan_algorithmE0ELj4294967295EEENS1_25partition_config_selectorILNS1_17partition_subalgoE3EjNS0_10empty_typeEbEEZZNS1_14partition_implILS8_3ELb0ES6_jNS0_17counting_iteratorIjlEEPS9_SE_NS0_5tupleIJPjSE_EEENSF_IJSE_SE_EEES9_SG_JZNS1_25segmented_radix_sort_implINS0_14default_configELb0EPKiPiPKlPlN2at6native12_GLOBAL__N_18offset_tEEE10hipError_tPvRmT1_PNSt15iterator_traitsISY_E10value_typeET2_T3_PNSZ_IS14_E10value_typeET4_jRbjT5_S1A_jjP12ihipStream_tbEUljE_EEESV_SW_SX_S14_S18_S1A_T6_T7_T9_mT8_S1C_bDpT10_ENKUlT_T0_E_clISt17integral_constantIbLb1EES1P_EEDaS1K_S1L_EUlS1K_E_NS1_11comp_targetILNS1_3genE9ELNS1_11target_archE1100ELNS1_3gpuE3ELNS1_3repE0EEENS1_30default_config_static_selectorELNS0_4arch9wavefront6targetE0EEEvSY_: ; @_ZN7rocprim17ROCPRIM_400000_NS6detail17trampoline_kernelINS0_13select_configILj256ELj13ELNS0_17block_load_methodE3ELS4_3ELS4_3ELNS0_20block_scan_algorithmE0ELj4294967295EEENS1_25partition_config_selectorILNS1_17partition_subalgoE3EjNS0_10empty_typeEbEEZZNS1_14partition_implILS8_3ELb0ES6_jNS0_17counting_iteratorIjlEEPS9_SE_NS0_5tupleIJPjSE_EEENSF_IJSE_SE_EEES9_SG_JZNS1_25segmented_radix_sort_implINS0_14default_configELb0EPKiPiPKlPlN2at6native12_GLOBAL__N_18offset_tEEE10hipError_tPvRmT1_PNSt15iterator_traitsISY_E10value_typeET2_T3_PNSZ_IS14_E10value_typeET4_jRbjT5_S1A_jjP12ihipStream_tbEUljE_EEESV_SW_SX_S14_S18_S1A_T6_T7_T9_mT8_S1C_bDpT10_ENKUlT_T0_E_clISt17integral_constantIbLb1EES1P_EEDaS1K_S1L_EUlS1K_E_NS1_11comp_targetILNS1_3genE9ELNS1_11target_archE1100ELNS1_3gpuE3ELNS1_3repE0EEENS1_30default_config_static_selectorELNS0_4arch9wavefront6targetE0EEEvSY_
; %bb.0:
	.section	.rodata,"a",@progbits
	.p2align	6, 0x0
	.amdhsa_kernel _ZN7rocprim17ROCPRIM_400000_NS6detail17trampoline_kernelINS0_13select_configILj256ELj13ELNS0_17block_load_methodE3ELS4_3ELS4_3ELNS0_20block_scan_algorithmE0ELj4294967295EEENS1_25partition_config_selectorILNS1_17partition_subalgoE3EjNS0_10empty_typeEbEEZZNS1_14partition_implILS8_3ELb0ES6_jNS0_17counting_iteratorIjlEEPS9_SE_NS0_5tupleIJPjSE_EEENSF_IJSE_SE_EEES9_SG_JZNS1_25segmented_radix_sort_implINS0_14default_configELb0EPKiPiPKlPlN2at6native12_GLOBAL__N_18offset_tEEE10hipError_tPvRmT1_PNSt15iterator_traitsISY_E10value_typeET2_T3_PNSZ_IS14_E10value_typeET4_jRbjT5_S1A_jjP12ihipStream_tbEUljE_EEESV_SW_SX_S14_S18_S1A_T6_T7_T9_mT8_S1C_bDpT10_ENKUlT_T0_E_clISt17integral_constantIbLb1EES1P_EEDaS1K_S1L_EUlS1K_E_NS1_11comp_targetILNS1_3genE9ELNS1_11target_archE1100ELNS1_3gpuE3ELNS1_3repE0EEENS1_30default_config_static_selectorELNS0_4arch9wavefront6targetE0EEEvSY_
		.amdhsa_group_segment_fixed_size 0
		.amdhsa_private_segment_fixed_size 0
		.amdhsa_kernarg_size 152
		.amdhsa_user_sgpr_count 2
		.amdhsa_user_sgpr_dispatch_ptr 0
		.amdhsa_user_sgpr_queue_ptr 0
		.amdhsa_user_sgpr_kernarg_segment_ptr 1
		.amdhsa_user_sgpr_dispatch_id 0
		.amdhsa_user_sgpr_kernarg_preload_length 0
		.amdhsa_user_sgpr_kernarg_preload_offset 0
		.amdhsa_user_sgpr_private_segment_size 0
		.amdhsa_wavefront_size32 1
		.amdhsa_uses_dynamic_stack 0
		.amdhsa_enable_private_segment 0
		.amdhsa_system_sgpr_workgroup_id_x 1
		.amdhsa_system_sgpr_workgroup_id_y 0
		.amdhsa_system_sgpr_workgroup_id_z 0
		.amdhsa_system_sgpr_workgroup_info 0
		.amdhsa_system_vgpr_workitem_id 0
		.amdhsa_next_free_vgpr 1
		.amdhsa_next_free_sgpr 1
		.amdhsa_named_barrier_count 0
		.amdhsa_reserve_vcc 0
		.amdhsa_float_round_mode_32 0
		.amdhsa_float_round_mode_16_64 0
		.amdhsa_float_denorm_mode_32 3
		.amdhsa_float_denorm_mode_16_64 3
		.amdhsa_fp16_overflow 0
		.amdhsa_memory_ordered 1
		.amdhsa_forward_progress 1
		.amdhsa_inst_pref_size 0
		.amdhsa_round_robin_scheduling 0
		.amdhsa_exception_fp_ieee_invalid_op 0
		.amdhsa_exception_fp_denorm_src 0
		.amdhsa_exception_fp_ieee_div_zero 0
		.amdhsa_exception_fp_ieee_overflow 0
		.amdhsa_exception_fp_ieee_underflow 0
		.amdhsa_exception_fp_ieee_inexact 0
		.amdhsa_exception_int_div_zero 0
	.end_amdhsa_kernel
	.section	.text._ZN7rocprim17ROCPRIM_400000_NS6detail17trampoline_kernelINS0_13select_configILj256ELj13ELNS0_17block_load_methodE3ELS4_3ELS4_3ELNS0_20block_scan_algorithmE0ELj4294967295EEENS1_25partition_config_selectorILNS1_17partition_subalgoE3EjNS0_10empty_typeEbEEZZNS1_14partition_implILS8_3ELb0ES6_jNS0_17counting_iteratorIjlEEPS9_SE_NS0_5tupleIJPjSE_EEENSF_IJSE_SE_EEES9_SG_JZNS1_25segmented_radix_sort_implINS0_14default_configELb0EPKiPiPKlPlN2at6native12_GLOBAL__N_18offset_tEEE10hipError_tPvRmT1_PNSt15iterator_traitsISY_E10value_typeET2_T3_PNSZ_IS14_E10value_typeET4_jRbjT5_S1A_jjP12ihipStream_tbEUljE_EEESV_SW_SX_S14_S18_S1A_T6_T7_T9_mT8_S1C_bDpT10_ENKUlT_T0_E_clISt17integral_constantIbLb1EES1P_EEDaS1K_S1L_EUlS1K_E_NS1_11comp_targetILNS1_3genE9ELNS1_11target_archE1100ELNS1_3gpuE3ELNS1_3repE0EEENS1_30default_config_static_selectorELNS0_4arch9wavefront6targetE0EEEvSY_,"axG",@progbits,_ZN7rocprim17ROCPRIM_400000_NS6detail17trampoline_kernelINS0_13select_configILj256ELj13ELNS0_17block_load_methodE3ELS4_3ELS4_3ELNS0_20block_scan_algorithmE0ELj4294967295EEENS1_25partition_config_selectorILNS1_17partition_subalgoE3EjNS0_10empty_typeEbEEZZNS1_14partition_implILS8_3ELb0ES6_jNS0_17counting_iteratorIjlEEPS9_SE_NS0_5tupleIJPjSE_EEENSF_IJSE_SE_EEES9_SG_JZNS1_25segmented_radix_sort_implINS0_14default_configELb0EPKiPiPKlPlN2at6native12_GLOBAL__N_18offset_tEEE10hipError_tPvRmT1_PNSt15iterator_traitsISY_E10value_typeET2_T3_PNSZ_IS14_E10value_typeET4_jRbjT5_S1A_jjP12ihipStream_tbEUljE_EEESV_SW_SX_S14_S18_S1A_T6_T7_T9_mT8_S1C_bDpT10_ENKUlT_T0_E_clISt17integral_constantIbLb1EES1P_EEDaS1K_S1L_EUlS1K_E_NS1_11comp_targetILNS1_3genE9ELNS1_11target_archE1100ELNS1_3gpuE3ELNS1_3repE0EEENS1_30default_config_static_selectorELNS0_4arch9wavefront6targetE0EEEvSY_,comdat
.Lfunc_end578:
	.size	_ZN7rocprim17ROCPRIM_400000_NS6detail17trampoline_kernelINS0_13select_configILj256ELj13ELNS0_17block_load_methodE3ELS4_3ELS4_3ELNS0_20block_scan_algorithmE0ELj4294967295EEENS1_25partition_config_selectorILNS1_17partition_subalgoE3EjNS0_10empty_typeEbEEZZNS1_14partition_implILS8_3ELb0ES6_jNS0_17counting_iteratorIjlEEPS9_SE_NS0_5tupleIJPjSE_EEENSF_IJSE_SE_EEES9_SG_JZNS1_25segmented_radix_sort_implINS0_14default_configELb0EPKiPiPKlPlN2at6native12_GLOBAL__N_18offset_tEEE10hipError_tPvRmT1_PNSt15iterator_traitsISY_E10value_typeET2_T3_PNSZ_IS14_E10value_typeET4_jRbjT5_S1A_jjP12ihipStream_tbEUljE_EEESV_SW_SX_S14_S18_S1A_T6_T7_T9_mT8_S1C_bDpT10_ENKUlT_T0_E_clISt17integral_constantIbLb1EES1P_EEDaS1K_S1L_EUlS1K_E_NS1_11comp_targetILNS1_3genE9ELNS1_11target_archE1100ELNS1_3gpuE3ELNS1_3repE0EEENS1_30default_config_static_selectorELNS0_4arch9wavefront6targetE0EEEvSY_, .Lfunc_end578-_ZN7rocprim17ROCPRIM_400000_NS6detail17trampoline_kernelINS0_13select_configILj256ELj13ELNS0_17block_load_methodE3ELS4_3ELS4_3ELNS0_20block_scan_algorithmE0ELj4294967295EEENS1_25partition_config_selectorILNS1_17partition_subalgoE3EjNS0_10empty_typeEbEEZZNS1_14partition_implILS8_3ELb0ES6_jNS0_17counting_iteratorIjlEEPS9_SE_NS0_5tupleIJPjSE_EEENSF_IJSE_SE_EEES9_SG_JZNS1_25segmented_radix_sort_implINS0_14default_configELb0EPKiPiPKlPlN2at6native12_GLOBAL__N_18offset_tEEE10hipError_tPvRmT1_PNSt15iterator_traitsISY_E10value_typeET2_T3_PNSZ_IS14_E10value_typeET4_jRbjT5_S1A_jjP12ihipStream_tbEUljE_EEESV_SW_SX_S14_S18_S1A_T6_T7_T9_mT8_S1C_bDpT10_ENKUlT_T0_E_clISt17integral_constantIbLb1EES1P_EEDaS1K_S1L_EUlS1K_E_NS1_11comp_targetILNS1_3genE9ELNS1_11target_archE1100ELNS1_3gpuE3ELNS1_3repE0EEENS1_30default_config_static_selectorELNS0_4arch9wavefront6targetE0EEEvSY_
                                        ; -- End function
	.set _ZN7rocprim17ROCPRIM_400000_NS6detail17trampoline_kernelINS0_13select_configILj256ELj13ELNS0_17block_load_methodE3ELS4_3ELS4_3ELNS0_20block_scan_algorithmE0ELj4294967295EEENS1_25partition_config_selectorILNS1_17partition_subalgoE3EjNS0_10empty_typeEbEEZZNS1_14partition_implILS8_3ELb0ES6_jNS0_17counting_iteratorIjlEEPS9_SE_NS0_5tupleIJPjSE_EEENSF_IJSE_SE_EEES9_SG_JZNS1_25segmented_radix_sort_implINS0_14default_configELb0EPKiPiPKlPlN2at6native12_GLOBAL__N_18offset_tEEE10hipError_tPvRmT1_PNSt15iterator_traitsISY_E10value_typeET2_T3_PNSZ_IS14_E10value_typeET4_jRbjT5_S1A_jjP12ihipStream_tbEUljE_EEESV_SW_SX_S14_S18_S1A_T6_T7_T9_mT8_S1C_bDpT10_ENKUlT_T0_E_clISt17integral_constantIbLb1EES1P_EEDaS1K_S1L_EUlS1K_E_NS1_11comp_targetILNS1_3genE9ELNS1_11target_archE1100ELNS1_3gpuE3ELNS1_3repE0EEENS1_30default_config_static_selectorELNS0_4arch9wavefront6targetE0EEEvSY_.num_vgpr, 0
	.set _ZN7rocprim17ROCPRIM_400000_NS6detail17trampoline_kernelINS0_13select_configILj256ELj13ELNS0_17block_load_methodE3ELS4_3ELS4_3ELNS0_20block_scan_algorithmE0ELj4294967295EEENS1_25partition_config_selectorILNS1_17partition_subalgoE3EjNS0_10empty_typeEbEEZZNS1_14partition_implILS8_3ELb0ES6_jNS0_17counting_iteratorIjlEEPS9_SE_NS0_5tupleIJPjSE_EEENSF_IJSE_SE_EEES9_SG_JZNS1_25segmented_radix_sort_implINS0_14default_configELb0EPKiPiPKlPlN2at6native12_GLOBAL__N_18offset_tEEE10hipError_tPvRmT1_PNSt15iterator_traitsISY_E10value_typeET2_T3_PNSZ_IS14_E10value_typeET4_jRbjT5_S1A_jjP12ihipStream_tbEUljE_EEESV_SW_SX_S14_S18_S1A_T6_T7_T9_mT8_S1C_bDpT10_ENKUlT_T0_E_clISt17integral_constantIbLb1EES1P_EEDaS1K_S1L_EUlS1K_E_NS1_11comp_targetILNS1_3genE9ELNS1_11target_archE1100ELNS1_3gpuE3ELNS1_3repE0EEENS1_30default_config_static_selectorELNS0_4arch9wavefront6targetE0EEEvSY_.num_agpr, 0
	.set _ZN7rocprim17ROCPRIM_400000_NS6detail17trampoline_kernelINS0_13select_configILj256ELj13ELNS0_17block_load_methodE3ELS4_3ELS4_3ELNS0_20block_scan_algorithmE0ELj4294967295EEENS1_25partition_config_selectorILNS1_17partition_subalgoE3EjNS0_10empty_typeEbEEZZNS1_14partition_implILS8_3ELb0ES6_jNS0_17counting_iteratorIjlEEPS9_SE_NS0_5tupleIJPjSE_EEENSF_IJSE_SE_EEES9_SG_JZNS1_25segmented_radix_sort_implINS0_14default_configELb0EPKiPiPKlPlN2at6native12_GLOBAL__N_18offset_tEEE10hipError_tPvRmT1_PNSt15iterator_traitsISY_E10value_typeET2_T3_PNSZ_IS14_E10value_typeET4_jRbjT5_S1A_jjP12ihipStream_tbEUljE_EEESV_SW_SX_S14_S18_S1A_T6_T7_T9_mT8_S1C_bDpT10_ENKUlT_T0_E_clISt17integral_constantIbLb1EES1P_EEDaS1K_S1L_EUlS1K_E_NS1_11comp_targetILNS1_3genE9ELNS1_11target_archE1100ELNS1_3gpuE3ELNS1_3repE0EEENS1_30default_config_static_selectorELNS0_4arch9wavefront6targetE0EEEvSY_.numbered_sgpr, 0
	.set _ZN7rocprim17ROCPRIM_400000_NS6detail17trampoline_kernelINS0_13select_configILj256ELj13ELNS0_17block_load_methodE3ELS4_3ELS4_3ELNS0_20block_scan_algorithmE0ELj4294967295EEENS1_25partition_config_selectorILNS1_17partition_subalgoE3EjNS0_10empty_typeEbEEZZNS1_14partition_implILS8_3ELb0ES6_jNS0_17counting_iteratorIjlEEPS9_SE_NS0_5tupleIJPjSE_EEENSF_IJSE_SE_EEES9_SG_JZNS1_25segmented_radix_sort_implINS0_14default_configELb0EPKiPiPKlPlN2at6native12_GLOBAL__N_18offset_tEEE10hipError_tPvRmT1_PNSt15iterator_traitsISY_E10value_typeET2_T3_PNSZ_IS14_E10value_typeET4_jRbjT5_S1A_jjP12ihipStream_tbEUljE_EEESV_SW_SX_S14_S18_S1A_T6_T7_T9_mT8_S1C_bDpT10_ENKUlT_T0_E_clISt17integral_constantIbLb1EES1P_EEDaS1K_S1L_EUlS1K_E_NS1_11comp_targetILNS1_3genE9ELNS1_11target_archE1100ELNS1_3gpuE3ELNS1_3repE0EEENS1_30default_config_static_selectorELNS0_4arch9wavefront6targetE0EEEvSY_.num_named_barrier, 0
	.set _ZN7rocprim17ROCPRIM_400000_NS6detail17trampoline_kernelINS0_13select_configILj256ELj13ELNS0_17block_load_methodE3ELS4_3ELS4_3ELNS0_20block_scan_algorithmE0ELj4294967295EEENS1_25partition_config_selectorILNS1_17partition_subalgoE3EjNS0_10empty_typeEbEEZZNS1_14partition_implILS8_3ELb0ES6_jNS0_17counting_iteratorIjlEEPS9_SE_NS0_5tupleIJPjSE_EEENSF_IJSE_SE_EEES9_SG_JZNS1_25segmented_radix_sort_implINS0_14default_configELb0EPKiPiPKlPlN2at6native12_GLOBAL__N_18offset_tEEE10hipError_tPvRmT1_PNSt15iterator_traitsISY_E10value_typeET2_T3_PNSZ_IS14_E10value_typeET4_jRbjT5_S1A_jjP12ihipStream_tbEUljE_EEESV_SW_SX_S14_S18_S1A_T6_T7_T9_mT8_S1C_bDpT10_ENKUlT_T0_E_clISt17integral_constantIbLb1EES1P_EEDaS1K_S1L_EUlS1K_E_NS1_11comp_targetILNS1_3genE9ELNS1_11target_archE1100ELNS1_3gpuE3ELNS1_3repE0EEENS1_30default_config_static_selectorELNS0_4arch9wavefront6targetE0EEEvSY_.private_seg_size, 0
	.set _ZN7rocprim17ROCPRIM_400000_NS6detail17trampoline_kernelINS0_13select_configILj256ELj13ELNS0_17block_load_methodE3ELS4_3ELS4_3ELNS0_20block_scan_algorithmE0ELj4294967295EEENS1_25partition_config_selectorILNS1_17partition_subalgoE3EjNS0_10empty_typeEbEEZZNS1_14partition_implILS8_3ELb0ES6_jNS0_17counting_iteratorIjlEEPS9_SE_NS0_5tupleIJPjSE_EEENSF_IJSE_SE_EEES9_SG_JZNS1_25segmented_radix_sort_implINS0_14default_configELb0EPKiPiPKlPlN2at6native12_GLOBAL__N_18offset_tEEE10hipError_tPvRmT1_PNSt15iterator_traitsISY_E10value_typeET2_T3_PNSZ_IS14_E10value_typeET4_jRbjT5_S1A_jjP12ihipStream_tbEUljE_EEESV_SW_SX_S14_S18_S1A_T6_T7_T9_mT8_S1C_bDpT10_ENKUlT_T0_E_clISt17integral_constantIbLb1EES1P_EEDaS1K_S1L_EUlS1K_E_NS1_11comp_targetILNS1_3genE9ELNS1_11target_archE1100ELNS1_3gpuE3ELNS1_3repE0EEENS1_30default_config_static_selectorELNS0_4arch9wavefront6targetE0EEEvSY_.uses_vcc, 0
	.set _ZN7rocprim17ROCPRIM_400000_NS6detail17trampoline_kernelINS0_13select_configILj256ELj13ELNS0_17block_load_methodE3ELS4_3ELS4_3ELNS0_20block_scan_algorithmE0ELj4294967295EEENS1_25partition_config_selectorILNS1_17partition_subalgoE3EjNS0_10empty_typeEbEEZZNS1_14partition_implILS8_3ELb0ES6_jNS0_17counting_iteratorIjlEEPS9_SE_NS0_5tupleIJPjSE_EEENSF_IJSE_SE_EEES9_SG_JZNS1_25segmented_radix_sort_implINS0_14default_configELb0EPKiPiPKlPlN2at6native12_GLOBAL__N_18offset_tEEE10hipError_tPvRmT1_PNSt15iterator_traitsISY_E10value_typeET2_T3_PNSZ_IS14_E10value_typeET4_jRbjT5_S1A_jjP12ihipStream_tbEUljE_EEESV_SW_SX_S14_S18_S1A_T6_T7_T9_mT8_S1C_bDpT10_ENKUlT_T0_E_clISt17integral_constantIbLb1EES1P_EEDaS1K_S1L_EUlS1K_E_NS1_11comp_targetILNS1_3genE9ELNS1_11target_archE1100ELNS1_3gpuE3ELNS1_3repE0EEENS1_30default_config_static_selectorELNS0_4arch9wavefront6targetE0EEEvSY_.uses_flat_scratch, 0
	.set _ZN7rocprim17ROCPRIM_400000_NS6detail17trampoline_kernelINS0_13select_configILj256ELj13ELNS0_17block_load_methodE3ELS4_3ELS4_3ELNS0_20block_scan_algorithmE0ELj4294967295EEENS1_25partition_config_selectorILNS1_17partition_subalgoE3EjNS0_10empty_typeEbEEZZNS1_14partition_implILS8_3ELb0ES6_jNS0_17counting_iteratorIjlEEPS9_SE_NS0_5tupleIJPjSE_EEENSF_IJSE_SE_EEES9_SG_JZNS1_25segmented_radix_sort_implINS0_14default_configELb0EPKiPiPKlPlN2at6native12_GLOBAL__N_18offset_tEEE10hipError_tPvRmT1_PNSt15iterator_traitsISY_E10value_typeET2_T3_PNSZ_IS14_E10value_typeET4_jRbjT5_S1A_jjP12ihipStream_tbEUljE_EEESV_SW_SX_S14_S18_S1A_T6_T7_T9_mT8_S1C_bDpT10_ENKUlT_T0_E_clISt17integral_constantIbLb1EES1P_EEDaS1K_S1L_EUlS1K_E_NS1_11comp_targetILNS1_3genE9ELNS1_11target_archE1100ELNS1_3gpuE3ELNS1_3repE0EEENS1_30default_config_static_selectorELNS0_4arch9wavefront6targetE0EEEvSY_.has_dyn_sized_stack, 0
	.set _ZN7rocprim17ROCPRIM_400000_NS6detail17trampoline_kernelINS0_13select_configILj256ELj13ELNS0_17block_load_methodE3ELS4_3ELS4_3ELNS0_20block_scan_algorithmE0ELj4294967295EEENS1_25partition_config_selectorILNS1_17partition_subalgoE3EjNS0_10empty_typeEbEEZZNS1_14partition_implILS8_3ELb0ES6_jNS0_17counting_iteratorIjlEEPS9_SE_NS0_5tupleIJPjSE_EEENSF_IJSE_SE_EEES9_SG_JZNS1_25segmented_radix_sort_implINS0_14default_configELb0EPKiPiPKlPlN2at6native12_GLOBAL__N_18offset_tEEE10hipError_tPvRmT1_PNSt15iterator_traitsISY_E10value_typeET2_T3_PNSZ_IS14_E10value_typeET4_jRbjT5_S1A_jjP12ihipStream_tbEUljE_EEESV_SW_SX_S14_S18_S1A_T6_T7_T9_mT8_S1C_bDpT10_ENKUlT_T0_E_clISt17integral_constantIbLb1EES1P_EEDaS1K_S1L_EUlS1K_E_NS1_11comp_targetILNS1_3genE9ELNS1_11target_archE1100ELNS1_3gpuE3ELNS1_3repE0EEENS1_30default_config_static_selectorELNS0_4arch9wavefront6targetE0EEEvSY_.has_recursion, 0
	.set _ZN7rocprim17ROCPRIM_400000_NS6detail17trampoline_kernelINS0_13select_configILj256ELj13ELNS0_17block_load_methodE3ELS4_3ELS4_3ELNS0_20block_scan_algorithmE0ELj4294967295EEENS1_25partition_config_selectorILNS1_17partition_subalgoE3EjNS0_10empty_typeEbEEZZNS1_14partition_implILS8_3ELb0ES6_jNS0_17counting_iteratorIjlEEPS9_SE_NS0_5tupleIJPjSE_EEENSF_IJSE_SE_EEES9_SG_JZNS1_25segmented_radix_sort_implINS0_14default_configELb0EPKiPiPKlPlN2at6native12_GLOBAL__N_18offset_tEEE10hipError_tPvRmT1_PNSt15iterator_traitsISY_E10value_typeET2_T3_PNSZ_IS14_E10value_typeET4_jRbjT5_S1A_jjP12ihipStream_tbEUljE_EEESV_SW_SX_S14_S18_S1A_T6_T7_T9_mT8_S1C_bDpT10_ENKUlT_T0_E_clISt17integral_constantIbLb1EES1P_EEDaS1K_S1L_EUlS1K_E_NS1_11comp_targetILNS1_3genE9ELNS1_11target_archE1100ELNS1_3gpuE3ELNS1_3repE0EEENS1_30default_config_static_selectorELNS0_4arch9wavefront6targetE0EEEvSY_.has_indirect_call, 0
	.section	.AMDGPU.csdata,"",@progbits
; Kernel info:
; codeLenInByte = 0
; TotalNumSgprs: 0
; NumVgprs: 0
; ScratchSize: 0
; MemoryBound: 0
; FloatMode: 240
; IeeeMode: 1
; LDSByteSize: 0 bytes/workgroup (compile time only)
; SGPRBlocks: 0
; VGPRBlocks: 0
; NumSGPRsForWavesPerEU: 1
; NumVGPRsForWavesPerEU: 1
; NamedBarCnt: 0
; Occupancy: 16
; WaveLimiterHint : 0
; COMPUTE_PGM_RSRC2:SCRATCH_EN: 0
; COMPUTE_PGM_RSRC2:USER_SGPR: 2
; COMPUTE_PGM_RSRC2:TRAP_HANDLER: 0
; COMPUTE_PGM_RSRC2:TGID_X_EN: 1
; COMPUTE_PGM_RSRC2:TGID_Y_EN: 0
; COMPUTE_PGM_RSRC2:TGID_Z_EN: 0
; COMPUTE_PGM_RSRC2:TIDIG_COMP_CNT: 0
	.section	.text._ZN7rocprim17ROCPRIM_400000_NS6detail17trampoline_kernelINS0_13select_configILj256ELj13ELNS0_17block_load_methodE3ELS4_3ELS4_3ELNS0_20block_scan_algorithmE0ELj4294967295EEENS1_25partition_config_selectorILNS1_17partition_subalgoE3EjNS0_10empty_typeEbEEZZNS1_14partition_implILS8_3ELb0ES6_jNS0_17counting_iteratorIjlEEPS9_SE_NS0_5tupleIJPjSE_EEENSF_IJSE_SE_EEES9_SG_JZNS1_25segmented_radix_sort_implINS0_14default_configELb0EPKiPiPKlPlN2at6native12_GLOBAL__N_18offset_tEEE10hipError_tPvRmT1_PNSt15iterator_traitsISY_E10value_typeET2_T3_PNSZ_IS14_E10value_typeET4_jRbjT5_S1A_jjP12ihipStream_tbEUljE_EEESV_SW_SX_S14_S18_S1A_T6_T7_T9_mT8_S1C_bDpT10_ENKUlT_T0_E_clISt17integral_constantIbLb1EES1P_EEDaS1K_S1L_EUlS1K_E_NS1_11comp_targetILNS1_3genE8ELNS1_11target_archE1030ELNS1_3gpuE2ELNS1_3repE0EEENS1_30default_config_static_selectorELNS0_4arch9wavefront6targetE0EEEvSY_,"axG",@progbits,_ZN7rocprim17ROCPRIM_400000_NS6detail17trampoline_kernelINS0_13select_configILj256ELj13ELNS0_17block_load_methodE3ELS4_3ELS4_3ELNS0_20block_scan_algorithmE0ELj4294967295EEENS1_25partition_config_selectorILNS1_17partition_subalgoE3EjNS0_10empty_typeEbEEZZNS1_14partition_implILS8_3ELb0ES6_jNS0_17counting_iteratorIjlEEPS9_SE_NS0_5tupleIJPjSE_EEENSF_IJSE_SE_EEES9_SG_JZNS1_25segmented_radix_sort_implINS0_14default_configELb0EPKiPiPKlPlN2at6native12_GLOBAL__N_18offset_tEEE10hipError_tPvRmT1_PNSt15iterator_traitsISY_E10value_typeET2_T3_PNSZ_IS14_E10value_typeET4_jRbjT5_S1A_jjP12ihipStream_tbEUljE_EEESV_SW_SX_S14_S18_S1A_T6_T7_T9_mT8_S1C_bDpT10_ENKUlT_T0_E_clISt17integral_constantIbLb1EES1P_EEDaS1K_S1L_EUlS1K_E_NS1_11comp_targetILNS1_3genE8ELNS1_11target_archE1030ELNS1_3gpuE2ELNS1_3repE0EEENS1_30default_config_static_selectorELNS0_4arch9wavefront6targetE0EEEvSY_,comdat
	.globl	_ZN7rocprim17ROCPRIM_400000_NS6detail17trampoline_kernelINS0_13select_configILj256ELj13ELNS0_17block_load_methodE3ELS4_3ELS4_3ELNS0_20block_scan_algorithmE0ELj4294967295EEENS1_25partition_config_selectorILNS1_17partition_subalgoE3EjNS0_10empty_typeEbEEZZNS1_14partition_implILS8_3ELb0ES6_jNS0_17counting_iteratorIjlEEPS9_SE_NS0_5tupleIJPjSE_EEENSF_IJSE_SE_EEES9_SG_JZNS1_25segmented_radix_sort_implINS0_14default_configELb0EPKiPiPKlPlN2at6native12_GLOBAL__N_18offset_tEEE10hipError_tPvRmT1_PNSt15iterator_traitsISY_E10value_typeET2_T3_PNSZ_IS14_E10value_typeET4_jRbjT5_S1A_jjP12ihipStream_tbEUljE_EEESV_SW_SX_S14_S18_S1A_T6_T7_T9_mT8_S1C_bDpT10_ENKUlT_T0_E_clISt17integral_constantIbLb1EES1P_EEDaS1K_S1L_EUlS1K_E_NS1_11comp_targetILNS1_3genE8ELNS1_11target_archE1030ELNS1_3gpuE2ELNS1_3repE0EEENS1_30default_config_static_selectorELNS0_4arch9wavefront6targetE0EEEvSY_ ; -- Begin function _ZN7rocprim17ROCPRIM_400000_NS6detail17trampoline_kernelINS0_13select_configILj256ELj13ELNS0_17block_load_methodE3ELS4_3ELS4_3ELNS0_20block_scan_algorithmE0ELj4294967295EEENS1_25partition_config_selectorILNS1_17partition_subalgoE3EjNS0_10empty_typeEbEEZZNS1_14partition_implILS8_3ELb0ES6_jNS0_17counting_iteratorIjlEEPS9_SE_NS0_5tupleIJPjSE_EEENSF_IJSE_SE_EEES9_SG_JZNS1_25segmented_radix_sort_implINS0_14default_configELb0EPKiPiPKlPlN2at6native12_GLOBAL__N_18offset_tEEE10hipError_tPvRmT1_PNSt15iterator_traitsISY_E10value_typeET2_T3_PNSZ_IS14_E10value_typeET4_jRbjT5_S1A_jjP12ihipStream_tbEUljE_EEESV_SW_SX_S14_S18_S1A_T6_T7_T9_mT8_S1C_bDpT10_ENKUlT_T0_E_clISt17integral_constantIbLb1EES1P_EEDaS1K_S1L_EUlS1K_E_NS1_11comp_targetILNS1_3genE8ELNS1_11target_archE1030ELNS1_3gpuE2ELNS1_3repE0EEENS1_30default_config_static_selectorELNS0_4arch9wavefront6targetE0EEEvSY_
	.p2align	8
	.type	_ZN7rocprim17ROCPRIM_400000_NS6detail17trampoline_kernelINS0_13select_configILj256ELj13ELNS0_17block_load_methodE3ELS4_3ELS4_3ELNS0_20block_scan_algorithmE0ELj4294967295EEENS1_25partition_config_selectorILNS1_17partition_subalgoE3EjNS0_10empty_typeEbEEZZNS1_14partition_implILS8_3ELb0ES6_jNS0_17counting_iteratorIjlEEPS9_SE_NS0_5tupleIJPjSE_EEENSF_IJSE_SE_EEES9_SG_JZNS1_25segmented_radix_sort_implINS0_14default_configELb0EPKiPiPKlPlN2at6native12_GLOBAL__N_18offset_tEEE10hipError_tPvRmT1_PNSt15iterator_traitsISY_E10value_typeET2_T3_PNSZ_IS14_E10value_typeET4_jRbjT5_S1A_jjP12ihipStream_tbEUljE_EEESV_SW_SX_S14_S18_S1A_T6_T7_T9_mT8_S1C_bDpT10_ENKUlT_T0_E_clISt17integral_constantIbLb1EES1P_EEDaS1K_S1L_EUlS1K_E_NS1_11comp_targetILNS1_3genE8ELNS1_11target_archE1030ELNS1_3gpuE2ELNS1_3repE0EEENS1_30default_config_static_selectorELNS0_4arch9wavefront6targetE0EEEvSY_,@function
_ZN7rocprim17ROCPRIM_400000_NS6detail17trampoline_kernelINS0_13select_configILj256ELj13ELNS0_17block_load_methodE3ELS4_3ELS4_3ELNS0_20block_scan_algorithmE0ELj4294967295EEENS1_25partition_config_selectorILNS1_17partition_subalgoE3EjNS0_10empty_typeEbEEZZNS1_14partition_implILS8_3ELb0ES6_jNS0_17counting_iteratorIjlEEPS9_SE_NS0_5tupleIJPjSE_EEENSF_IJSE_SE_EEES9_SG_JZNS1_25segmented_radix_sort_implINS0_14default_configELb0EPKiPiPKlPlN2at6native12_GLOBAL__N_18offset_tEEE10hipError_tPvRmT1_PNSt15iterator_traitsISY_E10value_typeET2_T3_PNSZ_IS14_E10value_typeET4_jRbjT5_S1A_jjP12ihipStream_tbEUljE_EEESV_SW_SX_S14_S18_S1A_T6_T7_T9_mT8_S1C_bDpT10_ENKUlT_T0_E_clISt17integral_constantIbLb1EES1P_EEDaS1K_S1L_EUlS1K_E_NS1_11comp_targetILNS1_3genE8ELNS1_11target_archE1030ELNS1_3gpuE2ELNS1_3repE0EEENS1_30default_config_static_selectorELNS0_4arch9wavefront6targetE0EEEvSY_: ; @_ZN7rocprim17ROCPRIM_400000_NS6detail17trampoline_kernelINS0_13select_configILj256ELj13ELNS0_17block_load_methodE3ELS4_3ELS4_3ELNS0_20block_scan_algorithmE0ELj4294967295EEENS1_25partition_config_selectorILNS1_17partition_subalgoE3EjNS0_10empty_typeEbEEZZNS1_14partition_implILS8_3ELb0ES6_jNS0_17counting_iteratorIjlEEPS9_SE_NS0_5tupleIJPjSE_EEENSF_IJSE_SE_EEES9_SG_JZNS1_25segmented_radix_sort_implINS0_14default_configELb0EPKiPiPKlPlN2at6native12_GLOBAL__N_18offset_tEEE10hipError_tPvRmT1_PNSt15iterator_traitsISY_E10value_typeET2_T3_PNSZ_IS14_E10value_typeET4_jRbjT5_S1A_jjP12ihipStream_tbEUljE_EEESV_SW_SX_S14_S18_S1A_T6_T7_T9_mT8_S1C_bDpT10_ENKUlT_T0_E_clISt17integral_constantIbLb1EES1P_EEDaS1K_S1L_EUlS1K_E_NS1_11comp_targetILNS1_3genE8ELNS1_11target_archE1030ELNS1_3gpuE2ELNS1_3repE0EEENS1_30default_config_static_selectorELNS0_4arch9wavefront6targetE0EEEvSY_
; %bb.0:
	.section	.rodata,"a",@progbits
	.p2align	6, 0x0
	.amdhsa_kernel _ZN7rocprim17ROCPRIM_400000_NS6detail17trampoline_kernelINS0_13select_configILj256ELj13ELNS0_17block_load_methodE3ELS4_3ELS4_3ELNS0_20block_scan_algorithmE0ELj4294967295EEENS1_25partition_config_selectorILNS1_17partition_subalgoE3EjNS0_10empty_typeEbEEZZNS1_14partition_implILS8_3ELb0ES6_jNS0_17counting_iteratorIjlEEPS9_SE_NS0_5tupleIJPjSE_EEENSF_IJSE_SE_EEES9_SG_JZNS1_25segmented_radix_sort_implINS0_14default_configELb0EPKiPiPKlPlN2at6native12_GLOBAL__N_18offset_tEEE10hipError_tPvRmT1_PNSt15iterator_traitsISY_E10value_typeET2_T3_PNSZ_IS14_E10value_typeET4_jRbjT5_S1A_jjP12ihipStream_tbEUljE_EEESV_SW_SX_S14_S18_S1A_T6_T7_T9_mT8_S1C_bDpT10_ENKUlT_T0_E_clISt17integral_constantIbLb1EES1P_EEDaS1K_S1L_EUlS1K_E_NS1_11comp_targetILNS1_3genE8ELNS1_11target_archE1030ELNS1_3gpuE2ELNS1_3repE0EEENS1_30default_config_static_selectorELNS0_4arch9wavefront6targetE0EEEvSY_
		.amdhsa_group_segment_fixed_size 0
		.amdhsa_private_segment_fixed_size 0
		.amdhsa_kernarg_size 152
		.amdhsa_user_sgpr_count 2
		.amdhsa_user_sgpr_dispatch_ptr 0
		.amdhsa_user_sgpr_queue_ptr 0
		.amdhsa_user_sgpr_kernarg_segment_ptr 1
		.amdhsa_user_sgpr_dispatch_id 0
		.amdhsa_user_sgpr_kernarg_preload_length 0
		.amdhsa_user_sgpr_kernarg_preload_offset 0
		.amdhsa_user_sgpr_private_segment_size 0
		.amdhsa_wavefront_size32 1
		.amdhsa_uses_dynamic_stack 0
		.amdhsa_enable_private_segment 0
		.amdhsa_system_sgpr_workgroup_id_x 1
		.amdhsa_system_sgpr_workgroup_id_y 0
		.amdhsa_system_sgpr_workgroup_id_z 0
		.amdhsa_system_sgpr_workgroup_info 0
		.amdhsa_system_vgpr_workitem_id 0
		.amdhsa_next_free_vgpr 1
		.amdhsa_next_free_sgpr 1
		.amdhsa_named_barrier_count 0
		.amdhsa_reserve_vcc 0
		.amdhsa_float_round_mode_32 0
		.amdhsa_float_round_mode_16_64 0
		.amdhsa_float_denorm_mode_32 3
		.amdhsa_float_denorm_mode_16_64 3
		.amdhsa_fp16_overflow 0
		.amdhsa_memory_ordered 1
		.amdhsa_forward_progress 1
		.amdhsa_inst_pref_size 0
		.amdhsa_round_robin_scheduling 0
		.amdhsa_exception_fp_ieee_invalid_op 0
		.amdhsa_exception_fp_denorm_src 0
		.amdhsa_exception_fp_ieee_div_zero 0
		.amdhsa_exception_fp_ieee_overflow 0
		.amdhsa_exception_fp_ieee_underflow 0
		.amdhsa_exception_fp_ieee_inexact 0
		.amdhsa_exception_int_div_zero 0
	.end_amdhsa_kernel
	.section	.text._ZN7rocprim17ROCPRIM_400000_NS6detail17trampoline_kernelINS0_13select_configILj256ELj13ELNS0_17block_load_methodE3ELS4_3ELS4_3ELNS0_20block_scan_algorithmE0ELj4294967295EEENS1_25partition_config_selectorILNS1_17partition_subalgoE3EjNS0_10empty_typeEbEEZZNS1_14partition_implILS8_3ELb0ES6_jNS0_17counting_iteratorIjlEEPS9_SE_NS0_5tupleIJPjSE_EEENSF_IJSE_SE_EEES9_SG_JZNS1_25segmented_radix_sort_implINS0_14default_configELb0EPKiPiPKlPlN2at6native12_GLOBAL__N_18offset_tEEE10hipError_tPvRmT1_PNSt15iterator_traitsISY_E10value_typeET2_T3_PNSZ_IS14_E10value_typeET4_jRbjT5_S1A_jjP12ihipStream_tbEUljE_EEESV_SW_SX_S14_S18_S1A_T6_T7_T9_mT8_S1C_bDpT10_ENKUlT_T0_E_clISt17integral_constantIbLb1EES1P_EEDaS1K_S1L_EUlS1K_E_NS1_11comp_targetILNS1_3genE8ELNS1_11target_archE1030ELNS1_3gpuE2ELNS1_3repE0EEENS1_30default_config_static_selectorELNS0_4arch9wavefront6targetE0EEEvSY_,"axG",@progbits,_ZN7rocprim17ROCPRIM_400000_NS6detail17trampoline_kernelINS0_13select_configILj256ELj13ELNS0_17block_load_methodE3ELS4_3ELS4_3ELNS0_20block_scan_algorithmE0ELj4294967295EEENS1_25partition_config_selectorILNS1_17partition_subalgoE3EjNS0_10empty_typeEbEEZZNS1_14partition_implILS8_3ELb0ES6_jNS0_17counting_iteratorIjlEEPS9_SE_NS0_5tupleIJPjSE_EEENSF_IJSE_SE_EEES9_SG_JZNS1_25segmented_radix_sort_implINS0_14default_configELb0EPKiPiPKlPlN2at6native12_GLOBAL__N_18offset_tEEE10hipError_tPvRmT1_PNSt15iterator_traitsISY_E10value_typeET2_T3_PNSZ_IS14_E10value_typeET4_jRbjT5_S1A_jjP12ihipStream_tbEUljE_EEESV_SW_SX_S14_S18_S1A_T6_T7_T9_mT8_S1C_bDpT10_ENKUlT_T0_E_clISt17integral_constantIbLb1EES1P_EEDaS1K_S1L_EUlS1K_E_NS1_11comp_targetILNS1_3genE8ELNS1_11target_archE1030ELNS1_3gpuE2ELNS1_3repE0EEENS1_30default_config_static_selectorELNS0_4arch9wavefront6targetE0EEEvSY_,comdat
.Lfunc_end579:
	.size	_ZN7rocprim17ROCPRIM_400000_NS6detail17trampoline_kernelINS0_13select_configILj256ELj13ELNS0_17block_load_methodE3ELS4_3ELS4_3ELNS0_20block_scan_algorithmE0ELj4294967295EEENS1_25partition_config_selectorILNS1_17partition_subalgoE3EjNS0_10empty_typeEbEEZZNS1_14partition_implILS8_3ELb0ES6_jNS0_17counting_iteratorIjlEEPS9_SE_NS0_5tupleIJPjSE_EEENSF_IJSE_SE_EEES9_SG_JZNS1_25segmented_radix_sort_implINS0_14default_configELb0EPKiPiPKlPlN2at6native12_GLOBAL__N_18offset_tEEE10hipError_tPvRmT1_PNSt15iterator_traitsISY_E10value_typeET2_T3_PNSZ_IS14_E10value_typeET4_jRbjT5_S1A_jjP12ihipStream_tbEUljE_EEESV_SW_SX_S14_S18_S1A_T6_T7_T9_mT8_S1C_bDpT10_ENKUlT_T0_E_clISt17integral_constantIbLb1EES1P_EEDaS1K_S1L_EUlS1K_E_NS1_11comp_targetILNS1_3genE8ELNS1_11target_archE1030ELNS1_3gpuE2ELNS1_3repE0EEENS1_30default_config_static_selectorELNS0_4arch9wavefront6targetE0EEEvSY_, .Lfunc_end579-_ZN7rocprim17ROCPRIM_400000_NS6detail17trampoline_kernelINS0_13select_configILj256ELj13ELNS0_17block_load_methodE3ELS4_3ELS4_3ELNS0_20block_scan_algorithmE0ELj4294967295EEENS1_25partition_config_selectorILNS1_17partition_subalgoE3EjNS0_10empty_typeEbEEZZNS1_14partition_implILS8_3ELb0ES6_jNS0_17counting_iteratorIjlEEPS9_SE_NS0_5tupleIJPjSE_EEENSF_IJSE_SE_EEES9_SG_JZNS1_25segmented_radix_sort_implINS0_14default_configELb0EPKiPiPKlPlN2at6native12_GLOBAL__N_18offset_tEEE10hipError_tPvRmT1_PNSt15iterator_traitsISY_E10value_typeET2_T3_PNSZ_IS14_E10value_typeET4_jRbjT5_S1A_jjP12ihipStream_tbEUljE_EEESV_SW_SX_S14_S18_S1A_T6_T7_T9_mT8_S1C_bDpT10_ENKUlT_T0_E_clISt17integral_constantIbLb1EES1P_EEDaS1K_S1L_EUlS1K_E_NS1_11comp_targetILNS1_3genE8ELNS1_11target_archE1030ELNS1_3gpuE2ELNS1_3repE0EEENS1_30default_config_static_selectorELNS0_4arch9wavefront6targetE0EEEvSY_
                                        ; -- End function
	.set _ZN7rocprim17ROCPRIM_400000_NS6detail17trampoline_kernelINS0_13select_configILj256ELj13ELNS0_17block_load_methodE3ELS4_3ELS4_3ELNS0_20block_scan_algorithmE0ELj4294967295EEENS1_25partition_config_selectorILNS1_17partition_subalgoE3EjNS0_10empty_typeEbEEZZNS1_14partition_implILS8_3ELb0ES6_jNS0_17counting_iteratorIjlEEPS9_SE_NS0_5tupleIJPjSE_EEENSF_IJSE_SE_EEES9_SG_JZNS1_25segmented_radix_sort_implINS0_14default_configELb0EPKiPiPKlPlN2at6native12_GLOBAL__N_18offset_tEEE10hipError_tPvRmT1_PNSt15iterator_traitsISY_E10value_typeET2_T3_PNSZ_IS14_E10value_typeET4_jRbjT5_S1A_jjP12ihipStream_tbEUljE_EEESV_SW_SX_S14_S18_S1A_T6_T7_T9_mT8_S1C_bDpT10_ENKUlT_T0_E_clISt17integral_constantIbLb1EES1P_EEDaS1K_S1L_EUlS1K_E_NS1_11comp_targetILNS1_3genE8ELNS1_11target_archE1030ELNS1_3gpuE2ELNS1_3repE0EEENS1_30default_config_static_selectorELNS0_4arch9wavefront6targetE0EEEvSY_.num_vgpr, 0
	.set _ZN7rocprim17ROCPRIM_400000_NS6detail17trampoline_kernelINS0_13select_configILj256ELj13ELNS0_17block_load_methodE3ELS4_3ELS4_3ELNS0_20block_scan_algorithmE0ELj4294967295EEENS1_25partition_config_selectorILNS1_17partition_subalgoE3EjNS0_10empty_typeEbEEZZNS1_14partition_implILS8_3ELb0ES6_jNS0_17counting_iteratorIjlEEPS9_SE_NS0_5tupleIJPjSE_EEENSF_IJSE_SE_EEES9_SG_JZNS1_25segmented_radix_sort_implINS0_14default_configELb0EPKiPiPKlPlN2at6native12_GLOBAL__N_18offset_tEEE10hipError_tPvRmT1_PNSt15iterator_traitsISY_E10value_typeET2_T3_PNSZ_IS14_E10value_typeET4_jRbjT5_S1A_jjP12ihipStream_tbEUljE_EEESV_SW_SX_S14_S18_S1A_T6_T7_T9_mT8_S1C_bDpT10_ENKUlT_T0_E_clISt17integral_constantIbLb1EES1P_EEDaS1K_S1L_EUlS1K_E_NS1_11comp_targetILNS1_3genE8ELNS1_11target_archE1030ELNS1_3gpuE2ELNS1_3repE0EEENS1_30default_config_static_selectorELNS0_4arch9wavefront6targetE0EEEvSY_.num_agpr, 0
	.set _ZN7rocprim17ROCPRIM_400000_NS6detail17trampoline_kernelINS0_13select_configILj256ELj13ELNS0_17block_load_methodE3ELS4_3ELS4_3ELNS0_20block_scan_algorithmE0ELj4294967295EEENS1_25partition_config_selectorILNS1_17partition_subalgoE3EjNS0_10empty_typeEbEEZZNS1_14partition_implILS8_3ELb0ES6_jNS0_17counting_iteratorIjlEEPS9_SE_NS0_5tupleIJPjSE_EEENSF_IJSE_SE_EEES9_SG_JZNS1_25segmented_radix_sort_implINS0_14default_configELb0EPKiPiPKlPlN2at6native12_GLOBAL__N_18offset_tEEE10hipError_tPvRmT1_PNSt15iterator_traitsISY_E10value_typeET2_T3_PNSZ_IS14_E10value_typeET4_jRbjT5_S1A_jjP12ihipStream_tbEUljE_EEESV_SW_SX_S14_S18_S1A_T6_T7_T9_mT8_S1C_bDpT10_ENKUlT_T0_E_clISt17integral_constantIbLb1EES1P_EEDaS1K_S1L_EUlS1K_E_NS1_11comp_targetILNS1_3genE8ELNS1_11target_archE1030ELNS1_3gpuE2ELNS1_3repE0EEENS1_30default_config_static_selectorELNS0_4arch9wavefront6targetE0EEEvSY_.numbered_sgpr, 0
	.set _ZN7rocprim17ROCPRIM_400000_NS6detail17trampoline_kernelINS0_13select_configILj256ELj13ELNS0_17block_load_methodE3ELS4_3ELS4_3ELNS0_20block_scan_algorithmE0ELj4294967295EEENS1_25partition_config_selectorILNS1_17partition_subalgoE3EjNS0_10empty_typeEbEEZZNS1_14partition_implILS8_3ELb0ES6_jNS0_17counting_iteratorIjlEEPS9_SE_NS0_5tupleIJPjSE_EEENSF_IJSE_SE_EEES9_SG_JZNS1_25segmented_radix_sort_implINS0_14default_configELb0EPKiPiPKlPlN2at6native12_GLOBAL__N_18offset_tEEE10hipError_tPvRmT1_PNSt15iterator_traitsISY_E10value_typeET2_T3_PNSZ_IS14_E10value_typeET4_jRbjT5_S1A_jjP12ihipStream_tbEUljE_EEESV_SW_SX_S14_S18_S1A_T6_T7_T9_mT8_S1C_bDpT10_ENKUlT_T0_E_clISt17integral_constantIbLb1EES1P_EEDaS1K_S1L_EUlS1K_E_NS1_11comp_targetILNS1_3genE8ELNS1_11target_archE1030ELNS1_3gpuE2ELNS1_3repE0EEENS1_30default_config_static_selectorELNS0_4arch9wavefront6targetE0EEEvSY_.num_named_barrier, 0
	.set _ZN7rocprim17ROCPRIM_400000_NS6detail17trampoline_kernelINS0_13select_configILj256ELj13ELNS0_17block_load_methodE3ELS4_3ELS4_3ELNS0_20block_scan_algorithmE0ELj4294967295EEENS1_25partition_config_selectorILNS1_17partition_subalgoE3EjNS0_10empty_typeEbEEZZNS1_14partition_implILS8_3ELb0ES6_jNS0_17counting_iteratorIjlEEPS9_SE_NS0_5tupleIJPjSE_EEENSF_IJSE_SE_EEES9_SG_JZNS1_25segmented_radix_sort_implINS0_14default_configELb0EPKiPiPKlPlN2at6native12_GLOBAL__N_18offset_tEEE10hipError_tPvRmT1_PNSt15iterator_traitsISY_E10value_typeET2_T3_PNSZ_IS14_E10value_typeET4_jRbjT5_S1A_jjP12ihipStream_tbEUljE_EEESV_SW_SX_S14_S18_S1A_T6_T7_T9_mT8_S1C_bDpT10_ENKUlT_T0_E_clISt17integral_constantIbLb1EES1P_EEDaS1K_S1L_EUlS1K_E_NS1_11comp_targetILNS1_3genE8ELNS1_11target_archE1030ELNS1_3gpuE2ELNS1_3repE0EEENS1_30default_config_static_selectorELNS0_4arch9wavefront6targetE0EEEvSY_.private_seg_size, 0
	.set _ZN7rocprim17ROCPRIM_400000_NS6detail17trampoline_kernelINS0_13select_configILj256ELj13ELNS0_17block_load_methodE3ELS4_3ELS4_3ELNS0_20block_scan_algorithmE0ELj4294967295EEENS1_25partition_config_selectorILNS1_17partition_subalgoE3EjNS0_10empty_typeEbEEZZNS1_14partition_implILS8_3ELb0ES6_jNS0_17counting_iteratorIjlEEPS9_SE_NS0_5tupleIJPjSE_EEENSF_IJSE_SE_EEES9_SG_JZNS1_25segmented_radix_sort_implINS0_14default_configELb0EPKiPiPKlPlN2at6native12_GLOBAL__N_18offset_tEEE10hipError_tPvRmT1_PNSt15iterator_traitsISY_E10value_typeET2_T3_PNSZ_IS14_E10value_typeET4_jRbjT5_S1A_jjP12ihipStream_tbEUljE_EEESV_SW_SX_S14_S18_S1A_T6_T7_T9_mT8_S1C_bDpT10_ENKUlT_T0_E_clISt17integral_constantIbLb1EES1P_EEDaS1K_S1L_EUlS1K_E_NS1_11comp_targetILNS1_3genE8ELNS1_11target_archE1030ELNS1_3gpuE2ELNS1_3repE0EEENS1_30default_config_static_selectorELNS0_4arch9wavefront6targetE0EEEvSY_.uses_vcc, 0
	.set _ZN7rocprim17ROCPRIM_400000_NS6detail17trampoline_kernelINS0_13select_configILj256ELj13ELNS0_17block_load_methodE3ELS4_3ELS4_3ELNS0_20block_scan_algorithmE0ELj4294967295EEENS1_25partition_config_selectorILNS1_17partition_subalgoE3EjNS0_10empty_typeEbEEZZNS1_14partition_implILS8_3ELb0ES6_jNS0_17counting_iteratorIjlEEPS9_SE_NS0_5tupleIJPjSE_EEENSF_IJSE_SE_EEES9_SG_JZNS1_25segmented_radix_sort_implINS0_14default_configELb0EPKiPiPKlPlN2at6native12_GLOBAL__N_18offset_tEEE10hipError_tPvRmT1_PNSt15iterator_traitsISY_E10value_typeET2_T3_PNSZ_IS14_E10value_typeET4_jRbjT5_S1A_jjP12ihipStream_tbEUljE_EEESV_SW_SX_S14_S18_S1A_T6_T7_T9_mT8_S1C_bDpT10_ENKUlT_T0_E_clISt17integral_constantIbLb1EES1P_EEDaS1K_S1L_EUlS1K_E_NS1_11comp_targetILNS1_3genE8ELNS1_11target_archE1030ELNS1_3gpuE2ELNS1_3repE0EEENS1_30default_config_static_selectorELNS0_4arch9wavefront6targetE0EEEvSY_.uses_flat_scratch, 0
	.set _ZN7rocprim17ROCPRIM_400000_NS6detail17trampoline_kernelINS0_13select_configILj256ELj13ELNS0_17block_load_methodE3ELS4_3ELS4_3ELNS0_20block_scan_algorithmE0ELj4294967295EEENS1_25partition_config_selectorILNS1_17partition_subalgoE3EjNS0_10empty_typeEbEEZZNS1_14partition_implILS8_3ELb0ES6_jNS0_17counting_iteratorIjlEEPS9_SE_NS0_5tupleIJPjSE_EEENSF_IJSE_SE_EEES9_SG_JZNS1_25segmented_radix_sort_implINS0_14default_configELb0EPKiPiPKlPlN2at6native12_GLOBAL__N_18offset_tEEE10hipError_tPvRmT1_PNSt15iterator_traitsISY_E10value_typeET2_T3_PNSZ_IS14_E10value_typeET4_jRbjT5_S1A_jjP12ihipStream_tbEUljE_EEESV_SW_SX_S14_S18_S1A_T6_T7_T9_mT8_S1C_bDpT10_ENKUlT_T0_E_clISt17integral_constantIbLb1EES1P_EEDaS1K_S1L_EUlS1K_E_NS1_11comp_targetILNS1_3genE8ELNS1_11target_archE1030ELNS1_3gpuE2ELNS1_3repE0EEENS1_30default_config_static_selectorELNS0_4arch9wavefront6targetE0EEEvSY_.has_dyn_sized_stack, 0
	.set _ZN7rocprim17ROCPRIM_400000_NS6detail17trampoline_kernelINS0_13select_configILj256ELj13ELNS0_17block_load_methodE3ELS4_3ELS4_3ELNS0_20block_scan_algorithmE0ELj4294967295EEENS1_25partition_config_selectorILNS1_17partition_subalgoE3EjNS0_10empty_typeEbEEZZNS1_14partition_implILS8_3ELb0ES6_jNS0_17counting_iteratorIjlEEPS9_SE_NS0_5tupleIJPjSE_EEENSF_IJSE_SE_EEES9_SG_JZNS1_25segmented_radix_sort_implINS0_14default_configELb0EPKiPiPKlPlN2at6native12_GLOBAL__N_18offset_tEEE10hipError_tPvRmT1_PNSt15iterator_traitsISY_E10value_typeET2_T3_PNSZ_IS14_E10value_typeET4_jRbjT5_S1A_jjP12ihipStream_tbEUljE_EEESV_SW_SX_S14_S18_S1A_T6_T7_T9_mT8_S1C_bDpT10_ENKUlT_T0_E_clISt17integral_constantIbLb1EES1P_EEDaS1K_S1L_EUlS1K_E_NS1_11comp_targetILNS1_3genE8ELNS1_11target_archE1030ELNS1_3gpuE2ELNS1_3repE0EEENS1_30default_config_static_selectorELNS0_4arch9wavefront6targetE0EEEvSY_.has_recursion, 0
	.set _ZN7rocprim17ROCPRIM_400000_NS6detail17trampoline_kernelINS0_13select_configILj256ELj13ELNS0_17block_load_methodE3ELS4_3ELS4_3ELNS0_20block_scan_algorithmE0ELj4294967295EEENS1_25partition_config_selectorILNS1_17partition_subalgoE3EjNS0_10empty_typeEbEEZZNS1_14partition_implILS8_3ELb0ES6_jNS0_17counting_iteratorIjlEEPS9_SE_NS0_5tupleIJPjSE_EEENSF_IJSE_SE_EEES9_SG_JZNS1_25segmented_radix_sort_implINS0_14default_configELb0EPKiPiPKlPlN2at6native12_GLOBAL__N_18offset_tEEE10hipError_tPvRmT1_PNSt15iterator_traitsISY_E10value_typeET2_T3_PNSZ_IS14_E10value_typeET4_jRbjT5_S1A_jjP12ihipStream_tbEUljE_EEESV_SW_SX_S14_S18_S1A_T6_T7_T9_mT8_S1C_bDpT10_ENKUlT_T0_E_clISt17integral_constantIbLb1EES1P_EEDaS1K_S1L_EUlS1K_E_NS1_11comp_targetILNS1_3genE8ELNS1_11target_archE1030ELNS1_3gpuE2ELNS1_3repE0EEENS1_30default_config_static_selectorELNS0_4arch9wavefront6targetE0EEEvSY_.has_indirect_call, 0
	.section	.AMDGPU.csdata,"",@progbits
; Kernel info:
; codeLenInByte = 0
; TotalNumSgprs: 0
; NumVgprs: 0
; ScratchSize: 0
; MemoryBound: 0
; FloatMode: 240
; IeeeMode: 1
; LDSByteSize: 0 bytes/workgroup (compile time only)
; SGPRBlocks: 0
; VGPRBlocks: 0
; NumSGPRsForWavesPerEU: 1
; NumVGPRsForWavesPerEU: 1
; NamedBarCnt: 0
; Occupancy: 16
; WaveLimiterHint : 0
; COMPUTE_PGM_RSRC2:SCRATCH_EN: 0
; COMPUTE_PGM_RSRC2:USER_SGPR: 2
; COMPUTE_PGM_RSRC2:TRAP_HANDLER: 0
; COMPUTE_PGM_RSRC2:TGID_X_EN: 1
; COMPUTE_PGM_RSRC2:TGID_Y_EN: 0
; COMPUTE_PGM_RSRC2:TGID_Z_EN: 0
; COMPUTE_PGM_RSRC2:TIDIG_COMP_CNT: 0
	.section	.text._ZN7rocprim17ROCPRIM_400000_NS6detail17trampoline_kernelINS0_13select_configILj256ELj13ELNS0_17block_load_methodE3ELS4_3ELS4_3ELNS0_20block_scan_algorithmE0ELj4294967295EEENS1_25partition_config_selectorILNS1_17partition_subalgoE3EjNS0_10empty_typeEbEEZZNS1_14partition_implILS8_3ELb0ES6_jNS0_17counting_iteratorIjlEEPS9_SE_NS0_5tupleIJPjSE_EEENSF_IJSE_SE_EEES9_SG_JZNS1_25segmented_radix_sort_implINS0_14default_configELb0EPKiPiPKlPlN2at6native12_GLOBAL__N_18offset_tEEE10hipError_tPvRmT1_PNSt15iterator_traitsISY_E10value_typeET2_T3_PNSZ_IS14_E10value_typeET4_jRbjT5_S1A_jjP12ihipStream_tbEUljE_EEESV_SW_SX_S14_S18_S1A_T6_T7_T9_mT8_S1C_bDpT10_ENKUlT_T0_E_clISt17integral_constantIbLb1EES1O_IbLb0EEEEDaS1K_S1L_EUlS1K_E_NS1_11comp_targetILNS1_3genE0ELNS1_11target_archE4294967295ELNS1_3gpuE0ELNS1_3repE0EEENS1_30default_config_static_selectorELNS0_4arch9wavefront6targetE0EEEvSY_,"axG",@progbits,_ZN7rocprim17ROCPRIM_400000_NS6detail17trampoline_kernelINS0_13select_configILj256ELj13ELNS0_17block_load_methodE3ELS4_3ELS4_3ELNS0_20block_scan_algorithmE0ELj4294967295EEENS1_25partition_config_selectorILNS1_17partition_subalgoE3EjNS0_10empty_typeEbEEZZNS1_14partition_implILS8_3ELb0ES6_jNS0_17counting_iteratorIjlEEPS9_SE_NS0_5tupleIJPjSE_EEENSF_IJSE_SE_EEES9_SG_JZNS1_25segmented_radix_sort_implINS0_14default_configELb0EPKiPiPKlPlN2at6native12_GLOBAL__N_18offset_tEEE10hipError_tPvRmT1_PNSt15iterator_traitsISY_E10value_typeET2_T3_PNSZ_IS14_E10value_typeET4_jRbjT5_S1A_jjP12ihipStream_tbEUljE_EEESV_SW_SX_S14_S18_S1A_T6_T7_T9_mT8_S1C_bDpT10_ENKUlT_T0_E_clISt17integral_constantIbLb1EES1O_IbLb0EEEEDaS1K_S1L_EUlS1K_E_NS1_11comp_targetILNS1_3genE0ELNS1_11target_archE4294967295ELNS1_3gpuE0ELNS1_3repE0EEENS1_30default_config_static_selectorELNS0_4arch9wavefront6targetE0EEEvSY_,comdat
	.globl	_ZN7rocprim17ROCPRIM_400000_NS6detail17trampoline_kernelINS0_13select_configILj256ELj13ELNS0_17block_load_methodE3ELS4_3ELS4_3ELNS0_20block_scan_algorithmE0ELj4294967295EEENS1_25partition_config_selectorILNS1_17partition_subalgoE3EjNS0_10empty_typeEbEEZZNS1_14partition_implILS8_3ELb0ES6_jNS0_17counting_iteratorIjlEEPS9_SE_NS0_5tupleIJPjSE_EEENSF_IJSE_SE_EEES9_SG_JZNS1_25segmented_radix_sort_implINS0_14default_configELb0EPKiPiPKlPlN2at6native12_GLOBAL__N_18offset_tEEE10hipError_tPvRmT1_PNSt15iterator_traitsISY_E10value_typeET2_T3_PNSZ_IS14_E10value_typeET4_jRbjT5_S1A_jjP12ihipStream_tbEUljE_EEESV_SW_SX_S14_S18_S1A_T6_T7_T9_mT8_S1C_bDpT10_ENKUlT_T0_E_clISt17integral_constantIbLb1EES1O_IbLb0EEEEDaS1K_S1L_EUlS1K_E_NS1_11comp_targetILNS1_3genE0ELNS1_11target_archE4294967295ELNS1_3gpuE0ELNS1_3repE0EEENS1_30default_config_static_selectorELNS0_4arch9wavefront6targetE0EEEvSY_ ; -- Begin function _ZN7rocprim17ROCPRIM_400000_NS6detail17trampoline_kernelINS0_13select_configILj256ELj13ELNS0_17block_load_methodE3ELS4_3ELS4_3ELNS0_20block_scan_algorithmE0ELj4294967295EEENS1_25partition_config_selectorILNS1_17partition_subalgoE3EjNS0_10empty_typeEbEEZZNS1_14partition_implILS8_3ELb0ES6_jNS0_17counting_iteratorIjlEEPS9_SE_NS0_5tupleIJPjSE_EEENSF_IJSE_SE_EEES9_SG_JZNS1_25segmented_radix_sort_implINS0_14default_configELb0EPKiPiPKlPlN2at6native12_GLOBAL__N_18offset_tEEE10hipError_tPvRmT1_PNSt15iterator_traitsISY_E10value_typeET2_T3_PNSZ_IS14_E10value_typeET4_jRbjT5_S1A_jjP12ihipStream_tbEUljE_EEESV_SW_SX_S14_S18_S1A_T6_T7_T9_mT8_S1C_bDpT10_ENKUlT_T0_E_clISt17integral_constantIbLb1EES1O_IbLb0EEEEDaS1K_S1L_EUlS1K_E_NS1_11comp_targetILNS1_3genE0ELNS1_11target_archE4294967295ELNS1_3gpuE0ELNS1_3repE0EEENS1_30default_config_static_selectorELNS0_4arch9wavefront6targetE0EEEvSY_
	.p2align	8
	.type	_ZN7rocprim17ROCPRIM_400000_NS6detail17trampoline_kernelINS0_13select_configILj256ELj13ELNS0_17block_load_methodE3ELS4_3ELS4_3ELNS0_20block_scan_algorithmE0ELj4294967295EEENS1_25partition_config_selectorILNS1_17partition_subalgoE3EjNS0_10empty_typeEbEEZZNS1_14partition_implILS8_3ELb0ES6_jNS0_17counting_iteratorIjlEEPS9_SE_NS0_5tupleIJPjSE_EEENSF_IJSE_SE_EEES9_SG_JZNS1_25segmented_radix_sort_implINS0_14default_configELb0EPKiPiPKlPlN2at6native12_GLOBAL__N_18offset_tEEE10hipError_tPvRmT1_PNSt15iterator_traitsISY_E10value_typeET2_T3_PNSZ_IS14_E10value_typeET4_jRbjT5_S1A_jjP12ihipStream_tbEUljE_EEESV_SW_SX_S14_S18_S1A_T6_T7_T9_mT8_S1C_bDpT10_ENKUlT_T0_E_clISt17integral_constantIbLb1EES1O_IbLb0EEEEDaS1K_S1L_EUlS1K_E_NS1_11comp_targetILNS1_3genE0ELNS1_11target_archE4294967295ELNS1_3gpuE0ELNS1_3repE0EEENS1_30default_config_static_selectorELNS0_4arch9wavefront6targetE0EEEvSY_,@function
_ZN7rocprim17ROCPRIM_400000_NS6detail17trampoline_kernelINS0_13select_configILj256ELj13ELNS0_17block_load_methodE3ELS4_3ELS4_3ELNS0_20block_scan_algorithmE0ELj4294967295EEENS1_25partition_config_selectorILNS1_17partition_subalgoE3EjNS0_10empty_typeEbEEZZNS1_14partition_implILS8_3ELb0ES6_jNS0_17counting_iteratorIjlEEPS9_SE_NS0_5tupleIJPjSE_EEENSF_IJSE_SE_EEES9_SG_JZNS1_25segmented_radix_sort_implINS0_14default_configELb0EPKiPiPKlPlN2at6native12_GLOBAL__N_18offset_tEEE10hipError_tPvRmT1_PNSt15iterator_traitsISY_E10value_typeET2_T3_PNSZ_IS14_E10value_typeET4_jRbjT5_S1A_jjP12ihipStream_tbEUljE_EEESV_SW_SX_S14_S18_S1A_T6_T7_T9_mT8_S1C_bDpT10_ENKUlT_T0_E_clISt17integral_constantIbLb1EES1O_IbLb0EEEEDaS1K_S1L_EUlS1K_E_NS1_11comp_targetILNS1_3genE0ELNS1_11target_archE4294967295ELNS1_3gpuE0ELNS1_3repE0EEENS1_30default_config_static_selectorELNS0_4arch9wavefront6targetE0EEEvSY_: ; @_ZN7rocprim17ROCPRIM_400000_NS6detail17trampoline_kernelINS0_13select_configILj256ELj13ELNS0_17block_load_methodE3ELS4_3ELS4_3ELNS0_20block_scan_algorithmE0ELj4294967295EEENS1_25partition_config_selectorILNS1_17partition_subalgoE3EjNS0_10empty_typeEbEEZZNS1_14partition_implILS8_3ELb0ES6_jNS0_17counting_iteratorIjlEEPS9_SE_NS0_5tupleIJPjSE_EEENSF_IJSE_SE_EEES9_SG_JZNS1_25segmented_radix_sort_implINS0_14default_configELb0EPKiPiPKlPlN2at6native12_GLOBAL__N_18offset_tEEE10hipError_tPvRmT1_PNSt15iterator_traitsISY_E10value_typeET2_T3_PNSZ_IS14_E10value_typeET4_jRbjT5_S1A_jjP12ihipStream_tbEUljE_EEESV_SW_SX_S14_S18_S1A_T6_T7_T9_mT8_S1C_bDpT10_ENKUlT_T0_E_clISt17integral_constantIbLb1EES1O_IbLb0EEEEDaS1K_S1L_EUlS1K_E_NS1_11comp_targetILNS1_3genE0ELNS1_11target_archE4294967295ELNS1_3gpuE0ELNS1_3repE0EEENS1_30default_config_static_selectorELNS0_4arch9wavefront6targetE0EEEvSY_
; %bb.0:
	s_endpgm
	.section	.rodata,"a",@progbits
	.p2align	6, 0x0
	.amdhsa_kernel _ZN7rocprim17ROCPRIM_400000_NS6detail17trampoline_kernelINS0_13select_configILj256ELj13ELNS0_17block_load_methodE3ELS4_3ELS4_3ELNS0_20block_scan_algorithmE0ELj4294967295EEENS1_25partition_config_selectorILNS1_17partition_subalgoE3EjNS0_10empty_typeEbEEZZNS1_14partition_implILS8_3ELb0ES6_jNS0_17counting_iteratorIjlEEPS9_SE_NS0_5tupleIJPjSE_EEENSF_IJSE_SE_EEES9_SG_JZNS1_25segmented_radix_sort_implINS0_14default_configELb0EPKiPiPKlPlN2at6native12_GLOBAL__N_18offset_tEEE10hipError_tPvRmT1_PNSt15iterator_traitsISY_E10value_typeET2_T3_PNSZ_IS14_E10value_typeET4_jRbjT5_S1A_jjP12ihipStream_tbEUljE_EEESV_SW_SX_S14_S18_S1A_T6_T7_T9_mT8_S1C_bDpT10_ENKUlT_T0_E_clISt17integral_constantIbLb1EES1O_IbLb0EEEEDaS1K_S1L_EUlS1K_E_NS1_11comp_targetILNS1_3genE0ELNS1_11target_archE4294967295ELNS1_3gpuE0ELNS1_3repE0EEENS1_30default_config_static_selectorELNS0_4arch9wavefront6targetE0EEEvSY_
		.amdhsa_group_segment_fixed_size 0
		.amdhsa_private_segment_fixed_size 0
		.amdhsa_kernarg_size 144
		.amdhsa_user_sgpr_count 2
		.amdhsa_user_sgpr_dispatch_ptr 0
		.amdhsa_user_sgpr_queue_ptr 0
		.amdhsa_user_sgpr_kernarg_segment_ptr 1
		.amdhsa_user_sgpr_dispatch_id 0
		.amdhsa_user_sgpr_kernarg_preload_length 0
		.amdhsa_user_sgpr_kernarg_preload_offset 0
		.amdhsa_user_sgpr_private_segment_size 0
		.amdhsa_wavefront_size32 1
		.amdhsa_uses_dynamic_stack 0
		.amdhsa_enable_private_segment 0
		.amdhsa_system_sgpr_workgroup_id_x 1
		.amdhsa_system_sgpr_workgroup_id_y 0
		.amdhsa_system_sgpr_workgroup_id_z 0
		.amdhsa_system_sgpr_workgroup_info 0
		.amdhsa_system_vgpr_workitem_id 0
		.amdhsa_next_free_vgpr 1
		.amdhsa_next_free_sgpr 1
		.amdhsa_named_barrier_count 0
		.amdhsa_reserve_vcc 0
		.amdhsa_float_round_mode_32 0
		.amdhsa_float_round_mode_16_64 0
		.amdhsa_float_denorm_mode_32 3
		.amdhsa_float_denorm_mode_16_64 3
		.amdhsa_fp16_overflow 0
		.amdhsa_memory_ordered 1
		.amdhsa_forward_progress 1
		.amdhsa_inst_pref_size 1
		.amdhsa_round_robin_scheduling 0
		.amdhsa_exception_fp_ieee_invalid_op 0
		.amdhsa_exception_fp_denorm_src 0
		.amdhsa_exception_fp_ieee_div_zero 0
		.amdhsa_exception_fp_ieee_overflow 0
		.amdhsa_exception_fp_ieee_underflow 0
		.amdhsa_exception_fp_ieee_inexact 0
		.amdhsa_exception_int_div_zero 0
	.end_amdhsa_kernel
	.section	.text._ZN7rocprim17ROCPRIM_400000_NS6detail17trampoline_kernelINS0_13select_configILj256ELj13ELNS0_17block_load_methodE3ELS4_3ELS4_3ELNS0_20block_scan_algorithmE0ELj4294967295EEENS1_25partition_config_selectorILNS1_17partition_subalgoE3EjNS0_10empty_typeEbEEZZNS1_14partition_implILS8_3ELb0ES6_jNS0_17counting_iteratorIjlEEPS9_SE_NS0_5tupleIJPjSE_EEENSF_IJSE_SE_EEES9_SG_JZNS1_25segmented_radix_sort_implINS0_14default_configELb0EPKiPiPKlPlN2at6native12_GLOBAL__N_18offset_tEEE10hipError_tPvRmT1_PNSt15iterator_traitsISY_E10value_typeET2_T3_PNSZ_IS14_E10value_typeET4_jRbjT5_S1A_jjP12ihipStream_tbEUljE_EEESV_SW_SX_S14_S18_S1A_T6_T7_T9_mT8_S1C_bDpT10_ENKUlT_T0_E_clISt17integral_constantIbLb1EES1O_IbLb0EEEEDaS1K_S1L_EUlS1K_E_NS1_11comp_targetILNS1_3genE0ELNS1_11target_archE4294967295ELNS1_3gpuE0ELNS1_3repE0EEENS1_30default_config_static_selectorELNS0_4arch9wavefront6targetE0EEEvSY_,"axG",@progbits,_ZN7rocprim17ROCPRIM_400000_NS6detail17trampoline_kernelINS0_13select_configILj256ELj13ELNS0_17block_load_methodE3ELS4_3ELS4_3ELNS0_20block_scan_algorithmE0ELj4294967295EEENS1_25partition_config_selectorILNS1_17partition_subalgoE3EjNS0_10empty_typeEbEEZZNS1_14partition_implILS8_3ELb0ES6_jNS0_17counting_iteratorIjlEEPS9_SE_NS0_5tupleIJPjSE_EEENSF_IJSE_SE_EEES9_SG_JZNS1_25segmented_radix_sort_implINS0_14default_configELb0EPKiPiPKlPlN2at6native12_GLOBAL__N_18offset_tEEE10hipError_tPvRmT1_PNSt15iterator_traitsISY_E10value_typeET2_T3_PNSZ_IS14_E10value_typeET4_jRbjT5_S1A_jjP12ihipStream_tbEUljE_EEESV_SW_SX_S14_S18_S1A_T6_T7_T9_mT8_S1C_bDpT10_ENKUlT_T0_E_clISt17integral_constantIbLb1EES1O_IbLb0EEEEDaS1K_S1L_EUlS1K_E_NS1_11comp_targetILNS1_3genE0ELNS1_11target_archE4294967295ELNS1_3gpuE0ELNS1_3repE0EEENS1_30default_config_static_selectorELNS0_4arch9wavefront6targetE0EEEvSY_,comdat
.Lfunc_end580:
	.size	_ZN7rocprim17ROCPRIM_400000_NS6detail17trampoline_kernelINS0_13select_configILj256ELj13ELNS0_17block_load_methodE3ELS4_3ELS4_3ELNS0_20block_scan_algorithmE0ELj4294967295EEENS1_25partition_config_selectorILNS1_17partition_subalgoE3EjNS0_10empty_typeEbEEZZNS1_14partition_implILS8_3ELb0ES6_jNS0_17counting_iteratorIjlEEPS9_SE_NS0_5tupleIJPjSE_EEENSF_IJSE_SE_EEES9_SG_JZNS1_25segmented_radix_sort_implINS0_14default_configELb0EPKiPiPKlPlN2at6native12_GLOBAL__N_18offset_tEEE10hipError_tPvRmT1_PNSt15iterator_traitsISY_E10value_typeET2_T3_PNSZ_IS14_E10value_typeET4_jRbjT5_S1A_jjP12ihipStream_tbEUljE_EEESV_SW_SX_S14_S18_S1A_T6_T7_T9_mT8_S1C_bDpT10_ENKUlT_T0_E_clISt17integral_constantIbLb1EES1O_IbLb0EEEEDaS1K_S1L_EUlS1K_E_NS1_11comp_targetILNS1_3genE0ELNS1_11target_archE4294967295ELNS1_3gpuE0ELNS1_3repE0EEENS1_30default_config_static_selectorELNS0_4arch9wavefront6targetE0EEEvSY_, .Lfunc_end580-_ZN7rocprim17ROCPRIM_400000_NS6detail17trampoline_kernelINS0_13select_configILj256ELj13ELNS0_17block_load_methodE3ELS4_3ELS4_3ELNS0_20block_scan_algorithmE0ELj4294967295EEENS1_25partition_config_selectorILNS1_17partition_subalgoE3EjNS0_10empty_typeEbEEZZNS1_14partition_implILS8_3ELb0ES6_jNS0_17counting_iteratorIjlEEPS9_SE_NS0_5tupleIJPjSE_EEENSF_IJSE_SE_EEES9_SG_JZNS1_25segmented_radix_sort_implINS0_14default_configELb0EPKiPiPKlPlN2at6native12_GLOBAL__N_18offset_tEEE10hipError_tPvRmT1_PNSt15iterator_traitsISY_E10value_typeET2_T3_PNSZ_IS14_E10value_typeET4_jRbjT5_S1A_jjP12ihipStream_tbEUljE_EEESV_SW_SX_S14_S18_S1A_T6_T7_T9_mT8_S1C_bDpT10_ENKUlT_T0_E_clISt17integral_constantIbLb1EES1O_IbLb0EEEEDaS1K_S1L_EUlS1K_E_NS1_11comp_targetILNS1_3genE0ELNS1_11target_archE4294967295ELNS1_3gpuE0ELNS1_3repE0EEENS1_30default_config_static_selectorELNS0_4arch9wavefront6targetE0EEEvSY_
                                        ; -- End function
	.set _ZN7rocprim17ROCPRIM_400000_NS6detail17trampoline_kernelINS0_13select_configILj256ELj13ELNS0_17block_load_methodE3ELS4_3ELS4_3ELNS0_20block_scan_algorithmE0ELj4294967295EEENS1_25partition_config_selectorILNS1_17partition_subalgoE3EjNS0_10empty_typeEbEEZZNS1_14partition_implILS8_3ELb0ES6_jNS0_17counting_iteratorIjlEEPS9_SE_NS0_5tupleIJPjSE_EEENSF_IJSE_SE_EEES9_SG_JZNS1_25segmented_radix_sort_implINS0_14default_configELb0EPKiPiPKlPlN2at6native12_GLOBAL__N_18offset_tEEE10hipError_tPvRmT1_PNSt15iterator_traitsISY_E10value_typeET2_T3_PNSZ_IS14_E10value_typeET4_jRbjT5_S1A_jjP12ihipStream_tbEUljE_EEESV_SW_SX_S14_S18_S1A_T6_T7_T9_mT8_S1C_bDpT10_ENKUlT_T0_E_clISt17integral_constantIbLb1EES1O_IbLb0EEEEDaS1K_S1L_EUlS1K_E_NS1_11comp_targetILNS1_3genE0ELNS1_11target_archE4294967295ELNS1_3gpuE0ELNS1_3repE0EEENS1_30default_config_static_selectorELNS0_4arch9wavefront6targetE0EEEvSY_.num_vgpr, 0
	.set _ZN7rocprim17ROCPRIM_400000_NS6detail17trampoline_kernelINS0_13select_configILj256ELj13ELNS0_17block_load_methodE3ELS4_3ELS4_3ELNS0_20block_scan_algorithmE0ELj4294967295EEENS1_25partition_config_selectorILNS1_17partition_subalgoE3EjNS0_10empty_typeEbEEZZNS1_14partition_implILS8_3ELb0ES6_jNS0_17counting_iteratorIjlEEPS9_SE_NS0_5tupleIJPjSE_EEENSF_IJSE_SE_EEES9_SG_JZNS1_25segmented_radix_sort_implINS0_14default_configELb0EPKiPiPKlPlN2at6native12_GLOBAL__N_18offset_tEEE10hipError_tPvRmT1_PNSt15iterator_traitsISY_E10value_typeET2_T3_PNSZ_IS14_E10value_typeET4_jRbjT5_S1A_jjP12ihipStream_tbEUljE_EEESV_SW_SX_S14_S18_S1A_T6_T7_T9_mT8_S1C_bDpT10_ENKUlT_T0_E_clISt17integral_constantIbLb1EES1O_IbLb0EEEEDaS1K_S1L_EUlS1K_E_NS1_11comp_targetILNS1_3genE0ELNS1_11target_archE4294967295ELNS1_3gpuE0ELNS1_3repE0EEENS1_30default_config_static_selectorELNS0_4arch9wavefront6targetE0EEEvSY_.num_agpr, 0
	.set _ZN7rocprim17ROCPRIM_400000_NS6detail17trampoline_kernelINS0_13select_configILj256ELj13ELNS0_17block_load_methodE3ELS4_3ELS4_3ELNS0_20block_scan_algorithmE0ELj4294967295EEENS1_25partition_config_selectorILNS1_17partition_subalgoE3EjNS0_10empty_typeEbEEZZNS1_14partition_implILS8_3ELb0ES6_jNS0_17counting_iteratorIjlEEPS9_SE_NS0_5tupleIJPjSE_EEENSF_IJSE_SE_EEES9_SG_JZNS1_25segmented_radix_sort_implINS0_14default_configELb0EPKiPiPKlPlN2at6native12_GLOBAL__N_18offset_tEEE10hipError_tPvRmT1_PNSt15iterator_traitsISY_E10value_typeET2_T3_PNSZ_IS14_E10value_typeET4_jRbjT5_S1A_jjP12ihipStream_tbEUljE_EEESV_SW_SX_S14_S18_S1A_T6_T7_T9_mT8_S1C_bDpT10_ENKUlT_T0_E_clISt17integral_constantIbLb1EES1O_IbLb0EEEEDaS1K_S1L_EUlS1K_E_NS1_11comp_targetILNS1_3genE0ELNS1_11target_archE4294967295ELNS1_3gpuE0ELNS1_3repE0EEENS1_30default_config_static_selectorELNS0_4arch9wavefront6targetE0EEEvSY_.numbered_sgpr, 0
	.set _ZN7rocprim17ROCPRIM_400000_NS6detail17trampoline_kernelINS0_13select_configILj256ELj13ELNS0_17block_load_methodE3ELS4_3ELS4_3ELNS0_20block_scan_algorithmE0ELj4294967295EEENS1_25partition_config_selectorILNS1_17partition_subalgoE3EjNS0_10empty_typeEbEEZZNS1_14partition_implILS8_3ELb0ES6_jNS0_17counting_iteratorIjlEEPS9_SE_NS0_5tupleIJPjSE_EEENSF_IJSE_SE_EEES9_SG_JZNS1_25segmented_radix_sort_implINS0_14default_configELb0EPKiPiPKlPlN2at6native12_GLOBAL__N_18offset_tEEE10hipError_tPvRmT1_PNSt15iterator_traitsISY_E10value_typeET2_T3_PNSZ_IS14_E10value_typeET4_jRbjT5_S1A_jjP12ihipStream_tbEUljE_EEESV_SW_SX_S14_S18_S1A_T6_T7_T9_mT8_S1C_bDpT10_ENKUlT_T0_E_clISt17integral_constantIbLb1EES1O_IbLb0EEEEDaS1K_S1L_EUlS1K_E_NS1_11comp_targetILNS1_3genE0ELNS1_11target_archE4294967295ELNS1_3gpuE0ELNS1_3repE0EEENS1_30default_config_static_selectorELNS0_4arch9wavefront6targetE0EEEvSY_.num_named_barrier, 0
	.set _ZN7rocprim17ROCPRIM_400000_NS6detail17trampoline_kernelINS0_13select_configILj256ELj13ELNS0_17block_load_methodE3ELS4_3ELS4_3ELNS0_20block_scan_algorithmE0ELj4294967295EEENS1_25partition_config_selectorILNS1_17partition_subalgoE3EjNS0_10empty_typeEbEEZZNS1_14partition_implILS8_3ELb0ES6_jNS0_17counting_iteratorIjlEEPS9_SE_NS0_5tupleIJPjSE_EEENSF_IJSE_SE_EEES9_SG_JZNS1_25segmented_radix_sort_implINS0_14default_configELb0EPKiPiPKlPlN2at6native12_GLOBAL__N_18offset_tEEE10hipError_tPvRmT1_PNSt15iterator_traitsISY_E10value_typeET2_T3_PNSZ_IS14_E10value_typeET4_jRbjT5_S1A_jjP12ihipStream_tbEUljE_EEESV_SW_SX_S14_S18_S1A_T6_T7_T9_mT8_S1C_bDpT10_ENKUlT_T0_E_clISt17integral_constantIbLb1EES1O_IbLb0EEEEDaS1K_S1L_EUlS1K_E_NS1_11comp_targetILNS1_3genE0ELNS1_11target_archE4294967295ELNS1_3gpuE0ELNS1_3repE0EEENS1_30default_config_static_selectorELNS0_4arch9wavefront6targetE0EEEvSY_.private_seg_size, 0
	.set _ZN7rocprim17ROCPRIM_400000_NS6detail17trampoline_kernelINS0_13select_configILj256ELj13ELNS0_17block_load_methodE3ELS4_3ELS4_3ELNS0_20block_scan_algorithmE0ELj4294967295EEENS1_25partition_config_selectorILNS1_17partition_subalgoE3EjNS0_10empty_typeEbEEZZNS1_14partition_implILS8_3ELb0ES6_jNS0_17counting_iteratorIjlEEPS9_SE_NS0_5tupleIJPjSE_EEENSF_IJSE_SE_EEES9_SG_JZNS1_25segmented_radix_sort_implINS0_14default_configELb0EPKiPiPKlPlN2at6native12_GLOBAL__N_18offset_tEEE10hipError_tPvRmT1_PNSt15iterator_traitsISY_E10value_typeET2_T3_PNSZ_IS14_E10value_typeET4_jRbjT5_S1A_jjP12ihipStream_tbEUljE_EEESV_SW_SX_S14_S18_S1A_T6_T7_T9_mT8_S1C_bDpT10_ENKUlT_T0_E_clISt17integral_constantIbLb1EES1O_IbLb0EEEEDaS1K_S1L_EUlS1K_E_NS1_11comp_targetILNS1_3genE0ELNS1_11target_archE4294967295ELNS1_3gpuE0ELNS1_3repE0EEENS1_30default_config_static_selectorELNS0_4arch9wavefront6targetE0EEEvSY_.uses_vcc, 0
	.set _ZN7rocprim17ROCPRIM_400000_NS6detail17trampoline_kernelINS0_13select_configILj256ELj13ELNS0_17block_load_methodE3ELS4_3ELS4_3ELNS0_20block_scan_algorithmE0ELj4294967295EEENS1_25partition_config_selectorILNS1_17partition_subalgoE3EjNS0_10empty_typeEbEEZZNS1_14partition_implILS8_3ELb0ES6_jNS0_17counting_iteratorIjlEEPS9_SE_NS0_5tupleIJPjSE_EEENSF_IJSE_SE_EEES9_SG_JZNS1_25segmented_radix_sort_implINS0_14default_configELb0EPKiPiPKlPlN2at6native12_GLOBAL__N_18offset_tEEE10hipError_tPvRmT1_PNSt15iterator_traitsISY_E10value_typeET2_T3_PNSZ_IS14_E10value_typeET4_jRbjT5_S1A_jjP12ihipStream_tbEUljE_EEESV_SW_SX_S14_S18_S1A_T6_T7_T9_mT8_S1C_bDpT10_ENKUlT_T0_E_clISt17integral_constantIbLb1EES1O_IbLb0EEEEDaS1K_S1L_EUlS1K_E_NS1_11comp_targetILNS1_3genE0ELNS1_11target_archE4294967295ELNS1_3gpuE0ELNS1_3repE0EEENS1_30default_config_static_selectorELNS0_4arch9wavefront6targetE0EEEvSY_.uses_flat_scratch, 0
	.set _ZN7rocprim17ROCPRIM_400000_NS6detail17trampoline_kernelINS0_13select_configILj256ELj13ELNS0_17block_load_methodE3ELS4_3ELS4_3ELNS0_20block_scan_algorithmE0ELj4294967295EEENS1_25partition_config_selectorILNS1_17partition_subalgoE3EjNS0_10empty_typeEbEEZZNS1_14partition_implILS8_3ELb0ES6_jNS0_17counting_iteratorIjlEEPS9_SE_NS0_5tupleIJPjSE_EEENSF_IJSE_SE_EEES9_SG_JZNS1_25segmented_radix_sort_implINS0_14default_configELb0EPKiPiPKlPlN2at6native12_GLOBAL__N_18offset_tEEE10hipError_tPvRmT1_PNSt15iterator_traitsISY_E10value_typeET2_T3_PNSZ_IS14_E10value_typeET4_jRbjT5_S1A_jjP12ihipStream_tbEUljE_EEESV_SW_SX_S14_S18_S1A_T6_T7_T9_mT8_S1C_bDpT10_ENKUlT_T0_E_clISt17integral_constantIbLb1EES1O_IbLb0EEEEDaS1K_S1L_EUlS1K_E_NS1_11comp_targetILNS1_3genE0ELNS1_11target_archE4294967295ELNS1_3gpuE0ELNS1_3repE0EEENS1_30default_config_static_selectorELNS0_4arch9wavefront6targetE0EEEvSY_.has_dyn_sized_stack, 0
	.set _ZN7rocprim17ROCPRIM_400000_NS6detail17trampoline_kernelINS0_13select_configILj256ELj13ELNS0_17block_load_methodE3ELS4_3ELS4_3ELNS0_20block_scan_algorithmE0ELj4294967295EEENS1_25partition_config_selectorILNS1_17partition_subalgoE3EjNS0_10empty_typeEbEEZZNS1_14partition_implILS8_3ELb0ES6_jNS0_17counting_iteratorIjlEEPS9_SE_NS0_5tupleIJPjSE_EEENSF_IJSE_SE_EEES9_SG_JZNS1_25segmented_radix_sort_implINS0_14default_configELb0EPKiPiPKlPlN2at6native12_GLOBAL__N_18offset_tEEE10hipError_tPvRmT1_PNSt15iterator_traitsISY_E10value_typeET2_T3_PNSZ_IS14_E10value_typeET4_jRbjT5_S1A_jjP12ihipStream_tbEUljE_EEESV_SW_SX_S14_S18_S1A_T6_T7_T9_mT8_S1C_bDpT10_ENKUlT_T0_E_clISt17integral_constantIbLb1EES1O_IbLb0EEEEDaS1K_S1L_EUlS1K_E_NS1_11comp_targetILNS1_3genE0ELNS1_11target_archE4294967295ELNS1_3gpuE0ELNS1_3repE0EEENS1_30default_config_static_selectorELNS0_4arch9wavefront6targetE0EEEvSY_.has_recursion, 0
	.set _ZN7rocprim17ROCPRIM_400000_NS6detail17trampoline_kernelINS0_13select_configILj256ELj13ELNS0_17block_load_methodE3ELS4_3ELS4_3ELNS0_20block_scan_algorithmE0ELj4294967295EEENS1_25partition_config_selectorILNS1_17partition_subalgoE3EjNS0_10empty_typeEbEEZZNS1_14partition_implILS8_3ELb0ES6_jNS0_17counting_iteratorIjlEEPS9_SE_NS0_5tupleIJPjSE_EEENSF_IJSE_SE_EEES9_SG_JZNS1_25segmented_radix_sort_implINS0_14default_configELb0EPKiPiPKlPlN2at6native12_GLOBAL__N_18offset_tEEE10hipError_tPvRmT1_PNSt15iterator_traitsISY_E10value_typeET2_T3_PNSZ_IS14_E10value_typeET4_jRbjT5_S1A_jjP12ihipStream_tbEUljE_EEESV_SW_SX_S14_S18_S1A_T6_T7_T9_mT8_S1C_bDpT10_ENKUlT_T0_E_clISt17integral_constantIbLb1EES1O_IbLb0EEEEDaS1K_S1L_EUlS1K_E_NS1_11comp_targetILNS1_3genE0ELNS1_11target_archE4294967295ELNS1_3gpuE0ELNS1_3repE0EEENS1_30default_config_static_selectorELNS0_4arch9wavefront6targetE0EEEvSY_.has_indirect_call, 0
	.section	.AMDGPU.csdata,"",@progbits
; Kernel info:
; codeLenInByte = 4
; TotalNumSgprs: 0
; NumVgprs: 0
; ScratchSize: 0
; MemoryBound: 0
; FloatMode: 240
; IeeeMode: 1
; LDSByteSize: 0 bytes/workgroup (compile time only)
; SGPRBlocks: 0
; VGPRBlocks: 0
; NumSGPRsForWavesPerEU: 1
; NumVGPRsForWavesPerEU: 1
; NamedBarCnt: 0
; Occupancy: 16
; WaveLimiterHint : 0
; COMPUTE_PGM_RSRC2:SCRATCH_EN: 0
; COMPUTE_PGM_RSRC2:USER_SGPR: 2
; COMPUTE_PGM_RSRC2:TRAP_HANDLER: 0
; COMPUTE_PGM_RSRC2:TGID_X_EN: 1
; COMPUTE_PGM_RSRC2:TGID_Y_EN: 0
; COMPUTE_PGM_RSRC2:TGID_Z_EN: 0
; COMPUTE_PGM_RSRC2:TIDIG_COMP_CNT: 0
	.section	.text._ZN7rocprim17ROCPRIM_400000_NS6detail17trampoline_kernelINS0_13select_configILj256ELj13ELNS0_17block_load_methodE3ELS4_3ELS4_3ELNS0_20block_scan_algorithmE0ELj4294967295EEENS1_25partition_config_selectorILNS1_17partition_subalgoE3EjNS0_10empty_typeEbEEZZNS1_14partition_implILS8_3ELb0ES6_jNS0_17counting_iteratorIjlEEPS9_SE_NS0_5tupleIJPjSE_EEENSF_IJSE_SE_EEES9_SG_JZNS1_25segmented_radix_sort_implINS0_14default_configELb0EPKiPiPKlPlN2at6native12_GLOBAL__N_18offset_tEEE10hipError_tPvRmT1_PNSt15iterator_traitsISY_E10value_typeET2_T3_PNSZ_IS14_E10value_typeET4_jRbjT5_S1A_jjP12ihipStream_tbEUljE_EEESV_SW_SX_S14_S18_S1A_T6_T7_T9_mT8_S1C_bDpT10_ENKUlT_T0_E_clISt17integral_constantIbLb1EES1O_IbLb0EEEEDaS1K_S1L_EUlS1K_E_NS1_11comp_targetILNS1_3genE5ELNS1_11target_archE942ELNS1_3gpuE9ELNS1_3repE0EEENS1_30default_config_static_selectorELNS0_4arch9wavefront6targetE0EEEvSY_,"axG",@progbits,_ZN7rocprim17ROCPRIM_400000_NS6detail17trampoline_kernelINS0_13select_configILj256ELj13ELNS0_17block_load_methodE3ELS4_3ELS4_3ELNS0_20block_scan_algorithmE0ELj4294967295EEENS1_25partition_config_selectorILNS1_17partition_subalgoE3EjNS0_10empty_typeEbEEZZNS1_14partition_implILS8_3ELb0ES6_jNS0_17counting_iteratorIjlEEPS9_SE_NS0_5tupleIJPjSE_EEENSF_IJSE_SE_EEES9_SG_JZNS1_25segmented_radix_sort_implINS0_14default_configELb0EPKiPiPKlPlN2at6native12_GLOBAL__N_18offset_tEEE10hipError_tPvRmT1_PNSt15iterator_traitsISY_E10value_typeET2_T3_PNSZ_IS14_E10value_typeET4_jRbjT5_S1A_jjP12ihipStream_tbEUljE_EEESV_SW_SX_S14_S18_S1A_T6_T7_T9_mT8_S1C_bDpT10_ENKUlT_T0_E_clISt17integral_constantIbLb1EES1O_IbLb0EEEEDaS1K_S1L_EUlS1K_E_NS1_11comp_targetILNS1_3genE5ELNS1_11target_archE942ELNS1_3gpuE9ELNS1_3repE0EEENS1_30default_config_static_selectorELNS0_4arch9wavefront6targetE0EEEvSY_,comdat
	.globl	_ZN7rocprim17ROCPRIM_400000_NS6detail17trampoline_kernelINS0_13select_configILj256ELj13ELNS0_17block_load_methodE3ELS4_3ELS4_3ELNS0_20block_scan_algorithmE0ELj4294967295EEENS1_25partition_config_selectorILNS1_17partition_subalgoE3EjNS0_10empty_typeEbEEZZNS1_14partition_implILS8_3ELb0ES6_jNS0_17counting_iteratorIjlEEPS9_SE_NS0_5tupleIJPjSE_EEENSF_IJSE_SE_EEES9_SG_JZNS1_25segmented_radix_sort_implINS0_14default_configELb0EPKiPiPKlPlN2at6native12_GLOBAL__N_18offset_tEEE10hipError_tPvRmT1_PNSt15iterator_traitsISY_E10value_typeET2_T3_PNSZ_IS14_E10value_typeET4_jRbjT5_S1A_jjP12ihipStream_tbEUljE_EEESV_SW_SX_S14_S18_S1A_T6_T7_T9_mT8_S1C_bDpT10_ENKUlT_T0_E_clISt17integral_constantIbLb1EES1O_IbLb0EEEEDaS1K_S1L_EUlS1K_E_NS1_11comp_targetILNS1_3genE5ELNS1_11target_archE942ELNS1_3gpuE9ELNS1_3repE0EEENS1_30default_config_static_selectorELNS0_4arch9wavefront6targetE0EEEvSY_ ; -- Begin function _ZN7rocprim17ROCPRIM_400000_NS6detail17trampoline_kernelINS0_13select_configILj256ELj13ELNS0_17block_load_methodE3ELS4_3ELS4_3ELNS0_20block_scan_algorithmE0ELj4294967295EEENS1_25partition_config_selectorILNS1_17partition_subalgoE3EjNS0_10empty_typeEbEEZZNS1_14partition_implILS8_3ELb0ES6_jNS0_17counting_iteratorIjlEEPS9_SE_NS0_5tupleIJPjSE_EEENSF_IJSE_SE_EEES9_SG_JZNS1_25segmented_radix_sort_implINS0_14default_configELb0EPKiPiPKlPlN2at6native12_GLOBAL__N_18offset_tEEE10hipError_tPvRmT1_PNSt15iterator_traitsISY_E10value_typeET2_T3_PNSZ_IS14_E10value_typeET4_jRbjT5_S1A_jjP12ihipStream_tbEUljE_EEESV_SW_SX_S14_S18_S1A_T6_T7_T9_mT8_S1C_bDpT10_ENKUlT_T0_E_clISt17integral_constantIbLb1EES1O_IbLb0EEEEDaS1K_S1L_EUlS1K_E_NS1_11comp_targetILNS1_3genE5ELNS1_11target_archE942ELNS1_3gpuE9ELNS1_3repE0EEENS1_30default_config_static_selectorELNS0_4arch9wavefront6targetE0EEEvSY_
	.p2align	8
	.type	_ZN7rocprim17ROCPRIM_400000_NS6detail17trampoline_kernelINS0_13select_configILj256ELj13ELNS0_17block_load_methodE3ELS4_3ELS4_3ELNS0_20block_scan_algorithmE0ELj4294967295EEENS1_25partition_config_selectorILNS1_17partition_subalgoE3EjNS0_10empty_typeEbEEZZNS1_14partition_implILS8_3ELb0ES6_jNS0_17counting_iteratorIjlEEPS9_SE_NS0_5tupleIJPjSE_EEENSF_IJSE_SE_EEES9_SG_JZNS1_25segmented_radix_sort_implINS0_14default_configELb0EPKiPiPKlPlN2at6native12_GLOBAL__N_18offset_tEEE10hipError_tPvRmT1_PNSt15iterator_traitsISY_E10value_typeET2_T3_PNSZ_IS14_E10value_typeET4_jRbjT5_S1A_jjP12ihipStream_tbEUljE_EEESV_SW_SX_S14_S18_S1A_T6_T7_T9_mT8_S1C_bDpT10_ENKUlT_T0_E_clISt17integral_constantIbLb1EES1O_IbLb0EEEEDaS1K_S1L_EUlS1K_E_NS1_11comp_targetILNS1_3genE5ELNS1_11target_archE942ELNS1_3gpuE9ELNS1_3repE0EEENS1_30default_config_static_selectorELNS0_4arch9wavefront6targetE0EEEvSY_,@function
_ZN7rocprim17ROCPRIM_400000_NS6detail17trampoline_kernelINS0_13select_configILj256ELj13ELNS0_17block_load_methodE3ELS4_3ELS4_3ELNS0_20block_scan_algorithmE0ELj4294967295EEENS1_25partition_config_selectorILNS1_17partition_subalgoE3EjNS0_10empty_typeEbEEZZNS1_14partition_implILS8_3ELb0ES6_jNS0_17counting_iteratorIjlEEPS9_SE_NS0_5tupleIJPjSE_EEENSF_IJSE_SE_EEES9_SG_JZNS1_25segmented_radix_sort_implINS0_14default_configELb0EPKiPiPKlPlN2at6native12_GLOBAL__N_18offset_tEEE10hipError_tPvRmT1_PNSt15iterator_traitsISY_E10value_typeET2_T3_PNSZ_IS14_E10value_typeET4_jRbjT5_S1A_jjP12ihipStream_tbEUljE_EEESV_SW_SX_S14_S18_S1A_T6_T7_T9_mT8_S1C_bDpT10_ENKUlT_T0_E_clISt17integral_constantIbLb1EES1O_IbLb0EEEEDaS1K_S1L_EUlS1K_E_NS1_11comp_targetILNS1_3genE5ELNS1_11target_archE942ELNS1_3gpuE9ELNS1_3repE0EEENS1_30default_config_static_selectorELNS0_4arch9wavefront6targetE0EEEvSY_: ; @_ZN7rocprim17ROCPRIM_400000_NS6detail17trampoline_kernelINS0_13select_configILj256ELj13ELNS0_17block_load_methodE3ELS4_3ELS4_3ELNS0_20block_scan_algorithmE0ELj4294967295EEENS1_25partition_config_selectorILNS1_17partition_subalgoE3EjNS0_10empty_typeEbEEZZNS1_14partition_implILS8_3ELb0ES6_jNS0_17counting_iteratorIjlEEPS9_SE_NS0_5tupleIJPjSE_EEENSF_IJSE_SE_EEES9_SG_JZNS1_25segmented_radix_sort_implINS0_14default_configELb0EPKiPiPKlPlN2at6native12_GLOBAL__N_18offset_tEEE10hipError_tPvRmT1_PNSt15iterator_traitsISY_E10value_typeET2_T3_PNSZ_IS14_E10value_typeET4_jRbjT5_S1A_jjP12ihipStream_tbEUljE_EEESV_SW_SX_S14_S18_S1A_T6_T7_T9_mT8_S1C_bDpT10_ENKUlT_T0_E_clISt17integral_constantIbLb1EES1O_IbLb0EEEEDaS1K_S1L_EUlS1K_E_NS1_11comp_targetILNS1_3genE5ELNS1_11target_archE942ELNS1_3gpuE9ELNS1_3repE0EEENS1_30default_config_static_selectorELNS0_4arch9wavefront6targetE0EEEvSY_
; %bb.0:
	.section	.rodata,"a",@progbits
	.p2align	6, 0x0
	.amdhsa_kernel _ZN7rocprim17ROCPRIM_400000_NS6detail17trampoline_kernelINS0_13select_configILj256ELj13ELNS0_17block_load_methodE3ELS4_3ELS4_3ELNS0_20block_scan_algorithmE0ELj4294967295EEENS1_25partition_config_selectorILNS1_17partition_subalgoE3EjNS0_10empty_typeEbEEZZNS1_14partition_implILS8_3ELb0ES6_jNS0_17counting_iteratorIjlEEPS9_SE_NS0_5tupleIJPjSE_EEENSF_IJSE_SE_EEES9_SG_JZNS1_25segmented_radix_sort_implINS0_14default_configELb0EPKiPiPKlPlN2at6native12_GLOBAL__N_18offset_tEEE10hipError_tPvRmT1_PNSt15iterator_traitsISY_E10value_typeET2_T3_PNSZ_IS14_E10value_typeET4_jRbjT5_S1A_jjP12ihipStream_tbEUljE_EEESV_SW_SX_S14_S18_S1A_T6_T7_T9_mT8_S1C_bDpT10_ENKUlT_T0_E_clISt17integral_constantIbLb1EES1O_IbLb0EEEEDaS1K_S1L_EUlS1K_E_NS1_11comp_targetILNS1_3genE5ELNS1_11target_archE942ELNS1_3gpuE9ELNS1_3repE0EEENS1_30default_config_static_selectorELNS0_4arch9wavefront6targetE0EEEvSY_
		.amdhsa_group_segment_fixed_size 0
		.amdhsa_private_segment_fixed_size 0
		.amdhsa_kernarg_size 144
		.amdhsa_user_sgpr_count 2
		.amdhsa_user_sgpr_dispatch_ptr 0
		.amdhsa_user_sgpr_queue_ptr 0
		.amdhsa_user_sgpr_kernarg_segment_ptr 1
		.amdhsa_user_sgpr_dispatch_id 0
		.amdhsa_user_sgpr_kernarg_preload_length 0
		.amdhsa_user_sgpr_kernarg_preload_offset 0
		.amdhsa_user_sgpr_private_segment_size 0
		.amdhsa_wavefront_size32 1
		.amdhsa_uses_dynamic_stack 0
		.amdhsa_enable_private_segment 0
		.amdhsa_system_sgpr_workgroup_id_x 1
		.amdhsa_system_sgpr_workgroup_id_y 0
		.amdhsa_system_sgpr_workgroup_id_z 0
		.amdhsa_system_sgpr_workgroup_info 0
		.amdhsa_system_vgpr_workitem_id 0
		.amdhsa_next_free_vgpr 1
		.amdhsa_next_free_sgpr 1
		.amdhsa_named_barrier_count 0
		.amdhsa_reserve_vcc 0
		.amdhsa_float_round_mode_32 0
		.amdhsa_float_round_mode_16_64 0
		.amdhsa_float_denorm_mode_32 3
		.amdhsa_float_denorm_mode_16_64 3
		.amdhsa_fp16_overflow 0
		.amdhsa_memory_ordered 1
		.amdhsa_forward_progress 1
		.amdhsa_inst_pref_size 0
		.amdhsa_round_robin_scheduling 0
		.amdhsa_exception_fp_ieee_invalid_op 0
		.amdhsa_exception_fp_denorm_src 0
		.amdhsa_exception_fp_ieee_div_zero 0
		.amdhsa_exception_fp_ieee_overflow 0
		.amdhsa_exception_fp_ieee_underflow 0
		.amdhsa_exception_fp_ieee_inexact 0
		.amdhsa_exception_int_div_zero 0
	.end_amdhsa_kernel
	.section	.text._ZN7rocprim17ROCPRIM_400000_NS6detail17trampoline_kernelINS0_13select_configILj256ELj13ELNS0_17block_load_methodE3ELS4_3ELS4_3ELNS0_20block_scan_algorithmE0ELj4294967295EEENS1_25partition_config_selectorILNS1_17partition_subalgoE3EjNS0_10empty_typeEbEEZZNS1_14partition_implILS8_3ELb0ES6_jNS0_17counting_iteratorIjlEEPS9_SE_NS0_5tupleIJPjSE_EEENSF_IJSE_SE_EEES9_SG_JZNS1_25segmented_radix_sort_implINS0_14default_configELb0EPKiPiPKlPlN2at6native12_GLOBAL__N_18offset_tEEE10hipError_tPvRmT1_PNSt15iterator_traitsISY_E10value_typeET2_T3_PNSZ_IS14_E10value_typeET4_jRbjT5_S1A_jjP12ihipStream_tbEUljE_EEESV_SW_SX_S14_S18_S1A_T6_T7_T9_mT8_S1C_bDpT10_ENKUlT_T0_E_clISt17integral_constantIbLb1EES1O_IbLb0EEEEDaS1K_S1L_EUlS1K_E_NS1_11comp_targetILNS1_3genE5ELNS1_11target_archE942ELNS1_3gpuE9ELNS1_3repE0EEENS1_30default_config_static_selectorELNS0_4arch9wavefront6targetE0EEEvSY_,"axG",@progbits,_ZN7rocprim17ROCPRIM_400000_NS6detail17trampoline_kernelINS0_13select_configILj256ELj13ELNS0_17block_load_methodE3ELS4_3ELS4_3ELNS0_20block_scan_algorithmE0ELj4294967295EEENS1_25partition_config_selectorILNS1_17partition_subalgoE3EjNS0_10empty_typeEbEEZZNS1_14partition_implILS8_3ELb0ES6_jNS0_17counting_iteratorIjlEEPS9_SE_NS0_5tupleIJPjSE_EEENSF_IJSE_SE_EEES9_SG_JZNS1_25segmented_radix_sort_implINS0_14default_configELb0EPKiPiPKlPlN2at6native12_GLOBAL__N_18offset_tEEE10hipError_tPvRmT1_PNSt15iterator_traitsISY_E10value_typeET2_T3_PNSZ_IS14_E10value_typeET4_jRbjT5_S1A_jjP12ihipStream_tbEUljE_EEESV_SW_SX_S14_S18_S1A_T6_T7_T9_mT8_S1C_bDpT10_ENKUlT_T0_E_clISt17integral_constantIbLb1EES1O_IbLb0EEEEDaS1K_S1L_EUlS1K_E_NS1_11comp_targetILNS1_3genE5ELNS1_11target_archE942ELNS1_3gpuE9ELNS1_3repE0EEENS1_30default_config_static_selectorELNS0_4arch9wavefront6targetE0EEEvSY_,comdat
.Lfunc_end581:
	.size	_ZN7rocprim17ROCPRIM_400000_NS6detail17trampoline_kernelINS0_13select_configILj256ELj13ELNS0_17block_load_methodE3ELS4_3ELS4_3ELNS0_20block_scan_algorithmE0ELj4294967295EEENS1_25partition_config_selectorILNS1_17partition_subalgoE3EjNS0_10empty_typeEbEEZZNS1_14partition_implILS8_3ELb0ES6_jNS0_17counting_iteratorIjlEEPS9_SE_NS0_5tupleIJPjSE_EEENSF_IJSE_SE_EEES9_SG_JZNS1_25segmented_radix_sort_implINS0_14default_configELb0EPKiPiPKlPlN2at6native12_GLOBAL__N_18offset_tEEE10hipError_tPvRmT1_PNSt15iterator_traitsISY_E10value_typeET2_T3_PNSZ_IS14_E10value_typeET4_jRbjT5_S1A_jjP12ihipStream_tbEUljE_EEESV_SW_SX_S14_S18_S1A_T6_T7_T9_mT8_S1C_bDpT10_ENKUlT_T0_E_clISt17integral_constantIbLb1EES1O_IbLb0EEEEDaS1K_S1L_EUlS1K_E_NS1_11comp_targetILNS1_3genE5ELNS1_11target_archE942ELNS1_3gpuE9ELNS1_3repE0EEENS1_30default_config_static_selectorELNS0_4arch9wavefront6targetE0EEEvSY_, .Lfunc_end581-_ZN7rocprim17ROCPRIM_400000_NS6detail17trampoline_kernelINS0_13select_configILj256ELj13ELNS0_17block_load_methodE3ELS4_3ELS4_3ELNS0_20block_scan_algorithmE0ELj4294967295EEENS1_25partition_config_selectorILNS1_17partition_subalgoE3EjNS0_10empty_typeEbEEZZNS1_14partition_implILS8_3ELb0ES6_jNS0_17counting_iteratorIjlEEPS9_SE_NS0_5tupleIJPjSE_EEENSF_IJSE_SE_EEES9_SG_JZNS1_25segmented_radix_sort_implINS0_14default_configELb0EPKiPiPKlPlN2at6native12_GLOBAL__N_18offset_tEEE10hipError_tPvRmT1_PNSt15iterator_traitsISY_E10value_typeET2_T3_PNSZ_IS14_E10value_typeET4_jRbjT5_S1A_jjP12ihipStream_tbEUljE_EEESV_SW_SX_S14_S18_S1A_T6_T7_T9_mT8_S1C_bDpT10_ENKUlT_T0_E_clISt17integral_constantIbLb1EES1O_IbLb0EEEEDaS1K_S1L_EUlS1K_E_NS1_11comp_targetILNS1_3genE5ELNS1_11target_archE942ELNS1_3gpuE9ELNS1_3repE0EEENS1_30default_config_static_selectorELNS0_4arch9wavefront6targetE0EEEvSY_
                                        ; -- End function
	.set _ZN7rocprim17ROCPRIM_400000_NS6detail17trampoline_kernelINS0_13select_configILj256ELj13ELNS0_17block_load_methodE3ELS4_3ELS4_3ELNS0_20block_scan_algorithmE0ELj4294967295EEENS1_25partition_config_selectorILNS1_17partition_subalgoE3EjNS0_10empty_typeEbEEZZNS1_14partition_implILS8_3ELb0ES6_jNS0_17counting_iteratorIjlEEPS9_SE_NS0_5tupleIJPjSE_EEENSF_IJSE_SE_EEES9_SG_JZNS1_25segmented_radix_sort_implINS0_14default_configELb0EPKiPiPKlPlN2at6native12_GLOBAL__N_18offset_tEEE10hipError_tPvRmT1_PNSt15iterator_traitsISY_E10value_typeET2_T3_PNSZ_IS14_E10value_typeET4_jRbjT5_S1A_jjP12ihipStream_tbEUljE_EEESV_SW_SX_S14_S18_S1A_T6_T7_T9_mT8_S1C_bDpT10_ENKUlT_T0_E_clISt17integral_constantIbLb1EES1O_IbLb0EEEEDaS1K_S1L_EUlS1K_E_NS1_11comp_targetILNS1_3genE5ELNS1_11target_archE942ELNS1_3gpuE9ELNS1_3repE0EEENS1_30default_config_static_selectorELNS0_4arch9wavefront6targetE0EEEvSY_.num_vgpr, 0
	.set _ZN7rocprim17ROCPRIM_400000_NS6detail17trampoline_kernelINS0_13select_configILj256ELj13ELNS0_17block_load_methodE3ELS4_3ELS4_3ELNS0_20block_scan_algorithmE0ELj4294967295EEENS1_25partition_config_selectorILNS1_17partition_subalgoE3EjNS0_10empty_typeEbEEZZNS1_14partition_implILS8_3ELb0ES6_jNS0_17counting_iteratorIjlEEPS9_SE_NS0_5tupleIJPjSE_EEENSF_IJSE_SE_EEES9_SG_JZNS1_25segmented_radix_sort_implINS0_14default_configELb0EPKiPiPKlPlN2at6native12_GLOBAL__N_18offset_tEEE10hipError_tPvRmT1_PNSt15iterator_traitsISY_E10value_typeET2_T3_PNSZ_IS14_E10value_typeET4_jRbjT5_S1A_jjP12ihipStream_tbEUljE_EEESV_SW_SX_S14_S18_S1A_T6_T7_T9_mT8_S1C_bDpT10_ENKUlT_T0_E_clISt17integral_constantIbLb1EES1O_IbLb0EEEEDaS1K_S1L_EUlS1K_E_NS1_11comp_targetILNS1_3genE5ELNS1_11target_archE942ELNS1_3gpuE9ELNS1_3repE0EEENS1_30default_config_static_selectorELNS0_4arch9wavefront6targetE0EEEvSY_.num_agpr, 0
	.set _ZN7rocprim17ROCPRIM_400000_NS6detail17trampoline_kernelINS0_13select_configILj256ELj13ELNS0_17block_load_methodE3ELS4_3ELS4_3ELNS0_20block_scan_algorithmE0ELj4294967295EEENS1_25partition_config_selectorILNS1_17partition_subalgoE3EjNS0_10empty_typeEbEEZZNS1_14partition_implILS8_3ELb0ES6_jNS0_17counting_iteratorIjlEEPS9_SE_NS0_5tupleIJPjSE_EEENSF_IJSE_SE_EEES9_SG_JZNS1_25segmented_radix_sort_implINS0_14default_configELb0EPKiPiPKlPlN2at6native12_GLOBAL__N_18offset_tEEE10hipError_tPvRmT1_PNSt15iterator_traitsISY_E10value_typeET2_T3_PNSZ_IS14_E10value_typeET4_jRbjT5_S1A_jjP12ihipStream_tbEUljE_EEESV_SW_SX_S14_S18_S1A_T6_T7_T9_mT8_S1C_bDpT10_ENKUlT_T0_E_clISt17integral_constantIbLb1EES1O_IbLb0EEEEDaS1K_S1L_EUlS1K_E_NS1_11comp_targetILNS1_3genE5ELNS1_11target_archE942ELNS1_3gpuE9ELNS1_3repE0EEENS1_30default_config_static_selectorELNS0_4arch9wavefront6targetE0EEEvSY_.numbered_sgpr, 0
	.set _ZN7rocprim17ROCPRIM_400000_NS6detail17trampoline_kernelINS0_13select_configILj256ELj13ELNS0_17block_load_methodE3ELS4_3ELS4_3ELNS0_20block_scan_algorithmE0ELj4294967295EEENS1_25partition_config_selectorILNS1_17partition_subalgoE3EjNS0_10empty_typeEbEEZZNS1_14partition_implILS8_3ELb0ES6_jNS0_17counting_iteratorIjlEEPS9_SE_NS0_5tupleIJPjSE_EEENSF_IJSE_SE_EEES9_SG_JZNS1_25segmented_radix_sort_implINS0_14default_configELb0EPKiPiPKlPlN2at6native12_GLOBAL__N_18offset_tEEE10hipError_tPvRmT1_PNSt15iterator_traitsISY_E10value_typeET2_T3_PNSZ_IS14_E10value_typeET4_jRbjT5_S1A_jjP12ihipStream_tbEUljE_EEESV_SW_SX_S14_S18_S1A_T6_T7_T9_mT8_S1C_bDpT10_ENKUlT_T0_E_clISt17integral_constantIbLb1EES1O_IbLb0EEEEDaS1K_S1L_EUlS1K_E_NS1_11comp_targetILNS1_3genE5ELNS1_11target_archE942ELNS1_3gpuE9ELNS1_3repE0EEENS1_30default_config_static_selectorELNS0_4arch9wavefront6targetE0EEEvSY_.num_named_barrier, 0
	.set _ZN7rocprim17ROCPRIM_400000_NS6detail17trampoline_kernelINS0_13select_configILj256ELj13ELNS0_17block_load_methodE3ELS4_3ELS4_3ELNS0_20block_scan_algorithmE0ELj4294967295EEENS1_25partition_config_selectorILNS1_17partition_subalgoE3EjNS0_10empty_typeEbEEZZNS1_14partition_implILS8_3ELb0ES6_jNS0_17counting_iteratorIjlEEPS9_SE_NS0_5tupleIJPjSE_EEENSF_IJSE_SE_EEES9_SG_JZNS1_25segmented_radix_sort_implINS0_14default_configELb0EPKiPiPKlPlN2at6native12_GLOBAL__N_18offset_tEEE10hipError_tPvRmT1_PNSt15iterator_traitsISY_E10value_typeET2_T3_PNSZ_IS14_E10value_typeET4_jRbjT5_S1A_jjP12ihipStream_tbEUljE_EEESV_SW_SX_S14_S18_S1A_T6_T7_T9_mT8_S1C_bDpT10_ENKUlT_T0_E_clISt17integral_constantIbLb1EES1O_IbLb0EEEEDaS1K_S1L_EUlS1K_E_NS1_11comp_targetILNS1_3genE5ELNS1_11target_archE942ELNS1_3gpuE9ELNS1_3repE0EEENS1_30default_config_static_selectorELNS0_4arch9wavefront6targetE0EEEvSY_.private_seg_size, 0
	.set _ZN7rocprim17ROCPRIM_400000_NS6detail17trampoline_kernelINS0_13select_configILj256ELj13ELNS0_17block_load_methodE3ELS4_3ELS4_3ELNS0_20block_scan_algorithmE0ELj4294967295EEENS1_25partition_config_selectorILNS1_17partition_subalgoE3EjNS0_10empty_typeEbEEZZNS1_14partition_implILS8_3ELb0ES6_jNS0_17counting_iteratorIjlEEPS9_SE_NS0_5tupleIJPjSE_EEENSF_IJSE_SE_EEES9_SG_JZNS1_25segmented_radix_sort_implINS0_14default_configELb0EPKiPiPKlPlN2at6native12_GLOBAL__N_18offset_tEEE10hipError_tPvRmT1_PNSt15iterator_traitsISY_E10value_typeET2_T3_PNSZ_IS14_E10value_typeET4_jRbjT5_S1A_jjP12ihipStream_tbEUljE_EEESV_SW_SX_S14_S18_S1A_T6_T7_T9_mT8_S1C_bDpT10_ENKUlT_T0_E_clISt17integral_constantIbLb1EES1O_IbLb0EEEEDaS1K_S1L_EUlS1K_E_NS1_11comp_targetILNS1_3genE5ELNS1_11target_archE942ELNS1_3gpuE9ELNS1_3repE0EEENS1_30default_config_static_selectorELNS0_4arch9wavefront6targetE0EEEvSY_.uses_vcc, 0
	.set _ZN7rocprim17ROCPRIM_400000_NS6detail17trampoline_kernelINS0_13select_configILj256ELj13ELNS0_17block_load_methodE3ELS4_3ELS4_3ELNS0_20block_scan_algorithmE0ELj4294967295EEENS1_25partition_config_selectorILNS1_17partition_subalgoE3EjNS0_10empty_typeEbEEZZNS1_14partition_implILS8_3ELb0ES6_jNS0_17counting_iteratorIjlEEPS9_SE_NS0_5tupleIJPjSE_EEENSF_IJSE_SE_EEES9_SG_JZNS1_25segmented_radix_sort_implINS0_14default_configELb0EPKiPiPKlPlN2at6native12_GLOBAL__N_18offset_tEEE10hipError_tPvRmT1_PNSt15iterator_traitsISY_E10value_typeET2_T3_PNSZ_IS14_E10value_typeET4_jRbjT5_S1A_jjP12ihipStream_tbEUljE_EEESV_SW_SX_S14_S18_S1A_T6_T7_T9_mT8_S1C_bDpT10_ENKUlT_T0_E_clISt17integral_constantIbLb1EES1O_IbLb0EEEEDaS1K_S1L_EUlS1K_E_NS1_11comp_targetILNS1_3genE5ELNS1_11target_archE942ELNS1_3gpuE9ELNS1_3repE0EEENS1_30default_config_static_selectorELNS0_4arch9wavefront6targetE0EEEvSY_.uses_flat_scratch, 0
	.set _ZN7rocprim17ROCPRIM_400000_NS6detail17trampoline_kernelINS0_13select_configILj256ELj13ELNS0_17block_load_methodE3ELS4_3ELS4_3ELNS0_20block_scan_algorithmE0ELj4294967295EEENS1_25partition_config_selectorILNS1_17partition_subalgoE3EjNS0_10empty_typeEbEEZZNS1_14partition_implILS8_3ELb0ES6_jNS0_17counting_iteratorIjlEEPS9_SE_NS0_5tupleIJPjSE_EEENSF_IJSE_SE_EEES9_SG_JZNS1_25segmented_radix_sort_implINS0_14default_configELb0EPKiPiPKlPlN2at6native12_GLOBAL__N_18offset_tEEE10hipError_tPvRmT1_PNSt15iterator_traitsISY_E10value_typeET2_T3_PNSZ_IS14_E10value_typeET4_jRbjT5_S1A_jjP12ihipStream_tbEUljE_EEESV_SW_SX_S14_S18_S1A_T6_T7_T9_mT8_S1C_bDpT10_ENKUlT_T0_E_clISt17integral_constantIbLb1EES1O_IbLb0EEEEDaS1K_S1L_EUlS1K_E_NS1_11comp_targetILNS1_3genE5ELNS1_11target_archE942ELNS1_3gpuE9ELNS1_3repE0EEENS1_30default_config_static_selectorELNS0_4arch9wavefront6targetE0EEEvSY_.has_dyn_sized_stack, 0
	.set _ZN7rocprim17ROCPRIM_400000_NS6detail17trampoline_kernelINS0_13select_configILj256ELj13ELNS0_17block_load_methodE3ELS4_3ELS4_3ELNS0_20block_scan_algorithmE0ELj4294967295EEENS1_25partition_config_selectorILNS1_17partition_subalgoE3EjNS0_10empty_typeEbEEZZNS1_14partition_implILS8_3ELb0ES6_jNS0_17counting_iteratorIjlEEPS9_SE_NS0_5tupleIJPjSE_EEENSF_IJSE_SE_EEES9_SG_JZNS1_25segmented_radix_sort_implINS0_14default_configELb0EPKiPiPKlPlN2at6native12_GLOBAL__N_18offset_tEEE10hipError_tPvRmT1_PNSt15iterator_traitsISY_E10value_typeET2_T3_PNSZ_IS14_E10value_typeET4_jRbjT5_S1A_jjP12ihipStream_tbEUljE_EEESV_SW_SX_S14_S18_S1A_T6_T7_T9_mT8_S1C_bDpT10_ENKUlT_T0_E_clISt17integral_constantIbLb1EES1O_IbLb0EEEEDaS1K_S1L_EUlS1K_E_NS1_11comp_targetILNS1_3genE5ELNS1_11target_archE942ELNS1_3gpuE9ELNS1_3repE0EEENS1_30default_config_static_selectorELNS0_4arch9wavefront6targetE0EEEvSY_.has_recursion, 0
	.set _ZN7rocprim17ROCPRIM_400000_NS6detail17trampoline_kernelINS0_13select_configILj256ELj13ELNS0_17block_load_methodE3ELS4_3ELS4_3ELNS0_20block_scan_algorithmE0ELj4294967295EEENS1_25partition_config_selectorILNS1_17partition_subalgoE3EjNS0_10empty_typeEbEEZZNS1_14partition_implILS8_3ELb0ES6_jNS0_17counting_iteratorIjlEEPS9_SE_NS0_5tupleIJPjSE_EEENSF_IJSE_SE_EEES9_SG_JZNS1_25segmented_radix_sort_implINS0_14default_configELb0EPKiPiPKlPlN2at6native12_GLOBAL__N_18offset_tEEE10hipError_tPvRmT1_PNSt15iterator_traitsISY_E10value_typeET2_T3_PNSZ_IS14_E10value_typeET4_jRbjT5_S1A_jjP12ihipStream_tbEUljE_EEESV_SW_SX_S14_S18_S1A_T6_T7_T9_mT8_S1C_bDpT10_ENKUlT_T0_E_clISt17integral_constantIbLb1EES1O_IbLb0EEEEDaS1K_S1L_EUlS1K_E_NS1_11comp_targetILNS1_3genE5ELNS1_11target_archE942ELNS1_3gpuE9ELNS1_3repE0EEENS1_30default_config_static_selectorELNS0_4arch9wavefront6targetE0EEEvSY_.has_indirect_call, 0
	.section	.AMDGPU.csdata,"",@progbits
; Kernel info:
; codeLenInByte = 0
; TotalNumSgprs: 0
; NumVgprs: 0
; ScratchSize: 0
; MemoryBound: 0
; FloatMode: 240
; IeeeMode: 1
; LDSByteSize: 0 bytes/workgroup (compile time only)
; SGPRBlocks: 0
; VGPRBlocks: 0
; NumSGPRsForWavesPerEU: 1
; NumVGPRsForWavesPerEU: 1
; NamedBarCnt: 0
; Occupancy: 16
; WaveLimiterHint : 0
; COMPUTE_PGM_RSRC2:SCRATCH_EN: 0
; COMPUTE_PGM_RSRC2:USER_SGPR: 2
; COMPUTE_PGM_RSRC2:TRAP_HANDLER: 0
; COMPUTE_PGM_RSRC2:TGID_X_EN: 1
; COMPUTE_PGM_RSRC2:TGID_Y_EN: 0
; COMPUTE_PGM_RSRC2:TGID_Z_EN: 0
; COMPUTE_PGM_RSRC2:TIDIG_COMP_CNT: 0
	.section	.text._ZN7rocprim17ROCPRIM_400000_NS6detail17trampoline_kernelINS0_13select_configILj256ELj13ELNS0_17block_load_methodE3ELS4_3ELS4_3ELNS0_20block_scan_algorithmE0ELj4294967295EEENS1_25partition_config_selectorILNS1_17partition_subalgoE3EjNS0_10empty_typeEbEEZZNS1_14partition_implILS8_3ELb0ES6_jNS0_17counting_iteratorIjlEEPS9_SE_NS0_5tupleIJPjSE_EEENSF_IJSE_SE_EEES9_SG_JZNS1_25segmented_radix_sort_implINS0_14default_configELb0EPKiPiPKlPlN2at6native12_GLOBAL__N_18offset_tEEE10hipError_tPvRmT1_PNSt15iterator_traitsISY_E10value_typeET2_T3_PNSZ_IS14_E10value_typeET4_jRbjT5_S1A_jjP12ihipStream_tbEUljE_EEESV_SW_SX_S14_S18_S1A_T6_T7_T9_mT8_S1C_bDpT10_ENKUlT_T0_E_clISt17integral_constantIbLb1EES1O_IbLb0EEEEDaS1K_S1L_EUlS1K_E_NS1_11comp_targetILNS1_3genE4ELNS1_11target_archE910ELNS1_3gpuE8ELNS1_3repE0EEENS1_30default_config_static_selectorELNS0_4arch9wavefront6targetE0EEEvSY_,"axG",@progbits,_ZN7rocprim17ROCPRIM_400000_NS6detail17trampoline_kernelINS0_13select_configILj256ELj13ELNS0_17block_load_methodE3ELS4_3ELS4_3ELNS0_20block_scan_algorithmE0ELj4294967295EEENS1_25partition_config_selectorILNS1_17partition_subalgoE3EjNS0_10empty_typeEbEEZZNS1_14partition_implILS8_3ELb0ES6_jNS0_17counting_iteratorIjlEEPS9_SE_NS0_5tupleIJPjSE_EEENSF_IJSE_SE_EEES9_SG_JZNS1_25segmented_radix_sort_implINS0_14default_configELb0EPKiPiPKlPlN2at6native12_GLOBAL__N_18offset_tEEE10hipError_tPvRmT1_PNSt15iterator_traitsISY_E10value_typeET2_T3_PNSZ_IS14_E10value_typeET4_jRbjT5_S1A_jjP12ihipStream_tbEUljE_EEESV_SW_SX_S14_S18_S1A_T6_T7_T9_mT8_S1C_bDpT10_ENKUlT_T0_E_clISt17integral_constantIbLb1EES1O_IbLb0EEEEDaS1K_S1L_EUlS1K_E_NS1_11comp_targetILNS1_3genE4ELNS1_11target_archE910ELNS1_3gpuE8ELNS1_3repE0EEENS1_30default_config_static_selectorELNS0_4arch9wavefront6targetE0EEEvSY_,comdat
	.globl	_ZN7rocprim17ROCPRIM_400000_NS6detail17trampoline_kernelINS0_13select_configILj256ELj13ELNS0_17block_load_methodE3ELS4_3ELS4_3ELNS0_20block_scan_algorithmE0ELj4294967295EEENS1_25partition_config_selectorILNS1_17partition_subalgoE3EjNS0_10empty_typeEbEEZZNS1_14partition_implILS8_3ELb0ES6_jNS0_17counting_iteratorIjlEEPS9_SE_NS0_5tupleIJPjSE_EEENSF_IJSE_SE_EEES9_SG_JZNS1_25segmented_radix_sort_implINS0_14default_configELb0EPKiPiPKlPlN2at6native12_GLOBAL__N_18offset_tEEE10hipError_tPvRmT1_PNSt15iterator_traitsISY_E10value_typeET2_T3_PNSZ_IS14_E10value_typeET4_jRbjT5_S1A_jjP12ihipStream_tbEUljE_EEESV_SW_SX_S14_S18_S1A_T6_T7_T9_mT8_S1C_bDpT10_ENKUlT_T0_E_clISt17integral_constantIbLb1EES1O_IbLb0EEEEDaS1K_S1L_EUlS1K_E_NS1_11comp_targetILNS1_3genE4ELNS1_11target_archE910ELNS1_3gpuE8ELNS1_3repE0EEENS1_30default_config_static_selectorELNS0_4arch9wavefront6targetE0EEEvSY_ ; -- Begin function _ZN7rocprim17ROCPRIM_400000_NS6detail17trampoline_kernelINS0_13select_configILj256ELj13ELNS0_17block_load_methodE3ELS4_3ELS4_3ELNS0_20block_scan_algorithmE0ELj4294967295EEENS1_25partition_config_selectorILNS1_17partition_subalgoE3EjNS0_10empty_typeEbEEZZNS1_14partition_implILS8_3ELb0ES6_jNS0_17counting_iteratorIjlEEPS9_SE_NS0_5tupleIJPjSE_EEENSF_IJSE_SE_EEES9_SG_JZNS1_25segmented_radix_sort_implINS0_14default_configELb0EPKiPiPKlPlN2at6native12_GLOBAL__N_18offset_tEEE10hipError_tPvRmT1_PNSt15iterator_traitsISY_E10value_typeET2_T3_PNSZ_IS14_E10value_typeET4_jRbjT5_S1A_jjP12ihipStream_tbEUljE_EEESV_SW_SX_S14_S18_S1A_T6_T7_T9_mT8_S1C_bDpT10_ENKUlT_T0_E_clISt17integral_constantIbLb1EES1O_IbLb0EEEEDaS1K_S1L_EUlS1K_E_NS1_11comp_targetILNS1_3genE4ELNS1_11target_archE910ELNS1_3gpuE8ELNS1_3repE0EEENS1_30default_config_static_selectorELNS0_4arch9wavefront6targetE0EEEvSY_
	.p2align	8
	.type	_ZN7rocprim17ROCPRIM_400000_NS6detail17trampoline_kernelINS0_13select_configILj256ELj13ELNS0_17block_load_methodE3ELS4_3ELS4_3ELNS0_20block_scan_algorithmE0ELj4294967295EEENS1_25partition_config_selectorILNS1_17partition_subalgoE3EjNS0_10empty_typeEbEEZZNS1_14partition_implILS8_3ELb0ES6_jNS0_17counting_iteratorIjlEEPS9_SE_NS0_5tupleIJPjSE_EEENSF_IJSE_SE_EEES9_SG_JZNS1_25segmented_radix_sort_implINS0_14default_configELb0EPKiPiPKlPlN2at6native12_GLOBAL__N_18offset_tEEE10hipError_tPvRmT1_PNSt15iterator_traitsISY_E10value_typeET2_T3_PNSZ_IS14_E10value_typeET4_jRbjT5_S1A_jjP12ihipStream_tbEUljE_EEESV_SW_SX_S14_S18_S1A_T6_T7_T9_mT8_S1C_bDpT10_ENKUlT_T0_E_clISt17integral_constantIbLb1EES1O_IbLb0EEEEDaS1K_S1L_EUlS1K_E_NS1_11comp_targetILNS1_3genE4ELNS1_11target_archE910ELNS1_3gpuE8ELNS1_3repE0EEENS1_30default_config_static_selectorELNS0_4arch9wavefront6targetE0EEEvSY_,@function
_ZN7rocprim17ROCPRIM_400000_NS6detail17trampoline_kernelINS0_13select_configILj256ELj13ELNS0_17block_load_methodE3ELS4_3ELS4_3ELNS0_20block_scan_algorithmE0ELj4294967295EEENS1_25partition_config_selectorILNS1_17partition_subalgoE3EjNS0_10empty_typeEbEEZZNS1_14partition_implILS8_3ELb0ES6_jNS0_17counting_iteratorIjlEEPS9_SE_NS0_5tupleIJPjSE_EEENSF_IJSE_SE_EEES9_SG_JZNS1_25segmented_radix_sort_implINS0_14default_configELb0EPKiPiPKlPlN2at6native12_GLOBAL__N_18offset_tEEE10hipError_tPvRmT1_PNSt15iterator_traitsISY_E10value_typeET2_T3_PNSZ_IS14_E10value_typeET4_jRbjT5_S1A_jjP12ihipStream_tbEUljE_EEESV_SW_SX_S14_S18_S1A_T6_T7_T9_mT8_S1C_bDpT10_ENKUlT_T0_E_clISt17integral_constantIbLb1EES1O_IbLb0EEEEDaS1K_S1L_EUlS1K_E_NS1_11comp_targetILNS1_3genE4ELNS1_11target_archE910ELNS1_3gpuE8ELNS1_3repE0EEENS1_30default_config_static_selectorELNS0_4arch9wavefront6targetE0EEEvSY_: ; @_ZN7rocprim17ROCPRIM_400000_NS6detail17trampoline_kernelINS0_13select_configILj256ELj13ELNS0_17block_load_methodE3ELS4_3ELS4_3ELNS0_20block_scan_algorithmE0ELj4294967295EEENS1_25partition_config_selectorILNS1_17partition_subalgoE3EjNS0_10empty_typeEbEEZZNS1_14partition_implILS8_3ELb0ES6_jNS0_17counting_iteratorIjlEEPS9_SE_NS0_5tupleIJPjSE_EEENSF_IJSE_SE_EEES9_SG_JZNS1_25segmented_radix_sort_implINS0_14default_configELb0EPKiPiPKlPlN2at6native12_GLOBAL__N_18offset_tEEE10hipError_tPvRmT1_PNSt15iterator_traitsISY_E10value_typeET2_T3_PNSZ_IS14_E10value_typeET4_jRbjT5_S1A_jjP12ihipStream_tbEUljE_EEESV_SW_SX_S14_S18_S1A_T6_T7_T9_mT8_S1C_bDpT10_ENKUlT_T0_E_clISt17integral_constantIbLb1EES1O_IbLb0EEEEDaS1K_S1L_EUlS1K_E_NS1_11comp_targetILNS1_3genE4ELNS1_11target_archE910ELNS1_3gpuE8ELNS1_3repE0EEENS1_30default_config_static_selectorELNS0_4arch9wavefront6targetE0EEEvSY_
; %bb.0:
	.section	.rodata,"a",@progbits
	.p2align	6, 0x0
	.amdhsa_kernel _ZN7rocprim17ROCPRIM_400000_NS6detail17trampoline_kernelINS0_13select_configILj256ELj13ELNS0_17block_load_methodE3ELS4_3ELS4_3ELNS0_20block_scan_algorithmE0ELj4294967295EEENS1_25partition_config_selectorILNS1_17partition_subalgoE3EjNS0_10empty_typeEbEEZZNS1_14partition_implILS8_3ELb0ES6_jNS0_17counting_iteratorIjlEEPS9_SE_NS0_5tupleIJPjSE_EEENSF_IJSE_SE_EEES9_SG_JZNS1_25segmented_radix_sort_implINS0_14default_configELb0EPKiPiPKlPlN2at6native12_GLOBAL__N_18offset_tEEE10hipError_tPvRmT1_PNSt15iterator_traitsISY_E10value_typeET2_T3_PNSZ_IS14_E10value_typeET4_jRbjT5_S1A_jjP12ihipStream_tbEUljE_EEESV_SW_SX_S14_S18_S1A_T6_T7_T9_mT8_S1C_bDpT10_ENKUlT_T0_E_clISt17integral_constantIbLb1EES1O_IbLb0EEEEDaS1K_S1L_EUlS1K_E_NS1_11comp_targetILNS1_3genE4ELNS1_11target_archE910ELNS1_3gpuE8ELNS1_3repE0EEENS1_30default_config_static_selectorELNS0_4arch9wavefront6targetE0EEEvSY_
		.amdhsa_group_segment_fixed_size 0
		.amdhsa_private_segment_fixed_size 0
		.amdhsa_kernarg_size 144
		.amdhsa_user_sgpr_count 2
		.amdhsa_user_sgpr_dispatch_ptr 0
		.amdhsa_user_sgpr_queue_ptr 0
		.amdhsa_user_sgpr_kernarg_segment_ptr 1
		.amdhsa_user_sgpr_dispatch_id 0
		.amdhsa_user_sgpr_kernarg_preload_length 0
		.amdhsa_user_sgpr_kernarg_preload_offset 0
		.amdhsa_user_sgpr_private_segment_size 0
		.amdhsa_wavefront_size32 1
		.amdhsa_uses_dynamic_stack 0
		.amdhsa_enable_private_segment 0
		.amdhsa_system_sgpr_workgroup_id_x 1
		.amdhsa_system_sgpr_workgroup_id_y 0
		.amdhsa_system_sgpr_workgroup_id_z 0
		.amdhsa_system_sgpr_workgroup_info 0
		.amdhsa_system_vgpr_workitem_id 0
		.amdhsa_next_free_vgpr 1
		.amdhsa_next_free_sgpr 1
		.amdhsa_named_barrier_count 0
		.amdhsa_reserve_vcc 0
		.amdhsa_float_round_mode_32 0
		.amdhsa_float_round_mode_16_64 0
		.amdhsa_float_denorm_mode_32 3
		.amdhsa_float_denorm_mode_16_64 3
		.amdhsa_fp16_overflow 0
		.amdhsa_memory_ordered 1
		.amdhsa_forward_progress 1
		.amdhsa_inst_pref_size 0
		.amdhsa_round_robin_scheduling 0
		.amdhsa_exception_fp_ieee_invalid_op 0
		.amdhsa_exception_fp_denorm_src 0
		.amdhsa_exception_fp_ieee_div_zero 0
		.amdhsa_exception_fp_ieee_overflow 0
		.amdhsa_exception_fp_ieee_underflow 0
		.amdhsa_exception_fp_ieee_inexact 0
		.amdhsa_exception_int_div_zero 0
	.end_amdhsa_kernel
	.section	.text._ZN7rocprim17ROCPRIM_400000_NS6detail17trampoline_kernelINS0_13select_configILj256ELj13ELNS0_17block_load_methodE3ELS4_3ELS4_3ELNS0_20block_scan_algorithmE0ELj4294967295EEENS1_25partition_config_selectorILNS1_17partition_subalgoE3EjNS0_10empty_typeEbEEZZNS1_14partition_implILS8_3ELb0ES6_jNS0_17counting_iteratorIjlEEPS9_SE_NS0_5tupleIJPjSE_EEENSF_IJSE_SE_EEES9_SG_JZNS1_25segmented_radix_sort_implINS0_14default_configELb0EPKiPiPKlPlN2at6native12_GLOBAL__N_18offset_tEEE10hipError_tPvRmT1_PNSt15iterator_traitsISY_E10value_typeET2_T3_PNSZ_IS14_E10value_typeET4_jRbjT5_S1A_jjP12ihipStream_tbEUljE_EEESV_SW_SX_S14_S18_S1A_T6_T7_T9_mT8_S1C_bDpT10_ENKUlT_T0_E_clISt17integral_constantIbLb1EES1O_IbLb0EEEEDaS1K_S1L_EUlS1K_E_NS1_11comp_targetILNS1_3genE4ELNS1_11target_archE910ELNS1_3gpuE8ELNS1_3repE0EEENS1_30default_config_static_selectorELNS0_4arch9wavefront6targetE0EEEvSY_,"axG",@progbits,_ZN7rocprim17ROCPRIM_400000_NS6detail17trampoline_kernelINS0_13select_configILj256ELj13ELNS0_17block_load_methodE3ELS4_3ELS4_3ELNS0_20block_scan_algorithmE0ELj4294967295EEENS1_25partition_config_selectorILNS1_17partition_subalgoE3EjNS0_10empty_typeEbEEZZNS1_14partition_implILS8_3ELb0ES6_jNS0_17counting_iteratorIjlEEPS9_SE_NS0_5tupleIJPjSE_EEENSF_IJSE_SE_EEES9_SG_JZNS1_25segmented_radix_sort_implINS0_14default_configELb0EPKiPiPKlPlN2at6native12_GLOBAL__N_18offset_tEEE10hipError_tPvRmT1_PNSt15iterator_traitsISY_E10value_typeET2_T3_PNSZ_IS14_E10value_typeET4_jRbjT5_S1A_jjP12ihipStream_tbEUljE_EEESV_SW_SX_S14_S18_S1A_T6_T7_T9_mT8_S1C_bDpT10_ENKUlT_T0_E_clISt17integral_constantIbLb1EES1O_IbLb0EEEEDaS1K_S1L_EUlS1K_E_NS1_11comp_targetILNS1_3genE4ELNS1_11target_archE910ELNS1_3gpuE8ELNS1_3repE0EEENS1_30default_config_static_selectorELNS0_4arch9wavefront6targetE0EEEvSY_,comdat
.Lfunc_end582:
	.size	_ZN7rocprim17ROCPRIM_400000_NS6detail17trampoline_kernelINS0_13select_configILj256ELj13ELNS0_17block_load_methodE3ELS4_3ELS4_3ELNS0_20block_scan_algorithmE0ELj4294967295EEENS1_25partition_config_selectorILNS1_17partition_subalgoE3EjNS0_10empty_typeEbEEZZNS1_14partition_implILS8_3ELb0ES6_jNS0_17counting_iteratorIjlEEPS9_SE_NS0_5tupleIJPjSE_EEENSF_IJSE_SE_EEES9_SG_JZNS1_25segmented_radix_sort_implINS0_14default_configELb0EPKiPiPKlPlN2at6native12_GLOBAL__N_18offset_tEEE10hipError_tPvRmT1_PNSt15iterator_traitsISY_E10value_typeET2_T3_PNSZ_IS14_E10value_typeET4_jRbjT5_S1A_jjP12ihipStream_tbEUljE_EEESV_SW_SX_S14_S18_S1A_T6_T7_T9_mT8_S1C_bDpT10_ENKUlT_T0_E_clISt17integral_constantIbLb1EES1O_IbLb0EEEEDaS1K_S1L_EUlS1K_E_NS1_11comp_targetILNS1_3genE4ELNS1_11target_archE910ELNS1_3gpuE8ELNS1_3repE0EEENS1_30default_config_static_selectorELNS0_4arch9wavefront6targetE0EEEvSY_, .Lfunc_end582-_ZN7rocprim17ROCPRIM_400000_NS6detail17trampoline_kernelINS0_13select_configILj256ELj13ELNS0_17block_load_methodE3ELS4_3ELS4_3ELNS0_20block_scan_algorithmE0ELj4294967295EEENS1_25partition_config_selectorILNS1_17partition_subalgoE3EjNS0_10empty_typeEbEEZZNS1_14partition_implILS8_3ELb0ES6_jNS0_17counting_iteratorIjlEEPS9_SE_NS0_5tupleIJPjSE_EEENSF_IJSE_SE_EEES9_SG_JZNS1_25segmented_radix_sort_implINS0_14default_configELb0EPKiPiPKlPlN2at6native12_GLOBAL__N_18offset_tEEE10hipError_tPvRmT1_PNSt15iterator_traitsISY_E10value_typeET2_T3_PNSZ_IS14_E10value_typeET4_jRbjT5_S1A_jjP12ihipStream_tbEUljE_EEESV_SW_SX_S14_S18_S1A_T6_T7_T9_mT8_S1C_bDpT10_ENKUlT_T0_E_clISt17integral_constantIbLb1EES1O_IbLb0EEEEDaS1K_S1L_EUlS1K_E_NS1_11comp_targetILNS1_3genE4ELNS1_11target_archE910ELNS1_3gpuE8ELNS1_3repE0EEENS1_30default_config_static_selectorELNS0_4arch9wavefront6targetE0EEEvSY_
                                        ; -- End function
	.set _ZN7rocprim17ROCPRIM_400000_NS6detail17trampoline_kernelINS0_13select_configILj256ELj13ELNS0_17block_load_methodE3ELS4_3ELS4_3ELNS0_20block_scan_algorithmE0ELj4294967295EEENS1_25partition_config_selectorILNS1_17partition_subalgoE3EjNS0_10empty_typeEbEEZZNS1_14partition_implILS8_3ELb0ES6_jNS0_17counting_iteratorIjlEEPS9_SE_NS0_5tupleIJPjSE_EEENSF_IJSE_SE_EEES9_SG_JZNS1_25segmented_radix_sort_implINS0_14default_configELb0EPKiPiPKlPlN2at6native12_GLOBAL__N_18offset_tEEE10hipError_tPvRmT1_PNSt15iterator_traitsISY_E10value_typeET2_T3_PNSZ_IS14_E10value_typeET4_jRbjT5_S1A_jjP12ihipStream_tbEUljE_EEESV_SW_SX_S14_S18_S1A_T6_T7_T9_mT8_S1C_bDpT10_ENKUlT_T0_E_clISt17integral_constantIbLb1EES1O_IbLb0EEEEDaS1K_S1L_EUlS1K_E_NS1_11comp_targetILNS1_3genE4ELNS1_11target_archE910ELNS1_3gpuE8ELNS1_3repE0EEENS1_30default_config_static_selectorELNS0_4arch9wavefront6targetE0EEEvSY_.num_vgpr, 0
	.set _ZN7rocprim17ROCPRIM_400000_NS6detail17trampoline_kernelINS0_13select_configILj256ELj13ELNS0_17block_load_methodE3ELS4_3ELS4_3ELNS0_20block_scan_algorithmE0ELj4294967295EEENS1_25partition_config_selectorILNS1_17partition_subalgoE3EjNS0_10empty_typeEbEEZZNS1_14partition_implILS8_3ELb0ES6_jNS0_17counting_iteratorIjlEEPS9_SE_NS0_5tupleIJPjSE_EEENSF_IJSE_SE_EEES9_SG_JZNS1_25segmented_radix_sort_implINS0_14default_configELb0EPKiPiPKlPlN2at6native12_GLOBAL__N_18offset_tEEE10hipError_tPvRmT1_PNSt15iterator_traitsISY_E10value_typeET2_T3_PNSZ_IS14_E10value_typeET4_jRbjT5_S1A_jjP12ihipStream_tbEUljE_EEESV_SW_SX_S14_S18_S1A_T6_T7_T9_mT8_S1C_bDpT10_ENKUlT_T0_E_clISt17integral_constantIbLb1EES1O_IbLb0EEEEDaS1K_S1L_EUlS1K_E_NS1_11comp_targetILNS1_3genE4ELNS1_11target_archE910ELNS1_3gpuE8ELNS1_3repE0EEENS1_30default_config_static_selectorELNS0_4arch9wavefront6targetE0EEEvSY_.num_agpr, 0
	.set _ZN7rocprim17ROCPRIM_400000_NS6detail17trampoline_kernelINS0_13select_configILj256ELj13ELNS0_17block_load_methodE3ELS4_3ELS4_3ELNS0_20block_scan_algorithmE0ELj4294967295EEENS1_25partition_config_selectorILNS1_17partition_subalgoE3EjNS0_10empty_typeEbEEZZNS1_14partition_implILS8_3ELb0ES6_jNS0_17counting_iteratorIjlEEPS9_SE_NS0_5tupleIJPjSE_EEENSF_IJSE_SE_EEES9_SG_JZNS1_25segmented_radix_sort_implINS0_14default_configELb0EPKiPiPKlPlN2at6native12_GLOBAL__N_18offset_tEEE10hipError_tPvRmT1_PNSt15iterator_traitsISY_E10value_typeET2_T3_PNSZ_IS14_E10value_typeET4_jRbjT5_S1A_jjP12ihipStream_tbEUljE_EEESV_SW_SX_S14_S18_S1A_T6_T7_T9_mT8_S1C_bDpT10_ENKUlT_T0_E_clISt17integral_constantIbLb1EES1O_IbLb0EEEEDaS1K_S1L_EUlS1K_E_NS1_11comp_targetILNS1_3genE4ELNS1_11target_archE910ELNS1_3gpuE8ELNS1_3repE0EEENS1_30default_config_static_selectorELNS0_4arch9wavefront6targetE0EEEvSY_.numbered_sgpr, 0
	.set _ZN7rocprim17ROCPRIM_400000_NS6detail17trampoline_kernelINS0_13select_configILj256ELj13ELNS0_17block_load_methodE3ELS4_3ELS4_3ELNS0_20block_scan_algorithmE0ELj4294967295EEENS1_25partition_config_selectorILNS1_17partition_subalgoE3EjNS0_10empty_typeEbEEZZNS1_14partition_implILS8_3ELb0ES6_jNS0_17counting_iteratorIjlEEPS9_SE_NS0_5tupleIJPjSE_EEENSF_IJSE_SE_EEES9_SG_JZNS1_25segmented_radix_sort_implINS0_14default_configELb0EPKiPiPKlPlN2at6native12_GLOBAL__N_18offset_tEEE10hipError_tPvRmT1_PNSt15iterator_traitsISY_E10value_typeET2_T3_PNSZ_IS14_E10value_typeET4_jRbjT5_S1A_jjP12ihipStream_tbEUljE_EEESV_SW_SX_S14_S18_S1A_T6_T7_T9_mT8_S1C_bDpT10_ENKUlT_T0_E_clISt17integral_constantIbLb1EES1O_IbLb0EEEEDaS1K_S1L_EUlS1K_E_NS1_11comp_targetILNS1_3genE4ELNS1_11target_archE910ELNS1_3gpuE8ELNS1_3repE0EEENS1_30default_config_static_selectorELNS0_4arch9wavefront6targetE0EEEvSY_.num_named_barrier, 0
	.set _ZN7rocprim17ROCPRIM_400000_NS6detail17trampoline_kernelINS0_13select_configILj256ELj13ELNS0_17block_load_methodE3ELS4_3ELS4_3ELNS0_20block_scan_algorithmE0ELj4294967295EEENS1_25partition_config_selectorILNS1_17partition_subalgoE3EjNS0_10empty_typeEbEEZZNS1_14partition_implILS8_3ELb0ES6_jNS0_17counting_iteratorIjlEEPS9_SE_NS0_5tupleIJPjSE_EEENSF_IJSE_SE_EEES9_SG_JZNS1_25segmented_radix_sort_implINS0_14default_configELb0EPKiPiPKlPlN2at6native12_GLOBAL__N_18offset_tEEE10hipError_tPvRmT1_PNSt15iterator_traitsISY_E10value_typeET2_T3_PNSZ_IS14_E10value_typeET4_jRbjT5_S1A_jjP12ihipStream_tbEUljE_EEESV_SW_SX_S14_S18_S1A_T6_T7_T9_mT8_S1C_bDpT10_ENKUlT_T0_E_clISt17integral_constantIbLb1EES1O_IbLb0EEEEDaS1K_S1L_EUlS1K_E_NS1_11comp_targetILNS1_3genE4ELNS1_11target_archE910ELNS1_3gpuE8ELNS1_3repE0EEENS1_30default_config_static_selectorELNS0_4arch9wavefront6targetE0EEEvSY_.private_seg_size, 0
	.set _ZN7rocprim17ROCPRIM_400000_NS6detail17trampoline_kernelINS0_13select_configILj256ELj13ELNS0_17block_load_methodE3ELS4_3ELS4_3ELNS0_20block_scan_algorithmE0ELj4294967295EEENS1_25partition_config_selectorILNS1_17partition_subalgoE3EjNS0_10empty_typeEbEEZZNS1_14partition_implILS8_3ELb0ES6_jNS0_17counting_iteratorIjlEEPS9_SE_NS0_5tupleIJPjSE_EEENSF_IJSE_SE_EEES9_SG_JZNS1_25segmented_radix_sort_implINS0_14default_configELb0EPKiPiPKlPlN2at6native12_GLOBAL__N_18offset_tEEE10hipError_tPvRmT1_PNSt15iterator_traitsISY_E10value_typeET2_T3_PNSZ_IS14_E10value_typeET4_jRbjT5_S1A_jjP12ihipStream_tbEUljE_EEESV_SW_SX_S14_S18_S1A_T6_T7_T9_mT8_S1C_bDpT10_ENKUlT_T0_E_clISt17integral_constantIbLb1EES1O_IbLb0EEEEDaS1K_S1L_EUlS1K_E_NS1_11comp_targetILNS1_3genE4ELNS1_11target_archE910ELNS1_3gpuE8ELNS1_3repE0EEENS1_30default_config_static_selectorELNS0_4arch9wavefront6targetE0EEEvSY_.uses_vcc, 0
	.set _ZN7rocprim17ROCPRIM_400000_NS6detail17trampoline_kernelINS0_13select_configILj256ELj13ELNS0_17block_load_methodE3ELS4_3ELS4_3ELNS0_20block_scan_algorithmE0ELj4294967295EEENS1_25partition_config_selectorILNS1_17partition_subalgoE3EjNS0_10empty_typeEbEEZZNS1_14partition_implILS8_3ELb0ES6_jNS0_17counting_iteratorIjlEEPS9_SE_NS0_5tupleIJPjSE_EEENSF_IJSE_SE_EEES9_SG_JZNS1_25segmented_radix_sort_implINS0_14default_configELb0EPKiPiPKlPlN2at6native12_GLOBAL__N_18offset_tEEE10hipError_tPvRmT1_PNSt15iterator_traitsISY_E10value_typeET2_T3_PNSZ_IS14_E10value_typeET4_jRbjT5_S1A_jjP12ihipStream_tbEUljE_EEESV_SW_SX_S14_S18_S1A_T6_T7_T9_mT8_S1C_bDpT10_ENKUlT_T0_E_clISt17integral_constantIbLb1EES1O_IbLb0EEEEDaS1K_S1L_EUlS1K_E_NS1_11comp_targetILNS1_3genE4ELNS1_11target_archE910ELNS1_3gpuE8ELNS1_3repE0EEENS1_30default_config_static_selectorELNS0_4arch9wavefront6targetE0EEEvSY_.uses_flat_scratch, 0
	.set _ZN7rocprim17ROCPRIM_400000_NS6detail17trampoline_kernelINS0_13select_configILj256ELj13ELNS0_17block_load_methodE3ELS4_3ELS4_3ELNS0_20block_scan_algorithmE0ELj4294967295EEENS1_25partition_config_selectorILNS1_17partition_subalgoE3EjNS0_10empty_typeEbEEZZNS1_14partition_implILS8_3ELb0ES6_jNS0_17counting_iteratorIjlEEPS9_SE_NS0_5tupleIJPjSE_EEENSF_IJSE_SE_EEES9_SG_JZNS1_25segmented_radix_sort_implINS0_14default_configELb0EPKiPiPKlPlN2at6native12_GLOBAL__N_18offset_tEEE10hipError_tPvRmT1_PNSt15iterator_traitsISY_E10value_typeET2_T3_PNSZ_IS14_E10value_typeET4_jRbjT5_S1A_jjP12ihipStream_tbEUljE_EEESV_SW_SX_S14_S18_S1A_T6_T7_T9_mT8_S1C_bDpT10_ENKUlT_T0_E_clISt17integral_constantIbLb1EES1O_IbLb0EEEEDaS1K_S1L_EUlS1K_E_NS1_11comp_targetILNS1_3genE4ELNS1_11target_archE910ELNS1_3gpuE8ELNS1_3repE0EEENS1_30default_config_static_selectorELNS0_4arch9wavefront6targetE0EEEvSY_.has_dyn_sized_stack, 0
	.set _ZN7rocprim17ROCPRIM_400000_NS6detail17trampoline_kernelINS0_13select_configILj256ELj13ELNS0_17block_load_methodE3ELS4_3ELS4_3ELNS0_20block_scan_algorithmE0ELj4294967295EEENS1_25partition_config_selectorILNS1_17partition_subalgoE3EjNS0_10empty_typeEbEEZZNS1_14partition_implILS8_3ELb0ES6_jNS0_17counting_iteratorIjlEEPS9_SE_NS0_5tupleIJPjSE_EEENSF_IJSE_SE_EEES9_SG_JZNS1_25segmented_radix_sort_implINS0_14default_configELb0EPKiPiPKlPlN2at6native12_GLOBAL__N_18offset_tEEE10hipError_tPvRmT1_PNSt15iterator_traitsISY_E10value_typeET2_T3_PNSZ_IS14_E10value_typeET4_jRbjT5_S1A_jjP12ihipStream_tbEUljE_EEESV_SW_SX_S14_S18_S1A_T6_T7_T9_mT8_S1C_bDpT10_ENKUlT_T0_E_clISt17integral_constantIbLb1EES1O_IbLb0EEEEDaS1K_S1L_EUlS1K_E_NS1_11comp_targetILNS1_3genE4ELNS1_11target_archE910ELNS1_3gpuE8ELNS1_3repE0EEENS1_30default_config_static_selectorELNS0_4arch9wavefront6targetE0EEEvSY_.has_recursion, 0
	.set _ZN7rocprim17ROCPRIM_400000_NS6detail17trampoline_kernelINS0_13select_configILj256ELj13ELNS0_17block_load_methodE3ELS4_3ELS4_3ELNS0_20block_scan_algorithmE0ELj4294967295EEENS1_25partition_config_selectorILNS1_17partition_subalgoE3EjNS0_10empty_typeEbEEZZNS1_14partition_implILS8_3ELb0ES6_jNS0_17counting_iteratorIjlEEPS9_SE_NS0_5tupleIJPjSE_EEENSF_IJSE_SE_EEES9_SG_JZNS1_25segmented_radix_sort_implINS0_14default_configELb0EPKiPiPKlPlN2at6native12_GLOBAL__N_18offset_tEEE10hipError_tPvRmT1_PNSt15iterator_traitsISY_E10value_typeET2_T3_PNSZ_IS14_E10value_typeET4_jRbjT5_S1A_jjP12ihipStream_tbEUljE_EEESV_SW_SX_S14_S18_S1A_T6_T7_T9_mT8_S1C_bDpT10_ENKUlT_T0_E_clISt17integral_constantIbLb1EES1O_IbLb0EEEEDaS1K_S1L_EUlS1K_E_NS1_11comp_targetILNS1_3genE4ELNS1_11target_archE910ELNS1_3gpuE8ELNS1_3repE0EEENS1_30default_config_static_selectorELNS0_4arch9wavefront6targetE0EEEvSY_.has_indirect_call, 0
	.section	.AMDGPU.csdata,"",@progbits
; Kernel info:
; codeLenInByte = 0
; TotalNumSgprs: 0
; NumVgprs: 0
; ScratchSize: 0
; MemoryBound: 0
; FloatMode: 240
; IeeeMode: 1
; LDSByteSize: 0 bytes/workgroup (compile time only)
; SGPRBlocks: 0
; VGPRBlocks: 0
; NumSGPRsForWavesPerEU: 1
; NumVGPRsForWavesPerEU: 1
; NamedBarCnt: 0
; Occupancy: 16
; WaveLimiterHint : 0
; COMPUTE_PGM_RSRC2:SCRATCH_EN: 0
; COMPUTE_PGM_RSRC2:USER_SGPR: 2
; COMPUTE_PGM_RSRC2:TRAP_HANDLER: 0
; COMPUTE_PGM_RSRC2:TGID_X_EN: 1
; COMPUTE_PGM_RSRC2:TGID_Y_EN: 0
; COMPUTE_PGM_RSRC2:TGID_Z_EN: 0
; COMPUTE_PGM_RSRC2:TIDIG_COMP_CNT: 0
	.section	.text._ZN7rocprim17ROCPRIM_400000_NS6detail17trampoline_kernelINS0_13select_configILj256ELj13ELNS0_17block_load_methodE3ELS4_3ELS4_3ELNS0_20block_scan_algorithmE0ELj4294967295EEENS1_25partition_config_selectorILNS1_17partition_subalgoE3EjNS0_10empty_typeEbEEZZNS1_14partition_implILS8_3ELb0ES6_jNS0_17counting_iteratorIjlEEPS9_SE_NS0_5tupleIJPjSE_EEENSF_IJSE_SE_EEES9_SG_JZNS1_25segmented_radix_sort_implINS0_14default_configELb0EPKiPiPKlPlN2at6native12_GLOBAL__N_18offset_tEEE10hipError_tPvRmT1_PNSt15iterator_traitsISY_E10value_typeET2_T3_PNSZ_IS14_E10value_typeET4_jRbjT5_S1A_jjP12ihipStream_tbEUljE_EEESV_SW_SX_S14_S18_S1A_T6_T7_T9_mT8_S1C_bDpT10_ENKUlT_T0_E_clISt17integral_constantIbLb1EES1O_IbLb0EEEEDaS1K_S1L_EUlS1K_E_NS1_11comp_targetILNS1_3genE3ELNS1_11target_archE908ELNS1_3gpuE7ELNS1_3repE0EEENS1_30default_config_static_selectorELNS0_4arch9wavefront6targetE0EEEvSY_,"axG",@progbits,_ZN7rocprim17ROCPRIM_400000_NS6detail17trampoline_kernelINS0_13select_configILj256ELj13ELNS0_17block_load_methodE3ELS4_3ELS4_3ELNS0_20block_scan_algorithmE0ELj4294967295EEENS1_25partition_config_selectorILNS1_17partition_subalgoE3EjNS0_10empty_typeEbEEZZNS1_14partition_implILS8_3ELb0ES6_jNS0_17counting_iteratorIjlEEPS9_SE_NS0_5tupleIJPjSE_EEENSF_IJSE_SE_EEES9_SG_JZNS1_25segmented_radix_sort_implINS0_14default_configELb0EPKiPiPKlPlN2at6native12_GLOBAL__N_18offset_tEEE10hipError_tPvRmT1_PNSt15iterator_traitsISY_E10value_typeET2_T3_PNSZ_IS14_E10value_typeET4_jRbjT5_S1A_jjP12ihipStream_tbEUljE_EEESV_SW_SX_S14_S18_S1A_T6_T7_T9_mT8_S1C_bDpT10_ENKUlT_T0_E_clISt17integral_constantIbLb1EES1O_IbLb0EEEEDaS1K_S1L_EUlS1K_E_NS1_11comp_targetILNS1_3genE3ELNS1_11target_archE908ELNS1_3gpuE7ELNS1_3repE0EEENS1_30default_config_static_selectorELNS0_4arch9wavefront6targetE0EEEvSY_,comdat
	.globl	_ZN7rocprim17ROCPRIM_400000_NS6detail17trampoline_kernelINS0_13select_configILj256ELj13ELNS0_17block_load_methodE3ELS4_3ELS4_3ELNS0_20block_scan_algorithmE0ELj4294967295EEENS1_25partition_config_selectorILNS1_17partition_subalgoE3EjNS0_10empty_typeEbEEZZNS1_14partition_implILS8_3ELb0ES6_jNS0_17counting_iteratorIjlEEPS9_SE_NS0_5tupleIJPjSE_EEENSF_IJSE_SE_EEES9_SG_JZNS1_25segmented_radix_sort_implINS0_14default_configELb0EPKiPiPKlPlN2at6native12_GLOBAL__N_18offset_tEEE10hipError_tPvRmT1_PNSt15iterator_traitsISY_E10value_typeET2_T3_PNSZ_IS14_E10value_typeET4_jRbjT5_S1A_jjP12ihipStream_tbEUljE_EEESV_SW_SX_S14_S18_S1A_T6_T7_T9_mT8_S1C_bDpT10_ENKUlT_T0_E_clISt17integral_constantIbLb1EES1O_IbLb0EEEEDaS1K_S1L_EUlS1K_E_NS1_11comp_targetILNS1_3genE3ELNS1_11target_archE908ELNS1_3gpuE7ELNS1_3repE0EEENS1_30default_config_static_selectorELNS0_4arch9wavefront6targetE0EEEvSY_ ; -- Begin function _ZN7rocprim17ROCPRIM_400000_NS6detail17trampoline_kernelINS0_13select_configILj256ELj13ELNS0_17block_load_methodE3ELS4_3ELS4_3ELNS0_20block_scan_algorithmE0ELj4294967295EEENS1_25partition_config_selectorILNS1_17partition_subalgoE3EjNS0_10empty_typeEbEEZZNS1_14partition_implILS8_3ELb0ES6_jNS0_17counting_iteratorIjlEEPS9_SE_NS0_5tupleIJPjSE_EEENSF_IJSE_SE_EEES9_SG_JZNS1_25segmented_radix_sort_implINS0_14default_configELb0EPKiPiPKlPlN2at6native12_GLOBAL__N_18offset_tEEE10hipError_tPvRmT1_PNSt15iterator_traitsISY_E10value_typeET2_T3_PNSZ_IS14_E10value_typeET4_jRbjT5_S1A_jjP12ihipStream_tbEUljE_EEESV_SW_SX_S14_S18_S1A_T6_T7_T9_mT8_S1C_bDpT10_ENKUlT_T0_E_clISt17integral_constantIbLb1EES1O_IbLb0EEEEDaS1K_S1L_EUlS1K_E_NS1_11comp_targetILNS1_3genE3ELNS1_11target_archE908ELNS1_3gpuE7ELNS1_3repE0EEENS1_30default_config_static_selectorELNS0_4arch9wavefront6targetE0EEEvSY_
	.p2align	8
	.type	_ZN7rocprim17ROCPRIM_400000_NS6detail17trampoline_kernelINS0_13select_configILj256ELj13ELNS0_17block_load_methodE3ELS4_3ELS4_3ELNS0_20block_scan_algorithmE0ELj4294967295EEENS1_25partition_config_selectorILNS1_17partition_subalgoE3EjNS0_10empty_typeEbEEZZNS1_14partition_implILS8_3ELb0ES6_jNS0_17counting_iteratorIjlEEPS9_SE_NS0_5tupleIJPjSE_EEENSF_IJSE_SE_EEES9_SG_JZNS1_25segmented_radix_sort_implINS0_14default_configELb0EPKiPiPKlPlN2at6native12_GLOBAL__N_18offset_tEEE10hipError_tPvRmT1_PNSt15iterator_traitsISY_E10value_typeET2_T3_PNSZ_IS14_E10value_typeET4_jRbjT5_S1A_jjP12ihipStream_tbEUljE_EEESV_SW_SX_S14_S18_S1A_T6_T7_T9_mT8_S1C_bDpT10_ENKUlT_T0_E_clISt17integral_constantIbLb1EES1O_IbLb0EEEEDaS1K_S1L_EUlS1K_E_NS1_11comp_targetILNS1_3genE3ELNS1_11target_archE908ELNS1_3gpuE7ELNS1_3repE0EEENS1_30default_config_static_selectorELNS0_4arch9wavefront6targetE0EEEvSY_,@function
_ZN7rocprim17ROCPRIM_400000_NS6detail17trampoline_kernelINS0_13select_configILj256ELj13ELNS0_17block_load_methodE3ELS4_3ELS4_3ELNS0_20block_scan_algorithmE0ELj4294967295EEENS1_25partition_config_selectorILNS1_17partition_subalgoE3EjNS0_10empty_typeEbEEZZNS1_14partition_implILS8_3ELb0ES6_jNS0_17counting_iteratorIjlEEPS9_SE_NS0_5tupleIJPjSE_EEENSF_IJSE_SE_EEES9_SG_JZNS1_25segmented_radix_sort_implINS0_14default_configELb0EPKiPiPKlPlN2at6native12_GLOBAL__N_18offset_tEEE10hipError_tPvRmT1_PNSt15iterator_traitsISY_E10value_typeET2_T3_PNSZ_IS14_E10value_typeET4_jRbjT5_S1A_jjP12ihipStream_tbEUljE_EEESV_SW_SX_S14_S18_S1A_T6_T7_T9_mT8_S1C_bDpT10_ENKUlT_T0_E_clISt17integral_constantIbLb1EES1O_IbLb0EEEEDaS1K_S1L_EUlS1K_E_NS1_11comp_targetILNS1_3genE3ELNS1_11target_archE908ELNS1_3gpuE7ELNS1_3repE0EEENS1_30default_config_static_selectorELNS0_4arch9wavefront6targetE0EEEvSY_: ; @_ZN7rocprim17ROCPRIM_400000_NS6detail17trampoline_kernelINS0_13select_configILj256ELj13ELNS0_17block_load_methodE3ELS4_3ELS4_3ELNS0_20block_scan_algorithmE0ELj4294967295EEENS1_25partition_config_selectorILNS1_17partition_subalgoE3EjNS0_10empty_typeEbEEZZNS1_14partition_implILS8_3ELb0ES6_jNS0_17counting_iteratorIjlEEPS9_SE_NS0_5tupleIJPjSE_EEENSF_IJSE_SE_EEES9_SG_JZNS1_25segmented_radix_sort_implINS0_14default_configELb0EPKiPiPKlPlN2at6native12_GLOBAL__N_18offset_tEEE10hipError_tPvRmT1_PNSt15iterator_traitsISY_E10value_typeET2_T3_PNSZ_IS14_E10value_typeET4_jRbjT5_S1A_jjP12ihipStream_tbEUljE_EEESV_SW_SX_S14_S18_S1A_T6_T7_T9_mT8_S1C_bDpT10_ENKUlT_T0_E_clISt17integral_constantIbLb1EES1O_IbLb0EEEEDaS1K_S1L_EUlS1K_E_NS1_11comp_targetILNS1_3genE3ELNS1_11target_archE908ELNS1_3gpuE7ELNS1_3repE0EEENS1_30default_config_static_selectorELNS0_4arch9wavefront6targetE0EEEvSY_
; %bb.0:
	.section	.rodata,"a",@progbits
	.p2align	6, 0x0
	.amdhsa_kernel _ZN7rocprim17ROCPRIM_400000_NS6detail17trampoline_kernelINS0_13select_configILj256ELj13ELNS0_17block_load_methodE3ELS4_3ELS4_3ELNS0_20block_scan_algorithmE0ELj4294967295EEENS1_25partition_config_selectorILNS1_17partition_subalgoE3EjNS0_10empty_typeEbEEZZNS1_14partition_implILS8_3ELb0ES6_jNS0_17counting_iteratorIjlEEPS9_SE_NS0_5tupleIJPjSE_EEENSF_IJSE_SE_EEES9_SG_JZNS1_25segmented_radix_sort_implINS0_14default_configELb0EPKiPiPKlPlN2at6native12_GLOBAL__N_18offset_tEEE10hipError_tPvRmT1_PNSt15iterator_traitsISY_E10value_typeET2_T3_PNSZ_IS14_E10value_typeET4_jRbjT5_S1A_jjP12ihipStream_tbEUljE_EEESV_SW_SX_S14_S18_S1A_T6_T7_T9_mT8_S1C_bDpT10_ENKUlT_T0_E_clISt17integral_constantIbLb1EES1O_IbLb0EEEEDaS1K_S1L_EUlS1K_E_NS1_11comp_targetILNS1_3genE3ELNS1_11target_archE908ELNS1_3gpuE7ELNS1_3repE0EEENS1_30default_config_static_selectorELNS0_4arch9wavefront6targetE0EEEvSY_
		.amdhsa_group_segment_fixed_size 0
		.amdhsa_private_segment_fixed_size 0
		.amdhsa_kernarg_size 144
		.amdhsa_user_sgpr_count 2
		.amdhsa_user_sgpr_dispatch_ptr 0
		.amdhsa_user_sgpr_queue_ptr 0
		.amdhsa_user_sgpr_kernarg_segment_ptr 1
		.amdhsa_user_sgpr_dispatch_id 0
		.amdhsa_user_sgpr_kernarg_preload_length 0
		.amdhsa_user_sgpr_kernarg_preload_offset 0
		.amdhsa_user_sgpr_private_segment_size 0
		.amdhsa_wavefront_size32 1
		.amdhsa_uses_dynamic_stack 0
		.amdhsa_enable_private_segment 0
		.amdhsa_system_sgpr_workgroup_id_x 1
		.amdhsa_system_sgpr_workgroup_id_y 0
		.amdhsa_system_sgpr_workgroup_id_z 0
		.amdhsa_system_sgpr_workgroup_info 0
		.amdhsa_system_vgpr_workitem_id 0
		.amdhsa_next_free_vgpr 1
		.amdhsa_next_free_sgpr 1
		.amdhsa_named_barrier_count 0
		.amdhsa_reserve_vcc 0
		.amdhsa_float_round_mode_32 0
		.amdhsa_float_round_mode_16_64 0
		.amdhsa_float_denorm_mode_32 3
		.amdhsa_float_denorm_mode_16_64 3
		.amdhsa_fp16_overflow 0
		.amdhsa_memory_ordered 1
		.amdhsa_forward_progress 1
		.amdhsa_inst_pref_size 0
		.amdhsa_round_robin_scheduling 0
		.amdhsa_exception_fp_ieee_invalid_op 0
		.amdhsa_exception_fp_denorm_src 0
		.amdhsa_exception_fp_ieee_div_zero 0
		.amdhsa_exception_fp_ieee_overflow 0
		.amdhsa_exception_fp_ieee_underflow 0
		.amdhsa_exception_fp_ieee_inexact 0
		.amdhsa_exception_int_div_zero 0
	.end_amdhsa_kernel
	.section	.text._ZN7rocprim17ROCPRIM_400000_NS6detail17trampoline_kernelINS0_13select_configILj256ELj13ELNS0_17block_load_methodE3ELS4_3ELS4_3ELNS0_20block_scan_algorithmE0ELj4294967295EEENS1_25partition_config_selectorILNS1_17partition_subalgoE3EjNS0_10empty_typeEbEEZZNS1_14partition_implILS8_3ELb0ES6_jNS0_17counting_iteratorIjlEEPS9_SE_NS0_5tupleIJPjSE_EEENSF_IJSE_SE_EEES9_SG_JZNS1_25segmented_radix_sort_implINS0_14default_configELb0EPKiPiPKlPlN2at6native12_GLOBAL__N_18offset_tEEE10hipError_tPvRmT1_PNSt15iterator_traitsISY_E10value_typeET2_T3_PNSZ_IS14_E10value_typeET4_jRbjT5_S1A_jjP12ihipStream_tbEUljE_EEESV_SW_SX_S14_S18_S1A_T6_T7_T9_mT8_S1C_bDpT10_ENKUlT_T0_E_clISt17integral_constantIbLb1EES1O_IbLb0EEEEDaS1K_S1L_EUlS1K_E_NS1_11comp_targetILNS1_3genE3ELNS1_11target_archE908ELNS1_3gpuE7ELNS1_3repE0EEENS1_30default_config_static_selectorELNS0_4arch9wavefront6targetE0EEEvSY_,"axG",@progbits,_ZN7rocprim17ROCPRIM_400000_NS6detail17trampoline_kernelINS0_13select_configILj256ELj13ELNS0_17block_load_methodE3ELS4_3ELS4_3ELNS0_20block_scan_algorithmE0ELj4294967295EEENS1_25partition_config_selectorILNS1_17partition_subalgoE3EjNS0_10empty_typeEbEEZZNS1_14partition_implILS8_3ELb0ES6_jNS0_17counting_iteratorIjlEEPS9_SE_NS0_5tupleIJPjSE_EEENSF_IJSE_SE_EEES9_SG_JZNS1_25segmented_radix_sort_implINS0_14default_configELb0EPKiPiPKlPlN2at6native12_GLOBAL__N_18offset_tEEE10hipError_tPvRmT1_PNSt15iterator_traitsISY_E10value_typeET2_T3_PNSZ_IS14_E10value_typeET4_jRbjT5_S1A_jjP12ihipStream_tbEUljE_EEESV_SW_SX_S14_S18_S1A_T6_T7_T9_mT8_S1C_bDpT10_ENKUlT_T0_E_clISt17integral_constantIbLb1EES1O_IbLb0EEEEDaS1K_S1L_EUlS1K_E_NS1_11comp_targetILNS1_3genE3ELNS1_11target_archE908ELNS1_3gpuE7ELNS1_3repE0EEENS1_30default_config_static_selectorELNS0_4arch9wavefront6targetE0EEEvSY_,comdat
.Lfunc_end583:
	.size	_ZN7rocprim17ROCPRIM_400000_NS6detail17trampoline_kernelINS0_13select_configILj256ELj13ELNS0_17block_load_methodE3ELS4_3ELS4_3ELNS0_20block_scan_algorithmE0ELj4294967295EEENS1_25partition_config_selectorILNS1_17partition_subalgoE3EjNS0_10empty_typeEbEEZZNS1_14partition_implILS8_3ELb0ES6_jNS0_17counting_iteratorIjlEEPS9_SE_NS0_5tupleIJPjSE_EEENSF_IJSE_SE_EEES9_SG_JZNS1_25segmented_radix_sort_implINS0_14default_configELb0EPKiPiPKlPlN2at6native12_GLOBAL__N_18offset_tEEE10hipError_tPvRmT1_PNSt15iterator_traitsISY_E10value_typeET2_T3_PNSZ_IS14_E10value_typeET4_jRbjT5_S1A_jjP12ihipStream_tbEUljE_EEESV_SW_SX_S14_S18_S1A_T6_T7_T9_mT8_S1C_bDpT10_ENKUlT_T0_E_clISt17integral_constantIbLb1EES1O_IbLb0EEEEDaS1K_S1L_EUlS1K_E_NS1_11comp_targetILNS1_3genE3ELNS1_11target_archE908ELNS1_3gpuE7ELNS1_3repE0EEENS1_30default_config_static_selectorELNS0_4arch9wavefront6targetE0EEEvSY_, .Lfunc_end583-_ZN7rocprim17ROCPRIM_400000_NS6detail17trampoline_kernelINS0_13select_configILj256ELj13ELNS0_17block_load_methodE3ELS4_3ELS4_3ELNS0_20block_scan_algorithmE0ELj4294967295EEENS1_25partition_config_selectorILNS1_17partition_subalgoE3EjNS0_10empty_typeEbEEZZNS1_14partition_implILS8_3ELb0ES6_jNS0_17counting_iteratorIjlEEPS9_SE_NS0_5tupleIJPjSE_EEENSF_IJSE_SE_EEES9_SG_JZNS1_25segmented_radix_sort_implINS0_14default_configELb0EPKiPiPKlPlN2at6native12_GLOBAL__N_18offset_tEEE10hipError_tPvRmT1_PNSt15iterator_traitsISY_E10value_typeET2_T3_PNSZ_IS14_E10value_typeET4_jRbjT5_S1A_jjP12ihipStream_tbEUljE_EEESV_SW_SX_S14_S18_S1A_T6_T7_T9_mT8_S1C_bDpT10_ENKUlT_T0_E_clISt17integral_constantIbLb1EES1O_IbLb0EEEEDaS1K_S1L_EUlS1K_E_NS1_11comp_targetILNS1_3genE3ELNS1_11target_archE908ELNS1_3gpuE7ELNS1_3repE0EEENS1_30default_config_static_selectorELNS0_4arch9wavefront6targetE0EEEvSY_
                                        ; -- End function
	.set _ZN7rocprim17ROCPRIM_400000_NS6detail17trampoline_kernelINS0_13select_configILj256ELj13ELNS0_17block_load_methodE3ELS4_3ELS4_3ELNS0_20block_scan_algorithmE0ELj4294967295EEENS1_25partition_config_selectorILNS1_17partition_subalgoE3EjNS0_10empty_typeEbEEZZNS1_14partition_implILS8_3ELb0ES6_jNS0_17counting_iteratorIjlEEPS9_SE_NS0_5tupleIJPjSE_EEENSF_IJSE_SE_EEES9_SG_JZNS1_25segmented_radix_sort_implINS0_14default_configELb0EPKiPiPKlPlN2at6native12_GLOBAL__N_18offset_tEEE10hipError_tPvRmT1_PNSt15iterator_traitsISY_E10value_typeET2_T3_PNSZ_IS14_E10value_typeET4_jRbjT5_S1A_jjP12ihipStream_tbEUljE_EEESV_SW_SX_S14_S18_S1A_T6_T7_T9_mT8_S1C_bDpT10_ENKUlT_T0_E_clISt17integral_constantIbLb1EES1O_IbLb0EEEEDaS1K_S1L_EUlS1K_E_NS1_11comp_targetILNS1_3genE3ELNS1_11target_archE908ELNS1_3gpuE7ELNS1_3repE0EEENS1_30default_config_static_selectorELNS0_4arch9wavefront6targetE0EEEvSY_.num_vgpr, 0
	.set _ZN7rocprim17ROCPRIM_400000_NS6detail17trampoline_kernelINS0_13select_configILj256ELj13ELNS0_17block_load_methodE3ELS4_3ELS4_3ELNS0_20block_scan_algorithmE0ELj4294967295EEENS1_25partition_config_selectorILNS1_17partition_subalgoE3EjNS0_10empty_typeEbEEZZNS1_14partition_implILS8_3ELb0ES6_jNS0_17counting_iteratorIjlEEPS9_SE_NS0_5tupleIJPjSE_EEENSF_IJSE_SE_EEES9_SG_JZNS1_25segmented_radix_sort_implINS0_14default_configELb0EPKiPiPKlPlN2at6native12_GLOBAL__N_18offset_tEEE10hipError_tPvRmT1_PNSt15iterator_traitsISY_E10value_typeET2_T3_PNSZ_IS14_E10value_typeET4_jRbjT5_S1A_jjP12ihipStream_tbEUljE_EEESV_SW_SX_S14_S18_S1A_T6_T7_T9_mT8_S1C_bDpT10_ENKUlT_T0_E_clISt17integral_constantIbLb1EES1O_IbLb0EEEEDaS1K_S1L_EUlS1K_E_NS1_11comp_targetILNS1_3genE3ELNS1_11target_archE908ELNS1_3gpuE7ELNS1_3repE0EEENS1_30default_config_static_selectorELNS0_4arch9wavefront6targetE0EEEvSY_.num_agpr, 0
	.set _ZN7rocprim17ROCPRIM_400000_NS6detail17trampoline_kernelINS0_13select_configILj256ELj13ELNS0_17block_load_methodE3ELS4_3ELS4_3ELNS0_20block_scan_algorithmE0ELj4294967295EEENS1_25partition_config_selectorILNS1_17partition_subalgoE3EjNS0_10empty_typeEbEEZZNS1_14partition_implILS8_3ELb0ES6_jNS0_17counting_iteratorIjlEEPS9_SE_NS0_5tupleIJPjSE_EEENSF_IJSE_SE_EEES9_SG_JZNS1_25segmented_radix_sort_implINS0_14default_configELb0EPKiPiPKlPlN2at6native12_GLOBAL__N_18offset_tEEE10hipError_tPvRmT1_PNSt15iterator_traitsISY_E10value_typeET2_T3_PNSZ_IS14_E10value_typeET4_jRbjT5_S1A_jjP12ihipStream_tbEUljE_EEESV_SW_SX_S14_S18_S1A_T6_T7_T9_mT8_S1C_bDpT10_ENKUlT_T0_E_clISt17integral_constantIbLb1EES1O_IbLb0EEEEDaS1K_S1L_EUlS1K_E_NS1_11comp_targetILNS1_3genE3ELNS1_11target_archE908ELNS1_3gpuE7ELNS1_3repE0EEENS1_30default_config_static_selectorELNS0_4arch9wavefront6targetE0EEEvSY_.numbered_sgpr, 0
	.set _ZN7rocprim17ROCPRIM_400000_NS6detail17trampoline_kernelINS0_13select_configILj256ELj13ELNS0_17block_load_methodE3ELS4_3ELS4_3ELNS0_20block_scan_algorithmE0ELj4294967295EEENS1_25partition_config_selectorILNS1_17partition_subalgoE3EjNS0_10empty_typeEbEEZZNS1_14partition_implILS8_3ELb0ES6_jNS0_17counting_iteratorIjlEEPS9_SE_NS0_5tupleIJPjSE_EEENSF_IJSE_SE_EEES9_SG_JZNS1_25segmented_radix_sort_implINS0_14default_configELb0EPKiPiPKlPlN2at6native12_GLOBAL__N_18offset_tEEE10hipError_tPvRmT1_PNSt15iterator_traitsISY_E10value_typeET2_T3_PNSZ_IS14_E10value_typeET4_jRbjT5_S1A_jjP12ihipStream_tbEUljE_EEESV_SW_SX_S14_S18_S1A_T6_T7_T9_mT8_S1C_bDpT10_ENKUlT_T0_E_clISt17integral_constantIbLb1EES1O_IbLb0EEEEDaS1K_S1L_EUlS1K_E_NS1_11comp_targetILNS1_3genE3ELNS1_11target_archE908ELNS1_3gpuE7ELNS1_3repE0EEENS1_30default_config_static_selectorELNS0_4arch9wavefront6targetE0EEEvSY_.num_named_barrier, 0
	.set _ZN7rocprim17ROCPRIM_400000_NS6detail17trampoline_kernelINS0_13select_configILj256ELj13ELNS0_17block_load_methodE3ELS4_3ELS4_3ELNS0_20block_scan_algorithmE0ELj4294967295EEENS1_25partition_config_selectorILNS1_17partition_subalgoE3EjNS0_10empty_typeEbEEZZNS1_14partition_implILS8_3ELb0ES6_jNS0_17counting_iteratorIjlEEPS9_SE_NS0_5tupleIJPjSE_EEENSF_IJSE_SE_EEES9_SG_JZNS1_25segmented_radix_sort_implINS0_14default_configELb0EPKiPiPKlPlN2at6native12_GLOBAL__N_18offset_tEEE10hipError_tPvRmT1_PNSt15iterator_traitsISY_E10value_typeET2_T3_PNSZ_IS14_E10value_typeET4_jRbjT5_S1A_jjP12ihipStream_tbEUljE_EEESV_SW_SX_S14_S18_S1A_T6_T7_T9_mT8_S1C_bDpT10_ENKUlT_T0_E_clISt17integral_constantIbLb1EES1O_IbLb0EEEEDaS1K_S1L_EUlS1K_E_NS1_11comp_targetILNS1_3genE3ELNS1_11target_archE908ELNS1_3gpuE7ELNS1_3repE0EEENS1_30default_config_static_selectorELNS0_4arch9wavefront6targetE0EEEvSY_.private_seg_size, 0
	.set _ZN7rocprim17ROCPRIM_400000_NS6detail17trampoline_kernelINS0_13select_configILj256ELj13ELNS0_17block_load_methodE3ELS4_3ELS4_3ELNS0_20block_scan_algorithmE0ELj4294967295EEENS1_25partition_config_selectorILNS1_17partition_subalgoE3EjNS0_10empty_typeEbEEZZNS1_14partition_implILS8_3ELb0ES6_jNS0_17counting_iteratorIjlEEPS9_SE_NS0_5tupleIJPjSE_EEENSF_IJSE_SE_EEES9_SG_JZNS1_25segmented_radix_sort_implINS0_14default_configELb0EPKiPiPKlPlN2at6native12_GLOBAL__N_18offset_tEEE10hipError_tPvRmT1_PNSt15iterator_traitsISY_E10value_typeET2_T3_PNSZ_IS14_E10value_typeET4_jRbjT5_S1A_jjP12ihipStream_tbEUljE_EEESV_SW_SX_S14_S18_S1A_T6_T7_T9_mT8_S1C_bDpT10_ENKUlT_T0_E_clISt17integral_constantIbLb1EES1O_IbLb0EEEEDaS1K_S1L_EUlS1K_E_NS1_11comp_targetILNS1_3genE3ELNS1_11target_archE908ELNS1_3gpuE7ELNS1_3repE0EEENS1_30default_config_static_selectorELNS0_4arch9wavefront6targetE0EEEvSY_.uses_vcc, 0
	.set _ZN7rocprim17ROCPRIM_400000_NS6detail17trampoline_kernelINS0_13select_configILj256ELj13ELNS0_17block_load_methodE3ELS4_3ELS4_3ELNS0_20block_scan_algorithmE0ELj4294967295EEENS1_25partition_config_selectorILNS1_17partition_subalgoE3EjNS0_10empty_typeEbEEZZNS1_14partition_implILS8_3ELb0ES6_jNS0_17counting_iteratorIjlEEPS9_SE_NS0_5tupleIJPjSE_EEENSF_IJSE_SE_EEES9_SG_JZNS1_25segmented_radix_sort_implINS0_14default_configELb0EPKiPiPKlPlN2at6native12_GLOBAL__N_18offset_tEEE10hipError_tPvRmT1_PNSt15iterator_traitsISY_E10value_typeET2_T3_PNSZ_IS14_E10value_typeET4_jRbjT5_S1A_jjP12ihipStream_tbEUljE_EEESV_SW_SX_S14_S18_S1A_T6_T7_T9_mT8_S1C_bDpT10_ENKUlT_T0_E_clISt17integral_constantIbLb1EES1O_IbLb0EEEEDaS1K_S1L_EUlS1K_E_NS1_11comp_targetILNS1_3genE3ELNS1_11target_archE908ELNS1_3gpuE7ELNS1_3repE0EEENS1_30default_config_static_selectorELNS0_4arch9wavefront6targetE0EEEvSY_.uses_flat_scratch, 0
	.set _ZN7rocprim17ROCPRIM_400000_NS6detail17trampoline_kernelINS0_13select_configILj256ELj13ELNS0_17block_load_methodE3ELS4_3ELS4_3ELNS0_20block_scan_algorithmE0ELj4294967295EEENS1_25partition_config_selectorILNS1_17partition_subalgoE3EjNS0_10empty_typeEbEEZZNS1_14partition_implILS8_3ELb0ES6_jNS0_17counting_iteratorIjlEEPS9_SE_NS0_5tupleIJPjSE_EEENSF_IJSE_SE_EEES9_SG_JZNS1_25segmented_radix_sort_implINS0_14default_configELb0EPKiPiPKlPlN2at6native12_GLOBAL__N_18offset_tEEE10hipError_tPvRmT1_PNSt15iterator_traitsISY_E10value_typeET2_T3_PNSZ_IS14_E10value_typeET4_jRbjT5_S1A_jjP12ihipStream_tbEUljE_EEESV_SW_SX_S14_S18_S1A_T6_T7_T9_mT8_S1C_bDpT10_ENKUlT_T0_E_clISt17integral_constantIbLb1EES1O_IbLb0EEEEDaS1K_S1L_EUlS1K_E_NS1_11comp_targetILNS1_3genE3ELNS1_11target_archE908ELNS1_3gpuE7ELNS1_3repE0EEENS1_30default_config_static_selectorELNS0_4arch9wavefront6targetE0EEEvSY_.has_dyn_sized_stack, 0
	.set _ZN7rocprim17ROCPRIM_400000_NS6detail17trampoline_kernelINS0_13select_configILj256ELj13ELNS0_17block_load_methodE3ELS4_3ELS4_3ELNS0_20block_scan_algorithmE0ELj4294967295EEENS1_25partition_config_selectorILNS1_17partition_subalgoE3EjNS0_10empty_typeEbEEZZNS1_14partition_implILS8_3ELb0ES6_jNS0_17counting_iteratorIjlEEPS9_SE_NS0_5tupleIJPjSE_EEENSF_IJSE_SE_EEES9_SG_JZNS1_25segmented_radix_sort_implINS0_14default_configELb0EPKiPiPKlPlN2at6native12_GLOBAL__N_18offset_tEEE10hipError_tPvRmT1_PNSt15iterator_traitsISY_E10value_typeET2_T3_PNSZ_IS14_E10value_typeET4_jRbjT5_S1A_jjP12ihipStream_tbEUljE_EEESV_SW_SX_S14_S18_S1A_T6_T7_T9_mT8_S1C_bDpT10_ENKUlT_T0_E_clISt17integral_constantIbLb1EES1O_IbLb0EEEEDaS1K_S1L_EUlS1K_E_NS1_11comp_targetILNS1_3genE3ELNS1_11target_archE908ELNS1_3gpuE7ELNS1_3repE0EEENS1_30default_config_static_selectorELNS0_4arch9wavefront6targetE0EEEvSY_.has_recursion, 0
	.set _ZN7rocprim17ROCPRIM_400000_NS6detail17trampoline_kernelINS0_13select_configILj256ELj13ELNS0_17block_load_methodE3ELS4_3ELS4_3ELNS0_20block_scan_algorithmE0ELj4294967295EEENS1_25partition_config_selectorILNS1_17partition_subalgoE3EjNS0_10empty_typeEbEEZZNS1_14partition_implILS8_3ELb0ES6_jNS0_17counting_iteratorIjlEEPS9_SE_NS0_5tupleIJPjSE_EEENSF_IJSE_SE_EEES9_SG_JZNS1_25segmented_radix_sort_implINS0_14default_configELb0EPKiPiPKlPlN2at6native12_GLOBAL__N_18offset_tEEE10hipError_tPvRmT1_PNSt15iterator_traitsISY_E10value_typeET2_T3_PNSZ_IS14_E10value_typeET4_jRbjT5_S1A_jjP12ihipStream_tbEUljE_EEESV_SW_SX_S14_S18_S1A_T6_T7_T9_mT8_S1C_bDpT10_ENKUlT_T0_E_clISt17integral_constantIbLb1EES1O_IbLb0EEEEDaS1K_S1L_EUlS1K_E_NS1_11comp_targetILNS1_3genE3ELNS1_11target_archE908ELNS1_3gpuE7ELNS1_3repE0EEENS1_30default_config_static_selectorELNS0_4arch9wavefront6targetE0EEEvSY_.has_indirect_call, 0
	.section	.AMDGPU.csdata,"",@progbits
; Kernel info:
; codeLenInByte = 0
; TotalNumSgprs: 0
; NumVgprs: 0
; ScratchSize: 0
; MemoryBound: 0
; FloatMode: 240
; IeeeMode: 1
; LDSByteSize: 0 bytes/workgroup (compile time only)
; SGPRBlocks: 0
; VGPRBlocks: 0
; NumSGPRsForWavesPerEU: 1
; NumVGPRsForWavesPerEU: 1
; NamedBarCnt: 0
; Occupancy: 16
; WaveLimiterHint : 0
; COMPUTE_PGM_RSRC2:SCRATCH_EN: 0
; COMPUTE_PGM_RSRC2:USER_SGPR: 2
; COMPUTE_PGM_RSRC2:TRAP_HANDLER: 0
; COMPUTE_PGM_RSRC2:TGID_X_EN: 1
; COMPUTE_PGM_RSRC2:TGID_Y_EN: 0
; COMPUTE_PGM_RSRC2:TGID_Z_EN: 0
; COMPUTE_PGM_RSRC2:TIDIG_COMP_CNT: 0
	.section	.text._ZN7rocprim17ROCPRIM_400000_NS6detail17trampoline_kernelINS0_13select_configILj256ELj13ELNS0_17block_load_methodE3ELS4_3ELS4_3ELNS0_20block_scan_algorithmE0ELj4294967295EEENS1_25partition_config_selectorILNS1_17partition_subalgoE3EjNS0_10empty_typeEbEEZZNS1_14partition_implILS8_3ELb0ES6_jNS0_17counting_iteratorIjlEEPS9_SE_NS0_5tupleIJPjSE_EEENSF_IJSE_SE_EEES9_SG_JZNS1_25segmented_radix_sort_implINS0_14default_configELb0EPKiPiPKlPlN2at6native12_GLOBAL__N_18offset_tEEE10hipError_tPvRmT1_PNSt15iterator_traitsISY_E10value_typeET2_T3_PNSZ_IS14_E10value_typeET4_jRbjT5_S1A_jjP12ihipStream_tbEUljE_EEESV_SW_SX_S14_S18_S1A_T6_T7_T9_mT8_S1C_bDpT10_ENKUlT_T0_E_clISt17integral_constantIbLb1EES1O_IbLb0EEEEDaS1K_S1L_EUlS1K_E_NS1_11comp_targetILNS1_3genE2ELNS1_11target_archE906ELNS1_3gpuE6ELNS1_3repE0EEENS1_30default_config_static_selectorELNS0_4arch9wavefront6targetE0EEEvSY_,"axG",@progbits,_ZN7rocprim17ROCPRIM_400000_NS6detail17trampoline_kernelINS0_13select_configILj256ELj13ELNS0_17block_load_methodE3ELS4_3ELS4_3ELNS0_20block_scan_algorithmE0ELj4294967295EEENS1_25partition_config_selectorILNS1_17partition_subalgoE3EjNS0_10empty_typeEbEEZZNS1_14partition_implILS8_3ELb0ES6_jNS0_17counting_iteratorIjlEEPS9_SE_NS0_5tupleIJPjSE_EEENSF_IJSE_SE_EEES9_SG_JZNS1_25segmented_radix_sort_implINS0_14default_configELb0EPKiPiPKlPlN2at6native12_GLOBAL__N_18offset_tEEE10hipError_tPvRmT1_PNSt15iterator_traitsISY_E10value_typeET2_T3_PNSZ_IS14_E10value_typeET4_jRbjT5_S1A_jjP12ihipStream_tbEUljE_EEESV_SW_SX_S14_S18_S1A_T6_T7_T9_mT8_S1C_bDpT10_ENKUlT_T0_E_clISt17integral_constantIbLb1EES1O_IbLb0EEEEDaS1K_S1L_EUlS1K_E_NS1_11comp_targetILNS1_3genE2ELNS1_11target_archE906ELNS1_3gpuE6ELNS1_3repE0EEENS1_30default_config_static_selectorELNS0_4arch9wavefront6targetE0EEEvSY_,comdat
	.globl	_ZN7rocprim17ROCPRIM_400000_NS6detail17trampoline_kernelINS0_13select_configILj256ELj13ELNS0_17block_load_methodE3ELS4_3ELS4_3ELNS0_20block_scan_algorithmE0ELj4294967295EEENS1_25partition_config_selectorILNS1_17partition_subalgoE3EjNS0_10empty_typeEbEEZZNS1_14partition_implILS8_3ELb0ES6_jNS0_17counting_iteratorIjlEEPS9_SE_NS0_5tupleIJPjSE_EEENSF_IJSE_SE_EEES9_SG_JZNS1_25segmented_radix_sort_implINS0_14default_configELb0EPKiPiPKlPlN2at6native12_GLOBAL__N_18offset_tEEE10hipError_tPvRmT1_PNSt15iterator_traitsISY_E10value_typeET2_T3_PNSZ_IS14_E10value_typeET4_jRbjT5_S1A_jjP12ihipStream_tbEUljE_EEESV_SW_SX_S14_S18_S1A_T6_T7_T9_mT8_S1C_bDpT10_ENKUlT_T0_E_clISt17integral_constantIbLb1EES1O_IbLb0EEEEDaS1K_S1L_EUlS1K_E_NS1_11comp_targetILNS1_3genE2ELNS1_11target_archE906ELNS1_3gpuE6ELNS1_3repE0EEENS1_30default_config_static_selectorELNS0_4arch9wavefront6targetE0EEEvSY_ ; -- Begin function _ZN7rocprim17ROCPRIM_400000_NS6detail17trampoline_kernelINS0_13select_configILj256ELj13ELNS0_17block_load_methodE3ELS4_3ELS4_3ELNS0_20block_scan_algorithmE0ELj4294967295EEENS1_25partition_config_selectorILNS1_17partition_subalgoE3EjNS0_10empty_typeEbEEZZNS1_14partition_implILS8_3ELb0ES6_jNS0_17counting_iteratorIjlEEPS9_SE_NS0_5tupleIJPjSE_EEENSF_IJSE_SE_EEES9_SG_JZNS1_25segmented_radix_sort_implINS0_14default_configELb0EPKiPiPKlPlN2at6native12_GLOBAL__N_18offset_tEEE10hipError_tPvRmT1_PNSt15iterator_traitsISY_E10value_typeET2_T3_PNSZ_IS14_E10value_typeET4_jRbjT5_S1A_jjP12ihipStream_tbEUljE_EEESV_SW_SX_S14_S18_S1A_T6_T7_T9_mT8_S1C_bDpT10_ENKUlT_T0_E_clISt17integral_constantIbLb1EES1O_IbLb0EEEEDaS1K_S1L_EUlS1K_E_NS1_11comp_targetILNS1_3genE2ELNS1_11target_archE906ELNS1_3gpuE6ELNS1_3repE0EEENS1_30default_config_static_selectorELNS0_4arch9wavefront6targetE0EEEvSY_
	.p2align	8
	.type	_ZN7rocprim17ROCPRIM_400000_NS6detail17trampoline_kernelINS0_13select_configILj256ELj13ELNS0_17block_load_methodE3ELS4_3ELS4_3ELNS0_20block_scan_algorithmE0ELj4294967295EEENS1_25partition_config_selectorILNS1_17partition_subalgoE3EjNS0_10empty_typeEbEEZZNS1_14partition_implILS8_3ELb0ES6_jNS0_17counting_iteratorIjlEEPS9_SE_NS0_5tupleIJPjSE_EEENSF_IJSE_SE_EEES9_SG_JZNS1_25segmented_radix_sort_implINS0_14default_configELb0EPKiPiPKlPlN2at6native12_GLOBAL__N_18offset_tEEE10hipError_tPvRmT1_PNSt15iterator_traitsISY_E10value_typeET2_T3_PNSZ_IS14_E10value_typeET4_jRbjT5_S1A_jjP12ihipStream_tbEUljE_EEESV_SW_SX_S14_S18_S1A_T6_T7_T9_mT8_S1C_bDpT10_ENKUlT_T0_E_clISt17integral_constantIbLb1EES1O_IbLb0EEEEDaS1K_S1L_EUlS1K_E_NS1_11comp_targetILNS1_3genE2ELNS1_11target_archE906ELNS1_3gpuE6ELNS1_3repE0EEENS1_30default_config_static_selectorELNS0_4arch9wavefront6targetE0EEEvSY_,@function
_ZN7rocprim17ROCPRIM_400000_NS6detail17trampoline_kernelINS0_13select_configILj256ELj13ELNS0_17block_load_methodE3ELS4_3ELS4_3ELNS0_20block_scan_algorithmE0ELj4294967295EEENS1_25partition_config_selectorILNS1_17partition_subalgoE3EjNS0_10empty_typeEbEEZZNS1_14partition_implILS8_3ELb0ES6_jNS0_17counting_iteratorIjlEEPS9_SE_NS0_5tupleIJPjSE_EEENSF_IJSE_SE_EEES9_SG_JZNS1_25segmented_radix_sort_implINS0_14default_configELb0EPKiPiPKlPlN2at6native12_GLOBAL__N_18offset_tEEE10hipError_tPvRmT1_PNSt15iterator_traitsISY_E10value_typeET2_T3_PNSZ_IS14_E10value_typeET4_jRbjT5_S1A_jjP12ihipStream_tbEUljE_EEESV_SW_SX_S14_S18_S1A_T6_T7_T9_mT8_S1C_bDpT10_ENKUlT_T0_E_clISt17integral_constantIbLb1EES1O_IbLb0EEEEDaS1K_S1L_EUlS1K_E_NS1_11comp_targetILNS1_3genE2ELNS1_11target_archE906ELNS1_3gpuE6ELNS1_3repE0EEENS1_30default_config_static_selectorELNS0_4arch9wavefront6targetE0EEEvSY_: ; @_ZN7rocprim17ROCPRIM_400000_NS6detail17trampoline_kernelINS0_13select_configILj256ELj13ELNS0_17block_load_methodE3ELS4_3ELS4_3ELNS0_20block_scan_algorithmE0ELj4294967295EEENS1_25partition_config_selectorILNS1_17partition_subalgoE3EjNS0_10empty_typeEbEEZZNS1_14partition_implILS8_3ELb0ES6_jNS0_17counting_iteratorIjlEEPS9_SE_NS0_5tupleIJPjSE_EEENSF_IJSE_SE_EEES9_SG_JZNS1_25segmented_radix_sort_implINS0_14default_configELb0EPKiPiPKlPlN2at6native12_GLOBAL__N_18offset_tEEE10hipError_tPvRmT1_PNSt15iterator_traitsISY_E10value_typeET2_T3_PNSZ_IS14_E10value_typeET4_jRbjT5_S1A_jjP12ihipStream_tbEUljE_EEESV_SW_SX_S14_S18_S1A_T6_T7_T9_mT8_S1C_bDpT10_ENKUlT_T0_E_clISt17integral_constantIbLb1EES1O_IbLb0EEEEDaS1K_S1L_EUlS1K_E_NS1_11comp_targetILNS1_3genE2ELNS1_11target_archE906ELNS1_3gpuE6ELNS1_3repE0EEENS1_30default_config_static_selectorELNS0_4arch9wavefront6targetE0EEEvSY_
; %bb.0:
	.section	.rodata,"a",@progbits
	.p2align	6, 0x0
	.amdhsa_kernel _ZN7rocprim17ROCPRIM_400000_NS6detail17trampoline_kernelINS0_13select_configILj256ELj13ELNS0_17block_load_methodE3ELS4_3ELS4_3ELNS0_20block_scan_algorithmE0ELj4294967295EEENS1_25partition_config_selectorILNS1_17partition_subalgoE3EjNS0_10empty_typeEbEEZZNS1_14partition_implILS8_3ELb0ES6_jNS0_17counting_iteratorIjlEEPS9_SE_NS0_5tupleIJPjSE_EEENSF_IJSE_SE_EEES9_SG_JZNS1_25segmented_radix_sort_implINS0_14default_configELb0EPKiPiPKlPlN2at6native12_GLOBAL__N_18offset_tEEE10hipError_tPvRmT1_PNSt15iterator_traitsISY_E10value_typeET2_T3_PNSZ_IS14_E10value_typeET4_jRbjT5_S1A_jjP12ihipStream_tbEUljE_EEESV_SW_SX_S14_S18_S1A_T6_T7_T9_mT8_S1C_bDpT10_ENKUlT_T0_E_clISt17integral_constantIbLb1EES1O_IbLb0EEEEDaS1K_S1L_EUlS1K_E_NS1_11comp_targetILNS1_3genE2ELNS1_11target_archE906ELNS1_3gpuE6ELNS1_3repE0EEENS1_30default_config_static_selectorELNS0_4arch9wavefront6targetE0EEEvSY_
		.amdhsa_group_segment_fixed_size 0
		.amdhsa_private_segment_fixed_size 0
		.amdhsa_kernarg_size 144
		.amdhsa_user_sgpr_count 2
		.amdhsa_user_sgpr_dispatch_ptr 0
		.amdhsa_user_sgpr_queue_ptr 0
		.amdhsa_user_sgpr_kernarg_segment_ptr 1
		.amdhsa_user_sgpr_dispatch_id 0
		.amdhsa_user_sgpr_kernarg_preload_length 0
		.amdhsa_user_sgpr_kernarg_preload_offset 0
		.amdhsa_user_sgpr_private_segment_size 0
		.amdhsa_wavefront_size32 1
		.amdhsa_uses_dynamic_stack 0
		.amdhsa_enable_private_segment 0
		.amdhsa_system_sgpr_workgroup_id_x 1
		.amdhsa_system_sgpr_workgroup_id_y 0
		.amdhsa_system_sgpr_workgroup_id_z 0
		.amdhsa_system_sgpr_workgroup_info 0
		.amdhsa_system_vgpr_workitem_id 0
		.amdhsa_next_free_vgpr 1
		.amdhsa_next_free_sgpr 1
		.amdhsa_named_barrier_count 0
		.amdhsa_reserve_vcc 0
		.amdhsa_float_round_mode_32 0
		.amdhsa_float_round_mode_16_64 0
		.amdhsa_float_denorm_mode_32 3
		.amdhsa_float_denorm_mode_16_64 3
		.amdhsa_fp16_overflow 0
		.amdhsa_memory_ordered 1
		.amdhsa_forward_progress 1
		.amdhsa_inst_pref_size 0
		.amdhsa_round_robin_scheduling 0
		.amdhsa_exception_fp_ieee_invalid_op 0
		.amdhsa_exception_fp_denorm_src 0
		.amdhsa_exception_fp_ieee_div_zero 0
		.amdhsa_exception_fp_ieee_overflow 0
		.amdhsa_exception_fp_ieee_underflow 0
		.amdhsa_exception_fp_ieee_inexact 0
		.amdhsa_exception_int_div_zero 0
	.end_amdhsa_kernel
	.section	.text._ZN7rocprim17ROCPRIM_400000_NS6detail17trampoline_kernelINS0_13select_configILj256ELj13ELNS0_17block_load_methodE3ELS4_3ELS4_3ELNS0_20block_scan_algorithmE0ELj4294967295EEENS1_25partition_config_selectorILNS1_17partition_subalgoE3EjNS0_10empty_typeEbEEZZNS1_14partition_implILS8_3ELb0ES6_jNS0_17counting_iteratorIjlEEPS9_SE_NS0_5tupleIJPjSE_EEENSF_IJSE_SE_EEES9_SG_JZNS1_25segmented_radix_sort_implINS0_14default_configELb0EPKiPiPKlPlN2at6native12_GLOBAL__N_18offset_tEEE10hipError_tPvRmT1_PNSt15iterator_traitsISY_E10value_typeET2_T3_PNSZ_IS14_E10value_typeET4_jRbjT5_S1A_jjP12ihipStream_tbEUljE_EEESV_SW_SX_S14_S18_S1A_T6_T7_T9_mT8_S1C_bDpT10_ENKUlT_T0_E_clISt17integral_constantIbLb1EES1O_IbLb0EEEEDaS1K_S1L_EUlS1K_E_NS1_11comp_targetILNS1_3genE2ELNS1_11target_archE906ELNS1_3gpuE6ELNS1_3repE0EEENS1_30default_config_static_selectorELNS0_4arch9wavefront6targetE0EEEvSY_,"axG",@progbits,_ZN7rocprim17ROCPRIM_400000_NS6detail17trampoline_kernelINS0_13select_configILj256ELj13ELNS0_17block_load_methodE3ELS4_3ELS4_3ELNS0_20block_scan_algorithmE0ELj4294967295EEENS1_25partition_config_selectorILNS1_17partition_subalgoE3EjNS0_10empty_typeEbEEZZNS1_14partition_implILS8_3ELb0ES6_jNS0_17counting_iteratorIjlEEPS9_SE_NS0_5tupleIJPjSE_EEENSF_IJSE_SE_EEES9_SG_JZNS1_25segmented_radix_sort_implINS0_14default_configELb0EPKiPiPKlPlN2at6native12_GLOBAL__N_18offset_tEEE10hipError_tPvRmT1_PNSt15iterator_traitsISY_E10value_typeET2_T3_PNSZ_IS14_E10value_typeET4_jRbjT5_S1A_jjP12ihipStream_tbEUljE_EEESV_SW_SX_S14_S18_S1A_T6_T7_T9_mT8_S1C_bDpT10_ENKUlT_T0_E_clISt17integral_constantIbLb1EES1O_IbLb0EEEEDaS1K_S1L_EUlS1K_E_NS1_11comp_targetILNS1_3genE2ELNS1_11target_archE906ELNS1_3gpuE6ELNS1_3repE0EEENS1_30default_config_static_selectorELNS0_4arch9wavefront6targetE0EEEvSY_,comdat
.Lfunc_end584:
	.size	_ZN7rocprim17ROCPRIM_400000_NS6detail17trampoline_kernelINS0_13select_configILj256ELj13ELNS0_17block_load_methodE3ELS4_3ELS4_3ELNS0_20block_scan_algorithmE0ELj4294967295EEENS1_25partition_config_selectorILNS1_17partition_subalgoE3EjNS0_10empty_typeEbEEZZNS1_14partition_implILS8_3ELb0ES6_jNS0_17counting_iteratorIjlEEPS9_SE_NS0_5tupleIJPjSE_EEENSF_IJSE_SE_EEES9_SG_JZNS1_25segmented_radix_sort_implINS0_14default_configELb0EPKiPiPKlPlN2at6native12_GLOBAL__N_18offset_tEEE10hipError_tPvRmT1_PNSt15iterator_traitsISY_E10value_typeET2_T3_PNSZ_IS14_E10value_typeET4_jRbjT5_S1A_jjP12ihipStream_tbEUljE_EEESV_SW_SX_S14_S18_S1A_T6_T7_T9_mT8_S1C_bDpT10_ENKUlT_T0_E_clISt17integral_constantIbLb1EES1O_IbLb0EEEEDaS1K_S1L_EUlS1K_E_NS1_11comp_targetILNS1_3genE2ELNS1_11target_archE906ELNS1_3gpuE6ELNS1_3repE0EEENS1_30default_config_static_selectorELNS0_4arch9wavefront6targetE0EEEvSY_, .Lfunc_end584-_ZN7rocprim17ROCPRIM_400000_NS6detail17trampoline_kernelINS0_13select_configILj256ELj13ELNS0_17block_load_methodE3ELS4_3ELS4_3ELNS0_20block_scan_algorithmE0ELj4294967295EEENS1_25partition_config_selectorILNS1_17partition_subalgoE3EjNS0_10empty_typeEbEEZZNS1_14partition_implILS8_3ELb0ES6_jNS0_17counting_iteratorIjlEEPS9_SE_NS0_5tupleIJPjSE_EEENSF_IJSE_SE_EEES9_SG_JZNS1_25segmented_radix_sort_implINS0_14default_configELb0EPKiPiPKlPlN2at6native12_GLOBAL__N_18offset_tEEE10hipError_tPvRmT1_PNSt15iterator_traitsISY_E10value_typeET2_T3_PNSZ_IS14_E10value_typeET4_jRbjT5_S1A_jjP12ihipStream_tbEUljE_EEESV_SW_SX_S14_S18_S1A_T6_T7_T9_mT8_S1C_bDpT10_ENKUlT_T0_E_clISt17integral_constantIbLb1EES1O_IbLb0EEEEDaS1K_S1L_EUlS1K_E_NS1_11comp_targetILNS1_3genE2ELNS1_11target_archE906ELNS1_3gpuE6ELNS1_3repE0EEENS1_30default_config_static_selectorELNS0_4arch9wavefront6targetE0EEEvSY_
                                        ; -- End function
	.set _ZN7rocprim17ROCPRIM_400000_NS6detail17trampoline_kernelINS0_13select_configILj256ELj13ELNS0_17block_load_methodE3ELS4_3ELS4_3ELNS0_20block_scan_algorithmE0ELj4294967295EEENS1_25partition_config_selectorILNS1_17partition_subalgoE3EjNS0_10empty_typeEbEEZZNS1_14partition_implILS8_3ELb0ES6_jNS0_17counting_iteratorIjlEEPS9_SE_NS0_5tupleIJPjSE_EEENSF_IJSE_SE_EEES9_SG_JZNS1_25segmented_radix_sort_implINS0_14default_configELb0EPKiPiPKlPlN2at6native12_GLOBAL__N_18offset_tEEE10hipError_tPvRmT1_PNSt15iterator_traitsISY_E10value_typeET2_T3_PNSZ_IS14_E10value_typeET4_jRbjT5_S1A_jjP12ihipStream_tbEUljE_EEESV_SW_SX_S14_S18_S1A_T6_T7_T9_mT8_S1C_bDpT10_ENKUlT_T0_E_clISt17integral_constantIbLb1EES1O_IbLb0EEEEDaS1K_S1L_EUlS1K_E_NS1_11comp_targetILNS1_3genE2ELNS1_11target_archE906ELNS1_3gpuE6ELNS1_3repE0EEENS1_30default_config_static_selectorELNS0_4arch9wavefront6targetE0EEEvSY_.num_vgpr, 0
	.set _ZN7rocprim17ROCPRIM_400000_NS6detail17trampoline_kernelINS0_13select_configILj256ELj13ELNS0_17block_load_methodE3ELS4_3ELS4_3ELNS0_20block_scan_algorithmE0ELj4294967295EEENS1_25partition_config_selectorILNS1_17partition_subalgoE3EjNS0_10empty_typeEbEEZZNS1_14partition_implILS8_3ELb0ES6_jNS0_17counting_iteratorIjlEEPS9_SE_NS0_5tupleIJPjSE_EEENSF_IJSE_SE_EEES9_SG_JZNS1_25segmented_radix_sort_implINS0_14default_configELb0EPKiPiPKlPlN2at6native12_GLOBAL__N_18offset_tEEE10hipError_tPvRmT1_PNSt15iterator_traitsISY_E10value_typeET2_T3_PNSZ_IS14_E10value_typeET4_jRbjT5_S1A_jjP12ihipStream_tbEUljE_EEESV_SW_SX_S14_S18_S1A_T6_T7_T9_mT8_S1C_bDpT10_ENKUlT_T0_E_clISt17integral_constantIbLb1EES1O_IbLb0EEEEDaS1K_S1L_EUlS1K_E_NS1_11comp_targetILNS1_3genE2ELNS1_11target_archE906ELNS1_3gpuE6ELNS1_3repE0EEENS1_30default_config_static_selectorELNS0_4arch9wavefront6targetE0EEEvSY_.num_agpr, 0
	.set _ZN7rocprim17ROCPRIM_400000_NS6detail17trampoline_kernelINS0_13select_configILj256ELj13ELNS0_17block_load_methodE3ELS4_3ELS4_3ELNS0_20block_scan_algorithmE0ELj4294967295EEENS1_25partition_config_selectorILNS1_17partition_subalgoE3EjNS0_10empty_typeEbEEZZNS1_14partition_implILS8_3ELb0ES6_jNS0_17counting_iteratorIjlEEPS9_SE_NS0_5tupleIJPjSE_EEENSF_IJSE_SE_EEES9_SG_JZNS1_25segmented_radix_sort_implINS0_14default_configELb0EPKiPiPKlPlN2at6native12_GLOBAL__N_18offset_tEEE10hipError_tPvRmT1_PNSt15iterator_traitsISY_E10value_typeET2_T3_PNSZ_IS14_E10value_typeET4_jRbjT5_S1A_jjP12ihipStream_tbEUljE_EEESV_SW_SX_S14_S18_S1A_T6_T7_T9_mT8_S1C_bDpT10_ENKUlT_T0_E_clISt17integral_constantIbLb1EES1O_IbLb0EEEEDaS1K_S1L_EUlS1K_E_NS1_11comp_targetILNS1_3genE2ELNS1_11target_archE906ELNS1_3gpuE6ELNS1_3repE0EEENS1_30default_config_static_selectorELNS0_4arch9wavefront6targetE0EEEvSY_.numbered_sgpr, 0
	.set _ZN7rocprim17ROCPRIM_400000_NS6detail17trampoline_kernelINS0_13select_configILj256ELj13ELNS0_17block_load_methodE3ELS4_3ELS4_3ELNS0_20block_scan_algorithmE0ELj4294967295EEENS1_25partition_config_selectorILNS1_17partition_subalgoE3EjNS0_10empty_typeEbEEZZNS1_14partition_implILS8_3ELb0ES6_jNS0_17counting_iteratorIjlEEPS9_SE_NS0_5tupleIJPjSE_EEENSF_IJSE_SE_EEES9_SG_JZNS1_25segmented_radix_sort_implINS0_14default_configELb0EPKiPiPKlPlN2at6native12_GLOBAL__N_18offset_tEEE10hipError_tPvRmT1_PNSt15iterator_traitsISY_E10value_typeET2_T3_PNSZ_IS14_E10value_typeET4_jRbjT5_S1A_jjP12ihipStream_tbEUljE_EEESV_SW_SX_S14_S18_S1A_T6_T7_T9_mT8_S1C_bDpT10_ENKUlT_T0_E_clISt17integral_constantIbLb1EES1O_IbLb0EEEEDaS1K_S1L_EUlS1K_E_NS1_11comp_targetILNS1_3genE2ELNS1_11target_archE906ELNS1_3gpuE6ELNS1_3repE0EEENS1_30default_config_static_selectorELNS0_4arch9wavefront6targetE0EEEvSY_.num_named_barrier, 0
	.set _ZN7rocprim17ROCPRIM_400000_NS6detail17trampoline_kernelINS0_13select_configILj256ELj13ELNS0_17block_load_methodE3ELS4_3ELS4_3ELNS0_20block_scan_algorithmE0ELj4294967295EEENS1_25partition_config_selectorILNS1_17partition_subalgoE3EjNS0_10empty_typeEbEEZZNS1_14partition_implILS8_3ELb0ES6_jNS0_17counting_iteratorIjlEEPS9_SE_NS0_5tupleIJPjSE_EEENSF_IJSE_SE_EEES9_SG_JZNS1_25segmented_radix_sort_implINS0_14default_configELb0EPKiPiPKlPlN2at6native12_GLOBAL__N_18offset_tEEE10hipError_tPvRmT1_PNSt15iterator_traitsISY_E10value_typeET2_T3_PNSZ_IS14_E10value_typeET4_jRbjT5_S1A_jjP12ihipStream_tbEUljE_EEESV_SW_SX_S14_S18_S1A_T6_T7_T9_mT8_S1C_bDpT10_ENKUlT_T0_E_clISt17integral_constantIbLb1EES1O_IbLb0EEEEDaS1K_S1L_EUlS1K_E_NS1_11comp_targetILNS1_3genE2ELNS1_11target_archE906ELNS1_3gpuE6ELNS1_3repE0EEENS1_30default_config_static_selectorELNS0_4arch9wavefront6targetE0EEEvSY_.private_seg_size, 0
	.set _ZN7rocprim17ROCPRIM_400000_NS6detail17trampoline_kernelINS0_13select_configILj256ELj13ELNS0_17block_load_methodE3ELS4_3ELS4_3ELNS0_20block_scan_algorithmE0ELj4294967295EEENS1_25partition_config_selectorILNS1_17partition_subalgoE3EjNS0_10empty_typeEbEEZZNS1_14partition_implILS8_3ELb0ES6_jNS0_17counting_iteratorIjlEEPS9_SE_NS0_5tupleIJPjSE_EEENSF_IJSE_SE_EEES9_SG_JZNS1_25segmented_radix_sort_implINS0_14default_configELb0EPKiPiPKlPlN2at6native12_GLOBAL__N_18offset_tEEE10hipError_tPvRmT1_PNSt15iterator_traitsISY_E10value_typeET2_T3_PNSZ_IS14_E10value_typeET4_jRbjT5_S1A_jjP12ihipStream_tbEUljE_EEESV_SW_SX_S14_S18_S1A_T6_T7_T9_mT8_S1C_bDpT10_ENKUlT_T0_E_clISt17integral_constantIbLb1EES1O_IbLb0EEEEDaS1K_S1L_EUlS1K_E_NS1_11comp_targetILNS1_3genE2ELNS1_11target_archE906ELNS1_3gpuE6ELNS1_3repE0EEENS1_30default_config_static_selectorELNS0_4arch9wavefront6targetE0EEEvSY_.uses_vcc, 0
	.set _ZN7rocprim17ROCPRIM_400000_NS6detail17trampoline_kernelINS0_13select_configILj256ELj13ELNS0_17block_load_methodE3ELS4_3ELS4_3ELNS0_20block_scan_algorithmE0ELj4294967295EEENS1_25partition_config_selectorILNS1_17partition_subalgoE3EjNS0_10empty_typeEbEEZZNS1_14partition_implILS8_3ELb0ES6_jNS0_17counting_iteratorIjlEEPS9_SE_NS0_5tupleIJPjSE_EEENSF_IJSE_SE_EEES9_SG_JZNS1_25segmented_radix_sort_implINS0_14default_configELb0EPKiPiPKlPlN2at6native12_GLOBAL__N_18offset_tEEE10hipError_tPvRmT1_PNSt15iterator_traitsISY_E10value_typeET2_T3_PNSZ_IS14_E10value_typeET4_jRbjT5_S1A_jjP12ihipStream_tbEUljE_EEESV_SW_SX_S14_S18_S1A_T6_T7_T9_mT8_S1C_bDpT10_ENKUlT_T0_E_clISt17integral_constantIbLb1EES1O_IbLb0EEEEDaS1K_S1L_EUlS1K_E_NS1_11comp_targetILNS1_3genE2ELNS1_11target_archE906ELNS1_3gpuE6ELNS1_3repE0EEENS1_30default_config_static_selectorELNS0_4arch9wavefront6targetE0EEEvSY_.uses_flat_scratch, 0
	.set _ZN7rocprim17ROCPRIM_400000_NS6detail17trampoline_kernelINS0_13select_configILj256ELj13ELNS0_17block_load_methodE3ELS4_3ELS4_3ELNS0_20block_scan_algorithmE0ELj4294967295EEENS1_25partition_config_selectorILNS1_17partition_subalgoE3EjNS0_10empty_typeEbEEZZNS1_14partition_implILS8_3ELb0ES6_jNS0_17counting_iteratorIjlEEPS9_SE_NS0_5tupleIJPjSE_EEENSF_IJSE_SE_EEES9_SG_JZNS1_25segmented_radix_sort_implINS0_14default_configELb0EPKiPiPKlPlN2at6native12_GLOBAL__N_18offset_tEEE10hipError_tPvRmT1_PNSt15iterator_traitsISY_E10value_typeET2_T3_PNSZ_IS14_E10value_typeET4_jRbjT5_S1A_jjP12ihipStream_tbEUljE_EEESV_SW_SX_S14_S18_S1A_T6_T7_T9_mT8_S1C_bDpT10_ENKUlT_T0_E_clISt17integral_constantIbLb1EES1O_IbLb0EEEEDaS1K_S1L_EUlS1K_E_NS1_11comp_targetILNS1_3genE2ELNS1_11target_archE906ELNS1_3gpuE6ELNS1_3repE0EEENS1_30default_config_static_selectorELNS0_4arch9wavefront6targetE0EEEvSY_.has_dyn_sized_stack, 0
	.set _ZN7rocprim17ROCPRIM_400000_NS6detail17trampoline_kernelINS0_13select_configILj256ELj13ELNS0_17block_load_methodE3ELS4_3ELS4_3ELNS0_20block_scan_algorithmE0ELj4294967295EEENS1_25partition_config_selectorILNS1_17partition_subalgoE3EjNS0_10empty_typeEbEEZZNS1_14partition_implILS8_3ELb0ES6_jNS0_17counting_iteratorIjlEEPS9_SE_NS0_5tupleIJPjSE_EEENSF_IJSE_SE_EEES9_SG_JZNS1_25segmented_radix_sort_implINS0_14default_configELb0EPKiPiPKlPlN2at6native12_GLOBAL__N_18offset_tEEE10hipError_tPvRmT1_PNSt15iterator_traitsISY_E10value_typeET2_T3_PNSZ_IS14_E10value_typeET4_jRbjT5_S1A_jjP12ihipStream_tbEUljE_EEESV_SW_SX_S14_S18_S1A_T6_T7_T9_mT8_S1C_bDpT10_ENKUlT_T0_E_clISt17integral_constantIbLb1EES1O_IbLb0EEEEDaS1K_S1L_EUlS1K_E_NS1_11comp_targetILNS1_3genE2ELNS1_11target_archE906ELNS1_3gpuE6ELNS1_3repE0EEENS1_30default_config_static_selectorELNS0_4arch9wavefront6targetE0EEEvSY_.has_recursion, 0
	.set _ZN7rocprim17ROCPRIM_400000_NS6detail17trampoline_kernelINS0_13select_configILj256ELj13ELNS0_17block_load_methodE3ELS4_3ELS4_3ELNS0_20block_scan_algorithmE0ELj4294967295EEENS1_25partition_config_selectorILNS1_17partition_subalgoE3EjNS0_10empty_typeEbEEZZNS1_14partition_implILS8_3ELb0ES6_jNS0_17counting_iteratorIjlEEPS9_SE_NS0_5tupleIJPjSE_EEENSF_IJSE_SE_EEES9_SG_JZNS1_25segmented_radix_sort_implINS0_14default_configELb0EPKiPiPKlPlN2at6native12_GLOBAL__N_18offset_tEEE10hipError_tPvRmT1_PNSt15iterator_traitsISY_E10value_typeET2_T3_PNSZ_IS14_E10value_typeET4_jRbjT5_S1A_jjP12ihipStream_tbEUljE_EEESV_SW_SX_S14_S18_S1A_T6_T7_T9_mT8_S1C_bDpT10_ENKUlT_T0_E_clISt17integral_constantIbLb1EES1O_IbLb0EEEEDaS1K_S1L_EUlS1K_E_NS1_11comp_targetILNS1_3genE2ELNS1_11target_archE906ELNS1_3gpuE6ELNS1_3repE0EEENS1_30default_config_static_selectorELNS0_4arch9wavefront6targetE0EEEvSY_.has_indirect_call, 0
	.section	.AMDGPU.csdata,"",@progbits
; Kernel info:
; codeLenInByte = 0
; TotalNumSgprs: 0
; NumVgprs: 0
; ScratchSize: 0
; MemoryBound: 0
; FloatMode: 240
; IeeeMode: 1
; LDSByteSize: 0 bytes/workgroup (compile time only)
; SGPRBlocks: 0
; VGPRBlocks: 0
; NumSGPRsForWavesPerEU: 1
; NumVGPRsForWavesPerEU: 1
; NamedBarCnt: 0
; Occupancy: 16
; WaveLimiterHint : 0
; COMPUTE_PGM_RSRC2:SCRATCH_EN: 0
; COMPUTE_PGM_RSRC2:USER_SGPR: 2
; COMPUTE_PGM_RSRC2:TRAP_HANDLER: 0
; COMPUTE_PGM_RSRC2:TGID_X_EN: 1
; COMPUTE_PGM_RSRC2:TGID_Y_EN: 0
; COMPUTE_PGM_RSRC2:TGID_Z_EN: 0
; COMPUTE_PGM_RSRC2:TIDIG_COMP_CNT: 0
	.section	.text._ZN7rocprim17ROCPRIM_400000_NS6detail17trampoline_kernelINS0_13select_configILj256ELj13ELNS0_17block_load_methodE3ELS4_3ELS4_3ELNS0_20block_scan_algorithmE0ELj4294967295EEENS1_25partition_config_selectorILNS1_17partition_subalgoE3EjNS0_10empty_typeEbEEZZNS1_14partition_implILS8_3ELb0ES6_jNS0_17counting_iteratorIjlEEPS9_SE_NS0_5tupleIJPjSE_EEENSF_IJSE_SE_EEES9_SG_JZNS1_25segmented_radix_sort_implINS0_14default_configELb0EPKiPiPKlPlN2at6native12_GLOBAL__N_18offset_tEEE10hipError_tPvRmT1_PNSt15iterator_traitsISY_E10value_typeET2_T3_PNSZ_IS14_E10value_typeET4_jRbjT5_S1A_jjP12ihipStream_tbEUljE_EEESV_SW_SX_S14_S18_S1A_T6_T7_T9_mT8_S1C_bDpT10_ENKUlT_T0_E_clISt17integral_constantIbLb1EES1O_IbLb0EEEEDaS1K_S1L_EUlS1K_E_NS1_11comp_targetILNS1_3genE10ELNS1_11target_archE1200ELNS1_3gpuE4ELNS1_3repE0EEENS1_30default_config_static_selectorELNS0_4arch9wavefront6targetE0EEEvSY_,"axG",@progbits,_ZN7rocprim17ROCPRIM_400000_NS6detail17trampoline_kernelINS0_13select_configILj256ELj13ELNS0_17block_load_methodE3ELS4_3ELS4_3ELNS0_20block_scan_algorithmE0ELj4294967295EEENS1_25partition_config_selectorILNS1_17partition_subalgoE3EjNS0_10empty_typeEbEEZZNS1_14partition_implILS8_3ELb0ES6_jNS0_17counting_iteratorIjlEEPS9_SE_NS0_5tupleIJPjSE_EEENSF_IJSE_SE_EEES9_SG_JZNS1_25segmented_radix_sort_implINS0_14default_configELb0EPKiPiPKlPlN2at6native12_GLOBAL__N_18offset_tEEE10hipError_tPvRmT1_PNSt15iterator_traitsISY_E10value_typeET2_T3_PNSZ_IS14_E10value_typeET4_jRbjT5_S1A_jjP12ihipStream_tbEUljE_EEESV_SW_SX_S14_S18_S1A_T6_T7_T9_mT8_S1C_bDpT10_ENKUlT_T0_E_clISt17integral_constantIbLb1EES1O_IbLb0EEEEDaS1K_S1L_EUlS1K_E_NS1_11comp_targetILNS1_3genE10ELNS1_11target_archE1200ELNS1_3gpuE4ELNS1_3repE0EEENS1_30default_config_static_selectorELNS0_4arch9wavefront6targetE0EEEvSY_,comdat
	.globl	_ZN7rocprim17ROCPRIM_400000_NS6detail17trampoline_kernelINS0_13select_configILj256ELj13ELNS0_17block_load_methodE3ELS4_3ELS4_3ELNS0_20block_scan_algorithmE0ELj4294967295EEENS1_25partition_config_selectorILNS1_17partition_subalgoE3EjNS0_10empty_typeEbEEZZNS1_14partition_implILS8_3ELb0ES6_jNS0_17counting_iteratorIjlEEPS9_SE_NS0_5tupleIJPjSE_EEENSF_IJSE_SE_EEES9_SG_JZNS1_25segmented_radix_sort_implINS0_14default_configELb0EPKiPiPKlPlN2at6native12_GLOBAL__N_18offset_tEEE10hipError_tPvRmT1_PNSt15iterator_traitsISY_E10value_typeET2_T3_PNSZ_IS14_E10value_typeET4_jRbjT5_S1A_jjP12ihipStream_tbEUljE_EEESV_SW_SX_S14_S18_S1A_T6_T7_T9_mT8_S1C_bDpT10_ENKUlT_T0_E_clISt17integral_constantIbLb1EES1O_IbLb0EEEEDaS1K_S1L_EUlS1K_E_NS1_11comp_targetILNS1_3genE10ELNS1_11target_archE1200ELNS1_3gpuE4ELNS1_3repE0EEENS1_30default_config_static_selectorELNS0_4arch9wavefront6targetE0EEEvSY_ ; -- Begin function _ZN7rocprim17ROCPRIM_400000_NS6detail17trampoline_kernelINS0_13select_configILj256ELj13ELNS0_17block_load_methodE3ELS4_3ELS4_3ELNS0_20block_scan_algorithmE0ELj4294967295EEENS1_25partition_config_selectorILNS1_17partition_subalgoE3EjNS0_10empty_typeEbEEZZNS1_14partition_implILS8_3ELb0ES6_jNS0_17counting_iteratorIjlEEPS9_SE_NS0_5tupleIJPjSE_EEENSF_IJSE_SE_EEES9_SG_JZNS1_25segmented_radix_sort_implINS0_14default_configELb0EPKiPiPKlPlN2at6native12_GLOBAL__N_18offset_tEEE10hipError_tPvRmT1_PNSt15iterator_traitsISY_E10value_typeET2_T3_PNSZ_IS14_E10value_typeET4_jRbjT5_S1A_jjP12ihipStream_tbEUljE_EEESV_SW_SX_S14_S18_S1A_T6_T7_T9_mT8_S1C_bDpT10_ENKUlT_T0_E_clISt17integral_constantIbLb1EES1O_IbLb0EEEEDaS1K_S1L_EUlS1K_E_NS1_11comp_targetILNS1_3genE10ELNS1_11target_archE1200ELNS1_3gpuE4ELNS1_3repE0EEENS1_30default_config_static_selectorELNS0_4arch9wavefront6targetE0EEEvSY_
	.p2align	8
	.type	_ZN7rocprim17ROCPRIM_400000_NS6detail17trampoline_kernelINS0_13select_configILj256ELj13ELNS0_17block_load_methodE3ELS4_3ELS4_3ELNS0_20block_scan_algorithmE0ELj4294967295EEENS1_25partition_config_selectorILNS1_17partition_subalgoE3EjNS0_10empty_typeEbEEZZNS1_14partition_implILS8_3ELb0ES6_jNS0_17counting_iteratorIjlEEPS9_SE_NS0_5tupleIJPjSE_EEENSF_IJSE_SE_EEES9_SG_JZNS1_25segmented_radix_sort_implINS0_14default_configELb0EPKiPiPKlPlN2at6native12_GLOBAL__N_18offset_tEEE10hipError_tPvRmT1_PNSt15iterator_traitsISY_E10value_typeET2_T3_PNSZ_IS14_E10value_typeET4_jRbjT5_S1A_jjP12ihipStream_tbEUljE_EEESV_SW_SX_S14_S18_S1A_T6_T7_T9_mT8_S1C_bDpT10_ENKUlT_T0_E_clISt17integral_constantIbLb1EES1O_IbLb0EEEEDaS1K_S1L_EUlS1K_E_NS1_11comp_targetILNS1_3genE10ELNS1_11target_archE1200ELNS1_3gpuE4ELNS1_3repE0EEENS1_30default_config_static_selectorELNS0_4arch9wavefront6targetE0EEEvSY_,@function
_ZN7rocprim17ROCPRIM_400000_NS6detail17trampoline_kernelINS0_13select_configILj256ELj13ELNS0_17block_load_methodE3ELS4_3ELS4_3ELNS0_20block_scan_algorithmE0ELj4294967295EEENS1_25partition_config_selectorILNS1_17partition_subalgoE3EjNS0_10empty_typeEbEEZZNS1_14partition_implILS8_3ELb0ES6_jNS0_17counting_iteratorIjlEEPS9_SE_NS0_5tupleIJPjSE_EEENSF_IJSE_SE_EEES9_SG_JZNS1_25segmented_radix_sort_implINS0_14default_configELb0EPKiPiPKlPlN2at6native12_GLOBAL__N_18offset_tEEE10hipError_tPvRmT1_PNSt15iterator_traitsISY_E10value_typeET2_T3_PNSZ_IS14_E10value_typeET4_jRbjT5_S1A_jjP12ihipStream_tbEUljE_EEESV_SW_SX_S14_S18_S1A_T6_T7_T9_mT8_S1C_bDpT10_ENKUlT_T0_E_clISt17integral_constantIbLb1EES1O_IbLb0EEEEDaS1K_S1L_EUlS1K_E_NS1_11comp_targetILNS1_3genE10ELNS1_11target_archE1200ELNS1_3gpuE4ELNS1_3repE0EEENS1_30default_config_static_selectorELNS0_4arch9wavefront6targetE0EEEvSY_: ; @_ZN7rocprim17ROCPRIM_400000_NS6detail17trampoline_kernelINS0_13select_configILj256ELj13ELNS0_17block_load_methodE3ELS4_3ELS4_3ELNS0_20block_scan_algorithmE0ELj4294967295EEENS1_25partition_config_selectorILNS1_17partition_subalgoE3EjNS0_10empty_typeEbEEZZNS1_14partition_implILS8_3ELb0ES6_jNS0_17counting_iteratorIjlEEPS9_SE_NS0_5tupleIJPjSE_EEENSF_IJSE_SE_EEES9_SG_JZNS1_25segmented_radix_sort_implINS0_14default_configELb0EPKiPiPKlPlN2at6native12_GLOBAL__N_18offset_tEEE10hipError_tPvRmT1_PNSt15iterator_traitsISY_E10value_typeET2_T3_PNSZ_IS14_E10value_typeET4_jRbjT5_S1A_jjP12ihipStream_tbEUljE_EEESV_SW_SX_S14_S18_S1A_T6_T7_T9_mT8_S1C_bDpT10_ENKUlT_T0_E_clISt17integral_constantIbLb1EES1O_IbLb0EEEEDaS1K_S1L_EUlS1K_E_NS1_11comp_targetILNS1_3genE10ELNS1_11target_archE1200ELNS1_3gpuE4ELNS1_3repE0EEENS1_30default_config_static_selectorELNS0_4arch9wavefront6targetE0EEEvSY_
; %bb.0:
	.section	.rodata,"a",@progbits
	.p2align	6, 0x0
	.amdhsa_kernel _ZN7rocprim17ROCPRIM_400000_NS6detail17trampoline_kernelINS0_13select_configILj256ELj13ELNS0_17block_load_methodE3ELS4_3ELS4_3ELNS0_20block_scan_algorithmE0ELj4294967295EEENS1_25partition_config_selectorILNS1_17partition_subalgoE3EjNS0_10empty_typeEbEEZZNS1_14partition_implILS8_3ELb0ES6_jNS0_17counting_iteratorIjlEEPS9_SE_NS0_5tupleIJPjSE_EEENSF_IJSE_SE_EEES9_SG_JZNS1_25segmented_radix_sort_implINS0_14default_configELb0EPKiPiPKlPlN2at6native12_GLOBAL__N_18offset_tEEE10hipError_tPvRmT1_PNSt15iterator_traitsISY_E10value_typeET2_T3_PNSZ_IS14_E10value_typeET4_jRbjT5_S1A_jjP12ihipStream_tbEUljE_EEESV_SW_SX_S14_S18_S1A_T6_T7_T9_mT8_S1C_bDpT10_ENKUlT_T0_E_clISt17integral_constantIbLb1EES1O_IbLb0EEEEDaS1K_S1L_EUlS1K_E_NS1_11comp_targetILNS1_3genE10ELNS1_11target_archE1200ELNS1_3gpuE4ELNS1_3repE0EEENS1_30default_config_static_selectorELNS0_4arch9wavefront6targetE0EEEvSY_
		.amdhsa_group_segment_fixed_size 0
		.amdhsa_private_segment_fixed_size 0
		.amdhsa_kernarg_size 144
		.amdhsa_user_sgpr_count 2
		.amdhsa_user_sgpr_dispatch_ptr 0
		.amdhsa_user_sgpr_queue_ptr 0
		.amdhsa_user_sgpr_kernarg_segment_ptr 1
		.amdhsa_user_sgpr_dispatch_id 0
		.amdhsa_user_sgpr_kernarg_preload_length 0
		.amdhsa_user_sgpr_kernarg_preload_offset 0
		.amdhsa_user_sgpr_private_segment_size 0
		.amdhsa_wavefront_size32 1
		.amdhsa_uses_dynamic_stack 0
		.amdhsa_enable_private_segment 0
		.amdhsa_system_sgpr_workgroup_id_x 1
		.amdhsa_system_sgpr_workgroup_id_y 0
		.amdhsa_system_sgpr_workgroup_id_z 0
		.amdhsa_system_sgpr_workgroup_info 0
		.amdhsa_system_vgpr_workitem_id 0
		.amdhsa_next_free_vgpr 1
		.amdhsa_next_free_sgpr 1
		.amdhsa_named_barrier_count 0
		.amdhsa_reserve_vcc 0
		.amdhsa_float_round_mode_32 0
		.amdhsa_float_round_mode_16_64 0
		.amdhsa_float_denorm_mode_32 3
		.amdhsa_float_denorm_mode_16_64 3
		.amdhsa_fp16_overflow 0
		.amdhsa_memory_ordered 1
		.amdhsa_forward_progress 1
		.amdhsa_inst_pref_size 0
		.amdhsa_round_robin_scheduling 0
		.amdhsa_exception_fp_ieee_invalid_op 0
		.amdhsa_exception_fp_denorm_src 0
		.amdhsa_exception_fp_ieee_div_zero 0
		.amdhsa_exception_fp_ieee_overflow 0
		.amdhsa_exception_fp_ieee_underflow 0
		.amdhsa_exception_fp_ieee_inexact 0
		.amdhsa_exception_int_div_zero 0
	.end_amdhsa_kernel
	.section	.text._ZN7rocprim17ROCPRIM_400000_NS6detail17trampoline_kernelINS0_13select_configILj256ELj13ELNS0_17block_load_methodE3ELS4_3ELS4_3ELNS0_20block_scan_algorithmE0ELj4294967295EEENS1_25partition_config_selectorILNS1_17partition_subalgoE3EjNS0_10empty_typeEbEEZZNS1_14partition_implILS8_3ELb0ES6_jNS0_17counting_iteratorIjlEEPS9_SE_NS0_5tupleIJPjSE_EEENSF_IJSE_SE_EEES9_SG_JZNS1_25segmented_radix_sort_implINS0_14default_configELb0EPKiPiPKlPlN2at6native12_GLOBAL__N_18offset_tEEE10hipError_tPvRmT1_PNSt15iterator_traitsISY_E10value_typeET2_T3_PNSZ_IS14_E10value_typeET4_jRbjT5_S1A_jjP12ihipStream_tbEUljE_EEESV_SW_SX_S14_S18_S1A_T6_T7_T9_mT8_S1C_bDpT10_ENKUlT_T0_E_clISt17integral_constantIbLb1EES1O_IbLb0EEEEDaS1K_S1L_EUlS1K_E_NS1_11comp_targetILNS1_3genE10ELNS1_11target_archE1200ELNS1_3gpuE4ELNS1_3repE0EEENS1_30default_config_static_selectorELNS0_4arch9wavefront6targetE0EEEvSY_,"axG",@progbits,_ZN7rocprim17ROCPRIM_400000_NS6detail17trampoline_kernelINS0_13select_configILj256ELj13ELNS0_17block_load_methodE3ELS4_3ELS4_3ELNS0_20block_scan_algorithmE0ELj4294967295EEENS1_25partition_config_selectorILNS1_17partition_subalgoE3EjNS0_10empty_typeEbEEZZNS1_14partition_implILS8_3ELb0ES6_jNS0_17counting_iteratorIjlEEPS9_SE_NS0_5tupleIJPjSE_EEENSF_IJSE_SE_EEES9_SG_JZNS1_25segmented_radix_sort_implINS0_14default_configELb0EPKiPiPKlPlN2at6native12_GLOBAL__N_18offset_tEEE10hipError_tPvRmT1_PNSt15iterator_traitsISY_E10value_typeET2_T3_PNSZ_IS14_E10value_typeET4_jRbjT5_S1A_jjP12ihipStream_tbEUljE_EEESV_SW_SX_S14_S18_S1A_T6_T7_T9_mT8_S1C_bDpT10_ENKUlT_T0_E_clISt17integral_constantIbLb1EES1O_IbLb0EEEEDaS1K_S1L_EUlS1K_E_NS1_11comp_targetILNS1_3genE10ELNS1_11target_archE1200ELNS1_3gpuE4ELNS1_3repE0EEENS1_30default_config_static_selectorELNS0_4arch9wavefront6targetE0EEEvSY_,comdat
.Lfunc_end585:
	.size	_ZN7rocprim17ROCPRIM_400000_NS6detail17trampoline_kernelINS0_13select_configILj256ELj13ELNS0_17block_load_methodE3ELS4_3ELS4_3ELNS0_20block_scan_algorithmE0ELj4294967295EEENS1_25partition_config_selectorILNS1_17partition_subalgoE3EjNS0_10empty_typeEbEEZZNS1_14partition_implILS8_3ELb0ES6_jNS0_17counting_iteratorIjlEEPS9_SE_NS0_5tupleIJPjSE_EEENSF_IJSE_SE_EEES9_SG_JZNS1_25segmented_radix_sort_implINS0_14default_configELb0EPKiPiPKlPlN2at6native12_GLOBAL__N_18offset_tEEE10hipError_tPvRmT1_PNSt15iterator_traitsISY_E10value_typeET2_T3_PNSZ_IS14_E10value_typeET4_jRbjT5_S1A_jjP12ihipStream_tbEUljE_EEESV_SW_SX_S14_S18_S1A_T6_T7_T9_mT8_S1C_bDpT10_ENKUlT_T0_E_clISt17integral_constantIbLb1EES1O_IbLb0EEEEDaS1K_S1L_EUlS1K_E_NS1_11comp_targetILNS1_3genE10ELNS1_11target_archE1200ELNS1_3gpuE4ELNS1_3repE0EEENS1_30default_config_static_selectorELNS0_4arch9wavefront6targetE0EEEvSY_, .Lfunc_end585-_ZN7rocprim17ROCPRIM_400000_NS6detail17trampoline_kernelINS0_13select_configILj256ELj13ELNS0_17block_load_methodE3ELS4_3ELS4_3ELNS0_20block_scan_algorithmE0ELj4294967295EEENS1_25partition_config_selectorILNS1_17partition_subalgoE3EjNS0_10empty_typeEbEEZZNS1_14partition_implILS8_3ELb0ES6_jNS0_17counting_iteratorIjlEEPS9_SE_NS0_5tupleIJPjSE_EEENSF_IJSE_SE_EEES9_SG_JZNS1_25segmented_radix_sort_implINS0_14default_configELb0EPKiPiPKlPlN2at6native12_GLOBAL__N_18offset_tEEE10hipError_tPvRmT1_PNSt15iterator_traitsISY_E10value_typeET2_T3_PNSZ_IS14_E10value_typeET4_jRbjT5_S1A_jjP12ihipStream_tbEUljE_EEESV_SW_SX_S14_S18_S1A_T6_T7_T9_mT8_S1C_bDpT10_ENKUlT_T0_E_clISt17integral_constantIbLb1EES1O_IbLb0EEEEDaS1K_S1L_EUlS1K_E_NS1_11comp_targetILNS1_3genE10ELNS1_11target_archE1200ELNS1_3gpuE4ELNS1_3repE0EEENS1_30default_config_static_selectorELNS0_4arch9wavefront6targetE0EEEvSY_
                                        ; -- End function
	.set _ZN7rocprim17ROCPRIM_400000_NS6detail17trampoline_kernelINS0_13select_configILj256ELj13ELNS0_17block_load_methodE3ELS4_3ELS4_3ELNS0_20block_scan_algorithmE0ELj4294967295EEENS1_25partition_config_selectorILNS1_17partition_subalgoE3EjNS0_10empty_typeEbEEZZNS1_14partition_implILS8_3ELb0ES6_jNS0_17counting_iteratorIjlEEPS9_SE_NS0_5tupleIJPjSE_EEENSF_IJSE_SE_EEES9_SG_JZNS1_25segmented_radix_sort_implINS0_14default_configELb0EPKiPiPKlPlN2at6native12_GLOBAL__N_18offset_tEEE10hipError_tPvRmT1_PNSt15iterator_traitsISY_E10value_typeET2_T3_PNSZ_IS14_E10value_typeET4_jRbjT5_S1A_jjP12ihipStream_tbEUljE_EEESV_SW_SX_S14_S18_S1A_T6_T7_T9_mT8_S1C_bDpT10_ENKUlT_T0_E_clISt17integral_constantIbLb1EES1O_IbLb0EEEEDaS1K_S1L_EUlS1K_E_NS1_11comp_targetILNS1_3genE10ELNS1_11target_archE1200ELNS1_3gpuE4ELNS1_3repE0EEENS1_30default_config_static_selectorELNS0_4arch9wavefront6targetE0EEEvSY_.num_vgpr, 0
	.set _ZN7rocprim17ROCPRIM_400000_NS6detail17trampoline_kernelINS0_13select_configILj256ELj13ELNS0_17block_load_methodE3ELS4_3ELS4_3ELNS0_20block_scan_algorithmE0ELj4294967295EEENS1_25partition_config_selectorILNS1_17partition_subalgoE3EjNS0_10empty_typeEbEEZZNS1_14partition_implILS8_3ELb0ES6_jNS0_17counting_iteratorIjlEEPS9_SE_NS0_5tupleIJPjSE_EEENSF_IJSE_SE_EEES9_SG_JZNS1_25segmented_radix_sort_implINS0_14default_configELb0EPKiPiPKlPlN2at6native12_GLOBAL__N_18offset_tEEE10hipError_tPvRmT1_PNSt15iterator_traitsISY_E10value_typeET2_T3_PNSZ_IS14_E10value_typeET4_jRbjT5_S1A_jjP12ihipStream_tbEUljE_EEESV_SW_SX_S14_S18_S1A_T6_T7_T9_mT8_S1C_bDpT10_ENKUlT_T0_E_clISt17integral_constantIbLb1EES1O_IbLb0EEEEDaS1K_S1L_EUlS1K_E_NS1_11comp_targetILNS1_3genE10ELNS1_11target_archE1200ELNS1_3gpuE4ELNS1_3repE0EEENS1_30default_config_static_selectorELNS0_4arch9wavefront6targetE0EEEvSY_.num_agpr, 0
	.set _ZN7rocprim17ROCPRIM_400000_NS6detail17trampoline_kernelINS0_13select_configILj256ELj13ELNS0_17block_load_methodE3ELS4_3ELS4_3ELNS0_20block_scan_algorithmE0ELj4294967295EEENS1_25partition_config_selectorILNS1_17partition_subalgoE3EjNS0_10empty_typeEbEEZZNS1_14partition_implILS8_3ELb0ES6_jNS0_17counting_iteratorIjlEEPS9_SE_NS0_5tupleIJPjSE_EEENSF_IJSE_SE_EEES9_SG_JZNS1_25segmented_radix_sort_implINS0_14default_configELb0EPKiPiPKlPlN2at6native12_GLOBAL__N_18offset_tEEE10hipError_tPvRmT1_PNSt15iterator_traitsISY_E10value_typeET2_T3_PNSZ_IS14_E10value_typeET4_jRbjT5_S1A_jjP12ihipStream_tbEUljE_EEESV_SW_SX_S14_S18_S1A_T6_T7_T9_mT8_S1C_bDpT10_ENKUlT_T0_E_clISt17integral_constantIbLb1EES1O_IbLb0EEEEDaS1K_S1L_EUlS1K_E_NS1_11comp_targetILNS1_3genE10ELNS1_11target_archE1200ELNS1_3gpuE4ELNS1_3repE0EEENS1_30default_config_static_selectorELNS0_4arch9wavefront6targetE0EEEvSY_.numbered_sgpr, 0
	.set _ZN7rocprim17ROCPRIM_400000_NS6detail17trampoline_kernelINS0_13select_configILj256ELj13ELNS0_17block_load_methodE3ELS4_3ELS4_3ELNS0_20block_scan_algorithmE0ELj4294967295EEENS1_25partition_config_selectorILNS1_17partition_subalgoE3EjNS0_10empty_typeEbEEZZNS1_14partition_implILS8_3ELb0ES6_jNS0_17counting_iteratorIjlEEPS9_SE_NS0_5tupleIJPjSE_EEENSF_IJSE_SE_EEES9_SG_JZNS1_25segmented_radix_sort_implINS0_14default_configELb0EPKiPiPKlPlN2at6native12_GLOBAL__N_18offset_tEEE10hipError_tPvRmT1_PNSt15iterator_traitsISY_E10value_typeET2_T3_PNSZ_IS14_E10value_typeET4_jRbjT5_S1A_jjP12ihipStream_tbEUljE_EEESV_SW_SX_S14_S18_S1A_T6_T7_T9_mT8_S1C_bDpT10_ENKUlT_T0_E_clISt17integral_constantIbLb1EES1O_IbLb0EEEEDaS1K_S1L_EUlS1K_E_NS1_11comp_targetILNS1_3genE10ELNS1_11target_archE1200ELNS1_3gpuE4ELNS1_3repE0EEENS1_30default_config_static_selectorELNS0_4arch9wavefront6targetE0EEEvSY_.num_named_barrier, 0
	.set _ZN7rocprim17ROCPRIM_400000_NS6detail17trampoline_kernelINS0_13select_configILj256ELj13ELNS0_17block_load_methodE3ELS4_3ELS4_3ELNS0_20block_scan_algorithmE0ELj4294967295EEENS1_25partition_config_selectorILNS1_17partition_subalgoE3EjNS0_10empty_typeEbEEZZNS1_14partition_implILS8_3ELb0ES6_jNS0_17counting_iteratorIjlEEPS9_SE_NS0_5tupleIJPjSE_EEENSF_IJSE_SE_EEES9_SG_JZNS1_25segmented_radix_sort_implINS0_14default_configELb0EPKiPiPKlPlN2at6native12_GLOBAL__N_18offset_tEEE10hipError_tPvRmT1_PNSt15iterator_traitsISY_E10value_typeET2_T3_PNSZ_IS14_E10value_typeET4_jRbjT5_S1A_jjP12ihipStream_tbEUljE_EEESV_SW_SX_S14_S18_S1A_T6_T7_T9_mT8_S1C_bDpT10_ENKUlT_T0_E_clISt17integral_constantIbLb1EES1O_IbLb0EEEEDaS1K_S1L_EUlS1K_E_NS1_11comp_targetILNS1_3genE10ELNS1_11target_archE1200ELNS1_3gpuE4ELNS1_3repE0EEENS1_30default_config_static_selectorELNS0_4arch9wavefront6targetE0EEEvSY_.private_seg_size, 0
	.set _ZN7rocprim17ROCPRIM_400000_NS6detail17trampoline_kernelINS0_13select_configILj256ELj13ELNS0_17block_load_methodE3ELS4_3ELS4_3ELNS0_20block_scan_algorithmE0ELj4294967295EEENS1_25partition_config_selectorILNS1_17partition_subalgoE3EjNS0_10empty_typeEbEEZZNS1_14partition_implILS8_3ELb0ES6_jNS0_17counting_iteratorIjlEEPS9_SE_NS0_5tupleIJPjSE_EEENSF_IJSE_SE_EEES9_SG_JZNS1_25segmented_radix_sort_implINS0_14default_configELb0EPKiPiPKlPlN2at6native12_GLOBAL__N_18offset_tEEE10hipError_tPvRmT1_PNSt15iterator_traitsISY_E10value_typeET2_T3_PNSZ_IS14_E10value_typeET4_jRbjT5_S1A_jjP12ihipStream_tbEUljE_EEESV_SW_SX_S14_S18_S1A_T6_T7_T9_mT8_S1C_bDpT10_ENKUlT_T0_E_clISt17integral_constantIbLb1EES1O_IbLb0EEEEDaS1K_S1L_EUlS1K_E_NS1_11comp_targetILNS1_3genE10ELNS1_11target_archE1200ELNS1_3gpuE4ELNS1_3repE0EEENS1_30default_config_static_selectorELNS0_4arch9wavefront6targetE0EEEvSY_.uses_vcc, 0
	.set _ZN7rocprim17ROCPRIM_400000_NS6detail17trampoline_kernelINS0_13select_configILj256ELj13ELNS0_17block_load_methodE3ELS4_3ELS4_3ELNS0_20block_scan_algorithmE0ELj4294967295EEENS1_25partition_config_selectorILNS1_17partition_subalgoE3EjNS0_10empty_typeEbEEZZNS1_14partition_implILS8_3ELb0ES6_jNS0_17counting_iteratorIjlEEPS9_SE_NS0_5tupleIJPjSE_EEENSF_IJSE_SE_EEES9_SG_JZNS1_25segmented_radix_sort_implINS0_14default_configELb0EPKiPiPKlPlN2at6native12_GLOBAL__N_18offset_tEEE10hipError_tPvRmT1_PNSt15iterator_traitsISY_E10value_typeET2_T3_PNSZ_IS14_E10value_typeET4_jRbjT5_S1A_jjP12ihipStream_tbEUljE_EEESV_SW_SX_S14_S18_S1A_T6_T7_T9_mT8_S1C_bDpT10_ENKUlT_T0_E_clISt17integral_constantIbLb1EES1O_IbLb0EEEEDaS1K_S1L_EUlS1K_E_NS1_11comp_targetILNS1_3genE10ELNS1_11target_archE1200ELNS1_3gpuE4ELNS1_3repE0EEENS1_30default_config_static_selectorELNS0_4arch9wavefront6targetE0EEEvSY_.uses_flat_scratch, 0
	.set _ZN7rocprim17ROCPRIM_400000_NS6detail17trampoline_kernelINS0_13select_configILj256ELj13ELNS0_17block_load_methodE3ELS4_3ELS4_3ELNS0_20block_scan_algorithmE0ELj4294967295EEENS1_25partition_config_selectorILNS1_17partition_subalgoE3EjNS0_10empty_typeEbEEZZNS1_14partition_implILS8_3ELb0ES6_jNS0_17counting_iteratorIjlEEPS9_SE_NS0_5tupleIJPjSE_EEENSF_IJSE_SE_EEES9_SG_JZNS1_25segmented_radix_sort_implINS0_14default_configELb0EPKiPiPKlPlN2at6native12_GLOBAL__N_18offset_tEEE10hipError_tPvRmT1_PNSt15iterator_traitsISY_E10value_typeET2_T3_PNSZ_IS14_E10value_typeET4_jRbjT5_S1A_jjP12ihipStream_tbEUljE_EEESV_SW_SX_S14_S18_S1A_T6_T7_T9_mT8_S1C_bDpT10_ENKUlT_T0_E_clISt17integral_constantIbLb1EES1O_IbLb0EEEEDaS1K_S1L_EUlS1K_E_NS1_11comp_targetILNS1_3genE10ELNS1_11target_archE1200ELNS1_3gpuE4ELNS1_3repE0EEENS1_30default_config_static_selectorELNS0_4arch9wavefront6targetE0EEEvSY_.has_dyn_sized_stack, 0
	.set _ZN7rocprim17ROCPRIM_400000_NS6detail17trampoline_kernelINS0_13select_configILj256ELj13ELNS0_17block_load_methodE3ELS4_3ELS4_3ELNS0_20block_scan_algorithmE0ELj4294967295EEENS1_25partition_config_selectorILNS1_17partition_subalgoE3EjNS0_10empty_typeEbEEZZNS1_14partition_implILS8_3ELb0ES6_jNS0_17counting_iteratorIjlEEPS9_SE_NS0_5tupleIJPjSE_EEENSF_IJSE_SE_EEES9_SG_JZNS1_25segmented_radix_sort_implINS0_14default_configELb0EPKiPiPKlPlN2at6native12_GLOBAL__N_18offset_tEEE10hipError_tPvRmT1_PNSt15iterator_traitsISY_E10value_typeET2_T3_PNSZ_IS14_E10value_typeET4_jRbjT5_S1A_jjP12ihipStream_tbEUljE_EEESV_SW_SX_S14_S18_S1A_T6_T7_T9_mT8_S1C_bDpT10_ENKUlT_T0_E_clISt17integral_constantIbLb1EES1O_IbLb0EEEEDaS1K_S1L_EUlS1K_E_NS1_11comp_targetILNS1_3genE10ELNS1_11target_archE1200ELNS1_3gpuE4ELNS1_3repE0EEENS1_30default_config_static_selectorELNS0_4arch9wavefront6targetE0EEEvSY_.has_recursion, 0
	.set _ZN7rocprim17ROCPRIM_400000_NS6detail17trampoline_kernelINS0_13select_configILj256ELj13ELNS0_17block_load_methodE3ELS4_3ELS4_3ELNS0_20block_scan_algorithmE0ELj4294967295EEENS1_25partition_config_selectorILNS1_17partition_subalgoE3EjNS0_10empty_typeEbEEZZNS1_14partition_implILS8_3ELb0ES6_jNS0_17counting_iteratorIjlEEPS9_SE_NS0_5tupleIJPjSE_EEENSF_IJSE_SE_EEES9_SG_JZNS1_25segmented_radix_sort_implINS0_14default_configELb0EPKiPiPKlPlN2at6native12_GLOBAL__N_18offset_tEEE10hipError_tPvRmT1_PNSt15iterator_traitsISY_E10value_typeET2_T3_PNSZ_IS14_E10value_typeET4_jRbjT5_S1A_jjP12ihipStream_tbEUljE_EEESV_SW_SX_S14_S18_S1A_T6_T7_T9_mT8_S1C_bDpT10_ENKUlT_T0_E_clISt17integral_constantIbLb1EES1O_IbLb0EEEEDaS1K_S1L_EUlS1K_E_NS1_11comp_targetILNS1_3genE10ELNS1_11target_archE1200ELNS1_3gpuE4ELNS1_3repE0EEENS1_30default_config_static_selectorELNS0_4arch9wavefront6targetE0EEEvSY_.has_indirect_call, 0
	.section	.AMDGPU.csdata,"",@progbits
; Kernel info:
; codeLenInByte = 0
; TotalNumSgprs: 0
; NumVgprs: 0
; ScratchSize: 0
; MemoryBound: 0
; FloatMode: 240
; IeeeMode: 1
; LDSByteSize: 0 bytes/workgroup (compile time only)
; SGPRBlocks: 0
; VGPRBlocks: 0
; NumSGPRsForWavesPerEU: 1
; NumVGPRsForWavesPerEU: 1
; NamedBarCnt: 0
; Occupancy: 16
; WaveLimiterHint : 0
; COMPUTE_PGM_RSRC2:SCRATCH_EN: 0
; COMPUTE_PGM_RSRC2:USER_SGPR: 2
; COMPUTE_PGM_RSRC2:TRAP_HANDLER: 0
; COMPUTE_PGM_RSRC2:TGID_X_EN: 1
; COMPUTE_PGM_RSRC2:TGID_Y_EN: 0
; COMPUTE_PGM_RSRC2:TGID_Z_EN: 0
; COMPUTE_PGM_RSRC2:TIDIG_COMP_CNT: 0
	.section	.text._ZN7rocprim17ROCPRIM_400000_NS6detail17trampoline_kernelINS0_13select_configILj256ELj13ELNS0_17block_load_methodE3ELS4_3ELS4_3ELNS0_20block_scan_algorithmE0ELj4294967295EEENS1_25partition_config_selectorILNS1_17partition_subalgoE3EjNS0_10empty_typeEbEEZZNS1_14partition_implILS8_3ELb0ES6_jNS0_17counting_iteratorIjlEEPS9_SE_NS0_5tupleIJPjSE_EEENSF_IJSE_SE_EEES9_SG_JZNS1_25segmented_radix_sort_implINS0_14default_configELb0EPKiPiPKlPlN2at6native12_GLOBAL__N_18offset_tEEE10hipError_tPvRmT1_PNSt15iterator_traitsISY_E10value_typeET2_T3_PNSZ_IS14_E10value_typeET4_jRbjT5_S1A_jjP12ihipStream_tbEUljE_EEESV_SW_SX_S14_S18_S1A_T6_T7_T9_mT8_S1C_bDpT10_ENKUlT_T0_E_clISt17integral_constantIbLb1EES1O_IbLb0EEEEDaS1K_S1L_EUlS1K_E_NS1_11comp_targetILNS1_3genE9ELNS1_11target_archE1100ELNS1_3gpuE3ELNS1_3repE0EEENS1_30default_config_static_selectorELNS0_4arch9wavefront6targetE0EEEvSY_,"axG",@progbits,_ZN7rocprim17ROCPRIM_400000_NS6detail17trampoline_kernelINS0_13select_configILj256ELj13ELNS0_17block_load_methodE3ELS4_3ELS4_3ELNS0_20block_scan_algorithmE0ELj4294967295EEENS1_25partition_config_selectorILNS1_17partition_subalgoE3EjNS0_10empty_typeEbEEZZNS1_14partition_implILS8_3ELb0ES6_jNS0_17counting_iteratorIjlEEPS9_SE_NS0_5tupleIJPjSE_EEENSF_IJSE_SE_EEES9_SG_JZNS1_25segmented_radix_sort_implINS0_14default_configELb0EPKiPiPKlPlN2at6native12_GLOBAL__N_18offset_tEEE10hipError_tPvRmT1_PNSt15iterator_traitsISY_E10value_typeET2_T3_PNSZ_IS14_E10value_typeET4_jRbjT5_S1A_jjP12ihipStream_tbEUljE_EEESV_SW_SX_S14_S18_S1A_T6_T7_T9_mT8_S1C_bDpT10_ENKUlT_T0_E_clISt17integral_constantIbLb1EES1O_IbLb0EEEEDaS1K_S1L_EUlS1K_E_NS1_11comp_targetILNS1_3genE9ELNS1_11target_archE1100ELNS1_3gpuE3ELNS1_3repE0EEENS1_30default_config_static_selectorELNS0_4arch9wavefront6targetE0EEEvSY_,comdat
	.globl	_ZN7rocprim17ROCPRIM_400000_NS6detail17trampoline_kernelINS0_13select_configILj256ELj13ELNS0_17block_load_methodE3ELS4_3ELS4_3ELNS0_20block_scan_algorithmE0ELj4294967295EEENS1_25partition_config_selectorILNS1_17partition_subalgoE3EjNS0_10empty_typeEbEEZZNS1_14partition_implILS8_3ELb0ES6_jNS0_17counting_iteratorIjlEEPS9_SE_NS0_5tupleIJPjSE_EEENSF_IJSE_SE_EEES9_SG_JZNS1_25segmented_radix_sort_implINS0_14default_configELb0EPKiPiPKlPlN2at6native12_GLOBAL__N_18offset_tEEE10hipError_tPvRmT1_PNSt15iterator_traitsISY_E10value_typeET2_T3_PNSZ_IS14_E10value_typeET4_jRbjT5_S1A_jjP12ihipStream_tbEUljE_EEESV_SW_SX_S14_S18_S1A_T6_T7_T9_mT8_S1C_bDpT10_ENKUlT_T0_E_clISt17integral_constantIbLb1EES1O_IbLb0EEEEDaS1K_S1L_EUlS1K_E_NS1_11comp_targetILNS1_3genE9ELNS1_11target_archE1100ELNS1_3gpuE3ELNS1_3repE0EEENS1_30default_config_static_selectorELNS0_4arch9wavefront6targetE0EEEvSY_ ; -- Begin function _ZN7rocprim17ROCPRIM_400000_NS6detail17trampoline_kernelINS0_13select_configILj256ELj13ELNS0_17block_load_methodE3ELS4_3ELS4_3ELNS0_20block_scan_algorithmE0ELj4294967295EEENS1_25partition_config_selectorILNS1_17partition_subalgoE3EjNS0_10empty_typeEbEEZZNS1_14partition_implILS8_3ELb0ES6_jNS0_17counting_iteratorIjlEEPS9_SE_NS0_5tupleIJPjSE_EEENSF_IJSE_SE_EEES9_SG_JZNS1_25segmented_radix_sort_implINS0_14default_configELb0EPKiPiPKlPlN2at6native12_GLOBAL__N_18offset_tEEE10hipError_tPvRmT1_PNSt15iterator_traitsISY_E10value_typeET2_T3_PNSZ_IS14_E10value_typeET4_jRbjT5_S1A_jjP12ihipStream_tbEUljE_EEESV_SW_SX_S14_S18_S1A_T6_T7_T9_mT8_S1C_bDpT10_ENKUlT_T0_E_clISt17integral_constantIbLb1EES1O_IbLb0EEEEDaS1K_S1L_EUlS1K_E_NS1_11comp_targetILNS1_3genE9ELNS1_11target_archE1100ELNS1_3gpuE3ELNS1_3repE0EEENS1_30default_config_static_selectorELNS0_4arch9wavefront6targetE0EEEvSY_
	.p2align	8
	.type	_ZN7rocprim17ROCPRIM_400000_NS6detail17trampoline_kernelINS0_13select_configILj256ELj13ELNS0_17block_load_methodE3ELS4_3ELS4_3ELNS0_20block_scan_algorithmE0ELj4294967295EEENS1_25partition_config_selectorILNS1_17partition_subalgoE3EjNS0_10empty_typeEbEEZZNS1_14partition_implILS8_3ELb0ES6_jNS0_17counting_iteratorIjlEEPS9_SE_NS0_5tupleIJPjSE_EEENSF_IJSE_SE_EEES9_SG_JZNS1_25segmented_radix_sort_implINS0_14default_configELb0EPKiPiPKlPlN2at6native12_GLOBAL__N_18offset_tEEE10hipError_tPvRmT1_PNSt15iterator_traitsISY_E10value_typeET2_T3_PNSZ_IS14_E10value_typeET4_jRbjT5_S1A_jjP12ihipStream_tbEUljE_EEESV_SW_SX_S14_S18_S1A_T6_T7_T9_mT8_S1C_bDpT10_ENKUlT_T0_E_clISt17integral_constantIbLb1EES1O_IbLb0EEEEDaS1K_S1L_EUlS1K_E_NS1_11comp_targetILNS1_3genE9ELNS1_11target_archE1100ELNS1_3gpuE3ELNS1_3repE0EEENS1_30default_config_static_selectorELNS0_4arch9wavefront6targetE0EEEvSY_,@function
_ZN7rocprim17ROCPRIM_400000_NS6detail17trampoline_kernelINS0_13select_configILj256ELj13ELNS0_17block_load_methodE3ELS4_3ELS4_3ELNS0_20block_scan_algorithmE0ELj4294967295EEENS1_25partition_config_selectorILNS1_17partition_subalgoE3EjNS0_10empty_typeEbEEZZNS1_14partition_implILS8_3ELb0ES6_jNS0_17counting_iteratorIjlEEPS9_SE_NS0_5tupleIJPjSE_EEENSF_IJSE_SE_EEES9_SG_JZNS1_25segmented_radix_sort_implINS0_14default_configELb0EPKiPiPKlPlN2at6native12_GLOBAL__N_18offset_tEEE10hipError_tPvRmT1_PNSt15iterator_traitsISY_E10value_typeET2_T3_PNSZ_IS14_E10value_typeET4_jRbjT5_S1A_jjP12ihipStream_tbEUljE_EEESV_SW_SX_S14_S18_S1A_T6_T7_T9_mT8_S1C_bDpT10_ENKUlT_T0_E_clISt17integral_constantIbLb1EES1O_IbLb0EEEEDaS1K_S1L_EUlS1K_E_NS1_11comp_targetILNS1_3genE9ELNS1_11target_archE1100ELNS1_3gpuE3ELNS1_3repE0EEENS1_30default_config_static_selectorELNS0_4arch9wavefront6targetE0EEEvSY_: ; @_ZN7rocprim17ROCPRIM_400000_NS6detail17trampoline_kernelINS0_13select_configILj256ELj13ELNS0_17block_load_methodE3ELS4_3ELS4_3ELNS0_20block_scan_algorithmE0ELj4294967295EEENS1_25partition_config_selectorILNS1_17partition_subalgoE3EjNS0_10empty_typeEbEEZZNS1_14partition_implILS8_3ELb0ES6_jNS0_17counting_iteratorIjlEEPS9_SE_NS0_5tupleIJPjSE_EEENSF_IJSE_SE_EEES9_SG_JZNS1_25segmented_radix_sort_implINS0_14default_configELb0EPKiPiPKlPlN2at6native12_GLOBAL__N_18offset_tEEE10hipError_tPvRmT1_PNSt15iterator_traitsISY_E10value_typeET2_T3_PNSZ_IS14_E10value_typeET4_jRbjT5_S1A_jjP12ihipStream_tbEUljE_EEESV_SW_SX_S14_S18_S1A_T6_T7_T9_mT8_S1C_bDpT10_ENKUlT_T0_E_clISt17integral_constantIbLb1EES1O_IbLb0EEEEDaS1K_S1L_EUlS1K_E_NS1_11comp_targetILNS1_3genE9ELNS1_11target_archE1100ELNS1_3gpuE3ELNS1_3repE0EEENS1_30default_config_static_selectorELNS0_4arch9wavefront6targetE0EEEvSY_
; %bb.0:
	.section	.rodata,"a",@progbits
	.p2align	6, 0x0
	.amdhsa_kernel _ZN7rocprim17ROCPRIM_400000_NS6detail17trampoline_kernelINS0_13select_configILj256ELj13ELNS0_17block_load_methodE3ELS4_3ELS4_3ELNS0_20block_scan_algorithmE0ELj4294967295EEENS1_25partition_config_selectorILNS1_17partition_subalgoE3EjNS0_10empty_typeEbEEZZNS1_14partition_implILS8_3ELb0ES6_jNS0_17counting_iteratorIjlEEPS9_SE_NS0_5tupleIJPjSE_EEENSF_IJSE_SE_EEES9_SG_JZNS1_25segmented_radix_sort_implINS0_14default_configELb0EPKiPiPKlPlN2at6native12_GLOBAL__N_18offset_tEEE10hipError_tPvRmT1_PNSt15iterator_traitsISY_E10value_typeET2_T3_PNSZ_IS14_E10value_typeET4_jRbjT5_S1A_jjP12ihipStream_tbEUljE_EEESV_SW_SX_S14_S18_S1A_T6_T7_T9_mT8_S1C_bDpT10_ENKUlT_T0_E_clISt17integral_constantIbLb1EES1O_IbLb0EEEEDaS1K_S1L_EUlS1K_E_NS1_11comp_targetILNS1_3genE9ELNS1_11target_archE1100ELNS1_3gpuE3ELNS1_3repE0EEENS1_30default_config_static_selectorELNS0_4arch9wavefront6targetE0EEEvSY_
		.amdhsa_group_segment_fixed_size 0
		.amdhsa_private_segment_fixed_size 0
		.amdhsa_kernarg_size 144
		.amdhsa_user_sgpr_count 2
		.amdhsa_user_sgpr_dispatch_ptr 0
		.amdhsa_user_sgpr_queue_ptr 0
		.amdhsa_user_sgpr_kernarg_segment_ptr 1
		.amdhsa_user_sgpr_dispatch_id 0
		.amdhsa_user_sgpr_kernarg_preload_length 0
		.amdhsa_user_sgpr_kernarg_preload_offset 0
		.amdhsa_user_sgpr_private_segment_size 0
		.amdhsa_wavefront_size32 1
		.amdhsa_uses_dynamic_stack 0
		.amdhsa_enable_private_segment 0
		.amdhsa_system_sgpr_workgroup_id_x 1
		.amdhsa_system_sgpr_workgroup_id_y 0
		.amdhsa_system_sgpr_workgroup_id_z 0
		.amdhsa_system_sgpr_workgroup_info 0
		.amdhsa_system_vgpr_workitem_id 0
		.amdhsa_next_free_vgpr 1
		.amdhsa_next_free_sgpr 1
		.amdhsa_named_barrier_count 0
		.amdhsa_reserve_vcc 0
		.amdhsa_float_round_mode_32 0
		.amdhsa_float_round_mode_16_64 0
		.amdhsa_float_denorm_mode_32 3
		.amdhsa_float_denorm_mode_16_64 3
		.amdhsa_fp16_overflow 0
		.amdhsa_memory_ordered 1
		.amdhsa_forward_progress 1
		.amdhsa_inst_pref_size 0
		.amdhsa_round_robin_scheduling 0
		.amdhsa_exception_fp_ieee_invalid_op 0
		.amdhsa_exception_fp_denorm_src 0
		.amdhsa_exception_fp_ieee_div_zero 0
		.amdhsa_exception_fp_ieee_overflow 0
		.amdhsa_exception_fp_ieee_underflow 0
		.amdhsa_exception_fp_ieee_inexact 0
		.amdhsa_exception_int_div_zero 0
	.end_amdhsa_kernel
	.section	.text._ZN7rocprim17ROCPRIM_400000_NS6detail17trampoline_kernelINS0_13select_configILj256ELj13ELNS0_17block_load_methodE3ELS4_3ELS4_3ELNS0_20block_scan_algorithmE0ELj4294967295EEENS1_25partition_config_selectorILNS1_17partition_subalgoE3EjNS0_10empty_typeEbEEZZNS1_14partition_implILS8_3ELb0ES6_jNS0_17counting_iteratorIjlEEPS9_SE_NS0_5tupleIJPjSE_EEENSF_IJSE_SE_EEES9_SG_JZNS1_25segmented_radix_sort_implINS0_14default_configELb0EPKiPiPKlPlN2at6native12_GLOBAL__N_18offset_tEEE10hipError_tPvRmT1_PNSt15iterator_traitsISY_E10value_typeET2_T3_PNSZ_IS14_E10value_typeET4_jRbjT5_S1A_jjP12ihipStream_tbEUljE_EEESV_SW_SX_S14_S18_S1A_T6_T7_T9_mT8_S1C_bDpT10_ENKUlT_T0_E_clISt17integral_constantIbLb1EES1O_IbLb0EEEEDaS1K_S1L_EUlS1K_E_NS1_11comp_targetILNS1_3genE9ELNS1_11target_archE1100ELNS1_3gpuE3ELNS1_3repE0EEENS1_30default_config_static_selectorELNS0_4arch9wavefront6targetE0EEEvSY_,"axG",@progbits,_ZN7rocprim17ROCPRIM_400000_NS6detail17trampoline_kernelINS0_13select_configILj256ELj13ELNS0_17block_load_methodE3ELS4_3ELS4_3ELNS0_20block_scan_algorithmE0ELj4294967295EEENS1_25partition_config_selectorILNS1_17partition_subalgoE3EjNS0_10empty_typeEbEEZZNS1_14partition_implILS8_3ELb0ES6_jNS0_17counting_iteratorIjlEEPS9_SE_NS0_5tupleIJPjSE_EEENSF_IJSE_SE_EEES9_SG_JZNS1_25segmented_radix_sort_implINS0_14default_configELb0EPKiPiPKlPlN2at6native12_GLOBAL__N_18offset_tEEE10hipError_tPvRmT1_PNSt15iterator_traitsISY_E10value_typeET2_T3_PNSZ_IS14_E10value_typeET4_jRbjT5_S1A_jjP12ihipStream_tbEUljE_EEESV_SW_SX_S14_S18_S1A_T6_T7_T9_mT8_S1C_bDpT10_ENKUlT_T0_E_clISt17integral_constantIbLb1EES1O_IbLb0EEEEDaS1K_S1L_EUlS1K_E_NS1_11comp_targetILNS1_3genE9ELNS1_11target_archE1100ELNS1_3gpuE3ELNS1_3repE0EEENS1_30default_config_static_selectorELNS0_4arch9wavefront6targetE0EEEvSY_,comdat
.Lfunc_end586:
	.size	_ZN7rocprim17ROCPRIM_400000_NS6detail17trampoline_kernelINS0_13select_configILj256ELj13ELNS0_17block_load_methodE3ELS4_3ELS4_3ELNS0_20block_scan_algorithmE0ELj4294967295EEENS1_25partition_config_selectorILNS1_17partition_subalgoE3EjNS0_10empty_typeEbEEZZNS1_14partition_implILS8_3ELb0ES6_jNS0_17counting_iteratorIjlEEPS9_SE_NS0_5tupleIJPjSE_EEENSF_IJSE_SE_EEES9_SG_JZNS1_25segmented_radix_sort_implINS0_14default_configELb0EPKiPiPKlPlN2at6native12_GLOBAL__N_18offset_tEEE10hipError_tPvRmT1_PNSt15iterator_traitsISY_E10value_typeET2_T3_PNSZ_IS14_E10value_typeET4_jRbjT5_S1A_jjP12ihipStream_tbEUljE_EEESV_SW_SX_S14_S18_S1A_T6_T7_T9_mT8_S1C_bDpT10_ENKUlT_T0_E_clISt17integral_constantIbLb1EES1O_IbLb0EEEEDaS1K_S1L_EUlS1K_E_NS1_11comp_targetILNS1_3genE9ELNS1_11target_archE1100ELNS1_3gpuE3ELNS1_3repE0EEENS1_30default_config_static_selectorELNS0_4arch9wavefront6targetE0EEEvSY_, .Lfunc_end586-_ZN7rocprim17ROCPRIM_400000_NS6detail17trampoline_kernelINS0_13select_configILj256ELj13ELNS0_17block_load_methodE3ELS4_3ELS4_3ELNS0_20block_scan_algorithmE0ELj4294967295EEENS1_25partition_config_selectorILNS1_17partition_subalgoE3EjNS0_10empty_typeEbEEZZNS1_14partition_implILS8_3ELb0ES6_jNS0_17counting_iteratorIjlEEPS9_SE_NS0_5tupleIJPjSE_EEENSF_IJSE_SE_EEES9_SG_JZNS1_25segmented_radix_sort_implINS0_14default_configELb0EPKiPiPKlPlN2at6native12_GLOBAL__N_18offset_tEEE10hipError_tPvRmT1_PNSt15iterator_traitsISY_E10value_typeET2_T3_PNSZ_IS14_E10value_typeET4_jRbjT5_S1A_jjP12ihipStream_tbEUljE_EEESV_SW_SX_S14_S18_S1A_T6_T7_T9_mT8_S1C_bDpT10_ENKUlT_T0_E_clISt17integral_constantIbLb1EES1O_IbLb0EEEEDaS1K_S1L_EUlS1K_E_NS1_11comp_targetILNS1_3genE9ELNS1_11target_archE1100ELNS1_3gpuE3ELNS1_3repE0EEENS1_30default_config_static_selectorELNS0_4arch9wavefront6targetE0EEEvSY_
                                        ; -- End function
	.set _ZN7rocprim17ROCPRIM_400000_NS6detail17trampoline_kernelINS0_13select_configILj256ELj13ELNS0_17block_load_methodE3ELS4_3ELS4_3ELNS0_20block_scan_algorithmE0ELj4294967295EEENS1_25partition_config_selectorILNS1_17partition_subalgoE3EjNS0_10empty_typeEbEEZZNS1_14partition_implILS8_3ELb0ES6_jNS0_17counting_iteratorIjlEEPS9_SE_NS0_5tupleIJPjSE_EEENSF_IJSE_SE_EEES9_SG_JZNS1_25segmented_radix_sort_implINS0_14default_configELb0EPKiPiPKlPlN2at6native12_GLOBAL__N_18offset_tEEE10hipError_tPvRmT1_PNSt15iterator_traitsISY_E10value_typeET2_T3_PNSZ_IS14_E10value_typeET4_jRbjT5_S1A_jjP12ihipStream_tbEUljE_EEESV_SW_SX_S14_S18_S1A_T6_T7_T9_mT8_S1C_bDpT10_ENKUlT_T0_E_clISt17integral_constantIbLb1EES1O_IbLb0EEEEDaS1K_S1L_EUlS1K_E_NS1_11comp_targetILNS1_3genE9ELNS1_11target_archE1100ELNS1_3gpuE3ELNS1_3repE0EEENS1_30default_config_static_selectorELNS0_4arch9wavefront6targetE0EEEvSY_.num_vgpr, 0
	.set _ZN7rocprim17ROCPRIM_400000_NS6detail17trampoline_kernelINS0_13select_configILj256ELj13ELNS0_17block_load_methodE3ELS4_3ELS4_3ELNS0_20block_scan_algorithmE0ELj4294967295EEENS1_25partition_config_selectorILNS1_17partition_subalgoE3EjNS0_10empty_typeEbEEZZNS1_14partition_implILS8_3ELb0ES6_jNS0_17counting_iteratorIjlEEPS9_SE_NS0_5tupleIJPjSE_EEENSF_IJSE_SE_EEES9_SG_JZNS1_25segmented_radix_sort_implINS0_14default_configELb0EPKiPiPKlPlN2at6native12_GLOBAL__N_18offset_tEEE10hipError_tPvRmT1_PNSt15iterator_traitsISY_E10value_typeET2_T3_PNSZ_IS14_E10value_typeET4_jRbjT5_S1A_jjP12ihipStream_tbEUljE_EEESV_SW_SX_S14_S18_S1A_T6_T7_T9_mT8_S1C_bDpT10_ENKUlT_T0_E_clISt17integral_constantIbLb1EES1O_IbLb0EEEEDaS1K_S1L_EUlS1K_E_NS1_11comp_targetILNS1_3genE9ELNS1_11target_archE1100ELNS1_3gpuE3ELNS1_3repE0EEENS1_30default_config_static_selectorELNS0_4arch9wavefront6targetE0EEEvSY_.num_agpr, 0
	.set _ZN7rocprim17ROCPRIM_400000_NS6detail17trampoline_kernelINS0_13select_configILj256ELj13ELNS0_17block_load_methodE3ELS4_3ELS4_3ELNS0_20block_scan_algorithmE0ELj4294967295EEENS1_25partition_config_selectorILNS1_17partition_subalgoE3EjNS0_10empty_typeEbEEZZNS1_14partition_implILS8_3ELb0ES6_jNS0_17counting_iteratorIjlEEPS9_SE_NS0_5tupleIJPjSE_EEENSF_IJSE_SE_EEES9_SG_JZNS1_25segmented_radix_sort_implINS0_14default_configELb0EPKiPiPKlPlN2at6native12_GLOBAL__N_18offset_tEEE10hipError_tPvRmT1_PNSt15iterator_traitsISY_E10value_typeET2_T3_PNSZ_IS14_E10value_typeET4_jRbjT5_S1A_jjP12ihipStream_tbEUljE_EEESV_SW_SX_S14_S18_S1A_T6_T7_T9_mT8_S1C_bDpT10_ENKUlT_T0_E_clISt17integral_constantIbLb1EES1O_IbLb0EEEEDaS1K_S1L_EUlS1K_E_NS1_11comp_targetILNS1_3genE9ELNS1_11target_archE1100ELNS1_3gpuE3ELNS1_3repE0EEENS1_30default_config_static_selectorELNS0_4arch9wavefront6targetE0EEEvSY_.numbered_sgpr, 0
	.set _ZN7rocprim17ROCPRIM_400000_NS6detail17trampoline_kernelINS0_13select_configILj256ELj13ELNS0_17block_load_methodE3ELS4_3ELS4_3ELNS0_20block_scan_algorithmE0ELj4294967295EEENS1_25partition_config_selectorILNS1_17partition_subalgoE3EjNS0_10empty_typeEbEEZZNS1_14partition_implILS8_3ELb0ES6_jNS0_17counting_iteratorIjlEEPS9_SE_NS0_5tupleIJPjSE_EEENSF_IJSE_SE_EEES9_SG_JZNS1_25segmented_radix_sort_implINS0_14default_configELb0EPKiPiPKlPlN2at6native12_GLOBAL__N_18offset_tEEE10hipError_tPvRmT1_PNSt15iterator_traitsISY_E10value_typeET2_T3_PNSZ_IS14_E10value_typeET4_jRbjT5_S1A_jjP12ihipStream_tbEUljE_EEESV_SW_SX_S14_S18_S1A_T6_T7_T9_mT8_S1C_bDpT10_ENKUlT_T0_E_clISt17integral_constantIbLb1EES1O_IbLb0EEEEDaS1K_S1L_EUlS1K_E_NS1_11comp_targetILNS1_3genE9ELNS1_11target_archE1100ELNS1_3gpuE3ELNS1_3repE0EEENS1_30default_config_static_selectorELNS0_4arch9wavefront6targetE0EEEvSY_.num_named_barrier, 0
	.set _ZN7rocprim17ROCPRIM_400000_NS6detail17trampoline_kernelINS0_13select_configILj256ELj13ELNS0_17block_load_methodE3ELS4_3ELS4_3ELNS0_20block_scan_algorithmE0ELj4294967295EEENS1_25partition_config_selectorILNS1_17partition_subalgoE3EjNS0_10empty_typeEbEEZZNS1_14partition_implILS8_3ELb0ES6_jNS0_17counting_iteratorIjlEEPS9_SE_NS0_5tupleIJPjSE_EEENSF_IJSE_SE_EEES9_SG_JZNS1_25segmented_radix_sort_implINS0_14default_configELb0EPKiPiPKlPlN2at6native12_GLOBAL__N_18offset_tEEE10hipError_tPvRmT1_PNSt15iterator_traitsISY_E10value_typeET2_T3_PNSZ_IS14_E10value_typeET4_jRbjT5_S1A_jjP12ihipStream_tbEUljE_EEESV_SW_SX_S14_S18_S1A_T6_T7_T9_mT8_S1C_bDpT10_ENKUlT_T0_E_clISt17integral_constantIbLb1EES1O_IbLb0EEEEDaS1K_S1L_EUlS1K_E_NS1_11comp_targetILNS1_3genE9ELNS1_11target_archE1100ELNS1_3gpuE3ELNS1_3repE0EEENS1_30default_config_static_selectorELNS0_4arch9wavefront6targetE0EEEvSY_.private_seg_size, 0
	.set _ZN7rocprim17ROCPRIM_400000_NS6detail17trampoline_kernelINS0_13select_configILj256ELj13ELNS0_17block_load_methodE3ELS4_3ELS4_3ELNS0_20block_scan_algorithmE0ELj4294967295EEENS1_25partition_config_selectorILNS1_17partition_subalgoE3EjNS0_10empty_typeEbEEZZNS1_14partition_implILS8_3ELb0ES6_jNS0_17counting_iteratorIjlEEPS9_SE_NS0_5tupleIJPjSE_EEENSF_IJSE_SE_EEES9_SG_JZNS1_25segmented_radix_sort_implINS0_14default_configELb0EPKiPiPKlPlN2at6native12_GLOBAL__N_18offset_tEEE10hipError_tPvRmT1_PNSt15iterator_traitsISY_E10value_typeET2_T3_PNSZ_IS14_E10value_typeET4_jRbjT5_S1A_jjP12ihipStream_tbEUljE_EEESV_SW_SX_S14_S18_S1A_T6_T7_T9_mT8_S1C_bDpT10_ENKUlT_T0_E_clISt17integral_constantIbLb1EES1O_IbLb0EEEEDaS1K_S1L_EUlS1K_E_NS1_11comp_targetILNS1_3genE9ELNS1_11target_archE1100ELNS1_3gpuE3ELNS1_3repE0EEENS1_30default_config_static_selectorELNS0_4arch9wavefront6targetE0EEEvSY_.uses_vcc, 0
	.set _ZN7rocprim17ROCPRIM_400000_NS6detail17trampoline_kernelINS0_13select_configILj256ELj13ELNS0_17block_load_methodE3ELS4_3ELS4_3ELNS0_20block_scan_algorithmE0ELj4294967295EEENS1_25partition_config_selectorILNS1_17partition_subalgoE3EjNS0_10empty_typeEbEEZZNS1_14partition_implILS8_3ELb0ES6_jNS0_17counting_iteratorIjlEEPS9_SE_NS0_5tupleIJPjSE_EEENSF_IJSE_SE_EEES9_SG_JZNS1_25segmented_radix_sort_implINS0_14default_configELb0EPKiPiPKlPlN2at6native12_GLOBAL__N_18offset_tEEE10hipError_tPvRmT1_PNSt15iterator_traitsISY_E10value_typeET2_T3_PNSZ_IS14_E10value_typeET4_jRbjT5_S1A_jjP12ihipStream_tbEUljE_EEESV_SW_SX_S14_S18_S1A_T6_T7_T9_mT8_S1C_bDpT10_ENKUlT_T0_E_clISt17integral_constantIbLb1EES1O_IbLb0EEEEDaS1K_S1L_EUlS1K_E_NS1_11comp_targetILNS1_3genE9ELNS1_11target_archE1100ELNS1_3gpuE3ELNS1_3repE0EEENS1_30default_config_static_selectorELNS0_4arch9wavefront6targetE0EEEvSY_.uses_flat_scratch, 0
	.set _ZN7rocprim17ROCPRIM_400000_NS6detail17trampoline_kernelINS0_13select_configILj256ELj13ELNS0_17block_load_methodE3ELS4_3ELS4_3ELNS0_20block_scan_algorithmE0ELj4294967295EEENS1_25partition_config_selectorILNS1_17partition_subalgoE3EjNS0_10empty_typeEbEEZZNS1_14partition_implILS8_3ELb0ES6_jNS0_17counting_iteratorIjlEEPS9_SE_NS0_5tupleIJPjSE_EEENSF_IJSE_SE_EEES9_SG_JZNS1_25segmented_radix_sort_implINS0_14default_configELb0EPKiPiPKlPlN2at6native12_GLOBAL__N_18offset_tEEE10hipError_tPvRmT1_PNSt15iterator_traitsISY_E10value_typeET2_T3_PNSZ_IS14_E10value_typeET4_jRbjT5_S1A_jjP12ihipStream_tbEUljE_EEESV_SW_SX_S14_S18_S1A_T6_T7_T9_mT8_S1C_bDpT10_ENKUlT_T0_E_clISt17integral_constantIbLb1EES1O_IbLb0EEEEDaS1K_S1L_EUlS1K_E_NS1_11comp_targetILNS1_3genE9ELNS1_11target_archE1100ELNS1_3gpuE3ELNS1_3repE0EEENS1_30default_config_static_selectorELNS0_4arch9wavefront6targetE0EEEvSY_.has_dyn_sized_stack, 0
	.set _ZN7rocprim17ROCPRIM_400000_NS6detail17trampoline_kernelINS0_13select_configILj256ELj13ELNS0_17block_load_methodE3ELS4_3ELS4_3ELNS0_20block_scan_algorithmE0ELj4294967295EEENS1_25partition_config_selectorILNS1_17partition_subalgoE3EjNS0_10empty_typeEbEEZZNS1_14partition_implILS8_3ELb0ES6_jNS0_17counting_iteratorIjlEEPS9_SE_NS0_5tupleIJPjSE_EEENSF_IJSE_SE_EEES9_SG_JZNS1_25segmented_radix_sort_implINS0_14default_configELb0EPKiPiPKlPlN2at6native12_GLOBAL__N_18offset_tEEE10hipError_tPvRmT1_PNSt15iterator_traitsISY_E10value_typeET2_T3_PNSZ_IS14_E10value_typeET4_jRbjT5_S1A_jjP12ihipStream_tbEUljE_EEESV_SW_SX_S14_S18_S1A_T6_T7_T9_mT8_S1C_bDpT10_ENKUlT_T0_E_clISt17integral_constantIbLb1EES1O_IbLb0EEEEDaS1K_S1L_EUlS1K_E_NS1_11comp_targetILNS1_3genE9ELNS1_11target_archE1100ELNS1_3gpuE3ELNS1_3repE0EEENS1_30default_config_static_selectorELNS0_4arch9wavefront6targetE0EEEvSY_.has_recursion, 0
	.set _ZN7rocprim17ROCPRIM_400000_NS6detail17trampoline_kernelINS0_13select_configILj256ELj13ELNS0_17block_load_methodE3ELS4_3ELS4_3ELNS0_20block_scan_algorithmE0ELj4294967295EEENS1_25partition_config_selectorILNS1_17partition_subalgoE3EjNS0_10empty_typeEbEEZZNS1_14partition_implILS8_3ELb0ES6_jNS0_17counting_iteratorIjlEEPS9_SE_NS0_5tupleIJPjSE_EEENSF_IJSE_SE_EEES9_SG_JZNS1_25segmented_radix_sort_implINS0_14default_configELb0EPKiPiPKlPlN2at6native12_GLOBAL__N_18offset_tEEE10hipError_tPvRmT1_PNSt15iterator_traitsISY_E10value_typeET2_T3_PNSZ_IS14_E10value_typeET4_jRbjT5_S1A_jjP12ihipStream_tbEUljE_EEESV_SW_SX_S14_S18_S1A_T6_T7_T9_mT8_S1C_bDpT10_ENKUlT_T0_E_clISt17integral_constantIbLb1EES1O_IbLb0EEEEDaS1K_S1L_EUlS1K_E_NS1_11comp_targetILNS1_3genE9ELNS1_11target_archE1100ELNS1_3gpuE3ELNS1_3repE0EEENS1_30default_config_static_selectorELNS0_4arch9wavefront6targetE0EEEvSY_.has_indirect_call, 0
	.section	.AMDGPU.csdata,"",@progbits
; Kernel info:
; codeLenInByte = 0
; TotalNumSgprs: 0
; NumVgprs: 0
; ScratchSize: 0
; MemoryBound: 0
; FloatMode: 240
; IeeeMode: 1
; LDSByteSize: 0 bytes/workgroup (compile time only)
; SGPRBlocks: 0
; VGPRBlocks: 0
; NumSGPRsForWavesPerEU: 1
; NumVGPRsForWavesPerEU: 1
; NamedBarCnt: 0
; Occupancy: 16
; WaveLimiterHint : 0
; COMPUTE_PGM_RSRC2:SCRATCH_EN: 0
; COMPUTE_PGM_RSRC2:USER_SGPR: 2
; COMPUTE_PGM_RSRC2:TRAP_HANDLER: 0
; COMPUTE_PGM_RSRC2:TGID_X_EN: 1
; COMPUTE_PGM_RSRC2:TGID_Y_EN: 0
; COMPUTE_PGM_RSRC2:TGID_Z_EN: 0
; COMPUTE_PGM_RSRC2:TIDIG_COMP_CNT: 0
	.section	.text._ZN7rocprim17ROCPRIM_400000_NS6detail17trampoline_kernelINS0_13select_configILj256ELj13ELNS0_17block_load_methodE3ELS4_3ELS4_3ELNS0_20block_scan_algorithmE0ELj4294967295EEENS1_25partition_config_selectorILNS1_17partition_subalgoE3EjNS0_10empty_typeEbEEZZNS1_14partition_implILS8_3ELb0ES6_jNS0_17counting_iteratorIjlEEPS9_SE_NS0_5tupleIJPjSE_EEENSF_IJSE_SE_EEES9_SG_JZNS1_25segmented_radix_sort_implINS0_14default_configELb0EPKiPiPKlPlN2at6native12_GLOBAL__N_18offset_tEEE10hipError_tPvRmT1_PNSt15iterator_traitsISY_E10value_typeET2_T3_PNSZ_IS14_E10value_typeET4_jRbjT5_S1A_jjP12ihipStream_tbEUljE_EEESV_SW_SX_S14_S18_S1A_T6_T7_T9_mT8_S1C_bDpT10_ENKUlT_T0_E_clISt17integral_constantIbLb1EES1O_IbLb0EEEEDaS1K_S1L_EUlS1K_E_NS1_11comp_targetILNS1_3genE8ELNS1_11target_archE1030ELNS1_3gpuE2ELNS1_3repE0EEENS1_30default_config_static_selectorELNS0_4arch9wavefront6targetE0EEEvSY_,"axG",@progbits,_ZN7rocprim17ROCPRIM_400000_NS6detail17trampoline_kernelINS0_13select_configILj256ELj13ELNS0_17block_load_methodE3ELS4_3ELS4_3ELNS0_20block_scan_algorithmE0ELj4294967295EEENS1_25partition_config_selectorILNS1_17partition_subalgoE3EjNS0_10empty_typeEbEEZZNS1_14partition_implILS8_3ELb0ES6_jNS0_17counting_iteratorIjlEEPS9_SE_NS0_5tupleIJPjSE_EEENSF_IJSE_SE_EEES9_SG_JZNS1_25segmented_radix_sort_implINS0_14default_configELb0EPKiPiPKlPlN2at6native12_GLOBAL__N_18offset_tEEE10hipError_tPvRmT1_PNSt15iterator_traitsISY_E10value_typeET2_T3_PNSZ_IS14_E10value_typeET4_jRbjT5_S1A_jjP12ihipStream_tbEUljE_EEESV_SW_SX_S14_S18_S1A_T6_T7_T9_mT8_S1C_bDpT10_ENKUlT_T0_E_clISt17integral_constantIbLb1EES1O_IbLb0EEEEDaS1K_S1L_EUlS1K_E_NS1_11comp_targetILNS1_3genE8ELNS1_11target_archE1030ELNS1_3gpuE2ELNS1_3repE0EEENS1_30default_config_static_selectorELNS0_4arch9wavefront6targetE0EEEvSY_,comdat
	.globl	_ZN7rocprim17ROCPRIM_400000_NS6detail17trampoline_kernelINS0_13select_configILj256ELj13ELNS0_17block_load_methodE3ELS4_3ELS4_3ELNS0_20block_scan_algorithmE0ELj4294967295EEENS1_25partition_config_selectorILNS1_17partition_subalgoE3EjNS0_10empty_typeEbEEZZNS1_14partition_implILS8_3ELb0ES6_jNS0_17counting_iteratorIjlEEPS9_SE_NS0_5tupleIJPjSE_EEENSF_IJSE_SE_EEES9_SG_JZNS1_25segmented_radix_sort_implINS0_14default_configELb0EPKiPiPKlPlN2at6native12_GLOBAL__N_18offset_tEEE10hipError_tPvRmT1_PNSt15iterator_traitsISY_E10value_typeET2_T3_PNSZ_IS14_E10value_typeET4_jRbjT5_S1A_jjP12ihipStream_tbEUljE_EEESV_SW_SX_S14_S18_S1A_T6_T7_T9_mT8_S1C_bDpT10_ENKUlT_T0_E_clISt17integral_constantIbLb1EES1O_IbLb0EEEEDaS1K_S1L_EUlS1K_E_NS1_11comp_targetILNS1_3genE8ELNS1_11target_archE1030ELNS1_3gpuE2ELNS1_3repE0EEENS1_30default_config_static_selectorELNS0_4arch9wavefront6targetE0EEEvSY_ ; -- Begin function _ZN7rocprim17ROCPRIM_400000_NS6detail17trampoline_kernelINS0_13select_configILj256ELj13ELNS0_17block_load_methodE3ELS4_3ELS4_3ELNS0_20block_scan_algorithmE0ELj4294967295EEENS1_25partition_config_selectorILNS1_17partition_subalgoE3EjNS0_10empty_typeEbEEZZNS1_14partition_implILS8_3ELb0ES6_jNS0_17counting_iteratorIjlEEPS9_SE_NS0_5tupleIJPjSE_EEENSF_IJSE_SE_EEES9_SG_JZNS1_25segmented_radix_sort_implINS0_14default_configELb0EPKiPiPKlPlN2at6native12_GLOBAL__N_18offset_tEEE10hipError_tPvRmT1_PNSt15iterator_traitsISY_E10value_typeET2_T3_PNSZ_IS14_E10value_typeET4_jRbjT5_S1A_jjP12ihipStream_tbEUljE_EEESV_SW_SX_S14_S18_S1A_T6_T7_T9_mT8_S1C_bDpT10_ENKUlT_T0_E_clISt17integral_constantIbLb1EES1O_IbLb0EEEEDaS1K_S1L_EUlS1K_E_NS1_11comp_targetILNS1_3genE8ELNS1_11target_archE1030ELNS1_3gpuE2ELNS1_3repE0EEENS1_30default_config_static_selectorELNS0_4arch9wavefront6targetE0EEEvSY_
	.p2align	8
	.type	_ZN7rocprim17ROCPRIM_400000_NS6detail17trampoline_kernelINS0_13select_configILj256ELj13ELNS0_17block_load_methodE3ELS4_3ELS4_3ELNS0_20block_scan_algorithmE0ELj4294967295EEENS1_25partition_config_selectorILNS1_17partition_subalgoE3EjNS0_10empty_typeEbEEZZNS1_14partition_implILS8_3ELb0ES6_jNS0_17counting_iteratorIjlEEPS9_SE_NS0_5tupleIJPjSE_EEENSF_IJSE_SE_EEES9_SG_JZNS1_25segmented_radix_sort_implINS0_14default_configELb0EPKiPiPKlPlN2at6native12_GLOBAL__N_18offset_tEEE10hipError_tPvRmT1_PNSt15iterator_traitsISY_E10value_typeET2_T3_PNSZ_IS14_E10value_typeET4_jRbjT5_S1A_jjP12ihipStream_tbEUljE_EEESV_SW_SX_S14_S18_S1A_T6_T7_T9_mT8_S1C_bDpT10_ENKUlT_T0_E_clISt17integral_constantIbLb1EES1O_IbLb0EEEEDaS1K_S1L_EUlS1K_E_NS1_11comp_targetILNS1_3genE8ELNS1_11target_archE1030ELNS1_3gpuE2ELNS1_3repE0EEENS1_30default_config_static_selectorELNS0_4arch9wavefront6targetE0EEEvSY_,@function
_ZN7rocprim17ROCPRIM_400000_NS6detail17trampoline_kernelINS0_13select_configILj256ELj13ELNS0_17block_load_methodE3ELS4_3ELS4_3ELNS0_20block_scan_algorithmE0ELj4294967295EEENS1_25partition_config_selectorILNS1_17partition_subalgoE3EjNS0_10empty_typeEbEEZZNS1_14partition_implILS8_3ELb0ES6_jNS0_17counting_iteratorIjlEEPS9_SE_NS0_5tupleIJPjSE_EEENSF_IJSE_SE_EEES9_SG_JZNS1_25segmented_radix_sort_implINS0_14default_configELb0EPKiPiPKlPlN2at6native12_GLOBAL__N_18offset_tEEE10hipError_tPvRmT1_PNSt15iterator_traitsISY_E10value_typeET2_T3_PNSZ_IS14_E10value_typeET4_jRbjT5_S1A_jjP12ihipStream_tbEUljE_EEESV_SW_SX_S14_S18_S1A_T6_T7_T9_mT8_S1C_bDpT10_ENKUlT_T0_E_clISt17integral_constantIbLb1EES1O_IbLb0EEEEDaS1K_S1L_EUlS1K_E_NS1_11comp_targetILNS1_3genE8ELNS1_11target_archE1030ELNS1_3gpuE2ELNS1_3repE0EEENS1_30default_config_static_selectorELNS0_4arch9wavefront6targetE0EEEvSY_: ; @_ZN7rocprim17ROCPRIM_400000_NS6detail17trampoline_kernelINS0_13select_configILj256ELj13ELNS0_17block_load_methodE3ELS4_3ELS4_3ELNS0_20block_scan_algorithmE0ELj4294967295EEENS1_25partition_config_selectorILNS1_17partition_subalgoE3EjNS0_10empty_typeEbEEZZNS1_14partition_implILS8_3ELb0ES6_jNS0_17counting_iteratorIjlEEPS9_SE_NS0_5tupleIJPjSE_EEENSF_IJSE_SE_EEES9_SG_JZNS1_25segmented_radix_sort_implINS0_14default_configELb0EPKiPiPKlPlN2at6native12_GLOBAL__N_18offset_tEEE10hipError_tPvRmT1_PNSt15iterator_traitsISY_E10value_typeET2_T3_PNSZ_IS14_E10value_typeET4_jRbjT5_S1A_jjP12ihipStream_tbEUljE_EEESV_SW_SX_S14_S18_S1A_T6_T7_T9_mT8_S1C_bDpT10_ENKUlT_T0_E_clISt17integral_constantIbLb1EES1O_IbLb0EEEEDaS1K_S1L_EUlS1K_E_NS1_11comp_targetILNS1_3genE8ELNS1_11target_archE1030ELNS1_3gpuE2ELNS1_3repE0EEENS1_30default_config_static_selectorELNS0_4arch9wavefront6targetE0EEEvSY_
; %bb.0:
	.section	.rodata,"a",@progbits
	.p2align	6, 0x0
	.amdhsa_kernel _ZN7rocprim17ROCPRIM_400000_NS6detail17trampoline_kernelINS0_13select_configILj256ELj13ELNS0_17block_load_methodE3ELS4_3ELS4_3ELNS0_20block_scan_algorithmE0ELj4294967295EEENS1_25partition_config_selectorILNS1_17partition_subalgoE3EjNS0_10empty_typeEbEEZZNS1_14partition_implILS8_3ELb0ES6_jNS0_17counting_iteratorIjlEEPS9_SE_NS0_5tupleIJPjSE_EEENSF_IJSE_SE_EEES9_SG_JZNS1_25segmented_radix_sort_implINS0_14default_configELb0EPKiPiPKlPlN2at6native12_GLOBAL__N_18offset_tEEE10hipError_tPvRmT1_PNSt15iterator_traitsISY_E10value_typeET2_T3_PNSZ_IS14_E10value_typeET4_jRbjT5_S1A_jjP12ihipStream_tbEUljE_EEESV_SW_SX_S14_S18_S1A_T6_T7_T9_mT8_S1C_bDpT10_ENKUlT_T0_E_clISt17integral_constantIbLb1EES1O_IbLb0EEEEDaS1K_S1L_EUlS1K_E_NS1_11comp_targetILNS1_3genE8ELNS1_11target_archE1030ELNS1_3gpuE2ELNS1_3repE0EEENS1_30default_config_static_selectorELNS0_4arch9wavefront6targetE0EEEvSY_
		.amdhsa_group_segment_fixed_size 0
		.amdhsa_private_segment_fixed_size 0
		.amdhsa_kernarg_size 144
		.amdhsa_user_sgpr_count 2
		.amdhsa_user_sgpr_dispatch_ptr 0
		.amdhsa_user_sgpr_queue_ptr 0
		.amdhsa_user_sgpr_kernarg_segment_ptr 1
		.amdhsa_user_sgpr_dispatch_id 0
		.amdhsa_user_sgpr_kernarg_preload_length 0
		.amdhsa_user_sgpr_kernarg_preload_offset 0
		.amdhsa_user_sgpr_private_segment_size 0
		.amdhsa_wavefront_size32 1
		.amdhsa_uses_dynamic_stack 0
		.amdhsa_enable_private_segment 0
		.amdhsa_system_sgpr_workgroup_id_x 1
		.amdhsa_system_sgpr_workgroup_id_y 0
		.amdhsa_system_sgpr_workgroup_id_z 0
		.amdhsa_system_sgpr_workgroup_info 0
		.amdhsa_system_vgpr_workitem_id 0
		.amdhsa_next_free_vgpr 1
		.amdhsa_next_free_sgpr 1
		.amdhsa_named_barrier_count 0
		.amdhsa_reserve_vcc 0
		.amdhsa_float_round_mode_32 0
		.amdhsa_float_round_mode_16_64 0
		.amdhsa_float_denorm_mode_32 3
		.amdhsa_float_denorm_mode_16_64 3
		.amdhsa_fp16_overflow 0
		.amdhsa_memory_ordered 1
		.amdhsa_forward_progress 1
		.amdhsa_inst_pref_size 0
		.amdhsa_round_robin_scheduling 0
		.amdhsa_exception_fp_ieee_invalid_op 0
		.amdhsa_exception_fp_denorm_src 0
		.amdhsa_exception_fp_ieee_div_zero 0
		.amdhsa_exception_fp_ieee_overflow 0
		.amdhsa_exception_fp_ieee_underflow 0
		.amdhsa_exception_fp_ieee_inexact 0
		.amdhsa_exception_int_div_zero 0
	.end_amdhsa_kernel
	.section	.text._ZN7rocprim17ROCPRIM_400000_NS6detail17trampoline_kernelINS0_13select_configILj256ELj13ELNS0_17block_load_methodE3ELS4_3ELS4_3ELNS0_20block_scan_algorithmE0ELj4294967295EEENS1_25partition_config_selectorILNS1_17partition_subalgoE3EjNS0_10empty_typeEbEEZZNS1_14partition_implILS8_3ELb0ES6_jNS0_17counting_iteratorIjlEEPS9_SE_NS0_5tupleIJPjSE_EEENSF_IJSE_SE_EEES9_SG_JZNS1_25segmented_radix_sort_implINS0_14default_configELb0EPKiPiPKlPlN2at6native12_GLOBAL__N_18offset_tEEE10hipError_tPvRmT1_PNSt15iterator_traitsISY_E10value_typeET2_T3_PNSZ_IS14_E10value_typeET4_jRbjT5_S1A_jjP12ihipStream_tbEUljE_EEESV_SW_SX_S14_S18_S1A_T6_T7_T9_mT8_S1C_bDpT10_ENKUlT_T0_E_clISt17integral_constantIbLb1EES1O_IbLb0EEEEDaS1K_S1L_EUlS1K_E_NS1_11comp_targetILNS1_3genE8ELNS1_11target_archE1030ELNS1_3gpuE2ELNS1_3repE0EEENS1_30default_config_static_selectorELNS0_4arch9wavefront6targetE0EEEvSY_,"axG",@progbits,_ZN7rocprim17ROCPRIM_400000_NS6detail17trampoline_kernelINS0_13select_configILj256ELj13ELNS0_17block_load_methodE3ELS4_3ELS4_3ELNS0_20block_scan_algorithmE0ELj4294967295EEENS1_25partition_config_selectorILNS1_17partition_subalgoE3EjNS0_10empty_typeEbEEZZNS1_14partition_implILS8_3ELb0ES6_jNS0_17counting_iteratorIjlEEPS9_SE_NS0_5tupleIJPjSE_EEENSF_IJSE_SE_EEES9_SG_JZNS1_25segmented_radix_sort_implINS0_14default_configELb0EPKiPiPKlPlN2at6native12_GLOBAL__N_18offset_tEEE10hipError_tPvRmT1_PNSt15iterator_traitsISY_E10value_typeET2_T3_PNSZ_IS14_E10value_typeET4_jRbjT5_S1A_jjP12ihipStream_tbEUljE_EEESV_SW_SX_S14_S18_S1A_T6_T7_T9_mT8_S1C_bDpT10_ENKUlT_T0_E_clISt17integral_constantIbLb1EES1O_IbLb0EEEEDaS1K_S1L_EUlS1K_E_NS1_11comp_targetILNS1_3genE8ELNS1_11target_archE1030ELNS1_3gpuE2ELNS1_3repE0EEENS1_30default_config_static_selectorELNS0_4arch9wavefront6targetE0EEEvSY_,comdat
.Lfunc_end587:
	.size	_ZN7rocprim17ROCPRIM_400000_NS6detail17trampoline_kernelINS0_13select_configILj256ELj13ELNS0_17block_load_methodE3ELS4_3ELS4_3ELNS0_20block_scan_algorithmE0ELj4294967295EEENS1_25partition_config_selectorILNS1_17partition_subalgoE3EjNS0_10empty_typeEbEEZZNS1_14partition_implILS8_3ELb0ES6_jNS0_17counting_iteratorIjlEEPS9_SE_NS0_5tupleIJPjSE_EEENSF_IJSE_SE_EEES9_SG_JZNS1_25segmented_radix_sort_implINS0_14default_configELb0EPKiPiPKlPlN2at6native12_GLOBAL__N_18offset_tEEE10hipError_tPvRmT1_PNSt15iterator_traitsISY_E10value_typeET2_T3_PNSZ_IS14_E10value_typeET4_jRbjT5_S1A_jjP12ihipStream_tbEUljE_EEESV_SW_SX_S14_S18_S1A_T6_T7_T9_mT8_S1C_bDpT10_ENKUlT_T0_E_clISt17integral_constantIbLb1EES1O_IbLb0EEEEDaS1K_S1L_EUlS1K_E_NS1_11comp_targetILNS1_3genE8ELNS1_11target_archE1030ELNS1_3gpuE2ELNS1_3repE0EEENS1_30default_config_static_selectorELNS0_4arch9wavefront6targetE0EEEvSY_, .Lfunc_end587-_ZN7rocprim17ROCPRIM_400000_NS6detail17trampoline_kernelINS0_13select_configILj256ELj13ELNS0_17block_load_methodE3ELS4_3ELS4_3ELNS0_20block_scan_algorithmE0ELj4294967295EEENS1_25partition_config_selectorILNS1_17partition_subalgoE3EjNS0_10empty_typeEbEEZZNS1_14partition_implILS8_3ELb0ES6_jNS0_17counting_iteratorIjlEEPS9_SE_NS0_5tupleIJPjSE_EEENSF_IJSE_SE_EEES9_SG_JZNS1_25segmented_radix_sort_implINS0_14default_configELb0EPKiPiPKlPlN2at6native12_GLOBAL__N_18offset_tEEE10hipError_tPvRmT1_PNSt15iterator_traitsISY_E10value_typeET2_T3_PNSZ_IS14_E10value_typeET4_jRbjT5_S1A_jjP12ihipStream_tbEUljE_EEESV_SW_SX_S14_S18_S1A_T6_T7_T9_mT8_S1C_bDpT10_ENKUlT_T0_E_clISt17integral_constantIbLb1EES1O_IbLb0EEEEDaS1K_S1L_EUlS1K_E_NS1_11comp_targetILNS1_3genE8ELNS1_11target_archE1030ELNS1_3gpuE2ELNS1_3repE0EEENS1_30default_config_static_selectorELNS0_4arch9wavefront6targetE0EEEvSY_
                                        ; -- End function
	.set _ZN7rocprim17ROCPRIM_400000_NS6detail17trampoline_kernelINS0_13select_configILj256ELj13ELNS0_17block_load_methodE3ELS4_3ELS4_3ELNS0_20block_scan_algorithmE0ELj4294967295EEENS1_25partition_config_selectorILNS1_17partition_subalgoE3EjNS0_10empty_typeEbEEZZNS1_14partition_implILS8_3ELb0ES6_jNS0_17counting_iteratorIjlEEPS9_SE_NS0_5tupleIJPjSE_EEENSF_IJSE_SE_EEES9_SG_JZNS1_25segmented_radix_sort_implINS0_14default_configELb0EPKiPiPKlPlN2at6native12_GLOBAL__N_18offset_tEEE10hipError_tPvRmT1_PNSt15iterator_traitsISY_E10value_typeET2_T3_PNSZ_IS14_E10value_typeET4_jRbjT5_S1A_jjP12ihipStream_tbEUljE_EEESV_SW_SX_S14_S18_S1A_T6_T7_T9_mT8_S1C_bDpT10_ENKUlT_T0_E_clISt17integral_constantIbLb1EES1O_IbLb0EEEEDaS1K_S1L_EUlS1K_E_NS1_11comp_targetILNS1_3genE8ELNS1_11target_archE1030ELNS1_3gpuE2ELNS1_3repE0EEENS1_30default_config_static_selectorELNS0_4arch9wavefront6targetE0EEEvSY_.num_vgpr, 0
	.set _ZN7rocprim17ROCPRIM_400000_NS6detail17trampoline_kernelINS0_13select_configILj256ELj13ELNS0_17block_load_methodE3ELS4_3ELS4_3ELNS0_20block_scan_algorithmE0ELj4294967295EEENS1_25partition_config_selectorILNS1_17partition_subalgoE3EjNS0_10empty_typeEbEEZZNS1_14partition_implILS8_3ELb0ES6_jNS0_17counting_iteratorIjlEEPS9_SE_NS0_5tupleIJPjSE_EEENSF_IJSE_SE_EEES9_SG_JZNS1_25segmented_radix_sort_implINS0_14default_configELb0EPKiPiPKlPlN2at6native12_GLOBAL__N_18offset_tEEE10hipError_tPvRmT1_PNSt15iterator_traitsISY_E10value_typeET2_T3_PNSZ_IS14_E10value_typeET4_jRbjT5_S1A_jjP12ihipStream_tbEUljE_EEESV_SW_SX_S14_S18_S1A_T6_T7_T9_mT8_S1C_bDpT10_ENKUlT_T0_E_clISt17integral_constantIbLb1EES1O_IbLb0EEEEDaS1K_S1L_EUlS1K_E_NS1_11comp_targetILNS1_3genE8ELNS1_11target_archE1030ELNS1_3gpuE2ELNS1_3repE0EEENS1_30default_config_static_selectorELNS0_4arch9wavefront6targetE0EEEvSY_.num_agpr, 0
	.set _ZN7rocprim17ROCPRIM_400000_NS6detail17trampoline_kernelINS0_13select_configILj256ELj13ELNS0_17block_load_methodE3ELS4_3ELS4_3ELNS0_20block_scan_algorithmE0ELj4294967295EEENS1_25partition_config_selectorILNS1_17partition_subalgoE3EjNS0_10empty_typeEbEEZZNS1_14partition_implILS8_3ELb0ES6_jNS0_17counting_iteratorIjlEEPS9_SE_NS0_5tupleIJPjSE_EEENSF_IJSE_SE_EEES9_SG_JZNS1_25segmented_radix_sort_implINS0_14default_configELb0EPKiPiPKlPlN2at6native12_GLOBAL__N_18offset_tEEE10hipError_tPvRmT1_PNSt15iterator_traitsISY_E10value_typeET2_T3_PNSZ_IS14_E10value_typeET4_jRbjT5_S1A_jjP12ihipStream_tbEUljE_EEESV_SW_SX_S14_S18_S1A_T6_T7_T9_mT8_S1C_bDpT10_ENKUlT_T0_E_clISt17integral_constantIbLb1EES1O_IbLb0EEEEDaS1K_S1L_EUlS1K_E_NS1_11comp_targetILNS1_3genE8ELNS1_11target_archE1030ELNS1_3gpuE2ELNS1_3repE0EEENS1_30default_config_static_selectorELNS0_4arch9wavefront6targetE0EEEvSY_.numbered_sgpr, 0
	.set _ZN7rocprim17ROCPRIM_400000_NS6detail17trampoline_kernelINS0_13select_configILj256ELj13ELNS0_17block_load_methodE3ELS4_3ELS4_3ELNS0_20block_scan_algorithmE0ELj4294967295EEENS1_25partition_config_selectorILNS1_17partition_subalgoE3EjNS0_10empty_typeEbEEZZNS1_14partition_implILS8_3ELb0ES6_jNS0_17counting_iteratorIjlEEPS9_SE_NS0_5tupleIJPjSE_EEENSF_IJSE_SE_EEES9_SG_JZNS1_25segmented_radix_sort_implINS0_14default_configELb0EPKiPiPKlPlN2at6native12_GLOBAL__N_18offset_tEEE10hipError_tPvRmT1_PNSt15iterator_traitsISY_E10value_typeET2_T3_PNSZ_IS14_E10value_typeET4_jRbjT5_S1A_jjP12ihipStream_tbEUljE_EEESV_SW_SX_S14_S18_S1A_T6_T7_T9_mT8_S1C_bDpT10_ENKUlT_T0_E_clISt17integral_constantIbLb1EES1O_IbLb0EEEEDaS1K_S1L_EUlS1K_E_NS1_11comp_targetILNS1_3genE8ELNS1_11target_archE1030ELNS1_3gpuE2ELNS1_3repE0EEENS1_30default_config_static_selectorELNS0_4arch9wavefront6targetE0EEEvSY_.num_named_barrier, 0
	.set _ZN7rocprim17ROCPRIM_400000_NS6detail17trampoline_kernelINS0_13select_configILj256ELj13ELNS0_17block_load_methodE3ELS4_3ELS4_3ELNS0_20block_scan_algorithmE0ELj4294967295EEENS1_25partition_config_selectorILNS1_17partition_subalgoE3EjNS0_10empty_typeEbEEZZNS1_14partition_implILS8_3ELb0ES6_jNS0_17counting_iteratorIjlEEPS9_SE_NS0_5tupleIJPjSE_EEENSF_IJSE_SE_EEES9_SG_JZNS1_25segmented_radix_sort_implINS0_14default_configELb0EPKiPiPKlPlN2at6native12_GLOBAL__N_18offset_tEEE10hipError_tPvRmT1_PNSt15iterator_traitsISY_E10value_typeET2_T3_PNSZ_IS14_E10value_typeET4_jRbjT5_S1A_jjP12ihipStream_tbEUljE_EEESV_SW_SX_S14_S18_S1A_T6_T7_T9_mT8_S1C_bDpT10_ENKUlT_T0_E_clISt17integral_constantIbLb1EES1O_IbLb0EEEEDaS1K_S1L_EUlS1K_E_NS1_11comp_targetILNS1_3genE8ELNS1_11target_archE1030ELNS1_3gpuE2ELNS1_3repE0EEENS1_30default_config_static_selectorELNS0_4arch9wavefront6targetE0EEEvSY_.private_seg_size, 0
	.set _ZN7rocprim17ROCPRIM_400000_NS6detail17trampoline_kernelINS0_13select_configILj256ELj13ELNS0_17block_load_methodE3ELS4_3ELS4_3ELNS0_20block_scan_algorithmE0ELj4294967295EEENS1_25partition_config_selectorILNS1_17partition_subalgoE3EjNS0_10empty_typeEbEEZZNS1_14partition_implILS8_3ELb0ES6_jNS0_17counting_iteratorIjlEEPS9_SE_NS0_5tupleIJPjSE_EEENSF_IJSE_SE_EEES9_SG_JZNS1_25segmented_radix_sort_implINS0_14default_configELb0EPKiPiPKlPlN2at6native12_GLOBAL__N_18offset_tEEE10hipError_tPvRmT1_PNSt15iterator_traitsISY_E10value_typeET2_T3_PNSZ_IS14_E10value_typeET4_jRbjT5_S1A_jjP12ihipStream_tbEUljE_EEESV_SW_SX_S14_S18_S1A_T6_T7_T9_mT8_S1C_bDpT10_ENKUlT_T0_E_clISt17integral_constantIbLb1EES1O_IbLb0EEEEDaS1K_S1L_EUlS1K_E_NS1_11comp_targetILNS1_3genE8ELNS1_11target_archE1030ELNS1_3gpuE2ELNS1_3repE0EEENS1_30default_config_static_selectorELNS0_4arch9wavefront6targetE0EEEvSY_.uses_vcc, 0
	.set _ZN7rocprim17ROCPRIM_400000_NS6detail17trampoline_kernelINS0_13select_configILj256ELj13ELNS0_17block_load_methodE3ELS4_3ELS4_3ELNS0_20block_scan_algorithmE0ELj4294967295EEENS1_25partition_config_selectorILNS1_17partition_subalgoE3EjNS0_10empty_typeEbEEZZNS1_14partition_implILS8_3ELb0ES6_jNS0_17counting_iteratorIjlEEPS9_SE_NS0_5tupleIJPjSE_EEENSF_IJSE_SE_EEES9_SG_JZNS1_25segmented_radix_sort_implINS0_14default_configELb0EPKiPiPKlPlN2at6native12_GLOBAL__N_18offset_tEEE10hipError_tPvRmT1_PNSt15iterator_traitsISY_E10value_typeET2_T3_PNSZ_IS14_E10value_typeET4_jRbjT5_S1A_jjP12ihipStream_tbEUljE_EEESV_SW_SX_S14_S18_S1A_T6_T7_T9_mT8_S1C_bDpT10_ENKUlT_T0_E_clISt17integral_constantIbLb1EES1O_IbLb0EEEEDaS1K_S1L_EUlS1K_E_NS1_11comp_targetILNS1_3genE8ELNS1_11target_archE1030ELNS1_3gpuE2ELNS1_3repE0EEENS1_30default_config_static_selectorELNS0_4arch9wavefront6targetE0EEEvSY_.uses_flat_scratch, 0
	.set _ZN7rocprim17ROCPRIM_400000_NS6detail17trampoline_kernelINS0_13select_configILj256ELj13ELNS0_17block_load_methodE3ELS4_3ELS4_3ELNS0_20block_scan_algorithmE0ELj4294967295EEENS1_25partition_config_selectorILNS1_17partition_subalgoE3EjNS0_10empty_typeEbEEZZNS1_14partition_implILS8_3ELb0ES6_jNS0_17counting_iteratorIjlEEPS9_SE_NS0_5tupleIJPjSE_EEENSF_IJSE_SE_EEES9_SG_JZNS1_25segmented_radix_sort_implINS0_14default_configELb0EPKiPiPKlPlN2at6native12_GLOBAL__N_18offset_tEEE10hipError_tPvRmT1_PNSt15iterator_traitsISY_E10value_typeET2_T3_PNSZ_IS14_E10value_typeET4_jRbjT5_S1A_jjP12ihipStream_tbEUljE_EEESV_SW_SX_S14_S18_S1A_T6_T7_T9_mT8_S1C_bDpT10_ENKUlT_T0_E_clISt17integral_constantIbLb1EES1O_IbLb0EEEEDaS1K_S1L_EUlS1K_E_NS1_11comp_targetILNS1_3genE8ELNS1_11target_archE1030ELNS1_3gpuE2ELNS1_3repE0EEENS1_30default_config_static_selectorELNS0_4arch9wavefront6targetE0EEEvSY_.has_dyn_sized_stack, 0
	.set _ZN7rocprim17ROCPRIM_400000_NS6detail17trampoline_kernelINS0_13select_configILj256ELj13ELNS0_17block_load_methodE3ELS4_3ELS4_3ELNS0_20block_scan_algorithmE0ELj4294967295EEENS1_25partition_config_selectorILNS1_17partition_subalgoE3EjNS0_10empty_typeEbEEZZNS1_14partition_implILS8_3ELb0ES6_jNS0_17counting_iteratorIjlEEPS9_SE_NS0_5tupleIJPjSE_EEENSF_IJSE_SE_EEES9_SG_JZNS1_25segmented_radix_sort_implINS0_14default_configELb0EPKiPiPKlPlN2at6native12_GLOBAL__N_18offset_tEEE10hipError_tPvRmT1_PNSt15iterator_traitsISY_E10value_typeET2_T3_PNSZ_IS14_E10value_typeET4_jRbjT5_S1A_jjP12ihipStream_tbEUljE_EEESV_SW_SX_S14_S18_S1A_T6_T7_T9_mT8_S1C_bDpT10_ENKUlT_T0_E_clISt17integral_constantIbLb1EES1O_IbLb0EEEEDaS1K_S1L_EUlS1K_E_NS1_11comp_targetILNS1_3genE8ELNS1_11target_archE1030ELNS1_3gpuE2ELNS1_3repE0EEENS1_30default_config_static_selectorELNS0_4arch9wavefront6targetE0EEEvSY_.has_recursion, 0
	.set _ZN7rocprim17ROCPRIM_400000_NS6detail17trampoline_kernelINS0_13select_configILj256ELj13ELNS0_17block_load_methodE3ELS4_3ELS4_3ELNS0_20block_scan_algorithmE0ELj4294967295EEENS1_25partition_config_selectorILNS1_17partition_subalgoE3EjNS0_10empty_typeEbEEZZNS1_14partition_implILS8_3ELb0ES6_jNS0_17counting_iteratorIjlEEPS9_SE_NS0_5tupleIJPjSE_EEENSF_IJSE_SE_EEES9_SG_JZNS1_25segmented_radix_sort_implINS0_14default_configELb0EPKiPiPKlPlN2at6native12_GLOBAL__N_18offset_tEEE10hipError_tPvRmT1_PNSt15iterator_traitsISY_E10value_typeET2_T3_PNSZ_IS14_E10value_typeET4_jRbjT5_S1A_jjP12ihipStream_tbEUljE_EEESV_SW_SX_S14_S18_S1A_T6_T7_T9_mT8_S1C_bDpT10_ENKUlT_T0_E_clISt17integral_constantIbLb1EES1O_IbLb0EEEEDaS1K_S1L_EUlS1K_E_NS1_11comp_targetILNS1_3genE8ELNS1_11target_archE1030ELNS1_3gpuE2ELNS1_3repE0EEENS1_30default_config_static_selectorELNS0_4arch9wavefront6targetE0EEEvSY_.has_indirect_call, 0
	.section	.AMDGPU.csdata,"",@progbits
; Kernel info:
; codeLenInByte = 0
; TotalNumSgprs: 0
; NumVgprs: 0
; ScratchSize: 0
; MemoryBound: 0
; FloatMode: 240
; IeeeMode: 1
; LDSByteSize: 0 bytes/workgroup (compile time only)
; SGPRBlocks: 0
; VGPRBlocks: 0
; NumSGPRsForWavesPerEU: 1
; NumVGPRsForWavesPerEU: 1
; NamedBarCnt: 0
; Occupancy: 16
; WaveLimiterHint : 0
; COMPUTE_PGM_RSRC2:SCRATCH_EN: 0
; COMPUTE_PGM_RSRC2:USER_SGPR: 2
; COMPUTE_PGM_RSRC2:TRAP_HANDLER: 0
; COMPUTE_PGM_RSRC2:TGID_X_EN: 1
; COMPUTE_PGM_RSRC2:TGID_Y_EN: 0
; COMPUTE_PGM_RSRC2:TGID_Z_EN: 0
; COMPUTE_PGM_RSRC2:TIDIG_COMP_CNT: 0
	.section	.text._ZN7rocprim17ROCPRIM_400000_NS6detail17trampoline_kernelINS0_13select_configILj256ELj13ELNS0_17block_load_methodE3ELS4_3ELS4_3ELNS0_20block_scan_algorithmE0ELj4294967295EEENS1_25partition_config_selectorILNS1_17partition_subalgoE3EjNS0_10empty_typeEbEEZZNS1_14partition_implILS8_3ELb0ES6_jNS0_17counting_iteratorIjlEEPS9_SE_NS0_5tupleIJPjSE_EEENSF_IJSE_SE_EEES9_SG_JZNS1_25segmented_radix_sort_implINS0_14default_configELb0EPKiPiPKlPlN2at6native12_GLOBAL__N_18offset_tEEE10hipError_tPvRmT1_PNSt15iterator_traitsISY_E10value_typeET2_T3_PNSZ_IS14_E10value_typeET4_jRbjT5_S1A_jjP12ihipStream_tbEUljE_EEESV_SW_SX_S14_S18_S1A_T6_T7_T9_mT8_S1C_bDpT10_ENKUlT_T0_E_clISt17integral_constantIbLb0EES1O_IbLb1EEEEDaS1K_S1L_EUlS1K_E_NS1_11comp_targetILNS1_3genE0ELNS1_11target_archE4294967295ELNS1_3gpuE0ELNS1_3repE0EEENS1_30default_config_static_selectorELNS0_4arch9wavefront6targetE0EEEvSY_,"axG",@progbits,_ZN7rocprim17ROCPRIM_400000_NS6detail17trampoline_kernelINS0_13select_configILj256ELj13ELNS0_17block_load_methodE3ELS4_3ELS4_3ELNS0_20block_scan_algorithmE0ELj4294967295EEENS1_25partition_config_selectorILNS1_17partition_subalgoE3EjNS0_10empty_typeEbEEZZNS1_14partition_implILS8_3ELb0ES6_jNS0_17counting_iteratorIjlEEPS9_SE_NS0_5tupleIJPjSE_EEENSF_IJSE_SE_EEES9_SG_JZNS1_25segmented_radix_sort_implINS0_14default_configELb0EPKiPiPKlPlN2at6native12_GLOBAL__N_18offset_tEEE10hipError_tPvRmT1_PNSt15iterator_traitsISY_E10value_typeET2_T3_PNSZ_IS14_E10value_typeET4_jRbjT5_S1A_jjP12ihipStream_tbEUljE_EEESV_SW_SX_S14_S18_S1A_T6_T7_T9_mT8_S1C_bDpT10_ENKUlT_T0_E_clISt17integral_constantIbLb0EES1O_IbLb1EEEEDaS1K_S1L_EUlS1K_E_NS1_11comp_targetILNS1_3genE0ELNS1_11target_archE4294967295ELNS1_3gpuE0ELNS1_3repE0EEENS1_30default_config_static_selectorELNS0_4arch9wavefront6targetE0EEEvSY_,comdat
	.globl	_ZN7rocprim17ROCPRIM_400000_NS6detail17trampoline_kernelINS0_13select_configILj256ELj13ELNS0_17block_load_methodE3ELS4_3ELS4_3ELNS0_20block_scan_algorithmE0ELj4294967295EEENS1_25partition_config_selectorILNS1_17partition_subalgoE3EjNS0_10empty_typeEbEEZZNS1_14partition_implILS8_3ELb0ES6_jNS0_17counting_iteratorIjlEEPS9_SE_NS0_5tupleIJPjSE_EEENSF_IJSE_SE_EEES9_SG_JZNS1_25segmented_radix_sort_implINS0_14default_configELb0EPKiPiPKlPlN2at6native12_GLOBAL__N_18offset_tEEE10hipError_tPvRmT1_PNSt15iterator_traitsISY_E10value_typeET2_T3_PNSZ_IS14_E10value_typeET4_jRbjT5_S1A_jjP12ihipStream_tbEUljE_EEESV_SW_SX_S14_S18_S1A_T6_T7_T9_mT8_S1C_bDpT10_ENKUlT_T0_E_clISt17integral_constantIbLb0EES1O_IbLb1EEEEDaS1K_S1L_EUlS1K_E_NS1_11comp_targetILNS1_3genE0ELNS1_11target_archE4294967295ELNS1_3gpuE0ELNS1_3repE0EEENS1_30default_config_static_selectorELNS0_4arch9wavefront6targetE0EEEvSY_ ; -- Begin function _ZN7rocprim17ROCPRIM_400000_NS6detail17trampoline_kernelINS0_13select_configILj256ELj13ELNS0_17block_load_methodE3ELS4_3ELS4_3ELNS0_20block_scan_algorithmE0ELj4294967295EEENS1_25partition_config_selectorILNS1_17partition_subalgoE3EjNS0_10empty_typeEbEEZZNS1_14partition_implILS8_3ELb0ES6_jNS0_17counting_iteratorIjlEEPS9_SE_NS0_5tupleIJPjSE_EEENSF_IJSE_SE_EEES9_SG_JZNS1_25segmented_radix_sort_implINS0_14default_configELb0EPKiPiPKlPlN2at6native12_GLOBAL__N_18offset_tEEE10hipError_tPvRmT1_PNSt15iterator_traitsISY_E10value_typeET2_T3_PNSZ_IS14_E10value_typeET4_jRbjT5_S1A_jjP12ihipStream_tbEUljE_EEESV_SW_SX_S14_S18_S1A_T6_T7_T9_mT8_S1C_bDpT10_ENKUlT_T0_E_clISt17integral_constantIbLb0EES1O_IbLb1EEEEDaS1K_S1L_EUlS1K_E_NS1_11comp_targetILNS1_3genE0ELNS1_11target_archE4294967295ELNS1_3gpuE0ELNS1_3repE0EEENS1_30default_config_static_selectorELNS0_4arch9wavefront6targetE0EEEvSY_
	.p2align	8
	.type	_ZN7rocprim17ROCPRIM_400000_NS6detail17trampoline_kernelINS0_13select_configILj256ELj13ELNS0_17block_load_methodE3ELS4_3ELS4_3ELNS0_20block_scan_algorithmE0ELj4294967295EEENS1_25partition_config_selectorILNS1_17partition_subalgoE3EjNS0_10empty_typeEbEEZZNS1_14partition_implILS8_3ELb0ES6_jNS0_17counting_iteratorIjlEEPS9_SE_NS0_5tupleIJPjSE_EEENSF_IJSE_SE_EEES9_SG_JZNS1_25segmented_radix_sort_implINS0_14default_configELb0EPKiPiPKlPlN2at6native12_GLOBAL__N_18offset_tEEE10hipError_tPvRmT1_PNSt15iterator_traitsISY_E10value_typeET2_T3_PNSZ_IS14_E10value_typeET4_jRbjT5_S1A_jjP12ihipStream_tbEUljE_EEESV_SW_SX_S14_S18_S1A_T6_T7_T9_mT8_S1C_bDpT10_ENKUlT_T0_E_clISt17integral_constantIbLb0EES1O_IbLb1EEEEDaS1K_S1L_EUlS1K_E_NS1_11comp_targetILNS1_3genE0ELNS1_11target_archE4294967295ELNS1_3gpuE0ELNS1_3repE0EEENS1_30default_config_static_selectorELNS0_4arch9wavefront6targetE0EEEvSY_,@function
_ZN7rocprim17ROCPRIM_400000_NS6detail17trampoline_kernelINS0_13select_configILj256ELj13ELNS0_17block_load_methodE3ELS4_3ELS4_3ELNS0_20block_scan_algorithmE0ELj4294967295EEENS1_25partition_config_selectorILNS1_17partition_subalgoE3EjNS0_10empty_typeEbEEZZNS1_14partition_implILS8_3ELb0ES6_jNS0_17counting_iteratorIjlEEPS9_SE_NS0_5tupleIJPjSE_EEENSF_IJSE_SE_EEES9_SG_JZNS1_25segmented_radix_sort_implINS0_14default_configELb0EPKiPiPKlPlN2at6native12_GLOBAL__N_18offset_tEEE10hipError_tPvRmT1_PNSt15iterator_traitsISY_E10value_typeET2_T3_PNSZ_IS14_E10value_typeET4_jRbjT5_S1A_jjP12ihipStream_tbEUljE_EEESV_SW_SX_S14_S18_S1A_T6_T7_T9_mT8_S1C_bDpT10_ENKUlT_T0_E_clISt17integral_constantIbLb0EES1O_IbLb1EEEEDaS1K_S1L_EUlS1K_E_NS1_11comp_targetILNS1_3genE0ELNS1_11target_archE4294967295ELNS1_3gpuE0ELNS1_3repE0EEENS1_30default_config_static_selectorELNS0_4arch9wavefront6targetE0EEEvSY_: ; @_ZN7rocprim17ROCPRIM_400000_NS6detail17trampoline_kernelINS0_13select_configILj256ELj13ELNS0_17block_load_methodE3ELS4_3ELS4_3ELNS0_20block_scan_algorithmE0ELj4294967295EEENS1_25partition_config_selectorILNS1_17partition_subalgoE3EjNS0_10empty_typeEbEEZZNS1_14partition_implILS8_3ELb0ES6_jNS0_17counting_iteratorIjlEEPS9_SE_NS0_5tupleIJPjSE_EEENSF_IJSE_SE_EEES9_SG_JZNS1_25segmented_radix_sort_implINS0_14default_configELb0EPKiPiPKlPlN2at6native12_GLOBAL__N_18offset_tEEE10hipError_tPvRmT1_PNSt15iterator_traitsISY_E10value_typeET2_T3_PNSZ_IS14_E10value_typeET4_jRbjT5_S1A_jjP12ihipStream_tbEUljE_EEESV_SW_SX_S14_S18_S1A_T6_T7_T9_mT8_S1C_bDpT10_ENKUlT_T0_E_clISt17integral_constantIbLb0EES1O_IbLb1EEEEDaS1K_S1L_EUlS1K_E_NS1_11comp_targetILNS1_3genE0ELNS1_11target_archE4294967295ELNS1_3gpuE0ELNS1_3repE0EEENS1_30default_config_static_selectorELNS0_4arch9wavefront6targetE0EEEvSY_
; %bb.0:
	s_clause 0x5
	s_load_b64 s[16:17], s[0:1], 0x10
	s_load_b128 s[12:15], s[0:1], 0x48
	s_load_b64 s[18:19], s[0:1], 0x58
	s_load_b64 s[20:21], s[0:1], 0x68
	s_load_b32 s3, s[0:1], 0x90
	s_load_b128 s[4:7], s[0:1], 0x80
	v_cmp_eq_u32_e64 s2, 0, v0
	s_and_saveexec_b32 s8, s2
	s_cbranch_execz .LBB588_4
; %bb.1:
	s_mov_b32 s10, exec_lo
	s_mov_b32 s9, exec_lo
	v_mbcnt_lo_u32_b32 v1, s10, 0
                                        ; implicit-def: $vgpr2
	s_delay_alu instid0(VALU_DEP_1)
	v_cmpx_eq_u32_e32 0, v1
	s_cbranch_execz .LBB588_3
; %bb.2:
	s_load_b64 s[22:23], s[0:1], 0x78
	s_bcnt1_i32_b32 s10, s10
	s_delay_alu instid0(SALU_CYCLE_1)
	v_dual_mov_b32 v2, 0 :: v_dual_mov_b32 v3, s10
	s_wait_xcnt 0x0
	s_wait_kmcnt 0x0
	global_atomic_add_u32 v2, v2, v3, s[22:23] th:TH_ATOMIC_RETURN scope:SCOPE_DEV
.LBB588_3:
	s_wait_xcnt 0x0
	s_or_b32 exec_lo, exec_lo, s9
	s_wait_loadcnt 0x0
	v_readfirstlane_b32 s9, v2
	s_delay_alu instid0(VALU_DEP_1)
	v_dual_mov_b32 v2, 0 :: v_dual_add_nc_u32 v1, s9, v1
	ds_store_b32 v2, v1
.LBB588_4:
	s_or_b32 exec_lo, exec_lo, s8
	v_dual_mov_b32 v1, 0 :: v_dual_lshlrev_b32 v19, 2, v0
	s_clause 0x2
	s_load_b32 s8, s[0:1], 0x8
	s_load_b64 s[10:11], s[0:1], 0x28
	s_load_b32 s9, s[0:1], 0x70
	s_wait_dscnt 0x0
	s_barrier_signal -1
	s_barrier_wait -1
	ds_load_b32 v4, v1
	s_wait_dscnt 0x0
	s_barrier_signal -1
	s_barrier_wait -1
	s_wait_kmcnt 0x0
	global_load_b64 v[42:43], v1, s[14:15]
	s_mov_b32 s1, 0
	s_add_co_i32 s8, s8, s16
	s_mul_i32 s0, s9, 0xd00
	s_add_co_i32 s9, s9, -1
	s_wait_xcnt 0x0
	s_add_nc_u64 s[14:15], s[16:17], s[0:1]
	s_add_co_i32 s0, s0, s16
	v_cmp_gt_u64_e64 s1, s[18:19], s[14:15]
	v_readfirstlane_b32 s23, v4
	s_sub_co_i32 s22, s18, s0
	v_cmp_ne_u32_e32 vcc_lo, s9, v4
	s_addk_co_i32 s22, 0xd00
	s_mov_b32 s15, -1
	s_cmp_eq_u32 s23, s9
	s_mul_i32 s14, s23, 0xd00
	s_cselect_b32 s9, -1, 0
	s_or_b32 s1, s1, vcc_lo
	s_delay_alu instid0(SALU_CYCLE_1)
	s_and_b32 vcc_lo, exec_lo, s1
	s_cbranch_vccz .LBB588_6
; %bb.5:
	v_add3_u32 v1, s14, s8, v0
	s_mov_b32 s15, 0
	s_delay_alu instid0(VALU_DEP_1)
	v_add_nc_u32_e32 v2, 0x100, v1
	v_add_nc_u32_e32 v3, 0x200, v1
	;; [unrolled: 1-line block ×12, first 2 shown]
	ds_store_2addr_stride64_b32 v19, v1, v2 offset1:4
	ds_store_2addr_stride64_b32 v19, v3, v5 offset0:8 offset1:12
	ds_store_2addr_stride64_b32 v19, v6, v7 offset0:16 offset1:20
	;; [unrolled: 1-line block ×5, first 2 shown]
	ds_store_b32 v19, v14 offset:12288
	s_wait_loadcnt_dscnt 0x0
	s_barrier_signal -1
	s_barrier_wait -1
.LBB588_6:
	v_cmp_gt_u32_e64 s0, s22, v0
	v_or_b32_e32 v40, 0x100, v0
	v_or_b32_e32 v38, 0x200, v0
	;; [unrolled: 1-line block ×12, first 2 shown]
	s_and_not1_b32 vcc_lo, exec_lo, s15
	s_cbranch_vccnz .LBB588_8
; %bb.7:
	s_add_co_i32 s8, s14, s8
	v_cmp_gt_u32_e32 vcc_lo, s22, v40
	v_dual_add_nc_u32 v1, s8, v0 :: v_dual_add_nc_u32 v3, s8, v38
	v_dual_add_nc_u32 v2, s8, v40 :: v_dual_add_nc_u32 v8, s8, v30
	s_delay_alu instid0(VALU_DEP_2) | instskip(NEXT) | instid1(VALU_DEP_2)
	v_dual_add_nc_u32 v9, s8, v28 :: v_dual_cndmask_b32 v1, 0, v1, s0
	v_dual_cndmask_b32 v2, 0, v2 :: v_dual_add_nc_u32 v5, s8, v36
	v_cmp_gt_u32_e32 vcc_lo, s22, v38
	v_dual_add_nc_u32 v12, s8, v22 :: v_dual_add_nc_u32 v13, s8, v20
	v_dual_add_nc_u32 v6, s8, v34 :: v_dual_add_nc_u32 v7, s8, v32
	v_cndmask_b32_e32 v3, 0, v3, vcc_lo
	v_cmp_gt_u32_e32 vcc_lo, s22, v36
	v_dual_add_nc_u32 v10, s8, v26 :: v_dual_add_nc_u32 v11, s8, v24
	v_cndmask_b32_e32 v5, 0, v5, vcc_lo
	v_cmp_gt_u32_e32 vcc_lo, s22, v34
	v_cndmask_b32_e32 v6, 0, v6, vcc_lo
	v_cmp_gt_u32_e32 vcc_lo, s22, v32
	;; [unrolled: 2-line block ×7, first 2 shown]
	v_dual_add_nc_u32 v14, s8, v18 :: v_dual_cndmask_b32 v12, 0, v12, vcc_lo
	v_cmp_gt_u32_e32 vcc_lo, s22, v20
	v_cndmask_b32_e32 v13, 0, v13, vcc_lo
	v_cmp_gt_u32_e32 vcc_lo, s22, v18
	s_delay_alu instid0(VALU_DEP_4)
	v_cndmask_b32_e32 v14, 0, v14, vcc_lo
	ds_store_2addr_stride64_b32 v19, v1, v2 offset1:4
	ds_store_2addr_stride64_b32 v19, v3, v5 offset0:8 offset1:12
	ds_store_2addr_stride64_b32 v19, v6, v7 offset0:16 offset1:20
	;; [unrolled: 1-line block ×5, first 2 shown]
	ds_store_b32 v19, v14 offset:12288
	s_wait_loadcnt_dscnt 0x0
	s_barrier_signal -1
	s_barrier_wait -1
.LBB588_8:
	v_mul_u32_u24_e32 v23, 13, v0
	s_wait_loadcnt 0x0
	v_cndmask_b32_e64 v21, 0, 1, s1
	s_and_not1_b32 vcc_lo, exec_lo, s1
	s_delay_alu instid0(VALU_DEP_2)
	v_lshlrev_b32_e32 v2, 2, v23
	ds_load_2addr_b32 v[52:53], v2 offset0:2 offset1:3
	ds_load_2addr_b32 v[48:49], v2 offset0:6 offset1:7
	;; [unrolled: 1-line block ×3, first 2 shown]
	ds_load_2addr_b32 v[54:55], v2 offset1:1
	ds_load_2addr_b32 v[44:45], v2 offset0:10 offset1:11
	ds_load_b32 v1, v2 offset:48
	ds_load_2addr_b32 v[46:47], v2 offset0:8 offset1:9
	s_wait_dscnt 0x0
	s_barrier_signal -1
	s_barrier_wait -1
	s_cbranch_vccnz .LBB588_10
; %bb.9:
	v_dual_add_nc_u32 v2, s5, v53 :: v_dual_add_nc_u32 v3, s5, v55
	v_dual_add_nc_u32 v5, s5, v54 :: v_dual_add_nc_u32 v6, s5, v52
	;; [unrolled: 1-line block ×4, first 2 shown]
	s_delay_alu instid0(VALU_DEP_3) | instskip(NEXT) | instid1(VALU_DEP_4)
	v_mul_lo_u32 v6, v6, s4
	v_mul_lo_u32 v5, v5, s4
	;; [unrolled: 1-line block ×8, first 2 shown]
	v_dual_add_nc_u32 v11, s5, v50 :: v_dual_add_nc_u32 v12, s7, v50
	v_dual_add_nc_u32 v13, s5, v48 :: v_dual_add_nc_u32 v15, s7, v45
	v_add_nc_u32_e32 v16, s5, v44
	s_delay_alu instid0(VALU_DEP_3) | instskip(NEXT) | instid1(VALU_DEP_4)
	v_mul_lo_u32 v11, v11, s4
	v_mul_lo_u32 v12, v12, s6
	v_dual_sub_nc_u32 v2, v2, v7 :: v_dual_sub_nc_u32 v3, v3, v8
	v_dual_sub_nc_u32 v5, v5, v9 :: v_dual_sub_nc_u32 v6, v6, v10
	v_dual_add_nc_u32 v7, s5, v51 :: v_dual_add_nc_u32 v8, s7, v51
	v_dual_add_nc_u32 v9, s5, v49 :: v_dual_add_nc_u32 v10, s7, v49
	s_delay_alu instid0(VALU_DEP_4) | instskip(NEXT) | instid1(VALU_DEP_3)
	v_cmp_lt_u32_e32 vcc_lo, s3, v2
	v_mul_lo_u32 v7, v7, s4
	s_delay_alu instid0(VALU_DEP_4) | instskip(NEXT) | instid1(VALU_DEP_4)
	v_mul_lo_u32 v8, v8, s6
	v_mul_lo_u32 v9, v9, s4
	;; [unrolled: 1-line block ×3, first 2 shown]
	v_cndmask_b32_e64 v2, 0, 1, vcc_lo
	v_cmp_lt_u32_e32 vcc_lo, s3, v3
	v_dual_add_nc_u32 v17, s7, v47 :: v_dual_add_nc_u32 v25, s7, v46
	v_mul_lo_u32 v15, v15, s6
	v_add_nc_u32_e32 v14, s5, v46
	v_cndmask_b32_e64 v3, 0, 1, vcc_lo
	s_delay_alu instid0(VALU_DEP_4) | instskip(SKIP_4) | instid1(VALU_DEP_3)
	v_mul_lo_u32 v17, v17, s6
	v_sub_nc_u32_e32 v7, v7, v8
	v_dual_add_nc_u32 v8, s7, v48 :: v_dual_sub_nc_u32 v9, v9, v10
	v_dual_sub_nc_u32 v10, v11, v12 :: v_dual_add_nc_u32 v11, s5, v45
	v_mul_lo_u32 v13, v13, s4
	v_mul_lo_u32 v8, v8, s6
	v_add_nc_u32_e32 v12, s5, v47
	v_cmp_lt_u32_e32 vcc_lo, s3, v7
	v_mul_lo_u32 v11, v11, s4
	v_lshlrev_b16 v3, 8, v3
	v_mul_lo_u32 v14, v14, s4
	v_mul_lo_u32 v12, v12, s4
	v_cndmask_b32_e64 v7, 0, 1, vcc_lo
	v_cmp_lt_u32_e32 vcc_lo, s3, v9
	v_lshrrev_b32_e32 v3, 8, v3
	v_mul_lo_u32 v25, v25, s6
	v_sub_nc_u32_e32 v8, v13, v8
	v_lshlrev_b16 v7, 8, v7
	v_cndmask_b32_e64 v9, 0, 1, vcc_lo
	v_sub_nc_u32_e32 v11, v11, v15
	v_cmp_lt_u32_e32 vcc_lo, s3, v5
	s_delay_alu instid0(VALU_DEP_4)
	v_dual_add_nc_u32 v27, s7, v44 :: v_dual_lshrrev_b32 v7, 8, v7
	v_sub_nc_u32_e32 v12, v12, v17
	v_mul_lo_u32 v13, v16, s4
	v_cndmask_b32_e64 v5, 0, 1, vcc_lo
	v_cmp_lt_u32_e32 vcc_lo, s3, v11
	v_mul_lo_u32 v16, v27, s6
	v_dual_add_nc_u32 v15, s5, v1 :: v_dual_add_nc_u32 v27, s7, v1
	v_lshlrev_b16 v2, 8, v2
	v_cndmask_b32_e64 v11, 0, 1, vcc_lo
	v_cmp_lt_u32_e32 vcc_lo, s3, v12
	s_delay_alu instid0(VALU_DEP_4)
	v_mul_lo_u32 v15, v15, s4
	v_mul_lo_u32 v17, v27, s6
	v_sub_nc_u32_e32 v14, v14, v25
	v_lshlrev_b16 v3, 8, v3
	v_cndmask_b32_e64 v12, 0, 1, vcc_lo
	v_cmp_lt_u32_e32 vcc_lo, s3, v6
	v_dual_sub_nc_u32 v13, v13, v16 :: v_dual_lshrrev_b32 v2, 8, v2
	s_delay_alu instid0(VALU_DEP_4)
	v_or_b32_e32 v3, v5, v3
	v_lshlrev_b16 v5, 8, v11
	v_cndmask_b32_e64 v6, 0, 1, vcc_lo
	v_cmp_lt_u32_e32 vcc_lo, s3, v10
	v_lshlrev_b16 v11, 8, v12
	v_lshlrev_b16 v9, 8, v9
	v_sub_nc_u32_e32 v12, v15, v17
	v_lshlrev_b16 v2, 8, v2
	v_cndmask_b32_e64 v10, 0, 1, vcc_lo
	v_cmp_lt_u32_e32 vcc_lo, s3, v8
	v_lshlrev_b16 v7, 8, v7
	v_dual_lshrrev_b32 v11, 8, v11 :: v_dual_lshrrev_b32 v5, 8, v5
	v_or_b32_e32 v2, v6, v2
	v_cndmask_b32_e64 v8, 0, 1, vcc_lo
	v_cmp_lt_u32_e32 vcc_lo, s3, v14
	s_delay_alu instid0(VALU_DEP_4)
	v_lshlrev_b16 v11, 8, v11
	v_lshlrev_b16 v5, 8, v5
	v_dual_lshlrev_b32 v2, 16, v2 :: v_dual_bitop2_b32 v6, v10, v7 bitop3:0x54
	v_cndmask_b32_e64 v14, 0, 1, vcc_lo
	v_cmp_lt_u32_e32 vcc_lo, s3, v13
	v_or_b32_e32 v7, v8, v9
	v_and_b32_e32 v3, 0xffff, v3
	v_and_b32_e32 v6, 0xffff, v6
	v_cndmask_b32_e64 v13, 0, 1, vcc_lo
	s_delay_alu instid0(VALU_DEP_4) | instskip(SKIP_2) | instid1(VALU_DEP_4)
	v_lshlrev_b32_e32 v7, 16, v7
	v_cmp_lt_u32_e32 vcc_lo, s3, v12
	v_or_b32_e32 v35, v3, v2
	v_or_b32_e32 v5, v13, v5
	v_or_b32_e32 v8, v14, v11
	v_cndmask_b32_e64 v25, 0, 1, vcc_lo
	s_delay_alu instid0(VALU_DEP_3) | instskip(NEXT) | instid1(VALU_DEP_3)
	v_dual_lshlrev_b32 v5, 16, v5 :: v_dual_bitop2_b32 v31, v6, v7 bitop3:0x54
	v_and_b32_e32 v8, 0xffff, v8
	s_delay_alu instid0(VALU_DEP_1)
	v_or_b32_e32 v27, v8, v5
	s_cbranch_execz .LBB588_11
	s_branch .LBB588_38
.LBB588_10:
                                        ; implicit-def: $vgpr25
                                        ; implicit-def: $vgpr27
                                        ; implicit-def: $vgpr31
                                        ; implicit-def: $vgpr35
.LBB588_11:
	v_dual_mov_b32 v3, 0 :: v_dual_mov_b32 v2, 0
	s_mov_b32 s0, exec_lo
	v_cmpx_gt_u32_e64 s22, v23
	s_cbranch_execz .LBB588_13
; %bb.12:
	v_dual_add_nc_u32 v2, s5, v54 :: v_dual_add_nc_u32 v5, s7, v54
	s_delay_alu instid0(VALU_DEP_1) | instskip(NEXT) | instid1(VALU_DEP_2)
	v_mul_lo_u32 v2, v2, s4
	v_mul_lo_u32 v5, v5, s6
	s_delay_alu instid0(VALU_DEP_1) | instskip(NEXT) | instid1(VALU_DEP_1)
	v_sub_nc_u32_e32 v2, v2, v5
	v_cmp_lt_u32_e32 vcc_lo, s3, v2
	v_cndmask_b32_e64 v2, 0, 1, vcc_lo
.LBB588_13:
	s_or_b32 exec_lo, exec_lo, s0
	v_add_nc_u32_e32 v5, 1, v23
	s_mov_b32 s0, exec_lo
	s_delay_alu instid0(VALU_DEP_1)
	v_cmpx_gt_u32_e64 s22, v5
	s_cbranch_execz .LBB588_15
; %bb.14:
	v_dual_add_nc_u32 v3, s5, v55 :: v_dual_add_nc_u32 v5, s7, v55
	s_delay_alu instid0(VALU_DEP_1) | instskip(NEXT) | instid1(VALU_DEP_2)
	v_mul_lo_u32 v3, v3, s4
	v_mul_lo_u32 v5, v5, s6
	s_delay_alu instid0(VALU_DEP_1) | instskip(NEXT) | instid1(VALU_DEP_1)
	v_sub_nc_u32_e32 v3, v3, v5
	v_cmp_lt_u32_e32 vcc_lo, s3, v3
	v_cndmask_b32_e64 v3, 0, 1, vcc_lo
.LBB588_15:
	s_or_b32 exec_lo, exec_lo, s0
	v_dual_mov_b32 v6, 0 :: v_dual_add_nc_u32 v5, 2, v23
	s_delay_alu instid0(VALU_DEP_1)
	v_cmp_gt_u32_e32 vcc_lo, s22, v5
	v_mov_b32_e32 v5, 0
	s_and_saveexec_b32 s0, vcc_lo
	s_cbranch_execz .LBB588_17
; %bb.16:
	v_dual_add_nc_u32 v5, s5, v52 :: v_dual_add_nc_u32 v7, s7, v52
	s_delay_alu instid0(VALU_DEP_1) | instskip(NEXT) | instid1(VALU_DEP_2)
	v_mul_lo_u32 v5, v5, s4
	v_mul_lo_u32 v7, v7, s6
	s_delay_alu instid0(VALU_DEP_1) | instskip(NEXT) | instid1(VALU_DEP_1)
	v_sub_nc_u32_e32 v5, v5, v7
	v_cmp_lt_u32_e32 vcc_lo, s3, v5
	v_cndmask_b32_e64 v5, 0, 1, vcc_lo
.LBB588_17:
	s_or_b32 exec_lo, exec_lo, s0
	v_add_nc_u32_e32 v7, 3, v23
	s_mov_b32 s0, exec_lo
	s_delay_alu instid0(VALU_DEP_1)
	v_cmpx_gt_u32_e64 s22, v7
	s_cbranch_execz .LBB588_19
; %bb.18:
	v_dual_add_nc_u32 v6, s5, v53 :: v_dual_add_nc_u32 v7, s7, v53
	s_delay_alu instid0(VALU_DEP_1) | instskip(NEXT) | instid1(VALU_DEP_2)
	v_mul_lo_u32 v6, v6, s4
	v_mul_lo_u32 v7, v7, s6
	s_delay_alu instid0(VALU_DEP_1) | instskip(NEXT) | instid1(VALU_DEP_1)
	v_sub_nc_u32_e32 v6, v6, v7
	v_cmp_lt_u32_e32 vcc_lo, s3, v6
	v_cndmask_b32_e64 v6, 0, 1, vcc_lo
.LBB588_19:
	s_or_b32 exec_lo, exec_lo, s0
	v_dual_mov_b32 v8, 0 :: v_dual_add_nc_u32 v7, 4, v23
	s_delay_alu instid0(VALU_DEP_1)
	v_cmp_gt_u32_e32 vcc_lo, s22, v7
	v_mov_b32_e32 v7, 0
	s_and_saveexec_b32 s0, vcc_lo
	;; [unrolled: 33-line block ×5, first 2 shown]
	s_cbranch_execz .LBB588_33
; %bb.32:
	v_dual_add_nc_u32 v13, s5, v44 :: v_dual_add_nc_u32 v15, s7, v44
	s_delay_alu instid0(VALU_DEP_1) | instskip(NEXT) | instid1(VALU_DEP_2)
	v_mul_lo_u32 v13, v13, s4
	v_mul_lo_u32 v15, v15, s6
	s_delay_alu instid0(VALU_DEP_1) | instskip(NEXT) | instid1(VALU_DEP_1)
	v_sub_nc_u32_e32 v13, v13, v15
	v_cmp_lt_u32_e32 vcc_lo, s3, v13
	v_cndmask_b32_e64 v13, 0, 1, vcc_lo
.LBB588_33:
	s_or_b32 exec_lo, exec_lo, s0
	v_add_nc_u32_e32 v15, 11, v23
	s_mov_b32 s0, exec_lo
	s_delay_alu instid0(VALU_DEP_1)
	v_cmpx_gt_u32_e64 s22, v15
	s_cbranch_execz .LBB588_35
; %bb.34:
	v_dual_add_nc_u32 v14, s5, v45 :: v_dual_add_nc_u32 v15, s7, v45
	s_delay_alu instid0(VALU_DEP_1) | instskip(NEXT) | instid1(VALU_DEP_2)
	v_mul_lo_u32 v14, v14, s4
	v_mul_lo_u32 v15, v15, s6
	s_delay_alu instid0(VALU_DEP_1) | instskip(NEXT) | instid1(VALU_DEP_1)
	v_sub_nc_u32_e32 v14, v14, v15
	v_cmp_lt_u32_e32 vcc_lo, s3, v14
	v_cndmask_b32_e64 v14, 0, 1, vcc_lo
.LBB588_35:
	s_or_b32 exec_lo, exec_lo, s0
	v_dual_add_nc_u32 v15, 12, v23 :: v_dual_mov_b32 v25, 0
	s_mov_b32 s0, exec_lo
	s_delay_alu instid0(VALU_DEP_1)
	v_cmpx_gt_u32_e64 s22, v15
	s_cbranch_execz .LBB588_37
; %bb.36:
	v_dual_add_nc_u32 v15, s7, v1 :: v_dual_add_nc_u32 v16, s5, v1
	s_delay_alu instid0(VALU_DEP_1) | instskip(NEXT) | instid1(VALU_DEP_2)
	v_mul_lo_u32 v15, v15, s6
	v_mul_lo_u32 v16, v16, s4
	s_delay_alu instid0(VALU_DEP_1) | instskip(NEXT) | instid1(VALU_DEP_1)
	v_sub_nc_u32_e32 v15, v16, v15
	v_cmp_lt_u32_e32 vcc_lo, s3, v15
	v_cndmask_b32_e64 v25, 0, 1, vcc_lo
.LBB588_37:
	s_or_b32 exec_lo, exec_lo, s0
	v_lshlrev_b16 v6, 8, v6
	v_lshlrev_b16 v8, 8, v8
	;; [unrolled: 1-line block ×5, first 2 shown]
	v_or_b32_e32 v5, v5, v6
	v_or_b32_e32 v6, v7, v8
	;; [unrolled: 1-line block ×3, first 2 shown]
	s_delay_alu instid0(VALU_DEP_1) | instskip(NEXT) | instid1(VALU_DEP_4)
	v_dual_lshlrev_b32 v7, 16, v7 :: v_dual_bitop2_b32 v8, v11, v12 bitop3:0x54
	v_dual_lshlrev_b32 v5, 16, v5 :: v_dual_bitop2_b32 v2, v2, v3 bitop3:0x54
	v_lshlrev_b16 v3, 8, v14
	s_delay_alu instid0(VALU_DEP_3) | instskip(NEXT) | instid1(VALU_DEP_3)
	v_and_b32_e32 v8, 0xffff, v8
	v_and_b32_e32 v2, 0xffff, v2
	s_delay_alu instid0(VALU_DEP_3) | instskip(NEXT) | instid1(VALU_DEP_1)
	v_or_b32_e32 v3, v13, v3
	v_dual_lshlrev_b32 v3, 16, v3 :: v_dual_bitop2_b32 v35, v2, v5 bitop3:0x54
	v_and_b32_e32 v6, 0xffff, v6
	s_delay_alu instid0(VALU_DEP_2) | instskip(NEXT) | instid1(VALU_DEP_2)
	v_or_b32_e32 v27, v8, v3
	v_or_b32_e32 v31, v6, v7
.LBB588_38:
	s_delay_alu instid0(VALU_DEP_4) | instskip(SKIP_2) | instid1(VALU_DEP_4)
	v_bfe_u32 v39, v35, 16, 8
	v_bfe_u32 v41, v35, 8, 8
	v_and_b32_e32 v57, 0xff, v35
	v_and_b32_e32 v58, 0xff, v31
	v_mbcnt_lo_u32_b32 v64, -1, 0
	v_lshrrev_b32_e32 v37, 24, v35
	v_bfe_u32 v59, v31, 16, 8
	v_add3_u32 v2, v41, v57, v39
	v_bfe_u32 v60, v31, 8, 8
	v_dual_lshrrev_b32 v33, 24, v31 :: v_dual_bitop2_b32 v5, 15, v64 bitop3:0x40
	v_lshrrev_b32_e32 v65, 5, v0
	s_delay_alu instid0(VALU_DEP_4)
	v_add3_u32 v2, v2, v37, v58
	v_and_b32_e32 v61, 0xff, v27
	v_bfe_u32 v62, v27, 16, 8
	v_bfe_u32 v63, v27, 8, 8
	v_dual_lshrrev_b32 v29, 24, v27 :: v_dual_bitop2_b32 v6, 31, v0 bitop3:0x54
	v_add3_u32 v2, v2, v60, v59
	v_and_b32_e32 v3, 0xff, v25
	v_and_b32_e32 v7, 16, v64
	v_cmp_ne_u32_e32 vcc_lo, 0, v4
	v_cmp_eq_u32_e64 s6, 0, v5
	v_add3_u32 v2, v2, v33, v61
	v_cmp_lt_u32_e64 s5, 1, v5
	v_cmp_lt_u32_e64 s4, 3, v5
	;; [unrolled: 1-line block ×3, first 2 shown]
	v_cmp_eq_u32_e64 s1, 0, v7
	v_add3_u32 v2, v2, v63, v62
	v_cmp_eq_u32_e64 s0, v0, v6
	s_mov_b32 s7, -1
	v_add3_u32 v66, v2, v29, v3
	s_cbranch_vccz .LBB588_60
; %bb.39:
	s_delay_alu instid0(VALU_DEP_1) | instskip(NEXT) | instid1(VALU_DEP_1)
	v_mov_b32_dpp v2, v66 row_shr:1 row_mask:0xf bank_mask:0xf
	v_cndmask_b32_e64 v2, v2, 0, s6
	s_delay_alu instid0(VALU_DEP_1) | instskip(NEXT) | instid1(VALU_DEP_1)
	v_add_nc_u32_e32 v2, v2, v66
	v_mov_b32_dpp v3, v2 row_shr:2 row_mask:0xf bank_mask:0xf
	s_delay_alu instid0(VALU_DEP_1) | instskip(NEXT) | instid1(VALU_DEP_1)
	v_cndmask_b32_e64 v3, 0, v3, s5
	v_add_nc_u32_e32 v2, v2, v3
	s_delay_alu instid0(VALU_DEP_1) | instskip(NEXT) | instid1(VALU_DEP_1)
	v_mov_b32_dpp v3, v2 row_shr:4 row_mask:0xf bank_mask:0xf
	v_cndmask_b32_e64 v3, 0, v3, s4
	s_delay_alu instid0(VALU_DEP_1) | instskip(NEXT) | instid1(VALU_DEP_1)
	v_add_nc_u32_e32 v2, v2, v3
	v_mov_b32_dpp v3, v2 row_shr:8 row_mask:0xf bank_mask:0xf
	s_delay_alu instid0(VALU_DEP_1) | instskip(NEXT) | instid1(VALU_DEP_1)
	v_cndmask_b32_e64 v3, 0, v3, s3
	v_add_nc_u32_e32 v2, v2, v3
	ds_swizzle_b32 v3, v2 offset:swizzle(BROADCAST,32,15)
	s_wait_dscnt 0x0
	v_cndmask_b32_e64 v3, v3, 0, s1
	s_delay_alu instid0(VALU_DEP_1)
	v_add_nc_u32_e32 v2, v2, v3
	s_and_saveexec_b32 s7, s0
; %bb.40:
	v_lshlrev_b32_e32 v3, 2, v65
	ds_store_b32 v3, v2
; %bb.41:
	s_or_b32 exec_lo, exec_lo, s7
	s_delay_alu instid0(SALU_CYCLE_1)
	s_mov_b32 s7, exec_lo
	s_wait_dscnt 0x0
	s_barrier_signal -1
	s_barrier_wait -1
	v_cmpx_gt_u32_e32 8, v0
	s_cbranch_execz .LBB588_43
; %bb.42:
	ds_load_b32 v3, v19
	s_wait_dscnt 0x0
	v_mov_b32_dpp v6, v3 row_shr:1 row_mask:0xf bank_mask:0xf
	v_and_b32_e32 v5, 7, v64
	s_delay_alu instid0(VALU_DEP_1) | instskip(NEXT) | instid1(VALU_DEP_3)
	v_cmp_ne_u32_e32 vcc_lo, 0, v5
	v_cndmask_b32_e32 v6, 0, v6, vcc_lo
	v_cmp_lt_u32_e32 vcc_lo, 1, v5
	s_delay_alu instid0(VALU_DEP_2) | instskip(NEXT) | instid1(VALU_DEP_1)
	v_add_nc_u32_e32 v3, v6, v3
	v_mov_b32_dpp v6, v3 row_shr:2 row_mask:0xf bank_mask:0xf
	s_delay_alu instid0(VALU_DEP_1) | instskip(SKIP_1) | instid1(VALU_DEP_2)
	v_cndmask_b32_e32 v6, 0, v6, vcc_lo
	v_cmp_lt_u32_e32 vcc_lo, 3, v5
	v_add_nc_u32_e32 v3, v3, v6
	s_delay_alu instid0(VALU_DEP_1) | instskip(NEXT) | instid1(VALU_DEP_1)
	v_mov_b32_dpp v6, v3 row_shr:4 row_mask:0xf bank_mask:0xf
	v_cndmask_b32_e32 v5, 0, v6, vcc_lo
	s_delay_alu instid0(VALU_DEP_1)
	v_add_nc_u32_e32 v3, v3, v5
	ds_store_b32 v19, v3
.LBB588_43:
	s_or_b32 exec_lo, exec_lo, s7
	s_delay_alu instid0(SALU_CYCLE_1)
	s_mov_b32 s8, exec_lo
	v_cmp_gt_u32_e32 vcc_lo, 32, v0
	s_wait_dscnt 0x0
	s_barrier_signal -1
	s_barrier_wait -1
                                        ; implicit-def: $vgpr10
	v_cmpx_lt_u32_e32 31, v0
	s_cbranch_execz .LBB588_45
; %bb.44:
	v_lshl_add_u32 v3, v65, 2, -4
	ds_load_b32 v10, v3
	s_wait_dscnt 0x0
	v_add_nc_u32_e32 v2, v10, v2
.LBB588_45:
	s_or_b32 exec_lo, exec_lo, s8
	v_sub_co_u32 v3, s7, v64, 1
	s_delay_alu instid0(VALU_DEP_1) | instskip(NEXT) | instid1(VALU_DEP_1)
	v_cmp_gt_i32_e64 s8, 0, v3
	v_cndmask_b32_e64 v3, v3, v64, s8
	s_delay_alu instid0(VALU_DEP_1)
	v_lshlrev_b32_e32 v3, 2, v3
	ds_bpermute_b32 v11, v3, v2
	s_and_saveexec_b32 s8, vcc_lo
	s_cbranch_execz .LBB588_65
; %bb.46:
	v_dual_mov_b32 v9, 0 :: v_dual_add_nc_u32 v12, 32, v4
	ds_load_b32 v2, v9 offset:28
	s_and_saveexec_b32 s15, s7
	s_cbranch_execz .LBB588_48
; %bb.47:
	v_mov_b32_e32 v3, 1
	s_wait_dscnt 0x0
	global_store_b64 v12, v[2:3], s[20:21] scale_offset scope:SCOPE_DEV
.LBB588_48:
	s_wait_xcnt 0x0
	s_or_b32 exec_lo, exec_lo, s15
	v_xad_u32 v4, v64, -1, v4
	s_mov_b32 s23, 0
	s_mov_b32 s15, exec_lo
	s_delay_alu instid0(VALU_DEP_1) | instskip(SKIP_4) | instid1(VALU_DEP_1)
	v_add_nc_u32_e32 v8, 32, v4
	global_load_b64 v[6:7], v8, s[20:21] scale_offset scope:SCOPE_DEV
	s_wait_loadcnt 0x0
	v_and_b32_e32 v3, 0xff, v7
	s_wait_xcnt 0x0
	v_cmpx_eq_u16_e32 0, v3
	s_cbranch_execz .LBB588_52
; %bb.49:
	v_lshl_add_u64 v[8:9], v[8:9], 3, s[20:21]
.LBB588_50:                             ; =>This Inner Loop Header: Depth=1
	global_load_b64 v[6:7], v[8:9], off scope:SCOPE_DEV
	s_wait_loadcnt 0x0
	v_and_b32_e32 v3, 0xff, v7
	s_delay_alu instid0(VALU_DEP_1)
	v_cmp_ne_u16_e32 vcc_lo, 0, v3
	s_or_b32 s23, vcc_lo, s23
	s_wait_xcnt 0x0
	s_and_not1_b32 exec_lo, exec_lo, s23
	s_cbranch_execnz .LBB588_50
; %bb.51:
	s_or_b32 exec_lo, exec_lo, s23
.LBB588_52:
	s_delay_alu instid0(SALU_CYCLE_1)
	s_or_b32 exec_lo, exec_lo, s15
	v_cmp_ne_u32_e32 vcc_lo, 31, v64
	v_lshlrev_b32_e64 v14, v64, -1
	v_lshl_or_b32 v69, v64, 2, 64
	v_dual_add_nc_u32 v16, 2, v64 :: v_dual_add_nc_u32 v56, 4, v64
	v_add_co_ci_u32_e64 v3, null, 0, v64, vcc_lo
	v_dual_add_nc_u32 v68, 8, v64 :: v_dual_add_nc_u32 v70, 16, v64
	s_delay_alu instid0(VALU_DEP_2)
	v_lshlrev_b32_e32 v13, 2, v3
	v_and_b32_e32 v3, 0xff, v7
	ds_bpermute_b32 v5, v13, v6
	v_cmp_eq_u16_e32 vcc_lo, 2, v3
	v_and_or_b32 v3, vcc_lo, v14, 0x80000000
	v_cmp_gt_u32_e32 vcc_lo, 30, v64
	s_delay_alu instid0(VALU_DEP_2) | instskip(SKIP_1) | instid1(VALU_DEP_2)
	v_ctz_i32_b32_e32 v3, v3
	v_cndmask_b32_e64 v8, 0, 2, vcc_lo
	v_cmp_lt_u32_e32 vcc_lo, v64, v3
	s_delay_alu instid0(VALU_DEP_2) | instskip(SKIP_3) | instid1(VALU_DEP_2)
	v_add_lshl_u32 v15, v8, v64, 2
	s_wait_dscnt 0x0
	v_cndmask_b32_e32 v5, 0, v5, vcc_lo
	v_cmp_gt_u32_e32 vcc_lo, 28, v64
	v_add_nc_u32_e32 v5, v5, v6
	v_cndmask_b32_e64 v8, 0, 4, vcc_lo
	v_cmp_le_u32_e32 vcc_lo, v16, v3
	ds_bpermute_b32 v6, v15, v5
	v_add_lshl_u32 v17, v8, v64, 2
	s_wait_dscnt 0x0
	v_cndmask_b32_e32 v6, 0, v6, vcc_lo
	v_cmp_gt_u32_e32 vcc_lo, 24, v64
	v_cndmask_b32_e64 v8, 0, 8, vcc_lo
	v_cmp_le_u32_e32 vcc_lo, v56, v3
	s_delay_alu instid0(VALU_DEP_4) | instskip(NEXT) | instid1(VALU_DEP_3)
	v_add_nc_u32_e32 v5, v5, v6
	v_add_lshl_u32 v67, v8, v64, 2
	ds_bpermute_b32 v6, v17, v5
	s_wait_dscnt 0x0
	v_cndmask_b32_e32 v6, 0, v6, vcc_lo
	v_cmp_le_u32_e32 vcc_lo, v68, v3
	s_delay_alu instid0(VALU_DEP_2) | instskip(SKIP_4) | instid1(VALU_DEP_2)
	v_add_nc_u32_e32 v5, v5, v6
	ds_bpermute_b32 v6, v67, v5
	s_wait_dscnt 0x0
	v_cndmask_b32_e32 v6, 0, v6, vcc_lo
	v_cmp_le_u32_e32 vcc_lo, v70, v3
	v_add_nc_u32_e32 v5, v5, v6
	ds_bpermute_b32 v6, v69, v5
	s_wait_dscnt 0x0
	v_cndmask_b32_e32 v3, 0, v6, vcc_lo
	s_delay_alu instid0(VALU_DEP_1)
	v_dual_mov_b32 v5, 0 :: v_dual_add_nc_u32 v6, v5, v3
	s_branch .LBB588_56
.LBB588_53:                             ;   in Loop: Header=BB588_56 Depth=1
	s_or_b32 exec_lo, exec_lo, s23
.LBB588_54:                             ;   in Loop: Header=BB588_56 Depth=1
	s_delay_alu instid0(SALU_CYCLE_1)
	s_or_b32 exec_lo, exec_lo, s15
	v_and_b32_e32 v8, 0xff, v7
	ds_bpermute_b32 v9, v13, v6
	v_subrev_nc_u32_e32 v4, 32, v4
	s_mov_b32 s15, 0
	v_cmp_eq_u16_e32 vcc_lo, 2, v8
	v_and_or_b32 v8, vcc_lo, v14, 0x80000000
	s_delay_alu instid0(VALU_DEP_1) | instskip(NEXT) | instid1(VALU_DEP_1)
	v_ctz_i32_b32_e32 v8, v8
	v_cmp_lt_u32_e32 vcc_lo, v64, v8
	s_wait_dscnt 0x0
	v_cndmask_b32_e32 v9, 0, v9, vcc_lo
	v_cmp_le_u32_e32 vcc_lo, v16, v8
	s_delay_alu instid0(VALU_DEP_2) | instskip(SKIP_4) | instid1(VALU_DEP_2)
	v_add_nc_u32_e32 v6, v9, v6
	ds_bpermute_b32 v9, v15, v6
	s_wait_dscnt 0x0
	v_cndmask_b32_e32 v9, 0, v9, vcc_lo
	v_cmp_le_u32_e32 vcc_lo, v56, v8
	v_add_nc_u32_e32 v6, v6, v9
	ds_bpermute_b32 v9, v17, v6
	s_wait_dscnt 0x0
	v_cndmask_b32_e32 v9, 0, v9, vcc_lo
	v_cmp_le_u32_e32 vcc_lo, v68, v8
	s_delay_alu instid0(VALU_DEP_2) | instskip(SKIP_4) | instid1(VALU_DEP_2)
	v_add_nc_u32_e32 v6, v6, v9
	ds_bpermute_b32 v9, v67, v6
	s_wait_dscnt 0x0
	v_cndmask_b32_e32 v9, 0, v9, vcc_lo
	v_cmp_le_u32_e32 vcc_lo, v70, v8
	v_add_nc_u32_e32 v6, v6, v9
	ds_bpermute_b32 v9, v69, v6
	s_wait_dscnt 0x0
	v_cndmask_b32_e32 v8, 0, v9, vcc_lo
	s_delay_alu instid0(VALU_DEP_1)
	v_add3_u32 v6, v8, v3, v6
.LBB588_55:                             ;   in Loop: Header=BB588_56 Depth=1
	s_and_b32 vcc_lo, exec_lo, s15
	s_cbranch_vccnz .LBB588_61
.LBB588_56:                             ; =>This Loop Header: Depth=1
                                        ;     Child Loop BB588_59 Depth 2
	v_and_b32_e32 v3, 0xff, v7
	s_mov_b32 s15, -1
                                        ; implicit-def: $vgpr7
	s_delay_alu instid0(VALU_DEP_1)
	v_cmp_ne_u16_e32 vcc_lo, 2, v3
	v_mov_b32_e32 v3, v6
                                        ; implicit-def: $vgpr6
	s_cmp_lg_u32 vcc_lo, exec_lo
	s_cbranch_scc1 .LBB588_55
; %bb.57:                               ;   in Loop: Header=BB588_56 Depth=1
	global_load_b64 v[6:7], v4, s[20:21] scale_offset scope:SCOPE_DEV
	s_mov_b32 s15, exec_lo
	s_wait_loadcnt 0x0
	v_and_b32_e32 v8, 0xff, v7
	s_wait_xcnt 0x0
	s_delay_alu instid0(VALU_DEP_1)
	v_cmpx_eq_u16_e32 0, v8
	s_cbranch_execz .LBB588_54
; %bb.58:                               ;   in Loop: Header=BB588_56 Depth=1
	v_lshl_add_u64 v[8:9], v[4:5], 3, s[20:21]
	s_mov_b32 s23, 0
.LBB588_59:                             ;   Parent Loop BB588_56 Depth=1
                                        ; =>  This Inner Loop Header: Depth=2
	global_load_b64 v[6:7], v[8:9], off scope:SCOPE_DEV
	s_wait_loadcnt 0x0
	v_and_b32_e32 v71, 0xff, v7
	s_delay_alu instid0(VALU_DEP_1)
	v_cmp_ne_u16_e32 vcc_lo, 0, v71
	s_or_b32 s23, vcc_lo, s23
	s_wait_xcnt 0x0
	s_and_not1_b32 exec_lo, exec_lo, s23
	s_cbranch_execnz .LBB588_59
	s_branch .LBB588_53
.LBB588_60:
                                        ; implicit-def: $vgpr2_vgpr3_vgpr4_vgpr5_vgpr6_vgpr7_vgpr8_vgpr9_vgpr10_vgpr11_vgpr12_vgpr13_vgpr14_vgpr15_vgpr16_vgpr17
                                        ; implicit-def: $vgpr56
                                        ; implicit-def: $vgpr16
	s_and_b32 vcc_lo, exec_lo, s7
	s_cbranch_vccnz .LBB588_66
	s_branch .LBB588_75
.LBB588_61:
	s_and_saveexec_b32 s15, s7
	s_cbranch_execz .LBB588_63
; %bb.62:
	v_dual_mov_b32 v5, 2 :: v_dual_add_nc_u32 v4, v3, v2
	v_mov_b32_e32 v6, 0
	global_store_b64 v12, v[4:5], s[20:21] scale_offset scope:SCOPE_DEV
	ds_store_b64 v6, v[2:3] offset:13312
.LBB588_63:
	s_wait_xcnt 0x0
	s_or_b32 exec_lo, exec_lo, s15
	s_delay_alu instid0(SALU_CYCLE_1)
	s_and_b32 exec_lo, exec_lo, s2
; %bb.64:
	v_mov_b32_e32 v2, 0
	ds_store_b32 v2, v3 offset:28
.LBB588_65:
	s_or_b32 exec_lo, exec_lo, s8
	s_wait_dscnt 0x0
	v_dual_mov_b32 v12, 0 :: v_dual_cndmask_b32 v3, v11, v10, s7
	s_wait_storecnt 0x0
	s_barrier_signal -1
	s_barrier_wait -1
	ds_load_b32 v2, v12 offset:28
	v_cndmask_b32_e64 v3, v3, 0, s2
	s_wait_dscnt 0x0
	s_barrier_signal -1
	s_barrier_wait -1
	ds_load_b64 v[16:17], v12 offset:13312
	v_add_nc_u32_e32 v2, v2, v3
	s_wait_dscnt 0x0
	s_delay_alu instid0(VALU_DEP_1) | instskip(NEXT) | instid1(VALU_DEP_1)
	v_dual_mov_b32 v56, v17 :: v_dual_add_nc_u32 v3, v2, v57
	v_add_nc_u32_e32 v4, v3, v41
	s_delay_alu instid0(VALU_DEP_1) | instskip(NEXT) | instid1(VALU_DEP_1)
	v_add_nc_u32_e32 v5, v4, v39
	v_add_nc_u32_e32 v6, v5, v37
	s_delay_alu instid0(VALU_DEP_1) | instskip(NEXT) | instid1(VALU_DEP_1)
	v_add_nc_u32_e32 v7, v6, v58
	v_add_nc_u32_e32 v8, v7, v60
	s_delay_alu instid0(VALU_DEP_1) | instskip(NEXT) | instid1(VALU_DEP_1)
	v_add_nc_u32_e32 v9, v8, v59
	v_add_nc_u32_e32 v10, v9, v33
	s_delay_alu instid0(VALU_DEP_1) | instskip(NEXT) | instid1(VALU_DEP_1)
	v_add_nc_u32_e32 v11, v10, v61
	v_add_nc_u32_e32 v12, v11, v63
	s_delay_alu instid0(VALU_DEP_1) | instskip(NEXT) | instid1(VALU_DEP_1)
	v_add_nc_u32_e32 v13, v12, v62
	v_add_nc_u32_e32 v14, v13, v29
	s_branch .LBB588_75
.LBB588_66:
	v_mov_b32_dpp v2, v66 row_shr:1 row_mask:0xf bank_mask:0xf
	s_delay_alu instid0(VALU_DEP_1) | instskip(NEXT) | instid1(VALU_DEP_1)
	v_cndmask_b32_e64 v2, v2, 0, s6
	v_add_nc_u32_e32 v2, v2, v66
	s_delay_alu instid0(VALU_DEP_1) | instskip(NEXT) | instid1(VALU_DEP_1)
	v_mov_b32_dpp v3, v2 row_shr:2 row_mask:0xf bank_mask:0xf
	v_cndmask_b32_e64 v3, 0, v3, s5
	s_delay_alu instid0(VALU_DEP_1) | instskip(NEXT) | instid1(VALU_DEP_1)
	v_add_nc_u32_e32 v2, v2, v3
	v_mov_b32_dpp v3, v2 row_shr:4 row_mask:0xf bank_mask:0xf
	s_delay_alu instid0(VALU_DEP_1) | instskip(NEXT) | instid1(VALU_DEP_1)
	v_cndmask_b32_e64 v3, 0, v3, s4
	v_add_nc_u32_e32 v2, v2, v3
	s_delay_alu instid0(VALU_DEP_1) | instskip(NEXT) | instid1(VALU_DEP_1)
	v_mov_b32_dpp v3, v2 row_shr:8 row_mask:0xf bank_mask:0xf
	v_cndmask_b32_e64 v3, 0, v3, s3
	s_delay_alu instid0(VALU_DEP_1) | instskip(SKIP_3) | instid1(VALU_DEP_1)
	v_add_nc_u32_e32 v2, v2, v3
	ds_swizzle_b32 v3, v2 offset:swizzle(BROADCAST,32,15)
	s_wait_dscnt 0x0
	v_cndmask_b32_e64 v3, v3, 0, s1
	v_add_nc_u32_e32 v2, v2, v3
	s_and_saveexec_b32 s1, s0
; %bb.67:
	v_lshlrev_b32_e32 v3, 2, v65
	ds_store_b32 v3, v2
; %bb.68:
	s_or_b32 exec_lo, exec_lo, s1
	s_delay_alu instid0(SALU_CYCLE_1)
	s_mov_b32 s0, exec_lo
	s_wait_dscnt 0x0
	s_barrier_signal -1
	s_barrier_wait -1
	v_cmpx_gt_u32_e32 8, v0
	s_cbranch_execz .LBB588_70
; %bb.69:
	ds_load_b32 v3, v19
	s_wait_dscnt 0x0
	v_mov_b32_dpp v5, v3 row_shr:1 row_mask:0xf bank_mask:0xf
	v_and_b32_e32 v4, 7, v64
	s_delay_alu instid0(VALU_DEP_1) | instskip(NEXT) | instid1(VALU_DEP_3)
	v_cmp_ne_u32_e32 vcc_lo, 0, v4
	v_cndmask_b32_e32 v5, 0, v5, vcc_lo
	v_cmp_lt_u32_e32 vcc_lo, 1, v4
	s_delay_alu instid0(VALU_DEP_2) | instskip(NEXT) | instid1(VALU_DEP_1)
	v_add_nc_u32_e32 v3, v5, v3
	v_mov_b32_dpp v5, v3 row_shr:2 row_mask:0xf bank_mask:0xf
	s_delay_alu instid0(VALU_DEP_1) | instskip(SKIP_1) | instid1(VALU_DEP_2)
	v_cndmask_b32_e32 v5, 0, v5, vcc_lo
	v_cmp_lt_u32_e32 vcc_lo, 3, v4
	v_add_nc_u32_e32 v3, v3, v5
	s_delay_alu instid0(VALU_DEP_1) | instskip(NEXT) | instid1(VALU_DEP_1)
	v_mov_b32_dpp v5, v3 row_shr:4 row_mask:0xf bank_mask:0xf
	v_cndmask_b32_e32 v4, 0, v5, vcc_lo
	s_delay_alu instid0(VALU_DEP_1)
	v_add_nc_u32_e32 v3, v3, v4
	ds_store_b32 v19, v3
.LBB588_70:
	s_or_b32 exec_lo, exec_lo, s0
	v_dual_mov_b32 v4, 0 :: v_dual_mov_b32 v3, 0
	s_mov_b32 s0, exec_lo
	s_wait_dscnt 0x0
	s_barrier_signal -1
	s_barrier_wait -1
	v_cmpx_lt_u32_e32 31, v0
; %bb.71:
	v_lshl_add_u32 v3, v65, 2, -4
	ds_load_b32 v3, v3
; %bb.72:
	s_or_b32 exec_lo, exec_lo, s0
	v_sub_co_u32 v5, vcc_lo, v64, 1
	ds_load_b32 v16, v4 offset:28
	s_wait_dscnt 0x1
	v_add_nc_u32_e32 v2, v3, v2
	v_cmp_gt_i32_e64 s0, 0, v5
	s_delay_alu instid0(VALU_DEP_1) | instskip(NEXT) | instid1(VALU_DEP_1)
	v_cndmask_b32_e64 v5, v5, v64, s0
	v_lshlrev_b32_e32 v5, 2, v5
	ds_bpermute_b32 v2, v5, v2
	s_and_saveexec_b32 s0, s2
	s_cbranch_execz .LBB588_74
; %bb.73:
	v_dual_mov_b32 v4, 0 :: v_dual_mov_b32 v17, 2
	s_wait_dscnt 0x1
	global_store_b64 v4, v[16:17], s[20:21] offset:256 scope:SCOPE_DEV
.LBB588_74:
	s_wait_xcnt 0x0
	s_or_b32 exec_lo, exec_lo, s0
	s_wait_dscnt 0x0
	v_cndmask_b32_e32 v2, v2, v3, vcc_lo
	s_wait_storecnt 0x0
	s_barrier_signal -1
	s_barrier_wait -1
	s_delay_alu instid0(VALU_DEP_1) | instskip(NEXT) | instid1(VALU_DEP_1)
	v_cndmask_b32_e64 v2, v2, 0, s2
	v_dual_mov_b32 v56, 0 :: v_dual_add_nc_u32 v3, v2, v57
	s_delay_alu instid0(VALU_DEP_1) | instskip(NEXT) | instid1(VALU_DEP_1)
	v_add_nc_u32_e32 v4, v3, v41
	v_add_nc_u32_e32 v5, v4, v39
	s_delay_alu instid0(VALU_DEP_1) | instskip(NEXT) | instid1(VALU_DEP_1)
	v_add_nc_u32_e32 v6, v5, v37
	v_add_nc_u32_e32 v7, v6, v58
	;; [unrolled: 3-line block ×5, first 2 shown]
	s_delay_alu instid0(VALU_DEP_1)
	v_add_nc_u32_e32 v14, v13, v29
.LBB588_75:
	v_dual_lshrrev_b32 v57, 16, v35 :: v_dual_lshrrev_b32 v58, 8, v35
	v_dual_add_nc_u32 v23, v16, v23 :: v_dual_sub_nc_u32 v3, v3, v56
	v_dual_sub_nc_u32 v2, v2, v56 :: v_dual_bitop2_b32 v35, 1, v35 bitop3:0x40
	s_delay_alu instid0(VALU_DEP_3) | instskip(NEXT) | instid1(VALU_DEP_3)
	v_dual_sub_nc_u32 v4, v4, v56 :: v_dual_bitop2_b32 v58, 1, v58 bitop3:0x40
	v_dual_sub_nc_u32 v59, v23, v3 :: v_dual_bitop2_b32 v57, 1, v57 bitop3:0x40
	s_delay_alu instid0(VALU_DEP_3) | instskip(NEXT) | instid1(VALU_DEP_4)
	v_dual_sub_nc_u32 v60, v23, v2 :: v_dual_sub_nc_u32 v5, v5, v56
	v_cmp_eq_u32_e32 vcc_lo, 1, v35
	s_delay_alu instid0(VALU_DEP_3) | instskip(SKIP_1) | instid1(VALU_DEP_4)
	v_dual_sub_nc_u32 v61, v23, v4 :: v_dual_add_nc_u32 v59, 1, v59
	v_dual_lshrrev_b32 v41, 8, v31 :: v_dual_lshrrev_b32 v39, 16, v31
	v_cndmask_b32_e32 v2, v60, v2, vcc_lo
	v_cmp_eq_u32_e32 vcc_lo, 1, v58
	v_dual_lshrrev_b32 v15, 16, v27 :: v_dual_lshrrev_b32 v17, 8, v27
	v_cndmask_b32_e32 v3, v59, v3, vcc_lo
	s_delay_alu instid0(VALU_DEP_4)
	v_dual_sub_nc_u32 v35, v23, v5 :: v_dual_lshlrev_b32 v2, 2, v2
	v_and_b32_e32 v37, 1, v37
	v_add_nc_u32_e32 v58, 2, v61
	v_cmp_eq_u32_e32 vcc_lo, 1, v57
	v_lshlrev_b32_e32 v3, 2, v3
	v_add_nc_u32_e32 v35, 3, v35
	ds_store_b32 v2, v54
	ds_store_b32 v3, v55
	v_cndmask_b32_e32 v4, v58, v4, vcc_lo
	v_cmp_eq_u32_e32 vcc_lo, 1, v37
	v_dual_cndmask_b32 v5, v35, v5 :: v_dual_sub_nc_u32 v6, v6, v56
	s_delay_alu instid0(VALU_DEP_1) | instskip(NEXT) | instid1(VALU_DEP_2)
	v_dual_lshlrev_b32 v3, 2, v4 :: v_dual_lshlrev_b32 v4, 2, v5
	v_sub_nc_u32_e32 v2, v23, v6
	v_dual_sub_nc_u32 v5, v7, v56 :: v_dual_bitop2_b32 v7, 1, v31 bitop3:0x40
	s_delay_alu instid0(VALU_DEP_2)
	v_add_nc_u32_e32 v2, 4, v2
	ds_store_b32 v3, v52
	ds_store_b32 v4, v53
	v_cmp_eq_u32_e32 vcc_lo, 1, v7
	v_dual_sub_nc_u32 v4, v8, v56 :: v_dual_cndmask_b32 v2, v2, v6, vcc_lo
	v_sub_nc_u32_e32 v3, v23, v5
	v_dual_sub_nc_u32 v7, v9, v56 :: v_dual_bitop2_b32 v6, 1, v41 bitop3:0x40
	s_delay_alu instid0(VALU_DEP_2) | instskip(NEXT) | instid1(VALU_DEP_2)
	v_dual_lshlrev_b32 v2, 2, v2 :: v_dual_add_nc_u32 v3, 5, v3
	v_cmp_eq_u32_e32 vcc_lo, 1, v6
	v_dual_sub_nc_u32 v8, v23, v4 :: v_dual_bitop2_b32 v6, 1, v39 bitop3:0x40
	ds_store_b32 v2, v50
	v_and_b32_e32 v2, 1, v33
	v_cndmask_b32_e32 v3, v3, v5, vcc_lo
	v_dual_sub_nc_u32 v5, v23, v7 :: v_dual_add_nc_u32 v8, 6, v8
	v_cmp_eq_u32_e32 vcc_lo, 1, v6
	s_delay_alu instid0(VALU_DEP_3) | instskip(NEXT) | instid1(VALU_DEP_3)
	v_dual_sub_nc_u32 v6, v11, v56 :: v_dual_lshlrev_b32 v3, 2, v3
	v_dual_cndmask_b32 v4, v8, v4 :: v_dual_add_nc_u32 v5, 7, v5
	v_cmp_eq_u32_e32 vcc_lo, 1, v2
	ds_store_b32 v3, v51
	v_dual_sub_nc_u32 v3, v23, v6 :: v_dual_sub_nc_u32 v8, v14, v56
	v_dual_lshlrev_b32 v4, 2, v4 :: v_dual_cndmask_b32 v2, v5, v7, vcc_lo
	v_dual_sub_nc_u32 v5, v10, v56 :: v_dual_bitop2_b32 v7, 1, v17 bitop3:0x40
	s_delay_alu instid0(VALU_DEP_3)
	v_add_nc_u32_e32 v3, 9, v3
	ds_store_b32 v4, v48
	v_dual_lshlrev_b32 v2, 2, v2 :: v_dual_sub_nc_u32 v4, v23, v5
	v_cmp_eq_u32_e32 vcc_lo, 1, v7
	v_sub_nc_u32_e32 v7, v12, v56
	v_sub_nc_u32_e32 v9, v23, v8
	ds_store_b32 v2, v49
	v_dual_add_nc_u32 v4, 8, v4 :: v_dual_bitop2_b32 v2, 1, v27 bitop3:0x40
	v_dual_cndmask_b32 v3, v3, v6 :: v_dual_sub_nc_u32 v6, v13, v56
	s_delay_alu instid0(VALU_DEP_2) | instskip(NEXT) | instid1(VALU_DEP_2)
	v_cmp_eq_u32_e32 vcc_lo, 1, v2
	v_dual_cndmask_b32 v2, v4, v5, vcc_lo :: v_dual_sub_nc_u32 v4, v23, v6
	v_and_b32_e32 v10, 1, v15
	v_dual_sub_nc_u32 v5, v23, v7 :: v_dual_bitop2_b32 v12, 1, v25 bitop3:0x40
	s_delay_alu instid0(VALU_DEP_3) | instskip(SKIP_1) | instid1(VALU_DEP_1)
	v_dual_lshlrev_b32 v2, 2, v2 :: v_dual_add_nc_u32 v4, 11, v4
	v_and_b32_e32 v11, 1, v29
	v_cmp_eq_u32_e32 vcc_lo, 1, v11
	s_delay_alu instid0(VALU_DEP_3) | instskip(SKIP_3) | instid1(VALU_DEP_1)
	v_cndmask_b32_e32 v4, v4, v6, vcc_lo
	v_cmp_eq_u32_e32 vcc_lo, 1, v10
	v_add_nc_u32_e32 v9, 12, v9
	v_add_nc_u32_e32 v5, 10, v5
	v_cndmask_b32_e32 v5, v5, v7, vcc_lo
	v_cmp_eq_u32_e32 vcc_lo, 1, v12
	s_delay_alu instid0(VALU_DEP_2) | instskip(SKIP_3) | instid1(VALU_DEP_3)
	v_dual_lshlrev_b32 v3, 2, v3 :: v_dual_lshlrev_b32 v5, 2, v5
	v_cndmask_b32_e32 v6, v9, v8, vcc_lo
	v_lshlrev_b32_e32 v4, 2, v4
	v_cmp_ne_u32_e32 vcc_lo, 1, v21
	v_lshlrev_b32_e32 v6, 2, v6
	ds_store_b32 v2, v46
	ds_store_b32 v3, v47
	;; [unrolled: 1-line block ×5, first 2 shown]
	s_wait_dscnt 0x0
	s_barrier_signal -1
	s_barrier_wait -1
	ds_load_2addr_stride64_b32 v[14:15], v19 offset1:4
	ds_load_2addr_stride64_b32 v[12:13], v19 offset0:8 offset1:12
	ds_load_2addr_stride64_b32 v[10:11], v19 offset0:16 offset1:20
	;; [unrolled: 1-line block ×5, first 2 shown]
	ds_load_b32 v46, v19 offset:12288
	v_mov_b32_e32 v1, 0
	s_and_b32 vcc_lo, exec_lo, vcc_lo
	s_delay_alu instid0(VALU_DEP_1) | instskip(SKIP_2) | instid1(VALU_DEP_3)
	v_dual_mov_b32 v29, v1 :: v_dual_mov_b32 v57, v1
	v_dual_mov_b32 v41, v1 :: v_dual_mov_b32 v39, v1
	;; [unrolled: 1-line block ×3, first 2 shown]
	v_add_nc_u64_e32 v[2:3], v[42:43], v[56:57]
	v_dual_mov_b32 v33, v1 :: v_dual_mov_b32 v31, v1
	v_dual_mov_b32 v27, v1 :: v_dual_mov_b32 v25, v1
	;; [unrolled: 1-line block ×3, first 2 shown]
	v_mov_b32_e32 v19, v1
	s_cbranch_vccnz .LBB588_132
; %bb.76:
	v_mov_b32_e32 v17, v1
	s_mov_b32 s15, 0
	v_sub_nc_u64_e64 v[42:43], v[2:3], s[16:17]
	s_sub_nc_u64 s[0:1], s[18:19], s[14:15]
	s_delay_alu instid0(VALU_DEP_2) | instid1(SALU_CYCLE_1)
	v_add_nc_u64_e32 v[44:45], s[0:1], v[16:17]
	s_mov_b32 s0, exec_lo
	s_delay_alu instid0(VALU_DEP_1)
	v_add_nc_u64_e32 v[42:43], v[44:45], v[42:43]
                                        ; implicit-def: $vgpr44_vgpr45
	v_cmpx_ge_u32_e64 v0, v16
	s_xor_b32 s0, exec_lo, s0
; %bb.77:
	v_not_b32_e32 v44, v0
	s_delay_alu instid0(VALU_DEP_1) | instskip(NEXT) | instid1(VALU_DEP_1)
	v_ashrrev_i32_e32 v45, 31, v44
	v_add_nc_u64_e32 v[44:45], v[42:43], v[44:45]
; %bb.78:
	s_and_not1_saveexec_b32 s0, s0
; %bb.79:
	v_add_nc_u64_e32 v[44:45], v[2:3], v[0:1]
; %bb.80:
	s_or_b32 exec_lo, exec_lo, s0
	s_delay_alu instid0(VALU_DEP_1)
	v_lshl_add_u64 v[44:45], v[44:45], 2, s[10:11]
	s_mov_b32 s0, exec_lo
	s_wait_dscnt 0x6
	global_store_b32 v[44:45], v14, off
                                        ; implicit-def: $vgpr44_vgpr45
	s_wait_xcnt 0x0
	v_cmpx_ge_u32_e64 v40, v16
	s_xor_b32 s0, exec_lo, s0
; %bb.81:
	v_xor_b32_e32 v44, 0xfffffeff, v0
	s_delay_alu instid0(VALU_DEP_1) | instskip(NEXT) | instid1(VALU_DEP_1)
	v_ashrrev_i32_e32 v45, 31, v44
	v_add_nc_u64_e32 v[44:45], v[42:43], v[44:45]
; %bb.82:
	s_and_not1_saveexec_b32 s0, s0
; %bb.83:
	v_add_nc_u64_e32 v[44:45], v[2:3], v[40:41]
; %bb.84:
	s_or_b32 exec_lo, exec_lo, s0
	s_delay_alu instid0(VALU_DEP_1)
	v_lshl_add_u64 v[44:45], v[44:45], 2, s[10:11]
	s_mov_b32 s0, exec_lo
	global_store_b32 v[44:45], v15, off
                                        ; implicit-def: $vgpr44_vgpr45
	s_wait_xcnt 0x0
	v_cmpx_ge_u32_e64 v38, v16
	s_xor_b32 s0, exec_lo, s0
; %bb.85:
	v_xor_b32_e32 v44, 0xfffffdff, v0
	s_delay_alu instid0(VALU_DEP_1) | instskip(NEXT) | instid1(VALU_DEP_1)
	v_ashrrev_i32_e32 v45, 31, v44
	v_add_nc_u64_e32 v[44:45], v[42:43], v[44:45]
; %bb.86:
	s_and_not1_saveexec_b32 s0, s0
; %bb.87:
	v_add_nc_u64_e32 v[44:45], v[2:3], v[38:39]
; %bb.88:
	s_or_b32 exec_lo, exec_lo, s0
	s_delay_alu instid0(VALU_DEP_1)
	v_lshl_add_u64 v[44:45], v[44:45], 2, s[10:11]
	s_mov_b32 s0, exec_lo
	s_wait_dscnt 0x5
	global_store_b32 v[44:45], v12, off
                                        ; implicit-def: $vgpr44_vgpr45
	s_wait_xcnt 0x0
	v_cmpx_ge_u32_e64 v36, v16
	s_xor_b32 s0, exec_lo, s0
; %bb.89:
	v_xor_b32_e32 v44, 0xfffffcff, v0
	s_delay_alu instid0(VALU_DEP_1) | instskip(NEXT) | instid1(VALU_DEP_1)
	v_ashrrev_i32_e32 v45, 31, v44
	v_add_nc_u64_e32 v[44:45], v[42:43], v[44:45]
; %bb.90:
	s_and_not1_saveexec_b32 s0, s0
; %bb.91:
	v_add_nc_u64_e32 v[44:45], v[2:3], v[36:37]
; %bb.92:
	s_or_b32 exec_lo, exec_lo, s0
	s_delay_alu instid0(VALU_DEP_1)
	v_lshl_add_u64 v[44:45], v[44:45], 2, s[10:11]
	s_mov_b32 s0, exec_lo
	global_store_b32 v[44:45], v13, off
                                        ; implicit-def: $vgpr44_vgpr45
	s_wait_xcnt 0x0
	v_cmpx_ge_u32_e64 v34, v16
	s_xor_b32 s0, exec_lo, s0
; %bb.93:
	v_xor_b32_e32 v44, 0xfffffbff, v0
	;; [unrolled: 39-line block ×6, first 2 shown]
	s_delay_alu instid0(VALU_DEP_1) | instskip(NEXT) | instid1(VALU_DEP_1)
	v_ashrrev_i32_e32 v45, 31, v44
	v_add_nc_u64_e32 v[44:45], v[42:43], v[44:45]
; %bb.126:
	s_and_not1_saveexec_b32 s0, s0
; %bb.127:
	v_add_nc_u64_e32 v[44:45], v[2:3], v[18:19]
; %bb.128:
	s_or_b32 exec_lo, exec_lo, s0
	s_mov_b32 s0, -1
.LBB588_129:
	s_delay_alu instid0(SALU_CYCLE_1)
	s_and_saveexec_b32 s1, s0
	s_cbranch_execz .LBB588_212
.LBB588_130:
	s_delay_alu instid0(VALU_DEP_1)
	v_lshl_add_u64 v[0:1], v[44:45], 2, s[10:11]
	s_wait_dscnt 0x0
	global_store_b32 v[0:1], v46, off
	s_wait_xcnt 0x0
	s_or_b32 exec_lo, exec_lo, s1
	s_and_b32 s0, s2, s9
	s_delay_alu instid0(SALU_CYCLE_1)
	s_and_saveexec_b32 s1, s0
	s_cbranch_execnz .LBB588_213
.LBB588_131:
	s_sendmsg sendmsg(MSG_DEALLOC_VGPRS)
	s_endpgm
.LBB588_132:
	s_mov_b32 s0, 0
                                        ; implicit-def: $vgpr44_vgpr45
	s_cbranch_execz .LBB588_129
; %bb.133:
	s_mov_b32 s15, 0
	v_mov_b32_e32 v17, 0
	s_add_nc_u64 s[4:5], s[16:17], s[14:15]
	s_mov_b32 s1, exec_lo
	s_sub_nc_u64 s[4:5], s[18:19], s[4:5]
	s_delay_alu instid0(VALU_DEP_1) | instid1(SALU_CYCLE_1)
	v_add_nc_u64_e32 v[42:43], s[4:5], v[16:17]
	s_delay_alu instid0(VALU_DEP_1)
	v_add_nc_u64_e32 v[42:43], v[42:43], v[2:3]
	v_cmpx_gt_u32_e64 s22, v0
	s_cbranch_execz .LBB588_169
; %bb.134:
	s_mov_b32 s3, exec_lo
                                        ; implicit-def: $vgpr44_vgpr45
	v_cmpx_ge_u32_e64 v0, v16
	s_xor_b32 s3, exec_lo, s3
; %bb.135:
	v_not_b32_e32 v44, v0
	s_delay_alu instid0(VALU_DEP_1) | instskip(NEXT) | instid1(VALU_DEP_1)
	v_ashrrev_i32_e32 v45, 31, v44
	v_add_nc_u64_e32 v[44:45], v[42:43], v[44:45]
; %bb.136:
	s_and_not1_saveexec_b32 s3, s3
; %bb.137:
	v_add_nc_u64_e32 v[44:45], v[2:3], v[0:1]
; %bb.138:
	s_or_b32 exec_lo, exec_lo, s3
	s_delay_alu instid0(VALU_DEP_1) | instskip(SKIP_4) | instid1(SALU_CYCLE_1)
	v_lshl_add_u64 v[44:45], v[44:45], 2, s[10:11]
	s_wait_dscnt 0x6
	global_store_b32 v[44:45], v14, off
	s_wait_xcnt 0x0
	s_or_b32 exec_lo, exec_lo, s1
	s_mov_b32 s1, exec_lo
	v_cmpx_gt_u32_e64 s22, v40
	s_cbranch_execnz .LBB588_170
.LBB588_139:
	s_or_b32 exec_lo, exec_lo, s1
	s_delay_alu instid0(SALU_CYCLE_1)
	s_mov_b32 s1, exec_lo
	v_cmpx_gt_u32_e64 s22, v38
	s_cbranch_execz .LBB588_175
.LBB588_140:
	s_mov_b32 s3, exec_lo
                                        ; implicit-def: $vgpr14_vgpr15
	v_cmpx_ge_u32_e64 v38, v16
	s_xor_b32 s3, exec_lo, s3
	s_cbranch_execz .LBB588_142
; %bb.141:
	s_wait_dscnt 0x6
	v_xor_b32_e32 v14, 0xfffffdff, v0
                                        ; implicit-def: $vgpr38_vgpr39
	s_delay_alu instid0(VALU_DEP_1) | instskip(NEXT) | instid1(VALU_DEP_1)
	v_ashrrev_i32_e32 v15, 31, v14
	v_add_nc_u64_e32 v[14:15], v[42:43], v[14:15]
.LBB588_142:
	s_and_not1_saveexec_b32 s3, s3
	s_cbranch_execz .LBB588_144
; %bb.143:
	s_wait_dscnt 0x6
	v_add_nc_u64_e32 v[14:15], v[2:3], v[38:39]
.LBB588_144:
	s_or_b32 exec_lo, exec_lo, s3
	s_wait_dscnt 0x6
	s_delay_alu instid0(VALU_DEP_1) | instskip(SKIP_4) | instid1(SALU_CYCLE_1)
	v_lshl_add_u64 v[14:15], v[14:15], 2, s[10:11]
	s_wait_dscnt 0x5
	global_store_b32 v[14:15], v12, off
	s_wait_xcnt 0x0
	s_or_b32 exec_lo, exec_lo, s1
	s_mov_b32 s1, exec_lo
	v_cmpx_gt_u32_e64 s22, v36
	s_cbranch_execnz .LBB588_176
.LBB588_145:
	s_or_b32 exec_lo, exec_lo, s1
	s_delay_alu instid0(SALU_CYCLE_1)
	s_mov_b32 s1, exec_lo
	v_cmpx_gt_u32_e64 s22, v34
	s_cbranch_execz .LBB588_181
.LBB588_146:
	s_mov_b32 s3, exec_lo
                                        ; implicit-def: $vgpr12_vgpr13
	v_cmpx_ge_u32_e64 v34, v16
	s_xor_b32 s3, exec_lo, s3
	s_cbranch_execz .LBB588_148
; %bb.147:
	s_wait_dscnt 0x5
	v_xor_b32_e32 v12, 0xfffffbff, v0
                                        ; implicit-def: $vgpr34_vgpr35
	s_delay_alu instid0(VALU_DEP_1) | instskip(NEXT) | instid1(VALU_DEP_1)
	v_ashrrev_i32_e32 v13, 31, v12
	v_add_nc_u64_e32 v[12:13], v[42:43], v[12:13]
.LBB588_148:
	s_and_not1_saveexec_b32 s3, s3
	s_cbranch_execz .LBB588_150
; %bb.149:
	s_wait_dscnt 0x5
	v_add_nc_u64_e32 v[12:13], v[2:3], v[34:35]
.LBB588_150:
	s_or_b32 exec_lo, exec_lo, s3
	s_wait_dscnt 0x5
	s_delay_alu instid0(VALU_DEP_1) | instskip(SKIP_4) | instid1(SALU_CYCLE_1)
	v_lshl_add_u64 v[12:13], v[12:13], 2, s[10:11]
	s_wait_dscnt 0x4
	global_store_b32 v[12:13], v10, off
	s_wait_xcnt 0x0
	s_or_b32 exec_lo, exec_lo, s1
	s_mov_b32 s1, exec_lo
	v_cmpx_gt_u32_e64 s22, v32
	s_cbranch_execnz .LBB588_182
.LBB588_151:
	s_or_b32 exec_lo, exec_lo, s1
	s_delay_alu instid0(SALU_CYCLE_1)
	s_mov_b32 s1, exec_lo
	v_cmpx_gt_u32_e64 s22, v30
	s_cbranch_execz .LBB588_187
.LBB588_152:
	s_mov_b32 s3, exec_lo
                                        ; implicit-def: $vgpr10_vgpr11
	v_cmpx_ge_u32_e64 v30, v16
	s_xor_b32 s3, exec_lo, s3
	s_cbranch_execz .LBB588_154
; %bb.153:
	s_wait_dscnt 0x4
	v_xor_b32_e32 v10, 0xfffff9ff, v0
                                        ; implicit-def: $vgpr30_vgpr31
	s_delay_alu instid0(VALU_DEP_1) | instskip(NEXT) | instid1(VALU_DEP_1)
	v_ashrrev_i32_e32 v11, 31, v10
	v_add_nc_u64_e32 v[10:11], v[42:43], v[10:11]
.LBB588_154:
	s_and_not1_saveexec_b32 s3, s3
	s_cbranch_execz .LBB588_156
; %bb.155:
	s_wait_dscnt 0x4
	v_add_nc_u64_e32 v[10:11], v[2:3], v[30:31]
.LBB588_156:
	s_or_b32 exec_lo, exec_lo, s3
	s_wait_dscnt 0x4
	s_delay_alu instid0(VALU_DEP_1) | instskip(SKIP_4) | instid1(SALU_CYCLE_1)
	v_lshl_add_u64 v[10:11], v[10:11], 2, s[10:11]
	s_wait_dscnt 0x3
	global_store_b32 v[10:11], v8, off
	s_wait_xcnt 0x0
	s_or_b32 exec_lo, exec_lo, s1
	s_mov_b32 s1, exec_lo
	v_cmpx_gt_u32_e64 s22, v28
	s_cbranch_execnz .LBB588_188
.LBB588_157:
	s_or_b32 exec_lo, exec_lo, s1
	s_delay_alu instid0(SALU_CYCLE_1)
	s_mov_b32 s1, exec_lo
	v_cmpx_gt_u32_e64 s22, v26
	s_cbranch_execz .LBB588_193
.LBB588_158:
	s_mov_b32 s3, exec_lo
                                        ; implicit-def: $vgpr8_vgpr9
	v_cmpx_ge_u32_e64 v26, v16
	s_xor_b32 s3, exec_lo, s3
	s_cbranch_execz .LBB588_160
; %bb.159:
	s_wait_dscnt 0x3
	v_xor_b32_e32 v8, 0xfffff7ff, v0
                                        ; implicit-def: $vgpr26_vgpr27
	s_delay_alu instid0(VALU_DEP_1) | instskip(NEXT) | instid1(VALU_DEP_1)
	v_ashrrev_i32_e32 v9, 31, v8
	v_add_nc_u64_e32 v[8:9], v[42:43], v[8:9]
.LBB588_160:
	s_and_not1_saveexec_b32 s3, s3
	s_cbranch_execz .LBB588_162
; %bb.161:
	s_wait_dscnt 0x3
	v_add_nc_u64_e32 v[8:9], v[2:3], v[26:27]
.LBB588_162:
	s_or_b32 exec_lo, exec_lo, s3
	s_wait_dscnt 0x3
	s_delay_alu instid0(VALU_DEP_1) | instskip(SKIP_4) | instid1(SALU_CYCLE_1)
	v_lshl_add_u64 v[8:9], v[8:9], 2, s[10:11]
	s_wait_dscnt 0x2
	global_store_b32 v[8:9], v6, off
	s_wait_xcnt 0x0
	s_or_b32 exec_lo, exec_lo, s1
	s_mov_b32 s1, exec_lo
	v_cmpx_gt_u32_e64 s22, v24
	s_cbranch_execnz .LBB588_194
.LBB588_163:
	s_or_b32 exec_lo, exec_lo, s1
	s_delay_alu instid0(SALU_CYCLE_1)
	s_mov_b32 s1, exec_lo
	v_cmpx_gt_u32_e64 s22, v22
	s_cbranch_execz .LBB588_199
.LBB588_164:
	s_mov_b32 s3, exec_lo
                                        ; implicit-def: $vgpr6_vgpr7
	v_cmpx_ge_u32_e64 v22, v16
	s_xor_b32 s3, exec_lo, s3
	s_cbranch_execz .LBB588_166
; %bb.165:
	s_wait_dscnt 0x2
	v_xor_b32_e32 v6, 0xfffff5ff, v0
                                        ; implicit-def: $vgpr22_vgpr23
	s_delay_alu instid0(VALU_DEP_1) | instskip(NEXT) | instid1(VALU_DEP_1)
	v_ashrrev_i32_e32 v7, 31, v6
	v_add_nc_u64_e32 v[6:7], v[42:43], v[6:7]
.LBB588_166:
	s_and_not1_saveexec_b32 s3, s3
	s_cbranch_execz .LBB588_168
; %bb.167:
	s_wait_dscnt 0x2
	v_add_nc_u64_e32 v[6:7], v[2:3], v[22:23]
.LBB588_168:
	s_or_b32 exec_lo, exec_lo, s3
	s_wait_dscnt 0x2
	s_delay_alu instid0(VALU_DEP_1) | instskip(SKIP_4) | instid1(SALU_CYCLE_1)
	v_lshl_add_u64 v[6:7], v[6:7], 2, s[10:11]
	s_wait_dscnt 0x1
	global_store_b32 v[6:7], v4, off
	s_wait_xcnt 0x0
	s_or_b32 exec_lo, exec_lo, s1
	s_mov_b32 s1, exec_lo
	v_cmpx_gt_u32_e64 s22, v20
	s_cbranch_execz .LBB588_205
	s_branch .LBB588_200
.LBB588_169:
	s_or_b32 exec_lo, exec_lo, s1
	s_delay_alu instid0(SALU_CYCLE_1)
	s_mov_b32 s1, exec_lo
	v_cmpx_gt_u32_e64 s22, v40
	s_cbranch_execz .LBB588_139
.LBB588_170:
	s_mov_b32 s3, exec_lo
                                        ; implicit-def: $vgpr44_vgpr45
	v_cmpx_ge_u32_e64 v40, v16
	s_xor_b32 s3, exec_lo, s3
; %bb.171:
	v_xor_b32_e32 v40, 0xfffffeff, v0
	s_delay_alu instid0(VALU_DEP_1) | instskip(NEXT) | instid1(VALU_DEP_1)
	v_ashrrev_i32_e32 v41, 31, v40
	v_add_nc_u64_e32 v[44:45], v[42:43], v[40:41]
                                        ; implicit-def: $vgpr40_vgpr41
; %bb.172:
	s_and_not1_saveexec_b32 s3, s3
; %bb.173:
	v_add_nc_u64_e32 v[44:45], v[2:3], v[40:41]
; %bb.174:
	s_or_b32 exec_lo, exec_lo, s3
	s_delay_alu instid0(VALU_DEP_1) | instskip(SKIP_4) | instid1(SALU_CYCLE_1)
	v_lshl_add_u64 v[40:41], v[44:45], 2, s[10:11]
	s_wait_dscnt 0x6
	global_store_b32 v[40:41], v15, off
	s_wait_xcnt 0x0
	s_or_b32 exec_lo, exec_lo, s1
	s_mov_b32 s1, exec_lo
	v_cmpx_gt_u32_e64 s22, v38
	s_cbranch_execnz .LBB588_140
.LBB588_175:
	s_or_b32 exec_lo, exec_lo, s1
	s_delay_alu instid0(SALU_CYCLE_1)
	s_mov_b32 s1, exec_lo
	v_cmpx_gt_u32_e64 s22, v36
	s_cbranch_execz .LBB588_145
.LBB588_176:
	s_mov_b32 s3, exec_lo
                                        ; implicit-def: $vgpr14_vgpr15
	v_cmpx_ge_u32_e64 v36, v16
	s_xor_b32 s3, exec_lo, s3
	s_cbranch_execz .LBB588_178
; %bb.177:
	s_wait_dscnt 0x6
	v_xor_b32_e32 v14, 0xfffffcff, v0
                                        ; implicit-def: $vgpr36_vgpr37
	s_delay_alu instid0(VALU_DEP_1) | instskip(NEXT) | instid1(VALU_DEP_1)
	v_ashrrev_i32_e32 v15, 31, v14
	v_add_nc_u64_e32 v[14:15], v[42:43], v[14:15]
.LBB588_178:
	s_and_not1_saveexec_b32 s3, s3
	s_cbranch_execz .LBB588_180
; %bb.179:
	s_wait_dscnt 0x6
	v_add_nc_u64_e32 v[14:15], v[2:3], v[36:37]
.LBB588_180:
	s_or_b32 exec_lo, exec_lo, s3
	s_wait_dscnt 0x6
	s_delay_alu instid0(VALU_DEP_1) | instskip(SKIP_4) | instid1(SALU_CYCLE_1)
	v_lshl_add_u64 v[14:15], v[14:15], 2, s[10:11]
	s_wait_dscnt 0x5
	global_store_b32 v[14:15], v13, off
	s_wait_xcnt 0x0
	s_or_b32 exec_lo, exec_lo, s1
	s_mov_b32 s1, exec_lo
	v_cmpx_gt_u32_e64 s22, v34
	s_cbranch_execnz .LBB588_146
.LBB588_181:
	s_or_b32 exec_lo, exec_lo, s1
	s_delay_alu instid0(SALU_CYCLE_1)
	s_mov_b32 s1, exec_lo
	v_cmpx_gt_u32_e64 s22, v32
	s_cbranch_execz .LBB588_151
.LBB588_182:
	s_mov_b32 s3, exec_lo
                                        ; implicit-def: $vgpr12_vgpr13
	v_cmpx_ge_u32_e64 v32, v16
	s_xor_b32 s3, exec_lo, s3
	s_cbranch_execz .LBB588_184
; %bb.183:
	s_wait_dscnt 0x5
	v_xor_b32_e32 v12, 0xfffffaff, v0
                                        ; implicit-def: $vgpr32_vgpr33
	s_delay_alu instid0(VALU_DEP_1) | instskip(NEXT) | instid1(VALU_DEP_1)
	v_ashrrev_i32_e32 v13, 31, v12
	v_add_nc_u64_e32 v[12:13], v[42:43], v[12:13]
.LBB588_184:
	s_and_not1_saveexec_b32 s3, s3
	s_cbranch_execz .LBB588_186
; %bb.185:
	s_wait_dscnt 0x5
	v_add_nc_u64_e32 v[12:13], v[2:3], v[32:33]
.LBB588_186:
	s_or_b32 exec_lo, exec_lo, s3
	s_wait_dscnt 0x5
	s_delay_alu instid0(VALU_DEP_1) | instskip(SKIP_4) | instid1(SALU_CYCLE_1)
	v_lshl_add_u64 v[12:13], v[12:13], 2, s[10:11]
	s_wait_dscnt 0x4
	global_store_b32 v[12:13], v11, off
	s_wait_xcnt 0x0
	s_or_b32 exec_lo, exec_lo, s1
	s_mov_b32 s1, exec_lo
	v_cmpx_gt_u32_e64 s22, v30
	s_cbranch_execnz .LBB588_152
.LBB588_187:
	s_or_b32 exec_lo, exec_lo, s1
	s_delay_alu instid0(SALU_CYCLE_1)
	s_mov_b32 s1, exec_lo
	v_cmpx_gt_u32_e64 s22, v28
	s_cbranch_execz .LBB588_157
.LBB588_188:
	s_mov_b32 s3, exec_lo
                                        ; implicit-def: $vgpr10_vgpr11
	v_cmpx_ge_u32_e64 v28, v16
	s_xor_b32 s3, exec_lo, s3
	s_cbranch_execz .LBB588_190
; %bb.189:
	s_wait_dscnt 0x4
	v_xor_b32_e32 v10, 0xfffff8ff, v0
                                        ; implicit-def: $vgpr28_vgpr29
	s_delay_alu instid0(VALU_DEP_1) | instskip(NEXT) | instid1(VALU_DEP_1)
	v_ashrrev_i32_e32 v11, 31, v10
	v_add_nc_u64_e32 v[10:11], v[42:43], v[10:11]
.LBB588_190:
	s_and_not1_saveexec_b32 s3, s3
	s_cbranch_execz .LBB588_192
; %bb.191:
	s_wait_dscnt 0x4
	v_add_nc_u64_e32 v[10:11], v[2:3], v[28:29]
.LBB588_192:
	s_or_b32 exec_lo, exec_lo, s3
	s_wait_dscnt 0x4
	s_delay_alu instid0(VALU_DEP_1) | instskip(SKIP_4) | instid1(SALU_CYCLE_1)
	v_lshl_add_u64 v[10:11], v[10:11], 2, s[10:11]
	s_wait_dscnt 0x3
	global_store_b32 v[10:11], v9, off
	s_wait_xcnt 0x0
	s_or_b32 exec_lo, exec_lo, s1
	s_mov_b32 s1, exec_lo
	v_cmpx_gt_u32_e64 s22, v26
	s_cbranch_execnz .LBB588_158
.LBB588_193:
	s_or_b32 exec_lo, exec_lo, s1
	s_delay_alu instid0(SALU_CYCLE_1)
	s_mov_b32 s1, exec_lo
	v_cmpx_gt_u32_e64 s22, v24
	s_cbranch_execz .LBB588_163
.LBB588_194:
	s_mov_b32 s3, exec_lo
                                        ; implicit-def: $vgpr8_vgpr9
	v_cmpx_ge_u32_e64 v24, v16
	s_xor_b32 s3, exec_lo, s3
	s_cbranch_execz .LBB588_196
; %bb.195:
	s_wait_dscnt 0x3
	v_xor_b32_e32 v8, 0xfffff6ff, v0
                                        ; implicit-def: $vgpr24_vgpr25
	s_delay_alu instid0(VALU_DEP_1) | instskip(NEXT) | instid1(VALU_DEP_1)
	v_ashrrev_i32_e32 v9, 31, v8
	v_add_nc_u64_e32 v[8:9], v[42:43], v[8:9]
.LBB588_196:
	s_and_not1_saveexec_b32 s3, s3
	s_cbranch_execz .LBB588_198
; %bb.197:
	s_wait_dscnt 0x3
	v_add_nc_u64_e32 v[8:9], v[2:3], v[24:25]
.LBB588_198:
	s_or_b32 exec_lo, exec_lo, s3
	s_wait_dscnt 0x3
	s_delay_alu instid0(VALU_DEP_1) | instskip(SKIP_4) | instid1(SALU_CYCLE_1)
	v_lshl_add_u64 v[8:9], v[8:9], 2, s[10:11]
	s_wait_dscnt 0x2
	global_store_b32 v[8:9], v7, off
	s_wait_xcnt 0x0
	s_or_b32 exec_lo, exec_lo, s1
	s_mov_b32 s1, exec_lo
	v_cmpx_gt_u32_e64 s22, v22
	s_cbranch_execnz .LBB588_164
.LBB588_199:
	s_or_b32 exec_lo, exec_lo, s1
	s_delay_alu instid0(SALU_CYCLE_1)
	s_mov_b32 s1, exec_lo
	v_cmpx_gt_u32_e64 s22, v20
	s_cbranch_execz .LBB588_205
.LBB588_200:
	s_mov_b32 s3, exec_lo
                                        ; implicit-def: $vgpr6_vgpr7
	v_cmpx_ge_u32_e64 v20, v16
	s_xor_b32 s3, exec_lo, s3
	s_cbranch_execz .LBB588_202
; %bb.201:
	s_wait_dscnt 0x2
	v_xor_b32_e32 v6, 0xfffff4ff, v0
                                        ; implicit-def: $vgpr20_vgpr21
	s_delay_alu instid0(VALU_DEP_1) | instskip(NEXT) | instid1(VALU_DEP_1)
	v_ashrrev_i32_e32 v7, 31, v6
	v_add_nc_u64_e32 v[6:7], v[42:43], v[6:7]
.LBB588_202:
	s_and_not1_saveexec_b32 s3, s3
	s_cbranch_execz .LBB588_204
; %bb.203:
	s_wait_dscnt 0x2
	v_add_nc_u64_e32 v[6:7], v[2:3], v[20:21]
.LBB588_204:
	s_or_b32 exec_lo, exec_lo, s3
	s_wait_dscnt 0x2
	s_delay_alu instid0(VALU_DEP_1)
	v_lshl_add_u64 v[6:7], v[6:7], 2, s[10:11]
	s_wait_dscnt 0x1
	global_store_b32 v[6:7], v5, off
.LBB588_205:
	s_wait_xcnt 0x0
	s_or_b32 exec_lo, exec_lo, s1
	s_delay_alu instid0(SALU_CYCLE_1)
	s_mov_b32 s1, exec_lo
                                        ; implicit-def: $vgpr44_vgpr45
	v_cmpx_gt_u32_e64 s22, v18
	s_cbranch_execz .LBB588_211
; %bb.206:
	s_mov_b32 s3, exec_lo
                                        ; implicit-def: $vgpr44_vgpr45
	v_cmpx_ge_u32_e64 v18, v16
	s_xor_b32 s3, exec_lo, s3
; %bb.207:
	v_xor_b32_e32 v0, 0xfffff3ff, v0
                                        ; implicit-def: $vgpr18_vgpr19
	s_delay_alu instid0(VALU_DEP_1) | instskip(NEXT) | instid1(VALU_DEP_1)
	v_ashrrev_i32_e32 v1, 31, v0
	v_add_nc_u64_e32 v[44:45], v[42:43], v[0:1]
; %bb.208:
	s_and_not1_saveexec_b32 s3, s3
; %bb.209:
	v_add_nc_u64_e32 v[44:45], v[2:3], v[18:19]
; %bb.210:
	s_or_b32 exec_lo, exec_lo, s3
	s_delay_alu instid0(SALU_CYCLE_1)
	s_or_b32 s0, s0, exec_lo
.LBB588_211:
	s_or_b32 exec_lo, exec_lo, s1
	s_and_saveexec_b32 s1, s0
	s_cbranch_execnz .LBB588_130
.LBB588_212:
	s_or_b32 exec_lo, exec_lo, s1
	s_and_b32 s0, s2, s9
	s_delay_alu instid0(SALU_CYCLE_1)
	s_and_saveexec_b32 s1, s0
	s_cbranch_execz .LBB588_131
.LBB588_213:
	v_mov_b32_e32 v17, 0
	s_delay_alu instid0(VALU_DEP_1)
	v_add_nc_u64_e32 v[0:1], v[2:3], v[16:17]
	global_store_b64 v17, v[0:1], s[12:13]
	s_sendmsg sendmsg(MSG_DEALLOC_VGPRS)
	s_endpgm
	.section	.rodata,"a",@progbits
	.p2align	6, 0x0
	.amdhsa_kernel _ZN7rocprim17ROCPRIM_400000_NS6detail17trampoline_kernelINS0_13select_configILj256ELj13ELNS0_17block_load_methodE3ELS4_3ELS4_3ELNS0_20block_scan_algorithmE0ELj4294967295EEENS1_25partition_config_selectorILNS1_17partition_subalgoE3EjNS0_10empty_typeEbEEZZNS1_14partition_implILS8_3ELb0ES6_jNS0_17counting_iteratorIjlEEPS9_SE_NS0_5tupleIJPjSE_EEENSF_IJSE_SE_EEES9_SG_JZNS1_25segmented_radix_sort_implINS0_14default_configELb0EPKiPiPKlPlN2at6native12_GLOBAL__N_18offset_tEEE10hipError_tPvRmT1_PNSt15iterator_traitsISY_E10value_typeET2_T3_PNSZ_IS14_E10value_typeET4_jRbjT5_S1A_jjP12ihipStream_tbEUljE_EEESV_SW_SX_S14_S18_S1A_T6_T7_T9_mT8_S1C_bDpT10_ENKUlT_T0_E_clISt17integral_constantIbLb0EES1O_IbLb1EEEEDaS1K_S1L_EUlS1K_E_NS1_11comp_targetILNS1_3genE0ELNS1_11target_archE4294967295ELNS1_3gpuE0ELNS1_3repE0EEENS1_30default_config_static_selectorELNS0_4arch9wavefront6targetE0EEEvSY_
		.amdhsa_group_segment_fixed_size 13320
		.amdhsa_private_segment_fixed_size 0
		.amdhsa_kernarg_size 152
		.amdhsa_user_sgpr_count 2
		.amdhsa_user_sgpr_dispatch_ptr 0
		.amdhsa_user_sgpr_queue_ptr 0
		.amdhsa_user_sgpr_kernarg_segment_ptr 1
		.amdhsa_user_sgpr_dispatch_id 0
		.amdhsa_user_sgpr_kernarg_preload_length 0
		.amdhsa_user_sgpr_kernarg_preload_offset 0
		.amdhsa_user_sgpr_private_segment_size 0
		.amdhsa_wavefront_size32 1
		.amdhsa_uses_dynamic_stack 0
		.amdhsa_enable_private_segment 0
		.amdhsa_system_sgpr_workgroup_id_x 1
		.amdhsa_system_sgpr_workgroup_id_y 0
		.amdhsa_system_sgpr_workgroup_id_z 0
		.amdhsa_system_sgpr_workgroup_info 0
		.amdhsa_system_vgpr_workitem_id 0
		.amdhsa_next_free_vgpr 72
		.amdhsa_next_free_sgpr 24
		.amdhsa_named_barrier_count 0
		.amdhsa_reserve_vcc 1
		.amdhsa_float_round_mode_32 0
		.amdhsa_float_round_mode_16_64 0
		.amdhsa_float_denorm_mode_32 3
		.amdhsa_float_denorm_mode_16_64 3
		.amdhsa_fp16_overflow 0
		.amdhsa_memory_ordered 1
		.amdhsa_forward_progress 1
		.amdhsa_inst_pref_size 71
		.amdhsa_round_robin_scheduling 0
		.amdhsa_exception_fp_ieee_invalid_op 0
		.amdhsa_exception_fp_denorm_src 0
		.amdhsa_exception_fp_ieee_div_zero 0
		.amdhsa_exception_fp_ieee_overflow 0
		.amdhsa_exception_fp_ieee_underflow 0
		.amdhsa_exception_fp_ieee_inexact 0
		.amdhsa_exception_int_div_zero 0
	.end_amdhsa_kernel
	.section	.text._ZN7rocprim17ROCPRIM_400000_NS6detail17trampoline_kernelINS0_13select_configILj256ELj13ELNS0_17block_load_methodE3ELS4_3ELS4_3ELNS0_20block_scan_algorithmE0ELj4294967295EEENS1_25partition_config_selectorILNS1_17partition_subalgoE3EjNS0_10empty_typeEbEEZZNS1_14partition_implILS8_3ELb0ES6_jNS0_17counting_iteratorIjlEEPS9_SE_NS0_5tupleIJPjSE_EEENSF_IJSE_SE_EEES9_SG_JZNS1_25segmented_radix_sort_implINS0_14default_configELb0EPKiPiPKlPlN2at6native12_GLOBAL__N_18offset_tEEE10hipError_tPvRmT1_PNSt15iterator_traitsISY_E10value_typeET2_T3_PNSZ_IS14_E10value_typeET4_jRbjT5_S1A_jjP12ihipStream_tbEUljE_EEESV_SW_SX_S14_S18_S1A_T6_T7_T9_mT8_S1C_bDpT10_ENKUlT_T0_E_clISt17integral_constantIbLb0EES1O_IbLb1EEEEDaS1K_S1L_EUlS1K_E_NS1_11comp_targetILNS1_3genE0ELNS1_11target_archE4294967295ELNS1_3gpuE0ELNS1_3repE0EEENS1_30default_config_static_selectorELNS0_4arch9wavefront6targetE0EEEvSY_,"axG",@progbits,_ZN7rocprim17ROCPRIM_400000_NS6detail17trampoline_kernelINS0_13select_configILj256ELj13ELNS0_17block_load_methodE3ELS4_3ELS4_3ELNS0_20block_scan_algorithmE0ELj4294967295EEENS1_25partition_config_selectorILNS1_17partition_subalgoE3EjNS0_10empty_typeEbEEZZNS1_14partition_implILS8_3ELb0ES6_jNS0_17counting_iteratorIjlEEPS9_SE_NS0_5tupleIJPjSE_EEENSF_IJSE_SE_EEES9_SG_JZNS1_25segmented_radix_sort_implINS0_14default_configELb0EPKiPiPKlPlN2at6native12_GLOBAL__N_18offset_tEEE10hipError_tPvRmT1_PNSt15iterator_traitsISY_E10value_typeET2_T3_PNSZ_IS14_E10value_typeET4_jRbjT5_S1A_jjP12ihipStream_tbEUljE_EEESV_SW_SX_S14_S18_S1A_T6_T7_T9_mT8_S1C_bDpT10_ENKUlT_T0_E_clISt17integral_constantIbLb0EES1O_IbLb1EEEEDaS1K_S1L_EUlS1K_E_NS1_11comp_targetILNS1_3genE0ELNS1_11target_archE4294967295ELNS1_3gpuE0ELNS1_3repE0EEENS1_30default_config_static_selectorELNS0_4arch9wavefront6targetE0EEEvSY_,comdat
.Lfunc_end588:
	.size	_ZN7rocprim17ROCPRIM_400000_NS6detail17trampoline_kernelINS0_13select_configILj256ELj13ELNS0_17block_load_methodE3ELS4_3ELS4_3ELNS0_20block_scan_algorithmE0ELj4294967295EEENS1_25partition_config_selectorILNS1_17partition_subalgoE3EjNS0_10empty_typeEbEEZZNS1_14partition_implILS8_3ELb0ES6_jNS0_17counting_iteratorIjlEEPS9_SE_NS0_5tupleIJPjSE_EEENSF_IJSE_SE_EEES9_SG_JZNS1_25segmented_radix_sort_implINS0_14default_configELb0EPKiPiPKlPlN2at6native12_GLOBAL__N_18offset_tEEE10hipError_tPvRmT1_PNSt15iterator_traitsISY_E10value_typeET2_T3_PNSZ_IS14_E10value_typeET4_jRbjT5_S1A_jjP12ihipStream_tbEUljE_EEESV_SW_SX_S14_S18_S1A_T6_T7_T9_mT8_S1C_bDpT10_ENKUlT_T0_E_clISt17integral_constantIbLb0EES1O_IbLb1EEEEDaS1K_S1L_EUlS1K_E_NS1_11comp_targetILNS1_3genE0ELNS1_11target_archE4294967295ELNS1_3gpuE0ELNS1_3repE0EEENS1_30default_config_static_selectorELNS0_4arch9wavefront6targetE0EEEvSY_, .Lfunc_end588-_ZN7rocprim17ROCPRIM_400000_NS6detail17trampoline_kernelINS0_13select_configILj256ELj13ELNS0_17block_load_methodE3ELS4_3ELS4_3ELNS0_20block_scan_algorithmE0ELj4294967295EEENS1_25partition_config_selectorILNS1_17partition_subalgoE3EjNS0_10empty_typeEbEEZZNS1_14partition_implILS8_3ELb0ES6_jNS0_17counting_iteratorIjlEEPS9_SE_NS0_5tupleIJPjSE_EEENSF_IJSE_SE_EEES9_SG_JZNS1_25segmented_radix_sort_implINS0_14default_configELb0EPKiPiPKlPlN2at6native12_GLOBAL__N_18offset_tEEE10hipError_tPvRmT1_PNSt15iterator_traitsISY_E10value_typeET2_T3_PNSZ_IS14_E10value_typeET4_jRbjT5_S1A_jjP12ihipStream_tbEUljE_EEESV_SW_SX_S14_S18_S1A_T6_T7_T9_mT8_S1C_bDpT10_ENKUlT_T0_E_clISt17integral_constantIbLb0EES1O_IbLb1EEEEDaS1K_S1L_EUlS1K_E_NS1_11comp_targetILNS1_3genE0ELNS1_11target_archE4294967295ELNS1_3gpuE0ELNS1_3repE0EEENS1_30default_config_static_selectorELNS0_4arch9wavefront6targetE0EEEvSY_
                                        ; -- End function
	.set _ZN7rocprim17ROCPRIM_400000_NS6detail17trampoline_kernelINS0_13select_configILj256ELj13ELNS0_17block_load_methodE3ELS4_3ELS4_3ELNS0_20block_scan_algorithmE0ELj4294967295EEENS1_25partition_config_selectorILNS1_17partition_subalgoE3EjNS0_10empty_typeEbEEZZNS1_14partition_implILS8_3ELb0ES6_jNS0_17counting_iteratorIjlEEPS9_SE_NS0_5tupleIJPjSE_EEENSF_IJSE_SE_EEES9_SG_JZNS1_25segmented_radix_sort_implINS0_14default_configELb0EPKiPiPKlPlN2at6native12_GLOBAL__N_18offset_tEEE10hipError_tPvRmT1_PNSt15iterator_traitsISY_E10value_typeET2_T3_PNSZ_IS14_E10value_typeET4_jRbjT5_S1A_jjP12ihipStream_tbEUljE_EEESV_SW_SX_S14_S18_S1A_T6_T7_T9_mT8_S1C_bDpT10_ENKUlT_T0_E_clISt17integral_constantIbLb0EES1O_IbLb1EEEEDaS1K_S1L_EUlS1K_E_NS1_11comp_targetILNS1_3genE0ELNS1_11target_archE4294967295ELNS1_3gpuE0ELNS1_3repE0EEENS1_30default_config_static_selectorELNS0_4arch9wavefront6targetE0EEEvSY_.num_vgpr, 72
	.set _ZN7rocprim17ROCPRIM_400000_NS6detail17trampoline_kernelINS0_13select_configILj256ELj13ELNS0_17block_load_methodE3ELS4_3ELS4_3ELNS0_20block_scan_algorithmE0ELj4294967295EEENS1_25partition_config_selectorILNS1_17partition_subalgoE3EjNS0_10empty_typeEbEEZZNS1_14partition_implILS8_3ELb0ES6_jNS0_17counting_iteratorIjlEEPS9_SE_NS0_5tupleIJPjSE_EEENSF_IJSE_SE_EEES9_SG_JZNS1_25segmented_radix_sort_implINS0_14default_configELb0EPKiPiPKlPlN2at6native12_GLOBAL__N_18offset_tEEE10hipError_tPvRmT1_PNSt15iterator_traitsISY_E10value_typeET2_T3_PNSZ_IS14_E10value_typeET4_jRbjT5_S1A_jjP12ihipStream_tbEUljE_EEESV_SW_SX_S14_S18_S1A_T6_T7_T9_mT8_S1C_bDpT10_ENKUlT_T0_E_clISt17integral_constantIbLb0EES1O_IbLb1EEEEDaS1K_S1L_EUlS1K_E_NS1_11comp_targetILNS1_3genE0ELNS1_11target_archE4294967295ELNS1_3gpuE0ELNS1_3repE0EEENS1_30default_config_static_selectorELNS0_4arch9wavefront6targetE0EEEvSY_.num_agpr, 0
	.set _ZN7rocprim17ROCPRIM_400000_NS6detail17trampoline_kernelINS0_13select_configILj256ELj13ELNS0_17block_load_methodE3ELS4_3ELS4_3ELNS0_20block_scan_algorithmE0ELj4294967295EEENS1_25partition_config_selectorILNS1_17partition_subalgoE3EjNS0_10empty_typeEbEEZZNS1_14partition_implILS8_3ELb0ES6_jNS0_17counting_iteratorIjlEEPS9_SE_NS0_5tupleIJPjSE_EEENSF_IJSE_SE_EEES9_SG_JZNS1_25segmented_radix_sort_implINS0_14default_configELb0EPKiPiPKlPlN2at6native12_GLOBAL__N_18offset_tEEE10hipError_tPvRmT1_PNSt15iterator_traitsISY_E10value_typeET2_T3_PNSZ_IS14_E10value_typeET4_jRbjT5_S1A_jjP12ihipStream_tbEUljE_EEESV_SW_SX_S14_S18_S1A_T6_T7_T9_mT8_S1C_bDpT10_ENKUlT_T0_E_clISt17integral_constantIbLb0EES1O_IbLb1EEEEDaS1K_S1L_EUlS1K_E_NS1_11comp_targetILNS1_3genE0ELNS1_11target_archE4294967295ELNS1_3gpuE0ELNS1_3repE0EEENS1_30default_config_static_selectorELNS0_4arch9wavefront6targetE0EEEvSY_.numbered_sgpr, 24
	.set _ZN7rocprim17ROCPRIM_400000_NS6detail17trampoline_kernelINS0_13select_configILj256ELj13ELNS0_17block_load_methodE3ELS4_3ELS4_3ELNS0_20block_scan_algorithmE0ELj4294967295EEENS1_25partition_config_selectorILNS1_17partition_subalgoE3EjNS0_10empty_typeEbEEZZNS1_14partition_implILS8_3ELb0ES6_jNS0_17counting_iteratorIjlEEPS9_SE_NS0_5tupleIJPjSE_EEENSF_IJSE_SE_EEES9_SG_JZNS1_25segmented_radix_sort_implINS0_14default_configELb0EPKiPiPKlPlN2at6native12_GLOBAL__N_18offset_tEEE10hipError_tPvRmT1_PNSt15iterator_traitsISY_E10value_typeET2_T3_PNSZ_IS14_E10value_typeET4_jRbjT5_S1A_jjP12ihipStream_tbEUljE_EEESV_SW_SX_S14_S18_S1A_T6_T7_T9_mT8_S1C_bDpT10_ENKUlT_T0_E_clISt17integral_constantIbLb0EES1O_IbLb1EEEEDaS1K_S1L_EUlS1K_E_NS1_11comp_targetILNS1_3genE0ELNS1_11target_archE4294967295ELNS1_3gpuE0ELNS1_3repE0EEENS1_30default_config_static_selectorELNS0_4arch9wavefront6targetE0EEEvSY_.num_named_barrier, 0
	.set _ZN7rocprim17ROCPRIM_400000_NS6detail17trampoline_kernelINS0_13select_configILj256ELj13ELNS0_17block_load_methodE3ELS4_3ELS4_3ELNS0_20block_scan_algorithmE0ELj4294967295EEENS1_25partition_config_selectorILNS1_17partition_subalgoE3EjNS0_10empty_typeEbEEZZNS1_14partition_implILS8_3ELb0ES6_jNS0_17counting_iteratorIjlEEPS9_SE_NS0_5tupleIJPjSE_EEENSF_IJSE_SE_EEES9_SG_JZNS1_25segmented_radix_sort_implINS0_14default_configELb0EPKiPiPKlPlN2at6native12_GLOBAL__N_18offset_tEEE10hipError_tPvRmT1_PNSt15iterator_traitsISY_E10value_typeET2_T3_PNSZ_IS14_E10value_typeET4_jRbjT5_S1A_jjP12ihipStream_tbEUljE_EEESV_SW_SX_S14_S18_S1A_T6_T7_T9_mT8_S1C_bDpT10_ENKUlT_T0_E_clISt17integral_constantIbLb0EES1O_IbLb1EEEEDaS1K_S1L_EUlS1K_E_NS1_11comp_targetILNS1_3genE0ELNS1_11target_archE4294967295ELNS1_3gpuE0ELNS1_3repE0EEENS1_30default_config_static_selectorELNS0_4arch9wavefront6targetE0EEEvSY_.private_seg_size, 0
	.set _ZN7rocprim17ROCPRIM_400000_NS6detail17trampoline_kernelINS0_13select_configILj256ELj13ELNS0_17block_load_methodE3ELS4_3ELS4_3ELNS0_20block_scan_algorithmE0ELj4294967295EEENS1_25partition_config_selectorILNS1_17partition_subalgoE3EjNS0_10empty_typeEbEEZZNS1_14partition_implILS8_3ELb0ES6_jNS0_17counting_iteratorIjlEEPS9_SE_NS0_5tupleIJPjSE_EEENSF_IJSE_SE_EEES9_SG_JZNS1_25segmented_radix_sort_implINS0_14default_configELb0EPKiPiPKlPlN2at6native12_GLOBAL__N_18offset_tEEE10hipError_tPvRmT1_PNSt15iterator_traitsISY_E10value_typeET2_T3_PNSZ_IS14_E10value_typeET4_jRbjT5_S1A_jjP12ihipStream_tbEUljE_EEESV_SW_SX_S14_S18_S1A_T6_T7_T9_mT8_S1C_bDpT10_ENKUlT_T0_E_clISt17integral_constantIbLb0EES1O_IbLb1EEEEDaS1K_S1L_EUlS1K_E_NS1_11comp_targetILNS1_3genE0ELNS1_11target_archE4294967295ELNS1_3gpuE0ELNS1_3repE0EEENS1_30default_config_static_selectorELNS0_4arch9wavefront6targetE0EEEvSY_.uses_vcc, 1
	.set _ZN7rocprim17ROCPRIM_400000_NS6detail17trampoline_kernelINS0_13select_configILj256ELj13ELNS0_17block_load_methodE3ELS4_3ELS4_3ELNS0_20block_scan_algorithmE0ELj4294967295EEENS1_25partition_config_selectorILNS1_17partition_subalgoE3EjNS0_10empty_typeEbEEZZNS1_14partition_implILS8_3ELb0ES6_jNS0_17counting_iteratorIjlEEPS9_SE_NS0_5tupleIJPjSE_EEENSF_IJSE_SE_EEES9_SG_JZNS1_25segmented_radix_sort_implINS0_14default_configELb0EPKiPiPKlPlN2at6native12_GLOBAL__N_18offset_tEEE10hipError_tPvRmT1_PNSt15iterator_traitsISY_E10value_typeET2_T3_PNSZ_IS14_E10value_typeET4_jRbjT5_S1A_jjP12ihipStream_tbEUljE_EEESV_SW_SX_S14_S18_S1A_T6_T7_T9_mT8_S1C_bDpT10_ENKUlT_T0_E_clISt17integral_constantIbLb0EES1O_IbLb1EEEEDaS1K_S1L_EUlS1K_E_NS1_11comp_targetILNS1_3genE0ELNS1_11target_archE4294967295ELNS1_3gpuE0ELNS1_3repE0EEENS1_30default_config_static_selectorELNS0_4arch9wavefront6targetE0EEEvSY_.uses_flat_scratch, 0
	.set _ZN7rocprim17ROCPRIM_400000_NS6detail17trampoline_kernelINS0_13select_configILj256ELj13ELNS0_17block_load_methodE3ELS4_3ELS4_3ELNS0_20block_scan_algorithmE0ELj4294967295EEENS1_25partition_config_selectorILNS1_17partition_subalgoE3EjNS0_10empty_typeEbEEZZNS1_14partition_implILS8_3ELb0ES6_jNS0_17counting_iteratorIjlEEPS9_SE_NS0_5tupleIJPjSE_EEENSF_IJSE_SE_EEES9_SG_JZNS1_25segmented_radix_sort_implINS0_14default_configELb0EPKiPiPKlPlN2at6native12_GLOBAL__N_18offset_tEEE10hipError_tPvRmT1_PNSt15iterator_traitsISY_E10value_typeET2_T3_PNSZ_IS14_E10value_typeET4_jRbjT5_S1A_jjP12ihipStream_tbEUljE_EEESV_SW_SX_S14_S18_S1A_T6_T7_T9_mT8_S1C_bDpT10_ENKUlT_T0_E_clISt17integral_constantIbLb0EES1O_IbLb1EEEEDaS1K_S1L_EUlS1K_E_NS1_11comp_targetILNS1_3genE0ELNS1_11target_archE4294967295ELNS1_3gpuE0ELNS1_3repE0EEENS1_30default_config_static_selectorELNS0_4arch9wavefront6targetE0EEEvSY_.has_dyn_sized_stack, 0
	.set _ZN7rocprim17ROCPRIM_400000_NS6detail17trampoline_kernelINS0_13select_configILj256ELj13ELNS0_17block_load_methodE3ELS4_3ELS4_3ELNS0_20block_scan_algorithmE0ELj4294967295EEENS1_25partition_config_selectorILNS1_17partition_subalgoE3EjNS0_10empty_typeEbEEZZNS1_14partition_implILS8_3ELb0ES6_jNS0_17counting_iteratorIjlEEPS9_SE_NS0_5tupleIJPjSE_EEENSF_IJSE_SE_EEES9_SG_JZNS1_25segmented_radix_sort_implINS0_14default_configELb0EPKiPiPKlPlN2at6native12_GLOBAL__N_18offset_tEEE10hipError_tPvRmT1_PNSt15iterator_traitsISY_E10value_typeET2_T3_PNSZ_IS14_E10value_typeET4_jRbjT5_S1A_jjP12ihipStream_tbEUljE_EEESV_SW_SX_S14_S18_S1A_T6_T7_T9_mT8_S1C_bDpT10_ENKUlT_T0_E_clISt17integral_constantIbLb0EES1O_IbLb1EEEEDaS1K_S1L_EUlS1K_E_NS1_11comp_targetILNS1_3genE0ELNS1_11target_archE4294967295ELNS1_3gpuE0ELNS1_3repE0EEENS1_30default_config_static_selectorELNS0_4arch9wavefront6targetE0EEEvSY_.has_recursion, 0
	.set _ZN7rocprim17ROCPRIM_400000_NS6detail17trampoline_kernelINS0_13select_configILj256ELj13ELNS0_17block_load_methodE3ELS4_3ELS4_3ELNS0_20block_scan_algorithmE0ELj4294967295EEENS1_25partition_config_selectorILNS1_17partition_subalgoE3EjNS0_10empty_typeEbEEZZNS1_14partition_implILS8_3ELb0ES6_jNS0_17counting_iteratorIjlEEPS9_SE_NS0_5tupleIJPjSE_EEENSF_IJSE_SE_EEES9_SG_JZNS1_25segmented_radix_sort_implINS0_14default_configELb0EPKiPiPKlPlN2at6native12_GLOBAL__N_18offset_tEEE10hipError_tPvRmT1_PNSt15iterator_traitsISY_E10value_typeET2_T3_PNSZ_IS14_E10value_typeET4_jRbjT5_S1A_jjP12ihipStream_tbEUljE_EEESV_SW_SX_S14_S18_S1A_T6_T7_T9_mT8_S1C_bDpT10_ENKUlT_T0_E_clISt17integral_constantIbLb0EES1O_IbLb1EEEEDaS1K_S1L_EUlS1K_E_NS1_11comp_targetILNS1_3genE0ELNS1_11target_archE4294967295ELNS1_3gpuE0ELNS1_3repE0EEENS1_30default_config_static_selectorELNS0_4arch9wavefront6targetE0EEEvSY_.has_indirect_call, 0
	.section	.AMDGPU.csdata,"",@progbits
; Kernel info:
; codeLenInByte = 9040
; TotalNumSgprs: 26
; NumVgprs: 72
; ScratchSize: 0
; MemoryBound: 0
; FloatMode: 240
; IeeeMode: 1
; LDSByteSize: 13320 bytes/workgroup (compile time only)
; SGPRBlocks: 0
; VGPRBlocks: 4
; NumSGPRsForWavesPerEU: 26
; NumVGPRsForWavesPerEU: 72
; NamedBarCnt: 0
; Occupancy: 12
; WaveLimiterHint : 0
; COMPUTE_PGM_RSRC2:SCRATCH_EN: 0
; COMPUTE_PGM_RSRC2:USER_SGPR: 2
; COMPUTE_PGM_RSRC2:TRAP_HANDLER: 0
; COMPUTE_PGM_RSRC2:TGID_X_EN: 1
; COMPUTE_PGM_RSRC2:TGID_Y_EN: 0
; COMPUTE_PGM_RSRC2:TGID_Z_EN: 0
; COMPUTE_PGM_RSRC2:TIDIG_COMP_CNT: 0
	.section	.text._ZN7rocprim17ROCPRIM_400000_NS6detail17trampoline_kernelINS0_13select_configILj256ELj13ELNS0_17block_load_methodE3ELS4_3ELS4_3ELNS0_20block_scan_algorithmE0ELj4294967295EEENS1_25partition_config_selectorILNS1_17partition_subalgoE3EjNS0_10empty_typeEbEEZZNS1_14partition_implILS8_3ELb0ES6_jNS0_17counting_iteratorIjlEEPS9_SE_NS0_5tupleIJPjSE_EEENSF_IJSE_SE_EEES9_SG_JZNS1_25segmented_radix_sort_implINS0_14default_configELb0EPKiPiPKlPlN2at6native12_GLOBAL__N_18offset_tEEE10hipError_tPvRmT1_PNSt15iterator_traitsISY_E10value_typeET2_T3_PNSZ_IS14_E10value_typeET4_jRbjT5_S1A_jjP12ihipStream_tbEUljE_EEESV_SW_SX_S14_S18_S1A_T6_T7_T9_mT8_S1C_bDpT10_ENKUlT_T0_E_clISt17integral_constantIbLb0EES1O_IbLb1EEEEDaS1K_S1L_EUlS1K_E_NS1_11comp_targetILNS1_3genE5ELNS1_11target_archE942ELNS1_3gpuE9ELNS1_3repE0EEENS1_30default_config_static_selectorELNS0_4arch9wavefront6targetE0EEEvSY_,"axG",@progbits,_ZN7rocprim17ROCPRIM_400000_NS6detail17trampoline_kernelINS0_13select_configILj256ELj13ELNS0_17block_load_methodE3ELS4_3ELS4_3ELNS0_20block_scan_algorithmE0ELj4294967295EEENS1_25partition_config_selectorILNS1_17partition_subalgoE3EjNS0_10empty_typeEbEEZZNS1_14partition_implILS8_3ELb0ES6_jNS0_17counting_iteratorIjlEEPS9_SE_NS0_5tupleIJPjSE_EEENSF_IJSE_SE_EEES9_SG_JZNS1_25segmented_radix_sort_implINS0_14default_configELb0EPKiPiPKlPlN2at6native12_GLOBAL__N_18offset_tEEE10hipError_tPvRmT1_PNSt15iterator_traitsISY_E10value_typeET2_T3_PNSZ_IS14_E10value_typeET4_jRbjT5_S1A_jjP12ihipStream_tbEUljE_EEESV_SW_SX_S14_S18_S1A_T6_T7_T9_mT8_S1C_bDpT10_ENKUlT_T0_E_clISt17integral_constantIbLb0EES1O_IbLb1EEEEDaS1K_S1L_EUlS1K_E_NS1_11comp_targetILNS1_3genE5ELNS1_11target_archE942ELNS1_3gpuE9ELNS1_3repE0EEENS1_30default_config_static_selectorELNS0_4arch9wavefront6targetE0EEEvSY_,comdat
	.globl	_ZN7rocprim17ROCPRIM_400000_NS6detail17trampoline_kernelINS0_13select_configILj256ELj13ELNS0_17block_load_methodE3ELS4_3ELS4_3ELNS0_20block_scan_algorithmE0ELj4294967295EEENS1_25partition_config_selectorILNS1_17partition_subalgoE3EjNS0_10empty_typeEbEEZZNS1_14partition_implILS8_3ELb0ES6_jNS0_17counting_iteratorIjlEEPS9_SE_NS0_5tupleIJPjSE_EEENSF_IJSE_SE_EEES9_SG_JZNS1_25segmented_radix_sort_implINS0_14default_configELb0EPKiPiPKlPlN2at6native12_GLOBAL__N_18offset_tEEE10hipError_tPvRmT1_PNSt15iterator_traitsISY_E10value_typeET2_T3_PNSZ_IS14_E10value_typeET4_jRbjT5_S1A_jjP12ihipStream_tbEUljE_EEESV_SW_SX_S14_S18_S1A_T6_T7_T9_mT8_S1C_bDpT10_ENKUlT_T0_E_clISt17integral_constantIbLb0EES1O_IbLb1EEEEDaS1K_S1L_EUlS1K_E_NS1_11comp_targetILNS1_3genE5ELNS1_11target_archE942ELNS1_3gpuE9ELNS1_3repE0EEENS1_30default_config_static_selectorELNS0_4arch9wavefront6targetE0EEEvSY_ ; -- Begin function _ZN7rocprim17ROCPRIM_400000_NS6detail17trampoline_kernelINS0_13select_configILj256ELj13ELNS0_17block_load_methodE3ELS4_3ELS4_3ELNS0_20block_scan_algorithmE0ELj4294967295EEENS1_25partition_config_selectorILNS1_17partition_subalgoE3EjNS0_10empty_typeEbEEZZNS1_14partition_implILS8_3ELb0ES6_jNS0_17counting_iteratorIjlEEPS9_SE_NS0_5tupleIJPjSE_EEENSF_IJSE_SE_EEES9_SG_JZNS1_25segmented_radix_sort_implINS0_14default_configELb0EPKiPiPKlPlN2at6native12_GLOBAL__N_18offset_tEEE10hipError_tPvRmT1_PNSt15iterator_traitsISY_E10value_typeET2_T3_PNSZ_IS14_E10value_typeET4_jRbjT5_S1A_jjP12ihipStream_tbEUljE_EEESV_SW_SX_S14_S18_S1A_T6_T7_T9_mT8_S1C_bDpT10_ENKUlT_T0_E_clISt17integral_constantIbLb0EES1O_IbLb1EEEEDaS1K_S1L_EUlS1K_E_NS1_11comp_targetILNS1_3genE5ELNS1_11target_archE942ELNS1_3gpuE9ELNS1_3repE0EEENS1_30default_config_static_selectorELNS0_4arch9wavefront6targetE0EEEvSY_
	.p2align	8
	.type	_ZN7rocprim17ROCPRIM_400000_NS6detail17trampoline_kernelINS0_13select_configILj256ELj13ELNS0_17block_load_methodE3ELS4_3ELS4_3ELNS0_20block_scan_algorithmE0ELj4294967295EEENS1_25partition_config_selectorILNS1_17partition_subalgoE3EjNS0_10empty_typeEbEEZZNS1_14partition_implILS8_3ELb0ES6_jNS0_17counting_iteratorIjlEEPS9_SE_NS0_5tupleIJPjSE_EEENSF_IJSE_SE_EEES9_SG_JZNS1_25segmented_radix_sort_implINS0_14default_configELb0EPKiPiPKlPlN2at6native12_GLOBAL__N_18offset_tEEE10hipError_tPvRmT1_PNSt15iterator_traitsISY_E10value_typeET2_T3_PNSZ_IS14_E10value_typeET4_jRbjT5_S1A_jjP12ihipStream_tbEUljE_EEESV_SW_SX_S14_S18_S1A_T6_T7_T9_mT8_S1C_bDpT10_ENKUlT_T0_E_clISt17integral_constantIbLb0EES1O_IbLb1EEEEDaS1K_S1L_EUlS1K_E_NS1_11comp_targetILNS1_3genE5ELNS1_11target_archE942ELNS1_3gpuE9ELNS1_3repE0EEENS1_30default_config_static_selectorELNS0_4arch9wavefront6targetE0EEEvSY_,@function
_ZN7rocprim17ROCPRIM_400000_NS6detail17trampoline_kernelINS0_13select_configILj256ELj13ELNS0_17block_load_methodE3ELS4_3ELS4_3ELNS0_20block_scan_algorithmE0ELj4294967295EEENS1_25partition_config_selectorILNS1_17partition_subalgoE3EjNS0_10empty_typeEbEEZZNS1_14partition_implILS8_3ELb0ES6_jNS0_17counting_iteratorIjlEEPS9_SE_NS0_5tupleIJPjSE_EEENSF_IJSE_SE_EEES9_SG_JZNS1_25segmented_radix_sort_implINS0_14default_configELb0EPKiPiPKlPlN2at6native12_GLOBAL__N_18offset_tEEE10hipError_tPvRmT1_PNSt15iterator_traitsISY_E10value_typeET2_T3_PNSZ_IS14_E10value_typeET4_jRbjT5_S1A_jjP12ihipStream_tbEUljE_EEESV_SW_SX_S14_S18_S1A_T6_T7_T9_mT8_S1C_bDpT10_ENKUlT_T0_E_clISt17integral_constantIbLb0EES1O_IbLb1EEEEDaS1K_S1L_EUlS1K_E_NS1_11comp_targetILNS1_3genE5ELNS1_11target_archE942ELNS1_3gpuE9ELNS1_3repE0EEENS1_30default_config_static_selectorELNS0_4arch9wavefront6targetE0EEEvSY_: ; @_ZN7rocprim17ROCPRIM_400000_NS6detail17trampoline_kernelINS0_13select_configILj256ELj13ELNS0_17block_load_methodE3ELS4_3ELS4_3ELNS0_20block_scan_algorithmE0ELj4294967295EEENS1_25partition_config_selectorILNS1_17partition_subalgoE3EjNS0_10empty_typeEbEEZZNS1_14partition_implILS8_3ELb0ES6_jNS0_17counting_iteratorIjlEEPS9_SE_NS0_5tupleIJPjSE_EEENSF_IJSE_SE_EEES9_SG_JZNS1_25segmented_radix_sort_implINS0_14default_configELb0EPKiPiPKlPlN2at6native12_GLOBAL__N_18offset_tEEE10hipError_tPvRmT1_PNSt15iterator_traitsISY_E10value_typeET2_T3_PNSZ_IS14_E10value_typeET4_jRbjT5_S1A_jjP12ihipStream_tbEUljE_EEESV_SW_SX_S14_S18_S1A_T6_T7_T9_mT8_S1C_bDpT10_ENKUlT_T0_E_clISt17integral_constantIbLb0EES1O_IbLb1EEEEDaS1K_S1L_EUlS1K_E_NS1_11comp_targetILNS1_3genE5ELNS1_11target_archE942ELNS1_3gpuE9ELNS1_3repE0EEENS1_30default_config_static_selectorELNS0_4arch9wavefront6targetE0EEEvSY_
; %bb.0:
	.section	.rodata,"a",@progbits
	.p2align	6, 0x0
	.amdhsa_kernel _ZN7rocprim17ROCPRIM_400000_NS6detail17trampoline_kernelINS0_13select_configILj256ELj13ELNS0_17block_load_methodE3ELS4_3ELS4_3ELNS0_20block_scan_algorithmE0ELj4294967295EEENS1_25partition_config_selectorILNS1_17partition_subalgoE3EjNS0_10empty_typeEbEEZZNS1_14partition_implILS8_3ELb0ES6_jNS0_17counting_iteratorIjlEEPS9_SE_NS0_5tupleIJPjSE_EEENSF_IJSE_SE_EEES9_SG_JZNS1_25segmented_radix_sort_implINS0_14default_configELb0EPKiPiPKlPlN2at6native12_GLOBAL__N_18offset_tEEE10hipError_tPvRmT1_PNSt15iterator_traitsISY_E10value_typeET2_T3_PNSZ_IS14_E10value_typeET4_jRbjT5_S1A_jjP12ihipStream_tbEUljE_EEESV_SW_SX_S14_S18_S1A_T6_T7_T9_mT8_S1C_bDpT10_ENKUlT_T0_E_clISt17integral_constantIbLb0EES1O_IbLb1EEEEDaS1K_S1L_EUlS1K_E_NS1_11comp_targetILNS1_3genE5ELNS1_11target_archE942ELNS1_3gpuE9ELNS1_3repE0EEENS1_30default_config_static_selectorELNS0_4arch9wavefront6targetE0EEEvSY_
		.amdhsa_group_segment_fixed_size 0
		.amdhsa_private_segment_fixed_size 0
		.amdhsa_kernarg_size 152
		.amdhsa_user_sgpr_count 2
		.amdhsa_user_sgpr_dispatch_ptr 0
		.amdhsa_user_sgpr_queue_ptr 0
		.amdhsa_user_sgpr_kernarg_segment_ptr 1
		.amdhsa_user_sgpr_dispatch_id 0
		.amdhsa_user_sgpr_kernarg_preload_length 0
		.amdhsa_user_sgpr_kernarg_preload_offset 0
		.amdhsa_user_sgpr_private_segment_size 0
		.amdhsa_wavefront_size32 1
		.amdhsa_uses_dynamic_stack 0
		.amdhsa_enable_private_segment 0
		.amdhsa_system_sgpr_workgroup_id_x 1
		.amdhsa_system_sgpr_workgroup_id_y 0
		.amdhsa_system_sgpr_workgroup_id_z 0
		.amdhsa_system_sgpr_workgroup_info 0
		.amdhsa_system_vgpr_workitem_id 0
		.amdhsa_next_free_vgpr 1
		.amdhsa_next_free_sgpr 1
		.amdhsa_named_barrier_count 0
		.amdhsa_reserve_vcc 0
		.amdhsa_float_round_mode_32 0
		.amdhsa_float_round_mode_16_64 0
		.amdhsa_float_denorm_mode_32 3
		.amdhsa_float_denorm_mode_16_64 3
		.amdhsa_fp16_overflow 0
		.amdhsa_memory_ordered 1
		.amdhsa_forward_progress 1
		.amdhsa_inst_pref_size 0
		.amdhsa_round_robin_scheduling 0
		.amdhsa_exception_fp_ieee_invalid_op 0
		.amdhsa_exception_fp_denorm_src 0
		.amdhsa_exception_fp_ieee_div_zero 0
		.amdhsa_exception_fp_ieee_overflow 0
		.amdhsa_exception_fp_ieee_underflow 0
		.amdhsa_exception_fp_ieee_inexact 0
		.amdhsa_exception_int_div_zero 0
	.end_amdhsa_kernel
	.section	.text._ZN7rocprim17ROCPRIM_400000_NS6detail17trampoline_kernelINS0_13select_configILj256ELj13ELNS0_17block_load_methodE3ELS4_3ELS4_3ELNS0_20block_scan_algorithmE0ELj4294967295EEENS1_25partition_config_selectorILNS1_17partition_subalgoE3EjNS0_10empty_typeEbEEZZNS1_14partition_implILS8_3ELb0ES6_jNS0_17counting_iteratorIjlEEPS9_SE_NS0_5tupleIJPjSE_EEENSF_IJSE_SE_EEES9_SG_JZNS1_25segmented_radix_sort_implINS0_14default_configELb0EPKiPiPKlPlN2at6native12_GLOBAL__N_18offset_tEEE10hipError_tPvRmT1_PNSt15iterator_traitsISY_E10value_typeET2_T3_PNSZ_IS14_E10value_typeET4_jRbjT5_S1A_jjP12ihipStream_tbEUljE_EEESV_SW_SX_S14_S18_S1A_T6_T7_T9_mT8_S1C_bDpT10_ENKUlT_T0_E_clISt17integral_constantIbLb0EES1O_IbLb1EEEEDaS1K_S1L_EUlS1K_E_NS1_11comp_targetILNS1_3genE5ELNS1_11target_archE942ELNS1_3gpuE9ELNS1_3repE0EEENS1_30default_config_static_selectorELNS0_4arch9wavefront6targetE0EEEvSY_,"axG",@progbits,_ZN7rocprim17ROCPRIM_400000_NS6detail17trampoline_kernelINS0_13select_configILj256ELj13ELNS0_17block_load_methodE3ELS4_3ELS4_3ELNS0_20block_scan_algorithmE0ELj4294967295EEENS1_25partition_config_selectorILNS1_17partition_subalgoE3EjNS0_10empty_typeEbEEZZNS1_14partition_implILS8_3ELb0ES6_jNS0_17counting_iteratorIjlEEPS9_SE_NS0_5tupleIJPjSE_EEENSF_IJSE_SE_EEES9_SG_JZNS1_25segmented_radix_sort_implINS0_14default_configELb0EPKiPiPKlPlN2at6native12_GLOBAL__N_18offset_tEEE10hipError_tPvRmT1_PNSt15iterator_traitsISY_E10value_typeET2_T3_PNSZ_IS14_E10value_typeET4_jRbjT5_S1A_jjP12ihipStream_tbEUljE_EEESV_SW_SX_S14_S18_S1A_T6_T7_T9_mT8_S1C_bDpT10_ENKUlT_T0_E_clISt17integral_constantIbLb0EES1O_IbLb1EEEEDaS1K_S1L_EUlS1K_E_NS1_11comp_targetILNS1_3genE5ELNS1_11target_archE942ELNS1_3gpuE9ELNS1_3repE0EEENS1_30default_config_static_selectorELNS0_4arch9wavefront6targetE0EEEvSY_,comdat
.Lfunc_end589:
	.size	_ZN7rocprim17ROCPRIM_400000_NS6detail17trampoline_kernelINS0_13select_configILj256ELj13ELNS0_17block_load_methodE3ELS4_3ELS4_3ELNS0_20block_scan_algorithmE0ELj4294967295EEENS1_25partition_config_selectorILNS1_17partition_subalgoE3EjNS0_10empty_typeEbEEZZNS1_14partition_implILS8_3ELb0ES6_jNS0_17counting_iteratorIjlEEPS9_SE_NS0_5tupleIJPjSE_EEENSF_IJSE_SE_EEES9_SG_JZNS1_25segmented_radix_sort_implINS0_14default_configELb0EPKiPiPKlPlN2at6native12_GLOBAL__N_18offset_tEEE10hipError_tPvRmT1_PNSt15iterator_traitsISY_E10value_typeET2_T3_PNSZ_IS14_E10value_typeET4_jRbjT5_S1A_jjP12ihipStream_tbEUljE_EEESV_SW_SX_S14_S18_S1A_T6_T7_T9_mT8_S1C_bDpT10_ENKUlT_T0_E_clISt17integral_constantIbLb0EES1O_IbLb1EEEEDaS1K_S1L_EUlS1K_E_NS1_11comp_targetILNS1_3genE5ELNS1_11target_archE942ELNS1_3gpuE9ELNS1_3repE0EEENS1_30default_config_static_selectorELNS0_4arch9wavefront6targetE0EEEvSY_, .Lfunc_end589-_ZN7rocprim17ROCPRIM_400000_NS6detail17trampoline_kernelINS0_13select_configILj256ELj13ELNS0_17block_load_methodE3ELS4_3ELS4_3ELNS0_20block_scan_algorithmE0ELj4294967295EEENS1_25partition_config_selectorILNS1_17partition_subalgoE3EjNS0_10empty_typeEbEEZZNS1_14partition_implILS8_3ELb0ES6_jNS0_17counting_iteratorIjlEEPS9_SE_NS0_5tupleIJPjSE_EEENSF_IJSE_SE_EEES9_SG_JZNS1_25segmented_radix_sort_implINS0_14default_configELb0EPKiPiPKlPlN2at6native12_GLOBAL__N_18offset_tEEE10hipError_tPvRmT1_PNSt15iterator_traitsISY_E10value_typeET2_T3_PNSZ_IS14_E10value_typeET4_jRbjT5_S1A_jjP12ihipStream_tbEUljE_EEESV_SW_SX_S14_S18_S1A_T6_T7_T9_mT8_S1C_bDpT10_ENKUlT_T0_E_clISt17integral_constantIbLb0EES1O_IbLb1EEEEDaS1K_S1L_EUlS1K_E_NS1_11comp_targetILNS1_3genE5ELNS1_11target_archE942ELNS1_3gpuE9ELNS1_3repE0EEENS1_30default_config_static_selectorELNS0_4arch9wavefront6targetE0EEEvSY_
                                        ; -- End function
	.set _ZN7rocprim17ROCPRIM_400000_NS6detail17trampoline_kernelINS0_13select_configILj256ELj13ELNS0_17block_load_methodE3ELS4_3ELS4_3ELNS0_20block_scan_algorithmE0ELj4294967295EEENS1_25partition_config_selectorILNS1_17partition_subalgoE3EjNS0_10empty_typeEbEEZZNS1_14partition_implILS8_3ELb0ES6_jNS0_17counting_iteratorIjlEEPS9_SE_NS0_5tupleIJPjSE_EEENSF_IJSE_SE_EEES9_SG_JZNS1_25segmented_radix_sort_implINS0_14default_configELb0EPKiPiPKlPlN2at6native12_GLOBAL__N_18offset_tEEE10hipError_tPvRmT1_PNSt15iterator_traitsISY_E10value_typeET2_T3_PNSZ_IS14_E10value_typeET4_jRbjT5_S1A_jjP12ihipStream_tbEUljE_EEESV_SW_SX_S14_S18_S1A_T6_T7_T9_mT8_S1C_bDpT10_ENKUlT_T0_E_clISt17integral_constantIbLb0EES1O_IbLb1EEEEDaS1K_S1L_EUlS1K_E_NS1_11comp_targetILNS1_3genE5ELNS1_11target_archE942ELNS1_3gpuE9ELNS1_3repE0EEENS1_30default_config_static_selectorELNS0_4arch9wavefront6targetE0EEEvSY_.num_vgpr, 0
	.set _ZN7rocprim17ROCPRIM_400000_NS6detail17trampoline_kernelINS0_13select_configILj256ELj13ELNS0_17block_load_methodE3ELS4_3ELS4_3ELNS0_20block_scan_algorithmE0ELj4294967295EEENS1_25partition_config_selectorILNS1_17partition_subalgoE3EjNS0_10empty_typeEbEEZZNS1_14partition_implILS8_3ELb0ES6_jNS0_17counting_iteratorIjlEEPS9_SE_NS0_5tupleIJPjSE_EEENSF_IJSE_SE_EEES9_SG_JZNS1_25segmented_radix_sort_implINS0_14default_configELb0EPKiPiPKlPlN2at6native12_GLOBAL__N_18offset_tEEE10hipError_tPvRmT1_PNSt15iterator_traitsISY_E10value_typeET2_T3_PNSZ_IS14_E10value_typeET4_jRbjT5_S1A_jjP12ihipStream_tbEUljE_EEESV_SW_SX_S14_S18_S1A_T6_T7_T9_mT8_S1C_bDpT10_ENKUlT_T0_E_clISt17integral_constantIbLb0EES1O_IbLb1EEEEDaS1K_S1L_EUlS1K_E_NS1_11comp_targetILNS1_3genE5ELNS1_11target_archE942ELNS1_3gpuE9ELNS1_3repE0EEENS1_30default_config_static_selectorELNS0_4arch9wavefront6targetE0EEEvSY_.num_agpr, 0
	.set _ZN7rocprim17ROCPRIM_400000_NS6detail17trampoline_kernelINS0_13select_configILj256ELj13ELNS0_17block_load_methodE3ELS4_3ELS4_3ELNS0_20block_scan_algorithmE0ELj4294967295EEENS1_25partition_config_selectorILNS1_17partition_subalgoE3EjNS0_10empty_typeEbEEZZNS1_14partition_implILS8_3ELb0ES6_jNS0_17counting_iteratorIjlEEPS9_SE_NS0_5tupleIJPjSE_EEENSF_IJSE_SE_EEES9_SG_JZNS1_25segmented_radix_sort_implINS0_14default_configELb0EPKiPiPKlPlN2at6native12_GLOBAL__N_18offset_tEEE10hipError_tPvRmT1_PNSt15iterator_traitsISY_E10value_typeET2_T3_PNSZ_IS14_E10value_typeET4_jRbjT5_S1A_jjP12ihipStream_tbEUljE_EEESV_SW_SX_S14_S18_S1A_T6_T7_T9_mT8_S1C_bDpT10_ENKUlT_T0_E_clISt17integral_constantIbLb0EES1O_IbLb1EEEEDaS1K_S1L_EUlS1K_E_NS1_11comp_targetILNS1_3genE5ELNS1_11target_archE942ELNS1_3gpuE9ELNS1_3repE0EEENS1_30default_config_static_selectorELNS0_4arch9wavefront6targetE0EEEvSY_.numbered_sgpr, 0
	.set _ZN7rocprim17ROCPRIM_400000_NS6detail17trampoline_kernelINS0_13select_configILj256ELj13ELNS0_17block_load_methodE3ELS4_3ELS4_3ELNS0_20block_scan_algorithmE0ELj4294967295EEENS1_25partition_config_selectorILNS1_17partition_subalgoE3EjNS0_10empty_typeEbEEZZNS1_14partition_implILS8_3ELb0ES6_jNS0_17counting_iteratorIjlEEPS9_SE_NS0_5tupleIJPjSE_EEENSF_IJSE_SE_EEES9_SG_JZNS1_25segmented_radix_sort_implINS0_14default_configELb0EPKiPiPKlPlN2at6native12_GLOBAL__N_18offset_tEEE10hipError_tPvRmT1_PNSt15iterator_traitsISY_E10value_typeET2_T3_PNSZ_IS14_E10value_typeET4_jRbjT5_S1A_jjP12ihipStream_tbEUljE_EEESV_SW_SX_S14_S18_S1A_T6_T7_T9_mT8_S1C_bDpT10_ENKUlT_T0_E_clISt17integral_constantIbLb0EES1O_IbLb1EEEEDaS1K_S1L_EUlS1K_E_NS1_11comp_targetILNS1_3genE5ELNS1_11target_archE942ELNS1_3gpuE9ELNS1_3repE0EEENS1_30default_config_static_selectorELNS0_4arch9wavefront6targetE0EEEvSY_.num_named_barrier, 0
	.set _ZN7rocprim17ROCPRIM_400000_NS6detail17trampoline_kernelINS0_13select_configILj256ELj13ELNS0_17block_load_methodE3ELS4_3ELS4_3ELNS0_20block_scan_algorithmE0ELj4294967295EEENS1_25partition_config_selectorILNS1_17partition_subalgoE3EjNS0_10empty_typeEbEEZZNS1_14partition_implILS8_3ELb0ES6_jNS0_17counting_iteratorIjlEEPS9_SE_NS0_5tupleIJPjSE_EEENSF_IJSE_SE_EEES9_SG_JZNS1_25segmented_radix_sort_implINS0_14default_configELb0EPKiPiPKlPlN2at6native12_GLOBAL__N_18offset_tEEE10hipError_tPvRmT1_PNSt15iterator_traitsISY_E10value_typeET2_T3_PNSZ_IS14_E10value_typeET4_jRbjT5_S1A_jjP12ihipStream_tbEUljE_EEESV_SW_SX_S14_S18_S1A_T6_T7_T9_mT8_S1C_bDpT10_ENKUlT_T0_E_clISt17integral_constantIbLb0EES1O_IbLb1EEEEDaS1K_S1L_EUlS1K_E_NS1_11comp_targetILNS1_3genE5ELNS1_11target_archE942ELNS1_3gpuE9ELNS1_3repE0EEENS1_30default_config_static_selectorELNS0_4arch9wavefront6targetE0EEEvSY_.private_seg_size, 0
	.set _ZN7rocprim17ROCPRIM_400000_NS6detail17trampoline_kernelINS0_13select_configILj256ELj13ELNS0_17block_load_methodE3ELS4_3ELS4_3ELNS0_20block_scan_algorithmE0ELj4294967295EEENS1_25partition_config_selectorILNS1_17partition_subalgoE3EjNS0_10empty_typeEbEEZZNS1_14partition_implILS8_3ELb0ES6_jNS0_17counting_iteratorIjlEEPS9_SE_NS0_5tupleIJPjSE_EEENSF_IJSE_SE_EEES9_SG_JZNS1_25segmented_radix_sort_implINS0_14default_configELb0EPKiPiPKlPlN2at6native12_GLOBAL__N_18offset_tEEE10hipError_tPvRmT1_PNSt15iterator_traitsISY_E10value_typeET2_T3_PNSZ_IS14_E10value_typeET4_jRbjT5_S1A_jjP12ihipStream_tbEUljE_EEESV_SW_SX_S14_S18_S1A_T6_T7_T9_mT8_S1C_bDpT10_ENKUlT_T0_E_clISt17integral_constantIbLb0EES1O_IbLb1EEEEDaS1K_S1L_EUlS1K_E_NS1_11comp_targetILNS1_3genE5ELNS1_11target_archE942ELNS1_3gpuE9ELNS1_3repE0EEENS1_30default_config_static_selectorELNS0_4arch9wavefront6targetE0EEEvSY_.uses_vcc, 0
	.set _ZN7rocprim17ROCPRIM_400000_NS6detail17trampoline_kernelINS0_13select_configILj256ELj13ELNS0_17block_load_methodE3ELS4_3ELS4_3ELNS0_20block_scan_algorithmE0ELj4294967295EEENS1_25partition_config_selectorILNS1_17partition_subalgoE3EjNS0_10empty_typeEbEEZZNS1_14partition_implILS8_3ELb0ES6_jNS0_17counting_iteratorIjlEEPS9_SE_NS0_5tupleIJPjSE_EEENSF_IJSE_SE_EEES9_SG_JZNS1_25segmented_radix_sort_implINS0_14default_configELb0EPKiPiPKlPlN2at6native12_GLOBAL__N_18offset_tEEE10hipError_tPvRmT1_PNSt15iterator_traitsISY_E10value_typeET2_T3_PNSZ_IS14_E10value_typeET4_jRbjT5_S1A_jjP12ihipStream_tbEUljE_EEESV_SW_SX_S14_S18_S1A_T6_T7_T9_mT8_S1C_bDpT10_ENKUlT_T0_E_clISt17integral_constantIbLb0EES1O_IbLb1EEEEDaS1K_S1L_EUlS1K_E_NS1_11comp_targetILNS1_3genE5ELNS1_11target_archE942ELNS1_3gpuE9ELNS1_3repE0EEENS1_30default_config_static_selectorELNS0_4arch9wavefront6targetE0EEEvSY_.uses_flat_scratch, 0
	.set _ZN7rocprim17ROCPRIM_400000_NS6detail17trampoline_kernelINS0_13select_configILj256ELj13ELNS0_17block_load_methodE3ELS4_3ELS4_3ELNS0_20block_scan_algorithmE0ELj4294967295EEENS1_25partition_config_selectorILNS1_17partition_subalgoE3EjNS0_10empty_typeEbEEZZNS1_14partition_implILS8_3ELb0ES6_jNS0_17counting_iteratorIjlEEPS9_SE_NS0_5tupleIJPjSE_EEENSF_IJSE_SE_EEES9_SG_JZNS1_25segmented_radix_sort_implINS0_14default_configELb0EPKiPiPKlPlN2at6native12_GLOBAL__N_18offset_tEEE10hipError_tPvRmT1_PNSt15iterator_traitsISY_E10value_typeET2_T3_PNSZ_IS14_E10value_typeET4_jRbjT5_S1A_jjP12ihipStream_tbEUljE_EEESV_SW_SX_S14_S18_S1A_T6_T7_T9_mT8_S1C_bDpT10_ENKUlT_T0_E_clISt17integral_constantIbLb0EES1O_IbLb1EEEEDaS1K_S1L_EUlS1K_E_NS1_11comp_targetILNS1_3genE5ELNS1_11target_archE942ELNS1_3gpuE9ELNS1_3repE0EEENS1_30default_config_static_selectorELNS0_4arch9wavefront6targetE0EEEvSY_.has_dyn_sized_stack, 0
	.set _ZN7rocprim17ROCPRIM_400000_NS6detail17trampoline_kernelINS0_13select_configILj256ELj13ELNS0_17block_load_methodE3ELS4_3ELS4_3ELNS0_20block_scan_algorithmE0ELj4294967295EEENS1_25partition_config_selectorILNS1_17partition_subalgoE3EjNS0_10empty_typeEbEEZZNS1_14partition_implILS8_3ELb0ES6_jNS0_17counting_iteratorIjlEEPS9_SE_NS0_5tupleIJPjSE_EEENSF_IJSE_SE_EEES9_SG_JZNS1_25segmented_radix_sort_implINS0_14default_configELb0EPKiPiPKlPlN2at6native12_GLOBAL__N_18offset_tEEE10hipError_tPvRmT1_PNSt15iterator_traitsISY_E10value_typeET2_T3_PNSZ_IS14_E10value_typeET4_jRbjT5_S1A_jjP12ihipStream_tbEUljE_EEESV_SW_SX_S14_S18_S1A_T6_T7_T9_mT8_S1C_bDpT10_ENKUlT_T0_E_clISt17integral_constantIbLb0EES1O_IbLb1EEEEDaS1K_S1L_EUlS1K_E_NS1_11comp_targetILNS1_3genE5ELNS1_11target_archE942ELNS1_3gpuE9ELNS1_3repE0EEENS1_30default_config_static_selectorELNS0_4arch9wavefront6targetE0EEEvSY_.has_recursion, 0
	.set _ZN7rocprim17ROCPRIM_400000_NS6detail17trampoline_kernelINS0_13select_configILj256ELj13ELNS0_17block_load_methodE3ELS4_3ELS4_3ELNS0_20block_scan_algorithmE0ELj4294967295EEENS1_25partition_config_selectorILNS1_17partition_subalgoE3EjNS0_10empty_typeEbEEZZNS1_14partition_implILS8_3ELb0ES6_jNS0_17counting_iteratorIjlEEPS9_SE_NS0_5tupleIJPjSE_EEENSF_IJSE_SE_EEES9_SG_JZNS1_25segmented_radix_sort_implINS0_14default_configELb0EPKiPiPKlPlN2at6native12_GLOBAL__N_18offset_tEEE10hipError_tPvRmT1_PNSt15iterator_traitsISY_E10value_typeET2_T3_PNSZ_IS14_E10value_typeET4_jRbjT5_S1A_jjP12ihipStream_tbEUljE_EEESV_SW_SX_S14_S18_S1A_T6_T7_T9_mT8_S1C_bDpT10_ENKUlT_T0_E_clISt17integral_constantIbLb0EES1O_IbLb1EEEEDaS1K_S1L_EUlS1K_E_NS1_11comp_targetILNS1_3genE5ELNS1_11target_archE942ELNS1_3gpuE9ELNS1_3repE0EEENS1_30default_config_static_selectorELNS0_4arch9wavefront6targetE0EEEvSY_.has_indirect_call, 0
	.section	.AMDGPU.csdata,"",@progbits
; Kernel info:
; codeLenInByte = 0
; TotalNumSgprs: 0
; NumVgprs: 0
; ScratchSize: 0
; MemoryBound: 0
; FloatMode: 240
; IeeeMode: 1
; LDSByteSize: 0 bytes/workgroup (compile time only)
; SGPRBlocks: 0
; VGPRBlocks: 0
; NumSGPRsForWavesPerEU: 1
; NumVGPRsForWavesPerEU: 1
; NamedBarCnt: 0
; Occupancy: 16
; WaveLimiterHint : 0
; COMPUTE_PGM_RSRC2:SCRATCH_EN: 0
; COMPUTE_PGM_RSRC2:USER_SGPR: 2
; COMPUTE_PGM_RSRC2:TRAP_HANDLER: 0
; COMPUTE_PGM_RSRC2:TGID_X_EN: 1
; COMPUTE_PGM_RSRC2:TGID_Y_EN: 0
; COMPUTE_PGM_RSRC2:TGID_Z_EN: 0
; COMPUTE_PGM_RSRC2:TIDIG_COMP_CNT: 0
	.section	.text._ZN7rocprim17ROCPRIM_400000_NS6detail17trampoline_kernelINS0_13select_configILj256ELj13ELNS0_17block_load_methodE3ELS4_3ELS4_3ELNS0_20block_scan_algorithmE0ELj4294967295EEENS1_25partition_config_selectorILNS1_17partition_subalgoE3EjNS0_10empty_typeEbEEZZNS1_14partition_implILS8_3ELb0ES6_jNS0_17counting_iteratorIjlEEPS9_SE_NS0_5tupleIJPjSE_EEENSF_IJSE_SE_EEES9_SG_JZNS1_25segmented_radix_sort_implINS0_14default_configELb0EPKiPiPKlPlN2at6native12_GLOBAL__N_18offset_tEEE10hipError_tPvRmT1_PNSt15iterator_traitsISY_E10value_typeET2_T3_PNSZ_IS14_E10value_typeET4_jRbjT5_S1A_jjP12ihipStream_tbEUljE_EEESV_SW_SX_S14_S18_S1A_T6_T7_T9_mT8_S1C_bDpT10_ENKUlT_T0_E_clISt17integral_constantIbLb0EES1O_IbLb1EEEEDaS1K_S1L_EUlS1K_E_NS1_11comp_targetILNS1_3genE4ELNS1_11target_archE910ELNS1_3gpuE8ELNS1_3repE0EEENS1_30default_config_static_selectorELNS0_4arch9wavefront6targetE0EEEvSY_,"axG",@progbits,_ZN7rocprim17ROCPRIM_400000_NS6detail17trampoline_kernelINS0_13select_configILj256ELj13ELNS0_17block_load_methodE3ELS4_3ELS4_3ELNS0_20block_scan_algorithmE0ELj4294967295EEENS1_25partition_config_selectorILNS1_17partition_subalgoE3EjNS0_10empty_typeEbEEZZNS1_14partition_implILS8_3ELb0ES6_jNS0_17counting_iteratorIjlEEPS9_SE_NS0_5tupleIJPjSE_EEENSF_IJSE_SE_EEES9_SG_JZNS1_25segmented_radix_sort_implINS0_14default_configELb0EPKiPiPKlPlN2at6native12_GLOBAL__N_18offset_tEEE10hipError_tPvRmT1_PNSt15iterator_traitsISY_E10value_typeET2_T3_PNSZ_IS14_E10value_typeET4_jRbjT5_S1A_jjP12ihipStream_tbEUljE_EEESV_SW_SX_S14_S18_S1A_T6_T7_T9_mT8_S1C_bDpT10_ENKUlT_T0_E_clISt17integral_constantIbLb0EES1O_IbLb1EEEEDaS1K_S1L_EUlS1K_E_NS1_11comp_targetILNS1_3genE4ELNS1_11target_archE910ELNS1_3gpuE8ELNS1_3repE0EEENS1_30default_config_static_selectorELNS0_4arch9wavefront6targetE0EEEvSY_,comdat
	.globl	_ZN7rocprim17ROCPRIM_400000_NS6detail17trampoline_kernelINS0_13select_configILj256ELj13ELNS0_17block_load_methodE3ELS4_3ELS4_3ELNS0_20block_scan_algorithmE0ELj4294967295EEENS1_25partition_config_selectorILNS1_17partition_subalgoE3EjNS0_10empty_typeEbEEZZNS1_14partition_implILS8_3ELb0ES6_jNS0_17counting_iteratorIjlEEPS9_SE_NS0_5tupleIJPjSE_EEENSF_IJSE_SE_EEES9_SG_JZNS1_25segmented_radix_sort_implINS0_14default_configELb0EPKiPiPKlPlN2at6native12_GLOBAL__N_18offset_tEEE10hipError_tPvRmT1_PNSt15iterator_traitsISY_E10value_typeET2_T3_PNSZ_IS14_E10value_typeET4_jRbjT5_S1A_jjP12ihipStream_tbEUljE_EEESV_SW_SX_S14_S18_S1A_T6_T7_T9_mT8_S1C_bDpT10_ENKUlT_T0_E_clISt17integral_constantIbLb0EES1O_IbLb1EEEEDaS1K_S1L_EUlS1K_E_NS1_11comp_targetILNS1_3genE4ELNS1_11target_archE910ELNS1_3gpuE8ELNS1_3repE0EEENS1_30default_config_static_selectorELNS0_4arch9wavefront6targetE0EEEvSY_ ; -- Begin function _ZN7rocprim17ROCPRIM_400000_NS6detail17trampoline_kernelINS0_13select_configILj256ELj13ELNS0_17block_load_methodE3ELS4_3ELS4_3ELNS0_20block_scan_algorithmE0ELj4294967295EEENS1_25partition_config_selectorILNS1_17partition_subalgoE3EjNS0_10empty_typeEbEEZZNS1_14partition_implILS8_3ELb0ES6_jNS0_17counting_iteratorIjlEEPS9_SE_NS0_5tupleIJPjSE_EEENSF_IJSE_SE_EEES9_SG_JZNS1_25segmented_radix_sort_implINS0_14default_configELb0EPKiPiPKlPlN2at6native12_GLOBAL__N_18offset_tEEE10hipError_tPvRmT1_PNSt15iterator_traitsISY_E10value_typeET2_T3_PNSZ_IS14_E10value_typeET4_jRbjT5_S1A_jjP12ihipStream_tbEUljE_EEESV_SW_SX_S14_S18_S1A_T6_T7_T9_mT8_S1C_bDpT10_ENKUlT_T0_E_clISt17integral_constantIbLb0EES1O_IbLb1EEEEDaS1K_S1L_EUlS1K_E_NS1_11comp_targetILNS1_3genE4ELNS1_11target_archE910ELNS1_3gpuE8ELNS1_3repE0EEENS1_30default_config_static_selectorELNS0_4arch9wavefront6targetE0EEEvSY_
	.p2align	8
	.type	_ZN7rocprim17ROCPRIM_400000_NS6detail17trampoline_kernelINS0_13select_configILj256ELj13ELNS0_17block_load_methodE3ELS4_3ELS4_3ELNS0_20block_scan_algorithmE0ELj4294967295EEENS1_25partition_config_selectorILNS1_17partition_subalgoE3EjNS0_10empty_typeEbEEZZNS1_14partition_implILS8_3ELb0ES6_jNS0_17counting_iteratorIjlEEPS9_SE_NS0_5tupleIJPjSE_EEENSF_IJSE_SE_EEES9_SG_JZNS1_25segmented_radix_sort_implINS0_14default_configELb0EPKiPiPKlPlN2at6native12_GLOBAL__N_18offset_tEEE10hipError_tPvRmT1_PNSt15iterator_traitsISY_E10value_typeET2_T3_PNSZ_IS14_E10value_typeET4_jRbjT5_S1A_jjP12ihipStream_tbEUljE_EEESV_SW_SX_S14_S18_S1A_T6_T7_T9_mT8_S1C_bDpT10_ENKUlT_T0_E_clISt17integral_constantIbLb0EES1O_IbLb1EEEEDaS1K_S1L_EUlS1K_E_NS1_11comp_targetILNS1_3genE4ELNS1_11target_archE910ELNS1_3gpuE8ELNS1_3repE0EEENS1_30default_config_static_selectorELNS0_4arch9wavefront6targetE0EEEvSY_,@function
_ZN7rocprim17ROCPRIM_400000_NS6detail17trampoline_kernelINS0_13select_configILj256ELj13ELNS0_17block_load_methodE3ELS4_3ELS4_3ELNS0_20block_scan_algorithmE0ELj4294967295EEENS1_25partition_config_selectorILNS1_17partition_subalgoE3EjNS0_10empty_typeEbEEZZNS1_14partition_implILS8_3ELb0ES6_jNS0_17counting_iteratorIjlEEPS9_SE_NS0_5tupleIJPjSE_EEENSF_IJSE_SE_EEES9_SG_JZNS1_25segmented_radix_sort_implINS0_14default_configELb0EPKiPiPKlPlN2at6native12_GLOBAL__N_18offset_tEEE10hipError_tPvRmT1_PNSt15iterator_traitsISY_E10value_typeET2_T3_PNSZ_IS14_E10value_typeET4_jRbjT5_S1A_jjP12ihipStream_tbEUljE_EEESV_SW_SX_S14_S18_S1A_T6_T7_T9_mT8_S1C_bDpT10_ENKUlT_T0_E_clISt17integral_constantIbLb0EES1O_IbLb1EEEEDaS1K_S1L_EUlS1K_E_NS1_11comp_targetILNS1_3genE4ELNS1_11target_archE910ELNS1_3gpuE8ELNS1_3repE0EEENS1_30default_config_static_selectorELNS0_4arch9wavefront6targetE0EEEvSY_: ; @_ZN7rocprim17ROCPRIM_400000_NS6detail17trampoline_kernelINS0_13select_configILj256ELj13ELNS0_17block_load_methodE3ELS4_3ELS4_3ELNS0_20block_scan_algorithmE0ELj4294967295EEENS1_25partition_config_selectorILNS1_17partition_subalgoE3EjNS0_10empty_typeEbEEZZNS1_14partition_implILS8_3ELb0ES6_jNS0_17counting_iteratorIjlEEPS9_SE_NS0_5tupleIJPjSE_EEENSF_IJSE_SE_EEES9_SG_JZNS1_25segmented_radix_sort_implINS0_14default_configELb0EPKiPiPKlPlN2at6native12_GLOBAL__N_18offset_tEEE10hipError_tPvRmT1_PNSt15iterator_traitsISY_E10value_typeET2_T3_PNSZ_IS14_E10value_typeET4_jRbjT5_S1A_jjP12ihipStream_tbEUljE_EEESV_SW_SX_S14_S18_S1A_T6_T7_T9_mT8_S1C_bDpT10_ENKUlT_T0_E_clISt17integral_constantIbLb0EES1O_IbLb1EEEEDaS1K_S1L_EUlS1K_E_NS1_11comp_targetILNS1_3genE4ELNS1_11target_archE910ELNS1_3gpuE8ELNS1_3repE0EEENS1_30default_config_static_selectorELNS0_4arch9wavefront6targetE0EEEvSY_
; %bb.0:
	.section	.rodata,"a",@progbits
	.p2align	6, 0x0
	.amdhsa_kernel _ZN7rocprim17ROCPRIM_400000_NS6detail17trampoline_kernelINS0_13select_configILj256ELj13ELNS0_17block_load_methodE3ELS4_3ELS4_3ELNS0_20block_scan_algorithmE0ELj4294967295EEENS1_25partition_config_selectorILNS1_17partition_subalgoE3EjNS0_10empty_typeEbEEZZNS1_14partition_implILS8_3ELb0ES6_jNS0_17counting_iteratorIjlEEPS9_SE_NS0_5tupleIJPjSE_EEENSF_IJSE_SE_EEES9_SG_JZNS1_25segmented_radix_sort_implINS0_14default_configELb0EPKiPiPKlPlN2at6native12_GLOBAL__N_18offset_tEEE10hipError_tPvRmT1_PNSt15iterator_traitsISY_E10value_typeET2_T3_PNSZ_IS14_E10value_typeET4_jRbjT5_S1A_jjP12ihipStream_tbEUljE_EEESV_SW_SX_S14_S18_S1A_T6_T7_T9_mT8_S1C_bDpT10_ENKUlT_T0_E_clISt17integral_constantIbLb0EES1O_IbLb1EEEEDaS1K_S1L_EUlS1K_E_NS1_11comp_targetILNS1_3genE4ELNS1_11target_archE910ELNS1_3gpuE8ELNS1_3repE0EEENS1_30default_config_static_selectorELNS0_4arch9wavefront6targetE0EEEvSY_
		.amdhsa_group_segment_fixed_size 0
		.amdhsa_private_segment_fixed_size 0
		.amdhsa_kernarg_size 152
		.amdhsa_user_sgpr_count 2
		.amdhsa_user_sgpr_dispatch_ptr 0
		.amdhsa_user_sgpr_queue_ptr 0
		.amdhsa_user_sgpr_kernarg_segment_ptr 1
		.amdhsa_user_sgpr_dispatch_id 0
		.amdhsa_user_sgpr_kernarg_preload_length 0
		.amdhsa_user_sgpr_kernarg_preload_offset 0
		.amdhsa_user_sgpr_private_segment_size 0
		.amdhsa_wavefront_size32 1
		.amdhsa_uses_dynamic_stack 0
		.amdhsa_enable_private_segment 0
		.amdhsa_system_sgpr_workgroup_id_x 1
		.amdhsa_system_sgpr_workgroup_id_y 0
		.amdhsa_system_sgpr_workgroup_id_z 0
		.amdhsa_system_sgpr_workgroup_info 0
		.amdhsa_system_vgpr_workitem_id 0
		.amdhsa_next_free_vgpr 1
		.amdhsa_next_free_sgpr 1
		.amdhsa_named_barrier_count 0
		.amdhsa_reserve_vcc 0
		.amdhsa_float_round_mode_32 0
		.amdhsa_float_round_mode_16_64 0
		.amdhsa_float_denorm_mode_32 3
		.amdhsa_float_denorm_mode_16_64 3
		.amdhsa_fp16_overflow 0
		.amdhsa_memory_ordered 1
		.amdhsa_forward_progress 1
		.amdhsa_inst_pref_size 0
		.amdhsa_round_robin_scheduling 0
		.amdhsa_exception_fp_ieee_invalid_op 0
		.amdhsa_exception_fp_denorm_src 0
		.amdhsa_exception_fp_ieee_div_zero 0
		.amdhsa_exception_fp_ieee_overflow 0
		.amdhsa_exception_fp_ieee_underflow 0
		.amdhsa_exception_fp_ieee_inexact 0
		.amdhsa_exception_int_div_zero 0
	.end_amdhsa_kernel
	.section	.text._ZN7rocprim17ROCPRIM_400000_NS6detail17trampoline_kernelINS0_13select_configILj256ELj13ELNS0_17block_load_methodE3ELS4_3ELS4_3ELNS0_20block_scan_algorithmE0ELj4294967295EEENS1_25partition_config_selectorILNS1_17partition_subalgoE3EjNS0_10empty_typeEbEEZZNS1_14partition_implILS8_3ELb0ES6_jNS0_17counting_iteratorIjlEEPS9_SE_NS0_5tupleIJPjSE_EEENSF_IJSE_SE_EEES9_SG_JZNS1_25segmented_radix_sort_implINS0_14default_configELb0EPKiPiPKlPlN2at6native12_GLOBAL__N_18offset_tEEE10hipError_tPvRmT1_PNSt15iterator_traitsISY_E10value_typeET2_T3_PNSZ_IS14_E10value_typeET4_jRbjT5_S1A_jjP12ihipStream_tbEUljE_EEESV_SW_SX_S14_S18_S1A_T6_T7_T9_mT8_S1C_bDpT10_ENKUlT_T0_E_clISt17integral_constantIbLb0EES1O_IbLb1EEEEDaS1K_S1L_EUlS1K_E_NS1_11comp_targetILNS1_3genE4ELNS1_11target_archE910ELNS1_3gpuE8ELNS1_3repE0EEENS1_30default_config_static_selectorELNS0_4arch9wavefront6targetE0EEEvSY_,"axG",@progbits,_ZN7rocprim17ROCPRIM_400000_NS6detail17trampoline_kernelINS0_13select_configILj256ELj13ELNS0_17block_load_methodE3ELS4_3ELS4_3ELNS0_20block_scan_algorithmE0ELj4294967295EEENS1_25partition_config_selectorILNS1_17partition_subalgoE3EjNS0_10empty_typeEbEEZZNS1_14partition_implILS8_3ELb0ES6_jNS0_17counting_iteratorIjlEEPS9_SE_NS0_5tupleIJPjSE_EEENSF_IJSE_SE_EEES9_SG_JZNS1_25segmented_radix_sort_implINS0_14default_configELb0EPKiPiPKlPlN2at6native12_GLOBAL__N_18offset_tEEE10hipError_tPvRmT1_PNSt15iterator_traitsISY_E10value_typeET2_T3_PNSZ_IS14_E10value_typeET4_jRbjT5_S1A_jjP12ihipStream_tbEUljE_EEESV_SW_SX_S14_S18_S1A_T6_T7_T9_mT8_S1C_bDpT10_ENKUlT_T0_E_clISt17integral_constantIbLb0EES1O_IbLb1EEEEDaS1K_S1L_EUlS1K_E_NS1_11comp_targetILNS1_3genE4ELNS1_11target_archE910ELNS1_3gpuE8ELNS1_3repE0EEENS1_30default_config_static_selectorELNS0_4arch9wavefront6targetE0EEEvSY_,comdat
.Lfunc_end590:
	.size	_ZN7rocprim17ROCPRIM_400000_NS6detail17trampoline_kernelINS0_13select_configILj256ELj13ELNS0_17block_load_methodE3ELS4_3ELS4_3ELNS0_20block_scan_algorithmE0ELj4294967295EEENS1_25partition_config_selectorILNS1_17partition_subalgoE3EjNS0_10empty_typeEbEEZZNS1_14partition_implILS8_3ELb0ES6_jNS0_17counting_iteratorIjlEEPS9_SE_NS0_5tupleIJPjSE_EEENSF_IJSE_SE_EEES9_SG_JZNS1_25segmented_radix_sort_implINS0_14default_configELb0EPKiPiPKlPlN2at6native12_GLOBAL__N_18offset_tEEE10hipError_tPvRmT1_PNSt15iterator_traitsISY_E10value_typeET2_T3_PNSZ_IS14_E10value_typeET4_jRbjT5_S1A_jjP12ihipStream_tbEUljE_EEESV_SW_SX_S14_S18_S1A_T6_T7_T9_mT8_S1C_bDpT10_ENKUlT_T0_E_clISt17integral_constantIbLb0EES1O_IbLb1EEEEDaS1K_S1L_EUlS1K_E_NS1_11comp_targetILNS1_3genE4ELNS1_11target_archE910ELNS1_3gpuE8ELNS1_3repE0EEENS1_30default_config_static_selectorELNS0_4arch9wavefront6targetE0EEEvSY_, .Lfunc_end590-_ZN7rocprim17ROCPRIM_400000_NS6detail17trampoline_kernelINS0_13select_configILj256ELj13ELNS0_17block_load_methodE3ELS4_3ELS4_3ELNS0_20block_scan_algorithmE0ELj4294967295EEENS1_25partition_config_selectorILNS1_17partition_subalgoE3EjNS0_10empty_typeEbEEZZNS1_14partition_implILS8_3ELb0ES6_jNS0_17counting_iteratorIjlEEPS9_SE_NS0_5tupleIJPjSE_EEENSF_IJSE_SE_EEES9_SG_JZNS1_25segmented_radix_sort_implINS0_14default_configELb0EPKiPiPKlPlN2at6native12_GLOBAL__N_18offset_tEEE10hipError_tPvRmT1_PNSt15iterator_traitsISY_E10value_typeET2_T3_PNSZ_IS14_E10value_typeET4_jRbjT5_S1A_jjP12ihipStream_tbEUljE_EEESV_SW_SX_S14_S18_S1A_T6_T7_T9_mT8_S1C_bDpT10_ENKUlT_T0_E_clISt17integral_constantIbLb0EES1O_IbLb1EEEEDaS1K_S1L_EUlS1K_E_NS1_11comp_targetILNS1_3genE4ELNS1_11target_archE910ELNS1_3gpuE8ELNS1_3repE0EEENS1_30default_config_static_selectorELNS0_4arch9wavefront6targetE0EEEvSY_
                                        ; -- End function
	.set _ZN7rocprim17ROCPRIM_400000_NS6detail17trampoline_kernelINS0_13select_configILj256ELj13ELNS0_17block_load_methodE3ELS4_3ELS4_3ELNS0_20block_scan_algorithmE0ELj4294967295EEENS1_25partition_config_selectorILNS1_17partition_subalgoE3EjNS0_10empty_typeEbEEZZNS1_14partition_implILS8_3ELb0ES6_jNS0_17counting_iteratorIjlEEPS9_SE_NS0_5tupleIJPjSE_EEENSF_IJSE_SE_EEES9_SG_JZNS1_25segmented_radix_sort_implINS0_14default_configELb0EPKiPiPKlPlN2at6native12_GLOBAL__N_18offset_tEEE10hipError_tPvRmT1_PNSt15iterator_traitsISY_E10value_typeET2_T3_PNSZ_IS14_E10value_typeET4_jRbjT5_S1A_jjP12ihipStream_tbEUljE_EEESV_SW_SX_S14_S18_S1A_T6_T7_T9_mT8_S1C_bDpT10_ENKUlT_T0_E_clISt17integral_constantIbLb0EES1O_IbLb1EEEEDaS1K_S1L_EUlS1K_E_NS1_11comp_targetILNS1_3genE4ELNS1_11target_archE910ELNS1_3gpuE8ELNS1_3repE0EEENS1_30default_config_static_selectorELNS0_4arch9wavefront6targetE0EEEvSY_.num_vgpr, 0
	.set _ZN7rocprim17ROCPRIM_400000_NS6detail17trampoline_kernelINS0_13select_configILj256ELj13ELNS0_17block_load_methodE3ELS4_3ELS4_3ELNS0_20block_scan_algorithmE0ELj4294967295EEENS1_25partition_config_selectorILNS1_17partition_subalgoE3EjNS0_10empty_typeEbEEZZNS1_14partition_implILS8_3ELb0ES6_jNS0_17counting_iteratorIjlEEPS9_SE_NS0_5tupleIJPjSE_EEENSF_IJSE_SE_EEES9_SG_JZNS1_25segmented_radix_sort_implINS0_14default_configELb0EPKiPiPKlPlN2at6native12_GLOBAL__N_18offset_tEEE10hipError_tPvRmT1_PNSt15iterator_traitsISY_E10value_typeET2_T3_PNSZ_IS14_E10value_typeET4_jRbjT5_S1A_jjP12ihipStream_tbEUljE_EEESV_SW_SX_S14_S18_S1A_T6_T7_T9_mT8_S1C_bDpT10_ENKUlT_T0_E_clISt17integral_constantIbLb0EES1O_IbLb1EEEEDaS1K_S1L_EUlS1K_E_NS1_11comp_targetILNS1_3genE4ELNS1_11target_archE910ELNS1_3gpuE8ELNS1_3repE0EEENS1_30default_config_static_selectorELNS0_4arch9wavefront6targetE0EEEvSY_.num_agpr, 0
	.set _ZN7rocprim17ROCPRIM_400000_NS6detail17trampoline_kernelINS0_13select_configILj256ELj13ELNS0_17block_load_methodE3ELS4_3ELS4_3ELNS0_20block_scan_algorithmE0ELj4294967295EEENS1_25partition_config_selectorILNS1_17partition_subalgoE3EjNS0_10empty_typeEbEEZZNS1_14partition_implILS8_3ELb0ES6_jNS0_17counting_iteratorIjlEEPS9_SE_NS0_5tupleIJPjSE_EEENSF_IJSE_SE_EEES9_SG_JZNS1_25segmented_radix_sort_implINS0_14default_configELb0EPKiPiPKlPlN2at6native12_GLOBAL__N_18offset_tEEE10hipError_tPvRmT1_PNSt15iterator_traitsISY_E10value_typeET2_T3_PNSZ_IS14_E10value_typeET4_jRbjT5_S1A_jjP12ihipStream_tbEUljE_EEESV_SW_SX_S14_S18_S1A_T6_T7_T9_mT8_S1C_bDpT10_ENKUlT_T0_E_clISt17integral_constantIbLb0EES1O_IbLb1EEEEDaS1K_S1L_EUlS1K_E_NS1_11comp_targetILNS1_3genE4ELNS1_11target_archE910ELNS1_3gpuE8ELNS1_3repE0EEENS1_30default_config_static_selectorELNS0_4arch9wavefront6targetE0EEEvSY_.numbered_sgpr, 0
	.set _ZN7rocprim17ROCPRIM_400000_NS6detail17trampoline_kernelINS0_13select_configILj256ELj13ELNS0_17block_load_methodE3ELS4_3ELS4_3ELNS0_20block_scan_algorithmE0ELj4294967295EEENS1_25partition_config_selectorILNS1_17partition_subalgoE3EjNS0_10empty_typeEbEEZZNS1_14partition_implILS8_3ELb0ES6_jNS0_17counting_iteratorIjlEEPS9_SE_NS0_5tupleIJPjSE_EEENSF_IJSE_SE_EEES9_SG_JZNS1_25segmented_radix_sort_implINS0_14default_configELb0EPKiPiPKlPlN2at6native12_GLOBAL__N_18offset_tEEE10hipError_tPvRmT1_PNSt15iterator_traitsISY_E10value_typeET2_T3_PNSZ_IS14_E10value_typeET4_jRbjT5_S1A_jjP12ihipStream_tbEUljE_EEESV_SW_SX_S14_S18_S1A_T6_T7_T9_mT8_S1C_bDpT10_ENKUlT_T0_E_clISt17integral_constantIbLb0EES1O_IbLb1EEEEDaS1K_S1L_EUlS1K_E_NS1_11comp_targetILNS1_3genE4ELNS1_11target_archE910ELNS1_3gpuE8ELNS1_3repE0EEENS1_30default_config_static_selectorELNS0_4arch9wavefront6targetE0EEEvSY_.num_named_barrier, 0
	.set _ZN7rocprim17ROCPRIM_400000_NS6detail17trampoline_kernelINS0_13select_configILj256ELj13ELNS0_17block_load_methodE3ELS4_3ELS4_3ELNS0_20block_scan_algorithmE0ELj4294967295EEENS1_25partition_config_selectorILNS1_17partition_subalgoE3EjNS0_10empty_typeEbEEZZNS1_14partition_implILS8_3ELb0ES6_jNS0_17counting_iteratorIjlEEPS9_SE_NS0_5tupleIJPjSE_EEENSF_IJSE_SE_EEES9_SG_JZNS1_25segmented_radix_sort_implINS0_14default_configELb0EPKiPiPKlPlN2at6native12_GLOBAL__N_18offset_tEEE10hipError_tPvRmT1_PNSt15iterator_traitsISY_E10value_typeET2_T3_PNSZ_IS14_E10value_typeET4_jRbjT5_S1A_jjP12ihipStream_tbEUljE_EEESV_SW_SX_S14_S18_S1A_T6_T7_T9_mT8_S1C_bDpT10_ENKUlT_T0_E_clISt17integral_constantIbLb0EES1O_IbLb1EEEEDaS1K_S1L_EUlS1K_E_NS1_11comp_targetILNS1_3genE4ELNS1_11target_archE910ELNS1_3gpuE8ELNS1_3repE0EEENS1_30default_config_static_selectorELNS0_4arch9wavefront6targetE0EEEvSY_.private_seg_size, 0
	.set _ZN7rocprim17ROCPRIM_400000_NS6detail17trampoline_kernelINS0_13select_configILj256ELj13ELNS0_17block_load_methodE3ELS4_3ELS4_3ELNS0_20block_scan_algorithmE0ELj4294967295EEENS1_25partition_config_selectorILNS1_17partition_subalgoE3EjNS0_10empty_typeEbEEZZNS1_14partition_implILS8_3ELb0ES6_jNS0_17counting_iteratorIjlEEPS9_SE_NS0_5tupleIJPjSE_EEENSF_IJSE_SE_EEES9_SG_JZNS1_25segmented_radix_sort_implINS0_14default_configELb0EPKiPiPKlPlN2at6native12_GLOBAL__N_18offset_tEEE10hipError_tPvRmT1_PNSt15iterator_traitsISY_E10value_typeET2_T3_PNSZ_IS14_E10value_typeET4_jRbjT5_S1A_jjP12ihipStream_tbEUljE_EEESV_SW_SX_S14_S18_S1A_T6_T7_T9_mT8_S1C_bDpT10_ENKUlT_T0_E_clISt17integral_constantIbLb0EES1O_IbLb1EEEEDaS1K_S1L_EUlS1K_E_NS1_11comp_targetILNS1_3genE4ELNS1_11target_archE910ELNS1_3gpuE8ELNS1_3repE0EEENS1_30default_config_static_selectorELNS0_4arch9wavefront6targetE0EEEvSY_.uses_vcc, 0
	.set _ZN7rocprim17ROCPRIM_400000_NS6detail17trampoline_kernelINS0_13select_configILj256ELj13ELNS0_17block_load_methodE3ELS4_3ELS4_3ELNS0_20block_scan_algorithmE0ELj4294967295EEENS1_25partition_config_selectorILNS1_17partition_subalgoE3EjNS0_10empty_typeEbEEZZNS1_14partition_implILS8_3ELb0ES6_jNS0_17counting_iteratorIjlEEPS9_SE_NS0_5tupleIJPjSE_EEENSF_IJSE_SE_EEES9_SG_JZNS1_25segmented_radix_sort_implINS0_14default_configELb0EPKiPiPKlPlN2at6native12_GLOBAL__N_18offset_tEEE10hipError_tPvRmT1_PNSt15iterator_traitsISY_E10value_typeET2_T3_PNSZ_IS14_E10value_typeET4_jRbjT5_S1A_jjP12ihipStream_tbEUljE_EEESV_SW_SX_S14_S18_S1A_T6_T7_T9_mT8_S1C_bDpT10_ENKUlT_T0_E_clISt17integral_constantIbLb0EES1O_IbLb1EEEEDaS1K_S1L_EUlS1K_E_NS1_11comp_targetILNS1_3genE4ELNS1_11target_archE910ELNS1_3gpuE8ELNS1_3repE0EEENS1_30default_config_static_selectorELNS0_4arch9wavefront6targetE0EEEvSY_.uses_flat_scratch, 0
	.set _ZN7rocprim17ROCPRIM_400000_NS6detail17trampoline_kernelINS0_13select_configILj256ELj13ELNS0_17block_load_methodE3ELS4_3ELS4_3ELNS0_20block_scan_algorithmE0ELj4294967295EEENS1_25partition_config_selectorILNS1_17partition_subalgoE3EjNS0_10empty_typeEbEEZZNS1_14partition_implILS8_3ELb0ES6_jNS0_17counting_iteratorIjlEEPS9_SE_NS0_5tupleIJPjSE_EEENSF_IJSE_SE_EEES9_SG_JZNS1_25segmented_radix_sort_implINS0_14default_configELb0EPKiPiPKlPlN2at6native12_GLOBAL__N_18offset_tEEE10hipError_tPvRmT1_PNSt15iterator_traitsISY_E10value_typeET2_T3_PNSZ_IS14_E10value_typeET4_jRbjT5_S1A_jjP12ihipStream_tbEUljE_EEESV_SW_SX_S14_S18_S1A_T6_T7_T9_mT8_S1C_bDpT10_ENKUlT_T0_E_clISt17integral_constantIbLb0EES1O_IbLb1EEEEDaS1K_S1L_EUlS1K_E_NS1_11comp_targetILNS1_3genE4ELNS1_11target_archE910ELNS1_3gpuE8ELNS1_3repE0EEENS1_30default_config_static_selectorELNS0_4arch9wavefront6targetE0EEEvSY_.has_dyn_sized_stack, 0
	.set _ZN7rocprim17ROCPRIM_400000_NS6detail17trampoline_kernelINS0_13select_configILj256ELj13ELNS0_17block_load_methodE3ELS4_3ELS4_3ELNS0_20block_scan_algorithmE0ELj4294967295EEENS1_25partition_config_selectorILNS1_17partition_subalgoE3EjNS0_10empty_typeEbEEZZNS1_14partition_implILS8_3ELb0ES6_jNS0_17counting_iteratorIjlEEPS9_SE_NS0_5tupleIJPjSE_EEENSF_IJSE_SE_EEES9_SG_JZNS1_25segmented_radix_sort_implINS0_14default_configELb0EPKiPiPKlPlN2at6native12_GLOBAL__N_18offset_tEEE10hipError_tPvRmT1_PNSt15iterator_traitsISY_E10value_typeET2_T3_PNSZ_IS14_E10value_typeET4_jRbjT5_S1A_jjP12ihipStream_tbEUljE_EEESV_SW_SX_S14_S18_S1A_T6_T7_T9_mT8_S1C_bDpT10_ENKUlT_T0_E_clISt17integral_constantIbLb0EES1O_IbLb1EEEEDaS1K_S1L_EUlS1K_E_NS1_11comp_targetILNS1_3genE4ELNS1_11target_archE910ELNS1_3gpuE8ELNS1_3repE0EEENS1_30default_config_static_selectorELNS0_4arch9wavefront6targetE0EEEvSY_.has_recursion, 0
	.set _ZN7rocprim17ROCPRIM_400000_NS6detail17trampoline_kernelINS0_13select_configILj256ELj13ELNS0_17block_load_methodE3ELS4_3ELS4_3ELNS0_20block_scan_algorithmE0ELj4294967295EEENS1_25partition_config_selectorILNS1_17partition_subalgoE3EjNS0_10empty_typeEbEEZZNS1_14partition_implILS8_3ELb0ES6_jNS0_17counting_iteratorIjlEEPS9_SE_NS0_5tupleIJPjSE_EEENSF_IJSE_SE_EEES9_SG_JZNS1_25segmented_radix_sort_implINS0_14default_configELb0EPKiPiPKlPlN2at6native12_GLOBAL__N_18offset_tEEE10hipError_tPvRmT1_PNSt15iterator_traitsISY_E10value_typeET2_T3_PNSZ_IS14_E10value_typeET4_jRbjT5_S1A_jjP12ihipStream_tbEUljE_EEESV_SW_SX_S14_S18_S1A_T6_T7_T9_mT8_S1C_bDpT10_ENKUlT_T0_E_clISt17integral_constantIbLb0EES1O_IbLb1EEEEDaS1K_S1L_EUlS1K_E_NS1_11comp_targetILNS1_3genE4ELNS1_11target_archE910ELNS1_3gpuE8ELNS1_3repE0EEENS1_30default_config_static_selectorELNS0_4arch9wavefront6targetE0EEEvSY_.has_indirect_call, 0
	.section	.AMDGPU.csdata,"",@progbits
; Kernel info:
; codeLenInByte = 0
; TotalNumSgprs: 0
; NumVgprs: 0
; ScratchSize: 0
; MemoryBound: 0
; FloatMode: 240
; IeeeMode: 1
; LDSByteSize: 0 bytes/workgroup (compile time only)
; SGPRBlocks: 0
; VGPRBlocks: 0
; NumSGPRsForWavesPerEU: 1
; NumVGPRsForWavesPerEU: 1
; NamedBarCnt: 0
; Occupancy: 16
; WaveLimiterHint : 0
; COMPUTE_PGM_RSRC2:SCRATCH_EN: 0
; COMPUTE_PGM_RSRC2:USER_SGPR: 2
; COMPUTE_PGM_RSRC2:TRAP_HANDLER: 0
; COMPUTE_PGM_RSRC2:TGID_X_EN: 1
; COMPUTE_PGM_RSRC2:TGID_Y_EN: 0
; COMPUTE_PGM_RSRC2:TGID_Z_EN: 0
; COMPUTE_PGM_RSRC2:TIDIG_COMP_CNT: 0
	.section	.text._ZN7rocprim17ROCPRIM_400000_NS6detail17trampoline_kernelINS0_13select_configILj256ELj13ELNS0_17block_load_methodE3ELS4_3ELS4_3ELNS0_20block_scan_algorithmE0ELj4294967295EEENS1_25partition_config_selectorILNS1_17partition_subalgoE3EjNS0_10empty_typeEbEEZZNS1_14partition_implILS8_3ELb0ES6_jNS0_17counting_iteratorIjlEEPS9_SE_NS0_5tupleIJPjSE_EEENSF_IJSE_SE_EEES9_SG_JZNS1_25segmented_radix_sort_implINS0_14default_configELb0EPKiPiPKlPlN2at6native12_GLOBAL__N_18offset_tEEE10hipError_tPvRmT1_PNSt15iterator_traitsISY_E10value_typeET2_T3_PNSZ_IS14_E10value_typeET4_jRbjT5_S1A_jjP12ihipStream_tbEUljE_EEESV_SW_SX_S14_S18_S1A_T6_T7_T9_mT8_S1C_bDpT10_ENKUlT_T0_E_clISt17integral_constantIbLb0EES1O_IbLb1EEEEDaS1K_S1L_EUlS1K_E_NS1_11comp_targetILNS1_3genE3ELNS1_11target_archE908ELNS1_3gpuE7ELNS1_3repE0EEENS1_30default_config_static_selectorELNS0_4arch9wavefront6targetE0EEEvSY_,"axG",@progbits,_ZN7rocprim17ROCPRIM_400000_NS6detail17trampoline_kernelINS0_13select_configILj256ELj13ELNS0_17block_load_methodE3ELS4_3ELS4_3ELNS0_20block_scan_algorithmE0ELj4294967295EEENS1_25partition_config_selectorILNS1_17partition_subalgoE3EjNS0_10empty_typeEbEEZZNS1_14partition_implILS8_3ELb0ES6_jNS0_17counting_iteratorIjlEEPS9_SE_NS0_5tupleIJPjSE_EEENSF_IJSE_SE_EEES9_SG_JZNS1_25segmented_radix_sort_implINS0_14default_configELb0EPKiPiPKlPlN2at6native12_GLOBAL__N_18offset_tEEE10hipError_tPvRmT1_PNSt15iterator_traitsISY_E10value_typeET2_T3_PNSZ_IS14_E10value_typeET4_jRbjT5_S1A_jjP12ihipStream_tbEUljE_EEESV_SW_SX_S14_S18_S1A_T6_T7_T9_mT8_S1C_bDpT10_ENKUlT_T0_E_clISt17integral_constantIbLb0EES1O_IbLb1EEEEDaS1K_S1L_EUlS1K_E_NS1_11comp_targetILNS1_3genE3ELNS1_11target_archE908ELNS1_3gpuE7ELNS1_3repE0EEENS1_30default_config_static_selectorELNS0_4arch9wavefront6targetE0EEEvSY_,comdat
	.globl	_ZN7rocprim17ROCPRIM_400000_NS6detail17trampoline_kernelINS0_13select_configILj256ELj13ELNS0_17block_load_methodE3ELS4_3ELS4_3ELNS0_20block_scan_algorithmE0ELj4294967295EEENS1_25partition_config_selectorILNS1_17partition_subalgoE3EjNS0_10empty_typeEbEEZZNS1_14partition_implILS8_3ELb0ES6_jNS0_17counting_iteratorIjlEEPS9_SE_NS0_5tupleIJPjSE_EEENSF_IJSE_SE_EEES9_SG_JZNS1_25segmented_radix_sort_implINS0_14default_configELb0EPKiPiPKlPlN2at6native12_GLOBAL__N_18offset_tEEE10hipError_tPvRmT1_PNSt15iterator_traitsISY_E10value_typeET2_T3_PNSZ_IS14_E10value_typeET4_jRbjT5_S1A_jjP12ihipStream_tbEUljE_EEESV_SW_SX_S14_S18_S1A_T6_T7_T9_mT8_S1C_bDpT10_ENKUlT_T0_E_clISt17integral_constantIbLb0EES1O_IbLb1EEEEDaS1K_S1L_EUlS1K_E_NS1_11comp_targetILNS1_3genE3ELNS1_11target_archE908ELNS1_3gpuE7ELNS1_3repE0EEENS1_30default_config_static_selectorELNS0_4arch9wavefront6targetE0EEEvSY_ ; -- Begin function _ZN7rocprim17ROCPRIM_400000_NS6detail17trampoline_kernelINS0_13select_configILj256ELj13ELNS0_17block_load_methodE3ELS4_3ELS4_3ELNS0_20block_scan_algorithmE0ELj4294967295EEENS1_25partition_config_selectorILNS1_17partition_subalgoE3EjNS0_10empty_typeEbEEZZNS1_14partition_implILS8_3ELb0ES6_jNS0_17counting_iteratorIjlEEPS9_SE_NS0_5tupleIJPjSE_EEENSF_IJSE_SE_EEES9_SG_JZNS1_25segmented_radix_sort_implINS0_14default_configELb0EPKiPiPKlPlN2at6native12_GLOBAL__N_18offset_tEEE10hipError_tPvRmT1_PNSt15iterator_traitsISY_E10value_typeET2_T3_PNSZ_IS14_E10value_typeET4_jRbjT5_S1A_jjP12ihipStream_tbEUljE_EEESV_SW_SX_S14_S18_S1A_T6_T7_T9_mT8_S1C_bDpT10_ENKUlT_T0_E_clISt17integral_constantIbLb0EES1O_IbLb1EEEEDaS1K_S1L_EUlS1K_E_NS1_11comp_targetILNS1_3genE3ELNS1_11target_archE908ELNS1_3gpuE7ELNS1_3repE0EEENS1_30default_config_static_selectorELNS0_4arch9wavefront6targetE0EEEvSY_
	.p2align	8
	.type	_ZN7rocprim17ROCPRIM_400000_NS6detail17trampoline_kernelINS0_13select_configILj256ELj13ELNS0_17block_load_methodE3ELS4_3ELS4_3ELNS0_20block_scan_algorithmE0ELj4294967295EEENS1_25partition_config_selectorILNS1_17partition_subalgoE3EjNS0_10empty_typeEbEEZZNS1_14partition_implILS8_3ELb0ES6_jNS0_17counting_iteratorIjlEEPS9_SE_NS0_5tupleIJPjSE_EEENSF_IJSE_SE_EEES9_SG_JZNS1_25segmented_radix_sort_implINS0_14default_configELb0EPKiPiPKlPlN2at6native12_GLOBAL__N_18offset_tEEE10hipError_tPvRmT1_PNSt15iterator_traitsISY_E10value_typeET2_T3_PNSZ_IS14_E10value_typeET4_jRbjT5_S1A_jjP12ihipStream_tbEUljE_EEESV_SW_SX_S14_S18_S1A_T6_T7_T9_mT8_S1C_bDpT10_ENKUlT_T0_E_clISt17integral_constantIbLb0EES1O_IbLb1EEEEDaS1K_S1L_EUlS1K_E_NS1_11comp_targetILNS1_3genE3ELNS1_11target_archE908ELNS1_3gpuE7ELNS1_3repE0EEENS1_30default_config_static_selectorELNS0_4arch9wavefront6targetE0EEEvSY_,@function
_ZN7rocprim17ROCPRIM_400000_NS6detail17trampoline_kernelINS0_13select_configILj256ELj13ELNS0_17block_load_methodE3ELS4_3ELS4_3ELNS0_20block_scan_algorithmE0ELj4294967295EEENS1_25partition_config_selectorILNS1_17partition_subalgoE3EjNS0_10empty_typeEbEEZZNS1_14partition_implILS8_3ELb0ES6_jNS0_17counting_iteratorIjlEEPS9_SE_NS0_5tupleIJPjSE_EEENSF_IJSE_SE_EEES9_SG_JZNS1_25segmented_radix_sort_implINS0_14default_configELb0EPKiPiPKlPlN2at6native12_GLOBAL__N_18offset_tEEE10hipError_tPvRmT1_PNSt15iterator_traitsISY_E10value_typeET2_T3_PNSZ_IS14_E10value_typeET4_jRbjT5_S1A_jjP12ihipStream_tbEUljE_EEESV_SW_SX_S14_S18_S1A_T6_T7_T9_mT8_S1C_bDpT10_ENKUlT_T0_E_clISt17integral_constantIbLb0EES1O_IbLb1EEEEDaS1K_S1L_EUlS1K_E_NS1_11comp_targetILNS1_3genE3ELNS1_11target_archE908ELNS1_3gpuE7ELNS1_3repE0EEENS1_30default_config_static_selectorELNS0_4arch9wavefront6targetE0EEEvSY_: ; @_ZN7rocprim17ROCPRIM_400000_NS6detail17trampoline_kernelINS0_13select_configILj256ELj13ELNS0_17block_load_methodE3ELS4_3ELS4_3ELNS0_20block_scan_algorithmE0ELj4294967295EEENS1_25partition_config_selectorILNS1_17partition_subalgoE3EjNS0_10empty_typeEbEEZZNS1_14partition_implILS8_3ELb0ES6_jNS0_17counting_iteratorIjlEEPS9_SE_NS0_5tupleIJPjSE_EEENSF_IJSE_SE_EEES9_SG_JZNS1_25segmented_radix_sort_implINS0_14default_configELb0EPKiPiPKlPlN2at6native12_GLOBAL__N_18offset_tEEE10hipError_tPvRmT1_PNSt15iterator_traitsISY_E10value_typeET2_T3_PNSZ_IS14_E10value_typeET4_jRbjT5_S1A_jjP12ihipStream_tbEUljE_EEESV_SW_SX_S14_S18_S1A_T6_T7_T9_mT8_S1C_bDpT10_ENKUlT_T0_E_clISt17integral_constantIbLb0EES1O_IbLb1EEEEDaS1K_S1L_EUlS1K_E_NS1_11comp_targetILNS1_3genE3ELNS1_11target_archE908ELNS1_3gpuE7ELNS1_3repE0EEENS1_30default_config_static_selectorELNS0_4arch9wavefront6targetE0EEEvSY_
; %bb.0:
	.section	.rodata,"a",@progbits
	.p2align	6, 0x0
	.amdhsa_kernel _ZN7rocprim17ROCPRIM_400000_NS6detail17trampoline_kernelINS0_13select_configILj256ELj13ELNS0_17block_load_methodE3ELS4_3ELS4_3ELNS0_20block_scan_algorithmE0ELj4294967295EEENS1_25partition_config_selectorILNS1_17partition_subalgoE3EjNS0_10empty_typeEbEEZZNS1_14partition_implILS8_3ELb0ES6_jNS0_17counting_iteratorIjlEEPS9_SE_NS0_5tupleIJPjSE_EEENSF_IJSE_SE_EEES9_SG_JZNS1_25segmented_radix_sort_implINS0_14default_configELb0EPKiPiPKlPlN2at6native12_GLOBAL__N_18offset_tEEE10hipError_tPvRmT1_PNSt15iterator_traitsISY_E10value_typeET2_T3_PNSZ_IS14_E10value_typeET4_jRbjT5_S1A_jjP12ihipStream_tbEUljE_EEESV_SW_SX_S14_S18_S1A_T6_T7_T9_mT8_S1C_bDpT10_ENKUlT_T0_E_clISt17integral_constantIbLb0EES1O_IbLb1EEEEDaS1K_S1L_EUlS1K_E_NS1_11comp_targetILNS1_3genE3ELNS1_11target_archE908ELNS1_3gpuE7ELNS1_3repE0EEENS1_30default_config_static_selectorELNS0_4arch9wavefront6targetE0EEEvSY_
		.amdhsa_group_segment_fixed_size 0
		.amdhsa_private_segment_fixed_size 0
		.amdhsa_kernarg_size 152
		.amdhsa_user_sgpr_count 2
		.amdhsa_user_sgpr_dispatch_ptr 0
		.amdhsa_user_sgpr_queue_ptr 0
		.amdhsa_user_sgpr_kernarg_segment_ptr 1
		.amdhsa_user_sgpr_dispatch_id 0
		.amdhsa_user_sgpr_kernarg_preload_length 0
		.amdhsa_user_sgpr_kernarg_preload_offset 0
		.amdhsa_user_sgpr_private_segment_size 0
		.amdhsa_wavefront_size32 1
		.amdhsa_uses_dynamic_stack 0
		.amdhsa_enable_private_segment 0
		.amdhsa_system_sgpr_workgroup_id_x 1
		.amdhsa_system_sgpr_workgroup_id_y 0
		.amdhsa_system_sgpr_workgroup_id_z 0
		.amdhsa_system_sgpr_workgroup_info 0
		.amdhsa_system_vgpr_workitem_id 0
		.amdhsa_next_free_vgpr 1
		.amdhsa_next_free_sgpr 1
		.amdhsa_named_barrier_count 0
		.amdhsa_reserve_vcc 0
		.amdhsa_float_round_mode_32 0
		.amdhsa_float_round_mode_16_64 0
		.amdhsa_float_denorm_mode_32 3
		.amdhsa_float_denorm_mode_16_64 3
		.amdhsa_fp16_overflow 0
		.amdhsa_memory_ordered 1
		.amdhsa_forward_progress 1
		.amdhsa_inst_pref_size 0
		.amdhsa_round_robin_scheduling 0
		.amdhsa_exception_fp_ieee_invalid_op 0
		.amdhsa_exception_fp_denorm_src 0
		.amdhsa_exception_fp_ieee_div_zero 0
		.amdhsa_exception_fp_ieee_overflow 0
		.amdhsa_exception_fp_ieee_underflow 0
		.amdhsa_exception_fp_ieee_inexact 0
		.amdhsa_exception_int_div_zero 0
	.end_amdhsa_kernel
	.section	.text._ZN7rocprim17ROCPRIM_400000_NS6detail17trampoline_kernelINS0_13select_configILj256ELj13ELNS0_17block_load_methodE3ELS4_3ELS4_3ELNS0_20block_scan_algorithmE0ELj4294967295EEENS1_25partition_config_selectorILNS1_17partition_subalgoE3EjNS0_10empty_typeEbEEZZNS1_14partition_implILS8_3ELb0ES6_jNS0_17counting_iteratorIjlEEPS9_SE_NS0_5tupleIJPjSE_EEENSF_IJSE_SE_EEES9_SG_JZNS1_25segmented_radix_sort_implINS0_14default_configELb0EPKiPiPKlPlN2at6native12_GLOBAL__N_18offset_tEEE10hipError_tPvRmT1_PNSt15iterator_traitsISY_E10value_typeET2_T3_PNSZ_IS14_E10value_typeET4_jRbjT5_S1A_jjP12ihipStream_tbEUljE_EEESV_SW_SX_S14_S18_S1A_T6_T7_T9_mT8_S1C_bDpT10_ENKUlT_T0_E_clISt17integral_constantIbLb0EES1O_IbLb1EEEEDaS1K_S1L_EUlS1K_E_NS1_11comp_targetILNS1_3genE3ELNS1_11target_archE908ELNS1_3gpuE7ELNS1_3repE0EEENS1_30default_config_static_selectorELNS0_4arch9wavefront6targetE0EEEvSY_,"axG",@progbits,_ZN7rocprim17ROCPRIM_400000_NS6detail17trampoline_kernelINS0_13select_configILj256ELj13ELNS0_17block_load_methodE3ELS4_3ELS4_3ELNS0_20block_scan_algorithmE0ELj4294967295EEENS1_25partition_config_selectorILNS1_17partition_subalgoE3EjNS0_10empty_typeEbEEZZNS1_14partition_implILS8_3ELb0ES6_jNS0_17counting_iteratorIjlEEPS9_SE_NS0_5tupleIJPjSE_EEENSF_IJSE_SE_EEES9_SG_JZNS1_25segmented_radix_sort_implINS0_14default_configELb0EPKiPiPKlPlN2at6native12_GLOBAL__N_18offset_tEEE10hipError_tPvRmT1_PNSt15iterator_traitsISY_E10value_typeET2_T3_PNSZ_IS14_E10value_typeET4_jRbjT5_S1A_jjP12ihipStream_tbEUljE_EEESV_SW_SX_S14_S18_S1A_T6_T7_T9_mT8_S1C_bDpT10_ENKUlT_T0_E_clISt17integral_constantIbLb0EES1O_IbLb1EEEEDaS1K_S1L_EUlS1K_E_NS1_11comp_targetILNS1_3genE3ELNS1_11target_archE908ELNS1_3gpuE7ELNS1_3repE0EEENS1_30default_config_static_selectorELNS0_4arch9wavefront6targetE0EEEvSY_,comdat
.Lfunc_end591:
	.size	_ZN7rocprim17ROCPRIM_400000_NS6detail17trampoline_kernelINS0_13select_configILj256ELj13ELNS0_17block_load_methodE3ELS4_3ELS4_3ELNS0_20block_scan_algorithmE0ELj4294967295EEENS1_25partition_config_selectorILNS1_17partition_subalgoE3EjNS0_10empty_typeEbEEZZNS1_14partition_implILS8_3ELb0ES6_jNS0_17counting_iteratorIjlEEPS9_SE_NS0_5tupleIJPjSE_EEENSF_IJSE_SE_EEES9_SG_JZNS1_25segmented_radix_sort_implINS0_14default_configELb0EPKiPiPKlPlN2at6native12_GLOBAL__N_18offset_tEEE10hipError_tPvRmT1_PNSt15iterator_traitsISY_E10value_typeET2_T3_PNSZ_IS14_E10value_typeET4_jRbjT5_S1A_jjP12ihipStream_tbEUljE_EEESV_SW_SX_S14_S18_S1A_T6_T7_T9_mT8_S1C_bDpT10_ENKUlT_T0_E_clISt17integral_constantIbLb0EES1O_IbLb1EEEEDaS1K_S1L_EUlS1K_E_NS1_11comp_targetILNS1_3genE3ELNS1_11target_archE908ELNS1_3gpuE7ELNS1_3repE0EEENS1_30default_config_static_selectorELNS0_4arch9wavefront6targetE0EEEvSY_, .Lfunc_end591-_ZN7rocprim17ROCPRIM_400000_NS6detail17trampoline_kernelINS0_13select_configILj256ELj13ELNS0_17block_load_methodE3ELS4_3ELS4_3ELNS0_20block_scan_algorithmE0ELj4294967295EEENS1_25partition_config_selectorILNS1_17partition_subalgoE3EjNS0_10empty_typeEbEEZZNS1_14partition_implILS8_3ELb0ES6_jNS0_17counting_iteratorIjlEEPS9_SE_NS0_5tupleIJPjSE_EEENSF_IJSE_SE_EEES9_SG_JZNS1_25segmented_radix_sort_implINS0_14default_configELb0EPKiPiPKlPlN2at6native12_GLOBAL__N_18offset_tEEE10hipError_tPvRmT1_PNSt15iterator_traitsISY_E10value_typeET2_T3_PNSZ_IS14_E10value_typeET4_jRbjT5_S1A_jjP12ihipStream_tbEUljE_EEESV_SW_SX_S14_S18_S1A_T6_T7_T9_mT8_S1C_bDpT10_ENKUlT_T0_E_clISt17integral_constantIbLb0EES1O_IbLb1EEEEDaS1K_S1L_EUlS1K_E_NS1_11comp_targetILNS1_3genE3ELNS1_11target_archE908ELNS1_3gpuE7ELNS1_3repE0EEENS1_30default_config_static_selectorELNS0_4arch9wavefront6targetE0EEEvSY_
                                        ; -- End function
	.set _ZN7rocprim17ROCPRIM_400000_NS6detail17trampoline_kernelINS0_13select_configILj256ELj13ELNS0_17block_load_methodE3ELS4_3ELS4_3ELNS0_20block_scan_algorithmE0ELj4294967295EEENS1_25partition_config_selectorILNS1_17partition_subalgoE3EjNS0_10empty_typeEbEEZZNS1_14partition_implILS8_3ELb0ES6_jNS0_17counting_iteratorIjlEEPS9_SE_NS0_5tupleIJPjSE_EEENSF_IJSE_SE_EEES9_SG_JZNS1_25segmented_radix_sort_implINS0_14default_configELb0EPKiPiPKlPlN2at6native12_GLOBAL__N_18offset_tEEE10hipError_tPvRmT1_PNSt15iterator_traitsISY_E10value_typeET2_T3_PNSZ_IS14_E10value_typeET4_jRbjT5_S1A_jjP12ihipStream_tbEUljE_EEESV_SW_SX_S14_S18_S1A_T6_T7_T9_mT8_S1C_bDpT10_ENKUlT_T0_E_clISt17integral_constantIbLb0EES1O_IbLb1EEEEDaS1K_S1L_EUlS1K_E_NS1_11comp_targetILNS1_3genE3ELNS1_11target_archE908ELNS1_3gpuE7ELNS1_3repE0EEENS1_30default_config_static_selectorELNS0_4arch9wavefront6targetE0EEEvSY_.num_vgpr, 0
	.set _ZN7rocprim17ROCPRIM_400000_NS6detail17trampoline_kernelINS0_13select_configILj256ELj13ELNS0_17block_load_methodE3ELS4_3ELS4_3ELNS0_20block_scan_algorithmE0ELj4294967295EEENS1_25partition_config_selectorILNS1_17partition_subalgoE3EjNS0_10empty_typeEbEEZZNS1_14partition_implILS8_3ELb0ES6_jNS0_17counting_iteratorIjlEEPS9_SE_NS0_5tupleIJPjSE_EEENSF_IJSE_SE_EEES9_SG_JZNS1_25segmented_radix_sort_implINS0_14default_configELb0EPKiPiPKlPlN2at6native12_GLOBAL__N_18offset_tEEE10hipError_tPvRmT1_PNSt15iterator_traitsISY_E10value_typeET2_T3_PNSZ_IS14_E10value_typeET4_jRbjT5_S1A_jjP12ihipStream_tbEUljE_EEESV_SW_SX_S14_S18_S1A_T6_T7_T9_mT8_S1C_bDpT10_ENKUlT_T0_E_clISt17integral_constantIbLb0EES1O_IbLb1EEEEDaS1K_S1L_EUlS1K_E_NS1_11comp_targetILNS1_3genE3ELNS1_11target_archE908ELNS1_3gpuE7ELNS1_3repE0EEENS1_30default_config_static_selectorELNS0_4arch9wavefront6targetE0EEEvSY_.num_agpr, 0
	.set _ZN7rocprim17ROCPRIM_400000_NS6detail17trampoline_kernelINS0_13select_configILj256ELj13ELNS0_17block_load_methodE3ELS4_3ELS4_3ELNS0_20block_scan_algorithmE0ELj4294967295EEENS1_25partition_config_selectorILNS1_17partition_subalgoE3EjNS0_10empty_typeEbEEZZNS1_14partition_implILS8_3ELb0ES6_jNS0_17counting_iteratorIjlEEPS9_SE_NS0_5tupleIJPjSE_EEENSF_IJSE_SE_EEES9_SG_JZNS1_25segmented_radix_sort_implINS0_14default_configELb0EPKiPiPKlPlN2at6native12_GLOBAL__N_18offset_tEEE10hipError_tPvRmT1_PNSt15iterator_traitsISY_E10value_typeET2_T3_PNSZ_IS14_E10value_typeET4_jRbjT5_S1A_jjP12ihipStream_tbEUljE_EEESV_SW_SX_S14_S18_S1A_T6_T7_T9_mT8_S1C_bDpT10_ENKUlT_T0_E_clISt17integral_constantIbLb0EES1O_IbLb1EEEEDaS1K_S1L_EUlS1K_E_NS1_11comp_targetILNS1_3genE3ELNS1_11target_archE908ELNS1_3gpuE7ELNS1_3repE0EEENS1_30default_config_static_selectorELNS0_4arch9wavefront6targetE0EEEvSY_.numbered_sgpr, 0
	.set _ZN7rocprim17ROCPRIM_400000_NS6detail17trampoline_kernelINS0_13select_configILj256ELj13ELNS0_17block_load_methodE3ELS4_3ELS4_3ELNS0_20block_scan_algorithmE0ELj4294967295EEENS1_25partition_config_selectorILNS1_17partition_subalgoE3EjNS0_10empty_typeEbEEZZNS1_14partition_implILS8_3ELb0ES6_jNS0_17counting_iteratorIjlEEPS9_SE_NS0_5tupleIJPjSE_EEENSF_IJSE_SE_EEES9_SG_JZNS1_25segmented_radix_sort_implINS0_14default_configELb0EPKiPiPKlPlN2at6native12_GLOBAL__N_18offset_tEEE10hipError_tPvRmT1_PNSt15iterator_traitsISY_E10value_typeET2_T3_PNSZ_IS14_E10value_typeET4_jRbjT5_S1A_jjP12ihipStream_tbEUljE_EEESV_SW_SX_S14_S18_S1A_T6_T7_T9_mT8_S1C_bDpT10_ENKUlT_T0_E_clISt17integral_constantIbLb0EES1O_IbLb1EEEEDaS1K_S1L_EUlS1K_E_NS1_11comp_targetILNS1_3genE3ELNS1_11target_archE908ELNS1_3gpuE7ELNS1_3repE0EEENS1_30default_config_static_selectorELNS0_4arch9wavefront6targetE0EEEvSY_.num_named_barrier, 0
	.set _ZN7rocprim17ROCPRIM_400000_NS6detail17trampoline_kernelINS0_13select_configILj256ELj13ELNS0_17block_load_methodE3ELS4_3ELS4_3ELNS0_20block_scan_algorithmE0ELj4294967295EEENS1_25partition_config_selectorILNS1_17partition_subalgoE3EjNS0_10empty_typeEbEEZZNS1_14partition_implILS8_3ELb0ES6_jNS0_17counting_iteratorIjlEEPS9_SE_NS0_5tupleIJPjSE_EEENSF_IJSE_SE_EEES9_SG_JZNS1_25segmented_radix_sort_implINS0_14default_configELb0EPKiPiPKlPlN2at6native12_GLOBAL__N_18offset_tEEE10hipError_tPvRmT1_PNSt15iterator_traitsISY_E10value_typeET2_T3_PNSZ_IS14_E10value_typeET4_jRbjT5_S1A_jjP12ihipStream_tbEUljE_EEESV_SW_SX_S14_S18_S1A_T6_T7_T9_mT8_S1C_bDpT10_ENKUlT_T0_E_clISt17integral_constantIbLb0EES1O_IbLb1EEEEDaS1K_S1L_EUlS1K_E_NS1_11comp_targetILNS1_3genE3ELNS1_11target_archE908ELNS1_3gpuE7ELNS1_3repE0EEENS1_30default_config_static_selectorELNS0_4arch9wavefront6targetE0EEEvSY_.private_seg_size, 0
	.set _ZN7rocprim17ROCPRIM_400000_NS6detail17trampoline_kernelINS0_13select_configILj256ELj13ELNS0_17block_load_methodE3ELS4_3ELS4_3ELNS0_20block_scan_algorithmE0ELj4294967295EEENS1_25partition_config_selectorILNS1_17partition_subalgoE3EjNS0_10empty_typeEbEEZZNS1_14partition_implILS8_3ELb0ES6_jNS0_17counting_iteratorIjlEEPS9_SE_NS0_5tupleIJPjSE_EEENSF_IJSE_SE_EEES9_SG_JZNS1_25segmented_radix_sort_implINS0_14default_configELb0EPKiPiPKlPlN2at6native12_GLOBAL__N_18offset_tEEE10hipError_tPvRmT1_PNSt15iterator_traitsISY_E10value_typeET2_T3_PNSZ_IS14_E10value_typeET4_jRbjT5_S1A_jjP12ihipStream_tbEUljE_EEESV_SW_SX_S14_S18_S1A_T6_T7_T9_mT8_S1C_bDpT10_ENKUlT_T0_E_clISt17integral_constantIbLb0EES1O_IbLb1EEEEDaS1K_S1L_EUlS1K_E_NS1_11comp_targetILNS1_3genE3ELNS1_11target_archE908ELNS1_3gpuE7ELNS1_3repE0EEENS1_30default_config_static_selectorELNS0_4arch9wavefront6targetE0EEEvSY_.uses_vcc, 0
	.set _ZN7rocprim17ROCPRIM_400000_NS6detail17trampoline_kernelINS0_13select_configILj256ELj13ELNS0_17block_load_methodE3ELS4_3ELS4_3ELNS0_20block_scan_algorithmE0ELj4294967295EEENS1_25partition_config_selectorILNS1_17partition_subalgoE3EjNS0_10empty_typeEbEEZZNS1_14partition_implILS8_3ELb0ES6_jNS0_17counting_iteratorIjlEEPS9_SE_NS0_5tupleIJPjSE_EEENSF_IJSE_SE_EEES9_SG_JZNS1_25segmented_radix_sort_implINS0_14default_configELb0EPKiPiPKlPlN2at6native12_GLOBAL__N_18offset_tEEE10hipError_tPvRmT1_PNSt15iterator_traitsISY_E10value_typeET2_T3_PNSZ_IS14_E10value_typeET4_jRbjT5_S1A_jjP12ihipStream_tbEUljE_EEESV_SW_SX_S14_S18_S1A_T6_T7_T9_mT8_S1C_bDpT10_ENKUlT_T0_E_clISt17integral_constantIbLb0EES1O_IbLb1EEEEDaS1K_S1L_EUlS1K_E_NS1_11comp_targetILNS1_3genE3ELNS1_11target_archE908ELNS1_3gpuE7ELNS1_3repE0EEENS1_30default_config_static_selectorELNS0_4arch9wavefront6targetE0EEEvSY_.uses_flat_scratch, 0
	.set _ZN7rocprim17ROCPRIM_400000_NS6detail17trampoline_kernelINS0_13select_configILj256ELj13ELNS0_17block_load_methodE3ELS4_3ELS4_3ELNS0_20block_scan_algorithmE0ELj4294967295EEENS1_25partition_config_selectorILNS1_17partition_subalgoE3EjNS0_10empty_typeEbEEZZNS1_14partition_implILS8_3ELb0ES6_jNS0_17counting_iteratorIjlEEPS9_SE_NS0_5tupleIJPjSE_EEENSF_IJSE_SE_EEES9_SG_JZNS1_25segmented_radix_sort_implINS0_14default_configELb0EPKiPiPKlPlN2at6native12_GLOBAL__N_18offset_tEEE10hipError_tPvRmT1_PNSt15iterator_traitsISY_E10value_typeET2_T3_PNSZ_IS14_E10value_typeET4_jRbjT5_S1A_jjP12ihipStream_tbEUljE_EEESV_SW_SX_S14_S18_S1A_T6_T7_T9_mT8_S1C_bDpT10_ENKUlT_T0_E_clISt17integral_constantIbLb0EES1O_IbLb1EEEEDaS1K_S1L_EUlS1K_E_NS1_11comp_targetILNS1_3genE3ELNS1_11target_archE908ELNS1_3gpuE7ELNS1_3repE0EEENS1_30default_config_static_selectorELNS0_4arch9wavefront6targetE0EEEvSY_.has_dyn_sized_stack, 0
	.set _ZN7rocprim17ROCPRIM_400000_NS6detail17trampoline_kernelINS0_13select_configILj256ELj13ELNS0_17block_load_methodE3ELS4_3ELS4_3ELNS0_20block_scan_algorithmE0ELj4294967295EEENS1_25partition_config_selectorILNS1_17partition_subalgoE3EjNS0_10empty_typeEbEEZZNS1_14partition_implILS8_3ELb0ES6_jNS0_17counting_iteratorIjlEEPS9_SE_NS0_5tupleIJPjSE_EEENSF_IJSE_SE_EEES9_SG_JZNS1_25segmented_radix_sort_implINS0_14default_configELb0EPKiPiPKlPlN2at6native12_GLOBAL__N_18offset_tEEE10hipError_tPvRmT1_PNSt15iterator_traitsISY_E10value_typeET2_T3_PNSZ_IS14_E10value_typeET4_jRbjT5_S1A_jjP12ihipStream_tbEUljE_EEESV_SW_SX_S14_S18_S1A_T6_T7_T9_mT8_S1C_bDpT10_ENKUlT_T0_E_clISt17integral_constantIbLb0EES1O_IbLb1EEEEDaS1K_S1L_EUlS1K_E_NS1_11comp_targetILNS1_3genE3ELNS1_11target_archE908ELNS1_3gpuE7ELNS1_3repE0EEENS1_30default_config_static_selectorELNS0_4arch9wavefront6targetE0EEEvSY_.has_recursion, 0
	.set _ZN7rocprim17ROCPRIM_400000_NS6detail17trampoline_kernelINS0_13select_configILj256ELj13ELNS0_17block_load_methodE3ELS4_3ELS4_3ELNS0_20block_scan_algorithmE0ELj4294967295EEENS1_25partition_config_selectorILNS1_17partition_subalgoE3EjNS0_10empty_typeEbEEZZNS1_14partition_implILS8_3ELb0ES6_jNS0_17counting_iteratorIjlEEPS9_SE_NS0_5tupleIJPjSE_EEENSF_IJSE_SE_EEES9_SG_JZNS1_25segmented_radix_sort_implINS0_14default_configELb0EPKiPiPKlPlN2at6native12_GLOBAL__N_18offset_tEEE10hipError_tPvRmT1_PNSt15iterator_traitsISY_E10value_typeET2_T3_PNSZ_IS14_E10value_typeET4_jRbjT5_S1A_jjP12ihipStream_tbEUljE_EEESV_SW_SX_S14_S18_S1A_T6_T7_T9_mT8_S1C_bDpT10_ENKUlT_T0_E_clISt17integral_constantIbLb0EES1O_IbLb1EEEEDaS1K_S1L_EUlS1K_E_NS1_11comp_targetILNS1_3genE3ELNS1_11target_archE908ELNS1_3gpuE7ELNS1_3repE0EEENS1_30default_config_static_selectorELNS0_4arch9wavefront6targetE0EEEvSY_.has_indirect_call, 0
	.section	.AMDGPU.csdata,"",@progbits
; Kernel info:
; codeLenInByte = 0
; TotalNumSgprs: 0
; NumVgprs: 0
; ScratchSize: 0
; MemoryBound: 0
; FloatMode: 240
; IeeeMode: 1
; LDSByteSize: 0 bytes/workgroup (compile time only)
; SGPRBlocks: 0
; VGPRBlocks: 0
; NumSGPRsForWavesPerEU: 1
; NumVGPRsForWavesPerEU: 1
; NamedBarCnt: 0
; Occupancy: 16
; WaveLimiterHint : 0
; COMPUTE_PGM_RSRC2:SCRATCH_EN: 0
; COMPUTE_PGM_RSRC2:USER_SGPR: 2
; COMPUTE_PGM_RSRC2:TRAP_HANDLER: 0
; COMPUTE_PGM_RSRC2:TGID_X_EN: 1
; COMPUTE_PGM_RSRC2:TGID_Y_EN: 0
; COMPUTE_PGM_RSRC2:TGID_Z_EN: 0
; COMPUTE_PGM_RSRC2:TIDIG_COMP_CNT: 0
	.section	.text._ZN7rocprim17ROCPRIM_400000_NS6detail17trampoline_kernelINS0_13select_configILj256ELj13ELNS0_17block_load_methodE3ELS4_3ELS4_3ELNS0_20block_scan_algorithmE0ELj4294967295EEENS1_25partition_config_selectorILNS1_17partition_subalgoE3EjNS0_10empty_typeEbEEZZNS1_14partition_implILS8_3ELb0ES6_jNS0_17counting_iteratorIjlEEPS9_SE_NS0_5tupleIJPjSE_EEENSF_IJSE_SE_EEES9_SG_JZNS1_25segmented_radix_sort_implINS0_14default_configELb0EPKiPiPKlPlN2at6native12_GLOBAL__N_18offset_tEEE10hipError_tPvRmT1_PNSt15iterator_traitsISY_E10value_typeET2_T3_PNSZ_IS14_E10value_typeET4_jRbjT5_S1A_jjP12ihipStream_tbEUljE_EEESV_SW_SX_S14_S18_S1A_T6_T7_T9_mT8_S1C_bDpT10_ENKUlT_T0_E_clISt17integral_constantIbLb0EES1O_IbLb1EEEEDaS1K_S1L_EUlS1K_E_NS1_11comp_targetILNS1_3genE2ELNS1_11target_archE906ELNS1_3gpuE6ELNS1_3repE0EEENS1_30default_config_static_selectorELNS0_4arch9wavefront6targetE0EEEvSY_,"axG",@progbits,_ZN7rocprim17ROCPRIM_400000_NS6detail17trampoline_kernelINS0_13select_configILj256ELj13ELNS0_17block_load_methodE3ELS4_3ELS4_3ELNS0_20block_scan_algorithmE0ELj4294967295EEENS1_25partition_config_selectorILNS1_17partition_subalgoE3EjNS0_10empty_typeEbEEZZNS1_14partition_implILS8_3ELb0ES6_jNS0_17counting_iteratorIjlEEPS9_SE_NS0_5tupleIJPjSE_EEENSF_IJSE_SE_EEES9_SG_JZNS1_25segmented_radix_sort_implINS0_14default_configELb0EPKiPiPKlPlN2at6native12_GLOBAL__N_18offset_tEEE10hipError_tPvRmT1_PNSt15iterator_traitsISY_E10value_typeET2_T3_PNSZ_IS14_E10value_typeET4_jRbjT5_S1A_jjP12ihipStream_tbEUljE_EEESV_SW_SX_S14_S18_S1A_T6_T7_T9_mT8_S1C_bDpT10_ENKUlT_T0_E_clISt17integral_constantIbLb0EES1O_IbLb1EEEEDaS1K_S1L_EUlS1K_E_NS1_11comp_targetILNS1_3genE2ELNS1_11target_archE906ELNS1_3gpuE6ELNS1_3repE0EEENS1_30default_config_static_selectorELNS0_4arch9wavefront6targetE0EEEvSY_,comdat
	.globl	_ZN7rocprim17ROCPRIM_400000_NS6detail17trampoline_kernelINS0_13select_configILj256ELj13ELNS0_17block_load_methodE3ELS4_3ELS4_3ELNS0_20block_scan_algorithmE0ELj4294967295EEENS1_25partition_config_selectorILNS1_17partition_subalgoE3EjNS0_10empty_typeEbEEZZNS1_14partition_implILS8_3ELb0ES6_jNS0_17counting_iteratorIjlEEPS9_SE_NS0_5tupleIJPjSE_EEENSF_IJSE_SE_EEES9_SG_JZNS1_25segmented_radix_sort_implINS0_14default_configELb0EPKiPiPKlPlN2at6native12_GLOBAL__N_18offset_tEEE10hipError_tPvRmT1_PNSt15iterator_traitsISY_E10value_typeET2_T3_PNSZ_IS14_E10value_typeET4_jRbjT5_S1A_jjP12ihipStream_tbEUljE_EEESV_SW_SX_S14_S18_S1A_T6_T7_T9_mT8_S1C_bDpT10_ENKUlT_T0_E_clISt17integral_constantIbLb0EES1O_IbLb1EEEEDaS1K_S1L_EUlS1K_E_NS1_11comp_targetILNS1_3genE2ELNS1_11target_archE906ELNS1_3gpuE6ELNS1_3repE0EEENS1_30default_config_static_selectorELNS0_4arch9wavefront6targetE0EEEvSY_ ; -- Begin function _ZN7rocprim17ROCPRIM_400000_NS6detail17trampoline_kernelINS0_13select_configILj256ELj13ELNS0_17block_load_methodE3ELS4_3ELS4_3ELNS0_20block_scan_algorithmE0ELj4294967295EEENS1_25partition_config_selectorILNS1_17partition_subalgoE3EjNS0_10empty_typeEbEEZZNS1_14partition_implILS8_3ELb0ES6_jNS0_17counting_iteratorIjlEEPS9_SE_NS0_5tupleIJPjSE_EEENSF_IJSE_SE_EEES9_SG_JZNS1_25segmented_radix_sort_implINS0_14default_configELb0EPKiPiPKlPlN2at6native12_GLOBAL__N_18offset_tEEE10hipError_tPvRmT1_PNSt15iterator_traitsISY_E10value_typeET2_T3_PNSZ_IS14_E10value_typeET4_jRbjT5_S1A_jjP12ihipStream_tbEUljE_EEESV_SW_SX_S14_S18_S1A_T6_T7_T9_mT8_S1C_bDpT10_ENKUlT_T0_E_clISt17integral_constantIbLb0EES1O_IbLb1EEEEDaS1K_S1L_EUlS1K_E_NS1_11comp_targetILNS1_3genE2ELNS1_11target_archE906ELNS1_3gpuE6ELNS1_3repE0EEENS1_30default_config_static_selectorELNS0_4arch9wavefront6targetE0EEEvSY_
	.p2align	8
	.type	_ZN7rocprim17ROCPRIM_400000_NS6detail17trampoline_kernelINS0_13select_configILj256ELj13ELNS0_17block_load_methodE3ELS4_3ELS4_3ELNS0_20block_scan_algorithmE0ELj4294967295EEENS1_25partition_config_selectorILNS1_17partition_subalgoE3EjNS0_10empty_typeEbEEZZNS1_14partition_implILS8_3ELb0ES6_jNS0_17counting_iteratorIjlEEPS9_SE_NS0_5tupleIJPjSE_EEENSF_IJSE_SE_EEES9_SG_JZNS1_25segmented_radix_sort_implINS0_14default_configELb0EPKiPiPKlPlN2at6native12_GLOBAL__N_18offset_tEEE10hipError_tPvRmT1_PNSt15iterator_traitsISY_E10value_typeET2_T3_PNSZ_IS14_E10value_typeET4_jRbjT5_S1A_jjP12ihipStream_tbEUljE_EEESV_SW_SX_S14_S18_S1A_T6_T7_T9_mT8_S1C_bDpT10_ENKUlT_T0_E_clISt17integral_constantIbLb0EES1O_IbLb1EEEEDaS1K_S1L_EUlS1K_E_NS1_11comp_targetILNS1_3genE2ELNS1_11target_archE906ELNS1_3gpuE6ELNS1_3repE0EEENS1_30default_config_static_selectorELNS0_4arch9wavefront6targetE0EEEvSY_,@function
_ZN7rocprim17ROCPRIM_400000_NS6detail17trampoline_kernelINS0_13select_configILj256ELj13ELNS0_17block_load_methodE3ELS4_3ELS4_3ELNS0_20block_scan_algorithmE0ELj4294967295EEENS1_25partition_config_selectorILNS1_17partition_subalgoE3EjNS0_10empty_typeEbEEZZNS1_14partition_implILS8_3ELb0ES6_jNS0_17counting_iteratorIjlEEPS9_SE_NS0_5tupleIJPjSE_EEENSF_IJSE_SE_EEES9_SG_JZNS1_25segmented_radix_sort_implINS0_14default_configELb0EPKiPiPKlPlN2at6native12_GLOBAL__N_18offset_tEEE10hipError_tPvRmT1_PNSt15iterator_traitsISY_E10value_typeET2_T3_PNSZ_IS14_E10value_typeET4_jRbjT5_S1A_jjP12ihipStream_tbEUljE_EEESV_SW_SX_S14_S18_S1A_T6_T7_T9_mT8_S1C_bDpT10_ENKUlT_T0_E_clISt17integral_constantIbLb0EES1O_IbLb1EEEEDaS1K_S1L_EUlS1K_E_NS1_11comp_targetILNS1_3genE2ELNS1_11target_archE906ELNS1_3gpuE6ELNS1_3repE0EEENS1_30default_config_static_selectorELNS0_4arch9wavefront6targetE0EEEvSY_: ; @_ZN7rocprim17ROCPRIM_400000_NS6detail17trampoline_kernelINS0_13select_configILj256ELj13ELNS0_17block_load_methodE3ELS4_3ELS4_3ELNS0_20block_scan_algorithmE0ELj4294967295EEENS1_25partition_config_selectorILNS1_17partition_subalgoE3EjNS0_10empty_typeEbEEZZNS1_14partition_implILS8_3ELb0ES6_jNS0_17counting_iteratorIjlEEPS9_SE_NS0_5tupleIJPjSE_EEENSF_IJSE_SE_EEES9_SG_JZNS1_25segmented_radix_sort_implINS0_14default_configELb0EPKiPiPKlPlN2at6native12_GLOBAL__N_18offset_tEEE10hipError_tPvRmT1_PNSt15iterator_traitsISY_E10value_typeET2_T3_PNSZ_IS14_E10value_typeET4_jRbjT5_S1A_jjP12ihipStream_tbEUljE_EEESV_SW_SX_S14_S18_S1A_T6_T7_T9_mT8_S1C_bDpT10_ENKUlT_T0_E_clISt17integral_constantIbLb0EES1O_IbLb1EEEEDaS1K_S1L_EUlS1K_E_NS1_11comp_targetILNS1_3genE2ELNS1_11target_archE906ELNS1_3gpuE6ELNS1_3repE0EEENS1_30default_config_static_selectorELNS0_4arch9wavefront6targetE0EEEvSY_
; %bb.0:
	.section	.rodata,"a",@progbits
	.p2align	6, 0x0
	.amdhsa_kernel _ZN7rocprim17ROCPRIM_400000_NS6detail17trampoline_kernelINS0_13select_configILj256ELj13ELNS0_17block_load_methodE3ELS4_3ELS4_3ELNS0_20block_scan_algorithmE0ELj4294967295EEENS1_25partition_config_selectorILNS1_17partition_subalgoE3EjNS0_10empty_typeEbEEZZNS1_14partition_implILS8_3ELb0ES6_jNS0_17counting_iteratorIjlEEPS9_SE_NS0_5tupleIJPjSE_EEENSF_IJSE_SE_EEES9_SG_JZNS1_25segmented_radix_sort_implINS0_14default_configELb0EPKiPiPKlPlN2at6native12_GLOBAL__N_18offset_tEEE10hipError_tPvRmT1_PNSt15iterator_traitsISY_E10value_typeET2_T3_PNSZ_IS14_E10value_typeET4_jRbjT5_S1A_jjP12ihipStream_tbEUljE_EEESV_SW_SX_S14_S18_S1A_T6_T7_T9_mT8_S1C_bDpT10_ENKUlT_T0_E_clISt17integral_constantIbLb0EES1O_IbLb1EEEEDaS1K_S1L_EUlS1K_E_NS1_11comp_targetILNS1_3genE2ELNS1_11target_archE906ELNS1_3gpuE6ELNS1_3repE0EEENS1_30default_config_static_selectorELNS0_4arch9wavefront6targetE0EEEvSY_
		.amdhsa_group_segment_fixed_size 0
		.amdhsa_private_segment_fixed_size 0
		.amdhsa_kernarg_size 152
		.amdhsa_user_sgpr_count 2
		.amdhsa_user_sgpr_dispatch_ptr 0
		.amdhsa_user_sgpr_queue_ptr 0
		.amdhsa_user_sgpr_kernarg_segment_ptr 1
		.amdhsa_user_sgpr_dispatch_id 0
		.amdhsa_user_sgpr_kernarg_preload_length 0
		.amdhsa_user_sgpr_kernarg_preload_offset 0
		.amdhsa_user_sgpr_private_segment_size 0
		.amdhsa_wavefront_size32 1
		.amdhsa_uses_dynamic_stack 0
		.amdhsa_enable_private_segment 0
		.amdhsa_system_sgpr_workgroup_id_x 1
		.amdhsa_system_sgpr_workgroup_id_y 0
		.amdhsa_system_sgpr_workgroup_id_z 0
		.amdhsa_system_sgpr_workgroup_info 0
		.amdhsa_system_vgpr_workitem_id 0
		.amdhsa_next_free_vgpr 1
		.amdhsa_next_free_sgpr 1
		.amdhsa_named_barrier_count 0
		.amdhsa_reserve_vcc 0
		.amdhsa_float_round_mode_32 0
		.amdhsa_float_round_mode_16_64 0
		.amdhsa_float_denorm_mode_32 3
		.amdhsa_float_denorm_mode_16_64 3
		.amdhsa_fp16_overflow 0
		.amdhsa_memory_ordered 1
		.amdhsa_forward_progress 1
		.amdhsa_inst_pref_size 0
		.amdhsa_round_robin_scheduling 0
		.amdhsa_exception_fp_ieee_invalid_op 0
		.amdhsa_exception_fp_denorm_src 0
		.amdhsa_exception_fp_ieee_div_zero 0
		.amdhsa_exception_fp_ieee_overflow 0
		.amdhsa_exception_fp_ieee_underflow 0
		.amdhsa_exception_fp_ieee_inexact 0
		.amdhsa_exception_int_div_zero 0
	.end_amdhsa_kernel
	.section	.text._ZN7rocprim17ROCPRIM_400000_NS6detail17trampoline_kernelINS0_13select_configILj256ELj13ELNS0_17block_load_methodE3ELS4_3ELS4_3ELNS0_20block_scan_algorithmE0ELj4294967295EEENS1_25partition_config_selectorILNS1_17partition_subalgoE3EjNS0_10empty_typeEbEEZZNS1_14partition_implILS8_3ELb0ES6_jNS0_17counting_iteratorIjlEEPS9_SE_NS0_5tupleIJPjSE_EEENSF_IJSE_SE_EEES9_SG_JZNS1_25segmented_radix_sort_implINS0_14default_configELb0EPKiPiPKlPlN2at6native12_GLOBAL__N_18offset_tEEE10hipError_tPvRmT1_PNSt15iterator_traitsISY_E10value_typeET2_T3_PNSZ_IS14_E10value_typeET4_jRbjT5_S1A_jjP12ihipStream_tbEUljE_EEESV_SW_SX_S14_S18_S1A_T6_T7_T9_mT8_S1C_bDpT10_ENKUlT_T0_E_clISt17integral_constantIbLb0EES1O_IbLb1EEEEDaS1K_S1L_EUlS1K_E_NS1_11comp_targetILNS1_3genE2ELNS1_11target_archE906ELNS1_3gpuE6ELNS1_3repE0EEENS1_30default_config_static_selectorELNS0_4arch9wavefront6targetE0EEEvSY_,"axG",@progbits,_ZN7rocprim17ROCPRIM_400000_NS6detail17trampoline_kernelINS0_13select_configILj256ELj13ELNS0_17block_load_methodE3ELS4_3ELS4_3ELNS0_20block_scan_algorithmE0ELj4294967295EEENS1_25partition_config_selectorILNS1_17partition_subalgoE3EjNS0_10empty_typeEbEEZZNS1_14partition_implILS8_3ELb0ES6_jNS0_17counting_iteratorIjlEEPS9_SE_NS0_5tupleIJPjSE_EEENSF_IJSE_SE_EEES9_SG_JZNS1_25segmented_radix_sort_implINS0_14default_configELb0EPKiPiPKlPlN2at6native12_GLOBAL__N_18offset_tEEE10hipError_tPvRmT1_PNSt15iterator_traitsISY_E10value_typeET2_T3_PNSZ_IS14_E10value_typeET4_jRbjT5_S1A_jjP12ihipStream_tbEUljE_EEESV_SW_SX_S14_S18_S1A_T6_T7_T9_mT8_S1C_bDpT10_ENKUlT_T0_E_clISt17integral_constantIbLb0EES1O_IbLb1EEEEDaS1K_S1L_EUlS1K_E_NS1_11comp_targetILNS1_3genE2ELNS1_11target_archE906ELNS1_3gpuE6ELNS1_3repE0EEENS1_30default_config_static_selectorELNS0_4arch9wavefront6targetE0EEEvSY_,comdat
.Lfunc_end592:
	.size	_ZN7rocprim17ROCPRIM_400000_NS6detail17trampoline_kernelINS0_13select_configILj256ELj13ELNS0_17block_load_methodE3ELS4_3ELS4_3ELNS0_20block_scan_algorithmE0ELj4294967295EEENS1_25partition_config_selectorILNS1_17partition_subalgoE3EjNS0_10empty_typeEbEEZZNS1_14partition_implILS8_3ELb0ES6_jNS0_17counting_iteratorIjlEEPS9_SE_NS0_5tupleIJPjSE_EEENSF_IJSE_SE_EEES9_SG_JZNS1_25segmented_radix_sort_implINS0_14default_configELb0EPKiPiPKlPlN2at6native12_GLOBAL__N_18offset_tEEE10hipError_tPvRmT1_PNSt15iterator_traitsISY_E10value_typeET2_T3_PNSZ_IS14_E10value_typeET4_jRbjT5_S1A_jjP12ihipStream_tbEUljE_EEESV_SW_SX_S14_S18_S1A_T6_T7_T9_mT8_S1C_bDpT10_ENKUlT_T0_E_clISt17integral_constantIbLb0EES1O_IbLb1EEEEDaS1K_S1L_EUlS1K_E_NS1_11comp_targetILNS1_3genE2ELNS1_11target_archE906ELNS1_3gpuE6ELNS1_3repE0EEENS1_30default_config_static_selectorELNS0_4arch9wavefront6targetE0EEEvSY_, .Lfunc_end592-_ZN7rocprim17ROCPRIM_400000_NS6detail17trampoline_kernelINS0_13select_configILj256ELj13ELNS0_17block_load_methodE3ELS4_3ELS4_3ELNS0_20block_scan_algorithmE0ELj4294967295EEENS1_25partition_config_selectorILNS1_17partition_subalgoE3EjNS0_10empty_typeEbEEZZNS1_14partition_implILS8_3ELb0ES6_jNS0_17counting_iteratorIjlEEPS9_SE_NS0_5tupleIJPjSE_EEENSF_IJSE_SE_EEES9_SG_JZNS1_25segmented_radix_sort_implINS0_14default_configELb0EPKiPiPKlPlN2at6native12_GLOBAL__N_18offset_tEEE10hipError_tPvRmT1_PNSt15iterator_traitsISY_E10value_typeET2_T3_PNSZ_IS14_E10value_typeET4_jRbjT5_S1A_jjP12ihipStream_tbEUljE_EEESV_SW_SX_S14_S18_S1A_T6_T7_T9_mT8_S1C_bDpT10_ENKUlT_T0_E_clISt17integral_constantIbLb0EES1O_IbLb1EEEEDaS1K_S1L_EUlS1K_E_NS1_11comp_targetILNS1_3genE2ELNS1_11target_archE906ELNS1_3gpuE6ELNS1_3repE0EEENS1_30default_config_static_selectorELNS0_4arch9wavefront6targetE0EEEvSY_
                                        ; -- End function
	.set _ZN7rocprim17ROCPRIM_400000_NS6detail17trampoline_kernelINS0_13select_configILj256ELj13ELNS0_17block_load_methodE3ELS4_3ELS4_3ELNS0_20block_scan_algorithmE0ELj4294967295EEENS1_25partition_config_selectorILNS1_17partition_subalgoE3EjNS0_10empty_typeEbEEZZNS1_14partition_implILS8_3ELb0ES6_jNS0_17counting_iteratorIjlEEPS9_SE_NS0_5tupleIJPjSE_EEENSF_IJSE_SE_EEES9_SG_JZNS1_25segmented_radix_sort_implINS0_14default_configELb0EPKiPiPKlPlN2at6native12_GLOBAL__N_18offset_tEEE10hipError_tPvRmT1_PNSt15iterator_traitsISY_E10value_typeET2_T3_PNSZ_IS14_E10value_typeET4_jRbjT5_S1A_jjP12ihipStream_tbEUljE_EEESV_SW_SX_S14_S18_S1A_T6_T7_T9_mT8_S1C_bDpT10_ENKUlT_T0_E_clISt17integral_constantIbLb0EES1O_IbLb1EEEEDaS1K_S1L_EUlS1K_E_NS1_11comp_targetILNS1_3genE2ELNS1_11target_archE906ELNS1_3gpuE6ELNS1_3repE0EEENS1_30default_config_static_selectorELNS0_4arch9wavefront6targetE0EEEvSY_.num_vgpr, 0
	.set _ZN7rocprim17ROCPRIM_400000_NS6detail17trampoline_kernelINS0_13select_configILj256ELj13ELNS0_17block_load_methodE3ELS4_3ELS4_3ELNS0_20block_scan_algorithmE0ELj4294967295EEENS1_25partition_config_selectorILNS1_17partition_subalgoE3EjNS0_10empty_typeEbEEZZNS1_14partition_implILS8_3ELb0ES6_jNS0_17counting_iteratorIjlEEPS9_SE_NS0_5tupleIJPjSE_EEENSF_IJSE_SE_EEES9_SG_JZNS1_25segmented_radix_sort_implINS0_14default_configELb0EPKiPiPKlPlN2at6native12_GLOBAL__N_18offset_tEEE10hipError_tPvRmT1_PNSt15iterator_traitsISY_E10value_typeET2_T3_PNSZ_IS14_E10value_typeET4_jRbjT5_S1A_jjP12ihipStream_tbEUljE_EEESV_SW_SX_S14_S18_S1A_T6_T7_T9_mT8_S1C_bDpT10_ENKUlT_T0_E_clISt17integral_constantIbLb0EES1O_IbLb1EEEEDaS1K_S1L_EUlS1K_E_NS1_11comp_targetILNS1_3genE2ELNS1_11target_archE906ELNS1_3gpuE6ELNS1_3repE0EEENS1_30default_config_static_selectorELNS0_4arch9wavefront6targetE0EEEvSY_.num_agpr, 0
	.set _ZN7rocprim17ROCPRIM_400000_NS6detail17trampoline_kernelINS0_13select_configILj256ELj13ELNS0_17block_load_methodE3ELS4_3ELS4_3ELNS0_20block_scan_algorithmE0ELj4294967295EEENS1_25partition_config_selectorILNS1_17partition_subalgoE3EjNS0_10empty_typeEbEEZZNS1_14partition_implILS8_3ELb0ES6_jNS0_17counting_iteratorIjlEEPS9_SE_NS0_5tupleIJPjSE_EEENSF_IJSE_SE_EEES9_SG_JZNS1_25segmented_radix_sort_implINS0_14default_configELb0EPKiPiPKlPlN2at6native12_GLOBAL__N_18offset_tEEE10hipError_tPvRmT1_PNSt15iterator_traitsISY_E10value_typeET2_T3_PNSZ_IS14_E10value_typeET4_jRbjT5_S1A_jjP12ihipStream_tbEUljE_EEESV_SW_SX_S14_S18_S1A_T6_T7_T9_mT8_S1C_bDpT10_ENKUlT_T0_E_clISt17integral_constantIbLb0EES1O_IbLb1EEEEDaS1K_S1L_EUlS1K_E_NS1_11comp_targetILNS1_3genE2ELNS1_11target_archE906ELNS1_3gpuE6ELNS1_3repE0EEENS1_30default_config_static_selectorELNS0_4arch9wavefront6targetE0EEEvSY_.numbered_sgpr, 0
	.set _ZN7rocprim17ROCPRIM_400000_NS6detail17trampoline_kernelINS0_13select_configILj256ELj13ELNS0_17block_load_methodE3ELS4_3ELS4_3ELNS0_20block_scan_algorithmE0ELj4294967295EEENS1_25partition_config_selectorILNS1_17partition_subalgoE3EjNS0_10empty_typeEbEEZZNS1_14partition_implILS8_3ELb0ES6_jNS0_17counting_iteratorIjlEEPS9_SE_NS0_5tupleIJPjSE_EEENSF_IJSE_SE_EEES9_SG_JZNS1_25segmented_radix_sort_implINS0_14default_configELb0EPKiPiPKlPlN2at6native12_GLOBAL__N_18offset_tEEE10hipError_tPvRmT1_PNSt15iterator_traitsISY_E10value_typeET2_T3_PNSZ_IS14_E10value_typeET4_jRbjT5_S1A_jjP12ihipStream_tbEUljE_EEESV_SW_SX_S14_S18_S1A_T6_T7_T9_mT8_S1C_bDpT10_ENKUlT_T0_E_clISt17integral_constantIbLb0EES1O_IbLb1EEEEDaS1K_S1L_EUlS1K_E_NS1_11comp_targetILNS1_3genE2ELNS1_11target_archE906ELNS1_3gpuE6ELNS1_3repE0EEENS1_30default_config_static_selectorELNS0_4arch9wavefront6targetE0EEEvSY_.num_named_barrier, 0
	.set _ZN7rocprim17ROCPRIM_400000_NS6detail17trampoline_kernelINS0_13select_configILj256ELj13ELNS0_17block_load_methodE3ELS4_3ELS4_3ELNS0_20block_scan_algorithmE0ELj4294967295EEENS1_25partition_config_selectorILNS1_17partition_subalgoE3EjNS0_10empty_typeEbEEZZNS1_14partition_implILS8_3ELb0ES6_jNS0_17counting_iteratorIjlEEPS9_SE_NS0_5tupleIJPjSE_EEENSF_IJSE_SE_EEES9_SG_JZNS1_25segmented_radix_sort_implINS0_14default_configELb0EPKiPiPKlPlN2at6native12_GLOBAL__N_18offset_tEEE10hipError_tPvRmT1_PNSt15iterator_traitsISY_E10value_typeET2_T3_PNSZ_IS14_E10value_typeET4_jRbjT5_S1A_jjP12ihipStream_tbEUljE_EEESV_SW_SX_S14_S18_S1A_T6_T7_T9_mT8_S1C_bDpT10_ENKUlT_T0_E_clISt17integral_constantIbLb0EES1O_IbLb1EEEEDaS1K_S1L_EUlS1K_E_NS1_11comp_targetILNS1_3genE2ELNS1_11target_archE906ELNS1_3gpuE6ELNS1_3repE0EEENS1_30default_config_static_selectorELNS0_4arch9wavefront6targetE0EEEvSY_.private_seg_size, 0
	.set _ZN7rocprim17ROCPRIM_400000_NS6detail17trampoline_kernelINS0_13select_configILj256ELj13ELNS0_17block_load_methodE3ELS4_3ELS4_3ELNS0_20block_scan_algorithmE0ELj4294967295EEENS1_25partition_config_selectorILNS1_17partition_subalgoE3EjNS0_10empty_typeEbEEZZNS1_14partition_implILS8_3ELb0ES6_jNS0_17counting_iteratorIjlEEPS9_SE_NS0_5tupleIJPjSE_EEENSF_IJSE_SE_EEES9_SG_JZNS1_25segmented_radix_sort_implINS0_14default_configELb0EPKiPiPKlPlN2at6native12_GLOBAL__N_18offset_tEEE10hipError_tPvRmT1_PNSt15iterator_traitsISY_E10value_typeET2_T3_PNSZ_IS14_E10value_typeET4_jRbjT5_S1A_jjP12ihipStream_tbEUljE_EEESV_SW_SX_S14_S18_S1A_T6_T7_T9_mT8_S1C_bDpT10_ENKUlT_T0_E_clISt17integral_constantIbLb0EES1O_IbLb1EEEEDaS1K_S1L_EUlS1K_E_NS1_11comp_targetILNS1_3genE2ELNS1_11target_archE906ELNS1_3gpuE6ELNS1_3repE0EEENS1_30default_config_static_selectorELNS0_4arch9wavefront6targetE0EEEvSY_.uses_vcc, 0
	.set _ZN7rocprim17ROCPRIM_400000_NS6detail17trampoline_kernelINS0_13select_configILj256ELj13ELNS0_17block_load_methodE3ELS4_3ELS4_3ELNS0_20block_scan_algorithmE0ELj4294967295EEENS1_25partition_config_selectorILNS1_17partition_subalgoE3EjNS0_10empty_typeEbEEZZNS1_14partition_implILS8_3ELb0ES6_jNS0_17counting_iteratorIjlEEPS9_SE_NS0_5tupleIJPjSE_EEENSF_IJSE_SE_EEES9_SG_JZNS1_25segmented_radix_sort_implINS0_14default_configELb0EPKiPiPKlPlN2at6native12_GLOBAL__N_18offset_tEEE10hipError_tPvRmT1_PNSt15iterator_traitsISY_E10value_typeET2_T3_PNSZ_IS14_E10value_typeET4_jRbjT5_S1A_jjP12ihipStream_tbEUljE_EEESV_SW_SX_S14_S18_S1A_T6_T7_T9_mT8_S1C_bDpT10_ENKUlT_T0_E_clISt17integral_constantIbLb0EES1O_IbLb1EEEEDaS1K_S1L_EUlS1K_E_NS1_11comp_targetILNS1_3genE2ELNS1_11target_archE906ELNS1_3gpuE6ELNS1_3repE0EEENS1_30default_config_static_selectorELNS0_4arch9wavefront6targetE0EEEvSY_.uses_flat_scratch, 0
	.set _ZN7rocprim17ROCPRIM_400000_NS6detail17trampoline_kernelINS0_13select_configILj256ELj13ELNS0_17block_load_methodE3ELS4_3ELS4_3ELNS0_20block_scan_algorithmE0ELj4294967295EEENS1_25partition_config_selectorILNS1_17partition_subalgoE3EjNS0_10empty_typeEbEEZZNS1_14partition_implILS8_3ELb0ES6_jNS0_17counting_iteratorIjlEEPS9_SE_NS0_5tupleIJPjSE_EEENSF_IJSE_SE_EEES9_SG_JZNS1_25segmented_radix_sort_implINS0_14default_configELb0EPKiPiPKlPlN2at6native12_GLOBAL__N_18offset_tEEE10hipError_tPvRmT1_PNSt15iterator_traitsISY_E10value_typeET2_T3_PNSZ_IS14_E10value_typeET4_jRbjT5_S1A_jjP12ihipStream_tbEUljE_EEESV_SW_SX_S14_S18_S1A_T6_T7_T9_mT8_S1C_bDpT10_ENKUlT_T0_E_clISt17integral_constantIbLb0EES1O_IbLb1EEEEDaS1K_S1L_EUlS1K_E_NS1_11comp_targetILNS1_3genE2ELNS1_11target_archE906ELNS1_3gpuE6ELNS1_3repE0EEENS1_30default_config_static_selectorELNS0_4arch9wavefront6targetE0EEEvSY_.has_dyn_sized_stack, 0
	.set _ZN7rocprim17ROCPRIM_400000_NS6detail17trampoline_kernelINS0_13select_configILj256ELj13ELNS0_17block_load_methodE3ELS4_3ELS4_3ELNS0_20block_scan_algorithmE0ELj4294967295EEENS1_25partition_config_selectorILNS1_17partition_subalgoE3EjNS0_10empty_typeEbEEZZNS1_14partition_implILS8_3ELb0ES6_jNS0_17counting_iteratorIjlEEPS9_SE_NS0_5tupleIJPjSE_EEENSF_IJSE_SE_EEES9_SG_JZNS1_25segmented_radix_sort_implINS0_14default_configELb0EPKiPiPKlPlN2at6native12_GLOBAL__N_18offset_tEEE10hipError_tPvRmT1_PNSt15iterator_traitsISY_E10value_typeET2_T3_PNSZ_IS14_E10value_typeET4_jRbjT5_S1A_jjP12ihipStream_tbEUljE_EEESV_SW_SX_S14_S18_S1A_T6_T7_T9_mT8_S1C_bDpT10_ENKUlT_T0_E_clISt17integral_constantIbLb0EES1O_IbLb1EEEEDaS1K_S1L_EUlS1K_E_NS1_11comp_targetILNS1_3genE2ELNS1_11target_archE906ELNS1_3gpuE6ELNS1_3repE0EEENS1_30default_config_static_selectorELNS0_4arch9wavefront6targetE0EEEvSY_.has_recursion, 0
	.set _ZN7rocprim17ROCPRIM_400000_NS6detail17trampoline_kernelINS0_13select_configILj256ELj13ELNS0_17block_load_methodE3ELS4_3ELS4_3ELNS0_20block_scan_algorithmE0ELj4294967295EEENS1_25partition_config_selectorILNS1_17partition_subalgoE3EjNS0_10empty_typeEbEEZZNS1_14partition_implILS8_3ELb0ES6_jNS0_17counting_iteratorIjlEEPS9_SE_NS0_5tupleIJPjSE_EEENSF_IJSE_SE_EEES9_SG_JZNS1_25segmented_radix_sort_implINS0_14default_configELb0EPKiPiPKlPlN2at6native12_GLOBAL__N_18offset_tEEE10hipError_tPvRmT1_PNSt15iterator_traitsISY_E10value_typeET2_T3_PNSZ_IS14_E10value_typeET4_jRbjT5_S1A_jjP12ihipStream_tbEUljE_EEESV_SW_SX_S14_S18_S1A_T6_T7_T9_mT8_S1C_bDpT10_ENKUlT_T0_E_clISt17integral_constantIbLb0EES1O_IbLb1EEEEDaS1K_S1L_EUlS1K_E_NS1_11comp_targetILNS1_3genE2ELNS1_11target_archE906ELNS1_3gpuE6ELNS1_3repE0EEENS1_30default_config_static_selectorELNS0_4arch9wavefront6targetE0EEEvSY_.has_indirect_call, 0
	.section	.AMDGPU.csdata,"",@progbits
; Kernel info:
; codeLenInByte = 0
; TotalNumSgprs: 0
; NumVgprs: 0
; ScratchSize: 0
; MemoryBound: 0
; FloatMode: 240
; IeeeMode: 1
; LDSByteSize: 0 bytes/workgroup (compile time only)
; SGPRBlocks: 0
; VGPRBlocks: 0
; NumSGPRsForWavesPerEU: 1
; NumVGPRsForWavesPerEU: 1
; NamedBarCnt: 0
; Occupancy: 16
; WaveLimiterHint : 0
; COMPUTE_PGM_RSRC2:SCRATCH_EN: 0
; COMPUTE_PGM_RSRC2:USER_SGPR: 2
; COMPUTE_PGM_RSRC2:TRAP_HANDLER: 0
; COMPUTE_PGM_RSRC2:TGID_X_EN: 1
; COMPUTE_PGM_RSRC2:TGID_Y_EN: 0
; COMPUTE_PGM_RSRC2:TGID_Z_EN: 0
; COMPUTE_PGM_RSRC2:TIDIG_COMP_CNT: 0
	.section	.text._ZN7rocprim17ROCPRIM_400000_NS6detail17trampoline_kernelINS0_13select_configILj256ELj13ELNS0_17block_load_methodE3ELS4_3ELS4_3ELNS0_20block_scan_algorithmE0ELj4294967295EEENS1_25partition_config_selectorILNS1_17partition_subalgoE3EjNS0_10empty_typeEbEEZZNS1_14partition_implILS8_3ELb0ES6_jNS0_17counting_iteratorIjlEEPS9_SE_NS0_5tupleIJPjSE_EEENSF_IJSE_SE_EEES9_SG_JZNS1_25segmented_radix_sort_implINS0_14default_configELb0EPKiPiPKlPlN2at6native12_GLOBAL__N_18offset_tEEE10hipError_tPvRmT1_PNSt15iterator_traitsISY_E10value_typeET2_T3_PNSZ_IS14_E10value_typeET4_jRbjT5_S1A_jjP12ihipStream_tbEUljE_EEESV_SW_SX_S14_S18_S1A_T6_T7_T9_mT8_S1C_bDpT10_ENKUlT_T0_E_clISt17integral_constantIbLb0EES1O_IbLb1EEEEDaS1K_S1L_EUlS1K_E_NS1_11comp_targetILNS1_3genE10ELNS1_11target_archE1200ELNS1_3gpuE4ELNS1_3repE0EEENS1_30default_config_static_selectorELNS0_4arch9wavefront6targetE0EEEvSY_,"axG",@progbits,_ZN7rocprim17ROCPRIM_400000_NS6detail17trampoline_kernelINS0_13select_configILj256ELj13ELNS0_17block_load_methodE3ELS4_3ELS4_3ELNS0_20block_scan_algorithmE0ELj4294967295EEENS1_25partition_config_selectorILNS1_17partition_subalgoE3EjNS0_10empty_typeEbEEZZNS1_14partition_implILS8_3ELb0ES6_jNS0_17counting_iteratorIjlEEPS9_SE_NS0_5tupleIJPjSE_EEENSF_IJSE_SE_EEES9_SG_JZNS1_25segmented_radix_sort_implINS0_14default_configELb0EPKiPiPKlPlN2at6native12_GLOBAL__N_18offset_tEEE10hipError_tPvRmT1_PNSt15iterator_traitsISY_E10value_typeET2_T3_PNSZ_IS14_E10value_typeET4_jRbjT5_S1A_jjP12ihipStream_tbEUljE_EEESV_SW_SX_S14_S18_S1A_T6_T7_T9_mT8_S1C_bDpT10_ENKUlT_T0_E_clISt17integral_constantIbLb0EES1O_IbLb1EEEEDaS1K_S1L_EUlS1K_E_NS1_11comp_targetILNS1_3genE10ELNS1_11target_archE1200ELNS1_3gpuE4ELNS1_3repE0EEENS1_30default_config_static_selectorELNS0_4arch9wavefront6targetE0EEEvSY_,comdat
	.globl	_ZN7rocprim17ROCPRIM_400000_NS6detail17trampoline_kernelINS0_13select_configILj256ELj13ELNS0_17block_load_methodE3ELS4_3ELS4_3ELNS0_20block_scan_algorithmE0ELj4294967295EEENS1_25partition_config_selectorILNS1_17partition_subalgoE3EjNS0_10empty_typeEbEEZZNS1_14partition_implILS8_3ELb0ES6_jNS0_17counting_iteratorIjlEEPS9_SE_NS0_5tupleIJPjSE_EEENSF_IJSE_SE_EEES9_SG_JZNS1_25segmented_radix_sort_implINS0_14default_configELb0EPKiPiPKlPlN2at6native12_GLOBAL__N_18offset_tEEE10hipError_tPvRmT1_PNSt15iterator_traitsISY_E10value_typeET2_T3_PNSZ_IS14_E10value_typeET4_jRbjT5_S1A_jjP12ihipStream_tbEUljE_EEESV_SW_SX_S14_S18_S1A_T6_T7_T9_mT8_S1C_bDpT10_ENKUlT_T0_E_clISt17integral_constantIbLb0EES1O_IbLb1EEEEDaS1K_S1L_EUlS1K_E_NS1_11comp_targetILNS1_3genE10ELNS1_11target_archE1200ELNS1_3gpuE4ELNS1_3repE0EEENS1_30default_config_static_selectorELNS0_4arch9wavefront6targetE0EEEvSY_ ; -- Begin function _ZN7rocprim17ROCPRIM_400000_NS6detail17trampoline_kernelINS0_13select_configILj256ELj13ELNS0_17block_load_methodE3ELS4_3ELS4_3ELNS0_20block_scan_algorithmE0ELj4294967295EEENS1_25partition_config_selectorILNS1_17partition_subalgoE3EjNS0_10empty_typeEbEEZZNS1_14partition_implILS8_3ELb0ES6_jNS0_17counting_iteratorIjlEEPS9_SE_NS0_5tupleIJPjSE_EEENSF_IJSE_SE_EEES9_SG_JZNS1_25segmented_radix_sort_implINS0_14default_configELb0EPKiPiPKlPlN2at6native12_GLOBAL__N_18offset_tEEE10hipError_tPvRmT1_PNSt15iterator_traitsISY_E10value_typeET2_T3_PNSZ_IS14_E10value_typeET4_jRbjT5_S1A_jjP12ihipStream_tbEUljE_EEESV_SW_SX_S14_S18_S1A_T6_T7_T9_mT8_S1C_bDpT10_ENKUlT_T0_E_clISt17integral_constantIbLb0EES1O_IbLb1EEEEDaS1K_S1L_EUlS1K_E_NS1_11comp_targetILNS1_3genE10ELNS1_11target_archE1200ELNS1_3gpuE4ELNS1_3repE0EEENS1_30default_config_static_selectorELNS0_4arch9wavefront6targetE0EEEvSY_
	.p2align	8
	.type	_ZN7rocprim17ROCPRIM_400000_NS6detail17trampoline_kernelINS0_13select_configILj256ELj13ELNS0_17block_load_methodE3ELS4_3ELS4_3ELNS0_20block_scan_algorithmE0ELj4294967295EEENS1_25partition_config_selectorILNS1_17partition_subalgoE3EjNS0_10empty_typeEbEEZZNS1_14partition_implILS8_3ELb0ES6_jNS0_17counting_iteratorIjlEEPS9_SE_NS0_5tupleIJPjSE_EEENSF_IJSE_SE_EEES9_SG_JZNS1_25segmented_radix_sort_implINS0_14default_configELb0EPKiPiPKlPlN2at6native12_GLOBAL__N_18offset_tEEE10hipError_tPvRmT1_PNSt15iterator_traitsISY_E10value_typeET2_T3_PNSZ_IS14_E10value_typeET4_jRbjT5_S1A_jjP12ihipStream_tbEUljE_EEESV_SW_SX_S14_S18_S1A_T6_T7_T9_mT8_S1C_bDpT10_ENKUlT_T0_E_clISt17integral_constantIbLb0EES1O_IbLb1EEEEDaS1K_S1L_EUlS1K_E_NS1_11comp_targetILNS1_3genE10ELNS1_11target_archE1200ELNS1_3gpuE4ELNS1_3repE0EEENS1_30default_config_static_selectorELNS0_4arch9wavefront6targetE0EEEvSY_,@function
_ZN7rocprim17ROCPRIM_400000_NS6detail17trampoline_kernelINS0_13select_configILj256ELj13ELNS0_17block_load_methodE3ELS4_3ELS4_3ELNS0_20block_scan_algorithmE0ELj4294967295EEENS1_25partition_config_selectorILNS1_17partition_subalgoE3EjNS0_10empty_typeEbEEZZNS1_14partition_implILS8_3ELb0ES6_jNS0_17counting_iteratorIjlEEPS9_SE_NS0_5tupleIJPjSE_EEENSF_IJSE_SE_EEES9_SG_JZNS1_25segmented_radix_sort_implINS0_14default_configELb0EPKiPiPKlPlN2at6native12_GLOBAL__N_18offset_tEEE10hipError_tPvRmT1_PNSt15iterator_traitsISY_E10value_typeET2_T3_PNSZ_IS14_E10value_typeET4_jRbjT5_S1A_jjP12ihipStream_tbEUljE_EEESV_SW_SX_S14_S18_S1A_T6_T7_T9_mT8_S1C_bDpT10_ENKUlT_T0_E_clISt17integral_constantIbLb0EES1O_IbLb1EEEEDaS1K_S1L_EUlS1K_E_NS1_11comp_targetILNS1_3genE10ELNS1_11target_archE1200ELNS1_3gpuE4ELNS1_3repE0EEENS1_30default_config_static_selectorELNS0_4arch9wavefront6targetE0EEEvSY_: ; @_ZN7rocprim17ROCPRIM_400000_NS6detail17trampoline_kernelINS0_13select_configILj256ELj13ELNS0_17block_load_methodE3ELS4_3ELS4_3ELNS0_20block_scan_algorithmE0ELj4294967295EEENS1_25partition_config_selectorILNS1_17partition_subalgoE3EjNS0_10empty_typeEbEEZZNS1_14partition_implILS8_3ELb0ES6_jNS0_17counting_iteratorIjlEEPS9_SE_NS0_5tupleIJPjSE_EEENSF_IJSE_SE_EEES9_SG_JZNS1_25segmented_radix_sort_implINS0_14default_configELb0EPKiPiPKlPlN2at6native12_GLOBAL__N_18offset_tEEE10hipError_tPvRmT1_PNSt15iterator_traitsISY_E10value_typeET2_T3_PNSZ_IS14_E10value_typeET4_jRbjT5_S1A_jjP12ihipStream_tbEUljE_EEESV_SW_SX_S14_S18_S1A_T6_T7_T9_mT8_S1C_bDpT10_ENKUlT_T0_E_clISt17integral_constantIbLb0EES1O_IbLb1EEEEDaS1K_S1L_EUlS1K_E_NS1_11comp_targetILNS1_3genE10ELNS1_11target_archE1200ELNS1_3gpuE4ELNS1_3repE0EEENS1_30default_config_static_selectorELNS0_4arch9wavefront6targetE0EEEvSY_
; %bb.0:
	.section	.rodata,"a",@progbits
	.p2align	6, 0x0
	.amdhsa_kernel _ZN7rocprim17ROCPRIM_400000_NS6detail17trampoline_kernelINS0_13select_configILj256ELj13ELNS0_17block_load_methodE3ELS4_3ELS4_3ELNS0_20block_scan_algorithmE0ELj4294967295EEENS1_25partition_config_selectorILNS1_17partition_subalgoE3EjNS0_10empty_typeEbEEZZNS1_14partition_implILS8_3ELb0ES6_jNS0_17counting_iteratorIjlEEPS9_SE_NS0_5tupleIJPjSE_EEENSF_IJSE_SE_EEES9_SG_JZNS1_25segmented_radix_sort_implINS0_14default_configELb0EPKiPiPKlPlN2at6native12_GLOBAL__N_18offset_tEEE10hipError_tPvRmT1_PNSt15iterator_traitsISY_E10value_typeET2_T3_PNSZ_IS14_E10value_typeET4_jRbjT5_S1A_jjP12ihipStream_tbEUljE_EEESV_SW_SX_S14_S18_S1A_T6_T7_T9_mT8_S1C_bDpT10_ENKUlT_T0_E_clISt17integral_constantIbLb0EES1O_IbLb1EEEEDaS1K_S1L_EUlS1K_E_NS1_11comp_targetILNS1_3genE10ELNS1_11target_archE1200ELNS1_3gpuE4ELNS1_3repE0EEENS1_30default_config_static_selectorELNS0_4arch9wavefront6targetE0EEEvSY_
		.amdhsa_group_segment_fixed_size 0
		.amdhsa_private_segment_fixed_size 0
		.amdhsa_kernarg_size 152
		.amdhsa_user_sgpr_count 2
		.amdhsa_user_sgpr_dispatch_ptr 0
		.amdhsa_user_sgpr_queue_ptr 0
		.amdhsa_user_sgpr_kernarg_segment_ptr 1
		.amdhsa_user_sgpr_dispatch_id 0
		.amdhsa_user_sgpr_kernarg_preload_length 0
		.amdhsa_user_sgpr_kernarg_preload_offset 0
		.amdhsa_user_sgpr_private_segment_size 0
		.amdhsa_wavefront_size32 1
		.amdhsa_uses_dynamic_stack 0
		.amdhsa_enable_private_segment 0
		.amdhsa_system_sgpr_workgroup_id_x 1
		.amdhsa_system_sgpr_workgroup_id_y 0
		.amdhsa_system_sgpr_workgroup_id_z 0
		.amdhsa_system_sgpr_workgroup_info 0
		.amdhsa_system_vgpr_workitem_id 0
		.amdhsa_next_free_vgpr 1
		.amdhsa_next_free_sgpr 1
		.amdhsa_named_barrier_count 0
		.amdhsa_reserve_vcc 0
		.amdhsa_float_round_mode_32 0
		.amdhsa_float_round_mode_16_64 0
		.amdhsa_float_denorm_mode_32 3
		.amdhsa_float_denorm_mode_16_64 3
		.amdhsa_fp16_overflow 0
		.amdhsa_memory_ordered 1
		.amdhsa_forward_progress 1
		.amdhsa_inst_pref_size 0
		.amdhsa_round_robin_scheduling 0
		.amdhsa_exception_fp_ieee_invalid_op 0
		.amdhsa_exception_fp_denorm_src 0
		.amdhsa_exception_fp_ieee_div_zero 0
		.amdhsa_exception_fp_ieee_overflow 0
		.amdhsa_exception_fp_ieee_underflow 0
		.amdhsa_exception_fp_ieee_inexact 0
		.amdhsa_exception_int_div_zero 0
	.end_amdhsa_kernel
	.section	.text._ZN7rocprim17ROCPRIM_400000_NS6detail17trampoline_kernelINS0_13select_configILj256ELj13ELNS0_17block_load_methodE3ELS4_3ELS4_3ELNS0_20block_scan_algorithmE0ELj4294967295EEENS1_25partition_config_selectorILNS1_17partition_subalgoE3EjNS0_10empty_typeEbEEZZNS1_14partition_implILS8_3ELb0ES6_jNS0_17counting_iteratorIjlEEPS9_SE_NS0_5tupleIJPjSE_EEENSF_IJSE_SE_EEES9_SG_JZNS1_25segmented_radix_sort_implINS0_14default_configELb0EPKiPiPKlPlN2at6native12_GLOBAL__N_18offset_tEEE10hipError_tPvRmT1_PNSt15iterator_traitsISY_E10value_typeET2_T3_PNSZ_IS14_E10value_typeET4_jRbjT5_S1A_jjP12ihipStream_tbEUljE_EEESV_SW_SX_S14_S18_S1A_T6_T7_T9_mT8_S1C_bDpT10_ENKUlT_T0_E_clISt17integral_constantIbLb0EES1O_IbLb1EEEEDaS1K_S1L_EUlS1K_E_NS1_11comp_targetILNS1_3genE10ELNS1_11target_archE1200ELNS1_3gpuE4ELNS1_3repE0EEENS1_30default_config_static_selectorELNS0_4arch9wavefront6targetE0EEEvSY_,"axG",@progbits,_ZN7rocprim17ROCPRIM_400000_NS6detail17trampoline_kernelINS0_13select_configILj256ELj13ELNS0_17block_load_methodE3ELS4_3ELS4_3ELNS0_20block_scan_algorithmE0ELj4294967295EEENS1_25partition_config_selectorILNS1_17partition_subalgoE3EjNS0_10empty_typeEbEEZZNS1_14partition_implILS8_3ELb0ES6_jNS0_17counting_iteratorIjlEEPS9_SE_NS0_5tupleIJPjSE_EEENSF_IJSE_SE_EEES9_SG_JZNS1_25segmented_radix_sort_implINS0_14default_configELb0EPKiPiPKlPlN2at6native12_GLOBAL__N_18offset_tEEE10hipError_tPvRmT1_PNSt15iterator_traitsISY_E10value_typeET2_T3_PNSZ_IS14_E10value_typeET4_jRbjT5_S1A_jjP12ihipStream_tbEUljE_EEESV_SW_SX_S14_S18_S1A_T6_T7_T9_mT8_S1C_bDpT10_ENKUlT_T0_E_clISt17integral_constantIbLb0EES1O_IbLb1EEEEDaS1K_S1L_EUlS1K_E_NS1_11comp_targetILNS1_3genE10ELNS1_11target_archE1200ELNS1_3gpuE4ELNS1_3repE0EEENS1_30default_config_static_selectorELNS0_4arch9wavefront6targetE0EEEvSY_,comdat
.Lfunc_end593:
	.size	_ZN7rocprim17ROCPRIM_400000_NS6detail17trampoline_kernelINS0_13select_configILj256ELj13ELNS0_17block_load_methodE3ELS4_3ELS4_3ELNS0_20block_scan_algorithmE0ELj4294967295EEENS1_25partition_config_selectorILNS1_17partition_subalgoE3EjNS0_10empty_typeEbEEZZNS1_14partition_implILS8_3ELb0ES6_jNS0_17counting_iteratorIjlEEPS9_SE_NS0_5tupleIJPjSE_EEENSF_IJSE_SE_EEES9_SG_JZNS1_25segmented_radix_sort_implINS0_14default_configELb0EPKiPiPKlPlN2at6native12_GLOBAL__N_18offset_tEEE10hipError_tPvRmT1_PNSt15iterator_traitsISY_E10value_typeET2_T3_PNSZ_IS14_E10value_typeET4_jRbjT5_S1A_jjP12ihipStream_tbEUljE_EEESV_SW_SX_S14_S18_S1A_T6_T7_T9_mT8_S1C_bDpT10_ENKUlT_T0_E_clISt17integral_constantIbLb0EES1O_IbLb1EEEEDaS1K_S1L_EUlS1K_E_NS1_11comp_targetILNS1_3genE10ELNS1_11target_archE1200ELNS1_3gpuE4ELNS1_3repE0EEENS1_30default_config_static_selectorELNS0_4arch9wavefront6targetE0EEEvSY_, .Lfunc_end593-_ZN7rocprim17ROCPRIM_400000_NS6detail17trampoline_kernelINS0_13select_configILj256ELj13ELNS0_17block_load_methodE3ELS4_3ELS4_3ELNS0_20block_scan_algorithmE0ELj4294967295EEENS1_25partition_config_selectorILNS1_17partition_subalgoE3EjNS0_10empty_typeEbEEZZNS1_14partition_implILS8_3ELb0ES6_jNS0_17counting_iteratorIjlEEPS9_SE_NS0_5tupleIJPjSE_EEENSF_IJSE_SE_EEES9_SG_JZNS1_25segmented_radix_sort_implINS0_14default_configELb0EPKiPiPKlPlN2at6native12_GLOBAL__N_18offset_tEEE10hipError_tPvRmT1_PNSt15iterator_traitsISY_E10value_typeET2_T3_PNSZ_IS14_E10value_typeET4_jRbjT5_S1A_jjP12ihipStream_tbEUljE_EEESV_SW_SX_S14_S18_S1A_T6_T7_T9_mT8_S1C_bDpT10_ENKUlT_T0_E_clISt17integral_constantIbLb0EES1O_IbLb1EEEEDaS1K_S1L_EUlS1K_E_NS1_11comp_targetILNS1_3genE10ELNS1_11target_archE1200ELNS1_3gpuE4ELNS1_3repE0EEENS1_30default_config_static_selectorELNS0_4arch9wavefront6targetE0EEEvSY_
                                        ; -- End function
	.set _ZN7rocprim17ROCPRIM_400000_NS6detail17trampoline_kernelINS0_13select_configILj256ELj13ELNS0_17block_load_methodE3ELS4_3ELS4_3ELNS0_20block_scan_algorithmE0ELj4294967295EEENS1_25partition_config_selectorILNS1_17partition_subalgoE3EjNS0_10empty_typeEbEEZZNS1_14partition_implILS8_3ELb0ES6_jNS0_17counting_iteratorIjlEEPS9_SE_NS0_5tupleIJPjSE_EEENSF_IJSE_SE_EEES9_SG_JZNS1_25segmented_radix_sort_implINS0_14default_configELb0EPKiPiPKlPlN2at6native12_GLOBAL__N_18offset_tEEE10hipError_tPvRmT1_PNSt15iterator_traitsISY_E10value_typeET2_T3_PNSZ_IS14_E10value_typeET4_jRbjT5_S1A_jjP12ihipStream_tbEUljE_EEESV_SW_SX_S14_S18_S1A_T6_T7_T9_mT8_S1C_bDpT10_ENKUlT_T0_E_clISt17integral_constantIbLb0EES1O_IbLb1EEEEDaS1K_S1L_EUlS1K_E_NS1_11comp_targetILNS1_3genE10ELNS1_11target_archE1200ELNS1_3gpuE4ELNS1_3repE0EEENS1_30default_config_static_selectorELNS0_4arch9wavefront6targetE0EEEvSY_.num_vgpr, 0
	.set _ZN7rocprim17ROCPRIM_400000_NS6detail17trampoline_kernelINS0_13select_configILj256ELj13ELNS0_17block_load_methodE3ELS4_3ELS4_3ELNS0_20block_scan_algorithmE0ELj4294967295EEENS1_25partition_config_selectorILNS1_17partition_subalgoE3EjNS0_10empty_typeEbEEZZNS1_14partition_implILS8_3ELb0ES6_jNS0_17counting_iteratorIjlEEPS9_SE_NS0_5tupleIJPjSE_EEENSF_IJSE_SE_EEES9_SG_JZNS1_25segmented_radix_sort_implINS0_14default_configELb0EPKiPiPKlPlN2at6native12_GLOBAL__N_18offset_tEEE10hipError_tPvRmT1_PNSt15iterator_traitsISY_E10value_typeET2_T3_PNSZ_IS14_E10value_typeET4_jRbjT5_S1A_jjP12ihipStream_tbEUljE_EEESV_SW_SX_S14_S18_S1A_T6_T7_T9_mT8_S1C_bDpT10_ENKUlT_T0_E_clISt17integral_constantIbLb0EES1O_IbLb1EEEEDaS1K_S1L_EUlS1K_E_NS1_11comp_targetILNS1_3genE10ELNS1_11target_archE1200ELNS1_3gpuE4ELNS1_3repE0EEENS1_30default_config_static_selectorELNS0_4arch9wavefront6targetE0EEEvSY_.num_agpr, 0
	.set _ZN7rocprim17ROCPRIM_400000_NS6detail17trampoline_kernelINS0_13select_configILj256ELj13ELNS0_17block_load_methodE3ELS4_3ELS4_3ELNS0_20block_scan_algorithmE0ELj4294967295EEENS1_25partition_config_selectorILNS1_17partition_subalgoE3EjNS0_10empty_typeEbEEZZNS1_14partition_implILS8_3ELb0ES6_jNS0_17counting_iteratorIjlEEPS9_SE_NS0_5tupleIJPjSE_EEENSF_IJSE_SE_EEES9_SG_JZNS1_25segmented_radix_sort_implINS0_14default_configELb0EPKiPiPKlPlN2at6native12_GLOBAL__N_18offset_tEEE10hipError_tPvRmT1_PNSt15iterator_traitsISY_E10value_typeET2_T3_PNSZ_IS14_E10value_typeET4_jRbjT5_S1A_jjP12ihipStream_tbEUljE_EEESV_SW_SX_S14_S18_S1A_T6_T7_T9_mT8_S1C_bDpT10_ENKUlT_T0_E_clISt17integral_constantIbLb0EES1O_IbLb1EEEEDaS1K_S1L_EUlS1K_E_NS1_11comp_targetILNS1_3genE10ELNS1_11target_archE1200ELNS1_3gpuE4ELNS1_3repE0EEENS1_30default_config_static_selectorELNS0_4arch9wavefront6targetE0EEEvSY_.numbered_sgpr, 0
	.set _ZN7rocprim17ROCPRIM_400000_NS6detail17trampoline_kernelINS0_13select_configILj256ELj13ELNS0_17block_load_methodE3ELS4_3ELS4_3ELNS0_20block_scan_algorithmE0ELj4294967295EEENS1_25partition_config_selectorILNS1_17partition_subalgoE3EjNS0_10empty_typeEbEEZZNS1_14partition_implILS8_3ELb0ES6_jNS0_17counting_iteratorIjlEEPS9_SE_NS0_5tupleIJPjSE_EEENSF_IJSE_SE_EEES9_SG_JZNS1_25segmented_radix_sort_implINS0_14default_configELb0EPKiPiPKlPlN2at6native12_GLOBAL__N_18offset_tEEE10hipError_tPvRmT1_PNSt15iterator_traitsISY_E10value_typeET2_T3_PNSZ_IS14_E10value_typeET4_jRbjT5_S1A_jjP12ihipStream_tbEUljE_EEESV_SW_SX_S14_S18_S1A_T6_T7_T9_mT8_S1C_bDpT10_ENKUlT_T0_E_clISt17integral_constantIbLb0EES1O_IbLb1EEEEDaS1K_S1L_EUlS1K_E_NS1_11comp_targetILNS1_3genE10ELNS1_11target_archE1200ELNS1_3gpuE4ELNS1_3repE0EEENS1_30default_config_static_selectorELNS0_4arch9wavefront6targetE0EEEvSY_.num_named_barrier, 0
	.set _ZN7rocprim17ROCPRIM_400000_NS6detail17trampoline_kernelINS0_13select_configILj256ELj13ELNS0_17block_load_methodE3ELS4_3ELS4_3ELNS0_20block_scan_algorithmE0ELj4294967295EEENS1_25partition_config_selectorILNS1_17partition_subalgoE3EjNS0_10empty_typeEbEEZZNS1_14partition_implILS8_3ELb0ES6_jNS0_17counting_iteratorIjlEEPS9_SE_NS0_5tupleIJPjSE_EEENSF_IJSE_SE_EEES9_SG_JZNS1_25segmented_radix_sort_implINS0_14default_configELb0EPKiPiPKlPlN2at6native12_GLOBAL__N_18offset_tEEE10hipError_tPvRmT1_PNSt15iterator_traitsISY_E10value_typeET2_T3_PNSZ_IS14_E10value_typeET4_jRbjT5_S1A_jjP12ihipStream_tbEUljE_EEESV_SW_SX_S14_S18_S1A_T6_T7_T9_mT8_S1C_bDpT10_ENKUlT_T0_E_clISt17integral_constantIbLb0EES1O_IbLb1EEEEDaS1K_S1L_EUlS1K_E_NS1_11comp_targetILNS1_3genE10ELNS1_11target_archE1200ELNS1_3gpuE4ELNS1_3repE0EEENS1_30default_config_static_selectorELNS0_4arch9wavefront6targetE0EEEvSY_.private_seg_size, 0
	.set _ZN7rocprim17ROCPRIM_400000_NS6detail17trampoline_kernelINS0_13select_configILj256ELj13ELNS0_17block_load_methodE3ELS4_3ELS4_3ELNS0_20block_scan_algorithmE0ELj4294967295EEENS1_25partition_config_selectorILNS1_17partition_subalgoE3EjNS0_10empty_typeEbEEZZNS1_14partition_implILS8_3ELb0ES6_jNS0_17counting_iteratorIjlEEPS9_SE_NS0_5tupleIJPjSE_EEENSF_IJSE_SE_EEES9_SG_JZNS1_25segmented_radix_sort_implINS0_14default_configELb0EPKiPiPKlPlN2at6native12_GLOBAL__N_18offset_tEEE10hipError_tPvRmT1_PNSt15iterator_traitsISY_E10value_typeET2_T3_PNSZ_IS14_E10value_typeET4_jRbjT5_S1A_jjP12ihipStream_tbEUljE_EEESV_SW_SX_S14_S18_S1A_T6_T7_T9_mT8_S1C_bDpT10_ENKUlT_T0_E_clISt17integral_constantIbLb0EES1O_IbLb1EEEEDaS1K_S1L_EUlS1K_E_NS1_11comp_targetILNS1_3genE10ELNS1_11target_archE1200ELNS1_3gpuE4ELNS1_3repE0EEENS1_30default_config_static_selectorELNS0_4arch9wavefront6targetE0EEEvSY_.uses_vcc, 0
	.set _ZN7rocprim17ROCPRIM_400000_NS6detail17trampoline_kernelINS0_13select_configILj256ELj13ELNS0_17block_load_methodE3ELS4_3ELS4_3ELNS0_20block_scan_algorithmE0ELj4294967295EEENS1_25partition_config_selectorILNS1_17partition_subalgoE3EjNS0_10empty_typeEbEEZZNS1_14partition_implILS8_3ELb0ES6_jNS0_17counting_iteratorIjlEEPS9_SE_NS0_5tupleIJPjSE_EEENSF_IJSE_SE_EEES9_SG_JZNS1_25segmented_radix_sort_implINS0_14default_configELb0EPKiPiPKlPlN2at6native12_GLOBAL__N_18offset_tEEE10hipError_tPvRmT1_PNSt15iterator_traitsISY_E10value_typeET2_T3_PNSZ_IS14_E10value_typeET4_jRbjT5_S1A_jjP12ihipStream_tbEUljE_EEESV_SW_SX_S14_S18_S1A_T6_T7_T9_mT8_S1C_bDpT10_ENKUlT_T0_E_clISt17integral_constantIbLb0EES1O_IbLb1EEEEDaS1K_S1L_EUlS1K_E_NS1_11comp_targetILNS1_3genE10ELNS1_11target_archE1200ELNS1_3gpuE4ELNS1_3repE0EEENS1_30default_config_static_selectorELNS0_4arch9wavefront6targetE0EEEvSY_.uses_flat_scratch, 0
	.set _ZN7rocprim17ROCPRIM_400000_NS6detail17trampoline_kernelINS0_13select_configILj256ELj13ELNS0_17block_load_methodE3ELS4_3ELS4_3ELNS0_20block_scan_algorithmE0ELj4294967295EEENS1_25partition_config_selectorILNS1_17partition_subalgoE3EjNS0_10empty_typeEbEEZZNS1_14partition_implILS8_3ELb0ES6_jNS0_17counting_iteratorIjlEEPS9_SE_NS0_5tupleIJPjSE_EEENSF_IJSE_SE_EEES9_SG_JZNS1_25segmented_radix_sort_implINS0_14default_configELb0EPKiPiPKlPlN2at6native12_GLOBAL__N_18offset_tEEE10hipError_tPvRmT1_PNSt15iterator_traitsISY_E10value_typeET2_T3_PNSZ_IS14_E10value_typeET4_jRbjT5_S1A_jjP12ihipStream_tbEUljE_EEESV_SW_SX_S14_S18_S1A_T6_T7_T9_mT8_S1C_bDpT10_ENKUlT_T0_E_clISt17integral_constantIbLb0EES1O_IbLb1EEEEDaS1K_S1L_EUlS1K_E_NS1_11comp_targetILNS1_3genE10ELNS1_11target_archE1200ELNS1_3gpuE4ELNS1_3repE0EEENS1_30default_config_static_selectorELNS0_4arch9wavefront6targetE0EEEvSY_.has_dyn_sized_stack, 0
	.set _ZN7rocprim17ROCPRIM_400000_NS6detail17trampoline_kernelINS0_13select_configILj256ELj13ELNS0_17block_load_methodE3ELS4_3ELS4_3ELNS0_20block_scan_algorithmE0ELj4294967295EEENS1_25partition_config_selectorILNS1_17partition_subalgoE3EjNS0_10empty_typeEbEEZZNS1_14partition_implILS8_3ELb0ES6_jNS0_17counting_iteratorIjlEEPS9_SE_NS0_5tupleIJPjSE_EEENSF_IJSE_SE_EEES9_SG_JZNS1_25segmented_radix_sort_implINS0_14default_configELb0EPKiPiPKlPlN2at6native12_GLOBAL__N_18offset_tEEE10hipError_tPvRmT1_PNSt15iterator_traitsISY_E10value_typeET2_T3_PNSZ_IS14_E10value_typeET4_jRbjT5_S1A_jjP12ihipStream_tbEUljE_EEESV_SW_SX_S14_S18_S1A_T6_T7_T9_mT8_S1C_bDpT10_ENKUlT_T0_E_clISt17integral_constantIbLb0EES1O_IbLb1EEEEDaS1K_S1L_EUlS1K_E_NS1_11comp_targetILNS1_3genE10ELNS1_11target_archE1200ELNS1_3gpuE4ELNS1_3repE0EEENS1_30default_config_static_selectorELNS0_4arch9wavefront6targetE0EEEvSY_.has_recursion, 0
	.set _ZN7rocprim17ROCPRIM_400000_NS6detail17trampoline_kernelINS0_13select_configILj256ELj13ELNS0_17block_load_methodE3ELS4_3ELS4_3ELNS0_20block_scan_algorithmE0ELj4294967295EEENS1_25partition_config_selectorILNS1_17partition_subalgoE3EjNS0_10empty_typeEbEEZZNS1_14partition_implILS8_3ELb0ES6_jNS0_17counting_iteratorIjlEEPS9_SE_NS0_5tupleIJPjSE_EEENSF_IJSE_SE_EEES9_SG_JZNS1_25segmented_radix_sort_implINS0_14default_configELb0EPKiPiPKlPlN2at6native12_GLOBAL__N_18offset_tEEE10hipError_tPvRmT1_PNSt15iterator_traitsISY_E10value_typeET2_T3_PNSZ_IS14_E10value_typeET4_jRbjT5_S1A_jjP12ihipStream_tbEUljE_EEESV_SW_SX_S14_S18_S1A_T6_T7_T9_mT8_S1C_bDpT10_ENKUlT_T0_E_clISt17integral_constantIbLb0EES1O_IbLb1EEEEDaS1K_S1L_EUlS1K_E_NS1_11comp_targetILNS1_3genE10ELNS1_11target_archE1200ELNS1_3gpuE4ELNS1_3repE0EEENS1_30default_config_static_selectorELNS0_4arch9wavefront6targetE0EEEvSY_.has_indirect_call, 0
	.section	.AMDGPU.csdata,"",@progbits
; Kernel info:
; codeLenInByte = 0
; TotalNumSgprs: 0
; NumVgprs: 0
; ScratchSize: 0
; MemoryBound: 0
; FloatMode: 240
; IeeeMode: 1
; LDSByteSize: 0 bytes/workgroup (compile time only)
; SGPRBlocks: 0
; VGPRBlocks: 0
; NumSGPRsForWavesPerEU: 1
; NumVGPRsForWavesPerEU: 1
; NamedBarCnt: 0
; Occupancy: 16
; WaveLimiterHint : 0
; COMPUTE_PGM_RSRC2:SCRATCH_EN: 0
; COMPUTE_PGM_RSRC2:USER_SGPR: 2
; COMPUTE_PGM_RSRC2:TRAP_HANDLER: 0
; COMPUTE_PGM_RSRC2:TGID_X_EN: 1
; COMPUTE_PGM_RSRC2:TGID_Y_EN: 0
; COMPUTE_PGM_RSRC2:TGID_Z_EN: 0
; COMPUTE_PGM_RSRC2:TIDIG_COMP_CNT: 0
	.section	.text._ZN7rocprim17ROCPRIM_400000_NS6detail17trampoline_kernelINS0_13select_configILj256ELj13ELNS0_17block_load_methodE3ELS4_3ELS4_3ELNS0_20block_scan_algorithmE0ELj4294967295EEENS1_25partition_config_selectorILNS1_17partition_subalgoE3EjNS0_10empty_typeEbEEZZNS1_14partition_implILS8_3ELb0ES6_jNS0_17counting_iteratorIjlEEPS9_SE_NS0_5tupleIJPjSE_EEENSF_IJSE_SE_EEES9_SG_JZNS1_25segmented_radix_sort_implINS0_14default_configELb0EPKiPiPKlPlN2at6native12_GLOBAL__N_18offset_tEEE10hipError_tPvRmT1_PNSt15iterator_traitsISY_E10value_typeET2_T3_PNSZ_IS14_E10value_typeET4_jRbjT5_S1A_jjP12ihipStream_tbEUljE_EEESV_SW_SX_S14_S18_S1A_T6_T7_T9_mT8_S1C_bDpT10_ENKUlT_T0_E_clISt17integral_constantIbLb0EES1O_IbLb1EEEEDaS1K_S1L_EUlS1K_E_NS1_11comp_targetILNS1_3genE9ELNS1_11target_archE1100ELNS1_3gpuE3ELNS1_3repE0EEENS1_30default_config_static_selectorELNS0_4arch9wavefront6targetE0EEEvSY_,"axG",@progbits,_ZN7rocprim17ROCPRIM_400000_NS6detail17trampoline_kernelINS0_13select_configILj256ELj13ELNS0_17block_load_methodE3ELS4_3ELS4_3ELNS0_20block_scan_algorithmE0ELj4294967295EEENS1_25partition_config_selectorILNS1_17partition_subalgoE3EjNS0_10empty_typeEbEEZZNS1_14partition_implILS8_3ELb0ES6_jNS0_17counting_iteratorIjlEEPS9_SE_NS0_5tupleIJPjSE_EEENSF_IJSE_SE_EEES9_SG_JZNS1_25segmented_radix_sort_implINS0_14default_configELb0EPKiPiPKlPlN2at6native12_GLOBAL__N_18offset_tEEE10hipError_tPvRmT1_PNSt15iterator_traitsISY_E10value_typeET2_T3_PNSZ_IS14_E10value_typeET4_jRbjT5_S1A_jjP12ihipStream_tbEUljE_EEESV_SW_SX_S14_S18_S1A_T6_T7_T9_mT8_S1C_bDpT10_ENKUlT_T0_E_clISt17integral_constantIbLb0EES1O_IbLb1EEEEDaS1K_S1L_EUlS1K_E_NS1_11comp_targetILNS1_3genE9ELNS1_11target_archE1100ELNS1_3gpuE3ELNS1_3repE0EEENS1_30default_config_static_selectorELNS0_4arch9wavefront6targetE0EEEvSY_,comdat
	.globl	_ZN7rocprim17ROCPRIM_400000_NS6detail17trampoline_kernelINS0_13select_configILj256ELj13ELNS0_17block_load_methodE3ELS4_3ELS4_3ELNS0_20block_scan_algorithmE0ELj4294967295EEENS1_25partition_config_selectorILNS1_17partition_subalgoE3EjNS0_10empty_typeEbEEZZNS1_14partition_implILS8_3ELb0ES6_jNS0_17counting_iteratorIjlEEPS9_SE_NS0_5tupleIJPjSE_EEENSF_IJSE_SE_EEES9_SG_JZNS1_25segmented_radix_sort_implINS0_14default_configELb0EPKiPiPKlPlN2at6native12_GLOBAL__N_18offset_tEEE10hipError_tPvRmT1_PNSt15iterator_traitsISY_E10value_typeET2_T3_PNSZ_IS14_E10value_typeET4_jRbjT5_S1A_jjP12ihipStream_tbEUljE_EEESV_SW_SX_S14_S18_S1A_T6_T7_T9_mT8_S1C_bDpT10_ENKUlT_T0_E_clISt17integral_constantIbLb0EES1O_IbLb1EEEEDaS1K_S1L_EUlS1K_E_NS1_11comp_targetILNS1_3genE9ELNS1_11target_archE1100ELNS1_3gpuE3ELNS1_3repE0EEENS1_30default_config_static_selectorELNS0_4arch9wavefront6targetE0EEEvSY_ ; -- Begin function _ZN7rocprim17ROCPRIM_400000_NS6detail17trampoline_kernelINS0_13select_configILj256ELj13ELNS0_17block_load_methodE3ELS4_3ELS4_3ELNS0_20block_scan_algorithmE0ELj4294967295EEENS1_25partition_config_selectorILNS1_17partition_subalgoE3EjNS0_10empty_typeEbEEZZNS1_14partition_implILS8_3ELb0ES6_jNS0_17counting_iteratorIjlEEPS9_SE_NS0_5tupleIJPjSE_EEENSF_IJSE_SE_EEES9_SG_JZNS1_25segmented_radix_sort_implINS0_14default_configELb0EPKiPiPKlPlN2at6native12_GLOBAL__N_18offset_tEEE10hipError_tPvRmT1_PNSt15iterator_traitsISY_E10value_typeET2_T3_PNSZ_IS14_E10value_typeET4_jRbjT5_S1A_jjP12ihipStream_tbEUljE_EEESV_SW_SX_S14_S18_S1A_T6_T7_T9_mT8_S1C_bDpT10_ENKUlT_T0_E_clISt17integral_constantIbLb0EES1O_IbLb1EEEEDaS1K_S1L_EUlS1K_E_NS1_11comp_targetILNS1_3genE9ELNS1_11target_archE1100ELNS1_3gpuE3ELNS1_3repE0EEENS1_30default_config_static_selectorELNS0_4arch9wavefront6targetE0EEEvSY_
	.p2align	8
	.type	_ZN7rocprim17ROCPRIM_400000_NS6detail17trampoline_kernelINS0_13select_configILj256ELj13ELNS0_17block_load_methodE3ELS4_3ELS4_3ELNS0_20block_scan_algorithmE0ELj4294967295EEENS1_25partition_config_selectorILNS1_17partition_subalgoE3EjNS0_10empty_typeEbEEZZNS1_14partition_implILS8_3ELb0ES6_jNS0_17counting_iteratorIjlEEPS9_SE_NS0_5tupleIJPjSE_EEENSF_IJSE_SE_EEES9_SG_JZNS1_25segmented_radix_sort_implINS0_14default_configELb0EPKiPiPKlPlN2at6native12_GLOBAL__N_18offset_tEEE10hipError_tPvRmT1_PNSt15iterator_traitsISY_E10value_typeET2_T3_PNSZ_IS14_E10value_typeET4_jRbjT5_S1A_jjP12ihipStream_tbEUljE_EEESV_SW_SX_S14_S18_S1A_T6_T7_T9_mT8_S1C_bDpT10_ENKUlT_T0_E_clISt17integral_constantIbLb0EES1O_IbLb1EEEEDaS1K_S1L_EUlS1K_E_NS1_11comp_targetILNS1_3genE9ELNS1_11target_archE1100ELNS1_3gpuE3ELNS1_3repE0EEENS1_30default_config_static_selectorELNS0_4arch9wavefront6targetE0EEEvSY_,@function
_ZN7rocprim17ROCPRIM_400000_NS6detail17trampoline_kernelINS0_13select_configILj256ELj13ELNS0_17block_load_methodE3ELS4_3ELS4_3ELNS0_20block_scan_algorithmE0ELj4294967295EEENS1_25partition_config_selectorILNS1_17partition_subalgoE3EjNS0_10empty_typeEbEEZZNS1_14partition_implILS8_3ELb0ES6_jNS0_17counting_iteratorIjlEEPS9_SE_NS0_5tupleIJPjSE_EEENSF_IJSE_SE_EEES9_SG_JZNS1_25segmented_radix_sort_implINS0_14default_configELb0EPKiPiPKlPlN2at6native12_GLOBAL__N_18offset_tEEE10hipError_tPvRmT1_PNSt15iterator_traitsISY_E10value_typeET2_T3_PNSZ_IS14_E10value_typeET4_jRbjT5_S1A_jjP12ihipStream_tbEUljE_EEESV_SW_SX_S14_S18_S1A_T6_T7_T9_mT8_S1C_bDpT10_ENKUlT_T0_E_clISt17integral_constantIbLb0EES1O_IbLb1EEEEDaS1K_S1L_EUlS1K_E_NS1_11comp_targetILNS1_3genE9ELNS1_11target_archE1100ELNS1_3gpuE3ELNS1_3repE0EEENS1_30default_config_static_selectorELNS0_4arch9wavefront6targetE0EEEvSY_: ; @_ZN7rocprim17ROCPRIM_400000_NS6detail17trampoline_kernelINS0_13select_configILj256ELj13ELNS0_17block_load_methodE3ELS4_3ELS4_3ELNS0_20block_scan_algorithmE0ELj4294967295EEENS1_25partition_config_selectorILNS1_17partition_subalgoE3EjNS0_10empty_typeEbEEZZNS1_14partition_implILS8_3ELb0ES6_jNS0_17counting_iteratorIjlEEPS9_SE_NS0_5tupleIJPjSE_EEENSF_IJSE_SE_EEES9_SG_JZNS1_25segmented_radix_sort_implINS0_14default_configELb0EPKiPiPKlPlN2at6native12_GLOBAL__N_18offset_tEEE10hipError_tPvRmT1_PNSt15iterator_traitsISY_E10value_typeET2_T3_PNSZ_IS14_E10value_typeET4_jRbjT5_S1A_jjP12ihipStream_tbEUljE_EEESV_SW_SX_S14_S18_S1A_T6_T7_T9_mT8_S1C_bDpT10_ENKUlT_T0_E_clISt17integral_constantIbLb0EES1O_IbLb1EEEEDaS1K_S1L_EUlS1K_E_NS1_11comp_targetILNS1_3genE9ELNS1_11target_archE1100ELNS1_3gpuE3ELNS1_3repE0EEENS1_30default_config_static_selectorELNS0_4arch9wavefront6targetE0EEEvSY_
; %bb.0:
	.section	.rodata,"a",@progbits
	.p2align	6, 0x0
	.amdhsa_kernel _ZN7rocprim17ROCPRIM_400000_NS6detail17trampoline_kernelINS0_13select_configILj256ELj13ELNS0_17block_load_methodE3ELS4_3ELS4_3ELNS0_20block_scan_algorithmE0ELj4294967295EEENS1_25partition_config_selectorILNS1_17partition_subalgoE3EjNS0_10empty_typeEbEEZZNS1_14partition_implILS8_3ELb0ES6_jNS0_17counting_iteratorIjlEEPS9_SE_NS0_5tupleIJPjSE_EEENSF_IJSE_SE_EEES9_SG_JZNS1_25segmented_radix_sort_implINS0_14default_configELb0EPKiPiPKlPlN2at6native12_GLOBAL__N_18offset_tEEE10hipError_tPvRmT1_PNSt15iterator_traitsISY_E10value_typeET2_T3_PNSZ_IS14_E10value_typeET4_jRbjT5_S1A_jjP12ihipStream_tbEUljE_EEESV_SW_SX_S14_S18_S1A_T6_T7_T9_mT8_S1C_bDpT10_ENKUlT_T0_E_clISt17integral_constantIbLb0EES1O_IbLb1EEEEDaS1K_S1L_EUlS1K_E_NS1_11comp_targetILNS1_3genE9ELNS1_11target_archE1100ELNS1_3gpuE3ELNS1_3repE0EEENS1_30default_config_static_selectorELNS0_4arch9wavefront6targetE0EEEvSY_
		.amdhsa_group_segment_fixed_size 0
		.amdhsa_private_segment_fixed_size 0
		.amdhsa_kernarg_size 152
		.amdhsa_user_sgpr_count 2
		.amdhsa_user_sgpr_dispatch_ptr 0
		.amdhsa_user_sgpr_queue_ptr 0
		.amdhsa_user_sgpr_kernarg_segment_ptr 1
		.amdhsa_user_sgpr_dispatch_id 0
		.amdhsa_user_sgpr_kernarg_preload_length 0
		.amdhsa_user_sgpr_kernarg_preload_offset 0
		.amdhsa_user_sgpr_private_segment_size 0
		.amdhsa_wavefront_size32 1
		.amdhsa_uses_dynamic_stack 0
		.amdhsa_enable_private_segment 0
		.amdhsa_system_sgpr_workgroup_id_x 1
		.amdhsa_system_sgpr_workgroup_id_y 0
		.amdhsa_system_sgpr_workgroup_id_z 0
		.amdhsa_system_sgpr_workgroup_info 0
		.amdhsa_system_vgpr_workitem_id 0
		.amdhsa_next_free_vgpr 1
		.amdhsa_next_free_sgpr 1
		.amdhsa_named_barrier_count 0
		.amdhsa_reserve_vcc 0
		.amdhsa_float_round_mode_32 0
		.amdhsa_float_round_mode_16_64 0
		.amdhsa_float_denorm_mode_32 3
		.amdhsa_float_denorm_mode_16_64 3
		.amdhsa_fp16_overflow 0
		.amdhsa_memory_ordered 1
		.amdhsa_forward_progress 1
		.amdhsa_inst_pref_size 0
		.amdhsa_round_robin_scheduling 0
		.amdhsa_exception_fp_ieee_invalid_op 0
		.amdhsa_exception_fp_denorm_src 0
		.amdhsa_exception_fp_ieee_div_zero 0
		.amdhsa_exception_fp_ieee_overflow 0
		.amdhsa_exception_fp_ieee_underflow 0
		.amdhsa_exception_fp_ieee_inexact 0
		.amdhsa_exception_int_div_zero 0
	.end_amdhsa_kernel
	.section	.text._ZN7rocprim17ROCPRIM_400000_NS6detail17trampoline_kernelINS0_13select_configILj256ELj13ELNS0_17block_load_methodE3ELS4_3ELS4_3ELNS0_20block_scan_algorithmE0ELj4294967295EEENS1_25partition_config_selectorILNS1_17partition_subalgoE3EjNS0_10empty_typeEbEEZZNS1_14partition_implILS8_3ELb0ES6_jNS0_17counting_iteratorIjlEEPS9_SE_NS0_5tupleIJPjSE_EEENSF_IJSE_SE_EEES9_SG_JZNS1_25segmented_radix_sort_implINS0_14default_configELb0EPKiPiPKlPlN2at6native12_GLOBAL__N_18offset_tEEE10hipError_tPvRmT1_PNSt15iterator_traitsISY_E10value_typeET2_T3_PNSZ_IS14_E10value_typeET4_jRbjT5_S1A_jjP12ihipStream_tbEUljE_EEESV_SW_SX_S14_S18_S1A_T6_T7_T9_mT8_S1C_bDpT10_ENKUlT_T0_E_clISt17integral_constantIbLb0EES1O_IbLb1EEEEDaS1K_S1L_EUlS1K_E_NS1_11comp_targetILNS1_3genE9ELNS1_11target_archE1100ELNS1_3gpuE3ELNS1_3repE0EEENS1_30default_config_static_selectorELNS0_4arch9wavefront6targetE0EEEvSY_,"axG",@progbits,_ZN7rocprim17ROCPRIM_400000_NS6detail17trampoline_kernelINS0_13select_configILj256ELj13ELNS0_17block_load_methodE3ELS4_3ELS4_3ELNS0_20block_scan_algorithmE0ELj4294967295EEENS1_25partition_config_selectorILNS1_17partition_subalgoE3EjNS0_10empty_typeEbEEZZNS1_14partition_implILS8_3ELb0ES6_jNS0_17counting_iteratorIjlEEPS9_SE_NS0_5tupleIJPjSE_EEENSF_IJSE_SE_EEES9_SG_JZNS1_25segmented_radix_sort_implINS0_14default_configELb0EPKiPiPKlPlN2at6native12_GLOBAL__N_18offset_tEEE10hipError_tPvRmT1_PNSt15iterator_traitsISY_E10value_typeET2_T3_PNSZ_IS14_E10value_typeET4_jRbjT5_S1A_jjP12ihipStream_tbEUljE_EEESV_SW_SX_S14_S18_S1A_T6_T7_T9_mT8_S1C_bDpT10_ENKUlT_T0_E_clISt17integral_constantIbLb0EES1O_IbLb1EEEEDaS1K_S1L_EUlS1K_E_NS1_11comp_targetILNS1_3genE9ELNS1_11target_archE1100ELNS1_3gpuE3ELNS1_3repE0EEENS1_30default_config_static_selectorELNS0_4arch9wavefront6targetE0EEEvSY_,comdat
.Lfunc_end594:
	.size	_ZN7rocprim17ROCPRIM_400000_NS6detail17trampoline_kernelINS0_13select_configILj256ELj13ELNS0_17block_load_methodE3ELS4_3ELS4_3ELNS0_20block_scan_algorithmE0ELj4294967295EEENS1_25partition_config_selectorILNS1_17partition_subalgoE3EjNS0_10empty_typeEbEEZZNS1_14partition_implILS8_3ELb0ES6_jNS0_17counting_iteratorIjlEEPS9_SE_NS0_5tupleIJPjSE_EEENSF_IJSE_SE_EEES9_SG_JZNS1_25segmented_radix_sort_implINS0_14default_configELb0EPKiPiPKlPlN2at6native12_GLOBAL__N_18offset_tEEE10hipError_tPvRmT1_PNSt15iterator_traitsISY_E10value_typeET2_T3_PNSZ_IS14_E10value_typeET4_jRbjT5_S1A_jjP12ihipStream_tbEUljE_EEESV_SW_SX_S14_S18_S1A_T6_T7_T9_mT8_S1C_bDpT10_ENKUlT_T0_E_clISt17integral_constantIbLb0EES1O_IbLb1EEEEDaS1K_S1L_EUlS1K_E_NS1_11comp_targetILNS1_3genE9ELNS1_11target_archE1100ELNS1_3gpuE3ELNS1_3repE0EEENS1_30default_config_static_selectorELNS0_4arch9wavefront6targetE0EEEvSY_, .Lfunc_end594-_ZN7rocprim17ROCPRIM_400000_NS6detail17trampoline_kernelINS0_13select_configILj256ELj13ELNS0_17block_load_methodE3ELS4_3ELS4_3ELNS0_20block_scan_algorithmE0ELj4294967295EEENS1_25partition_config_selectorILNS1_17partition_subalgoE3EjNS0_10empty_typeEbEEZZNS1_14partition_implILS8_3ELb0ES6_jNS0_17counting_iteratorIjlEEPS9_SE_NS0_5tupleIJPjSE_EEENSF_IJSE_SE_EEES9_SG_JZNS1_25segmented_radix_sort_implINS0_14default_configELb0EPKiPiPKlPlN2at6native12_GLOBAL__N_18offset_tEEE10hipError_tPvRmT1_PNSt15iterator_traitsISY_E10value_typeET2_T3_PNSZ_IS14_E10value_typeET4_jRbjT5_S1A_jjP12ihipStream_tbEUljE_EEESV_SW_SX_S14_S18_S1A_T6_T7_T9_mT8_S1C_bDpT10_ENKUlT_T0_E_clISt17integral_constantIbLb0EES1O_IbLb1EEEEDaS1K_S1L_EUlS1K_E_NS1_11comp_targetILNS1_3genE9ELNS1_11target_archE1100ELNS1_3gpuE3ELNS1_3repE0EEENS1_30default_config_static_selectorELNS0_4arch9wavefront6targetE0EEEvSY_
                                        ; -- End function
	.set _ZN7rocprim17ROCPRIM_400000_NS6detail17trampoline_kernelINS0_13select_configILj256ELj13ELNS0_17block_load_methodE3ELS4_3ELS4_3ELNS0_20block_scan_algorithmE0ELj4294967295EEENS1_25partition_config_selectorILNS1_17partition_subalgoE3EjNS0_10empty_typeEbEEZZNS1_14partition_implILS8_3ELb0ES6_jNS0_17counting_iteratorIjlEEPS9_SE_NS0_5tupleIJPjSE_EEENSF_IJSE_SE_EEES9_SG_JZNS1_25segmented_radix_sort_implINS0_14default_configELb0EPKiPiPKlPlN2at6native12_GLOBAL__N_18offset_tEEE10hipError_tPvRmT1_PNSt15iterator_traitsISY_E10value_typeET2_T3_PNSZ_IS14_E10value_typeET4_jRbjT5_S1A_jjP12ihipStream_tbEUljE_EEESV_SW_SX_S14_S18_S1A_T6_T7_T9_mT8_S1C_bDpT10_ENKUlT_T0_E_clISt17integral_constantIbLb0EES1O_IbLb1EEEEDaS1K_S1L_EUlS1K_E_NS1_11comp_targetILNS1_3genE9ELNS1_11target_archE1100ELNS1_3gpuE3ELNS1_3repE0EEENS1_30default_config_static_selectorELNS0_4arch9wavefront6targetE0EEEvSY_.num_vgpr, 0
	.set _ZN7rocprim17ROCPRIM_400000_NS6detail17trampoline_kernelINS0_13select_configILj256ELj13ELNS0_17block_load_methodE3ELS4_3ELS4_3ELNS0_20block_scan_algorithmE0ELj4294967295EEENS1_25partition_config_selectorILNS1_17partition_subalgoE3EjNS0_10empty_typeEbEEZZNS1_14partition_implILS8_3ELb0ES6_jNS0_17counting_iteratorIjlEEPS9_SE_NS0_5tupleIJPjSE_EEENSF_IJSE_SE_EEES9_SG_JZNS1_25segmented_radix_sort_implINS0_14default_configELb0EPKiPiPKlPlN2at6native12_GLOBAL__N_18offset_tEEE10hipError_tPvRmT1_PNSt15iterator_traitsISY_E10value_typeET2_T3_PNSZ_IS14_E10value_typeET4_jRbjT5_S1A_jjP12ihipStream_tbEUljE_EEESV_SW_SX_S14_S18_S1A_T6_T7_T9_mT8_S1C_bDpT10_ENKUlT_T0_E_clISt17integral_constantIbLb0EES1O_IbLb1EEEEDaS1K_S1L_EUlS1K_E_NS1_11comp_targetILNS1_3genE9ELNS1_11target_archE1100ELNS1_3gpuE3ELNS1_3repE0EEENS1_30default_config_static_selectorELNS0_4arch9wavefront6targetE0EEEvSY_.num_agpr, 0
	.set _ZN7rocprim17ROCPRIM_400000_NS6detail17trampoline_kernelINS0_13select_configILj256ELj13ELNS0_17block_load_methodE3ELS4_3ELS4_3ELNS0_20block_scan_algorithmE0ELj4294967295EEENS1_25partition_config_selectorILNS1_17partition_subalgoE3EjNS0_10empty_typeEbEEZZNS1_14partition_implILS8_3ELb0ES6_jNS0_17counting_iteratorIjlEEPS9_SE_NS0_5tupleIJPjSE_EEENSF_IJSE_SE_EEES9_SG_JZNS1_25segmented_radix_sort_implINS0_14default_configELb0EPKiPiPKlPlN2at6native12_GLOBAL__N_18offset_tEEE10hipError_tPvRmT1_PNSt15iterator_traitsISY_E10value_typeET2_T3_PNSZ_IS14_E10value_typeET4_jRbjT5_S1A_jjP12ihipStream_tbEUljE_EEESV_SW_SX_S14_S18_S1A_T6_T7_T9_mT8_S1C_bDpT10_ENKUlT_T0_E_clISt17integral_constantIbLb0EES1O_IbLb1EEEEDaS1K_S1L_EUlS1K_E_NS1_11comp_targetILNS1_3genE9ELNS1_11target_archE1100ELNS1_3gpuE3ELNS1_3repE0EEENS1_30default_config_static_selectorELNS0_4arch9wavefront6targetE0EEEvSY_.numbered_sgpr, 0
	.set _ZN7rocprim17ROCPRIM_400000_NS6detail17trampoline_kernelINS0_13select_configILj256ELj13ELNS0_17block_load_methodE3ELS4_3ELS4_3ELNS0_20block_scan_algorithmE0ELj4294967295EEENS1_25partition_config_selectorILNS1_17partition_subalgoE3EjNS0_10empty_typeEbEEZZNS1_14partition_implILS8_3ELb0ES6_jNS0_17counting_iteratorIjlEEPS9_SE_NS0_5tupleIJPjSE_EEENSF_IJSE_SE_EEES9_SG_JZNS1_25segmented_radix_sort_implINS0_14default_configELb0EPKiPiPKlPlN2at6native12_GLOBAL__N_18offset_tEEE10hipError_tPvRmT1_PNSt15iterator_traitsISY_E10value_typeET2_T3_PNSZ_IS14_E10value_typeET4_jRbjT5_S1A_jjP12ihipStream_tbEUljE_EEESV_SW_SX_S14_S18_S1A_T6_T7_T9_mT8_S1C_bDpT10_ENKUlT_T0_E_clISt17integral_constantIbLb0EES1O_IbLb1EEEEDaS1K_S1L_EUlS1K_E_NS1_11comp_targetILNS1_3genE9ELNS1_11target_archE1100ELNS1_3gpuE3ELNS1_3repE0EEENS1_30default_config_static_selectorELNS0_4arch9wavefront6targetE0EEEvSY_.num_named_barrier, 0
	.set _ZN7rocprim17ROCPRIM_400000_NS6detail17trampoline_kernelINS0_13select_configILj256ELj13ELNS0_17block_load_methodE3ELS4_3ELS4_3ELNS0_20block_scan_algorithmE0ELj4294967295EEENS1_25partition_config_selectorILNS1_17partition_subalgoE3EjNS0_10empty_typeEbEEZZNS1_14partition_implILS8_3ELb0ES6_jNS0_17counting_iteratorIjlEEPS9_SE_NS0_5tupleIJPjSE_EEENSF_IJSE_SE_EEES9_SG_JZNS1_25segmented_radix_sort_implINS0_14default_configELb0EPKiPiPKlPlN2at6native12_GLOBAL__N_18offset_tEEE10hipError_tPvRmT1_PNSt15iterator_traitsISY_E10value_typeET2_T3_PNSZ_IS14_E10value_typeET4_jRbjT5_S1A_jjP12ihipStream_tbEUljE_EEESV_SW_SX_S14_S18_S1A_T6_T7_T9_mT8_S1C_bDpT10_ENKUlT_T0_E_clISt17integral_constantIbLb0EES1O_IbLb1EEEEDaS1K_S1L_EUlS1K_E_NS1_11comp_targetILNS1_3genE9ELNS1_11target_archE1100ELNS1_3gpuE3ELNS1_3repE0EEENS1_30default_config_static_selectorELNS0_4arch9wavefront6targetE0EEEvSY_.private_seg_size, 0
	.set _ZN7rocprim17ROCPRIM_400000_NS6detail17trampoline_kernelINS0_13select_configILj256ELj13ELNS0_17block_load_methodE3ELS4_3ELS4_3ELNS0_20block_scan_algorithmE0ELj4294967295EEENS1_25partition_config_selectorILNS1_17partition_subalgoE3EjNS0_10empty_typeEbEEZZNS1_14partition_implILS8_3ELb0ES6_jNS0_17counting_iteratorIjlEEPS9_SE_NS0_5tupleIJPjSE_EEENSF_IJSE_SE_EEES9_SG_JZNS1_25segmented_radix_sort_implINS0_14default_configELb0EPKiPiPKlPlN2at6native12_GLOBAL__N_18offset_tEEE10hipError_tPvRmT1_PNSt15iterator_traitsISY_E10value_typeET2_T3_PNSZ_IS14_E10value_typeET4_jRbjT5_S1A_jjP12ihipStream_tbEUljE_EEESV_SW_SX_S14_S18_S1A_T6_T7_T9_mT8_S1C_bDpT10_ENKUlT_T0_E_clISt17integral_constantIbLb0EES1O_IbLb1EEEEDaS1K_S1L_EUlS1K_E_NS1_11comp_targetILNS1_3genE9ELNS1_11target_archE1100ELNS1_3gpuE3ELNS1_3repE0EEENS1_30default_config_static_selectorELNS0_4arch9wavefront6targetE0EEEvSY_.uses_vcc, 0
	.set _ZN7rocprim17ROCPRIM_400000_NS6detail17trampoline_kernelINS0_13select_configILj256ELj13ELNS0_17block_load_methodE3ELS4_3ELS4_3ELNS0_20block_scan_algorithmE0ELj4294967295EEENS1_25partition_config_selectorILNS1_17partition_subalgoE3EjNS0_10empty_typeEbEEZZNS1_14partition_implILS8_3ELb0ES6_jNS0_17counting_iteratorIjlEEPS9_SE_NS0_5tupleIJPjSE_EEENSF_IJSE_SE_EEES9_SG_JZNS1_25segmented_radix_sort_implINS0_14default_configELb0EPKiPiPKlPlN2at6native12_GLOBAL__N_18offset_tEEE10hipError_tPvRmT1_PNSt15iterator_traitsISY_E10value_typeET2_T3_PNSZ_IS14_E10value_typeET4_jRbjT5_S1A_jjP12ihipStream_tbEUljE_EEESV_SW_SX_S14_S18_S1A_T6_T7_T9_mT8_S1C_bDpT10_ENKUlT_T0_E_clISt17integral_constantIbLb0EES1O_IbLb1EEEEDaS1K_S1L_EUlS1K_E_NS1_11comp_targetILNS1_3genE9ELNS1_11target_archE1100ELNS1_3gpuE3ELNS1_3repE0EEENS1_30default_config_static_selectorELNS0_4arch9wavefront6targetE0EEEvSY_.uses_flat_scratch, 0
	.set _ZN7rocprim17ROCPRIM_400000_NS6detail17trampoline_kernelINS0_13select_configILj256ELj13ELNS0_17block_load_methodE3ELS4_3ELS4_3ELNS0_20block_scan_algorithmE0ELj4294967295EEENS1_25partition_config_selectorILNS1_17partition_subalgoE3EjNS0_10empty_typeEbEEZZNS1_14partition_implILS8_3ELb0ES6_jNS0_17counting_iteratorIjlEEPS9_SE_NS0_5tupleIJPjSE_EEENSF_IJSE_SE_EEES9_SG_JZNS1_25segmented_radix_sort_implINS0_14default_configELb0EPKiPiPKlPlN2at6native12_GLOBAL__N_18offset_tEEE10hipError_tPvRmT1_PNSt15iterator_traitsISY_E10value_typeET2_T3_PNSZ_IS14_E10value_typeET4_jRbjT5_S1A_jjP12ihipStream_tbEUljE_EEESV_SW_SX_S14_S18_S1A_T6_T7_T9_mT8_S1C_bDpT10_ENKUlT_T0_E_clISt17integral_constantIbLb0EES1O_IbLb1EEEEDaS1K_S1L_EUlS1K_E_NS1_11comp_targetILNS1_3genE9ELNS1_11target_archE1100ELNS1_3gpuE3ELNS1_3repE0EEENS1_30default_config_static_selectorELNS0_4arch9wavefront6targetE0EEEvSY_.has_dyn_sized_stack, 0
	.set _ZN7rocprim17ROCPRIM_400000_NS6detail17trampoline_kernelINS0_13select_configILj256ELj13ELNS0_17block_load_methodE3ELS4_3ELS4_3ELNS0_20block_scan_algorithmE0ELj4294967295EEENS1_25partition_config_selectorILNS1_17partition_subalgoE3EjNS0_10empty_typeEbEEZZNS1_14partition_implILS8_3ELb0ES6_jNS0_17counting_iteratorIjlEEPS9_SE_NS0_5tupleIJPjSE_EEENSF_IJSE_SE_EEES9_SG_JZNS1_25segmented_radix_sort_implINS0_14default_configELb0EPKiPiPKlPlN2at6native12_GLOBAL__N_18offset_tEEE10hipError_tPvRmT1_PNSt15iterator_traitsISY_E10value_typeET2_T3_PNSZ_IS14_E10value_typeET4_jRbjT5_S1A_jjP12ihipStream_tbEUljE_EEESV_SW_SX_S14_S18_S1A_T6_T7_T9_mT8_S1C_bDpT10_ENKUlT_T0_E_clISt17integral_constantIbLb0EES1O_IbLb1EEEEDaS1K_S1L_EUlS1K_E_NS1_11comp_targetILNS1_3genE9ELNS1_11target_archE1100ELNS1_3gpuE3ELNS1_3repE0EEENS1_30default_config_static_selectorELNS0_4arch9wavefront6targetE0EEEvSY_.has_recursion, 0
	.set _ZN7rocprim17ROCPRIM_400000_NS6detail17trampoline_kernelINS0_13select_configILj256ELj13ELNS0_17block_load_methodE3ELS4_3ELS4_3ELNS0_20block_scan_algorithmE0ELj4294967295EEENS1_25partition_config_selectorILNS1_17partition_subalgoE3EjNS0_10empty_typeEbEEZZNS1_14partition_implILS8_3ELb0ES6_jNS0_17counting_iteratorIjlEEPS9_SE_NS0_5tupleIJPjSE_EEENSF_IJSE_SE_EEES9_SG_JZNS1_25segmented_radix_sort_implINS0_14default_configELb0EPKiPiPKlPlN2at6native12_GLOBAL__N_18offset_tEEE10hipError_tPvRmT1_PNSt15iterator_traitsISY_E10value_typeET2_T3_PNSZ_IS14_E10value_typeET4_jRbjT5_S1A_jjP12ihipStream_tbEUljE_EEESV_SW_SX_S14_S18_S1A_T6_T7_T9_mT8_S1C_bDpT10_ENKUlT_T0_E_clISt17integral_constantIbLb0EES1O_IbLb1EEEEDaS1K_S1L_EUlS1K_E_NS1_11comp_targetILNS1_3genE9ELNS1_11target_archE1100ELNS1_3gpuE3ELNS1_3repE0EEENS1_30default_config_static_selectorELNS0_4arch9wavefront6targetE0EEEvSY_.has_indirect_call, 0
	.section	.AMDGPU.csdata,"",@progbits
; Kernel info:
; codeLenInByte = 0
; TotalNumSgprs: 0
; NumVgprs: 0
; ScratchSize: 0
; MemoryBound: 0
; FloatMode: 240
; IeeeMode: 1
; LDSByteSize: 0 bytes/workgroup (compile time only)
; SGPRBlocks: 0
; VGPRBlocks: 0
; NumSGPRsForWavesPerEU: 1
; NumVGPRsForWavesPerEU: 1
; NamedBarCnt: 0
; Occupancy: 16
; WaveLimiterHint : 0
; COMPUTE_PGM_RSRC2:SCRATCH_EN: 0
; COMPUTE_PGM_RSRC2:USER_SGPR: 2
; COMPUTE_PGM_RSRC2:TRAP_HANDLER: 0
; COMPUTE_PGM_RSRC2:TGID_X_EN: 1
; COMPUTE_PGM_RSRC2:TGID_Y_EN: 0
; COMPUTE_PGM_RSRC2:TGID_Z_EN: 0
; COMPUTE_PGM_RSRC2:TIDIG_COMP_CNT: 0
	.section	.text._ZN7rocprim17ROCPRIM_400000_NS6detail17trampoline_kernelINS0_13select_configILj256ELj13ELNS0_17block_load_methodE3ELS4_3ELS4_3ELNS0_20block_scan_algorithmE0ELj4294967295EEENS1_25partition_config_selectorILNS1_17partition_subalgoE3EjNS0_10empty_typeEbEEZZNS1_14partition_implILS8_3ELb0ES6_jNS0_17counting_iteratorIjlEEPS9_SE_NS0_5tupleIJPjSE_EEENSF_IJSE_SE_EEES9_SG_JZNS1_25segmented_radix_sort_implINS0_14default_configELb0EPKiPiPKlPlN2at6native12_GLOBAL__N_18offset_tEEE10hipError_tPvRmT1_PNSt15iterator_traitsISY_E10value_typeET2_T3_PNSZ_IS14_E10value_typeET4_jRbjT5_S1A_jjP12ihipStream_tbEUljE_EEESV_SW_SX_S14_S18_S1A_T6_T7_T9_mT8_S1C_bDpT10_ENKUlT_T0_E_clISt17integral_constantIbLb0EES1O_IbLb1EEEEDaS1K_S1L_EUlS1K_E_NS1_11comp_targetILNS1_3genE8ELNS1_11target_archE1030ELNS1_3gpuE2ELNS1_3repE0EEENS1_30default_config_static_selectorELNS0_4arch9wavefront6targetE0EEEvSY_,"axG",@progbits,_ZN7rocprim17ROCPRIM_400000_NS6detail17trampoline_kernelINS0_13select_configILj256ELj13ELNS0_17block_load_methodE3ELS4_3ELS4_3ELNS0_20block_scan_algorithmE0ELj4294967295EEENS1_25partition_config_selectorILNS1_17partition_subalgoE3EjNS0_10empty_typeEbEEZZNS1_14partition_implILS8_3ELb0ES6_jNS0_17counting_iteratorIjlEEPS9_SE_NS0_5tupleIJPjSE_EEENSF_IJSE_SE_EEES9_SG_JZNS1_25segmented_radix_sort_implINS0_14default_configELb0EPKiPiPKlPlN2at6native12_GLOBAL__N_18offset_tEEE10hipError_tPvRmT1_PNSt15iterator_traitsISY_E10value_typeET2_T3_PNSZ_IS14_E10value_typeET4_jRbjT5_S1A_jjP12ihipStream_tbEUljE_EEESV_SW_SX_S14_S18_S1A_T6_T7_T9_mT8_S1C_bDpT10_ENKUlT_T0_E_clISt17integral_constantIbLb0EES1O_IbLb1EEEEDaS1K_S1L_EUlS1K_E_NS1_11comp_targetILNS1_3genE8ELNS1_11target_archE1030ELNS1_3gpuE2ELNS1_3repE0EEENS1_30default_config_static_selectorELNS0_4arch9wavefront6targetE0EEEvSY_,comdat
	.globl	_ZN7rocprim17ROCPRIM_400000_NS6detail17trampoline_kernelINS0_13select_configILj256ELj13ELNS0_17block_load_methodE3ELS4_3ELS4_3ELNS0_20block_scan_algorithmE0ELj4294967295EEENS1_25partition_config_selectorILNS1_17partition_subalgoE3EjNS0_10empty_typeEbEEZZNS1_14partition_implILS8_3ELb0ES6_jNS0_17counting_iteratorIjlEEPS9_SE_NS0_5tupleIJPjSE_EEENSF_IJSE_SE_EEES9_SG_JZNS1_25segmented_radix_sort_implINS0_14default_configELb0EPKiPiPKlPlN2at6native12_GLOBAL__N_18offset_tEEE10hipError_tPvRmT1_PNSt15iterator_traitsISY_E10value_typeET2_T3_PNSZ_IS14_E10value_typeET4_jRbjT5_S1A_jjP12ihipStream_tbEUljE_EEESV_SW_SX_S14_S18_S1A_T6_T7_T9_mT8_S1C_bDpT10_ENKUlT_T0_E_clISt17integral_constantIbLb0EES1O_IbLb1EEEEDaS1K_S1L_EUlS1K_E_NS1_11comp_targetILNS1_3genE8ELNS1_11target_archE1030ELNS1_3gpuE2ELNS1_3repE0EEENS1_30default_config_static_selectorELNS0_4arch9wavefront6targetE0EEEvSY_ ; -- Begin function _ZN7rocprim17ROCPRIM_400000_NS6detail17trampoline_kernelINS0_13select_configILj256ELj13ELNS0_17block_load_methodE3ELS4_3ELS4_3ELNS0_20block_scan_algorithmE0ELj4294967295EEENS1_25partition_config_selectorILNS1_17partition_subalgoE3EjNS0_10empty_typeEbEEZZNS1_14partition_implILS8_3ELb0ES6_jNS0_17counting_iteratorIjlEEPS9_SE_NS0_5tupleIJPjSE_EEENSF_IJSE_SE_EEES9_SG_JZNS1_25segmented_radix_sort_implINS0_14default_configELb0EPKiPiPKlPlN2at6native12_GLOBAL__N_18offset_tEEE10hipError_tPvRmT1_PNSt15iterator_traitsISY_E10value_typeET2_T3_PNSZ_IS14_E10value_typeET4_jRbjT5_S1A_jjP12ihipStream_tbEUljE_EEESV_SW_SX_S14_S18_S1A_T6_T7_T9_mT8_S1C_bDpT10_ENKUlT_T0_E_clISt17integral_constantIbLb0EES1O_IbLb1EEEEDaS1K_S1L_EUlS1K_E_NS1_11comp_targetILNS1_3genE8ELNS1_11target_archE1030ELNS1_3gpuE2ELNS1_3repE0EEENS1_30default_config_static_selectorELNS0_4arch9wavefront6targetE0EEEvSY_
	.p2align	8
	.type	_ZN7rocprim17ROCPRIM_400000_NS6detail17trampoline_kernelINS0_13select_configILj256ELj13ELNS0_17block_load_methodE3ELS4_3ELS4_3ELNS0_20block_scan_algorithmE0ELj4294967295EEENS1_25partition_config_selectorILNS1_17partition_subalgoE3EjNS0_10empty_typeEbEEZZNS1_14partition_implILS8_3ELb0ES6_jNS0_17counting_iteratorIjlEEPS9_SE_NS0_5tupleIJPjSE_EEENSF_IJSE_SE_EEES9_SG_JZNS1_25segmented_radix_sort_implINS0_14default_configELb0EPKiPiPKlPlN2at6native12_GLOBAL__N_18offset_tEEE10hipError_tPvRmT1_PNSt15iterator_traitsISY_E10value_typeET2_T3_PNSZ_IS14_E10value_typeET4_jRbjT5_S1A_jjP12ihipStream_tbEUljE_EEESV_SW_SX_S14_S18_S1A_T6_T7_T9_mT8_S1C_bDpT10_ENKUlT_T0_E_clISt17integral_constantIbLb0EES1O_IbLb1EEEEDaS1K_S1L_EUlS1K_E_NS1_11comp_targetILNS1_3genE8ELNS1_11target_archE1030ELNS1_3gpuE2ELNS1_3repE0EEENS1_30default_config_static_selectorELNS0_4arch9wavefront6targetE0EEEvSY_,@function
_ZN7rocprim17ROCPRIM_400000_NS6detail17trampoline_kernelINS0_13select_configILj256ELj13ELNS0_17block_load_methodE3ELS4_3ELS4_3ELNS0_20block_scan_algorithmE0ELj4294967295EEENS1_25partition_config_selectorILNS1_17partition_subalgoE3EjNS0_10empty_typeEbEEZZNS1_14partition_implILS8_3ELb0ES6_jNS0_17counting_iteratorIjlEEPS9_SE_NS0_5tupleIJPjSE_EEENSF_IJSE_SE_EEES9_SG_JZNS1_25segmented_radix_sort_implINS0_14default_configELb0EPKiPiPKlPlN2at6native12_GLOBAL__N_18offset_tEEE10hipError_tPvRmT1_PNSt15iterator_traitsISY_E10value_typeET2_T3_PNSZ_IS14_E10value_typeET4_jRbjT5_S1A_jjP12ihipStream_tbEUljE_EEESV_SW_SX_S14_S18_S1A_T6_T7_T9_mT8_S1C_bDpT10_ENKUlT_T0_E_clISt17integral_constantIbLb0EES1O_IbLb1EEEEDaS1K_S1L_EUlS1K_E_NS1_11comp_targetILNS1_3genE8ELNS1_11target_archE1030ELNS1_3gpuE2ELNS1_3repE0EEENS1_30default_config_static_selectorELNS0_4arch9wavefront6targetE0EEEvSY_: ; @_ZN7rocprim17ROCPRIM_400000_NS6detail17trampoline_kernelINS0_13select_configILj256ELj13ELNS0_17block_load_methodE3ELS4_3ELS4_3ELNS0_20block_scan_algorithmE0ELj4294967295EEENS1_25partition_config_selectorILNS1_17partition_subalgoE3EjNS0_10empty_typeEbEEZZNS1_14partition_implILS8_3ELb0ES6_jNS0_17counting_iteratorIjlEEPS9_SE_NS0_5tupleIJPjSE_EEENSF_IJSE_SE_EEES9_SG_JZNS1_25segmented_radix_sort_implINS0_14default_configELb0EPKiPiPKlPlN2at6native12_GLOBAL__N_18offset_tEEE10hipError_tPvRmT1_PNSt15iterator_traitsISY_E10value_typeET2_T3_PNSZ_IS14_E10value_typeET4_jRbjT5_S1A_jjP12ihipStream_tbEUljE_EEESV_SW_SX_S14_S18_S1A_T6_T7_T9_mT8_S1C_bDpT10_ENKUlT_T0_E_clISt17integral_constantIbLb0EES1O_IbLb1EEEEDaS1K_S1L_EUlS1K_E_NS1_11comp_targetILNS1_3genE8ELNS1_11target_archE1030ELNS1_3gpuE2ELNS1_3repE0EEENS1_30default_config_static_selectorELNS0_4arch9wavefront6targetE0EEEvSY_
; %bb.0:
	.section	.rodata,"a",@progbits
	.p2align	6, 0x0
	.amdhsa_kernel _ZN7rocprim17ROCPRIM_400000_NS6detail17trampoline_kernelINS0_13select_configILj256ELj13ELNS0_17block_load_methodE3ELS4_3ELS4_3ELNS0_20block_scan_algorithmE0ELj4294967295EEENS1_25partition_config_selectorILNS1_17partition_subalgoE3EjNS0_10empty_typeEbEEZZNS1_14partition_implILS8_3ELb0ES6_jNS0_17counting_iteratorIjlEEPS9_SE_NS0_5tupleIJPjSE_EEENSF_IJSE_SE_EEES9_SG_JZNS1_25segmented_radix_sort_implINS0_14default_configELb0EPKiPiPKlPlN2at6native12_GLOBAL__N_18offset_tEEE10hipError_tPvRmT1_PNSt15iterator_traitsISY_E10value_typeET2_T3_PNSZ_IS14_E10value_typeET4_jRbjT5_S1A_jjP12ihipStream_tbEUljE_EEESV_SW_SX_S14_S18_S1A_T6_T7_T9_mT8_S1C_bDpT10_ENKUlT_T0_E_clISt17integral_constantIbLb0EES1O_IbLb1EEEEDaS1K_S1L_EUlS1K_E_NS1_11comp_targetILNS1_3genE8ELNS1_11target_archE1030ELNS1_3gpuE2ELNS1_3repE0EEENS1_30default_config_static_selectorELNS0_4arch9wavefront6targetE0EEEvSY_
		.amdhsa_group_segment_fixed_size 0
		.amdhsa_private_segment_fixed_size 0
		.amdhsa_kernarg_size 152
		.amdhsa_user_sgpr_count 2
		.amdhsa_user_sgpr_dispatch_ptr 0
		.amdhsa_user_sgpr_queue_ptr 0
		.amdhsa_user_sgpr_kernarg_segment_ptr 1
		.amdhsa_user_sgpr_dispatch_id 0
		.amdhsa_user_sgpr_kernarg_preload_length 0
		.amdhsa_user_sgpr_kernarg_preload_offset 0
		.amdhsa_user_sgpr_private_segment_size 0
		.amdhsa_wavefront_size32 1
		.amdhsa_uses_dynamic_stack 0
		.amdhsa_enable_private_segment 0
		.amdhsa_system_sgpr_workgroup_id_x 1
		.amdhsa_system_sgpr_workgroup_id_y 0
		.amdhsa_system_sgpr_workgroup_id_z 0
		.amdhsa_system_sgpr_workgroup_info 0
		.amdhsa_system_vgpr_workitem_id 0
		.amdhsa_next_free_vgpr 1
		.amdhsa_next_free_sgpr 1
		.amdhsa_named_barrier_count 0
		.amdhsa_reserve_vcc 0
		.amdhsa_float_round_mode_32 0
		.amdhsa_float_round_mode_16_64 0
		.amdhsa_float_denorm_mode_32 3
		.amdhsa_float_denorm_mode_16_64 3
		.amdhsa_fp16_overflow 0
		.amdhsa_memory_ordered 1
		.amdhsa_forward_progress 1
		.amdhsa_inst_pref_size 0
		.amdhsa_round_robin_scheduling 0
		.amdhsa_exception_fp_ieee_invalid_op 0
		.amdhsa_exception_fp_denorm_src 0
		.amdhsa_exception_fp_ieee_div_zero 0
		.amdhsa_exception_fp_ieee_overflow 0
		.amdhsa_exception_fp_ieee_underflow 0
		.amdhsa_exception_fp_ieee_inexact 0
		.amdhsa_exception_int_div_zero 0
	.end_amdhsa_kernel
	.section	.text._ZN7rocprim17ROCPRIM_400000_NS6detail17trampoline_kernelINS0_13select_configILj256ELj13ELNS0_17block_load_methodE3ELS4_3ELS4_3ELNS0_20block_scan_algorithmE0ELj4294967295EEENS1_25partition_config_selectorILNS1_17partition_subalgoE3EjNS0_10empty_typeEbEEZZNS1_14partition_implILS8_3ELb0ES6_jNS0_17counting_iteratorIjlEEPS9_SE_NS0_5tupleIJPjSE_EEENSF_IJSE_SE_EEES9_SG_JZNS1_25segmented_radix_sort_implINS0_14default_configELb0EPKiPiPKlPlN2at6native12_GLOBAL__N_18offset_tEEE10hipError_tPvRmT1_PNSt15iterator_traitsISY_E10value_typeET2_T3_PNSZ_IS14_E10value_typeET4_jRbjT5_S1A_jjP12ihipStream_tbEUljE_EEESV_SW_SX_S14_S18_S1A_T6_T7_T9_mT8_S1C_bDpT10_ENKUlT_T0_E_clISt17integral_constantIbLb0EES1O_IbLb1EEEEDaS1K_S1L_EUlS1K_E_NS1_11comp_targetILNS1_3genE8ELNS1_11target_archE1030ELNS1_3gpuE2ELNS1_3repE0EEENS1_30default_config_static_selectorELNS0_4arch9wavefront6targetE0EEEvSY_,"axG",@progbits,_ZN7rocprim17ROCPRIM_400000_NS6detail17trampoline_kernelINS0_13select_configILj256ELj13ELNS0_17block_load_methodE3ELS4_3ELS4_3ELNS0_20block_scan_algorithmE0ELj4294967295EEENS1_25partition_config_selectorILNS1_17partition_subalgoE3EjNS0_10empty_typeEbEEZZNS1_14partition_implILS8_3ELb0ES6_jNS0_17counting_iteratorIjlEEPS9_SE_NS0_5tupleIJPjSE_EEENSF_IJSE_SE_EEES9_SG_JZNS1_25segmented_radix_sort_implINS0_14default_configELb0EPKiPiPKlPlN2at6native12_GLOBAL__N_18offset_tEEE10hipError_tPvRmT1_PNSt15iterator_traitsISY_E10value_typeET2_T3_PNSZ_IS14_E10value_typeET4_jRbjT5_S1A_jjP12ihipStream_tbEUljE_EEESV_SW_SX_S14_S18_S1A_T6_T7_T9_mT8_S1C_bDpT10_ENKUlT_T0_E_clISt17integral_constantIbLb0EES1O_IbLb1EEEEDaS1K_S1L_EUlS1K_E_NS1_11comp_targetILNS1_3genE8ELNS1_11target_archE1030ELNS1_3gpuE2ELNS1_3repE0EEENS1_30default_config_static_selectorELNS0_4arch9wavefront6targetE0EEEvSY_,comdat
.Lfunc_end595:
	.size	_ZN7rocprim17ROCPRIM_400000_NS6detail17trampoline_kernelINS0_13select_configILj256ELj13ELNS0_17block_load_methodE3ELS4_3ELS4_3ELNS0_20block_scan_algorithmE0ELj4294967295EEENS1_25partition_config_selectorILNS1_17partition_subalgoE3EjNS0_10empty_typeEbEEZZNS1_14partition_implILS8_3ELb0ES6_jNS0_17counting_iteratorIjlEEPS9_SE_NS0_5tupleIJPjSE_EEENSF_IJSE_SE_EEES9_SG_JZNS1_25segmented_radix_sort_implINS0_14default_configELb0EPKiPiPKlPlN2at6native12_GLOBAL__N_18offset_tEEE10hipError_tPvRmT1_PNSt15iterator_traitsISY_E10value_typeET2_T3_PNSZ_IS14_E10value_typeET4_jRbjT5_S1A_jjP12ihipStream_tbEUljE_EEESV_SW_SX_S14_S18_S1A_T6_T7_T9_mT8_S1C_bDpT10_ENKUlT_T0_E_clISt17integral_constantIbLb0EES1O_IbLb1EEEEDaS1K_S1L_EUlS1K_E_NS1_11comp_targetILNS1_3genE8ELNS1_11target_archE1030ELNS1_3gpuE2ELNS1_3repE0EEENS1_30default_config_static_selectorELNS0_4arch9wavefront6targetE0EEEvSY_, .Lfunc_end595-_ZN7rocprim17ROCPRIM_400000_NS6detail17trampoline_kernelINS0_13select_configILj256ELj13ELNS0_17block_load_methodE3ELS4_3ELS4_3ELNS0_20block_scan_algorithmE0ELj4294967295EEENS1_25partition_config_selectorILNS1_17partition_subalgoE3EjNS0_10empty_typeEbEEZZNS1_14partition_implILS8_3ELb0ES6_jNS0_17counting_iteratorIjlEEPS9_SE_NS0_5tupleIJPjSE_EEENSF_IJSE_SE_EEES9_SG_JZNS1_25segmented_radix_sort_implINS0_14default_configELb0EPKiPiPKlPlN2at6native12_GLOBAL__N_18offset_tEEE10hipError_tPvRmT1_PNSt15iterator_traitsISY_E10value_typeET2_T3_PNSZ_IS14_E10value_typeET4_jRbjT5_S1A_jjP12ihipStream_tbEUljE_EEESV_SW_SX_S14_S18_S1A_T6_T7_T9_mT8_S1C_bDpT10_ENKUlT_T0_E_clISt17integral_constantIbLb0EES1O_IbLb1EEEEDaS1K_S1L_EUlS1K_E_NS1_11comp_targetILNS1_3genE8ELNS1_11target_archE1030ELNS1_3gpuE2ELNS1_3repE0EEENS1_30default_config_static_selectorELNS0_4arch9wavefront6targetE0EEEvSY_
                                        ; -- End function
	.set _ZN7rocprim17ROCPRIM_400000_NS6detail17trampoline_kernelINS0_13select_configILj256ELj13ELNS0_17block_load_methodE3ELS4_3ELS4_3ELNS0_20block_scan_algorithmE0ELj4294967295EEENS1_25partition_config_selectorILNS1_17partition_subalgoE3EjNS0_10empty_typeEbEEZZNS1_14partition_implILS8_3ELb0ES6_jNS0_17counting_iteratorIjlEEPS9_SE_NS0_5tupleIJPjSE_EEENSF_IJSE_SE_EEES9_SG_JZNS1_25segmented_radix_sort_implINS0_14default_configELb0EPKiPiPKlPlN2at6native12_GLOBAL__N_18offset_tEEE10hipError_tPvRmT1_PNSt15iterator_traitsISY_E10value_typeET2_T3_PNSZ_IS14_E10value_typeET4_jRbjT5_S1A_jjP12ihipStream_tbEUljE_EEESV_SW_SX_S14_S18_S1A_T6_T7_T9_mT8_S1C_bDpT10_ENKUlT_T0_E_clISt17integral_constantIbLb0EES1O_IbLb1EEEEDaS1K_S1L_EUlS1K_E_NS1_11comp_targetILNS1_3genE8ELNS1_11target_archE1030ELNS1_3gpuE2ELNS1_3repE0EEENS1_30default_config_static_selectorELNS0_4arch9wavefront6targetE0EEEvSY_.num_vgpr, 0
	.set _ZN7rocprim17ROCPRIM_400000_NS6detail17trampoline_kernelINS0_13select_configILj256ELj13ELNS0_17block_load_methodE3ELS4_3ELS4_3ELNS0_20block_scan_algorithmE0ELj4294967295EEENS1_25partition_config_selectorILNS1_17partition_subalgoE3EjNS0_10empty_typeEbEEZZNS1_14partition_implILS8_3ELb0ES6_jNS0_17counting_iteratorIjlEEPS9_SE_NS0_5tupleIJPjSE_EEENSF_IJSE_SE_EEES9_SG_JZNS1_25segmented_radix_sort_implINS0_14default_configELb0EPKiPiPKlPlN2at6native12_GLOBAL__N_18offset_tEEE10hipError_tPvRmT1_PNSt15iterator_traitsISY_E10value_typeET2_T3_PNSZ_IS14_E10value_typeET4_jRbjT5_S1A_jjP12ihipStream_tbEUljE_EEESV_SW_SX_S14_S18_S1A_T6_T7_T9_mT8_S1C_bDpT10_ENKUlT_T0_E_clISt17integral_constantIbLb0EES1O_IbLb1EEEEDaS1K_S1L_EUlS1K_E_NS1_11comp_targetILNS1_3genE8ELNS1_11target_archE1030ELNS1_3gpuE2ELNS1_3repE0EEENS1_30default_config_static_selectorELNS0_4arch9wavefront6targetE0EEEvSY_.num_agpr, 0
	.set _ZN7rocprim17ROCPRIM_400000_NS6detail17trampoline_kernelINS0_13select_configILj256ELj13ELNS0_17block_load_methodE3ELS4_3ELS4_3ELNS0_20block_scan_algorithmE0ELj4294967295EEENS1_25partition_config_selectorILNS1_17partition_subalgoE3EjNS0_10empty_typeEbEEZZNS1_14partition_implILS8_3ELb0ES6_jNS0_17counting_iteratorIjlEEPS9_SE_NS0_5tupleIJPjSE_EEENSF_IJSE_SE_EEES9_SG_JZNS1_25segmented_radix_sort_implINS0_14default_configELb0EPKiPiPKlPlN2at6native12_GLOBAL__N_18offset_tEEE10hipError_tPvRmT1_PNSt15iterator_traitsISY_E10value_typeET2_T3_PNSZ_IS14_E10value_typeET4_jRbjT5_S1A_jjP12ihipStream_tbEUljE_EEESV_SW_SX_S14_S18_S1A_T6_T7_T9_mT8_S1C_bDpT10_ENKUlT_T0_E_clISt17integral_constantIbLb0EES1O_IbLb1EEEEDaS1K_S1L_EUlS1K_E_NS1_11comp_targetILNS1_3genE8ELNS1_11target_archE1030ELNS1_3gpuE2ELNS1_3repE0EEENS1_30default_config_static_selectorELNS0_4arch9wavefront6targetE0EEEvSY_.numbered_sgpr, 0
	.set _ZN7rocprim17ROCPRIM_400000_NS6detail17trampoline_kernelINS0_13select_configILj256ELj13ELNS0_17block_load_methodE3ELS4_3ELS4_3ELNS0_20block_scan_algorithmE0ELj4294967295EEENS1_25partition_config_selectorILNS1_17partition_subalgoE3EjNS0_10empty_typeEbEEZZNS1_14partition_implILS8_3ELb0ES6_jNS0_17counting_iteratorIjlEEPS9_SE_NS0_5tupleIJPjSE_EEENSF_IJSE_SE_EEES9_SG_JZNS1_25segmented_radix_sort_implINS0_14default_configELb0EPKiPiPKlPlN2at6native12_GLOBAL__N_18offset_tEEE10hipError_tPvRmT1_PNSt15iterator_traitsISY_E10value_typeET2_T3_PNSZ_IS14_E10value_typeET4_jRbjT5_S1A_jjP12ihipStream_tbEUljE_EEESV_SW_SX_S14_S18_S1A_T6_T7_T9_mT8_S1C_bDpT10_ENKUlT_T0_E_clISt17integral_constantIbLb0EES1O_IbLb1EEEEDaS1K_S1L_EUlS1K_E_NS1_11comp_targetILNS1_3genE8ELNS1_11target_archE1030ELNS1_3gpuE2ELNS1_3repE0EEENS1_30default_config_static_selectorELNS0_4arch9wavefront6targetE0EEEvSY_.num_named_barrier, 0
	.set _ZN7rocprim17ROCPRIM_400000_NS6detail17trampoline_kernelINS0_13select_configILj256ELj13ELNS0_17block_load_methodE3ELS4_3ELS4_3ELNS0_20block_scan_algorithmE0ELj4294967295EEENS1_25partition_config_selectorILNS1_17partition_subalgoE3EjNS0_10empty_typeEbEEZZNS1_14partition_implILS8_3ELb0ES6_jNS0_17counting_iteratorIjlEEPS9_SE_NS0_5tupleIJPjSE_EEENSF_IJSE_SE_EEES9_SG_JZNS1_25segmented_radix_sort_implINS0_14default_configELb0EPKiPiPKlPlN2at6native12_GLOBAL__N_18offset_tEEE10hipError_tPvRmT1_PNSt15iterator_traitsISY_E10value_typeET2_T3_PNSZ_IS14_E10value_typeET4_jRbjT5_S1A_jjP12ihipStream_tbEUljE_EEESV_SW_SX_S14_S18_S1A_T6_T7_T9_mT8_S1C_bDpT10_ENKUlT_T0_E_clISt17integral_constantIbLb0EES1O_IbLb1EEEEDaS1K_S1L_EUlS1K_E_NS1_11comp_targetILNS1_3genE8ELNS1_11target_archE1030ELNS1_3gpuE2ELNS1_3repE0EEENS1_30default_config_static_selectorELNS0_4arch9wavefront6targetE0EEEvSY_.private_seg_size, 0
	.set _ZN7rocprim17ROCPRIM_400000_NS6detail17trampoline_kernelINS0_13select_configILj256ELj13ELNS0_17block_load_methodE3ELS4_3ELS4_3ELNS0_20block_scan_algorithmE0ELj4294967295EEENS1_25partition_config_selectorILNS1_17partition_subalgoE3EjNS0_10empty_typeEbEEZZNS1_14partition_implILS8_3ELb0ES6_jNS0_17counting_iteratorIjlEEPS9_SE_NS0_5tupleIJPjSE_EEENSF_IJSE_SE_EEES9_SG_JZNS1_25segmented_radix_sort_implINS0_14default_configELb0EPKiPiPKlPlN2at6native12_GLOBAL__N_18offset_tEEE10hipError_tPvRmT1_PNSt15iterator_traitsISY_E10value_typeET2_T3_PNSZ_IS14_E10value_typeET4_jRbjT5_S1A_jjP12ihipStream_tbEUljE_EEESV_SW_SX_S14_S18_S1A_T6_T7_T9_mT8_S1C_bDpT10_ENKUlT_T0_E_clISt17integral_constantIbLb0EES1O_IbLb1EEEEDaS1K_S1L_EUlS1K_E_NS1_11comp_targetILNS1_3genE8ELNS1_11target_archE1030ELNS1_3gpuE2ELNS1_3repE0EEENS1_30default_config_static_selectorELNS0_4arch9wavefront6targetE0EEEvSY_.uses_vcc, 0
	.set _ZN7rocprim17ROCPRIM_400000_NS6detail17trampoline_kernelINS0_13select_configILj256ELj13ELNS0_17block_load_methodE3ELS4_3ELS4_3ELNS0_20block_scan_algorithmE0ELj4294967295EEENS1_25partition_config_selectorILNS1_17partition_subalgoE3EjNS0_10empty_typeEbEEZZNS1_14partition_implILS8_3ELb0ES6_jNS0_17counting_iteratorIjlEEPS9_SE_NS0_5tupleIJPjSE_EEENSF_IJSE_SE_EEES9_SG_JZNS1_25segmented_radix_sort_implINS0_14default_configELb0EPKiPiPKlPlN2at6native12_GLOBAL__N_18offset_tEEE10hipError_tPvRmT1_PNSt15iterator_traitsISY_E10value_typeET2_T3_PNSZ_IS14_E10value_typeET4_jRbjT5_S1A_jjP12ihipStream_tbEUljE_EEESV_SW_SX_S14_S18_S1A_T6_T7_T9_mT8_S1C_bDpT10_ENKUlT_T0_E_clISt17integral_constantIbLb0EES1O_IbLb1EEEEDaS1K_S1L_EUlS1K_E_NS1_11comp_targetILNS1_3genE8ELNS1_11target_archE1030ELNS1_3gpuE2ELNS1_3repE0EEENS1_30default_config_static_selectorELNS0_4arch9wavefront6targetE0EEEvSY_.uses_flat_scratch, 0
	.set _ZN7rocprim17ROCPRIM_400000_NS6detail17trampoline_kernelINS0_13select_configILj256ELj13ELNS0_17block_load_methodE3ELS4_3ELS4_3ELNS0_20block_scan_algorithmE0ELj4294967295EEENS1_25partition_config_selectorILNS1_17partition_subalgoE3EjNS0_10empty_typeEbEEZZNS1_14partition_implILS8_3ELb0ES6_jNS0_17counting_iteratorIjlEEPS9_SE_NS0_5tupleIJPjSE_EEENSF_IJSE_SE_EEES9_SG_JZNS1_25segmented_radix_sort_implINS0_14default_configELb0EPKiPiPKlPlN2at6native12_GLOBAL__N_18offset_tEEE10hipError_tPvRmT1_PNSt15iterator_traitsISY_E10value_typeET2_T3_PNSZ_IS14_E10value_typeET4_jRbjT5_S1A_jjP12ihipStream_tbEUljE_EEESV_SW_SX_S14_S18_S1A_T6_T7_T9_mT8_S1C_bDpT10_ENKUlT_T0_E_clISt17integral_constantIbLb0EES1O_IbLb1EEEEDaS1K_S1L_EUlS1K_E_NS1_11comp_targetILNS1_3genE8ELNS1_11target_archE1030ELNS1_3gpuE2ELNS1_3repE0EEENS1_30default_config_static_selectorELNS0_4arch9wavefront6targetE0EEEvSY_.has_dyn_sized_stack, 0
	.set _ZN7rocprim17ROCPRIM_400000_NS6detail17trampoline_kernelINS0_13select_configILj256ELj13ELNS0_17block_load_methodE3ELS4_3ELS4_3ELNS0_20block_scan_algorithmE0ELj4294967295EEENS1_25partition_config_selectorILNS1_17partition_subalgoE3EjNS0_10empty_typeEbEEZZNS1_14partition_implILS8_3ELb0ES6_jNS0_17counting_iteratorIjlEEPS9_SE_NS0_5tupleIJPjSE_EEENSF_IJSE_SE_EEES9_SG_JZNS1_25segmented_radix_sort_implINS0_14default_configELb0EPKiPiPKlPlN2at6native12_GLOBAL__N_18offset_tEEE10hipError_tPvRmT1_PNSt15iterator_traitsISY_E10value_typeET2_T3_PNSZ_IS14_E10value_typeET4_jRbjT5_S1A_jjP12ihipStream_tbEUljE_EEESV_SW_SX_S14_S18_S1A_T6_T7_T9_mT8_S1C_bDpT10_ENKUlT_T0_E_clISt17integral_constantIbLb0EES1O_IbLb1EEEEDaS1K_S1L_EUlS1K_E_NS1_11comp_targetILNS1_3genE8ELNS1_11target_archE1030ELNS1_3gpuE2ELNS1_3repE0EEENS1_30default_config_static_selectorELNS0_4arch9wavefront6targetE0EEEvSY_.has_recursion, 0
	.set _ZN7rocprim17ROCPRIM_400000_NS6detail17trampoline_kernelINS0_13select_configILj256ELj13ELNS0_17block_load_methodE3ELS4_3ELS4_3ELNS0_20block_scan_algorithmE0ELj4294967295EEENS1_25partition_config_selectorILNS1_17partition_subalgoE3EjNS0_10empty_typeEbEEZZNS1_14partition_implILS8_3ELb0ES6_jNS0_17counting_iteratorIjlEEPS9_SE_NS0_5tupleIJPjSE_EEENSF_IJSE_SE_EEES9_SG_JZNS1_25segmented_radix_sort_implINS0_14default_configELb0EPKiPiPKlPlN2at6native12_GLOBAL__N_18offset_tEEE10hipError_tPvRmT1_PNSt15iterator_traitsISY_E10value_typeET2_T3_PNSZ_IS14_E10value_typeET4_jRbjT5_S1A_jjP12ihipStream_tbEUljE_EEESV_SW_SX_S14_S18_S1A_T6_T7_T9_mT8_S1C_bDpT10_ENKUlT_T0_E_clISt17integral_constantIbLb0EES1O_IbLb1EEEEDaS1K_S1L_EUlS1K_E_NS1_11comp_targetILNS1_3genE8ELNS1_11target_archE1030ELNS1_3gpuE2ELNS1_3repE0EEENS1_30default_config_static_selectorELNS0_4arch9wavefront6targetE0EEEvSY_.has_indirect_call, 0
	.section	.AMDGPU.csdata,"",@progbits
; Kernel info:
; codeLenInByte = 0
; TotalNumSgprs: 0
; NumVgprs: 0
; ScratchSize: 0
; MemoryBound: 0
; FloatMode: 240
; IeeeMode: 1
; LDSByteSize: 0 bytes/workgroup (compile time only)
; SGPRBlocks: 0
; VGPRBlocks: 0
; NumSGPRsForWavesPerEU: 1
; NumVGPRsForWavesPerEU: 1
; NamedBarCnt: 0
; Occupancy: 16
; WaveLimiterHint : 0
; COMPUTE_PGM_RSRC2:SCRATCH_EN: 0
; COMPUTE_PGM_RSRC2:USER_SGPR: 2
; COMPUTE_PGM_RSRC2:TRAP_HANDLER: 0
; COMPUTE_PGM_RSRC2:TGID_X_EN: 1
; COMPUTE_PGM_RSRC2:TGID_Y_EN: 0
; COMPUTE_PGM_RSRC2:TGID_Z_EN: 0
; COMPUTE_PGM_RSRC2:TIDIG_COMP_CNT: 0
	.text
	.p2align	2                               ; -- Begin function _ZN7rocprim17ROCPRIM_400000_NS6detail40segmented_radix_sort_single_block_helperIilLj256ELj16ELb0EE4sortIPKiPiPKlPlEEbT_T0_T1_T2_jjjjRNS3_12storage_typeE
	.type	_ZN7rocprim17ROCPRIM_400000_NS6detail40segmented_radix_sort_single_block_helperIilLj256ELj16ELb0EE4sortIPKiPiPKlPlEEbT_T0_T1_T2_jjjjRNS3_12storage_typeE,@function
_ZN7rocprim17ROCPRIM_400000_NS6detail40segmented_radix_sort_single_block_helperIilLj256ELj16ELb0EE4sortIPKiPiPKlPlEEbT_T0_T1_T2_jjjjRNS3_12storage_typeE: ; @_ZN7rocprim17ROCPRIM_400000_NS6detail40segmented_radix_sort_single_block_helperIilLj256ELj16ELb0EE4sortIPKiPiPKlPlEEbT_T0_T1_T2_jjjjRNS3_12storage_typeE
; %bb.0:
	s_wait_loadcnt_dscnt 0x0
	s_wait_kmcnt 0x0
	s_set_vgpr_msb 64                       ;  msbs: dst=1 src0=0 src1=0 src2=0
	v_sub_nc_u32_e32 v2 /*v258*/, v9, v8
	s_mov_b32 s19, exec_lo
	s_set_vgpr_msb 4                        ;  msbs: dst=0 src0=0 src1=1 src2=0
	s_delay_alu instid0(VALU_DEP_1)
	v_cmpx_gt_u32_e32 0x1001, v2 /*v258*/
	s_set_vgpr_msb 0                        ;  msbs: dst=0 src0=0 src1=0 src2=0
	s_cbranch_execz .LBB596_372
; %bb.1:
	v_bfe_u32 v9, v31, 10, 10
	v_bfe_u32 v14, v31, 20, 10
	v_and_b32_e32 v22, 0x3ff, v31
	v_mbcnt_lo_u32_b32 v98, -1, 0
	s_getreg_b32 s20, hwreg(HW_REG_IB_STS2, 6, 4)
	s_mov_b32 s0, exec_lo
	s_set_vgpr_msb 4                        ;  msbs: dst=0 src0=0 src1=1 src2=0
	v_cmpx_lt_u32_e32 0x800, v2 /*v258*/
	s_xor_b32 s21, exec_lo, s0
	s_set_vgpr_msb 0                        ;  msbs: dst=0 src0=0 src1=0 src2=0
	s_cbranch_execz .LBB596_143
; %bb.2:
	s_load_b64 s[0:1], s[8:9], 0x0
	s_bfe_u32 s3, ttmp6, 0x4000c
	s_bfe_u32 s5, ttmp6, 0x40010
	s_and_b32 s4, ttmp7, 0xffff
	s_add_co_i32 s3, s3, 1
	s_add_co_i32 s5, s5, 1
	s_and_b32 s2, ttmp6, 15
	s_bfe_u32 s6, ttmp6, 0x40004
	s_mul_i32 s3, ttmp9, s3
	s_mul_i32 s5, s4, s5
	s_add_co_i32 s2, s2, s3
	s_add_co_i32 s6, s6, s5
	s_cmp_eq_u32 s20, 0
	s_mov_b32 s3, 0
	s_cselect_b32 s2, ttmp9, s2
	s_cselect_b32 s4, s4, s6
	v_dual_mov_b32 v99, -1 :: v_dual_mov_b32 v101, -1
	s_wait_kmcnt 0x0
	s_cmp_lt_u32 s2, s0
	s_cselect_b32 s2, 12, 18
	s_cmp_lt_u32 s4, s1
	s_mov_b32 s1, s3
	s_cselect_b32 s0, 14, 20
	s_delay_alu instid0(SALU_CYCLE_1)
	s_add_nc_u64 s[0:1], s[8:9], s[0:1]
	s_load_u16 s4, s[0:1], 0x0
	s_wait_xcnt 0x0
	s_add_nc_u64 s[0:1], s[8:9], s[2:3]
	s_load_u16 s0, s[0:1], 0x0
	s_wait_kmcnt 0x0
	v_mad_u32_u24 v9, v14, s4, v9
	v_lshlrev_b32_e32 v14, 2, v98
	s_delay_alu instid0(VALU_DEP_2) | instskip(SKIP_1) | instid1(VALU_DEP_1)
	v_mad_u32 v38, v9, s0, v22
	v_mov_b32_e32 v9, 0
	v_lshl_add_u64 v[16:17], v[8:9], 2, v[0:1]
	s_delay_alu instid0(VALU_DEP_3) | instskip(NEXT) | instid1(VALU_DEP_1)
	v_dual_mov_b32 v15, v9 :: v_dual_lshlrev_b32 v18, 4, v38
	v_add_nc_u64_e32 v[14:15], v[16:17], v[14:15]
	s_delay_alu instid0(VALU_DEP_2) | instskip(NEXT) | instid1(VALU_DEP_1)
	v_and_b32_e32 v0, 0xfffffe00, v18
	v_dual_mov_b32 v1, v9 :: v_dual_bitop2_b32 v16, v0, v98 bitop3:0x54
	s_delay_alu instid0(VALU_DEP_1) | instskip(SKIP_1) | instid1(VALU_DEP_2)
	v_lshl_add_u64 v[14:15], v[0:1], 2, v[14:15]
	s_set_vgpr_msb 4                        ;  msbs: dst=0 src0=0 src1=1 src2=0
	v_cmp_lt_u32_e32 vcc_lo, v16, v2 /*v258*/
	s_and_saveexec_b32 s0, vcc_lo
	s_set_vgpr_msb 0                        ;  msbs: dst=0 src0=0 src1=0 src2=0
	s_cbranch_execz .LBB596_4
; %bb.3:
	flat_load_b32 v17, v[14:15]
	s_wait_loadcnt_dscnt 0x0
	v_xor_b32_e32 v101, 0x80000000, v17
.LBB596_4:
	s_wait_xcnt 0x0
	s_or_b32 exec_lo, exec_lo, s0
	v_or_b32_e32 v17, 32, v16
	s_set_vgpr_msb 4                        ;  msbs: dst=0 src0=0 src1=1 src2=0
	s_delay_alu instid0(VALU_DEP_1)
	v_cmp_lt_u32_e64 s0, v17, v2 /*v258*/
	s_and_saveexec_b32 s1, s0
	s_set_vgpr_msb 0                        ;  msbs: dst=0 src0=0 src1=0 src2=0
	s_cbranch_execz .LBB596_6
; %bb.5:
	flat_load_b32 v17, v[14:15] offset:128
	s_wait_loadcnt_dscnt 0x0
	v_xor_b32_e32 v99, 0x80000000, v17
.LBB596_6:
	s_wait_xcnt 0x0
	s_or_b32 exec_lo, exec_lo, s1
	v_dual_mov_b32 v103, -1 :: v_dual_bitop2_b32 v17, 64, v16 bitop3:0x54
	v_mov_b32_e32 v113, -1
	s_set_vgpr_msb 4                        ;  msbs: dst=0 src0=0 src1=1 src2=0
	s_delay_alu instid0(VALU_DEP_2)
	v_cmp_lt_u32_e64 s1, v17, v2 /*v258*/
	s_and_saveexec_b32 s2, s1
	s_set_vgpr_msb 0                        ;  msbs: dst=0 src0=0 src1=0 src2=0
	s_cbranch_execz .LBB596_8
; %bb.7:
	flat_load_b32 v17, v[14:15] offset:256
	s_wait_loadcnt_dscnt 0x0
	v_xor_b32_e32 v113, 0x80000000, v17
.LBB596_8:
	s_wait_xcnt 0x0
	s_or_b32 exec_lo, exec_lo, s2
	v_or_b32_e32 v17, 0x60, v16
	s_set_vgpr_msb 4                        ;  msbs: dst=0 src0=0 src1=1 src2=0
	s_delay_alu instid0(VALU_DEP_1)
	v_cmp_lt_u32_e64 s2, v17, v2 /*v258*/
	s_and_saveexec_b32 s3, s2
	s_set_vgpr_msb 0                        ;  msbs: dst=0 src0=0 src1=0 src2=0
	s_cbranch_execz .LBB596_10
; %bb.9:
	flat_load_b32 v17, v[14:15] offset:384
	s_wait_loadcnt_dscnt 0x0
	v_xor_b32_e32 v103, 0x80000000, v17
.LBB596_10:
	s_wait_xcnt 0x0
	s_or_b32 exec_lo, exec_lo, s3
	v_or_b32_e32 v17, 0x80, v16
	v_dual_mov_b32 v115, -1 :: v_dual_mov_b32 v117, -1
	s_set_vgpr_msb 4                        ;  msbs: dst=0 src0=0 src1=1 src2=0
	s_delay_alu instid0(VALU_DEP_2)
	v_cmp_lt_u32_e64 s3, v17, v2 /*v258*/
	s_and_saveexec_b32 s4, s3
	s_set_vgpr_msb 0                        ;  msbs: dst=0 src0=0 src1=0 src2=0
	s_cbranch_execz .LBB596_12
; %bb.11:
	flat_load_b32 v17, v[14:15] offset:512
	s_wait_loadcnt_dscnt 0x0
	v_xor_b32_e32 v117, 0x80000000, v17
.LBB596_12:
	s_wait_xcnt 0x0
	s_or_b32 exec_lo, exec_lo, s4
	v_or_b32_e32 v17, 0xa0, v16
	s_set_vgpr_msb 4                        ;  msbs: dst=0 src0=0 src1=1 src2=0
	s_delay_alu instid0(VALU_DEP_1)
	v_cmp_lt_u32_e64 s4, v17, v2 /*v258*/
	s_and_saveexec_b32 s5, s4
	s_set_vgpr_msb 0                        ;  msbs: dst=0 src0=0 src1=0 src2=0
	s_cbranch_execz .LBB596_14
; %bb.13:
	flat_load_b32 v17, v[14:15] offset:640
	s_wait_loadcnt_dscnt 0x0
	v_xor_b32_e32 v115, 0x80000000, v17
.LBB596_14:
	s_wait_xcnt 0x0
	s_or_b32 exec_lo, exec_lo, s5
	v_or_b32_e32 v17, 0xc0, v16
	v_dual_mov_b32 v119, -1 :: v_dual_mov_b32 v129, -1
	;; [unrolled: 29-line block ×6, first 2 shown]
	s_set_vgpr_msb 4                        ;  msbs: dst=0 src0=0 src1=1 src2=0
	s_delay_alu instid0(VALU_DEP_2)
	v_cmp_lt_u32_e64 s15, v17, v2 /*v258*/
	s_and_saveexec_b32 s16, s15
	s_set_vgpr_msb 0                        ;  msbs: dst=0 src0=0 src1=0 src2=0
	s_cbranch_execz .LBB596_32
; %bb.31:
	flat_load_b32 v17, v[14:15] offset:1792
	s_wait_loadcnt_dscnt 0x0
	v_xor_b32_e32 v181, 0x80000000, v17
.LBB596_32:
	s_wait_xcnt 0x0
	s_or_b32 exec_lo, exec_lo, s16
	v_or_b32_e32 v16, 0x1e0, v16
	s_set_vgpr_msb 4                        ;  msbs: dst=0 src0=0 src1=1 src2=0
	s_delay_alu instid0(VALU_DEP_1)
	v_cmp_lt_u32_e64 s16, v16, v2 /*v258*/
	s_and_saveexec_b32 s17, s16
	s_set_vgpr_msb 0                        ;  msbs: dst=0 src0=0 src1=0 src2=0
	s_cbranch_execz .LBB596_34
; %bb.33:
	flat_load_b32 v14, v[14:15] offset:1920
	s_wait_loadcnt_dscnt 0x0
	v_xor_b32_e32 v163, 0x80000000, v14
.LBB596_34:
	s_wait_xcnt 0x0
	s_or_b32 exec_lo, exec_lo, s17
	v_lshl_add_u64 v[4:5], v[8:9], 3, v[4:5]
	v_dual_mov_b32 v15, 0 :: v_dual_lshlrev_b32 v14, 3, v98
                                        ; implicit-def: $vgpr80_vgpr81
	s_delay_alu instid0(VALU_DEP_1) | instskip(NEXT) | instid1(VALU_DEP_1)
	v_add_nc_u64_e32 v[4:5], v[4:5], v[14:15]
	v_lshl_add_u64 v[0:1], v[0:1], 3, v[4:5]
	s_and_saveexec_b32 s17, vcc_lo
	s_cbranch_execnz .LBB596_196
; %bb.35:
	s_or_b32 exec_lo, exec_lo, s17
                                        ; implicit-def: $vgpr68_vgpr69
	s_and_saveexec_b32 s17, s0
	s_cbranch_execnz .LBB596_197
.LBB596_36:
	s_or_b32 exec_lo, exec_lo, s17
                                        ; implicit-def: $vgpr70_vgpr71
	s_and_saveexec_b32 s0, s1
	s_cbranch_execnz .LBB596_198
.LBB596_37:
	s_or_b32 exec_lo, exec_lo, s0
                                        ; implicit-def: $vgpr82_vgpr83
	s_and_saveexec_b32 s0, s2
	s_cbranch_execnz .LBB596_199
.LBB596_38:
	s_or_b32 exec_lo, exec_lo, s0
                                        ; implicit-def: $vgpr84_vgpr85
	s_and_saveexec_b32 s0, s3
	s_cbranch_execnz .LBB596_200
.LBB596_39:
	s_or_b32 exec_lo, exec_lo, s0
                                        ; implicit-def: $vgpr86_vgpr87
	s_and_saveexec_b32 s0, s4
	s_cbranch_execnz .LBB596_201
.LBB596_40:
	s_or_b32 exec_lo, exec_lo, s0
                                        ; implicit-def: $vgpr96_vgpr97
	s_and_saveexec_b32 s0, s5
	s_cbranch_execnz .LBB596_202
.LBB596_41:
	s_or_b32 exec_lo, exec_lo, s0
                                        ; implicit-def: $vgpr146_vgpr147
	s_and_saveexec_b32 s0, s6
	s_cbranch_execnz .LBB596_203
.LBB596_42:
	s_or_b32 exec_lo, exec_lo, s0
                                        ; implicit-def: $vgpr148_vgpr149
	s_and_saveexec_b32 s0, s7
	s_cbranch_execnz .LBB596_204
.LBB596_43:
	s_or_b32 exec_lo, exec_lo, s0
                                        ; implicit-def: $vgpr164_vgpr165
	s_and_saveexec_b32 s0, s10
	s_cbranch_execnz .LBB596_205
.LBB596_44:
	s_or_b32 exec_lo, exec_lo, s0
                                        ; implicit-def: $vgpr176_vgpr177
	s_and_saveexec_b32 s0, s11
	s_cbranch_execnz .LBB596_206
.LBB596_45:
	s_or_b32 exec_lo, exec_lo, s0
                                        ; implicit-def: $vgpr166_vgpr167
	s_and_saveexec_b32 s0, s12
	s_cbranch_execnz .LBB596_207
.LBB596_46:
	s_or_b32 exec_lo, exec_lo, s0
                                        ; implicit-def: $vgpr178_vgpr179
	s_and_saveexec_b32 s0, s13
	s_cbranch_execnz .LBB596_208
.LBB596_47:
	s_or_b32 exec_lo, exec_lo, s0
                                        ; implicit-def: $vgpr196_vgpr197
	s_and_saveexec_b32 s0, s14
	s_cbranch_execnz .LBB596_209
.LBB596_48:
	s_or_b32 exec_lo, exec_lo, s0
                                        ; implicit-def: $vgpr208_vgpr209
	s_and_saveexec_b32 s0, s15
	s_cbranch_execnz .LBB596_210
.LBB596_49:
	s_or_b32 exec_lo, exec_lo, s0
                                        ; implicit-def: $vgpr240_vgpr241
	s_and_saveexec_b32 s0, s16
	s_cbranch_execz .LBB596_51
.LBB596_50:
	flat_load_b64 v[240:241], v[0:1] offset:3840
.LBB596_51:
	s_wait_xcnt 0x0
	s_or_b32 exec_lo, exec_lo, s0
	v_lshl_add_u32 v0, v22, 5, v12
	v_and_b32_e32 v1, 0x3e0, v22
	v_sub_co_u32 v14, s2, v98, 1
	s_get_pc_i64 s[0:1]
	s_add_nc_u64 s[0:1], s[0:1], _ZN7rocprim17ROCPRIM_400000_NS16block_radix_sortIiLj256ELj16ElLj1ELj1ELj8ELNS0_26block_radix_rank_algorithmE2ELNS0_18block_padding_hintE2ELNS0_4arch9wavefront6targetE0EE19radix_bits_per_passE@rel64+4
	v_dual_add_nc_u32 v23, 32, v0 :: v_dual_add_nc_u32 v39, 36, v0
	s_set_vgpr_msb 64                       ;  msbs: dst=1 src0=0 src1=0 src2=0
	v_dual_add_nc_u32 v3 /*v259*/, 40, v0 :: v_dual_add_nc_u32 v4 /*v260*/, 44, v0
	v_dual_add_nc_u32 v5 /*v261*/, 48, v0 :: v_dual_add_nc_u32 v6 /*v262*/, 52, v0
	;; [unrolled: 1-line block ×3, first 2 shown]
	s_set_vgpr_msb 0                        ;  msbs: dst=0 src0=0 src1=0 src2=0
	v_min_u32_e32 v0, 0xe0, v1
	v_lshlrev_b32_e32 v5, 4, v22
	v_cmp_gt_i32_e64 s6, 0, v14
	v_and_b32_e32 v4, 15, v98
	s_load_b32 s22, s[0:1], 0x0
	v_or_b32_e32 v0, 31, v0
	v_and_b32_e32 v15, 7, v98
	v_mov_b64_e32 v[52:53], 0
	v_cmp_lt_u32_e64 s7, 31, v22
	v_cmp_eq_u32_e64 s10, 0, v22
	v_cmp_eq_u32_e64 s5, v22, v0
	v_and_or_b32 v0, 0x3e00, v5, v98
	v_and_b32_e32 v1, 16, v98
	v_cmp_eq_u32_e64 s11, 0, v15
	v_cmp_lt_u32_e64 s12, 1, v15
	v_cmp_lt_u32_e64 s13, 3, v15
	s_set_vgpr_msb 64                       ;  msbs: dst=1 src0=0 src1=0 src2=0
	v_sub_nc_u32_e32 v14 /*v270*/, v11, v10
	v_cmp_eq_u32_e64 s4, 0, v1
	s_set_vgpr_msb 0                        ;  msbs: dst=0 src0=0 src1=0 src2=0
	v_cndmask_b32_e64 v1, v14, v98, s6
	v_cmp_eq_u32_e32 vcc_lo, 0, v4
	s_wait_xcnt 0x0
	v_cmp_lt_u32_e64 s0, 1, v4
	v_cmp_lt_u32_e64 s1, 3, v4
	;; [unrolled: 1-line block ×3, first 2 shown]
	v_dual_lshrrev_b32 v4, 3, v22 :: v_dual_lshlrev_b32 v14, 2, v0
	s_set_vgpr_msb 64                       ;  msbs: dst=1 src0=0 src1=0 src2=0
	v_dual_lshrrev_b32 v9 /*v265*/, 5, v38 :: v_dual_lshlrev_b32 v10 /*v266*/, 2, v1
	s_set_vgpr_msb 0                        ;  msbs: dst=0 src0=0 src1=0 src2=0
	v_mov_b32_e32 v1, 0
	v_and_b32_e32 v4, 0x7c, v4
	v_lshlrev_b32_e32 v0, 2, v22
	s_set_vgpr_msb 64                       ;  msbs: dst=1 src0=0 src1=0 src2=0
	v_add_nc_u32_e32 v11 /*v267*/, v12, v14
	v_cmp_gt_u32_e64 s6, 8, v22
	s_mov_b32 s23, 0
	v_add_nc_u32_e32 v12 /*v268*/, v12, v4
	s_set_vgpr_msb 0                        ;  msbs: dst=0 src0=0 src1=0 src2=0
	v_add_nc_u64_e32 v[4:5], v[12:13], v[0:1]
	s_set_vgpr_msb 1                        ;  msbs: dst=0 src0=1 src1=0 src2=0
	v_add_nc_u32_e32 v5, v11 /*v267*/, v14
	s_wait_storecnt 0x0
	s_wait_loadcnt_dscnt 0x0
	s_barrier_signal -1
	s_barrier_wait -1
	s_set_vgpr_msb 64                       ;  msbs: dst=1 src0=0 src1=0 src2=0
	v_add_nc_u32_e32 v13 /*v269*/, 0xf00, v5
	s_set_vgpr_msb 0                        ;  msbs: dst=0 src0=0 src1=0 src2=0
	s_branch .LBB596_53
.LBB596_52:                             ;   in Loop: Header=BB596_53 Depth=1
	s_or_b32 exec_lo, exec_lo, s15
	s_delay_alu instid0(SALU_CYCLE_1) | instskip(NEXT) | instid1(SALU_CYCLE_1)
	s_and_b32 s14, exec_lo, s16
	s_or_b32 s23, s14, s23
	s_delay_alu instid0(SALU_CYCLE_1)
	s_and_not1_b32 exec_lo, exec_lo, s23
	s_cbranch_execz .LBB596_93
.LBB596_53:                             ; =>This Inner Loop Header: Depth=1
	s_wait_kmcnt 0x0
	s_set_vgpr_msb 4                        ;  msbs: dst=0 src0=0 src1=1 src2=0
	v_min_u32_e32 v0, s22, v14 /*v270*/
	s_set_vgpr_msb 64                       ;  msbs: dst=1 src0=0 src1=0 src2=0
	v_dual_mov_b32 v15 /*v271*/, v101 :: v_dual_mov_b32 v17 /*v273*/, v99
	s_set_vgpr_msb 4                        ;  msbs: dst=0 src0=0 src1=1 src2=0
	v_mov_b64_e32 v[32:33], v[70:71]
	v_mov_b64_e32 v[34:35], v[68:69]
	v_lshlrev_b32_e64 v70, v0, -1
	v_lshrrev_b32_e32 v0, v10, v15 /*v271*/
	v_mov_b64_e32 v[54:55], v[80:81]
	v_mov_b64_e32 v[30:31], v[82:83]
	v_mov_b64_e32 v[28:29], v[84:85]
	v_mov_b64_e32 v[26:27], v[86:87]
	s_set_vgpr_msb 0                        ;  msbs: dst=0 src0=0 src1=0 src2=0
	v_bitop3_b32 v68, v0, v70, v0 bitop3:0x30
	v_bitop3_b32 v0, v0, 1, v70 bitop3:0x40
	v_mov_b64_e32 v[24:25], v[96:97]
	v_mov_b64_e32 v[20:21], v[146:147]
	;; [unrolled: 1-line block ×3, first 2 shown]
	v_lshlrev_b32_e32 v69, 30, v68
	v_add_co_u32 v0, s14, v0, -1
	s_delay_alu instid0(VALU_DEP_1)
	v_cndmask_b32_e64 v71, 0, 1, s14
	v_lshlrev_b32_e32 v83, 25, v68
	v_mov_b64_e32 v[16:17], v[164:165]
	v_mov_b64_e32 v[14:15], v[176:177]
	;; [unrolled: 1-line block ×3, first 2 shown]
	v_cmp_ne_u32_e64 s14, 0, v71
	v_lshlrev_b32_e32 v71, 29, v68
	v_not_b32_e32 v80, v69
	v_cmp_gt_i32_e64 s15, 0, v69
	v_mov_b64_e32 v[48:49], v[178:179]
	v_xor_b32_e32 v0, s14, v0
	v_not_b32_e32 v81, v71
	v_ashrrev_i32_e32 v69, 31, v80
	v_cmp_gt_i32_e64 s14, 0, v71
	v_mov_b64_e32 v[36:37], v[196:197]
	v_mov_b64_e32 v[66:67], v[208:209]
	v_dual_ashrrev_i32 v71, 31, v81 :: v_dual_lshlrev_b32 v80, 28, v68
	v_dual_lshlrev_b32 v81, 27, v68 :: v_dual_bitop2_b32 v69, s15, v69 bitop3:0x14
	v_mov_b64_e32 v[64:65], v[240:241]
	s_set_vgpr_msb 64                       ;  msbs: dst=1 src0=0 src1=0 src2=0
	v_dual_mov_b32 v16 /*v272*/, v113 :: v_dual_mov_b32 v18 /*v274*/, v103
	s_set_vgpr_msb 0                        ;  msbs: dst=0 src0=0 src1=0 src2=0
	v_not_b32_e32 v82, v80
	v_cmp_gt_i32_e64 s15, 0, v80
	s_set_vgpr_msb 64                       ;  msbs: dst=1 src0=0 src1=0 src2=0
	v_dual_mov_b32 v20 /*v276*/, v117 :: v_dual_mov_b32 v19 /*v275*/, v115
	v_dual_mov_b32 v22 /*v278*/, v129 :: v_dual_mov_b32 v21 /*v277*/, v119
	s_set_vgpr_msb 0                        ;  msbs: dst=0 src0=0 src1=0 src2=0
	v_ashrrev_i32_e32 v80, 31, v82
	v_bitop3_b32 v0, v0, v69, exec_lo bitop3:0x80
	v_lshlrev_b32_e32 v69, 26, v68
	v_not_b32_e32 v82, v81
	v_xor_b32_e32 v71, s14, v71
	v_cmp_gt_i32_e64 s14, 0, v81
	s_set_vgpr_msb 64                       ;  msbs: dst=1 src0=0 src1=0 src2=0
	v_dual_mov_b32 v23 /*v279*/, v145 :: v_dual_mov_b32 v24 /*v280*/, v135
	s_set_vgpr_msb 0                        ;  msbs: dst=0 src0=0 src1=0 src2=0
	v_not_b32_e32 v81, v69
	v_dual_ashrrev_i32 v82, 31, v82 :: v_dual_bitop2_b32 v80, s15, v80 bitop3:0x14
	v_cmp_gt_i32_e64 s15, 0, v69
	s_delay_alu instid0(VALU_DEP_3) | instskip(NEXT) | instid1(VALU_DEP_3)
	v_dual_lshlrev_b32 v69, 24, v68 :: v_dual_ashrrev_i32 v81, 31, v81
	v_bitop3_b32 v0, v0, v80, v71 bitop3:0x80
	v_not_b32_e32 v71, v83
	v_xor_b32_e32 v80, s14, v82
	s_delay_alu instid0(VALU_DEP_4)
	v_not_b32_e32 v82, v69
	v_xor_b32_e32 v81, s15, v81
	v_cmp_gt_i32_e64 s14, 0, v83
	v_ashrrev_i32_e32 v71, 31, v71
	v_cmp_gt_i32_e64 s15, 0, v69
	v_ashrrev_i32_e32 v69, 31, v82
	v_bitop3_b32 v80, v0, v81, v80 bitop3:0x80
	s_set_vgpr_msb 16                       ;  msbs: dst=0 src0=0 src1=0 src2=1
	v_lshl_add_u32 v0, v68, 3, v9 /*v265*/
	v_xor_b32_e32 v71, s14, v71
	s_set_vgpr_msb 64                       ;  msbs: dst=1 src0=0 src1=0 src2=0
	v_dual_mov_b32 v26 /*v282*/, v131 :: v_dual_mov_b32 v25 /*v281*/, v133
	s_set_vgpr_msb 0                        ;  msbs: dst=0 src0=0 src1=0 src2=0
	v_xor_b32_e32 v69, s15, v69
	s_set_vgpr_msb 64                       ;  msbs: dst=1 src0=0 src1=0 src2=0
	v_dual_mov_b32 v29 /*v285*/, v161 :: v_dual_mov_b32 v28 /*v284*/, v151
	v_dual_mov_b32 v27 /*v283*/, v181 :: v_dual_mov_b32 v30 /*v286*/, v163
	s_set_vgpr_msb 0                        ;  msbs: dst=0 src0=0 src1=0 src2=0
	v_bitop3_b32 v71, v80, v69, v71 bitop3:0x80
	v_lshl_add_u64 v[68:69], v[0:1], 2, v[12:13]
	ds_store_b64 v23, v[52:53]
	s_set_vgpr_msb 1                        ;  msbs: dst=0 src0=1 src1=0 src2=0
	ds_store_b64 v3 /*v259*/, v[52:53]
	ds_store_b64 v5 /*v261*/, v[52:53]
	;; [unrolled: 1-line block ×3, first 2 shown]
	s_wait_dscnt 0x0
	s_set_vgpr_msb 0                        ;  msbs: dst=0 src0=0 src1=0 src2=0
	v_mbcnt_lo_u32_b32 v0, v71, 0
	v_add_nc_u64_e32 v[68:69], 32, v[68:69]
	v_cmp_ne_u32_e64 s15, 0, v71
	s_barrier_signal -1
	s_barrier_wait -1
	v_cmp_eq_u32_e64 s14, 0, v0
	; wave barrier
	s_and_b32 s15, s15, s14
	s_delay_alu instid0(SALU_CYCLE_1)
	s_and_saveexec_b32 s14, s15
; %bb.54:                               ;   in Loop: Header=BB596_53 Depth=1
	v_bcnt_u32_b32 v69, v71, 0
	ds_store_b32 v68, v69
; %bb.55:                               ;   in Loop: Header=BB596_53 Depth=1
	s_or_b32 exec_lo, exec_lo, s14
	v_not_b32_e32 v85, v70
	s_set_vgpr_msb 4                        ;  msbs: dst=0 src0=0 src1=1 src2=0
	v_lshrrev_b32_e32 v69, v10, v17 /*v273*/
	; wave barrier
	s_set_vgpr_msb 0                        ;  msbs: dst=0 src0=0 src1=0 src2=0
	s_delay_alu instid0(VALU_DEP_1) | instskip(SKIP_1) | instid1(VALU_DEP_2)
	v_and_b32_e32 v70, v69, v85
	v_bitop3_b32 v69, v69, 1, v85 bitop3:0x80
	v_lshlrev_b32_e32 v81, 30, v70
	s_delay_alu instid0(VALU_DEP_2) | instskip(NEXT) | instid1(VALU_DEP_1)
	v_add_co_u32 v69, s14, v69, -1
	v_cndmask_b32_e64 v80, 0, 1, s14
	s_delay_alu instid0(VALU_DEP_1) | instskip(NEXT) | instid1(VALU_DEP_4)
	v_cmp_ne_u32_e64 s14, 0, v80
	v_not_b32_e32 v80, v81
	s_delay_alu instid0(VALU_DEP_1) | instskip(SKIP_4) | instid1(VALU_DEP_4)
	v_dual_ashrrev_i32 v80, 31, v80 :: v_dual_bitop2_b32 v69, s14, v69 bitop3:0x14
	v_dual_lshlrev_b32 v82, 29, v70 :: v_dual_lshlrev_b32 v83, 28, v70
	v_lshlrev_b32_e32 v84, 27, v70
	v_cmp_gt_i32_e64 s15, 0, v81
	v_lshlrev_b32_e32 v86, 26, v70
	v_cmp_gt_i32_e64 s16, 0, v82
	v_not_b32_e32 v81, v82
	v_not_b32_e32 v82, v83
	v_cmp_gt_i32_e64 s17, 0, v83
	v_xor_b32_e32 v80, s15, v80
	v_not_b32_e32 v83, v84
	s_delay_alu instid0(VALU_DEP_4)
	v_dual_ashrrev_i32 v81, 31, v81 :: v_dual_ashrrev_i32 v82, 31, v82
	s_set_vgpr_msb 16                       ;  msbs: dst=0 src0=0 src1=0 src2=1
	v_lshl_add_u32 v71, v70, 3, v9 /*v265*/
	v_cmp_gt_i32_e64 s18, 0, v84
	v_not_b32_e32 v84, v86
	v_xor_b32_e32 v81, s16, v81
	v_xor_b32_e32 v82, s17, v82
	v_bitop3_b32 v69, v69, v80, exec_lo bitop3:0x80
	v_dual_ashrrev_i32 v80, 31, v83 :: v_dual_lshlrev_b32 v83, 25, v70
	v_lshlrev_b32_e32 v70, 24, v70
	v_cmp_gt_i32_e64 s14, 0, v86
	v_ashrrev_i32_e32 v84, 31, v84
	s_set_vgpr_msb 0                        ;  msbs: dst=0 src0=0 src1=0 src2=0
	v_bitop3_b32 v69, v69, v82, v81 bitop3:0x80
	v_not_b32_e32 v81, v83
	v_xor_b32_e32 v80, s18, v80
	v_not_b32_e32 v82, v70
	v_xor_b32_e32 v84, s14, v84
	v_cmp_gt_i32_e64 s14, 0, v83
	v_ashrrev_i32_e32 v81, 31, v81
	v_cmp_gt_i32_e64 s15, 0, v70
	v_ashrrev_i32_e32 v70, 31, v82
	v_lshl_add_u32 v71, v71, 2, v12
	v_bitop3_b32 v80, v69, v84, v80 bitop3:0x80
	v_xor_b32_e32 v81, s14, v81
	s_delay_alu instid0(VALU_DEP_4) | instskip(SKIP_3) | instid1(VALU_DEP_1)
	v_xor_b32_e32 v70, s15, v70
	ds_load_b32 v69, v71 offset:32
	v_add_nc_u32_e32 v71, 32, v71
	; wave barrier
	v_bitop3_b32 v80, v80, v70, v81 bitop3:0x80
	v_mbcnt_lo_u32_b32 v70, v80, 0
	v_cmp_ne_u32_e64 s15, 0, v80
	s_delay_alu instid0(VALU_DEP_2) | instskip(SKIP_1) | instid1(SALU_CYCLE_1)
	v_cmp_eq_u32_e64 s14, 0, v70
	s_and_b32 s15, s15, s14
	s_and_saveexec_b32 s14, s15
	s_cbranch_execz .LBB596_57
; %bb.56:                               ;   in Loop: Header=BB596_53 Depth=1
	s_wait_dscnt 0x0
	v_bcnt_u32_b32 v80, v80, v69
	ds_store_b32 v71, v80
.LBB596_57:                             ;   in Loop: Header=BB596_53 Depth=1
	s_or_b32 exec_lo, exec_lo, s14
	s_set_vgpr_msb 4                        ;  msbs: dst=0 src0=0 src1=1 src2=0
	v_lshrrev_b32_e32 v80, v10, v16 /*v272*/
	; wave barrier
	s_set_vgpr_msb 0                        ;  msbs: dst=0 src0=0 src1=0 src2=0
	s_delay_alu instid0(VALU_DEP_1) | instskip(SKIP_1) | instid1(VALU_DEP_2)
	v_and_b32_e32 v81, v80, v85
	v_bitop3_b32 v80, v80, 1, v85 bitop3:0x80
	v_lshlrev_b32_e32 v84, 30, v81
	s_delay_alu instid0(VALU_DEP_2) | instskip(NEXT) | instid1(VALU_DEP_1)
	v_add_co_u32 v80, s14, v80, -1
	v_cndmask_b32_e64 v83, 0, 1, s14
	s_delay_alu instid0(VALU_DEP_1) | instskip(NEXT) | instid1(VALU_DEP_4)
	v_cmp_ne_u32_e64 s14, 0, v83
	v_not_b32_e32 v83, v84
	s_delay_alu instid0(VALU_DEP_1)
	v_dual_ashrrev_i32 v83, 31, v83 :: v_dual_bitop2_b32 v80, s14, v80 bitop3:0x14
	v_dual_lshlrev_b32 v86, 29, v81 :: v_dual_lshlrev_b32 v87, 28, v81
	v_lshlrev_b32_e32 v96, 27, v81
	v_cmp_gt_i32_e64 s15, 0, v84
	s_set_vgpr_msb 16                       ;  msbs: dst=0 src0=0 src1=0 src2=1
	v_lshl_add_u32 v82, v81, 3, v9 /*v265*/
	v_cmp_gt_i32_e64 s16, 0, v86
	v_not_b32_e32 v84, v86
	v_not_b32_e32 v86, v87
	v_dual_lshlrev_b32 v97, 26, v81 :: v_dual_lshlrev_b32 v98, 25, v81
	v_lshlrev_b32_e32 v81, 24, v81
	v_cmp_gt_i32_e64 s17, 0, v87
	s_delay_alu instid0(VALU_DEP_4) | instskip(SKIP_3) | instid1(VALU_DEP_4)
	v_dual_ashrrev_i32 v84, 31, v84 :: v_dual_ashrrev_i32 v86, 31, v86
	v_xor_b32_e32 v83, s15, v83
	v_not_b32_e32 v87, v96
	v_not_b32_e32 v99, v97
	v_xor_b32_e32 v84, s16, v84
	v_xor_b32_e32 v86, s17, v86
	v_bitop3_b32 v80, v80, v83, exec_lo bitop3:0x80
	v_cmp_gt_i32_e64 s14, 0, v96
	v_ashrrev_i32_e32 v83, 31, v87
	v_cmp_gt_i32_e64 s15, 0, v97
	v_ashrrev_i32_e32 v87, 31, v99
	s_set_vgpr_msb 0                        ;  msbs: dst=0 src0=0 src1=0 src2=0
	v_bitop3_b32 v80, v80, v86, v84 bitop3:0x80
	v_not_b32_e32 v84, v98
	v_not_b32_e32 v86, v81
	v_xor_b32_e32 v83, s14, v83
	v_cmp_gt_i32_e64 s14, 0, v98
	v_lshl_add_u32 v82, v82, 2, v12
	v_dual_ashrrev_i32 v84, 31, v84 :: v_dual_bitop2_b32 v87, s15, v87 bitop3:0x14
	v_cmp_gt_i32_e64 s15, 0, v81
	v_ashrrev_i32_e32 v81, 31, v86
	s_delay_alu instid0(VALU_DEP_3) | instskip(NEXT) | instid1(VALU_DEP_4)
	v_bitop3_b32 v83, v80, v87, v83 bitop3:0x80
	v_xor_b32_e32 v84, s14, v84
	ds_load_b32 v80, v82 offset:32
	v_dual_add_nc_u32 v82, 32, v82 :: v_dual_bitop2_b32 v81, s15, v81 bitop3:0x14
	; wave barrier
	s_delay_alu instid0(VALU_DEP_1) | instskip(NEXT) | instid1(VALU_DEP_1)
	v_bitop3_b32 v83, v83, v81, v84 bitop3:0x80
	v_mbcnt_lo_u32_b32 v81, v83, 0
	v_cmp_ne_u32_e64 s15, 0, v83
	s_delay_alu instid0(VALU_DEP_2) | instskip(SKIP_1) | instid1(SALU_CYCLE_1)
	v_cmp_eq_u32_e64 s14, 0, v81
	s_and_b32 s15, s15, s14
	s_and_saveexec_b32 s14, s15
	s_cbranch_execz .LBB596_59
; %bb.58:                               ;   in Loop: Header=BB596_53 Depth=1
	s_wait_dscnt 0x0
	v_bcnt_u32_b32 v83, v83, v80
	ds_store_b32 v82, v83
.LBB596_59:                             ;   in Loop: Header=BB596_53 Depth=1
	s_or_b32 exec_lo, exec_lo, s14
	s_set_vgpr_msb 4                        ;  msbs: dst=0 src0=0 src1=1 src2=0
	v_lshrrev_b32_e32 v83, v10, v18 /*v274*/
	; wave barrier
	s_set_vgpr_msb 0                        ;  msbs: dst=0 src0=0 src1=0 src2=0
	s_delay_alu instid0(VALU_DEP_1) | instskip(SKIP_1) | instid1(VALU_DEP_2)
	v_and_b32_e32 v84, v83, v85
	v_bitop3_b32 v83, v83, 1, v85 bitop3:0x80
	v_lshlrev_b32_e32 v96, 30, v84
	s_delay_alu instid0(VALU_DEP_2) | instskip(NEXT) | instid1(VALU_DEP_1)
	v_add_co_u32 v83, s14, v83, -1
	v_cndmask_b32_e64 v87, 0, 1, s14
	s_delay_alu instid0(VALU_DEP_1) | instskip(NEXT) | instid1(VALU_DEP_4)
	v_cmp_ne_u32_e64 s14, 0, v87
	v_not_b32_e32 v87, v96
	s_delay_alu instid0(VALU_DEP_2) | instskip(NEXT) | instid1(VALU_DEP_2)
	v_xor_b32_e32 v83, s14, v83
	v_dual_ashrrev_i32 v87, 31, v87 :: v_dual_lshlrev_b32 v97, 29, v84
	v_dual_lshlrev_b32 v98, 28, v84 :: v_dual_lshlrev_b32 v99, 27, v84
	v_dual_lshlrev_b32 v100, 26, v84 :: v_dual_lshlrev_b32 v101, 25, v84
	v_cmp_gt_i32_e64 s15, 0, v96
	s_delay_alu instid0(VALU_DEP_4)
	v_cmp_gt_i32_e64 s16, 0, v97
	v_not_b32_e32 v96, v97
	v_not_b32_e32 v97, v98
	s_set_vgpr_msb 16                       ;  msbs: dst=0 src0=0 src1=0 src2=1
	v_lshl_add_u32 v86, v84, 3, v9 /*v265*/
	v_lshlrev_b32_e32 v84, 24, v84
	v_cmp_gt_i32_e64 s17, 0, v98
	v_dual_ashrrev_i32 v96, 31, v96 :: v_dual_ashrrev_i32 v97, 31, v97
	v_not_b32_e32 v102, v100
	v_xor_b32_e32 v87, s15, v87
	v_not_b32_e32 v98, v99
	s_delay_alu instid0(VALU_DEP_4)
	v_xor_b32_e32 v96, s16, v96
	v_xor_b32_e32 v97, s17, v97
	v_cmp_gt_i32_e64 s14, 0, v99
	v_bitop3_b32 v83, v83, v87, exec_lo bitop3:0x80
	v_ashrrev_i32_e32 v87, 31, v98
	v_cmp_gt_i32_e64 s15, 0, v100
	v_ashrrev_i32_e32 v98, 31, v102
	s_set_vgpr_msb 0                        ;  msbs: dst=0 src0=0 src1=0 src2=0
	v_lshl_add_u32 v86, v86, 2, v12
	v_bitop3_b32 v83, v83, v97, v96 bitop3:0x80
	v_not_b32_e32 v96, v101
	v_not_b32_e32 v97, v84
	v_xor_b32_e32 v87, s14, v87
	v_xor_b32_e32 v98, s15, v98
	v_cmp_gt_i32_e64 s14, 0, v101
	v_ashrrev_i32_e32 v96, 31, v96
	v_cmp_gt_i32_e64 s15, 0, v84
	v_ashrrev_i32_e32 v84, 31, v97
	v_bitop3_b32 v87, v83, v98, v87 bitop3:0x80
	ds_load_b32 v83, v86 offset:32
	v_dual_add_nc_u32 v86, 32, v86 :: v_dual_bitop2_b32 v96, s14, v96 bitop3:0x14
	v_xor_b32_e32 v84, s15, v84
	; wave barrier
	s_delay_alu instid0(VALU_DEP_1) | instskip(NEXT) | instid1(VALU_DEP_1)
	v_bitop3_b32 v87, v87, v84, v96 bitop3:0x80
	v_mbcnt_lo_u32_b32 v84, v87, 0
	v_cmp_ne_u32_e64 s15, 0, v87
	s_delay_alu instid0(VALU_DEP_2) | instskip(SKIP_1) | instid1(SALU_CYCLE_1)
	v_cmp_eq_u32_e64 s14, 0, v84
	s_and_b32 s15, s15, s14
	s_and_saveexec_b32 s14, s15
	s_cbranch_execz .LBB596_61
; %bb.60:                               ;   in Loop: Header=BB596_53 Depth=1
	s_wait_dscnt 0x0
	v_bcnt_u32_b32 v87, v87, v83
	ds_store_b32 v86, v87
.LBB596_61:                             ;   in Loop: Header=BB596_53 Depth=1
	s_or_b32 exec_lo, exec_lo, s14
	s_set_vgpr_msb 4                        ;  msbs: dst=0 src0=0 src1=1 src2=0
	v_lshrrev_b32_e32 v87, v10, v20 /*v276*/
	; wave barrier
	s_set_vgpr_msb 0                        ;  msbs: dst=0 src0=0 src1=0 src2=0
	s_delay_alu instid0(VALU_DEP_1) | instskip(SKIP_1) | instid1(VALU_DEP_2)
	v_and_b32_e32 v96, v87, v85
	v_bitop3_b32 v87, v87, 1, v85 bitop3:0x80
	v_lshlrev_b32_e32 v99, 30, v96
	s_delay_alu instid0(VALU_DEP_2) | instskip(NEXT) | instid1(VALU_DEP_1)
	v_add_co_u32 v87, s14, v87, -1
	v_cndmask_b32_e64 v98, 0, 1, s14
	s_delay_alu instid0(VALU_DEP_1) | instskip(NEXT) | instid1(VALU_DEP_4)
	v_cmp_ne_u32_e64 s14, 0, v98
	v_not_b32_e32 v98, v99
	s_delay_alu instid0(VALU_DEP_1) | instskip(SKIP_4) | instid1(VALU_DEP_4)
	v_dual_ashrrev_i32 v98, 31, v98 :: v_dual_bitop2_b32 v87, s14, v87 bitop3:0x14
	v_dual_lshlrev_b32 v100, 29, v96 :: v_dual_lshlrev_b32 v101, 28, v96
	v_dual_lshlrev_b32 v102, 27, v96 :: v_dual_lshlrev_b32 v103, 26, v96
	v_lshlrev_b32_e32 v112, 25, v96
	v_cmp_gt_i32_e64 s15, 0, v99
	v_cmp_gt_i32_e64 s16, 0, v100
	v_not_b32_e32 v99, v100
	v_not_b32_e32 v100, v101
	s_set_vgpr_msb 16                       ;  msbs: dst=0 src0=0 src1=0 src2=1
	v_lshl_add_u32 v97, v96, 3, v9 /*v265*/
	v_lshlrev_b32_e32 v96, 24, v96
	v_cmp_gt_i32_e64 s17, 0, v101
	v_dual_ashrrev_i32 v99, 31, v99 :: v_dual_ashrrev_i32 v100, 31, v100
	v_not_b32_e32 v113, v103
	v_xor_b32_e32 v98, s15, v98
	v_not_b32_e32 v101, v102
	s_delay_alu instid0(VALU_DEP_4)
	v_xor_b32_e32 v99, s16, v99
	v_xor_b32_e32 v100, s17, v100
	v_cmp_gt_i32_e64 s14, 0, v102
	v_bitop3_b32 v87, v87, v98, exec_lo bitop3:0x80
	v_ashrrev_i32_e32 v98, 31, v101
	v_cmp_gt_i32_e64 s15, 0, v103
	v_ashrrev_i32_e32 v101, 31, v113
	s_set_vgpr_msb 0                        ;  msbs: dst=0 src0=0 src1=0 src2=0
	v_lshl_add_u32 v97, v97, 2, v12
	v_bitop3_b32 v87, v87, v100, v99 bitop3:0x80
	v_not_b32_e32 v99, v112
	v_not_b32_e32 v100, v96
	v_xor_b32_e32 v98, s14, v98
	v_xor_b32_e32 v101, s15, v101
	v_cmp_gt_i32_e64 s14, 0, v112
	v_ashrrev_i32_e32 v99, 31, v99
	v_cmp_gt_i32_e64 s15, 0, v96
	v_ashrrev_i32_e32 v96, 31, v100
	v_bitop3_b32 v98, v87, v101, v98 bitop3:0x80
	ds_load_b32 v87, v97 offset:32
	v_dual_add_nc_u32 v97, 32, v97 :: v_dual_bitop2_b32 v99, s14, v99 bitop3:0x14
	v_xor_b32_e32 v96, s15, v96
	; wave barrier
	s_delay_alu instid0(VALU_DEP_1) | instskip(NEXT) | instid1(VALU_DEP_1)
	v_bitop3_b32 v98, v98, v96, v99 bitop3:0x80
	v_mbcnt_lo_u32_b32 v96, v98, 0
	v_cmp_ne_u32_e64 s15, 0, v98
	s_delay_alu instid0(VALU_DEP_2) | instskip(SKIP_1) | instid1(SALU_CYCLE_1)
	v_cmp_eq_u32_e64 s14, 0, v96
	s_and_b32 s15, s15, s14
	s_and_saveexec_b32 s14, s15
	s_cbranch_execz .LBB596_63
; %bb.62:                               ;   in Loop: Header=BB596_53 Depth=1
	s_wait_dscnt 0x0
	v_bcnt_u32_b32 v98, v98, v87
	ds_store_b32 v97, v98
.LBB596_63:                             ;   in Loop: Header=BB596_53 Depth=1
	s_or_b32 exec_lo, exec_lo, s14
	s_set_vgpr_msb 4                        ;  msbs: dst=0 src0=0 src1=1 src2=0
	v_lshrrev_b32_e32 v98, v10, v19 /*v275*/
	; wave barrier
	s_set_vgpr_msb 0                        ;  msbs: dst=0 src0=0 src1=0 src2=0
	s_delay_alu instid0(VALU_DEP_1) | instskip(SKIP_1) | instid1(VALU_DEP_2)
	v_and_b32_e32 v99, v98, v85
	v_bitop3_b32 v98, v98, 1, v85 bitop3:0x80
	v_dual_lshlrev_b32 v102, 30, v99 :: v_dual_lshlrev_b32 v103, 29, v99
	s_delay_alu instid0(VALU_DEP_2) | instskip(NEXT) | instid1(VALU_DEP_1)
	v_add_co_u32 v98, s14, v98, -1
	v_cndmask_b32_e64 v101, 0, 1, s14
	s_delay_alu instid0(VALU_DEP_3) | instskip(NEXT) | instid1(VALU_DEP_4)
	v_cmp_gt_i32_e64 s15, 0, v102
	v_cmp_gt_i32_e64 s16, 0, v103
	s_delay_alu instid0(VALU_DEP_3) | instskip(SKIP_2) | instid1(VALU_DEP_1)
	v_cmp_ne_u32_e64 s14, 0, v101
	v_not_b32_e32 v101, v102
	v_not_b32_e32 v102, v103
	v_dual_ashrrev_i32 v101, 31, v101 :: v_dual_ashrrev_i32 v102, 31, v102
	v_dual_lshlrev_b32 v112, 28, v99 :: v_dual_lshlrev_b32 v113, 27, v99
	s_set_vgpr_msb 16                       ;  msbs: dst=0 src0=0 src1=0 src2=1
	v_lshl_add_u32 v100, v99, 3, v9 /*v265*/
	v_dual_lshlrev_b32 v114, 26, v99 :: v_dual_lshlrev_b32 v115, 25, v99
	v_lshlrev_b32_e32 v99, 24, v99
	v_not_b32_e32 v103, v112
	v_cmp_gt_i32_e64 s17, 0, v112
	v_xor_b32_e32 v98, s14, v98
	v_not_b32_e32 v116, v114
	s_delay_alu instid0(VALU_DEP_4) | instskip(SKIP_3) | instid1(VALU_DEP_4)
	v_dual_ashrrev_i32 v103, 31, v103 :: v_dual_bitop2_b32 v101, s15, v101 bitop3:0x14
	v_not_b32_e32 v112, v113
	v_xor_b32_e32 v102, s16, v102
	v_cmp_gt_i32_e64 s14, 0, v113
	v_bitop3_b32 v98, v98, v101, exec_lo bitop3:0x80
	s_delay_alu instid0(VALU_DEP_4)
	v_dual_ashrrev_i32 v101, 31, v112 :: v_dual_bitop2_b32 v103, s17, v103 bitop3:0x14
	v_cmp_gt_i32_e64 s15, 0, v114
	v_ashrrev_i32_e32 v112, 31, v116
	s_set_vgpr_msb 0                        ;  msbs: dst=0 src0=0 src1=0 src2=0
	v_lshl_add_u32 v100, v100, 2, v12
	v_bitop3_b32 v98, v98, v103, v102 bitop3:0x80
	v_not_b32_e32 v102, v115
	v_not_b32_e32 v103, v99
	v_xor_b32_e32 v101, s14, v101
	v_xor_b32_e32 v112, s15, v112
	v_cmp_gt_i32_e64 s14, 0, v115
	v_ashrrev_i32_e32 v102, 31, v102
	v_cmp_gt_i32_e64 s15, 0, v99
	v_ashrrev_i32_e32 v99, 31, v103
	v_bitop3_b32 v98, v98, v112, v101 bitop3:0x80
	s_delay_alu instid0(VALU_DEP_4) | instskip(SKIP_2) | instid1(VALU_DEP_1)
	v_xor_b32_e32 v101, s14, v102
	ds_load_b32 v102, v100 offset:32
	v_xor_b32_e32 v99, s15, v99
	; wave barrier
	v_bitop3_b32 v99, v98, v99, v101 bitop3:0x80
	v_add_nc_u32_e32 v98, 32, v100
	s_delay_alu instid0(VALU_DEP_2) | instskip(SKIP_1) | instid1(VALU_DEP_2)
	v_mbcnt_lo_u32_b32 v114, v99, 0
	v_cmp_ne_u32_e64 s15, 0, v99
	v_cmp_eq_u32_e64 s14, 0, v114
	s_and_b32 s15, s15, s14
	s_delay_alu instid0(SALU_CYCLE_1)
	s_and_saveexec_b32 s14, s15
	s_cbranch_execz .LBB596_65
; %bb.64:                               ;   in Loop: Header=BB596_53 Depth=1
	s_wait_dscnt 0x0
	v_bcnt_u32_b32 v99, v99, v102
	ds_store_b32 v98, v99
.LBB596_65:                             ;   in Loop: Header=BB596_53 Depth=1
	s_or_b32 exec_lo, exec_lo, s14
	s_set_vgpr_msb 4                        ;  msbs: dst=0 src0=0 src1=1 src2=0
	v_lshrrev_b32_e32 v99, v10, v22 /*v278*/
	; wave barrier
	s_set_vgpr_msb 0                        ;  msbs: dst=0 src0=0 src1=0 src2=0
	s_delay_alu instid0(VALU_DEP_1) | instskip(SKIP_1) | instid1(VALU_DEP_2)
	v_and_b32_e32 v100, v99, v85
	v_bitop3_b32 v99, v99, 1, v85 bitop3:0x80
	v_lshlrev_b32_e32 v112, 30, v100
	s_delay_alu instid0(VALU_DEP_2) | instskip(NEXT) | instid1(VALU_DEP_1)
	v_add_co_u32 v99, s14, v99, -1
	v_cndmask_b32_e64 v103, 0, 1, s14
	s_delay_alu instid0(VALU_DEP_1) | instskip(NEXT) | instid1(VALU_DEP_4)
	v_cmp_ne_u32_e64 s14, 0, v103
	v_not_b32_e32 v103, v112
	s_delay_alu instid0(VALU_DEP_2) | instskip(NEXT) | instid1(VALU_DEP_2)
	v_xor_b32_e32 v99, s14, v99
	v_dual_ashrrev_i32 v103, 31, v103 :: v_dual_lshlrev_b32 v113, 29, v100
	v_dual_lshlrev_b32 v115, 28, v100 :: v_dual_lshlrev_b32 v116, 27, v100
	v_cmp_gt_i32_e64 s15, 0, v112
	s_set_vgpr_msb 16                       ;  msbs: dst=0 src0=0 src1=0 src2=1
	v_lshl_add_u32 v101, v100, 3, v9 /*v265*/
	v_cmp_gt_i32_e64 s16, 0, v113
	v_not_b32_e32 v112, v113
	v_not_b32_e32 v113, v115
	v_dual_lshlrev_b32 v117, 26, v100 :: v_dual_lshlrev_b32 v118, 25, v100
	v_lshlrev_b32_e32 v100, 24, v100
	v_cmp_gt_i32_e64 s17, 0, v115
	s_delay_alu instid0(VALU_DEP_4) | instskip(SKIP_3) | instid1(VALU_DEP_4)
	v_dual_ashrrev_i32 v112, 31, v112 :: v_dual_ashrrev_i32 v113, 31, v113
	v_xor_b32_e32 v103, s15, v103
	v_not_b32_e32 v115, v116
	v_not_b32_e32 v119, v117
	v_xor_b32_e32 v112, s16, v112
	v_xor_b32_e32 v113, s17, v113
	v_bitop3_b32 v99, v99, v103, exec_lo bitop3:0x80
	v_cmp_gt_i32_e64 s14, 0, v116
	v_ashrrev_i32_e32 v103, 31, v115
	v_cmp_gt_i32_e64 s15, 0, v117
	v_ashrrev_i32_e32 v115, 31, v119
	s_set_vgpr_msb 0                        ;  msbs: dst=0 src0=0 src1=0 src2=0
	v_bitop3_b32 v99, v99, v113, v112 bitop3:0x80
	v_not_b32_e32 v112, v118
	v_not_b32_e32 v113, v100
	v_xor_b32_e32 v103, s14, v103
	v_cmp_gt_i32_e64 s14, 0, v118
	v_lshl_add_u32 v101, v101, 2, v12
	v_dual_ashrrev_i32 v112, 31, v112 :: v_dual_bitop2_b32 v115, s15, v115 bitop3:0x14
	v_cmp_gt_i32_e64 s15, 0, v100
	v_ashrrev_i32_e32 v100, 31, v113
	ds_load_b32 v116, v101 offset:32
	v_bitop3_b32 v99, v99, v115, v103 bitop3:0x80
	v_xor_b32_e32 v103, s14, v112
	v_xor_b32_e32 v100, s15, v100
	; wave barrier
	s_delay_alu instid0(VALU_DEP_1) | instskip(SKIP_1) | instid1(VALU_DEP_2)
	v_bitop3_b32 v99, v99, v100, v103 bitop3:0x80
	v_add_nc_u32_e32 v100, 32, v101
	v_mbcnt_lo_u32_b32 v128, v99, 0
	v_cmp_ne_u32_e64 s15, 0, v99
	s_delay_alu instid0(VALU_DEP_2) | instskip(SKIP_1) | instid1(SALU_CYCLE_1)
	v_cmp_eq_u32_e64 s14, 0, v128
	s_and_b32 s15, s15, s14
	s_and_saveexec_b32 s14, s15
	s_cbranch_execz .LBB596_67
; %bb.66:                               ;   in Loop: Header=BB596_53 Depth=1
	s_wait_dscnt 0x0
	v_bcnt_u32_b32 v99, v99, v116
	ds_store_b32 v100, v99
.LBB596_67:                             ;   in Loop: Header=BB596_53 Depth=1
	s_or_b32 exec_lo, exec_lo, s14
	s_set_vgpr_msb 4                        ;  msbs: dst=0 src0=0 src1=1 src2=0
	v_lshrrev_b32_e32 v99, v10, v21 /*v277*/
	; wave barrier
	s_set_vgpr_msb 0                        ;  msbs: dst=0 src0=0 src1=0 src2=0
	s_delay_alu instid0(VALU_DEP_1) | instskip(SKIP_1) | instid1(VALU_DEP_2)
	v_and_b32_e32 v101, v99, v85
	v_bitop3_b32 v99, v99, 1, v85 bitop3:0x80
	v_lshlrev_b32_e32 v113, 30, v101
	s_delay_alu instid0(VALU_DEP_2) | instskip(NEXT) | instid1(VALU_DEP_1)
	v_add_co_u32 v99, s14, v99, -1
	v_cndmask_b32_e64 v112, 0, 1, s14
	s_delay_alu instid0(VALU_DEP_1) | instskip(NEXT) | instid1(VALU_DEP_4)
	v_cmp_ne_u32_e64 s14, 0, v112
	v_not_b32_e32 v112, v113
	s_delay_alu instid0(VALU_DEP_1) | instskip(SKIP_4) | instid1(VALU_DEP_4)
	v_dual_ashrrev_i32 v112, 31, v112 :: v_dual_bitop2_b32 v99, s14, v99 bitop3:0x14
	v_dual_lshlrev_b32 v115, 29, v101 :: v_dual_lshlrev_b32 v117, 28, v101
	v_dual_lshlrev_b32 v118, 27, v101 :: v_dual_lshlrev_b32 v119, 26, v101
	v_lshlrev_b32_e32 v129, 25, v101
	v_cmp_gt_i32_e64 s15, 0, v113
	v_cmp_gt_i32_e64 s16, 0, v115
	v_not_b32_e32 v113, v115
	v_not_b32_e32 v115, v117
	s_set_vgpr_msb 16                       ;  msbs: dst=0 src0=0 src1=0 src2=1
	v_lshl_add_u32 v103, v101, 3, v9 /*v265*/
	v_lshlrev_b32_e32 v101, 24, v101
	v_cmp_gt_i32_e64 s17, 0, v117
	v_dual_ashrrev_i32 v113, 31, v113 :: v_dual_ashrrev_i32 v115, 31, v115
	v_not_b32_e32 v130, v119
	v_xor_b32_e32 v112, s15, v112
	v_not_b32_e32 v117, v118
	s_delay_alu instid0(VALU_DEP_4)
	v_xor_b32_e32 v113, s16, v113
	v_xor_b32_e32 v115, s17, v115
	v_cmp_gt_i32_e64 s14, 0, v118
	v_bitop3_b32 v99, v99, v112, exec_lo bitop3:0x80
	v_ashrrev_i32_e32 v112, 31, v117
	v_cmp_gt_i32_e64 s15, 0, v119
	v_ashrrev_i32_e32 v117, 31, v130
	s_set_vgpr_msb 0                        ;  msbs: dst=0 src0=0 src1=0 src2=0
	v_lshl_add_u32 v103, v103, 2, v12
	v_bitop3_b32 v99, v99, v115, v113 bitop3:0x80
	v_not_b32_e32 v113, v129
	v_not_b32_e32 v115, v101
	v_xor_b32_e32 v112, s14, v112
	v_xor_b32_e32 v117, s15, v117
	v_cmp_gt_i32_e64 s14, 0, v129
	v_ashrrev_i32_e32 v113, 31, v113
	v_cmp_gt_i32_e64 s15, 0, v101
	v_ashrrev_i32_e32 v101, 31, v115
	v_bitop3_b32 v99, v99, v117, v112 bitop3:0x80
	ds_load_b32 v132, v103 offset:32
	v_xor_b32_e32 v112, s14, v113
	v_xor_b32_e32 v101, s15, v101
	; wave barrier
	s_delay_alu instid0(VALU_DEP_1) | instskip(SKIP_1) | instid1(VALU_DEP_2)
	v_bitop3_b32 v99, v99, v101, v112 bitop3:0x80
	v_add_nc_u32_e32 v112, 32, v103
	v_mbcnt_lo_u32_b32 v134, v99, 0
	v_cmp_ne_u32_e64 s15, 0, v99
	s_delay_alu instid0(VALU_DEP_2) | instskip(SKIP_1) | instid1(SALU_CYCLE_1)
	v_cmp_eq_u32_e64 s14, 0, v134
	s_and_b32 s15, s15, s14
	s_and_saveexec_b32 s14, s15
	s_cbranch_execz .LBB596_69
; %bb.68:                               ;   in Loop: Header=BB596_53 Depth=1
	s_wait_dscnt 0x0
	v_bcnt_u32_b32 v99, v99, v132
	ds_store_b32 v112, v99
.LBB596_69:                             ;   in Loop: Header=BB596_53 Depth=1
	s_or_b32 exec_lo, exec_lo, s14
	s_set_vgpr_msb 4                        ;  msbs: dst=0 src0=0 src1=1 src2=0
	v_lshrrev_b32_e32 v99, v10, v23 /*v279*/
	; wave barrier
	s_set_vgpr_msb 0                        ;  msbs: dst=0 src0=0 src1=0 src2=0
	s_delay_alu instid0(VALU_DEP_1) | instskip(SKIP_1) | instid1(VALU_DEP_2)
	v_and_b32_e32 v101, v99, v85
	v_bitop3_b32 v99, v99, 1, v85 bitop3:0x80
	v_dual_lshlrev_b32 v115, 30, v101 :: v_dual_lshlrev_b32 v117, 29, v101
	s_delay_alu instid0(VALU_DEP_2) | instskip(NEXT) | instid1(VALU_DEP_1)
	v_add_co_u32 v99, s14, v99, -1
	v_cndmask_b32_e64 v113, 0, 1, s14
	s_delay_alu instid0(VALU_DEP_3) | instskip(NEXT) | instid1(VALU_DEP_4)
	v_cmp_gt_i32_e64 s15, 0, v115
	v_cmp_gt_i32_e64 s16, 0, v117
	s_delay_alu instid0(VALU_DEP_3) | instskip(SKIP_2) | instid1(VALU_DEP_3)
	v_cmp_ne_u32_e64 s14, 0, v113
	v_not_b32_e32 v113, v115
	v_not_b32_e32 v115, v117
	v_xor_b32_e32 v99, s14, v99
	s_delay_alu instid0(VALU_DEP_2) | instskip(SKIP_2) | instid1(VALU_DEP_3)
	v_dual_ashrrev_i32 v115, 31, v115 :: v_dual_lshlrev_b32 v118, 28, v101
	v_dual_lshlrev_b32 v119, 27, v101 :: v_dual_lshlrev_b32 v129, 26, v101
	v_lshlrev_b32_e32 v130, 25, v101
	v_dual_ashrrev_i32 v113, 31, v113 :: v_dual_bitop2_b32 v115, s16, v115 bitop3:0x14
	s_delay_alu instid0(VALU_DEP_4)
	v_not_b32_e32 v117, v118
	s_set_vgpr_msb 16                       ;  msbs: dst=0 src0=0 src1=0 src2=1
	v_lshl_add_u32 v103, v101, 3, v9 /*v265*/
	v_lshlrev_b32_e32 v101, 24, v101
	v_cmp_gt_i32_e64 s17, 0, v118
	v_not_b32_e32 v118, v119
	v_ashrrev_i32_e32 v117, 31, v117
	v_not_b32_e32 v131, v129
	v_xor_b32_e32 v113, s15, v113
	v_cmp_gt_i32_e64 s14, 0, v119
	v_cmp_gt_i32_e64 s15, 0, v129
	s_set_vgpr_msb 0                        ;  msbs: dst=0 src0=0 src1=0 src2=0
	v_lshl_add_u32 v103, v103, 2, v12
	v_bitop3_b32 v99, v99, v113, exec_lo bitop3:0x80
	v_dual_ashrrev_i32 v113, 31, v118 :: v_dual_bitop2_b32 v117, s17, v117 bitop3:0x14
	v_ashrrev_i32_e32 v118, 31, v131
	ds_load_b32 v144, v103 offset:32
	v_xor_b32_e32 v113, s14, v113
	v_bitop3_b32 v99, v99, v117, v115 bitop3:0x80
	v_not_b32_e32 v115, v130
	v_not_b32_e32 v117, v101
	v_xor_b32_e32 v118, s15, v118
	v_cmp_gt_i32_e64 s14, 0, v130
	v_cmp_gt_i32_e64 s15, 0, v101
	s_delay_alu instid0(VALU_DEP_4) | instskip(NEXT) | instid1(VALU_DEP_4)
	v_dual_ashrrev_i32 v115, 31, v115 :: v_dual_ashrrev_i32 v101, 31, v117
	v_bitop3_b32 v99, v99, v118, v113 bitop3:0x80
	v_add_nc_u32_e32 v118, 32, v103
	; wave barrier
	s_delay_alu instid0(VALU_DEP_3) | instskip(NEXT) | instid1(VALU_DEP_4)
	v_xor_b32_e32 v113, s14, v115
	v_xor_b32_e32 v101, s15, v101
	s_delay_alu instid0(VALU_DEP_1) | instskip(NEXT) | instid1(VALU_DEP_1)
	v_bitop3_b32 v99, v99, v101, v113 bitop3:0x80
	v_mbcnt_lo_u32_b32 v146, v99, 0
	v_cmp_ne_u32_e64 s15, 0, v99
	s_delay_alu instid0(VALU_DEP_2) | instskip(SKIP_1) | instid1(SALU_CYCLE_1)
	v_cmp_eq_u32_e64 s14, 0, v146
	s_and_b32 s15, s15, s14
	s_and_saveexec_b32 s14, s15
	s_cbranch_execz .LBB596_71
; %bb.70:                               ;   in Loop: Header=BB596_53 Depth=1
	s_wait_dscnt 0x0
	v_bcnt_u32_b32 v99, v99, v144
	ds_store_b32 v118, v99
.LBB596_71:                             ;   in Loop: Header=BB596_53 Depth=1
	s_or_b32 exec_lo, exec_lo, s14
	s_set_vgpr_msb 4                        ;  msbs: dst=0 src0=0 src1=1 src2=0
	v_lshrrev_b32_e32 v99, v10, v24 /*v280*/
	; wave barrier
	s_set_vgpr_msb 0                        ;  msbs: dst=0 src0=0 src1=0 src2=0
	s_delay_alu instid0(VALU_DEP_1) | instskip(SKIP_1) | instid1(VALU_DEP_2)
	v_and_b32_e32 v101, v99, v85
	v_bitop3_b32 v99, v99, 1, v85 bitop3:0x80
	v_dual_lshlrev_b32 v115, 30, v101 :: v_dual_lshlrev_b32 v117, 29, v101
	s_delay_alu instid0(VALU_DEP_2) | instskip(NEXT) | instid1(VALU_DEP_1)
	v_add_co_u32 v99, s14, v99, -1
	v_cndmask_b32_e64 v113, 0, 1, s14
	s_delay_alu instid0(VALU_DEP_3) | instskip(NEXT) | instid1(VALU_DEP_4)
	v_cmp_gt_i32_e64 s15, 0, v115
	v_cmp_gt_i32_e64 s16, 0, v117
	s_delay_alu instid0(VALU_DEP_3) | instskip(SKIP_2) | instid1(VALU_DEP_3)
	v_cmp_ne_u32_e64 s14, 0, v113
	v_not_b32_e32 v113, v115
	v_not_b32_e32 v115, v117
	v_xor_b32_e32 v99, s14, v99
	s_delay_alu instid0(VALU_DEP_2)
	v_dual_ashrrev_i32 v115, 31, v115 :: v_dual_lshlrev_b32 v119, 28, v101
	v_lshlrev_b32_e32 v129, 27, v101
	v_ashrrev_i32_e32 v113, 31, v113
	s_set_vgpr_msb 16                       ;  msbs: dst=0 src0=0 src1=0 src2=1
	v_lshl_add_u32 v103, v101, 3, v9 /*v265*/
	v_dual_lshlrev_b32 v130, 26, v101 :: v_dual_lshlrev_b32 v131, 25, v101
	v_not_b32_e32 v117, v119
	v_lshlrev_b32_e32 v101, 24, v101
	v_cmp_gt_i32_e64 s17, 0, v119
	v_not_b32_e32 v119, v129
	s_delay_alu instid0(VALU_DEP_4)
	v_dual_ashrrev_i32 v117, 31, v117 :: v_dual_bitop2_b32 v115, s16, v115 bitop3:0x14
	v_xor_b32_e32 v113, s15, v113
	s_set_vgpr_msb 0                        ;  msbs: dst=0 src0=0 src1=0 src2=0
	v_lshl_add_u32 v103, v103, 2, v12
	v_not_b32_e32 v133, v130
	v_cmp_gt_i32_e64 s14, 0, v129
	v_cmp_gt_i32_e64 s15, 0, v130
	v_bitop3_b32 v99, v99, v113, exec_lo bitop3:0x80
	v_dual_ashrrev_i32 v113, 31, v119 :: v_dual_bitop2_b32 v117, s17, v117 bitop3:0x14
	v_add_nc_u32_e32 v130, 32, v103
	ds_load_b32 v147, v103 offset:32
	v_xor_b32_e32 v113, s14, v113
	v_bitop3_b32 v99, v99, v117, v115 bitop3:0x80
	v_not_b32_e32 v115, v131
	v_not_b32_e32 v117, v101
	v_cmp_gt_i32_e64 s14, 0, v131
	; wave barrier
	s_delay_alu instid0(VALU_DEP_3) | instskip(NEXT) | instid1(VALU_DEP_1)
	v_dual_ashrrev_i32 v115, 31, v115 :: v_dual_ashrrev_i32 v119, 31, v133
	v_xor_b32_e32 v119, s15, v119
	v_cmp_gt_i32_e64 s15, 0, v101
	v_ashrrev_i32_e32 v101, 31, v117
	s_delay_alu instid0(VALU_DEP_3) | instskip(SKIP_1) | instid1(VALU_DEP_3)
	v_bitop3_b32 v99, v99, v119, v113 bitop3:0x80
	v_xor_b32_e32 v113, s14, v115
	v_xor_b32_e32 v101, s15, v101
	s_delay_alu instid0(VALU_DEP_1) | instskip(NEXT) | instid1(VALU_DEP_1)
	v_bitop3_b32 v99, v99, v101, v113 bitop3:0x80
	v_mbcnt_lo_u32_b32 v148, v99, 0
	v_cmp_ne_u32_e64 s15, 0, v99
	s_delay_alu instid0(VALU_DEP_2) | instskip(SKIP_1) | instid1(SALU_CYCLE_1)
	v_cmp_eq_u32_e64 s14, 0, v148
	s_and_b32 s15, s15, s14
	s_and_saveexec_b32 s14, s15
	s_cbranch_execz .LBB596_73
; %bb.72:                               ;   in Loop: Header=BB596_53 Depth=1
	s_wait_dscnt 0x0
	v_bcnt_u32_b32 v99, v99, v147
	ds_store_b32 v130, v99
.LBB596_73:                             ;   in Loop: Header=BB596_53 Depth=1
	s_or_b32 exec_lo, exec_lo, s14
	s_set_vgpr_msb 4                        ;  msbs: dst=0 src0=0 src1=1 src2=0
	v_lshrrev_b32_e32 v99, v10, v26 /*v282*/
	; wave barrier
	s_set_vgpr_msb 0                        ;  msbs: dst=0 src0=0 src1=0 src2=0
	s_delay_alu instid0(VALU_DEP_1) | instskip(SKIP_1) | instid1(VALU_DEP_2)
	v_and_b32_e32 v101, v99, v85
	v_bitop3_b32 v99, v99, 1, v85 bitop3:0x80
	v_dual_lshlrev_b32 v115, 30, v101 :: v_dual_lshlrev_b32 v117, 29, v101
	s_delay_alu instid0(VALU_DEP_2) | instskip(NEXT) | instid1(VALU_DEP_1)
	v_add_co_u32 v99, s14, v99, -1
	v_cndmask_b32_e64 v113, 0, 1, s14
	s_delay_alu instid0(VALU_DEP_3) | instskip(NEXT) | instid1(VALU_DEP_4)
	v_cmp_gt_i32_e64 s15, 0, v115
	v_cmp_gt_i32_e64 s16, 0, v117
	s_delay_alu instid0(VALU_DEP_3) | instskip(SKIP_2) | instid1(VALU_DEP_3)
	v_cmp_ne_u32_e64 s14, 0, v113
	v_not_b32_e32 v113, v115
	v_not_b32_e32 v115, v117
	v_xor_b32_e32 v99, s14, v99
	s_delay_alu instid0(VALU_DEP_2) | instskip(SKIP_2) | instid1(VALU_DEP_3)
	v_dual_ashrrev_i32 v115, 31, v115 :: v_dual_lshlrev_b32 v119, 28, v101
	v_dual_lshlrev_b32 v129, 27, v101 :: v_dual_lshlrev_b32 v131, 26, v101
	v_lshlrev_b32_e32 v133, 25, v101
	v_dual_ashrrev_i32 v113, 31, v113 :: v_dual_bitop2_b32 v115, s16, v115 bitop3:0x14
	s_delay_alu instid0(VALU_DEP_4)
	v_not_b32_e32 v117, v119
	s_set_vgpr_msb 16                       ;  msbs: dst=0 src0=0 src1=0 src2=1
	v_lshl_add_u32 v103, v101, 3, v9 /*v265*/
	v_lshlrev_b32_e32 v101, 24, v101
	v_cmp_gt_i32_e64 s17, 0, v119
	v_not_b32_e32 v119, v129
	v_ashrrev_i32_e32 v117, 31, v117
	v_not_b32_e32 v135, v131
	v_xor_b32_e32 v113, s15, v113
	v_cmp_gt_i32_e64 s14, 0, v129
	v_cmp_gt_i32_e64 s15, 0, v131
	s_set_vgpr_msb 0                        ;  msbs: dst=0 src0=0 src1=0 src2=0
	v_lshl_add_u32 v103, v103, 2, v12
	v_bitop3_b32 v99, v99, v113, exec_lo bitop3:0x80
	v_dual_ashrrev_i32 v113, 31, v119 :: v_dual_bitop2_b32 v117, s17, v117 bitop3:0x14
	v_ashrrev_i32_e32 v119, 31, v135
	s_delay_alu instid0(VALU_DEP_4)
	v_add_nc_u32_e32 v151, 32, v103
	ds_load_b32 v149, v103 offset:32
	v_xor_b32_e32 v113, s14, v113
	v_bitop3_b32 v99, v99, v117, v115 bitop3:0x80
	v_not_b32_e32 v115, v133
	v_not_b32_e32 v117, v101
	v_xor_b32_e32 v119, s15, v119
	v_cmp_gt_i32_e64 s14, 0, v133
	v_cmp_gt_i32_e64 s15, 0, v101
	s_delay_alu instid0(VALU_DEP_4) | instskip(NEXT) | instid1(VALU_DEP_4)
	v_dual_ashrrev_i32 v115, 31, v115 :: v_dual_ashrrev_i32 v101, 31, v117
	v_bitop3_b32 v99, v99, v119, v113 bitop3:0x80
	; wave barrier
	s_delay_alu instid0(VALU_DEP_2) | instskip(NEXT) | instid1(VALU_DEP_3)
	v_xor_b32_e32 v113, s14, v115
	v_xor_b32_e32 v101, s15, v101
	s_delay_alu instid0(VALU_DEP_1) | instskip(NEXT) | instid1(VALU_DEP_1)
	v_bitop3_b32 v99, v99, v101, v113 bitop3:0x80
	v_mbcnt_lo_u32_b32 v150, v99, 0
	v_cmp_ne_u32_e64 s15, 0, v99
	s_delay_alu instid0(VALU_DEP_2) | instskip(SKIP_1) | instid1(SALU_CYCLE_1)
	v_cmp_eq_u32_e64 s14, 0, v150
	s_and_b32 s15, s15, s14
	s_and_saveexec_b32 s14, s15
	s_cbranch_execz .LBB596_75
; %bb.74:                               ;   in Loop: Header=BB596_53 Depth=1
	s_wait_dscnt 0x0
	v_bcnt_u32_b32 v99, v99, v149
	ds_store_b32 v151, v99
.LBB596_75:                             ;   in Loop: Header=BB596_53 Depth=1
	s_or_b32 exec_lo, exec_lo, s14
	s_set_vgpr_msb 4                        ;  msbs: dst=0 src0=0 src1=1 src2=0
	v_lshrrev_b32_e32 v99, v10, v25 /*v281*/
	; wave barrier
	s_set_vgpr_msb 0                        ;  msbs: dst=0 src0=0 src1=0 src2=0
	s_delay_alu instid0(VALU_DEP_1) | instskip(SKIP_1) | instid1(VALU_DEP_2)
	v_and_b32_e32 v101, v99, v85
	v_bitop3_b32 v99, v99, 1, v85 bitop3:0x80
	v_dual_lshlrev_b32 v115, 30, v101 :: v_dual_lshlrev_b32 v117, 29, v101
	s_delay_alu instid0(VALU_DEP_2) | instskip(NEXT) | instid1(VALU_DEP_1)
	v_add_co_u32 v99, s14, v99, -1
	v_cndmask_b32_e64 v113, 0, 1, s14
	s_delay_alu instid0(VALU_DEP_3) | instskip(NEXT) | instid1(VALU_DEP_4)
	v_cmp_gt_i32_e64 s15, 0, v115
	v_cmp_gt_i32_e64 s16, 0, v117
	s_delay_alu instid0(VALU_DEP_3) | instskip(SKIP_2) | instid1(VALU_DEP_3)
	v_cmp_ne_u32_e64 s14, 0, v113
	v_not_b32_e32 v113, v115
	v_not_b32_e32 v115, v117
	v_xor_b32_e32 v99, s14, v99
	s_delay_alu instid0(VALU_DEP_2) | instskip(SKIP_2) | instid1(VALU_DEP_3)
	v_dual_ashrrev_i32 v115, 31, v115 :: v_dual_lshlrev_b32 v119, 28, v101
	v_dual_lshlrev_b32 v129, 27, v101 :: v_dual_lshlrev_b32 v131, 26, v101
	v_lshlrev_b32_e32 v133, 25, v101
	v_dual_ashrrev_i32 v113, 31, v113 :: v_dual_bitop2_b32 v115, s16, v115 bitop3:0x14
	s_delay_alu instid0(VALU_DEP_4)
	v_not_b32_e32 v117, v119
	s_set_vgpr_msb 16                       ;  msbs: dst=0 src0=0 src1=0 src2=1
	v_lshl_add_u32 v103, v101, 3, v9 /*v265*/
	v_lshlrev_b32_e32 v101, 24, v101
	v_cmp_gt_i32_e64 s17, 0, v119
	v_not_b32_e32 v119, v129
	v_ashrrev_i32_e32 v117, 31, v117
	v_not_b32_e32 v135, v131
	v_xor_b32_e32 v113, s15, v113
	v_cmp_gt_i32_e64 s14, 0, v129
	v_cmp_gt_i32_e64 s15, 0, v131
	s_set_vgpr_msb 0                        ;  msbs: dst=0 src0=0 src1=0 src2=0
	v_lshl_add_u32 v103, v103, 2, v12
	v_bitop3_b32 v99, v99, v113, exec_lo bitop3:0x80
	v_dual_ashrrev_i32 v113, 31, v119 :: v_dual_bitop2_b32 v117, s17, v117 bitop3:0x14
	v_ashrrev_i32_e32 v119, 31, v135
	s_delay_alu instid0(VALU_DEP_4)
	v_add_nc_u32_e32 v161, 32, v103
	ds_load_b32 v160, v103 offset:32
	v_xor_b32_e32 v113, s14, v113
	v_bitop3_b32 v99, v99, v117, v115 bitop3:0x80
	v_not_b32_e32 v115, v133
	v_not_b32_e32 v117, v101
	v_xor_b32_e32 v119, s15, v119
	v_cmp_gt_i32_e64 s14, 0, v133
	v_cmp_gt_i32_e64 s15, 0, v101
	s_delay_alu instid0(VALU_DEP_4) | instskip(NEXT) | instid1(VALU_DEP_4)
	v_dual_ashrrev_i32 v115, 31, v115 :: v_dual_ashrrev_i32 v101, 31, v117
	v_bitop3_b32 v99, v99, v119, v113 bitop3:0x80
	; wave barrier
	s_delay_alu instid0(VALU_DEP_2) | instskip(NEXT) | instid1(VALU_DEP_3)
	v_xor_b32_e32 v113, s14, v115
	v_xor_b32_e32 v101, s15, v101
	s_delay_alu instid0(VALU_DEP_1) | instskip(NEXT) | instid1(VALU_DEP_1)
	v_bitop3_b32 v99, v99, v101, v113 bitop3:0x80
	v_mbcnt_lo_u32_b32 v162, v99, 0
	v_cmp_ne_u32_e64 s15, 0, v99
	s_delay_alu instid0(VALU_DEP_2) | instskip(SKIP_1) | instid1(SALU_CYCLE_1)
	v_cmp_eq_u32_e64 s14, 0, v162
	s_and_b32 s15, s15, s14
	s_and_saveexec_b32 s14, s15
	s_cbranch_execz .LBB596_77
; %bb.76:                               ;   in Loop: Header=BB596_53 Depth=1
	s_wait_dscnt 0x0
	v_bcnt_u32_b32 v99, v99, v160
	ds_store_b32 v161, v99
.LBB596_77:                             ;   in Loop: Header=BB596_53 Depth=1
	s_or_b32 exec_lo, exec_lo, s14
	s_set_vgpr_msb 4                        ;  msbs: dst=0 src0=0 src1=1 src2=0
	v_lshrrev_b32_e32 v99, v10, v29 /*v285*/
	; wave barrier
	s_set_vgpr_msb 0                        ;  msbs: dst=0 src0=0 src1=0 src2=0
	s_delay_alu instid0(VALU_DEP_1) | instskip(SKIP_1) | instid1(VALU_DEP_2)
	v_and_b32_e32 v101, v99, v85
	v_bitop3_b32 v99, v99, 1, v85 bitop3:0x80
	v_dual_lshlrev_b32 v115, 30, v101 :: v_dual_lshlrev_b32 v117, 29, v101
	s_delay_alu instid0(VALU_DEP_2) | instskip(NEXT) | instid1(VALU_DEP_1)
	v_add_co_u32 v99, s14, v99, -1
	v_cndmask_b32_e64 v113, 0, 1, s14
	s_delay_alu instid0(VALU_DEP_3) | instskip(NEXT) | instid1(VALU_DEP_4)
	v_cmp_gt_i32_e64 s15, 0, v115
	v_cmp_gt_i32_e64 s16, 0, v117
	s_delay_alu instid0(VALU_DEP_3) | instskip(SKIP_2) | instid1(VALU_DEP_3)
	v_cmp_ne_u32_e64 s14, 0, v113
	v_not_b32_e32 v113, v115
	v_not_b32_e32 v115, v117
	v_xor_b32_e32 v99, s14, v99
	s_delay_alu instid0(VALU_DEP_2) | instskip(SKIP_2) | instid1(VALU_DEP_3)
	v_dual_ashrrev_i32 v115, 31, v115 :: v_dual_lshlrev_b32 v119, 28, v101
	v_dual_lshlrev_b32 v129, 27, v101 :: v_dual_lshlrev_b32 v131, 26, v101
	v_lshlrev_b32_e32 v133, 25, v101
	v_dual_ashrrev_i32 v113, 31, v113 :: v_dual_bitop2_b32 v115, s16, v115 bitop3:0x14
	s_delay_alu instid0(VALU_DEP_4)
	v_not_b32_e32 v117, v119
	s_set_vgpr_msb 16                       ;  msbs: dst=0 src0=0 src1=0 src2=1
	v_lshl_add_u32 v103, v101, 3, v9 /*v265*/
	v_lshlrev_b32_e32 v101, 24, v101
	v_cmp_gt_i32_e64 s17, 0, v119
	v_not_b32_e32 v119, v129
	v_ashrrev_i32_e32 v117, 31, v117
	v_not_b32_e32 v135, v131
	v_xor_b32_e32 v113, s15, v113
	v_cmp_gt_i32_e64 s14, 0, v129
	v_cmp_gt_i32_e64 s15, 0, v131
	s_set_vgpr_msb 0                        ;  msbs: dst=0 src0=0 src1=0 src2=0
	v_lshl_add_u32 v103, v103, 2, v12
	v_bitop3_b32 v99, v99, v113, exec_lo bitop3:0x80
	v_dual_ashrrev_i32 v113, 31, v119 :: v_dual_bitop2_b32 v117, s17, v117 bitop3:0x14
	v_ashrrev_i32_e32 v119, 31, v135
	s_delay_alu instid0(VALU_DEP_4)
	v_add_nc_u32_e32 v163, 32, v103
	ds_load_b32 v164, v103 offset:32
	v_xor_b32_e32 v113, s14, v113
	v_bitop3_b32 v99, v99, v117, v115 bitop3:0x80
	v_not_b32_e32 v115, v133
	v_not_b32_e32 v117, v101
	v_xor_b32_e32 v119, s15, v119
	v_cmp_gt_i32_e64 s14, 0, v133
	v_cmp_gt_i32_e64 s15, 0, v101
	s_delay_alu instid0(VALU_DEP_4) | instskip(NEXT) | instid1(VALU_DEP_4)
	v_dual_ashrrev_i32 v115, 31, v115 :: v_dual_ashrrev_i32 v101, 31, v117
	v_bitop3_b32 v99, v99, v119, v113 bitop3:0x80
	; wave barrier
	s_delay_alu instid0(VALU_DEP_2) | instskip(NEXT) | instid1(VALU_DEP_3)
	v_xor_b32_e32 v113, s14, v115
	v_xor_b32_e32 v101, s15, v101
	s_delay_alu instid0(VALU_DEP_1) | instskip(NEXT) | instid1(VALU_DEP_1)
	v_bitop3_b32 v99, v99, v101, v113 bitop3:0x80
	v_mbcnt_lo_u32_b32 v165, v99, 0
	v_cmp_ne_u32_e64 s15, 0, v99
	s_delay_alu instid0(VALU_DEP_2) | instskip(SKIP_1) | instid1(SALU_CYCLE_1)
	v_cmp_eq_u32_e64 s14, 0, v165
	s_and_b32 s15, s15, s14
	s_and_saveexec_b32 s14, s15
	s_cbranch_execz .LBB596_79
; %bb.78:                               ;   in Loop: Header=BB596_53 Depth=1
	s_wait_dscnt 0x0
	v_bcnt_u32_b32 v99, v99, v164
	ds_store_b32 v163, v99
.LBB596_79:                             ;   in Loop: Header=BB596_53 Depth=1
	s_or_b32 exec_lo, exec_lo, s14
	s_set_vgpr_msb 4                        ;  msbs: dst=0 src0=0 src1=1 src2=0
	v_lshrrev_b32_e32 v99, v10, v28 /*v284*/
	; wave barrier
	s_set_vgpr_msb 0                        ;  msbs: dst=0 src0=0 src1=0 src2=0
	s_delay_alu instid0(VALU_DEP_1) | instskip(SKIP_1) | instid1(VALU_DEP_2)
	v_and_b32_e32 v101, v99, v85
	v_bitop3_b32 v99, v99, 1, v85 bitop3:0x80
	v_lshlrev_b32_e32 v113, 30, v101
	s_delay_alu instid0(VALU_DEP_2) | instskip(NEXT) | instid1(VALU_DEP_1)
	v_add_co_u32 v99, s14, v99, -1
	v_cndmask_b32_e64 v133, 0, 1, s14
	s_delay_alu instid0(VALU_DEP_3) | instskip(NEXT) | instid1(VALU_DEP_2)
	v_not_b32_e32 v135, v113
	v_cmp_ne_u32_e64 s16, 0, v133
	s_delay_alu instid0(VALU_DEP_2) | instskip(SKIP_3) | instid1(VALU_DEP_4)
	v_dual_ashrrev_i32 v133, 31, v135 :: v_dual_lshlrev_b32 v115, 29, v101
	v_dual_lshlrev_b32 v117, 28, v101 :: v_dual_lshlrev_b32 v119, 27, v101
	v_dual_lshlrev_b32 v129, 26, v101 :: v_dual_lshlrev_b32 v131, 25, v101
	v_cmp_gt_i32_e64 s14, 0, v113
	v_cmp_gt_i32_e64 s15, 0, v115
	v_not_b32_e32 v113, v115
	v_not_b32_e32 v115, v117
	s_set_vgpr_msb 16                       ;  msbs: dst=0 src0=0 src1=0 src2=1
	v_lshl_add_u32 v103, v101, 3, v9 /*v265*/
	v_lshlrev_b32_e32 v101, 24, v101
	v_cmp_gt_i32_e64 s17, 0, v117
	v_dual_ashrrev_i32 v113, 31, v113 :: v_dual_bitop2_b32 v99, s16, v99 bitop3:0x14
	v_ashrrev_i32_e32 v115, 31, v115
	v_not_b32_e32 v135, v129
	v_xor_b32_e32 v117, s14, v133
	v_not_b32_e32 v133, v119
	v_cmp_gt_i32_e64 s14, 0, v119
	v_xor_b32_e32 v115, s17, v115
	v_ashrrev_i32_e32 v119, 31, v135
	v_bitop3_b32 v99, v99, v117, exec_lo bitop3:0x80
	v_ashrrev_i32_e32 v117, 31, v133
	s_set_vgpr_msb 0                        ;  msbs: dst=0 src0=0 src1=0 src2=0
	v_lshl_add_u32 v103, v103, 2, v12
	v_xor_b32_e32 v113, s15, v113
	v_cmp_gt_i32_e64 s15, 0, v129
	s_delay_alu instid0(VALU_DEP_3) | instskip(NEXT) | instid1(VALU_DEP_3)
	v_add_nc_u32_e32 v176, 32, v103
	v_bitop3_b32 v99, v99, v115, v113 bitop3:0x80
	v_not_b32_e32 v113, v131
	v_xor_b32_e32 v115, s14, v117
	v_not_b32_e32 v117, v101
	v_xor_b32_e32 v119, s15, v119
	v_cmp_gt_i32_e64 s14, 0, v131
	v_ashrrev_i32_e32 v113, 31, v113
	v_cmp_gt_i32_e64 s15, 0, v101
	v_ashrrev_i32_e32 v101, 31, v117
	v_bitop3_b32 v99, v99, v119, v115 bitop3:0x80
	ds_load_b32 v166, v103 offset:32
	v_xor_b32_e32 v113, s14, v113
	v_xor_b32_e32 v101, s15, v101
	; wave barrier
	s_delay_alu instid0(VALU_DEP_1) | instskip(NEXT) | instid1(VALU_DEP_1)
	v_bitop3_b32 v99, v99, v101, v113 bitop3:0x80
	v_mbcnt_lo_u32_b32 v167, v99, 0
	v_cmp_ne_u32_e64 s15, 0, v99
	s_delay_alu instid0(VALU_DEP_2) | instskip(SKIP_1) | instid1(SALU_CYCLE_1)
	v_cmp_eq_u32_e64 s14, 0, v167
	s_and_b32 s15, s15, s14
	s_and_saveexec_b32 s14, s15
	s_cbranch_execz .LBB596_81
; %bb.80:                               ;   in Loop: Header=BB596_53 Depth=1
	s_wait_dscnt 0x0
	v_bcnt_u32_b32 v99, v99, v166
	ds_store_b32 v176, v99
.LBB596_81:                             ;   in Loop: Header=BB596_53 Depth=1
	s_or_b32 exec_lo, exec_lo, s14
	s_set_vgpr_msb 4                        ;  msbs: dst=0 src0=0 src1=1 src2=0
	v_lshrrev_b32_e32 v99, v10, v27 /*v283*/
	; wave barrier
	s_set_vgpr_msb 0                        ;  msbs: dst=0 src0=0 src1=0 src2=0
	s_delay_alu instid0(VALU_DEP_1) | instskip(SKIP_1) | instid1(VALU_DEP_2)
	v_and_b32_e32 v101, v99, v85
	v_bitop3_b32 v99, v99, 1, v85 bitop3:0x80
	v_dual_lshlrev_b32 v115, 30, v101 :: v_dual_lshlrev_b32 v117, 29, v101
	s_delay_alu instid0(VALU_DEP_2) | instskip(NEXT) | instid1(VALU_DEP_1)
	v_add_co_u32 v99, s14, v99, -1
	v_cndmask_b32_e64 v113, 0, 1, s14
	s_delay_alu instid0(VALU_DEP_3) | instskip(NEXT) | instid1(VALU_DEP_4)
	v_cmp_gt_i32_e64 s15, 0, v115
	v_cmp_gt_i32_e64 s16, 0, v117
	s_delay_alu instid0(VALU_DEP_3) | instskip(SKIP_2) | instid1(VALU_DEP_3)
	v_cmp_ne_u32_e64 s14, 0, v113
	v_not_b32_e32 v113, v115
	v_not_b32_e32 v115, v117
	v_xor_b32_e32 v99, s14, v99
	s_delay_alu instid0(VALU_DEP_2) | instskip(SKIP_2) | instid1(VALU_DEP_3)
	v_dual_ashrrev_i32 v115, 31, v115 :: v_dual_lshlrev_b32 v119, 28, v101
	v_dual_lshlrev_b32 v129, 27, v101 :: v_dual_lshlrev_b32 v131, 26, v101
	v_lshlrev_b32_e32 v133, 25, v101
	v_dual_ashrrev_i32 v113, 31, v113 :: v_dual_bitop2_b32 v115, s16, v115 bitop3:0x14
	s_delay_alu instid0(VALU_DEP_4)
	v_not_b32_e32 v117, v119
	s_set_vgpr_msb 16                       ;  msbs: dst=0 src0=0 src1=0 src2=1
	v_lshl_add_u32 v103, v101, 3, v9 /*v265*/
	v_lshlrev_b32_e32 v101, 24, v101
	v_cmp_gt_i32_e64 s17, 0, v119
	v_not_b32_e32 v119, v129
	v_ashrrev_i32_e32 v117, 31, v117
	v_not_b32_e32 v135, v131
	v_xor_b32_e32 v113, s15, v113
	v_cmp_gt_i32_e64 s14, 0, v129
	v_cmp_gt_i32_e64 s15, 0, v131
	s_set_vgpr_msb 0                        ;  msbs: dst=0 src0=0 src1=0 src2=0
	v_lshl_add_u32 v103, v103, 2, v12
	v_bitop3_b32 v99, v99, v113, exec_lo bitop3:0x80
	v_dual_ashrrev_i32 v113, 31, v119 :: v_dual_bitop2_b32 v117, s17, v117 bitop3:0x14
	v_ashrrev_i32_e32 v119, 31, v135
	s_delay_alu instid0(VALU_DEP_4)
	v_add_nc_u32_e32 v179, 32, v103
	ds_load_b32 v177, v103 offset:32
	v_xor_b32_e32 v113, s14, v113
	v_bitop3_b32 v99, v99, v117, v115 bitop3:0x80
	v_not_b32_e32 v115, v133
	v_not_b32_e32 v117, v101
	v_xor_b32_e32 v119, s15, v119
	v_cmp_gt_i32_e64 s14, 0, v133
	v_cmp_gt_i32_e64 s15, 0, v101
	s_delay_alu instid0(VALU_DEP_4) | instskip(NEXT) | instid1(VALU_DEP_4)
	v_dual_ashrrev_i32 v115, 31, v115 :: v_dual_ashrrev_i32 v101, 31, v117
	v_bitop3_b32 v99, v99, v119, v113 bitop3:0x80
	; wave barrier
	s_delay_alu instid0(VALU_DEP_2) | instskip(NEXT) | instid1(VALU_DEP_3)
	v_xor_b32_e32 v113, s14, v115
	v_xor_b32_e32 v101, s15, v101
	s_delay_alu instid0(VALU_DEP_1) | instskip(NEXT) | instid1(VALU_DEP_1)
	v_bitop3_b32 v99, v99, v101, v113 bitop3:0x80
	v_mbcnt_lo_u32_b32 v178, v99, 0
	v_cmp_ne_u32_e64 s15, 0, v99
	s_delay_alu instid0(VALU_DEP_2) | instskip(SKIP_1) | instid1(SALU_CYCLE_1)
	v_cmp_eq_u32_e64 s14, 0, v178
	s_and_b32 s15, s15, s14
	s_and_saveexec_b32 s14, s15
	s_cbranch_execz .LBB596_83
; %bb.82:                               ;   in Loop: Header=BB596_53 Depth=1
	s_wait_dscnt 0x0
	v_bcnt_u32_b32 v99, v99, v177
	ds_store_b32 v179, v99
.LBB596_83:                             ;   in Loop: Header=BB596_53 Depth=1
	s_or_b32 exec_lo, exec_lo, s14
	s_set_vgpr_msb 4                        ;  msbs: dst=0 src0=0 src1=1 src2=0
	v_lshrrev_b32_e32 v99, v10, v30 /*v286*/
	; wave barrier
	s_set_vgpr_msb 0                        ;  msbs: dst=0 src0=0 src1=0 src2=0
	s_delay_alu instid0(VALU_DEP_1) | instskip(SKIP_1) | instid1(VALU_DEP_2)
	v_and_b32_e32 v101, v99, v85
	v_bitop3_b32 v85, v99, 1, v85 bitop3:0x80
	v_lshlrev_b32_e32 v113, 30, v101
	s_delay_alu instid0(VALU_DEP_2) | instskip(NEXT) | instid1(VALU_DEP_1)
	v_add_co_u32 v85, s14, v85, -1
	v_cndmask_b32_e64 v103, 0, 1, s14
	s_delay_alu instid0(VALU_DEP_1) | instskip(NEXT) | instid1(VALU_DEP_4)
	v_cmp_ne_u32_e64 s14, 0, v103
	v_not_b32_e32 v103, v113
	s_delay_alu instid0(VALU_DEP_1)
	v_dual_ashrrev_i32 v103, 31, v103 :: v_dual_bitop2_b32 v85, s14, v85 bitop3:0x14
	v_dual_lshlrev_b32 v115, 29, v101 :: v_dual_lshlrev_b32 v117, 28, v101
	v_lshlrev_b32_e32 v119, 27, v101
	v_cmp_gt_i32_e64 s15, 0, v113
	s_set_vgpr_msb 16                       ;  msbs: dst=0 src0=0 src1=0 src2=1
	v_lshl_add_u32 v99, v101, 3, v9 /*v265*/
	v_cmp_gt_i32_e64 s16, 0, v115
	v_not_b32_e32 v113, v115
	v_not_b32_e32 v115, v117
	v_dual_lshlrev_b32 v129, 26, v101 :: v_dual_lshlrev_b32 v131, 25, v101
	v_lshlrev_b32_e32 v101, 24, v101
	v_cmp_gt_i32_e64 s17, 0, v117
	v_dual_ashrrev_i32 v113, 31, v113 :: v_dual_bitop2_b32 v103, s15, v103 bitop3:0x14
	v_ashrrev_i32_e32 v115, 31, v115
	v_not_b32_e32 v117, v119
	v_not_b32_e32 v133, v129
	s_delay_alu instid0(VALU_DEP_4) | instskip(SKIP_1) | instid1(VALU_DEP_4)
	v_xor_b32_e32 v113, s16, v113
	v_bitop3_b32 v85, v85, v103, exec_lo bitop3:0x80
	v_dual_ashrrev_i32 v103, 31, v117 :: v_dual_bitop2_b32 v115, s17, v115 bitop3:0x14
	v_cmp_gt_i32_e64 s14, 0, v119
	v_cmp_gt_i32_e64 s15, 0, v129
	v_ashrrev_i32_e32 v117, 31, v133
	s_set_vgpr_msb 0                        ;  msbs: dst=0 src0=0 src1=0 src2=0
	v_bitop3_b32 v85, v85, v115, v113 bitop3:0x80
	v_not_b32_e32 v113, v131
	v_not_b32_e32 v115, v101
	v_xor_b32_e32 v103, s14, v103
	v_xor_b32_e32 v117, s15, v117
	v_cmp_gt_i32_e64 s14, 0, v131
	v_ashrrev_i32_e32 v113, 31, v113
	v_cmp_gt_i32_e64 s15, 0, v101
	v_ashrrev_i32_e32 v101, 31, v115
	v_lshl_add_u32 v115, v99, 2, v12
	v_bitop3_b32 v99, v85, v117, v103 bitop3:0x80
	v_xor_b32_e32 v103, s14, v113
	s_delay_alu instid0(VALU_DEP_4) | instskip(SKIP_3) | instid1(VALU_DEP_1)
	v_xor_b32_e32 v101, s15, v101
	ds_load_b32 v85, v115 offset:32
	v_add_nc_u32_e32 v181, 32, v115
	; wave barrier
	v_bitop3_b32 v99, v99, v101, v103 bitop3:0x80
	v_mbcnt_lo_u32_b32 v180, v99, 0
	v_cmp_ne_u32_e64 s15, 0, v99
	s_delay_alu instid0(VALU_DEP_2) | instskip(SKIP_1) | instid1(SALU_CYCLE_1)
	v_cmp_eq_u32_e64 s14, 0, v180
	s_and_b32 s15, s15, s14
	s_and_saveexec_b32 s14, s15
	s_cbranch_execz .LBB596_85
; %bb.84:                               ;   in Loop: Header=BB596_53 Depth=1
	s_wait_dscnt 0x0
	v_bcnt_u32_b32 v99, v99, v85
	ds_store_b32 v181, v99
.LBB596_85:                             ;   in Loop: Header=BB596_53 Depth=1
	s_or_b32 exec_lo, exec_lo, s14
	; wave barrier
	s_wait_dscnt 0x0
	s_barrier_signal -1
	s_barrier_wait -1
	ds_load_b32 v99, v23
	ds_load_b32 v101, v39
	s_set_vgpr_msb 1                        ;  msbs: dst=0 src0=1 src1=0 src2=0
	ds_load_b32 v113, v3 /*v259*/
	ds_load_b32 v103, v4 /*v260*/
	;; [unrolled: 1-line block ×6, first 2 shown]
	s_wait_dscnt 0x6
	s_set_vgpr_msb 0                        ;  msbs: dst=0 src0=0 src1=0 src2=0
	v_add_nc_u32_e32 v119, v101, v99
	s_wait_dscnt 0x4
	s_delay_alu instid0(VALU_DEP_1) | instskip(SKIP_1) | instid1(VALU_DEP_1)
	v_add3_u32 v119, v119, v113, v103
	s_wait_dscnt 0x2
	v_add3_u32 v119, v119, v117, v133
	s_wait_dscnt 0x0
	s_delay_alu instid0(VALU_DEP_1) | instskip(NEXT) | instid1(VALU_DEP_1)
	v_add3_u32 v115, v119, v182, v115
	v_mov_b32_dpp v119, v115 row_shr:1 row_mask:0xf bank_mask:0xf
	s_delay_alu instid0(VALU_DEP_1) | instskip(NEXT) | instid1(VALU_DEP_1)
	v_cndmask_b32_e64 v119, v119, 0, vcc_lo
	v_add_nc_u32_e32 v115, v119, v115
	s_delay_alu instid0(VALU_DEP_1) | instskip(NEXT) | instid1(VALU_DEP_1)
	v_mov_b32_dpp v119, v115 row_shr:2 row_mask:0xf bank_mask:0xf
	v_cndmask_b32_e64 v119, 0, v119, s0
	s_delay_alu instid0(VALU_DEP_1) | instskip(NEXT) | instid1(VALU_DEP_1)
	v_add_nc_u32_e32 v115, v115, v119
	v_mov_b32_dpp v119, v115 row_shr:4 row_mask:0xf bank_mask:0xf
	s_delay_alu instid0(VALU_DEP_1) | instskip(NEXT) | instid1(VALU_DEP_1)
	v_cndmask_b32_e64 v119, 0, v119, s1
	v_add_nc_u32_e32 v115, v115, v119
	s_delay_alu instid0(VALU_DEP_1) | instskip(NEXT) | instid1(VALU_DEP_1)
	v_mov_b32_dpp v119, v115 row_shr:8 row_mask:0xf bank_mask:0xf
	v_cndmask_b32_e64 v119, 0, v119, s3
	s_delay_alu instid0(VALU_DEP_1) | instskip(SKIP_3) | instid1(VALU_DEP_1)
	v_add_nc_u32_e32 v115, v115, v119
	ds_swizzle_b32 v119, v115 offset:swizzle(BROADCAST,32,15)
	s_wait_dscnt 0x0
	v_cndmask_b32_e64 v119, v119, 0, s4
	v_add_nc_u32_e32 v115, v115, v119
	s_and_saveexec_b32 s14, s5
; %bb.86:                               ;   in Loop: Header=BB596_53 Depth=1
	s_set_vgpr_msb 1                        ;  msbs: dst=0 src0=1 src1=0 src2=0
	ds_store_b32 v12 /*v268*/, v115
; %bb.87:                               ;   in Loop: Header=BB596_53 Depth=1
	s_or_b32 exec_lo, exec_lo, s14
	s_wait_dscnt 0x0
	s_barrier_signal -1
	s_barrier_wait -1
	s_and_saveexec_b32 s14, s6
	s_set_vgpr_msb 0                        ;  msbs: dst=0 src0=0 src1=0 src2=0
	s_cbranch_execz .LBB596_89
; %bb.88:                               ;   in Loop: Header=BB596_53 Depth=1
	ds_load_b32 v119, v4
	s_wait_dscnt 0x0
	v_mov_b32_dpp v129, v119 row_shr:1 row_mask:0xf bank_mask:0xf
	s_delay_alu instid0(VALU_DEP_1) | instskip(NEXT) | instid1(VALU_DEP_1)
	v_cndmask_b32_e64 v129, v129, 0, s11
	v_add_nc_u32_e32 v119, v129, v119
	s_delay_alu instid0(VALU_DEP_1) | instskip(NEXT) | instid1(VALU_DEP_1)
	v_mov_b32_dpp v129, v119 row_shr:2 row_mask:0xf bank_mask:0xf
	v_cndmask_b32_e64 v129, 0, v129, s12
	s_delay_alu instid0(VALU_DEP_1) | instskip(NEXT) | instid1(VALU_DEP_1)
	v_add_nc_u32_e32 v119, v119, v129
	v_mov_b32_dpp v129, v119 row_shr:4 row_mask:0xf bank_mask:0xf
	s_delay_alu instid0(VALU_DEP_1) | instskip(NEXT) | instid1(VALU_DEP_1)
	v_cndmask_b32_e64 v129, 0, v129, s13
	v_add_nc_u32_e32 v119, v119, v129
	ds_store_b32 v4, v119
.LBB596_89:                             ;   in Loop: Header=BB596_53 Depth=1
	s_or_b32 exec_lo, exec_lo, s14
	v_mov_b32_e32 v119, 0
	s_wait_dscnt 0x0
	s_barrier_signal -1
	s_barrier_wait -1
	s_and_saveexec_b32 s14, s7
; %bb.90:                               ;   in Loop: Header=BB596_53 Depth=1
	s_set_vgpr_msb 4                        ;  msbs: dst=0 src0=0 src1=1 src2=0
	v_add_nc_u32_e32 v119, -4, v12 /*v268*/
	ds_load_b32 v119, v119
; %bb.91:                               ;   in Loop: Header=BB596_53 Depth=1
	s_or_b32 exec_lo, exec_lo, s14
	s_wait_dscnt 0x0
	s_set_vgpr_msb 0                        ;  msbs: dst=0 src0=0 src1=0 src2=0
	v_dual_add_nc_u32 v115, v119, v115 :: v_dual_mov_b32 v135, v1
	v_mov_b32_e32 v145, v1
	s_mov_b32 s16, -1
                                        ; implicit-def: $vgpr208_vgpr209
                                        ; implicit-def: $vgpr240_vgpr241
	v_mov_b32_e32 v131, v1
	s_set_vgpr_msb 1                        ;  msbs: dst=0 src0=1 src1=0 src2=0
	ds_bpermute_b32 v115, v10 /*v266*/, v115
	s_set_vgpr_msb 0                        ;  msbs: dst=0 src0=0 src1=0 src2=0
	v_dual_mov_b32 v129, v1 :: v_dual_add_nc_u32 v10, 8, v10
	s_delay_alu instid0(VALU_DEP_1) | instskip(SKIP_2) | instid1(VALU_DEP_1)
	v_cmp_lt_u32_e64 s14, v10, v11
	s_wait_dscnt 0x0
	v_dual_cndmask_b32 v115, v115, v119, s2 :: v_dual_mov_b32 v119, v1
	v_cndmask_b32_e64 v183, v115, 0, s10
	s_delay_alu instid0(VALU_DEP_1) | instskip(NEXT) | instid1(VALU_DEP_1)
	v_dual_mov_b32 v115, v1 :: v_dual_add_nc_u32 v192, v183, v99
	v_dual_mov_b32 v99, v1 :: v_dual_add_nc_u32 v193, v192, v101
	ds_store_b32 v23, v183
	ds_store_b32 v39, v192
	s_set_vgpr_msb 1                        ;  msbs: dst=0 src0=1 src1=0 src2=0
	ds_store_b32 v3 /*v259*/, v193
	s_set_vgpr_msb 0                        ;  msbs: dst=0 src0=0 src1=0 src2=0
	v_mov_b32_e32 v101, v1
	v_add_nc_u32_e32 v194, v193, v113
	s_delay_alu instid0(VALU_DEP_1) | instskip(NEXT) | instid1(VALU_DEP_1)
	v_dual_mov_b32 v113, v1 :: v_dual_add_nc_u32 v195, v194, v103
	v_dual_mov_b32 v103, v1 :: v_dual_add_nc_u32 v196, v195, v117
	s_delay_alu instid0(VALU_DEP_1) | instskip(SKIP_1) | instid1(VALU_DEP_2)
	v_dual_mov_b32 v117, v1 :: v_dual_add_nc_u32 v197, v196, v133
	v_mov_b32_e32 v133, v1
	v_add_nc_u32_e32 v182, v197, v182
	s_set_vgpr_msb 1                        ;  msbs: dst=0 src0=1 src1=0 src2=0
	ds_store_b32 v4 /*v260*/, v194
	ds_store_b32 v5 /*v261*/, v195
	;; [unrolled: 1-line block ×5, first 2 shown]
	s_wait_dscnt 0x0
	s_barrier_signal -1
	s_barrier_wait -1
	s_set_vgpr_msb 0                        ;  msbs: dst=0 src0=0 src1=0 src2=0
	ds_load_b32 v68, v68
	ds_load_b32 v71, v71
	;; [unrolled: 1-line block ×16, first 2 shown]
	v_dual_mov_b32 v151, v1 :: v_dual_mov_b32 v161, v1
	v_mov_b32_e32 v163, v1
	s_wait_dscnt 0x0
	v_add_nc_u32_e32 v0, v68, v0
	v_add3_u32 v98, v70, v69, v71
	v_add3_u32 v100, v81, v80, v82
	v_add3_u32 v112, v84, v83, v86
	v_add3_u32 v118, v96, v87, v97
	v_add3_u32 v130, v114, v102, v182
	v_add3_u32 v102, v128, v116, v183
	v_add3_u32 v114, v134, v132, v192
	v_add3_u32 v128, v146, v144, v193
	v_add3_u32 v134, v148, v147, v194
	v_add3_u32 v144, v150, v149, v195
	v_add3_u32 v116, v162, v160, v196
	v_add3_u32 v132, v165, v164, v197
	v_add3_u32 v150, v167, v166, v176
	v_add3_u32 v160, v178, v177, v179
	v_add3_u32 v162, v180, v85, v181
	s_set_vgpr_msb 64                       ;  msbs: dst=1 src0=0 src1=0 src2=0
	v_lshl_add_u64 v[0:1] /*v[256:257]*/, v[0:1], 2, v[12:13]
	s_set_vgpr_msb 0                        ;  msbs: dst=0 src0=0 src1=0 src2=0
	v_lshl_add_u64 v[246:247], v[98:99], 2, v[12:13]
	v_lshl_add_u64 v[244:245], v[100:101], 2, v[12:13]
	v_lshl_add_u64 v[242:243], v[112:113], 2, v[12:13]
	v_lshl_add_u64 v[230:231], v[118:119], 2, v[12:13]
	v_lshl_add_u64 v[228:229], v[130:131], 2, v[12:13]
	v_lshl_add_u64 v[226:227], v[102:103], 2, v[12:13]
	v_lshl_add_u64 v[224:225], v[114:115], 2, v[12:13]
	v_lshl_add_u64 v[214:215], v[128:129], 2, v[12:13]
	v_lshl_add_u64 v[212:213], v[134:135], 2, v[12:13]
	v_lshl_add_u64 v[210:211], v[144:145], 2, v[12:13]
	v_lshl_add_u64 v[198:199], v[116:117], 2, v[12:13]
	v_lshl_add_u64 v[194:195], v[132:133], 2, v[12:13]
	v_lshl_add_u64 v[192:193], v[150:151], 2, v[12:13]
	v_lshl_add_u64 v[182:183], v[160:161], 2, v[12:13]
	v_lshl_add_u64 v[180:181], v[162:163], 2, v[12:13]
                                        ; implicit-def: $vgpr80_vgpr81
                                        ; implicit-def: $vgpr68_vgpr69
                                        ; implicit-def: $vgpr70_vgpr71
                                        ; implicit-def: $vgpr82_vgpr83
                                        ; implicit-def: $vgpr84_vgpr85
                                        ; implicit-def: $vgpr86_vgpr87
                                        ; implicit-def: $vgpr96_vgpr97
                                        ; implicit-def: $vgpr146_vgpr147
                                        ; implicit-def: $vgpr148_vgpr149
                                        ; implicit-def: $vgpr164_vgpr165
                                        ; implicit-def: $vgpr176_vgpr177
                                        ; implicit-def: $vgpr166_vgpr167
                                        ; implicit-def: $vgpr178_vgpr179
                                        ; implicit-def: $vgpr196_vgpr197
                                        ; implicit-def: $vgpr101
                                        ; implicit-def: $vgpr99
                                        ; implicit-def: $vgpr113
                                        ; implicit-def: $vgpr103
                                        ; implicit-def: $vgpr117
                                        ; implicit-def: $vgpr115
                                        ; implicit-def: $vgpr129
                                        ; implicit-def: $vgpr119
                                        ; implicit-def: $vgpr145
                                        ; implicit-def: $vgpr135
                                        ; implicit-def: $vgpr131
                                        ; implicit-def: $vgpr133
                                        ; implicit-def: $vgpr161
                                        ; implicit-def: $vgpr151
                                        ; implicit-def: $vgpr181
                                        ; implicit-def: $vgpr163
	s_and_saveexec_b32 s15, s14
	s_cbranch_execz .LBB596_52
; %bb.92:                               ;   in Loop: Header=BB596_53 Depth=1
	s_set_vgpr_msb 5                        ;  msbs: dst=0 src0=1 src1=1 src2=0
	v_add_nc_u32_e32 v68, 0x80, v11 /*v267*/
	v_add_nc_u32_e32 v69, 0x100, v11 /*v267*/
	v_add_nc_u32_e32 v70, 0x180, v11 /*v267*/
	v_add_nc_u32_e32 v71, 0x200, v11 /*v267*/
	v_add_nc_u32_e32 v80, 0x280, v11 /*v267*/
	s_barrier_signal -1
	s_barrier_wait -1
	ds_store_b32 v0 /*v256*/, v15 /*v271*/
	s_set_vgpr_msb 4                        ;  msbs: dst=0 src0=0 src1=1 src2=0
	ds_store_b32 v246, v17 /*v273*/
	ds_store_b32 v244, v16 /*v272*/
	;; [unrolled: 1-line block ×15, first 2 shown]
	s_wait_dscnt 0x0
	s_barrier_signal -1
	s_barrier_wait -1
	s_set_vgpr_msb 1                        ;  msbs: dst=0 src0=1 src1=0 src2=0
	ds_load_b32 v101, v11 /*v267*/
	s_set_vgpr_msb 4                        ;  msbs: dst=0 src0=0 src1=1 src2=0
	ds_load_b32 v99, v68
	ds_load_b32 v113, v69
	;; [unrolled: 1-line block ×5, first 2 shown]
	v_add_nc_u32_e32 v68, 0x300, v11 /*v267*/
	v_add_nc_u32_e32 v69, 0x380, v11 /*v267*/
	;; [unrolled: 1-line block ×5, first 2 shown]
	ds_load_b32 v129, v68
	ds_load_b32 v119, v69
	;; [unrolled: 1-line block ×5, first 2 shown]
	v_add_nc_u32_e32 v68, 0x580, v11 /*v267*/
	v_add_nc_u32_e32 v69, 0x600, v11 /*v267*/
	;; [unrolled: 1-line block ×5, first 2 shown]
	ds_load_b32 v133, v68
	ds_load_b32 v161, v69
	;; [unrolled: 1-line block ×5, first 2 shown]
	s_set_vgpr_msb 16                       ;  msbs: dst=0 src0=0 src1=0 src2=1
	v_lshl_add_u32 v68, v0, 2, v0 /*v256*/
	s_wait_dscnt 0x0
	s_barrier_signal -1
	s_barrier_wait -1
	ds_store_b64 v68, v[54:55]
	s_set_vgpr_msb 0                        ;  msbs: dst=0 src0=0 src1=0 src2=0
	v_lshl_add_u32 v68, v98, 2, v246
	v_lshl_add_u32 v69, v100, 2, v244
	v_lshl_add_u32 v70, v112, 2, v242
	v_lshl_add_u32 v71, v118, 2, v230
	v_lshl_add_u32 v80, v130, 2, v228
	ds_store_b64 v68, v[34:35]
	ds_store_b64 v69, v[32:33]
	ds_store_b64 v70, v[30:31]
	ds_store_b64 v71, v[28:29]
	ds_store_b64 v80, v[26:27]
	v_lshl_add_u32 v68, v102, 2, v226
	v_lshl_add_u32 v69, v114, 2, v224
	v_lshl_add_u32 v70, v128, 2, v214
	v_lshl_add_u32 v71, v134, 2, v212
	v_lshl_add_u32 v80, v144, 2, v210
	ds_store_b64 v68, v[24:25]
	ds_store_b64 v69, v[20:21]
	ds_store_b64 v70, v[18:19]
	ds_store_b64 v71, v[16:17]
	ds_store_b64 v80, v[14:15]
	;; [unrolled: 10-line block ×3, first 2 shown]
	v_add_nc_u32_e32 v68, 0x100, v5
	v_add_nc_u32_e32 v70, 0x200, v5
	;; [unrolled: 1-line block ×4, first 2 shown]
	s_wait_dscnt 0x0
	s_barrier_signal -1
	s_barrier_wait -1
	ds_load_b64 v[68:69], v68
	ds_load_b64 v[70:71], v70
	;; [unrolled: 1-line block ×4, first 2 shown]
	v_add_nc_u32_e32 v80, 0x500, v5
	v_add_nc_u32_e32 v81, 0x600, v5
	;; [unrolled: 1-line block ×5, first 2 shown]
	ds_load_b64 v[86:87], v80
	ds_load_b64 v[96:97], v81
	;; [unrolled: 1-line block ×5, first 2 shown]
	v_add_nc_u32_e32 v80, 0xa00, v5
	v_add_nc_u32_e32 v81, 0xb00, v5
	;; [unrolled: 1-line block ×5, first 2 shown]
	ds_load_b64 v[176:177], v80
	ds_load_b64 v[166:167], v81
	;; [unrolled: 1-line block ×6, first 2 shown]
	s_set_vgpr_msb 1                        ;  msbs: dst=0 src0=1 src1=0 src2=0
	ds_load_b64 v[240:241], v13 /*v269*/
	s_set_vgpr_msb 0x44                     ;  msbs: dst=1 src0=0 src1=1 src2=0
	v_add_nc_u32_e32 v14 /*v270*/, -8, v14 /*v270*/
	s_xor_b32 s16, exec_lo, -1
	s_wait_dscnt 0x0
	s_barrier_signal -1
	s_barrier_wait -1
	s_set_vgpr_msb 0                        ;  msbs: dst=0 src0=0 src1=0 src2=0
	s_branch .LBB596_52
.LBB596_93:
	s_or_b32 exec_lo, exec_lo, s23
	s_set_vgpr_msb 16                       ;  msbs: dst=0 src0=0 src1=0 src2=1
	v_lshl_add_u32 v0, v0, 2, v0 /*v256*/
	s_barrier_signal -1
	s_barrier_wait -1
	s_set_vgpr_msb 5                        ;  msbs: dst=0 src0=1 src1=1 src2=0
	ds_store_b32 v0 /*v256*/, v15 /*v271*/
	s_set_vgpr_msb 4                        ;  msbs: dst=0 src0=0 src1=1 src2=0
	ds_store_b32 v246, v17 /*v273*/
	ds_store_b32 v244, v16 /*v272*/
	;; [unrolled: 1-line block ×15, first 2 shown]
	s_wait_dscnt 0x0
	s_barrier_signal -1
	s_barrier_wait -1
	ds_load_2addr_stride64_b32 v[86:87], v4 offset1:4
	ds_load_2addr_stride64_b32 v[84:85], v4 offset0:8 offset1:12
	ds_load_2addr_stride64_b32 v[82:83], v4 offset0:16 offset1:20
	ds_load_2addr_stride64_b32 v[80:81], v4 offset0:24 offset1:28
	ds_load_2addr_stride64_b32 v[70:71], v4 offset0:32 offset1:36
	ds_load_2addr_stride64_b32 v[68:69], v4 offset0:40 offset1:44
	ds_load_2addr_stride64_b32 v[52:53], v4 offset0:48 offset1:52
	ds_load_2addr_stride64_b32 v[4:5], v4 offset0:56 offset1:60
	s_wait_dscnt 0x0
	s_barrier_signal -1
	s_barrier_wait -1
	s_set_vgpr_msb 0                        ;  msbs: dst=0 src0=0 src1=0 src2=0
	ds_store_b64 v0, v[54:55]
	v_lshl_add_u32 v0, v98, 2, v246
	v_lshl_add_u32 v1, v100, 2, v244
	v_lshl_add_u32 v10, v112, 2, v242
	v_lshl_add_u32 v11, v118, 2, v230
	v_lshl_add_u32 v13, v130, 2, v228
	ds_store_b64 v0, v[34:35]
	ds_store_b64 v1, v[32:33]
	ds_store_b64 v10, v[30:31]
	ds_store_b64 v11, v[28:29]
	ds_store_b64 v13, v[26:27]
	v_lshl_add_u32 v0, v102, 2, v226
	v_lshl_add_u32 v1, v114, 2, v224
	v_lshl_add_u32 v10, v128, 2, v214
	v_lshl_add_u32 v11, v134, 2, v212
	v_lshl_add_u32 v13, v144, 2, v210
	ds_store_b64 v0, v[24:25]
	ds_store_b64 v1, v[20:21]
	ds_store_b64 v10, v[18:19]
	ds_store_b64 v11, v[16:17]
	;; [unrolled: 10-line block ×3, first 2 shown]
	ds_store_b64 v13, v[64:65]
	v_lshl_add_u32 v0, v22, 3, v12
	s_wait_dscnt 0x0
	s_barrier_signal -1
	s_barrier_wait -1
	ds_load_2addr_stride64_b64 v[48:51], v0 offset1:4
	ds_load_2addr_stride64_b64 v[34:37], v0 offset0:8 offset1:12
	ds_load_2addr_stride64_b64 v[30:33], v0 offset0:16 offset1:20
	;; [unrolled: 1-line block ×7, first 2 shown]
	v_lshl_add_u64 v[0:1], v[8:9], 2, v[2:3]
	v_mov_b32_e32 v39, 0
	s_set_vgpr_msb 4                        ;  msbs: dst=0 src0=0 src1=1 src2=0
	v_cmp_lt_u32_e32 vcc_lo, v38, v2 /*v258*/
	s_wait_dscnt 0x0
	s_barrier_signal -1
	s_barrier_wait -1
	v_lshl_add_u64 v[0:1], v[38:39], 2, v[0:1]
	s_and_saveexec_b32 s0, vcc_lo
	s_set_vgpr_msb 0                        ;  msbs: dst=0 src0=0 src1=0 src2=0
	s_cbranch_execz .LBB596_95
; %bb.94:
	v_xor_b32_e32 v2, 0x80000000, v86
	flat_store_b32 v[0:1], v2
.LBB596_95:
	s_wait_xcnt 0x0
	s_or_b32 exec_lo, exec_lo, s0
	v_add_nc_u32_e32 v2, 0x100, v38
	s_set_vgpr_msb 4                        ;  msbs: dst=0 src0=0 src1=1 src2=0
	s_delay_alu instid0(VALU_DEP_1)
	v_cmp_lt_u32_e64 s0, v2, v2 /*v258*/
	s_and_saveexec_b32 s1, s0
	s_set_vgpr_msb 0                        ;  msbs: dst=0 src0=0 src1=0 src2=0
	s_cbranch_execz .LBB596_97
; %bb.96:
	v_xor_b32_e32 v2, 0x80000000, v87
	flat_store_b32 v[0:1], v2 offset:1024
.LBB596_97:
	s_wait_xcnt 0x0
	s_or_b32 exec_lo, exec_lo, s1
	v_add_nc_u32_e32 v2, 0x200, v38
	s_set_vgpr_msb 4                        ;  msbs: dst=0 src0=0 src1=1 src2=0
	s_delay_alu instid0(VALU_DEP_1)
	v_cmp_lt_u32_e64 s1, v2, v2 /*v258*/
	s_and_saveexec_b32 s2, s1
	s_set_vgpr_msb 0                        ;  msbs: dst=0 src0=0 src1=0 src2=0
	s_cbranch_execz .LBB596_99
; %bb.98:
	v_xor_b32_e32 v2, 0x80000000, v84
	flat_store_b32 v[0:1], v2 offset:2048
.LBB596_99:
	;; [unrolled: 13-line block ×15, first 2 shown]
	s_wait_xcnt 0x0
	s_or_b32 exec_lo, exec_lo, s17
	v_lshl_add_u64 v[0:1], v[8:9], 3, v[6:7]
	s_delay_alu instid0(VALU_DEP_1)
	v_lshl_add_u64 v[0:1], v[38:39], 3, v[0:1]
	s_and_saveexec_b32 s17, vcc_lo
	s_cbranch_execnz .LBB596_211
; %bb.126:
	s_or_b32 exec_lo, exec_lo, s17
	s_and_saveexec_b32 s17, s0
	s_cbranch_execnz .LBB596_212
.LBB596_127:
	s_or_b32 exec_lo, exec_lo, s17
	s_and_saveexec_b32 s0, s1
	s_cbranch_execnz .LBB596_213
.LBB596_128:
	s_or_b32 exec_lo, exec_lo, s0
	s_and_saveexec_b32 s0, s2
	s_cbranch_execnz .LBB596_214
.LBB596_129:
	s_or_b32 exec_lo, exec_lo, s0
	s_and_saveexec_b32 s0, s3
	s_cbranch_execnz .LBB596_215
.LBB596_130:
	s_or_b32 exec_lo, exec_lo, s0
	s_and_saveexec_b32 s0, s4
	s_cbranch_execnz .LBB596_216
.LBB596_131:
	s_or_b32 exec_lo, exec_lo, s0
	s_and_saveexec_b32 s0, s5
	s_cbranch_execnz .LBB596_217
.LBB596_132:
	s_or_b32 exec_lo, exec_lo, s0
	s_and_saveexec_b32 s0, s6
	s_cbranch_execnz .LBB596_218
.LBB596_133:
	s_or_b32 exec_lo, exec_lo, s0
	s_and_saveexec_b32 s0, s7
	s_cbranch_execnz .LBB596_219
.LBB596_134:
	s_or_b32 exec_lo, exec_lo, s0
	s_and_saveexec_b32 s0, s10
	s_cbranch_execnz .LBB596_220
.LBB596_135:
	s_or_b32 exec_lo, exec_lo, s0
	s_and_saveexec_b32 s0, s11
	s_cbranch_execnz .LBB596_221
.LBB596_136:
	s_or_b32 exec_lo, exec_lo, s0
	s_and_saveexec_b32 s0, s12
	s_cbranch_execnz .LBB596_222
.LBB596_137:
	s_or_b32 exec_lo, exec_lo, s0
	s_and_saveexec_b32 s0, s13
	s_cbranch_execnz .LBB596_223
.LBB596_138:
	s_or_b32 exec_lo, exec_lo, s0
	s_and_saveexec_b32 s0, s14
	s_cbranch_execnz .LBB596_224
.LBB596_139:
	s_or_b32 exec_lo, exec_lo, s0
	s_and_saveexec_b32 s0, s15
	s_cbranch_execnz .LBB596_225
.LBB596_140:
	s_or_b32 exec_lo, exec_lo, s0
	s_and_saveexec_b32 s0, s16
	s_cbranch_execz .LBB596_142
.LBB596_141:
	flat_store_b64 v[0:1], v[12:13] offset:30720
.LBB596_142:
	s_wait_xcnt 0x0
	s_or_b32 exec_lo, exec_lo, s0
                                        ; implicit-def: $vgpr258
                                        ; implicit-def: $vgpr8
                                        ; implicit-def: $vgpr10
                                        ; implicit-def: $vgpr11
                                        ; implicit-def: $vgpr0_vgpr1
                                        ; implicit-def: $vgpr2_vgpr3
                                        ; implicit-def: $vgpr4_vgpr5
                                        ; implicit-def: $vgpr6_vgpr7
                                        ; implicit-def: $vgpr12_vgpr13
                                        ; implicit-def: $vgpr9
                                        ; implicit-def: $vgpr14
                                        ; implicit-def: $vgpr22
                                        ; implicit-def: $vgpr98
.LBB596_143:
	s_and_not1_saveexec_b32 s0, s21
	s_cbranch_execz .LBB596_372
; %bb.144:
	s_mov_b32 s0, exec_lo
	s_set_vgpr_msb 4                        ;  msbs: dst=0 src0=0 src1=1 src2=0
	v_cmpx_lt_u32_e32 0x400, v2 /*v258*/
	s_xor_b32 s21, exec_lo, s0
	s_set_vgpr_msb 0                        ;  msbs: dst=0 src0=0 src1=0 src2=0
	s_cbranch_execz .LBB596_252
; %bb.145:
	s_load_b64 s[0:1], s[8:9], 0x0
	s_bfe_u32 s3, ttmp6, 0x4000c
	s_bfe_u32 s5, ttmp6, 0x40010
	s_and_b32 s4, ttmp7, 0xffff
	s_add_co_i32 s3, s3, 1
	s_add_co_i32 s5, s5, 1
	s_and_b32 s2, ttmp6, 15
	s_bfe_u32 s6, ttmp6, 0x40004
	s_mul_i32 s3, ttmp9, s3
	s_mul_i32 s5, s4, s5
	s_add_co_i32 s2, s2, s3
	s_add_co_i32 s6, s6, s5
	s_cmp_eq_u32 s20, 0
	s_mov_b32 s3, 0
	s_cselect_b32 s2, ttmp9, s2
	s_cselect_b32 s4, s4, s6
	v_lshlrev_b32_e32 v16, 2, v98
	s_wait_kmcnt 0x0
	s_cmp_lt_u32 s2, s0
	s_cselect_b32 s2, 12, 18
	s_cmp_lt_u32 s4, s1
	s_mov_b32 s1, s3
	s_cselect_b32 s0, 14, 20
	s_delay_alu instid0(SALU_CYCLE_1)
	s_add_nc_u64 s[0:1], s[8:9], s[0:1]
	s_load_u16 s4, s[0:1], 0x0
	s_wait_xcnt 0x0
	s_add_nc_u64 s[0:1], s[8:9], s[2:3]
	s_load_u16 s0, s[0:1], 0x0
	s_wait_kmcnt 0x0
	v_mad_u32_u24 v9, v14, s4, v9
	v_bfrev_b32_e32 v14, -2
	s_delay_alu instid0(VALU_DEP_2) | instskip(NEXT) | instid1(VALU_DEP_2)
	v_mad_u32 v26, v9, s0, v22
	v_dual_mov_b32 v9, 0 :: v_dual_mov_b32 v21, v14
	v_mov_b32_e32 v20, v14
	s_delay_alu instid0(VALU_DEP_2) | instskip(SKIP_2) | instid1(VALU_DEP_2)
	v_lshl_add_u64 v[18:19], v[8:9], 2, v[0:1]
	v_dual_mov_b32 v17, v9 :: v_dual_mov_b32 v1, v9
	v_lshlrev_b32_e32 v15, 3, v26
	v_add_nc_u64_e32 v[24:25], v[18:19], v[16:17]
	v_dual_mov_b32 v16, v14 :: v_dual_mov_b32 v17, v14
	v_mov_b32_e32 v19, v14
	s_delay_alu instid0(VALU_DEP_4) | instskip(SKIP_1) | instid1(VALU_DEP_2)
	v_and_b32_e32 v0, 0xffffff00, v15
	v_dual_mov_b32 v15, v14 :: v_dual_mov_b32 v18, v14
	v_or_b32_e32 v23, v0, v98
	v_lshl_add_u64 v[24:25], v[0:1], 2, v[24:25]
	s_set_vgpr_msb 4                        ;  msbs: dst=0 src0=0 src1=1 src2=0
	s_delay_alu instid0(VALU_DEP_2)
	v_cmp_lt_u32_e32 vcc_lo, v23, v2 /*v258*/
	s_and_saveexec_b32 s0, vcc_lo
	s_set_vgpr_msb 0                        ;  msbs: dst=0 src0=0 src1=0 src2=0
	s_cbranch_execz .LBB596_147
; %bb.146:
	flat_load_b32 v28, v[24:25]
	v_dual_mov_b32 v29, v14 :: v_dual_mov_b32 v30, v14
	v_dual_mov_b32 v31, v14 :: v_dual_mov_b32 v32, v14
	;; [unrolled: 1-line block ×3, first 2 shown]
	v_mov_b32_e32 v35, v14
	s_wait_loadcnt_dscnt 0x0
	v_mov_b64_e32 v[14:15], v[28:29]
	v_mov_b64_e32 v[16:17], v[30:31]
	;; [unrolled: 1-line block ×4, first 2 shown]
.LBB596_147:
	s_wait_xcnt 0x0
	s_or_b32 exec_lo, exec_lo, s0
	v_or_b32_e32 v27, 32, v23
	s_set_vgpr_msb 4                        ;  msbs: dst=0 src0=0 src1=1 src2=0
	s_delay_alu instid0(VALU_DEP_1)
	v_cmp_lt_u32_e64 s0, v27, v2 /*v258*/
	s_and_saveexec_b32 s1, s0
	s_set_vgpr_msb 0                        ;  msbs: dst=0 src0=0 src1=0 src2=0
	s_cbranch_execz .LBB596_149
; %bb.148:
	flat_load_b32 v15, v[24:25] offset:128
.LBB596_149:
	s_wait_xcnt 0x0
	s_or_b32 exec_lo, exec_lo, s1
	v_or_b32_e32 v27, 64, v23
	s_set_vgpr_msb 4                        ;  msbs: dst=0 src0=0 src1=1 src2=0
	s_delay_alu instid0(VALU_DEP_1)
	v_cmp_lt_u32_e64 s1, v27, v2 /*v258*/
	s_and_saveexec_b32 s2, s1
	s_set_vgpr_msb 0                        ;  msbs: dst=0 src0=0 src1=0 src2=0
	s_cbranch_execz .LBB596_151
; %bb.150:
	flat_load_b32 v16, v[24:25] offset:256
.LBB596_151:
	;; [unrolled: 12-line block ×7, first 2 shown]
	s_wait_xcnt 0x0
	s_or_b32 exec_lo, exec_lo, s7
	v_lshl_add_u64 v[4:5], v[8:9], 3, v[4:5]
	v_dual_mov_b32 v25, 0 :: v_dual_lshlrev_b32 v24, 3, v98
                                        ; implicit-def: $vgpr52_vgpr53
	s_delay_alu instid0(VALU_DEP_1) | instskip(NEXT) | instid1(VALU_DEP_1)
	v_add_nc_u64_e32 v[4:5], v[4:5], v[24:25]
	v_lshl_add_u64 v[0:1], v[0:1], 3, v[4:5]
	s_and_saveexec_b32 s7, vcc_lo
	s_cbranch_execnz .LBB596_285
; %bb.162:
	s_or_b32 exec_lo, exec_lo, s7
                                        ; implicit-def: $vgpr64_vgpr65
	s_and_saveexec_b32 s7, s0
	s_cbranch_execnz .LBB596_286
.LBB596_163:
	s_or_b32 exec_lo, exec_lo, s7
                                        ; implicit-def: $vgpr36_vgpr37
	s_and_saveexec_b32 s0, s1
	s_cbranch_execnz .LBB596_287
.LBB596_164:
	s_or_b32 exec_lo, exec_lo, s0
                                        ; implicit-def: $vgpr38_vgpr39
	s_and_saveexec_b32 s0, s2
	s_cbranch_execnz .LBB596_288
.LBB596_165:
	s_or_b32 exec_lo, exec_lo, s0
                                        ; implicit-def: $vgpr48_vgpr49
	s_and_saveexec_b32 s0, s3
	s_cbranch_execnz .LBB596_289
.LBB596_166:
	s_or_b32 exec_lo, exec_lo, s0
                                        ; implicit-def: $vgpr50_vgpr51
	s_and_saveexec_b32 s0, s4
	s_cbranch_execnz .LBB596_290
.LBB596_167:
	s_or_b32 exec_lo, exec_lo, s0
                                        ; implicit-def: $vgpr54_vgpr55
	s_and_saveexec_b32 s0, s5
	s_cbranch_execnz .LBB596_291
.LBB596_168:
	s_or_b32 exec_lo, exec_lo, s0
                                        ; implicit-def: $vgpr66_vgpr67
	s_and_saveexec_b32 s0, s6
	s_cbranch_execz .LBB596_170
.LBB596_169:
	flat_load_b64 v[66:67], v[0:1] offset:1792
.LBB596_170:
	s_wait_xcnt 0x0
	s_or_b32 exec_lo, exec_lo, s0
	v_lshl_add_u32 v0, v22, 5, v12
	v_and_b32_e32 v4, 0x3e0, v22
	s_get_pc_i64 s[0:1]
	s_add_nc_u64 s[0:1], s[0:1], _ZN7rocprim17ROCPRIM_400000_NS16block_radix_sortIiLj256ELj8ElLj1ELj1ELj8ELNS0_26block_radix_rank_algorithmE2ELNS0_18block_padding_hintE2ELNS0_4arch9wavefront6targetE0EE19radix_bits_per_passE@rel64+4
	v_xor_b32_e32 v87, 0x80000000, v14
	s_load_b32 s22, s[0:1], 0x0
	v_dual_lshlrev_b32 v1, 3, v22 :: v_dual_add_nc_u32 v23, 32, v0
	v_dual_add_nc_u32 v27, 36, v0 :: v_dual_add_nc_u32 v130, 40, v0
	v_dual_add_nc_u32 v131, 44, v0 :: v_dual_add_nc_u32 v132, 48, v0
	v_dual_add_nc_u32 v133, 52, v0 :: v_dual_bitop2_b32 v5, 15, v98 bitop3:0x40
	v_dual_add_nc_u32 v134, 56, v0 :: v_dual_add_nc_u32 v135, 60, v0
	v_min_u32_e32 v0, 0xe0, v4
	s_wait_xcnt 0x0
	v_sub_co_u32 v14, s1, v98, 1
	v_lshrrev_b32_e32 v144, 5, v26
	v_cmp_eq_u32_e32 vcc_lo, 0, v5
	v_or_b32_e32 v0, 31, v0
	s_delay_alu instid0(VALU_DEP_4)
	v_cmp_gt_i32_e64 s6, 0, v14
	v_and_b32_e32 v4, 16, v98
	v_cmp_lt_u32_e64 s0, 1, v5
	v_cmp_lt_u32_e64 s2, 3, v5
	v_cmp_eq_u32_e64 s5, v22, v0
	v_cndmask_b32_e64 v0, v14, v98, s6
	v_cmp_eq_u32_e64 s4, 0, v4
	v_lshrrev_b32_e32 v4, 3, v22
	v_cmp_lt_u32_e64 s3, 7, v5
	v_and_or_b32 v5, 0x1f00, v1, v98
	v_dual_lshlrev_b32 v145, 2, v0 :: v_dual_mov_b32 v1, 0
	v_lshlrev_b32_e32 v0, 2, v22
	v_and_b32_e32 v4, 0x7c, v4
	s_delay_alu instid0(VALU_DEP_4)
	v_lshlrev_b32_e32 v14, 2, v5
	s_wait_loadcnt_dscnt 0x0
	v_xor_b32_e32 v69, 0x80000000, v15
	v_and_b32_e32 v15, 7, v98
	v_xor_b32_e32 v71, 0x80000000, v16
	v_add_nc_u32_e32 v146, v12, v4
	v_add_nc_u64_e32 v[4:5], v[12:13], v[0:1]
	v_add_nc_u32_e32 v5, v12, v14
	v_cmp_eq_u32_e64 s11, 0, v15
	v_cmp_lt_u32_e64 s12, 1, v15
	v_cmp_lt_u32_e64 s13, 3, v15
	v_xor_b32_e32 v81, 0x80000000, v17
	v_add_nc_u32_e32 v151, v5, v14
	v_mov_b64_e32 v[14:15], 0
	v_xor_b32_e32 v83, 0x80000000, v18
	v_xor_b32_e32 v85, 0x80000000, v19
	v_xor_b32_e32 v97, 0x80000000, v20
	v_xor_b32_e32 v99, 0x80000000, v21
	v_cmp_gt_u32_e64 s6, 8, v22
	v_cmp_lt_u32_e64 s7, 31, v22
	v_cmp_eq_u32_e64 s10, 0, v22
	v_add_nc_u32_e32 v147, -4, v146
	v_add_nc_u32_e32 v148, 0x80, v5
	v_add_nc_u32_e32 v149, 0x100, v5
	;; [unrolled: 1-line block ×14, first 2 shown]
	v_sub_nc_u32_e32 v179, v11, v10
	s_mov_b32 s23, 0
	s_wait_storecnt 0x0
	s_barrier_signal -1
	s_barrier_wait -1
	s_branch .LBB596_172
.LBB596_171:                            ;   in Loop: Header=BB596_172 Depth=1
	s_or_b32 exec_lo, exec_lo, s15
	s_delay_alu instid0(SALU_CYCLE_1) | instskip(NEXT) | instid1(SALU_CYCLE_1)
	s_and_b32 s14, exec_lo, s16
	s_or_b32 s23, s14, s23
	s_delay_alu instid0(SALU_CYCLE_1)
	s_and_not1_b32 exec_lo, exec_lo, s23
	s_cbranch_execz .LBB596_226
.LBB596_172:                            ; =>This Inner Loop Header: Depth=1
	s_wait_kmcnt 0x0
	v_min_u32_e32 v0, s22, v179
	v_dual_mov_b32 v182, v87 :: v_dual_mov_b32 v180, v99
	v_mov_b32_e32 v181, v97
	v_mov_b64_e32 v[34:35], v[36:37]
	s_delay_alu instid0(VALU_DEP_4) | instskip(NEXT) | instid1(VALU_DEP_4)
	v_lshlrev_b32_e64 v68, v0, -1
	v_lshrrev_b32_e32 v0, v10, v182
	v_mov_b64_e32 v[18:19], v[52:53]
	v_mov_b64_e32 v[16:17], v[64:65]
	;; [unrolled: 1-line block ×3, first 2 shown]
	v_dual_mov_b32 v183, v85 :: v_dual_mov_b32 v192, v83
	v_bitop3_b32 v32, v0, v68, v0 bitop3:0x30
	v_bitop3_b32 v0, v0, 1, v68 bitop3:0x40
	v_dual_mov_b32 v195, v69 :: v_dual_mov_b32 v193, v81
	s_delay_alu instid0(VALU_DEP_3) | instskip(NEXT) | instid1(VALU_DEP_3)
	v_dual_mov_b32 v194, v71 :: v_dual_lshlrev_b32 v20, 30, v32
	v_add_co_u32 v0, s14, v0, -1
	s_delay_alu instid0(VALU_DEP_1) | instskip(SKIP_1) | instid1(VALU_DEP_4)
	v_cndmask_b32_e64 v21, 0, 1, s14
	v_dual_lshlrev_b32 v24, 29, v32 :: v_dual_lshlrev_b32 v28, 28, v32
	v_not_b32_e32 v25, v20
	v_lshlrev_b32_e32 v29, 27, v32
	s_delay_alu instid0(VALU_DEP_4)
	v_cmp_ne_u32_e64 s14, 0, v21
	v_cmp_gt_i32_e64 s15, 0, v20
	v_cmp_gt_i32_e64 s16, 0, v24
	v_ashrrev_i32_e32 v20, 31, v25
	v_not_b32_e32 v21, v24
	v_not_b32_e32 v24, v28
	v_xor_b32_e32 v0, s14, v0
	v_cmp_gt_i32_e64 s14, 0, v28
	s_delay_alu instid0(VALU_DEP_4) | instskip(NEXT) | instid1(VALU_DEP_4)
	v_dual_ashrrev_i32 v21, 31, v21 :: v_dual_bitop2_b32 v20, s15, v20 bitop3:0x14
	v_ashrrev_i32_e32 v24, 31, v24
	v_lshlrev_b32_e32 v25, 26, v32
	ds_store_b64 v23, v[14:15]
	ds_store_b64 v130, v[14:15]
	v_bitop3_b32 v0, v0, v20, exec_lo bitop3:0x80
	v_not_b32_e32 v20, v29
	v_xor_b32_e32 v21, s16, v21
	v_xor_b32_e32 v24, s14, v24
	v_cmp_gt_i32_e64 s14, 0, v29
	v_lshlrev_b32_e32 v29, 25, v32
	v_not_b32_e32 v28, v25
	v_ashrrev_i32_e32 v20, 31, v20
	v_cmp_gt_i32_e64 s15, 0, v25
	v_lshlrev_b32_e32 v25, 24, v32
	v_bitop3_b32 v0, v0, v24, v21 bitop3:0x80
	v_ashrrev_i32_e32 v28, 31, v28
	v_not_b32_e32 v21, v29
	v_xor_b32_e32 v24, s14, v20
	v_not_b32_e32 v20, v25
	v_cmp_gt_i32_e64 s14, 0, v29
	s_delay_alu instid0(VALU_DEP_4) | instskip(SKIP_1) | instid1(VALU_DEP_4)
	v_dual_ashrrev_i32 v29, 31, v21 :: v_dual_bitop2_b32 v28, s15, v28 bitop3:0x14
	v_cmp_gt_i32_e64 s15, 0, v25
	v_ashrrev_i32_e32 v25, 31, v20
	v_mov_b64_e32 v[20:21], v[38:39]
	s_delay_alu instid0(VALU_DEP_4)
	v_bitop3_b32 v33, v0, v28, v24 bitop3:0x80
	v_xor_b32_e32 v36, s14, v29
	v_lshl_add_u32 v0, v32, 3, v144
	v_xor_b32_e32 v37, s15, v25
	v_mov_b64_e32 v[28:29], v[50:51]
	v_mov_b64_e32 v[24:25], v[54:55]
	ds_store_b64 v132, v[14:15]
	ds_store_b64 v134, v[14:15]
	s_wait_dscnt 0x0
	v_bitop3_b32 v38, v33, v37, v36 bitop3:0x80
	v_lshl_add_u64 v[36:37], v[0:1], 2, v[12:13]
	v_mov_b64_e32 v[32:33], v[66:67]
	s_barrier_signal -1
	s_barrier_wait -1
	v_mbcnt_lo_u32_b32 v0, v38, 0
	v_add_nc_u64_e32 v[36:37], 32, v[36:37]
	v_cmp_ne_u32_e64 s15, 0, v38
	s_delay_alu instid0(VALU_DEP_3) | instskip(SKIP_1) | instid1(SALU_CYCLE_1)
	v_cmp_eq_u32_e64 s14, 0, v0
	; wave barrier
	s_and_b32 s15, s15, s14
	s_and_saveexec_b32 s14, s15
; %bb.173:                              ;   in Loop: Header=BB596_172 Depth=1
	v_bcnt_u32_b32 v37, v38, 0
	ds_store_b32 v36, v37
; %bb.174:                              ;   in Loop: Header=BB596_172 Depth=1
	s_or_b32 exec_lo, exec_lo, s14
	v_not_b32_e32 v51, v68
	v_lshrrev_b32_e32 v37, v10, v195
	; wave barrier
	s_delay_alu instid0(VALU_DEP_1) | instskip(NEXT) | instid1(VALU_DEP_1)
	v_and_b32_e32 v38, v37, v51
	v_lshlrev_b32_e32 v49, 30, v38
	v_bitop3_b32 v37, v37, 1, v51 bitop3:0x80
	s_delay_alu instid0(VALU_DEP_2) | instskip(NEXT) | instid1(VALU_DEP_2)
	v_cmp_gt_i32_e64 s15, 0, v49
	v_add_co_u32 v37, s14, v37, -1
	s_delay_alu instid0(VALU_DEP_1) | instskip(NEXT) | instid1(VALU_DEP_1)
	v_cndmask_b32_e64 v48, 0, 1, s14
	v_cmp_ne_u32_e64 s14, 0, v48
	v_not_b32_e32 v48, v49
	s_delay_alu instid0(VALU_DEP_1) | instskip(SKIP_3) | instid1(VALU_DEP_4)
	v_dual_ashrrev_i32 v48, 31, v48 :: v_dual_lshlrev_b32 v50, 29, v38
	v_dual_lshlrev_b32 v52, 28, v38 :: v_dual_lshlrev_b32 v53, 27, v38
	v_lshlrev_b32_e32 v54, 26, v38
	v_lshl_add_u32 v39, v38, 3, v144
	v_cmp_gt_i32_e64 s16, 0, v50
	v_not_b32_e32 v49, v50
	v_not_b32_e32 v50, v52
	v_cmp_gt_i32_e64 s17, 0, v52
	v_xor_b32_e32 v37, s14, v37
	s_delay_alu instid0(VALU_DEP_4) | instskip(NEXT) | instid1(VALU_DEP_4)
	v_dual_ashrrev_i32 v49, 31, v49 :: v_dual_bitop2_b32 v48, s15, v48 bitop3:0x14
	v_ashrrev_i32_e32 v50, 31, v50
	v_not_b32_e32 v52, v53
	v_cmp_gt_i32_e64 s18, 0, v53
	v_not_b32_e32 v53, v54
	v_xor_b32_e32 v49, s16, v49
	v_xor_b32_e32 v50, s17, v50
	v_bitop3_b32 v37, v37, v48, exec_lo bitop3:0x80
	v_dual_ashrrev_i32 v48, 31, v52 :: v_dual_lshlrev_b32 v52, 25, v38
	v_lshlrev_b32_e32 v38, 24, v38
	v_cmp_gt_i32_e64 s14, 0, v54
	v_ashrrev_i32_e32 v53, 31, v53
	v_bitop3_b32 v37, v37, v50, v49 bitop3:0x80
	v_not_b32_e32 v49, v52
	v_not_b32_e32 v50, v38
	v_xor_b32_e32 v48, s18, v48
	v_xor_b32_e32 v53, s14, v53
	v_cmp_gt_i32_e64 s14, 0, v52
	v_ashrrev_i32_e32 v49, 31, v49
	v_cmp_gt_i32_e64 s15, 0, v38
	v_ashrrev_i32_e32 v38, 31, v50
	v_lshl_add_u32 v39, v39, 2, v12
	v_bitop3_b32 v48, v37, v53, v48 bitop3:0x80
	v_xor_b32_e32 v49, s14, v49
	s_delay_alu instid0(VALU_DEP_4) | instskip(SKIP_3) | instid1(VALU_DEP_1)
	v_xor_b32_e32 v38, s15, v38
	ds_load_b32 v37, v39 offset:32
	v_add_nc_u32_e32 v39, 32, v39
	; wave barrier
	v_bitop3_b32 v48, v48, v38, v49 bitop3:0x80
	v_mbcnt_lo_u32_b32 v38, v48, 0
	v_cmp_ne_u32_e64 s15, 0, v48
	s_delay_alu instid0(VALU_DEP_2) | instskip(SKIP_1) | instid1(SALU_CYCLE_1)
	v_cmp_eq_u32_e64 s14, 0, v38
	s_and_b32 s15, s15, s14
	s_and_saveexec_b32 s14, s15
	s_cbranch_execz .LBB596_176
; %bb.175:                              ;   in Loop: Header=BB596_172 Depth=1
	s_wait_dscnt 0x0
	v_bcnt_u32_b32 v48, v48, v37
	ds_store_b32 v39, v48
.LBB596_176:                            ;   in Loop: Header=BB596_172 Depth=1
	s_or_b32 exec_lo, exec_lo, s14
	v_lshrrev_b32_e32 v48, v10, v194
	; wave barrier
	s_delay_alu instid0(VALU_DEP_1) | instskip(NEXT) | instid1(VALU_DEP_1)
	v_and_b32_e32 v49, v48, v51
	v_lshlrev_b32_e32 v53, 30, v49
	v_bitop3_b32 v48, v48, 1, v51 bitop3:0x80
	s_delay_alu instid0(VALU_DEP_2) | instskip(NEXT) | instid1(VALU_DEP_2)
	v_cmp_gt_i32_e64 s15, 0, v53
	v_add_co_u32 v48, s14, v48, -1
	s_delay_alu instid0(VALU_DEP_1) | instskip(NEXT) | instid1(VALU_DEP_1)
	v_cndmask_b32_e64 v52, 0, 1, s14
	v_cmp_ne_u32_e64 s14, 0, v52
	v_not_b32_e32 v52, v53
	s_delay_alu instid0(VALU_DEP_1) | instskip(SKIP_3) | instid1(VALU_DEP_4)
	v_dual_ashrrev_i32 v52, 31, v52 :: v_dual_lshlrev_b32 v54, 29, v49
	v_dual_lshlrev_b32 v55, 28, v49 :: v_dual_lshlrev_b32 v64, 27, v49
	v_lshlrev_b32_e32 v65, 26, v49
	v_lshl_add_u32 v50, v49, 3, v144
	v_cmp_gt_i32_e64 s16, 0, v54
	v_not_b32_e32 v53, v54
	v_not_b32_e32 v54, v55
	v_cmp_gt_i32_e64 s17, 0, v55
	v_xor_b32_e32 v48, s14, v48
	s_delay_alu instid0(VALU_DEP_4) | instskip(NEXT) | instid1(VALU_DEP_4)
	v_dual_ashrrev_i32 v53, 31, v53 :: v_dual_bitop2_b32 v52, s15, v52 bitop3:0x14
	v_dual_ashrrev_i32 v54, 31, v54 :: v_dual_lshlrev_b32 v66, 25, v49
	v_lshlrev_b32_e32 v49, 24, v49
	v_not_b32_e32 v55, v64
	v_not_b32_e32 v67, v65
	v_xor_b32_e32 v53, s16, v53
	v_xor_b32_e32 v54, s17, v54
	v_bitop3_b32 v48, v48, v52, exec_lo bitop3:0x80
	v_cmp_gt_i32_e64 s14, 0, v64
	v_ashrrev_i32_e32 v52, 31, v55
	v_cmp_gt_i32_e64 s15, 0, v65
	v_ashrrev_i32_e32 v55, 31, v67
	v_bitop3_b32 v48, v48, v54, v53 bitop3:0x80
	v_not_b32_e32 v53, v66
	v_not_b32_e32 v54, v49
	v_xor_b32_e32 v52, s14, v52
	v_xor_b32_e32 v55, s15, v55
	v_cmp_gt_i32_e64 s14, 0, v66
	v_ashrrev_i32_e32 v53, 31, v53
	v_cmp_gt_i32_e64 s15, 0, v49
	v_ashrrev_i32_e32 v49, 31, v54
	v_lshl_add_u32 v50, v50, 2, v12
	v_bitop3_b32 v52, v48, v55, v52 bitop3:0x80
	v_xor_b32_e32 v53, s14, v53
	s_delay_alu instid0(VALU_DEP_4) | instskip(SKIP_3) | instid1(VALU_DEP_1)
	v_xor_b32_e32 v49, s15, v49
	ds_load_b32 v48, v50 offset:32
	v_add_nc_u32_e32 v50, 32, v50
	; wave barrier
	v_bitop3_b32 v52, v52, v49, v53 bitop3:0x80
	v_mbcnt_lo_u32_b32 v49, v52, 0
	v_cmp_ne_u32_e64 s15, 0, v52
	s_delay_alu instid0(VALU_DEP_2) | instskip(SKIP_1) | instid1(SALU_CYCLE_1)
	v_cmp_eq_u32_e64 s14, 0, v49
	s_and_b32 s15, s15, s14
	s_and_saveexec_b32 s14, s15
	s_cbranch_execz .LBB596_178
; %bb.177:                              ;   in Loop: Header=BB596_172 Depth=1
	s_wait_dscnt 0x0
	v_bcnt_u32_b32 v52, v52, v48
	ds_store_b32 v50, v52
.LBB596_178:                            ;   in Loop: Header=BB596_172 Depth=1
	s_or_b32 exec_lo, exec_lo, s14
	v_lshrrev_b32_e32 v52, v10, v193
	; wave barrier
	s_delay_alu instid0(VALU_DEP_1) | instskip(SKIP_1) | instid1(VALU_DEP_2)
	v_and_b32_e32 v53, v52, v51
	v_bitop3_b32 v52, v52, 1, v51 bitop3:0x80
	v_dual_lshlrev_b32 v64, 30, v53 :: v_dual_lshlrev_b32 v65, 29, v53
	s_delay_alu instid0(VALU_DEP_2) | instskip(NEXT) | instid1(VALU_DEP_1)
	v_add_co_u32 v52, s14, v52, -1
	v_cndmask_b32_e64 v55, 0, 1, s14
	s_delay_alu instid0(VALU_DEP_3) | instskip(NEXT) | instid1(VALU_DEP_4)
	v_cmp_gt_i32_e64 s15, 0, v64
	v_cmp_gt_i32_e64 s16, 0, v65
	s_delay_alu instid0(VALU_DEP_3) | instskip(SKIP_2) | instid1(VALU_DEP_2)
	v_cmp_ne_u32_e64 s14, 0, v55
	v_not_b32_e32 v55, v64
	v_not_b32_e32 v64, v65
	v_dual_ashrrev_i32 v55, 31, v55 :: v_dual_bitop2_b32 v52, s14, v52 bitop3:0x14
	s_delay_alu instid0(VALU_DEP_2) | instskip(SKIP_3) | instid1(VALU_DEP_4)
	v_dual_ashrrev_i32 v64, 31, v64 :: v_dual_lshlrev_b32 v66, 28, v53
	v_lshlrev_b32_e32 v67, 27, v53
	v_lshl_add_u32 v54, v53, 3, v144
	v_dual_lshlrev_b32 v68, 26, v53 :: v_dual_lshlrev_b32 v69, 25, v53
	v_not_b32_e32 v65, v66
	v_lshlrev_b32_e32 v53, 24, v53
	v_cmp_gt_i32_e64 s17, 0, v66
	v_xor_b32_e32 v55, s15, v55
	v_not_b32_e32 v66, v67
	v_ashrrev_i32_e32 v65, 31, v65
	v_not_b32_e32 v70, v68
	v_xor_b32_e32 v64, s16, v64
	v_bitop3_b32 v52, v52, v55, exec_lo bitop3:0x80
	v_cmp_gt_i32_e64 s14, 0, v67
	v_dual_ashrrev_i32 v55, 31, v66 :: v_dual_bitop2_b32 v65, s17, v65 bitop3:0x14
	v_cmp_gt_i32_e64 s15, 0, v68
	v_ashrrev_i32_e32 v66, 31, v70
	v_lshl_add_u32 v54, v54, 2, v12
	s_delay_alu instid0(VALU_DEP_4)
	v_bitop3_b32 v52, v52, v65, v64 bitop3:0x80
	v_not_b32_e32 v64, v69
	v_not_b32_e32 v65, v53
	v_xor_b32_e32 v55, s14, v55
	v_xor_b32_e32 v66, s15, v66
	v_cmp_gt_i32_e64 s14, 0, v69
	v_ashrrev_i32_e32 v64, 31, v64
	v_cmp_gt_i32_e64 s15, 0, v53
	v_ashrrev_i32_e32 v53, 31, v65
	v_bitop3_b32 v55, v52, v66, v55 bitop3:0x80
	ds_load_b32 v52, v54 offset:32
	v_dual_add_nc_u32 v54, 32, v54 :: v_dual_bitop2_b32 v64, s14, v64 bitop3:0x14
	v_xor_b32_e32 v53, s15, v53
	; wave barrier
	s_delay_alu instid0(VALU_DEP_1) | instskip(NEXT) | instid1(VALU_DEP_1)
	v_bitop3_b32 v55, v55, v53, v64 bitop3:0x80
	v_mbcnt_lo_u32_b32 v53, v55, 0
	v_cmp_ne_u32_e64 s15, 0, v55
	s_delay_alu instid0(VALU_DEP_2) | instskip(SKIP_1) | instid1(SALU_CYCLE_1)
	v_cmp_eq_u32_e64 s14, 0, v53
	s_and_b32 s15, s15, s14
	s_and_saveexec_b32 s14, s15
	s_cbranch_execz .LBB596_180
; %bb.179:                              ;   in Loop: Header=BB596_172 Depth=1
	s_wait_dscnt 0x0
	v_bcnt_u32_b32 v55, v55, v52
	ds_store_b32 v54, v55
.LBB596_180:                            ;   in Loop: Header=BB596_172 Depth=1
	s_or_b32 exec_lo, exec_lo, s14
	v_lshrrev_b32_e32 v55, v10, v192
	; wave barrier
	s_delay_alu instid0(VALU_DEP_1) | instskip(SKIP_1) | instid1(VALU_DEP_2)
	v_and_b32_e32 v64, v55, v51
	v_bitop3_b32 v55, v55, 1, v51 bitop3:0x80
	v_dual_lshlrev_b32 v67, 30, v64 :: v_dual_lshlrev_b32 v68, 29, v64
	s_delay_alu instid0(VALU_DEP_2) | instskip(NEXT) | instid1(VALU_DEP_1)
	v_add_co_u32 v55, s14, v55, -1
	v_cndmask_b32_e64 v66, 0, 1, s14
	v_lshlrev_b32_e32 v69, 28, v64
	s_delay_alu instid0(VALU_DEP_4) | instskip(SKIP_1) | instid1(VALU_DEP_4)
	v_cmp_gt_i32_e64 s15, 0, v67
	v_cmp_gt_i32_e64 s16, 0, v68
	v_cmp_ne_u32_e64 s14, 0, v66
	v_not_b32_e32 v66, v67
	v_not_b32_e32 v67, v68
	;; [unrolled: 1-line block ×3, first 2 shown]
	s_delay_alu instid0(VALU_DEP_3) | instskip(NEXT) | instid1(VALU_DEP_2)
	v_dual_ashrrev_i32 v66, 31, v66 :: v_dual_bitop2_b32 v55, s14, v55 bitop3:0x14
	v_dual_ashrrev_i32 v67, 31, v67 :: v_dual_ashrrev_i32 v68, 31, v68
	v_lshl_add_u32 v65, v64, 3, v144
	v_dual_lshlrev_b32 v70, 27, v64 :: v_dual_lshlrev_b32 v71, 26, v64
	v_dual_lshlrev_b32 v80, 25, v64 :: v_dual_lshlrev_b32 v64, 24, v64
	v_cmp_gt_i32_e64 s17, 0, v69
	v_xor_b32_e32 v66, s15, v66
	s_delay_alu instid0(VALU_DEP_4)
	v_not_b32_e32 v69, v70
	v_not_b32_e32 v81, v71
	v_xor_b32_e32 v67, s16, v67
	v_xor_b32_e32 v68, s17, v68
	v_bitop3_b32 v55, v55, v66, exec_lo bitop3:0x80
	v_cmp_gt_i32_e64 s14, 0, v70
	v_ashrrev_i32_e32 v66, 31, v69
	v_cmp_gt_i32_e64 s15, 0, v71
	v_ashrrev_i32_e32 v69, 31, v81
	v_bitop3_b32 v55, v55, v68, v67 bitop3:0x80
	v_not_b32_e32 v67, v80
	v_not_b32_e32 v68, v64
	v_xor_b32_e32 v66, s14, v66
	v_xor_b32_e32 v69, s15, v69
	v_cmp_gt_i32_e64 s14, 0, v80
	v_ashrrev_i32_e32 v67, 31, v67
	v_cmp_gt_i32_e64 s15, 0, v64
	v_ashrrev_i32_e32 v64, 31, v68
	v_lshl_add_u32 v65, v65, 2, v12
	v_bitop3_b32 v66, v55, v69, v66 bitop3:0x80
	v_xor_b32_e32 v67, s14, v67
	s_delay_alu instid0(VALU_DEP_4) | instskip(SKIP_3) | instid1(VALU_DEP_1)
	v_xor_b32_e32 v64, s15, v64
	ds_load_b32 v55, v65 offset:32
	v_add_nc_u32_e32 v65, 32, v65
	; wave barrier
	v_bitop3_b32 v66, v66, v64, v67 bitop3:0x80
	v_mbcnt_lo_u32_b32 v64, v66, 0
	v_cmp_ne_u32_e64 s15, 0, v66
	s_delay_alu instid0(VALU_DEP_2) | instskip(SKIP_1) | instid1(SALU_CYCLE_1)
	v_cmp_eq_u32_e64 s14, 0, v64
	s_and_b32 s15, s15, s14
	s_and_saveexec_b32 s14, s15
	s_cbranch_execz .LBB596_182
; %bb.181:                              ;   in Loop: Header=BB596_172 Depth=1
	s_wait_dscnt 0x0
	v_bcnt_u32_b32 v66, v66, v55
	ds_store_b32 v65, v66
.LBB596_182:                            ;   in Loop: Header=BB596_172 Depth=1
	s_or_b32 exec_lo, exec_lo, s14
	v_lshrrev_b32_e32 v66, v10, v183
	; wave barrier
	s_delay_alu instid0(VALU_DEP_1) | instskip(SKIP_1) | instid1(VALU_DEP_2)
	v_and_b32_e32 v67, v66, v51
	v_bitop3_b32 v66, v66, 1, v51 bitop3:0x80
	v_dual_lshlrev_b32 v70, 30, v67 :: v_dual_lshlrev_b32 v71, 29, v67
	s_delay_alu instid0(VALU_DEP_2) | instskip(NEXT) | instid1(VALU_DEP_1)
	v_add_co_u32 v66, s14, v66, -1
	v_cndmask_b32_e64 v69, 0, 1, s14
	s_delay_alu instid0(VALU_DEP_3) | instskip(NEXT) | instid1(VALU_DEP_4)
	v_cmp_gt_i32_e64 s15, 0, v70
	v_cmp_gt_i32_e64 s16, 0, v71
	s_delay_alu instid0(VALU_DEP_3) | instskip(SKIP_2) | instid1(VALU_DEP_2)
	v_cmp_ne_u32_e64 s14, 0, v69
	v_not_b32_e32 v69, v70
	v_not_b32_e32 v70, v71
	v_dual_ashrrev_i32 v69, 31, v69 :: v_dual_bitop2_b32 v66, s14, v66 bitop3:0x14
	s_delay_alu instid0(VALU_DEP_2) | instskip(SKIP_3) | instid1(VALU_DEP_4)
	v_dual_ashrrev_i32 v70, 31, v70 :: v_dual_lshlrev_b32 v80, 28, v67
	v_lshlrev_b32_e32 v81, 27, v67
	v_lshl_add_u32 v68, v67, 3, v144
	v_dual_lshlrev_b32 v82, 26, v67 :: v_dual_lshlrev_b32 v83, 25, v67
	v_not_b32_e32 v71, v80
	v_lshlrev_b32_e32 v67, 24, v67
	v_cmp_gt_i32_e64 s17, 0, v80
	v_xor_b32_e32 v69, s15, v69
	v_not_b32_e32 v80, v81
	v_ashrrev_i32_e32 v71, 31, v71
	v_not_b32_e32 v84, v82
	v_xor_b32_e32 v70, s16, v70
	v_bitop3_b32 v66, v66, v69, exec_lo bitop3:0x80
	v_cmp_gt_i32_e64 s14, 0, v81
	v_dual_ashrrev_i32 v69, 31, v80 :: v_dual_bitop2_b32 v71, s17, v71 bitop3:0x14
	v_cmp_gt_i32_e64 s15, 0, v82
	v_ashrrev_i32_e32 v80, 31, v84
	v_lshl_add_u32 v68, v68, 2, v12
	s_delay_alu instid0(VALU_DEP_4)
	v_bitop3_b32 v66, v66, v71, v70 bitop3:0x80
	v_not_b32_e32 v70, v83
	v_not_b32_e32 v71, v67
	v_xor_b32_e32 v69, s14, v69
	v_xor_b32_e32 v80, s15, v80
	v_cmp_gt_i32_e64 s14, 0, v83
	v_ashrrev_i32_e32 v70, 31, v70
	v_cmp_gt_i32_e64 s15, 0, v67
	v_ashrrev_i32_e32 v67, 31, v71
	v_bitop3_b32 v69, v66, v80, v69 bitop3:0x80
	ds_load_b32 v66, v68 offset:32
	v_dual_add_nc_u32 v68, 32, v68 :: v_dual_bitop2_b32 v70, s14, v70 bitop3:0x14
	v_xor_b32_e32 v67, s15, v67
	; wave barrier
	s_delay_alu instid0(VALU_DEP_1) | instskip(NEXT) | instid1(VALU_DEP_1)
	v_bitop3_b32 v69, v69, v67, v70 bitop3:0x80
	v_mbcnt_lo_u32_b32 v67, v69, 0
	v_cmp_ne_u32_e64 s15, 0, v69
	s_delay_alu instid0(VALU_DEP_2) | instskip(SKIP_1) | instid1(SALU_CYCLE_1)
	v_cmp_eq_u32_e64 s14, 0, v67
	s_and_b32 s15, s15, s14
	s_and_saveexec_b32 s14, s15
	s_cbranch_execz .LBB596_184
; %bb.183:                              ;   in Loop: Header=BB596_172 Depth=1
	s_wait_dscnt 0x0
	v_bcnt_u32_b32 v69, v69, v66
	ds_store_b32 v68, v69
.LBB596_184:                            ;   in Loop: Header=BB596_172 Depth=1
	s_or_b32 exec_lo, exec_lo, s14
	v_lshrrev_b32_e32 v69, v10, v181
	; wave barrier
	s_delay_alu instid0(VALU_DEP_1) | instskip(NEXT) | instid1(VALU_DEP_1)
	v_and_b32_e32 v70, v69, v51
	v_lshlrev_b32_e32 v81, 30, v70
	v_bitop3_b32 v69, v69, 1, v51 bitop3:0x80
	s_delay_alu instid0(VALU_DEP_2) | instskip(NEXT) | instid1(VALU_DEP_2)
	v_cmp_gt_i32_e64 s15, 0, v81
	v_add_co_u32 v69, s14, v69, -1
	s_delay_alu instid0(VALU_DEP_1) | instskip(NEXT) | instid1(VALU_DEP_1)
	v_cndmask_b32_e64 v80, 0, 1, s14
	v_cmp_ne_u32_e64 s14, 0, v80
	v_not_b32_e32 v80, v81
	s_delay_alu instid0(VALU_DEP_1) | instskip(SKIP_3) | instid1(VALU_DEP_4)
	v_dual_ashrrev_i32 v80, 31, v80 :: v_dual_lshlrev_b32 v82, 29, v70
	v_dual_lshlrev_b32 v83, 28, v70 :: v_dual_lshlrev_b32 v84, 27, v70
	v_lshlrev_b32_e32 v85, 26, v70
	v_lshl_add_u32 v71, v70, 3, v144
	v_cmp_gt_i32_e64 s16, 0, v82
	v_not_b32_e32 v81, v82
	v_not_b32_e32 v82, v83
	v_cmp_gt_i32_e64 s17, 0, v83
	v_xor_b32_e32 v69, s14, v69
	s_delay_alu instid0(VALU_DEP_4) | instskip(NEXT) | instid1(VALU_DEP_4)
	v_dual_ashrrev_i32 v81, 31, v81 :: v_dual_bitop2_b32 v80, s15, v80 bitop3:0x14
	v_ashrrev_i32_e32 v82, 31, v82
	v_dual_lshlrev_b32 v86, 25, v70 :: v_dual_lshlrev_b32 v70, 24, v70
	v_not_b32_e32 v83, v84
	v_not_b32_e32 v87, v85
	v_xor_b32_e32 v81, s16, v81
	v_xor_b32_e32 v82, s17, v82
	v_bitop3_b32 v69, v69, v80, exec_lo bitop3:0x80
	v_cmp_gt_i32_e64 s14, 0, v84
	v_ashrrev_i32_e32 v80, 31, v83
	v_cmp_gt_i32_e64 s15, 0, v85
	v_ashrrev_i32_e32 v83, 31, v87
	v_bitop3_b32 v69, v69, v82, v81 bitop3:0x80
	v_not_b32_e32 v81, v86
	v_not_b32_e32 v82, v70
	v_xor_b32_e32 v80, s14, v80
	v_xor_b32_e32 v83, s15, v83
	v_cmp_gt_i32_e64 s14, 0, v86
	v_ashrrev_i32_e32 v81, 31, v81
	v_cmp_gt_i32_e64 s15, 0, v70
	v_ashrrev_i32_e32 v70, 31, v82
	v_lshl_add_u32 v71, v71, 2, v12
	v_bitop3_b32 v69, v69, v83, v80 bitop3:0x80
	v_xor_b32_e32 v80, s14, v81
	s_delay_alu instid0(VALU_DEP_4) | instskip(SKIP_3) | instid1(VALU_DEP_2)
	v_xor_b32_e32 v70, s15, v70
	ds_load_b32 v84, v71 offset:32
	; wave barrier
	v_bitop3_b32 v70, v69, v70, v80 bitop3:0x80
	v_add_nc_u32_e32 v69, 32, v71
	v_mbcnt_lo_u32_b32 v96, v70, 0
	v_cmp_ne_u32_e64 s15, 0, v70
	s_delay_alu instid0(VALU_DEP_2) | instskip(SKIP_1) | instid1(SALU_CYCLE_1)
	v_cmp_eq_u32_e64 s14, 0, v96
	s_and_b32 s15, s15, s14
	s_and_saveexec_b32 s14, s15
	s_cbranch_execz .LBB596_186
; %bb.185:                              ;   in Loop: Header=BB596_172 Depth=1
	s_wait_dscnt 0x0
	v_bcnt_u32_b32 v70, v70, v84
	ds_store_b32 v69, v70
.LBB596_186:                            ;   in Loop: Header=BB596_172 Depth=1
	s_or_b32 exec_lo, exec_lo, s14
	v_lshrrev_b32_e32 v70, v10, v180
	; wave barrier
	s_delay_alu instid0(VALU_DEP_1) | instskip(NEXT) | instid1(VALU_DEP_1)
	v_and_b32_e32 v71, v70, v51
	v_lshlrev_b32_e32 v81, 30, v71
	v_bitop3_b32 v51, v70, 1, v51 bitop3:0x80
	s_delay_alu instid0(VALU_DEP_2) | instskip(NEXT) | instid1(VALU_DEP_2)
	v_cmp_gt_i32_e64 s15, 0, v81
	v_add_co_u32 v51, s14, v51, -1
	s_delay_alu instid0(VALU_DEP_1) | instskip(NEXT) | instid1(VALU_DEP_1)
	v_cndmask_b32_e64 v80, 0, 1, s14
	v_cmp_ne_u32_e64 s14, 0, v80
	v_not_b32_e32 v80, v81
	s_delay_alu instid0(VALU_DEP_1) | instskip(SKIP_3) | instid1(VALU_DEP_4)
	v_dual_ashrrev_i32 v80, 31, v80 :: v_dual_lshlrev_b32 v82, 29, v71
	v_dual_lshlrev_b32 v83, 28, v71 :: v_dual_lshlrev_b32 v85, 27, v71
	v_lshlrev_b32_e32 v86, 26, v71
	v_lshl_add_u32 v70, v71, 3, v144
	v_cmp_gt_i32_e64 s16, 0, v82
	v_not_b32_e32 v81, v82
	v_not_b32_e32 v82, v83
	v_cmp_gt_i32_e64 s17, 0, v83
	v_xor_b32_e32 v51, s14, v51
	s_delay_alu instid0(VALU_DEP_4) | instskip(NEXT) | instid1(VALU_DEP_4)
	v_dual_ashrrev_i32 v81, 31, v81 :: v_dual_bitop2_b32 v80, s15, v80 bitop3:0x14
	v_dual_ashrrev_i32 v82, 31, v82 :: v_dual_lshlrev_b32 v87, 25, v71
	v_lshlrev_b32_e32 v71, 24, v71
	v_not_b32_e32 v83, v85
	v_not_b32_e32 v97, v86
	v_xor_b32_e32 v81, s16, v81
	v_xor_b32_e32 v82, s17, v82
	v_bitop3_b32 v51, v51, v80, exec_lo bitop3:0x80
	v_cmp_gt_i32_e64 s14, 0, v85
	v_ashrrev_i32_e32 v80, 31, v83
	v_cmp_gt_i32_e64 s15, 0, v86
	v_ashrrev_i32_e32 v83, 31, v97
	v_bitop3_b32 v51, v51, v82, v81 bitop3:0x80
	v_not_b32_e32 v81, v87
	v_not_b32_e32 v82, v71
	v_xor_b32_e32 v80, s14, v80
	v_xor_b32_e32 v83, s15, v83
	v_cmp_gt_i32_e64 s14, 0, v87
	v_ashrrev_i32_e32 v81, 31, v81
	v_cmp_gt_i32_e64 s15, 0, v71
	v_ashrrev_i32_e32 v71, 31, v82
	v_lshl_add_u32 v70, v70, 2, v12
	v_bitop3_b32 v80, v51, v83, v80 bitop3:0x80
	v_xor_b32_e32 v81, s14, v81
	s_delay_alu instid0(VALU_DEP_4) | instskip(SKIP_3) | instid1(VALU_DEP_1)
	v_xor_b32_e32 v71, s15, v71
	ds_load_b32 v51, v70 offset:32
	v_add_nc_u32_e32 v70, 32, v70
	; wave barrier
	v_bitop3_b32 v71, v80, v71, v81 bitop3:0x80
	v_mbcnt_lo_u32_b32 v98, v71, 0
	v_cmp_ne_u32_e64 s15, 0, v71
	s_delay_alu instid0(VALU_DEP_2) | instskip(SKIP_1) | instid1(SALU_CYCLE_1)
	v_cmp_eq_u32_e64 s14, 0, v98
	s_and_b32 s15, s15, s14
	s_and_saveexec_b32 s14, s15
	s_cbranch_execz .LBB596_188
; %bb.187:                              ;   in Loop: Header=BB596_172 Depth=1
	s_wait_dscnt 0x0
	v_bcnt_u32_b32 v71, v71, v51
	ds_store_b32 v70, v71
.LBB596_188:                            ;   in Loop: Header=BB596_172 Depth=1
	s_or_b32 exec_lo, exec_lo, s14
	; wave barrier
	s_wait_dscnt 0x0
	s_barrier_signal -1
	s_barrier_wait -1
	ds_load_b32 v80, v23
	ds_load_b32 v81, v27
	;; [unrolled: 1-line block ×8, first 2 shown]
	s_wait_dscnt 0x6
	v_add_nc_u32_e32 v97, v81, v80
	s_wait_dscnt 0x4
	s_delay_alu instid0(VALU_DEP_1) | instskip(SKIP_1) | instid1(VALU_DEP_1)
	v_add3_u32 v97, v97, v82, v83
	s_wait_dscnt 0x2
	v_add3_u32 v97, v97, v85, v86
	s_wait_dscnt 0x0
	s_delay_alu instid0(VALU_DEP_1) | instskip(NEXT) | instid1(VALU_DEP_1)
	v_add3_u32 v87, v97, v71, v87
	v_mov_b32_dpp v97, v87 row_shr:1 row_mask:0xf bank_mask:0xf
	s_delay_alu instid0(VALU_DEP_1) | instskip(NEXT) | instid1(VALU_DEP_1)
	v_cndmask_b32_e64 v97, v97, 0, vcc_lo
	v_add_nc_u32_e32 v87, v97, v87
	s_delay_alu instid0(VALU_DEP_1) | instskip(NEXT) | instid1(VALU_DEP_1)
	v_mov_b32_dpp v97, v87 row_shr:2 row_mask:0xf bank_mask:0xf
	v_cndmask_b32_e64 v97, 0, v97, s0
	s_delay_alu instid0(VALU_DEP_1) | instskip(NEXT) | instid1(VALU_DEP_1)
	v_add_nc_u32_e32 v87, v87, v97
	v_mov_b32_dpp v97, v87 row_shr:4 row_mask:0xf bank_mask:0xf
	s_delay_alu instid0(VALU_DEP_1) | instskip(NEXT) | instid1(VALU_DEP_1)
	v_cndmask_b32_e64 v97, 0, v97, s2
	v_add_nc_u32_e32 v87, v87, v97
	s_delay_alu instid0(VALU_DEP_1) | instskip(NEXT) | instid1(VALU_DEP_1)
	v_mov_b32_dpp v97, v87 row_shr:8 row_mask:0xf bank_mask:0xf
	v_cndmask_b32_e64 v97, 0, v97, s3
	s_delay_alu instid0(VALU_DEP_1) | instskip(SKIP_3) | instid1(VALU_DEP_1)
	v_add_nc_u32_e32 v87, v87, v97
	ds_swizzle_b32 v97, v87 offset:swizzle(BROADCAST,32,15)
	s_wait_dscnt 0x0
	v_cndmask_b32_e64 v97, v97, 0, s4
	v_add_nc_u32_e32 v87, v87, v97
	s_and_saveexec_b32 s14, s5
; %bb.189:                              ;   in Loop: Header=BB596_172 Depth=1
	ds_store_b32 v146, v87
; %bb.190:                              ;   in Loop: Header=BB596_172 Depth=1
	s_or_b32 exec_lo, exec_lo, s14
	s_wait_dscnt 0x0
	s_barrier_signal -1
	s_barrier_wait -1
	s_and_saveexec_b32 s14, s6
	s_cbranch_execz .LBB596_192
; %bb.191:                              ;   in Loop: Header=BB596_172 Depth=1
	ds_load_b32 v97, v4
	s_wait_dscnt 0x0
	v_mov_b32_dpp v99, v97 row_shr:1 row_mask:0xf bank_mask:0xf
	s_delay_alu instid0(VALU_DEP_1) | instskip(NEXT) | instid1(VALU_DEP_1)
	v_cndmask_b32_e64 v99, v99, 0, s11
	v_add_nc_u32_e32 v97, v99, v97
	s_delay_alu instid0(VALU_DEP_1) | instskip(NEXT) | instid1(VALU_DEP_1)
	v_mov_b32_dpp v99, v97 row_shr:2 row_mask:0xf bank_mask:0xf
	v_cndmask_b32_e64 v99, 0, v99, s12
	s_delay_alu instid0(VALU_DEP_1) | instskip(NEXT) | instid1(VALU_DEP_1)
	v_add_nc_u32_e32 v97, v97, v99
	v_mov_b32_dpp v99, v97 row_shr:4 row_mask:0xf bank_mask:0xf
	s_delay_alu instid0(VALU_DEP_1) | instskip(NEXT) | instid1(VALU_DEP_1)
	v_cndmask_b32_e64 v99, 0, v99, s13
	v_add_nc_u32_e32 v97, v97, v99
	ds_store_b32 v4, v97
.LBB596_192:                            ;   in Loop: Header=BB596_172 Depth=1
	s_or_b32 exec_lo, exec_lo, s14
	v_mov_b32_e32 v97, 0
	s_wait_dscnt 0x0
	s_barrier_signal -1
	s_barrier_wait -1
	s_and_saveexec_b32 s14, s7
; %bb.193:                              ;   in Loop: Header=BB596_172 Depth=1
	ds_load_b32 v97, v147
; %bb.194:                              ;   in Loop: Header=BB596_172 Depth=1
	s_or_b32 exec_lo, exec_lo, s14
	s_wait_dscnt 0x0
	v_dual_add_nc_u32 v87, v97, v87 :: v_dual_add_nc_u32 v10, 8, v10
	s_mov_b32 s16, -1
	ds_bpermute_b32 v87, v145, v87
	s_wait_dscnt 0x0
	v_dual_cndmask_b32 v87, v87, v97, s1 :: v_dual_mov_b32 v97, v1
	s_delay_alu instid0(VALU_DEP_1) | instskip(NEXT) | instid1(VALU_DEP_1)
	v_cndmask_b32_e64 v87, v87, 0, s10
	v_add_nc_u32_e32 v80, v87, v80
	s_delay_alu instid0(VALU_DEP_1) | instskip(NEXT) | instid1(VALU_DEP_1)
	v_add_nc_u32_e32 v81, v80, v81
	v_add_nc_u32_e32 v82, v81, v82
	s_delay_alu instid0(VALU_DEP_1)
	v_add_nc_u32_e32 v83, v82, v83
	ds_store_b32 v23, v87
	ds_store_b32 v27, v80
	;; [unrolled: 1-line block ×3, first 2 shown]
	v_dual_mov_b32 v87, v1 :: v_dual_mov_b32 v81, v1
	v_add_nc_u32_e32 v85, v83, v85
	s_delay_alu instid0(VALU_DEP_1) | instskip(NEXT) | instid1(VALU_DEP_1)
	v_add_nc_u32_e32 v86, v85, v86
	v_add_nc_u32_e32 v71, v86, v71
	ds_store_b32 v131, v82
	ds_store_b32 v132, v83
	;; [unrolled: 1-line block ×5, first 2 shown]
	s_wait_dscnt 0x0
	s_barrier_signal -1
	s_barrier_wait -1
	ds_load_b32 v36, v36
	ds_load_b32 v39, v39
	ds_load_b32 v50, v50
	ds_load_b32 v54, v54
	ds_load_b32 v65, v65
	ds_load_b32 v80, v68
	ds_load_b32 v99, v69
	ds_load_b32 v100, v70
	v_dual_mov_b32 v83, v1 :: v_dual_mov_b32 v69, v1
	v_dual_mov_b32 v71, v1 :: v_dual_mov_b32 v85, v1
	v_cmp_lt_u32_e64 s14, v10, v11
	s_wait_dscnt 0x0
	v_add_nc_u32_e32 v0, v36, v0
	v_add3_u32 v82, v38, v37, v39
	v_add3_u32 v86, v49, v48, v50
	;; [unrolled: 1-line block ×7, first 2 shown]
	v_lshl_add_u64 v[128:129], v[0:1], 2, v[12:13]
	v_lshl_add_u64 v[118:119], v[82:83], 2, v[12:13]
	;; [unrolled: 1-line block ×8, first 2 shown]
                                        ; implicit-def: $vgpr99
                                        ; implicit-def: $vgpr97
                                        ; implicit-def: $vgpr85
                                        ; implicit-def: $vgpr83
                                        ; implicit-def: $vgpr81
                                        ; implicit-def: $vgpr71
                                        ; implicit-def: $vgpr69
                                        ; implicit-def: $vgpr87
                                        ; implicit-def: $vgpr52_vgpr53
                                        ; implicit-def: $vgpr64_vgpr65
                                        ; implicit-def: $vgpr36_vgpr37
                                        ; implicit-def: $vgpr38_vgpr39
                                        ; implicit-def: $vgpr48_vgpr49
                                        ; implicit-def: $vgpr50_vgpr51
                                        ; implicit-def: $vgpr54_vgpr55
                                        ; implicit-def: $vgpr66_vgpr67
	s_and_saveexec_b32 s15, s14
	s_cbranch_execz .LBB596_171
; %bb.195:                              ;   in Loop: Header=BB596_172 Depth=1
	v_lshl_add_u32 v36, v0, 2, v128
	v_lshl_add_u32 v37, v82, 2, v118
	;; [unrolled: 1-line block ×3, first 2 shown]
	s_barrier_signal -1
	s_barrier_wait -1
	ds_store_b32 v128, v182
	ds_store_b32 v118, v195
	;; [unrolled: 1-line block ×8, first 2 shown]
	s_wait_dscnt 0x0
	s_barrier_signal -1
	s_barrier_wait -1
	ds_load_b32 v87, v5
	ds_load_b32 v69, v148
	;; [unrolled: 1-line block ×8, first 2 shown]
	s_wait_dscnt 0x0
	s_barrier_signal -1
	s_barrier_wait -1
	ds_store_b64 v36, v[18:19]
	ds_store_b64 v37, v[16:17]
	;; [unrolled: 1-line block ×3, first 2 shown]
	v_lshl_add_u32 v36, v68, 2, v114
	v_lshl_add_u32 v37, v70, 2, v112
	;; [unrolled: 1-line block ×5, first 2 shown]
	ds_store_b64 v36, v[20:21]
	ds_store_b64 v37, v[30:31]
	;; [unrolled: 1-line block ×5, first 2 shown]
	s_wait_dscnt 0x0
	s_barrier_signal -1
	s_barrier_wait -1
	ds_load_b64 v[52:53], v151
	ds_load_b64 v[64:65], v164
	ds_load_b64 v[36:37], v165
	ds_load_b64 v[38:39], v166
	ds_load_b64 v[48:49], v167
	ds_load_b64 v[50:51], v176
	ds_load_b64 v[54:55], v177
	ds_load_b64 v[66:67], v178
	v_add_nc_u32_e32 v179, -8, v179
	s_xor_b32 s16, exec_lo, -1
	s_wait_dscnt 0x0
	s_barrier_signal -1
	s_barrier_wait -1
	s_branch .LBB596_171
.LBB596_196:
	flat_load_b64 v[80:81], v[0:1]
	s_wait_xcnt 0x0
	s_or_b32 exec_lo, exec_lo, s17
                                        ; implicit-def: $vgpr68_vgpr69
	s_and_saveexec_b32 s17, s0
	s_cbranch_execz .LBB596_36
.LBB596_197:
	flat_load_b64 v[68:69], v[0:1] offset:256
	s_wait_xcnt 0x0
	s_or_b32 exec_lo, exec_lo, s17
                                        ; implicit-def: $vgpr70_vgpr71
	s_and_saveexec_b32 s0, s1
	s_cbranch_execz .LBB596_37
.LBB596_198:
	flat_load_b64 v[70:71], v[0:1] offset:512
	s_wait_xcnt 0x0
	s_or_b32 exec_lo, exec_lo, s0
                                        ; implicit-def: $vgpr82_vgpr83
	s_and_saveexec_b32 s0, s2
	s_cbranch_execz .LBB596_38
.LBB596_199:
	flat_load_b64 v[82:83], v[0:1] offset:768
	s_wait_xcnt 0x0
	s_or_b32 exec_lo, exec_lo, s0
                                        ; implicit-def: $vgpr84_vgpr85
	s_and_saveexec_b32 s0, s3
	s_cbranch_execz .LBB596_39
.LBB596_200:
	flat_load_b64 v[84:85], v[0:1] offset:1024
	s_wait_xcnt 0x0
	s_or_b32 exec_lo, exec_lo, s0
                                        ; implicit-def: $vgpr86_vgpr87
	s_and_saveexec_b32 s0, s4
	s_cbranch_execz .LBB596_40
.LBB596_201:
	flat_load_b64 v[86:87], v[0:1] offset:1280
	s_wait_xcnt 0x0
	s_or_b32 exec_lo, exec_lo, s0
                                        ; implicit-def: $vgpr96_vgpr97
	s_and_saveexec_b32 s0, s5
	s_cbranch_execz .LBB596_41
.LBB596_202:
	flat_load_b64 v[96:97], v[0:1] offset:1536
	s_wait_xcnt 0x0
	s_or_b32 exec_lo, exec_lo, s0
                                        ; implicit-def: $vgpr146_vgpr147
	s_and_saveexec_b32 s0, s6
	s_cbranch_execz .LBB596_42
.LBB596_203:
	flat_load_b64 v[146:147], v[0:1] offset:1792
	s_wait_xcnt 0x0
	s_or_b32 exec_lo, exec_lo, s0
                                        ; implicit-def: $vgpr148_vgpr149
	s_and_saveexec_b32 s0, s7
	s_cbranch_execz .LBB596_43
.LBB596_204:
	flat_load_b64 v[148:149], v[0:1] offset:2048
	s_wait_xcnt 0x0
	s_or_b32 exec_lo, exec_lo, s0
                                        ; implicit-def: $vgpr164_vgpr165
	s_and_saveexec_b32 s0, s10
	s_cbranch_execz .LBB596_44
.LBB596_205:
	flat_load_b64 v[164:165], v[0:1] offset:2304
	s_wait_xcnt 0x0
	s_or_b32 exec_lo, exec_lo, s0
                                        ; implicit-def: $vgpr176_vgpr177
	s_and_saveexec_b32 s0, s11
	s_cbranch_execz .LBB596_45
.LBB596_206:
	flat_load_b64 v[176:177], v[0:1] offset:2560
	s_wait_xcnt 0x0
	s_or_b32 exec_lo, exec_lo, s0
                                        ; implicit-def: $vgpr166_vgpr167
	s_and_saveexec_b32 s0, s12
	s_cbranch_execz .LBB596_46
.LBB596_207:
	flat_load_b64 v[166:167], v[0:1] offset:2816
	s_wait_xcnt 0x0
	s_or_b32 exec_lo, exec_lo, s0
                                        ; implicit-def: $vgpr178_vgpr179
	s_and_saveexec_b32 s0, s13
	s_cbranch_execz .LBB596_47
.LBB596_208:
	flat_load_b64 v[178:179], v[0:1] offset:3072
	s_wait_xcnt 0x0
	s_or_b32 exec_lo, exec_lo, s0
                                        ; implicit-def: $vgpr196_vgpr197
	s_and_saveexec_b32 s0, s14
	s_cbranch_execz .LBB596_48
.LBB596_209:
	flat_load_b64 v[196:197], v[0:1] offset:3328
	s_wait_xcnt 0x0
	s_or_b32 exec_lo, exec_lo, s0
                                        ; implicit-def: $vgpr208_vgpr209
	s_and_saveexec_b32 s0, s15
	s_cbranch_execz .LBB596_49
.LBB596_210:
	flat_load_b64 v[208:209], v[0:1] offset:3584
	s_wait_xcnt 0x0
	s_or_b32 exec_lo, exec_lo, s0
                                        ; implicit-def: $vgpr240_vgpr241
	s_and_saveexec_b32 s0, s16
	s_cbranch_execnz .LBB596_50
	s_branch .LBB596_51
.LBB596_211:
	flat_store_b64 v[0:1], v[48:49]
	s_wait_xcnt 0x0
	s_or_b32 exec_lo, exec_lo, s17
	s_and_saveexec_b32 s17, s0
	s_cbranch_execz .LBB596_127
.LBB596_212:
	flat_store_b64 v[0:1], v[50:51] offset:2048
	s_wait_xcnt 0x0
	s_or_b32 exec_lo, exec_lo, s17
	s_and_saveexec_b32 s0, s1
	s_cbranch_execz .LBB596_128
.LBB596_213:
	flat_store_b64 v[0:1], v[34:35] offset:4096
	s_wait_xcnt 0x0
	s_or_b32 exec_lo, exec_lo, s0
	s_and_saveexec_b32 s0, s2
	s_cbranch_execz .LBB596_129
.LBB596_214:
	flat_store_b64 v[0:1], v[36:37] offset:6144
	s_wait_xcnt 0x0
	s_or_b32 exec_lo, exec_lo, s0
	s_and_saveexec_b32 s0, s3
	s_cbranch_execz .LBB596_130
.LBB596_215:
	flat_store_b64 v[0:1], v[30:31] offset:8192
	s_wait_xcnt 0x0
	s_or_b32 exec_lo, exec_lo, s0
	s_and_saveexec_b32 s0, s4
	s_cbranch_execz .LBB596_131
.LBB596_216:
	flat_store_b64 v[0:1], v[32:33] offset:10240
	s_wait_xcnt 0x0
	s_or_b32 exec_lo, exec_lo, s0
	s_and_saveexec_b32 s0, s5
	s_cbranch_execz .LBB596_132
.LBB596_217:
	flat_store_b64 v[0:1], v[26:27] offset:12288
	s_wait_xcnt 0x0
	s_or_b32 exec_lo, exec_lo, s0
	s_and_saveexec_b32 s0, s6
	s_cbranch_execz .LBB596_133
.LBB596_218:
	flat_store_b64 v[0:1], v[28:29] offset:14336
	s_wait_xcnt 0x0
	s_or_b32 exec_lo, exec_lo, s0
	s_and_saveexec_b32 s0, s7
	s_cbranch_execz .LBB596_134
.LBB596_219:
	flat_store_b64 v[0:1], v[22:23] offset:16384
	s_wait_xcnt 0x0
	s_or_b32 exec_lo, exec_lo, s0
	s_and_saveexec_b32 s0, s10
	s_cbranch_execz .LBB596_135
.LBB596_220:
	flat_store_b64 v[0:1], v[24:25] offset:18432
	s_wait_xcnt 0x0
	s_or_b32 exec_lo, exec_lo, s0
	s_and_saveexec_b32 s0, s11
	s_cbranch_execz .LBB596_136
.LBB596_221:
	flat_store_b64 v[0:1], v[18:19] offset:20480
	s_wait_xcnt 0x0
	s_or_b32 exec_lo, exec_lo, s0
	s_and_saveexec_b32 s0, s12
	s_cbranch_execz .LBB596_137
.LBB596_222:
	flat_store_b64 v[0:1], v[20:21] offset:22528
	s_wait_xcnt 0x0
	s_or_b32 exec_lo, exec_lo, s0
	s_and_saveexec_b32 s0, s13
	s_cbranch_execz .LBB596_138
.LBB596_223:
	flat_store_b64 v[0:1], v[14:15] offset:24576
	s_wait_xcnt 0x0
	s_or_b32 exec_lo, exec_lo, s0
	s_and_saveexec_b32 s0, s14
	s_cbranch_execz .LBB596_139
.LBB596_224:
	flat_store_b64 v[0:1], v[16:17] offset:26624
	s_wait_xcnt 0x0
	s_or_b32 exec_lo, exec_lo, s0
	s_and_saveexec_b32 s0, s15
	s_cbranch_execz .LBB596_140
.LBB596_225:
	flat_store_b64 v[0:1], v[10:11] offset:28672
	s_wait_xcnt 0x0
	s_or_b32 exec_lo, exec_lo, s0
	s_and_saveexec_b32 s0, s16
	s_cbranch_execnz .LBB596_141
	s_branch .LBB596_142
.LBB596_226:
	s_or_b32 exec_lo, exec_lo, s23
	v_lshl_add_u32 v0, v0, 2, v128
	v_lshl_add_u32 v1, v82, 2, v118
	v_lshl_add_u32 v10, v86, 2, v116
	s_barrier_signal -1
	s_barrier_wait -1
	ds_store_b32 v128, v182
	ds_store_b32 v118, v195
	;; [unrolled: 1-line block ×8, first 2 shown]
	s_wait_dscnt 0x0
	s_barrier_signal -1
	s_barrier_wait -1
	ds_load_2addr_stride64_b32 v[48:49], v4 offset1:4
	ds_load_2addr_stride64_b32 v[38:39], v4 offset0:8 offset1:12
	ds_load_2addr_stride64_b32 v[36:37], v4 offset0:16 offset1:20
	;; [unrolled: 1-line block ×3, first 2 shown]
	s_wait_dscnt 0x0
	s_barrier_signal -1
	s_barrier_wait -1
	ds_store_b64 v0, v[18:19]
	ds_store_b64 v1, v[16:17]
	ds_store_b64 v10, v[34:35]
	v_lshl_add_u32 v0, v68, 2, v114
	v_lshl_add_u32 v1, v70, 2, v112
	;; [unrolled: 1-line block ×5, first 2 shown]
	ds_store_b64 v0, v[20:21]
	ds_store_b64 v1, v[30:31]
	ds_store_b64 v10, v[28:29]
	ds_store_b64 v11, v[24:25]
	ds_store_b64 v13, v[32:33]
	v_lshl_add_u32 v0, v22, 3, v12
	s_wait_dscnt 0x0
	s_barrier_signal -1
	s_barrier_wait -1
	ds_load_2addr_stride64_b64 v[22:25], v0 offset1:4
	ds_load_2addr_stride64_b64 v[18:21], v0 offset0:8 offset1:12
	ds_load_2addr_stride64_b64 v[14:17], v0 offset0:16 offset1:20
	;; [unrolled: 1-line block ×3, first 2 shown]
	v_lshl_add_u64 v[0:1], v[8:9], 2, v[2:3]
	v_mov_b32_e32 v27, 0
	s_set_vgpr_msb 4                        ;  msbs: dst=0 src0=0 src1=1 src2=0
	v_cmp_lt_u32_e32 vcc_lo, v26, v2 /*v258*/
	s_wait_dscnt 0x0
	s_barrier_signal -1
	s_barrier_wait -1
	v_lshl_add_u64 v[0:1], v[26:27], 2, v[0:1]
	s_and_saveexec_b32 s0, vcc_lo
	s_set_vgpr_msb 0                        ;  msbs: dst=0 src0=0 src1=0 src2=0
	s_cbranch_execz .LBB596_228
; %bb.227:
	v_xor_b32_e32 v2, 0x80000000, v48
	flat_store_b32 v[0:1], v2
.LBB596_228:
	s_wait_xcnt 0x0
	s_or_b32 exec_lo, exec_lo, s0
	v_add_nc_u32_e32 v2, 0x100, v26
	s_set_vgpr_msb 4                        ;  msbs: dst=0 src0=0 src1=1 src2=0
	s_delay_alu instid0(VALU_DEP_1)
	v_cmp_lt_u32_e64 s0, v2, v2 /*v258*/
	s_and_saveexec_b32 s1, s0
	s_set_vgpr_msb 0                        ;  msbs: dst=0 src0=0 src1=0 src2=0
	s_cbranch_execz .LBB596_230
; %bb.229:
	v_xor_b32_e32 v2, 0x80000000, v49
	flat_store_b32 v[0:1], v2 offset:1024
.LBB596_230:
	s_wait_xcnt 0x0
	s_or_b32 exec_lo, exec_lo, s1
	v_add_nc_u32_e32 v2, 0x200, v26
	s_set_vgpr_msb 4                        ;  msbs: dst=0 src0=0 src1=1 src2=0
	s_delay_alu instid0(VALU_DEP_1)
	v_cmp_lt_u32_e64 s1, v2, v2 /*v258*/
	s_and_saveexec_b32 s2, s1
	s_set_vgpr_msb 0                        ;  msbs: dst=0 src0=0 src1=0 src2=0
	s_cbranch_execz .LBB596_232
; %bb.231:
	v_xor_b32_e32 v2, 0x80000000, v38
	flat_store_b32 v[0:1], v2 offset:2048
.LBB596_232:
	;; [unrolled: 13-line block ×7, first 2 shown]
	s_wait_xcnt 0x0
	s_or_b32 exec_lo, exec_lo, s7
	v_lshl_add_u64 v[0:1], v[8:9], 3, v[6:7]
	s_delay_alu instid0(VALU_DEP_1)
	v_lshl_add_u64 v[0:1], v[26:27], 3, v[0:1]
	s_and_saveexec_b32 s7, vcc_lo
	s_cbranch_execnz .LBB596_292
; %bb.243:
	s_or_b32 exec_lo, exec_lo, s7
	s_and_saveexec_b32 s7, s0
	s_cbranch_execnz .LBB596_293
.LBB596_244:
	s_or_b32 exec_lo, exec_lo, s7
	s_and_saveexec_b32 s0, s1
	s_cbranch_execnz .LBB596_294
.LBB596_245:
	s_or_b32 exec_lo, exec_lo, s0
	s_and_saveexec_b32 s0, s2
	s_cbranch_execnz .LBB596_295
.LBB596_246:
	s_or_b32 exec_lo, exec_lo, s0
	s_and_saveexec_b32 s0, s3
	s_cbranch_execnz .LBB596_296
.LBB596_247:
	s_or_b32 exec_lo, exec_lo, s0
	s_and_saveexec_b32 s0, s4
	s_cbranch_execnz .LBB596_297
.LBB596_248:
	s_or_b32 exec_lo, exec_lo, s0
	s_and_saveexec_b32 s0, s5
	s_cbranch_execnz .LBB596_298
.LBB596_249:
	s_or_b32 exec_lo, exec_lo, s0
	s_and_saveexec_b32 s0, s6
	s_cbranch_execz .LBB596_251
.LBB596_250:
	flat_store_b64 v[0:1], v[12:13] offset:14336
.LBB596_251:
	s_wait_xcnt 0x0
	s_or_b32 exec_lo, exec_lo, s0
                                        ; implicit-def: $vgpr258
                                        ; implicit-def: $vgpr8
                                        ; implicit-def: $vgpr10
                                        ; implicit-def: $vgpr11
                                        ; implicit-def: $vgpr0_vgpr1
                                        ; implicit-def: $vgpr2_vgpr3
                                        ; implicit-def: $vgpr4_vgpr5
                                        ; implicit-def: $vgpr6_vgpr7
                                        ; implicit-def: $vgpr12_vgpr13
                                        ; implicit-def: $vgpr9
                                        ; implicit-def: $vgpr14
                                        ; implicit-def: $vgpr22
                                        ; implicit-def: $vgpr98
.LBB596_252:
	s_and_not1_saveexec_b32 s0, s21
	s_cbranch_execz .LBB596_372
; %bb.253:
	s_mov_b32 s0, exec_lo
	s_set_vgpr_msb 4                        ;  msbs: dst=0 src0=0 src1=1 src2=0
	v_cmpx_lt_u32_e32 0x200, v2 /*v258*/
	s_xor_b32 s21, exec_lo, s0
	s_set_vgpr_msb 0                        ;  msbs: dst=0 src0=0 src1=0 src2=0
	s_cbranch_execz .LBB596_313
; %bb.254:
	s_load_b64 s[0:1], s[8:9], 0x0
	s_bfe_u32 s3, ttmp6, 0x4000c
	s_bfe_u32 s5, ttmp6, 0x40010
	s_and_b32 s4, ttmp7, 0xffff
	s_add_co_i32 s3, s3, 1
	s_add_co_i32 s5, s5, 1
	s_and_b32 s2, ttmp6, 15
	s_bfe_u32 s6, ttmp6, 0x40004
	s_mul_i32 s3, ttmp9, s3
	s_mul_i32 s5, s4, s5
	s_add_co_i32 s2, s2, s3
	s_add_co_i32 s6, s6, s5
	s_cmp_eq_u32 s20, 0
	s_mov_b32 s3, 0
	s_cselect_b32 s2, ttmp9, s2
	s_cselect_b32 s4, s4, s6
	v_lshlrev_b32_e32 v16, 2, v98
	s_wait_kmcnt 0x0
	s_cmp_lt_u32 s2, s0
	s_cselect_b32 s2, 12, 18
	s_cmp_lt_u32 s4, s1
	s_mov_b32 s1, s3
	s_cselect_b32 s0, 14, 20
	s_delay_alu instid0(SALU_CYCLE_1)
	s_add_nc_u64 s[0:1], s[8:9], s[0:1]
	s_load_u16 s4, s[0:1], 0x0
	s_wait_xcnt 0x0
	s_add_nc_u64 s[0:1], s[8:9], s[2:3]
	s_load_u16 s0, s[0:1], 0x0
	s_wait_kmcnt 0x0
	v_mad_u32_u24 v9, v14, s4, v9
	s_delay_alu instid0(VALU_DEP_1) | instskip(SKIP_1) | instid1(VALU_DEP_1)
	v_mad_u32 v18, v9, s0, v22
	v_mov_b32_e32 v9, 0
	v_lshl_add_u64 v[20:21], v[8:9], 2, v[0:1]
	s_delay_alu instid0(VALU_DEP_3) | instskip(NEXT) | instid1(VALU_DEP_1)
	v_dual_mov_b32 v17, v9 :: v_dual_lshlrev_b32 v14, 2, v18
	v_add_nc_u64_e32 v[20:21], v[20:21], v[16:17]
	s_delay_alu instid0(VALU_DEP_2) | instskip(SKIP_1) | instid1(VALU_DEP_2)
	v_and_b32_e32 v0, 0xffffff80, v14
	v_bfrev_b32_e32 v14, -2
	v_dual_mov_b32 v1, v9 :: v_dual_bitop2_b32 v19, v0, v98 bitop3:0x54
	s_delay_alu instid0(VALU_DEP_2) | instskip(NEXT) | instid1(VALU_DEP_2)
	v_dual_mov_b32 v15, v14 :: v_dual_mov_b32 v16, v14
	v_lshl_add_u64 v[20:21], v[0:1], 2, v[20:21]
	v_mov_b32_e32 v17, v14
	s_set_vgpr_msb 4                        ;  msbs: dst=0 src0=0 src1=1 src2=0
	v_cmp_lt_u32_e32 vcc_lo, v19, v2 /*v258*/
	s_and_saveexec_b32 s0, vcc_lo
	s_set_vgpr_msb 0                        ;  msbs: dst=0 src0=0 src1=0 src2=0
	s_cbranch_execz .LBB596_256
; %bb.255:
	flat_load_b32 v24, v[20:21]
	v_dual_mov_b32 v25, v14 :: v_dual_mov_b32 v26, v14
	v_mov_b32_e32 v27, v14
	s_wait_loadcnt_dscnt 0x0
	s_delay_alu instid0(VALU_DEP_2) | instskip(NEXT) | instid1(VALU_DEP_2)
	v_mov_b64_e32 v[14:15], v[24:25]
	v_mov_b64_e32 v[16:17], v[26:27]
.LBB596_256:
	s_wait_xcnt 0x0
	s_or_b32 exec_lo, exec_lo, s0
	v_or_b32_e32 v23, 32, v19
	s_set_vgpr_msb 4                        ;  msbs: dst=0 src0=0 src1=1 src2=0
	s_delay_alu instid0(VALU_DEP_1)
	v_cmp_lt_u32_e64 s0, v23, v2 /*v258*/
	s_and_saveexec_b32 s1, s0
	s_set_vgpr_msb 0                        ;  msbs: dst=0 src0=0 src1=0 src2=0
	s_cbranch_execz .LBB596_258
; %bb.257:
	flat_load_b32 v15, v[20:21] offset:128
.LBB596_258:
	s_wait_xcnt 0x0
	s_or_b32 exec_lo, exec_lo, s1
	v_or_b32_e32 v23, 64, v19
	s_set_vgpr_msb 4                        ;  msbs: dst=0 src0=0 src1=1 src2=0
	s_delay_alu instid0(VALU_DEP_1)
	v_cmp_lt_u32_e64 s1, v23, v2 /*v258*/
	s_and_saveexec_b32 s2, s1
	s_set_vgpr_msb 0                        ;  msbs: dst=0 src0=0 src1=0 src2=0
	s_cbranch_execz .LBB596_260
; %bb.259:
	flat_load_b32 v16, v[20:21] offset:256
.LBB596_260:
	;; [unrolled: 12-line block ×3, first 2 shown]
	s_wait_xcnt 0x0
	s_or_b32 exec_lo, exec_lo, s3
	v_lshl_add_u64 v[4:5], v[8:9], 3, v[4:5]
	v_dual_mov_b32 v21, 0 :: v_dual_lshlrev_b32 v20, 3, v98
                                        ; implicit-def: $vgpr28_vgpr29
	s_delay_alu instid0(VALU_DEP_1) | instskip(NEXT) | instid1(VALU_DEP_1)
	v_add_nc_u64_e32 v[4:5], v[4:5], v[20:21]
	v_lshl_add_u64 v[0:1], v[0:1], 3, v[4:5]
	s_and_saveexec_b32 s3, vcc_lo
	s_cbranch_execnz .LBB596_337
; %bb.263:
	s_or_b32 exec_lo, exec_lo, s3
                                        ; implicit-def: $vgpr30_vgpr31
	s_and_saveexec_b32 s3, s0
	s_cbranch_execnz .LBB596_338
.LBB596_264:
	s_or_b32 exec_lo, exec_lo, s3
                                        ; implicit-def: $vgpr32_vgpr33
	s_and_saveexec_b32 s0, s1
	s_cbranch_execnz .LBB596_339
.LBB596_265:
	s_or_b32 exec_lo, exec_lo, s0
                                        ; implicit-def: $vgpr34_vgpr35
	s_and_saveexec_b32 s0, s2
	s_cbranch_execz .LBB596_267
.LBB596_266:
	flat_load_b64 v[34:35], v[0:1] offset:768
.LBB596_267:
	s_wait_xcnt 0x0
	s_or_b32 exec_lo, exec_lo, s0
	v_lshl_add_u32 v0, v22, 5, v12
	v_and_b32_e32 v1, 0x3e0, v22
	v_and_b32_e32 v4, 15, v98
	v_xor_b32_e32 v51, 0x80000000, v14
	v_sub_co_u32 v14, s2, v98, 1
	v_dual_add_nc_u32 v19, 32, v0 :: v_dual_add_nc_u32 v23, 36, v0
	v_dual_add_nc_u32 v66, 40, v0 :: v_dual_add_nc_u32 v67, 44, v0
	;; [unrolled: 1-line block ×4, first 2 shown]
	v_lshrrev_b32_e32 v80, 5, v18
	v_min_u32_e32 v0, 0xe0, v1
	v_cmp_gt_i32_e64 s6, 0, v14
	s_get_pc_i64 s[0:1]
	s_add_nc_u64 s[0:1], s[0:1], _ZN7rocprim17ROCPRIM_400000_NS16block_radix_sortIiLj256ELj4ElLj1ELj1ELj8ELNS0_26block_radix_rank_algorithmE2ELNS0_18block_padding_hintE2ELNS0_4arch9wavefront6targetE0EE19radix_bits_per_passE@rel64+4
	s_wait_loadcnt_dscnt 0x0
	v_xor_b32_e32 v37, 0x80000000, v15
	s_load_b32 s22, s[0:1], 0x0
	v_dual_lshlrev_b32 v0, 2, v22 :: v_dual_bitop2_b32 v5, 31, v0 bitop3:0x54
	v_cmp_eq_u32_e32 vcc_lo, 0, v4
	s_wait_xcnt 0x0
	v_cmp_lt_u32_e64 s0, 1, v4
	v_cmp_lt_u32_e64 s1, 3, v4
	v_cmp_eq_u32_e64 s5, v22, v5
	v_and_or_b32 v5, 0xf80, v0, v98
	v_and_b32_e32 v1, 16, v98
	v_cmp_lt_u32_e64 s3, 7, v4
	v_and_b32_e32 v15, 7, v98
	v_xor_b32_e32 v39, 0x80000000, v16
	v_xor_b32_e32 v49, 0x80000000, v17
	v_cmp_eq_u32_e64 s4, 0, v1
	v_cndmask_b32_e64 v1, v14, v98, s6
	v_dual_lshrrev_b32 v4, 3, v22 :: v_dual_lshlrev_b32 v14, 2, v5
	v_cmp_eq_u32_e64 s11, 0, v15
	v_cmp_lt_u32_e64 s12, 1, v15
	s_delay_alu instid0(VALU_DEP_4) | instskip(NEXT) | instid1(VALU_DEP_4)
	v_lshlrev_b32_e32 v81, 2, v1
	v_and_b32_e32 v4, 0x7c, v4
	v_dual_mov_b32 v1, 0 :: v_dual_add_nc_u32 v83, v12, v14
	v_cmp_lt_u32_e64 s13, 3, v15
	v_cmp_gt_u32_e64 s6, 8, v22
	s_delay_alu instid0(VALU_DEP_4) | instskip(NEXT) | instid1(VALU_DEP_4)
	v_add_nc_u32_e32 v82, v12, v4
	v_add_nc_u64_e32 v[4:5], v[12:13], v[0:1]
	v_add_nc_u32_e32 v5, v83, v14
	v_mov_b64_e32 v[14:15], 0
	v_cmp_lt_u32_e64 s7, 31, v22
	v_cmp_eq_u32_e64 s10, 0, v22
	v_add_nc_u32_e32 v84, -4, v82
	v_add_nc_u32_e32 v85, 0x80, v83
	v_add_nc_u32_e32 v86, 0x100, v83
	;; [unrolled: 1-line block ×6, first 2 shown]
	v_sub_nc_u32_e32 v99, v11, v10
	s_mov_b32 s23, 0
	s_wait_storecnt 0x0
	s_barrier_signal -1
	s_barrier_wait -1
	s_branch .LBB596_269
.LBB596_268:                            ;   in Loop: Header=BB596_269 Depth=1
	s_or_b32 exec_lo, exec_lo, s15
	s_delay_alu instid0(SALU_CYCLE_1) | instskip(NEXT) | instid1(SALU_CYCLE_1)
	s_and_b32 s14, exec_lo, s16
	s_or_b32 s23, s14, s23
	s_delay_alu instid0(SALU_CYCLE_1)
	s_and_not1_b32 exec_lo, exec_lo, s23
	s_cbranch_execz .LBB596_299
.LBB596_269:                            ; =>This Inner Loop Header: Depth=1
	s_wait_kmcnt 0x0
	v_min_u32_e32 v0, s22, v99
	v_dual_mov_b32 v100, v51 :: v_dual_mov_b32 v101, v49
	ds_store_b64 v19, v[14:15]
	ds_store_b64 v66, v[14:15]
	;; [unrolled: 1-line block ×4, first 2 shown]
	v_lshlrev_b32_e64 v36, v0, -1
	v_lshrrev_b32_e32 v0, v10, v100
	s_wait_dscnt 0x0
	s_barrier_signal -1
	s_barrier_wait -1
	s_delay_alu instid0(VALU_DEP_1) | instskip(SKIP_2) | instid1(VALU_DEP_3)
	v_bitop3_b32 v16, v0, 1, v36 bitop3:0x40
	v_bitop3_b32 v0, v0, v36, v0 bitop3:0x30
	; wave barrier
	v_mov_b32_e32 v102, v39
	v_add_co_u32 v16, s14, v16, -1
	s_delay_alu instid0(VALU_DEP_1) | instskip(NEXT) | instid1(VALU_DEP_4)
	v_cndmask_b32_e64 v17, 0, 1, s14
	v_dual_lshlrev_b32 v20, 30, v0 :: v_dual_lshlrev_b32 v21, 29, v0
	v_dual_lshlrev_b32 v24, 28, v0 :: v_dual_lshlrev_b32 v25, 27, v0
	s_delay_alu instid0(VALU_DEP_3) | instskip(NEXT) | instid1(VALU_DEP_3)
	v_cmp_ne_u32_e64 s14, 0, v17
	v_not_b32_e32 v17, v20
	v_dual_lshlrev_b32 v26, 26, v0 :: v_dual_lshlrev_b32 v27, 25, v0
	v_cmp_gt_i32_e64 s15, 0, v20
	v_cmp_gt_i32_e64 s16, 0, v21
	v_not_b32_e32 v20, v21
	v_not_b32_e32 v21, v24
	v_dual_ashrrev_i32 v17, 31, v17 :: v_dual_lshlrev_b32 v38, 24, v0
	v_cmp_gt_i32_e64 s17, 0, v24
	v_cmp_gt_i32_e64 s18, 0, v25
	v_not_b32_e32 v24, v25
	s_delay_alu instid0(VALU_DEP_4)
	v_dual_ashrrev_i32 v20, 31, v20 :: v_dual_bitop2_b32 v17, s15, v17 bitop3:0x14
	v_ashrrev_i32_e32 v21, 31, v21
	v_not_b32_e32 v25, v26
	v_xor_b32_e32 v16, s14, v16
	v_ashrrev_i32_e32 v24, 31, v24
	v_cmp_gt_i32_e64 s14, 0, v26
	v_xor_b32_e32 v21, s17, v21
	v_cmp_gt_i32_e64 s15, 0, v38
	v_bitop3_b32 v16, v16, v17, exec_lo bitop3:0x80
	v_ashrrev_i32_e32 v17, 31, v25
	v_not_b32_e32 v25, v27
	v_xor_b32_e32 v20, s16, v20
	v_xor_b32_e32 v24, s18, v24
	v_lshl_add_u32 v0, v0, 3, v80
	s_delay_alu instid0(VALU_DEP_3) | instskip(SKIP_4) | instid1(VALU_DEP_4)
	v_bitop3_b32 v16, v16, v21, v20 bitop3:0x80
	v_not_b32_e32 v20, v38
	v_xor_b32_e32 v17, s14, v17
	v_cmp_gt_i32_e64 s14, 0, v27
	v_dual_ashrrev_i32 v21, 31, v25 :: v_dual_mov_b32 v103, v37
	v_ashrrev_i32_e32 v20, 31, v20
	s_delay_alu instid0(VALU_DEP_4) | instskip(SKIP_1) | instid1(VALU_DEP_4)
	v_bitop3_b32 v26, v16, v17, v24 bitop3:0x80
	v_mov_b64_e32 v[24:25], v[28:29]
	v_xor_b32_e32 v27, s14, v21
	v_lshl_add_u64 v[28:29], v[0:1], 2, v[12:13]
	v_xor_b32_e32 v37, s15, v20
	v_mov_b64_e32 v[20:21], v[30:31]
	v_mov_b64_e32 v[16:17], v[32:33]
	s_delay_alu instid0(VALU_DEP_4) | instskip(NEXT) | instid1(VALU_DEP_4)
	v_add_nc_u64_e32 v[28:29], 32, v[28:29]
	v_bitop3_b32 v30, v26, v37, v27 bitop3:0x80
	v_mov_b64_e32 v[26:27], v[34:35]
	s_delay_alu instid0(VALU_DEP_2) | instskip(SKIP_1) | instid1(VALU_DEP_2)
	v_mbcnt_lo_u32_b32 v0, v30, 0
	v_cmp_ne_u32_e64 s15, 0, v30
	v_cmp_eq_u32_e64 s14, 0, v0
	s_and_b32 s15, s15, s14
	s_delay_alu instid0(SALU_CYCLE_1)
	s_and_saveexec_b32 s14, s15
; %bb.270:                              ;   in Loop: Header=BB596_269 Depth=1
	v_bcnt_u32_b32 v29, v30, 0
	ds_store_b32 v28, v29
; %bb.271:                              ;   in Loop: Header=BB596_269 Depth=1
	s_or_b32 exec_lo, exec_lo, s14
	v_not_b32_e32 v35, v36
	v_lshrrev_b32_e32 v29, v10, v103
	; wave barrier
	s_delay_alu instid0(VALU_DEP_1) | instskip(NEXT) | instid1(VALU_DEP_1)
	v_and_b32_e32 v30, v29, v35
	v_lshlrev_b32_e32 v33, 30, v30
	v_bitop3_b32 v29, v29, 1, v35 bitop3:0x80
	s_delay_alu instid0(VALU_DEP_2) | instskip(NEXT) | instid1(VALU_DEP_2)
	v_cmp_gt_i32_e64 s15, 0, v33
	v_add_co_u32 v29, s14, v29, -1
	s_delay_alu instid0(VALU_DEP_1) | instskip(NEXT) | instid1(VALU_DEP_1)
	v_cndmask_b32_e64 v32, 0, 1, s14
	v_cmp_ne_u32_e64 s14, 0, v32
	v_not_b32_e32 v32, v33
	s_delay_alu instid0(VALU_DEP_1) | instskip(SKIP_3) | instid1(VALU_DEP_4)
	v_dual_ashrrev_i32 v32, 31, v32 :: v_dual_lshlrev_b32 v34, 29, v30
	v_dual_lshlrev_b32 v36, 28, v30 :: v_dual_lshlrev_b32 v37, 27, v30
	v_lshlrev_b32_e32 v38, 26, v30
	v_lshl_add_u32 v31, v30, 3, v80
	v_cmp_gt_i32_e64 s16, 0, v34
	v_not_b32_e32 v33, v34
	v_not_b32_e32 v34, v36
	v_cmp_gt_i32_e64 s17, 0, v36
	v_xor_b32_e32 v29, s14, v29
	s_delay_alu instid0(VALU_DEP_4) | instskip(NEXT) | instid1(VALU_DEP_4)
	v_dual_ashrrev_i32 v33, 31, v33 :: v_dual_bitop2_b32 v32, s15, v32 bitop3:0x14
	v_ashrrev_i32_e32 v34, 31, v34
	v_not_b32_e32 v36, v37
	v_cmp_gt_i32_e64 s18, 0, v37
	v_not_b32_e32 v37, v38
	v_xor_b32_e32 v33, s16, v33
	v_xor_b32_e32 v34, s17, v34
	v_bitop3_b32 v29, v29, v32, exec_lo bitop3:0x80
	v_dual_ashrrev_i32 v32, 31, v36 :: v_dual_lshlrev_b32 v36, 25, v30
	v_lshlrev_b32_e32 v30, 24, v30
	v_cmp_gt_i32_e64 s14, 0, v38
	v_ashrrev_i32_e32 v37, 31, v37
	v_bitop3_b32 v29, v29, v34, v33 bitop3:0x80
	v_not_b32_e32 v33, v36
	v_not_b32_e32 v34, v30
	v_xor_b32_e32 v32, s18, v32
	v_xor_b32_e32 v37, s14, v37
	v_cmp_gt_i32_e64 s14, 0, v36
	v_ashrrev_i32_e32 v33, 31, v33
	v_cmp_gt_i32_e64 s15, 0, v30
	v_ashrrev_i32_e32 v30, 31, v34
	v_lshl_add_u32 v31, v31, 2, v12
	v_bitop3_b32 v32, v29, v37, v32 bitop3:0x80
	v_xor_b32_e32 v33, s14, v33
	s_delay_alu instid0(VALU_DEP_4) | instskip(SKIP_3) | instid1(VALU_DEP_1)
	v_xor_b32_e32 v30, s15, v30
	ds_load_b32 v29, v31 offset:32
	v_add_nc_u32_e32 v31, 32, v31
	; wave barrier
	v_bitop3_b32 v32, v32, v30, v33 bitop3:0x80
	v_mbcnt_lo_u32_b32 v30, v32, 0
	v_cmp_ne_u32_e64 s15, 0, v32
	s_delay_alu instid0(VALU_DEP_2) | instskip(SKIP_1) | instid1(SALU_CYCLE_1)
	v_cmp_eq_u32_e64 s14, 0, v30
	s_and_b32 s15, s15, s14
	s_and_saveexec_b32 s14, s15
	s_cbranch_execz .LBB596_273
; %bb.272:                              ;   in Loop: Header=BB596_269 Depth=1
	s_wait_dscnt 0x0
	v_bcnt_u32_b32 v32, v32, v29
	ds_store_b32 v31, v32
.LBB596_273:                            ;   in Loop: Header=BB596_269 Depth=1
	s_or_b32 exec_lo, exec_lo, s14
	v_lshrrev_b32_e32 v32, v10, v102
	; wave barrier
	s_delay_alu instid0(VALU_DEP_1) | instskip(NEXT) | instid1(VALU_DEP_1)
	v_and_b32_e32 v33, v32, v35
	v_lshlrev_b32_e32 v37, 30, v33
	v_bitop3_b32 v32, v32, 1, v35 bitop3:0x80
	s_delay_alu instid0(VALU_DEP_2) | instskip(NEXT) | instid1(VALU_DEP_2)
	v_cmp_gt_i32_e64 s15, 0, v37
	v_add_co_u32 v32, s14, v32, -1
	s_delay_alu instid0(VALU_DEP_1) | instskip(NEXT) | instid1(VALU_DEP_1)
	v_cndmask_b32_e64 v36, 0, 1, s14
	v_cmp_ne_u32_e64 s14, 0, v36
	v_not_b32_e32 v36, v37
	s_delay_alu instid0(VALU_DEP_1) | instskip(SKIP_3) | instid1(VALU_DEP_4)
	v_dual_ashrrev_i32 v36, 31, v36 :: v_dual_lshlrev_b32 v38, 29, v33
	v_dual_lshlrev_b32 v39, 28, v33 :: v_dual_lshlrev_b32 v48, 27, v33
	v_lshlrev_b32_e32 v49, 26, v33
	v_lshl_add_u32 v34, v33, 3, v80
	v_cmp_gt_i32_e64 s16, 0, v38
	v_not_b32_e32 v37, v38
	v_not_b32_e32 v38, v39
	v_cmp_gt_i32_e64 s17, 0, v39
	v_xor_b32_e32 v32, s14, v32
	s_delay_alu instid0(VALU_DEP_4) | instskip(NEXT) | instid1(VALU_DEP_4)
	v_dual_ashrrev_i32 v37, 31, v37 :: v_dual_bitop2_b32 v36, s15, v36 bitop3:0x14
	v_dual_ashrrev_i32 v38, 31, v38 :: v_dual_lshlrev_b32 v50, 25, v33
	v_lshlrev_b32_e32 v33, 24, v33
	v_not_b32_e32 v39, v48
	v_not_b32_e32 v51, v49
	v_xor_b32_e32 v37, s16, v37
	v_xor_b32_e32 v38, s17, v38
	v_bitop3_b32 v32, v32, v36, exec_lo bitop3:0x80
	v_cmp_gt_i32_e64 s14, 0, v48
	v_ashrrev_i32_e32 v36, 31, v39
	v_cmp_gt_i32_e64 s15, 0, v49
	v_ashrrev_i32_e32 v39, 31, v51
	v_bitop3_b32 v32, v32, v38, v37 bitop3:0x80
	v_not_b32_e32 v37, v50
	v_not_b32_e32 v38, v33
	v_xor_b32_e32 v36, s14, v36
	v_xor_b32_e32 v39, s15, v39
	v_cmp_gt_i32_e64 s14, 0, v50
	v_ashrrev_i32_e32 v37, 31, v37
	v_cmp_gt_i32_e64 s15, 0, v33
	v_ashrrev_i32_e32 v33, 31, v38
	v_lshl_add_u32 v34, v34, 2, v12
	v_bitop3_b32 v36, v32, v39, v36 bitop3:0x80
	v_xor_b32_e32 v37, s14, v37
	s_delay_alu instid0(VALU_DEP_4) | instskip(SKIP_3) | instid1(VALU_DEP_1)
	v_xor_b32_e32 v33, s15, v33
	ds_load_b32 v32, v34 offset:32
	v_add_nc_u32_e32 v34, 32, v34
	; wave barrier
	v_bitop3_b32 v36, v36, v33, v37 bitop3:0x80
	v_mbcnt_lo_u32_b32 v33, v36, 0
	v_cmp_ne_u32_e64 s15, 0, v36
	s_delay_alu instid0(VALU_DEP_2) | instskip(SKIP_1) | instid1(SALU_CYCLE_1)
	v_cmp_eq_u32_e64 s14, 0, v33
	s_and_b32 s15, s15, s14
	s_and_saveexec_b32 s14, s15
	s_cbranch_execz .LBB596_275
; %bb.274:                              ;   in Loop: Header=BB596_269 Depth=1
	s_wait_dscnt 0x0
	v_bcnt_u32_b32 v36, v36, v32
	ds_store_b32 v34, v36
.LBB596_275:                            ;   in Loop: Header=BB596_269 Depth=1
	s_or_b32 exec_lo, exec_lo, s14
	v_lshrrev_b32_e32 v36, v10, v101
	; wave barrier
	s_delay_alu instid0(VALU_DEP_1) | instskip(SKIP_1) | instid1(VALU_DEP_2)
	v_and_b32_e32 v37, v36, v35
	v_bitop3_b32 v35, v36, 1, v35 bitop3:0x80
	v_dual_lshlrev_b32 v39, 30, v37 :: v_dual_lshlrev_b32 v48, 29, v37
	s_delay_alu instid0(VALU_DEP_2) | instskip(NEXT) | instid1(VALU_DEP_1)
	v_add_co_u32 v35, s14, v35, -1
	v_cndmask_b32_e64 v38, 0, 1, s14
	v_lshlrev_b32_e32 v49, 28, v37
	s_delay_alu instid0(VALU_DEP_4) | instskip(SKIP_1) | instid1(VALU_DEP_4)
	v_cmp_gt_i32_e64 s15, 0, v39
	v_cmp_gt_i32_e64 s16, 0, v48
	v_cmp_ne_u32_e64 s14, 0, v38
	v_not_b32_e32 v38, v39
	v_not_b32_e32 v39, v48
	v_not_b32_e32 v48, v49
	s_delay_alu instid0(VALU_DEP_3) | instskip(NEXT) | instid1(VALU_DEP_2)
	v_dual_ashrrev_i32 v38, 31, v38 :: v_dual_bitop2_b32 v35, s14, v35 bitop3:0x14
	v_dual_ashrrev_i32 v39, 31, v39 :: v_dual_ashrrev_i32 v48, 31, v48
	v_lshl_add_u32 v36, v37, 3, v80
	v_dual_lshlrev_b32 v50, 27, v37 :: v_dual_lshlrev_b32 v51, 26, v37
	v_dual_lshlrev_b32 v52, 25, v37 :: v_dual_lshlrev_b32 v37, 24, v37
	v_cmp_gt_i32_e64 s17, 0, v49
	v_xor_b32_e32 v38, s15, v38
	s_delay_alu instid0(VALU_DEP_4)
	v_not_b32_e32 v49, v50
	v_not_b32_e32 v53, v51
	v_xor_b32_e32 v39, s16, v39
	v_xor_b32_e32 v48, s17, v48
	v_bitop3_b32 v35, v35, v38, exec_lo bitop3:0x80
	v_cmp_gt_i32_e64 s14, 0, v50
	v_ashrrev_i32_e32 v38, 31, v49
	v_cmp_gt_i32_e64 s15, 0, v51
	v_ashrrev_i32_e32 v49, 31, v53
	v_bitop3_b32 v35, v35, v48, v39 bitop3:0x80
	v_not_b32_e32 v39, v52
	v_not_b32_e32 v48, v37
	v_xor_b32_e32 v38, s14, v38
	v_xor_b32_e32 v49, s15, v49
	v_cmp_gt_i32_e64 s14, 0, v52
	v_ashrrev_i32_e32 v39, 31, v39
	v_cmp_gt_i32_e64 s15, 0, v37
	v_ashrrev_i32_e32 v37, 31, v48
	v_lshl_add_u32 v36, v36, 2, v12
	v_bitop3_b32 v38, v35, v49, v38 bitop3:0x80
	v_xor_b32_e32 v39, s14, v39
	s_delay_alu instid0(VALU_DEP_4) | instskip(SKIP_3) | instid1(VALU_DEP_1)
	v_xor_b32_e32 v37, s15, v37
	ds_load_b32 v35, v36 offset:32
	v_add_nc_u32_e32 v36, 32, v36
	; wave barrier
	v_bitop3_b32 v37, v38, v37, v39 bitop3:0x80
	v_mbcnt_lo_u32_b32 v48, v37, 0
	v_cmp_ne_u32_e64 s15, 0, v37
	s_delay_alu instid0(VALU_DEP_2) | instskip(SKIP_1) | instid1(SALU_CYCLE_1)
	v_cmp_eq_u32_e64 s14, 0, v48
	s_and_b32 s15, s15, s14
	s_and_saveexec_b32 s14, s15
	s_cbranch_execz .LBB596_277
; %bb.276:                              ;   in Loop: Header=BB596_269 Depth=1
	s_wait_dscnt 0x0
	v_bcnt_u32_b32 v37, v37, v35
	ds_store_b32 v36, v37
.LBB596_277:                            ;   in Loop: Header=BB596_269 Depth=1
	s_or_b32 exec_lo, exec_lo, s14
	; wave barrier
	s_wait_dscnt 0x0
	s_barrier_signal -1
	s_barrier_wait -1
	ds_load_b32 v38, v19
	ds_load_b32 v39, v23
	;; [unrolled: 1-line block ×8, first 2 shown]
	s_wait_dscnt 0x6
	v_add_nc_u32_e32 v54, v39, v38
	s_wait_dscnt 0x4
	s_delay_alu instid0(VALU_DEP_1) | instskip(SKIP_1) | instid1(VALU_DEP_1)
	v_add3_u32 v54, v54, v49, v50
	s_wait_dscnt 0x2
	v_add3_u32 v54, v54, v51, v52
	s_wait_dscnt 0x0
	s_delay_alu instid0(VALU_DEP_1) | instskip(NEXT) | instid1(VALU_DEP_1)
	v_add3_u32 v53, v54, v37, v53
	v_mov_b32_dpp v54, v53 row_shr:1 row_mask:0xf bank_mask:0xf
	s_delay_alu instid0(VALU_DEP_1) | instskip(NEXT) | instid1(VALU_DEP_1)
	v_cndmask_b32_e64 v54, v54, 0, vcc_lo
	v_add_nc_u32_e32 v53, v54, v53
	s_delay_alu instid0(VALU_DEP_1) | instskip(NEXT) | instid1(VALU_DEP_1)
	v_mov_b32_dpp v54, v53 row_shr:2 row_mask:0xf bank_mask:0xf
	v_cndmask_b32_e64 v54, 0, v54, s0
	s_delay_alu instid0(VALU_DEP_1) | instskip(NEXT) | instid1(VALU_DEP_1)
	v_add_nc_u32_e32 v53, v53, v54
	v_mov_b32_dpp v54, v53 row_shr:4 row_mask:0xf bank_mask:0xf
	s_delay_alu instid0(VALU_DEP_1) | instskip(NEXT) | instid1(VALU_DEP_1)
	v_cndmask_b32_e64 v54, 0, v54, s1
	v_add_nc_u32_e32 v53, v53, v54
	s_delay_alu instid0(VALU_DEP_1) | instskip(NEXT) | instid1(VALU_DEP_1)
	v_mov_b32_dpp v54, v53 row_shr:8 row_mask:0xf bank_mask:0xf
	v_cndmask_b32_e64 v54, 0, v54, s3
	s_delay_alu instid0(VALU_DEP_1) | instskip(SKIP_3) | instid1(VALU_DEP_1)
	v_add_nc_u32_e32 v53, v53, v54
	ds_swizzle_b32 v54, v53 offset:swizzle(BROADCAST,32,15)
	s_wait_dscnt 0x0
	v_cndmask_b32_e64 v54, v54, 0, s4
	v_add_nc_u32_e32 v53, v53, v54
	s_and_saveexec_b32 s14, s5
; %bb.278:                              ;   in Loop: Header=BB596_269 Depth=1
	ds_store_b32 v82, v53
; %bb.279:                              ;   in Loop: Header=BB596_269 Depth=1
	s_or_b32 exec_lo, exec_lo, s14
	s_wait_dscnt 0x0
	s_barrier_signal -1
	s_barrier_wait -1
	s_and_saveexec_b32 s14, s6
	s_cbranch_execz .LBB596_281
; %bb.280:                              ;   in Loop: Header=BB596_269 Depth=1
	ds_load_b32 v54, v4
	s_wait_dscnt 0x0
	v_mov_b32_dpp v55, v54 row_shr:1 row_mask:0xf bank_mask:0xf
	s_delay_alu instid0(VALU_DEP_1) | instskip(NEXT) | instid1(VALU_DEP_1)
	v_cndmask_b32_e64 v55, v55, 0, s11
	v_add_nc_u32_e32 v54, v55, v54
	s_delay_alu instid0(VALU_DEP_1) | instskip(NEXT) | instid1(VALU_DEP_1)
	v_mov_b32_dpp v55, v54 row_shr:2 row_mask:0xf bank_mask:0xf
	v_cndmask_b32_e64 v55, 0, v55, s12
	s_delay_alu instid0(VALU_DEP_1) | instskip(NEXT) | instid1(VALU_DEP_1)
	v_add_nc_u32_e32 v54, v54, v55
	v_mov_b32_dpp v55, v54 row_shr:4 row_mask:0xf bank_mask:0xf
	s_delay_alu instid0(VALU_DEP_1) | instskip(NEXT) | instid1(VALU_DEP_1)
	v_cndmask_b32_e64 v55, 0, v55, s13
	v_add_nc_u32_e32 v54, v54, v55
	ds_store_b32 v4, v54
.LBB596_281:                            ;   in Loop: Header=BB596_269 Depth=1
	s_or_b32 exec_lo, exec_lo, s14
	v_mov_b32_e32 v54, 0
	s_wait_dscnt 0x0
	s_barrier_signal -1
	s_barrier_wait -1
	s_and_saveexec_b32 s14, s7
; %bb.282:                              ;   in Loop: Header=BB596_269 Depth=1
	ds_load_b32 v54, v84
; %bb.283:                              ;   in Loop: Header=BB596_269 Depth=1
	s_or_b32 exec_lo, exec_lo, s14
	s_wait_dscnt 0x0
	v_add_nc_u32_e32 v53, v54, v53
	s_mov_b32 s16, -1
	s_mov_b32 s15, exec_lo
	v_add_nc_u32_e32 v10, 8, v10
	ds_bpermute_b32 v53, v81, v53
	s_wait_dscnt 0x0
	v_cndmask_b32_e64 v53, v53, v54, s2
	s_delay_alu instid0(VALU_DEP_1) | instskip(NEXT) | instid1(VALU_DEP_1)
	v_cndmask_b32_e64 v53, v53, 0, s10
	v_add_nc_u32_e32 v38, v53, v38
	s_delay_alu instid0(VALU_DEP_1) | instskip(NEXT) | instid1(VALU_DEP_1)
	v_add_nc_u32_e32 v39, v38, v39
	v_add_nc_u32_e32 v49, v39, v49
	ds_store_b32 v19, v53
	ds_store_b32 v23, v38
	;; [unrolled: 1-line block ×3, first 2 shown]
	v_mov_b32_e32 v39, v1
	v_add_nc_u32_e32 v50, v49, v50
	s_delay_alu instid0(VALU_DEP_1) | instskip(NEXT) | instid1(VALU_DEP_1)
	v_add_nc_u32_e32 v51, v50, v51
	v_add_nc_u32_e32 v52, v51, v52
	s_delay_alu instid0(VALU_DEP_1)
	v_add_nc_u32_e32 v37, v52, v37
	ds_store_b32 v67, v49
	ds_store_b32 v68, v50
	;; [unrolled: 1-line block ×5, first 2 shown]
	s_wait_dscnt 0x0
	s_barrier_signal -1
	s_barrier_wait -1
	ds_load_b32 v28, v28
	ds_load_b32 v31, v31
	ds_load_b32 v34, v34
	ds_load_b32 v50, v36
	v_dual_mov_b32 v37, v1 :: v_dual_mov_b32 v49, v1
	s_wait_dscnt 0x0
	v_add_nc_u32_e32 v0, v28, v0
	v_add3_u32 v36, v30, v29, v31
	v_add3_u32 v38, v33, v32, v34
	;; [unrolled: 1-line block ×3, first 2 shown]
                                        ; implicit-def: $vgpr28_vgpr29
                                        ; implicit-def: $vgpr30_vgpr31
                                        ; implicit-def: $vgpr32_vgpr33
                                        ; implicit-def: $vgpr34_vgpr35
	s_delay_alu instid0(VALU_DEP_4) | instskip(NEXT) | instid1(VALU_DEP_4)
	v_lshl_add_u64 v[64:65], v[0:1], 2, v[12:13]
	v_lshl_add_u64 v[54:55], v[36:37], 2, v[12:13]
	s_delay_alu instid0(VALU_DEP_4) | instskip(NEXT) | instid1(VALU_DEP_4)
	v_lshl_add_u64 v[52:53], v[38:39], 2, v[12:13]
	v_lshl_add_u64 v[50:51], v[48:49], 2, v[12:13]
                                        ; implicit-def: $vgpr49
                                        ; implicit-def: $vgpr39
                                        ; implicit-def: $vgpr37
                                        ; implicit-def: $vgpr51
	v_cmpx_lt_u32_e64 v10, v11
	s_cbranch_execz .LBB596_268
; %bb.284:                              ;   in Loop: Header=BB596_269 Depth=1
	v_lshl_add_u32 v28, v0, 2, v64
	v_lshl_add_u32 v29, v36, 2, v54
	v_lshl_add_u32 v30, v38, 2, v52
	v_lshl_add_u32 v31, v48, 2, v50
	s_barrier_signal -1
	s_barrier_wait -1
	ds_store_b32 v64, v100
	ds_store_b32 v54, v103
	ds_store_b32 v52, v102
	ds_store_b32 v50, v101
	s_wait_dscnt 0x0
	s_barrier_signal -1
	s_barrier_wait -1
	ds_load_b32 v51, v83
	ds_load_b32 v37, v85
	;; [unrolled: 1-line block ×4, first 2 shown]
	s_wait_dscnt 0x0
	s_barrier_signal -1
	s_barrier_wait -1
	ds_store_b64 v28, v[24:25]
	ds_store_b64 v29, v[20:21]
	ds_store_b64 v30, v[16:17]
	ds_store_b64 v31, v[26:27]
	s_wait_dscnt 0x0
	s_barrier_signal -1
	s_barrier_wait -1
	ds_load_b64 v[28:29], v5
	ds_load_b64 v[30:31], v96
	;; [unrolled: 1-line block ×4, first 2 shown]
	v_add_nc_u32_e32 v99, -8, v99
	s_xor_b32 s16, exec_lo, -1
	s_wait_dscnt 0x0
	s_barrier_signal -1
	s_barrier_wait -1
	s_branch .LBB596_268
.LBB596_285:
	flat_load_b64 v[52:53], v[0:1]
	s_wait_xcnt 0x0
	s_or_b32 exec_lo, exec_lo, s7
                                        ; implicit-def: $vgpr64_vgpr65
	s_and_saveexec_b32 s7, s0
	s_cbranch_execz .LBB596_163
.LBB596_286:
	flat_load_b64 v[64:65], v[0:1] offset:256
	s_wait_xcnt 0x0
	s_or_b32 exec_lo, exec_lo, s7
                                        ; implicit-def: $vgpr36_vgpr37
	s_and_saveexec_b32 s0, s1
	s_cbranch_execz .LBB596_164
.LBB596_287:
	flat_load_b64 v[36:37], v[0:1] offset:512
	s_wait_xcnt 0x0
	s_or_b32 exec_lo, exec_lo, s0
                                        ; implicit-def: $vgpr38_vgpr39
	s_and_saveexec_b32 s0, s2
	s_cbranch_execz .LBB596_165
.LBB596_288:
	flat_load_b64 v[38:39], v[0:1] offset:768
	s_wait_xcnt 0x0
	s_or_b32 exec_lo, exec_lo, s0
                                        ; implicit-def: $vgpr48_vgpr49
	s_and_saveexec_b32 s0, s3
	s_cbranch_execz .LBB596_166
.LBB596_289:
	flat_load_b64 v[48:49], v[0:1] offset:1024
	s_wait_xcnt 0x0
	s_or_b32 exec_lo, exec_lo, s0
                                        ; implicit-def: $vgpr50_vgpr51
	s_and_saveexec_b32 s0, s4
	s_cbranch_execz .LBB596_167
.LBB596_290:
	flat_load_b64 v[50:51], v[0:1] offset:1280
	s_wait_xcnt 0x0
	s_or_b32 exec_lo, exec_lo, s0
                                        ; implicit-def: $vgpr54_vgpr55
	s_and_saveexec_b32 s0, s5
	s_cbranch_execz .LBB596_168
.LBB596_291:
	flat_load_b64 v[54:55], v[0:1] offset:1536
	s_wait_xcnt 0x0
	s_or_b32 exec_lo, exec_lo, s0
                                        ; implicit-def: $vgpr66_vgpr67
	s_and_saveexec_b32 s0, s6
	s_cbranch_execnz .LBB596_169
	s_branch .LBB596_170
.LBB596_292:
	flat_store_b64 v[0:1], v[22:23]
	s_wait_xcnt 0x0
	s_or_b32 exec_lo, exec_lo, s7
	s_and_saveexec_b32 s7, s0
	s_cbranch_execz .LBB596_244
.LBB596_293:
	flat_store_b64 v[0:1], v[24:25] offset:2048
	s_wait_xcnt 0x0
	s_or_b32 exec_lo, exec_lo, s7
	s_and_saveexec_b32 s0, s1
	s_cbranch_execz .LBB596_245
.LBB596_294:
	flat_store_b64 v[0:1], v[18:19] offset:4096
	s_wait_xcnt 0x0
	s_or_b32 exec_lo, exec_lo, s0
	s_and_saveexec_b32 s0, s2
	s_cbranch_execz .LBB596_246
.LBB596_295:
	flat_store_b64 v[0:1], v[20:21] offset:6144
	s_wait_xcnt 0x0
	s_or_b32 exec_lo, exec_lo, s0
	s_and_saveexec_b32 s0, s3
	s_cbranch_execz .LBB596_247
.LBB596_296:
	flat_store_b64 v[0:1], v[14:15] offset:8192
	s_wait_xcnt 0x0
	s_or_b32 exec_lo, exec_lo, s0
	s_and_saveexec_b32 s0, s4
	s_cbranch_execz .LBB596_248
.LBB596_297:
	flat_store_b64 v[0:1], v[16:17] offset:10240
	s_wait_xcnt 0x0
	s_or_b32 exec_lo, exec_lo, s0
	s_and_saveexec_b32 s0, s5
	s_cbranch_execz .LBB596_249
.LBB596_298:
	flat_store_b64 v[0:1], v[10:11] offset:12288
	s_wait_xcnt 0x0
	s_or_b32 exec_lo, exec_lo, s0
	s_and_saveexec_b32 s0, s6
	s_cbranch_execnz .LBB596_250
	s_branch .LBB596_251
.LBB596_299:
	s_or_b32 exec_lo, exec_lo, s23
	v_lshl_add_u32 v0, v0, 2, v64
	v_lshl_add_u32 v1, v36, 2, v54
	;; [unrolled: 1-line block ×4, first 2 shown]
	s_barrier_signal -1
	s_barrier_wait -1
	ds_store_b32 v64, v100
	ds_store_b32 v54, v103
	ds_store_b32 v52, v102
	ds_store_b32 v50, v101
	s_wait_dscnt 0x0
	s_barrier_signal -1
	s_barrier_wait -1
	ds_load_2addr_stride64_b32 v[28:29], v4 offset1:4
	ds_load_2addr_stride64_b32 v[4:5], v4 offset0:8 offset1:12
	s_wait_dscnt 0x0
	s_barrier_signal -1
	s_barrier_wait -1
	ds_store_b64 v0, v[24:25]
	ds_store_b64 v1, v[20:21]
	;; [unrolled: 1-line block ×4, first 2 shown]
	v_lshl_add_u32 v0, v22, 3, v12
	s_wait_dscnt 0x0
	s_barrier_signal -1
	s_barrier_wait -1
	ds_load_2addr_stride64_b64 v[14:17], v0 offset1:4
	ds_load_2addr_stride64_b64 v[10:13], v0 offset0:8 offset1:12
	v_lshl_add_u64 v[0:1], v[8:9], 2, v[2:3]
	v_mov_b32_e32 v19, 0
	s_set_vgpr_msb 4                        ;  msbs: dst=0 src0=0 src1=1 src2=0
	v_cmp_lt_u32_e32 vcc_lo, v18, v2 /*v258*/
	s_wait_dscnt 0x0
	s_barrier_signal -1
	s_barrier_wait -1
	v_lshl_add_u64 v[0:1], v[18:19], 2, v[0:1]
	s_and_saveexec_b32 s0, vcc_lo
	s_set_vgpr_msb 0                        ;  msbs: dst=0 src0=0 src1=0 src2=0
	s_cbranch_execz .LBB596_301
; %bb.300:
	v_xor_b32_e32 v2, 0x80000000, v28
	flat_store_b32 v[0:1], v2
.LBB596_301:
	s_wait_xcnt 0x0
	s_or_b32 exec_lo, exec_lo, s0
	v_add_nc_u32_e32 v2, 0x100, v18
	s_set_vgpr_msb 4                        ;  msbs: dst=0 src0=0 src1=1 src2=0
	s_delay_alu instid0(VALU_DEP_1)
	v_cmp_lt_u32_e64 s0, v2, v2 /*v258*/
	s_and_saveexec_b32 s1, s0
	s_set_vgpr_msb 0                        ;  msbs: dst=0 src0=0 src1=0 src2=0
	s_cbranch_execz .LBB596_303
; %bb.302:
	v_xor_b32_e32 v2, 0x80000000, v29
	flat_store_b32 v[0:1], v2 offset:1024
.LBB596_303:
	s_wait_xcnt 0x0
	s_or_b32 exec_lo, exec_lo, s1
	v_add_nc_u32_e32 v2, 0x200, v18
	s_set_vgpr_msb 4                        ;  msbs: dst=0 src0=0 src1=1 src2=0
	s_delay_alu instid0(VALU_DEP_1)
	v_cmp_lt_u32_e64 s1, v2, v2 /*v258*/
	s_and_saveexec_b32 s2, s1
	s_set_vgpr_msb 0                        ;  msbs: dst=0 src0=0 src1=0 src2=0
	s_cbranch_execz .LBB596_305
; %bb.304:
	v_xor_b32_e32 v2, 0x80000000, v4
	flat_store_b32 v[0:1], v2 offset:2048
.LBB596_305:
	;; [unrolled: 13-line block ×3, first 2 shown]
	s_wait_xcnt 0x0
	s_or_b32 exec_lo, exec_lo, s3
	v_lshl_add_u64 v[0:1], v[8:9], 3, v[6:7]
	s_delay_alu instid0(VALU_DEP_1)
	v_lshl_add_u64 v[0:1], v[18:19], 3, v[0:1]
	s_and_saveexec_b32 s3, vcc_lo
	s_cbranch_execnz .LBB596_340
; %bb.308:
	s_or_b32 exec_lo, exec_lo, s3
	s_and_saveexec_b32 s3, s0
	s_cbranch_execnz .LBB596_341
.LBB596_309:
	s_or_b32 exec_lo, exec_lo, s3
	s_and_saveexec_b32 s0, s1
	s_cbranch_execnz .LBB596_342
.LBB596_310:
	s_or_b32 exec_lo, exec_lo, s0
	s_and_saveexec_b32 s0, s2
	s_cbranch_execz .LBB596_312
.LBB596_311:
	flat_store_b64 v[0:1], v[12:13] offset:6144
.LBB596_312:
	s_wait_xcnt 0x0
	s_or_b32 exec_lo, exec_lo, s0
                                        ; implicit-def: $vgpr258
                                        ; implicit-def: $vgpr8
                                        ; implicit-def: $vgpr10
                                        ; implicit-def: $vgpr11
                                        ; implicit-def: $vgpr0_vgpr1
                                        ; implicit-def: $vgpr2_vgpr3
                                        ; implicit-def: $vgpr4_vgpr5
                                        ; implicit-def: $vgpr6_vgpr7
                                        ; implicit-def: $vgpr12_vgpr13
                                        ; implicit-def: $vgpr9
                                        ; implicit-def: $vgpr14
                                        ; implicit-def: $vgpr22
                                        ; implicit-def: $vgpr98
.LBB596_313:
	s_and_not1_saveexec_b32 s0, s21
	s_cbranch_execz .LBB596_372
; %bb.314:
	s_load_b64 s[0:1], s[8:9], 0x0
	s_bfe_u32 s3, ttmp6, 0x4000c
	s_bfe_u32 s5, ttmp6, 0x40010
	s_and_b32 s4, ttmp7, 0xffff
	s_add_co_i32 s3, s3, 1
	s_add_co_i32 s5, s5, 1
	s_and_b32 s2, ttmp6, 15
	s_bfe_u32 s6, ttmp6, 0x40004
	s_mul_i32 s3, ttmp9, s3
	s_mul_i32 s5, s4, s5
	s_add_co_i32 s2, s2, s3
	s_add_co_i32 s6, s6, s5
	s_cmp_eq_u32 s20, 0
	s_cselect_b32 s2, ttmp9, s2
	s_cselect_b32 s3, s4, s6
	s_wait_kmcnt 0x0
	s_cmp_lt_u32 s2, s0
	s_cselect_b32 s0, 12, 18
	s_cmp_lt_u32 s3, s1
	s_mov_b32 s1, 0
	s_cselect_b32 s2, 14, 20
	s_mov_b32 s3, s1
	s_add_nc_u64 s[0:1], s[8:9], s[0:1]
	s_add_nc_u64 s[2:3], s[8:9], s[2:3]
	s_clause 0x1
	s_load_u16 s0, s[0:1], 0x0
	s_nop 0
	s_load_u16 s2, s[2:3], 0x0
	s_wait_kmcnt 0x0
	v_mad_u32_u24 v9, v14, s2, v9
	s_delay_alu instid0(VALU_DEP_1)
	v_mad_u32 v14, v9, s0, v22
	v_mov_b32_e32 v9, 0
	s_mov_b32 s0, exec_lo
	s_set_vgpr_msb 4                        ;  msbs: dst=0 src0=0 src1=1 src2=0
	v_cmpx_lt_u32_e32 0x100, v2 /*v258*/
	s_xor_b32 s18, exec_lo, s0
	s_set_vgpr_msb 0                        ;  msbs: dst=0 src0=0 src1=0 src2=0
	s_cbranch_execz .LBB596_352
; %bb.315:
	s_delay_alu instid0(VALU_DEP_3) | instskip(SKIP_2) | instid1(VALU_DEP_3)
	v_dual_lshlrev_b32 v15, 1, v14 :: v_dual_mov_b32 v19, v9
	v_lshl_add_u64 v[0:1], v[8:9], 2, v[0:1]
	v_dual_mov_b32 v17, v9 :: v_dual_lshlrev_b32 v18, 2, v98
	v_and_b32_e32 v16, 0xffffffc0, v15
	s_delay_alu instid0(VALU_DEP_2) | instskip(SKIP_1) | instid1(VALU_DEP_3)
	v_add_nc_u64_e32 v[18:19], v[0:1], v[18:19]
	v_mov_b64_e32 v[0:1], 0x7fffffff7fffffff
	v_or_b32_e32 v15, v98, v16
	s_delay_alu instid0(VALU_DEP_3) | instskip(SKIP_1) | instid1(VALU_DEP_2)
	v_lshl_add_u64 v[18:19], v[16:17], 2, v[18:19]
	s_set_vgpr_msb 4                        ;  msbs: dst=0 src0=0 src1=1 src2=0
	v_cmp_lt_u32_e32 vcc_lo, v15, v2 /*v258*/
	s_and_saveexec_b32 s0, vcc_lo
	s_set_vgpr_msb 0                        ;  msbs: dst=0 src0=0 src1=0 src2=0
	s_cbranch_execz .LBB596_317
; %bb.316:
	flat_load_b32 v0, v[18:19]
	v_bfrev_b32_e32 v1, -2
.LBB596_317:
	s_wait_xcnt 0x0
	s_or_b32 exec_lo, exec_lo, s0
	v_or_b32_e32 v15, 32, v15
	s_set_vgpr_msb 4                        ;  msbs: dst=0 src0=0 src1=1 src2=0
	s_delay_alu instid0(VALU_DEP_1)
	v_cmp_lt_u32_e64 s0, v15, v2 /*v258*/
	s_and_saveexec_b32 s1, s0
	s_set_vgpr_msb 0                        ;  msbs: dst=0 src0=0 src1=0 src2=0
	s_cbranch_execz .LBB596_319
; %bb.318:
	flat_load_b32 v1, v[18:19] offset:128
.LBB596_319:
	s_wait_xcnt 0x0
	s_or_b32 exec_lo, exec_lo, s1
	v_lshl_add_u64 v[4:5], v[8:9], 3, v[4:5]
	v_dual_mov_b32 v19, 0 :: v_dual_lshlrev_b32 v18, 3, v98
	v_mov_b64_e32 v[26:27], 0
	v_mov_b64_e32 v[24:25], 0
	s_delay_alu instid0(VALU_DEP_3) | instskip(NEXT) | instid1(VALU_DEP_1)
	v_add_nc_u64_e32 v[4:5], v[4:5], v[18:19]
	v_lshl_add_u64 v[4:5], v[16:17], 3, v[4:5]
	s_and_saveexec_b32 s1, vcc_lo
	s_cbranch_execz .LBB596_321
; %bb.320:
	flat_load_b64 v[24:25], v[4:5]
.LBB596_321:
	s_wait_xcnt 0x0
	s_or_b32 exec_lo, exec_lo, s1
	s_and_saveexec_b32 s1, s0
	s_cbranch_execz .LBB596_323
; %bb.322:
	flat_load_b64 v[26:27], v[4:5] offset:256
.LBB596_323:
	s_wait_xcnt 0x0
	s_or_b32 exec_lo, exec_lo, s1
	s_wait_loadcnt_dscnt 0x0
	v_xor_b32_e32 v31, 0x80000000, v0
	v_and_b32_e32 v0, 0x3e0, v22
	v_lshl_add_u32 v4, v22, 5, v12
	v_xor_b32_e32 v29, 0x80000000, v1
	v_and_b32_e32 v1, 15, v98
	s_get_pc_i64 s[0:1]
	s_add_nc_u64 s[0:1], s[0:1], _ZN7rocprim17ROCPRIM_400000_NS16block_radix_sortIiLj256ELj2ElLj1ELj1ELj8ELNS0_26block_radix_rank_algorithmE2ELNS0_18block_padding_hintE2ELNS0_4arch9wavefront6targetE0EE19radix_bits_per_passE@rel64+4
	v_min_u32_e32 v0, 0xe0, v0
	v_sub_co_u32 v5, s2, v98, 1
	s_load_b32 s20, s[0:1], 0x0
	v_add_nc_u32_e32 v38, 56, v4
	v_cmp_eq_u32_e32 vcc_lo, 0, v1
	s_wait_xcnt 0x0
	v_cmp_lt_u32_e64 s0, 1, v1
	v_cmp_lt_u32_e64 s1, 3, v1
	v_or_b32_e32 v0, 31, v0
	v_cmp_lt_u32_e64 s3, 7, v1
	v_dual_lshlrev_b32 v1, 1, v22 :: v_dual_add_nc_u32 v15, 32, v4
	v_dual_add_nc_u32 v23, 36, v4 :: v_dual_add_nc_u32 v34, 40, v4
	v_dual_add_nc_u32 v35, 44, v4 :: v_dual_add_nc_u32 v36, 48, v4
	v_dual_add_nc_u32 v37, 52, v4 :: v_dual_add_nc_u32 v39, 60, v4
	v_lshrrev_b32_e32 v48, 5, v14
	v_cmp_gt_i32_e64 s6, 0, v5
	v_and_b32_e32 v4, 16, v98
	v_and_or_b32 v1, 0x7c0, v1, v98
	v_cmp_eq_u32_e64 s5, v22, v0
	v_cmp_lt_u32_e64 s7, 31, v22
	v_cndmask_b32_e64 v0, v5, v98, s6
	v_cmp_eq_u32_e64 s4, 0, v4
	v_dual_lshrrev_b32 v4, 3, v22 :: v_dual_lshlrev_b32 v16, 2, v1
	s_delay_alu instid0(VALU_DEP_3) | instskip(SKIP_1) | instid1(VALU_DEP_3)
	v_dual_mov_b32 v1, 0 :: v_dual_lshlrev_b32 v49, 2, v0
	v_lshlrev_b32_e32 v0, 2, v22
	v_and_b32_e32 v4, 0x7c, v4
	s_delay_alu instid0(VALU_DEP_4) | instskip(SKIP_2) | instid1(VALU_DEP_4)
	v_dual_add_nc_u32 v50, v12, v16 :: v_dual_bitop2_b32 v17, 7, v98 bitop3:0x40
	v_cmp_gt_u32_e64 s6, 8, v22
	v_cmp_eq_u32_e64 s8, 0, v22
	v_add_nc_u32_e32 v51, v12, v4
	v_add_nc_u64_e32 v[4:5], v[12:13], v[0:1]
	v_add_nc_u32_e32 v5, v50, v16
	v_cmp_eq_u32_e64 s9, 0, v17
	v_cmp_lt_u32_e64 s10, 1, v17
	v_cmp_lt_u32_e64 s11, 3, v17
	v_mov_b64_e32 v[16:17], 0
	v_add_nc_u32_e32 v52, -4, v51
	v_add_nc_u32_e32 v53, 0x80, v50
	v_add_nc_u32_e32 v54, 0x100, v5
	v_sub_nc_u32_e32 v55, v11, v10
	s_mov_b32 s21, 0
	s_wait_storecnt 0x0
	s_barrier_signal -1
	s_barrier_wait -1
	s_branch .LBB596_325
.LBB596_324:                            ;   in Loop: Header=BB596_325 Depth=1
	s_or_b32 exec_lo, exec_lo, s13
	s_delay_alu instid0(SALU_CYCLE_1) | instskip(NEXT) | instid1(SALU_CYCLE_1)
	s_and_b32 s12, exec_lo, s14
	s_or_b32 s21, s12, s21
	s_delay_alu instid0(SALU_CYCLE_1)
	s_and_not1_b32 exec_lo, exec_lo, s21
	s_cbranch_execz .LBB596_343
.LBB596_325:                            ; =>This Inner Loop Header: Depth=1
	s_wait_kmcnt 0x0
	v_min_u32_e32 v0, s20, v55
	v_mov_b32_e32 v64, v31
	ds_store_b64 v15, v[16:17]
	ds_store_b64 v34, v[16:17]
	;; [unrolled: 1-line block ×4, first 2 shown]
	s_wait_dscnt 0x0
	v_lshlrev_b32_e64 v28, v0, -1
	v_lshrrev_b32_e32 v0, v10, v64
	s_barrier_signal -1
	s_barrier_wait -1
	s_delay_alu instid0(VALU_DEP_1) | instskip(SKIP_1) | instid1(VALU_DEP_2)
	v_bitop3_b32 v18, v0, 1, v28 bitop3:0x40
	v_bitop3_b32 v0, v0, v28, v0 bitop3:0x30
	; wave barrier
	v_add_co_u32 v18, s12, v18, -1
	s_delay_alu instid0(VALU_DEP_1) | instskip(NEXT) | instid1(VALU_DEP_3)
	v_cndmask_b32_e64 v19, 0, 1, s12
	v_dual_lshlrev_b32 v20, 30, v0 :: v_dual_lshlrev_b32 v21, 29, v0
	v_dual_lshlrev_b32 v30, 28, v0 :: v_dual_lshlrev_b32 v31, 27, v0
	v_lshlrev_b32_e32 v32, 26, v0
	s_delay_alu instid0(VALU_DEP_4) | instskip(NEXT) | instid1(VALU_DEP_4)
	v_cmp_ne_u32_e64 s12, 0, v19
	v_not_b32_e32 v19, v20
	v_cmp_gt_i32_e64 s13, 0, v20
	v_cmp_gt_i32_e64 s14, 0, v21
	v_not_b32_e32 v20, v21
	v_not_b32_e32 v21, v30
	v_dual_ashrrev_i32 v19, 31, v19 :: v_dual_lshlrev_b32 v33, 25, v0
	v_lshlrev_b32_e32 v65, 24, v0
	v_cmp_gt_i32_e64 s15, 0, v30
	v_cmp_gt_i32_e64 s16, 0, v31
	v_not_b32_e32 v30, v31
	v_dual_ashrrev_i32 v20, 31, v20 :: v_dual_bitop2_b32 v18, s12, v18 bitop3:0x14
	v_dual_ashrrev_i32 v21, 31, v21 :: v_dual_bitop2_b32 v19, s13, v19 bitop3:0x14
	v_not_b32_e32 v31, v32
	v_cmp_gt_i32_e64 s17, 0, v32
	s_delay_alu instid0(VALU_DEP_4) | instskip(NEXT) | instid1(VALU_DEP_4)
	v_dual_ashrrev_i32 v30, 31, v30 :: v_dual_bitop2_b32 v20, s14, v20 bitop3:0x14
	v_xor_b32_e32 v21, s15, v21
	v_bitop3_b32 v18, v18, v19, exec_lo bitop3:0x80
	v_ashrrev_i32_e32 v19, 31, v31
	v_not_b32_e32 v31, v33
	v_not_b32_e32 v32, v65
	v_xor_b32_e32 v30, s16, v30
	v_bitop3_b32 v18, v18, v21, v20 bitop3:0x80
	v_xor_b32_e32 v19, s17, v19
	v_cmp_gt_i32_e64 s12, 0, v33
	v_ashrrev_i32_e32 v20, 31, v31
	v_cmp_gt_i32_e64 s13, 0, v65
	v_ashrrev_i32_e32 v21, 31, v32
	v_bitop3_b32 v30, v18, v19, v30 bitop3:0x80
	s_delay_alu instid0(VALU_DEP_4) | instskip(SKIP_1) | instid1(VALU_DEP_4)
	v_dual_mov_b32 v65, v29 :: v_dual_bitop2_b32 v20, s12, v20 bitop3:0x14
	v_mov_b64_e32 v[18:19], v[26:27]
	v_xor_b32_e32 v21, s13, v21
	v_lshl_add_u32 v0, v0, 3, v48
	s_delay_alu instid0(VALU_DEP_2) | instskip(SKIP_1) | instid1(VALU_DEP_3)
	v_bitop3_b32 v26, v30, v21, v20 bitop3:0x80
	v_mov_b64_e32 v[20:21], v[24:25]
	v_lshl_add_u64 v[24:25], v[0:1], 2, v[12:13]
	s_delay_alu instid0(VALU_DEP_3) | instskip(SKIP_1) | instid1(VALU_DEP_3)
	v_mbcnt_lo_u32_b32 v0, v26, 0
	v_cmp_ne_u32_e64 s13, 0, v26
	v_add_nc_u64_e32 v[24:25], 32, v[24:25]
	s_delay_alu instid0(VALU_DEP_3) | instskip(SKIP_1) | instid1(SALU_CYCLE_1)
	v_cmp_eq_u32_e64 s12, 0, v0
	s_and_b32 s13, s13, s12
	s_and_saveexec_b32 s12, s13
; %bb.326:                              ;   in Loop: Header=BB596_325 Depth=1
	v_bcnt_u32_b32 v25, v26, 0
	ds_store_b32 v24, v25
; %bb.327:                              ;   in Loop: Header=BB596_325 Depth=1
	s_or_b32 exec_lo, exec_lo, s12
	v_not_b32_e32 v25, v28
	v_lshrrev_b32_e32 v26, v10, v65
	; wave barrier
	s_delay_alu instid0(VALU_DEP_1) | instskip(NEXT) | instid1(VALU_DEP_1)
	v_and_b32_e32 v27, v26, v25
	v_lshlrev_b32_e32 v29, 30, v27
	v_bitop3_b32 v25, v26, 1, v25 bitop3:0x80
	s_delay_alu instid0(VALU_DEP_2) | instskip(NEXT) | instid1(VALU_DEP_2)
	v_cmp_gt_i32_e64 s13, 0, v29
	v_add_co_u32 v25, s12, v25, -1
	s_delay_alu instid0(VALU_DEP_1) | instskip(NEXT) | instid1(VALU_DEP_1)
	v_cndmask_b32_e64 v28, 0, 1, s12
	v_cmp_ne_u32_e64 s12, 0, v28
	v_not_b32_e32 v28, v29
	s_delay_alu instid0(VALU_DEP_1) | instskip(SKIP_3) | instid1(VALU_DEP_4)
	v_dual_ashrrev_i32 v28, 31, v28 :: v_dual_lshlrev_b32 v30, 29, v27
	v_dual_lshlrev_b32 v31, 28, v27 :: v_dual_lshlrev_b32 v32, 27, v27
	v_lshlrev_b32_e32 v33, 26, v27
	v_lshl_add_u32 v26, v27, 3, v48
	v_cmp_gt_i32_e64 s14, 0, v30
	v_not_b32_e32 v29, v30
	v_not_b32_e32 v30, v31
	v_cmp_gt_i32_e64 s15, 0, v31
	v_xor_b32_e32 v25, s12, v25
	s_delay_alu instid0(VALU_DEP_4) | instskip(NEXT) | instid1(VALU_DEP_4)
	v_dual_ashrrev_i32 v29, 31, v29 :: v_dual_bitop2_b32 v28, s13, v28 bitop3:0x14
	v_ashrrev_i32_e32 v30, 31, v30
	v_not_b32_e32 v31, v32
	v_cmp_gt_i32_e64 s16, 0, v32
	v_not_b32_e32 v32, v33
	v_xor_b32_e32 v29, s14, v29
	v_xor_b32_e32 v30, s15, v30
	v_bitop3_b32 v25, v25, v28, exec_lo bitop3:0x80
	v_ashrrev_i32_e32 v28, 31, v31
	v_dual_lshlrev_b32 v31, 25, v27 :: v_dual_lshlrev_b32 v27, 24, v27
	v_ashrrev_i32_e32 v32, 31, v32
	v_cmp_gt_i32_e64 s12, 0, v33
	v_bitop3_b32 v25, v25, v30, v29 bitop3:0x80
	s_delay_alu instid0(VALU_DEP_4)
	v_not_b32_e32 v29, v31
	v_not_b32_e32 v30, v27
	v_xor_b32_e32 v28, s16, v28
	v_xor_b32_e32 v32, s12, v32
	v_cmp_gt_i32_e64 s12, 0, v31
	v_ashrrev_i32_e32 v29, 31, v29
	v_cmp_gt_i32_e64 s13, 0, v27
	v_ashrrev_i32_e32 v27, 31, v30
	v_lshl_add_u32 v30, v26, 2, v12
	v_bitop3_b32 v26, v25, v32, v28 bitop3:0x80
	v_xor_b32_e32 v28, s12, v29
	s_delay_alu instid0(VALU_DEP_4) | instskip(SKIP_3) | instid1(VALU_DEP_2)
	v_xor_b32_e32 v27, s13, v27
	ds_load_b32 v25, v30 offset:32
	; wave barrier
	v_bitop3_b32 v28, v26, v27, v28 bitop3:0x80
	v_add_nc_u32_e32 v27, 32, v30
	v_mbcnt_lo_u32_b32 v26, v28, 0
	v_cmp_ne_u32_e64 s13, 0, v28
	s_delay_alu instid0(VALU_DEP_2) | instskip(SKIP_1) | instid1(SALU_CYCLE_1)
	v_cmp_eq_u32_e64 s12, 0, v26
	s_and_b32 s13, s13, s12
	s_and_saveexec_b32 s12, s13
	s_cbranch_execz .LBB596_329
; %bb.328:                              ;   in Loop: Header=BB596_325 Depth=1
	s_wait_dscnt 0x0
	v_bcnt_u32_b32 v28, v28, v25
	ds_store_b32 v27, v28
.LBB596_329:                            ;   in Loop: Header=BB596_325 Depth=1
	s_or_b32 exec_lo, exec_lo, s12
	; wave barrier
	s_wait_dscnt 0x0
	s_barrier_signal -1
	s_barrier_wait -1
	ds_load_b32 v29, v15
	ds_load_b32 v30, v23
	;; [unrolled: 1-line block ×8, first 2 shown]
	s_wait_dscnt 0x6
	v_add_nc_u32_e32 v68, v30, v29
	s_wait_dscnt 0x4
	s_delay_alu instid0(VALU_DEP_1) | instskip(SKIP_1) | instid1(VALU_DEP_1)
	v_add3_u32 v68, v68, v31, v32
	s_wait_dscnt 0x2
	v_add3_u32 v68, v68, v33, v66
	s_wait_dscnt 0x0
	s_delay_alu instid0(VALU_DEP_1) | instskip(NEXT) | instid1(VALU_DEP_1)
	v_add3_u32 v67, v68, v28, v67
	v_mov_b32_dpp v68, v67 row_shr:1 row_mask:0xf bank_mask:0xf
	s_delay_alu instid0(VALU_DEP_1) | instskip(NEXT) | instid1(VALU_DEP_1)
	v_cndmask_b32_e64 v68, v68, 0, vcc_lo
	v_add_nc_u32_e32 v67, v68, v67
	s_delay_alu instid0(VALU_DEP_1) | instskip(NEXT) | instid1(VALU_DEP_1)
	v_mov_b32_dpp v68, v67 row_shr:2 row_mask:0xf bank_mask:0xf
	v_cndmask_b32_e64 v68, 0, v68, s0
	s_delay_alu instid0(VALU_DEP_1) | instskip(NEXT) | instid1(VALU_DEP_1)
	v_add_nc_u32_e32 v67, v67, v68
	v_mov_b32_dpp v68, v67 row_shr:4 row_mask:0xf bank_mask:0xf
	s_delay_alu instid0(VALU_DEP_1) | instskip(NEXT) | instid1(VALU_DEP_1)
	v_cndmask_b32_e64 v68, 0, v68, s1
	v_add_nc_u32_e32 v67, v67, v68
	s_delay_alu instid0(VALU_DEP_1) | instskip(NEXT) | instid1(VALU_DEP_1)
	v_mov_b32_dpp v68, v67 row_shr:8 row_mask:0xf bank_mask:0xf
	v_cndmask_b32_e64 v68, 0, v68, s3
	s_delay_alu instid0(VALU_DEP_1) | instskip(SKIP_3) | instid1(VALU_DEP_1)
	v_add_nc_u32_e32 v67, v67, v68
	ds_swizzle_b32 v68, v67 offset:swizzle(BROADCAST,32,15)
	s_wait_dscnt 0x0
	v_cndmask_b32_e64 v68, v68, 0, s4
	v_add_nc_u32_e32 v67, v67, v68
	s_and_saveexec_b32 s12, s5
; %bb.330:                              ;   in Loop: Header=BB596_325 Depth=1
	ds_store_b32 v51, v67
; %bb.331:                              ;   in Loop: Header=BB596_325 Depth=1
	s_or_b32 exec_lo, exec_lo, s12
	s_wait_dscnt 0x0
	s_barrier_signal -1
	s_barrier_wait -1
	s_and_saveexec_b32 s12, s6
	s_cbranch_execz .LBB596_333
; %bb.332:                              ;   in Loop: Header=BB596_325 Depth=1
	ds_load_b32 v68, v4
	s_wait_dscnt 0x0
	v_mov_b32_dpp v69, v68 row_shr:1 row_mask:0xf bank_mask:0xf
	s_delay_alu instid0(VALU_DEP_1) | instskip(NEXT) | instid1(VALU_DEP_1)
	v_cndmask_b32_e64 v69, v69, 0, s9
	v_add_nc_u32_e32 v68, v69, v68
	s_delay_alu instid0(VALU_DEP_1) | instskip(NEXT) | instid1(VALU_DEP_1)
	v_mov_b32_dpp v69, v68 row_shr:2 row_mask:0xf bank_mask:0xf
	v_cndmask_b32_e64 v69, 0, v69, s10
	s_delay_alu instid0(VALU_DEP_1) | instskip(NEXT) | instid1(VALU_DEP_1)
	v_add_nc_u32_e32 v68, v68, v69
	v_mov_b32_dpp v69, v68 row_shr:4 row_mask:0xf bank_mask:0xf
	s_delay_alu instid0(VALU_DEP_1) | instskip(NEXT) | instid1(VALU_DEP_1)
	v_cndmask_b32_e64 v69, 0, v69, s11
	v_add_nc_u32_e32 v68, v68, v69
	ds_store_b32 v4, v68
.LBB596_333:                            ;   in Loop: Header=BB596_325 Depth=1
	s_or_b32 exec_lo, exec_lo, s12
	v_mov_b32_e32 v68, 0
	s_wait_dscnt 0x0
	s_barrier_signal -1
	s_barrier_wait -1
	s_and_saveexec_b32 s12, s7
; %bb.334:                              ;   in Loop: Header=BB596_325 Depth=1
	ds_load_b32 v68, v52
; %bb.335:                              ;   in Loop: Header=BB596_325 Depth=1
	s_or_b32 exec_lo, exec_lo, s12
	s_wait_dscnt 0x0
	v_add_nc_u32_e32 v67, v68, v67
	s_mov_b32 s14, -1
	s_mov_b32 s13, exec_lo
	v_add_nc_u32_e32 v10, 8, v10
	ds_bpermute_b32 v67, v49, v67
	s_wait_dscnt 0x0
	v_cndmask_b32_e64 v67, v67, v68, s2
	s_delay_alu instid0(VALU_DEP_1) | instskip(NEXT) | instid1(VALU_DEP_1)
	v_cndmask_b32_e64 v67, v67, 0, s8
	v_add_nc_u32_e32 v29, v67, v29
	s_delay_alu instid0(VALU_DEP_1) | instskip(NEXT) | instid1(VALU_DEP_1)
	v_add_nc_u32_e32 v30, v29, v30
	v_add_nc_u32_e32 v31, v30, v31
	s_delay_alu instid0(VALU_DEP_1) | instskip(NEXT) | instid1(VALU_DEP_1)
	v_add_nc_u32_e32 v32, v31, v32
	v_add_nc_u32_e32 v33, v32, v33
	s_delay_alu instid0(VALU_DEP_1)
	v_add_nc_u32_e32 v66, v33, v66
	ds_store_b32 v15, v67
	ds_store_b32 v23, v29
	;; [unrolled: 1-line block ×3, first 2 shown]
	v_add_nc_u32_e32 v28, v66, v28
	ds_store_b32 v35, v31
	ds_store_b32 v36, v32
	;; [unrolled: 1-line block ×5, first 2 shown]
	s_wait_dscnt 0x0
	s_barrier_signal -1
	s_barrier_wait -1
	ds_load_b32 v24, v24
	ds_load_b32 v27, v27
	v_mov_b32_e32 v29, v1
	s_wait_dscnt 0x0
	v_add_nc_u32_e32 v0, v24, v0
	v_add3_u32 v28, v26, v25, v27
                                        ; implicit-def: $vgpr26_vgpr27
                                        ; implicit-def: $vgpr24_vgpr25
	s_delay_alu instid0(VALU_DEP_2) | instskip(NEXT) | instid1(VALU_DEP_2)
	v_lshl_add_u64 v[32:33], v[0:1], 2, v[12:13]
	v_lshl_add_u64 v[30:31], v[28:29], 2, v[12:13]
                                        ; implicit-def: $vgpr29
                                        ; implicit-def: $vgpr31
	v_cmpx_lt_u32_e64 v10, v11
	s_cbranch_execz .LBB596_324
; %bb.336:                              ;   in Loop: Header=BB596_325 Depth=1
	s_delay_alu instid0(VALU_DEP_3) | instskip(NEXT) | instid1(VALU_DEP_3)
	v_lshl_add_u32 v24, v0, 2, v32
	v_lshl_add_u32 v25, v28, 2, v30
	s_barrier_signal -1
	s_barrier_wait -1
	ds_store_b32 v32, v64
	ds_store_b32 v30, v65
	s_wait_dscnt 0x0
	s_barrier_signal -1
	s_barrier_wait -1
	ds_load_b32 v31, v50
	ds_load_b32 v29, v53
	s_wait_dscnt 0x0
	s_barrier_signal -1
	s_barrier_wait -1
	ds_store_b64 v24, v[20:21]
	ds_store_b64 v25, v[18:19]
	s_wait_dscnt 0x0
	s_barrier_signal -1
	s_barrier_wait -1
	ds_load_b64 v[24:25], v5
	ds_load_b64 v[26:27], v54
	v_add_nc_u32_e32 v55, -8, v55
	s_xor_b32 s14, exec_lo, -1
	s_wait_dscnt 0x0
	s_barrier_signal -1
	s_barrier_wait -1
	s_branch .LBB596_324
.LBB596_337:
	flat_load_b64 v[28:29], v[0:1]
	s_wait_xcnt 0x0
	s_or_b32 exec_lo, exec_lo, s3
                                        ; implicit-def: $vgpr30_vgpr31
	s_and_saveexec_b32 s3, s0
	s_cbranch_execz .LBB596_264
.LBB596_338:
	flat_load_b64 v[30:31], v[0:1] offset:256
	s_wait_xcnt 0x0
	s_or_b32 exec_lo, exec_lo, s3
                                        ; implicit-def: $vgpr32_vgpr33
	s_and_saveexec_b32 s0, s1
	s_cbranch_execz .LBB596_265
.LBB596_339:
	flat_load_b64 v[32:33], v[0:1] offset:512
	s_wait_xcnt 0x0
	s_or_b32 exec_lo, exec_lo, s0
                                        ; implicit-def: $vgpr34_vgpr35
	s_and_saveexec_b32 s0, s2
	s_cbranch_execnz .LBB596_266
	s_branch .LBB596_267
.LBB596_340:
	flat_store_b64 v[0:1], v[14:15]
	s_wait_xcnt 0x0
	s_or_b32 exec_lo, exec_lo, s3
	s_and_saveexec_b32 s3, s0
	s_cbranch_execz .LBB596_309
.LBB596_341:
	flat_store_b64 v[0:1], v[16:17] offset:2048
	s_wait_xcnt 0x0
	s_or_b32 exec_lo, exec_lo, s3
	s_and_saveexec_b32 s0, s1
	s_cbranch_execz .LBB596_310
.LBB596_342:
	flat_store_b64 v[0:1], v[10:11] offset:4096
	s_wait_xcnt 0x0
	s_or_b32 exec_lo, exec_lo, s0
	s_and_saveexec_b32 s0, s2
	s_cbranch_execnz .LBB596_311
	s_branch .LBB596_312
.LBB596_343:
	s_or_b32 exec_lo, exec_lo, s21
	v_lshl_add_u32 v0, v0, 2, v32
	v_lshl_add_u32 v1, v28, 2, v30
	s_barrier_signal -1
	s_barrier_wait -1
	ds_store_b32 v32, v64
	ds_store_b32 v30, v65
	s_wait_dscnt 0x0
	s_barrier_signal -1
	s_barrier_wait -1
	ds_load_2addr_stride64_b32 v[4:5], v4 offset1:4
	s_wait_dscnt 0x0
	s_barrier_signal -1
	s_barrier_wait -1
	ds_store_b64 v0, v[20:21]
	ds_store_b64 v1, v[18:19]
	v_lshl_add_u32 v0, v22, 3, v12
	s_wait_dscnt 0x0
	s_barrier_signal -1
	s_barrier_wait -1
	ds_load_2addr_stride64_b64 v[10:13], v0 offset1:4
	v_lshl_add_u64 v[0:1], v[8:9], 2, v[2:3]
	v_mov_b32_e32 v15, 0
	s_set_vgpr_msb 4                        ;  msbs: dst=0 src0=0 src1=1 src2=0
	v_cmp_lt_u32_e32 vcc_lo, v14, v2 /*v258*/
	s_wait_dscnt 0x0
	s_barrier_signal -1
	s_barrier_wait -1
	v_lshl_add_u64 v[0:1], v[14:15], 2, v[0:1]
	s_and_saveexec_b32 s0, vcc_lo
	s_set_vgpr_msb 0                        ;  msbs: dst=0 src0=0 src1=0 src2=0
	s_cbranch_execz .LBB596_345
; %bb.344:
	v_xor_b32_e32 v2, 0x80000000, v4
	flat_store_b32 v[0:1], v2
.LBB596_345:
	s_wait_xcnt 0x0
	s_or_b32 exec_lo, exec_lo, s0
	v_add_nc_u32_e32 v2, 0x100, v14
	s_set_vgpr_msb 4                        ;  msbs: dst=0 src0=0 src1=1 src2=0
	s_delay_alu instid0(VALU_DEP_1)
	v_cmp_lt_u32_e64 s0, v2, v2 /*v258*/
	s_and_saveexec_b32 s1, s0
	s_set_vgpr_msb 0                        ;  msbs: dst=0 src0=0 src1=0 src2=0
	s_cbranch_execz .LBB596_347
; %bb.346:
	v_xor_b32_e32 v2, 0x80000000, v5
	flat_store_b32 v[0:1], v2 offset:1024
.LBB596_347:
	s_wait_xcnt 0x0
	s_or_b32 exec_lo, exec_lo, s1
	v_lshl_add_u64 v[0:1], v[8:9], 3, v[6:7]
	s_delay_alu instid0(VALU_DEP_1)
	v_lshl_add_u64 v[0:1], v[14:15], 3, v[0:1]
	s_and_saveexec_b32 s1, vcc_lo
	s_cbranch_execz .LBB596_349
; %bb.348:
	flat_store_b64 v[0:1], v[10:11]
.LBB596_349:
	s_wait_xcnt 0x0
	s_or_b32 exec_lo, exec_lo, s1
	s_and_saveexec_b32 s1, s0
	s_cbranch_execz .LBB596_351
; %bb.350:
	flat_store_b64 v[0:1], v[12:13] offset:2048
.LBB596_351:
	s_wait_xcnt 0x0
	s_or_b32 exec_lo, exec_lo, s1
                                        ; implicit-def: $vgpr14
                                        ; implicit-def: $vgpr8_vgpr9
                                        ; implicit-def: $vgpr258
                                        ; implicit-def: $vgpr10
                                        ; implicit-def: $vgpr11
                                        ; implicit-def: $vgpr0_vgpr1
                                        ; implicit-def: $vgpr2_vgpr3
                                        ; implicit-def: $vgpr4_vgpr5
                                        ; implicit-def: $vgpr6_vgpr7
                                        ; implicit-def: $vgpr12_vgpr13
                                        ; implicit-def: $vgpr22
                                        ; implicit-def: $vgpr98
.LBB596_352:
	s_and_not1_saveexec_b32 s0, s18
	s_cbranch_execz .LBB596_372
; %bb.353:
	s_delay_alu instid0(VALU_DEP_3) | instskip(NEXT) | instid1(VALU_DEP_1)
	v_and_b32_e32 v18, 0xffffffe0, v14
	v_dual_mov_b32 v21, -1 :: v_dual_bitop2_b32 v15, v98, v18 bitop3:0x54
	s_set_vgpr_msb 4                        ;  msbs: dst=0 src0=0 src1=1 src2=0
	s_delay_alu instid0(VALU_DEP_1)
	v_cmp_lt_u32_e32 vcc_lo, v15, v2 /*v258*/
	s_and_saveexec_b32 s0, vcc_lo
	s_set_vgpr_msb 0                        ;  msbs: dst=0 src0=0 src1=0 src2=0
	s_cbranch_execz .LBB596_355
; %bb.354:
	v_lshl_add_u64 v[0:1], v[8:9], 2, v[0:1]
	v_dual_mov_b32 v17, 0 :: v_dual_lshlrev_b32 v16, 2, v98
	s_delay_alu instid0(VALU_DEP_1) | instskip(SKIP_1) | instid1(VALU_DEP_1)
	v_add_nc_u64_e32 v[0:1], v[0:1], v[16:17]
	v_mov_b32_e32 v19, v17
	v_lshl_add_u64 v[0:1], v[18:19], 2, v[0:1]
	flat_load_b32 v0, v[0:1]
	s_wait_loadcnt_dscnt 0x0
	v_xor_b32_e32 v21, 0x80000000, v0
.LBB596_355:
	s_wait_xcnt 0x0
	s_or_b32 exec_lo, exec_lo, s0
                                        ; implicit-def: $vgpr16_vgpr17
	s_and_saveexec_b32 s0, vcc_lo
	s_cbranch_execz .LBB596_357
; %bb.356:
	v_lshl_add_u64 v[0:1], v[8:9], 3, v[4:5]
	v_dual_mov_b32 v5, 0 :: v_dual_lshlrev_b32 v4, 3, v98
	s_delay_alu instid0(VALU_DEP_1) | instskip(SKIP_1) | instid1(VALU_DEP_1)
	v_add_nc_u64_e32 v[0:1], v[0:1], v[4:5]
	v_mov_b32_e32 v19, v5
	v_lshl_add_u64 v[0:1], v[18:19], 3, v[0:1]
	flat_load_b64 v[16:17], v[0:1]
.LBB596_357:
	s_wait_xcnt 0x0
	s_or_b32 exec_lo, exec_lo, s0
	v_lshl_add_u32 v0, v22, 5, v12
	v_and_b32_e32 v1, 0x3e0, v22
	v_and_b32_e32 v4, 15, v98
	v_sub_co_u32 v18, s2, v98, 1
	s_delay_alu instid0(VALU_DEP_4)
	v_dual_add_nc_u32 v15, 32, v0 :: v_dual_add_nc_u32 v23, 36, v0
	v_dual_add_nc_u32 v26, 40, v0 :: v_dual_add_nc_u32 v27, 44, v0
	;; [unrolled: 1-line block ×4, first 2 shown]
	v_lshrrev_b32_e32 v32, 5, v14
	v_min_u32_e32 v0, 0xe0, v1
	v_cmp_gt_i32_e64 s6, 0, v18
	v_or_b32_e32 v1, v98, v1
	s_get_pc_i64 s[0:1]
	s_add_nc_u64 s[0:1], s[0:1], _ZN7rocprim17ROCPRIM_400000_NS16block_radix_sortIiLj256ELj1ElLj1ELj1ELj8ELNS0_26block_radix_rank_algorithmE2ELNS0_18block_padding_hintE2ELNS0_4arch9wavefront6targetE0EE19radix_bits_per_passE@rel64+4
	v_cmp_eq_u32_e32 vcc_lo, 0, v4
	v_or_b32_e32 v0, 31, v0
	s_load_b32 s18, s[0:1], 0x0
	s_wait_xcnt 0x0
	v_cmp_lt_u32_e64 s0, 1, v4
	v_cmp_lt_u32_e64 s1, 3, v4
	v_and_b32_e32 v5, 16, v98
	v_cmp_lt_u32_e64 s3, 7, v4
	v_dual_cndmask_b32 v4, v18, v98, s6 :: v_dual_lshlrev_b32 v18, 2, v1
	v_cmp_eq_u32_e64 s5, v22, v0
	v_lshrrev_b32_e32 v0, 3, v22
	v_cmp_eq_u32_e64 s4, 0, v5
	s_delay_alu instid0(VALU_DEP_4) | instskip(SKIP_1) | instid1(VALU_DEP_4)
	v_dual_lshlrev_b32 v34, 2, v4 :: v_dual_bitop2_b32 v4, 7, v98 bitop3:0x40
	v_mov_b32_e32 v1, 0
	v_and_b32_e32 v0, 0x7c, v0
	v_cmp_gt_u32_e64 s6, 8, v22
	v_cmp_lt_u32_e64 s7, 31, v22
	v_cmp_eq_u32_e64 s9, 0, v4
	v_cmp_lt_u32_e64 s10, 1, v4
	v_dual_add_nc_u32 v35, v12, v0 :: v_dual_add_nc_u32 v36, v12, v18
	v_cmp_lt_u32_e64 s11, 3, v4
	v_mov_b64_e32 v[4:5], 0
	v_cmp_eq_u32_e64 s8, 0, v22
	v_lshl_add_u32 v33, v22, 2, v12
	v_dual_add_nc_u32 v37, -4, v35 :: v_dual_add_nc_u32 v38, v36, v18
	v_sub_nc_u32_e32 v39, v11, v10
	s_mov_b32 s20, 0
	s_wait_storecnt 0x0
	s_wait_loadcnt_dscnt 0x0
	s_barrier_signal -1
	s_barrier_wait -1
	s_branch .LBB596_359
.LBB596_358:                            ;   in Loop: Header=BB596_359 Depth=1
	s_or_b32 exec_lo, exec_lo, s13
	s_delay_alu instid0(SALU_CYCLE_1) | instskip(NEXT) | instid1(SALU_CYCLE_1)
	s_and_b32 s12, exec_lo, s14
	s_or_b32 s20, s12, s20
	s_delay_alu instid0(SALU_CYCLE_1)
	s_and_not1_b32 exec_lo, exec_lo, s20
	s_cbranch_execz .LBB596_369
.LBB596_359:                            ; =>This Inner Loop Header: Depth=1
	s_wait_kmcnt 0x0
	v_min_u32_e32 v0, s18, v39
	v_mov_b32_e32 v48, v21
	ds_store_b64 v15, v[4:5]
	ds_store_b64 v26, v[4:5]
	;; [unrolled: 1-line block ×4, first 2 shown]
	s_wait_dscnt 0x0
	v_lshlrev_b32_e64 v0, v0, -1
	v_lshrrev_b32_e32 v18, v10, v48
	s_barrier_signal -1
	s_barrier_wait -1
	s_delay_alu instid0(VALU_DEP_1) | instskip(SKIP_1) | instid1(VALU_DEP_2)
	v_bitop3_b32 v19, v18, 1, v0 bitop3:0x40
	v_bitop3_b32 v0, v18, v0, v18 bitop3:0x30
	; wave barrier
	v_add_co_u32 v18, s12, v19, -1
	s_delay_alu instid0(VALU_DEP_1) | instskip(NEXT) | instid1(VALU_DEP_3)
	v_cndmask_b32_e64 v19, 0, 1, s12
	v_dual_lshlrev_b32 v20, 30, v0 :: v_dual_lshlrev_b32 v21, 29, v0
	v_dual_lshlrev_b32 v24, 28, v0 :: v_dual_lshlrev_b32 v25, 27, v0
	v_lshlrev_b32_e32 v49, 26, v0
	s_delay_alu instid0(VALU_DEP_4) | instskip(NEXT) | instid1(VALU_DEP_4)
	v_cmp_ne_u32_e64 s12, 0, v19
	v_not_b32_e32 v19, v20
	v_cmp_gt_i32_e64 s13, 0, v20
	v_cmp_gt_i32_e64 s14, 0, v21
	v_not_b32_e32 v20, v21
	v_not_b32_e32 v21, v24
	v_dual_ashrrev_i32 v19, 31, v19 :: v_dual_lshlrev_b32 v50, 25, v0
	v_lshlrev_b32_e32 v51, 24, v0
	v_cmp_gt_i32_e64 s15, 0, v24
	v_cmp_gt_i32_e64 s16, 0, v25
	v_not_b32_e32 v24, v25
	v_dual_ashrrev_i32 v20, 31, v20 :: v_dual_bitop2_b32 v18, s12, v18 bitop3:0x14
	v_dual_ashrrev_i32 v21, 31, v21 :: v_dual_bitop2_b32 v19, s13, v19 bitop3:0x14
	v_not_b32_e32 v25, v49
	v_cmp_gt_i32_e64 s17, 0, v49
	s_delay_alu instid0(VALU_DEP_3) | instskip(NEXT) | instid1(VALU_DEP_3)
	v_dual_ashrrev_i32 v24, 31, v24 :: v_dual_bitop2_b32 v21, s15, v21 bitop3:0x14
	v_dual_ashrrev_i32 v25, 31, v25 :: v_dual_bitop2_b32 v20, s14, v20 bitop3:0x14
	v_bitop3_b32 v18, v18, v19, exec_lo bitop3:0x80
	v_not_b32_e32 v19, v50
	v_not_b32_e32 v49, v51
	v_xor_b32_e32 v24, s16, v24
	v_cmp_gt_i32_e64 s12, 0, v50
	v_bitop3_b32 v18, v18, v21, v20 bitop3:0x80
	v_ashrrev_i32_e32 v19, 31, v19
	v_cmp_gt_i32_e64 s13, 0, v51
	v_ashrrev_i32_e32 v20, 31, v49
	v_xor_b32_e32 v21, s17, v25
	v_lshl_add_u32 v0, v0, 3, v32
	v_xor_b32_e32 v19, s12, v19
	s_delay_alu instid0(VALU_DEP_4) | instskip(NEXT) | instid1(VALU_DEP_4)
	v_xor_b32_e32 v20, s13, v20
	v_bitop3_b32 v18, v18, v21, v24 bitop3:0x80
	s_delay_alu instid0(VALU_DEP_1) | instskip(SKIP_2) | instid1(VALU_DEP_3)
	v_bitop3_b32 v20, v18, v20, v19 bitop3:0x80
	v_mov_b64_e32 v[18:19], v[16:17]
	v_lshl_add_u64 v[16:17], v[0:1], 2, v[12:13]
	v_mbcnt_lo_u32_b32 v0, v20, 0
	v_cmp_ne_u32_e64 s13, 0, v20
	s_delay_alu instid0(VALU_DEP_3) | instskip(NEXT) | instid1(VALU_DEP_3)
	v_add_nc_u64_e32 v[16:17], 32, v[16:17]
	v_cmp_eq_u32_e64 s12, 0, v0
	s_and_b32 s13, s13, s12
	s_delay_alu instid0(SALU_CYCLE_1)
	s_and_saveexec_b32 s12, s13
; %bb.360:                              ;   in Loop: Header=BB596_359 Depth=1
	v_bcnt_u32_b32 v17, v20, 0
	ds_store_b32 v16, v17
; %bb.361:                              ;   in Loop: Header=BB596_359 Depth=1
	s_or_b32 exec_lo, exec_lo, s12
	; wave barrier
	s_wait_dscnt 0x0
	s_barrier_signal -1
	s_barrier_wait -1
	ds_load_b32 v20, v15
	ds_load_b32 v21, v23
	;; [unrolled: 1-line block ×8, first 2 shown]
	s_wait_dscnt 0x6
	v_add_nc_u32_e32 v52, v21, v20
	s_wait_dscnt 0x4
	s_delay_alu instid0(VALU_DEP_1) | instskip(SKIP_1) | instid1(VALU_DEP_1)
	v_add3_u32 v52, v52, v24, v25
	s_wait_dscnt 0x2
	v_add3_u32 v52, v52, v49, v50
	s_wait_dscnt 0x0
	s_delay_alu instid0(VALU_DEP_1) | instskip(NEXT) | instid1(VALU_DEP_1)
	v_add3_u32 v51, v52, v17, v51
	v_mov_b32_dpp v52, v51 row_shr:1 row_mask:0xf bank_mask:0xf
	s_delay_alu instid0(VALU_DEP_1) | instskip(NEXT) | instid1(VALU_DEP_1)
	v_cndmask_b32_e64 v52, v52, 0, vcc_lo
	v_add_nc_u32_e32 v51, v52, v51
	s_delay_alu instid0(VALU_DEP_1) | instskip(NEXT) | instid1(VALU_DEP_1)
	v_mov_b32_dpp v52, v51 row_shr:2 row_mask:0xf bank_mask:0xf
	v_cndmask_b32_e64 v52, 0, v52, s0
	s_delay_alu instid0(VALU_DEP_1) | instskip(NEXT) | instid1(VALU_DEP_1)
	v_add_nc_u32_e32 v51, v51, v52
	v_mov_b32_dpp v52, v51 row_shr:4 row_mask:0xf bank_mask:0xf
	s_delay_alu instid0(VALU_DEP_1) | instskip(NEXT) | instid1(VALU_DEP_1)
	v_cndmask_b32_e64 v52, 0, v52, s1
	v_add_nc_u32_e32 v51, v51, v52
	s_delay_alu instid0(VALU_DEP_1) | instskip(NEXT) | instid1(VALU_DEP_1)
	v_mov_b32_dpp v52, v51 row_shr:8 row_mask:0xf bank_mask:0xf
	v_cndmask_b32_e64 v52, 0, v52, s3
	s_delay_alu instid0(VALU_DEP_1) | instskip(SKIP_3) | instid1(VALU_DEP_1)
	v_add_nc_u32_e32 v51, v51, v52
	ds_swizzle_b32 v52, v51 offset:swizzle(BROADCAST,32,15)
	s_wait_dscnt 0x0
	v_cndmask_b32_e64 v52, v52, 0, s4
	v_add_nc_u32_e32 v51, v51, v52
	s_and_saveexec_b32 s12, s5
; %bb.362:                              ;   in Loop: Header=BB596_359 Depth=1
	ds_store_b32 v35, v51
; %bb.363:                              ;   in Loop: Header=BB596_359 Depth=1
	s_or_b32 exec_lo, exec_lo, s12
	s_wait_dscnt 0x0
	s_barrier_signal -1
	s_barrier_wait -1
	s_and_saveexec_b32 s12, s6
	s_cbranch_execz .LBB596_365
; %bb.364:                              ;   in Loop: Header=BB596_359 Depth=1
	ds_load_b32 v52, v33
	s_wait_dscnt 0x0
	v_mov_b32_dpp v53, v52 row_shr:1 row_mask:0xf bank_mask:0xf
	s_delay_alu instid0(VALU_DEP_1) | instskip(NEXT) | instid1(VALU_DEP_1)
	v_cndmask_b32_e64 v53, v53, 0, s9
	v_add_nc_u32_e32 v52, v53, v52
	s_delay_alu instid0(VALU_DEP_1) | instskip(NEXT) | instid1(VALU_DEP_1)
	v_mov_b32_dpp v53, v52 row_shr:2 row_mask:0xf bank_mask:0xf
	v_cndmask_b32_e64 v53, 0, v53, s10
	s_delay_alu instid0(VALU_DEP_1) | instskip(NEXT) | instid1(VALU_DEP_1)
	v_add_nc_u32_e32 v52, v52, v53
	v_mov_b32_dpp v53, v52 row_shr:4 row_mask:0xf bank_mask:0xf
	s_delay_alu instid0(VALU_DEP_1) | instskip(NEXT) | instid1(VALU_DEP_1)
	v_cndmask_b32_e64 v53, 0, v53, s11
	v_add_nc_u32_e32 v52, v52, v53
	ds_store_b32 v33, v52
.LBB596_365:                            ;   in Loop: Header=BB596_359 Depth=1
	s_or_b32 exec_lo, exec_lo, s12
	v_mov_b32_e32 v52, 0
	s_wait_dscnt 0x0
	s_barrier_signal -1
	s_barrier_wait -1
	s_and_saveexec_b32 s12, s7
; %bb.366:                              ;   in Loop: Header=BB596_359 Depth=1
	ds_load_b32 v52, v37
; %bb.367:                              ;   in Loop: Header=BB596_359 Depth=1
	s_or_b32 exec_lo, exec_lo, s12
	s_wait_dscnt 0x0
	v_add_nc_u32_e32 v51, v52, v51
	s_mov_b32 s14, -1
	s_mov_b32 s13, exec_lo
	v_add_nc_u32_e32 v10, 8, v10
	ds_bpermute_b32 v51, v34, v51
	s_wait_dscnt 0x0
	v_cndmask_b32_e64 v51, v51, v52, s2
	s_delay_alu instid0(VALU_DEP_1) | instskip(NEXT) | instid1(VALU_DEP_1)
	v_cndmask_b32_e64 v51, v51, 0, s8
	v_add_nc_u32_e32 v20, v51, v20
	s_delay_alu instid0(VALU_DEP_1) | instskip(NEXT) | instid1(VALU_DEP_1)
	v_add_nc_u32_e32 v21, v20, v21
	v_add_nc_u32_e32 v24, v21, v24
	s_delay_alu instid0(VALU_DEP_1) | instskip(SKIP_4) | instid1(VALU_DEP_1)
	v_add_nc_u32_e32 v25, v24, v25
	ds_store_b32 v15, v51
	ds_store_b32 v23, v20
	;; [unrolled: 1-line block ×3, first 2 shown]
	v_add_nc_u32_e32 v49, v25, v49
	v_add_nc_u32_e32 v50, v49, v50
	s_delay_alu instid0(VALU_DEP_1)
	v_add_nc_u32_e32 v17, v50, v17
	ds_store_b32 v27, v24
	ds_store_b32 v28, v25
	;; [unrolled: 1-line block ×5, first 2 shown]
	s_wait_dscnt 0x0
	s_barrier_signal -1
	s_barrier_wait -1
	ds_load_b32 v16, v16
	s_wait_dscnt 0x0
	v_add_nc_u32_e32 v0, v16, v0
	s_delay_alu instid0(VALU_DEP_1) | instskip(NEXT) | instid1(VALU_DEP_1)
	v_lshlrev_b64_e32 v[16:17], 2, v[0:1]
	v_add_nc_u64_e32 v[24:25], v[12:13], v[16:17]
	s_delay_alu instid0(VALU_DEP_1)
	v_add_nc_u64_e32 v[20:21], v[24:25], v[16:17]
                                        ; implicit-def: $vgpr16_vgpr17
                                        ; implicit-def: $vgpr21
	v_cmpx_lt_u32_e64 v10, v11
	s_cbranch_execz .LBB596_358
; %bb.368:                              ;   in Loop: Header=BB596_359 Depth=1
	s_barrier_signal -1
	s_barrier_wait -1
	ds_store_b32 v24, v48
	s_wait_dscnt 0x0
	s_barrier_signal -1
	s_barrier_wait -1
	ds_load_b32 v21, v36
	s_wait_dscnt 0x0
	s_barrier_signal -1
	s_barrier_wait -1
	ds_store_b64 v20, v[18:19]
	s_wait_dscnt 0x0
	s_barrier_signal -1
	s_barrier_wait -1
	ds_load_b64 v[16:17], v38
	v_add_nc_u32_e32 v39, -8, v39
	s_xor_b32 s14, exec_lo, -1
	s_wait_dscnt 0x0
	s_barrier_signal -1
	s_barrier_wait -1
	s_branch .LBB596_358
.LBB596_369:
	s_or_b32 exec_lo, exec_lo, s20
	v_lshl_add_u32 v0, v22, 3, v12
	s_barrier_signal -1
	s_barrier_wait -1
	ds_store_b32 v24, v48
	s_wait_dscnt 0x0
	s_barrier_signal -1
	s_barrier_wait -1
	ds_load_b32 v4, v33
	s_wait_dscnt 0x0
	s_barrier_signal -1
	s_barrier_wait -1
	ds_store_b64 v20, v[18:19]
	s_wait_dscnt 0x0
	s_barrier_signal -1
	s_barrier_wait -1
	ds_load_b64 v[0:1], v0
	s_mov_b32 s0, exec_lo
	s_wait_dscnt 0x0
	s_barrier_signal -1
	s_barrier_wait -1
	s_set_vgpr_msb 4                        ;  msbs: dst=0 src0=0 src1=1 src2=0
	v_cmpx_lt_u32_e64 v14, v2 /*v258*/
	s_set_vgpr_msb 0                        ;  msbs: dst=0 src0=0 src1=0 src2=0
	s_cbranch_execz .LBB596_371
; %bb.370:
	v_lshl_add_u64 v[2:3], v[8:9], 2, v[2:3]
	v_mov_b32_e32 v15, 0
	v_lshl_add_u64 v[6:7], v[8:9], 3, v[6:7]
	v_xor_b32_e32 v8, 0x80000000, v4
	s_delay_alu instid0(VALU_DEP_3) | instskip(NEXT) | instid1(VALU_DEP_3)
	v_lshl_add_u64 v[2:3], v[14:15], 2, v[2:3]
	v_lshl_add_u64 v[4:5], v[14:15], 3, v[6:7]
	flat_store_b32 v[2:3], v8
	flat_store_b64 v[4:5], v[0:1]
.LBB596_371:
	s_wait_xcnt 0x0
	s_or_b32 exec_lo, exec_lo, s0
.LBB596_372:
	s_delay_alu instid0(SALU_CYCLE_1)
	s_or_b32 exec_lo, exec_lo, s19
	s_wait_dscnt 0x0
	s_set_pc_i64 s[30:31]
.Lfunc_end596:
	.size	_ZN7rocprim17ROCPRIM_400000_NS6detail40segmented_radix_sort_single_block_helperIilLj256ELj16ELb0EE4sortIPKiPiPKlPlEEbT_T0_T1_T2_jjjjRNS3_12storage_typeE, .Lfunc_end596-_ZN7rocprim17ROCPRIM_400000_NS6detail40segmented_radix_sort_single_block_helperIilLj256ELj16ELb0EE4sortIPKiPiPKlPlEEbT_T0_T1_T2_jjjjRNS3_12storage_typeE
                                        ; -- End function
	.set .L_ZN7rocprim17ROCPRIM_400000_NS6detail40segmented_radix_sort_single_block_helperIilLj256ELj16ELb0EE4sortIPKiPiPKlPlEEbT_T0_T1_T2_jjjjRNS3_12storage_typeE.num_vgpr, 287
	.set .L_ZN7rocprim17ROCPRIM_400000_NS6detail40segmented_radix_sort_single_block_helperIilLj256ELj16ELb0EE4sortIPKiPiPKlPlEEbT_T0_T1_T2_jjjjRNS3_12storage_typeE.num_agpr, 0
	.set .L_ZN7rocprim17ROCPRIM_400000_NS6detail40segmented_radix_sort_single_block_helperIilLj256ELj16ELb0EE4sortIPKiPiPKlPlEEbT_T0_T1_T2_jjjjRNS3_12storage_typeE.numbered_sgpr, 32
	.set .L_ZN7rocprim17ROCPRIM_400000_NS6detail40segmented_radix_sort_single_block_helperIilLj256ELj16ELb0EE4sortIPKiPiPKlPlEEbT_T0_T1_T2_jjjjRNS3_12storage_typeE.num_named_barrier, 0
	.set .L_ZN7rocprim17ROCPRIM_400000_NS6detail40segmented_radix_sort_single_block_helperIilLj256ELj16ELb0EE4sortIPKiPiPKlPlEEbT_T0_T1_T2_jjjjRNS3_12storage_typeE.private_seg_size, 0
	.set .L_ZN7rocprim17ROCPRIM_400000_NS6detail40segmented_radix_sort_single_block_helperIilLj256ELj16ELb0EE4sortIPKiPiPKlPlEEbT_T0_T1_T2_jjjjRNS3_12storage_typeE.uses_vcc, 1
	.set .L_ZN7rocprim17ROCPRIM_400000_NS6detail40segmented_radix_sort_single_block_helperIilLj256ELj16ELb0EE4sortIPKiPiPKlPlEEbT_T0_T1_T2_jjjjRNS3_12storage_typeE.uses_flat_scratch, 0
	.set .L_ZN7rocprim17ROCPRIM_400000_NS6detail40segmented_radix_sort_single_block_helperIilLj256ELj16ELb0EE4sortIPKiPiPKlPlEEbT_T0_T1_T2_jjjjRNS3_12storage_typeE.has_dyn_sized_stack, 0
	.set .L_ZN7rocprim17ROCPRIM_400000_NS6detail40segmented_radix_sort_single_block_helperIilLj256ELj16ELb0EE4sortIPKiPiPKlPlEEbT_T0_T1_T2_jjjjRNS3_12storage_typeE.has_recursion, 0
	.set .L_ZN7rocprim17ROCPRIM_400000_NS6detail40segmented_radix_sort_single_block_helperIilLj256ELj16ELb0EE4sortIPKiPiPKlPlEEbT_T0_T1_T2_jjjjRNS3_12storage_typeE.has_indirect_call, 0
	.section	.AMDGPU.csdata,"",@progbits
; Function info:
; codeLenInByte = 30060
; TotalNumSgprs: 34
; NumVgprs: 287
; ScratchSize: 0
; MemoryBound: 1
	.section	.text._ZN7rocprim17ROCPRIM_400000_NS6detail17trampoline_kernelINS0_14default_configENS1_36segmented_radix_sort_config_selectorIilEEZNS1_25segmented_radix_sort_implIS3_Lb0EPKiPiPKlPlN2at6native12_GLOBAL__N_18offset_tEEE10hipError_tPvRmT1_PNSt15iterator_traitsISK_E10value_typeET2_T3_PNSL_ISQ_E10value_typeET4_jRbjT5_SW_jjP12ihipStream_tbEUlT_E_NS1_11comp_targetILNS1_3genE0ELNS1_11target_archE4294967295ELNS1_3gpuE0ELNS1_3repE0EEENS1_30default_config_static_selectorELNS0_4arch9wavefront6targetE0EEEvSK_,"axG",@progbits,_ZN7rocprim17ROCPRIM_400000_NS6detail17trampoline_kernelINS0_14default_configENS1_36segmented_radix_sort_config_selectorIilEEZNS1_25segmented_radix_sort_implIS3_Lb0EPKiPiPKlPlN2at6native12_GLOBAL__N_18offset_tEEE10hipError_tPvRmT1_PNSt15iterator_traitsISK_E10value_typeET2_T3_PNSL_ISQ_E10value_typeET4_jRbjT5_SW_jjP12ihipStream_tbEUlT_E_NS1_11comp_targetILNS1_3genE0ELNS1_11target_archE4294967295ELNS1_3gpuE0ELNS1_3repE0EEENS1_30default_config_static_selectorELNS0_4arch9wavefront6targetE0EEEvSK_,comdat
	.globl	_ZN7rocprim17ROCPRIM_400000_NS6detail17trampoline_kernelINS0_14default_configENS1_36segmented_radix_sort_config_selectorIilEEZNS1_25segmented_radix_sort_implIS3_Lb0EPKiPiPKlPlN2at6native12_GLOBAL__N_18offset_tEEE10hipError_tPvRmT1_PNSt15iterator_traitsISK_E10value_typeET2_T3_PNSL_ISQ_E10value_typeET4_jRbjT5_SW_jjP12ihipStream_tbEUlT_E_NS1_11comp_targetILNS1_3genE0ELNS1_11target_archE4294967295ELNS1_3gpuE0ELNS1_3repE0EEENS1_30default_config_static_selectorELNS0_4arch9wavefront6targetE0EEEvSK_ ; -- Begin function _ZN7rocprim17ROCPRIM_400000_NS6detail17trampoline_kernelINS0_14default_configENS1_36segmented_radix_sort_config_selectorIilEEZNS1_25segmented_radix_sort_implIS3_Lb0EPKiPiPKlPlN2at6native12_GLOBAL__N_18offset_tEEE10hipError_tPvRmT1_PNSt15iterator_traitsISK_E10value_typeET2_T3_PNSL_ISQ_E10value_typeET4_jRbjT5_SW_jjP12ihipStream_tbEUlT_E_NS1_11comp_targetILNS1_3genE0ELNS1_11target_archE4294967295ELNS1_3gpuE0ELNS1_3repE0EEENS1_30default_config_static_selectorELNS0_4arch9wavefront6targetE0EEEvSK_
	.p2align	8
	.type	_ZN7rocprim17ROCPRIM_400000_NS6detail17trampoline_kernelINS0_14default_configENS1_36segmented_radix_sort_config_selectorIilEEZNS1_25segmented_radix_sort_implIS3_Lb0EPKiPiPKlPlN2at6native12_GLOBAL__N_18offset_tEEE10hipError_tPvRmT1_PNSt15iterator_traitsISK_E10value_typeET2_T3_PNSL_ISQ_E10value_typeET4_jRbjT5_SW_jjP12ihipStream_tbEUlT_E_NS1_11comp_targetILNS1_3genE0ELNS1_11target_archE4294967295ELNS1_3gpuE0ELNS1_3repE0EEENS1_30default_config_static_selectorELNS0_4arch9wavefront6targetE0EEEvSK_,@function
_ZN7rocprim17ROCPRIM_400000_NS6detail17trampoline_kernelINS0_14default_configENS1_36segmented_radix_sort_config_selectorIilEEZNS1_25segmented_radix_sort_implIS3_Lb0EPKiPiPKlPlN2at6native12_GLOBAL__N_18offset_tEEE10hipError_tPvRmT1_PNSt15iterator_traitsISK_E10value_typeET2_T3_PNSL_ISQ_E10value_typeET4_jRbjT5_SW_jjP12ihipStream_tbEUlT_E_NS1_11comp_targetILNS1_3genE0ELNS1_11target_archE4294967295ELNS1_3gpuE0ELNS1_3repE0EEENS1_30default_config_static_selectorELNS0_4arch9wavefront6targetE0EEEvSK_: ; @_ZN7rocprim17ROCPRIM_400000_NS6detail17trampoline_kernelINS0_14default_configENS1_36segmented_radix_sort_config_selectorIilEEZNS1_25segmented_radix_sort_implIS3_Lb0EPKiPiPKlPlN2at6native12_GLOBAL__N_18offset_tEEE10hipError_tPvRmT1_PNSt15iterator_traitsISK_E10value_typeET2_T3_PNSL_ISQ_E10value_typeET4_jRbjT5_SW_jjP12ihipStream_tbEUlT_E_NS1_11comp_targetILNS1_3genE0ELNS1_11target_archE4294967295ELNS1_3gpuE0ELNS1_3repE0EEENS1_30default_config_static_selectorELNS0_4arch9wavefront6targetE0EEEvSK_
; %bb.0:
	s_load_b64 s[8:9], s[2:3], 0x38
	s_bfe_u32 s4, ttmp6, 0x4000c
	s_and_b32 s5, ttmp6, 15
	s_add_co_i32 s4, s4, 1
	s_getreg_b32 s55, hwreg(HW_REG_IB_STS2, 6, 4)
	s_mul_i32 s4, ttmp9, s4
	s_mov_b32 s32, 0
	s_add_co_i32 s5, s5, s4
	s_cmp_eq_u32 s55, 0
	s_cselect_b32 s33, ttmp9, s5
	s_load_b128 s[4:7], s[2:3], 0x40
	s_wait_kmcnt 0x0
	s_load_b32 s10, s[8:9], s33 offset:0x0 scale_offset
	s_wait_kmcnt 0x0
	s_add_co_i32 s51, s10, s7
	s_add_co_i32 s52, s10, s5
	s_mul_i32 s51, s51, s6
	s_mul_i32 s52, s52, s4
	s_delay_alu instid0(SALU_CYCLE_1)
	s_cmp_le_u32 s51, s52
	s_cbranch_scc1 .LBB597_1182
; %bb.1:
	s_clause 0x3
	s_load_b32 s4, s[2:3], 0x30
	s_load_b128 s[44:47], s[2:3], 0x20
	s_load_b96 s[48:50], s[2:3], 0x50
	s_load_b256 s[36:43], s[2:3], 0x0
	s_wait_kmcnt 0x0
	s_bitcmp1_b32 s4, 0
	s_mov_b32 s4, -1
	s_cselect_b32 s53, -1, 0
	s_sub_co_i32 s54, s51, s52
	s_delay_alu instid0(SALU_CYCLE_1)
	s_cmp_lt_u32 s54, 0x1001
	s_cbranch_scc0 .LBB597_7
; %bb.2:
	v_cndmask_b32_e64 v1, 0, 1, s53
	s_and_b32 s4, s48, 1
	s_get_pc_i64 s[24:25]
	s_add_nc_u64 s[24:25], s[24:25], _ZN7rocprim17ROCPRIM_400000_NS6detail40segmented_radix_sort_single_block_helperIilLj256ELj16ELb0EE4sortIPKiPiPKlPlEEbT_T0_T1_T2_jjjjRNS3_12storage_typeE@rel64+4
	s_delay_alu instid0(VALU_DEP_1)
	v_cmp_ne_u32_e32 vcc_lo, s4, v1
	s_mov_b32 s4, -1
	s_cbranch_vccnz .LBB597_4
; %bb.3:
	s_mov_b64 s[4:5], src_shared_base
	v_dual_mov_b32 v31, v0 :: v_dual_mov_b32 v40, v0
	v_dual_mov_b32 v0, s36 :: v_dual_mov_b32 v1, s37
	;; [unrolled: 1-line block ×8, first 2 shown]
	s_add_nc_u64 s[8:9], s[2:3], 0x60
	s_mov_b64 s[6:7], s[0:1]
	s_mov_b64 s[26:27], s[2:3]
	;; [unrolled: 1-line block ×3, first 2 shown]
	s_swap_pc_i64 s[30:31], s[24:25]
	v_mov_b32_e32 v0, v40
	s_mov_b64 s[0:1], s[28:29]
	s_mov_b64 s[2:3], s[26:27]
	s_mov_b32 s4, 0
.LBB597_4:
	s_delay_alu instid0(SALU_CYCLE_1)
	s_and_not1_b32 vcc_lo, exec_lo, s4
	s_cbranch_vccnz .LBB597_6
; %bb.5:
	s_mov_b64 s[4:5], src_shared_base
	v_dual_mov_b32 v31, v0 :: v_dual_mov_b32 v40, v0
	v_dual_mov_b32 v0, s36 :: v_dual_mov_b32 v1, s37
	;; [unrolled: 1-line block ×8, first 2 shown]
	s_add_nc_u64 s[8:9], s[2:3], 0x60
	s_mov_b64 s[6:7], s[0:1]
	s_mov_b64 s[26:27], s[2:3]
	s_swap_pc_i64 s[30:31], s[24:25]
	v_mov_b32_e32 v0, v40
	s_mov_b64 s[2:3], s[26:27]
.LBB597_6:
	s_mov_b32 s4, 0
.LBB597_7:
	s_delay_alu instid0(SALU_CYCLE_1)
	s_and_not1_b32 vcc_lo, exec_lo, s4
	s_cbranch_vccnz .LBB597_1182
; %bb.8:
	s_cmp_ge_u32 s49, s50
	s_cbranch_scc1 .LBB597_1182
; %bb.9:
	v_and_b32_e32 v2, 0x3ff, v0
	v_mov_b32_e32 v1, 0
	v_mbcnt_lo_u32_b32 v94, -1, 0
	v_bfe_u32 v90, v0, 20, 10
	v_bfe_u32 v92, v0, 10, 10
	v_dual_lshlrev_b32 v4, 2, v2 :: v_dual_bitop2_b32 v6, 3, v0 bitop3:0x40
	v_dual_mov_b32 v5, v1 :: v_dual_lshrrev_b32 v7, 3, v0
	s_bfe_u32 s6, ttmp6, 0x40010
	s_delay_alu instid0(VALU_DEP_2) | instskip(NEXT) | instid1(VALU_DEP_3)
	v_mad_u32_u24 v86, v2, 12, v4
	v_lshlrev_b32_e32 v84, 2, v6
	v_or_b32_e32 v6, 31, v2
	v_dual_lshlrev_b32 v7, 4, v2 :: v_dual_bitop2_b32 v85, 28, v7 bitop3:0x40
	v_dual_mov_b32 v17, v1 :: v_dual_add_nc_u32 v88, 0x8400, v4
	s_delay_alu instid0(VALU_DEP_3) | instskip(SKIP_1) | instid1(VALU_DEP_4)
	v_cmp_eq_u32_e64 s1, v2, v6
	v_mad_u32_u24 v91, v2, 20, v86
	v_and_b32_e32 v18, 0xe00, v7
	v_lshlrev_b32_e32 v6, 5, v2
	s_add_co_i32 s6, s6, 1
	s_bfe_u32 s7, ttmp6, 0x40004
	s_mul_i32 s6, ttmp7, s6
	v_dual_lshlrev_b32 v0, 3, v18 :: v_dual_lshlrev_b32 v16, 2, v18
	v_or_b32_e32 v99, v94, v18
	v_dual_sub_nc_u32 v93, v91, v6 :: v_dual_mov_b32 v95, 1
	s_delay_alu instid0(VALU_DEP_3) | instskip(NEXT) | instid1(VALU_DEP_4)
	v_add_nc_u64_e32 v[6:7], s[46:47], v[0:1]
	v_add_nc_u64_e32 v[8:9], s[40:41], v[16:17]
	;; [unrolled: 1-line block ×9, first 2 shown]
	v_or_b32_e32 v3, 0x100, v2
	v_or_b32_e32 v70, 0x200, v2
	;; [unrolled: 1-line block ×15, first 2 shown]
	v_cmp_gt_u32_e64 s0, 0x100, v2
	v_or_b32_e32 v87, 0x8400, v85
	v_cmp_gt_u32_e64 s4, 8, v2
	v_cmp_lt_u32_e64 s5, 31, v2
	v_add_nc_u32_e32 v89, 0x83fc, v85
	s_add_nc_u64 s[34:35], s[2:3], 0x60
	s_add_co_i32 s7, s7, s6
	v_cmp_eq_u32_e64 s2, 0, v2
	v_cmp_ne_u32_e64 s3, 0xff, v2
	v_dual_lshlrev_b32 v0, 3, v94 :: v_dual_bitop2_b32 v96, 15, v94 bitop3:0x40
	v_bfe_i32 v97, v94, 4, 1
	v_dual_lshlrev_b32 v24, 2, v94 :: v_dual_bitop2_b32 v98, 16, v94 bitop3:0x40
	v_and_b32_e32 v100, 7, v94
	v_sub_co_u32 v101, s6, v94, 1
	v_or_b32_e32 v102, 32, v99
	v_or_b32_e32 v103, 64, v99
	;; [unrolled: 1-line block ×15, first 2 shown]
	v_add_nc_u32_e32 v117, 0x420, v91
	v_add_nc_u32_e32 v118, 0x428, v91
	;; [unrolled: 1-line block ×4, first 2 shown]
	s_cmp_eq_u32 s55, 0
	s_mov_b32 s31, 0
	s_cselect_b32 s42, ttmp7, s7
	s_mov_b32 s43, s49
	s_branch .LBB597_12
.LBB597_10:                             ;   in Loop: Header=BB597_12 Depth=1
	s_wait_dscnt 0x0
	s_barrier_signal -1
	s_barrier_wait -1
.LBB597_11:                             ;   in Loop: Header=BB597_12 Depth=1
	s_add_co_i32 s43, s43, 8
	s_delay_alu instid0(SALU_CYCLE_1)
	s_cmp_ge_u32 s43, s50
	s_cbranch_scc1 .LBB597_1182
.LBB597_12:                             ; =>This Loop Header: Depth=1
                                        ;     Child Loop BB597_16 Depth 2
                                        ;     Child Loop BB597_96 Depth 2
	;; [unrolled: 1-line block ×8, first 2 shown]
	s_sub_co_i32 s7, s50, s43
	s_xor_b32 s53, s53, -1
	s_min_u32 s7, s7, 8
	ds_store_2addr_stride64_b32 v4, v1, v1 offset1:4
	s_lshl_b32 s7, -1, s7
	ds_store_2addr_stride64_b32 v4, v1, v1 offset0:8 offset1:12
	s_not_b32 s48, s7
	s_cmp_lg_u32 s43, s49
	s_mov_b32 s7, -1
	s_wait_storecnt_dscnt 0x0
	s_cbranch_scc0 .LBB597_598
; %bb.13:                               ;   in Loop: Header=BB597_12 Depth=1
	s_and_b32 vcc_lo, exec_lo, s53
	s_cbranch_vccz .LBB597_305
; %bb.14:                               ;   in Loop: Header=BB597_12 Depth=1
	s_mov_b32 s7, s54
	s_mov_b32 s30, s52
	s_barrier_signal -1
	s_barrier_wait -1
                                        ; implicit-def: $vgpr25
                                        ; implicit-def: $vgpr26
                                        ; implicit-def: $vgpr27
                                        ; implicit-def: $vgpr28
                                        ; implicit-def: $vgpr29
                                        ; implicit-def: $vgpr30
                                        ; implicit-def: $vgpr31
                                        ; implicit-def: $vgpr32
                                        ; implicit-def: $vgpr33
                                        ; implicit-def: $vgpr34
                                        ; implicit-def: $vgpr35
                                        ; implicit-def: $vgpr36
                                        ; implicit-def: $vgpr37
                                        ; implicit-def: $vgpr38
                                        ; implicit-def: $vgpr39
                                        ; implicit-def: $vgpr40
	s_branch .LBB597_16
.LBB597_15:                             ;   in Loop: Header=BB597_16 Depth=2
	s_or_b32 exec_lo, exec_lo, s8
	s_addk_co_i32 s7, 0xf000
	s_cmp_ge_u32 s10, s51
	s_mov_b32 s30, s10
	s_cbranch_scc1 .LBB597_84
.LBB597_16:                             ;   Parent Loop BB597_12 Depth=1
                                        ; =>  This Inner Loop Header: Depth=2
	s_add_co_i32 s10, s30, 0x1000
	s_mov_b32 s8, -1
	s_cmp_gt_u32 s10, s51
                                        ; implicit-def: $vgpr41
                                        ; implicit-def: $vgpr42
                                        ; implicit-def: $vgpr43
                                        ; implicit-def: $vgpr44
                                        ; implicit-def: $vgpr45
                                        ; implicit-def: $vgpr46
                                        ; implicit-def: $vgpr47
                                        ; implicit-def: $vgpr48
                                        ; implicit-def: $vgpr49
                                        ; implicit-def: $vgpr50
                                        ; implicit-def: $vgpr51
                                        ; implicit-def: $vgpr52
                                        ; implicit-def: $vgpr53
                                        ; implicit-def: $vgpr54
                                        ; implicit-def: $vgpr55
                                        ; implicit-def: $vgpr56
	s_cbranch_scc1 .LBB597_18
; %bb.17:                               ;   in Loop: Header=BB597_16 Depth=2
	v_lshl_add_u64 v[56:57], s[30:31], 2, v[18:19]
	s_mov_b32 s8, 0
	s_clause 0xf
	global_load_b32 v41, v[56:57], off
	global_load_b32 v42, v[56:57], off offset:1024
	global_load_b32 v43, v[56:57], off offset:2048
	;; [unrolled: 1-line block ×15, first 2 shown]
.LBB597_18:                             ;   in Loop: Header=BB597_16 Depth=2
	s_and_not1_b32 vcc_lo, exec_lo, s8
	s_movk_i32 s8, 0x1000
	s_cbranch_vccnz .LBB597_37
; %bb.19:                               ;   in Loop: Header=BB597_16 Depth=2
	s_lshl_b64 s[8:9], s[30:31], 2
	s_mov_b32 s11, exec_lo
	s_add_nc_u64 s[8:9], s[40:41], s[8:9]
	s_wait_xcnt 0x0
	v_cmpx_gt_u32_e64 s7, v2
	s_cbranch_execnz .LBB597_69
; %bb.20:                               ;   in Loop: Header=BB597_16 Depth=2
	s_or_b32 exec_lo, exec_lo, s11
	s_delay_alu instid0(SALU_CYCLE_1)
	s_mov_b32 s11, exec_lo
	v_cmpx_gt_u32_e64 s7, v3
	s_cbranch_execnz .LBB597_70
.LBB597_21:                             ;   in Loop: Header=BB597_16 Depth=2
	s_or_b32 exec_lo, exec_lo, s11
	s_delay_alu instid0(SALU_CYCLE_1)
	s_mov_b32 s11, exec_lo
	v_cmpx_gt_u32_e64 s7, v70
	s_cbranch_execnz .LBB597_71
.LBB597_22:                             ;   in Loop: Header=BB597_16 Depth=2
	s_or_b32 exec_lo, exec_lo, s11
	s_delay_alu instid0(SALU_CYCLE_1)
	s_mov_b32 s11, exec_lo
	v_cmpx_gt_u32_e64 s7, v71
	s_cbranch_execnz .LBB597_72
.LBB597_23:                             ;   in Loop: Header=BB597_16 Depth=2
	s_or_b32 exec_lo, exec_lo, s11
	s_delay_alu instid0(SALU_CYCLE_1)
	s_mov_b32 s11, exec_lo
	v_cmpx_gt_u32_e64 s7, v72
	s_cbranch_execnz .LBB597_73
.LBB597_24:                             ;   in Loop: Header=BB597_16 Depth=2
	s_or_b32 exec_lo, exec_lo, s11
	s_delay_alu instid0(SALU_CYCLE_1)
	s_mov_b32 s11, exec_lo
	v_cmpx_gt_u32_e64 s7, v73
	s_cbranch_execnz .LBB597_74
.LBB597_25:                             ;   in Loop: Header=BB597_16 Depth=2
	s_or_b32 exec_lo, exec_lo, s11
	s_delay_alu instid0(SALU_CYCLE_1)
	s_mov_b32 s11, exec_lo
	v_cmpx_gt_u32_e64 s7, v74
	s_cbranch_execnz .LBB597_75
.LBB597_26:                             ;   in Loop: Header=BB597_16 Depth=2
	s_or_b32 exec_lo, exec_lo, s11
	s_delay_alu instid0(SALU_CYCLE_1)
	s_mov_b32 s11, exec_lo
	v_cmpx_gt_u32_e64 s7, v75
	s_cbranch_execnz .LBB597_76
.LBB597_27:                             ;   in Loop: Header=BB597_16 Depth=2
	s_or_b32 exec_lo, exec_lo, s11
	s_delay_alu instid0(SALU_CYCLE_1)
	s_mov_b32 s11, exec_lo
	v_cmpx_gt_u32_e64 s7, v76
	s_cbranch_execnz .LBB597_77
.LBB597_28:                             ;   in Loop: Header=BB597_16 Depth=2
	s_or_b32 exec_lo, exec_lo, s11
	s_delay_alu instid0(SALU_CYCLE_1)
	s_mov_b32 s11, exec_lo
	v_cmpx_gt_u32_e64 s7, v77
	s_cbranch_execnz .LBB597_78
.LBB597_29:                             ;   in Loop: Header=BB597_16 Depth=2
	s_or_b32 exec_lo, exec_lo, s11
	s_delay_alu instid0(SALU_CYCLE_1)
	s_mov_b32 s11, exec_lo
	v_cmpx_gt_u32_e64 s7, v78
	s_cbranch_execnz .LBB597_79
.LBB597_30:                             ;   in Loop: Header=BB597_16 Depth=2
	s_or_b32 exec_lo, exec_lo, s11
	s_delay_alu instid0(SALU_CYCLE_1)
	s_mov_b32 s11, exec_lo
	v_cmpx_gt_u32_e64 s7, v79
	s_cbranch_execnz .LBB597_80
.LBB597_31:                             ;   in Loop: Header=BB597_16 Depth=2
	s_or_b32 exec_lo, exec_lo, s11
	s_delay_alu instid0(SALU_CYCLE_1)
	s_mov_b32 s11, exec_lo
	v_cmpx_gt_u32_e64 s7, v80
	s_cbranch_execnz .LBB597_81
.LBB597_32:                             ;   in Loop: Header=BB597_16 Depth=2
	s_or_b32 exec_lo, exec_lo, s11
	s_delay_alu instid0(SALU_CYCLE_1)
	s_mov_b32 s11, exec_lo
	v_cmpx_gt_u32_e64 s7, v81
	s_cbranch_execnz .LBB597_82
.LBB597_33:                             ;   in Loop: Header=BB597_16 Depth=2
	s_or_b32 exec_lo, exec_lo, s11
	s_delay_alu instid0(SALU_CYCLE_1)
	s_mov_b32 s11, exec_lo
	v_cmpx_gt_u32_e64 s7, v82
	s_cbranch_execnz .LBB597_83
.LBB597_34:                             ;   in Loop: Header=BB597_16 Depth=2
	s_or_b32 exec_lo, exec_lo, s11
	s_delay_alu instid0(SALU_CYCLE_1)
	s_mov_b32 s11, exec_lo
	v_cmpx_gt_u32_e64 s7, v83
	s_cbranch_execz .LBB597_36
.LBB597_35:                             ;   in Loop: Header=BB597_16 Depth=2
	global_load_b32 v25, v2, s[8:9] offset:15360 scale_offset
.LBB597_36:                             ;   in Loop: Header=BB597_16 Depth=2
	s_wait_xcnt 0x0
	s_or_b32 exec_lo, exec_lo, s11
	s_wait_loadcnt 0x0
	v_dual_mov_b32 v41, v40 :: v_dual_mov_b32 v42, v39
	v_dual_mov_b32 v43, v38 :: v_dual_mov_b32 v44, v37
	;; [unrolled: 1-line block ×8, first 2 shown]
	s_mov_b32 s8, s7
.LBB597_37:                             ;   in Loop: Header=BB597_16 Depth=2
	s_wait_loadcnt 0x0
	s_delay_alu instid0(VALU_DEP_1)
	v_dual_mov_b32 v25, v56 :: v_dual_mov_b32 v26, v55
	v_dual_mov_b32 v27, v54 :: v_dual_mov_b32 v28, v53
	;; [unrolled: 1-line block ×8, first 2 shown]
	s_mov_b32 s9, exec_lo
	s_wait_xcnt 0x0
	v_cmpx_gt_u32_e64 s8, v2
	s_cbranch_execnz .LBB597_53
; %bb.38:                               ;   in Loop: Header=BB597_16 Depth=2
	s_or_b32 exec_lo, exec_lo, s9
	s_delay_alu instid0(SALU_CYCLE_1)
	s_mov_b32 s9, exec_lo
	v_cmpx_gt_u32_e64 s8, v3
	s_cbranch_execnz .LBB597_54
.LBB597_39:                             ;   in Loop: Header=BB597_16 Depth=2
	s_or_b32 exec_lo, exec_lo, s9
	s_delay_alu instid0(SALU_CYCLE_1)
	s_mov_b32 s9, exec_lo
	v_cmpx_gt_u32_e64 s8, v70
	s_cbranch_execnz .LBB597_55
.LBB597_40:                             ;   in Loop: Header=BB597_16 Depth=2
	s_or_b32 exec_lo, exec_lo, s9
	s_delay_alu instid0(SALU_CYCLE_1)
	s_mov_b32 s9, exec_lo
	v_cmpx_gt_u32_e64 s8, v71
	s_cbranch_execnz .LBB597_56
.LBB597_41:                             ;   in Loop: Header=BB597_16 Depth=2
	s_or_b32 exec_lo, exec_lo, s9
	s_delay_alu instid0(SALU_CYCLE_1)
	s_mov_b32 s9, exec_lo
	v_cmpx_gt_u32_e64 s8, v72
	s_cbranch_execnz .LBB597_57
.LBB597_42:                             ;   in Loop: Header=BB597_16 Depth=2
	s_or_b32 exec_lo, exec_lo, s9
	s_delay_alu instid0(SALU_CYCLE_1)
	s_mov_b32 s9, exec_lo
	v_cmpx_gt_u32_e64 s8, v73
	s_cbranch_execnz .LBB597_58
.LBB597_43:                             ;   in Loop: Header=BB597_16 Depth=2
	s_or_b32 exec_lo, exec_lo, s9
	s_delay_alu instid0(SALU_CYCLE_1)
	s_mov_b32 s9, exec_lo
	v_cmpx_gt_u32_e64 s8, v74
	s_cbranch_execnz .LBB597_59
.LBB597_44:                             ;   in Loop: Header=BB597_16 Depth=2
	s_or_b32 exec_lo, exec_lo, s9
	s_delay_alu instid0(SALU_CYCLE_1)
	s_mov_b32 s9, exec_lo
	v_cmpx_gt_u32_e64 s8, v75
	s_cbranch_execnz .LBB597_60
.LBB597_45:                             ;   in Loop: Header=BB597_16 Depth=2
	s_or_b32 exec_lo, exec_lo, s9
	s_delay_alu instid0(SALU_CYCLE_1)
	s_mov_b32 s9, exec_lo
	v_cmpx_gt_u32_e64 s8, v76
	s_cbranch_execnz .LBB597_61
.LBB597_46:                             ;   in Loop: Header=BB597_16 Depth=2
	s_or_b32 exec_lo, exec_lo, s9
	s_delay_alu instid0(SALU_CYCLE_1)
	s_mov_b32 s9, exec_lo
	v_cmpx_gt_u32_e64 s8, v77
	s_cbranch_execnz .LBB597_62
.LBB597_47:                             ;   in Loop: Header=BB597_16 Depth=2
	s_or_b32 exec_lo, exec_lo, s9
	s_delay_alu instid0(SALU_CYCLE_1)
	s_mov_b32 s9, exec_lo
	v_cmpx_gt_u32_e64 s8, v78
	s_cbranch_execnz .LBB597_63
.LBB597_48:                             ;   in Loop: Header=BB597_16 Depth=2
	s_or_b32 exec_lo, exec_lo, s9
	s_delay_alu instid0(SALU_CYCLE_1)
	s_mov_b32 s9, exec_lo
	v_cmpx_gt_u32_e64 s8, v79
	s_cbranch_execnz .LBB597_64
.LBB597_49:                             ;   in Loop: Header=BB597_16 Depth=2
	s_or_b32 exec_lo, exec_lo, s9
	s_delay_alu instid0(SALU_CYCLE_1)
	s_mov_b32 s9, exec_lo
	v_cmpx_gt_u32_e64 s8, v80
	s_cbranch_execnz .LBB597_65
.LBB597_50:                             ;   in Loop: Header=BB597_16 Depth=2
	s_or_b32 exec_lo, exec_lo, s9
	s_delay_alu instid0(SALU_CYCLE_1)
	s_mov_b32 s9, exec_lo
	v_cmpx_gt_u32_e64 s8, v81
	s_cbranch_execnz .LBB597_66
.LBB597_51:                             ;   in Loop: Header=BB597_16 Depth=2
	s_or_b32 exec_lo, exec_lo, s9
	s_delay_alu instid0(SALU_CYCLE_1)
	s_mov_b32 s9, exec_lo
	v_cmpx_gt_u32_e64 s8, v82
	s_cbranch_execnz .LBB597_67
.LBB597_52:                             ;   in Loop: Header=BB597_16 Depth=2
	s_or_b32 exec_lo, exec_lo, s9
	v_cmp_gt_u32_e32 vcc_lo, s8, v83
	s_and_saveexec_b32 s8, vcc_lo
	s_cbranch_execz .LBB597_15
	s_branch .LBB597_68
.LBB597_53:                             ;   in Loop: Header=BB597_16 Depth=2
	v_xor_b32_e32 v41, 0x80000000, v40
	s_delay_alu instid0(VALU_DEP_1) | instskip(NEXT) | instid1(VALU_DEP_1)
	v_lshrrev_b32_e32 v41, s43, v41
	v_and_b32_e32 v41, s48, v41
	s_delay_alu instid0(VALU_DEP_1) | instskip(SKIP_2) | instid1(SALU_CYCLE_1)
	v_lshl_or_b32 v41, v41, 4, v84
	ds_add_u32 v41, v95
	s_or_b32 exec_lo, exec_lo, s9
	s_mov_b32 s9, exec_lo
	v_cmpx_gt_u32_e64 s8, v3
	s_cbranch_execz .LBB597_39
.LBB597_54:                             ;   in Loop: Header=BB597_16 Depth=2
	v_xor_b32_e32 v41, 0x80000000, v39
	s_delay_alu instid0(VALU_DEP_1) | instskip(NEXT) | instid1(VALU_DEP_1)
	v_lshrrev_b32_e32 v41, s43, v41
	v_and_b32_e32 v41, s48, v41
	s_delay_alu instid0(VALU_DEP_1) | instskip(SKIP_2) | instid1(SALU_CYCLE_1)
	v_lshl_or_b32 v41, v41, 4, v84
	ds_add_u32 v41, v95
	s_or_b32 exec_lo, exec_lo, s9
	s_mov_b32 s9, exec_lo
	v_cmpx_gt_u32_e64 s8, v70
	s_cbranch_execz .LBB597_40
.LBB597_55:                             ;   in Loop: Header=BB597_16 Depth=2
	v_xor_b32_e32 v41, 0x80000000, v38
	s_delay_alu instid0(VALU_DEP_1) | instskip(NEXT) | instid1(VALU_DEP_1)
	v_lshrrev_b32_e32 v41, s43, v41
	v_and_b32_e32 v41, s48, v41
	s_delay_alu instid0(VALU_DEP_1) | instskip(SKIP_2) | instid1(SALU_CYCLE_1)
	v_lshl_or_b32 v41, v41, 4, v84
	ds_add_u32 v41, v95
	s_or_b32 exec_lo, exec_lo, s9
	s_mov_b32 s9, exec_lo
	v_cmpx_gt_u32_e64 s8, v71
	s_cbranch_execz .LBB597_41
.LBB597_56:                             ;   in Loop: Header=BB597_16 Depth=2
	v_xor_b32_e32 v41, 0x80000000, v37
	s_delay_alu instid0(VALU_DEP_1) | instskip(NEXT) | instid1(VALU_DEP_1)
	v_lshrrev_b32_e32 v41, s43, v41
	v_and_b32_e32 v41, s48, v41
	s_delay_alu instid0(VALU_DEP_1) | instskip(SKIP_2) | instid1(SALU_CYCLE_1)
	v_lshl_or_b32 v41, v41, 4, v84
	ds_add_u32 v41, v95
	s_or_b32 exec_lo, exec_lo, s9
	s_mov_b32 s9, exec_lo
	v_cmpx_gt_u32_e64 s8, v72
	s_cbranch_execz .LBB597_42
.LBB597_57:                             ;   in Loop: Header=BB597_16 Depth=2
	v_xor_b32_e32 v41, 0x80000000, v36
	s_delay_alu instid0(VALU_DEP_1) | instskip(NEXT) | instid1(VALU_DEP_1)
	v_lshrrev_b32_e32 v41, s43, v41
	v_and_b32_e32 v41, s48, v41
	s_delay_alu instid0(VALU_DEP_1) | instskip(SKIP_2) | instid1(SALU_CYCLE_1)
	v_lshl_or_b32 v41, v41, 4, v84
	ds_add_u32 v41, v95
	s_or_b32 exec_lo, exec_lo, s9
	s_mov_b32 s9, exec_lo
	v_cmpx_gt_u32_e64 s8, v73
	s_cbranch_execz .LBB597_43
.LBB597_58:                             ;   in Loop: Header=BB597_16 Depth=2
	v_xor_b32_e32 v41, 0x80000000, v35
	s_delay_alu instid0(VALU_DEP_1) | instskip(NEXT) | instid1(VALU_DEP_1)
	v_lshrrev_b32_e32 v41, s43, v41
	v_and_b32_e32 v41, s48, v41
	s_delay_alu instid0(VALU_DEP_1) | instskip(SKIP_2) | instid1(SALU_CYCLE_1)
	v_lshl_or_b32 v41, v41, 4, v84
	ds_add_u32 v41, v95
	s_or_b32 exec_lo, exec_lo, s9
	s_mov_b32 s9, exec_lo
	v_cmpx_gt_u32_e64 s8, v74
	s_cbranch_execz .LBB597_44
.LBB597_59:                             ;   in Loop: Header=BB597_16 Depth=2
	v_xor_b32_e32 v41, 0x80000000, v34
	s_delay_alu instid0(VALU_DEP_1) | instskip(NEXT) | instid1(VALU_DEP_1)
	v_lshrrev_b32_e32 v41, s43, v41
	v_and_b32_e32 v41, s48, v41
	s_delay_alu instid0(VALU_DEP_1) | instskip(SKIP_2) | instid1(SALU_CYCLE_1)
	v_lshl_or_b32 v41, v41, 4, v84
	ds_add_u32 v41, v95
	s_or_b32 exec_lo, exec_lo, s9
	s_mov_b32 s9, exec_lo
	v_cmpx_gt_u32_e64 s8, v75
	s_cbranch_execz .LBB597_45
.LBB597_60:                             ;   in Loop: Header=BB597_16 Depth=2
	v_xor_b32_e32 v41, 0x80000000, v33
	s_delay_alu instid0(VALU_DEP_1) | instskip(NEXT) | instid1(VALU_DEP_1)
	v_lshrrev_b32_e32 v41, s43, v41
	v_and_b32_e32 v41, s48, v41
	s_delay_alu instid0(VALU_DEP_1) | instskip(SKIP_2) | instid1(SALU_CYCLE_1)
	v_lshl_or_b32 v41, v41, 4, v84
	ds_add_u32 v41, v95
	s_or_b32 exec_lo, exec_lo, s9
	s_mov_b32 s9, exec_lo
	v_cmpx_gt_u32_e64 s8, v76
	s_cbranch_execz .LBB597_46
.LBB597_61:                             ;   in Loop: Header=BB597_16 Depth=2
	v_xor_b32_e32 v41, 0x80000000, v32
	s_delay_alu instid0(VALU_DEP_1) | instskip(NEXT) | instid1(VALU_DEP_1)
	v_lshrrev_b32_e32 v41, s43, v41
	v_and_b32_e32 v41, s48, v41
	s_delay_alu instid0(VALU_DEP_1) | instskip(SKIP_2) | instid1(SALU_CYCLE_1)
	v_lshl_or_b32 v41, v41, 4, v84
	ds_add_u32 v41, v95
	s_or_b32 exec_lo, exec_lo, s9
	s_mov_b32 s9, exec_lo
	v_cmpx_gt_u32_e64 s8, v77
	s_cbranch_execz .LBB597_47
.LBB597_62:                             ;   in Loop: Header=BB597_16 Depth=2
	v_xor_b32_e32 v41, 0x80000000, v31
	s_delay_alu instid0(VALU_DEP_1) | instskip(NEXT) | instid1(VALU_DEP_1)
	v_lshrrev_b32_e32 v41, s43, v41
	v_and_b32_e32 v41, s48, v41
	s_delay_alu instid0(VALU_DEP_1) | instskip(SKIP_2) | instid1(SALU_CYCLE_1)
	v_lshl_or_b32 v41, v41, 4, v84
	ds_add_u32 v41, v95
	s_or_b32 exec_lo, exec_lo, s9
	s_mov_b32 s9, exec_lo
	v_cmpx_gt_u32_e64 s8, v78
	s_cbranch_execz .LBB597_48
.LBB597_63:                             ;   in Loop: Header=BB597_16 Depth=2
	v_xor_b32_e32 v41, 0x80000000, v30
	s_delay_alu instid0(VALU_DEP_1) | instskip(NEXT) | instid1(VALU_DEP_1)
	v_lshrrev_b32_e32 v41, s43, v41
	v_and_b32_e32 v41, s48, v41
	s_delay_alu instid0(VALU_DEP_1) | instskip(SKIP_2) | instid1(SALU_CYCLE_1)
	v_lshl_or_b32 v41, v41, 4, v84
	ds_add_u32 v41, v95
	s_or_b32 exec_lo, exec_lo, s9
	s_mov_b32 s9, exec_lo
	v_cmpx_gt_u32_e64 s8, v79
	s_cbranch_execz .LBB597_49
.LBB597_64:                             ;   in Loop: Header=BB597_16 Depth=2
	v_xor_b32_e32 v41, 0x80000000, v29
	s_delay_alu instid0(VALU_DEP_1) | instskip(NEXT) | instid1(VALU_DEP_1)
	v_lshrrev_b32_e32 v41, s43, v41
	v_and_b32_e32 v41, s48, v41
	s_delay_alu instid0(VALU_DEP_1) | instskip(SKIP_2) | instid1(SALU_CYCLE_1)
	v_lshl_or_b32 v41, v41, 4, v84
	ds_add_u32 v41, v95
	s_or_b32 exec_lo, exec_lo, s9
	s_mov_b32 s9, exec_lo
	v_cmpx_gt_u32_e64 s8, v80
	s_cbranch_execz .LBB597_50
.LBB597_65:                             ;   in Loop: Header=BB597_16 Depth=2
	v_xor_b32_e32 v41, 0x80000000, v28
	s_delay_alu instid0(VALU_DEP_1) | instskip(NEXT) | instid1(VALU_DEP_1)
	v_lshrrev_b32_e32 v41, s43, v41
	v_and_b32_e32 v41, s48, v41
	s_delay_alu instid0(VALU_DEP_1) | instskip(SKIP_2) | instid1(SALU_CYCLE_1)
	v_lshl_or_b32 v41, v41, 4, v84
	ds_add_u32 v41, v95
	s_or_b32 exec_lo, exec_lo, s9
	s_mov_b32 s9, exec_lo
	v_cmpx_gt_u32_e64 s8, v81
	s_cbranch_execz .LBB597_51
.LBB597_66:                             ;   in Loop: Header=BB597_16 Depth=2
	v_xor_b32_e32 v41, 0x80000000, v27
	s_delay_alu instid0(VALU_DEP_1) | instskip(NEXT) | instid1(VALU_DEP_1)
	v_lshrrev_b32_e32 v41, s43, v41
	v_and_b32_e32 v41, s48, v41
	s_delay_alu instid0(VALU_DEP_1) | instskip(SKIP_2) | instid1(SALU_CYCLE_1)
	v_lshl_or_b32 v41, v41, 4, v84
	ds_add_u32 v41, v95
	s_or_b32 exec_lo, exec_lo, s9
	s_mov_b32 s9, exec_lo
	v_cmpx_gt_u32_e64 s8, v82
	s_cbranch_execz .LBB597_52
.LBB597_67:                             ;   in Loop: Header=BB597_16 Depth=2
	v_xor_b32_e32 v41, 0x80000000, v26
	s_delay_alu instid0(VALU_DEP_1) | instskip(NEXT) | instid1(VALU_DEP_1)
	v_lshrrev_b32_e32 v41, s43, v41
	v_and_b32_e32 v41, s48, v41
	s_delay_alu instid0(VALU_DEP_1)
	v_lshl_or_b32 v41, v41, 4, v84
	ds_add_u32 v41, v95
	s_or_b32 exec_lo, exec_lo, s9
	v_cmp_gt_u32_e32 vcc_lo, s8, v83
	s_and_saveexec_b32 s8, vcc_lo
	s_cbranch_execz .LBB597_15
.LBB597_68:                             ;   in Loop: Header=BB597_16 Depth=2
	v_xor_b32_e32 v41, 0x80000000, v25
	s_delay_alu instid0(VALU_DEP_1) | instskip(NEXT) | instid1(VALU_DEP_1)
	v_lshrrev_b32_e32 v41, s43, v41
	v_and_b32_e32 v41, s48, v41
	s_delay_alu instid0(VALU_DEP_1)
	v_lshl_or_b32 v41, v41, 4, v84
	ds_add_u32 v41, v95
	s_branch .LBB597_15
.LBB597_69:                             ;   in Loop: Header=BB597_16 Depth=2
	global_load_b32 v40, v2, s[8:9] scale_offset
	s_wait_xcnt 0x0
	s_or_b32 exec_lo, exec_lo, s11
	s_delay_alu instid0(SALU_CYCLE_1)
	s_mov_b32 s11, exec_lo
	v_cmpx_gt_u32_e64 s7, v3
	s_cbranch_execz .LBB597_21
.LBB597_70:                             ;   in Loop: Header=BB597_16 Depth=2
	global_load_b32 v39, v2, s[8:9] offset:1024 scale_offset
	s_wait_xcnt 0x0
	s_or_b32 exec_lo, exec_lo, s11
	s_delay_alu instid0(SALU_CYCLE_1)
	s_mov_b32 s11, exec_lo
	v_cmpx_gt_u32_e64 s7, v70
	s_cbranch_execz .LBB597_22
.LBB597_71:                             ;   in Loop: Header=BB597_16 Depth=2
	global_load_b32 v38, v2, s[8:9] offset:2048 scale_offset
	s_wait_xcnt 0x0
	s_or_b32 exec_lo, exec_lo, s11
	s_delay_alu instid0(SALU_CYCLE_1)
	s_mov_b32 s11, exec_lo
	v_cmpx_gt_u32_e64 s7, v71
	s_cbranch_execz .LBB597_23
.LBB597_72:                             ;   in Loop: Header=BB597_16 Depth=2
	global_load_b32 v37, v2, s[8:9] offset:3072 scale_offset
	s_wait_xcnt 0x0
	s_or_b32 exec_lo, exec_lo, s11
	s_delay_alu instid0(SALU_CYCLE_1)
	s_mov_b32 s11, exec_lo
	v_cmpx_gt_u32_e64 s7, v72
	s_cbranch_execz .LBB597_24
.LBB597_73:                             ;   in Loop: Header=BB597_16 Depth=2
	global_load_b32 v36, v2, s[8:9] offset:4096 scale_offset
	s_wait_xcnt 0x0
	s_or_b32 exec_lo, exec_lo, s11
	s_delay_alu instid0(SALU_CYCLE_1)
	s_mov_b32 s11, exec_lo
	v_cmpx_gt_u32_e64 s7, v73
	s_cbranch_execz .LBB597_25
.LBB597_74:                             ;   in Loop: Header=BB597_16 Depth=2
	global_load_b32 v35, v2, s[8:9] offset:5120 scale_offset
	s_wait_xcnt 0x0
	s_or_b32 exec_lo, exec_lo, s11
	s_delay_alu instid0(SALU_CYCLE_1)
	s_mov_b32 s11, exec_lo
	v_cmpx_gt_u32_e64 s7, v74
	s_cbranch_execz .LBB597_26
.LBB597_75:                             ;   in Loop: Header=BB597_16 Depth=2
	global_load_b32 v34, v2, s[8:9] offset:6144 scale_offset
	s_wait_xcnt 0x0
	s_or_b32 exec_lo, exec_lo, s11
	s_delay_alu instid0(SALU_CYCLE_1)
	s_mov_b32 s11, exec_lo
	v_cmpx_gt_u32_e64 s7, v75
	s_cbranch_execz .LBB597_27
.LBB597_76:                             ;   in Loop: Header=BB597_16 Depth=2
	global_load_b32 v33, v2, s[8:9] offset:7168 scale_offset
	s_wait_xcnt 0x0
	s_or_b32 exec_lo, exec_lo, s11
	s_delay_alu instid0(SALU_CYCLE_1)
	s_mov_b32 s11, exec_lo
	v_cmpx_gt_u32_e64 s7, v76
	s_cbranch_execz .LBB597_28
.LBB597_77:                             ;   in Loop: Header=BB597_16 Depth=2
	global_load_b32 v32, v2, s[8:9] offset:8192 scale_offset
	s_wait_xcnt 0x0
	s_or_b32 exec_lo, exec_lo, s11
	s_delay_alu instid0(SALU_CYCLE_1)
	s_mov_b32 s11, exec_lo
	v_cmpx_gt_u32_e64 s7, v77
	s_cbranch_execz .LBB597_29
.LBB597_78:                             ;   in Loop: Header=BB597_16 Depth=2
	global_load_b32 v31, v2, s[8:9] offset:9216 scale_offset
	s_wait_xcnt 0x0
	s_or_b32 exec_lo, exec_lo, s11
	s_delay_alu instid0(SALU_CYCLE_1)
	s_mov_b32 s11, exec_lo
	v_cmpx_gt_u32_e64 s7, v78
	s_cbranch_execz .LBB597_30
.LBB597_79:                             ;   in Loop: Header=BB597_16 Depth=2
	global_load_b32 v30, v2, s[8:9] offset:10240 scale_offset
	s_wait_xcnt 0x0
	s_or_b32 exec_lo, exec_lo, s11
	s_delay_alu instid0(SALU_CYCLE_1)
	s_mov_b32 s11, exec_lo
	v_cmpx_gt_u32_e64 s7, v79
	s_cbranch_execz .LBB597_31
.LBB597_80:                             ;   in Loop: Header=BB597_16 Depth=2
	global_load_b32 v29, v2, s[8:9] offset:11264 scale_offset
	s_wait_xcnt 0x0
	s_or_b32 exec_lo, exec_lo, s11
	s_delay_alu instid0(SALU_CYCLE_1)
	s_mov_b32 s11, exec_lo
	v_cmpx_gt_u32_e64 s7, v80
	s_cbranch_execz .LBB597_32
.LBB597_81:                             ;   in Loop: Header=BB597_16 Depth=2
	global_load_b32 v28, v2, s[8:9] offset:12288 scale_offset
	s_wait_xcnt 0x0
	s_or_b32 exec_lo, exec_lo, s11
	s_delay_alu instid0(SALU_CYCLE_1)
	s_mov_b32 s11, exec_lo
	v_cmpx_gt_u32_e64 s7, v81
	s_cbranch_execz .LBB597_33
.LBB597_82:                             ;   in Loop: Header=BB597_16 Depth=2
	global_load_b32 v27, v2, s[8:9] offset:13312 scale_offset
	s_wait_xcnt 0x0
	s_or_b32 exec_lo, exec_lo, s11
	s_delay_alu instid0(SALU_CYCLE_1)
	s_mov_b32 s11, exec_lo
	v_cmpx_gt_u32_e64 s7, v82
	s_cbranch_execz .LBB597_34
.LBB597_83:                             ;   in Loop: Header=BB597_16 Depth=2
	global_load_b32 v26, v2, s[8:9] offset:14336 scale_offset
	s_wait_xcnt 0x0
	s_or_b32 exec_lo, exec_lo, s11
	s_delay_alu instid0(SALU_CYCLE_1)
	s_mov_b32 s11, exec_lo
	v_cmpx_gt_u32_e64 s7, v83
	s_cbranch_execnz .LBB597_35
	s_branch .LBB597_36
.LBB597_84:                             ;   in Loop: Header=BB597_12 Depth=1
	v_mov_b32_e32 v25, 0
	s_wait_dscnt 0x0
	s_barrier_signal -1
	s_barrier_wait -1
	s_and_saveexec_b32 s7, s0
	s_cbranch_execz .LBB597_86
; %bb.85:                               ;   in Loop: Header=BB597_12 Depth=1
	ds_load_2addr_b64 v[26:29], v86 offset1:1
	s_wait_dscnt 0x0
	v_add_nc_u32_e32 v25, v27, v26
	s_delay_alu instid0(VALU_DEP_1)
	v_add3_u32 v25, v25, v28, v29
.LBB597_86:                             ;   in Loop: Header=BB597_12 Depth=1
	s_or_b32 exec_lo, exec_lo, s7
	s_delay_alu instid0(VALU_DEP_1)
	v_mov_b32_dpp v26, v25 row_shr:1 row_mask:0xf bank_mask:0xf
	v_cmp_eq_u32_e64 s7, 0, v96
	v_cmp_lt_u32_e64 s8, 1, v96
	v_cmp_lt_u32_e64 s9, 3, v96
	;; [unrolled: 1-line block ×3, first 2 shown]
	v_cmp_eq_u32_e64 s11, 0, v98
	v_cndmask_b32_e64 v26, v26, 0, s7
	s_delay_alu instid0(VALU_DEP_1) | instskip(NEXT) | instid1(VALU_DEP_1)
	v_add_nc_u32_e32 v25, v26, v25
	v_mov_b32_dpp v26, v25 row_shr:2 row_mask:0xf bank_mask:0xf
	s_delay_alu instid0(VALU_DEP_1) | instskip(NEXT) | instid1(VALU_DEP_1)
	v_cndmask_b32_e64 v26, 0, v26, s8
	v_add_nc_u32_e32 v25, v25, v26
	s_delay_alu instid0(VALU_DEP_1) | instskip(NEXT) | instid1(VALU_DEP_1)
	v_mov_b32_dpp v26, v25 row_shr:4 row_mask:0xf bank_mask:0xf
	v_cndmask_b32_e64 v26, 0, v26, s9
	s_delay_alu instid0(VALU_DEP_1) | instskip(NEXT) | instid1(VALU_DEP_1)
	v_add_nc_u32_e32 v25, v25, v26
	v_mov_b32_dpp v26, v25 row_shr:8 row_mask:0xf bank_mask:0xf
	s_delay_alu instid0(VALU_DEP_1) | instskip(NEXT) | instid1(VALU_DEP_1)
	v_cndmask_b32_e64 v26, 0, v26, s10
	v_add_nc_u32_e32 v25, v25, v26
	ds_swizzle_b32 v26, v25 offset:swizzle(BROADCAST,32,15)
	s_wait_dscnt 0x0
	v_and_b32_e32 v26, v97, v26
	s_delay_alu instid0(VALU_DEP_1)
	v_add_nc_u32_e32 v25, v25, v26
	s_and_saveexec_b32 s12, s1
; %bb.87:                               ;   in Loop: Header=BB597_12 Depth=1
	ds_store_b32 v87, v25
; %bb.88:                               ;   in Loop: Header=BB597_12 Depth=1
	s_or_b32 exec_lo, exec_lo, s12
	s_wait_dscnt 0x0
	s_barrier_signal -1
	s_barrier_wait -1
	s_and_saveexec_b32 s12, s4
	s_cbranch_execz .LBB597_90
; %bb.89:                               ;   in Loop: Header=BB597_12 Depth=1
	ds_load_b32 v26, v88
	v_cmp_ne_u32_e32 vcc_lo, 0, v100
	s_wait_dscnt 0x0
	v_mov_b32_dpp v27, v26 row_shr:1 row_mask:0xf bank_mask:0xf
	s_delay_alu instid0(VALU_DEP_1) | instskip(SKIP_1) | instid1(VALU_DEP_2)
	v_cndmask_b32_e32 v27, 0, v27, vcc_lo
	v_cmp_lt_u32_e32 vcc_lo, 1, v100
	v_add_nc_u32_e32 v26, v27, v26
	s_delay_alu instid0(VALU_DEP_1) | instskip(NEXT) | instid1(VALU_DEP_1)
	v_mov_b32_dpp v27, v26 row_shr:2 row_mask:0xf bank_mask:0xf
	v_cndmask_b32_e32 v27, 0, v27, vcc_lo
	v_cmp_lt_u32_e32 vcc_lo, 3, v100
	s_delay_alu instid0(VALU_DEP_2) | instskip(NEXT) | instid1(VALU_DEP_1)
	v_add_nc_u32_e32 v26, v26, v27
	v_mov_b32_dpp v27, v26 row_shr:4 row_mask:0xf bank_mask:0xf
	s_delay_alu instid0(VALU_DEP_1) | instskip(NEXT) | instid1(VALU_DEP_1)
	v_cndmask_b32_e32 v27, 0, v27, vcc_lo
	v_add_nc_u32_e32 v26, v26, v27
	ds_store_b32 v88, v26
.LBB597_90:                             ;   in Loop: Header=BB597_12 Depth=1
	s_or_b32 exec_lo, exec_lo, s12
	v_mov_b32_e32 v26, 0
	s_wait_dscnt 0x0
	s_barrier_signal -1
	s_barrier_wait -1
	s_and_saveexec_b32 s12, s5
; %bb.91:                               ;   in Loop: Header=BB597_12 Depth=1
	ds_load_b32 v26, v89
; %bb.92:                               ;   in Loop: Header=BB597_12 Depth=1
	s_or_b32 exec_lo, exec_lo, s12
	v_cmp_gt_i32_e32 vcc_lo, 0, v101
	s_wait_dscnt 0x0
	s_barrier_signal -1
	s_barrier_wait -1
	v_dual_cndmask_b32 v27, v101, v94, vcc_lo :: v_dual_add_nc_u32 v25, v26, v25
	s_delay_alu instid0(VALU_DEP_1)
	v_lshlrev_b32_e32 v120, 2, v27
	ds_bpermute_b32 v25, v120, v25
	s_and_saveexec_b32 s12, s0
	s_cbranch_execz .LBB597_94
; %bb.93:                               ;   in Loop: Header=BB597_12 Depth=1
	s_wait_dscnt 0x0
	v_cndmask_b32_e64 v25, v25, v26, s6
	s_delay_alu instid0(VALU_DEP_1)
	v_add_nc_u32_e32 v25, s52, v25
	ds_store_b32 v4, v25
.LBB597_94:                             ;   in Loop: Header=BB597_12 Depth=1
	s_or_b32 exec_lo, exec_lo, s12
	s_clause 0x1
	s_load_b32 s12, s[34:35], 0x4
	s_load_b32 s14, s[34:35], 0xc
	s_mov_b32 s55, s54
                                        ; implicit-def: $vgpr32_vgpr33
                                        ; implicit-def: $vgpr34_vgpr35
                                        ; implicit-def: $vgpr36_vgpr37
                                        ; implicit-def: $vgpr38_vgpr39
                                        ; implicit-def: $vgpr40_vgpr41
                                        ; implicit-def: $vgpr42_vgpr43
                                        ; implicit-def: $vgpr44_vgpr45
                                        ; implicit-def: $vgpr46_vgpr47
                                        ; implicit-def: $vgpr48_vgpr49
                                        ; implicit-def: $vgpr50_vgpr51
                                        ; implicit-def: $vgpr52_vgpr53
                                        ; implicit-def: $vgpr54_vgpr55
                                        ; implicit-def: $vgpr56_vgpr57
                                        ; implicit-def: $vgpr58_vgpr59
                                        ; implicit-def: $vgpr60_vgpr61
                                        ; implicit-def: $vgpr121
                                        ; implicit-def: $vgpr122
                                        ; implicit-def: $vgpr123
                                        ; implicit-def: $vgpr124
                                        ; implicit-def: $vgpr125
                                        ; implicit-def: $vgpr126
                                        ; implicit-def: $vgpr127
                                        ; implicit-def: $vgpr128
                                        ; implicit-def: $vgpr129
                                        ; implicit-def: $vgpr130
                                        ; implicit-def: $vgpr131
                                        ; implicit-def: $vgpr132
                                        ; implicit-def: $vgpr133
                                        ; implicit-def: $vgpr134
                                        ; implicit-def: $vgpr135
                                        ; implicit-def: $vgpr136
	s_wait_kmcnt 0x0
	s_cmp_lt_u32 s42, s12
	s_cselect_b32 s30, 14, 20
	s_delay_alu instid0(SALU_CYCLE_1)
	s_add_nc_u64 s[12:13], s[34:35], s[30:31]
	s_mov_b32 s30, s52
	s_load_u16 s12, s[12:13], 0x0
	s_wait_xcnt 0x0
	v_cmp_lt_u32_e64 s13, 1, v100
	s_wait_dscnt 0x0
	s_wait_kmcnt 0x0
	v_mad_u32_u24 v25, v90, s12, v92
	s_and_b32 s12, s14, 0xffff
	v_cmp_lt_u32_e64 s14, 3, v100
	s_delay_alu instid0(VALU_DEP_2) | instskip(SKIP_2) | instid1(VALU_DEP_3)
	v_mad_u32 v26, v25, s12, v2
	v_mov_b32_e32 v25, v1
	v_cmp_eq_u32_e64 s12, 0, v100
	v_lshrrev_b32_e32 v30, 3, v26
	v_add_nc_u64_e32 v[26:27], v[6:7], v[0:1]
	s_delay_alu instid0(VALU_DEP_4) | instskip(NEXT) | instid1(VALU_DEP_3)
	v_add_nc_u64_e32 v[28:29], v[8:9], v[24:25]
	v_and_b32_e32 v25, 0x1ffffffc, v30
                                        ; implicit-def: $vgpr30_vgpr31
	s_branch .LBB597_96
.LBB597_95:                             ;   in Loop: Header=BB597_96 Depth=2
	s_or_b32 exec_lo, exec_lo, s15
	s_addk_co_i32 s55, 0xf000
	s_cmp_lt_u32 s56, s51
	s_mov_b32 s30, s56
	s_cbranch_scc0 .LBB597_304
.LBB597_96:                             ;   Parent Loop BB597_12 Depth=1
                                        ; =>  This Inner Loop Header: Depth=2
	s_add_co_i32 s56, s30, 0x1000
	s_delay_alu instid0(SALU_CYCLE_1)
	s_cmp_gt_u32 s56, s51
	s_cbranch_scc1 .LBB597_98
; %bb.97:                               ;   in Loop: Header=BB597_96 Depth=2
	s_delay_alu instid0(VALU_DEP_2)
	v_lshl_add_u64 v[62:63], s[30:31], 2, v[28:29]
	s_mov_b32 s15, -1
	s_clause 0xe
	global_load_b32 v139, v[62:63], off
	global_load_b32 v140, v[62:63], off offset:128
	global_load_b32 v143, v[62:63], off offset:256
	;; [unrolled: 1-line block ×14, first 2 shown]
	s_movk_i32 s16, 0x1000
	s_cbranch_execz .LBB597_99
	s_branch .LBB597_130
.LBB597_98:                             ;   in Loop: Header=BB597_96 Depth=2
	s_mov_b32 s15, 0
                                        ; implicit-def: $vgpr139
                                        ; implicit-def: $vgpr140
                                        ; implicit-def: $vgpr143
                                        ; implicit-def: $vgpr147
                                        ; implicit-def: $vgpr151
                                        ; implicit-def: $vgpr155
                                        ; implicit-def: $vgpr159
                                        ; implicit-def: $vgpr163
                                        ; implicit-def: $vgpr166
                                        ; implicit-def: $vgpr69
                                        ; implicit-def: $vgpr68
                                        ; implicit-def: $vgpr67
                                        ; implicit-def: $vgpr66
                                        ; implicit-def: $vgpr65
                                        ; implicit-def: $vgpr64
	s_movk_i32 s16, 0x1000
.LBB597_99:                             ;   in Loop: Header=BB597_96 Depth=2
	s_wait_xcnt 0x0
	v_lshl_add_u64 v[62:63], s[30:31], 2, v[28:29]
	s_wait_loadcnt 0xd
	v_bfrev_b32_e32 v140, -2
	v_bfrev_b32_e32 v139, -2
	s_mov_b32 s15, exec_lo
	v_cmpx_gt_u32_e64 s55, v99
	s_cbranch_execz .LBB597_101
; %bb.100:                              ;   in Loop: Header=BB597_96 Depth=2
	global_load_b32 v139, v[62:63], off
.LBB597_101:                            ;   in Loop: Header=BB597_96 Depth=2
	s_wait_xcnt 0x0
	s_or_b32 exec_lo, exec_lo, s15
	s_delay_alu instid0(SALU_CYCLE_1)
	s_mov_b32 s15, exec_lo
	v_cmpx_gt_u32_e64 s55, v102
	s_cbranch_execz .LBB597_103
; %bb.102:                              ;   in Loop: Header=BB597_96 Depth=2
	global_load_b32 v140, v[62:63], off offset:128
.LBB597_103:                            ;   in Loop: Header=BB597_96 Depth=2
	s_wait_xcnt 0x0
	s_or_b32 exec_lo, exec_lo, s15
	s_wait_loadcnt 0xb
	v_bfrev_b32_e32 v147, -2
	v_bfrev_b32_e32 v143, -2
	s_mov_b32 s15, exec_lo
	v_cmpx_gt_u32_e64 s55, v103
	s_cbranch_execz .LBB597_105
; %bb.104:                              ;   in Loop: Header=BB597_96 Depth=2
	global_load_b32 v143, v[62:63], off offset:256
.LBB597_105:                            ;   in Loop: Header=BB597_96 Depth=2
	s_wait_xcnt 0x0
	s_or_b32 exec_lo, exec_lo, s15
	s_delay_alu instid0(SALU_CYCLE_1)
	s_mov_b32 s15, exec_lo
	v_cmpx_gt_u32_e64 s55, v104
	s_cbranch_execz .LBB597_107
; %bb.106:                              ;   in Loop: Header=BB597_96 Depth=2
	global_load_b32 v147, v[62:63], off offset:384
.LBB597_107:                            ;   in Loop: Header=BB597_96 Depth=2
	s_wait_xcnt 0x0
	s_or_b32 exec_lo, exec_lo, s15
	s_wait_loadcnt 0x9
	v_bfrev_b32_e32 v155, -2
	v_bfrev_b32_e32 v151, -2
	s_mov_b32 s15, exec_lo
	v_cmpx_gt_u32_e64 s55, v105
	s_cbranch_execz .LBB597_109
; %bb.108:                              ;   in Loop: Header=BB597_96 Depth=2
	global_load_b32 v151, v[62:63], off offset:512
.LBB597_109:                            ;   in Loop: Header=BB597_96 Depth=2
	;; [unrolled: 20-line block ×6, first 2 shown]
	s_wait_xcnt 0x0
	s_or_b32 exec_lo, exec_lo, s15
	s_delay_alu instid0(SALU_CYCLE_1)
	s_mov_b32 s15, exec_lo
	v_cmpx_gt_u32_e64 s55, v114
	s_cbranch_execz .LBB597_127
; %bb.126:                              ;   in Loop: Header=BB597_96 Depth=2
	global_load_b32 v65, v[62:63], off offset:1664
.LBB597_127:                            ;   in Loop: Header=BB597_96 Depth=2
	s_wait_xcnt 0x0
	s_or_b32 exec_lo, exec_lo, s15
	s_wait_loadcnt 0x0
	v_bfrev_b32_e32 v64, -2
	s_mov_b32 s15, exec_lo
	v_cmpx_gt_u32_e64 s55, v115
	s_cbranch_execz .LBB597_129
; %bb.128:                              ;   in Loop: Header=BB597_96 Depth=2
	global_load_b32 v64, v[62:63], off offset:1792
.LBB597_129:                            ;   in Loop: Header=BB597_96 Depth=2
	s_wait_xcnt 0x0
	s_or_b32 exec_lo, exec_lo, s15
	v_cmp_gt_u32_e64 s15, s55, v116
	s_sub_co_i32 s16, s51, s30
.LBB597_130:                            ;   in Loop: Header=BB597_96 Depth=2
	v_dual_mov_b32 v138, -1 :: v_dual_mov_b32 v137, s55
	s_wait_xcnt 0x0
	s_and_saveexec_b32 s17, s15
	s_cbranch_execz .LBB597_132
; %bb.131:                              ;   in Loop: Header=BB597_96 Depth=2
	v_lshl_add_u64 v[62:63], s[30:31], 2, v[28:29]
	v_mov_b32_e32 v137, s16
	global_load_b32 v62, v[62:63], off offset:1920
	s_wait_loadcnt 0x0
	v_xor_b32_e32 v138, 0x80000000, v62
.LBB597_132:                            ;   in Loop: Header=BB597_96 Depth=2
	s_wait_xcnt 0x0
	s_or_b32 exec_lo, exec_lo, s17
	s_wait_loadcnt 0xe
	v_xor_b32_e32 v139, 0x80000000, v139
	ds_store_2addr_b32 v5, v1, v1 offset1:1
	ds_store_2addr_b32 v117, v1, v1 offset1:1
	;; [unrolled: 1-line block ×4, first 2 shown]
	ds_store_b32 v91, v1 offset:1088
	s_wait_loadcnt_dscnt 0x0
	s_barrier_signal -1
	v_lshrrev_b32_e32 v62, s43, v139
	s_barrier_wait -1
	; wave barrier
	s_delay_alu instid0(VALU_DEP_1) | instskip(NEXT) | instid1(VALU_DEP_1)
	v_and_b32_e32 v142, s48, v62
	v_lshlrev_b32_e32 v141, 30, v142
	v_bitop3_b32 v63, v62, 1, s48 bitop3:0x80
	s_delay_alu instid0(VALU_DEP_1) | instskip(NEXT) | instid1(VALU_DEP_1)
	v_add_co_u32 v62, s15, v63, -1
	v_cndmask_b32_e64 v63, 0, 1, s15
	s_delay_alu instid0(VALU_DEP_4) | instskip(NEXT) | instid1(VALU_DEP_2)
	v_cmp_gt_i32_e64 s15, 0, v141
	v_cmp_ne_u32_e32 vcc_lo, 0, v63
	v_not_b32_e32 v63, v141
	s_delay_alu instid0(VALU_DEP_1) | instskip(SKIP_3) | instid1(VALU_DEP_4)
	v_dual_ashrrev_i32 v63, 31, v63 :: v_dual_lshlrev_b32 v144, 29, v142
	v_dual_lshlrev_b32 v145, 28, v142 :: v_dual_lshlrev_b32 v146, 27, v142
	v_dual_lshlrev_b32 v148, 26, v142 :: v_dual_lshlrev_b32 v149, 25, v142
	v_lshlrev_b32_e32 v150, 24, v142
	v_cmp_gt_i32_e64 s16, 0, v144
	v_not_b32_e32 v141, v144
	v_not_b32_e32 v144, v145
	v_cmp_gt_i32_e64 s17, 0, v145
	v_cmp_gt_i32_e64 s18, 0, v146
	v_not_b32_e32 v145, v146
	v_not_b32_e32 v146, v148
	v_dual_ashrrev_i32 v141, 31, v141 :: v_dual_bitop2_b32 v62, vcc_lo, v62 bitop3:0x14
	v_dual_ashrrev_i32 v144, 31, v144 :: v_dual_bitop2_b32 v63, s15, v63 bitop3:0x14
	v_cmp_gt_i32_e64 s19, 0, v148
	v_not_b32_e32 v148, v149
	s_delay_alu instid0(VALU_DEP_3)
	v_dual_ashrrev_i32 v145, 31, v145 :: v_dual_bitop2_b32 v144, s17, v144 bitop3:0x14
	v_dual_ashrrev_i32 v146, 31, v146 :: v_dual_bitop2_b32 v141, s16, v141 bitop3:0x14
	v_bitop3_b32 v62, v62, v63, exec_lo bitop3:0x80
	v_not_b32_e32 v63, v150
	v_cmp_gt_i32_e64 s20, 0, v149
	v_dual_ashrrev_i32 v148, 31, v148 :: v_dual_bitop2_b32 v145, s18, v145 bitop3:0x14
	s_delay_alu instid0(VALU_DEP_4) | instskip(SKIP_2) | instid1(VALU_DEP_4)
	v_bitop3_b32 v62, v62, v144, v141 bitop3:0x80
	v_cmp_gt_i32_e32 vcc_lo, 0, v150
	v_dual_ashrrev_i32 v63, 31, v63 :: v_dual_bitop2_b32 v141, s19, v146 bitop3:0x14
	v_xor_b32_e32 v144, s20, v148
	s_delay_alu instid0(VALU_DEP_2) | instskip(NEXT) | instid1(VALU_DEP_3)
	v_xor_b32_e32 v63, vcc_lo, v63
	v_bitop3_b32 v62, v62, v141, v145 bitop3:0x80
	s_delay_alu instid0(VALU_DEP_1) | instskip(SKIP_1) | instid1(VALU_DEP_2)
	v_bitop3_b32 v62, v62, v63, v144 bitop3:0x80
	v_mul_u32_u24_e32 v63, 36, v142
	v_mbcnt_lo_u32_b32 v141, v62, 0
	v_cmp_ne_u32_e64 s15, 0, v62
	s_delay_alu instid0(VALU_DEP_3) | instskip(NEXT) | instid1(VALU_DEP_3)
	v_add_nc_u32_e32 v142, v25, v63
	v_cmp_eq_u32_e32 vcc_lo, 0, v141
	s_and_b32 s16, s15, vcc_lo
	s_delay_alu instid0(SALU_CYCLE_1)
	s_and_saveexec_b32 s15, s16
; %bb.133:                              ;   in Loop: Header=BB597_96 Depth=2
	v_bcnt_u32_b32 v62, v62, 0
	ds_store_b32 v142, v62 offset:1056
; %bb.134:                              ;   in Loop: Header=BB597_96 Depth=2
	s_or_b32 exec_lo, exec_lo, s15
	v_xor_b32_e32 v140, 0x80000000, v140
	; wave barrier
	s_delay_alu instid0(VALU_DEP_1) | instskip(NEXT) | instid1(VALU_DEP_1)
	v_lshrrev_b32_e32 v62, s43, v140
	v_and_b32_e32 v146, s48, v62
	s_delay_alu instid0(VALU_DEP_1) | instskip(SKIP_1) | instid1(VALU_DEP_1)
	v_lshlrev_b32_e32 v144, 30, v146
	v_bitop3_b32 v63, v62, 1, s48 bitop3:0x80
	v_add_co_u32 v62, s15, v63, -1
	s_delay_alu instid0(VALU_DEP_1) | instskip(NEXT) | instid1(VALU_DEP_4)
	v_cndmask_b32_e64 v63, 0, 1, s15
	v_cmp_gt_i32_e64 s15, 0, v144
	s_delay_alu instid0(VALU_DEP_2) | instskip(SKIP_1) | instid1(VALU_DEP_1)
	v_cmp_ne_u32_e32 vcc_lo, 0, v63
	v_not_b32_e32 v63, v144
	v_dual_ashrrev_i32 v63, 31, v63 :: v_dual_lshlrev_b32 v145, 29, v146
	v_dual_lshlrev_b32 v148, 28, v146 :: v_dual_lshlrev_b32 v149, 27, v146
	v_dual_lshlrev_b32 v150, 26, v146 :: v_dual_lshlrev_b32 v152, 25, v146
	v_lshlrev_b32_e32 v153, 24, v146
	s_delay_alu instid0(VALU_DEP_4)
	v_cmp_gt_i32_e64 s16, 0, v145
	v_not_b32_e32 v144, v145
	v_not_b32_e32 v145, v148
	v_cmp_gt_i32_e64 s17, 0, v148
	v_cmp_gt_i32_e64 s18, 0, v149
	v_not_b32_e32 v148, v149
	v_not_b32_e32 v149, v150
	v_dual_ashrrev_i32 v144, 31, v144 :: v_dual_bitop2_b32 v62, vcc_lo, v62 bitop3:0x14
	v_dual_ashrrev_i32 v145, 31, v145 :: v_dual_bitop2_b32 v63, s15, v63 bitop3:0x14
	v_cmp_gt_i32_e64 s19, 0, v150
	s_delay_alu instid0(VALU_DEP_4) | instskip(SKIP_1) | instid1(VALU_DEP_4)
	v_dual_ashrrev_i32 v148, 31, v148 :: v_dual_ashrrev_i32 v149, 31, v149
	v_not_b32_e32 v150, v153
	v_xor_b32_e32 v145, s17, v145
	v_bitop3_b32 v62, v62, v63, exec_lo bitop3:0x80
	v_not_b32_e32 v63, v152
	v_xor_b32_e32 v144, s16, v144
	v_cmp_gt_i32_e64 s20, 0, v152
	v_xor_b32_e32 v148, s18, v148
	s_delay_alu instid0(VALU_DEP_4) | instskip(NEXT) | instid1(VALU_DEP_4)
	v_dual_ashrrev_i32 v63, 31, v63 :: v_dual_bitop2_b32 v149, s19, v149 bitop3:0x14
	v_bitop3_b32 v62, v62, v145, v144 bitop3:0x80
	v_cmp_gt_i32_e32 vcc_lo, 0, v153
	v_ashrrev_i32_e32 v144, 31, v150
	v_mad_u32_u24 v145, v146, 36, v25
	v_xor_b32_e32 v63, s20, v63
	v_bitop3_b32 v62, v62, v149, v148 bitop3:0x80
	s_delay_alu instid0(VALU_DEP_4) | instskip(SKIP_3) | instid1(VALU_DEP_2)
	v_xor_b32_e32 v148, vcc_lo, v144
	ds_load_b32 v144, v145 offset:1056
	; wave barrier
	v_bitop3_b32 v62, v62, v148, v63 bitop3:0x80
	v_mul_u32_u24_e32 v63, 36, v146
	v_mbcnt_lo_u32_b32 v145, v62, 0
	v_cmp_ne_u32_e64 s15, 0, v62
	s_delay_alu instid0(VALU_DEP_3) | instskip(NEXT) | instid1(VALU_DEP_3)
	v_add_nc_u32_e32 v146, v25, v63
	v_cmp_eq_u32_e32 vcc_lo, 0, v145
	s_and_b32 s16, s15, vcc_lo
	s_delay_alu instid0(SALU_CYCLE_1)
	s_and_saveexec_b32 s15, s16
	s_cbranch_execz .LBB597_136
; %bb.135:                              ;   in Loop: Header=BB597_96 Depth=2
	s_wait_dscnt 0x0
	v_bcnt_u32_b32 v62, v62, v144
	ds_store_b32 v146, v62 offset:1056
.LBB597_136:                            ;   in Loop: Header=BB597_96 Depth=2
	s_or_b32 exec_lo, exec_lo, s15
	v_xor_b32_e32 v143, 0x80000000, v143
	; wave barrier
	s_delay_alu instid0(VALU_DEP_1) | instskip(NEXT) | instid1(VALU_DEP_1)
	v_lshrrev_b32_e32 v62, s43, v143
	v_and_b32_e32 v150, s48, v62
	s_delay_alu instid0(VALU_DEP_1) | instskip(SKIP_1) | instid1(VALU_DEP_1)
	v_lshlrev_b32_e32 v148, 30, v150
	v_bitop3_b32 v63, v62, 1, s48 bitop3:0x80
	v_add_co_u32 v62, s15, v63, -1
	s_delay_alu instid0(VALU_DEP_1) | instskip(NEXT) | instid1(VALU_DEP_4)
	v_cndmask_b32_e64 v63, 0, 1, s15
	v_cmp_gt_i32_e64 s15, 0, v148
	s_delay_alu instid0(VALU_DEP_2) | instskip(SKIP_1) | instid1(VALU_DEP_1)
	v_cmp_ne_u32_e32 vcc_lo, 0, v63
	v_not_b32_e32 v63, v148
	v_dual_ashrrev_i32 v63, 31, v63 :: v_dual_lshlrev_b32 v149, 29, v150
	v_dual_lshlrev_b32 v152, 28, v150 :: v_dual_lshlrev_b32 v153, 27, v150
	v_dual_lshlrev_b32 v154, 26, v150 :: v_dual_lshlrev_b32 v156, 25, v150
	v_lshlrev_b32_e32 v157, 24, v150
	s_delay_alu instid0(VALU_DEP_4)
	v_cmp_gt_i32_e64 s16, 0, v149
	v_not_b32_e32 v148, v149
	v_not_b32_e32 v149, v152
	v_cmp_gt_i32_e64 s17, 0, v152
	v_cmp_gt_i32_e64 s18, 0, v153
	v_not_b32_e32 v152, v153
	v_not_b32_e32 v153, v154
	v_dual_ashrrev_i32 v148, 31, v148 :: v_dual_bitop2_b32 v62, vcc_lo, v62 bitop3:0x14
	v_dual_ashrrev_i32 v149, 31, v149 :: v_dual_bitop2_b32 v63, s15, v63 bitop3:0x14
	v_cmp_gt_i32_e64 s19, 0, v154
	s_delay_alu instid0(VALU_DEP_4) | instskip(SKIP_1) | instid1(VALU_DEP_4)
	v_dual_ashrrev_i32 v152, 31, v152 :: v_dual_ashrrev_i32 v153, 31, v153
	v_not_b32_e32 v154, v157
	v_xor_b32_e32 v149, s17, v149
	v_bitop3_b32 v62, v62, v63, exec_lo bitop3:0x80
	v_not_b32_e32 v63, v156
	v_xor_b32_e32 v148, s16, v148
	v_cmp_gt_i32_e64 s20, 0, v156
	v_xor_b32_e32 v152, s18, v152
	s_delay_alu instid0(VALU_DEP_4) | instskip(NEXT) | instid1(VALU_DEP_4)
	v_dual_ashrrev_i32 v63, 31, v63 :: v_dual_bitop2_b32 v153, s19, v153 bitop3:0x14
	v_bitop3_b32 v62, v62, v149, v148 bitop3:0x80
	v_cmp_gt_i32_e32 vcc_lo, 0, v157
	v_ashrrev_i32_e32 v148, 31, v154
	v_mad_u32_u24 v149, v150, 36, v25
	v_xor_b32_e32 v63, s20, v63
	v_bitop3_b32 v62, v62, v153, v152 bitop3:0x80
	s_delay_alu instid0(VALU_DEP_4) | instskip(SKIP_3) | instid1(VALU_DEP_2)
	v_xor_b32_e32 v152, vcc_lo, v148
	ds_load_b32 v148, v149 offset:1056
	; wave barrier
	v_bitop3_b32 v62, v62, v152, v63 bitop3:0x80
	v_mul_u32_u24_e32 v63, 36, v150
	v_mbcnt_lo_u32_b32 v149, v62, 0
	v_cmp_ne_u32_e64 s15, 0, v62
	s_delay_alu instid0(VALU_DEP_3) | instskip(NEXT) | instid1(VALU_DEP_3)
	v_add_nc_u32_e32 v150, v25, v63
	v_cmp_eq_u32_e32 vcc_lo, 0, v149
	s_and_b32 s16, s15, vcc_lo
	s_delay_alu instid0(SALU_CYCLE_1)
	s_and_saveexec_b32 s15, s16
	s_cbranch_execz .LBB597_138
; %bb.137:                              ;   in Loop: Header=BB597_96 Depth=2
	s_wait_dscnt 0x0
	v_bcnt_u32_b32 v62, v62, v148
	ds_store_b32 v150, v62 offset:1056
.LBB597_138:                            ;   in Loop: Header=BB597_96 Depth=2
	s_or_b32 exec_lo, exec_lo, s15
	v_xor_b32_e32 v147, 0x80000000, v147
	; wave barrier
	s_delay_alu instid0(VALU_DEP_1) | instskip(NEXT) | instid1(VALU_DEP_1)
	v_lshrrev_b32_e32 v62, s43, v147
	v_and_b32_e32 v154, s48, v62
	s_delay_alu instid0(VALU_DEP_1) | instskip(SKIP_1) | instid1(VALU_DEP_1)
	v_lshlrev_b32_e32 v152, 30, v154
	v_bitop3_b32 v63, v62, 1, s48 bitop3:0x80
	v_add_co_u32 v62, s15, v63, -1
	s_delay_alu instid0(VALU_DEP_1) | instskip(NEXT) | instid1(VALU_DEP_4)
	v_cndmask_b32_e64 v63, 0, 1, s15
	v_cmp_gt_i32_e64 s15, 0, v152
	s_delay_alu instid0(VALU_DEP_2) | instskip(SKIP_1) | instid1(VALU_DEP_1)
	v_cmp_ne_u32_e32 vcc_lo, 0, v63
	v_not_b32_e32 v63, v152
	v_dual_ashrrev_i32 v63, 31, v63 :: v_dual_lshlrev_b32 v153, 29, v154
	v_dual_lshlrev_b32 v156, 28, v154 :: v_dual_lshlrev_b32 v157, 27, v154
	v_dual_lshlrev_b32 v158, 26, v154 :: v_dual_lshlrev_b32 v160, 25, v154
	v_lshlrev_b32_e32 v161, 24, v154
	s_delay_alu instid0(VALU_DEP_4)
	v_cmp_gt_i32_e64 s16, 0, v153
	v_not_b32_e32 v152, v153
	v_not_b32_e32 v153, v156
	v_cmp_gt_i32_e64 s17, 0, v156
	v_cmp_gt_i32_e64 s18, 0, v157
	v_not_b32_e32 v156, v157
	v_not_b32_e32 v157, v158
	v_dual_ashrrev_i32 v152, 31, v152 :: v_dual_bitop2_b32 v62, vcc_lo, v62 bitop3:0x14
	v_dual_ashrrev_i32 v153, 31, v153 :: v_dual_bitop2_b32 v63, s15, v63 bitop3:0x14
	v_cmp_gt_i32_e64 s19, 0, v158
	s_delay_alu instid0(VALU_DEP_4) | instskip(SKIP_1) | instid1(VALU_DEP_4)
	v_dual_ashrrev_i32 v156, 31, v156 :: v_dual_ashrrev_i32 v157, 31, v157
	v_not_b32_e32 v158, v161
	v_xor_b32_e32 v153, s17, v153
	v_bitop3_b32 v62, v62, v63, exec_lo bitop3:0x80
	v_not_b32_e32 v63, v160
	v_xor_b32_e32 v152, s16, v152
	v_cmp_gt_i32_e64 s20, 0, v160
	v_xor_b32_e32 v156, s18, v156
	s_delay_alu instid0(VALU_DEP_4) | instskip(NEXT) | instid1(VALU_DEP_4)
	v_dual_ashrrev_i32 v63, 31, v63 :: v_dual_bitop2_b32 v157, s19, v157 bitop3:0x14
	v_bitop3_b32 v62, v62, v153, v152 bitop3:0x80
	v_cmp_gt_i32_e32 vcc_lo, 0, v161
	v_ashrrev_i32_e32 v152, 31, v158
	v_mad_u32_u24 v153, v154, 36, v25
	v_xor_b32_e32 v63, s20, v63
	v_bitop3_b32 v62, v62, v157, v156 bitop3:0x80
	s_delay_alu instid0(VALU_DEP_4) | instskip(SKIP_3) | instid1(VALU_DEP_2)
	v_xor_b32_e32 v156, vcc_lo, v152
	ds_load_b32 v152, v153 offset:1056
	; wave barrier
	v_bitop3_b32 v62, v62, v156, v63 bitop3:0x80
	v_mul_u32_u24_e32 v63, 36, v154
	v_mbcnt_lo_u32_b32 v153, v62, 0
	v_cmp_ne_u32_e64 s15, 0, v62
	s_delay_alu instid0(VALU_DEP_3) | instskip(NEXT) | instid1(VALU_DEP_3)
	v_add_nc_u32_e32 v154, v25, v63
	v_cmp_eq_u32_e32 vcc_lo, 0, v153
	s_and_b32 s16, s15, vcc_lo
	s_delay_alu instid0(SALU_CYCLE_1)
	s_and_saveexec_b32 s15, s16
	s_cbranch_execz .LBB597_140
; %bb.139:                              ;   in Loop: Header=BB597_96 Depth=2
	s_wait_dscnt 0x0
	v_bcnt_u32_b32 v62, v62, v152
	ds_store_b32 v154, v62 offset:1056
.LBB597_140:                            ;   in Loop: Header=BB597_96 Depth=2
	s_or_b32 exec_lo, exec_lo, s15
	v_xor_b32_e32 v151, 0x80000000, v151
	; wave barrier
	s_delay_alu instid0(VALU_DEP_1) | instskip(NEXT) | instid1(VALU_DEP_1)
	v_lshrrev_b32_e32 v62, s43, v151
	v_and_b32_e32 v158, s48, v62
	s_delay_alu instid0(VALU_DEP_1) | instskip(SKIP_1) | instid1(VALU_DEP_1)
	v_lshlrev_b32_e32 v156, 30, v158
	v_bitop3_b32 v63, v62, 1, s48 bitop3:0x80
	v_add_co_u32 v62, s15, v63, -1
	s_delay_alu instid0(VALU_DEP_1) | instskip(NEXT) | instid1(VALU_DEP_4)
	v_cndmask_b32_e64 v63, 0, 1, s15
	v_cmp_gt_i32_e64 s15, 0, v156
	s_delay_alu instid0(VALU_DEP_2) | instskip(SKIP_1) | instid1(VALU_DEP_1)
	v_cmp_ne_u32_e32 vcc_lo, 0, v63
	v_not_b32_e32 v63, v156
	v_dual_ashrrev_i32 v63, 31, v63 :: v_dual_lshlrev_b32 v157, 29, v158
	v_dual_lshlrev_b32 v160, 28, v158 :: v_dual_lshlrev_b32 v161, 27, v158
	v_dual_lshlrev_b32 v162, 26, v158 :: v_dual_lshlrev_b32 v164, 25, v158
	v_lshlrev_b32_e32 v165, 24, v158
	s_delay_alu instid0(VALU_DEP_4)
	v_cmp_gt_i32_e64 s16, 0, v157
	v_not_b32_e32 v156, v157
	v_not_b32_e32 v157, v160
	v_cmp_gt_i32_e64 s17, 0, v160
	v_cmp_gt_i32_e64 s18, 0, v161
	v_not_b32_e32 v160, v161
	v_not_b32_e32 v161, v162
	v_dual_ashrrev_i32 v156, 31, v156 :: v_dual_bitop2_b32 v62, vcc_lo, v62 bitop3:0x14
	v_dual_ashrrev_i32 v157, 31, v157 :: v_dual_bitop2_b32 v63, s15, v63 bitop3:0x14
	v_cmp_gt_i32_e64 s19, 0, v162
	s_delay_alu instid0(VALU_DEP_4) | instskip(SKIP_1) | instid1(VALU_DEP_4)
	v_dual_ashrrev_i32 v160, 31, v160 :: v_dual_ashrrev_i32 v161, 31, v161
	v_not_b32_e32 v162, v165
	v_xor_b32_e32 v157, s17, v157
	v_bitop3_b32 v62, v62, v63, exec_lo bitop3:0x80
	v_not_b32_e32 v63, v164
	v_xor_b32_e32 v156, s16, v156
	v_cmp_gt_i32_e64 s20, 0, v164
	v_xor_b32_e32 v160, s18, v160
	s_delay_alu instid0(VALU_DEP_4) | instskip(NEXT) | instid1(VALU_DEP_4)
	v_dual_ashrrev_i32 v63, 31, v63 :: v_dual_bitop2_b32 v161, s19, v161 bitop3:0x14
	v_bitop3_b32 v62, v62, v157, v156 bitop3:0x80
	v_cmp_gt_i32_e32 vcc_lo, 0, v165
	v_ashrrev_i32_e32 v156, 31, v162
	v_mad_u32_u24 v157, v158, 36, v25
	v_xor_b32_e32 v63, s20, v63
	v_bitop3_b32 v62, v62, v161, v160 bitop3:0x80
	s_delay_alu instid0(VALU_DEP_4) | instskip(SKIP_3) | instid1(VALU_DEP_2)
	v_xor_b32_e32 v160, vcc_lo, v156
	ds_load_b32 v156, v157 offset:1056
	; wave barrier
	v_bitop3_b32 v62, v62, v160, v63 bitop3:0x80
	v_mul_u32_u24_e32 v63, 36, v158
	v_mbcnt_lo_u32_b32 v157, v62, 0
	v_cmp_ne_u32_e64 s15, 0, v62
	s_delay_alu instid0(VALU_DEP_3) | instskip(NEXT) | instid1(VALU_DEP_3)
	v_add_nc_u32_e32 v158, v25, v63
	v_cmp_eq_u32_e32 vcc_lo, 0, v157
	s_and_b32 s16, s15, vcc_lo
	s_delay_alu instid0(SALU_CYCLE_1)
	s_and_saveexec_b32 s15, s16
	s_cbranch_execz .LBB597_142
; %bb.141:                              ;   in Loop: Header=BB597_96 Depth=2
	s_wait_dscnt 0x0
	v_bcnt_u32_b32 v62, v62, v156
	ds_store_b32 v158, v62 offset:1056
.LBB597_142:                            ;   in Loop: Header=BB597_96 Depth=2
	s_or_b32 exec_lo, exec_lo, s15
	v_xor_b32_e32 v155, 0x80000000, v155
	; wave barrier
	s_delay_alu instid0(VALU_DEP_1) | instskip(NEXT) | instid1(VALU_DEP_1)
	v_lshrrev_b32_e32 v62, s43, v155
	v_and_b32_e32 v162, s48, v62
	s_delay_alu instid0(VALU_DEP_1) | instskip(SKIP_1) | instid1(VALU_DEP_1)
	v_lshlrev_b32_e32 v160, 30, v162
	v_bitop3_b32 v63, v62, 1, s48 bitop3:0x80
	v_add_co_u32 v62, s15, v63, -1
	s_delay_alu instid0(VALU_DEP_1) | instskip(NEXT) | instid1(VALU_DEP_4)
	v_cndmask_b32_e64 v63, 0, 1, s15
	v_cmp_gt_i32_e64 s15, 0, v160
	s_delay_alu instid0(VALU_DEP_2) | instskip(SKIP_1) | instid1(VALU_DEP_1)
	v_cmp_ne_u32_e32 vcc_lo, 0, v63
	v_not_b32_e32 v63, v160
	v_dual_ashrrev_i32 v63, 31, v63 :: v_dual_lshlrev_b32 v161, 29, v162
	v_dual_lshlrev_b32 v164, 28, v162 :: v_dual_lshlrev_b32 v165, 27, v162
	v_dual_lshlrev_b32 v167, 26, v162 :: v_dual_lshlrev_b32 v168, 25, v162
	v_lshlrev_b32_e32 v169, 24, v162
	s_delay_alu instid0(VALU_DEP_4)
	v_cmp_gt_i32_e64 s16, 0, v161
	v_not_b32_e32 v160, v161
	v_not_b32_e32 v161, v164
	v_cmp_gt_i32_e64 s17, 0, v164
	v_cmp_gt_i32_e64 s18, 0, v165
	v_not_b32_e32 v164, v165
	v_not_b32_e32 v165, v167
	v_dual_ashrrev_i32 v160, 31, v160 :: v_dual_bitop2_b32 v62, vcc_lo, v62 bitop3:0x14
	v_dual_ashrrev_i32 v161, 31, v161 :: v_dual_bitop2_b32 v63, s15, v63 bitop3:0x14
	v_cmp_gt_i32_e64 s19, 0, v167
	s_delay_alu instid0(VALU_DEP_4) | instskip(SKIP_1) | instid1(VALU_DEP_4)
	v_dual_ashrrev_i32 v164, 31, v164 :: v_dual_ashrrev_i32 v165, 31, v165
	v_not_b32_e32 v167, v169
	v_xor_b32_e32 v161, s17, v161
	v_bitop3_b32 v62, v62, v63, exec_lo bitop3:0x80
	v_not_b32_e32 v63, v168
	v_xor_b32_e32 v160, s16, v160
	v_cmp_gt_i32_e64 s20, 0, v168
	v_xor_b32_e32 v164, s18, v164
	s_delay_alu instid0(VALU_DEP_4) | instskip(NEXT) | instid1(VALU_DEP_4)
	v_dual_ashrrev_i32 v63, 31, v63 :: v_dual_bitop2_b32 v165, s19, v165 bitop3:0x14
	v_bitop3_b32 v62, v62, v161, v160 bitop3:0x80
	v_cmp_gt_i32_e32 vcc_lo, 0, v169
	v_ashrrev_i32_e32 v160, 31, v167
	v_mad_u32_u24 v161, v162, 36, v25
	v_xor_b32_e32 v63, s20, v63
	v_bitop3_b32 v62, v62, v165, v164 bitop3:0x80
	s_delay_alu instid0(VALU_DEP_4) | instskip(SKIP_3) | instid1(VALU_DEP_2)
	v_xor_b32_e32 v164, vcc_lo, v160
	ds_load_b32 v160, v161 offset:1056
	; wave barrier
	v_bitop3_b32 v62, v62, v164, v63 bitop3:0x80
	v_mul_u32_u24_e32 v63, 36, v162
	v_mbcnt_lo_u32_b32 v161, v62, 0
	v_cmp_ne_u32_e64 s15, 0, v62
	s_delay_alu instid0(VALU_DEP_3) | instskip(NEXT) | instid1(VALU_DEP_3)
	v_add_nc_u32_e32 v162, v25, v63
	v_cmp_eq_u32_e32 vcc_lo, 0, v161
	s_and_b32 s16, s15, vcc_lo
	s_delay_alu instid0(SALU_CYCLE_1)
	s_and_saveexec_b32 s15, s16
	s_cbranch_execz .LBB597_144
; %bb.143:                              ;   in Loop: Header=BB597_96 Depth=2
	s_wait_dscnt 0x0
	v_bcnt_u32_b32 v62, v62, v160
	ds_store_b32 v162, v62 offset:1056
.LBB597_144:                            ;   in Loop: Header=BB597_96 Depth=2
	s_or_b32 exec_lo, exec_lo, s15
	v_xor_b32_e32 v159, 0x80000000, v159
	; wave barrier
	s_delay_alu instid0(VALU_DEP_1) | instskip(NEXT) | instid1(VALU_DEP_1)
	v_lshrrev_b32_e32 v62, s43, v159
	v_bitop3_b32 v63, v62, 1, s48 bitop3:0x80
	v_and_b32_e32 v167, s48, v62
	s_delay_alu instid0(VALU_DEP_2) | instskip(NEXT) | instid1(VALU_DEP_1)
	v_add_co_u32 v62, s15, v63, -1
	v_cndmask_b32_e64 v63, 0, 1, s15
	s_delay_alu instid0(VALU_DEP_3) | instskip(NEXT) | instid1(VALU_DEP_2)
	v_lshlrev_b32_e32 v164, 30, v167
	v_cmp_ne_u32_e32 vcc_lo, 0, v63
	s_delay_alu instid0(VALU_DEP_2) | instskip(NEXT) | instid1(VALU_DEP_1)
	v_not_b32_e32 v63, v164
	v_dual_ashrrev_i32 v63, 31, v63 :: v_dual_bitop2_b32 v62, vcc_lo, v62 bitop3:0x14
	v_dual_lshlrev_b32 v165, 29, v167 :: v_dual_lshlrev_b32 v168, 28, v167
	v_dual_lshlrev_b32 v169, 27, v167 :: v_dual_lshlrev_b32 v170, 26, v167
	v_lshlrev_b32_e32 v171, 25, v167
	v_cmp_gt_i32_e64 s15, 0, v164
	s_delay_alu instid0(VALU_DEP_4)
	v_cmp_gt_i32_e64 s16, 0, v165
	v_not_b32_e32 v164, v165
	v_not_b32_e32 v165, v168
	v_lshlrev_b32_e32 v172, 24, v167
	v_cmp_gt_i32_e64 s17, 0, v168
	v_cmp_gt_i32_e64 s18, 0, v169
	v_not_b32_e32 v168, v169
	v_not_b32_e32 v169, v170
	v_dual_ashrrev_i32 v164, 31, v164 :: v_dual_ashrrev_i32 v165, 31, v165
	v_xor_b32_e32 v63, s15, v63
	v_cmp_gt_i32_e64 s19, 0, v170
	s_delay_alu instid0(VALU_DEP_4)
	v_dual_ashrrev_i32 v168, 31, v168 :: v_dual_ashrrev_i32 v169, 31, v169
	v_not_b32_e32 v170, v172
	v_xor_b32_e32 v165, s17, v165
	v_bitop3_b32 v62, v62, v63, exec_lo bitop3:0x80
	v_not_b32_e32 v63, v171
	v_xor_b32_e32 v164, s16, v164
	v_cmp_gt_i32_e64 s20, 0, v171
	v_xor_b32_e32 v168, s18, v168
	s_delay_alu instid0(VALU_DEP_4) | instskip(NEXT) | instid1(VALU_DEP_4)
	v_dual_ashrrev_i32 v63, 31, v63 :: v_dual_bitop2_b32 v169, s19, v169 bitop3:0x14
	v_bitop3_b32 v62, v62, v165, v164 bitop3:0x80
	v_cmp_gt_i32_e32 vcc_lo, 0, v172
	v_ashrrev_i32_e32 v164, 31, v170
	v_mad_u32_u24 v165, v167, 36, v25
	v_xor_b32_e32 v63, s20, v63
	v_bitop3_b32 v62, v62, v169, v168 bitop3:0x80
	s_delay_alu instid0(VALU_DEP_4) | instskip(SKIP_3) | instid1(VALU_DEP_2)
	v_xor_b32_e32 v168, vcc_lo, v164
	ds_load_b32 v164, v165 offset:1056
	; wave barrier
	v_bitop3_b32 v62, v62, v168, v63 bitop3:0x80
	v_mul_u32_u24_e32 v63, 36, v167
	v_mbcnt_lo_u32_b32 v165, v62, 0
	v_cmp_ne_u32_e64 s15, 0, v62
	s_delay_alu instid0(VALU_DEP_3) | instskip(NEXT) | instid1(VALU_DEP_3)
	v_add_nc_u32_e32 v167, v25, v63
	v_cmp_eq_u32_e32 vcc_lo, 0, v165
	s_and_b32 s16, s15, vcc_lo
	s_delay_alu instid0(SALU_CYCLE_1)
	s_and_saveexec_b32 s15, s16
	s_cbranch_execz .LBB597_146
; %bb.145:                              ;   in Loop: Header=BB597_96 Depth=2
	s_wait_dscnt 0x0
	v_bcnt_u32_b32 v62, v62, v164
	ds_store_b32 v167, v62 offset:1056
.LBB597_146:                            ;   in Loop: Header=BB597_96 Depth=2
	s_or_b32 exec_lo, exec_lo, s15
	v_xor_b32_e32 v163, 0x80000000, v163
	; wave barrier
	s_delay_alu instid0(VALU_DEP_1) | instskip(NEXT) | instid1(VALU_DEP_1)
	v_lshrrev_b32_e32 v62, s43, v163
	v_and_b32_e32 v170, s48, v62
	s_delay_alu instid0(VALU_DEP_1) | instskip(SKIP_1) | instid1(VALU_DEP_1)
	v_lshlrev_b32_e32 v168, 30, v170
	v_bitop3_b32 v63, v62, 1, s48 bitop3:0x80
	v_add_co_u32 v62, s15, v63, -1
	s_delay_alu instid0(VALU_DEP_1) | instskip(NEXT) | instid1(VALU_DEP_4)
	v_cndmask_b32_e64 v63, 0, 1, s15
	v_cmp_gt_i32_e64 s15, 0, v168
	s_delay_alu instid0(VALU_DEP_2) | instskip(SKIP_1) | instid1(VALU_DEP_1)
	v_cmp_ne_u32_e32 vcc_lo, 0, v63
	v_not_b32_e32 v63, v168
	v_dual_ashrrev_i32 v63, 31, v63 :: v_dual_lshlrev_b32 v169, 29, v170
	v_dual_lshlrev_b32 v171, 28, v170 :: v_dual_lshlrev_b32 v172, 27, v170
	v_dual_lshlrev_b32 v173, 26, v170 :: v_dual_lshlrev_b32 v174, 25, v170
	v_lshlrev_b32_e32 v175, 24, v170
	s_delay_alu instid0(VALU_DEP_4)
	v_cmp_gt_i32_e64 s16, 0, v169
	v_not_b32_e32 v168, v169
	v_not_b32_e32 v169, v171
	v_cmp_gt_i32_e64 s17, 0, v171
	v_cmp_gt_i32_e64 s18, 0, v172
	v_not_b32_e32 v171, v172
	v_not_b32_e32 v172, v173
	v_dual_ashrrev_i32 v168, 31, v168 :: v_dual_bitop2_b32 v62, vcc_lo, v62 bitop3:0x14
	v_dual_ashrrev_i32 v169, 31, v169 :: v_dual_bitop2_b32 v63, s15, v63 bitop3:0x14
	v_cmp_gt_i32_e64 s19, 0, v173
	s_delay_alu instid0(VALU_DEP_4) | instskip(NEXT) | instid1(VALU_DEP_3)
	v_dual_ashrrev_i32 v171, 31, v171 :: v_dual_ashrrev_i32 v172, 31, v172
	v_xor_b32_e32 v169, s17, v169
	s_delay_alu instid0(VALU_DEP_4)
	v_bitop3_b32 v62, v62, v63, exec_lo bitop3:0x80
	v_not_b32_e32 v63, v174
	v_xor_b32_e32 v168, s16, v168
	v_not_b32_e32 v173, v175
	v_cmp_gt_i32_e64 s20, 0, v174
	v_xor_b32_e32 v171, s18, v171
	v_dual_ashrrev_i32 v63, 31, v63 :: v_dual_bitop2_b32 v172, s19, v172 bitop3:0x14
	v_bitop3_b32 v62, v62, v169, v168 bitop3:0x80
	v_cmp_gt_i32_e32 vcc_lo, 0, v175
	v_ashrrev_i32_e32 v168, 31, v173
	v_mad_u32_u24 v169, v170, 36, v25
	v_xor_b32_e32 v63, s20, v63
	v_bitop3_b32 v62, v62, v172, v171 bitop3:0x80
	s_delay_alu instid0(VALU_DEP_4) | instskip(SKIP_3) | instid1(VALU_DEP_2)
	v_xor_b32_e32 v171, vcc_lo, v168
	ds_load_b32 v168, v169 offset:1056
	; wave barrier
	v_bitop3_b32 v62, v62, v171, v63 bitop3:0x80
	v_mul_u32_u24_e32 v63, 36, v170
	v_mbcnt_lo_u32_b32 v169, v62, 0
	v_cmp_ne_u32_e64 s15, 0, v62
	s_delay_alu instid0(VALU_DEP_3) | instskip(NEXT) | instid1(VALU_DEP_3)
	v_add_nc_u32_e32 v170, v25, v63
	v_cmp_eq_u32_e32 vcc_lo, 0, v169
	s_and_b32 s16, s15, vcc_lo
	s_delay_alu instid0(SALU_CYCLE_1)
	s_and_saveexec_b32 s15, s16
	s_cbranch_execz .LBB597_148
; %bb.147:                              ;   in Loop: Header=BB597_96 Depth=2
	s_wait_dscnt 0x0
	v_bcnt_u32_b32 v62, v62, v168
	ds_store_b32 v170, v62 offset:1056
.LBB597_148:                            ;   in Loop: Header=BB597_96 Depth=2
	s_or_b32 exec_lo, exec_lo, s15
	v_xor_b32_e32 v166, 0x80000000, v166
	; wave barrier
	s_delay_alu instid0(VALU_DEP_1) | instskip(NEXT) | instid1(VALU_DEP_1)
	v_lshrrev_b32_e32 v62, s43, v166
	v_and_b32_e32 v171, s48, v62
	s_delay_alu instid0(VALU_DEP_1) | instskip(SKIP_1) | instid1(VALU_DEP_1)
	v_lshlrev_b32_e32 v172, 30, v171
	v_bitop3_b32 v63, v62, 1, s48 bitop3:0x80
	v_add_co_u32 v62, s15, v63, -1
	s_delay_alu instid0(VALU_DEP_1) | instskip(NEXT) | instid1(VALU_DEP_4)
	v_cndmask_b32_e64 v63, 0, 1, s15
	v_cmp_gt_i32_e64 s15, 0, v172
	s_delay_alu instid0(VALU_DEP_2) | instskip(SKIP_1) | instid1(VALU_DEP_1)
	v_cmp_ne_u32_e32 vcc_lo, 0, v63
	v_not_b32_e32 v63, v172
	v_ashrrev_i32_e32 v63, 31, v63
	v_dual_lshlrev_b32 v173, 29, v171 :: v_dual_lshlrev_b32 v174, 28, v171
	v_dual_lshlrev_b32 v175, 27, v171 :: v_dual_lshlrev_b32 v176, 26, v171
	;; [unrolled: 1-line block ×3, first 2 shown]
	s_delay_alu instid0(VALU_DEP_3)
	v_cmp_gt_i32_e64 s16, 0, v173
	v_not_b32_e32 v172, v173
	v_not_b32_e32 v173, v174
	v_cmp_gt_i32_e64 s17, 0, v174
	v_cmp_gt_i32_e64 s18, 0, v175
	v_not_b32_e32 v174, v175
	v_not_b32_e32 v175, v176
	v_dual_ashrrev_i32 v172, 31, v172 :: v_dual_bitop2_b32 v62, vcc_lo, v62 bitop3:0x14
	v_dual_ashrrev_i32 v173, 31, v173 :: v_dual_bitop2_b32 v63, s15, v63 bitop3:0x14
	v_cmp_gt_i32_e64 s19, 0, v176
	s_delay_alu instid0(VALU_DEP_4) | instskip(SKIP_1) | instid1(VALU_DEP_4)
	v_dual_ashrrev_i32 v174, 31, v174 :: v_dual_ashrrev_i32 v175, 31, v175
	v_not_b32_e32 v176, v178
	v_xor_b32_e32 v173, s17, v173
	v_bitop3_b32 v62, v62, v63, exec_lo bitop3:0x80
	v_not_b32_e32 v63, v177
	v_xor_b32_e32 v172, s16, v172
	v_cmp_gt_i32_e64 s20, 0, v177
	v_xor_b32_e32 v174, s18, v174
	v_xor_b32_e32 v175, s19, v175
	v_ashrrev_i32_e32 v63, 31, v63
	v_bitop3_b32 v62, v62, v173, v172 bitop3:0x80
	v_cmp_gt_i32_e32 vcc_lo, 0, v178
	v_ashrrev_i32_e32 v172, 31, v176
	v_mad_u32_u24 v173, v171, 36, v25
	v_xor_b32_e32 v63, s20, v63
	v_bitop3_b32 v62, v62, v175, v174 bitop3:0x80
	s_delay_alu instid0(VALU_DEP_4) | instskip(SKIP_3) | instid1(VALU_DEP_2)
	v_xor_b32_e32 v174, vcc_lo, v172
	ds_load_b32 v172, v173 offset:1056
	; wave barrier
	v_bitop3_b32 v62, v62, v174, v63 bitop3:0x80
	v_mul_u32_u24_e32 v63, 36, v171
	v_mbcnt_lo_u32_b32 v173, v62, 0
	v_cmp_ne_u32_e64 s15, 0, v62
	s_delay_alu instid0(VALU_DEP_3) | instskip(NEXT) | instid1(VALU_DEP_3)
	v_add_nc_u32_e32 v174, v25, v63
	v_cmp_eq_u32_e32 vcc_lo, 0, v173
	s_and_b32 s16, s15, vcc_lo
	s_delay_alu instid0(SALU_CYCLE_1)
	s_and_saveexec_b32 s15, s16
	s_cbranch_execz .LBB597_150
; %bb.149:                              ;   in Loop: Header=BB597_96 Depth=2
	s_wait_dscnt 0x0
	v_bcnt_u32_b32 v62, v62, v172
	ds_store_b32 v174, v62 offset:1056
.LBB597_150:                            ;   in Loop: Header=BB597_96 Depth=2
	s_or_b32 exec_lo, exec_lo, s15
	v_xor_b32_e32 v171, 0x80000000, v69
	; wave barrier
	s_delay_alu instid0(VALU_DEP_1) | instskip(NEXT) | instid1(VALU_DEP_1)
	v_lshrrev_b32_e32 v62, s43, v171
	v_and_b32_e32 v69, s48, v62
	s_delay_alu instid0(VALU_DEP_1) | instskip(SKIP_1) | instid1(VALU_DEP_1)
	v_lshlrev_b32_e32 v175, 30, v69
	v_bitop3_b32 v63, v62, 1, s48 bitop3:0x80
	v_add_co_u32 v62, s15, v63, -1
	s_delay_alu instid0(VALU_DEP_1) | instskip(NEXT) | instid1(VALU_DEP_4)
	v_cndmask_b32_e64 v63, 0, 1, s15
	v_cmp_gt_i32_e64 s15, 0, v175
	s_delay_alu instid0(VALU_DEP_2) | instskip(SKIP_1) | instid1(VALU_DEP_1)
	v_cmp_ne_u32_e32 vcc_lo, 0, v63
	v_not_b32_e32 v63, v175
	v_dual_ashrrev_i32 v63, 31, v63 :: v_dual_lshlrev_b32 v176, 29, v69
	v_dual_lshlrev_b32 v177, 28, v69 :: v_dual_lshlrev_b32 v178, 27, v69
	v_dual_lshlrev_b32 v179, 26, v69 :: v_dual_lshlrev_b32 v180, 25, v69
	v_lshlrev_b32_e32 v181, 24, v69
	s_delay_alu instid0(VALU_DEP_4)
	v_cmp_gt_i32_e64 s16, 0, v176
	v_not_b32_e32 v175, v176
	v_not_b32_e32 v176, v177
	v_cmp_gt_i32_e64 s17, 0, v177
	v_cmp_gt_i32_e64 s18, 0, v178
	v_not_b32_e32 v177, v178
	v_not_b32_e32 v178, v179
	v_dual_ashrrev_i32 v175, 31, v175 :: v_dual_bitop2_b32 v62, vcc_lo, v62 bitop3:0x14
	v_dual_ashrrev_i32 v176, 31, v176 :: v_dual_bitop2_b32 v63, s15, v63 bitop3:0x14
	v_cmp_gt_i32_e64 s19, 0, v179
	s_delay_alu instid0(VALU_DEP_4) | instskip(NEXT) | instid1(VALU_DEP_4)
	v_dual_ashrrev_i32 v177, 31, v177 :: v_dual_ashrrev_i32 v178, 31, v178
	v_xor_b32_e32 v175, s16, v175
	s_delay_alu instid0(VALU_DEP_4)
	v_bitop3_b32 v62, v62, v63, exec_lo bitop3:0x80
	v_not_b32_e32 v63, v180
	v_xor_b32_e32 v176, s17, v176
	v_not_b32_e32 v179, v181
	v_cmp_gt_i32_e64 s20, 0, v180
	v_xor_b32_e32 v177, s18, v177
	v_dual_ashrrev_i32 v63, 31, v63 :: v_dual_bitop2_b32 v178, s19, v178 bitop3:0x14
	v_bitop3_b32 v62, v62, v176, v175 bitop3:0x80
	v_cmp_gt_i32_e32 vcc_lo, 0, v181
	v_ashrrev_i32_e32 v175, 31, v179
	v_mad_u32_u24 v176, v69, 36, v25
	v_xor_b32_e32 v63, s20, v63
	v_bitop3_b32 v62, v62, v178, v177 bitop3:0x80
	s_delay_alu instid0(VALU_DEP_4) | instskip(SKIP_3) | instid1(VALU_DEP_2)
	v_xor_b32_e32 v175, vcc_lo, v175
	ds_load_b32 v176, v176 offset:1056
	; wave barrier
	v_bitop3_b32 v62, v62, v175, v63 bitop3:0x80
	v_mul_u32_u24_e32 v63, 36, v69
	v_mbcnt_lo_u32_b32 v177, v62, 0
	v_cmp_ne_u32_e64 s15, 0, v62
	s_delay_alu instid0(VALU_DEP_3) | instskip(NEXT) | instid1(VALU_DEP_3)
	v_add_nc_u32_e32 v178, v25, v63
	v_cmp_eq_u32_e32 vcc_lo, 0, v177
	s_and_b32 s16, s15, vcc_lo
	s_delay_alu instid0(SALU_CYCLE_1)
	s_and_saveexec_b32 s15, s16
	s_cbranch_execz .LBB597_152
; %bb.151:                              ;   in Loop: Header=BB597_96 Depth=2
	s_wait_dscnt 0x0
	v_bcnt_u32_b32 v62, v62, v176
	ds_store_b32 v178, v62 offset:1056
.LBB597_152:                            ;   in Loop: Header=BB597_96 Depth=2
	s_or_b32 exec_lo, exec_lo, s15
	v_xor_b32_e32 v175, 0x80000000, v68
	; wave barrier
	s_delay_alu instid0(VALU_DEP_1) | instskip(NEXT) | instid1(VALU_DEP_1)
	v_lshrrev_b32_e32 v62, s43, v175
	v_and_b32_e32 v68, s48, v62
	s_delay_alu instid0(VALU_DEP_1) | instskip(SKIP_1) | instid1(VALU_DEP_1)
	v_lshlrev_b32_e32 v69, 30, v68
	v_bitop3_b32 v63, v62, 1, s48 bitop3:0x80
	v_add_co_u32 v62, s15, v63, -1
	s_delay_alu instid0(VALU_DEP_1) | instskip(NEXT) | instid1(VALU_DEP_4)
	v_cndmask_b32_e64 v63, 0, 1, s15
	v_cmp_gt_i32_e64 s15, 0, v69
	s_delay_alu instid0(VALU_DEP_2) | instskip(SKIP_1) | instid1(VALU_DEP_1)
	v_cmp_ne_u32_e32 vcc_lo, 0, v63
	v_not_b32_e32 v63, v69
	v_dual_ashrrev_i32 v63, 31, v63 :: v_dual_lshlrev_b32 v179, 29, v68
	v_dual_lshlrev_b32 v180, 28, v68 :: v_dual_lshlrev_b32 v181, 27, v68
	v_dual_lshlrev_b32 v182, 26, v68 :: v_dual_lshlrev_b32 v183, 25, v68
	v_lshlrev_b32_e32 v184, 24, v68
	s_delay_alu instid0(VALU_DEP_4)
	v_cmp_gt_i32_e64 s16, 0, v179
	v_not_b32_e32 v69, v179
	v_not_b32_e32 v179, v180
	v_cmp_gt_i32_e64 s17, 0, v180
	v_cmp_gt_i32_e64 s18, 0, v181
	v_not_b32_e32 v180, v181
	v_not_b32_e32 v181, v182
	v_dual_ashrrev_i32 v69, 31, v69 :: v_dual_bitop2_b32 v62, vcc_lo, v62 bitop3:0x14
	s_delay_alu instid0(VALU_DEP_3) | instskip(NEXT) | instid1(VALU_DEP_3)
	v_dual_ashrrev_i32 v179, 31, v179 :: v_dual_ashrrev_i32 v180, 31, v180
	v_dual_ashrrev_i32 v181, 31, v181 :: v_dual_bitop2_b32 v63, s15, v63 bitop3:0x14
	v_cmp_gt_i32_e64 s19, 0, v182
	v_not_b32_e32 v182, v184
	s_delay_alu instid0(VALU_DEP_4) | instskip(NEXT) | instid1(VALU_DEP_4)
	v_xor_b32_e32 v179, s17, v179
	v_bitop3_b32 v62, v62, v63, exec_lo bitop3:0x80
	v_not_b32_e32 v63, v183
	v_xor_b32_e32 v69, s16, v69
	v_cmp_gt_i32_e64 s20, 0, v183
	v_xor_b32_e32 v180, s18, v180
	s_delay_alu instid0(VALU_DEP_4) | instskip(NEXT) | instid1(VALU_DEP_4)
	v_dual_ashrrev_i32 v63, 31, v63 :: v_dual_bitop2_b32 v181, s19, v181 bitop3:0x14
	v_bitop3_b32 v62, v62, v179, v69 bitop3:0x80
	v_cmp_gt_i32_e32 vcc_lo, 0, v184
	v_ashrrev_i32_e32 v69, 31, v182
	v_mad_u32_u24 v179, v68, 36, v25
	v_xor_b32_e32 v63, s20, v63
	v_bitop3_b32 v62, v62, v181, v180 bitop3:0x80
	s_delay_alu instid0(VALU_DEP_4) | instskip(SKIP_3) | instid1(VALU_DEP_2)
	v_xor_b32_e32 v69, vcc_lo, v69
	ds_load_b32 v180, v179 offset:1056
	; wave barrier
	v_bitop3_b32 v62, v62, v69, v63 bitop3:0x80
	v_mul_u32_u24_e32 v63, 36, v68
	v_mbcnt_lo_u32_b32 v181, v62, 0
	v_cmp_ne_u32_e64 s15, 0, v62
	s_delay_alu instid0(VALU_DEP_3) | instskip(NEXT) | instid1(VALU_DEP_3)
	v_add_nc_u32_e32 v182, v25, v63
	v_cmp_eq_u32_e32 vcc_lo, 0, v181
	s_and_b32 s16, s15, vcc_lo
	s_delay_alu instid0(SALU_CYCLE_1)
	s_and_saveexec_b32 s15, s16
	s_cbranch_execz .LBB597_154
; %bb.153:                              ;   in Loop: Header=BB597_96 Depth=2
	s_wait_dscnt 0x0
	v_bcnt_u32_b32 v62, v62, v180
	ds_store_b32 v182, v62 offset:1056
.LBB597_154:                            ;   in Loop: Header=BB597_96 Depth=2
	s_or_b32 exec_lo, exec_lo, s15
	v_xor_b32_e32 v179, 0x80000000, v67
	; wave barrier
	s_delay_alu instid0(VALU_DEP_1) | instskip(NEXT) | instid1(VALU_DEP_1)
	v_lshrrev_b32_e32 v62, s43, v179
	v_bitop3_b32 v63, v62, 1, s48 bitop3:0x80
	v_and_b32_e32 v67, s48, v62
	s_delay_alu instid0(VALU_DEP_2) | instskip(NEXT) | instid1(VALU_DEP_1)
	v_add_co_u32 v62, s15, v63, -1
	v_cndmask_b32_e64 v63, 0, 1, s15
	s_delay_alu instid0(VALU_DEP_3) | instskip(NEXT) | instid1(VALU_DEP_2)
	v_lshlrev_b32_e32 v68, 30, v67
	v_cmp_ne_u32_e32 vcc_lo, 0, v63
	s_delay_alu instid0(VALU_DEP_2) | instskip(NEXT) | instid1(VALU_DEP_1)
	v_not_b32_e32 v63, v68
	v_dual_ashrrev_i32 v63, 31, v63 :: v_dual_bitop2_b32 v62, vcc_lo, v62 bitop3:0x14
	v_dual_lshlrev_b32 v69, 29, v67 :: v_dual_lshlrev_b32 v183, 28, v67
	v_dual_lshlrev_b32 v184, 27, v67 :: v_dual_lshlrev_b32 v185, 26, v67
	v_lshlrev_b32_e32 v186, 25, v67
	v_cmp_gt_i32_e64 s15, 0, v68
	s_delay_alu instid0(VALU_DEP_4)
	v_cmp_gt_i32_e64 s16, 0, v69
	v_not_b32_e32 v68, v69
	v_not_b32_e32 v69, v183
	v_lshlrev_b32_e32 v187, 24, v67
	v_cmp_gt_i32_e64 s17, 0, v183
	v_cmp_gt_i32_e64 s18, 0, v184
	v_not_b32_e32 v183, v184
	v_not_b32_e32 v184, v185
	v_dual_ashrrev_i32 v68, 31, v68 :: v_dual_ashrrev_i32 v69, 31, v69
	v_xor_b32_e32 v63, s15, v63
	v_cmp_gt_i32_e64 s19, 0, v185
	s_delay_alu instid0(VALU_DEP_4) | instskip(NEXT) | instid1(VALU_DEP_4)
	v_dual_ashrrev_i32 v183, 31, v183 :: v_dual_ashrrev_i32 v184, 31, v184
	v_xor_b32_e32 v69, s17, v69
	s_delay_alu instid0(VALU_DEP_4)
	v_bitop3_b32 v62, v62, v63, exec_lo bitop3:0x80
	v_not_b32_e32 v63, v186
	v_xor_b32_e32 v68, s16, v68
	v_not_b32_e32 v185, v187
	v_cmp_gt_i32_e64 s20, 0, v186
	v_xor_b32_e32 v183, s18, v183
	v_dual_ashrrev_i32 v63, 31, v63 :: v_dual_bitop2_b32 v184, s19, v184 bitop3:0x14
	v_bitop3_b32 v62, v62, v69, v68 bitop3:0x80
	v_cmp_gt_i32_e32 vcc_lo, 0, v187
	v_ashrrev_i32_e32 v68, 31, v185
	v_mad_u32_u24 v69, v67, 36, v25
	v_xor_b32_e32 v63, s20, v63
	v_bitop3_b32 v62, v62, v184, v183 bitop3:0x80
	s_delay_alu instid0(VALU_DEP_4) | instskip(SKIP_3) | instid1(VALU_DEP_2)
	v_xor_b32_e32 v68, vcc_lo, v68
	ds_load_b32 v184, v69 offset:1056
	; wave barrier
	v_bitop3_b32 v62, v62, v68, v63 bitop3:0x80
	v_mul_u32_u24_e32 v63, 36, v67
	v_mbcnt_lo_u32_b32 v185, v62, 0
	v_cmp_ne_u32_e64 s15, 0, v62
	s_delay_alu instid0(VALU_DEP_3) | instskip(NEXT) | instid1(VALU_DEP_3)
	v_add_nc_u32_e32 v186, v25, v63
	v_cmp_eq_u32_e32 vcc_lo, 0, v185
	s_and_b32 s16, s15, vcc_lo
	s_delay_alu instid0(SALU_CYCLE_1)
	s_and_saveexec_b32 s15, s16
	s_cbranch_execz .LBB597_156
; %bb.155:                              ;   in Loop: Header=BB597_96 Depth=2
	s_wait_dscnt 0x0
	v_bcnt_u32_b32 v62, v62, v184
	ds_store_b32 v186, v62 offset:1056
.LBB597_156:                            ;   in Loop: Header=BB597_96 Depth=2
	s_or_b32 exec_lo, exec_lo, s15
	v_xor_b32_e32 v183, 0x80000000, v66
	; wave barrier
	s_delay_alu instid0(VALU_DEP_1) | instskip(NEXT) | instid1(VALU_DEP_1)
	v_lshrrev_b32_e32 v62, s43, v183
	v_and_b32_e32 v66, s48, v62
	s_delay_alu instid0(VALU_DEP_1) | instskip(SKIP_1) | instid1(VALU_DEP_1)
	v_lshlrev_b32_e32 v67, 30, v66
	v_bitop3_b32 v63, v62, 1, s48 bitop3:0x80
	v_add_co_u32 v62, s15, v63, -1
	s_delay_alu instid0(VALU_DEP_1) | instskip(NEXT) | instid1(VALU_DEP_4)
	v_cndmask_b32_e64 v63, 0, 1, s15
	v_cmp_gt_i32_e64 s15, 0, v67
	s_delay_alu instid0(VALU_DEP_2) | instskip(SKIP_1) | instid1(VALU_DEP_1)
	v_cmp_ne_u32_e32 vcc_lo, 0, v63
	v_not_b32_e32 v63, v67
	v_dual_ashrrev_i32 v63, 31, v63 :: v_dual_lshlrev_b32 v68, 29, v66
	v_dual_lshlrev_b32 v69, 28, v66 :: v_dual_lshlrev_b32 v187, 27, v66
	v_dual_lshlrev_b32 v188, 26, v66 :: v_dual_lshlrev_b32 v189, 25, v66
	v_lshlrev_b32_e32 v190, 24, v66
	s_delay_alu instid0(VALU_DEP_4)
	v_cmp_gt_i32_e64 s16, 0, v68
	v_not_b32_e32 v67, v68
	v_not_b32_e32 v68, v69
	v_cmp_gt_i32_e64 s17, 0, v69
	v_cmp_gt_i32_e64 s18, 0, v187
	v_not_b32_e32 v69, v187
	v_not_b32_e32 v187, v188
	v_dual_ashrrev_i32 v67, 31, v67 :: v_dual_bitop2_b32 v62, vcc_lo, v62 bitop3:0x14
	v_dual_ashrrev_i32 v68, 31, v68 :: v_dual_bitop2_b32 v63, s15, v63 bitop3:0x14
	v_cmp_gt_i32_e64 s19, 0, v188
	s_delay_alu instid0(VALU_DEP_4) | instskip(NEXT) | instid1(VALU_DEP_4)
	v_dual_ashrrev_i32 v69, 31, v69 :: v_dual_ashrrev_i32 v187, 31, v187
	v_xor_b32_e32 v67, s16, v67
	s_delay_alu instid0(VALU_DEP_4)
	v_bitop3_b32 v62, v62, v63, exec_lo bitop3:0x80
	v_not_b32_e32 v63, v189
	v_xor_b32_e32 v68, s17, v68
	v_not_b32_e32 v188, v190
	v_cmp_gt_i32_e64 s20, 0, v189
	v_xor_b32_e32 v69, s18, v69
	v_xor_b32_e32 v187, s19, v187
	v_ashrrev_i32_e32 v63, 31, v63
	v_bitop3_b32 v62, v62, v68, v67 bitop3:0x80
	v_cmp_gt_i32_e32 vcc_lo, 0, v190
	v_ashrrev_i32_e32 v67, 31, v188
	v_mad_u32_u24 v68, v66, 36, v25
	v_xor_b32_e32 v63, s20, v63
	v_bitop3_b32 v62, v62, v187, v69 bitop3:0x80
	s_delay_alu instid0(VALU_DEP_4) | instskip(SKIP_3) | instid1(VALU_DEP_2)
	v_xor_b32_e32 v67, vcc_lo, v67
	ds_load_b32 v188, v68 offset:1056
	; wave barrier
	v_bitop3_b32 v62, v62, v67, v63 bitop3:0x80
	v_mul_u32_u24_e32 v63, 36, v66
	v_mbcnt_lo_u32_b32 v189, v62, 0
	v_cmp_ne_u32_e64 s15, 0, v62
	s_delay_alu instid0(VALU_DEP_3) | instskip(NEXT) | instid1(VALU_DEP_3)
	v_add_nc_u32_e32 v190, v25, v63
	v_cmp_eq_u32_e32 vcc_lo, 0, v189
	s_and_b32 s16, s15, vcc_lo
	s_delay_alu instid0(SALU_CYCLE_1)
	s_and_saveexec_b32 s15, s16
	s_cbranch_execz .LBB597_158
; %bb.157:                              ;   in Loop: Header=BB597_96 Depth=2
	s_wait_dscnt 0x0
	v_bcnt_u32_b32 v62, v62, v188
	ds_store_b32 v190, v62 offset:1056
.LBB597_158:                            ;   in Loop: Header=BB597_96 Depth=2
	s_or_b32 exec_lo, exec_lo, s15
	v_xor_b32_e32 v187, 0x80000000, v65
	; wave barrier
	s_delay_alu instid0(VALU_DEP_1) | instskip(NEXT) | instid1(VALU_DEP_1)
	v_lshrrev_b32_e32 v62, s43, v187
	v_and_b32_e32 v65, s48, v62
	s_delay_alu instid0(VALU_DEP_1) | instskip(SKIP_1) | instid1(VALU_DEP_1)
	v_lshlrev_b32_e32 v66, 30, v65
	v_bitop3_b32 v63, v62, 1, s48 bitop3:0x80
	v_add_co_u32 v62, s15, v63, -1
	s_delay_alu instid0(VALU_DEP_1) | instskip(NEXT) | instid1(VALU_DEP_4)
	v_cndmask_b32_e64 v63, 0, 1, s15
	v_cmp_gt_i32_e64 s15, 0, v66
	s_delay_alu instid0(VALU_DEP_2) | instskip(SKIP_1) | instid1(VALU_DEP_1)
	v_cmp_ne_u32_e32 vcc_lo, 0, v63
	v_not_b32_e32 v63, v66
	v_dual_ashrrev_i32 v63, 31, v63 :: v_dual_lshlrev_b32 v67, 29, v65
	v_dual_lshlrev_b32 v68, 28, v65 :: v_dual_lshlrev_b32 v69, 27, v65
	v_dual_lshlrev_b32 v191, 26, v65 :: v_dual_lshlrev_b32 v192, 25, v65
	v_lshlrev_b32_e32 v193, 24, v65
	s_delay_alu instid0(VALU_DEP_4)
	v_cmp_gt_i32_e64 s16, 0, v67
	v_not_b32_e32 v66, v67
	v_not_b32_e32 v67, v68
	v_cmp_gt_i32_e64 s17, 0, v68
	v_cmp_gt_i32_e64 s18, 0, v69
	v_not_b32_e32 v68, v69
	v_not_b32_e32 v69, v191
	v_dual_ashrrev_i32 v67, 31, v67 :: v_dual_bitop2_b32 v62, vcc_lo, v62 bitop3:0x14
	v_dual_ashrrev_i32 v66, 31, v66 :: v_dual_bitop2_b32 v63, s15, v63 bitop3:0x14
	v_cmp_gt_i32_e64 s19, 0, v191
	s_delay_alu instid0(VALU_DEP_4) | instskip(NEXT) | instid1(VALU_DEP_4)
	v_dual_ashrrev_i32 v68, 31, v68 :: v_dual_ashrrev_i32 v69, 31, v69
	v_xor_b32_e32 v67, s17, v67
	s_delay_alu instid0(VALU_DEP_4)
	v_bitop3_b32 v62, v62, v63, exec_lo bitop3:0x80
	v_not_b32_e32 v63, v192
	v_xor_b32_e32 v66, s16, v66
	v_not_b32_e32 v191, v193
	v_cmp_gt_i32_e64 s20, 0, v192
	v_xor_b32_e32 v68, s18, v68
	v_dual_ashrrev_i32 v63, 31, v63 :: v_dual_bitop2_b32 v69, s19, v69 bitop3:0x14
	v_bitop3_b32 v62, v62, v67, v66 bitop3:0x80
	v_cmp_gt_i32_e32 vcc_lo, 0, v193
	v_ashrrev_i32_e32 v66, 31, v191
	v_mad_u32_u24 v67, v65, 36, v25
	v_xor_b32_e32 v63, s20, v63
	v_bitop3_b32 v62, v62, v69, v68 bitop3:0x80
	s_delay_alu instid0(VALU_DEP_4) | instskip(SKIP_3) | instid1(VALU_DEP_2)
	v_xor_b32_e32 v66, vcc_lo, v66
	ds_load_b32 v192, v67 offset:1056
	; wave barrier
	v_bitop3_b32 v62, v62, v66, v63 bitop3:0x80
	v_mul_u32_u24_e32 v63, 36, v65
	v_mbcnt_lo_u32_b32 v193, v62, 0
	v_cmp_ne_u32_e64 s15, 0, v62
	s_delay_alu instid0(VALU_DEP_3) | instskip(NEXT) | instid1(VALU_DEP_3)
	v_add_nc_u32_e32 v194, v25, v63
	v_cmp_eq_u32_e32 vcc_lo, 0, v193
	s_and_b32 s16, s15, vcc_lo
	s_delay_alu instid0(SALU_CYCLE_1)
	s_and_saveexec_b32 s15, s16
	s_cbranch_execz .LBB597_160
; %bb.159:                              ;   in Loop: Header=BB597_96 Depth=2
	s_wait_dscnt 0x0
	v_bcnt_u32_b32 v62, v62, v192
	ds_store_b32 v194, v62 offset:1056
.LBB597_160:                            ;   in Loop: Header=BB597_96 Depth=2
	s_or_b32 exec_lo, exec_lo, s15
	v_xor_b32_e32 v191, 0x80000000, v64
	; wave barrier
	s_delay_alu instid0(VALU_DEP_1) | instskip(NEXT) | instid1(VALU_DEP_1)
	v_lshrrev_b32_e32 v62, s43, v191
	v_and_b32_e32 v64, s48, v62
	s_delay_alu instid0(VALU_DEP_1) | instskip(SKIP_1) | instid1(VALU_DEP_1)
	v_lshlrev_b32_e32 v65, 30, v64
	v_bitop3_b32 v63, v62, 1, s48 bitop3:0x80
	v_add_co_u32 v62, s15, v63, -1
	s_delay_alu instid0(VALU_DEP_1) | instskip(NEXT) | instid1(VALU_DEP_4)
	v_cndmask_b32_e64 v63, 0, 1, s15
	v_cmp_gt_i32_e64 s15, 0, v65
	s_delay_alu instid0(VALU_DEP_2) | instskip(SKIP_1) | instid1(VALU_DEP_1)
	v_cmp_ne_u32_e32 vcc_lo, 0, v63
	v_not_b32_e32 v63, v65
	v_dual_ashrrev_i32 v63, 31, v63 :: v_dual_lshlrev_b32 v66, 29, v64
	v_dual_lshlrev_b32 v67, 28, v64 :: v_dual_lshlrev_b32 v68, 27, v64
	v_dual_lshlrev_b32 v69, 26, v64 :: v_dual_lshlrev_b32 v195, 25, v64
	v_lshlrev_b32_e32 v196, 24, v64
	s_delay_alu instid0(VALU_DEP_4)
	v_cmp_gt_i32_e64 s16, 0, v66
	v_not_b32_e32 v65, v66
	v_not_b32_e32 v66, v67
	v_cmp_gt_i32_e64 s17, 0, v67
	v_cmp_gt_i32_e64 s18, 0, v68
	v_not_b32_e32 v67, v68
	v_not_b32_e32 v68, v69
	v_dual_ashrrev_i32 v65, 31, v65 :: v_dual_bitop2_b32 v62, vcc_lo, v62 bitop3:0x14
	v_dual_ashrrev_i32 v66, 31, v66 :: v_dual_bitop2_b32 v63, s15, v63 bitop3:0x14
	v_cmp_gt_i32_e64 s19, 0, v69
	s_delay_alu instid0(VALU_DEP_4) | instskip(SKIP_1) | instid1(VALU_DEP_4)
	v_dual_ashrrev_i32 v67, 31, v67 :: v_dual_ashrrev_i32 v68, 31, v68
	v_not_b32_e32 v69, v196
	v_xor_b32_e32 v66, s17, v66
	v_bitop3_b32 v62, v62, v63, exec_lo bitop3:0x80
	v_not_b32_e32 v63, v195
	v_xor_b32_e32 v65, s16, v65
	v_cmp_gt_i32_e64 s20, 0, v195
	v_xor_b32_e32 v67, s18, v67
	s_delay_alu instid0(VALU_DEP_4) | instskip(NEXT) | instid1(VALU_DEP_4)
	v_dual_ashrrev_i32 v63, 31, v63 :: v_dual_bitop2_b32 v68, s19, v68 bitop3:0x14
	v_bitop3_b32 v62, v62, v66, v65 bitop3:0x80
	v_cmp_gt_i32_e32 vcc_lo, 0, v196
	v_ashrrev_i32_e32 v65, 31, v69
	v_mad_u32_u24 v66, v64, 36, v25
	v_xor_b32_e32 v63, s20, v63
	v_bitop3_b32 v62, v62, v68, v67 bitop3:0x80
	s_delay_alu instid0(VALU_DEP_4) | instskip(SKIP_3) | instid1(VALU_DEP_2)
	v_xor_b32_e32 v65, vcc_lo, v65
	ds_load_b32 v195, v66 offset:1056
	; wave barrier
	v_bitop3_b32 v62, v62, v65, v63 bitop3:0x80
	v_mul_u32_u24_e32 v63, 36, v64
	v_mbcnt_lo_u32_b32 v196, v62, 0
	v_cmp_ne_u32_e64 s15, 0, v62
	s_delay_alu instid0(VALU_DEP_3) | instskip(NEXT) | instid1(VALU_DEP_3)
	v_add_nc_u32_e32 v197, v25, v63
	v_cmp_eq_u32_e32 vcc_lo, 0, v196
	s_and_b32 s16, s15, vcc_lo
	s_delay_alu instid0(SALU_CYCLE_1)
	s_and_saveexec_b32 s15, s16
	s_cbranch_execz .LBB597_162
; %bb.161:                              ;   in Loop: Header=BB597_96 Depth=2
	s_wait_dscnt 0x0
	v_bcnt_u32_b32 v62, v62, v195
	ds_store_b32 v197, v62 offset:1056
.LBB597_162:                            ;   in Loop: Header=BB597_96 Depth=2
	s_or_b32 exec_lo, exec_lo, s15
	v_lshrrev_b32_e32 v62, s43, v138
	; wave barrier
	s_delay_alu instid0(VALU_DEP_1) | instskip(NEXT) | instid1(VALU_DEP_1)
	v_and_b32_e32 v64, s48, v62
	v_lshlrev_b32_e32 v65, 30, v64
	v_bitop3_b32 v63, v62, 1, s48 bitop3:0x80
	s_delay_alu instid0(VALU_DEP_1) | instskip(NEXT) | instid1(VALU_DEP_1)
	v_add_co_u32 v62, s15, v63, -1
	v_cndmask_b32_e64 v63, 0, 1, s15
	s_delay_alu instid0(VALU_DEP_4) | instskip(NEXT) | instid1(VALU_DEP_2)
	v_cmp_gt_i32_e64 s15, 0, v65
	v_cmp_ne_u32_e32 vcc_lo, 0, v63
	v_not_b32_e32 v63, v65
	s_delay_alu instid0(VALU_DEP_1) | instskip(SKIP_3) | instid1(VALU_DEP_4)
	v_dual_ashrrev_i32 v63, 31, v63 :: v_dual_lshlrev_b32 v66, 29, v64
	v_dual_lshlrev_b32 v67, 28, v64 :: v_dual_lshlrev_b32 v68, 27, v64
	v_dual_lshlrev_b32 v69, 26, v64 :: v_dual_lshlrev_b32 v198, 25, v64
	v_lshlrev_b32_e32 v199, 24, v64
	v_cmp_gt_i32_e64 s16, 0, v66
	v_not_b32_e32 v65, v66
	v_not_b32_e32 v66, v67
	v_cmp_gt_i32_e64 s17, 0, v67
	v_xor_b32_e32 v62, vcc_lo, v62
	s_delay_alu instid0(VALU_DEP_4) | instskip(NEXT) | instid1(VALU_DEP_4)
	v_dual_ashrrev_i32 v65, 31, v65 :: v_dual_bitop2_b32 v63, s15, v63 bitop3:0x14
	v_ashrrev_i32_e32 v66, 31, v66
	v_cmp_gt_i32_e64 s18, 0, v68
	v_not_b32_e32 v67, v68
	v_not_b32_e32 v68, v69
	v_xor_b32_e32 v65, s16, v65
	v_xor_b32_e32 v66, s17, v66
	v_bitop3_b32 v62, v62, v63, exec_lo bitop3:0x80
	v_ashrrev_i32_e32 v63, 31, v67
	v_cmp_gt_i32_e32 vcc_lo, 0, v69
	v_ashrrev_i32_e32 v67, 31, v68
	v_not_b32_e32 v68, v198
	v_bitop3_b32 v62, v62, v66, v65 bitop3:0x80
	v_not_b32_e32 v65, v199
	v_xor_b32_e32 v63, s18, v63
	v_xor_b32_e32 v66, vcc_lo, v67
	v_cmp_gt_i32_e32 vcc_lo, 0, v198
	v_ashrrev_i32_e32 v67, 31, v68
	v_cmp_gt_i32_e64 s15, 0, v199
	v_ashrrev_i32_e32 v65, 31, v65
	v_mad_u32_u24 v68, v64, 36, v25
	v_bitop3_b32 v62, v62, v66, v63 bitop3:0x80
	v_xor_b32_e32 v63, vcc_lo, v67
	s_delay_alu instid0(VALU_DEP_4) | instskip(SKIP_3) | instid1(VALU_DEP_2)
	v_xor_b32_e32 v65, s15, v65
	ds_load_b32 v198, v68 offset:1056
	; wave barrier
	v_bitop3_b32 v62, v62, v65, v63 bitop3:0x80
	v_mul_u32_u24_e32 v63, 36, v64
	v_mbcnt_lo_u32_b32 v199, v62, 0
	v_cmp_ne_u32_e64 s15, 0, v62
	s_delay_alu instid0(VALU_DEP_3) | instskip(NEXT) | instid1(VALU_DEP_3)
	v_add_nc_u32_e32 v200, v25, v63
	v_cmp_eq_u32_e32 vcc_lo, 0, v199
	s_and_b32 s16, s15, vcc_lo
	s_delay_alu instid0(SALU_CYCLE_1)
	s_and_saveexec_b32 s15, s16
	s_cbranch_execz .LBB597_164
; %bb.163:                              ;   in Loop: Header=BB597_96 Depth=2
	s_wait_dscnt 0x0
	v_bcnt_u32_b32 v62, v62, v198
	ds_store_b32 v200, v62 offset:1056
.LBB597_164:                            ;   in Loop: Header=BB597_96 Depth=2
	s_or_b32 exec_lo, exec_lo, s15
	; wave barrier
	s_wait_dscnt 0x0
	s_barrier_signal -1
	s_barrier_wait -1
	ds_load_2addr_b32 v[68:69], v117 offset1:1
	ds_load_2addr_b32 v[66:67], v118 offset1:1
	;; [unrolled: 1-line block ×4, first 2 shown]
	ds_load_b32 v201, v91 offset:1088
	s_wait_dscnt 0x3
	v_add3_u32 v202, v69, v68, v66
	s_wait_dscnt 0x2
	s_delay_alu instid0(VALU_DEP_1) | instskip(SKIP_1) | instid1(VALU_DEP_1)
	v_add3_u32 v202, v202, v67, v64
	s_wait_dscnt 0x1
	v_add3_u32 v202, v202, v65, v62
	s_wait_dscnt 0x0
	s_delay_alu instid0(VALU_DEP_1) | instskip(NEXT) | instid1(VALU_DEP_1)
	v_add3_u32 v201, v202, v63, v201
	v_mov_b32_dpp v202, v201 row_shr:1 row_mask:0xf bank_mask:0xf
	s_delay_alu instid0(VALU_DEP_1) | instskip(NEXT) | instid1(VALU_DEP_1)
	v_cndmask_b32_e64 v202, v202, 0, s7
	v_add_nc_u32_e32 v201, v202, v201
	s_delay_alu instid0(VALU_DEP_1) | instskip(NEXT) | instid1(VALU_DEP_1)
	v_mov_b32_dpp v202, v201 row_shr:2 row_mask:0xf bank_mask:0xf
	v_cndmask_b32_e64 v202, 0, v202, s8
	s_delay_alu instid0(VALU_DEP_1) | instskip(NEXT) | instid1(VALU_DEP_1)
	v_add_nc_u32_e32 v201, v201, v202
	v_mov_b32_dpp v202, v201 row_shr:4 row_mask:0xf bank_mask:0xf
	s_delay_alu instid0(VALU_DEP_1) | instskip(NEXT) | instid1(VALU_DEP_1)
	v_cndmask_b32_e64 v202, 0, v202, s9
	v_add_nc_u32_e32 v201, v201, v202
	s_delay_alu instid0(VALU_DEP_1) | instskip(NEXT) | instid1(VALU_DEP_1)
	v_mov_b32_dpp v202, v201 row_shr:8 row_mask:0xf bank_mask:0xf
	v_cndmask_b32_e64 v202, 0, v202, s10
	s_delay_alu instid0(VALU_DEP_1) | instskip(SKIP_3) | instid1(VALU_DEP_1)
	v_add_nc_u32_e32 v201, v201, v202
	ds_swizzle_b32 v202, v201 offset:swizzle(BROADCAST,32,15)
	s_wait_dscnt 0x0
	v_cndmask_b32_e64 v202, v202, 0, s11
	v_add_nc_u32_e32 v201, v201, v202
	s_and_saveexec_b32 s15, s1
; %bb.165:                              ;   in Loop: Header=BB597_96 Depth=2
	ds_store_b32 v85, v201 offset:1024
; %bb.166:                              ;   in Loop: Header=BB597_96 Depth=2
	s_or_b32 exec_lo, exec_lo, s15
	s_wait_dscnt 0x0
	s_barrier_signal -1
	s_barrier_wait -1
	s_and_saveexec_b32 s15, s4
	s_cbranch_execz .LBB597_168
; %bb.167:                              ;   in Loop: Header=BB597_96 Depth=2
	ds_load_b32 v202, v93 offset:1024
	s_wait_dscnt 0x0
	v_mov_b32_dpp v203, v202 row_shr:1 row_mask:0xf bank_mask:0xf
	s_delay_alu instid0(VALU_DEP_1) | instskip(NEXT) | instid1(VALU_DEP_1)
	v_cndmask_b32_e64 v203, v203, 0, s12
	v_add_nc_u32_e32 v202, v203, v202
	s_delay_alu instid0(VALU_DEP_1) | instskip(NEXT) | instid1(VALU_DEP_1)
	v_mov_b32_dpp v203, v202 row_shr:2 row_mask:0xf bank_mask:0xf
	v_cndmask_b32_e64 v203, 0, v203, s13
	s_delay_alu instid0(VALU_DEP_1) | instskip(NEXT) | instid1(VALU_DEP_1)
	v_add_nc_u32_e32 v202, v202, v203
	v_mov_b32_dpp v203, v202 row_shr:4 row_mask:0xf bank_mask:0xf
	s_delay_alu instid0(VALU_DEP_1) | instskip(NEXT) | instid1(VALU_DEP_1)
	v_cndmask_b32_e64 v203, 0, v203, s14
	v_add_nc_u32_e32 v202, v202, v203
	ds_store_b32 v93, v202 offset:1024
.LBB597_168:                            ;   in Loop: Header=BB597_96 Depth=2
	s_or_b32 exec_lo, exec_lo, s15
	v_mov_b32_e32 v202, 0
	s_wait_dscnt 0x0
	s_barrier_signal -1
	s_barrier_wait -1
	s_and_saveexec_b32 s15, s5
; %bb.169:                              ;   in Loop: Header=BB597_96 Depth=2
	ds_load_b32 v202, v85 offset:1020
; %bb.170:                              ;   in Loop: Header=BB597_96 Depth=2
	s_or_b32 exec_lo, exec_lo, s15
	s_wait_dscnt 0x0
	v_add_nc_u32_e32 v201, v202, v201
	ds_bpermute_b32 v201, v120, v201
	s_wait_dscnt 0x0
	v_cndmask_b32_e64 v201, v201, v202, s6
	s_delay_alu instid0(VALU_DEP_1) | instskip(NEXT) | instid1(VALU_DEP_1)
	v_cndmask_b32_e64 v201, v201, 0, s2
	v_add_nc_u32_e32 v68, v201, v68
	s_delay_alu instid0(VALU_DEP_1) | instskip(NEXT) | instid1(VALU_DEP_1)
	v_add_nc_u32_e32 v69, v68, v69
	v_add_nc_u32_e32 v66, v69, v66
	s_delay_alu instid0(VALU_DEP_1) | instskip(NEXT) | instid1(VALU_DEP_1)
	v_add_nc_u32_e32 v67, v66, v67
	;; [unrolled: 3-line block ×3, first 2 shown]
	v_add_nc_u32_e32 v62, v65, v62
	s_delay_alu instid0(VALU_DEP_1)
	v_add_nc_u32_e32 v63, v62, v63
	ds_store_2addr_b32 v5, v65, v62 offset1:1
	ds_store_2addr_b32 v117, v201, v68 offset1:1
	;; [unrolled: 1-line block ×4, first 2 shown]
	ds_store_b32 v91, v63 offset:1088
	s_wait_dscnt 0x0
	s_barrier_signal -1
	s_barrier_wait -1
	ds_load_b32 v65, v142 offset:1056
	ds_load_b32 v67, v146 offset:1056
	;; [unrolled: 1-line block ×17, first 2 shown]
	v_mov_b32_e32 v64, 0x1000
	s_and_saveexec_b32 s15, s3
; %bb.171:                              ;   in Loop: Header=BB597_96 Depth=2
	ds_load_b32 v64, v91 offset:1092
; %bb.172:                              ;   in Loop: Header=BB597_96 Depth=2
	s_or_b32 exec_lo, exec_lo, s15
	s_wait_dscnt 0x0
	s_barrier_signal -1
	s_barrier_wait -1
	s_and_saveexec_b32 s15, s0
	s_cbranch_execz .LBB597_174
; %bb.173:                              ;   in Loop: Header=BB597_96 Depth=2
	ds_load_b32 v154, v4
	s_wait_dscnt 0x0
	v_sub_nc_u32_e32 v150, v154, v150
	ds_store_b32 v4, v150
.LBB597_174:                            ;   in Loop: Header=BB597_96 Depth=2
	s_or_b32 exec_lo, exec_lo, s15
	v_add3_u32 v158, v145, v144, v67
	v_add_nc_u32_e32 v162, v65, v141
	v_add3_u32 v154, v149, v148, v68
	v_add3_u32 v150, v153, v152, v69
	;; [unrolled: 1-line block ×4, first 2 shown]
	v_lshlrev_b32_e32 v62, 2, v158
	v_lshlrev_b32_e32 v152, 2, v162
	v_add3_u32 v149, v157, v156, v142
	v_add3_u32 v146, v165, v164, v201
	;; [unrolled: 1-line block ×4, first 2 shown]
	v_lshlrev_b32_e32 v63, 2, v154
	v_add3_u32 v144, v173, v172, v174
	v_lshlrev_b32_e32 v153, 2, v148
	ds_store_b32 v152, v139 offset:1024
	v_lshlrev_b32_e32 v139, 2, v150
	v_add3_u32 v142, v177, v176, v178
	v_lshlrev_b32_e32 v152, 2, v149
	v_add3_u32 v141, v181, v180, v182
	v_add3_u32 v65, v185, v184, v186
	ds_store_b32 v62, v140 offset:1024
	ds_store_b32 v63, v143 offset:1024
	;; [unrolled: 1-line block ×5, first 2 shown]
	v_dual_lshlrev_b32 v62, 2, v146 :: v_dual_lshlrev_b32 v139, 2, v144
	v_lshlrev_b32_e32 v63, 2, v145
	v_add3_u32 v67, v196, v195, v66
	v_dual_lshlrev_b32 v140, 2, v142 :: v_dual_lshlrev_b32 v143, 2, v141
	v_add3_u32 v66, v199, v198, v167
	ds_store_b32 v62, v159 offset:1024
	ds_store_b32 v63, v163 offset:1024
	;; [unrolled: 1-line block ×5, first 2 shown]
	v_dual_lshlrev_b32 v62, 2, v65 :: v_dual_lshlrev_b32 v139, 2, v68
	v_cmp_lt_u32_e32 vcc_lo, v2, v137
	v_dual_lshlrev_b32 v63, 2, v69 :: v_dual_lshlrev_b32 v140, 2, v67
	v_lshlrev_b32_e32 v143, 2, v66
	ds_store_b32 v62, v179 offset:1024
	ds_store_b32 v63, v183 offset:1024
	ds_store_b32 v139, v187 offset:1024
	ds_store_b32 v140, v191 offset:1024
	ds_store_b32 v143, v138 offset:1024
	s_wait_dscnt 0x0
	s_barrier_signal -1
	s_barrier_wait -1
	s_and_saveexec_b32 s15, vcc_lo
	s_cbranch_execnz .LBB597_243
; %bb.175:                              ;   in Loop: Header=BB597_96 Depth=2
	s_or_b32 exec_lo, exec_lo, s15
	v_cmp_lt_u32_e64 s15, v3, v137
	s_and_saveexec_b32 s16, s15
	s_cbranch_execnz .LBB597_244
.LBB597_176:                            ;   in Loop: Header=BB597_96 Depth=2
	s_or_b32 exec_lo, exec_lo, s16
	v_cmp_lt_u32_e64 s16, v70, v137
	s_and_saveexec_b32 s17, s16
	s_cbranch_execnz .LBB597_245
.LBB597_177:                            ;   in Loop: Header=BB597_96 Depth=2
	s_or_b32 exec_lo, exec_lo, s17
	v_cmp_lt_u32_e64 s17, v71, v137
	s_and_saveexec_b32 s18, s17
	s_cbranch_execnz .LBB597_246
.LBB597_178:                            ;   in Loop: Header=BB597_96 Depth=2
	s_or_b32 exec_lo, exec_lo, s18
	v_cmp_lt_u32_e64 s18, v72, v137
	s_and_saveexec_b32 s19, s18
	s_cbranch_execnz .LBB597_247
.LBB597_179:                            ;   in Loop: Header=BB597_96 Depth=2
	s_or_b32 exec_lo, exec_lo, s19
	v_cmp_lt_u32_e64 s19, v73, v137
	s_and_saveexec_b32 s20, s19
	s_cbranch_execnz .LBB597_248
.LBB597_180:                            ;   in Loop: Header=BB597_96 Depth=2
	s_or_b32 exec_lo, exec_lo, s20
	v_cmp_lt_u32_e64 s20, v74, v137
	s_and_saveexec_b32 s21, s20
	s_cbranch_execnz .LBB597_249
.LBB597_181:                            ;   in Loop: Header=BB597_96 Depth=2
	s_or_b32 exec_lo, exec_lo, s21
	v_cmp_lt_u32_e64 s21, v75, v137
	s_and_saveexec_b32 s22, s21
	s_cbranch_execnz .LBB597_250
.LBB597_182:                            ;   in Loop: Header=BB597_96 Depth=2
	s_or_b32 exec_lo, exec_lo, s22
	v_cmp_lt_u32_e64 s22, v76, v137
	s_and_saveexec_b32 s23, s22
	s_cbranch_execnz .LBB597_251
.LBB597_183:                            ;   in Loop: Header=BB597_96 Depth=2
	s_or_b32 exec_lo, exec_lo, s23
	v_cmp_lt_u32_e64 s23, v77, v137
	s_and_saveexec_b32 s24, s23
	s_cbranch_execnz .LBB597_252
.LBB597_184:                            ;   in Loop: Header=BB597_96 Depth=2
	s_or_b32 exec_lo, exec_lo, s24
	v_cmp_lt_u32_e64 s24, v78, v137
	s_and_saveexec_b32 s25, s24
	s_cbranch_execnz .LBB597_253
.LBB597_185:                            ;   in Loop: Header=BB597_96 Depth=2
	s_or_b32 exec_lo, exec_lo, s25
	v_cmp_lt_u32_e64 s25, v79, v137
	s_and_saveexec_b32 s26, s25
	s_cbranch_execnz .LBB597_254
.LBB597_186:                            ;   in Loop: Header=BB597_96 Depth=2
	s_or_b32 exec_lo, exec_lo, s26
	v_cmp_lt_u32_e64 s26, v80, v137
	s_and_saveexec_b32 s27, s26
	s_cbranch_execnz .LBB597_255
.LBB597_187:                            ;   in Loop: Header=BB597_96 Depth=2
	s_or_b32 exec_lo, exec_lo, s27
	v_cmp_lt_u32_e64 s27, v81, v137
	s_and_saveexec_b32 s28, s27
	s_cbranch_execnz .LBB597_256
.LBB597_188:                            ;   in Loop: Header=BB597_96 Depth=2
	s_or_b32 exec_lo, exec_lo, s28
	v_cmp_lt_u32_e64 s28, v82, v137
	s_and_saveexec_b32 s29, s28
	s_cbranch_execnz .LBB597_257
.LBB597_189:                            ;   in Loop: Header=BB597_96 Depth=2
	s_or_b32 exec_lo, exec_lo, s29
	v_cmp_lt_u32_e64 s29, v83, v137
	s_and_saveexec_b32 s57, s29
	s_cbranch_execz .LBB597_191
.LBB597_190:                            ;   in Loop: Header=BB597_96 Depth=2
	ds_load_b32 v62, v93 offset:16384
	s_wait_dscnt 0x0
	v_lshrrev_b32_e32 v63, s43, v62
	v_xor_b32_e32 v62, 0x80000000, v62
	s_delay_alu instid0(VALU_DEP_2) | instskip(NEXT) | instid1(VALU_DEP_1)
	v_and_b32_e32 v63, s48, v63
	v_lshlrev_b32_e32 v63, 2, v63
	ds_load_b32 v63, v63
	s_wait_dscnt 0x0
	v_add_nc_u32_e32 v63, v63, v83
	global_store_b32 v63, v62, s[38:39] scale_offset
.LBB597_191:                            ;   in Loop: Header=BB597_96 Depth=2
	s_wait_xcnt 0x0
	s_or_b32 exec_lo, exec_lo, s57
	v_lshl_add_u64 v[62:63], s[30:31], 3, v[26:27]
	v_cmp_lt_u32_e64 s30, v99, v137
	s_and_saveexec_b32 s57, s30
	s_delay_alu instid0(SALU_CYCLE_1)
	s_xor_b32 s30, exec_lo, s57
	s_cbranch_execnz .LBB597_258
; %bb.192:                              ;   in Loop: Header=BB597_96 Depth=2
	s_or_b32 exec_lo, exec_lo, s30
	s_delay_alu instid0(SALU_CYCLE_1)
	s_mov_b32 s57, exec_lo
	v_cmpx_lt_u32_e64 v102, v137
	s_cbranch_execnz .LBB597_259
.LBB597_193:                            ;   in Loop: Header=BB597_96 Depth=2
	s_or_b32 exec_lo, exec_lo, s57
	s_delay_alu instid0(SALU_CYCLE_1)
	s_mov_b32 s57, exec_lo
	v_cmpx_lt_u32_e64 v103, v137
	s_cbranch_execnz .LBB597_260
.LBB597_194:                            ;   in Loop: Header=BB597_96 Depth=2
	s_or_b32 exec_lo, exec_lo, s57
	s_delay_alu instid0(SALU_CYCLE_1)
	s_mov_b32 s57, exec_lo
	v_cmpx_lt_u32_e64 v104, v137
	s_cbranch_execnz .LBB597_261
.LBB597_195:                            ;   in Loop: Header=BB597_96 Depth=2
	s_or_b32 exec_lo, exec_lo, s57
	s_delay_alu instid0(SALU_CYCLE_1)
	s_mov_b32 s57, exec_lo
	v_cmpx_lt_u32_e64 v105, v137
	s_cbranch_execnz .LBB597_262
.LBB597_196:                            ;   in Loop: Header=BB597_96 Depth=2
	s_or_b32 exec_lo, exec_lo, s57
	s_delay_alu instid0(SALU_CYCLE_1)
	s_mov_b32 s57, exec_lo
	v_cmpx_lt_u32_e64 v106, v137
	s_cbranch_execnz .LBB597_263
.LBB597_197:                            ;   in Loop: Header=BB597_96 Depth=2
	s_or_b32 exec_lo, exec_lo, s57
	s_delay_alu instid0(SALU_CYCLE_1)
	s_mov_b32 s57, exec_lo
	v_cmpx_lt_u32_e64 v107, v137
	s_cbranch_execnz .LBB597_264
.LBB597_198:                            ;   in Loop: Header=BB597_96 Depth=2
	s_or_b32 exec_lo, exec_lo, s57
	s_delay_alu instid0(SALU_CYCLE_1)
	s_mov_b32 s57, exec_lo
	v_cmpx_lt_u32_e64 v108, v137
	s_cbranch_execnz .LBB597_265
.LBB597_199:                            ;   in Loop: Header=BB597_96 Depth=2
	s_or_b32 exec_lo, exec_lo, s57
	s_delay_alu instid0(SALU_CYCLE_1)
	s_mov_b32 s57, exec_lo
	v_cmpx_lt_u32_e64 v109, v137
	s_cbranch_execnz .LBB597_266
.LBB597_200:                            ;   in Loop: Header=BB597_96 Depth=2
	s_or_b32 exec_lo, exec_lo, s57
	s_delay_alu instid0(SALU_CYCLE_1)
	s_mov_b32 s57, exec_lo
	v_cmpx_lt_u32_e64 v110, v137
	s_cbranch_execnz .LBB597_267
.LBB597_201:                            ;   in Loop: Header=BB597_96 Depth=2
	s_or_b32 exec_lo, exec_lo, s57
	s_delay_alu instid0(SALU_CYCLE_1)
	s_mov_b32 s57, exec_lo
	v_cmpx_lt_u32_e64 v111, v137
	s_cbranch_execnz .LBB597_268
.LBB597_202:                            ;   in Loop: Header=BB597_96 Depth=2
	s_or_b32 exec_lo, exec_lo, s57
	s_delay_alu instid0(SALU_CYCLE_1)
	s_mov_b32 s57, exec_lo
	v_cmpx_lt_u32_e64 v112, v137
	s_cbranch_execnz .LBB597_269
.LBB597_203:                            ;   in Loop: Header=BB597_96 Depth=2
	s_or_b32 exec_lo, exec_lo, s57
	s_delay_alu instid0(SALU_CYCLE_1)
	s_mov_b32 s57, exec_lo
	v_cmpx_lt_u32_e64 v113, v137
	s_cbranch_execnz .LBB597_270
.LBB597_204:                            ;   in Loop: Header=BB597_96 Depth=2
	s_or_b32 exec_lo, exec_lo, s57
	s_delay_alu instid0(SALU_CYCLE_1)
	s_mov_b32 s57, exec_lo
	v_cmpx_lt_u32_e64 v114, v137
	s_cbranch_execnz .LBB597_271
.LBB597_205:                            ;   in Loop: Header=BB597_96 Depth=2
	s_or_b32 exec_lo, exec_lo, s57
	s_delay_alu instid0(SALU_CYCLE_1)
	s_mov_b32 s57, exec_lo
	v_cmpx_lt_u32_e64 v115, v137
	s_cbranch_execnz .LBB597_272
.LBB597_206:                            ;   in Loop: Header=BB597_96 Depth=2
	s_or_b32 exec_lo, exec_lo, s57
	s_delay_alu instid0(SALU_CYCLE_1)
	s_mov_b32 s57, exec_lo
	v_cmpx_lt_u32_e64 v116, v137
	s_cbranch_execnz .LBB597_273
.LBB597_207:                            ;   in Loop: Header=BB597_96 Depth=2
	s_or_b32 exec_lo, exec_lo, s57
	s_and_saveexec_b32 s30, vcc_lo
	s_cbranch_execnz .LBB597_274
.LBB597_208:                            ;   in Loop: Header=BB597_96 Depth=2
	s_or_b32 exec_lo, exec_lo, s30
	s_and_saveexec_b32 s30, s15
	s_cbranch_execnz .LBB597_275
.LBB597_209:                            ;   in Loop: Header=BB597_96 Depth=2
	s_or_b32 exec_lo, exec_lo, s30
	s_and_saveexec_b32 s30, s16
	s_cbranch_execnz .LBB597_276
.LBB597_210:                            ;   in Loop: Header=BB597_96 Depth=2
	s_or_b32 exec_lo, exec_lo, s30
	s_and_saveexec_b32 s30, s17
	s_cbranch_execnz .LBB597_277
.LBB597_211:                            ;   in Loop: Header=BB597_96 Depth=2
	s_or_b32 exec_lo, exec_lo, s30
	s_and_saveexec_b32 s30, s18
	s_cbranch_execnz .LBB597_278
.LBB597_212:                            ;   in Loop: Header=BB597_96 Depth=2
	s_or_b32 exec_lo, exec_lo, s30
	s_and_saveexec_b32 s30, s19
	s_cbranch_execnz .LBB597_279
.LBB597_213:                            ;   in Loop: Header=BB597_96 Depth=2
	s_or_b32 exec_lo, exec_lo, s30
	s_and_saveexec_b32 s30, s20
	s_cbranch_execnz .LBB597_280
.LBB597_214:                            ;   in Loop: Header=BB597_96 Depth=2
	s_or_b32 exec_lo, exec_lo, s30
	s_and_saveexec_b32 s30, s21
	s_cbranch_execnz .LBB597_281
.LBB597_215:                            ;   in Loop: Header=BB597_96 Depth=2
	s_or_b32 exec_lo, exec_lo, s30
	s_and_saveexec_b32 s30, s22
	s_cbranch_execnz .LBB597_282
.LBB597_216:                            ;   in Loop: Header=BB597_96 Depth=2
	s_or_b32 exec_lo, exec_lo, s30
	s_and_saveexec_b32 s30, s23
	s_cbranch_execnz .LBB597_283
.LBB597_217:                            ;   in Loop: Header=BB597_96 Depth=2
	s_or_b32 exec_lo, exec_lo, s30
	s_and_saveexec_b32 s30, s24
	s_cbranch_execnz .LBB597_284
.LBB597_218:                            ;   in Loop: Header=BB597_96 Depth=2
	s_or_b32 exec_lo, exec_lo, s30
	s_and_saveexec_b32 s30, s25
	s_cbranch_execnz .LBB597_285
.LBB597_219:                            ;   in Loop: Header=BB597_96 Depth=2
	s_or_b32 exec_lo, exec_lo, s30
	s_and_saveexec_b32 s30, s26
	s_cbranch_execnz .LBB597_286
.LBB597_220:                            ;   in Loop: Header=BB597_96 Depth=2
	s_or_b32 exec_lo, exec_lo, s30
	s_and_saveexec_b32 s30, s27
	s_cbranch_execnz .LBB597_287
.LBB597_221:                            ;   in Loop: Header=BB597_96 Depth=2
	s_or_b32 exec_lo, exec_lo, s30
	s_and_saveexec_b32 s30, s28
	s_cbranch_execnz .LBB597_288
.LBB597_222:                            ;   in Loop: Header=BB597_96 Depth=2
	s_or_b32 exec_lo, exec_lo, s30
	s_and_saveexec_b32 s30, s29
	s_cbranch_execz .LBB597_224
.LBB597_223:                            ;   in Loop: Header=BB597_96 Depth=2
	ds_load_b32 v62, v93 offset:16384
	s_wait_dscnt 0x0
	v_lshrrev_b32_e32 v62, s43, v62
	s_delay_alu instid0(VALU_DEP_1)
	v_and_b32_e32 v121, s48, v62
.LBB597_224:                            ;   in Loop: Header=BB597_96 Depth=2
	s_or_b32 exec_lo, exec_lo, s30
	v_dual_lshlrev_b32 v62, 3, v162 :: v_dual_lshlrev_b32 v138, 3, v149
	s_wait_loadcnt 0x0
	s_wait_storecnt 0x0
	s_barrier_signal -1
	s_barrier_wait -1
	ds_store_b64 v62, v[60:61] offset:1024
	v_dual_lshlrev_b32 v62, 3, v158 :: v_dual_lshlrev_b32 v139, 3, v148
	v_lshlrev_b32_e32 v63, 3, v154
	v_lshlrev_b32_e32 v137, 3, v150
	ds_store_b64 v62, v[58:59] offset:1024
	ds_store_b64 v63, v[56:57] offset:1024
	;; [unrolled: 1-line block ×5, first 2 shown]
	v_dual_lshlrev_b32 v62, 3, v146 :: v_dual_lshlrev_b32 v139, 3, v141
	v_dual_lshlrev_b32 v63, 3, v145 :: v_dual_lshlrev_b32 v137, 3, v144
	v_lshlrev_b32_e32 v138, 3, v142
	ds_store_b64 v62, v[48:49] offset:1024
	ds_store_b64 v63, v[46:47] offset:1024
	;; [unrolled: 1-line block ×5, first 2 shown]
	v_lshlrev_b32_e32 v62, 3, v65
	v_dual_lshlrev_b32 v63, 3, v69 :: v_dual_lshlrev_b32 v65, 3, v68
	v_dual_lshlrev_b32 v67, 3, v67 :: v_dual_lshlrev_b32 v66, 3, v66
	ds_store_b64 v62, v[38:39] offset:1024
	ds_store_b64 v63, v[36:37] offset:1024
	;; [unrolled: 1-line block ×5, first 2 shown]
	s_wait_dscnt 0x0
	s_barrier_signal -1
	s_barrier_wait -1
	s_and_saveexec_b32 s30, vcc_lo
	s_cbranch_execnz .LBB597_289
; %bb.225:                              ;   in Loop: Header=BB597_96 Depth=2
	s_or_b32 exec_lo, exec_lo, s30
	s_and_saveexec_b32 s30, s15
	s_cbranch_execnz .LBB597_290
.LBB597_226:                            ;   in Loop: Header=BB597_96 Depth=2
	s_or_b32 exec_lo, exec_lo, s30
	s_and_saveexec_b32 s15, s16
	s_cbranch_execnz .LBB597_291
.LBB597_227:                            ;   in Loop: Header=BB597_96 Depth=2
	s_or_b32 exec_lo, exec_lo, s15
	s_and_saveexec_b32 s15, s17
	s_cbranch_execnz .LBB597_292
.LBB597_228:                            ;   in Loop: Header=BB597_96 Depth=2
	s_or_b32 exec_lo, exec_lo, s15
	s_and_saveexec_b32 s15, s18
	s_cbranch_execnz .LBB597_293
.LBB597_229:                            ;   in Loop: Header=BB597_96 Depth=2
	s_or_b32 exec_lo, exec_lo, s15
	s_and_saveexec_b32 s15, s19
	s_cbranch_execnz .LBB597_294
.LBB597_230:                            ;   in Loop: Header=BB597_96 Depth=2
	s_or_b32 exec_lo, exec_lo, s15
	s_and_saveexec_b32 s15, s20
	s_cbranch_execnz .LBB597_295
.LBB597_231:                            ;   in Loop: Header=BB597_96 Depth=2
	s_or_b32 exec_lo, exec_lo, s15
	s_and_saveexec_b32 s15, s21
	s_cbranch_execnz .LBB597_296
.LBB597_232:                            ;   in Loop: Header=BB597_96 Depth=2
	s_or_b32 exec_lo, exec_lo, s15
	s_and_saveexec_b32 s15, s22
	s_cbranch_execnz .LBB597_297
.LBB597_233:                            ;   in Loop: Header=BB597_96 Depth=2
	s_or_b32 exec_lo, exec_lo, s15
	s_and_saveexec_b32 s15, s23
	s_cbranch_execnz .LBB597_298
.LBB597_234:                            ;   in Loop: Header=BB597_96 Depth=2
	s_or_b32 exec_lo, exec_lo, s15
	s_and_saveexec_b32 s15, s24
	s_cbranch_execnz .LBB597_299
.LBB597_235:                            ;   in Loop: Header=BB597_96 Depth=2
	s_or_b32 exec_lo, exec_lo, s15
	s_and_saveexec_b32 s15, s25
	s_cbranch_execnz .LBB597_300
.LBB597_236:                            ;   in Loop: Header=BB597_96 Depth=2
	s_or_b32 exec_lo, exec_lo, s15
	s_and_saveexec_b32 s15, s26
	s_cbranch_execnz .LBB597_301
.LBB597_237:                            ;   in Loop: Header=BB597_96 Depth=2
	s_or_b32 exec_lo, exec_lo, s15
	s_and_saveexec_b32 s15, s27
	s_cbranch_execnz .LBB597_302
.LBB597_238:                            ;   in Loop: Header=BB597_96 Depth=2
	s_or_b32 exec_lo, exec_lo, s15
	s_and_saveexec_b32 s15, s28
	s_cbranch_execnz .LBB597_303
.LBB597_239:                            ;   in Loop: Header=BB597_96 Depth=2
	s_or_b32 exec_lo, exec_lo, s15
	s_and_saveexec_b32 s15, s29
	s_cbranch_execz .LBB597_241
.LBB597_240:                            ;   in Loop: Header=BB597_96 Depth=2
	v_dual_lshlrev_b32 v62, 2, v121 :: v_dual_add_nc_u32 v63, v93, v4
	ds_load_b32 v65, v62
	ds_load_b64 v[62:63], v63 offset:31744
	s_wait_dscnt 0x1
	v_add_nc_u32_e32 v65, v65, v83
	s_wait_dscnt 0x0
	global_store_b64 v65, v[62:63], s[44:45] scale_offset
.LBB597_241:                            ;   in Loop: Header=BB597_96 Depth=2
	s_wait_xcnt 0x0
	s_or_b32 exec_lo, exec_lo, s15
	s_wait_storecnt 0x0
	s_barrier_signal -1
	s_barrier_wait -1
	s_and_saveexec_b32 s15, s0
	s_cbranch_execz .LBB597_95
; %bb.242:                              ;   in Loop: Header=BB597_96 Depth=2
	ds_load_b32 v62, v4
	s_wait_dscnt 0x0
	v_add_nc_u32_e32 v62, v62, v64
	ds_store_b32 v4, v62
	s_branch .LBB597_95
.LBB597_243:                            ;   in Loop: Header=BB597_96 Depth=2
	ds_load_b32 v62, v93 offset:1024
	s_wait_dscnt 0x0
	v_lshrrev_b32_e32 v63, s43, v62
	v_xor_b32_e32 v62, 0x80000000, v62
	s_delay_alu instid0(VALU_DEP_2) | instskip(NEXT) | instid1(VALU_DEP_1)
	v_and_b32_e32 v63, s48, v63
	v_lshlrev_b32_e32 v63, 2, v63
	ds_load_b32 v63, v63
	s_wait_dscnt 0x0
	v_add_nc_u32_e32 v63, v63, v2
	global_store_b32 v63, v62, s[38:39] scale_offset
	s_wait_xcnt 0x0
	s_or_b32 exec_lo, exec_lo, s15
	v_cmp_lt_u32_e64 s15, v3, v137
	s_and_saveexec_b32 s16, s15
	s_cbranch_execz .LBB597_176
.LBB597_244:                            ;   in Loop: Header=BB597_96 Depth=2
	ds_load_b32 v62, v93 offset:2048
	s_wait_dscnt 0x0
	v_lshrrev_b32_e32 v63, s43, v62
	v_xor_b32_e32 v62, 0x80000000, v62
	s_delay_alu instid0(VALU_DEP_2) | instskip(NEXT) | instid1(VALU_DEP_1)
	v_and_b32_e32 v63, s48, v63
	v_lshlrev_b32_e32 v63, 2, v63
	ds_load_b32 v63, v63
	s_wait_dscnt 0x0
	v_add_nc_u32_e32 v63, v63, v3
	global_store_b32 v63, v62, s[38:39] scale_offset
	s_wait_xcnt 0x0
	s_or_b32 exec_lo, exec_lo, s16
	v_cmp_lt_u32_e64 s16, v70, v137
	s_and_saveexec_b32 s17, s16
	s_cbranch_execz .LBB597_177
.LBB597_245:                            ;   in Loop: Header=BB597_96 Depth=2
	ds_load_b32 v62, v93 offset:3072
	s_wait_dscnt 0x0
	v_lshrrev_b32_e32 v63, s43, v62
	v_xor_b32_e32 v62, 0x80000000, v62
	s_delay_alu instid0(VALU_DEP_2) | instskip(NEXT) | instid1(VALU_DEP_1)
	v_and_b32_e32 v63, s48, v63
	v_lshlrev_b32_e32 v63, 2, v63
	ds_load_b32 v63, v63
	s_wait_dscnt 0x0
	v_add_nc_u32_e32 v63, v63, v70
	global_store_b32 v63, v62, s[38:39] scale_offset
	s_wait_xcnt 0x0
	s_or_b32 exec_lo, exec_lo, s17
	v_cmp_lt_u32_e64 s17, v71, v137
	s_and_saveexec_b32 s18, s17
	s_cbranch_execz .LBB597_178
.LBB597_246:                            ;   in Loop: Header=BB597_96 Depth=2
	ds_load_b32 v62, v93 offset:4096
	s_wait_dscnt 0x0
	v_lshrrev_b32_e32 v63, s43, v62
	v_xor_b32_e32 v62, 0x80000000, v62
	s_delay_alu instid0(VALU_DEP_2) | instskip(NEXT) | instid1(VALU_DEP_1)
	v_and_b32_e32 v63, s48, v63
	v_lshlrev_b32_e32 v63, 2, v63
	ds_load_b32 v63, v63
	s_wait_dscnt 0x0
	v_add_nc_u32_e32 v63, v63, v71
	global_store_b32 v63, v62, s[38:39] scale_offset
	s_wait_xcnt 0x0
	s_or_b32 exec_lo, exec_lo, s18
	v_cmp_lt_u32_e64 s18, v72, v137
	s_and_saveexec_b32 s19, s18
	s_cbranch_execz .LBB597_179
.LBB597_247:                            ;   in Loop: Header=BB597_96 Depth=2
	ds_load_b32 v62, v93 offset:5120
	s_wait_dscnt 0x0
	v_lshrrev_b32_e32 v63, s43, v62
	v_xor_b32_e32 v62, 0x80000000, v62
	s_delay_alu instid0(VALU_DEP_2) | instskip(NEXT) | instid1(VALU_DEP_1)
	v_and_b32_e32 v63, s48, v63
	v_lshlrev_b32_e32 v63, 2, v63
	ds_load_b32 v63, v63
	s_wait_dscnt 0x0
	v_add_nc_u32_e32 v63, v63, v72
	global_store_b32 v63, v62, s[38:39] scale_offset
	s_wait_xcnt 0x0
	s_or_b32 exec_lo, exec_lo, s19
	v_cmp_lt_u32_e64 s19, v73, v137
	s_and_saveexec_b32 s20, s19
	s_cbranch_execz .LBB597_180
.LBB597_248:                            ;   in Loop: Header=BB597_96 Depth=2
	ds_load_b32 v62, v93 offset:6144
	s_wait_dscnt 0x0
	v_lshrrev_b32_e32 v63, s43, v62
	v_xor_b32_e32 v62, 0x80000000, v62
	s_delay_alu instid0(VALU_DEP_2) | instskip(NEXT) | instid1(VALU_DEP_1)
	v_and_b32_e32 v63, s48, v63
	v_lshlrev_b32_e32 v63, 2, v63
	ds_load_b32 v63, v63
	s_wait_dscnt 0x0
	v_add_nc_u32_e32 v63, v63, v73
	global_store_b32 v63, v62, s[38:39] scale_offset
	s_wait_xcnt 0x0
	s_or_b32 exec_lo, exec_lo, s20
	v_cmp_lt_u32_e64 s20, v74, v137
	s_and_saveexec_b32 s21, s20
	s_cbranch_execz .LBB597_181
.LBB597_249:                            ;   in Loop: Header=BB597_96 Depth=2
	ds_load_b32 v62, v93 offset:7168
	s_wait_dscnt 0x0
	v_lshrrev_b32_e32 v63, s43, v62
	v_xor_b32_e32 v62, 0x80000000, v62
	s_delay_alu instid0(VALU_DEP_2) | instskip(NEXT) | instid1(VALU_DEP_1)
	v_and_b32_e32 v63, s48, v63
	v_lshlrev_b32_e32 v63, 2, v63
	ds_load_b32 v63, v63
	s_wait_dscnt 0x0
	v_add_nc_u32_e32 v63, v63, v74
	global_store_b32 v63, v62, s[38:39] scale_offset
	s_wait_xcnt 0x0
	s_or_b32 exec_lo, exec_lo, s21
	v_cmp_lt_u32_e64 s21, v75, v137
	s_and_saveexec_b32 s22, s21
	s_cbranch_execz .LBB597_182
.LBB597_250:                            ;   in Loop: Header=BB597_96 Depth=2
	ds_load_b32 v62, v93 offset:8192
	s_wait_dscnt 0x0
	v_lshrrev_b32_e32 v63, s43, v62
	v_xor_b32_e32 v62, 0x80000000, v62
	s_delay_alu instid0(VALU_DEP_2) | instskip(NEXT) | instid1(VALU_DEP_1)
	v_and_b32_e32 v63, s48, v63
	v_lshlrev_b32_e32 v63, 2, v63
	ds_load_b32 v63, v63
	s_wait_dscnt 0x0
	v_add_nc_u32_e32 v63, v63, v75
	global_store_b32 v63, v62, s[38:39] scale_offset
	s_wait_xcnt 0x0
	s_or_b32 exec_lo, exec_lo, s22
	v_cmp_lt_u32_e64 s22, v76, v137
	s_and_saveexec_b32 s23, s22
	s_cbranch_execz .LBB597_183
.LBB597_251:                            ;   in Loop: Header=BB597_96 Depth=2
	ds_load_b32 v62, v93 offset:9216
	s_wait_dscnt 0x0
	v_lshrrev_b32_e32 v63, s43, v62
	v_xor_b32_e32 v62, 0x80000000, v62
	s_delay_alu instid0(VALU_DEP_2) | instskip(NEXT) | instid1(VALU_DEP_1)
	v_and_b32_e32 v63, s48, v63
	v_lshlrev_b32_e32 v63, 2, v63
	ds_load_b32 v63, v63
	s_wait_dscnt 0x0
	v_add_nc_u32_e32 v63, v63, v76
	global_store_b32 v63, v62, s[38:39] scale_offset
	s_wait_xcnt 0x0
	s_or_b32 exec_lo, exec_lo, s23
	v_cmp_lt_u32_e64 s23, v77, v137
	s_and_saveexec_b32 s24, s23
	s_cbranch_execz .LBB597_184
.LBB597_252:                            ;   in Loop: Header=BB597_96 Depth=2
	ds_load_b32 v62, v93 offset:10240
	s_wait_dscnt 0x0
	v_lshrrev_b32_e32 v63, s43, v62
	v_xor_b32_e32 v62, 0x80000000, v62
	s_delay_alu instid0(VALU_DEP_2) | instskip(NEXT) | instid1(VALU_DEP_1)
	v_and_b32_e32 v63, s48, v63
	v_lshlrev_b32_e32 v63, 2, v63
	ds_load_b32 v63, v63
	s_wait_dscnt 0x0
	v_add_nc_u32_e32 v63, v63, v77
	global_store_b32 v63, v62, s[38:39] scale_offset
	s_wait_xcnt 0x0
	s_or_b32 exec_lo, exec_lo, s24
	v_cmp_lt_u32_e64 s24, v78, v137
	s_and_saveexec_b32 s25, s24
	s_cbranch_execz .LBB597_185
.LBB597_253:                            ;   in Loop: Header=BB597_96 Depth=2
	ds_load_b32 v62, v93 offset:11264
	s_wait_dscnt 0x0
	v_lshrrev_b32_e32 v63, s43, v62
	v_xor_b32_e32 v62, 0x80000000, v62
	s_delay_alu instid0(VALU_DEP_2) | instskip(NEXT) | instid1(VALU_DEP_1)
	v_and_b32_e32 v63, s48, v63
	v_lshlrev_b32_e32 v63, 2, v63
	ds_load_b32 v63, v63
	s_wait_dscnt 0x0
	v_add_nc_u32_e32 v63, v63, v78
	global_store_b32 v63, v62, s[38:39] scale_offset
	s_wait_xcnt 0x0
	s_or_b32 exec_lo, exec_lo, s25
	v_cmp_lt_u32_e64 s25, v79, v137
	s_and_saveexec_b32 s26, s25
	s_cbranch_execz .LBB597_186
.LBB597_254:                            ;   in Loop: Header=BB597_96 Depth=2
	ds_load_b32 v62, v93 offset:12288
	s_wait_dscnt 0x0
	v_lshrrev_b32_e32 v63, s43, v62
	v_xor_b32_e32 v62, 0x80000000, v62
	s_delay_alu instid0(VALU_DEP_2) | instskip(NEXT) | instid1(VALU_DEP_1)
	v_and_b32_e32 v63, s48, v63
	v_lshlrev_b32_e32 v63, 2, v63
	ds_load_b32 v63, v63
	s_wait_dscnt 0x0
	v_add_nc_u32_e32 v63, v63, v79
	global_store_b32 v63, v62, s[38:39] scale_offset
	s_wait_xcnt 0x0
	s_or_b32 exec_lo, exec_lo, s26
	v_cmp_lt_u32_e64 s26, v80, v137
	s_and_saveexec_b32 s27, s26
	s_cbranch_execz .LBB597_187
.LBB597_255:                            ;   in Loop: Header=BB597_96 Depth=2
	ds_load_b32 v62, v93 offset:13312
	s_wait_dscnt 0x0
	v_lshrrev_b32_e32 v63, s43, v62
	v_xor_b32_e32 v62, 0x80000000, v62
	s_delay_alu instid0(VALU_DEP_2) | instskip(NEXT) | instid1(VALU_DEP_1)
	v_and_b32_e32 v63, s48, v63
	v_lshlrev_b32_e32 v63, 2, v63
	ds_load_b32 v63, v63
	s_wait_dscnt 0x0
	v_add_nc_u32_e32 v63, v63, v80
	global_store_b32 v63, v62, s[38:39] scale_offset
	s_wait_xcnt 0x0
	s_or_b32 exec_lo, exec_lo, s27
	v_cmp_lt_u32_e64 s27, v81, v137
	s_and_saveexec_b32 s28, s27
	s_cbranch_execz .LBB597_188
.LBB597_256:                            ;   in Loop: Header=BB597_96 Depth=2
	ds_load_b32 v62, v93 offset:14336
	s_wait_dscnt 0x0
	v_lshrrev_b32_e32 v63, s43, v62
	v_xor_b32_e32 v62, 0x80000000, v62
	s_delay_alu instid0(VALU_DEP_2) | instskip(NEXT) | instid1(VALU_DEP_1)
	v_and_b32_e32 v63, s48, v63
	v_lshlrev_b32_e32 v63, 2, v63
	ds_load_b32 v63, v63
	s_wait_dscnt 0x0
	v_add_nc_u32_e32 v63, v63, v81
	global_store_b32 v63, v62, s[38:39] scale_offset
	s_wait_xcnt 0x0
	s_or_b32 exec_lo, exec_lo, s28
	v_cmp_lt_u32_e64 s28, v82, v137
	s_and_saveexec_b32 s29, s28
	s_cbranch_execz .LBB597_189
.LBB597_257:                            ;   in Loop: Header=BB597_96 Depth=2
	ds_load_b32 v62, v93 offset:15360
	s_wait_dscnt 0x0
	v_lshrrev_b32_e32 v63, s43, v62
	v_xor_b32_e32 v62, 0x80000000, v62
	s_delay_alu instid0(VALU_DEP_2) | instskip(NEXT) | instid1(VALU_DEP_1)
	v_and_b32_e32 v63, s48, v63
	v_lshlrev_b32_e32 v63, 2, v63
	ds_load_b32 v63, v63
	s_wait_dscnt 0x0
	v_add_nc_u32_e32 v63, v63, v82
	global_store_b32 v63, v62, s[38:39] scale_offset
	s_wait_xcnt 0x0
	s_or_b32 exec_lo, exec_lo, s29
	v_cmp_lt_u32_e64 s29, v83, v137
	s_and_saveexec_b32 s57, s29
	s_cbranch_execnz .LBB597_190
	s_branch .LBB597_191
.LBB597_258:                            ;   in Loop: Header=BB597_96 Depth=2
	global_load_b64 v[60:61], v[62:63], off
	s_wait_xcnt 0x0
	s_or_b32 exec_lo, exec_lo, s30
	s_delay_alu instid0(SALU_CYCLE_1)
	s_mov_b32 s57, exec_lo
	v_cmpx_lt_u32_e64 v102, v137
	s_cbranch_execz .LBB597_193
.LBB597_259:                            ;   in Loop: Header=BB597_96 Depth=2
	global_load_b64 v[58:59], v[62:63], off offset:256
	s_wait_xcnt 0x0
	s_or_b32 exec_lo, exec_lo, s57
	s_delay_alu instid0(SALU_CYCLE_1)
	s_mov_b32 s57, exec_lo
	v_cmpx_lt_u32_e64 v103, v137
	s_cbranch_execz .LBB597_194
.LBB597_260:                            ;   in Loop: Header=BB597_96 Depth=2
	global_load_b64 v[56:57], v[62:63], off offset:512
	s_wait_xcnt 0x0
	s_or_b32 exec_lo, exec_lo, s57
	s_delay_alu instid0(SALU_CYCLE_1)
	s_mov_b32 s57, exec_lo
	v_cmpx_lt_u32_e64 v104, v137
	s_cbranch_execz .LBB597_195
.LBB597_261:                            ;   in Loop: Header=BB597_96 Depth=2
	global_load_b64 v[54:55], v[62:63], off offset:768
	s_wait_xcnt 0x0
	s_or_b32 exec_lo, exec_lo, s57
	s_delay_alu instid0(SALU_CYCLE_1)
	s_mov_b32 s57, exec_lo
	v_cmpx_lt_u32_e64 v105, v137
	s_cbranch_execz .LBB597_196
.LBB597_262:                            ;   in Loop: Header=BB597_96 Depth=2
	global_load_b64 v[52:53], v[62:63], off offset:1024
	s_wait_xcnt 0x0
	s_or_b32 exec_lo, exec_lo, s57
	s_delay_alu instid0(SALU_CYCLE_1)
	s_mov_b32 s57, exec_lo
	v_cmpx_lt_u32_e64 v106, v137
	s_cbranch_execz .LBB597_197
.LBB597_263:                            ;   in Loop: Header=BB597_96 Depth=2
	global_load_b64 v[50:51], v[62:63], off offset:1280
	s_wait_xcnt 0x0
	s_or_b32 exec_lo, exec_lo, s57
	s_delay_alu instid0(SALU_CYCLE_1)
	s_mov_b32 s57, exec_lo
	v_cmpx_lt_u32_e64 v107, v137
	s_cbranch_execz .LBB597_198
.LBB597_264:                            ;   in Loop: Header=BB597_96 Depth=2
	global_load_b64 v[48:49], v[62:63], off offset:1536
	s_wait_xcnt 0x0
	s_or_b32 exec_lo, exec_lo, s57
	s_delay_alu instid0(SALU_CYCLE_1)
	s_mov_b32 s57, exec_lo
	v_cmpx_lt_u32_e64 v108, v137
	s_cbranch_execz .LBB597_199
.LBB597_265:                            ;   in Loop: Header=BB597_96 Depth=2
	global_load_b64 v[46:47], v[62:63], off offset:1792
	s_wait_xcnt 0x0
	s_or_b32 exec_lo, exec_lo, s57
	s_delay_alu instid0(SALU_CYCLE_1)
	s_mov_b32 s57, exec_lo
	v_cmpx_lt_u32_e64 v109, v137
	s_cbranch_execz .LBB597_200
.LBB597_266:                            ;   in Loop: Header=BB597_96 Depth=2
	global_load_b64 v[44:45], v[62:63], off offset:2048
	s_wait_xcnt 0x0
	s_or_b32 exec_lo, exec_lo, s57
	s_delay_alu instid0(SALU_CYCLE_1)
	s_mov_b32 s57, exec_lo
	v_cmpx_lt_u32_e64 v110, v137
	s_cbranch_execz .LBB597_201
.LBB597_267:                            ;   in Loop: Header=BB597_96 Depth=2
	global_load_b64 v[42:43], v[62:63], off offset:2304
	s_wait_xcnt 0x0
	s_or_b32 exec_lo, exec_lo, s57
	s_delay_alu instid0(SALU_CYCLE_1)
	s_mov_b32 s57, exec_lo
	v_cmpx_lt_u32_e64 v111, v137
	s_cbranch_execz .LBB597_202
.LBB597_268:                            ;   in Loop: Header=BB597_96 Depth=2
	global_load_b64 v[40:41], v[62:63], off offset:2560
	s_wait_xcnt 0x0
	s_or_b32 exec_lo, exec_lo, s57
	s_delay_alu instid0(SALU_CYCLE_1)
	s_mov_b32 s57, exec_lo
	v_cmpx_lt_u32_e64 v112, v137
	s_cbranch_execz .LBB597_203
.LBB597_269:                            ;   in Loop: Header=BB597_96 Depth=2
	global_load_b64 v[38:39], v[62:63], off offset:2816
	s_wait_xcnt 0x0
	s_or_b32 exec_lo, exec_lo, s57
	s_delay_alu instid0(SALU_CYCLE_1)
	s_mov_b32 s57, exec_lo
	v_cmpx_lt_u32_e64 v113, v137
	s_cbranch_execz .LBB597_204
.LBB597_270:                            ;   in Loop: Header=BB597_96 Depth=2
	global_load_b64 v[36:37], v[62:63], off offset:3072
	s_wait_xcnt 0x0
	s_or_b32 exec_lo, exec_lo, s57
	s_delay_alu instid0(SALU_CYCLE_1)
	s_mov_b32 s57, exec_lo
	v_cmpx_lt_u32_e64 v114, v137
	s_cbranch_execz .LBB597_205
.LBB597_271:                            ;   in Loop: Header=BB597_96 Depth=2
	global_load_b64 v[34:35], v[62:63], off offset:3328
	s_wait_xcnt 0x0
	s_or_b32 exec_lo, exec_lo, s57
	s_delay_alu instid0(SALU_CYCLE_1)
	s_mov_b32 s57, exec_lo
	v_cmpx_lt_u32_e64 v115, v137
	s_cbranch_execz .LBB597_206
.LBB597_272:                            ;   in Loop: Header=BB597_96 Depth=2
	global_load_b64 v[32:33], v[62:63], off offset:3584
	s_wait_xcnt 0x0
	s_or_b32 exec_lo, exec_lo, s57
	s_delay_alu instid0(SALU_CYCLE_1)
	s_mov_b32 s57, exec_lo
	v_cmpx_lt_u32_e64 v116, v137
	s_cbranch_execz .LBB597_207
.LBB597_273:                            ;   in Loop: Header=BB597_96 Depth=2
	global_load_b64 v[30:31], v[62:63], off offset:3840
	s_wait_xcnt 0x0
	s_or_b32 exec_lo, exec_lo, s57
	s_and_saveexec_b32 s30, vcc_lo
	s_cbranch_execz .LBB597_208
.LBB597_274:                            ;   in Loop: Header=BB597_96 Depth=2
	ds_load_b32 v62, v93 offset:1024
	s_wait_dscnt 0x0
	v_lshrrev_b32_e32 v62, s43, v62
	s_delay_alu instid0(VALU_DEP_1)
	v_and_b32_e32 v136, s48, v62
	s_or_b32 exec_lo, exec_lo, s30
	s_and_saveexec_b32 s30, s15
	s_cbranch_execz .LBB597_209
.LBB597_275:                            ;   in Loop: Header=BB597_96 Depth=2
	ds_load_b32 v62, v93 offset:2048
	s_wait_dscnt 0x0
	v_lshrrev_b32_e32 v62, s43, v62
	s_delay_alu instid0(VALU_DEP_1)
	v_and_b32_e32 v135, s48, v62
	s_or_b32 exec_lo, exec_lo, s30
	s_and_saveexec_b32 s30, s16
	s_cbranch_execz .LBB597_210
.LBB597_276:                            ;   in Loop: Header=BB597_96 Depth=2
	ds_load_b32 v62, v93 offset:3072
	s_wait_dscnt 0x0
	v_lshrrev_b32_e32 v62, s43, v62
	s_delay_alu instid0(VALU_DEP_1)
	v_and_b32_e32 v134, s48, v62
	s_or_b32 exec_lo, exec_lo, s30
	s_and_saveexec_b32 s30, s17
	s_cbranch_execz .LBB597_211
.LBB597_277:                            ;   in Loop: Header=BB597_96 Depth=2
	ds_load_b32 v62, v93 offset:4096
	s_wait_dscnt 0x0
	v_lshrrev_b32_e32 v62, s43, v62
	s_delay_alu instid0(VALU_DEP_1)
	v_and_b32_e32 v133, s48, v62
	s_or_b32 exec_lo, exec_lo, s30
	s_and_saveexec_b32 s30, s18
	s_cbranch_execz .LBB597_212
.LBB597_278:                            ;   in Loop: Header=BB597_96 Depth=2
	ds_load_b32 v62, v93 offset:5120
	s_wait_dscnt 0x0
	v_lshrrev_b32_e32 v62, s43, v62
	s_delay_alu instid0(VALU_DEP_1)
	v_and_b32_e32 v132, s48, v62
	s_or_b32 exec_lo, exec_lo, s30
	s_and_saveexec_b32 s30, s19
	s_cbranch_execz .LBB597_213
.LBB597_279:                            ;   in Loop: Header=BB597_96 Depth=2
	ds_load_b32 v62, v93 offset:6144
	s_wait_dscnt 0x0
	v_lshrrev_b32_e32 v62, s43, v62
	s_delay_alu instid0(VALU_DEP_1)
	v_and_b32_e32 v131, s48, v62
	s_or_b32 exec_lo, exec_lo, s30
	s_and_saveexec_b32 s30, s20
	s_cbranch_execz .LBB597_214
.LBB597_280:                            ;   in Loop: Header=BB597_96 Depth=2
	ds_load_b32 v62, v93 offset:7168
	s_wait_dscnt 0x0
	v_lshrrev_b32_e32 v62, s43, v62
	s_delay_alu instid0(VALU_DEP_1)
	v_and_b32_e32 v130, s48, v62
	s_or_b32 exec_lo, exec_lo, s30
	s_and_saveexec_b32 s30, s21
	s_cbranch_execz .LBB597_215
.LBB597_281:                            ;   in Loop: Header=BB597_96 Depth=2
	ds_load_b32 v62, v93 offset:8192
	s_wait_dscnt 0x0
	v_lshrrev_b32_e32 v62, s43, v62
	s_delay_alu instid0(VALU_DEP_1)
	v_and_b32_e32 v129, s48, v62
	s_or_b32 exec_lo, exec_lo, s30
	s_and_saveexec_b32 s30, s22
	s_cbranch_execz .LBB597_216
.LBB597_282:                            ;   in Loop: Header=BB597_96 Depth=2
	ds_load_b32 v62, v93 offset:9216
	s_wait_dscnt 0x0
	v_lshrrev_b32_e32 v62, s43, v62
	s_delay_alu instid0(VALU_DEP_1)
	v_and_b32_e32 v128, s48, v62
	s_or_b32 exec_lo, exec_lo, s30
	s_and_saveexec_b32 s30, s23
	s_cbranch_execz .LBB597_217
.LBB597_283:                            ;   in Loop: Header=BB597_96 Depth=2
	ds_load_b32 v62, v93 offset:10240
	s_wait_dscnt 0x0
	v_lshrrev_b32_e32 v62, s43, v62
	s_delay_alu instid0(VALU_DEP_1)
	v_and_b32_e32 v127, s48, v62
	s_or_b32 exec_lo, exec_lo, s30
	s_and_saveexec_b32 s30, s24
	s_cbranch_execz .LBB597_218
.LBB597_284:                            ;   in Loop: Header=BB597_96 Depth=2
	ds_load_b32 v62, v93 offset:11264
	s_wait_dscnt 0x0
	v_lshrrev_b32_e32 v62, s43, v62
	s_delay_alu instid0(VALU_DEP_1)
	v_and_b32_e32 v126, s48, v62
	s_or_b32 exec_lo, exec_lo, s30
	s_and_saveexec_b32 s30, s25
	s_cbranch_execz .LBB597_219
.LBB597_285:                            ;   in Loop: Header=BB597_96 Depth=2
	ds_load_b32 v62, v93 offset:12288
	s_wait_dscnt 0x0
	v_lshrrev_b32_e32 v62, s43, v62
	s_delay_alu instid0(VALU_DEP_1)
	v_and_b32_e32 v125, s48, v62
	s_or_b32 exec_lo, exec_lo, s30
	s_and_saveexec_b32 s30, s26
	s_cbranch_execz .LBB597_220
.LBB597_286:                            ;   in Loop: Header=BB597_96 Depth=2
	ds_load_b32 v62, v93 offset:13312
	s_wait_dscnt 0x0
	v_lshrrev_b32_e32 v62, s43, v62
	s_delay_alu instid0(VALU_DEP_1)
	v_and_b32_e32 v124, s48, v62
	s_or_b32 exec_lo, exec_lo, s30
	s_and_saveexec_b32 s30, s27
	s_cbranch_execz .LBB597_221
.LBB597_287:                            ;   in Loop: Header=BB597_96 Depth=2
	ds_load_b32 v62, v93 offset:14336
	s_wait_dscnt 0x0
	v_lshrrev_b32_e32 v62, s43, v62
	s_delay_alu instid0(VALU_DEP_1)
	v_and_b32_e32 v123, s48, v62
	s_or_b32 exec_lo, exec_lo, s30
	s_and_saveexec_b32 s30, s28
	s_cbranch_execz .LBB597_222
.LBB597_288:                            ;   in Loop: Header=BB597_96 Depth=2
	ds_load_b32 v62, v93 offset:15360
	s_wait_dscnt 0x0
	v_lshrrev_b32_e32 v62, s43, v62
	s_delay_alu instid0(VALU_DEP_1)
	v_and_b32_e32 v122, s48, v62
	s_or_b32 exec_lo, exec_lo, s30
	s_and_saveexec_b32 s30, s29
	s_cbranch_execnz .LBB597_223
	s_branch .LBB597_224
.LBB597_289:                            ;   in Loop: Header=BB597_96 Depth=2
	v_lshlrev_b32_e32 v62, 2, v136
	v_add_nc_u32_e32 v63, v93, v4
	ds_load_b32 v65, v62
	ds_load_b64 v[62:63], v63 offset:1024
	s_wait_dscnt 0x1
	v_add_nc_u32_e32 v65, v65, v2
	s_wait_dscnt 0x0
	global_store_b64 v65, v[62:63], s[44:45] scale_offset
	s_wait_xcnt 0x0
	s_or_b32 exec_lo, exec_lo, s30
	s_and_saveexec_b32 s30, s15
	s_cbranch_execz .LBB597_226
.LBB597_290:                            ;   in Loop: Header=BB597_96 Depth=2
	v_dual_lshlrev_b32 v62, 2, v135 :: v_dual_add_nc_u32 v63, v93, v4
	ds_load_b32 v65, v62
	ds_load_b64 v[62:63], v63 offset:3072
	s_wait_dscnt 0x1
	v_add_nc_u32_e32 v65, v65, v3
	s_wait_dscnt 0x0
	global_store_b64 v65, v[62:63], s[44:45] scale_offset
	s_wait_xcnt 0x0
	s_or_b32 exec_lo, exec_lo, s30
	s_and_saveexec_b32 s15, s16
	s_cbranch_execz .LBB597_227
.LBB597_291:                            ;   in Loop: Header=BB597_96 Depth=2
	v_dual_lshlrev_b32 v62, 2, v134 :: v_dual_add_nc_u32 v63, v93, v4
	ds_load_b32 v65, v62
	ds_load_b64 v[62:63], v63 offset:5120
	s_wait_dscnt 0x1
	v_add_nc_u32_e32 v65, v65, v70
	s_wait_dscnt 0x0
	global_store_b64 v65, v[62:63], s[44:45] scale_offset
	s_wait_xcnt 0x0
	s_or_b32 exec_lo, exec_lo, s15
	s_and_saveexec_b32 s15, s17
	s_cbranch_execz .LBB597_228
.LBB597_292:                            ;   in Loop: Header=BB597_96 Depth=2
	v_dual_lshlrev_b32 v62, 2, v133 :: v_dual_add_nc_u32 v63, v93, v4
	ds_load_b32 v65, v62
	ds_load_b64 v[62:63], v63 offset:7168
	s_wait_dscnt 0x1
	v_add_nc_u32_e32 v65, v65, v71
	s_wait_dscnt 0x0
	global_store_b64 v65, v[62:63], s[44:45] scale_offset
	s_wait_xcnt 0x0
	s_or_b32 exec_lo, exec_lo, s15
	s_and_saveexec_b32 s15, s18
	s_cbranch_execz .LBB597_229
.LBB597_293:                            ;   in Loop: Header=BB597_96 Depth=2
	v_lshlrev_b32_e32 v62, 2, v132
	v_add_nc_u32_e32 v63, v93, v4
	ds_load_b32 v65, v62
	ds_load_b64 v[62:63], v63 offset:9216
	s_wait_dscnt 0x1
	v_add_nc_u32_e32 v65, v65, v72
	s_wait_dscnt 0x0
	global_store_b64 v65, v[62:63], s[44:45] scale_offset
	s_wait_xcnt 0x0
	s_or_b32 exec_lo, exec_lo, s15
	s_and_saveexec_b32 s15, s19
	s_cbranch_execz .LBB597_230
.LBB597_294:                            ;   in Loop: Header=BB597_96 Depth=2
	v_dual_lshlrev_b32 v62, 2, v131 :: v_dual_add_nc_u32 v63, v93, v4
	ds_load_b32 v65, v62
	ds_load_b64 v[62:63], v63 offset:11264
	s_wait_dscnt 0x1
	v_add_nc_u32_e32 v65, v65, v73
	s_wait_dscnt 0x0
	global_store_b64 v65, v[62:63], s[44:45] scale_offset
	s_wait_xcnt 0x0
	s_or_b32 exec_lo, exec_lo, s15
	s_and_saveexec_b32 s15, s20
	s_cbranch_execz .LBB597_231
.LBB597_295:                            ;   in Loop: Header=BB597_96 Depth=2
	v_dual_lshlrev_b32 v62, 2, v130 :: v_dual_add_nc_u32 v63, v93, v4
	ds_load_b32 v65, v62
	ds_load_b64 v[62:63], v63 offset:13312
	s_wait_dscnt 0x1
	v_add_nc_u32_e32 v65, v65, v74
	s_wait_dscnt 0x0
	global_store_b64 v65, v[62:63], s[44:45] scale_offset
	s_wait_xcnt 0x0
	s_or_b32 exec_lo, exec_lo, s15
	s_and_saveexec_b32 s15, s21
	s_cbranch_execz .LBB597_232
.LBB597_296:                            ;   in Loop: Header=BB597_96 Depth=2
	v_dual_lshlrev_b32 v62, 2, v129 :: v_dual_add_nc_u32 v63, v93, v4
	ds_load_b32 v65, v62
	ds_load_b64 v[62:63], v63 offset:15360
	s_wait_dscnt 0x1
	v_add_nc_u32_e32 v65, v65, v75
	s_wait_dscnt 0x0
	global_store_b64 v65, v[62:63], s[44:45] scale_offset
	s_wait_xcnt 0x0
	s_or_b32 exec_lo, exec_lo, s15
	s_and_saveexec_b32 s15, s22
	s_cbranch_execz .LBB597_233
.LBB597_297:                            ;   in Loop: Header=BB597_96 Depth=2
	v_lshlrev_b32_e32 v62, 2, v128
	v_add_nc_u32_e32 v63, v93, v4
	ds_load_b32 v65, v62
	ds_load_b64 v[62:63], v63 offset:17408
	s_wait_dscnt 0x1
	v_add_nc_u32_e32 v65, v65, v76
	s_wait_dscnt 0x0
	global_store_b64 v65, v[62:63], s[44:45] scale_offset
	s_wait_xcnt 0x0
	s_or_b32 exec_lo, exec_lo, s15
	s_and_saveexec_b32 s15, s23
	s_cbranch_execz .LBB597_234
.LBB597_298:                            ;   in Loop: Header=BB597_96 Depth=2
	v_dual_lshlrev_b32 v62, 2, v127 :: v_dual_add_nc_u32 v63, v93, v4
	ds_load_b32 v65, v62
	ds_load_b64 v[62:63], v63 offset:19456
	s_wait_dscnt 0x1
	v_add_nc_u32_e32 v65, v65, v77
	s_wait_dscnt 0x0
	global_store_b64 v65, v[62:63], s[44:45] scale_offset
	s_wait_xcnt 0x0
	s_or_b32 exec_lo, exec_lo, s15
	s_and_saveexec_b32 s15, s24
	s_cbranch_execz .LBB597_235
.LBB597_299:                            ;   in Loop: Header=BB597_96 Depth=2
	v_dual_lshlrev_b32 v62, 2, v126 :: v_dual_add_nc_u32 v63, v93, v4
	ds_load_b32 v65, v62
	ds_load_b64 v[62:63], v63 offset:21504
	s_wait_dscnt 0x1
	v_add_nc_u32_e32 v65, v65, v78
	s_wait_dscnt 0x0
	global_store_b64 v65, v[62:63], s[44:45] scale_offset
	s_wait_xcnt 0x0
	s_or_b32 exec_lo, exec_lo, s15
	s_and_saveexec_b32 s15, s25
	s_cbranch_execz .LBB597_236
.LBB597_300:                            ;   in Loop: Header=BB597_96 Depth=2
	v_dual_lshlrev_b32 v62, 2, v125 :: v_dual_add_nc_u32 v63, v93, v4
	ds_load_b32 v65, v62
	ds_load_b64 v[62:63], v63 offset:23552
	s_wait_dscnt 0x1
	v_add_nc_u32_e32 v65, v65, v79
	s_wait_dscnt 0x0
	global_store_b64 v65, v[62:63], s[44:45] scale_offset
	s_wait_xcnt 0x0
	s_or_b32 exec_lo, exec_lo, s15
	s_and_saveexec_b32 s15, s26
	s_cbranch_execz .LBB597_237
.LBB597_301:                            ;   in Loop: Header=BB597_96 Depth=2
	v_lshlrev_b32_e32 v62, 2, v124
	v_add_nc_u32_e32 v63, v93, v4
	ds_load_b32 v65, v62
	ds_load_b64 v[62:63], v63 offset:25600
	s_wait_dscnt 0x1
	v_add_nc_u32_e32 v65, v65, v80
	s_wait_dscnt 0x0
	global_store_b64 v65, v[62:63], s[44:45] scale_offset
	s_wait_xcnt 0x0
	s_or_b32 exec_lo, exec_lo, s15
	s_and_saveexec_b32 s15, s27
	s_cbranch_execz .LBB597_238
.LBB597_302:                            ;   in Loop: Header=BB597_96 Depth=2
	v_dual_lshlrev_b32 v62, 2, v123 :: v_dual_add_nc_u32 v63, v93, v4
	ds_load_b32 v65, v62
	ds_load_b64 v[62:63], v63 offset:27648
	s_wait_dscnt 0x1
	v_add_nc_u32_e32 v65, v65, v81
	s_wait_dscnt 0x0
	global_store_b64 v65, v[62:63], s[44:45] scale_offset
	s_wait_xcnt 0x0
	s_or_b32 exec_lo, exec_lo, s15
	s_and_saveexec_b32 s15, s28
	s_cbranch_execz .LBB597_239
.LBB597_303:                            ;   in Loop: Header=BB597_96 Depth=2
	v_dual_lshlrev_b32 v62, 2, v122 :: v_dual_add_nc_u32 v63, v93, v4
	ds_load_b32 v65, v62
	ds_load_b64 v[62:63], v63 offset:29696
	s_wait_dscnt 0x1
	v_add_nc_u32_e32 v65, v65, v82
	s_wait_dscnt 0x0
	global_store_b64 v65, v[62:63], s[44:45] scale_offset
	s_wait_xcnt 0x0
	s_or_b32 exec_lo, exec_lo, s15
	s_and_saveexec_b32 s15, s29
	s_cbranch_execnz .LBB597_240
	s_branch .LBB597_241
.LBB597_304:                            ;   in Loop: Header=BB597_12 Depth=1
	s_wait_dscnt 0x0
	s_barrier_signal -1
	s_mov_b32 s7, 0
	s_barrier_wait -1
.LBB597_305:                            ;   in Loop: Header=BB597_12 Depth=1
	s_and_b32 vcc_lo, exec_lo, s7
	s_cbranch_vccz .LBB597_597
; %bb.306:                              ;   in Loop: Header=BB597_12 Depth=1
	s_mov_b32 s7, s54
	s_mov_b32 s30, s52
	s_barrier_signal -1
	s_barrier_wait -1
                                        ; implicit-def: $vgpr25
                                        ; implicit-def: $vgpr26
                                        ; implicit-def: $vgpr27
                                        ; implicit-def: $vgpr28
                                        ; implicit-def: $vgpr29
                                        ; implicit-def: $vgpr30
                                        ; implicit-def: $vgpr31
                                        ; implicit-def: $vgpr32
                                        ; implicit-def: $vgpr33
                                        ; implicit-def: $vgpr34
                                        ; implicit-def: $vgpr35
                                        ; implicit-def: $vgpr36
                                        ; implicit-def: $vgpr37
                                        ; implicit-def: $vgpr38
                                        ; implicit-def: $vgpr39
                                        ; implicit-def: $vgpr40
	s_branch .LBB597_308
.LBB597_307:                            ;   in Loop: Header=BB597_308 Depth=2
	s_or_b32 exec_lo, exec_lo, s8
	s_addk_co_i32 s7, 0xf000
	s_cmp_ge_u32 s10, s51
	s_mov_b32 s30, s10
	s_cbranch_scc1 .LBB597_376
.LBB597_308:                            ;   Parent Loop BB597_12 Depth=1
                                        ; =>  This Inner Loop Header: Depth=2
	s_add_co_i32 s10, s30, 0x1000
	s_mov_b32 s8, -1
	s_cmp_gt_u32 s10, s51
                                        ; implicit-def: $vgpr41
                                        ; implicit-def: $vgpr42
                                        ; implicit-def: $vgpr43
                                        ; implicit-def: $vgpr44
                                        ; implicit-def: $vgpr45
                                        ; implicit-def: $vgpr46
                                        ; implicit-def: $vgpr47
                                        ; implicit-def: $vgpr48
                                        ; implicit-def: $vgpr49
                                        ; implicit-def: $vgpr50
                                        ; implicit-def: $vgpr51
                                        ; implicit-def: $vgpr52
                                        ; implicit-def: $vgpr53
                                        ; implicit-def: $vgpr54
                                        ; implicit-def: $vgpr55
                                        ; implicit-def: $vgpr56
	s_cbranch_scc1 .LBB597_310
; %bb.309:                              ;   in Loop: Header=BB597_308 Depth=2
	v_lshl_add_u64 v[56:57], s[30:31], 2, v[20:21]
	s_mov_b32 s8, 0
	s_clause 0xf
	global_load_b32 v41, v[56:57], off
	global_load_b32 v42, v[56:57], off offset:1024
	global_load_b32 v43, v[56:57], off offset:2048
	;; [unrolled: 1-line block ×15, first 2 shown]
.LBB597_310:                            ;   in Loop: Header=BB597_308 Depth=2
	s_and_not1_b32 vcc_lo, exec_lo, s8
	s_movk_i32 s8, 0x1000
	s_cbranch_vccnz .LBB597_329
; %bb.311:                              ;   in Loop: Header=BB597_308 Depth=2
	s_lshl_b64 s[8:9], s[30:31], 2
	s_mov_b32 s11, exec_lo
	s_add_nc_u64 s[8:9], s[38:39], s[8:9]
	s_wait_xcnt 0x0
	v_cmpx_gt_u32_e64 s7, v2
	s_cbranch_execnz .LBB597_361
; %bb.312:                              ;   in Loop: Header=BB597_308 Depth=2
	s_or_b32 exec_lo, exec_lo, s11
	s_delay_alu instid0(SALU_CYCLE_1)
	s_mov_b32 s11, exec_lo
	v_cmpx_gt_u32_e64 s7, v3
	s_cbranch_execnz .LBB597_362
.LBB597_313:                            ;   in Loop: Header=BB597_308 Depth=2
	s_or_b32 exec_lo, exec_lo, s11
	s_delay_alu instid0(SALU_CYCLE_1)
	s_mov_b32 s11, exec_lo
	v_cmpx_gt_u32_e64 s7, v70
	s_cbranch_execnz .LBB597_363
.LBB597_314:                            ;   in Loop: Header=BB597_308 Depth=2
	s_or_b32 exec_lo, exec_lo, s11
	s_delay_alu instid0(SALU_CYCLE_1)
	s_mov_b32 s11, exec_lo
	v_cmpx_gt_u32_e64 s7, v71
	s_cbranch_execnz .LBB597_364
.LBB597_315:                            ;   in Loop: Header=BB597_308 Depth=2
	s_or_b32 exec_lo, exec_lo, s11
	s_delay_alu instid0(SALU_CYCLE_1)
	s_mov_b32 s11, exec_lo
	v_cmpx_gt_u32_e64 s7, v72
	s_cbranch_execnz .LBB597_365
.LBB597_316:                            ;   in Loop: Header=BB597_308 Depth=2
	s_or_b32 exec_lo, exec_lo, s11
	s_delay_alu instid0(SALU_CYCLE_1)
	s_mov_b32 s11, exec_lo
	v_cmpx_gt_u32_e64 s7, v73
	s_cbranch_execnz .LBB597_366
.LBB597_317:                            ;   in Loop: Header=BB597_308 Depth=2
	s_or_b32 exec_lo, exec_lo, s11
	s_delay_alu instid0(SALU_CYCLE_1)
	s_mov_b32 s11, exec_lo
	v_cmpx_gt_u32_e64 s7, v74
	s_cbranch_execnz .LBB597_367
.LBB597_318:                            ;   in Loop: Header=BB597_308 Depth=2
	s_or_b32 exec_lo, exec_lo, s11
	s_delay_alu instid0(SALU_CYCLE_1)
	s_mov_b32 s11, exec_lo
	v_cmpx_gt_u32_e64 s7, v75
	s_cbranch_execnz .LBB597_368
.LBB597_319:                            ;   in Loop: Header=BB597_308 Depth=2
	s_or_b32 exec_lo, exec_lo, s11
	s_delay_alu instid0(SALU_CYCLE_1)
	s_mov_b32 s11, exec_lo
	v_cmpx_gt_u32_e64 s7, v76
	s_cbranch_execnz .LBB597_369
.LBB597_320:                            ;   in Loop: Header=BB597_308 Depth=2
	s_or_b32 exec_lo, exec_lo, s11
	s_delay_alu instid0(SALU_CYCLE_1)
	s_mov_b32 s11, exec_lo
	v_cmpx_gt_u32_e64 s7, v77
	s_cbranch_execnz .LBB597_370
.LBB597_321:                            ;   in Loop: Header=BB597_308 Depth=2
	s_or_b32 exec_lo, exec_lo, s11
	s_delay_alu instid0(SALU_CYCLE_1)
	s_mov_b32 s11, exec_lo
	v_cmpx_gt_u32_e64 s7, v78
	s_cbranch_execnz .LBB597_371
.LBB597_322:                            ;   in Loop: Header=BB597_308 Depth=2
	s_or_b32 exec_lo, exec_lo, s11
	s_delay_alu instid0(SALU_CYCLE_1)
	s_mov_b32 s11, exec_lo
	v_cmpx_gt_u32_e64 s7, v79
	s_cbranch_execnz .LBB597_372
.LBB597_323:                            ;   in Loop: Header=BB597_308 Depth=2
	s_or_b32 exec_lo, exec_lo, s11
	s_delay_alu instid0(SALU_CYCLE_1)
	s_mov_b32 s11, exec_lo
	v_cmpx_gt_u32_e64 s7, v80
	s_cbranch_execnz .LBB597_373
.LBB597_324:                            ;   in Loop: Header=BB597_308 Depth=2
	s_or_b32 exec_lo, exec_lo, s11
	s_delay_alu instid0(SALU_CYCLE_1)
	s_mov_b32 s11, exec_lo
	v_cmpx_gt_u32_e64 s7, v81
	s_cbranch_execnz .LBB597_374
.LBB597_325:                            ;   in Loop: Header=BB597_308 Depth=2
	s_or_b32 exec_lo, exec_lo, s11
	s_delay_alu instid0(SALU_CYCLE_1)
	s_mov_b32 s11, exec_lo
	v_cmpx_gt_u32_e64 s7, v82
	s_cbranch_execnz .LBB597_375
.LBB597_326:                            ;   in Loop: Header=BB597_308 Depth=2
	s_or_b32 exec_lo, exec_lo, s11
	s_delay_alu instid0(SALU_CYCLE_1)
	s_mov_b32 s11, exec_lo
	v_cmpx_gt_u32_e64 s7, v83
	s_cbranch_execz .LBB597_328
.LBB597_327:                            ;   in Loop: Header=BB597_308 Depth=2
	global_load_b32 v25, v2, s[8:9] offset:15360 scale_offset
.LBB597_328:                            ;   in Loop: Header=BB597_308 Depth=2
	s_wait_xcnt 0x0
	s_or_b32 exec_lo, exec_lo, s11
	s_wait_loadcnt 0x0
	v_dual_mov_b32 v41, v40 :: v_dual_mov_b32 v42, v39
	v_dual_mov_b32 v43, v38 :: v_dual_mov_b32 v44, v37
	;; [unrolled: 1-line block ×8, first 2 shown]
	s_mov_b32 s8, s7
.LBB597_329:                            ;   in Loop: Header=BB597_308 Depth=2
	s_wait_loadcnt 0x0
	s_delay_alu instid0(VALU_DEP_1)
	v_dual_mov_b32 v25, v56 :: v_dual_mov_b32 v26, v55
	v_dual_mov_b32 v27, v54 :: v_dual_mov_b32 v28, v53
	;; [unrolled: 1-line block ×8, first 2 shown]
	s_mov_b32 s9, exec_lo
	s_wait_xcnt 0x0
	v_cmpx_gt_u32_e64 s8, v2
	s_cbranch_execnz .LBB597_345
; %bb.330:                              ;   in Loop: Header=BB597_308 Depth=2
	s_or_b32 exec_lo, exec_lo, s9
	s_delay_alu instid0(SALU_CYCLE_1)
	s_mov_b32 s9, exec_lo
	v_cmpx_gt_u32_e64 s8, v3
	s_cbranch_execnz .LBB597_346
.LBB597_331:                            ;   in Loop: Header=BB597_308 Depth=2
	s_or_b32 exec_lo, exec_lo, s9
	s_delay_alu instid0(SALU_CYCLE_1)
	s_mov_b32 s9, exec_lo
	v_cmpx_gt_u32_e64 s8, v70
	s_cbranch_execnz .LBB597_347
.LBB597_332:                            ;   in Loop: Header=BB597_308 Depth=2
	s_or_b32 exec_lo, exec_lo, s9
	s_delay_alu instid0(SALU_CYCLE_1)
	s_mov_b32 s9, exec_lo
	v_cmpx_gt_u32_e64 s8, v71
	s_cbranch_execnz .LBB597_348
.LBB597_333:                            ;   in Loop: Header=BB597_308 Depth=2
	s_or_b32 exec_lo, exec_lo, s9
	s_delay_alu instid0(SALU_CYCLE_1)
	s_mov_b32 s9, exec_lo
	v_cmpx_gt_u32_e64 s8, v72
	s_cbranch_execnz .LBB597_349
.LBB597_334:                            ;   in Loop: Header=BB597_308 Depth=2
	s_or_b32 exec_lo, exec_lo, s9
	s_delay_alu instid0(SALU_CYCLE_1)
	s_mov_b32 s9, exec_lo
	v_cmpx_gt_u32_e64 s8, v73
	s_cbranch_execnz .LBB597_350
.LBB597_335:                            ;   in Loop: Header=BB597_308 Depth=2
	s_or_b32 exec_lo, exec_lo, s9
	s_delay_alu instid0(SALU_CYCLE_1)
	s_mov_b32 s9, exec_lo
	v_cmpx_gt_u32_e64 s8, v74
	s_cbranch_execnz .LBB597_351
.LBB597_336:                            ;   in Loop: Header=BB597_308 Depth=2
	s_or_b32 exec_lo, exec_lo, s9
	s_delay_alu instid0(SALU_CYCLE_1)
	s_mov_b32 s9, exec_lo
	v_cmpx_gt_u32_e64 s8, v75
	s_cbranch_execnz .LBB597_352
.LBB597_337:                            ;   in Loop: Header=BB597_308 Depth=2
	s_or_b32 exec_lo, exec_lo, s9
	s_delay_alu instid0(SALU_CYCLE_1)
	s_mov_b32 s9, exec_lo
	v_cmpx_gt_u32_e64 s8, v76
	s_cbranch_execnz .LBB597_353
.LBB597_338:                            ;   in Loop: Header=BB597_308 Depth=2
	s_or_b32 exec_lo, exec_lo, s9
	s_delay_alu instid0(SALU_CYCLE_1)
	s_mov_b32 s9, exec_lo
	v_cmpx_gt_u32_e64 s8, v77
	s_cbranch_execnz .LBB597_354
.LBB597_339:                            ;   in Loop: Header=BB597_308 Depth=2
	s_or_b32 exec_lo, exec_lo, s9
	s_delay_alu instid0(SALU_CYCLE_1)
	s_mov_b32 s9, exec_lo
	v_cmpx_gt_u32_e64 s8, v78
	s_cbranch_execnz .LBB597_355
.LBB597_340:                            ;   in Loop: Header=BB597_308 Depth=2
	s_or_b32 exec_lo, exec_lo, s9
	s_delay_alu instid0(SALU_CYCLE_1)
	s_mov_b32 s9, exec_lo
	v_cmpx_gt_u32_e64 s8, v79
	s_cbranch_execnz .LBB597_356
.LBB597_341:                            ;   in Loop: Header=BB597_308 Depth=2
	s_or_b32 exec_lo, exec_lo, s9
	s_delay_alu instid0(SALU_CYCLE_1)
	s_mov_b32 s9, exec_lo
	v_cmpx_gt_u32_e64 s8, v80
	s_cbranch_execnz .LBB597_357
.LBB597_342:                            ;   in Loop: Header=BB597_308 Depth=2
	s_or_b32 exec_lo, exec_lo, s9
	s_delay_alu instid0(SALU_CYCLE_1)
	s_mov_b32 s9, exec_lo
	v_cmpx_gt_u32_e64 s8, v81
	s_cbranch_execnz .LBB597_358
.LBB597_343:                            ;   in Loop: Header=BB597_308 Depth=2
	s_or_b32 exec_lo, exec_lo, s9
	s_delay_alu instid0(SALU_CYCLE_1)
	s_mov_b32 s9, exec_lo
	v_cmpx_gt_u32_e64 s8, v82
	s_cbranch_execnz .LBB597_359
.LBB597_344:                            ;   in Loop: Header=BB597_308 Depth=2
	s_or_b32 exec_lo, exec_lo, s9
	v_cmp_gt_u32_e32 vcc_lo, s8, v83
	s_and_saveexec_b32 s8, vcc_lo
	s_cbranch_execz .LBB597_307
	s_branch .LBB597_360
.LBB597_345:                            ;   in Loop: Header=BB597_308 Depth=2
	v_xor_b32_e32 v41, 0x80000000, v40
	s_delay_alu instid0(VALU_DEP_1) | instskip(NEXT) | instid1(VALU_DEP_1)
	v_lshrrev_b32_e32 v41, s43, v41
	v_and_b32_e32 v41, s48, v41
	s_delay_alu instid0(VALU_DEP_1) | instskip(SKIP_2) | instid1(SALU_CYCLE_1)
	v_lshl_or_b32 v41, v41, 4, v84
	ds_add_u32 v41, v95
	s_or_b32 exec_lo, exec_lo, s9
	s_mov_b32 s9, exec_lo
	v_cmpx_gt_u32_e64 s8, v3
	s_cbranch_execz .LBB597_331
.LBB597_346:                            ;   in Loop: Header=BB597_308 Depth=2
	v_xor_b32_e32 v41, 0x80000000, v39
	s_delay_alu instid0(VALU_DEP_1) | instskip(NEXT) | instid1(VALU_DEP_1)
	v_lshrrev_b32_e32 v41, s43, v41
	v_and_b32_e32 v41, s48, v41
	s_delay_alu instid0(VALU_DEP_1) | instskip(SKIP_2) | instid1(SALU_CYCLE_1)
	v_lshl_or_b32 v41, v41, 4, v84
	ds_add_u32 v41, v95
	s_or_b32 exec_lo, exec_lo, s9
	s_mov_b32 s9, exec_lo
	v_cmpx_gt_u32_e64 s8, v70
	s_cbranch_execz .LBB597_332
.LBB597_347:                            ;   in Loop: Header=BB597_308 Depth=2
	v_xor_b32_e32 v41, 0x80000000, v38
	s_delay_alu instid0(VALU_DEP_1) | instskip(NEXT) | instid1(VALU_DEP_1)
	v_lshrrev_b32_e32 v41, s43, v41
	v_and_b32_e32 v41, s48, v41
	s_delay_alu instid0(VALU_DEP_1) | instskip(SKIP_2) | instid1(SALU_CYCLE_1)
	v_lshl_or_b32 v41, v41, 4, v84
	ds_add_u32 v41, v95
	s_or_b32 exec_lo, exec_lo, s9
	s_mov_b32 s9, exec_lo
	v_cmpx_gt_u32_e64 s8, v71
	s_cbranch_execz .LBB597_333
.LBB597_348:                            ;   in Loop: Header=BB597_308 Depth=2
	v_xor_b32_e32 v41, 0x80000000, v37
	s_delay_alu instid0(VALU_DEP_1) | instskip(NEXT) | instid1(VALU_DEP_1)
	v_lshrrev_b32_e32 v41, s43, v41
	v_and_b32_e32 v41, s48, v41
	s_delay_alu instid0(VALU_DEP_1) | instskip(SKIP_2) | instid1(SALU_CYCLE_1)
	v_lshl_or_b32 v41, v41, 4, v84
	ds_add_u32 v41, v95
	s_or_b32 exec_lo, exec_lo, s9
	s_mov_b32 s9, exec_lo
	v_cmpx_gt_u32_e64 s8, v72
	s_cbranch_execz .LBB597_334
.LBB597_349:                            ;   in Loop: Header=BB597_308 Depth=2
	v_xor_b32_e32 v41, 0x80000000, v36
	s_delay_alu instid0(VALU_DEP_1) | instskip(NEXT) | instid1(VALU_DEP_1)
	v_lshrrev_b32_e32 v41, s43, v41
	v_and_b32_e32 v41, s48, v41
	s_delay_alu instid0(VALU_DEP_1) | instskip(SKIP_2) | instid1(SALU_CYCLE_1)
	v_lshl_or_b32 v41, v41, 4, v84
	ds_add_u32 v41, v95
	s_or_b32 exec_lo, exec_lo, s9
	s_mov_b32 s9, exec_lo
	v_cmpx_gt_u32_e64 s8, v73
	s_cbranch_execz .LBB597_335
.LBB597_350:                            ;   in Loop: Header=BB597_308 Depth=2
	v_xor_b32_e32 v41, 0x80000000, v35
	s_delay_alu instid0(VALU_DEP_1) | instskip(NEXT) | instid1(VALU_DEP_1)
	v_lshrrev_b32_e32 v41, s43, v41
	v_and_b32_e32 v41, s48, v41
	s_delay_alu instid0(VALU_DEP_1) | instskip(SKIP_2) | instid1(SALU_CYCLE_1)
	v_lshl_or_b32 v41, v41, 4, v84
	ds_add_u32 v41, v95
	s_or_b32 exec_lo, exec_lo, s9
	s_mov_b32 s9, exec_lo
	v_cmpx_gt_u32_e64 s8, v74
	s_cbranch_execz .LBB597_336
.LBB597_351:                            ;   in Loop: Header=BB597_308 Depth=2
	v_xor_b32_e32 v41, 0x80000000, v34
	s_delay_alu instid0(VALU_DEP_1) | instskip(NEXT) | instid1(VALU_DEP_1)
	v_lshrrev_b32_e32 v41, s43, v41
	v_and_b32_e32 v41, s48, v41
	s_delay_alu instid0(VALU_DEP_1) | instskip(SKIP_2) | instid1(SALU_CYCLE_1)
	v_lshl_or_b32 v41, v41, 4, v84
	ds_add_u32 v41, v95
	s_or_b32 exec_lo, exec_lo, s9
	s_mov_b32 s9, exec_lo
	v_cmpx_gt_u32_e64 s8, v75
	s_cbranch_execz .LBB597_337
.LBB597_352:                            ;   in Loop: Header=BB597_308 Depth=2
	v_xor_b32_e32 v41, 0x80000000, v33
	s_delay_alu instid0(VALU_DEP_1) | instskip(NEXT) | instid1(VALU_DEP_1)
	v_lshrrev_b32_e32 v41, s43, v41
	v_and_b32_e32 v41, s48, v41
	s_delay_alu instid0(VALU_DEP_1) | instskip(SKIP_2) | instid1(SALU_CYCLE_1)
	v_lshl_or_b32 v41, v41, 4, v84
	ds_add_u32 v41, v95
	s_or_b32 exec_lo, exec_lo, s9
	s_mov_b32 s9, exec_lo
	v_cmpx_gt_u32_e64 s8, v76
	s_cbranch_execz .LBB597_338
.LBB597_353:                            ;   in Loop: Header=BB597_308 Depth=2
	v_xor_b32_e32 v41, 0x80000000, v32
	s_delay_alu instid0(VALU_DEP_1) | instskip(NEXT) | instid1(VALU_DEP_1)
	v_lshrrev_b32_e32 v41, s43, v41
	v_and_b32_e32 v41, s48, v41
	s_delay_alu instid0(VALU_DEP_1) | instskip(SKIP_2) | instid1(SALU_CYCLE_1)
	v_lshl_or_b32 v41, v41, 4, v84
	ds_add_u32 v41, v95
	s_or_b32 exec_lo, exec_lo, s9
	s_mov_b32 s9, exec_lo
	v_cmpx_gt_u32_e64 s8, v77
	s_cbranch_execz .LBB597_339
.LBB597_354:                            ;   in Loop: Header=BB597_308 Depth=2
	v_xor_b32_e32 v41, 0x80000000, v31
	s_delay_alu instid0(VALU_DEP_1) | instskip(NEXT) | instid1(VALU_DEP_1)
	v_lshrrev_b32_e32 v41, s43, v41
	v_and_b32_e32 v41, s48, v41
	s_delay_alu instid0(VALU_DEP_1) | instskip(SKIP_2) | instid1(SALU_CYCLE_1)
	v_lshl_or_b32 v41, v41, 4, v84
	ds_add_u32 v41, v95
	s_or_b32 exec_lo, exec_lo, s9
	s_mov_b32 s9, exec_lo
	v_cmpx_gt_u32_e64 s8, v78
	s_cbranch_execz .LBB597_340
.LBB597_355:                            ;   in Loop: Header=BB597_308 Depth=2
	v_xor_b32_e32 v41, 0x80000000, v30
	s_delay_alu instid0(VALU_DEP_1) | instskip(NEXT) | instid1(VALU_DEP_1)
	v_lshrrev_b32_e32 v41, s43, v41
	v_and_b32_e32 v41, s48, v41
	s_delay_alu instid0(VALU_DEP_1) | instskip(SKIP_2) | instid1(SALU_CYCLE_1)
	v_lshl_or_b32 v41, v41, 4, v84
	ds_add_u32 v41, v95
	s_or_b32 exec_lo, exec_lo, s9
	s_mov_b32 s9, exec_lo
	v_cmpx_gt_u32_e64 s8, v79
	s_cbranch_execz .LBB597_341
.LBB597_356:                            ;   in Loop: Header=BB597_308 Depth=2
	v_xor_b32_e32 v41, 0x80000000, v29
	s_delay_alu instid0(VALU_DEP_1) | instskip(NEXT) | instid1(VALU_DEP_1)
	v_lshrrev_b32_e32 v41, s43, v41
	v_and_b32_e32 v41, s48, v41
	s_delay_alu instid0(VALU_DEP_1) | instskip(SKIP_2) | instid1(SALU_CYCLE_1)
	v_lshl_or_b32 v41, v41, 4, v84
	ds_add_u32 v41, v95
	s_or_b32 exec_lo, exec_lo, s9
	s_mov_b32 s9, exec_lo
	v_cmpx_gt_u32_e64 s8, v80
	s_cbranch_execz .LBB597_342
.LBB597_357:                            ;   in Loop: Header=BB597_308 Depth=2
	v_xor_b32_e32 v41, 0x80000000, v28
	s_delay_alu instid0(VALU_DEP_1) | instskip(NEXT) | instid1(VALU_DEP_1)
	v_lshrrev_b32_e32 v41, s43, v41
	v_and_b32_e32 v41, s48, v41
	s_delay_alu instid0(VALU_DEP_1) | instskip(SKIP_2) | instid1(SALU_CYCLE_1)
	v_lshl_or_b32 v41, v41, 4, v84
	ds_add_u32 v41, v95
	s_or_b32 exec_lo, exec_lo, s9
	s_mov_b32 s9, exec_lo
	v_cmpx_gt_u32_e64 s8, v81
	s_cbranch_execz .LBB597_343
.LBB597_358:                            ;   in Loop: Header=BB597_308 Depth=2
	v_xor_b32_e32 v41, 0x80000000, v27
	s_delay_alu instid0(VALU_DEP_1) | instskip(NEXT) | instid1(VALU_DEP_1)
	v_lshrrev_b32_e32 v41, s43, v41
	v_and_b32_e32 v41, s48, v41
	s_delay_alu instid0(VALU_DEP_1) | instskip(SKIP_2) | instid1(SALU_CYCLE_1)
	v_lshl_or_b32 v41, v41, 4, v84
	ds_add_u32 v41, v95
	s_or_b32 exec_lo, exec_lo, s9
	s_mov_b32 s9, exec_lo
	v_cmpx_gt_u32_e64 s8, v82
	s_cbranch_execz .LBB597_344
.LBB597_359:                            ;   in Loop: Header=BB597_308 Depth=2
	v_xor_b32_e32 v41, 0x80000000, v26
	s_delay_alu instid0(VALU_DEP_1) | instskip(NEXT) | instid1(VALU_DEP_1)
	v_lshrrev_b32_e32 v41, s43, v41
	v_and_b32_e32 v41, s48, v41
	s_delay_alu instid0(VALU_DEP_1)
	v_lshl_or_b32 v41, v41, 4, v84
	ds_add_u32 v41, v95
	s_or_b32 exec_lo, exec_lo, s9
	v_cmp_gt_u32_e32 vcc_lo, s8, v83
	s_and_saveexec_b32 s8, vcc_lo
	s_cbranch_execz .LBB597_307
.LBB597_360:                            ;   in Loop: Header=BB597_308 Depth=2
	v_xor_b32_e32 v41, 0x80000000, v25
	s_delay_alu instid0(VALU_DEP_1) | instskip(NEXT) | instid1(VALU_DEP_1)
	v_lshrrev_b32_e32 v41, s43, v41
	v_and_b32_e32 v41, s48, v41
	s_delay_alu instid0(VALU_DEP_1)
	v_lshl_or_b32 v41, v41, 4, v84
	ds_add_u32 v41, v95
	s_branch .LBB597_307
.LBB597_361:                            ;   in Loop: Header=BB597_308 Depth=2
	global_load_b32 v40, v2, s[8:9] scale_offset
	s_wait_xcnt 0x0
	s_or_b32 exec_lo, exec_lo, s11
	s_delay_alu instid0(SALU_CYCLE_1)
	s_mov_b32 s11, exec_lo
	v_cmpx_gt_u32_e64 s7, v3
	s_cbranch_execz .LBB597_313
.LBB597_362:                            ;   in Loop: Header=BB597_308 Depth=2
	global_load_b32 v39, v2, s[8:9] offset:1024 scale_offset
	s_wait_xcnt 0x0
	s_or_b32 exec_lo, exec_lo, s11
	s_delay_alu instid0(SALU_CYCLE_1)
	s_mov_b32 s11, exec_lo
	v_cmpx_gt_u32_e64 s7, v70
	s_cbranch_execz .LBB597_314
.LBB597_363:                            ;   in Loop: Header=BB597_308 Depth=2
	global_load_b32 v38, v2, s[8:9] offset:2048 scale_offset
	s_wait_xcnt 0x0
	s_or_b32 exec_lo, exec_lo, s11
	s_delay_alu instid0(SALU_CYCLE_1)
	s_mov_b32 s11, exec_lo
	v_cmpx_gt_u32_e64 s7, v71
	s_cbranch_execz .LBB597_315
.LBB597_364:                            ;   in Loop: Header=BB597_308 Depth=2
	global_load_b32 v37, v2, s[8:9] offset:3072 scale_offset
	s_wait_xcnt 0x0
	s_or_b32 exec_lo, exec_lo, s11
	s_delay_alu instid0(SALU_CYCLE_1)
	s_mov_b32 s11, exec_lo
	v_cmpx_gt_u32_e64 s7, v72
	s_cbranch_execz .LBB597_316
.LBB597_365:                            ;   in Loop: Header=BB597_308 Depth=2
	global_load_b32 v36, v2, s[8:9] offset:4096 scale_offset
	s_wait_xcnt 0x0
	s_or_b32 exec_lo, exec_lo, s11
	s_delay_alu instid0(SALU_CYCLE_1)
	s_mov_b32 s11, exec_lo
	v_cmpx_gt_u32_e64 s7, v73
	s_cbranch_execz .LBB597_317
.LBB597_366:                            ;   in Loop: Header=BB597_308 Depth=2
	global_load_b32 v35, v2, s[8:9] offset:5120 scale_offset
	s_wait_xcnt 0x0
	s_or_b32 exec_lo, exec_lo, s11
	s_delay_alu instid0(SALU_CYCLE_1)
	s_mov_b32 s11, exec_lo
	v_cmpx_gt_u32_e64 s7, v74
	s_cbranch_execz .LBB597_318
.LBB597_367:                            ;   in Loop: Header=BB597_308 Depth=2
	global_load_b32 v34, v2, s[8:9] offset:6144 scale_offset
	s_wait_xcnt 0x0
	s_or_b32 exec_lo, exec_lo, s11
	s_delay_alu instid0(SALU_CYCLE_1)
	s_mov_b32 s11, exec_lo
	v_cmpx_gt_u32_e64 s7, v75
	s_cbranch_execz .LBB597_319
.LBB597_368:                            ;   in Loop: Header=BB597_308 Depth=2
	global_load_b32 v33, v2, s[8:9] offset:7168 scale_offset
	s_wait_xcnt 0x0
	s_or_b32 exec_lo, exec_lo, s11
	s_delay_alu instid0(SALU_CYCLE_1)
	s_mov_b32 s11, exec_lo
	v_cmpx_gt_u32_e64 s7, v76
	s_cbranch_execz .LBB597_320
.LBB597_369:                            ;   in Loop: Header=BB597_308 Depth=2
	global_load_b32 v32, v2, s[8:9] offset:8192 scale_offset
	s_wait_xcnt 0x0
	s_or_b32 exec_lo, exec_lo, s11
	s_delay_alu instid0(SALU_CYCLE_1)
	s_mov_b32 s11, exec_lo
	v_cmpx_gt_u32_e64 s7, v77
	s_cbranch_execz .LBB597_321
.LBB597_370:                            ;   in Loop: Header=BB597_308 Depth=2
	global_load_b32 v31, v2, s[8:9] offset:9216 scale_offset
	s_wait_xcnt 0x0
	s_or_b32 exec_lo, exec_lo, s11
	s_delay_alu instid0(SALU_CYCLE_1)
	s_mov_b32 s11, exec_lo
	v_cmpx_gt_u32_e64 s7, v78
	s_cbranch_execz .LBB597_322
.LBB597_371:                            ;   in Loop: Header=BB597_308 Depth=2
	global_load_b32 v30, v2, s[8:9] offset:10240 scale_offset
	s_wait_xcnt 0x0
	s_or_b32 exec_lo, exec_lo, s11
	s_delay_alu instid0(SALU_CYCLE_1)
	s_mov_b32 s11, exec_lo
	v_cmpx_gt_u32_e64 s7, v79
	s_cbranch_execz .LBB597_323
.LBB597_372:                            ;   in Loop: Header=BB597_308 Depth=2
	global_load_b32 v29, v2, s[8:9] offset:11264 scale_offset
	s_wait_xcnt 0x0
	s_or_b32 exec_lo, exec_lo, s11
	s_delay_alu instid0(SALU_CYCLE_1)
	s_mov_b32 s11, exec_lo
	v_cmpx_gt_u32_e64 s7, v80
	s_cbranch_execz .LBB597_324
.LBB597_373:                            ;   in Loop: Header=BB597_308 Depth=2
	global_load_b32 v28, v2, s[8:9] offset:12288 scale_offset
	s_wait_xcnt 0x0
	s_or_b32 exec_lo, exec_lo, s11
	s_delay_alu instid0(SALU_CYCLE_1)
	s_mov_b32 s11, exec_lo
	v_cmpx_gt_u32_e64 s7, v81
	s_cbranch_execz .LBB597_325
.LBB597_374:                            ;   in Loop: Header=BB597_308 Depth=2
	global_load_b32 v27, v2, s[8:9] offset:13312 scale_offset
	s_wait_xcnt 0x0
	s_or_b32 exec_lo, exec_lo, s11
	s_delay_alu instid0(SALU_CYCLE_1)
	s_mov_b32 s11, exec_lo
	v_cmpx_gt_u32_e64 s7, v82
	s_cbranch_execz .LBB597_326
.LBB597_375:                            ;   in Loop: Header=BB597_308 Depth=2
	global_load_b32 v26, v2, s[8:9] offset:14336 scale_offset
	s_wait_xcnt 0x0
	s_or_b32 exec_lo, exec_lo, s11
	s_delay_alu instid0(SALU_CYCLE_1)
	s_mov_b32 s11, exec_lo
	v_cmpx_gt_u32_e64 s7, v83
	s_cbranch_execnz .LBB597_327
	s_branch .LBB597_328
.LBB597_376:                            ;   in Loop: Header=BB597_12 Depth=1
	v_mov_b32_e32 v25, 0
	s_wait_dscnt 0x0
	s_barrier_signal -1
	s_barrier_wait -1
	s_and_saveexec_b32 s7, s0
	s_cbranch_execz .LBB597_378
; %bb.377:                              ;   in Loop: Header=BB597_12 Depth=1
	ds_load_2addr_b64 v[26:29], v86 offset1:1
	s_wait_dscnt 0x0
	v_add_nc_u32_e32 v25, v27, v26
	s_delay_alu instid0(VALU_DEP_1)
	v_add3_u32 v25, v25, v28, v29
.LBB597_378:                            ;   in Loop: Header=BB597_12 Depth=1
	s_or_b32 exec_lo, exec_lo, s7
	s_delay_alu instid0(VALU_DEP_1)
	v_mov_b32_dpp v26, v25 row_shr:1 row_mask:0xf bank_mask:0xf
	v_cmp_eq_u32_e64 s7, 0, v96
	v_cmp_lt_u32_e64 s8, 1, v96
	v_cmp_lt_u32_e64 s9, 3, v96
	;; [unrolled: 1-line block ×3, first 2 shown]
	v_cmp_eq_u32_e64 s11, 0, v98
	v_cndmask_b32_e64 v26, v26, 0, s7
	s_delay_alu instid0(VALU_DEP_1) | instskip(NEXT) | instid1(VALU_DEP_1)
	v_add_nc_u32_e32 v25, v26, v25
	v_mov_b32_dpp v26, v25 row_shr:2 row_mask:0xf bank_mask:0xf
	s_delay_alu instid0(VALU_DEP_1) | instskip(NEXT) | instid1(VALU_DEP_1)
	v_cndmask_b32_e64 v26, 0, v26, s8
	v_add_nc_u32_e32 v25, v25, v26
	s_delay_alu instid0(VALU_DEP_1) | instskip(NEXT) | instid1(VALU_DEP_1)
	v_mov_b32_dpp v26, v25 row_shr:4 row_mask:0xf bank_mask:0xf
	v_cndmask_b32_e64 v26, 0, v26, s9
	s_delay_alu instid0(VALU_DEP_1) | instskip(NEXT) | instid1(VALU_DEP_1)
	v_add_nc_u32_e32 v25, v25, v26
	v_mov_b32_dpp v26, v25 row_shr:8 row_mask:0xf bank_mask:0xf
	s_delay_alu instid0(VALU_DEP_1) | instskip(NEXT) | instid1(VALU_DEP_1)
	v_cndmask_b32_e64 v26, 0, v26, s10
	v_add_nc_u32_e32 v25, v25, v26
	ds_swizzle_b32 v26, v25 offset:swizzle(BROADCAST,32,15)
	s_wait_dscnt 0x0
	v_and_b32_e32 v26, v97, v26
	s_delay_alu instid0(VALU_DEP_1)
	v_add_nc_u32_e32 v25, v25, v26
	s_and_saveexec_b32 s12, s1
; %bb.379:                              ;   in Loop: Header=BB597_12 Depth=1
	ds_store_b32 v87, v25
; %bb.380:                              ;   in Loop: Header=BB597_12 Depth=1
	s_or_b32 exec_lo, exec_lo, s12
	s_wait_dscnt 0x0
	s_barrier_signal -1
	s_barrier_wait -1
	s_and_saveexec_b32 s12, s4
	s_cbranch_execz .LBB597_382
; %bb.381:                              ;   in Loop: Header=BB597_12 Depth=1
	ds_load_b32 v26, v88
	v_cmp_ne_u32_e32 vcc_lo, 0, v100
	s_wait_dscnt 0x0
	v_mov_b32_dpp v27, v26 row_shr:1 row_mask:0xf bank_mask:0xf
	s_delay_alu instid0(VALU_DEP_1) | instskip(SKIP_1) | instid1(VALU_DEP_2)
	v_cndmask_b32_e32 v27, 0, v27, vcc_lo
	v_cmp_lt_u32_e32 vcc_lo, 1, v100
	v_add_nc_u32_e32 v26, v27, v26
	s_delay_alu instid0(VALU_DEP_1) | instskip(NEXT) | instid1(VALU_DEP_1)
	v_mov_b32_dpp v27, v26 row_shr:2 row_mask:0xf bank_mask:0xf
	v_cndmask_b32_e32 v27, 0, v27, vcc_lo
	v_cmp_lt_u32_e32 vcc_lo, 3, v100
	s_delay_alu instid0(VALU_DEP_2) | instskip(NEXT) | instid1(VALU_DEP_1)
	v_add_nc_u32_e32 v26, v26, v27
	v_mov_b32_dpp v27, v26 row_shr:4 row_mask:0xf bank_mask:0xf
	s_delay_alu instid0(VALU_DEP_1) | instskip(NEXT) | instid1(VALU_DEP_1)
	v_cndmask_b32_e32 v27, 0, v27, vcc_lo
	v_add_nc_u32_e32 v26, v26, v27
	ds_store_b32 v88, v26
.LBB597_382:                            ;   in Loop: Header=BB597_12 Depth=1
	s_or_b32 exec_lo, exec_lo, s12
	v_mov_b32_e32 v26, 0
	s_wait_dscnt 0x0
	s_barrier_signal -1
	s_barrier_wait -1
	s_and_saveexec_b32 s12, s5
; %bb.383:                              ;   in Loop: Header=BB597_12 Depth=1
	ds_load_b32 v26, v89
; %bb.384:                              ;   in Loop: Header=BB597_12 Depth=1
	s_or_b32 exec_lo, exec_lo, s12
	v_cmp_gt_i32_e32 vcc_lo, 0, v101
	s_wait_dscnt 0x0
	s_barrier_signal -1
	s_barrier_wait -1
	v_dual_cndmask_b32 v27, v101, v94, vcc_lo :: v_dual_add_nc_u32 v25, v26, v25
	s_delay_alu instid0(VALU_DEP_1)
	v_lshlrev_b32_e32 v120, 2, v27
	ds_bpermute_b32 v25, v120, v25
	s_and_saveexec_b32 s12, s0
	s_cbranch_execz .LBB597_386
; %bb.385:                              ;   in Loop: Header=BB597_12 Depth=1
	s_wait_dscnt 0x0
	v_cndmask_b32_e64 v25, v25, v26, s6
	s_delay_alu instid0(VALU_DEP_1)
	v_add_nc_u32_e32 v25, s52, v25
	ds_store_b32 v4, v25
.LBB597_386:                            ;   in Loop: Header=BB597_12 Depth=1
	s_or_b32 exec_lo, exec_lo, s12
	s_load_b64 s[12:13], s[34:35], 0x0
	s_mov_b32 s55, s54
                                        ; implicit-def: $vgpr32_vgpr33
                                        ; implicit-def: $vgpr34_vgpr35
                                        ; implicit-def: $vgpr36_vgpr37
                                        ; implicit-def: $vgpr38_vgpr39
                                        ; implicit-def: $vgpr40_vgpr41
                                        ; implicit-def: $vgpr42_vgpr43
                                        ; implicit-def: $vgpr44_vgpr45
                                        ; implicit-def: $vgpr46_vgpr47
                                        ; implicit-def: $vgpr48_vgpr49
                                        ; implicit-def: $vgpr50_vgpr51
                                        ; implicit-def: $vgpr52_vgpr53
                                        ; implicit-def: $vgpr54_vgpr55
                                        ; implicit-def: $vgpr56_vgpr57
                                        ; implicit-def: $vgpr58_vgpr59
                                        ; implicit-def: $vgpr60_vgpr61
                                        ; implicit-def: $vgpr121
                                        ; implicit-def: $vgpr122
                                        ; implicit-def: $vgpr123
                                        ; implicit-def: $vgpr124
                                        ; implicit-def: $vgpr125
                                        ; implicit-def: $vgpr126
                                        ; implicit-def: $vgpr127
                                        ; implicit-def: $vgpr128
                                        ; implicit-def: $vgpr129
                                        ; implicit-def: $vgpr130
                                        ; implicit-def: $vgpr131
                                        ; implicit-def: $vgpr132
                                        ; implicit-def: $vgpr133
                                        ; implicit-def: $vgpr134
                                        ; implicit-def: $vgpr135
                                        ; implicit-def: $vgpr136
	s_wait_kmcnt 0x0
	s_cmp_lt_u32 s33, s12
	s_cselect_b32 s30, 12, 18
	s_cmp_lt_u32 s42, s13
	s_mov_b32 s13, s31
	s_cselect_b32 s12, 14, 20
	s_delay_alu instid0(SALU_CYCLE_1)
	s_add_nc_u64 s[12:13], s[34:35], s[12:13]
	s_load_u16 s14, s[12:13], 0x0
	s_wait_xcnt 0x0
	s_add_nc_u64 s[12:13], s[34:35], s[30:31]
	s_mov_b32 s30, s52
	s_load_u16 s12, s[12:13], 0x0
	s_wait_xcnt 0x0
	v_cmp_lt_u32_e64 s13, 1, v100
	s_wait_dscnt 0x0
	s_wait_kmcnt 0x0
	v_mad_u32_u24 v25, v90, s14, v92
	v_cmp_lt_u32_e64 s14, 3, v100
	s_delay_alu instid0(VALU_DEP_2) | instskip(SKIP_2) | instid1(VALU_DEP_3)
	v_mad_u32 v26, v25, s12, v2
	v_mov_b32_e32 v25, v1
	v_cmp_eq_u32_e64 s12, 0, v100
	v_lshrrev_b32_e32 v30, 3, v26
	v_add_nc_u64_e32 v[26:27], v[10:11], v[0:1]
	s_delay_alu instid0(VALU_DEP_4) | instskip(NEXT) | instid1(VALU_DEP_3)
	v_add_nc_u64_e32 v[28:29], v[12:13], v[24:25]
	v_and_b32_e32 v25, 0x1ffffffc, v30
                                        ; implicit-def: $vgpr30_vgpr31
	s_branch .LBB597_388
.LBB597_387:                            ;   in Loop: Header=BB597_388 Depth=2
	s_or_b32 exec_lo, exec_lo, s15
	s_addk_co_i32 s55, 0xf000
	s_cmp_lt_u32 s56, s51
	s_mov_b32 s30, s56
	s_cbranch_scc0 .LBB597_596
.LBB597_388:                            ;   Parent Loop BB597_12 Depth=1
                                        ; =>  This Inner Loop Header: Depth=2
	s_add_co_i32 s56, s30, 0x1000
	s_delay_alu instid0(SALU_CYCLE_1)
	s_cmp_gt_u32 s56, s51
	s_cbranch_scc1 .LBB597_390
; %bb.389:                              ;   in Loop: Header=BB597_388 Depth=2
	s_delay_alu instid0(VALU_DEP_2)
	v_lshl_add_u64 v[62:63], s[30:31], 2, v[28:29]
	s_mov_b32 s15, -1
	s_clause 0xe
	global_load_b32 v139, v[62:63], off
	global_load_b32 v140, v[62:63], off offset:128
	global_load_b32 v143, v[62:63], off offset:256
	;; [unrolled: 1-line block ×14, first 2 shown]
	s_movk_i32 s16, 0x1000
	s_cbranch_execz .LBB597_391
	s_branch .LBB597_422
.LBB597_390:                            ;   in Loop: Header=BB597_388 Depth=2
	s_mov_b32 s15, 0
                                        ; implicit-def: $vgpr139
                                        ; implicit-def: $vgpr140
                                        ; implicit-def: $vgpr143
                                        ; implicit-def: $vgpr147
                                        ; implicit-def: $vgpr151
                                        ; implicit-def: $vgpr155
                                        ; implicit-def: $vgpr159
                                        ; implicit-def: $vgpr163
                                        ; implicit-def: $vgpr166
                                        ; implicit-def: $vgpr69
                                        ; implicit-def: $vgpr68
                                        ; implicit-def: $vgpr67
                                        ; implicit-def: $vgpr66
                                        ; implicit-def: $vgpr65
                                        ; implicit-def: $vgpr64
	s_movk_i32 s16, 0x1000
.LBB597_391:                            ;   in Loop: Header=BB597_388 Depth=2
	s_wait_xcnt 0x0
	v_lshl_add_u64 v[62:63], s[30:31], 2, v[28:29]
	s_wait_loadcnt 0xd
	v_bfrev_b32_e32 v140, -2
	v_bfrev_b32_e32 v139, -2
	s_mov_b32 s15, exec_lo
	v_cmpx_gt_u32_e64 s55, v99
	s_cbranch_execz .LBB597_393
; %bb.392:                              ;   in Loop: Header=BB597_388 Depth=2
	global_load_b32 v139, v[62:63], off
.LBB597_393:                            ;   in Loop: Header=BB597_388 Depth=2
	s_wait_xcnt 0x0
	s_or_b32 exec_lo, exec_lo, s15
	s_delay_alu instid0(SALU_CYCLE_1)
	s_mov_b32 s15, exec_lo
	v_cmpx_gt_u32_e64 s55, v102
	s_cbranch_execz .LBB597_395
; %bb.394:                              ;   in Loop: Header=BB597_388 Depth=2
	global_load_b32 v140, v[62:63], off offset:128
.LBB597_395:                            ;   in Loop: Header=BB597_388 Depth=2
	s_wait_xcnt 0x0
	s_or_b32 exec_lo, exec_lo, s15
	s_wait_loadcnt 0xb
	v_bfrev_b32_e32 v147, -2
	v_bfrev_b32_e32 v143, -2
	s_mov_b32 s15, exec_lo
	v_cmpx_gt_u32_e64 s55, v103
	s_cbranch_execz .LBB597_397
; %bb.396:                              ;   in Loop: Header=BB597_388 Depth=2
	global_load_b32 v143, v[62:63], off offset:256
.LBB597_397:                            ;   in Loop: Header=BB597_388 Depth=2
	s_wait_xcnt 0x0
	s_or_b32 exec_lo, exec_lo, s15
	s_delay_alu instid0(SALU_CYCLE_1)
	s_mov_b32 s15, exec_lo
	v_cmpx_gt_u32_e64 s55, v104
	s_cbranch_execz .LBB597_399
; %bb.398:                              ;   in Loop: Header=BB597_388 Depth=2
	global_load_b32 v147, v[62:63], off offset:384
.LBB597_399:                            ;   in Loop: Header=BB597_388 Depth=2
	s_wait_xcnt 0x0
	s_or_b32 exec_lo, exec_lo, s15
	s_wait_loadcnt 0x9
	v_bfrev_b32_e32 v155, -2
	v_bfrev_b32_e32 v151, -2
	s_mov_b32 s15, exec_lo
	v_cmpx_gt_u32_e64 s55, v105
	s_cbranch_execz .LBB597_401
; %bb.400:                              ;   in Loop: Header=BB597_388 Depth=2
	global_load_b32 v151, v[62:63], off offset:512
.LBB597_401:                            ;   in Loop: Header=BB597_388 Depth=2
	;; [unrolled: 20-line block ×6, first 2 shown]
	s_wait_xcnt 0x0
	s_or_b32 exec_lo, exec_lo, s15
	s_delay_alu instid0(SALU_CYCLE_1)
	s_mov_b32 s15, exec_lo
	v_cmpx_gt_u32_e64 s55, v114
	s_cbranch_execz .LBB597_419
; %bb.418:                              ;   in Loop: Header=BB597_388 Depth=2
	global_load_b32 v65, v[62:63], off offset:1664
.LBB597_419:                            ;   in Loop: Header=BB597_388 Depth=2
	s_wait_xcnt 0x0
	s_or_b32 exec_lo, exec_lo, s15
	s_wait_loadcnt 0x0
	v_bfrev_b32_e32 v64, -2
	s_mov_b32 s15, exec_lo
	v_cmpx_gt_u32_e64 s55, v115
	s_cbranch_execz .LBB597_421
; %bb.420:                              ;   in Loop: Header=BB597_388 Depth=2
	global_load_b32 v64, v[62:63], off offset:1792
.LBB597_421:                            ;   in Loop: Header=BB597_388 Depth=2
	s_wait_xcnt 0x0
	s_or_b32 exec_lo, exec_lo, s15
	v_cmp_gt_u32_e64 s15, s55, v116
	s_sub_co_i32 s16, s51, s30
.LBB597_422:                            ;   in Loop: Header=BB597_388 Depth=2
	v_dual_mov_b32 v138, -1 :: v_dual_mov_b32 v137, s55
	s_wait_xcnt 0x0
	s_and_saveexec_b32 s17, s15
	s_cbranch_execz .LBB597_424
; %bb.423:                              ;   in Loop: Header=BB597_388 Depth=2
	v_lshl_add_u64 v[62:63], s[30:31], 2, v[28:29]
	v_mov_b32_e32 v137, s16
	global_load_b32 v62, v[62:63], off offset:1920
	s_wait_loadcnt 0x0
	v_xor_b32_e32 v138, 0x80000000, v62
.LBB597_424:                            ;   in Loop: Header=BB597_388 Depth=2
	s_wait_xcnt 0x0
	s_or_b32 exec_lo, exec_lo, s17
	s_wait_loadcnt 0xe
	v_xor_b32_e32 v139, 0x80000000, v139
	ds_store_2addr_b32 v5, v1, v1 offset1:1
	ds_store_2addr_b32 v117, v1, v1 offset1:1
	;; [unrolled: 1-line block ×4, first 2 shown]
	ds_store_b32 v91, v1 offset:1088
	s_wait_loadcnt_dscnt 0x0
	s_barrier_signal -1
	v_lshrrev_b32_e32 v62, s43, v139
	s_barrier_wait -1
	; wave barrier
	s_delay_alu instid0(VALU_DEP_1) | instskip(NEXT) | instid1(VALU_DEP_1)
	v_and_b32_e32 v142, s48, v62
	v_lshlrev_b32_e32 v141, 30, v142
	v_bitop3_b32 v63, v62, 1, s48 bitop3:0x80
	s_delay_alu instid0(VALU_DEP_1) | instskip(NEXT) | instid1(VALU_DEP_1)
	v_add_co_u32 v62, s15, v63, -1
	v_cndmask_b32_e64 v63, 0, 1, s15
	s_delay_alu instid0(VALU_DEP_4) | instskip(NEXT) | instid1(VALU_DEP_2)
	v_cmp_gt_i32_e64 s15, 0, v141
	v_cmp_ne_u32_e32 vcc_lo, 0, v63
	v_not_b32_e32 v63, v141
	s_delay_alu instid0(VALU_DEP_1) | instskip(SKIP_3) | instid1(VALU_DEP_4)
	v_dual_ashrrev_i32 v63, 31, v63 :: v_dual_lshlrev_b32 v144, 29, v142
	v_dual_lshlrev_b32 v145, 28, v142 :: v_dual_lshlrev_b32 v146, 27, v142
	v_dual_lshlrev_b32 v148, 26, v142 :: v_dual_lshlrev_b32 v149, 25, v142
	v_lshlrev_b32_e32 v150, 24, v142
	v_cmp_gt_i32_e64 s16, 0, v144
	v_not_b32_e32 v141, v144
	v_not_b32_e32 v144, v145
	v_cmp_gt_i32_e64 s17, 0, v145
	v_cmp_gt_i32_e64 s18, 0, v146
	v_not_b32_e32 v145, v146
	v_not_b32_e32 v146, v148
	v_dual_ashrrev_i32 v141, 31, v141 :: v_dual_bitop2_b32 v62, vcc_lo, v62 bitop3:0x14
	v_dual_ashrrev_i32 v144, 31, v144 :: v_dual_bitop2_b32 v63, s15, v63 bitop3:0x14
	v_cmp_gt_i32_e64 s19, 0, v148
	v_not_b32_e32 v148, v149
	s_delay_alu instid0(VALU_DEP_3)
	v_dual_ashrrev_i32 v145, 31, v145 :: v_dual_bitop2_b32 v144, s17, v144 bitop3:0x14
	v_dual_ashrrev_i32 v146, 31, v146 :: v_dual_bitop2_b32 v141, s16, v141 bitop3:0x14
	v_bitop3_b32 v62, v62, v63, exec_lo bitop3:0x80
	v_not_b32_e32 v63, v150
	v_cmp_gt_i32_e64 s20, 0, v149
	v_dual_ashrrev_i32 v148, 31, v148 :: v_dual_bitop2_b32 v145, s18, v145 bitop3:0x14
	s_delay_alu instid0(VALU_DEP_4) | instskip(SKIP_2) | instid1(VALU_DEP_4)
	v_bitop3_b32 v62, v62, v144, v141 bitop3:0x80
	v_cmp_gt_i32_e32 vcc_lo, 0, v150
	v_dual_ashrrev_i32 v63, 31, v63 :: v_dual_bitop2_b32 v141, s19, v146 bitop3:0x14
	v_xor_b32_e32 v144, s20, v148
	s_delay_alu instid0(VALU_DEP_2) | instskip(NEXT) | instid1(VALU_DEP_3)
	v_xor_b32_e32 v63, vcc_lo, v63
	v_bitop3_b32 v62, v62, v141, v145 bitop3:0x80
	s_delay_alu instid0(VALU_DEP_1) | instskip(SKIP_1) | instid1(VALU_DEP_2)
	v_bitop3_b32 v62, v62, v63, v144 bitop3:0x80
	v_mul_u32_u24_e32 v63, 36, v142
	v_mbcnt_lo_u32_b32 v141, v62, 0
	v_cmp_ne_u32_e64 s15, 0, v62
	s_delay_alu instid0(VALU_DEP_3) | instskip(NEXT) | instid1(VALU_DEP_3)
	v_add_nc_u32_e32 v142, v25, v63
	v_cmp_eq_u32_e32 vcc_lo, 0, v141
	s_and_b32 s16, s15, vcc_lo
	s_delay_alu instid0(SALU_CYCLE_1)
	s_and_saveexec_b32 s15, s16
; %bb.425:                              ;   in Loop: Header=BB597_388 Depth=2
	v_bcnt_u32_b32 v62, v62, 0
	ds_store_b32 v142, v62 offset:1056
; %bb.426:                              ;   in Loop: Header=BB597_388 Depth=2
	s_or_b32 exec_lo, exec_lo, s15
	v_xor_b32_e32 v140, 0x80000000, v140
	; wave barrier
	s_delay_alu instid0(VALU_DEP_1) | instskip(NEXT) | instid1(VALU_DEP_1)
	v_lshrrev_b32_e32 v62, s43, v140
	v_and_b32_e32 v146, s48, v62
	s_delay_alu instid0(VALU_DEP_1) | instskip(SKIP_1) | instid1(VALU_DEP_1)
	v_lshlrev_b32_e32 v144, 30, v146
	v_bitop3_b32 v63, v62, 1, s48 bitop3:0x80
	v_add_co_u32 v62, s15, v63, -1
	s_delay_alu instid0(VALU_DEP_1) | instskip(NEXT) | instid1(VALU_DEP_4)
	v_cndmask_b32_e64 v63, 0, 1, s15
	v_cmp_gt_i32_e64 s15, 0, v144
	s_delay_alu instid0(VALU_DEP_2) | instskip(SKIP_1) | instid1(VALU_DEP_1)
	v_cmp_ne_u32_e32 vcc_lo, 0, v63
	v_not_b32_e32 v63, v144
	v_dual_ashrrev_i32 v63, 31, v63 :: v_dual_lshlrev_b32 v145, 29, v146
	v_dual_lshlrev_b32 v148, 28, v146 :: v_dual_lshlrev_b32 v149, 27, v146
	v_dual_lshlrev_b32 v150, 26, v146 :: v_dual_lshlrev_b32 v152, 25, v146
	v_lshlrev_b32_e32 v153, 24, v146
	s_delay_alu instid0(VALU_DEP_4)
	v_cmp_gt_i32_e64 s16, 0, v145
	v_not_b32_e32 v144, v145
	v_not_b32_e32 v145, v148
	v_cmp_gt_i32_e64 s17, 0, v148
	v_cmp_gt_i32_e64 s18, 0, v149
	v_not_b32_e32 v148, v149
	v_not_b32_e32 v149, v150
	v_dual_ashrrev_i32 v144, 31, v144 :: v_dual_bitop2_b32 v62, vcc_lo, v62 bitop3:0x14
	v_dual_ashrrev_i32 v145, 31, v145 :: v_dual_bitop2_b32 v63, s15, v63 bitop3:0x14
	v_cmp_gt_i32_e64 s19, 0, v150
	s_delay_alu instid0(VALU_DEP_4) | instskip(SKIP_1) | instid1(VALU_DEP_4)
	v_dual_ashrrev_i32 v148, 31, v148 :: v_dual_ashrrev_i32 v149, 31, v149
	v_not_b32_e32 v150, v153
	v_xor_b32_e32 v145, s17, v145
	v_bitop3_b32 v62, v62, v63, exec_lo bitop3:0x80
	v_not_b32_e32 v63, v152
	v_xor_b32_e32 v144, s16, v144
	v_cmp_gt_i32_e64 s20, 0, v152
	v_xor_b32_e32 v148, s18, v148
	s_delay_alu instid0(VALU_DEP_4) | instskip(NEXT) | instid1(VALU_DEP_4)
	v_dual_ashrrev_i32 v63, 31, v63 :: v_dual_bitop2_b32 v149, s19, v149 bitop3:0x14
	v_bitop3_b32 v62, v62, v145, v144 bitop3:0x80
	v_cmp_gt_i32_e32 vcc_lo, 0, v153
	v_ashrrev_i32_e32 v144, 31, v150
	v_mad_u32_u24 v145, v146, 36, v25
	v_xor_b32_e32 v63, s20, v63
	v_bitop3_b32 v62, v62, v149, v148 bitop3:0x80
	s_delay_alu instid0(VALU_DEP_4) | instskip(SKIP_3) | instid1(VALU_DEP_2)
	v_xor_b32_e32 v148, vcc_lo, v144
	ds_load_b32 v144, v145 offset:1056
	; wave barrier
	v_bitop3_b32 v62, v62, v148, v63 bitop3:0x80
	v_mul_u32_u24_e32 v63, 36, v146
	v_mbcnt_lo_u32_b32 v145, v62, 0
	v_cmp_ne_u32_e64 s15, 0, v62
	s_delay_alu instid0(VALU_DEP_3) | instskip(NEXT) | instid1(VALU_DEP_3)
	v_add_nc_u32_e32 v146, v25, v63
	v_cmp_eq_u32_e32 vcc_lo, 0, v145
	s_and_b32 s16, s15, vcc_lo
	s_delay_alu instid0(SALU_CYCLE_1)
	s_and_saveexec_b32 s15, s16
	s_cbranch_execz .LBB597_428
; %bb.427:                              ;   in Loop: Header=BB597_388 Depth=2
	s_wait_dscnt 0x0
	v_bcnt_u32_b32 v62, v62, v144
	ds_store_b32 v146, v62 offset:1056
.LBB597_428:                            ;   in Loop: Header=BB597_388 Depth=2
	s_or_b32 exec_lo, exec_lo, s15
	v_xor_b32_e32 v143, 0x80000000, v143
	; wave barrier
	s_delay_alu instid0(VALU_DEP_1) | instskip(NEXT) | instid1(VALU_DEP_1)
	v_lshrrev_b32_e32 v62, s43, v143
	v_and_b32_e32 v150, s48, v62
	s_delay_alu instid0(VALU_DEP_1) | instskip(SKIP_1) | instid1(VALU_DEP_1)
	v_lshlrev_b32_e32 v148, 30, v150
	v_bitop3_b32 v63, v62, 1, s48 bitop3:0x80
	v_add_co_u32 v62, s15, v63, -1
	s_delay_alu instid0(VALU_DEP_1) | instskip(NEXT) | instid1(VALU_DEP_4)
	v_cndmask_b32_e64 v63, 0, 1, s15
	v_cmp_gt_i32_e64 s15, 0, v148
	s_delay_alu instid0(VALU_DEP_2) | instskip(SKIP_1) | instid1(VALU_DEP_1)
	v_cmp_ne_u32_e32 vcc_lo, 0, v63
	v_not_b32_e32 v63, v148
	v_dual_ashrrev_i32 v63, 31, v63 :: v_dual_lshlrev_b32 v149, 29, v150
	v_dual_lshlrev_b32 v152, 28, v150 :: v_dual_lshlrev_b32 v153, 27, v150
	v_dual_lshlrev_b32 v154, 26, v150 :: v_dual_lshlrev_b32 v156, 25, v150
	v_lshlrev_b32_e32 v157, 24, v150
	s_delay_alu instid0(VALU_DEP_4)
	v_cmp_gt_i32_e64 s16, 0, v149
	v_not_b32_e32 v148, v149
	v_not_b32_e32 v149, v152
	v_cmp_gt_i32_e64 s17, 0, v152
	v_cmp_gt_i32_e64 s18, 0, v153
	v_not_b32_e32 v152, v153
	v_not_b32_e32 v153, v154
	v_dual_ashrrev_i32 v148, 31, v148 :: v_dual_bitop2_b32 v62, vcc_lo, v62 bitop3:0x14
	v_dual_ashrrev_i32 v149, 31, v149 :: v_dual_bitop2_b32 v63, s15, v63 bitop3:0x14
	v_cmp_gt_i32_e64 s19, 0, v154
	s_delay_alu instid0(VALU_DEP_4) | instskip(SKIP_1) | instid1(VALU_DEP_4)
	v_dual_ashrrev_i32 v152, 31, v152 :: v_dual_ashrrev_i32 v153, 31, v153
	v_not_b32_e32 v154, v157
	v_xor_b32_e32 v149, s17, v149
	v_bitop3_b32 v62, v62, v63, exec_lo bitop3:0x80
	v_not_b32_e32 v63, v156
	v_xor_b32_e32 v148, s16, v148
	v_cmp_gt_i32_e64 s20, 0, v156
	v_xor_b32_e32 v152, s18, v152
	s_delay_alu instid0(VALU_DEP_4) | instskip(NEXT) | instid1(VALU_DEP_4)
	v_dual_ashrrev_i32 v63, 31, v63 :: v_dual_bitop2_b32 v153, s19, v153 bitop3:0x14
	v_bitop3_b32 v62, v62, v149, v148 bitop3:0x80
	v_cmp_gt_i32_e32 vcc_lo, 0, v157
	v_ashrrev_i32_e32 v148, 31, v154
	v_mad_u32_u24 v149, v150, 36, v25
	v_xor_b32_e32 v63, s20, v63
	v_bitop3_b32 v62, v62, v153, v152 bitop3:0x80
	s_delay_alu instid0(VALU_DEP_4) | instskip(SKIP_3) | instid1(VALU_DEP_2)
	v_xor_b32_e32 v152, vcc_lo, v148
	ds_load_b32 v148, v149 offset:1056
	; wave barrier
	v_bitop3_b32 v62, v62, v152, v63 bitop3:0x80
	v_mul_u32_u24_e32 v63, 36, v150
	v_mbcnt_lo_u32_b32 v149, v62, 0
	v_cmp_ne_u32_e64 s15, 0, v62
	s_delay_alu instid0(VALU_DEP_3) | instskip(NEXT) | instid1(VALU_DEP_3)
	v_add_nc_u32_e32 v150, v25, v63
	v_cmp_eq_u32_e32 vcc_lo, 0, v149
	s_and_b32 s16, s15, vcc_lo
	s_delay_alu instid0(SALU_CYCLE_1)
	s_and_saveexec_b32 s15, s16
	s_cbranch_execz .LBB597_430
; %bb.429:                              ;   in Loop: Header=BB597_388 Depth=2
	s_wait_dscnt 0x0
	v_bcnt_u32_b32 v62, v62, v148
	ds_store_b32 v150, v62 offset:1056
.LBB597_430:                            ;   in Loop: Header=BB597_388 Depth=2
	s_or_b32 exec_lo, exec_lo, s15
	v_xor_b32_e32 v147, 0x80000000, v147
	; wave barrier
	s_delay_alu instid0(VALU_DEP_1) | instskip(NEXT) | instid1(VALU_DEP_1)
	v_lshrrev_b32_e32 v62, s43, v147
	v_and_b32_e32 v154, s48, v62
	s_delay_alu instid0(VALU_DEP_1) | instskip(SKIP_1) | instid1(VALU_DEP_1)
	v_lshlrev_b32_e32 v152, 30, v154
	v_bitop3_b32 v63, v62, 1, s48 bitop3:0x80
	v_add_co_u32 v62, s15, v63, -1
	s_delay_alu instid0(VALU_DEP_1) | instskip(NEXT) | instid1(VALU_DEP_4)
	v_cndmask_b32_e64 v63, 0, 1, s15
	v_cmp_gt_i32_e64 s15, 0, v152
	s_delay_alu instid0(VALU_DEP_2) | instskip(SKIP_1) | instid1(VALU_DEP_1)
	v_cmp_ne_u32_e32 vcc_lo, 0, v63
	v_not_b32_e32 v63, v152
	v_dual_ashrrev_i32 v63, 31, v63 :: v_dual_lshlrev_b32 v153, 29, v154
	v_dual_lshlrev_b32 v156, 28, v154 :: v_dual_lshlrev_b32 v157, 27, v154
	v_dual_lshlrev_b32 v158, 26, v154 :: v_dual_lshlrev_b32 v160, 25, v154
	v_lshlrev_b32_e32 v161, 24, v154
	s_delay_alu instid0(VALU_DEP_4)
	v_cmp_gt_i32_e64 s16, 0, v153
	v_not_b32_e32 v152, v153
	v_not_b32_e32 v153, v156
	v_cmp_gt_i32_e64 s17, 0, v156
	v_cmp_gt_i32_e64 s18, 0, v157
	v_not_b32_e32 v156, v157
	v_not_b32_e32 v157, v158
	v_dual_ashrrev_i32 v152, 31, v152 :: v_dual_bitop2_b32 v62, vcc_lo, v62 bitop3:0x14
	v_dual_ashrrev_i32 v153, 31, v153 :: v_dual_bitop2_b32 v63, s15, v63 bitop3:0x14
	v_cmp_gt_i32_e64 s19, 0, v158
	s_delay_alu instid0(VALU_DEP_4) | instskip(SKIP_1) | instid1(VALU_DEP_4)
	v_dual_ashrrev_i32 v156, 31, v156 :: v_dual_ashrrev_i32 v157, 31, v157
	v_not_b32_e32 v158, v161
	v_xor_b32_e32 v153, s17, v153
	v_bitop3_b32 v62, v62, v63, exec_lo bitop3:0x80
	v_not_b32_e32 v63, v160
	v_xor_b32_e32 v152, s16, v152
	v_cmp_gt_i32_e64 s20, 0, v160
	v_xor_b32_e32 v156, s18, v156
	s_delay_alu instid0(VALU_DEP_4) | instskip(NEXT) | instid1(VALU_DEP_4)
	v_dual_ashrrev_i32 v63, 31, v63 :: v_dual_bitop2_b32 v157, s19, v157 bitop3:0x14
	v_bitop3_b32 v62, v62, v153, v152 bitop3:0x80
	v_cmp_gt_i32_e32 vcc_lo, 0, v161
	v_ashrrev_i32_e32 v152, 31, v158
	v_mad_u32_u24 v153, v154, 36, v25
	v_xor_b32_e32 v63, s20, v63
	v_bitop3_b32 v62, v62, v157, v156 bitop3:0x80
	s_delay_alu instid0(VALU_DEP_4) | instskip(SKIP_3) | instid1(VALU_DEP_2)
	v_xor_b32_e32 v156, vcc_lo, v152
	ds_load_b32 v152, v153 offset:1056
	; wave barrier
	v_bitop3_b32 v62, v62, v156, v63 bitop3:0x80
	v_mul_u32_u24_e32 v63, 36, v154
	v_mbcnt_lo_u32_b32 v153, v62, 0
	v_cmp_ne_u32_e64 s15, 0, v62
	s_delay_alu instid0(VALU_DEP_3) | instskip(NEXT) | instid1(VALU_DEP_3)
	v_add_nc_u32_e32 v154, v25, v63
	v_cmp_eq_u32_e32 vcc_lo, 0, v153
	s_and_b32 s16, s15, vcc_lo
	s_delay_alu instid0(SALU_CYCLE_1)
	s_and_saveexec_b32 s15, s16
	s_cbranch_execz .LBB597_432
; %bb.431:                              ;   in Loop: Header=BB597_388 Depth=2
	s_wait_dscnt 0x0
	v_bcnt_u32_b32 v62, v62, v152
	ds_store_b32 v154, v62 offset:1056
.LBB597_432:                            ;   in Loop: Header=BB597_388 Depth=2
	s_or_b32 exec_lo, exec_lo, s15
	v_xor_b32_e32 v151, 0x80000000, v151
	; wave barrier
	s_delay_alu instid0(VALU_DEP_1) | instskip(NEXT) | instid1(VALU_DEP_1)
	v_lshrrev_b32_e32 v62, s43, v151
	v_and_b32_e32 v158, s48, v62
	s_delay_alu instid0(VALU_DEP_1) | instskip(SKIP_1) | instid1(VALU_DEP_1)
	v_lshlrev_b32_e32 v156, 30, v158
	v_bitop3_b32 v63, v62, 1, s48 bitop3:0x80
	v_add_co_u32 v62, s15, v63, -1
	s_delay_alu instid0(VALU_DEP_1) | instskip(NEXT) | instid1(VALU_DEP_4)
	v_cndmask_b32_e64 v63, 0, 1, s15
	v_cmp_gt_i32_e64 s15, 0, v156
	s_delay_alu instid0(VALU_DEP_2) | instskip(SKIP_1) | instid1(VALU_DEP_1)
	v_cmp_ne_u32_e32 vcc_lo, 0, v63
	v_not_b32_e32 v63, v156
	v_dual_ashrrev_i32 v63, 31, v63 :: v_dual_lshlrev_b32 v157, 29, v158
	v_dual_lshlrev_b32 v160, 28, v158 :: v_dual_lshlrev_b32 v161, 27, v158
	v_dual_lshlrev_b32 v162, 26, v158 :: v_dual_lshlrev_b32 v164, 25, v158
	v_lshlrev_b32_e32 v165, 24, v158
	s_delay_alu instid0(VALU_DEP_4)
	v_cmp_gt_i32_e64 s16, 0, v157
	v_not_b32_e32 v156, v157
	v_not_b32_e32 v157, v160
	v_cmp_gt_i32_e64 s17, 0, v160
	v_cmp_gt_i32_e64 s18, 0, v161
	v_not_b32_e32 v160, v161
	v_not_b32_e32 v161, v162
	v_dual_ashrrev_i32 v156, 31, v156 :: v_dual_bitop2_b32 v62, vcc_lo, v62 bitop3:0x14
	v_dual_ashrrev_i32 v157, 31, v157 :: v_dual_bitop2_b32 v63, s15, v63 bitop3:0x14
	v_cmp_gt_i32_e64 s19, 0, v162
	s_delay_alu instid0(VALU_DEP_4) | instskip(SKIP_1) | instid1(VALU_DEP_4)
	v_dual_ashrrev_i32 v160, 31, v160 :: v_dual_ashrrev_i32 v161, 31, v161
	v_not_b32_e32 v162, v165
	v_xor_b32_e32 v157, s17, v157
	v_bitop3_b32 v62, v62, v63, exec_lo bitop3:0x80
	v_not_b32_e32 v63, v164
	v_xor_b32_e32 v156, s16, v156
	v_cmp_gt_i32_e64 s20, 0, v164
	v_xor_b32_e32 v160, s18, v160
	s_delay_alu instid0(VALU_DEP_4) | instskip(NEXT) | instid1(VALU_DEP_4)
	v_dual_ashrrev_i32 v63, 31, v63 :: v_dual_bitop2_b32 v161, s19, v161 bitop3:0x14
	v_bitop3_b32 v62, v62, v157, v156 bitop3:0x80
	v_cmp_gt_i32_e32 vcc_lo, 0, v165
	v_ashrrev_i32_e32 v156, 31, v162
	v_mad_u32_u24 v157, v158, 36, v25
	v_xor_b32_e32 v63, s20, v63
	v_bitop3_b32 v62, v62, v161, v160 bitop3:0x80
	s_delay_alu instid0(VALU_DEP_4) | instskip(SKIP_3) | instid1(VALU_DEP_2)
	v_xor_b32_e32 v160, vcc_lo, v156
	ds_load_b32 v156, v157 offset:1056
	; wave barrier
	v_bitop3_b32 v62, v62, v160, v63 bitop3:0x80
	v_mul_u32_u24_e32 v63, 36, v158
	v_mbcnt_lo_u32_b32 v157, v62, 0
	v_cmp_ne_u32_e64 s15, 0, v62
	s_delay_alu instid0(VALU_DEP_3) | instskip(NEXT) | instid1(VALU_DEP_3)
	v_add_nc_u32_e32 v158, v25, v63
	v_cmp_eq_u32_e32 vcc_lo, 0, v157
	s_and_b32 s16, s15, vcc_lo
	s_delay_alu instid0(SALU_CYCLE_1)
	s_and_saveexec_b32 s15, s16
	s_cbranch_execz .LBB597_434
; %bb.433:                              ;   in Loop: Header=BB597_388 Depth=2
	s_wait_dscnt 0x0
	v_bcnt_u32_b32 v62, v62, v156
	ds_store_b32 v158, v62 offset:1056
.LBB597_434:                            ;   in Loop: Header=BB597_388 Depth=2
	s_or_b32 exec_lo, exec_lo, s15
	v_xor_b32_e32 v155, 0x80000000, v155
	; wave barrier
	s_delay_alu instid0(VALU_DEP_1) | instskip(NEXT) | instid1(VALU_DEP_1)
	v_lshrrev_b32_e32 v62, s43, v155
	v_and_b32_e32 v162, s48, v62
	s_delay_alu instid0(VALU_DEP_1) | instskip(SKIP_1) | instid1(VALU_DEP_1)
	v_lshlrev_b32_e32 v160, 30, v162
	v_bitop3_b32 v63, v62, 1, s48 bitop3:0x80
	v_add_co_u32 v62, s15, v63, -1
	s_delay_alu instid0(VALU_DEP_1) | instskip(NEXT) | instid1(VALU_DEP_4)
	v_cndmask_b32_e64 v63, 0, 1, s15
	v_cmp_gt_i32_e64 s15, 0, v160
	s_delay_alu instid0(VALU_DEP_2) | instskip(SKIP_1) | instid1(VALU_DEP_1)
	v_cmp_ne_u32_e32 vcc_lo, 0, v63
	v_not_b32_e32 v63, v160
	v_dual_ashrrev_i32 v63, 31, v63 :: v_dual_lshlrev_b32 v161, 29, v162
	v_dual_lshlrev_b32 v164, 28, v162 :: v_dual_lshlrev_b32 v165, 27, v162
	v_dual_lshlrev_b32 v167, 26, v162 :: v_dual_lshlrev_b32 v168, 25, v162
	v_lshlrev_b32_e32 v169, 24, v162
	s_delay_alu instid0(VALU_DEP_4)
	v_cmp_gt_i32_e64 s16, 0, v161
	v_not_b32_e32 v160, v161
	v_not_b32_e32 v161, v164
	v_cmp_gt_i32_e64 s17, 0, v164
	v_cmp_gt_i32_e64 s18, 0, v165
	v_not_b32_e32 v164, v165
	v_not_b32_e32 v165, v167
	v_dual_ashrrev_i32 v160, 31, v160 :: v_dual_bitop2_b32 v62, vcc_lo, v62 bitop3:0x14
	v_dual_ashrrev_i32 v161, 31, v161 :: v_dual_bitop2_b32 v63, s15, v63 bitop3:0x14
	v_cmp_gt_i32_e64 s19, 0, v167
	s_delay_alu instid0(VALU_DEP_4) | instskip(SKIP_1) | instid1(VALU_DEP_4)
	v_dual_ashrrev_i32 v164, 31, v164 :: v_dual_ashrrev_i32 v165, 31, v165
	v_not_b32_e32 v167, v169
	v_xor_b32_e32 v161, s17, v161
	v_bitop3_b32 v62, v62, v63, exec_lo bitop3:0x80
	v_not_b32_e32 v63, v168
	v_xor_b32_e32 v160, s16, v160
	v_cmp_gt_i32_e64 s20, 0, v168
	v_xor_b32_e32 v164, s18, v164
	s_delay_alu instid0(VALU_DEP_4) | instskip(NEXT) | instid1(VALU_DEP_4)
	v_dual_ashrrev_i32 v63, 31, v63 :: v_dual_bitop2_b32 v165, s19, v165 bitop3:0x14
	v_bitop3_b32 v62, v62, v161, v160 bitop3:0x80
	v_cmp_gt_i32_e32 vcc_lo, 0, v169
	v_ashrrev_i32_e32 v160, 31, v167
	v_mad_u32_u24 v161, v162, 36, v25
	v_xor_b32_e32 v63, s20, v63
	v_bitop3_b32 v62, v62, v165, v164 bitop3:0x80
	s_delay_alu instid0(VALU_DEP_4) | instskip(SKIP_3) | instid1(VALU_DEP_2)
	v_xor_b32_e32 v164, vcc_lo, v160
	ds_load_b32 v160, v161 offset:1056
	; wave barrier
	v_bitop3_b32 v62, v62, v164, v63 bitop3:0x80
	v_mul_u32_u24_e32 v63, 36, v162
	v_mbcnt_lo_u32_b32 v161, v62, 0
	v_cmp_ne_u32_e64 s15, 0, v62
	s_delay_alu instid0(VALU_DEP_3) | instskip(NEXT) | instid1(VALU_DEP_3)
	v_add_nc_u32_e32 v162, v25, v63
	v_cmp_eq_u32_e32 vcc_lo, 0, v161
	s_and_b32 s16, s15, vcc_lo
	s_delay_alu instid0(SALU_CYCLE_1)
	s_and_saveexec_b32 s15, s16
	s_cbranch_execz .LBB597_436
; %bb.435:                              ;   in Loop: Header=BB597_388 Depth=2
	s_wait_dscnt 0x0
	v_bcnt_u32_b32 v62, v62, v160
	ds_store_b32 v162, v62 offset:1056
.LBB597_436:                            ;   in Loop: Header=BB597_388 Depth=2
	s_or_b32 exec_lo, exec_lo, s15
	v_xor_b32_e32 v159, 0x80000000, v159
	; wave barrier
	s_delay_alu instid0(VALU_DEP_1) | instskip(NEXT) | instid1(VALU_DEP_1)
	v_lshrrev_b32_e32 v62, s43, v159
	v_bitop3_b32 v63, v62, 1, s48 bitop3:0x80
	v_and_b32_e32 v167, s48, v62
	s_delay_alu instid0(VALU_DEP_2) | instskip(NEXT) | instid1(VALU_DEP_1)
	v_add_co_u32 v62, s15, v63, -1
	v_cndmask_b32_e64 v63, 0, 1, s15
	s_delay_alu instid0(VALU_DEP_3) | instskip(NEXT) | instid1(VALU_DEP_2)
	v_lshlrev_b32_e32 v164, 30, v167
	v_cmp_ne_u32_e32 vcc_lo, 0, v63
	s_delay_alu instid0(VALU_DEP_2) | instskip(NEXT) | instid1(VALU_DEP_1)
	v_not_b32_e32 v63, v164
	v_dual_ashrrev_i32 v63, 31, v63 :: v_dual_bitop2_b32 v62, vcc_lo, v62 bitop3:0x14
	v_dual_lshlrev_b32 v165, 29, v167 :: v_dual_lshlrev_b32 v168, 28, v167
	v_dual_lshlrev_b32 v169, 27, v167 :: v_dual_lshlrev_b32 v170, 26, v167
	v_lshlrev_b32_e32 v171, 25, v167
	v_cmp_gt_i32_e64 s15, 0, v164
	s_delay_alu instid0(VALU_DEP_4)
	v_cmp_gt_i32_e64 s16, 0, v165
	v_not_b32_e32 v164, v165
	v_not_b32_e32 v165, v168
	v_lshlrev_b32_e32 v172, 24, v167
	v_cmp_gt_i32_e64 s17, 0, v168
	v_cmp_gt_i32_e64 s18, 0, v169
	v_not_b32_e32 v168, v169
	v_not_b32_e32 v169, v170
	v_dual_ashrrev_i32 v164, 31, v164 :: v_dual_ashrrev_i32 v165, 31, v165
	v_xor_b32_e32 v63, s15, v63
	v_cmp_gt_i32_e64 s19, 0, v170
	s_delay_alu instid0(VALU_DEP_4)
	v_dual_ashrrev_i32 v168, 31, v168 :: v_dual_ashrrev_i32 v169, 31, v169
	v_not_b32_e32 v170, v172
	v_xor_b32_e32 v165, s17, v165
	v_bitop3_b32 v62, v62, v63, exec_lo bitop3:0x80
	v_not_b32_e32 v63, v171
	v_xor_b32_e32 v164, s16, v164
	v_cmp_gt_i32_e64 s20, 0, v171
	v_xor_b32_e32 v168, s18, v168
	s_delay_alu instid0(VALU_DEP_4) | instskip(NEXT) | instid1(VALU_DEP_4)
	v_dual_ashrrev_i32 v63, 31, v63 :: v_dual_bitop2_b32 v169, s19, v169 bitop3:0x14
	v_bitop3_b32 v62, v62, v165, v164 bitop3:0x80
	v_cmp_gt_i32_e32 vcc_lo, 0, v172
	v_ashrrev_i32_e32 v164, 31, v170
	v_mad_u32_u24 v165, v167, 36, v25
	v_xor_b32_e32 v63, s20, v63
	v_bitop3_b32 v62, v62, v169, v168 bitop3:0x80
	s_delay_alu instid0(VALU_DEP_4) | instskip(SKIP_3) | instid1(VALU_DEP_2)
	v_xor_b32_e32 v168, vcc_lo, v164
	ds_load_b32 v164, v165 offset:1056
	; wave barrier
	v_bitop3_b32 v62, v62, v168, v63 bitop3:0x80
	v_mul_u32_u24_e32 v63, 36, v167
	v_mbcnt_lo_u32_b32 v165, v62, 0
	v_cmp_ne_u32_e64 s15, 0, v62
	s_delay_alu instid0(VALU_DEP_3) | instskip(NEXT) | instid1(VALU_DEP_3)
	v_add_nc_u32_e32 v167, v25, v63
	v_cmp_eq_u32_e32 vcc_lo, 0, v165
	s_and_b32 s16, s15, vcc_lo
	s_delay_alu instid0(SALU_CYCLE_1)
	s_and_saveexec_b32 s15, s16
	s_cbranch_execz .LBB597_438
; %bb.437:                              ;   in Loop: Header=BB597_388 Depth=2
	s_wait_dscnt 0x0
	v_bcnt_u32_b32 v62, v62, v164
	ds_store_b32 v167, v62 offset:1056
.LBB597_438:                            ;   in Loop: Header=BB597_388 Depth=2
	s_or_b32 exec_lo, exec_lo, s15
	v_xor_b32_e32 v163, 0x80000000, v163
	; wave barrier
	s_delay_alu instid0(VALU_DEP_1) | instskip(NEXT) | instid1(VALU_DEP_1)
	v_lshrrev_b32_e32 v62, s43, v163
	v_and_b32_e32 v170, s48, v62
	s_delay_alu instid0(VALU_DEP_1) | instskip(SKIP_1) | instid1(VALU_DEP_1)
	v_lshlrev_b32_e32 v168, 30, v170
	v_bitop3_b32 v63, v62, 1, s48 bitop3:0x80
	v_add_co_u32 v62, s15, v63, -1
	s_delay_alu instid0(VALU_DEP_1) | instskip(NEXT) | instid1(VALU_DEP_4)
	v_cndmask_b32_e64 v63, 0, 1, s15
	v_cmp_gt_i32_e64 s15, 0, v168
	s_delay_alu instid0(VALU_DEP_2) | instskip(SKIP_1) | instid1(VALU_DEP_1)
	v_cmp_ne_u32_e32 vcc_lo, 0, v63
	v_not_b32_e32 v63, v168
	v_dual_ashrrev_i32 v63, 31, v63 :: v_dual_lshlrev_b32 v169, 29, v170
	v_dual_lshlrev_b32 v171, 28, v170 :: v_dual_lshlrev_b32 v172, 27, v170
	v_dual_lshlrev_b32 v173, 26, v170 :: v_dual_lshlrev_b32 v174, 25, v170
	v_lshlrev_b32_e32 v175, 24, v170
	s_delay_alu instid0(VALU_DEP_4)
	v_cmp_gt_i32_e64 s16, 0, v169
	v_not_b32_e32 v168, v169
	v_not_b32_e32 v169, v171
	v_cmp_gt_i32_e64 s17, 0, v171
	v_cmp_gt_i32_e64 s18, 0, v172
	v_not_b32_e32 v171, v172
	v_not_b32_e32 v172, v173
	v_dual_ashrrev_i32 v168, 31, v168 :: v_dual_bitop2_b32 v62, vcc_lo, v62 bitop3:0x14
	v_dual_ashrrev_i32 v169, 31, v169 :: v_dual_bitop2_b32 v63, s15, v63 bitop3:0x14
	v_cmp_gt_i32_e64 s19, 0, v173
	s_delay_alu instid0(VALU_DEP_4) | instskip(NEXT) | instid1(VALU_DEP_3)
	v_dual_ashrrev_i32 v171, 31, v171 :: v_dual_ashrrev_i32 v172, 31, v172
	v_xor_b32_e32 v169, s17, v169
	s_delay_alu instid0(VALU_DEP_4)
	v_bitop3_b32 v62, v62, v63, exec_lo bitop3:0x80
	v_not_b32_e32 v63, v174
	v_xor_b32_e32 v168, s16, v168
	v_not_b32_e32 v173, v175
	v_cmp_gt_i32_e64 s20, 0, v174
	v_xor_b32_e32 v171, s18, v171
	v_dual_ashrrev_i32 v63, 31, v63 :: v_dual_bitop2_b32 v172, s19, v172 bitop3:0x14
	v_bitop3_b32 v62, v62, v169, v168 bitop3:0x80
	v_cmp_gt_i32_e32 vcc_lo, 0, v175
	v_ashrrev_i32_e32 v168, 31, v173
	v_mad_u32_u24 v169, v170, 36, v25
	v_xor_b32_e32 v63, s20, v63
	v_bitop3_b32 v62, v62, v172, v171 bitop3:0x80
	s_delay_alu instid0(VALU_DEP_4) | instskip(SKIP_3) | instid1(VALU_DEP_2)
	v_xor_b32_e32 v171, vcc_lo, v168
	ds_load_b32 v168, v169 offset:1056
	; wave barrier
	v_bitop3_b32 v62, v62, v171, v63 bitop3:0x80
	v_mul_u32_u24_e32 v63, 36, v170
	v_mbcnt_lo_u32_b32 v169, v62, 0
	v_cmp_ne_u32_e64 s15, 0, v62
	s_delay_alu instid0(VALU_DEP_3) | instskip(NEXT) | instid1(VALU_DEP_3)
	v_add_nc_u32_e32 v170, v25, v63
	v_cmp_eq_u32_e32 vcc_lo, 0, v169
	s_and_b32 s16, s15, vcc_lo
	s_delay_alu instid0(SALU_CYCLE_1)
	s_and_saveexec_b32 s15, s16
	s_cbranch_execz .LBB597_440
; %bb.439:                              ;   in Loop: Header=BB597_388 Depth=2
	s_wait_dscnt 0x0
	v_bcnt_u32_b32 v62, v62, v168
	ds_store_b32 v170, v62 offset:1056
.LBB597_440:                            ;   in Loop: Header=BB597_388 Depth=2
	s_or_b32 exec_lo, exec_lo, s15
	v_xor_b32_e32 v166, 0x80000000, v166
	; wave barrier
	s_delay_alu instid0(VALU_DEP_1) | instskip(NEXT) | instid1(VALU_DEP_1)
	v_lshrrev_b32_e32 v62, s43, v166
	v_and_b32_e32 v171, s48, v62
	s_delay_alu instid0(VALU_DEP_1) | instskip(SKIP_1) | instid1(VALU_DEP_1)
	v_lshlrev_b32_e32 v172, 30, v171
	v_bitop3_b32 v63, v62, 1, s48 bitop3:0x80
	v_add_co_u32 v62, s15, v63, -1
	s_delay_alu instid0(VALU_DEP_1) | instskip(NEXT) | instid1(VALU_DEP_4)
	v_cndmask_b32_e64 v63, 0, 1, s15
	v_cmp_gt_i32_e64 s15, 0, v172
	s_delay_alu instid0(VALU_DEP_2) | instskip(SKIP_1) | instid1(VALU_DEP_1)
	v_cmp_ne_u32_e32 vcc_lo, 0, v63
	v_not_b32_e32 v63, v172
	v_ashrrev_i32_e32 v63, 31, v63
	v_dual_lshlrev_b32 v173, 29, v171 :: v_dual_lshlrev_b32 v174, 28, v171
	v_dual_lshlrev_b32 v175, 27, v171 :: v_dual_lshlrev_b32 v176, 26, v171
	;; [unrolled: 1-line block ×3, first 2 shown]
	s_delay_alu instid0(VALU_DEP_3)
	v_cmp_gt_i32_e64 s16, 0, v173
	v_not_b32_e32 v172, v173
	v_not_b32_e32 v173, v174
	v_cmp_gt_i32_e64 s17, 0, v174
	v_cmp_gt_i32_e64 s18, 0, v175
	v_not_b32_e32 v174, v175
	v_not_b32_e32 v175, v176
	v_dual_ashrrev_i32 v172, 31, v172 :: v_dual_bitop2_b32 v62, vcc_lo, v62 bitop3:0x14
	v_dual_ashrrev_i32 v173, 31, v173 :: v_dual_bitop2_b32 v63, s15, v63 bitop3:0x14
	v_cmp_gt_i32_e64 s19, 0, v176
	s_delay_alu instid0(VALU_DEP_4) | instskip(SKIP_1) | instid1(VALU_DEP_4)
	v_dual_ashrrev_i32 v174, 31, v174 :: v_dual_ashrrev_i32 v175, 31, v175
	v_not_b32_e32 v176, v178
	v_xor_b32_e32 v173, s17, v173
	v_bitop3_b32 v62, v62, v63, exec_lo bitop3:0x80
	v_not_b32_e32 v63, v177
	v_xor_b32_e32 v172, s16, v172
	v_cmp_gt_i32_e64 s20, 0, v177
	v_xor_b32_e32 v174, s18, v174
	v_xor_b32_e32 v175, s19, v175
	v_ashrrev_i32_e32 v63, 31, v63
	v_bitop3_b32 v62, v62, v173, v172 bitop3:0x80
	v_cmp_gt_i32_e32 vcc_lo, 0, v178
	v_ashrrev_i32_e32 v172, 31, v176
	v_mad_u32_u24 v173, v171, 36, v25
	v_xor_b32_e32 v63, s20, v63
	v_bitop3_b32 v62, v62, v175, v174 bitop3:0x80
	s_delay_alu instid0(VALU_DEP_4) | instskip(SKIP_3) | instid1(VALU_DEP_2)
	v_xor_b32_e32 v174, vcc_lo, v172
	ds_load_b32 v172, v173 offset:1056
	; wave barrier
	v_bitop3_b32 v62, v62, v174, v63 bitop3:0x80
	v_mul_u32_u24_e32 v63, 36, v171
	v_mbcnt_lo_u32_b32 v173, v62, 0
	v_cmp_ne_u32_e64 s15, 0, v62
	s_delay_alu instid0(VALU_DEP_3) | instskip(NEXT) | instid1(VALU_DEP_3)
	v_add_nc_u32_e32 v174, v25, v63
	v_cmp_eq_u32_e32 vcc_lo, 0, v173
	s_and_b32 s16, s15, vcc_lo
	s_delay_alu instid0(SALU_CYCLE_1)
	s_and_saveexec_b32 s15, s16
	s_cbranch_execz .LBB597_442
; %bb.441:                              ;   in Loop: Header=BB597_388 Depth=2
	s_wait_dscnt 0x0
	v_bcnt_u32_b32 v62, v62, v172
	ds_store_b32 v174, v62 offset:1056
.LBB597_442:                            ;   in Loop: Header=BB597_388 Depth=2
	s_or_b32 exec_lo, exec_lo, s15
	v_xor_b32_e32 v171, 0x80000000, v69
	; wave barrier
	s_delay_alu instid0(VALU_DEP_1) | instskip(NEXT) | instid1(VALU_DEP_1)
	v_lshrrev_b32_e32 v62, s43, v171
	v_and_b32_e32 v69, s48, v62
	s_delay_alu instid0(VALU_DEP_1) | instskip(SKIP_1) | instid1(VALU_DEP_1)
	v_lshlrev_b32_e32 v175, 30, v69
	v_bitop3_b32 v63, v62, 1, s48 bitop3:0x80
	v_add_co_u32 v62, s15, v63, -1
	s_delay_alu instid0(VALU_DEP_1) | instskip(NEXT) | instid1(VALU_DEP_4)
	v_cndmask_b32_e64 v63, 0, 1, s15
	v_cmp_gt_i32_e64 s15, 0, v175
	s_delay_alu instid0(VALU_DEP_2) | instskip(SKIP_1) | instid1(VALU_DEP_1)
	v_cmp_ne_u32_e32 vcc_lo, 0, v63
	v_not_b32_e32 v63, v175
	v_dual_ashrrev_i32 v63, 31, v63 :: v_dual_lshlrev_b32 v176, 29, v69
	v_dual_lshlrev_b32 v177, 28, v69 :: v_dual_lshlrev_b32 v178, 27, v69
	v_dual_lshlrev_b32 v179, 26, v69 :: v_dual_lshlrev_b32 v180, 25, v69
	v_lshlrev_b32_e32 v181, 24, v69
	s_delay_alu instid0(VALU_DEP_4)
	v_cmp_gt_i32_e64 s16, 0, v176
	v_not_b32_e32 v175, v176
	v_not_b32_e32 v176, v177
	v_cmp_gt_i32_e64 s17, 0, v177
	v_cmp_gt_i32_e64 s18, 0, v178
	v_not_b32_e32 v177, v178
	v_not_b32_e32 v178, v179
	v_dual_ashrrev_i32 v175, 31, v175 :: v_dual_bitop2_b32 v62, vcc_lo, v62 bitop3:0x14
	v_dual_ashrrev_i32 v176, 31, v176 :: v_dual_bitop2_b32 v63, s15, v63 bitop3:0x14
	v_cmp_gt_i32_e64 s19, 0, v179
	s_delay_alu instid0(VALU_DEP_4) | instskip(NEXT) | instid1(VALU_DEP_4)
	v_dual_ashrrev_i32 v177, 31, v177 :: v_dual_ashrrev_i32 v178, 31, v178
	v_xor_b32_e32 v175, s16, v175
	s_delay_alu instid0(VALU_DEP_4)
	v_bitop3_b32 v62, v62, v63, exec_lo bitop3:0x80
	v_not_b32_e32 v63, v180
	v_xor_b32_e32 v176, s17, v176
	v_not_b32_e32 v179, v181
	v_cmp_gt_i32_e64 s20, 0, v180
	v_xor_b32_e32 v177, s18, v177
	v_dual_ashrrev_i32 v63, 31, v63 :: v_dual_bitop2_b32 v178, s19, v178 bitop3:0x14
	v_bitop3_b32 v62, v62, v176, v175 bitop3:0x80
	v_cmp_gt_i32_e32 vcc_lo, 0, v181
	v_ashrrev_i32_e32 v175, 31, v179
	v_mad_u32_u24 v176, v69, 36, v25
	v_xor_b32_e32 v63, s20, v63
	v_bitop3_b32 v62, v62, v178, v177 bitop3:0x80
	s_delay_alu instid0(VALU_DEP_4) | instskip(SKIP_3) | instid1(VALU_DEP_2)
	v_xor_b32_e32 v175, vcc_lo, v175
	ds_load_b32 v176, v176 offset:1056
	; wave barrier
	v_bitop3_b32 v62, v62, v175, v63 bitop3:0x80
	v_mul_u32_u24_e32 v63, 36, v69
	v_mbcnt_lo_u32_b32 v177, v62, 0
	v_cmp_ne_u32_e64 s15, 0, v62
	s_delay_alu instid0(VALU_DEP_3) | instskip(NEXT) | instid1(VALU_DEP_3)
	v_add_nc_u32_e32 v178, v25, v63
	v_cmp_eq_u32_e32 vcc_lo, 0, v177
	s_and_b32 s16, s15, vcc_lo
	s_delay_alu instid0(SALU_CYCLE_1)
	s_and_saveexec_b32 s15, s16
	s_cbranch_execz .LBB597_444
; %bb.443:                              ;   in Loop: Header=BB597_388 Depth=2
	s_wait_dscnt 0x0
	v_bcnt_u32_b32 v62, v62, v176
	ds_store_b32 v178, v62 offset:1056
.LBB597_444:                            ;   in Loop: Header=BB597_388 Depth=2
	s_or_b32 exec_lo, exec_lo, s15
	v_xor_b32_e32 v175, 0x80000000, v68
	; wave barrier
	s_delay_alu instid0(VALU_DEP_1) | instskip(NEXT) | instid1(VALU_DEP_1)
	v_lshrrev_b32_e32 v62, s43, v175
	v_and_b32_e32 v68, s48, v62
	s_delay_alu instid0(VALU_DEP_1) | instskip(SKIP_1) | instid1(VALU_DEP_1)
	v_lshlrev_b32_e32 v69, 30, v68
	v_bitop3_b32 v63, v62, 1, s48 bitop3:0x80
	v_add_co_u32 v62, s15, v63, -1
	s_delay_alu instid0(VALU_DEP_1) | instskip(NEXT) | instid1(VALU_DEP_4)
	v_cndmask_b32_e64 v63, 0, 1, s15
	v_cmp_gt_i32_e64 s15, 0, v69
	s_delay_alu instid0(VALU_DEP_2) | instskip(SKIP_1) | instid1(VALU_DEP_1)
	v_cmp_ne_u32_e32 vcc_lo, 0, v63
	v_not_b32_e32 v63, v69
	v_dual_ashrrev_i32 v63, 31, v63 :: v_dual_lshlrev_b32 v179, 29, v68
	v_dual_lshlrev_b32 v180, 28, v68 :: v_dual_lshlrev_b32 v181, 27, v68
	v_dual_lshlrev_b32 v182, 26, v68 :: v_dual_lshlrev_b32 v183, 25, v68
	v_lshlrev_b32_e32 v184, 24, v68
	s_delay_alu instid0(VALU_DEP_4)
	v_cmp_gt_i32_e64 s16, 0, v179
	v_not_b32_e32 v69, v179
	v_not_b32_e32 v179, v180
	v_cmp_gt_i32_e64 s17, 0, v180
	v_cmp_gt_i32_e64 s18, 0, v181
	v_not_b32_e32 v180, v181
	v_not_b32_e32 v181, v182
	v_dual_ashrrev_i32 v69, 31, v69 :: v_dual_bitop2_b32 v62, vcc_lo, v62 bitop3:0x14
	s_delay_alu instid0(VALU_DEP_3) | instskip(NEXT) | instid1(VALU_DEP_3)
	v_dual_ashrrev_i32 v179, 31, v179 :: v_dual_ashrrev_i32 v180, 31, v180
	v_dual_ashrrev_i32 v181, 31, v181 :: v_dual_bitop2_b32 v63, s15, v63 bitop3:0x14
	v_cmp_gt_i32_e64 s19, 0, v182
	v_not_b32_e32 v182, v184
	s_delay_alu instid0(VALU_DEP_4) | instskip(NEXT) | instid1(VALU_DEP_4)
	v_xor_b32_e32 v179, s17, v179
	v_bitop3_b32 v62, v62, v63, exec_lo bitop3:0x80
	v_not_b32_e32 v63, v183
	v_xor_b32_e32 v69, s16, v69
	v_cmp_gt_i32_e64 s20, 0, v183
	v_xor_b32_e32 v180, s18, v180
	s_delay_alu instid0(VALU_DEP_4) | instskip(NEXT) | instid1(VALU_DEP_4)
	v_dual_ashrrev_i32 v63, 31, v63 :: v_dual_bitop2_b32 v181, s19, v181 bitop3:0x14
	v_bitop3_b32 v62, v62, v179, v69 bitop3:0x80
	v_cmp_gt_i32_e32 vcc_lo, 0, v184
	v_ashrrev_i32_e32 v69, 31, v182
	v_mad_u32_u24 v179, v68, 36, v25
	v_xor_b32_e32 v63, s20, v63
	v_bitop3_b32 v62, v62, v181, v180 bitop3:0x80
	s_delay_alu instid0(VALU_DEP_4) | instskip(SKIP_3) | instid1(VALU_DEP_2)
	v_xor_b32_e32 v69, vcc_lo, v69
	ds_load_b32 v180, v179 offset:1056
	; wave barrier
	v_bitop3_b32 v62, v62, v69, v63 bitop3:0x80
	v_mul_u32_u24_e32 v63, 36, v68
	v_mbcnt_lo_u32_b32 v181, v62, 0
	v_cmp_ne_u32_e64 s15, 0, v62
	s_delay_alu instid0(VALU_DEP_3) | instskip(NEXT) | instid1(VALU_DEP_3)
	v_add_nc_u32_e32 v182, v25, v63
	v_cmp_eq_u32_e32 vcc_lo, 0, v181
	s_and_b32 s16, s15, vcc_lo
	s_delay_alu instid0(SALU_CYCLE_1)
	s_and_saveexec_b32 s15, s16
	s_cbranch_execz .LBB597_446
; %bb.445:                              ;   in Loop: Header=BB597_388 Depth=2
	s_wait_dscnt 0x0
	v_bcnt_u32_b32 v62, v62, v180
	ds_store_b32 v182, v62 offset:1056
.LBB597_446:                            ;   in Loop: Header=BB597_388 Depth=2
	s_or_b32 exec_lo, exec_lo, s15
	v_xor_b32_e32 v179, 0x80000000, v67
	; wave barrier
	s_delay_alu instid0(VALU_DEP_1) | instskip(NEXT) | instid1(VALU_DEP_1)
	v_lshrrev_b32_e32 v62, s43, v179
	v_bitop3_b32 v63, v62, 1, s48 bitop3:0x80
	v_and_b32_e32 v67, s48, v62
	s_delay_alu instid0(VALU_DEP_2) | instskip(NEXT) | instid1(VALU_DEP_1)
	v_add_co_u32 v62, s15, v63, -1
	v_cndmask_b32_e64 v63, 0, 1, s15
	s_delay_alu instid0(VALU_DEP_3) | instskip(NEXT) | instid1(VALU_DEP_2)
	v_lshlrev_b32_e32 v68, 30, v67
	v_cmp_ne_u32_e32 vcc_lo, 0, v63
	s_delay_alu instid0(VALU_DEP_2) | instskip(NEXT) | instid1(VALU_DEP_1)
	v_not_b32_e32 v63, v68
	v_dual_ashrrev_i32 v63, 31, v63 :: v_dual_bitop2_b32 v62, vcc_lo, v62 bitop3:0x14
	v_dual_lshlrev_b32 v69, 29, v67 :: v_dual_lshlrev_b32 v183, 28, v67
	v_dual_lshlrev_b32 v184, 27, v67 :: v_dual_lshlrev_b32 v185, 26, v67
	v_lshlrev_b32_e32 v186, 25, v67
	v_cmp_gt_i32_e64 s15, 0, v68
	s_delay_alu instid0(VALU_DEP_4)
	v_cmp_gt_i32_e64 s16, 0, v69
	v_not_b32_e32 v68, v69
	v_not_b32_e32 v69, v183
	v_lshlrev_b32_e32 v187, 24, v67
	v_cmp_gt_i32_e64 s17, 0, v183
	v_cmp_gt_i32_e64 s18, 0, v184
	v_not_b32_e32 v183, v184
	v_not_b32_e32 v184, v185
	v_dual_ashrrev_i32 v68, 31, v68 :: v_dual_ashrrev_i32 v69, 31, v69
	v_xor_b32_e32 v63, s15, v63
	v_cmp_gt_i32_e64 s19, 0, v185
	s_delay_alu instid0(VALU_DEP_4) | instskip(NEXT) | instid1(VALU_DEP_4)
	v_dual_ashrrev_i32 v183, 31, v183 :: v_dual_ashrrev_i32 v184, 31, v184
	v_xor_b32_e32 v69, s17, v69
	s_delay_alu instid0(VALU_DEP_4)
	v_bitop3_b32 v62, v62, v63, exec_lo bitop3:0x80
	v_not_b32_e32 v63, v186
	v_xor_b32_e32 v68, s16, v68
	v_not_b32_e32 v185, v187
	v_cmp_gt_i32_e64 s20, 0, v186
	v_xor_b32_e32 v183, s18, v183
	v_dual_ashrrev_i32 v63, 31, v63 :: v_dual_bitop2_b32 v184, s19, v184 bitop3:0x14
	v_bitop3_b32 v62, v62, v69, v68 bitop3:0x80
	v_cmp_gt_i32_e32 vcc_lo, 0, v187
	v_ashrrev_i32_e32 v68, 31, v185
	v_mad_u32_u24 v69, v67, 36, v25
	v_xor_b32_e32 v63, s20, v63
	v_bitop3_b32 v62, v62, v184, v183 bitop3:0x80
	s_delay_alu instid0(VALU_DEP_4) | instskip(SKIP_3) | instid1(VALU_DEP_2)
	v_xor_b32_e32 v68, vcc_lo, v68
	ds_load_b32 v184, v69 offset:1056
	; wave barrier
	v_bitop3_b32 v62, v62, v68, v63 bitop3:0x80
	v_mul_u32_u24_e32 v63, 36, v67
	v_mbcnt_lo_u32_b32 v185, v62, 0
	v_cmp_ne_u32_e64 s15, 0, v62
	s_delay_alu instid0(VALU_DEP_3) | instskip(NEXT) | instid1(VALU_DEP_3)
	v_add_nc_u32_e32 v186, v25, v63
	v_cmp_eq_u32_e32 vcc_lo, 0, v185
	s_and_b32 s16, s15, vcc_lo
	s_delay_alu instid0(SALU_CYCLE_1)
	s_and_saveexec_b32 s15, s16
	s_cbranch_execz .LBB597_448
; %bb.447:                              ;   in Loop: Header=BB597_388 Depth=2
	s_wait_dscnt 0x0
	v_bcnt_u32_b32 v62, v62, v184
	ds_store_b32 v186, v62 offset:1056
.LBB597_448:                            ;   in Loop: Header=BB597_388 Depth=2
	s_or_b32 exec_lo, exec_lo, s15
	v_xor_b32_e32 v183, 0x80000000, v66
	; wave barrier
	s_delay_alu instid0(VALU_DEP_1) | instskip(NEXT) | instid1(VALU_DEP_1)
	v_lshrrev_b32_e32 v62, s43, v183
	v_and_b32_e32 v66, s48, v62
	s_delay_alu instid0(VALU_DEP_1) | instskip(SKIP_1) | instid1(VALU_DEP_1)
	v_lshlrev_b32_e32 v67, 30, v66
	v_bitop3_b32 v63, v62, 1, s48 bitop3:0x80
	v_add_co_u32 v62, s15, v63, -1
	s_delay_alu instid0(VALU_DEP_1) | instskip(NEXT) | instid1(VALU_DEP_4)
	v_cndmask_b32_e64 v63, 0, 1, s15
	v_cmp_gt_i32_e64 s15, 0, v67
	s_delay_alu instid0(VALU_DEP_2) | instskip(SKIP_1) | instid1(VALU_DEP_1)
	v_cmp_ne_u32_e32 vcc_lo, 0, v63
	v_not_b32_e32 v63, v67
	v_dual_ashrrev_i32 v63, 31, v63 :: v_dual_lshlrev_b32 v68, 29, v66
	v_dual_lshlrev_b32 v69, 28, v66 :: v_dual_lshlrev_b32 v187, 27, v66
	v_dual_lshlrev_b32 v188, 26, v66 :: v_dual_lshlrev_b32 v189, 25, v66
	v_lshlrev_b32_e32 v190, 24, v66
	s_delay_alu instid0(VALU_DEP_4)
	v_cmp_gt_i32_e64 s16, 0, v68
	v_not_b32_e32 v67, v68
	v_not_b32_e32 v68, v69
	v_cmp_gt_i32_e64 s17, 0, v69
	v_cmp_gt_i32_e64 s18, 0, v187
	v_not_b32_e32 v69, v187
	v_not_b32_e32 v187, v188
	v_dual_ashrrev_i32 v67, 31, v67 :: v_dual_bitop2_b32 v62, vcc_lo, v62 bitop3:0x14
	v_dual_ashrrev_i32 v68, 31, v68 :: v_dual_bitop2_b32 v63, s15, v63 bitop3:0x14
	v_cmp_gt_i32_e64 s19, 0, v188
	s_delay_alu instid0(VALU_DEP_4) | instskip(NEXT) | instid1(VALU_DEP_4)
	v_dual_ashrrev_i32 v69, 31, v69 :: v_dual_ashrrev_i32 v187, 31, v187
	v_xor_b32_e32 v67, s16, v67
	s_delay_alu instid0(VALU_DEP_4)
	v_bitop3_b32 v62, v62, v63, exec_lo bitop3:0x80
	v_not_b32_e32 v63, v189
	v_xor_b32_e32 v68, s17, v68
	v_not_b32_e32 v188, v190
	v_cmp_gt_i32_e64 s20, 0, v189
	v_xor_b32_e32 v69, s18, v69
	v_xor_b32_e32 v187, s19, v187
	v_ashrrev_i32_e32 v63, 31, v63
	v_bitop3_b32 v62, v62, v68, v67 bitop3:0x80
	v_cmp_gt_i32_e32 vcc_lo, 0, v190
	v_ashrrev_i32_e32 v67, 31, v188
	v_mad_u32_u24 v68, v66, 36, v25
	v_xor_b32_e32 v63, s20, v63
	v_bitop3_b32 v62, v62, v187, v69 bitop3:0x80
	s_delay_alu instid0(VALU_DEP_4) | instskip(SKIP_3) | instid1(VALU_DEP_2)
	v_xor_b32_e32 v67, vcc_lo, v67
	ds_load_b32 v188, v68 offset:1056
	; wave barrier
	v_bitop3_b32 v62, v62, v67, v63 bitop3:0x80
	v_mul_u32_u24_e32 v63, 36, v66
	v_mbcnt_lo_u32_b32 v189, v62, 0
	v_cmp_ne_u32_e64 s15, 0, v62
	s_delay_alu instid0(VALU_DEP_3) | instskip(NEXT) | instid1(VALU_DEP_3)
	v_add_nc_u32_e32 v190, v25, v63
	v_cmp_eq_u32_e32 vcc_lo, 0, v189
	s_and_b32 s16, s15, vcc_lo
	s_delay_alu instid0(SALU_CYCLE_1)
	s_and_saveexec_b32 s15, s16
	s_cbranch_execz .LBB597_450
; %bb.449:                              ;   in Loop: Header=BB597_388 Depth=2
	s_wait_dscnt 0x0
	v_bcnt_u32_b32 v62, v62, v188
	ds_store_b32 v190, v62 offset:1056
.LBB597_450:                            ;   in Loop: Header=BB597_388 Depth=2
	s_or_b32 exec_lo, exec_lo, s15
	v_xor_b32_e32 v187, 0x80000000, v65
	; wave barrier
	s_delay_alu instid0(VALU_DEP_1) | instskip(NEXT) | instid1(VALU_DEP_1)
	v_lshrrev_b32_e32 v62, s43, v187
	v_and_b32_e32 v65, s48, v62
	s_delay_alu instid0(VALU_DEP_1) | instskip(SKIP_1) | instid1(VALU_DEP_1)
	v_lshlrev_b32_e32 v66, 30, v65
	v_bitop3_b32 v63, v62, 1, s48 bitop3:0x80
	v_add_co_u32 v62, s15, v63, -1
	s_delay_alu instid0(VALU_DEP_1) | instskip(NEXT) | instid1(VALU_DEP_4)
	v_cndmask_b32_e64 v63, 0, 1, s15
	v_cmp_gt_i32_e64 s15, 0, v66
	s_delay_alu instid0(VALU_DEP_2) | instskip(SKIP_1) | instid1(VALU_DEP_1)
	v_cmp_ne_u32_e32 vcc_lo, 0, v63
	v_not_b32_e32 v63, v66
	v_dual_ashrrev_i32 v63, 31, v63 :: v_dual_lshlrev_b32 v67, 29, v65
	v_dual_lshlrev_b32 v68, 28, v65 :: v_dual_lshlrev_b32 v69, 27, v65
	v_dual_lshlrev_b32 v191, 26, v65 :: v_dual_lshlrev_b32 v192, 25, v65
	v_lshlrev_b32_e32 v193, 24, v65
	s_delay_alu instid0(VALU_DEP_4)
	v_cmp_gt_i32_e64 s16, 0, v67
	v_not_b32_e32 v66, v67
	v_not_b32_e32 v67, v68
	v_cmp_gt_i32_e64 s17, 0, v68
	v_cmp_gt_i32_e64 s18, 0, v69
	v_not_b32_e32 v68, v69
	v_not_b32_e32 v69, v191
	v_dual_ashrrev_i32 v67, 31, v67 :: v_dual_bitop2_b32 v62, vcc_lo, v62 bitop3:0x14
	v_dual_ashrrev_i32 v66, 31, v66 :: v_dual_bitop2_b32 v63, s15, v63 bitop3:0x14
	v_cmp_gt_i32_e64 s19, 0, v191
	s_delay_alu instid0(VALU_DEP_4) | instskip(NEXT) | instid1(VALU_DEP_4)
	v_dual_ashrrev_i32 v68, 31, v68 :: v_dual_ashrrev_i32 v69, 31, v69
	v_xor_b32_e32 v67, s17, v67
	s_delay_alu instid0(VALU_DEP_4)
	v_bitop3_b32 v62, v62, v63, exec_lo bitop3:0x80
	v_not_b32_e32 v63, v192
	v_xor_b32_e32 v66, s16, v66
	v_not_b32_e32 v191, v193
	v_cmp_gt_i32_e64 s20, 0, v192
	v_xor_b32_e32 v68, s18, v68
	v_dual_ashrrev_i32 v63, 31, v63 :: v_dual_bitop2_b32 v69, s19, v69 bitop3:0x14
	v_bitop3_b32 v62, v62, v67, v66 bitop3:0x80
	v_cmp_gt_i32_e32 vcc_lo, 0, v193
	v_ashrrev_i32_e32 v66, 31, v191
	v_mad_u32_u24 v67, v65, 36, v25
	v_xor_b32_e32 v63, s20, v63
	v_bitop3_b32 v62, v62, v69, v68 bitop3:0x80
	s_delay_alu instid0(VALU_DEP_4) | instskip(SKIP_3) | instid1(VALU_DEP_2)
	v_xor_b32_e32 v66, vcc_lo, v66
	ds_load_b32 v192, v67 offset:1056
	; wave barrier
	v_bitop3_b32 v62, v62, v66, v63 bitop3:0x80
	v_mul_u32_u24_e32 v63, 36, v65
	v_mbcnt_lo_u32_b32 v193, v62, 0
	v_cmp_ne_u32_e64 s15, 0, v62
	s_delay_alu instid0(VALU_DEP_3) | instskip(NEXT) | instid1(VALU_DEP_3)
	v_add_nc_u32_e32 v194, v25, v63
	v_cmp_eq_u32_e32 vcc_lo, 0, v193
	s_and_b32 s16, s15, vcc_lo
	s_delay_alu instid0(SALU_CYCLE_1)
	s_and_saveexec_b32 s15, s16
	s_cbranch_execz .LBB597_452
; %bb.451:                              ;   in Loop: Header=BB597_388 Depth=2
	s_wait_dscnt 0x0
	v_bcnt_u32_b32 v62, v62, v192
	ds_store_b32 v194, v62 offset:1056
.LBB597_452:                            ;   in Loop: Header=BB597_388 Depth=2
	s_or_b32 exec_lo, exec_lo, s15
	v_xor_b32_e32 v191, 0x80000000, v64
	; wave barrier
	s_delay_alu instid0(VALU_DEP_1) | instskip(NEXT) | instid1(VALU_DEP_1)
	v_lshrrev_b32_e32 v62, s43, v191
	v_and_b32_e32 v64, s48, v62
	s_delay_alu instid0(VALU_DEP_1) | instskip(SKIP_1) | instid1(VALU_DEP_1)
	v_lshlrev_b32_e32 v65, 30, v64
	v_bitop3_b32 v63, v62, 1, s48 bitop3:0x80
	v_add_co_u32 v62, s15, v63, -1
	s_delay_alu instid0(VALU_DEP_1) | instskip(NEXT) | instid1(VALU_DEP_4)
	v_cndmask_b32_e64 v63, 0, 1, s15
	v_cmp_gt_i32_e64 s15, 0, v65
	s_delay_alu instid0(VALU_DEP_2) | instskip(SKIP_1) | instid1(VALU_DEP_1)
	v_cmp_ne_u32_e32 vcc_lo, 0, v63
	v_not_b32_e32 v63, v65
	v_dual_ashrrev_i32 v63, 31, v63 :: v_dual_lshlrev_b32 v66, 29, v64
	v_dual_lshlrev_b32 v67, 28, v64 :: v_dual_lshlrev_b32 v68, 27, v64
	v_dual_lshlrev_b32 v69, 26, v64 :: v_dual_lshlrev_b32 v195, 25, v64
	v_lshlrev_b32_e32 v196, 24, v64
	s_delay_alu instid0(VALU_DEP_4)
	v_cmp_gt_i32_e64 s16, 0, v66
	v_not_b32_e32 v65, v66
	v_not_b32_e32 v66, v67
	v_cmp_gt_i32_e64 s17, 0, v67
	v_cmp_gt_i32_e64 s18, 0, v68
	v_not_b32_e32 v67, v68
	v_not_b32_e32 v68, v69
	v_dual_ashrrev_i32 v65, 31, v65 :: v_dual_bitop2_b32 v62, vcc_lo, v62 bitop3:0x14
	v_dual_ashrrev_i32 v66, 31, v66 :: v_dual_bitop2_b32 v63, s15, v63 bitop3:0x14
	v_cmp_gt_i32_e64 s19, 0, v69
	s_delay_alu instid0(VALU_DEP_4) | instskip(SKIP_1) | instid1(VALU_DEP_4)
	v_dual_ashrrev_i32 v67, 31, v67 :: v_dual_ashrrev_i32 v68, 31, v68
	v_not_b32_e32 v69, v196
	v_xor_b32_e32 v66, s17, v66
	v_bitop3_b32 v62, v62, v63, exec_lo bitop3:0x80
	v_not_b32_e32 v63, v195
	v_xor_b32_e32 v65, s16, v65
	v_cmp_gt_i32_e64 s20, 0, v195
	v_xor_b32_e32 v67, s18, v67
	s_delay_alu instid0(VALU_DEP_4) | instskip(NEXT) | instid1(VALU_DEP_4)
	v_dual_ashrrev_i32 v63, 31, v63 :: v_dual_bitop2_b32 v68, s19, v68 bitop3:0x14
	v_bitop3_b32 v62, v62, v66, v65 bitop3:0x80
	v_cmp_gt_i32_e32 vcc_lo, 0, v196
	v_ashrrev_i32_e32 v65, 31, v69
	v_mad_u32_u24 v66, v64, 36, v25
	v_xor_b32_e32 v63, s20, v63
	v_bitop3_b32 v62, v62, v68, v67 bitop3:0x80
	s_delay_alu instid0(VALU_DEP_4) | instskip(SKIP_3) | instid1(VALU_DEP_2)
	v_xor_b32_e32 v65, vcc_lo, v65
	ds_load_b32 v195, v66 offset:1056
	; wave barrier
	v_bitop3_b32 v62, v62, v65, v63 bitop3:0x80
	v_mul_u32_u24_e32 v63, 36, v64
	v_mbcnt_lo_u32_b32 v196, v62, 0
	v_cmp_ne_u32_e64 s15, 0, v62
	s_delay_alu instid0(VALU_DEP_3) | instskip(NEXT) | instid1(VALU_DEP_3)
	v_add_nc_u32_e32 v197, v25, v63
	v_cmp_eq_u32_e32 vcc_lo, 0, v196
	s_and_b32 s16, s15, vcc_lo
	s_delay_alu instid0(SALU_CYCLE_1)
	s_and_saveexec_b32 s15, s16
	s_cbranch_execz .LBB597_454
; %bb.453:                              ;   in Loop: Header=BB597_388 Depth=2
	s_wait_dscnt 0x0
	v_bcnt_u32_b32 v62, v62, v195
	ds_store_b32 v197, v62 offset:1056
.LBB597_454:                            ;   in Loop: Header=BB597_388 Depth=2
	s_or_b32 exec_lo, exec_lo, s15
	v_lshrrev_b32_e32 v62, s43, v138
	; wave barrier
	s_delay_alu instid0(VALU_DEP_1) | instskip(NEXT) | instid1(VALU_DEP_1)
	v_and_b32_e32 v64, s48, v62
	v_lshlrev_b32_e32 v65, 30, v64
	v_bitop3_b32 v63, v62, 1, s48 bitop3:0x80
	s_delay_alu instid0(VALU_DEP_1) | instskip(NEXT) | instid1(VALU_DEP_1)
	v_add_co_u32 v62, s15, v63, -1
	v_cndmask_b32_e64 v63, 0, 1, s15
	s_delay_alu instid0(VALU_DEP_4) | instskip(NEXT) | instid1(VALU_DEP_2)
	v_cmp_gt_i32_e64 s15, 0, v65
	v_cmp_ne_u32_e32 vcc_lo, 0, v63
	v_not_b32_e32 v63, v65
	s_delay_alu instid0(VALU_DEP_1) | instskip(SKIP_3) | instid1(VALU_DEP_4)
	v_dual_ashrrev_i32 v63, 31, v63 :: v_dual_lshlrev_b32 v66, 29, v64
	v_dual_lshlrev_b32 v67, 28, v64 :: v_dual_lshlrev_b32 v68, 27, v64
	v_dual_lshlrev_b32 v69, 26, v64 :: v_dual_lshlrev_b32 v198, 25, v64
	v_lshlrev_b32_e32 v199, 24, v64
	v_cmp_gt_i32_e64 s16, 0, v66
	v_not_b32_e32 v65, v66
	v_not_b32_e32 v66, v67
	v_cmp_gt_i32_e64 s17, 0, v67
	v_xor_b32_e32 v62, vcc_lo, v62
	s_delay_alu instid0(VALU_DEP_4) | instskip(NEXT) | instid1(VALU_DEP_4)
	v_dual_ashrrev_i32 v65, 31, v65 :: v_dual_bitop2_b32 v63, s15, v63 bitop3:0x14
	v_ashrrev_i32_e32 v66, 31, v66
	v_cmp_gt_i32_e64 s18, 0, v68
	v_not_b32_e32 v67, v68
	v_not_b32_e32 v68, v69
	v_xor_b32_e32 v65, s16, v65
	v_xor_b32_e32 v66, s17, v66
	v_bitop3_b32 v62, v62, v63, exec_lo bitop3:0x80
	v_ashrrev_i32_e32 v63, 31, v67
	v_cmp_gt_i32_e32 vcc_lo, 0, v69
	v_ashrrev_i32_e32 v67, 31, v68
	v_not_b32_e32 v68, v198
	v_bitop3_b32 v62, v62, v66, v65 bitop3:0x80
	v_not_b32_e32 v65, v199
	v_xor_b32_e32 v63, s18, v63
	v_xor_b32_e32 v66, vcc_lo, v67
	v_cmp_gt_i32_e32 vcc_lo, 0, v198
	v_ashrrev_i32_e32 v67, 31, v68
	v_cmp_gt_i32_e64 s15, 0, v199
	v_ashrrev_i32_e32 v65, 31, v65
	v_mad_u32_u24 v68, v64, 36, v25
	v_bitop3_b32 v62, v62, v66, v63 bitop3:0x80
	v_xor_b32_e32 v63, vcc_lo, v67
	s_delay_alu instid0(VALU_DEP_4) | instskip(SKIP_3) | instid1(VALU_DEP_2)
	v_xor_b32_e32 v65, s15, v65
	ds_load_b32 v198, v68 offset:1056
	; wave barrier
	v_bitop3_b32 v62, v62, v65, v63 bitop3:0x80
	v_mul_u32_u24_e32 v63, 36, v64
	v_mbcnt_lo_u32_b32 v199, v62, 0
	v_cmp_ne_u32_e64 s15, 0, v62
	s_delay_alu instid0(VALU_DEP_3) | instskip(NEXT) | instid1(VALU_DEP_3)
	v_add_nc_u32_e32 v200, v25, v63
	v_cmp_eq_u32_e32 vcc_lo, 0, v199
	s_and_b32 s16, s15, vcc_lo
	s_delay_alu instid0(SALU_CYCLE_1)
	s_and_saveexec_b32 s15, s16
	s_cbranch_execz .LBB597_456
; %bb.455:                              ;   in Loop: Header=BB597_388 Depth=2
	s_wait_dscnt 0x0
	v_bcnt_u32_b32 v62, v62, v198
	ds_store_b32 v200, v62 offset:1056
.LBB597_456:                            ;   in Loop: Header=BB597_388 Depth=2
	s_or_b32 exec_lo, exec_lo, s15
	; wave barrier
	s_wait_dscnt 0x0
	s_barrier_signal -1
	s_barrier_wait -1
	ds_load_2addr_b32 v[68:69], v117 offset1:1
	ds_load_2addr_b32 v[66:67], v118 offset1:1
	;; [unrolled: 1-line block ×4, first 2 shown]
	ds_load_b32 v201, v91 offset:1088
	s_wait_dscnt 0x3
	v_add3_u32 v202, v69, v68, v66
	s_wait_dscnt 0x2
	s_delay_alu instid0(VALU_DEP_1) | instskip(SKIP_1) | instid1(VALU_DEP_1)
	v_add3_u32 v202, v202, v67, v64
	s_wait_dscnt 0x1
	v_add3_u32 v202, v202, v65, v62
	s_wait_dscnt 0x0
	s_delay_alu instid0(VALU_DEP_1) | instskip(NEXT) | instid1(VALU_DEP_1)
	v_add3_u32 v201, v202, v63, v201
	v_mov_b32_dpp v202, v201 row_shr:1 row_mask:0xf bank_mask:0xf
	s_delay_alu instid0(VALU_DEP_1) | instskip(NEXT) | instid1(VALU_DEP_1)
	v_cndmask_b32_e64 v202, v202, 0, s7
	v_add_nc_u32_e32 v201, v202, v201
	s_delay_alu instid0(VALU_DEP_1) | instskip(NEXT) | instid1(VALU_DEP_1)
	v_mov_b32_dpp v202, v201 row_shr:2 row_mask:0xf bank_mask:0xf
	v_cndmask_b32_e64 v202, 0, v202, s8
	s_delay_alu instid0(VALU_DEP_1) | instskip(NEXT) | instid1(VALU_DEP_1)
	v_add_nc_u32_e32 v201, v201, v202
	v_mov_b32_dpp v202, v201 row_shr:4 row_mask:0xf bank_mask:0xf
	s_delay_alu instid0(VALU_DEP_1) | instskip(NEXT) | instid1(VALU_DEP_1)
	v_cndmask_b32_e64 v202, 0, v202, s9
	v_add_nc_u32_e32 v201, v201, v202
	s_delay_alu instid0(VALU_DEP_1) | instskip(NEXT) | instid1(VALU_DEP_1)
	v_mov_b32_dpp v202, v201 row_shr:8 row_mask:0xf bank_mask:0xf
	v_cndmask_b32_e64 v202, 0, v202, s10
	s_delay_alu instid0(VALU_DEP_1) | instskip(SKIP_3) | instid1(VALU_DEP_1)
	v_add_nc_u32_e32 v201, v201, v202
	ds_swizzle_b32 v202, v201 offset:swizzle(BROADCAST,32,15)
	s_wait_dscnt 0x0
	v_cndmask_b32_e64 v202, v202, 0, s11
	v_add_nc_u32_e32 v201, v201, v202
	s_and_saveexec_b32 s15, s1
; %bb.457:                              ;   in Loop: Header=BB597_388 Depth=2
	ds_store_b32 v85, v201 offset:1024
; %bb.458:                              ;   in Loop: Header=BB597_388 Depth=2
	s_or_b32 exec_lo, exec_lo, s15
	s_wait_dscnt 0x0
	s_barrier_signal -1
	s_barrier_wait -1
	s_and_saveexec_b32 s15, s4
	s_cbranch_execz .LBB597_460
; %bb.459:                              ;   in Loop: Header=BB597_388 Depth=2
	ds_load_b32 v202, v93 offset:1024
	s_wait_dscnt 0x0
	v_mov_b32_dpp v203, v202 row_shr:1 row_mask:0xf bank_mask:0xf
	s_delay_alu instid0(VALU_DEP_1) | instskip(NEXT) | instid1(VALU_DEP_1)
	v_cndmask_b32_e64 v203, v203, 0, s12
	v_add_nc_u32_e32 v202, v203, v202
	s_delay_alu instid0(VALU_DEP_1) | instskip(NEXT) | instid1(VALU_DEP_1)
	v_mov_b32_dpp v203, v202 row_shr:2 row_mask:0xf bank_mask:0xf
	v_cndmask_b32_e64 v203, 0, v203, s13
	s_delay_alu instid0(VALU_DEP_1) | instskip(NEXT) | instid1(VALU_DEP_1)
	v_add_nc_u32_e32 v202, v202, v203
	v_mov_b32_dpp v203, v202 row_shr:4 row_mask:0xf bank_mask:0xf
	s_delay_alu instid0(VALU_DEP_1) | instskip(NEXT) | instid1(VALU_DEP_1)
	v_cndmask_b32_e64 v203, 0, v203, s14
	v_add_nc_u32_e32 v202, v202, v203
	ds_store_b32 v93, v202 offset:1024
.LBB597_460:                            ;   in Loop: Header=BB597_388 Depth=2
	s_or_b32 exec_lo, exec_lo, s15
	v_mov_b32_e32 v202, 0
	s_wait_dscnt 0x0
	s_barrier_signal -1
	s_barrier_wait -1
	s_and_saveexec_b32 s15, s5
; %bb.461:                              ;   in Loop: Header=BB597_388 Depth=2
	ds_load_b32 v202, v85 offset:1020
; %bb.462:                              ;   in Loop: Header=BB597_388 Depth=2
	s_or_b32 exec_lo, exec_lo, s15
	s_wait_dscnt 0x0
	v_add_nc_u32_e32 v201, v202, v201
	ds_bpermute_b32 v201, v120, v201
	s_wait_dscnt 0x0
	v_cndmask_b32_e64 v201, v201, v202, s6
	s_delay_alu instid0(VALU_DEP_1) | instskip(NEXT) | instid1(VALU_DEP_1)
	v_cndmask_b32_e64 v201, v201, 0, s2
	v_add_nc_u32_e32 v68, v201, v68
	s_delay_alu instid0(VALU_DEP_1) | instskip(NEXT) | instid1(VALU_DEP_1)
	v_add_nc_u32_e32 v69, v68, v69
	v_add_nc_u32_e32 v66, v69, v66
	s_delay_alu instid0(VALU_DEP_1) | instskip(NEXT) | instid1(VALU_DEP_1)
	v_add_nc_u32_e32 v67, v66, v67
	;; [unrolled: 3-line block ×3, first 2 shown]
	v_add_nc_u32_e32 v62, v65, v62
	s_delay_alu instid0(VALU_DEP_1)
	v_add_nc_u32_e32 v63, v62, v63
	ds_store_2addr_b32 v5, v65, v62 offset1:1
	ds_store_2addr_b32 v117, v201, v68 offset1:1
	;; [unrolled: 1-line block ×4, first 2 shown]
	ds_store_b32 v91, v63 offset:1088
	s_wait_dscnt 0x0
	s_barrier_signal -1
	s_barrier_wait -1
	ds_load_b32 v65, v142 offset:1056
	ds_load_b32 v67, v146 offset:1056
	;; [unrolled: 1-line block ×17, first 2 shown]
	v_mov_b32_e32 v64, 0x1000
	s_and_saveexec_b32 s15, s3
; %bb.463:                              ;   in Loop: Header=BB597_388 Depth=2
	ds_load_b32 v64, v91 offset:1092
; %bb.464:                              ;   in Loop: Header=BB597_388 Depth=2
	s_or_b32 exec_lo, exec_lo, s15
	s_wait_dscnt 0x0
	s_barrier_signal -1
	s_barrier_wait -1
	s_and_saveexec_b32 s15, s0
	s_cbranch_execz .LBB597_466
; %bb.465:                              ;   in Loop: Header=BB597_388 Depth=2
	ds_load_b32 v154, v4
	s_wait_dscnt 0x0
	v_sub_nc_u32_e32 v150, v154, v150
	ds_store_b32 v4, v150
.LBB597_466:                            ;   in Loop: Header=BB597_388 Depth=2
	s_or_b32 exec_lo, exec_lo, s15
	v_add3_u32 v158, v145, v144, v67
	v_add_nc_u32_e32 v162, v65, v141
	v_add3_u32 v154, v149, v148, v68
	v_add3_u32 v150, v153, v152, v69
	;; [unrolled: 1-line block ×4, first 2 shown]
	v_lshlrev_b32_e32 v62, 2, v158
	v_lshlrev_b32_e32 v152, 2, v162
	v_add3_u32 v149, v157, v156, v142
	v_add3_u32 v146, v165, v164, v201
	;; [unrolled: 1-line block ×4, first 2 shown]
	v_lshlrev_b32_e32 v63, 2, v154
	v_add3_u32 v144, v173, v172, v174
	v_lshlrev_b32_e32 v153, 2, v148
	ds_store_b32 v152, v139 offset:1024
	v_lshlrev_b32_e32 v139, 2, v150
	v_add3_u32 v142, v177, v176, v178
	v_lshlrev_b32_e32 v152, 2, v149
	v_add3_u32 v141, v181, v180, v182
	v_add3_u32 v65, v185, v184, v186
	ds_store_b32 v62, v140 offset:1024
	ds_store_b32 v63, v143 offset:1024
	;; [unrolled: 1-line block ×5, first 2 shown]
	v_dual_lshlrev_b32 v62, 2, v146 :: v_dual_lshlrev_b32 v139, 2, v144
	v_lshlrev_b32_e32 v63, 2, v145
	v_add3_u32 v67, v196, v195, v66
	v_dual_lshlrev_b32 v140, 2, v142 :: v_dual_lshlrev_b32 v143, 2, v141
	v_add3_u32 v66, v199, v198, v167
	ds_store_b32 v62, v159 offset:1024
	ds_store_b32 v63, v163 offset:1024
	;; [unrolled: 1-line block ×5, first 2 shown]
	v_dual_lshlrev_b32 v62, 2, v65 :: v_dual_lshlrev_b32 v139, 2, v68
	v_cmp_lt_u32_e32 vcc_lo, v2, v137
	v_dual_lshlrev_b32 v63, 2, v69 :: v_dual_lshlrev_b32 v140, 2, v67
	v_lshlrev_b32_e32 v143, 2, v66
	ds_store_b32 v62, v179 offset:1024
	ds_store_b32 v63, v183 offset:1024
	;; [unrolled: 1-line block ×5, first 2 shown]
	s_wait_dscnt 0x0
	s_barrier_signal -1
	s_barrier_wait -1
	s_and_saveexec_b32 s15, vcc_lo
	s_cbranch_execnz .LBB597_535
; %bb.467:                              ;   in Loop: Header=BB597_388 Depth=2
	s_or_b32 exec_lo, exec_lo, s15
	v_cmp_lt_u32_e64 s15, v3, v137
	s_and_saveexec_b32 s16, s15
	s_cbranch_execnz .LBB597_536
.LBB597_468:                            ;   in Loop: Header=BB597_388 Depth=2
	s_or_b32 exec_lo, exec_lo, s16
	v_cmp_lt_u32_e64 s16, v70, v137
	s_and_saveexec_b32 s17, s16
	s_cbranch_execnz .LBB597_537
.LBB597_469:                            ;   in Loop: Header=BB597_388 Depth=2
	s_or_b32 exec_lo, exec_lo, s17
	v_cmp_lt_u32_e64 s17, v71, v137
	s_and_saveexec_b32 s18, s17
	s_cbranch_execnz .LBB597_538
.LBB597_470:                            ;   in Loop: Header=BB597_388 Depth=2
	s_or_b32 exec_lo, exec_lo, s18
	v_cmp_lt_u32_e64 s18, v72, v137
	s_and_saveexec_b32 s19, s18
	s_cbranch_execnz .LBB597_539
.LBB597_471:                            ;   in Loop: Header=BB597_388 Depth=2
	s_or_b32 exec_lo, exec_lo, s19
	v_cmp_lt_u32_e64 s19, v73, v137
	s_and_saveexec_b32 s20, s19
	s_cbranch_execnz .LBB597_540
.LBB597_472:                            ;   in Loop: Header=BB597_388 Depth=2
	s_or_b32 exec_lo, exec_lo, s20
	v_cmp_lt_u32_e64 s20, v74, v137
	s_and_saveexec_b32 s21, s20
	s_cbranch_execnz .LBB597_541
.LBB597_473:                            ;   in Loop: Header=BB597_388 Depth=2
	s_or_b32 exec_lo, exec_lo, s21
	v_cmp_lt_u32_e64 s21, v75, v137
	s_and_saveexec_b32 s22, s21
	s_cbranch_execnz .LBB597_542
.LBB597_474:                            ;   in Loop: Header=BB597_388 Depth=2
	s_or_b32 exec_lo, exec_lo, s22
	v_cmp_lt_u32_e64 s22, v76, v137
	s_and_saveexec_b32 s23, s22
	s_cbranch_execnz .LBB597_543
.LBB597_475:                            ;   in Loop: Header=BB597_388 Depth=2
	s_or_b32 exec_lo, exec_lo, s23
	v_cmp_lt_u32_e64 s23, v77, v137
	s_and_saveexec_b32 s24, s23
	s_cbranch_execnz .LBB597_544
.LBB597_476:                            ;   in Loop: Header=BB597_388 Depth=2
	s_or_b32 exec_lo, exec_lo, s24
	v_cmp_lt_u32_e64 s24, v78, v137
	s_and_saveexec_b32 s25, s24
	s_cbranch_execnz .LBB597_545
.LBB597_477:                            ;   in Loop: Header=BB597_388 Depth=2
	s_or_b32 exec_lo, exec_lo, s25
	v_cmp_lt_u32_e64 s25, v79, v137
	s_and_saveexec_b32 s26, s25
	s_cbranch_execnz .LBB597_546
.LBB597_478:                            ;   in Loop: Header=BB597_388 Depth=2
	s_or_b32 exec_lo, exec_lo, s26
	v_cmp_lt_u32_e64 s26, v80, v137
	s_and_saveexec_b32 s27, s26
	s_cbranch_execnz .LBB597_547
.LBB597_479:                            ;   in Loop: Header=BB597_388 Depth=2
	s_or_b32 exec_lo, exec_lo, s27
	v_cmp_lt_u32_e64 s27, v81, v137
	s_and_saveexec_b32 s28, s27
	s_cbranch_execnz .LBB597_548
.LBB597_480:                            ;   in Loop: Header=BB597_388 Depth=2
	s_or_b32 exec_lo, exec_lo, s28
	v_cmp_lt_u32_e64 s28, v82, v137
	s_and_saveexec_b32 s29, s28
	s_cbranch_execnz .LBB597_549
.LBB597_481:                            ;   in Loop: Header=BB597_388 Depth=2
	s_or_b32 exec_lo, exec_lo, s29
	v_cmp_lt_u32_e64 s29, v83, v137
	s_and_saveexec_b32 s57, s29
	s_cbranch_execz .LBB597_483
.LBB597_482:                            ;   in Loop: Header=BB597_388 Depth=2
	ds_load_b32 v62, v93 offset:16384
	s_wait_dscnt 0x0
	v_lshrrev_b32_e32 v63, s43, v62
	v_xor_b32_e32 v62, 0x80000000, v62
	s_delay_alu instid0(VALU_DEP_2) | instskip(NEXT) | instid1(VALU_DEP_1)
	v_and_b32_e32 v63, s48, v63
	v_lshlrev_b32_e32 v63, 2, v63
	ds_load_b32 v63, v63
	s_wait_dscnt 0x0
	v_add_nc_u32_e32 v63, v63, v83
	global_store_b32 v63, v62, s[40:41] scale_offset
.LBB597_483:                            ;   in Loop: Header=BB597_388 Depth=2
	s_wait_xcnt 0x0
	s_or_b32 exec_lo, exec_lo, s57
	v_lshl_add_u64 v[62:63], s[30:31], 3, v[26:27]
	v_cmp_lt_u32_e64 s30, v99, v137
	s_and_saveexec_b32 s57, s30
	s_delay_alu instid0(SALU_CYCLE_1)
	s_xor_b32 s30, exec_lo, s57
	s_cbranch_execnz .LBB597_550
; %bb.484:                              ;   in Loop: Header=BB597_388 Depth=2
	s_or_b32 exec_lo, exec_lo, s30
	s_delay_alu instid0(SALU_CYCLE_1)
	s_mov_b32 s57, exec_lo
	v_cmpx_lt_u32_e64 v102, v137
	s_cbranch_execnz .LBB597_551
.LBB597_485:                            ;   in Loop: Header=BB597_388 Depth=2
	s_or_b32 exec_lo, exec_lo, s57
	s_delay_alu instid0(SALU_CYCLE_1)
	s_mov_b32 s57, exec_lo
	v_cmpx_lt_u32_e64 v103, v137
	s_cbranch_execnz .LBB597_552
.LBB597_486:                            ;   in Loop: Header=BB597_388 Depth=2
	s_or_b32 exec_lo, exec_lo, s57
	s_delay_alu instid0(SALU_CYCLE_1)
	s_mov_b32 s57, exec_lo
	v_cmpx_lt_u32_e64 v104, v137
	s_cbranch_execnz .LBB597_553
.LBB597_487:                            ;   in Loop: Header=BB597_388 Depth=2
	s_or_b32 exec_lo, exec_lo, s57
	s_delay_alu instid0(SALU_CYCLE_1)
	s_mov_b32 s57, exec_lo
	v_cmpx_lt_u32_e64 v105, v137
	s_cbranch_execnz .LBB597_554
.LBB597_488:                            ;   in Loop: Header=BB597_388 Depth=2
	s_or_b32 exec_lo, exec_lo, s57
	s_delay_alu instid0(SALU_CYCLE_1)
	s_mov_b32 s57, exec_lo
	v_cmpx_lt_u32_e64 v106, v137
	s_cbranch_execnz .LBB597_555
.LBB597_489:                            ;   in Loop: Header=BB597_388 Depth=2
	s_or_b32 exec_lo, exec_lo, s57
	s_delay_alu instid0(SALU_CYCLE_1)
	s_mov_b32 s57, exec_lo
	v_cmpx_lt_u32_e64 v107, v137
	s_cbranch_execnz .LBB597_556
.LBB597_490:                            ;   in Loop: Header=BB597_388 Depth=2
	s_or_b32 exec_lo, exec_lo, s57
	s_delay_alu instid0(SALU_CYCLE_1)
	s_mov_b32 s57, exec_lo
	v_cmpx_lt_u32_e64 v108, v137
	s_cbranch_execnz .LBB597_557
.LBB597_491:                            ;   in Loop: Header=BB597_388 Depth=2
	s_or_b32 exec_lo, exec_lo, s57
	s_delay_alu instid0(SALU_CYCLE_1)
	s_mov_b32 s57, exec_lo
	v_cmpx_lt_u32_e64 v109, v137
	s_cbranch_execnz .LBB597_558
.LBB597_492:                            ;   in Loop: Header=BB597_388 Depth=2
	s_or_b32 exec_lo, exec_lo, s57
	s_delay_alu instid0(SALU_CYCLE_1)
	s_mov_b32 s57, exec_lo
	v_cmpx_lt_u32_e64 v110, v137
	s_cbranch_execnz .LBB597_559
.LBB597_493:                            ;   in Loop: Header=BB597_388 Depth=2
	s_or_b32 exec_lo, exec_lo, s57
	s_delay_alu instid0(SALU_CYCLE_1)
	s_mov_b32 s57, exec_lo
	v_cmpx_lt_u32_e64 v111, v137
	s_cbranch_execnz .LBB597_560
.LBB597_494:                            ;   in Loop: Header=BB597_388 Depth=2
	s_or_b32 exec_lo, exec_lo, s57
	s_delay_alu instid0(SALU_CYCLE_1)
	s_mov_b32 s57, exec_lo
	v_cmpx_lt_u32_e64 v112, v137
	s_cbranch_execnz .LBB597_561
.LBB597_495:                            ;   in Loop: Header=BB597_388 Depth=2
	s_or_b32 exec_lo, exec_lo, s57
	s_delay_alu instid0(SALU_CYCLE_1)
	s_mov_b32 s57, exec_lo
	v_cmpx_lt_u32_e64 v113, v137
	s_cbranch_execnz .LBB597_562
.LBB597_496:                            ;   in Loop: Header=BB597_388 Depth=2
	s_or_b32 exec_lo, exec_lo, s57
	s_delay_alu instid0(SALU_CYCLE_1)
	s_mov_b32 s57, exec_lo
	v_cmpx_lt_u32_e64 v114, v137
	s_cbranch_execnz .LBB597_563
.LBB597_497:                            ;   in Loop: Header=BB597_388 Depth=2
	s_or_b32 exec_lo, exec_lo, s57
	s_delay_alu instid0(SALU_CYCLE_1)
	s_mov_b32 s57, exec_lo
	v_cmpx_lt_u32_e64 v115, v137
	s_cbranch_execnz .LBB597_564
.LBB597_498:                            ;   in Loop: Header=BB597_388 Depth=2
	s_or_b32 exec_lo, exec_lo, s57
	s_delay_alu instid0(SALU_CYCLE_1)
	s_mov_b32 s57, exec_lo
	v_cmpx_lt_u32_e64 v116, v137
	s_cbranch_execnz .LBB597_565
.LBB597_499:                            ;   in Loop: Header=BB597_388 Depth=2
	s_or_b32 exec_lo, exec_lo, s57
	s_and_saveexec_b32 s30, vcc_lo
	s_cbranch_execnz .LBB597_566
.LBB597_500:                            ;   in Loop: Header=BB597_388 Depth=2
	s_or_b32 exec_lo, exec_lo, s30
	s_and_saveexec_b32 s30, s15
	s_cbranch_execnz .LBB597_567
.LBB597_501:                            ;   in Loop: Header=BB597_388 Depth=2
	s_or_b32 exec_lo, exec_lo, s30
	s_and_saveexec_b32 s30, s16
	s_cbranch_execnz .LBB597_568
.LBB597_502:                            ;   in Loop: Header=BB597_388 Depth=2
	s_or_b32 exec_lo, exec_lo, s30
	s_and_saveexec_b32 s30, s17
	s_cbranch_execnz .LBB597_569
.LBB597_503:                            ;   in Loop: Header=BB597_388 Depth=2
	s_or_b32 exec_lo, exec_lo, s30
	s_and_saveexec_b32 s30, s18
	s_cbranch_execnz .LBB597_570
.LBB597_504:                            ;   in Loop: Header=BB597_388 Depth=2
	s_or_b32 exec_lo, exec_lo, s30
	s_and_saveexec_b32 s30, s19
	s_cbranch_execnz .LBB597_571
.LBB597_505:                            ;   in Loop: Header=BB597_388 Depth=2
	s_or_b32 exec_lo, exec_lo, s30
	s_and_saveexec_b32 s30, s20
	s_cbranch_execnz .LBB597_572
.LBB597_506:                            ;   in Loop: Header=BB597_388 Depth=2
	s_or_b32 exec_lo, exec_lo, s30
	s_and_saveexec_b32 s30, s21
	s_cbranch_execnz .LBB597_573
.LBB597_507:                            ;   in Loop: Header=BB597_388 Depth=2
	s_or_b32 exec_lo, exec_lo, s30
	s_and_saveexec_b32 s30, s22
	s_cbranch_execnz .LBB597_574
.LBB597_508:                            ;   in Loop: Header=BB597_388 Depth=2
	s_or_b32 exec_lo, exec_lo, s30
	s_and_saveexec_b32 s30, s23
	s_cbranch_execnz .LBB597_575
.LBB597_509:                            ;   in Loop: Header=BB597_388 Depth=2
	s_or_b32 exec_lo, exec_lo, s30
	s_and_saveexec_b32 s30, s24
	s_cbranch_execnz .LBB597_576
.LBB597_510:                            ;   in Loop: Header=BB597_388 Depth=2
	s_or_b32 exec_lo, exec_lo, s30
	s_and_saveexec_b32 s30, s25
	s_cbranch_execnz .LBB597_577
.LBB597_511:                            ;   in Loop: Header=BB597_388 Depth=2
	s_or_b32 exec_lo, exec_lo, s30
	s_and_saveexec_b32 s30, s26
	s_cbranch_execnz .LBB597_578
.LBB597_512:                            ;   in Loop: Header=BB597_388 Depth=2
	s_or_b32 exec_lo, exec_lo, s30
	s_and_saveexec_b32 s30, s27
	s_cbranch_execnz .LBB597_579
.LBB597_513:                            ;   in Loop: Header=BB597_388 Depth=2
	s_or_b32 exec_lo, exec_lo, s30
	s_and_saveexec_b32 s30, s28
	s_cbranch_execnz .LBB597_580
.LBB597_514:                            ;   in Loop: Header=BB597_388 Depth=2
	s_or_b32 exec_lo, exec_lo, s30
	s_and_saveexec_b32 s30, s29
	s_cbranch_execz .LBB597_516
.LBB597_515:                            ;   in Loop: Header=BB597_388 Depth=2
	ds_load_b32 v62, v93 offset:16384
	s_wait_dscnt 0x0
	v_lshrrev_b32_e32 v62, s43, v62
	s_delay_alu instid0(VALU_DEP_1)
	v_and_b32_e32 v121, s48, v62
.LBB597_516:                            ;   in Loop: Header=BB597_388 Depth=2
	s_or_b32 exec_lo, exec_lo, s30
	v_dual_lshlrev_b32 v62, 3, v162 :: v_dual_lshlrev_b32 v138, 3, v149
	s_wait_loadcnt 0x0
	s_wait_storecnt 0x0
	s_barrier_signal -1
	s_barrier_wait -1
	ds_store_b64 v62, v[60:61] offset:1024
	v_dual_lshlrev_b32 v62, 3, v158 :: v_dual_lshlrev_b32 v139, 3, v148
	v_lshlrev_b32_e32 v63, 3, v154
	v_lshlrev_b32_e32 v137, 3, v150
	ds_store_b64 v62, v[58:59] offset:1024
	ds_store_b64 v63, v[56:57] offset:1024
	;; [unrolled: 1-line block ×5, first 2 shown]
	v_dual_lshlrev_b32 v62, 3, v146 :: v_dual_lshlrev_b32 v139, 3, v141
	v_dual_lshlrev_b32 v63, 3, v145 :: v_dual_lshlrev_b32 v137, 3, v144
	v_lshlrev_b32_e32 v138, 3, v142
	ds_store_b64 v62, v[48:49] offset:1024
	ds_store_b64 v63, v[46:47] offset:1024
	;; [unrolled: 1-line block ×5, first 2 shown]
	v_lshlrev_b32_e32 v62, 3, v65
	v_dual_lshlrev_b32 v63, 3, v69 :: v_dual_lshlrev_b32 v65, 3, v68
	v_dual_lshlrev_b32 v67, 3, v67 :: v_dual_lshlrev_b32 v66, 3, v66
	ds_store_b64 v62, v[38:39] offset:1024
	ds_store_b64 v63, v[36:37] offset:1024
	;; [unrolled: 1-line block ×5, first 2 shown]
	s_wait_dscnt 0x0
	s_barrier_signal -1
	s_barrier_wait -1
	s_and_saveexec_b32 s30, vcc_lo
	s_cbranch_execnz .LBB597_581
; %bb.517:                              ;   in Loop: Header=BB597_388 Depth=2
	s_or_b32 exec_lo, exec_lo, s30
	s_and_saveexec_b32 s30, s15
	s_cbranch_execnz .LBB597_582
.LBB597_518:                            ;   in Loop: Header=BB597_388 Depth=2
	s_or_b32 exec_lo, exec_lo, s30
	s_and_saveexec_b32 s15, s16
	s_cbranch_execnz .LBB597_583
.LBB597_519:                            ;   in Loop: Header=BB597_388 Depth=2
	s_or_b32 exec_lo, exec_lo, s15
	s_and_saveexec_b32 s15, s17
	s_cbranch_execnz .LBB597_584
.LBB597_520:                            ;   in Loop: Header=BB597_388 Depth=2
	s_or_b32 exec_lo, exec_lo, s15
	s_and_saveexec_b32 s15, s18
	s_cbranch_execnz .LBB597_585
.LBB597_521:                            ;   in Loop: Header=BB597_388 Depth=2
	s_or_b32 exec_lo, exec_lo, s15
	s_and_saveexec_b32 s15, s19
	s_cbranch_execnz .LBB597_586
.LBB597_522:                            ;   in Loop: Header=BB597_388 Depth=2
	s_or_b32 exec_lo, exec_lo, s15
	s_and_saveexec_b32 s15, s20
	s_cbranch_execnz .LBB597_587
.LBB597_523:                            ;   in Loop: Header=BB597_388 Depth=2
	s_or_b32 exec_lo, exec_lo, s15
	s_and_saveexec_b32 s15, s21
	s_cbranch_execnz .LBB597_588
.LBB597_524:                            ;   in Loop: Header=BB597_388 Depth=2
	s_or_b32 exec_lo, exec_lo, s15
	s_and_saveexec_b32 s15, s22
	s_cbranch_execnz .LBB597_589
.LBB597_525:                            ;   in Loop: Header=BB597_388 Depth=2
	s_or_b32 exec_lo, exec_lo, s15
	s_and_saveexec_b32 s15, s23
	s_cbranch_execnz .LBB597_590
.LBB597_526:                            ;   in Loop: Header=BB597_388 Depth=2
	s_or_b32 exec_lo, exec_lo, s15
	s_and_saveexec_b32 s15, s24
	s_cbranch_execnz .LBB597_591
.LBB597_527:                            ;   in Loop: Header=BB597_388 Depth=2
	s_or_b32 exec_lo, exec_lo, s15
	s_and_saveexec_b32 s15, s25
	s_cbranch_execnz .LBB597_592
.LBB597_528:                            ;   in Loop: Header=BB597_388 Depth=2
	s_or_b32 exec_lo, exec_lo, s15
	s_and_saveexec_b32 s15, s26
	s_cbranch_execnz .LBB597_593
.LBB597_529:                            ;   in Loop: Header=BB597_388 Depth=2
	s_or_b32 exec_lo, exec_lo, s15
	s_and_saveexec_b32 s15, s27
	s_cbranch_execnz .LBB597_594
.LBB597_530:                            ;   in Loop: Header=BB597_388 Depth=2
	s_or_b32 exec_lo, exec_lo, s15
	s_and_saveexec_b32 s15, s28
	s_cbranch_execnz .LBB597_595
.LBB597_531:                            ;   in Loop: Header=BB597_388 Depth=2
	s_or_b32 exec_lo, exec_lo, s15
	s_and_saveexec_b32 s15, s29
	s_cbranch_execz .LBB597_533
.LBB597_532:                            ;   in Loop: Header=BB597_388 Depth=2
	v_dual_lshlrev_b32 v62, 2, v121 :: v_dual_add_nc_u32 v63, v93, v4
	ds_load_b32 v65, v62
	ds_load_b64 v[62:63], v63 offset:31744
	s_wait_dscnt 0x1
	v_add_nc_u32_e32 v65, v65, v83
	s_wait_dscnt 0x0
	global_store_b64 v65, v[62:63], s[46:47] scale_offset
.LBB597_533:                            ;   in Loop: Header=BB597_388 Depth=2
	s_wait_xcnt 0x0
	s_or_b32 exec_lo, exec_lo, s15
	s_wait_storecnt 0x0
	s_barrier_signal -1
	s_barrier_wait -1
	s_and_saveexec_b32 s15, s0
	s_cbranch_execz .LBB597_387
; %bb.534:                              ;   in Loop: Header=BB597_388 Depth=2
	ds_load_b32 v62, v4
	s_wait_dscnt 0x0
	v_add_nc_u32_e32 v62, v62, v64
	ds_store_b32 v4, v62
	s_branch .LBB597_387
.LBB597_535:                            ;   in Loop: Header=BB597_388 Depth=2
	ds_load_b32 v62, v93 offset:1024
	s_wait_dscnt 0x0
	v_lshrrev_b32_e32 v63, s43, v62
	v_xor_b32_e32 v62, 0x80000000, v62
	s_delay_alu instid0(VALU_DEP_2) | instskip(NEXT) | instid1(VALU_DEP_1)
	v_and_b32_e32 v63, s48, v63
	v_lshlrev_b32_e32 v63, 2, v63
	ds_load_b32 v63, v63
	s_wait_dscnt 0x0
	v_add_nc_u32_e32 v63, v63, v2
	global_store_b32 v63, v62, s[40:41] scale_offset
	s_wait_xcnt 0x0
	s_or_b32 exec_lo, exec_lo, s15
	v_cmp_lt_u32_e64 s15, v3, v137
	s_and_saveexec_b32 s16, s15
	s_cbranch_execz .LBB597_468
.LBB597_536:                            ;   in Loop: Header=BB597_388 Depth=2
	ds_load_b32 v62, v93 offset:2048
	s_wait_dscnt 0x0
	v_lshrrev_b32_e32 v63, s43, v62
	v_xor_b32_e32 v62, 0x80000000, v62
	s_delay_alu instid0(VALU_DEP_2) | instskip(NEXT) | instid1(VALU_DEP_1)
	v_and_b32_e32 v63, s48, v63
	v_lshlrev_b32_e32 v63, 2, v63
	ds_load_b32 v63, v63
	s_wait_dscnt 0x0
	v_add_nc_u32_e32 v63, v63, v3
	global_store_b32 v63, v62, s[40:41] scale_offset
	s_wait_xcnt 0x0
	s_or_b32 exec_lo, exec_lo, s16
	v_cmp_lt_u32_e64 s16, v70, v137
	s_and_saveexec_b32 s17, s16
	s_cbranch_execz .LBB597_469
.LBB597_537:                            ;   in Loop: Header=BB597_388 Depth=2
	ds_load_b32 v62, v93 offset:3072
	s_wait_dscnt 0x0
	v_lshrrev_b32_e32 v63, s43, v62
	v_xor_b32_e32 v62, 0x80000000, v62
	s_delay_alu instid0(VALU_DEP_2) | instskip(NEXT) | instid1(VALU_DEP_1)
	v_and_b32_e32 v63, s48, v63
	v_lshlrev_b32_e32 v63, 2, v63
	ds_load_b32 v63, v63
	s_wait_dscnt 0x0
	v_add_nc_u32_e32 v63, v63, v70
	global_store_b32 v63, v62, s[40:41] scale_offset
	s_wait_xcnt 0x0
	s_or_b32 exec_lo, exec_lo, s17
	v_cmp_lt_u32_e64 s17, v71, v137
	s_and_saveexec_b32 s18, s17
	s_cbranch_execz .LBB597_470
.LBB597_538:                            ;   in Loop: Header=BB597_388 Depth=2
	ds_load_b32 v62, v93 offset:4096
	s_wait_dscnt 0x0
	v_lshrrev_b32_e32 v63, s43, v62
	v_xor_b32_e32 v62, 0x80000000, v62
	s_delay_alu instid0(VALU_DEP_2) | instskip(NEXT) | instid1(VALU_DEP_1)
	v_and_b32_e32 v63, s48, v63
	v_lshlrev_b32_e32 v63, 2, v63
	ds_load_b32 v63, v63
	s_wait_dscnt 0x0
	v_add_nc_u32_e32 v63, v63, v71
	global_store_b32 v63, v62, s[40:41] scale_offset
	s_wait_xcnt 0x0
	s_or_b32 exec_lo, exec_lo, s18
	v_cmp_lt_u32_e64 s18, v72, v137
	s_and_saveexec_b32 s19, s18
	s_cbranch_execz .LBB597_471
.LBB597_539:                            ;   in Loop: Header=BB597_388 Depth=2
	ds_load_b32 v62, v93 offset:5120
	s_wait_dscnt 0x0
	v_lshrrev_b32_e32 v63, s43, v62
	v_xor_b32_e32 v62, 0x80000000, v62
	s_delay_alu instid0(VALU_DEP_2) | instskip(NEXT) | instid1(VALU_DEP_1)
	v_and_b32_e32 v63, s48, v63
	v_lshlrev_b32_e32 v63, 2, v63
	ds_load_b32 v63, v63
	s_wait_dscnt 0x0
	v_add_nc_u32_e32 v63, v63, v72
	global_store_b32 v63, v62, s[40:41] scale_offset
	s_wait_xcnt 0x0
	s_or_b32 exec_lo, exec_lo, s19
	v_cmp_lt_u32_e64 s19, v73, v137
	s_and_saveexec_b32 s20, s19
	s_cbranch_execz .LBB597_472
.LBB597_540:                            ;   in Loop: Header=BB597_388 Depth=2
	ds_load_b32 v62, v93 offset:6144
	s_wait_dscnt 0x0
	v_lshrrev_b32_e32 v63, s43, v62
	v_xor_b32_e32 v62, 0x80000000, v62
	s_delay_alu instid0(VALU_DEP_2) | instskip(NEXT) | instid1(VALU_DEP_1)
	v_and_b32_e32 v63, s48, v63
	v_lshlrev_b32_e32 v63, 2, v63
	ds_load_b32 v63, v63
	s_wait_dscnt 0x0
	v_add_nc_u32_e32 v63, v63, v73
	global_store_b32 v63, v62, s[40:41] scale_offset
	s_wait_xcnt 0x0
	s_or_b32 exec_lo, exec_lo, s20
	v_cmp_lt_u32_e64 s20, v74, v137
	s_and_saveexec_b32 s21, s20
	s_cbranch_execz .LBB597_473
.LBB597_541:                            ;   in Loop: Header=BB597_388 Depth=2
	ds_load_b32 v62, v93 offset:7168
	s_wait_dscnt 0x0
	v_lshrrev_b32_e32 v63, s43, v62
	v_xor_b32_e32 v62, 0x80000000, v62
	s_delay_alu instid0(VALU_DEP_2) | instskip(NEXT) | instid1(VALU_DEP_1)
	v_and_b32_e32 v63, s48, v63
	v_lshlrev_b32_e32 v63, 2, v63
	ds_load_b32 v63, v63
	s_wait_dscnt 0x0
	v_add_nc_u32_e32 v63, v63, v74
	global_store_b32 v63, v62, s[40:41] scale_offset
	s_wait_xcnt 0x0
	s_or_b32 exec_lo, exec_lo, s21
	v_cmp_lt_u32_e64 s21, v75, v137
	s_and_saveexec_b32 s22, s21
	s_cbranch_execz .LBB597_474
.LBB597_542:                            ;   in Loop: Header=BB597_388 Depth=2
	ds_load_b32 v62, v93 offset:8192
	s_wait_dscnt 0x0
	v_lshrrev_b32_e32 v63, s43, v62
	v_xor_b32_e32 v62, 0x80000000, v62
	s_delay_alu instid0(VALU_DEP_2) | instskip(NEXT) | instid1(VALU_DEP_1)
	v_and_b32_e32 v63, s48, v63
	v_lshlrev_b32_e32 v63, 2, v63
	ds_load_b32 v63, v63
	s_wait_dscnt 0x0
	v_add_nc_u32_e32 v63, v63, v75
	global_store_b32 v63, v62, s[40:41] scale_offset
	s_wait_xcnt 0x0
	s_or_b32 exec_lo, exec_lo, s22
	v_cmp_lt_u32_e64 s22, v76, v137
	s_and_saveexec_b32 s23, s22
	s_cbranch_execz .LBB597_475
.LBB597_543:                            ;   in Loop: Header=BB597_388 Depth=2
	ds_load_b32 v62, v93 offset:9216
	s_wait_dscnt 0x0
	v_lshrrev_b32_e32 v63, s43, v62
	v_xor_b32_e32 v62, 0x80000000, v62
	s_delay_alu instid0(VALU_DEP_2) | instskip(NEXT) | instid1(VALU_DEP_1)
	v_and_b32_e32 v63, s48, v63
	v_lshlrev_b32_e32 v63, 2, v63
	ds_load_b32 v63, v63
	s_wait_dscnt 0x0
	v_add_nc_u32_e32 v63, v63, v76
	global_store_b32 v63, v62, s[40:41] scale_offset
	s_wait_xcnt 0x0
	s_or_b32 exec_lo, exec_lo, s23
	v_cmp_lt_u32_e64 s23, v77, v137
	s_and_saveexec_b32 s24, s23
	s_cbranch_execz .LBB597_476
.LBB597_544:                            ;   in Loop: Header=BB597_388 Depth=2
	ds_load_b32 v62, v93 offset:10240
	s_wait_dscnt 0x0
	v_lshrrev_b32_e32 v63, s43, v62
	v_xor_b32_e32 v62, 0x80000000, v62
	s_delay_alu instid0(VALU_DEP_2) | instskip(NEXT) | instid1(VALU_DEP_1)
	v_and_b32_e32 v63, s48, v63
	v_lshlrev_b32_e32 v63, 2, v63
	ds_load_b32 v63, v63
	s_wait_dscnt 0x0
	v_add_nc_u32_e32 v63, v63, v77
	global_store_b32 v63, v62, s[40:41] scale_offset
	s_wait_xcnt 0x0
	s_or_b32 exec_lo, exec_lo, s24
	v_cmp_lt_u32_e64 s24, v78, v137
	s_and_saveexec_b32 s25, s24
	s_cbranch_execz .LBB597_477
.LBB597_545:                            ;   in Loop: Header=BB597_388 Depth=2
	ds_load_b32 v62, v93 offset:11264
	s_wait_dscnt 0x0
	v_lshrrev_b32_e32 v63, s43, v62
	v_xor_b32_e32 v62, 0x80000000, v62
	s_delay_alu instid0(VALU_DEP_2) | instskip(NEXT) | instid1(VALU_DEP_1)
	v_and_b32_e32 v63, s48, v63
	v_lshlrev_b32_e32 v63, 2, v63
	ds_load_b32 v63, v63
	s_wait_dscnt 0x0
	v_add_nc_u32_e32 v63, v63, v78
	global_store_b32 v63, v62, s[40:41] scale_offset
	s_wait_xcnt 0x0
	s_or_b32 exec_lo, exec_lo, s25
	v_cmp_lt_u32_e64 s25, v79, v137
	s_and_saveexec_b32 s26, s25
	s_cbranch_execz .LBB597_478
.LBB597_546:                            ;   in Loop: Header=BB597_388 Depth=2
	ds_load_b32 v62, v93 offset:12288
	s_wait_dscnt 0x0
	v_lshrrev_b32_e32 v63, s43, v62
	v_xor_b32_e32 v62, 0x80000000, v62
	s_delay_alu instid0(VALU_DEP_2) | instskip(NEXT) | instid1(VALU_DEP_1)
	v_and_b32_e32 v63, s48, v63
	v_lshlrev_b32_e32 v63, 2, v63
	ds_load_b32 v63, v63
	s_wait_dscnt 0x0
	v_add_nc_u32_e32 v63, v63, v79
	global_store_b32 v63, v62, s[40:41] scale_offset
	s_wait_xcnt 0x0
	s_or_b32 exec_lo, exec_lo, s26
	v_cmp_lt_u32_e64 s26, v80, v137
	s_and_saveexec_b32 s27, s26
	s_cbranch_execz .LBB597_479
.LBB597_547:                            ;   in Loop: Header=BB597_388 Depth=2
	ds_load_b32 v62, v93 offset:13312
	s_wait_dscnt 0x0
	v_lshrrev_b32_e32 v63, s43, v62
	v_xor_b32_e32 v62, 0x80000000, v62
	s_delay_alu instid0(VALU_DEP_2) | instskip(NEXT) | instid1(VALU_DEP_1)
	v_and_b32_e32 v63, s48, v63
	v_lshlrev_b32_e32 v63, 2, v63
	ds_load_b32 v63, v63
	s_wait_dscnt 0x0
	v_add_nc_u32_e32 v63, v63, v80
	global_store_b32 v63, v62, s[40:41] scale_offset
	s_wait_xcnt 0x0
	s_or_b32 exec_lo, exec_lo, s27
	v_cmp_lt_u32_e64 s27, v81, v137
	s_and_saveexec_b32 s28, s27
	s_cbranch_execz .LBB597_480
.LBB597_548:                            ;   in Loop: Header=BB597_388 Depth=2
	ds_load_b32 v62, v93 offset:14336
	s_wait_dscnt 0x0
	v_lshrrev_b32_e32 v63, s43, v62
	v_xor_b32_e32 v62, 0x80000000, v62
	s_delay_alu instid0(VALU_DEP_2) | instskip(NEXT) | instid1(VALU_DEP_1)
	v_and_b32_e32 v63, s48, v63
	v_lshlrev_b32_e32 v63, 2, v63
	ds_load_b32 v63, v63
	s_wait_dscnt 0x0
	v_add_nc_u32_e32 v63, v63, v81
	global_store_b32 v63, v62, s[40:41] scale_offset
	s_wait_xcnt 0x0
	s_or_b32 exec_lo, exec_lo, s28
	v_cmp_lt_u32_e64 s28, v82, v137
	s_and_saveexec_b32 s29, s28
	s_cbranch_execz .LBB597_481
.LBB597_549:                            ;   in Loop: Header=BB597_388 Depth=2
	ds_load_b32 v62, v93 offset:15360
	s_wait_dscnt 0x0
	v_lshrrev_b32_e32 v63, s43, v62
	v_xor_b32_e32 v62, 0x80000000, v62
	s_delay_alu instid0(VALU_DEP_2) | instskip(NEXT) | instid1(VALU_DEP_1)
	v_and_b32_e32 v63, s48, v63
	v_lshlrev_b32_e32 v63, 2, v63
	ds_load_b32 v63, v63
	s_wait_dscnt 0x0
	v_add_nc_u32_e32 v63, v63, v82
	global_store_b32 v63, v62, s[40:41] scale_offset
	s_wait_xcnt 0x0
	s_or_b32 exec_lo, exec_lo, s29
	v_cmp_lt_u32_e64 s29, v83, v137
	s_and_saveexec_b32 s57, s29
	s_cbranch_execnz .LBB597_482
	s_branch .LBB597_483
.LBB597_550:                            ;   in Loop: Header=BB597_388 Depth=2
	global_load_b64 v[60:61], v[62:63], off
	s_wait_xcnt 0x0
	s_or_b32 exec_lo, exec_lo, s30
	s_delay_alu instid0(SALU_CYCLE_1)
	s_mov_b32 s57, exec_lo
	v_cmpx_lt_u32_e64 v102, v137
	s_cbranch_execz .LBB597_485
.LBB597_551:                            ;   in Loop: Header=BB597_388 Depth=2
	global_load_b64 v[58:59], v[62:63], off offset:256
	s_wait_xcnt 0x0
	s_or_b32 exec_lo, exec_lo, s57
	s_delay_alu instid0(SALU_CYCLE_1)
	s_mov_b32 s57, exec_lo
	v_cmpx_lt_u32_e64 v103, v137
	s_cbranch_execz .LBB597_486
.LBB597_552:                            ;   in Loop: Header=BB597_388 Depth=2
	global_load_b64 v[56:57], v[62:63], off offset:512
	s_wait_xcnt 0x0
	s_or_b32 exec_lo, exec_lo, s57
	s_delay_alu instid0(SALU_CYCLE_1)
	s_mov_b32 s57, exec_lo
	v_cmpx_lt_u32_e64 v104, v137
	s_cbranch_execz .LBB597_487
.LBB597_553:                            ;   in Loop: Header=BB597_388 Depth=2
	global_load_b64 v[54:55], v[62:63], off offset:768
	s_wait_xcnt 0x0
	s_or_b32 exec_lo, exec_lo, s57
	s_delay_alu instid0(SALU_CYCLE_1)
	s_mov_b32 s57, exec_lo
	v_cmpx_lt_u32_e64 v105, v137
	s_cbranch_execz .LBB597_488
.LBB597_554:                            ;   in Loop: Header=BB597_388 Depth=2
	global_load_b64 v[52:53], v[62:63], off offset:1024
	s_wait_xcnt 0x0
	s_or_b32 exec_lo, exec_lo, s57
	s_delay_alu instid0(SALU_CYCLE_1)
	s_mov_b32 s57, exec_lo
	v_cmpx_lt_u32_e64 v106, v137
	s_cbranch_execz .LBB597_489
.LBB597_555:                            ;   in Loop: Header=BB597_388 Depth=2
	global_load_b64 v[50:51], v[62:63], off offset:1280
	s_wait_xcnt 0x0
	s_or_b32 exec_lo, exec_lo, s57
	s_delay_alu instid0(SALU_CYCLE_1)
	s_mov_b32 s57, exec_lo
	v_cmpx_lt_u32_e64 v107, v137
	s_cbranch_execz .LBB597_490
.LBB597_556:                            ;   in Loop: Header=BB597_388 Depth=2
	global_load_b64 v[48:49], v[62:63], off offset:1536
	s_wait_xcnt 0x0
	s_or_b32 exec_lo, exec_lo, s57
	s_delay_alu instid0(SALU_CYCLE_1)
	s_mov_b32 s57, exec_lo
	v_cmpx_lt_u32_e64 v108, v137
	s_cbranch_execz .LBB597_491
.LBB597_557:                            ;   in Loop: Header=BB597_388 Depth=2
	global_load_b64 v[46:47], v[62:63], off offset:1792
	s_wait_xcnt 0x0
	s_or_b32 exec_lo, exec_lo, s57
	s_delay_alu instid0(SALU_CYCLE_1)
	s_mov_b32 s57, exec_lo
	v_cmpx_lt_u32_e64 v109, v137
	s_cbranch_execz .LBB597_492
.LBB597_558:                            ;   in Loop: Header=BB597_388 Depth=2
	global_load_b64 v[44:45], v[62:63], off offset:2048
	s_wait_xcnt 0x0
	s_or_b32 exec_lo, exec_lo, s57
	s_delay_alu instid0(SALU_CYCLE_1)
	s_mov_b32 s57, exec_lo
	v_cmpx_lt_u32_e64 v110, v137
	s_cbranch_execz .LBB597_493
.LBB597_559:                            ;   in Loop: Header=BB597_388 Depth=2
	global_load_b64 v[42:43], v[62:63], off offset:2304
	s_wait_xcnt 0x0
	s_or_b32 exec_lo, exec_lo, s57
	s_delay_alu instid0(SALU_CYCLE_1)
	s_mov_b32 s57, exec_lo
	v_cmpx_lt_u32_e64 v111, v137
	s_cbranch_execz .LBB597_494
.LBB597_560:                            ;   in Loop: Header=BB597_388 Depth=2
	global_load_b64 v[40:41], v[62:63], off offset:2560
	s_wait_xcnt 0x0
	s_or_b32 exec_lo, exec_lo, s57
	s_delay_alu instid0(SALU_CYCLE_1)
	s_mov_b32 s57, exec_lo
	v_cmpx_lt_u32_e64 v112, v137
	s_cbranch_execz .LBB597_495
.LBB597_561:                            ;   in Loop: Header=BB597_388 Depth=2
	global_load_b64 v[38:39], v[62:63], off offset:2816
	s_wait_xcnt 0x0
	s_or_b32 exec_lo, exec_lo, s57
	s_delay_alu instid0(SALU_CYCLE_1)
	s_mov_b32 s57, exec_lo
	v_cmpx_lt_u32_e64 v113, v137
	s_cbranch_execz .LBB597_496
.LBB597_562:                            ;   in Loop: Header=BB597_388 Depth=2
	global_load_b64 v[36:37], v[62:63], off offset:3072
	s_wait_xcnt 0x0
	s_or_b32 exec_lo, exec_lo, s57
	s_delay_alu instid0(SALU_CYCLE_1)
	s_mov_b32 s57, exec_lo
	v_cmpx_lt_u32_e64 v114, v137
	s_cbranch_execz .LBB597_497
.LBB597_563:                            ;   in Loop: Header=BB597_388 Depth=2
	global_load_b64 v[34:35], v[62:63], off offset:3328
	s_wait_xcnt 0x0
	s_or_b32 exec_lo, exec_lo, s57
	s_delay_alu instid0(SALU_CYCLE_1)
	s_mov_b32 s57, exec_lo
	v_cmpx_lt_u32_e64 v115, v137
	s_cbranch_execz .LBB597_498
.LBB597_564:                            ;   in Loop: Header=BB597_388 Depth=2
	global_load_b64 v[32:33], v[62:63], off offset:3584
	s_wait_xcnt 0x0
	s_or_b32 exec_lo, exec_lo, s57
	s_delay_alu instid0(SALU_CYCLE_1)
	s_mov_b32 s57, exec_lo
	v_cmpx_lt_u32_e64 v116, v137
	s_cbranch_execz .LBB597_499
.LBB597_565:                            ;   in Loop: Header=BB597_388 Depth=2
	global_load_b64 v[30:31], v[62:63], off offset:3840
	s_wait_xcnt 0x0
	s_or_b32 exec_lo, exec_lo, s57
	s_and_saveexec_b32 s30, vcc_lo
	s_cbranch_execz .LBB597_500
.LBB597_566:                            ;   in Loop: Header=BB597_388 Depth=2
	ds_load_b32 v62, v93 offset:1024
	s_wait_dscnt 0x0
	v_lshrrev_b32_e32 v62, s43, v62
	s_delay_alu instid0(VALU_DEP_1)
	v_and_b32_e32 v136, s48, v62
	s_or_b32 exec_lo, exec_lo, s30
	s_and_saveexec_b32 s30, s15
	s_cbranch_execz .LBB597_501
.LBB597_567:                            ;   in Loop: Header=BB597_388 Depth=2
	ds_load_b32 v62, v93 offset:2048
	s_wait_dscnt 0x0
	v_lshrrev_b32_e32 v62, s43, v62
	s_delay_alu instid0(VALU_DEP_1)
	v_and_b32_e32 v135, s48, v62
	s_or_b32 exec_lo, exec_lo, s30
	s_and_saveexec_b32 s30, s16
	s_cbranch_execz .LBB597_502
.LBB597_568:                            ;   in Loop: Header=BB597_388 Depth=2
	ds_load_b32 v62, v93 offset:3072
	s_wait_dscnt 0x0
	v_lshrrev_b32_e32 v62, s43, v62
	s_delay_alu instid0(VALU_DEP_1)
	v_and_b32_e32 v134, s48, v62
	s_or_b32 exec_lo, exec_lo, s30
	s_and_saveexec_b32 s30, s17
	s_cbranch_execz .LBB597_503
.LBB597_569:                            ;   in Loop: Header=BB597_388 Depth=2
	ds_load_b32 v62, v93 offset:4096
	s_wait_dscnt 0x0
	v_lshrrev_b32_e32 v62, s43, v62
	s_delay_alu instid0(VALU_DEP_1)
	v_and_b32_e32 v133, s48, v62
	s_or_b32 exec_lo, exec_lo, s30
	s_and_saveexec_b32 s30, s18
	s_cbranch_execz .LBB597_504
.LBB597_570:                            ;   in Loop: Header=BB597_388 Depth=2
	ds_load_b32 v62, v93 offset:5120
	s_wait_dscnt 0x0
	v_lshrrev_b32_e32 v62, s43, v62
	s_delay_alu instid0(VALU_DEP_1)
	v_and_b32_e32 v132, s48, v62
	s_or_b32 exec_lo, exec_lo, s30
	s_and_saveexec_b32 s30, s19
	s_cbranch_execz .LBB597_505
.LBB597_571:                            ;   in Loop: Header=BB597_388 Depth=2
	ds_load_b32 v62, v93 offset:6144
	s_wait_dscnt 0x0
	v_lshrrev_b32_e32 v62, s43, v62
	s_delay_alu instid0(VALU_DEP_1)
	v_and_b32_e32 v131, s48, v62
	s_or_b32 exec_lo, exec_lo, s30
	s_and_saveexec_b32 s30, s20
	s_cbranch_execz .LBB597_506
.LBB597_572:                            ;   in Loop: Header=BB597_388 Depth=2
	ds_load_b32 v62, v93 offset:7168
	s_wait_dscnt 0x0
	v_lshrrev_b32_e32 v62, s43, v62
	s_delay_alu instid0(VALU_DEP_1)
	v_and_b32_e32 v130, s48, v62
	s_or_b32 exec_lo, exec_lo, s30
	s_and_saveexec_b32 s30, s21
	s_cbranch_execz .LBB597_507
.LBB597_573:                            ;   in Loop: Header=BB597_388 Depth=2
	ds_load_b32 v62, v93 offset:8192
	s_wait_dscnt 0x0
	v_lshrrev_b32_e32 v62, s43, v62
	s_delay_alu instid0(VALU_DEP_1)
	v_and_b32_e32 v129, s48, v62
	s_or_b32 exec_lo, exec_lo, s30
	s_and_saveexec_b32 s30, s22
	s_cbranch_execz .LBB597_508
.LBB597_574:                            ;   in Loop: Header=BB597_388 Depth=2
	ds_load_b32 v62, v93 offset:9216
	s_wait_dscnt 0x0
	v_lshrrev_b32_e32 v62, s43, v62
	s_delay_alu instid0(VALU_DEP_1)
	v_and_b32_e32 v128, s48, v62
	s_or_b32 exec_lo, exec_lo, s30
	s_and_saveexec_b32 s30, s23
	s_cbranch_execz .LBB597_509
.LBB597_575:                            ;   in Loop: Header=BB597_388 Depth=2
	ds_load_b32 v62, v93 offset:10240
	s_wait_dscnt 0x0
	v_lshrrev_b32_e32 v62, s43, v62
	s_delay_alu instid0(VALU_DEP_1)
	v_and_b32_e32 v127, s48, v62
	s_or_b32 exec_lo, exec_lo, s30
	s_and_saveexec_b32 s30, s24
	s_cbranch_execz .LBB597_510
.LBB597_576:                            ;   in Loop: Header=BB597_388 Depth=2
	ds_load_b32 v62, v93 offset:11264
	s_wait_dscnt 0x0
	v_lshrrev_b32_e32 v62, s43, v62
	s_delay_alu instid0(VALU_DEP_1)
	v_and_b32_e32 v126, s48, v62
	s_or_b32 exec_lo, exec_lo, s30
	s_and_saveexec_b32 s30, s25
	s_cbranch_execz .LBB597_511
.LBB597_577:                            ;   in Loop: Header=BB597_388 Depth=2
	ds_load_b32 v62, v93 offset:12288
	s_wait_dscnt 0x0
	v_lshrrev_b32_e32 v62, s43, v62
	s_delay_alu instid0(VALU_DEP_1)
	v_and_b32_e32 v125, s48, v62
	s_or_b32 exec_lo, exec_lo, s30
	s_and_saveexec_b32 s30, s26
	s_cbranch_execz .LBB597_512
.LBB597_578:                            ;   in Loop: Header=BB597_388 Depth=2
	ds_load_b32 v62, v93 offset:13312
	s_wait_dscnt 0x0
	v_lshrrev_b32_e32 v62, s43, v62
	s_delay_alu instid0(VALU_DEP_1)
	v_and_b32_e32 v124, s48, v62
	s_or_b32 exec_lo, exec_lo, s30
	s_and_saveexec_b32 s30, s27
	s_cbranch_execz .LBB597_513
.LBB597_579:                            ;   in Loop: Header=BB597_388 Depth=2
	ds_load_b32 v62, v93 offset:14336
	s_wait_dscnt 0x0
	v_lshrrev_b32_e32 v62, s43, v62
	s_delay_alu instid0(VALU_DEP_1)
	v_and_b32_e32 v123, s48, v62
	s_or_b32 exec_lo, exec_lo, s30
	s_and_saveexec_b32 s30, s28
	s_cbranch_execz .LBB597_514
.LBB597_580:                            ;   in Loop: Header=BB597_388 Depth=2
	ds_load_b32 v62, v93 offset:15360
	s_wait_dscnt 0x0
	v_lshrrev_b32_e32 v62, s43, v62
	s_delay_alu instid0(VALU_DEP_1)
	v_and_b32_e32 v122, s48, v62
	s_or_b32 exec_lo, exec_lo, s30
	s_and_saveexec_b32 s30, s29
	s_cbranch_execnz .LBB597_515
	s_branch .LBB597_516
.LBB597_581:                            ;   in Loop: Header=BB597_388 Depth=2
	v_lshlrev_b32_e32 v62, 2, v136
	v_add_nc_u32_e32 v63, v93, v4
	ds_load_b32 v65, v62
	ds_load_b64 v[62:63], v63 offset:1024
	s_wait_dscnt 0x1
	v_add_nc_u32_e32 v65, v65, v2
	s_wait_dscnt 0x0
	global_store_b64 v65, v[62:63], s[46:47] scale_offset
	s_wait_xcnt 0x0
	s_or_b32 exec_lo, exec_lo, s30
	s_and_saveexec_b32 s30, s15
	s_cbranch_execz .LBB597_518
.LBB597_582:                            ;   in Loop: Header=BB597_388 Depth=2
	v_dual_lshlrev_b32 v62, 2, v135 :: v_dual_add_nc_u32 v63, v93, v4
	ds_load_b32 v65, v62
	ds_load_b64 v[62:63], v63 offset:3072
	s_wait_dscnt 0x1
	v_add_nc_u32_e32 v65, v65, v3
	s_wait_dscnt 0x0
	global_store_b64 v65, v[62:63], s[46:47] scale_offset
	s_wait_xcnt 0x0
	s_or_b32 exec_lo, exec_lo, s30
	s_and_saveexec_b32 s15, s16
	s_cbranch_execz .LBB597_519
.LBB597_583:                            ;   in Loop: Header=BB597_388 Depth=2
	v_dual_lshlrev_b32 v62, 2, v134 :: v_dual_add_nc_u32 v63, v93, v4
	ds_load_b32 v65, v62
	ds_load_b64 v[62:63], v63 offset:5120
	s_wait_dscnt 0x1
	v_add_nc_u32_e32 v65, v65, v70
	s_wait_dscnt 0x0
	global_store_b64 v65, v[62:63], s[46:47] scale_offset
	s_wait_xcnt 0x0
	s_or_b32 exec_lo, exec_lo, s15
	s_and_saveexec_b32 s15, s17
	s_cbranch_execz .LBB597_520
.LBB597_584:                            ;   in Loop: Header=BB597_388 Depth=2
	v_dual_lshlrev_b32 v62, 2, v133 :: v_dual_add_nc_u32 v63, v93, v4
	ds_load_b32 v65, v62
	ds_load_b64 v[62:63], v63 offset:7168
	s_wait_dscnt 0x1
	v_add_nc_u32_e32 v65, v65, v71
	s_wait_dscnt 0x0
	global_store_b64 v65, v[62:63], s[46:47] scale_offset
	s_wait_xcnt 0x0
	s_or_b32 exec_lo, exec_lo, s15
	s_and_saveexec_b32 s15, s18
	s_cbranch_execz .LBB597_521
.LBB597_585:                            ;   in Loop: Header=BB597_388 Depth=2
	v_lshlrev_b32_e32 v62, 2, v132
	v_add_nc_u32_e32 v63, v93, v4
	ds_load_b32 v65, v62
	ds_load_b64 v[62:63], v63 offset:9216
	s_wait_dscnt 0x1
	v_add_nc_u32_e32 v65, v65, v72
	s_wait_dscnt 0x0
	global_store_b64 v65, v[62:63], s[46:47] scale_offset
	s_wait_xcnt 0x0
	s_or_b32 exec_lo, exec_lo, s15
	s_and_saveexec_b32 s15, s19
	s_cbranch_execz .LBB597_522
.LBB597_586:                            ;   in Loop: Header=BB597_388 Depth=2
	v_dual_lshlrev_b32 v62, 2, v131 :: v_dual_add_nc_u32 v63, v93, v4
	ds_load_b32 v65, v62
	ds_load_b64 v[62:63], v63 offset:11264
	s_wait_dscnt 0x1
	v_add_nc_u32_e32 v65, v65, v73
	s_wait_dscnt 0x0
	global_store_b64 v65, v[62:63], s[46:47] scale_offset
	s_wait_xcnt 0x0
	s_or_b32 exec_lo, exec_lo, s15
	s_and_saveexec_b32 s15, s20
	s_cbranch_execz .LBB597_523
.LBB597_587:                            ;   in Loop: Header=BB597_388 Depth=2
	v_dual_lshlrev_b32 v62, 2, v130 :: v_dual_add_nc_u32 v63, v93, v4
	ds_load_b32 v65, v62
	ds_load_b64 v[62:63], v63 offset:13312
	s_wait_dscnt 0x1
	v_add_nc_u32_e32 v65, v65, v74
	s_wait_dscnt 0x0
	global_store_b64 v65, v[62:63], s[46:47] scale_offset
	s_wait_xcnt 0x0
	s_or_b32 exec_lo, exec_lo, s15
	s_and_saveexec_b32 s15, s21
	s_cbranch_execz .LBB597_524
.LBB597_588:                            ;   in Loop: Header=BB597_388 Depth=2
	v_dual_lshlrev_b32 v62, 2, v129 :: v_dual_add_nc_u32 v63, v93, v4
	ds_load_b32 v65, v62
	ds_load_b64 v[62:63], v63 offset:15360
	s_wait_dscnt 0x1
	v_add_nc_u32_e32 v65, v65, v75
	s_wait_dscnt 0x0
	global_store_b64 v65, v[62:63], s[46:47] scale_offset
	s_wait_xcnt 0x0
	s_or_b32 exec_lo, exec_lo, s15
	s_and_saveexec_b32 s15, s22
	s_cbranch_execz .LBB597_525
.LBB597_589:                            ;   in Loop: Header=BB597_388 Depth=2
	v_lshlrev_b32_e32 v62, 2, v128
	v_add_nc_u32_e32 v63, v93, v4
	ds_load_b32 v65, v62
	ds_load_b64 v[62:63], v63 offset:17408
	s_wait_dscnt 0x1
	v_add_nc_u32_e32 v65, v65, v76
	s_wait_dscnt 0x0
	global_store_b64 v65, v[62:63], s[46:47] scale_offset
	s_wait_xcnt 0x0
	s_or_b32 exec_lo, exec_lo, s15
	s_and_saveexec_b32 s15, s23
	s_cbranch_execz .LBB597_526
.LBB597_590:                            ;   in Loop: Header=BB597_388 Depth=2
	v_dual_lshlrev_b32 v62, 2, v127 :: v_dual_add_nc_u32 v63, v93, v4
	ds_load_b32 v65, v62
	ds_load_b64 v[62:63], v63 offset:19456
	s_wait_dscnt 0x1
	v_add_nc_u32_e32 v65, v65, v77
	s_wait_dscnt 0x0
	global_store_b64 v65, v[62:63], s[46:47] scale_offset
	s_wait_xcnt 0x0
	s_or_b32 exec_lo, exec_lo, s15
	s_and_saveexec_b32 s15, s24
	s_cbranch_execz .LBB597_527
.LBB597_591:                            ;   in Loop: Header=BB597_388 Depth=2
	v_dual_lshlrev_b32 v62, 2, v126 :: v_dual_add_nc_u32 v63, v93, v4
	ds_load_b32 v65, v62
	ds_load_b64 v[62:63], v63 offset:21504
	s_wait_dscnt 0x1
	v_add_nc_u32_e32 v65, v65, v78
	s_wait_dscnt 0x0
	global_store_b64 v65, v[62:63], s[46:47] scale_offset
	s_wait_xcnt 0x0
	s_or_b32 exec_lo, exec_lo, s15
	s_and_saveexec_b32 s15, s25
	s_cbranch_execz .LBB597_528
.LBB597_592:                            ;   in Loop: Header=BB597_388 Depth=2
	v_dual_lshlrev_b32 v62, 2, v125 :: v_dual_add_nc_u32 v63, v93, v4
	ds_load_b32 v65, v62
	ds_load_b64 v[62:63], v63 offset:23552
	s_wait_dscnt 0x1
	v_add_nc_u32_e32 v65, v65, v79
	s_wait_dscnt 0x0
	global_store_b64 v65, v[62:63], s[46:47] scale_offset
	s_wait_xcnt 0x0
	s_or_b32 exec_lo, exec_lo, s15
	s_and_saveexec_b32 s15, s26
	s_cbranch_execz .LBB597_529
.LBB597_593:                            ;   in Loop: Header=BB597_388 Depth=2
	v_lshlrev_b32_e32 v62, 2, v124
	v_add_nc_u32_e32 v63, v93, v4
	ds_load_b32 v65, v62
	ds_load_b64 v[62:63], v63 offset:25600
	s_wait_dscnt 0x1
	v_add_nc_u32_e32 v65, v65, v80
	s_wait_dscnt 0x0
	global_store_b64 v65, v[62:63], s[46:47] scale_offset
	s_wait_xcnt 0x0
	s_or_b32 exec_lo, exec_lo, s15
	s_and_saveexec_b32 s15, s27
	s_cbranch_execz .LBB597_530
.LBB597_594:                            ;   in Loop: Header=BB597_388 Depth=2
	v_dual_lshlrev_b32 v62, 2, v123 :: v_dual_add_nc_u32 v63, v93, v4
	ds_load_b32 v65, v62
	ds_load_b64 v[62:63], v63 offset:27648
	s_wait_dscnt 0x1
	v_add_nc_u32_e32 v65, v65, v81
	s_wait_dscnt 0x0
	global_store_b64 v65, v[62:63], s[46:47] scale_offset
	s_wait_xcnt 0x0
	s_or_b32 exec_lo, exec_lo, s15
	s_and_saveexec_b32 s15, s28
	s_cbranch_execz .LBB597_531
.LBB597_595:                            ;   in Loop: Header=BB597_388 Depth=2
	v_dual_lshlrev_b32 v62, 2, v122 :: v_dual_add_nc_u32 v63, v93, v4
	ds_load_b32 v65, v62
	ds_load_b64 v[62:63], v63 offset:29696
	s_wait_dscnt 0x1
	v_add_nc_u32_e32 v65, v65, v82
	s_wait_dscnt 0x0
	global_store_b64 v65, v[62:63], s[46:47] scale_offset
	s_wait_xcnt 0x0
	s_or_b32 exec_lo, exec_lo, s15
	s_and_saveexec_b32 s15, s29
	s_cbranch_execnz .LBB597_532
	s_branch .LBB597_533
.LBB597_596:                            ;   in Loop: Header=BB597_12 Depth=1
	s_wait_dscnt 0x0
	s_barrier_signal -1
	s_barrier_wait -1
.LBB597_597:                            ;   in Loop: Header=BB597_12 Depth=1
	s_mov_b32 s7, 0
.LBB597_598:                            ;   in Loop: Header=BB597_12 Depth=1
	s_delay_alu instid0(SALU_CYCLE_1)
	s_and_not1_b32 vcc_lo, exec_lo, s7
	s_cbranch_vccnz .LBB597_11
; %bb.599:                              ;   in Loop: Header=BB597_12 Depth=1
	s_and_b32 vcc_lo, exec_lo, s53
	s_mov_b32 s7, -1
	s_cbranch_vccz .LBB597_891
; %bb.600:                              ;   in Loop: Header=BB597_12 Depth=1
	s_mov_b32 s7, s54
	s_mov_b32 s30, s52
	s_barrier_signal -1
	s_barrier_wait -1
                                        ; implicit-def: $vgpr25
                                        ; implicit-def: $vgpr26
                                        ; implicit-def: $vgpr27
                                        ; implicit-def: $vgpr28
                                        ; implicit-def: $vgpr29
                                        ; implicit-def: $vgpr30
                                        ; implicit-def: $vgpr31
                                        ; implicit-def: $vgpr32
                                        ; implicit-def: $vgpr33
                                        ; implicit-def: $vgpr34
                                        ; implicit-def: $vgpr35
                                        ; implicit-def: $vgpr36
                                        ; implicit-def: $vgpr37
                                        ; implicit-def: $vgpr38
                                        ; implicit-def: $vgpr39
                                        ; implicit-def: $vgpr40
	s_branch .LBB597_602
.LBB597_601:                            ;   in Loop: Header=BB597_602 Depth=2
	s_or_b32 exec_lo, exec_lo, s8
	s_addk_co_i32 s7, 0xf000
	s_cmp_ge_u32 s10, s51
	s_mov_b32 s30, s10
	s_cbranch_scc1 .LBB597_670
.LBB597_602:                            ;   Parent Loop BB597_12 Depth=1
                                        ; =>  This Inner Loop Header: Depth=2
	s_add_co_i32 s10, s30, 0x1000
	s_mov_b32 s8, -1
	s_cmp_gt_u32 s10, s51
                                        ; implicit-def: $vgpr41
                                        ; implicit-def: $vgpr42
                                        ; implicit-def: $vgpr43
                                        ; implicit-def: $vgpr44
                                        ; implicit-def: $vgpr45
                                        ; implicit-def: $vgpr46
                                        ; implicit-def: $vgpr47
                                        ; implicit-def: $vgpr48
                                        ; implicit-def: $vgpr49
                                        ; implicit-def: $vgpr50
                                        ; implicit-def: $vgpr51
                                        ; implicit-def: $vgpr52
                                        ; implicit-def: $vgpr53
                                        ; implicit-def: $vgpr54
                                        ; implicit-def: $vgpr55
                                        ; implicit-def: $vgpr56
	s_cbranch_scc1 .LBB597_604
; %bb.603:                              ;   in Loop: Header=BB597_602 Depth=2
	v_lshl_add_u64 v[56:57], s[30:31], 2, v[22:23]
	s_mov_b32 s8, 0
	s_clause 0xf
	global_load_b32 v41, v[56:57], off
	global_load_b32 v42, v[56:57], off offset:1024
	global_load_b32 v43, v[56:57], off offset:2048
	;; [unrolled: 1-line block ×15, first 2 shown]
.LBB597_604:                            ;   in Loop: Header=BB597_602 Depth=2
	s_and_not1_b32 vcc_lo, exec_lo, s8
	s_movk_i32 s8, 0x1000
	s_cbranch_vccnz .LBB597_623
; %bb.605:                              ;   in Loop: Header=BB597_602 Depth=2
	s_lshl_b64 s[8:9], s[30:31], 2
	s_mov_b32 s11, exec_lo
	s_add_nc_u64 s[8:9], s[36:37], s[8:9]
	s_wait_xcnt 0x0
	v_cmpx_gt_u32_e64 s7, v2
	s_cbranch_execnz .LBB597_655
; %bb.606:                              ;   in Loop: Header=BB597_602 Depth=2
	s_or_b32 exec_lo, exec_lo, s11
	s_delay_alu instid0(SALU_CYCLE_1)
	s_mov_b32 s11, exec_lo
	v_cmpx_gt_u32_e64 s7, v3
	s_cbranch_execnz .LBB597_656
.LBB597_607:                            ;   in Loop: Header=BB597_602 Depth=2
	s_or_b32 exec_lo, exec_lo, s11
	s_delay_alu instid0(SALU_CYCLE_1)
	s_mov_b32 s11, exec_lo
	v_cmpx_gt_u32_e64 s7, v70
	s_cbranch_execnz .LBB597_657
.LBB597_608:                            ;   in Loop: Header=BB597_602 Depth=2
	s_or_b32 exec_lo, exec_lo, s11
	s_delay_alu instid0(SALU_CYCLE_1)
	s_mov_b32 s11, exec_lo
	v_cmpx_gt_u32_e64 s7, v71
	s_cbranch_execnz .LBB597_658
.LBB597_609:                            ;   in Loop: Header=BB597_602 Depth=2
	s_or_b32 exec_lo, exec_lo, s11
	s_delay_alu instid0(SALU_CYCLE_1)
	s_mov_b32 s11, exec_lo
	v_cmpx_gt_u32_e64 s7, v72
	s_cbranch_execnz .LBB597_659
.LBB597_610:                            ;   in Loop: Header=BB597_602 Depth=2
	s_or_b32 exec_lo, exec_lo, s11
	s_delay_alu instid0(SALU_CYCLE_1)
	s_mov_b32 s11, exec_lo
	v_cmpx_gt_u32_e64 s7, v73
	s_cbranch_execnz .LBB597_660
.LBB597_611:                            ;   in Loop: Header=BB597_602 Depth=2
	s_or_b32 exec_lo, exec_lo, s11
	s_delay_alu instid0(SALU_CYCLE_1)
	s_mov_b32 s11, exec_lo
	v_cmpx_gt_u32_e64 s7, v74
	s_cbranch_execnz .LBB597_661
.LBB597_612:                            ;   in Loop: Header=BB597_602 Depth=2
	s_or_b32 exec_lo, exec_lo, s11
	s_delay_alu instid0(SALU_CYCLE_1)
	s_mov_b32 s11, exec_lo
	v_cmpx_gt_u32_e64 s7, v75
	s_cbranch_execnz .LBB597_662
.LBB597_613:                            ;   in Loop: Header=BB597_602 Depth=2
	s_or_b32 exec_lo, exec_lo, s11
	s_delay_alu instid0(SALU_CYCLE_1)
	s_mov_b32 s11, exec_lo
	v_cmpx_gt_u32_e64 s7, v76
	s_cbranch_execnz .LBB597_663
.LBB597_614:                            ;   in Loop: Header=BB597_602 Depth=2
	s_or_b32 exec_lo, exec_lo, s11
	s_delay_alu instid0(SALU_CYCLE_1)
	s_mov_b32 s11, exec_lo
	v_cmpx_gt_u32_e64 s7, v77
	s_cbranch_execnz .LBB597_664
.LBB597_615:                            ;   in Loop: Header=BB597_602 Depth=2
	s_or_b32 exec_lo, exec_lo, s11
	s_delay_alu instid0(SALU_CYCLE_1)
	s_mov_b32 s11, exec_lo
	v_cmpx_gt_u32_e64 s7, v78
	s_cbranch_execnz .LBB597_665
.LBB597_616:                            ;   in Loop: Header=BB597_602 Depth=2
	s_or_b32 exec_lo, exec_lo, s11
	s_delay_alu instid0(SALU_CYCLE_1)
	s_mov_b32 s11, exec_lo
	v_cmpx_gt_u32_e64 s7, v79
	s_cbranch_execnz .LBB597_666
.LBB597_617:                            ;   in Loop: Header=BB597_602 Depth=2
	s_or_b32 exec_lo, exec_lo, s11
	s_delay_alu instid0(SALU_CYCLE_1)
	s_mov_b32 s11, exec_lo
	v_cmpx_gt_u32_e64 s7, v80
	s_cbranch_execnz .LBB597_667
.LBB597_618:                            ;   in Loop: Header=BB597_602 Depth=2
	s_or_b32 exec_lo, exec_lo, s11
	s_delay_alu instid0(SALU_CYCLE_1)
	s_mov_b32 s11, exec_lo
	v_cmpx_gt_u32_e64 s7, v81
	s_cbranch_execnz .LBB597_668
.LBB597_619:                            ;   in Loop: Header=BB597_602 Depth=2
	s_or_b32 exec_lo, exec_lo, s11
	s_delay_alu instid0(SALU_CYCLE_1)
	s_mov_b32 s11, exec_lo
	v_cmpx_gt_u32_e64 s7, v82
	s_cbranch_execnz .LBB597_669
.LBB597_620:                            ;   in Loop: Header=BB597_602 Depth=2
	s_or_b32 exec_lo, exec_lo, s11
	s_delay_alu instid0(SALU_CYCLE_1)
	s_mov_b32 s11, exec_lo
	v_cmpx_gt_u32_e64 s7, v83
	s_cbranch_execz .LBB597_622
.LBB597_621:                            ;   in Loop: Header=BB597_602 Depth=2
	global_load_b32 v25, v2, s[8:9] offset:15360 scale_offset
.LBB597_622:                            ;   in Loop: Header=BB597_602 Depth=2
	s_wait_xcnt 0x0
	s_or_b32 exec_lo, exec_lo, s11
	s_wait_loadcnt 0x0
	v_dual_mov_b32 v41, v40 :: v_dual_mov_b32 v42, v39
	v_dual_mov_b32 v43, v38 :: v_dual_mov_b32 v44, v37
	;; [unrolled: 1-line block ×8, first 2 shown]
	s_mov_b32 s8, s7
.LBB597_623:                            ;   in Loop: Header=BB597_602 Depth=2
	s_wait_loadcnt 0x0
	s_delay_alu instid0(VALU_DEP_1)
	v_dual_mov_b32 v25, v56 :: v_dual_mov_b32 v26, v55
	v_dual_mov_b32 v27, v54 :: v_dual_mov_b32 v28, v53
	;; [unrolled: 1-line block ×8, first 2 shown]
	s_mov_b32 s9, exec_lo
	s_wait_xcnt 0x0
	v_cmpx_gt_u32_e64 s8, v2
	s_cbranch_execnz .LBB597_639
; %bb.624:                              ;   in Loop: Header=BB597_602 Depth=2
	s_or_b32 exec_lo, exec_lo, s9
	s_delay_alu instid0(SALU_CYCLE_1)
	s_mov_b32 s9, exec_lo
	v_cmpx_gt_u32_e64 s8, v3
	s_cbranch_execnz .LBB597_640
.LBB597_625:                            ;   in Loop: Header=BB597_602 Depth=2
	s_or_b32 exec_lo, exec_lo, s9
	s_delay_alu instid0(SALU_CYCLE_1)
	s_mov_b32 s9, exec_lo
	v_cmpx_gt_u32_e64 s8, v70
	s_cbranch_execnz .LBB597_641
.LBB597_626:                            ;   in Loop: Header=BB597_602 Depth=2
	s_or_b32 exec_lo, exec_lo, s9
	s_delay_alu instid0(SALU_CYCLE_1)
	s_mov_b32 s9, exec_lo
	v_cmpx_gt_u32_e64 s8, v71
	s_cbranch_execnz .LBB597_642
.LBB597_627:                            ;   in Loop: Header=BB597_602 Depth=2
	s_or_b32 exec_lo, exec_lo, s9
	s_delay_alu instid0(SALU_CYCLE_1)
	s_mov_b32 s9, exec_lo
	v_cmpx_gt_u32_e64 s8, v72
	s_cbranch_execnz .LBB597_643
.LBB597_628:                            ;   in Loop: Header=BB597_602 Depth=2
	s_or_b32 exec_lo, exec_lo, s9
	s_delay_alu instid0(SALU_CYCLE_1)
	s_mov_b32 s9, exec_lo
	v_cmpx_gt_u32_e64 s8, v73
	s_cbranch_execnz .LBB597_644
.LBB597_629:                            ;   in Loop: Header=BB597_602 Depth=2
	s_or_b32 exec_lo, exec_lo, s9
	s_delay_alu instid0(SALU_CYCLE_1)
	s_mov_b32 s9, exec_lo
	v_cmpx_gt_u32_e64 s8, v74
	s_cbranch_execnz .LBB597_645
.LBB597_630:                            ;   in Loop: Header=BB597_602 Depth=2
	s_or_b32 exec_lo, exec_lo, s9
	s_delay_alu instid0(SALU_CYCLE_1)
	s_mov_b32 s9, exec_lo
	v_cmpx_gt_u32_e64 s8, v75
	s_cbranch_execnz .LBB597_646
.LBB597_631:                            ;   in Loop: Header=BB597_602 Depth=2
	s_or_b32 exec_lo, exec_lo, s9
	s_delay_alu instid0(SALU_CYCLE_1)
	s_mov_b32 s9, exec_lo
	v_cmpx_gt_u32_e64 s8, v76
	s_cbranch_execnz .LBB597_647
.LBB597_632:                            ;   in Loop: Header=BB597_602 Depth=2
	s_or_b32 exec_lo, exec_lo, s9
	s_delay_alu instid0(SALU_CYCLE_1)
	s_mov_b32 s9, exec_lo
	v_cmpx_gt_u32_e64 s8, v77
	s_cbranch_execnz .LBB597_648
.LBB597_633:                            ;   in Loop: Header=BB597_602 Depth=2
	s_or_b32 exec_lo, exec_lo, s9
	s_delay_alu instid0(SALU_CYCLE_1)
	s_mov_b32 s9, exec_lo
	v_cmpx_gt_u32_e64 s8, v78
	s_cbranch_execnz .LBB597_649
.LBB597_634:                            ;   in Loop: Header=BB597_602 Depth=2
	s_or_b32 exec_lo, exec_lo, s9
	s_delay_alu instid0(SALU_CYCLE_1)
	s_mov_b32 s9, exec_lo
	v_cmpx_gt_u32_e64 s8, v79
	s_cbranch_execnz .LBB597_650
.LBB597_635:                            ;   in Loop: Header=BB597_602 Depth=2
	s_or_b32 exec_lo, exec_lo, s9
	s_delay_alu instid0(SALU_CYCLE_1)
	s_mov_b32 s9, exec_lo
	v_cmpx_gt_u32_e64 s8, v80
	s_cbranch_execnz .LBB597_651
.LBB597_636:                            ;   in Loop: Header=BB597_602 Depth=2
	s_or_b32 exec_lo, exec_lo, s9
	s_delay_alu instid0(SALU_CYCLE_1)
	s_mov_b32 s9, exec_lo
	v_cmpx_gt_u32_e64 s8, v81
	s_cbranch_execnz .LBB597_652
.LBB597_637:                            ;   in Loop: Header=BB597_602 Depth=2
	s_or_b32 exec_lo, exec_lo, s9
	s_delay_alu instid0(SALU_CYCLE_1)
	s_mov_b32 s9, exec_lo
	v_cmpx_gt_u32_e64 s8, v82
	s_cbranch_execnz .LBB597_653
.LBB597_638:                            ;   in Loop: Header=BB597_602 Depth=2
	s_or_b32 exec_lo, exec_lo, s9
	v_cmp_gt_u32_e32 vcc_lo, s8, v83
	s_and_saveexec_b32 s8, vcc_lo
	s_cbranch_execz .LBB597_601
	s_branch .LBB597_654
.LBB597_639:                            ;   in Loop: Header=BB597_602 Depth=2
	v_xor_b32_e32 v41, 0x80000000, v40
	s_delay_alu instid0(VALU_DEP_1) | instskip(NEXT) | instid1(VALU_DEP_1)
	v_lshrrev_b32_e32 v41, s49, v41
	v_and_b32_e32 v41, s48, v41
	s_delay_alu instid0(VALU_DEP_1) | instskip(SKIP_2) | instid1(SALU_CYCLE_1)
	v_lshl_or_b32 v41, v41, 4, v84
	ds_add_u32 v41, v95
	s_or_b32 exec_lo, exec_lo, s9
	s_mov_b32 s9, exec_lo
	v_cmpx_gt_u32_e64 s8, v3
	s_cbranch_execz .LBB597_625
.LBB597_640:                            ;   in Loop: Header=BB597_602 Depth=2
	v_xor_b32_e32 v41, 0x80000000, v39
	s_delay_alu instid0(VALU_DEP_1) | instskip(NEXT) | instid1(VALU_DEP_1)
	v_lshrrev_b32_e32 v41, s49, v41
	v_and_b32_e32 v41, s48, v41
	s_delay_alu instid0(VALU_DEP_1) | instskip(SKIP_2) | instid1(SALU_CYCLE_1)
	v_lshl_or_b32 v41, v41, 4, v84
	ds_add_u32 v41, v95
	s_or_b32 exec_lo, exec_lo, s9
	s_mov_b32 s9, exec_lo
	v_cmpx_gt_u32_e64 s8, v70
	s_cbranch_execz .LBB597_626
.LBB597_641:                            ;   in Loop: Header=BB597_602 Depth=2
	v_xor_b32_e32 v41, 0x80000000, v38
	s_delay_alu instid0(VALU_DEP_1) | instskip(NEXT) | instid1(VALU_DEP_1)
	v_lshrrev_b32_e32 v41, s49, v41
	v_and_b32_e32 v41, s48, v41
	s_delay_alu instid0(VALU_DEP_1) | instskip(SKIP_2) | instid1(SALU_CYCLE_1)
	v_lshl_or_b32 v41, v41, 4, v84
	ds_add_u32 v41, v95
	s_or_b32 exec_lo, exec_lo, s9
	s_mov_b32 s9, exec_lo
	v_cmpx_gt_u32_e64 s8, v71
	s_cbranch_execz .LBB597_627
.LBB597_642:                            ;   in Loop: Header=BB597_602 Depth=2
	v_xor_b32_e32 v41, 0x80000000, v37
	s_delay_alu instid0(VALU_DEP_1) | instskip(NEXT) | instid1(VALU_DEP_1)
	v_lshrrev_b32_e32 v41, s49, v41
	v_and_b32_e32 v41, s48, v41
	s_delay_alu instid0(VALU_DEP_1) | instskip(SKIP_2) | instid1(SALU_CYCLE_1)
	v_lshl_or_b32 v41, v41, 4, v84
	ds_add_u32 v41, v95
	s_or_b32 exec_lo, exec_lo, s9
	s_mov_b32 s9, exec_lo
	v_cmpx_gt_u32_e64 s8, v72
	s_cbranch_execz .LBB597_628
.LBB597_643:                            ;   in Loop: Header=BB597_602 Depth=2
	v_xor_b32_e32 v41, 0x80000000, v36
	s_delay_alu instid0(VALU_DEP_1) | instskip(NEXT) | instid1(VALU_DEP_1)
	v_lshrrev_b32_e32 v41, s49, v41
	v_and_b32_e32 v41, s48, v41
	s_delay_alu instid0(VALU_DEP_1) | instskip(SKIP_2) | instid1(SALU_CYCLE_1)
	v_lshl_or_b32 v41, v41, 4, v84
	ds_add_u32 v41, v95
	s_or_b32 exec_lo, exec_lo, s9
	s_mov_b32 s9, exec_lo
	v_cmpx_gt_u32_e64 s8, v73
	s_cbranch_execz .LBB597_629
.LBB597_644:                            ;   in Loop: Header=BB597_602 Depth=2
	v_xor_b32_e32 v41, 0x80000000, v35
	s_delay_alu instid0(VALU_DEP_1) | instskip(NEXT) | instid1(VALU_DEP_1)
	v_lshrrev_b32_e32 v41, s49, v41
	v_and_b32_e32 v41, s48, v41
	s_delay_alu instid0(VALU_DEP_1) | instskip(SKIP_2) | instid1(SALU_CYCLE_1)
	v_lshl_or_b32 v41, v41, 4, v84
	ds_add_u32 v41, v95
	s_or_b32 exec_lo, exec_lo, s9
	s_mov_b32 s9, exec_lo
	v_cmpx_gt_u32_e64 s8, v74
	s_cbranch_execz .LBB597_630
.LBB597_645:                            ;   in Loop: Header=BB597_602 Depth=2
	v_xor_b32_e32 v41, 0x80000000, v34
	s_delay_alu instid0(VALU_DEP_1) | instskip(NEXT) | instid1(VALU_DEP_1)
	v_lshrrev_b32_e32 v41, s49, v41
	v_and_b32_e32 v41, s48, v41
	s_delay_alu instid0(VALU_DEP_1) | instskip(SKIP_2) | instid1(SALU_CYCLE_1)
	v_lshl_or_b32 v41, v41, 4, v84
	ds_add_u32 v41, v95
	s_or_b32 exec_lo, exec_lo, s9
	s_mov_b32 s9, exec_lo
	v_cmpx_gt_u32_e64 s8, v75
	s_cbranch_execz .LBB597_631
.LBB597_646:                            ;   in Loop: Header=BB597_602 Depth=2
	v_xor_b32_e32 v41, 0x80000000, v33
	s_delay_alu instid0(VALU_DEP_1) | instskip(NEXT) | instid1(VALU_DEP_1)
	v_lshrrev_b32_e32 v41, s49, v41
	v_and_b32_e32 v41, s48, v41
	s_delay_alu instid0(VALU_DEP_1) | instskip(SKIP_2) | instid1(SALU_CYCLE_1)
	v_lshl_or_b32 v41, v41, 4, v84
	ds_add_u32 v41, v95
	s_or_b32 exec_lo, exec_lo, s9
	s_mov_b32 s9, exec_lo
	v_cmpx_gt_u32_e64 s8, v76
	s_cbranch_execz .LBB597_632
.LBB597_647:                            ;   in Loop: Header=BB597_602 Depth=2
	v_xor_b32_e32 v41, 0x80000000, v32
	s_delay_alu instid0(VALU_DEP_1) | instskip(NEXT) | instid1(VALU_DEP_1)
	v_lshrrev_b32_e32 v41, s49, v41
	v_and_b32_e32 v41, s48, v41
	s_delay_alu instid0(VALU_DEP_1) | instskip(SKIP_2) | instid1(SALU_CYCLE_1)
	v_lshl_or_b32 v41, v41, 4, v84
	ds_add_u32 v41, v95
	s_or_b32 exec_lo, exec_lo, s9
	s_mov_b32 s9, exec_lo
	v_cmpx_gt_u32_e64 s8, v77
	s_cbranch_execz .LBB597_633
.LBB597_648:                            ;   in Loop: Header=BB597_602 Depth=2
	v_xor_b32_e32 v41, 0x80000000, v31
	s_delay_alu instid0(VALU_DEP_1) | instskip(NEXT) | instid1(VALU_DEP_1)
	v_lshrrev_b32_e32 v41, s49, v41
	v_and_b32_e32 v41, s48, v41
	s_delay_alu instid0(VALU_DEP_1) | instskip(SKIP_2) | instid1(SALU_CYCLE_1)
	v_lshl_or_b32 v41, v41, 4, v84
	ds_add_u32 v41, v95
	s_or_b32 exec_lo, exec_lo, s9
	s_mov_b32 s9, exec_lo
	v_cmpx_gt_u32_e64 s8, v78
	s_cbranch_execz .LBB597_634
.LBB597_649:                            ;   in Loop: Header=BB597_602 Depth=2
	v_xor_b32_e32 v41, 0x80000000, v30
	s_delay_alu instid0(VALU_DEP_1) | instskip(NEXT) | instid1(VALU_DEP_1)
	v_lshrrev_b32_e32 v41, s49, v41
	v_and_b32_e32 v41, s48, v41
	s_delay_alu instid0(VALU_DEP_1) | instskip(SKIP_2) | instid1(SALU_CYCLE_1)
	v_lshl_or_b32 v41, v41, 4, v84
	ds_add_u32 v41, v95
	s_or_b32 exec_lo, exec_lo, s9
	s_mov_b32 s9, exec_lo
	v_cmpx_gt_u32_e64 s8, v79
	s_cbranch_execz .LBB597_635
.LBB597_650:                            ;   in Loop: Header=BB597_602 Depth=2
	v_xor_b32_e32 v41, 0x80000000, v29
	s_delay_alu instid0(VALU_DEP_1) | instskip(NEXT) | instid1(VALU_DEP_1)
	v_lshrrev_b32_e32 v41, s49, v41
	v_and_b32_e32 v41, s48, v41
	s_delay_alu instid0(VALU_DEP_1) | instskip(SKIP_2) | instid1(SALU_CYCLE_1)
	v_lshl_or_b32 v41, v41, 4, v84
	ds_add_u32 v41, v95
	s_or_b32 exec_lo, exec_lo, s9
	s_mov_b32 s9, exec_lo
	v_cmpx_gt_u32_e64 s8, v80
	s_cbranch_execz .LBB597_636
.LBB597_651:                            ;   in Loop: Header=BB597_602 Depth=2
	v_xor_b32_e32 v41, 0x80000000, v28
	s_delay_alu instid0(VALU_DEP_1) | instskip(NEXT) | instid1(VALU_DEP_1)
	v_lshrrev_b32_e32 v41, s49, v41
	v_and_b32_e32 v41, s48, v41
	s_delay_alu instid0(VALU_DEP_1) | instskip(SKIP_2) | instid1(SALU_CYCLE_1)
	v_lshl_or_b32 v41, v41, 4, v84
	ds_add_u32 v41, v95
	s_or_b32 exec_lo, exec_lo, s9
	s_mov_b32 s9, exec_lo
	v_cmpx_gt_u32_e64 s8, v81
	s_cbranch_execz .LBB597_637
.LBB597_652:                            ;   in Loop: Header=BB597_602 Depth=2
	v_xor_b32_e32 v41, 0x80000000, v27
	s_delay_alu instid0(VALU_DEP_1) | instskip(NEXT) | instid1(VALU_DEP_1)
	v_lshrrev_b32_e32 v41, s49, v41
	v_and_b32_e32 v41, s48, v41
	s_delay_alu instid0(VALU_DEP_1) | instskip(SKIP_2) | instid1(SALU_CYCLE_1)
	v_lshl_or_b32 v41, v41, 4, v84
	ds_add_u32 v41, v95
	s_or_b32 exec_lo, exec_lo, s9
	s_mov_b32 s9, exec_lo
	v_cmpx_gt_u32_e64 s8, v82
	s_cbranch_execz .LBB597_638
.LBB597_653:                            ;   in Loop: Header=BB597_602 Depth=2
	v_xor_b32_e32 v41, 0x80000000, v26
	s_delay_alu instid0(VALU_DEP_1) | instskip(NEXT) | instid1(VALU_DEP_1)
	v_lshrrev_b32_e32 v41, s49, v41
	v_and_b32_e32 v41, s48, v41
	s_delay_alu instid0(VALU_DEP_1)
	v_lshl_or_b32 v41, v41, 4, v84
	ds_add_u32 v41, v95
	s_or_b32 exec_lo, exec_lo, s9
	v_cmp_gt_u32_e32 vcc_lo, s8, v83
	s_and_saveexec_b32 s8, vcc_lo
	s_cbranch_execz .LBB597_601
.LBB597_654:                            ;   in Loop: Header=BB597_602 Depth=2
	v_xor_b32_e32 v41, 0x80000000, v25
	s_delay_alu instid0(VALU_DEP_1) | instskip(NEXT) | instid1(VALU_DEP_1)
	v_lshrrev_b32_e32 v41, s49, v41
	v_and_b32_e32 v41, s48, v41
	s_delay_alu instid0(VALU_DEP_1)
	v_lshl_or_b32 v41, v41, 4, v84
	ds_add_u32 v41, v95
	s_branch .LBB597_601
.LBB597_655:                            ;   in Loop: Header=BB597_602 Depth=2
	global_load_b32 v40, v2, s[8:9] scale_offset
	s_wait_xcnt 0x0
	s_or_b32 exec_lo, exec_lo, s11
	s_delay_alu instid0(SALU_CYCLE_1)
	s_mov_b32 s11, exec_lo
	v_cmpx_gt_u32_e64 s7, v3
	s_cbranch_execz .LBB597_607
.LBB597_656:                            ;   in Loop: Header=BB597_602 Depth=2
	global_load_b32 v39, v2, s[8:9] offset:1024 scale_offset
	s_wait_xcnt 0x0
	s_or_b32 exec_lo, exec_lo, s11
	s_delay_alu instid0(SALU_CYCLE_1)
	s_mov_b32 s11, exec_lo
	v_cmpx_gt_u32_e64 s7, v70
	s_cbranch_execz .LBB597_608
.LBB597_657:                            ;   in Loop: Header=BB597_602 Depth=2
	global_load_b32 v38, v2, s[8:9] offset:2048 scale_offset
	s_wait_xcnt 0x0
	s_or_b32 exec_lo, exec_lo, s11
	s_delay_alu instid0(SALU_CYCLE_1)
	s_mov_b32 s11, exec_lo
	v_cmpx_gt_u32_e64 s7, v71
	s_cbranch_execz .LBB597_609
.LBB597_658:                            ;   in Loop: Header=BB597_602 Depth=2
	global_load_b32 v37, v2, s[8:9] offset:3072 scale_offset
	s_wait_xcnt 0x0
	s_or_b32 exec_lo, exec_lo, s11
	s_delay_alu instid0(SALU_CYCLE_1)
	s_mov_b32 s11, exec_lo
	v_cmpx_gt_u32_e64 s7, v72
	s_cbranch_execz .LBB597_610
.LBB597_659:                            ;   in Loop: Header=BB597_602 Depth=2
	global_load_b32 v36, v2, s[8:9] offset:4096 scale_offset
	s_wait_xcnt 0x0
	s_or_b32 exec_lo, exec_lo, s11
	s_delay_alu instid0(SALU_CYCLE_1)
	s_mov_b32 s11, exec_lo
	v_cmpx_gt_u32_e64 s7, v73
	s_cbranch_execz .LBB597_611
.LBB597_660:                            ;   in Loop: Header=BB597_602 Depth=2
	global_load_b32 v35, v2, s[8:9] offset:5120 scale_offset
	s_wait_xcnt 0x0
	s_or_b32 exec_lo, exec_lo, s11
	s_delay_alu instid0(SALU_CYCLE_1)
	s_mov_b32 s11, exec_lo
	v_cmpx_gt_u32_e64 s7, v74
	s_cbranch_execz .LBB597_612
.LBB597_661:                            ;   in Loop: Header=BB597_602 Depth=2
	global_load_b32 v34, v2, s[8:9] offset:6144 scale_offset
	s_wait_xcnt 0x0
	s_or_b32 exec_lo, exec_lo, s11
	s_delay_alu instid0(SALU_CYCLE_1)
	s_mov_b32 s11, exec_lo
	v_cmpx_gt_u32_e64 s7, v75
	s_cbranch_execz .LBB597_613
.LBB597_662:                            ;   in Loop: Header=BB597_602 Depth=2
	global_load_b32 v33, v2, s[8:9] offset:7168 scale_offset
	s_wait_xcnt 0x0
	s_or_b32 exec_lo, exec_lo, s11
	s_delay_alu instid0(SALU_CYCLE_1)
	s_mov_b32 s11, exec_lo
	v_cmpx_gt_u32_e64 s7, v76
	s_cbranch_execz .LBB597_614
.LBB597_663:                            ;   in Loop: Header=BB597_602 Depth=2
	global_load_b32 v32, v2, s[8:9] offset:8192 scale_offset
	s_wait_xcnt 0x0
	s_or_b32 exec_lo, exec_lo, s11
	s_delay_alu instid0(SALU_CYCLE_1)
	s_mov_b32 s11, exec_lo
	v_cmpx_gt_u32_e64 s7, v77
	s_cbranch_execz .LBB597_615
.LBB597_664:                            ;   in Loop: Header=BB597_602 Depth=2
	global_load_b32 v31, v2, s[8:9] offset:9216 scale_offset
	s_wait_xcnt 0x0
	s_or_b32 exec_lo, exec_lo, s11
	s_delay_alu instid0(SALU_CYCLE_1)
	s_mov_b32 s11, exec_lo
	v_cmpx_gt_u32_e64 s7, v78
	s_cbranch_execz .LBB597_616
.LBB597_665:                            ;   in Loop: Header=BB597_602 Depth=2
	global_load_b32 v30, v2, s[8:9] offset:10240 scale_offset
	s_wait_xcnt 0x0
	s_or_b32 exec_lo, exec_lo, s11
	s_delay_alu instid0(SALU_CYCLE_1)
	s_mov_b32 s11, exec_lo
	v_cmpx_gt_u32_e64 s7, v79
	s_cbranch_execz .LBB597_617
.LBB597_666:                            ;   in Loop: Header=BB597_602 Depth=2
	global_load_b32 v29, v2, s[8:9] offset:11264 scale_offset
	s_wait_xcnt 0x0
	s_or_b32 exec_lo, exec_lo, s11
	s_delay_alu instid0(SALU_CYCLE_1)
	s_mov_b32 s11, exec_lo
	v_cmpx_gt_u32_e64 s7, v80
	s_cbranch_execz .LBB597_618
.LBB597_667:                            ;   in Loop: Header=BB597_602 Depth=2
	global_load_b32 v28, v2, s[8:9] offset:12288 scale_offset
	s_wait_xcnt 0x0
	s_or_b32 exec_lo, exec_lo, s11
	s_delay_alu instid0(SALU_CYCLE_1)
	s_mov_b32 s11, exec_lo
	v_cmpx_gt_u32_e64 s7, v81
	s_cbranch_execz .LBB597_619
.LBB597_668:                            ;   in Loop: Header=BB597_602 Depth=2
	global_load_b32 v27, v2, s[8:9] offset:13312 scale_offset
	s_wait_xcnt 0x0
	s_or_b32 exec_lo, exec_lo, s11
	s_delay_alu instid0(SALU_CYCLE_1)
	s_mov_b32 s11, exec_lo
	v_cmpx_gt_u32_e64 s7, v82
	s_cbranch_execz .LBB597_620
.LBB597_669:                            ;   in Loop: Header=BB597_602 Depth=2
	global_load_b32 v26, v2, s[8:9] offset:14336 scale_offset
	s_wait_xcnt 0x0
	s_or_b32 exec_lo, exec_lo, s11
	s_delay_alu instid0(SALU_CYCLE_1)
	s_mov_b32 s11, exec_lo
	v_cmpx_gt_u32_e64 s7, v83
	s_cbranch_execnz .LBB597_621
	s_branch .LBB597_622
.LBB597_670:                            ;   in Loop: Header=BB597_12 Depth=1
	v_mov_b32_e32 v25, 0
	s_wait_dscnt 0x0
	s_barrier_signal -1
	s_barrier_wait -1
	s_and_saveexec_b32 s7, s0
	s_cbranch_execz .LBB597_672
; %bb.671:                              ;   in Loop: Header=BB597_12 Depth=1
	ds_load_2addr_b64 v[26:29], v86 offset1:1
	s_wait_dscnt 0x0
	v_add_nc_u32_e32 v25, v27, v26
	s_delay_alu instid0(VALU_DEP_1)
	v_add3_u32 v25, v25, v28, v29
.LBB597_672:                            ;   in Loop: Header=BB597_12 Depth=1
	s_or_b32 exec_lo, exec_lo, s7
	s_delay_alu instid0(VALU_DEP_1)
	v_mov_b32_dpp v26, v25 row_shr:1 row_mask:0xf bank_mask:0xf
	v_cmp_eq_u32_e64 s7, 0, v96
	v_cmp_lt_u32_e64 s8, 1, v96
	v_cmp_lt_u32_e64 s9, 3, v96
	;; [unrolled: 1-line block ×3, first 2 shown]
	v_cmp_eq_u32_e64 s11, 0, v98
	v_cndmask_b32_e64 v26, v26, 0, s7
	s_delay_alu instid0(VALU_DEP_1) | instskip(NEXT) | instid1(VALU_DEP_1)
	v_add_nc_u32_e32 v25, v26, v25
	v_mov_b32_dpp v26, v25 row_shr:2 row_mask:0xf bank_mask:0xf
	s_delay_alu instid0(VALU_DEP_1) | instskip(NEXT) | instid1(VALU_DEP_1)
	v_cndmask_b32_e64 v26, 0, v26, s8
	v_add_nc_u32_e32 v25, v25, v26
	s_delay_alu instid0(VALU_DEP_1) | instskip(NEXT) | instid1(VALU_DEP_1)
	v_mov_b32_dpp v26, v25 row_shr:4 row_mask:0xf bank_mask:0xf
	v_cndmask_b32_e64 v26, 0, v26, s9
	s_delay_alu instid0(VALU_DEP_1) | instskip(NEXT) | instid1(VALU_DEP_1)
	v_add_nc_u32_e32 v25, v25, v26
	v_mov_b32_dpp v26, v25 row_shr:8 row_mask:0xf bank_mask:0xf
	s_delay_alu instid0(VALU_DEP_1) | instskip(NEXT) | instid1(VALU_DEP_1)
	v_cndmask_b32_e64 v26, 0, v26, s10
	v_add_nc_u32_e32 v25, v25, v26
	ds_swizzle_b32 v26, v25 offset:swizzle(BROADCAST,32,15)
	s_wait_dscnt 0x0
	v_and_b32_e32 v26, v97, v26
	s_delay_alu instid0(VALU_DEP_1)
	v_add_nc_u32_e32 v25, v25, v26
	s_and_saveexec_b32 s12, s1
; %bb.673:                              ;   in Loop: Header=BB597_12 Depth=1
	ds_store_b32 v87, v25
; %bb.674:                              ;   in Loop: Header=BB597_12 Depth=1
	s_or_b32 exec_lo, exec_lo, s12
	s_wait_dscnt 0x0
	s_barrier_signal -1
	s_barrier_wait -1
	s_and_saveexec_b32 s12, s4
	s_cbranch_execz .LBB597_676
; %bb.675:                              ;   in Loop: Header=BB597_12 Depth=1
	ds_load_b32 v26, v88
	v_cmp_ne_u32_e32 vcc_lo, 0, v100
	s_wait_dscnt 0x0
	v_mov_b32_dpp v27, v26 row_shr:1 row_mask:0xf bank_mask:0xf
	s_delay_alu instid0(VALU_DEP_1) | instskip(SKIP_1) | instid1(VALU_DEP_2)
	v_cndmask_b32_e32 v27, 0, v27, vcc_lo
	v_cmp_lt_u32_e32 vcc_lo, 1, v100
	v_add_nc_u32_e32 v26, v27, v26
	s_delay_alu instid0(VALU_DEP_1) | instskip(NEXT) | instid1(VALU_DEP_1)
	v_mov_b32_dpp v27, v26 row_shr:2 row_mask:0xf bank_mask:0xf
	v_cndmask_b32_e32 v27, 0, v27, vcc_lo
	v_cmp_lt_u32_e32 vcc_lo, 3, v100
	s_delay_alu instid0(VALU_DEP_2) | instskip(NEXT) | instid1(VALU_DEP_1)
	v_add_nc_u32_e32 v26, v26, v27
	v_mov_b32_dpp v27, v26 row_shr:4 row_mask:0xf bank_mask:0xf
	s_delay_alu instid0(VALU_DEP_1) | instskip(NEXT) | instid1(VALU_DEP_1)
	v_cndmask_b32_e32 v27, 0, v27, vcc_lo
	v_add_nc_u32_e32 v26, v26, v27
	ds_store_b32 v88, v26
.LBB597_676:                            ;   in Loop: Header=BB597_12 Depth=1
	s_or_b32 exec_lo, exec_lo, s12
	v_mov_b32_e32 v26, 0
	s_wait_dscnt 0x0
	s_barrier_signal -1
	s_barrier_wait -1
	s_and_saveexec_b32 s12, s5
; %bb.677:                              ;   in Loop: Header=BB597_12 Depth=1
	ds_load_b32 v26, v89
; %bb.678:                              ;   in Loop: Header=BB597_12 Depth=1
	s_or_b32 exec_lo, exec_lo, s12
	v_cmp_gt_i32_e32 vcc_lo, 0, v101
	s_wait_dscnt 0x0
	s_barrier_signal -1
	s_barrier_wait -1
	v_dual_cndmask_b32 v27, v101, v94, vcc_lo :: v_dual_add_nc_u32 v25, v26, v25
	s_delay_alu instid0(VALU_DEP_1)
	v_lshlrev_b32_e32 v120, 2, v27
	ds_bpermute_b32 v25, v120, v25
	s_and_saveexec_b32 s12, s0
	s_cbranch_execz .LBB597_680
; %bb.679:                              ;   in Loop: Header=BB597_12 Depth=1
	s_wait_dscnt 0x0
	v_cndmask_b32_e64 v25, v25, v26, s6
	s_delay_alu instid0(VALU_DEP_1)
	v_add_nc_u32_e32 v25, s52, v25
	ds_store_b32 v4, v25
.LBB597_680:                            ;   in Loop: Header=BB597_12 Depth=1
	s_or_b32 exec_lo, exec_lo, s12
	s_load_b64 s[12:13], s[34:35], 0x0
	s_mov_b32 s55, s54
                                        ; implicit-def: $vgpr32_vgpr33
                                        ; implicit-def: $vgpr34_vgpr35
                                        ; implicit-def: $vgpr36_vgpr37
                                        ; implicit-def: $vgpr38_vgpr39
                                        ; implicit-def: $vgpr40_vgpr41
                                        ; implicit-def: $vgpr42_vgpr43
                                        ; implicit-def: $vgpr44_vgpr45
                                        ; implicit-def: $vgpr46_vgpr47
                                        ; implicit-def: $vgpr48_vgpr49
                                        ; implicit-def: $vgpr50_vgpr51
                                        ; implicit-def: $vgpr52_vgpr53
                                        ; implicit-def: $vgpr54_vgpr55
                                        ; implicit-def: $vgpr56_vgpr57
                                        ; implicit-def: $vgpr58_vgpr59
                                        ; implicit-def: $vgpr60_vgpr61
                                        ; implicit-def: $vgpr121
                                        ; implicit-def: $vgpr122
                                        ; implicit-def: $vgpr123
                                        ; implicit-def: $vgpr124
                                        ; implicit-def: $vgpr125
                                        ; implicit-def: $vgpr126
                                        ; implicit-def: $vgpr127
                                        ; implicit-def: $vgpr128
                                        ; implicit-def: $vgpr129
                                        ; implicit-def: $vgpr130
                                        ; implicit-def: $vgpr131
                                        ; implicit-def: $vgpr132
                                        ; implicit-def: $vgpr133
                                        ; implicit-def: $vgpr134
                                        ; implicit-def: $vgpr135
                                        ; implicit-def: $vgpr136
	s_wait_kmcnt 0x0
	s_cmp_lt_u32 s33, s12
	s_cselect_b32 s30, 12, 18
	s_cmp_lt_u32 s42, s13
	s_mov_b32 s13, s31
	s_cselect_b32 s12, 14, 20
	s_delay_alu instid0(SALU_CYCLE_1)
	s_add_nc_u64 s[12:13], s[34:35], s[12:13]
	s_load_u16 s14, s[12:13], 0x0
	s_wait_xcnt 0x0
	s_add_nc_u64 s[12:13], s[34:35], s[30:31]
	s_mov_b32 s30, s52
	s_load_u16 s12, s[12:13], 0x0
	s_wait_xcnt 0x0
	v_cmp_lt_u32_e64 s13, 1, v100
	s_wait_dscnt 0x0
	s_wait_kmcnt 0x0
	v_mad_u32_u24 v25, v90, s14, v92
	v_cmp_lt_u32_e64 s14, 3, v100
	s_delay_alu instid0(VALU_DEP_2) | instskip(SKIP_2) | instid1(VALU_DEP_3)
	v_mad_u32 v26, v25, s12, v2
	v_mov_b32_e32 v25, v1
	v_cmp_eq_u32_e64 s12, 0, v100
	v_lshrrev_b32_e32 v30, 3, v26
	v_add_nc_u64_e32 v[26:27], v[14:15], v[0:1]
	s_delay_alu instid0(VALU_DEP_4) | instskip(NEXT) | instid1(VALU_DEP_3)
	v_add_nc_u64_e32 v[28:29], v[16:17], v[24:25]
	v_and_b32_e32 v25, 0x1ffffffc, v30
                                        ; implicit-def: $vgpr30_vgpr31
	s_branch .LBB597_682
.LBB597_681:                            ;   in Loop: Header=BB597_682 Depth=2
	s_or_b32 exec_lo, exec_lo, s15
	s_addk_co_i32 s55, 0xf000
	s_cmp_lt_u32 s56, s51
	s_mov_b32 s30, s56
	s_cbranch_scc0 .LBB597_890
.LBB597_682:                            ;   Parent Loop BB597_12 Depth=1
                                        ; =>  This Inner Loop Header: Depth=2
	s_add_co_i32 s56, s30, 0x1000
	s_delay_alu instid0(SALU_CYCLE_1)
	s_cmp_gt_u32 s56, s51
	s_cbranch_scc1 .LBB597_684
; %bb.683:                              ;   in Loop: Header=BB597_682 Depth=2
	s_delay_alu instid0(VALU_DEP_2)
	v_lshl_add_u64 v[62:63], s[30:31], 2, v[28:29]
	s_mov_b32 s15, -1
	s_clause 0xe
	global_load_b32 v139, v[62:63], off
	global_load_b32 v140, v[62:63], off offset:128
	global_load_b32 v143, v[62:63], off offset:256
	global_load_b32 v147, v[62:63], off offset:384
	global_load_b32 v151, v[62:63], off offset:512
	global_load_b32 v155, v[62:63], off offset:640
	global_load_b32 v159, v[62:63], off offset:768
	global_load_b32 v163, v[62:63], off offset:896
	global_load_b32 v166, v[62:63], off offset:1024
	global_load_b32 v69, v[62:63], off offset:1152
	global_load_b32 v68, v[62:63], off offset:1280
	global_load_b32 v67, v[62:63], off offset:1408
	global_load_b32 v66, v[62:63], off offset:1536
	global_load_b32 v65, v[62:63], off offset:1664
	global_load_b32 v64, v[62:63], off offset:1792
	s_movk_i32 s16, 0x1000
	s_cbranch_execz .LBB597_685
	s_branch .LBB597_716
.LBB597_684:                            ;   in Loop: Header=BB597_682 Depth=2
	s_mov_b32 s15, 0
                                        ; implicit-def: $vgpr139
                                        ; implicit-def: $vgpr140
                                        ; implicit-def: $vgpr143
                                        ; implicit-def: $vgpr147
                                        ; implicit-def: $vgpr151
                                        ; implicit-def: $vgpr155
                                        ; implicit-def: $vgpr159
                                        ; implicit-def: $vgpr163
                                        ; implicit-def: $vgpr166
                                        ; implicit-def: $vgpr69
                                        ; implicit-def: $vgpr68
                                        ; implicit-def: $vgpr67
                                        ; implicit-def: $vgpr66
                                        ; implicit-def: $vgpr65
                                        ; implicit-def: $vgpr64
	s_movk_i32 s16, 0x1000
.LBB597_685:                            ;   in Loop: Header=BB597_682 Depth=2
	s_wait_xcnt 0x0
	v_lshl_add_u64 v[62:63], s[30:31], 2, v[28:29]
	s_wait_loadcnt 0xd
	v_bfrev_b32_e32 v140, -2
	v_bfrev_b32_e32 v139, -2
	s_mov_b32 s15, exec_lo
	v_cmpx_gt_u32_e64 s55, v99
	s_cbranch_execz .LBB597_687
; %bb.686:                              ;   in Loop: Header=BB597_682 Depth=2
	global_load_b32 v139, v[62:63], off
.LBB597_687:                            ;   in Loop: Header=BB597_682 Depth=2
	s_wait_xcnt 0x0
	s_or_b32 exec_lo, exec_lo, s15
	s_delay_alu instid0(SALU_CYCLE_1)
	s_mov_b32 s15, exec_lo
	v_cmpx_gt_u32_e64 s55, v102
	s_cbranch_execz .LBB597_689
; %bb.688:                              ;   in Loop: Header=BB597_682 Depth=2
	global_load_b32 v140, v[62:63], off offset:128
.LBB597_689:                            ;   in Loop: Header=BB597_682 Depth=2
	s_wait_xcnt 0x0
	s_or_b32 exec_lo, exec_lo, s15
	s_wait_loadcnt 0xb
	v_bfrev_b32_e32 v147, -2
	v_bfrev_b32_e32 v143, -2
	s_mov_b32 s15, exec_lo
	v_cmpx_gt_u32_e64 s55, v103
	s_cbranch_execz .LBB597_691
; %bb.690:                              ;   in Loop: Header=BB597_682 Depth=2
	global_load_b32 v143, v[62:63], off offset:256
.LBB597_691:                            ;   in Loop: Header=BB597_682 Depth=2
	s_wait_xcnt 0x0
	s_or_b32 exec_lo, exec_lo, s15
	s_delay_alu instid0(SALU_CYCLE_1)
	s_mov_b32 s15, exec_lo
	v_cmpx_gt_u32_e64 s55, v104
	s_cbranch_execz .LBB597_693
; %bb.692:                              ;   in Loop: Header=BB597_682 Depth=2
	global_load_b32 v147, v[62:63], off offset:384
.LBB597_693:                            ;   in Loop: Header=BB597_682 Depth=2
	s_wait_xcnt 0x0
	s_or_b32 exec_lo, exec_lo, s15
	s_wait_loadcnt 0x9
	v_bfrev_b32_e32 v155, -2
	v_bfrev_b32_e32 v151, -2
	s_mov_b32 s15, exec_lo
	v_cmpx_gt_u32_e64 s55, v105
	s_cbranch_execz .LBB597_695
; %bb.694:                              ;   in Loop: Header=BB597_682 Depth=2
	global_load_b32 v151, v[62:63], off offset:512
.LBB597_695:                            ;   in Loop: Header=BB597_682 Depth=2
	;; [unrolled: 20-line block ×6, first 2 shown]
	s_wait_xcnt 0x0
	s_or_b32 exec_lo, exec_lo, s15
	s_delay_alu instid0(SALU_CYCLE_1)
	s_mov_b32 s15, exec_lo
	v_cmpx_gt_u32_e64 s55, v114
	s_cbranch_execz .LBB597_713
; %bb.712:                              ;   in Loop: Header=BB597_682 Depth=2
	global_load_b32 v65, v[62:63], off offset:1664
.LBB597_713:                            ;   in Loop: Header=BB597_682 Depth=2
	s_wait_xcnt 0x0
	s_or_b32 exec_lo, exec_lo, s15
	s_wait_loadcnt 0x0
	v_bfrev_b32_e32 v64, -2
	s_mov_b32 s15, exec_lo
	v_cmpx_gt_u32_e64 s55, v115
	s_cbranch_execz .LBB597_715
; %bb.714:                              ;   in Loop: Header=BB597_682 Depth=2
	global_load_b32 v64, v[62:63], off offset:1792
.LBB597_715:                            ;   in Loop: Header=BB597_682 Depth=2
	s_wait_xcnt 0x0
	s_or_b32 exec_lo, exec_lo, s15
	v_cmp_gt_u32_e64 s15, s55, v116
	s_sub_co_i32 s16, s51, s30
.LBB597_716:                            ;   in Loop: Header=BB597_682 Depth=2
	v_dual_mov_b32 v138, -1 :: v_dual_mov_b32 v137, s55
	s_wait_xcnt 0x0
	s_and_saveexec_b32 s17, s15
	s_cbranch_execz .LBB597_718
; %bb.717:                              ;   in Loop: Header=BB597_682 Depth=2
	v_lshl_add_u64 v[62:63], s[30:31], 2, v[28:29]
	v_mov_b32_e32 v137, s16
	global_load_b32 v62, v[62:63], off offset:1920
	s_wait_loadcnt 0x0
	v_xor_b32_e32 v138, 0x80000000, v62
.LBB597_718:                            ;   in Loop: Header=BB597_682 Depth=2
	s_wait_xcnt 0x0
	s_or_b32 exec_lo, exec_lo, s17
	s_wait_loadcnt 0xe
	v_xor_b32_e32 v139, 0x80000000, v139
	ds_store_2addr_b32 v5, v1, v1 offset1:1
	ds_store_2addr_b32 v117, v1, v1 offset1:1
	;; [unrolled: 1-line block ×4, first 2 shown]
	ds_store_b32 v91, v1 offset:1088
	s_wait_loadcnt_dscnt 0x0
	s_barrier_signal -1
	v_lshrrev_b32_e32 v62, s49, v139
	s_barrier_wait -1
	; wave barrier
	s_delay_alu instid0(VALU_DEP_1) | instskip(NEXT) | instid1(VALU_DEP_1)
	v_and_b32_e32 v142, s48, v62
	v_lshlrev_b32_e32 v141, 30, v142
	v_bitop3_b32 v63, v62, 1, s48 bitop3:0x80
	s_delay_alu instid0(VALU_DEP_1) | instskip(NEXT) | instid1(VALU_DEP_1)
	v_add_co_u32 v62, s15, v63, -1
	v_cndmask_b32_e64 v63, 0, 1, s15
	s_delay_alu instid0(VALU_DEP_4) | instskip(NEXT) | instid1(VALU_DEP_2)
	v_cmp_gt_i32_e64 s15, 0, v141
	v_cmp_ne_u32_e32 vcc_lo, 0, v63
	v_not_b32_e32 v63, v141
	s_delay_alu instid0(VALU_DEP_1) | instskip(SKIP_3) | instid1(VALU_DEP_4)
	v_dual_ashrrev_i32 v63, 31, v63 :: v_dual_lshlrev_b32 v144, 29, v142
	v_dual_lshlrev_b32 v145, 28, v142 :: v_dual_lshlrev_b32 v146, 27, v142
	v_dual_lshlrev_b32 v148, 26, v142 :: v_dual_lshlrev_b32 v149, 25, v142
	v_lshlrev_b32_e32 v150, 24, v142
	v_cmp_gt_i32_e64 s16, 0, v144
	v_not_b32_e32 v141, v144
	v_not_b32_e32 v144, v145
	v_cmp_gt_i32_e64 s17, 0, v145
	v_cmp_gt_i32_e64 s18, 0, v146
	v_not_b32_e32 v145, v146
	v_not_b32_e32 v146, v148
	v_dual_ashrrev_i32 v141, 31, v141 :: v_dual_bitop2_b32 v62, vcc_lo, v62 bitop3:0x14
	v_dual_ashrrev_i32 v144, 31, v144 :: v_dual_bitop2_b32 v63, s15, v63 bitop3:0x14
	v_cmp_gt_i32_e64 s19, 0, v148
	v_not_b32_e32 v148, v149
	s_delay_alu instid0(VALU_DEP_3)
	v_dual_ashrrev_i32 v145, 31, v145 :: v_dual_bitop2_b32 v144, s17, v144 bitop3:0x14
	v_dual_ashrrev_i32 v146, 31, v146 :: v_dual_bitop2_b32 v141, s16, v141 bitop3:0x14
	v_bitop3_b32 v62, v62, v63, exec_lo bitop3:0x80
	v_not_b32_e32 v63, v150
	v_cmp_gt_i32_e64 s20, 0, v149
	v_dual_ashrrev_i32 v148, 31, v148 :: v_dual_bitop2_b32 v145, s18, v145 bitop3:0x14
	s_delay_alu instid0(VALU_DEP_4) | instskip(SKIP_2) | instid1(VALU_DEP_4)
	v_bitop3_b32 v62, v62, v144, v141 bitop3:0x80
	v_cmp_gt_i32_e32 vcc_lo, 0, v150
	v_dual_ashrrev_i32 v63, 31, v63 :: v_dual_bitop2_b32 v141, s19, v146 bitop3:0x14
	v_xor_b32_e32 v144, s20, v148
	s_delay_alu instid0(VALU_DEP_2) | instskip(NEXT) | instid1(VALU_DEP_3)
	v_xor_b32_e32 v63, vcc_lo, v63
	v_bitop3_b32 v62, v62, v141, v145 bitop3:0x80
	s_delay_alu instid0(VALU_DEP_1) | instskip(SKIP_1) | instid1(VALU_DEP_2)
	v_bitop3_b32 v62, v62, v63, v144 bitop3:0x80
	v_mul_u32_u24_e32 v63, 36, v142
	v_mbcnt_lo_u32_b32 v141, v62, 0
	v_cmp_ne_u32_e64 s15, 0, v62
	s_delay_alu instid0(VALU_DEP_3) | instskip(NEXT) | instid1(VALU_DEP_3)
	v_add_nc_u32_e32 v142, v25, v63
	v_cmp_eq_u32_e32 vcc_lo, 0, v141
	s_and_b32 s16, s15, vcc_lo
	s_delay_alu instid0(SALU_CYCLE_1)
	s_and_saveexec_b32 s15, s16
; %bb.719:                              ;   in Loop: Header=BB597_682 Depth=2
	v_bcnt_u32_b32 v62, v62, 0
	ds_store_b32 v142, v62 offset:1056
; %bb.720:                              ;   in Loop: Header=BB597_682 Depth=2
	s_or_b32 exec_lo, exec_lo, s15
	v_xor_b32_e32 v140, 0x80000000, v140
	; wave barrier
	s_delay_alu instid0(VALU_DEP_1) | instskip(NEXT) | instid1(VALU_DEP_1)
	v_lshrrev_b32_e32 v62, s49, v140
	v_and_b32_e32 v146, s48, v62
	s_delay_alu instid0(VALU_DEP_1) | instskip(SKIP_1) | instid1(VALU_DEP_1)
	v_lshlrev_b32_e32 v144, 30, v146
	v_bitop3_b32 v63, v62, 1, s48 bitop3:0x80
	v_add_co_u32 v62, s15, v63, -1
	s_delay_alu instid0(VALU_DEP_1) | instskip(NEXT) | instid1(VALU_DEP_4)
	v_cndmask_b32_e64 v63, 0, 1, s15
	v_cmp_gt_i32_e64 s15, 0, v144
	s_delay_alu instid0(VALU_DEP_2) | instskip(SKIP_1) | instid1(VALU_DEP_1)
	v_cmp_ne_u32_e32 vcc_lo, 0, v63
	v_not_b32_e32 v63, v144
	v_dual_ashrrev_i32 v63, 31, v63 :: v_dual_lshlrev_b32 v145, 29, v146
	v_dual_lshlrev_b32 v148, 28, v146 :: v_dual_lshlrev_b32 v149, 27, v146
	v_dual_lshlrev_b32 v150, 26, v146 :: v_dual_lshlrev_b32 v152, 25, v146
	v_lshlrev_b32_e32 v153, 24, v146
	s_delay_alu instid0(VALU_DEP_4)
	v_cmp_gt_i32_e64 s16, 0, v145
	v_not_b32_e32 v144, v145
	v_not_b32_e32 v145, v148
	v_cmp_gt_i32_e64 s17, 0, v148
	v_cmp_gt_i32_e64 s18, 0, v149
	v_not_b32_e32 v148, v149
	v_not_b32_e32 v149, v150
	v_dual_ashrrev_i32 v144, 31, v144 :: v_dual_bitop2_b32 v62, vcc_lo, v62 bitop3:0x14
	v_dual_ashrrev_i32 v145, 31, v145 :: v_dual_bitop2_b32 v63, s15, v63 bitop3:0x14
	v_cmp_gt_i32_e64 s19, 0, v150
	s_delay_alu instid0(VALU_DEP_4) | instskip(SKIP_1) | instid1(VALU_DEP_4)
	v_dual_ashrrev_i32 v148, 31, v148 :: v_dual_ashrrev_i32 v149, 31, v149
	v_not_b32_e32 v150, v153
	v_xor_b32_e32 v145, s17, v145
	v_bitop3_b32 v62, v62, v63, exec_lo bitop3:0x80
	v_not_b32_e32 v63, v152
	v_xor_b32_e32 v144, s16, v144
	v_cmp_gt_i32_e64 s20, 0, v152
	v_xor_b32_e32 v148, s18, v148
	s_delay_alu instid0(VALU_DEP_4) | instskip(NEXT) | instid1(VALU_DEP_4)
	v_dual_ashrrev_i32 v63, 31, v63 :: v_dual_bitop2_b32 v149, s19, v149 bitop3:0x14
	v_bitop3_b32 v62, v62, v145, v144 bitop3:0x80
	v_cmp_gt_i32_e32 vcc_lo, 0, v153
	v_ashrrev_i32_e32 v144, 31, v150
	v_mad_u32_u24 v145, v146, 36, v25
	v_xor_b32_e32 v63, s20, v63
	v_bitop3_b32 v62, v62, v149, v148 bitop3:0x80
	s_delay_alu instid0(VALU_DEP_4) | instskip(SKIP_3) | instid1(VALU_DEP_2)
	v_xor_b32_e32 v148, vcc_lo, v144
	ds_load_b32 v144, v145 offset:1056
	; wave barrier
	v_bitop3_b32 v62, v62, v148, v63 bitop3:0x80
	v_mul_u32_u24_e32 v63, 36, v146
	v_mbcnt_lo_u32_b32 v145, v62, 0
	v_cmp_ne_u32_e64 s15, 0, v62
	s_delay_alu instid0(VALU_DEP_3) | instskip(NEXT) | instid1(VALU_DEP_3)
	v_add_nc_u32_e32 v146, v25, v63
	v_cmp_eq_u32_e32 vcc_lo, 0, v145
	s_and_b32 s16, s15, vcc_lo
	s_delay_alu instid0(SALU_CYCLE_1)
	s_and_saveexec_b32 s15, s16
	s_cbranch_execz .LBB597_722
; %bb.721:                              ;   in Loop: Header=BB597_682 Depth=2
	s_wait_dscnt 0x0
	v_bcnt_u32_b32 v62, v62, v144
	ds_store_b32 v146, v62 offset:1056
.LBB597_722:                            ;   in Loop: Header=BB597_682 Depth=2
	s_or_b32 exec_lo, exec_lo, s15
	v_xor_b32_e32 v143, 0x80000000, v143
	; wave barrier
	s_delay_alu instid0(VALU_DEP_1) | instskip(NEXT) | instid1(VALU_DEP_1)
	v_lshrrev_b32_e32 v62, s49, v143
	v_and_b32_e32 v150, s48, v62
	s_delay_alu instid0(VALU_DEP_1) | instskip(SKIP_1) | instid1(VALU_DEP_1)
	v_lshlrev_b32_e32 v148, 30, v150
	v_bitop3_b32 v63, v62, 1, s48 bitop3:0x80
	v_add_co_u32 v62, s15, v63, -1
	s_delay_alu instid0(VALU_DEP_1) | instskip(NEXT) | instid1(VALU_DEP_4)
	v_cndmask_b32_e64 v63, 0, 1, s15
	v_cmp_gt_i32_e64 s15, 0, v148
	s_delay_alu instid0(VALU_DEP_2) | instskip(SKIP_1) | instid1(VALU_DEP_1)
	v_cmp_ne_u32_e32 vcc_lo, 0, v63
	v_not_b32_e32 v63, v148
	v_dual_ashrrev_i32 v63, 31, v63 :: v_dual_lshlrev_b32 v149, 29, v150
	v_dual_lshlrev_b32 v152, 28, v150 :: v_dual_lshlrev_b32 v153, 27, v150
	v_dual_lshlrev_b32 v154, 26, v150 :: v_dual_lshlrev_b32 v156, 25, v150
	v_lshlrev_b32_e32 v157, 24, v150
	s_delay_alu instid0(VALU_DEP_4)
	v_cmp_gt_i32_e64 s16, 0, v149
	v_not_b32_e32 v148, v149
	v_not_b32_e32 v149, v152
	v_cmp_gt_i32_e64 s17, 0, v152
	v_cmp_gt_i32_e64 s18, 0, v153
	v_not_b32_e32 v152, v153
	v_not_b32_e32 v153, v154
	v_dual_ashrrev_i32 v148, 31, v148 :: v_dual_bitop2_b32 v62, vcc_lo, v62 bitop3:0x14
	v_dual_ashrrev_i32 v149, 31, v149 :: v_dual_bitop2_b32 v63, s15, v63 bitop3:0x14
	v_cmp_gt_i32_e64 s19, 0, v154
	s_delay_alu instid0(VALU_DEP_4) | instskip(SKIP_1) | instid1(VALU_DEP_4)
	v_dual_ashrrev_i32 v152, 31, v152 :: v_dual_ashrrev_i32 v153, 31, v153
	v_not_b32_e32 v154, v157
	v_xor_b32_e32 v149, s17, v149
	v_bitop3_b32 v62, v62, v63, exec_lo bitop3:0x80
	v_not_b32_e32 v63, v156
	v_xor_b32_e32 v148, s16, v148
	v_cmp_gt_i32_e64 s20, 0, v156
	v_xor_b32_e32 v152, s18, v152
	s_delay_alu instid0(VALU_DEP_4) | instskip(NEXT) | instid1(VALU_DEP_4)
	v_dual_ashrrev_i32 v63, 31, v63 :: v_dual_bitop2_b32 v153, s19, v153 bitop3:0x14
	v_bitop3_b32 v62, v62, v149, v148 bitop3:0x80
	v_cmp_gt_i32_e32 vcc_lo, 0, v157
	v_ashrrev_i32_e32 v148, 31, v154
	v_mad_u32_u24 v149, v150, 36, v25
	v_xor_b32_e32 v63, s20, v63
	v_bitop3_b32 v62, v62, v153, v152 bitop3:0x80
	s_delay_alu instid0(VALU_DEP_4) | instskip(SKIP_3) | instid1(VALU_DEP_2)
	v_xor_b32_e32 v152, vcc_lo, v148
	ds_load_b32 v148, v149 offset:1056
	; wave barrier
	v_bitop3_b32 v62, v62, v152, v63 bitop3:0x80
	v_mul_u32_u24_e32 v63, 36, v150
	v_mbcnt_lo_u32_b32 v149, v62, 0
	v_cmp_ne_u32_e64 s15, 0, v62
	s_delay_alu instid0(VALU_DEP_3) | instskip(NEXT) | instid1(VALU_DEP_3)
	v_add_nc_u32_e32 v150, v25, v63
	v_cmp_eq_u32_e32 vcc_lo, 0, v149
	s_and_b32 s16, s15, vcc_lo
	s_delay_alu instid0(SALU_CYCLE_1)
	s_and_saveexec_b32 s15, s16
	s_cbranch_execz .LBB597_724
; %bb.723:                              ;   in Loop: Header=BB597_682 Depth=2
	s_wait_dscnt 0x0
	v_bcnt_u32_b32 v62, v62, v148
	ds_store_b32 v150, v62 offset:1056
.LBB597_724:                            ;   in Loop: Header=BB597_682 Depth=2
	s_or_b32 exec_lo, exec_lo, s15
	v_xor_b32_e32 v147, 0x80000000, v147
	; wave barrier
	s_delay_alu instid0(VALU_DEP_1) | instskip(NEXT) | instid1(VALU_DEP_1)
	v_lshrrev_b32_e32 v62, s49, v147
	v_and_b32_e32 v154, s48, v62
	s_delay_alu instid0(VALU_DEP_1) | instskip(SKIP_1) | instid1(VALU_DEP_1)
	v_lshlrev_b32_e32 v152, 30, v154
	v_bitop3_b32 v63, v62, 1, s48 bitop3:0x80
	v_add_co_u32 v62, s15, v63, -1
	s_delay_alu instid0(VALU_DEP_1) | instskip(NEXT) | instid1(VALU_DEP_4)
	v_cndmask_b32_e64 v63, 0, 1, s15
	v_cmp_gt_i32_e64 s15, 0, v152
	s_delay_alu instid0(VALU_DEP_2) | instskip(SKIP_1) | instid1(VALU_DEP_1)
	v_cmp_ne_u32_e32 vcc_lo, 0, v63
	v_not_b32_e32 v63, v152
	v_dual_ashrrev_i32 v63, 31, v63 :: v_dual_lshlrev_b32 v153, 29, v154
	v_dual_lshlrev_b32 v156, 28, v154 :: v_dual_lshlrev_b32 v157, 27, v154
	v_dual_lshlrev_b32 v158, 26, v154 :: v_dual_lshlrev_b32 v160, 25, v154
	v_lshlrev_b32_e32 v161, 24, v154
	s_delay_alu instid0(VALU_DEP_4)
	v_cmp_gt_i32_e64 s16, 0, v153
	v_not_b32_e32 v152, v153
	v_not_b32_e32 v153, v156
	v_cmp_gt_i32_e64 s17, 0, v156
	v_cmp_gt_i32_e64 s18, 0, v157
	v_not_b32_e32 v156, v157
	v_not_b32_e32 v157, v158
	v_dual_ashrrev_i32 v152, 31, v152 :: v_dual_bitop2_b32 v62, vcc_lo, v62 bitop3:0x14
	v_dual_ashrrev_i32 v153, 31, v153 :: v_dual_bitop2_b32 v63, s15, v63 bitop3:0x14
	v_cmp_gt_i32_e64 s19, 0, v158
	s_delay_alu instid0(VALU_DEP_4) | instskip(SKIP_1) | instid1(VALU_DEP_4)
	v_dual_ashrrev_i32 v156, 31, v156 :: v_dual_ashrrev_i32 v157, 31, v157
	v_not_b32_e32 v158, v161
	v_xor_b32_e32 v153, s17, v153
	v_bitop3_b32 v62, v62, v63, exec_lo bitop3:0x80
	v_not_b32_e32 v63, v160
	v_xor_b32_e32 v152, s16, v152
	v_cmp_gt_i32_e64 s20, 0, v160
	v_xor_b32_e32 v156, s18, v156
	s_delay_alu instid0(VALU_DEP_4) | instskip(NEXT) | instid1(VALU_DEP_4)
	v_dual_ashrrev_i32 v63, 31, v63 :: v_dual_bitop2_b32 v157, s19, v157 bitop3:0x14
	v_bitop3_b32 v62, v62, v153, v152 bitop3:0x80
	v_cmp_gt_i32_e32 vcc_lo, 0, v161
	v_ashrrev_i32_e32 v152, 31, v158
	v_mad_u32_u24 v153, v154, 36, v25
	v_xor_b32_e32 v63, s20, v63
	v_bitop3_b32 v62, v62, v157, v156 bitop3:0x80
	s_delay_alu instid0(VALU_DEP_4) | instskip(SKIP_3) | instid1(VALU_DEP_2)
	v_xor_b32_e32 v156, vcc_lo, v152
	ds_load_b32 v152, v153 offset:1056
	; wave barrier
	v_bitop3_b32 v62, v62, v156, v63 bitop3:0x80
	v_mul_u32_u24_e32 v63, 36, v154
	v_mbcnt_lo_u32_b32 v153, v62, 0
	v_cmp_ne_u32_e64 s15, 0, v62
	s_delay_alu instid0(VALU_DEP_3) | instskip(NEXT) | instid1(VALU_DEP_3)
	v_add_nc_u32_e32 v154, v25, v63
	v_cmp_eq_u32_e32 vcc_lo, 0, v153
	s_and_b32 s16, s15, vcc_lo
	s_delay_alu instid0(SALU_CYCLE_1)
	s_and_saveexec_b32 s15, s16
	s_cbranch_execz .LBB597_726
; %bb.725:                              ;   in Loop: Header=BB597_682 Depth=2
	s_wait_dscnt 0x0
	v_bcnt_u32_b32 v62, v62, v152
	ds_store_b32 v154, v62 offset:1056
.LBB597_726:                            ;   in Loop: Header=BB597_682 Depth=2
	s_or_b32 exec_lo, exec_lo, s15
	v_xor_b32_e32 v151, 0x80000000, v151
	; wave barrier
	s_delay_alu instid0(VALU_DEP_1) | instskip(NEXT) | instid1(VALU_DEP_1)
	v_lshrrev_b32_e32 v62, s49, v151
	v_and_b32_e32 v158, s48, v62
	s_delay_alu instid0(VALU_DEP_1) | instskip(SKIP_1) | instid1(VALU_DEP_1)
	v_lshlrev_b32_e32 v156, 30, v158
	v_bitop3_b32 v63, v62, 1, s48 bitop3:0x80
	v_add_co_u32 v62, s15, v63, -1
	s_delay_alu instid0(VALU_DEP_1) | instskip(NEXT) | instid1(VALU_DEP_4)
	v_cndmask_b32_e64 v63, 0, 1, s15
	v_cmp_gt_i32_e64 s15, 0, v156
	s_delay_alu instid0(VALU_DEP_2) | instskip(SKIP_1) | instid1(VALU_DEP_1)
	v_cmp_ne_u32_e32 vcc_lo, 0, v63
	v_not_b32_e32 v63, v156
	v_dual_ashrrev_i32 v63, 31, v63 :: v_dual_lshlrev_b32 v157, 29, v158
	v_dual_lshlrev_b32 v160, 28, v158 :: v_dual_lshlrev_b32 v161, 27, v158
	v_dual_lshlrev_b32 v162, 26, v158 :: v_dual_lshlrev_b32 v164, 25, v158
	v_lshlrev_b32_e32 v165, 24, v158
	s_delay_alu instid0(VALU_DEP_4)
	v_cmp_gt_i32_e64 s16, 0, v157
	v_not_b32_e32 v156, v157
	v_not_b32_e32 v157, v160
	v_cmp_gt_i32_e64 s17, 0, v160
	v_cmp_gt_i32_e64 s18, 0, v161
	v_not_b32_e32 v160, v161
	v_not_b32_e32 v161, v162
	v_dual_ashrrev_i32 v156, 31, v156 :: v_dual_bitop2_b32 v62, vcc_lo, v62 bitop3:0x14
	v_dual_ashrrev_i32 v157, 31, v157 :: v_dual_bitop2_b32 v63, s15, v63 bitop3:0x14
	v_cmp_gt_i32_e64 s19, 0, v162
	s_delay_alu instid0(VALU_DEP_4) | instskip(SKIP_1) | instid1(VALU_DEP_4)
	v_dual_ashrrev_i32 v160, 31, v160 :: v_dual_ashrrev_i32 v161, 31, v161
	v_not_b32_e32 v162, v165
	v_xor_b32_e32 v157, s17, v157
	v_bitop3_b32 v62, v62, v63, exec_lo bitop3:0x80
	v_not_b32_e32 v63, v164
	v_xor_b32_e32 v156, s16, v156
	v_cmp_gt_i32_e64 s20, 0, v164
	v_xor_b32_e32 v160, s18, v160
	s_delay_alu instid0(VALU_DEP_4) | instskip(NEXT) | instid1(VALU_DEP_4)
	v_dual_ashrrev_i32 v63, 31, v63 :: v_dual_bitop2_b32 v161, s19, v161 bitop3:0x14
	v_bitop3_b32 v62, v62, v157, v156 bitop3:0x80
	v_cmp_gt_i32_e32 vcc_lo, 0, v165
	v_ashrrev_i32_e32 v156, 31, v162
	v_mad_u32_u24 v157, v158, 36, v25
	v_xor_b32_e32 v63, s20, v63
	v_bitop3_b32 v62, v62, v161, v160 bitop3:0x80
	s_delay_alu instid0(VALU_DEP_4) | instskip(SKIP_3) | instid1(VALU_DEP_2)
	v_xor_b32_e32 v160, vcc_lo, v156
	ds_load_b32 v156, v157 offset:1056
	; wave barrier
	v_bitop3_b32 v62, v62, v160, v63 bitop3:0x80
	v_mul_u32_u24_e32 v63, 36, v158
	v_mbcnt_lo_u32_b32 v157, v62, 0
	v_cmp_ne_u32_e64 s15, 0, v62
	s_delay_alu instid0(VALU_DEP_3) | instskip(NEXT) | instid1(VALU_DEP_3)
	v_add_nc_u32_e32 v158, v25, v63
	v_cmp_eq_u32_e32 vcc_lo, 0, v157
	s_and_b32 s16, s15, vcc_lo
	s_delay_alu instid0(SALU_CYCLE_1)
	s_and_saveexec_b32 s15, s16
	s_cbranch_execz .LBB597_728
; %bb.727:                              ;   in Loop: Header=BB597_682 Depth=2
	s_wait_dscnt 0x0
	v_bcnt_u32_b32 v62, v62, v156
	ds_store_b32 v158, v62 offset:1056
.LBB597_728:                            ;   in Loop: Header=BB597_682 Depth=2
	s_or_b32 exec_lo, exec_lo, s15
	v_xor_b32_e32 v155, 0x80000000, v155
	; wave barrier
	s_delay_alu instid0(VALU_DEP_1) | instskip(NEXT) | instid1(VALU_DEP_1)
	v_lshrrev_b32_e32 v62, s49, v155
	v_and_b32_e32 v162, s48, v62
	s_delay_alu instid0(VALU_DEP_1) | instskip(SKIP_1) | instid1(VALU_DEP_1)
	v_lshlrev_b32_e32 v160, 30, v162
	v_bitop3_b32 v63, v62, 1, s48 bitop3:0x80
	v_add_co_u32 v62, s15, v63, -1
	s_delay_alu instid0(VALU_DEP_1) | instskip(NEXT) | instid1(VALU_DEP_4)
	v_cndmask_b32_e64 v63, 0, 1, s15
	v_cmp_gt_i32_e64 s15, 0, v160
	s_delay_alu instid0(VALU_DEP_2) | instskip(SKIP_1) | instid1(VALU_DEP_1)
	v_cmp_ne_u32_e32 vcc_lo, 0, v63
	v_not_b32_e32 v63, v160
	v_dual_ashrrev_i32 v63, 31, v63 :: v_dual_lshlrev_b32 v161, 29, v162
	v_dual_lshlrev_b32 v164, 28, v162 :: v_dual_lshlrev_b32 v165, 27, v162
	v_dual_lshlrev_b32 v167, 26, v162 :: v_dual_lshlrev_b32 v168, 25, v162
	v_lshlrev_b32_e32 v169, 24, v162
	s_delay_alu instid0(VALU_DEP_4)
	v_cmp_gt_i32_e64 s16, 0, v161
	v_not_b32_e32 v160, v161
	v_not_b32_e32 v161, v164
	v_cmp_gt_i32_e64 s17, 0, v164
	v_cmp_gt_i32_e64 s18, 0, v165
	v_not_b32_e32 v164, v165
	v_not_b32_e32 v165, v167
	v_dual_ashrrev_i32 v160, 31, v160 :: v_dual_bitop2_b32 v62, vcc_lo, v62 bitop3:0x14
	v_dual_ashrrev_i32 v161, 31, v161 :: v_dual_bitop2_b32 v63, s15, v63 bitop3:0x14
	v_cmp_gt_i32_e64 s19, 0, v167
	s_delay_alu instid0(VALU_DEP_4) | instskip(SKIP_1) | instid1(VALU_DEP_4)
	v_dual_ashrrev_i32 v164, 31, v164 :: v_dual_ashrrev_i32 v165, 31, v165
	v_not_b32_e32 v167, v169
	v_xor_b32_e32 v161, s17, v161
	v_bitop3_b32 v62, v62, v63, exec_lo bitop3:0x80
	v_not_b32_e32 v63, v168
	v_xor_b32_e32 v160, s16, v160
	v_cmp_gt_i32_e64 s20, 0, v168
	v_xor_b32_e32 v164, s18, v164
	s_delay_alu instid0(VALU_DEP_4) | instskip(NEXT) | instid1(VALU_DEP_4)
	v_dual_ashrrev_i32 v63, 31, v63 :: v_dual_bitop2_b32 v165, s19, v165 bitop3:0x14
	v_bitop3_b32 v62, v62, v161, v160 bitop3:0x80
	v_cmp_gt_i32_e32 vcc_lo, 0, v169
	v_ashrrev_i32_e32 v160, 31, v167
	v_mad_u32_u24 v161, v162, 36, v25
	v_xor_b32_e32 v63, s20, v63
	v_bitop3_b32 v62, v62, v165, v164 bitop3:0x80
	s_delay_alu instid0(VALU_DEP_4) | instskip(SKIP_3) | instid1(VALU_DEP_2)
	v_xor_b32_e32 v164, vcc_lo, v160
	ds_load_b32 v160, v161 offset:1056
	; wave barrier
	v_bitop3_b32 v62, v62, v164, v63 bitop3:0x80
	v_mul_u32_u24_e32 v63, 36, v162
	v_mbcnt_lo_u32_b32 v161, v62, 0
	v_cmp_ne_u32_e64 s15, 0, v62
	s_delay_alu instid0(VALU_DEP_3) | instskip(NEXT) | instid1(VALU_DEP_3)
	v_add_nc_u32_e32 v162, v25, v63
	v_cmp_eq_u32_e32 vcc_lo, 0, v161
	s_and_b32 s16, s15, vcc_lo
	s_delay_alu instid0(SALU_CYCLE_1)
	s_and_saveexec_b32 s15, s16
	s_cbranch_execz .LBB597_730
; %bb.729:                              ;   in Loop: Header=BB597_682 Depth=2
	s_wait_dscnt 0x0
	v_bcnt_u32_b32 v62, v62, v160
	ds_store_b32 v162, v62 offset:1056
.LBB597_730:                            ;   in Loop: Header=BB597_682 Depth=2
	s_or_b32 exec_lo, exec_lo, s15
	v_xor_b32_e32 v159, 0x80000000, v159
	; wave barrier
	s_delay_alu instid0(VALU_DEP_1) | instskip(NEXT) | instid1(VALU_DEP_1)
	v_lshrrev_b32_e32 v62, s49, v159
	v_bitop3_b32 v63, v62, 1, s48 bitop3:0x80
	v_and_b32_e32 v167, s48, v62
	s_delay_alu instid0(VALU_DEP_2) | instskip(NEXT) | instid1(VALU_DEP_1)
	v_add_co_u32 v62, s15, v63, -1
	v_cndmask_b32_e64 v63, 0, 1, s15
	s_delay_alu instid0(VALU_DEP_3) | instskip(NEXT) | instid1(VALU_DEP_2)
	v_lshlrev_b32_e32 v164, 30, v167
	v_cmp_ne_u32_e32 vcc_lo, 0, v63
	s_delay_alu instid0(VALU_DEP_2) | instskip(NEXT) | instid1(VALU_DEP_1)
	v_not_b32_e32 v63, v164
	v_dual_ashrrev_i32 v63, 31, v63 :: v_dual_bitop2_b32 v62, vcc_lo, v62 bitop3:0x14
	v_dual_lshlrev_b32 v165, 29, v167 :: v_dual_lshlrev_b32 v168, 28, v167
	v_dual_lshlrev_b32 v169, 27, v167 :: v_dual_lshlrev_b32 v170, 26, v167
	v_lshlrev_b32_e32 v171, 25, v167
	v_cmp_gt_i32_e64 s15, 0, v164
	s_delay_alu instid0(VALU_DEP_4)
	v_cmp_gt_i32_e64 s16, 0, v165
	v_not_b32_e32 v164, v165
	v_not_b32_e32 v165, v168
	v_lshlrev_b32_e32 v172, 24, v167
	v_cmp_gt_i32_e64 s17, 0, v168
	v_cmp_gt_i32_e64 s18, 0, v169
	v_not_b32_e32 v168, v169
	v_not_b32_e32 v169, v170
	v_dual_ashrrev_i32 v164, 31, v164 :: v_dual_ashrrev_i32 v165, 31, v165
	v_xor_b32_e32 v63, s15, v63
	v_cmp_gt_i32_e64 s19, 0, v170
	s_delay_alu instid0(VALU_DEP_4)
	v_dual_ashrrev_i32 v168, 31, v168 :: v_dual_ashrrev_i32 v169, 31, v169
	v_not_b32_e32 v170, v172
	v_xor_b32_e32 v165, s17, v165
	v_bitop3_b32 v62, v62, v63, exec_lo bitop3:0x80
	v_not_b32_e32 v63, v171
	v_xor_b32_e32 v164, s16, v164
	v_cmp_gt_i32_e64 s20, 0, v171
	v_xor_b32_e32 v168, s18, v168
	s_delay_alu instid0(VALU_DEP_4) | instskip(NEXT) | instid1(VALU_DEP_4)
	v_dual_ashrrev_i32 v63, 31, v63 :: v_dual_bitop2_b32 v169, s19, v169 bitop3:0x14
	v_bitop3_b32 v62, v62, v165, v164 bitop3:0x80
	v_cmp_gt_i32_e32 vcc_lo, 0, v172
	v_ashrrev_i32_e32 v164, 31, v170
	v_mad_u32_u24 v165, v167, 36, v25
	v_xor_b32_e32 v63, s20, v63
	v_bitop3_b32 v62, v62, v169, v168 bitop3:0x80
	s_delay_alu instid0(VALU_DEP_4) | instskip(SKIP_3) | instid1(VALU_DEP_2)
	v_xor_b32_e32 v168, vcc_lo, v164
	ds_load_b32 v164, v165 offset:1056
	; wave barrier
	v_bitop3_b32 v62, v62, v168, v63 bitop3:0x80
	v_mul_u32_u24_e32 v63, 36, v167
	v_mbcnt_lo_u32_b32 v165, v62, 0
	v_cmp_ne_u32_e64 s15, 0, v62
	s_delay_alu instid0(VALU_DEP_3) | instskip(NEXT) | instid1(VALU_DEP_3)
	v_add_nc_u32_e32 v167, v25, v63
	v_cmp_eq_u32_e32 vcc_lo, 0, v165
	s_and_b32 s16, s15, vcc_lo
	s_delay_alu instid0(SALU_CYCLE_1)
	s_and_saveexec_b32 s15, s16
	s_cbranch_execz .LBB597_732
; %bb.731:                              ;   in Loop: Header=BB597_682 Depth=2
	s_wait_dscnt 0x0
	v_bcnt_u32_b32 v62, v62, v164
	ds_store_b32 v167, v62 offset:1056
.LBB597_732:                            ;   in Loop: Header=BB597_682 Depth=2
	s_or_b32 exec_lo, exec_lo, s15
	v_xor_b32_e32 v163, 0x80000000, v163
	; wave barrier
	s_delay_alu instid0(VALU_DEP_1) | instskip(NEXT) | instid1(VALU_DEP_1)
	v_lshrrev_b32_e32 v62, s49, v163
	v_and_b32_e32 v170, s48, v62
	s_delay_alu instid0(VALU_DEP_1) | instskip(SKIP_1) | instid1(VALU_DEP_1)
	v_lshlrev_b32_e32 v168, 30, v170
	v_bitop3_b32 v63, v62, 1, s48 bitop3:0x80
	v_add_co_u32 v62, s15, v63, -1
	s_delay_alu instid0(VALU_DEP_1) | instskip(NEXT) | instid1(VALU_DEP_4)
	v_cndmask_b32_e64 v63, 0, 1, s15
	v_cmp_gt_i32_e64 s15, 0, v168
	s_delay_alu instid0(VALU_DEP_2) | instskip(SKIP_1) | instid1(VALU_DEP_1)
	v_cmp_ne_u32_e32 vcc_lo, 0, v63
	v_not_b32_e32 v63, v168
	v_dual_ashrrev_i32 v63, 31, v63 :: v_dual_lshlrev_b32 v169, 29, v170
	v_dual_lshlrev_b32 v171, 28, v170 :: v_dual_lshlrev_b32 v172, 27, v170
	v_dual_lshlrev_b32 v173, 26, v170 :: v_dual_lshlrev_b32 v174, 25, v170
	v_lshlrev_b32_e32 v175, 24, v170
	s_delay_alu instid0(VALU_DEP_4)
	v_cmp_gt_i32_e64 s16, 0, v169
	v_not_b32_e32 v168, v169
	v_not_b32_e32 v169, v171
	v_cmp_gt_i32_e64 s17, 0, v171
	v_cmp_gt_i32_e64 s18, 0, v172
	v_not_b32_e32 v171, v172
	v_not_b32_e32 v172, v173
	v_dual_ashrrev_i32 v168, 31, v168 :: v_dual_bitop2_b32 v62, vcc_lo, v62 bitop3:0x14
	v_dual_ashrrev_i32 v169, 31, v169 :: v_dual_bitop2_b32 v63, s15, v63 bitop3:0x14
	v_cmp_gt_i32_e64 s19, 0, v173
	s_delay_alu instid0(VALU_DEP_4) | instskip(NEXT) | instid1(VALU_DEP_3)
	v_dual_ashrrev_i32 v171, 31, v171 :: v_dual_ashrrev_i32 v172, 31, v172
	v_xor_b32_e32 v169, s17, v169
	s_delay_alu instid0(VALU_DEP_4)
	v_bitop3_b32 v62, v62, v63, exec_lo bitop3:0x80
	v_not_b32_e32 v63, v174
	v_xor_b32_e32 v168, s16, v168
	v_not_b32_e32 v173, v175
	v_cmp_gt_i32_e64 s20, 0, v174
	v_xor_b32_e32 v171, s18, v171
	v_dual_ashrrev_i32 v63, 31, v63 :: v_dual_bitop2_b32 v172, s19, v172 bitop3:0x14
	v_bitop3_b32 v62, v62, v169, v168 bitop3:0x80
	v_cmp_gt_i32_e32 vcc_lo, 0, v175
	v_ashrrev_i32_e32 v168, 31, v173
	v_mad_u32_u24 v169, v170, 36, v25
	v_xor_b32_e32 v63, s20, v63
	v_bitop3_b32 v62, v62, v172, v171 bitop3:0x80
	s_delay_alu instid0(VALU_DEP_4) | instskip(SKIP_3) | instid1(VALU_DEP_2)
	v_xor_b32_e32 v171, vcc_lo, v168
	ds_load_b32 v168, v169 offset:1056
	; wave barrier
	v_bitop3_b32 v62, v62, v171, v63 bitop3:0x80
	v_mul_u32_u24_e32 v63, 36, v170
	v_mbcnt_lo_u32_b32 v169, v62, 0
	v_cmp_ne_u32_e64 s15, 0, v62
	s_delay_alu instid0(VALU_DEP_3) | instskip(NEXT) | instid1(VALU_DEP_3)
	v_add_nc_u32_e32 v170, v25, v63
	v_cmp_eq_u32_e32 vcc_lo, 0, v169
	s_and_b32 s16, s15, vcc_lo
	s_delay_alu instid0(SALU_CYCLE_1)
	s_and_saveexec_b32 s15, s16
	s_cbranch_execz .LBB597_734
; %bb.733:                              ;   in Loop: Header=BB597_682 Depth=2
	s_wait_dscnt 0x0
	v_bcnt_u32_b32 v62, v62, v168
	ds_store_b32 v170, v62 offset:1056
.LBB597_734:                            ;   in Loop: Header=BB597_682 Depth=2
	s_or_b32 exec_lo, exec_lo, s15
	v_xor_b32_e32 v166, 0x80000000, v166
	; wave barrier
	s_delay_alu instid0(VALU_DEP_1) | instskip(NEXT) | instid1(VALU_DEP_1)
	v_lshrrev_b32_e32 v62, s49, v166
	v_and_b32_e32 v171, s48, v62
	s_delay_alu instid0(VALU_DEP_1) | instskip(SKIP_1) | instid1(VALU_DEP_1)
	v_lshlrev_b32_e32 v172, 30, v171
	v_bitop3_b32 v63, v62, 1, s48 bitop3:0x80
	v_add_co_u32 v62, s15, v63, -1
	s_delay_alu instid0(VALU_DEP_1) | instskip(NEXT) | instid1(VALU_DEP_4)
	v_cndmask_b32_e64 v63, 0, 1, s15
	v_cmp_gt_i32_e64 s15, 0, v172
	s_delay_alu instid0(VALU_DEP_2) | instskip(SKIP_1) | instid1(VALU_DEP_1)
	v_cmp_ne_u32_e32 vcc_lo, 0, v63
	v_not_b32_e32 v63, v172
	v_ashrrev_i32_e32 v63, 31, v63
	v_dual_lshlrev_b32 v173, 29, v171 :: v_dual_lshlrev_b32 v174, 28, v171
	v_dual_lshlrev_b32 v175, 27, v171 :: v_dual_lshlrev_b32 v176, 26, v171
	;; [unrolled: 1-line block ×3, first 2 shown]
	s_delay_alu instid0(VALU_DEP_3)
	v_cmp_gt_i32_e64 s16, 0, v173
	v_not_b32_e32 v172, v173
	v_not_b32_e32 v173, v174
	v_cmp_gt_i32_e64 s17, 0, v174
	v_cmp_gt_i32_e64 s18, 0, v175
	v_not_b32_e32 v174, v175
	v_not_b32_e32 v175, v176
	v_dual_ashrrev_i32 v172, 31, v172 :: v_dual_bitop2_b32 v62, vcc_lo, v62 bitop3:0x14
	v_dual_ashrrev_i32 v173, 31, v173 :: v_dual_bitop2_b32 v63, s15, v63 bitop3:0x14
	v_cmp_gt_i32_e64 s19, 0, v176
	s_delay_alu instid0(VALU_DEP_4) | instskip(SKIP_1) | instid1(VALU_DEP_4)
	v_dual_ashrrev_i32 v174, 31, v174 :: v_dual_ashrrev_i32 v175, 31, v175
	v_not_b32_e32 v176, v178
	v_xor_b32_e32 v173, s17, v173
	v_bitop3_b32 v62, v62, v63, exec_lo bitop3:0x80
	v_not_b32_e32 v63, v177
	v_xor_b32_e32 v172, s16, v172
	v_cmp_gt_i32_e64 s20, 0, v177
	v_xor_b32_e32 v174, s18, v174
	v_xor_b32_e32 v175, s19, v175
	v_ashrrev_i32_e32 v63, 31, v63
	v_bitop3_b32 v62, v62, v173, v172 bitop3:0x80
	v_cmp_gt_i32_e32 vcc_lo, 0, v178
	v_ashrrev_i32_e32 v172, 31, v176
	v_mad_u32_u24 v173, v171, 36, v25
	v_xor_b32_e32 v63, s20, v63
	v_bitop3_b32 v62, v62, v175, v174 bitop3:0x80
	s_delay_alu instid0(VALU_DEP_4) | instskip(SKIP_3) | instid1(VALU_DEP_2)
	v_xor_b32_e32 v174, vcc_lo, v172
	ds_load_b32 v172, v173 offset:1056
	; wave barrier
	v_bitop3_b32 v62, v62, v174, v63 bitop3:0x80
	v_mul_u32_u24_e32 v63, 36, v171
	v_mbcnt_lo_u32_b32 v173, v62, 0
	v_cmp_ne_u32_e64 s15, 0, v62
	s_delay_alu instid0(VALU_DEP_3) | instskip(NEXT) | instid1(VALU_DEP_3)
	v_add_nc_u32_e32 v174, v25, v63
	v_cmp_eq_u32_e32 vcc_lo, 0, v173
	s_and_b32 s16, s15, vcc_lo
	s_delay_alu instid0(SALU_CYCLE_1)
	s_and_saveexec_b32 s15, s16
	s_cbranch_execz .LBB597_736
; %bb.735:                              ;   in Loop: Header=BB597_682 Depth=2
	s_wait_dscnt 0x0
	v_bcnt_u32_b32 v62, v62, v172
	ds_store_b32 v174, v62 offset:1056
.LBB597_736:                            ;   in Loop: Header=BB597_682 Depth=2
	s_or_b32 exec_lo, exec_lo, s15
	v_xor_b32_e32 v171, 0x80000000, v69
	; wave barrier
	s_delay_alu instid0(VALU_DEP_1) | instskip(NEXT) | instid1(VALU_DEP_1)
	v_lshrrev_b32_e32 v62, s49, v171
	v_and_b32_e32 v69, s48, v62
	s_delay_alu instid0(VALU_DEP_1) | instskip(SKIP_1) | instid1(VALU_DEP_1)
	v_lshlrev_b32_e32 v175, 30, v69
	v_bitop3_b32 v63, v62, 1, s48 bitop3:0x80
	v_add_co_u32 v62, s15, v63, -1
	s_delay_alu instid0(VALU_DEP_1) | instskip(NEXT) | instid1(VALU_DEP_4)
	v_cndmask_b32_e64 v63, 0, 1, s15
	v_cmp_gt_i32_e64 s15, 0, v175
	s_delay_alu instid0(VALU_DEP_2) | instskip(SKIP_1) | instid1(VALU_DEP_1)
	v_cmp_ne_u32_e32 vcc_lo, 0, v63
	v_not_b32_e32 v63, v175
	v_dual_ashrrev_i32 v63, 31, v63 :: v_dual_lshlrev_b32 v176, 29, v69
	v_dual_lshlrev_b32 v177, 28, v69 :: v_dual_lshlrev_b32 v178, 27, v69
	v_dual_lshlrev_b32 v179, 26, v69 :: v_dual_lshlrev_b32 v180, 25, v69
	v_lshlrev_b32_e32 v181, 24, v69
	s_delay_alu instid0(VALU_DEP_4)
	v_cmp_gt_i32_e64 s16, 0, v176
	v_not_b32_e32 v175, v176
	v_not_b32_e32 v176, v177
	v_cmp_gt_i32_e64 s17, 0, v177
	v_cmp_gt_i32_e64 s18, 0, v178
	v_not_b32_e32 v177, v178
	v_not_b32_e32 v178, v179
	v_dual_ashrrev_i32 v175, 31, v175 :: v_dual_bitop2_b32 v62, vcc_lo, v62 bitop3:0x14
	v_dual_ashrrev_i32 v176, 31, v176 :: v_dual_bitop2_b32 v63, s15, v63 bitop3:0x14
	v_cmp_gt_i32_e64 s19, 0, v179
	s_delay_alu instid0(VALU_DEP_4) | instskip(NEXT) | instid1(VALU_DEP_4)
	v_dual_ashrrev_i32 v177, 31, v177 :: v_dual_ashrrev_i32 v178, 31, v178
	v_xor_b32_e32 v175, s16, v175
	s_delay_alu instid0(VALU_DEP_4)
	v_bitop3_b32 v62, v62, v63, exec_lo bitop3:0x80
	v_not_b32_e32 v63, v180
	v_xor_b32_e32 v176, s17, v176
	v_not_b32_e32 v179, v181
	v_cmp_gt_i32_e64 s20, 0, v180
	v_xor_b32_e32 v177, s18, v177
	v_dual_ashrrev_i32 v63, 31, v63 :: v_dual_bitop2_b32 v178, s19, v178 bitop3:0x14
	v_bitop3_b32 v62, v62, v176, v175 bitop3:0x80
	v_cmp_gt_i32_e32 vcc_lo, 0, v181
	v_ashrrev_i32_e32 v175, 31, v179
	v_mad_u32_u24 v176, v69, 36, v25
	v_xor_b32_e32 v63, s20, v63
	v_bitop3_b32 v62, v62, v178, v177 bitop3:0x80
	s_delay_alu instid0(VALU_DEP_4) | instskip(SKIP_3) | instid1(VALU_DEP_2)
	v_xor_b32_e32 v175, vcc_lo, v175
	ds_load_b32 v176, v176 offset:1056
	; wave barrier
	v_bitop3_b32 v62, v62, v175, v63 bitop3:0x80
	v_mul_u32_u24_e32 v63, 36, v69
	v_mbcnt_lo_u32_b32 v177, v62, 0
	v_cmp_ne_u32_e64 s15, 0, v62
	s_delay_alu instid0(VALU_DEP_3) | instskip(NEXT) | instid1(VALU_DEP_3)
	v_add_nc_u32_e32 v178, v25, v63
	v_cmp_eq_u32_e32 vcc_lo, 0, v177
	s_and_b32 s16, s15, vcc_lo
	s_delay_alu instid0(SALU_CYCLE_1)
	s_and_saveexec_b32 s15, s16
	s_cbranch_execz .LBB597_738
; %bb.737:                              ;   in Loop: Header=BB597_682 Depth=2
	s_wait_dscnt 0x0
	v_bcnt_u32_b32 v62, v62, v176
	ds_store_b32 v178, v62 offset:1056
.LBB597_738:                            ;   in Loop: Header=BB597_682 Depth=2
	s_or_b32 exec_lo, exec_lo, s15
	v_xor_b32_e32 v175, 0x80000000, v68
	; wave barrier
	s_delay_alu instid0(VALU_DEP_1) | instskip(NEXT) | instid1(VALU_DEP_1)
	v_lshrrev_b32_e32 v62, s49, v175
	v_and_b32_e32 v68, s48, v62
	s_delay_alu instid0(VALU_DEP_1) | instskip(SKIP_1) | instid1(VALU_DEP_1)
	v_lshlrev_b32_e32 v69, 30, v68
	v_bitop3_b32 v63, v62, 1, s48 bitop3:0x80
	v_add_co_u32 v62, s15, v63, -1
	s_delay_alu instid0(VALU_DEP_1) | instskip(NEXT) | instid1(VALU_DEP_4)
	v_cndmask_b32_e64 v63, 0, 1, s15
	v_cmp_gt_i32_e64 s15, 0, v69
	s_delay_alu instid0(VALU_DEP_2) | instskip(SKIP_1) | instid1(VALU_DEP_1)
	v_cmp_ne_u32_e32 vcc_lo, 0, v63
	v_not_b32_e32 v63, v69
	v_dual_ashrrev_i32 v63, 31, v63 :: v_dual_lshlrev_b32 v179, 29, v68
	v_dual_lshlrev_b32 v180, 28, v68 :: v_dual_lshlrev_b32 v181, 27, v68
	v_dual_lshlrev_b32 v182, 26, v68 :: v_dual_lshlrev_b32 v183, 25, v68
	v_lshlrev_b32_e32 v184, 24, v68
	s_delay_alu instid0(VALU_DEP_4)
	v_cmp_gt_i32_e64 s16, 0, v179
	v_not_b32_e32 v69, v179
	v_not_b32_e32 v179, v180
	v_cmp_gt_i32_e64 s17, 0, v180
	v_cmp_gt_i32_e64 s18, 0, v181
	v_not_b32_e32 v180, v181
	v_not_b32_e32 v181, v182
	v_dual_ashrrev_i32 v69, 31, v69 :: v_dual_bitop2_b32 v62, vcc_lo, v62 bitop3:0x14
	s_delay_alu instid0(VALU_DEP_3) | instskip(NEXT) | instid1(VALU_DEP_3)
	v_dual_ashrrev_i32 v179, 31, v179 :: v_dual_ashrrev_i32 v180, 31, v180
	v_dual_ashrrev_i32 v181, 31, v181 :: v_dual_bitop2_b32 v63, s15, v63 bitop3:0x14
	v_cmp_gt_i32_e64 s19, 0, v182
	v_not_b32_e32 v182, v184
	s_delay_alu instid0(VALU_DEP_4) | instskip(NEXT) | instid1(VALU_DEP_4)
	v_xor_b32_e32 v179, s17, v179
	v_bitop3_b32 v62, v62, v63, exec_lo bitop3:0x80
	v_not_b32_e32 v63, v183
	v_xor_b32_e32 v69, s16, v69
	v_cmp_gt_i32_e64 s20, 0, v183
	v_xor_b32_e32 v180, s18, v180
	s_delay_alu instid0(VALU_DEP_4) | instskip(NEXT) | instid1(VALU_DEP_4)
	v_dual_ashrrev_i32 v63, 31, v63 :: v_dual_bitop2_b32 v181, s19, v181 bitop3:0x14
	v_bitop3_b32 v62, v62, v179, v69 bitop3:0x80
	v_cmp_gt_i32_e32 vcc_lo, 0, v184
	v_ashrrev_i32_e32 v69, 31, v182
	v_mad_u32_u24 v179, v68, 36, v25
	v_xor_b32_e32 v63, s20, v63
	v_bitop3_b32 v62, v62, v181, v180 bitop3:0x80
	s_delay_alu instid0(VALU_DEP_4) | instskip(SKIP_3) | instid1(VALU_DEP_2)
	v_xor_b32_e32 v69, vcc_lo, v69
	ds_load_b32 v180, v179 offset:1056
	; wave barrier
	v_bitop3_b32 v62, v62, v69, v63 bitop3:0x80
	v_mul_u32_u24_e32 v63, 36, v68
	v_mbcnt_lo_u32_b32 v181, v62, 0
	v_cmp_ne_u32_e64 s15, 0, v62
	s_delay_alu instid0(VALU_DEP_3) | instskip(NEXT) | instid1(VALU_DEP_3)
	v_add_nc_u32_e32 v182, v25, v63
	v_cmp_eq_u32_e32 vcc_lo, 0, v181
	s_and_b32 s16, s15, vcc_lo
	s_delay_alu instid0(SALU_CYCLE_1)
	s_and_saveexec_b32 s15, s16
	s_cbranch_execz .LBB597_740
; %bb.739:                              ;   in Loop: Header=BB597_682 Depth=2
	s_wait_dscnt 0x0
	v_bcnt_u32_b32 v62, v62, v180
	ds_store_b32 v182, v62 offset:1056
.LBB597_740:                            ;   in Loop: Header=BB597_682 Depth=2
	s_or_b32 exec_lo, exec_lo, s15
	v_xor_b32_e32 v179, 0x80000000, v67
	; wave barrier
	s_delay_alu instid0(VALU_DEP_1) | instskip(NEXT) | instid1(VALU_DEP_1)
	v_lshrrev_b32_e32 v62, s49, v179
	v_bitop3_b32 v63, v62, 1, s48 bitop3:0x80
	v_and_b32_e32 v67, s48, v62
	s_delay_alu instid0(VALU_DEP_2) | instskip(NEXT) | instid1(VALU_DEP_1)
	v_add_co_u32 v62, s15, v63, -1
	v_cndmask_b32_e64 v63, 0, 1, s15
	s_delay_alu instid0(VALU_DEP_3) | instskip(NEXT) | instid1(VALU_DEP_2)
	v_lshlrev_b32_e32 v68, 30, v67
	v_cmp_ne_u32_e32 vcc_lo, 0, v63
	s_delay_alu instid0(VALU_DEP_2) | instskip(NEXT) | instid1(VALU_DEP_1)
	v_not_b32_e32 v63, v68
	v_dual_ashrrev_i32 v63, 31, v63 :: v_dual_bitop2_b32 v62, vcc_lo, v62 bitop3:0x14
	v_dual_lshlrev_b32 v69, 29, v67 :: v_dual_lshlrev_b32 v183, 28, v67
	v_dual_lshlrev_b32 v184, 27, v67 :: v_dual_lshlrev_b32 v185, 26, v67
	v_lshlrev_b32_e32 v186, 25, v67
	v_cmp_gt_i32_e64 s15, 0, v68
	s_delay_alu instid0(VALU_DEP_4)
	v_cmp_gt_i32_e64 s16, 0, v69
	v_not_b32_e32 v68, v69
	v_not_b32_e32 v69, v183
	v_lshlrev_b32_e32 v187, 24, v67
	v_cmp_gt_i32_e64 s17, 0, v183
	v_cmp_gt_i32_e64 s18, 0, v184
	v_not_b32_e32 v183, v184
	v_not_b32_e32 v184, v185
	v_dual_ashrrev_i32 v68, 31, v68 :: v_dual_ashrrev_i32 v69, 31, v69
	v_xor_b32_e32 v63, s15, v63
	v_cmp_gt_i32_e64 s19, 0, v185
	s_delay_alu instid0(VALU_DEP_4) | instskip(NEXT) | instid1(VALU_DEP_4)
	v_dual_ashrrev_i32 v183, 31, v183 :: v_dual_ashrrev_i32 v184, 31, v184
	v_xor_b32_e32 v69, s17, v69
	s_delay_alu instid0(VALU_DEP_4)
	v_bitop3_b32 v62, v62, v63, exec_lo bitop3:0x80
	v_not_b32_e32 v63, v186
	v_xor_b32_e32 v68, s16, v68
	v_not_b32_e32 v185, v187
	v_cmp_gt_i32_e64 s20, 0, v186
	v_xor_b32_e32 v183, s18, v183
	v_dual_ashrrev_i32 v63, 31, v63 :: v_dual_bitop2_b32 v184, s19, v184 bitop3:0x14
	v_bitop3_b32 v62, v62, v69, v68 bitop3:0x80
	v_cmp_gt_i32_e32 vcc_lo, 0, v187
	v_ashrrev_i32_e32 v68, 31, v185
	v_mad_u32_u24 v69, v67, 36, v25
	v_xor_b32_e32 v63, s20, v63
	v_bitop3_b32 v62, v62, v184, v183 bitop3:0x80
	s_delay_alu instid0(VALU_DEP_4) | instskip(SKIP_3) | instid1(VALU_DEP_2)
	v_xor_b32_e32 v68, vcc_lo, v68
	ds_load_b32 v184, v69 offset:1056
	; wave barrier
	v_bitop3_b32 v62, v62, v68, v63 bitop3:0x80
	v_mul_u32_u24_e32 v63, 36, v67
	v_mbcnt_lo_u32_b32 v185, v62, 0
	v_cmp_ne_u32_e64 s15, 0, v62
	s_delay_alu instid0(VALU_DEP_3) | instskip(NEXT) | instid1(VALU_DEP_3)
	v_add_nc_u32_e32 v186, v25, v63
	v_cmp_eq_u32_e32 vcc_lo, 0, v185
	s_and_b32 s16, s15, vcc_lo
	s_delay_alu instid0(SALU_CYCLE_1)
	s_and_saveexec_b32 s15, s16
	s_cbranch_execz .LBB597_742
; %bb.741:                              ;   in Loop: Header=BB597_682 Depth=2
	s_wait_dscnt 0x0
	v_bcnt_u32_b32 v62, v62, v184
	ds_store_b32 v186, v62 offset:1056
.LBB597_742:                            ;   in Loop: Header=BB597_682 Depth=2
	s_or_b32 exec_lo, exec_lo, s15
	v_xor_b32_e32 v183, 0x80000000, v66
	; wave barrier
	s_delay_alu instid0(VALU_DEP_1) | instskip(NEXT) | instid1(VALU_DEP_1)
	v_lshrrev_b32_e32 v62, s49, v183
	v_and_b32_e32 v66, s48, v62
	s_delay_alu instid0(VALU_DEP_1) | instskip(SKIP_1) | instid1(VALU_DEP_1)
	v_lshlrev_b32_e32 v67, 30, v66
	v_bitop3_b32 v63, v62, 1, s48 bitop3:0x80
	v_add_co_u32 v62, s15, v63, -1
	s_delay_alu instid0(VALU_DEP_1) | instskip(NEXT) | instid1(VALU_DEP_4)
	v_cndmask_b32_e64 v63, 0, 1, s15
	v_cmp_gt_i32_e64 s15, 0, v67
	s_delay_alu instid0(VALU_DEP_2) | instskip(SKIP_1) | instid1(VALU_DEP_1)
	v_cmp_ne_u32_e32 vcc_lo, 0, v63
	v_not_b32_e32 v63, v67
	v_dual_ashrrev_i32 v63, 31, v63 :: v_dual_lshlrev_b32 v68, 29, v66
	v_dual_lshlrev_b32 v69, 28, v66 :: v_dual_lshlrev_b32 v187, 27, v66
	v_dual_lshlrev_b32 v188, 26, v66 :: v_dual_lshlrev_b32 v189, 25, v66
	v_lshlrev_b32_e32 v190, 24, v66
	s_delay_alu instid0(VALU_DEP_4)
	v_cmp_gt_i32_e64 s16, 0, v68
	v_not_b32_e32 v67, v68
	v_not_b32_e32 v68, v69
	v_cmp_gt_i32_e64 s17, 0, v69
	v_cmp_gt_i32_e64 s18, 0, v187
	v_not_b32_e32 v69, v187
	v_not_b32_e32 v187, v188
	v_dual_ashrrev_i32 v67, 31, v67 :: v_dual_bitop2_b32 v62, vcc_lo, v62 bitop3:0x14
	v_dual_ashrrev_i32 v68, 31, v68 :: v_dual_bitop2_b32 v63, s15, v63 bitop3:0x14
	v_cmp_gt_i32_e64 s19, 0, v188
	s_delay_alu instid0(VALU_DEP_4) | instskip(NEXT) | instid1(VALU_DEP_4)
	v_dual_ashrrev_i32 v69, 31, v69 :: v_dual_ashrrev_i32 v187, 31, v187
	v_xor_b32_e32 v67, s16, v67
	s_delay_alu instid0(VALU_DEP_4)
	v_bitop3_b32 v62, v62, v63, exec_lo bitop3:0x80
	v_not_b32_e32 v63, v189
	v_xor_b32_e32 v68, s17, v68
	v_not_b32_e32 v188, v190
	v_cmp_gt_i32_e64 s20, 0, v189
	v_xor_b32_e32 v69, s18, v69
	v_xor_b32_e32 v187, s19, v187
	v_ashrrev_i32_e32 v63, 31, v63
	v_bitop3_b32 v62, v62, v68, v67 bitop3:0x80
	v_cmp_gt_i32_e32 vcc_lo, 0, v190
	v_ashrrev_i32_e32 v67, 31, v188
	v_mad_u32_u24 v68, v66, 36, v25
	v_xor_b32_e32 v63, s20, v63
	v_bitop3_b32 v62, v62, v187, v69 bitop3:0x80
	s_delay_alu instid0(VALU_DEP_4) | instskip(SKIP_3) | instid1(VALU_DEP_2)
	v_xor_b32_e32 v67, vcc_lo, v67
	ds_load_b32 v188, v68 offset:1056
	; wave barrier
	v_bitop3_b32 v62, v62, v67, v63 bitop3:0x80
	v_mul_u32_u24_e32 v63, 36, v66
	v_mbcnt_lo_u32_b32 v189, v62, 0
	v_cmp_ne_u32_e64 s15, 0, v62
	s_delay_alu instid0(VALU_DEP_3) | instskip(NEXT) | instid1(VALU_DEP_3)
	v_add_nc_u32_e32 v190, v25, v63
	v_cmp_eq_u32_e32 vcc_lo, 0, v189
	s_and_b32 s16, s15, vcc_lo
	s_delay_alu instid0(SALU_CYCLE_1)
	s_and_saveexec_b32 s15, s16
	s_cbranch_execz .LBB597_744
; %bb.743:                              ;   in Loop: Header=BB597_682 Depth=2
	s_wait_dscnt 0x0
	v_bcnt_u32_b32 v62, v62, v188
	ds_store_b32 v190, v62 offset:1056
.LBB597_744:                            ;   in Loop: Header=BB597_682 Depth=2
	s_or_b32 exec_lo, exec_lo, s15
	v_xor_b32_e32 v187, 0x80000000, v65
	; wave barrier
	s_delay_alu instid0(VALU_DEP_1) | instskip(NEXT) | instid1(VALU_DEP_1)
	v_lshrrev_b32_e32 v62, s49, v187
	v_and_b32_e32 v65, s48, v62
	s_delay_alu instid0(VALU_DEP_1) | instskip(SKIP_1) | instid1(VALU_DEP_1)
	v_lshlrev_b32_e32 v66, 30, v65
	v_bitop3_b32 v63, v62, 1, s48 bitop3:0x80
	v_add_co_u32 v62, s15, v63, -1
	s_delay_alu instid0(VALU_DEP_1) | instskip(NEXT) | instid1(VALU_DEP_4)
	v_cndmask_b32_e64 v63, 0, 1, s15
	v_cmp_gt_i32_e64 s15, 0, v66
	s_delay_alu instid0(VALU_DEP_2) | instskip(SKIP_1) | instid1(VALU_DEP_1)
	v_cmp_ne_u32_e32 vcc_lo, 0, v63
	v_not_b32_e32 v63, v66
	v_dual_ashrrev_i32 v63, 31, v63 :: v_dual_lshlrev_b32 v67, 29, v65
	v_dual_lshlrev_b32 v68, 28, v65 :: v_dual_lshlrev_b32 v69, 27, v65
	v_dual_lshlrev_b32 v191, 26, v65 :: v_dual_lshlrev_b32 v192, 25, v65
	v_lshlrev_b32_e32 v193, 24, v65
	s_delay_alu instid0(VALU_DEP_4)
	v_cmp_gt_i32_e64 s16, 0, v67
	v_not_b32_e32 v66, v67
	v_not_b32_e32 v67, v68
	v_cmp_gt_i32_e64 s17, 0, v68
	v_cmp_gt_i32_e64 s18, 0, v69
	v_not_b32_e32 v68, v69
	v_not_b32_e32 v69, v191
	v_dual_ashrrev_i32 v67, 31, v67 :: v_dual_bitop2_b32 v62, vcc_lo, v62 bitop3:0x14
	v_dual_ashrrev_i32 v66, 31, v66 :: v_dual_bitop2_b32 v63, s15, v63 bitop3:0x14
	v_cmp_gt_i32_e64 s19, 0, v191
	s_delay_alu instid0(VALU_DEP_4) | instskip(NEXT) | instid1(VALU_DEP_4)
	v_dual_ashrrev_i32 v68, 31, v68 :: v_dual_ashrrev_i32 v69, 31, v69
	v_xor_b32_e32 v67, s17, v67
	s_delay_alu instid0(VALU_DEP_4)
	v_bitop3_b32 v62, v62, v63, exec_lo bitop3:0x80
	v_not_b32_e32 v63, v192
	v_xor_b32_e32 v66, s16, v66
	v_not_b32_e32 v191, v193
	v_cmp_gt_i32_e64 s20, 0, v192
	v_xor_b32_e32 v68, s18, v68
	v_dual_ashrrev_i32 v63, 31, v63 :: v_dual_bitop2_b32 v69, s19, v69 bitop3:0x14
	v_bitop3_b32 v62, v62, v67, v66 bitop3:0x80
	v_cmp_gt_i32_e32 vcc_lo, 0, v193
	v_ashrrev_i32_e32 v66, 31, v191
	v_mad_u32_u24 v67, v65, 36, v25
	v_xor_b32_e32 v63, s20, v63
	v_bitop3_b32 v62, v62, v69, v68 bitop3:0x80
	s_delay_alu instid0(VALU_DEP_4) | instskip(SKIP_3) | instid1(VALU_DEP_2)
	v_xor_b32_e32 v66, vcc_lo, v66
	ds_load_b32 v192, v67 offset:1056
	; wave barrier
	v_bitop3_b32 v62, v62, v66, v63 bitop3:0x80
	v_mul_u32_u24_e32 v63, 36, v65
	v_mbcnt_lo_u32_b32 v193, v62, 0
	v_cmp_ne_u32_e64 s15, 0, v62
	s_delay_alu instid0(VALU_DEP_3) | instskip(NEXT) | instid1(VALU_DEP_3)
	v_add_nc_u32_e32 v194, v25, v63
	v_cmp_eq_u32_e32 vcc_lo, 0, v193
	s_and_b32 s16, s15, vcc_lo
	s_delay_alu instid0(SALU_CYCLE_1)
	s_and_saveexec_b32 s15, s16
	s_cbranch_execz .LBB597_746
; %bb.745:                              ;   in Loop: Header=BB597_682 Depth=2
	s_wait_dscnt 0x0
	v_bcnt_u32_b32 v62, v62, v192
	ds_store_b32 v194, v62 offset:1056
.LBB597_746:                            ;   in Loop: Header=BB597_682 Depth=2
	s_or_b32 exec_lo, exec_lo, s15
	v_xor_b32_e32 v191, 0x80000000, v64
	; wave barrier
	s_delay_alu instid0(VALU_DEP_1) | instskip(NEXT) | instid1(VALU_DEP_1)
	v_lshrrev_b32_e32 v62, s49, v191
	v_and_b32_e32 v64, s48, v62
	s_delay_alu instid0(VALU_DEP_1) | instskip(SKIP_1) | instid1(VALU_DEP_1)
	v_lshlrev_b32_e32 v65, 30, v64
	v_bitop3_b32 v63, v62, 1, s48 bitop3:0x80
	v_add_co_u32 v62, s15, v63, -1
	s_delay_alu instid0(VALU_DEP_1) | instskip(NEXT) | instid1(VALU_DEP_4)
	v_cndmask_b32_e64 v63, 0, 1, s15
	v_cmp_gt_i32_e64 s15, 0, v65
	s_delay_alu instid0(VALU_DEP_2) | instskip(SKIP_1) | instid1(VALU_DEP_1)
	v_cmp_ne_u32_e32 vcc_lo, 0, v63
	v_not_b32_e32 v63, v65
	v_dual_ashrrev_i32 v63, 31, v63 :: v_dual_lshlrev_b32 v66, 29, v64
	v_dual_lshlrev_b32 v67, 28, v64 :: v_dual_lshlrev_b32 v68, 27, v64
	v_dual_lshlrev_b32 v69, 26, v64 :: v_dual_lshlrev_b32 v195, 25, v64
	v_lshlrev_b32_e32 v196, 24, v64
	s_delay_alu instid0(VALU_DEP_4)
	v_cmp_gt_i32_e64 s16, 0, v66
	v_not_b32_e32 v65, v66
	v_not_b32_e32 v66, v67
	v_cmp_gt_i32_e64 s17, 0, v67
	v_cmp_gt_i32_e64 s18, 0, v68
	v_not_b32_e32 v67, v68
	v_not_b32_e32 v68, v69
	v_dual_ashrrev_i32 v65, 31, v65 :: v_dual_bitop2_b32 v62, vcc_lo, v62 bitop3:0x14
	v_dual_ashrrev_i32 v66, 31, v66 :: v_dual_bitop2_b32 v63, s15, v63 bitop3:0x14
	v_cmp_gt_i32_e64 s19, 0, v69
	s_delay_alu instid0(VALU_DEP_4) | instskip(SKIP_1) | instid1(VALU_DEP_4)
	v_dual_ashrrev_i32 v67, 31, v67 :: v_dual_ashrrev_i32 v68, 31, v68
	v_not_b32_e32 v69, v196
	v_xor_b32_e32 v66, s17, v66
	v_bitop3_b32 v62, v62, v63, exec_lo bitop3:0x80
	v_not_b32_e32 v63, v195
	v_xor_b32_e32 v65, s16, v65
	v_cmp_gt_i32_e64 s20, 0, v195
	v_xor_b32_e32 v67, s18, v67
	s_delay_alu instid0(VALU_DEP_4) | instskip(NEXT) | instid1(VALU_DEP_4)
	v_dual_ashrrev_i32 v63, 31, v63 :: v_dual_bitop2_b32 v68, s19, v68 bitop3:0x14
	v_bitop3_b32 v62, v62, v66, v65 bitop3:0x80
	v_cmp_gt_i32_e32 vcc_lo, 0, v196
	v_ashrrev_i32_e32 v65, 31, v69
	v_mad_u32_u24 v66, v64, 36, v25
	v_xor_b32_e32 v63, s20, v63
	v_bitop3_b32 v62, v62, v68, v67 bitop3:0x80
	s_delay_alu instid0(VALU_DEP_4) | instskip(SKIP_3) | instid1(VALU_DEP_2)
	v_xor_b32_e32 v65, vcc_lo, v65
	ds_load_b32 v195, v66 offset:1056
	; wave barrier
	v_bitop3_b32 v62, v62, v65, v63 bitop3:0x80
	v_mul_u32_u24_e32 v63, 36, v64
	v_mbcnt_lo_u32_b32 v196, v62, 0
	v_cmp_ne_u32_e64 s15, 0, v62
	s_delay_alu instid0(VALU_DEP_3) | instskip(NEXT) | instid1(VALU_DEP_3)
	v_add_nc_u32_e32 v197, v25, v63
	v_cmp_eq_u32_e32 vcc_lo, 0, v196
	s_and_b32 s16, s15, vcc_lo
	s_delay_alu instid0(SALU_CYCLE_1)
	s_and_saveexec_b32 s15, s16
	s_cbranch_execz .LBB597_748
; %bb.747:                              ;   in Loop: Header=BB597_682 Depth=2
	s_wait_dscnt 0x0
	v_bcnt_u32_b32 v62, v62, v195
	ds_store_b32 v197, v62 offset:1056
.LBB597_748:                            ;   in Loop: Header=BB597_682 Depth=2
	s_or_b32 exec_lo, exec_lo, s15
	v_lshrrev_b32_e32 v62, s49, v138
	; wave barrier
	s_delay_alu instid0(VALU_DEP_1) | instskip(NEXT) | instid1(VALU_DEP_1)
	v_and_b32_e32 v64, s48, v62
	v_lshlrev_b32_e32 v65, 30, v64
	v_bitop3_b32 v63, v62, 1, s48 bitop3:0x80
	s_delay_alu instid0(VALU_DEP_1) | instskip(NEXT) | instid1(VALU_DEP_1)
	v_add_co_u32 v62, s15, v63, -1
	v_cndmask_b32_e64 v63, 0, 1, s15
	s_delay_alu instid0(VALU_DEP_4) | instskip(NEXT) | instid1(VALU_DEP_2)
	v_cmp_gt_i32_e64 s15, 0, v65
	v_cmp_ne_u32_e32 vcc_lo, 0, v63
	v_not_b32_e32 v63, v65
	s_delay_alu instid0(VALU_DEP_1) | instskip(SKIP_3) | instid1(VALU_DEP_4)
	v_dual_ashrrev_i32 v63, 31, v63 :: v_dual_lshlrev_b32 v66, 29, v64
	v_dual_lshlrev_b32 v67, 28, v64 :: v_dual_lshlrev_b32 v68, 27, v64
	v_dual_lshlrev_b32 v69, 26, v64 :: v_dual_lshlrev_b32 v198, 25, v64
	v_lshlrev_b32_e32 v199, 24, v64
	v_cmp_gt_i32_e64 s16, 0, v66
	v_not_b32_e32 v65, v66
	v_not_b32_e32 v66, v67
	v_cmp_gt_i32_e64 s17, 0, v67
	v_xor_b32_e32 v62, vcc_lo, v62
	s_delay_alu instid0(VALU_DEP_4) | instskip(NEXT) | instid1(VALU_DEP_4)
	v_dual_ashrrev_i32 v65, 31, v65 :: v_dual_bitop2_b32 v63, s15, v63 bitop3:0x14
	v_ashrrev_i32_e32 v66, 31, v66
	v_cmp_gt_i32_e64 s18, 0, v68
	v_not_b32_e32 v67, v68
	v_not_b32_e32 v68, v69
	v_xor_b32_e32 v65, s16, v65
	v_xor_b32_e32 v66, s17, v66
	v_bitop3_b32 v62, v62, v63, exec_lo bitop3:0x80
	v_ashrrev_i32_e32 v63, 31, v67
	v_cmp_gt_i32_e32 vcc_lo, 0, v69
	v_ashrrev_i32_e32 v67, 31, v68
	v_not_b32_e32 v68, v198
	v_bitop3_b32 v62, v62, v66, v65 bitop3:0x80
	v_not_b32_e32 v65, v199
	v_xor_b32_e32 v63, s18, v63
	v_xor_b32_e32 v66, vcc_lo, v67
	v_cmp_gt_i32_e32 vcc_lo, 0, v198
	v_ashrrev_i32_e32 v67, 31, v68
	v_cmp_gt_i32_e64 s15, 0, v199
	v_ashrrev_i32_e32 v65, 31, v65
	v_mad_u32_u24 v68, v64, 36, v25
	v_bitop3_b32 v62, v62, v66, v63 bitop3:0x80
	v_xor_b32_e32 v63, vcc_lo, v67
	s_delay_alu instid0(VALU_DEP_4) | instskip(SKIP_3) | instid1(VALU_DEP_2)
	v_xor_b32_e32 v65, s15, v65
	ds_load_b32 v198, v68 offset:1056
	; wave barrier
	v_bitop3_b32 v62, v62, v65, v63 bitop3:0x80
	v_mul_u32_u24_e32 v63, 36, v64
	v_mbcnt_lo_u32_b32 v199, v62, 0
	v_cmp_ne_u32_e64 s15, 0, v62
	s_delay_alu instid0(VALU_DEP_3) | instskip(NEXT) | instid1(VALU_DEP_3)
	v_add_nc_u32_e32 v200, v25, v63
	v_cmp_eq_u32_e32 vcc_lo, 0, v199
	s_and_b32 s16, s15, vcc_lo
	s_delay_alu instid0(SALU_CYCLE_1)
	s_and_saveexec_b32 s15, s16
	s_cbranch_execz .LBB597_750
; %bb.749:                              ;   in Loop: Header=BB597_682 Depth=2
	s_wait_dscnt 0x0
	v_bcnt_u32_b32 v62, v62, v198
	ds_store_b32 v200, v62 offset:1056
.LBB597_750:                            ;   in Loop: Header=BB597_682 Depth=2
	s_or_b32 exec_lo, exec_lo, s15
	; wave barrier
	s_wait_dscnt 0x0
	s_barrier_signal -1
	s_barrier_wait -1
	ds_load_2addr_b32 v[68:69], v117 offset1:1
	ds_load_2addr_b32 v[66:67], v118 offset1:1
	;; [unrolled: 1-line block ×4, first 2 shown]
	ds_load_b32 v201, v91 offset:1088
	s_wait_dscnt 0x3
	v_add3_u32 v202, v69, v68, v66
	s_wait_dscnt 0x2
	s_delay_alu instid0(VALU_DEP_1) | instskip(SKIP_1) | instid1(VALU_DEP_1)
	v_add3_u32 v202, v202, v67, v64
	s_wait_dscnt 0x1
	v_add3_u32 v202, v202, v65, v62
	s_wait_dscnt 0x0
	s_delay_alu instid0(VALU_DEP_1) | instskip(NEXT) | instid1(VALU_DEP_1)
	v_add3_u32 v201, v202, v63, v201
	v_mov_b32_dpp v202, v201 row_shr:1 row_mask:0xf bank_mask:0xf
	s_delay_alu instid0(VALU_DEP_1) | instskip(NEXT) | instid1(VALU_DEP_1)
	v_cndmask_b32_e64 v202, v202, 0, s7
	v_add_nc_u32_e32 v201, v202, v201
	s_delay_alu instid0(VALU_DEP_1) | instskip(NEXT) | instid1(VALU_DEP_1)
	v_mov_b32_dpp v202, v201 row_shr:2 row_mask:0xf bank_mask:0xf
	v_cndmask_b32_e64 v202, 0, v202, s8
	s_delay_alu instid0(VALU_DEP_1) | instskip(NEXT) | instid1(VALU_DEP_1)
	v_add_nc_u32_e32 v201, v201, v202
	v_mov_b32_dpp v202, v201 row_shr:4 row_mask:0xf bank_mask:0xf
	s_delay_alu instid0(VALU_DEP_1) | instskip(NEXT) | instid1(VALU_DEP_1)
	v_cndmask_b32_e64 v202, 0, v202, s9
	v_add_nc_u32_e32 v201, v201, v202
	s_delay_alu instid0(VALU_DEP_1) | instskip(NEXT) | instid1(VALU_DEP_1)
	v_mov_b32_dpp v202, v201 row_shr:8 row_mask:0xf bank_mask:0xf
	v_cndmask_b32_e64 v202, 0, v202, s10
	s_delay_alu instid0(VALU_DEP_1) | instskip(SKIP_3) | instid1(VALU_DEP_1)
	v_add_nc_u32_e32 v201, v201, v202
	ds_swizzle_b32 v202, v201 offset:swizzle(BROADCAST,32,15)
	s_wait_dscnt 0x0
	v_cndmask_b32_e64 v202, v202, 0, s11
	v_add_nc_u32_e32 v201, v201, v202
	s_and_saveexec_b32 s15, s1
; %bb.751:                              ;   in Loop: Header=BB597_682 Depth=2
	ds_store_b32 v85, v201 offset:1024
; %bb.752:                              ;   in Loop: Header=BB597_682 Depth=2
	s_or_b32 exec_lo, exec_lo, s15
	s_wait_dscnt 0x0
	s_barrier_signal -1
	s_barrier_wait -1
	s_and_saveexec_b32 s15, s4
	s_cbranch_execz .LBB597_754
; %bb.753:                              ;   in Loop: Header=BB597_682 Depth=2
	ds_load_b32 v202, v93 offset:1024
	s_wait_dscnt 0x0
	v_mov_b32_dpp v203, v202 row_shr:1 row_mask:0xf bank_mask:0xf
	s_delay_alu instid0(VALU_DEP_1) | instskip(NEXT) | instid1(VALU_DEP_1)
	v_cndmask_b32_e64 v203, v203, 0, s12
	v_add_nc_u32_e32 v202, v203, v202
	s_delay_alu instid0(VALU_DEP_1) | instskip(NEXT) | instid1(VALU_DEP_1)
	v_mov_b32_dpp v203, v202 row_shr:2 row_mask:0xf bank_mask:0xf
	v_cndmask_b32_e64 v203, 0, v203, s13
	s_delay_alu instid0(VALU_DEP_1) | instskip(NEXT) | instid1(VALU_DEP_1)
	v_add_nc_u32_e32 v202, v202, v203
	v_mov_b32_dpp v203, v202 row_shr:4 row_mask:0xf bank_mask:0xf
	s_delay_alu instid0(VALU_DEP_1) | instskip(NEXT) | instid1(VALU_DEP_1)
	v_cndmask_b32_e64 v203, 0, v203, s14
	v_add_nc_u32_e32 v202, v202, v203
	ds_store_b32 v93, v202 offset:1024
.LBB597_754:                            ;   in Loop: Header=BB597_682 Depth=2
	s_or_b32 exec_lo, exec_lo, s15
	v_mov_b32_e32 v202, 0
	s_wait_dscnt 0x0
	s_barrier_signal -1
	s_barrier_wait -1
	s_and_saveexec_b32 s15, s5
; %bb.755:                              ;   in Loop: Header=BB597_682 Depth=2
	ds_load_b32 v202, v85 offset:1020
; %bb.756:                              ;   in Loop: Header=BB597_682 Depth=2
	s_or_b32 exec_lo, exec_lo, s15
	s_wait_dscnt 0x0
	v_add_nc_u32_e32 v201, v202, v201
	ds_bpermute_b32 v201, v120, v201
	s_wait_dscnt 0x0
	v_cndmask_b32_e64 v201, v201, v202, s6
	s_delay_alu instid0(VALU_DEP_1) | instskip(NEXT) | instid1(VALU_DEP_1)
	v_cndmask_b32_e64 v201, v201, 0, s2
	v_add_nc_u32_e32 v68, v201, v68
	s_delay_alu instid0(VALU_DEP_1) | instskip(NEXT) | instid1(VALU_DEP_1)
	v_add_nc_u32_e32 v69, v68, v69
	v_add_nc_u32_e32 v66, v69, v66
	s_delay_alu instid0(VALU_DEP_1) | instskip(NEXT) | instid1(VALU_DEP_1)
	v_add_nc_u32_e32 v67, v66, v67
	;; [unrolled: 3-line block ×3, first 2 shown]
	v_add_nc_u32_e32 v62, v65, v62
	s_delay_alu instid0(VALU_DEP_1)
	v_add_nc_u32_e32 v63, v62, v63
	ds_store_2addr_b32 v5, v65, v62 offset1:1
	ds_store_2addr_b32 v117, v201, v68 offset1:1
	;; [unrolled: 1-line block ×4, first 2 shown]
	ds_store_b32 v91, v63 offset:1088
	s_wait_dscnt 0x0
	s_barrier_signal -1
	s_barrier_wait -1
	ds_load_b32 v65, v142 offset:1056
	ds_load_b32 v67, v146 offset:1056
	;; [unrolled: 1-line block ×17, first 2 shown]
	v_mov_b32_e32 v64, 0x1000
	s_and_saveexec_b32 s15, s3
; %bb.757:                              ;   in Loop: Header=BB597_682 Depth=2
	ds_load_b32 v64, v91 offset:1092
; %bb.758:                              ;   in Loop: Header=BB597_682 Depth=2
	s_or_b32 exec_lo, exec_lo, s15
	s_wait_dscnt 0x0
	s_barrier_signal -1
	s_barrier_wait -1
	s_and_saveexec_b32 s15, s0
	s_cbranch_execz .LBB597_760
; %bb.759:                              ;   in Loop: Header=BB597_682 Depth=2
	ds_load_b32 v154, v4
	s_wait_dscnt 0x0
	v_sub_nc_u32_e32 v150, v154, v150
	ds_store_b32 v4, v150
.LBB597_760:                            ;   in Loop: Header=BB597_682 Depth=2
	s_or_b32 exec_lo, exec_lo, s15
	v_add3_u32 v158, v145, v144, v67
	v_add_nc_u32_e32 v162, v65, v141
	v_add3_u32 v154, v149, v148, v68
	v_add3_u32 v150, v153, v152, v69
	;; [unrolled: 1-line block ×4, first 2 shown]
	v_lshlrev_b32_e32 v62, 2, v158
	v_lshlrev_b32_e32 v152, 2, v162
	v_add3_u32 v149, v157, v156, v142
	v_add3_u32 v146, v165, v164, v201
	;; [unrolled: 1-line block ×4, first 2 shown]
	v_lshlrev_b32_e32 v63, 2, v154
	v_add3_u32 v144, v173, v172, v174
	v_lshlrev_b32_e32 v153, 2, v148
	ds_store_b32 v152, v139 offset:1024
	v_lshlrev_b32_e32 v139, 2, v150
	v_add3_u32 v142, v177, v176, v178
	v_lshlrev_b32_e32 v152, 2, v149
	v_add3_u32 v141, v181, v180, v182
	v_add3_u32 v65, v185, v184, v186
	ds_store_b32 v62, v140 offset:1024
	ds_store_b32 v63, v143 offset:1024
	;; [unrolled: 1-line block ×5, first 2 shown]
	v_dual_lshlrev_b32 v62, 2, v146 :: v_dual_lshlrev_b32 v139, 2, v144
	v_lshlrev_b32_e32 v63, 2, v145
	v_add3_u32 v67, v196, v195, v66
	v_dual_lshlrev_b32 v140, 2, v142 :: v_dual_lshlrev_b32 v143, 2, v141
	v_add3_u32 v66, v199, v198, v167
	ds_store_b32 v62, v159 offset:1024
	ds_store_b32 v63, v163 offset:1024
	;; [unrolled: 1-line block ×5, first 2 shown]
	v_dual_lshlrev_b32 v62, 2, v65 :: v_dual_lshlrev_b32 v139, 2, v68
	v_cmp_lt_u32_e32 vcc_lo, v2, v137
	v_dual_lshlrev_b32 v63, 2, v69 :: v_dual_lshlrev_b32 v140, 2, v67
	v_lshlrev_b32_e32 v143, 2, v66
	ds_store_b32 v62, v179 offset:1024
	ds_store_b32 v63, v183 offset:1024
	;; [unrolled: 1-line block ×5, first 2 shown]
	s_wait_dscnt 0x0
	s_barrier_signal -1
	s_barrier_wait -1
	s_and_saveexec_b32 s15, vcc_lo
	s_cbranch_execnz .LBB597_829
; %bb.761:                              ;   in Loop: Header=BB597_682 Depth=2
	s_or_b32 exec_lo, exec_lo, s15
	v_cmp_lt_u32_e64 s15, v3, v137
	s_and_saveexec_b32 s16, s15
	s_cbranch_execnz .LBB597_830
.LBB597_762:                            ;   in Loop: Header=BB597_682 Depth=2
	s_or_b32 exec_lo, exec_lo, s16
	v_cmp_lt_u32_e64 s16, v70, v137
	s_and_saveexec_b32 s17, s16
	s_cbranch_execnz .LBB597_831
.LBB597_763:                            ;   in Loop: Header=BB597_682 Depth=2
	s_or_b32 exec_lo, exec_lo, s17
	v_cmp_lt_u32_e64 s17, v71, v137
	s_and_saveexec_b32 s18, s17
	s_cbranch_execnz .LBB597_832
.LBB597_764:                            ;   in Loop: Header=BB597_682 Depth=2
	s_or_b32 exec_lo, exec_lo, s18
	v_cmp_lt_u32_e64 s18, v72, v137
	s_and_saveexec_b32 s19, s18
	s_cbranch_execnz .LBB597_833
.LBB597_765:                            ;   in Loop: Header=BB597_682 Depth=2
	s_or_b32 exec_lo, exec_lo, s19
	v_cmp_lt_u32_e64 s19, v73, v137
	s_and_saveexec_b32 s20, s19
	s_cbranch_execnz .LBB597_834
.LBB597_766:                            ;   in Loop: Header=BB597_682 Depth=2
	s_or_b32 exec_lo, exec_lo, s20
	v_cmp_lt_u32_e64 s20, v74, v137
	s_and_saveexec_b32 s21, s20
	s_cbranch_execnz .LBB597_835
.LBB597_767:                            ;   in Loop: Header=BB597_682 Depth=2
	s_or_b32 exec_lo, exec_lo, s21
	v_cmp_lt_u32_e64 s21, v75, v137
	s_and_saveexec_b32 s22, s21
	s_cbranch_execnz .LBB597_836
.LBB597_768:                            ;   in Loop: Header=BB597_682 Depth=2
	s_or_b32 exec_lo, exec_lo, s22
	v_cmp_lt_u32_e64 s22, v76, v137
	s_and_saveexec_b32 s23, s22
	s_cbranch_execnz .LBB597_837
.LBB597_769:                            ;   in Loop: Header=BB597_682 Depth=2
	s_or_b32 exec_lo, exec_lo, s23
	v_cmp_lt_u32_e64 s23, v77, v137
	s_and_saveexec_b32 s24, s23
	s_cbranch_execnz .LBB597_838
.LBB597_770:                            ;   in Loop: Header=BB597_682 Depth=2
	s_or_b32 exec_lo, exec_lo, s24
	v_cmp_lt_u32_e64 s24, v78, v137
	s_and_saveexec_b32 s25, s24
	s_cbranch_execnz .LBB597_839
.LBB597_771:                            ;   in Loop: Header=BB597_682 Depth=2
	s_or_b32 exec_lo, exec_lo, s25
	v_cmp_lt_u32_e64 s25, v79, v137
	s_and_saveexec_b32 s26, s25
	s_cbranch_execnz .LBB597_840
.LBB597_772:                            ;   in Loop: Header=BB597_682 Depth=2
	s_or_b32 exec_lo, exec_lo, s26
	v_cmp_lt_u32_e64 s26, v80, v137
	s_and_saveexec_b32 s27, s26
	s_cbranch_execnz .LBB597_841
.LBB597_773:                            ;   in Loop: Header=BB597_682 Depth=2
	s_or_b32 exec_lo, exec_lo, s27
	v_cmp_lt_u32_e64 s27, v81, v137
	s_and_saveexec_b32 s28, s27
	s_cbranch_execnz .LBB597_842
.LBB597_774:                            ;   in Loop: Header=BB597_682 Depth=2
	s_or_b32 exec_lo, exec_lo, s28
	v_cmp_lt_u32_e64 s28, v82, v137
	s_and_saveexec_b32 s29, s28
	s_cbranch_execnz .LBB597_843
.LBB597_775:                            ;   in Loop: Header=BB597_682 Depth=2
	s_or_b32 exec_lo, exec_lo, s29
	v_cmp_lt_u32_e64 s29, v83, v137
	s_and_saveexec_b32 s57, s29
	s_cbranch_execz .LBB597_777
.LBB597_776:                            ;   in Loop: Header=BB597_682 Depth=2
	ds_load_b32 v62, v93 offset:16384
	s_wait_dscnt 0x0
	v_lshrrev_b32_e32 v63, s49, v62
	v_xor_b32_e32 v62, 0x80000000, v62
	s_delay_alu instid0(VALU_DEP_2) | instskip(NEXT) | instid1(VALU_DEP_1)
	v_and_b32_e32 v63, s48, v63
	v_lshlrev_b32_e32 v63, 2, v63
	ds_load_b32 v63, v63
	s_wait_dscnt 0x0
	v_add_nc_u32_e32 v63, v63, v83
	global_store_b32 v63, v62, s[38:39] scale_offset
.LBB597_777:                            ;   in Loop: Header=BB597_682 Depth=2
	s_wait_xcnt 0x0
	s_or_b32 exec_lo, exec_lo, s57
	v_lshl_add_u64 v[62:63], s[30:31], 3, v[26:27]
	v_cmp_lt_u32_e64 s30, v99, v137
	s_and_saveexec_b32 s57, s30
	s_delay_alu instid0(SALU_CYCLE_1)
	s_xor_b32 s30, exec_lo, s57
	s_cbranch_execnz .LBB597_844
; %bb.778:                              ;   in Loop: Header=BB597_682 Depth=2
	s_or_b32 exec_lo, exec_lo, s30
	s_delay_alu instid0(SALU_CYCLE_1)
	s_mov_b32 s57, exec_lo
	v_cmpx_lt_u32_e64 v102, v137
	s_cbranch_execnz .LBB597_845
.LBB597_779:                            ;   in Loop: Header=BB597_682 Depth=2
	s_or_b32 exec_lo, exec_lo, s57
	s_delay_alu instid0(SALU_CYCLE_1)
	s_mov_b32 s57, exec_lo
	v_cmpx_lt_u32_e64 v103, v137
	s_cbranch_execnz .LBB597_846
.LBB597_780:                            ;   in Loop: Header=BB597_682 Depth=2
	s_or_b32 exec_lo, exec_lo, s57
	s_delay_alu instid0(SALU_CYCLE_1)
	s_mov_b32 s57, exec_lo
	v_cmpx_lt_u32_e64 v104, v137
	s_cbranch_execnz .LBB597_847
.LBB597_781:                            ;   in Loop: Header=BB597_682 Depth=2
	s_or_b32 exec_lo, exec_lo, s57
	s_delay_alu instid0(SALU_CYCLE_1)
	s_mov_b32 s57, exec_lo
	v_cmpx_lt_u32_e64 v105, v137
	s_cbranch_execnz .LBB597_848
.LBB597_782:                            ;   in Loop: Header=BB597_682 Depth=2
	s_or_b32 exec_lo, exec_lo, s57
	s_delay_alu instid0(SALU_CYCLE_1)
	s_mov_b32 s57, exec_lo
	v_cmpx_lt_u32_e64 v106, v137
	s_cbranch_execnz .LBB597_849
.LBB597_783:                            ;   in Loop: Header=BB597_682 Depth=2
	s_or_b32 exec_lo, exec_lo, s57
	s_delay_alu instid0(SALU_CYCLE_1)
	s_mov_b32 s57, exec_lo
	v_cmpx_lt_u32_e64 v107, v137
	s_cbranch_execnz .LBB597_850
.LBB597_784:                            ;   in Loop: Header=BB597_682 Depth=2
	s_or_b32 exec_lo, exec_lo, s57
	s_delay_alu instid0(SALU_CYCLE_1)
	s_mov_b32 s57, exec_lo
	v_cmpx_lt_u32_e64 v108, v137
	s_cbranch_execnz .LBB597_851
.LBB597_785:                            ;   in Loop: Header=BB597_682 Depth=2
	s_or_b32 exec_lo, exec_lo, s57
	s_delay_alu instid0(SALU_CYCLE_1)
	s_mov_b32 s57, exec_lo
	v_cmpx_lt_u32_e64 v109, v137
	s_cbranch_execnz .LBB597_852
.LBB597_786:                            ;   in Loop: Header=BB597_682 Depth=2
	s_or_b32 exec_lo, exec_lo, s57
	s_delay_alu instid0(SALU_CYCLE_1)
	s_mov_b32 s57, exec_lo
	v_cmpx_lt_u32_e64 v110, v137
	s_cbranch_execnz .LBB597_853
.LBB597_787:                            ;   in Loop: Header=BB597_682 Depth=2
	s_or_b32 exec_lo, exec_lo, s57
	s_delay_alu instid0(SALU_CYCLE_1)
	s_mov_b32 s57, exec_lo
	v_cmpx_lt_u32_e64 v111, v137
	s_cbranch_execnz .LBB597_854
.LBB597_788:                            ;   in Loop: Header=BB597_682 Depth=2
	s_or_b32 exec_lo, exec_lo, s57
	s_delay_alu instid0(SALU_CYCLE_1)
	s_mov_b32 s57, exec_lo
	v_cmpx_lt_u32_e64 v112, v137
	s_cbranch_execnz .LBB597_855
.LBB597_789:                            ;   in Loop: Header=BB597_682 Depth=2
	s_or_b32 exec_lo, exec_lo, s57
	s_delay_alu instid0(SALU_CYCLE_1)
	s_mov_b32 s57, exec_lo
	v_cmpx_lt_u32_e64 v113, v137
	s_cbranch_execnz .LBB597_856
.LBB597_790:                            ;   in Loop: Header=BB597_682 Depth=2
	s_or_b32 exec_lo, exec_lo, s57
	s_delay_alu instid0(SALU_CYCLE_1)
	s_mov_b32 s57, exec_lo
	v_cmpx_lt_u32_e64 v114, v137
	s_cbranch_execnz .LBB597_857
.LBB597_791:                            ;   in Loop: Header=BB597_682 Depth=2
	s_or_b32 exec_lo, exec_lo, s57
	s_delay_alu instid0(SALU_CYCLE_1)
	s_mov_b32 s57, exec_lo
	v_cmpx_lt_u32_e64 v115, v137
	s_cbranch_execnz .LBB597_858
.LBB597_792:                            ;   in Loop: Header=BB597_682 Depth=2
	s_or_b32 exec_lo, exec_lo, s57
	s_delay_alu instid0(SALU_CYCLE_1)
	s_mov_b32 s57, exec_lo
	v_cmpx_lt_u32_e64 v116, v137
	s_cbranch_execnz .LBB597_859
.LBB597_793:                            ;   in Loop: Header=BB597_682 Depth=2
	s_or_b32 exec_lo, exec_lo, s57
	s_and_saveexec_b32 s30, vcc_lo
	s_cbranch_execnz .LBB597_860
.LBB597_794:                            ;   in Loop: Header=BB597_682 Depth=2
	s_or_b32 exec_lo, exec_lo, s30
	s_and_saveexec_b32 s30, s15
	s_cbranch_execnz .LBB597_861
.LBB597_795:                            ;   in Loop: Header=BB597_682 Depth=2
	s_or_b32 exec_lo, exec_lo, s30
	s_and_saveexec_b32 s30, s16
	s_cbranch_execnz .LBB597_862
.LBB597_796:                            ;   in Loop: Header=BB597_682 Depth=2
	s_or_b32 exec_lo, exec_lo, s30
	s_and_saveexec_b32 s30, s17
	s_cbranch_execnz .LBB597_863
.LBB597_797:                            ;   in Loop: Header=BB597_682 Depth=2
	s_or_b32 exec_lo, exec_lo, s30
	s_and_saveexec_b32 s30, s18
	s_cbranch_execnz .LBB597_864
.LBB597_798:                            ;   in Loop: Header=BB597_682 Depth=2
	s_or_b32 exec_lo, exec_lo, s30
	s_and_saveexec_b32 s30, s19
	s_cbranch_execnz .LBB597_865
.LBB597_799:                            ;   in Loop: Header=BB597_682 Depth=2
	s_or_b32 exec_lo, exec_lo, s30
	s_and_saveexec_b32 s30, s20
	s_cbranch_execnz .LBB597_866
.LBB597_800:                            ;   in Loop: Header=BB597_682 Depth=2
	s_or_b32 exec_lo, exec_lo, s30
	s_and_saveexec_b32 s30, s21
	s_cbranch_execnz .LBB597_867
.LBB597_801:                            ;   in Loop: Header=BB597_682 Depth=2
	s_or_b32 exec_lo, exec_lo, s30
	s_and_saveexec_b32 s30, s22
	s_cbranch_execnz .LBB597_868
.LBB597_802:                            ;   in Loop: Header=BB597_682 Depth=2
	s_or_b32 exec_lo, exec_lo, s30
	s_and_saveexec_b32 s30, s23
	s_cbranch_execnz .LBB597_869
.LBB597_803:                            ;   in Loop: Header=BB597_682 Depth=2
	s_or_b32 exec_lo, exec_lo, s30
	s_and_saveexec_b32 s30, s24
	s_cbranch_execnz .LBB597_870
.LBB597_804:                            ;   in Loop: Header=BB597_682 Depth=2
	s_or_b32 exec_lo, exec_lo, s30
	s_and_saveexec_b32 s30, s25
	s_cbranch_execnz .LBB597_871
.LBB597_805:                            ;   in Loop: Header=BB597_682 Depth=2
	s_or_b32 exec_lo, exec_lo, s30
	s_and_saveexec_b32 s30, s26
	s_cbranch_execnz .LBB597_872
.LBB597_806:                            ;   in Loop: Header=BB597_682 Depth=2
	s_or_b32 exec_lo, exec_lo, s30
	s_and_saveexec_b32 s30, s27
	s_cbranch_execnz .LBB597_873
.LBB597_807:                            ;   in Loop: Header=BB597_682 Depth=2
	s_or_b32 exec_lo, exec_lo, s30
	s_and_saveexec_b32 s30, s28
	s_cbranch_execnz .LBB597_874
.LBB597_808:                            ;   in Loop: Header=BB597_682 Depth=2
	s_or_b32 exec_lo, exec_lo, s30
	s_and_saveexec_b32 s30, s29
	s_cbranch_execz .LBB597_810
.LBB597_809:                            ;   in Loop: Header=BB597_682 Depth=2
	ds_load_b32 v62, v93 offset:16384
	s_wait_dscnt 0x0
	v_lshrrev_b32_e32 v62, s49, v62
	s_delay_alu instid0(VALU_DEP_1)
	v_and_b32_e32 v121, s48, v62
.LBB597_810:                            ;   in Loop: Header=BB597_682 Depth=2
	s_or_b32 exec_lo, exec_lo, s30
	v_dual_lshlrev_b32 v62, 3, v162 :: v_dual_lshlrev_b32 v138, 3, v149
	s_wait_loadcnt 0x0
	s_wait_storecnt 0x0
	s_barrier_signal -1
	s_barrier_wait -1
	ds_store_b64 v62, v[60:61] offset:1024
	v_dual_lshlrev_b32 v62, 3, v158 :: v_dual_lshlrev_b32 v139, 3, v148
	v_lshlrev_b32_e32 v63, 3, v154
	v_lshlrev_b32_e32 v137, 3, v150
	ds_store_b64 v62, v[58:59] offset:1024
	ds_store_b64 v63, v[56:57] offset:1024
	;; [unrolled: 1-line block ×5, first 2 shown]
	v_dual_lshlrev_b32 v62, 3, v146 :: v_dual_lshlrev_b32 v139, 3, v141
	v_dual_lshlrev_b32 v63, 3, v145 :: v_dual_lshlrev_b32 v137, 3, v144
	v_lshlrev_b32_e32 v138, 3, v142
	ds_store_b64 v62, v[48:49] offset:1024
	ds_store_b64 v63, v[46:47] offset:1024
	ds_store_b64 v137, v[44:45] offset:1024
	ds_store_b64 v138, v[42:43] offset:1024
	ds_store_b64 v139, v[40:41] offset:1024
	v_lshlrev_b32_e32 v62, 3, v65
	v_dual_lshlrev_b32 v63, 3, v69 :: v_dual_lshlrev_b32 v65, 3, v68
	v_dual_lshlrev_b32 v67, 3, v67 :: v_dual_lshlrev_b32 v66, 3, v66
	ds_store_b64 v62, v[38:39] offset:1024
	ds_store_b64 v63, v[36:37] offset:1024
	ds_store_b64 v65, v[34:35] offset:1024
	ds_store_b64 v67, v[32:33] offset:1024
	ds_store_b64 v66, v[30:31] offset:1024
	s_wait_dscnt 0x0
	s_barrier_signal -1
	s_barrier_wait -1
	s_and_saveexec_b32 s30, vcc_lo
	s_cbranch_execnz .LBB597_875
; %bb.811:                              ;   in Loop: Header=BB597_682 Depth=2
	s_or_b32 exec_lo, exec_lo, s30
	s_and_saveexec_b32 s30, s15
	s_cbranch_execnz .LBB597_876
.LBB597_812:                            ;   in Loop: Header=BB597_682 Depth=2
	s_or_b32 exec_lo, exec_lo, s30
	s_and_saveexec_b32 s15, s16
	s_cbranch_execnz .LBB597_877
.LBB597_813:                            ;   in Loop: Header=BB597_682 Depth=2
	s_or_b32 exec_lo, exec_lo, s15
	s_and_saveexec_b32 s15, s17
	s_cbranch_execnz .LBB597_878
.LBB597_814:                            ;   in Loop: Header=BB597_682 Depth=2
	s_or_b32 exec_lo, exec_lo, s15
	s_and_saveexec_b32 s15, s18
	s_cbranch_execnz .LBB597_879
.LBB597_815:                            ;   in Loop: Header=BB597_682 Depth=2
	s_or_b32 exec_lo, exec_lo, s15
	s_and_saveexec_b32 s15, s19
	s_cbranch_execnz .LBB597_880
.LBB597_816:                            ;   in Loop: Header=BB597_682 Depth=2
	s_or_b32 exec_lo, exec_lo, s15
	s_and_saveexec_b32 s15, s20
	s_cbranch_execnz .LBB597_881
.LBB597_817:                            ;   in Loop: Header=BB597_682 Depth=2
	s_or_b32 exec_lo, exec_lo, s15
	s_and_saveexec_b32 s15, s21
	s_cbranch_execnz .LBB597_882
.LBB597_818:                            ;   in Loop: Header=BB597_682 Depth=2
	s_or_b32 exec_lo, exec_lo, s15
	s_and_saveexec_b32 s15, s22
	s_cbranch_execnz .LBB597_883
.LBB597_819:                            ;   in Loop: Header=BB597_682 Depth=2
	s_or_b32 exec_lo, exec_lo, s15
	s_and_saveexec_b32 s15, s23
	s_cbranch_execnz .LBB597_884
.LBB597_820:                            ;   in Loop: Header=BB597_682 Depth=2
	s_or_b32 exec_lo, exec_lo, s15
	s_and_saveexec_b32 s15, s24
	s_cbranch_execnz .LBB597_885
.LBB597_821:                            ;   in Loop: Header=BB597_682 Depth=2
	s_or_b32 exec_lo, exec_lo, s15
	s_and_saveexec_b32 s15, s25
	s_cbranch_execnz .LBB597_886
.LBB597_822:                            ;   in Loop: Header=BB597_682 Depth=2
	s_or_b32 exec_lo, exec_lo, s15
	s_and_saveexec_b32 s15, s26
	s_cbranch_execnz .LBB597_887
.LBB597_823:                            ;   in Loop: Header=BB597_682 Depth=2
	s_or_b32 exec_lo, exec_lo, s15
	s_and_saveexec_b32 s15, s27
	s_cbranch_execnz .LBB597_888
.LBB597_824:                            ;   in Loop: Header=BB597_682 Depth=2
	s_or_b32 exec_lo, exec_lo, s15
	s_and_saveexec_b32 s15, s28
	s_cbranch_execnz .LBB597_889
.LBB597_825:                            ;   in Loop: Header=BB597_682 Depth=2
	s_or_b32 exec_lo, exec_lo, s15
	s_and_saveexec_b32 s15, s29
	s_cbranch_execz .LBB597_827
.LBB597_826:                            ;   in Loop: Header=BB597_682 Depth=2
	v_dual_lshlrev_b32 v62, 2, v121 :: v_dual_add_nc_u32 v63, v93, v4
	ds_load_b32 v65, v62
	ds_load_b64 v[62:63], v63 offset:31744
	s_wait_dscnt 0x1
	v_add_nc_u32_e32 v65, v65, v83
	s_wait_dscnt 0x0
	global_store_b64 v65, v[62:63], s[44:45] scale_offset
.LBB597_827:                            ;   in Loop: Header=BB597_682 Depth=2
	s_wait_xcnt 0x0
	s_or_b32 exec_lo, exec_lo, s15
	s_wait_storecnt 0x0
	s_barrier_signal -1
	s_barrier_wait -1
	s_and_saveexec_b32 s15, s0
	s_cbranch_execz .LBB597_681
; %bb.828:                              ;   in Loop: Header=BB597_682 Depth=2
	ds_load_b32 v62, v4
	s_wait_dscnt 0x0
	v_add_nc_u32_e32 v62, v62, v64
	ds_store_b32 v4, v62
	s_branch .LBB597_681
.LBB597_829:                            ;   in Loop: Header=BB597_682 Depth=2
	ds_load_b32 v62, v93 offset:1024
	s_wait_dscnt 0x0
	v_lshrrev_b32_e32 v63, s49, v62
	v_xor_b32_e32 v62, 0x80000000, v62
	s_delay_alu instid0(VALU_DEP_2) | instskip(NEXT) | instid1(VALU_DEP_1)
	v_and_b32_e32 v63, s48, v63
	v_lshlrev_b32_e32 v63, 2, v63
	ds_load_b32 v63, v63
	s_wait_dscnt 0x0
	v_add_nc_u32_e32 v63, v63, v2
	global_store_b32 v63, v62, s[38:39] scale_offset
	s_wait_xcnt 0x0
	s_or_b32 exec_lo, exec_lo, s15
	v_cmp_lt_u32_e64 s15, v3, v137
	s_and_saveexec_b32 s16, s15
	s_cbranch_execz .LBB597_762
.LBB597_830:                            ;   in Loop: Header=BB597_682 Depth=2
	ds_load_b32 v62, v93 offset:2048
	s_wait_dscnt 0x0
	v_lshrrev_b32_e32 v63, s49, v62
	v_xor_b32_e32 v62, 0x80000000, v62
	s_delay_alu instid0(VALU_DEP_2) | instskip(NEXT) | instid1(VALU_DEP_1)
	v_and_b32_e32 v63, s48, v63
	v_lshlrev_b32_e32 v63, 2, v63
	ds_load_b32 v63, v63
	s_wait_dscnt 0x0
	v_add_nc_u32_e32 v63, v63, v3
	global_store_b32 v63, v62, s[38:39] scale_offset
	s_wait_xcnt 0x0
	s_or_b32 exec_lo, exec_lo, s16
	v_cmp_lt_u32_e64 s16, v70, v137
	s_and_saveexec_b32 s17, s16
	s_cbranch_execz .LBB597_763
.LBB597_831:                            ;   in Loop: Header=BB597_682 Depth=2
	ds_load_b32 v62, v93 offset:3072
	s_wait_dscnt 0x0
	v_lshrrev_b32_e32 v63, s49, v62
	v_xor_b32_e32 v62, 0x80000000, v62
	s_delay_alu instid0(VALU_DEP_2) | instskip(NEXT) | instid1(VALU_DEP_1)
	v_and_b32_e32 v63, s48, v63
	v_lshlrev_b32_e32 v63, 2, v63
	ds_load_b32 v63, v63
	s_wait_dscnt 0x0
	v_add_nc_u32_e32 v63, v63, v70
	global_store_b32 v63, v62, s[38:39] scale_offset
	s_wait_xcnt 0x0
	s_or_b32 exec_lo, exec_lo, s17
	v_cmp_lt_u32_e64 s17, v71, v137
	s_and_saveexec_b32 s18, s17
	s_cbranch_execz .LBB597_764
.LBB597_832:                            ;   in Loop: Header=BB597_682 Depth=2
	ds_load_b32 v62, v93 offset:4096
	s_wait_dscnt 0x0
	v_lshrrev_b32_e32 v63, s49, v62
	v_xor_b32_e32 v62, 0x80000000, v62
	s_delay_alu instid0(VALU_DEP_2) | instskip(NEXT) | instid1(VALU_DEP_1)
	v_and_b32_e32 v63, s48, v63
	v_lshlrev_b32_e32 v63, 2, v63
	ds_load_b32 v63, v63
	s_wait_dscnt 0x0
	v_add_nc_u32_e32 v63, v63, v71
	global_store_b32 v63, v62, s[38:39] scale_offset
	s_wait_xcnt 0x0
	s_or_b32 exec_lo, exec_lo, s18
	v_cmp_lt_u32_e64 s18, v72, v137
	s_and_saveexec_b32 s19, s18
	s_cbranch_execz .LBB597_765
.LBB597_833:                            ;   in Loop: Header=BB597_682 Depth=2
	ds_load_b32 v62, v93 offset:5120
	s_wait_dscnt 0x0
	v_lshrrev_b32_e32 v63, s49, v62
	v_xor_b32_e32 v62, 0x80000000, v62
	s_delay_alu instid0(VALU_DEP_2) | instskip(NEXT) | instid1(VALU_DEP_1)
	v_and_b32_e32 v63, s48, v63
	v_lshlrev_b32_e32 v63, 2, v63
	ds_load_b32 v63, v63
	s_wait_dscnt 0x0
	v_add_nc_u32_e32 v63, v63, v72
	global_store_b32 v63, v62, s[38:39] scale_offset
	s_wait_xcnt 0x0
	s_or_b32 exec_lo, exec_lo, s19
	v_cmp_lt_u32_e64 s19, v73, v137
	s_and_saveexec_b32 s20, s19
	s_cbranch_execz .LBB597_766
.LBB597_834:                            ;   in Loop: Header=BB597_682 Depth=2
	ds_load_b32 v62, v93 offset:6144
	s_wait_dscnt 0x0
	v_lshrrev_b32_e32 v63, s49, v62
	v_xor_b32_e32 v62, 0x80000000, v62
	s_delay_alu instid0(VALU_DEP_2) | instskip(NEXT) | instid1(VALU_DEP_1)
	v_and_b32_e32 v63, s48, v63
	v_lshlrev_b32_e32 v63, 2, v63
	ds_load_b32 v63, v63
	s_wait_dscnt 0x0
	v_add_nc_u32_e32 v63, v63, v73
	global_store_b32 v63, v62, s[38:39] scale_offset
	s_wait_xcnt 0x0
	s_or_b32 exec_lo, exec_lo, s20
	v_cmp_lt_u32_e64 s20, v74, v137
	s_and_saveexec_b32 s21, s20
	s_cbranch_execz .LBB597_767
.LBB597_835:                            ;   in Loop: Header=BB597_682 Depth=2
	ds_load_b32 v62, v93 offset:7168
	s_wait_dscnt 0x0
	v_lshrrev_b32_e32 v63, s49, v62
	v_xor_b32_e32 v62, 0x80000000, v62
	s_delay_alu instid0(VALU_DEP_2) | instskip(NEXT) | instid1(VALU_DEP_1)
	v_and_b32_e32 v63, s48, v63
	v_lshlrev_b32_e32 v63, 2, v63
	ds_load_b32 v63, v63
	s_wait_dscnt 0x0
	v_add_nc_u32_e32 v63, v63, v74
	global_store_b32 v63, v62, s[38:39] scale_offset
	s_wait_xcnt 0x0
	s_or_b32 exec_lo, exec_lo, s21
	v_cmp_lt_u32_e64 s21, v75, v137
	s_and_saveexec_b32 s22, s21
	s_cbranch_execz .LBB597_768
.LBB597_836:                            ;   in Loop: Header=BB597_682 Depth=2
	ds_load_b32 v62, v93 offset:8192
	s_wait_dscnt 0x0
	v_lshrrev_b32_e32 v63, s49, v62
	v_xor_b32_e32 v62, 0x80000000, v62
	s_delay_alu instid0(VALU_DEP_2) | instskip(NEXT) | instid1(VALU_DEP_1)
	v_and_b32_e32 v63, s48, v63
	v_lshlrev_b32_e32 v63, 2, v63
	ds_load_b32 v63, v63
	s_wait_dscnt 0x0
	v_add_nc_u32_e32 v63, v63, v75
	global_store_b32 v63, v62, s[38:39] scale_offset
	s_wait_xcnt 0x0
	s_or_b32 exec_lo, exec_lo, s22
	v_cmp_lt_u32_e64 s22, v76, v137
	s_and_saveexec_b32 s23, s22
	s_cbranch_execz .LBB597_769
.LBB597_837:                            ;   in Loop: Header=BB597_682 Depth=2
	ds_load_b32 v62, v93 offset:9216
	s_wait_dscnt 0x0
	v_lshrrev_b32_e32 v63, s49, v62
	v_xor_b32_e32 v62, 0x80000000, v62
	s_delay_alu instid0(VALU_DEP_2) | instskip(NEXT) | instid1(VALU_DEP_1)
	v_and_b32_e32 v63, s48, v63
	v_lshlrev_b32_e32 v63, 2, v63
	ds_load_b32 v63, v63
	s_wait_dscnt 0x0
	v_add_nc_u32_e32 v63, v63, v76
	global_store_b32 v63, v62, s[38:39] scale_offset
	s_wait_xcnt 0x0
	s_or_b32 exec_lo, exec_lo, s23
	v_cmp_lt_u32_e64 s23, v77, v137
	s_and_saveexec_b32 s24, s23
	s_cbranch_execz .LBB597_770
.LBB597_838:                            ;   in Loop: Header=BB597_682 Depth=2
	ds_load_b32 v62, v93 offset:10240
	s_wait_dscnt 0x0
	v_lshrrev_b32_e32 v63, s49, v62
	v_xor_b32_e32 v62, 0x80000000, v62
	s_delay_alu instid0(VALU_DEP_2) | instskip(NEXT) | instid1(VALU_DEP_1)
	v_and_b32_e32 v63, s48, v63
	v_lshlrev_b32_e32 v63, 2, v63
	ds_load_b32 v63, v63
	s_wait_dscnt 0x0
	v_add_nc_u32_e32 v63, v63, v77
	global_store_b32 v63, v62, s[38:39] scale_offset
	s_wait_xcnt 0x0
	s_or_b32 exec_lo, exec_lo, s24
	v_cmp_lt_u32_e64 s24, v78, v137
	s_and_saveexec_b32 s25, s24
	s_cbranch_execz .LBB597_771
.LBB597_839:                            ;   in Loop: Header=BB597_682 Depth=2
	ds_load_b32 v62, v93 offset:11264
	s_wait_dscnt 0x0
	v_lshrrev_b32_e32 v63, s49, v62
	v_xor_b32_e32 v62, 0x80000000, v62
	s_delay_alu instid0(VALU_DEP_2) | instskip(NEXT) | instid1(VALU_DEP_1)
	v_and_b32_e32 v63, s48, v63
	v_lshlrev_b32_e32 v63, 2, v63
	ds_load_b32 v63, v63
	s_wait_dscnt 0x0
	v_add_nc_u32_e32 v63, v63, v78
	global_store_b32 v63, v62, s[38:39] scale_offset
	s_wait_xcnt 0x0
	s_or_b32 exec_lo, exec_lo, s25
	v_cmp_lt_u32_e64 s25, v79, v137
	s_and_saveexec_b32 s26, s25
	s_cbranch_execz .LBB597_772
.LBB597_840:                            ;   in Loop: Header=BB597_682 Depth=2
	ds_load_b32 v62, v93 offset:12288
	s_wait_dscnt 0x0
	v_lshrrev_b32_e32 v63, s49, v62
	v_xor_b32_e32 v62, 0x80000000, v62
	s_delay_alu instid0(VALU_DEP_2) | instskip(NEXT) | instid1(VALU_DEP_1)
	v_and_b32_e32 v63, s48, v63
	v_lshlrev_b32_e32 v63, 2, v63
	ds_load_b32 v63, v63
	s_wait_dscnt 0x0
	v_add_nc_u32_e32 v63, v63, v79
	global_store_b32 v63, v62, s[38:39] scale_offset
	s_wait_xcnt 0x0
	s_or_b32 exec_lo, exec_lo, s26
	v_cmp_lt_u32_e64 s26, v80, v137
	s_and_saveexec_b32 s27, s26
	s_cbranch_execz .LBB597_773
.LBB597_841:                            ;   in Loop: Header=BB597_682 Depth=2
	ds_load_b32 v62, v93 offset:13312
	s_wait_dscnt 0x0
	v_lshrrev_b32_e32 v63, s49, v62
	v_xor_b32_e32 v62, 0x80000000, v62
	s_delay_alu instid0(VALU_DEP_2) | instskip(NEXT) | instid1(VALU_DEP_1)
	v_and_b32_e32 v63, s48, v63
	v_lshlrev_b32_e32 v63, 2, v63
	ds_load_b32 v63, v63
	s_wait_dscnt 0x0
	v_add_nc_u32_e32 v63, v63, v80
	global_store_b32 v63, v62, s[38:39] scale_offset
	s_wait_xcnt 0x0
	s_or_b32 exec_lo, exec_lo, s27
	v_cmp_lt_u32_e64 s27, v81, v137
	s_and_saveexec_b32 s28, s27
	s_cbranch_execz .LBB597_774
.LBB597_842:                            ;   in Loop: Header=BB597_682 Depth=2
	ds_load_b32 v62, v93 offset:14336
	s_wait_dscnt 0x0
	v_lshrrev_b32_e32 v63, s49, v62
	v_xor_b32_e32 v62, 0x80000000, v62
	s_delay_alu instid0(VALU_DEP_2) | instskip(NEXT) | instid1(VALU_DEP_1)
	v_and_b32_e32 v63, s48, v63
	v_lshlrev_b32_e32 v63, 2, v63
	ds_load_b32 v63, v63
	s_wait_dscnt 0x0
	v_add_nc_u32_e32 v63, v63, v81
	global_store_b32 v63, v62, s[38:39] scale_offset
	s_wait_xcnt 0x0
	s_or_b32 exec_lo, exec_lo, s28
	v_cmp_lt_u32_e64 s28, v82, v137
	s_and_saveexec_b32 s29, s28
	s_cbranch_execz .LBB597_775
.LBB597_843:                            ;   in Loop: Header=BB597_682 Depth=2
	ds_load_b32 v62, v93 offset:15360
	s_wait_dscnt 0x0
	v_lshrrev_b32_e32 v63, s49, v62
	v_xor_b32_e32 v62, 0x80000000, v62
	s_delay_alu instid0(VALU_DEP_2) | instskip(NEXT) | instid1(VALU_DEP_1)
	v_and_b32_e32 v63, s48, v63
	v_lshlrev_b32_e32 v63, 2, v63
	ds_load_b32 v63, v63
	s_wait_dscnt 0x0
	v_add_nc_u32_e32 v63, v63, v82
	global_store_b32 v63, v62, s[38:39] scale_offset
	s_wait_xcnt 0x0
	s_or_b32 exec_lo, exec_lo, s29
	v_cmp_lt_u32_e64 s29, v83, v137
	s_and_saveexec_b32 s57, s29
	s_cbranch_execnz .LBB597_776
	s_branch .LBB597_777
.LBB597_844:                            ;   in Loop: Header=BB597_682 Depth=2
	global_load_b64 v[60:61], v[62:63], off
	s_wait_xcnt 0x0
	s_or_b32 exec_lo, exec_lo, s30
	s_delay_alu instid0(SALU_CYCLE_1)
	s_mov_b32 s57, exec_lo
	v_cmpx_lt_u32_e64 v102, v137
	s_cbranch_execz .LBB597_779
.LBB597_845:                            ;   in Loop: Header=BB597_682 Depth=2
	global_load_b64 v[58:59], v[62:63], off offset:256
	s_wait_xcnt 0x0
	s_or_b32 exec_lo, exec_lo, s57
	s_delay_alu instid0(SALU_CYCLE_1)
	s_mov_b32 s57, exec_lo
	v_cmpx_lt_u32_e64 v103, v137
	s_cbranch_execz .LBB597_780
.LBB597_846:                            ;   in Loop: Header=BB597_682 Depth=2
	global_load_b64 v[56:57], v[62:63], off offset:512
	s_wait_xcnt 0x0
	s_or_b32 exec_lo, exec_lo, s57
	s_delay_alu instid0(SALU_CYCLE_1)
	s_mov_b32 s57, exec_lo
	v_cmpx_lt_u32_e64 v104, v137
	s_cbranch_execz .LBB597_781
.LBB597_847:                            ;   in Loop: Header=BB597_682 Depth=2
	global_load_b64 v[54:55], v[62:63], off offset:768
	s_wait_xcnt 0x0
	s_or_b32 exec_lo, exec_lo, s57
	s_delay_alu instid0(SALU_CYCLE_1)
	s_mov_b32 s57, exec_lo
	v_cmpx_lt_u32_e64 v105, v137
	s_cbranch_execz .LBB597_782
.LBB597_848:                            ;   in Loop: Header=BB597_682 Depth=2
	global_load_b64 v[52:53], v[62:63], off offset:1024
	s_wait_xcnt 0x0
	s_or_b32 exec_lo, exec_lo, s57
	s_delay_alu instid0(SALU_CYCLE_1)
	s_mov_b32 s57, exec_lo
	v_cmpx_lt_u32_e64 v106, v137
	s_cbranch_execz .LBB597_783
.LBB597_849:                            ;   in Loop: Header=BB597_682 Depth=2
	global_load_b64 v[50:51], v[62:63], off offset:1280
	s_wait_xcnt 0x0
	s_or_b32 exec_lo, exec_lo, s57
	s_delay_alu instid0(SALU_CYCLE_1)
	s_mov_b32 s57, exec_lo
	v_cmpx_lt_u32_e64 v107, v137
	s_cbranch_execz .LBB597_784
.LBB597_850:                            ;   in Loop: Header=BB597_682 Depth=2
	global_load_b64 v[48:49], v[62:63], off offset:1536
	s_wait_xcnt 0x0
	s_or_b32 exec_lo, exec_lo, s57
	s_delay_alu instid0(SALU_CYCLE_1)
	s_mov_b32 s57, exec_lo
	v_cmpx_lt_u32_e64 v108, v137
	s_cbranch_execz .LBB597_785
.LBB597_851:                            ;   in Loop: Header=BB597_682 Depth=2
	global_load_b64 v[46:47], v[62:63], off offset:1792
	s_wait_xcnt 0x0
	s_or_b32 exec_lo, exec_lo, s57
	s_delay_alu instid0(SALU_CYCLE_1)
	s_mov_b32 s57, exec_lo
	v_cmpx_lt_u32_e64 v109, v137
	s_cbranch_execz .LBB597_786
.LBB597_852:                            ;   in Loop: Header=BB597_682 Depth=2
	global_load_b64 v[44:45], v[62:63], off offset:2048
	s_wait_xcnt 0x0
	s_or_b32 exec_lo, exec_lo, s57
	s_delay_alu instid0(SALU_CYCLE_1)
	s_mov_b32 s57, exec_lo
	v_cmpx_lt_u32_e64 v110, v137
	s_cbranch_execz .LBB597_787
.LBB597_853:                            ;   in Loop: Header=BB597_682 Depth=2
	global_load_b64 v[42:43], v[62:63], off offset:2304
	s_wait_xcnt 0x0
	s_or_b32 exec_lo, exec_lo, s57
	s_delay_alu instid0(SALU_CYCLE_1)
	s_mov_b32 s57, exec_lo
	v_cmpx_lt_u32_e64 v111, v137
	s_cbranch_execz .LBB597_788
.LBB597_854:                            ;   in Loop: Header=BB597_682 Depth=2
	global_load_b64 v[40:41], v[62:63], off offset:2560
	s_wait_xcnt 0x0
	s_or_b32 exec_lo, exec_lo, s57
	s_delay_alu instid0(SALU_CYCLE_1)
	s_mov_b32 s57, exec_lo
	v_cmpx_lt_u32_e64 v112, v137
	s_cbranch_execz .LBB597_789
.LBB597_855:                            ;   in Loop: Header=BB597_682 Depth=2
	global_load_b64 v[38:39], v[62:63], off offset:2816
	s_wait_xcnt 0x0
	s_or_b32 exec_lo, exec_lo, s57
	s_delay_alu instid0(SALU_CYCLE_1)
	s_mov_b32 s57, exec_lo
	v_cmpx_lt_u32_e64 v113, v137
	s_cbranch_execz .LBB597_790
.LBB597_856:                            ;   in Loop: Header=BB597_682 Depth=2
	global_load_b64 v[36:37], v[62:63], off offset:3072
	s_wait_xcnt 0x0
	s_or_b32 exec_lo, exec_lo, s57
	s_delay_alu instid0(SALU_CYCLE_1)
	s_mov_b32 s57, exec_lo
	v_cmpx_lt_u32_e64 v114, v137
	s_cbranch_execz .LBB597_791
.LBB597_857:                            ;   in Loop: Header=BB597_682 Depth=2
	global_load_b64 v[34:35], v[62:63], off offset:3328
	s_wait_xcnt 0x0
	s_or_b32 exec_lo, exec_lo, s57
	s_delay_alu instid0(SALU_CYCLE_1)
	s_mov_b32 s57, exec_lo
	v_cmpx_lt_u32_e64 v115, v137
	s_cbranch_execz .LBB597_792
.LBB597_858:                            ;   in Loop: Header=BB597_682 Depth=2
	global_load_b64 v[32:33], v[62:63], off offset:3584
	s_wait_xcnt 0x0
	s_or_b32 exec_lo, exec_lo, s57
	s_delay_alu instid0(SALU_CYCLE_1)
	s_mov_b32 s57, exec_lo
	v_cmpx_lt_u32_e64 v116, v137
	s_cbranch_execz .LBB597_793
.LBB597_859:                            ;   in Loop: Header=BB597_682 Depth=2
	global_load_b64 v[30:31], v[62:63], off offset:3840
	s_wait_xcnt 0x0
	s_or_b32 exec_lo, exec_lo, s57
	s_and_saveexec_b32 s30, vcc_lo
	s_cbranch_execz .LBB597_794
.LBB597_860:                            ;   in Loop: Header=BB597_682 Depth=2
	ds_load_b32 v62, v93 offset:1024
	s_wait_dscnt 0x0
	v_lshrrev_b32_e32 v62, s49, v62
	s_delay_alu instid0(VALU_DEP_1)
	v_and_b32_e32 v136, s48, v62
	s_or_b32 exec_lo, exec_lo, s30
	s_and_saveexec_b32 s30, s15
	s_cbranch_execz .LBB597_795
.LBB597_861:                            ;   in Loop: Header=BB597_682 Depth=2
	ds_load_b32 v62, v93 offset:2048
	s_wait_dscnt 0x0
	v_lshrrev_b32_e32 v62, s49, v62
	s_delay_alu instid0(VALU_DEP_1)
	v_and_b32_e32 v135, s48, v62
	s_or_b32 exec_lo, exec_lo, s30
	s_and_saveexec_b32 s30, s16
	s_cbranch_execz .LBB597_796
.LBB597_862:                            ;   in Loop: Header=BB597_682 Depth=2
	ds_load_b32 v62, v93 offset:3072
	s_wait_dscnt 0x0
	v_lshrrev_b32_e32 v62, s49, v62
	s_delay_alu instid0(VALU_DEP_1)
	v_and_b32_e32 v134, s48, v62
	s_or_b32 exec_lo, exec_lo, s30
	s_and_saveexec_b32 s30, s17
	s_cbranch_execz .LBB597_797
.LBB597_863:                            ;   in Loop: Header=BB597_682 Depth=2
	ds_load_b32 v62, v93 offset:4096
	s_wait_dscnt 0x0
	v_lshrrev_b32_e32 v62, s49, v62
	s_delay_alu instid0(VALU_DEP_1)
	v_and_b32_e32 v133, s48, v62
	s_or_b32 exec_lo, exec_lo, s30
	s_and_saveexec_b32 s30, s18
	s_cbranch_execz .LBB597_798
.LBB597_864:                            ;   in Loop: Header=BB597_682 Depth=2
	ds_load_b32 v62, v93 offset:5120
	s_wait_dscnt 0x0
	v_lshrrev_b32_e32 v62, s49, v62
	s_delay_alu instid0(VALU_DEP_1)
	v_and_b32_e32 v132, s48, v62
	s_or_b32 exec_lo, exec_lo, s30
	s_and_saveexec_b32 s30, s19
	s_cbranch_execz .LBB597_799
.LBB597_865:                            ;   in Loop: Header=BB597_682 Depth=2
	ds_load_b32 v62, v93 offset:6144
	s_wait_dscnt 0x0
	v_lshrrev_b32_e32 v62, s49, v62
	s_delay_alu instid0(VALU_DEP_1)
	v_and_b32_e32 v131, s48, v62
	s_or_b32 exec_lo, exec_lo, s30
	s_and_saveexec_b32 s30, s20
	s_cbranch_execz .LBB597_800
.LBB597_866:                            ;   in Loop: Header=BB597_682 Depth=2
	ds_load_b32 v62, v93 offset:7168
	s_wait_dscnt 0x0
	v_lshrrev_b32_e32 v62, s49, v62
	s_delay_alu instid0(VALU_DEP_1)
	v_and_b32_e32 v130, s48, v62
	s_or_b32 exec_lo, exec_lo, s30
	s_and_saveexec_b32 s30, s21
	s_cbranch_execz .LBB597_801
.LBB597_867:                            ;   in Loop: Header=BB597_682 Depth=2
	ds_load_b32 v62, v93 offset:8192
	s_wait_dscnt 0x0
	v_lshrrev_b32_e32 v62, s49, v62
	s_delay_alu instid0(VALU_DEP_1)
	v_and_b32_e32 v129, s48, v62
	s_or_b32 exec_lo, exec_lo, s30
	s_and_saveexec_b32 s30, s22
	s_cbranch_execz .LBB597_802
.LBB597_868:                            ;   in Loop: Header=BB597_682 Depth=2
	ds_load_b32 v62, v93 offset:9216
	s_wait_dscnt 0x0
	v_lshrrev_b32_e32 v62, s49, v62
	s_delay_alu instid0(VALU_DEP_1)
	v_and_b32_e32 v128, s48, v62
	s_or_b32 exec_lo, exec_lo, s30
	s_and_saveexec_b32 s30, s23
	s_cbranch_execz .LBB597_803
.LBB597_869:                            ;   in Loop: Header=BB597_682 Depth=2
	ds_load_b32 v62, v93 offset:10240
	s_wait_dscnt 0x0
	v_lshrrev_b32_e32 v62, s49, v62
	s_delay_alu instid0(VALU_DEP_1)
	v_and_b32_e32 v127, s48, v62
	s_or_b32 exec_lo, exec_lo, s30
	s_and_saveexec_b32 s30, s24
	s_cbranch_execz .LBB597_804
.LBB597_870:                            ;   in Loop: Header=BB597_682 Depth=2
	ds_load_b32 v62, v93 offset:11264
	s_wait_dscnt 0x0
	v_lshrrev_b32_e32 v62, s49, v62
	s_delay_alu instid0(VALU_DEP_1)
	v_and_b32_e32 v126, s48, v62
	s_or_b32 exec_lo, exec_lo, s30
	s_and_saveexec_b32 s30, s25
	s_cbranch_execz .LBB597_805
.LBB597_871:                            ;   in Loop: Header=BB597_682 Depth=2
	ds_load_b32 v62, v93 offset:12288
	s_wait_dscnt 0x0
	v_lshrrev_b32_e32 v62, s49, v62
	s_delay_alu instid0(VALU_DEP_1)
	v_and_b32_e32 v125, s48, v62
	s_or_b32 exec_lo, exec_lo, s30
	s_and_saveexec_b32 s30, s26
	s_cbranch_execz .LBB597_806
.LBB597_872:                            ;   in Loop: Header=BB597_682 Depth=2
	ds_load_b32 v62, v93 offset:13312
	s_wait_dscnt 0x0
	v_lshrrev_b32_e32 v62, s49, v62
	s_delay_alu instid0(VALU_DEP_1)
	v_and_b32_e32 v124, s48, v62
	s_or_b32 exec_lo, exec_lo, s30
	s_and_saveexec_b32 s30, s27
	s_cbranch_execz .LBB597_807
.LBB597_873:                            ;   in Loop: Header=BB597_682 Depth=2
	ds_load_b32 v62, v93 offset:14336
	s_wait_dscnt 0x0
	v_lshrrev_b32_e32 v62, s49, v62
	s_delay_alu instid0(VALU_DEP_1)
	v_and_b32_e32 v123, s48, v62
	s_or_b32 exec_lo, exec_lo, s30
	s_and_saveexec_b32 s30, s28
	s_cbranch_execz .LBB597_808
.LBB597_874:                            ;   in Loop: Header=BB597_682 Depth=2
	ds_load_b32 v62, v93 offset:15360
	s_wait_dscnt 0x0
	v_lshrrev_b32_e32 v62, s49, v62
	s_delay_alu instid0(VALU_DEP_1)
	v_and_b32_e32 v122, s48, v62
	s_or_b32 exec_lo, exec_lo, s30
	s_and_saveexec_b32 s30, s29
	s_cbranch_execnz .LBB597_809
	s_branch .LBB597_810
.LBB597_875:                            ;   in Loop: Header=BB597_682 Depth=2
	v_lshlrev_b32_e32 v62, 2, v136
	v_add_nc_u32_e32 v63, v93, v4
	ds_load_b32 v65, v62
	ds_load_b64 v[62:63], v63 offset:1024
	s_wait_dscnt 0x1
	v_add_nc_u32_e32 v65, v65, v2
	s_wait_dscnt 0x0
	global_store_b64 v65, v[62:63], s[44:45] scale_offset
	s_wait_xcnt 0x0
	s_or_b32 exec_lo, exec_lo, s30
	s_and_saveexec_b32 s30, s15
	s_cbranch_execz .LBB597_812
.LBB597_876:                            ;   in Loop: Header=BB597_682 Depth=2
	v_dual_lshlrev_b32 v62, 2, v135 :: v_dual_add_nc_u32 v63, v93, v4
	ds_load_b32 v65, v62
	ds_load_b64 v[62:63], v63 offset:3072
	s_wait_dscnt 0x1
	v_add_nc_u32_e32 v65, v65, v3
	s_wait_dscnt 0x0
	global_store_b64 v65, v[62:63], s[44:45] scale_offset
	s_wait_xcnt 0x0
	s_or_b32 exec_lo, exec_lo, s30
	s_and_saveexec_b32 s15, s16
	s_cbranch_execz .LBB597_813
.LBB597_877:                            ;   in Loop: Header=BB597_682 Depth=2
	v_dual_lshlrev_b32 v62, 2, v134 :: v_dual_add_nc_u32 v63, v93, v4
	ds_load_b32 v65, v62
	ds_load_b64 v[62:63], v63 offset:5120
	s_wait_dscnt 0x1
	v_add_nc_u32_e32 v65, v65, v70
	s_wait_dscnt 0x0
	global_store_b64 v65, v[62:63], s[44:45] scale_offset
	s_wait_xcnt 0x0
	s_or_b32 exec_lo, exec_lo, s15
	s_and_saveexec_b32 s15, s17
	s_cbranch_execz .LBB597_814
.LBB597_878:                            ;   in Loop: Header=BB597_682 Depth=2
	v_dual_lshlrev_b32 v62, 2, v133 :: v_dual_add_nc_u32 v63, v93, v4
	ds_load_b32 v65, v62
	ds_load_b64 v[62:63], v63 offset:7168
	s_wait_dscnt 0x1
	v_add_nc_u32_e32 v65, v65, v71
	s_wait_dscnt 0x0
	global_store_b64 v65, v[62:63], s[44:45] scale_offset
	s_wait_xcnt 0x0
	s_or_b32 exec_lo, exec_lo, s15
	s_and_saveexec_b32 s15, s18
	s_cbranch_execz .LBB597_815
.LBB597_879:                            ;   in Loop: Header=BB597_682 Depth=2
	v_lshlrev_b32_e32 v62, 2, v132
	v_add_nc_u32_e32 v63, v93, v4
	ds_load_b32 v65, v62
	ds_load_b64 v[62:63], v63 offset:9216
	s_wait_dscnt 0x1
	v_add_nc_u32_e32 v65, v65, v72
	s_wait_dscnt 0x0
	global_store_b64 v65, v[62:63], s[44:45] scale_offset
	s_wait_xcnt 0x0
	s_or_b32 exec_lo, exec_lo, s15
	s_and_saveexec_b32 s15, s19
	s_cbranch_execz .LBB597_816
.LBB597_880:                            ;   in Loop: Header=BB597_682 Depth=2
	v_dual_lshlrev_b32 v62, 2, v131 :: v_dual_add_nc_u32 v63, v93, v4
	ds_load_b32 v65, v62
	ds_load_b64 v[62:63], v63 offset:11264
	s_wait_dscnt 0x1
	v_add_nc_u32_e32 v65, v65, v73
	s_wait_dscnt 0x0
	global_store_b64 v65, v[62:63], s[44:45] scale_offset
	s_wait_xcnt 0x0
	s_or_b32 exec_lo, exec_lo, s15
	s_and_saveexec_b32 s15, s20
	s_cbranch_execz .LBB597_817
.LBB597_881:                            ;   in Loop: Header=BB597_682 Depth=2
	v_dual_lshlrev_b32 v62, 2, v130 :: v_dual_add_nc_u32 v63, v93, v4
	ds_load_b32 v65, v62
	ds_load_b64 v[62:63], v63 offset:13312
	s_wait_dscnt 0x1
	v_add_nc_u32_e32 v65, v65, v74
	s_wait_dscnt 0x0
	global_store_b64 v65, v[62:63], s[44:45] scale_offset
	s_wait_xcnt 0x0
	s_or_b32 exec_lo, exec_lo, s15
	s_and_saveexec_b32 s15, s21
	s_cbranch_execz .LBB597_818
.LBB597_882:                            ;   in Loop: Header=BB597_682 Depth=2
	v_dual_lshlrev_b32 v62, 2, v129 :: v_dual_add_nc_u32 v63, v93, v4
	ds_load_b32 v65, v62
	ds_load_b64 v[62:63], v63 offset:15360
	s_wait_dscnt 0x1
	v_add_nc_u32_e32 v65, v65, v75
	s_wait_dscnt 0x0
	global_store_b64 v65, v[62:63], s[44:45] scale_offset
	s_wait_xcnt 0x0
	s_or_b32 exec_lo, exec_lo, s15
	s_and_saveexec_b32 s15, s22
	s_cbranch_execz .LBB597_819
.LBB597_883:                            ;   in Loop: Header=BB597_682 Depth=2
	v_lshlrev_b32_e32 v62, 2, v128
	v_add_nc_u32_e32 v63, v93, v4
	ds_load_b32 v65, v62
	ds_load_b64 v[62:63], v63 offset:17408
	s_wait_dscnt 0x1
	v_add_nc_u32_e32 v65, v65, v76
	s_wait_dscnt 0x0
	global_store_b64 v65, v[62:63], s[44:45] scale_offset
	s_wait_xcnt 0x0
	s_or_b32 exec_lo, exec_lo, s15
	s_and_saveexec_b32 s15, s23
	s_cbranch_execz .LBB597_820
.LBB597_884:                            ;   in Loop: Header=BB597_682 Depth=2
	v_dual_lshlrev_b32 v62, 2, v127 :: v_dual_add_nc_u32 v63, v93, v4
	ds_load_b32 v65, v62
	ds_load_b64 v[62:63], v63 offset:19456
	s_wait_dscnt 0x1
	v_add_nc_u32_e32 v65, v65, v77
	s_wait_dscnt 0x0
	global_store_b64 v65, v[62:63], s[44:45] scale_offset
	s_wait_xcnt 0x0
	s_or_b32 exec_lo, exec_lo, s15
	s_and_saveexec_b32 s15, s24
	s_cbranch_execz .LBB597_821
.LBB597_885:                            ;   in Loop: Header=BB597_682 Depth=2
	v_dual_lshlrev_b32 v62, 2, v126 :: v_dual_add_nc_u32 v63, v93, v4
	ds_load_b32 v65, v62
	ds_load_b64 v[62:63], v63 offset:21504
	s_wait_dscnt 0x1
	v_add_nc_u32_e32 v65, v65, v78
	s_wait_dscnt 0x0
	global_store_b64 v65, v[62:63], s[44:45] scale_offset
	s_wait_xcnt 0x0
	s_or_b32 exec_lo, exec_lo, s15
	s_and_saveexec_b32 s15, s25
	s_cbranch_execz .LBB597_822
.LBB597_886:                            ;   in Loop: Header=BB597_682 Depth=2
	v_dual_lshlrev_b32 v62, 2, v125 :: v_dual_add_nc_u32 v63, v93, v4
	ds_load_b32 v65, v62
	ds_load_b64 v[62:63], v63 offset:23552
	s_wait_dscnt 0x1
	v_add_nc_u32_e32 v65, v65, v79
	s_wait_dscnt 0x0
	global_store_b64 v65, v[62:63], s[44:45] scale_offset
	s_wait_xcnt 0x0
	s_or_b32 exec_lo, exec_lo, s15
	s_and_saveexec_b32 s15, s26
	s_cbranch_execz .LBB597_823
.LBB597_887:                            ;   in Loop: Header=BB597_682 Depth=2
	v_lshlrev_b32_e32 v62, 2, v124
	v_add_nc_u32_e32 v63, v93, v4
	ds_load_b32 v65, v62
	ds_load_b64 v[62:63], v63 offset:25600
	s_wait_dscnt 0x1
	v_add_nc_u32_e32 v65, v65, v80
	s_wait_dscnt 0x0
	global_store_b64 v65, v[62:63], s[44:45] scale_offset
	s_wait_xcnt 0x0
	s_or_b32 exec_lo, exec_lo, s15
	s_and_saveexec_b32 s15, s27
	s_cbranch_execz .LBB597_824
.LBB597_888:                            ;   in Loop: Header=BB597_682 Depth=2
	v_dual_lshlrev_b32 v62, 2, v123 :: v_dual_add_nc_u32 v63, v93, v4
	ds_load_b32 v65, v62
	ds_load_b64 v[62:63], v63 offset:27648
	s_wait_dscnt 0x1
	v_add_nc_u32_e32 v65, v65, v81
	s_wait_dscnt 0x0
	global_store_b64 v65, v[62:63], s[44:45] scale_offset
	s_wait_xcnt 0x0
	s_or_b32 exec_lo, exec_lo, s15
	s_and_saveexec_b32 s15, s28
	s_cbranch_execz .LBB597_825
.LBB597_889:                            ;   in Loop: Header=BB597_682 Depth=2
	v_dual_lshlrev_b32 v62, 2, v122 :: v_dual_add_nc_u32 v63, v93, v4
	ds_load_b32 v65, v62
	ds_load_b64 v[62:63], v63 offset:29696
	s_wait_dscnt 0x1
	v_add_nc_u32_e32 v65, v65, v82
	s_wait_dscnt 0x0
	global_store_b64 v65, v[62:63], s[44:45] scale_offset
	s_wait_xcnt 0x0
	s_or_b32 exec_lo, exec_lo, s15
	s_and_saveexec_b32 s15, s29
	s_cbranch_execnz .LBB597_826
	s_branch .LBB597_827
.LBB597_890:                            ;   in Loop: Header=BB597_12 Depth=1
	s_wait_dscnt 0x0
	s_barrier_signal -1
	s_mov_b32 s7, 0
	s_barrier_wait -1
.LBB597_891:                            ;   in Loop: Header=BB597_12 Depth=1
	s_and_b32 vcc_lo, exec_lo, s7
	s_cbranch_vccz .LBB597_11
; %bb.892:                              ;   in Loop: Header=BB597_12 Depth=1
	s_mov_b32 s7, s54
	s_mov_b32 s30, s52
	s_barrier_signal -1
	s_barrier_wait -1
                                        ; implicit-def: $vgpr25
                                        ; implicit-def: $vgpr26
                                        ; implicit-def: $vgpr27
                                        ; implicit-def: $vgpr28
                                        ; implicit-def: $vgpr29
                                        ; implicit-def: $vgpr30
                                        ; implicit-def: $vgpr31
                                        ; implicit-def: $vgpr32
                                        ; implicit-def: $vgpr33
                                        ; implicit-def: $vgpr34
                                        ; implicit-def: $vgpr35
                                        ; implicit-def: $vgpr36
                                        ; implicit-def: $vgpr37
                                        ; implicit-def: $vgpr38
                                        ; implicit-def: $vgpr39
                                        ; implicit-def: $vgpr40
	s_branch .LBB597_894
.LBB597_893:                            ;   in Loop: Header=BB597_894 Depth=2
	s_or_b32 exec_lo, exec_lo, s8
	s_addk_co_i32 s7, 0xf000
	s_cmp_ge_u32 s10, s51
	s_mov_b32 s30, s10
	s_cbranch_scc1 .LBB597_962
.LBB597_894:                            ;   Parent Loop BB597_12 Depth=1
                                        ; =>  This Inner Loop Header: Depth=2
	s_add_co_i32 s10, s30, 0x1000
	s_mov_b32 s8, -1
	s_cmp_gt_u32 s10, s51
                                        ; implicit-def: $vgpr41
                                        ; implicit-def: $vgpr42
                                        ; implicit-def: $vgpr43
                                        ; implicit-def: $vgpr44
                                        ; implicit-def: $vgpr45
                                        ; implicit-def: $vgpr46
                                        ; implicit-def: $vgpr47
                                        ; implicit-def: $vgpr48
                                        ; implicit-def: $vgpr49
                                        ; implicit-def: $vgpr50
                                        ; implicit-def: $vgpr51
                                        ; implicit-def: $vgpr52
                                        ; implicit-def: $vgpr53
                                        ; implicit-def: $vgpr54
                                        ; implicit-def: $vgpr55
                                        ; implicit-def: $vgpr56
	s_cbranch_scc1 .LBB597_896
; %bb.895:                              ;   in Loop: Header=BB597_894 Depth=2
	v_lshl_add_u64 v[56:57], s[30:31], 2, v[22:23]
	s_mov_b32 s8, 0
	s_clause 0xf
	global_load_b32 v41, v[56:57], off
	global_load_b32 v42, v[56:57], off offset:1024
	global_load_b32 v43, v[56:57], off offset:2048
	;; [unrolled: 1-line block ×15, first 2 shown]
.LBB597_896:                            ;   in Loop: Header=BB597_894 Depth=2
	s_and_not1_b32 vcc_lo, exec_lo, s8
	s_movk_i32 s8, 0x1000
	s_cbranch_vccnz .LBB597_915
; %bb.897:                              ;   in Loop: Header=BB597_894 Depth=2
	s_lshl_b64 s[8:9], s[30:31], 2
	s_mov_b32 s11, exec_lo
	s_add_nc_u64 s[8:9], s[36:37], s[8:9]
	s_wait_xcnt 0x0
	v_cmpx_gt_u32_e64 s7, v2
	s_cbranch_execnz .LBB597_947
; %bb.898:                              ;   in Loop: Header=BB597_894 Depth=2
	s_or_b32 exec_lo, exec_lo, s11
	s_delay_alu instid0(SALU_CYCLE_1)
	s_mov_b32 s11, exec_lo
	v_cmpx_gt_u32_e64 s7, v3
	s_cbranch_execnz .LBB597_948
.LBB597_899:                            ;   in Loop: Header=BB597_894 Depth=2
	s_or_b32 exec_lo, exec_lo, s11
	s_delay_alu instid0(SALU_CYCLE_1)
	s_mov_b32 s11, exec_lo
	v_cmpx_gt_u32_e64 s7, v70
	s_cbranch_execnz .LBB597_949
.LBB597_900:                            ;   in Loop: Header=BB597_894 Depth=2
	s_or_b32 exec_lo, exec_lo, s11
	s_delay_alu instid0(SALU_CYCLE_1)
	s_mov_b32 s11, exec_lo
	v_cmpx_gt_u32_e64 s7, v71
	s_cbranch_execnz .LBB597_950
.LBB597_901:                            ;   in Loop: Header=BB597_894 Depth=2
	s_or_b32 exec_lo, exec_lo, s11
	s_delay_alu instid0(SALU_CYCLE_1)
	s_mov_b32 s11, exec_lo
	v_cmpx_gt_u32_e64 s7, v72
	s_cbranch_execnz .LBB597_951
.LBB597_902:                            ;   in Loop: Header=BB597_894 Depth=2
	s_or_b32 exec_lo, exec_lo, s11
	s_delay_alu instid0(SALU_CYCLE_1)
	s_mov_b32 s11, exec_lo
	v_cmpx_gt_u32_e64 s7, v73
	s_cbranch_execnz .LBB597_952
.LBB597_903:                            ;   in Loop: Header=BB597_894 Depth=2
	s_or_b32 exec_lo, exec_lo, s11
	s_delay_alu instid0(SALU_CYCLE_1)
	s_mov_b32 s11, exec_lo
	v_cmpx_gt_u32_e64 s7, v74
	s_cbranch_execnz .LBB597_953
.LBB597_904:                            ;   in Loop: Header=BB597_894 Depth=2
	s_or_b32 exec_lo, exec_lo, s11
	s_delay_alu instid0(SALU_CYCLE_1)
	s_mov_b32 s11, exec_lo
	v_cmpx_gt_u32_e64 s7, v75
	s_cbranch_execnz .LBB597_954
.LBB597_905:                            ;   in Loop: Header=BB597_894 Depth=2
	s_or_b32 exec_lo, exec_lo, s11
	s_delay_alu instid0(SALU_CYCLE_1)
	s_mov_b32 s11, exec_lo
	v_cmpx_gt_u32_e64 s7, v76
	s_cbranch_execnz .LBB597_955
.LBB597_906:                            ;   in Loop: Header=BB597_894 Depth=2
	s_or_b32 exec_lo, exec_lo, s11
	s_delay_alu instid0(SALU_CYCLE_1)
	s_mov_b32 s11, exec_lo
	v_cmpx_gt_u32_e64 s7, v77
	s_cbranch_execnz .LBB597_956
.LBB597_907:                            ;   in Loop: Header=BB597_894 Depth=2
	s_or_b32 exec_lo, exec_lo, s11
	s_delay_alu instid0(SALU_CYCLE_1)
	s_mov_b32 s11, exec_lo
	v_cmpx_gt_u32_e64 s7, v78
	s_cbranch_execnz .LBB597_957
.LBB597_908:                            ;   in Loop: Header=BB597_894 Depth=2
	s_or_b32 exec_lo, exec_lo, s11
	s_delay_alu instid0(SALU_CYCLE_1)
	s_mov_b32 s11, exec_lo
	v_cmpx_gt_u32_e64 s7, v79
	s_cbranch_execnz .LBB597_958
.LBB597_909:                            ;   in Loop: Header=BB597_894 Depth=2
	s_or_b32 exec_lo, exec_lo, s11
	s_delay_alu instid0(SALU_CYCLE_1)
	s_mov_b32 s11, exec_lo
	v_cmpx_gt_u32_e64 s7, v80
	s_cbranch_execnz .LBB597_959
.LBB597_910:                            ;   in Loop: Header=BB597_894 Depth=2
	s_or_b32 exec_lo, exec_lo, s11
	s_delay_alu instid0(SALU_CYCLE_1)
	s_mov_b32 s11, exec_lo
	v_cmpx_gt_u32_e64 s7, v81
	s_cbranch_execnz .LBB597_960
.LBB597_911:                            ;   in Loop: Header=BB597_894 Depth=2
	s_or_b32 exec_lo, exec_lo, s11
	s_delay_alu instid0(SALU_CYCLE_1)
	s_mov_b32 s11, exec_lo
	v_cmpx_gt_u32_e64 s7, v82
	s_cbranch_execnz .LBB597_961
.LBB597_912:                            ;   in Loop: Header=BB597_894 Depth=2
	s_or_b32 exec_lo, exec_lo, s11
	s_delay_alu instid0(SALU_CYCLE_1)
	s_mov_b32 s11, exec_lo
	v_cmpx_gt_u32_e64 s7, v83
	s_cbranch_execz .LBB597_914
.LBB597_913:                            ;   in Loop: Header=BB597_894 Depth=2
	global_load_b32 v25, v2, s[8:9] offset:15360 scale_offset
.LBB597_914:                            ;   in Loop: Header=BB597_894 Depth=2
	s_wait_xcnt 0x0
	s_or_b32 exec_lo, exec_lo, s11
	s_wait_loadcnt 0x0
	v_dual_mov_b32 v41, v40 :: v_dual_mov_b32 v42, v39
	v_dual_mov_b32 v43, v38 :: v_dual_mov_b32 v44, v37
	;; [unrolled: 1-line block ×8, first 2 shown]
	s_mov_b32 s8, s7
.LBB597_915:                            ;   in Loop: Header=BB597_894 Depth=2
	s_wait_loadcnt 0x0
	s_delay_alu instid0(VALU_DEP_1)
	v_dual_mov_b32 v25, v56 :: v_dual_mov_b32 v26, v55
	v_dual_mov_b32 v27, v54 :: v_dual_mov_b32 v28, v53
	;; [unrolled: 1-line block ×8, first 2 shown]
	s_mov_b32 s9, exec_lo
	s_wait_xcnt 0x0
	v_cmpx_gt_u32_e64 s8, v2
	s_cbranch_execnz .LBB597_931
; %bb.916:                              ;   in Loop: Header=BB597_894 Depth=2
	s_or_b32 exec_lo, exec_lo, s9
	s_delay_alu instid0(SALU_CYCLE_1)
	s_mov_b32 s9, exec_lo
	v_cmpx_gt_u32_e64 s8, v3
	s_cbranch_execnz .LBB597_932
.LBB597_917:                            ;   in Loop: Header=BB597_894 Depth=2
	s_or_b32 exec_lo, exec_lo, s9
	s_delay_alu instid0(SALU_CYCLE_1)
	s_mov_b32 s9, exec_lo
	v_cmpx_gt_u32_e64 s8, v70
	s_cbranch_execnz .LBB597_933
.LBB597_918:                            ;   in Loop: Header=BB597_894 Depth=2
	s_or_b32 exec_lo, exec_lo, s9
	s_delay_alu instid0(SALU_CYCLE_1)
	s_mov_b32 s9, exec_lo
	v_cmpx_gt_u32_e64 s8, v71
	s_cbranch_execnz .LBB597_934
.LBB597_919:                            ;   in Loop: Header=BB597_894 Depth=2
	s_or_b32 exec_lo, exec_lo, s9
	s_delay_alu instid0(SALU_CYCLE_1)
	s_mov_b32 s9, exec_lo
	v_cmpx_gt_u32_e64 s8, v72
	s_cbranch_execnz .LBB597_935
.LBB597_920:                            ;   in Loop: Header=BB597_894 Depth=2
	s_or_b32 exec_lo, exec_lo, s9
	s_delay_alu instid0(SALU_CYCLE_1)
	s_mov_b32 s9, exec_lo
	v_cmpx_gt_u32_e64 s8, v73
	s_cbranch_execnz .LBB597_936
.LBB597_921:                            ;   in Loop: Header=BB597_894 Depth=2
	s_or_b32 exec_lo, exec_lo, s9
	s_delay_alu instid0(SALU_CYCLE_1)
	s_mov_b32 s9, exec_lo
	v_cmpx_gt_u32_e64 s8, v74
	s_cbranch_execnz .LBB597_937
.LBB597_922:                            ;   in Loop: Header=BB597_894 Depth=2
	s_or_b32 exec_lo, exec_lo, s9
	s_delay_alu instid0(SALU_CYCLE_1)
	s_mov_b32 s9, exec_lo
	v_cmpx_gt_u32_e64 s8, v75
	s_cbranch_execnz .LBB597_938
.LBB597_923:                            ;   in Loop: Header=BB597_894 Depth=2
	s_or_b32 exec_lo, exec_lo, s9
	s_delay_alu instid0(SALU_CYCLE_1)
	s_mov_b32 s9, exec_lo
	v_cmpx_gt_u32_e64 s8, v76
	s_cbranch_execnz .LBB597_939
.LBB597_924:                            ;   in Loop: Header=BB597_894 Depth=2
	s_or_b32 exec_lo, exec_lo, s9
	s_delay_alu instid0(SALU_CYCLE_1)
	s_mov_b32 s9, exec_lo
	v_cmpx_gt_u32_e64 s8, v77
	s_cbranch_execnz .LBB597_940
.LBB597_925:                            ;   in Loop: Header=BB597_894 Depth=2
	s_or_b32 exec_lo, exec_lo, s9
	s_delay_alu instid0(SALU_CYCLE_1)
	s_mov_b32 s9, exec_lo
	v_cmpx_gt_u32_e64 s8, v78
	s_cbranch_execnz .LBB597_941
.LBB597_926:                            ;   in Loop: Header=BB597_894 Depth=2
	s_or_b32 exec_lo, exec_lo, s9
	s_delay_alu instid0(SALU_CYCLE_1)
	s_mov_b32 s9, exec_lo
	v_cmpx_gt_u32_e64 s8, v79
	s_cbranch_execnz .LBB597_942
.LBB597_927:                            ;   in Loop: Header=BB597_894 Depth=2
	s_or_b32 exec_lo, exec_lo, s9
	s_delay_alu instid0(SALU_CYCLE_1)
	s_mov_b32 s9, exec_lo
	v_cmpx_gt_u32_e64 s8, v80
	s_cbranch_execnz .LBB597_943
.LBB597_928:                            ;   in Loop: Header=BB597_894 Depth=2
	s_or_b32 exec_lo, exec_lo, s9
	s_delay_alu instid0(SALU_CYCLE_1)
	s_mov_b32 s9, exec_lo
	v_cmpx_gt_u32_e64 s8, v81
	s_cbranch_execnz .LBB597_944
.LBB597_929:                            ;   in Loop: Header=BB597_894 Depth=2
	s_or_b32 exec_lo, exec_lo, s9
	s_delay_alu instid0(SALU_CYCLE_1)
	s_mov_b32 s9, exec_lo
	v_cmpx_gt_u32_e64 s8, v82
	s_cbranch_execnz .LBB597_945
.LBB597_930:                            ;   in Loop: Header=BB597_894 Depth=2
	s_or_b32 exec_lo, exec_lo, s9
	v_cmp_gt_u32_e32 vcc_lo, s8, v83
	s_and_saveexec_b32 s8, vcc_lo
	s_cbranch_execz .LBB597_893
	s_branch .LBB597_946
.LBB597_931:                            ;   in Loop: Header=BB597_894 Depth=2
	v_xor_b32_e32 v41, 0x80000000, v40
	s_delay_alu instid0(VALU_DEP_1) | instskip(NEXT) | instid1(VALU_DEP_1)
	v_lshrrev_b32_e32 v41, s49, v41
	v_and_b32_e32 v41, s48, v41
	s_delay_alu instid0(VALU_DEP_1) | instskip(SKIP_2) | instid1(SALU_CYCLE_1)
	v_lshl_or_b32 v41, v41, 4, v84
	ds_add_u32 v41, v95
	s_or_b32 exec_lo, exec_lo, s9
	s_mov_b32 s9, exec_lo
	v_cmpx_gt_u32_e64 s8, v3
	s_cbranch_execz .LBB597_917
.LBB597_932:                            ;   in Loop: Header=BB597_894 Depth=2
	v_xor_b32_e32 v41, 0x80000000, v39
	s_delay_alu instid0(VALU_DEP_1) | instskip(NEXT) | instid1(VALU_DEP_1)
	v_lshrrev_b32_e32 v41, s49, v41
	v_and_b32_e32 v41, s48, v41
	s_delay_alu instid0(VALU_DEP_1) | instskip(SKIP_2) | instid1(SALU_CYCLE_1)
	v_lshl_or_b32 v41, v41, 4, v84
	ds_add_u32 v41, v95
	s_or_b32 exec_lo, exec_lo, s9
	s_mov_b32 s9, exec_lo
	v_cmpx_gt_u32_e64 s8, v70
	s_cbranch_execz .LBB597_918
.LBB597_933:                            ;   in Loop: Header=BB597_894 Depth=2
	v_xor_b32_e32 v41, 0x80000000, v38
	s_delay_alu instid0(VALU_DEP_1) | instskip(NEXT) | instid1(VALU_DEP_1)
	v_lshrrev_b32_e32 v41, s49, v41
	v_and_b32_e32 v41, s48, v41
	s_delay_alu instid0(VALU_DEP_1) | instskip(SKIP_2) | instid1(SALU_CYCLE_1)
	v_lshl_or_b32 v41, v41, 4, v84
	ds_add_u32 v41, v95
	s_or_b32 exec_lo, exec_lo, s9
	s_mov_b32 s9, exec_lo
	v_cmpx_gt_u32_e64 s8, v71
	s_cbranch_execz .LBB597_919
.LBB597_934:                            ;   in Loop: Header=BB597_894 Depth=2
	v_xor_b32_e32 v41, 0x80000000, v37
	s_delay_alu instid0(VALU_DEP_1) | instskip(NEXT) | instid1(VALU_DEP_1)
	v_lshrrev_b32_e32 v41, s49, v41
	v_and_b32_e32 v41, s48, v41
	s_delay_alu instid0(VALU_DEP_1) | instskip(SKIP_2) | instid1(SALU_CYCLE_1)
	v_lshl_or_b32 v41, v41, 4, v84
	ds_add_u32 v41, v95
	s_or_b32 exec_lo, exec_lo, s9
	s_mov_b32 s9, exec_lo
	v_cmpx_gt_u32_e64 s8, v72
	s_cbranch_execz .LBB597_920
.LBB597_935:                            ;   in Loop: Header=BB597_894 Depth=2
	v_xor_b32_e32 v41, 0x80000000, v36
	s_delay_alu instid0(VALU_DEP_1) | instskip(NEXT) | instid1(VALU_DEP_1)
	v_lshrrev_b32_e32 v41, s49, v41
	v_and_b32_e32 v41, s48, v41
	s_delay_alu instid0(VALU_DEP_1) | instskip(SKIP_2) | instid1(SALU_CYCLE_1)
	v_lshl_or_b32 v41, v41, 4, v84
	ds_add_u32 v41, v95
	s_or_b32 exec_lo, exec_lo, s9
	s_mov_b32 s9, exec_lo
	v_cmpx_gt_u32_e64 s8, v73
	s_cbranch_execz .LBB597_921
.LBB597_936:                            ;   in Loop: Header=BB597_894 Depth=2
	v_xor_b32_e32 v41, 0x80000000, v35
	s_delay_alu instid0(VALU_DEP_1) | instskip(NEXT) | instid1(VALU_DEP_1)
	v_lshrrev_b32_e32 v41, s49, v41
	v_and_b32_e32 v41, s48, v41
	s_delay_alu instid0(VALU_DEP_1) | instskip(SKIP_2) | instid1(SALU_CYCLE_1)
	v_lshl_or_b32 v41, v41, 4, v84
	ds_add_u32 v41, v95
	s_or_b32 exec_lo, exec_lo, s9
	s_mov_b32 s9, exec_lo
	v_cmpx_gt_u32_e64 s8, v74
	s_cbranch_execz .LBB597_922
.LBB597_937:                            ;   in Loop: Header=BB597_894 Depth=2
	v_xor_b32_e32 v41, 0x80000000, v34
	s_delay_alu instid0(VALU_DEP_1) | instskip(NEXT) | instid1(VALU_DEP_1)
	v_lshrrev_b32_e32 v41, s49, v41
	v_and_b32_e32 v41, s48, v41
	s_delay_alu instid0(VALU_DEP_1) | instskip(SKIP_2) | instid1(SALU_CYCLE_1)
	v_lshl_or_b32 v41, v41, 4, v84
	ds_add_u32 v41, v95
	s_or_b32 exec_lo, exec_lo, s9
	s_mov_b32 s9, exec_lo
	v_cmpx_gt_u32_e64 s8, v75
	s_cbranch_execz .LBB597_923
.LBB597_938:                            ;   in Loop: Header=BB597_894 Depth=2
	v_xor_b32_e32 v41, 0x80000000, v33
	s_delay_alu instid0(VALU_DEP_1) | instskip(NEXT) | instid1(VALU_DEP_1)
	v_lshrrev_b32_e32 v41, s49, v41
	v_and_b32_e32 v41, s48, v41
	s_delay_alu instid0(VALU_DEP_1) | instskip(SKIP_2) | instid1(SALU_CYCLE_1)
	v_lshl_or_b32 v41, v41, 4, v84
	ds_add_u32 v41, v95
	s_or_b32 exec_lo, exec_lo, s9
	s_mov_b32 s9, exec_lo
	v_cmpx_gt_u32_e64 s8, v76
	s_cbranch_execz .LBB597_924
.LBB597_939:                            ;   in Loop: Header=BB597_894 Depth=2
	v_xor_b32_e32 v41, 0x80000000, v32
	s_delay_alu instid0(VALU_DEP_1) | instskip(NEXT) | instid1(VALU_DEP_1)
	v_lshrrev_b32_e32 v41, s49, v41
	v_and_b32_e32 v41, s48, v41
	s_delay_alu instid0(VALU_DEP_1) | instskip(SKIP_2) | instid1(SALU_CYCLE_1)
	v_lshl_or_b32 v41, v41, 4, v84
	ds_add_u32 v41, v95
	s_or_b32 exec_lo, exec_lo, s9
	s_mov_b32 s9, exec_lo
	v_cmpx_gt_u32_e64 s8, v77
	s_cbranch_execz .LBB597_925
.LBB597_940:                            ;   in Loop: Header=BB597_894 Depth=2
	v_xor_b32_e32 v41, 0x80000000, v31
	s_delay_alu instid0(VALU_DEP_1) | instskip(NEXT) | instid1(VALU_DEP_1)
	v_lshrrev_b32_e32 v41, s49, v41
	v_and_b32_e32 v41, s48, v41
	s_delay_alu instid0(VALU_DEP_1) | instskip(SKIP_2) | instid1(SALU_CYCLE_1)
	v_lshl_or_b32 v41, v41, 4, v84
	ds_add_u32 v41, v95
	s_or_b32 exec_lo, exec_lo, s9
	s_mov_b32 s9, exec_lo
	v_cmpx_gt_u32_e64 s8, v78
	s_cbranch_execz .LBB597_926
.LBB597_941:                            ;   in Loop: Header=BB597_894 Depth=2
	v_xor_b32_e32 v41, 0x80000000, v30
	s_delay_alu instid0(VALU_DEP_1) | instskip(NEXT) | instid1(VALU_DEP_1)
	v_lshrrev_b32_e32 v41, s49, v41
	v_and_b32_e32 v41, s48, v41
	s_delay_alu instid0(VALU_DEP_1) | instskip(SKIP_2) | instid1(SALU_CYCLE_1)
	v_lshl_or_b32 v41, v41, 4, v84
	ds_add_u32 v41, v95
	s_or_b32 exec_lo, exec_lo, s9
	s_mov_b32 s9, exec_lo
	v_cmpx_gt_u32_e64 s8, v79
	s_cbranch_execz .LBB597_927
.LBB597_942:                            ;   in Loop: Header=BB597_894 Depth=2
	v_xor_b32_e32 v41, 0x80000000, v29
	s_delay_alu instid0(VALU_DEP_1) | instskip(NEXT) | instid1(VALU_DEP_1)
	v_lshrrev_b32_e32 v41, s49, v41
	v_and_b32_e32 v41, s48, v41
	s_delay_alu instid0(VALU_DEP_1) | instskip(SKIP_2) | instid1(SALU_CYCLE_1)
	v_lshl_or_b32 v41, v41, 4, v84
	ds_add_u32 v41, v95
	s_or_b32 exec_lo, exec_lo, s9
	s_mov_b32 s9, exec_lo
	v_cmpx_gt_u32_e64 s8, v80
	s_cbranch_execz .LBB597_928
.LBB597_943:                            ;   in Loop: Header=BB597_894 Depth=2
	v_xor_b32_e32 v41, 0x80000000, v28
	s_delay_alu instid0(VALU_DEP_1) | instskip(NEXT) | instid1(VALU_DEP_1)
	v_lshrrev_b32_e32 v41, s49, v41
	v_and_b32_e32 v41, s48, v41
	s_delay_alu instid0(VALU_DEP_1) | instskip(SKIP_2) | instid1(SALU_CYCLE_1)
	v_lshl_or_b32 v41, v41, 4, v84
	ds_add_u32 v41, v95
	s_or_b32 exec_lo, exec_lo, s9
	s_mov_b32 s9, exec_lo
	v_cmpx_gt_u32_e64 s8, v81
	s_cbranch_execz .LBB597_929
.LBB597_944:                            ;   in Loop: Header=BB597_894 Depth=2
	v_xor_b32_e32 v41, 0x80000000, v27
	s_delay_alu instid0(VALU_DEP_1) | instskip(NEXT) | instid1(VALU_DEP_1)
	v_lshrrev_b32_e32 v41, s49, v41
	v_and_b32_e32 v41, s48, v41
	s_delay_alu instid0(VALU_DEP_1) | instskip(SKIP_2) | instid1(SALU_CYCLE_1)
	v_lshl_or_b32 v41, v41, 4, v84
	ds_add_u32 v41, v95
	s_or_b32 exec_lo, exec_lo, s9
	s_mov_b32 s9, exec_lo
	v_cmpx_gt_u32_e64 s8, v82
	s_cbranch_execz .LBB597_930
.LBB597_945:                            ;   in Loop: Header=BB597_894 Depth=2
	v_xor_b32_e32 v41, 0x80000000, v26
	s_delay_alu instid0(VALU_DEP_1) | instskip(NEXT) | instid1(VALU_DEP_1)
	v_lshrrev_b32_e32 v41, s49, v41
	v_and_b32_e32 v41, s48, v41
	s_delay_alu instid0(VALU_DEP_1)
	v_lshl_or_b32 v41, v41, 4, v84
	ds_add_u32 v41, v95
	s_or_b32 exec_lo, exec_lo, s9
	v_cmp_gt_u32_e32 vcc_lo, s8, v83
	s_and_saveexec_b32 s8, vcc_lo
	s_cbranch_execz .LBB597_893
.LBB597_946:                            ;   in Loop: Header=BB597_894 Depth=2
	v_xor_b32_e32 v41, 0x80000000, v25
	s_delay_alu instid0(VALU_DEP_1) | instskip(NEXT) | instid1(VALU_DEP_1)
	v_lshrrev_b32_e32 v41, s49, v41
	v_and_b32_e32 v41, s48, v41
	s_delay_alu instid0(VALU_DEP_1)
	v_lshl_or_b32 v41, v41, 4, v84
	ds_add_u32 v41, v95
	s_branch .LBB597_893
.LBB597_947:                            ;   in Loop: Header=BB597_894 Depth=2
	global_load_b32 v40, v2, s[8:9] scale_offset
	s_wait_xcnt 0x0
	s_or_b32 exec_lo, exec_lo, s11
	s_delay_alu instid0(SALU_CYCLE_1)
	s_mov_b32 s11, exec_lo
	v_cmpx_gt_u32_e64 s7, v3
	s_cbranch_execz .LBB597_899
.LBB597_948:                            ;   in Loop: Header=BB597_894 Depth=2
	global_load_b32 v39, v2, s[8:9] offset:1024 scale_offset
	s_wait_xcnt 0x0
	s_or_b32 exec_lo, exec_lo, s11
	s_delay_alu instid0(SALU_CYCLE_1)
	s_mov_b32 s11, exec_lo
	v_cmpx_gt_u32_e64 s7, v70
	s_cbranch_execz .LBB597_900
.LBB597_949:                            ;   in Loop: Header=BB597_894 Depth=2
	global_load_b32 v38, v2, s[8:9] offset:2048 scale_offset
	s_wait_xcnt 0x0
	s_or_b32 exec_lo, exec_lo, s11
	s_delay_alu instid0(SALU_CYCLE_1)
	s_mov_b32 s11, exec_lo
	v_cmpx_gt_u32_e64 s7, v71
	s_cbranch_execz .LBB597_901
.LBB597_950:                            ;   in Loop: Header=BB597_894 Depth=2
	global_load_b32 v37, v2, s[8:9] offset:3072 scale_offset
	s_wait_xcnt 0x0
	s_or_b32 exec_lo, exec_lo, s11
	s_delay_alu instid0(SALU_CYCLE_1)
	s_mov_b32 s11, exec_lo
	v_cmpx_gt_u32_e64 s7, v72
	s_cbranch_execz .LBB597_902
.LBB597_951:                            ;   in Loop: Header=BB597_894 Depth=2
	global_load_b32 v36, v2, s[8:9] offset:4096 scale_offset
	s_wait_xcnt 0x0
	s_or_b32 exec_lo, exec_lo, s11
	s_delay_alu instid0(SALU_CYCLE_1)
	s_mov_b32 s11, exec_lo
	v_cmpx_gt_u32_e64 s7, v73
	s_cbranch_execz .LBB597_903
.LBB597_952:                            ;   in Loop: Header=BB597_894 Depth=2
	global_load_b32 v35, v2, s[8:9] offset:5120 scale_offset
	s_wait_xcnt 0x0
	s_or_b32 exec_lo, exec_lo, s11
	s_delay_alu instid0(SALU_CYCLE_1)
	s_mov_b32 s11, exec_lo
	v_cmpx_gt_u32_e64 s7, v74
	s_cbranch_execz .LBB597_904
.LBB597_953:                            ;   in Loop: Header=BB597_894 Depth=2
	global_load_b32 v34, v2, s[8:9] offset:6144 scale_offset
	s_wait_xcnt 0x0
	s_or_b32 exec_lo, exec_lo, s11
	s_delay_alu instid0(SALU_CYCLE_1)
	s_mov_b32 s11, exec_lo
	v_cmpx_gt_u32_e64 s7, v75
	s_cbranch_execz .LBB597_905
.LBB597_954:                            ;   in Loop: Header=BB597_894 Depth=2
	global_load_b32 v33, v2, s[8:9] offset:7168 scale_offset
	s_wait_xcnt 0x0
	s_or_b32 exec_lo, exec_lo, s11
	s_delay_alu instid0(SALU_CYCLE_1)
	s_mov_b32 s11, exec_lo
	v_cmpx_gt_u32_e64 s7, v76
	s_cbranch_execz .LBB597_906
.LBB597_955:                            ;   in Loop: Header=BB597_894 Depth=2
	global_load_b32 v32, v2, s[8:9] offset:8192 scale_offset
	s_wait_xcnt 0x0
	s_or_b32 exec_lo, exec_lo, s11
	s_delay_alu instid0(SALU_CYCLE_1)
	s_mov_b32 s11, exec_lo
	v_cmpx_gt_u32_e64 s7, v77
	s_cbranch_execz .LBB597_907
.LBB597_956:                            ;   in Loop: Header=BB597_894 Depth=2
	global_load_b32 v31, v2, s[8:9] offset:9216 scale_offset
	s_wait_xcnt 0x0
	s_or_b32 exec_lo, exec_lo, s11
	s_delay_alu instid0(SALU_CYCLE_1)
	s_mov_b32 s11, exec_lo
	v_cmpx_gt_u32_e64 s7, v78
	s_cbranch_execz .LBB597_908
.LBB597_957:                            ;   in Loop: Header=BB597_894 Depth=2
	global_load_b32 v30, v2, s[8:9] offset:10240 scale_offset
	s_wait_xcnt 0x0
	s_or_b32 exec_lo, exec_lo, s11
	s_delay_alu instid0(SALU_CYCLE_1)
	s_mov_b32 s11, exec_lo
	v_cmpx_gt_u32_e64 s7, v79
	s_cbranch_execz .LBB597_909
.LBB597_958:                            ;   in Loop: Header=BB597_894 Depth=2
	global_load_b32 v29, v2, s[8:9] offset:11264 scale_offset
	s_wait_xcnt 0x0
	s_or_b32 exec_lo, exec_lo, s11
	s_delay_alu instid0(SALU_CYCLE_1)
	s_mov_b32 s11, exec_lo
	v_cmpx_gt_u32_e64 s7, v80
	s_cbranch_execz .LBB597_910
.LBB597_959:                            ;   in Loop: Header=BB597_894 Depth=2
	global_load_b32 v28, v2, s[8:9] offset:12288 scale_offset
	s_wait_xcnt 0x0
	s_or_b32 exec_lo, exec_lo, s11
	s_delay_alu instid0(SALU_CYCLE_1)
	s_mov_b32 s11, exec_lo
	v_cmpx_gt_u32_e64 s7, v81
	s_cbranch_execz .LBB597_911
.LBB597_960:                            ;   in Loop: Header=BB597_894 Depth=2
	global_load_b32 v27, v2, s[8:9] offset:13312 scale_offset
	s_wait_xcnt 0x0
	s_or_b32 exec_lo, exec_lo, s11
	s_delay_alu instid0(SALU_CYCLE_1)
	s_mov_b32 s11, exec_lo
	v_cmpx_gt_u32_e64 s7, v82
	s_cbranch_execz .LBB597_912
.LBB597_961:                            ;   in Loop: Header=BB597_894 Depth=2
	global_load_b32 v26, v2, s[8:9] offset:14336 scale_offset
	s_wait_xcnt 0x0
	s_or_b32 exec_lo, exec_lo, s11
	s_delay_alu instid0(SALU_CYCLE_1)
	s_mov_b32 s11, exec_lo
	v_cmpx_gt_u32_e64 s7, v83
	s_cbranch_execnz .LBB597_913
	s_branch .LBB597_914
.LBB597_962:                            ;   in Loop: Header=BB597_12 Depth=1
	v_mov_b32_e32 v25, 0
	s_wait_dscnt 0x0
	s_barrier_signal -1
	s_barrier_wait -1
	s_and_saveexec_b32 s7, s0
	s_cbranch_execz .LBB597_964
; %bb.963:                              ;   in Loop: Header=BB597_12 Depth=1
	ds_load_2addr_b64 v[26:29], v86 offset1:1
	s_wait_dscnt 0x0
	v_add_nc_u32_e32 v25, v27, v26
	s_delay_alu instid0(VALU_DEP_1)
	v_add3_u32 v25, v25, v28, v29
.LBB597_964:                            ;   in Loop: Header=BB597_12 Depth=1
	s_or_b32 exec_lo, exec_lo, s7
	s_delay_alu instid0(VALU_DEP_1)
	v_mov_b32_dpp v26, v25 row_shr:1 row_mask:0xf bank_mask:0xf
	v_cmp_eq_u32_e64 s7, 0, v96
	v_cmp_lt_u32_e64 s8, 1, v96
	v_cmp_lt_u32_e64 s9, 3, v96
	v_cmp_lt_u32_e64 s10, 7, v96
	v_cmp_eq_u32_e64 s11, 0, v98
	v_cndmask_b32_e64 v26, v26, 0, s7
	s_delay_alu instid0(VALU_DEP_1) | instskip(NEXT) | instid1(VALU_DEP_1)
	v_add_nc_u32_e32 v25, v26, v25
	v_mov_b32_dpp v26, v25 row_shr:2 row_mask:0xf bank_mask:0xf
	s_delay_alu instid0(VALU_DEP_1) | instskip(NEXT) | instid1(VALU_DEP_1)
	v_cndmask_b32_e64 v26, 0, v26, s8
	v_add_nc_u32_e32 v25, v25, v26
	s_delay_alu instid0(VALU_DEP_1) | instskip(NEXT) | instid1(VALU_DEP_1)
	v_mov_b32_dpp v26, v25 row_shr:4 row_mask:0xf bank_mask:0xf
	v_cndmask_b32_e64 v26, 0, v26, s9
	s_delay_alu instid0(VALU_DEP_1) | instskip(NEXT) | instid1(VALU_DEP_1)
	v_add_nc_u32_e32 v25, v25, v26
	v_mov_b32_dpp v26, v25 row_shr:8 row_mask:0xf bank_mask:0xf
	s_delay_alu instid0(VALU_DEP_1) | instskip(NEXT) | instid1(VALU_DEP_1)
	v_cndmask_b32_e64 v26, 0, v26, s10
	v_add_nc_u32_e32 v25, v25, v26
	ds_swizzle_b32 v26, v25 offset:swizzle(BROADCAST,32,15)
	s_wait_dscnt 0x0
	v_and_b32_e32 v26, v97, v26
	s_delay_alu instid0(VALU_DEP_1)
	v_add_nc_u32_e32 v25, v25, v26
	s_and_saveexec_b32 s12, s1
; %bb.965:                              ;   in Loop: Header=BB597_12 Depth=1
	ds_store_b32 v87, v25
; %bb.966:                              ;   in Loop: Header=BB597_12 Depth=1
	s_or_b32 exec_lo, exec_lo, s12
	s_wait_dscnt 0x0
	s_barrier_signal -1
	s_barrier_wait -1
	s_and_saveexec_b32 s12, s4
	s_cbranch_execz .LBB597_968
; %bb.967:                              ;   in Loop: Header=BB597_12 Depth=1
	ds_load_b32 v26, v88
	v_cmp_ne_u32_e32 vcc_lo, 0, v100
	s_wait_dscnt 0x0
	v_mov_b32_dpp v27, v26 row_shr:1 row_mask:0xf bank_mask:0xf
	s_delay_alu instid0(VALU_DEP_1) | instskip(SKIP_1) | instid1(VALU_DEP_2)
	v_cndmask_b32_e32 v27, 0, v27, vcc_lo
	v_cmp_lt_u32_e32 vcc_lo, 1, v100
	v_add_nc_u32_e32 v26, v27, v26
	s_delay_alu instid0(VALU_DEP_1) | instskip(NEXT) | instid1(VALU_DEP_1)
	v_mov_b32_dpp v27, v26 row_shr:2 row_mask:0xf bank_mask:0xf
	v_cndmask_b32_e32 v27, 0, v27, vcc_lo
	v_cmp_lt_u32_e32 vcc_lo, 3, v100
	s_delay_alu instid0(VALU_DEP_2) | instskip(NEXT) | instid1(VALU_DEP_1)
	v_add_nc_u32_e32 v26, v26, v27
	v_mov_b32_dpp v27, v26 row_shr:4 row_mask:0xf bank_mask:0xf
	s_delay_alu instid0(VALU_DEP_1) | instskip(NEXT) | instid1(VALU_DEP_1)
	v_cndmask_b32_e32 v27, 0, v27, vcc_lo
	v_add_nc_u32_e32 v26, v26, v27
	ds_store_b32 v88, v26
.LBB597_968:                            ;   in Loop: Header=BB597_12 Depth=1
	s_or_b32 exec_lo, exec_lo, s12
	v_mov_b32_e32 v26, 0
	s_wait_dscnt 0x0
	s_barrier_signal -1
	s_barrier_wait -1
	s_and_saveexec_b32 s12, s5
; %bb.969:                              ;   in Loop: Header=BB597_12 Depth=1
	ds_load_b32 v26, v89
; %bb.970:                              ;   in Loop: Header=BB597_12 Depth=1
	s_or_b32 exec_lo, exec_lo, s12
	v_cmp_gt_i32_e32 vcc_lo, 0, v101
	s_wait_dscnt 0x0
	s_barrier_signal -1
	s_barrier_wait -1
	v_dual_cndmask_b32 v27, v101, v94, vcc_lo :: v_dual_add_nc_u32 v25, v26, v25
	s_delay_alu instid0(VALU_DEP_1)
	v_lshlrev_b32_e32 v120, 2, v27
	ds_bpermute_b32 v25, v120, v25
	s_and_saveexec_b32 s12, s0
	s_cbranch_execz .LBB597_972
; %bb.971:                              ;   in Loop: Header=BB597_12 Depth=1
	s_wait_dscnt 0x0
	v_cndmask_b32_e64 v25, v25, v26, s6
	s_delay_alu instid0(VALU_DEP_1)
	v_add_nc_u32_e32 v25, s52, v25
	ds_store_b32 v4, v25
.LBB597_972:                            ;   in Loop: Header=BB597_12 Depth=1
	s_or_b32 exec_lo, exec_lo, s12
	s_load_b64 s[12:13], s[34:35], 0x0
	s_mov_b32 s55, s54
                                        ; implicit-def: $vgpr32_vgpr33
                                        ; implicit-def: $vgpr34_vgpr35
                                        ; implicit-def: $vgpr36_vgpr37
                                        ; implicit-def: $vgpr38_vgpr39
                                        ; implicit-def: $vgpr40_vgpr41
                                        ; implicit-def: $vgpr42_vgpr43
                                        ; implicit-def: $vgpr44_vgpr45
                                        ; implicit-def: $vgpr46_vgpr47
                                        ; implicit-def: $vgpr48_vgpr49
                                        ; implicit-def: $vgpr50_vgpr51
                                        ; implicit-def: $vgpr52_vgpr53
                                        ; implicit-def: $vgpr54_vgpr55
                                        ; implicit-def: $vgpr56_vgpr57
                                        ; implicit-def: $vgpr58_vgpr59
                                        ; implicit-def: $vgpr60_vgpr61
                                        ; implicit-def: $vgpr121
                                        ; implicit-def: $vgpr122
                                        ; implicit-def: $vgpr123
                                        ; implicit-def: $vgpr124
                                        ; implicit-def: $vgpr125
                                        ; implicit-def: $vgpr126
                                        ; implicit-def: $vgpr127
                                        ; implicit-def: $vgpr128
                                        ; implicit-def: $vgpr129
                                        ; implicit-def: $vgpr130
                                        ; implicit-def: $vgpr131
                                        ; implicit-def: $vgpr132
                                        ; implicit-def: $vgpr133
                                        ; implicit-def: $vgpr134
                                        ; implicit-def: $vgpr135
                                        ; implicit-def: $vgpr136
	s_wait_kmcnt 0x0
	s_cmp_lt_u32 s33, s12
	s_cselect_b32 s30, 12, 18
	s_cmp_lt_u32 s42, s13
	s_mov_b32 s13, s31
	s_cselect_b32 s12, 14, 20
	s_delay_alu instid0(SALU_CYCLE_1)
	s_add_nc_u64 s[12:13], s[34:35], s[12:13]
	s_load_u16 s14, s[12:13], 0x0
	s_wait_xcnt 0x0
	s_add_nc_u64 s[12:13], s[34:35], s[30:31]
	s_mov_b32 s30, s52
	s_load_u16 s12, s[12:13], 0x0
	s_wait_xcnt 0x0
	v_cmp_lt_u32_e64 s13, 1, v100
	s_wait_dscnt 0x0
	s_wait_kmcnt 0x0
	v_mad_u32_u24 v25, v90, s14, v92
	v_cmp_lt_u32_e64 s14, 3, v100
	s_delay_alu instid0(VALU_DEP_2) | instskip(SKIP_2) | instid1(VALU_DEP_3)
	v_mad_u32 v26, v25, s12, v2
	v_mov_b32_e32 v25, v1
	v_cmp_eq_u32_e64 s12, 0, v100
	v_lshrrev_b32_e32 v30, 3, v26
	v_add_nc_u64_e32 v[26:27], v[14:15], v[0:1]
	s_delay_alu instid0(VALU_DEP_4) | instskip(NEXT) | instid1(VALU_DEP_3)
	v_add_nc_u64_e32 v[28:29], v[16:17], v[24:25]
	v_and_b32_e32 v25, 0x1ffffffc, v30
                                        ; implicit-def: $vgpr30_vgpr31
	s_branch .LBB597_974
.LBB597_973:                            ;   in Loop: Header=BB597_974 Depth=2
	s_or_b32 exec_lo, exec_lo, s15
	s_addk_co_i32 s55, 0xf000
	s_cmp_lt_u32 s56, s51
	s_mov_b32 s30, s56
	s_cbranch_scc0 .LBB597_10
.LBB597_974:                            ;   Parent Loop BB597_12 Depth=1
                                        ; =>  This Inner Loop Header: Depth=2
	s_add_co_i32 s56, s30, 0x1000
	s_delay_alu instid0(SALU_CYCLE_1)
	s_cmp_gt_u32 s56, s51
	s_cbranch_scc1 .LBB597_976
; %bb.975:                              ;   in Loop: Header=BB597_974 Depth=2
	s_delay_alu instid0(VALU_DEP_2)
	v_lshl_add_u64 v[62:63], s[30:31], 2, v[28:29]
	s_mov_b32 s15, -1
	s_clause 0xe
	global_load_b32 v139, v[62:63], off
	global_load_b32 v140, v[62:63], off offset:128
	global_load_b32 v143, v[62:63], off offset:256
	;; [unrolled: 1-line block ×14, first 2 shown]
	s_movk_i32 s16, 0x1000
	s_cbranch_execz .LBB597_977
	s_branch .LBB597_1008
.LBB597_976:                            ;   in Loop: Header=BB597_974 Depth=2
	s_mov_b32 s15, 0
                                        ; implicit-def: $vgpr139
                                        ; implicit-def: $vgpr140
                                        ; implicit-def: $vgpr143
                                        ; implicit-def: $vgpr147
                                        ; implicit-def: $vgpr151
                                        ; implicit-def: $vgpr155
                                        ; implicit-def: $vgpr159
                                        ; implicit-def: $vgpr163
                                        ; implicit-def: $vgpr167
                                        ; implicit-def: $vgpr69
                                        ; implicit-def: $vgpr68
                                        ; implicit-def: $vgpr67
                                        ; implicit-def: $vgpr66
                                        ; implicit-def: $vgpr65
                                        ; implicit-def: $vgpr64
	s_movk_i32 s16, 0x1000
.LBB597_977:                            ;   in Loop: Header=BB597_974 Depth=2
	s_wait_xcnt 0x0
	v_lshl_add_u64 v[62:63], s[30:31], 2, v[28:29]
	s_wait_loadcnt 0xd
	v_bfrev_b32_e32 v140, -2
	v_bfrev_b32_e32 v139, -2
	s_mov_b32 s15, exec_lo
	v_cmpx_gt_u32_e64 s55, v99
	s_cbranch_execz .LBB597_979
; %bb.978:                              ;   in Loop: Header=BB597_974 Depth=2
	global_load_b32 v139, v[62:63], off
.LBB597_979:                            ;   in Loop: Header=BB597_974 Depth=2
	s_wait_xcnt 0x0
	s_or_b32 exec_lo, exec_lo, s15
	s_delay_alu instid0(SALU_CYCLE_1)
	s_mov_b32 s15, exec_lo
	v_cmpx_gt_u32_e64 s55, v102
	s_cbranch_execz .LBB597_981
; %bb.980:                              ;   in Loop: Header=BB597_974 Depth=2
	global_load_b32 v140, v[62:63], off offset:128
.LBB597_981:                            ;   in Loop: Header=BB597_974 Depth=2
	s_wait_xcnt 0x0
	s_or_b32 exec_lo, exec_lo, s15
	s_wait_loadcnt 0xb
	v_bfrev_b32_e32 v147, -2
	v_bfrev_b32_e32 v143, -2
	s_mov_b32 s15, exec_lo
	v_cmpx_gt_u32_e64 s55, v103
	s_cbranch_execz .LBB597_983
; %bb.982:                              ;   in Loop: Header=BB597_974 Depth=2
	global_load_b32 v143, v[62:63], off offset:256
.LBB597_983:                            ;   in Loop: Header=BB597_974 Depth=2
	s_wait_xcnt 0x0
	s_or_b32 exec_lo, exec_lo, s15
	s_delay_alu instid0(SALU_CYCLE_1)
	s_mov_b32 s15, exec_lo
	v_cmpx_gt_u32_e64 s55, v104
	s_cbranch_execz .LBB597_985
; %bb.984:                              ;   in Loop: Header=BB597_974 Depth=2
	global_load_b32 v147, v[62:63], off offset:384
.LBB597_985:                            ;   in Loop: Header=BB597_974 Depth=2
	s_wait_xcnt 0x0
	s_or_b32 exec_lo, exec_lo, s15
	s_wait_loadcnt 0x9
	v_bfrev_b32_e32 v155, -2
	v_bfrev_b32_e32 v151, -2
	s_mov_b32 s15, exec_lo
	v_cmpx_gt_u32_e64 s55, v105
	s_cbranch_execz .LBB597_987
; %bb.986:                              ;   in Loop: Header=BB597_974 Depth=2
	global_load_b32 v151, v[62:63], off offset:512
.LBB597_987:                            ;   in Loop: Header=BB597_974 Depth=2
	s_wait_xcnt 0x0
	s_or_b32 exec_lo, exec_lo, s15
	s_delay_alu instid0(SALU_CYCLE_1)
	s_mov_b32 s15, exec_lo
	v_cmpx_gt_u32_e64 s55, v106
	s_cbranch_execz .LBB597_989
; %bb.988:                              ;   in Loop: Header=BB597_974 Depth=2
	global_load_b32 v155, v[62:63], off offset:640
.LBB597_989:                            ;   in Loop: Header=BB597_974 Depth=2
	s_wait_xcnt 0x0
	s_or_b32 exec_lo, exec_lo, s15
	s_wait_loadcnt 0x7
	v_bfrev_b32_e32 v163, -2
	v_bfrev_b32_e32 v159, -2
	s_mov_b32 s15, exec_lo
	v_cmpx_gt_u32_e64 s55, v107
	s_cbranch_execz .LBB597_991
; %bb.990:                              ;   in Loop: Header=BB597_974 Depth=2
	global_load_b32 v159, v[62:63], off offset:768
.LBB597_991:                            ;   in Loop: Header=BB597_974 Depth=2
	s_wait_xcnt 0x0
	s_or_b32 exec_lo, exec_lo, s15
	s_delay_alu instid0(SALU_CYCLE_1)
	s_mov_b32 s15, exec_lo
	v_cmpx_gt_u32_e64 s55, v108
	s_cbranch_execz .LBB597_993
; %bb.992:                              ;   in Loop: Header=BB597_974 Depth=2
	global_load_b32 v163, v[62:63], off offset:896
.LBB597_993:                            ;   in Loop: Header=BB597_974 Depth=2
	s_wait_xcnt 0x0
	s_or_b32 exec_lo, exec_lo, s15
	s_wait_loadcnt 0x5
	v_bfrev_b32_e32 v69, -2
	v_bfrev_b32_e32 v167, -2
	s_mov_b32 s15, exec_lo
	v_cmpx_gt_u32_e64 s55, v109
	s_cbranch_execz .LBB597_995
; %bb.994:                              ;   in Loop: Header=BB597_974 Depth=2
	global_load_b32 v167, v[62:63], off offset:1024
.LBB597_995:                            ;   in Loop: Header=BB597_974 Depth=2
	s_wait_xcnt 0x0
	s_or_b32 exec_lo, exec_lo, s15
	s_delay_alu instid0(SALU_CYCLE_1)
	s_mov_b32 s15, exec_lo
	v_cmpx_gt_u32_e64 s55, v110
	s_cbranch_execz .LBB597_997
; %bb.996:                              ;   in Loop: Header=BB597_974 Depth=2
	global_load_b32 v69, v[62:63], off offset:1152
.LBB597_997:                            ;   in Loop: Header=BB597_974 Depth=2
	s_wait_xcnt 0x0
	s_or_b32 exec_lo, exec_lo, s15
	s_wait_loadcnt 0x3
	v_bfrev_b32_e32 v67, -2
	v_bfrev_b32_e32 v68, -2
	s_mov_b32 s15, exec_lo
	v_cmpx_gt_u32_e64 s55, v111
	s_cbranch_execz .LBB597_999
; %bb.998:                              ;   in Loop: Header=BB597_974 Depth=2
	global_load_b32 v68, v[62:63], off offset:1280
.LBB597_999:                            ;   in Loop: Header=BB597_974 Depth=2
	s_wait_xcnt 0x0
	s_or_b32 exec_lo, exec_lo, s15
	s_delay_alu instid0(SALU_CYCLE_1)
	s_mov_b32 s15, exec_lo
	v_cmpx_gt_u32_e64 s55, v112
	s_cbranch_execz .LBB597_1001
; %bb.1000:                             ;   in Loop: Header=BB597_974 Depth=2
	global_load_b32 v67, v[62:63], off offset:1408
.LBB597_1001:                           ;   in Loop: Header=BB597_974 Depth=2
	s_wait_xcnt 0x0
	s_or_b32 exec_lo, exec_lo, s15
	s_wait_loadcnt 0x1
	v_bfrev_b32_e32 v65, -2
	v_bfrev_b32_e32 v66, -2
	s_mov_b32 s15, exec_lo
	v_cmpx_gt_u32_e64 s55, v113
	s_cbranch_execz .LBB597_1003
; %bb.1002:                             ;   in Loop: Header=BB597_974 Depth=2
	global_load_b32 v66, v[62:63], off offset:1536
.LBB597_1003:                           ;   in Loop: Header=BB597_974 Depth=2
	s_wait_xcnt 0x0
	s_or_b32 exec_lo, exec_lo, s15
	s_delay_alu instid0(SALU_CYCLE_1)
	s_mov_b32 s15, exec_lo
	v_cmpx_gt_u32_e64 s55, v114
	s_cbranch_execz .LBB597_1005
; %bb.1004:                             ;   in Loop: Header=BB597_974 Depth=2
	global_load_b32 v65, v[62:63], off offset:1664
.LBB597_1005:                           ;   in Loop: Header=BB597_974 Depth=2
	s_wait_xcnt 0x0
	s_or_b32 exec_lo, exec_lo, s15
	s_wait_loadcnt 0x0
	v_bfrev_b32_e32 v64, -2
	s_mov_b32 s15, exec_lo
	v_cmpx_gt_u32_e64 s55, v115
	s_cbranch_execz .LBB597_1007
; %bb.1006:                             ;   in Loop: Header=BB597_974 Depth=2
	global_load_b32 v64, v[62:63], off offset:1792
.LBB597_1007:                           ;   in Loop: Header=BB597_974 Depth=2
	s_wait_xcnt 0x0
	s_or_b32 exec_lo, exec_lo, s15
	v_cmp_gt_u32_e64 s15, s55, v116
	s_sub_co_i32 s16, s51, s30
.LBB597_1008:                           ;   in Loop: Header=BB597_974 Depth=2
	v_dual_mov_b32 v138, -1 :: v_dual_mov_b32 v137, s55
	s_wait_xcnt 0x0
	s_and_saveexec_b32 s17, s15
	s_cbranch_execz .LBB597_1010
; %bb.1009:                             ;   in Loop: Header=BB597_974 Depth=2
	v_lshl_add_u64 v[62:63], s[30:31], 2, v[28:29]
	v_mov_b32_e32 v137, s16
	global_load_b32 v62, v[62:63], off offset:1920
	s_wait_loadcnt 0x0
	v_xor_b32_e32 v138, 0x80000000, v62
.LBB597_1010:                           ;   in Loop: Header=BB597_974 Depth=2
	s_wait_xcnt 0x0
	s_or_b32 exec_lo, exec_lo, s17
	s_wait_loadcnt 0xe
	v_xor_b32_e32 v139, 0x80000000, v139
	ds_store_2addr_b32 v5, v1, v1 offset1:1
	ds_store_2addr_b32 v117, v1, v1 offset1:1
	;; [unrolled: 1-line block ×4, first 2 shown]
	ds_store_b32 v91, v1 offset:1088
	s_wait_loadcnt_dscnt 0x0
	s_barrier_signal -1
	v_lshrrev_b32_e32 v62, s49, v139
	s_barrier_wait -1
	; wave barrier
	s_delay_alu instid0(VALU_DEP_1) | instskip(NEXT) | instid1(VALU_DEP_1)
	v_and_b32_e32 v142, s48, v62
	v_lshlrev_b32_e32 v141, 30, v142
	v_bitop3_b32 v63, v62, 1, s48 bitop3:0x80
	s_delay_alu instid0(VALU_DEP_1) | instskip(NEXT) | instid1(VALU_DEP_1)
	v_add_co_u32 v62, s15, v63, -1
	v_cndmask_b32_e64 v63, 0, 1, s15
	s_delay_alu instid0(VALU_DEP_4) | instskip(NEXT) | instid1(VALU_DEP_2)
	v_cmp_gt_i32_e64 s15, 0, v141
	v_cmp_ne_u32_e32 vcc_lo, 0, v63
	v_not_b32_e32 v63, v141
	s_delay_alu instid0(VALU_DEP_1) | instskip(SKIP_3) | instid1(VALU_DEP_4)
	v_dual_ashrrev_i32 v63, 31, v63 :: v_dual_lshlrev_b32 v144, 29, v142
	v_dual_lshlrev_b32 v145, 28, v142 :: v_dual_lshlrev_b32 v146, 27, v142
	v_dual_lshlrev_b32 v148, 26, v142 :: v_dual_lshlrev_b32 v149, 25, v142
	v_lshlrev_b32_e32 v150, 24, v142
	v_cmp_gt_i32_e64 s16, 0, v144
	v_not_b32_e32 v141, v144
	v_not_b32_e32 v144, v145
	v_cmp_gt_i32_e64 s17, 0, v145
	v_cmp_gt_i32_e64 s18, 0, v146
	v_not_b32_e32 v145, v146
	v_not_b32_e32 v146, v148
	v_dual_ashrrev_i32 v141, 31, v141 :: v_dual_bitop2_b32 v62, vcc_lo, v62 bitop3:0x14
	v_dual_ashrrev_i32 v144, 31, v144 :: v_dual_bitop2_b32 v63, s15, v63 bitop3:0x14
	v_cmp_gt_i32_e64 s19, 0, v148
	v_not_b32_e32 v148, v149
	s_delay_alu instid0(VALU_DEP_3)
	v_dual_ashrrev_i32 v145, 31, v145 :: v_dual_bitop2_b32 v144, s17, v144 bitop3:0x14
	v_dual_ashrrev_i32 v146, 31, v146 :: v_dual_bitop2_b32 v141, s16, v141 bitop3:0x14
	v_bitop3_b32 v62, v62, v63, exec_lo bitop3:0x80
	v_not_b32_e32 v63, v150
	v_cmp_gt_i32_e64 s20, 0, v149
	v_dual_ashrrev_i32 v148, 31, v148 :: v_dual_bitop2_b32 v145, s18, v145 bitop3:0x14
	s_delay_alu instid0(VALU_DEP_4) | instskip(SKIP_2) | instid1(VALU_DEP_4)
	v_bitop3_b32 v62, v62, v144, v141 bitop3:0x80
	v_cmp_gt_i32_e32 vcc_lo, 0, v150
	v_dual_ashrrev_i32 v63, 31, v63 :: v_dual_bitop2_b32 v141, s19, v146 bitop3:0x14
	v_xor_b32_e32 v144, s20, v148
	s_delay_alu instid0(VALU_DEP_2) | instskip(NEXT) | instid1(VALU_DEP_3)
	v_xor_b32_e32 v63, vcc_lo, v63
	v_bitop3_b32 v62, v62, v141, v145 bitop3:0x80
	s_delay_alu instid0(VALU_DEP_1) | instskip(SKIP_1) | instid1(VALU_DEP_2)
	v_bitop3_b32 v62, v62, v63, v144 bitop3:0x80
	v_mul_u32_u24_e32 v63, 36, v142
	v_mbcnt_lo_u32_b32 v141, v62, 0
	v_cmp_ne_u32_e64 s15, 0, v62
	s_delay_alu instid0(VALU_DEP_3) | instskip(NEXT) | instid1(VALU_DEP_3)
	v_add_nc_u32_e32 v142, v25, v63
	v_cmp_eq_u32_e32 vcc_lo, 0, v141
	s_and_b32 s16, s15, vcc_lo
	s_delay_alu instid0(SALU_CYCLE_1)
	s_and_saveexec_b32 s15, s16
; %bb.1011:                             ;   in Loop: Header=BB597_974 Depth=2
	v_bcnt_u32_b32 v62, v62, 0
	ds_store_b32 v142, v62 offset:1056
; %bb.1012:                             ;   in Loop: Header=BB597_974 Depth=2
	s_or_b32 exec_lo, exec_lo, s15
	v_xor_b32_e32 v140, 0x80000000, v140
	; wave barrier
	s_delay_alu instid0(VALU_DEP_1) | instskip(NEXT) | instid1(VALU_DEP_1)
	v_lshrrev_b32_e32 v62, s49, v140
	v_and_b32_e32 v146, s48, v62
	s_delay_alu instid0(VALU_DEP_1) | instskip(SKIP_1) | instid1(VALU_DEP_1)
	v_lshlrev_b32_e32 v144, 30, v146
	v_bitop3_b32 v63, v62, 1, s48 bitop3:0x80
	v_add_co_u32 v62, s15, v63, -1
	s_delay_alu instid0(VALU_DEP_1) | instskip(NEXT) | instid1(VALU_DEP_4)
	v_cndmask_b32_e64 v63, 0, 1, s15
	v_cmp_gt_i32_e64 s15, 0, v144
	s_delay_alu instid0(VALU_DEP_2) | instskip(SKIP_1) | instid1(VALU_DEP_1)
	v_cmp_ne_u32_e32 vcc_lo, 0, v63
	v_not_b32_e32 v63, v144
	v_dual_ashrrev_i32 v63, 31, v63 :: v_dual_lshlrev_b32 v145, 29, v146
	v_dual_lshlrev_b32 v148, 28, v146 :: v_dual_lshlrev_b32 v149, 27, v146
	v_dual_lshlrev_b32 v150, 26, v146 :: v_dual_lshlrev_b32 v152, 25, v146
	v_lshlrev_b32_e32 v153, 24, v146
	s_delay_alu instid0(VALU_DEP_4)
	v_cmp_gt_i32_e64 s16, 0, v145
	v_not_b32_e32 v144, v145
	v_not_b32_e32 v145, v148
	v_cmp_gt_i32_e64 s17, 0, v148
	v_cmp_gt_i32_e64 s18, 0, v149
	v_not_b32_e32 v148, v149
	v_not_b32_e32 v149, v150
	v_dual_ashrrev_i32 v144, 31, v144 :: v_dual_bitop2_b32 v62, vcc_lo, v62 bitop3:0x14
	v_dual_ashrrev_i32 v145, 31, v145 :: v_dual_bitop2_b32 v63, s15, v63 bitop3:0x14
	v_cmp_gt_i32_e64 s19, 0, v150
	s_delay_alu instid0(VALU_DEP_4) | instskip(SKIP_1) | instid1(VALU_DEP_4)
	v_dual_ashrrev_i32 v148, 31, v148 :: v_dual_ashrrev_i32 v149, 31, v149
	v_not_b32_e32 v150, v153
	v_xor_b32_e32 v145, s17, v145
	v_bitop3_b32 v62, v62, v63, exec_lo bitop3:0x80
	v_not_b32_e32 v63, v152
	v_xor_b32_e32 v144, s16, v144
	v_cmp_gt_i32_e64 s20, 0, v152
	v_xor_b32_e32 v148, s18, v148
	s_delay_alu instid0(VALU_DEP_4) | instskip(NEXT) | instid1(VALU_DEP_4)
	v_dual_ashrrev_i32 v63, 31, v63 :: v_dual_bitop2_b32 v149, s19, v149 bitop3:0x14
	v_bitop3_b32 v62, v62, v145, v144 bitop3:0x80
	v_cmp_gt_i32_e32 vcc_lo, 0, v153
	v_ashrrev_i32_e32 v144, 31, v150
	v_mad_u32_u24 v145, v146, 36, v25
	v_xor_b32_e32 v63, s20, v63
	v_bitop3_b32 v62, v62, v149, v148 bitop3:0x80
	s_delay_alu instid0(VALU_DEP_4) | instskip(SKIP_3) | instid1(VALU_DEP_2)
	v_xor_b32_e32 v148, vcc_lo, v144
	ds_load_b32 v144, v145 offset:1056
	; wave barrier
	v_bitop3_b32 v62, v62, v148, v63 bitop3:0x80
	v_mul_u32_u24_e32 v63, 36, v146
	v_mbcnt_lo_u32_b32 v145, v62, 0
	v_cmp_ne_u32_e64 s15, 0, v62
	s_delay_alu instid0(VALU_DEP_3) | instskip(NEXT) | instid1(VALU_DEP_3)
	v_add_nc_u32_e32 v146, v25, v63
	v_cmp_eq_u32_e32 vcc_lo, 0, v145
	s_and_b32 s16, s15, vcc_lo
	s_delay_alu instid0(SALU_CYCLE_1)
	s_and_saveexec_b32 s15, s16
	s_cbranch_execz .LBB597_1014
; %bb.1013:                             ;   in Loop: Header=BB597_974 Depth=2
	s_wait_dscnt 0x0
	v_bcnt_u32_b32 v62, v62, v144
	ds_store_b32 v146, v62 offset:1056
.LBB597_1014:                           ;   in Loop: Header=BB597_974 Depth=2
	s_or_b32 exec_lo, exec_lo, s15
	v_xor_b32_e32 v143, 0x80000000, v143
	; wave barrier
	s_delay_alu instid0(VALU_DEP_1) | instskip(NEXT) | instid1(VALU_DEP_1)
	v_lshrrev_b32_e32 v62, s49, v143
	v_and_b32_e32 v150, s48, v62
	s_delay_alu instid0(VALU_DEP_1) | instskip(SKIP_1) | instid1(VALU_DEP_1)
	v_lshlrev_b32_e32 v148, 30, v150
	v_bitop3_b32 v63, v62, 1, s48 bitop3:0x80
	v_add_co_u32 v62, s15, v63, -1
	s_delay_alu instid0(VALU_DEP_1) | instskip(NEXT) | instid1(VALU_DEP_4)
	v_cndmask_b32_e64 v63, 0, 1, s15
	v_cmp_gt_i32_e64 s15, 0, v148
	s_delay_alu instid0(VALU_DEP_2) | instskip(SKIP_1) | instid1(VALU_DEP_1)
	v_cmp_ne_u32_e32 vcc_lo, 0, v63
	v_not_b32_e32 v63, v148
	v_dual_ashrrev_i32 v63, 31, v63 :: v_dual_lshlrev_b32 v149, 29, v150
	v_dual_lshlrev_b32 v152, 28, v150 :: v_dual_lshlrev_b32 v153, 27, v150
	v_dual_lshlrev_b32 v154, 26, v150 :: v_dual_lshlrev_b32 v156, 25, v150
	v_lshlrev_b32_e32 v157, 24, v150
	s_delay_alu instid0(VALU_DEP_4)
	v_cmp_gt_i32_e64 s16, 0, v149
	v_not_b32_e32 v148, v149
	v_not_b32_e32 v149, v152
	v_cmp_gt_i32_e64 s17, 0, v152
	v_cmp_gt_i32_e64 s18, 0, v153
	v_not_b32_e32 v152, v153
	v_not_b32_e32 v153, v154
	v_dual_ashrrev_i32 v148, 31, v148 :: v_dual_bitop2_b32 v62, vcc_lo, v62 bitop3:0x14
	v_dual_ashrrev_i32 v149, 31, v149 :: v_dual_bitop2_b32 v63, s15, v63 bitop3:0x14
	v_cmp_gt_i32_e64 s19, 0, v154
	s_delay_alu instid0(VALU_DEP_4) | instskip(SKIP_1) | instid1(VALU_DEP_4)
	v_dual_ashrrev_i32 v152, 31, v152 :: v_dual_ashrrev_i32 v153, 31, v153
	v_not_b32_e32 v154, v157
	v_xor_b32_e32 v149, s17, v149
	v_bitop3_b32 v62, v62, v63, exec_lo bitop3:0x80
	v_not_b32_e32 v63, v156
	v_xor_b32_e32 v148, s16, v148
	v_cmp_gt_i32_e64 s20, 0, v156
	v_xor_b32_e32 v152, s18, v152
	s_delay_alu instid0(VALU_DEP_4) | instskip(NEXT) | instid1(VALU_DEP_4)
	v_dual_ashrrev_i32 v63, 31, v63 :: v_dual_bitop2_b32 v153, s19, v153 bitop3:0x14
	v_bitop3_b32 v62, v62, v149, v148 bitop3:0x80
	v_cmp_gt_i32_e32 vcc_lo, 0, v157
	v_ashrrev_i32_e32 v148, 31, v154
	v_mad_u32_u24 v149, v150, 36, v25
	v_xor_b32_e32 v63, s20, v63
	v_bitop3_b32 v62, v62, v153, v152 bitop3:0x80
	s_delay_alu instid0(VALU_DEP_4) | instskip(SKIP_3) | instid1(VALU_DEP_2)
	v_xor_b32_e32 v152, vcc_lo, v148
	ds_load_b32 v148, v149 offset:1056
	; wave barrier
	v_bitop3_b32 v62, v62, v152, v63 bitop3:0x80
	v_mul_u32_u24_e32 v63, 36, v150
	v_mbcnt_lo_u32_b32 v149, v62, 0
	v_cmp_ne_u32_e64 s15, 0, v62
	s_delay_alu instid0(VALU_DEP_3) | instskip(NEXT) | instid1(VALU_DEP_3)
	v_add_nc_u32_e32 v150, v25, v63
	v_cmp_eq_u32_e32 vcc_lo, 0, v149
	s_and_b32 s16, s15, vcc_lo
	s_delay_alu instid0(SALU_CYCLE_1)
	s_and_saveexec_b32 s15, s16
	s_cbranch_execz .LBB597_1016
; %bb.1015:                             ;   in Loop: Header=BB597_974 Depth=2
	s_wait_dscnt 0x0
	v_bcnt_u32_b32 v62, v62, v148
	ds_store_b32 v150, v62 offset:1056
.LBB597_1016:                           ;   in Loop: Header=BB597_974 Depth=2
	s_or_b32 exec_lo, exec_lo, s15
	v_xor_b32_e32 v147, 0x80000000, v147
	; wave barrier
	s_delay_alu instid0(VALU_DEP_1) | instskip(NEXT) | instid1(VALU_DEP_1)
	v_lshrrev_b32_e32 v62, s49, v147
	v_and_b32_e32 v154, s48, v62
	s_delay_alu instid0(VALU_DEP_1) | instskip(SKIP_1) | instid1(VALU_DEP_1)
	v_lshlrev_b32_e32 v152, 30, v154
	v_bitop3_b32 v63, v62, 1, s48 bitop3:0x80
	v_add_co_u32 v62, s15, v63, -1
	s_delay_alu instid0(VALU_DEP_1) | instskip(NEXT) | instid1(VALU_DEP_4)
	v_cndmask_b32_e64 v63, 0, 1, s15
	v_cmp_gt_i32_e64 s15, 0, v152
	s_delay_alu instid0(VALU_DEP_2) | instskip(SKIP_1) | instid1(VALU_DEP_1)
	v_cmp_ne_u32_e32 vcc_lo, 0, v63
	v_not_b32_e32 v63, v152
	v_dual_ashrrev_i32 v63, 31, v63 :: v_dual_lshlrev_b32 v153, 29, v154
	v_dual_lshlrev_b32 v156, 28, v154 :: v_dual_lshlrev_b32 v157, 27, v154
	v_dual_lshlrev_b32 v158, 26, v154 :: v_dual_lshlrev_b32 v160, 25, v154
	v_lshlrev_b32_e32 v161, 24, v154
	s_delay_alu instid0(VALU_DEP_4)
	v_cmp_gt_i32_e64 s16, 0, v153
	v_not_b32_e32 v152, v153
	v_not_b32_e32 v153, v156
	v_cmp_gt_i32_e64 s17, 0, v156
	v_cmp_gt_i32_e64 s18, 0, v157
	v_not_b32_e32 v156, v157
	v_not_b32_e32 v157, v158
	v_dual_ashrrev_i32 v152, 31, v152 :: v_dual_bitop2_b32 v62, vcc_lo, v62 bitop3:0x14
	v_dual_ashrrev_i32 v153, 31, v153 :: v_dual_bitop2_b32 v63, s15, v63 bitop3:0x14
	v_cmp_gt_i32_e64 s19, 0, v158
	s_delay_alu instid0(VALU_DEP_4) | instskip(SKIP_1) | instid1(VALU_DEP_4)
	v_dual_ashrrev_i32 v156, 31, v156 :: v_dual_ashrrev_i32 v157, 31, v157
	v_not_b32_e32 v158, v161
	v_xor_b32_e32 v153, s17, v153
	v_bitop3_b32 v62, v62, v63, exec_lo bitop3:0x80
	v_not_b32_e32 v63, v160
	v_xor_b32_e32 v152, s16, v152
	v_cmp_gt_i32_e64 s20, 0, v160
	v_xor_b32_e32 v156, s18, v156
	s_delay_alu instid0(VALU_DEP_4) | instskip(NEXT) | instid1(VALU_DEP_4)
	v_dual_ashrrev_i32 v63, 31, v63 :: v_dual_bitop2_b32 v157, s19, v157 bitop3:0x14
	v_bitop3_b32 v62, v62, v153, v152 bitop3:0x80
	v_cmp_gt_i32_e32 vcc_lo, 0, v161
	v_ashrrev_i32_e32 v152, 31, v158
	v_mad_u32_u24 v153, v154, 36, v25
	v_xor_b32_e32 v63, s20, v63
	v_bitop3_b32 v62, v62, v157, v156 bitop3:0x80
	s_delay_alu instid0(VALU_DEP_4) | instskip(SKIP_3) | instid1(VALU_DEP_2)
	v_xor_b32_e32 v156, vcc_lo, v152
	ds_load_b32 v152, v153 offset:1056
	; wave barrier
	v_bitop3_b32 v62, v62, v156, v63 bitop3:0x80
	v_mul_u32_u24_e32 v63, 36, v154
	v_mbcnt_lo_u32_b32 v153, v62, 0
	v_cmp_ne_u32_e64 s15, 0, v62
	s_delay_alu instid0(VALU_DEP_3) | instskip(NEXT) | instid1(VALU_DEP_3)
	v_add_nc_u32_e32 v154, v25, v63
	v_cmp_eq_u32_e32 vcc_lo, 0, v153
	s_and_b32 s16, s15, vcc_lo
	s_delay_alu instid0(SALU_CYCLE_1)
	s_and_saveexec_b32 s15, s16
	s_cbranch_execz .LBB597_1018
; %bb.1017:                             ;   in Loop: Header=BB597_974 Depth=2
	s_wait_dscnt 0x0
	v_bcnt_u32_b32 v62, v62, v152
	ds_store_b32 v154, v62 offset:1056
.LBB597_1018:                           ;   in Loop: Header=BB597_974 Depth=2
	s_or_b32 exec_lo, exec_lo, s15
	v_xor_b32_e32 v151, 0x80000000, v151
	; wave barrier
	s_delay_alu instid0(VALU_DEP_1) | instskip(NEXT) | instid1(VALU_DEP_1)
	v_lshrrev_b32_e32 v62, s49, v151
	v_and_b32_e32 v158, s48, v62
	s_delay_alu instid0(VALU_DEP_1) | instskip(SKIP_1) | instid1(VALU_DEP_1)
	v_lshlrev_b32_e32 v156, 30, v158
	v_bitop3_b32 v63, v62, 1, s48 bitop3:0x80
	v_add_co_u32 v62, s15, v63, -1
	s_delay_alu instid0(VALU_DEP_1) | instskip(NEXT) | instid1(VALU_DEP_4)
	v_cndmask_b32_e64 v63, 0, 1, s15
	v_cmp_gt_i32_e64 s15, 0, v156
	s_delay_alu instid0(VALU_DEP_2) | instskip(SKIP_1) | instid1(VALU_DEP_1)
	v_cmp_ne_u32_e32 vcc_lo, 0, v63
	v_not_b32_e32 v63, v156
	v_dual_ashrrev_i32 v63, 31, v63 :: v_dual_lshlrev_b32 v157, 29, v158
	v_dual_lshlrev_b32 v160, 28, v158 :: v_dual_lshlrev_b32 v161, 27, v158
	v_dual_lshlrev_b32 v162, 26, v158 :: v_dual_lshlrev_b32 v164, 25, v158
	v_lshlrev_b32_e32 v165, 24, v158
	s_delay_alu instid0(VALU_DEP_4)
	v_cmp_gt_i32_e64 s16, 0, v157
	v_not_b32_e32 v156, v157
	v_not_b32_e32 v157, v160
	v_cmp_gt_i32_e64 s17, 0, v160
	v_cmp_gt_i32_e64 s18, 0, v161
	v_not_b32_e32 v160, v161
	v_not_b32_e32 v161, v162
	v_dual_ashrrev_i32 v156, 31, v156 :: v_dual_bitop2_b32 v62, vcc_lo, v62 bitop3:0x14
	v_dual_ashrrev_i32 v157, 31, v157 :: v_dual_bitop2_b32 v63, s15, v63 bitop3:0x14
	v_cmp_gt_i32_e64 s19, 0, v162
	s_delay_alu instid0(VALU_DEP_4) | instskip(SKIP_1) | instid1(VALU_DEP_4)
	v_dual_ashrrev_i32 v160, 31, v160 :: v_dual_ashrrev_i32 v161, 31, v161
	v_not_b32_e32 v162, v165
	v_xor_b32_e32 v157, s17, v157
	v_bitop3_b32 v62, v62, v63, exec_lo bitop3:0x80
	v_not_b32_e32 v63, v164
	v_xor_b32_e32 v156, s16, v156
	v_cmp_gt_i32_e64 s20, 0, v164
	v_xor_b32_e32 v160, s18, v160
	s_delay_alu instid0(VALU_DEP_4) | instskip(NEXT) | instid1(VALU_DEP_4)
	v_dual_ashrrev_i32 v63, 31, v63 :: v_dual_bitop2_b32 v161, s19, v161 bitop3:0x14
	v_bitop3_b32 v62, v62, v157, v156 bitop3:0x80
	v_cmp_gt_i32_e32 vcc_lo, 0, v165
	v_ashrrev_i32_e32 v156, 31, v162
	v_mad_u32_u24 v157, v158, 36, v25
	v_xor_b32_e32 v63, s20, v63
	v_bitop3_b32 v62, v62, v161, v160 bitop3:0x80
	s_delay_alu instid0(VALU_DEP_4) | instskip(SKIP_3) | instid1(VALU_DEP_2)
	v_xor_b32_e32 v160, vcc_lo, v156
	ds_load_b32 v156, v157 offset:1056
	; wave barrier
	v_bitop3_b32 v62, v62, v160, v63 bitop3:0x80
	v_mul_u32_u24_e32 v63, 36, v158
	v_mbcnt_lo_u32_b32 v157, v62, 0
	v_cmp_ne_u32_e64 s15, 0, v62
	s_delay_alu instid0(VALU_DEP_3) | instskip(NEXT) | instid1(VALU_DEP_3)
	v_add_nc_u32_e32 v158, v25, v63
	v_cmp_eq_u32_e32 vcc_lo, 0, v157
	s_and_b32 s16, s15, vcc_lo
	s_delay_alu instid0(SALU_CYCLE_1)
	s_and_saveexec_b32 s15, s16
	s_cbranch_execz .LBB597_1020
; %bb.1019:                             ;   in Loop: Header=BB597_974 Depth=2
	s_wait_dscnt 0x0
	v_bcnt_u32_b32 v62, v62, v156
	ds_store_b32 v158, v62 offset:1056
.LBB597_1020:                           ;   in Loop: Header=BB597_974 Depth=2
	s_or_b32 exec_lo, exec_lo, s15
	v_xor_b32_e32 v155, 0x80000000, v155
	; wave barrier
	s_delay_alu instid0(VALU_DEP_1) | instskip(NEXT) | instid1(VALU_DEP_1)
	v_lshrrev_b32_e32 v62, s49, v155
	v_and_b32_e32 v162, s48, v62
	s_delay_alu instid0(VALU_DEP_1) | instskip(SKIP_1) | instid1(VALU_DEP_1)
	v_lshlrev_b32_e32 v160, 30, v162
	v_bitop3_b32 v63, v62, 1, s48 bitop3:0x80
	v_add_co_u32 v62, s15, v63, -1
	s_delay_alu instid0(VALU_DEP_1) | instskip(NEXT) | instid1(VALU_DEP_4)
	v_cndmask_b32_e64 v63, 0, 1, s15
	v_cmp_gt_i32_e64 s15, 0, v160
	s_delay_alu instid0(VALU_DEP_2) | instskip(SKIP_1) | instid1(VALU_DEP_1)
	v_cmp_ne_u32_e32 vcc_lo, 0, v63
	v_not_b32_e32 v63, v160
	v_dual_ashrrev_i32 v63, 31, v63 :: v_dual_lshlrev_b32 v161, 29, v162
	v_dual_lshlrev_b32 v164, 28, v162 :: v_dual_lshlrev_b32 v165, 27, v162
	v_dual_lshlrev_b32 v166, 26, v162 :: v_dual_lshlrev_b32 v168, 25, v162
	v_lshlrev_b32_e32 v169, 24, v162
	s_delay_alu instid0(VALU_DEP_4)
	v_cmp_gt_i32_e64 s16, 0, v161
	v_not_b32_e32 v160, v161
	v_not_b32_e32 v161, v164
	v_cmp_gt_i32_e64 s17, 0, v164
	v_cmp_gt_i32_e64 s18, 0, v165
	v_not_b32_e32 v164, v165
	v_not_b32_e32 v165, v166
	v_dual_ashrrev_i32 v160, 31, v160 :: v_dual_bitop2_b32 v62, vcc_lo, v62 bitop3:0x14
	v_dual_ashrrev_i32 v161, 31, v161 :: v_dual_bitop2_b32 v63, s15, v63 bitop3:0x14
	v_cmp_gt_i32_e64 s19, 0, v166
	s_delay_alu instid0(VALU_DEP_4) | instskip(SKIP_1) | instid1(VALU_DEP_4)
	v_dual_ashrrev_i32 v164, 31, v164 :: v_dual_ashrrev_i32 v165, 31, v165
	v_not_b32_e32 v166, v169
	v_xor_b32_e32 v161, s17, v161
	v_bitop3_b32 v62, v62, v63, exec_lo bitop3:0x80
	v_not_b32_e32 v63, v168
	v_xor_b32_e32 v160, s16, v160
	v_cmp_gt_i32_e64 s20, 0, v168
	v_xor_b32_e32 v164, s18, v164
	s_delay_alu instid0(VALU_DEP_4) | instskip(NEXT) | instid1(VALU_DEP_4)
	v_dual_ashrrev_i32 v63, 31, v63 :: v_dual_bitop2_b32 v165, s19, v165 bitop3:0x14
	v_bitop3_b32 v62, v62, v161, v160 bitop3:0x80
	v_cmp_gt_i32_e32 vcc_lo, 0, v169
	v_ashrrev_i32_e32 v160, 31, v166
	v_mad_u32_u24 v161, v162, 36, v25
	v_xor_b32_e32 v63, s20, v63
	v_bitop3_b32 v62, v62, v165, v164 bitop3:0x80
	s_delay_alu instid0(VALU_DEP_4) | instskip(SKIP_3) | instid1(VALU_DEP_2)
	v_xor_b32_e32 v164, vcc_lo, v160
	ds_load_b32 v160, v161 offset:1056
	; wave barrier
	v_bitop3_b32 v62, v62, v164, v63 bitop3:0x80
	v_mul_u32_u24_e32 v63, 36, v162
	v_mbcnt_lo_u32_b32 v161, v62, 0
	v_cmp_ne_u32_e64 s15, 0, v62
	s_delay_alu instid0(VALU_DEP_3) | instskip(NEXT) | instid1(VALU_DEP_3)
	v_add_nc_u32_e32 v162, v25, v63
	v_cmp_eq_u32_e32 vcc_lo, 0, v161
	s_and_b32 s16, s15, vcc_lo
	s_delay_alu instid0(SALU_CYCLE_1)
	s_and_saveexec_b32 s15, s16
	s_cbranch_execz .LBB597_1022
; %bb.1021:                             ;   in Loop: Header=BB597_974 Depth=2
	s_wait_dscnt 0x0
	v_bcnt_u32_b32 v62, v62, v160
	ds_store_b32 v162, v62 offset:1056
.LBB597_1022:                           ;   in Loop: Header=BB597_974 Depth=2
	s_or_b32 exec_lo, exec_lo, s15
	v_xor_b32_e32 v159, 0x80000000, v159
	; wave barrier
	s_delay_alu instid0(VALU_DEP_1) | instskip(NEXT) | instid1(VALU_DEP_1)
	v_lshrrev_b32_e32 v62, s49, v159
	v_and_b32_e32 v166, s48, v62
	s_delay_alu instid0(VALU_DEP_1) | instskip(SKIP_1) | instid1(VALU_DEP_1)
	v_lshlrev_b32_e32 v164, 30, v166
	v_bitop3_b32 v63, v62, 1, s48 bitop3:0x80
	v_add_co_u32 v62, s15, v63, -1
	s_delay_alu instid0(VALU_DEP_1) | instskip(NEXT) | instid1(VALU_DEP_4)
	v_cndmask_b32_e64 v63, 0, 1, s15
	v_cmp_gt_i32_e64 s15, 0, v164
	s_delay_alu instid0(VALU_DEP_2) | instskip(SKIP_1) | instid1(VALU_DEP_1)
	v_cmp_ne_u32_e32 vcc_lo, 0, v63
	v_not_b32_e32 v63, v164
	v_dual_ashrrev_i32 v63, 31, v63 :: v_dual_lshlrev_b32 v165, 29, v166
	v_dual_lshlrev_b32 v168, 28, v166 :: v_dual_lshlrev_b32 v169, 27, v166
	v_dual_lshlrev_b32 v170, 26, v166 :: v_dual_lshlrev_b32 v171, 25, v166
	v_lshlrev_b32_e32 v172, 24, v166
	s_delay_alu instid0(VALU_DEP_4)
	v_cmp_gt_i32_e64 s16, 0, v165
	v_not_b32_e32 v164, v165
	v_not_b32_e32 v165, v168
	v_cmp_gt_i32_e64 s17, 0, v168
	v_cmp_gt_i32_e64 s18, 0, v169
	v_not_b32_e32 v168, v169
	v_not_b32_e32 v169, v170
	v_dual_ashrrev_i32 v164, 31, v164 :: v_dual_bitop2_b32 v62, vcc_lo, v62 bitop3:0x14
	v_dual_ashrrev_i32 v165, 31, v165 :: v_dual_bitop2_b32 v63, s15, v63 bitop3:0x14
	v_cmp_gt_i32_e64 s19, 0, v170
	s_delay_alu instid0(VALU_DEP_4) | instskip(SKIP_1) | instid1(VALU_DEP_4)
	v_dual_ashrrev_i32 v168, 31, v168 :: v_dual_ashrrev_i32 v169, 31, v169
	v_not_b32_e32 v170, v172
	v_xor_b32_e32 v165, s17, v165
	v_bitop3_b32 v62, v62, v63, exec_lo bitop3:0x80
	v_not_b32_e32 v63, v171
	v_xor_b32_e32 v164, s16, v164
	v_cmp_gt_i32_e64 s20, 0, v171
	v_xor_b32_e32 v168, s18, v168
	s_delay_alu instid0(VALU_DEP_4) | instskip(NEXT) | instid1(VALU_DEP_4)
	v_dual_ashrrev_i32 v63, 31, v63 :: v_dual_bitop2_b32 v169, s19, v169 bitop3:0x14
	v_bitop3_b32 v62, v62, v165, v164 bitop3:0x80
	v_cmp_gt_i32_e32 vcc_lo, 0, v172
	v_ashrrev_i32_e32 v164, 31, v170
	v_mad_u32_u24 v165, v166, 36, v25
	v_xor_b32_e32 v63, s20, v63
	v_bitop3_b32 v62, v62, v169, v168 bitop3:0x80
	s_delay_alu instid0(VALU_DEP_4) | instskip(SKIP_3) | instid1(VALU_DEP_2)
	v_xor_b32_e32 v168, vcc_lo, v164
	ds_load_b32 v164, v165 offset:1056
	; wave barrier
	v_bitop3_b32 v62, v62, v168, v63 bitop3:0x80
	v_mul_u32_u24_e32 v63, 36, v166
	v_mbcnt_lo_u32_b32 v165, v62, 0
	v_cmp_ne_u32_e64 s15, 0, v62
	s_delay_alu instid0(VALU_DEP_3) | instskip(NEXT) | instid1(VALU_DEP_3)
	v_add_nc_u32_e32 v166, v25, v63
	v_cmp_eq_u32_e32 vcc_lo, 0, v165
	s_and_b32 s16, s15, vcc_lo
	s_delay_alu instid0(SALU_CYCLE_1)
	s_and_saveexec_b32 s15, s16
	s_cbranch_execz .LBB597_1024
; %bb.1023:                             ;   in Loop: Header=BB597_974 Depth=2
	s_wait_dscnt 0x0
	v_bcnt_u32_b32 v62, v62, v164
	ds_store_b32 v166, v62 offset:1056
.LBB597_1024:                           ;   in Loop: Header=BB597_974 Depth=2
	s_or_b32 exec_lo, exec_lo, s15
	v_xor_b32_e32 v163, 0x80000000, v163
	; wave barrier
	s_delay_alu instid0(VALU_DEP_1) | instskip(NEXT) | instid1(VALU_DEP_1)
	v_lshrrev_b32_e32 v62, s49, v163
	v_and_b32_e32 v170, s48, v62
	s_delay_alu instid0(VALU_DEP_1) | instskip(SKIP_1) | instid1(VALU_DEP_1)
	v_lshlrev_b32_e32 v168, 30, v170
	v_bitop3_b32 v63, v62, 1, s48 bitop3:0x80
	v_add_co_u32 v62, s15, v63, -1
	s_delay_alu instid0(VALU_DEP_1) | instskip(NEXT) | instid1(VALU_DEP_4)
	v_cndmask_b32_e64 v63, 0, 1, s15
	v_cmp_gt_i32_e64 s15, 0, v168
	s_delay_alu instid0(VALU_DEP_2) | instskip(SKIP_1) | instid1(VALU_DEP_1)
	v_cmp_ne_u32_e32 vcc_lo, 0, v63
	v_not_b32_e32 v63, v168
	v_dual_ashrrev_i32 v63, 31, v63 :: v_dual_lshlrev_b32 v169, 29, v170
	v_dual_lshlrev_b32 v171, 28, v170 :: v_dual_lshlrev_b32 v172, 27, v170
	v_dual_lshlrev_b32 v173, 26, v170 :: v_dual_lshlrev_b32 v174, 25, v170
	v_lshlrev_b32_e32 v175, 24, v170
	s_delay_alu instid0(VALU_DEP_4)
	v_cmp_gt_i32_e64 s16, 0, v169
	v_not_b32_e32 v168, v169
	v_not_b32_e32 v169, v171
	v_cmp_gt_i32_e64 s17, 0, v171
	v_cmp_gt_i32_e64 s18, 0, v172
	v_not_b32_e32 v171, v172
	v_not_b32_e32 v172, v173
	v_dual_ashrrev_i32 v168, 31, v168 :: v_dual_bitop2_b32 v62, vcc_lo, v62 bitop3:0x14
	v_dual_ashrrev_i32 v169, 31, v169 :: v_dual_bitop2_b32 v63, s15, v63 bitop3:0x14
	v_cmp_gt_i32_e64 s19, 0, v173
	s_delay_alu instid0(VALU_DEP_4) | instskip(NEXT) | instid1(VALU_DEP_3)
	v_dual_ashrrev_i32 v171, 31, v171 :: v_dual_ashrrev_i32 v172, 31, v172
	v_xor_b32_e32 v169, s17, v169
	s_delay_alu instid0(VALU_DEP_4)
	v_bitop3_b32 v62, v62, v63, exec_lo bitop3:0x80
	v_not_b32_e32 v63, v174
	v_xor_b32_e32 v168, s16, v168
	v_not_b32_e32 v173, v175
	v_cmp_gt_i32_e64 s20, 0, v174
	v_xor_b32_e32 v171, s18, v171
	v_dual_ashrrev_i32 v63, 31, v63 :: v_dual_bitop2_b32 v172, s19, v172 bitop3:0x14
	v_bitop3_b32 v62, v62, v169, v168 bitop3:0x80
	v_cmp_gt_i32_e32 vcc_lo, 0, v175
	v_ashrrev_i32_e32 v168, 31, v173
	v_mad_u32_u24 v169, v170, 36, v25
	v_xor_b32_e32 v63, s20, v63
	v_bitop3_b32 v62, v62, v172, v171 bitop3:0x80
	s_delay_alu instid0(VALU_DEP_4) | instskip(SKIP_3) | instid1(VALU_DEP_2)
	v_xor_b32_e32 v171, vcc_lo, v168
	ds_load_b32 v168, v169 offset:1056
	; wave barrier
	v_bitop3_b32 v62, v62, v171, v63 bitop3:0x80
	v_mul_u32_u24_e32 v63, 36, v170
	v_mbcnt_lo_u32_b32 v169, v62, 0
	v_cmp_ne_u32_e64 s15, 0, v62
	s_delay_alu instid0(VALU_DEP_3) | instskip(NEXT) | instid1(VALU_DEP_3)
	v_add_nc_u32_e32 v170, v25, v63
	v_cmp_eq_u32_e32 vcc_lo, 0, v169
	s_and_b32 s16, s15, vcc_lo
	s_delay_alu instid0(SALU_CYCLE_1)
	s_and_saveexec_b32 s15, s16
	s_cbranch_execz .LBB597_1026
; %bb.1025:                             ;   in Loop: Header=BB597_974 Depth=2
	s_wait_dscnt 0x0
	v_bcnt_u32_b32 v62, v62, v168
	ds_store_b32 v170, v62 offset:1056
.LBB597_1026:                           ;   in Loop: Header=BB597_974 Depth=2
	s_or_b32 exec_lo, exec_lo, s15
	v_xor_b32_e32 v167, 0x80000000, v167
	; wave barrier
	s_delay_alu instid0(VALU_DEP_1) | instskip(NEXT) | instid1(VALU_DEP_1)
	v_lshrrev_b32_e32 v62, s49, v167
	v_bitop3_b32 v63, v62, 1, s48 bitop3:0x80
	v_and_b32_e32 v171, s48, v62
	s_delay_alu instid0(VALU_DEP_2) | instskip(NEXT) | instid1(VALU_DEP_1)
	v_add_co_u32 v62, s15, v63, -1
	v_cndmask_b32_e64 v63, 0, 1, s15
	s_delay_alu instid0(VALU_DEP_3) | instskip(NEXT) | instid1(VALU_DEP_2)
	v_lshlrev_b32_e32 v172, 30, v171
	v_cmp_ne_u32_e32 vcc_lo, 0, v63
	s_delay_alu instid0(VALU_DEP_2) | instskip(NEXT) | instid1(VALU_DEP_1)
	v_not_b32_e32 v63, v172
	v_dual_ashrrev_i32 v63, 31, v63 :: v_dual_bitop2_b32 v62, vcc_lo, v62 bitop3:0x14
	v_dual_lshlrev_b32 v173, 29, v171 :: v_dual_lshlrev_b32 v174, 28, v171
	v_dual_lshlrev_b32 v175, 27, v171 :: v_dual_lshlrev_b32 v176, 26, v171
	v_lshlrev_b32_e32 v177, 25, v171
	v_cmp_gt_i32_e64 s15, 0, v172
	s_delay_alu instid0(VALU_DEP_4)
	v_cmp_gt_i32_e64 s16, 0, v173
	v_not_b32_e32 v172, v173
	v_not_b32_e32 v173, v174
	v_lshlrev_b32_e32 v178, 24, v171
	v_cmp_gt_i32_e64 s17, 0, v174
	v_cmp_gt_i32_e64 s18, 0, v175
	v_not_b32_e32 v174, v175
	v_not_b32_e32 v175, v176
	v_dual_ashrrev_i32 v172, 31, v172 :: v_dual_ashrrev_i32 v173, 31, v173
	v_xor_b32_e32 v63, s15, v63
	v_cmp_gt_i32_e64 s19, 0, v176
	s_delay_alu instid0(VALU_DEP_4)
	v_dual_ashrrev_i32 v174, 31, v174 :: v_dual_ashrrev_i32 v175, 31, v175
	v_not_b32_e32 v176, v178
	v_xor_b32_e32 v173, s17, v173
	v_bitop3_b32 v62, v62, v63, exec_lo bitop3:0x80
	v_not_b32_e32 v63, v177
	v_xor_b32_e32 v172, s16, v172
	v_cmp_gt_i32_e64 s20, 0, v177
	v_xor_b32_e32 v174, s18, v174
	v_xor_b32_e32 v175, s19, v175
	v_ashrrev_i32_e32 v63, 31, v63
	v_bitop3_b32 v62, v62, v173, v172 bitop3:0x80
	v_cmp_gt_i32_e32 vcc_lo, 0, v178
	v_ashrrev_i32_e32 v172, 31, v176
	v_mad_u32_u24 v173, v171, 36, v25
	v_xor_b32_e32 v63, s20, v63
	v_bitop3_b32 v62, v62, v175, v174 bitop3:0x80
	s_delay_alu instid0(VALU_DEP_4) | instskip(SKIP_3) | instid1(VALU_DEP_2)
	v_xor_b32_e32 v174, vcc_lo, v172
	ds_load_b32 v172, v173 offset:1056
	; wave barrier
	v_bitop3_b32 v62, v62, v174, v63 bitop3:0x80
	v_mul_u32_u24_e32 v63, 36, v171
	v_mbcnt_lo_u32_b32 v173, v62, 0
	v_cmp_ne_u32_e64 s15, 0, v62
	s_delay_alu instid0(VALU_DEP_3) | instskip(NEXT) | instid1(VALU_DEP_3)
	v_add_nc_u32_e32 v174, v25, v63
	v_cmp_eq_u32_e32 vcc_lo, 0, v173
	s_and_b32 s16, s15, vcc_lo
	s_delay_alu instid0(SALU_CYCLE_1)
	s_and_saveexec_b32 s15, s16
	s_cbranch_execz .LBB597_1028
; %bb.1027:                             ;   in Loop: Header=BB597_974 Depth=2
	s_wait_dscnt 0x0
	v_bcnt_u32_b32 v62, v62, v172
	ds_store_b32 v174, v62 offset:1056
.LBB597_1028:                           ;   in Loop: Header=BB597_974 Depth=2
	s_or_b32 exec_lo, exec_lo, s15
	v_xor_b32_e32 v171, 0x80000000, v69
	; wave barrier
	s_delay_alu instid0(VALU_DEP_1) | instskip(NEXT) | instid1(VALU_DEP_1)
	v_lshrrev_b32_e32 v62, s49, v171
	v_and_b32_e32 v69, s48, v62
	s_delay_alu instid0(VALU_DEP_1) | instskip(SKIP_1) | instid1(VALU_DEP_1)
	v_lshlrev_b32_e32 v175, 30, v69
	v_bitop3_b32 v63, v62, 1, s48 bitop3:0x80
	v_add_co_u32 v62, s15, v63, -1
	s_delay_alu instid0(VALU_DEP_1) | instskip(NEXT) | instid1(VALU_DEP_4)
	v_cndmask_b32_e64 v63, 0, 1, s15
	v_cmp_gt_i32_e64 s15, 0, v175
	s_delay_alu instid0(VALU_DEP_2) | instskip(SKIP_1) | instid1(VALU_DEP_1)
	v_cmp_ne_u32_e32 vcc_lo, 0, v63
	v_not_b32_e32 v63, v175
	v_dual_ashrrev_i32 v63, 31, v63 :: v_dual_lshlrev_b32 v176, 29, v69
	v_dual_lshlrev_b32 v177, 28, v69 :: v_dual_lshlrev_b32 v178, 27, v69
	v_dual_lshlrev_b32 v179, 26, v69 :: v_dual_lshlrev_b32 v180, 25, v69
	v_lshlrev_b32_e32 v181, 24, v69
	s_delay_alu instid0(VALU_DEP_4)
	v_cmp_gt_i32_e64 s16, 0, v176
	v_not_b32_e32 v175, v176
	v_not_b32_e32 v176, v177
	v_cmp_gt_i32_e64 s17, 0, v177
	v_cmp_gt_i32_e64 s18, 0, v178
	v_not_b32_e32 v177, v178
	v_not_b32_e32 v178, v179
	v_dual_ashrrev_i32 v175, 31, v175 :: v_dual_bitop2_b32 v62, vcc_lo, v62 bitop3:0x14
	v_dual_ashrrev_i32 v176, 31, v176 :: v_dual_bitop2_b32 v63, s15, v63 bitop3:0x14
	v_cmp_gt_i32_e64 s19, 0, v179
	s_delay_alu instid0(VALU_DEP_4) | instskip(NEXT) | instid1(VALU_DEP_4)
	v_dual_ashrrev_i32 v177, 31, v177 :: v_dual_ashrrev_i32 v178, 31, v178
	v_xor_b32_e32 v175, s16, v175
	s_delay_alu instid0(VALU_DEP_4)
	v_bitop3_b32 v62, v62, v63, exec_lo bitop3:0x80
	v_not_b32_e32 v63, v180
	v_xor_b32_e32 v176, s17, v176
	v_not_b32_e32 v179, v181
	v_cmp_gt_i32_e64 s20, 0, v180
	v_xor_b32_e32 v177, s18, v177
	v_dual_ashrrev_i32 v63, 31, v63 :: v_dual_bitop2_b32 v178, s19, v178 bitop3:0x14
	v_bitop3_b32 v62, v62, v176, v175 bitop3:0x80
	v_cmp_gt_i32_e32 vcc_lo, 0, v181
	v_ashrrev_i32_e32 v175, 31, v179
	v_mad_u32_u24 v176, v69, 36, v25
	v_xor_b32_e32 v63, s20, v63
	v_bitop3_b32 v62, v62, v178, v177 bitop3:0x80
	s_delay_alu instid0(VALU_DEP_4) | instskip(SKIP_3) | instid1(VALU_DEP_2)
	v_xor_b32_e32 v175, vcc_lo, v175
	ds_load_b32 v176, v176 offset:1056
	; wave barrier
	v_bitop3_b32 v62, v62, v175, v63 bitop3:0x80
	v_mul_u32_u24_e32 v63, 36, v69
	v_mbcnt_lo_u32_b32 v177, v62, 0
	v_cmp_ne_u32_e64 s15, 0, v62
	s_delay_alu instid0(VALU_DEP_3) | instskip(NEXT) | instid1(VALU_DEP_3)
	v_add_nc_u32_e32 v178, v25, v63
	v_cmp_eq_u32_e32 vcc_lo, 0, v177
	s_and_b32 s16, s15, vcc_lo
	s_delay_alu instid0(SALU_CYCLE_1)
	s_and_saveexec_b32 s15, s16
	s_cbranch_execz .LBB597_1030
; %bb.1029:                             ;   in Loop: Header=BB597_974 Depth=2
	s_wait_dscnt 0x0
	v_bcnt_u32_b32 v62, v62, v176
	ds_store_b32 v178, v62 offset:1056
.LBB597_1030:                           ;   in Loop: Header=BB597_974 Depth=2
	s_or_b32 exec_lo, exec_lo, s15
	v_xor_b32_e32 v175, 0x80000000, v68
	; wave barrier
	s_delay_alu instid0(VALU_DEP_1) | instskip(NEXT) | instid1(VALU_DEP_1)
	v_lshrrev_b32_e32 v62, s49, v175
	v_and_b32_e32 v68, s48, v62
	s_delay_alu instid0(VALU_DEP_1) | instskip(SKIP_1) | instid1(VALU_DEP_1)
	v_lshlrev_b32_e32 v69, 30, v68
	v_bitop3_b32 v63, v62, 1, s48 bitop3:0x80
	v_add_co_u32 v62, s15, v63, -1
	s_delay_alu instid0(VALU_DEP_1) | instskip(NEXT) | instid1(VALU_DEP_4)
	v_cndmask_b32_e64 v63, 0, 1, s15
	v_cmp_gt_i32_e64 s15, 0, v69
	s_delay_alu instid0(VALU_DEP_2) | instskip(SKIP_1) | instid1(VALU_DEP_1)
	v_cmp_ne_u32_e32 vcc_lo, 0, v63
	v_not_b32_e32 v63, v69
	v_dual_ashrrev_i32 v63, 31, v63 :: v_dual_lshlrev_b32 v179, 29, v68
	v_dual_lshlrev_b32 v180, 28, v68 :: v_dual_lshlrev_b32 v181, 27, v68
	v_dual_lshlrev_b32 v182, 26, v68 :: v_dual_lshlrev_b32 v183, 25, v68
	v_lshlrev_b32_e32 v184, 24, v68
	s_delay_alu instid0(VALU_DEP_4)
	v_cmp_gt_i32_e64 s16, 0, v179
	v_not_b32_e32 v69, v179
	v_not_b32_e32 v179, v180
	v_cmp_gt_i32_e64 s17, 0, v180
	v_cmp_gt_i32_e64 s18, 0, v181
	v_not_b32_e32 v180, v181
	v_not_b32_e32 v181, v182
	v_dual_ashrrev_i32 v69, 31, v69 :: v_dual_bitop2_b32 v62, vcc_lo, v62 bitop3:0x14
	s_delay_alu instid0(VALU_DEP_3) | instskip(NEXT) | instid1(VALU_DEP_3)
	v_dual_ashrrev_i32 v179, 31, v179 :: v_dual_ashrrev_i32 v180, 31, v180
	v_dual_ashrrev_i32 v181, 31, v181 :: v_dual_bitop2_b32 v63, s15, v63 bitop3:0x14
	v_cmp_gt_i32_e64 s19, 0, v182
	v_not_b32_e32 v182, v184
	s_delay_alu instid0(VALU_DEP_4) | instskip(NEXT) | instid1(VALU_DEP_4)
	v_xor_b32_e32 v179, s17, v179
	v_bitop3_b32 v62, v62, v63, exec_lo bitop3:0x80
	v_not_b32_e32 v63, v183
	v_xor_b32_e32 v69, s16, v69
	v_cmp_gt_i32_e64 s20, 0, v183
	v_xor_b32_e32 v180, s18, v180
	s_delay_alu instid0(VALU_DEP_4) | instskip(NEXT) | instid1(VALU_DEP_4)
	v_dual_ashrrev_i32 v63, 31, v63 :: v_dual_bitop2_b32 v181, s19, v181 bitop3:0x14
	v_bitop3_b32 v62, v62, v179, v69 bitop3:0x80
	v_cmp_gt_i32_e32 vcc_lo, 0, v184
	v_ashrrev_i32_e32 v69, 31, v182
	v_mad_u32_u24 v179, v68, 36, v25
	v_xor_b32_e32 v63, s20, v63
	v_bitop3_b32 v62, v62, v181, v180 bitop3:0x80
	s_delay_alu instid0(VALU_DEP_4) | instskip(SKIP_3) | instid1(VALU_DEP_2)
	v_xor_b32_e32 v69, vcc_lo, v69
	ds_load_b32 v180, v179 offset:1056
	; wave barrier
	v_bitop3_b32 v62, v62, v69, v63 bitop3:0x80
	v_mul_u32_u24_e32 v63, 36, v68
	v_mbcnt_lo_u32_b32 v181, v62, 0
	v_cmp_ne_u32_e64 s15, 0, v62
	s_delay_alu instid0(VALU_DEP_3) | instskip(NEXT) | instid1(VALU_DEP_3)
	v_add_nc_u32_e32 v182, v25, v63
	v_cmp_eq_u32_e32 vcc_lo, 0, v181
	s_and_b32 s16, s15, vcc_lo
	s_delay_alu instid0(SALU_CYCLE_1)
	s_and_saveexec_b32 s15, s16
	s_cbranch_execz .LBB597_1032
; %bb.1031:                             ;   in Loop: Header=BB597_974 Depth=2
	s_wait_dscnt 0x0
	v_bcnt_u32_b32 v62, v62, v180
	ds_store_b32 v182, v62 offset:1056
.LBB597_1032:                           ;   in Loop: Header=BB597_974 Depth=2
	s_or_b32 exec_lo, exec_lo, s15
	v_xor_b32_e32 v179, 0x80000000, v67
	; wave barrier
	s_delay_alu instid0(VALU_DEP_1) | instskip(NEXT) | instid1(VALU_DEP_1)
	v_lshrrev_b32_e32 v62, s49, v179
	v_bitop3_b32 v63, v62, 1, s48 bitop3:0x80
	v_and_b32_e32 v67, s48, v62
	s_delay_alu instid0(VALU_DEP_2) | instskip(NEXT) | instid1(VALU_DEP_1)
	v_add_co_u32 v62, s15, v63, -1
	v_cndmask_b32_e64 v63, 0, 1, s15
	s_delay_alu instid0(VALU_DEP_3) | instskip(NEXT) | instid1(VALU_DEP_2)
	v_lshlrev_b32_e32 v68, 30, v67
	v_cmp_ne_u32_e32 vcc_lo, 0, v63
	s_delay_alu instid0(VALU_DEP_2) | instskip(NEXT) | instid1(VALU_DEP_1)
	v_not_b32_e32 v63, v68
	v_dual_ashrrev_i32 v63, 31, v63 :: v_dual_bitop2_b32 v62, vcc_lo, v62 bitop3:0x14
	v_dual_lshlrev_b32 v69, 29, v67 :: v_dual_lshlrev_b32 v183, 28, v67
	v_dual_lshlrev_b32 v184, 27, v67 :: v_dual_lshlrev_b32 v185, 26, v67
	v_lshlrev_b32_e32 v186, 25, v67
	v_cmp_gt_i32_e64 s15, 0, v68
	s_delay_alu instid0(VALU_DEP_4)
	v_cmp_gt_i32_e64 s16, 0, v69
	v_not_b32_e32 v68, v69
	v_not_b32_e32 v69, v183
	v_lshlrev_b32_e32 v187, 24, v67
	v_cmp_gt_i32_e64 s17, 0, v183
	v_cmp_gt_i32_e64 s18, 0, v184
	v_not_b32_e32 v183, v184
	v_not_b32_e32 v184, v185
	v_dual_ashrrev_i32 v68, 31, v68 :: v_dual_ashrrev_i32 v69, 31, v69
	v_xor_b32_e32 v63, s15, v63
	v_cmp_gt_i32_e64 s19, 0, v185
	s_delay_alu instid0(VALU_DEP_4) | instskip(NEXT) | instid1(VALU_DEP_4)
	v_dual_ashrrev_i32 v183, 31, v183 :: v_dual_ashrrev_i32 v184, 31, v184
	v_xor_b32_e32 v69, s17, v69
	s_delay_alu instid0(VALU_DEP_4)
	v_bitop3_b32 v62, v62, v63, exec_lo bitop3:0x80
	v_not_b32_e32 v63, v186
	v_xor_b32_e32 v68, s16, v68
	v_not_b32_e32 v185, v187
	v_cmp_gt_i32_e64 s20, 0, v186
	v_xor_b32_e32 v183, s18, v183
	v_dual_ashrrev_i32 v63, 31, v63 :: v_dual_bitop2_b32 v184, s19, v184 bitop3:0x14
	v_bitop3_b32 v62, v62, v69, v68 bitop3:0x80
	v_cmp_gt_i32_e32 vcc_lo, 0, v187
	v_ashrrev_i32_e32 v68, 31, v185
	v_mad_u32_u24 v69, v67, 36, v25
	v_xor_b32_e32 v63, s20, v63
	v_bitop3_b32 v62, v62, v184, v183 bitop3:0x80
	s_delay_alu instid0(VALU_DEP_4) | instskip(SKIP_3) | instid1(VALU_DEP_2)
	v_xor_b32_e32 v68, vcc_lo, v68
	ds_load_b32 v184, v69 offset:1056
	; wave barrier
	v_bitop3_b32 v62, v62, v68, v63 bitop3:0x80
	v_mul_u32_u24_e32 v63, 36, v67
	v_mbcnt_lo_u32_b32 v185, v62, 0
	v_cmp_ne_u32_e64 s15, 0, v62
	s_delay_alu instid0(VALU_DEP_3) | instskip(NEXT) | instid1(VALU_DEP_3)
	v_add_nc_u32_e32 v186, v25, v63
	v_cmp_eq_u32_e32 vcc_lo, 0, v185
	s_and_b32 s16, s15, vcc_lo
	s_delay_alu instid0(SALU_CYCLE_1)
	s_and_saveexec_b32 s15, s16
	s_cbranch_execz .LBB597_1034
; %bb.1033:                             ;   in Loop: Header=BB597_974 Depth=2
	s_wait_dscnt 0x0
	v_bcnt_u32_b32 v62, v62, v184
	ds_store_b32 v186, v62 offset:1056
.LBB597_1034:                           ;   in Loop: Header=BB597_974 Depth=2
	s_or_b32 exec_lo, exec_lo, s15
	v_xor_b32_e32 v183, 0x80000000, v66
	; wave barrier
	s_delay_alu instid0(VALU_DEP_1) | instskip(NEXT) | instid1(VALU_DEP_1)
	v_lshrrev_b32_e32 v62, s49, v183
	v_and_b32_e32 v66, s48, v62
	s_delay_alu instid0(VALU_DEP_1) | instskip(SKIP_1) | instid1(VALU_DEP_1)
	v_lshlrev_b32_e32 v67, 30, v66
	v_bitop3_b32 v63, v62, 1, s48 bitop3:0x80
	v_add_co_u32 v62, s15, v63, -1
	s_delay_alu instid0(VALU_DEP_1) | instskip(NEXT) | instid1(VALU_DEP_4)
	v_cndmask_b32_e64 v63, 0, 1, s15
	v_cmp_gt_i32_e64 s15, 0, v67
	s_delay_alu instid0(VALU_DEP_2) | instskip(SKIP_1) | instid1(VALU_DEP_1)
	v_cmp_ne_u32_e32 vcc_lo, 0, v63
	v_not_b32_e32 v63, v67
	v_dual_ashrrev_i32 v63, 31, v63 :: v_dual_lshlrev_b32 v68, 29, v66
	v_dual_lshlrev_b32 v69, 28, v66 :: v_dual_lshlrev_b32 v187, 27, v66
	v_dual_lshlrev_b32 v188, 26, v66 :: v_dual_lshlrev_b32 v189, 25, v66
	v_lshlrev_b32_e32 v190, 24, v66
	s_delay_alu instid0(VALU_DEP_4)
	v_cmp_gt_i32_e64 s16, 0, v68
	v_not_b32_e32 v67, v68
	v_not_b32_e32 v68, v69
	v_cmp_gt_i32_e64 s17, 0, v69
	v_cmp_gt_i32_e64 s18, 0, v187
	v_not_b32_e32 v69, v187
	v_not_b32_e32 v187, v188
	v_dual_ashrrev_i32 v67, 31, v67 :: v_dual_bitop2_b32 v62, vcc_lo, v62 bitop3:0x14
	v_dual_ashrrev_i32 v68, 31, v68 :: v_dual_bitop2_b32 v63, s15, v63 bitop3:0x14
	v_cmp_gt_i32_e64 s19, 0, v188
	s_delay_alu instid0(VALU_DEP_4) | instskip(NEXT) | instid1(VALU_DEP_4)
	v_dual_ashrrev_i32 v69, 31, v69 :: v_dual_ashrrev_i32 v187, 31, v187
	v_xor_b32_e32 v67, s16, v67
	s_delay_alu instid0(VALU_DEP_4)
	v_bitop3_b32 v62, v62, v63, exec_lo bitop3:0x80
	v_not_b32_e32 v63, v189
	v_xor_b32_e32 v68, s17, v68
	v_not_b32_e32 v188, v190
	v_cmp_gt_i32_e64 s20, 0, v189
	v_xor_b32_e32 v69, s18, v69
	v_xor_b32_e32 v187, s19, v187
	v_ashrrev_i32_e32 v63, 31, v63
	v_bitop3_b32 v62, v62, v68, v67 bitop3:0x80
	v_cmp_gt_i32_e32 vcc_lo, 0, v190
	v_ashrrev_i32_e32 v67, 31, v188
	v_mad_u32_u24 v68, v66, 36, v25
	v_xor_b32_e32 v63, s20, v63
	v_bitop3_b32 v62, v62, v187, v69 bitop3:0x80
	s_delay_alu instid0(VALU_DEP_4) | instskip(SKIP_3) | instid1(VALU_DEP_2)
	v_xor_b32_e32 v67, vcc_lo, v67
	ds_load_b32 v188, v68 offset:1056
	; wave barrier
	v_bitop3_b32 v62, v62, v67, v63 bitop3:0x80
	v_mul_u32_u24_e32 v63, 36, v66
	v_mbcnt_lo_u32_b32 v189, v62, 0
	v_cmp_ne_u32_e64 s15, 0, v62
	s_delay_alu instid0(VALU_DEP_3) | instskip(NEXT) | instid1(VALU_DEP_3)
	v_add_nc_u32_e32 v190, v25, v63
	v_cmp_eq_u32_e32 vcc_lo, 0, v189
	s_and_b32 s16, s15, vcc_lo
	s_delay_alu instid0(SALU_CYCLE_1)
	s_and_saveexec_b32 s15, s16
	s_cbranch_execz .LBB597_1036
; %bb.1035:                             ;   in Loop: Header=BB597_974 Depth=2
	s_wait_dscnt 0x0
	v_bcnt_u32_b32 v62, v62, v188
	ds_store_b32 v190, v62 offset:1056
.LBB597_1036:                           ;   in Loop: Header=BB597_974 Depth=2
	s_or_b32 exec_lo, exec_lo, s15
	v_xor_b32_e32 v187, 0x80000000, v65
	; wave barrier
	s_delay_alu instid0(VALU_DEP_1) | instskip(NEXT) | instid1(VALU_DEP_1)
	v_lshrrev_b32_e32 v62, s49, v187
	v_bitop3_b32 v63, v62, 1, s48 bitop3:0x80
	v_and_b32_e32 v65, s48, v62
	s_delay_alu instid0(VALU_DEP_2) | instskip(NEXT) | instid1(VALU_DEP_2)
	v_add_co_u32 v62, s15, v63, -1
	v_lshlrev_b32_e32 v63, 30, v65
	v_cndmask_b32_e64 v193, 0, 1, s15
	s_delay_alu instid0(VALU_DEP_2) | instskip(SKIP_1) | instid1(VALU_DEP_3)
	v_cmp_gt_i32_e32 vcc_lo, 0, v63
	v_not_b32_e32 v63, v63
	v_cmp_ne_u32_e64 s19, 0, v193
	s_delay_alu instid0(VALU_DEP_2) | instskip(SKIP_3) | instid1(VALU_DEP_4)
	v_dual_ashrrev_i32 v63, 31, v63 :: v_dual_lshlrev_b32 v66, 29, v65
	v_dual_lshlrev_b32 v67, 28, v65 :: v_dual_lshlrev_b32 v68, 27, v65
	v_dual_lshlrev_b32 v69, 26, v65 :: v_dual_lshlrev_b32 v191, 25, v65
	v_lshlrev_b32_e32 v192, 24, v65
	v_cmp_gt_i32_e64 s15, 0, v66
	v_not_b32_e32 v66, v66
	v_cmp_gt_i32_e64 s16, 0, v67
	v_not_b32_e32 v67, v67
	;; [unrolled: 2-line block ×4, first 2 shown]
	v_dual_ashrrev_i32 v66, 31, v66 :: v_dual_ashrrev_i32 v67, 31, v67
	s_delay_alu instid0(VALU_DEP_4) | instskip(NEXT) | instid1(VALU_DEP_3)
	v_dual_ashrrev_i32 v68, 31, v68 :: v_dual_bitop2_b32 v62, s19, v62 bitop3:0x14
	v_dual_ashrrev_i32 v69, 31, v69 :: v_dual_bitop2_b32 v63, vcc_lo, v63 bitop3:0x14
	v_cmp_gt_i32_e64 s20, 0, v191
	s_delay_alu instid0(VALU_DEP_4) | instskip(SKIP_1) | instid1(VALU_DEP_4)
	v_xor_b32_e32 v67, s16, v67
	v_cmp_gt_i32_e32 vcc_lo, 0, v192
	v_bitop3_b32 v62, v62, v63, exec_lo bitop3:0x80
	v_not_b32_e32 v63, v191
	v_xor_b32_e32 v66, s15, v66
	v_not_b32_e32 v191, v192
	v_xor_b32_e32 v68, s17, v68
	s_delay_alu instid0(VALU_DEP_4) | instskip(NEXT) | instid1(VALU_DEP_4)
	v_dual_ashrrev_i32 v63, 31, v63 :: v_dual_bitop2_b32 v69, s18, v69 bitop3:0x14
	v_bitop3_b32 v62, v62, v67, v66 bitop3:0x80
	s_delay_alu instid0(VALU_DEP_4) | instskip(SKIP_1) | instid1(VALU_DEP_4)
	v_ashrrev_i32_e32 v66, 31, v191
	v_mad_u32_u24 v67, v65, 36, v25
	v_xor_b32_e32 v63, s20, v63
	s_delay_alu instid0(VALU_DEP_4) | instskip(NEXT) | instid1(VALU_DEP_4)
	v_bitop3_b32 v62, v62, v69, v68 bitop3:0x80
	v_xor_b32_e32 v66, vcc_lo, v66
	ds_load_b32 v192, v67 offset:1056
	; wave barrier
	v_bitop3_b32 v62, v62, v66, v63 bitop3:0x80
	v_mul_u32_u24_e32 v63, 36, v65
	s_delay_alu instid0(VALU_DEP_2) | instskip(SKIP_1) | instid1(VALU_DEP_3)
	v_mbcnt_lo_u32_b32 v193, v62, 0
	v_cmp_ne_u32_e64 s15, 0, v62
	v_add_nc_u32_e32 v194, v25, v63
	s_delay_alu instid0(VALU_DEP_3) | instskip(SKIP_1) | instid1(SALU_CYCLE_1)
	v_cmp_eq_u32_e32 vcc_lo, 0, v193
	s_and_b32 s16, s15, vcc_lo
	s_and_saveexec_b32 s15, s16
	s_cbranch_execz .LBB597_1038
; %bb.1037:                             ;   in Loop: Header=BB597_974 Depth=2
	s_wait_dscnt 0x0
	v_bcnt_u32_b32 v62, v62, v192
	ds_store_b32 v194, v62 offset:1056
.LBB597_1038:                           ;   in Loop: Header=BB597_974 Depth=2
	s_or_b32 exec_lo, exec_lo, s15
	v_xor_b32_e32 v191, 0x80000000, v64
	; wave barrier
	s_delay_alu instid0(VALU_DEP_1) | instskip(NEXT) | instid1(VALU_DEP_1)
	v_lshrrev_b32_e32 v62, s49, v191
	v_and_b32_e32 v64, s48, v62
	s_delay_alu instid0(VALU_DEP_1) | instskip(SKIP_1) | instid1(VALU_DEP_1)
	v_lshlrev_b32_e32 v65, 30, v64
	v_bitop3_b32 v63, v62, 1, s48 bitop3:0x80
	v_add_co_u32 v62, s15, v63, -1
	s_delay_alu instid0(VALU_DEP_1) | instskip(NEXT) | instid1(VALU_DEP_4)
	v_cndmask_b32_e64 v63, 0, 1, s15
	v_cmp_gt_i32_e64 s15, 0, v65
	s_delay_alu instid0(VALU_DEP_2) | instskip(SKIP_1) | instid1(VALU_DEP_1)
	v_cmp_ne_u32_e32 vcc_lo, 0, v63
	v_not_b32_e32 v63, v65
	v_dual_ashrrev_i32 v63, 31, v63 :: v_dual_lshlrev_b32 v66, 29, v64
	v_dual_lshlrev_b32 v67, 28, v64 :: v_dual_lshlrev_b32 v68, 27, v64
	v_dual_lshlrev_b32 v69, 26, v64 :: v_dual_lshlrev_b32 v195, 25, v64
	v_lshlrev_b32_e32 v196, 24, v64
	s_delay_alu instid0(VALU_DEP_4)
	v_cmp_gt_i32_e64 s16, 0, v66
	v_not_b32_e32 v65, v66
	v_not_b32_e32 v66, v67
	v_cmp_gt_i32_e64 s17, 0, v67
	v_cmp_gt_i32_e64 s18, 0, v68
	v_not_b32_e32 v67, v68
	v_not_b32_e32 v68, v69
	v_dual_ashrrev_i32 v65, 31, v65 :: v_dual_bitop2_b32 v62, vcc_lo, v62 bitop3:0x14
	v_dual_ashrrev_i32 v66, 31, v66 :: v_dual_bitop2_b32 v63, s15, v63 bitop3:0x14
	v_cmp_gt_i32_e64 s19, 0, v69
	s_delay_alu instid0(VALU_DEP_4) | instskip(SKIP_1) | instid1(VALU_DEP_4)
	v_dual_ashrrev_i32 v67, 31, v67 :: v_dual_ashrrev_i32 v68, 31, v68
	v_not_b32_e32 v69, v196
	v_xor_b32_e32 v66, s17, v66
	v_bitop3_b32 v62, v62, v63, exec_lo bitop3:0x80
	v_not_b32_e32 v63, v195
	v_xor_b32_e32 v65, s16, v65
	v_cmp_gt_i32_e64 s20, 0, v195
	v_xor_b32_e32 v67, s18, v67
	s_delay_alu instid0(VALU_DEP_4) | instskip(NEXT) | instid1(VALU_DEP_4)
	v_dual_ashrrev_i32 v63, 31, v63 :: v_dual_bitop2_b32 v68, s19, v68 bitop3:0x14
	v_bitop3_b32 v62, v62, v66, v65 bitop3:0x80
	v_cmp_gt_i32_e32 vcc_lo, 0, v196
	v_ashrrev_i32_e32 v65, 31, v69
	v_mad_u32_u24 v66, v64, 36, v25
	v_xor_b32_e32 v63, s20, v63
	v_bitop3_b32 v62, v62, v68, v67 bitop3:0x80
	s_delay_alu instid0(VALU_DEP_4) | instskip(SKIP_3) | instid1(VALU_DEP_2)
	v_xor_b32_e32 v65, vcc_lo, v65
	ds_load_b32 v195, v66 offset:1056
	; wave barrier
	v_bitop3_b32 v62, v62, v65, v63 bitop3:0x80
	v_mul_u32_u24_e32 v63, 36, v64
	v_mbcnt_lo_u32_b32 v196, v62, 0
	v_cmp_ne_u32_e64 s15, 0, v62
	s_delay_alu instid0(VALU_DEP_3) | instskip(NEXT) | instid1(VALU_DEP_3)
	v_add_nc_u32_e32 v197, v25, v63
	v_cmp_eq_u32_e32 vcc_lo, 0, v196
	s_and_b32 s16, s15, vcc_lo
	s_delay_alu instid0(SALU_CYCLE_1)
	s_and_saveexec_b32 s15, s16
	s_cbranch_execz .LBB597_1040
; %bb.1039:                             ;   in Loop: Header=BB597_974 Depth=2
	s_wait_dscnt 0x0
	v_bcnt_u32_b32 v62, v62, v195
	ds_store_b32 v197, v62 offset:1056
.LBB597_1040:                           ;   in Loop: Header=BB597_974 Depth=2
	s_or_b32 exec_lo, exec_lo, s15
	v_lshrrev_b32_e32 v62, s49, v138
	; wave barrier
	s_delay_alu instid0(VALU_DEP_1) | instskip(NEXT) | instid1(VALU_DEP_1)
	v_and_b32_e32 v64, s48, v62
	v_lshlrev_b32_e32 v65, 30, v64
	v_bitop3_b32 v63, v62, 1, s48 bitop3:0x80
	s_delay_alu instid0(VALU_DEP_1) | instskip(NEXT) | instid1(VALU_DEP_1)
	v_add_co_u32 v62, s15, v63, -1
	v_cndmask_b32_e64 v63, 0, 1, s15
	s_delay_alu instid0(VALU_DEP_4) | instskip(NEXT) | instid1(VALU_DEP_2)
	v_cmp_gt_i32_e64 s15, 0, v65
	v_cmp_ne_u32_e32 vcc_lo, 0, v63
	v_not_b32_e32 v63, v65
	s_delay_alu instid0(VALU_DEP_1) | instskip(SKIP_3) | instid1(VALU_DEP_4)
	v_dual_ashrrev_i32 v63, 31, v63 :: v_dual_lshlrev_b32 v66, 29, v64
	v_dual_lshlrev_b32 v67, 28, v64 :: v_dual_lshlrev_b32 v68, 27, v64
	v_dual_lshlrev_b32 v69, 26, v64 :: v_dual_lshlrev_b32 v198, 25, v64
	v_lshlrev_b32_e32 v199, 24, v64
	v_cmp_gt_i32_e64 s16, 0, v66
	v_not_b32_e32 v65, v66
	v_not_b32_e32 v66, v67
	v_cmp_gt_i32_e64 s17, 0, v67
	v_xor_b32_e32 v62, vcc_lo, v62
	s_delay_alu instid0(VALU_DEP_4) | instskip(NEXT) | instid1(VALU_DEP_4)
	v_dual_ashrrev_i32 v65, 31, v65 :: v_dual_bitop2_b32 v63, s15, v63 bitop3:0x14
	v_ashrrev_i32_e32 v66, 31, v66
	v_cmp_gt_i32_e64 s18, 0, v68
	v_not_b32_e32 v67, v68
	v_not_b32_e32 v68, v69
	v_xor_b32_e32 v65, s16, v65
	v_xor_b32_e32 v66, s17, v66
	v_bitop3_b32 v62, v62, v63, exec_lo bitop3:0x80
	v_ashrrev_i32_e32 v63, 31, v67
	v_cmp_gt_i32_e32 vcc_lo, 0, v69
	v_ashrrev_i32_e32 v67, 31, v68
	v_not_b32_e32 v68, v198
	v_bitop3_b32 v62, v62, v66, v65 bitop3:0x80
	v_not_b32_e32 v65, v199
	v_xor_b32_e32 v63, s18, v63
	v_xor_b32_e32 v66, vcc_lo, v67
	v_cmp_gt_i32_e32 vcc_lo, 0, v198
	v_ashrrev_i32_e32 v67, 31, v68
	v_cmp_gt_i32_e64 s15, 0, v199
	v_ashrrev_i32_e32 v65, 31, v65
	v_mad_u32_u24 v68, v64, 36, v25
	v_bitop3_b32 v62, v62, v66, v63 bitop3:0x80
	v_xor_b32_e32 v63, vcc_lo, v67
	s_delay_alu instid0(VALU_DEP_4) | instskip(SKIP_3) | instid1(VALU_DEP_2)
	v_xor_b32_e32 v65, s15, v65
	ds_load_b32 v198, v68 offset:1056
	; wave barrier
	v_bitop3_b32 v62, v62, v65, v63 bitop3:0x80
	v_mul_u32_u24_e32 v63, 36, v64
	v_mbcnt_lo_u32_b32 v199, v62, 0
	v_cmp_ne_u32_e64 s15, 0, v62
	s_delay_alu instid0(VALU_DEP_3) | instskip(NEXT) | instid1(VALU_DEP_3)
	v_add_nc_u32_e32 v200, v25, v63
	v_cmp_eq_u32_e32 vcc_lo, 0, v199
	s_and_b32 s16, s15, vcc_lo
	s_delay_alu instid0(SALU_CYCLE_1)
	s_and_saveexec_b32 s15, s16
	s_cbranch_execz .LBB597_1042
; %bb.1041:                             ;   in Loop: Header=BB597_974 Depth=2
	s_wait_dscnt 0x0
	v_bcnt_u32_b32 v62, v62, v198
	ds_store_b32 v200, v62 offset:1056
.LBB597_1042:                           ;   in Loop: Header=BB597_974 Depth=2
	s_or_b32 exec_lo, exec_lo, s15
	; wave barrier
	s_wait_dscnt 0x0
	s_barrier_signal -1
	s_barrier_wait -1
	ds_load_2addr_b32 v[68:69], v117 offset1:1
	ds_load_2addr_b32 v[66:67], v118 offset1:1
	;; [unrolled: 1-line block ×4, first 2 shown]
	ds_load_b32 v201, v91 offset:1088
	s_wait_dscnt 0x3
	v_add3_u32 v202, v69, v68, v66
	s_wait_dscnt 0x2
	s_delay_alu instid0(VALU_DEP_1) | instskip(SKIP_1) | instid1(VALU_DEP_1)
	v_add3_u32 v202, v202, v67, v64
	s_wait_dscnt 0x1
	v_add3_u32 v202, v202, v65, v62
	s_wait_dscnt 0x0
	s_delay_alu instid0(VALU_DEP_1) | instskip(NEXT) | instid1(VALU_DEP_1)
	v_add3_u32 v201, v202, v63, v201
	v_mov_b32_dpp v202, v201 row_shr:1 row_mask:0xf bank_mask:0xf
	s_delay_alu instid0(VALU_DEP_1) | instskip(NEXT) | instid1(VALU_DEP_1)
	v_cndmask_b32_e64 v202, v202, 0, s7
	v_add_nc_u32_e32 v201, v202, v201
	s_delay_alu instid0(VALU_DEP_1) | instskip(NEXT) | instid1(VALU_DEP_1)
	v_mov_b32_dpp v202, v201 row_shr:2 row_mask:0xf bank_mask:0xf
	v_cndmask_b32_e64 v202, 0, v202, s8
	s_delay_alu instid0(VALU_DEP_1) | instskip(NEXT) | instid1(VALU_DEP_1)
	v_add_nc_u32_e32 v201, v201, v202
	v_mov_b32_dpp v202, v201 row_shr:4 row_mask:0xf bank_mask:0xf
	s_delay_alu instid0(VALU_DEP_1) | instskip(NEXT) | instid1(VALU_DEP_1)
	v_cndmask_b32_e64 v202, 0, v202, s9
	v_add_nc_u32_e32 v201, v201, v202
	s_delay_alu instid0(VALU_DEP_1) | instskip(NEXT) | instid1(VALU_DEP_1)
	v_mov_b32_dpp v202, v201 row_shr:8 row_mask:0xf bank_mask:0xf
	v_cndmask_b32_e64 v202, 0, v202, s10
	s_delay_alu instid0(VALU_DEP_1) | instskip(SKIP_3) | instid1(VALU_DEP_1)
	v_add_nc_u32_e32 v201, v201, v202
	ds_swizzle_b32 v202, v201 offset:swizzle(BROADCAST,32,15)
	s_wait_dscnt 0x0
	v_cndmask_b32_e64 v202, v202, 0, s11
	v_add_nc_u32_e32 v201, v201, v202
	s_and_saveexec_b32 s15, s1
; %bb.1043:                             ;   in Loop: Header=BB597_974 Depth=2
	ds_store_b32 v85, v201 offset:1024
; %bb.1044:                             ;   in Loop: Header=BB597_974 Depth=2
	s_or_b32 exec_lo, exec_lo, s15
	s_wait_dscnt 0x0
	s_barrier_signal -1
	s_barrier_wait -1
	s_and_saveexec_b32 s15, s4
	s_cbranch_execz .LBB597_1046
; %bb.1045:                             ;   in Loop: Header=BB597_974 Depth=2
	ds_load_b32 v202, v93 offset:1024
	s_wait_dscnt 0x0
	v_mov_b32_dpp v203, v202 row_shr:1 row_mask:0xf bank_mask:0xf
	s_delay_alu instid0(VALU_DEP_1) | instskip(NEXT) | instid1(VALU_DEP_1)
	v_cndmask_b32_e64 v203, v203, 0, s12
	v_add_nc_u32_e32 v202, v203, v202
	s_delay_alu instid0(VALU_DEP_1) | instskip(NEXT) | instid1(VALU_DEP_1)
	v_mov_b32_dpp v203, v202 row_shr:2 row_mask:0xf bank_mask:0xf
	v_cndmask_b32_e64 v203, 0, v203, s13
	s_delay_alu instid0(VALU_DEP_1) | instskip(NEXT) | instid1(VALU_DEP_1)
	v_add_nc_u32_e32 v202, v202, v203
	v_mov_b32_dpp v203, v202 row_shr:4 row_mask:0xf bank_mask:0xf
	s_delay_alu instid0(VALU_DEP_1) | instskip(NEXT) | instid1(VALU_DEP_1)
	v_cndmask_b32_e64 v203, 0, v203, s14
	v_add_nc_u32_e32 v202, v202, v203
	ds_store_b32 v93, v202 offset:1024
.LBB597_1046:                           ;   in Loop: Header=BB597_974 Depth=2
	s_or_b32 exec_lo, exec_lo, s15
	v_mov_b32_e32 v202, 0
	s_wait_dscnt 0x0
	s_barrier_signal -1
	s_barrier_wait -1
	s_and_saveexec_b32 s15, s5
; %bb.1047:                             ;   in Loop: Header=BB597_974 Depth=2
	ds_load_b32 v202, v85 offset:1020
; %bb.1048:                             ;   in Loop: Header=BB597_974 Depth=2
	s_or_b32 exec_lo, exec_lo, s15
	s_wait_dscnt 0x0
	v_add_nc_u32_e32 v201, v202, v201
	ds_bpermute_b32 v201, v120, v201
	s_wait_dscnt 0x0
	v_cndmask_b32_e64 v201, v201, v202, s6
	s_delay_alu instid0(VALU_DEP_1) | instskip(NEXT) | instid1(VALU_DEP_1)
	v_cndmask_b32_e64 v201, v201, 0, s2
	v_add_nc_u32_e32 v68, v201, v68
	s_delay_alu instid0(VALU_DEP_1) | instskip(NEXT) | instid1(VALU_DEP_1)
	v_add_nc_u32_e32 v69, v68, v69
	v_add_nc_u32_e32 v66, v69, v66
	s_delay_alu instid0(VALU_DEP_1) | instskip(NEXT) | instid1(VALU_DEP_1)
	v_add_nc_u32_e32 v67, v66, v67
	;; [unrolled: 3-line block ×3, first 2 shown]
	v_add_nc_u32_e32 v62, v65, v62
	s_delay_alu instid0(VALU_DEP_1)
	v_add_nc_u32_e32 v63, v62, v63
	ds_store_2addr_b32 v5, v65, v62 offset1:1
	ds_store_2addr_b32 v117, v201, v68 offset1:1
	;; [unrolled: 1-line block ×4, first 2 shown]
	ds_store_b32 v91, v63 offset:1088
	s_wait_dscnt 0x0
	s_barrier_signal -1
	s_barrier_wait -1
	ds_load_b32 v65, v142 offset:1056
	ds_load_b32 v67, v146 offset:1056
	ds_load_b32 v68, v150 offset:1056
	ds_load_b32 v69, v154 offset:1056
	ds_load_b32 v142, v158 offset:1056
	ds_load_b32 v146, v162 offset:1056
	ds_load_b32 v201, v166 offset:1056
	ds_load_b32 v170, v170 offset:1056
	ds_load_b32 v174, v174 offset:1056
	ds_load_b32 v178, v178 offset:1056
	ds_load_b32 v182, v182 offset:1056
	ds_load_b32 v186, v186 offset:1056
	ds_load_b32 v62, v190 offset:1056
	ds_load_b32 v63, v194 offset:1056
	ds_load_b32 v66, v197 offset:1056
	ds_load_b32 v166, v200 offset:1056
	ds_load_b32 v150, v91 offset:1056
	v_mov_b32_e32 v64, 0x1000
	s_and_saveexec_b32 s15, s3
; %bb.1049:                             ;   in Loop: Header=BB597_974 Depth=2
	ds_load_b32 v64, v91 offset:1092
; %bb.1050:                             ;   in Loop: Header=BB597_974 Depth=2
	s_or_b32 exec_lo, exec_lo, s15
	s_wait_dscnt 0x0
	s_barrier_signal -1
	s_barrier_wait -1
	s_and_saveexec_b32 s15, s0
	s_cbranch_execz .LBB597_1052
; %bb.1051:                             ;   in Loop: Header=BB597_974 Depth=2
	ds_load_b32 v154, v4
	s_wait_dscnt 0x0
	v_sub_nc_u32_e32 v150, v154, v150
	ds_store_b32 v4, v150
.LBB597_1052:                           ;   in Loop: Header=BB597_974 Depth=2
	s_or_b32 exec_lo, exec_lo, s15
	v_add3_u32 v158, v145, v144, v67
	v_add_nc_u32_e32 v162, v65, v141
	v_add3_u32 v154, v149, v148, v68
	v_add3_u32 v150, v153, v152, v69
	;; [unrolled: 1-line block ×4, first 2 shown]
	v_lshlrev_b32_e32 v62, 2, v158
	v_lshlrev_b32_e32 v152, 2, v162
	v_add3_u32 v149, v157, v156, v142
	v_add3_u32 v146, v165, v164, v201
	;; [unrolled: 1-line block ×4, first 2 shown]
	v_lshlrev_b32_e32 v63, 2, v154
	v_add3_u32 v144, v173, v172, v174
	v_lshlrev_b32_e32 v153, 2, v148
	ds_store_b32 v152, v139 offset:1024
	v_lshlrev_b32_e32 v139, 2, v150
	v_add3_u32 v142, v177, v176, v178
	v_lshlrev_b32_e32 v152, 2, v149
	v_add3_u32 v141, v181, v180, v182
	v_add3_u32 v65, v185, v184, v186
	ds_store_b32 v62, v140 offset:1024
	ds_store_b32 v63, v143 offset:1024
	;; [unrolled: 1-line block ×5, first 2 shown]
	v_dual_lshlrev_b32 v62, 2, v146 :: v_dual_lshlrev_b32 v139, 2, v144
	v_lshlrev_b32_e32 v63, 2, v145
	v_add3_u32 v67, v196, v195, v66
	v_dual_lshlrev_b32 v140, 2, v142 :: v_dual_lshlrev_b32 v143, 2, v141
	v_add3_u32 v66, v199, v198, v166
	ds_store_b32 v62, v159 offset:1024
	ds_store_b32 v63, v163 offset:1024
	;; [unrolled: 1-line block ×5, first 2 shown]
	v_dual_lshlrev_b32 v62, 2, v65 :: v_dual_lshlrev_b32 v139, 2, v68
	v_cmp_lt_u32_e32 vcc_lo, v2, v137
	v_dual_lshlrev_b32 v63, 2, v69 :: v_dual_lshlrev_b32 v140, 2, v67
	v_lshlrev_b32_e32 v143, 2, v66
	ds_store_b32 v62, v179 offset:1024
	ds_store_b32 v63, v183 offset:1024
	;; [unrolled: 1-line block ×5, first 2 shown]
	s_wait_dscnt 0x0
	s_barrier_signal -1
	s_barrier_wait -1
	s_and_saveexec_b32 s15, vcc_lo
	s_cbranch_execnz .LBB597_1121
; %bb.1053:                             ;   in Loop: Header=BB597_974 Depth=2
	s_or_b32 exec_lo, exec_lo, s15
	v_cmp_lt_u32_e64 s15, v3, v137
	s_and_saveexec_b32 s16, s15
	s_cbranch_execnz .LBB597_1122
.LBB597_1054:                           ;   in Loop: Header=BB597_974 Depth=2
	s_or_b32 exec_lo, exec_lo, s16
	v_cmp_lt_u32_e64 s16, v70, v137
	s_and_saveexec_b32 s17, s16
	s_cbranch_execnz .LBB597_1123
.LBB597_1055:                           ;   in Loop: Header=BB597_974 Depth=2
	s_or_b32 exec_lo, exec_lo, s17
	v_cmp_lt_u32_e64 s17, v71, v137
	s_and_saveexec_b32 s18, s17
	s_cbranch_execnz .LBB597_1124
.LBB597_1056:                           ;   in Loop: Header=BB597_974 Depth=2
	s_or_b32 exec_lo, exec_lo, s18
	v_cmp_lt_u32_e64 s18, v72, v137
	s_and_saveexec_b32 s19, s18
	s_cbranch_execnz .LBB597_1125
.LBB597_1057:                           ;   in Loop: Header=BB597_974 Depth=2
	s_or_b32 exec_lo, exec_lo, s19
	v_cmp_lt_u32_e64 s19, v73, v137
	s_and_saveexec_b32 s20, s19
	s_cbranch_execnz .LBB597_1126
.LBB597_1058:                           ;   in Loop: Header=BB597_974 Depth=2
	s_or_b32 exec_lo, exec_lo, s20
	v_cmp_lt_u32_e64 s20, v74, v137
	s_and_saveexec_b32 s21, s20
	s_cbranch_execnz .LBB597_1127
.LBB597_1059:                           ;   in Loop: Header=BB597_974 Depth=2
	s_or_b32 exec_lo, exec_lo, s21
	v_cmp_lt_u32_e64 s21, v75, v137
	s_and_saveexec_b32 s22, s21
	s_cbranch_execnz .LBB597_1128
.LBB597_1060:                           ;   in Loop: Header=BB597_974 Depth=2
	s_or_b32 exec_lo, exec_lo, s22
	v_cmp_lt_u32_e64 s22, v76, v137
	s_and_saveexec_b32 s23, s22
	s_cbranch_execnz .LBB597_1129
.LBB597_1061:                           ;   in Loop: Header=BB597_974 Depth=2
	s_or_b32 exec_lo, exec_lo, s23
	v_cmp_lt_u32_e64 s23, v77, v137
	s_and_saveexec_b32 s24, s23
	s_cbranch_execnz .LBB597_1130
.LBB597_1062:                           ;   in Loop: Header=BB597_974 Depth=2
	s_or_b32 exec_lo, exec_lo, s24
	v_cmp_lt_u32_e64 s24, v78, v137
	s_and_saveexec_b32 s25, s24
	s_cbranch_execnz .LBB597_1131
.LBB597_1063:                           ;   in Loop: Header=BB597_974 Depth=2
	s_or_b32 exec_lo, exec_lo, s25
	v_cmp_lt_u32_e64 s25, v79, v137
	s_and_saveexec_b32 s26, s25
	s_cbranch_execnz .LBB597_1132
.LBB597_1064:                           ;   in Loop: Header=BB597_974 Depth=2
	s_or_b32 exec_lo, exec_lo, s26
	v_cmp_lt_u32_e64 s26, v80, v137
	s_and_saveexec_b32 s27, s26
	s_cbranch_execnz .LBB597_1133
.LBB597_1065:                           ;   in Loop: Header=BB597_974 Depth=2
	s_or_b32 exec_lo, exec_lo, s27
	v_cmp_lt_u32_e64 s27, v81, v137
	s_and_saveexec_b32 s28, s27
	s_cbranch_execnz .LBB597_1134
.LBB597_1066:                           ;   in Loop: Header=BB597_974 Depth=2
	s_or_b32 exec_lo, exec_lo, s28
	v_cmp_lt_u32_e64 s28, v82, v137
	s_and_saveexec_b32 s29, s28
	s_cbranch_execnz .LBB597_1135
.LBB597_1067:                           ;   in Loop: Header=BB597_974 Depth=2
	s_or_b32 exec_lo, exec_lo, s29
	v_cmp_lt_u32_e64 s29, v83, v137
	s_and_saveexec_b32 s57, s29
	s_cbranch_execz .LBB597_1069
.LBB597_1068:                           ;   in Loop: Header=BB597_974 Depth=2
	ds_load_b32 v62, v93 offset:16384
	s_wait_dscnt 0x0
	v_lshrrev_b32_e32 v63, s49, v62
	v_xor_b32_e32 v62, 0x80000000, v62
	s_delay_alu instid0(VALU_DEP_2) | instskip(NEXT) | instid1(VALU_DEP_1)
	v_and_b32_e32 v63, s48, v63
	v_lshlrev_b32_e32 v63, 2, v63
	ds_load_b32 v63, v63
	s_wait_dscnt 0x0
	v_add_nc_u32_e32 v63, v63, v83
	global_store_b32 v63, v62, s[40:41] scale_offset
.LBB597_1069:                           ;   in Loop: Header=BB597_974 Depth=2
	s_wait_xcnt 0x0
	s_or_b32 exec_lo, exec_lo, s57
	v_lshl_add_u64 v[62:63], s[30:31], 3, v[26:27]
	v_cmp_lt_u32_e64 s30, v99, v137
	s_and_saveexec_b32 s57, s30
	s_delay_alu instid0(SALU_CYCLE_1)
	s_xor_b32 s30, exec_lo, s57
	s_cbranch_execnz .LBB597_1136
; %bb.1070:                             ;   in Loop: Header=BB597_974 Depth=2
	s_or_b32 exec_lo, exec_lo, s30
	s_delay_alu instid0(SALU_CYCLE_1)
	s_mov_b32 s57, exec_lo
	v_cmpx_lt_u32_e64 v102, v137
	s_cbranch_execnz .LBB597_1137
.LBB597_1071:                           ;   in Loop: Header=BB597_974 Depth=2
	s_or_b32 exec_lo, exec_lo, s57
	s_delay_alu instid0(SALU_CYCLE_1)
	s_mov_b32 s57, exec_lo
	v_cmpx_lt_u32_e64 v103, v137
	s_cbranch_execnz .LBB597_1138
.LBB597_1072:                           ;   in Loop: Header=BB597_974 Depth=2
	s_or_b32 exec_lo, exec_lo, s57
	s_delay_alu instid0(SALU_CYCLE_1)
	s_mov_b32 s57, exec_lo
	v_cmpx_lt_u32_e64 v104, v137
	s_cbranch_execnz .LBB597_1139
.LBB597_1073:                           ;   in Loop: Header=BB597_974 Depth=2
	s_or_b32 exec_lo, exec_lo, s57
	s_delay_alu instid0(SALU_CYCLE_1)
	s_mov_b32 s57, exec_lo
	v_cmpx_lt_u32_e64 v105, v137
	s_cbranch_execnz .LBB597_1140
.LBB597_1074:                           ;   in Loop: Header=BB597_974 Depth=2
	s_or_b32 exec_lo, exec_lo, s57
	s_delay_alu instid0(SALU_CYCLE_1)
	s_mov_b32 s57, exec_lo
	v_cmpx_lt_u32_e64 v106, v137
	s_cbranch_execnz .LBB597_1141
.LBB597_1075:                           ;   in Loop: Header=BB597_974 Depth=2
	s_or_b32 exec_lo, exec_lo, s57
	s_delay_alu instid0(SALU_CYCLE_1)
	s_mov_b32 s57, exec_lo
	v_cmpx_lt_u32_e64 v107, v137
	s_cbranch_execnz .LBB597_1142
.LBB597_1076:                           ;   in Loop: Header=BB597_974 Depth=2
	s_or_b32 exec_lo, exec_lo, s57
	s_delay_alu instid0(SALU_CYCLE_1)
	s_mov_b32 s57, exec_lo
	v_cmpx_lt_u32_e64 v108, v137
	s_cbranch_execnz .LBB597_1143
.LBB597_1077:                           ;   in Loop: Header=BB597_974 Depth=2
	s_or_b32 exec_lo, exec_lo, s57
	s_delay_alu instid0(SALU_CYCLE_1)
	s_mov_b32 s57, exec_lo
	v_cmpx_lt_u32_e64 v109, v137
	s_cbranch_execnz .LBB597_1144
.LBB597_1078:                           ;   in Loop: Header=BB597_974 Depth=2
	s_or_b32 exec_lo, exec_lo, s57
	s_delay_alu instid0(SALU_CYCLE_1)
	s_mov_b32 s57, exec_lo
	v_cmpx_lt_u32_e64 v110, v137
	s_cbranch_execnz .LBB597_1145
.LBB597_1079:                           ;   in Loop: Header=BB597_974 Depth=2
	s_or_b32 exec_lo, exec_lo, s57
	s_delay_alu instid0(SALU_CYCLE_1)
	s_mov_b32 s57, exec_lo
	v_cmpx_lt_u32_e64 v111, v137
	s_cbranch_execnz .LBB597_1146
.LBB597_1080:                           ;   in Loop: Header=BB597_974 Depth=2
	s_or_b32 exec_lo, exec_lo, s57
	s_delay_alu instid0(SALU_CYCLE_1)
	s_mov_b32 s57, exec_lo
	v_cmpx_lt_u32_e64 v112, v137
	s_cbranch_execnz .LBB597_1147
.LBB597_1081:                           ;   in Loop: Header=BB597_974 Depth=2
	s_or_b32 exec_lo, exec_lo, s57
	s_delay_alu instid0(SALU_CYCLE_1)
	s_mov_b32 s57, exec_lo
	v_cmpx_lt_u32_e64 v113, v137
	s_cbranch_execnz .LBB597_1148
.LBB597_1082:                           ;   in Loop: Header=BB597_974 Depth=2
	s_or_b32 exec_lo, exec_lo, s57
	s_delay_alu instid0(SALU_CYCLE_1)
	s_mov_b32 s57, exec_lo
	v_cmpx_lt_u32_e64 v114, v137
	s_cbranch_execnz .LBB597_1149
.LBB597_1083:                           ;   in Loop: Header=BB597_974 Depth=2
	s_or_b32 exec_lo, exec_lo, s57
	s_delay_alu instid0(SALU_CYCLE_1)
	s_mov_b32 s57, exec_lo
	v_cmpx_lt_u32_e64 v115, v137
	s_cbranch_execnz .LBB597_1150
.LBB597_1084:                           ;   in Loop: Header=BB597_974 Depth=2
	s_or_b32 exec_lo, exec_lo, s57
	s_delay_alu instid0(SALU_CYCLE_1)
	s_mov_b32 s57, exec_lo
	v_cmpx_lt_u32_e64 v116, v137
	s_cbranch_execnz .LBB597_1151
.LBB597_1085:                           ;   in Loop: Header=BB597_974 Depth=2
	s_or_b32 exec_lo, exec_lo, s57
	s_and_saveexec_b32 s30, vcc_lo
	s_cbranch_execnz .LBB597_1152
.LBB597_1086:                           ;   in Loop: Header=BB597_974 Depth=2
	s_or_b32 exec_lo, exec_lo, s30
	s_and_saveexec_b32 s30, s15
	s_cbranch_execnz .LBB597_1153
.LBB597_1087:                           ;   in Loop: Header=BB597_974 Depth=2
	s_or_b32 exec_lo, exec_lo, s30
	s_and_saveexec_b32 s30, s16
	s_cbranch_execnz .LBB597_1154
.LBB597_1088:                           ;   in Loop: Header=BB597_974 Depth=2
	s_or_b32 exec_lo, exec_lo, s30
	s_and_saveexec_b32 s30, s17
	s_cbranch_execnz .LBB597_1155
.LBB597_1089:                           ;   in Loop: Header=BB597_974 Depth=2
	s_or_b32 exec_lo, exec_lo, s30
	s_and_saveexec_b32 s30, s18
	s_cbranch_execnz .LBB597_1156
.LBB597_1090:                           ;   in Loop: Header=BB597_974 Depth=2
	s_or_b32 exec_lo, exec_lo, s30
	s_and_saveexec_b32 s30, s19
	s_cbranch_execnz .LBB597_1157
.LBB597_1091:                           ;   in Loop: Header=BB597_974 Depth=2
	s_or_b32 exec_lo, exec_lo, s30
	s_and_saveexec_b32 s30, s20
	s_cbranch_execnz .LBB597_1158
.LBB597_1092:                           ;   in Loop: Header=BB597_974 Depth=2
	s_or_b32 exec_lo, exec_lo, s30
	s_and_saveexec_b32 s30, s21
	s_cbranch_execnz .LBB597_1159
.LBB597_1093:                           ;   in Loop: Header=BB597_974 Depth=2
	s_or_b32 exec_lo, exec_lo, s30
	s_and_saveexec_b32 s30, s22
	s_cbranch_execnz .LBB597_1160
.LBB597_1094:                           ;   in Loop: Header=BB597_974 Depth=2
	s_or_b32 exec_lo, exec_lo, s30
	s_and_saveexec_b32 s30, s23
	s_cbranch_execnz .LBB597_1161
.LBB597_1095:                           ;   in Loop: Header=BB597_974 Depth=2
	s_or_b32 exec_lo, exec_lo, s30
	s_and_saveexec_b32 s30, s24
	s_cbranch_execnz .LBB597_1162
.LBB597_1096:                           ;   in Loop: Header=BB597_974 Depth=2
	s_or_b32 exec_lo, exec_lo, s30
	s_and_saveexec_b32 s30, s25
	s_cbranch_execnz .LBB597_1163
.LBB597_1097:                           ;   in Loop: Header=BB597_974 Depth=2
	s_or_b32 exec_lo, exec_lo, s30
	s_and_saveexec_b32 s30, s26
	s_cbranch_execnz .LBB597_1164
.LBB597_1098:                           ;   in Loop: Header=BB597_974 Depth=2
	s_or_b32 exec_lo, exec_lo, s30
	s_and_saveexec_b32 s30, s27
	s_cbranch_execnz .LBB597_1165
.LBB597_1099:                           ;   in Loop: Header=BB597_974 Depth=2
	s_or_b32 exec_lo, exec_lo, s30
	s_and_saveexec_b32 s30, s28
	s_cbranch_execnz .LBB597_1166
.LBB597_1100:                           ;   in Loop: Header=BB597_974 Depth=2
	s_or_b32 exec_lo, exec_lo, s30
	s_and_saveexec_b32 s30, s29
	s_cbranch_execz .LBB597_1102
.LBB597_1101:                           ;   in Loop: Header=BB597_974 Depth=2
	ds_load_b32 v62, v93 offset:16384
	s_wait_dscnt 0x0
	v_lshrrev_b32_e32 v62, s49, v62
	s_delay_alu instid0(VALU_DEP_1)
	v_and_b32_e32 v121, s48, v62
.LBB597_1102:                           ;   in Loop: Header=BB597_974 Depth=2
	s_or_b32 exec_lo, exec_lo, s30
	v_dual_lshlrev_b32 v62, 3, v162 :: v_dual_lshlrev_b32 v138, 3, v149
	s_wait_loadcnt 0x0
	s_wait_storecnt 0x0
	s_barrier_signal -1
	s_barrier_wait -1
	ds_store_b64 v62, v[60:61] offset:1024
	v_dual_lshlrev_b32 v62, 3, v158 :: v_dual_lshlrev_b32 v139, 3, v148
	v_lshlrev_b32_e32 v63, 3, v154
	v_lshlrev_b32_e32 v137, 3, v150
	ds_store_b64 v62, v[58:59] offset:1024
	ds_store_b64 v63, v[56:57] offset:1024
	;; [unrolled: 1-line block ×5, first 2 shown]
	v_dual_lshlrev_b32 v62, 3, v146 :: v_dual_lshlrev_b32 v139, 3, v141
	v_dual_lshlrev_b32 v63, 3, v145 :: v_dual_lshlrev_b32 v137, 3, v144
	v_lshlrev_b32_e32 v138, 3, v142
	ds_store_b64 v62, v[48:49] offset:1024
	ds_store_b64 v63, v[46:47] offset:1024
	ds_store_b64 v137, v[44:45] offset:1024
	ds_store_b64 v138, v[42:43] offset:1024
	ds_store_b64 v139, v[40:41] offset:1024
	v_lshlrev_b32_e32 v62, 3, v65
	v_dual_lshlrev_b32 v63, 3, v69 :: v_dual_lshlrev_b32 v65, 3, v68
	v_dual_lshlrev_b32 v67, 3, v67 :: v_dual_lshlrev_b32 v66, 3, v66
	ds_store_b64 v62, v[38:39] offset:1024
	ds_store_b64 v63, v[36:37] offset:1024
	;; [unrolled: 1-line block ×5, first 2 shown]
	v_add_nc_u32_e32 v62, v93, v4
	s_wait_dscnt 0x0
	s_barrier_signal -1
	s_barrier_wait -1
	s_and_saveexec_b32 s30, vcc_lo
	s_cbranch_execnz .LBB597_1167
; %bb.1103:                             ;   in Loop: Header=BB597_974 Depth=2
	s_or_b32 exec_lo, exec_lo, s30
	s_and_saveexec_b32 s30, s15
	s_cbranch_execnz .LBB597_1168
.LBB597_1104:                           ;   in Loop: Header=BB597_974 Depth=2
	s_or_b32 exec_lo, exec_lo, s30
	s_and_saveexec_b32 s15, s16
	s_cbranch_execnz .LBB597_1169
.LBB597_1105:                           ;   in Loop: Header=BB597_974 Depth=2
	s_or_b32 exec_lo, exec_lo, s15
	s_and_saveexec_b32 s15, s17
	s_cbranch_execnz .LBB597_1170
.LBB597_1106:                           ;   in Loop: Header=BB597_974 Depth=2
	s_or_b32 exec_lo, exec_lo, s15
	s_and_saveexec_b32 s15, s18
	s_cbranch_execnz .LBB597_1171
.LBB597_1107:                           ;   in Loop: Header=BB597_974 Depth=2
	s_or_b32 exec_lo, exec_lo, s15
	s_and_saveexec_b32 s15, s19
	s_cbranch_execnz .LBB597_1172
.LBB597_1108:                           ;   in Loop: Header=BB597_974 Depth=2
	s_or_b32 exec_lo, exec_lo, s15
	s_and_saveexec_b32 s15, s20
	s_cbranch_execnz .LBB597_1173
.LBB597_1109:                           ;   in Loop: Header=BB597_974 Depth=2
	s_or_b32 exec_lo, exec_lo, s15
	s_and_saveexec_b32 s15, s21
	s_cbranch_execnz .LBB597_1174
.LBB597_1110:                           ;   in Loop: Header=BB597_974 Depth=2
	s_or_b32 exec_lo, exec_lo, s15
	s_and_saveexec_b32 s15, s22
	s_cbranch_execnz .LBB597_1175
.LBB597_1111:                           ;   in Loop: Header=BB597_974 Depth=2
	s_or_b32 exec_lo, exec_lo, s15
	s_and_saveexec_b32 s15, s23
	s_cbranch_execnz .LBB597_1176
.LBB597_1112:                           ;   in Loop: Header=BB597_974 Depth=2
	s_or_b32 exec_lo, exec_lo, s15
	s_and_saveexec_b32 s15, s24
	s_cbranch_execnz .LBB597_1177
.LBB597_1113:                           ;   in Loop: Header=BB597_974 Depth=2
	s_or_b32 exec_lo, exec_lo, s15
	s_and_saveexec_b32 s15, s25
	s_cbranch_execnz .LBB597_1178
.LBB597_1114:                           ;   in Loop: Header=BB597_974 Depth=2
	s_or_b32 exec_lo, exec_lo, s15
	s_and_saveexec_b32 s15, s26
	s_cbranch_execnz .LBB597_1179
.LBB597_1115:                           ;   in Loop: Header=BB597_974 Depth=2
	s_or_b32 exec_lo, exec_lo, s15
	s_and_saveexec_b32 s15, s27
	s_cbranch_execnz .LBB597_1180
.LBB597_1116:                           ;   in Loop: Header=BB597_974 Depth=2
	s_or_b32 exec_lo, exec_lo, s15
	s_and_saveexec_b32 s15, s28
	s_cbranch_execnz .LBB597_1181
.LBB597_1117:                           ;   in Loop: Header=BB597_974 Depth=2
	s_or_b32 exec_lo, exec_lo, s15
	s_and_saveexec_b32 s15, s29
	s_cbranch_execz .LBB597_1119
.LBB597_1118:                           ;   in Loop: Header=BB597_974 Depth=2
	v_lshlrev_b32_e32 v63, 2, v121
	ds_load_b32 v65, v63
	ds_load_b64 v[62:63], v62 offset:31744
	s_wait_dscnt 0x1
	v_add_nc_u32_e32 v65, v65, v83
	s_wait_dscnt 0x0
	global_store_b64 v65, v[62:63], s[46:47] scale_offset
.LBB597_1119:                           ;   in Loop: Header=BB597_974 Depth=2
	s_wait_xcnt 0x0
	s_or_b32 exec_lo, exec_lo, s15
	s_wait_storecnt 0x0
	s_barrier_signal -1
	s_barrier_wait -1
	s_and_saveexec_b32 s15, s0
	s_cbranch_execz .LBB597_973
; %bb.1120:                             ;   in Loop: Header=BB597_974 Depth=2
	ds_load_b32 v62, v4
	s_wait_dscnt 0x0
	v_add_nc_u32_e32 v62, v62, v64
	ds_store_b32 v4, v62
	s_branch .LBB597_973
.LBB597_1121:                           ;   in Loop: Header=BB597_974 Depth=2
	ds_load_b32 v62, v93 offset:1024
	s_wait_dscnt 0x0
	v_lshrrev_b32_e32 v63, s49, v62
	v_xor_b32_e32 v62, 0x80000000, v62
	s_delay_alu instid0(VALU_DEP_2) | instskip(NEXT) | instid1(VALU_DEP_1)
	v_and_b32_e32 v63, s48, v63
	v_lshlrev_b32_e32 v63, 2, v63
	ds_load_b32 v63, v63
	s_wait_dscnt 0x0
	v_add_nc_u32_e32 v63, v63, v2
	global_store_b32 v63, v62, s[40:41] scale_offset
	s_wait_xcnt 0x0
	s_or_b32 exec_lo, exec_lo, s15
	v_cmp_lt_u32_e64 s15, v3, v137
	s_and_saveexec_b32 s16, s15
	s_cbranch_execz .LBB597_1054
.LBB597_1122:                           ;   in Loop: Header=BB597_974 Depth=2
	ds_load_b32 v62, v93 offset:2048
	s_wait_dscnt 0x0
	v_lshrrev_b32_e32 v63, s49, v62
	v_xor_b32_e32 v62, 0x80000000, v62
	s_delay_alu instid0(VALU_DEP_2) | instskip(NEXT) | instid1(VALU_DEP_1)
	v_and_b32_e32 v63, s48, v63
	v_lshlrev_b32_e32 v63, 2, v63
	ds_load_b32 v63, v63
	s_wait_dscnt 0x0
	v_add_nc_u32_e32 v63, v63, v3
	global_store_b32 v63, v62, s[40:41] scale_offset
	s_wait_xcnt 0x0
	s_or_b32 exec_lo, exec_lo, s16
	v_cmp_lt_u32_e64 s16, v70, v137
	s_and_saveexec_b32 s17, s16
	s_cbranch_execz .LBB597_1055
.LBB597_1123:                           ;   in Loop: Header=BB597_974 Depth=2
	ds_load_b32 v62, v93 offset:3072
	s_wait_dscnt 0x0
	v_lshrrev_b32_e32 v63, s49, v62
	v_xor_b32_e32 v62, 0x80000000, v62
	s_delay_alu instid0(VALU_DEP_2) | instskip(NEXT) | instid1(VALU_DEP_1)
	v_and_b32_e32 v63, s48, v63
	v_lshlrev_b32_e32 v63, 2, v63
	ds_load_b32 v63, v63
	s_wait_dscnt 0x0
	v_add_nc_u32_e32 v63, v63, v70
	global_store_b32 v63, v62, s[40:41] scale_offset
	s_wait_xcnt 0x0
	s_or_b32 exec_lo, exec_lo, s17
	v_cmp_lt_u32_e64 s17, v71, v137
	s_and_saveexec_b32 s18, s17
	s_cbranch_execz .LBB597_1056
.LBB597_1124:                           ;   in Loop: Header=BB597_974 Depth=2
	ds_load_b32 v62, v93 offset:4096
	s_wait_dscnt 0x0
	v_lshrrev_b32_e32 v63, s49, v62
	v_xor_b32_e32 v62, 0x80000000, v62
	s_delay_alu instid0(VALU_DEP_2) | instskip(NEXT) | instid1(VALU_DEP_1)
	v_and_b32_e32 v63, s48, v63
	v_lshlrev_b32_e32 v63, 2, v63
	ds_load_b32 v63, v63
	s_wait_dscnt 0x0
	v_add_nc_u32_e32 v63, v63, v71
	global_store_b32 v63, v62, s[40:41] scale_offset
	s_wait_xcnt 0x0
	s_or_b32 exec_lo, exec_lo, s18
	v_cmp_lt_u32_e64 s18, v72, v137
	s_and_saveexec_b32 s19, s18
	s_cbranch_execz .LBB597_1057
.LBB597_1125:                           ;   in Loop: Header=BB597_974 Depth=2
	ds_load_b32 v62, v93 offset:5120
	s_wait_dscnt 0x0
	v_lshrrev_b32_e32 v63, s49, v62
	v_xor_b32_e32 v62, 0x80000000, v62
	s_delay_alu instid0(VALU_DEP_2) | instskip(NEXT) | instid1(VALU_DEP_1)
	v_and_b32_e32 v63, s48, v63
	v_lshlrev_b32_e32 v63, 2, v63
	ds_load_b32 v63, v63
	s_wait_dscnt 0x0
	v_add_nc_u32_e32 v63, v63, v72
	global_store_b32 v63, v62, s[40:41] scale_offset
	s_wait_xcnt 0x0
	s_or_b32 exec_lo, exec_lo, s19
	v_cmp_lt_u32_e64 s19, v73, v137
	s_and_saveexec_b32 s20, s19
	s_cbranch_execz .LBB597_1058
.LBB597_1126:                           ;   in Loop: Header=BB597_974 Depth=2
	ds_load_b32 v62, v93 offset:6144
	s_wait_dscnt 0x0
	v_lshrrev_b32_e32 v63, s49, v62
	v_xor_b32_e32 v62, 0x80000000, v62
	s_delay_alu instid0(VALU_DEP_2) | instskip(NEXT) | instid1(VALU_DEP_1)
	v_and_b32_e32 v63, s48, v63
	v_lshlrev_b32_e32 v63, 2, v63
	ds_load_b32 v63, v63
	s_wait_dscnt 0x0
	v_add_nc_u32_e32 v63, v63, v73
	global_store_b32 v63, v62, s[40:41] scale_offset
	s_wait_xcnt 0x0
	s_or_b32 exec_lo, exec_lo, s20
	v_cmp_lt_u32_e64 s20, v74, v137
	s_and_saveexec_b32 s21, s20
	s_cbranch_execz .LBB597_1059
.LBB597_1127:                           ;   in Loop: Header=BB597_974 Depth=2
	ds_load_b32 v62, v93 offset:7168
	s_wait_dscnt 0x0
	v_lshrrev_b32_e32 v63, s49, v62
	v_xor_b32_e32 v62, 0x80000000, v62
	s_delay_alu instid0(VALU_DEP_2) | instskip(NEXT) | instid1(VALU_DEP_1)
	v_and_b32_e32 v63, s48, v63
	v_lshlrev_b32_e32 v63, 2, v63
	ds_load_b32 v63, v63
	s_wait_dscnt 0x0
	v_add_nc_u32_e32 v63, v63, v74
	global_store_b32 v63, v62, s[40:41] scale_offset
	s_wait_xcnt 0x0
	s_or_b32 exec_lo, exec_lo, s21
	v_cmp_lt_u32_e64 s21, v75, v137
	s_and_saveexec_b32 s22, s21
	s_cbranch_execz .LBB597_1060
.LBB597_1128:                           ;   in Loop: Header=BB597_974 Depth=2
	ds_load_b32 v62, v93 offset:8192
	s_wait_dscnt 0x0
	v_lshrrev_b32_e32 v63, s49, v62
	v_xor_b32_e32 v62, 0x80000000, v62
	s_delay_alu instid0(VALU_DEP_2) | instskip(NEXT) | instid1(VALU_DEP_1)
	v_and_b32_e32 v63, s48, v63
	v_lshlrev_b32_e32 v63, 2, v63
	ds_load_b32 v63, v63
	s_wait_dscnt 0x0
	v_add_nc_u32_e32 v63, v63, v75
	global_store_b32 v63, v62, s[40:41] scale_offset
	s_wait_xcnt 0x0
	s_or_b32 exec_lo, exec_lo, s22
	v_cmp_lt_u32_e64 s22, v76, v137
	s_and_saveexec_b32 s23, s22
	s_cbranch_execz .LBB597_1061
.LBB597_1129:                           ;   in Loop: Header=BB597_974 Depth=2
	ds_load_b32 v62, v93 offset:9216
	s_wait_dscnt 0x0
	v_lshrrev_b32_e32 v63, s49, v62
	v_xor_b32_e32 v62, 0x80000000, v62
	s_delay_alu instid0(VALU_DEP_2) | instskip(NEXT) | instid1(VALU_DEP_1)
	v_and_b32_e32 v63, s48, v63
	v_lshlrev_b32_e32 v63, 2, v63
	ds_load_b32 v63, v63
	s_wait_dscnt 0x0
	v_add_nc_u32_e32 v63, v63, v76
	global_store_b32 v63, v62, s[40:41] scale_offset
	s_wait_xcnt 0x0
	s_or_b32 exec_lo, exec_lo, s23
	v_cmp_lt_u32_e64 s23, v77, v137
	s_and_saveexec_b32 s24, s23
	s_cbranch_execz .LBB597_1062
.LBB597_1130:                           ;   in Loop: Header=BB597_974 Depth=2
	ds_load_b32 v62, v93 offset:10240
	s_wait_dscnt 0x0
	v_lshrrev_b32_e32 v63, s49, v62
	v_xor_b32_e32 v62, 0x80000000, v62
	s_delay_alu instid0(VALU_DEP_2) | instskip(NEXT) | instid1(VALU_DEP_1)
	v_and_b32_e32 v63, s48, v63
	v_lshlrev_b32_e32 v63, 2, v63
	ds_load_b32 v63, v63
	s_wait_dscnt 0x0
	v_add_nc_u32_e32 v63, v63, v77
	global_store_b32 v63, v62, s[40:41] scale_offset
	s_wait_xcnt 0x0
	s_or_b32 exec_lo, exec_lo, s24
	v_cmp_lt_u32_e64 s24, v78, v137
	s_and_saveexec_b32 s25, s24
	s_cbranch_execz .LBB597_1063
.LBB597_1131:                           ;   in Loop: Header=BB597_974 Depth=2
	ds_load_b32 v62, v93 offset:11264
	s_wait_dscnt 0x0
	v_lshrrev_b32_e32 v63, s49, v62
	v_xor_b32_e32 v62, 0x80000000, v62
	s_delay_alu instid0(VALU_DEP_2) | instskip(NEXT) | instid1(VALU_DEP_1)
	v_and_b32_e32 v63, s48, v63
	v_lshlrev_b32_e32 v63, 2, v63
	ds_load_b32 v63, v63
	s_wait_dscnt 0x0
	v_add_nc_u32_e32 v63, v63, v78
	global_store_b32 v63, v62, s[40:41] scale_offset
	s_wait_xcnt 0x0
	s_or_b32 exec_lo, exec_lo, s25
	v_cmp_lt_u32_e64 s25, v79, v137
	s_and_saveexec_b32 s26, s25
	s_cbranch_execz .LBB597_1064
.LBB597_1132:                           ;   in Loop: Header=BB597_974 Depth=2
	ds_load_b32 v62, v93 offset:12288
	s_wait_dscnt 0x0
	v_lshrrev_b32_e32 v63, s49, v62
	v_xor_b32_e32 v62, 0x80000000, v62
	s_delay_alu instid0(VALU_DEP_2) | instskip(NEXT) | instid1(VALU_DEP_1)
	v_and_b32_e32 v63, s48, v63
	v_lshlrev_b32_e32 v63, 2, v63
	ds_load_b32 v63, v63
	s_wait_dscnt 0x0
	v_add_nc_u32_e32 v63, v63, v79
	global_store_b32 v63, v62, s[40:41] scale_offset
	s_wait_xcnt 0x0
	s_or_b32 exec_lo, exec_lo, s26
	v_cmp_lt_u32_e64 s26, v80, v137
	s_and_saveexec_b32 s27, s26
	s_cbranch_execz .LBB597_1065
.LBB597_1133:                           ;   in Loop: Header=BB597_974 Depth=2
	ds_load_b32 v62, v93 offset:13312
	s_wait_dscnt 0x0
	v_lshrrev_b32_e32 v63, s49, v62
	v_xor_b32_e32 v62, 0x80000000, v62
	s_delay_alu instid0(VALU_DEP_2) | instskip(NEXT) | instid1(VALU_DEP_1)
	v_and_b32_e32 v63, s48, v63
	v_lshlrev_b32_e32 v63, 2, v63
	ds_load_b32 v63, v63
	s_wait_dscnt 0x0
	v_add_nc_u32_e32 v63, v63, v80
	global_store_b32 v63, v62, s[40:41] scale_offset
	s_wait_xcnt 0x0
	s_or_b32 exec_lo, exec_lo, s27
	v_cmp_lt_u32_e64 s27, v81, v137
	s_and_saveexec_b32 s28, s27
	s_cbranch_execz .LBB597_1066
.LBB597_1134:                           ;   in Loop: Header=BB597_974 Depth=2
	ds_load_b32 v62, v93 offset:14336
	s_wait_dscnt 0x0
	v_lshrrev_b32_e32 v63, s49, v62
	v_xor_b32_e32 v62, 0x80000000, v62
	s_delay_alu instid0(VALU_DEP_2) | instskip(NEXT) | instid1(VALU_DEP_1)
	v_and_b32_e32 v63, s48, v63
	v_lshlrev_b32_e32 v63, 2, v63
	ds_load_b32 v63, v63
	s_wait_dscnt 0x0
	v_add_nc_u32_e32 v63, v63, v81
	global_store_b32 v63, v62, s[40:41] scale_offset
	s_wait_xcnt 0x0
	s_or_b32 exec_lo, exec_lo, s28
	v_cmp_lt_u32_e64 s28, v82, v137
	s_and_saveexec_b32 s29, s28
	s_cbranch_execz .LBB597_1067
.LBB597_1135:                           ;   in Loop: Header=BB597_974 Depth=2
	ds_load_b32 v62, v93 offset:15360
	s_wait_dscnt 0x0
	v_lshrrev_b32_e32 v63, s49, v62
	v_xor_b32_e32 v62, 0x80000000, v62
	s_delay_alu instid0(VALU_DEP_2) | instskip(NEXT) | instid1(VALU_DEP_1)
	v_and_b32_e32 v63, s48, v63
	v_lshlrev_b32_e32 v63, 2, v63
	ds_load_b32 v63, v63
	s_wait_dscnt 0x0
	v_add_nc_u32_e32 v63, v63, v82
	global_store_b32 v63, v62, s[40:41] scale_offset
	s_wait_xcnt 0x0
	s_or_b32 exec_lo, exec_lo, s29
	v_cmp_lt_u32_e64 s29, v83, v137
	s_and_saveexec_b32 s57, s29
	s_cbranch_execnz .LBB597_1068
	s_branch .LBB597_1069
.LBB597_1136:                           ;   in Loop: Header=BB597_974 Depth=2
	global_load_b64 v[60:61], v[62:63], off
	s_wait_xcnt 0x0
	s_or_b32 exec_lo, exec_lo, s30
	s_delay_alu instid0(SALU_CYCLE_1)
	s_mov_b32 s57, exec_lo
	v_cmpx_lt_u32_e64 v102, v137
	s_cbranch_execz .LBB597_1071
.LBB597_1137:                           ;   in Loop: Header=BB597_974 Depth=2
	global_load_b64 v[58:59], v[62:63], off offset:256
	s_wait_xcnt 0x0
	s_or_b32 exec_lo, exec_lo, s57
	s_delay_alu instid0(SALU_CYCLE_1)
	s_mov_b32 s57, exec_lo
	v_cmpx_lt_u32_e64 v103, v137
	s_cbranch_execz .LBB597_1072
.LBB597_1138:                           ;   in Loop: Header=BB597_974 Depth=2
	global_load_b64 v[56:57], v[62:63], off offset:512
	s_wait_xcnt 0x0
	s_or_b32 exec_lo, exec_lo, s57
	s_delay_alu instid0(SALU_CYCLE_1)
	s_mov_b32 s57, exec_lo
	v_cmpx_lt_u32_e64 v104, v137
	s_cbranch_execz .LBB597_1073
.LBB597_1139:                           ;   in Loop: Header=BB597_974 Depth=2
	global_load_b64 v[54:55], v[62:63], off offset:768
	s_wait_xcnt 0x0
	s_or_b32 exec_lo, exec_lo, s57
	s_delay_alu instid0(SALU_CYCLE_1)
	s_mov_b32 s57, exec_lo
	v_cmpx_lt_u32_e64 v105, v137
	s_cbranch_execz .LBB597_1074
.LBB597_1140:                           ;   in Loop: Header=BB597_974 Depth=2
	global_load_b64 v[52:53], v[62:63], off offset:1024
	s_wait_xcnt 0x0
	s_or_b32 exec_lo, exec_lo, s57
	s_delay_alu instid0(SALU_CYCLE_1)
	s_mov_b32 s57, exec_lo
	v_cmpx_lt_u32_e64 v106, v137
	s_cbranch_execz .LBB597_1075
.LBB597_1141:                           ;   in Loop: Header=BB597_974 Depth=2
	global_load_b64 v[50:51], v[62:63], off offset:1280
	s_wait_xcnt 0x0
	s_or_b32 exec_lo, exec_lo, s57
	s_delay_alu instid0(SALU_CYCLE_1)
	s_mov_b32 s57, exec_lo
	v_cmpx_lt_u32_e64 v107, v137
	s_cbranch_execz .LBB597_1076
.LBB597_1142:                           ;   in Loop: Header=BB597_974 Depth=2
	global_load_b64 v[48:49], v[62:63], off offset:1536
	s_wait_xcnt 0x0
	s_or_b32 exec_lo, exec_lo, s57
	s_delay_alu instid0(SALU_CYCLE_1)
	s_mov_b32 s57, exec_lo
	v_cmpx_lt_u32_e64 v108, v137
	s_cbranch_execz .LBB597_1077
.LBB597_1143:                           ;   in Loop: Header=BB597_974 Depth=2
	global_load_b64 v[46:47], v[62:63], off offset:1792
	s_wait_xcnt 0x0
	s_or_b32 exec_lo, exec_lo, s57
	s_delay_alu instid0(SALU_CYCLE_1)
	s_mov_b32 s57, exec_lo
	v_cmpx_lt_u32_e64 v109, v137
	s_cbranch_execz .LBB597_1078
.LBB597_1144:                           ;   in Loop: Header=BB597_974 Depth=2
	global_load_b64 v[44:45], v[62:63], off offset:2048
	s_wait_xcnt 0x0
	s_or_b32 exec_lo, exec_lo, s57
	s_delay_alu instid0(SALU_CYCLE_1)
	s_mov_b32 s57, exec_lo
	v_cmpx_lt_u32_e64 v110, v137
	s_cbranch_execz .LBB597_1079
.LBB597_1145:                           ;   in Loop: Header=BB597_974 Depth=2
	global_load_b64 v[42:43], v[62:63], off offset:2304
	s_wait_xcnt 0x0
	s_or_b32 exec_lo, exec_lo, s57
	s_delay_alu instid0(SALU_CYCLE_1)
	s_mov_b32 s57, exec_lo
	v_cmpx_lt_u32_e64 v111, v137
	s_cbranch_execz .LBB597_1080
.LBB597_1146:                           ;   in Loop: Header=BB597_974 Depth=2
	global_load_b64 v[40:41], v[62:63], off offset:2560
	s_wait_xcnt 0x0
	s_or_b32 exec_lo, exec_lo, s57
	s_delay_alu instid0(SALU_CYCLE_1)
	s_mov_b32 s57, exec_lo
	v_cmpx_lt_u32_e64 v112, v137
	s_cbranch_execz .LBB597_1081
.LBB597_1147:                           ;   in Loop: Header=BB597_974 Depth=2
	global_load_b64 v[38:39], v[62:63], off offset:2816
	s_wait_xcnt 0x0
	s_or_b32 exec_lo, exec_lo, s57
	s_delay_alu instid0(SALU_CYCLE_1)
	s_mov_b32 s57, exec_lo
	v_cmpx_lt_u32_e64 v113, v137
	s_cbranch_execz .LBB597_1082
.LBB597_1148:                           ;   in Loop: Header=BB597_974 Depth=2
	global_load_b64 v[36:37], v[62:63], off offset:3072
	s_wait_xcnt 0x0
	s_or_b32 exec_lo, exec_lo, s57
	s_delay_alu instid0(SALU_CYCLE_1)
	s_mov_b32 s57, exec_lo
	v_cmpx_lt_u32_e64 v114, v137
	s_cbranch_execz .LBB597_1083
.LBB597_1149:                           ;   in Loop: Header=BB597_974 Depth=2
	global_load_b64 v[34:35], v[62:63], off offset:3328
	s_wait_xcnt 0x0
	s_or_b32 exec_lo, exec_lo, s57
	s_delay_alu instid0(SALU_CYCLE_1)
	s_mov_b32 s57, exec_lo
	v_cmpx_lt_u32_e64 v115, v137
	s_cbranch_execz .LBB597_1084
.LBB597_1150:                           ;   in Loop: Header=BB597_974 Depth=2
	global_load_b64 v[32:33], v[62:63], off offset:3584
	s_wait_xcnt 0x0
	s_or_b32 exec_lo, exec_lo, s57
	s_delay_alu instid0(SALU_CYCLE_1)
	s_mov_b32 s57, exec_lo
	v_cmpx_lt_u32_e64 v116, v137
	s_cbranch_execz .LBB597_1085
.LBB597_1151:                           ;   in Loop: Header=BB597_974 Depth=2
	global_load_b64 v[30:31], v[62:63], off offset:3840
	s_wait_xcnt 0x0
	s_or_b32 exec_lo, exec_lo, s57
	s_and_saveexec_b32 s30, vcc_lo
	s_cbranch_execz .LBB597_1086
.LBB597_1152:                           ;   in Loop: Header=BB597_974 Depth=2
	ds_load_b32 v62, v93 offset:1024
	s_wait_dscnt 0x0
	v_lshrrev_b32_e32 v62, s49, v62
	s_delay_alu instid0(VALU_DEP_1)
	v_and_b32_e32 v136, s48, v62
	s_or_b32 exec_lo, exec_lo, s30
	s_and_saveexec_b32 s30, s15
	s_cbranch_execz .LBB597_1087
.LBB597_1153:                           ;   in Loop: Header=BB597_974 Depth=2
	ds_load_b32 v62, v93 offset:2048
	s_wait_dscnt 0x0
	v_lshrrev_b32_e32 v62, s49, v62
	s_delay_alu instid0(VALU_DEP_1)
	v_and_b32_e32 v135, s48, v62
	s_or_b32 exec_lo, exec_lo, s30
	s_and_saveexec_b32 s30, s16
	s_cbranch_execz .LBB597_1088
.LBB597_1154:                           ;   in Loop: Header=BB597_974 Depth=2
	ds_load_b32 v62, v93 offset:3072
	s_wait_dscnt 0x0
	v_lshrrev_b32_e32 v62, s49, v62
	s_delay_alu instid0(VALU_DEP_1)
	v_and_b32_e32 v134, s48, v62
	s_or_b32 exec_lo, exec_lo, s30
	s_and_saveexec_b32 s30, s17
	s_cbranch_execz .LBB597_1089
.LBB597_1155:                           ;   in Loop: Header=BB597_974 Depth=2
	ds_load_b32 v62, v93 offset:4096
	s_wait_dscnt 0x0
	v_lshrrev_b32_e32 v62, s49, v62
	s_delay_alu instid0(VALU_DEP_1)
	v_and_b32_e32 v133, s48, v62
	s_or_b32 exec_lo, exec_lo, s30
	s_and_saveexec_b32 s30, s18
	s_cbranch_execz .LBB597_1090
.LBB597_1156:                           ;   in Loop: Header=BB597_974 Depth=2
	ds_load_b32 v62, v93 offset:5120
	s_wait_dscnt 0x0
	v_lshrrev_b32_e32 v62, s49, v62
	s_delay_alu instid0(VALU_DEP_1)
	v_and_b32_e32 v132, s48, v62
	s_or_b32 exec_lo, exec_lo, s30
	s_and_saveexec_b32 s30, s19
	s_cbranch_execz .LBB597_1091
.LBB597_1157:                           ;   in Loop: Header=BB597_974 Depth=2
	ds_load_b32 v62, v93 offset:6144
	s_wait_dscnt 0x0
	v_lshrrev_b32_e32 v62, s49, v62
	s_delay_alu instid0(VALU_DEP_1)
	v_and_b32_e32 v131, s48, v62
	s_or_b32 exec_lo, exec_lo, s30
	s_and_saveexec_b32 s30, s20
	s_cbranch_execz .LBB597_1092
.LBB597_1158:                           ;   in Loop: Header=BB597_974 Depth=2
	ds_load_b32 v62, v93 offset:7168
	s_wait_dscnt 0x0
	v_lshrrev_b32_e32 v62, s49, v62
	s_delay_alu instid0(VALU_DEP_1)
	v_and_b32_e32 v130, s48, v62
	s_or_b32 exec_lo, exec_lo, s30
	s_and_saveexec_b32 s30, s21
	s_cbranch_execz .LBB597_1093
.LBB597_1159:                           ;   in Loop: Header=BB597_974 Depth=2
	ds_load_b32 v62, v93 offset:8192
	s_wait_dscnt 0x0
	v_lshrrev_b32_e32 v62, s49, v62
	s_delay_alu instid0(VALU_DEP_1)
	v_and_b32_e32 v129, s48, v62
	s_or_b32 exec_lo, exec_lo, s30
	s_and_saveexec_b32 s30, s22
	s_cbranch_execz .LBB597_1094
.LBB597_1160:                           ;   in Loop: Header=BB597_974 Depth=2
	ds_load_b32 v62, v93 offset:9216
	s_wait_dscnt 0x0
	v_lshrrev_b32_e32 v62, s49, v62
	s_delay_alu instid0(VALU_DEP_1)
	v_and_b32_e32 v128, s48, v62
	s_or_b32 exec_lo, exec_lo, s30
	s_and_saveexec_b32 s30, s23
	s_cbranch_execz .LBB597_1095
.LBB597_1161:                           ;   in Loop: Header=BB597_974 Depth=2
	ds_load_b32 v62, v93 offset:10240
	s_wait_dscnt 0x0
	v_lshrrev_b32_e32 v62, s49, v62
	s_delay_alu instid0(VALU_DEP_1)
	v_and_b32_e32 v127, s48, v62
	s_or_b32 exec_lo, exec_lo, s30
	s_and_saveexec_b32 s30, s24
	s_cbranch_execz .LBB597_1096
.LBB597_1162:                           ;   in Loop: Header=BB597_974 Depth=2
	ds_load_b32 v62, v93 offset:11264
	s_wait_dscnt 0x0
	v_lshrrev_b32_e32 v62, s49, v62
	s_delay_alu instid0(VALU_DEP_1)
	v_and_b32_e32 v126, s48, v62
	s_or_b32 exec_lo, exec_lo, s30
	s_and_saveexec_b32 s30, s25
	s_cbranch_execz .LBB597_1097
.LBB597_1163:                           ;   in Loop: Header=BB597_974 Depth=2
	ds_load_b32 v62, v93 offset:12288
	s_wait_dscnt 0x0
	v_lshrrev_b32_e32 v62, s49, v62
	s_delay_alu instid0(VALU_DEP_1)
	v_and_b32_e32 v125, s48, v62
	s_or_b32 exec_lo, exec_lo, s30
	s_and_saveexec_b32 s30, s26
	s_cbranch_execz .LBB597_1098
.LBB597_1164:                           ;   in Loop: Header=BB597_974 Depth=2
	ds_load_b32 v62, v93 offset:13312
	s_wait_dscnt 0x0
	v_lshrrev_b32_e32 v62, s49, v62
	s_delay_alu instid0(VALU_DEP_1)
	v_and_b32_e32 v124, s48, v62
	s_or_b32 exec_lo, exec_lo, s30
	s_and_saveexec_b32 s30, s27
	s_cbranch_execz .LBB597_1099
.LBB597_1165:                           ;   in Loop: Header=BB597_974 Depth=2
	ds_load_b32 v62, v93 offset:14336
	s_wait_dscnt 0x0
	v_lshrrev_b32_e32 v62, s49, v62
	s_delay_alu instid0(VALU_DEP_1)
	v_and_b32_e32 v123, s48, v62
	s_or_b32 exec_lo, exec_lo, s30
	s_and_saveexec_b32 s30, s28
	s_cbranch_execz .LBB597_1100
.LBB597_1166:                           ;   in Loop: Header=BB597_974 Depth=2
	ds_load_b32 v62, v93 offset:15360
	s_wait_dscnt 0x0
	v_lshrrev_b32_e32 v62, s49, v62
	s_delay_alu instid0(VALU_DEP_1)
	v_and_b32_e32 v122, s48, v62
	s_or_b32 exec_lo, exec_lo, s30
	s_and_saveexec_b32 s30, s29
	s_cbranch_execnz .LBB597_1101
	s_branch .LBB597_1102
.LBB597_1167:                           ;   in Loop: Header=BB597_974 Depth=2
	v_lshlrev_b32_e32 v63, 2, v136
	ds_load_b32 v63, v63
	ds_load_b64 v[66:67], v62 offset:1024
	s_wait_dscnt 0x1
	v_add_nc_u32_e32 v63, v63, v2
	s_wait_dscnt 0x0
	global_store_b64 v63, v[66:67], s[46:47] scale_offset
	s_wait_xcnt 0x0
	s_or_b32 exec_lo, exec_lo, s30
	s_and_saveexec_b32 s30, s15
	s_cbranch_execz .LBB597_1104
.LBB597_1168:                           ;   in Loop: Header=BB597_974 Depth=2
	v_lshlrev_b32_e32 v63, 2, v135
	ds_load_b32 v63, v63
	ds_load_b64 v[66:67], v62 offset:3072
	s_wait_dscnt 0x1
	v_add_nc_u32_e32 v63, v63, v3
	s_wait_dscnt 0x0
	global_store_b64 v63, v[66:67], s[46:47] scale_offset
	s_wait_xcnt 0x0
	s_or_b32 exec_lo, exec_lo, s30
	s_and_saveexec_b32 s15, s16
	s_cbranch_execz .LBB597_1105
.LBB597_1169:                           ;   in Loop: Header=BB597_974 Depth=2
	v_lshlrev_b32_e32 v63, 2, v134
	ds_load_b32 v63, v63
	ds_load_b64 v[66:67], v62 offset:5120
	s_wait_dscnt 0x1
	v_add_nc_u32_e32 v63, v63, v70
	s_wait_dscnt 0x0
	global_store_b64 v63, v[66:67], s[46:47] scale_offset
	s_wait_xcnt 0x0
	s_or_b32 exec_lo, exec_lo, s15
	s_and_saveexec_b32 s15, s17
	s_cbranch_execz .LBB597_1106
.LBB597_1170:                           ;   in Loop: Header=BB597_974 Depth=2
	v_lshlrev_b32_e32 v63, 2, v133
	ds_load_b32 v63, v63
	ds_load_b64 v[66:67], v62 offset:7168
	s_wait_dscnt 0x1
	v_add_nc_u32_e32 v63, v63, v71
	s_wait_dscnt 0x0
	global_store_b64 v63, v[66:67], s[46:47] scale_offset
	s_wait_xcnt 0x0
	s_or_b32 exec_lo, exec_lo, s15
	s_and_saveexec_b32 s15, s18
	s_cbranch_execz .LBB597_1107
.LBB597_1171:                           ;   in Loop: Header=BB597_974 Depth=2
	v_lshlrev_b32_e32 v63, 2, v132
	ds_load_b32 v63, v63
	ds_load_b64 v[66:67], v62 offset:9216
	s_wait_dscnt 0x1
	v_add_nc_u32_e32 v63, v63, v72
	s_wait_dscnt 0x0
	global_store_b64 v63, v[66:67], s[46:47] scale_offset
	s_wait_xcnt 0x0
	s_or_b32 exec_lo, exec_lo, s15
	s_and_saveexec_b32 s15, s19
	s_cbranch_execz .LBB597_1108
.LBB597_1172:                           ;   in Loop: Header=BB597_974 Depth=2
	v_lshlrev_b32_e32 v63, 2, v131
	ds_load_b32 v63, v63
	ds_load_b64 v[66:67], v62 offset:11264
	s_wait_dscnt 0x1
	v_add_nc_u32_e32 v63, v63, v73
	s_wait_dscnt 0x0
	global_store_b64 v63, v[66:67], s[46:47] scale_offset
	s_wait_xcnt 0x0
	s_or_b32 exec_lo, exec_lo, s15
	s_and_saveexec_b32 s15, s20
	s_cbranch_execz .LBB597_1109
.LBB597_1173:                           ;   in Loop: Header=BB597_974 Depth=2
	v_lshlrev_b32_e32 v63, 2, v130
	ds_load_b32 v63, v63
	ds_load_b64 v[66:67], v62 offset:13312
	s_wait_dscnt 0x1
	v_add_nc_u32_e32 v63, v63, v74
	s_wait_dscnt 0x0
	global_store_b64 v63, v[66:67], s[46:47] scale_offset
	s_wait_xcnt 0x0
	s_or_b32 exec_lo, exec_lo, s15
	s_and_saveexec_b32 s15, s21
	s_cbranch_execz .LBB597_1110
.LBB597_1174:                           ;   in Loop: Header=BB597_974 Depth=2
	v_lshlrev_b32_e32 v63, 2, v129
	ds_load_b32 v63, v63
	ds_load_b64 v[66:67], v62 offset:15360
	s_wait_dscnt 0x1
	v_add_nc_u32_e32 v63, v63, v75
	s_wait_dscnt 0x0
	global_store_b64 v63, v[66:67], s[46:47] scale_offset
	s_wait_xcnt 0x0
	s_or_b32 exec_lo, exec_lo, s15
	s_and_saveexec_b32 s15, s22
	s_cbranch_execz .LBB597_1111
.LBB597_1175:                           ;   in Loop: Header=BB597_974 Depth=2
	v_lshlrev_b32_e32 v63, 2, v128
	ds_load_b32 v63, v63
	ds_load_b64 v[66:67], v62 offset:17408
	s_wait_dscnt 0x1
	v_add_nc_u32_e32 v63, v63, v76
	s_wait_dscnt 0x0
	global_store_b64 v63, v[66:67], s[46:47] scale_offset
	s_wait_xcnt 0x0
	s_or_b32 exec_lo, exec_lo, s15
	s_and_saveexec_b32 s15, s23
	s_cbranch_execz .LBB597_1112
.LBB597_1176:                           ;   in Loop: Header=BB597_974 Depth=2
	v_lshlrev_b32_e32 v63, 2, v127
	ds_load_b32 v63, v63
	ds_load_b64 v[66:67], v62 offset:19456
	s_wait_dscnt 0x1
	v_add_nc_u32_e32 v63, v63, v77
	s_wait_dscnt 0x0
	global_store_b64 v63, v[66:67], s[46:47] scale_offset
	s_wait_xcnt 0x0
	s_or_b32 exec_lo, exec_lo, s15
	s_and_saveexec_b32 s15, s24
	s_cbranch_execz .LBB597_1113
.LBB597_1177:                           ;   in Loop: Header=BB597_974 Depth=2
	v_lshlrev_b32_e32 v63, 2, v126
	ds_load_b32 v63, v63
	ds_load_b64 v[66:67], v62 offset:21504
	s_wait_dscnt 0x1
	v_add_nc_u32_e32 v63, v63, v78
	s_wait_dscnt 0x0
	global_store_b64 v63, v[66:67], s[46:47] scale_offset
	s_wait_xcnt 0x0
	s_or_b32 exec_lo, exec_lo, s15
	s_and_saveexec_b32 s15, s25
	s_cbranch_execz .LBB597_1114
.LBB597_1178:                           ;   in Loop: Header=BB597_974 Depth=2
	v_lshlrev_b32_e32 v63, 2, v125
	ds_load_b32 v63, v63
	ds_load_b64 v[66:67], v62 offset:23552
	s_wait_dscnt 0x1
	v_add_nc_u32_e32 v63, v63, v79
	s_wait_dscnt 0x0
	global_store_b64 v63, v[66:67], s[46:47] scale_offset
	s_wait_xcnt 0x0
	s_or_b32 exec_lo, exec_lo, s15
	s_and_saveexec_b32 s15, s26
	s_cbranch_execz .LBB597_1115
.LBB597_1179:                           ;   in Loop: Header=BB597_974 Depth=2
	v_lshlrev_b32_e32 v63, 2, v124
	ds_load_b32 v63, v63
	ds_load_b64 v[66:67], v62 offset:25600
	s_wait_dscnt 0x1
	v_add_nc_u32_e32 v63, v63, v80
	s_wait_dscnt 0x0
	global_store_b64 v63, v[66:67], s[46:47] scale_offset
	s_wait_xcnt 0x0
	s_or_b32 exec_lo, exec_lo, s15
	s_and_saveexec_b32 s15, s27
	s_cbranch_execz .LBB597_1116
.LBB597_1180:                           ;   in Loop: Header=BB597_974 Depth=2
	v_lshlrev_b32_e32 v63, 2, v123
	ds_load_b32 v63, v63
	ds_load_b64 v[66:67], v62 offset:27648
	s_wait_dscnt 0x1
	v_add_nc_u32_e32 v63, v63, v81
	s_wait_dscnt 0x0
	global_store_b64 v63, v[66:67], s[46:47] scale_offset
	s_wait_xcnt 0x0
	s_or_b32 exec_lo, exec_lo, s15
	s_and_saveexec_b32 s15, s28
	s_cbranch_execz .LBB597_1117
.LBB597_1181:                           ;   in Loop: Header=BB597_974 Depth=2
	v_lshlrev_b32_e32 v63, 2, v122
	ds_load_b32 v63, v63
	ds_load_b64 v[66:67], v62 offset:29696
	s_wait_dscnt 0x1
	v_add_nc_u32_e32 v63, v63, v82
	s_wait_dscnt 0x0
	global_store_b64 v63, v[66:67], s[46:47] scale_offset
	s_wait_xcnt 0x0
	s_or_b32 exec_lo, exec_lo, s15
	s_and_saveexec_b32 s15, s29
	s_cbranch_execnz .LBB597_1118
	s_branch .LBB597_1119
.LBB597_1182:
	s_endpgm
	.section	.rodata,"a",@progbits
	.p2align	6, 0x0
	.amdhsa_kernel _ZN7rocprim17ROCPRIM_400000_NS6detail17trampoline_kernelINS0_14default_configENS1_36segmented_radix_sort_config_selectorIilEEZNS1_25segmented_radix_sort_implIS3_Lb0EPKiPiPKlPlN2at6native12_GLOBAL__N_18offset_tEEE10hipError_tPvRmT1_PNSt15iterator_traitsISK_E10value_typeET2_T3_PNSL_ISQ_E10value_typeET4_jRbjT5_SW_jjP12ihipStream_tbEUlT_E_NS1_11comp_targetILNS1_3genE0ELNS1_11target_archE4294967295ELNS1_3gpuE0ELNS1_3repE0EEENS1_30default_config_static_selectorELNS0_4arch9wavefront6targetE0EEEvSK_
		.amdhsa_group_segment_fixed_size 33824
		.amdhsa_private_segment_fixed_size 0
		.amdhsa_kernarg_size 352
		.amdhsa_user_sgpr_count 4
		.amdhsa_user_sgpr_dispatch_ptr 0
		.amdhsa_user_sgpr_queue_ptr 1
		.amdhsa_user_sgpr_kernarg_segment_ptr 1
		.amdhsa_user_sgpr_dispatch_id 0
		.amdhsa_user_sgpr_kernarg_preload_length 0
		.amdhsa_user_sgpr_kernarg_preload_offset 0
		.amdhsa_user_sgpr_private_segment_size 0
		.amdhsa_wavefront_size32 1
		.amdhsa_uses_dynamic_stack 0
		.amdhsa_enable_private_segment 0
		.amdhsa_system_sgpr_workgroup_id_x 1
		.amdhsa_system_sgpr_workgroup_id_y 1
		.amdhsa_system_sgpr_workgroup_id_z 0
		.amdhsa_system_sgpr_workgroup_info 0
		.amdhsa_system_vgpr_workitem_id 2
		.amdhsa_next_free_vgpr 287
		.amdhsa_next_free_sgpr 58
		.amdhsa_named_barrier_count 0
		.amdhsa_reserve_vcc 1
		.amdhsa_float_round_mode_32 0
		.amdhsa_float_round_mode_16_64 0
		.amdhsa_float_denorm_mode_32 3
		.amdhsa_float_denorm_mode_16_64 3
		.amdhsa_fp16_overflow 0
		.amdhsa_memory_ordered 1
		.amdhsa_forward_progress 1
		.amdhsa_inst_pref_size 255
		.amdhsa_round_robin_scheduling 0
		.amdhsa_exception_fp_ieee_invalid_op 0
		.amdhsa_exception_fp_denorm_src 0
		.amdhsa_exception_fp_ieee_div_zero 0
		.amdhsa_exception_fp_ieee_overflow 0
		.amdhsa_exception_fp_ieee_underflow 0
		.amdhsa_exception_fp_ieee_inexact 0
		.amdhsa_exception_int_div_zero 0
	.end_amdhsa_kernel
	.section	.text._ZN7rocprim17ROCPRIM_400000_NS6detail17trampoline_kernelINS0_14default_configENS1_36segmented_radix_sort_config_selectorIilEEZNS1_25segmented_radix_sort_implIS3_Lb0EPKiPiPKlPlN2at6native12_GLOBAL__N_18offset_tEEE10hipError_tPvRmT1_PNSt15iterator_traitsISK_E10value_typeET2_T3_PNSL_ISQ_E10value_typeET4_jRbjT5_SW_jjP12ihipStream_tbEUlT_E_NS1_11comp_targetILNS1_3genE0ELNS1_11target_archE4294967295ELNS1_3gpuE0ELNS1_3repE0EEENS1_30default_config_static_selectorELNS0_4arch9wavefront6targetE0EEEvSK_,"axG",@progbits,_ZN7rocprim17ROCPRIM_400000_NS6detail17trampoline_kernelINS0_14default_configENS1_36segmented_radix_sort_config_selectorIilEEZNS1_25segmented_radix_sort_implIS3_Lb0EPKiPiPKlPlN2at6native12_GLOBAL__N_18offset_tEEE10hipError_tPvRmT1_PNSt15iterator_traitsISK_E10value_typeET2_T3_PNSL_ISQ_E10value_typeET4_jRbjT5_SW_jjP12ihipStream_tbEUlT_E_NS1_11comp_targetILNS1_3genE0ELNS1_11target_archE4294967295ELNS1_3gpuE0ELNS1_3repE0EEENS1_30default_config_static_selectorELNS0_4arch9wavefront6targetE0EEEvSK_,comdat
.Lfunc_end597:
	.size	_ZN7rocprim17ROCPRIM_400000_NS6detail17trampoline_kernelINS0_14default_configENS1_36segmented_radix_sort_config_selectorIilEEZNS1_25segmented_radix_sort_implIS3_Lb0EPKiPiPKlPlN2at6native12_GLOBAL__N_18offset_tEEE10hipError_tPvRmT1_PNSt15iterator_traitsISK_E10value_typeET2_T3_PNSL_ISQ_E10value_typeET4_jRbjT5_SW_jjP12ihipStream_tbEUlT_E_NS1_11comp_targetILNS1_3genE0ELNS1_11target_archE4294967295ELNS1_3gpuE0ELNS1_3repE0EEENS1_30default_config_static_selectorELNS0_4arch9wavefront6targetE0EEEvSK_, .Lfunc_end597-_ZN7rocprim17ROCPRIM_400000_NS6detail17trampoline_kernelINS0_14default_configENS1_36segmented_radix_sort_config_selectorIilEEZNS1_25segmented_radix_sort_implIS3_Lb0EPKiPiPKlPlN2at6native12_GLOBAL__N_18offset_tEEE10hipError_tPvRmT1_PNSt15iterator_traitsISK_E10value_typeET2_T3_PNSL_ISQ_E10value_typeET4_jRbjT5_SW_jjP12ihipStream_tbEUlT_E_NS1_11comp_targetILNS1_3genE0ELNS1_11target_archE4294967295ELNS1_3gpuE0ELNS1_3repE0EEENS1_30default_config_static_selectorELNS0_4arch9wavefront6targetE0EEEvSK_
                                        ; -- End function
	.set _ZN7rocprim17ROCPRIM_400000_NS6detail17trampoline_kernelINS0_14default_configENS1_36segmented_radix_sort_config_selectorIilEEZNS1_25segmented_radix_sort_implIS3_Lb0EPKiPiPKlPlN2at6native12_GLOBAL__N_18offset_tEEE10hipError_tPvRmT1_PNSt15iterator_traitsISK_E10value_typeET2_T3_PNSL_ISQ_E10value_typeET4_jRbjT5_SW_jjP12ihipStream_tbEUlT_E_NS1_11comp_targetILNS1_3genE0ELNS1_11target_archE4294967295ELNS1_3gpuE0ELNS1_3repE0EEENS1_30default_config_static_selectorELNS0_4arch9wavefront6targetE0EEEvSK_.num_vgpr, max(204, .L_ZN7rocprim17ROCPRIM_400000_NS6detail40segmented_radix_sort_single_block_helperIilLj256ELj16ELb0EE4sortIPKiPiPKlPlEEbT_T0_T1_T2_jjjjRNS3_12storage_typeE.num_vgpr)
	.set _ZN7rocprim17ROCPRIM_400000_NS6detail17trampoline_kernelINS0_14default_configENS1_36segmented_radix_sort_config_selectorIilEEZNS1_25segmented_radix_sort_implIS3_Lb0EPKiPiPKlPlN2at6native12_GLOBAL__N_18offset_tEEE10hipError_tPvRmT1_PNSt15iterator_traitsISK_E10value_typeET2_T3_PNSL_ISQ_E10value_typeET4_jRbjT5_SW_jjP12ihipStream_tbEUlT_E_NS1_11comp_targetILNS1_3genE0ELNS1_11target_archE4294967295ELNS1_3gpuE0ELNS1_3repE0EEENS1_30default_config_static_selectorELNS0_4arch9wavefront6targetE0EEEvSK_.num_agpr, max(0, .L_ZN7rocprim17ROCPRIM_400000_NS6detail40segmented_radix_sort_single_block_helperIilLj256ELj16ELb0EE4sortIPKiPiPKlPlEEbT_T0_T1_T2_jjjjRNS3_12storage_typeE.num_agpr)
	.set _ZN7rocprim17ROCPRIM_400000_NS6detail17trampoline_kernelINS0_14default_configENS1_36segmented_radix_sort_config_selectorIilEEZNS1_25segmented_radix_sort_implIS3_Lb0EPKiPiPKlPlN2at6native12_GLOBAL__N_18offset_tEEE10hipError_tPvRmT1_PNSt15iterator_traitsISK_E10value_typeET2_T3_PNSL_ISQ_E10value_typeET4_jRbjT5_SW_jjP12ihipStream_tbEUlT_E_NS1_11comp_targetILNS1_3genE0ELNS1_11target_archE4294967295ELNS1_3gpuE0ELNS1_3repE0EEENS1_30default_config_static_selectorELNS0_4arch9wavefront6targetE0EEEvSK_.numbered_sgpr, max(58, .L_ZN7rocprim17ROCPRIM_400000_NS6detail40segmented_radix_sort_single_block_helperIilLj256ELj16ELb0EE4sortIPKiPiPKlPlEEbT_T0_T1_T2_jjjjRNS3_12storage_typeE.numbered_sgpr)
	.set _ZN7rocprim17ROCPRIM_400000_NS6detail17trampoline_kernelINS0_14default_configENS1_36segmented_radix_sort_config_selectorIilEEZNS1_25segmented_radix_sort_implIS3_Lb0EPKiPiPKlPlN2at6native12_GLOBAL__N_18offset_tEEE10hipError_tPvRmT1_PNSt15iterator_traitsISK_E10value_typeET2_T3_PNSL_ISQ_E10value_typeET4_jRbjT5_SW_jjP12ihipStream_tbEUlT_E_NS1_11comp_targetILNS1_3genE0ELNS1_11target_archE4294967295ELNS1_3gpuE0ELNS1_3repE0EEENS1_30default_config_static_selectorELNS0_4arch9wavefront6targetE0EEEvSK_.num_named_barrier, max(0, .L_ZN7rocprim17ROCPRIM_400000_NS6detail40segmented_radix_sort_single_block_helperIilLj256ELj16ELb0EE4sortIPKiPiPKlPlEEbT_T0_T1_T2_jjjjRNS3_12storage_typeE.num_named_barrier)
	.set _ZN7rocprim17ROCPRIM_400000_NS6detail17trampoline_kernelINS0_14default_configENS1_36segmented_radix_sort_config_selectorIilEEZNS1_25segmented_radix_sort_implIS3_Lb0EPKiPiPKlPlN2at6native12_GLOBAL__N_18offset_tEEE10hipError_tPvRmT1_PNSt15iterator_traitsISK_E10value_typeET2_T3_PNSL_ISQ_E10value_typeET4_jRbjT5_SW_jjP12ihipStream_tbEUlT_E_NS1_11comp_targetILNS1_3genE0ELNS1_11target_archE4294967295ELNS1_3gpuE0ELNS1_3repE0EEENS1_30default_config_static_selectorELNS0_4arch9wavefront6targetE0EEEvSK_.private_seg_size, 0+max(.L_ZN7rocprim17ROCPRIM_400000_NS6detail40segmented_radix_sort_single_block_helperIilLj256ELj16ELb0EE4sortIPKiPiPKlPlEEbT_T0_T1_T2_jjjjRNS3_12storage_typeE.private_seg_size)
	.set _ZN7rocprim17ROCPRIM_400000_NS6detail17trampoline_kernelINS0_14default_configENS1_36segmented_radix_sort_config_selectorIilEEZNS1_25segmented_radix_sort_implIS3_Lb0EPKiPiPKlPlN2at6native12_GLOBAL__N_18offset_tEEE10hipError_tPvRmT1_PNSt15iterator_traitsISK_E10value_typeET2_T3_PNSL_ISQ_E10value_typeET4_jRbjT5_SW_jjP12ihipStream_tbEUlT_E_NS1_11comp_targetILNS1_3genE0ELNS1_11target_archE4294967295ELNS1_3gpuE0ELNS1_3repE0EEENS1_30default_config_static_selectorELNS0_4arch9wavefront6targetE0EEEvSK_.uses_vcc, or(1, .L_ZN7rocprim17ROCPRIM_400000_NS6detail40segmented_radix_sort_single_block_helperIilLj256ELj16ELb0EE4sortIPKiPiPKlPlEEbT_T0_T1_T2_jjjjRNS3_12storage_typeE.uses_vcc)
	.set _ZN7rocprim17ROCPRIM_400000_NS6detail17trampoline_kernelINS0_14default_configENS1_36segmented_radix_sort_config_selectorIilEEZNS1_25segmented_radix_sort_implIS3_Lb0EPKiPiPKlPlN2at6native12_GLOBAL__N_18offset_tEEE10hipError_tPvRmT1_PNSt15iterator_traitsISK_E10value_typeET2_T3_PNSL_ISQ_E10value_typeET4_jRbjT5_SW_jjP12ihipStream_tbEUlT_E_NS1_11comp_targetILNS1_3genE0ELNS1_11target_archE4294967295ELNS1_3gpuE0ELNS1_3repE0EEENS1_30default_config_static_selectorELNS0_4arch9wavefront6targetE0EEEvSK_.uses_flat_scratch, or(0, .L_ZN7rocprim17ROCPRIM_400000_NS6detail40segmented_radix_sort_single_block_helperIilLj256ELj16ELb0EE4sortIPKiPiPKlPlEEbT_T0_T1_T2_jjjjRNS3_12storage_typeE.uses_flat_scratch)
	.set _ZN7rocprim17ROCPRIM_400000_NS6detail17trampoline_kernelINS0_14default_configENS1_36segmented_radix_sort_config_selectorIilEEZNS1_25segmented_radix_sort_implIS3_Lb0EPKiPiPKlPlN2at6native12_GLOBAL__N_18offset_tEEE10hipError_tPvRmT1_PNSt15iterator_traitsISK_E10value_typeET2_T3_PNSL_ISQ_E10value_typeET4_jRbjT5_SW_jjP12ihipStream_tbEUlT_E_NS1_11comp_targetILNS1_3genE0ELNS1_11target_archE4294967295ELNS1_3gpuE0ELNS1_3repE0EEENS1_30default_config_static_selectorELNS0_4arch9wavefront6targetE0EEEvSK_.has_dyn_sized_stack, or(0, .L_ZN7rocprim17ROCPRIM_400000_NS6detail40segmented_radix_sort_single_block_helperIilLj256ELj16ELb0EE4sortIPKiPiPKlPlEEbT_T0_T1_T2_jjjjRNS3_12storage_typeE.has_dyn_sized_stack)
	.set _ZN7rocprim17ROCPRIM_400000_NS6detail17trampoline_kernelINS0_14default_configENS1_36segmented_radix_sort_config_selectorIilEEZNS1_25segmented_radix_sort_implIS3_Lb0EPKiPiPKlPlN2at6native12_GLOBAL__N_18offset_tEEE10hipError_tPvRmT1_PNSt15iterator_traitsISK_E10value_typeET2_T3_PNSL_ISQ_E10value_typeET4_jRbjT5_SW_jjP12ihipStream_tbEUlT_E_NS1_11comp_targetILNS1_3genE0ELNS1_11target_archE4294967295ELNS1_3gpuE0ELNS1_3repE0EEENS1_30default_config_static_selectorELNS0_4arch9wavefront6targetE0EEEvSK_.has_recursion, or(0, .L_ZN7rocprim17ROCPRIM_400000_NS6detail40segmented_radix_sort_single_block_helperIilLj256ELj16ELb0EE4sortIPKiPiPKlPlEEbT_T0_T1_T2_jjjjRNS3_12storage_typeE.has_recursion)
	.set _ZN7rocprim17ROCPRIM_400000_NS6detail17trampoline_kernelINS0_14default_configENS1_36segmented_radix_sort_config_selectorIilEEZNS1_25segmented_radix_sort_implIS3_Lb0EPKiPiPKlPlN2at6native12_GLOBAL__N_18offset_tEEE10hipError_tPvRmT1_PNSt15iterator_traitsISK_E10value_typeET2_T3_PNSL_ISQ_E10value_typeET4_jRbjT5_SW_jjP12ihipStream_tbEUlT_E_NS1_11comp_targetILNS1_3genE0ELNS1_11target_archE4294967295ELNS1_3gpuE0ELNS1_3repE0EEENS1_30default_config_static_selectorELNS0_4arch9wavefront6targetE0EEEvSK_.has_indirect_call, or(0, .L_ZN7rocprim17ROCPRIM_400000_NS6detail40segmented_radix_sort_single_block_helperIilLj256ELj16ELb0EE4sortIPKiPiPKlPlEEbT_T0_T1_T2_jjjjRNS3_12storage_typeE.has_indirect_call)
	.section	.AMDGPU.csdata,"",@progbits
; Kernel info:
; codeLenInByte = 68340
; TotalNumSgprs: 60
; NumVgprs: 287
; ScratchSize: 0
; MemoryBound: 0
; FloatMode: 240
; IeeeMode: 1
; LDSByteSize: 33824 bytes/workgroup (compile time only)
; SGPRBlocks: 0
; VGPRBlocks: 17
; NumSGPRsForWavesPerEU: 60
; NumVGPRsForWavesPerEU: 287
; NamedBarCnt: 0
; Occupancy: 3
; WaveLimiterHint : 1
; COMPUTE_PGM_RSRC2:SCRATCH_EN: 0
; COMPUTE_PGM_RSRC2:USER_SGPR: 4
; COMPUTE_PGM_RSRC2:TRAP_HANDLER: 0
; COMPUTE_PGM_RSRC2:TGID_X_EN: 1
; COMPUTE_PGM_RSRC2:TGID_Y_EN: 1
; COMPUTE_PGM_RSRC2:TGID_Z_EN: 0
; COMPUTE_PGM_RSRC2:TIDIG_COMP_CNT: 2
	.section	.text._ZN7rocprim17ROCPRIM_400000_NS6detail17trampoline_kernelINS0_14default_configENS1_36segmented_radix_sort_config_selectorIilEEZNS1_25segmented_radix_sort_implIS3_Lb0EPKiPiPKlPlN2at6native12_GLOBAL__N_18offset_tEEE10hipError_tPvRmT1_PNSt15iterator_traitsISK_E10value_typeET2_T3_PNSL_ISQ_E10value_typeET4_jRbjT5_SW_jjP12ihipStream_tbEUlT_E_NS1_11comp_targetILNS1_3genE5ELNS1_11target_archE942ELNS1_3gpuE9ELNS1_3repE0EEENS1_30default_config_static_selectorELNS0_4arch9wavefront6targetE0EEEvSK_,"axG",@progbits,_ZN7rocprim17ROCPRIM_400000_NS6detail17trampoline_kernelINS0_14default_configENS1_36segmented_radix_sort_config_selectorIilEEZNS1_25segmented_radix_sort_implIS3_Lb0EPKiPiPKlPlN2at6native12_GLOBAL__N_18offset_tEEE10hipError_tPvRmT1_PNSt15iterator_traitsISK_E10value_typeET2_T3_PNSL_ISQ_E10value_typeET4_jRbjT5_SW_jjP12ihipStream_tbEUlT_E_NS1_11comp_targetILNS1_3genE5ELNS1_11target_archE942ELNS1_3gpuE9ELNS1_3repE0EEENS1_30default_config_static_selectorELNS0_4arch9wavefront6targetE0EEEvSK_,comdat
	.globl	_ZN7rocprim17ROCPRIM_400000_NS6detail17trampoline_kernelINS0_14default_configENS1_36segmented_radix_sort_config_selectorIilEEZNS1_25segmented_radix_sort_implIS3_Lb0EPKiPiPKlPlN2at6native12_GLOBAL__N_18offset_tEEE10hipError_tPvRmT1_PNSt15iterator_traitsISK_E10value_typeET2_T3_PNSL_ISQ_E10value_typeET4_jRbjT5_SW_jjP12ihipStream_tbEUlT_E_NS1_11comp_targetILNS1_3genE5ELNS1_11target_archE942ELNS1_3gpuE9ELNS1_3repE0EEENS1_30default_config_static_selectorELNS0_4arch9wavefront6targetE0EEEvSK_ ; -- Begin function _ZN7rocprim17ROCPRIM_400000_NS6detail17trampoline_kernelINS0_14default_configENS1_36segmented_radix_sort_config_selectorIilEEZNS1_25segmented_radix_sort_implIS3_Lb0EPKiPiPKlPlN2at6native12_GLOBAL__N_18offset_tEEE10hipError_tPvRmT1_PNSt15iterator_traitsISK_E10value_typeET2_T3_PNSL_ISQ_E10value_typeET4_jRbjT5_SW_jjP12ihipStream_tbEUlT_E_NS1_11comp_targetILNS1_3genE5ELNS1_11target_archE942ELNS1_3gpuE9ELNS1_3repE0EEENS1_30default_config_static_selectorELNS0_4arch9wavefront6targetE0EEEvSK_
	.p2align	8
	.type	_ZN7rocprim17ROCPRIM_400000_NS6detail17trampoline_kernelINS0_14default_configENS1_36segmented_radix_sort_config_selectorIilEEZNS1_25segmented_radix_sort_implIS3_Lb0EPKiPiPKlPlN2at6native12_GLOBAL__N_18offset_tEEE10hipError_tPvRmT1_PNSt15iterator_traitsISK_E10value_typeET2_T3_PNSL_ISQ_E10value_typeET4_jRbjT5_SW_jjP12ihipStream_tbEUlT_E_NS1_11comp_targetILNS1_3genE5ELNS1_11target_archE942ELNS1_3gpuE9ELNS1_3repE0EEENS1_30default_config_static_selectorELNS0_4arch9wavefront6targetE0EEEvSK_,@function
_ZN7rocprim17ROCPRIM_400000_NS6detail17trampoline_kernelINS0_14default_configENS1_36segmented_radix_sort_config_selectorIilEEZNS1_25segmented_radix_sort_implIS3_Lb0EPKiPiPKlPlN2at6native12_GLOBAL__N_18offset_tEEE10hipError_tPvRmT1_PNSt15iterator_traitsISK_E10value_typeET2_T3_PNSL_ISQ_E10value_typeET4_jRbjT5_SW_jjP12ihipStream_tbEUlT_E_NS1_11comp_targetILNS1_3genE5ELNS1_11target_archE942ELNS1_3gpuE9ELNS1_3repE0EEENS1_30default_config_static_selectorELNS0_4arch9wavefront6targetE0EEEvSK_: ; @_ZN7rocprim17ROCPRIM_400000_NS6detail17trampoline_kernelINS0_14default_configENS1_36segmented_radix_sort_config_selectorIilEEZNS1_25segmented_radix_sort_implIS3_Lb0EPKiPiPKlPlN2at6native12_GLOBAL__N_18offset_tEEE10hipError_tPvRmT1_PNSt15iterator_traitsISK_E10value_typeET2_T3_PNSL_ISQ_E10value_typeET4_jRbjT5_SW_jjP12ihipStream_tbEUlT_E_NS1_11comp_targetILNS1_3genE5ELNS1_11target_archE942ELNS1_3gpuE9ELNS1_3repE0EEENS1_30default_config_static_selectorELNS0_4arch9wavefront6targetE0EEEvSK_
; %bb.0:
	.section	.rodata,"a",@progbits
	.p2align	6, 0x0
	.amdhsa_kernel _ZN7rocprim17ROCPRIM_400000_NS6detail17trampoline_kernelINS0_14default_configENS1_36segmented_radix_sort_config_selectorIilEEZNS1_25segmented_radix_sort_implIS3_Lb0EPKiPiPKlPlN2at6native12_GLOBAL__N_18offset_tEEE10hipError_tPvRmT1_PNSt15iterator_traitsISK_E10value_typeET2_T3_PNSL_ISQ_E10value_typeET4_jRbjT5_SW_jjP12ihipStream_tbEUlT_E_NS1_11comp_targetILNS1_3genE5ELNS1_11target_archE942ELNS1_3gpuE9ELNS1_3repE0EEENS1_30default_config_static_selectorELNS0_4arch9wavefront6targetE0EEEvSK_
		.amdhsa_group_segment_fixed_size 0
		.amdhsa_private_segment_fixed_size 0
		.amdhsa_kernarg_size 96
		.amdhsa_user_sgpr_count 2
		.amdhsa_user_sgpr_dispatch_ptr 0
		.amdhsa_user_sgpr_queue_ptr 0
		.amdhsa_user_sgpr_kernarg_segment_ptr 1
		.amdhsa_user_sgpr_dispatch_id 0
		.amdhsa_user_sgpr_kernarg_preload_length 0
		.amdhsa_user_sgpr_kernarg_preload_offset 0
		.amdhsa_user_sgpr_private_segment_size 0
		.amdhsa_wavefront_size32 1
		.amdhsa_uses_dynamic_stack 0
		.amdhsa_enable_private_segment 0
		.amdhsa_system_sgpr_workgroup_id_x 1
		.amdhsa_system_sgpr_workgroup_id_y 0
		.amdhsa_system_sgpr_workgroup_id_z 0
		.amdhsa_system_sgpr_workgroup_info 0
		.amdhsa_system_vgpr_workitem_id 0
		.amdhsa_next_free_vgpr 1
		.amdhsa_next_free_sgpr 1
		.amdhsa_named_barrier_count 0
		.amdhsa_reserve_vcc 0
		.amdhsa_float_round_mode_32 0
		.amdhsa_float_round_mode_16_64 0
		.amdhsa_float_denorm_mode_32 3
		.amdhsa_float_denorm_mode_16_64 3
		.amdhsa_fp16_overflow 0
		.amdhsa_memory_ordered 1
		.amdhsa_forward_progress 1
		.amdhsa_inst_pref_size 0
		.amdhsa_round_robin_scheduling 0
		.amdhsa_exception_fp_ieee_invalid_op 0
		.amdhsa_exception_fp_denorm_src 0
		.amdhsa_exception_fp_ieee_div_zero 0
		.amdhsa_exception_fp_ieee_overflow 0
		.amdhsa_exception_fp_ieee_underflow 0
		.amdhsa_exception_fp_ieee_inexact 0
		.amdhsa_exception_int_div_zero 0
	.end_amdhsa_kernel
	.section	.text._ZN7rocprim17ROCPRIM_400000_NS6detail17trampoline_kernelINS0_14default_configENS1_36segmented_radix_sort_config_selectorIilEEZNS1_25segmented_radix_sort_implIS3_Lb0EPKiPiPKlPlN2at6native12_GLOBAL__N_18offset_tEEE10hipError_tPvRmT1_PNSt15iterator_traitsISK_E10value_typeET2_T3_PNSL_ISQ_E10value_typeET4_jRbjT5_SW_jjP12ihipStream_tbEUlT_E_NS1_11comp_targetILNS1_3genE5ELNS1_11target_archE942ELNS1_3gpuE9ELNS1_3repE0EEENS1_30default_config_static_selectorELNS0_4arch9wavefront6targetE0EEEvSK_,"axG",@progbits,_ZN7rocprim17ROCPRIM_400000_NS6detail17trampoline_kernelINS0_14default_configENS1_36segmented_radix_sort_config_selectorIilEEZNS1_25segmented_radix_sort_implIS3_Lb0EPKiPiPKlPlN2at6native12_GLOBAL__N_18offset_tEEE10hipError_tPvRmT1_PNSt15iterator_traitsISK_E10value_typeET2_T3_PNSL_ISQ_E10value_typeET4_jRbjT5_SW_jjP12ihipStream_tbEUlT_E_NS1_11comp_targetILNS1_3genE5ELNS1_11target_archE942ELNS1_3gpuE9ELNS1_3repE0EEENS1_30default_config_static_selectorELNS0_4arch9wavefront6targetE0EEEvSK_,comdat
.Lfunc_end598:
	.size	_ZN7rocprim17ROCPRIM_400000_NS6detail17trampoline_kernelINS0_14default_configENS1_36segmented_radix_sort_config_selectorIilEEZNS1_25segmented_radix_sort_implIS3_Lb0EPKiPiPKlPlN2at6native12_GLOBAL__N_18offset_tEEE10hipError_tPvRmT1_PNSt15iterator_traitsISK_E10value_typeET2_T3_PNSL_ISQ_E10value_typeET4_jRbjT5_SW_jjP12ihipStream_tbEUlT_E_NS1_11comp_targetILNS1_3genE5ELNS1_11target_archE942ELNS1_3gpuE9ELNS1_3repE0EEENS1_30default_config_static_selectorELNS0_4arch9wavefront6targetE0EEEvSK_, .Lfunc_end598-_ZN7rocprim17ROCPRIM_400000_NS6detail17trampoline_kernelINS0_14default_configENS1_36segmented_radix_sort_config_selectorIilEEZNS1_25segmented_radix_sort_implIS3_Lb0EPKiPiPKlPlN2at6native12_GLOBAL__N_18offset_tEEE10hipError_tPvRmT1_PNSt15iterator_traitsISK_E10value_typeET2_T3_PNSL_ISQ_E10value_typeET4_jRbjT5_SW_jjP12ihipStream_tbEUlT_E_NS1_11comp_targetILNS1_3genE5ELNS1_11target_archE942ELNS1_3gpuE9ELNS1_3repE0EEENS1_30default_config_static_selectorELNS0_4arch9wavefront6targetE0EEEvSK_
                                        ; -- End function
	.set _ZN7rocprim17ROCPRIM_400000_NS6detail17trampoline_kernelINS0_14default_configENS1_36segmented_radix_sort_config_selectorIilEEZNS1_25segmented_radix_sort_implIS3_Lb0EPKiPiPKlPlN2at6native12_GLOBAL__N_18offset_tEEE10hipError_tPvRmT1_PNSt15iterator_traitsISK_E10value_typeET2_T3_PNSL_ISQ_E10value_typeET4_jRbjT5_SW_jjP12ihipStream_tbEUlT_E_NS1_11comp_targetILNS1_3genE5ELNS1_11target_archE942ELNS1_3gpuE9ELNS1_3repE0EEENS1_30default_config_static_selectorELNS0_4arch9wavefront6targetE0EEEvSK_.num_vgpr, 0
	.set _ZN7rocprim17ROCPRIM_400000_NS6detail17trampoline_kernelINS0_14default_configENS1_36segmented_radix_sort_config_selectorIilEEZNS1_25segmented_radix_sort_implIS3_Lb0EPKiPiPKlPlN2at6native12_GLOBAL__N_18offset_tEEE10hipError_tPvRmT1_PNSt15iterator_traitsISK_E10value_typeET2_T3_PNSL_ISQ_E10value_typeET4_jRbjT5_SW_jjP12ihipStream_tbEUlT_E_NS1_11comp_targetILNS1_3genE5ELNS1_11target_archE942ELNS1_3gpuE9ELNS1_3repE0EEENS1_30default_config_static_selectorELNS0_4arch9wavefront6targetE0EEEvSK_.num_agpr, 0
	.set _ZN7rocprim17ROCPRIM_400000_NS6detail17trampoline_kernelINS0_14default_configENS1_36segmented_radix_sort_config_selectorIilEEZNS1_25segmented_radix_sort_implIS3_Lb0EPKiPiPKlPlN2at6native12_GLOBAL__N_18offset_tEEE10hipError_tPvRmT1_PNSt15iterator_traitsISK_E10value_typeET2_T3_PNSL_ISQ_E10value_typeET4_jRbjT5_SW_jjP12ihipStream_tbEUlT_E_NS1_11comp_targetILNS1_3genE5ELNS1_11target_archE942ELNS1_3gpuE9ELNS1_3repE0EEENS1_30default_config_static_selectorELNS0_4arch9wavefront6targetE0EEEvSK_.numbered_sgpr, 0
	.set _ZN7rocprim17ROCPRIM_400000_NS6detail17trampoline_kernelINS0_14default_configENS1_36segmented_radix_sort_config_selectorIilEEZNS1_25segmented_radix_sort_implIS3_Lb0EPKiPiPKlPlN2at6native12_GLOBAL__N_18offset_tEEE10hipError_tPvRmT1_PNSt15iterator_traitsISK_E10value_typeET2_T3_PNSL_ISQ_E10value_typeET4_jRbjT5_SW_jjP12ihipStream_tbEUlT_E_NS1_11comp_targetILNS1_3genE5ELNS1_11target_archE942ELNS1_3gpuE9ELNS1_3repE0EEENS1_30default_config_static_selectorELNS0_4arch9wavefront6targetE0EEEvSK_.num_named_barrier, 0
	.set _ZN7rocprim17ROCPRIM_400000_NS6detail17trampoline_kernelINS0_14default_configENS1_36segmented_radix_sort_config_selectorIilEEZNS1_25segmented_radix_sort_implIS3_Lb0EPKiPiPKlPlN2at6native12_GLOBAL__N_18offset_tEEE10hipError_tPvRmT1_PNSt15iterator_traitsISK_E10value_typeET2_T3_PNSL_ISQ_E10value_typeET4_jRbjT5_SW_jjP12ihipStream_tbEUlT_E_NS1_11comp_targetILNS1_3genE5ELNS1_11target_archE942ELNS1_3gpuE9ELNS1_3repE0EEENS1_30default_config_static_selectorELNS0_4arch9wavefront6targetE0EEEvSK_.private_seg_size, 0
	.set _ZN7rocprim17ROCPRIM_400000_NS6detail17trampoline_kernelINS0_14default_configENS1_36segmented_radix_sort_config_selectorIilEEZNS1_25segmented_radix_sort_implIS3_Lb0EPKiPiPKlPlN2at6native12_GLOBAL__N_18offset_tEEE10hipError_tPvRmT1_PNSt15iterator_traitsISK_E10value_typeET2_T3_PNSL_ISQ_E10value_typeET4_jRbjT5_SW_jjP12ihipStream_tbEUlT_E_NS1_11comp_targetILNS1_3genE5ELNS1_11target_archE942ELNS1_3gpuE9ELNS1_3repE0EEENS1_30default_config_static_selectorELNS0_4arch9wavefront6targetE0EEEvSK_.uses_vcc, 0
	.set _ZN7rocprim17ROCPRIM_400000_NS6detail17trampoline_kernelINS0_14default_configENS1_36segmented_radix_sort_config_selectorIilEEZNS1_25segmented_radix_sort_implIS3_Lb0EPKiPiPKlPlN2at6native12_GLOBAL__N_18offset_tEEE10hipError_tPvRmT1_PNSt15iterator_traitsISK_E10value_typeET2_T3_PNSL_ISQ_E10value_typeET4_jRbjT5_SW_jjP12ihipStream_tbEUlT_E_NS1_11comp_targetILNS1_3genE5ELNS1_11target_archE942ELNS1_3gpuE9ELNS1_3repE0EEENS1_30default_config_static_selectorELNS0_4arch9wavefront6targetE0EEEvSK_.uses_flat_scratch, 0
	.set _ZN7rocprim17ROCPRIM_400000_NS6detail17trampoline_kernelINS0_14default_configENS1_36segmented_radix_sort_config_selectorIilEEZNS1_25segmented_radix_sort_implIS3_Lb0EPKiPiPKlPlN2at6native12_GLOBAL__N_18offset_tEEE10hipError_tPvRmT1_PNSt15iterator_traitsISK_E10value_typeET2_T3_PNSL_ISQ_E10value_typeET4_jRbjT5_SW_jjP12ihipStream_tbEUlT_E_NS1_11comp_targetILNS1_3genE5ELNS1_11target_archE942ELNS1_3gpuE9ELNS1_3repE0EEENS1_30default_config_static_selectorELNS0_4arch9wavefront6targetE0EEEvSK_.has_dyn_sized_stack, 0
	.set _ZN7rocprim17ROCPRIM_400000_NS6detail17trampoline_kernelINS0_14default_configENS1_36segmented_radix_sort_config_selectorIilEEZNS1_25segmented_radix_sort_implIS3_Lb0EPKiPiPKlPlN2at6native12_GLOBAL__N_18offset_tEEE10hipError_tPvRmT1_PNSt15iterator_traitsISK_E10value_typeET2_T3_PNSL_ISQ_E10value_typeET4_jRbjT5_SW_jjP12ihipStream_tbEUlT_E_NS1_11comp_targetILNS1_3genE5ELNS1_11target_archE942ELNS1_3gpuE9ELNS1_3repE0EEENS1_30default_config_static_selectorELNS0_4arch9wavefront6targetE0EEEvSK_.has_recursion, 0
	.set _ZN7rocprim17ROCPRIM_400000_NS6detail17trampoline_kernelINS0_14default_configENS1_36segmented_radix_sort_config_selectorIilEEZNS1_25segmented_radix_sort_implIS3_Lb0EPKiPiPKlPlN2at6native12_GLOBAL__N_18offset_tEEE10hipError_tPvRmT1_PNSt15iterator_traitsISK_E10value_typeET2_T3_PNSL_ISQ_E10value_typeET4_jRbjT5_SW_jjP12ihipStream_tbEUlT_E_NS1_11comp_targetILNS1_3genE5ELNS1_11target_archE942ELNS1_3gpuE9ELNS1_3repE0EEENS1_30default_config_static_selectorELNS0_4arch9wavefront6targetE0EEEvSK_.has_indirect_call, 0
	.section	.AMDGPU.csdata,"",@progbits
; Kernel info:
; codeLenInByte = 0
; TotalNumSgprs: 0
; NumVgprs: 0
; ScratchSize: 0
; MemoryBound: 0
; FloatMode: 240
; IeeeMode: 1
; LDSByteSize: 0 bytes/workgroup (compile time only)
; SGPRBlocks: 0
; VGPRBlocks: 0
; NumSGPRsForWavesPerEU: 1
; NumVGPRsForWavesPerEU: 1
; NamedBarCnt: 0
; Occupancy: 16
; WaveLimiterHint : 0
; COMPUTE_PGM_RSRC2:SCRATCH_EN: 0
; COMPUTE_PGM_RSRC2:USER_SGPR: 2
; COMPUTE_PGM_RSRC2:TRAP_HANDLER: 0
; COMPUTE_PGM_RSRC2:TGID_X_EN: 1
; COMPUTE_PGM_RSRC2:TGID_Y_EN: 0
; COMPUTE_PGM_RSRC2:TGID_Z_EN: 0
; COMPUTE_PGM_RSRC2:TIDIG_COMP_CNT: 0
	.section	.text._ZN7rocprim17ROCPRIM_400000_NS6detail17trampoline_kernelINS0_14default_configENS1_36segmented_radix_sort_config_selectorIilEEZNS1_25segmented_radix_sort_implIS3_Lb0EPKiPiPKlPlN2at6native12_GLOBAL__N_18offset_tEEE10hipError_tPvRmT1_PNSt15iterator_traitsISK_E10value_typeET2_T3_PNSL_ISQ_E10value_typeET4_jRbjT5_SW_jjP12ihipStream_tbEUlT_E_NS1_11comp_targetILNS1_3genE4ELNS1_11target_archE910ELNS1_3gpuE8ELNS1_3repE0EEENS1_30default_config_static_selectorELNS0_4arch9wavefront6targetE0EEEvSK_,"axG",@progbits,_ZN7rocprim17ROCPRIM_400000_NS6detail17trampoline_kernelINS0_14default_configENS1_36segmented_radix_sort_config_selectorIilEEZNS1_25segmented_radix_sort_implIS3_Lb0EPKiPiPKlPlN2at6native12_GLOBAL__N_18offset_tEEE10hipError_tPvRmT1_PNSt15iterator_traitsISK_E10value_typeET2_T3_PNSL_ISQ_E10value_typeET4_jRbjT5_SW_jjP12ihipStream_tbEUlT_E_NS1_11comp_targetILNS1_3genE4ELNS1_11target_archE910ELNS1_3gpuE8ELNS1_3repE0EEENS1_30default_config_static_selectorELNS0_4arch9wavefront6targetE0EEEvSK_,comdat
	.globl	_ZN7rocprim17ROCPRIM_400000_NS6detail17trampoline_kernelINS0_14default_configENS1_36segmented_radix_sort_config_selectorIilEEZNS1_25segmented_radix_sort_implIS3_Lb0EPKiPiPKlPlN2at6native12_GLOBAL__N_18offset_tEEE10hipError_tPvRmT1_PNSt15iterator_traitsISK_E10value_typeET2_T3_PNSL_ISQ_E10value_typeET4_jRbjT5_SW_jjP12ihipStream_tbEUlT_E_NS1_11comp_targetILNS1_3genE4ELNS1_11target_archE910ELNS1_3gpuE8ELNS1_3repE0EEENS1_30default_config_static_selectorELNS0_4arch9wavefront6targetE0EEEvSK_ ; -- Begin function _ZN7rocprim17ROCPRIM_400000_NS6detail17trampoline_kernelINS0_14default_configENS1_36segmented_radix_sort_config_selectorIilEEZNS1_25segmented_radix_sort_implIS3_Lb0EPKiPiPKlPlN2at6native12_GLOBAL__N_18offset_tEEE10hipError_tPvRmT1_PNSt15iterator_traitsISK_E10value_typeET2_T3_PNSL_ISQ_E10value_typeET4_jRbjT5_SW_jjP12ihipStream_tbEUlT_E_NS1_11comp_targetILNS1_3genE4ELNS1_11target_archE910ELNS1_3gpuE8ELNS1_3repE0EEENS1_30default_config_static_selectorELNS0_4arch9wavefront6targetE0EEEvSK_
	.p2align	8
	.type	_ZN7rocprim17ROCPRIM_400000_NS6detail17trampoline_kernelINS0_14default_configENS1_36segmented_radix_sort_config_selectorIilEEZNS1_25segmented_radix_sort_implIS3_Lb0EPKiPiPKlPlN2at6native12_GLOBAL__N_18offset_tEEE10hipError_tPvRmT1_PNSt15iterator_traitsISK_E10value_typeET2_T3_PNSL_ISQ_E10value_typeET4_jRbjT5_SW_jjP12ihipStream_tbEUlT_E_NS1_11comp_targetILNS1_3genE4ELNS1_11target_archE910ELNS1_3gpuE8ELNS1_3repE0EEENS1_30default_config_static_selectorELNS0_4arch9wavefront6targetE0EEEvSK_,@function
_ZN7rocprim17ROCPRIM_400000_NS6detail17trampoline_kernelINS0_14default_configENS1_36segmented_radix_sort_config_selectorIilEEZNS1_25segmented_radix_sort_implIS3_Lb0EPKiPiPKlPlN2at6native12_GLOBAL__N_18offset_tEEE10hipError_tPvRmT1_PNSt15iterator_traitsISK_E10value_typeET2_T3_PNSL_ISQ_E10value_typeET4_jRbjT5_SW_jjP12ihipStream_tbEUlT_E_NS1_11comp_targetILNS1_3genE4ELNS1_11target_archE910ELNS1_3gpuE8ELNS1_3repE0EEENS1_30default_config_static_selectorELNS0_4arch9wavefront6targetE0EEEvSK_: ; @_ZN7rocprim17ROCPRIM_400000_NS6detail17trampoline_kernelINS0_14default_configENS1_36segmented_radix_sort_config_selectorIilEEZNS1_25segmented_radix_sort_implIS3_Lb0EPKiPiPKlPlN2at6native12_GLOBAL__N_18offset_tEEE10hipError_tPvRmT1_PNSt15iterator_traitsISK_E10value_typeET2_T3_PNSL_ISQ_E10value_typeET4_jRbjT5_SW_jjP12ihipStream_tbEUlT_E_NS1_11comp_targetILNS1_3genE4ELNS1_11target_archE910ELNS1_3gpuE8ELNS1_3repE0EEENS1_30default_config_static_selectorELNS0_4arch9wavefront6targetE0EEEvSK_
; %bb.0:
	.section	.rodata,"a",@progbits
	.p2align	6, 0x0
	.amdhsa_kernel _ZN7rocprim17ROCPRIM_400000_NS6detail17trampoline_kernelINS0_14default_configENS1_36segmented_radix_sort_config_selectorIilEEZNS1_25segmented_radix_sort_implIS3_Lb0EPKiPiPKlPlN2at6native12_GLOBAL__N_18offset_tEEE10hipError_tPvRmT1_PNSt15iterator_traitsISK_E10value_typeET2_T3_PNSL_ISQ_E10value_typeET4_jRbjT5_SW_jjP12ihipStream_tbEUlT_E_NS1_11comp_targetILNS1_3genE4ELNS1_11target_archE910ELNS1_3gpuE8ELNS1_3repE0EEENS1_30default_config_static_selectorELNS0_4arch9wavefront6targetE0EEEvSK_
		.amdhsa_group_segment_fixed_size 0
		.amdhsa_private_segment_fixed_size 0
		.amdhsa_kernarg_size 96
		.amdhsa_user_sgpr_count 2
		.amdhsa_user_sgpr_dispatch_ptr 0
		.amdhsa_user_sgpr_queue_ptr 0
		.amdhsa_user_sgpr_kernarg_segment_ptr 1
		.amdhsa_user_sgpr_dispatch_id 0
		.amdhsa_user_sgpr_kernarg_preload_length 0
		.amdhsa_user_sgpr_kernarg_preload_offset 0
		.amdhsa_user_sgpr_private_segment_size 0
		.amdhsa_wavefront_size32 1
		.amdhsa_uses_dynamic_stack 0
		.amdhsa_enable_private_segment 0
		.amdhsa_system_sgpr_workgroup_id_x 1
		.amdhsa_system_sgpr_workgroup_id_y 0
		.amdhsa_system_sgpr_workgroup_id_z 0
		.amdhsa_system_sgpr_workgroup_info 0
		.amdhsa_system_vgpr_workitem_id 0
		.amdhsa_next_free_vgpr 1
		.amdhsa_next_free_sgpr 1
		.amdhsa_named_barrier_count 0
		.amdhsa_reserve_vcc 0
		.amdhsa_float_round_mode_32 0
		.amdhsa_float_round_mode_16_64 0
		.amdhsa_float_denorm_mode_32 3
		.amdhsa_float_denorm_mode_16_64 3
		.amdhsa_fp16_overflow 0
		.amdhsa_memory_ordered 1
		.amdhsa_forward_progress 1
		.amdhsa_inst_pref_size 0
		.amdhsa_round_robin_scheduling 0
		.amdhsa_exception_fp_ieee_invalid_op 0
		.amdhsa_exception_fp_denorm_src 0
		.amdhsa_exception_fp_ieee_div_zero 0
		.amdhsa_exception_fp_ieee_overflow 0
		.amdhsa_exception_fp_ieee_underflow 0
		.amdhsa_exception_fp_ieee_inexact 0
		.amdhsa_exception_int_div_zero 0
	.end_amdhsa_kernel
	.section	.text._ZN7rocprim17ROCPRIM_400000_NS6detail17trampoline_kernelINS0_14default_configENS1_36segmented_radix_sort_config_selectorIilEEZNS1_25segmented_radix_sort_implIS3_Lb0EPKiPiPKlPlN2at6native12_GLOBAL__N_18offset_tEEE10hipError_tPvRmT1_PNSt15iterator_traitsISK_E10value_typeET2_T3_PNSL_ISQ_E10value_typeET4_jRbjT5_SW_jjP12ihipStream_tbEUlT_E_NS1_11comp_targetILNS1_3genE4ELNS1_11target_archE910ELNS1_3gpuE8ELNS1_3repE0EEENS1_30default_config_static_selectorELNS0_4arch9wavefront6targetE0EEEvSK_,"axG",@progbits,_ZN7rocprim17ROCPRIM_400000_NS6detail17trampoline_kernelINS0_14default_configENS1_36segmented_radix_sort_config_selectorIilEEZNS1_25segmented_radix_sort_implIS3_Lb0EPKiPiPKlPlN2at6native12_GLOBAL__N_18offset_tEEE10hipError_tPvRmT1_PNSt15iterator_traitsISK_E10value_typeET2_T3_PNSL_ISQ_E10value_typeET4_jRbjT5_SW_jjP12ihipStream_tbEUlT_E_NS1_11comp_targetILNS1_3genE4ELNS1_11target_archE910ELNS1_3gpuE8ELNS1_3repE0EEENS1_30default_config_static_selectorELNS0_4arch9wavefront6targetE0EEEvSK_,comdat
.Lfunc_end599:
	.size	_ZN7rocprim17ROCPRIM_400000_NS6detail17trampoline_kernelINS0_14default_configENS1_36segmented_radix_sort_config_selectorIilEEZNS1_25segmented_radix_sort_implIS3_Lb0EPKiPiPKlPlN2at6native12_GLOBAL__N_18offset_tEEE10hipError_tPvRmT1_PNSt15iterator_traitsISK_E10value_typeET2_T3_PNSL_ISQ_E10value_typeET4_jRbjT5_SW_jjP12ihipStream_tbEUlT_E_NS1_11comp_targetILNS1_3genE4ELNS1_11target_archE910ELNS1_3gpuE8ELNS1_3repE0EEENS1_30default_config_static_selectorELNS0_4arch9wavefront6targetE0EEEvSK_, .Lfunc_end599-_ZN7rocprim17ROCPRIM_400000_NS6detail17trampoline_kernelINS0_14default_configENS1_36segmented_radix_sort_config_selectorIilEEZNS1_25segmented_radix_sort_implIS3_Lb0EPKiPiPKlPlN2at6native12_GLOBAL__N_18offset_tEEE10hipError_tPvRmT1_PNSt15iterator_traitsISK_E10value_typeET2_T3_PNSL_ISQ_E10value_typeET4_jRbjT5_SW_jjP12ihipStream_tbEUlT_E_NS1_11comp_targetILNS1_3genE4ELNS1_11target_archE910ELNS1_3gpuE8ELNS1_3repE0EEENS1_30default_config_static_selectorELNS0_4arch9wavefront6targetE0EEEvSK_
                                        ; -- End function
	.set _ZN7rocprim17ROCPRIM_400000_NS6detail17trampoline_kernelINS0_14default_configENS1_36segmented_radix_sort_config_selectorIilEEZNS1_25segmented_radix_sort_implIS3_Lb0EPKiPiPKlPlN2at6native12_GLOBAL__N_18offset_tEEE10hipError_tPvRmT1_PNSt15iterator_traitsISK_E10value_typeET2_T3_PNSL_ISQ_E10value_typeET4_jRbjT5_SW_jjP12ihipStream_tbEUlT_E_NS1_11comp_targetILNS1_3genE4ELNS1_11target_archE910ELNS1_3gpuE8ELNS1_3repE0EEENS1_30default_config_static_selectorELNS0_4arch9wavefront6targetE0EEEvSK_.num_vgpr, 0
	.set _ZN7rocprim17ROCPRIM_400000_NS6detail17trampoline_kernelINS0_14default_configENS1_36segmented_radix_sort_config_selectorIilEEZNS1_25segmented_radix_sort_implIS3_Lb0EPKiPiPKlPlN2at6native12_GLOBAL__N_18offset_tEEE10hipError_tPvRmT1_PNSt15iterator_traitsISK_E10value_typeET2_T3_PNSL_ISQ_E10value_typeET4_jRbjT5_SW_jjP12ihipStream_tbEUlT_E_NS1_11comp_targetILNS1_3genE4ELNS1_11target_archE910ELNS1_3gpuE8ELNS1_3repE0EEENS1_30default_config_static_selectorELNS0_4arch9wavefront6targetE0EEEvSK_.num_agpr, 0
	.set _ZN7rocprim17ROCPRIM_400000_NS6detail17trampoline_kernelINS0_14default_configENS1_36segmented_radix_sort_config_selectorIilEEZNS1_25segmented_radix_sort_implIS3_Lb0EPKiPiPKlPlN2at6native12_GLOBAL__N_18offset_tEEE10hipError_tPvRmT1_PNSt15iterator_traitsISK_E10value_typeET2_T3_PNSL_ISQ_E10value_typeET4_jRbjT5_SW_jjP12ihipStream_tbEUlT_E_NS1_11comp_targetILNS1_3genE4ELNS1_11target_archE910ELNS1_3gpuE8ELNS1_3repE0EEENS1_30default_config_static_selectorELNS0_4arch9wavefront6targetE0EEEvSK_.numbered_sgpr, 0
	.set _ZN7rocprim17ROCPRIM_400000_NS6detail17trampoline_kernelINS0_14default_configENS1_36segmented_radix_sort_config_selectorIilEEZNS1_25segmented_radix_sort_implIS3_Lb0EPKiPiPKlPlN2at6native12_GLOBAL__N_18offset_tEEE10hipError_tPvRmT1_PNSt15iterator_traitsISK_E10value_typeET2_T3_PNSL_ISQ_E10value_typeET4_jRbjT5_SW_jjP12ihipStream_tbEUlT_E_NS1_11comp_targetILNS1_3genE4ELNS1_11target_archE910ELNS1_3gpuE8ELNS1_3repE0EEENS1_30default_config_static_selectorELNS0_4arch9wavefront6targetE0EEEvSK_.num_named_barrier, 0
	.set _ZN7rocprim17ROCPRIM_400000_NS6detail17trampoline_kernelINS0_14default_configENS1_36segmented_radix_sort_config_selectorIilEEZNS1_25segmented_radix_sort_implIS3_Lb0EPKiPiPKlPlN2at6native12_GLOBAL__N_18offset_tEEE10hipError_tPvRmT1_PNSt15iterator_traitsISK_E10value_typeET2_T3_PNSL_ISQ_E10value_typeET4_jRbjT5_SW_jjP12ihipStream_tbEUlT_E_NS1_11comp_targetILNS1_3genE4ELNS1_11target_archE910ELNS1_3gpuE8ELNS1_3repE0EEENS1_30default_config_static_selectorELNS0_4arch9wavefront6targetE0EEEvSK_.private_seg_size, 0
	.set _ZN7rocprim17ROCPRIM_400000_NS6detail17trampoline_kernelINS0_14default_configENS1_36segmented_radix_sort_config_selectorIilEEZNS1_25segmented_radix_sort_implIS3_Lb0EPKiPiPKlPlN2at6native12_GLOBAL__N_18offset_tEEE10hipError_tPvRmT1_PNSt15iterator_traitsISK_E10value_typeET2_T3_PNSL_ISQ_E10value_typeET4_jRbjT5_SW_jjP12ihipStream_tbEUlT_E_NS1_11comp_targetILNS1_3genE4ELNS1_11target_archE910ELNS1_3gpuE8ELNS1_3repE0EEENS1_30default_config_static_selectorELNS0_4arch9wavefront6targetE0EEEvSK_.uses_vcc, 0
	.set _ZN7rocprim17ROCPRIM_400000_NS6detail17trampoline_kernelINS0_14default_configENS1_36segmented_radix_sort_config_selectorIilEEZNS1_25segmented_radix_sort_implIS3_Lb0EPKiPiPKlPlN2at6native12_GLOBAL__N_18offset_tEEE10hipError_tPvRmT1_PNSt15iterator_traitsISK_E10value_typeET2_T3_PNSL_ISQ_E10value_typeET4_jRbjT5_SW_jjP12ihipStream_tbEUlT_E_NS1_11comp_targetILNS1_3genE4ELNS1_11target_archE910ELNS1_3gpuE8ELNS1_3repE0EEENS1_30default_config_static_selectorELNS0_4arch9wavefront6targetE0EEEvSK_.uses_flat_scratch, 0
	.set _ZN7rocprim17ROCPRIM_400000_NS6detail17trampoline_kernelINS0_14default_configENS1_36segmented_radix_sort_config_selectorIilEEZNS1_25segmented_radix_sort_implIS3_Lb0EPKiPiPKlPlN2at6native12_GLOBAL__N_18offset_tEEE10hipError_tPvRmT1_PNSt15iterator_traitsISK_E10value_typeET2_T3_PNSL_ISQ_E10value_typeET4_jRbjT5_SW_jjP12ihipStream_tbEUlT_E_NS1_11comp_targetILNS1_3genE4ELNS1_11target_archE910ELNS1_3gpuE8ELNS1_3repE0EEENS1_30default_config_static_selectorELNS0_4arch9wavefront6targetE0EEEvSK_.has_dyn_sized_stack, 0
	.set _ZN7rocprim17ROCPRIM_400000_NS6detail17trampoline_kernelINS0_14default_configENS1_36segmented_radix_sort_config_selectorIilEEZNS1_25segmented_radix_sort_implIS3_Lb0EPKiPiPKlPlN2at6native12_GLOBAL__N_18offset_tEEE10hipError_tPvRmT1_PNSt15iterator_traitsISK_E10value_typeET2_T3_PNSL_ISQ_E10value_typeET4_jRbjT5_SW_jjP12ihipStream_tbEUlT_E_NS1_11comp_targetILNS1_3genE4ELNS1_11target_archE910ELNS1_3gpuE8ELNS1_3repE0EEENS1_30default_config_static_selectorELNS0_4arch9wavefront6targetE0EEEvSK_.has_recursion, 0
	.set _ZN7rocprim17ROCPRIM_400000_NS6detail17trampoline_kernelINS0_14default_configENS1_36segmented_radix_sort_config_selectorIilEEZNS1_25segmented_radix_sort_implIS3_Lb0EPKiPiPKlPlN2at6native12_GLOBAL__N_18offset_tEEE10hipError_tPvRmT1_PNSt15iterator_traitsISK_E10value_typeET2_T3_PNSL_ISQ_E10value_typeET4_jRbjT5_SW_jjP12ihipStream_tbEUlT_E_NS1_11comp_targetILNS1_3genE4ELNS1_11target_archE910ELNS1_3gpuE8ELNS1_3repE0EEENS1_30default_config_static_selectorELNS0_4arch9wavefront6targetE0EEEvSK_.has_indirect_call, 0
	.section	.AMDGPU.csdata,"",@progbits
; Kernel info:
; codeLenInByte = 0
; TotalNumSgprs: 0
; NumVgprs: 0
; ScratchSize: 0
; MemoryBound: 0
; FloatMode: 240
; IeeeMode: 1
; LDSByteSize: 0 bytes/workgroup (compile time only)
; SGPRBlocks: 0
; VGPRBlocks: 0
; NumSGPRsForWavesPerEU: 1
; NumVGPRsForWavesPerEU: 1
; NamedBarCnt: 0
; Occupancy: 16
; WaveLimiterHint : 0
; COMPUTE_PGM_RSRC2:SCRATCH_EN: 0
; COMPUTE_PGM_RSRC2:USER_SGPR: 2
; COMPUTE_PGM_RSRC2:TRAP_HANDLER: 0
; COMPUTE_PGM_RSRC2:TGID_X_EN: 1
; COMPUTE_PGM_RSRC2:TGID_Y_EN: 0
; COMPUTE_PGM_RSRC2:TGID_Z_EN: 0
; COMPUTE_PGM_RSRC2:TIDIG_COMP_CNT: 0
	.section	.text._ZN7rocprim17ROCPRIM_400000_NS6detail17trampoline_kernelINS0_14default_configENS1_36segmented_radix_sort_config_selectorIilEEZNS1_25segmented_radix_sort_implIS3_Lb0EPKiPiPKlPlN2at6native12_GLOBAL__N_18offset_tEEE10hipError_tPvRmT1_PNSt15iterator_traitsISK_E10value_typeET2_T3_PNSL_ISQ_E10value_typeET4_jRbjT5_SW_jjP12ihipStream_tbEUlT_E_NS1_11comp_targetILNS1_3genE3ELNS1_11target_archE908ELNS1_3gpuE7ELNS1_3repE0EEENS1_30default_config_static_selectorELNS0_4arch9wavefront6targetE0EEEvSK_,"axG",@progbits,_ZN7rocprim17ROCPRIM_400000_NS6detail17trampoline_kernelINS0_14default_configENS1_36segmented_radix_sort_config_selectorIilEEZNS1_25segmented_radix_sort_implIS3_Lb0EPKiPiPKlPlN2at6native12_GLOBAL__N_18offset_tEEE10hipError_tPvRmT1_PNSt15iterator_traitsISK_E10value_typeET2_T3_PNSL_ISQ_E10value_typeET4_jRbjT5_SW_jjP12ihipStream_tbEUlT_E_NS1_11comp_targetILNS1_3genE3ELNS1_11target_archE908ELNS1_3gpuE7ELNS1_3repE0EEENS1_30default_config_static_selectorELNS0_4arch9wavefront6targetE0EEEvSK_,comdat
	.globl	_ZN7rocprim17ROCPRIM_400000_NS6detail17trampoline_kernelINS0_14default_configENS1_36segmented_radix_sort_config_selectorIilEEZNS1_25segmented_radix_sort_implIS3_Lb0EPKiPiPKlPlN2at6native12_GLOBAL__N_18offset_tEEE10hipError_tPvRmT1_PNSt15iterator_traitsISK_E10value_typeET2_T3_PNSL_ISQ_E10value_typeET4_jRbjT5_SW_jjP12ihipStream_tbEUlT_E_NS1_11comp_targetILNS1_3genE3ELNS1_11target_archE908ELNS1_3gpuE7ELNS1_3repE0EEENS1_30default_config_static_selectorELNS0_4arch9wavefront6targetE0EEEvSK_ ; -- Begin function _ZN7rocprim17ROCPRIM_400000_NS6detail17trampoline_kernelINS0_14default_configENS1_36segmented_radix_sort_config_selectorIilEEZNS1_25segmented_radix_sort_implIS3_Lb0EPKiPiPKlPlN2at6native12_GLOBAL__N_18offset_tEEE10hipError_tPvRmT1_PNSt15iterator_traitsISK_E10value_typeET2_T3_PNSL_ISQ_E10value_typeET4_jRbjT5_SW_jjP12ihipStream_tbEUlT_E_NS1_11comp_targetILNS1_3genE3ELNS1_11target_archE908ELNS1_3gpuE7ELNS1_3repE0EEENS1_30default_config_static_selectorELNS0_4arch9wavefront6targetE0EEEvSK_
	.p2align	8
	.type	_ZN7rocprim17ROCPRIM_400000_NS6detail17trampoline_kernelINS0_14default_configENS1_36segmented_radix_sort_config_selectorIilEEZNS1_25segmented_radix_sort_implIS3_Lb0EPKiPiPKlPlN2at6native12_GLOBAL__N_18offset_tEEE10hipError_tPvRmT1_PNSt15iterator_traitsISK_E10value_typeET2_T3_PNSL_ISQ_E10value_typeET4_jRbjT5_SW_jjP12ihipStream_tbEUlT_E_NS1_11comp_targetILNS1_3genE3ELNS1_11target_archE908ELNS1_3gpuE7ELNS1_3repE0EEENS1_30default_config_static_selectorELNS0_4arch9wavefront6targetE0EEEvSK_,@function
_ZN7rocprim17ROCPRIM_400000_NS6detail17trampoline_kernelINS0_14default_configENS1_36segmented_radix_sort_config_selectorIilEEZNS1_25segmented_radix_sort_implIS3_Lb0EPKiPiPKlPlN2at6native12_GLOBAL__N_18offset_tEEE10hipError_tPvRmT1_PNSt15iterator_traitsISK_E10value_typeET2_T3_PNSL_ISQ_E10value_typeET4_jRbjT5_SW_jjP12ihipStream_tbEUlT_E_NS1_11comp_targetILNS1_3genE3ELNS1_11target_archE908ELNS1_3gpuE7ELNS1_3repE0EEENS1_30default_config_static_selectorELNS0_4arch9wavefront6targetE0EEEvSK_: ; @_ZN7rocprim17ROCPRIM_400000_NS6detail17trampoline_kernelINS0_14default_configENS1_36segmented_radix_sort_config_selectorIilEEZNS1_25segmented_radix_sort_implIS3_Lb0EPKiPiPKlPlN2at6native12_GLOBAL__N_18offset_tEEE10hipError_tPvRmT1_PNSt15iterator_traitsISK_E10value_typeET2_T3_PNSL_ISQ_E10value_typeET4_jRbjT5_SW_jjP12ihipStream_tbEUlT_E_NS1_11comp_targetILNS1_3genE3ELNS1_11target_archE908ELNS1_3gpuE7ELNS1_3repE0EEENS1_30default_config_static_selectorELNS0_4arch9wavefront6targetE0EEEvSK_
; %bb.0:
	.section	.rodata,"a",@progbits
	.p2align	6, 0x0
	.amdhsa_kernel _ZN7rocprim17ROCPRIM_400000_NS6detail17trampoline_kernelINS0_14default_configENS1_36segmented_radix_sort_config_selectorIilEEZNS1_25segmented_radix_sort_implIS3_Lb0EPKiPiPKlPlN2at6native12_GLOBAL__N_18offset_tEEE10hipError_tPvRmT1_PNSt15iterator_traitsISK_E10value_typeET2_T3_PNSL_ISQ_E10value_typeET4_jRbjT5_SW_jjP12ihipStream_tbEUlT_E_NS1_11comp_targetILNS1_3genE3ELNS1_11target_archE908ELNS1_3gpuE7ELNS1_3repE0EEENS1_30default_config_static_selectorELNS0_4arch9wavefront6targetE0EEEvSK_
		.amdhsa_group_segment_fixed_size 0
		.amdhsa_private_segment_fixed_size 0
		.amdhsa_kernarg_size 96
		.amdhsa_user_sgpr_count 2
		.amdhsa_user_sgpr_dispatch_ptr 0
		.amdhsa_user_sgpr_queue_ptr 0
		.amdhsa_user_sgpr_kernarg_segment_ptr 1
		.amdhsa_user_sgpr_dispatch_id 0
		.amdhsa_user_sgpr_kernarg_preload_length 0
		.amdhsa_user_sgpr_kernarg_preload_offset 0
		.amdhsa_user_sgpr_private_segment_size 0
		.amdhsa_wavefront_size32 1
		.amdhsa_uses_dynamic_stack 0
		.amdhsa_enable_private_segment 0
		.amdhsa_system_sgpr_workgroup_id_x 1
		.amdhsa_system_sgpr_workgroup_id_y 0
		.amdhsa_system_sgpr_workgroup_id_z 0
		.amdhsa_system_sgpr_workgroup_info 0
		.amdhsa_system_vgpr_workitem_id 0
		.amdhsa_next_free_vgpr 1
		.amdhsa_next_free_sgpr 1
		.amdhsa_named_barrier_count 0
		.amdhsa_reserve_vcc 0
		.amdhsa_float_round_mode_32 0
		.amdhsa_float_round_mode_16_64 0
		.amdhsa_float_denorm_mode_32 3
		.amdhsa_float_denorm_mode_16_64 3
		.amdhsa_fp16_overflow 0
		.amdhsa_memory_ordered 1
		.amdhsa_forward_progress 1
		.amdhsa_inst_pref_size 0
		.amdhsa_round_robin_scheduling 0
		.amdhsa_exception_fp_ieee_invalid_op 0
		.amdhsa_exception_fp_denorm_src 0
		.amdhsa_exception_fp_ieee_div_zero 0
		.amdhsa_exception_fp_ieee_overflow 0
		.amdhsa_exception_fp_ieee_underflow 0
		.amdhsa_exception_fp_ieee_inexact 0
		.amdhsa_exception_int_div_zero 0
	.end_amdhsa_kernel
	.section	.text._ZN7rocprim17ROCPRIM_400000_NS6detail17trampoline_kernelINS0_14default_configENS1_36segmented_radix_sort_config_selectorIilEEZNS1_25segmented_radix_sort_implIS3_Lb0EPKiPiPKlPlN2at6native12_GLOBAL__N_18offset_tEEE10hipError_tPvRmT1_PNSt15iterator_traitsISK_E10value_typeET2_T3_PNSL_ISQ_E10value_typeET4_jRbjT5_SW_jjP12ihipStream_tbEUlT_E_NS1_11comp_targetILNS1_3genE3ELNS1_11target_archE908ELNS1_3gpuE7ELNS1_3repE0EEENS1_30default_config_static_selectorELNS0_4arch9wavefront6targetE0EEEvSK_,"axG",@progbits,_ZN7rocprim17ROCPRIM_400000_NS6detail17trampoline_kernelINS0_14default_configENS1_36segmented_radix_sort_config_selectorIilEEZNS1_25segmented_radix_sort_implIS3_Lb0EPKiPiPKlPlN2at6native12_GLOBAL__N_18offset_tEEE10hipError_tPvRmT1_PNSt15iterator_traitsISK_E10value_typeET2_T3_PNSL_ISQ_E10value_typeET4_jRbjT5_SW_jjP12ihipStream_tbEUlT_E_NS1_11comp_targetILNS1_3genE3ELNS1_11target_archE908ELNS1_3gpuE7ELNS1_3repE0EEENS1_30default_config_static_selectorELNS0_4arch9wavefront6targetE0EEEvSK_,comdat
.Lfunc_end600:
	.size	_ZN7rocprim17ROCPRIM_400000_NS6detail17trampoline_kernelINS0_14default_configENS1_36segmented_radix_sort_config_selectorIilEEZNS1_25segmented_radix_sort_implIS3_Lb0EPKiPiPKlPlN2at6native12_GLOBAL__N_18offset_tEEE10hipError_tPvRmT1_PNSt15iterator_traitsISK_E10value_typeET2_T3_PNSL_ISQ_E10value_typeET4_jRbjT5_SW_jjP12ihipStream_tbEUlT_E_NS1_11comp_targetILNS1_3genE3ELNS1_11target_archE908ELNS1_3gpuE7ELNS1_3repE0EEENS1_30default_config_static_selectorELNS0_4arch9wavefront6targetE0EEEvSK_, .Lfunc_end600-_ZN7rocprim17ROCPRIM_400000_NS6detail17trampoline_kernelINS0_14default_configENS1_36segmented_radix_sort_config_selectorIilEEZNS1_25segmented_radix_sort_implIS3_Lb0EPKiPiPKlPlN2at6native12_GLOBAL__N_18offset_tEEE10hipError_tPvRmT1_PNSt15iterator_traitsISK_E10value_typeET2_T3_PNSL_ISQ_E10value_typeET4_jRbjT5_SW_jjP12ihipStream_tbEUlT_E_NS1_11comp_targetILNS1_3genE3ELNS1_11target_archE908ELNS1_3gpuE7ELNS1_3repE0EEENS1_30default_config_static_selectorELNS0_4arch9wavefront6targetE0EEEvSK_
                                        ; -- End function
	.set _ZN7rocprim17ROCPRIM_400000_NS6detail17trampoline_kernelINS0_14default_configENS1_36segmented_radix_sort_config_selectorIilEEZNS1_25segmented_radix_sort_implIS3_Lb0EPKiPiPKlPlN2at6native12_GLOBAL__N_18offset_tEEE10hipError_tPvRmT1_PNSt15iterator_traitsISK_E10value_typeET2_T3_PNSL_ISQ_E10value_typeET4_jRbjT5_SW_jjP12ihipStream_tbEUlT_E_NS1_11comp_targetILNS1_3genE3ELNS1_11target_archE908ELNS1_3gpuE7ELNS1_3repE0EEENS1_30default_config_static_selectorELNS0_4arch9wavefront6targetE0EEEvSK_.num_vgpr, 0
	.set _ZN7rocprim17ROCPRIM_400000_NS6detail17trampoline_kernelINS0_14default_configENS1_36segmented_radix_sort_config_selectorIilEEZNS1_25segmented_radix_sort_implIS3_Lb0EPKiPiPKlPlN2at6native12_GLOBAL__N_18offset_tEEE10hipError_tPvRmT1_PNSt15iterator_traitsISK_E10value_typeET2_T3_PNSL_ISQ_E10value_typeET4_jRbjT5_SW_jjP12ihipStream_tbEUlT_E_NS1_11comp_targetILNS1_3genE3ELNS1_11target_archE908ELNS1_3gpuE7ELNS1_3repE0EEENS1_30default_config_static_selectorELNS0_4arch9wavefront6targetE0EEEvSK_.num_agpr, 0
	.set _ZN7rocprim17ROCPRIM_400000_NS6detail17trampoline_kernelINS0_14default_configENS1_36segmented_radix_sort_config_selectorIilEEZNS1_25segmented_radix_sort_implIS3_Lb0EPKiPiPKlPlN2at6native12_GLOBAL__N_18offset_tEEE10hipError_tPvRmT1_PNSt15iterator_traitsISK_E10value_typeET2_T3_PNSL_ISQ_E10value_typeET4_jRbjT5_SW_jjP12ihipStream_tbEUlT_E_NS1_11comp_targetILNS1_3genE3ELNS1_11target_archE908ELNS1_3gpuE7ELNS1_3repE0EEENS1_30default_config_static_selectorELNS0_4arch9wavefront6targetE0EEEvSK_.numbered_sgpr, 0
	.set _ZN7rocprim17ROCPRIM_400000_NS6detail17trampoline_kernelINS0_14default_configENS1_36segmented_radix_sort_config_selectorIilEEZNS1_25segmented_radix_sort_implIS3_Lb0EPKiPiPKlPlN2at6native12_GLOBAL__N_18offset_tEEE10hipError_tPvRmT1_PNSt15iterator_traitsISK_E10value_typeET2_T3_PNSL_ISQ_E10value_typeET4_jRbjT5_SW_jjP12ihipStream_tbEUlT_E_NS1_11comp_targetILNS1_3genE3ELNS1_11target_archE908ELNS1_3gpuE7ELNS1_3repE0EEENS1_30default_config_static_selectorELNS0_4arch9wavefront6targetE0EEEvSK_.num_named_barrier, 0
	.set _ZN7rocprim17ROCPRIM_400000_NS6detail17trampoline_kernelINS0_14default_configENS1_36segmented_radix_sort_config_selectorIilEEZNS1_25segmented_radix_sort_implIS3_Lb0EPKiPiPKlPlN2at6native12_GLOBAL__N_18offset_tEEE10hipError_tPvRmT1_PNSt15iterator_traitsISK_E10value_typeET2_T3_PNSL_ISQ_E10value_typeET4_jRbjT5_SW_jjP12ihipStream_tbEUlT_E_NS1_11comp_targetILNS1_3genE3ELNS1_11target_archE908ELNS1_3gpuE7ELNS1_3repE0EEENS1_30default_config_static_selectorELNS0_4arch9wavefront6targetE0EEEvSK_.private_seg_size, 0
	.set _ZN7rocprim17ROCPRIM_400000_NS6detail17trampoline_kernelINS0_14default_configENS1_36segmented_radix_sort_config_selectorIilEEZNS1_25segmented_radix_sort_implIS3_Lb0EPKiPiPKlPlN2at6native12_GLOBAL__N_18offset_tEEE10hipError_tPvRmT1_PNSt15iterator_traitsISK_E10value_typeET2_T3_PNSL_ISQ_E10value_typeET4_jRbjT5_SW_jjP12ihipStream_tbEUlT_E_NS1_11comp_targetILNS1_3genE3ELNS1_11target_archE908ELNS1_3gpuE7ELNS1_3repE0EEENS1_30default_config_static_selectorELNS0_4arch9wavefront6targetE0EEEvSK_.uses_vcc, 0
	.set _ZN7rocprim17ROCPRIM_400000_NS6detail17trampoline_kernelINS0_14default_configENS1_36segmented_radix_sort_config_selectorIilEEZNS1_25segmented_radix_sort_implIS3_Lb0EPKiPiPKlPlN2at6native12_GLOBAL__N_18offset_tEEE10hipError_tPvRmT1_PNSt15iterator_traitsISK_E10value_typeET2_T3_PNSL_ISQ_E10value_typeET4_jRbjT5_SW_jjP12ihipStream_tbEUlT_E_NS1_11comp_targetILNS1_3genE3ELNS1_11target_archE908ELNS1_3gpuE7ELNS1_3repE0EEENS1_30default_config_static_selectorELNS0_4arch9wavefront6targetE0EEEvSK_.uses_flat_scratch, 0
	.set _ZN7rocprim17ROCPRIM_400000_NS6detail17trampoline_kernelINS0_14default_configENS1_36segmented_radix_sort_config_selectorIilEEZNS1_25segmented_radix_sort_implIS3_Lb0EPKiPiPKlPlN2at6native12_GLOBAL__N_18offset_tEEE10hipError_tPvRmT1_PNSt15iterator_traitsISK_E10value_typeET2_T3_PNSL_ISQ_E10value_typeET4_jRbjT5_SW_jjP12ihipStream_tbEUlT_E_NS1_11comp_targetILNS1_3genE3ELNS1_11target_archE908ELNS1_3gpuE7ELNS1_3repE0EEENS1_30default_config_static_selectorELNS0_4arch9wavefront6targetE0EEEvSK_.has_dyn_sized_stack, 0
	.set _ZN7rocprim17ROCPRIM_400000_NS6detail17trampoline_kernelINS0_14default_configENS1_36segmented_radix_sort_config_selectorIilEEZNS1_25segmented_radix_sort_implIS3_Lb0EPKiPiPKlPlN2at6native12_GLOBAL__N_18offset_tEEE10hipError_tPvRmT1_PNSt15iterator_traitsISK_E10value_typeET2_T3_PNSL_ISQ_E10value_typeET4_jRbjT5_SW_jjP12ihipStream_tbEUlT_E_NS1_11comp_targetILNS1_3genE3ELNS1_11target_archE908ELNS1_3gpuE7ELNS1_3repE0EEENS1_30default_config_static_selectorELNS0_4arch9wavefront6targetE0EEEvSK_.has_recursion, 0
	.set _ZN7rocprim17ROCPRIM_400000_NS6detail17trampoline_kernelINS0_14default_configENS1_36segmented_radix_sort_config_selectorIilEEZNS1_25segmented_radix_sort_implIS3_Lb0EPKiPiPKlPlN2at6native12_GLOBAL__N_18offset_tEEE10hipError_tPvRmT1_PNSt15iterator_traitsISK_E10value_typeET2_T3_PNSL_ISQ_E10value_typeET4_jRbjT5_SW_jjP12ihipStream_tbEUlT_E_NS1_11comp_targetILNS1_3genE3ELNS1_11target_archE908ELNS1_3gpuE7ELNS1_3repE0EEENS1_30default_config_static_selectorELNS0_4arch9wavefront6targetE0EEEvSK_.has_indirect_call, 0
	.section	.AMDGPU.csdata,"",@progbits
; Kernel info:
; codeLenInByte = 0
; TotalNumSgprs: 0
; NumVgprs: 0
; ScratchSize: 0
; MemoryBound: 0
; FloatMode: 240
; IeeeMode: 1
; LDSByteSize: 0 bytes/workgroup (compile time only)
; SGPRBlocks: 0
; VGPRBlocks: 0
; NumSGPRsForWavesPerEU: 1
; NumVGPRsForWavesPerEU: 1
; NamedBarCnt: 0
; Occupancy: 16
; WaveLimiterHint : 0
; COMPUTE_PGM_RSRC2:SCRATCH_EN: 0
; COMPUTE_PGM_RSRC2:USER_SGPR: 2
; COMPUTE_PGM_RSRC2:TRAP_HANDLER: 0
; COMPUTE_PGM_RSRC2:TGID_X_EN: 1
; COMPUTE_PGM_RSRC2:TGID_Y_EN: 0
; COMPUTE_PGM_RSRC2:TGID_Z_EN: 0
; COMPUTE_PGM_RSRC2:TIDIG_COMP_CNT: 0
	.section	.text._ZN7rocprim17ROCPRIM_400000_NS6detail17trampoline_kernelINS0_14default_configENS1_36segmented_radix_sort_config_selectorIilEEZNS1_25segmented_radix_sort_implIS3_Lb0EPKiPiPKlPlN2at6native12_GLOBAL__N_18offset_tEEE10hipError_tPvRmT1_PNSt15iterator_traitsISK_E10value_typeET2_T3_PNSL_ISQ_E10value_typeET4_jRbjT5_SW_jjP12ihipStream_tbEUlT_E_NS1_11comp_targetILNS1_3genE2ELNS1_11target_archE906ELNS1_3gpuE6ELNS1_3repE0EEENS1_30default_config_static_selectorELNS0_4arch9wavefront6targetE0EEEvSK_,"axG",@progbits,_ZN7rocprim17ROCPRIM_400000_NS6detail17trampoline_kernelINS0_14default_configENS1_36segmented_radix_sort_config_selectorIilEEZNS1_25segmented_radix_sort_implIS3_Lb0EPKiPiPKlPlN2at6native12_GLOBAL__N_18offset_tEEE10hipError_tPvRmT1_PNSt15iterator_traitsISK_E10value_typeET2_T3_PNSL_ISQ_E10value_typeET4_jRbjT5_SW_jjP12ihipStream_tbEUlT_E_NS1_11comp_targetILNS1_3genE2ELNS1_11target_archE906ELNS1_3gpuE6ELNS1_3repE0EEENS1_30default_config_static_selectorELNS0_4arch9wavefront6targetE0EEEvSK_,comdat
	.globl	_ZN7rocprim17ROCPRIM_400000_NS6detail17trampoline_kernelINS0_14default_configENS1_36segmented_radix_sort_config_selectorIilEEZNS1_25segmented_radix_sort_implIS3_Lb0EPKiPiPKlPlN2at6native12_GLOBAL__N_18offset_tEEE10hipError_tPvRmT1_PNSt15iterator_traitsISK_E10value_typeET2_T3_PNSL_ISQ_E10value_typeET4_jRbjT5_SW_jjP12ihipStream_tbEUlT_E_NS1_11comp_targetILNS1_3genE2ELNS1_11target_archE906ELNS1_3gpuE6ELNS1_3repE0EEENS1_30default_config_static_selectorELNS0_4arch9wavefront6targetE0EEEvSK_ ; -- Begin function _ZN7rocprim17ROCPRIM_400000_NS6detail17trampoline_kernelINS0_14default_configENS1_36segmented_radix_sort_config_selectorIilEEZNS1_25segmented_radix_sort_implIS3_Lb0EPKiPiPKlPlN2at6native12_GLOBAL__N_18offset_tEEE10hipError_tPvRmT1_PNSt15iterator_traitsISK_E10value_typeET2_T3_PNSL_ISQ_E10value_typeET4_jRbjT5_SW_jjP12ihipStream_tbEUlT_E_NS1_11comp_targetILNS1_3genE2ELNS1_11target_archE906ELNS1_3gpuE6ELNS1_3repE0EEENS1_30default_config_static_selectorELNS0_4arch9wavefront6targetE0EEEvSK_
	.p2align	8
	.type	_ZN7rocprim17ROCPRIM_400000_NS6detail17trampoline_kernelINS0_14default_configENS1_36segmented_radix_sort_config_selectorIilEEZNS1_25segmented_radix_sort_implIS3_Lb0EPKiPiPKlPlN2at6native12_GLOBAL__N_18offset_tEEE10hipError_tPvRmT1_PNSt15iterator_traitsISK_E10value_typeET2_T3_PNSL_ISQ_E10value_typeET4_jRbjT5_SW_jjP12ihipStream_tbEUlT_E_NS1_11comp_targetILNS1_3genE2ELNS1_11target_archE906ELNS1_3gpuE6ELNS1_3repE0EEENS1_30default_config_static_selectorELNS0_4arch9wavefront6targetE0EEEvSK_,@function
_ZN7rocprim17ROCPRIM_400000_NS6detail17trampoline_kernelINS0_14default_configENS1_36segmented_radix_sort_config_selectorIilEEZNS1_25segmented_radix_sort_implIS3_Lb0EPKiPiPKlPlN2at6native12_GLOBAL__N_18offset_tEEE10hipError_tPvRmT1_PNSt15iterator_traitsISK_E10value_typeET2_T3_PNSL_ISQ_E10value_typeET4_jRbjT5_SW_jjP12ihipStream_tbEUlT_E_NS1_11comp_targetILNS1_3genE2ELNS1_11target_archE906ELNS1_3gpuE6ELNS1_3repE0EEENS1_30default_config_static_selectorELNS0_4arch9wavefront6targetE0EEEvSK_: ; @_ZN7rocprim17ROCPRIM_400000_NS6detail17trampoline_kernelINS0_14default_configENS1_36segmented_radix_sort_config_selectorIilEEZNS1_25segmented_radix_sort_implIS3_Lb0EPKiPiPKlPlN2at6native12_GLOBAL__N_18offset_tEEE10hipError_tPvRmT1_PNSt15iterator_traitsISK_E10value_typeET2_T3_PNSL_ISQ_E10value_typeET4_jRbjT5_SW_jjP12ihipStream_tbEUlT_E_NS1_11comp_targetILNS1_3genE2ELNS1_11target_archE906ELNS1_3gpuE6ELNS1_3repE0EEENS1_30default_config_static_selectorELNS0_4arch9wavefront6targetE0EEEvSK_
; %bb.0:
	.section	.rodata,"a",@progbits
	.p2align	6, 0x0
	.amdhsa_kernel _ZN7rocprim17ROCPRIM_400000_NS6detail17trampoline_kernelINS0_14default_configENS1_36segmented_radix_sort_config_selectorIilEEZNS1_25segmented_radix_sort_implIS3_Lb0EPKiPiPKlPlN2at6native12_GLOBAL__N_18offset_tEEE10hipError_tPvRmT1_PNSt15iterator_traitsISK_E10value_typeET2_T3_PNSL_ISQ_E10value_typeET4_jRbjT5_SW_jjP12ihipStream_tbEUlT_E_NS1_11comp_targetILNS1_3genE2ELNS1_11target_archE906ELNS1_3gpuE6ELNS1_3repE0EEENS1_30default_config_static_selectorELNS0_4arch9wavefront6targetE0EEEvSK_
		.amdhsa_group_segment_fixed_size 0
		.amdhsa_private_segment_fixed_size 0
		.amdhsa_kernarg_size 96
		.amdhsa_user_sgpr_count 2
		.amdhsa_user_sgpr_dispatch_ptr 0
		.amdhsa_user_sgpr_queue_ptr 0
		.amdhsa_user_sgpr_kernarg_segment_ptr 1
		.amdhsa_user_sgpr_dispatch_id 0
		.amdhsa_user_sgpr_kernarg_preload_length 0
		.amdhsa_user_sgpr_kernarg_preload_offset 0
		.amdhsa_user_sgpr_private_segment_size 0
		.amdhsa_wavefront_size32 1
		.amdhsa_uses_dynamic_stack 0
		.amdhsa_enable_private_segment 0
		.amdhsa_system_sgpr_workgroup_id_x 1
		.amdhsa_system_sgpr_workgroup_id_y 0
		.amdhsa_system_sgpr_workgroup_id_z 0
		.amdhsa_system_sgpr_workgroup_info 0
		.amdhsa_system_vgpr_workitem_id 0
		.amdhsa_next_free_vgpr 1
		.amdhsa_next_free_sgpr 1
		.amdhsa_named_barrier_count 0
		.amdhsa_reserve_vcc 0
		.amdhsa_float_round_mode_32 0
		.amdhsa_float_round_mode_16_64 0
		.amdhsa_float_denorm_mode_32 3
		.amdhsa_float_denorm_mode_16_64 3
		.amdhsa_fp16_overflow 0
		.amdhsa_memory_ordered 1
		.amdhsa_forward_progress 1
		.amdhsa_inst_pref_size 0
		.amdhsa_round_robin_scheduling 0
		.amdhsa_exception_fp_ieee_invalid_op 0
		.amdhsa_exception_fp_denorm_src 0
		.amdhsa_exception_fp_ieee_div_zero 0
		.amdhsa_exception_fp_ieee_overflow 0
		.amdhsa_exception_fp_ieee_underflow 0
		.amdhsa_exception_fp_ieee_inexact 0
		.amdhsa_exception_int_div_zero 0
	.end_amdhsa_kernel
	.section	.text._ZN7rocprim17ROCPRIM_400000_NS6detail17trampoline_kernelINS0_14default_configENS1_36segmented_radix_sort_config_selectorIilEEZNS1_25segmented_radix_sort_implIS3_Lb0EPKiPiPKlPlN2at6native12_GLOBAL__N_18offset_tEEE10hipError_tPvRmT1_PNSt15iterator_traitsISK_E10value_typeET2_T3_PNSL_ISQ_E10value_typeET4_jRbjT5_SW_jjP12ihipStream_tbEUlT_E_NS1_11comp_targetILNS1_3genE2ELNS1_11target_archE906ELNS1_3gpuE6ELNS1_3repE0EEENS1_30default_config_static_selectorELNS0_4arch9wavefront6targetE0EEEvSK_,"axG",@progbits,_ZN7rocprim17ROCPRIM_400000_NS6detail17trampoline_kernelINS0_14default_configENS1_36segmented_radix_sort_config_selectorIilEEZNS1_25segmented_radix_sort_implIS3_Lb0EPKiPiPKlPlN2at6native12_GLOBAL__N_18offset_tEEE10hipError_tPvRmT1_PNSt15iterator_traitsISK_E10value_typeET2_T3_PNSL_ISQ_E10value_typeET4_jRbjT5_SW_jjP12ihipStream_tbEUlT_E_NS1_11comp_targetILNS1_3genE2ELNS1_11target_archE906ELNS1_3gpuE6ELNS1_3repE0EEENS1_30default_config_static_selectorELNS0_4arch9wavefront6targetE0EEEvSK_,comdat
.Lfunc_end601:
	.size	_ZN7rocprim17ROCPRIM_400000_NS6detail17trampoline_kernelINS0_14default_configENS1_36segmented_radix_sort_config_selectorIilEEZNS1_25segmented_radix_sort_implIS3_Lb0EPKiPiPKlPlN2at6native12_GLOBAL__N_18offset_tEEE10hipError_tPvRmT1_PNSt15iterator_traitsISK_E10value_typeET2_T3_PNSL_ISQ_E10value_typeET4_jRbjT5_SW_jjP12ihipStream_tbEUlT_E_NS1_11comp_targetILNS1_3genE2ELNS1_11target_archE906ELNS1_3gpuE6ELNS1_3repE0EEENS1_30default_config_static_selectorELNS0_4arch9wavefront6targetE0EEEvSK_, .Lfunc_end601-_ZN7rocprim17ROCPRIM_400000_NS6detail17trampoline_kernelINS0_14default_configENS1_36segmented_radix_sort_config_selectorIilEEZNS1_25segmented_radix_sort_implIS3_Lb0EPKiPiPKlPlN2at6native12_GLOBAL__N_18offset_tEEE10hipError_tPvRmT1_PNSt15iterator_traitsISK_E10value_typeET2_T3_PNSL_ISQ_E10value_typeET4_jRbjT5_SW_jjP12ihipStream_tbEUlT_E_NS1_11comp_targetILNS1_3genE2ELNS1_11target_archE906ELNS1_3gpuE6ELNS1_3repE0EEENS1_30default_config_static_selectorELNS0_4arch9wavefront6targetE0EEEvSK_
                                        ; -- End function
	.set _ZN7rocprim17ROCPRIM_400000_NS6detail17trampoline_kernelINS0_14default_configENS1_36segmented_radix_sort_config_selectorIilEEZNS1_25segmented_radix_sort_implIS3_Lb0EPKiPiPKlPlN2at6native12_GLOBAL__N_18offset_tEEE10hipError_tPvRmT1_PNSt15iterator_traitsISK_E10value_typeET2_T3_PNSL_ISQ_E10value_typeET4_jRbjT5_SW_jjP12ihipStream_tbEUlT_E_NS1_11comp_targetILNS1_3genE2ELNS1_11target_archE906ELNS1_3gpuE6ELNS1_3repE0EEENS1_30default_config_static_selectorELNS0_4arch9wavefront6targetE0EEEvSK_.num_vgpr, 0
	.set _ZN7rocprim17ROCPRIM_400000_NS6detail17trampoline_kernelINS0_14default_configENS1_36segmented_radix_sort_config_selectorIilEEZNS1_25segmented_radix_sort_implIS3_Lb0EPKiPiPKlPlN2at6native12_GLOBAL__N_18offset_tEEE10hipError_tPvRmT1_PNSt15iterator_traitsISK_E10value_typeET2_T3_PNSL_ISQ_E10value_typeET4_jRbjT5_SW_jjP12ihipStream_tbEUlT_E_NS1_11comp_targetILNS1_3genE2ELNS1_11target_archE906ELNS1_3gpuE6ELNS1_3repE0EEENS1_30default_config_static_selectorELNS0_4arch9wavefront6targetE0EEEvSK_.num_agpr, 0
	.set _ZN7rocprim17ROCPRIM_400000_NS6detail17trampoline_kernelINS0_14default_configENS1_36segmented_radix_sort_config_selectorIilEEZNS1_25segmented_radix_sort_implIS3_Lb0EPKiPiPKlPlN2at6native12_GLOBAL__N_18offset_tEEE10hipError_tPvRmT1_PNSt15iterator_traitsISK_E10value_typeET2_T3_PNSL_ISQ_E10value_typeET4_jRbjT5_SW_jjP12ihipStream_tbEUlT_E_NS1_11comp_targetILNS1_3genE2ELNS1_11target_archE906ELNS1_3gpuE6ELNS1_3repE0EEENS1_30default_config_static_selectorELNS0_4arch9wavefront6targetE0EEEvSK_.numbered_sgpr, 0
	.set _ZN7rocprim17ROCPRIM_400000_NS6detail17trampoline_kernelINS0_14default_configENS1_36segmented_radix_sort_config_selectorIilEEZNS1_25segmented_radix_sort_implIS3_Lb0EPKiPiPKlPlN2at6native12_GLOBAL__N_18offset_tEEE10hipError_tPvRmT1_PNSt15iterator_traitsISK_E10value_typeET2_T3_PNSL_ISQ_E10value_typeET4_jRbjT5_SW_jjP12ihipStream_tbEUlT_E_NS1_11comp_targetILNS1_3genE2ELNS1_11target_archE906ELNS1_3gpuE6ELNS1_3repE0EEENS1_30default_config_static_selectorELNS0_4arch9wavefront6targetE0EEEvSK_.num_named_barrier, 0
	.set _ZN7rocprim17ROCPRIM_400000_NS6detail17trampoline_kernelINS0_14default_configENS1_36segmented_radix_sort_config_selectorIilEEZNS1_25segmented_radix_sort_implIS3_Lb0EPKiPiPKlPlN2at6native12_GLOBAL__N_18offset_tEEE10hipError_tPvRmT1_PNSt15iterator_traitsISK_E10value_typeET2_T3_PNSL_ISQ_E10value_typeET4_jRbjT5_SW_jjP12ihipStream_tbEUlT_E_NS1_11comp_targetILNS1_3genE2ELNS1_11target_archE906ELNS1_3gpuE6ELNS1_3repE0EEENS1_30default_config_static_selectorELNS0_4arch9wavefront6targetE0EEEvSK_.private_seg_size, 0
	.set _ZN7rocprim17ROCPRIM_400000_NS6detail17trampoline_kernelINS0_14default_configENS1_36segmented_radix_sort_config_selectorIilEEZNS1_25segmented_radix_sort_implIS3_Lb0EPKiPiPKlPlN2at6native12_GLOBAL__N_18offset_tEEE10hipError_tPvRmT1_PNSt15iterator_traitsISK_E10value_typeET2_T3_PNSL_ISQ_E10value_typeET4_jRbjT5_SW_jjP12ihipStream_tbEUlT_E_NS1_11comp_targetILNS1_3genE2ELNS1_11target_archE906ELNS1_3gpuE6ELNS1_3repE0EEENS1_30default_config_static_selectorELNS0_4arch9wavefront6targetE0EEEvSK_.uses_vcc, 0
	.set _ZN7rocprim17ROCPRIM_400000_NS6detail17trampoline_kernelINS0_14default_configENS1_36segmented_radix_sort_config_selectorIilEEZNS1_25segmented_radix_sort_implIS3_Lb0EPKiPiPKlPlN2at6native12_GLOBAL__N_18offset_tEEE10hipError_tPvRmT1_PNSt15iterator_traitsISK_E10value_typeET2_T3_PNSL_ISQ_E10value_typeET4_jRbjT5_SW_jjP12ihipStream_tbEUlT_E_NS1_11comp_targetILNS1_3genE2ELNS1_11target_archE906ELNS1_3gpuE6ELNS1_3repE0EEENS1_30default_config_static_selectorELNS0_4arch9wavefront6targetE0EEEvSK_.uses_flat_scratch, 0
	.set _ZN7rocprim17ROCPRIM_400000_NS6detail17trampoline_kernelINS0_14default_configENS1_36segmented_radix_sort_config_selectorIilEEZNS1_25segmented_radix_sort_implIS3_Lb0EPKiPiPKlPlN2at6native12_GLOBAL__N_18offset_tEEE10hipError_tPvRmT1_PNSt15iterator_traitsISK_E10value_typeET2_T3_PNSL_ISQ_E10value_typeET4_jRbjT5_SW_jjP12ihipStream_tbEUlT_E_NS1_11comp_targetILNS1_3genE2ELNS1_11target_archE906ELNS1_3gpuE6ELNS1_3repE0EEENS1_30default_config_static_selectorELNS0_4arch9wavefront6targetE0EEEvSK_.has_dyn_sized_stack, 0
	.set _ZN7rocprim17ROCPRIM_400000_NS6detail17trampoline_kernelINS0_14default_configENS1_36segmented_radix_sort_config_selectorIilEEZNS1_25segmented_radix_sort_implIS3_Lb0EPKiPiPKlPlN2at6native12_GLOBAL__N_18offset_tEEE10hipError_tPvRmT1_PNSt15iterator_traitsISK_E10value_typeET2_T3_PNSL_ISQ_E10value_typeET4_jRbjT5_SW_jjP12ihipStream_tbEUlT_E_NS1_11comp_targetILNS1_3genE2ELNS1_11target_archE906ELNS1_3gpuE6ELNS1_3repE0EEENS1_30default_config_static_selectorELNS0_4arch9wavefront6targetE0EEEvSK_.has_recursion, 0
	.set _ZN7rocprim17ROCPRIM_400000_NS6detail17trampoline_kernelINS0_14default_configENS1_36segmented_radix_sort_config_selectorIilEEZNS1_25segmented_radix_sort_implIS3_Lb0EPKiPiPKlPlN2at6native12_GLOBAL__N_18offset_tEEE10hipError_tPvRmT1_PNSt15iterator_traitsISK_E10value_typeET2_T3_PNSL_ISQ_E10value_typeET4_jRbjT5_SW_jjP12ihipStream_tbEUlT_E_NS1_11comp_targetILNS1_3genE2ELNS1_11target_archE906ELNS1_3gpuE6ELNS1_3repE0EEENS1_30default_config_static_selectorELNS0_4arch9wavefront6targetE0EEEvSK_.has_indirect_call, 0
	.section	.AMDGPU.csdata,"",@progbits
; Kernel info:
; codeLenInByte = 0
; TotalNumSgprs: 0
; NumVgprs: 0
; ScratchSize: 0
; MemoryBound: 0
; FloatMode: 240
; IeeeMode: 1
; LDSByteSize: 0 bytes/workgroup (compile time only)
; SGPRBlocks: 0
; VGPRBlocks: 0
; NumSGPRsForWavesPerEU: 1
; NumVGPRsForWavesPerEU: 1
; NamedBarCnt: 0
; Occupancy: 16
; WaveLimiterHint : 0
; COMPUTE_PGM_RSRC2:SCRATCH_EN: 0
; COMPUTE_PGM_RSRC2:USER_SGPR: 2
; COMPUTE_PGM_RSRC2:TRAP_HANDLER: 0
; COMPUTE_PGM_RSRC2:TGID_X_EN: 1
; COMPUTE_PGM_RSRC2:TGID_Y_EN: 0
; COMPUTE_PGM_RSRC2:TGID_Z_EN: 0
; COMPUTE_PGM_RSRC2:TIDIG_COMP_CNT: 0
	.section	.text._ZN7rocprim17ROCPRIM_400000_NS6detail17trampoline_kernelINS0_14default_configENS1_36segmented_radix_sort_config_selectorIilEEZNS1_25segmented_radix_sort_implIS3_Lb0EPKiPiPKlPlN2at6native12_GLOBAL__N_18offset_tEEE10hipError_tPvRmT1_PNSt15iterator_traitsISK_E10value_typeET2_T3_PNSL_ISQ_E10value_typeET4_jRbjT5_SW_jjP12ihipStream_tbEUlT_E_NS1_11comp_targetILNS1_3genE10ELNS1_11target_archE1201ELNS1_3gpuE5ELNS1_3repE0EEENS1_30default_config_static_selectorELNS0_4arch9wavefront6targetE0EEEvSK_,"axG",@progbits,_ZN7rocprim17ROCPRIM_400000_NS6detail17trampoline_kernelINS0_14default_configENS1_36segmented_radix_sort_config_selectorIilEEZNS1_25segmented_radix_sort_implIS3_Lb0EPKiPiPKlPlN2at6native12_GLOBAL__N_18offset_tEEE10hipError_tPvRmT1_PNSt15iterator_traitsISK_E10value_typeET2_T3_PNSL_ISQ_E10value_typeET4_jRbjT5_SW_jjP12ihipStream_tbEUlT_E_NS1_11comp_targetILNS1_3genE10ELNS1_11target_archE1201ELNS1_3gpuE5ELNS1_3repE0EEENS1_30default_config_static_selectorELNS0_4arch9wavefront6targetE0EEEvSK_,comdat
	.globl	_ZN7rocprim17ROCPRIM_400000_NS6detail17trampoline_kernelINS0_14default_configENS1_36segmented_radix_sort_config_selectorIilEEZNS1_25segmented_radix_sort_implIS3_Lb0EPKiPiPKlPlN2at6native12_GLOBAL__N_18offset_tEEE10hipError_tPvRmT1_PNSt15iterator_traitsISK_E10value_typeET2_T3_PNSL_ISQ_E10value_typeET4_jRbjT5_SW_jjP12ihipStream_tbEUlT_E_NS1_11comp_targetILNS1_3genE10ELNS1_11target_archE1201ELNS1_3gpuE5ELNS1_3repE0EEENS1_30default_config_static_selectorELNS0_4arch9wavefront6targetE0EEEvSK_ ; -- Begin function _ZN7rocprim17ROCPRIM_400000_NS6detail17trampoline_kernelINS0_14default_configENS1_36segmented_radix_sort_config_selectorIilEEZNS1_25segmented_radix_sort_implIS3_Lb0EPKiPiPKlPlN2at6native12_GLOBAL__N_18offset_tEEE10hipError_tPvRmT1_PNSt15iterator_traitsISK_E10value_typeET2_T3_PNSL_ISQ_E10value_typeET4_jRbjT5_SW_jjP12ihipStream_tbEUlT_E_NS1_11comp_targetILNS1_3genE10ELNS1_11target_archE1201ELNS1_3gpuE5ELNS1_3repE0EEENS1_30default_config_static_selectorELNS0_4arch9wavefront6targetE0EEEvSK_
	.p2align	8
	.type	_ZN7rocprim17ROCPRIM_400000_NS6detail17trampoline_kernelINS0_14default_configENS1_36segmented_radix_sort_config_selectorIilEEZNS1_25segmented_radix_sort_implIS3_Lb0EPKiPiPKlPlN2at6native12_GLOBAL__N_18offset_tEEE10hipError_tPvRmT1_PNSt15iterator_traitsISK_E10value_typeET2_T3_PNSL_ISQ_E10value_typeET4_jRbjT5_SW_jjP12ihipStream_tbEUlT_E_NS1_11comp_targetILNS1_3genE10ELNS1_11target_archE1201ELNS1_3gpuE5ELNS1_3repE0EEENS1_30default_config_static_selectorELNS0_4arch9wavefront6targetE0EEEvSK_,@function
_ZN7rocprim17ROCPRIM_400000_NS6detail17trampoline_kernelINS0_14default_configENS1_36segmented_radix_sort_config_selectorIilEEZNS1_25segmented_radix_sort_implIS3_Lb0EPKiPiPKlPlN2at6native12_GLOBAL__N_18offset_tEEE10hipError_tPvRmT1_PNSt15iterator_traitsISK_E10value_typeET2_T3_PNSL_ISQ_E10value_typeET4_jRbjT5_SW_jjP12ihipStream_tbEUlT_E_NS1_11comp_targetILNS1_3genE10ELNS1_11target_archE1201ELNS1_3gpuE5ELNS1_3repE0EEENS1_30default_config_static_selectorELNS0_4arch9wavefront6targetE0EEEvSK_: ; @_ZN7rocprim17ROCPRIM_400000_NS6detail17trampoline_kernelINS0_14default_configENS1_36segmented_radix_sort_config_selectorIilEEZNS1_25segmented_radix_sort_implIS3_Lb0EPKiPiPKlPlN2at6native12_GLOBAL__N_18offset_tEEE10hipError_tPvRmT1_PNSt15iterator_traitsISK_E10value_typeET2_T3_PNSL_ISQ_E10value_typeET4_jRbjT5_SW_jjP12ihipStream_tbEUlT_E_NS1_11comp_targetILNS1_3genE10ELNS1_11target_archE1201ELNS1_3gpuE5ELNS1_3repE0EEENS1_30default_config_static_selectorELNS0_4arch9wavefront6targetE0EEEvSK_
; %bb.0:
	.section	.rodata,"a",@progbits
	.p2align	6, 0x0
	.amdhsa_kernel _ZN7rocprim17ROCPRIM_400000_NS6detail17trampoline_kernelINS0_14default_configENS1_36segmented_radix_sort_config_selectorIilEEZNS1_25segmented_radix_sort_implIS3_Lb0EPKiPiPKlPlN2at6native12_GLOBAL__N_18offset_tEEE10hipError_tPvRmT1_PNSt15iterator_traitsISK_E10value_typeET2_T3_PNSL_ISQ_E10value_typeET4_jRbjT5_SW_jjP12ihipStream_tbEUlT_E_NS1_11comp_targetILNS1_3genE10ELNS1_11target_archE1201ELNS1_3gpuE5ELNS1_3repE0EEENS1_30default_config_static_selectorELNS0_4arch9wavefront6targetE0EEEvSK_
		.amdhsa_group_segment_fixed_size 0
		.amdhsa_private_segment_fixed_size 0
		.amdhsa_kernarg_size 96
		.amdhsa_user_sgpr_count 2
		.amdhsa_user_sgpr_dispatch_ptr 0
		.amdhsa_user_sgpr_queue_ptr 0
		.amdhsa_user_sgpr_kernarg_segment_ptr 1
		.amdhsa_user_sgpr_dispatch_id 0
		.amdhsa_user_sgpr_kernarg_preload_length 0
		.amdhsa_user_sgpr_kernarg_preload_offset 0
		.amdhsa_user_sgpr_private_segment_size 0
		.amdhsa_wavefront_size32 1
		.amdhsa_uses_dynamic_stack 0
		.amdhsa_enable_private_segment 0
		.amdhsa_system_sgpr_workgroup_id_x 1
		.amdhsa_system_sgpr_workgroup_id_y 0
		.amdhsa_system_sgpr_workgroup_id_z 0
		.amdhsa_system_sgpr_workgroup_info 0
		.amdhsa_system_vgpr_workitem_id 0
		.amdhsa_next_free_vgpr 1
		.amdhsa_next_free_sgpr 1
		.amdhsa_named_barrier_count 0
		.amdhsa_reserve_vcc 0
		.amdhsa_float_round_mode_32 0
		.amdhsa_float_round_mode_16_64 0
		.amdhsa_float_denorm_mode_32 3
		.amdhsa_float_denorm_mode_16_64 3
		.amdhsa_fp16_overflow 0
		.amdhsa_memory_ordered 1
		.amdhsa_forward_progress 1
		.amdhsa_inst_pref_size 0
		.amdhsa_round_robin_scheduling 0
		.amdhsa_exception_fp_ieee_invalid_op 0
		.amdhsa_exception_fp_denorm_src 0
		.amdhsa_exception_fp_ieee_div_zero 0
		.amdhsa_exception_fp_ieee_overflow 0
		.amdhsa_exception_fp_ieee_underflow 0
		.amdhsa_exception_fp_ieee_inexact 0
		.amdhsa_exception_int_div_zero 0
	.end_amdhsa_kernel
	.section	.text._ZN7rocprim17ROCPRIM_400000_NS6detail17trampoline_kernelINS0_14default_configENS1_36segmented_radix_sort_config_selectorIilEEZNS1_25segmented_radix_sort_implIS3_Lb0EPKiPiPKlPlN2at6native12_GLOBAL__N_18offset_tEEE10hipError_tPvRmT1_PNSt15iterator_traitsISK_E10value_typeET2_T3_PNSL_ISQ_E10value_typeET4_jRbjT5_SW_jjP12ihipStream_tbEUlT_E_NS1_11comp_targetILNS1_3genE10ELNS1_11target_archE1201ELNS1_3gpuE5ELNS1_3repE0EEENS1_30default_config_static_selectorELNS0_4arch9wavefront6targetE0EEEvSK_,"axG",@progbits,_ZN7rocprim17ROCPRIM_400000_NS6detail17trampoline_kernelINS0_14default_configENS1_36segmented_radix_sort_config_selectorIilEEZNS1_25segmented_radix_sort_implIS3_Lb0EPKiPiPKlPlN2at6native12_GLOBAL__N_18offset_tEEE10hipError_tPvRmT1_PNSt15iterator_traitsISK_E10value_typeET2_T3_PNSL_ISQ_E10value_typeET4_jRbjT5_SW_jjP12ihipStream_tbEUlT_E_NS1_11comp_targetILNS1_3genE10ELNS1_11target_archE1201ELNS1_3gpuE5ELNS1_3repE0EEENS1_30default_config_static_selectorELNS0_4arch9wavefront6targetE0EEEvSK_,comdat
.Lfunc_end602:
	.size	_ZN7rocprim17ROCPRIM_400000_NS6detail17trampoline_kernelINS0_14default_configENS1_36segmented_radix_sort_config_selectorIilEEZNS1_25segmented_radix_sort_implIS3_Lb0EPKiPiPKlPlN2at6native12_GLOBAL__N_18offset_tEEE10hipError_tPvRmT1_PNSt15iterator_traitsISK_E10value_typeET2_T3_PNSL_ISQ_E10value_typeET4_jRbjT5_SW_jjP12ihipStream_tbEUlT_E_NS1_11comp_targetILNS1_3genE10ELNS1_11target_archE1201ELNS1_3gpuE5ELNS1_3repE0EEENS1_30default_config_static_selectorELNS0_4arch9wavefront6targetE0EEEvSK_, .Lfunc_end602-_ZN7rocprim17ROCPRIM_400000_NS6detail17trampoline_kernelINS0_14default_configENS1_36segmented_radix_sort_config_selectorIilEEZNS1_25segmented_radix_sort_implIS3_Lb0EPKiPiPKlPlN2at6native12_GLOBAL__N_18offset_tEEE10hipError_tPvRmT1_PNSt15iterator_traitsISK_E10value_typeET2_T3_PNSL_ISQ_E10value_typeET4_jRbjT5_SW_jjP12ihipStream_tbEUlT_E_NS1_11comp_targetILNS1_3genE10ELNS1_11target_archE1201ELNS1_3gpuE5ELNS1_3repE0EEENS1_30default_config_static_selectorELNS0_4arch9wavefront6targetE0EEEvSK_
                                        ; -- End function
	.set _ZN7rocprim17ROCPRIM_400000_NS6detail17trampoline_kernelINS0_14default_configENS1_36segmented_radix_sort_config_selectorIilEEZNS1_25segmented_radix_sort_implIS3_Lb0EPKiPiPKlPlN2at6native12_GLOBAL__N_18offset_tEEE10hipError_tPvRmT1_PNSt15iterator_traitsISK_E10value_typeET2_T3_PNSL_ISQ_E10value_typeET4_jRbjT5_SW_jjP12ihipStream_tbEUlT_E_NS1_11comp_targetILNS1_3genE10ELNS1_11target_archE1201ELNS1_3gpuE5ELNS1_3repE0EEENS1_30default_config_static_selectorELNS0_4arch9wavefront6targetE0EEEvSK_.num_vgpr, 0
	.set _ZN7rocprim17ROCPRIM_400000_NS6detail17trampoline_kernelINS0_14default_configENS1_36segmented_radix_sort_config_selectorIilEEZNS1_25segmented_radix_sort_implIS3_Lb0EPKiPiPKlPlN2at6native12_GLOBAL__N_18offset_tEEE10hipError_tPvRmT1_PNSt15iterator_traitsISK_E10value_typeET2_T3_PNSL_ISQ_E10value_typeET4_jRbjT5_SW_jjP12ihipStream_tbEUlT_E_NS1_11comp_targetILNS1_3genE10ELNS1_11target_archE1201ELNS1_3gpuE5ELNS1_3repE0EEENS1_30default_config_static_selectorELNS0_4arch9wavefront6targetE0EEEvSK_.num_agpr, 0
	.set _ZN7rocprim17ROCPRIM_400000_NS6detail17trampoline_kernelINS0_14default_configENS1_36segmented_radix_sort_config_selectorIilEEZNS1_25segmented_radix_sort_implIS3_Lb0EPKiPiPKlPlN2at6native12_GLOBAL__N_18offset_tEEE10hipError_tPvRmT1_PNSt15iterator_traitsISK_E10value_typeET2_T3_PNSL_ISQ_E10value_typeET4_jRbjT5_SW_jjP12ihipStream_tbEUlT_E_NS1_11comp_targetILNS1_3genE10ELNS1_11target_archE1201ELNS1_3gpuE5ELNS1_3repE0EEENS1_30default_config_static_selectorELNS0_4arch9wavefront6targetE0EEEvSK_.numbered_sgpr, 0
	.set _ZN7rocprim17ROCPRIM_400000_NS6detail17trampoline_kernelINS0_14default_configENS1_36segmented_radix_sort_config_selectorIilEEZNS1_25segmented_radix_sort_implIS3_Lb0EPKiPiPKlPlN2at6native12_GLOBAL__N_18offset_tEEE10hipError_tPvRmT1_PNSt15iterator_traitsISK_E10value_typeET2_T3_PNSL_ISQ_E10value_typeET4_jRbjT5_SW_jjP12ihipStream_tbEUlT_E_NS1_11comp_targetILNS1_3genE10ELNS1_11target_archE1201ELNS1_3gpuE5ELNS1_3repE0EEENS1_30default_config_static_selectorELNS0_4arch9wavefront6targetE0EEEvSK_.num_named_barrier, 0
	.set _ZN7rocprim17ROCPRIM_400000_NS6detail17trampoline_kernelINS0_14default_configENS1_36segmented_radix_sort_config_selectorIilEEZNS1_25segmented_radix_sort_implIS3_Lb0EPKiPiPKlPlN2at6native12_GLOBAL__N_18offset_tEEE10hipError_tPvRmT1_PNSt15iterator_traitsISK_E10value_typeET2_T3_PNSL_ISQ_E10value_typeET4_jRbjT5_SW_jjP12ihipStream_tbEUlT_E_NS1_11comp_targetILNS1_3genE10ELNS1_11target_archE1201ELNS1_3gpuE5ELNS1_3repE0EEENS1_30default_config_static_selectorELNS0_4arch9wavefront6targetE0EEEvSK_.private_seg_size, 0
	.set _ZN7rocprim17ROCPRIM_400000_NS6detail17trampoline_kernelINS0_14default_configENS1_36segmented_radix_sort_config_selectorIilEEZNS1_25segmented_radix_sort_implIS3_Lb0EPKiPiPKlPlN2at6native12_GLOBAL__N_18offset_tEEE10hipError_tPvRmT1_PNSt15iterator_traitsISK_E10value_typeET2_T3_PNSL_ISQ_E10value_typeET4_jRbjT5_SW_jjP12ihipStream_tbEUlT_E_NS1_11comp_targetILNS1_3genE10ELNS1_11target_archE1201ELNS1_3gpuE5ELNS1_3repE0EEENS1_30default_config_static_selectorELNS0_4arch9wavefront6targetE0EEEvSK_.uses_vcc, 0
	.set _ZN7rocprim17ROCPRIM_400000_NS6detail17trampoline_kernelINS0_14default_configENS1_36segmented_radix_sort_config_selectorIilEEZNS1_25segmented_radix_sort_implIS3_Lb0EPKiPiPKlPlN2at6native12_GLOBAL__N_18offset_tEEE10hipError_tPvRmT1_PNSt15iterator_traitsISK_E10value_typeET2_T3_PNSL_ISQ_E10value_typeET4_jRbjT5_SW_jjP12ihipStream_tbEUlT_E_NS1_11comp_targetILNS1_3genE10ELNS1_11target_archE1201ELNS1_3gpuE5ELNS1_3repE0EEENS1_30default_config_static_selectorELNS0_4arch9wavefront6targetE0EEEvSK_.uses_flat_scratch, 0
	.set _ZN7rocprim17ROCPRIM_400000_NS6detail17trampoline_kernelINS0_14default_configENS1_36segmented_radix_sort_config_selectorIilEEZNS1_25segmented_radix_sort_implIS3_Lb0EPKiPiPKlPlN2at6native12_GLOBAL__N_18offset_tEEE10hipError_tPvRmT1_PNSt15iterator_traitsISK_E10value_typeET2_T3_PNSL_ISQ_E10value_typeET4_jRbjT5_SW_jjP12ihipStream_tbEUlT_E_NS1_11comp_targetILNS1_3genE10ELNS1_11target_archE1201ELNS1_3gpuE5ELNS1_3repE0EEENS1_30default_config_static_selectorELNS0_4arch9wavefront6targetE0EEEvSK_.has_dyn_sized_stack, 0
	.set _ZN7rocprim17ROCPRIM_400000_NS6detail17trampoline_kernelINS0_14default_configENS1_36segmented_radix_sort_config_selectorIilEEZNS1_25segmented_radix_sort_implIS3_Lb0EPKiPiPKlPlN2at6native12_GLOBAL__N_18offset_tEEE10hipError_tPvRmT1_PNSt15iterator_traitsISK_E10value_typeET2_T3_PNSL_ISQ_E10value_typeET4_jRbjT5_SW_jjP12ihipStream_tbEUlT_E_NS1_11comp_targetILNS1_3genE10ELNS1_11target_archE1201ELNS1_3gpuE5ELNS1_3repE0EEENS1_30default_config_static_selectorELNS0_4arch9wavefront6targetE0EEEvSK_.has_recursion, 0
	.set _ZN7rocprim17ROCPRIM_400000_NS6detail17trampoline_kernelINS0_14default_configENS1_36segmented_radix_sort_config_selectorIilEEZNS1_25segmented_radix_sort_implIS3_Lb0EPKiPiPKlPlN2at6native12_GLOBAL__N_18offset_tEEE10hipError_tPvRmT1_PNSt15iterator_traitsISK_E10value_typeET2_T3_PNSL_ISQ_E10value_typeET4_jRbjT5_SW_jjP12ihipStream_tbEUlT_E_NS1_11comp_targetILNS1_3genE10ELNS1_11target_archE1201ELNS1_3gpuE5ELNS1_3repE0EEENS1_30default_config_static_selectorELNS0_4arch9wavefront6targetE0EEEvSK_.has_indirect_call, 0
	.section	.AMDGPU.csdata,"",@progbits
; Kernel info:
; codeLenInByte = 0
; TotalNumSgprs: 0
; NumVgprs: 0
; ScratchSize: 0
; MemoryBound: 0
; FloatMode: 240
; IeeeMode: 1
; LDSByteSize: 0 bytes/workgroup (compile time only)
; SGPRBlocks: 0
; VGPRBlocks: 0
; NumSGPRsForWavesPerEU: 1
; NumVGPRsForWavesPerEU: 1
; NamedBarCnt: 0
; Occupancy: 16
; WaveLimiterHint : 0
; COMPUTE_PGM_RSRC2:SCRATCH_EN: 0
; COMPUTE_PGM_RSRC2:USER_SGPR: 2
; COMPUTE_PGM_RSRC2:TRAP_HANDLER: 0
; COMPUTE_PGM_RSRC2:TGID_X_EN: 1
; COMPUTE_PGM_RSRC2:TGID_Y_EN: 0
; COMPUTE_PGM_RSRC2:TGID_Z_EN: 0
; COMPUTE_PGM_RSRC2:TIDIG_COMP_CNT: 0
	.section	.text._ZN7rocprim17ROCPRIM_400000_NS6detail17trampoline_kernelINS0_14default_configENS1_36segmented_radix_sort_config_selectorIilEEZNS1_25segmented_radix_sort_implIS3_Lb0EPKiPiPKlPlN2at6native12_GLOBAL__N_18offset_tEEE10hipError_tPvRmT1_PNSt15iterator_traitsISK_E10value_typeET2_T3_PNSL_ISQ_E10value_typeET4_jRbjT5_SW_jjP12ihipStream_tbEUlT_E_NS1_11comp_targetILNS1_3genE10ELNS1_11target_archE1200ELNS1_3gpuE4ELNS1_3repE0EEENS1_30default_config_static_selectorELNS0_4arch9wavefront6targetE0EEEvSK_,"axG",@progbits,_ZN7rocprim17ROCPRIM_400000_NS6detail17trampoline_kernelINS0_14default_configENS1_36segmented_radix_sort_config_selectorIilEEZNS1_25segmented_radix_sort_implIS3_Lb0EPKiPiPKlPlN2at6native12_GLOBAL__N_18offset_tEEE10hipError_tPvRmT1_PNSt15iterator_traitsISK_E10value_typeET2_T3_PNSL_ISQ_E10value_typeET4_jRbjT5_SW_jjP12ihipStream_tbEUlT_E_NS1_11comp_targetILNS1_3genE10ELNS1_11target_archE1200ELNS1_3gpuE4ELNS1_3repE0EEENS1_30default_config_static_selectorELNS0_4arch9wavefront6targetE0EEEvSK_,comdat
	.globl	_ZN7rocprim17ROCPRIM_400000_NS6detail17trampoline_kernelINS0_14default_configENS1_36segmented_radix_sort_config_selectorIilEEZNS1_25segmented_radix_sort_implIS3_Lb0EPKiPiPKlPlN2at6native12_GLOBAL__N_18offset_tEEE10hipError_tPvRmT1_PNSt15iterator_traitsISK_E10value_typeET2_T3_PNSL_ISQ_E10value_typeET4_jRbjT5_SW_jjP12ihipStream_tbEUlT_E_NS1_11comp_targetILNS1_3genE10ELNS1_11target_archE1200ELNS1_3gpuE4ELNS1_3repE0EEENS1_30default_config_static_selectorELNS0_4arch9wavefront6targetE0EEEvSK_ ; -- Begin function _ZN7rocprim17ROCPRIM_400000_NS6detail17trampoline_kernelINS0_14default_configENS1_36segmented_radix_sort_config_selectorIilEEZNS1_25segmented_radix_sort_implIS3_Lb0EPKiPiPKlPlN2at6native12_GLOBAL__N_18offset_tEEE10hipError_tPvRmT1_PNSt15iterator_traitsISK_E10value_typeET2_T3_PNSL_ISQ_E10value_typeET4_jRbjT5_SW_jjP12ihipStream_tbEUlT_E_NS1_11comp_targetILNS1_3genE10ELNS1_11target_archE1200ELNS1_3gpuE4ELNS1_3repE0EEENS1_30default_config_static_selectorELNS0_4arch9wavefront6targetE0EEEvSK_
	.p2align	8
	.type	_ZN7rocprim17ROCPRIM_400000_NS6detail17trampoline_kernelINS0_14default_configENS1_36segmented_radix_sort_config_selectorIilEEZNS1_25segmented_radix_sort_implIS3_Lb0EPKiPiPKlPlN2at6native12_GLOBAL__N_18offset_tEEE10hipError_tPvRmT1_PNSt15iterator_traitsISK_E10value_typeET2_T3_PNSL_ISQ_E10value_typeET4_jRbjT5_SW_jjP12ihipStream_tbEUlT_E_NS1_11comp_targetILNS1_3genE10ELNS1_11target_archE1200ELNS1_3gpuE4ELNS1_3repE0EEENS1_30default_config_static_selectorELNS0_4arch9wavefront6targetE0EEEvSK_,@function
_ZN7rocprim17ROCPRIM_400000_NS6detail17trampoline_kernelINS0_14default_configENS1_36segmented_radix_sort_config_selectorIilEEZNS1_25segmented_radix_sort_implIS3_Lb0EPKiPiPKlPlN2at6native12_GLOBAL__N_18offset_tEEE10hipError_tPvRmT1_PNSt15iterator_traitsISK_E10value_typeET2_T3_PNSL_ISQ_E10value_typeET4_jRbjT5_SW_jjP12ihipStream_tbEUlT_E_NS1_11comp_targetILNS1_3genE10ELNS1_11target_archE1200ELNS1_3gpuE4ELNS1_3repE0EEENS1_30default_config_static_selectorELNS0_4arch9wavefront6targetE0EEEvSK_: ; @_ZN7rocprim17ROCPRIM_400000_NS6detail17trampoline_kernelINS0_14default_configENS1_36segmented_radix_sort_config_selectorIilEEZNS1_25segmented_radix_sort_implIS3_Lb0EPKiPiPKlPlN2at6native12_GLOBAL__N_18offset_tEEE10hipError_tPvRmT1_PNSt15iterator_traitsISK_E10value_typeET2_T3_PNSL_ISQ_E10value_typeET4_jRbjT5_SW_jjP12ihipStream_tbEUlT_E_NS1_11comp_targetILNS1_3genE10ELNS1_11target_archE1200ELNS1_3gpuE4ELNS1_3repE0EEENS1_30default_config_static_selectorELNS0_4arch9wavefront6targetE0EEEvSK_
; %bb.0:
	.section	.rodata,"a",@progbits
	.p2align	6, 0x0
	.amdhsa_kernel _ZN7rocprim17ROCPRIM_400000_NS6detail17trampoline_kernelINS0_14default_configENS1_36segmented_radix_sort_config_selectorIilEEZNS1_25segmented_radix_sort_implIS3_Lb0EPKiPiPKlPlN2at6native12_GLOBAL__N_18offset_tEEE10hipError_tPvRmT1_PNSt15iterator_traitsISK_E10value_typeET2_T3_PNSL_ISQ_E10value_typeET4_jRbjT5_SW_jjP12ihipStream_tbEUlT_E_NS1_11comp_targetILNS1_3genE10ELNS1_11target_archE1200ELNS1_3gpuE4ELNS1_3repE0EEENS1_30default_config_static_selectorELNS0_4arch9wavefront6targetE0EEEvSK_
		.amdhsa_group_segment_fixed_size 0
		.amdhsa_private_segment_fixed_size 0
		.amdhsa_kernarg_size 96
		.amdhsa_user_sgpr_count 2
		.amdhsa_user_sgpr_dispatch_ptr 0
		.amdhsa_user_sgpr_queue_ptr 0
		.amdhsa_user_sgpr_kernarg_segment_ptr 1
		.amdhsa_user_sgpr_dispatch_id 0
		.amdhsa_user_sgpr_kernarg_preload_length 0
		.amdhsa_user_sgpr_kernarg_preload_offset 0
		.amdhsa_user_sgpr_private_segment_size 0
		.amdhsa_wavefront_size32 1
		.amdhsa_uses_dynamic_stack 0
		.amdhsa_enable_private_segment 0
		.amdhsa_system_sgpr_workgroup_id_x 1
		.amdhsa_system_sgpr_workgroup_id_y 0
		.amdhsa_system_sgpr_workgroup_id_z 0
		.amdhsa_system_sgpr_workgroup_info 0
		.amdhsa_system_vgpr_workitem_id 0
		.amdhsa_next_free_vgpr 1
		.amdhsa_next_free_sgpr 1
		.amdhsa_named_barrier_count 0
		.amdhsa_reserve_vcc 0
		.amdhsa_float_round_mode_32 0
		.amdhsa_float_round_mode_16_64 0
		.amdhsa_float_denorm_mode_32 3
		.amdhsa_float_denorm_mode_16_64 3
		.amdhsa_fp16_overflow 0
		.amdhsa_memory_ordered 1
		.amdhsa_forward_progress 1
		.amdhsa_inst_pref_size 0
		.amdhsa_round_robin_scheduling 0
		.amdhsa_exception_fp_ieee_invalid_op 0
		.amdhsa_exception_fp_denorm_src 0
		.amdhsa_exception_fp_ieee_div_zero 0
		.amdhsa_exception_fp_ieee_overflow 0
		.amdhsa_exception_fp_ieee_underflow 0
		.amdhsa_exception_fp_ieee_inexact 0
		.amdhsa_exception_int_div_zero 0
	.end_amdhsa_kernel
	.section	.text._ZN7rocprim17ROCPRIM_400000_NS6detail17trampoline_kernelINS0_14default_configENS1_36segmented_radix_sort_config_selectorIilEEZNS1_25segmented_radix_sort_implIS3_Lb0EPKiPiPKlPlN2at6native12_GLOBAL__N_18offset_tEEE10hipError_tPvRmT1_PNSt15iterator_traitsISK_E10value_typeET2_T3_PNSL_ISQ_E10value_typeET4_jRbjT5_SW_jjP12ihipStream_tbEUlT_E_NS1_11comp_targetILNS1_3genE10ELNS1_11target_archE1200ELNS1_3gpuE4ELNS1_3repE0EEENS1_30default_config_static_selectorELNS0_4arch9wavefront6targetE0EEEvSK_,"axG",@progbits,_ZN7rocprim17ROCPRIM_400000_NS6detail17trampoline_kernelINS0_14default_configENS1_36segmented_radix_sort_config_selectorIilEEZNS1_25segmented_radix_sort_implIS3_Lb0EPKiPiPKlPlN2at6native12_GLOBAL__N_18offset_tEEE10hipError_tPvRmT1_PNSt15iterator_traitsISK_E10value_typeET2_T3_PNSL_ISQ_E10value_typeET4_jRbjT5_SW_jjP12ihipStream_tbEUlT_E_NS1_11comp_targetILNS1_3genE10ELNS1_11target_archE1200ELNS1_3gpuE4ELNS1_3repE0EEENS1_30default_config_static_selectorELNS0_4arch9wavefront6targetE0EEEvSK_,comdat
.Lfunc_end603:
	.size	_ZN7rocprim17ROCPRIM_400000_NS6detail17trampoline_kernelINS0_14default_configENS1_36segmented_radix_sort_config_selectorIilEEZNS1_25segmented_radix_sort_implIS3_Lb0EPKiPiPKlPlN2at6native12_GLOBAL__N_18offset_tEEE10hipError_tPvRmT1_PNSt15iterator_traitsISK_E10value_typeET2_T3_PNSL_ISQ_E10value_typeET4_jRbjT5_SW_jjP12ihipStream_tbEUlT_E_NS1_11comp_targetILNS1_3genE10ELNS1_11target_archE1200ELNS1_3gpuE4ELNS1_3repE0EEENS1_30default_config_static_selectorELNS0_4arch9wavefront6targetE0EEEvSK_, .Lfunc_end603-_ZN7rocprim17ROCPRIM_400000_NS6detail17trampoline_kernelINS0_14default_configENS1_36segmented_radix_sort_config_selectorIilEEZNS1_25segmented_radix_sort_implIS3_Lb0EPKiPiPKlPlN2at6native12_GLOBAL__N_18offset_tEEE10hipError_tPvRmT1_PNSt15iterator_traitsISK_E10value_typeET2_T3_PNSL_ISQ_E10value_typeET4_jRbjT5_SW_jjP12ihipStream_tbEUlT_E_NS1_11comp_targetILNS1_3genE10ELNS1_11target_archE1200ELNS1_3gpuE4ELNS1_3repE0EEENS1_30default_config_static_selectorELNS0_4arch9wavefront6targetE0EEEvSK_
                                        ; -- End function
	.set _ZN7rocprim17ROCPRIM_400000_NS6detail17trampoline_kernelINS0_14default_configENS1_36segmented_radix_sort_config_selectorIilEEZNS1_25segmented_radix_sort_implIS3_Lb0EPKiPiPKlPlN2at6native12_GLOBAL__N_18offset_tEEE10hipError_tPvRmT1_PNSt15iterator_traitsISK_E10value_typeET2_T3_PNSL_ISQ_E10value_typeET4_jRbjT5_SW_jjP12ihipStream_tbEUlT_E_NS1_11comp_targetILNS1_3genE10ELNS1_11target_archE1200ELNS1_3gpuE4ELNS1_3repE0EEENS1_30default_config_static_selectorELNS0_4arch9wavefront6targetE0EEEvSK_.num_vgpr, 0
	.set _ZN7rocprim17ROCPRIM_400000_NS6detail17trampoline_kernelINS0_14default_configENS1_36segmented_radix_sort_config_selectorIilEEZNS1_25segmented_radix_sort_implIS3_Lb0EPKiPiPKlPlN2at6native12_GLOBAL__N_18offset_tEEE10hipError_tPvRmT1_PNSt15iterator_traitsISK_E10value_typeET2_T3_PNSL_ISQ_E10value_typeET4_jRbjT5_SW_jjP12ihipStream_tbEUlT_E_NS1_11comp_targetILNS1_3genE10ELNS1_11target_archE1200ELNS1_3gpuE4ELNS1_3repE0EEENS1_30default_config_static_selectorELNS0_4arch9wavefront6targetE0EEEvSK_.num_agpr, 0
	.set _ZN7rocprim17ROCPRIM_400000_NS6detail17trampoline_kernelINS0_14default_configENS1_36segmented_radix_sort_config_selectorIilEEZNS1_25segmented_radix_sort_implIS3_Lb0EPKiPiPKlPlN2at6native12_GLOBAL__N_18offset_tEEE10hipError_tPvRmT1_PNSt15iterator_traitsISK_E10value_typeET2_T3_PNSL_ISQ_E10value_typeET4_jRbjT5_SW_jjP12ihipStream_tbEUlT_E_NS1_11comp_targetILNS1_3genE10ELNS1_11target_archE1200ELNS1_3gpuE4ELNS1_3repE0EEENS1_30default_config_static_selectorELNS0_4arch9wavefront6targetE0EEEvSK_.numbered_sgpr, 0
	.set _ZN7rocprim17ROCPRIM_400000_NS6detail17trampoline_kernelINS0_14default_configENS1_36segmented_radix_sort_config_selectorIilEEZNS1_25segmented_radix_sort_implIS3_Lb0EPKiPiPKlPlN2at6native12_GLOBAL__N_18offset_tEEE10hipError_tPvRmT1_PNSt15iterator_traitsISK_E10value_typeET2_T3_PNSL_ISQ_E10value_typeET4_jRbjT5_SW_jjP12ihipStream_tbEUlT_E_NS1_11comp_targetILNS1_3genE10ELNS1_11target_archE1200ELNS1_3gpuE4ELNS1_3repE0EEENS1_30default_config_static_selectorELNS0_4arch9wavefront6targetE0EEEvSK_.num_named_barrier, 0
	.set _ZN7rocprim17ROCPRIM_400000_NS6detail17trampoline_kernelINS0_14default_configENS1_36segmented_radix_sort_config_selectorIilEEZNS1_25segmented_radix_sort_implIS3_Lb0EPKiPiPKlPlN2at6native12_GLOBAL__N_18offset_tEEE10hipError_tPvRmT1_PNSt15iterator_traitsISK_E10value_typeET2_T3_PNSL_ISQ_E10value_typeET4_jRbjT5_SW_jjP12ihipStream_tbEUlT_E_NS1_11comp_targetILNS1_3genE10ELNS1_11target_archE1200ELNS1_3gpuE4ELNS1_3repE0EEENS1_30default_config_static_selectorELNS0_4arch9wavefront6targetE0EEEvSK_.private_seg_size, 0
	.set _ZN7rocprim17ROCPRIM_400000_NS6detail17trampoline_kernelINS0_14default_configENS1_36segmented_radix_sort_config_selectorIilEEZNS1_25segmented_radix_sort_implIS3_Lb0EPKiPiPKlPlN2at6native12_GLOBAL__N_18offset_tEEE10hipError_tPvRmT1_PNSt15iterator_traitsISK_E10value_typeET2_T3_PNSL_ISQ_E10value_typeET4_jRbjT5_SW_jjP12ihipStream_tbEUlT_E_NS1_11comp_targetILNS1_3genE10ELNS1_11target_archE1200ELNS1_3gpuE4ELNS1_3repE0EEENS1_30default_config_static_selectorELNS0_4arch9wavefront6targetE0EEEvSK_.uses_vcc, 0
	.set _ZN7rocprim17ROCPRIM_400000_NS6detail17trampoline_kernelINS0_14default_configENS1_36segmented_radix_sort_config_selectorIilEEZNS1_25segmented_radix_sort_implIS3_Lb0EPKiPiPKlPlN2at6native12_GLOBAL__N_18offset_tEEE10hipError_tPvRmT1_PNSt15iterator_traitsISK_E10value_typeET2_T3_PNSL_ISQ_E10value_typeET4_jRbjT5_SW_jjP12ihipStream_tbEUlT_E_NS1_11comp_targetILNS1_3genE10ELNS1_11target_archE1200ELNS1_3gpuE4ELNS1_3repE0EEENS1_30default_config_static_selectorELNS0_4arch9wavefront6targetE0EEEvSK_.uses_flat_scratch, 0
	.set _ZN7rocprim17ROCPRIM_400000_NS6detail17trampoline_kernelINS0_14default_configENS1_36segmented_radix_sort_config_selectorIilEEZNS1_25segmented_radix_sort_implIS3_Lb0EPKiPiPKlPlN2at6native12_GLOBAL__N_18offset_tEEE10hipError_tPvRmT1_PNSt15iterator_traitsISK_E10value_typeET2_T3_PNSL_ISQ_E10value_typeET4_jRbjT5_SW_jjP12ihipStream_tbEUlT_E_NS1_11comp_targetILNS1_3genE10ELNS1_11target_archE1200ELNS1_3gpuE4ELNS1_3repE0EEENS1_30default_config_static_selectorELNS0_4arch9wavefront6targetE0EEEvSK_.has_dyn_sized_stack, 0
	.set _ZN7rocprim17ROCPRIM_400000_NS6detail17trampoline_kernelINS0_14default_configENS1_36segmented_radix_sort_config_selectorIilEEZNS1_25segmented_radix_sort_implIS3_Lb0EPKiPiPKlPlN2at6native12_GLOBAL__N_18offset_tEEE10hipError_tPvRmT1_PNSt15iterator_traitsISK_E10value_typeET2_T3_PNSL_ISQ_E10value_typeET4_jRbjT5_SW_jjP12ihipStream_tbEUlT_E_NS1_11comp_targetILNS1_3genE10ELNS1_11target_archE1200ELNS1_3gpuE4ELNS1_3repE0EEENS1_30default_config_static_selectorELNS0_4arch9wavefront6targetE0EEEvSK_.has_recursion, 0
	.set _ZN7rocprim17ROCPRIM_400000_NS6detail17trampoline_kernelINS0_14default_configENS1_36segmented_radix_sort_config_selectorIilEEZNS1_25segmented_radix_sort_implIS3_Lb0EPKiPiPKlPlN2at6native12_GLOBAL__N_18offset_tEEE10hipError_tPvRmT1_PNSt15iterator_traitsISK_E10value_typeET2_T3_PNSL_ISQ_E10value_typeET4_jRbjT5_SW_jjP12ihipStream_tbEUlT_E_NS1_11comp_targetILNS1_3genE10ELNS1_11target_archE1200ELNS1_3gpuE4ELNS1_3repE0EEENS1_30default_config_static_selectorELNS0_4arch9wavefront6targetE0EEEvSK_.has_indirect_call, 0
	.section	.AMDGPU.csdata,"",@progbits
; Kernel info:
; codeLenInByte = 0
; TotalNumSgprs: 0
; NumVgprs: 0
; ScratchSize: 0
; MemoryBound: 0
; FloatMode: 240
; IeeeMode: 1
; LDSByteSize: 0 bytes/workgroup (compile time only)
; SGPRBlocks: 0
; VGPRBlocks: 0
; NumSGPRsForWavesPerEU: 1
; NumVGPRsForWavesPerEU: 1
; NamedBarCnt: 0
; Occupancy: 16
; WaveLimiterHint : 0
; COMPUTE_PGM_RSRC2:SCRATCH_EN: 0
; COMPUTE_PGM_RSRC2:USER_SGPR: 2
; COMPUTE_PGM_RSRC2:TRAP_HANDLER: 0
; COMPUTE_PGM_RSRC2:TGID_X_EN: 1
; COMPUTE_PGM_RSRC2:TGID_Y_EN: 0
; COMPUTE_PGM_RSRC2:TGID_Z_EN: 0
; COMPUTE_PGM_RSRC2:TIDIG_COMP_CNT: 0
	.section	.text._ZN7rocprim17ROCPRIM_400000_NS6detail17trampoline_kernelINS0_14default_configENS1_36segmented_radix_sort_config_selectorIilEEZNS1_25segmented_radix_sort_implIS3_Lb0EPKiPiPKlPlN2at6native12_GLOBAL__N_18offset_tEEE10hipError_tPvRmT1_PNSt15iterator_traitsISK_E10value_typeET2_T3_PNSL_ISQ_E10value_typeET4_jRbjT5_SW_jjP12ihipStream_tbEUlT_E_NS1_11comp_targetILNS1_3genE9ELNS1_11target_archE1100ELNS1_3gpuE3ELNS1_3repE0EEENS1_30default_config_static_selectorELNS0_4arch9wavefront6targetE0EEEvSK_,"axG",@progbits,_ZN7rocprim17ROCPRIM_400000_NS6detail17trampoline_kernelINS0_14default_configENS1_36segmented_radix_sort_config_selectorIilEEZNS1_25segmented_radix_sort_implIS3_Lb0EPKiPiPKlPlN2at6native12_GLOBAL__N_18offset_tEEE10hipError_tPvRmT1_PNSt15iterator_traitsISK_E10value_typeET2_T3_PNSL_ISQ_E10value_typeET4_jRbjT5_SW_jjP12ihipStream_tbEUlT_E_NS1_11comp_targetILNS1_3genE9ELNS1_11target_archE1100ELNS1_3gpuE3ELNS1_3repE0EEENS1_30default_config_static_selectorELNS0_4arch9wavefront6targetE0EEEvSK_,comdat
	.globl	_ZN7rocprim17ROCPRIM_400000_NS6detail17trampoline_kernelINS0_14default_configENS1_36segmented_radix_sort_config_selectorIilEEZNS1_25segmented_radix_sort_implIS3_Lb0EPKiPiPKlPlN2at6native12_GLOBAL__N_18offset_tEEE10hipError_tPvRmT1_PNSt15iterator_traitsISK_E10value_typeET2_T3_PNSL_ISQ_E10value_typeET4_jRbjT5_SW_jjP12ihipStream_tbEUlT_E_NS1_11comp_targetILNS1_3genE9ELNS1_11target_archE1100ELNS1_3gpuE3ELNS1_3repE0EEENS1_30default_config_static_selectorELNS0_4arch9wavefront6targetE0EEEvSK_ ; -- Begin function _ZN7rocprim17ROCPRIM_400000_NS6detail17trampoline_kernelINS0_14default_configENS1_36segmented_radix_sort_config_selectorIilEEZNS1_25segmented_radix_sort_implIS3_Lb0EPKiPiPKlPlN2at6native12_GLOBAL__N_18offset_tEEE10hipError_tPvRmT1_PNSt15iterator_traitsISK_E10value_typeET2_T3_PNSL_ISQ_E10value_typeET4_jRbjT5_SW_jjP12ihipStream_tbEUlT_E_NS1_11comp_targetILNS1_3genE9ELNS1_11target_archE1100ELNS1_3gpuE3ELNS1_3repE0EEENS1_30default_config_static_selectorELNS0_4arch9wavefront6targetE0EEEvSK_
	.p2align	8
	.type	_ZN7rocprim17ROCPRIM_400000_NS6detail17trampoline_kernelINS0_14default_configENS1_36segmented_radix_sort_config_selectorIilEEZNS1_25segmented_radix_sort_implIS3_Lb0EPKiPiPKlPlN2at6native12_GLOBAL__N_18offset_tEEE10hipError_tPvRmT1_PNSt15iterator_traitsISK_E10value_typeET2_T3_PNSL_ISQ_E10value_typeET4_jRbjT5_SW_jjP12ihipStream_tbEUlT_E_NS1_11comp_targetILNS1_3genE9ELNS1_11target_archE1100ELNS1_3gpuE3ELNS1_3repE0EEENS1_30default_config_static_selectorELNS0_4arch9wavefront6targetE0EEEvSK_,@function
_ZN7rocprim17ROCPRIM_400000_NS6detail17trampoline_kernelINS0_14default_configENS1_36segmented_radix_sort_config_selectorIilEEZNS1_25segmented_radix_sort_implIS3_Lb0EPKiPiPKlPlN2at6native12_GLOBAL__N_18offset_tEEE10hipError_tPvRmT1_PNSt15iterator_traitsISK_E10value_typeET2_T3_PNSL_ISQ_E10value_typeET4_jRbjT5_SW_jjP12ihipStream_tbEUlT_E_NS1_11comp_targetILNS1_3genE9ELNS1_11target_archE1100ELNS1_3gpuE3ELNS1_3repE0EEENS1_30default_config_static_selectorELNS0_4arch9wavefront6targetE0EEEvSK_: ; @_ZN7rocprim17ROCPRIM_400000_NS6detail17trampoline_kernelINS0_14default_configENS1_36segmented_radix_sort_config_selectorIilEEZNS1_25segmented_radix_sort_implIS3_Lb0EPKiPiPKlPlN2at6native12_GLOBAL__N_18offset_tEEE10hipError_tPvRmT1_PNSt15iterator_traitsISK_E10value_typeET2_T3_PNSL_ISQ_E10value_typeET4_jRbjT5_SW_jjP12ihipStream_tbEUlT_E_NS1_11comp_targetILNS1_3genE9ELNS1_11target_archE1100ELNS1_3gpuE3ELNS1_3repE0EEENS1_30default_config_static_selectorELNS0_4arch9wavefront6targetE0EEEvSK_
; %bb.0:
	.section	.rodata,"a",@progbits
	.p2align	6, 0x0
	.amdhsa_kernel _ZN7rocprim17ROCPRIM_400000_NS6detail17trampoline_kernelINS0_14default_configENS1_36segmented_radix_sort_config_selectorIilEEZNS1_25segmented_radix_sort_implIS3_Lb0EPKiPiPKlPlN2at6native12_GLOBAL__N_18offset_tEEE10hipError_tPvRmT1_PNSt15iterator_traitsISK_E10value_typeET2_T3_PNSL_ISQ_E10value_typeET4_jRbjT5_SW_jjP12ihipStream_tbEUlT_E_NS1_11comp_targetILNS1_3genE9ELNS1_11target_archE1100ELNS1_3gpuE3ELNS1_3repE0EEENS1_30default_config_static_selectorELNS0_4arch9wavefront6targetE0EEEvSK_
		.amdhsa_group_segment_fixed_size 0
		.amdhsa_private_segment_fixed_size 0
		.amdhsa_kernarg_size 96
		.amdhsa_user_sgpr_count 2
		.amdhsa_user_sgpr_dispatch_ptr 0
		.amdhsa_user_sgpr_queue_ptr 0
		.amdhsa_user_sgpr_kernarg_segment_ptr 1
		.amdhsa_user_sgpr_dispatch_id 0
		.amdhsa_user_sgpr_kernarg_preload_length 0
		.amdhsa_user_sgpr_kernarg_preload_offset 0
		.amdhsa_user_sgpr_private_segment_size 0
		.amdhsa_wavefront_size32 1
		.amdhsa_uses_dynamic_stack 0
		.amdhsa_enable_private_segment 0
		.amdhsa_system_sgpr_workgroup_id_x 1
		.amdhsa_system_sgpr_workgroup_id_y 0
		.amdhsa_system_sgpr_workgroup_id_z 0
		.amdhsa_system_sgpr_workgroup_info 0
		.amdhsa_system_vgpr_workitem_id 0
		.amdhsa_next_free_vgpr 1
		.amdhsa_next_free_sgpr 1
		.amdhsa_named_barrier_count 0
		.amdhsa_reserve_vcc 0
		.amdhsa_float_round_mode_32 0
		.amdhsa_float_round_mode_16_64 0
		.amdhsa_float_denorm_mode_32 3
		.amdhsa_float_denorm_mode_16_64 3
		.amdhsa_fp16_overflow 0
		.amdhsa_memory_ordered 1
		.amdhsa_forward_progress 1
		.amdhsa_inst_pref_size 0
		.amdhsa_round_robin_scheduling 0
		.amdhsa_exception_fp_ieee_invalid_op 0
		.amdhsa_exception_fp_denorm_src 0
		.amdhsa_exception_fp_ieee_div_zero 0
		.amdhsa_exception_fp_ieee_overflow 0
		.amdhsa_exception_fp_ieee_underflow 0
		.amdhsa_exception_fp_ieee_inexact 0
		.amdhsa_exception_int_div_zero 0
	.end_amdhsa_kernel
	.section	.text._ZN7rocprim17ROCPRIM_400000_NS6detail17trampoline_kernelINS0_14default_configENS1_36segmented_radix_sort_config_selectorIilEEZNS1_25segmented_radix_sort_implIS3_Lb0EPKiPiPKlPlN2at6native12_GLOBAL__N_18offset_tEEE10hipError_tPvRmT1_PNSt15iterator_traitsISK_E10value_typeET2_T3_PNSL_ISQ_E10value_typeET4_jRbjT5_SW_jjP12ihipStream_tbEUlT_E_NS1_11comp_targetILNS1_3genE9ELNS1_11target_archE1100ELNS1_3gpuE3ELNS1_3repE0EEENS1_30default_config_static_selectorELNS0_4arch9wavefront6targetE0EEEvSK_,"axG",@progbits,_ZN7rocprim17ROCPRIM_400000_NS6detail17trampoline_kernelINS0_14default_configENS1_36segmented_radix_sort_config_selectorIilEEZNS1_25segmented_radix_sort_implIS3_Lb0EPKiPiPKlPlN2at6native12_GLOBAL__N_18offset_tEEE10hipError_tPvRmT1_PNSt15iterator_traitsISK_E10value_typeET2_T3_PNSL_ISQ_E10value_typeET4_jRbjT5_SW_jjP12ihipStream_tbEUlT_E_NS1_11comp_targetILNS1_3genE9ELNS1_11target_archE1100ELNS1_3gpuE3ELNS1_3repE0EEENS1_30default_config_static_selectorELNS0_4arch9wavefront6targetE0EEEvSK_,comdat
.Lfunc_end604:
	.size	_ZN7rocprim17ROCPRIM_400000_NS6detail17trampoline_kernelINS0_14default_configENS1_36segmented_radix_sort_config_selectorIilEEZNS1_25segmented_radix_sort_implIS3_Lb0EPKiPiPKlPlN2at6native12_GLOBAL__N_18offset_tEEE10hipError_tPvRmT1_PNSt15iterator_traitsISK_E10value_typeET2_T3_PNSL_ISQ_E10value_typeET4_jRbjT5_SW_jjP12ihipStream_tbEUlT_E_NS1_11comp_targetILNS1_3genE9ELNS1_11target_archE1100ELNS1_3gpuE3ELNS1_3repE0EEENS1_30default_config_static_selectorELNS0_4arch9wavefront6targetE0EEEvSK_, .Lfunc_end604-_ZN7rocprim17ROCPRIM_400000_NS6detail17trampoline_kernelINS0_14default_configENS1_36segmented_radix_sort_config_selectorIilEEZNS1_25segmented_radix_sort_implIS3_Lb0EPKiPiPKlPlN2at6native12_GLOBAL__N_18offset_tEEE10hipError_tPvRmT1_PNSt15iterator_traitsISK_E10value_typeET2_T3_PNSL_ISQ_E10value_typeET4_jRbjT5_SW_jjP12ihipStream_tbEUlT_E_NS1_11comp_targetILNS1_3genE9ELNS1_11target_archE1100ELNS1_3gpuE3ELNS1_3repE0EEENS1_30default_config_static_selectorELNS0_4arch9wavefront6targetE0EEEvSK_
                                        ; -- End function
	.set _ZN7rocprim17ROCPRIM_400000_NS6detail17trampoline_kernelINS0_14default_configENS1_36segmented_radix_sort_config_selectorIilEEZNS1_25segmented_radix_sort_implIS3_Lb0EPKiPiPKlPlN2at6native12_GLOBAL__N_18offset_tEEE10hipError_tPvRmT1_PNSt15iterator_traitsISK_E10value_typeET2_T3_PNSL_ISQ_E10value_typeET4_jRbjT5_SW_jjP12ihipStream_tbEUlT_E_NS1_11comp_targetILNS1_3genE9ELNS1_11target_archE1100ELNS1_3gpuE3ELNS1_3repE0EEENS1_30default_config_static_selectorELNS0_4arch9wavefront6targetE0EEEvSK_.num_vgpr, 0
	.set _ZN7rocprim17ROCPRIM_400000_NS6detail17trampoline_kernelINS0_14default_configENS1_36segmented_radix_sort_config_selectorIilEEZNS1_25segmented_radix_sort_implIS3_Lb0EPKiPiPKlPlN2at6native12_GLOBAL__N_18offset_tEEE10hipError_tPvRmT1_PNSt15iterator_traitsISK_E10value_typeET2_T3_PNSL_ISQ_E10value_typeET4_jRbjT5_SW_jjP12ihipStream_tbEUlT_E_NS1_11comp_targetILNS1_3genE9ELNS1_11target_archE1100ELNS1_3gpuE3ELNS1_3repE0EEENS1_30default_config_static_selectorELNS0_4arch9wavefront6targetE0EEEvSK_.num_agpr, 0
	.set _ZN7rocprim17ROCPRIM_400000_NS6detail17trampoline_kernelINS0_14default_configENS1_36segmented_radix_sort_config_selectorIilEEZNS1_25segmented_radix_sort_implIS3_Lb0EPKiPiPKlPlN2at6native12_GLOBAL__N_18offset_tEEE10hipError_tPvRmT1_PNSt15iterator_traitsISK_E10value_typeET2_T3_PNSL_ISQ_E10value_typeET4_jRbjT5_SW_jjP12ihipStream_tbEUlT_E_NS1_11comp_targetILNS1_3genE9ELNS1_11target_archE1100ELNS1_3gpuE3ELNS1_3repE0EEENS1_30default_config_static_selectorELNS0_4arch9wavefront6targetE0EEEvSK_.numbered_sgpr, 0
	.set _ZN7rocprim17ROCPRIM_400000_NS6detail17trampoline_kernelINS0_14default_configENS1_36segmented_radix_sort_config_selectorIilEEZNS1_25segmented_radix_sort_implIS3_Lb0EPKiPiPKlPlN2at6native12_GLOBAL__N_18offset_tEEE10hipError_tPvRmT1_PNSt15iterator_traitsISK_E10value_typeET2_T3_PNSL_ISQ_E10value_typeET4_jRbjT5_SW_jjP12ihipStream_tbEUlT_E_NS1_11comp_targetILNS1_3genE9ELNS1_11target_archE1100ELNS1_3gpuE3ELNS1_3repE0EEENS1_30default_config_static_selectorELNS0_4arch9wavefront6targetE0EEEvSK_.num_named_barrier, 0
	.set _ZN7rocprim17ROCPRIM_400000_NS6detail17trampoline_kernelINS0_14default_configENS1_36segmented_radix_sort_config_selectorIilEEZNS1_25segmented_radix_sort_implIS3_Lb0EPKiPiPKlPlN2at6native12_GLOBAL__N_18offset_tEEE10hipError_tPvRmT1_PNSt15iterator_traitsISK_E10value_typeET2_T3_PNSL_ISQ_E10value_typeET4_jRbjT5_SW_jjP12ihipStream_tbEUlT_E_NS1_11comp_targetILNS1_3genE9ELNS1_11target_archE1100ELNS1_3gpuE3ELNS1_3repE0EEENS1_30default_config_static_selectorELNS0_4arch9wavefront6targetE0EEEvSK_.private_seg_size, 0
	.set _ZN7rocprim17ROCPRIM_400000_NS6detail17trampoline_kernelINS0_14default_configENS1_36segmented_radix_sort_config_selectorIilEEZNS1_25segmented_radix_sort_implIS3_Lb0EPKiPiPKlPlN2at6native12_GLOBAL__N_18offset_tEEE10hipError_tPvRmT1_PNSt15iterator_traitsISK_E10value_typeET2_T3_PNSL_ISQ_E10value_typeET4_jRbjT5_SW_jjP12ihipStream_tbEUlT_E_NS1_11comp_targetILNS1_3genE9ELNS1_11target_archE1100ELNS1_3gpuE3ELNS1_3repE0EEENS1_30default_config_static_selectorELNS0_4arch9wavefront6targetE0EEEvSK_.uses_vcc, 0
	.set _ZN7rocprim17ROCPRIM_400000_NS6detail17trampoline_kernelINS0_14default_configENS1_36segmented_radix_sort_config_selectorIilEEZNS1_25segmented_radix_sort_implIS3_Lb0EPKiPiPKlPlN2at6native12_GLOBAL__N_18offset_tEEE10hipError_tPvRmT1_PNSt15iterator_traitsISK_E10value_typeET2_T3_PNSL_ISQ_E10value_typeET4_jRbjT5_SW_jjP12ihipStream_tbEUlT_E_NS1_11comp_targetILNS1_3genE9ELNS1_11target_archE1100ELNS1_3gpuE3ELNS1_3repE0EEENS1_30default_config_static_selectorELNS0_4arch9wavefront6targetE0EEEvSK_.uses_flat_scratch, 0
	.set _ZN7rocprim17ROCPRIM_400000_NS6detail17trampoline_kernelINS0_14default_configENS1_36segmented_radix_sort_config_selectorIilEEZNS1_25segmented_radix_sort_implIS3_Lb0EPKiPiPKlPlN2at6native12_GLOBAL__N_18offset_tEEE10hipError_tPvRmT1_PNSt15iterator_traitsISK_E10value_typeET2_T3_PNSL_ISQ_E10value_typeET4_jRbjT5_SW_jjP12ihipStream_tbEUlT_E_NS1_11comp_targetILNS1_3genE9ELNS1_11target_archE1100ELNS1_3gpuE3ELNS1_3repE0EEENS1_30default_config_static_selectorELNS0_4arch9wavefront6targetE0EEEvSK_.has_dyn_sized_stack, 0
	.set _ZN7rocprim17ROCPRIM_400000_NS6detail17trampoline_kernelINS0_14default_configENS1_36segmented_radix_sort_config_selectorIilEEZNS1_25segmented_radix_sort_implIS3_Lb0EPKiPiPKlPlN2at6native12_GLOBAL__N_18offset_tEEE10hipError_tPvRmT1_PNSt15iterator_traitsISK_E10value_typeET2_T3_PNSL_ISQ_E10value_typeET4_jRbjT5_SW_jjP12ihipStream_tbEUlT_E_NS1_11comp_targetILNS1_3genE9ELNS1_11target_archE1100ELNS1_3gpuE3ELNS1_3repE0EEENS1_30default_config_static_selectorELNS0_4arch9wavefront6targetE0EEEvSK_.has_recursion, 0
	.set _ZN7rocprim17ROCPRIM_400000_NS6detail17trampoline_kernelINS0_14default_configENS1_36segmented_radix_sort_config_selectorIilEEZNS1_25segmented_radix_sort_implIS3_Lb0EPKiPiPKlPlN2at6native12_GLOBAL__N_18offset_tEEE10hipError_tPvRmT1_PNSt15iterator_traitsISK_E10value_typeET2_T3_PNSL_ISQ_E10value_typeET4_jRbjT5_SW_jjP12ihipStream_tbEUlT_E_NS1_11comp_targetILNS1_3genE9ELNS1_11target_archE1100ELNS1_3gpuE3ELNS1_3repE0EEENS1_30default_config_static_selectorELNS0_4arch9wavefront6targetE0EEEvSK_.has_indirect_call, 0
	.section	.AMDGPU.csdata,"",@progbits
; Kernel info:
; codeLenInByte = 0
; TotalNumSgprs: 0
; NumVgprs: 0
; ScratchSize: 0
; MemoryBound: 0
; FloatMode: 240
; IeeeMode: 1
; LDSByteSize: 0 bytes/workgroup (compile time only)
; SGPRBlocks: 0
; VGPRBlocks: 0
; NumSGPRsForWavesPerEU: 1
; NumVGPRsForWavesPerEU: 1
; NamedBarCnt: 0
; Occupancy: 16
; WaveLimiterHint : 0
; COMPUTE_PGM_RSRC2:SCRATCH_EN: 0
; COMPUTE_PGM_RSRC2:USER_SGPR: 2
; COMPUTE_PGM_RSRC2:TRAP_HANDLER: 0
; COMPUTE_PGM_RSRC2:TGID_X_EN: 1
; COMPUTE_PGM_RSRC2:TGID_Y_EN: 0
; COMPUTE_PGM_RSRC2:TGID_Z_EN: 0
; COMPUTE_PGM_RSRC2:TIDIG_COMP_CNT: 0
	.section	.text._ZN7rocprim17ROCPRIM_400000_NS6detail17trampoline_kernelINS0_14default_configENS1_36segmented_radix_sort_config_selectorIilEEZNS1_25segmented_radix_sort_implIS3_Lb0EPKiPiPKlPlN2at6native12_GLOBAL__N_18offset_tEEE10hipError_tPvRmT1_PNSt15iterator_traitsISK_E10value_typeET2_T3_PNSL_ISQ_E10value_typeET4_jRbjT5_SW_jjP12ihipStream_tbEUlT_E_NS1_11comp_targetILNS1_3genE8ELNS1_11target_archE1030ELNS1_3gpuE2ELNS1_3repE0EEENS1_30default_config_static_selectorELNS0_4arch9wavefront6targetE0EEEvSK_,"axG",@progbits,_ZN7rocprim17ROCPRIM_400000_NS6detail17trampoline_kernelINS0_14default_configENS1_36segmented_radix_sort_config_selectorIilEEZNS1_25segmented_radix_sort_implIS3_Lb0EPKiPiPKlPlN2at6native12_GLOBAL__N_18offset_tEEE10hipError_tPvRmT1_PNSt15iterator_traitsISK_E10value_typeET2_T3_PNSL_ISQ_E10value_typeET4_jRbjT5_SW_jjP12ihipStream_tbEUlT_E_NS1_11comp_targetILNS1_3genE8ELNS1_11target_archE1030ELNS1_3gpuE2ELNS1_3repE0EEENS1_30default_config_static_selectorELNS0_4arch9wavefront6targetE0EEEvSK_,comdat
	.globl	_ZN7rocprim17ROCPRIM_400000_NS6detail17trampoline_kernelINS0_14default_configENS1_36segmented_radix_sort_config_selectorIilEEZNS1_25segmented_radix_sort_implIS3_Lb0EPKiPiPKlPlN2at6native12_GLOBAL__N_18offset_tEEE10hipError_tPvRmT1_PNSt15iterator_traitsISK_E10value_typeET2_T3_PNSL_ISQ_E10value_typeET4_jRbjT5_SW_jjP12ihipStream_tbEUlT_E_NS1_11comp_targetILNS1_3genE8ELNS1_11target_archE1030ELNS1_3gpuE2ELNS1_3repE0EEENS1_30default_config_static_selectorELNS0_4arch9wavefront6targetE0EEEvSK_ ; -- Begin function _ZN7rocprim17ROCPRIM_400000_NS6detail17trampoline_kernelINS0_14default_configENS1_36segmented_radix_sort_config_selectorIilEEZNS1_25segmented_radix_sort_implIS3_Lb0EPKiPiPKlPlN2at6native12_GLOBAL__N_18offset_tEEE10hipError_tPvRmT1_PNSt15iterator_traitsISK_E10value_typeET2_T3_PNSL_ISQ_E10value_typeET4_jRbjT5_SW_jjP12ihipStream_tbEUlT_E_NS1_11comp_targetILNS1_3genE8ELNS1_11target_archE1030ELNS1_3gpuE2ELNS1_3repE0EEENS1_30default_config_static_selectorELNS0_4arch9wavefront6targetE0EEEvSK_
	.p2align	8
	.type	_ZN7rocprim17ROCPRIM_400000_NS6detail17trampoline_kernelINS0_14default_configENS1_36segmented_radix_sort_config_selectorIilEEZNS1_25segmented_radix_sort_implIS3_Lb0EPKiPiPKlPlN2at6native12_GLOBAL__N_18offset_tEEE10hipError_tPvRmT1_PNSt15iterator_traitsISK_E10value_typeET2_T3_PNSL_ISQ_E10value_typeET4_jRbjT5_SW_jjP12ihipStream_tbEUlT_E_NS1_11comp_targetILNS1_3genE8ELNS1_11target_archE1030ELNS1_3gpuE2ELNS1_3repE0EEENS1_30default_config_static_selectorELNS0_4arch9wavefront6targetE0EEEvSK_,@function
_ZN7rocprim17ROCPRIM_400000_NS6detail17trampoline_kernelINS0_14default_configENS1_36segmented_radix_sort_config_selectorIilEEZNS1_25segmented_radix_sort_implIS3_Lb0EPKiPiPKlPlN2at6native12_GLOBAL__N_18offset_tEEE10hipError_tPvRmT1_PNSt15iterator_traitsISK_E10value_typeET2_T3_PNSL_ISQ_E10value_typeET4_jRbjT5_SW_jjP12ihipStream_tbEUlT_E_NS1_11comp_targetILNS1_3genE8ELNS1_11target_archE1030ELNS1_3gpuE2ELNS1_3repE0EEENS1_30default_config_static_selectorELNS0_4arch9wavefront6targetE0EEEvSK_: ; @_ZN7rocprim17ROCPRIM_400000_NS6detail17trampoline_kernelINS0_14default_configENS1_36segmented_radix_sort_config_selectorIilEEZNS1_25segmented_radix_sort_implIS3_Lb0EPKiPiPKlPlN2at6native12_GLOBAL__N_18offset_tEEE10hipError_tPvRmT1_PNSt15iterator_traitsISK_E10value_typeET2_T3_PNSL_ISQ_E10value_typeET4_jRbjT5_SW_jjP12ihipStream_tbEUlT_E_NS1_11comp_targetILNS1_3genE8ELNS1_11target_archE1030ELNS1_3gpuE2ELNS1_3repE0EEENS1_30default_config_static_selectorELNS0_4arch9wavefront6targetE0EEEvSK_
; %bb.0:
	.section	.rodata,"a",@progbits
	.p2align	6, 0x0
	.amdhsa_kernel _ZN7rocprim17ROCPRIM_400000_NS6detail17trampoline_kernelINS0_14default_configENS1_36segmented_radix_sort_config_selectorIilEEZNS1_25segmented_radix_sort_implIS3_Lb0EPKiPiPKlPlN2at6native12_GLOBAL__N_18offset_tEEE10hipError_tPvRmT1_PNSt15iterator_traitsISK_E10value_typeET2_T3_PNSL_ISQ_E10value_typeET4_jRbjT5_SW_jjP12ihipStream_tbEUlT_E_NS1_11comp_targetILNS1_3genE8ELNS1_11target_archE1030ELNS1_3gpuE2ELNS1_3repE0EEENS1_30default_config_static_selectorELNS0_4arch9wavefront6targetE0EEEvSK_
		.amdhsa_group_segment_fixed_size 0
		.amdhsa_private_segment_fixed_size 0
		.amdhsa_kernarg_size 96
		.amdhsa_user_sgpr_count 2
		.amdhsa_user_sgpr_dispatch_ptr 0
		.amdhsa_user_sgpr_queue_ptr 0
		.amdhsa_user_sgpr_kernarg_segment_ptr 1
		.amdhsa_user_sgpr_dispatch_id 0
		.amdhsa_user_sgpr_kernarg_preload_length 0
		.amdhsa_user_sgpr_kernarg_preload_offset 0
		.amdhsa_user_sgpr_private_segment_size 0
		.amdhsa_wavefront_size32 1
		.amdhsa_uses_dynamic_stack 0
		.amdhsa_enable_private_segment 0
		.amdhsa_system_sgpr_workgroup_id_x 1
		.amdhsa_system_sgpr_workgroup_id_y 0
		.amdhsa_system_sgpr_workgroup_id_z 0
		.amdhsa_system_sgpr_workgroup_info 0
		.amdhsa_system_vgpr_workitem_id 0
		.amdhsa_next_free_vgpr 1
		.amdhsa_next_free_sgpr 1
		.amdhsa_named_barrier_count 0
		.amdhsa_reserve_vcc 0
		.amdhsa_float_round_mode_32 0
		.amdhsa_float_round_mode_16_64 0
		.amdhsa_float_denorm_mode_32 3
		.amdhsa_float_denorm_mode_16_64 3
		.amdhsa_fp16_overflow 0
		.amdhsa_memory_ordered 1
		.amdhsa_forward_progress 1
		.amdhsa_inst_pref_size 0
		.amdhsa_round_robin_scheduling 0
		.amdhsa_exception_fp_ieee_invalid_op 0
		.amdhsa_exception_fp_denorm_src 0
		.amdhsa_exception_fp_ieee_div_zero 0
		.amdhsa_exception_fp_ieee_overflow 0
		.amdhsa_exception_fp_ieee_underflow 0
		.amdhsa_exception_fp_ieee_inexact 0
		.amdhsa_exception_int_div_zero 0
	.end_amdhsa_kernel
	.section	.text._ZN7rocprim17ROCPRIM_400000_NS6detail17trampoline_kernelINS0_14default_configENS1_36segmented_radix_sort_config_selectorIilEEZNS1_25segmented_radix_sort_implIS3_Lb0EPKiPiPKlPlN2at6native12_GLOBAL__N_18offset_tEEE10hipError_tPvRmT1_PNSt15iterator_traitsISK_E10value_typeET2_T3_PNSL_ISQ_E10value_typeET4_jRbjT5_SW_jjP12ihipStream_tbEUlT_E_NS1_11comp_targetILNS1_3genE8ELNS1_11target_archE1030ELNS1_3gpuE2ELNS1_3repE0EEENS1_30default_config_static_selectorELNS0_4arch9wavefront6targetE0EEEvSK_,"axG",@progbits,_ZN7rocprim17ROCPRIM_400000_NS6detail17trampoline_kernelINS0_14default_configENS1_36segmented_radix_sort_config_selectorIilEEZNS1_25segmented_radix_sort_implIS3_Lb0EPKiPiPKlPlN2at6native12_GLOBAL__N_18offset_tEEE10hipError_tPvRmT1_PNSt15iterator_traitsISK_E10value_typeET2_T3_PNSL_ISQ_E10value_typeET4_jRbjT5_SW_jjP12ihipStream_tbEUlT_E_NS1_11comp_targetILNS1_3genE8ELNS1_11target_archE1030ELNS1_3gpuE2ELNS1_3repE0EEENS1_30default_config_static_selectorELNS0_4arch9wavefront6targetE0EEEvSK_,comdat
.Lfunc_end605:
	.size	_ZN7rocprim17ROCPRIM_400000_NS6detail17trampoline_kernelINS0_14default_configENS1_36segmented_radix_sort_config_selectorIilEEZNS1_25segmented_radix_sort_implIS3_Lb0EPKiPiPKlPlN2at6native12_GLOBAL__N_18offset_tEEE10hipError_tPvRmT1_PNSt15iterator_traitsISK_E10value_typeET2_T3_PNSL_ISQ_E10value_typeET4_jRbjT5_SW_jjP12ihipStream_tbEUlT_E_NS1_11comp_targetILNS1_3genE8ELNS1_11target_archE1030ELNS1_3gpuE2ELNS1_3repE0EEENS1_30default_config_static_selectorELNS0_4arch9wavefront6targetE0EEEvSK_, .Lfunc_end605-_ZN7rocprim17ROCPRIM_400000_NS6detail17trampoline_kernelINS0_14default_configENS1_36segmented_radix_sort_config_selectorIilEEZNS1_25segmented_radix_sort_implIS3_Lb0EPKiPiPKlPlN2at6native12_GLOBAL__N_18offset_tEEE10hipError_tPvRmT1_PNSt15iterator_traitsISK_E10value_typeET2_T3_PNSL_ISQ_E10value_typeET4_jRbjT5_SW_jjP12ihipStream_tbEUlT_E_NS1_11comp_targetILNS1_3genE8ELNS1_11target_archE1030ELNS1_3gpuE2ELNS1_3repE0EEENS1_30default_config_static_selectorELNS0_4arch9wavefront6targetE0EEEvSK_
                                        ; -- End function
	.set _ZN7rocprim17ROCPRIM_400000_NS6detail17trampoline_kernelINS0_14default_configENS1_36segmented_radix_sort_config_selectorIilEEZNS1_25segmented_radix_sort_implIS3_Lb0EPKiPiPKlPlN2at6native12_GLOBAL__N_18offset_tEEE10hipError_tPvRmT1_PNSt15iterator_traitsISK_E10value_typeET2_T3_PNSL_ISQ_E10value_typeET4_jRbjT5_SW_jjP12ihipStream_tbEUlT_E_NS1_11comp_targetILNS1_3genE8ELNS1_11target_archE1030ELNS1_3gpuE2ELNS1_3repE0EEENS1_30default_config_static_selectorELNS0_4arch9wavefront6targetE0EEEvSK_.num_vgpr, 0
	.set _ZN7rocprim17ROCPRIM_400000_NS6detail17trampoline_kernelINS0_14default_configENS1_36segmented_radix_sort_config_selectorIilEEZNS1_25segmented_radix_sort_implIS3_Lb0EPKiPiPKlPlN2at6native12_GLOBAL__N_18offset_tEEE10hipError_tPvRmT1_PNSt15iterator_traitsISK_E10value_typeET2_T3_PNSL_ISQ_E10value_typeET4_jRbjT5_SW_jjP12ihipStream_tbEUlT_E_NS1_11comp_targetILNS1_3genE8ELNS1_11target_archE1030ELNS1_3gpuE2ELNS1_3repE0EEENS1_30default_config_static_selectorELNS0_4arch9wavefront6targetE0EEEvSK_.num_agpr, 0
	.set _ZN7rocprim17ROCPRIM_400000_NS6detail17trampoline_kernelINS0_14default_configENS1_36segmented_radix_sort_config_selectorIilEEZNS1_25segmented_radix_sort_implIS3_Lb0EPKiPiPKlPlN2at6native12_GLOBAL__N_18offset_tEEE10hipError_tPvRmT1_PNSt15iterator_traitsISK_E10value_typeET2_T3_PNSL_ISQ_E10value_typeET4_jRbjT5_SW_jjP12ihipStream_tbEUlT_E_NS1_11comp_targetILNS1_3genE8ELNS1_11target_archE1030ELNS1_3gpuE2ELNS1_3repE0EEENS1_30default_config_static_selectorELNS0_4arch9wavefront6targetE0EEEvSK_.numbered_sgpr, 0
	.set _ZN7rocprim17ROCPRIM_400000_NS6detail17trampoline_kernelINS0_14default_configENS1_36segmented_radix_sort_config_selectorIilEEZNS1_25segmented_radix_sort_implIS3_Lb0EPKiPiPKlPlN2at6native12_GLOBAL__N_18offset_tEEE10hipError_tPvRmT1_PNSt15iterator_traitsISK_E10value_typeET2_T3_PNSL_ISQ_E10value_typeET4_jRbjT5_SW_jjP12ihipStream_tbEUlT_E_NS1_11comp_targetILNS1_3genE8ELNS1_11target_archE1030ELNS1_3gpuE2ELNS1_3repE0EEENS1_30default_config_static_selectorELNS0_4arch9wavefront6targetE0EEEvSK_.num_named_barrier, 0
	.set _ZN7rocprim17ROCPRIM_400000_NS6detail17trampoline_kernelINS0_14default_configENS1_36segmented_radix_sort_config_selectorIilEEZNS1_25segmented_radix_sort_implIS3_Lb0EPKiPiPKlPlN2at6native12_GLOBAL__N_18offset_tEEE10hipError_tPvRmT1_PNSt15iterator_traitsISK_E10value_typeET2_T3_PNSL_ISQ_E10value_typeET4_jRbjT5_SW_jjP12ihipStream_tbEUlT_E_NS1_11comp_targetILNS1_3genE8ELNS1_11target_archE1030ELNS1_3gpuE2ELNS1_3repE0EEENS1_30default_config_static_selectorELNS0_4arch9wavefront6targetE0EEEvSK_.private_seg_size, 0
	.set _ZN7rocprim17ROCPRIM_400000_NS6detail17trampoline_kernelINS0_14default_configENS1_36segmented_radix_sort_config_selectorIilEEZNS1_25segmented_radix_sort_implIS3_Lb0EPKiPiPKlPlN2at6native12_GLOBAL__N_18offset_tEEE10hipError_tPvRmT1_PNSt15iterator_traitsISK_E10value_typeET2_T3_PNSL_ISQ_E10value_typeET4_jRbjT5_SW_jjP12ihipStream_tbEUlT_E_NS1_11comp_targetILNS1_3genE8ELNS1_11target_archE1030ELNS1_3gpuE2ELNS1_3repE0EEENS1_30default_config_static_selectorELNS0_4arch9wavefront6targetE0EEEvSK_.uses_vcc, 0
	.set _ZN7rocprim17ROCPRIM_400000_NS6detail17trampoline_kernelINS0_14default_configENS1_36segmented_radix_sort_config_selectorIilEEZNS1_25segmented_radix_sort_implIS3_Lb0EPKiPiPKlPlN2at6native12_GLOBAL__N_18offset_tEEE10hipError_tPvRmT1_PNSt15iterator_traitsISK_E10value_typeET2_T3_PNSL_ISQ_E10value_typeET4_jRbjT5_SW_jjP12ihipStream_tbEUlT_E_NS1_11comp_targetILNS1_3genE8ELNS1_11target_archE1030ELNS1_3gpuE2ELNS1_3repE0EEENS1_30default_config_static_selectorELNS0_4arch9wavefront6targetE0EEEvSK_.uses_flat_scratch, 0
	.set _ZN7rocprim17ROCPRIM_400000_NS6detail17trampoline_kernelINS0_14default_configENS1_36segmented_radix_sort_config_selectorIilEEZNS1_25segmented_radix_sort_implIS3_Lb0EPKiPiPKlPlN2at6native12_GLOBAL__N_18offset_tEEE10hipError_tPvRmT1_PNSt15iterator_traitsISK_E10value_typeET2_T3_PNSL_ISQ_E10value_typeET4_jRbjT5_SW_jjP12ihipStream_tbEUlT_E_NS1_11comp_targetILNS1_3genE8ELNS1_11target_archE1030ELNS1_3gpuE2ELNS1_3repE0EEENS1_30default_config_static_selectorELNS0_4arch9wavefront6targetE0EEEvSK_.has_dyn_sized_stack, 0
	.set _ZN7rocprim17ROCPRIM_400000_NS6detail17trampoline_kernelINS0_14default_configENS1_36segmented_radix_sort_config_selectorIilEEZNS1_25segmented_radix_sort_implIS3_Lb0EPKiPiPKlPlN2at6native12_GLOBAL__N_18offset_tEEE10hipError_tPvRmT1_PNSt15iterator_traitsISK_E10value_typeET2_T3_PNSL_ISQ_E10value_typeET4_jRbjT5_SW_jjP12ihipStream_tbEUlT_E_NS1_11comp_targetILNS1_3genE8ELNS1_11target_archE1030ELNS1_3gpuE2ELNS1_3repE0EEENS1_30default_config_static_selectorELNS0_4arch9wavefront6targetE0EEEvSK_.has_recursion, 0
	.set _ZN7rocprim17ROCPRIM_400000_NS6detail17trampoline_kernelINS0_14default_configENS1_36segmented_radix_sort_config_selectorIilEEZNS1_25segmented_radix_sort_implIS3_Lb0EPKiPiPKlPlN2at6native12_GLOBAL__N_18offset_tEEE10hipError_tPvRmT1_PNSt15iterator_traitsISK_E10value_typeET2_T3_PNSL_ISQ_E10value_typeET4_jRbjT5_SW_jjP12ihipStream_tbEUlT_E_NS1_11comp_targetILNS1_3genE8ELNS1_11target_archE1030ELNS1_3gpuE2ELNS1_3repE0EEENS1_30default_config_static_selectorELNS0_4arch9wavefront6targetE0EEEvSK_.has_indirect_call, 0
	.section	.AMDGPU.csdata,"",@progbits
; Kernel info:
; codeLenInByte = 0
; TotalNumSgprs: 0
; NumVgprs: 0
; ScratchSize: 0
; MemoryBound: 0
; FloatMode: 240
; IeeeMode: 1
; LDSByteSize: 0 bytes/workgroup (compile time only)
; SGPRBlocks: 0
; VGPRBlocks: 0
; NumSGPRsForWavesPerEU: 1
; NumVGPRsForWavesPerEU: 1
; NamedBarCnt: 0
; Occupancy: 16
; WaveLimiterHint : 0
; COMPUTE_PGM_RSRC2:SCRATCH_EN: 0
; COMPUTE_PGM_RSRC2:USER_SGPR: 2
; COMPUTE_PGM_RSRC2:TRAP_HANDLER: 0
; COMPUTE_PGM_RSRC2:TGID_X_EN: 1
; COMPUTE_PGM_RSRC2:TGID_Y_EN: 0
; COMPUTE_PGM_RSRC2:TGID_Z_EN: 0
; COMPUTE_PGM_RSRC2:TIDIG_COMP_CNT: 0
	.text
	.p2align	2                               ; -- Begin function _ZN7rocprim17ROCPRIM_400000_NS6detail26segmented_warp_sort_helperINS1_20WarpSortHelperConfigILj16ELj8ELj256EEEilLi256ELb0EvE4sortIPKiPiPKlPlEEvT_T0_T1_T2_jjjjRNS5_12storage_typeE
	.type	_ZN7rocprim17ROCPRIM_400000_NS6detail26segmented_warp_sort_helperINS1_20WarpSortHelperConfigILj16ELj8ELj256EEEilLi256ELb0EvE4sortIPKiPiPKlPlEEvT_T0_T1_T2_jjjjRNS5_12storage_typeE,@function
_ZN7rocprim17ROCPRIM_400000_NS6detail26segmented_warp_sort_helperINS1_20WarpSortHelperConfigILj16ELj8ELj256EEEilLi256ELb0EvE4sortIPKiPiPKlPlEEvT_T0_T1_T2_jjjjRNS5_12storage_typeE: ; @_ZN7rocprim17ROCPRIM_400000_NS6detail26segmented_warp_sort_helperINS1_20WarpSortHelperConfigILj16ELj8ELj256EEEilLi256ELb0EvE4sortIPKiPiPKlPlEEvT_T0_T1_T2_jjjjRNS5_12storage_typeE
; %bb.0:
	s_wait_loadcnt_dscnt 0x0
	s_wait_kmcnt 0x0
	v_mov_b32_e32 v12, v9
	v_mbcnt_lo_u32_b32 v9, -1, 0
	s_delay_alu instid0(VALU_DEP_1) | instskip(NEXT) | instid1(VALU_DEP_1)
	v_dual_lshlrev_b32 v50, 3, v9 :: v_dual_sub_nc_u32 v20, v12, v8
	v_and_b32_e32 v51, 0x78, v50
	v_mov_b32_e32 v9, 0
	s_delay_alu instid0(VALU_DEP_2) | instskip(NEXT) | instid1(VALU_DEP_2)
	v_cmp_lt_u32_e32 vcc_lo, v51, v20
	v_lshl_add_u64 v[14:15], v[8:9], 2, v[0:1]
	v_dual_mov_b32 v1, v9 :: v_dual_lshlrev_b32 v0, 2, v51
	s_delay_alu instid0(VALU_DEP_1)
	v_add_nc_u64_e32 v[12:13], v[14:15], v[0:1]
	v_bfrev_b32_e32 v15, -2
	v_bfrev_b32_e32 v14, -2
	s_and_saveexec_b32 s0, vcc_lo
	s_cbranch_execz .LBB606_2
; %bb.1:
	flat_load_b32 v14, v[12:13]
.LBB606_2:
	s_wait_xcnt 0x0
	s_or_b32 exec_lo, exec_lo, s0
	v_or_b32_e32 v1, 1, v51
	s_delay_alu instid0(VALU_DEP_1)
	v_cmp_lt_u32_e64 s0, v1, v20
	s_and_saveexec_b32 s1, s0
	s_cbranch_execz .LBB606_4
; %bb.3:
	flat_load_b32 v15, v[12:13] offset:4
.LBB606_4:
	s_wait_xcnt 0x0
	s_or_b32 exec_lo, exec_lo, s1
	v_or_b32_e32 v1, 2, v51
	v_bfrev_b32_e32 v25, -2
	v_bfrev_b32_e32 v24, -2
	s_delay_alu instid0(VALU_DEP_3)
	v_cmp_lt_u32_e64 s1, v1, v20
	s_and_saveexec_b32 s2, s1
	s_cbranch_execz .LBB606_6
; %bb.5:
	flat_load_b32 v24, v[12:13] offset:8
.LBB606_6:
	s_wait_xcnt 0x0
	s_or_b32 exec_lo, exec_lo, s2
	v_or_b32_e32 v1, 3, v51
	s_delay_alu instid0(VALU_DEP_1)
	v_cmp_lt_u32_e64 s2, v1, v20
	s_and_saveexec_b32 s3, s2
	s_cbranch_execz .LBB606_8
; %bb.7:
	flat_load_b32 v25, v[12:13] offset:12
.LBB606_8:
	s_wait_xcnt 0x0
	s_or_b32 exec_lo, exec_lo, s3
	v_or_b32_e32 v1, 4, v51
	v_bfrev_b32_e32 v19, -2
	v_bfrev_b32_e32 v18, -2
	s_delay_alu instid0(VALU_DEP_3)
	v_cmp_lt_u32_e64 s3, v1, v20
	s_and_saveexec_b32 s4, s3
	s_cbranch_execz .LBB606_10
; %bb.9:
	flat_load_b32 v18, v[12:13] offset:16
.LBB606_10:
	;; [unrolled: 22-line block ×3, first 2 shown]
	s_wait_xcnt 0x0
	s_or_b32 exec_lo, exec_lo, s6
	v_or_b32_e32 v1, 7, v51
	s_delay_alu instid0(VALU_DEP_1)
	v_cmp_lt_u32_e64 s6, v1, v20
	s_and_saveexec_b32 s7, s6
	s_cbranch_execz .LBB606_16
; %bb.15:
	flat_load_b32 v17, v[12:13] offset:28
.LBB606_16:
	s_wait_xcnt 0x0
	s_or_b32 exec_lo, exec_lo, s7
	v_lshl_add_u64 v[12:13], v[8:9], 3, v[4:5]
	v_dual_mov_b32 v5, 0 :: v_dual_lshlrev_b32 v4, 3, v51
	; wave barrier
	s_delay_alu instid0(VALU_DEP_1)
	v_add_nc_u64_e32 v[38:39], v[12:13], v[4:5]
                                        ; implicit-def: $vgpr12_vgpr13
	s_and_saveexec_b32 s7, vcc_lo
	s_cbranch_execnz .LBB606_239
; %bb.17:
	s_or_b32 exec_lo, exec_lo, s7
	s_and_saveexec_b32 s7, s0
                                        ; implicit-def: $vgpr22_vgpr23
	s_cbranch_execnz .LBB606_240
.LBB606_18:
	s_or_b32 exec_lo, exec_lo, s7
                                        ; implicit-def: $vgpr20_vgpr21
	s_and_saveexec_b32 s7, s1
	s_cbranch_execnz .LBB606_241
.LBB606_19:
	s_or_b32 exec_lo, exec_lo, s7
	s_and_saveexec_b32 s7, s2
                                        ; implicit-def: $vgpr28_vgpr29
	s_cbranch_execnz .LBB606_242
.LBB606_20:
	s_or_b32 exec_lo, exec_lo, s7
                                        ; implicit-def: $vgpr26_vgpr27
	s_and_saveexec_b32 s7, s3
	s_cbranch_execnz .LBB606_243
.LBB606_21:
	s_or_b32 exec_lo, exec_lo, s7
	s_and_saveexec_b32 s7, s4
                                        ; implicit-def: $vgpr36_vgpr37
	s_cbranch_execnz .LBB606_244
.LBB606_22:
	s_or_b32 exec_lo, exec_lo, s7
                                        ; implicit-def: $vgpr32_vgpr33
	s_and_saveexec_b32 s7, s5
	s_cbranch_execnz .LBB606_245
.LBB606_23:
	s_or_b32 exec_lo, exec_lo, s7
	s_and_saveexec_b32 s7, s6
                                        ; implicit-def: $vgpr34_vgpr35
	s_cbranch_execz .LBB606_25
.LBB606_24:
	flat_load_b64 v[34:35], v[38:39] offset:56
.LBB606_25:
	s_wait_xcnt 0x0
	s_or_b32 exec_lo, exec_lo, s7
	v_cmp_ne_u32_e64 s7, 0, v10
	v_cmp_ne_u32_e64 s10, 32, v11
	v_bfe_u32 v5, v31, 10, 10
	v_bfe_u32 v30, v31, 20, 10
	v_and_b32_e32 v1, 0x3ff, v31
	s_mov_b32 s11, 0
	s_or_b32 s7, s7, s10
	s_getreg_b32 s19, hwreg(HW_REG_IB_STS2, 6, 4)
	; wave barrier
	s_and_saveexec_b32 s10, s7
	s_delay_alu instid0(SALU_CYCLE_1)
	s_xor_b32 s20, exec_lo, s10
	s_cbranch_execz .LBB606_123
; %bb.26:
	s_load_b64 s[12:13], s[8:9], 0x0
	s_bfe_u32 s10, ttmp6, 0x4000c
	s_bfe_u32 s15, ttmp6, 0x40010
	s_and_b32 s14, ttmp7, 0xffff
	s_add_co_i32 s10, s10, 1
	s_add_co_i32 s15, s15, 1
	s_and_b32 s7, ttmp6, 15
	s_bfe_u32 s16, ttmp6, 0x40004
	s_mul_i32 s10, ttmp9, s10
	s_mul_i32 s15, s14, s15
	s_add_co_i32 s7, s7, s10
	s_add_co_i32 s16, s16, s15
	s_cmp_eq_u32 s19, 0
	v_lshlrev_b32_e64 v11, v11, -1
	s_cselect_b32 s7, ttmp9, s7
	s_cselect_b32 s14, s14, s16
	v_lshlrev_b32_e64 v10, v10, -1
	s_wait_kmcnt 0x0
	s_cmp_lt_u32 s7, s12
	s_cselect_b32 s10, 12, 18
	s_cmp_lt_u32 s14, s13
	s_mov_b32 s13, s11
	s_cselect_b32 s12, 14, 20
	s_add_nc_u64 s[10:11], s[8:9], s[10:11]
	s_add_nc_u64 s[12:13], s[8:9], s[12:13]
	s_clause 0x1
	s_load_u16 s10, s[10:11], 0x0
	s_nop 0
	s_load_u16 s7, s[12:13], 0x0
	s_wait_kmcnt 0x0
	v_mad_u32_u24 v5, v30, s7, v5
	s_delay_alu instid0(VALU_DEP_1) | instskip(SKIP_1) | instid1(VALU_DEP_1)
	v_mul_lo_u32 v5, v5, s10
	s_mov_b32 s10, exec_lo
	v_add_lshl_u32 v5, v5, v1, 3
	v_xor_b32_e32 v1, v11, v10
	s_wait_loadcnt_dscnt 0x0
	v_mov_b64_e32 v[10:11], v[18:19]
	s_delay_alu instid0(VALU_DEP_3)
	v_cmpx_gt_u32_e32 0x800, v5
	s_cbranch_execz .LBB606_82
; %bb.27:
	v_mov_b64_e32 v[30:31], v[22:23]
	v_dual_mov_b32 v48, v15 :: v_dual_bitop2_b32 v10, v15, v1 bitop3:0x40
	v_and_b32_e32 v11, v14, v1
	s_mov_b32 s11, exec_lo
	s_delay_alu instid0(VALU_DEP_1)
	v_cmpx_gt_u32_e64 v11, v10
; %bb.28:
	v_mov_b64_e32 v[30:31], v[12:13]
	v_mov_b64_e32 v[12:13], v[22:23]
	v_dual_mov_b32 v48, v14 :: v_dual_mov_b32 v14, v15
; %bb.29:
	s_or_b32 exec_lo, exec_lo, s11
	v_mov_b64_e32 v[38:39], v[28:29]
	v_dual_mov_b32 v49, v25 :: v_dual_bitop2_b32 v10, v25, v1 bitop3:0x40
	v_and_b32_e32 v11, v24, v1
	s_mov_b32 s11, exec_lo
	s_delay_alu instid0(VALU_DEP_1)
	v_cmpx_gt_u32_e64 v11, v10
; %bb.30:
	v_mov_b64_e32 v[38:39], v[20:21]
	v_mov_b64_e32 v[20:21], v[28:29]
	v_dual_mov_b32 v49, v24 :: v_dual_mov_b32 v24, v25
; %bb.31:
	s_or_b32 exec_lo, exec_lo, s11
	;; [unrolled: 12-line block ×4, first 2 shown]
	v_dual_mov_b32 v15, v24 :: v_dual_bitop2_b32 v16, v24, v1 bitop3:0x40
	v_and_b32_e32 v18, v48, v1
	v_mov_b64_e32 v[28:29], v[20:21]
	s_delay_alu instid0(VALU_DEP_2) | instskip(SKIP_1) | instid1(SALU_CYCLE_1)
	v_cmp_gt_u32_e64 s7, v18, v16
	s_and_saveexec_b32 s11, s7
	s_xor_b32 s7, exec_lo, s11
; %bb.36:
	v_mov_b64_e32 v[28:29], v[30:31]
	v_mov_b64_e32 v[30:31], v[20:21]
	v_dual_mov_b32 v15, v48 :: v_dual_mov_b32 v48, v24
; %bb.37:
	s_or_b32 exec_lo, exec_lo, s7
	v_mov_b64_e32 v[34:35], v[26:27]
	v_dual_mov_b32 v18, v49 :: v_dual_bitop2_b32 v16, v52, v1 bitop3:0x40
	v_and_b32_e32 v20, v49, v1
	s_mov_b32 s11, exec_lo
	s_delay_alu instid0(VALU_DEP_1)
	v_cmpx_gt_u32_e64 v20, v16
; %bb.38:
	v_mov_b64_e32 v[34:35], v[38:39]
	v_mov_b64_e32 v[38:39], v[26:27]
	v_dual_mov_b32 v18, v52 :: v_dual_mov_b32 v52, v49
; %bb.39:
	s_or_b32 exec_lo, exec_lo, s11
	v_mov_b64_e32 v[20:21], v[32:33]
	v_dual_mov_b32 v49, v19 :: v_dual_bitop2_b32 v16, v36, v1 bitop3:0x40
	v_and_b32_e32 v24, v19, v1
	s_mov_b32 s11, exec_lo
	s_delay_alu instid0(VALU_DEP_1)
	v_cmpx_gt_u32_e64 v24, v16
	;; [unrolled: 12-line block ×8, first 2 shown]
; %bb.52:
	v_mov_b64_e32 v[26:27], v[30:31]
	v_mov_b64_e32 v[30:31], v[34:35]
	v_dual_mov_b32 v10, v39 :: v_dual_mov_b32 v39, v53
; %bb.53:
	s_or_b32 exec_lo, exec_lo, s11
	v_and_b32_e32 v11, v38, v1
	v_and_b32_e32 v15, v49, v1
	v_mov_b64_e32 v[22:23], v[20:21]
	s_delay_alu instid0(VALU_DEP_2)
	v_cmp_gt_u32_e64 s7, v15, v11
	v_mov_b32_e32 v15, v49
	s_and_saveexec_b32 s11, s7
; %bb.54:
	v_mov_b64_e32 v[22:23], v[24:25]
	v_mov_b64_e32 v[24:25], v[20:21]
	v_dual_mov_b32 v15, v38 :: v_dual_mov_b32 v38, v49
; %bb.55:
	s_or_b32 exec_lo, exec_lo, s11
	v_mov_b64_e32 v[28:29], v[32:33]
	v_dual_mov_b32 v49, v16 :: v_dual_bitop2_b32 v11, v16, v1 bitop3:0x40
	v_and_b32_e32 v20, v14, v1
	s_mov_b32 s11, exec_lo
	s_delay_alu instid0(VALU_DEP_1)
	v_cmpx_gt_u32_e64 v20, v11
; %bb.56:
	v_mov_b64_e32 v[28:29], v[12:13]
	v_mov_b64_e32 v[12:13], v[32:33]
	v_dual_mov_b32 v49, v14 :: v_dual_mov_b32 v14, v16
; %bb.57:
	s_or_b32 exec_lo, exec_lo, s11
	v_mov_b64_e32 v[32:33], v[30:31]
	v_dual_mov_b32 v53, v10 :: v_dual_bitop2_b32 v11, v10, v1 bitop3:0x40
	v_and_b32_e32 v16, v48, v1
	s_mov_b32 s11, exec_lo
	s_delay_alu instid0(VALU_DEP_1)
	v_cmpx_gt_u32_e64 v16, v11
; %bb.58:
	v_mov_b64_e32 v[32:33], v[36:37]
	v_mov_b64_e32 v[36:37], v[30:31]
	v_dual_mov_b32 v53, v48 :: v_dual_mov_b32 v48, v10
; %bb.59:
	s_or_b32 exec_lo, exec_lo, s11
	v_mov_b64_e32 v[20:21], v[24:25]
	v_and_b32_e32 v10, v15, v1
	v_dual_mov_b32 v16, v39 :: v_dual_bitop2_b32 v11, v39, v1 bitop3:0x40
	s_mov_b32 s11, exec_lo
	s_delay_alu instid0(VALU_DEP_1)
	v_cmpx_gt_u32_e64 v11, v10
; %bb.60:
	v_mov_b64_e32 v[20:21], v[26:27]
	v_mov_b64_e32 v[26:27], v[24:25]
	v_dual_mov_b32 v16, v15 :: v_dual_mov_b32 v15, v39
; %bb.61:
	s_or_b32 exec_lo, exec_lo, s11
	v_mov_b64_e32 v[10:11], v[18:19]
	v_dual_mov_b32 v52, v38 :: v_dual_bitop2_b32 v24, v17, v1 bitop3:0x40
	v_and_b32_e32 v25, v38, v1
	s_mov_b32 s11, exec_lo
	s_delay_alu instid0(VALU_DEP_1)
	v_cmpx_gt_u32_e64 v25, v24
; %bb.62:
	v_mov_b64_e32 v[10:11], v[22:23]
	v_mov_b64_e32 v[22:23], v[18:19]
	v_dual_mov_b32 v52, v17 :: v_dual_mov_b32 v17, v38
; %bb.63:
	s_or_b32 exec_lo, exec_lo, s11
	v_mov_b64_e32 v[38:39], v[36:37]
	v_dual_mov_b32 v25, v48 :: v_dual_bitop2_b32 v18, v48, v1 bitop3:0x40
	v_and_b32_e32 v19, v49, v1
	;; [unrolled: 12-line block ×3, first 2 shown]
	s_mov_b32 s11, exec_lo
	s_delay_alu instid0(VALU_DEP_1)
	v_cmpx_gt_u32_e64 v24, v19
; %bb.66:
	v_mov_b64_e32 v[34:35], v[32:33]
	v_mov_b64_e32 v[32:33], v[26:27]
	v_dual_mov_b32 v18, v16 :: v_dual_mov_b32 v16, v53
; %bb.67:
	s_or_b32 exec_lo, exec_lo, s11
	v_and_b32_e32 v19, v52, v1
	v_and_b32_e32 v24, v15, v1
	v_mov_b64_e32 v[30:31], v[22:23]
	s_delay_alu instid0(VALU_DEP_2)
	v_cmp_gt_u32_e64 s7, v24, v19
	v_mov_b32_e32 v19, v15
	s_and_saveexec_b32 s11, s7
; %bb.68:
	v_mov_b64_e32 v[30:31], v[20:21]
	v_mov_b64_e32 v[20:21], v[22:23]
	v_dual_mov_b32 v19, v52 :: v_dual_mov_b32 v52, v15
; %bb.69:
	s_or_b32 exec_lo, exec_lo, s11
	v_dual_mov_b32 v15, v49 :: v_dual_bitop2_b32 v22, v49, v1 bitop3:0x40
	v_and_b32_e32 v23, v14, v1
	s_delay_alu instid0(VALU_DEP_1)
	v_cmp_gt_u32_e64 s7, v23, v22
	v_mov_b64_e32 v[22:23], v[28:29]
	s_and_saveexec_b32 s11, s7
; %bb.70:
	v_mov_b64_e32 v[22:23], v[12:13]
	v_mov_b64_e32 v[12:13], v[28:29]
	v_dual_mov_b32 v15, v14 :: v_dual_mov_b32 v14, v49
; %bb.71:
	s_or_b32 exec_lo, exec_lo, s11
	v_mov_b64_e32 v[28:29], v[32:33]
	v_dual_mov_b32 v36, v18 :: v_dual_bitop2_b32 v24, v18, v1 bitop3:0x40
	v_and_b32_e32 v26, v25, v1
	s_mov_b32 s11, exec_lo
	s_delay_alu instid0(VALU_DEP_1)
	v_cmpx_gt_u32_e64 v26, v24
; %bb.72:
	v_mov_b64_e32 v[28:29], v[38:39]
	v_mov_b64_e32 v[38:39], v[32:33]
	v_dual_mov_b32 v36, v25 :: v_dual_mov_b32 v25, v18
; %bb.73:
	s_or_b32 exec_lo, exec_lo, s11
	v_and_b32_e32 v18, v19, v1
	v_and_b32_e32 v24, v16, v1
	v_mov_b64_e32 v[48:49], v[20:21]
	s_delay_alu instid0(VALU_DEP_2)
	v_cmp_gt_u32_e64 s7, v24, v18
	v_mov_b32_e32 v18, v16
	s_and_saveexec_b32 s11, s7
; %bb.74:
	v_mov_b64_e32 v[48:49], v[34:35]
	v_mov_b64_e32 v[34:35], v[20:21]
	v_dual_mov_b32 v18, v19 :: v_dual_mov_b32 v19, v16
; %bb.75:
	s_or_b32 exec_lo, exec_lo, s11
	v_dual_mov_b32 v24, v25 :: v_dual_bitop2_b32 v16, v25, v1 bitop3:0x40
	v_and_b32_e32 v20, v15, v1
	s_delay_alu instid0(VALU_DEP_1)
	v_cmp_gt_u32_e64 s7, v20, v16
	v_mov_b64_e32 v[20:21], v[38:39]
	s_and_saveexec_b32 s11, s7
; %bb.76:
	v_mov_b64_e32 v[20:21], v[22:23]
	v_mov_b64_e32 v[22:23], v[38:39]
	v_dual_mov_b32 v24, v15 :: v_dual_mov_b32 v15, v25
; %bb.77:
	s_or_b32 exec_lo, exec_lo, s11
	v_dual_mov_b32 v25, v36 :: v_dual_bitop2_b32 v16, v18, v1 bitop3:0x40
	v_and_b32_e32 v26, v36, v1
	s_delay_alu instid0(VALU_DEP_1)
	v_cmp_gt_u32_e64 s7, v26, v16
	v_mov_b64_e32 v[26:27], v[34:35]
	s_and_saveexec_b32 s11, s7
; %bb.78:
	v_mov_b64_e32 v[26:27], v[28:29]
	v_mov_b64_e32 v[28:29], v[34:35]
	v_dual_mov_b32 v25, v18 :: v_dual_mov_b32 v18, v36
; %bb.79:
	s_or_b32 exec_lo, exec_lo, s11
	v_and_b32_e32 v16, v17, v1
	v_and_b32_e32 v32, v52, v1
	v_mov_b64_e32 v[36:37], v[48:49]
	s_mov_b32 s11, exec_lo
	s_delay_alu instid0(VALU_DEP_2) | instskip(NEXT) | instid1(VALU_DEP_1)
	v_cmp_gt_u32_e64 s7, v32, v16
	v_dual_cndmask_b32 v32, v30, v10, s7 :: v_dual_bitop2_b32 v38, v19, v1 bitop3:0x40
	v_dual_cndmask_b32 v16, v52, v17, s7 :: v_dual_cndmask_b32 v33, v31, v11, s7
	v_dual_cndmask_b32 v35, v11, v31, s7 :: v_dual_cndmask_b32 v34, v10, v30, s7
	v_mov_b64_e32 v[10:11], v[18:19]
	s_delay_alu instid0(VALU_DEP_3) | instskip(NEXT) | instid1(VALU_DEP_1)
	v_dual_cndmask_b32 v17, v17, v52, s7 :: v_dual_bitop2_b32 v39, v16, v1 bitop3:0x40
	v_cmpx_gt_u32_e64 v38, v39
; %bb.80:
	v_dual_mov_b32 v30, v16 :: v_dual_mov_b32 v10, v18
	v_mov_b64_e32 v[36:37], v[32:33]
	v_mov_b64_e32 v[32:33], v[48:49]
	v_dual_mov_b32 v11, v16 :: v_dual_mov_b32 v16, v19
	s_delay_alu instid0(VALU_DEP_4)
	v_mov_b32_e32 v19, v30
; %bb.81:
	s_or_b32 exec_lo, exec_lo, s11
.LBB606_82:
	s_delay_alu instid0(SALU_CYCLE_1) | instskip(SKIP_4) | instid1(VALU_DEP_3)
	s_or_b32 exec_lo, exec_lo, s10
	v_and_b32_e32 v30, 0xffffff00, v5
	v_or_b32_e32 v31, 8, v50
	v_and_b32_e32 v64, 0xf0, v50
	s_mov_b32 s10, exec_lo
	v_sub_nc_u32_e64 v38, 0x800, v30 clamp
	s_delay_alu instid0(VALU_DEP_1) | instskip(NEXT) | instid1(VALU_DEP_1)
	v_min_u32_e32 v53, v38, v31
	v_dual_sub_nc_u32 v66, v53, v64 :: v_dual_bitop2_b32 v39, 8, v50 bitop3:0x40
	v_add_min_u32_e64 v54, v53, 8, v38
	v_lshlrev_b32_e32 v5, 2, v30
	s_delay_alu instid0(VALU_DEP_3) | instskip(NEXT) | instid1(VALU_DEP_3)
	v_min_u32_e32 v65, v38, v39
	v_sub_nc_u32_e32 v55, v54, v53
	s_delay_alu instid0(VALU_DEP_3) | instskip(SKIP_1) | instid1(VALU_DEP_4)
	v_add_nc_u32_e32 v30, v5, v5
	v_lshl_or_b32 v31, v50, 2, v5
	v_min_u32_e32 v66, v65, v66
	s_delay_alu instid0(VALU_DEP_4) | instskip(NEXT) | instid1(VALU_DEP_4)
	v_sub_nc_u32_e64 v55, v65, v55 clamp
	v_lshl_add_u32 v52, v50, 3, v30
	s_delay_alu instid0(VALU_DEP_1)
	v_add_nc_u32_e32 v39, 0x2000, v52
	v_add_nc_u32_e32 v48, 0x2010, v52
	;; [unrolled: 1-line block ×3, first 2 shown]
	ds_store_2addr_b64 v39, v[12:13], v[22:23] offset1:1
	ds_store_2addr_b64 v48, v[20:21], v[28:29] offset1:1
	v_add_nc_u32_e32 v52, 0x2030, v52
	ds_store_2addr_b64 v31, v[14:15], v[24:25] offset1:1
	ds_store_2addr_b64 v31, v[10:11], v[16:17] offset0:2 offset1:3
	v_lshl_or_b32 v11, v64, 2, v5
	ds_store_2addr_b64 v49, v[26:27], v[36:37] offset1:1
	ds_store_2addr_b64 v52, v[32:33], v[34:35] offset1:1
	; wave barrier
	v_cmpx_lt_u32_e64 v55, v66
	s_cbranch_execz .LBB606_86
; %bb.83:
	v_lshlrev_b32_e32 v10, 2, v53
	v_lshlrev_b32_e32 v67, 2, v65
	s_mov_b32 s11, 0
	s_delay_alu instid0(VALU_DEP_1)
	v_add3_u32 v10, v5, v10, v67
.LBB606_84:                             ; =>This Inner Loop Header: Depth=1
	v_add_nc_u32_e32 v67, v66, v55
	s_delay_alu instid0(VALU_DEP_1) | instskip(NEXT) | instid1(VALU_DEP_1)
	v_lshrrev_b32_e32 v67, 1, v67
	v_not_b32_e32 v68, v67
	v_lshl_add_u32 v69, v67, 2, v11
	s_delay_alu instid0(VALU_DEP_2)
	v_lshl_add_u32 v68, v68, 2, v10
	ds_load_b32 v69, v69
	ds_load_b32 v68, v68
	s_wait_dscnt 0x1
	v_and_b32_e32 v69, v69, v1
	s_wait_dscnt 0x0
	v_and_b32_e32 v68, v68, v1
	s_delay_alu instid0(VALU_DEP_1) | instskip(NEXT) | instid1(VALU_DEP_1)
	v_cmp_gt_u32_e64 s7, v69, v68
	v_dual_add_nc_u32 v70, 1, v67 :: v_dual_cndmask_b32 v66, v66, v67, s7
	s_delay_alu instid0(VALU_DEP_1) | instskip(NEXT) | instid1(VALU_DEP_1)
	v_cndmask_b32_e64 v55, v70, v55, s7
	v_cmp_ge_u32_e64 s7, v55, v66
	s_or_b32 s11, s7, s11
	s_delay_alu instid0(SALU_CYCLE_1)
	s_and_not1_b32 exec_lo, exec_lo, s11
	s_cbranch_execnz .LBB606_84
; %bb.85:
	s_or_b32 exec_lo, exec_lo, s11
.LBB606_86:
	s_delay_alu instid0(SALU_CYCLE_1) | instskip(SKIP_1) | instid1(VALU_DEP_1)
	s_or_b32 exec_lo, exec_lo, s10
	v_dual_add_nc_u32 v10, v53, v65 :: v_dual_add_nc_u32 v65, v55, v64
	v_sub_nc_u32_e32 v64, v10, v55
	s_delay_alu instid0(VALU_DEP_2) | instskip(NEXT) | instid1(VALU_DEP_2)
	v_cmp_le_u32_e64 s7, v65, v53
	v_cmp_le_u32_e64 s10, v64, v54
	s_or_b32 s7, s7, s10
	s_delay_alu instid0(SALU_CYCLE_1)
	s_and_saveexec_b32 s21, s7
	s_cbranch_execz .LBB606_92
; %bb.87:
	v_cmp_lt_u32_e64 s7, v65, v53
                                        ; implicit-def: $vgpr10
	s_and_saveexec_b32 s10, s7
; %bb.88:
	v_lshl_add_u32 v10, v55, 2, v11
	ds_load_b32 v10, v10
; %bb.89:
	s_or_b32 exec_lo, exec_lo, s10
	v_cmp_ge_u32_e64 s10, v64, v54
	s_mov_b32 s12, exec_lo
                                        ; implicit-def: $vgpr11
	v_cmpx_lt_u32_e64 v64, v54
; %bb.90:
	v_lshl_add_u32 v11, v64, 2, v5
	ds_load_b32 v11, v11
; %bb.91:
	s_or_b32 exec_lo, exec_lo, s12
	s_wait_dscnt 0x0
	v_and_b32_e32 v12, v11, v1
	v_and_b32_e32 v13, v10, v1
	s_delay_alu instid0(VALU_DEP_1) | instskip(SKIP_1) | instid1(SALU_CYCLE_1)
	v_cmp_le_u32_e64 s11, v13, v12
	s_and_b32 s7, s7, s11
	s_or_b32 s7, s10, s7
	s_delay_alu instid0(SALU_CYCLE_1) | instskip(NEXT) | instid1(VALU_DEP_1)
	v_cndmask_b32_e64 v12, v64, v65, s7
	v_dual_cndmask_b32 v13, v54, v53, s7 :: v_dual_add_nc_u32 v14, 1, v12
	s_delay_alu instid0(VALU_DEP_1) | instskip(NEXT) | instid1(VALU_DEP_1)
	v_add_min_u32_e64 v13, v13, -1, v14
	v_lshl_add_u32 v13, v13, 2, v5
	ds_load_b32 v13, v13
	s_wait_dscnt 0x0
	v_dual_cndmask_b32 v15, v13, v11, s7 :: v_dual_cndmask_b32 v16, v10, v13, s7
	v_cndmask_b32_e64 v13, v65, v14, s7
	v_lshl_add_u32 v12, v12, 3, v30
	s_delay_alu instid0(VALU_DEP_3) | instskip(NEXT) | instid1(VALU_DEP_4)
	v_dual_cndmask_b32 v14, v14, v64, s7 :: v_dual_bitop2_b32 v17, v15, v1 bitop3:0x40
	v_and_b32_e32 v18, v16, v1
	s_delay_alu instid0(VALU_DEP_4) | instskip(NEXT) | instid1(VALU_DEP_3)
	v_cmp_lt_u32_e64 s10, v13, v53
	v_cmp_ge_u32_e64 s12, v14, v54
	s_delay_alu instid0(VALU_DEP_3) | instskip(SKIP_1) | instid1(SALU_CYCLE_1)
	v_cmp_le_u32_e64 s11, v18, v17
	s_and_b32 s10, s10, s11
	s_or_b32 s10, s12, s10
	s_delay_alu instid0(SALU_CYCLE_1) | instskip(SKIP_1) | instid1(VALU_DEP_2)
	v_cndmask_b32_e64 v17, v14, v13, s10
	v_cndmask_b32_e64 v18, v54, v53, s10
	v_add_nc_u32_e32 v19, 1, v17
	s_delay_alu instid0(VALU_DEP_1) | instskip(NEXT) | instid1(VALU_DEP_1)
	v_add_min_u32_e64 v18, v18, -1, v19
	v_lshl_add_u32 v18, v18, 2, v5
	ds_load_b32 v18, v18
	s_wait_dscnt 0x0
	v_cndmask_b32_e64 v24, v18, v15, s10
	v_dual_cndmask_b32 v13, v13, v19, s10 :: v_dual_cndmask_b32 v18, v16, v18, s10
	v_cndmask_b32_e64 v14, v19, v14, s10
	v_lshl_add_u32 v17, v17, 3, v30
	s_delay_alu instid0(VALU_DEP_4) | instskip(NEXT) | instid1(VALU_DEP_4)
	v_and_b32_e32 v20, v24, v1
	v_cmp_lt_u32_e64 s11, v13, v53
	v_and_b32_e32 v21, v18, v1
	v_cmp_ge_u32_e64 s13, v14, v54
	v_cndmask_b32_e64 v15, v15, v16, s10
	s_delay_alu instid0(VALU_DEP_3) | instskip(SKIP_1) | instid1(SALU_CYCLE_1)
	v_cmp_le_u32_e64 s12, v21, v20
	s_and_b32 s11, s11, s12
	s_or_b32 s11, s13, s11
	s_delay_alu instid0(SALU_CYCLE_1) | instskip(NEXT) | instid1(VALU_DEP_1)
	v_cndmask_b32_e64 v19, v14, v13, s11
	v_dual_cndmask_b32 v20, v54, v53, s11 :: v_dual_add_nc_u32 v21, 1, v19
	s_delay_alu instid0(VALU_DEP_1) | instskip(SKIP_3) | instid1(VALU_DEP_4)
	v_add_min_u32_e64 v20, v20, -1, v21
	v_cndmask_b32_e64 v13, v13, v21, s11
	v_cndmask_b32_e64 v14, v21, v14, s11
	v_lshl_add_u32 v19, v19, 3, v30
	v_lshl_add_u32 v20, v20, 2, v5
	s_delay_alu instid0(VALU_DEP_4) | instskip(NEXT) | instid1(VALU_DEP_4)
	v_cmp_lt_u32_e64 s12, v13, v53
	v_cmp_ge_u32_e64 s14, v14, v54
	ds_load_b32 v20, v20
	s_wait_dscnt 0x0
	v_cndmask_b32_e64 v25, v20, v24, s11
	v_dual_cndmask_b32 v55, v18, v20, s11 :: v_dual_cndmask_b32 v24, v24, v18, s11
	s_delay_alu instid0(VALU_DEP_2) | instskip(NEXT) | instid1(VALU_DEP_2)
	v_and_b32_e32 v20, v25, v1
	v_and_b32_e32 v22, v55, v1
	s_delay_alu instid0(VALU_DEP_1) | instskip(SKIP_1) | instid1(SALU_CYCLE_1)
	v_cmp_le_u32_e64 s13, v22, v20
	s_and_b32 s12, s12, s13
	s_or_b32 s12, s14, s12
	s_delay_alu instid0(SALU_CYCLE_1) | instskip(NEXT) | instid1(VALU_DEP_1)
	v_cndmask_b32_e64 v26, v14, v13, s12
	v_add_nc_u32_e32 v21, 1, v26
	s_delay_alu instid0(VALU_DEP_1) | instskip(NEXT) | instid1(VALU_DEP_1)
	v_dual_cndmask_b32 v14, v21, v14, s12 :: v_dual_cndmask_b32 v20, v54, v53, s12
	v_cmp_ge_u32_e64 s15, v14, v54
	s_delay_alu instid0(VALU_DEP_2) | instskip(NEXT) | instid1(VALU_DEP_1)
	v_add_min_u32_e64 v20, v20, -1, v21
	v_lshl_add_u32 v20, v20, 2, v5
	ds_load_b32 v20, v20
	s_wait_dscnt 0x0
	v_dual_cndmask_b32 v65, v55, v20, s12 :: v_dual_cndmask_b32 v64, v20, v25, s12
	v_cndmask_b32_e64 v13, v13, v21, s12
	v_cndmask_b32_e64 v25, v25, v55, s12
	s_delay_alu instid0(VALU_DEP_3) | instskip(NEXT) | instid1(VALU_DEP_4)
	v_and_b32_e32 v22, v65, v1
	v_and_b32_e32 v20, v64, v1
	s_delay_alu instid0(VALU_DEP_4) | instskip(NEXT) | instid1(VALU_DEP_2)
	v_cmp_lt_u32_e64 s13, v13, v53
	v_cmp_le_u32_e64 s14, v22, v20
	s_and_b32 s13, s13, s14
	s_delay_alu instid0(SALU_CYCLE_1) | instskip(NEXT) | instid1(SALU_CYCLE_1)
	s_or_b32 s13, s15, s13
	v_cndmask_b32_e64 v27, v14, v13, s13
	s_delay_alu instid0(VALU_DEP_1) | instskip(NEXT) | instid1(VALU_DEP_1)
	v_add_nc_u32_e32 v21, 1, v27
	v_dual_cndmask_b32 v14, v21, v14, s13 :: v_dual_cndmask_b32 v20, v54, v53, s13
	s_delay_alu instid0(VALU_DEP_1) | instskip(NEXT) | instid1(VALU_DEP_2)
	v_cmp_ge_u32_e64 s16, v14, v54
	v_add_min_u32_e64 v20, v20, -1, v21
	s_delay_alu instid0(VALU_DEP_1)
	v_lshl_add_u32 v20, v20, 2, v5
	ds_load_b32 v20, v20
	s_wait_dscnt 0x0
	v_cndmask_b32_e64 v67, v65, v20, s13
	v_dual_cndmask_b32 v66, v20, v64, s13 :: v_dual_cndmask_b32 v13, v13, v21, s13
	v_cndmask_b32_e64 v18, v64, v65, s13
	s_delay_alu instid0(VALU_DEP_3) | instskip(NEXT) | instid1(VALU_DEP_3)
	v_and_b32_e32 v22, v67, v1
	v_and_b32_e32 v20, v66, v1
	s_delay_alu instid0(VALU_DEP_4) | instskip(NEXT) | instid1(VALU_DEP_2)
	v_cmp_lt_u32_e64 s14, v13, v53
	v_cmp_le_u32_e64 s15, v22, v20
	s_and_b32 s14, s14, s15
	s_delay_alu instid0(SALU_CYCLE_1) | instskip(NEXT) | instid1(SALU_CYCLE_1)
	s_or_b32 s14, s16, s14
	v_cndmask_b32_e64 v28, v14, v13, s14
	s_delay_alu instid0(VALU_DEP_1) | instskip(NEXT) | instid1(VALU_DEP_1)
	v_dual_cndmask_b32 v20, v54, v53, s14 :: v_dual_add_nc_u32 v21, 1, v28
	v_add_min_u32_e64 v20, v20, -1, v21
	v_cndmask_b32_e64 v14, v21, v14, s14
	s_delay_alu instid0(VALU_DEP_2) | instskip(NEXT) | instid1(VALU_DEP_2)
	v_lshl_add_u32 v20, v20, 2, v5
	v_cmp_ge_u32_e64 s17, v14, v54
	ds_load_b32 v20, v20
	s_wait_dscnt 0x0
	v_dual_cndmask_b32 v68, v20, v66, s14 :: v_dual_cndmask_b32 v69, v67, v20, s14
	v_cndmask_b32_e64 v13, v13, v21, s14
	s_delay_alu instid0(VALU_DEP_2) | instskip(NEXT) | instid1(VALU_DEP_3)
	v_and_b32_e32 v20, v68, v1
	v_and_b32_e32 v22, v69, v1
	s_delay_alu instid0(VALU_DEP_3) | instskip(NEXT) | instid1(VALU_DEP_2)
	v_cmp_lt_u32_e64 s15, v13, v53
	v_cmp_le_u32_e64 s16, v22, v20
	s_and_b32 s15, s15, s16
	s_delay_alu instid0(SALU_CYCLE_1) | instskip(NEXT) | instid1(SALU_CYCLE_1)
	s_or_b32 s15, s17, s15
	v_cndmask_b32_e64 v29, v14, v13, s15
	v_cndmask_b32_e64 v20, v54, v53, s15
	;; [unrolled: 1-line block ×3, first 2 shown]
	s_delay_alu instid0(VALU_DEP_3) | instskip(SKIP_1) | instid1(VALU_DEP_2)
	v_add_nc_u32_e32 v21, 1, v29
	v_lshl_add_u32 v33, v29, 3, v30
	v_add_min_u32_e64 v20, v20, -1, v21
	v_cndmask_b32_e64 v14, v21, v14, s15
	s_delay_alu instid0(VALU_DEP_2) | instskip(NEXT) | instid1(VALU_DEP_2)
	v_lshl_add_u32 v20, v20, 2, v5
	v_cmp_ge_u32_e64 s18, v14, v54
	ds_load_b32 v20, v20
	s_wait_dscnt 0x0
	v_cndmask_b32_e64 v70, v20, v68, s15
	v_cndmask_b32_e64 v71, v69, v20, s15
	;; [unrolled: 1-line block ×3, first 2 shown]
	s_delay_alu instid0(VALU_DEP_3) | instskip(NEXT) | instid1(VALU_DEP_3)
	v_and_b32_e32 v13, v70, v1
	v_and_b32_e32 v20, v71, v1
	s_delay_alu instid0(VALU_DEP_3) | instskip(NEXT) | instid1(VALU_DEP_2)
	v_cmp_lt_u32_e64 s16, v32, v53
	v_cmp_le_u32_e64 s17, v20, v13
	ds_load_b64 v[12:13], v12 offset:8192
	ds_load_b64 v[22:23], v17 offset:8192
	v_lshl_add_u32 v17, v26, 3, v30
	ds_load_b64 v[20:21], v19 offset:8192
	v_lshl_add_u32 v19, v27, 3, v30
	s_and_b32 s16, s16, s17
	s_delay_alu instid0(SALU_CYCLE_1) | instskip(NEXT) | instid1(SALU_CYCLE_1)
	s_or_b32 s16, s18, s16
	v_cndmask_b32_e64 v14, v14, v32, s16
	v_lshl_add_u32 v32, v28, 3, v30
	s_delay_alu instid0(VALU_DEP_2)
	v_lshl_add_u32 v14, v14, 3, v30
	ds_load_b64 v[28:29], v17 offset:8192
	ds_load_b64 v[26:27], v19 offset:8192
	;; [unrolled: 1-line block ×5, first 2 shown]
	v_dual_cndmask_b32 v14, v11, v10, s7 :: v_dual_cndmask_b32 v19, v66, v67, s14
	v_cndmask_b32_e64 v17, v70, v71, s16
.LBB606_92:
	s_or_b32 exec_lo, exec_lo, s21
	v_and_b32_e32 v55, 0xe0, v50
	s_delay_alu instid0(VALU_DEP_2) | instskip(SKIP_1) | instid1(VALU_DEP_2)
	v_dual_mov_b32 v67, v17 :: v_dual_bitop2_b32 v53, 24, v50 bitop3:0x40
	s_mov_b32 s10, exec_lo
	v_dual_mov_b32 v66, v16 :: v_dual_bitop2_b32 v10, 16, v55 bitop3:0x54
	s_delay_alu instid0(VALU_DEP_2)
	v_min_u32_e32 v64, v38, v53
	; wave barrier
	s_wait_dscnt 0x6
	ds_store_2addr_b64 v39, v[12:13], v[22:23] offset1:1
	s_wait_dscnt 0x5
	ds_store_2addr_b64 v48, v[20:21], v[28:29] offset1:1
	ds_store_2addr_b64 v31, v[14:15], v[24:25] offset1:1
	ds_store_2addr_b64 v31, v[18:19], v[66:67] offset0:2 offset1:3
	v_min_u32_e32 v10, v38, v10
	s_wait_dscnt 0x6
	ds_store_2addr_b64 v49, v[26:27], v[36:37] offset1:1
	s_wait_dscnt 0x5
	ds_store_2addr_b64 v52, v[32:33], v[34:35] offset1:1
	; wave barrier
	v_add_min_u32_e64 v11, v10, 16, v38
	s_delay_alu instid0(VALU_DEP_1) | instskip(NEXT) | instid1(VALU_DEP_1)
	v_dual_sub_nc_u32 v53, v10, v55 :: v_dual_sub_nc_u32 v54, v11, v10
	v_min_u32_e32 v65, v64, v53
	s_delay_alu instid0(VALU_DEP_2) | instskip(SKIP_1) | instid1(VALU_DEP_2)
	v_sub_nc_u32_e64 v53, v64, v54 clamp
	v_lshl_add_u32 v54, v55, 2, v5
	v_cmpx_lt_u32_e64 v53, v65
	s_cbranch_execz .LBB606_96
; %bb.93:
	v_dual_lshlrev_b32 v66, 2, v10 :: v_dual_lshlrev_b32 v67, 2, v64
	s_mov_b32 s11, 0
	s_delay_alu instid0(VALU_DEP_1)
	v_add3_u32 v66, v5, v66, v67
.LBB606_94:                             ; =>This Inner Loop Header: Depth=1
	v_add_nc_u32_e32 v67, v65, v53
	s_delay_alu instid0(VALU_DEP_1) | instskip(NEXT) | instid1(VALU_DEP_1)
	v_lshrrev_b32_e32 v67, 1, v67
	v_not_b32_e32 v68, v67
	v_lshl_add_u32 v69, v67, 2, v54
	s_delay_alu instid0(VALU_DEP_2)
	v_lshl_add_u32 v68, v68, 2, v66
	ds_load_b32 v69, v69
	ds_load_b32 v68, v68
	s_wait_dscnt 0x1
	v_and_b32_e32 v69, v69, v1
	s_wait_dscnt 0x0
	v_dual_add_nc_u32 v70, 1, v67 :: v_dual_bitop2_b32 v68, v68, v1 bitop3:0x40
	s_delay_alu instid0(VALU_DEP_1) | instskip(NEXT) | instid1(VALU_DEP_1)
	v_cmp_gt_u32_e64 s7, v69, v68
	v_dual_cndmask_b32 v65, v65, v67, s7 :: v_dual_cndmask_b32 v53, v70, v53, s7
	s_delay_alu instid0(VALU_DEP_1) | instskip(SKIP_1) | instid1(SALU_CYCLE_1)
	v_cmp_ge_u32_e64 s7, v53, v65
	s_or_b32 s11, s7, s11
	s_and_not1_b32 exec_lo, exec_lo, s11
	s_cbranch_execnz .LBB606_94
; %bb.95:
	s_or_b32 exec_lo, exec_lo, s11
.LBB606_96:
	s_delay_alu instid0(SALU_CYCLE_1) | instskip(SKIP_1) | instid1(VALU_DEP_1)
	s_or_b32 exec_lo, exec_lo, s10
	v_dual_add_nc_u32 v65, v10, v64 :: v_dual_add_nc_u32 v64, v53, v55
	v_sub_nc_u32_e32 v55, v65, v53
	s_delay_alu instid0(VALU_DEP_2) | instskip(NEXT) | instid1(VALU_DEP_2)
	v_cmp_le_u32_e64 s7, v64, v10
	v_cmp_le_u32_e64 s10, v55, v11
	s_or_b32 s7, s7, s10
	s_delay_alu instid0(SALU_CYCLE_1)
	s_and_saveexec_b32 s21, s7
	s_cbranch_execz .LBB606_102
; %bb.97:
	v_cmp_lt_u32_e64 s7, v64, v10
                                        ; implicit-def: $vgpr14
	s_and_saveexec_b32 s10, s7
; %bb.98:
	v_lshl_add_u32 v12, v53, 2, v54
	ds_load_b32 v14, v12
; %bb.99:
	s_or_b32 exec_lo, exec_lo, s10
	v_cmp_ge_u32_e64 s10, v55, v11
	s_mov_b32 s12, exec_lo
                                        ; implicit-def: $vgpr15
	v_cmpx_lt_u32_e64 v55, v11
; %bb.100:
	v_lshl_add_u32 v12, v55, 2, v5
	ds_load_b32 v15, v12
; %bb.101:
	s_or_b32 exec_lo, exec_lo, s12
	s_wait_dscnt 0x0
	v_and_b32_e32 v12, v15, v1
	v_and_b32_e32 v13, v14, v1
	s_delay_alu instid0(VALU_DEP_1) | instskip(SKIP_1) | instid1(SALU_CYCLE_1)
	v_cmp_le_u32_e64 s11, v13, v12
	s_and_b32 s7, s7, s11
	s_or_b32 s7, s10, s7
	s_delay_alu instid0(SALU_CYCLE_1) | instskip(NEXT) | instid1(VALU_DEP_1)
	v_cndmask_b32_e64 v12, v55, v64, s7
	v_dual_cndmask_b32 v13, v11, v10, s7 :: v_dual_add_nc_u32 v16, 1, v12
	v_lshl_add_u32 v12, v12, 3, v30
	s_delay_alu instid0(VALU_DEP_2) | instskip(NEXT) | instid1(VALU_DEP_1)
	v_add_min_u32_e64 v13, v13, -1, v16
	v_lshl_add_u32 v13, v13, 2, v5
	ds_load_b32 v13, v13
	s_wait_dscnt 0x0
	v_dual_cndmask_b32 v17, v13, v15, s7 :: v_dual_cndmask_b32 v18, v14, v13, s7
	v_cndmask_b32_e64 v13, v64, v16, s7
	v_dual_cndmask_b32 v16, v16, v55, s7 :: v_dual_cndmask_b32 v14, v15, v14, s7
	s_delay_alu instid0(VALU_DEP_3) | instskip(NEXT) | instid1(VALU_DEP_4)
	v_and_b32_e32 v19, v17, v1
	v_and_b32_e32 v20, v18, v1
	s_delay_alu instid0(VALU_DEP_4) | instskip(NEXT) | instid1(VALU_DEP_4)
	v_cmp_lt_u32_e64 s10, v13, v10
	v_cmp_ge_u32_e64 s12, v16, v11
	s_delay_alu instid0(VALU_DEP_3) | instskip(SKIP_1) | instid1(SALU_CYCLE_1)
	v_cmp_le_u32_e64 s11, v20, v19
	s_and_b32 s10, s10, s11
	s_or_b32 s10, s12, s10
	s_delay_alu instid0(SALU_CYCLE_1) | instskip(NEXT) | instid1(VALU_DEP_1)
	v_dual_cndmask_b32 v19, v16, v13, s10 :: v_dual_cndmask_b32 v20, v11, v10, s10
	v_dual_cndmask_b32 v15, v17, v18, s10 :: v_dual_add_nc_u32 v21, 1, v19
	v_lshl_add_u32 v19, v19, 3, v30
	s_delay_alu instid0(VALU_DEP_2) | instskip(SKIP_2) | instid1(VALU_DEP_3)
	v_add_min_u32_e64 v20, v20, -1, v21
	v_cndmask_b32_e64 v13, v13, v21, s10
	v_cndmask_b32_e64 v16, v21, v16, s10
	v_lshl_add_u32 v20, v20, 2, v5
	s_delay_alu instid0(VALU_DEP_3) | instskip(NEXT) | instid1(VALU_DEP_3)
	v_cmp_lt_u32_e64 s11, v13, v10
	v_cmp_ge_u32_e64 s13, v16, v11
	ds_load_b32 v20, v20
	s_wait_dscnt 0x0
	v_dual_cndmask_b32 v24, v20, v17, s10 :: v_dual_cndmask_b32 v25, v18, v20, s10
	s_delay_alu instid0(VALU_DEP_1) | instskip(NEXT) | instid1(VALU_DEP_2)
	v_and_b32_e32 v20, v24, v1
	v_and_b32_e32 v22, v25, v1
	s_delay_alu instid0(VALU_DEP_1) | instskip(SKIP_1) | instid1(SALU_CYCLE_1)
	v_cmp_le_u32_e64 s12, v22, v20
	s_and_b32 s11, s11, s12
	s_or_b32 s11, s13, s11
	s_delay_alu instid0(SALU_CYCLE_1) | instskip(NEXT) | instid1(VALU_DEP_1)
	v_dual_cndmask_b32 v21, v11, v10, s11 :: v_dual_cndmask_b32 v20, v16, v13, s11
	v_add_nc_u32_e32 v22, 1, v20
	s_delay_alu instid0(VALU_DEP_1) | instskip(NEXT) | instid1(VALU_DEP_1)
	v_add_min_u32_e64 v21, v21, -1, v22
	v_lshl_add_u32 v21, v21, 2, v5
	ds_load_b32 v21, v21
	s_wait_dscnt 0x0
	v_cndmask_b32_e64 v53, v21, v24, s11
	v_cndmask_b32_e64 v54, v25, v21, s11
	v_dual_cndmask_b32 v13, v13, v22, s11 :: v_dual_cndmask_b32 v16, v22, v16, s11
	s_delay_alu instid0(VALU_DEP_3) | instskip(NEXT) | instid1(VALU_DEP_3)
	v_and_b32_e32 v21, v53, v1
	v_and_b32_e32 v23, v54, v1
	s_delay_alu instid0(VALU_DEP_3) | instskip(NEXT) | instid1(VALU_DEP_4)
	v_cmp_lt_u32_e64 s12, v13, v10
	v_cmp_ge_u32_e64 s14, v16, v11
	s_delay_alu instid0(VALU_DEP_3) | instskip(SKIP_1) | instid1(SALU_CYCLE_1)
	v_cmp_le_u32_e64 s13, v23, v21
	s_and_b32 s12, s12, s13
	s_or_b32 s12, s14, s12
	s_delay_alu instid0(SALU_CYCLE_1) | instskip(SKIP_1) | instid1(VALU_DEP_1)
	v_dual_cndmask_b32 v24, v24, v25, s11 :: v_dual_cndmask_b32 v25, v53, v54, s12
	v_dual_cndmask_b32 v26, v16, v13, s12 :: v_dual_cndmask_b32 v21, v11, v10, s12
	v_add_nc_u32_e32 v22, 1, v26
	s_delay_alu instid0(VALU_DEP_1) | instskip(NEXT) | instid1(VALU_DEP_1)
	v_add_min_u32_e64 v21, v21, -1, v22
	v_lshl_add_u32 v21, v21, 2, v5
	ds_load_b32 v21, v21
	s_wait_dscnt 0x0
	v_cndmask_b32_e64 v55, v21, v53, s12
	v_dual_cndmask_b32 v64, v54, v21, s12 :: v_dual_cndmask_b32 v13, v13, v22, s12
	s_delay_alu instid0(VALU_DEP_2) | instskip(NEXT) | instid1(VALU_DEP_2)
	v_dual_cndmask_b32 v16, v22, v16, s12 :: v_dual_bitop2_b32 v21, v55, v1 bitop3:0x40
	v_and_b32_e32 v23, v64, v1
	s_delay_alu instid0(VALU_DEP_3) | instskip(NEXT) | instid1(VALU_DEP_3)
	v_cmp_lt_u32_e64 s13, v13, v10
	v_cmp_ge_u32_e64 s15, v16, v11
	s_delay_alu instid0(VALU_DEP_3) | instskip(SKIP_1) | instid1(SALU_CYCLE_1)
	v_cmp_le_u32_e64 s14, v23, v21
	s_and_b32 s13, s13, s14
	s_or_b32 s13, s15, s13
	s_delay_alu instid0(SALU_CYCLE_1) | instskip(NEXT) | instid1(VALU_DEP_1)
	v_dual_cndmask_b32 v27, v16, v13, s13 :: v_dual_cndmask_b32 v21, v11, v10, s13
	v_add_nc_u32_e32 v22, 1, v27
	s_delay_alu instid0(VALU_DEP_1) | instskip(SKIP_1) | instid1(VALU_DEP_2)
	v_add_min_u32_e64 v21, v21, -1, v22
	v_dual_cndmask_b32 v13, v13, v22, s13 :: v_dual_cndmask_b32 v16, v22, v16, s13
	v_lshl_add_u32 v21, v21, 2, v5
	s_delay_alu instid0(VALU_DEP_2) | instskip(NEXT) | instid1(VALU_DEP_3)
	v_cmp_lt_u32_e64 s14, v13, v10
	v_cmp_ge_u32_e64 s16, v16, v11
	ds_load_b32 v21, v21
	s_wait_dscnt 0x0
	v_dual_cndmask_b32 v65, v21, v55, s13 :: v_dual_cndmask_b32 v66, v64, v21, s13
	s_delay_alu instid0(VALU_DEP_1) | instskip(NEXT) | instid1(VALU_DEP_2)
	v_and_b32_e32 v21, v65, v1
	v_and_b32_e32 v23, v66, v1
	s_delay_alu instid0(VALU_DEP_1) | instskip(SKIP_1) | instid1(SALU_CYCLE_1)
	v_cmp_le_u32_e64 s15, v23, v21
	s_and_b32 s14, s14, s15
	s_or_b32 s14, s16, s14
	s_delay_alu instid0(SALU_CYCLE_1) | instskip(NEXT) | instid1(VALU_DEP_1)
	v_dual_cndmask_b32 v18, v55, v64, s13 :: v_dual_cndmask_b32 v28, v16, v13, s14
	v_dual_cndmask_b32 v21, v11, v10, s14 :: v_dual_add_nc_u32 v22, 1, v28
	s_delay_alu instid0(VALU_DEP_1) | instskip(NEXT) | instid1(VALU_DEP_1)
	v_add_min_u32_e64 v21, v21, -1, v22
	v_lshl_add_u32 v21, v21, 2, v5
	ds_load_b32 v21, v21
	s_wait_dscnt 0x0
	v_cndmask_b32_e64 v67, v21, v65, s14
	v_dual_cndmask_b32 v68, v66, v21, s14 :: v_dual_cndmask_b32 v13, v13, v22, s14
	s_delay_alu instid0(VALU_DEP_2) | instskip(NEXT) | instid1(VALU_DEP_2)
	v_dual_cndmask_b32 v16, v22, v16, s14 :: v_dual_bitop2_b32 v21, v67, v1 bitop3:0x40
	v_and_b32_e32 v23, v68, v1
	s_delay_alu instid0(VALU_DEP_3) | instskip(NEXT) | instid1(VALU_DEP_3)
	v_cmp_lt_u32_e64 s15, v13, v10
	v_cmp_ge_u32_e64 s17, v16, v11
	s_delay_alu instid0(VALU_DEP_3) | instskip(SKIP_1) | instid1(SALU_CYCLE_1)
	v_cmp_le_u32_e64 s16, v23, v21
	s_and_b32 s15, s15, s16
	s_or_b32 s15, s17, s15
	s_delay_alu instid0(SALU_CYCLE_1) | instskip(NEXT) | instid1(VALU_DEP_1)
	v_dual_cndmask_b32 v29, v16, v13, s15 :: v_dual_cndmask_b32 v21, v11, v10, s15
	v_add_nc_u32_e32 v22, 1, v29
	s_delay_alu instid0(VALU_DEP_1) | instskip(SKIP_1) | instid1(VALU_DEP_2)
	v_add_min_u32_e64 v21, v21, -1, v22
	v_dual_cndmask_b32 v32, v13, v22, s15 :: v_dual_cndmask_b32 v16, v22, v16, s15
	v_lshl_add_u32 v21, v21, 2, v5
	s_delay_alu instid0(VALU_DEP_2) | instskip(NEXT) | instid1(VALU_DEP_3)
	v_cmp_lt_u32_e64 s16, v32, v10
	v_cmp_ge_u32_e64 s18, v16, v11
	v_lshl_add_u32 v10, v20, 3, v30
	v_lshl_add_u32 v11, v26, 3, v30
	ds_load_b32 v21, v21
	s_wait_dscnt 0x0
	v_dual_cndmask_b32 v69, v21, v67, s15 :: v_dual_cndmask_b32 v70, v68, v21, s15
	s_delay_alu instid0(VALU_DEP_1) | instskip(NEXT) | instid1(VALU_DEP_2)
	v_and_b32_e32 v13, v69, v1
	v_and_b32_e32 v21, v70, v1
	s_delay_alu instid0(VALU_DEP_1)
	v_cmp_le_u32_e64 s17, v21, v13
	ds_load_b64 v[12:13], v12 offset:8192
	ds_load_b64 v[22:23], v19 offset:8192
	;; [unrolled: 1-line block ×3, first 2 shown]
	v_lshl_add_u32 v19, v28, 3, v30
	s_and_b32 s16, s16, s17
	s_delay_alu instid0(SALU_CYCLE_1) | instskip(NEXT) | instid1(SALU_CYCLE_1)
	s_or_b32 s16, s18, s16
	v_cndmask_b32_e64 v10, v16, v32, s16
	v_lshl_add_u32 v16, v27, 3, v30
	v_lshl_add_u32 v32, v29, 3, v30
	v_cndmask_b32_e64 v17, v69, v70, s16
	s_delay_alu instid0(VALU_DEP_4)
	v_lshl_add_u32 v10, v10, 3, v30
	ds_load_b64 v[28:29], v11 offset:8192
	ds_load_b64 v[26:27], v16 offset:8192
	;; [unrolled: 1-line block ×5, first 2 shown]
	v_dual_cndmask_b32 v19, v65, v66, s14 :: v_dual_cndmask_b32 v16, v67, v68, s15
.LBB606_102:
	s_or_b32 exec_lo, exec_lo, s21
	v_and_b32_e32 v55, 0xc0, v50
	v_dual_mov_b32 v67, v17 :: v_dual_bitop2_b32 v53, 56, v50 bitop3:0x40
	s_mov_b32 s10, exec_lo
	s_delay_alu instid0(VALU_DEP_2) | instskip(NEXT) | instid1(VALU_DEP_2)
	v_dual_mov_b32 v66, v16 :: v_dual_bitop2_b32 v10, 32, v55 bitop3:0x54
	v_min_u32_e32 v64, v38, v53
	; wave barrier
	s_wait_dscnt 0x6
	ds_store_2addr_b64 v39, v[12:13], v[22:23] offset1:1
	s_wait_dscnt 0x5
	ds_store_2addr_b64 v48, v[20:21], v[28:29] offset1:1
	ds_store_2addr_b64 v31, v[14:15], v[24:25] offset1:1
	ds_store_2addr_b64 v31, v[18:19], v[66:67] offset0:2 offset1:3
	v_min_u32_e32 v10, v38, v10
	s_wait_dscnt 0x6
	ds_store_2addr_b64 v49, v[26:27], v[36:37] offset1:1
	s_wait_dscnt 0x5
	ds_store_2addr_b64 v52, v[32:33], v[34:35] offset1:1
	; wave barrier
	v_add_min_u32_e64 v11, v10, 32, v38
	s_delay_alu instid0(VALU_DEP_1) | instskip(NEXT) | instid1(VALU_DEP_1)
	v_dual_sub_nc_u32 v53, v10, v55 :: v_dual_sub_nc_u32 v54, v11, v10
	v_min_u32_e32 v65, v64, v53
	s_delay_alu instid0(VALU_DEP_2) | instskip(SKIP_1) | instid1(VALU_DEP_2)
	v_sub_nc_u32_e64 v53, v64, v54 clamp
	v_lshl_add_u32 v54, v55, 2, v5
	v_cmpx_lt_u32_e64 v53, v65
	s_cbranch_execz .LBB606_106
; %bb.103:
	v_dual_lshlrev_b32 v66, 2, v10 :: v_dual_lshlrev_b32 v67, 2, v64
	s_mov_b32 s11, 0
	s_delay_alu instid0(VALU_DEP_1)
	v_add3_u32 v66, v5, v66, v67
.LBB606_104:                            ; =>This Inner Loop Header: Depth=1
	v_add_nc_u32_e32 v67, v65, v53
	s_delay_alu instid0(VALU_DEP_1) | instskip(NEXT) | instid1(VALU_DEP_1)
	v_lshrrev_b32_e32 v67, 1, v67
	v_not_b32_e32 v68, v67
	v_lshl_add_u32 v69, v67, 2, v54
	s_delay_alu instid0(VALU_DEP_2)
	v_lshl_add_u32 v68, v68, 2, v66
	ds_load_b32 v69, v69
	ds_load_b32 v68, v68
	s_wait_dscnt 0x1
	v_and_b32_e32 v69, v69, v1
	s_wait_dscnt 0x0
	v_dual_add_nc_u32 v70, 1, v67 :: v_dual_bitop2_b32 v68, v68, v1 bitop3:0x40
	s_delay_alu instid0(VALU_DEP_1) | instskip(NEXT) | instid1(VALU_DEP_1)
	v_cmp_gt_u32_e64 s7, v69, v68
	v_dual_cndmask_b32 v65, v65, v67, s7 :: v_dual_cndmask_b32 v53, v70, v53, s7
	s_delay_alu instid0(VALU_DEP_1) | instskip(SKIP_1) | instid1(SALU_CYCLE_1)
	v_cmp_ge_u32_e64 s7, v53, v65
	s_or_b32 s11, s7, s11
	s_and_not1_b32 exec_lo, exec_lo, s11
	s_cbranch_execnz .LBB606_104
; %bb.105:
	s_or_b32 exec_lo, exec_lo, s11
.LBB606_106:
	s_delay_alu instid0(SALU_CYCLE_1) | instskip(SKIP_1) | instid1(VALU_DEP_1)
	s_or_b32 exec_lo, exec_lo, s10
	v_dual_add_nc_u32 v65, v10, v64 :: v_dual_add_nc_u32 v64, v53, v55
	v_sub_nc_u32_e32 v55, v65, v53
	s_delay_alu instid0(VALU_DEP_2) | instskip(NEXT) | instid1(VALU_DEP_2)
	v_cmp_le_u32_e64 s7, v64, v10
	v_cmp_le_u32_e64 s10, v55, v11
	s_or_b32 s7, s7, s10
	s_delay_alu instid0(SALU_CYCLE_1)
	s_and_saveexec_b32 s21, s7
	s_cbranch_execz .LBB606_112
; %bb.107:
	v_cmp_lt_u32_e64 s7, v64, v10
                                        ; implicit-def: $vgpr14
	s_and_saveexec_b32 s10, s7
; %bb.108:
	v_lshl_add_u32 v12, v53, 2, v54
	ds_load_b32 v14, v12
; %bb.109:
	s_or_b32 exec_lo, exec_lo, s10
	v_cmp_ge_u32_e64 s10, v55, v11
	s_mov_b32 s12, exec_lo
                                        ; implicit-def: $vgpr15
	v_cmpx_lt_u32_e64 v55, v11
; %bb.110:
	v_lshl_add_u32 v12, v55, 2, v5
	ds_load_b32 v15, v12
; %bb.111:
	s_or_b32 exec_lo, exec_lo, s12
	s_wait_dscnt 0x0
	v_and_b32_e32 v12, v15, v1
	v_and_b32_e32 v13, v14, v1
	s_delay_alu instid0(VALU_DEP_1) | instskip(SKIP_1) | instid1(SALU_CYCLE_1)
	v_cmp_le_u32_e64 s11, v13, v12
	s_and_b32 s7, s7, s11
	s_or_b32 s7, s10, s7
	s_delay_alu instid0(SALU_CYCLE_1) | instskip(NEXT) | instid1(VALU_DEP_1)
	v_cndmask_b32_e64 v12, v55, v64, s7
	v_dual_cndmask_b32 v13, v11, v10, s7 :: v_dual_add_nc_u32 v16, 1, v12
	v_lshl_add_u32 v12, v12, 3, v30
	s_delay_alu instid0(VALU_DEP_2) | instskip(NEXT) | instid1(VALU_DEP_1)
	v_add_min_u32_e64 v13, v13, -1, v16
	v_lshl_add_u32 v13, v13, 2, v5
	ds_load_b32 v13, v13
	s_wait_dscnt 0x0
	v_dual_cndmask_b32 v17, v13, v15, s7 :: v_dual_cndmask_b32 v18, v14, v13, s7
	v_cndmask_b32_e64 v13, v64, v16, s7
	v_dual_cndmask_b32 v16, v16, v55, s7 :: v_dual_cndmask_b32 v14, v15, v14, s7
	s_delay_alu instid0(VALU_DEP_3) | instskip(NEXT) | instid1(VALU_DEP_4)
	v_and_b32_e32 v19, v17, v1
	v_and_b32_e32 v20, v18, v1
	s_delay_alu instid0(VALU_DEP_4) | instskip(NEXT) | instid1(VALU_DEP_4)
	v_cmp_lt_u32_e64 s10, v13, v10
	v_cmp_ge_u32_e64 s12, v16, v11
	s_delay_alu instid0(VALU_DEP_3) | instskip(SKIP_1) | instid1(SALU_CYCLE_1)
	v_cmp_le_u32_e64 s11, v20, v19
	s_and_b32 s10, s10, s11
	s_or_b32 s10, s12, s10
	s_delay_alu instid0(SALU_CYCLE_1) | instskip(NEXT) | instid1(VALU_DEP_1)
	v_dual_cndmask_b32 v19, v16, v13, s10 :: v_dual_cndmask_b32 v20, v11, v10, s10
	v_dual_cndmask_b32 v15, v17, v18, s10 :: v_dual_add_nc_u32 v21, 1, v19
	v_lshl_add_u32 v19, v19, 3, v30
	s_delay_alu instid0(VALU_DEP_2) | instskip(SKIP_2) | instid1(VALU_DEP_3)
	v_add_min_u32_e64 v20, v20, -1, v21
	v_cndmask_b32_e64 v13, v13, v21, s10
	v_cndmask_b32_e64 v16, v21, v16, s10
	v_lshl_add_u32 v20, v20, 2, v5
	s_delay_alu instid0(VALU_DEP_3) | instskip(NEXT) | instid1(VALU_DEP_3)
	v_cmp_lt_u32_e64 s11, v13, v10
	v_cmp_ge_u32_e64 s13, v16, v11
	ds_load_b32 v20, v20
	s_wait_dscnt 0x0
	v_dual_cndmask_b32 v24, v20, v17, s10 :: v_dual_cndmask_b32 v25, v18, v20, s10
	s_delay_alu instid0(VALU_DEP_1) | instskip(NEXT) | instid1(VALU_DEP_2)
	v_and_b32_e32 v20, v24, v1
	v_and_b32_e32 v22, v25, v1
	s_delay_alu instid0(VALU_DEP_1) | instskip(SKIP_1) | instid1(SALU_CYCLE_1)
	v_cmp_le_u32_e64 s12, v22, v20
	s_and_b32 s11, s11, s12
	s_or_b32 s11, s13, s11
	s_delay_alu instid0(SALU_CYCLE_1) | instskip(NEXT) | instid1(VALU_DEP_1)
	v_dual_cndmask_b32 v21, v11, v10, s11 :: v_dual_cndmask_b32 v20, v16, v13, s11
	v_add_nc_u32_e32 v22, 1, v20
	s_delay_alu instid0(VALU_DEP_1) | instskip(NEXT) | instid1(VALU_DEP_1)
	v_add_min_u32_e64 v21, v21, -1, v22
	v_lshl_add_u32 v21, v21, 2, v5
	ds_load_b32 v21, v21
	s_wait_dscnt 0x0
	v_cndmask_b32_e64 v53, v21, v24, s11
	v_cndmask_b32_e64 v54, v25, v21, s11
	v_dual_cndmask_b32 v13, v13, v22, s11 :: v_dual_cndmask_b32 v16, v22, v16, s11
	s_delay_alu instid0(VALU_DEP_3) | instskip(NEXT) | instid1(VALU_DEP_3)
	v_and_b32_e32 v21, v53, v1
	v_and_b32_e32 v23, v54, v1
	s_delay_alu instid0(VALU_DEP_3) | instskip(NEXT) | instid1(VALU_DEP_4)
	v_cmp_lt_u32_e64 s12, v13, v10
	v_cmp_ge_u32_e64 s14, v16, v11
	s_delay_alu instid0(VALU_DEP_3) | instskip(SKIP_1) | instid1(SALU_CYCLE_1)
	v_cmp_le_u32_e64 s13, v23, v21
	s_and_b32 s12, s12, s13
	s_or_b32 s12, s14, s12
	s_delay_alu instid0(SALU_CYCLE_1) | instskip(SKIP_1) | instid1(VALU_DEP_1)
	v_dual_cndmask_b32 v24, v24, v25, s11 :: v_dual_cndmask_b32 v25, v53, v54, s12
	v_dual_cndmask_b32 v26, v16, v13, s12 :: v_dual_cndmask_b32 v21, v11, v10, s12
	v_add_nc_u32_e32 v22, 1, v26
	s_delay_alu instid0(VALU_DEP_1) | instskip(NEXT) | instid1(VALU_DEP_1)
	v_add_min_u32_e64 v21, v21, -1, v22
	v_lshl_add_u32 v21, v21, 2, v5
	ds_load_b32 v21, v21
	s_wait_dscnt 0x0
	v_cndmask_b32_e64 v55, v21, v53, s12
	v_dual_cndmask_b32 v64, v54, v21, s12 :: v_dual_cndmask_b32 v13, v13, v22, s12
	s_delay_alu instid0(VALU_DEP_2) | instskip(NEXT) | instid1(VALU_DEP_2)
	v_dual_cndmask_b32 v16, v22, v16, s12 :: v_dual_bitop2_b32 v21, v55, v1 bitop3:0x40
	v_and_b32_e32 v23, v64, v1
	s_delay_alu instid0(VALU_DEP_3) | instskip(NEXT) | instid1(VALU_DEP_3)
	v_cmp_lt_u32_e64 s13, v13, v10
	v_cmp_ge_u32_e64 s15, v16, v11
	s_delay_alu instid0(VALU_DEP_3) | instskip(SKIP_1) | instid1(SALU_CYCLE_1)
	v_cmp_le_u32_e64 s14, v23, v21
	s_and_b32 s13, s13, s14
	s_or_b32 s13, s15, s13
	s_delay_alu instid0(SALU_CYCLE_1) | instskip(NEXT) | instid1(VALU_DEP_1)
	v_dual_cndmask_b32 v27, v16, v13, s13 :: v_dual_cndmask_b32 v21, v11, v10, s13
	v_add_nc_u32_e32 v22, 1, v27
	s_delay_alu instid0(VALU_DEP_1) | instskip(SKIP_1) | instid1(VALU_DEP_2)
	v_add_min_u32_e64 v21, v21, -1, v22
	v_dual_cndmask_b32 v13, v13, v22, s13 :: v_dual_cndmask_b32 v16, v22, v16, s13
	v_lshl_add_u32 v21, v21, 2, v5
	s_delay_alu instid0(VALU_DEP_2) | instskip(NEXT) | instid1(VALU_DEP_3)
	v_cmp_lt_u32_e64 s14, v13, v10
	v_cmp_ge_u32_e64 s16, v16, v11
	ds_load_b32 v21, v21
	s_wait_dscnt 0x0
	v_dual_cndmask_b32 v65, v21, v55, s13 :: v_dual_cndmask_b32 v66, v64, v21, s13
	s_delay_alu instid0(VALU_DEP_1) | instskip(NEXT) | instid1(VALU_DEP_2)
	v_and_b32_e32 v21, v65, v1
	v_and_b32_e32 v23, v66, v1
	s_delay_alu instid0(VALU_DEP_1) | instskip(SKIP_1) | instid1(SALU_CYCLE_1)
	v_cmp_le_u32_e64 s15, v23, v21
	s_and_b32 s14, s14, s15
	s_or_b32 s14, s16, s14
	s_delay_alu instid0(SALU_CYCLE_1) | instskip(NEXT) | instid1(VALU_DEP_1)
	v_dual_cndmask_b32 v18, v55, v64, s13 :: v_dual_cndmask_b32 v28, v16, v13, s14
	v_dual_cndmask_b32 v21, v11, v10, s14 :: v_dual_add_nc_u32 v22, 1, v28
	s_delay_alu instid0(VALU_DEP_1) | instskip(NEXT) | instid1(VALU_DEP_1)
	v_add_min_u32_e64 v21, v21, -1, v22
	v_lshl_add_u32 v21, v21, 2, v5
	ds_load_b32 v21, v21
	s_wait_dscnt 0x0
	v_cndmask_b32_e64 v67, v21, v65, s14
	v_dual_cndmask_b32 v68, v66, v21, s14 :: v_dual_cndmask_b32 v13, v13, v22, s14
	s_delay_alu instid0(VALU_DEP_2) | instskip(NEXT) | instid1(VALU_DEP_2)
	v_dual_cndmask_b32 v16, v22, v16, s14 :: v_dual_bitop2_b32 v21, v67, v1 bitop3:0x40
	v_and_b32_e32 v23, v68, v1
	s_delay_alu instid0(VALU_DEP_3) | instskip(NEXT) | instid1(VALU_DEP_3)
	v_cmp_lt_u32_e64 s15, v13, v10
	v_cmp_ge_u32_e64 s17, v16, v11
	s_delay_alu instid0(VALU_DEP_3) | instskip(SKIP_1) | instid1(SALU_CYCLE_1)
	v_cmp_le_u32_e64 s16, v23, v21
	s_and_b32 s15, s15, s16
	s_or_b32 s15, s17, s15
	s_delay_alu instid0(SALU_CYCLE_1) | instskip(NEXT) | instid1(VALU_DEP_1)
	v_dual_cndmask_b32 v29, v16, v13, s15 :: v_dual_cndmask_b32 v21, v11, v10, s15
	v_add_nc_u32_e32 v22, 1, v29
	s_delay_alu instid0(VALU_DEP_1) | instskip(SKIP_1) | instid1(VALU_DEP_2)
	v_add_min_u32_e64 v21, v21, -1, v22
	v_dual_cndmask_b32 v32, v13, v22, s15 :: v_dual_cndmask_b32 v16, v22, v16, s15
	v_lshl_add_u32 v21, v21, 2, v5
	s_delay_alu instid0(VALU_DEP_2) | instskip(NEXT) | instid1(VALU_DEP_3)
	v_cmp_lt_u32_e64 s16, v32, v10
	v_cmp_ge_u32_e64 s18, v16, v11
	v_lshl_add_u32 v10, v20, 3, v30
	v_lshl_add_u32 v11, v26, 3, v30
	ds_load_b32 v21, v21
	s_wait_dscnt 0x0
	v_dual_cndmask_b32 v69, v21, v67, s15 :: v_dual_cndmask_b32 v70, v68, v21, s15
	s_delay_alu instid0(VALU_DEP_1) | instskip(NEXT) | instid1(VALU_DEP_2)
	v_and_b32_e32 v13, v69, v1
	v_and_b32_e32 v21, v70, v1
	s_delay_alu instid0(VALU_DEP_1)
	v_cmp_le_u32_e64 s17, v21, v13
	ds_load_b64 v[12:13], v12 offset:8192
	ds_load_b64 v[22:23], v19 offset:8192
	;; [unrolled: 1-line block ×3, first 2 shown]
	v_lshl_add_u32 v19, v28, 3, v30
	s_and_b32 s16, s16, s17
	s_delay_alu instid0(SALU_CYCLE_1) | instskip(NEXT) | instid1(SALU_CYCLE_1)
	s_or_b32 s16, s18, s16
	v_cndmask_b32_e64 v10, v16, v32, s16
	v_lshl_add_u32 v16, v27, 3, v30
	v_lshl_add_u32 v32, v29, 3, v30
	v_cndmask_b32_e64 v17, v69, v70, s16
	s_delay_alu instid0(VALU_DEP_4)
	v_lshl_add_u32 v10, v10, 3, v30
	ds_load_b64 v[28:29], v11 offset:8192
	ds_load_b64 v[26:27], v16 offset:8192
	;; [unrolled: 1-line block ×5, first 2 shown]
	v_dual_cndmask_b32 v19, v65, v66, s14 :: v_dual_cndmask_b32 v16, v67, v68, s15
.LBB606_112:
	s_or_b32 exec_lo, exec_lo, s21
	v_and_b32_e32 v50, 0x80, v50
	v_min_u32_e32 v51, v38, v51
	v_mov_b32_e32 v55, v17
	; wave barrier
	s_delay_alu instid0(VALU_DEP_3)
	v_or_b32_e32 v10, 64, v50
	s_mov_b32 s10, exec_lo
	v_mov_b32_e32 v54, v16
	s_wait_dscnt 0x6
	ds_store_2addr_b64 v39, v[12:13], v[22:23] offset1:1
	s_wait_dscnt 0x5
	ds_store_2addr_b64 v48, v[20:21], v[28:29] offset1:1
	ds_store_2addr_b64 v31, v[14:15], v[24:25] offset1:1
	ds_store_2addr_b64 v31, v[18:19], v[54:55] offset0:2 offset1:3
	v_min_u32_e32 v11, v38, v10
	v_lshl_add_u32 v31, v50, 2, v5
	s_wait_dscnt 0x6
	ds_store_2addr_b64 v49, v[26:27], v[36:37] offset1:1
	s_wait_dscnt 0x5
	ds_store_2addr_b64 v52, v[32:33], v[34:35] offset1:1
	; wave barrier
	v_add_min_u32_e64 v10, v11, 64, v38
	s_delay_alu instid0(VALU_DEP_1) | instskip(NEXT) | instid1(VALU_DEP_1)
	v_dual_sub_nc_u32 v38, v11, v50 :: v_dual_sub_nc_u32 v64, v10, v11
	v_min_u32_e32 v53, v51, v38
	s_delay_alu instid0(VALU_DEP_2) | instskip(NEXT) | instid1(VALU_DEP_1)
	v_sub_nc_u32_e64 v38, v51, v64 clamp
	v_cmpx_lt_u32_e64 v38, v53
	s_cbranch_execz .LBB606_116
; %bb.113:
	v_lshlrev_b32_e32 v39, 2, v11
	v_lshlrev_b32_e32 v48, 2, v51
	s_mov_b32 s11, 0
	s_delay_alu instid0(VALU_DEP_1)
	v_add3_u32 v39, v5, v39, v48
.LBB606_114:                            ; =>This Inner Loop Header: Depth=1
	v_add_nc_u32_e32 v48, v53, v38
	s_delay_alu instid0(VALU_DEP_1) | instskip(NEXT) | instid1(VALU_DEP_1)
	v_lshrrev_b32_e32 v48, 1, v48
	v_not_b32_e32 v49, v48
	v_lshl_add_u32 v52, v48, 2, v31
	s_delay_alu instid0(VALU_DEP_2)
	v_lshl_add_u32 v49, v49, 2, v39
	ds_load_b32 v52, v52
	ds_load_b32 v49, v49
	s_wait_dscnt 0x1
	v_and_b32_e32 v52, v52, v1
	s_wait_dscnt 0x0
	v_and_b32_e32 v49, v49, v1
	s_delay_alu instid0(VALU_DEP_1) | instskip(NEXT) | instid1(VALU_DEP_1)
	v_cmp_gt_u32_e64 s7, v52, v49
	v_dual_add_nc_u32 v54, 1, v48 :: v_dual_cndmask_b32 v53, v53, v48, s7
	s_delay_alu instid0(VALU_DEP_1) | instskip(NEXT) | instid1(VALU_DEP_1)
	v_cndmask_b32_e64 v38, v54, v38, s7
	v_cmp_ge_u32_e64 s7, v38, v53
	s_or_b32 s11, s7, s11
	s_delay_alu instid0(SALU_CYCLE_1)
	s_and_not1_b32 exec_lo, exec_lo, s11
	s_cbranch_execnz .LBB606_114
; %bb.115:
	s_or_b32 exec_lo, exec_lo, s11
.LBB606_116:
	s_delay_alu instid0(SALU_CYCLE_1) | instskip(SKIP_1) | instid1(VALU_DEP_1)
	s_or_b32 exec_lo, exec_lo, s10
	v_dual_add_nc_u32 v39, v11, v51 :: v_dual_add_nc_u32 v48, v38, v50
	v_sub_nc_u32_e32 v39, v39, v38
	s_delay_alu instid0(VALU_DEP_2) | instskip(NEXT) | instid1(VALU_DEP_2)
	v_cmp_le_u32_e64 s7, v48, v11
	v_cmp_le_u32_e64 s10, v39, v10
	s_or_b32 s7, s7, s10
	s_delay_alu instid0(SALU_CYCLE_1)
	s_and_saveexec_b32 s21, s7
	s_cbranch_execz .LBB606_122
; %bb.117:
	v_cmp_lt_u32_e64 s7, v48, v11
                                        ; implicit-def: $vgpr14
	s_and_saveexec_b32 s10, s7
; %bb.118:
	v_lshl_add_u32 v12, v38, 2, v31
	ds_load_b32 v14, v12
; %bb.119:
	s_or_b32 exec_lo, exec_lo, s10
	v_cmp_ge_u32_e64 s10, v39, v10
	s_mov_b32 s12, exec_lo
                                        ; implicit-def: $vgpr15
	v_cmpx_lt_u32_e64 v39, v10
; %bb.120:
	v_lshl_add_u32 v12, v39, 2, v5
	ds_load_b32 v15, v12
; %bb.121:
	s_or_b32 exec_lo, exec_lo, s12
	s_wait_dscnt 0x0
	v_and_b32_e32 v12, v15, v1
	v_and_b32_e32 v13, v14, v1
	s_delay_alu instid0(VALU_DEP_1) | instskip(SKIP_1) | instid1(SALU_CYCLE_1)
	v_cmp_le_u32_e64 s11, v13, v12
	s_and_b32 s7, s7, s11
	s_or_b32 s7, s10, s7
	s_delay_alu instid0(SALU_CYCLE_1) | instskip(NEXT) | instid1(VALU_DEP_1)
	v_dual_cndmask_b32 v12, v39, v48, s7 :: v_dual_cndmask_b32 v13, v10, v11, s7
	v_add_nc_u32_e32 v16, 1, v12
	v_lshl_add_u32 v12, v12, 3, v30
	s_delay_alu instid0(VALU_DEP_2) | instskip(NEXT) | instid1(VALU_DEP_1)
	v_add_min_u32_e64 v13, v13, -1, v16
	v_lshl_add_u32 v13, v13, 2, v5
	ds_load_b32 v13, v13
	s_wait_dscnt 0x0
	v_dual_cndmask_b32 v17, v13, v15, s7 :: v_dual_cndmask_b32 v18, v14, v13, s7
	v_cndmask_b32_e64 v13, v48, v16, s7
	v_dual_cndmask_b32 v16, v16, v39, s7 :: v_dual_cndmask_b32 v14, v15, v14, s7
	s_delay_alu instid0(VALU_DEP_3) | instskip(NEXT) | instid1(VALU_DEP_4)
	v_and_b32_e32 v19, v17, v1
	v_and_b32_e32 v20, v18, v1
	s_delay_alu instid0(VALU_DEP_4) | instskip(NEXT) | instid1(VALU_DEP_4)
	v_cmp_lt_u32_e64 s10, v13, v11
	v_cmp_ge_u32_e64 s12, v16, v10
	s_delay_alu instid0(VALU_DEP_3) | instskip(SKIP_1) | instid1(SALU_CYCLE_1)
	v_cmp_le_u32_e64 s11, v20, v19
	s_and_b32 s10, s10, s11
	s_or_b32 s10, s12, s10
	s_delay_alu instid0(SALU_CYCLE_1) | instskip(NEXT) | instid1(VALU_DEP_1)
	v_dual_cndmask_b32 v19, v16, v13, s10 :: v_dual_cndmask_b32 v20, v10, v11, s10
	v_add_nc_u32_e32 v21, 1, v19
	v_lshl_add_u32 v19, v19, 3, v30
	s_delay_alu instid0(VALU_DEP_2) | instskip(SKIP_2) | instid1(VALU_DEP_3)
	v_add_min_u32_e64 v20, v20, -1, v21
	v_cndmask_b32_e64 v13, v13, v21, s10
	v_cndmask_b32_e64 v16, v21, v16, s10
	v_lshl_add_u32 v20, v20, 2, v5
	s_delay_alu instid0(VALU_DEP_3) | instskip(NEXT) | instid1(VALU_DEP_3)
	v_cmp_lt_u32_e64 s11, v13, v11
	v_cmp_ge_u32_e64 s13, v16, v10
	ds_load_b32 v20, v20
	s_wait_dscnt 0x0
	v_dual_cndmask_b32 v24, v20, v17, s10 :: v_dual_cndmask_b32 v25, v18, v20, s10
	s_delay_alu instid0(VALU_DEP_1) | instskip(NEXT) | instid1(VALU_DEP_2)
	v_and_b32_e32 v20, v24, v1
	v_and_b32_e32 v22, v25, v1
	s_delay_alu instid0(VALU_DEP_1) | instskip(SKIP_1) | instid1(SALU_CYCLE_1)
	v_cmp_le_u32_e64 s12, v22, v20
	s_and_b32 s11, s11, s12
	s_or_b32 s11, s13, s11
	s_delay_alu instid0(SALU_CYCLE_1) | instskip(SKIP_1) | instid1(VALU_DEP_1)
	v_dual_cndmask_b32 v15, v17, v18, s10 :: v_dual_cndmask_b32 v21, v10, v11, s11
	v_cndmask_b32_e64 v20, v16, v13, s11
	v_add_nc_u32_e32 v22, 1, v20
	s_delay_alu instid0(VALU_DEP_1) | instskip(NEXT) | instid1(VALU_DEP_1)
	v_add_min_u32_e64 v21, v21, -1, v22
	v_lshl_add_u32 v21, v21, 2, v5
	ds_load_b32 v21, v21
	s_wait_dscnt 0x0
	v_cndmask_b32_e64 v31, v21, v24, s11
	v_cndmask_b32_e64 v38, v25, v21, s11
	v_dual_cndmask_b32 v13, v13, v22, s11 :: v_dual_cndmask_b32 v16, v22, v16, s11
	v_cndmask_b32_e64 v24, v24, v25, s11
	s_delay_alu instid0(VALU_DEP_4) | instskip(NEXT) | instid1(VALU_DEP_4)
	v_and_b32_e32 v21, v31, v1
	v_and_b32_e32 v23, v38, v1
	s_delay_alu instid0(VALU_DEP_4) | instskip(SKIP_1) | instid1(VALU_DEP_3)
	v_cmp_lt_u32_e64 s12, v13, v11
	v_cmp_ge_u32_e64 s14, v16, v10
	v_cmp_le_u32_e64 s13, v23, v21
	s_and_b32 s12, s12, s13
	s_delay_alu instid0(SALU_CYCLE_1) | instskip(NEXT) | instid1(SALU_CYCLE_1)
	s_or_b32 s12, s14, s12
	v_dual_cndmask_b32 v26, v16, v13, s12 :: v_dual_cndmask_b32 v21, v10, v11, s12
	v_cndmask_b32_e64 v25, v31, v38, s12
	s_delay_alu instid0(VALU_DEP_2) | instskip(NEXT) | instid1(VALU_DEP_1)
	v_add_nc_u32_e32 v22, 1, v26
	v_add_min_u32_e64 v21, v21, -1, v22
	v_cndmask_b32_e64 v13, v13, v22, s12
	s_delay_alu instid0(VALU_DEP_2) | instskip(NEXT) | instid1(VALU_DEP_2)
	v_lshl_add_u32 v21, v21, 2, v5
	v_cmp_lt_u32_e64 s13, v13, v11
	ds_load_b32 v21, v21
	s_wait_dscnt 0x0
	v_dual_cndmask_b32 v39, v21, v31, s12 :: v_dual_cndmask_b32 v48, v38, v21, s12
	s_delay_alu instid0(VALU_DEP_1) | instskip(NEXT) | instid1(VALU_DEP_2)
	v_dual_cndmask_b32 v16, v22, v16, s12 :: v_dual_bitop2_b32 v21, v39, v1 bitop3:0x40
	v_and_b32_e32 v23, v48, v1
	s_delay_alu instid0(VALU_DEP_2) | instskip(NEXT) | instid1(VALU_DEP_2)
	v_cmp_ge_u32_e64 s15, v16, v10
	v_cmp_le_u32_e64 s14, v23, v21
	s_and_b32 s13, s13, s14
	s_delay_alu instid0(SALU_CYCLE_1) | instskip(NEXT) | instid1(SALU_CYCLE_1)
	s_or_b32 s13, s15, s13
	v_dual_cndmask_b32 v27, v16, v13, s13 :: v_dual_cndmask_b32 v21, v10, v11, s13
	s_delay_alu instid0(VALU_DEP_1) | instskip(NEXT) | instid1(VALU_DEP_1)
	v_add_nc_u32_e32 v22, 1, v27
	v_add_min_u32_e64 v21, v21, -1, v22
	v_dual_cndmask_b32 v13, v13, v22, s13 :: v_dual_cndmask_b32 v16, v22, v16, s13
	s_delay_alu instid0(VALU_DEP_2) | instskip(NEXT) | instid1(VALU_DEP_2)
	v_lshl_add_u32 v21, v21, 2, v5
	v_cmp_lt_u32_e64 s14, v13, v11
	s_delay_alu instid0(VALU_DEP_3) | instskip(SKIP_3) | instid1(VALU_DEP_1)
	v_cmp_ge_u32_e64 s16, v16, v10
	ds_load_b32 v21, v21
	s_wait_dscnt 0x0
	v_dual_cndmask_b32 v49, v21, v39, s13 :: v_dual_cndmask_b32 v50, v48, v21, s13
	v_and_b32_e32 v21, v49, v1
	s_delay_alu instid0(VALU_DEP_2) | instskip(NEXT) | instid1(VALU_DEP_1)
	v_and_b32_e32 v23, v50, v1
	v_cmp_le_u32_e64 s15, v23, v21
	s_and_b32 s14, s14, s15
	s_delay_alu instid0(SALU_CYCLE_1) | instskip(NEXT) | instid1(SALU_CYCLE_1)
	s_or_b32 s14, s16, s14
	v_dual_cndmask_b32 v18, v39, v48, s13 :: v_dual_cndmask_b32 v28, v16, v13, s14
	s_delay_alu instid0(VALU_DEP_1) | instskip(NEXT) | instid1(VALU_DEP_1)
	v_dual_cndmask_b32 v21, v10, v11, s14 :: v_dual_add_nc_u32 v22, 1, v28
	v_add_min_u32_e64 v21, v21, -1, v22
	v_dual_cndmask_b32 v13, v13, v22, s14 :: v_dual_cndmask_b32 v16, v22, v16, s14
	s_delay_alu instid0(VALU_DEP_2) | instskip(NEXT) | instid1(VALU_DEP_2)
	v_lshl_add_u32 v21, v21, 2, v5
	v_cmp_lt_u32_e64 s15, v13, v11
	s_delay_alu instid0(VALU_DEP_3) | instskip(SKIP_4) | instid1(VALU_DEP_2)
	v_cmp_ge_u32_e64 s17, v16, v10
	ds_load_b32 v21, v21
	s_wait_dscnt 0x0
	v_cndmask_b32_e64 v51, v21, v49, s14
	v_cndmask_b32_e64 v52, v50, v21, s14
	v_and_b32_e32 v21, v51, v1
	s_delay_alu instid0(VALU_DEP_2) | instskip(NEXT) | instid1(VALU_DEP_1)
	v_and_b32_e32 v23, v52, v1
	v_cmp_le_u32_e64 s16, v23, v21
	s_and_b32 s15, s15, s16
	s_delay_alu instid0(SALU_CYCLE_1) | instskip(NEXT) | instid1(SALU_CYCLE_1)
	s_or_b32 s15, s17, s15
	v_dual_cndmask_b32 v29, v16, v13, s15 :: v_dual_cndmask_b32 v21, v10, v11, s15
	s_delay_alu instid0(VALU_DEP_1) | instskip(NEXT) | instid1(VALU_DEP_1)
	v_add_nc_u32_e32 v22, 1, v29
	v_add_min_u32_e64 v21, v21, -1, v22
	v_dual_cndmask_b32 v32, v13, v22, s15 :: v_dual_cndmask_b32 v16, v22, v16, s15
	s_delay_alu instid0(VALU_DEP_2) | instskip(NEXT) | instid1(VALU_DEP_2)
	v_lshl_add_u32 v5, v21, 2, v5
	v_cmp_lt_u32_e64 s16, v32, v11
	s_delay_alu instid0(VALU_DEP_3)
	v_cmp_ge_u32_e64 s18, v16, v10
	v_lshl_add_u32 v10, v26, 3, v30
	v_lshl_add_u32 v11, v27, 3, v30
	ds_load_b32 v5, v5
	s_wait_dscnt 0x0
	v_dual_cndmask_b32 v53, v5, v51, s15 :: v_dual_cndmask_b32 v5, v52, v5, s15
	s_delay_alu instid0(VALU_DEP_1) | instskip(NEXT) | instid1(VALU_DEP_2)
	v_and_b32_e32 v13, v53, v1
	v_and_b32_e32 v1, v5, v1
	s_delay_alu instid0(VALU_DEP_1)
	v_cmp_le_u32_e64 s17, v1, v13
	v_lshl_add_u32 v1, v20, 3, v30
	ds_load_b64 v[12:13], v12 offset:8192
	ds_load_b64 v[22:23], v19 offset:8192
	v_lshl_add_u32 v19, v29, 3, v30
	s_and_b32 s16, s16, s17
	ds_load_b64 v[20:21], v1 offset:8192
	s_or_b32 s16, s18, s16
	s_delay_alu instid0(SALU_CYCLE_1) | instskip(SKIP_2) | instid1(VALU_DEP_3)
	v_cndmask_b32_e64 v1, v16, v32, s16
	v_lshl_add_u32 v16, v28, 3, v30
	v_cndmask_b32_e64 v17, v53, v5, s16
	v_lshl_add_u32 v1, v1, 3, v30
	ds_load_b64 v[28:29], v10 offset:8192
	ds_load_b64 v[26:27], v11 offset:8192
	ds_load_b64 v[36:37], v16 offset:8192
	ds_load_b64 v[32:33], v19 offset:8192
	ds_load_b64 v[34:35], v1 offset:8192
	v_dual_cndmask_b32 v19, v49, v50, s14 :: v_dual_cndmask_b32 v16, v51, v52, s15
.LBB606_122:
	s_or_b32 exec_lo, exec_lo, s21
	; wave barrier
	s_wait_storecnt_dscnt 0x0
	s_barrier_signal -1
	s_barrier_wait -1
                                        ; implicit-def: $vgpr50
                                        ; implicit-def: $vgpr51
                                        ; implicit-def: $vgpr5
                                        ; implicit-def: $vgpr30
                                        ; implicit-def: $vgpr1
.LBB606_123:
	s_and_not1_saveexec_b32 s17, s20
	s_cbranch_execz .LBB606_221
; %bb.124:
	s_load_b64 s[10:11], s[8:9], 0x0
	s_bfe_u32 s12, ttmp6, 0x4000c
	s_bfe_u32 s14, ttmp6, 0x40010
	s_and_b32 s13, ttmp7, 0xffff
	s_add_co_i32 s12, s12, 1
	s_add_co_i32 s14, s14, 1
	s_and_b32 s7, ttmp6, 15
	s_bfe_u32 s15, ttmp6, 0x40004
	s_mul_i32 s12, ttmp9, s12
	s_mul_i32 s14, s13, s14
	s_add_co_i32 s7, s7, s12
	s_add_co_i32 s15, s15, s14
	s_cmp_eq_u32 s19, 0
	s_wait_loadcnt_dscnt 0x0
	v_mov_b64_e32 v[10:11], v[18:19]
	s_cselect_b32 s7, ttmp9, s7
	s_cselect_b32 s14, s13, s15
	s_mov_b32 s13, 0
	s_wait_kmcnt 0x0
	s_cmp_lt_u32 s7, s10
	s_cselect_b32 s12, 12, 18
	s_cmp_lt_u32 s14, s11
	s_mov_b32 s11, s13
	s_cselect_b32 s10, 14, 20
	s_delay_alu instid0(SALU_CYCLE_1)
	s_add_nc_u64 s[10:11], s[8:9], s[10:11]
	s_add_nc_u64 s[8:9], s[8:9], s[12:13]
	s_clause 0x1
	s_load_u16 s7, s[10:11], 0x0
	s_nop 0
	s_load_u16 s8, s[8:9], 0x0
	s_wait_kmcnt 0x0
	v_mad_u32_u24 v5, v30, s7, v5
	s_delay_alu instid0(VALU_DEP_1) | instskip(SKIP_1) | instid1(VALU_DEP_1)
	v_mul_lo_u32 v5, v5, s8
	s_mov_b32 s8, exec_lo
	v_add_lshl_u32 v1, v5, v1, 3
	s_delay_alu instid0(VALU_DEP_1)
	v_cmpx_gt_u32_e32 0x800, v1
	s_cbranch_execz .LBB606_180
; %bb.125:
	v_mov_b64_e32 v[30:31], v[22:23]
	v_mov_b32_e32 v5, v15
	s_mov_b32 s9, exec_lo
	v_cmpx_gt_i32_e64 v14, v15
; %bb.126:
	v_mov_b64_e32 v[30:31], v[12:13]
	v_mov_b64_e32 v[12:13], v[22:23]
	v_dual_mov_b32 v5, v14 :: v_dual_mov_b32 v14, v15
; %bb.127:
	s_or_b32 exec_lo, exec_lo, s9
	v_mov_b64_e32 v[38:39], v[28:29]
	v_mov_b32_e32 v49, v25
	s_mov_b32 s9, exec_lo
	v_cmpx_gt_i32_e64 v24, v25
; %bb.128:
	v_mov_b64_e32 v[38:39], v[20:21]
	v_mov_b64_e32 v[20:21], v[28:29]
	v_dual_mov_b32 v49, v24 :: v_dual_mov_b32 v24, v25
; %bb.129:
	s_or_b32 exec_lo, exec_lo, s9
	v_mov_b64_e32 v[22:23], v[36:37]
	v_mov_b32_e32 v48, v18
	s_mov_b32 s9, exec_lo
	v_cmpx_gt_i32_e64 v18, v19
; %bb.130:
	v_mov_b64_e32 v[22:23], v[26:27]
	v_mov_b64_e32 v[26:27], v[36:37]
	v_dual_mov_b32 v48, v19 :: v_dual_mov_b32 v19, v18
; %bb.131:
	s_or_b32 exec_lo, exec_lo, s9
	v_mov_b64_e32 v[10:11], v[34:35]
	v_mov_b32_e32 v36, v16
	s_mov_b32 s9, exec_lo
	v_cmpx_gt_i32_e64 v16, v17
; %bb.132:
	v_mov_b64_e32 v[10:11], v[32:33]
	v_mov_b64_e32 v[32:33], v[34:35]
	v_dual_mov_b32 v36, v17 :: v_dual_mov_b32 v17, v16
; %bb.133:
	s_or_b32 exec_lo, exec_lo, s9
	v_mov_b64_e32 v[28:29], v[20:21]
	v_cmp_gt_i32_e64 s7, v5, v24
	v_mov_b32_e32 v15, v24
	s_and_saveexec_b32 s9, s7
	s_delay_alu instid0(SALU_CYCLE_1)
	s_xor_b32 s7, exec_lo, s9
; %bb.134:
	v_mov_b64_e32 v[28:29], v[30:31]
	v_mov_b64_e32 v[30:31], v[20:21]
	v_dual_mov_b32 v15, v5 :: v_dual_mov_b32 v5, v24
; %bb.135:
	s_or_b32 exec_lo, exec_lo, s7
	v_mov_b64_e32 v[34:35], v[26:27]
	v_mov_b32_e32 v18, v49
	s_mov_b32 s9, exec_lo
	v_cmpx_gt_i32_e64 v49, v48
; %bb.136:
	v_mov_b64_e32 v[34:35], v[38:39]
	v_mov_b64_e32 v[38:39], v[26:27]
	v_dual_mov_b32 v18, v48 :: v_dual_mov_b32 v48, v49
; %bb.137:
	s_or_b32 exec_lo, exec_lo, s9
	v_mov_b64_e32 v[20:21], v[32:33]
	v_mov_b32_e32 v49, v19
	s_mov_b32 s9, exec_lo
	v_cmpx_gt_i32_e64 v19, v36
	;; [unrolled: 10-line block ×21, first 2 shown]
; %bb.176:
	v_mov_b64_e32 v[26:27], v[28:29]
	v_mov_b64_e32 v[28:29], v[34:35]
	v_dual_mov_b32 v25, v18 :: v_dual_mov_b32 v18, v36
; %bb.177:
	s_or_b32 exec_lo, exec_lo, s9
	v_cmp_gt_i32_e64 s7, v5, v17
	v_mov_b64_e32 v[36:37], v[48:49]
	s_mov_b32 s9, exec_lo
	v_dual_cndmask_b32 v35, v11, v31, s7 :: v_dual_cndmask_b32 v16, v5, v17, s7
	v_dual_cndmask_b32 v34, v10, v30, s7 :: v_dual_cndmask_b32 v33, v31, v11, s7
	;; [unrolled: 1-line block ×3, first 2 shown]
	v_mov_b64_e32 v[10:11], v[18:19]
	s_delay_alu instid0(VALU_DEP_4)
	v_cmpx_gt_i32_e64 v19, v16
; %bb.178:
	v_dual_mov_b32 v17, v16 :: v_dual_mov_b32 v10, v18
	s_delay_alu instid0(VALU_DEP_4) | instskip(SKIP_2) | instid1(VALU_DEP_4)
	v_mov_b64_e32 v[36:37], v[32:33]
	v_mov_b64_e32 v[32:33], v[48:49]
	v_dual_mov_b32 v11, v16 :: v_dual_mov_b32 v16, v19
	v_mov_b32_e32 v19, v17
; %bb.179:
	s_or_b32 exec_lo, exec_lo, s9
	v_mov_b32_e32 v17, v5
.LBB606_180:
	s_or_b32 exec_lo, exec_lo, s8
	v_and_b32_e32 v5, 0xffffff00, v1
	v_and_b32_e32 v55, 0xf0, v50
	s_mov_b32 s8, exec_lo
	v_or_b32_e32 v30, 8, v50
	s_delay_alu instid0(VALU_DEP_3) | instskip(SKIP_1) | instid1(VALU_DEP_2)
	v_dual_lshlrev_b32 v1, 2, v5 :: v_dual_bitop2_b32 v38, 8, v50 bitop3:0x40
	v_sub_nc_u32_e64 v31, 0x800, v5 clamp
	v_add_nc_u32_e32 v5, v1, v1
	s_delay_alu instid0(VALU_DEP_2) | instskip(SKIP_2) | instid1(VALU_DEP_4)
	v_min_u32_e32 v52, v31, v30
	v_lshl_or_b32 v30, v50, 2, v1
	v_min_u32_e32 v64, v31, v38
	v_lshl_add_u32 v49, v50, 3, v5
	s_delay_alu instid0(VALU_DEP_4) | instskip(SKIP_1) | instid1(VALU_DEP_3)
	v_add_min_u32_e64 v53, v52, 8, v31
	v_sub_nc_u32_e32 v65, v52, v55
	v_add_nc_u32_e32 v38, 0x2000, v49
	s_delay_alu instid0(VALU_DEP_3)
	v_sub_nc_u32_e32 v54, v53, v52
	v_add_nc_u32_e32 v39, 0x2010, v49
	v_add_nc_u32_e32 v48, 0x2020, v49
	;; [unrolled: 1-line block ×3, first 2 shown]
	ds_store_2addr_b64 v38, v[12:13], v[22:23] offset1:1
	ds_store_2addr_b64 v39, v[20:21], v[28:29] offset1:1
	v_sub_nc_u32_e64 v54, v64, v54 clamp
	v_min_u32_e32 v65, v64, v65
	ds_store_2addr_b64 v30, v[14:15], v[24:25] offset1:1
	ds_store_2addr_b64 v30, v[10:11], v[16:17] offset0:2 offset1:3
	v_lshl_or_b32 v11, v55, 2, v1
	ds_store_2addr_b64 v48, v[26:27], v[36:37] offset1:1
	ds_store_2addr_b64 v49, v[32:33], v[34:35] offset1:1
	; wave barrier
	v_cmpx_lt_u32_e64 v54, v65
	s_cbranch_execz .LBB606_184
; %bb.181:
	v_lshlrev_b32_e32 v10, 2, v52
	v_lshlrev_b32_e32 v66, 2, v64
	s_mov_b32 s9, 0
	s_delay_alu instid0(VALU_DEP_1)
	v_add3_u32 v10, v1, v10, v66
.LBB606_182:                            ; =>This Inner Loop Header: Depth=1
	v_add_nc_u32_e32 v66, v65, v54
	s_delay_alu instid0(VALU_DEP_1) | instskip(NEXT) | instid1(VALU_DEP_1)
	v_lshrrev_b32_e32 v66, 1, v66
	v_not_b32_e32 v67, v66
	v_lshl_add_u32 v68, v66, 2, v11
	s_delay_alu instid0(VALU_DEP_2) | instskip(SKIP_4) | instid1(VALU_DEP_1)
	v_lshl_add_u32 v67, v67, 2, v10
	ds_load_b32 v68, v68
	ds_load_b32 v67, v67
	s_wait_dscnt 0x0
	v_cmp_gt_i32_e64 s7, v68, v67
	v_dual_add_nc_u32 v69, 1, v66 :: v_dual_cndmask_b32 v65, v65, v66, s7
	s_delay_alu instid0(VALU_DEP_1) | instskip(NEXT) | instid1(VALU_DEP_1)
	v_cndmask_b32_e64 v54, v69, v54, s7
	v_cmp_ge_u32_e64 s7, v54, v65
	s_or_b32 s9, s7, s9
	s_delay_alu instid0(SALU_CYCLE_1)
	s_and_not1_b32 exec_lo, exec_lo, s9
	s_cbranch_execnz .LBB606_182
; %bb.183:
	s_or_b32 exec_lo, exec_lo, s9
.LBB606_184:
	s_delay_alu instid0(SALU_CYCLE_1) | instskip(SKIP_1) | instid1(VALU_DEP_1)
	s_or_b32 exec_lo, exec_lo, s8
	v_dual_add_nc_u32 v10, v52, v64 :: v_dual_add_nc_u32 v64, v54, v55
	v_sub_nc_u32_e32 v55, v10, v54
	s_delay_alu instid0(VALU_DEP_2) | instskip(NEXT) | instid1(VALU_DEP_2)
	v_cmp_le_u32_e64 s7, v64, v52
	v_cmp_le_u32_e64 s8, v55, v53
	s_or_b32 s7, s7, s8
	s_delay_alu instid0(SALU_CYCLE_1)
	s_and_saveexec_b32 s18, s7
	s_cbranch_execz .LBB606_190
; %bb.185:
	v_cmp_lt_u32_e64 s7, v64, v52
                                        ; implicit-def: $vgpr10
	s_and_saveexec_b32 s8, s7
; %bb.186:
	v_lshl_add_u32 v10, v54, 2, v11
	ds_load_b32 v10, v10
; %bb.187:
	s_or_b32 exec_lo, exec_lo, s8
	v_cmp_ge_u32_e64 s8, v55, v53
	s_mov_b32 s10, exec_lo
                                        ; implicit-def: $vgpr11
	v_cmpx_lt_u32_e64 v55, v53
; %bb.188:
	v_lshl_add_u32 v11, v55, 2, v1
	ds_load_b32 v11, v11
; %bb.189:
	s_or_b32 exec_lo, exec_lo, s10
	s_wait_dscnt 0x0
	v_cmp_le_i32_e64 s9, v10, v11
	s_and_b32 s7, s7, s9
	s_delay_alu instid0(SALU_CYCLE_1) | instskip(NEXT) | instid1(SALU_CYCLE_1)
	s_or_b32 s7, s8, s7
	v_cndmask_b32_e64 v12, v55, v64, s7
	v_cndmask_b32_e64 v13, v53, v52, s7
	s_delay_alu instid0(VALU_DEP_2) | instskip(NEXT) | instid1(VALU_DEP_1)
	v_add_nc_u32_e32 v14, 1, v12
	v_add_min_u32_e64 v13, v13, -1, v14
	s_delay_alu instid0(VALU_DEP_1)
	v_lshl_add_u32 v13, v13, 2, v1
	ds_load_b32 v13, v13
	s_wait_dscnt 0x0
	v_dual_cndmask_b32 v16, v13, v11, s7 :: v_dual_cndmask_b32 v15, v64, v14, s7
	v_cndmask_b32_e64 v17, v10, v13, s7
	v_cndmask_b32_e64 v13, v14, v55, s7
	v_lshl_add_u32 v12, v12, 3, v5
	s_delay_alu instid0(VALU_DEP_4) | instskip(NEXT) | instid1(VALU_DEP_4)
	v_cmp_lt_u32_e64 s8, v15, v52
	v_cmp_le_i32_e64 s9, v17, v16
	s_delay_alu instid0(VALU_DEP_4) | instskip(SKIP_1) | instid1(SALU_CYCLE_1)
	v_cmp_ge_u32_e64 s10, v13, v53
	s_and_b32 s8, s8, s9
	s_or_b32 s8, s10, s8
	s_delay_alu instid0(SALU_CYCLE_1) | instskip(NEXT) | instid1(VALU_DEP_1)
	v_cndmask_b32_e64 v14, v13, v15, s8
	v_dual_cndmask_b32 v18, v53, v52, s8 :: v_dual_add_nc_u32 v19, 1, v14
	v_lshl_add_u32 v14, v14, 3, v5
	s_delay_alu instid0(VALU_DEP_2) | instskip(SKIP_1) | instid1(VALU_DEP_2)
	v_add_min_u32_e64 v18, v18, -1, v19
	v_cndmask_b32_e64 v13, v19, v13, s8
	v_lshl_add_u32 v18, v18, 2, v1
	s_delay_alu instid0(VALU_DEP_2) | instskip(SKIP_4) | instid1(VALU_DEP_2)
	v_cmp_ge_u32_e64 s11, v13, v53
	ds_load_b32 v18, v18
	s_wait_dscnt 0x0
	v_dual_cndmask_b32 v15, v15, v19, s8 :: v_dual_cndmask_b32 v24, v18, v16, s8
	v_cndmask_b32_e64 v18, v17, v18, s8
	v_cmp_lt_u32_e64 s9, v15, v52
	s_delay_alu instid0(VALU_DEP_2) | instskip(SKIP_1) | instid1(SALU_CYCLE_1)
	v_cmp_le_i32_e64 s10, v18, v24
	s_and_b32 s9, s9, s10
	s_or_b32 s9, s11, s9
	s_delay_alu instid0(SALU_CYCLE_1) | instskip(NEXT) | instid1(VALU_DEP_1)
	v_cndmask_b32_e64 v19, v13, v15, s9
	v_dual_cndmask_b32 v20, v53, v52, s9 :: v_dual_add_nc_u32 v21, 1, v19
	s_delay_alu instid0(VALU_DEP_1) | instskip(SKIP_3) | instid1(VALU_DEP_4)
	v_add_min_u32_e64 v20, v20, -1, v21
	v_cndmask_b32_e64 v15, v15, v21, s9
	v_lshl_add_u32 v19, v19, 3, v5
	v_cndmask_b32_e64 v13, v21, v13, s9
	v_lshl_add_u32 v20, v20, 2, v1
	s_delay_alu instid0(VALU_DEP_4) | instskip(NEXT) | instid1(VALU_DEP_3)
	v_cmp_lt_u32_e64 s10, v15, v52
	v_cmp_ge_u32_e64 s12, v13, v53
	ds_load_b32 v20, v20
	s_wait_dscnt 0x0
	v_cndmask_b32_e64 v25, v20, v24, s9
	v_cndmask_b32_e64 v54, v18, v20, s9
	s_delay_alu instid0(VALU_DEP_1) | instskip(SKIP_1) | instid1(SALU_CYCLE_1)
	v_cmp_le_i32_e64 s11, v54, v25
	s_and_b32 s10, s10, s11
	s_or_b32 s10, s12, s10
	s_delay_alu instid0(SALU_CYCLE_1) | instskip(NEXT) | instid1(VALU_DEP_1)
	v_cndmask_b32_e64 v26, v13, v15, s10
	v_dual_cndmask_b32 v20, v53, v52, s10 :: v_dual_add_nc_u32 v21, 1, v26
	s_delay_alu instid0(VALU_DEP_1) | instskip(SKIP_1) | instid1(VALU_DEP_2)
	v_add_min_u32_e64 v20, v20, -1, v21
	v_cndmask_b32_e64 v13, v21, v13, s10
	v_lshl_add_u32 v20, v20, 2, v1
	s_delay_alu instid0(VALU_DEP_2) | instskip(SKIP_4) | instid1(VALU_DEP_2)
	v_cmp_ge_u32_e64 s13, v13, v53
	ds_load_b32 v20, v20
	s_wait_dscnt 0x0
	v_dual_cndmask_b32 v15, v15, v21, s10 :: v_dual_cndmask_b32 v64, v54, v20, s10
	v_cndmask_b32_e64 v55, v20, v25, s10
	v_cmp_lt_u32_e64 s11, v15, v52
	v_cndmask_b32_e64 v25, v25, v54, s10
	s_delay_alu instid0(VALU_DEP_3) | instskip(SKIP_1) | instid1(SALU_CYCLE_1)
	v_cmp_le_i32_e64 s12, v64, v55
	s_and_b32 s11, s11, s12
	s_or_b32 s11, s13, s11
	s_delay_alu instid0(SALU_CYCLE_1) | instskip(NEXT) | instid1(VALU_DEP_1)
	v_cndmask_b32_e64 v27, v13, v15, s11
	v_dual_add_nc_u32 v21, 1, v27 :: v_dual_cndmask_b32 v20, v53, v52, s11
	s_delay_alu instid0(VALU_DEP_1) | instskip(NEXT) | instid1(VALU_DEP_2)
	v_cndmask_b32_e64 v15, v15, v21, s11
	v_add_min_u32_e64 v20, v20, -1, v21
	v_cndmask_b32_e64 v13, v21, v13, s11
	s_delay_alu instid0(VALU_DEP_3) | instskip(NEXT) | instid1(VALU_DEP_3)
	v_cmp_lt_u32_e64 s12, v15, v52
	v_lshl_add_u32 v20, v20, 2, v1
	s_delay_alu instid0(VALU_DEP_3) | instskip(SKIP_4) | instid1(VALU_DEP_1)
	v_cmp_ge_u32_e64 s14, v13, v53
	ds_load_b32 v20, v20
	s_wait_dscnt 0x0
	v_cndmask_b32_e64 v65, v20, v55, s11
	v_cndmask_b32_e64 v66, v64, v20, s11
	v_cmp_le_i32_e64 s13, v66, v65
	s_and_b32 s12, s12, s13
	s_delay_alu instid0(SALU_CYCLE_1) | instskip(NEXT) | instid1(SALU_CYCLE_1)
	s_or_b32 s12, s14, s12
	v_cndmask_b32_e64 v28, v13, v15, s12
	s_delay_alu instid0(VALU_DEP_1) | instskip(NEXT) | instid1(VALU_DEP_1)
	v_add_nc_u32_e32 v21, 1, v28
	v_dual_cndmask_b32 v20, v53, v52, s12 :: v_dual_cndmask_b32 v15, v15, v21, s12
	s_delay_alu instid0(VALU_DEP_1) | instskip(NEXT) | instid1(VALU_DEP_2)
	v_add_min_u32_e64 v20, v20, -1, v21
	v_cmp_lt_u32_e64 s13, v15, v52
	s_delay_alu instid0(VALU_DEP_2) | instskip(SKIP_4) | instid1(VALU_DEP_2)
	v_lshl_add_u32 v20, v20, 2, v1
	ds_load_b32 v20, v20
	s_wait_dscnt 0x0
	v_dual_cndmask_b32 v67, v20, v65, s12 :: v_dual_cndmask_b32 v68, v66, v20, s12
	v_cndmask_b32_e64 v13, v21, v13, s12
	v_cmp_le_i32_e64 s14, v68, v67
	s_delay_alu instid0(VALU_DEP_2) | instskip(SKIP_1) | instid1(SALU_CYCLE_1)
	v_cmp_ge_u32_e64 s15, v13, v53
	s_and_b32 s13, s13, s14
	s_or_b32 s13, s15, s13
	s_delay_alu instid0(SALU_CYCLE_1) | instskip(SKIP_1) | instid1(VALU_DEP_2)
	v_dual_cndmask_b32 v24, v24, v18, s9 :: v_dual_cndmask_b32 v29, v13, v15, s13
	v_cndmask_b32_e64 v20, v53, v52, s13
	v_dual_cndmask_b32 v18, v55, v64, s11 :: v_dual_add_nc_u32 v21, 1, v29
	s_delay_alu instid0(VALU_DEP_1) | instskip(SKIP_3) | instid1(VALU_DEP_4)
	v_add_min_u32_e64 v20, v20, -1, v21
	v_cndmask_b32_e64 v15, v15, v21, s13
	v_cndmask_b32_e64 v32, v21, v13, s13
	v_lshl_add_u32 v33, v29, 3, v5
	v_lshl_add_u32 v20, v20, 2, v1
	s_delay_alu instid0(VALU_DEP_4) | instskip(NEXT) | instid1(VALU_DEP_4)
	v_cmp_lt_u32_e64 s14, v15, v52
	v_cmp_ge_u32_e64 s16, v32, v53
	ds_load_b32 v20, v20
	ds_load_b64 v[12:13], v12 offset:8192
	ds_load_b64 v[22:23], v14 offset:8192
	s_wait_dscnt 0x2
	v_cndmask_b32_e64 v69, v20, v67, s13
	v_cndmask_b32_e64 v70, v68, v20, s13
	ds_load_b64 v[20:21], v19 offset:8192
	v_lshl_add_u32 v19, v27, 3, v5
	v_cmp_le_i32_e64 s15, v70, v69
	s_and_b32 s14, s14, s15
	s_delay_alu instid0(SALU_CYCLE_1) | instskip(NEXT) | instid1(SALU_CYCLE_1)
	s_or_b32 s14, s16, s14
	v_cndmask_b32_e64 v14, v32, v15, s14
	v_lshl_add_u32 v15, v26, 3, v5
	v_lshl_add_u32 v32, v28, 3, v5
	s_delay_alu instid0(VALU_DEP_3)
	v_lshl_add_u32 v14, v14, 3, v5
	ds_load_b64 v[28:29], v15 offset:8192
	ds_load_b64 v[26:27], v19 offset:8192
	ds_load_b64 v[36:37], v32 offset:8192
	ds_load_b64 v[32:33], v33 offset:8192
	ds_load_b64 v[34:35], v14 offset:8192
	v_dual_cndmask_b32 v14, v11, v10, s7 :: v_dual_cndmask_b32 v15, v16, v17, s8
	v_dual_cndmask_b32 v19, v65, v66, s12 :: v_dual_cndmask_b32 v16, v67, v68, s13
	v_cndmask_b32_e64 v17, v69, v70, s14
.LBB606_190:
	s_or_b32 exec_lo, exec_lo, s18
	v_and_b32_e32 v54, 0xe0, v50
	s_delay_alu instid0(VALU_DEP_2) | instskip(SKIP_1) | instid1(VALU_DEP_2)
	v_dual_mov_b32 v67, v17 :: v_dual_bitop2_b32 v52, 24, v50 bitop3:0x40
	s_mov_b32 s8, exec_lo
	v_dual_mov_b32 v66, v16 :: v_dual_bitop2_b32 v10, 16, v54 bitop3:0x54
	s_delay_alu instid0(VALU_DEP_2)
	v_min_u32_e32 v55, v31, v52
	; wave barrier
	s_wait_dscnt 0x6
	ds_store_2addr_b64 v38, v[12:13], v[22:23] offset1:1
	s_wait_dscnt 0x5
	ds_store_2addr_b64 v39, v[20:21], v[28:29] offset1:1
	ds_store_2addr_b64 v30, v[14:15], v[24:25] offset1:1
	ds_store_2addr_b64 v30, v[18:19], v[66:67] offset0:2 offset1:3
	v_min_u32_e32 v10, v31, v10
	s_wait_dscnt 0x6
	ds_store_2addr_b64 v48, v[26:27], v[36:37] offset1:1
	s_wait_dscnt 0x5
	ds_store_2addr_b64 v49, v[32:33], v[34:35] offset1:1
	; wave barrier
	v_add_min_u32_e64 v11, v10, 16, v31
	v_sub_nc_u32_e32 v52, v10, v54
	s_delay_alu instid0(VALU_DEP_2) | instskip(NEXT) | instid1(VALU_DEP_2)
	v_sub_nc_u32_e32 v53, v11, v10
	v_min_u32_e32 v64, v55, v52
	s_delay_alu instid0(VALU_DEP_2) | instskip(SKIP_1) | instid1(VALU_DEP_2)
	v_sub_nc_u32_e64 v52, v55, v53 clamp
	v_lshl_add_u32 v53, v54, 2, v1
	v_cmpx_lt_u32_e64 v52, v64
	s_cbranch_execz .LBB606_194
; %bb.191:
	v_dual_lshlrev_b32 v65, 2, v10 :: v_dual_lshlrev_b32 v66, 2, v55
	s_mov_b32 s9, 0
	s_delay_alu instid0(VALU_DEP_1)
	v_add3_u32 v65, v1, v65, v66
.LBB606_192:                            ; =>This Inner Loop Header: Depth=1
	v_add_nc_u32_e32 v66, v64, v52
	s_delay_alu instid0(VALU_DEP_1) | instskip(NEXT) | instid1(VALU_DEP_1)
	v_lshrrev_b32_e32 v66, 1, v66
	v_not_b32_e32 v67, v66
	v_lshl_add_u32 v68, v66, 2, v53
	s_delay_alu instid0(VALU_DEP_2) | instskip(SKIP_4) | instid1(VALU_DEP_1)
	v_lshl_add_u32 v67, v67, 2, v65
	ds_load_b32 v68, v68
	ds_load_b32 v67, v67
	s_wait_dscnt 0x0
	v_cmp_gt_i32_e64 s7, v68, v67
	v_dual_add_nc_u32 v69, 1, v66 :: v_dual_cndmask_b32 v64, v64, v66, s7
	s_delay_alu instid0(VALU_DEP_1) | instskip(NEXT) | instid1(VALU_DEP_1)
	v_cndmask_b32_e64 v52, v69, v52, s7
	v_cmp_ge_u32_e64 s7, v52, v64
	s_or_b32 s9, s7, s9
	s_delay_alu instid0(SALU_CYCLE_1)
	s_and_not1_b32 exec_lo, exec_lo, s9
	s_cbranch_execnz .LBB606_192
; %bb.193:
	s_or_b32 exec_lo, exec_lo, s9
.LBB606_194:
	s_delay_alu instid0(SALU_CYCLE_1) | instskip(SKIP_1) | instid1(VALU_DEP_1)
	s_or_b32 exec_lo, exec_lo, s8
	v_dual_add_nc_u32 v64, v10, v55 :: v_dual_add_nc_u32 v55, v52, v54
	v_sub_nc_u32_e32 v54, v64, v52
	s_delay_alu instid0(VALU_DEP_2) | instskip(NEXT) | instid1(VALU_DEP_2)
	v_cmp_le_u32_e64 s7, v55, v10
	v_cmp_le_u32_e64 s8, v54, v11
	s_or_b32 s7, s7, s8
	s_delay_alu instid0(SALU_CYCLE_1)
	s_and_saveexec_b32 s18, s7
	s_cbranch_execz .LBB606_200
; %bb.195:
	v_cmp_lt_u32_e64 s7, v55, v10
                                        ; implicit-def: $vgpr14
	s_and_saveexec_b32 s8, s7
; %bb.196:
	v_lshl_add_u32 v12, v52, 2, v53
	ds_load_b32 v14, v12
; %bb.197:
	s_or_b32 exec_lo, exec_lo, s8
	v_cmp_ge_u32_e64 s8, v54, v11
	s_mov_b32 s10, exec_lo
                                        ; implicit-def: $vgpr15
	v_cmpx_lt_u32_e64 v54, v11
; %bb.198:
	v_lshl_add_u32 v12, v54, 2, v1
	ds_load_b32 v15, v12
; %bb.199:
	s_or_b32 exec_lo, exec_lo, s10
	s_wait_dscnt 0x0
	v_cmp_le_i32_e64 s9, v14, v15
	s_and_b32 s7, s7, s9
	s_delay_alu instid0(SALU_CYCLE_1) | instskip(NEXT) | instid1(SALU_CYCLE_1)
	s_or_b32 s7, s8, s7
	v_dual_cndmask_b32 v12, v54, v55, s7 :: v_dual_cndmask_b32 v13, v11, v10, s7
	s_delay_alu instid0(VALU_DEP_1) | instskip(SKIP_1) | instid1(VALU_DEP_2)
	v_add_nc_u32_e32 v16, 1, v12
	v_lshl_add_u32 v12, v12, 3, v5
	v_add_min_u32_e64 v13, v13, -1, v16
	s_delay_alu instid0(VALU_DEP_1)
	v_lshl_add_u32 v13, v13, 2, v1
	ds_load_b32 v13, v13
	s_wait_dscnt 0x0
	v_dual_cndmask_b32 v18, v13, v15, s7 :: v_dual_cndmask_b32 v17, v55, v16, s7
	v_dual_cndmask_b32 v19, v14, v13, s7 :: v_dual_cndmask_b32 v13, v16, v54, s7
	v_cndmask_b32_e64 v14, v15, v14, s7
	s_delay_alu instid0(VALU_DEP_3) | instskip(NEXT) | instid1(VALU_DEP_3)
	v_cmp_lt_u32_e64 s8, v17, v10
	v_cmp_le_i32_e64 s9, v19, v18
	s_delay_alu instid0(VALU_DEP_4) | instskip(SKIP_1) | instid1(SALU_CYCLE_1)
	v_cmp_ge_u32_e64 s10, v13, v11
	s_and_b32 s8, s8, s9
	s_or_b32 s8, s10, s8
	s_delay_alu instid0(SALU_CYCLE_1) | instskip(NEXT) | instid1(VALU_DEP_1)
	v_dual_cndmask_b32 v16, v13, v17, s8 :: v_dual_cndmask_b32 v20, v11, v10, s8
	v_dual_cndmask_b32 v15, v18, v19, s8 :: v_dual_add_nc_u32 v21, 1, v16
	v_lshl_add_u32 v16, v16, 3, v5
	s_delay_alu instid0(VALU_DEP_2) | instskip(SKIP_1) | instid1(VALU_DEP_2)
	v_add_min_u32_e64 v20, v20, -1, v21
	v_cndmask_b32_e64 v13, v21, v13, s8
	v_lshl_add_u32 v20, v20, 2, v1
	s_delay_alu instid0(VALU_DEP_2) | instskip(SKIP_4) | instid1(VALU_DEP_2)
	v_cmp_ge_u32_e64 s11, v13, v11
	ds_load_b32 v20, v20
	s_wait_dscnt 0x0
	v_dual_cndmask_b32 v17, v17, v21, s8 :: v_dual_cndmask_b32 v24, v20, v18, s8
	v_cndmask_b32_e64 v25, v19, v20, s8
	v_cmp_lt_u32_e64 s9, v17, v10
	s_delay_alu instid0(VALU_DEP_2) | instskip(SKIP_1) | instid1(SALU_CYCLE_1)
	v_cmp_le_i32_e64 s10, v25, v24
	s_and_b32 s9, s9, s10
	s_or_b32 s9, s11, s9
	s_delay_alu instid0(SALU_CYCLE_1) | instskip(NEXT) | instid1(VALU_DEP_1)
	v_dual_cndmask_b32 v20, v13, v17, s9 :: v_dual_cndmask_b32 v21, v11, v10, s9
	v_add_nc_u32_e32 v22, 1, v20
	s_delay_alu instid0(VALU_DEP_1) | instskip(NEXT) | instid1(VALU_DEP_1)
	v_add_min_u32_e64 v21, v21, -1, v22
	v_lshl_add_u32 v21, v21, 2, v1
	ds_load_b32 v21, v21
	s_wait_dscnt 0x0
	v_cndmask_b32_e64 v52, v21, v24, s9
	v_cndmask_b32_e64 v53, v25, v21, s9
	v_dual_cndmask_b32 v17, v17, v22, s9 :: v_dual_cndmask_b32 v13, v22, v13, s9
	s_delay_alu instid0(VALU_DEP_2) | instskip(NEXT) | instid1(VALU_DEP_2)
	v_cmp_le_i32_e64 s11, v53, v52
	v_cmp_lt_u32_e64 s10, v17, v10
	s_delay_alu instid0(VALU_DEP_3) | instskip(SKIP_1) | instid1(SALU_CYCLE_1)
	v_cmp_ge_u32_e64 s12, v13, v11
	s_and_b32 s10, s10, s11
	s_or_b32 s10, s12, s10
	s_delay_alu instid0(SALU_CYCLE_1) | instskip(NEXT) | instid1(VALU_DEP_1)
	v_dual_cndmask_b32 v26, v13, v17, s10 :: v_dual_cndmask_b32 v21, v11, v10, s10
	v_add_nc_u32_e32 v22, 1, v26
	s_delay_alu instid0(VALU_DEP_1) | instskip(NEXT) | instid1(VALU_DEP_1)
	v_add_min_u32_e64 v21, v21, -1, v22
	v_lshl_add_u32 v21, v21, 2, v1
	ds_load_b32 v21, v21
	s_wait_dscnt 0x0
	v_cndmask_b32_e64 v54, v21, v52, s10
	v_dual_cndmask_b32 v17, v17, v22, s10 :: v_dual_cndmask_b32 v13, v22, v13, s10
	v_cndmask_b32_e64 v55, v53, v21, s10
	s_delay_alu instid0(VALU_DEP_2) | instskip(NEXT) | instid1(VALU_DEP_3)
	v_cmp_lt_u32_e64 s11, v17, v10
	v_cmp_ge_u32_e64 s13, v13, v11
	s_delay_alu instid0(VALU_DEP_3) | instskip(SKIP_1) | instid1(SALU_CYCLE_1)
	v_cmp_le_i32_e64 s12, v55, v54
	s_and_b32 s11, s11, s12
	s_or_b32 s11, s13, s11
	s_delay_alu instid0(SALU_CYCLE_1) | instskip(SKIP_1) | instid1(VALU_DEP_2)
	v_dual_cndmask_b32 v27, v13, v17, s11 :: v_dual_cndmask_b32 v21, v11, v10, s11
	v_dual_cndmask_b32 v24, v24, v25, s9 :: v_dual_cndmask_b32 v18, v54, v55, s11
	v_add_nc_u32_e32 v22, 1, v27
	s_delay_alu instid0(VALU_DEP_1) | instskip(NEXT) | instid1(VALU_DEP_1)
	v_add_min_u32_e64 v21, v21, -1, v22
	v_lshl_add_u32 v21, v21, 2, v1
	ds_load_b32 v21, v21
	s_wait_dscnt 0x0
	v_cndmask_b32_e64 v64, v21, v54, s11
	v_dual_cndmask_b32 v17, v17, v22, s11 :: v_dual_cndmask_b32 v65, v55, v21, s11
	v_cndmask_b32_e64 v13, v22, v13, s11
	s_delay_alu instid0(VALU_DEP_2) | instskip(NEXT) | instid1(VALU_DEP_3)
	v_cmp_lt_u32_e64 s12, v17, v10
	v_cmp_le_i32_e64 s13, v65, v64
	s_delay_alu instid0(VALU_DEP_3) | instskip(SKIP_1) | instid1(SALU_CYCLE_1)
	v_cmp_ge_u32_e64 s14, v13, v11
	s_and_b32 s12, s12, s13
	s_or_b32 s12, s14, s12
	s_delay_alu instid0(SALU_CYCLE_1) | instskip(NEXT) | instid1(VALU_DEP_1)
	v_dual_cndmask_b32 v21, v11, v10, s12 :: v_dual_cndmask_b32 v28, v13, v17, s12
	v_dual_cndmask_b32 v19, v64, v65, s12 :: v_dual_add_nc_u32 v22, 1, v28
	s_delay_alu instid0(VALU_DEP_1) | instskip(NEXT) | instid1(VALU_DEP_1)
	v_add_min_u32_e64 v21, v21, -1, v22
	v_lshl_add_u32 v21, v21, 2, v1
	ds_load_b32 v21, v21
	s_wait_dscnt 0x0
	v_cndmask_b32_e64 v66, v21, v64, s12
	v_cndmask_b32_e64 v67, v65, v21, s12
	v_dual_cndmask_b32 v17, v17, v22, s12 :: v_dual_cndmask_b32 v13, v22, v13, s12
	s_delay_alu instid0(VALU_DEP_2) | instskip(NEXT) | instid1(VALU_DEP_2)
	v_cmp_le_i32_e64 s14, v67, v66
	v_cmp_lt_u32_e64 s13, v17, v10
	s_delay_alu instid0(VALU_DEP_3) | instskip(SKIP_1) | instid1(SALU_CYCLE_1)
	v_cmp_ge_u32_e64 s15, v13, v11
	s_and_b32 s13, s13, s14
	s_or_b32 s13, s15, s13
	s_delay_alu instid0(SALU_CYCLE_1) | instskip(SKIP_1) | instid1(VALU_DEP_2)
	v_dual_cndmask_b32 v29, v13, v17, s13 :: v_dual_cndmask_b32 v21, v11, v10, s13
	v_cndmask_b32_e64 v25, v52, v53, s10
	v_add_nc_u32_e32 v22, 1, v29
	s_delay_alu instid0(VALU_DEP_1) | instskip(NEXT) | instid1(VALU_DEP_1)
	v_add_min_u32_e64 v21, v21, -1, v22
	v_lshl_add_u32 v21, v21, 2, v1
	ds_load_b32 v21, v21
	s_wait_dscnt 0x0
	v_cndmask_b32_e64 v68, v21, v66, s13
	v_dual_cndmask_b32 v17, v17, v22, s13 :: v_dual_cndmask_b32 v69, v67, v21, s13
	v_cndmask_b32_e64 v32, v22, v13, s13
	ds_load_b64 v[12:13], v12 offset:8192
	ds_load_b64 v[22:23], v16 offset:8192
	v_lshl_add_u32 v16, v27, 3, v5
	v_cmp_lt_u32_e64 s14, v17, v10
	v_cmp_le_i32_e64 s15, v69, v68
	v_cmp_ge_u32_e64 s16, v32, v11
	v_lshl_add_u32 v10, v20, 3, v5
	v_lshl_add_u32 v11, v26, 3, v5
	s_and_b32 s14, s14, s15
	s_delay_alu instid0(SALU_CYCLE_1) | instskip(SKIP_4) | instid1(VALU_DEP_3)
	s_or_b32 s14, s16, s14
	ds_load_b64 v[20:21], v10 offset:8192
	v_cndmask_b32_e64 v10, v32, v17, s14
	v_lshl_add_u32 v17, v28, 3, v5
	v_lshl_add_u32 v32, v29, 3, v5
	;; [unrolled: 1-line block ×3, first 2 shown]
	ds_load_b64 v[28:29], v11 offset:8192
	ds_load_b64 v[26:27], v16 offset:8192
	;; [unrolled: 1-line block ×5, first 2 shown]
	v_dual_cndmask_b32 v16, v66, v67, s13 :: v_dual_cndmask_b32 v17, v68, v69, s14
.LBB606_200:
	s_or_b32 exec_lo, exec_lo, s18
	v_and_b32_e32 v54, 0xc0, v50
	s_delay_alu instid0(VALU_DEP_2) | instskip(SKIP_1) | instid1(VALU_DEP_2)
	v_dual_mov_b32 v67, v17 :: v_dual_bitop2_b32 v52, 56, v50 bitop3:0x40
	s_mov_b32 s8, exec_lo
	v_dual_mov_b32 v66, v16 :: v_dual_bitop2_b32 v10, 32, v54 bitop3:0x54
	s_delay_alu instid0(VALU_DEP_2)
	v_min_u32_e32 v55, v31, v52
	; wave barrier
	s_wait_dscnt 0x6
	ds_store_2addr_b64 v38, v[12:13], v[22:23] offset1:1
	s_wait_dscnt 0x5
	ds_store_2addr_b64 v39, v[20:21], v[28:29] offset1:1
	ds_store_2addr_b64 v30, v[14:15], v[24:25] offset1:1
	ds_store_2addr_b64 v30, v[18:19], v[66:67] offset0:2 offset1:3
	v_min_u32_e32 v10, v31, v10
	s_wait_dscnt 0x6
	ds_store_2addr_b64 v48, v[26:27], v[36:37] offset1:1
	s_wait_dscnt 0x5
	ds_store_2addr_b64 v49, v[32:33], v[34:35] offset1:1
	; wave barrier
	v_add_min_u32_e64 v11, v10, 32, v31
	v_sub_nc_u32_e32 v52, v10, v54
	s_delay_alu instid0(VALU_DEP_2) | instskip(NEXT) | instid1(VALU_DEP_2)
	v_sub_nc_u32_e32 v53, v11, v10
	v_min_u32_e32 v64, v55, v52
	s_delay_alu instid0(VALU_DEP_2) | instskip(SKIP_1) | instid1(VALU_DEP_2)
	v_sub_nc_u32_e64 v52, v55, v53 clamp
	v_lshl_add_u32 v53, v54, 2, v1
	v_cmpx_lt_u32_e64 v52, v64
	s_cbranch_execz .LBB606_204
; %bb.201:
	v_dual_lshlrev_b32 v65, 2, v10 :: v_dual_lshlrev_b32 v66, 2, v55
	s_mov_b32 s9, 0
	s_delay_alu instid0(VALU_DEP_1)
	v_add3_u32 v65, v1, v65, v66
.LBB606_202:                            ; =>This Inner Loop Header: Depth=1
	v_add_nc_u32_e32 v66, v64, v52
	s_delay_alu instid0(VALU_DEP_1) | instskip(NEXT) | instid1(VALU_DEP_1)
	v_lshrrev_b32_e32 v66, 1, v66
	v_not_b32_e32 v67, v66
	v_lshl_add_u32 v68, v66, 2, v53
	s_delay_alu instid0(VALU_DEP_2) | instskip(SKIP_4) | instid1(VALU_DEP_1)
	v_lshl_add_u32 v67, v67, 2, v65
	ds_load_b32 v68, v68
	ds_load_b32 v67, v67
	s_wait_dscnt 0x0
	v_cmp_gt_i32_e64 s7, v68, v67
	v_dual_add_nc_u32 v69, 1, v66 :: v_dual_cndmask_b32 v64, v64, v66, s7
	s_delay_alu instid0(VALU_DEP_1) | instskip(NEXT) | instid1(VALU_DEP_1)
	v_cndmask_b32_e64 v52, v69, v52, s7
	v_cmp_ge_u32_e64 s7, v52, v64
	s_or_b32 s9, s7, s9
	s_delay_alu instid0(SALU_CYCLE_1)
	s_and_not1_b32 exec_lo, exec_lo, s9
	s_cbranch_execnz .LBB606_202
; %bb.203:
	s_or_b32 exec_lo, exec_lo, s9
.LBB606_204:
	s_delay_alu instid0(SALU_CYCLE_1) | instskip(SKIP_1) | instid1(VALU_DEP_1)
	s_or_b32 exec_lo, exec_lo, s8
	v_dual_add_nc_u32 v64, v10, v55 :: v_dual_add_nc_u32 v55, v52, v54
	v_sub_nc_u32_e32 v54, v64, v52
	s_delay_alu instid0(VALU_DEP_2) | instskip(NEXT) | instid1(VALU_DEP_2)
	v_cmp_le_u32_e64 s7, v55, v10
	v_cmp_le_u32_e64 s8, v54, v11
	s_or_b32 s7, s7, s8
	s_delay_alu instid0(SALU_CYCLE_1)
	s_and_saveexec_b32 s18, s7
	s_cbranch_execz .LBB606_210
; %bb.205:
	v_cmp_lt_u32_e64 s7, v55, v10
                                        ; implicit-def: $vgpr14
	s_and_saveexec_b32 s8, s7
; %bb.206:
	v_lshl_add_u32 v12, v52, 2, v53
	ds_load_b32 v14, v12
; %bb.207:
	s_or_b32 exec_lo, exec_lo, s8
	v_cmp_ge_u32_e64 s8, v54, v11
	s_mov_b32 s10, exec_lo
                                        ; implicit-def: $vgpr15
	v_cmpx_lt_u32_e64 v54, v11
; %bb.208:
	v_lshl_add_u32 v12, v54, 2, v1
	ds_load_b32 v15, v12
; %bb.209:
	s_or_b32 exec_lo, exec_lo, s10
	s_wait_dscnt 0x0
	v_cmp_le_i32_e64 s9, v14, v15
	s_and_b32 s7, s7, s9
	s_delay_alu instid0(SALU_CYCLE_1) | instskip(NEXT) | instid1(SALU_CYCLE_1)
	s_or_b32 s7, s8, s7
	v_dual_cndmask_b32 v12, v54, v55, s7 :: v_dual_cndmask_b32 v13, v11, v10, s7
	s_delay_alu instid0(VALU_DEP_1) | instskip(SKIP_1) | instid1(VALU_DEP_2)
	v_add_nc_u32_e32 v16, 1, v12
	v_lshl_add_u32 v12, v12, 3, v5
	v_add_min_u32_e64 v13, v13, -1, v16
	s_delay_alu instid0(VALU_DEP_1)
	v_lshl_add_u32 v13, v13, 2, v1
	ds_load_b32 v13, v13
	s_wait_dscnt 0x0
	v_dual_cndmask_b32 v18, v13, v15, s7 :: v_dual_cndmask_b32 v17, v55, v16, s7
	v_dual_cndmask_b32 v19, v14, v13, s7 :: v_dual_cndmask_b32 v13, v16, v54, s7
	v_cndmask_b32_e64 v14, v15, v14, s7
	s_delay_alu instid0(VALU_DEP_3) | instskip(NEXT) | instid1(VALU_DEP_3)
	v_cmp_lt_u32_e64 s8, v17, v10
	v_cmp_le_i32_e64 s9, v19, v18
	s_delay_alu instid0(VALU_DEP_4) | instskip(SKIP_1) | instid1(SALU_CYCLE_1)
	v_cmp_ge_u32_e64 s10, v13, v11
	s_and_b32 s8, s8, s9
	s_or_b32 s8, s10, s8
	s_delay_alu instid0(SALU_CYCLE_1) | instskip(NEXT) | instid1(VALU_DEP_1)
	v_dual_cndmask_b32 v16, v13, v17, s8 :: v_dual_cndmask_b32 v20, v11, v10, s8
	v_dual_cndmask_b32 v15, v18, v19, s8 :: v_dual_add_nc_u32 v21, 1, v16
	v_lshl_add_u32 v16, v16, 3, v5
	s_delay_alu instid0(VALU_DEP_2) | instskip(SKIP_1) | instid1(VALU_DEP_2)
	v_add_min_u32_e64 v20, v20, -1, v21
	v_cndmask_b32_e64 v13, v21, v13, s8
	v_lshl_add_u32 v20, v20, 2, v1
	s_delay_alu instid0(VALU_DEP_2) | instskip(SKIP_4) | instid1(VALU_DEP_2)
	v_cmp_ge_u32_e64 s11, v13, v11
	ds_load_b32 v20, v20
	s_wait_dscnt 0x0
	v_dual_cndmask_b32 v17, v17, v21, s8 :: v_dual_cndmask_b32 v24, v20, v18, s8
	v_cndmask_b32_e64 v25, v19, v20, s8
	v_cmp_lt_u32_e64 s9, v17, v10
	s_delay_alu instid0(VALU_DEP_2) | instskip(SKIP_1) | instid1(SALU_CYCLE_1)
	v_cmp_le_i32_e64 s10, v25, v24
	s_and_b32 s9, s9, s10
	s_or_b32 s9, s11, s9
	s_delay_alu instid0(SALU_CYCLE_1) | instskip(NEXT) | instid1(VALU_DEP_1)
	v_dual_cndmask_b32 v20, v13, v17, s9 :: v_dual_cndmask_b32 v21, v11, v10, s9
	v_add_nc_u32_e32 v22, 1, v20
	s_delay_alu instid0(VALU_DEP_1) | instskip(NEXT) | instid1(VALU_DEP_1)
	v_add_min_u32_e64 v21, v21, -1, v22
	v_lshl_add_u32 v21, v21, 2, v1
	ds_load_b32 v21, v21
	s_wait_dscnt 0x0
	v_cndmask_b32_e64 v52, v21, v24, s9
	v_cndmask_b32_e64 v53, v25, v21, s9
	v_dual_cndmask_b32 v17, v17, v22, s9 :: v_dual_cndmask_b32 v13, v22, v13, s9
	s_delay_alu instid0(VALU_DEP_2) | instskip(NEXT) | instid1(VALU_DEP_2)
	v_cmp_le_i32_e64 s11, v53, v52
	v_cmp_lt_u32_e64 s10, v17, v10
	s_delay_alu instid0(VALU_DEP_3) | instskip(SKIP_1) | instid1(SALU_CYCLE_1)
	v_cmp_ge_u32_e64 s12, v13, v11
	s_and_b32 s10, s10, s11
	s_or_b32 s10, s12, s10
	s_delay_alu instid0(SALU_CYCLE_1) | instskip(NEXT) | instid1(VALU_DEP_1)
	v_dual_cndmask_b32 v26, v13, v17, s10 :: v_dual_cndmask_b32 v21, v11, v10, s10
	v_add_nc_u32_e32 v22, 1, v26
	s_delay_alu instid0(VALU_DEP_1) | instskip(NEXT) | instid1(VALU_DEP_1)
	v_add_min_u32_e64 v21, v21, -1, v22
	v_lshl_add_u32 v21, v21, 2, v1
	ds_load_b32 v21, v21
	s_wait_dscnt 0x0
	v_cndmask_b32_e64 v54, v21, v52, s10
	v_dual_cndmask_b32 v17, v17, v22, s10 :: v_dual_cndmask_b32 v13, v22, v13, s10
	v_cndmask_b32_e64 v55, v53, v21, s10
	s_delay_alu instid0(VALU_DEP_2) | instskip(NEXT) | instid1(VALU_DEP_3)
	v_cmp_lt_u32_e64 s11, v17, v10
	v_cmp_ge_u32_e64 s13, v13, v11
	s_delay_alu instid0(VALU_DEP_3) | instskip(SKIP_1) | instid1(SALU_CYCLE_1)
	v_cmp_le_i32_e64 s12, v55, v54
	s_and_b32 s11, s11, s12
	s_or_b32 s11, s13, s11
	s_delay_alu instid0(SALU_CYCLE_1) | instskip(SKIP_1) | instid1(VALU_DEP_2)
	v_dual_cndmask_b32 v27, v13, v17, s11 :: v_dual_cndmask_b32 v21, v11, v10, s11
	v_dual_cndmask_b32 v24, v24, v25, s9 :: v_dual_cndmask_b32 v18, v54, v55, s11
	v_add_nc_u32_e32 v22, 1, v27
	s_delay_alu instid0(VALU_DEP_1) | instskip(NEXT) | instid1(VALU_DEP_1)
	v_add_min_u32_e64 v21, v21, -1, v22
	v_lshl_add_u32 v21, v21, 2, v1
	ds_load_b32 v21, v21
	s_wait_dscnt 0x0
	v_cndmask_b32_e64 v64, v21, v54, s11
	v_dual_cndmask_b32 v17, v17, v22, s11 :: v_dual_cndmask_b32 v65, v55, v21, s11
	v_cndmask_b32_e64 v13, v22, v13, s11
	s_delay_alu instid0(VALU_DEP_2) | instskip(NEXT) | instid1(VALU_DEP_3)
	v_cmp_lt_u32_e64 s12, v17, v10
	v_cmp_le_i32_e64 s13, v65, v64
	s_delay_alu instid0(VALU_DEP_3) | instskip(SKIP_1) | instid1(SALU_CYCLE_1)
	v_cmp_ge_u32_e64 s14, v13, v11
	s_and_b32 s12, s12, s13
	s_or_b32 s12, s14, s12
	s_delay_alu instid0(SALU_CYCLE_1) | instskip(NEXT) | instid1(VALU_DEP_1)
	v_dual_cndmask_b32 v21, v11, v10, s12 :: v_dual_cndmask_b32 v28, v13, v17, s12
	v_dual_cndmask_b32 v19, v64, v65, s12 :: v_dual_add_nc_u32 v22, 1, v28
	s_delay_alu instid0(VALU_DEP_1) | instskip(NEXT) | instid1(VALU_DEP_1)
	v_add_min_u32_e64 v21, v21, -1, v22
	v_lshl_add_u32 v21, v21, 2, v1
	ds_load_b32 v21, v21
	s_wait_dscnt 0x0
	v_cndmask_b32_e64 v66, v21, v64, s12
	v_cndmask_b32_e64 v67, v65, v21, s12
	v_dual_cndmask_b32 v17, v17, v22, s12 :: v_dual_cndmask_b32 v13, v22, v13, s12
	s_delay_alu instid0(VALU_DEP_2) | instskip(NEXT) | instid1(VALU_DEP_2)
	v_cmp_le_i32_e64 s14, v67, v66
	v_cmp_lt_u32_e64 s13, v17, v10
	s_delay_alu instid0(VALU_DEP_3) | instskip(SKIP_1) | instid1(SALU_CYCLE_1)
	v_cmp_ge_u32_e64 s15, v13, v11
	s_and_b32 s13, s13, s14
	s_or_b32 s13, s15, s13
	s_delay_alu instid0(SALU_CYCLE_1) | instskip(SKIP_1) | instid1(VALU_DEP_2)
	v_dual_cndmask_b32 v29, v13, v17, s13 :: v_dual_cndmask_b32 v21, v11, v10, s13
	v_cndmask_b32_e64 v25, v52, v53, s10
	v_add_nc_u32_e32 v22, 1, v29
	s_delay_alu instid0(VALU_DEP_1) | instskip(NEXT) | instid1(VALU_DEP_1)
	v_add_min_u32_e64 v21, v21, -1, v22
	v_lshl_add_u32 v21, v21, 2, v1
	ds_load_b32 v21, v21
	s_wait_dscnt 0x0
	v_cndmask_b32_e64 v68, v21, v66, s13
	v_dual_cndmask_b32 v17, v17, v22, s13 :: v_dual_cndmask_b32 v69, v67, v21, s13
	v_cndmask_b32_e64 v32, v22, v13, s13
	ds_load_b64 v[12:13], v12 offset:8192
	ds_load_b64 v[22:23], v16 offset:8192
	v_lshl_add_u32 v16, v27, 3, v5
	v_cmp_lt_u32_e64 s14, v17, v10
	v_cmp_le_i32_e64 s15, v69, v68
	v_cmp_ge_u32_e64 s16, v32, v11
	v_lshl_add_u32 v10, v20, 3, v5
	v_lshl_add_u32 v11, v26, 3, v5
	s_and_b32 s14, s14, s15
	s_delay_alu instid0(SALU_CYCLE_1) | instskip(SKIP_4) | instid1(VALU_DEP_3)
	s_or_b32 s14, s16, s14
	ds_load_b64 v[20:21], v10 offset:8192
	v_cndmask_b32_e64 v10, v32, v17, s14
	v_lshl_add_u32 v17, v28, 3, v5
	v_lshl_add_u32 v32, v29, 3, v5
	;; [unrolled: 1-line block ×3, first 2 shown]
	ds_load_b64 v[28:29], v11 offset:8192
	ds_load_b64 v[26:27], v16 offset:8192
	;; [unrolled: 1-line block ×5, first 2 shown]
	v_dual_cndmask_b32 v16, v66, v67, s13 :: v_dual_cndmask_b32 v17, v68, v69, s14
.LBB606_210:
	s_or_b32 exec_lo, exec_lo, s18
	v_and_b32_e32 v50, 0x80, v50
	v_min_u32_e32 v51, v31, v51
	s_delay_alu instid0(VALU_DEP_3) | instskip(NEXT) | instid1(VALU_DEP_3)
	v_mov_b32_e32 v55, v17
	; wave barrier
	v_or_b32_e32 v10, 64, v50
	s_mov_b32 s8, exec_lo
	v_mov_b32_e32 v54, v16
	s_wait_dscnt 0x6
	ds_store_2addr_b64 v38, v[12:13], v[22:23] offset1:1
	s_wait_dscnt 0x5
	ds_store_2addr_b64 v39, v[20:21], v[28:29] offset1:1
	ds_store_2addr_b64 v30, v[14:15], v[24:25] offset1:1
	ds_store_2addr_b64 v30, v[18:19], v[54:55] offset0:2 offset1:3
	v_min_u32_e32 v11, v31, v10
	v_lshl_add_u32 v30, v50, 2, v1
	s_wait_dscnt 0x6
	ds_store_2addr_b64 v48, v[26:27], v[36:37] offset1:1
	s_wait_dscnt 0x5
	ds_store_2addr_b64 v49, v[32:33], v[34:35] offset1:1
	; wave barrier
	v_add_min_u32_e64 v10, v11, 64, v31
	s_delay_alu instid0(VALU_DEP_1) | instskip(NEXT) | instid1(VALU_DEP_1)
	v_dual_sub_nc_u32 v31, v11, v50 :: v_dual_sub_nc_u32 v53, v10, v11
	v_min_u32_e32 v52, v51, v31
	s_delay_alu instid0(VALU_DEP_2) | instskip(NEXT) | instid1(VALU_DEP_1)
	v_sub_nc_u32_e64 v31, v51, v53 clamp
	v_cmpx_lt_u32_e64 v31, v52
	s_cbranch_execz .LBB606_214
; %bb.211:
	v_lshlrev_b32_e32 v38, 2, v11
	v_lshlrev_b32_e32 v39, 2, v51
	s_mov_b32 s9, 0
	s_delay_alu instid0(VALU_DEP_1)
	v_add3_u32 v38, v1, v38, v39
.LBB606_212:                            ; =>This Inner Loop Header: Depth=1
	v_add_nc_u32_e32 v39, v52, v31
	s_delay_alu instid0(VALU_DEP_1) | instskip(NEXT) | instid1(VALU_DEP_1)
	v_lshrrev_b32_e32 v39, 1, v39
	v_not_b32_e32 v48, v39
	v_lshl_add_u32 v49, v39, 2, v30
	s_delay_alu instid0(VALU_DEP_2) | instskip(SKIP_4) | instid1(VALU_DEP_1)
	v_lshl_add_u32 v48, v48, 2, v38
	ds_load_b32 v49, v49
	ds_load_b32 v48, v48
	s_wait_dscnt 0x0
	v_cmp_gt_i32_e64 s7, v49, v48
	v_dual_add_nc_u32 v53, 1, v39 :: v_dual_cndmask_b32 v52, v52, v39, s7
	s_delay_alu instid0(VALU_DEP_1) | instskip(NEXT) | instid1(VALU_DEP_1)
	v_cndmask_b32_e64 v31, v53, v31, s7
	v_cmp_ge_u32_e64 s7, v31, v52
	s_or_b32 s9, s7, s9
	s_delay_alu instid0(SALU_CYCLE_1)
	s_and_not1_b32 exec_lo, exec_lo, s9
	s_cbranch_execnz .LBB606_212
; %bb.213:
	s_or_b32 exec_lo, exec_lo, s9
.LBB606_214:
	s_delay_alu instid0(SALU_CYCLE_1) | instskip(SKIP_1) | instid1(VALU_DEP_1)
	s_or_b32 exec_lo, exec_lo, s8
	v_add_nc_u32_e32 v38, v11, v51
	v_dual_add_nc_u32 v39, v31, v50 :: v_dual_sub_nc_u32 v38, v38, v31
	s_delay_alu instid0(VALU_DEP_1) | instskip(NEXT) | instid1(VALU_DEP_2)
	v_cmp_le_u32_e64 s7, v39, v11
	v_cmp_le_u32_e64 s8, v38, v10
	s_or_b32 s7, s7, s8
	s_delay_alu instid0(SALU_CYCLE_1)
	s_and_saveexec_b32 s18, s7
	s_cbranch_execz .LBB606_220
; %bb.215:
	v_cmp_lt_u32_e64 s7, v39, v11
                                        ; implicit-def: $vgpr14
	s_and_saveexec_b32 s8, s7
; %bb.216:
	v_lshl_add_u32 v12, v31, 2, v30
	ds_load_b32 v14, v12
; %bb.217:
	s_or_b32 exec_lo, exec_lo, s8
	v_cmp_ge_u32_e64 s8, v38, v10
	s_mov_b32 s10, exec_lo
                                        ; implicit-def: $vgpr15
	v_cmpx_lt_u32_e64 v38, v10
; %bb.218:
	v_lshl_add_u32 v12, v38, 2, v1
	ds_load_b32 v15, v12
; %bb.219:
	s_or_b32 exec_lo, exec_lo, s10
	s_wait_dscnt 0x0
	v_cmp_le_i32_e64 s9, v14, v15
	s_and_b32 s7, s7, s9
	s_delay_alu instid0(SALU_CYCLE_1) | instskip(NEXT) | instid1(SALU_CYCLE_1)
	s_or_b32 s7, s8, s7
	v_cndmask_b32_e64 v12, v38, v39, s7
	s_delay_alu instid0(VALU_DEP_1) | instskip(NEXT) | instid1(VALU_DEP_1)
	v_dual_cndmask_b32 v13, v10, v11, s7 :: v_dual_add_nc_u32 v16, 1, v12
	v_add_min_u32_e64 v13, v13, -1, v16
	v_cndmask_b32_e64 v17, v39, v16, s7
	v_lshl_add_u32 v12, v12, 3, v5
	s_delay_alu instid0(VALU_DEP_3) | instskip(NEXT) | instid1(VALU_DEP_3)
	v_lshl_add_u32 v13, v13, 2, v1
	v_cmp_lt_u32_e64 s8, v17, v11
	ds_load_b32 v13, v13
	s_wait_dscnt 0x0
	v_dual_cndmask_b32 v18, v13, v15, s7 :: v_dual_cndmask_b32 v19, v14, v13, s7
	v_cndmask_b32_e64 v13, v16, v38, s7
	v_cndmask_b32_e64 v14, v15, v14, s7
	s_delay_alu instid0(VALU_DEP_3) | instskip(NEXT) | instid1(VALU_DEP_3)
	v_cmp_le_i32_e64 s9, v19, v18
	v_cmp_ge_u32_e64 s10, v13, v10
	s_and_b32 s8, s8, s9
	s_delay_alu instid0(SALU_CYCLE_1) | instskip(NEXT) | instid1(SALU_CYCLE_1)
	s_or_b32 s8, s10, s8
	v_dual_cndmask_b32 v20, v10, v11, s8 :: v_dual_cndmask_b32 v16, v13, v17, s8
	s_delay_alu instid0(VALU_DEP_1) | instskip(NEXT) | instid1(VALU_DEP_1)
	v_add_nc_u32_e32 v21, 1, v16
	v_add_min_u32_e64 v20, v20, -1, v21
	v_cndmask_b32_e64 v13, v21, v13, s8
	s_delay_alu instid0(VALU_DEP_2) | instskip(NEXT) | instid1(VALU_DEP_2)
	v_lshl_add_u32 v20, v20, 2, v1
	v_cmp_ge_u32_e64 s11, v13, v10
	ds_load_b32 v20, v20
	s_wait_dscnt 0x0
	v_dual_cndmask_b32 v17, v17, v21, s8 :: v_dual_cndmask_b32 v25, v19, v20, s8
	v_cndmask_b32_e64 v24, v20, v18, s8
	s_delay_alu instid0(VALU_DEP_2) | instskip(SKIP_1) | instid1(VALU_DEP_3)
	v_cmp_lt_u32_e64 s9, v17, v11
	v_lshl_add_u32 v16, v16, 3, v5
	v_cmp_le_i32_e64 s10, v25, v24
	s_and_b32 s9, s9, s10
	s_delay_alu instid0(SALU_CYCLE_1) | instskip(SKIP_2) | instid1(VALU_DEP_1)
	s_or_b32 s9, s11, s9
	v_cndmask_b32_e64 v15, v18, v19, s8
	v_dual_cndmask_b32 v21, v10, v11, s9 :: v_dual_cndmask_b32 v20, v13, v17, s9
	v_add_nc_u32_e32 v22, 1, v20
	s_delay_alu instid0(VALU_DEP_1) | instskip(NEXT) | instid1(VALU_DEP_1)
	v_add_min_u32_e64 v21, v21, -1, v22
	v_lshl_add_u32 v21, v21, 2, v1
	ds_load_b32 v21, v21
	s_wait_dscnt 0x0
	v_cndmask_b32_e64 v30, v21, v24, s9
	v_cndmask_b32_e64 v31, v25, v21, s9
	v_dual_cndmask_b32 v17, v17, v22, s9 :: v_dual_cndmask_b32 v13, v22, v13, s9
	v_cndmask_b32_e64 v24, v24, v25, s9
	s_delay_alu instid0(VALU_DEP_3) | instskip(NEXT) | instid1(VALU_DEP_3)
	v_cmp_le_i32_e64 s11, v31, v30
	v_cmp_lt_u32_e64 s10, v17, v11
	s_delay_alu instid0(VALU_DEP_4) | instskip(SKIP_1) | instid1(SALU_CYCLE_1)
	v_cmp_ge_u32_e64 s12, v13, v10
	s_and_b32 s10, s10, s11
	s_or_b32 s10, s12, s10
	s_delay_alu instid0(SALU_CYCLE_1) | instskip(NEXT) | instid1(VALU_DEP_1)
	v_dual_cndmask_b32 v26, v13, v17, s10 :: v_dual_cndmask_b32 v21, v10, v11, s10
	v_add_nc_u32_e32 v22, 1, v26
	s_delay_alu instid0(VALU_DEP_1) | instskip(NEXT) | instid1(VALU_DEP_1)
	v_add_min_u32_e64 v21, v21, -1, v22
	v_lshl_add_u32 v21, v21, 2, v1
	ds_load_b32 v21, v21
	s_wait_dscnt 0x0
	v_dual_cndmask_b32 v38, v21, v30, s10 :: v_dual_cndmask_b32 v39, v31, v21, s10
	v_dual_cndmask_b32 v17, v17, v22, s10 :: v_dual_cndmask_b32 v13, v22, v13, s10
	s_delay_alu instid0(VALU_DEP_2) | instskip(NEXT) | instid1(VALU_DEP_2)
	v_cmp_le_i32_e64 s12, v39, v38
	v_cmp_lt_u32_e64 s11, v17, v11
	s_delay_alu instid0(VALU_DEP_3) | instskip(SKIP_1) | instid1(SALU_CYCLE_1)
	v_cmp_ge_u32_e64 s13, v13, v10
	s_and_b32 s11, s11, s12
	s_or_b32 s11, s13, s11
	s_delay_alu instid0(SALU_CYCLE_1) | instskip(NEXT) | instid1(VALU_DEP_1)
	v_dual_cndmask_b32 v27, v13, v17, s11 :: v_dual_cndmask_b32 v21, v10, v11, s11
	v_add_nc_u32_e32 v22, 1, v27
	s_delay_alu instid0(VALU_DEP_1) | instskip(NEXT) | instid1(VALU_DEP_1)
	v_add_min_u32_e64 v21, v21, -1, v22
	v_lshl_add_u32 v21, v21, 2, v1
	ds_load_b32 v21, v21
	s_wait_dscnt 0x0
	v_cndmask_b32_e64 v48, v21, v38, s11
	v_dual_cndmask_b32 v17, v17, v22, s11 :: v_dual_cndmask_b32 v49, v39, v21, s11
	v_cndmask_b32_e64 v13, v22, v13, s11
	s_delay_alu instid0(VALU_DEP_2) | instskip(NEXT) | instid1(VALU_DEP_3)
	v_cmp_lt_u32_e64 s12, v17, v11
	v_cmp_le_i32_e64 s13, v49, v48
	s_delay_alu instid0(VALU_DEP_3) | instskip(SKIP_1) | instid1(SALU_CYCLE_1)
	v_cmp_ge_u32_e64 s14, v13, v10
	s_and_b32 s12, s12, s13
	s_or_b32 s12, s14, s12
	s_delay_alu instid0(SALU_CYCLE_1) | instskip(SKIP_1) | instid1(VALU_DEP_1)
	v_dual_cndmask_b32 v25, v30, v31, s10 :: v_dual_cndmask_b32 v19, v48, v49, s12
	v_dual_cndmask_b32 v28, v13, v17, s12 :: v_dual_cndmask_b32 v21, v10, v11, s12
	v_add_nc_u32_e32 v22, 1, v28
	s_delay_alu instid0(VALU_DEP_1) | instskip(SKIP_1) | instid1(VALU_DEP_2)
	v_add_min_u32_e64 v21, v21, -1, v22
	v_dual_cndmask_b32 v17, v17, v22, s12 :: v_dual_cndmask_b32 v13, v22, v13, s12
	v_lshl_add_u32 v21, v21, 2, v1
	s_delay_alu instid0(VALU_DEP_2) | instskip(NEXT) | instid1(VALU_DEP_3)
	v_cmp_lt_u32_e64 s13, v17, v11
	v_cmp_ge_u32_e64 s15, v13, v10
	ds_load_b32 v21, v21
	s_wait_dscnt 0x0
	v_cndmask_b32_e64 v50, v21, v48, s12
	v_cndmask_b32_e64 v51, v49, v21, s12
	s_delay_alu instid0(VALU_DEP_1) | instskip(SKIP_1) | instid1(SALU_CYCLE_1)
	v_cmp_le_i32_e64 s14, v51, v50
	s_and_b32 s13, s13, s14
	s_or_b32 s13, s15, s13
	s_delay_alu instid0(SALU_CYCLE_1) | instskip(NEXT) | instid1(VALU_DEP_1)
	v_dual_cndmask_b32 v29, v13, v17, s13 :: v_dual_cndmask_b32 v21, v10, v11, s13
	v_add_nc_u32_e32 v22, 1, v29
	s_delay_alu instid0(VALU_DEP_1) | instskip(NEXT) | instid1(VALU_DEP_1)
	v_add_min_u32_e64 v21, v21, -1, v22
	v_lshl_add_u32 v1, v21, 2, v1
	ds_load_b32 v1, v1
	s_wait_dscnt 0x0
	v_cndmask_b32_e64 v52, v1, v50, s13
	v_dual_cndmask_b32 v17, v17, v22, s13 :: v_dual_cndmask_b32 v1, v51, v1, s13
	v_cndmask_b32_e64 v32, v22, v13, s13
	ds_load_b64 v[12:13], v12 offset:8192
	ds_load_b64 v[22:23], v16 offset:8192
	v_lshl_add_u32 v16, v27, 3, v5
	v_cmp_lt_u32_e64 s14, v17, v11
	v_cmp_le_i32_e64 s15, v1, v52
	v_cmp_ge_u32_e64 s16, v32, v10
	v_lshl_add_u32 v11, v20, 3, v5
	s_and_b32 s14, s14, s15
	s_delay_alu instid0(SALU_CYCLE_1)
	s_or_b32 s14, s16, s14
	ds_load_b64 v[20:21], v11 offset:8192
	v_cndmask_b32_e64 v10, v32, v17, s14
	v_lshl_add_u32 v11, v26, 3, v5
	v_lshl_add_u32 v17, v28, 3, v5
	;; [unrolled: 1-line block ×3, first 2 shown]
	v_cndmask_b32_e64 v18, v38, v39, s11
	v_lshl_add_u32 v5, v10, 3, v5
	ds_load_b64 v[28:29], v11 offset:8192
	ds_load_b64 v[26:27], v16 offset:8192
	ds_load_b64 v[36:37], v17 offset:8192
	ds_load_b64 v[32:33], v32 offset:8192
	ds_load_b64 v[34:35], v5 offset:8192
	v_dual_cndmask_b32 v16, v50, v51, s13 :: v_dual_cndmask_b32 v17, v52, v1, s14
.LBB606_220:
	s_or_b32 exec_lo, exec_lo, s18
	; wave barrier
	s_wait_storecnt_dscnt 0x0
	s_barrier_signal -1
	s_barrier_wait -1
.LBB606_221:
	s_or_b32 exec_lo, exec_lo, s17
	v_lshl_add_u64 v[2:3], v[8:9], 2, v[2:3]
	v_mov_b32_e32 v1, 0
	s_wait_storecnt 0x0
	; wave barrier
	s_wait_loadcnt_dscnt 0x0
	s_delay_alu instid0(VALU_DEP_1)
	v_add_nc_u64_e32 v[0:1], v[2:3], v[0:1]
	s_and_saveexec_b32 s7, vcc_lo
	s_cbranch_execnz .LBB606_246
; %bb.222:
	s_or_b32 exec_lo, exec_lo, s7
	s_and_saveexec_b32 s7, s0
	s_cbranch_execnz .LBB606_247
.LBB606_223:
	s_or_b32 exec_lo, exec_lo, s7
	s_and_saveexec_b32 s7, s1
	s_cbranch_execnz .LBB606_248
.LBB606_224:
	s_or_b32 exec_lo, exec_lo, s7
	s_and_saveexec_b32 s7, s2
	s_cbranch_execnz .LBB606_249
.LBB606_225:
	s_or_b32 exec_lo, exec_lo, s7
	s_and_saveexec_b32 s7, s3
	s_cbranch_execnz .LBB606_250
.LBB606_226:
	s_or_b32 exec_lo, exec_lo, s7
	s_and_saveexec_b32 s7, s4
	s_cbranch_execnz .LBB606_251
.LBB606_227:
	s_or_b32 exec_lo, exec_lo, s7
	s_and_saveexec_b32 s7, s5
	s_cbranch_execnz .LBB606_252
.LBB606_228:
	s_or_b32 exec_lo, exec_lo, s7
	s_and_saveexec_b32 s7, s6
	s_cbranch_execz .LBB606_230
.LBB606_229:
	flat_store_b32 v[0:1], v17 offset:28
.LBB606_230:
	s_wait_xcnt 0x0
	s_or_b32 exec_lo, exec_lo, s7
	v_lshl_add_u64 v[0:1], v[8:9], 3, v[6:7]
	v_mov_b32_e32 v5, 0
	; wave barrier
	s_delay_alu instid0(VALU_DEP_1)
	v_add_nc_u64_e32 v[0:1], v[0:1], v[4:5]
	s_and_saveexec_b32 s7, vcc_lo
	s_cbranch_execnz .LBB606_253
; %bb.231:
	s_or_b32 exec_lo, exec_lo, s7
	s_and_saveexec_b32 s7, s0
	s_cbranch_execnz .LBB606_254
.LBB606_232:
	s_or_b32 exec_lo, exec_lo, s7
	s_and_saveexec_b32 s0, s1
	s_cbranch_execnz .LBB606_255
.LBB606_233:
	s_or_b32 exec_lo, exec_lo, s0
	s_and_saveexec_b32 s0, s2
	s_cbranch_execnz .LBB606_256
.LBB606_234:
	s_or_b32 exec_lo, exec_lo, s0
	s_and_saveexec_b32 s0, s3
	s_cbranch_execnz .LBB606_257
.LBB606_235:
	s_or_b32 exec_lo, exec_lo, s0
	s_and_saveexec_b32 s0, s4
	s_cbranch_execnz .LBB606_258
.LBB606_236:
	s_or_b32 exec_lo, exec_lo, s0
	s_and_saveexec_b32 s0, s5
	s_cbranch_execnz .LBB606_259
.LBB606_237:
	s_or_b32 exec_lo, exec_lo, s0
	s_and_saveexec_b32 s0, s6
	s_cbranch_execnz .LBB606_260
.LBB606_238:
	s_or_b32 exec_lo, exec_lo, s0
	s_wait_dscnt 0x0
	s_set_pc_i64 s[30:31]
.LBB606_239:
	flat_load_b64 v[12:13], v[38:39]
	s_wait_xcnt 0x0
	s_or_b32 exec_lo, exec_lo, s7
	s_and_saveexec_b32 s7, s0
                                        ; implicit-def: $vgpr22_vgpr23
	s_cbranch_execz .LBB606_18
.LBB606_240:
	flat_load_b64 v[22:23], v[38:39] offset:8
	s_wait_xcnt 0x0
	s_or_b32 exec_lo, exec_lo, s7
                                        ; implicit-def: $vgpr20_vgpr21
	s_and_saveexec_b32 s7, s1
	s_cbranch_execz .LBB606_19
.LBB606_241:
	flat_load_b64 v[20:21], v[38:39] offset:16
	s_wait_xcnt 0x0
	s_or_b32 exec_lo, exec_lo, s7
	s_and_saveexec_b32 s7, s2
                                        ; implicit-def: $vgpr28_vgpr29
	s_cbranch_execz .LBB606_20
.LBB606_242:
	flat_load_b64 v[28:29], v[38:39] offset:24
	s_wait_xcnt 0x0
	s_or_b32 exec_lo, exec_lo, s7
                                        ; implicit-def: $vgpr26_vgpr27
	s_and_saveexec_b32 s7, s3
	s_cbranch_execz .LBB606_21
.LBB606_243:
	flat_load_b64 v[26:27], v[38:39] offset:32
	s_wait_xcnt 0x0
	s_or_b32 exec_lo, exec_lo, s7
	s_and_saveexec_b32 s7, s4
                                        ; implicit-def: $vgpr36_vgpr37
	s_cbranch_execz .LBB606_22
.LBB606_244:
	flat_load_b64 v[36:37], v[38:39] offset:40
	s_wait_xcnt 0x0
	s_or_b32 exec_lo, exec_lo, s7
                                        ; implicit-def: $vgpr32_vgpr33
	s_and_saveexec_b32 s7, s5
	s_cbranch_execz .LBB606_23
.LBB606_245:
	flat_load_b64 v[32:33], v[38:39] offset:48
	s_wait_xcnt 0x0
	s_or_b32 exec_lo, exec_lo, s7
	s_and_saveexec_b32 s7, s6
                                        ; implicit-def: $vgpr34_vgpr35
	s_cbranch_execnz .LBB606_24
	s_branch .LBB606_25
.LBB606_246:
	flat_store_b32 v[0:1], v14
	s_wait_xcnt 0x0
	s_or_b32 exec_lo, exec_lo, s7
	s_and_saveexec_b32 s7, s0
	s_cbranch_execz .LBB606_223
.LBB606_247:
	flat_store_b32 v[0:1], v15 offset:4
	s_wait_xcnt 0x0
	s_or_b32 exec_lo, exec_lo, s7
	s_and_saveexec_b32 s7, s1
	s_cbranch_execz .LBB606_224
.LBB606_248:
	flat_store_b32 v[0:1], v24 offset:8
	s_wait_xcnt 0x0
	s_or_b32 exec_lo, exec_lo, s7
	s_and_saveexec_b32 s7, s2
	s_cbranch_execz .LBB606_225
.LBB606_249:
	flat_store_b32 v[0:1], v25 offset:12
	s_wait_xcnt 0x0
	s_or_b32 exec_lo, exec_lo, s7
	s_and_saveexec_b32 s7, s3
	s_cbranch_execz .LBB606_226
.LBB606_250:
	flat_store_b32 v[0:1], v18 offset:16
	s_wait_xcnt 0x0
	s_or_b32 exec_lo, exec_lo, s7
	s_and_saveexec_b32 s7, s4
	s_cbranch_execz .LBB606_227
.LBB606_251:
	flat_store_b32 v[0:1], v19 offset:20
	s_wait_xcnt 0x0
	s_or_b32 exec_lo, exec_lo, s7
	s_and_saveexec_b32 s7, s5
	s_cbranch_execz .LBB606_228
.LBB606_252:
	flat_store_b32 v[0:1], v16 offset:24
	s_wait_xcnt 0x0
	s_or_b32 exec_lo, exec_lo, s7
	s_and_saveexec_b32 s7, s6
	s_cbranch_execnz .LBB606_229
	s_branch .LBB606_230
.LBB606_253:
	flat_store_b64 v[0:1], v[12:13]
	s_wait_xcnt 0x0
	s_or_b32 exec_lo, exec_lo, s7
	s_and_saveexec_b32 s7, s0
	s_cbranch_execz .LBB606_232
.LBB606_254:
	flat_store_b64 v[0:1], v[22:23] offset:8
	s_wait_xcnt 0x0
	s_or_b32 exec_lo, exec_lo, s7
	s_and_saveexec_b32 s0, s1
	s_cbranch_execz .LBB606_233
.LBB606_255:
	flat_store_b64 v[0:1], v[20:21] offset:16
	s_wait_xcnt 0x0
	s_or_b32 exec_lo, exec_lo, s0
	s_and_saveexec_b32 s0, s2
	s_cbranch_execz .LBB606_234
.LBB606_256:
	flat_store_b64 v[0:1], v[28:29] offset:24
	s_wait_xcnt 0x0
	s_or_b32 exec_lo, exec_lo, s0
	s_and_saveexec_b32 s0, s3
	s_cbranch_execz .LBB606_235
.LBB606_257:
	flat_store_b64 v[0:1], v[26:27] offset:32
	s_wait_xcnt 0x0
	s_or_b32 exec_lo, exec_lo, s0
	s_and_saveexec_b32 s0, s4
	s_cbranch_execz .LBB606_236
.LBB606_258:
	flat_store_b64 v[0:1], v[36:37] offset:40
	s_wait_xcnt 0x0
	s_or_b32 exec_lo, exec_lo, s0
	s_and_saveexec_b32 s0, s5
	s_cbranch_execz .LBB606_237
.LBB606_259:
	flat_store_b64 v[0:1], v[32:33] offset:48
	s_wait_xcnt 0x0
	s_or_b32 exec_lo, exec_lo, s0
	s_and_saveexec_b32 s0, s6
	s_cbranch_execz .LBB606_238
.LBB606_260:
	flat_store_b64 v[0:1], v[34:35] offset:56
	s_wait_xcnt 0x0
	s_or_b32 exec_lo, exec_lo, s0
	s_wait_dscnt 0x0
	s_set_pc_i64 s[30:31]
.Lfunc_end606:
	.size	_ZN7rocprim17ROCPRIM_400000_NS6detail26segmented_warp_sort_helperINS1_20WarpSortHelperConfigILj16ELj8ELj256EEEilLi256ELb0EvE4sortIPKiPiPKlPlEEvT_T0_T1_T2_jjjjRNS5_12storage_typeE, .Lfunc_end606-_ZN7rocprim17ROCPRIM_400000_NS6detail26segmented_warp_sort_helperINS1_20WarpSortHelperConfigILj16ELj8ELj256EEEilLi256ELb0EvE4sortIPKiPiPKlPlEEvT_T0_T1_T2_jjjjRNS5_12storage_typeE
                                        ; -- End function
	.set .L_ZN7rocprim17ROCPRIM_400000_NS6detail26segmented_warp_sort_helperINS1_20WarpSortHelperConfigILj16ELj8ELj256EEEilLi256ELb0EvE4sortIPKiPiPKlPlEEvT_T0_T1_T2_jjjjRNS5_12storage_typeE.num_vgpr, 72
	.set .L_ZN7rocprim17ROCPRIM_400000_NS6detail26segmented_warp_sort_helperINS1_20WarpSortHelperConfigILj16ELj8ELj256EEEilLi256ELb0EvE4sortIPKiPiPKlPlEEvT_T0_T1_T2_jjjjRNS5_12storage_typeE.num_agpr, 0
	.set .L_ZN7rocprim17ROCPRIM_400000_NS6detail26segmented_warp_sort_helperINS1_20WarpSortHelperConfigILj16ELj8ELj256EEEilLi256ELb0EvE4sortIPKiPiPKlPlEEvT_T0_T1_T2_jjjjRNS5_12storage_typeE.numbered_sgpr, 32
	.set .L_ZN7rocprim17ROCPRIM_400000_NS6detail26segmented_warp_sort_helperINS1_20WarpSortHelperConfigILj16ELj8ELj256EEEilLi256ELb0EvE4sortIPKiPiPKlPlEEvT_T0_T1_T2_jjjjRNS5_12storage_typeE.num_named_barrier, 0
	.set .L_ZN7rocprim17ROCPRIM_400000_NS6detail26segmented_warp_sort_helperINS1_20WarpSortHelperConfigILj16ELj8ELj256EEEilLi256ELb0EvE4sortIPKiPiPKlPlEEvT_T0_T1_T2_jjjjRNS5_12storage_typeE.private_seg_size, 0
	.set .L_ZN7rocprim17ROCPRIM_400000_NS6detail26segmented_warp_sort_helperINS1_20WarpSortHelperConfigILj16ELj8ELj256EEEilLi256ELb0EvE4sortIPKiPiPKlPlEEvT_T0_T1_T2_jjjjRNS5_12storage_typeE.uses_vcc, 1
	.set .L_ZN7rocprim17ROCPRIM_400000_NS6detail26segmented_warp_sort_helperINS1_20WarpSortHelperConfigILj16ELj8ELj256EEEilLi256ELb0EvE4sortIPKiPiPKlPlEEvT_T0_T1_T2_jjjjRNS5_12storage_typeE.uses_flat_scratch, 0
	.set .L_ZN7rocprim17ROCPRIM_400000_NS6detail26segmented_warp_sort_helperINS1_20WarpSortHelperConfigILj16ELj8ELj256EEEilLi256ELb0EvE4sortIPKiPiPKlPlEEvT_T0_T1_T2_jjjjRNS5_12storage_typeE.has_dyn_sized_stack, 0
	.set .L_ZN7rocprim17ROCPRIM_400000_NS6detail26segmented_warp_sort_helperINS1_20WarpSortHelperConfigILj16ELj8ELj256EEEilLi256ELb0EvE4sortIPKiPiPKlPlEEvT_T0_T1_T2_jjjjRNS5_12storage_typeE.has_recursion, 0
	.set .L_ZN7rocprim17ROCPRIM_400000_NS6detail26segmented_warp_sort_helperINS1_20WarpSortHelperConfigILj16ELj8ELj256EEEilLi256ELb0EvE4sortIPKiPiPKlPlEEvT_T0_T1_T2_jjjjRNS5_12storage_typeE.has_indirect_call, 0
	.section	.AMDGPU.csdata,"",@progbits
; Function info:
; codeLenInByte = 17416
; TotalNumSgprs: 34
; NumVgprs: 72
; ScratchSize: 0
; MemoryBound: 0
	.section	.text._ZN7rocprim17ROCPRIM_400000_NS6detail17trampoline_kernelINS0_14default_configENS1_36segmented_radix_sort_config_selectorIilEEZNS1_25segmented_radix_sort_implIS3_Lb0EPKiPiPKlPlN2at6native12_GLOBAL__N_18offset_tEEE10hipError_tPvRmT1_PNSt15iterator_traitsISK_E10value_typeET2_T3_PNSL_ISQ_E10value_typeET4_jRbjT5_SW_jjP12ihipStream_tbEUlT_E0_NS1_11comp_targetILNS1_3genE0ELNS1_11target_archE4294967295ELNS1_3gpuE0ELNS1_3repE0EEENS1_60segmented_radix_sort_warp_sort_medium_config_static_selectorELNS0_4arch9wavefront6targetE0EEEvSK_,"axG",@progbits,_ZN7rocprim17ROCPRIM_400000_NS6detail17trampoline_kernelINS0_14default_configENS1_36segmented_radix_sort_config_selectorIilEEZNS1_25segmented_radix_sort_implIS3_Lb0EPKiPiPKlPlN2at6native12_GLOBAL__N_18offset_tEEE10hipError_tPvRmT1_PNSt15iterator_traitsISK_E10value_typeET2_T3_PNSL_ISQ_E10value_typeET4_jRbjT5_SW_jjP12ihipStream_tbEUlT_E0_NS1_11comp_targetILNS1_3genE0ELNS1_11target_archE4294967295ELNS1_3gpuE0ELNS1_3repE0EEENS1_60segmented_radix_sort_warp_sort_medium_config_static_selectorELNS0_4arch9wavefront6targetE0EEEvSK_,comdat
	.globl	_ZN7rocprim17ROCPRIM_400000_NS6detail17trampoline_kernelINS0_14default_configENS1_36segmented_radix_sort_config_selectorIilEEZNS1_25segmented_radix_sort_implIS3_Lb0EPKiPiPKlPlN2at6native12_GLOBAL__N_18offset_tEEE10hipError_tPvRmT1_PNSt15iterator_traitsISK_E10value_typeET2_T3_PNSL_ISQ_E10value_typeET4_jRbjT5_SW_jjP12ihipStream_tbEUlT_E0_NS1_11comp_targetILNS1_3genE0ELNS1_11target_archE4294967295ELNS1_3gpuE0ELNS1_3repE0EEENS1_60segmented_radix_sort_warp_sort_medium_config_static_selectorELNS0_4arch9wavefront6targetE0EEEvSK_ ; -- Begin function _ZN7rocprim17ROCPRIM_400000_NS6detail17trampoline_kernelINS0_14default_configENS1_36segmented_radix_sort_config_selectorIilEEZNS1_25segmented_radix_sort_implIS3_Lb0EPKiPiPKlPlN2at6native12_GLOBAL__N_18offset_tEEE10hipError_tPvRmT1_PNSt15iterator_traitsISK_E10value_typeET2_T3_PNSL_ISQ_E10value_typeET4_jRbjT5_SW_jjP12ihipStream_tbEUlT_E0_NS1_11comp_targetILNS1_3genE0ELNS1_11target_archE4294967295ELNS1_3gpuE0ELNS1_3repE0EEENS1_60segmented_radix_sort_warp_sort_medium_config_static_selectorELNS0_4arch9wavefront6targetE0EEEvSK_
	.p2align	8
	.type	_ZN7rocprim17ROCPRIM_400000_NS6detail17trampoline_kernelINS0_14default_configENS1_36segmented_radix_sort_config_selectorIilEEZNS1_25segmented_radix_sort_implIS3_Lb0EPKiPiPKlPlN2at6native12_GLOBAL__N_18offset_tEEE10hipError_tPvRmT1_PNSt15iterator_traitsISK_E10value_typeET2_T3_PNSL_ISQ_E10value_typeET4_jRbjT5_SW_jjP12ihipStream_tbEUlT_E0_NS1_11comp_targetILNS1_3genE0ELNS1_11target_archE4294967295ELNS1_3gpuE0ELNS1_3repE0EEENS1_60segmented_radix_sort_warp_sort_medium_config_static_selectorELNS0_4arch9wavefront6targetE0EEEvSK_,@function
_ZN7rocprim17ROCPRIM_400000_NS6detail17trampoline_kernelINS0_14default_configENS1_36segmented_radix_sort_config_selectorIilEEZNS1_25segmented_radix_sort_implIS3_Lb0EPKiPiPKlPlN2at6native12_GLOBAL__N_18offset_tEEE10hipError_tPvRmT1_PNSt15iterator_traitsISK_E10value_typeET2_T3_PNSL_ISQ_E10value_typeET4_jRbjT5_SW_jjP12ihipStream_tbEUlT_E0_NS1_11comp_targetILNS1_3genE0ELNS1_11target_archE4294967295ELNS1_3gpuE0ELNS1_3repE0EEENS1_60segmented_radix_sort_warp_sort_medium_config_static_selectorELNS0_4arch9wavefront6targetE0EEEvSK_: ; @_ZN7rocprim17ROCPRIM_400000_NS6detail17trampoline_kernelINS0_14default_configENS1_36segmented_radix_sort_config_selectorIilEEZNS1_25segmented_radix_sort_implIS3_Lb0EPKiPiPKlPlN2at6native12_GLOBAL__N_18offset_tEEE10hipError_tPvRmT1_PNSt15iterator_traitsISK_E10value_typeET2_T3_PNSL_ISQ_E10value_typeET4_jRbjT5_SW_jjP12ihipStream_tbEUlT_E0_NS1_11comp_targetILNS1_3genE0ELNS1_11target_archE4294967295ELNS1_3gpuE0ELNS1_3repE0EEENS1_60segmented_radix_sort_warp_sort_medium_config_static_selectorELNS0_4arch9wavefront6targetE0EEEvSK_
; %bb.0:
	s_load_b32 s4, s[2:3], 0x64
	v_bfe_u32 v1, v0, 10, 10
	v_bfe_u32 v2, v0, 20, 10
	v_and_b32_e32 v3, 0x3ff, v0
	s_and_b32 s6, ttmp6, 15
	s_getreg_b32 s7, hwreg(HW_REG_IB_STS2, 6, 4)
	s_mov_b32 s32, 0
	s_wait_kmcnt 0x0
	s_lshr_b32 s5, s4, 16
	s_and_b32 s4, s4, 0xffff
	v_mad_u32_u24 v1, v2, s5, v1
	s_bfe_u32 s5, ttmp6, 0x4000c
	s_delay_alu instid0(SALU_CYCLE_1) | instskip(NEXT) | instid1(SALU_CYCLE_1)
	s_add_co_i32 s5, s5, 1
	s_mul_i32 s5, ttmp9, s5
	s_delay_alu instid0(VALU_DEP_1) | instskip(SKIP_4) | instid1(VALU_DEP_1)
	v_mad_u32 v1, v1, s4, v3
	s_load_b32 s4, s[2:3], 0x34
	s_add_co_i32 s6, s6, s5
	s_cmp_eq_u32 s7, 0
	s_cselect_b32 s5, ttmp9, s6
	v_lshrrev_b32_e32 v1, 4, v1
	s_delay_alu instid0(VALU_DEP_1) | instskip(SKIP_1) | instid1(VALU_DEP_1)
	v_lshl_add_u32 v1, s5, 4, v1
	s_wait_kmcnt 0x0
	v_cmp_gt_u32_e32 vcc_lo, s4, v1
	s_and_saveexec_b32 s4, vcc_lo
	s_cbranch_execz .LBB607_6
; %bb.1:
	s_clause 0x1
	s_load_b64 s[8:9], s[2:3], 0x38
	s_load_b128 s[4:7], s[2:3], 0x40
	s_wait_kmcnt 0x0
	global_load_b32 v1, v1, s[8:9] scale_offset
	s_wait_loadcnt 0x0
	v_dual_add_nc_u32 v2, s5, v1 :: v_dual_add_nc_u32 v1, s7, v1
	s_delay_alu instid0(VALU_DEP_1) | instskip(NEXT) | instid1(VALU_DEP_2)
	v_mul_lo_u32 v8, v2, s4
	v_mul_lo_u32 v40, v1, s6
	s_delay_alu instid0(VALU_DEP_1)
	v_cmp_gt_u32_e32 vcc_lo, v40, v8
	s_and_b32 exec_lo, exec_lo, vcc_lo
	s_cbranch_execz .LBB607_6
; %bb.2:
	s_clause 0x3
	s_load_b32 s4, s[2:3], 0x30
	s_load_b128 s[24:27], s[2:3], 0x20
	s_load_b256 s[36:43], s[2:3], 0x0
	s_load_b64 s[28:29], s[2:3], 0x50
	s_add_nc_u64 s[22:23], s[2:3], 0x58
	s_get_pc_i64 s[34:35]
	s_add_nc_u64 s[34:35], s[34:35], _ZN7rocprim17ROCPRIM_400000_NS6detail26segmented_warp_sort_helperINS1_20WarpSortHelperConfigILj16ELj8ELj256EEEilLi256ELb0EvE4sortIPKiPiPKlPlEEvT_T0_T1_T2_jjjjRNS5_12storage_typeE@rel64+4
	s_wait_kmcnt 0x0
	s_bitcmp0_b32 s4, 0
	s_mov_b32 s4, -1
	s_cbranch_scc0 .LBB607_4
; %bb.3:
	v_dual_mov_b32 v31, v0 :: v_dual_mov_b32 v41, v0
	v_dual_mov_b32 v0, s36 :: v_dual_mov_b32 v1, s37
	;; [unrolled: 1-line block ×6, first 2 shown]
	v_mov_b32_e32 v11, s29
	s_mov_b64 s[6:7], s[0:1]
	s_mov_b64 s[8:9], s[22:23]
	;; [unrolled: 1-line block ×3, first 2 shown]
	s_swap_pc_i64 s[30:31], s[34:35]
	v_mov_b32_e32 v0, v41
	s_mov_b64 s[0:1], s[24:25]
	s_mov_b32 s4, 0
.LBB607_4:
	s_delay_alu instid0(SALU_CYCLE_1)
	s_and_not1_b32 vcc_lo, exec_lo, s4
	s_cbranch_vccnz .LBB607_6
; %bb.5:
	v_dual_mov_b32 v31, v0 :: v_dual_mov_b32 v0, s36
	v_dual_mov_b32 v1, s37 :: v_dual_mov_b32 v2, s40
	v_dual_mov_b32 v3, s41 :: v_dual_mov_b32 v4, s42
	v_dual_mov_b32 v5, s43 :: v_dual_mov_b32 v6, s26
	v_dual_mov_b32 v7, s27 :: v_dual_mov_b32 v9, v40
	v_dual_mov_b32 v10, s28 :: v_dual_mov_b32 v11, s29
	s_mov_b64 s[6:7], s[0:1]
	s_mov_b64 s[8:9], s[22:23]
	s_swap_pc_i64 s[30:31], s[34:35]
.LBB607_6:
	s_endpgm
	.section	.rodata,"a",@progbits
	.p2align	6, 0x0
	.amdhsa_kernel _ZN7rocprim17ROCPRIM_400000_NS6detail17trampoline_kernelINS0_14default_configENS1_36segmented_radix_sort_config_selectorIilEEZNS1_25segmented_radix_sort_implIS3_Lb0EPKiPiPKlPlN2at6native12_GLOBAL__N_18offset_tEEE10hipError_tPvRmT1_PNSt15iterator_traitsISK_E10value_typeET2_T3_PNSL_ISQ_E10value_typeET4_jRbjT5_SW_jjP12ihipStream_tbEUlT_E0_NS1_11comp_targetILNS1_3genE0ELNS1_11target_archE4294967295ELNS1_3gpuE0ELNS1_3repE0EEENS1_60segmented_radix_sort_warp_sort_medium_config_static_selectorELNS0_4arch9wavefront6targetE0EEEvSK_
		.amdhsa_group_segment_fixed_size 24576
		.amdhsa_private_segment_fixed_size 0
		.amdhsa_kernarg_size 344
		.amdhsa_user_sgpr_count 4
		.amdhsa_user_sgpr_dispatch_ptr 0
		.amdhsa_user_sgpr_queue_ptr 1
		.amdhsa_user_sgpr_kernarg_segment_ptr 1
		.amdhsa_user_sgpr_dispatch_id 0
		.amdhsa_user_sgpr_kernarg_preload_length 0
		.amdhsa_user_sgpr_kernarg_preload_offset 0
		.amdhsa_user_sgpr_private_segment_size 0
		.amdhsa_wavefront_size32 1
		.amdhsa_uses_dynamic_stack 0
		.amdhsa_enable_private_segment 0
		.amdhsa_system_sgpr_workgroup_id_x 1
		.amdhsa_system_sgpr_workgroup_id_y 1
		.amdhsa_system_sgpr_workgroup_id_z 0
		.amdhsa_system_sgpr_workgroup_info 0
		.amdhsa_system_vgpr_workitem_id 2
		.amdhsa_next_free_vgpr 72
		.amdhsa_next_free_sgpr 44
		.amdhsa_named_barrier_count 0
		.amdhsa_reserve_vcc 1
		.amdhsa_float_round_mode_32 0
		.amdhsa_float_round_mode_16_64 0
		.amdhsa_float_denorm_mode_32 3
		.amdhsa_float_denorm_mode_16_64 3
		.amdhsa_fp16_overflow 0
		.amdhsa_memory_ordered 1
		.amdhsa_forward_progress 1
		.amdhsa_inst_pref_size 4
		.amdhsa_round_robin_scheduling 0
		.amdhsa_exception_fp_ieee_invalid_op 0
		.amdhsa_exception_fp_denorm_src 0
		.amdhsa_exception_fp_ieee_div_zero 0
		.amdhsa_exception_fp_ieee_overflow 0
		.amdhsa_exception_fp_ieee_underflow 0
		.amdhsa_exception_fp_ieee_inexact 0
		.amdhsa_exception_int_div_zero 0
	.end_amdhsa_kernel
	.section	.text._ZN7rocprim17ROCPRIM_400000_NS6detail17trampoline_kernelINS0_14default_configENS1_36segmented_radix_sort_config_selectorIilEEZNS1_25segmented_radix_sort_implIS3_Lb0EPKiPiPKlPlN2at6native12_GLOBAL__N_18offset_tEEE10hipError_tPvRmT1_PNSt15iterator_traitsISK_E10value_typeET2_T3_PNSL_ISQ_E10value_typeET4_jRbjT5_SW_jjP12ihipStream_tbEUlT_E0_NS1_11comp_targetILNS1_3genE0ELNS1_11target_archE4294967295ELNS1_3gpuE0ELNS1_3repE0EEENS1_60segmented_radix_sort_warp_sort_medium_config_static_selectorELNS0_4arch9wavefront6targetE0EEEvSK_,"axG",@progbits,_ZN7rocprim17ROCPRIM_400000_NS6detail17trampoline_kernelINS0_14default_configENS1_36segmented_radix_sort_config_selectorIilEEZNS1_25segmented_radix_sort_implIS3_Lb0EPKiPiPKlPlN2at6native12_GLOBAL__N_18offset_tEEE10hipError_tPvRmT1_PNSt15iterator_traitsISK_E10value_typeET2_T3_PNSL_ISQ_E10value_typeET4_jRbjT5_SW_jjP12ihipStream_tbEUlT_E0_NS1_11comp_targetILNS1_3genE0ELNS1_11target_archE4294967295ELNS1_3gpuE0ELNS1_3repE0EEENS1_60segmented_radix_sort_warp_sort_medium_config_static_selectorELNS0_4arch9wavefront6targetE0EEEvSK_,comdat
.Lfunc_end607:
	.size	_ZN7rocprim17ROCPRIM_400000_NS6detail17trampoline_kernelINS0_14default_configENS1_36segmented_radix_sort_config_selectorIilEEZNS1_25segmented_radix_sort_implIS3_Lb0EPKiPiPKlPlN2at6native12_GLOBAL__N_18offset_tEEE10hipError_tPvRmT1_PNSt15iterator_traitsISK_E10value_typeET2_T3_PNSL_ISQ_E10value_typeET4_jRbjT5_SW_jjP12ihipStream_tbEUlT_E0_NS1_11comp_targetILNS1_3genE0ELNS1_11target_archE4294967295ELNS1_3gpuE0ELNS1_3repE0EEENS1_60segmented_radix_sort_warp_sort_medium_config_static_selectorELNS0_4arch9wavefront6targetE0EEEvSK_, .Lfunc_end607-_ZN7rocprim17ROCPRIM_400000_NS6detail17trampoline_kernelINS0_14default_configENS1_36segmented_radix_sort_config_selectorIilEEZNS1_25segmented_radix_sort_implIS3_Lb0EPKiPiPKlPlN2at6native12_GLOBAL__N_18offset_tEEE10hipError_tPvRmT1_PNSt15iterator_traitsISK_E10value_typeET2_T3_PNSL_ISQ_E10value_typeET4_jRbjT5_SW_jjP12ihipStream_tbEUlT_E0_NS1_11comp_targetILNS1_3genE0ELNS1_11target_archE4294967295ELNS1_3gpuE0ELNS1_3repE0EEENS1_60segmented_radix_sort_warp_sort_medium_config_static_selectorELNS0_4arch9wavefront6targetE0EEEvSK_
                                        ; -- End function
	.set _ZN7rocprim17ROCPRIM_400000_NS6detail17trampoline_kernelINS0_14default_configENS1_36segmented_radix_sort_config_selectorIilEEZNS1_25segmented_radix_sort_implIS3_Lb0EPKiPiPKlPlN2at6native12_GLOBAL__N_18offset_tEEE10hipError_tPvRmT1_PNSt15iterator_traitsISK_E10value_typeET2_T3_PNSL_ISQ_E10value_typeET4_jRbjT5_SW_jjP12ihipStream_tbEUlT_E0_NS1_11comp_targetILNS1_3genE0ELNS1_11target_archE4294967295ELNS1_3gpuE0ELNS1_3repE0EEENS1_60segmented_radix_sort_warp_sort_medium_config_static_selectorELNS0_4arch9wavefront6targetE0EEEvSK_.num_vgpr, max(42, .L_ZN7rocprim17ROCPRIM_400000_NS6detail26segmented_warp_sort_helperINS1_20WarpSortHelperConfigILj16ELj8ELj256EEEilLi256ELb0EvE4sortIPKiPiPKlPlEEvT_T0_T1_T2_jjjjRNS5_12storage_typeE.num_vgpr)
	.set _ZN7rocprim17ROCPRIM_400000_NS6detail17trampoline_kernelINS0_14default_configENS1_36segmented_radix_sort_config_selectorIilEEZNS1_25segmented_radix_sort_implIS3_Lb0EPKiPiPKlPlN2at6native12_GLOBAL__N_18offset_tEEE10hipError_tPvRmT1_PNSt15iterator_traitsISK_E10value_typeET2_T3_PNSL_ISQ_E10value_typeET4_jRbjT5_SW_jjP12ihipStream_tbEUlT_E0_NS1_11comp_targetILNS1_3genE0ELNS1_11target_archE4294967295ELNS1_3gpuE0ELNS1_3repE0EEENS1_60segmented_radix_sort_warp_sort_medium_config_static_selectorELNS0_4arch9wavefront6targetE0EEEvSK_.num_agpr, max(0, .L_ZN7rocprim17ROCPRIM_400000_NS6detail26segmented_warp_sort_helperINS1_20WarpSortHelperConfigILj16ELj8ELj256EEEilLi256ELb0EvE4sortIPKiPiPKlPlEEvT_T0_T1_T2_jjjjRNS5_12storage_typeE.num_agpr)
	.set _ZN7rocprim17ROCPRIM_400000_NS6detail17trampoline_kernelINS0_14default_configENS1_36segmented_radix_sort_config_selectorIilEEZNS1_25segmented_radix_sort_implIS3_Lb0EPKiPiPKlPlN2at6native12_GLOBAL__N_18offset_tEEE10hipError_tPvRmT1_PNSt15iterator_traitsISK_E10value_typeET2_T3_PNSL_ISQ_E10value_typeET4_jRbjT5_SW_jjP12ihipStream_tbEUlT_E0_NS1_11comp_targetILNS1_3genE0ELNS1_11target_archE4294967295ELNS1_3gpuE0ELNS1_3repE0EEENS1_60segmented_radix_sort_warp_sort_medium_config_static_selectorELNS0_4arch9wavefront6targetE0EEEvSK_.numbered_sgpr, max(44, .L_ZN7rocprim17ROCPRIM_400000_NS6detail26segmented_warp_sort_helperINS1_20WarpSortHelperConfigILj16ELj8ELj256EEEilLi256ELb0EvE4sortIPKiPiPKlPlEEvT_T0_T1_T2_jjjjRNS5_12storage_typeE.numbered_sgpr)
	.set _ZN7rocprim17ROCPRIM_400000_NS6detail17trampoline_kernelINS0_14default_configENS1_36segmented_radix_sort_config_selectorIilEEZNS1_25segmented_radix_sort_implIS3_Lb0EPKiPiPKlPlN2at6native12_GLOBAL__N_18offset_tEEE10hipError_tPvRmT1_PNSt15iterator_traitsISK_E10value_typeET2_T3_PNSL_ISQ_E10value_typeET4_jRbjT5_SW_jjP12ihipStream_tbEUlT_E0_NS1_11comp_targetILNS1_3genE0ELNS1_11target_archE4294967295ELNS1_3gpuE0ELNS1_3repE0EEENS1_60segmented_radix_sort_warp_sort_medium_config_static_selectorELNS0_4arch9wavefront6targetE0EEEvSK_.num_named_barrier, max(0, .L_ZN7rocprim17ROCPRIM_400000_NS6detail26segmented_warp_sort_helperINS1_20WarpSortHelperConfigILj16ELj8ELj256EEEilLi256ELb0EvE4sortIPKiPiPKlPlEEvT_T0_T1_T2_jjjjRNS5_12storage_typeE.num_named_barrier)
	.set _ZN7rocprim17ROCPRIM_400000_NS6detail17trampoline_kernelINS0_14default_configENS1_36segmented_radix_sort_config_selectorIilEEZNS1_25segmented_radix_sort_implIS3_Lb0EPKiPiPKlPlN2at6native12_GLOBAL__N_18offset_tEEE10hipError_tPvRmT1_PNSt15iterator_traitsISK_E10value_typeET2_T3_PNSL_ISQ_E10value_typeET4_jRbjT5_SW_jjP12ihipStream_tbEUlT_E0_NS1_11comp_targetILNS1_3genE0ELNS1_11target_archE4294967295ELNS1_3gpuE0ELNS1_3repE0EEENS1_60segmented_radix_sort_warp_sort_medium_config_static_selectorELNS0_4arch9wavefront6targetE0EEEvSK_.private_seg_size, 0+max(.L_ZN7rocprim17ROCPRIM_400000_NS6detail26segmented_warp_sort_helperINS1_20WarpSortHelperConfigILj16ELj8ELj256EEEilLi256ELb0EvE4sortIPKiPiPKlPlEEvT_T0_T1_T2_jjjjRNS5_12storage_typeE.private_seg_size)
	.set _ZN7rocprim17ROCPRIM_400000_NS6detail17trampoline_kernelINS0_14default_configENS1_36segmented_radix_sort_config_selectorIilEEZNS1_25segmented_radix_sort_implIS3_Lb0EPKiPiPKlPlN2at6native12_GLOBAL__N_18offset_tEEE10hipError_tPvRmT1_PNSt15iterator_traitsISK_E10value_typeET2_T3_PNSL_ISQ_E10value_typeET4_jRbjT5_SW_jjP12ihipStream_tbEUlT_E0_NS1_11comp_targetILNS1_3genE0ELNS1_11target_archE4294967295ELNS1_3gpuE0ELNS1_3repE0EEENS1_60segmented_radix_sort_warp_sort_medium_config_static_selectorELNS0_4arch9wavefront6targetE0EEEvSK_.uses_vcc, or(1, .L_ZN7rocprim17ROCPRIM_400000_NS6detail26segmented_warp_sort_helperINS1_20WarpSortHelperConfigILj16ELj8ELj256EEEilLi256ELb0EvE4sortIPKiPiPKlPlEEvT_T0_T1_T2_jjjjRNS5_12storage_typeE.uses_vcc)
	.set _ZN7rocprim17ROCPRIM_400000_NS6detail17trampoline_kernelINS0_14default_configENS1_36segmented_radix_sort_config_selectorIilEEZNS1_25segmented_radix_sort_implIS3_Lb0EPKiPiPKlPlN2at6native12_GLOBAL__N_18offset_tEEE10hipError_tPvRmT1_PNSt15iterator_traitsISK_E10value_typeET2_T3_PNSL_ISQ_E10value_typeET4_jRbjT5_SW_jjP12ihipStream_tbEUlT_E0_NS1_11comp_targetILNS1_3genE0ELNS1_11target_archE4294967295ELNS1_3gpuE0ELNS1_3repE0EEENS1_60segmented_radix_sort_warp_sort_medium_config_static_selectorELNS0_4arch9wavefront6targetE0EEEvSK_.uses_flat_scratch, or(0, .L_ZN7rocprim17ROCPRIM_400000_NS6detail26segmented_warp_sort_helperINS1_20WarpSortHelperConfigILj16ELj8ELj256EEEilLi256ELb0EvE4sortIPKiPiPKlPlEEvT_T0_T1_T2_jjjjRNS5_12storage_typeE.uses_flat_scratch)
	.set _ZN7rocprim17ROCPRIM_400000_NS6detail17trampoline_kernelINS0_14default_configENS1_36segmented_radix_sort_config_selectorIilEEZNS1_25segmented_radix_sort_implIS3_Lb0EPKiPiPKlPlN2at6native12_GLOBAL__N_18offset_tEEE10hipError_tPvRmT1_PNSt15iterator_traitsISK_E10value_typeET2_T3_PNSL_ISQ_E10value_typeET4_jRbjT5_SW_jjP12ihipStream_tbEUlT_E0_NS1_11comp_targetILNS1_3genE0ELNS1_11target_archE4294967295ELNS1_3gpuE0ELNS1_3repE0EEENS1_60segmented_radix_sort_warp_sort_medium_config_static_selectorELNS0_4arch9wavefront6targetE0EEEvSK_.has_dyn_sized_stack, or(0, .L_ZN7rocprim17ROCPRIM_400000_NS6detail26segmented_warp_sort_helperINS1_20WarpSortHelperConfigILj16ELj8ELj256EEEilLi256ELb0EvE4sortIPKiPiPKlPlEEvT_T0_T1_T2_jjjjRNS5_12storage_typeE.has_dyn_sized_stack)
	.set _ZN7rocprim17ROCPRIM_400000_NS6detail17trampoline_kernelINS0_14default_configENS1_36segmented_radix_sort_config_selectorIilEEZNS1_25segmented_radix_sort_implIS3_Lb0EPKiPiPKlPlN2at6native12_GLOBAL__N_18offset_tEEE10hipError_tPvRmT1_PNSt15iterator_traitsISK_E10value_typeET2_T3_PNSL_ISQ_E10value_typeET4_jRbjT5_SW_jjP12ihipStream_tbEUlT_E0_NS1_11comp_targetILNS1_3genE0ELNS1_11target_archE4294967295ELNS1_3gpuE0ELNS1_3repE0EEENS1_60segmented_radix_sort_warp_sort_medium_config_static_selectorELNS0_4arch9wavefront6targetE0EEEvSK_.has_recursion, or(0, .L_ZN7rocprim17ROCPRIM_400000_NS6detail26segmented_warp_sort_helperINS1_20WarpSortHelperConfigILj16ELj8ELj256EEEilLi256ELb0EvE4sortIPKiPiPKlPlEEvT_T0_T1_T2_jjjjRNS5_12storage_typeE.has_recursion)
	.set _ZN7rocprim17ROCPRIM_400000_NS6detail17trampoline_kernelINS0_14default_configENS1_36segmented_radix_sort_config_selectorIilEEZNS1_25segmented_radix_sort_implIS3_Lb0EPKiPiPKlPlN2at6native12_GLOBAL__N_18offset_tEEE10hipError_tPvRmT1_PNSt15iterator_traitsISK_E10value_typeET2_T3_PNSL_ISQ_E10value_typeET4_jRbjT5_SW_jjP12ihipStream_tbEUlT_E0_NS1_11comp_targetILNS1_3genE0ELNS1_11target_archE4294967295ELNS1_3gpuE0ELNS1_3repE0EEENS1_60segmented_radix_sort_warp_sort_medium_config_static_selectorELNS0_4arch9wavefront6targetE0EEEvSK_.has_indirect_call, or(0, .L_ZN7rocprim17ROCPRIM_400000_NS6detail26segmented_warp_sort_helperINS1_20WarpSortHelperConfigILj16ELj8ELj256EEEilLi256ELb0EvE4sortIPKiPiPKlPlEEvT_T0_T1_T2_jjjjRNS5_12storage_typeE.has_indirect_call)
	.section	.AMDGPU.csdata,"",@progbits
; Kernel info:
; codeLenInByte = 480
; TotalNumSgprs: 46
; NumVgprs: 72
; ScratchSize: 0
; MemoryBound: 0
; FloatMode: 240
; IeeeMode: 1
; LDSByteSize: 24576 bytes/workgroup (compile time only)
; SGPRBlocks: 0
; VGPRBlocks: 4
; NumSGPRsForWavesPerEU: 46
; NumVGPRsForWavesPerEU: 72
; NamedBarCnt: 0
; Occupancy: 12
; WaveLimiterHint : 0
; COMPUTE_PGM_RSRC2:SCRATCH_EN: 0
; COMPUTE_PGM_RSRC2:USER_SGPR: 4
; COMPUTE_PGM_RSRC2:TRAP_HANDLER: 0
; COMPUTE_PGM_RSRC2:TGID_X_EN: 1
; COMPUTE_PGM_RSRC2:TGID_Y_EN: 1
; COMPUTE_PGM_RSRC2:TGID_Z_EN: 0
; COMPUTE_PGM_RSRC2:TIDIG_COMP_CNT: 2
	.section	.text._ZN7rocprim17ROCPRIM_400000_NS6detail17trampoline_kernelINS0_14default_configENS1_36segmented_radix_sort_config_selectorIilEEZNS1_25segmented_radix_sort_implIS3_Lb0EPKiPiPKlPlN2at6native12_GLOBAL__N_18offset_tEEE10hipError_tPvRmT1_PNSt15iterator_traitsISK_E10value_typeET2_T3_PNSL_ISQ_E10value_typeET4_jRbjT5_SW_jjP12ihipStream_tbEUlT_E0_NS1_11comp_targetILNS1_3genE5ELNS1_11target_archE942ELNS1_3gpuE9ELNS1_3repE0EEENS1_60segmented_radix_sort_warp_sort_medium_config_static_selectorELNS0_4arch9wavefront6targetE0EEEvSK_,"axG",@progbits,_ZN7rocprim17ROCPRIM_400000_NS6detail17trampoline_kernelINS0_14default_configENS1_36segmented_radix_sort_config_selectorIilEEZNS1_25segmented_radix_sort_implIS3_Lb0EPKiPiPKlPlN2at6native12_GLOBAL__N_18offset_tEEE10hipError_tPvRmT1_PNSt15iterator_traitsISK_E10value_typeET2_T3_PNSL_ISQ_E10value_typeET4_jRbjT5_SW_jjP12ihipStream_tbEUlT_E0_NS1_11comp_targetILNS1_3genE5ELNS1_11target_archE942ELNS1_3gpuE9ELNS1_3repE0EEENS1_60segmented_radix_sort_warp_sort_medium_config_static_selectorELNS0_4arch9wavefront6targetE0EEEvSK_,comdat
	.globl	_ZN7rocprim17ROCPRIM_400000_NS6detail17trampoline_kernelINS0_14default_configENS1_36segmented_radix_sort_config_selectorIilEEZNS1_25segmented_radix_sort_implIS3_Lb0EPKiPiPKlPlN2at6native12_GLOBAL__N_18offset_tEEE10hipError_tPvRmT1_PNSt15iterator_traitsISK_E10value_typeET2_T3_PNSL_ISQ_E10value_typeET4_jRbjT5_SW_jjP12ihipStream_tbEUlT_E0_NS1_11comp_targetILNS1_3genE5ELNS1_11target_archE942ELNS1_3gpuE9ELNS1_3repE0EEENS1_60segmented_radix_sort_warp_sort_medium_config_static_selectorELNS0_4arch9wavefront6targetE0EEEvSK_ ; -- Begin function _ZN7rocprim17ROCPRIM_400000_NS6detail17trampoline_kernelINS0_14default_configENS1_36segmented_radix_sort_config_selectorIilEEZNS1_25segmented_radix_sort_implIS3_Lb0EPKiPiPKlPlN2at6native12_GLOBAL__N_18offset_tEEE10hipError_tPvRmT1_PNSt15iterator_traitsISK_E10value_typeET2_T3_PNSL_ISQ_E10value_typeET4_jRbjT5_SW_jjP12ihipStream_tbEUlT_E0_NS1_11comp_targetILNS1_3genE5ELNS1_11target_archE942ELNS1_3gpuE9ELNS1_3repE0EEENS1_60segmented_radix_sort_warp_sort_medium_config_static_selectorELNS0_4arch9wavefront6targetE0EEEvSK_
	.p2align	8
	.type	_ZN7rocprim17ROCPRIM_400000_NS6detail17trampoline_kernelINS0_14default_configENS1_36segmented_radix_sort_config_selectorIilEEZNS1_25segmented_radix_sort_implIS3_Lb0EPKiPiPKlPlN2at6native12_GLOBAL__N_18offset_tEEE10hipError_tPvRmT1_PNSt15iterator_traitsISK_E10value_typeET2_T3_PNSL_ISQ_E10value_typeET4_jRbjT5_SW_jjP12ihipStream_tbEUlT_E0_NS1_11comp_targetILNS1_3genE5ELNS1_11target_archE942ELNS1_3gpuE9ELNS1_3repE0EEENS1_60segmented_radix_sort_warp_sort_medium_config_static_selectorELNS0_4arch9wavefront6targetE0EEEvSK_,@function
_ZN7rocprim17ROCPRIM_400000_NS6detail17trampoline_kernelINS0_14default_configENS1_36segmented_radix_sort_config_selectorIilEEZNS1_25segmented_radix_sort_implIS3_Lb0EPKiPiPKlPlN2at6native12_GLOBAL__N_18offset_tEEE10hipError_tPvRmT1_PNSt15iterator_traitsISK_E10value_typeET2_T3_PNSL_ISQ_E10value_typeET4_jRbjT5_SW_jjP12ihipStream_tbEUlT_E0_NS1_11comp_targetILNS1_3genE5ELNS1_11target_archE942ELNS1_3gpuE9ELNS1_3repE0EEENS1_60segmented_radix_sort_warp_sort_medium_config_static_selectorELNS0_4arch9wavefront6targetE0EEEvSK_: ; @_ZN7rocprim17ROCPRIM_400000_NS6detail17trampoline_kernelINS0_14default_configENS1_36segmented_radix_sort_config_selectorIilEEZNS1_25segmented_radix_sort_implIS3_Lb0EPKiPiPKlPlN2at6native12_GLOBAL__N_18offset_tEEE10hipError_tPvRmT1_PNSt15iterator_traitsISK_E10value_typeET2_T3_PNSL_ISQ_E10value_typeET4_jRbjT5_SW_jjP12ihipStream_tbEUlT_E0_NS1_11comp_targetILNS1_3genE5ELNS1_11target_archE942ELNS1_3gpuE9ELNS1_3repE0EEENS1_60segmented_radix_sort_warp_sort_medium_config_static_selectorELNS0_4arch9wavefront6targetE0EEEvSK_
; %bb.0:
	.section	.rodata,"a",@progbits
	.p2align	6, 0x0
	.amdhsa_kernel _ZN7rocprim17ROCPRIM_400000_NS6detail17trampoline_kernelINS0_14default_configENS1_36segmented_radix_sort_config_selectorIilEEZNS1_25segmented_radix_sort_implIS3_Lb0EPKiPiPKlPlN2at6native12_GLOBAL__N_18offset_tEEE10hipError_tPvRmT1_PNSt15iterator_traitsISK_E10value_typeET2_T3_PNSL_ISQ_E10value_typeET4_jRbjT5_SW_jjP12ihipStream_tbEUlT_E0_NS1_11comp_targetILNS1_3genE5ELNS1_11target_archE942ELNS1_3gpuE9ELNS1_3repE0EEENS1_60segmented_radix_sort_warp_sort_medium_config_static_selectorELNS0_4arch9wavefront6targetE0EEEvSK_
		.amdhsa_group_segment_fixed_size 0
		.amdhsa_private_segment_fixed_size 0
		.amdhsa_kernarg_size 88
		.amdhsa_user_sgpr_count 2
		.amdhsa_user_sgpr_dispatch_ptr 0
		.amdhsa_user_sgpr_queue_ptr 0
		.amdhsa_user_sgpr_kernarg_segment_ptr 1
		.amdhsa_user_sgpr_dispatch_id 0
		.amdhsa_user_sgpr_kernarg_preload_length 0
		.amdhsa_user_sgpr_kernarg_preload_offset 0
		.amdhsa_user_sgpr_private_segment_size 0
		.amdhsa_wavefront_size32 1
		.amdhsa_uses_dynamic_stack 0
		.amdhsa_enable_private_segment 0
		.amdhsa_system_sgpr_workgroup_id_x 1
		.amdhsa_system_sgpr_workgroup_id_y 0
		.amdhsa_system_sgpr_workgroup_id_z 0
		.amdhsa_system_sgpr_workgroup_info 0
		.amdhsa_system_vgpr_workitem_id 0
		.amdhsa_next_free_vgpr 1
		.amdhsa_next_free_sgpr 1
		.amdhsa_named_barrier_count 0
		.amdhsa_reserve_vcc 0
		.amdhsa_float_round_mode_32 0
		.amdhsa_float_round_mode_16_64 0
		.amdhsa_float_denorm_mode_32 3
		.amdhsa_float_denorm_mode_16_64 3
		.amdhsa_fp16_overflow 0
		.amdhsa_memory_ordered 1
		.amdhsa_forward_progress 1
		.amdhsa_inst_pref_size 0
		.amdhsa_round_robin_scheduling 0
		.amdhsa_exception_fp_ieee_invalid_op 0
		.amdhsa_exception_fp_denorm_src 0
		.amdhsa_exception_fp_ieee_div_zero 0
		.amdhsa_exception_fp_ieee_overflow 0
		.amdhsa_exception_fp_ieee_underflow 0
		.amdhsa_exception_fp_ieee_inexact 0
		.amdhsa_exception_int_div_zero 0
	.end_amdhsa_kernel
	.section	.text._ZN7rocprim17ROCPRIM_400000_NS6detail17trampoline_kernelINS0_14default_configENS1_36segmented_radix_sort_config_selectorIilEEZNS1_25segmented_radix_sort_implIS3_Lb0EPKiPiPKlPlN2at6native12_GLOBAL__N_18offset_tEEE10hipError_tPvRmT1_PNSt15iterator_traitsISK_E10value_typeET2_T3_PNSL_ISQ_E10value_typeET4_jRbjT5_SW_jjP12ihipStream_tbEUlT_E0_NS1_11comp_targetILNS1_3genE5ELNS1_11target_archE942ELNS1_3gpuE9ELNS1_3repE0EEENS1_60segmented_radix_sort_warp_sort_medium_config_static_selectorELNS0_4arch9wavefront6targetE0EEEvSK_,"axG",@progbits,_ZN7rocprim17ROCPRIM_400000_NS6detail17trampoline_kernelINS0_14default_configENS1_36segmented_radix_sort_config_selectorIilEEZNS1_25segmented_radix_sort_implIS3_Lb0EPKiPiPKlPlN2at6native12_GLOBAL__N_18offset_tEEE10hipError_tPvRmT1_PNSt15iterator_traitsISK_E10value_typeET2_T3_PNSL_ISQ_E10value_typeET4_jRbjT5_SW_jjP12ihipStream_tbEUlT_E0_NS1_11comp_targetILNS1_3genE5ELNS1_11target_archE942ELNS1_3gpuE9ELNS1_3repE0EEENS1_60segmented_radix_sort_warp_sort_medium_config_static_selectorELNS0_4arch9wavefront6targetE0EEEvSK_,comdat
.Lfunc_end608:
	.size	_ZN7rocprim17ROCPRIM_400000_NS6detail17trampoline_kernelINS0_14default_configENS1_36segmented_radix_sort_config_selectorIilEEZNS1_25segmented_radix_sort_implIS3_Lb0EPKiPiPKlPlN2at6native12_GLOBAL__N_18offset_tEEE10hipError_tPvRmT1_PNSt15iterator_traitsISK_E10value_typeET2_T3_PNSL_ISQ_E10value_typeET4_jRbjT5_SW_jjP12ihipStream_tbEUlT_E0_NS1_11comp_targetILNS1_3genE5ELNS1_11target_archE942ELNS1_3gpuE9ELNS1_3repE0EEENS1_60segmented_radix_sort_warp_sort_medium_config_static_selectorELNS0_4arch9wavefront6targetE0EEEvSK_, .Lfunc_end608-_ZN7rocprim17ROCPRIM_400000_NS6detail17trampoline_kernelINS0_14default_configENS1_36segmented_radix_sort_config_selectorIilEEZNS1_25segmented_radix_sort_implIS3_Lb0EPKiPiPKlPlN2at6native12_GLOBAL__N_18offset_tEEE10hipError_tPvRmT1_PNSt15iterator_traitsISK_E10value_typeET2_T3_PNSL_ISQ_E10value_typeET4_jRbjT5_SW_jjP12ihipStream_tbEUlT_E0_NS1_11comp_targetILNS1_3genE5ELNS1_11target_archE942ELNS1_3gpuE9ELNS1_3repE0EEENS1_60segmented_radix_sort_warp_sort_medium_config_static_selectorELNS0_4arch9wavefront6targetE0EEEvSK_
                                        ; -- End function
	.set _ZN7rocprim17ROCPRIM_400000_NS6detail17trampoline_kernelINS0_14default_configENS1_36segmented_radix_sort_config_selectorIilEEZNS1_25segmented_radix_sort_implIS3_Lb0EPKiPiPKlPlN2at6native12_GLOBAL__N_18offset_tEEE10hipError_tPvRmT1_PNSt15iterator_traitsISK_E10value_typeET2_T3_PNSL_ISQ_E10value_typeET4_jRbjT5_SW_jjP12ihipStream_tbEUlT_E0_NS1_11comp_targetILNS1_3genE5ELNS1_11target_archE942ELNS1_3gpuE9ELNS1_3repE0EEENS1_60segmented_radix_sort_warp_sort_medium_config_static_selectorELNS0_4arch9wavefront6targetE0EEEvSK_.num_vgpr, 0
	.set _ZN7rocprim17ROCPRIM_400000_NS6detail17trampoline_kernelINS0_14default_configENS1_36segmented_radix_sort_config_selectorIilEEZNS1_25segmented_radix_sort_implIS3_Lb0EPKiPiPKlPlN2at6native12_GLOBAL__N_18offset_tEEE10hipError_tPvRmT1_PNSt15iterator_traitsISK_E10value_typeET2_T3_PNSL_ISQ_E10value_typeET4_jRbjT5_SW_jjP12ihipStream_tbEUlT_E0_NS1_11comp_targetILNS1_3genE5ELNS1_11target_archE942ELNS1_3gpuE9ELNS1_3repE0EEENS1_60segmented_radix_sort_warp_sort_medium_config_static_selectorELNS0_4arch9wavefront6targetE0EEEvSK_.num_agpr, 0
	.set _ZN7rocprim17ROCPRIM_400000_NS6detail17trampoline_kernelINS0_14default_configENS1_36segmented_radix_sort_config_selectorIilEEZNS1_25segmented_radix_sort_implIS3_Lb0EPKiPiPKlPlN2at6native12_GLOBAL__N_18offset_tEEE10hipError_tPvRmT1_PNSt15iterator_traitsISK_E10value_typeET2_T3_PNSL_ISQ_E10value_typeET4_jRbjT5_SW_jjP12ihipStream_tbEUlT_E0_NS1_11comp_targetILNS1_3genE5ELNS1_11target_archE942ELNS1_3gpuE9ELNS1_3repE0EEENS1_60segmented_radix_sort_warp_sort_medium_config_static_selectorELNS0_4arch9wavefront6targetE0EEEvSK_.numbered_sgpr, 0
	.set _ZN7rocprim17ROCPRIM_400000_NS6detail17trampoline_kernelINS0_14default_configENS1_36segmented_radix_sort_config_selectorIilEEZNS1_25segmented_radix_sort_implIS3_Lb0EPKiPiPKlPlN2at6native12_GLOBAL__N_18offset_tEEE10hipError_tPvRmT1_PNSt15iterator_traitsISK_E10value_typeET2_T3_PNSL_ISQ_E10value_typeET4_jRbjT5_SW_jjP12ihipStream_tbEUlT_E0_NS1_11comp_targetILNS1_3genE5ELNS1_11target_archE942ELNS1_3gpuE9ELNS1_3repE0EEENS1_60segmented_radix_sort_warp_sort_medium_config_static_selectorELNS0_4arch9wavefront6targetE0EEEvSK_.num_named_barrier, 0
	.set _ZN7rocprim17ROCPRIM_400000_NS6detail17trampoline_kernelINS0_14default_configENS1_36segmented_radix_sort_config_selectorIilEEZNS1_25segmented_radix_sort_implIS3_Lb0EPKiPiPKlPlN2at6native12_GLOBAL__N_18offset_tEEE10hipError_tPvRmT1_PNSt15iterator_traitsISK_E10value_typeET2_T3_PNSL_ISQ_E10value_typeET4_jRbjT5_SW_jjP12ihipStream_tbEUlT_E0_NS1_11comp_targetILNS1_3genE5ELNS1_11target_archE942ELNS1_3gpuE9ELNS1_3repE0EEENS1_60segmented_radix_sort_warp_sort_medium_config_static_selectorELNS0_4arch9wavefront6targetE0EEEvSK_.private_seg_size, 0
	.set _ZN7rocprim17ROCPRIM_400000_NS6detail17trampoline_kernelINS0_14default_configENS1_36segmented_radix_sort_config_selectorIilEEZNS1_25segmented_radix_sort_implIS3_Lb0EPKiPiPKlPlN2at6native12_GLOBAL__N_18offset_tEEE10hipError_tPvRmT1_PNSt15iterator_traitsISK_E10value_typeET2_T3_PNSL_ISQ_E10value_typeET4_jRbjT5_SW_jjP12ihipStream_tbEUlT_E0_NS1_11comp_targetILNS1_3genE5ELNS1_11target_archE942ELNS1_3gpuE9ELNS1_3repE0EEENS1_60segmented_radix_sort_warp_sort_medium_config_static_selectorELNS0_4arch9wavefront6targetE0EEEvSK_.uses_vcc, 0
	.set _ZN7rocprim17ROCPRIM_400000_NS6detail17trampoline_kernelINS0_14default_configENS1_36segmented_radix_sort_config_selectorIilEEZNS1_25segmented_radix_sort_implIS3_Lb0EPKiPiPKlPlN2at6native12_GLOBAL__N_18offset_tEEE10hipError_tPvRmT1_PNSt15iterator_traitsISK_E10value_typeET2_T3_PNSL_ISQ_E10value_typeET4_jRbjT5_SW_jjP12ihipStream_tbEUlT_E0_NS1_11comp_targetILNS1_3genE5ELNS1_11target_archE942ELNS1_3gpuE9ELNS1_3repE0EEENS1_60segmented_radix_sort_warp_sort_medium_config_static_selectorELNS0_4arch9wavefront6targetE0EEEvSK_.uses_flat_scratch, 0
	.set _ZN7rocprim17ROCPRIM_400000_NS6detail17trampoline_kernelINS0_14default_configENS1_36segmented_radix_sort_config_selectorIilEEZNS1_25segmented_radix_sort_implIS3_Lb0EPKiPiPKlPlN2at6native12_GLOBAL__N_18offset_tEEE10hipError_tPvRmT1_PNSt15iterator_traitsISK_E10value_typeET2_T3_PNSL_ISQ_E10value_typeET4_jRbjT5_SW_jjP12ihipStream_tbEUlT_E0_NS1_11comp_targetILNS1_3genE5ELNS1_11target_archE942ELNS1_3gpuE9ELNS1_3repE0EEENS1_60segmented_radix_sort_warp_sort_medium_config_static_selectorELNS0_4arch9wavefront6targetE0EEEvSK_.has_dyn_sized_stack, 0
	.set _ZN7rocprim17ROCPRIM_400000_NS6detail17trampoline_kernelINS0_14default_configENS1_36segmented_radix_sort_config_selectorIilEEZNS1_25segmented_radix_sort_implIS3_Lb0EPKiPiPKlPlN2at6native12_GLOBAL__N_18offset_tEEE10hipError_tPvRmT1_PNSt15iterator_traitsISK_E10value_typeET2_T3_PNSL_ISQ_E10value_typeET4_jRbjT5_SW_jjP12ihipStream_tbEUlT_E0_NS1_11comp_targetILNS1_3genE5ELNS1_11target_archE942ELNS1_3gpuE9ELNS1_3repE0EEENS1_60segmented_radix_sort_warp_sort_medium_config_static_selectorELNS0_4arch9wavefront6targetE0EEEvSK_.has_recursion, 0
	.set _ZN7rocprim17ROCPRIM_400000_NS6detail17trampoline_kernelINS0_14default_configENS1_36segmented_radix_sort_config_selectorIilEEZNS1_25segmented_radix_sort_implIS3_Lb0EPKiPiPKlPlN2at6native12_GLOBAL__N_18offset_tEEE10hipError_tPvRmT1_PNSt15iterator_traitsISK_E10value_typeET2_T3_PNSL_ISQ_E10value_typeET4_jRbjT5_SW_jjP12ihipStream_tbEUlT_E0_NS1_11comp_targetILNS1_3genE5ELNS1_11target_archE942ELNS1_3gpuE9ELNS1_3repE0EEENS1_60segmented_radix_sort_warp_sort_medium_config_static_selectorELNS0_4arch9wavefront6targetE0EEEvSK_.has_indirect_call, 0
	.section	.AMDGPU.csdata,"",@progbits
; Kernel info:
; codeLenInByte = 0
; TotalNumSgprs: 0
; NumVgprs: 0
; ScratchSize: 0
; MemoryBound: 0
; FloatMode: 240
; IeeeMode: 1
; LDSByteSize: 0 bytes/workgroup (compile time only)
; SGPRBlocks: 0
; VGPRBlocks: 0
; NumSGPRsForWavesPerEU: 1
; NumVGPRsForWavesPerEU: 1
; NamedBarCnt: 0
; Occupancy: 16
; WaveLimiterHint : 0
; COMPUTE_PGM_RSRC2:SCRATCH_EN: 0
; COMPUTE_PGM_RSRC2:USER_SGPR: 2
; COMPUTE_PGM_RSRC2:TRAP_HANDLER: 0
; COMPUTE_PGM_RSRC2:TGID_X_EN: 1
; COMPUTE_PGM_RSRC2:TGID_Y_EN: 0
; COMPUTE_PGM_RSRC2:TGID_Z_EN: 0
; COMPUTE_PGM_RSRC2:TIDIG_COMP_CNT: 0
	.section	.text._ZN7rocprim17ROCPRIM_400000_NS6detail17trampoline_kernelINS0_14default_configENS1_36segmented_radix_sort_config_selectorIilEEZNS1_25segmented_radix_sort_implIS3_Lb0EPKiPiPKlPlN2at6native12_GLOBAL__N_18offset_tEEE10hipError_tPvRmT1_PNSt15iterator_traitsISK_E10value_typeET2_T3_PNSL_ISQ_E10value_typeET4_jRbjT5_SW_jjP12ihipStream_tbEUlT_E0_NS1_11comp_targetILNS1_3genE4ELNS1_11target_archE910ELNS1_3gpuE8ELNS1_3repE0EEENS1_60segmented_radix_sort_warp_sort_medium_config_static_selectorELNS0_4arch9wavefront6targetE0EEEvSK_,"axG",@progbits,_ZN7rocprim17ROCPRIM_400000_NS6detail17trampoline_kernelINS0_14default_configENS1_36segmented_radix_sort_config_selectorIilEEZNS1_25segmented_radix_sort_implIS3_Lb0EPKiPiPKlPlN2at6native12_GLOBAL__N_18offset_tEEE10hipError_tPvRmT1_PNSt15iterator_traitsISK_E10value_typeET2_T3_PNSL_ISQ_E10value_typeET4_jRbjT5_SW_jjP12ihipStream_tbEUlT_E0_NS1_11comp_targetILNS1_3genE4ELNS1_11target_archE910ELNS1_3gpuE8ELNS1_3repE0EEENS1_60segmented_radix_sort_warp_sort_medium_config_static_selectorELNS0_4arch9wavefront6targetE0EEEvSK_,comdat
	.globl	_ZN7rocprim17ROCPRIM_400000_NS6detail17trampoline_kernelINS0_14default_configENS1_36segmented_radix_sort_config_selectorIilEEZNS1_25segmented_radix_sort_implIS3_Lb0EPKiPiPKlPlN2at6native12_GLOBAL__N_18offset_tEEE10hipError_tPvRmT1_PNSt15iterator_traitsISK_E10value_typeET2_T3_PNSL_ISQ_E10value_typeET4_jRbjT5_SW_jjP12ihipStream_tbEUlT_E0_NS1_11comp_targetILNS1_3genE4ELNS1_11target_archE910ELNS1_3gpuE8ELNS1_3repE0EEENS1_60segmented_radix_sort_warp_sort_medium_config_static_selectorELNS0_4arch9wavefront6targetE0EEEvSK_ ; -- Begin function _ZN7rocprim17ROCPRIM_400000_NS6detail17trampoline_kernelINS0_14default_configENS1_36segmented_radix_sort_config_selectorIilEEZNS1_25segmented_radix_sort_implIS3_Lb0EPKiPiPKlPlN2at6native12_GLOBAL__N_18offset_tEEE10hipError_tPvRmT1_PNSt15iterator_traitsISK_E10value_typeET2_T3_PNSL_ISQ_E10value_typeET4_jRbjT5_SW_jjP12ihipStream_tbEUlT_E0_NS1_11comp_targetILNS1_3genE4ELNS1_11target_archE910ELNS1_3gpuE8ELNS1_3repE0EEENS1_60segmented_radix_sort_warp_sort_medium_config_static_selectorELNS0_4arch9wavefront6targetE0EEEvSK_
	.p2align	8
	.type	_ZN7rocprim17ROCPRIM_400000_NS6detail17trampoline_kernelINS0_14default_configENS1_36segmented_radix_sort_config_selectorIilEEZNS1_25segmented_radix_sort_implIS3_Lb0EPKiPiPKlPlN2at6native12_GLOBAL__N_18offset_tEEE10hipError_tPvRmT1_PNSt15iterator_traitsISK_E10value_typeET2_T3_PNSL_ISQ_E10value_typeET4_jRbjT5_SW_jjP12ihipStream_tbEUlT_E0_NS1_11comp_targetILNS1_3genE4ELNS1_11target_archE910ELNS1_3gpuE8ELNS1_3repE0EEENS1_60segmented_radix_sort_warp_sort_medium_config_static_selectorELNS0_4arch9wavefront6targetE0EEEvSK_,@function
_ZN7rocprim17ROCPRIM_400000_NS6detail17trampoline_kernelINS0_14default_configENS1_36segmented_radix_sort_config_selectorIilEEZNS1_25segmented_radix_sort_implIS3_Lb0EPKiPiPKlPlN2at6native12_GLOBAL__N_18offset_tEEE10hipError_tPvRmT1_PNSt15iterator_traitsISK_E10value_typeET2_T3_PNSL_ISQ_E10value_typeET4_jRbjT5_SW_jjP12ihipStream_tbEUlT_E0_NS1_11comp_targetILNS1_3genE4ELNS1_11target_archE910ELNS1_3gpuE8ELNS1_3repE0EEENS1_60segmented_radix_sort_warp_sort_medium_config_static_selectorELNS0_4arch9wavefront6targetE0EEEvSK_: ; @_ZN7rocprim17ROCPRIM_400000_NS6detail17trampoline_kernelINS0_14default_configENS1_36segmented_radix_sort_config_selectorIilEEZNS1_25segmented_radix_sort_implIS3_Lb0EPKiPiPKlPlN2at6native12_GLOBAL__N_18offset_tEEE10hipError_tPvRmT1_PNSt15iterator_traitsISK_E10value_typeET2_T3_PNSL_ISQ_E10value_typeET4_jRbjT5_SW_jjP12ihipStream_tbEUlT_E0_NS1_11comp_targetILNS1_3genE4ELNS1_11target_archE910ELNS1_3gpuE8ELNS1_3repE0EEENS1_60segmented_radix_sort_warp_sort_medium_config_static_selectorELNS0_4arch9wavefront6targetE0EEEvSK_
; %bb.0:
	.section	.rodata,"a",@progbits
	.p2align	6, 0x0
	.amdhsa_kernel _ZN7rocprim17ROCPRIM_400000_NS6detail17trampoline_kernelINS0_14default_configENS1_36segmented_radix_sort_config_selectorIilEEZNS1_25segmented_radix_sort_implIS3_Lb0EPKiPiPKlPlN2at6native12_GLOBAL__N_18offset_tEEE10hipError_tPvRmT1_PNSt15iterator_traitsISK_E10value_typeET2_T3_PNSL_ISQ_E10value_typeET4_jRbjT5_SW_jjP12ihipStream_tbEUlT_E0_NS1_11comp_targetILNS1_3genE4ELNS1_11target_archE910ELNS1_3gpuE8ELNS1_3repE0EEENS1_60segmented_radix_sort_warp_sort_medium_config_static_selectorELNS0_4arch9wavefront6targetE0EEEvSK_
		.amdhsa_group_segment_fixed_size 0
		.amdhsa_private_segment_fixed_size 0
		.amdhsa_kernarg_size 88
		.amdhsa_user_sgpr_count 2
		.amdhsa_user_sgpr_dispatch_ptr 0
		.amdhsa_user_sgpr_queue_ptr 0
		.amdhsa_user_sgpr_kernarg_segment_ptr 1
		.amdhsa_user_sgpr_dispatch_id 0
		.amdhsa_user_sgpr_kernarg_preload_length 0
		.amdhsa_user_sgpr_kernarg_preload_offset 0
		.amdhsa_user_sgpr_private_segment_size 0
		.amdhsa_wavefront_size32 1
		.amdhsa_uses_dynamic_stack 0
		.amdhsa_enable_private_segment 0
		.amdhsa_system_sgpr_workgroup_id_x 1
		.amdhsa_system_sgpr_workgroup_id_y 0
		.amdhsa_system_sgpr_workgroup_id_z 0
		.amdhsa_system_sgpr_workgroup_info 0
		.amdhsa_system_vgpr_workitem_id 0
		.amdhsa_next_free_vgpr 1
		.amdhsa_next_free_sgpr 1
		.amdhsa_named_barrier_count 0
		.amdhsa_reserve_vcc 0
		.amdhsa_float_round_mode_32 0
		.amdhsa_float_round_mode_16_64 0
		.amdhsa_float_denorm_mode_32 3
		.amdhsa_float_denorm_mode_16_64 3
		.amdhsa_fp16_overflow 0
		.amdhsa_memory_ordered 1
		.amdhsa_forward_progress 1
		.amdhsa_inst_pref_size 0
		.amdhsa_round_robin_scheduling 0
		.amdhsa_exception_fp_ieee_invalid_op 0
		.amdhsa_exception_fp_denorm_src 0
		.amdhsa_exception_fp_ieee_div_zero 0
		.amdhsa_exception_fp_ieee_overflow 0
		.amdhsa_exception_fp_ieee_underflow 0
		.amdhsa_exception_fp_ieee_inexact 0
		.amdhsa_exception_int_div_zero 0
	.end_amdhsa_kernel
	.section	.text._ZN7rocprim17ROCPRIM_400000_NS6detail17trampoline_kernelINS0_14default_configENS1_36segmented_radix_sort_config_selectorIilEEZNS1_25segmented_radix_sort_implIS3_Lb0EPKiPiPKlPlN2at6native12_GLOBAL__N_18offset_tEEE10hipError_tPvRmT1_PNSt15iterator_traitsISK_E10value_typeET2_T3_PNSL_ISQ_E10value_typeET4_jRbjT5_SW_jjP12ihipStream_tbEUlT_E0_NS1_11comp_targetILNS1_3genE4ELNS1_11target_archE910ELNS1_3gpuE8ELNS1_3repE0EEENS1_60segmented_radix_sort_warp_sort_medium_config_static_selectorELNS0_4arch9wavefront6targetE0EEEvSK_,"axG",@progbits,_ZN7rocprim17ROCPRIM_400000_NS6detail17trampoline_kernelINS0_14default_configENS1_36segmented_radix_sort_config_selectorIilEEZNS1_25segmented_radix_sort_implIS3_Lb0EPKiPiPKlPlN2at6native12_GLOBAL__N_18offset_tEEE10hipError_tPvRmT1_PNSt15iterator_traitsISK_E10value_typeET2_T3_PNSL_ISQ_E10value_typeET4_jRbjT5_SW_jjP12ihipStream_tbEUlT_E0_NS1_11comp_targetILNS1_3genE4ELNS1_11target_archE910ELNS1_3gpuE8ELNS1_3repE0EEENS1_60segmented_radix_sort_warp_sort_medium_config_static_selectorELNS0_4arch9wavefront6targetE0EEEvSK_,comdat
.Lfunc_end609:
	.size	_ZN7rocprim17ROCPRIM_400000_NS6detail17trampoline_kernelINS0_14default_configENS1_36segmented_radix_sort_config_selectorIilEEZNS1_25segmented_radix_sort_implIS3_Lb0EPKiPiPKlPlN2at6native12_GLOBAL__N_18offset_tEEE10hipError_tPvRmT1_PNSt15iterator_traitsISK_E10value_typeET2_T3_PNSL_ISQ_E10value_typeET4_jRbjT5_SW_jjP12ihipStream_tbEUlT_E0_NS1_11comp_targetILNS1_3genE4ELNS1_11target_archE910ELNS1_3gpuE8ELNS1_3repE0EEENS1_60segmented_radix_sort_warp_sort_medium_config_static_selectorELNS0_4arch9wavefront6targetE0EEEvSK_, .Lfunc_end609-_ZN7rocprim17ROCPRIM_400000_NS6detail17trampoline_kernelINS0_14default_configENS1_36segmented_radix_sort_config_selectorIilEEZNS1_25segmented_radix_sort_implIS3_Lb0EPKiPiPKlPlN2at6native12_GLOBAL__N_18offset_tEEE10hipError_tPvRmT1_PNSt15iterator_traitsISK_E10value_typeET2_T3_PNSL_ISQ_E10value_typeET4_jRbjT5_SW_jjP12ihipStream_tbEUlT_E0_NS1_11comp_targetILNS1_3genE4ELNS1_11target_archE910ELNS1_3gpuE8ELNS1_3repE0EEENS1_60segmented_radix_sort_warp_sort_medium_config_static_selectorELNS0_4arch9wavefront6targetE0EEEvSK_
                                        ; -- End function
	.set _ZN7rocprim17ROCPRIM_400000_NS6detail17trampoline_kernelINS0_14default_configENS1_36segmented_radix_sort_config_selectorIilEEZNS1_25segmented_radix_sort_implIS3_Lb0EPKiPiPKlPlN2at6native12_GLOBAL__N_18offset_tEEE10hipError_tPvRmT1_PNSt15iterator_traitsISK_E10value_typeET2_T3_PNSL_ISQ_E10value_typeET4_jRbjT5_SW_jjP12ihipStream_tbEUlT_E0_NS1_11comp_targetILNS1_3genE4ELNS1_11target_archE910ELNS1_3gpuE8ELNS1_3repE0EEENS1_60segmented_radix_sort_warp_sort_medium_config_static_selectorELNS0_4arch9wavefront6targetE0EEEvSK_.num_vgpr, 0
	.set _ZN7rocprim17ROCPRIM_400000_NS6detail17trampoline_kernelINS0_14default_configENS1_36segmented_radix_sort_config_selectorIilEEZNS1_25segmented_radix_sort_implIS3_Lb0EPKiPiPKlPlN2at6native12_GLOBAL__N_18offset_tEEE10hipError_tPvRmT1_PNSt15iterator_traitsISK_E10value_typeET2_T3_PNSL_ISQ_E10value_typeET4_jRbjT5_SW_jjP12ihipStream_tbEUlT_E0_NS1_11comp_targetILNS1_3genE4ELNS1_11target_archE910ELNS1_3gpuE8ELNS1_3repE0EEENS1_60segmented_radix_sort_warp_sort_medium_config_static_selectorELNS0_4arch9wavefront6targetE0EEEvSK_.num_agpr, 0
	.set _ZN7rocprim17ROCPRIM_400000_NS6detail17trampoline_kernelINS0_14default_configENS1_36segmented_radix_sort_config_selectorIilEEZNS1_25segmented_radix_sort_implIS3_Lb0EPKiPiPKlPlN2at6native12_GLOBAL__N_18offset_tEEE10hipError_tPvRmT1_PNSt15iterator_traitsISK_E10value_typeET2_T3_PNSL_ISQ_E10value_typeET4_jRbjT5_SW_jjP12ihipStream_tbEUlT_E0_NS1_11comp_targetILNS1_3genE4ELNS1_11target_archE910ELNS1_3gpuE8ELNS1_3repE0EEENS1_60segmented_radix_sort_warp_sort_medium_config_static_selectorELNS0_4arch9wavefront6targetE0EEEvSK_.numbered_sgpr, 0
	.set _ZN7rocprim17ROCPRIM_400000_NS6detail17trampoline_kernelINS0_14default_configENS1_36segmented_radix_sort_config_selectorIilEEZNS1_25segmented_radix_sort_implIS3_Lb0EPKiPiPKlPlN2at6native12_GLOBAL__N_18offset_tEEE10hipError_tPvRmT1_PNSt15iterator_traitsISK_E10value_typeET2_T3_PNSL_ISQ_E10value_typeET4_jRbjT5_SW_jjP12ihipStream_tbEUlT_E0_NS1_11comp_targetILNS1_3genE4ELNS1_11target_archE910ELNS1_3gpuE8ELNS1_3repE0EEENS1_60segmented_radix_sort_warp_sort_medium_config_static_selectorELNS0_4arch9wavefront6targetE0EEEvSK_.num_named_barrier, 0
	.set _ZN7rocprim17ROCPRIM_400000_NS6detail17trampoline_kernelINS0_14default_configENS1_36segmented_radix_sort_config_selectorIilEEZNS1_25segmented_radix_sort_implIS3_Lb0EPKiPiPKlPlN2at6native12_GLOBAL__N_18offset_tEEE10hipError_tPvRmT1_PNSt15iterator_traitsISK_E10value_typeET2_T3_PNSL_ISQ_E10value_typeET4_jRbjT5_SW_jjP12ihipStream_tbEUlT_E0_NS1_11comp_targetILNS1_3genE4ELNS1_11target_archE910ELNS1_3gpuE8ELNS1_3repE0EEENS1_60segmented_radix_sort_warp_sort_medium_config_static_selectorELNS0_4arch9wavefront6targetE0EEEvSK_.private_seg_size, 0
	.set _ZN7rocprim17ROCPRIM_400000_NS6detail17trampoline_kernelINS0_14default_configENS1_36segmented_radix_sort_config_selectorIilEEZNS1_25segmented_radix_sort_implIS3_Lb0EPKiPiPKlPlN2at6native12_GLOBAL__N_18offset_tEEE10hipError_tPvRmT1_PNSt15iterator_traitsISK_E10value_typeET2_T3_PNSL_ISQ_E10value_typeET4_jRbjT5_SW_jjP12ihipStream_tbEUlT_E0_NS1_11comp_targetILNS1_3genE4ELNS1_11target_archE910ELNS1_3gpuE8ELNS1_3repE0EEENS1_60segmented_radix_sort_warp_sort_medium_config_static_selectorELNS0_4arch9wavefront6targetE0EEEvSK_.uses_vcc, 0
	.set _ZN7rocprim17ROCPRIM_400000_NS6detail17trampoline_kernelINS0_14default_configENS1_36segmented_radix_sort_config_selectorIilEEZNS1_25segmented_radix_sort_implIS3_Lb0EPKiPiPKlPlN2at6native12_GLOBAL__N_18offset_tEEE10hipError_tPvRmT1_PNSt15iterator_traitsISK_E10value_typeET2_T3_PNSL_ISQ_E10value_typeET4_jRbjT5_SW_jjP12ihipStream_tbEUlT_E0_NS1_11comp_targetILNS1_3genE4ELNS1_11target_archE910ELNS1_3gpuE8ELNS1_3repE0EEENS1_60segmented_radix_sort_warp_sort_medium_config_static_selectorELNS0_4arch9wavefront6targetE0EEEvSK_.uses_flat_scratch, 0
	.set _ZN7rocprim17ROCPRIM_400000_NS6detail17trampoline_kernelINS0_14default_configENS1_36segmented_radix_sort_config_selectorIilEEZNS1_25segmented_radix_sort_implIS3_Lb0EPKiPiPKlPlN2at6native12_GLOBAL__N_18offset_tEEE10hipError_tPvRmT1_PNSt15iterator_traitsISK_E10value_typeET2_T3_PNSL_ISQ_E10value_typeET4_jRbjT5_SW_jjP12ihipStream_tbEUlT_E0_NS1_11comp_targetILNS1_3genE4ELNS1_11target_archE910ELNS1_3gpuE8ELNS1_3repE0EEENS1_60segmented_radix_sort_warp_sort_medium_config_static_selectorELNS0_4arch9wavefront6targetE0EEEvSK_.has_dyn_sized_stack, 0
	.set _ZN7rocprim17ROCPRIM_400000_NS6detail17trampoline_kernelINS0_14default_configENS1_36segmented_radix_sort_config_selectorIilEEZNS1_25segmented_radix_sort_implIS3_Lb0EPKiPiPKlPlN2at6native12_GLOBAL__N_18offset_tEEE10hipError_tPvRmT1_PNSt15iterator_traitsISK_E10value_typeET2_T3_PNSL_ISQ_E10value_typeET4_jRbjT5_SW_jjP12ihipStream_tbEUlT_E0_NS1_11comp_targetILNS1_3genE4ELNS1_11target_archE910ELNS1_3gpuE8ELNS1_3repE0EEENS1_60segmented_radix_sort_warp_sort_medium_config_static_selectorELNS0_4arch9wavefront6targetE0EEEvSK_.has_recursion, 0
	.set _ZN7rocprim17ROCPRIM_400000_NS6detail17trampoline_kernelINS0_14default_configENS1_36segmented_radix_sort_config_selectorIilEEZNS1_25segmented_radix_sort_implIS3_Lb0EPKiPiPKlPlN2at6native12_GLOBAL__N_18offset_tEEE10hipError_tPvRmT1_PNSt15iterator_traitsISK_E10value_typeET2_T3_PNSL_ISQ_E10value_typeET4_jRbjT5_SW_jjP12ihipStream_tbEUlT_E0_NS1_11comp_targetILNS1_3genE4ELNS1_11target_archE910ELNS1_3gpuE8ELNS1_3repE0EEENS1_60segmented_radix_sort_warp_sort_medium_config_static_selectorELNS0_4arch9wavefront6targetE0EEEvSK_.has_indirect_call, 0
	.section	.AMDGPU.csdata,"",@progbits
; Kernel info:
; codeLenInByte = 0
; TotalNumSgprs: 0
; NumVgprs: 0
; ScratchSize: 0
; MemoryBound: 0
; FloatMode: 240
; IeeeMode: 1
; LDSByteSize: 0 bytes/workgroup (compile time only)
; SGPRBlocks: 0
; VGPRBlocks: 0
; NumSGPRsForWavesPerEU: 1
; NumVGPRsForWavesPerEU: 1
; NamedBarCnt: 0
; Occupancy: 16
; WaveLimiterHint : 0
; COMPUTE_PGM_RSRC2:SCRATCH_EN: 0
; COMPUTE_PGM_RSRC2:USER_SGPR: 2
; COMPUTE_PGM_RSRC2:TRAP_HANDLER: 0
; COMPUTE_PGM_RSRC2:TGID_X_EN: 1
; COMPUTE_PGM_RSRC2:TGID_Y_EN: 0
; COMPUTE_PGM_RSRC2:TGID_Z_EN: 0
; COMPUTE_PGM_RSRC2:TIDIG_COMP_CNT: 0
	.section	.text._ZN7rocprim17ROCPRIM_400000_NS6detail17trampoline_kernelINS0_14default_configENS1_36segmented_radix_sort_config_selectorIilEEZNS1_25segmented_radix_sort_implIS3_Lb0EPKiPiPKlPlN2at6native12_GLOBAL__N_18offset_tEEE10hipError_tPvRmT1_PNSt15iterator_traitsISK_E10value_typeET2_T3_PNSL_ISQ_E10value_typeET4_jRbjT5_SW_jjP12ihipStream_tbEUlT_E0_NS1_11comp_targetILNS1_3genE3ELNS1_11target_archE908ELNS1_3gpuE7ELNS1_3repE0EEENS1_60segmented_radix_sort_warp_sort_medium_config_static_selectorELNS0_4arch9wavefront6targetE0EEEvSK_,"axG",@progbits,_ZN7rocprim17ROCPRIM_400000_NS6detail17trampoline_kernelINS0_14default_configENS1_36segmented_radix_sort_config_selectorIilEEZNS1_25segmented_radix_sort_implIS3_Lb0EPKiPiPKlPlN2at6native12_GLOBAL__N_18offset_tEEE10hipError_tPvRmT1_PNSt15iterator_traitsISK_E10value_typeET2_T3_PNSL_ISQ_E10value_typeET4_jRbjT5_SW_jjP12ihipStream_tbEUlT_E0_NS1_11comp_targetILNS1_3genE3ELNS1_11target_archE908ELNS1_3gpuE7ELNS1_3repE0EEENS1_60segmented_radix_sort_warp_sort_medium_config_static_selectorELNS0_4arch9wavefront6targetE0EEEvSK_,comdat
	.globl	_ZN7rocprim17ROCPRIM_400000_NS6detail17trampoline_kernelINS0_14default_configENS1_36segmented_radix_sort_config_selectorIilEEZNS1_25segmented_radix_sort_implIS3_Lb0EPKiPiPKlPlN2at6native12_GLOBAL__N_18offset_tEEE10hipError_tPvRmT1_PNSt15iterator_traitsISK_E10value_typeET2_T3_PNSL_ISQ_E10value_typeET4_jRbjT5_SW_jjP12ihipStream_tbEUlT_E0_NS1_11comp_targetILNS1_3genE3ELNS1_11target_archE908ELNS1_3gpuE7ELNS1_3repE0EEENS1_60segmented_radix_sort_warp_sort_medium_config_static_selectorELNS0_4arch9wavefront6targetE0EEEvSK_ ; -- Begin function _ZN7rocprim17ROCPRIM_400000_NS6detail17trampoline_kernelINS0_14default_configENS1_36segmented_radix_sort_config_selectorIilEEZNS1_25segmented_radix_sort_implIS3_Lb0EPKiPiPKlPlN2at6native12_GLOBAL__N_18offset_tEEE10hipError_tPvRmT1_PNSt15iterator_traitsISK_E10value_typeET2_T3_PNSL_ISQ_E10value_typeET4_jRbjT5_SW_jjP12ihipStream_tbEUlT_E0_NS1_11comp_targetILNS1_3genE3ELNS1_11target_archE908ELNS1_3gpuE7ELNS1_3repE0EEENS1_60segmented_radix_sort_warp_sort_medium_config_static_selectorELNS0_4arch9wavefront6targetE0EEEvSK_
	.p2align	8
	.type	_ZN7rocprim17ROCPRIM_400000_NS6detail17trampoline_kernelINS0_14default_configENS1_36segmented_radix_sort_config_selectorIilEEZNS1_25segmented_radix_sort_implIS3_Lb0EPKiPiPKlPlN2at6native12_GLOBAL__N_18offset_tEEE10hipError_tPvRmT1_PNSt15iterator_traitsISK_E10value_typeET2_T3_PNSL_ISQ_E10value_typeET4_jRbjT5_SW_jjP12ihipStream_tbEUlT_E0_NS1_11comp_targetILNS1_3genE3ELNS1_11target_archE908ELNS1_3gpuE7ELNS1_3repE0EEENS1_60segmented_radix_sort_warp_sort_medium_config_static_selectorELNS0_4arch9wavefront6targetE0EEEvSK_,@function
_ZN7rocprim17ROCPRIM_400000_NS6detail17trampoline_kernelINS0_14default_configENS1_36segmented_radix_sort_config_selectorIilEEZNS1_25segmented_radix_sort_implIS3_Lb0EPKiPiPKlPlN2at6native12_GLOBAL__N_18offset_tEEE10hipError_tPvRmT1_PNSt15iterator_traitsISK_E10value_typeET2_T3_PNSL_ISQ_E10value_typeET4_jRbjT5_SW_jjP12ihipStream_tbEUlT_E0_NS1_11comp_targetILNS1_3genE3ELNS1_11target_archE908ELNS1_3gpuE7ELNS1_3repE0EEENS1_60segmented_radix_sort_warp_sort_medium_config_static_selectorELNS0_4arch9wavefront6targetE0EEEvSK_: ; @_ZN7rocprim17ROCPRIM_400000_NS6detail17trampoline_kernelINS0_14default_configENS1_36segmented_radix_sort_config_selectorIilEEZNS1_25segmented_radix_sort_implIS3_Lb0EPKiPiPKlPlN2at6native12_GLOBAL__N_18offset_tEEE10hipError_tPvRmT1_PNSt15iterator_traitsISK_E10value_typeET2_T3_PNSL_ISQ_E10value_typeET4_jRbjT5_SW_jjP12ihipStream_tbEUlT_E0_NS1_11comp_targetILNS1_3genE3ELNS1_11target_archE908ELNS1_3gpuE7ELNS1_3repE0EEENS1_60segmented_radix_sort_warp_sort_medium_config_static_selectorELNS0_4arch9wavefront6targetE0EEEvSK_
; %bb.0:
	.section	.rodata,"a",@progbits
	.p2align	6, 0x0
	.amdhsa_kernel _ZN7rocprim17ROCPRIM_400000_NS6detail17trampoline_kernelINS0_14default_configENS1_36segmented_radix_sort_config_selectorIilEEZNS1_25segmented_radix_sort_implIS3_Lb0EPKiPiPKlPlN2at6native12_GLOBAL__N_18offset_tEEE10hipError_tPvRmT1_PNSt15iterator_traitsISK_E10value_typeET2_T3_PNSL_ISQ_E10value_typeET4_jRbjT5_SW_jjP12ihipStream_tbEUlT_E0_NS1_11comp_targetILNS1_3genE3ELNS1_11target_archE908ELNS1_3gpuE7ELNS1_3repE0EEENS1_60segmented_radix_sort_warp_sort_medium_config_static_selectorELNS0_4arch9wavefront6targetE0EEEvSK_
		.amdhsa_group_segment_fixed_size 0
		.amdhsa_private_segment_fixed_size 0
		.amdhsa_kernarg_size 88
		.amdhsa_user_sgpr_count 2
		.amdhsa_user_sgpr_dispatch_ptr 0
		.amdhsa_user_sgpr_queue_ptr 0
		.amdhsa_user_sgpr_kernarg_segment_ptr 1
		.amdhsa_user_sgpr_dispatch_id 0
		.amdhsa_user_sgpr_kernarg_preload_length 0
		.amdhsa_user_sgpr_kernarg_preload_offset 0
		.amdhsa_user_sgpr_private_segment_size 0
		.amdhsa_wavefront_size32 1
		.amdhsa_uses_dynamic_stack 0
		.amdhsa_enable_private_segment 0
		.amdhsa_system_sgpr_workgroup_id_x 1
		.amdhsa_system_sgpr_workgroup_id_y 0
		.amdhsa_system_sgpr_workgroup_id_z 0
		.amdhsa_system_sgpr_workgroup_info 0
		.amdhsa_system_vgpr_workitem_id 0
		.amdhsa_next_free_vgpr 1
		.amdhsa_next_free_sgpr 1
		.amdhsa_named_barrier_count 0
		.amdhsa_reserve_vcc 0
		.amdhsa_float_round_mode_32 0
		.amdhsa_float_round_mode_16_64 0
		.amdhsa_float_denorm_mode_32 3
		.amdhsa_float_denorm_mode_16_64 3
		.amdhsa_fp16_overflow 0
		.amdhsa_memory_ordered 1
		.amdhsa_forward_progress 1
		.amdhsa_inst_pref_size 0
		.amdhsa_round_robin_scheduling 0
		.amdhsa_exception_fp_ieee_invalid_op 0
		.amdhsa_exception_fp_denorm_src 0
		.amdhsa_exception_fp_ieee_div_zero 0
		.amdhsa_exception_fp_ieee_overflow 0
		.amdhsa_exception_fp_ieee_underflow 0
		.amdhsa_exception_fp_ieee_inexact 0
		.amdhsa_exception_int_div_zero 0
	.end_amdhsa_kernel
	.section	.text._ZN7rocprim17ROCPRIM_400000_NS6detail17trampoline_kernelINS0_14default_configENS1_36segmented_radix_sort_config_selectorIilEEZNS1_25segmented_radix_sort_implIS3_Lb0EPKiPiPKlPlN2at6native12_GLOBAL__N_18offset_tEEE10hipError_tPvRmT1_PNSt15iterator_traitsISK_E10value_typeET2_T3_PNSL_ISQ_E10value_typeET4_jRbjT5_SW_jjP12ihipStream_tbEUlT_E0_NS1_11comp_targetILNS1_3genE3ELNS1_11target_archE908ELNS1_3gpuE7ELNS1_3repE0EEENS1_60segmented_radix_sort_warp_sort_medium_config_static_selectorELNS0_4arch9wavefront6targetE0EEEvSK_,"axG",@progbits,_ZN7rocprim17ROCPRIM_400000_NS6detail17trampoline_kernelINS0_14default_configENS1_36segmented_radix_sort_config_selectorIilEEZNS1_25segmented_radix_sort_implIS3_Lb0EPKiPiPKlPlN2at6native12_GLOBAL__N_18offset_tEEE10hipError_tPvRmT1_PNSt15iterator_traitsISK_E10value_typeET2_T3_PNSL_ISQ_E10value_typeET4_jRbjT5_SW_jjP12ihipStream_tbEUlT_E0_NS1_11comp_targetILNS1_3genE3ELNS1_11target_archE908ELNS1_3gpuE7ELNS1_3repE0EEENS1_60segmented_radix_sort_warp_sort_medium_config_static_selectorELNS0_4arch9wavefront6targetE0EEEvSK_,comdat
.Lfunc_end610:
	.size	_ZN7rocprim17ROCPRIM_400000_NS6detail17trampoline_kernelINS0_14default_configENS1_36segmented_radix_sort_config_selectorIilEEZNS1_25segmented_radix_sort_implIS3_Lb0EPKiPiPKlPlN2at6native12_GLOBAL__N_18offset_tEEE10hipError_tPvRmT1_PNSt15iterator_traitsISK_E10value_typeET2_T3_PNSL_ISQ_E10value_typeET4_jRbjT5_SW_jjP12ihipStream_tbEUlT_E0_NS1_11comp_targetILNS1_3genE3ELNS1_11target_archE908ELNS1_3gpuE7ELNS1_3repE0EEENS1_60segmented_radix_sort_warp_sort_medium_config_static_selectorELNS0_4arch9wavefront6targetE0EEEvSK_, .Lfunc_end610-_ZN7rocprim17ROCPRIM_400000_NS6detail17trampoline_kernelINS0_14default_configENS1_36segmented_radix_sort_config_selectorIilEEZNS1_25segmented_radix_sort_implIS3_Lb0EPKiPiPKlPlN2at6native12_GLOBAL__N_18offset_tEEE10hipError_tPvRmT1_PNSt15iterator_traitsISK_E10value_typeET2_T3_PNSL_ISQ_E10value_typeET4_jRbjT5_SW_jjP12ihipStream_tbEUlT_E0_NS1_11comp_targetILNS1_3genE3ELNS1_11target_archE908ELNS1_3gpuE7ELNS1_3repE0EEENS1_60segmented_radix_sort_warp_sort_medium_config_static_selectorELNS0_4arch9wavefront6targetE0EEEvSK_
                                        ; -- End function
	.set _ZN7rocprim17ROCPRIM_400000_NS6detail17trampoline_kernelINS0_14default_configENS1_36segmented_radix_sort_config_selectorIilEEZNS1_25segmented_radix_sort_implIS3_Lb0EPKiPiPKlPlN2at6native12_GLOBAL__N_18offset_tEEE10hipError_tPvRmT1_PNSt15iterator_traitsISK_E10value_typeET2_T3_PNSL_ISQ_E10value_typeET4_jRbjT5_SW_jjP12ihipStream_tbEUlT_E0_NS1_11comp_targetILNS1_3genE3ELNS1_11target_archE908ELNS1_3gpuE7ELNS1_3repE0EEENS1_60segmented_radix_sort_warp_sort_medium_config_static_selectorELNS0_4arch9wavefront6targetE0EEEvSK_.num_vgpr, 0
	.set _ZN7rocprim17ROCPRIM_400000_NS6detail17trampoline_kernelINS0_14default_configENS1_36segmented_radix_sort_config_selectorIilEEZNS1_25segmented_radix_sort_implIS3_Lb0EPKiPiPKlPlN2at6native12_GLOBAL__N_18offset_tEEE10hipError_tPvRmT1_PNSt15iterator_traitsISK_E10value_typeET2_T3_PNSL_ISQ_E10value_typeET4_jRbjT5_SW_jjP12ihipStream_tbEUlT_E0_NS1_11comp_targetILNS1_3genE3ELNS1_11target_archE908ELNS1_3gpuE7ELNS1_3repE0EEENS1_60segmented_radix_sort_warp_sort_medium_config_static_selectorELNS0_4arch9wavefront6targetE0EEEvSK_.num_agpr, 0
	.set _ZN7rocprim17ROCPRIM_400000_NS6detail17trampoline_kernelINS0_14default_configENS1_36segmented_radix_sort_config_selectorIilEEZNS1_25segmented_radix_sort_implIS3_Lb0EPKiPiPKlPlN2at6native12_GLOBAL__N_18offset_tEEE10hipError_tPvRmT1_PNSt15iterator_traitsISK_E10value_typeET2_T3_PNSL_ISQ_E10value_typeET4_jRbjT5_SW_jjP12ihipStream_tbEUlT_E0_NS1_11comp_targetILNS1_3genE3ELNS1_11target_archE908ELNS1_3gpuE7ELNS1_3repE0EEENS1_60segmented_radix_sort_warp_sort_medium_config_static_selectorELNS0_4arch9wavefront6targetE0EEEvSK_.numbered_sgpr, 0
	.set _ZN7rocprim17ROCPRIM_400000_NS6detail17trampoline_kernelINS0_14default_configENS1_36segmented_radix_sort_config_selectorIilEEZNS1_25segmented_radix_sort_implIS3_Lb0EPKiPiPKlPlN2at6native12_GLOBAL__N_18offset_tEEE10hipError_tPvRmT1_PNSt15iterator_traitsISK_E10value_typeET2_T3_PNSL_ISQ_E10value_typeET4_jRbjT5_SW_jjP12ihipStream_tbEUlT_E0_NS1_11comp_targetILNS1_3genE3ELNS1_11target_archE908ELNS1_3gpuE7ELNS1_3repE0EEENS1_60segmented_radix_sort_warp_sort_medium_config_static_selectorELNS0_4arch9wavefront6targetE0EEEvSK_.num_named_barrier, 0
	.set _ZN7rocprim17ROCPRIM_400000_NS6detail17trampoline_kernelINS0_14default_configENS1_36segmented_radix_sort_config_selectorIilEEZNS1_25segmented_radix_sort_implIS3_Lb0EPKiPiPKlPlN2at6native12_GLOBAL__N_18offset_tEEE10hipError_tPvRmT1_PNSt15iterator_traitsISK_E10value_typeET2_T3_PNSL_ISQ_E10value_typeET4_jRbjT5_SW_jjP12ihipStream_tbEUlT_E0_NS1_11comp_targetILNS1_3genE3ELNS1_11target_archE908ELNS1_3gpuE7ELNS1_3repE0EEENS1_60segmented_radix_sort_warp_sort_medium_config_static_selectorELNS0_4arch9wavefront6targetE0EEEvSK_.private_seg_size, 0
	.set _ZN7rocprim17ROCPRIM_400000_NS6detail17trampoline_kernelINS0_14default_configENS1_36segmented_radix_sort_config_selectorIilEEZNS1_25segmented_radix_sort_implIS3_Lb0EPKiPiPKlPlN2at6native12_GLOBAL__N_18offset_tEEE10hipError_tPvRmT1_PNSt15iterator_traitsISK_E10value_typeET2_T3_PNSL_ISQ_E10value_typeET4_jRbjT5_SW_jjP12ihipStream_tbEUlT_E0_NS1_11comp_targetILNS1_3genE3ELNS1_11target_archE908ELNS1_3gpuE7ELNS1_3repE0EEENS1_60segmented_radix_sort_warp_sort_medium_config_static_selectorELNS0_4arch9wavefront6targetE0EEEvSK_.uses_vcc, 0
	.set _ZN7rocprim17ROCPRIM_400000_NS6detail17trampoline_kernelINS0_14default_configENS1_36segmented_radix_sort_config_selectorIilEEZNS1_25segmented_radix_sort_implIS3_Lb0EPKiPiPKlPlN2at6native12_GLOBAL__N_18offset_tEEE10hipError_tPvRmT1_PNSt15iterator_traitsISK_E10value_typeET2_T3_PNSL_ISQ_E10value_typeET4_jRbjT5_SW_jjP12ihipStream_tbEUlT_E0_NS1_11comp_targetILNS1_3genE3ELNS1_11target_archE908ELNS1_3gpuE7ELNS1_3repE0EEENS1_60segmented_radix_sort_warp_sort_medium_config_static_selectorELNS0_4arch9wavefront6targetE0EEEvSK_.uses_flat_scratch, 0
	.set _ZN7rocprim17ROCPRIM_400000_NS6detail17trampoline_kernelINS0_14default_configENS1_36segmented_radix_sort_config_selectorIilEEZNS1_25segmented_radix_sort_implIS3_Lb0EPKiPiPKlPlN2at6native12_GLOBAL__N_18offset_tEEE10hipError_tPvRmT1_PNSt15iterator_traitsISK_E10value_typeET2_T3_PNSL_ISQ_E10value_typeET4_jRbjT5_SW_jjP12ihipStream_tbEUlT_E0_NS1_11comp_targetILNS1_3genE3ELNS1_11target_archE908ELNS1_3gpuE7ELNS1_3repE0EEENS1_60segmented_radix_sort_warp_sort_medium_config_static_selectorELNS0_4arch9wavefront6targetE0EEEvSK_.has_dyn_sized_stack, 0
	.set _ZN7rocprim17ROCPRIM_400000_NS6detail17trampoline_kernelINS0_14default_configENS1_36segmented_radix_sort_config_selectorIilEEZNS1_25segmented_radix_sort_implIS3_Lb0EPKiPiPKlPlN2at6native12_GLOBAL__N_18offset_tEEE10hipError_tPvRmT1_PNSt15iterator_traitsISK_E10value_typeET2_T3_PNSL_ISQ_E10value_typeET4_jRbjT5_SW_jjP12ihipStream_tbEUlT_E0_NS1_11comp_targetILNS1_3genE3ELNS1_11target_archE908ELNS1_3gpuE7ELNS1_3repE0EEENS1_60segmented_radix_sort_warp_sort_medium_config_static_selectorELNS0_4arch9wavefront6targetE0EEEvSK_.has_recursion, 0
	.set _ZN7rocprim17ROCPRIM_400000_NS6detail17trampoline_kernelINS0_14default_configENS1_36segmented_radix_sort_config_selectorIilEEZNS1_25segmented_radix_sort_implIS3_Lb0EPKiPiPKlPlN2at6native12_GLOBAL__N_18offset_tEEE10hipError_tPvRmT1_PNSt15iterator_traitsISK_E10value_typeET2_T3_PNSL_ISQ_E10value_typeET4_jRbjT5_SW_jjP12ihipStream_tbEUlT_E0_NS1_11comp_targetILNS1_3genE3ELNS1_11target_archE908ELNS1_3gpuE7ELNS1_3repE0EEENS1_60segmented_radix_sort_warp_sort_medium_config_static_selectorELNS0_4arch9wavefront6targetE0EEEvSK_.has_indirect_call, 0
	.section	.AMDGPU.csdata,"",@progbits
; Kernel info:
; codeLenInByte = 0
; TotalNumSgprs: 0
; NumVgprs: 0
; ScratchSize: 0
; MemoryBound: 0
; FloatMode: 240
; IeeeMode: 1
; LDSByteSize: 0 bytes/workgroup (compile time only)
; SGPRBlocks: 0
; VGPRBlocks: 0
; NumSGPRsForWavesPerEU: 1
; NumVGPRsForWavesPerEU: 1
; NamedBarCnt: 0
; Occupancy: 16
; WaveLimiterHint : 0
; COMPUTE_PGM_RSRC2:SCRATCH_EN: 0
; COMPUTE_PGM_RSRC2:USER_SGPR: 2
; COMPUTE_PGM_RSRC2:TRAP_HANDLER: 0
; COMPUTE_PGM_RSRC2:TGID_X_EN: 1
; COMPUTE_PGM_RSRC2:TGID_Y_EN: 0
; COMPUTE_PGM_RSRC2:TGID_Z_EN: 0
; COMPUTE_PGM_RSRC2:TIDIG_COMP_CNT: 0
	.section	.text._ZN7rocprim17ROCPRIM_400000_NS6detail17trampoline_kernelINS0_14default_configENS1_36segmented_radix_sort_config_selectorIilEEZNS1_25segmented_radix_sort_implIS3_Lb0EPKiPiPKlPlN2at6native12_GLOBAL__N_18offset_tEEE10hipError_tPvRmT1_PNSt15iterator_traitsISK_E10value_typeET2_T3_PNSL_ISQ_E10value_typeET4_jRbjT5_SW_jjP12ihipStream_tbEUlT_E0_NS1_11comp_targetILNS1_3genE2ELNS1_11target_archE906ELNS1_3gpuE6ELNS1_3repE0EEENS1_60segmented_radix_sort_warp_sort_medium_config_static_selectorELNS0_4arch9wavefront6targetE0EEEvSK_,"axG",@progbits,_ZN7rocprim17ROCPRIM_400000_NS6detail17trampoline_kernelINS0_14default_configENS1_36segmented_radix_sort_config_selectorIilEEZNS1_25segmented_radix_sort_implIS3_Lb0EPKiPiPKlPlN2at6native12_GLOBAL__N_18offset_tEEE10hipError_tPvRmT1_PNSt15iterator_traitsISK_E10value_typeET2_T3_PNSL_ISQ_E10value_typeET4_jRbjT5_SW_jjP12ihipStream_tbEUlT_E0_NS1_11comp_targetILNS1_3genE2ELNS1_11target_archE906ELNS1_3gpuE6ELNS1_3repE0EEENS1_60segmented_radix_sort_warp_sort_medium_config_static_selectorELNS0_4arch9wavefront6targetE0EEEvSK_,comdat
	.globl	_ZN7rocprim17ROCPRIM_400000_NS6detail17trampoline_kernelINS0_14default_configENS1_36segmented_radix_sort_config_selectorIilEEZNS1_25segmented_radix_sort_implIS3_Lb0EPKiPiPKlPlN2at6native12_GLOBAL__N_18offset_tEEE10hipError_tPvRmT1_PNSt15iterator_traitsISK_E10value_typeET2_T3_PNSL_ISQ_E10value_typeET4_jRbjT5_SW_jjP12ihipStream_tbEUlT_E0_NS1_11comp_targetILNS1_3genE2ELNS1_11target_archE906ELNS1_3gpuE6ELNS1_3repE0EEENS1_60segmented_radix_sort_warp_sort_medium_config_static_selectorELNS0_4arch9wavefront6targetE0EEEvSK_ ; -- Begin function _ZN7rocprim17ROCPRIM_400000_NS6detail17trampoline_kernelINS0_14default_configENS1_36segmented_radix_sort_config_selectorIilEEZNS1_25segmented_radix_sort_implIS3_Lb0EPKiPiPKlPlN2at6native12_GLOBAL__N_18offset_tEEE10hipError_tPvRmT1_PNSt15iterator_traitsISK_E10value_typeET2_T3_PNSL_ISQ_E10value_typeET4_jRbjT5_SW_jjP12ihipStream_tbEUlT_E0_NS1_11comp_targetILNS1_3genE2ELNS1_11target_archE906ELNS1_3gpuE6ELNS1_3repE0EEENS1_60segmented_radix_sort_warp_sort_medium_config_static_selectorELNS0_4arch9wavefront6targetE0EEEvSK_
	.p2align	8
	.type	_ZN7rocprim17ROCPRIM_400000_NS6detail17trampoline_kernelINS0_14default_configENS1_36segmented_radix_sort_config_selectorIilEEZNS1_25segmented_radix_sort_implIS3_Lb0EPKiPiPKlPlN2at6native12_GLOBAL__N_18offset_tEEE10hipError_tPvRmT1_PNSt15iterator_traitsISK_E10value_typeET2_T3_PNSL_ISQ_E10value_typeET4_jRbjT5_SW_jjP12ihipStream_tbEUlT_E0_NS1_11comp_targetILNS1_3genE2ELNS1_11target_archE906ELNS1_3gpuE6ELNS1_3repE0EEENS1_60segmented_radix_sort_warp_sort_medium_config_static_selectorELNS0_4arch9wavefront6targetE0EEEvSK_,@function
_ZN7rocprim17ROCPRIM_400000_NS6detail17trampoline_kernelINS0_14default_configENS1_36segmented_radix_sort_config_selectorIilEEZNS1_25segmented_radix_sort_implIS3_Lb0EPKiPiPKlPlN2at6native12_GLOBAL__N_18offset_tEEE10hipError_tPvRmT1_PNSt15iterator_traitsISK_E10value_typeET2_T3_PNSL_ISQ_E10value_typeET4_jRbjT5_SW_jjP12ihipStream_tbEUlT_E0_NS1_11comp_targetILNS1_3genE2ELNS1_11target_archE906ELNS1_3gpuE6ELNS1_3repE0EEENS1_60segmented_radix_sort_warp_sort_medium_config_static_selectorELNS0_4arch9wavefront6targetE0EEEvSK_: ; @_ZN7rocprim17ROCPRIM_400000_NS6detail17trampoline_kernelINS0_14default_configENS1_36segmented_radix_sort_config_selectorIilEEZNS1_25segmented_radix_sort_implIS3_Lb0EPKiPiPKlPlN2at6native12_GLOBAL__N_18offset_tEEE10hipError_tPvRmT1_PNSt15iterator_traitsISK_E10value_typeET2_T3_PNSL_ISQ_E10value_typeET4_jRbjT5_SW_jjP12ihipStream_tbEUlT_E0_NS1_11comp_targetILNS1_3genE2ELNS1_11target_archE906ELNS1_3gpuE6ELNS1_3repE0EEENS1_60segmented_radix_sort_warp_sort_medium_config_static_selectorELNS0_4arch9wavefront6targetE0EEEvSK_
; %bb.0:
	.section	.rodata,"a",@progbits
	.p2align	6, 0x0
	.amdhsa_kernel _ZN7rocprim17ROCPRIM_400000_NS6detail17trampoline_kernelINS0_14default_configENS1_36segmented_radix_sort_config_selectorIilEEZNS1_25segmented_radix_sort_implIS3_Lb0EPKiPiPKlPlN2at6native12_GLOBAL__N_18offset_tEEE10hipError_tPvRmT1_PNSt15iterator_traitsISK_E10value_typeET2_T3_PNSL_ISQ_E10value_typeET4_jRbjT5_SW_jjP12ihipStream_tbEUlT_E0_NS1_11comp_targetILNS1_3genE2ELNS1_11target_archE906ELNS1_3gpuE6ELNS1_3repE0EEENS1_60segmented_radix_sort_warp_sort_medium_config_static_selectorELNS0_4arch9wavefront6targetE0EEEvSK_
		.amdhsa_group_segment_fixed_size 0
		.amdhsa_private_segment_fixed_size 0
		.amdhsa_kernarg_size 88
		.amdhsa_user_sgpr_count 2
		.amdhsa_user_sgpr_dispatch_ptr 0
		.amdhsa_user_sgpr_queue_ptr 0
		.amdhsa_user_sgpr_kernarg_segment_ptr 1
		.amdhsa_user_sgpr_dispatch_id 0
		.amdhsa_user_sgpr_kernarg_preload_length 0
		.amdhsa_user_sgpr_kernarg_preload_offset 0
		.amdhsa_user_sgpr_private_segment_size 0
		.amdhsa_wavefront_size32 1
		.amdhsa_uses_dynamic_stack 0
		.amdhsa_enable_private_segment 0
		.amdhsa_system_sgpr_workgroup_id_x 1
		.amdhsa_system_sgpr_workgroup_id_y 0
		.amdhsa_system_sgpr_workgroup_id_z 0
		.amdhsa_system_sgpr_workgroup_info 0
		.amdhsa_system_vgpr_workitem_id 0
		.amdhsa_next_free_vgpr 1
		.amdhsa_next_free_sgpr 1
		.amdhsa_named_barrier_count 0
		.amdhsa_reserve_vcc 0
		.amdhsa_float_round_mode_32 0
		.amdhsa_float_round_mode_16_64 0
		.amdhsa_float_denorm_mode_32 3
		.amdhsa_float_denorm_mode_16_64 3
		.amdhsa_fp16_overflow 0
		.amdhsa_memory_ordered 1
		.amdhsa_forward_progress 1
		.amdhsa_inst_pref_size 0
		.amdhsa_round_robin_scheduling 0
		.amdhsa_exception_fp_ieee_invalid_op 0
		.amdhsa_exception_fp_denorm_src 0
		.amdhsa_exception_fp_ieee_div_zero 0
		.amdhsa_exception_fp_ieee_overflow 0
		.amdhsa_exception_fp_ieee_underflow 0
		.amdhsa_exception_fp_ieee_inexact 0
		.amdhsa_exception_int_div_zero 0
	.end_amdhsa_kernel
	.section	.text._ZN7rocprim17ROCPRIM_400000_NS6detail17trampoline_kernelINS0_14default_configENS1_36segmented_radix_sort_config_selectorIilEEZNS1_25segmented_radix_sort_implIS3_Lb0EPKiPiPKlPlN2at6native12_GLOBAL__N_18offset_tEEE10hipError_tPvRmT1_PNSt15iterator_traitsISK_E10value_typeET2_T3_PNSL_ISQ_E10value_typeET4_jRbjT5_SW_jjP12ihipStream_tbEUlT_E0_NS1_11comp_targetILNS1_3genE2ELNS1_11target_archE906ELNS1_3gpuE6ELNS1_3repE0EEENS1_60segmented_radix_sort_warp_sort_medium_config_static_selectorELNS0_4arch9wavefront6targetE0EEEvSK_,"axG",@progbits,_ZN7rocprim17ROCPRIM_400000_NS6detail17trampoline_kernelINS0_14default_configENS1_36segmented_radix_sort_config_selectorIilEEZNS1_25segmented_radix_sort_implIS3_Lb0EPKiPiPKlPlN2at6native12_GLOBAL__N_18offset_tEEE10hipError_tPvRmT1_PNSt15iterator_traitsISK_E10value_typeET2_T3_PNSL_ISQ_E10value_typeET4_jRbjT5_SW_jjP12ihipStream_tbEUlT_E0_NS1_11comp_targetILNS1_3genE2ELNS1_11target_archE906ELNS1_3gpuE6ELNS1_3repE0EEENS1_60segmented_radix_sort_warp_sort_medium_config_static_selectorELNS0_4arch9wavefront6targetE0EEEvSK_,comdat
.Lfunc_end611:
	.size	_ZN7rocprim17ROCPRIM_400000_NS6detail17trampoline_kernelINS0_14default_configENS1_36segmented_radix_sort_config_selectorIilEEZNS1_25segmented_radix_sort_implIS3_Lb0EPKiPiPKlPlN2at6native12_GLOBAL__N_18offset_tEEE10hipError_tPvRmT1_PNSt15iterator_traitsISK_E10value_typeET2_T3_PNSL_ISQ_E10value_typeET4_jRbjT5_SW_jjP12ihipStream_tbEUlT_E0_NS1_11comp_targetILNS1_3genE2ELNS1_11target_archE906ELNS1_3gpuE6ELNS1_3repE0EEENS1_60segmented_radix_sort_warp_sort_medium_config_static_selectorELNS0_4arch9wavefront6targetE0EEEvSK_, .Lfunc_end611-_ZN7rocprim17ROCPRIM_400000_NS6detail17trampoline_kernelINS0_14default_configENS1_36segmented_radix_sort_config_selectorIilEEZNS1_25segmented_radix_sort_implIS3_Lb0EPKiPiPKlPlN2at6native12_GLOBAL__N_18offset_tEEE10hipError_tPvRmT1_PNSt15iterator_traitsISK_E10value_typeET2_T3_PNSL_ISQ_E10value_typeET4_jRbjT5_SW_jjP12ihipStream_tbEUlT_E0_NS1_11comp_targetILNS1_3genE2ELNS1_11target_archE906ELNS1_3gpuE6ELNS1_3repE0EEENS1_60segmented_radix_sort_warp_sort_medium_config_static_selectorELNS0_4arch9wavefront6targetE0EEEvSK_
                                        ; -- End function
	.set _ZN7rocprim17ROCPRIM_400000_NS6detail17trampoline_kernelINS0_14default_configENS1_36segmented_radix_sort_config_selectorIilEEZNS1_25segmented_radix_sort_implIS3_Lb0EPKiPiPKlPlN2at6native12_GLOBAL__N_18offset_tEEE10hipError_tPvRmT1_PNSt15iterator_traitsISK_E10value_typeET2_T3_PNSL_ISQ_E10value_typeET4_jRbjT5_SW_jjP12ihipStream_tbEUlT_E0_NS1_11comp_targetILNS1_3genE2ELNS1_11target_archE906ELNS1_3gpuE6ELNS1_3repE0EEENS1_60segmented_radix_sort_warp_sort_medium_config_static_selectorELNS0_4arch9wavefront6targetE0EEEvSK_.num_vgpr, 0
	.set _ZN7rocprim17ROCPRIM_400000_NS6detail17trampoline_kernelINS0_14default_configENS1_36segmented_radix_sort_config_selectorIilEEZNS1_25segmented_radix_sort_implIS3_Lb0EPKiPiPKlPlN2at6native12_GLOBAL__N_18offset_tEEE10hipError_tPvRmT1_PNSt15iterator_traitsISK_E10value_typeET2_T3_PNSL_ISQ_E10value_typeET4_jRbjT5_SW_jjP12ihipStream_tbEUlT_E0_NS1_11comp_targetILNS1_3genE2ELNS1_11target_archE906ELNS1_3gpuE6ELNS1_3repE0EEENS1_60segmented_radix_sort_warp_sort_medium_config_static_selectorELNS0_4arch9wavefront6targetE0EEEvSK_.num_agpr, 0
	.set _ZN7rocprim17ROCPRIM_400000_NS6detail17trampoline_kernelINS0_14default_configENS1_36segmented_radix_sort_config_selectorIilEEZNS1_25segmented_radix_sort_implIS3_Lb0EPKiPiPKlPlN2at6native12_GLOBAL__N_18offset_tEEE10hipError_tPvRmT1_PNSt15iterator_traitsISK_E10value_typeET2_T3_PNSL_ISQ_E10value_typeET4_jRbjT5_SW_jjP12ihipStream_tbEUlT_E0_NS1_11comp_targetILNS1_3genE2ELNS1_11target_archE906ELNS1_3gpuE6ELNS1_3repE0EEENS1_60segmented_radix_sort_warp_sort_medium_config_static_selectorELNS0_4arch9wavefront6targetE0EEEvSK_.numbered_sgpr, 0
	.set _ZN7rocprim17ROCPRIM_400000_NS6detail17trampoline_kernelINS0_14default_configENS1_36segmented_radix_sort_config_selectorIilEEZNS1_25segmented_radix_sort_implIS3_Lb0EPKiPiPKlPlN2at6native12_GLOBAL__N_18offset_tEEE10hipError_tPvRmT1_PNSt15iterator_traitsISK_E10value_typeET2_T3_PNSL_ISQ_E10value_typeET4_jRbjT5_SW_jjP12ihipStream_tbEUlT_E0_NS1_11comp_targetILNS1_3genE2ELNS1_11target_archE906ELNS1_3gpuE6ELNS1_3repE0EEENS1_60segmented_radix_sort_warp_sort_medium_config_static_selectorELNS0_4arch9wavefront6targetE0EEEvSK_.num_named_barrier, 0
	.set _ZN7rocprim17ROCPRIM_400000_NS6detail17trampoline_kernelINS0_14default_configENS1_36segmented_radix_sort_config_selectorIilEEZNS1_25segmented_radix_sort_implIS3_Lb0EPKiPiPKlPlN2at6native12_GLOBAL__N_18offset_tEEE10hipError_tPvRmT1_PNSt15iterator_traitsISK_E10value_typeET2_T3_PNSL_ISQ_E10value_typeET4_jRbjT5_SW_jjP12ihipStream_tbEUlT_E0_NS1_11comp_targetILNS1_3genE2ELNS1_11target_archE906ELNS1_3gpuE6ELNS1_3repE0EEENS1_60segmented_radix_sort_warp_sort_medium_config_static_selectorELNS0_4arch9wavefront6targetE0EEEvSK_.private_seg_size, 0
	.set _ZN7rocprim17ROCPRIM_400000_NS6detail17trampoline_kernelINS0_14default_configENS1_36segmented_radix_sort_config_selectorIilEEZNS1_25segmented_radix_sort_implIS3_Lb0EPKiPiPKlPlN2at6native12_GLOBAL__N_18offset_tEEE10hipError_tPvRmT1_PNSt15iterator_traitsISK_E10value_typeET2_T3_PNSL_ISQ_E10value_typeET4_jRbjT5_SW_jjP12ihipStream_tbEUlT_E0_NS1_11comp_targetILNS1_3genE2ELNS1_11target_archE906ELNS1_3gpuE6ELNS1_3repE0EEENS1_60segmented_radix_sort_warp_sort_medium_config_static_selectorELNS0_4arch9wavefront6targetE0EEEvSK_.uses_vcc, 0
	.set _ZN7rocprim17ROCPRIM_400000_NS6detail17trampoline_kernelINS0_14default_configENS1_36segmented_radix_sort_config_selectorIilEEZNS1_25segmented_radix_sort_implIS3_Lb0EPKiPiPKlPlN2at6native12_GLOBAL__N_18offset_tEEE10hipError_tPvRmT1_PNSt15iterator_traitsISK_E10value_typeET2_T3_PNSL_ISQ_E10value_typeET4_jRbjT5_SW_jjP12ihipStream_tbEUlT_E0_NS1_11comp_targetILNS1_3genE2ELNS1_11target_archE906ELNS1_3gpuE6ELNS1_3repE0EEENS1_60segmented_radix_sort_warp_sort_medium_config_static_selectorELNS0_4arch9wavefront6targetE0EEEvSK_.uses_flat_scratch, 0
	.set _ZN7rocprim17ROCPRIM_400000_NS6detail17trampoline_kernelINS0_14default_configENS1_36segmented_radix_sort_config_selectorIilEEZNS1_25segmented_radix_sort_implIS3_Lb0EPKiPiPKlPlN2at6native12_GLOBAL__N_18offset_tEEE10hipError_tPvRmT1_PNSt15iterator_traitsISK_E10value_typeET2_T3_PNSL_ISQ_E10value_typeET4_jRbjT5_SW_jjP12ihipStream_tbEUlT_E0_NS1_11comp_targetILNS1_3genE2ELNS1_11target_archE906ELNS1_3gpuE6ELNS1_3repE0EEENS1_60segmented_radix_sort_warp_sort_medium_config_static_selectorELNS0_4arch9wavefront6targetE0EEEvSK_.has_dyn_sized_stack, 0
	.set _ZN7rocprim17ROCPRIM_400000_NS6detail17trampoline_kernelINS0_14default_configENS1_36segmented_radix_sort_config_selectorIilEEZNS1_25segmented_radix_sort_implIS3_Lb0EPKiPiPKlPlN2at6native12_GLOBAL__N_18offset_tEEE10hipError_tPvRmT1_PNSt15iterator_traitsISK_E10value_typeET2_T3_PNSL_ISQ_E10value_typeET4_jRbjT5_SW_jjP12ihipStream_tbEUlT_E0_NS1_11comp_targetILNS1_3genE2ELNS1_11target_archE906ELNS1_3gpuE6ELNS1_3repE0EEENS1_60segmented_radix_sort_warp_sort_medium_config_static_selectorELNS0_4arch9wavefront6targetE0EEEvSK_.has_recursion, 0
	.set _ZN7rocprim17ROCPRIM_400000_NS6detail17trampoline_kernelINS0_14default_configENS1_36segmented_radix_sort_config_selectorIilEEZNS1_25segmented_radix_sort_implIS3_Lb0EPKiPiPKlPlN2at6native12_GLOBAL__N_18offset_tEEE10hipError_tPvRmT1_PNSt15iterator_traitsISK_E10value_typeET2_T3_PNSL_ISQ_E10value_typeET4_jRbjT5_SW_jjP12ihipStream_tbEUlT_E0_NS1_11comp_targetILNS1_3genE2ELNS1_11target_archE906ELNS1_3gpuE6ELNS1_3repE0EEENS1_60segmented_radix_sort_warp_sort_medium_config_static_selectorELNS0_4arch9wavefront6targetE0EEEvSK_.has_indirect_call, 0
	.section	.AMDGPU.csdata,"",@progbits
; Kernel info:
; codeLenInByte = 0
; TotalNumSgprs: 0
; NumVgprs: 0
; ScratchSize: 0
; MemoryBound: 0
; FloatMode: 240
; IeeeMode: 1
; LDSByteSize: 0 bytes/workgroup (compile time only)
; SGPRBlocks: 0
; VGPRBlocks: 0
; NumSGPRsForWavesPerEU: 1
; NumVGPRsForWavesPerEU: 1
; NamedBarCnt: 0
; Occupancy: 16
; WaveLimiterHint : 0
; COMPUTE_PGM_RSRC2:SCRATCH_EN: 0
; COMPUTE_PGM_RSRC2:USER_SGPR: 2
; COMPUTE_PGM_RSRC2:TRAP_HANDLER: 0
; COMPUTE_PGM_RSRC2:TGID_X_EN: 1
; COMPUTE_PGM_RSRC2:TGID_Y_EN: 0
; COMPUTE_PGM_RSRC2:TGID_Z_EN: 0
; COMPUTE_PGM_RSRC2:TIDIG_COMP_CNT: 0
	.section	.text._ZN7rocprim17ROCPRIM_400000_NS6detail17trampoline_kernelINS0_14default_configENS1_36segmented_radix_sort_config_selectorIilEEZNS1_25segmented_radix_sort_implIS3_Lb0EPKiPiPKlPlN2at6native12_GLOBAL__N_18offset_tEEE10hipError_tPvRmT1_PNSt15iterator_traitsISK_E10value_typeET2_T3_PNSL_ISQ_E10value_typeET4_jRbjT5_SW_jjP12ihipStream_tbEUlT_E0_NS1_11comp_targetILNS1_3genE10ELNS1_11target_archE1201ELNS1_3gpuE5ELNS1_3repE0EEENS1_60segmented_radix_sort_warp_sort_medium_config_static_selectorELNS0_4arch9wavefront6targetE0EEEvSK_,"axG",@progbits,_ZN7rocprim17ROCPRIM_400000_NS6detail17trampoline_kernelINS0_14default_configENS1_36segmented_radix_sort_config_selectorIilEEZNS1_25segmented_radix_sort_implIS3_Lb0EPKiPiPKlPlN2at6native12_GLOBAL__N_18offset_tEEE10hipError_tPvRmT1_PNSt15iterator_traitsISK_E10value_typeET2_T3_PNSL_ISQ_E10value_typeET4_jRbjT5_SW_jjP12ihipStream_tbEUlT_E0_NS1_11comp_targetILNS1_3genE10ELNS1_11target_archE1201ELNS1_3gpuE5ELNS1_3repE0EEENS1_60segmented_radix_sort_warp_sort_medium_config_static_selectorELNS0_4arch9wavefront6targetE0EEEvSK_,comdat
	.globl	_ZN7rocprim17ROCPRIM_400000_NS6detail17trampoline_kernelINS0_14default_configENS1_36segmented_radix_sort_config_selectorIilEEZNS1_25segmented_radix_sort_implIS3_Lb0EPKiPiPKlPlN2at6native12_GLOBAL__N_18offset_tEEE10hipError_tPvRmT1_PNSt15iterator_traitsISK_E10value_typeET2_T3_PNSL_ISQ_E10value_typeET4_jRbjT5_SW_jjP12ihipStream_tbEUlT_E0_NS1_11comp_targetILNS1_3genE10ELNS1_11target_archE1201ELNS1_3gpuE5ELNS1_3repE0EEENS1_60segmented_radix_sort_warp_sort_medium_config_static_selectorELNS0_4arch9wavefront6targetE0EEEvSK_ ; -- Begin function _ZN7rocprim17ROCPRIM_400000_NS6detail17trampoline_kernelINS0_14default_configENS1_36segmented_radix_sort_config_selectorIilEEZNS1_25segmented_radix_sort_implIS3_Lb0EPKiPiPKlPlN2at6native12_GLOBAL__N_18offset_tEEE10hipError_tPvRmT1_PNSt15iterator_traitsISK_E10value_typeET2_T3_PNSL_ISQ_E10value_typeET4_jRbjT5_SW_jjP12ihipStream_tbEUlT_E0_NS1_11comp_targetILNS1_3genE10ELNS1_11target_archE1201ELNS1_3gpuE5ELNS1_3repE0EEENS1_60segmented_radix_sort_warp_sort_medium_config_static_selectorELNS0_4arch9wavefront6targetE0EEEvSK_
	.p2align	8
	.type	_ZN7rocprim17ROCPRIM_400000_NS6detail17trampoline_kernelINS0_14default_configENS1_36segmented_radix_sort_config_selectorIilEEZNS1_25segmented_radix_sort_implIS3_Lb0EPKiPiPKlPlN2at6native12_GLOBAL__N_18offset_tEEE10hipError_tPvRmT1_PNSt15iterator_traitsISK_E10value_typeET2_T3_PNSL_ISQ_E10value_typeET4_jRbjT5_SW_jjP12ihipStream_tbEUlT_E0_NS1_11comp_targetILNS1_3genE10ELNS1_11target_archE1201ELNS1_3gpuE5ELNS1_3repE0EEENS1_60segmented_radix_sort_warp_sort_medium_config_static_selectorELNS0_4arch9wavefront6targetE0EEEvSK_,@function
_ZN7rocprim17ROCPRIM_400000_NS6detail17trampoline_kernelINS0_14default_configENS1_36segmented_radix_sort_config_selectorIilEEZNS1_25segmented_radix_sort_implIS3_Lb0EPKiPiPKlPlN2at6native12_GLOBAL__N_18offset_tEEE10hipError_tPvRmT1_PNSt15iterator_traitsISK_E10value_typeET2_T3_PNSL_ISQ_E10value_typeET4_jRbjT5_SW_jjP12ihipStream_tbEUlT_E0_NS1_11comp_targetILNS1_3genE10ELNS1_11target_archE1201ELNS1_3gpuE5ELNS1_3repE0EEENS1_60segmented_radix_sort_warp_sort_medium_config_static_selectorELNS0_4arch9wavefront6targetE0EEEvSK_: ; @_ZN7rocprim17ROCPRIM_400000_NS6detail17trampoline_kernelINS0_14default_configENS1_36segmented_radix_sort_config_selectorIilEEZNS1_25segmented_radix_sort_implIS3_Lb0EPKiPiPKlPlN2at6native12_GLOBAL__N_18offset_tEEE10hipError_tPvRmT1_PNSt15iterator_traitsISK_E10value_typeET2_T3_PNSL_ISQ_E10value_typeET4_jRbjT5_SW_jjP12ihipStream_tbEUlT_E0_NS1_11comp_targetILNS1_3genE10ELNS1_11target_archE1201ELNS1_3gpuE5ELNS1_3repE0EEENS1_60segmented_radix_sort_warp_sort_medium_config_static_selectorELNS0_4arch9wavefront6targetE0EEEvSK_
; %bb.0:
	.section	.rodata,"a",@progbits
	.p2align	6, 0x0
	.amdhsa_kernel _ZN7rocprim17ROCPRIM_400000_NS6detail17trampoline_kernelINS0_14default_configENS1_36segmented_radix_sort_config_selectorIilEEZNS1_25segmented_radix_sort_implIS3_Lb0EPKiPiPKlPlN2at6native12_GLOBAL__N_18offset_tEEE10hipError_tPvRmT1_PNSt15iterator_traitsISK_E10value_typeET2_T3_PNSL_ISQ_E10value_typeET4_jRbjT5_SW_jjP12ihipStream_tbEUlT_E0_NS1_11comp_targetILNS1_3genE10ELNS1_11target_archE1201ELNS1_3gpuE5ELNS1_3repE0EEENS1_60segmented_radix_sort_warp_sort_medium_config_static_selectorELNS0_4arch9wavefront6targetE0EEEvSK_
		.amdhsa_group_segment_fixed_size 0
		.amdhsa_private_segment_fixed_size 0
		.amdhsa_kernarg_size 88
		.amdhsa_user_sgpr_count 2
		.amdhsa_user_sgpr_dispatch_ptr 0
		.amdhsa_user_sgpr_queue_ptr 0
		.amdhsa_user_sgpr_kernarg_segment_ptr 1
		.amdhsa_user_sgpr_dispatch_id 0
		.amdhsa_user_sgpr_kernarg_preload_length 0
		.amdhsa_user_sgpr_kernarg_preload_offset 0
		.amdhsa_user_sgpr_private_segment_size 0
		.amdhsa_wavefront_size32 1
		.amdhsa_uses_dynamic_stack 0
		.amdhsa_enable_private_segment 0
		.amdhsa_system_sgpr_workgroup_id_x 1
		.amdhsa_system_sgpr_workgroup_id_y 0
		.amdhsa_system_sgpr_workgroup_id_z 0
		.amdhsa_system_sgpr_workgroup_info 0
		.amdhsa_system_vgpr_workitem_id 0
		.amdhsa_next_free_vgpr 1
		.amdhsa_next_free_sgpr 1
		.amdhsa_named_barrier_count 0
		.amdhsa_reserve_vcc 0
		.amdhsa_float_round_mode_32 0
		.amdhsa_float_round_mode_16_64 0
		.amdhsa_float_denorm_mode_32 3
		.amdhsa_float_denorm_mode_16_64 3
		.amdhsa_fp16_overflow 0
		.amdhsa_memory_ordered 1
		.amdhsa_forward_progress 1
		.amdhsa_inst_pref_size 0
		.amdhsa_round_robin_scheduling 0
		.amdhsa_exception_fp_ieee_invalid_op 0
		.amdhsa_exception_fp_denorm_src 0
		.amdhsa_exception_fp_ieee_div_zero 0
		.amdhsa_exception_fp_ieee_overflow 0
		.amdhsa_exception_fp_ieee_underflow 0
		.amdhsa_exception_fp_ieee_inexact 0
		.amdhsa_exception_int_div_zero 0
	.end_amdhsa_kernel
	.section	.text._ZN7rocprim17ROCPRIM_400000_NS6detail17trampoline_kernelINS0_14default_configENS1_36segmented_radix_sort_config_selectorIilEEZNS1_25segmented_radix_sort_implIS3_Lb0EPKiPiPKlPlN2at6native12_GLOBAL__N_18offset_tEEE10hipError_tPvRmT1_PNSt15iterator_traitsISK_E10value_typeET2_T3_PNSL_ISQ_E10value_typeET4_jRbjT5_SW_jjP12ihipStream_tbEUlT_E0_NS1_11comp_targetILNS1_3genE10ELNS1_11target_archE1201ELNS1_3gpuE5ELNS1_3repE0EEENS1_60segmented_radix_sort_warp_sort_medium_config_static_selectorELNS0_4arch9wavefront6targetE0EEEvSK_,"axG",@progbits,_ZN7rocprim17ROCPRIM_400000_NS6detail17trampoline_kernelINS0_14default_configENS1_36segmented_radix_sort_config_selectorIilEEZNS1_25segmented_radix_sort_implIS3_Lb0EPKiPiPKlPlN2at6native12_GLOBAL__N_18offset_tEEE10hipError_tPvRmT1_PNSt15iterator_traitsISK_E10value_typeET2_T3_PNSL_ISQ_E10value_typeET4_jRbjT5_SW_jjP12ihipStream_tbEUlT_E0_NS1_11comp_targetILNS1_3genE10ELNS1_11target_archE1201ELNS1_3gpuE5ELNS1_3repE0EEENS1_60segmented_radix_sort_warp_sort_medium_config_static_selectorELNS0_4arch9wavefront6targetE0EEEvSK_,comdat
.Lfunc_end612:
	.size	_ZN7rocprim17ROCPRIM_400000_NS6detail17trampoline_kernelINS0_14default_configENS1_36segmented_radix_sort_config_selectorIilEEZNS1_25segmented_radix_sort_implIS3_Lb0EPKiPiPKlPlN2at6native12_GLOBAL__N_18offset_tEEE10hipError_tPvRmT1_PNSt15iterator_traitsISK_E10value_typeET2_T3_PNSL_ISQ_E10value_typeET4_jRbjT5_SW_jjP12ihipStream_tbEUlT_E0_NS1_11comp_targetILNS1_3genE10ELNS1_11target_archE1201ELNS1_3gpuE5ELNS1_3repE0EEENS1_60segmented_radix_sort_warp_sort_medium_config_static_selectorELNS0_4arch9wavefront6targetE0EEEvSK_, .Lfunc_end612-_ZN7rocprim17ROCPRIM_400000_NS6detail17trampoline_kernelINS0_14default_configENS1_36segmented_radix_sort_config_selectorIilEEZNS1_25segmented_radix_sort_implIS3_Lb0EPKiPiPKlPlN2at6native12_GLOBAL__N_18offset_tEEE10hipError_tPvRmT1_PNSt15iterator_traitsISK_E10value_typeET2_T3_PNSL_ISQ_E10value_typeET4_jRbjT5_SW_jjP12ihipStream_tbEUlT_E0_NS1_11comp_targetILNS1_3genE10ELNS1_11target_archE1201ELNS1_3gpuE5ELNS1_3repE0EEENS1_60segmented_radix_sort_warp_sort_medium_config_static_selectorELNS0_4arch9wavefront6targetE0EEEvSK_
                                        ; -- End function
	.set _ZN7rocprim17ROCPRIM_400000_NS6detail17trampoline_kernelINS0_14default_configENS1_36segmented_radix_sort_config_selectorIilEEZNS1_25segmented_radix_sort_implIS3_Lb0EPKiPiPKlPlN2at6native12_GLOBAL__N_18offset_tEEE10hipError_tPvRmT1_PNSt15iterator_traitsISK_E10value_typeET2_T3_PNSL_ISQ_E10value_typeET4_jRbjT5_SW_jjP12ihipStream_tbEUlT_E0_NS1_11comp_targetILNS1_3genE10ELNS1_11target_archE1201ELNS1_3gpuE5ELNS1_3repE0EEENS1_60segmented_radix_sort_warp_sort_medium_config_static_selectorELNS0_4arch9wavefront6targetE0EEEvSK_.num_vgpr, 0
	.set _ZN7rocprim17ROCPRIM_400000_NS6detail17trampoline_kernelINS0_14default_configENS1_36segmented_radix_sort_config_selectorIilEEZNS1_25segmented_radix_sort_implIS3_Lb0EPKiPiPKlPlN2at6native12_GLOBAL__N_18offset_tEEE10hipError_tPvRmT1_PNSt15iterator_traitsISK_E10value_typeET2_T3_PNSL_ISQ_E10value_typeET4_jRbjT5_SW_jjP12ihipStream_tbEUlT_E0_NS1_11comp_targetILNS1_3genE10ELNS1_11target_archE1201ELNS1_3gpuE5ELNS1_3repE0EEENS1_60segmented_radix_sort_warp_sort_medium_config_static_selectorELNS0_4arch9wavefront6targetE0EEEvSK_.num_agpr, 0
	.set _ZN7rocprim17ROCPRIM_400000_NS6detail17trampoline_kernelINS0_14default_configENS1_36segmented_radix_sort_config_selectorIilEEZNS1_25segmented_radix_sort_implIS3_Lb0EPKiPiPKlPlN2at6native12_GLOBAL__N_18offset_tEEE10hipError_tPvRmT1_PNSt15iterator_traitsISK_E10value_typeET2_T3_PNSL_ISQ_E10value_typeET4_jRbjT5_SW_jjP12ihipStream_tbEUlT_E0_NS1_11comp_targetILNS1_3genE10ELNS1_11target_archE1201ELNS1_3gpuE5ELNS1_3repE0EEENS1_60segmented_radix_sort_warp_sort_medium_config_static_selectorELNS0_4arch9wavefront6targetE0EEEvSK_.numbered_sgpr, 0
	.set _ZN7rocprim17ROCPRIM_400000_NS6detail17trampoline_kernelINS0_14default_configENS1_36segmented_radix_sort_config_selectorIilEEZNS1_25segmented_radix_sort_implIS3_Lb0EPKiPiPKlPlN2at6native12_GLOBAL__N_18offset_tEEE10hipError_tPvRmT1_PNSt15iterator_traitsISK_E10value_typeET2_T3_PNSL_ISQ_E10value_typeET4_jRbjT5_SW_jjP12ihipStream_tbEUlT_E0_NS1_11comp_targetILNS1_3genE10ELNS1_11target_archE1201ELNS1_3gpuE5ELNS1_3repE0EEENS1_60segmented_radix_sort_warp_sort_medium_config_static_selectorELNS0_4arch9wavefront6targetE0EEEvSK_.num_named_barrier, 0
	.set _ZN7rocprim17ROCPRIM_400000_NS6detail17trampoline_kernelINS0_14default_configENS1_36segmented_radix_sort_config_selectorIilEEZNS1_25segmented_radix_sort_implIS3_Lb0EPKiPiPKlPlN2at6native12_GLOBAL__N_18offset_tEEE10hipError_tPvRmT1_PNSt15iterator_traitsISK_E10value_typeET2_T3_PNSL_ISQ_E10value_typeET4_jRbjT5_SW_jjP12ihipStream_tbEUlT_E0_NS1_11comp_targetILNS1_3genE10ELNS1_11target_archE1201ELNS1_3gpuE5ELNS1_3repE0EEENS1_60segmented_radix_sort_warp_sort_medium_config_static_selectorELNS0_4arch9wavefront6targetE0EEEvSK_.private_seg_size, 0
	.set _ZN7rocprim17ROCPRIM_400000_NS6detail17trampoline_kernelINS0_14default_configENS1_36segmented_radix_sort_config_selectorIilEEZNS1_25segmented_radix_sort_implIS3_Lb0EPKiPiPKlPlN2at6native12_GLOBAL__N_18offset_tEEE10hipError_tPvRmT1_PNSt15iterator_traitsISK_E10value_typeET2_T3_PNSL_ISQ_E10value_typeET4_jRbjT5_SW_jjP12ihipStream_tbEUlT_E0_NS1_11comp_targetILNS1_3genE10ELNS1_11target_archE1201ELNS1_3gpuE5ELNS1_3repE0EEENS1_60segmented_radix_sort_warp_sort_medium_config_static_selectorELNS0_4arch9wavefront6targetE0EEEvSK_.uses_vcc, 0
	.set _ZN7rocprim17ROCPRIM_400000_NS6detail17trampoline_kernelINS0_14default_configENS1_36segmented_radix_sort_config_selectorIilEEZNS1_25segmented_radix_sort_implIS3_Lb0EPKiPiPKlPlN2at6native12_GLOBAL__N_18offset_tEEE10hipError_tPvRmT1_PNSt15iterator_traitsISK_E10value_typeET2_T3_PNSL_ISQ_E10value_typeET4_jRbjT5_SW_jjP12ihipStream_tbEUlT_E0_NS1_11comp_targetILNS1_3genE10ELNS1_11target_archE1201ELNS1_3gpuE5ELNS1_3repE0EEENS1_60segmented_radix_sort_warp_sort_medium_config_static_selectorELNS0_4arch9wavefront6targetE0EEEvSK_.uses_flat_scratch, 0
	.set _ZN7rocprim17ROCPRIM_400000_NS6detail17trampoline_kernelINS0_14default_configENS1_36segmented_radix_sort_config_selectorIilEEZNS1_25segmented_radix_sort_implIS3_Lb0EPKiPiPKlPlN2at6native12_GLOBAL__N_18offset_tEEE10hipError_tPvRmT1_PNSt15iterator_traitsISK_E10value_typeET2_T3_PNSL_ISQ_E10value_typeET4_jRbjT5_SW_jjP12ihipStream_tbEUlT_E0_NS1_11comp_targetILNS1_3genE10ELNS1_11target_archE1201ELNS1_3gpuE5ELNS1_3repE0EEENS1_60segmented_radix_sort_warp_sort_medium_config_static_selectorELNS0_4arch9wavefront6targetE0EEEvSK_.has_dyn_sized_stack, 0
	.set _ZN7rocprim17ROCPRIM_400000_NS6detail17trampoline_kernelINS0_14default_configENS1_36segmented_radix_sort_config_selectorIilEEZNS1_25segmented_radix_sort_implIS3_Lb0EPKiPiPKlPlN2at6native12_GLOBAL__N_18offset_tEEE10hipError_tPvRmT1_PNSt15iterator_traitsISK_E10value_typeET2_T3_PNSL_ISQ_E10value_typeET4_jRbjT5_SW_jjP12ihipStream_tbEUlT_E0_NS1_11comp_targetILNS1_3genE10ELNS1_11target_archE1201ELNS1_3gpuE5ELNS1_3repE0EEENS1_60segmented_radix_sort_warp_sort_medium_config_static_selectorELNS0_4arch9wavefront6targetE0EEEvSK_.has_recursion, 0
	.set _ZN7rocprim17ROCPRIM_400000_NS6detail17trampoline_kernelINS0_14default_configENS1_36segmented_radix_sort_config_selectorIilEEZNS1_25segmented_radix_sort_implIS3_Lb0EPKiPiPKlPlN2at6native12_GLOBAL__N_18offset_tEEE10hipError_tPvRmT1_PNSt15iterator_traitsISK_E10value_typeET2_T3_PNSL_ISQ_E10value_typeET4_jRbjT5_SW_jjP12ihipStream_tbEUlT_E0_NS1_11comp_targetILNS1_3genE10ELNS1_11target_archE1201ELNS1_3gpuE5ELNS1_3repE0EEENS1_60segmented_radix_sort_warp_sort_medium_config_static_selectorELNS0_4arch9wavefront6targetE0EEEvSK_.has_indirect_call, 0
	.section	.AMDGPU.csdata,"",@progbits
; Kernel info:
; codeLenInByte = 0
; TotalNumSgprs: 0
; NumVgprs: 0
; ScratchSize: 0
; MemoryBound: 0
; FloatMode: 240
; IeeeMode: 1
; LDSByteSize: 0 bytes/workgroup (compile time only)
; SGPRBlocks: 0
; VGPRBlocks: 0
; NumSGPRsForWavesPerEU: 1
; NumVGPRsForWavesPerEU: 1
; NamedBarCnt: 0
; Occupancy: 16
; WaveLimiterHint : 0
; COMPUTE_PGM_RSRC2:SCRATCH_EN: 0
; COMPUTE_PGM_RSRC2:USER_SGPR: 2
; COMPUTE_PGM_RSRC2:TRAP_HANDLER: 0
; COMPUTE_PGM_RSRC2:TGID_X_EN: 1
; COMPUTE_PGM_RSRC2:TGID_Y_EN: 0
; COMPUTE_PGM_RSRC2:TGID_Z_EN: 0
; COMPUTE_PGM_RSRC2:TIDIG_COMP_CNT: 0
	.section	.text._ZN7rocprim17ROCPRIM_400000_NS6detail17trampoline_kernelINS0_14default_configENS1_36segmented_radix_sort_config_selectorIilEEZNS1_25segmented_radix_sort_implIS3_Lb0EPKiPiPKlPlN2at6native12_GLOBAL__N_18offset_tEEE10hipError_tPvRmT1_PNSt15iterator_traitsISK_E10value_typeET2_T3_PNSL_ISQ_E10value_typeET4_jRbjT5_SW_jjP12ihipStream_tbEUlT_E0_NS1_11comp_targetILNS1_3genE10ELNS1_11target_archE1200ELNS1_3gpuE4ELNS1_3repE0EEENS1_60segmented_radix_sort_warp_sort_medium_config_static_selectorELNS0_4arch9wavefront6targetE0EEEvSK_,"axG",@progbits,_ZN7rocprim17ROCPRIM_400000_NS6detail17trampoline_kernelINS0_14default_configENS1_36segmented_radix_sort_config_selectorIilEEZNS1_25segmented_radix_sort_implIS3_Lb0EPKiPiPKlPlN2at6native12_GLOBAL__N_18offset_tEEE10hipError_tPvRmT1_PNSt15iterator_traitsISK_E10value_typeET2_T3_PNSL_ISQ_E10value_typeET4_jRbjT5_SW_jjP12ihipStream_tbEUlT_E0_NS1_11comp_targetILNS1_3genE10ELNS1_11target_archE1200ELNS1_3gpuE4ELNS1_3repE0EEENS1_60segmented_radix_sort_warp_sort_medium_config_static_selectorELNS0_4arch9wavefront6targetE0EEEvSK_,comdat
	.globl	_ZN7rocprim17ROCPRIM_400000_NS6detail17trampoline_kernelINS0_14default_configENS1_36segmented_radix_sort_config_selectorIilEEZNS1_25segmented_radix_sort_implIS3_Lb0EPKiPiPKlPlN2at6native12_GLOBAL__N_18offset_tEEE10hipError_tPvRmT1_PNSt15iterator_traitsISK_E10value_typeET2_T3_PNSL_ISQ_E10value_typeET4_jRbjT5_SW_jjP12ihipStream_tbEUlT_E0_NS1_11comp_targetILNS1_3genE10ELNS1_11target_archE1200ELNS1_3gpuE4ELNS1_3repE0EEENS1_60segmented_radix_sort_warp_sort_medium_config_static_selectorELNS0_4arch9wavefront6targetE0EEEvSK_ ; -- Begin function _ZN7rocprim17ROCPRIM_400000_NS6detail17trampoline_kernelINS0_14default_configENS1_36segmented_radix_sort_config_selectorIilEEZNS1_25segmented_radix_sort_implIS3_Lb0EPKiPiPKlPlN2at6native12_GLOBAL__N_18offset_tEEE10hipError_tPvRmT1_PNSt15iterator_traitsISK_E10value_typeET2_T3_PNSL_ISQ_E10value_typeET4_jRbjT5_SW_jjP12ihipStream_tbEUlT_E0_NS1_11comp_targetILNS1_3genE10ELNS1_11target_archE1200ELNS1_3gpuE4ELNS1_3repE0EEENS1_60segmented_radix_sort_warp_sort_medium_config_static_selectorELNS0_4arch9wavefront6targetE0EEEvSK_
	.p2align	8
	.type	_ZN7rocprim17ROCPRIM_400000_NS6detail17trampoline_kernelINS0_14default_configENS1_36segmented_radix_sort_config_selectorIilEEZNS1_25segmented_radix_sort_implIS3_Lb0EPKiPiPKlPlN2at6native12_GLOBAL__N_18offset_tEEE10hipError_tPvRmT1_PNSt15iterator_traitsISK_E10value_typeET2_T3_PNSL_ISQ_E10value_typeET4_jRbjT5_SW_jjP12ihipStream_tbEUlT_E0_NS1_11comp_targetILNS1_3genE10ELNS1_11target_archE1200ELNS1_3gpuE4ELNS1_3repE0EEENS1_60segmented_radix_sort_warp_sort_medium_config_static_selectorELNS0_4arch9wavefront6targetE0EEEvSK_,@function
_ZN7rocprim17ROCPRIM_400000_NS6detail17trampoline_kernelINS0_14default_configENS1_36segmented_radix_sort_config_selectorIilEEZNS1_25segmented_radix_sort_implIS3_Lb0EPKiPiPKlPlN2at6native12_GLOBAL__N_18offset_tEEE10hipError_tPvRmT1_PNSt15iterator_traitsISK_E10value_typeET2_T3_PNSL_ISQ_E10value_typeET4_jRbjT5_SW_jjP12ihipStream_tbEUlT_E0_NS1_11comp_targetILNS1_3genE10ELNS1_11target_archE1200ELNS1_3gpuE4ELNS1_3repE0EEENS1_60segmented_radix_sort_warp_sort_medium_config_static_selectorELNS0_4arch9wavefront6targetE0EEEvSK_: ; @_ZN7rocprim17ROCPRIM_400000_NS6detail17trampoline_kernelINS0_14default_configENS1_36segmented_radix_sort_config_selectorIilEEZNS1_25segmented_radix_sort_implIS3_Lb0EPKiPiPKlPlN2at6native12_GLOBAL__N_18offset_tEEE10hipError_tPvRmT1_PNSt15iterator_traitsISK_E10value_typeET2_T3_PNSL_ISQ_E10value_typeET4_jRbjT5_SW_jjP12ihipStream_tbEUlT_E0_NS1_11comp_targetILNS1_3genE10ELNS1_11target_archE1200ELNS1_3gpuE4ELNS1_3repE0EEENS1_60segmented_radix_sort_warp_sort_medium_config_static_selectorELNS0_4arch9wavefront6targetE0EEEvSK_
; %bb.0:
	.section	.rodata,"a",@progbits
	.p2align	6, 0x0
	.amdhsa_kernel _ZN7rocprim17ROCPRIM_400000_NS6detail17trampoline_kernelINS0_14default_configENS1_36segmented_radix_sort_config_selectorIilEEZNS1_25segmented_radix_sort_implIS3_Lb0EPKiPiPKlPlN2at6native12_GLOBAL__N_18offset_tEEE10hipError_tPvRmT1_PNSt15iterator_traitsISK_E10value_typeET2_T3_PNSL_ISQ_E10value_typeET4_jRbjT5_SW_jjP12ihipStream_tbEUlT_E0_NS1_11comp_targetILNS1_3genE10ELNS1_11target_archE1200ELNS1_3gpuE4ELNS1_3repE0EEENS1_60segmented_radix_sort_warp_sort_medium_config_static_selectorELNS0_4arch9wavefront6targetE0EEEvSK_
		.amdhsa_group_segment_fixed_size 0
		.amdhsa_private_segment_fixed_size 0
		.amdhsa_kernarg_size 88
		.amdhsa_user_sgpr_count 2
		.amdhsa_user_sgpr_dispatch_ptr 0
		.amdhsa_user_sgpr_queue_ptr 0
		.amdhsa_user_sgpr_kernarg_segment_ptr 1
		.amdhsa_user_sgpr_dispatch_id 0
		.amdhsa_user_sgpr_kernarg_preload_length 0
		.amdhsa_user_sgpr_kernarg_preload_offset 0
		.amdhsa_user_sgpr_private_segment_size 0
		.amdhsa_wavefront_size32 1
		.amdhsa_uses_dynamic_stack 0
		.amdhsa_enable_private_segment 0
		.amdhsa_system_sgpr_workgroup_id_x 1
		.amdhsa_system_sgpr_workgroup_id_y 0
		.amdhsa_system_sgpr_workgroup_id_z 0
		.amdhsa_system_sgpr_workgroup_info 0
		.amdhsa_system_vgpr_workitem_id 0
		.amdhsa_next_free_vgpr 1
		.amdhsa_next_free_sgpr 1
		.amdhsa_named_barrier_count 0
		.amdhsa_reserve_vcc 0
		.amdhsa_float_round_mode_32 0
		.amdhsa_float_round_mode_16_64 0
		.amdhsa_float_denorm_mode_32 3
		.amdhsa_float_denorm_mode_16_64 3
		.amdhsa_fp16_overflow 0
		.amdhsa_memory_ordered 1
		.amdhsa_forward_progress 1
		.amdhsa_inst_pref_size 0
		.amdhsa_round_robin_scheduling 0
		.amdhsa_exception_fp_ieee_invalid_op 0
		.amdhsa_exception_fp_denorm_src 0
		.amdhsa_exception_fp_ieee_div_zero 0
		.amdhsa_exception_fp_ieee_overflow 0
		.amdhsa_exception_fp_ieee_underflow 0
		.amdhsa_exception_fp_ieee_inexact 0
		.amdhsa_exception_int_div_zero 0
	.end_amdhsa_kernel
	.section	.text._ZN7rocprim17ROCPRIM_400000_NS6detail17trampoline_kernelINS0_14default_configENS1_36segmented_radix_sort_config_selectorIilEEZNS1_25segmented_radix_sort_implIS3_Lb0EPKiPiPKlPlN2at6native12_GLOBAL__N_18offset_tEEE10hipError_tPvRmT1_PNSt15iterator_traitsISK_E10value_typeET2_T3_PNSL_ISQ_E10value_typeET4_jRbjT5_SW_jjP12ihipStream_tbEUlT_E0_NS1_11comp_targetILNS1_3genE10ELNS1_11target_archE1200ELNS1_3gpuE4ELNS1_3repE0EEENS1_60segmented_radix_sort_warp_sort_medium_config_static_selectorELNS0_4arch9wavefront6targetE0EEEvSK_,"axG",@progbits,_ZN7rocprim17ROCPRIM_400000_NS6detail17trampoline_kernelINS0_14default_configENS1_36segmented_radix_sort_config_selectorIilEEZNS1_25segmented_radix_sort_implIS3_Lb0EPKiPiPKlPlN2at6native12_GLOBAL__N_18offset_tEEE10hipError_tPvRmT1_PNSt15iterator_traitsISK_E10value_typeET2_T3_PNSL_ISQ_E10value_typeET4_jRbjT5_SW_jjP12ihipStream_tbEUlT_E0_NS1_11comp_targetILNS1_3genE10ELNS1_11target_archE1200ELNS1_3gpuE4ELNS1_3repE0EEENS1_60segmented_radix_sort_warp_sort_medium_config_static_selectorELNS0_4arch9wavefront6targetE0EEEvSK_,comdat
.Lfunc_end613:
	.size	_ZN7rocprim17ROCPRIM_400000_NS6detail17trampoline_kernelINS0_14default_configENS1_36segmented_radix_sort_config_selectorIilEEZNS1_25segmented_radix_sort_implIS3_Lb0EPKiPiPKlPlN2at6native12_GLOBAL__N_18offset_tEEE10hipError_tPvRmT1_PNSt15iterator_traitsISK_E10value_typeET2_T3_PNSL_ISQ_E10value_typeET4_jRbjT5_SW_jjP12ihipStream_tbEUlT_E0_NS1_11comp_targetILNS1_3genE10ELNS1_11target_archE1200ELNS1_3gpuE4ELNS1_3repE0EEENS1_60segmented_radix_sort_warp_sort_medium_config_static_selectorELNS0_4arch9wavefront6targetE0EEEvSK_, .Lfunc_end613-_ZN7rocprim17ROCPRIM_400000_NS6detail17trampoline_kernelINS0_14default_configENS1_36segmented_radix_sort_config_selectorIilEEZNS1_25segmented_radix_sort_implIS3_Lb0EPKiPiPKlPlN2at6native12_GLOBAL__N_18offset_tEEE10hipError_tPvRmT1_PNSt15iterator_traitsISK_E10value_typeET2_T3_PNSL_ISQ_E10value_typeET4_jRbjT5_SW_jjP12ihipStream_tbEUlT_E0_NS1_11comp_targetILNS1_3genE10ELNS1_11target_archE1200ELNS1_3gpuE4ELNS1_3repE0EEENS1_60segmented_radix_sort_warp_sort_medium_config_static_selectorELNS0_4arch9wavefront6targetE0EEEvSK_
                                        ; -- End function
	.set _ZN7rocprim17ROCPRIM_400000_NS6detail17trampoline_kernelINS0_14default_configENS1_36segmented_radix_sort_config_selectorIilEEZNS1_25segmented_radix_sort_implIS3_Lb0EPKiPiPKlPlN2at6native12_GLOBAL__N_18offset_tEEE10hipError_tPvRmT1_PNSt15iterator_traitsISK_E10value_typeET2_T3_PNSL_ISQ_E10value_typeET4_jRbjT5_SW_jjP12ihipStream_tbEUlT_E0_NS1_11comp_targetILNS1_3genE10ELNS1_11target_archE1200ELNS1_3gpuE4ELNS1_3repE0EEENS1_60segmented_radix_sort_warp_sort_medium_config_static_selectorELNS0_4arch9wavefront6targetE0EEEvSK_.num_vgpr, 0
	.set _ZN7rocprim17ROCPRIM_400000_NS6detail17trampoline_kernelINS0_14default_configENS1_36segmented_radix_sort_config_selectorIilEEZNS1_25segmented_radix_sort_implIS3_Lb0EPKiPiPKlPlN2at6native12_GLOBAL__N_18offset_tEEE10hipError_tPvRmT1_PNSt15iterator_traitsISK_E10value_typeET2_T3_PNSL_ISQ_E10value_typeET4_jRbjT5_SW_jjP12ihipStream_tbEUlT_E0_NS1_11comp_targetILNS1_3genE10ELNS1_11target_archE1200ELNS1_3gpuE4ELNS1_3repE0EEENS1_60segmented_radix_sort_warp_sort_medium_config_static_selectorELNS0_4arch9wavefront6targetE0EEEvSK_.num_agpr, 0
	.set _ZN7rocprim17ROCPRIM_400000_NS6detail17trampoline_kernelINS0_14default_configENS1_36segmented_radix_sort_config_selectorIilEEZNS1_25segmented_radix_sort_implIS3_Lb0EPKiPiPKlPlN2at6native12_GLOBAL__N_18offset_tEEE10hipError_tPvRmT1_PNSt15iterator_traitsISK_E10value_typeET2_T3_PNSL_ISQ_E10value_typeET4_jRbjT5_SW_jjP12ihipStream_tbEUlT_E0_NS1_11comp_targetILNS1_3genE10ELNS1_11target_archE1200ELNS1_3gpuE4ELNS1_3repE0EEENS1_60segmented_radix_sort_warp_sort_medium_config_static_selectorELNS0_4arch9wavefront6targetE0EEEvSK_.numbered_sgpr, 0
	.set _ZN7rocprim17ROCPRIM_400000_NS6detail17trampoline_kernelINS0_14default_configENS1_36segmented_radix_sort_config_selectorIilEEZNS1_25segmented_radix_sort_implIS3_Lb0EPKiPiPKlPlN2at6native12_GLOBAL__N_18offset_tEEE10hipError_tPvRmT1_PNSt15iterator_traitsISK_E10value_typeET2_T3_PNSL_ISQ_E10value_typeET4_jRbjT5_SW_jjP12ihipStream_tbEUlT_E0_NS1_11comp_targetILNS1_3genE10ELNS1_11target_archE1200ELNS1_3gpuE4ELNS1_3repE0EEENS1_60segmented_radix_sort_warp_sort_medium_config_static_selectorELNS0_4arch9wavefront6targetE0EEEvSK_.num_named_barrier, 0
	.set _ZN7rocprim17ROCPRIM_400000_NS6detail17trampoline_kernelINS0_14default_configENS1_36segmented_radix_sort_config_selectorIilEEZNS1_25segmented_radix_sort_implIS3_Lb0EPKiPiPKlPlN2at6native12_GLOBAL__N_18offset_tEEE10hipError_tPvRmT1_PNSt15iterator_traitsISK_E10value_typeET2_T3_PNSL_ISQ_E10value_typeET4_jRbjT5_SW_jjP12ihipStream_tbEUlT_E0_NS1_11comp_targetILNS1_3genE10ELNS1_11target_archE1200ELNS1_3gpuE4ELNS1_3repE0EEENS1_60segmented_radix_sort_warp_sort_medium_config_static_selectorELNS0_4arch9wavefront6targetE0EEEvSK_.private_seg_size, 0
	.set _ZN7rocprim17ROCPRIM_400000_NS6detail17trampoline_kernelINS0_14default_configENS1_36segmented_radix_sort_config_selectorIilEEZNS1_25segmented_radix_sort_implIS3_Lb0EPKiPiPKlPlN2at6native12_GLOBAL__N_18offset_tEEE10hipError_tPvRmT1_PNSt15iterator_traitsISK_E10value_typeET2_T3_PNSL_ISQ_E10value_typeET4_jRbjT5_SW_jjP12ihipStream_tbEUlT_E0_NS1_11comp_targetILNS1_3genE10ELNS1_11target_archE1200ELNS1_3gpuE4ELNS1_3repE0EEENS1_60segmented_radix_sort_warp_sort_medium_config_static_selectorELNS0_4arch9wavefront6targetE0EEEvSK_.uses_vcc, 0
	.set _ZN7rocprim17ROCPRIM_400000_NS6detail17trampoline_kernelINS0_14default_configENS1_36segmented_radix_sort_config_selectorIilEEZNS1_25segmented_radix_sort_implIS3_Lb0EPKiPiPKlPlN2at6native12_GLOBAL__N_18offset_tEEE10hipError_tPvRmT1_PNSt15iterator_traitsISK_E10value_typeET2_T3_PNSL_ISQ_E10value_typeET4_jRbjT5_SW_jjP12ihipStream_tbEUlT_E0_NS1_11comp_targetILNS1_3genE10ELNS1_11target_archE1200ELNS1_3gpuE4ELNS1_3repE0EEENS1_60segmented_radix_sort_warp_sort_medium_config_static_selectorELNS0_4arch9wavefront6targetE0EEEvSK_.uses_flat_scratch, 0
	.set _ZN7rocprim17ROCPRIM_400000_NS6detail17trampoline_kernelINS0_14default_configENS1_36segmented_radix_sort_config_selectorIilEEZNS1_25segmented_radix_sort_implIS3_Lb0EPKiPiPKlPlN2at6native12_GLOBAL__N_18offset_tEEE10hipError_tPvRmT1_PNSt15iterator_traitsISK_E10value_typeET2_T3_PNSL_ISQ_E10value_typeET4_jRbjT5_SW_jjP12ihipStream_tbEUlT_E0_NS1_11comp_targetILNS1_3genE10ELNS1_11target_archE1200ELNS1_3gpuE4ELNS1_3repE0EEENS1_60segmented_radix_sort_warp_sort_medium_config_static_selectorELNS0_4arch9wavefront6targetE0EEEvSK_.has_dyn_sized_stack, 0
	.set _ZN7rocprim17ROCPRIM_400000_NS6detail17trampoline_kernelINS0_14default_configENS1_36segmented_radix_sort_config_selectorIilEEZNS1_25segmented_radix_sort_implIS3_Lb0EPKiPiPKlPlN2at6native12_GLOBAL__N_18offset_tEEE10hipError_tPvRmT1_PNSt15iterator_traitsISK_E10value_typeET2_T3_PNSL_ISQ_E10value_typeET4_jRbjT5_SW_jjP12ihipStream_tbEUlT_E0_NS1_11comp_targetILNS1_3genE10ELNS1_11target_archE1200ELNS1_3gpuE4ELNS1_3repE0EEENS1_60segmented_radix_sort_warp_sort_medium_config_static_selectorELNS0_4arch9wavefront6targetE0EEEvSK_.has_recursion, 0
	.set _ZN7rocprim17ROCPRIM_400000_NS6detail17trampoline_kernelINS0_14default_configENS1_36segmented_radix_sort_config_selectorIilEEZNS1_25segmented_radix_sort_implIS3_Lb0EPKiPiPKlPlN2at6native12_GLOBAL__N_18offset_tEEE10hipError_tPvRmT1_PNSt15iterator_traitsISK_E10value_typeET2_T3_PNSL_ISQ_E10value_typeET4_jRbjT5_SW_jjP12ihipStream_tbEUlT_E0_NS1_11comp_targetILNS1_3genE10ELNS1_11target_archE1200ELNS1_3gpuE4ELNS1_3repE0EEENS1_60segmented_radix_sort_warp_sort_medium_config_static_selectorELNS0_4arch9wavefront6targetE0EEEvSK_.has_indirect_call, 0
	.section	.AMDGPU.csdata,"",@progbits
; Kernel info:
; codeLenInByte = 0
; TotalNumSgprs: 0
; NumVgprs: 0
; ScratchSize: 0
; MemoryBound: 0
; FloatMode: 240
; IeeeMode: 1
; LDSByteSize: 0 bytes/workgroup (compile time only)
; SGPRBlocks: 0
; VGPRBlocks: 0
; NumSGPRsForWavesPerEU: 1
; NumVGPRsForWavesPerEU: 1
; NamedBarCnt: 0
; Occupancy: 16
; WaveLimiterHint : 0
; COMPUTE_PGM_RSRC2:SCRATCH_EN: 0
; COMPUTE_PGM_RSRC2:USER_SGPR: 2
; COMPUTE_PGM_RSRC2:TRAP_HANDLER: 0
; COMPUTE_PGM_RSRC2:TGID_X_EN: 1
; COMPUTE_PGM_RSRC2:TGID_Y_EN: 0
; COMPUTE_PGM_RSRC2:TGID_Z_EN: 0
; COMPUTE_PGM_RSRC2:TIDIG_COMP_CNT: 0
	.section	.text._ZN7rocprim17ROCPRIM_400000_NS6detail17trampoline_kernelINS0_14default_configENS1_36segmented_radix_sort_config_selectorIilEEZNS1_25segmented_radix_sort_implIS3_Lb0EPKiPiPKlPlN2at6native12_GLOBAL__N_18offset_tEEE10hipError_tPvRmT1_PNSt15iterator_traitsISK_E10value_typeET2_T3_PNSL_ISQ_E10value_typeET4_jRbjT5_SW_jjP12ihipStream_tbEUlT_E0_NS1_11comp_targetILNS1_3genE9ELNS1_11target_archE1100ELNS1_3gpuE3ELNS1_3repE0EEENS1_60segmented_radix_sort_warp_sort_medium_config_static_selectorELNS0_4arch9wavefront6targetE0EEEvSK_,"axG",@progbits,_ZN7rocprim17ROCPRIM_400000_NS6detail17trampoline_kernelINS0_14default_configENS1_36segmented_radix_sort_config_selectorIilEEZNS1_25segmented_radix_sort_implIS3_Lb0EPKiPiPKlPlN2at6native12_GLOBAL__N_18offset_tEEE10hipError_tPvRmT1_PNSt15iterator_traitsISK_E10value_typeET2_T3_PNSL_ISQ_E10value_typeET4_jRbjT5_SW_jjP12ihipStream_tbEUlT_E0_NS1_11comp_targetILNS1_3genE9ELNS1_11target_archE1100ELNS1_3gpuE3ELNS1_3repE0EEENS1_60segmented_radix_sort_warp_sort_medium_config_static_selectorELNS0_4arch9wavefront6targetE0EEEvSK_,comdat
	.globl	_ZN7rocprim17ROCPRIM_400000_NS6detail17trampoline_kernelINS0_14default_configENS1_36segmented_radix_sort_config_selectorIilEEZNS1_25segmented_radix_sort_implIS3_Lb0EPKiPiPKlPlN2at6native12_GLOBAL__N_18offset_tEEE10hipError_tPvRmT1_PNSt15iterator_traitsISK_E10value_typeET2_T3_PNSL_ISQ_E10value_typeET4_jRbjT5_SW_jjP12ihipStream_tbEUlT_E0_NS1_11comp_targetILNS1_3genE9ELNS1_11target_archE1100ELNS1_3gpuE3ELNS1_3repE0EEENS1_60segmented_radix_sort_warp_sort_medium_config_static_selectorELNS0_4arch9wavefront6targetE0EEEvSK_ ; -- Begin function _ZN7rocprim17ROCPRIM_400000_NS6detail17trampoline_kernelINS0_14default_configENS1_36segmented_radix_sort_config_selectorIilEEZNS1_25segmented_radix_sort_implIS3_Lb0EPKiPiPKlPlN2at6native12_GLOBAL__N_18offset_tEEE10hipError_tPvRmT1_PNSt15iterator_traitsISK_E10value_typeET2_T3_PNSL_ISQ_E10value_typeET4_jRbjT5_SW_jjP12ihipStream_tbEUlT_E0_NS1_11comp_targetILNS1_3genE9ELNS1_11target_archE1100ELNS1_3gpuE3ELNS1_3repE0EEENS1_60segmented_radix_sort_warp_sort_medium_config_static_selectorELNS0_4arch9wavefront6targetE0EEEvSK_
	.p2align	8
	.type	_ZN7rocprim17ROCPRIM_400000_NS6detail17trampoline_kernelINS0_14default_configENS1_36segmented_radix_sort_config_selectorIilEEZNS1_25segmented_radix_sort_implIS3_Lb0EPKiPiPKlPlN2at6native12_GLOBAL__N_18offset_tEEE10hipError_tPvRmT1_PNSt15iterator_traitsISK_E10value_typeET2_T3_PNSL_ISQ_E10value_typeET4_jRbjT5_SW_jjP12ihipStream_tbEUlT_E0_NS1_11comp_targetILNS1_3genE9ELNS1_11target_archE1100ELNS1_3gpuE3ELNS1_3repE0EEENS1_60segmented_radix_sort_warp_sort_medium_config_static_selectorELNS0_4arch9wavefront6targetE0EEEvSK_,@function
_ZN7rocprim17ROCPRIM_400000_NS6detail17trampoline_kernelINS0_14default_configENS1_36segmented_radix_sort_config_selectorIilEEZNS1_25segmented_radix_sort_implIS3_Lb0EPKiPiPKlPlN2at6native12_GLOBAL__N_18offset_tEEE10hipError_tPvRmT1_PNSt15iterator_traitsISK_E10value_typeET2_T3_PNSL_ISQ_E10value_typeET4_jRbjT5_SW_jjP12ihipStream_tbEUlT_E0_NS1_11comp_targetILNS1_3genE9ELNS1_11target_archE1100ELNS1_3gpuE3ELNS1_3repE0EEENS1_60segmented_radix_sort_warp_sort_medium_config_static_selectorELNS0_4arch9wavefront6targetE0EEEvSK_: ; @_ZN7rocprim17ROCPRIM_400000_NS6detail17trampoline_kernelINS0_14default_configENS1_36segmented_radix_sort_config_selectorIilEEZNS1_25segmented_radix_sort_implIS3_Lb0EPKiPiPKlPlN2at6native12_GLOBAL__N_18offset_tEEE10hipError_tPvRmT1_PNSt15iterator_traitsISK_E10value_typeET2_T3_PNSL_ISQ_E10value_typeET4_jRbjT5_SW_jjP12ihipStream_tbEUlT_E0_NS1_11comp_targetILNS1_3genE9ELNS1_11target_archE1100ELNS1_3gpuE3ELNS1_3repE0EEENS1_60segmented_radix_sort_warp_sort_medium_config_static_selectorELNS0_4arch9wavefront6targetE0EEEvSK_
; %bb.0:
	.section	.rodata,"a",@progbits
	.p2align	6, 0x0
	.amdhsa_kernel _ZN7rocprim17ROCPRIM_400000_NS6detail17trampoline_kernelINS0_14default_configENS1_36segmented_radix_sort_config_selectorIilEEZNS1_25segmented_radix_sort_implIS3_Lb0EPKiPiPKlPlN2at6native12_GLOBAL__N_18offset_tEEE10hipError_tPvRmT1_PNSt15iterator_traitsISK_E10value_typeET2_T3_PNSL_ISQ_E10value_typeET4_jRbjT5_SW_jjP12ihipStream_tbEUlT_E0_NS1_11comp_targetILNS1_3genE9ELNS1_11target_archE1100ELNS1_3gpuE3ELNS1_3repE0EEENS1_60segmented_radix_sort_warp_sort_medium_config_static_selectorELNS0_4arch9wavefront6targetE0EEEvSK_
		.amdhsa_group_segment_fixed_size 0
		.amdhsa_private_segment_fixed_size 0
		.amdhsa_kernarg_size 88
		.amdhsa_user_sgpr_count 2
		.amdhsa_user_sgpr_dispatch_ptr 0
		.amdhsa_user_sgpr_queue_ptr 0
		.amdhsa_user_sgpr_kernarg_segment_ptr 1
		.amdhsa_user_sgpr_dispatch_id 0
		.amdhsa_user_sgpr_kernarg_preload_length 0
		.amdhsa_user_sgpr_kernarg_preload_offset 0
		.amdhsa_user_sgpr_private_segment_size 0
		.amdhsa_wavefront_size32 1
		.amdhsa_uses_dynamic_stack 0
		.amdhsa_enable_private_segment 0
		.amdhsa_system_sgpr_workgroup_id_x 1
		.amdhsa_system_sgpr_workgroup_id_y 0
		.amdhsa_system_sgpr_workgroup_id_z 0
		.amdhsa_system_sgpr_workgroup_info 0
		.amdhsa_system_vgpr_workitem_id 0
		.amdhsa_next_free_vgpr 1
		.amdhsa_next_free_sgpr 1
		.amdhsa_named_barrier_count 0
		.amdhsa_reserve_vcc 0
		.amdhsa_float_round_mode_32 0
		.amdhsa_float_round_mode_16_64 0
		.amdhsa_float_denorm_mode_32 3
		.amdhsa_float_denorm_mode_16_64 3
		.amdhsa_fp16_overflow 0
		.amdhsa_memory_ordered 1
		.amdhsa_forward_progress 1
		.amdhsa_inst_pref_size 0
		.amdhsa_round_robin_scheduling 0
		.amdhsa_exception_fp_ieee_invalid_op 0
		.amdhsa_exception_fp_denorm_src 0
		.amdhsa_exception_fp_ieee_div_zero 0
		.amdhsa_exception_fp_ieee_overflow 0
		.amdhsa_exception_fp_ieee_underflow 0
		.amdhsa_exception_fp_ieee_inexact 0
		.amdhsa_exception_int_div_zero 0
	.end_amdhsa_kernel
	.section	.text._ZN7rocprim17ROCPRIM_400000_NS6detail17trampoline_kernelINS0_14default_configENS1_36segmented_radix_sort_config_selectorIilEEZNS1_25segmented_radix_sort_implIS3_Lb0EPKiPiPKlPlN2at6native12_GLOBAL__N_18offset_tEEE10hipError_tPvRmT1_PNSt15iterator_traitsISK_E10value_typeET2_T3_PNSL_ISQ_E10value_typeET4_jRbjT5_SW_jjP12ihipStream_tbEUlT_E0_NS1_11comp_targetILNS1_3genE9ELNS1_11target_archE1100ELNS1_3gpuE3ELNS1_3repE0EEENS1_60segmented_radix_sort_warp_sort_medium_config_static_selectorELNS0_4arch9wavefront6targetE0EEEvSK_,"axG",@progbits,_ZN7rocprim17ROCPRIM_400000_NS6detail17trampoline_kernelINS0_14default_configENS1_36segmented_radix_sort_config_selectorIilEEZNS1_25segmented_radix_sort_implIS3_Lb0EPKiPiPKlPlN2at6native12_GLOBAL__N_18offset_tEEE10hipError_tPvRmT1_PNSt15iterator_traitsISK_E10value_typeET2_T3_PNSL_ISQ_E10value_typeET4_jRbjT5_SW_jjP12ihipStream_tbEUlT_E0_NS1_11comp_targetILNS1_3genE9ELNS1_11target_archE1100ELNS1_3gpuE3ELNS1_3repE0EEENS1_60segmented_radix_sort_warp_sort_medium_config_static_selectorELNS0_4arch9wavefront6targetE0EEEvSK_,comdat
.Lfunc_end614:
	.size	_ZN7rocprim17ROCPRIM_400000_NS6detail17trampoline_kernelINS0_14default_configENS1_36segmented_radix_sort_config_selectorIilEEZNS1_25segmented_radix_sort_implIS3_Lb0EPKiPiPKlPlN2at6native12_GLOBAL__N_18offset_tEEE10hipError_tPvRmT1_PNSt15iterator_traitsISK_E10value_typeET2_T3_PNSL_ISQ_E10value_typeET4_jRbjT5_SW_jjP12ihipStream_tbEUlT_E0_NS1_11comp_targetILNS1_3genE9ELNS1_11target_archE1100ELNS1_3gpuE3ELNS1_3repE0EEENS1_60segmented_radix_sort_warp_sort_medium_config_static_selectorELNS0_4arch9wavefront6targetE0EEEvSK_, .Lfunc_end614-_ZN7rocprim17ROCPRIM_400000_NS6detail17trampoline_kernelINS0_14default_configENS1_36segmented_radix_sort_config_selectorIilEEZNS1_25segmented_radix_sort_implIS3_Lb0EPKiPiPKlPlN2at6native12_GLOBAL__N_18offset_tEEE10hipError_tPvRmT1_PNSt15iterator_traitsISK_E10value_typeET2_T3_PNSL_ISQ_E10value_typeET4_jRbjT5_SW_jjP12ihipStream_tbEUlT_E0_NS1_11comp_targetILNS1_3genE9ELNS1_11target_archE1100ELNS1_3gpuE3ELNS1_3repE0EEENS1_60segmented_radix_sort_warp_sort_medium_config_static_selectorELNS0_4arch9wavefront6targetE0EEEvSK_
                                        ; -- End function
	.set _ZN7rocprim17ROCPRIM_400000_NS6detail17trampoline_kernelINS0_14default_configENS1_36segmented_radix_sort_config_selectorIilEEZNS1_25segmented_radix_sort_implIS3_Lb0EPKiPiPKlPlN2at6native12_GLOBAL__N_18offset_tEEE10hipError_tPvRmT1_PNSt15iterator_traitsISK_E10value_typeET2_T3_PNSL_ISQ_E10value_typeET4_jRbjT5_SW_jjP12ihipStream_tbEUlT_E0_NS1_11comp_targetILNS1_3genE9ELNS1_11target_archE1100ELNS1_3gpuE3ELNS1_3repE0EEENS1_60segmented_radix_sort_warp_sort_medium_config_static_selectorELNS0_4arch9wavefront6targetE0EEEvSK_.num_vgpr, 0
	.set _ZN7rocprim17ROCPRIM_400000_NS6detail17trampoline_kernelINS0_14default_configENS1_36segmented_radix_sort_config_selectorIilEEZNS1_25segmented_radix_sort_implIS3_Lb0EPKiPiPKlPlN2at6native12_GLOBAL__N_18offset_tEEE10hipError_tPvRmT1_PNSt15iterator_traitsISK_E10value_typeET2_T3_PNSL_ISQ_E10value_typeET4_jRbjT5_SW_jjP12ihipStream_tbEUlT_E0_NS1_11comp_targetILNS1_3genE9ELNS1_11target_archE1100ELNS1_3gpuE3ELNS1_3repE0EEENS1_60segmented_radix_sort_warp_sort_medium_config_static_selectorELNS0_4arch9wavefront6targetE0EEEvSK_.num_agpr, 0
	.set _ZN7rocprim17ROCPRIM_400000_NS6detail17trampoline_kernelINS0_14default_configENS1_36segmented_radix_sort_config_selectorIilEEZNS1_25segmented_radix_sort_implIS3_Lb0EPKiPiPKlPlN2at6native12_GLOBAL__N_18offset_tEEE10hipError_tPvRmT1_PNSt15iterator_traitsISK_E10value_typeET2_T3_PNSL_ISQ_E10value_typeET4_jRbjT5_SW_jjP12ihipStream_tbEUlT_E0_NS1_11comp_targetILNS1_3genE9ELNS1_11target_archE1100ELNS1_3gpuE3ELNS1_3repE0EEENS1_60segmented_radix_sort_warp_sort_medium_config_static_selectorELNS0_4arch9wavefront6targetE0EEEvSK_.numbered_sgpr, 0
	.set _ZN7rocprim17ROCPRIM_400000_NS6detail17trampoline_kernelINS0_14default_configENS1_36segmented_radix_sort_config_selectorIilEEZNS1_25segmented_radix_sort_implIS3_Lb0EPKiPiPKlPlN2at6native12_GLOBAL__N_18offset_tEEE10hipError_tPvRmT1_PNSt15iterator_traitsISK_E10value_typeET2_T3_PNSL_ISQ_E10value_typeET4_jRbjT5_SW_jjP12ihipStream_tbEUlT_E0_NS1_11comp_targetILNS1_3genE9ELNS1_11target_archE1100ELNS1_3gpuE3ELNS1_3repE0EEENS1_60segmented_radix_sort_warp_sort_medium_config_static_selectorELNS0_4arch9wavefront6targetE0EEEvSK_.num_named_barrier, 0
	.set _ZN7rocprim17ROCPRIM_400000_NS6detail17trampoline_kernelINS0_14default_configENS1_36segmented_radix_sort_config_selectorIilEEZNS1_25segmented_radix_sort_implIS3_Lb0EPKiPiPKlPlN2at6native12_GLOBAL__N_18offset_tEEE10hipError_tPvRmT1_PNSt15iterator_traitsISK_E10value_typeET2_T3_PNSL_ISQ_E10value_typeET4_jRbjT5_SW_jjP12ihipStream_tbEUlT_E0_NS1_11comp_targetILNS1_3genE9ELNS1_11target_archE1100ELNS1_3gpuE3ELNS1_3repE0EEENS1_60segmented_radix_sort_warp_sort_medium_config_static_selectorELNS0_4arch9wavefront6targetE0EEEvSK_.private_seg_size, 0
	.set _ZN7rocprim17ROCPRIM_400000_NS6detail17trampoline_kernelINS0_14default_configENS1_36segmented_radix_sort_config_selectorIilEEZNS1_25segmented_radix_sort_implIS3_Lb0EPKiPiPKlPlN2at6native12_GLOBAL__N_18offset_tEEE10hipError_tPvRmT1_PNSt15iterator_traitsISK_E10value_typeET2_T3_PNSL_ISQ_E10value_typeET4_jRbjT5_SW_jjP12ihipStream_tbEUlT_E0_NS1_11comp_targetILNS1_3genE9ELNS1_11target_archE1100ELNS1_3gpuE3ELNS1_3repE0EEENS1_60segmented_radix_sort_warp_sort_medium_config_static_selectorELNS0_4arch9wavefront6targetE0EEEvSK_.uses_vcc, 0
	.set _ZN7rocprim17ROCPRIM_400000_NS6detail17trampoline_kernelINS0_14default_configENS1_36segmented_radix_sort_config_selectorIilEEZNS1_25segmented_radix_sort_implIS3_Lb0EPKiPiPKlPlN2at6native12_GLOBAL__N_18offset_tEEE10hipError_tPvRmT1_PNSt15iterator_traitsISK_E10value_typeET2_T3_PNSL_ISQ_E10value_typeET4_jRbjT5_SW_jjP12ihipStream_tbEUlT_E0_NS1_11comp_targetILNS1_3genE9ELNS1_11target_archE1100ELNS1_3gpuE3ELNS1_3repE0EEENS1_60segmented_radix_sort_warp_sort_medium_config_static_selectorELNS0_4arch9wavefront6targetE0EEEvSK_.uses_flat_scratch, 0
	.set _ZN7rocprim17ROCPRIM_400000_NS6detail17trampoline_kernelINS0_14default_configENS1_36segmented_radix_sort_config_selectorIilEEZNS1_25segmented_radix_sort_implIS3_Lb0EPKiPiPKlPlN2at6native12_GLOBAL__N_18offset_tEEE10hipError_tPvRmT1_PNSt15iterator_traitsISK_E10value_typeET2_T3_PNSL_ISQ_E10value_typeET4_jRbjT5_SW_jjP12ihipStream_tbEUlT_E0_NS1_11comp_targetILNS1_3genE9ELNS1_11target_archE1100ELNS1_3gpuE3ELNS1_3repE0EEENS1_60segmented_radix_sort_warp_sort_medium_config_static_selectorELNS0_4arch9wavefront6targetE0EEEvSK_.has_dyn_sized_stack, 0
	.set _ZN7rocprim17ROCPRIM_400000_NS6detail17trampoline_kernelINS0_14default_configENS1_36segmented_radix_sort_config_selectorIilEEZNS1_25segmented_radix_sort_implIS3_Lb0EPKiPiPKlPlN2at6native12_GLOBAL__N_18offset_tEEE10hipError_tPvRmT1_PNSt15iterator_traitsISK_E10value_typeET2_T3_PNSL_ISQ_E10value_typeET4_jRbjT5_SW_jjP12ihipStream_tbEUlT_E0_NS1_11comp_targetILNS1_3genE9ELNS1_11target_archE1100ELNS1_3gpuE3ELNS1_3repE0EEENS1_60segmented_radix_sort_warp_sort_medium_config_static_selectorELNS0_4arch9wavefront6targetE0EEEvSK_.has_recursion, 0
	.set _ZN7rocprim17ROCPRIM_400000_NS6detail17trampoline_kernelINS0_14default_configENS1_36segmented_radix_sort_config_selectorIilEEZNS1_25segmented_radix_sort_implIS3_Lb0EPKiPiPKlPlN2at6native12_GLOBAL__N_18offset_tEEE10hipError_tPvRmT1_PNSt15iterator_traitsISK_E10value_typeET2_T3_PNSL_ISQ_E10value_typeET4_jRbjT5_SW_jjP12ihipStream_tbEUlT_E0_NS1_11comp_targetILNS1_3genE9ELNS1_11target_archE1100ELNS1_3gpuE3ELNS1_3repE0EEENS1_60segmented_radix_sort_warp_sort_medium_config_static_selectorELNS0_4arch9wavefront6targetE0EEEvSK_.has_indirect_call, 0
	.section	.AMDGPU.csdata,"",@progbits
; Kernel info:
; codeLenInByte = 0
; TotalNumSgprs: 0
; NumVgprs: 0
; ScratchSize: 0
; MemoryBound: 0
; FloatMode: 240
; IeeeMode: 1
; LDSByteSize: 0 bytes/workgroup (compile time only)
; SGPRBlocks: 0
; VGPRBlocks: 0
; NumSGPRsForWavesPerEU: 1
; NumVGPRsForWavesPerEU: 1
; NamedBarCnt: 0
; Occupancy: 16
; WaveLimiterHint : 0
; COMPUTE_PGM_RSRC2:SCRATCH_EN: 0
; COMPUTE_PGM_RSRC2:USER_SGPR: 2
; COMPUTE_PGM_RSRC2:TRAP_HANDLER: 0
; COMPUTE_PGM_RSRC2:TGID_X_EN: 1
; COMPUTE_PGM_RSRC2:TGID_Y_EN: 0
; COMPUTE_PGM_RSRC2:TGID_Z_EN: 0
; COMPUTE_PGM_RSRC2:TIDIG_COMP_CNT: 0
	.section	.text._ZN7rocprim17ROCPRIM_400000_NS6detail17trampoline_kernelINS0_14default_configENS1_36segmented_radix_sort_config_selectorIilEEZNS1_25segmented_radix_sort_implIS3_Lb0EPKiPiPKlPlN2at6native12_GLOBAL__N_18offset_tEEE10hipError_tPvRmT1_PNSt15iterator_traitsISK_E10value_typeET2_T3_PNSL_ISQ_E10value_typeET4_jRbjT5_SW_jjP12ihipStream_tbEUlT_E0_NS1_11comp_targetILNS1_3genE8ELNS1_11target_archE1030ELNS1_3gpuE2ELNS1_3repE0EEENS1_60segmented_radix_sort_warp_sort_medium_config_static_selectorELNS0_4arch9wavefront6targetE0EEEvSK_,"axG",@progbits,_ZN7rocprim17ROCPRIM_400000_NS6detail17trampoline_kernelINS0_14default_configENS1_36segmented_radix_sort_config_selectorIilEEZNS1_25segmented_radix_sort_implIS3_Lb0EPKiPiPKlPlN2at6native12_GLOBAL__N_18offset_tEEE10hipError_tPvRmT1_PNSt15iterator_traitsISK_E10value_typeET2_T3_PNSL_ISQ_E10value_typeET4_jRbjT5_SW_jjP12ihipStream_tbEUlT_E0_NS1_11comp_targetILNS1_3genE8ELNS1_11target_archE1030ELNS1_3gpuE2ELNS1_3repE0EEENS1_60segmented_radix_sort_warp_sort_medium_config_static_selectorELNS0_4arch9wavefront6targetE0EEEvSK_,comdat
	.globl	_ZN7rocprim17ROCPRIM_400000_NS6detail17trampoline_kernelINS0_14default_configENS1_36segmented_radix_sort_config_selectorIilEEZNS1_25segmented_radix_sort_implIS3_Lb0EPKiPiPKlPlN2at6native12_GLOBAL__N_18offset_tEEE10hipError_tPvRmT1_PNSt15iterator_traitsISK_E10value_typeET2_T3_PNSL_ISQ_E10value_typeET4_jRbjT5_SW_jjP12ihipStream_tbEUlT_E0_NS1_11comp_targetILNS1_3genE8ELNS1_11target_archE1030ELNS1_3gpuE2ELNS1_3repE0EEENS1_60segmented_radix_sort_warp_sort_medium_config_static_selectorELNS0_4arch9wavefront6targetE0EEEvSK_ ; -- Begin function _ZN7rocprim17ROCPRIM_400000_NS6detail17trampoline_kernelINS0_14default_configENS1_36segmented_radix_sort_config_selectorIilEEZNS1_25segmented_radix_sort_implIS3_Lb0EPKiPiPKlPlN2at6native12_GLOBAL__N_18offset_tEEE10hipError_tPvRmT1_PNSt15iterator_traitsISK_E10value_typeET2_T3_PNSL_ISQ_E10value_typeET4_jRbjT5_SW_jjP12ihipStream_tbEUlT_E0_NS1_11comp_targetILNS1_3genE8ELNS1_11target_archE1030ELNS1_3gpuE2ELNS1_3repE0EEENS1_60segmented_radix_sort_warp_sort_medium_config_static_selectorELNS0_4arch9wavefront6targetE0EEEvSK_
	.p2align	8
	.type	_ZN7rocprim17ROCPRIM_400000_NS6detail17trampoline_kernelINS0_14default_configENS1_36segmented_radix_sort_config_selectorIilEEZNS1_25segmented_radix_sort_implIS3_Lb0EPKiPiPKlPlN2at6native12_GLOBAL__N_18offset_tEEE10hipError_tPvRmT1_PNSt15iterator_traitsISK_E10value_typeET2_T3_PNSL_ISQ_E10value_typeET4_jRbjT5_SW_jjP12ihipStream_tbEUlT_E0_NS1_11comp_targetILNS1_3genE8ELNS1_11target_archE1030ELNS1_3gpuE2ELNS1_3repE0EEENS1_60segmented_radix_sort_warp_sort_medium_config_static_selectorELNS0_4arch9wavefront6targetE0EEEvSK_,@function
_ZN7rocprim17ROCPRIM_400000_NS6detail17trampoline_kernelINS0_14default_configENS1_36segmented_radix_sort_config_selectorIilEEZNS1_25segmented_radix_sort_implIS3_Lb0EPKiPiPKlPlN2at6native12_GLOBAL__N_18offset_tEEE10hipError_tPvRmT1_PNSt15iterator_traitsISK_E10value_typeET2_T3_PNSL_ISQ_E10value_typeET4_jRbjT5_SW_jjP12ihipStream_tbEUlT_E0_NS1_11comp_targetILNS1_3genE8ELNS1_11target_archE1030ELNS1_3gpuE2ELNS1_3repE0EEENS1_60segmented_radix_sort_warp_sort_medium_config_static_selectorELNS0_4arch9wavefront6targetE0EEEvSK_: ; @_ZN7rocprim17ROCPRIM_400000_NS6detail17trampoline_kernelINS0_14default_configENS1_36segmented_radix_sort_config_selectorIilEEZNS1_25segmented_radix_sort_implIS3_Lb0EPKiPiPKlPlN2at6native12_GLOBAL__N_18offset_tEEE10hipError_tPvRmT1_PNSt15iterator_traitsISK_E10value_typeET2_T3_PNSL_ISQ_E10value_typeET4_jRbjT5_SW_jjP12ihipStream_tbEUlT_E0_NS1_11comp_targetILNS1_3genE8ELNS1_11target_archE1030ELNS1_3gpuE2ELNS1_3repE0EEENS1_60segmented_radix_sort_warp_sort_medium_config_static_selectorELNS0_4arch9wavefront6targetE0EEEvSK_
; %bb.0:
	.section	.rodata,"a",@progbits
	.p2align	6, 0x0
	.amdhsa_kernel _ZN7rocprim17ROCPRIM_400000_NS6detail17trampoline_kernelINS0_14default_configENS1_36segmented_radix_sort_config_selectorIilEEZNS1_25segmented_radix_sort_implIS3_Lb0EPKiPiPKlPlN2at6native12_GLOBAL__N_18offset_tEEE10hipError_tPvRmT1_PNSt15iterator_traitsISK_E10value_typeET2_T3_PNSL_ISQ_E10value_typeET4_jRbjT5_SW_jjP12ihipStream_tbEUlT_E0_NS1_11comp_targetILNS1_3genE8ELNS1_11target_archE1030ELNS1_3gpuE2ELNS1_3repE0EEENS1_60segmented_radix_sort_warp_sort_medium_config_static_selectorELNS0_4arch9wavefront6targetE0EEEvSK_
		.amdhsa_group_segment_fixed_size 0
		.amdhsa_private_segment_fixed_size 0
		.amdhsa_kernarg_size 88
		.amdhsa_user_sgpr_count 2
		.amdhsa_user_sgpr_dispatch_ptr 0
		.amdhsa_user_sgpr_queue_ptr 0
		.amdhsa_user_sgpr_kernarg_segment_ptr 1
		.amdhsa_user_sgpr_dispatch_id 0
		.amdhsa_user_sgpr_kernarg_preload_length 0
		.amdhsa_user_sgpr_kernarg_preload_offset 0
		.amdhsa_user_sgpr_private_segment_size 0
		.amdhsa_wavefront_size32 1
		.amdhsa_uses_dynamic_stack 0
		.amdhsa_enable_private_segment 0
		.amdhsa_system_sgpr_workgroup_id_x 1
		.amdhsa_system_sgpr_workgroup_id_y 0
		.amdhsa_system_sgpr_workgroup_id_z 0
		.amdhsa_system_sgpr_workgroup_info 0
		.amdhsa_system_vgpr_workitem_id 0
		.amdhsa_next_free_vgpr 1
		.amdhsa_next_free_sgpr 1
		.amdhsa_named_barrier_count 0
		.amdhsa_reserve_vcc 0
		.amdhsa_float_round_mode_32 0
		.amdhsa_float_round_mode_16_64 0
		.amdhsa_float_denorm_mode_32 3
		.amdhsa_float_denorm_mode_16_64 3
		.amdhsa_fp16_overflow 0
		.amdhsa_memory_ordered 1
		.amdhsa_forward_progress 1
		.amdhsa_inst_pref_size 0
		.amdhsa_round_robin_scheduling 0
		.amdhsa_exception_fp_ieee_invalid_op 0
		.amdhsa_exception_fp_denorm_src 0
		.amdhsa_exception_fp_ieee_div_zero 0
		.amdhsa_exception_fp_ieee_overflow 0
		.amdhsa_exception_fp_ieee_underflow 0
		.amdhsa_exception_fp_ieee_inexact 0
		.amdhsa_exception_int_div_zero 0
	.end_amdhsa_kernel
	.section	.text._ZN7rocprim17ROCPRIM_400000_NS6detail17trampoline_kernelINS0_14default_configENS1_36segmented_radix_sort_config_selectorIilEEZNS1_25segmented_radix_sort_implIS3_Lb0EPKiPiPKlPlN2at6native12_GLOBAL__N_18offset_tEEE10hipError_tPvRmT1_PNSt15iterator_traitsISK_E10value_typeET2_T3_PNSL_ISQ_E10value_typeET4_jRbjT5_SW_jjP12ihipStream_tbEUlT_E0_NS1_11comp_targetILNS1_3genE8ELNS1_11target_archE1030ELNS1_3gpuE2ELNS1_3repE0EEENS1_60segmented_radix_sort_warp_sort_medium_config_static_selectorELNS0_4arch9wavefront6targetE0EEEvSK_,"axG",@progbits,_ZN7rocprim17ROCPRIM_400000_NS6detail17trampoline_kernelINS0_14default_configENS1_36segmented_radix_sort_config_selectorIilEEZNS1_25segmented_radix_sort_implIS3_Lb0EPKiPiPKlPlN2at6native12_GLOBAL__N_18offset_tEEE10hipError_tPvRmT1_PNSt15iterator_traitsISK_E10value_typeET2_T3_PNSL_ISQ_E10value_typeET4_jRbjT5_SW_jjP12ihipStream_tbEUlT_E0_NS1_11comp_targetILNS1_3genE8ELNS1_11target_archE1030ELNS1_3gpuE2ELNS1_3repE0EEENS1_60segmented_radix_sort_warp_sort_medium_config_static_selectorELNS0_4arch9wavefront6targetE0EEEvSK_,comdat
.Lfunc_end615:
	.size	_ZN7rocprim17ROCPRIM_400000_NS6detail17trampoline_kernelINS0_14default_configENS1_36segmented_radix_sort_config_selectorIilEEZNS1_25segmented_radix_sort_implIS3_Lb0EPKiPiPKlPlN2at6native12_GLOBAL__N_18offset_tEEE10hipError_tPvRmT1_PNSt15iterator_traitsISK_E10value_typeET2_T3_PNSL_ISQ_E10value_typeET4_jRbjT5_SW_jjP12ihipStream_tbEUlT_E0_NS1_11comp_targetILNS1_3genE8ELNS1_11target_archE1030ELNS1_3gpuE2ELNS1_3repE0EEENS1_60segmented_radix_sort_warp_sort_medium_config_static_selectorELNS0_4arch9wavefront6targetE0EEEvSK_, .Lfunc_end615-_ZN7rocprim17ROCPRIM_400000_NS6detail17trampoline_kernelINS0_14default_configENS1_36segmented_radix_sort_config_selectorIilEEZNS1_25segmented_radix_sort_implIS3_Lb0EPKiPiPKlPlN2at6native12_GLOBAL__N_18offset_tEEE10hipError_tPvRmT1_PNSt15iterator_traitsISK_E10value_typeET2_T3_PNSL_ISQ_E10value_typeET4_jRbjT5_SW_jjP12ihipStream_tbEUlT_E0_NS1_11comp_targetILNS1_3genE8ELNS1_11target_archE1030ELNS1_3gpuE2ELNS1_3repE0EEENS1_60segmented_radix_sort_warp_sort_medium_config_static_selectorELNS0_4arch9wavefront6targetE0EEEvSK_
                                        ; -- End function
	.set _ZN7rocprim17ROCPRIM_400000_NS6detail17trampoline_kernelINS0_14default_configENS1_36segmented_radix_sort_config_selectorIilEEZNS1_25segmented_radix_sort_implIS3_Lb0EPKiPiPKlPlN2at6native12_GLOBAL__N_18offset_tEEE10hipError_tPvRmT1_PNSt15iterator_traitsISK_E10value_typeET2_T3_PNSL_ISQ_E10value_typeET4_jRbjT5_SW_jjP12ihipStream_tbEUlT_E0_NS1_11comp_targetILNS1_3genE8ELNS1_11target_archE1030ELNS1_3gpuE2ELNS1_3repE0EEENS1_60segmented_radix_sort_warp_sort_medium_config_static_selectorELNS0_4arch9wavefront6targetE0EEEvSK_.num_vgpr, 0
	.set _ZN7rocprim17ROCPRIM_400000_NS6detail17trampoline_kernelINS0_14default_configENS1_36segmented_radix_sort_config_selectorIilEEZNS1_25segmented_radix_sort_implIS3_Lb0EPKiPiPKlPlN2at6native12_GLOBAL__N_18offset_tEEE10hipError_tPvRmT1_PNSt15iterator_traitsISK_E10value_typeET2_T3_PNSL_ISQ_E10value_typeET4_jRbjT5_SW_jjP12ihipStream_tbEUlT_E0_NS1_11comp_targetILNS1_3genE8ELNS1_11target_archE1030ELNS1_3gpuE2ELNS1_3repE0EEENS1_60segmented_radix_sort_warp_sort_medium_config_static_selectorELNS0_4arch9wavefront6targetE0EEEvSK_.num_agpr, 0
	.set _ZN7rocprim17ROCPRIM_400000_NS6detail17trampoline_kernelINS0_14default_configENS1_36segmented_radix_sort_config_selectorIilEEZNS1_25segmented_radix_sort_implIS3_Lb0EPKiPiPKlPlN2at6native12_GLOBAL__N_18offset_tEEE10hipError_tPvRmT1_PNSt15iterator_traitsISK_E10value_typeET2_T3_PNSL_ISQ_E10value_typeET4_jRbjT5_SW_jjP12ihipStream_tbEUlT_E0_NS1_11comp_targetILNS1_3genE8ELNS1_11target_archE1030ELNS1_3gpuE2ELNS1_3repE0EEENS1_60segmented_radix_sort_warp_sort_medium_config_static_selectorELNS0_4arch9wavefront6targetE0EEEvSK_.numbered_sgpr, 0
	.set _ZN7rocprim17ROCPRIM_400000_NS6detail17trampoline_kernelINS0_14default_configENS1_36segmented_radix_sort_config_selectorIilEEZNS1_25segmented_radix_sort_implIS3_Lb0EPKiPiPKlPlN2at6native12_GLOBAL__N_18offset_tEEE10hipError_tPvRmT1_PNSt15iterator_traitsISK_E10value_typeET2_T3_PNSL_ISQ_E10value_typeET4_jRbjT5_SW_jjP12ihipStream_tbEUlT_E0_NS1_11comp_targetILNS1_3genE8ELNS1_11target_archE1030ELNS1_3gpuE2ELNS1_3repE0EEENS1_60segmented_radix_sort_warp_sort_medium_config_static_selectorELNS0_4arch9wavefront6targetE0EEEvSK_.num_named_barrier, 0
	.set _ZN7rocprim17ROCPRIM_400000_NS6detail17trampoline_kernelINS0_14default_configENS1_36segmented_radix_sort_config_selectorIilEEZNS1_25segmented_radix_sort_implIS3_Lb0EPKiPiPKlPlN2at6native12_GLOBAL__N_18offset_tEEE10hipError_tPvRmT1_PNSt15iterator_traitsISK_E10value_typeET2_T3_PNSL_ISQ_E10value_typeET4_jRbjT5_SW_jjP12ihipStream_tbEUlT_E0_NS1_11comp_targetILNS1_3genE8ELNS1_11target_archE1030ELNS1_3gpuE2ELNS1_3repE0EEENS1_60segmented_radix_sort_warp_sort_medium_config_static_selectorELNS0_4arch9wavefront6targetE0EEEvSK_.private_seg_size, 0
	.set _ZN7rocprim17ROCPRIM_400000_NS6detail17trampoline_kernelINS0_14default_configENS1_36segmented_radix_sort_config_selectorIilEEZNS1_25segmented_radix_sort_implIS3_Lb0EPKiPiPKlPlN2at6native12_GLOBAL__N_18offset_tEEE10hipError_tPvRmT1_PNSt15iterator_traitsISK_E10value_typeET2_T3_PNSL_ISQ_E10value_typeET4_jRbjT5_SW_jjP12ihipStream_tbEUlT_E0_NS1_11comp_targetILNS1_3genE8ELNS1_11target_archE1030ELNS1_3gpuE2ELNS1_3repE0EEENS1_60segmented_radix_sort_warp_sort_medium_config_static_selectorELNS0_4arch9wavefront6targetE0EEEvSK_.uses_vcc, 0
	.set _ZN7rocprim17ROCPRIM_400000_NS6detail17trampoline_kernelINS0_14default_configENS1_36segmented_radix_sort_config_selectorIilEEZNS1_25segmented_radix_sort_implIS3_Lb0EPKiPiPKlPlN2at6native12_GLOBAL__N_18offset_tEEE10hipError_tPvRmT1_PNSt15iterator_traitsISK_E10value_typeET2_T3_PNSL_ISQ_E10value_typeET4_jRbjT5_SW_jjP12ihipStream_tbEUlT_E0_NS1_11comp_targetILNS1_3genE8ELNS1_11target_archE1030ELNS1_3gpuE2ELNS1_3repE0EEENS1_60segmented_radix_sort_warp_sort_medium_config_static_selectorELNS0_4arch9wavefront6targetE0EEEvSK_.uses_flat_scratch, 0
	.set _ZN7rocprim17ROCPRIM_400000_NS6detail17trampoline_kernelINS0_14default_configENS1_36segmented_radix_sort_config_selectorIilEEZNS1_25segmented_radix_sort_implIS3_Lb0EPKiPiPKlPlN2at6native12_GLOBAL__N_18offset_tEEE10hipError_tPvRmT1_PNSt15iterator_traitsISK_E10value_typeET2_T3_PNSL_ISQ_E10value_typeET4_jRbjT5_SW_jjP12ihipStream_tbEUlT_E0_NS1_11comp_targetILNS1_3genE8ELNS1_11target_archE1030ELNS1_3gpuE2ELNS1_3repE0EEENS1_60segmented_radix_sort_warp_sort_medium_config_static_selectorELNS0_4arch9wavefront6targetE0EEEvSK_.has_dyn_sized_stack, 0
	.set _ZN7rocprim17ROCPRIM_400000_NS6detail17trampoline_kernelINS0_14default_configENS1_36segmented_radix_sort_config_selectorIilEEZNS1_25segmented_radix_sort_implIS3_Lb0EPKiPiPKlPlN2at6native12_GLOBAL__N_18offset_tEEE10hipError_tPvRmT1_PNSt15iterator_traitsISK_E10value_typeET2_T3_PNSL_ISQ_E10value_typeET4_jRbjT5_SW_jjP12ihipStream_tbEUlT_E0_NS1_11comp_targetILNS1_3genE8ELNS1_11target_archE1030ELNS1_3gpuE2ELNS1_3repE0EEENS1_60segmented_radix_sort_warp_sort_medium_config_static_selectorELNS0_4arch9wavefront6targetE0EEEvSK_.has_recursion, 0
	.set _ZN7rocprim17ROCPRIM_400000_NS6detail17trampoline_kernelINS0_14default_configENS1_36segmented_radix_sort_config_selectorIilEEZNS1_25segmented_radix_sort_implIS3_Lb0EPKiPiPKlPlN2at6native12_GLOBAL__N_18offset_tEEE10hipError_tPvRmT1_PNSt15iterator_traitsISK_E10value_typeET2_T3_PNSL_ISQ_E10value_typeET4_jRbjT5_SW_jjP12ihipStream_tbEUlT_E0_NS1_11comp_targetILNS1_3genE8ELNS1_11target_archE1030ELNS1_3gpuE2ELNS1_3repE0EEENS1_60segmented_radix_sort_warp_sort_medium_config_static_selectorELNS0_4arch9wavefront6targetE0EEEvSK_.has_indirect_call, 0
	.section	.AMDGPU.csdata,"",@progbits
; Kernel info:
; codeLenInByte = 0
; TotalNumSgprs: 0
; NumVgprs: 0
; ScratchSize: 0
; MemoryBound: 0
; FloatMode: 240
; IeeeMode: 1
; LDSByteSize: 0 bytes/workgroup (compile time only)
; SGPRBlocks: 0
; VGPRBlocks: 0
; NumSGPRsForWavesPerEU: 1
; NumVGPRsForWavesPerEU: 1
; NamedBarCnt: 0
; Occupancy: 16
; WaveLimiterHint : 0
; COMPUTE_PGM_RSRC2:SCRATCH_EN: 0
; COMPUTE_PGM_RSRC2:USER_SGPR: 2
; COMPUTE_PGM_RSRC2:TRAP_HANDLER: 0
; COMPUTE_PGM_RSRC2:TGID_X_EN: 1
; COMPUTE_PGM_RSRC2:TGID_Y_EN: 0
; COMPUTE_PGM_RSRC2:TGID_Z_EN: 0
; COMPUTE_PGM_RSRC2:TIDIG_COMP_CNT: 0
	.text
	.p2align	2                               ; -- Begin function _ZN7rocprim17ROCPRIM_400000_NS6detail26segmented_warp_sort_helperINS1_20WarpSortHelperConfigILj8ELj4ELj256EEEilLi256ELb0EvE4sortIPKiPiPKlPlEEvT_T0_T1_T2_jjjjRNS5_12storage_typeE
	.type	_ZN7rocprim17ROCPRIM_400000_NS6detail26segmented_warp_sort_helperINS1_20WarpSortHelperConfigILj8ELj4ELj256EEEilLi256ELb0EvE4sortIPKiPiPKlPlEEvT_T0_T1_T2_jjjjRNS5_12storage_typeE,@function
_ZN7rocprim17ROCPRIM_400000_NS6detail26segmented_warp_sort_helperINS1_20WarpSortHelperConfigILj8ELj4ELj256EEEilLi256ELb0EvE4sortIPKiPiPKlPlEEvT_T0_T1_T2_jjjjRNS5_12storage_typeE: ; @_ZN7rocprim17ROCPRIM_400000_NS6detail26segmented_warp_sort_helperINS1_20WarpSortHelperConfigILj8ELj4ELj256EEEilLi256ELb0EvE4sortIPKiPiPKlPlEEvT_T0_T1_T2_jjjjRNS5_12storage_typeE
; %bb.0:
	s_wait_loadcnt_dscnt 0x0
	s_wait_kmcnt 0x0
	v_mov_b32_e32 v14, v9
	v_mbcnt_lo_u32_b32 v9, -1, 0
	v_bfrev_b32_e32 v33, -2
	v_bfrev_b32_e32 v38, -2
	s_delay_alu instid0(VALU_DEP_3) | instskip(NEXT) | instid1(VALU_DEP_1)
	v_dual_mov_b32 v9, 0 :: v_dual_lshlrev_b32 v30, 2, v9
	v_dual_sub_nc_u32 v16, v14, v8 :: v_dual_bitop2_b32 v36, 28, v30 bitop3:0x40
	s_delay_alu instid0(VALU_DEP_2) | instskip(NEXT) | instid1(VALU_DEP_2)
	v_lshl_add_u64 v[18:19], v[8:9], 2, v[0:1]
	v_dual_mov_b32 v1, v9 :: v_dual_lshlrev_b32 v0, 2, v36
	s_delay_alu instid0(VALU_DEP_3) | instskip(NEXT) | instid1(VALU_DEP_2)
	v_cmp_lt_u32_e32 vcc_lo, v36, v16
	v_add_nc_u64_e32 v[14:15], v[18:19], v[0:1]
	s_and_saveexec_b32 s0, vcc_lo
	s_cbranch_execz .LBB616_2
; %bb.1:
	flat_load_b32 v38, v[14:15]
.LBB616_2:
	s_wait_xcnt 0x0
	s_or_b32 exec_lo, exec_lo, s0
	v_or_b32_e32 v1, 1, v36
	s_delay_alu instid0(VALU_DEP_1)
	v_cmp_lt_u32_e64 s0, v1, v16
	s_and_saveexec_b32 s1, s0
	s_cbranch_execz .LBB616_4
; %bb.3:
	flat_load_b32 v33, v[14:15] offset:4
.LBB616_4:
	s_wait_xcnt 0x0
	s_or_b32 exec_lo, exec_lo, s1
	v_or_b32_e32 v1, 2, v36
	v_bfrev_b32_e32 v37, -2
	v_bfrev_b32_e32 v32, -2
	s_delay_alu instid0(VALU_DEP_3)
	v_cmp_lt_u32_e64 s1, v1, v16
	s_and_saveexec_b32 s2, s1
	s_cbranch_execz .LBB616_6
; %bb.5:
	flat_load_b32 v32, v[14:15] offset:8
.LBB616_6:
	s_wait_xcnt 0x0
	s_or_b32 exec_lo, exec_lo, s2
	v_or_b32_e32 v1, 3, v36
	s_delay_alu instid0(VALU_DEP_1)
	v_cmp_lt_u32_e64 s2, v1, v16
	s_and_saveexec_b32 s3, s2
	s_cbranch_execz .LBB616_8
; %bb.7:
	flat_load_b32 v37, v[14:15] offset:12
.LBB616_8:
	s_wait_xcnt 0x0
	s_or_b32 exec_lo, exec_lo, s3
	v_lshl_add_u64 v[14:15], v[8:9], 3, v[4:5]
	v_dual_mov_b32 v5, 0 :: v_dual_lshlrev_b32 v4, 3, v36
	v_mov_b64_e32 v[22:23], 0
	; wave barrier
	s_delay_alu instid0(VALU_DEP_2)
	v_add_nc_u64_e32 v[26:27], v[14:15], v[4:5]
	v_mov_b64_e32 v[14:15], 0
	s_and_saveexec_b32 s3, vcc_lo
	s_cbranch_execz .LBB616_10
; %bb.9:
	flat_load_b64 v[14:15], v[26:27]
.LBB616_10:
	s_wait_xcnt 0x0
	s_or_b32 exec_lo, exec_lo, s3
	s_mov_b32 s3, 0
	s_delay_alu instid0(SALU_CYCLE_1)
	v_dual_mov_b32 v18, s3 :: v_dual_mov_b32 v19, s3
	v_dual_mov_b32 v24, s3 :: v_dual_mov_b32 v25, s3
	;; [unrolled: 1-line block ×3, first 2 shown]
	s_and_saveexec_b32 s4, s0
	s_cbranch_execz .LBB616_12
; %bb.11:
	flat_load_b64 v[18:19], v[26:27] offset:8
	v_dual_mov_b32 v24, s3 :: v_dual_mov_b32 v25, s3
	v_dual_mov_b32 v34, s3 :: v_dual_mov_b32 v35, s3
	s_wait_loadcnt_dscnt 0x0
	v_mov_b64_e32 v[22:23], v[18:19]
.LBB616_12:
	s_wait_xcnt 0x0
	s_or_b32 exec_lo, exec_lo, s4
	v_mov_b64_e32 v[20:21], 0
	v_mov_b64_e32 v[16:17], 0
	s_and_saveexec_b32 s3, s1
	s_cbranch_execz .LBB616_14
; %bb.13:
	flat_load_b64 v[24:25], v[26:27] offset:16
	s_mov_b32 s4, 0
	s_delay_alu instid0(SALU_CYCLE_1)
	v_dual_mov_b32 v34, s4 :: v_dual_mov_b32 v35, s4
	s_wait_loadcnt_dscnt 0x0
	v_mov_b64_e32 v[16:17], v[24:25]
.LBB616_14:
	s_wait_xcnt 0x0
	s_or_b32 exec_lo, exec_lo, s3
	s_and_saveexec_b32 s3, s2
	s_cbranch_execz .LBB616_16
; %bb.15:
	flat_load_b64 v[34:35], v[26:27] offset:24
	s_wait_loadcnt_dscnt 0x0
	v_mov_b64_e32 v[20:21], v[34:35]
.LBB616_16:
	s_wait_xcnt 0x0
	s_or_b32 exec_lo, exec_lo, s3
	v_cmp_ne_u32_e64 s3, 0, v10
	v_cmp_ne_u32_e64 s4, 32, v11
	v_bfe_u32 v5, v31, 10, 10
	v_bfe_u32 v26, v31, 20, 10
	v_and_b32_e32 v1, 0x3ff, v31
	s_mov_b32 s5, 0
	s_or_b32 s3, s3, s4
	s_getreg_b32 s11, hwreg(HW_REG_IB_STS2, 6, 4)
	; wave barrier
	s_and_saveexec_b32 s4, s3
	s_delay_alu instid0(SALU_CYCLE_1)
	s_xor_b32 s12, exec_lo, s4
	s_cbranch_execz .LBB616_60
; %bb.17:
	s_load_b64 s[6:7], s[8:9], 0x0
	s_bfe_u32 s4, ttmp6, 0x4000c
	s_bfe_u32 s13, ttmp6, 0x40010
	s_and_b32 s10, ttmp7, 0xffff
	s_add_co_i32 s4, s4, 1
	s_add_co_i32 s13, s13, 1
	s_and_b32 s3, ttmp6, 15
	s_bfe_u32 s14, ttmp6, 0x40004
	s_mul_i32 s4, ttmp9, s4
	s_mul_i32 s13, s10, s13
	s_add_co_i32 s3, s3, s4
	s_add_co_i32 s14, s14, s13
	s_cmp_eq_u32 s11, 0
	v_lshlrev_b32_e64 v11, v11, -1
	s_cselect_b32 s3, ttmp9, s3
	s_cselect_b32 s10, s10, s14
	v_lshlrev_b32_e64 v10, v10, -1
	s_wait_kmcnt 0x0
	s_cmp_lt_u32 s3, s6
	s_cselect_b32 s4, 12, 18
	s_cmp_lt_u32 s10, s7
	s_mov_b32 s7, s5
	s_cselect_b32 s6, 14, 20
	s_add_nc_u64 s[4:5], s[8:9], s[4:5]
	s_add_nc_u64 s[6:7], s[8:9], s[6:7]
	s_load_u16 s4, s[4:5], 0x0
	s_wait_xcnt 0x0
	s_mov_b32 s5, exec_lo
	s_load_u16 s3, s[6:7], 0x0
	s_wait_kmcnt 0x0
	v_mad_u32_u24 v5, v26, s3, v5
	s_wait_loadcnt_dscnt 0x0
	v_mov_b64_e32 v[26:27], v[32:33]
	s_delay_alu instid0(VALU_DEP_2) | instskip(NEXT) | instid1(VALU_DEP_1)
	v_mul_lo_u32 v5, v5, s4
	v_add_lshl_u32 v5, v5, v1, 2
	v_xor_b32_e32 v1, v11, v10
	s_delay_alu instid0(VALU_DEP_2)
	v_cmpx_gt_u32_e32 0x400, v5
	s_cbranch_execz .LBB616_29
; %bb.18:
	s_delay_alu instid0(VALU_DEP_2) | instskip(SKIP_2) | instid1(VALU_DEP_1)
	v_and_b32_e32 v11, v33, v1
	v_and_b32_e32 v16, v38, v1
	s_mov_b32 s6, exec_lo
	v_cmp_gt_u32_e64 s3, v16, v11
	v_and_b32_e32 v20, v37, v1
	v_dual_mov_b32 v11, v32 :: v_dual_bitop2_b32 v10, v32, v1 bitop3:0x40
	s_delay_alu instid0(VALU_DEP_3) | instskip(SKIP_2) | instid1(VALU_DEP_4)
	v_dual_cndmask_b32 v17, v19, v15, s3 :: v_dual_cndmask_b32 v16, v18, v14, s3
	v_dual_cndmask_b32 v15, v15, v19, s3 :: v_dual_cndmask_b32 v14, v14, v18, s3
	v_mov_b64_e32 v[18:19], v[24:25]
	v_cmpx_gt_u32_e64 v10, v20
; %bb.19:
	v_mov_b64_e32 v[18:19], v[34:35]
	v_mov_b64_e32 v[34:35], v[24:25]
	v_dual_mov_b32 v11, v37 :: v_dual_mov_b32 v37, v32
	v_mov_b32_e32 v10, v20
; %bb.20:
	s_or_b32 exec_lo, exec_lo, s6
	s_delay_alu instid0(VALU_DEP_3) | instskip(NEXT) | instid1(VALU_DEP_1)
	v_dual_cndmask_b32 v39, v33, v38, s3 :: v_dual_mov_b32 v20, v34
                                        ; implicit-def: $vgpr31
	v_and_b32_e32 v32, v39, v1
	s_delay_alu instid0(VALU_DEP_2)
	v_mov_b64_e32 v[28:29], v[20:21]
	v_mov_b64_e32 v[22:23], v[14:15]
	;; [unrolled: 1-line block ×4, first 2 shown]
	v_cmp_le_u32_e64 s4, v32, v10
	s_and_saveexec_b32 s6, s4
	s_delay_alu instid0(SALU_CYCLE_1)
	s_xor_b32 s4, exec_lo, s6
; %bb.21:
	v_and_b32_e32 v31, v11, v1
                                        ; implicit-def: $vgpr22_vgpr23_vgpr24_vgpr25_vgpr26_vgpr27_vgpr28_vgpr29
                                        ; implicit-def: $vgpr10
; %bb.22:
	s_or_saveexec_b32 s4, s4
	v_dual_mov_b32 v21, v35 :: v_dual_mov_b32 v24, v39
	s_xor_b32 exec_lo, exec_lo, s4
	s_cbranch_execz .LBB616_24
; %bb.23:
	v_dual_mov_b32 v24, v18 :: v_dual_mov_b32 v25, v19
	v_dual_mov_b32 v26, v16 :: v_dual_mov_b32 v27, v17
	;; [unrolled: 1-line block ×3, first 2 shown]
	v_mov_b64_e32 v[14:15], v[22:23]
	s_delay_alu instid0(VALU_DEP_4) | instskip(NEXT) | instid1(VALU_DEP_4)
	v_mov_b64_e32 v[16:17], v[24:25]
	v_mov_b64_e32 v[18:19], v[26:27]
	v_mov_b32_e32 v31, v32
	v_mov_b64_e32 v[20:21], v[28:29]
	v_dual_mov_b32 v24, v11 :: v_dual_mov_b32 v11, v39
	v_mov_b32_e32 v32, v10
.LBB616_24:
	s_or_b32 exec_lo, exec_lo, s4
	v_cndmask_b32_e64 v25, v38, v33, s3
	s_mov_b32 s6, exec_lo
	s_delay_alu instid0(VALU_DEP_1) | instskip(NEXT) | instid1(VALU_DEP_1)
	v_and_b32_e32 v10, v25, v1
	v_cmp_gt_u32_e64 s3, v10, v32
	v_dual_mov_b32 v10, v11 :: v_dual_bitop2_b32 v26, v37, v1 bitop3:0x40
	s_delay_alu instid0(VALU_DEP_2) | instskip(SKIP_1) | instid1(VALU_DEP_3)
	v_dual_cndmask_b32 v23, v17, v15, s3 :: v_dual_cndmask_b32 v22, v16, v14, s3
	v_dual_cndmask_b32 v15, v15, v17, s3 :: v_dual_cndmask_b32 v14, v14, v16, s3
	v_cmpx_gt_u32_e64 v31, v26
; %bb.25:
	v_mov_b64_e32 v[16:17], v[18:19]
	v_mov_b64_e32 v[18:19], v[20:21]
	v_dual_mov_b32 v10, v37 :: v_dual_mov_b32 v37, v11
	v_mov_b32_e32 v31, v26
	s_delay_alu instid0(VALU_DEP_4)
	v_mov_b64_e32 v[20:21], v[16:17]
; %bb.26:
	s_or_b32 exec_lo, exec_lo, s6
	v_cndmask_b32_e64 v11, v24, v25, s3
	v_mov_b64_e32 v[16:17], v[18:19]
	s_delay_alu instid0(VALU_DEP_2) | instskip(NEXT) | instid1(VALU_DEP_1)
	v_dual_mov_b32 v33, v11 :: v_dual_bitop2_b32 v26, v11, v1 bitop3:0x40
	v_cmp_gt_u32_e64 s4, v26, v31
	v_mov_b64_e32 v[26:27], v[10:11]
	s_and_saveexec_b32 s6, s4
; %bb.27:
	v_mov_b64_e32 v[16:17], v[22:23]
	v_mov_b64_e32 v[22:23], v[18:19]
	v_dual_mov_b32 v26, v11 :: v_dual_mov_b32 v27, v10
	v_dual_mov_b32 v33, v10 :: v_dual_mov_b32 v10, v11
; %bb.28:
	s_or_b32 exec_lo, exec_lo, s6
	s_delay_alu instid0(VALU_DEP_1)
	v_dual_cndmask_b32 v38, v25, v24, s3 :: v_dual_mov_b32 v32, v10
.LBB616_29:
	s_or_b32 exec_lo, exec_lo, s5
	v_and_b32_e32 v24, 0xffffff80, v5
	v_dual_mov_b32 v25, 0 :: v_dual_bitop2_b32 v18, 4, v30 bitop3:0x54
	v_and_b32_e32 v48, 0x78, v30
	s_mov_b32 s4, exec_lo
	s_delay_alu instid0(VALU_DEP_3) | instskip(NEXT) | instid1(VALU_DEP_3)
	v_sub_nc_u32_e64 v5, 0x400, v24 clamp
	v_lshlrev_b64_e32 v[10:11], 2, v[24:25]
	v_lshlrev_b32_e32 v24, 2, v30
	s_delay_alu instid0(VALU_DEP_3) | instskip(SKIP_1) | instid1(VALU_DEP_4)
	v_min_u32_e32 v35, v5, v18
	v_and_b32_e32 v18, 4, v30
	v_add_nc_u64_e32 v[12:13], v[12:13], v[10:11]
	s_delay_alu instid0(VALU_DEP_3) | instskip(NEXT) | instid1(VALU_DEP_3)
	v_add_min_u32_e64 v39, v35, 4, v5
	v_min_u32_e32 v49, v5, v18
	s_delay_alu instid0(VALU_DEP_3) | instskip(SKIP_3) | instid1(VALU_DEP_3)
	v_add_nc_u64_e32 v[10:11], v[12:13], v[10:11]
	v_sub_nc_u32_e32 v11, v35, v48
	v_add_nc_u64_e32 v[18:19], v[12:13], v[24:25]
	v_sub_nc_u32_e32 v24, v39, v35
	v_min_u32_e32 v11, v49, v11
	v_lshl_add_u32 v19, v30, 3, v10
	s_delay_alu instid0(VALU_DEP_3) | instskip(NEXT) | instid1(VALU_DEP_2)
	v_sub_nc_u32_e64 v50, v49, v24 clamp
	v_add_nc_u32_e32 v24, 0x1000, v19
	ds_store_2addr_b32 v18, v27, v26 offset0:1 offset1:2
	ds_store_2addr_b32 v18, v38, v37 offset1:3
	ds_store_2addr_b64 v24, v[14:15], v[22:23] offset1:1
	ds_store_2addr_b64 v24, v[16:17], v[20:21] offset0:2 offset1:3
	; wave barrier
	v_cmpx_lt_u32_e64 v50, v11
	s_cbranch_execz .LBB616_33
; %bb.30:
	v_lshlrev_b32_e32 v24, 2, v48
	s_mov_b32 s5, 0
	s_delay_alu instid0(VALU_DEP_1) | instskip(SKIP_1) | instid1(VALU_DEP_1)
	v_add_nc_u64_e32 v[26:27], v[12:13], v[24:25]
	v_lshlrev_b32_e32 v24, 2, v35
	v_add_nc_u64_e32 v[24:25], v[12:13], v[24:25]
.LBB616_31:                             ; =>This Inner Loop Header: Depth=1
	v_add_nc_u32_e32 v25, v11, v50
	s_delay_alu instid0(VALU_DEP_1) | instskip(NEXT) | instid1(VALU_DEP_1)
	v_lshrrev_b32_e32 v25, 1, v25
	v_xad_u32 v27, v25, -1, v49
	v_lshl_add_u32 v28, v25, 2, v26
	s_delay_alu instid0(VALU_DEP_2)
	v_lshl_add_u32 v27, v27, 2, v24
	ds_load_b32 v28, v28
	ds_load_b32 v27, v27
	s_wait_dscnt 0x1
	v_and_b32_e32 v28, v28, v1
	s_wait_dscnt 0x0
	v_and_b32_e32 v27, v27, v1
	s_delay_alu instid0(VALU_DEP_1) | instskip(SKIP_1) | instid1(VALU_DEP_1)
	v_cmp_gt_u32_e64 s3, v28, v27
	v_add_nc_u32_e32 v29, 1, v25
	v_dual_cndmask_b32 v50, v29, v50, s3 :: v_dual_cndmask_b32 v11, v11, v25, s3
	s_delay_alu instid0(VALU_DEP_1) | instskip(SKIP_1) | instid1(SALU_CYCLE_1)
	v_cmp_ge_u32_e64 s3, v50, v11
	s_or_b32 s5, s3, s5
	s_and_not1_b32 exec_lo, exec_lo, s5
	s_cbranch_execnz .LBB616_31
; %bb.32:
	s_or_b32 exec_lo, exec_lo, s5
.LBB616_33:
	s_delay_alu instid0(SALU_CYCLE_1) | instskip(SKIP_3) | instid1(VALU_DEP_3)
	s_or_b32 exec_lo, exec_lo, s4
	v_dual_add_nc_u32 v24, v35, v49 :: v_dual_add_nc_u32 v27, v50, v48
	v_add_nc_u32_e32 v34, 0x1000, v19
	v_dual_add_nc_u32 v31, 4, v18 :: v_dual_add_nc_u32 v11, 12, v18
	v_sub_nc_u32_e32 v26, v24, v50
	s_delay_alu instid0(VALU_DEP_4)
	v_cmp_le_u32_e64 s3, v27, v35
	v_add_nc_u32_e32 v29, 0x1008, v19
	v_add_nc_u32_e32 v28, 0x1010, v19
	;; [unrolled: 1-line block ×3, first 2 shown]
	v_cmp_le_u32_e64 s4, v26, v39
	s_or_b32 s3, s3, s4
	s_delay_alu instid0(SALU_CYCLE_1)
	s_and_saveexec_b32 s13, s3
	s_cbranch_execz .LBB616_39
; %bb.34:
	v_cmp_lt_u32_e64 s3, v27, v35
                                        ; implicit-def: $vgpr24
	s_and_saveexec_b32 s4, s3
; %bb.35:
	v_lshl_add_u32 v14, v27, 2, v12
	ds_load_b32 v24, v14
; %bb.36:
	s_or_b32 exec_lo, exec_lo, s4
	v_cmp_ge_u32_e64 s4, v26, v39
	s_mov_b32 s6, exec_lo
                                        ; implicit-def: $vgpr25
	v_cmpx_lt_u32_e64 v26, v39
; %bb.37:
	v_lshl_add_u32 v14, v26, 2, v12
	ds_load_b32 v25, v14
; %bb.38:
	s_or_b32 exec_lo, exec_lo, s6
	s_wait_dscnt 0x0
	v_and_b32_e32 v14, v25, v1
	v_and_b32_e32 v15, v24, v1
	s_delay_alu instid0(VALU_DEP_1) | instskip(SKIP_1) | instid1(SALU_CYCLE_1)
	v_cmp_le_u32_e64 s5, v15, v14
	s_and_b32 s3, s3, s5
	s_or_b32 s3, s4, s3
	s_delay_alu instid0(SALU_CYCLE_1) | instskip(SKIP_1) | instid1(VALU_DEP_2)
	v_cndmask_b32_e64 v14, v26, v27, s3
	v_dual_cndmask_b32 v15, v39, v35, s3 :: v_dual_cndmask_b32 v38, v25, v24, s3
	v_add_nc_u32_e32 v16, 1, v14
	v_lshl_add_u32 v14, v14, 3, v10
	s_delay_alu instid0(VALU_DEP_2) | instskip(NEXT) | instid1(VALU_DEP_1)
	v_add_min_u32_e64 v15, v15, -1, v16
	v_lshl_add_u32 v15, v15, 2, v12
	ds_load_b32 v15, v15
	s_wait_dscnt 0x0
	v_dual_cndmask_b32 v32, v15, v25, s3 :: v_dual_cndmask_b32 v33, v24, v15, s3
	v_dual_cndmask_b32 v15, v27, v16, s3 :: v_dual_cndmask_b32 v16, v16, v26, s3
	s_delay_alu instid0(VALU_DEP_2) | instskip(NEXT) | instid1(VALU_DEP_3)
	v_and_b32_e32 v17, v32, v1
	v_and_b32_e32 v20, v33, v1
	s_delay_alu instid0(VALU_DEP_3) | instskip(NEXT) | instid1(VALU_DEP_4)
	v_cmp_lt_u32_e64 s4, v15, v35
	v_cmp_ge_u32_e64 s6, v16, v39
	s_delay_alu instid0(VALU_DEP_3) | instskip(SKIP_1) | instid1(SALU_CYCLE_1)
	v_cmp_le_u32_e64 s5, v20, v17
	s_and_b32 s4, s4, s5
	s_or_b32 s4, s6, s4
	s_delay_alu instid0(SALU_CYCLE_1) | instskip(NEXT) | instid1(VALU_DEP_1)
	v_cndmask_b32_e64 v17, v16, v15, s4
	v_dual_cndmask_b32 v20, v39, v35, s4 :: v_dual_add_nc_u32 v21, 1, v17
	s_delay_alu instid0(VALU_DEP_1) | instskip(NEXT) | instid1(VALU_DEP_1)
	v_add_min_u32_e64 v20, v20, -1, v21
	v_lshl_add_u32 v20, v20, 2, v12
	ds_load_b32 v20, v20
	s_wait_dscnt 0x0
	v_cndmask_b32_e64 v26, v20, v32, s4
	v_dual_cndmask_b32 v27, v33, v20, s4 :: v_dual_cndmask_b32 v15, v15, v21, s4
	s_delay_alu instid0(VALU_DEP_2) | instskip(NEXT) | instid1(VALU_DEP_2)
	v_dual_cndmask_b32 v16, v21, v16, s4 :: v_dual_bitop2_b32 v20, v26, v1 bitop3:0x40
	v_and_b32_e32 v22, v27, v1
	s_delay_alu instid0(VALU_DEP_3) | instskip(NEXT) | instid1(VALU_DEP_3)
	v_cmp_lt_u32_e64 s5, v15, v35
	v_cmp_ge_u32_e64 s7, v16, v39
	s_delay_alu instid0(VALU_DEP_3) | instskip(SKIP_1) | instid1(SALU_CYCLE_1)
	v_cmp_le_u32_e64 s6, v22, v20
	s_and_b32 s5, s5, s6
	s_or_b32 s5, s7, s5
	s_delay_alu instid0(SALU_CYCLE_1) | instskip(SKIP_1) | instid1(VALU_DEP_1)
	v_dual_cndmask_b32 v33, v32, v33, s4 :: v_dual_cndmask_b32 v32, v26, v27, s5
	v_cndmask_b32_e64 v20, v16, v15, s5
	v_dual_cndmask_b32 v21, v39, v35, s5 :: v_dual_add_nc_u32 v22, 1, v20
	s_delay_alu instid0(VALU_DEP_1) | instskip(NEXT) | instid1(VALU_DEP_1)
	v_add_min_u32_e64 v21, v21, -1, v22
	v_lshl_add_u32 v21, v21, 2, v12
	ds_load_b32 v21, v21
	s_wait_dscnt 0x0
	v_dual_cndmask_b32 v37, v21, v26, s5 :: v_dual_cndmask_b32 v48, v27, v21, s5
	v_dual_cndmask_b32 v16, v22, v16, s5 :: v_dual_cndmask_b32 v15, v15, v22, s5
	s_delay_alu instid0(VALU_DEP_2) | instskip(NEXT) | instid1(VALU_DEP_3)
	v_and_b32_e32 v21, v37, v1
	v_and_b32_e32 v23, v48, v1
	s_delay_alu instid0(VALU_DEP_3) | instskip(NEXT) | instid1(VALU_DEP_4)
	v_cmp_ge_u32_e64 s10, v16, v39
	v_cmp_lt_u32_e64 s6, v15, v35
	s_delay_alu instid0(VALU_DEP_3) | instskip(SKIP_1) | instid1(SALU_CYCLE_1)
	v_cmp_le_u32_e64 s7, v23, v21
	s_and_b32 s6, s6, s7
	s_or_b32 s6, s10, s6
	s_delay_alu instid0(SALU_CYCLE_1) | instskip(SKIP_2) | instid1(VALU_DEP_3)
	v_dual_cndmask_b32 v15, v16, v15, s6 :: v_dual_cndmask_b32 v37, v37, v48, s6
	v_lshl_add_u32 v16, v17, 3, v10
	v_lshl_add_u32 v17, v20, 3, v10
	;; [unrolled: 1-line block ×3, first 2 shown]
	ds_load_b64 v[14:15], v14 offset:4096
	ds_load_b64 v[22:23], v16 offset:4096
	;; [unrolled: 1-line block ×4, first 2 shown]
.LBB616_39:
	s_or_b32 exec_lo, exec_lo, s13
	v_and_b32_e32 v48, 0x70, v30
	s_mov_b32 s4, exec_lo
	; wave barrier
	ds_store_b32 v18, v38
	s_wait_dscnt 0x4
	ds_store_b64 v34, v[14:15]
	v_or_b32_e32 v24, 8, v48
	ds_store_b32 v31, v33
	s_wait_dscnt 0x5
	ds_store_b64 v29, v[22:23]
	ds_store_b32 v18, v32 offset:8
	s_wait_dscnt 0x6
	ds_store_b64 v28, v[16:17]
	ds_store_b32 v11, v37
	s_wait_dscnt 0x7
	ds_store_b64 v19, v[20:21]
	; wave barrier
	v_min_u32_e32 v35, v5, v24
	v_and_b32_e32 v24, 12, v30
	s_delay_alu instid0(VALU_DEP_2) | instskip(NEXT) | instid1(VALU_DEP_2)
	v_add_min_u32_e64 v39, v35, 8, v5
	v_min_u32_e32 v49, v5, v24
	v_sub_nc_u32_e32 v25, v35, v48
	s_delay_alu instid0(VALU_DEP_3) | instskip(NEXT) | instid1(VALU_DEP_2)
	v_sub_nc_u32_e32 v24, v39, v35
	v_min_u32_e32 v51, v49, v25
	s_delay_alu instid0(VALU_DEP_2) | instskip(NEXT) | instid1(VALU_DEP_1)
	v_sub_nc_u32_e64 v50, v49, v24 clamp
	v_cmpx_lt_u32_e64 v50, v51
	s_cbranch_execz .LBB616_43
; %bb.40:
	v_dual_mov_b32 v27, 0 :: v_dual_lshlrev_b32 v26, 2, v48
	s_mov_b32 s5, 0
	s_delay_alu instid0(VALU_DEP_1) | instskip(SKIP_1) | instid1(VALU_DEP_1)
	v_add_nc_u64_e32 v[24:25], v[12:13], v[26:27]
	v_lshlrev_b32_e32 v26, 2, v35
	v_add_nc_u64_e32 v[26:27], v[12:13], v[26:27]
.LBB616_41:                             ; =>This Inner Loop Header: Depth=1
	v_add_nc_u32_e32 v25, v51, v50
	s_delay_alu instid0(VALU_DEP_1) | instskip(NEXT) | instid1(VALU_DEP_1)
	v_lshrrev_b32_e32 v25, 1, v25
	v_xad_u32 v27, v25, -1, v49
	v_lshl_add_u32 v52, v25, 2, v24
	s_delay_alu instid0(VALU_DEP_2)
	v_lshl_add_u32 v27, v27, 2, v26
	ds_load_b32 v52, v52
	ds_load_b32 v27, v27
	s_wait_dscnt 0x1
	v_and_b32_e32 v52, v52, v1
	s_wait_dscnt 0x0
	v_and_b32_e32 v27, v27, v1
	s_delay_alu instid0(VALU_DEP_1) | instskip(SKIP_1) | instid1(VALU_DEP_1)
	v_cmp_gt_u32_e64 s3, v52, v27
	v_add_nc_u32_e32 v53, 1, v25
	v_dual_cndmask_b32 v50, v53, v50, s3 :: v_dual_cndmask_b32 v51, v51, v25, s3
	s_delay_alu instid0(VALU_DEP_1) | instskip(SKIP_1) | instid1(SALU_CYCLE_1)
	v_cmp_ge_u32_e64 s3, v50, v51
	s_or_b32 s5, s3, s5
	s_and_not1_b32 exec_lo, exec_lo, s5
	s_cbranch_execnz .LBB616_41
; %bb.42:
	s_or_b32 exec_lo, exec_lo, s5
.LBB616_43:
	s_delay_alu instid0(SALU_CYCLE_1) | instskip(SKIP_1) | instid1(VALU_DEP_1)
	s_or_b32 exec_lo, exec_lo, s4
	v_dual_add_nc_u32 v24, 8, v18 :: v_dual_add_nc_u32 v25, v35, v49
	v_dual_add_nc_u32 v48, v50, v48 :: v_dual_sub_nc_u32 v27, v25, v50
	s_delay_alu instid0(VALU_DEP_1) | instskip(NEXT) | instid1(VALU_DEP_2)
	v_cmp_le_u32_e64 s3, v48, v35
	v_cmp_le_u32_e64 s4, v27, v39
	s_or_b32 s3, s3, s4
	s_delay_alu instid0(SALU_CYCLE_1)
	s_and_saveexec_b32 s13, s3
	s_cbranch_execz .LBB616_49
; %bb.44:
	v_cmp_lt_u32_e64 s3, v48, v35
                                        ; implicit-def: $vgpr25
	s_and_saveexec_b32 s4, s3
; %bb.45:
	v_lshl_add_u32 v14, v48, 2, v12
	ds_load_b32 v25, v14
; %bb.46:
	s_or_b32 exec_lo, exec_lo, s4
	v_cmp_ge_u32_e64 s4, v27, v39
	s_mov_b32 s6, exec_lo
                                        ; implicit-def: $vgpr26
	v_cmpx_lt_u32_e64 v27, v39
; %bb.47:
	v_lshl_add_u32 v14, v27, 2, v12
	ds_load_b32 v26, v14
; %bb.48:
	s_or_b32 exec_lo, exec_lo, s6
	s_wait_dscnt 0x0
	v_and_b32_e32 v14, v26, v1
	v_and_b32_e32 v15, v25, v1
	s_delay_alu instid0(VALU_DEP_1) | instskip(SKIP_1) | instid1(SALU_CYCLE_1)
	v_cmp_le_u32_e64 s5, v15, v14
	s_and_b32 s3, s3, s5
	s_or_b32 s3, s4, s3
	s_delay_alu instid0(SALU_CYCLE_1) | instskip(SKIP_1) | instid1(VALU_DEP_2)
	v_cndmask_b32_e64 v14, v27, v48, s3
	v_dual_cndmask_b32 v15, v39, v35, s3 :: v_dual_cndmask_b32 v38, v26, v25, s3
	v_add_nc_u32_e32 v16, 1, v14
	v_lshl_add_u32 v14, v14, 3, v10
	s_delay_alu instid0(VALU_DEP_2) | instskip(NEXT) | instid1(VALU_DEP_1)
	v_add_min_u32_e64 v15, v15, -1, v16
	v_lshl_add_u32 v15, v15, 2, v12
	ds_load_b32 v15, v15
	s_wait_dscnt 0x0
	v_dual_cndmask_b32 v32, v15, v26, s3 :: v_dual_cndmask_b32 v33, v25, v15, s3
	v_cndmask_b32_e64 v15, v48, v16, s3
	v_cndmask_b32_e64 v16, v16, v27, s3
	s_delay_alu instid0(VALU_DEP_3) | instskip(NEXT) | instid1(VALU_DEP_4)
	v_and_b32_e32 v17, v32, v1
	v_and_b32_e32 v20, v33, v1
	s_delay_alu instid0(VALU_DEP_4) | instskip(NEXT) | instid1(VALU_DEP_4)
	v_cmp_lt_u32_e64 s4, v15, v35
	v_cmp_ge_u32_e64 s6, v16, v39
	s_delay_alu instid0(VALU_DEP_3) | instskip(SKIP_1) | instid1(SALU_CYCLE_1)
	v_cmp_le_u32_e64 s5, v20, v17
	s_and_b32 s4, s4, s5
	s_or_b32 s4, s6, s4
	s_delay_alu instid0(SALU_CYCLE_1) | instskip(NEXT) | instid1(VALU_DEP_1)
	v_cndmask_b32_e64 v17, v16, v15, s4
	v_dual_cndmask_b32 v20, v39, v35, s4 :: v_dual_add_nc_u32 v21, 1, v17
	s_delay_alu instid0(VALU_DEP_1) | instskip(NEXT) | instid1(VALU_DEP_1)
	v_add_min_u32_e64 v20, v20, -1, v21
	v_lshl_add_u32 v20, v20, 2, v12
	ds_load_b32 v20, v20
	s_wait_dscnt 0x0
	v_cndmask_b32_e64 v27, v20, v32, s4
	v_dual_cndmask_b32 v37, v33, v20, s4 :: v_dual_cndmask_b32 v15, v15, v21, s4
	v_dual_cndmask_b32 v16, v21, v16, s4 :: v_dual_cndmask_b32 v33, v32, v33, s4
	s_delay_alu instid0(VALU_DEP_3) | instskip(NEXT) | instid1(VALU_DEP_3)
	v_and_b32_e32 v20, v27, v1
	v_and_b32_e32 v22, v37, v1
	s_delay_alu instid0(VALU_DEP_4) | instskip(NEXT) | instid1(VALU_DEP_4)
	v_cmp_lt_u32_e64 s5, v15, v35
	v_cmp_ge_u32_e64 s7, v16, v39
	s_delay_alu instid0(VALU_DEP_3) | instskip(SKIP_1) | instid1(SALU_CYCLE_1)
	v_cmp_le_u32_e64 s6, v22, v20
	s_and_b32 s5, s5, s6
	s_or_b32 s5, s7, s5
	s_delay_alu instid0(SALU_CYCLE_1) | instskip(SKIP_1) | instid1(VALU_DEP_2)
	v_cndmask_b32_e64 v20, v16, v15, s5
	v_cndmask_b32_e64 v21, v39, v35, s5
	v_dual_cndmask_b32 v32, v27, v37, s5 :: v_dual_add_nc_u32 v22, 1, v20
	s_delay_alu instid0(VALU_DEP_1) | instskip(SKIP_1) | instid1(VALU_DEP_2)
	v_add_min_u32_e64 v21, v21, -1, v22
	v_dual_cndmask_b32 v15, v15, v22, s5 :: v_dual_cndmask_b32 v16, v22, v16, s5
	v_lshl_add_u32 v21, v21, 2, v12
	s_delay_alu instid0(VALU_DEP_2) | instskip(NEXT) | instid1(VALU_DEP_3)
	v_cmp_lt_u32_e64 s6, v15, v35
	v_cmp_ge_u32_e64 s10, v16, v39
	ds_load_b32 v21, v21
	s_wait_dscnt 0x0
	v_cndmask_b32_e64 v48, v21, v27, s5
	v_cndmask_b32_e64 v49, v37, v21, s5
	s_delay_alu instid0(VALU_DEP_2) | instskip(NEXT) | instid1(VALU_DEP_2)
	v_and_b32_e32 v21, v48, v1
	v_and_b32_e32 v23, v49, v1
	s_delay_alu instid0(VALU_DEP_1) | instskip(SKIP_1) | instid1(SALU_CYCLE_1)
	v_cmp_le_u32_e64 s7, v23, v21
	s_and_b32 s6, s6, s7
	s_or_b32 s6, s10, s6
	s_delay_alu instid0(SALU_CYCLE_1) | instskip(SKIP_3) | instid1(VALU_DEP_4)
	v_cndmask_b32_e64 v15, v16, v15, s6
	v_lshl_add_u32 v16, v17, 3, v10
	v_lshl_add_u32 v17, v20, 3, v10
	v_cndmask_b32_e64 v37, v48, v49, s6
	v_lshl_add_u32 v20, v15, 3, v10
	ds_load_b64 v[14:15], v14 offset:4096
	ds_load_b64 v[22:23], v16 offset:4096
	;; [unrolled: 1-line block ×4, first 2 shown]
.LBB616_49:
	s_or_b32 exec_lo, exec_lo, s13
	v_and_b32_e32 v30, 0x60, v30
	; wave barrier
	ds_store_b32 v18, v38
	s_wait_dscnt 0x4
	ds_store_b64 v34, v[14:15]
	s_mov_b32 s4, exec_lo
	v_or_b32_e32 v25, 16, v30
	ds_store_b32 v31, v33
	s_wait_dscnt 0x5
	ds_store_b64 v29, v[22:23]
	ds_store_b32 v24, v32
	s_wait_dscnt 0x6
	ds_store_b64 v28, v[16:17]
	;; [unrolled: 3-line block ×3, first 2 shown]
	; wave barrier
	v_min_u32_e32 v27, v5, v25
	s_delay_alu instid0(VALU_DEP_1) | instskip(SKIP_1) | instid1(VALU_DEP_2)
	v_add_min_u32_e64 v26, v27, 16, v5
	v_min_u32_e32 v5, v5, v36
	v_dual_sub_nc_u32 v35, v27, v30 :: v_dual_sub_nc_u32 v25, v26, v27
	s_delay_alu instid0(VALU_DEP_1) | instskip(NEXT) | instid1(VALU_DEP_2)
	v_min_u32_e32 v35, v5, v35
	v_sub_nc_u32_e64 v34, v5, v25 clamp
	s_delay_alu instid0(VALU_DEP_1)
	v_cmpx_lt_u32_e64 v34, v35
	s_cbranch_execz .LBB616_53
; %bb.50:
	v_dual_mov_b32 v25, 0 :: v_dual_lshlrev_b32 v24, 2, v30
	s_mov_b32 s5, 0
	s_delay_alu instid0(VALU_DEP_1) | instskip(SKIP_1) | instid1(VALU_DEP_1)
	v_add_nc_u64_e32 v[18:19], v[12:13], v[24:25]
	v_lshlrev_b32_e32 v24, 2, v27
	v_add_nc_u64_e32 v[24:25], v[12:13], v[24:25]
.LBB616_51:                             ; =>This Inner Loop Header: Depth=1
	v_add_nc_u32_e32 v11, v35, v34
	s_delay_alu instid0(VALU_DEP_1) | instskip(NEXT) | instid1(VALU_DEP_1)
	v_lshrrev_b32_e32 v11, 1, v11
	v_xad_u32 v13, v11, -1, v5
	v_lshl_add_u32 v19, v11, 2, v18
	s_delay_alu instid0(VALU_DEP_2)
	v_lshl_add_u32 v13, v13, 2, v24
	ds_load_b32 v19, v19
	ds_load_b32 v13, v13
	s_wait_dscnt 0x1
	v_and_b32_e32 v19, v19, v1
	s_wait_dscnt 0x0
	v_and_b32_e32 v13, v13, v1
	s_delay_alu instid0(VALU_DEP_1) | instskip(NEXT) | instid1(VALU_DEP_1)
	v_cmp_gt_u32_e64 s3, v19, v13
	v_dual_add_nc_u32 v25, 1, v11 :: v_dual_cndmask_b32 v35, v35, v11, s3
	s_delay_alu instid0(VALU_DEP_1) | instskip(NEXT) | instid1(VALU_DEP_1)
	v_cndmask_b32_e64 v34, v25, v34, s3
	v_cmp_ge_u32_e64 s3, v34, v35
	s_or_b32 s5, s3, s5
	s_delay_alu instid0(SALU_CYCLE_1)
	s_and_not1_b32 exec_lo, exec_lo, s5
	s_cbranch_execnz .LBB616_51
; %bb.52:
	s_or_b32 exec_lo, exec_lo, s5
.LBB616_53:
	s_delay_alu instid0(SALU_CYCLE_1) | instskip(SKIP_1) | instid1(VALU_DEP_1)
	s_or_b32 exec_lo, exec_lo, s4
	v_dual_add_nc_u32 v5, v27, v5 :: v_dual_add_nc_u32 v18, v34, v30
	v_sub_nc_u32_e32 v13, v5, v34
	s_delay_alu instid0(VALU_DEP_2) | instskip(NEXT) | instid1(VALU_DEP_2)
	v_cmp_le_u32_e64 s3, v18, v27
	v_cmp_le_u32_e64 s4, v13, v26
	s_or_b32 s3, s3, s4
	s_delay_alu instid0(SALU_CYCLE_1)
	s_and_saveexec_b32 s13, s3
	s_cbranch_execz .LBB616_59
; %bb.54:
	v_cmp_lt_u32_e64 s3, v18, v27
                                        ; implicit-def: $vgpr5
	s_and_saveexec_b32 s4, s3
; %bb.55:
	v_lshl_add_u32 v5, v18, 2, v12
	ds_load_b32 v5, v5
; %bb.56:
	s_or_b32 exec_lo, exec_lo, s4
	v_cmp_ge_u32_e64 s4, v13, v26
	s_mov_b32 s6, exec_lo
                                        ; implicit-def: $vgpr11
	v_cmpx_lt_u32_e64 v13, v26
; %bb.57:
	v_lshl_add_u32 v11, v13, 2, v12
	ds_load_b32 v11, v11
; %bb.58:
	s_or_b32 exec_lo, exec_lo, s6
	s_wait_dscnt 0x0
	v_and_b32_e32 v14, v11, v1
	v_and_b32_e32 v15, v5, v1
	s_delay_alu instid0(VALU_DEP_1) | instskip(SKIP_1) | instid1(SALU_CYCLE_1)
	v_cmp_le_u32_e64 s5, v15, v14
	s_and_b32 s3, s3, s5
	s_or_b32 s3, s4, s3
	s_delay_alu instid0(SALU_CYCLE_1) | instskip(NEXT) | instid1(VALU_DEP_1)
	v_dual_cndmask_b32 v14, v13, v18, s3 :: v_dual_cndmask_b32 v15, v26, v27, s3
	v_add_nc_u32_e32 v16, 1, v14
	s_delay_alu instid0(VALU_DEP_1) | instskip(SKIP_1) | instid1(VALU_DEP_2)
	v_add_min_u32_e64 v15, v15, -1, v16
	v_cndmask_b32_e64 v13, v16, v13, s3
	v_lshl_add_u32 v15, v15, 2, v12
	s_delay_alu instid0(VALU_DEP_2) | instskip(SKIP_4) | instid1(VALU_DEP_2)
	v_cmp_ge_u32_e64 s6, v13, v26
	ds_load_b32 v15, v15
	s_wait_dscnt 0x0
	v_cndmask_b32_e64 v19, v15, v11, s3
	v_dual_cndmask_b32 v24, v5, v15, s3 :: v_dual_cndmask_b32 v15, v18, v16, s3
	v_and_b32_e32 v17, v19, v1
	s_delay_alu instid0(VALU_DEP_2) | instskip(NEXT) | instid1(VALU_DEP_3)
	v_and_b32_e32 v18, v24, v1
	v_cmp_lt_u32_e64 s4, v15, v27
	s_delay_alu instid0(VALU_DEP_2) | instskip(SKIP_1) | instid1(SALU_CYCLE_1)
	v_cmp_le_u32_e64 s5, v18, v17
	s_and_b32 s4, s4, s5
	s_or_b32 s4, s6, s4
	s_delay_alu instid0(SALU_CYCLE_1) | instskip(SKIP_1) | instid1(VALU_DEP_2)
	v_cndmask_b32_e64 v16, v13, v15, s4
	v_dual_cndmask_b32 v17, v26, v27, s4 :: v_dual_cndmask_b32 v33, v19, v24, s4
	v_add_nc_u32_e32 v18, 1, v16
	v_lshl_add_u32 v16, v16, 3, v10
	s_delay_alu instid0(VALU_DEP_2) | instskip(NEXT) | instid1(VALU_DEP_1)
	v_add_min_u32_e64 v17, v17, -1, v18
	v_lshl_add_u32 v17, v17, 2, v12
	ds_load_b32 v17, v17
	s_wait_dscnt 0x0
	v_dual_cndmask_b32 v25, v17, v19, s4 :: v_dual_cndmask_b32 v28, v24, v17, s4
	v_dual_cndmask_b32 v15, v15, v18, s4 :: v_dual_cndmask_b32 v13, v18, v13, s4
	s_delay_alu instid0(VALU_DEP_2) | instskip(NEXT) | instid1(VALU_DEP_3)
	v_and_b32_e32 v17, v25, v1
	v_and_b32_e32 v20, v28, v1
	s_delay_alu instid0(VALU_DEP_3) | instskip(NEXT) | instid1(VALU_DEP_4)
	v_cmp_lt_u32_e64 s5, v15, v27
	v_cmp_ge_u32_e64 s7, v13, v26
	s_delay_alu instid0(VALU_DEP_3) | instskip(SKIP_1) | instid1(SALU_CYCLE_1)
	v_cmp_le_u32_e64 s6, v20, v17
	s_and_b32 s5, s5, s6
	s_or_b32 s5, s7, s5
	s_delay_alu instid0(SALU_CYCLE_1) | instskip(SKIP_1) | instid1(VALU_DEP_2)
	v_cndmask_b32_e64 v17, v13, v15, s5
	v_dual_cndmask_b32 v18, v26, v27, s5 :: v_dual_cndmask_b32 v32, v25, v28, s5
	v_add_nc_u32_e32 v20, 1, v17
	v_lshl_add_u32 v17, v17, 3, v10
	s_delay_alu instid0(VALU_DEP_2) | instskip(SKIP_1) | instid1(VALU_DEP_2)
	v_add_min_u32_e64 v18, v18, -1, v20
	v_cndmask_b32_e64 v15, v15, v20, s5
	v_lshl_add_u32 v12, v18, 2, v12
	s_delay_alu instid0(VALU_DEP_2)
	v_cmp_lt_u32_e64 s6, v15, v27
	ds_load_b32 v12, v12
	s_wait_dscnt 0x0
	v_cndmask_b32_e64 v18, v12, v25, s5
	v_cndmask_b32_e64 v12, v28, v12, s5
	;; [unrolled: 1-line block ×3, first 2 shown]
	s_delay_alu instid0(VALU_DEP_3) | instskip(NEXT) | instid1(VALU_DEP_3)
	v_and_b32_e32 v21, v18, v1
	v_and_b32_e32 v1, v12, v1
	s_delay_alu instid0(VALU_DEP_3) | instskip(NEXT) | instid1(VALU_DEP_2)
	v_cmp_ge_u32_e64 s10, v13, v26
	v_cmp_le_u32_e64 s7, v1, v21
	s_and_b32 s6, s6, s7
	s_delay_alu instid0(SALU_CYCLE_1) | instskip(NEXT) | instid1(SALU_CYCLE_1)
	s_or_b32 s6, s10, s6
	v_dual_cndmask_b32 v38, v11, v5, s3 :: v_dual_cndmask_b32 v37, v18, v12, s6
	v_cndmask_b32_e64 v1, v13, v15, s6
	v_lshl_add_u32 v13, v14, 3, v10
	s_delay_alu instid0(VALU_DEP_2)
	v_lshl_add_u32 v1, v1, 3, v10
	ds_load_b64 v[14:15], v13 offset:4096
	ds_load_b64 v[22:23], v16 offset:4096
	;; [unrolled: 1-line block ×4, first 2 shown]
.LBB616_59:
	s_or_b32 exec_lo, exec_lo, s13
	; wave barrier
	s_wait_storecnt_dscnt 0x0
	s_barrier_signal -1
	s_barrier_wait -1
                                        ; implicit-def: $vgpr30
                                        ; implicit-def: $vgpr36
                                        ; implicit-def: $vgpr12_vgpr13
                                        ; implicit-def: $vgpr5
                                        ; implicit-def: $vgpr26
                                        ; implicit-def: $vgpr1
                                        ; implicit-def: $vgpr34_vgpr35
                                        ; implicit-def: $vgpr24_vgpr25
                                        ; implicit-def: $vgpr18_vgpr19
.LBB616_60:
	s_and_not1_saveexec_b32 s10, s12
	s_cbranch_execz .LBB616_96
; %bb.61:
	s_load_b64 s[4:5], s[8:9], 0x0
	s_bfe_u32 s6, ttmp6, 0x4000c
	s_bfe_u32 s12, ttmp6, 0x40010
	s_and_b32 s7, ttmp7, 0xffff
	s_add_co_i32 s6, s6, 1
	s_add_co_i32 s12, s12, 1
	s_and_b32 s3, ttmp6, 15
	s_bfe_u32 s13, ttmp6, 0x40004
	s_mul_i32 s6, ttmp9, s6
	s_mul_i32 s12, s7, s12
	s_add_co_i32 s3, s3, s6
	s_add_co_i32 s13, s13, s12
	s_cmp_eq_u32 s11, 0
	s_cselect_b32 s3, ttmp9, s3
	s_cselect_b32 s6, s7, s13
	s_wait_kmcnt 0x0
	s_cmp_lt_u32 s3, s4
	s_cselect_b32 s4, 12, 18
	s_cmp_lt_u32 s6, s5
	s_mov_b32 s5, 0
	s_cselect_b32 s6, 14, 20
	s_mov_b32 s7, s5
	s_add_nc_u64 s[4:5], s[8:9], s[4:5]
	s_add_nc_u64 s[6:7], s[8:9], s[6:7]
	s_clause 0x1
	s_load_u16 s4, s[4:5], 0x0
	s_nop 0
	s_load_u16 s3, s[6:7], 0x0
	s_wait_xcnt 0x0
	s_mov_b32 s6, exec_lo
	s_wait_kmcnt 0x0
	v_mad_u32_u24 v5, v26, s3, v5
	s_delay_alu instid0(VALU_DEP_1) | instskip(NEXT) | instid1(VALU_DEP_1)
	v_mul_lo_u32 v5, v5, s4
	v_add_lshl_u32 v1, v5, v1, 2
	s_delay_alu instid0(VALU_DEP_1)
	v_cmpx_gt_u32_e32 0x400, v1
	s_cbranch_execz .LBB616_65
; %bb.62:
	s_wait_loadcnt_dscnt 0x0
	v_cmp_gt_i32_e64 s3, v38, v33
	v_min_i32_e32 v5, v38, v33
	v_max_i32_e32 v16, v38, v33
	v_cmp_gt_i32_e64 s4, v32, v37
	s_mov_b32 s7, exec_lo
	v_dual_cndmask_b32 v17, v14, v18, s3 :: v_dual_cndmask_b32 v20, v15, v19, s3
	v_dual_cndmask_b32 v15, v19, v15, s3 :: v_dual_min_i32 v19, v32, v37
	v_dual_cndmask_b32 v14, v18, v14, s3 :: v_dual_cndmask_b32 v21, v25, v35, s4
	v_dual_cndmask_b32 v26, v34, v24, s4 :: v_dual_cndmask_b32 v22, v24, v34, s4
	s_delay_alu instid0(VALU_DEP_3) | instskip(SKIP_3) | instid1(VALU_DEP_4)
	v_cmp_gt_i32_e64 s5, v16, v19
	v_max_i32_e32 v10, v32, v37
	v_dual_cndmask_b32 v24, v35, v25, s4 :: v_dual_min_i32 v11, v16, v19
	v_cmp_lt_i32_e64 s3, v19, v5
	v_dual_cndmask_b32 v25, v22, v14, s5 :: v_dual_cndmask_b32 v23, v15, v21, s5
	v_dual_cndmask_b32 v19, v14, v22, s5 :: v_dual_max_i32 v18, v16, v19
	v_cndmask_b32_e64 v27, v21, v15, s5
	v_cmp_gt_i32_e64 s4, v16, v10
	s_delay_alu instid0(VALU_DEP_4) | instskip(NEXT) | instid1(VALU_DEP_4)
	v_dual_cndmask_b32 v33, v11, v5, s3 :: v_dual_cndmask_b32 v15, v20, v23, s3
	v_dual_cndmask_b32 v14, v17, v19, s3 :: v_dual_cndmask_b32 v23, v23, v20, s3
	s_delay_alu instid0(VALU_DEP_3) | instskip(SKIP_2) | instid1(VALU_DEP_3)
	v_dual_cndmask_b32 v22, v19, v17, s3 :: v_dual_cndmask_b32 v19, v18, v10, s4
	v_dual_cndmask_b32 v21, v24, v27, s4 :: v_dual_cndmask_b32 v20, v26, v25, s4
	;; [unrolled: 1-line block ×3, first 2 shown]
	v_mov_b32_e32 v32, v19
	v_cmpx_gt_i32_e64 v33, v19
; %bb.63:
	s_delay_alu instid0(VALU_DEP_3) | instskip(SKIP_2) | instid1(VALU_DEP_3)
	v_mov_b64_e32 v[24:25], v[16:17]
	v_mov_b64_e32 v[16:17], v[22:23]
	v_dual_mov_b32 v32, v33 :: v_dual_mov_b32 v33, v19
	v_mov_b64_e32 v[22:23], v[24:25]
; %bb.64:
	s_or_b32 exec_lo, exec_lo, s7
	v_dual_cndmask_b32 v38, v5, v11, s3 :: v_dual_cndmask_b32 v37, v10, v18, s4
.LBB616_65:
	s_or_b32 exec_lo, exec_lo, s6
	v_and_b32_e32 v18, 0xffffff80, v1
	v_dual_mov_b32 v19, 0 :: v_dual_bitop2_b32 v5, 4, v30 bitop3:0x54
	v_and_b32_e32 v48, 0x78, v30
	s_mov_b32 s4, exec_lo
	s_delay_alu instid0(VALU_DEP_3) | instskip(NEXT) | instid1(VALU_DEP_3)
	v_sub_nc_u32_e64 v1, 0x400, v18 clamp
	v_lshlrev_b64_e32 v[10:11], 2, v[18:19]
	s_delay_alu instid0(VALU_DEP_2) | instskip(SKIP_1) | instid1(VALU_DEP_3)
	v_min_u32_e32 v35, v1, v5
	v_and_b32_e32 v5, 4, v30
	v_add_nc_u64_e32 v[12:13], v[12:13], v[10:11]
	s_delay_alu instid0(VALU_DEP_3) | instskip(NEXT) | instid1(VALU_DEP_2)
	v_add_min_u32_e64 v39, v35, 4, v1
	v_add_nc_u64_e32 v[10:11], v[12:13], v[10:11]
	v_sub_nc_u32_e32 v11, v35, v48
	v_min_u32_e32 v49, v1, v5
	s_delay_alu instid0(VALU_DEP_4) | instskip(SKIP_1) | instid1(VALU_DEP_3)
	v_sub_nc_u32_e32 v18, v39, v35
	v_lshl_add_u32 v5, v30, 2, v12
	v_min_u32_e32 v11, v49, v11
	v_lshl_add_u32 v26, v30, 3, v10
	s_delay_alu instid0(VALU_DEP_4) | instskip(NEXT) | instid1(VALU_DEP_2)
	v_sub_nc_u32_e64 v50, v49, v18 clamp
	v_add_nc_u32_e32 v18, 0x1000, v26
	s_wait_loadcnt_dscnt 0x0
	ds_store_2addr_b32 v5, v38, v33 offset1:1
	ds_store_2addr_b32 v5, v32, v37 offset0:2 offset1:3
	ds_store_2addr_b64 v18, v[14:15], v[22:23] offset1:1
	ds_store_2addr_b64 v18, v[16:17], v[20:21] offset0:2 offset1:3
	; wave barrier
	v_cmpx_lt_u32_e64 v50, v11
	s_cbranch_execz .LBB616_69
; %bb.66:
	v_lshlrev_b32_e32 v18, 2, v48
	s_mov_b32 s5, 0
	s_delay_alu instid0(VALU_DEP_1) | instskip(SKIP_1) | instid1(VALU_DEP_1)
	v_add_nc_u64_e32 v[24:25], v[12:13], v[18:19]
	v_lshlrev_b32_e32 v18, 2, v35
	v_add_nc_u64_e32 v[18:19], v[12:13], v[18:19]
.LBB616_67:                             ; =>This Inner Loop Header: Depth=1
	v_add_nc_u32_e32 v19, v11, v50
	s_delay_alu instid0(VALU_DEP_1) | instskip(NEXT) | instid1(VALU_DEP_1)
	v_lshrrev_b32_e32 v19, 1, v19
	v_xad_u32 v25, v19, -1, v49
	v_lshl_add_u32 v27, v19, 2, v24
	s_delay_alu instid0(VALU_DEP_2) | instskip(SKIP_4) | instid1(VALU_DEP_1)
	v_lshl_add_u32 v25, v25, 2, v18
	ds_load_b32 v27, v27
	ds_load_b32 v25, v25
	s_wait_dscnt 0x0
	v_cmp_gt_i32_e64 s3, v27, v25
	v_dual_add_nc_u32 v28, 1, v19 :: v_dual_cndmask_b32 v11, v11, v19, s3
	s_delay_alu instid0(VALU_DEP_1) | instskip(NEXT) | instid1(VALU_DEP_1)
	v_cndmask_b32_e64 v50, v28, v50, s3
	v_cmp_ge_u32_e64 s3, v50, v11
	s_or_b32 s5, s3, s5
	s_delay_alu instid0(SALU_CYCLE_1)
	s_and_not1_b32 exec_lo, exec_lo, s5
	s_cbranch_execnz .LBB616_67
; %bb.68:
	s_or_b32 exec_lo, exec_lo, s5
.LBB616_69:
	s_delay_alu instid0(SALU_CYCLE_1) | instskip(SKIP_4) | instid1(VALU_DEP_4)
	s_or_b32 exec_lo, exec_lo, s4
	v_add_nc_u32_e32 v18, v35, v49
	v_dual_add_nc_u32 v11, 12, v5 :: v_dual_add_nc_u32 v25, v50, v48
	v_add_nc_u32_e32 v34, 0x1000, v26
	v_dual_add_nc_u32 v27, 4, v5 :: v_dual_add_nc_u32 v29, 8, v5
	v_sub_nc_u32_e32 v24, v18, v50
	s_delay_alu instid0(VALU_DEP_4)
	v_cmp_le_u32_e64 s3, v25, v35
	v_add_nc_u32_e32 v28, 0x1008, v26
	v_add_nc_u32_e32 v31, 0x1010, v26
	;; [unrolled: 1-line block ×3, first 2 shown]
	v_cmp_le_u32_e64 s4, v24, v39
	s_or_b32 s3, s3, s4
	s_delay_alu instid0(SALU_CYCLE_1)
	s_and_saveexec_b32 s9, s3
	s_cbranch_execz .LBB616_75
; %bb.70:
	v_cmp_lt_u32_e64 s3, v25, v35
                                        ; implicit-def: $vgpr18
	s_and_saveexec_b32 s4, s3
; %bb.71:
	v_lshl_add_u32 v14, v25, 2, v12
	ds_load_b32 v18, v14
; %bb.72:
	s_or_b32 exec_lo, exec_lo, s4
	v_cmp_ge_u32_e64 s4, v24, v39
	s_mov_b32 s6, exec_lo
                                        ; implicit-def: $vgpr19
	v_cmpx_lt_u32_e64 v24, v39
; %bb.73:
	v_lshl_add_u32 v14, v24, 2, v12
	ds_load_b32 v19, v14
; %bb.74:
	s_or_b32 exec_lo, exec_lo, s6
	s_wait_dscnt 0x0
	v_cmp_le_i32_e64 s5, v18, v19
	s_and_b32 s3, s3, s5
	s_delay_alu instid0(SALU_CYCLE_1) | instskip(NEXT) | instid1(SALU_CYCLE_1)
	s_or_b32 s3, s4, s3
	v_dual_cndmask_b32 v14, v24, v25, s3 :: v_dual_cndmask_b32 v15, v39, v35, s3
	v_cndmask_b32_e64 v38, v19, v18, s3
	s_delay_alu instid0(VALU_DEP_2) | instskip(SKIP_1) | instid1(VALU_DEP_2)
	v_add_nc_u32_e32 v16, 1, v14
	v_lshl_add_u32 v14, v14, 3, v10
	v_add_min_u32_e64 v15, v15, -1, v16
	s_delay_alu instid0(VALU_DEP_1) | instskip(SKIP_4) | instid1(VALU_DEP_2)
	v_lshl_add_u32 v15, v15, 2, v12
	ds_load_b32 v15, v15
	s_wait_dscnt 0x0
	v_dual_cndmask_b32 v17, v25, v16, s3 :: v_dual_cndmask_b32 v32, v18, v15, s3
	v_dual_cndmask_b32 v25, v15, v19, s3 :: v_dual_cndmask_b32 v15, v16, v24, s3
	v_cmp_lt_u32_e64 s4, v17, v35
	s_delay_alu instid0(VALU_DEP_2) | instskip(NEXT) | instid1(VALU_DEP_3)
	v_cmp_le_i32_e64 s5, v32, v25
	v_cmp_ge_u32_e64 s6, v15, v39
	s_and_b32 s4, s4, s5
	s_delay_alu instid0(SALU_CYCLE_1) | instskip(NEXT) | instid1(SALU_CYCLE_1)
	s_or_b32 s4, s6, s4
	v_cndmask_b32_e64 v20, v39, v35, s4
	v_dual_cndmask_b32 v16, v15, v17, s4 :: v_dual_cndmask_b32 v33, v25, v32, s4
	s_delay_alu instid0(VALU_DEP_1) | instskip(NEXT) | instid1(VALU_DEP_1)
	v_add_nc_u32_e32 v21, 1, v16
	v_add_min_u32_e64 v20, v20, -1, v21
	s_delay_alu instid0(VALU_DEP_1)
	v_lshl_add_u32 v20, v20, 2, v12
	ds_load_b32 v20, v20
	s_wait_dscnt 0x0
	v_cndmask_b32_e64 v24, v20, v25, s4
	v_dual_cndmask_b32 v17, v17, v21, s4 :: v_dual_cndmask_b32 v37, v32, v20, s4
	v_cndmask_b32_e64 v15, v21, v15, s4
	v_lshl_add_u32 v16, v16, 3, v10
	s_delay_alu instid0(VALU_DEP_3) | instskip(NEXT) | instid1(VALU_DEP_4)
	v_cmp_lt_u32_e64 s5, v17, v35
	v_cmp_le_i32_e64 s6, v37, v24
	s_delay_alu instid0(VALU_DEP_4) | instskip(SKIP_1) | instid1(SALU_CYCLE_1)
	v_cmp_ge_u32_e64 s7, v15, v39
	s_and_b32 s5, s5, s6
	s_or_b32 s5, s7, s5
	s_delay_alu instid0(SALU_CYCLE_1) | instskip(SKIP_1) | instid1(VALU_DEP_1)
	v_cndmask_b32_e64 v21, v39, v35, s5
	v_cndmask_b32_e64 v20, v15, v17, s5
	v_dual_cndmask_b32 v32, v24, v37, s5 :: v_dual_add_nc_u32 v22, 1, v20
	s_delay_alu instid0(VALU_DEP_1) | instskip(SKIP_1) | instid1(VALU_DEP_2)
	v_add_min_u32_e64 v21, v21, -1, v22
	v_dual_cndmask_b32 v17, v17, v22, s5 :: v_dual_cndmask_b32 v15, v22, v15, s5
	v_lshl_add_u32 v21, v21, 2, v12
	s_delay_alu instid0(VALU_DEP_2) | instskip(NEXT) | instid1(VALU_DEP_3)
	v_cmp_lt_u32_e64 s6, v17, v35
	v_cmp_ge_u32_e64 s8, v15, v39
	ds_load_b32 v21, v21
	s_wait_dscnt 0x0
	v_cndmask_b32_e64 v48, v21, v24, s5
	v_cndmask_b32_e64 v49, v37, v21, s5
	s_delay_alu instid0(VALU_DEP_1) | instskip(SKIP_1) | instid1(SALU_CYCLE_1)
	v_cmp_le_i32_e64 s7, v49, v48
	s_and_b32 s6, s6, s7
	s_or_b32 s6, s8, s6
	s_delay_alu instid0(SALU_CYCLE_1) | instskip(SKIP_2) | instid1(VALU_DEP_3)
	v_cndmask_b32_e64 v15, v15, v17, s6
	v_lshl_add_u32 v17, v20, 3, v10
	v_cndmask_b32_e64 v37, v48, v49, s6
	v_lshl_add_u32 v20, v15, 3, v10
	ds_load_b64 v[14:15], v14 offset:4096
	ds_load_b64 v[22:23], v16 offset:4096
	;; [unrolled: 1-line block ×4, first 2 shown]
.LBB616_75:
	s_or_b32 exec_lo, exec_lo, s9
	v_and_b32_e32 v48, 0x70, v30
	s_mov_b32 s4, exec_lo
	; wave barrier
	ds_store_b32 v5, v38
	s_wait_dscnt 0x4
	ds_store_b64 v34, v[14:15]
	v_or_b32_e32 v18, 8, v48
	ds_store_b32 v27, v33
	s_wait_dscnt 0x5
	ds_store_b64 v28, v[22:23]
	ds_store_b32 v29, v32
	s_wait_dscnt 0x6
	ds_store_b64 v31, v[16:17]
	;; [unrolled: 3-line block ×3, first 2 shown]
	; wave barrier
	v_min_u32_e32 v35, v1, v18
	v_and_b32_e32 v18, 12, v30
	s_delay_alu instid0(VALU_DEP_2) | instskip(NEXT) | instid1(VALU_DEP_2)
	v_add_min_u32_e64 v39, v35, 8, v1
	v_min_u32_e32 v49, v1, v18
	v_sub_nc_u32_e32 v19, v35, v48
	s_delay_alu instid0(VALU_DEP_3) | instskip(NEXT) | instid1(VALU_DEP_2)
	v_sub_nc_u32_e32 v18, v39, v35
	v_min_u32_e32 v51, v49, v19
	s_delay_alu instid0(VALU_DEP_2) | instskip(NEXT) | instid1(VALU_DEP_1)
	v_sub_nc_u32_e64 v50, v49, v18 clamp
	v_cmpx_lt_u32_e64 v50, v51
	s_cbranch_execz .LBB616_79
; %bb.76:
	v_dual_mov_b32 v25, 0 :: v_dual_lshlrev_b32 v24, 2, v48
	s_mov_b32 s5, 0
	s_delay_alu instid0(VALU_DEP_1) | instskip(SKIP_1) | instid1(VALU_DEP_1)
	v_add_nc_u64_e32 v[18:19], v[12:13], v[24:25]
	v_lshlrev_b32_e32 v24, 2, v35
	v_add_nc_u64_e32 v[24:25], v[12:13], v[24:25]
.LBB616_77:                             ; =>This Inner Loop Header: Depth=1
	v_add_nc_u32_e32 v19, v51, v50
	s_delay_alu instid0(VALU_DEP_1) | instskip(NEXT) | instid1(VALU_DEP_1)
	v_lshrrev_b32_e32 v19, 1, v19
	v_xad_u32 v25, v19, -1, v49
	v_lshl_add_u32 v52, v19, 2, v18
	s_delay_alu instid0(VALU_DEP_2) | instskip(SKIP_4) | instid1(VALU_DEP_1)
	v_lshl_add_u32 v25, v25, 2, v24
	ds_load_b32 v52, v52
	ds_load_b32 v25, v25
	s_wait_dscnt 0x0
	v_cmp_gt_i32_e64 s3, v52, v25
	v_dual_add_nc_u32 v53, 1, v19 :: v_dual_cndmask_b32 v51, v51, v19, s3
	s_delay_alu instid0(VALU_DEP_1) | instskip(NEXT) | instid1(VALU_DEP_1)
	v_cndmask_b32_e64 v50, v53, v50, s3
	v_cmp_ge_u32_e64 s3, v50, v51
	s_or_b32 s5, s3, s5
	s_delay_alu instid0(SALU_CYCLE_1)
	s_and_not1_b32 exec_lo, exec_lo, s5
	s_cbranch_execnz .LBB616_77
; %bb.78:
	s_or_b32 exec_lo, exec_lo, s5
.LBB616_79:
	s_delay_alu instid0(SALU_CYCLE_1) | instskip(SKIP_1) | instid1(VALU_DEP_1)
	s_or_b32 exec_lo, exec_lo, s4
	v_dual_add_nc_u32 v18, v35, v49 :: v_dual_add_nc_u32 v25, v50, v48
	v_sub_nc_u32_e32 v24, v18, v50
	s_delay_alu instid0(VALU_DEP_2) | instskip(NEXT) | instid1(VALU_DEP_2)
	v_cmp_le_u32_e64 s3, v25, v35
	v_cmp_le_u32_e64 s4, v24, v39
	s_or_b32 s3, s3, s4
	s_delay_alu instid0(SALU_CYCLE_1)
	s_and_saveexec_b32 s9, s3
	s_cbranch_execz .LBB616_85
; %bb.80:
	v_cmp_lt_u32_e64 s3, v25, v35
                                        ; implicit-def: $vgpr18
	s_and_saveexec_b32 s4, s3
; %bb.81:
	v_lshl_add_u32 v14, v25, 2, v12
	ds_load_b32 v18, v14
; %bb.82:
	s_or_b32 exec_lo, exec_lo, s4
	v_cmp_ge_u32_e64 s4, v24, v39
	s_mov_b32 s6, exec_lo
                                        ; implicit-def: $vgpr19
	v_cmpx_lt_u32_e64 v24, v39
; %bb.83:
	v_lshl_add_u32 v14, v24, 2, v12
	ds_load_b32 v19, v14
; %bb.84:
	s_or_b32 exec_lo, exec_lo, s6
	s_wait_dscnt 0x0
	v_cmp_le_i32_e64 s5, v18, v19
	s_and_b32 s3, s3, s5
	s_delay_alu instid0(SALU_CYCLE_1) | instskip(NEXT) | instid1(SALU_CYCLE_1)
	s_or_b32 s3, s4, s3
	v_dual_cndmask_b32 v14, v24, v25, s3 :: v_dual_cndmask_b32 v15, v39, v35, s3
	v_cndmask_b32_e64 v38, v19, v18, s3
	s_delay_alu instid0(VALU_DEP_2) | instskip(SKIP_1) | instid1(VALU_DEP_2)
	v_add_nc_u32_e32 v16, 1, v14
	v_lshl_add_u32 v14, v14, 3, v10
	v_add_min_u32_e64 v15, v15, -1, v16
	s_delay_alu instid0(VALU_DEP_1) | instskip(SKIP_4) | instid1(VALU_DEP_2)
	v_lshl_add_u32 v15, v15, 2, v12
	ds_load_b32 v15, v15
	s_wait_dscnt 0x0
	v_dual_cndmask_b32 v17, v25, v16, s3 :: v_dual_cndmask_b32 v32, v18, v15, s3
	v_dual_cndmask_b32 v25, v15, v19, s3 :: v_dual_cndmask_b32 v15, v16, v24, s3
	v_cmp_lt_u32_e64 s4, v17, v35
	s_delay_alu instid0(VALU_DEP_2) | instskip(NEXT) | instid1(VALU_DEP_3)
	v_cmp_le_i32_e64 s5, v32, v25
	v_cmp_ge_u32_e64 s6, v15, v39
	s_and_b32 s4, s4, s5
	s_delay_alu instid0(SALU_CYCLE_1) | instskip(NEXT) | instid1(SALU_CYCLE_1)
	s_or_b32 s4, s6, s4
	v_cndmask_b32_e64 v20, v39, v35, s4
	v_dual_cndmask_b32 v16, v15, v17, s4 :: v_dual_cndmask_b32 v33, v25, v32, s4
	s_delay_alu instid0(VALU_DEP_1) | instskip(NEXT) | instid1(VALU_DEP_1)
	v_add_nc_u32_e32 v21, 1, v16
	v_add_min_u32_e64 v20, v20, -1, v21
	s_delay_alu instid0(VALU_DEP_1)
	v_lshl_add_u32 v20, v20, 2, v12
	ds_load_b32 v20, v20
	s_wait_dscnt 0x0
	v_cndmask_b32_e64 v24, v20, v25, s4
	v_dual_cndmask_b32 v17, v17, v21, s4 :: v_dual_cndmask_b32 v37, v32, v20, s4
	v_cndmask_b32_e64 v15, v21, v15, s4
	v_lshl_add_u32 v16, v16, 3, v10
	s_delay_alu instid0(VALU_DEP_3) | instskip(NEXT) | instid1(VALU_DEP_4)
	v_cmp_lt_u32_e64 s5, v17, v35
	v_cmp_le_i32_e64 s6, v37, v24
	s_delay_alu instid0(VALU_DEP_4) | instskip(SKIP_1) | instid1(SALU_CYCLE_1)
	v_cmp_ge_u32_e64 s7, v15, v39
	s_and_b32 s5, s5, s6
	s_or_b32 s5, s7, s5
	s_delay_alu instid0(SALU_CYCLE_1) | instskip(SKIP_1) | instid1(VALU_DEP_1)
	v_cndmask_b32_e64 v21, v39, v35, s5
	v_cndmask_b32_e64 v20, v15, v17, s5
	v_dual_cndmask_b32 v32, v24, v37, s5 :: v_dual_add_nc_u32 v22, 1, v20
	s_delay_alu instid0(VALU_DEP_1) | instskip(SKIP_1) | instid1(VALU_DEP_2)
	v_add_min_u32_e64 v21, v21, -1, v22
	v_dual_cndmask_b32 v17, v17, v22, s5 :: v_dual_cndmask_b32 v15, v22, v15, s5
	v_lshl_add_u32 v21, v21, 2, v12
	s_delay_alu instid0(VALU_DEP_2) | instskip(NEXT) | instid1(VALU_DEP_3)
	v_cmp_lt_u32_e64 s6, v17, v35
	v_cmp_ge_u32_e64 s8, v15, v39
	ds_load_b32 v21, v21
	s_wait_dscnt 0x0
	v_cndmask_b32_e64 v48, v21, v24, s5
	v_cndmask_b32_e64 v49, v37, v21, s5
	s_delay_alu instid0(VALU_DEP_1) | instskip(SKIP_1) | instid1(SALU_CYCLE_1)
	v_cmp_le_i32_e64 s7, v49, v48
	s_and_b32 s6, s6, s7
	s_or_b32 s6, s8, s6
	s_delay_alu instid0(SALU_CYCLE_1) | instskip(SKIP_2) | instid1(VALU_DEP_3)
	v_cndmask_b32_e64 v15, v15, v17, s6
	v_lshl_add_u32 v17, v20, 3, v10
	v_cndmask_b32_e64 v37, v48, v49, s6
	v_lshl_add_u32 v20, v15, 3, v10
	ds_load_b64 v[14:15], v14 offset:4096
	ds_load_b64 v[22:23], v16 offset:4096
	;; [unrolled: 1-line block ×4, first 2 shown]
.LBB616_85:
	s_or_b32 exec_lo, exec_lo, s9
	v_and_b32_e32 v39, 0x60, v30
	; wave barrier
	ds_store_b32 v5, v38
	s_wait_dscnt 0x4
	ds_store_b64 v34, v[14:15]
	s_mov_b32 s4, exec_lo
	v_or_b32_e32 v18, 16, v39
	ds_store_b32 v27, v33
	s_wait_dscnt 0x5
	ds_store_b64 v28, v[22:23]
	ds_store_b32 v29, v32
	s_wait_dscnt 0x6
	ds_store_b64 v31, v[16:17]
	;; [unrolled: 3-line block ×3, first 2 shown]
	; wave barrier
	v_min_u32_e32 v35, v1, v18
	s_delay_alu instid0(VALU_DEP_1) | instskip(SKIP_2) | instid1(VALU_DEP_3)
	v_add_min_u32_e64 v30, v35, 16, v1
	v_min_u32_e32 v1, v1, v36
	v_sub_nc_u32_e32 v19, v35, v39
	v_sub_nc_u32_e32 v18, v30, v35
	s_delay_alu instid0(VALU_DEP_2) | instskip(NEXT) | instid1(VALU_DEP_2)
	v_min_u32_e32 v34, v1, v19
	v_sub_nc_u32_e64 v5, v1, v18 clamp
	s_delay_alu instid0(VALU_DEP_1)
	v_cmpx_lt_u32_e64 v5, v34
	s_cbranch_execz .LBB616_89
; %bb.86:
	v_dual_mov_b32 v25, 0 :: v_dual_lshlrev_b32 v24, 2, v39
	s_mov_b32 s5, 0
	s_delay_alu instid0(VALU_DEP_1) | instskip(SKIP_1) | instid1(VALU_DEP_1)
	v_add_nc_u64_e32 v[18:19], v[12:13], v[24:25]
	v_lshlrev_b32_e32 v24, 2, v35
	v_add_nc_u64_e32 v[24:25], v[12:13], v[24:25]
.LBB616_87:                             ; =>This Inner Loop Header: Depth=1
	v_add_nc_u32_e32 v11, v34, v5
	s_delay_alu instid0(VALU_DEP_1) | instskip(NEXT) | instid1(VALU_DEP_1)
	v_lshrrev_b32_e32 v11, 1, v11
	v_xad_u32 v13, v11, -1, v1
	v_lshl_add_u32 v19, v11, 2, v18
	s_delay_alu instid0(VALU_DEP_2) | instskip(SKIP_4) | instid1(VALU_DEP_1)
	v_lshl_add_u32 v13, v13, 2, v24
	ds_load_b32 v19, v19
	ds_load_b32 v13, v13
	s_wait_dscnt 0x0
	v_cmp_gt_i32_e64 s3, v19, v13
	v_dual_add_nc_u32 v25, 1, v11 :: v_dual_cndmask_b32 v34, v34, v11, s3
	s_delay_alu instid0(VALU_DEP_1) | instskip(NEXT) | instid1(VALU_DEP_1)
	v_cndmask_b32_e64 v5, v25, v5, s3
	v_cmp_ge_u32_e64 s3, v5, v34
	s_or_b32 s5, s3, s5
	s_delay_alu instid0(SALU_CYCLE_1)
	s_and_not1_b32 exec_lo, exec_lo, s5
	s_cbranch_execnz .LBB616_87
; %bb.88:
	s_or_b32 exec_lo, exec_lo, s5
.LBB616_89:
	s_delay_alu instid0(SALU_CYCLE_1) | instskip(SKIP_1) | instid1(VALU_DEP_1)
	s_or_b32 exec_lo, exec_lo, s4
	v_dual_add_nc_u32 v1, v35, v1 :: v_dual_add_nc_u32 v13, v5, v39
	v_sub_nc_u32_e32 v11, v1, v5
	s_delay_alu instid0(VALU_DEP_2) | instskip(NEXT) | instid1(VALU_DEP_2)
	v_cmp_le_u32_e64 s3, v13, v35
	v_cmp_le_u32_e64 s4, v11, v30
	s_or_b32 s3, s3, s4
	s_delay_alu instid0(SALU_CYCLE_1)
	s_and_saveexec_b32 s9, s3
	s_cbranch_execz .LBB616_95
; %bb.90:
	v_cmp_lt_u32_e64 s3, v13, v35
                                        ; implicit-def: $vgpr1
	s_and_saveexec_b32 s4, s3
; %bb.91:
	v_lshl_add_u32 v1, v13, 2, v12
	ds_load_b32 v1, v1
; %bb.92:
	s_or_b32 exec_lo, exec_lo, s4
	v_cmp_ge_u32_e64 s4, v11, v30
	s_mov_b32 s6, exec_lo
                                        ; implicit-def: $vgpr5
	v_cmpx_lt_u32_e64 v11, v30
; %bb.93:
	v_lshl_add_u32 v5, v11, 2, v12
	ds_load_b32 v5, v5
; %bb.94:
	s_or_b32 exec_lo, exec_lo, s6
	s_wait_dscnt 0x0
	v_cmp_le_i32_e64 s5, v1, v5
	s_and_b32 s3, s3, s5
	s_delay_alu instid0(SALU_CYCLE_1) | instskip(NEXT) | instid1(SALU_CYCLE_1)
	s_or_b32 s3, s4, s3
	v_dual_cndmask_b32 v14, v11, v13, s3 :: v_dual_cndmask_b32 v15, v30, v35, s3
	s_delay_alu instid0(VALU_DEP_1) | instskip(NEXT) | instid1(VALU_DEP_1)
	v_dual_cndmask_b32 v38, v5, v1, s3 :: v_dual_add_nc_u32 v16, 1, v14
	v_add_min_u32_e64 v15, v15, -1, v16
	s_delay_alu instid0(VALU_DEP_1)
	v_lshl_add_u32 v15, v15, 2, v12
	ds_load_b32 v15, v15
	s_wait_dscnt 0x0
	v_dual_cndmask_b32 v18, v15, v5, s3 :: v_dual_cndmask_b32 v13, v13, v16, s3
	v_cndmask_b32_e64 v11, v16, v11, s3
	v_cndmask_b32_e64 v19, v1, v15, s3
	s_delay_alu instid0(VALU_DEP_3) | instskip(NEXT) | instid1(VALU_DEP_3)
	v_cmp_lt_u32_e64 s4, v13, v35
	v_cmp_ge_u32_e64 s6, v11, v30
	s_delay_alu instid0(VALU_DEP_3) | instskip(SKIP_1) | instid1(SALU_CYCLE_1)
	v_cmp_le_i32_e64 s5, v19, v18
	s_and_b32 s4, s4, s5
	s_or_b32 s4, s6, s4
	s_delay_alu instid0(SALU_CYCLE_1) | instskip(NEXT) | instid1(VALU_DEP_1)
	v_dual_cndmask_b32 v15, v11, v13, s4 :: v_dual_cndmask_b32 v33, v18, v19, s4
	v_add_nc_u32_e32 v17, 1, v15
	s_delay_alu instid0(VALU_DEP_1) | instskip(NEXT) | instid1(VALU_DEP_1)
	v_dual_cndmask_b32 v16, v30, v35, s4 :: v_dual_cndmask_b32 v13, v13, v17, s4
	v_add_min_u32_e64 v16, v16, -1, v17
	s_delay_alu instid0(VALU_DEP_2) | instskip(NEXT) | instid1(VALU_DEP_2)
	v_cmp_lt_u32_e64 s5, v13, v35
	v_lshl_add_u32 v16, v16, 2, v12
	ds_load_b32 v16, v16
	s_wait_dscnt 0x0
	v_dual_cndmask_b32 v24, v16, v18, s4 :: v_dual_cndmask_b32 v25, v19, v16, s4
	v_cndmask_b32_e64 v11, v17, v11, s4
	s_delay_alu instid0(VALU_DEP_2) | instskip(NEXT) | instid1(VALU_DEP_2)
	v_cmp_le_i32_e64 s6, v25, v24
	v_cmp_ge_u32_e64 s7, v11, v30
	s_and_b32 s5, s5, s6
	s_delay_alu instid0(SALU_CYCLE_1) | instskip(NEXT) | instid1(SALU_CYCLE_1)
	s_or_b32 s5, s7, s5
	v_dual_cndmask_b32 v16, v11, v13, s5 :: v_dual_cndmask_b32 v17, v30, v35, s5
	s_delay_alu instid0(VALU_DEP_1) | instskip(SKIP_1) | instid1(VALU_DEP_2)
	v_add_nc_u32_e32 v20, 1, v16
	v_lshl_add_u32 v16, v16, 3, v10
	v_add_min_u32_e64 v17, v17, -1, v20
	v_dual_cndmask_b32 v13, v13, v20, s5 :: v_dual_cndmask_b32 v11, v20, v11, s5
	s_delay_alu instid0(VALU_DEP_2) | instskip(NEXT) | instid1(VALU_DEP_2)
	v_lshl_add_u32 v12, v17, 2, v12
	v_cmp_lt_u32_e64 s6, v13, v35
	s_delay_alu instid0(VALU_DEP_3)
	v_cmp_ge_u32_e64 s8, v11, v30
	v_lshl_add_u32 v17, v15, 3, v10
	ds_load_b32 v12, v12
	s_wait_dscnt 0x0
	v_cndmask_b32_e64 v26, v12, v24, s5
	v_cndmask_b32_e64 v12, v25, v12, s5
	s_delay_alu instid0(VALU_DEP_1) | instskip(SKIP_1) | instid1(SALU_CYCLE_1)
	v_cmp_le_i32_e64 s7, v12, v26
	s_and_b32 s6, s6, s7
	s_or_b32 s6, s8, s6
	s_delay_alu instid0(SALU_CYCLE_1) | instskip(SKIP_2) | instid1(VALU_DEP_2)
	v_dual_cndmask_b32 v32, v24, v25, s5 :: v_dual_cndmask_b32 v37, v26, v12, s6
	v_cndmask_b32_e64 v11, v11, v13, s6
	v_lshl_add_u32 v13, v14, 3, v10
	v_lshl_add_u32 v10, v11, 3, v10
	ds_load_b64 v[14:15], v13 offset:4096
	ds_load_b64 v[22:23], v17 offset:4096
	;; [unrolled: 1-line block ×4, first 2 shown]
.LBB616_95:
	s_or_b32 exec_lo, exec_lo, s9
	; wave barrier
	s_wait_storecnt_dscnt 0x0
	s_barrier_signal -1
	s_barrier_wait -1
.LBB616_96:
	s_or_b32 exec_lo, exec_lo, s10
	v_lshl_add_u64 v[2:3], v[8:9], 2, v[2:3]
	v_mov_b32_e32 v1, 0
	s_wait_storecnt 0x0
	; wave barrier
	s_wait_loadcnt_dscnt 0x0
	s_delay_alu instid0(VALU_DEP_1)
	v_add_nc_u64_e32 v[0:1], v[2:3], v[0:1]
	s_and_saveexec_b32 s3, vcc_lo
	s_cbranch_execnz .LBB616_106
; %bb.97:
	s_or_b32 exec_lo, exec_lo, s3
	s_and_saveexec_b32 s3, s0
	s_cbranch_execnz .LBB616_107
.LBB616_98:
	s_or_b32 exec_lo, exec_lo, s3
	s_and_saveexec_b32 s3, s1
	s_cbranch_execnz .LBB616_108
.LBB616_99:
	s_or_b32 exec_lo, exec_lo, s3
	s_and_saveexec_b32 s3, s2
	s_cbranch_execz .LBB616_101
.LBB616_100:
	flat_store_b32 v[0:1], v37 offset:12
.LBB616_101:
	s_wait_xcnt 0x0
	s_or_b32 exec_lo, exec_lo, s3
	v_lshl_add_u64 v[0:1], v[8:9], 3, v[6:7]
	v_mov_b32_e32 v5, 0
	; wave barrier
	s_delay_alu instid0(VALU_DEP_1)
	v_add_nc_u64_e32 v[0:1], v[0:1], v[4:5]
	s_and_saveexec_b32 s3, vcc_lo
	s_cbranch_execnz .LBB616_109
; %bb.102:
	s_or_b32 exec_lo, exec_lo, s3
	s_and_saveexec_b32 s3, s0
	s_cbranch_execnz .LBB616_110
.LBB616_103:
	s_or_b32 exec_lo, exec_lo, s3
	s_and_saveexec_b32 s0, s1
	s_cbranch_execnz .LBB616_111
.LBB616_104:
	s_or_b32 exec_lo, exec_lo, s0
	s_and_saveexec_b32 s0, s2
	s_cbranch_execnz .LBB616_112
.LBB616_105:
	s_or_b32 exec_lo, exec_lo, s0
	s_wait_dscnt 0x0
	s_set_pc_i64 s[30:31]
.LBB616_106:
	flat_store_b32 v[0:1], v38
	s_wait_xcnt 0x0
	s_or_b32 exec_lo, exec_lo, s3
	s_and_saveexec_b32 s3, s0
	s_cbranch_execz .LBB616_98
.LBB616_107:
	flat_store_b32 v[0:1], v33 offset:4
	s_wait_xcnt 0x0
	s_or_b32 exec_lo, exec_lo, s3
	s_and_saveexec_b32 s3, s1
	s_cbranch_execz .LBB616_99
.LBB616_108:
	flat_store_b32 v[0:1], v32 offset:8
	s_wait_xcnt 0x0
	s_or_b32 exec_lo, exec_lo, s3
	s_and_saveexec_b32 s3, s2
	s_cbranch_execnz .LBB616_100
	s_branch .LBB616_101
.LBB616_109:
	flat_store_b64 v[0:1], v[14:15]
	s_wait_xcnt 0x0
	s_or_b32 exec_lo, exec_lo, s3
	s_and_saveexec_b32 s3, s0
	s_cbranch_execz .LBB616_103
.LBB616_110:
	flat_store_b64 v[0:1], v[22:23] offset:8
	s_wait_xcnt 0x0
	s_or_b32 exec_lo, exec_lo, s3
	s_and_saveexec_b32 s0, s1
	s_cbranch_execz .LBB616_104
.LBB616_111:
	flat_store_b64 v[0:1], v[16:17] offset:16
	s_wait_xcnt 0x0
	s_or_b32 exec_lo, exec_lo, s0
	s_and_saveexec_b32 s0, s2
	s_cbranch_execz .LBB616_105
.LBB616_112:
	flat_store_b64 v[0:1], v[20:21] offset:24
	s_wait_xcnt 0x0
	s_or_b32 exec_lo, exec_lo, s0
	s_wait_dscnt 0x0
	s_set_pc_i64 s[30:31]
.Lfunc_end616:
	.size	_ZN7rocprim17ROCPRIM_400000_NS6detail26segmented_warp_sort_helperINS1_20WarpSortHelperConfigILj8ELj4ELj256EEEilLi256ELb0EvE4sortIPKiPiPKlPlEEvT_T0_T1_T2_jjjjRNS5_12storage_typeE, .Lfunc_end616-_ZN7rocprim17ROCPRIM_400000_NS6detail26segmented_warp_sort_helperINS1_20WarpSortHelperConfigILj8ELj4ELj256EEEilLi256ELb0EvE4sortIPKiPiPKlPlEEvT_T0_T1_T2_jjjjRNS5_12storage_typeE
                                        ; -- End function
	.set .L_ZN7rocprim17ROCPRIM_400000_NS6detail26segmented_warp_sort_helperINS1_20WarpSortHelperConfigILj8ELj4ELj256EEEilLi256ELb0EvE4sortIPKiPiPKlPlEEvT_T0_T1_T2_jjjjRNS5_12storage_typeE.num_vgpr, 54
	.set .L_ZN7rocprim17ROCPRIM_400000_NS6detail26segmented_warp_sort_helperINS1_20WarpSortHelperConfigILj8ELj4ELj256EEEilLi256ELb0EvE4sortIPKiPiPKlPlEEvT_T0_T1_T2_jjjjRNS5_12storage_typeE.num_agpr, 0
	.set .L_ZN7rocprim17ROCPRIM_400000_NS6detail26segmented_warp_sort_helperINS1_20WarpSortHelperConfigILj8ELj4ELj256EEEilLi256ELb0EvE4sortIPKiPiPKlPlEEvT_T0_T1_T2_jjjjRNS5_12storage_typeE.numbered_sgpr, 32
	.set .L_ZN7rocprim17ROCPRIM_400000_NS6detail26segmented_warp_sort_helperINS1_20WarpSortHelperConfigILj8ELj4ELj256EEEilLi256ELb0EvE4sortIPKiPiPKlPlEEvT_T0_T1_T2_jjjjRNS5_12storage_typeE.num_named_barrier, 0
	.set .L_ZN7rocprim17ROCPRIM_400000_NS6detail26segmented_warp_sort_helperINS1_20WarpSortHelperConfigILj8ELj4ELj256EEEilLi256ELb0EvE4sortIPKiPiPKlPlEEvT_T0_T1_T2_jjjjRNS5_12storage_typeE.private_seg_size, 0
	.set .L_ZN7rocprim17ROCPRIM_400000_NS6detail26segmented_warp_sort_helperINS1_20WarpSortHelperConfigILj8ELj4ELj256EEEilLi256ELb0EvE4sortIPKiPiPKlPlEEvT_T0_T1_T2_jjjjRNS5_12storage_typeE.uses_vcc, 1
	.set .L_ZN7rocprim17ROCPRIM_400000_NS6detail26segmented_warp_sort_helperINS1_20WarpSortHelperConfigILj8ELj4ELj256EEEilLi256ELb0EvE4sortIPKiPiPKlPlEEvT_T0_T1_T2_jjjjRNS5_12storage_typeE.uses_flat_scratch, 0
	.set .L_ZN7rocprim17ROCPRIM_400000_NS6detail26segmented_warp_sort_helperINS1_20WarpSortHelperConfigILj8ELj4ELj256EEEilLi256ELb0EvE4sortIPKiPiPKlPlEEvT_T0_T1_T2_jjjjRNS5_12storage_typeE.has_dyn_sized_stack, 0
	.set .L_ZN7rocprim17ROCPRIM_400000_NS6detail26segmented_warp_sort_helperINS1_20WarpSortHelperConfigILj8ELj4ELj256EEEilLi256ELb0EvE4sortIPKiPiPKlPlEEvT_T0_T1_T2_jjjjRNS5_12storage_typeE.has_recursion, 0
	.set .L_ZN7rocprim17ROCPRIM_400000_NS6detail26segmented_warp_sort_helperINS1_20WarpSortHelperConfigILj8ELj4ELj256EEEilLi256ELb0EvE4sortIPKiPiPKlPlEEvT_T0_T1_T2_jjjjRNS5_12storage_typeE.has_indirect_call, 0
	.section	.AMDGPU.csdata,"",@progbits
; Function info:
; codeLenInByte = 8020
; TotalNumSgprs: 34
; NumVgprs: 54
; ScratchSize: 0
; MemoryBound: 1
	.section	.text._ZN7rocprim17ROCPRIM_400000_NS6detail17trampoline_kernelINS0_14default_configENS1_36segmented_radix_sort_config_selectorIilEEZNS1_25segmented_radix_sort_implIS3_Lb0EPKiPiPKlPlN2at6native12_GLOBAL__N_18offset_tEEE10hipError_tPvRmT1_PNSt15iterator_traitsISK_E10value_typeET2_T3_PNSL_ISQ_E10value_typeET4_jRbjT5_SW_jjP12ihipStream_tbEUlT_E1_NS1_11comp_targetILNS1_3genE0ELNS1_11target_archE4294967295ELNS1_3gpuE0ELNS1_3repE0EEENS1_59segmented_radix_sort_warp_sort_small_config_static_selectorELNS0_4arch9wavefront6targetE0EEEvSK_,"axG",@progbits,_ZN7rocprim17ROCPRIM_400000_NS6detail17trampoline_kernelINS0_14default_configENS1_36segmented_radix_sort_config_selectorIilEEZNS1_25segmented_radix_sort_implIS3_Lb0EPKiPiPKlPlN2at6native12_GLOBAL__N_18offset_tEEE10hipError_tPvRmT1_PNSt15iterator_traitsISK_E10value_typeET2_T3_PNSL_ISQ_E10value_typeET4_jRbjT5_SW_jjP12ihipStream_tbEUlT_E1_NS1_11comp_targetILNS1_3genE0ELNS1_11target_archE4294967295ELNS1_3gpuE0ELNS1_3repE0EEENS1_59segmented_radix_sort_warp_sort_small_config_static_selectorELNS0_4arch9wavefront6targetE0EEEvSK_,comdat
	.globl	_ZN7rocprim17ROCPRIM_400000_NS6detail17trampoline_kernelINS0_14default_configENS1_36segmented_radix_sort_config_selectorIilEEZNS1_25segmented_radix_sort_implIS3_Lb0EPKiPiPKlPlN2at6native12_GLOBAL__N_18offset_tEEE10hipError_tPvRmT1_PNSt15iterator_traitsISK_E10value_typeET2_T3_PNSL_ISQ_E10value_typeET4_jRbjT5_SW_jjP12ihipStream_tbEUlT_E1_NS1_11comp_targetILNS1_3genE0ELNS1_11target_archE4294967295ELNS1_3gpuE0ELNS1_3repE0EEENS1_59segmented_radix_sort_warp_sort_small_config_static_selectorELNS0_4arch9wavefront6targetE0EEEvSK_ ; -- Begin function _ZN7rocprim17ROCPRIM_400000_NS6detail17trampoline_kernelINS0_14default_configENS1_36segmented_radix_sort_config_selectorIilEEZNS1_25segmented_radix_sort_implIS3_Lb0EPKiPiPKlPlN2at6native12_GLOBAL__N_18offset_tEEE10hipError_tPvRmT1_PNSt15iterator_traitsISK_E10value_typeET2_T3_PNSL_ISQ_E10value_typeET4_jRbjT5_SW_jjP12ihipStream_tbEUlT_E1_NS1_11comp_targetILNS1_3genE0ELNS1_11target_archE4294967295ELNS1_3gpuE0ELNS1_3repE0EEENS1_59segmented_radix_sort_warp_sort_small_config_static_selectorELNS0_4arch9wavefront6targetE0EEEvSK_
	.p2align	8
	.type	_ZN7rocprim17ROCPRIM_400000_NS6detail17trampoline_kernelINS0_14default_configENS1_36segmented_radix_sort_config_selectorIilEEZNS1_25segmented_radix_sort_implIS3_Lb0EPKiPiPKlPlN2at6native12_GLOBAL__N_18offset_tEEE10hipError_tPvRmT1_PNSt15iterator_traitsISK_E10value_typeET2_T3_PNSL_ISQ_E10value_typeET4_jRbjT5_SW_jjP12ihipStream_tbEUlT_E1_NS1_11comp_targetILNS1_3genE0ELNS1_11target_archE4294967295ELNS1_3gpuE0ELNS1_3repE0EEENS1_59segmented_radix_sort_warp_sort_small_config_static_selectorELNS0_4arch9wavefront6targetE0EEEvSK_,@function
_ZN7rocprim17ROCPRIM_400000_NS6detail17trampoline_kernelINS0_14default_configENS1_36segmented_radix_sort_config_selectorIilEEZNS1_25segmented_radix_sort_implIS3_Lb0EPKiPiPKlPlN2at6native12_GLOBAL__N_18offset_tEEE10hipError_tPvRmT1_PNSt15iterator_traitsISK_E10value_typeET2_T3_PNSL_ISQ_E10value_typeET4_jRbjT5_SW_jjP12ihipStream_tbEUlT_E1_NS1_11comp_targetILNS1_3genE0ELNS1_11target_archE4294967295ELNS1_3gpuE0ELNS1_3repE0EEENS1_59segmented_radix_sort_warp_sort_small_config_static_selectorELNS0_4arch9wavefront6targetE0EEEvSK_: ; @_ZN7rocprim17ROCPRIM_400000_NS6detail17trampoline_kernelINS0_14default_configENS1_36segmented_radix_sort_config_selectorIilEEZNS1_25segmented_radix_sort_implIS3_Lb0EPKiPiPKlPlN2at6native12_GLOBAL__N_18offset_tEEE10hipError_tPvRmT1_PNSt15iterator_traitsISK_E10value_typeET2_T3_PNSL_ISQ_E10value_typeET4_jRbjT5_SW_jjP12ihipStream_tbEUlT_E1_NS1_11comp_targetILNS1_3genE0ELNS1_11target_archE4294967295ELNS1_3gpuE0ELNS1_3repE0EEENS1_59segmented_radix_sort_warp_sort_small_config_static_selectorELNS0_4arch9wavefront6targetE0EEEvSK_
; %bb.0:
	s_load_b32 s4, s[2:3], 0x64
	v_bfe_u32 v1, v0, 10, 10
	v_bfe_u32 v2, v0, 20, 10
	v_and_b32_e32 v3, 0x3ff, v0
	s_and_b32 s6, ttmp6, 15
	s_getreg_b32 s7, hwreg(HW_REG_IB_STS2, 6, 4)
	s_mov_b32 s32, 0
	s_wait_kmcnt 0x0
	s_lshr_b32 s5, s4, 16
	s_and_b32 s4, s4, 0xffff
	v_mad_u32_u24 v1, v2, s5, v1
	s_bfe_u32 s5, ttmp6, 0x4000c
	s_delay_alu instid0(SALU_CYCLE_1) | instskip(NEXT) | instid1(SALU_CYCLE_1)
	s_add_co_i32 s5, s5, 1
	s_mul_i32 s5, ttmp9, s5
	s_delay_alu instid0(VALU_DEP_1) | instskip(SKIP_4) | instid1(VALU_DEP_1)
	v_mad_u32 v1, v1, s4, v3
	s_load_b32 s4, s[2:3], 0x34
	s_add_co_i32 s6, s6, s5
	s_cmp_eq_u32 s7, 0
	s_cselect_b32 s5, ttmp9, s6
	v_lshrrev_b32_e32 v1, 3, v1
	s_delay_alu instid0(VALU_DEP_1) | instskip(SKIP_1) | instid1(VALU_DEP_1)
	v_lshl_add_u32 v2, s5, 5, v1
	s_wait_kmcnt 0x0
	v_cmp_gt_u32_e32 vcc_lo, s4, v2
	s_and_saveexec_b32 s4, vcc_lo
	s_cbranch_execz .LBB617_6
; %bb.1:
	s_clause 0x1
	s_load_b64 s[8:9], s[2:3], 0x38
	s_load_b128 s[4:7], s[2:3], 0x40
	v_mov_b32_e32 v3, 0
	s_delay_alu instid0(VALU_DEP_1) | instskip(SKIP_1) | instid1(VALU_DEP_1)
	v_lshlrev_b64_e32 v[2:3], 2, v[2:3]
	s_wait_kmcnt 0x0
	v_sub_nc_u64_e32 v[2:3], s[8:9], v[2:3]
	global_load_b32 v1, v[2:3], off offset:-4
	s_wait_loadcnt 0x0
	v_dual_add_nc_u32 v2, s5, v1 :: v_dual_add_nc_u32 v1, s7, v1
	s_delay_alu instid0(VALU_DEP_1) | instskip(NEXT) | instid1(VALU_DEP_2)
	v_mul_lo_u32 v8, v2, s4
	v_mul_lo_u32 v40, v1, s6
	s_delay_alu instid0(VALU_DEP_1)
	v_cmp_gt_u32_e32 vcc_lo, v40, v8
	s_and_b32 exec_lo, exec_lo, vcc_lo
	s_cbranch_execz .LBB617_6
; %bb.2:
	s_clause 0x3
	s_load_b32 s4, s[2:3], 0x30
	s_load_b128 s[36:39], s[2:3], 0x20
	s_load_b256 s[20:27], s[2:3], 0x0
	s_load_b64 s[18:19], s[2:3], 0x50
	s_add_nc_u64 s[16:17], s[2:3], 0x58
	s_get_pc_i64 s[28:29]
	s_add_nc_u64 s[28:29], s[28:29], _ZN7rocprim17ROCPRIM_400000_NS6detail26segmented_warp_sort_helperINS1_20WarpSortHelperConfigILj8ELj4ELj256EEEilLi256ELb0EvE4sortIPKiPiPKlPlEEvT_T0_T1_T2_jjjjRNS5_12storage_typeE@rel64+4
	s_wait_kmcnt 0x0
	s_bitcmp0_b32 s4, 0
	s_mov_b32 s4, -1
	s_cbranch_scc0 .LBB617_4
; %bb.3:
	s_mov_b64 s[2:3], src_shared_base
	v_dual_mov_b32 v31, v0 :: v_dual_mov_b32 v41, v0
	v_dual_mov_b32 v0, s20 :: v_dual_mov_b32 v1, s21
	;; [unrolled: 1-line block ×7, first 2 shown]
	v_mov_b32_e32 v13, s3
	s_mov_b64 s[6:7], s[0:1]
	s_mov_b64 s[8:9], s[16:17]
	;; [unrolled: 1-line block ×3, first 2 shown]
	s_swap_pc_i64 s[30:31], s[28:29]
	v_mov_b32_e32 v0, v41
	s_mov_b64 s[0:1], s[22:23]
	s_mov_b32 s4, 0
.LBB617_4:
	s_delay_alu instid0(SALU_CYCLE_1)
	s_and_not1_b32 vcc_lo, exec_lo, s4
	s_cbranch_vccnz .LBB617_6
; %bb.5:
	s_mov_b64 s[2:3], src_shared_base
	v_dual_mov_b32 v31, v0 :: v_dual_mov_b32 v0, s20
	v_dual_mov_b32 v1, s21 :: v_dual_mov_b32 v2, s24
	;; [unrolled: 1-line block ×7, first 2 shown]
	s_mov_b64 s[6:7], s[0:1]
	s_mov_b64 s[8:9], s[16:17]
	s_swap_pc_i64 s[30:31], s[28:29]
.LBB617_6:
	s_endpgm
	.section	.rodata,"a",@progbits
	.p2align	6, 0x0
	.amdhsa_kernel _ZN7rocprim17ROCPRIM_400000_NS6detail17trampoline_kernelINS0_14default_configENS1_36segmented_radix_sort_config_selectorIilEEZNS1_25segmented_radix_sort_implIS3_Lb0EPKiPiPKlPlN2at6native12_GLOBAL__N_18offset_tEEE10hipError_tPvRmT1_PNSt15iterator_traitsISK_E10value_typeET2_T3_PNSL_ISQ_E10value_typeET4_jRbjT5_SW_jjP12ihipStream_tbEUlT_E1_NS1_11comp_targetILNS1_3genE0ELNS1_11target_archE4294967295ELNS1_3gpuE0ELNS1_3repE0EEENS1_59segmented_radix_sort_warp_sort_small_config_static_selectorELNS0_4arch9wavefront6targetE0EEEvSK_
		.amdhsa_group_segment_fixed_size 12288
		.amdhsa_private_segment_fixed_size 0
		.amdhsa_kernarg_size 344
		.amdhsa_user_sgpr_count 4
		.amdhsa_user_sgpr_dispatch_ptr 0
		.amdhsa_user_sgpr_queue_ptr 1
		.amdhsa_user_sgpr_kernarg_segment_ptr 1
		.amdhsa_user_sgpr_dispatch_id 0
		.amdhsa_user_sgpr_kernarg_preload_length 0
		.amdhsa_user_sgpr_kernarg_preload_offset 0
		.amdhsa_user_sgpr_private_segment_size 0
		.amdhsa_wavefront_size32 1
		.amdhsa_uses_dynamic_stack 0
		.amdhsa_enable_private_segment 0
		.amdhsa_system_sgpr_workgroup_id_x 1
		.amdhsa_system_sgpr_workgroup_id_y 1
		.amdhsa_system_sgpr_workgroup_id_z 0
		.amdhsa_system_sgpr_workgroup_info 0
		.amdhsa_system_vgpr_workitem_id 2
		.amdhsa_next_free_vgpr 54
		.amdhsa_next_free_sgpr 40
		.amdhsa_named_barrier_count 0
		.amdhsa_reserve_vcc 1
		.amdhsa_float_round_mode_32 0
		.amdhsa_float_round_mode_16_64 0
		.amdhsa_float_denorm_mode_32 3
		.amdhsa_float_denorm_mode_16_64 3
		.amdhsa_fp16_overflow 0
		.amdhsa_memory_ordered 1
		.amdhsa_forward_progress 1
		.amdhsa_inst_pref_size 5
		.amdhsa_round_robin_scheduling 0
		.amdhsa_exception_fp_ieee_invalid_op 0
		.amdhsa_exception_fp_denorm_src 0
		.amdhsa_exception_fp_ieee_div_zero 0
		.amdhsa_exception_fp_ieee_overflow 0
		.amdhsa_exception_fp_ieee_underflow 0
		.amdhsa_exception_fp_ieee_inexact 0
		.amdhsa_exception_int_div_zero 0
	.end_amdhsa_kernel
	.section	.text._ZN7rocprim17ROCPRIM_400000_NS6detail17trampoline_kernelINS0_14default_configENS1_36segmented_radix_sort_config_selectorIilEEZNS1_25segmented_radix_sort_implIS3_Lb0EPKiPiPKlPlN2at6native12_GLOBAL__N_18offset_tEEE10hipError_tPvRmT1_PNSt15iterator_traitsISK_E10value_typeET2_T3_PNSL_ISQ_E10value_typeET4_jRbjT5_SW_jjP12ihipStream_tbEUlT_E1_NS1_11comp_targetILNS1_3genE0ELNS1_11target_archE4294967295ELNS1_3gpuE0ELNS1_3repE0EEENS1_59segmented_radix_sort_warp_sort_small_config_static_selectorELNS0_4arch9wavefront6targetE0EEEvSK_,"axG",@progbits,_ZN7rocprim17ROCPRIM_400000_NS6detail17trampoline_kernelINS0_14default_configENS1_36segmented_radix_sort_config_selectorIilEEZNS1_25segmented_radix_sort_implIS3_Lb0EPKiPiPKlPlN2at6native12_GLOBAL__N_18offset_tEEE10hipError_tPvRmT1_PNSt15iterator_traitsISK_E10value_typeET2_T3_PNSL_ISQ_E10value_typeET4_jRbjT5_SW_jjP12ihipStream_tbEUlT_E1_NS1_11comp_targetILNS1_3genE0ELNS1_11target_archE4294967295ELNS1_3gpuE0ELNS1_3repE0EEENS1_59segmented_radix_sort_warp_sort_small_config_static_selectorELNS0_4arch9wavefront6targetE0EEEvSK_,comdat
.Lfunc_end617:
	.size	_ZN7rocprim17ROCPRIM_400000_NS6detail17trampoline_kernelINS0_14default_configENS1_36segmented_radix_sort_config_selectorIilEEZNS1_25segmented_radix_sort_implIS3_Lb0EPKiPiPKlPlN2at6native12_GLOBAL__N_18offset_tEEE10hipError_tPvRmT1_PNSt15iterator_traitsISK_E10value_typeET2_T3_PNSL_ISQ_E10value_typeET4_jRbjT5_SW_jjP12ihipStream_tbEUlT_E1_NS1_11comp_targetILNS1_3genE0ELNS1_11target_archE4294967295ELNS1_3gpuE0ELNS1_3repE0EEENS1_59segmented_radix_sort_warp_sort_small_config_static_selectorELNS0_4arch9wavefront6targetE0EEEvSK_, .Lfunc_end617-_ZN7rocprim17ROCPRIM_400000_NS6detail17trampoline_kernelINS0_14default_configENS1_36segmented_radix_sort_config_selectorIilEEZNS1_25segmented_radix_sort_implIS3_Lb0EPKiPiPKlPlN2at6native12_GLOBAL__N_18offset_tEEE10hipError_tPvRmT1_PNSt15iterator_traitsISK_E10value_typeET2_T3_PNSL_ISQ_E10value_typeET4_jRbjT5_SW_jjP12ihipStream_tbEUlT_E1_NS1_11comp_targetILNS1_3genE0ELNS1_11target_archE4294967295ELNS1_3gpuE0ELNS1_3repE0EEENS1_59segmented_radix_sort_warp_sort_small_config_static_selectorELNS0_4arch9wavefront6targetE0EEEvSK_
                                        ; -- End function
	.set _ZN7rocprim17ROCPRIM_400000_NS6detail17trampoline_kernelINS0_14default_configENS1_36segmented_radix_sort_config_selectorIilEEZNS1_25segmented_radix_sort_implIS3_Lb0EPKiPiPKlPlN2at6native12_GLOBAL__N_18offset_tEEE10hipError_tPvRmT1_PNSt15iterator_traitsISK_E10value_typeET2_T3_PNSL_ISQ_E10value_typeET4_jRbjT5_SW_jjP12ihipStream_tbEUlT_E1_NS1_11comp_targetILNS1_3genE0ELNS1_11target_archE4294967295ELNS1_3gpuE0ELNS1_3repE0EEENS1_59segmented_radix_sort_warp_sort_small_config_static_selectorELNS0_4arch9wavefront6targetE0EEEvSK_.num_vgpr, max(42, .L_ZN7rocprim17ROCPRIM_400000_NS6detail26segmented_warp_sort_helperINS1_20WarpSortHelperConfigILj8ELj4ELj256EEEilLi256ELb0EvE4sortIPKiPiPKlPlEEvT_T0_T1_T2_jjjjRNS5_12storage_typeE.num_vgpr)
	.set _ZN7rocprim17ROCPRIM_400000_NS6detail17trampoline_kernelINS0_14default_configENS1_36segmented_radix_sort_config_selectorIilEEZNS1_25segmented_radix_sort_implIS3_Lb0EPKiPiPKlPlN2at6native12_GLOBAL__N_18offset_tEEE10hipError_tPvRmT1_PNSt15iterator_traitsISK_E10value_typeET2_T3_PNSL_ISQ_E10value_typeET4_jRbjT5_SW_jjP12ihipStream_tbEUlT_E1_NS1_11comp_targetILNS1_3genE0ELNS1_11target_archE4294967295ELNS1_3gpuE0ELNS1_3repE0EEENS1_59segmented_radix_sort_warp_sort_small_config_static_selectorELNS0_4arch9wavefront6targetE0EEEvSK_.num_agpr, max(0, .L_ZN7rocprim17ROCPRIM_400000_NS6detail26segmented_warp_sort_helperINS1_20WarpSortHelperConfigILj8ELj4ELj256EEEilLi256ELb0EvE4sortIPKiPiPKlPlEEvT_T0_T1_T2_jjjjRNS5_12storage_typeE.num_agpr)
	.set _ZN7rocprim17ROCPRIM_400000_NS6detail17trampoline_kernelINS0_14default_configENS1_36segmented_radix_sort_config_selectorIilEEZNS1_25segmented_radix_sort_implIS3_Lb0EPKiPiPKlPlN2at6native12_GLOBAL__N_18offset_tEEE10hipError_tPvRmT1_PNSt15iterator_traitsISK_E10value_typeET2_T3_PNSL_ISQ_E10value_typeET4_jRbjT5_SW_jjP12ihipStream_tbEUlT_E1_NS1_11comp_targetILNS1_3genE0ELNS1_11target_archE4294967295ELNS1_3gpuE0ELNS1_3repE0EEENS1_59segmented_radix_sort_warp_sort_small_config_static_selectorELNS0_4arch9wavefront6targetE0EEEvSK_.numbered_sgpr, max(40, .L_ZN7rocprim17ROCPRIM_400000_NS6detail26segmented_warp_sort_helperINS1_20WarpSortHelperConfigILj8ELj4ELj256EEEilLi256ELb0EvE4sortIPKiPiPKlPlEEvT_T0_T1_T2_jjjjRNS5_12storage_typeE.numbered_sgpr)
	.set _ZN7rocprim17ROCPRIM_400000_NS6detail17trampoline_kernelINS0_14default_configENS1_36segmented_radix_sort_config_selectorIilEEZNS1_25segmented_radix_sort_implIS3_Lb0EPKiPiPKlPlN2at6native12_GLOBAL__N_18offset_tEEE10hipError_tPvRmT1_PNSt15iterator_traitsISK_E10value_typeET2_T3_PNSL_ISQ_E10value_typeET4_jRbjT5_SW_jjP12ihipStream_tbEUlT_E1_NS1_11comp_targetILNS1_3genE0ELNS1_11target_archE4294967295ELNS1_3gpuE0ELNS1_3repE0EEENS1_59segmented_radix_sort_warp_sort_small_config_static_selectorELNS0_4arch9wavefront6targetE0EEEvSK_.num_named_barrier, max(0, .L_ZN7rocprim17ROCPRIM_400000_NS6detail26segmented_warp_sort_helperINS1_20WarpSortHelperConfigILj8ELj4ELj256EEEilLi256ELb0EvE4sortIPKiPiPKlPlEEvT_T0_T1_T2_jjjjRNS5_12storage_typeE.num_named_barrier)
	.set _ZN7rocprim17ROCPRIM_400000_NS6detail17trampoline_kernelINS0_14default_configENS1_36segmented_radix_sort_config_selectorIilEEZNS1_25segmented_radix_sort_implIS3_Lb0EPKiPiPKlPlN2at6native12_GLOBAL__N_18offset_tEEE10hipError_tPvRmT1_PNSt15iterator_traitsISK_E10value_typeET2_T3_PNSL_ISQ_E10value_typeET4_jRbjT5_SW_jjP12ihipStream_tbEUlT_E1_NS1_11comp_targetILNS1_3genE0ELNS1_11target_archE4294967295ELNS1_3gpuE0ELNS1_3repE0EEENS1_59segmented_radix_sort_warp_sort_small_config_static_selectorELNS0_4arch9wavefront6targetE0EEEvSK_.private_seg_size, 0+max(.L_ZN7rocprim17ROCPRIM_400000_NS6detail26segmented_warp_sort_helperINS1_20WarpSortHelperConfigILj8ELj4ELj256EEEilLi256ELb0EvE4sortIPKiPiPKlPlEEvT_T0_T1_T2_jjjjRNS5_12storage_typeE.private_seg_size)
	.set _ZN7rocprim17ROCPRIM_400000_NS6detail17trampoline_kernelINS0_14default_configENS1_36segmented_radix_sort_config_selectorIilEEZNS1_25segmented_radix_sort_implIS3_Lb0EPKiPiPKlPlN2at6native12_GLOBAL__N_18offset_tEEE10hipError_tPvRmT1_PNSt15iterator_traitsISK_E10value_typeET2_T3_PNSL_ISQ_E10value_typeET4_jRbjT5_SW_jjP12ihipStream_tbEUlT_E1_NS1_11comp_targetILNS1_3genE0ELNS1_11target_archE4294967295ELNS1_3gpuE0ELNS1_3repE0EEENS1_59segmented_radix_sort_warp_sort_small_config_static_selectorELNS0_4arch9wavefront6targetE0EEEvSK_.uses_vcc, or(1, .L_ZN7rocprim17ROCPRIM_400000_NS6detail26segmented_warp_sort_helperINS1_20WarpSortHelperConfigILj8ELj4ELj256EEEilLi256ELb0EvE4sortIPKiPiPKlPlEEvT_T0_T1_T2_jjjjRNS5_12storage_typeE.uses_vcc)
	.set _ZN7rocprim17ROCPRIM_400000_NS6detail17trampoline_kernelINS0_14default_configENS1_36segmented_radix_sort_config_selectorIilEEZNS1_25segmented_radix_sort_implIS3_Lb0EPKiPiPKlPlN2at6native12_GLOBAL__N_18offset_tEEE10hipError_tPvRmT1_PNSt15iterator_traitsISK_E10value_typeET2_T3_PNSL_ISQ_E10value_typeET4_jRbjT5_SW_jjP12ihipStream_tbEUlT_E1_NS1_11comp_targetILNS1_3genE0ELNS1_11target_archE4294967295ELNS1_3gpuE0ELNS1_3repE0EEENS1_59segmented_radix_sort_warp_sort_small_config_static_selectorELNS0_4arch9wavefront6targetE0EEEvSK_.uses_flat_scratch, or(0, .L_ZN7rocprim17ROCPRIM_400000_NS6detail26segmented_warp_sort_helperINS1_20WarpSortHelperConfigILj8ELj4ELj256EEEilLi256ELb0EvE4sortIPKiPiPKlPlEEvT_T0_T1_T2_jjjjRNS5_12storage_typeE.uses_flat_scratch)
	.set _ZN7rocprim17ROCPRIM_400000_NS6detail17trampoline_kernelINS0_14default_configENS1_36segmented_radix_sort_config_selectorIilEEZNS1_25segmented_radix_sort_implIS3_Lb0EPKiPiPKlPlN2at6native12_GLOBAL__N_18offset_tEEE10hipError_tPvRmT1_PNSt15iterator_traitsISK_E10value_typeET2_T3_PNSL_ISQ_E10value_typeET4_jRbjT5_SW_jjP12ihipStream_tbEUlT_E1_NS1_11comp_targetILNS1_3genE0ELNS1_11target_archE4294967295ELNS1_3gpuE0ELNS1_3repE0EEENS1_59segmented_radix_sort_warp_sort_small_config_static_selectorELNS0_4arch9wavefront6targetE0EEEvSK_.has_dyn_sized_stack, or(0, .L_ZN7rocprim17ROCPRIM_400000_NS6detail26segmented_warp_sort_helperINS1_20WarpSortHelperConfigILj8ELj4ELj256EEEilLi256ELb0EvE4sortIPKiPiPKlPlEEvT_T0_T1_T2_jjjjRNS5_12storage_typeE.has_dyn_sized_stack)
	.set _ZN7rocprim17ROCPRIM_400000_NS6detail17trampoline_kernelINS0_14default_configENS1_36segmented_radix_sort_config_selectorIilEEZNS1_25segmented_radix_sort_implIS3_Lb0EPKiPiPKlPlN2at6native12_GLOBAL__N_18offset_tEEE10hipError_tPvRmT1_PNSt15iterator_traitsISK_E10value_typeET2_T3_PNSL_ISQ_E10value_typeET4_jRbjT5_SW_jjP12ihipStream_tbEUlT_E1_NS1_11comp_targetILNS1_3genE0ELNS1_11target_archE4294967295ELNS1_3gpuE0ELNS1_3repE0EEENS1_59segmented_radix_sort_warp_sort_small_config_static_selectorELNS0_4arch9wavefront6targetE0EEEvSK_.has_recursion, or(0, .L_ZN7rocprim17ROCPRIM_400000_NS6detail26segmented_warp_sort_helperINS1_20WarpSortHelperConfigILj8ELj4ELj256EEEilLi256ELb0EvE4sortIPKiPiPKlPlEEvT_T0_T1_T2_jjjjRNS5_12storage_typeE.has_recursion)
	.set _ZN7rocprim17ROCPRIM_400000_NS6detail17trampoline_kernelINS0_14default_configENS1_36segmented_radix_sort_config_selectorIilEEZNS1_25segmented_radix_sort_implIS3_Lb0EPKiPiPKlPlN2at6native12_GLOBAL__N_18offset_tEEE10hipError_tPvRmT1_PNSt15iterator_traitsISK_E10value_typeET2_T3_PNSL_ISQ_E10value_typeET4_jRbjT5_SW_jjP12ihipStream_tbEUlT_E1_NS1_11comp_targetILNS1_3genE0ELNS1_11target_archE4294967295ELNS1_3gpuE0ELNS1_3repE0EEENS1_59segmented_radix_sort_warp_sort_small_config_static_selectorELNS0_4arch9wavefront6targetE0EEEvSK_.has_indirect_call, or(0, .L_ZN7rocprim17ROCPRIM_400000_NS6detail26segmented_warp_sort_helperINS1_20WarpSortHelperConfigILj8ELj4ELj256EEEilLi256ELb0EvE4sortIPKiPiPKlPlEEvT_T0_T1_T2_jjjjRNS5_12storage_typeE.has_indirect_call)
	.section	.AMDGPU.csdata,"",@progbits
; Kernel info:
; codeLenInByte = 520
; TotalNumSgprs: 42
; NumVgprs: 54
; ScratchSize: 0
; MemoryBound: 0
; FloatMode: 240
; IeeeMode: 1
; LDSByteSize: 12288 bytes/workgroup (compile time only)
; SGPRBlocks: 0
; VGPRBlocks: 3
; NumSGPRsForWavesPerEU: 42
; NumVGPRsForWavesPerEU: 54
; NamedBarCnt: 0
; Occupancy: 16
; WaveLimiterHint : 0
; COMPUTE_PGM_RSRC2:SCRATCH_EN: 0
; COMPUTE_PGM_RSRC2:USER_SGPR: 4
; COMPUTE_PGM_RSRC2:TRAP_HANDLER: 0
; COMPUTE_PGM_RSRC2:TGID_X_EN: 1
; COMPUTE_PGM_RSRC2:TGID_Y_EN: 1
; COMPUTE_PGM_RSRC2:TGID_Z_EN: 0
; COMPUTE_PGM_RSRC2:TIDIG_COMP_CNT: 2
	.section	.text._ZN7rocprim17ROCPRIM_400000_NS6detail17trampoline_kernelINS0_14default_configENS1_36segmented_radix_sort_config_selectorIilEEZNS1_25segmented_radix_sort_implIS3_Lb0EPKiPiPKlPlN2at6native12_GLOBAL__N_18offset_tEEE10hipError_tPvRmT1_PNSt15iterator_traitsISK_E10value_typeET2_T3_PNSL_ISQ_E10value_typeET4_jRbjT5_SW_jjP12ihipStream_tbEUlT_E1_NS1_11comp_targetILNS1_3genE5ELNS1_11target_archE942ELNS1_3gpuE9ELNS1_3repE0EEENS1_59segmented_radix_sort_warp_sort_small_config_static_selectorELNS0_4arch9wavefront6targetE0EEEvSK_,"axG",@progbits,_ZN7rocprim17ROCPRIM_400000_NS6detail17trampoline_kernelINS0_14default_configENS1_36segmented_radix_sort_config_selectorIilEEZNS1_25segmented_radix_sort_implIS3_Lb0EPKiPiPKlPlN2at6native12_GLOBAL__N_18offset_tEEE10hipError_tPvRmT1_PNSt15iterator_traitsISK_E10value_typeET2_T3_PNSL_ISQ_E10value_typeET4_jRbjT5_SW_jjP12ihipStream_tbEUlT_E1_NS1_11comp_targetILNS1_3genE5ELNS1_11target_archE942ELNS1_3gpuE9ELNS1_3repE0EEENS1_59segmented_radix_sort_warp_sort_small_config_static_selectorELNS0_4arch9wavefront6targetE0EEEvSK_,comdat
	.globl	_ZN7rocprim17ROCPRIM_400000_NS6detail17trampoline_kernelINS0_14default_configENS1_36segmented_radix_sort_config_selectorIilEEZNS1_25segmented_radix_sort_implIS3_Lb0EPKiPiPKlPlN2at6native12_GLOBAL__N_18offset_tEEE10hipError_tPvRmT1_PNSt15iterator_traitsISK_E10value_typeET2_T3_PNSL_ISQ_E10value_typeET4_jRbjT5_SW_jjP12ihipStream_tbEUlT_E1_NS1_11comp_targetILNS1_3genE5ELNS1_11target_archE942ELNS1_3gpuE9ELNS1_3repE0EEENS1_59segmented_radix_sort_warp_sort_small_config_static_selectorELNS0_4arch9wavefront6targetE0EEEvSK_ ; -- Begin function _ZN7rocprim17ROCPRIM_400000_NS6detail17trampoline_kernelINS0_14default_configENS1_36segmented_radix_sort_config_selectorIilEEZNS1_25segmented_radix_sort_implIS3_Lb0EPKiPiPKlPlN2at6native12_GLOBAL__N_18offset_tEEE10hipError_tPvRmT1_PNSt15iterator_traitsISK_E10value_typeET2_T3_PNSL_ISQ_E10value_typeET4_jRbjT5_SW_jjP12ihipStream_tbEUlT_E1_NS1_11comp_targetILNS1_3genE5ELNS1_11target_archE942ELNS1_3gpuE9ELNS1_3repE0EEENS1_59segmented_radix_sort_warp_sort_small_config_static_selectorELNS0_4arch9wavefront6targetE0EEEvSK_
	.p2align	8
	.type	_ZN7rocprim17ROCPRIM_400000_NS6detail17trampoline_kernelINS0_14default_configENS1_36segmented_radix_sort_config_selectorIilEEZNS1_25segmented_radix_sort_implIS3_Lb0EPKiPiPKlPlN2at6native12_GLOBAL__N_18offset_tEEE10hipError_tPvRmT1_PNSt15iterator_traitsISK_E10value_typeET2_T3_PNSL_ISQ_E10value_typeET4_jRbjT5_SW_jjP12ihipStream_tbEUlT_E1_NS1_11comp_targetILNS1_3genE5ELNS1_11target_archE942ELNS1_3gpuE9ELNS1_3repE0EEENS1_59segmented_radix_sort_warp_sort_small_config_static_selectorELNS0_4arch9wavefront6targetE0EEEvSK_,@function
_ZN7rocprim17ROCPRIM_400000_NS6detail17trampoline_kernelINS0_14default_configENS1_36segmented_radix_sort_config_selectorIilEEZNS1_25segmented_radix_sort_implIS3_Lb0EPKiPiPKlPlN2at6native12_GLOBAL__N_18offset_tEEE10hipError_tPvRmT1_PNSt15iterator_traitsISK_E10value_typeET2_T3_PNSL_ISQ_E10value_typeET4_jRbjT5_SW_jjP12ihipStream_tbEUlT_E1_NS1_11comp_targetILNS1_3genE5ELNS1_11target_archE942ELNS1_3gpuE9ELNS1_3repE0EEENS1_59segmented_radix_sort_warp_sort_small_config_static_selectorELNS0_4arch9wavefront6targetE0EEEvSK_: ; @_ZN7rocprim17ROCPRIM_400000_NS6detail17trampoline_kernelINS0_14default_configENS1_36segmented_radix_sort_config_selectorIilEEZNS1_25segmented_radix_sort_implIS3_Lb0EPKiPiPKlPlN2at6native12_GLOBAL__N_18offset_tEEE10hipError_tPvRmT1_PNSt15iterator_traitsISK_E10value_typeET2_T3_PNSL_ISQ_E10value_typeET4_jRbjT5_SW_jjP12ihipStream_tbEUlT_E1_NS1_11comp_targetILNS1_3genE5ELNS1_11target_archE942ELNS1_3gpuE9ELNS1_3repE0EEENS1_59segmented_radix_sort_warp_sort_small_config_static_selectorELNS0_4arch9wavefront6targetE0EEEvSK_
; %bb.0:
	.section	.rodata,"a",@progbits
	.p2align	6, 0x0
	.amdhsa_kernel _ZN7rocprim17ROCPRIM_400000_NS6detail17trampoline_kernelINS0_14default_configENS1_36segmented_radix_sort_config_selectorIilEEZNS1_25segmented_radix_sort_implIS3_Lb0EPKiPiPKlPlN2at6native12_GLOBAL__N_18offset_tEEE10hipError_tPvRmT1_PNSt15iterator_traitsISK_E10value_typeET2_T3_PNSL_ISQ_E10value_typeET4_jRbjT5_SW_jjP12ihipStream_tbEUlT_E1_NS1_11comp_targetILNS1_3genE5ELNS1_11target_archE942ELNS1_3gpuE9ELNS1_3repE0EEENS1_59segmented_radix_sort_warp_sort_small_config_static_selectorELNS0_4arch9wavefront6targetE0EEEvSK_
		.amdhsa_group_segment_fixed_size 0
		.amdhsa_private_segment_fixed_size 0
		.amdhsa_kernarg_size 88
		.amdhsa_user_sgpr_count 2
		.amdhsa_user_sgpr_dispatch_ptr 0
		.amdhsa_user_sgpr_queue_ptr 0
		.amdhsa_user_sgpr_kernarg_segment_ptr 1
		.amdhsa_user_sgpr_dispatch_id 0
		.amdhsa_user_sgpr_kernarg_preload_length 0
		.amdhsa_user_sgpr_kernarg_preload_offset 0
		.amdhsa_user_sgpr_private_segment_size 0
		.amdhsa_wavefront_size32 1
		.amdhsa_uses_dynamic_stack 0
		.amdhsa_enable_private_segment 0
		.amdhsa_system_sgpr_workgroup_id_x 1
		.amdhsa_system_sgpr_workgroup_id_y 0
		.amdhsa_system_sgpr_workgroup_id_z 0
		.amdhsa_system_sgpr_workgroup_info 0
		.amdhsa_system_vgpr_workitem_id 0
		.amdhsa_next_free_vgpr 1
		.amdhsa_next_free_sgpr 1
		.amdhsa_named_barrier_count 0
		.amdhsa_reserve_vcc 0
		.amdhsa_float_round_mode_32 0
		.amdhsa_float_round_mode_16_64 0
		.amdhsa_float_denorm_mode_32 3
		.amdhsa_float_denorm_mode_16_64 3
		.amdhsa_fp16_overflow 0
		.amdhsa_memory_ordered 1
		.amdhsa_forward_progress 1
		.amdhsa_inst_pref_size 0
		.amdhsa_round_robin_scheduling 0
		.amdhsa_exception_fp_ieee_invalid_op 0
		.amdhsa_exception_fp_denorm_src 0
		.amdhsa_exception_fp_ieee_div_zero 0
		.amdhsa_exception_fp_ieee_overflow 0
		.amdhsa_exception_fp_ieee_underflow 0
		.amdhsa_exception_fp_ieee_inexact 0
		.amdhsa_exception_int_div_zero 0
	.end_amdhsa_kernel
	.section	.text._ZN7rocprim17ROCPRIM_400000_NS6detail17trampoline_kernelINS0_14default_configENS1_36segmented_radix_sort_config_selectorIilEEZNS1_25segmented_radix_sort_implIS3_Lb0EPKiPiPKlPlN2at6native12_GLOBAL__N_18offset_tEEE10hipError_tPvRmT1_PNSt15iterator_traitsISK_E10value_typeET2_T3_PNSL_ISQ_E10value_typeET4_jRbjT5_SW_jjP12ihipStream_tbEUlT_E1_NS1_11comp_targetILNS1_3genE5ELNS1_11target_archE942ELNS1_3gpuE9ELNS1_3repE0EEENS1_59segmented_radix_sort_warp_sort_small_config_static_selectorELNS0_4arch9wavefront6targetE0EEEvSK_,"axG",@progbits,_ZN7rocprim17ROCPRIM_400000_NS6detail17trampoline_kernelINS0_14default_configENS1_36segmented_radix_sort_config_selectorIilEEZNS1_25segmented_radix_sort_implIS3_Lb0EPKiPiPKlPlN2at6native12_GLOBAL__N_18offset_tEEE10hipError_tPvRmT1_PNSt15iterator_traitsISK_E10value_typeET2_T3_PNSL_ISQ_E10value_typeET4_jRbjT5_SW_jjP12ihipStream_tbEUlT_E1_NS1_11comp_targetILNS1_3genE5ELNS1_11target_archE942ELNS1_3gpuE9ELNS1_3repE0EEENS1_59segmented_radix_sort_warp_sort_small_config_static_selectorELNS0_4arch9wavefront6targetE0EEEvSK_,comdat
.Lfunc_end618:
	.size	_ZN7rocprim17ROCPRIM_400000_NS6detail17trampoline_kernelINS0_14default_configENS1_36segmented_radix_sort_config_selectorIilEEZNS1_25segmented_radix_sort_implIS3_Lb0EPKiPiPKlPlN2at6native12_GLOBAL__N_18offset_tEEE10hipError_tPvRmT1_PNSt15iterator_traitsISK_E10value_typeET2_T3_PNSL_ISQ_E10value_typeET4_jRbjT5_SW_jjP12ihipStream_tbEUlT_E1_NS1_11comp_targetILNS1_3genE5ELNS1_11target_archE942ELNS1_3gpuE9ELNS1_3repE0EEENS1_59segmented_radix_sort_warp_sort_small_config_static_selectorELNS0_4arch9wavefront6targetE0EEEvSK_, .Lfunc_end618-_ZN7rocprim17ROCPRIM_400000_NS6detail17trampoline_kernelINS0_14default_configENS1_36segmented_radix_sort_config_selectorIilEEZNS1_25segmented_radix_sort_implIS3_Lb0EPKiPiPKlPlN2at6native12_GLOBAL__N_18offset_tEEE10hipError_tPvRmT1_PNSt15iterator_traitsISK_E10value_typeET2_T3_PNSL_ISQ_E10value_typeET4_jRbjT5_SW_jjP12ihipStream_tbEUlT_E1_NS1_11comp_targetILNS1_3genE5ELNS1_11target_archE942ELNS1_3gpuE9ELNS1_3repE0EEENS1_59segmented_radix_sort_warp_sort_small_config_static_selectorELNS0_4arch9wavefront6targetE0EEEvSK_
                                        ; -- End function
	.set _ZN7rocprim17ROCPRIM_400000_NS6detail17trampoline_kernelINS0_14default_configENS1_36segmented_radix_sort_config_selectorIilEEZNS1_25segmented_radix_sort_implIS3_Lb0EPKiPiPKlPlN2at6native12_GLOBAL__N_18offset_tEEE10hipError_tPvRmT1_PNSt15iterator_traitsISK_E10value_typeET2_T3_PNSL_ISQ_E10value_typeET4_jRbjT5_SW_jjP12ihipStream_tbEUlT_E1_NS1_11comp_targetILNS1_3genE5ELNS1_11target_archE942ELNS1_3gpuE9ELNS1_3repE0EEENS1_59segmented_radix_sort_warp_sort_small_config_static_selectorELNS0_4arch9wavefront6targetE0EEEvSK_.num_vgpr, 0
	.set _ZN7rocprim17ROCPRIM_400000_NS6detail17trampoline_kernelINS0_14default_configENS1_36segmented_radix_sort_config_selectorIilEEZNS1_25segmented_radix_sort_implIS3_Lb0EPKiPiPKlPlN2at6native12_GLOBAL__N_18offset_tEEE10hipError_tPvRmT1_PNSt15iterator_traitsISK_E10value_typeET2_T3_PNSL_ISQ_E10value_typeET4_jRbjT5_SW_jjP12ihipStream_tbEUlT_E1_NS1_11comp_targetILNS1_3genE5ELNS1_11target_archE942ELNS1_3gpuE9ELNS1_3repE0EEENS1_59segmented_radix_sort_warp_sort_small_config_static_selectorELNS0_4arch9wavefront6targetE0EEEvSK_.num_agpr, 0
	.set _ZN7rocprim17ROCPRIM_400000_NS6detail17trampoline_kernelINS0_14default_configENS1_36segmented_radix_sort_config_selectorIilEEZNS1_25segmented_radix_sort_implIS3_Lb0EPKiPiPKlPlN2at6native12_GLOBAL__N_18offset_tEEE10hipError_tPvRmT1_PNSt15iterator_traitsISK_E10value_typeET2_T3_PNSL_ISQ_E10value_typeET4_jRbjT5_SW_jjP12ihipStream_tbEUlT_E1_NS1_11comp_targetILNS1_3genE5ELNS1_11target_archE942ELNS1_3gpuE9ELNS1_3repE0EEENS1_59segmented_radix_sort_warp_sort_small_config_static_selectorELNS0_4arch9wavefront6targetE0EEEvSK_.numbered_sgpr, 0
	.set _ZN7rocprim17ROCPRIM_400000_NS6detail17trampoline_kernelINS0_14default_configENS1_36segmented_radix_sort_config_selectorIilEEZNS1_25segmented_radix_sort_implIS3_Lb0EPKiPiPKlPlN2at6native12_GLOBAL__N_18offset_tEEE10hipError_tPvRmT1_PNSt15iterator_traitsISK_E10value_typeET2_T3_PNSL_ISQ_E10value_typeET4_jRbjT5_SW_jjP12ihipStream_tbEUlT_E1_NS1_11comp_targetILNS1_3genE5ELNS1_11target_archE942ELNS1_3gpuE9ELNS1_3repE0EEENS1_59segmented_radix_sort_warp_sort_small_config_static_selectorELNS0_4arch9wavefront6targetE0EEEvSK_.num_named_barrier, 0
	.set _ZN7rocprim17ROCPRIM_400000_NS6detail17trampoline_kernelINS0_14default_configENS1_36segmented_radix_sort_config_selectorIilEEZNS1_25segmented_radix_sort_implIS3_Lb0EPKiPiPKlPlN2at6native12_GLOBAL__N_18offset_tEEE10hipError_tPvRmT1_PNSt15iterator_traitsISK_E10value_typeET2_T3_PNSL_ISQ_E10value_typeET4_jRbjT5_SW_jjP12ihipStream_tbEUlT_E1_NS1_11comp_targetILNS1_3genE5ELNS1_11target_archE942ELNS1_3gpuE9ELNS1_3repE0EEENS1_59segmented_radix_sort_warp_sort_small_config_static_selectorELNS0_4arch9wavefront6targetE0EEEvSK_.private_seg_size, 0
	.set _ZN7rocprim17ROCPRIM_400000_NS6detail17trampoline_kernelINS0_14default_configENS1_36segmented_radix_sort_config_selectorIilEEZNS1_25segmented_radix_sort_implIS3_Lb0EPKiPiPKlPlN2at6native12_GLOBAL__N_18offset_tEEE10hipError_tPvRmT1_PNSt15iterator_traitsISK_E10value_typeET2_T3_PNSL_ISQ_E10value_typeET4_jRbjT5_SW_jjP12ihipStream_tbEUlT_E1_NS1_11comp_targetILNS1_3genE5ELNS1_11target_archE942ELNS1_3gpuE9ELNS1_3repE0EEENS1_59segmented_radix_sort_warp_sort_small_config_static_selectorELNS0_4arch9wavefront6targetE0EEEvSK_.uses_vcc, 0
	.set _ZN7rocprim17ROCPRIM_400000_NS6detail17trampoline_kernelINS0_14default_configENS1_36segmented_radix_sort_config_selectorIilEEZNS1_25segmented_radix_sort_implIS3_Lb0EPKiPiPKlPlN2at6native12_GLOBAL__N_18offset_tEEE10hipError_tPvRmT1_PNSt15iterator_traitsISK_E10value_typeET2_T3_PNSL_ISQ_E10value_typeET4_jRbjT5_SW_jjP12ihipStream_tbEUlT_E1_NS1_11comp_targetILNS1_3genE5ELNS1_11target_archE942ELNS1_3gpuE9ELNS1_3repE0EEENS1_59segmented_radix_sort_warp_sort_small_config_static_selectorELNS0_4arch9wavefront6targetE0EEEvSK_.uses_flat_scratch, 0
	.set _ZN7rocprim17ROCPRIM_400000_NS6detail17trampoline_kernelINS0_14default_configENS1_36segmented_radix_sort_config_selectorIilEEZNS1_25segmented_radix_sort_implIS3_Lb0EPKiPiPKlPlN2at6native12_GLOBAL__N_18offset_tEEE10hipError_tPvRmT1_PNSt15iterator_traitsISK_E10value_typeET2_T3_PNSL_ISQ_E10value_typeET4_jRbjT5_SW_jjP12ihipStream_tbEUlT_E1_NS1_11comp_targetILNS1_3genE5ELNS1_11target_archE942ELNS1_3gpuE9ELNS1_3repE0EEENS1_59segmented_radix_sort_warp_sort_small_config_static_selectorELNS0_4arch9wavefront6targetE0EEEvSK_.has_dyn_sized_stack, 0
	.set _ZN7rocprim17ROCPRIM_400000_NS6detail17trampoline_kernelINS0_14default_configENS1_36segmented_radix_sort_config_selectorIilEEZNS1_25segmented_radix_sort_implIS3_Lb0EPKiPiPKlPlN2at6native12_GLOBAL__N_18offset_tEEE10hipError_tPvRmT1_PNSt15iterator_traitsISK_E10value_typeET2_T3_PNSL_ISQ_E10value_typeET4_jRbjT5_SW_jjP12ihipStream_tbEUlT_E1_NS1_11comp_targetILNS1_3genE5ELNS1_11target_archE942ELNS1_3gpuE9ELNS1_3repE0EEENS1_59segmented_radix_sort_warp_sort_small_config_static_selectorELNS0_4arch9wavefront6targetE0EEEvSK_.has_recursion, 0
	.set _ZN7rocprim17ROCPRIM_400000_NS6detail17trampoline_kernelINS0_14default_configENS1_36segmented_radix_sort_config_selectorIilEEZNS1_25segmented_radix_sort_implIS3_Lb0EPKiPiPKlPlN2at6native12_GLOBAL__N_18offset_tEEE10hipError_tPvRmT1_PNSt15iterator_traitsISK_E10value_typeET2_T3_PNSL_ISQ_E10value_typeET4_jRbjT5_SW_jjP12ihipStream_tbEUlT_E1_NS1_11comp_targetILNS1_3genE5ELNS1_11target_archE942ELNS1_3gpuE9ELNS1_3repE0EEENS1_59segmented_radix_sort_warp_sort_small_config_static_selectorELNS0_4arch9wavefront6targetE0EEEvSK_.has_indirect_call, 0
	.section	.AMDGPU.csdata,"",@progbits
; Kernel info:
; codeLenInByte = 0
; TotalNumSgprs: 0
; NumVgprs: 0
; ScratchSize: 0
; MemoryBound: 0
; FloatMode: 240
; IeeeMode: 1
; LDSByteSize: 0 bytes/workgroup (compile time only)
; SGPRBlocks: 0
; VGPRBlocks: 0
; NumSGPRsForWavesPerEU: 1
; NumVGPRsForWavesPerEU: 1
; NamedBarCnt: 0
; Occupancy: 16
; WaveLimiterHint : 0
; COMPUTE_PGM_RSRC2:SCRATCH_EN: 0
; COMPUTE_PGM_RSRC2:USER_SGPR: 2
; COMPUTE_PGM_RSRC2:TRAP_HANDLER: 0
; COMPUTE_PGM_RSRC2:TGID_X_EN: 1
; COMPUTE_PGM_RSRC2:TGID_Y_EN: 0
; COMPUTE_PGM_RSRC2:TGID_Z_EN: 0
; COMPUTE_PGM_RSRC2:TIDIG_COMP_CNT: 0
	.section	.text._ZN7rocprim17ROCPRIM_400000_NS6detail17trampoline_kernelINS0_14default_configENS1_36segmented_radix_sort_config_selectorIilEEZNS1_25segmented_radix_sort_implIS3_Lb0EPKiPiPKlPlN2at6native12_GLOBAL__N_18offset_tEEE10hipError_tPvRmT1_PNSt15iterator_traitsISK_E10value_typeET2_T3_PNSL_ISQ_E10value_typeET4_jRbjT5_SW_jjP12ihipStream_tbEUlT_E1_NS1_11comp_targetILNS1_3genE4ELNS1_11target_archE910ELNS1_3gpuE8ELNS1_3repE0EEENS1_59segmented_radix_sort_warp_sort_small_config_static_selectorELNS0_4arch9wavefront6targetE0EEEvSK_,"axG",@progbits,_ZN7rocprim17ROCPRIM_400000_NS6detail17trampoline_kernelINS0_14default_configENS1_36segmented_radix_sort_config_selectorIilEEZNS1_25segmented_radix_sort_implIS3_Lb0EPKiPiPKlPlN2at6native12_GLOBAL__N_18offset_tEEE10hipError_tPvRmT1_PNSt15iterator_traitsISK_E10value_typeET2_T3_PNSL_ISQ_E10value_typeET4_jRbjT5_SW_jjP12ihipStream_tbEUlT_E1_NS1_11comp_targetILNS1_3genE4ELNS1_11target_archE910ELNS1_3gpuE8ELNS1_3repE0EEENS1_59segmented_radix_sort_warp_sort_small_config_static_selectorELNS0_4arch9wavefront6targetE0EEEvSK_,comdat
	.globl	_ZN7rocprim17ROCPRIM_400000_NS6detail17trampoline_kernelINS0_14default_configENS1_36segmented_radix_sort_config_selectorIilEEZNS1_25segmented_radix_sort_implIS3_Lb0EPKiPiPKlPlN2at6native12_GLOBAL__N_18offset_tEEE10hipError_tPvRmT1_PNSt15iterator_traitsISK_E10value_typeET2_T3_PNSL_ISQ_E10value_typeET4_jRbjT5_SW_jjP12ihipStream_tbEUlT_E1_NS1_11comp_targetILNS1_3genE4ELNS1_11target_archE910ELNS1_3gpuE8ELNS1_3repE0EEENS1_59segmented_radix_sort_warp_sort_small_config_static_selectorELNS0_4arch9wavefront6targetE0EEEvSK_ ; -- Begin function _ZN7rocprim17ROCPRIM_400000_NS6detail17trampoline_kernelINS0_14default_configENS1_36segmented_radix_sort_config_selectorIilEEZNS1_25segmented_radix_sort_implIS3_Lb0EPKiPiPKlPlN2at6native12_GLOBAL__N_18offset_tEEE10hipError_tPvRmT1_PNSt15iterator_traitsISK_E10value_typeET2_T3_PNSL_ISQ_E10value_typeET4_jRbjT5_SW_jjP12ihipStream_tbEUlT_E1_NS1_11comp_targetILNS1_3genE4ELNS1_11target_archE910ELNS1_3gpuE8ELNS1_3repE0EEENS1_59segmented_radix_sort_warp_sort_small_config_static_selectorELNS0_4arch9wavefront6targetE0EEEvSK_
	.p2align	8
	.type	_ZN7rocprim17ROCPRIM_400000_NS6detail17trampoline_kernelINS0_14default_configENS1_36segmented_radix_sort_config_selectorIilEEZNS1_25segmented_radix_sort_implIS3_Lb0EPKiPiPKlPlN2at6native12_GLOBAL__N_18offset_tEEE10hipError_tPvRmT1_PNSt15iterator_traitsISK_E10value_typeET2_T3_PNSL_ISQ_E10value_typeET4_jRbjT5_SW_jjP12ihipStream_tbEUlT_E1_NS1_11comp_targetILNS1_3genE4ELNS1_11target_archE910ELNS1_3gpuE8ELNS1_3repE0EEENS1_59segmented_radix_sort_warp_sort_small_config_static_selectorELNS0_4arch9wavefront6targetE0EEEvSK_,@function
_ZN7rocprim17ROCPRIM_400000_NS6detail17trampoline_kernelINS0_14default_configENS1_36segmented_radix_sort_config_selectorIilEEZNS1_25segmented_radix_sort_implIS3_Lb0EPKiPiPKlPlN2at6native12_GLOBAL__N_18offset_tEEE10hipError_tPvRmT1_PNSt15iterator_traitsISK_E10value_typeET2_T3_PNSL_ISQ_E10value_typeET4_jRbjT5_SW_jjP12ihipStream_tbEUlT_E1_NS1_11comp_targetILNS1_3genE4ELNS1_11target_archE910ELNS1_3gpuE8ELNS1_3repE0EEENS1_59segmented_radix_sort_warp_sort_small_config_static_selectorELNS0_4arch9wavefront6targetE0EEEvSK_: ; @_ZN7rocprim17ROCPRIM_400000_NS6detail17trampoline_kernelINS0_14default_configENS1_36segmented_radix_sort_config_selectorIilEEZNS1_25segmented_radix_sort_implIS3_Lb0EPKiPiPKlPlN2at6native12_GLOBAL__N_18offset_tEEE10hipError_tPvRmT1_PNSt15iterator_traitsISK_E10value_typeET2_T3_PNSL_ISQ_E10value_typeET4_jRbjT5_SW_jjP12ihipStream_tbEUlT_E1_NS1_11comp_targetILNS1_3genE4ELNS1_11target_archE910ELNS1_3gpuE8ELNS1_3repE0EEENS1_59segmented_radix_sort_warp_sort_small_config_static_selectorELNS0_4arch9wavefront6targetE0EEEvSK_
; %bb.0:
	.section	.rodata,"a",@progbits
	.p2align	6, 0x0
	.amdhsa_kernel _ZN7rocprim17ROCPRIM_400000_NS6detail17trampoline_kernelINS0_14default_configENS1_36segmented_radix_sort_config_selectorIilEEZNS1_25segmented_radix_sort_implIS3_Lb0EPKiPiPKlPlN2at6native12_GLOBAL__N_18offset_tEEE10hipError_tPvRmT1_PNSt15iterator_traitsISK_E10value_typeET2_T3_PNSL_ISQ_E10value_typeET4_jRbjT5_SW_jjP12ihipStream_tbEUlT_E1_NS1_11comp_targetILNS1_3genE4ELNS1_11target_archE910ELNS1_3gpuE8ELNS1_3repE0EEENS1_59segmented_radix_sort_warp_sort_small_config_static_selectorELNS0_4arch9wavefront6targetE0EEEvSK_
		.amdhsa_group_segment_fixed_size 0
		.amdhsa_private_segment_fixed_size 0
		.amdhsa_kernarg_size 88
		.amdhsa_user_sgpr_count 2
		.amdhsa_user_sgpr_dispatch_ptr 0
		.amdhsa_user_sgpr_queue_ptr 0
		.amdhsa_user_sgpr_kernarg_segment_ptr 1
		.amdhsa_user_sgpr_dispatch_id 0
		.amdhsa_user_sgpr_kernarg_preload_length 0
		.amdhsa_user_sgpr_kernarg_preload_offset 0
		.amdhsa_user_sgpr_private_segment_size 0
		.amdhsa_wavefront_size32 1
		.amdhsa_uses_dynamic_stack 0
		.amdhsa_enable_private_segment 0
		.amdhsa_system_sgpr_workgroup_id_x 1
		.amdhsa_system_sgpr_workgroup_id_y 0
		.amdhsa_system_sgpr_workgroup_id_z 0
		.amdhsa_system_sgpr_workgroup_info 0
		.amdhsa_system_vgpr_workitem_id 0
		.amdhsa_next_free_vgpr 1
		.amdhsa_next_free_sgpr 1
		.amdhsa_named_barrier_count 0
		.amdhsa_reserve_vcc 0
		.amdhsa_float_round_mode_32 0
		.amdhsa_float_round_mode_16_64 0
		.amdhsa_float_denorm_mode_32 3
		.amdhsa_float_denorm_mode_16_64 3
		.amdhsa_fp16_overflow 0
		.amdhsa_memory_ordered 1
		.amdhsa_forward_progress 1
		.amdhsa_inst_pref_size 0
		.amdhsa_round_robin_scheduling 0
		.amdhsa_exception_fp_ieee_invalid_op 0
		.amdhsa_exception_fp_denorm_src 0
		.amdhsa_exception_fp_ieee_div_zero 0
		.amdhsa_exception_fp_ieee_overflow 0
		.amdhsa_exception_fp_ieee_underflow 0
		.amdhsa_exception_fp_ieee_inexact 0
		.amdhsa_exception_int_div_zero 0
	.end_amdhsa_kernel
	.section	.text._ZN7rocprim17ROCPRIM_400000_NS6detail17trampoline_kernelINS0_14default_configENS1_36segmented_radix_sort_config_selectorIilEEZNS1_25segmented_radix_sort_implIS3_Lb0EPKiPiPKlPlN2at6native12_GLOBAL__N_18offset_tEEE10hipError_tPvRmT1_PNSt15iterator_traitsISK_E10value_typeET2_T3_PNSL_ISQ_E10value_typeET4_jRbjT5_SW_jjP12ihipStream_tbEUlT_E1_NS1_11comp_targetILNS1_3genE4ELNS1_11target_archE910ELNS1_3gpuE8ELNS1_3repE0EEENS1_59segmented_radix_sort_warp_sort_small_config_static_selectorELNS0_4arch9wavefront6targetE0EEEvSK_,"axG",@progbits,_ZN7rocprim17ROCPRIM_400000_NS6detail17trampoline_kernelINS0_14default_configENS1_36segmented_radix_sort_config_selectorIilEEZNS1_25segmented_radix_sort_implIS3_Lb0EPKiPiPKlPlN2at6native12_GLOBAL__N_18offset_tEEE10hipError_tPvRmT1_PNSt15iterator_traitsISK_E10value_typeET2_T3_PNSL_ISQ_E10value_typeET4_jRbjT5_SW_jjP12ihipStream_tbEUlT_E1_NS1_11comp_targetILNS1_3genE4ELNS1_11target_archE910ELNS1_3gpuE8ELNS1_3repE0EEENS1_59segmented_radix_sort_warp_sort_small_config_static_selectorELNS0_4arch9wavefront6targetE0EEEvSK_,comdat
.Lfunc_end619:
	.size	_ZN7rocprim17ROCPRIM_400000_NS6detail17trampoline_kernelINS0_14default_configENS1_36segmented_radix_sort_config_selectorIilEEZNS1_25segmented_radix_sort_implIS3_Lb0EPKiPiPKlPlN2at6native12_GLOBAL__N_18offset_tEEE10hipError_tPvRmT1_PNSt15iterator_traitsISK_E10value_typeET2_T3_PNSL_ISQ_E10value_typeET4_jRbjT5_SW_jjP12ihipStream_tbEUlT_E1_NS1_11comp_targetILNS1_3genE4ELNS1_11target_archE910ELNS1_3gpuE8ELNS1_3repE0EEENS1_59segmented_radix_sort_warp_sort_small_config_static_selectorELNS0_4arch9wavefront6targetE0EEEvSK_, .Lfunc_end619-_ZN7rocprim17ROCPRIM_400000_NS6detail17trampoline_kernelINS0_14default_configENS1_36segmented_radix_sort_config_selectorIilEEZNS1_25segmented_radix_sort_implIS3_Lb0EPKiPiPKlPlN2at6native12_GLOBAL__N_18offset_tEEE10hipError_tPvRmT1_PNSt15iterator_traitsISK_E10value_typeET2_T3_PNSL_ISQ_E10value_typeET4_jRbjT5_SW_jjP12ihipStream_tbEUlT_E1_NS1_11comp_targetILNS1_3genE4ELNS1_11target_archE910ELNS1_3gpuE8ELNS1_3repE0EEENS1_59segmented_radix_sort_warp_sort_small_config_static_selectorELNS0_4arch9wavefront6targetE0EEEvSK_
                                        ; -- End function
	.set _ZN7rocprim17ROCPRIM_400000_NS6detail17trampoline_kernelINS0_14default_configENS1_36segmented_radix_sort_config_selectorIilEEZNS1_25segmented_radix_sort_implIS3_Lb0EPKiPiPKlPlN2at6native12_GLOBAL__N_18offset_tEEE10hipError_tPvRmT1_PNSt15iterator_traitsISK_E10value_typeET2_T3_PNSL_ISQ_E10value_typeET4_jRbjT5_SW_jjP12ihipStream_tbEUlT_E1_NS1_11comp_targetILNS1_3genE4ELNS1_11target_archE910ELNS1_3gpuE8ELNS1_3repE0EEENS1_59segmented_radix_sort_warp_sort_small_config_static_selectorELNS0_4arch9wavefront6targetE0EEEvSK_.num_vgpr, 0
	.set _ZN7rocprim17ROCPRIM_400000_NS6detail17trampoline_kernelINS0_14default_configENS1_36segmented_radix_sort_config_selectorIilEEZNS1_25segmented_radix_sort_implIS3_Lb0EPKiPiPKlPlN2at6native12_GLOBAL__N_18offset_tEEE10hipError_tPvRmT1_PNSt15iterator_traitsISK_E10value_typeET2_T3_PNSL_ISQ_E10value_typeET4_jRbjT5_SW_jjP12ihipStream_tbEUlT_E1_NS1_11comp_targetILNS1_3genE4ELNS1_11target_archE910ELNS1_3gpuE8ELNS1_3repE0EEENS1_59segmented_radix_sort_warp_sort_small_config_static_selectorELNS0_4arch9wavefront6targetE0EEEvSK_.num_agpr, 0
	.set _ZN7rocprim17ROCPRIM_400000_NS6detail17trampoline_kernelINS0_14default_configENS1_36segmented_radix_sort_config_selectorIilEEZNS1_25segmented_radix_sort_implIS3_Lb0EPKiPiPKlPlN2at6native12_GLOBAL__N_18offset_tEEE10hipError_tPvRmT1_PNSt15iterator_traitsISK_E10value_typeET2_T3_PNSL_ISQ_E10value_typeET4_jRbjT5_SW_jjP12ihipStream_tbEUlT_E1_NS1_11comp_targetILNS1_3genE4ELNS1_11target_archE910ELNS1_3gpuE8ELNS1_3repE0EEENS1_59segmented_radix_sort_warp_sort_small_config_static_selectorELNS0_4arch9wavefront6targetE0EEEvSK_.numbered_sgpr, 0
	.set _ZN7rocprim17ROCPRIM_400000_NS6detail17trampoline_kernelINS0_14default_configENS1_36segmented_radix_sort_config_selectorIilEEZNS1_25segmented_radix_sort_implIS3_Lb0EPKiPiPKlPlN2at6native12_GLOBAL__N_18offset_tEEE10hipError_tPvRmT1_PNSt15iterator_traitsISK_E10value_typeET2_T3_PNSL_ISQ_E10value_typeET4_jRbjT5_SW_jjP12ihipStream_tbEUlT_E1_NS1_11comp_targetILNS1_3genE4ELNS1_11target_archE910ELNS1_3gpuE8ELNS1_3repE0EEENS1_59segmented_radix_sort_warp_sort_small_config_static_selectorELNS0_4arch9wavefront6targetE0EEEvSK_.num_named_barrier, 0
	.set _ZN7rocprim17ROCPRIM_400000_NS6detail17trampoline_kernelINS0_14default_configENS1_36segmented_radix_sort_config_selectorIilEEZNS1_25segmented_radix_sort_implIS3_Lb0EPKiPiPKlPlN2at6native12_GLOBAL__N_18offset_tEEE10hipError_tPvRmT1_PNSt15iterator_traitsISK_E10value_typeET2_T3_PNSL_ISQ_E10value_typeET4_jRbjT5_SW_jjP12ihipStream_tbEUlT_E1_NS1_11comp_targetILNS1_3genE4ELNS1_11target_archE910ELNS1_3gpuE8ELNS1_3repE0EEENS1_59segmented_radix_sort_warp_sort_small_config_static_selectorELNS0_4arch9wavefront6targetE0EEEvSK_.private_seg_size, 0
	.set _ZN7rocprim17ROCPRIM_400000_NS6detail17trampoline_kernelINS0_14default_configENS1_36segmented_radix_sort_config_selectorIilEEZNS1_25segmented_radix_sort_implIS3_Lb0EPKiPiPKlPlN2at6native12_GLOBAL__N_18offset_tEEE10hipError_tPvRmT1_PNSt15iterator_traitsISK_E10value_typeET2_T3_PNSL_ISQ_E10value_typeET4_jRbjT5_SW_jjP12ihipStream_tbEUlT_E1_NS1_11comp_targetILNS1_3genE4ELNS1_11target_archE910ELNS1_3gpuE8ELNS1_3repE0EEENS1_59segmented_radix_sort_warp_sort_small_config_static_selectorELNS0_4arch9wavefront6targetE0EEEvSK_.uses_vcc, 0
	.set _ZN7rocprim17ROCPRIM_400000_NS6detail17trampoline_kernelINS0_14default_configENS1_36segmented_radix_sort_config_selectorIilEEZNS1_25segmented_radix_sort_implIS3_Lb0EPKiPiPKlPlN2at6native12_GLOBAL__N_18offset_tEEE10hipError_tPvRmT1_PNSt15iterator_traitsISK_E10value_typeET2_T3_PNSL_ISQ_E10value_typeET4_jRbjT5_SW_jjP12ihipStream_tbEUlT_E1_NS1_11comp_targetILNS1_3genE4ELNS1_11target_archE910ELNS1_3gpuE8ELNS1_3repE0EEENS1_59segmented_radix_sort_warp_sort_small_config_static_selectorELNS0_4arch9wavefront6targetE0EEEvSK_.uses_flat_scratch, 0
	.set _ZN7rocprim17ROCPRIM_400000_NS6detail17trampoline_kernelINS0_14default_configENS1_36segmented_radix_sort_config_selectorIilEEZNS1_25segmented_radix_sort_implIS3_Lb0EPKiPiPKlPlN2at6native12_GLOBAL__N_18offset_tEEE10hipError_tPvRmT1_PNSt15iterator_traitsISK_E10value_typeET2_T3_PNSL_ISQ_E10value_typeET4_jRbjT5_SW_jjP12ihipStream_tbEUlT_E1_NS1_11comp_targetILNS1_3genE4ELNS1_11target_archE910ELNS1_3gpuE8ELNS1_3repE0EEENS1_59segmented_radix_sort_warp_sort_small_config_static_selectorELNS0_4arch9wavefront6targetE0EEEvSK_.has_dyn_sized_stack, 0
	.set _ZN7rocprim17ROCPRIM_400000_NS6detail17trampoline_kernelINS0_14default_configENS1_36segmented_radix_sort_config_selectorIilEEZNS1_25segmented_radix_sort_implIS3_Lb0EPKiPiPKlPlN2at6native12_GLOBAL__N_18offset_tEEE10hipError_tPvRmT1_PNSt15iterator_traitsISK_E10value_typeET2_T3_PNSL_ISQ_E10value_typeET4_jRbjT5_SW_jjP12ihipStream_tbEUlT_E1_NS1_11comp_targetILNS1_3genE4ELNS1_11target_archE910ELNS1_3gpuE8ELNS1_3repE0EEENS1_59segmented_radix_sort_warp_sort_small_config_static_selectorELNS0_4arch9wavefront6targetE0EEEvSK_.has_recursion, 0
	.set _ZN7rocprim17ROCPRIM_400000_NS6detail17trampoline_kernelINS0_14default_configENS1_36segmented_radix_sort_config_selectorIilEEZNS1_25segmented_radix_sort_implIS3_Lb0EPKiPiPKlPlN2at6native12_GLOBAL__N_18offset_tEEE10hipError_tPvRmT1_PNSt15iterator_traitsISK_E10value_typeET2_T3_PNSL_ISQ_E10value_typeET4_jRbjT5_SW_jjP12ihipStream_tbEUlT_E1_NS1_11comp_targetILNS1_3genE4ELNS1_11target_archE910ELNS1_3gpuE8ELNS1_3repE0EEENS1_59segmented_radix_sort_warp_sort_small_config_static_selectorELNS0_4arch9wavefront6targetE0EEEvSK_.has_indirect_call, 0
	.section	.AMDGPU.csdata,"",@progbits
; Kernel info:
; codeLenInByte = 0
; TotalNumSgprs: 0
; NumVgprs: 0
; ScratchSize: 0
; MemoryBound: 0
; FloatMode: 240
; IeeeMode: 1
; LDSByteSize: 0 bytes/workgroup (compile time only)
; SGPRBlocks: 0
; VGPRBlocks: 0
; NumSGPRsForWavesPerEU: 1
; NumVGPRsForWavesPerEU: 1
; NamedBarCnt: 0
; Occupancy: 16
; WaveLimiterHint : 0
; COMPUTE_PGM_RSRC2:SCRATCH_EN: 0
; COMPUTE_PGM_RSRC2:USER_SGPR: 2
; COMPUTE_PGM_RSRC2:TRAP_HANDLER: 0
; COMPUTE_PGM_RSRC2:TGID_X_EN: 1
; COMPUTE_PGM_RSRC2:TGID_Y_EN: 0
; COMPUTE_PGM_RSRC2:TGID_Z_EN: 0
; COMPUTE_PGM_RSRC2:TIDIG_COMP_CNT: 0
	.section	.text._ZN7rocprim17ROCPRIM_400000_NS6detail17trampoline_kernelINS0_14default_configENS1_36segmented_radix_sort_config_selectorIilEEZNS1_25segmented_radix_sort_implIS3_Lb0EPKiPiPKlPlN2at6native12_GLOBAL__N_18offset_tEEE10hipError_tPvRmT1_PNSt15iterator_traitsISK_E10value_typeET2_T3_PNSL_ISQ_E10value_typeET4_jRbjT5_SW_jjP12ihipStream_tbEUlT_E1_NS1_11comp_targetILNS1_3genE3ELNS1_11target_archE908ELNS1_3gpuE7ELNS1_3repE0EEENS1_59segmented_radix_sort_warp_sort_small_config_static_selectorELNS0_4arch9wavefront6targetE0EEEvSK_,"axG",@progbits,_ZN7rocprim17ROCPRIM_400000_NS6detail17trampoline_kernelINS0_14default_configENS1_36segmented_radix_sort_config_selectorIilEEZNS1_25segmented_radix_sort_implIS3_Lb0EPKiPiPKlPlN2at6native12_GLOBAL__N_18offset_tEEE10hipError_tPvRmT1_PNSt15iterator_traitsISK_E10value_typeET2_T3_PNSL_ISQ_E10value_typeET4_jRbjT5_SW_jjP12ihipStream_tbEUlT_E1_NS1_11comp_targetILNS1_3genE3ELNS1_11target_archE908ELNS1_3gpuE7ELNS1_3repE0EEENS1_59segmented_radix_sort_warp_sort_small_config_static_selectorELNS0_4arch9wavefront6targetE0EEEvSK_,comdat
	.globl	_ZN7rocprim17ROCPRIM_400000_NS6detail17trampoline_kernelINS0_14default_configENS1_36segmented_radix_sort_config_selectorIilEEZNS1_25segmented_radix_sort_implIS3_Lb0EPKiPiPKlPlN2at6native12_GLOBAL__N_18offset_tEEE10hipError_tPvRmT1_PNSt15iterator_traitsISK_E10value_typeET2_T3_PNSL_ISQ_E10value_typeET4_jRbjT5_SW_jjP12ihipStream_tbEUlT_E1_NS1_11comp_targetILNS1_3genE3ELNS1_11target_archE908ELNS1_3gpuE7ELNS1_3repE0EEENS1_59segmented_radix_sort_warp_sort_small_config_static_selectorELNS0_4arch9wavefront6targetE0EEEvSK_ ; -- Begin function _ZN7rocprim17ROCPRIM_400000_NS6detail17trampoline_kernelINS0_14default_configENS1_36segmented_radix_sort_config_selectorIilEEZNS1_25segmented_radix_sort_implIS3_Lb0EPKiPiPKlPlN2at6native12_GLOBAL__N_18offset_tEEE10hipError_tPvRmT1_PNSt15iterator_traitsISK_E10value_typeET2_T3_PNSL_ISQ_E10value_typeET4_jRbjT5_SW_jjP12ihipStream_tbEUlT_E1_NS1_11comp_targetILNS1_3genE3ELNS1_11target_archE908ELNS1_3gpuE7ELNS1_3repE0EEENS1_59segmented_radix_sort_warp_sort_small_config_static_selectorELNS0_4arch9wavefront6targetE0EEEvSK_
	.p2align	8
	.type	_ZN7rocprim17ROCPRIM_400000_NS6detail17trampoline_kernelINS0_14default_configENS1_36segmented_radix_sort_config_selectorIilEEZNS1_25segmented_radix_sort_implIS3_Lb0EPKiPiPKlPlN2at6native12_GLOBAL__N_18offset_tEEE10hipError_tPvRmT1_PNSt15iterator_traitsISK_E10value_typeET2_T3_PNSL_ISQ_E10value_typeET4_jRbjT5_SW_jjP12ihipStream_tbEUlT_E1_NS1_11comp_targetILNS1_3genE3ELNS1_11target_archE908ELNS1_3gpuE7ELNS1_3repE0EEENS1_59segmented_radix_sort_warp_sort_small_config_static_selectorELNS0_4arch9wavefront6targetE0EEEvSK_,@function
_ZN7rocprim17ROCPRIM_400000_NS6detail17trampoline_kernelINS0_14default_configENS1_36segmented_radix_sort_config_selectorIilEEZNS1_25segmented_radix_sort_implIS3_Lb0EPKiPiPKlPlN2at6native12_GLOBAL__N_18offset_tEEE10hipError_tPvRmT1_PNSt15iterator_traitsISK_E10value_typeET2_T3_PNSL_ISQ_E10value_typeET4_jRbjT5_SW_jjP12ihipStream_tbEUlT_E1_NS1_11comp_targetILNS1_3genE3ELNS1_11target_archE908ELNS1_3gpuE7ELNS1_3repE0EEENS1_59segmented_radix_sort_warp_sort_small_config_static_selectorELNS0_4arch9wavefront6targetE0EEEvSK_: ; @_ZN7rocprim17ROCPRIM_400000_NS6detail17trampoline_kernelINS0_14default_configENS1_36segmented_radix_sort_config_selectorIilEEZNS1_25segmented_radix_sort_implIS3_Lb0EPKiPiPKlPlN2at6native12_GLOBAL__N_18offset_tEEE10hipError_tPvRmT1_PNSt15iterator_traitsISK_E10value_typeET2_T3_PNSL_ISQ_E10value_typeET4_jRbjT5_SW_jjP12ihipStream_tbEUlT_E1_NS1_11comp_targetILNS1_3genE3ELNS1_11target_archE908ELNS1_3gpuE7ELNS1_3repE0EEENS1_59segmented_radix_sort_warp_sort_small_config_static_selectorELNS0_4arch9wavefront6targetE0EEEvSK_
; %bb.0:
	.section	.rodata,"a",@progbits
	.p2align	6, 0x0
	.amdhsa_kernel _ZN7rocprim17ROCPRIM_400000_NS6detail17trampoline_kernelINS0_14default_configENS1_36segmented_radix_sort_config_selectorIilEEZNS1_25segmented_radix_sort_implIS3_Lb0EPKiPiPKlPlN2at6native12_GLOBAL__N_18offset_tEEE10hipError_tPvRmT1_PNSt15iterator_traitsISK_E10value_typeET2_T3_PNSL_ISQ_E10value_typeET4_jRbjT5_SW_jjP12ihipStream_tbEUlT_E1_NS1_11comp_targetILNS1_3genE3ELNS1_11target_archE908ELNS1_3gpuE7ELNS1_3repE0EEENS1_59segmented_radix_sort_warp_sort_small_config_static_selectorELNS0_4arch9wavefront6targetE0EEEvSK_
		.amdhsa_group_segment_fixed_size 0
		.amdhsa_private_segment_fixed_size 0
		.amdhsa_kernarg_size 88
		.amdhsa_user_sgpr_count 2
		.amdhsa_user_sgpr_dispatch_ptr 0
		.amdhsa_user_sgpr_queue_ptr 0
		.amdhsa_user_sgpr_kernarg_segment_ptr 1
		.amdhsa_user_sgpr_dispatch_id 0
		.amdhsa_user_sgpr_kernarg_preload_length 0
		.amdhsa_user_sgpr_kernarg_preload_offset 0
		.amdhsa_user_sgpr_private_segment_size 0
		.amdhsa_wavefront_size32 1
		.amdhsa_uses_dynamic_stack 0
		.amdhsa_enable_private_segment 0
		.amdhsa_system_sgpr_workgroup_id_x 1
		.amdhsa_system_sgpr_workgroup_id_y 0
		.amdhsa_system_sgpr_workgroup_id_z 0
		.amdhsa_system_sgpr_workgroup_info 0
		.amdhsa_system_vgpr_workitem_id 0
		.amdhsa_next_free_vgpr 1
		.amdhsa_next_free_sgpr 1
		.amdhsa_named_barrier_count 0
		.amdhsa_reserve_vcc 0
		.amdhsa_float_round_mode_32 0
		.amdhsa_float_round_mode_16_64 0
		.amdhsa_float_denorm_mode_32 3
		.amdhsa_float_denorm_mode_16_64 3
		.amdhsa_fp16_overflow 0
		.amdhsa_memory_ordered 1
		.amdhsa_forward_progress 1
		.amdhsa_inst_pref_size 0
		.amdhsa_round_robin_scheduling 0
		.amdhsa_exception_fp_ieee_invalid_op 0
		.amdhsa_exception_fp_denorm_src 0
		.amdhsa_exception_fp_ieee_div_zero 0
		.amdhsa_exception_fp_ieee_overflow 0
		.amdhsa_exception_fp_ieee_underflow 0
		.amdhsa_exception_fp_ieee_inexact 0
		.amdhsa_exception_int_div_zero 0
	.end_amdhsa_kernel
	.section	.text._ZN7rocprim17ROCPRIM_400000_NS6detail17trampoline_kernelINS0_14default_configENS1_36segmented_radix_sort_config_selectorIilEEZNS1_25segmented_radix_sort_implIS3_Lb0EPKiPiPKlPlN2at6native12_GLOBAL__N_18offset_tEEE10hipError_tPvRmT1_PNSt15iterator_traitsISK_E10value_typeET2_T3_PNSL_ISQ_E10value_typeET4_jRbjT5_SW_jjP12ihipStream_tbEUlT_E1_NS1_11comp_targetILNS1_3genE3ELNS1_11target_archE908ELNS1_3gpuE7ELNS1_3repE0EEENS1_59segmented_radix_sort_warp_sort_small_config_static_selectorELNS0_4arch9wavefront6targetE0EEEvSK_,"axG",@progbits,_ZN7rocprim17ROCPRIM_400000_NS6detail17trampoline_kernelINS0_14default_configENS1_36segmented_radix_sort_config_selectorIilEEZNS1_25segmented_radix_sort_implIS3_Lb0EPKiPiPKlPlN2at6native12_GLOBAL__N_18offset_tEEE10hipError_tPvRmT1_PNSt15iterator_traitsISK_E10value_typeET2_T3_PNSL_ISQ_E10value_typeET4_jRbjT5_SW_jjP12ihipStream_tbEUlT_E1_NS1_11comp_targetILNS1_3genE3ELNS1_11target_archE908ELNS1_3gpuE7ELNS1_3repE0EEENS1_59segmented_radix_sort_warp_sort_small_config_static_selectorELNS0_4arch9wavefront6targetE0EEEvSK_,comdat
.Lfunc_end620:
	.size	_ZN7rocprim17ROCPRIM_400000_NS6detail17trampoline_kernelINS0_14default_configENS1_36segmented_radix_sort_config_selectorIilEEZNS1_25segmented_radix_sort_implIS3_Lb0EPKiPiPKlPlN2at6native12_GLOBAL__N_18offset_tEEE10hipError_tPvRmT1_PNSt15iterator_traitsISK_E10value_typeET2_T3_PNSL_ISQ_E10value_typeET4_jRbjT5_SW_jjP12ihipStream_tbEUlT_E1_NS1_11comp_targetILNS1_3genE3ELNS1_11target_archE908ELNS1_3gpuE7ELNS1_3repE0EEENS1_59segmented_radix_sort_warp_sort_small_config_static_selectorELNS0_4arch9wavefront6targetE0EEEvSK_, .Lfunc_end620-_ZN7rocprim17ROCPRIM_400000_NS6detail17trampoline_kernelINS0_14default_configENS1_36segmented_radix_sort_config_selectorIilEEZNS1_25segmented_radix_sort_implIS3_Lb0EPKiPiPKlPlN2at6native12_GLOBAL__N_18offset_tEEE10hipError_tPvRmT1_PNSt15iterator_traitsISK_E10value_typeET2_T3_PNSL_ISQ_E10value_typeET4_jRbjT5_SW_jjP12ihipStream_tbEUlT_E1_NS1_11comp_targetILNS1_3genE3ELNS1_11target_archE908ELNS1_3gpuE7ELNS1_3repE0EEENS1_59segmented_radix_sort_warp_sort_small_config_static_selectorELNS0_4arch9wavefront6targetE0EEEvSK_
                                        ; -- End function
	.set _ZN7rocprim17ROCPRIM_400000_NS6detail17trampoline_kernelINS0_14default_configENS1_36segmented_radix_sort_config_selectorIilEEZNS1_25segmented_radix_sort_implIS3_Lb0EPKiPiPKlPlN2at6native12_GLOBAL__N_18offset_tEEE10hipError_tPvRmT1_PNSt15iterator_traitsISK_E10value_typeET2_T3_PNSL_ISQ_E10value_typeET4_jRbjT5_SW_jjP12ihipStream_tbEUlT_E1_NS1_11comp_targetILNS1_3genE3ELNS1_11target_archE908ELNS1_3gpuE7ELNS1_3repE0EEENS1_59segmented_radix_sort_warp_sort_small_config_static_selectorELNS0_4arch9wavefront6targetE0EEEvSK_.num_vgpr, 0
	.set _ZN7rocprim17ROCPRIM_400000_NS6detail17trampoline_kernelINS0_14default_configENS1_36segmented_radix_sort_config_selectorIilEEZNS1_25segmented_radix_sort_implIS3_Lb0EPKiPiPKlPlN2at6native12_GLOBAL__N_18offset_tEEE10hipError_tPvRmT1_PNSt15iterator_traitsISK_E10value_typeET2_T3_PNSL_ISQ_E10value_typeET4_jRbjT5_SW_jjP12ihipStream_tbEUlT_E1_NS1_11comp_targetILNS1_3genE3ELNS1_11target_archE908ELNS1_3gpuE7ELNS1_3repE0EEENS1_59segmented_radix_sort_warp_sort_small_config_static_selectorELNS0_4arch9wavefront6targetE0EEEvSK_.num_agpr, 0
	.set _ZN7rocprim17ROCPRIM_400000_NS6detail17trampoline_kernelINS0_14default_configENS1_36segmented_radix_sort_config_selectorIilEEZNS1_25segmented_radix_sort_implIS3_Lb0EPKiPiPKlPlN2at6native12_GLOBAL__N_18offset_tEEE10hipError_tPvRmT1_PNSt15iterator_traitsISK_E10value_typeET2_T3_PNSL_ISQ_E10value_typeET4_jRbjT5_SW_jjP12ihipStream_tbEUlT_E1_NS1_11comp_targetILNS1_3genE3ELNS1_11target_archE908ELNS1_3gpuE7ELNS1_3repE0EEENS1_59segmented_radix_sort_warp_sort_small_config_static_selectorELNS0_4arch9wavefront6targetE0EEEvSK_.numbered_sgpr, 0
	.set _ZN7rocprim17ROCPRIM_400000_NS6detail17trampoline_kernelINS0_14default_configENS1_36segmented_radix_sort_config_selectorIilEEZNS1_25segmented_radix_sort_implIS3_Lb0EPKiPiPKlPlN2at6native12_GLOBAL__N_18offset_tEEE10hipError_tPvRmT1_PNSt15iterator_traitsISK_E10value_typeET2_T3_PNSL_ISQ_E10value_typeET4_jRbjT5_SW_jjP12ihipStream_tbEUlT_E1_NS1_11comp_targetILNS1_3genE3ELNS1_11target_archE908ELNS1_3gpuE7ELNS1_3repE0EEENS1_59segmented_radix_sort_warp_sort_small_config_static_selectorELNS0_4arch9wavefront6targetE0EEEvSK_.num_named_barrier, 0
	.set _ZN7rocprim17ROCPRIM_400000_NS6detail17trampoline_kernelINS0_14default_configENS1_36segmented_radix_sort_config_selectorIilEEZNS1_25segmented_radix_sort_implIS3_Lb0EPKiPiPKlPlN2at6native12_GLOBAL__N_18offset_tEEE10hipError_tPvRmT1_PNSt15iterator_traitsISK_E10value_typeET2_T3_PNSL_ISQ_E10value_typeET4_jRbjT5_SW_jjP12ihipStream_tbEUlT_E1_NS1_11comp_targetILNS1_3genE3ELNS1_11target_archE908ELNS1_3gpuE7ELNS1_3repE0EEENS1_59segmented_radix_sort_warp_sort_small_config_static_selectorELNS0_4arch9wavefront6targetE0EEEvSK_.private_seg_size, 0
	.set _ZN7rocprim17ROCPRIM_400000_NS6detail17trampoline_kernelINS0_14default_configENS1_36segmented_radix_sort_config_selectorIilEEZNS1_25segmented_radix_sort_implIS3_Lb0EPKiPiPKlPlN2at6native12_GLOBAL__N_18offset_tEEE10hipError_tPvRmT1_PNSt15iterator_traitsISK_E10value_typeET2_T3_PNSL_ISQ_E10value_typeET4_jRbjT5_SW_jjP12ihipStream_tbEUlT_E1_NS1_11comp_targetILNS1_3genE3ELNS1_11target_archE908ELNS1_3gpuE7ELNS1_3repE0EEENS1_59segmented_radix_sort_warp_sort_small_config_static_selectorELNS0_4arch9wavefront6targetE0EEEvSK_.uses_vcc, 0
	.set _ZN7rocprim17ROCPRIM_400000_NS6detail17trampoline_kernelINS0_14default_configENS1_36segmented_radix_sort_config_selectorIilEEZNS1_25segmented_radix_sort_implIS3_Lb0EPKiPiPKlPlN2at6native12_GLOBAL__N_18offset_tEEE10hipError_tPvRmT1_PNSt15iterator_traitsISK_E10value_typeET2_T3_PNSL_ISQ_E10value_typeET4_jRbjT5_SW_jjP12ihipStream_tbEUlT_E1_NS1_11comp_targetILNS1_3genE3ELNS1_11target_archE908ELNS1_3gpuE7ELNS1_3repE0EEENS1_59segmented_radix_sort_warp_sort_small_config_static_selectorELNS0_4arch9wavefront6targetE0EEEvSK_.uses_flat_scratch, 0
	.set _ZN7rocprim17ROCPRIM_400000_NS6detail17trampoline_kernelINS0_14default_configENS1_36segmented_radix_sort_config_selectorIilEEZNS1_25segmented_radix_sort_implIS3_Lb0EPKiPiPKlPlN2at6native12_GLOBAL__N_18offset_tEEE10hipError_tPvRmT1_PNSt15iterator_traitsISK_E10value_typeET2_T3_PNSL_ISQ_E10value_typeET4_jRbjT5_SW_jjP12ihipStream_tbEUlT_E1_NS1_11comp_targetILNS1_3genE3ELNS1_11target_archE908ELNS1_3gpuE7ELNS1_3repE0EEENS1_59segmented_radix_sort_warp_sort_small_config_static_selectorELNS0_4arch9wavefront6targetE0EEEvSK_.has_dyn_sized_stack, 0
	.set _ZN7rocprim17ROCPRIM_400000_NS6detail17trampoline_kernelINS0_14default_configENS1_36segmented_radix_sort_config_selectorIilEEZNS1_25segmented_radix_sort_implIS3_Lb0EPKiPiPKlPlN2at6native12_GLOBAL__N_18offset_tEEE10hipError_tPvRmT1_PNSt15iterator_traitsISK_E10value_typeET2_T3_PNSL_ISQ_E10value_typeET4_jRbjT5_SW_jjP12ihipStream_tbEUlT_E1_NS1_11comp_targetILNS1_3genE3ELNS1_11target_archE908ELNS1_3gpuE7ELNS1_3repE0EEENS1_59segmented_radix_sort_warp_sort_small_config_static_selectorELNS0_4arch9wavefront6targetE0EEEvSK_.has_recursion, 0
	.set _ZN7rocprim17ROCPRIM_400000_NS6detail17trampoline_kernelINS0_14default_configENS1_36segmented_radix_sort_config_selectorIilEEZNS1_25segmented_radix_sort_implIS3_Lb0EPKiPiPKlPlN2at6native12_GLOBAL__N_18offset_tEEE10hipError_tPvRmT1_PNSt15iterator_traitsISK_E10value_typeET2_T3_PNSL_ISQ_E10value_typeET4_jRbjT5_SW_jjP12ihipStream_tbEUlT_E1_NS1_11comp_targetILNS1_3genE3ELNS1_11target_archE908ELNS1_3gpuE7ELNS1_3repE0EEENS1_59segmented_radix_sort_warp_sort_small_config_static_selectorELNS0_4arch9wavefront6targetE0EEEvSK_.has_indirect_call, 0
	.section	.AMDGPU.csdata,"",@progbits
; Kernel info:
; codeLenInByte = 0
; TotalNumSgprs: 0
; NumVgprs: 0
; ScratchSize: 0
; MemoryBound: 0
; FloatMode: 240
; IeeeMode: 1
; LDSByteSize: 0 bytes/workgroup (compile time only)
; SGPRBlocks: 0
; VGPRBlocks: 0
; NumSGPRsForWavesPerEU: 1
; NumVGPRsForWavesPerEU: 1
; NamedBarCnt: 0
; Occupancy: 16
; WaveLimiterHint : 0
; COMPUTE_PGM_RSRC2:SCRATCH_EN: 0
; COMPUTE_PGM_RSRC2:USER_SGPR: 2
; COMPUTE_PGM_RSRC2:TRAP_HANDLER: 0
; COMPUTE_PGM_RSRC2:TGID_X_EN: 1
; COMPUTE_PGM_RSRC2:TGID_Y_EN: 0
; COMPUTE_PGM_RSRC2:TGID_Z_EN: 0
; COMPUTE_PGM_RSRC2:TIDIG_COMP_CNT: 0
	.section	.text._ZN7rocprim17ROCPRIM_400000_NS6detail17trampoline_kernelINS0_14default_configENS1_36segmented_radix_sort_config_selectorIilEEZNS1_25segmented_radix_sort_implIS3_Lb0EPKiPiPKlPlN2at6native12_GLOBAL__N_18offset_tEEE10hipError_tPvRmT1_PNSt15iterator_traitsISK_E10value_typeET2_T3_PNSL_ISQ_E10value_typeET4_jRbjT5_SW_jjP12ihipStream_tbEUlT_E1_NS1_11comp_targetILNS1_3genE2ELNS1_11target_archE906ELNS1_3gpuE6ELNS1_3repE0EEENS1_59segmented_radix_sort_warp_sort_small_config_static_selectorELNS0_4arch9wavefront6targetE0EEEvSK_,"axG",@progbits,_ZN7rocprim17ROCPRIM_400000_NS6detail17trampoline_kernelINS0_14default_configENS1_36segmented_radix_sort_config_selectorIilEEZNS1_25segmented_radix_sort_implIS3_Lb0EPKiPiPKlPlN2at6native12_GLOBAL__N_18offset_tEEE10hipError_tPvRmT1_PNSt15iterator_traitsISK_E10value_typeET2_T3_PNSL_ISQ_E10value_typeET4_jRbjT5_SW_jjP12ihipStream_tbEUlT_E1_NS1_11comp_targetILNS1_3genE2ELNS1_11target_archE906ELNS1_3gpuE6ELNS1_3repE0EEENS1_59segmented_radix_sort_warp_sort_small_config_static_selectorELNS0_4arch9wavefront6targetE0EEEvSK_,comdat
	.globl	_ZN7rocprim17ROCPRIM_400000_NS6detail17trampoline_kernelINS0_14default_configENS1_36segmented_radix_sort_config_selectorIilEEZNS1_25segmented_radix_sort_implIS3_Lb0EPKiPiPKlPlN2at6native12_GLOBAL__N_18offset_tEEE10hipError_tPvRmT1_PNSt15iterator_traitsISK_E10value_typeET2_T3_PNSL_ISQ_E10value_typeET4_jRbjT5_SW_jjP12ihipStream_tbEUlT_E1_NS1_11comp_targetILNS1_3genE2ELNS1_11target_archE906ELNS1_3gpuE6ELNS1_3repE0EEENS1_59segmented_radix_sort_warp_sort_small_config_static_selectorELNS0_4arch9wavefront6targetE0EEEvSK_ ; -- Begin function _ZN7rocprim17ROCPRIM_400000_NS6detail17trampoline_kernelINS0_14default_configENS1_36segmented_radix_sort_config_selectorIilEEZNS1_25segmented_radix_sort_implIS3_Lb0EPKiPiPKlPlN2at6native12_GLOBAL__N_18offset_tEEE10hipError_tPvRmT1_PNSt15iterator_traitsISK_E10value_typeET2_T3_PNSL_ISQ_E10value_typeET4_jRbjT5_SW_jjP12ihipStream_tbEUlT_E1_NS1_11comp_targetILNS1_3genE2ELNS1_11target_archE906ELNS1_3gpuE6ELNS1_3repE0EEENS1_59segmented_radix_sort_warp_sort_small_config_static_selectorELNS0_4arch9wavefront6targetE0EEEvSK_
	.p2align	8
	.type	_ZN7rocprim17ROCPRIM_400000_NS6detail17trampoline_kernelINS0_14default_configENS1_36segmented_radix_sort_config_selectorIilEEZNS1_25segmented_radix_sort_implIS3_Lb0EPKiPiPKlPlN2at6native12_GLOBAL__N_18offset_tEEE10hipError_tPvRmT1_PNSt15iterator_traitsISK_E10value_typeET2_T3_PNSL_ISQ_E10value_typeET4_jRbjT5_SW_jjP12ihipStream_tbEUlT_E1_NS1_11comp_targetILNS1_3genE2ELNS1_11target_archE906ELNS1_3gpuE6ELNS1_3repE0EEENS1_59segmented_radix_sort_warp_sort_small_config_static_selectorELNS0_4arch9wavefront6targetE0EEEvSK_,@function
_ZN7rocprim17ROCPRIM_400000_NS6detail17trampoline_kernelINS0_14default_configENS1_36segmented_radix_sort_config_selectorIilEEZNS1_25segmented_radix_sort_implIS3_Lb0EPKiPiPKlPlN2at6native12_GLOBAL__N_18offset_tEEE10hipError_tPvRmT1_PNSt15iterator_traitsISK_E10value_typeET2_T3_PNSL_ISQ_E10value_typeET4_jRbjT5_SW_jjP12ihipStream_tbEUlT_E1_NS1_11comp_targetILNS1_3genE2ELNS1_11target_archE906ELNS1_3gpuE6ELNS1_3repE0EEENS1_59segmented_radix_sort_warp_sort_small_config_static_selectorELNS0_4arch9wavefront6targetE0EEEvSK_: ; @_ZN7rocprim17ROCPRIM_400000_NS6detail17trampoline_kernelINS0_14default_configENS1_36segmented_radix_sort_config_selectorIilEEZNS1_25segmented_radix_sort_implIS3_Lb0EPKiPiPKlPlN2at6native12_GLOBAL__N_18offset_tEEE10hipError_tPvRmT1_PNSt15iterator_traitsISK_E10value_typeET2_T3_PNSL_ISQ_E10value_typeET4_jRbjT5_SW_jjP12ihipStream_tbEUlT_E1_NS1_11comp_targetILNS1_3genE2ELNS1_11target_archE906ELNS1_3gpuE6ELNS1_3repE0EEENS1_59segmented_radix_sort_warp_sort_small_config_static_selectorELNS0_4arch9wavefront6targetE0EEEvSK_
; %bb.0:
	.section	.rodata,"a",@progbits
	.p2align	6, 0x0
	.amdhsa_kernel _ZN7rocprim17ROCPRIM_400000_NS6detail17trampoline_kernelINS0_14default_configENS1_36segmented_radix_sort_config_selectorIilEEZNS1_25segmented_radix_sort_implIS3_Lb0EPKiPiPKlPlN2at6native12_GLOBAL__N_18offset_tEEE10hipError_tPvRmT1_PNSt15iterator_traitsISK_E10value_typeET2_T3_PNSL_ISQ_E10value_typeET4_jRbjT5_SW_jjP12ihipStream_tbEUlT_E1_NS1_11comp_targetILNS1_3genE2ELNS1_11target_archE906ELNS1_3gpuE6ELNS1_3repE0EEENS1_59segmented_radix_sort_warp_sort_small_config_static_selectorELNS0_4arch9wavefront6targetE0EEEvSK_
		.amdhsa_group_segment_fixed_size 0
		.amdhsa_private_segment_fixed_size 0
		.amdhsa_kernarg_size 88
		.amdhsa_user_sgpr_count 2
		.amdhsa_user_sgpr_dispatch_ptr 0
		.amdhsa_user_sgpr_queue_ptr 0
		.amdhsa_user_sgpr_kernarg_segment_ptr 1
		.amdhsa_user_sgpr_dispatch_id 0
		.amdhsa_user_sgpr_kernarg_preload_length 0
		.amdhsa_user_sgpr_kernarg_preload_offset 0
		.amdhsa_user_sgpr_private_segment_size 0
		.amdhsa_wavefront_size32 1
		.amdhsa_uses_dynamic_stack 0
		.amdhsa_enable_private_segment 0
		.amdhsa_system_sgpr_workgroup_id_x 1
		.amdhsa_system_sgpr_workgroup_id_y 0
		.amdhsa_system_sgpr_workgroup_id_z 0
		.amdhsa_system_sgpr_workgroup_info 0
		.amdhsa_system_vgpr_workitem_id 0
		.amdhsa_next_free_vgpr 1
		.amdhsa_next_free_sgpr 1
		.amdhsa_named_barrier_count 0
		.amdhsa_reserve_vcc 0
		.amdhsa_float_round_mode_32 0
		.amdhsa_float_round_mode_16_64 0
		.amdhsa_float_denorm_mode_32 3
		.amdhsa_float_denorm_mode_16_64 3
		.amdhsa_fp16_overflow 0
		.amdhsa_memory_ordered 1
		.amdhsa_forward_progress 1
		.amdhsa_inst_pref_size 0
		.amdhsa_round_robin_scheduling 0
		.amdhsa_exception_fp_ieee_invalid_op 0
		.amdhsa_exception_fp_denorm_src 0
		.amdhsa_exception_fp_ieee_div_zero 0
		.amdhsa_exception_fp_ieee_overflow 0
		.amdhsa_exception_fp_ieee_underflow 0
		.amdhsa_exception_fp_ieee_inexact 0
		.amdhsa_exception_int_div_zero 0
	.end_amdhsa_kernel
	.section	.text._ZN7rocprim17ROCPRIM_400000_NS6detail17trampoline_kernelINS0_14default_configENS1_36segmented_radix_sort_config_selectorIilEEZNS1_25segmented_radix_sort_implIS3_Lb0EPKiPiPKlPlN2at6native12_GLOBAL__N_18offset_tEEE10hipError_tPvRmT1_PNSt15iterator_traitsISK_E10value_typeET2_T3_PNSL_ISQ_E10value_typeET4_jRbjT5_SW_jjP12ihipStream_tbEUlT_E1_NS1_11comp_targetILNS1_3genE2ELNS1_11target_archE906ELNS1_3gpuE6ELNS1_3repE0EEENS1_59segmented_radix_sort_warp_sort_small_config_static_selectorELNS0_4arch9wavefront6targetE0EEEvSK_,"axG",@progbits,_ZN7rocprim17ROCPRIM_400000_NS6detail17trampoline_kernelINS0_14default_configENS1_36segmented_radix_sort_config_selectorIilEEZNS1_25segmented_radix_sort_implIS3_Lb0EPKiPiPKlPlN2at6native12_GLOBAL__N_18offset_tEEE10hipError_tPvRmT1_PNSt15iterator_traitsISK_E10value_typeET2_T3_PNSL_ISQ_E10value_typeET4_jRbjT5_SW_jjP12ihipStream_tbEUlT_E1_NS1_11comp_targetILNS1_3genE2ELNS1_11target_archE906ELNS1_3gpuE6ELNS1_3repE0EEENS1_59segmented_radix_sort_warp_sort_small_config_static_selectorELNS0_4arch9wavefront6targetE0EEEvSK_,comdat
.Lfunc_end621:
	.size	_ZN7rocprim17ROCPRIM_400000_NS6detail17trampoline_kernelINS0_14default_configENS1_36segmented_radix_sort_config_selectorIilEEZNS1_25segmented_radix_sort_implIS3_Lb0EPKiPiPKlPlN2at6native12_GLOBAL__N_18offset_tEEE10hipError_tPvRmT1_PNSt15iterator_traitsISK_E10value_typeET2_T3_PNSL_ISQ_E10value_typeET4_jRbjT5_SW_jjP12ihipStream_tbEUlT_E1_NS1_11comp_targetILNS1_3genE2ELNS1_11target_archE906ELNS1_3gpuE6ELNS1_3repE0EEENS1_59segmented_radix_sort_warp_sort_small_config_static_selectorELNS0_4arch9wavefront6targetE0EEEvSK_, .Lfunc_end621-_ZN7rocprim17ROCPRIM_400000_NS6detail17trampoline_kernelINS0_14default_configENS1_36segmented_radix_sort_config_selectorIilEEZNS1_25segmented_radix_sort_implIS3_Lb0EPKiPiPKlPlN2at6native12_GLOBAL__N_18offset_tEEE10hipError_tPvRmT1_PNSt15iterator_traitsISK_E10value_typeET2_T3_PNSL_ISQ_E10value_typeET4_jRbjT5_SW_jjP12ihipStream_tbEUlT_E1_NS1_11comp_targetILNS1_3genE2ELNS1_11target_archE906ELNS1_3gpuE6ELNS1_3repE0EEENS1_59segmented_radix_sort_warp_sort_small_config_static_selectorELNS0_4arch9wavefront6targetE0EEEvSK_
                                        ; -- End function
	.set _ZN7rocprim17ROCPRIM_400000_NS6detail17trampoline_kernelINS0_14default_configENS1_36segmented_radix_sort_config_selectorIilEEZNS1_25segmented_radix_sort_implIS3_Lb0EPKiPiPKlPlN2at6native12_GLOBAL__N_18offset_tEEE10hipError_tPvRmT1_PNSt15iterator_traitsISK_E10value_typeET2_T3_PNSL_ISQ_E10value_typeET4_jRbjT5_SW_jjP12ihipStream_tbEUlT_E1_NS1_11comp_targetILNS1_3genE2ELNS1_11target_archE906ELNS1_3gpuE6ELNS1_3repE0EEENS1_59segmented_radix_sort_warp_sort_small_config_static_selectorELNS0_4arch9wavefront6targetE0EEEvSK_.num_vgpr, 0
	.set _ZN7rocprim17ROCPRIM_400000_NS6detail17trampoline_kernelINS0_14default_configENS1_36segmented_radix_sort_config_selectorIilEEZNS1_25segmented_radix_sort_implIS3_Lb0EPKiPiPKlPlN2at6native12_GLOBAL__N_18offset_tEEE10hipError_tPvRmT1_PNSt15iterator_traitsISK_E10value_typeET2_T3_PNSL_ISQ_E10value_typeET4_jRbjT5_SW_jjP12ihipStream_tbEUlT_E1_NS1_11comp_targetILNS1_3genE2ELNS1_11target_archE906ELNS1_3gpuE6ELNS1_3repE0EEENS1_59segmented_radix_sort_warp_sort_small_config_static_selectorELNS0_4arch9wavefront6targetE0EEEvSK_.num_agpr, 0
	.set _ZN7rocprim17ROCPRIM_400000_NS6detail17trampoline_kernelINS0_14default_configENS1_36segmented_radix_sort_config_selectorIilEEZNS1_25segmented_radix_sort_implIS3_Lb0EPKiPiPKlPlN2at6native12_GLOBAL__N_18offset_tEEE10hipError_tPvRmT1_PNSt15iterator_traitsISK_E10value_typeET2_T3_PNSL_ISQ_E10value_typeET4_jRbjT5_SW_jjP12ihipStream_tbEUlT_E1_NS1_11comp_targetILNS1_3genE2ELNS1_11target_archE906ELNS1_3gpuE6ELNS1_3repE0EEENS1_59segmented_radix_sort_warp_sort_small_config_static_selectorELNS0_4arch9wavefront6targetE0EEEvSK_.numbered_sgpr, 0
	.set _ZN7rocprim17ROCPRIM_400000_NS6detail17trampoline_kernelINS0_14default_configENS1_36segmented_radix_sort_config_selectorIilEEZNS1_25segmented_radix_sort_implIS3_Lb0EPKiPiPKlPlN2at6native12_GLOBAL__N_18offset_tEEE10hipError_tPvRmT1_PNSt15iterator_traitsISK_E10value_typeET2_T3_PNSL_ISQ_E10value_typeET4_jRbjT5_SW_jjP12ihipStream_tbEUlT_E1_NS1_11comp_targetILNS1_3genE2ELNS1_11target_archE906ELNS1_3gpuE6ELNS1_3repE0EEENS1_59segmented_radix_sort_warp_sort_small_config_static_selectorELNS0_4arch9wavefront6targetE0EEEvSK_.num_named_barrier, 0
	.set _ZN7rocprim17ROCPRIM_400000_NS6detail17trampoline_kernelINS0_14default_configENS1_36segmented_radix_sort_config_selectorIilEEZNS1_25segmented_radix_sort_implIS3_Lb0EPKiPiPKlPlN2at6native12_GLOBAL__N_18offset_tEEE10hipError_tPvRmT1_PNSt15iterator_traitsISK_E10value_typeET2_T3_PNSL_ISQ_E10value_typeET4_jRbjT5_SW_jjP12ihipStream_tbEUlT_E1_NS1_11comp_targetILNS1_3genE2ELNS1_11target_archE906ELNS1_3gpuE6ELNS1_3repE0EEENS1_59segmented_radix_sort_warp_sort_small_config_static_selectorELNS0_4arch9wavefront6targetE0EEEvSK_.private_seg_size, 0
	.set _ZN7rocprim17ROCPRIM_400000_NS6detail17trampoline_kernelINS0_14default_configENS1_36segmented_radix_sort_config_selectorIilEEZNS1_25segmented_radix_sort_implIS3_Lb0EPKiPiPKlPlN2at6native12_GLOBAL__N_18offset_tEEE10hipError_tPvRmT1_PNSt15iterator_traitsISK_E10value_typeET2_T3_PNSL_ISQ_E10value_typeET4_jRbjT5_SW_jjP12ihipStream_tbEUlT_E1_NS1_11comp_targetILNS1_3genE2ELNS1_11target_archE906ELNS1_3gpuE6ELNS1_3repE0EEENS1_59segmented_radix_sort_warp_sort_small_config_static_selectorELNS0_4arch9wavefront6targetE0EEEvSK_.uses_vcc, 0
	.set _ZN7rocprim17ROCPRIM_400000_NS6detail17trampoline_kernelINS0_14default_configENS1_36segmented_radix_sort_config_selectorIilEEZNS1_25segmented_radix_sort_implIS3_Lb0EPKiPiPKlPlN2at6native12_GLOBAL__N_18offset_tEEE10hipError_tPvRmT1_PNSt15iterator_traitsISK_E10value_typeET2_T3_PNSL_ISQ_E10value_typeET4_jRbjT5_SW_jjP12ihipStream_tbEUlT_E1_NS1_11comp_targetILNS1_3genE2ELNS1_11target_archE906ELNS1_3gpuE6ELNS1_3repE0EEENS1_59segmented_radix_sort_warp_sort_small_config_static_selectorELNS0_4arch9wavefront6targetE0EEEvSK_.uses_flat_scratch, 0
	.set _ZN7rocprim17ROCPRIM_400000_NS6detail17trampoline_kernelINS0_14default_configENS1_36segmented_radix_sort_config_selectorIilEEZNS1_25segmented_radix_sort_implIS3_Lb0EPKiPiPKlPlN2at6native12_GLOBAL__N_18offset_tEEE10hipError_tPvRmT1_PNSt15iterator_traitsISK_E10value_typeET2_T3_PNSL_ISQ_E10value_typeET4_jRbjT5_SW_jjP12ihipStream_tbEUlT_E1_NS1_11comp_targetILNS1_3genE2ELNS1_11target_archE906ELNS1_3gpuE6ELNS1_3repE0EEENS1_59segmented_radix_sort_warp_sort_small_config_static_selectorELNS0_4arch9wavefront6targetE0EEEvSK_.has_dyn_sized_stack, 0
	.set _ZN7rocprim17ROCPRIM_400000_NS6detail17trampoline_kernelINS0_14default_configENS1_36segmented_radix_sort_config_selectorIilEEZNS1_25segmented_radix_sort_implIS3_Lb0EPKiPiPKlPlN2at6native12_GLOBAL__N_18offset_tEEE10hipError_tPvRmT1_PNSt15iterator_traitsISK_E10value_typeET2_T3_PNSL_ISQ_E10value_typeET4_jRbjT5_SW_jjP12ihipStream_tbEUlT_E1_NS1_11comp_targetILNS1_3genE2ELNS1_11target_archE906ELNS1_3gpuE6ELNS1_3repE0EEENS1_59segmented_radix_sort_warp_sort_small_config_static_selectorELNS0_4arch9wavefront6targetE0EEEvSK_.has_recursion, 0
	.set _ZN7rocprim17ROCPRIM_400000_NS6detail17trampoline_kernelINS0_14default_configENS1_36segmented_radix_sort_config_selectorIilEEZNS1_25segmented_radix_sort_implIS3_Lb0EPKiPiPKlPlN2at6native12_GLOBAL__N_18offset_tEEE10hipError_tPvRmT1_PNSt15iterator_traitsISK_E10value_typeET2_T3_PNSL_ISQ_E10value_typeET4_jRbjT5_SW_jjP12ihipStream_tbEUlT_E1_NS1_11comp_targetILNS1_3genE2ELNS1_11target_archE906ELNS1_3gpuE6ELNS1_3repE0EEENS1_59segmented_radix_sort_warp_sort_small_config_static_selectorELNS0_4arch9wavefront6targetE0EEEvSK_.has_indirect_call, 0
	.section	.AMDGPU.csdata,"",@progbits
; Kernel info:
; codeLenInByte = 0
; TotalNumSgprs: 0
; NumVgprs: 0
; ScratchSize: 0
; MemoryBound: 0
; FloatMode: 240
; IeeeMode: 1
; LDSByteSize: 0 bytes/workgroup (compile time only)
; SGPRBlocks: 0
; VGPRBlocks: 0
; NumSGPRsForWavesPerEU: 1
; NumVGPRsForWavesPerEU: 1
; NamedBarCnt: 0
; Occupancy: 16
; WaveLimiterHint : 0
; COMPUTE_PGM_RSRC2:SCRATCH_EN: 0
; COMPUTE_PGM_RSRC2:USER_SGPR: 2
; COMPUTE_PGM_RSRC2:TRAP_HANDLER: 0
; COMPUTE_PGM_RSRC2:TGID_X_EN: 1
; COMPUTE_PGM_RSRC2:TGID_Y_EN: 0
; COMPUTE_PGM_RSRC2:TGID_Z_EN: 0
; COMPUTE_PGM_RSRC2:TIDIG_COMP_CNT: 0
	.section	.text._ZN7rocprim17ROCPRIM_400000_NS6detail17trampoline_kernelINS0_14default_configENS1_36segmented_radix_sort_config_selectorIilEEZNS1_25segmented_radix_sort_implIS3_Lb0EPKiPiPKlPlN2at6native12_GLOBAL__N_18offset_tEEE10hipError_tPvRmT1_PNSt15iterator_traitsISK_E10value_typeET2_T3_PNSL_ISQ_E10value_typeET4_jRbjT5_SW_jjP12ihipStream_tbEUlT_E1_NS1_11comp_targetILNS1_3genE10ELNS1_11target_archE1201ELNS1_3gpuE5ELNS1_3repE0EEENS1_59segmented_radix_sort_warp_sort_small_config_static_selectorELNS0_4arch9wavefront6targetE0EEEvSK_,"axG",@progbits,_ZN7rocprim17ROCPRIM_400000_NS6detail17trampoline_kernelINS0_14default_configENS1_36segmented_radix_sort_config_selectorIilEEZNS1_25segmented_radix_sort_implIS3_Lb0EPKiPiPKlPlN2at6native12_GLOBAL__N_18offset_tEEE10hipError_tPvRmT1_PNSt15iterator_traitsISK_E10value_typeET2_T3_PNSL_ISQ_E10value_typeET4_jRbjT5_SW_jjP12ihipStream_tbEUlT_E1_NS1_11comp_targetILNS1_3genE10ELNS1_11target_archE1201ELNS1_3gpuE5ELNS1_3repE0EEENS1_59segmented_radix_sort_warp_sort_small_config_static_selectorELNS0_4arch9wavefront6targetE0EEEvSK_,comdat
	.globl	_ZN7rocprim17ROCPRIM_400000_NS6detail17trampoline_kernelINS0_14default_configENS1_36segmented_radix_sort_config_selectorIilEEZNS1_25segmented_radix_sort_implIS3_Lb0EPKiPiPKlPlN2at6native12_GLOBAL__N_18offset_tEEE10hipError_tPvRmT1_PNSt15iterator_traitsISK_E10value_typeET2_T3_PNSL_ISQ_E10value_typeET4_jRbjT5_SW_jjP12ihipStream_tbEUlT_E1_NS1_11comp_targetILNS1_3genE10ELNS1_11target_archE1201ELNS1_3gpuE5ELNS1_3repE0EEENS1_59segmented_radix_sort_warp_sort_small_config_static_selectorELNS0_4arch9wavefront6targetE0EEEvSK_ ; -- Begin function _ZN7rocprim17ROCPRIM_400000_NS6detail17trampoline_kernelINS0_14default_configENS1_36segmented_radix_sort_config_selectorIilEEZNS1_25segmented_radix_sort_implIS3_Lb0EPKiPiPKlPlN2at6native12_GLOBAL__N_18offset_tEEE10hipError_tPvRmT1_PNSt15iterator_traitsISK_E10value_typeET2_T3_PNSL_ISQ_E10value_typeET4_jRbjT5_SW_jjP12ihipStream_tbEUlT_E1_NS1_11comp_targetILNS1_3genE10ELNS1_11target_archE1201ELNS1_3gpuE5ELNS1_3repE0EEENS1_59segmented_radix_sort_warp_sort_small_config_static_selectorELNS0_4arch9wavefront6targetE0EEEvSK_
	.p2align	8
	.type	_ZN7rocprim17ROCPRIM_400000_NS6detail17trampoline_kernelINS0_14default_configENS1_36segmented_radix_sort_config_selectorIilEEZNS1_25segmented_radix_sort_implIS3_Lb0EPKiPiPKlPlN2at6native12_GLOBAL__N_18offset_tEEE10hipError_tPvRmT1_PNSt15iterator_traitsISK_E10value_typeET2_T3_PNSL_ISQ_E10value_typeET4_jRbjT5_SW_jjP12ihipStream_tbEUlT_E1_NS1_11comp_targetILNS1_3genE10ELNS1_11target_archE1201ELNS1_3gpuE5ELNS1_3repE0EEENS1_59segmented_radix_sort_warp_sort_small_config_static_selectorELNS0_4arch9wavefront6targetE0EEEvSK_,@function
_ZN7rocprim17ROCPRIM_400000_NS6detail17trampoline_kernelINS0_14default_configENS1_36segmented_radix_sort_config_selectorIilEEZNS1_25segmented_radix_sort_implIS3_Lb0EPKiPiPKlPlN2at6native12_GLOBAL__N_18offset_tEEE10hipError_tPvRmT1_PNSt15iterator_traitsISK_E10value_typeET2_T3_PNSL_ISQ_E10value_typeET4_jRbjT5_SW_jjP12ihipStream_tbEUlT_E1_NS1_11comp_targetILNS1_3genE10ELNS1_11target_archE1201ELNS1_3gpuE5ELNS1_3repE0EEENS1_59segmented_radix_sort_warp_sort_small_config_static_selectorELNS0_4arch9wavefront6targetE0EEEvSK_: ; @_ZN7rocprim17ROCPRIM_400000_NS6detail17trampoline_kernelINS0_14default_configENS1_36segmented_radix_sort_config_selectorIilEEZNS1_25segmented_radix_sort_implIS3_Lb0EPKiPiPKlPlN2at6native12_GLOBAL__N_18offset_tEEE10hipError_tPvRmT1_PNSt15iterator_traitsISK_E10value_typeET2_T3_PNSL_ISQ_E10value_typeET4_jRbjT5_SW_jjP12ihipStream_tbEUlT_E1_NS1_11comp_targetILNS1_3genE10ELNS1_11target_archE1201ELNS1_3gpuE5ELNS1_3repE0EEENS1_59segmented_radix_sort_warp_sort_small_config_static_selectorELNS0_4arch9wavefront6targetE0EEEvSK_
; %bb.0:
	.section	.rodata,"a",@progbits
	.p2align	6, 0x0
	.amdhsa_kernel _ZN7rocprim17ROCPRIM_400000_NS6detail17trampoline_kernelINS0_14default_configENS1_36segmented_radix_sort_config_selectorIilEEZNS1_25segmented_radix_sort_implIS3_Lb0EPKiPiPKlPlN2at6native12_GLOBAL__N_18offset_tEEE10hipError_tPvRmT1_PNSt15iterator_traitsISK_E10value_typeET2_T3_PNSL_ISQ_E10value_typeET4_jRbjT5_SW_jjP12ihipStream_tbEUlT_E1_NS1_11comp_targetILNS1_3genE10ELNS1_11target_archE1201ELNS1_3gpuE5ELNS1_3repE0EEENS1_59segmented_radix_sort_warp_sort_small_config_static_selectorELNS0_4arch9wavefront6targetE0EEEvSK_
		.amdhsa_group_segment_fixed_size 0
		.amdhsa_private_segment_fixed_size 0
		.amdhsa_kernarg_size 88
		.amdhsa_user_sgpr_count 2
		.amdhsa_user_sgpr_dispatch_ptr 0
		.amdhsa_user_sgpr_queue_ptr 0
		.amdhsa_user_sgpr_kernarg_segment_ptr 1
		.amdhsa_user_sgpr_dispatch_id 0
		.amdhsa_user_sgpr_kernarg_preload_length 0
		.amdhsa_user_sgpr_kernarg_preload_offset 0
		.amdhsa_user_sgpr_private_segment_size 0
		.amdhsa_wavefront_size32 1
		.amdhsa_uses_dynamic_stack 0
		.amdhsa_enable_private_segment 0
		.amdhsa_system_sgpr_workgroup_id_x 1
		.amdhsa_system_sgpr_workgroup_id_y 0
		.amdhsa_system_sgpr_workgroup_id_z 0
		.amdhsa_system_sgpr_workgroup_info 0
		.amdhsa_system_vgpr_workitem_id 0
		.amdhsa_next_free_vgpr 1
		.amdhsa_next_free_sgpr 1
		.amdhsa_named_barrier_count 0
		.amdhsa_reserve_vcc 0
		.amdhsa_float_round_mode_32 0
		.amdhsa_float_round_mode_16_64 0
		.amdhsa_float_denorm_mode_32 3
		.amdhsa_float_denorm_mode_16_64 3
		.amdhsa_fp16_overflow 0
		.amdhsa_memory_ordered 1
		.amdhsa_forward_progress 1
		.amdhsa_inst_pref_size 0
		.amdhsa_round_robin_scheduling 0
		.amdhsa_exception_fp_ieee_invalid_op 0
		.amdhsa_exception_fp_denorm_src 0
		.amdhsa_exception_fp_ieee_div_zero 0
		.amdhsa_exception_fp_ieee_overflow 0
		.amdhsa_exception_fp_ieee_underflow 0
		.amdhsa_exception_fp_ieee_inexact 0
		.amdhsa_exception_int_div_zero 0
	.end_amdhsa_kernel
	.section	.text._ZN7rocprim17ROCPRIM_400000_NS6detail17trampoline_kernelINS0_14default_configENS1_36segmented_radix_sort_config_selectorIilEEZNS1_25segmented_radix_sort_implIS3_Lb0EPKiPiPKlPlN2at6native12_GLOBAL__N_18offset_tEEE10hipError_tPvRmT1_PNSt15iterator_traitsISK_E10value_typeET2_T3_PNSL_ISQ_E10value_typeET4_jRbjT5_SW_jjP12ihipStream_tbEUlT_E1_NS1_11comp_targetILNS1_3genE10ELNS1_11target_archE1201ELNS1_3gpuE5ELNS1_3repE0EEENS1_59segmented_radix_sort_warp_sort_small_config_static_selectorELNS0_4arch9wavefront6targetE0EEEvSK_,"axG",@progbits,_ZN7rocprim17ROCPRIM_400000_NS6detail17trampoline_kernelINS0_14default_configENS1_36segmented_radix_sort_config_selectorIilEEZNS1_25segmented_radix_sort_implIS3_Lb0EPKiPiPKlPlN2at6native12_GLOBAL__N_18offset_tEEE10hipError_tPvRmT1_PNSt15iterator_traitsISK_E10value_typeET2_T3_PNSL_ISQ_E10value_typeET4_jRbjT5_SW_jjP12ihipStream_tbEUlT_E1_NS1_11comp_targetILNS1_3genE10ELNS1_11target_archE1201ELNS1_3gpuE5ELNS1_3repE0EEENS1_59segmented_radix_sort_warp_sort_small_config_static_selectorELNS0_4arch9wavefront6targetE0EEEvSK_,comdat
.Lfunc_end622:
	.size	_ZN7rocprim17ROCPRIM_400000_NS6detail17trampoline_kernelINS0_14default_configENS1_36segmented_radix_sort_config_selectorIilEEZNS1_25segmented_radix_sort_implIS3_Lb0EPKiPiPKlPlN2at6native12_GLOBAL__N_18offset_tEEE10hipError_tPvRmT1_PNSt15iterator_traitsISK_E10value_typeET2_T3_PNSL_ISQ_E10value_typeET4_jRbjT5_SW_jjP12ihipStream_tbEUlT_E1_NS1_11comp_targetILNS1_3genE10ELNS1_11target_archE1201ELNS1_3gpuE5ELNS1_3repE0EEENS1_59segmented_radix_sort_warp_sort_small_config_static_selectorELNS0_4arch9wavefront6targetE0EEEvSK_, .Lfunc_end622-_ZN7rocprim17ROCPRIM_400000_NS6detail17trampoline_kernelINS0_14default_configENS1_36segmented_radix_sort_config_selectorIilEEZNS1_25segmented_radix_sort_implIS3_Lb0EPKiPiPKlPlN2at6native12_GLOBAL__N_18offset_tEEE10hipError_tPvRmT1_PNSt15iterator_traitsISK_E10value_typeET2_T3_PNSL_ISQ_E10value_typeET4_jRbjT5_SW_jjP12ihipStream_tbEUlT_E1_NS1_11comp_targetILNS1_3genE10ELNS1_11target_archE1201ELNS1_3gpuE5ELNS1_3repE0EEENS1_59segmented_radix_sort_warp_sort_small_config_static_selectorELNS0_4arch9wavefront6targetE0EEEvSK_
                                        ; -- End function
	.set _ZN7rocprim17ROCPRIM_400000_NS6detail17trampoline_kernelINS0_14default_configENS1_36segmented_radix_sort_config_selectorIilEEZNS1_25segmented_radix_sort_implIS3_Lb0EPKiPiPKlPlN2at6native12_GLOBAL__N_18offset_tEEE10hipError_tPvRmT1_PNSt15iterator_traitsISK_E10value_typeET2_T3_PNSL_ISQ_E10value_typeET4_jRbjT5_SW_jjP12ihipStream_tbEUlT_E1_NS1_11comp_targetILNS1_3genE10ELNS1_11target_archE1201ELNS1_3gpuE5ELNS1_3repE0EEENS1_59segmented_radix_sort_warp_sort_small_config_static_selectorELNS0_4arch9wavefront6targetE0EEEvSK_.num_vgpr, 0
	.set _ZN7rocprim17ROCPRIM_400000_NS6detail17trampoline_kernelINS0_14default_configENS1_36segmented_radix_sort_config_selectorIilEEZNS1_25segmented_radix_sort_implIS3_Lb0EPKiPiPKlPlN2at6native12_GLOBAL__N_18offset_tEEE10hipError_tPvRmT1_PNSt15iterator_traitsISK_E10value_typeET2_T3_PNSL_ISQ_E10value_typeET4_jRbjT5_SW_jjP12ihipStream_tbEUlT_E1_NS1_11comp_targetILNS1_3genE10ELNS1_11target_archE1201ELNS1_3gpuE5ELNS1_3repE0EEENS1_59segmented_radix_sort_warp_sort_small_config_static_selectorELNS0_4arch9wavefront6targetE0EEEvSK_.num_agpr, 0
	.set _ZN7rocprim17ROCPRIM_400000_NS6detail17trampoline_kernelINS0_14default_configENS1_36segmented_radix_sort_config_selectorIilEEZNS1_25segmented_radix_sort_implIS3_Lb0EPKiPiPKlPlN2at6native12_GLOBAL__N_18offset_tEEE10hipError_tPvRmT1_PNSt15iterator_traitsISK_E10value_typeET2_T3_PNSL_ISQ_E10value_typeET4_jRbjT5_SW_jjP12ihipStream_tbEUlT_E1_NS1_11comp_targetILNS1_3genE10ELNS1_11target_archE1201ELNS1_3gpuE5ELNS1_3repE0EEENS1_59segmented_radix_sort_warp_sort_small_config_static_selectorELNS0_4arch9wavefront6targetE0EEEvSK_.numbered_sgpr, 0
	.set _ZN7rocprim17ROCPRIM_400000_NS6detail17trampoline_kernelINS0_14default_configENS1_36segmented_radix_sort_config_selectorIilEEZNS1_25segmented_radix_sort_implIS3_Lb0EPKiPiPKlPlN2at6native12_GLOBAL__N_18offset_tEEE10hipError_tPvRmT1_PNSt15iterator_traitsISK_E10value_typeET2_T3_PNSL_ISQ_E10value_typeET4_jRbjT5_SW_jjP12ihipStream_tbEUlT_E1_NS1_11comp_targetILNS1_3genE10ELNS1_11target_archE1201ELNS1_3gpuE5ELNS1_3repE0EEENS1_59segmented_radix_sort_warp_sort_small_config_static_selectorELNS0_4arch9wavefront6targetE0EEEvSK_.num_named_barrier, 0
	.set _ZN7rocprim17ROCPRIM_400000_NS6detail17trampoline_kernelINS0_14default_configENS1_36segmented_radix_sort_config_selectorIilEEZNS1_25segmented_radix_sort_implIS3_Lb0EPKiPiPKlPlN2at6native12_GLOBAL__N_18offset_tEEE10hipError_tPvRmT1_PNSt15iterator_traitsISK_E10value_typeET2_T3_PNSL_ISQ_E10value_typeET4_jRbjT5_SW_jjP12ihipStream_tbEUlT_E1_NS1_11comp_targetILNS1_3genE10ELNS1_11target_archE1201ELNS1_3gpuE5ELNS1_3repE0EEENS1_59segmented_radix_sort_warp_sort_small_config_static_selectorELNS0_4arch9wavefront6targetE0EEEvSK_.private_seg_size, 0
	.set _ZN7rocprim17ROCPRIM_400000_NS6detail17trampoline_kernelINS0_14default_configENS1_36segmented_radix_sort_config_selectorIilEEZNS1_25segmented_radix_sort_implIS3_Lb0EPKiPiPKlPlN2at6native12_GLOBAL__N_18offset_tEEE10hipError_tPvRmT1_PNSt15iterator_traitsISK_E10value_typeET2_T3_PNSL_ISQ_E10value_typeET4_jRbjT5_SW_jjP12ihipStream_tbEUlT_E1_NS1_11comp_targetILNS1_3genE10ELNS1_11target_archE1201ELNS1_3gpuE5ELNS1_3repE0EEENS1_59segmented_radix_sort_warp_sort_small_config_static_selectorELNS0_4arch9wavefront6targetE0EEEvSK_.uses_vcc, 0
	.set _ZN7rocprim17ROCPRIM_400000_NS6detail17trampoline_kernelINS0_14default_configENS1_36segmented_radix_sort_config_selectorIilEEZNS1_25segmented_radix_sort_implIS3_Lb0EPKiPiPKlPlN2at6native12_GLOBAL__N_18offset_tEEE10hipError_tPvRmT1_PNSt15iterator_traitsISK_E10value_typeET2_T3_PNSL_ISQ_E10value_typeET4_jRbjT5_SW_jjP12ihipStream_tbEUlT_E1_NS1_11comp_targetILNS1_3genE10ELNS1_11target_archE1201ELNS1_3gpuE5ELNS1_3repE0EEENS1_59segmented_radix_sort_warp_sort_small_config_static_selectorELNS0_4arch9wavefront6targetE0EEEvSK_.uses_flat_scratch, 0
	.set _ZN7rocprim17ROCPRIM_400000_NS6detail17trampoline_kernelINS0_14default_configENS1_36segmented_radix_sort_config_selectorIilEEZNS1_25segmented_radix_sort_implIS3_Lb0EPKiPiPKlPlN2at6native12_GLOBAL__N_18offset_tEEE10hipError_tPvRmT1_PNSt15iterator_traitsISK_E10value_typeET2_T3_PNSL_ISQ_E10value_typeET4_jRbjT5_SW_jjP12ihipStream_tbEUlT_E1_NS1_11comp_targetILNS1_3genE10ELNS1_11target_archE1201ELNS1_3gpuE5ELNS1_3repE0EEENS1_59segmented_radix_sort_warp_sort_small_config_static_selectorELNS0_4arch9wavefront6targetE0EEEvSK_.has_dyn_sized_stack, 0
	.set _ZN7rocprim17ROCPRIM_400000_NS6detail17trampoline_kernelINS0_14default_configENS1_36segmented_radix_sort_config_selectorIilEEZNS1_25segmented_radix_sort_implIS3_Lb0EPKiPiPKlPlN2at6native12_GLOBAL__N_18offset_tEEE10hipError_tPvRmT1_PNSt15iterator_traitsISK_E10value_typeET2_T3_PNSL_ISQ_E10value_typeET4_jRbjT5_SW_jjP12ihipStream_tbEUlT_E1_NS1_11comp_targetILNS1_3genE10ELNS1_11target_archE1201ELNS1_3gpuE5ELNS1_3repE0EEENS1_59segmented_radix_sort_warp_sort_small_config_static_selectorELNS0_4arch9wavefront6targetE0EEEvSK_.has_recursion, 0
	.set _ZN7rocprim17ROCPRIM_400000_NS6detail17trampoline_kernelINS0_14default_configENS1_36segmented_radix_sort_config_selectorIilEEZNS1_25segmented_radix_sort_implIS3_Lb0EPKiPiPKlPlN2at6native12_GLOBAL__N_18offset_tEEE10hipError_tPvRmT1_PNSt15iterator_traitsISK_E10value_typeET2_T3_PNSL_ISQ_E10value_typeET4_jRbjT5_SW_jjP12ihipStream_tbEUlT_E1_NS1_11comp_targetILNS1_3genE10ELNS1_11target_archE1201ELNS1_3gpuE5ELNS1_3repE0EEENS1_59segmented_radix_sort_warp_sort_small_config_static_selectorELNS0_4arch9wavefront6targetE0EEEvSK_.has_indirect_call, 0
	.section	.AMDGPU.csdata,"",@progbits
; Kernel info:
; codeLenInByte = 0
; TotalNumSgprs: 0
; NumVgprs: 0
; ScratchSize: 0
; MemoryBound: 0
; FloatMode: 240
; IeeeMode: 1
; LDSByteSize: 0 bytes/workgroup (compile time only)
; SGPRBlocks: 0
; VGPRBlocks: 0
; NumSGPRsForWavesPerEU: 1
; NumVGPRsForWavesPerEU: 1
; NamedBarCnt: 0
; Occupancy: 16
; WaveLimiterHint : 0
; COMPUTE_PGM_RSRC2:SCRATCH_EN: 0
; COMPUTE_PGM_RSRC2:USER_SGPR: 2
; COMPUTE_PGM_RSRC2:TRAP_HANDLER: 0
; COMPUTE_PGM_RSRC2:TGID_X_EN: 1
; COMPUTE_PGM_RSRC2:TGID_Y_EN: 0
; COMPUTE_PGM_RSRC2:TGID_Z_EN: 0
; COMPUTE_PGM_RSRC2:TIDIG_COMP_CNT: 0
	.section	.text._ZN7rocprim17ROCPRIM_400000_NS6detail17trampoline_kernelINS0_14default_configENS1_36segmented_radix_sort_config_selectorIilEEZNS1_25segmented_radix_sort_implIS3_Lb0EPKiPiPKlPlN2at6native12_GLOBAL__N_18offset_tEEE10hipError_tPvRmT1_PNSt15iterator_traitsISK_E10value_typeET2_T3_PNSL_ISQ_E10value_typeET4_jRbjT5_SW_jjP12ihipStream_tbEUlT_E1_NS1_11comp_targetILNS1_3genE10ELNS1_11target_archE1200ELNS1_3gpuE4ELNS1_3repE0EEENS1_59segmented_radix_sort_warp_sort_small_config_static_selectorELNS0_4arch9wavefront6targetE0EEEvSK_,"axG",@progbits,_ZN7rocprim17ROCPRIM_400000_NS6detail17trampoline_kernelINS0_14default_configENS1_36segmented_radix_sort_config_selectorIilEEZNS1_25segmented_radix_sort_implIS3_Lb0EPKiPiPKlPlN2at6native12_GLOBAL__N_18offset_tEEE10hipError_tPvRmT1_PNSt15iterator_traitsISK_E10value_typeET2_T3_PNSL_ISQ_E10value_typeET4_jRbjT5_SW_jjP12ihipStream_tbEUlT_E1_NS1_11comp_targetILNS1_3genE10ELNS1_11target_archE1200ELNS1_3gpuE4ELNS1_3repE0EEENS1_59segmented_radix_sort_warp_sort_small_config_static_selectorELNS0_4arch9wavefront6targetE0EEEvSK_,comdat
	.globl	_ZN7rocprim17ROCPRIM_400000_NS6detail17trampoline_kernelINS0_14default_configENS1_36segmented_radix_sort_config_selectorIilEEZNS1_25segmented_radix_sort_implIS3_Lb0EPKiPiPKlPlN2at6native12_GLOBAL__N_18offset_tEEE10hipError_tPvRmT1_PNSt15iterator_traitsISK_E10value_typeET2_T3_PNSL_ISQ_E10value_typeET4_jRbjT5_SW_jjP12ihipStream_tbEUlT_E1_NS1_11comp_targetILNS1_3genE10ELNS1_11target_archE1200ELNS1_3gpuE4ELNS1_3repE0EEENS1_59segmented_radix_sort_warp_sort_small_config_static_selectorELNS0_4arch9wavefront6targetE0EEEvSK_ ; -- Begin function _ZN7rocprim17ROCPRIM_400000_NS6detail17trampoline_kernelINS0_14default_configENS1_36segmented_radix_sort_config_selectorIilEEZNS1_25segmented_radix_sort_implIS3_Lb0EPKiPiPKlPlN2at6native12_GLOBAL__N_18offset_tEEE10hipError_tPvRmT1_PNSt15iterator_traitsISK_E10value_typeET2_T3_PNSL_ISQ_E10value_typeET4_jRbjT5_SW_jjP12ihipStream_tbEUlT_E1_NS1_11comp_targetILNS1_3genE10ELNS1_11target_archE1200ELNS1_3gpuE4ELNS1_3repE0EEENS1_59segmented_radix_sort_warp_sort_small_config_static_selectorELNS0_4arch9wavefront6targetE0EEEvSK_
	.p2align	8
	.type	_ZN7rocprim17ROCPRIM_400000_NS6detail17trampoline_kernelINS0_14default_configENS1_36segmented_radix_sort_config_selectorIilEEZNS1_25segmented_radix_sort_implIS3_Lb0EPKiPiPKlPlN2at6native12_GLOBAL__N_18offset_tEEE10hipError_tPvRmT1_PNSt15iterator_traitsISK_E10value_typeET2_T3_PNSL_ISQ_E10value_typeET4_jRbjT5_SW_jjP12ihipStream_tbEUlT_E1_NS1_11comp_targetILNS1_3genE10ELNS1_11target_archE1200ELNS1_3gpuE4ELNS1_3repE0EEENS1_59segmented_radix_sort_warp_sort_small_config_static_selectorELNS0_4arch9wavefront6targetE0EEEvSK_,@function
_ZN7rocprim17ROCPRIM_400000_NS6detail17trampoline_kernelINS0_14default_configENS1_36segmented_radix_sort_config_selectorIilEEZNS1_25segmented_radix_sort_implIS3_Lb0EPKiPiPKlPlN2at6native12_GLOBAL__N_18offset_tEEE10hipError_tPvRmT1_PNSt15iterator_traitsISK_E10value_typeET2_T3_PNSL_ISQ_E10value_typeET4_jRbjT5_SW_jjP12ihipStream_tbEUlT_E1_NS1_11comp_targetILNS1_3genE10ELNS1_11target_archE1200ELNS1_3gpuE4ELNS1_3repE0EEENS1_59segmented_radix_sort_warp_sort_small_config_static_selectorELNS0_4arch9wavefront6targetE0EEEvSK_: ; @_ZN7rocprim17ROCPRIM_400000_NS6detail17trampoline_kernelINS0_14default_configENS1_36segmented_radix_sort_config_selectorIilEEZNS1_25segmented_radix_sort_implIS3_Lb0EPKiPiPKlPlN2at6native12_GLOBAL__N_18offset_tEEE10hipError_tPvRmT1_PNSt15iterator_traitsISK_E10value_typeET2_T3_PNSL_ISQ_E10value_typeET4_jRbjT5_SW_jjP12ihipStream_tbEUlT_E1_NS1_11comp_targetILNS1_3genE10ELNS1_11target_archE1200ELNS1_3gpuE4ELNS1_3repE0EEENS1_59segmented_radix_sort_warp_sort_small_config_static_selectorELNS0_4arch9wavefront6targetE0EEEvSK_
; %bb.0:
	.section	.rodata,"a",@progbits
	.p2align	6, 0x0
	.amdhsa_kernel _ZN7rocprim17ROCPRIM_400000_NS6detail17trampoline_kernelINS0_14default_configENS1_36segmented_radix_sort_config_selectorIilEEZNS1_25segmented_radix_sort_implIS3_Lb0EPKiPiPKlPlN2at6native12_GLOBAL__N_18offset_tEEE10hipError_tPvRmT1_PNSt15iterator_traitsISK_E10value_typeET2_T3_PNSL_ISQ_E10value_typeET4_jRbjT5_SW_jjP12ihipStream_tbEUlT_E1_NS1_11comp_targetILNS1_3genE10ELNS1_11target_archE1200ELNS1_3gpuE4ELNS1_3repE0EEENS1_59segmented_radix_sort_warp_sort_small_config_static_selectorELNS0_4arch9wavefront6targetE0EEEvSK_
		.amdhsa_group_segment_fixed_size 0
		.amdhsa_private_segment_fixed_size 0
		.amdhsa_kernarg_size 88
		.amdhsa_user_sgpr_count 2
		.amdhsa_user_sgpr_dispatch_ptr 0
		.amdhsa_user_sgpr_queue_ptr 0
		.amdhsa_user_sgpr_kernarg_segment_ptr 1
		.amdhsa_user_sgpr_dispatch_id 0
		.amdhsa_user_sgpr_kernarg_preload_length 0
		.amdhsa_user_sgpr_kernarg_preload_offset 0
		.amdhsa_user_sgpr_private_segment_size 0
		.amdhsa_wavefront_size32 1
		.amdhsa_uses_dynamic_stack 0
		.amdhsa_enable_private_segment 0
		.amdhsa_system_sgpr_workgroup_id_x 1
		.amdhsa_system_sgpr_workgroup_id_y 0
		.amdhsa_system_sgpr_workgroup_id_z 0
		.amdhsa_system_sgpr_workgroup_info 0
		.amdhsa_system_vgpr_workitem_id 0
		.amdhsa_next_free_vgpr 1
		.amdhsa_next_free_sgpr 1
		.amdhsa_named_barrier_count 0
		.amdhsa_reserve_vcc 0
		.amdhsa_float_round_mode_32 0
		.amdhsa_float_round_mode_16_64 0
		.amdhsa_float_denorm_mode_32 3
		.amdhsa_float_denorm_mode_16_64 3
		.amdhsa_fp16_overflow 0
		.amdhsa_memory_ordered 1
		.amdhsa_forward_progress 1
		.amdhsa_inst_pref_size 0
		.amdhsa_round_robin_scheduling 0
		.amdhsa_exception_fp_ieee_invalid_op 0
		.amdhsa_exception_fp_denorm_src 0
		.amdhsa_exception_fp_ieee_div_zero 0
		.amdhsa_exception_fp_ieee_overflow 0
		.amdhsa_exception_fp_ieee_underflow 0
		.amdhsa_exception_fp_ieee_inexact 0
		.amdhsa_exception_int_div_zero 0
	.end_amdhsa_kernel
	.section	.text._ZN7rocprim17ROCPRIM_400000_NS6detail17trampoline_kernelINS0_14default_configENS1_36segmented_radix_sort_config_selectorIilEEZNS1_25segmented_radix_sort_implIS3_Lb0EPKiPiPKlPlN2at6native12_GLOBAL__N_18offset_tEEE10hipError_tPvRmT1_PNSt15iterator_traitsISK_E10value_typeET2_T3_PNSL_ISQ_E10value_typeET4_jRbjT5_SW_jjP12ihipStream_tbEUlT_E1_NS1_11comp_targetILNS1_3genE10ELNS1_11target_archE1200ELNS1_3gpuE4ELNS1_3repE0EEENS1_59segmented_radix_sort_warp_sort_small_config_static_selectorELNS0_4arch9wavefront6targetE0EEEvSK_,"axG",@progbits,_ZN7rocprim17ROCPRIM_400000_NS6detail17trampoline_kernelINS0_14default_configENS1_36segmented_radix_sort_config_selectorIilEEZNS1_25segmented_radix_sort_implIS3_Lb0EPKiPiPKlPlN2at6native12_GLOBAL__N_18offset_tEEE10hipError_tPvRmT1_PNSt15iterator_traitsISK_E10value_typeET2_T3_PNSL_ISQ_E10value_typeET4_jRbjT5_SW_jjP12ihipStream_tbEUlT_E1_NS1_11comp_targetILNS1_3genE10ELNS1_11target_archE1200ELNS1_3gpuE4ELNS1_3repE0EEENS1_59segmented_radix_sort_warp_sort_small_config_static_selectorELNS0_4arch9wavefront6targetE0EEEvSK_,comdat
.Lfunc_end623:
	.size	_ZN7rocprim17ROCPRIM_400000_NS6detail17trampoline_kernelINS0_14default_configENS1_36segmented_radix_sort_config_selectorIilEEZNS1_25segmented_radix_sort_implIS3_Lb0EPKiPiPKlPlN2at6native12_GLOBAL__N_18offset_tEEE10hipError_tPvRmT1_PNSt15iterator_traitsISK_E10value_typeET2_T3_PNSL_ISQ_E10value_typeET4_jRbjT5_SW_jjP12ihipStream_tbEUlT_E1_NS1_11comp_targetILNS1_3genE10ELNS1_11target_archE1200ELNS1_3gpuE4ELNS1_3repE0EEENS1_59segmented_radix_sort_warp_sort_small_config_static_selectorELNS0_4arch9wavefront6targetE0EEEvSK_, .Lfunc_end623-_ZN7rocprim17ROCPRIM_400000_NS6detail17trampoline_kernelINS0_14default_configENS1_36segmented_radix_sort_config_selectorIilEEZNS1_25segmented_radix_sort_implIS3_Lb0EPKiPiPKlPlN2at6native12_GLOBAL__N_18offset_tEEE10hipError_tPvRmT1_PNSt15iterator_traitsISK_E10value_typeET2_T3_PNSL_ISQ_E10value_typeET4_jRbjT5_SW_jjP12ihipStream_tbEUlT_E1_NS1_11comp_targetILNS1_3genE10ELNS1_11target_archE1200ELNS1_3gpuE4ELNS1_3repE0EEENS1_59segmented_radix_sort_warp_sort_small_config_static_selectorELNS0_4arch9wavefront6targetE0EEEvSK_
                                        ; -- End function
	.set _ZN7rocprim17ROCPRIM_400000_NS6detail17trampoline_kernelINS0_14default_configENS1_36segmented_radix_sort_config_selectorIilEEZNS1_25segmented_radix_sort_implIS3_Lb0EPKiPiPKlPlN2at6native12_GLOBAL__N_18offset_tEEE10hipError_tPvRmT1_PNSt15iterator_traitsISK_E10value_typeET2_T3_PNSL_ISQ_E10value_typeET4_jRbjT5_SW_jjP12ihipStream_tbEUlT_E1_NS1_11comp_targetILNS1_3genE10ELNS1_11target_archE1200ELNS1_3gpuE4ELNS1_3repE0EEENS1_59segmented_radix_sort_warp_sort_small_config_static_selectorELNS0_4arch9wavefront6targetE0EEEvSK_.num_vgpr, 0
	.set _ZN7rocprim17ROCPRIM_400000_NS6detail17trampoline_kernelINS0_14default_configENS1_36segmented_radix_sort_config_selectorIilEEZNS1_25segmented_radix_sort_implIS3_Lb0EPKiPiPKlPlN2at6native12_GLOBAL__N_18offset_tEEE10hipError_tPvRmT1_PNSt15iterator_traitsISK_E10value_typeET2_T3_PNSL_ISQ_E10value_typeET4_jRbjT5_SW_jjP12ihipStream_tbEUlT_E1_NS1_11comp_targetILNS1_3genE10ELNS1_11target_archE1200ELNS1_3gpuE4ELNS1_3repE0EEENS1_59segmented_radix_sort_warp_sort_small_config_static_selectorELNS0_4arch9wavefront6targetE0EEEvSK_.num_agpr, 0
	.set _ZN7rocprim17ROCPRIM_400000_NS6detail17trampoline_kernelINS0_14default_configENS1_36segmented_radix_sort_config_selectorIilEEZNS1_25segmented_radix_sort_implIS3_Lb0EPKiPiPKlPlN2at6native12_GLOBAL__N_18offset_tEEE10hipError_tPvRmT1_PNSt15iterator_traitsISK_E10value_typeET2_T3_PNSL_ISQ_E10value_typeET4_jRbjT5_SW_jjP12ihipStream_tbEUlT_E1_NS1_11comp_targetILNS1_3genE10ELNS1_11target_archE1200ELNS1_3gpuE4ELNS1_3repE0EEENS1_59segmented_radix_sort_warp_sort_small_config_static_selectorELNS0_4arch9wavefront6targetE0EEEvSK_.numbered_sgpr, 0
	.set _ZN7rocprim17ROCPRIM_400000_NS6detail17trampoline_kernelINS0_14default_configENS1_36segmented_radix_sort_config_selectorIilEEZNS1_25segmented_radix_sort_implIS3_Lb0EPKiPiPKlPlN2at6native12_GLOBAL__N_18offset_tEEE10hipError_tPvRmT1_PNSt15iterator_traitsISK_E10value_typeET2_T3_PNSL_ISQ_E10value_typeET4_jRbjT5_SW_jjP12ihipStream_tbEUlT_E1_NS1_11comp_targetILNS1_3genE10ELNS1_11target_archE1200ELNS1_3gpuE4ELNS1_3repE0EEENS1_59segmented_radix_sort_warp_sort_small_config_static_selectorELNS0_4arch9wavefront6targetE0EEEvSK_.num_named_barrier, 0
	.set _ZN7rocprim17ROCPRIM_400000_NS6detail17trampoline_kernelINS0_14default_configENS1_36segmented_radix_sort_config_selectorIilEEZNS1_25segmented_radix_sort_implIS3_Lb0EPKiPiPKlPlN2at6native12_GLOBAL__N_18offset_tEEE10hipError_tPvRmT1_PNSt15iterator_traitsISK_E10value_typeET2_T3_PNSL_ISQ_E10value_typeET4_jRbjT5_SW_jjP12ihipStream_tbEUlT_E1_NS1_11comp_targetILNS1_3genE10ELNS1_11target_archE1200ELNS1_3gpuE4ELNS1_3repE0EEENS1_59segmented_radix_sort_warp_sort_small_config_static_selectorELNS0_4arch9wavefront6targetE0EEEvSK_.private_seg_size, 0
	.set _ZN7rocprim17ROCPRIM_400000_NS6detail17trampoline_kernelINS0_14default_configENS1_36segmented_radix_sort_config_selectorIilEEZNS1_25segmented_radix_sort_implIS3_Lb0EPKiPiPKlPlN2at6native12_GLOBAL__N_18offset_tEEE10hipError_tPvRmT1_PNSt15iterator_traitsISK_E10value_typeET2_T3_PNSL_ISQ_E10value_typeET4_jRbjT5_SW_jjP12ihipStream_tbEUlT_E1_NS1_11comp_targetILNS1_3genE10ELNS1_11target_archE1200ELNS1_3gpuE4ELNS1_3repE0EEENS1_59segmented_radix_sort_warp_sort_small_config_static_selectorELNS0_4arch9wavefront6targetE0EEEvSK_.uses_vcc, 0
	.set _ZN7rocprim17ROCPRIM_400000_NS6detail17trampoline_kernelINS0_14default_configENS1_36segmented_radix_sort_config_selectorIilEEZNS1_25segmented_radix_sort_implIS3_Lb0EPKiPiPKlPlN2at6native12_GLOBAL__N_18offset_tEEE10hipError_tPvRmT1_PNSt15iterator_traitsISK_E10value_typeET2_T3_PNSL_ISQ_E10value_typeET4_jRbjT5_SW_jjP12ihipStream_tbEUlT_E1_NS1_11comp_targetILNS1_3genE10ELNS1_11target_archE1200ELNS1_3gpuE4ELNS1_3repE0EEENS1_59segmented_radix_sort_warp_sort_small_config_static_selectorELNS0_4arch9wavefront6targetE0EEEvSK_.uses_flat_scratch, 0
	.set _ZN7rocprim17ROCPRIM_400000_NS6detail17trampoline_kernelINS0_14default_configENS1_36segmented_radix_sort_config_selectorIilEEZNS1_25segmented_radix_sort_implIS3_Lb0EPKiPiPKlPlN2at6native12_GLOBAL__N_18offset_tEEE10hipError_tPvRmT1_PNSt15iterator_traitsISK_E10value_typeET2_T3_PNSL_ISQ_E10value_typeET4_jRbjT5_SW_jjP12ihipStream_tbEUlT_E1_NS1_11comp_targetILNS1_3genE10ELNS1_11target_archE1200ELNS1_3gpuE4ELNS1_3repE0EEENS1_59segmented_radix_sort_warp_sort_small_config_static_selectorELNS0_4arch9wavefront6targetE0EEEvSK_.has_dyn_sized_stack, 0
	.set _ZN7rocprim17ROCPRIM_400000_NS6detail17trampoline_kernelINS0_14default_configENS1_36segmented_radix_sort_config_selectorIilEEZNS1_25segmented_radix_sort_implIS3_Lb0EPKiPiPKlPlN2at6native12_GLOBAL__N_18offset_tEEE10hipError_tPvRmT1_PNSt15iterator_traitsISK_E10value_typeET2_T3_PNSL_ISQ_E10value_typeET4_jRbjT5_SW_jjP12ihipStream_tbEUlT_E1_NS1_11comp_targetILNS1_3genE10ELNS1_11target_archE1200ELNS1_3gpuE4ELNS1_3repE0EEENS1_59segmented_radix_sort_warp_sort_small_config_static_selectorELNS0_4arch9wavefront6targetE0EEEvSK_.has_recursion, 0
	.set _ZN7rocprim17ROCPRIM_400000_NS6detail17trampoline_kernelINS0_14default_configENS1_36segmented_radix_sort_config_selectorIilEEZNS1_25segmented_radix_sort_implIS3_Lb0EPKiPiPKlPlN2at6native12_GLOBAL__N_18offset_tEEE10hipError_tPvRmT1_PNSt15iterator_traitsISK_E10value_typeET2_T3_PNSL_ISQ_E10value_typeET4_jRbjT5_SW_jjP12ihipStream_tbEUlT_E1_NS1_11comp_targetILNS1_3genE10ELNS1_11target_archE1200ELNS1_3gpuE4ELNS1_3repE0EEENS1_59segmented_radix_sort_warp_sort_small_config_static_selectorELNS0_4arch9wavefront6targetE0EEEvSK_.has_indirect_call, 0
	.section	.AMDGPU.csdata,"",@progbits
; Kernel info:
; codeLenInByte = 0
; TotalNumSgprs: 0
; NumVgprs: 0
; ScratchSize: 0
; MemoryBound: 0
; FloatMode: 240
; IeeeMode: 1
; LDSByteSize: 0 bytes/workgroup (compile time only)
; SGPRBlocks: 0
; VGPRBlocks: 0
; NumSGPRsForWavesPerEU: 1
; NumVGPRsForWavesPerEU: 1
; NamedBarCnt: 0
; Occupancy: 16
; WaveLimiterHint : 0
; COMPUTE_PGM_RSRC2:SCRATCH_EN: 0
; COMPUTE_PGM_RSRC2:USER_SGPR: 2
; COMPUTE_PGM_RSRC2:TRAP_HANDLER: 0
; COMPUTE_PGM_RSRC2:TGID_X_EN: 1
; COMPUTE_PGM_RSRC2:TGID_Y_EN: 0
; COMPUTE_PGM_RSRC2:TGID_Z_EN: 0
; COMPUTE_PGM_RSRC2:TIDIG_COMP_CNT: 0
	.section	.text._ZN7rocprim17ROCPRIM_400000_NS6detail17trampoline_kernelINS0_14default_configENS1_36segmented_radix_sort_config_selectorIilEEZNS1_25segmented_radix_sort_implIS3_Lb0EPKiPiPKlPlN2at6native12_GLOBAL__N_18offset_tEEE10hipError_tPvRmT1_PNSt15iterator_traitsISK_E10value_typeET2_T3_PNSL_ISQ_E10value_typeET4_jRbjT5_SW_jjP12ihipStream_tbEUlT_E1_NS1_11comp_targetILNS1_3genE9ELNS1_11target_archE1100ELNS1_3gpuE3ELNS1_3repE0EEENS1_59segmented_radix_sort_warp_sort_small_config_static_selectorELNS0_4arch9wavefront6targetE0EEEvSK_,"axG",@progbits,_ZN7rocprim17ROCPRIM_400000_NS6detail17trampoline_kernelINS0_14default_configENS1_36segmented_radix_sort_config_selectorIilEEZNS1_25segmented_radix_sort_implIS3_Lb0EPKiPiPKlPlN2at6native12_GLOBAL__N_18offset_tEEE10hipError_tPvRmT1_PNSt15iterator_traitsISK_E10value_typeET2_T3_PNSL_ISQ_E10value_typeET4_jRbjT5_SW_jjP12ihipStream_tbEUlT_E1_NS1_11comp_targetILNS1_3genE9ELNS1_11target_archE1100ELNS1_3gpuE3ELNS1_3repE0EEENS1_59segmented_radix_sort_warp_sort_small_config_static_selectorELNS0_4arch9wavefront6targetE0EEEvSK_,comdat
	.globl	_ZN7rocprim17ROCPRIM_400000_NS6detail17trampoline_kernelINS0_14default_configENS1_36segmented_radix_sort_config_selectorIilEEZNS1_25segmented_radix_sort_implIS3_Lb0EPKiPiPKlPlN2at6native12_GLOBAL__N_18offset_tEEE10hipError_tPvRmT1_PNSt15iterator_traitsISK_E10value_typeET2_T3_PNSL_ISQ_E10value_typeET4_jRbjT5_SW_jjP12ihipStream_tbEUlT_E1_NS1_11comp_targetILNS1_3genE9ELNS1_11target_archE1100ELNS1_3gpuE3ELNS1_3repE0EEENS1_59segmented_radix_sort_warp_sort_small_config_static_selectorELNS0_4arch9wavefront6targetE0EEEvSK_ ; -- Begin function _ZN7rocprim17ROCPRIM_400000_NS6detail17trampoline_kernelINS0_14default_configENS1_36segmented_radix_sort_config_selectorIilEEZNS1_25segmented_radix_sort_implIS3_Lb0EPKiPiPKlPlN2at6native12_GLOBAL__N_18offset_tEEE10hipError_tPvRmT1_PNSt15iterator_traitsISK_E10value_typeET2_T3_PNSL_ISQ_E10value_typeET4_jRbjT5_SW_jjP12ihipStream_tbEUlT_E1_NS1_11comp_targetILNS1_3genE9ELNS1_11target_archE1100ELNS1_3gpuE3ELNS1_3repE0EEENS1_59segmented_radix_sort_warp_sort_small_config_static_selectorELNS0_4arch9wavefront6targetE0EEEvSK_
	.p2align	8
	.type	_ZN7rocprim17ROCPRIM_400000_NS6detail17trampoline_kernelINS0_14default_configENS1_36segmented_radix_sort_config_selectorIilEEZNS1_25segmented_radix_sort_implIS3_Lb0EPKiPiPKlPlN2at6native12_GLOBAL__N_18offset_tEEE10hipError_tPvRmT1_PNSt15iterator_traitsISK_E10value_typeET2_T3_PNSL_ISQ_E10value_typeET4_jRbjT5_SW_jjP12ihipStream_tbEUlT_E1_NS1_11comp_targetILNS1_3genE9ELNS1_11target_archE1100ELNS1_3gpuE3ELNS1_3repE0EEENS1_59segmented_radix_sort_warp_sort_small_config_static_selectorELNS0_4arch9wavefront6targetE0EEEvSK_,@function
_ZN7rocprim17ROCPRIM_400000_NS6detail17trampoline_kernelINS0_14default_configENS1_36segmented_radix_sort_config_selectorIilEEZNS1_25segmented_radix_sort_implIS3_Lb0EPKiPiPKlPlN2at6native12_GLOBAL__N_18offset_tEEE10hipError_tPvRmT1_PNSt15iterator_traitsISK_E10value_typeET2_T3_PNSL_ISQ_E10value_typeET4_jRbjT5_SW_jjP12ihipStream_tbEUlT_E1_NS1_11comp_targetILNS1_3genE9ELNS1_11target_archE1100ELNS1_3gpuE3ELNS1_3repE0EEENS1_59segmented_radix_sort_warp_sort_small_config_static_selectorELNS0_4arch9wavefront6targetE0EEEvSK_: ; @_ZN7rocprim17ROCPRIM_400000_NS6detail17trampoline_kernelINS0_14default_configENS1_36segmented_radix_sort_config_selectorIilEEZNS1_25segmented_radix_sort_implIS3_Lb0EPKiPiPKlPlN2at6native12_GLOBAL__N_18offset_tEEE10hipError_tPvRmT1_PNSt15iterator_traitsISK_E10value_typeET2_T3_PNSL_ISQ_E10value_typeET4_jRbjT5_SW_jjP12ihipStream_tbEUlT_E1_NS1_11comp_targetILNS1_3genE9ELNS1_11target_archE1100ELNS1_3gpuE3ELNS1_3repE0EEENS1_59segmented_radix_sort_warp_sort_small_config_static_selectorELNS0_4arch9wavefront6targetE0EEEvSK_
; %bb.0:
	.section	.rodata,"a",@progbits
	.p2align	6, 0x0
	.amdhsa_kernel _ZN7rocprim17ROCPRIM_400000_NS6detail17trampoline_kernelINS0_14default_configENS1_36segmented_radix_sort_config_selectorIilEEZNS1_25segmented_radix_sort_implIS3_Lb0EPKiPiPKlPlN2at6native12_GLOBAL__N_18offset_tEEE10hipError_tPvRmT1_PNSt15iterator_traitsISK_E10value_typeET2_T3_PNSL_ISQ_E10value_typeET4_jRbjT5_SW_jjP12ihipStream_tbEUlT_E1_NS1_11comp_targetILNS1_3genE9ELNS1_11target_archE1100ELNS1_3gpuE3ELNS1_3repE0EEENS1_59segmented_radix_sort_warp_sort_small_config_static_selectorELNS0_4arch9wavefront6targetE0EEEvSK_
		.amdhsa_group_segment_fixed_size 0
		.amdhsa_private_segment_fixed_size 0
		.amdhsa_kernarg_size 88
		.amdhsa_user_sgpr_count 2
		.amdhsa_user_sgpr_dispatch_ptr 0
		.amdhsa_user_sgpr_queue_ptr 0
		.amdhsa_user_sgpr_kernarg_segment_ptr 1
		.amdhsa_user_sgpr_dispatch_id 0
		.amdhsa_user_sgpr_kernarg_preload_length 0
		.amdhsa_user_sgpr_kernarg_preload_offset 0
		.amdhsa_user_sgpr_private_segment_size 0
		.amdhsa_wavefront_size32 1
		.amdhsa_uses_dynamic_stack 0
		.amdhsa_enable_private_segment 0
		.amdhsa_system_sgpr_workgroup_id_x 1
		.amdhsa_system_sgpr_workgroup_id_y 0
		.amdhsa_system_sgpr_workgroup_id_z 0
		.amdhsa_system_sgpr_workgroup_info 0
		.amdhsa_system_vgpr_workitem_id 0
		.amdhsa_next_free_vgpr 1
		.amdhsa_next_free_sgpr 1
		.amdhsa_named_barrier_count 0
		.amdhsa_reserve_vcc 0
		.amdhsa_float_round_mode_32 0
		.amdhsa_float_round_mode_16_64 0
		.amdhsa_float_denorm_mode_32 3
		.amdhsa_float_denorm_mode_16_64 3
		.amdhsa_fp16_overflow 0
		.amdhsa_memory_ordered 1
		.amdhsa_forward_progress 1
		.amdhsa_inst_pref_size 0
		.amdhsa_round_robin_scheduling 0
		.amdhsa_exception_fp_ieee_invalid_op 0
		.amdhsa_exception_fp_denorm_src 0
		.amdhsa_exception_fp_ieee_div_zero 0
		.amdhsa_exception_fp_ieee_overflow 0
		.amdhsa_exception_fp_ieee_underflow 0
		.amdhsa_exception_fp_ieee_inexact 0
		.amdhsa_exception_int_div_zero 0
	.end_amdhsa_kernel
	.section	.text._ZN7rocprim17ROCPRIM_400000_NS6detail17trampoline_kernelINS0_14default_configENS1_36segmented_radix_sort_config_selectorIilEEZNS1_25segmented_radix_sort_implIS3_Lb0EPKiPiPKlPlN2at6native12_GLOBAL__N_18offset_tEEE10hipError_tPvRmT1_PNSt15iterator_traitsISK_E10value_typeET2_T3_PNSL_ISQ_E10value_typeET4_jRbjT5_SW_jjP12ihipStream_tbEUlT_E1_NS1_11comp_targetILNS1_3genE9ELNS1_11target_archE1100ELNS1_3gpuE3ELNS1_3repE0EEENS1_59segmented_radix_sort_warp_sort_small_config_static_selectorELNS0_4arch9wavefront6targetE0EEEvSK_,"axG",@progbits,_ZN7rocprim17ROCPRIM_400000_NS6detail17trampoline_kernelINS0_14default_configENS1_36segmented_radix_sort_config_selectorIilEEZNS1_25segmented_radix_sort_implIS3_Lb0EPKiPiPKlPlN2at6native12_GLOBAL__N_18offset_tEEE10hipError_tPvRmT1_PNSt15iterator_traitsISK_E10value_typeET2_T3_PNSL_ISQ_E10value_typeET4_jRbjT5_SW_jjP12ihipStream_tbEUlT_E1_NS1_11comp_targetILNS1_3genE9ELNS1_11target_archE1100ELNS1_3gpuE3ELNS1_3repE0EEENS1_59segmented_radix_sort_warp_sort_small_config_static_selectorELNS0_4arch9wavefront6targetE0EEEvSK_,comdat
.Lfunc_end624:
	.size	_ZN7rocprim17ROCPRIM_400000_NS6detail17trampoline_kernelINS0_14default_configENS1_36segmented_radix_sort_config_selectorIilEEZNS1_25segmented_radix_sort_implIS3_Lb0EPKiPiPKlPlN2at6native12_GLOBAL__N_18offset_tEEE10hipError_tPvRmT1_PNSt15iterator_traitsISK_E10value_typeET2_T3_PNSL_ISQ_E10value_typeET4_jRbjT5_SW_jjP12ihipStream_tbEUlT_E1_NS1_11comp_targetILNS1_3genE9ELNS1_11target_archE1100ELNS1_3gpuE3ELNS1_3repE0EEENS1_59segmented_radix_sort_warp_sort_small_config_static_selectorELNS0_4arch9wavefront6targetE0EEEvSK_, .Lfunc_end624-_ZN7rocprim17ROCPRIM_400000_NS6detail17trampoline_kernelINS0_14default_configENS1_36segmented_radix_sort_config_selectorIilEEZNS1_25segmented_radix_sort_implIS3_Lb0EPKiPiPKlPlN2at6native12_GLOBAL__N_18offset_tEEE10hipError_tPvRmT1_PNSt15iterator_traitsISK_E10value_typeET2_T3_PNSL_ISQ_E10value_typeET4_jRbjT5_SW_jjP12ihipStream_tbEUlT_E1_NS1_11comp_targetILNS1_3genE9ELNS1_11target_archE1100ELNS1_3gpuE3ELNS1_3repE0EEENS1_59segmented_radix_sort_warp_sort_small_config_static_selectorELNS0_4arch9wavefront6targetE0EEEvSK_
                                        ; -- End function
	.set _ZN7rocprim17ROCPRIM_400000_NS6detail17trampoline_kernelINS0_14default_configENS1_36segmented_radix_sort_config_selectorIilEEZNS1_25segmented_radix_sort_implIS3_Lb0EPKiPiPKlPlN2at6native12_GLOBAL__N_18offset_tEEE10hipError_tPvRmT1_PNSt15iterator_traitsISK_E10value_typeET2_T3_PNSL_ISQ_E10value_typeET4_jRbjT5_SW_jjP12ihipStream_tbEUlT_E1_NS1_11comp_targetILNS1_3genE9ELNS1_11target_archE1100ELNS1_3gpuE3ELNS1_3repE0EEENS1_59segmented_radix_sort_warp_sort_small_config_static_selectorELNS0_4arch9wavefront6targetE0EEEvSK_.num_vgpr, 0
	.set _ZN7rocprim17ROCPRIM_400000_NS6detail17trampoline_kernelINS0_14default_configENS1_36segmented_radix_sort_config_selectorIilEEZNS1_25segmented_radix_sort_implIS3_Lb0EPKiPiPKlPlN2at6native12_GLOBAL__N_18offset_tEEE10hipError_tPvRmT1_PNSt15iterator_traitsISK_E10value_typeET2_T3_PNSL_ISQ_E10value_typeET4_jRbjT5_SW_jjP12ihipStream_tbEUlT_E1_NS1_11comp_targetILNS1_3genE9ELNS1_11target_archE1100ELNS1_3gpuE3ELNS1_3repE0EEENS1_59segmented_radix_sort_warp_sort_small_config_static_selectorELNS0_4arch9wavefront6targetE0EEEvSK_.num_agpr, 0
	.set _ZN7rocprim17ROCPRIM_400000_NS6detail17trampoline_kernelINS0_14default_configENS1_36segmented_radix_sort_config_selectorIilEEZNS1_25segmented_radix_sort_implIS3_Lb0EPKiPiPKlPlN2at6native12_GLOBAL__N_18offset_tEEE10hipError_tPvRmT1_PNSt15iterator_traitsISK_E10value_typeET2_T3_PNSL_ISQ_E10value_typeET4_jRbjT5_SW_jjP12ihipStream_tbEUlT_E1_NS1_11comp_targetILNS1_3genE9ELNS1_11target_archE1100ELNS1_3gpuE3ELNS1_3repE0EEENS1_59segmented_radix_sort_warp_sort_small_config_static_selectorELNS0_4arch9wavefront6targetE0EEEvSK_.numbered_sgpr, 0
	.set _ZN7rocprim17ROCPRIM_400000_NS6detail17trampoline_kernelINS0_14default_configENS1_36segmented_radix_sort_config_selectorIilEEZNS1_25segmented_radix_sort_implIS3_Lb0EPKiPiPKlPlN2at6native12_GLOBAL__N_18offset_tEEE10hipError_tPvRmT1_PNSt15iterator_traitsISK_E10value_typeET2_T3_PNSL_ISQ_E10value_typeET4_jRbjT5_SW_jjP12ihipStream_tbEUlT_E1_NS1_11comp_targetILNS1_3genE9ELNS1_11target_archE1100ELNS1_3gpuE3ELNS1_3repE0EEENS1_59segmented_radix_sort_warp_sort_small_config_static_selectorELNS0_4arch9wavefront6targetE0EEEvSK_.num_named_barrier, 0
	.set _ZN7rocprim17ROCPRIM_400000_NS6detail17trampoline_kernelINS0_14default_configENS1_36segmented_radix_sort_config_selectorIilEEZNS1_25segmented_radix_sort_implIS3_Lb0EPKiPiPKlPlN2at6native12_GLOBAL__N_18offset_tEEE10hipError_tPvRmT1_PNSt15iterator_traitsISK_E10value_typeET2_T3_PNSL_ISQ_E10value_typeET4_jRbjT5_SW_jjP12ihipStream_tbEUlT_E1_NS1_11comp_targetILNS1_3genE9ELNS1_11target_archE1100ELNS1_3gpuE3ELNS1_3repE0EEENS1_59segmented_radix_sort_warp_sort_small_config_static_selectorELNS0_4arch9wavefront6targetE0EEEvSK_.private_seg_size, 0
	.set _ZN7rocprim17ROCPRIM_400000_NS6detail17trampoline_kernelINS0_14default_configENS1_36segmented_radix_sort_config_selectorIilEEZNS1_25segmented_radix_sort_implIS3_Lb0EPKiPiPKlPlN2at6native12_GLOBAL__N_18offset_tEEE10hipError_tPvRmT1_PNSt15iterator_traitsISK_E10value_typeET2_T3_PNSL_ISQ_E10value_typeET4_jRbjT5_SW_jjP12ihipStream_tbEUlT_E1_NS1_11comp_targetILNS1_3genE9ELNS1_11target_archE1100ELNS1_3gpuE3ELNS1_3repE0EEENS1_59segmented_radix_sort_warp_sort_small_config_static_selectorELNS0_4arch9wavefront6targetE0EEEvSK_.uses_vcc, 0
	.set _ZN7rocprim17ROCPRIM_400000_NS6detail17trampoline_kernelINS0_14default_configENS1_36segmented_radix_sort_config_selectorIilEEZNS1_25segmented_radix_sort_implIS3_Lb0EPKiPiPKlPlN2at6native12_GLOBAL__N_18offset_tEEE10hipError_tPvRmT1_PNSt15iterator_traitsISK_E10value_typeET2_T3_PNSL_ISQ_E10value_typeET4_jRbjT5_SW_jjP12ihipStream_tbEUlT_E1_NS1_11comp_targetILNS1_3genE9ELNS1_11target_archE1100ELNS1_3gpuE3ELNS1_3repE0EEENS1_59segmented_radix_sort_warp_sort_small_config_static_selectorELNS0_4arch9wavefront6targetE0EEEvSK_.uses_flat_scratch, 0
	.set _ZN7rocprim17ROCPRIM_400000_NS6detail17trampoline_kernelINS0_14default_configENS1_36segmented_radix_sort_config_selectorIilEEZNS1_25segmented_radix_sort_implIS3_Lb0EPKiPiPKlPlN2at6native12_GLOBAL__N_18offset_tEEE10hipError_tPvRmT1_PNSt15iterator_traitsISK_E10value_typeET2_T3_PNSL_ISQ_E10value_typeET4_jRbjT5_SW_jjP12ihipStream_tbEUlT_E1_NS1_11comp_targetILNS1_3genE9ELNS1_11target_archE1100ELNS1_3gpuE3ELNS1_3repE0EEENS1_59segmented_radix_sort_warp_sort_small_config_static_selectorELNS0_4arch9wavefront6targetE0EEEvSK_.has_dyn_sized_stack, 0
	.set _ZN7rocprim17ROCPRIM_400000_NS6detail17trampoline_kernelINS0_14default_configENS1_36segmented_radix_sort_config_selectorIilEEZNS1_25segmented_radix_sort_implIS3_Lb0EPKiPiPKlPlN2at6native12_GLOBAL__N_18offset_tEEE10hipError_tPvRmT1_PNSt15iterator_traitsISK_E10value_typeET2_T3_PNSL_ISQ_E10value_typeET4_jRbjT5_SW_jjP12ihipStream_tbEUlT_E1_NS1_11comp_targetILNS1_3genE9ELNS1_11target_archE1100ELNS1_3gpuE3ELNS1_3repE0EEENS1_59segmented_radix_sort_warp_sort_small_config_static_selectorELNS0_4arch9wavefront6targetE0EEEvSK_.has_recursion, 0
	.set _ZN7rocprim17ROCPRIM_400000_NS6detail17trampoline_kernelINS0_14default_configENS1_36segmented_radix_sort_config_selectorIilEEZNS1_25segmented_radix_sort_implIS3_Lb0EPKiPiPKlPlN2at6native12_GLOBAL__N_18offset_tEEE10hipError_tPvRmT1_PNSt15iterator_traitsISK_E10value_typeET2_T3_PNSL_ISQ_E10value_typeET4_jRbjT5_SW_jjP12ihipStream_tbEUlT_E1_NS1_11comp_targetILNS1_3genE9ELNS1_11target_archE1100ELNS1_3gpuE3ELNS1_3repE0EEENS1_59segmented_radix_sort_warp_sort_small_config_static_selectorELNS0_4arch9wavefront6targetE0EEEvSK_.has_indirect_call, 0
	.section	.AMDGPU.csdata,"",@progbits
; Kernel info:
; codeLenInByte = 0
; TotalNumSgprs: 0
; NumVgprs: 0
; ScratchSize: 0
; MemoryBound: 0
; FloatMode: 240
; IeeeMode: 1
; LDSByteSize: 0 bytes/workgroup (compile time only)
; SGPRBlocks: 0
; VGPRBlocks: 0
; NumSGPRsForWavesPerEU: 1
; NumVGPRsForWavesPerEU: 1
; NamedBarCnt: 0
; Occupancy: 16
; WaveLimiterHint : 0
; COMPUTE_PGM_RSRC2:SCRATCH_EN: 0
; COMPUTE_PGM_RSRC2:USER_SGPR: 2
; COMPUTE_PGM_RSRC2:TRAP_HANDLER: 0
; COMPUTE_PGM_RSRC2:TGID_X_EN: 1
; COMPUTE_PGM_RSRC2:TGID_Y_EN: 0
; COMPUTE_PGM_RSRC2:TGID_Z_EN: 0
; COMPUTE_PGM_RSRC2:TIDIG_COMP_CNT: 0
	.section	.text._ZN7rocprim17ROCPRIM_400000_NS6detail17trampoline_kernelINS0_14default_configENS1_36segmented_radix_sort_config_selectorIilEEZNS1_25segmented_radix_sort_implIS3_Lb0EPKiPiPKlPlN2at6native12_GLOBAL__N_18offset_tEEE10hipError_tPvRmT1_PNSt15iterator_traitsISK_E10value_typeET2_T3_PNSL_ISQ_E10value_typeET4_jRbjT5_SW_jjP12ihipStream_tbEUlT_E1_NS1_11comp_targetILNS1_3genE8ELNS1_11target_archE1030ELNS1_3gpuE2ELNS1_3repE0EEENS1_59segmented_radix_sort_warp_sort_small_config_static_selectorELNS0_4arch9wavefront6targetE0EEEvSK_,"axG",@progbits,_ZN7rocprim17ROCPRIM_400000_NS6detail17trampoline_kernelINS0_14default_configENS1_36segmented_radix_sort_config_selectorIilEEZNS1_25segmented_radix_sort_implIS3_Lb0EPKiPiPKlPlN2at6native12_GLOBAL__N_18offset_tEEE10hipError_tPvRmT1_PNSt15iterator_traitsISK_E10value_typeET2_T3_PNSL_ISQ_E10value_typeET4_jRbjT5_SW_jjP12ihipStream_tbEUlT_E1_NS1_11comp_targetILNS1_3genE8ELNS1_11target_archE1030ELNS1_3gpuE2ELNS1_3repE0EEENS1_59segmented_radix_sort_warp_sort_small_config_static_selectorELNS0_4arch9wavefront6targetE0EEEvSK_,comdat
	.globl	_ZN7rocprim17ROCPRIM_400000_NS6detail17trampoline_kernelINS0_14default_configENS1_36segmented_radix_sort_config_selectorIilEEZNS1_25segmented_radix_sort_implIS3_Lb0EPKiPiPKlPlN2at6native12_GLOBAL__N_18offset_tEEE10hipError_tPvRmT1_PNSt15iterator_traitsISK_E10value_typeET2_T3_PNSL_ISQ_E10value_typeET4_jRbjT5_SW_jjP12ihipStream_tbEUlT_E1_NS1_11comp_targetILNS1_3genE8ELNS1_11target_archE1030ELNS1_3gpuE2ELNS1_3repE0EEENS1_59segmented_radix_sort_warp_sort_small_config_static_selectorELNS0_4arch9wavefront6targetE0EEEvSK_ ; -- Begin function _ZN7rocprim17ROCPRIM_400000_NS6detail17trampoline_kernelINS0_14default_configENS1_36segmented_radix_sort_config_selectorIilEEZNS1_25segmented_radix_sort_implIS3_Lb0EPKiPiPKlPlN2at6native12_GLOBAL__N_18offset_tEEE10hipError_tPvRmT1_PNSt15iterator_traitsISK_E10value_typeET2_T3_PNSL_ISQ_E10value_typeET4_jRbjT5_SW_jjP12ihipStream_tbEUlT_E1_NS1_11comp_targetILNS1_3genE8ELNS1_11target_archE1030ELNS1_3gpuE2ELNS1_3repE0EEENS1_59segmented_radix_sort_warp_sort_small_config_static_selectorELNS0_4arch9wavefront6targetE0EEEvSK_
	.p2align	8
	.type	_ZN7rocprim17ROCPRIM_400000_NS6detail17trampoline_kernelINS0_14default_configENS1_36segmented_radix_sort_config_selectorIilEEZNS1_25segmented_radix_sort_implIS3_Lb0EPKiPiPKlPlN2at6native12_GLOBAL__N_18offset_tEEE10hipError_tPvRmT1_PNSt15iterator_traitsISK_E10value_typeET2_T3_PNSL_ISQ_E10value_typeET4_jRbjT5_SW_jjP12ihipStream_tbEUlT_E1_NS1_11comp_targetILNS1_3genE8ELNS1_11target_archE1030ELNS1_3gpuE2ELNS1_3repE0EEENS1_59segmented_radix_sort_warp_sort_small_config_static_selectorELNS0_4arch9wavefront6targetE0EEEvSK_,@function
_ZN7rocprim17ROCPRIM_400000_NS6detail17trampoline_kernelINS0_14default_configENS1_36segmented_radix_sort_config_selectorIilEEZNS1_25segmented_radix_sort_implIS3_Lb0EPKiPiPKlPlN2at6native12_GLOBAL__N_18offset_tEEE10hipError_tPvRmT1_PNSt15iterator_traitsISK_E10value_typeET2_T3_PNSL_ISQ_E10value_typeET4_jRbjT5_SW_jjP12ihipStream_tbEUlT_E1_NS1_11comp_targetILNS1_3genE8ELNS1_11target_archE1030ELNS1_3gpuE2ELNS1_3repE0EEENS1_59segmented_radix_sort_warp_sort_small_config_static_selectorELNS0_4arch9wavefront6targetE0EEEvSK_: ; @_ZN7rocprim17ROCPRIM_400000_NS6detail17trampoline_kernelINS0_14default_configENS1_36segmented_radix_sort_config_selectorIilEEZNS1_25segmented_radix_sort_implIS3_Lb0EPKiPiPKlPlN2at6native12_GLOBAL__N_18offset_tEEE10hipError_tPvRmT1_PNSt15iterator_traitsISK_E10value_typeET2_T3_PNSL_ISQ_E10value_typeET4_jRbjT5_SW_jjP12ihipStream_tbEUlT_E1_NS1_11comp_targetILNS1_3genE8ELNS1_11target_archE1030ELNS1_3gpuE2ELNS1_3repE0EEENS1_59segmented_radix_sort_warp_sort_small_config_static_selectorELNS0_4arch9wavefront6targetE0EEEvSK_
; %bb.0:
	.section	.rodata,"a",@progbits
	.p2align	6, 0x0
	.amdhsa_kernel _ZN7rocprim17ROCPRIM_400000_NS6detail17trampoline_kernelINS0_14default_configENS1_36segmented_radix_sort_config_selectorIilEEZNS1_25segmented_radix_sort_implIS3_Lb0EPKiPiPKlPlN2at6native12_GLOBAL__N_18offset_tEEE10hipError_tPvRmT1_PNSt15iterator_traitsISK_E10value_typeET2_T3_PNSL_ISQ_E10value_typeET4_jRbjT5_SW_jjP12ihipStream_tbEUlT_E1_NS1_11comp_targetILNS1_3genE8ELNS1_11target_archE1030ELNS1_3gpuE2ELNS1_3repE0EEENS1_59segmented_radix_sort_warp_sort_small_config_static_selectorELNS0_4arch9wavefront6targetE0EEEvSK_
		.amdhsa_group_segment_fixed_size 0
		.amdhsa_private_segment_fixed_size 0
		.amdhsa_kernarg_size 88
		.amdhsa_user_sgpr_count 2
		.amdhsa_user_sgpr_dispatch_ptr 0
		.amdhsa_user_sgpr_queue_ptr 0
		.amdhsa_user_sgpr_kernarg_segment_ptr 1
		.amdhsa_user_sgpr_dispatch_id 0
		.amdhsa_user_sgpr_kernarg_preload_length 0
		.amdhsa_user_sgpr_kernarg_preload_offset 0
		.amdhsa_user_sgpr_private_segment_size 0
		.amdhsa_wavefront_size32 1
		.amdhsa_uses_dynamic_stack 0
		.amdhsa_enable_private_segment 0
		.amdhsa_system_sgpr_workgroup_id_x 1
		.amdhsa_system_sgpr_workgroup_id_y 0
		.amdhsa_system_sgpr_workgroup_id_z 0
		.amdhsa_system_sgpr_workgroup_info 0
		.amdhsa_system_vgpr_workitem_id 0
		.amdhsa_next_free_vgpr 1
		.amdhsa_next_free_sgpr 1
		.amdhsa_named_barrier_count 0
		.amdhsa_reserve_vcc 0
		.amdhsa_float_round_mode_32 0
		.amdhsa_float_round_mode_16_64 0
		.amdhsa_float_denorm_mode_32 3
		.amdhsa_float_denorm_mode_16_64 3
		.amdhsa_fp16_overflow 0
		.amdhsa_memory_ordered 1
		.amdhsa_forward_progress 1
		.amdhsa_inst_pref_size 0
		.amdhsa_round_robin_scheduling 0
		.amdhsa_exception_fp_ieee_invalid_op 0
		.amdhsa_exception_fp_denorm_src 0
		.amdhsa_exception_fp_ieee_div_zero 0
		.amdhsa_exception_fp_ieee_overflow 0
		.amdhsa_exception_fp_ieee_underflow 0
		.amdhsa_exception_fp_ieee_inexact 0
		.amdhsa_exception_int_div_zero 0
	.end_amdhsa_kernel
	.section	.text._ZN7rocprim17ROCPRIM_400000_NS6detail17trampoline_kernelINS0_14default_configENS1_36segmented_radix_sort_config_selectorIilEEZNS1_25segmented_radix_sort_implIS3_Lb0EPKiPiPKlPlN2at6native12_GLOBAL__N_18offset_tEEE10hipError_tPvRmT1_PNSt15iterator_traitsISK_E10value_typeET2_T3_PNSL_ISQ_E10value_typeET4_jRbjT5_SW_jjP12ihipStream_tbEUlT_E1_NS1_11comp_targetILNS1_3genE8ELNS1_11target_archE1030ELNS1_3gpuE2ELNS1_3repE0EEENS1_59segmented_radix_sort_warp_sort_small_config_static_selectorELNS0_4arch9wavefront6targetE0EEEvSK_,"axG",@progbits,_ZN7rocprim17ROCPRIM_400000_NS6detail17trampoline_kernelINS0_14default_configENS1_36segmented_radix_sort_config_selectorIilEEZNS1_25segmented_radix_sort_implIS3_Lb0EPKiPiPKlPlN2at6native12_GLOBAL__N_18offset_tEEE10hipError_tPvRmT1_PNSt15iterator_traitsISK_E10value_typeET2_T3_PNSL_ISQ_E10value_typeET4_jRbjT5_SW_jjP12ihipStream_tbEUlT_E1_NS1_11comp_targetILNS1_3genE8ELNS1_11target_archE1030ELNS1_3gpuE2ELNS1_3repE0EEENS1_59segmented_radix_sort_warp_sort_small_config_static_selectorELNS0_4arch9wavefront6targetE0EEEvSK_,comdat
.Lfunc_end625:
	.size	_ZN7rocprim17ROCPRIM_400000_NS6detail17trampoline_kernelINS0_14default_configENS1_36segmented_radix_sort_config_selectorIilEEZNS1_25segmented_radix_sort_implIS3_Lb0EPKiPiPKlPlN2at6native12_GLOBAL__N_18offset_tEEE10hipError_tPvRmT1_PNSt15iterator_traitsISK_E10value_typeET2_T3_PNSL_ISQ_E10value_typeET4_jRbjT5_SW_jjP12ihipStream_tbEUlT_E1_NS1_11comp_targetILNS1_3genE8ELNS1_11target_archE1030ELNS1_3gpuE2ELNS1_3repE0EEENS1_59segmented_radix_sort_warp_sort_small_config_static_selectorELNS0_4arch9wavefront6targetE0EEEvSK_, .Lfunc_end625-_ZN7rocprim17ROCPRIM_400000_NS6detail17trampoline_kernelINS0_14default_configENS1_36segmented_radix_sort_config_selectorIilEEZNS1_25segmented_radix_sort_implIS3_Lb0EPKiPiPKlPlN2at6native12_GLOBAL__N_18offset_tEEE10hipError_tPvRmT1_PNSt15iterator_traitsISK_E10value_typeET2_T3_PNSL_ISQ_E10value_typeET4_jRbjT5_SW_jjP12ihipStream_tbEUlT_E1_NS1_11comp_targetILNS1_3genE8ELNS1_11target_archE1030ELNS1_3gpuE2ELNS1_3repE0EEENS1_59segmented_radix_sort_warp_sort_small_config_static_selectorELNS0_4arch9wavefront6targetE0EEEvSK_
                                        ; -- End function
	.set _ZN7rocprim17ROCPRIM_400000_NS6detail17trampoline_kernelINS0_14default_configENS1_36segmented_radix_sort_config_selectorIilEEZNS1_25segmented_radix_sort_implIS3_Lb0EPKiPiPKlPlN2at6native12_GLOBAL__N_18offset_tEEE10hipError_tPvRmT1_PNSt15iterator_traitsISK_E10value_typeET2_T3_PNSL_ISQ_E10value_typeET4_jRbjT5_SW_jjP12ihipStream_tbEUlT_E1_NS1_11comp_targetILNS1_3genE8ELNS1_11target_archE1030ELNS1_3gpuE2ELNS1_3repE0EEENS1_59segmented_radix_sort_warp_sort_small_config_static_selectorELNS0_4arch9wavefront6targetE0EEEvSK_.num_vgpr, 0
	.set _ZN7rocprim17ROCPRIM_400000_NS6detail17trampoline_kernelINS0_14default_configENS1_36segmented_radix_sort_config_selectorIilEEZNS1_25segmented_radix_sort_implIS3_Lb0EPKiPiPKlPlN2at6native12_GLOBAL__N_18offset_tEEE10hipError_tPvRmT1_PNSt15iterator_traitsISK_E10value_typeET2_T3_PNSL_ISQ_E10value_typeET4_jRbjT5_SW_jjP12ihipStream_tbEUlT_E1_NS1_11comp_targetILNS1_3genE8ELNS1_11target_archE1030ELNS1_3gpuE2ELNS1_3repE0EEENS1_59segmented_radix_sort_warp_sort_small_config_static_selectorELNS0_4arch9wavefront6targetE0EEEvSK_.num_agpr, 0
	.set _ZN7rocprim17ROCPRIM_400000_NS6detail17trampoline_kernelINS0_14default_configENS1_36segmented_radix_sort_config_selectorIilEEZNS1_25segmented_radix_sort_implIS3_Lb0EPKiPiPKlPlN2at6native12_GLOBAL__N_18offset_tEEE10hipError_tPvRmT1_PNSt15iterator_traitsISK_E10value_typeET2_T3_PNSL_ISQ_E10value_typeET4_jRbjT5_SW_jjP12ihipStream_tbEUlT_E1_NS1_11comp_targetILNS1_3genE8ELNS1_11target_archE1030ELNS1_3gpuE2ELNS1_3repE0EEENS1_59segmented_radix_sort_warp_sort_small_config_static_selectorELNS0_4arch9wavefront6targetE0EEEvSK_.numbered_sgpr, 0
	.set _ZN7rocprim17ROCPRIM_400000_NS6detail17trampoline_kernelINS0_14default_configENS1_36segmented_radix_sort_config_selectorIilEEZNS1_25segmented_radix_sort_implIS3_Lb0EPKiPiPKlPlN2at6native12_GLOBAL__N_18offset_tEEE10hipError_tPvRmT1_PNSt15iterator_traitsISK_E10value_typeET2_T3_PNSL_ISQ_E10value_typeET4_jRbjT5_SW_jjP12ihipStream_tbEUlT_E1_NS1_11comp_targetILNS1_3genE8ELNS1_11target_archE1030ELNS1_3gpuE2ELNS1_3repE0EEENS1_59segmented_radix_sort_warp_sort_small_config_static_selectorELNS0_4arch9wavefront6targetE0EEEvSK_.num_named_barrier, 0
	.set _ZN7rocprim17ROCPRIM_400000_NS6detail17trampoline_kernelINS0_14default_configENS1_36segmented_radix_sort_config_selectorIilEEZNS1_25segmented_radix_sort_implIS3_Lb0EPKiPiPKlPlN2at6native12_GLOBAL__N_18offset_tEEE10hipError_tPvRmT1_PNSt15iterator_traitsISK_E10value_typeET2_T3_PNSL_ISQ_E10value_typeET4_jRbjT5_SW_jjP12ihipStream_tbEUlT_E1_NS1_11comp_targetILNS1_3genE8ELNS1_11target_archE1030ELNS1_3gpuE2ELNS1_3repE0EEENS1_59segmented_radix_sort_warp_sort_small_config_static_selectorELNS0_4arch9wavefront6targetE0EEEvSK_.private_seg_size, 0
	.set _ZN7rocprim17ROCPRIM_400000_NS6detail17trampoline_kernelINS0_14default_configENS1_36segmented_radix_sort_config_selectorIilEEZNS1_25segmented_radix_sort_implIS3_Lb0EPKiPiPKlPlN2at6native12_GLOBAL__N_18offset_tEEE10hipError_tPvRmT1_PNSt15iterator_traitsISK_E10value_typeET2_T3_PNSL_ISQ_E10value_typeET4_jRbjT5_SW_jjP12ihipStream_tbEUlT_E1_NS1_11comp_targetILNS1_3genE8ELNS1_11target_archE1030ELNS1_3gpuE2ELNS1_3repE0EEENS1_59segmented_radix_sort_warp_sort_small_config_static_selectorELNS0_4arch9wavefront6targetE0EEEvSK_.uses_vcc, 0
	.set _ZN7rocprim17ROCPRIM_400000_NS6detail17trampoline_kernelINS0_14default_configENS1_36segmented_radix_sort_config_selectorIilEEZNS1_25segmented_radix_sort_implIS3_Lb0EPKiPiPKlPlN2at6native12_GLOBAL__N_18offset_tEEE10hipError_tPvRmT1_PNSt15iterator_traitsISK_E10value_typeET2_T3_PNSL_ISQ_E10value_typeET4_jRbjT5_SW_jjP12ihipStream_tbEUlT_E1_NS1_11comp_targetILNS1_3genE8ELNS1_11target_archE1030ELNS1_3gpuE2ELNS1_3repE0EEENS1_59segmented_radix_sort_warp_sort_small_config_static_selectorELNS0_4arch9wavefront6targetE0EEEvSK_.uses_flat_scratch, 0
	.set _ZN7rocprim17ROCPRIM_400000_NS6detail17trampoline_kernelINS0_14default_configENS1_36segmented_radix_sort_config_selectorIilEEZNS1_25segmented_radix_sort_implIS3_Lb0EPKiPiPKlPlN2at6native12_GLOBAL__N_18offset_tEEE10hipError_tPvRmT1_PNSt15iterator_traitsISK_E10value_typeET2_T3_PNSL_ISQ_E10value_typeET4_jRbjT5_SW_jjP12ihipStream_tbEUlT_E1_NS1_11comp_targetILNS1_3genE8ELNS1_11target_archE1030ELNS1_3gpuE2ELNS1_3repE0EEENS1_59segmented_radix_sort_warp_sort_small_config_static_selectorELNS0_4arch9wavefront6targetE0EEEvSK_.has_dyn_sized_stack, 0
	.set _ZN7rocprim17ROCPRIM_400000_NS6detail17trampoline_kernelINS0_14default_configENS1_36segmented_radix_sort_config_selectorIilEEZNS1_25segmented_radix_sort_implIS3_Lb0EPKiPiPKlPlN2at6native12_GLOBAL__N_18offset_tEEE10hipError_tPvRmT1_PNSt15iterator_traitsISK_E10value_typeET2_T3_PNSL_ISQ_E10value_typeET4_jRbjT5_SW_jjP12ihipStream_tbEUlT_E1_NS1_11comp_targetILNS1_3genE8ELNS1_11target_archE1030ELNS1_3gpuE2ELNS1_3repE0EEENS1_59segmented_radix_sort_warp_sort_small_config_static_selectorELNS0_4arch9wavefront6targetE0EEEvSK_.has_recursion, 0
	.set _ZN7rocprim17ROCPRIM_400000_NS6detail17trampoline_kernelINS0_14default_configENS1_36segmented_radix_sort_config_selectorIilEEZNS1_25segmented_radix_sort_implIS3_Lb0EPKiPiPKlPlN2at6native12_GLOBAL__N_18offset_tEEE10hipError_tPvRmT1_PNSt15iterator_traitsISK_E10value_typeET2_T3_PNSL_ISQ_E10value_typeET4_jRbjT5_SW_jjP12ihipStream_tbEUlT_E1_NS1_11comp_targetILNS1_3genE8ELNS1_11target_archE1030ELNS1_3gpuE2ELNS1_3repE0EEENS1_59segmented_radix_sort_warp_sort_small_config_static_selectorELNS0_4arch9wavefront6targetE0EEEvSK_.has_indirect_call, 0
	.section	.AMDGPU.csdata,"",@progbits
; Kernel info:
; codeLenInByte = 0
; TotalNumSgprs: 0
; NumVgprs: 0
; ScratchSize: 0
; MemoryBound: 0
; FloatMode: 240
; IeeeMode: 1
; LDSByteSize: 0 bytes/workgroup (compile time only)
; SGPRBlocks: 0
; VGPRBlocks: 0
; NumSGPRsForWavesPerEU: 1
; NumVGPRsForWavesPerEU: 1
; NamedBarCnt: 0
; Occupancy: 16
; WaveLimiterHint : 0
; COMPUTE_PGM_RSRC2:SCRATCH_EN: 0
; COMPUTE_PGM_RSRC2:USER_SGPR: 2
; COMPUTE_PGM_RSRC2:TRAP_HANDLER: 0
; COMPUTE_PGM_RSRC2:TGID_X_EN: 1
; COMPUTE_PGM_RSRC2:TGID_Y_EN: 0
; COMPUTE_PGM_RSRC2:TGID_Z_EN: 0
; COMPUTE_PGM_RSRC2:TIDIG_COMP_CNT: 0
	.section	.text._ZN7rocprim17ROCPRIM_400000_NS6detail17trampoline_kernelINS0_14default_configENS1_36segmented_radix_sort_config_selectorIilEEZNS1_25segmented_radix_sort_implIS3_Lb0EPKiPiPKlPlN2at6native12_GLOBAL__N_18offset_tEEE10hipError_tPvRmT1_PNSt15iterator_traitsISK_E10value_typeET2_T3_PNSL_ISQ_E10value_typeET4_jRbjT5_SW_jjP12ihipStream_tbEUlT_E2_NS1_11comp_targetILNS1_3genE0ELNS1_11target_archE4294967295ELNS1_3gpuE0ELNS1_3repE0EEENS1_30default_config_static_selectorELNS0_4arch9wavefront6targetE0EEEvSK_,"axG",@progbits,_ZN7rocprim17ROCPRIM_400000_NS6detail17trampoline_kernelINS0_14default_configENS1_36segmented_radix_sort_config_selectorIilEEZNS1_25segmented_radix_sort_implIS3_Lb0EPKiPiPKlPlN2at6native12_GLOBAL__N_18offset_tEEE10hipError_tPvRmT1_PNSt15iterator_traitsISK_E10value_typeET2_T3_PNSL_ISQ_E10value_typeET4_jRbjT5_SW_jjP12ihipStream_tbEUlT_E2_NS1_11comp_targetILNS1_3genE0ELNS1_11target_archE4294967295ELNS1_3gpuE0ELNS1_3repE0EEENS1_30default_config_static_selectorELNS0_4arch9wavefront6targetE0EEEvSK_,comdat
	.globl	_ZN7rocprim17ROCPRIM_400000_NS6detail17trampoline_kernelINS0_14default_configENS1_36segmented_radix_sort_config_selectorIilEEZNS1_25segmented_radix_sort_implIS3_Lb0EPKiPiPKlPlN2at6native12_GLOBAL__N_18offset_tEEE10hipError_tPvRmT1_PNSt15iterator_traitsISK_E10value_typeET2_T3_PNSL_ISQ_E10value_typeET4_jRbjT5_SW_jjP12ihipStream_tbEUlT_E2_NS1_11comp_targetILNS1_3genE0ELNS1_11target_archE4294967295ELNS1_3gpuE0ELNS1_3repE0EEENS1_30default_config_static_selectorELNS0_4arch9wavefront6targetE0EEEvSK_ ; -- Begin function _ZN7rocprim17ROCPRIM_400000_NS6detail17trampoline_kernelINS0_14default_configENS1_36segmented_radix_sort_config_selectorIilEEZNS1_25segmented_radix_sort_implIS3_Lb0EPKiPiPKlPlN2at6native12_GLOBAL__N_18offset_tEEE10hipError_tPvRmT1_PNSt15iterator_traitsISK_E10value_typeET2_T3_PNSL_ISQ_E10value_typeET4_jRbjT5_SW_jjP12ihipStream_tbEUlT_E2_NS1_11comp_targetILNS1_3genE0ELNS1_11target_archE4294967295ELNS1_3gpuE0ELNS1_3repE0EEENS1_30default_config_static_selectorELNS0_4arch9wavefront6targetE0EEEvSK_
	.p2align	8
	.type	_ZN7rocprim17ROCPRIM_400000_NS6detail17trampoline_kernelINS0_14default_configENS1_36segmented_radix_sort_config_selectorIilEEZNS1_25segmented_radix_sort_implIS3_Lb0EPKiPiPKlPlN2at6native12_GLOBAL__N_18offset_tEEE10hipError_tPvRmT1_PNSt15iterator_traitsISK_E10value_typeET2_T3_PNSL_ISQ_E10value_typeET4_jRbjT5_SW_jjP12ihipStream_tbEUlT_E2_NS1_11comp_targetILNS1_3genE0ELNS1_11target_archE4294967295ELNS1_3gpuE0ELNS1_3repE0EEENS1_30default_config_static_selectorELNS0_4arch9wavefront6targetE0EEEvSK_,@function
_ZN7rocprim17ROCPRIM_400000_NS6detail17trampoline_kernelINS0_14default_configENS1_36segmented_radix_sort_config_selectorIilEEZNS1_25segmented_radix_sort_implIS3_Lb0EPKiPiPKlPlN2at6native12_GLOBAL__N_18offset_tEEE10hipError_tPvRmT1_PNSt15iterator_traitsISK_E10value_typeET2_T3_PNSL_ISQ_E10value_typeET4_jRbjT5_SW_jjP12ihipStream_tbEUlT_E2_NS1_11comp_targetILNS1_3genE0ELNS1_11target_archE4294967295ELNS1_3gpuE0ELNS1_3repE0EEENS1_30default_config_static_selectorELNS0_4arch9wavefront6targetE0EEEvSK_: ; @_ZN7rocprim17ROCPRIM_400000_NS6detail17trampoline_kernelINS0_14default_configENS1_36segmented_radix_sort_config_selectorIilEEZNS1_25segmented_radix_sort_implIS3_Lb0EPKiPiPKlPlN2at6native12_GLOBAL__N_18offset_tEEE10hipError_tPvRmT1_PNSt15iterator_traitsISK_E10value_typeET2_T3_PNSL_ISQ_E10value_typeET4_jRbjT5_SW_jjP12ihipStream_tbEUlT_E2_NS1_11comp_targetILNS1_3genE0ELNS1_11target_archE4294967295ELNS1_3gpuE0ELNS1_3repE0EEENS1_30default_config_static_selectorELNS0_4arch9wavefront6targetE0EEEvSK_
; %bb.0:
	s_load_b128 s[4:7], s[2:3], 0x34
	s_bfe_u32 s8, ttmp6, 0x4000c
	s_and_b32 s9, ttmp6, 15
	s_add_co_i32 s8, s8, 1
	s_getreg_b32 s55, hwreg(HW_REG_IB_STS2, 6, 4)
	s_mul_i32 s8, ttmp9, s8
	s_mov_b32 s32, 0
	s_add_co_i32 s9, s9, s8
	s_cmp_eq_u32 s55, 0
	s_cselect_b32 s33, ttmp9, s9
	s_wait_kmcnt 0x0
	s_add_co_i32 s51, s7, s33
	s_add_co_i32 s52, s5, s33
	s_mul_i32 s51, s51, s6
	s_mul_i32 s52, s52, s4
	s_delay_alu instid0(SALU_CYCLE_1)
	s_cmp_le_u32 s51, s52
	s_cbranch_scc1 .LBB626_1190
; %bb.1:
	s_clause 0x3
	s_load_b32 s4, s[2:3], 0x30
	s_load_b128 s[44:47], s[2:3], 0x20
	s_load_b96 s[48:50], s[2:3], 0x44
	s_load_b256 s[36:43], s[2:3], 0x0
	s_wait_kmcnt 0x0
	s_bitcmp1_b32 s4, 0
	s_mov_b32 s4, -1
	s_cselect_b32 s53, -1, 0
	s_sub_co_i32 s54, s51, s52
	s_delay_alu instid0(SALU_CYCLE_1)
	s_cmp_lt_u32 s54, 0x1001
	s_cbranch_scc0 .LBB626_15
; %bb.2:
	s_cmp_lt_u32 s54, 33
	s_cbranch_scc0 .LBB626_9
; %bb.3:
	s_load_b32 s4, s[2:3], 0x5c
	v_bfe_u32 v1, v0, 10, 10
	v_bfe_u32 v2, v0, 20, 10
	s_mov_b32 s15, exec_lo
	s_wait_kmcnt 0x0
	s_lshr_b32 s5, s4, 16
	s_and_b32 s4, s4, 0xffff
	v_mad_u32_u24 v1, v2, s5, v1
	v_and_b32_e32 v2, 0x3ff, v0
	s_delay_alu instid0(VALU_DEP_1) | instskip(NEXT) | instid1(VALU_DEP_1)
	v_mad_u32 v1, v1, s4, v2
	v_cmpx_gt_u32_e32 8, v1
	s_cbranch_execz .LBB626_8
; %bb.4:
	v_cndmask_b32_e64 v1, 0, 1, s53
	s_and_b32 s4, s48, 1
	s_get_pc_i64 s[16:17]
	s_add_nc_u64 s[16:17], s[16:17], _ZN7rocprim17ROCPRIM_400000_NS6detail26segmented_warp_sort_helperINS1_20WarpSortHelperConfigILj8ELj4ELj256EEEilLi256ELb0EvE4sortIPKiPiPKlPlEEvT_T0_T1_T2_jjjjRNS5_12storage_typeE@rel64+4
	s_delay_alu instid0(VALU_DEP_1)
	v_cmp_ne_u32_e32 vcc_lo, s4, v1
	s_mov_b32 s4, -1
	s_cbranch_vccnz .LBB626_6
; %bb.5:
	s_mov_b64 s[4:5], src_shared_base
	v_dual_mov_b32 v31, v0 :: v_dual_mov_b32 v40, v0
	v_dual_mov_b32 v0, s36 :: v_dual_mov_b32 v1, s37
	v_dual_mov_b32 v2, s40 :: v_dual_mov_b32 v3, s41
	v_dual_mov_b32 v4, s42 :: v_dual_mov_b32 v5, s43
	v_dual_mov_b32 v6, s46 :: v_dual_mov_b32 v7, s47
	v_dual_mov_b32 v8, s52 :: v_dual_mov_b32 v9, s51
	v_dual_mov_b32 v10, s49 :: v_dual_mov_b32 v11, s50
	v_dual_mov_b32 v12, 0 :: v_dual_mov_b32 v13, s5
	s_add_nc_u64 s[8:9], s[2:3], 0x50
	s_mov_b64 s[6:7], s[0:1]
	s_mov_b64 s[18:19], s[2:3]
	;; [unrolled: 1-line block ×3, first 2 shown]
	s_swap_pc_i64 s[30:31], s[16:17]
	v_mov_b32_e32 v0, v40
	s_mov_b64 s[0:1], s[20:21]
	s_mov_b64 s[2:3], s[18:19]
	s_mov_b32 s4, 0
.LBB626_6:
	s_delay_alu instid0(SALU_CYCLE_1)
	s_and_not1_b32 vcc_lo, exec_lo, s4
	s_cbranch_vccnz .LBB626_8
; %bb.7:
	s_mov_b64 s[4:5], src_shared_base
	v_dual_mov_b32 v31, v0 :: v_dual_mov_b32 v40, v0
	v_dual_mov_b32 v0, s36 :: v_dual_mov_b32 v1, s37
	;; [unrolled: 1-line block ×8, first 2 shown]
	s_add_nc_u64 s[8:9], s[2:3], 0x50
	s_mov_b64 s[6:7], s[0:1]
	s_mov_b64 s[18:19], s[2:3]
	;; [unrolled: 1-line block ×3, first 2 shown]
	s_swap_pc_i64 s[30:31], s[16:17]
	v_mov_b32_e32 v0, v40
	s_mov_b64 s[0:1], s[20:21]
	s_mov_b64 s[2:3], s[18:19]
.LBB626_8:
	s_or_b32 exec_lo, exec_lo, s15
	s_mov_b32 s4, 0
.LBB626_9:
	s_delay_alu instid0(SALU_CYCLE_1)
	s_and_not1_b32 vcc_lo, exec_lo, s4
	s_cbranch_vccnz .LBB626_14
; %bb.10:
	v_cndmask_b32_e64 v1, 0, 1, s53
	s_and_b32 s4, s48, 1
	s_get_pc_i64 s[24:25]
	s_add_nc_u64 s[24:25], s[24:25], _ZN7rocprim17ROCPRIM_400000_NS6detail40segmented_radix_sort_single_block_helperIilLj256ELj16ELb0EE4sortIPKiPiPKlPlEEbT_T0_T1_T2_jjjjRNS3_12storage_typeE@rel64+4
	s_delay_alu instid0(VALU_DEP_1)
	v_cmp_ne_u32_e32 vcc_lo, s4, v1
	s_mov_b32 s4, -1
	s_cbranch_vccnz .LBB626_12
; %bb.11:
	s_mov_b64 s[4:5], src_shared_base
	v_dual_mov_b32 v31, v0 :: v_dual_mov_b32 v40, v0
	v_dual_mov_b32 v0, s36 :: v_dual_mov_b32 v1, s37
	v_dual_mov_b32 v2, s40 :: v_dual_mov_b32 v3, s41
	v_dual_mov_b32 v4, s42 :: v_dual_mov_b32 v5, s43
	v_dual_mov_b32 v6, s46 :: v_dual_mov_b32 v7, s47
	v_dual_mov_b32 v8, s52 :: v_dual_mov_b32 v9, s51
	v_dual_mov_b32 v10, s49 :: v_dual_mov_b32 v11, s50
	v_dual_mov_b32 v12, 0 :: v_dual_mov_b32 v13, s5
	s_add_nc_u64 s[8:9], s[2:3], 0x50
	s_mov_b64 s[6:7], s[0:1]
	s_mov_b64 s[26:27], s[2:3]
	;; [unrolled: 1-line block ×3, first 2 shown]
	s_swap_pc_i64 s[30:31], s[24:25]
	v_mov_b32_e32 v0, v40
	s_mov_b64 s[0:1], s[28:29]
	s_mov_b64 s[2:3], s[26:27]
	s_mov_b32 s4, 0
.LBB626_12:
	s_delay_alu instid0(SALU_CYCLE_1)
	s_and_not1_b32 vcc_lo, exec_lo, s4
	s_cbranch_vccnz .LBB626_14
; %bb.13:
	s_mov_b64 s[4:5], src_shared_base
	v_dual_mov_b32 v31, v0 :: v_dual_mov_b32 v40, v0
	v_dual_mov_b32 v0, s36 :: v_dual_mov_b32 v1, s37
	;; [unrolled: 1-line block ×8, first 2 shown]
	s_add_nc_u64 s[8:9], s[2:3], 0x50
	s_mov_b64 s[6:7], s[0:1]
	s_mov_b64 s[26:27], s[2:3]
	s_swap_pc_i64 s[30:31], s[24:25]
	v_mov_b32_e32 v0, v40
	s_mov_b64 s[2:3], s[26:27]
.LBB626_14:
	s_mov_b32 s4, 0
.LBB626_15:
	s_delay_alu instid0(SALU_CYCLE_1)
	s_and_not1_b32 vcc_lo, exec_lo, s4
	s_cbranch_vccnz .LBB626_1190
; %bb.16:
	s_cmp_ge_u32 s49, s50
	s_cbranch_scc1 .LBB626_1190
; %bb.17:
	v_and_b32_e32 v2, 0x3ff, v0
	v_mov_b32_e32 v1, 0
	v_mbcnt_lo_u32_b32 v94, -1, 0
	v_bfe_u32 v90, v0, 20, 10
	v_bfe_u32 v92, v0, 10, 10
	v_dual_lshlrev_b32 v4, 2, v2 :: v_dual_bitop2_b32 v6, 3, v0 bitop3:0x40
	v_dual_mov_b32 v5, v1 :: v_dual_lshrrev_b32 v7, 3, v0
	s_bfe_u32 s6, ttmp6, 0x40010
	s_delay_alu instid0(VALU_DEP_2) | instskip(NEXT) | instid1(VALU_DEP_3)
	v_mad_u32_u24 v86, v2, 12, v4
	v_lshlrev_b32_e32 v84, 2, v6
	v_or_b32_e32 v6, 31, v2
	v_dual_lshlrev_b32 v7, 4, v2 :: v_dual_bitop2_b32 v85, 28, v7 bitop3:0x40
	v_dual_mov_b32 v17, v1 :: v_dual_add_nc_u32 v88, 0x8400, v4
	s_delay_alu instid0(VALU_DEP_3) | instskip(SKIP_1) | instid1(VALU_DEP_4)
	v_cmp_eq_u32_e64 s1, v2, v6
	v_mad_u32_u24 v91, v2, 20, v86
	v_and_b32_e32 v18, 0xe00, v7
	v_lshlrev_b32_e32 v6, 5, v2
	s_add_co_i32 s6, s6, 1
	s_bfe_u32 s7, ttmp6, 0x40004
	s_mul_i32 s6, ttmp7, s6
	v_dual_lshlrev_b32 v0, 3, v18 :: v_dual_lshlrev_b32 v16, 2, v18
	v_or_b32_e32 v99, v94, v18
	v_dual_sub_nc_u32 v93, v91, v6 :: v_dual_mov_b32 v95, 1
	s_delay_alu instid0(VALU_DEP_3) | instskip(NEXT) | instid1(VALU_DEP_4)
	v_add_nc_u64_e32 v[6:7], s[46:47], v[0:1]
	v_add_nc_u64_e32 v[8:9], s[40:41], v[16:17]
	;; [unrolled: 1-line block ×9, first 2 shown]
	v_or_b32_e32 v3, 0x100, v2
	v_or_b32_e32 v70, 0x200, v2
	;; [unrolled: 1-line block ×15, first 2 shown]
	v_cmp_gt_u32_e64 s0, 0x100, v2
	v_or_b32_e32 v87, 0x8400, v85
	v_cmp_gt_u32_e64 s4, 8, v2
	v_cmp_lt_u32_e64 s5, 31, v2
	v_add_nc_u32_e32 v89, 0x83fc, v85
	s_add_nc_u64 s[34:35], s[2:3], 0x50
	s_add_co_i32 s7, s7, s6
	v_cmp_eq_u32_e64 s2, 0, v2
	v_cmp_ne_u32_e64 s3, 0xff, v2
	v_dual_lshlrev_b32 v0, 3, v94 :: v_dual_bitop2_b32 v96, 15, v94 bitop3:0x40
	v_bfe_i32 v97, v94, 4, 1
	v_dual_lshlrev_b32 v24, 2, v94 :: v_dual_bitop2_b32 v98, 16, v94 bitop3:0x40
	v_and_b32_e32 v100, 7, v94
	v_sub_co_u32 v101, s6, v94, 1
	v_or_b32_e32 v102, 32, v99
	v_or_b32_e32 v103, 64, v99
	;; [unrolled: 1-line block ×15, first 2 shown]
	v_add_nc_u32_e32 v117, 0x420, v91
	v_add_nc_u32_e32 v118, 0x428, v91
	;; [unrolled: 1-line block ×4, first 2 shown]
	s_cmp_eq_u32 s55, 0
	s_mov_b32 s31, 0
	s_cselect_b32 s42, ttmp7, s7
	s_mov_b32 s43, s49
	s_branch .LBB626_20
.LBB626_18:                             ;   in Loop: Header=BB626_20 Depth=1
	s_wait_dscnt 0x0
	s_barrier_signal -1
	s_barrier_wait -1
.LBB626_19:                             ;   in Loop: Header=BB626_20 Depth=1
	s_add_co_i32 s43, s43, 8
	s_delay_alu instid0(SALU_CYCLE_1)
	s_cmp_ge_u32 s43, s50
	s_cbranch_scc1 .LBB626_1190
.LBB626_20:                             ; =>This Loop Header: Depth=1
                                        ;     Child Loop BB626_24 Depth 2
                                        ;     Child Loop BB626_104 Depth 2
	;; [unrolled: 1-line block ×8, first 2 shown]
	s_sub_co_i32 s7, s50, s43
	s_xor_b32 s53, s53, -1
	s_min_u32 s7, s7, 8
	ds_store_2addr_stride64_b32 v4, v1, v1 offset1:4
	s_lshl_b32 s7, -1, s7
	ds_store_2addr_stride64_b32 v4, v1, v1 offset0:8 offset1:12
	s_not_b32 s48, s7
	s_cmp_lg_u32 s43, s49
	s_mov_b32 s7, -1
	s_wait_storecnt_dscnt 0x0
	s_cbranch_scc0 .LBB626_606
; %bb.21:                               ;   in Loop: Header=BB626_20 Depth=1
	s_and_b32 vcc_lo, exec_lo, s53
	s_cbranch_vccz .LBB626_313
; %bb.22:                               ;   in Loop: Header=BB626_20 Depth=1
	s_mov_b32 s7, s54
	s_mov_b32 s30, s52
	s_barrier_signal -1
	s_barrier_wait -1
                                        ; implicit-def: $vgpr25
                                        ; implicit-def: $vgpr26
                                        ; implicit-def: $vgpr27
                                        ; implicit-def: $vgpr28
                                        ; implicit-def: $vgpr29
                                        ; implicit-def: $vgpr30
                                        ; implicit-def: $vgpr31
                                        ; implicit-def: $vgpr32
                                        ; implicit-def: $vgpr33
                                        ; implicit-def: $vgpr34
                                        ; implicit-def: $vgpr35
                                        ; implicit-def: $vgpr36
                                        ; implicit-def: $vgpr37
                                        ; implicit-def: $vgpr38
                                        ; implicit-def: $vgpr39
                                        ; implicit-def: $vgpr40
	s_branch .LBB626_24
.LBB626_23:                             ;   in Loop: Header=BB626_24 Depth=2
	s_or_b32 exec_lo, exec_lo, s8
	s_addk_co_i32 s7, 0xf000
	s_cmp_ge_u32 s10, s51
	s_mov_b32 s30, s10
	s_cbranch_scc1 .LBB626_92
.LBB626_24:                             ;   Parent Loop BB626_20 Depth=1
                                        ; =>  This Inner Loop Header: Depth=2
	s_add_co_i32 s10, s30, 0x1000
	s_mov_b32 s8, -1
	s_cmp_gt_u32 s10, s51
                                        ; implicit-def: $vgpr41
                                        ; implicit-def: $vgpr42
                                        ; implicit-def: $vgpr43
                                        ; implicit-def: $vgpr44
                                        ; implicit-def: $vgpr45
                                        ; implicit-def: $vgpr46
                                        ; implicit-def: $vgpr47
                                        ; implicit-def: $vgpr48
                                        ; implicit-def: $vgpr49
                                        ; implicit-def: $vgpr50
                                        ; implicit-def: $vgpr51
                                        ; implicit-def: $vgpr52
                                        ; implicit-def: $vgpr53
                                        ; implicit-def: $vgpr54
                                        ; implicit-def: $vgpr55
                                        ; implicit-def: $vgpr56
	s_cbranch_scc1 .LBB626_26
; %bb.25:                               ;   in Loop: Header=BB626_24 Depth=2
	v_lshl_add_u64 v[56:57], s[30:31], 2, v[18:19]
	s_mov_b32 s8, 0
	s_clause 0xf
	global_load_b32 v41, v[56:57], off
	global_load_b32 v42, v[56:57], off offset:1024
	global_load_b32 v43, v[56:57], off offset:2048
	;; [unrolled: 1-line block ×15, first 2 shown]
.LBB626_26:                             ;   in Loop: Header=BB626_24 Depth=2
	s_and_not1_b32 vcc_lo, exec_lo, s8
	s_movk_i32 s8, 0x1000
	s_cbranch_vccnz .LBB626_45
; %bb.27:                               ;   in Loop: Header=BB626_24 Depth=2
	s_lshl_b64 s[8:9], s[30:31], 2
	s_mov_b32 s11, exec_lo
	s_add_nc_u64 s[8:9], s[40:41], s[8:9]
	s_wait_xcnt 0x0
	v_cmpx_gt_u32_e64 s7, v2
	s_cbranch_execnz .LBB626_77
; %bb.28:                               ;   in Loop: Header=BB626_24 Depth=2
	s_or_b32 exec_lo, exec_lo, s11
	s_delay_alu instid0(SALU_CYCLE_1)
	s_mov_b32 s11, exec_lo
	v_cmpx_gt_u32_e64 s7, v3
	s_cbranch_execnz .LBB626_78
.LBB626_29:                             ;   in Loop: Header=BB626_24 Depth=2
	s_or_b32 exec_lo, exec_lo, s11
	s_delay_alu instid0(SALU_CYCLE_1)
	s_mov_b32 s11, exec_lo
	v_cmpx_gt_u32_e64 s7, v70
	s_cbranch_execnz .LBB626_79
.LBB626_30:                             ;   in Loop: Header=BB626_24 Depth=2
	s_or_b32 exec_lo, exec_lo, s11
	s_delay_alu instid0(SALU_CYCLE_1)
	s_mov_b32 s11, exec_lo
	v_cmpx_gt_u32_e64 s7, v71
	s_cbranch_execnz .LBB626_80
.LBB626_31:                             ;   in Loop: Header=BB626_24 Depth=2
	s_or_b32 exec_lo, exec_lo, s11
	s_delay_alu instid0(SALU_CYCLE_1)
	s_mov_b32 s11, exec_lo
	v_cmpx_gt_u32_e64 s7, v72
	s_cbranch_execnz .LBB626_81
.LBB626_32:                             ;   in Loop: Header=BB626_24 Depth=2
	s_or_b32 exec_lo, exec_lo, s11
	s_delay_alu instid0(SALU_CYCLE_1)
	s_mov_b32 s11, exec_lo
	v_cmpx_gt_u32_e64 s7, v73
	s_cbranch_execnz .LBB626_82
.LBB626_33:                             ;   in Loop: Header=BB626_24 Depth=2
	s_or_b32 exec_lo, exec_lo, s11
	s_delay_alu instid0(SALU_CYCLE_1)
	s_mov_b32 s11, exec_lo
	v_cmpx_gt_u32_e64 s7, v74
	s_cbranch_execnz .LBB626_83
.LBB626_34:                             ;   in Loop: Header=BB626_24 Depth=2
	s_or_b32 exec_lo, exec_lo, s11
	s_delay_alu instid0(SALU_CYCLE_1)
	s_mov_b32 s11, exec_lo
	v_cmpx_gt_u32_e64 s7, v75
	s_cbranch_execnz .LBB626_84
.LBB626_35:                             ;   in Loop: Header=BB626_24 Depth=2
	s_or_b32 exec_lo, exec_lo, s11
	s_delay_alu instid0(SALU_CYCLE_1)
	s_mov_b32 s11, exec_lo
	v_cmpx_gt_u32_e64 s7, v76
	s_cbranch_execnz .LBB626_85
.LBB626_36:                             ;   in Loop: Header=BB626_24 Depth=2
	s_or_b32 exec_lo, exec_lo, s11
	s_delay_alu instid0(SALU_CYCLE_1)
	s_mov_b32 s11, exec_lo
	v_cmpx_gt_u32_e64 s7, v77
	s_cbranch_execnz .LBB626_86
.LBB626_37:                             ;   in Loop: Header=BB626_24 Depth=2
	s_or_b32 exec_lo, exec_lo, s11
	s_delay_alu instid0(SALU_CYCLE_1)
	s_mov_b32 s11, exec_lo
	v_cmpx_gt_u32_e64 s7, v78
	s_cbranch_execnz .LBB626_87
.LBB626_38:                             ;   in Loop: Header=BB626_24 Depth=2
	s_or_b32 exec_lo, exec_lo, s11
	s_delay_alu instid0(SALU_CYCLE_1)
	s_mov_b32 s11, exec_lo
	v_cmpx_gt_u32_e64 s7, v79
	s_cbranch_execnz .LBB626_88
.LBB626_39:                             ;   in Loop: Header=BB626_24 Depth=2
	s_or_b32 exec_lo, exec_lo, s11
	s_delay_alu instid0(SALU_CYCLE_1)
	s_mov_b32 s11, exec_lo
	v_cmpx_gt_u32_e64 s7, v80
	s_cbranch_execnz .LBB626_89
.LBB626_40:                             ;   in Loop: Header=BB626_24 Depth=2
	s_or_b32 exec_lo, exec_lo, s11
	s_delay_alu instid0(SALU_CYCLE_1)
	s_mov_b32 s11, exec_lo
	v_cmpx_gt_u32_e64 s7, v81
	s_cbranch_execnz .LBB626_90
.LBB626_41:                             ;   in Loop: Header=BB626_24 Depth=2
	s_or_b32 exec_lo, exec_lo, s11
	s_delay_alu instid0(SALU_CYCLE_1)
	s_mov_b32 s11, exec_lo
	v_cmpx_gt_u32_e64 s7, v82
	s_cbranch_execnz .LBB626_91
.LBB626_42:                             ;   in Loop: Header=BB626_24 Depth=2
	s_or_b32 exec_lo, exec_lo, s11
	s_delay_alu instid0(SALU_CYCLE_1)
	s_mov_b32 s11, exec_lo
	v_cmpx_gt_u32_e64 s7, v83
	s_cbranch_execz .LBB626_44
.LBB626_43:                             ;   in Loop: Header=BB626_24 Depth=2
	global_load_b32 v25, v2, s[8:9] offset:15360 scale_offset
.LBB626_44:                             ;   in Loop: Header=BB626_24 Depth=2
	s_wait_xcnt 0x0
	s_or_b32 exec_lo, exec_lo, s11
	s_wait_loadcnt 0x0
	v_dual_mov_b32 v41, v40 :: v_dual_mov_b32 v42, v39
	v_dual_mov_b32 v43, v38 :: v_dual_mov_b32 v44, v37
	v_dual_mov_b32 v45, v36 :: v_dual_mov_b32 v46, v35
	v_dual_mov_b32 v47, v34 :: v_dual_mov_b32 v48, v33
	v_dual_mov_b32 v49, v32 :: v_dual_mov_b32 v50, v31
	v_dual_mov_b32 v51, v30 :: v_dual_mov_b32 v52, v29
	v_dual_mov_b32 v53, v28 :: v_dual_mov_b32 v54, v27
	v_dual_mov_b32 v55, v26 :: v_dual_mov_b32 v56, v25
	s_mov_b32 s8, s7
.LBB626_45:                             ;   in Loop: Header=BB626_24 Depth=2
	s_wait_loadcnt 0x0
	s_delay_alu instid0(VALU_DEP_1)
	v_dual_mov_b32 v25, v56 :: v_dual_mov_b32 v26, v55
	v_dual_mov_b32 v27, v54 :: v_dual_mov_b32 v28, v53
	;; [unrolled: 1-line block ×8, first 2 shown]
	s_mov_b32 s9, exec_lo
	s_wait_xcnt 0x0
	v_cmpx_gt_u32_e64 s8, v2
	s_cbranch_execnz .LBB626_61
; %bb.46:                               ;   in Loop: Header=BB626_24 Depth=2
	s_or_b32 exec_lo, exec_lo, s9
	s_delay_alu instid0(SALU_CYCLE_1)
	s_mov_b32 s9, exec_lo
	v_cmpx_gt_u32_e64 s8, v3
	s_cbranch_execnz .LBB626_62
.LBB626_47:                             ;   in Loop: Header=BB626_24 Depth=2
	s_or_b32 exec_lo, exec_lo, s9
	s_delay_alu instid0(SALU_CYCLE_1)
	s_mov_b32 s9, exec_lo
	v_cmpx_gt_u32_e64 s8, v70
	s_cbranch_execnz .LBB626_63
.LBB626_48:                             ;   in Loop: Header=BB626_24 Depth=2
	s_or_b32 exec_lo, exec_lo, s9
	s_delay_alu instid0(SALU_CYCLE_1)
	s_mov_b32 s9, exec_lo
	v_cmpx_gt_u32_e64 s8, v71
	s_cbranch_execnz .LBB626_64
.LBB626_49:                             ;   in Loop: Header=BB626_24 Depth=2
	s_or_b32 exec_lo, exec_lo, s9
	s_delay_alu instid0(SALU_CYCLE_1)
	s_mov_b32 s9, exec_lo
	v_cmpx_gt_u32_e64 s8, v72
	s_cbranch_execnz .LBB626_65
.LBB626_50:                             ;   in Loop: Header=BB626_24 Depth=2
	s_or_b32 exec_lo, exec_lo, s9
	s_delay_alu instid0(SALU_CYCLE_1)
	s_mov_b32 s9, exec_lo
	v_cmpx_gt_u32_e64 s8, v73
	s_cbranch_execnz .LBB626_66
.LBB626_51:                             ;   in Loop: Header=BB626_24 Depth=2
	s_or_b32 exec_lo, exec_lo, s9
	s_delay_alu instid0(SALU_CYCLE_1)
	s_mov_b32 s9, exec_lo
	v_cmpx_gt_u32_e64 s8, v74
	s_cbranch_execnz .LBB626_67
.LBB626_52:                             ;   in Loop: Header=BB626_24 Depth=2
	s_or_b32 exec_lo, exec_lo, s9
	s_delay_alu instid0(SALU_CYCLE_1)
	s_mov_b32 s9, exec_lo
	v_cmpx_gt_u32_e64 s8, v75
	s_cbranch_execnz .LBB626_68
.LBB626_53:                             ;   in Loop: Header=BB626_24 Depth=2
	s_or_b32 exec_lo, exec_lo, s9
	s_delay_alu instid0(SALU_CYCLE_1)
	s_mov_b32 s9, exec_lo
	v_cmpx_gt_u32_e64 s8, v76
	s_cbranch_execnz .LBB626_69
.LBB626_54:                             ;   in Loop: Header=BB626_24 Depth=2
	s_or_b32 exec_lo, exec_lo, s9
	s_delay_alu instid0(SALU_CYCLE_1)
	s_mov_b32 s9, exec_lo
	v_cmpx_gt_u32_e64 s8, v77
	s_cbranch_execnz .LBB626_70
.LBB626_55:                             ;   in Loop: Header=BB626_24 Depth=2
	s_or_b32 exec_lo, exec_lo, s9
	s_delay_alu instid0(SALU_CYCLE_1)
	s_mov_b32 s9, exec_lo
	v_cmpx_gt_u32_e64 s8, v78
	s_cbranch_execnz .LBB626_71
.LBB626_56:                             ;   in Loop: Header=BB626_24 Depth=2
	s_or_b32 exec_lo, exec_lo, s9
	s_delay_alu instid0(SALU_CYCLE_1)
	s_mov_b32 s9, exec_lo
	v_cmpx_gt_u32_e64 s8, v79
	s_cbranch_execnz .LBB626_72
.LBB626_57:                             ;   in Loop: Header=BB626_24 Depth=2
	s_or_b32 exec_lo, exec_lo, s9
	s_delay_alu instid0(SALU_CYCLE_1)
	s_mov_b32 s9, exec_lo
	v_cmpx_gt_u32_e64 s8, v80
	s_cbranch_execnz .LBB626_73
.LBB626_58:                             ;   in Loop: Header=BB626_24 Depth=2
	s_or_b32 exec_lo, exec_lo, s9
	s_delay_alu instid0(SALU_CYCLE_1)
	s_mov_b32 s9, exec_lo
	v_cmpx_gt_u32_e64 s8, v81
	s_cbranch_execnz .LBB626_74
.LBB626_59:                             ;   in Loop: Header=BB626_24 Depth=2
	s_or_b32 exec_lo, exec_lo, s9
	s_delay_alu instid0(SALU_CYCLE_1)
	s_mov_b32 s9, exec_lo
	v_cmpx_gt_u32_e64 s8, v82
	s_cbranch_execnz .LBB626_75
.LBB626_60:                             ;   in Loop: Header=BB626_24 Depth=2
	s_or_b32 exec_lo, exec_lo, s9
	v_cmp_gt_u32_e32 vcc_lo, s8, v83
	s_and_saveexec_b32 s8, vcc_lo
	s_cbranch_execz .LBB626_23
	s_branch .LBB626_76
.LBB626_61:                             ;   in Loop: Header=BB626_24 Depth=2
	v_xor_b32_e32 v41, 0x80000000, v40
	s_delay_alu instid0(VALU_DEP_1) | instskip(NEXT) | instid1(VALU_DEP_1)
	v_lshrrev_b32_e32 v41, s43, v41
	v_and_b32_e32 v41, s48, v41
	s_delay_alu instid0(VALU_DEP_1) | instskip(SKIP_2) | instid1(SALU_CYCLE_1)
	v_lshl_or_b32 v41, v41, 4, v84
	ds_add_u32 v41, v95
	s_or_b32 exec_lo, exec_lo, s9
	s_mov_b32 s9, exec_lo
	v_cmpx_gt_u32_e64 s8, v3
	s_cbranch_execz .LBB626_47
.LBB626_62:                             ;   in Loop: Header=BB626_24 Depth=2
	v_xor_b32_e32 v41, 0x80000000, v39
	s_delay_alu instid0(VALU_DEP_1) | instskip(NEXT) | instid1(VALU_DEP_1)
	v_lshrrev_b32_e32 v41, s43, v41
	v_and_b32_e32 v41, s48, v41
	s_delay_alu instid0(VALU_DEP_1) | instskip(SKIP_2) | instid1(SALU_CYCLE_1)
	v_lshl_or_b32 v41, v41, 4, v84
	ds_add_u32 v41, v95
	s_or_b32 exec_lo, exec_lo, s9
	s_mov_b32 s9, exec_lo
	v_cmpx_gt_u32_e64 s8, v70
	s_cbranch_execz .LBB626_48
.LBB626_63:                             ;   in Loop: Header=BB626_24 Depth=2
	v_xor_b32_e32 v41, 0x80000000, v38
	s_delay_alu instid0(VALU_DEP_1) | instskip(NEXT) | instid1(VALU_DEP_1)
	v_lshrrev_b32_e32 v41, s43, v41
	v_and_b32_e32 v41, s48, v41
	s_delay_alu instid0(VALU_DEP_1) | instskip(SKIP_2) | instid1(SALU_CYCLE_1)
	v_lshl_or_b32 v41, v41, 4, v84
	ds_add_u32 v41, v95
	s_or_b32 exec_lo, exec_lo, s9
	s_mov_b32 s9, exec_lo
	v_cmpx_gt_u32_e64 s8, v71
	s_cbranch_execz .LBB626_49
.LBB626_64:                             ;   in Loop: Header=BB626_24 Depth=2
	v_xor_b32_e32 v41, 0x80000000, v37
	s_delay_alu instid0(VALU_DEP_1) | instskip(NEXT) | instid1(VALU_DEP_1)
	v_lshrrev_b32_e32 v41, s43, v41
	v_and_b32_e32 v41, s48, v41
	s_delay_alu instid0(VALU_DEP_1) | instskip(SKIP_2) | instid1(SALU_CYCLE_1)
	v_lshl_or_b32 v41, v41, 4, v84
	ds_add_u32 v41, v95
	s_or_b32 exec_lo, exec_lo, s9
	s_mov_b32 s9, exec_lo
	v_cmpx_gt_u32_e64 s8, v72
	s_cbranch_execz .LBB626_50
.LBB626_65:                             ;   in Loop: Header=BB626_24 Depth=2
	v_xor_b32_e32 v41, 0x80000000, v36
	s_delay_alu instid0(VALU_DEP_1) | instskip(NEXT) | instid1(VALU_DEP_1)
	v_lshrrev_b32_e32 v41, s43, v41
	v_and_b32_e32 v41, s48, v41
	s_delay_alu instid0(VALU_DEP_1) | instskip(SKIP_2) | instid1(SALU_CYCLE_1)
	v_lshl_or_b32 v41, v41, 4, v84
	ds_add_u32 v41, v95
	s_or_b32 exec_lo, exec_lo, s9
	s_mov_b32 s9, exec_lo
	v_cmpx_gt_u32_e64 s8, v73
	s_cbranch_execz .LBB626_51
.LBB626_66:                             ;   in Loop: Header=BB626_24 Depth=2
	v_xor_b32_e32 v41, 0x80000000, v35
	s_delay_alu instid0(VALU_DEP_1) | instskip(NEXT) | instid1(VALU_DEP_1)
	v_lshrrev_b32_e32 v41, s43, v41
	v_and_b32_e32 v41, s48, v41
	s_delay_alu instid0(VALU_DEP_1) | instskip(SKIP_2) | instid1(SALU_CYCLE_1)
	v_lshl_or_b32 v41, v41, 4, v84
	ds_add_u32 v41, v95
	s_or_b32 exec_lo, exec_lo, s9
	s_mov_b32 s9, exec_lo
	v_cmpx_gt_u32_e64 s8, v74
	s_cbranch_execz .LBB626_52
.LBB626_67:                             ;   in Loop: Header=BB626_24 Depth=2
	v_xor_b32_e32 v41, 0x80000000, v34
	s_delay_alu instid0(VALU_DEP_1) | instskip(NEXT) | instid1(VALU_DEP_1)
	v_lshrrev_b32_e32 v41, s43, v41
	v_and_b32_e32 v41, s48, v41
	s_delay_alu instid0(VALU_DEP_1) | instskip(SKIP_2) | instid1(SALU_CYCLE_1)
	v_lshl_or_b32 v41, v41, 4, v84
	ds_add_u32 v41, v95
	s_or_b32 exec_lo, exec_lo, s9
	s_mov_b32 s9, exec_lo
	v_cmpx_gt_u32_e64 s8, v75
	s_cbranch_execz .LBB626_53
.LBB626_68:                             ;   in Loop: Header=BB626_24 Depth=2
	v_xor_b32_e32 v41, 0x80000000, v33
	s_delay_alu instid0(VALU_DEP_1) | instskip(NEXT) | instid1(VALU_DEP_1)
	v_lshrrev_b32_e32 v41, s43, v41
	v_and_b32_e32 v41, s48, v41
	s_delay_alu instid0(VALU_DEP_1) | instskip(SKIP_2) | instid1(SALU_CYCLE_1)
	v_lshl_or_b32 v41, v41, 4, v84
	ds_add_u32 v41, v95
	s_or_b32 exec_lo, exec_lo, s9
	s_mov_b32 s9, exec_lo
	v_cmpx_gt_u32_e64 s8, v76
	s_cbranch_execz .LBB626_54
.LBB626_69:                             ;   in Loop: Header=BB626_24 Depth=2
	v_xor_b32_e32 v41, 0x80000000, v32
	s_delay_alu instid0(VALU_DEP_1) | instskip(NEXT) | instid1(VALU_DEP_1)
	v_lshrrev_b32_e32 v41, s43, v41
	v_and_b32_e32 v41, s48, v41
	s_delay_alu instid0(VALU_DEP_1) | instskip(SKIP_2) | instid1(SALU_CYCLE_1)
	v_lshl_or_b32 v41, v41, 4, v84
	ds_add_u32 v41, v95
	s_or_b32 exec_lo, exec_lo, s9
	s_mov_b32 s9, exec_lo
	v_cmpx_gt_u32_e64 s8, v77
	s_cbranch_execz .LBB626_55
.LBB626_70:                             ;   in Loop: Header=BB626_24 Depth=2
	v_xor_b32_e32 v41, 0x80000000, v31
	s_delay_alu instid0(VALU_DEP_1) | instskip(NEXT) | instid1(VALU_DEP_1)
	v_lshrrev_b32_e32 v41, s43, v41
	v_and_b32_e32 v41, s48, v41
	s_delay_alu instid0(VALU_DEP_1) | instskip(SKIP_2) | instid1(SALU_CYCLE_1)
	v_lshl_or_b32 v41, v41, 4, v84
	ds_add_u32 v41, v95
	s_or_b32 exec_lo, exec_lo, s9
	s_mov_b32 s9, exec_lo
	v_cmpx_gt_u32_e64 s8, v78
	s_cbranch_execz .LBB626_56
.LBB626_71:                             ;   in Loop: Header=BB626_24 Depth=2
	v_xor_b32_e32 v41, 0x80000000, v30
	s_delay_alu instid0(VALU_DEP_1) | instskip(NEXT) | instid1(VALU_DEP_1)
	v_lshrrev_b32_e32 v41, s43, v41
	v_and_b32_e32 v41, s48, v41
	s_delay_alu instid0(VALU_DEP_1) | instskip(SKIP_2) | instid1(SALU_CYCLE_1)
	v_lshl_or_b32 v41, v41, 4, v84
	ds_add_u32 v41, v95
	s_or_b32 exec_lo, exec_lo, s9
	s_mov_b32 s9, exec_lo
	v_cmpx_gt_u32_e64 s8, v79
	s_cbranch_execz .LBB626_57
.LBB626_72:                             ;   in Loop: Header=BB626_24 Depth=2
	v_xor_b32_e32 v41, 0x80000000, v29
	s_delay_alu instid0(VALU_DEP_1) | instskip(NEXT) | instid1(VALU_DEP_1)
	v_lshrrev_b32_e32 v41, s43, v41
	v_and_b32_e32 v41, s48, v41
	s_delay_alu instid0(VALU_DEP_1) | instskip(SKIP_2) | instid1(SALU_CYCLE_1)
	v_lshl_or_b32 v41, v41, 4, v84
	ds_add_u32 v41, v95
	s_or_b32 exec_lo, exec_lo, s9
	s_mov_b32 s9, exec_lo
	v_cmpx_gt_u32_e64 s8, v80
	s_cbranch_execz .LBB626_58
.LBB626_73:                             ;   in Loop: Header=BB626_24 Depth=2
	v_xor_b32_e32 v41, 0x80000000, v28
	s_delay_alu instid0(VALU_DEP_1) | instskip(NEXT) | instid1(VALU_DEP_1)
	v_lshrrev_b32_e32 v41, s43, v41
	v_and_b32_e32 v41, s48, v41
	s_delay_alu instid0(VALU_DEP_1) | instskip(SKIP_2) | instid1(SALU_CYCLE_1)
	v_lshl_or_b32 v41, v41, 4, v84
	ds_add_u32 v41, v95
	s_or_b32 exec_lo, exec_lo, s9
	s_mov_b32 s9, exec_lo
	v_cmpx_gt_u32_e64 s8, v81
	s_cbranch_execz .LBB626_59
.LBB626_74:                             ;   in Loop: Header=BB626_24 Depth=2
	v_xor_b32_e32 v41, 0x80000000, v27
	s_delay_alu instid0(VALU_DEP_1) | instskip(NEXT) | instid1(VALU_DEP_1)
	v_lshrrev_b32_e32 v41, s43, v41
	v_and_b32_e32 v41, s48, v41
	s_delay_alu instid0(VALU_DEP_1) | instskip(SKIP_2) | instid1(SALU_CYCLE_1)
	v_lshl_or_b32 v41, v41, 4, v84
	ds_add_u32 v41, v95
	s_or_b32 exec_lo, exec_lo, s9
	s_mov_b32 s9, exec_lo
	v_cmpx_gt_u32_e64 s8, v82
	s_cbranch_execz .LBB626_60
.LBB626_75:                             ;   in Loop: Header=BB626_24 Depth=2
	v_xor_b32_e32 v41, 0x80000000, v26
	s_delay_alu instid0(VALU_DEP_1) | instskip(NEXT) | instid1(VALU_DEP_1)
	v_lshrrev_b32_e32 v41, s43, v41
	v_and_b32_e32 v41, s48, v41
	s_delay_alu instid0(VALU_DEP_1)
	v_lshl_or_b32 v41, v41, 4, v84
	ds_add_u32 v41, v95
	s_or_b32 exec_lo, exec_lo, s9
	v_cmp_gt_u32_e32 vcc_lo, s8, v83
	s_and_saveexec_b32 s8, vcc_lo
	s_cbranch_execz .LBB626_23
.LBB626_76:                             ;   in Loop: Header=BB626_24 Depth=2
	v_xor_b32_e32 v41, 0x80000000, v25
	s_delay_alu instid0(VALU_DEP_1) | instskip(NEXT) | instid1(VALU_DEP_1)
	v_lshrrev_b32_e32 v41, s43, v41
	v_and_b32_e32 v41, s48, v41
	s_delay_alu instid0(VALU_DEP_1)
	v_lshl_or_b32 v41, v41, 4, v84
	ds_add_u32 v41, v95
	s_branch .LBB626_23
.LBB626_77:                             ;   in Loop: Header=BB626_24 Depth=2
	global_load_b32 v40, v2, s[8:9] scale_offset
	s_wait_xcnt 0x0
	s_or_b32 exec_lo, exec_lo, s11
	s_delay_alu instid0(SALU_CYCLE_1)
	s_mov_b32 s11, exec_lo
	v_cmpx_gt_u32_e64 s7, v3
	s_cbranch_execz .LBB626_29
.LBB626_78:                             ;   in Loop: Header=BB626_24 Depth=2
	global_load_b32 v39, v2, s[8:9] offset:1024 scale_offset
	s_wait_xcnt 0x0
	s_or_b32 exec_lo, exec_lo, s11
	s_delay_alu instid0(SALU_CYCLE_1)
	s_mov_b32 s11, exec_lo
	v_cmpx_gt_u32_e64 s7, v70
	s_cbranch_execz .LBB626_30
.LBB626_79:                             ;   in Loop: Header=BB626_24 Depth=2
	global_load_b32 v38, v2, s[8:9] offset:2048 scale_offset
	s_wait_xcnt 0x0
	s_or_b32 exec_lo, exec_lo, s11
	s_delay_alu instid0(SALU_CYCLE_1)
	s_mov_b32 s11, exec_lo
	v_cmpx_gt_u32_e64 s7, v71
	s_cbranch_execz .LBB626_31
.LBB626_80:                             ;   in Loop: Header=BB626_24 Depth=2
	global_load_b32 v37, v2, s[8:9] offset:3072 scale_offset
	s_wait_xcnt 0x0
	s_or_b32 exec_lo, exec_lo, s11
	s_delay_alu instid0(SALU_CYCLE_1)
	s_mov_b32 s11, exec_lo
	v_cmpx_gt_u32_e64 s7, v72
	s_cbranch_execz .LBB626_32
.LBB626_81:                             ;   in Loop: Header=BB626_24 Depth=2
	global_load_b32 v36, v2, s[8:9] offset:4096 scale_offset
	s_wait_xcnt 0x0
	s_or_b32 exec_lo, exec_lo, s11
	s_delay_alu instid0(SALU_CYCLE_1)
	s_mov_b32 s11, exec_lo
	v_cmpx_gt_u32_e64 s7, v73
	s_cbranch_execz .LBB626_33
.LBB626_82:                             ;   in Loop: Header=BB626_24 Depth=2
	global_load_b32 v35, v2, s[8:9] offset:5120 scale_offset
	s_wait_xcnt 0x0
	s_or_b32 exec_lo, exec_lo, s11
	s_delay_alu instid0(SALU_CYCLE_1)
	s_mov_b32 s11, exec_lo
	v_cmpx_gt_u32_e64 s7, v74
	s_cbranch_execz .LBB626_34
.LBB626_83:                             ;   in Loop: Header=BB626_24 Depth=2
	global_load_b32 v34, v2, s[8:9] offset:6144 scale_offset
	s_wait_xcnt 0x0
	s_or_b32 exec_lo, exec_lo, s11
	s_delay_alu instid0(SALU_CYCLE_1)
	s_mov_b32 s11, exec_lo
	v_cmpx_gt_u32_e64 s7, v75
	s_cbranch_execz .LBB626_35
.LBB626_84:                             ;   in Loop: Header=BB626_24 Depth=2
	global_load_b32 v33, v2, s[8:9] offset:7168 scale_offset
	s_wait_xcnt 0x0
	s_or_b32 exec_lo, exec_lo, s11
	s_delay_alu instid0(SALU_CYCLE_1)
	s_mov_b32 s11, exec_lo
	v_cmpx_gt_u32_e64 s7, v76
	s_cbranch_execz .LBB626_36
.LBB626_85:                             ;   in Loop: Header=BB626_24 Depth=2
	global_load_b32 v32, v2, s[8:9] offset:8192 scale_offset
	s_wait_xcnt 0x0
	s_or_b32 exec_lo, exec_lo, s11
	s_delay_alu instid0(SALU_CYCLE_1)
	s_mov_b32 s11, exec_lo
	v_cmpx_gt_u32_e64 s7, v77
	s_cbranch_execz .LBB626_37
.LBB626_86:                             ;   in Loop: Header=BB626_24 Depth=2
	global_load_b32 v31, v2, s[8:9] offset:9216 scale_offset
	s_wait_xcnt 0x0
	s_or_b32 exec_lo, exec_lo, s11
	s_delay_alu instid0(SALU_CYCLE_1)
	s_mov_b32 s11, exec_lo
	v_cmpx_gt_u32_e64 s7, v78
	s_cbranch_execz .LBB626_38
.LBB626_87:                             ;   in Loop: Header=BB626_24 Depth=2
	global_load_b32 v30, v2, s[8:9] offset:10240 scale_offset
	s_wait_xcnt 0x0
	s_or_b32 exec_lo, exec_lo, s11
	s_delay_alu instid0(SALU_CYCLE_1)
	s_mov_b32 s11, exec_lo
	v_cmpx_gt_u32_e64 s7, v79
	s_cbranch_execz .LBB626_39
.LBB626_88:                             ;   in Loop: Header=BB626_24 Depth=2
	global_load_b32 v29, v2, s[8:9] offset:11264 scale_offset
	s_wait_xcnt 0x0
	s_or_b32 exec_lo, exec_lo, s11
	s_delay_alu instid0(SALU_CYCLE_1)
	s_mov_b32 s11, exec_lo
	v_cmpx_gt_u32_e64 s7, v80
	s_cbranch_execz .LBB626_40
.LBB626_89:                             ;   in Loop: Header=BB626_24 Depth=2
	global_load_b32 v28, v2, s[8:9] offset:12288 scale_offset
	s_wait_xcnt 0x0
	s_or_b32 exec_lo, exec_lo, s11
	s_delay_alu instid0(SALU_CYCLE_1)
	s_mov_b32 s11, exec_lo
	v_cmpx_gt_u32_e64 s7, v81
	s_cbranch_execz .LBB626_41
.LBB626_90:                             ;   in Loop: Header=BB626_24 Depth=2
	global_load_b32 v27, v2, s[8:9] offset:13312 scale_offset
	s_wait_xcnt 0x0
	s_or_b32 exec_lo, exec_lo, s11
	s_delay_alu instid0(SALU_CYCLE_1)
	s_mov_b32 s11, exec_lo
	v_cmpx_gt_u32_e64 s7, v82
	s_cbranch_execz .LBB626_42
.LBB626_91:                             ;   in Loop: Header=BB626_24 Depth=2
	global_load_b32 v26, v2, s[8:9] offset:14336 scale_offset
	s_wait_xcnt 0x0
	s_or_b32 exec_lo, exec_lo, s11
	s_delay_alu instid0(SALU_CYCLE_1)
	s_mov_b32 s11, exec_lo
	v_cmpx_gt_u32_e64 s7, v83
	s_cbranch_execnz .LBB626_43
	s_branch .LBB626_44
.LBB626_92:                             ;   in Loop: Header=BB626_20 Depth=1
	v_mov_b32_e32 v25, 0
	s_wait_dscnt 0x0
	s_barrier_signal -1
	s_barrier_wait -1
	s_and_saveexec_b32 s7, s0
	s_cbranch_execz .LBB626_94
; %bb.93:                               ;   in Loop: Header=BB626_20 Depth=1
	ds_load_2addr_b64 v[26:29], v86 offset1:1
	s_wait_dscnt 0x0
	v_add_nc_u32_e32 v25, v27, v26
	s_delay_alu instid0(VALU_DEP_1)
	v_add3_u32 v25, v25, v28, v29
.LBB626_94:                             ;   in Loop: Header=BB626_20 Depth=1
	s_or_b32 exec_lo, exec_lo, s7
	s_delay_alu instid0(VALU_DEP_1)
	v_mov_b32_dpp v26, v25 row_shr:1 row_mask:0xf bank_mask:0xf
	v_cmp_eq_u32_e64 s7, 0, v96
	v_cmp_lt_u32_e64 s8, 1, v96
	v_cmp_lt_u32_e64 s9, 3, v96
	;; [unrolled: 1-line block ×3, first 2 shown]
	v_cmp_eq_u32_e64 s11, 0, v98
	v_cndmask_b32_e64 v26, v26, 0, s7
	s_delay_alu instid0(VALU_DEP_1) | instskip(NEXT) | instid1(VALU_DEP_1)
	v_add_nc_u32_e32 v25, v26, v25
	v_mov_b32_dpp v26, v25 row_shr:2 row_mask:0xf bank_mask:0xf
	s_delay_alu instid0(VALU_DEP_1) | instskip(NEXT) | instid1(VALU_DEP_1)
	v_cndmask_b32_e64 v26, 0, v26, s8
	v_add_nc_u32_e32 v25, v25, v26
	s_delay_alu instid0(VALU_DEP_1) | instskip(NEXT) | instid1(VALU_DEP_1)
	v_mov_b32_dpp v26, v25 row_shr:4 row_mask:0xf bank_mask:0xf
	v_cndmask_b32_e64 v26, 0, v26, s9
	s_delay_alu instid0(VALU_DEP_1) | instskip(NEXT) | instid1(VALU_DEP_1)
	v_add_nc_u32_e32 v25, v25, v26
	v_mov_b32_dpp v26, v25 row_shr:8 row_mask:0xf bank_mask:0xf
	s_delay_alu instid0(VALU_DEP_1) | instskip(NEXT) | instid1(VALU_DEP_1)
	v_cndmask_b32_e64 v26, 0, v26, s10
	v_add_nc_u32_e32 v25, v25, v26
	ds_swizzle_b32 v26, v25 offset:swizzle(BROADCAST,32,15)
	s_wait_dscnt 0x0
	v_and_b32_e32 v26, v97, v26
	s_delay_alu instid0(VALU_DEP_1)
	v_add_nc_u32_e32 v25, v25, v26
	s_and_saveexec_b32 s12, s1
; %bb.95:                               ;   in Loop: Header=BB626_20 Depth=1
	ds_store_b32 v87, v25
; %bb.96:                               ;   in Loop: Header=BB626_20 Depth=1
	s_or_b32 exec_lo, exec_lo, s12
	s_wait_dscnt 0x0
	s_barrier_signal -1
	s_barrier_wait -1
	s_and_saveexec_b32 s12, s4
	s_cbranch_execz .LBB626_98
; %bb.97:                               ;   in Loop: Header=BB626_20 Depth=1
	ds_load_b32 v26, v88
	v_cmp_ne_u32_e32 vcc_lo, 0, v100
	s_wait_dscnt 0x0
	v_mov_b32_dpp v27, v26 row_shr:1 row_mask:0xf bank_mask:0xf
	s_delay_alu instid0(VALU_DEP_1) | instskip(SKIP_1) | instid1(VALU_DEP_2)
	v_cndmask_b32_e32 v27, 0, v27, vcc_lo
	v_cmp_lt_u32_e32 vcc_lo, 1, v100
	v_add_nc_u32_e32 v26, v27, v26
	s_delay_alu instid0(VALU_DEP_1) | instskip(NEXT) | instid1(VALU_DEP_1)
	v_mov_b32_dpp v27, v26 row_shr:2 row_mask:0xf bank_mask:0xf
	v_cndmask_b32_e32 v27, 0, v27, vcc_lo
	v_cmp_lt_u32_e32 vcc_lo, 3, v100
	s_delay_alu instid0(VALU_DEP_2) | instskip(NEXT) | instid1(VALU_DEP_1)
	v_add_nc_u32_e32 v26, v26, v27
	v_mov_b32_dpp v27, v26 row_shr:4 row_mask:0xf bank_mask:0xf
	s_delay_alu instid0(VALU_DEP_1) | instskip(NEXT) | instid1(VALU_DEP_1)
	v_cndmask_b32_e32 v27, 0, v27, vcc_lo
	v_add_nc_u32_e32 v26, v26, v27
	ds_store_b32 v88, v26
.LBB626_98:                             ;   in Loop: Header=BB626_20 Depth=1
	s_or_b32 exec_lo, exec_lo, s12
	v_mov_b32_e32 v26, 0
	s_wait_dscnt 0x0
	s_barrier_signal -1
	s_barrier_wait -1
	s_and_saveexec_b32 s12, s5
; %bb.99:                               ;   in Loop: Header=BB626_20 Depth=1
	ds_load_b32 v26, v89
; %bb.100:                              ;   in Loop: Header=BB626_20 Depth=1
	s_or_b32 exec_lo, exec_lo, s12
	v_cmp_gt_i32_e32 vcc_lo, 0, v101
	s_wait_dscnt 0x0
	s_barrier_signal -1
	s_barrier_wait -1
	v_dual_cndmask_b32 v27, v101, v94, vcc_lo :: v_dual_add_nc_u32 v25, v26, v25
	s_delay_alu instid0(VALU_DEP_1)
	v_lshlrev_b32_e32 v120, 2, v27
	ds_bpermute_b32 v25, v120, v25
	s_and_saveexec_b32 s12, s0
	s_cbranch_execz .LBB626_102
; %bb.101:                              ;   in Loop: Header=BB626_20 Depth=1
	s_wait_dscnt 0x0
	v_cndmask_b32_e64 v25, v25, v26, s6
	s_delay_alu instid0(VALU_DEP_1)
	v_add_nc_u32_e32 v25, s52, v25
	ds_store_b32 v4, v25
.LBB626_102:                            ;   in Loop: Header=BB626_20 Depth=1
	s_or_b32 exec_lo, exec_lo, s12
	s_clause 0x1
	s_load_b32 s12, s[34:35], 0x4
	s_load_b32 s14, s[34:35], 0xc
	s_mov_b32 s55, s54
                                        ; implicit-def: $vgpr32_vgpr33
                                        ; implicit-def: $vgpr34_vgpr35
                                        ; implicit-def: $vgpr36_vgpr37
                                        ; implicit-def: $vgpr38_vgpr39
                                        ; implicit-def: $vgpr40_vgpr41
                                        ; implicit-def: $vgpr42_vgpr43
                                        ; implicit-def: $vgpr44_vgpr45
                                        ; implicit-def: $vgpr46_vgpr47
                                        ; implicit-def: $vgpr48_vgpr49
                                        ; implicit-def: $vgpr50_vgpr51
                                        ; implicit-def: $vgpr52_vgpr53
                                        ; implicit-def: $vgpr54_vgpr55
                                        ; implicit-def: $vgpr56_vgpr57
                                        ; implicit-def: $vgpr58_vgpr59
                                        ; implicit-def: $vgpr60_vgpr61
                                        ; implicit-def: $vgpr121
                                        ; implicit-def: $vgpr122
                                        ; implicit-def: $vgpr123
                                        ; implicit-def: $vgpr124
                                        ; implicit-def: $vgpr125
                                        ; implicit-def: $vgpr126
                                        ; implicit-def: $vgpr127
                                        ; implicit-def: $vgpr128
                                        ; implicit-def: $vgpr129
                                        ; implicit-def: $vgpr130
                                        ; implicit-def: $vgpr131
                                        ; implicit-def: $vgpr132
                                        ; implicit-def: $vgpr133
                                        ; implicit-def: $vgpr134
                                        ; implicit-def: $vgpr135
                                        ; implicit-def: $vgpr136
	s_wait_kmcnt 0x0
	s_cmp_lt_u32 s42, s12
	s_cselect_b32 s30, 14, 20
	s_delay_alu instid0(SALU_CYCLE_1)
	s_add_nc_u64 s[12:13], s[34:35], s[30:31]
	s_mov_b32 s30, s52
	s_load_u16 s12, s[12:13], 0x0
	s_wait_xcnt 0x0
	v_cmp_lt_u32_e64 s13, 1, v100
	s_wait_dscnt 0x0
	s_wait_kmcnt 0x0
	v_mad_u32_u24 v25, v90, s12, v92
	s_and_b32 s12, s14, 0xffff
	v_cmp_lt_u32_e64 s14, 3, v100
	s_delay_alu instid0(VALU_DEP_2) | instskip(SKIP_2) | instid1(VALU_DEP_3)
	v_mad_u32 v26, v25, s12, v2
	v_mov_b32_e32 v25, v1
	v_cmp_eq_u32_e64 s12, 0, v100
	v_lshrrev_b32_e32 v30, 3, v26
	v_add_nc_u64_e32 v[26:27], v[6:7], v[0:1]
	s_delay_alu instid0(VALU_DEP_4) | instskip(NEXT) | instid1(VALU_DEP_3)
	v_add_nc_u64_e32 v[28:29], v[8:9], v[24:25]
	v_and_b32_e32 v25, 0x1ffffffc, v30
                                        ; implicit-def: $vgpr30_vgpr31
	s_branch .LBB626_104
.LBB626_103:                            ;   in Loop: Header=BB626_104 Depth=2
	s_or_b32 exec_lo, exec_lo, s15
	s_addk_co_i32 s55, 0xf000
	s_cmp_lt_u32 s56, s51
	s_mov_b32 s30, s56
	s_cbranch_scc0 .LBB626_312
.LBB626_104:                            ;   Parent Loop BB626_20 Depth=1
                                        ; =>  This Inner Loop Header: Depth=2
	s_add_co_i32 s56, s30, 0x1000
	s_delay_alu instid0(SALU_CYCLE_1)
	s_cmp_gt_u32 s56, s51
	s_cbranch_scc1 .LBB626_106
; %bb.105:                              ;   in Loop: Header=BB626_104 Depth=2
	s_delay_alu instid0(VALU_DEP_2)
	v_lshl_add_u64 v[62:63], s[30:31], 2, v[28:29]
	s_mov_b32 s15, -1
	s_clause 0xe
	global_load_b32 v139, v[62:63], off
	global_load_b32 v140, v[62:63], off offset:128
	global_load_b32 v143, v[62:63], off offset:256
	;; [unrolled: 1-line block ×14, first 2 shown]
	s_movk_i32 s16, 0x1000
	s_cbranch_execz .LBB626_107
	s_branch .LBB626_138
.LBB626_106:                            ;   in Loop: Header=BB626_104 Depth=2
	s_mov_b32 s15, 0
                                        ; implicit-def: $vgpr139
                                        ; implicit-def: $vgpr140
                                        ; implicit-def: $vgpr143
                                        ; implicit-def: $vgpr147
                                        ; implicit-def: $vgpr151
                                        ; implicit-def: $vgpr155
                                        ; implicit-def: $vgpr159
                                        ; implicit-def: $vgpr163
                                        ; implicit-def: $vgpr166
                                        ; implicit-def: $vgpr69
                                        ; implicit-def: $vgpr68
                                        ; implicit-def: $vgpr67
                                        ; implicit-def: $vgpr66
                                        ; implicit-def: $vgpr65
                                        ; implicit-def: $vgpr64
	s_movk_i32 s16, 0x1000
.LBB626_107:                            ;   in Loop: Header=BB626_104 Depth=2
	s_wait_xcnt 0x0
	v_lshl_add_u64 v[62:63], s[30:31], 2, v[28:29]
	s_wait_loadcnt 0xd
	v_bfrev_b32_e32 v140, -2
	v_bfrev_b32_e32 v139, -2
	s_mov_b32 s15, exec_lo
	v_cmpx_gt_u32_e64 s55, v99
	s_cbranch_execz .LBB626_109
; %bb.108:                              ;   in Loop: Header=BB626_104 Depth=2
	global_load_b32 v139, v[62:63], off
.LBB626_109:                            ;   in Loop: Header=BB626_104 Depth=2
	s_wait_xcnt 0x0
	s_or_b32 exec_lo, exec_lo, s15
	s_delay_alu instid0(SALU_CYCLE_1)
	s_mov_b32 s15, exec_lo
	v_cmpx_gt_u32_e64 s55, v102
	s_cbranch_execz .LBB626_111
; %bb.110:                              ;   in Loop: Header=BB626_104 Depth=2
	global_load_b32 v140, v[62:63], off offset:128
.LBB626_111:                            ;   in Loop: Header=BB626_104 Depth=2
	s_wait_xcnt 0x0
	s_or_b32 exec_lo, exec_lo, s15
	s_wait_loadcnt 0xb
	v_bfrev_b32_e32 v147, -2
	v_bfrev_b32_e32 v143, -2
	s_mov_b32 s15, exec_lo
	v_cmpx_gt_u32_e64 s55, v103
	s_cbranch_execz .LBB626_113
; %bb.112:                              ;   in Loop: Header=BB626_104 Depth=2
	global_load_b32 v143, v[62:63], off offset:256
.LBB626_113:                            ;   in Loop: Header=BB626_104 Depth=2
	s_wait_xcnt 0x0
	s_or_b32 exec_lo, exec_lo, s15
	s_delay_alu instid0(SALU_CYCLE_1)
	s_mov_b32 s15, exec_lo
	v_cmpx_gt_u32_e64 s55, v104
	s_cbranch_execz .LBB626_115
; %bb.114:                              ;   in Loop: Header=BB626_104 Depth=2
	global_load_b32 v147, v[62:63], off offset:384
.LBB626_115:                            ;   in Loop: Header=BB626_104 Depth=2
	s_wait_xcnt 0x0
	s_or_b32 exec_lo, exec_lo, s15
	s_wait_loadcnt 0x9
	v_bfrev_b32_e32 v155, -2
	v_bfrev_b32_e32 v151, -2
	s_mov_b32 s15, exec_lo
	v_cmpx_gt_u32_e64 s55, v105
	s_cbranch_execz .LBB626_117
; %bb.116:                              ;   in Loop: Header=BB626_104 Depth=2
	global_load_b32 v151, v[62:63], off offset:512
.LBB626_117:                            ;   in Loop: Header=BB626_104 Depth=2
	;; [unrolled: 20-line block ×6, first 2 shown]
	s_wait_xcnt 0x0
	s_or_b32 exec_lo, exec_lo, s15
	s_delay_alu instid0(SALU_CYCLE_1)
	s_mov_b32 s15, exec_lo
	v_cmpx_gt_u32_e64 s55, v114
	s_cbranch_execz .LBB626_135
; %bb.134:                              ;   in Loop: Header=BB626_104 Depth=2
	global_load_b32 v65, v[62:63], off offset:1664
.LBB626_135:                            ;   in Loop: Header=BB626_104 Depth=2
	s_wait_xcnt 0x0
	s_or_b32 exec_lo, exec_lo, s15
	s_wait_loadcnt 0x0
	v_bfrev_b32_e32 v64, -2
	s_mov_b32 s15, exec_lo
	v_cmpx_gt_u32_e64 s55, v115
	s_cbranch_execz .LBB626_137
; %bb.136:                              ;   in Loop: Header=BB626_104 Depth=2
	global_load_b32 v64, v[62:63], off offset:1792
.LBB626_137:                            ;   in Loop: Header=BB626_104 Depth=2
	s_wait_xcnt 0x0
	s_or_b32 exec_lo, exec_lo, s15
	v_cmp_gt_u32_e64 s15, s55, v116
	s_sub_co_i32 s16, s51, s30
.LBB626_138:                            ;   in Loop: Header=BB626_104 Depth=2
	v_dual_mov_b32 v138, -1 :: v_dual_mov_b32 v137, s55
	s_wait_xcnt 0x0
	s_and_saveexec_b32 s17, s15
	s_cbranch_execz .LBB626_140
; %bb.139:                              ;   in Loop: Header=BB626_104 Depth=2
	v_lshl_add_u64 v[62:63], s[30:31], 2, v[28:29]
	v_mov_b32_e32 v137, s16
	global_load_b32 v62, v[62:63], off offset:1920
	s_wait_loadcnt 0x0
	v_xor_b32_e32 v138, 0x80000000, v62
.LBB626_140:                            ;   in Loop: Header=BB626_104 Depth=2
	s_wait_xcnt 0x0
	s_or_b32 exec_lo, exec_lo, s17
	s_wait_loadcnt 0xe
	v_xor_b32_e32 v139, 0x80000000, v139
	ds_store_2addr_b32 v5, v1, v1 offset1:1
	ds_store_2addr_b32 v117, v1, v1 offset1:1
	;; [unrolled: 1-line block ×4, first 2 shown]
	ds_store_b32 v91, v1 offset:1088
	s_wait_loadcnt_dscnt 0x0
	s_barrier_signal -1
	v_lshrrev_b32_e32 v62, s43, v139
	s_barrier_wait -1
	; wave barrier
	s_delay_alu instid0(VALU_DEP_1) | instskip(NEXT) | instid1(VALU_DEP_1)
	v_and_b32_e32 v142, s48, v62
	v_lshlrev_b32_e32 v141, 30, v142
	v_bitop3_b32 v63, v62, 1, s48 bitop3:0x80
	s_delay_alu instid0(VALU_DEP_1) | instskip(NEXT) | instid1(VALU_DEP_1)
	v_add_co_u32 v62, s15, v63, -1
	v_cndmask_b32_e64 v63, 0, 1, s15
	s_delay_alu instid0(VALU_DEP_4) | instskip(NEXT) | instid1(VALU_DEP_2)
	v_cmp_gt_i32_e64 s15, 0, v141
	v_cmp_ne_u32_e32 vcc_lo, 0, v63
	v_not_b32_e32 v63, v141
	s_delay_alu instid0(VALU_DEP_1) | instskip(SKIP_3) | instid1(VALU_DEP_4)
	v_dual_ashrrev_i32 v63, 31, v63 :: v_dual_lshlrev_b32 v144, 29, v142
	v_dual_lshlrev_b32 v145, 28, v142 :: v_dual_lshlrev_b32 v146, 27, v142
	v_dual_lshlrev_b32 v148, 26, v142 :: v_dual_lshlrev_b32 v149, 25, v142
	v_lshlrev_b32_e32 v150, 24, v142
	v_cmp_gt_i32_e64 s16, 0, v144
	v_not_b32_e32 v141, v144
	v_not_b32_e32 v144, v145
	v_cmp_gt_i32_e64 s17, 0, v145
	v_cmp_gt_i32_e64 s18, 0, v146
	v_not_b32_e32 v145, v146
	v_not_b32_e32 v146, v148
	v_dual_ashrrev_i32 v141, 31, v141 :: v_dual_bitop2_b32 v62, vcc_lo, v62 bitop3:0x14
	v_dual_ashrrev_i32 v144, 31, v144 :: v_dual_bitop2_b32 v63, s15, v63 bitop3:0x14
	v_cmp_gt_i32_e64 s19, 0, v148
	v_not_b32_e32 v148, v149
	s_delay_alu instid0(VALU_DEP_3)
	v_dual_ashrrev_i32 v145, 31, v145 :: v_dual_bitop2_b32 v144, s17, v144 bitop3:0x14
	v_dual_ashrrev_i32 v146, 31, v146 :: v_dual_bitop2_b32 v141, s16, v141 bitop3:0x14
	v_bitop3_b32 v62, v62, v63, exec_lo bitop3:0x80
	v_not_b32_e32 v63, v150
	v_cmp_gt_i32_e64 s20, 0, v149
	v_dual_ashrrev_i32 v148, 31, v148 :: v_dual_bitop2_b32 v145, s18, v145 bitop3:0x14
	s_delay_alu instid0(VALU_DEP_4) | instskip(SKIP_2) | instid1(VALU_DEP_4)
	v_bitop3_b32 v62, v62, v144, v141 bitop3:0x80
	v_cmp_gt_i32_e32 vcc_lo, 0, v150
	v_dual_ashrrev_i32 v63, 31, v63 :: v_dual_bitop2_b32 v141, s19, v146 bitop3:0x14
	v_xor_b32_e32 v144, s20, v148
	s_delay_alu instid0(VALU_DEP_2) | instskip(NEXT) | instid1(VALU_DEP_3)
	v_xor_b32_e32 v63, vcc_lo, v63
	v_bitop3_b32 v62, v62, v141, v145 bitop3:0x80
	s_delay_alu instid0(VALU_DEP_1) | instskip(SKIP_1) | instid1(VALU_DEP_2)
	v_bitop3_b32 v62, v62, v63, v144 bitop3:0x80
	v_mul_u32_u24_e32 v63, 36, v142
	v_mbcnt_lo_u32_b32 v141, v62, 0
	v_cmp_ne_u32_e64 s15, 0, v62
	s_delay_alu instid0(VALU_DEP_3) | instskip(NEXT) | instid1(VALU_DEP_3)
	v_add_nc_u32_e32 v142, v25, v63
	v_cmp_eq_u32_e32 vcc_lo, 0, v141
	s_and_b32 s16, s15, vcc_lo
	s_delay_alu instid0(SALU_CYCLE_1)
	s_and_saveexec_b32 s15, s16
; %bb.141:                              ;   in Loop: Header=BB626_104 Depth=2
	v_bcnt_u32_b32 v62, v62, 0
	ds_store_b32 v142, v62 offset:1056
; %bb.142:                              ;   in Loop: Header=BB626_104 Depth=2
	s_or_b32 exec_lo, exec_lo, s15
	v_xor_b32_e32 v140, 0x80000000, v140
	; wave barrier
	s_delay_alu instid0(VALU_DEP_1) | instskip(NEXT) | instid1(VALU_DEP_1)
	v_lshrrev_b32_e32 v62, s43, v140
	v_and_b32_e32 v146, s48, v62
	s_delay_alu instid0(VALU_DEP_1) | instskip(SKIP_1) | instid1(VALU_DEP_1)
	v_lshlrev_b32_e32 v144, 30, v146
	v_bitop3_b32 v63, v62, 1, s48 bitop3:0x80
	v_add_co_u32 v62, s15, v63, -1
	s_delay_alu instid0(VALU_DEP_1) | instskip(NEXT) | instid1(VALU_DEP_4)
	v_cndmask_b32_e64 v63, 0, 1, s15
	v_cmp_gt_i32_e64 s15, 0, v144
	s_delay_alu instid0(VALU_DEP_2) | instskip(SKIP_1) | instid1(VALU_DEP_1)
	v_cmp_ne_u32_e32 vcc_lo, 0, v63
	v_not_b32_e32 v63, v144
	v_dual_ashrrev_i32 v63, 31, v63 :: v_dual_lshlrev_b32 v145, 29, v146
	v_dual_lshlrev_b32 v148, 28, v146 :: v_dual_lshlrev_b32 v149, 27, v146
	v_dual_lshlrev_b32 v150, 26, v146 :: v_dual_lshlrev_b32 v152, 25, v146
	v_lshlrev_b32_e32 v153, 24, v146
	s_delay_alu instid0(VALU_DEP_4)
	v_cmp_gt_i32_e64 s16, 0, v145
	v_not_b32_e32 v144, v145
	v_not_b32_e32 v145, v148
	v_cmp_gt_i32_e64 s17, 0, v148
	v_cmp_gt_i32_e64 s18, 0, v149
	v_not_b32_e32 v148, v149
	v_not_b32_e32 v149, v150
	v_dual_ashrrev_i32 v144, 31, v144 :: v_dual_bitop2_b32 v62, vcc_lo, v62 bitop3:0x14
	v_dual_ashrrev_i32 v145, 31, v145 :: v_dual_bitop2_b32 v63, s15, v63 bitop3:0x14
	v_cmp_gt_i32_e64 s19, 0, v150
	s_delay_alu instid0(VALU_DEP_4) | instskip(SKIP_1) | instid1(VALU_DEP_4)
	v_dual_ashrrev_i32 v148, 31, v148 :: v_dual_ashrrev_i32 v149, 31, v149
	v_not_b32_e32 v150, v153
	v_xor_b32_e32 v145, s17, v145
	v_bitop3_b32 v62, v62, v63, exec_lo bitop3:0x80
	v_not_b32_e32 v63, v152
	v_xor_b32_e32 v144, s16, v144
	v_cmp_gt_i32_e64 s20, 0, v152
	v_xor_b32_e32 v148, s18, v148
	s_delay_alu instid0(VALU_DEP_4) | instskip(NEXT) | instid1(VALU_DEP_4)
	v_dual_ashrrev_i32 v63, 31, v63 :: v_dual_bitop2_b32 v149, s19, v149 bitop3:0x14
	v_bitop3_b32 v62, v62, v145, v144 bitop3:0x80
	v_cmp_gt_i32_e32 vcc_lo, 0, v153
	v_ashrrev_i32_e32 v144, 31, v150
	v_mad_u32_u24 v145, v146, 36, v25
	v_xor_b32_e32 v63, s20, v63
	v_bitop3_b32 v62, v62, v149, v148 bitop3:0x80
	s_delay_alu instid0(VALU_DEP_4) | instskip(SKIP_3) | instid1(VALU_DEP_2)
	v_xor_b32_e32 v148, vcc_lo, v144
	ds_load_b32 v144, v145 offset:1056
	; wave barrier
	v_bitop3_b32 v62, v62, v148, v63 bitop3:0x80
	v_mul_u32_u24_e32 v63, 36, v146
	v_mbcnt_lo_u32_b32 v145, v62, 0
	v_cmp_ne_u32_e64 s15, 0, v62
	s_delay_alu instid0(VALU_DEP_3) | instskip(NEXT) | instid1(VALU_DEP_3)
	v_add_nc_u32_e32 v146, v25, v63
	v_cmp_eq_u32_e32 vcc_lo, 0, v145
	s_and_b32 s16, s15, vcc_lo
	s_delay_alu instid0(SALU_CYCLE_1)
	s_and_saveexec_b32 s15, s16
	s_cbranch_execz .LBB626_144
; %bb.143:                              ;   in Loop: Header=BB626_104 Depth=2
	s_wait_dscnt 0x0
	v_bcnt_u32_b32 v62, v62, v144
	ds_store_b32 v146, v62 offset:1056
.LBB626_144:                            ;   in Loop: Header=BB626_104 Depth=2
	s_or_b32 exec_lo, exec_lo, s15
	v_xor_b32_e32 v143, 0x80000000, v143
	; wave barrier
	s_delay_alu instid0(VALU_DEP_1) | instskip(NEXT) | instid1(VALU_DEP_1)
	v_lshrrev_b32_e32 v62, s43, v143
	v_and_b32_e32 v150, s48, v62
	s_delay_alu instid0(VALU_DEP_1) | instskip(SKIP_1) | instid1(VALU_DEP_1)
	v_lshlrev_b32_e32 v148, 30, v150
	v_bitop3_b32 v63, v62, 1, s48 bitop3:0x80
	v_add_co_u32 v62, s15, v63, -1
	s_delay_alu instid0(VALU_DEP_1) | instskip(NEXT) | instid1(VALU_DEP_4)
	v_cndmask_b32_e64 v63, 0, 1, s15
	v_cmp_gt_i32_e64 s15, 0, v148
	s_delay_alu instid0(VALU_DEP_2) | instskip(SKIP_1) | instid1(VALU_DEP_1)
	v_cmp_ne_u32_e32 vcc_lo, 0, v63
	v_not_b32_e32 v63, v148
	v_dual_ashrrev_i32 v63, 31, v63 :: v_dual_lshlrev_b32 v149, 29, v150
	v_dual_lshlrev_b32 v152, 28, v150 :: v_dual_lshlrev_b32 v153, 27, v150
	v_dual_lshlrev_b32 v154, 26, v150 :: v_dual_lshlrev_b32 v156, 25, v150
	v_lshlrev_b32_e32 v157, 24, v150
	s_delay_alu instid0(VALU_DEP_4)
	v_cmp_gt_i32_e64 s16, 0, v149
	v_not_b32_e32 v148, v149
	v_not_b32_e32 v149, v152
	v_cmp_gt_i32_e64 s17, 0, v152
	v_cmp_gt_i32_e64 s18, 0, v153
	v_not_b32_e32 v152, v153
	v_not_b32_e32 v153, v154
	v_dual_ashrrev_i32 v148, 31, v148 :: v_dual_bitop2_b32 v62, vcc_lo, v62 bitop3:0x14
	v_dual_ashrrev_i32 v149, 31, v149 :: v_dual_bitop2_b32 v63, s15, v63 bitop3:0x14
	v_cmp_gt_i32_e64 s19, 0, v154
	s_delay_alu instid0(VALU_DEP_4) | instskip(SKIP_1) | instid1(VALU_DEP_4)
	v_dual_ashrrev_i32 v152, 31, v152 :: v_dual_ashrrev_i32 v153, 31, v153
	v_not_b32_e32 v154, v157
	v_xor_b32_e32 v149, s17, v149
	v_bitop3_b32 v62, v62, v63, exec_lo bitop3:0x80
	v_not_b32_e32 v63, v156
	v_xor_b32_e32 v148, s16, v148
	v_cmp_gt_i32_e64 s20, 0, v156
	v_xor_b32_e32 v152, s18, v152
	s_delay_alu instid0(VALU_DEP_4) | instskip(NEXT) | instid1(VALU_DEP_4)
	v_dual_ashrrev_i32 v63, 31, v63 :: v_dual_bitop2_b32 v153, s19, v153 bitop3:0x14
	v_bitop3_b32 v62, v62, v149, v148 bitop3:0x80
	v_cmp_gt_i32_e32 vcc_lo, 0, v157
	v_ashrrev_i32_e32 v148, 31, v154
	v_mad_u32_u24 v149, v150, 36, v25
	v_xor_b32_e32 v63, s20, v63
	v_bitop3_b32 v62, v62, v153, v152 bitop3:0x80
	s_delay_alu instid0(VALU_DEP_4) | instskip(SKIP_3) | instid1(VALU_DEP_2)
	v_xor_b32_e32 v152, vcc_lo, v148
	ds_load_b32 v148, v149 offset:1056
	; wave barrier
	v_bitop3_b32 v62, v62, v152, v63 bitop3:0x80
	v_mul_u32_u24_e32 v63, 36, v150
	v_mbcnt_lo_u32_b32 v149, v62, 0
	v_cmp_ne_u32_e64 s15, 0, v62
	s_delay_alu instid0(VALU_DEP_3) | instskip(NEXT) | instid1(VALU_DEP_3)
	v_add_nc_u32_e32 v150, v25, v63
	v_cmp_eq_u32_e32 vcc_lo, 0, v149
	s_and_b32 s16, s15, vcc_lo
	s_delay_alu instid0(SALU_CYCLE_1)
	s_and_saveexec_b32 s15, s16
	s_cbranch_execz .LBB626_146
; %bb.145:                              ;   in Loop: Header=BB626_104 Depth=2
	s_wait_dscnt 0x0
	v_bcnt_u32_b32 v62, v62, v148
	ds_store_b32 v150, v62 offset:1056
.LBB626_146:                            ;   in Loop: Header=BB626_104 Depth=2
	s_or_b32 exec_lo, exec_lo, s15
	v_xor_b32_e32 v147, 0x80000000, v147
	; wave barrier
	s_delay_alu instid0(VALU_DEP_1) | instskip(NEXT) | instid1(VALU_DEP_1)
	v_lshrrev_b32_e32 v62, s43, v147
	v_and_b32_e32 v154, s48, v62
	s_delay_alu instid0(VALU_DEP_1) | instskip(SKIP_1) | instid1(VALU_DEP_1)
	v_lshlrev_b32_e32 v152, 30, v154
	v_bitop3_b32 v63, v62, 1, s48 bitop3:0x80
	v_add_co_u32 v62, s15, v63, -1
	s_delay_alu instid0(VALU_DEP_1) | instskip(NEXT) | instid1(VALU_DEP_4)
	v_cndmask_b32_e64 v63, 0, 1, s15
	v_cmp_gt_i32_e64 s15, 0, v152
	s_delay_alu instid0(VALU_DEP_2) | instskip(SKIP_1) | instid1(VALU_DEP_1)
	v_cmp_ne_u32_e32 vcc_lo, 0, v63
	v_not_b32_e32 v63, v152
	v_dual_ashrrev_i32 v63, 31, v63 :: v_dual_lshlrev_b32 v153, 29, v154
	v_dual_lshlrev_b32 v156, 28, v154 :: v_dual_lshlrev_b32 v157, 27, v154
	v_dual_lshlrev_b32 v158, 26, v154 :: v_dual_lshlrev_b32 v160, 25, v154
	v_lshlrev_b32_e32 v161, 24, v154
	s_delay_alu instid0(VALU_DEP_4)
	v_cmp_gt_i32_e64 s16, 0, v153
	v_not_b32_e32 v152, v153
	v_not_b32_e32 v153, v156
	v_cmp_gt_i32_e64 s17, 0, v156
	v_cmp_gt_i32_e64 s18, 0, v157
	v_not_b32_e32 v156, v157
	v_not_b32_e32 v157, v158
	v_dual_ashrrev_i32 v152, 31, v152 :: v_dual_bitop2_b32 v62, vcc_lo, v62 bitop3:0x14
	v_dual_ashrrev_i32 v153, 31, v153 :: v_dual_bitop2_b32 v63, s15, v63 bitop3:0x14
	v_cmp_gt_i32_e64 s19, 0, v158
	s_delay_alu instid0(VALU_DEP_4) | instskip(SKIP_1) | instid1(VALU_DEP_4)
	v_dual_ashrrev_i32 v156, 31, v156 :: v_dual_ashrrev_i32 v157, 31, v157
	v_not_b32_e32 v158, v161
	v_xor_b32_e32 v153, s17, v153
	v_bitop3_b32 v62, v62, v63, exec_lo bitop3:0x80
	v_not_b32_e32 v63, v160
	v_xor_b32_e32 v152, s16, v152
	v_cmp_gt_i32_e64 s20, 0, v160
	v_xor_b32_e32 v156, s18, v156
	s_delay_alu instid0(VALU_DEP_4) | instskip(NEXT) | instid1(VALU_DEP_4)
	v_dual_ashrrev_i32 v63, 31, v63 :: v_dual_bitop2_b32 v157, s19, v157 bitop3:0x14
	v_bitop3_b32 v62, v62, v153, v152 bitop3:0x80
	v_cmp_gt_i32_e32 vcc_lo, 0, v161
	v_ashrrev_i32_e32 v152, 31, v158
	v_mad_u32_u24 v153, v154, 36, v25
	v_xor_b32_e32 v63, s20, v63
	v_bitop3_b32 v62, v62, v157, v156 bitop3:0x80
	s_delay_alu instid0(VALU_DEP_4) | instskip(SKIP_3) | instid1(VALU_DEP_2)
	v_xor_b32_e32 v156, vcc_lo, v152
	ds_load_b32 v152, v153 offset:1056
	; wave barrier
	v_bitop3_b32 v62, v62, v156, v63 bitop3:0x80
	v_mul_u32_u24_e32 v63, 36, v154
	v_mbcnt_lo_u32_b32 v153, v62, 0
	v_cmp_ne_u32_e64 s15, 0, v62
	s_delay_alu instid0(VALU_DEP_3) | instskip(NEXT) | instid1(VALU_DEP_3)
	v_add_nc_u32_e32 v154, v25, v63
	v_cmp_eq_u32_e32 vcc_lo, 0, v153
	s_and_b32 s16, s15, vcc_lo
	s_delay_alu instid0(SALU_CYCLE_1)
	s_and_saveexec_b32 s15, s16
	s_cbranch_execz .LBB626_148
; %bb.147:                              ;   in Loop: Header=BB626_104 Depth=2
	s_wait_dscnt 0x0
	v_bcnt_u32_b32 v62, v62, v152
	ds_store_b32 v154, v62 offset:1056
.LBB626_148:                            ;   in Loop: Header=BB626_104 Depth=2
	s_or_b32 exec_lo, exec_lo, s15
	v_xor_b32_e32 v151, 0x80000000, v151
	; wave barrier
	s_delay_alu instid0(VALU_DEP_1) | instskip(NEXT) | instid1(VALU_DEP_1)
	v_lshrrev_b32_e32 v62, s43, v151
	v_and_b32_e32 v158, s48, v62
	s_delay_alu instid0(VALU_DEP_1) | instskip(SKIP_1) | instid1(VALU_DEP_1)
	v_lshlrev_b32_e32 v156, 30, v158
	v_bitop3_b32 v63, v62, 1, s48 bitop3:0x80
	v_add_co_u32 v62, s15, v63, -1
	s_delay_alu instid0(VALU_DEP_1) | instskip(NEXT) | instid1(VALU_DEP_4)
	v_cndmask_b32_e64 v63, 0, 1, s15
	v_cmp_gt_i32_e64 s15, 0, v156
	s_delay_alu instid0(VALU_DEP_2) | instskip(SKIP_1) | instid1(VALU_DEP_1)
	v_cmp_ne_u32_e32 vcc_lo, 0, v63
	v_not_b32_e32 v63, v156
	v_dual_ashrrev_i32 v63, 31, v63 :: v_dual_lshlrev_b32 v157, 29, v158
	v_dual_lshlrev_b32 v160, 28, v158 :: v_dual_lshlrev_b32 v161, 27, v158
	v_dual_lshlrev_b32 v162, 26, v158 :: v_dual_lshlrev_b32 v164, 25, v158
	v_lshlrev_b32_e32 v165, 24, v158
	s_delay_alu instid0(VALU_DEP_4)
	v_cmp_gt_i32_e64 s16, 0, v157
	v_not_b32_e32 v156, v157
	v_not_b32_e32 v157, v160
	v_cmp_gt_i32_e64 s17, 0, v160
	v_cmp_gt_i32_e64 s18, 0, v161
	v_not_b32_e32 v160, v161
	v_not_b32_e32 v161, v162
	v_dual_ashrrev_i32 v156, 31, v156 :: v_dual_bitop2_b32 v62, vcc_lo, v62 bitop3:0x14
	v_dual_ashrrev_i32 v157, 31, v157 :: v_dual_bitop2_b32 v63, s15, v63 bitop3:0x14
	v_cmp_gt_i32_e64 s19, 0, v162
	s_delay_alu instid0(VALU_DEP_4) | instskip(SKIP_1) | instid1(VALU_DEP_4)
	v_dual_ashrrev_i32 v160, 31, v160 :: v_dual_ashrrev_i32 v161, 31, v161
	v_not_b32_e32 v162, v165
	v_xor_b32_e32 v157, s17, v157
	v_bitop3_b32 v62, v62, v63, exec_lo bitop3:0x80
	v_not_b32_e32 v63, v164
	v_xor_b32_e32 v156, s16, v156
	v_cmp_gt_i32_e64 s20, 0, v164
	v_xor_b32_e32 v160, s18, v160
	s_delay_alu instid0(VALU_DEP_4) | instskip(NEXT) | instid1(VALU_DEP_4)
	v_dual_ashrrev_i32 v63, 31, v63 :: v_dual_bitop2_b32 v161, s19, v161 bitop3:0x14
	v_bitop3_b32 v62, v62, v157, v156 bitop3:0x80
	v_cmp_gt_i32_e32 vcc_lo, 0, v165
	v_ashrrev_i32_e32 v156, 31, v162
	v_mad_u32_u24 v157, v158, 36, v25
	v_xor_b32_e32 v63, s20, v63
	v_bitop3_b32 v62, v62, v161, v160 bitop3:0x80
	s_delay_alu instid0(VALU_DEP_4) | instskip(SKIP_3) | instid1(VALU_DEP_2)
	v_xor_b32_e32 v160, vcc_lo, v156
	ds_load_b32 v156, v157 offset:1056
	; wave barrier
	v_bitop3_b32 v62, v62, v160, v63 bitop3:0x80
	v_mul_u32_u24_e32 v63, 36, v158
	v_mbcnt_lo_u32_b32 v157, v62, 0
	v_cmp_ne_u32_e64 s15, 0, v62
	s_delay_alu instid0(VALU_DEP_3) | instskip(NEXT) | instid1(VALU_DEP_3)
	v_add_nc_u32_e32 v158, v25, v63
	v_cmp_eq_u32_e32 vcc_lo, 0, v157
	s_and_b32 s16, s15, vcc_lo
	s_delay_alu instid0(SALU_CYCLE_1)
	s_and_saveexec_b32 s15, s16
	s_cbranch_execz .LBB626_150
; %bb.149:                              ;   in Loop: Header=BB626_104 Depth=2
	s_wait_dscnt 0x0
	v_bcnt_u32_b32 v62, v62, v156
	ds_store_b32 v158, v62 offset:1056
.LBB626_150:                            ;   in Loop: Header=BB626_104 Depth=2
	s_or_b32 exec_lo, exec_lo, s15
	v_xor_b32_e32 v155, 0x80000000, v155
	; wave barrier
	s_delay_alu instid0(VALU_DEP_1) | instskip(NEXT) | instid1(VALU_DEP_1)
	v_lshrrev_b32_e32 v62, s43, v155
	v_and_b32_e32 v162, s48, v62
	s_delay_alu instid0(VALU_DEP_1) | instskip(SKIP_1) | instid1(VALU_DEP_1)
	v_lshlrev_b32_e32 v160, 30, v162
	v_bitop3_b32 v63, v62, 1, s48 bitop3:0x80
	v_add_co_u32 v62, s15, v63, -1
	s_delay_alu instid0(VALU_DEP_1) | instskip(NEXT) | instid1(VALU_DEP_4)
	v_cndmask_b32_e64 v63, 0, 1, s15
	v_cmp_gt_i32_e64 s15, 0, v160
	s_delay_alu instid0(VALU_DEP_2) | instskip(SKIP_1) | instid1(VALU_DEP_1)
	v_cmp_ne_u32_e32 vcc_lo, 0, v63
	v_not_b32_e32 v63, v160
	v_dual_ashrrev_i32 v63, 31, v63 :: v_dual_lshlrev_b32 v161, 29, v162
	v_dual_lshlrev_b32 v164, 28, v162 :: v_dual_lshlrev_b32 v165, 27, v162
	v_dual_lshlrev_b32 v167, 26, v162 :: v_dual_lshlrev_b32 v168, 25, v162
	v_lshlrev_b32_e32 v169, 24, v162
	s_delay_alu instid0(VALU_DEP_4)
	v_cmp_gt_i32_e64 s16, 0, v161
	v_not_b32_e32 v160, v161
	v_not_b32_e32 v161, v164
	v_cmp_gt_i32_e64 s17, 0, v164
	v_cmp_gt_i32_e64 s18, 0, v165
	v_not_b32_e32 v164, v165
	v_not_b32_e32 v165, v167
	v_dual_ashrrev_i32 v160, 31, v160 :: v_dual_bitop2_b32 v62, vcc_lo, v62 bitop3:0x14
	v_dual_ashrrev_i32 v161, 31, v161 :: v_dual_bitop2_b32 v63, s15, v63 bitop3:0x14
	v_cmp_gt_i32_e64 s19, 0, v167
	s_delay_alu instid0(VALU_DEP_4) | instskip(SKIP_1) | instid1(VALU_DEP_4)
	v_dual_ashrrev_i32 v164, 31, v164 :: v_dual_ashrrev_i32 v165, 31, v165
	v_not_b32_e32 v167, v169
	v_xor_b32_e32 v161, s17, v161
	v_bitop3_b32 v62, v62, v63, exec_lo bitop3:0x80
	v_not_b32_e32 v63, v168
	v_xor_b32_e32 v160, s16, v160
	v_cmp_gt_i32_e64 s20, 0, v168
	v_xor_b32_e32 v164, s18, v164
	s_delay_alu instid0(VALU_DEP_4) | instskip(NEXT) | instid1(VALU_DEP_4)
	v_dual_ashrrev_i32 v63, 31, v63 :: v_dual_bitop2_b32 v165, s19, v165 bitop3:0x14
	v_bitop3_b32 v62, v62, v161, v160 bitop3:0x80
	v_cmp_gt_i32_e32 vcc_lo, 0, v169
	v_ashrrev_i32_e32 v160, 31, v167
	v_mad_u32_u24 v161, v162, 36, v25
	v_xor_b32_e32 v63, s20, v63
	v_bitop3_b32 v62, v62, v165, v164 bitop3:0x80
	s_delay_alu instid0(VALU_DEP_4) | instskip(SKIP_3) | instid1(VALU_DEP_2)
	v_xor_b32_e32 v164, vcc_lo, v160
	ds_load_b32 v160, v161 offset:1056
	; wave barrier
	v_bitop3_b32 v62, v62, v164, v63 bitop3:0x80
	v_mul_u32_u24_e32 v63, 36, v162
	v_mbcnt_lo_u32_b32 v161, v62, 0
	v_cmp_ne_u32_e64 s15, 0, v62
	s_delay_alu instid0(VALU_DEP_3) | instskip(NEXT) | instid1(VALU_DEP_3)
	v_add_nc_u32_e32 v162, v25, v63
	v_cmp_eq_u32_e32 vcc_lo, 0, v161
	s_and_b32 s16, s15, vcc_lo
	s_delay_alu instid0(SALU_CYCLE_1)
	s_and_saveexec_b32 s15, s16
	s_cbranch_execz .LBB626_152
; %bb.151:                              ;   in Loop: Header=BB626_104 Depth=2
	s_wait_dscnt 0x0
	v_bcnt_u32_b32 v62, v62, v160
	ds_store_b32 v162, v62 offset:1056
.LBB626_152:                            ;   in Loop: Header=BB626_104 Depth=2
	s_or_b32 exec_lo, exec_lo, s15
	v_xor_b32_e32 v159, 0x80000000, v159
	; wave barrier
	s_delay_alu instid0(VALU_DEP_1) | instskip(NEXT) | instid1(VALU_DEP_1)
	v_lshrrev_b32_e32 v62, s43, v159
	v_bitop3_b32 v63, v62, 1, s48 bitop3:0x80
	v_and_b32_e32 v167, s48, v62
	s_delay_alu instid0(VALU_DEP_2) | instskip(NEXT) | instid1(VALU_DEP_1)
	v_add_co_u32 v62, s15, v63, -1
	v_cndmask_b32_e64 v63, 0, 1, s15
	s_delay_alu instid0(VALU_DEP_3) | instskip(NEXT) | instid1(VALU_DEP_2)
	v_lshlrev_b32_e32 v164, 30, v167
	v_cmp_ne_u32_e32 vcc_lo, 0, v63
	s_delay_alu instid0(VALU_DEP_2) | instskip(NEXT) | instid1(VALU_DEP_1)
	v_not_b32_e32 v63, v164
	v_dual_ashrrev_i32 v63, 31, v63 :: v_dual_bitop2_b32 v62, vcc_lo, v62 bitop3:0x14
	v_dual_lshlrev_b32 v165, 29, v167 :: v_dual_lshlrev_b32 v168, 28, v167
	v_dual_lshlrev_b32 v169, 27, v167 :: v_dual_lshlrev_b32 v170, 26, v167
	v_lshlrev_b32_e32 v171, 25, v167
	v_cmp_gt_i32_e64 s15, 0, v164
	s_delay_alu instid0(VALU_DEP_4)
	v_cmp_gt_i32_e64 s16, 0, v165
	v_not_b32_e32 v164, v165
	v_not_b32_e32 v165, v168
	v_lshlrev_b32_e32 v172, 24, v167
	v_cmp_gt_i32_e64 s17, 0, v168
	v_cmp_gt_i32_e64 s18, 0, v169
	v_not_b32_e32 v168, v169
	v_not_b32_e32 v169, v170
	v_dual_ashrrev_i32 v164, 31, v164 :: v_dual_ashrrev_i32 v165, 31, v165
	v_xor_b32_e32 v63, s15, v63
	v_cmp_gt_i32_e64 s19, 0, v170
	s_delay_alu instid0(VALU_DEP_4)
	v_dual_ashrrev_i32 v168, 31, v168 :: v_dual_ashrrev_i32 v169, 31, v169
	v_not_b32_e32 v170, v172
	v_xor_b32_e32 v165, s17, v165
	v_bitop3_b32 v62, v62, v63, exec_lo bitop3:0x80
	v_not_b32_e32 v63, v171
	v_xor_b32_e32 v164, s16, v164
	v_cmp_gt_i32_e64 s20, 0, v171
	v_xor_b32_e32 v168, s18, v168
	s_delay_alu instid0(VALU_DEP_4) | instskip(NEXT) | instid1(VALU_DEP_4)
	v_dual_ashrrev_i32 v63, 31, v63 :: v_dual_bitop2_b32 v169, s19, v169 bitop3:0x14
	v_bitop3_b32 v62, v62, v165, v164 bitop3:0x80
	v_cmp_gt_i32_e32 vcc_lo, 0, v172
	v_ashrrev_i32_e32 v164, 31, v170
	v_mad_u32_u24 v165, v167, 36, v25
	v_xor_b32_e32 v63, s20, v63
	v_bitop3_b32 v62, v62, v169, v168 bitop3:0x80
	s_delay_alu instid0(VALU_DEP_4) | instskip(SKIP_3) | instid1(VALU_DEP_2)
	v_xor_b32_e32 v168, vcc_lo, v164
	ds_load_b32 v164, v165 offset:1056
	; wave barrier
	v_bitop3_b32 v62, v62, v168, v63 bitop3:0x80
	v_mul_u32_u24_e32 v63, 36, v167
	v_mbcnt_lo_u32_b32 v165, v62, 0
	v_cmp_ne_u32_e64 s15, 0, v62
	s_delay_alu instid0(VALU_DEP_3) | instskip(NEXT) | instid1(VALU_DEP_3)
	v_add_nc_u32_e32 v167, v25, v63
	v_cmp_eq_u32_e32 vcc_lo, 0, v165
	s_and_b32 s16, s15, vcc_lo
	s_delay_alu instid0(SALU_CYCLE_1)
	s_and_saveexec_b32 s15, s16
	s_cbranch_execz .LBB626_154
; %bb.153:                              ;   in Loop: Header=BB626_104 Depth=2
	s_wait_dscnt 0x0
	v_bcnt_u32_b32 v62, v62, v164
	ds_store_b32 v167, v62 offset:1056
.LBB626_154:                            ;   in Loop: Header=BB626_104 Depth=2
	s_or_b32 exec_lo, exec_lo, s15
	v_xor_b32_e32 v163, 0x80000000, v163
	; wave barrier
	s_delay_alu instid0(VALU_DEP_1) | instskip(NEXT) | instid1(VALU_DEP_1)
	v_lshrrev_b32_e32 v62, s43, v163
	v_and_b32_e32 v170, s48, v62
	s_delay_alu instid0(VALU_DEP_1) | instskip(SKIP_1) | instid1(VALU_DEP_1)
	v_lshlrev_b32_e32 v168, 30, v170
	v_bitop3_b32 v63, v62, 1, s48 bitop3:0x80
	v_add_co_u32 v62, s15, v63, -1
	s_delay_alu instid0(VALU_DEP_1) | instskip(NEXT) | instid1(VALU_DEP_4)
	v_cndmask_b32_e64 v63, 0, 1, s15
	v_cmp_gt_i32_e64 s15, 0, v168
	s_delay_alu instid0(VALU_DEP_2) | instskip(SKIP_1) | instid1(VALU_DEP_1)
	v_cmp_ne_u32_e32 vcc_lo, 0, v63
	v_not_b32_e32 v63, v168
	v_dual_ashrrev_i32 v63, 31, v63 :: v_dual_lshlrev_b32 v169, 29, v170
	v_dual_lshlrev_b32 v171, 28, v170 :: v_dual_lshlrev_b32 v172, 27, v170
	v_dual_lshlrev_b32 v173, 26, v170 :: v_dual_lshlrev_b32 v174, 25, v170
	v_lshlrev_b32_e32 v175, 24, v170
	s_delay_alu instid0(VALU_DEP_4)
	v_cmp_gt_i32_e64 s16, 0, v169
	v_not_b32_e32 v168, v169
	v_not_b32_e32 v169, v171
	v_cmp_gt_i32_e64 s17, 0, v171
	v_cmp_gt_i32_e64 s18, 0, v172
	v_not_b32_e32 v171, v172
	v_not_b32_e32 v172, v173
	v_dual_ashrrev_i32 v168, 31, v168 :: v_dual_bitop2_b32 v62, vcc_lo, v62 bitop3:0x14
	v_dual_ashrrev_i32 v169, 31, v169 :: v_dual_bitop2_b32 v63, s15, v63 bitop3:0x14
	v_cmp_gt_i32_e64 s19, 0, v173
	s_delay_alu instid0(VALU_DEP_4) | instskip(NEXT) | instid1(VALU_DEP_3)
	v_dual_ashrrev_i32 v171, 31, v171 :: v_dual_ashrrev_i32 v172, 31, v172
	v_xor_b32_e32 v169, s17, v169
	s_delay_alu instid0(VALU_DEP_4)
	v_bitop3_b32 v62, v62, v63, exec_lo bitop3:0x80
	v_not_b32_e32 v63, v174
	v_xor_b32_e32 v168, s16, v168
	v_not_b32_e32 v173, v175
	v_cmp_gt_i32_e64 s20, 0, v174
	v_xor_b32_e32 v171, s18, v171
	v_dual_ashrrev_i32 v63, 31, v63 :: v_dual_bitop2_b32 v172, s19, v172 bitop3:0x14
	v_bitop3_b32 v62, v62, v169, v168 bitop3:0x80
	v_cmp_gt_i32_e32 vcc_lo, 0, v175
	v_ashrrev_i32_e32 v168, 31, v173
	v_mad_u32_u24 v169, v170, 36, v25
	v_xor_b32_e32 v63, s20, v63
	v_bitop3_b32 v62, v62, v172, v171 bitop3:0x80
	s_delay_alu instid0(VALU_DEP_4) | instskip(SKIP_3) | instid1(VALU_DEP_2)
	v_xor_b32_e32 v171, vcc_lo, v168
	ds_load_b32 v168, v169 offset:1056
	; wave barrier
	v_bitop3_b32 v62, v62, v171, v63 bitop3:0x80
	v_mul_u32_u24_e32 v63, 36, v170
	v_mbcnt_lo_u32_b32 v169, v62, 0
	v_cmp_ne_u32_e64 s15, 0, v62
	s_delay_alu instid0(VALU_DEP_3) | instskip(NEXT) | instid1(VALU_DEP_3)
	v_add_nc_u32_e32 v170, v25, v63
	v_cmp_eq_u32_e32 vcc_lo, 0, v169
	s_and_b32 s16, s15, vcc_lo
	s_delay_alu instid0(SALU_CYCLE_1)
	s_and_saveexec_b32 s15, s16
	s_cbranch_execz .LBB626_156
; %bb.155:                              ;   in Loop: Header=BB626_104 Depth=2
	s_wait_dscnt 0x0
	v_bcnt_u32_b32 v62, v62, v168
	ds_store_b32 v170, v62 offset:1056
.LBB626_156:                            ;   in Loop: Header=BB626_104 Depth=2
	s_or_b32 exec_lo, exec_lo, s15
	v_xor_b32_e32 v166, 0x80000000, v166
	; wave barrier
	s_delay_alu instid0(VALU_DEP_1) | instskip(NEXT) | instid1(VALU_DEP_1)
	v_lshrrev_b32_e32 v62, s43, v166
	v_and_b32_e32 v171, s48, v62
	s_delay_alu instid0(VALU_DEP_1) | instskip(SKIP_1) | instid1(VALU_DEP_1)
	v_lshlrev_b32_e32 v172, 30, v171
	v_bitop3_b32 v63, v62, 1, s48 bitop3:0x80
	v_add_co_u32 v62, s15, v63, -1
	s_delay_alu instid0(VALU_DEP_1) | instskip(NEXT) | instid1(VALU_DEP_4)
	v_cndmask_b32_e64 v63, 0, 1, s15
	v_cmp_gt_i32_e64 s15, 0, v172
	s_delay_alu instid0(VALU_DEP_2) | instskip(SKIP_1) | instid1(VALU_DEP_1)
	v_cmp_ne_u32_e32 vcc_lo, 0, v63
	v_not_b32_e32 v63, v172
	v_ashrrev_i32_e32 v63, 31, v63
	v_dual_lshlrev_b32 v173, 29, v171 :: v_dual_lshlrev_b32 v174, 28, v171
	v_dual_lshlrev_b32 v175, 27, v171 :: v_dual_lshlrev_b32 v176, 26, v171
	;; [unrolled: 1-line block ×3, first 2 shown]
	s_delay_alu instid0(VALU_DEP_3)
	v_cmp_gt_i32_e64 s16, 0, v173
	v_not_b32_e32 v172, v173
	v_not_b32_e32 v173, v174
	v_cmp_gt_i32_e64 s17, 0, v174
	v_cmp_gt_i32_e64 s18, 0, v175
	v_not_b32_e32 v174, v175
	v_not_b32_e32 v175, v176
	v_dual_ashrrev_i32 v172, 31, v172 :: v_dual_bitop2_b32 v62, vcc_lo, v62 bitop3:0x14
	v_dual_ashrrev_i32 v173, 31, v173 :: v_dual_bitop2_b32 v63, s15, v63 bitop3:0x14
	v_cmp_gt_i32_e64 s19, 0, v176
	s_delay_alu instid0(VALU_DEP_4) | instskip(SKIP_1) | instid1(VALU_DEP_4)
	v_dual_ashrrev_i32 v174, 31, v174 :: v_dual_ashrrev_i32 v175, 31, v175
	v_not_b32_e32 v176, v178
	v_xor_b32_e32 v173, s17, v173
	v_bitop3_b32 v62, v62, v63, exec_lo bitop3:0x80
	v_not_b32_e32 v63, v177
	v_xor_b32_e32 v172, s16, v172
	v_cmp_gt_i32_e64 s20, 0, v177
	v_xor_b32_e32 v174, s18, v174
	v_xor_b32_e32 v175, s19, v175
	v_ashrrev_i32_e32 v63, 31, v63
	v_bitop3_b32 v62, v62, v173, v172 bitop3:0x80
	v_cmp_gt_i32_e32 vcc_lo, 0, v178
	v_ashrrev_i32_e32 v172, 31, v176
	v_mad_u32_u24 v173, v171, 36, v25
	v_xor_b32_e32 v63, s20, v63
	v_bitop3_b32 v62, v62, v175, v174 bitop3:0x80
	s_delay_alu instid0(VALU_DEP_4) | instskip(SKIP_3) | instid1(VALU_DEP_2)
	v_xor_b32_e32 v174, vcc_lo, v172
	ds_load_b32 v172, v173 offset:1056
	; wave barrier
	v_bitop3_b32 v62, v62, v174, v63 bitop3:0x80
	v_mul_u32_u24_e32 v63, 36, v171
	v_mbcnt_lo_u32_b32 v173, v62, 0
	v_cmp_ne_u32_e64 s15, 0, v62
	s_delay_alu instid0(VALU_DEP_3) | instskip(NEXT) | instid1(VALU_DEP_3)
	v_add_nc_u32_e32 v174, v25, v63
	v_cmp_eq_u32_e32 vcc_lo, 0, v173
	s_and_b32 s16, s15, vcc_lo
	s_delay_alu instid0(SALU_CYCLE_1)
	s_and_saveexec_b32 s15, s16
	s_cbranch_execz .LBB626_158
; %bb.157:                              ;   in Loop: Header=BB626_104 Depth=2
	s_wait_dscnt 0x0
	v_bcnt_u32_b32 v62, v62, v172
	ds_store_b32 v174, v62 offset:1056
.LBB626_158:                            ;   in Loop: Header=BB626_104 Depth=2
	s_or_b32 exec_lo, exec_lo, s15
	v_xor_b32_e32 v171, 0x80000000, v69
	; wave barrier
	s_delay_alu instid0(VALU_DEP_1) | instskip(NEXT) | instid1(VALU_DEP_1)
	v_lshrrev_b32_e32 v62, s43, v171
	v_and_b32_e32 v69, s48, v62
	s_delay_alu instid0(VALU_DEP_1) | instskip(SKIP_1) | instid1(VALU_DEP_1)
	v_lshlrev_b32_e32 v175, 30, v69
	v_bitop3_b32 v63, v62, 1, s48 bitop3:0x80
	v_add_co_u32 v62, s15, v63, -1
	s_delay_alu instid0(VALU_DEP_1) | instskip(NEXT) | instid1(VALU_DEP_4)
	v_cndmask_b32_e64 v63, 0, 1, s15
	v_cmp_gt_i32_e64 s15, 0, v175
	s_delay_alu instid0(VALU_DEP_2) | instskip(SKIP_1) | instid1(VALU_DEP_1)
	v_cmp_ne_u32_e32 vcc_lo, 0, v63
	v_not_b32_e32 v63, v175
	v_dual_ashrrev_i32 v63, 31, v63 :: v_dual_lshlrev_b32 v176, 29, v69
	v_dual_lshlrev_b32 v177, 28, v69 :: v_dual_lshlrev_b32 v178, 27, v69
	v_dual_lshlrev_b32 v179, 26, v69 :: v_dual_lshlrev_b32 v180, 25, v69
	v_lshlrev_b32_e32 v181, 24, v69
	s_delay_alu instid0(VALU_DEP_4)
	v_cmp_gt_i32_e64 s16, 0, v176
	v_not_b32_e32 v175, v176
	v_not_b32_e32 v176, v177
	v_cmp_gt_i32_e64 s17, 0, v177
	v_cmp_gt_i32_e64 s18, 0, v178
	v_not_b32_e32 v177, v178
	v_not_b32_e32 v178, v179
	v_dual_ashrrev_i32 v175, 31, v175 :: v_dual_bitop2_b32 v62, vcc_lo, v62 bitop3:0x14
	v_dual_ashrrev_i32 v176, 31, v176 :: v_dual_bitop2_b32 v63, s15, v63 bitop3:0x14
	v_cmp_gt_i32_e64 s19, 0, v179
	s_delay_alu instid0(VALU_DEP_4) | instskip(NEXT) | instid1(VALU_DEP_4)
	v_dual_ashrrev_i32 v177, 31, v177 :: v_dual_ashrrev_i32 v178, 31, v178
	v_xor_b32_e32 v175, s16, v175
	s_delay_alu instid0(VALU_DEP_4)
	v_bitop3_b32 v62, v62, v63, exec_lo bitop3:0x80
	v_not_b32_e32 v63, v180
	v_xor_b32_e32 v176, s17, v176
	v_not_b32_e32 v179, v181
	v_cmp_gt_i32_e64 s20, 0, v180
	v_xor_b32_e32 v177, s18, v177
	v_dual_ashrrev_i32 v63, 31, v63 :: v_dual_bitop2_b32 v178, s19, v178 bitop3:0x14
	v_bitop3_b32 v62, v62, v176, v175 bitop3:0x80
	v_cmp_gt_i32_e32 vcc_lo, 0, v181
	v_ashrrev_i32_e32 v175, 31, v179
	v_mad_u32_u24 v176, v69, 36, v25
	v_xor_b32_e32 v63, s20, v63
	v_bitop3_b32 v62, v62, v178, v177 bitop3:0x80
	s_delay_alu instid0(VALU_DEP_4) | instskip(SKIP_3) | instid1(VALU_DEP_2)
	v_xor_b32_e32 v175, vcc_lo, v175
	ds_load_b32 v176, v176 offset:1056
	; wave barrier
	v_bitop3_b32 v62, v62, v175, v63 bitop3:0x80
	v_mul_u32_u24_e32 v63, 36, v69
	v_mbcnt_lo_u32_b32 v177, v62, 0
	v_cmp_ne_u32_e64 s15, 0, v62
	s_delay_alu instid0(VALU_DEP_3) | instskip(NEXT) | instid1(VALU_DEP_3)
	v_add_nc_u32_e32 v178, v25, v63
	v_cmp_eq_u32_e32 vcc_lo, 0, v177
	s_and_b32 s16, s15, vcc_lo
	s_delay_alu instid0(SALU_CYCLE_1)
	s_and_saveexec_b32 s15, s16
	s_cbranch_execz .LBB626_160
; %bb.159:                              ;   in Loop: Header=BB626_104 Depth=2
	s_wait_dscnt 0x0
	v_bcnt_u32_b32 v62, v62, v176
	ds_store_b32 v178, v62 offset:1056
.LBB626_160:                            ;   in Loop: Header=BB626_104 Depth=2
	s_or_b32 exec_lo, exec_lo, s15
	v_xor_b32_e32 v175, 0x80000000, v68
	; wave barrier
	s_delay_alu instid0(VALU_DEP_1) | instskip(NEXT) | instid1(VALU_DEP_1)
	v_lshrrev_b32_e32 v62, s43, v175
	v_and_b32_e32 v68, s48, v62
	s_delay_alu instid0(VALU_DEP_1) | instskip(SKIP_1) | instid1(VALU_DEP_1)
	v_lshlrev_b32_e32 v69, 30, v68
	v_bitop3_b32 v63, v62, 1, s48 bitop3:0x80
	v_add_co_u32 v62, s15, v63, -1
	s_delay_alu instid0(VALU_DEP_1) | instskip(NEXT) | instid1(VALU_DEP_4)
	v_cndmask_b32_e64 v63, 0, 1, s15
	v_cmp_gt_i32_e64 s15, 0, v69
	s_delay_alu instid0(VALU_DEP_2) | instskip(SKIP_1) | instid1(VALU_DEP_1)
	v_cmp_ne_u32_e32 vcc_lo, 0, v63
	v_not_b32_e32 v63, v69
	v_dual_ashrrev_i32 v63, 31, v63 :: v_dual_lshlrev_b32 v179, 29, v68
	v_dual_lshlrev_b32 v180, 28, v68 :: v_dual_lshlrev_b32 v181, 27, v68
	v_dual_lshlrev_b32 v182, 26, v68 :: v_dual_lshlrev_b32 v183, 25, v68
	v_lshlrev_b32_e32 v184, 24, v68
	s_delay_alu instid0(VALU_DEP_4)
	v_cmp_gt_i32_e64 s16, 0, v179
	v_not_b32_e32 v69, v179
	v_not_b32_e32 v179, v180
	v_cmp_gt_i32_e64 s17, 0, v180
	v_cmp_gt_i32_e64 s18, 0, v181
	v_not_b32_e32 v180, v181
	v_not_b32_e32 v181, v182
	v_dual_ashrrev_i32 v69, 31, v69 :: v_dual_bitop2_b32 v62, vcc_lo, v62 bitop3:0x14
	s_delay_alu instid0(VALU_DEP_3) | instskip(NEXT) | instid1(VALU_DEP_3)
	v_dual_ashrrev_i32 v179, 31, v179 :: v_dual_ashrrev_i32 v180, 31, v180
	v_dual_ashrrev_i32 v181, 31, v181 :: v_dual_bitop2_b32 v63, s15, v63 bitop3:0x14
	v_cmp_gt_i32_e64 s19, 0, v182
	v_not_b32_e32 v182, v184
	s_delay_alu instid0(VALU_DEP_4) | instskip(NEXT) | instid1(VALU_DEP_4)
	v_xor_b32_e32 v179, s17, v179
	v_bitop3_b32 v62, v62, v63, exec_lo bitop3:0x80
	v_not_b32_e32 v63, v183
	v_xor_b32_e32 v69, s16, v69
	v_cmp_gt_i32_e64 s20, 0, v183
	v_xor_b32_e32 v180, s18, v180
	s_delay_alu instid0(VALU_DEP_4) | instskip(NEXT) | instid1(VALU_DEP_4)
	v_dual_ashrrev_i32 v63, 31, v63 :: v_dual_bitop2_b32 v181, s19, v181 bitop3:0x14
	v_bitop3_b32 v62, v62, v179, v69 bitop3:0x80
	v_cmp_gt_i32_e32 vcc_lo, 0, v184
	v_ashrrev_i32_e32 v69, 31, v182
	v_mad_u32_u24 v179, v68, 36, v25
	v_xor_b32_e32 v63, s20, v63
	v_bitop3_b32 v62, v62, v181, v180 bitop3:0x80
	s_delay_alu instid0(VALU_DEP_4) | instskip(SKIP_3) | instid1(VALU_DEP_2)
	v_xor_b32_e32 v69, vcc_lo, v69
	ds_load_b32 v180, v179 offset:1056
	; wave barrier
	v_bitop3_b32 v62, v62, v69, v63 bitop3:0x80
	v_mul_u32_u24_e32 v63, 36, v68
	v_mbcnt_lo_u32_b32 v181, v62, 0
	v_cmp_ne_u32_e64 s15, 0, v62
	s_delay_alu instid0(VALU_DEP_3) | instskip(NEXT) | instid1(VALU_DEP_3)
	v_add_nc_u32_e32 v182, v25, v63
	v_cmp_eq_u32_e32 vcc_lo, 0, v181
	s_and_b32 s16, s15, vcc_lo
	s_delay_alu instid0(SALU_CYCLE_1)
	s_and_saveexec_b32 s15, s16
	s_cbranch_execz .LBB626_162
; %bb.161:                              ;   in Loop: Header=BB626_104 Depth=2
	s_wait_dscnt 0x0
	v_bcnt_u32_b32 v62, v62, v180
	ds_store_b32 v182, v62 offset:1056
.LBB626_162:                            ;   in Loop: Header=BB626_104 Depth=2
	s_or_b32 exec_lo, exec_lo, s15
	v_xor_b32_e32 v179, 0x80000000, v67
	; wave barrier
	s_delay_alu instid0(VALU_DEP_1) | instskip(NEXT) | instid1(VALU_DEP_1)
	v_lshrrev_b32_e32 v62, s43, v179
	v_bitop3_b32 v63, v62, 1, s48 bitop3:0x80
	v_and_b32_e32 v67, s48, v62
	s_delay_alu instid0(VALU_DEP_2) | instskip(NEXT) | instid1(VALU_DEP_1)
	v_add_co_u32 v62, s15, v63, -1
	v_cndmask_b32_e64 v63, 0, 1, s15
	s_delay_alu instid0(VALU_DEP_3) | instskip(NEXT) | instid1(VALU_DEP_2)
	v_lshlrev_b32_e32 v68, 30, v67
	v_cmp_ne_u32_e32 vcc_lo, 0, v63
	s_delay_alu instid0(VALU_DEP_2) | instskip(NEXT) | instid1(VALU_DEP_1)
	v_not_b32_e32 v63, v68
	v_dual_ashrrev_i32 v63, 31, v63 :: v_dual_bitop2_b32 v62, vcc_lo, v62 bitop3:0x14
	v_dual_lshlrev_b32 v69, 29, v67 :: v_dual_lshlrev_b32 v183, 28, v67
	v_dual_lshlrev_b32 v184, 27, v67 :: v_dual_lshlrev_b32 v185, 26, v67
	v_lshlrev_b32_e32 v186, 25, v67
	v_cmp_gt_i32_e64 s15, 0, v68
	s_delay_alu instid0(VALU_DEP_4)
	v_cmp_gt_i32_e64 s16, 0, v69
	v_not_b32_e32 v68, v69
	v_not_b32_e32 v69, v183
	v_lshlrev_b32_e32 v187, 24, v67
	v_cmp_gt_i32_e64 s17, 0, v183
	v_cmp_gt_i32_e64 s18, 0, v184
	v_not_b32_e32 v183, v184
	v_not_b32_e32 v184, v185
	v_dual_ashrrev_i32 v68, 31, v68 :: v_dual_ashrrev_i32 v69, 31, v69
	v_xor_b32_e32 v63, s15, v63
	v_cmp_gt_i32_e64 s19, 0, v185
	s_delay_alu instid0(VALU_DEP_4) | instskip(NEXT) | instid1(VALU_DEP_4)
	v_dual_ashrrev_i32 v183, 31, v183 :: v_dual_ashrrev_i32 v184, 31, v184
	v_xor_b32_e32 v69, s17, v69
	s_delay_alu instid0(VALU_DEP_4)
	v_bitop3_b32 v62, v62, v63, exec_lo bitop3:0x80
	v_not_b32_e32 v63, v186
	v_xor_b32_e32 v68, s16, v68
	v_not_b32_e32 v185, v187
	v_cmp_gt_i32_e64 s20, 0, v186
	v_xor_b32_e32 v183, s18, v183
	v_dual_ashrrev_i32 v63, 31, v63 :: v_dual_bitop2_b32 v184, s19, v184 bitop3:0x14
	v_bitop3_b32 v62, v62, v69, v68 bitop3:0x80
	v_cmp_gt_i32_e32 vcc_lo, 0, v187
	v_ashrrev_i32_e32 v68, 31, v185
	v_mad_u32_u24 v69, v67, 36, v25
	v_xor_b32_e32 v63, s20, v63
	v_bitop3_b32 v62, v62, v184, v183 bitop3:0x80
	s_delay_alu instid0(VALU_DEP_4) | instskip(SKIP_3) | instid1(VALU_DEP_2)
	v_xor_b32_e32 v68, vcc_lo, v68
	ds_load_b32 v184, v69 offset:1056
	; wave barrier
	v_bitop3_b32 v62, v62, v68, v63 bitop3:0x80
	v_mul_u32_u24_e32 v63, 36, v67
	v_mbcnt_lo_u32_b32 v185, v62, 0
	v_cmp_ne_u32_e64 s15, 0, v62
	s_delay_alu instid0(VALU_DEP_3) | instskip(NEXT) | instid1(VALU_DEP_3)
	v_add_nc_u32_e32 v186, v25, v63
	v_cmp_eq_u32_e32 vcc_lo, 0, v185
	s_and_b32 s16, s15, vcc_lo
	s_delay_alu instid0(SALU_CYCLE_1)
	s_and_saveexec_b32 s15, s16
	s_cbranch_execz .LBB626_164
; %bb.163:                              ;   in Loop: Header=BB626_104 Depth=2
	s_wait_dscnt 0x0
	v_bcnt_u32_b32 v62, v62, v184
	ds_store_b32 v186, v62 offset:1056
.LBB626_164:                            ;   in Loop: Header=BB626_104 Depth=2
	s_or_b32 exec_lo, exec_lo, s15
	v_xor_b32_e32 v183, 0x80000000, v66
	; wave barrier
	s_delay_alu instid0(VALU_DEP_1) | instskip(NEXT) | instid1(VALU_DEP_1)
	v_lshrrev_b32_e32 v62, s43, v183
	v_and_b32_e32 v66, s48, v62
	s_delay_alu instid0(VALU_DEP_1) | instskip(SKIP_1) | instid1(VALU_DEP_1)
	v_lshlrev_b32_e32 v67, 30, v66
	v_bitop3_b32 v63, v62, 1, s48 bitop3:0x80
	v_add_co_u32 v62, s15, v63, -1
	s_delay_alu instid0(VALU_DEP_1) | instskip(NEXT) | instid1(VALU_DEP_4)
	v_cndmask_b32_e64 v63, 0, 1, s15
	v_cmp_gt_i32_e64 s15, 0, v67
	s_delay_alu instid0(VALU_DEP_2) | instskip(SKIP_1) | instid1(VALU_DEP_1)
	v_cmp_ne_u32_e32 vcc_lo, 0, v63
	v_not_b32_e32 v63, v67
	v_dual_ashrrev_i32 v63, 31, v63 :: v_dual_lshlrev_b32 v68, 29, v66
	v_dual_lshlrev_b32 v69, 28, v66 :: v_dual_lshlrev_b32 v187, 27, v66
	v_dual_lshlrev_b32 v188, 26, v66 :: v_dual_lshlrev_b32 v189, 25, v66
	v_lshlrev_b32_e32 v190, 24, v66
	s_delay_alu instid0(VALU_DEP_4)
	v_cmp_gt_i32_e64 s16, 0, v68
	v_not_b32_e32 v67, v68
	v_not_b32_e32 v68, v69
	v_cmp_gt_i32_e64 s17, 0, v69
	v_cmp_gt_i32_e64 s18, 0, v187
	v_not_b32_e32 v69, v187
	v_not_b32_e32 v187, v188
	v_dual_ashrrev_i32 v67, 31, v67 :: v_dual_bitop2_b32 v62, vcc_lo, v62 bitop3:0x14
	v_dual_ashrrev_i32 v68, 31, v68 :: v_dual_bitop2_b32 v63, s15, v63 bitop3:0x14
	v_cmp_gt_i32_e64 s19, 0, v188
	s_delay_alu instid0(VALU_DEP_4) | instskip(NEXT) | instid1(VALU_DEP_4)
	v_dual_ashrrev_i32 v69, 31, v69 :: v_dual_ashrrev_i32 v187, 31, v187
	v_xor_b32_e32 v67, s16, v67
	s_delay_alu instid0(VALU_DEP_4)
	v_bitop3_b32 v62, v62, v63, exec_lo bitop3:0x80
	v_not_b32_e32 v63, v189
	v_xor_b32_e32 v68, s17, v68
	v_not_b32_e32 v188, v190
	v_cmp_gt_i32_e64 s20, 0, v189
	v_xor_b32_e32 v69, s18, v69
	v_xor_b32_e32 v187, s19, v187
	v_ashrrev_i32_e32 v63, 31, v63
	v_bitop3_b32 v62, v62, v68, v67 bitop3:0x80
	v_cmp_gt_i32_e32 vcc_lo, 0, v190
	v_ashrrev_i32_e32 v67, 31, v188
	v_mad_u32_u24 v68, v66, 36, v25
	v_xor_b32_e32 v63, s20, v63
	v_bitop3_b32 v62, v62, v187, v69 bitop3:0x80
	s_delay_alu instid0(VALU_DEP_4) | instskip(SKIP_3) | instid1(VALU_DEP_2)
	v_xor_b32_e32 v67, vcc_lo, v67
	ds_load_b32 v188, v68 offset:1056
	; wave barrier
	v_bitop3_b32 v62, v62, v67, v63 bitop3:0x80
	v_mul_u32_u24_e32 v63, 36, v66
	v_mbcnt_lo_u32_b32 v189, v62, 0
	v_cmp_ne_u32_e64 s15, 0, v62
	s_delay_alu instid0(VALU_DEP_3) | instskip(NEXT) | instid1(VALU_DEP_3)
	v_add_nc_u32_e32 v190, v25, v63
	v_cmp_eq_u32_e32 vcc_lo, 0, v189
	s_and_b32 s16, s15, vcc_lo
	s_delay_alu instid0(SALU_CYCLE_1)
	s_and_saveexec_b32 s15, s16
	s_cbranch_execz .LBB626_166
; %bb.165:                              ;   in Loop: Header=BB626_104 Depth=2
	s_wait_dscnt 0x0
	v_bcnt_u32_b32 v62, v62, v188
	ds_store_b32 v190, v62 offset:1056
.LBB626_166:                            ;   in Loop: Header=BB626_104 Depth=2
	s_or_b32 exec_lo, exec_lo, s15
	v_xor_b32_e32 v187, 0x80000000, v65
	; wave barrier
	s_delay_alu instid0(VALU_DEP_1) | instskip(NEXT) | instid1(VALU_DEP_1)
	v_lshrrev_b32_e32 v62, s43, v187
	v_and_b32_e32 v65, s48, v62
	s_delay_alu instid0(VALU_DEP_1) | instskip(SKIP_1) | instid1(VALU_DEP_1)
	v_lshlrev_b32_e32 v66, 30, v65
	v_bitop3_b32 v63, v62, 1, s48 bitop3:0x80
	v_add_co_u32 v62, s15, v63, -1
	s_delay_alu instid0(VALU_DEP_1) | instskip(NEXT) | instid1(VALU_DEP_4)
	v_cndmask_b32_e64 v63, 0, 1, s15
	v_cmp_gt_i32_e64 s15, 0, v66
	s_delay_alu instid0(VALU_DEP_2) | instskip(SKIP_1) | instid1(VALU_DEP_1)
	v_cmp_ne_u32_e32 vcc_lo, 0, v63
	v_not_b32_e32 v63, v66
	v_dual_ashrrev_i32 v63, 31, v63 :: v_dual_lshlrev_b32 v67, 29, v65
	v_dual_lshlrev_b32 v68, 28, v65 :: v_dual_lshlrev_b32 v69, 27, v65
	v_dual_lshlrev_b32 v191, 26, v65 :: v_dual_lshlrev_b32 v192, 25, v65
	v_lshlrev_b32_e32 v193, 24, v65
	s_delay_alu instid0(VALU_DEP_4)
	v_cmp_gt_i32_e64 s16, 0, v67
	v_not_b32_e32 v66, v67
	v_not_b32_e32 v67, v68
	v_cmp_gt_i32_e64 s17, 0, v68
	v_cmp_gt_i32_e64 s18, 0, v69
	v_not_b32_e32 v68, v69
	v_not_b32_e32 v69, v191
	v_dual_ashrrev_i32 v67, 31, v67 :: v_dual_bitop2_b32 v62, vcc_lo, v62 bitop3:0x14
	v_dual_ashrrev_i32 v66, 31, v66 :: v_dual_bitop2_b32 v63, s15, v63 bitop3:0x14
	v_cmp_gt_i32_e64 s19, 0, v191
	s_delay_alu instid0(VALU_DEP_4) | instskip(NEXT) | instid1(VALU_DEP_4)
	v_dual_ashrrev_i32 v68, 31, v68 :: v_dual_ashrrev_i32 v69, 31, v69
	v_xor_b32_e32 v67, s17, v67
	s_delay_alu instid0(VALU_DEP_4)
	v_bitop3_b32 v62, v62, v63, exec_lo bitop3:0x80
	v_not_b32_e32 v63, v192
	v_xor_b32_e32 v66, s16, v66
	v_not_b32_e32 v191, v193
	v_cmp_gt_i32_e64 s20, 0, v192
	v_xor_b32_e32 v68, s18, v68
	v_dual_ashrrev_i32 v63, 31, v63 :: v_dual_bitop2_b32 v69, s19, v69 bitop3:0x14
	v_bitop3_b32 v62, v62, v67, v66 bitop3:0x80
	v_cmp_gt_i32_e32 vcc_lo, 0, v193
	v_ashrrev_i32_e32 v66, 31, v191
	v_mad_u32_u24 v67, v65, 36, v25
	v_xor_b32_e32 v63, s20, v63
	v_bitop3_b32 v62, v62, v69, v68 bitop3:0x80
	s_delay_alu instid0(VALU_DEP_4) | instskip(SKIP_3) | instid1(VALU_DEP_2)
	v_xor_b32_e32 v66, vcc_lo, v66
	ds_load_b32 v192, v67 offset:1056
	; wave barrier
	v_bitop3_b32 v62, v62, v66, v63 bitop3:0x80
	v_mul_u32_u24_e32 v63, 36, v65
	v_mbcnt_lo_u32_b32 v193, v62, 0
	v_cmp_ne_u32_e64 s15, 0, v62
	s_delay_alu instid0(VALU_DEP_3) | instskip(NEXT) | instid1(VALU_DEP_3)
	v_add_nc_u32_e32 v194, v25, v63
	v_cmp_eq_u32_e32 vcc_lo, 0, v193
	s_and_b32 s16, s15, vcc_lo
	s_delay_alu instid0(SALU_CYCLE_1)
	s_and_saveexec_b32 s15, s16
	s_cbranch_execz .LBB626_168
; %bb.167:                              ;   in Loop: Header=BB626_104 Depth=2
	s_wait_dscnt 0x0
	v_bcnt_u32_b32 v62, v62, v192
	ds_store_b32 v194, v62 offset:1056
.LBB626_168:                            ;   in Loop: Header=BB626_104 Depth=2
	s_or_b32 exec_lo, exec_lo, s15
	v_xor_b32_e32 v191, 0x80000000, v64
	; wave barrier
	s_delay_alu instid0(VALU_DEP_1) | instskip(NEXT) | instid1(VALU_DEP_1)
	v_lshrrev_b32_e32 v62, s43, v191
	v_and_b32_e32 v64, s48, v62
	s_delay_alu instid0(VALU_DEP_1) | instskip(SKIP_1) | instid1(VALU_DEP_1)
	v_lshlrev_b32_e32 v65, 30, v64
	v_bitop3_b32 v63, v62, 1, s48 bitop3:0x80
	v_add_co_u32 v62, s15, v63, -1
	s_delay_alu instid0(VALU_DEP_1) | instskip(NEXT) | instid1(VALU_DEP_4)
	v_cndmask_b32_e64 v63, 0, 1, s15
	v_cmp_gt_i32_e64 s15, 0, v65
	s_delay_alu instid0(VALU_DEP_2) | instskip(SKIP_1) | instid1(VALU_DEP_1)
	v_cmp_ne_u32_e32 vcc_lo, 0, v63
	v_not_b32_e32 v63, v65
	v_dual_ashrrev_i32 v63, 31, v63 :: v_dual_lshlrev_b32 v66, 29, v64
	v_dual_lshlrev_b32 v67, 28, v64 :: v_dual_lshlrev_b32 v68, 27, v64
	v_dual_lshlrev_b32 v69, 26, v64 :: v_dual_lshlrev_b32 v195, 25, v64
	v_lshlrev_b32_e32 v196, 24, v64
	s_delay_alu instid0(VALU_DEP_4)
	v_cmp_gt_i32_e64 s16, 0, v66
	v_not_b32_e32 v65, v66
	v_not_b32_e32 v66, v67
	v_cmp_gt_i32_e64 s17, 0, v67
	v_cmp_gt_i32_e64 s18, 0, v68
	v_not_b32_e32 v67, v68
	v_not_b32_e32 v68, v69
	v_dual_ashrrev_i32 v65, 31, v65 :: v_dual_bitop2_b32 v62, vcc_lo, v62 bitop3:0x14
	v_dual_ashrrev_i32 v66, 31, v66 :: v_dual_bitop2_b32 v63, s15, v63 bitop3:0x14
	v_cmp_gt_i32_e64 s19, 0, v69
	s_delay_alu instid0(VALU_DEP_4) | instskip(SKIP_1) | instid1(VALU_DEP_4)
	v_dual_ashrrev_i32 v67, 31, v67 :: v_dual_ashrrev_i32 v68, 31, v68
	v_not_b32_e32 v69, v196
	v_xor_b32_e32 v66, s17, v66
	v_bitop3_b32 v62, v62, v63, exec_lo bitop3:0x80
	v_not_b32_e32 v63, v195
	v_xor_b32_e32 v65, s16, v65
	v_cmp_gt_i32_e64 s20, 0, v195
	v_xor_b32_e32 v67, s18, v67
	s_delay_alu instid0(VALU_DEP_4) | instskip(NEXT) | instid1(VALU_DEP_4)
	v_dual_ashrrev_i32 v63, 31, v63 :: v_dual_bitop2_b32 v68, s19, v68 bitop3:0x14
	v_bitop3_b32 v62, v62, v66, v65 bitop3:0x80
	v_cmp_gt_i32_e32 vcc_lo, 0, v196
	v_ashrrev_i32_e32 v65, 31, v69
	v_mad_u32_u24 v66, v64, 36, v25
	v_xor_b32_e32 v63, s20, v63
	v_bitop3_b32 v62, v62, v68, v67 bitop3:0x80
	s_delay_alu instid0(VALU_DEP_4) | instskip(SKIP_3) | instid1(VALU_DEP_2)
	v_xor_b32_e32 v65, vcc_lo, v65
	ds_load_b32 v195, v66 offset:1056
	; wave barrier
	v_bitop3_b32 v62, v62, v65, v63 bitop3:0x80
	v_mul_u32_u24_e32 v63, 36, v64
	v_mbcnt_lo_u32_b32 v196, v62, 0
	v_cmp_ne_u32_e64 s15, 0, v62
	s_delay_alu instid0(VALU_DEP_3) | instskip(NEXT) | instid1(VALU_DEP_3)
	v_add_nc_u32_e32 v197, v25, v63
	v_cmp_eq_u32_e32 vcc_lo, 0, v196
	s_and_b32 s16, s15, vcc_lo
	s_delay_alu instid0(SALU_CYCLE_1)
	s_and_saveexec_b32 s15, s16
	s_cbranch_execz .LBB626_170
; %bb.169:                              ;   in Loop: Header=BB626_104 Depth=2
	s_wait_dscnt 0x0
	v_bcnt_u32_b32 v62, v62, v195
	ds_store_b32 v197, v62 offset:1056
.LBB626_170:                            ;   in Loop: Header=BB626_104 Depth=2
	s_or_b32 exec_lo, exec_lo, s15
	v_lshrrev_b32_e32 v62, s43, v138
	; wave barrier
	s_delay_alu instid0(VALU_DEP_1) | instskip(NEXT) | instid1(VALU_DEP_1)
	v_and_b32_e32 v64, s48, v62
	v_lshlrev_b32_e32 v65, 30, v64
	v_bitop3_b32 v63, v62, 1, s48 bitop3:0x80
	s_delay_alu instid0(VALU_DEP_1) | instskip(NEXT) | instid1(VALU_DEP_1)
	v_add_co_u32 v62, s15, v63, -1
	v_cndmask_b32_e64 v63, 0, 1, s15
	s_delay_alu instid0(VALU_DEP_4) | instskip(NEXT) | instid1(VALU_DEP_2)
	v_cmp_gt_i32_e64 s15, 0, v65
	v_cmp_ne_u32_e32 vcc_lo, 0, v63
	v_not_b32_e32 v63, v65
	s_delay_alu instid0(VALU_DEP_1) | instskip(SKIP_3) | instid1(VALU_DEP_4)
	v_dual_ashrrev_i32 v63, 31, v63 :: v_dual_lshlrev_b32 v66, 29, v64
	v_dual_lshlrev_b32 v67, 28, v64 :: v_dual_lshlrev_b32 v68, 27, v64
	v_dual_lshlrev_b32 v69, 26, v64 :: v_dual_lshlrev_b32 v198, 25, v64
	v_lshlrev_b32_e32 v199, 24, v64
	v_cmp_gt_i32_e64 s16, 0, v66
	v_not_b32_e32 v65, v66
	v_not_b32_e32 v66, v67
	v_cmp_gt_i32_e64 s17, 0, v67
	v_xor_b32_e32 v62, vcc_lo, v62
	s_delay_alu instid0(VALU_DEP_4) | instskip(NEXT) | instid1(VALU_DEP_4)
	v_dual_ashrrev_i32 v65, 31, v65 :: v_dual_bitop2_b32 v63, s15, v63 bitop3:0x14
	v_ashrrev_i32_e32 v66, 31, v66
	v_cmp_gt_i32_e64 s18, 0, v68
	v_not_b32_e32 v67, v68
	v_not_b32_e32 v68, v69
	v_xor_b32_e32 v65, s16, v65
	v_xor_b32_e32 v66, s17, v66
	v_bitop3_b32 v62, v62, v63, exec_lo bitop3:0x80
	v_ashrrev_i32_e32 v63, 31, v67
	v_cmp_gt_i32_e32 vcc_lo, 0, v69
	v_ashrrev_i32_e32 v67, 31, v68
	v_not_b32_e32 v68, v198
	v_bitop3_b32 v62, v62, v66, v65 bitop3:0x80
	v_not_b32_e32 v65, v199
	v_xor_b32_e32 v63, s18, v63
	v_xor_b32_e32 v66, vcc_lo, v67
	v_cmp_gt_i32_e32 vcc_lo, 0, v198
	v_ashrrev_i32_e32 v67, 31, v68
	v_cmp_gt_i32_e64 s15, 0, v199
	v_ashrrev_i32_e32 v65, 31, v65
	v_mad_u32_u24 v68, v64, 36, v25
	v_bitop3_b32 v62, v62, v66, v63 bitop3:0x80
	v_xor_b32_e32 v63, vcc_lo, v67
	s_delay_alu instid0(VALU_DEP_4) | instskip(SKIP_3) | instid1(VALU_DEP_2)
	v_xor_b32_e32 v65, s15, v65
	ds_load_b32 v198, v68 offset:1056
	; wave barrier
	v_bitop3_b32 v62, v62, v65, v63 bitop3:0x80
	v_mul_u32_u24_e32 v63, 36, v64
	v_mbcnt_lo_u32_b32 v199, v62, 0
	v_cmp_ne_u32_e64 s15, 0, v62
	s_delay_alu instid0(VALU_DEP_3) | instskip(NEXT) | instid1(VALU_DEP_3)
	v_add_nc_u32_e32 v200, v25, v63
	v_cmp_eq_u32_e32 vcc_lo, 0, v199
	s_and_b32 s16, s15, vcc_lo
	s_delay_alu instid0(SALU_CYCLE_1)
	s_and_saveexec_b32 s15, s16
	s_cbranch_execz .LBB626_172
; %bb.171:                              ;   in Loop: Header=BB626_104 Depth=2
	s_wait_dscnt 0x0
	v_bcnt_u32_b32 v62, v62, v198
	ds_store_b32 v200, v62 offset:1056
.LBB626_172:                            ;   in Loop: Header=BB626_104 Depth=2
	s_or_b32 exec_lo, exec_lo, s15
	; wave barrier
	s_wait_dscnt 0x0
	s_barrier_signal -1
	s_barrier_wait -1
	ds_load_2addr_b32 v[68:69], v117 offset1:1
	ds_load_2addr_b32 v[66:67], v118 offset1:1
	ds_load_2addr_b32 v[64:65], v119 offset1:1
	ds_load_2addr_b32 v[62:63], v5 offset1:1
	ds_load_b32 v201, v91 offset:1088
	s_wait_dscnt 0x3
	v_add3_u32 v202, v69, v68, v66
	s_wait_dscnt 0x2
	s_delay_alu instid0(VALU_DEP_1) | instskip(SKIP_1) | instid1(VALU_DEP_1)
	v_add3_u32 v202, v202, v67, v64
	s_wait_dscnt 0x1
	v_add3_u32 v202, v202, v65, v62
	s_wait_dscnt 0x0
	s_delay_alu instid0(VALU_DEP_1) | instskip(NEXT) | instid1(VALU_DEP_1)
	v_add3_u32 v201, v202, v63, v201
	v_mov_b32_dpp v202, v201 row_shr:1 row_mask:0xf bank_mask:0xf
	s_delay_alu instid0(VALU_DEP_1) | instskip(NEXT) | instid1(VALU_DEP_1)
	v_cndmask_b32_e64 v202, v202, 0, s7
	v_add_nc_u32_e32 v201, v202, v201
	s_delay_alu instid0(VALU_DEP_1) | instskip(NEXT) | instid1(VALU_DEP_1)
	v_mov_b32_dpp v202, v201 row_shr:2 row_mask:0xf bank_mask:0xf
	v_cndmask_b32_e64 v202, 0, v202, s8
	s_delay_alu instid0(VALU_DEP_1) | instskip(NEXT) | instid1(VALU_DEP_1)
	v_add_nc_u32_e32 v201, v201, v202
	v_mov_b32_dpp v202, v201 row_shr:4 row_mask:0xf bank_mask:0xf
	s_delay_alu instid0(VALU_DEP_1) | instskip(NEXT) | instid1(VALU_DEP_1)
	v_cndmask_b32_e64 v202, 0, v202, s9
	v_add_nc_u32_e32 v201, v201, v202
	s_delay_alu instid0(VALU_DEP_1) | instskip(NEXT) | instid1(VALU_DEP_1)
	v_mov_b32_dpp v202, v201 row_shr:8 row_mask:0xf bank_mask:0xf
	v_cndmask_b32_e64 v202, 0, v202, s10
	s_delay_alu instid0(VALU_DEP_1) | instskip(SKIP_3) | instid1(VALU_DEP_1)
	v_add_nc_u32_e32 v201, v201, v202
	ds_swizzle_b32 v202, v201 offset:swizzle(BROADCAST,32,15)
	s_wait_dscnt 0x0
	v_cndmask_b32_e64 v202, v202, 0, s11
	v_add_nc_u32_e32 v201, v201, v202
	s_and_saveexec_b32 s15, s1
; %bb.173:                              ;   in Loop: Header=BB626_104 Depth=2
	ds_store_b32 v85, v201 offset:1024
; %bb.174:                              ;   in Loop: Header=BB626_104 Depth=2
	s_or_b32 exec_lo, exec_lo, s15
	s_wait_dscnt 0x0
	s_barrier_signal -1
	s_barrier_wait -1
	s_and_saveexec_b32 s15, s4
	s_cbranch_execz .LBB626_176
; %bb.175:                              ;   in Loop: Header=BB626_104 Depth=2
	ds_load_b32 v202, v93 offset:1024
	s_wait_dscnt 0x0
	v_mov_b32_dpp v203, v202 row_shr:1 row_mask:0xf bank_mask:0xf
	s_delay_alu instid0(VALU_DEP_1) | instskip(NEXT) | instid1(VALU_DEP_1)
	v_cndmask_b32_e64 v203, v203, 0, s12
	v_add_nc_u32_e32 v202, v203, v202
	s_delay_alu instid0(VALU_DEP_1) | instskip(NEXT) | instid1(VALU_DEP_1)
	v_mov_b32_dpp v203, v202 row_shr:2 row_mask:0xf bank_mask:0xf
	v_cndmask_b32_e64 v203, 0, v203, s13
	s_delay_alu instid0(VALU_DEP_1) | instskip(NEXT) | instid1(VALU_DEP_1)
	v_add_nc_u32_e32 v202, v202, v203
	v_mov_b32_dpp v203, v202 row_shr:4 row_mask:0xf bank_mask:0xf
	s_delay_alu instid0(VALU_DEP_1) | instskip(NEXT) | instid1(VALU_DEP_1)
	v_cndmask_b32_e64 v203, 0, v203, s14
	v_add_nc_u32_e32 v202, v202, v203
	ds_store_b32 v93, v202 offset:1024
.LBB626_176:                            ;   in Loop: Header=BB626_104 Depth=2
	s_or_b32 exec_lo, exec_lo, s15
	v_mov_b32_e32 v202, 0
	s_wait_dscnt 0x0
	s_barrier_signal -1
	s_barrier_wait -1
	s_and_saveexec_b32 s15, s5
; %bb.177:                              ;   in Loop: Header=BB626_104 Depth=2
	ds_load_b32 v202, v85 offset:1020
; %bb.178:                              ;   in Loop: Header=BB626_104 Depth=2
	s_or_b32 exec_lo, exec_lo, s15
	s_wait_dscnt 0x0
	v_add_nc_u32_e32 v201, v202, v201
	ds_bpermute_b32 v201, v120, v201
	s_wait_dscnt 0x0
	v_cndmask_b32_e64 v201, v201, v202, s6
	s_delay_alu instid0(VALU_DEP_1) | instskip(NEXT) | instid1(VALU_DEP_1)
	v_cndmask_b32_e64 v201, v201, 0, s2
	v_add_nc_u32_e32 v68, v201, v68
	s_delay_alu instid0(VALU_DEP_1) | instskip(NEXT) | instid1(VALU_DEP_1)
	v_add_nc_u32_e32 v69, v68, v69
	v_add_nc_u32_e32 v66, v69, v66
	s_delay_alu instid0(VALU_DEP_1) | instskip(NEXT) | instid1(VALU_DEP_1)
	v_add_nc_u32_e32 v67, v66, v67
	;; [unrolled: 3-line block ×3, first 2 shown]
	v_add_nc_u32_e32 v62, v65, v62
	s_delay_alu instid0(VALU_DEP_1)
	v_add_nc_u32_e32 v63, v62, v63
	ds_store_2addr_b32 v5, v65, v62 offset1:1
	ds_store_2addr_b32 v117, v201, v68 offset1:1
	;; [unrolled: 1-line block ×4, first 2 shown]
	ds_store_b32 v91, v63 offset:1088
	s_wait_dscnt 0x0
	s_barrier_signal -1
	s_barrier_wait -1
	ds_load_b32 v65, v142 offset:1056
	ds_load_b32 v67, v146 offset:1056
	ds_load_b32 v68, v150 offset:1056
	ds_load_b32 v69, v154 offset:1056
	ds_load_b32 v142, v158 offset:1056
	ds_load_b32 v146, v162 offset:1056
	ds_load_b32 v201, v167 offset:1056
	ds_load_b32 v170, v170 offset:1056
	ds_load_b32 v174, v174 offset:1056
	ds_load_b32 v178, v178 offset:1056
	ds_load_b32 v182, v182 offset:1056
	ds_load_b32 v186, v186 offset:1056
	ds_load_b32 v62, v190 offset:1056
	ds_load_b32 v63, v194 offset:1056
	ds_load_b32 v66, v197 offset:1056
	ds_load_b32 v167, v200 offset:1056
	ds_load_b32 v150, v91 offset:1056
	v_mov_b32_e32 v64, 0x1000
	s_and_saveexec_b32 s15, s3
; %bb.179:                              ;   in Loop: Header=BB626_104 Depth=2
	ds_load_b32 v64, v91 offset:1092
; %bb.180:                              ;   in Loop: Header=BB626_104 Depth=2
	s_or_b32 exec_lo, exec_lo, s15
	s_wait_dscnt 0x0
	s_barrier_signal -1
	s_barrier_wait -1
	s_and_saveexec_b32 s15, s0
	s_cbranch_execz .LBB626_182
; %bb.181:                              ;   in Loop: Header=BB626_104 Depth=2
	ds_load_b32 v154, v4
	s_wait_dscnt 0x0
	v_sub_nc_u32_e32 v150, v154, v150
	ds_store_b32 v4, v150
.LBB626_182:                            ;   in Loop: Header=BB626_104 Depth=2
	s_or_b32 exec_lo, exec_lo, s15
	v_add3_u32 v158, v145, v144, v67
	v_add_nc_u32_e32 v162, v65, v141
	v_add3_u32 v154, v149, v148, v68
	v_add3_u32 v150, v153, v152, v69
	;; [unrolled: 1-line block ×4, first 2 shown]
	v_lshlrev_b32_e32 v62, 2, v158
	v_lshlrev_b32_e32 v152, 2, v162
	v_add3_u32 v149, v157, v156, v142
	v_add3_u32 v146, v165, v164, v201
	;; [unrolled: 1-line block ×4, first 2 shown]
	v_lshlrev_b32_e32 v63, 2, v154
	v_add3_u32 v144, v173, v172, v174
	v_lshlrev_b32_e32 v153, 2, v148
	ds_store_b32 v152, v139 offset:1024
	v_lshlrev_b32_e32 v139, 2, v150
	v_add3_u32 v142, v177, v176, v178
	v_lshlrev_b32_e32 v152, 2, v149
	v_add3_u32 v141, v181, v180, v182
	v_add3_u32 v65, v185, v184, v186
	ds_store_b32 v62, v140 offset:1024
	ds_store_b32 v63, v143 offset:1024
	;; [unrolled: 1-line block ×5, first 2 shown]
	v_dual_lshlrev_b32 v62, 2, v146 :: v_dual_lshlrev_b32 v139, 2, v144
	v_lshlrev_b32_e32 v63, 2, v145
	v_add3_u32 v67, v196, v195, v66
	v_dual_lshlrev_b32 v140, 2, v142 :: v_dual_lshlrev_b32 v143, 2, v141
	v_add3_u32 v66, v199, v198, v167
	ds_store_b32 v62, v159 offset:1024
	ds_store_b32 v63, v163 offset:1024
	;; [unrolled: 1-line block ×5, first 2 shown]
	v_dual_lshlrev_b32 v62, 2, v65 :: v_dual_lshlrev_b32 v139, 2, v68
	v_cmp_lt_u32_e32 vcc_lo, v2, v137
	v_dual_lshlrev_b32 v63, 2, v69 :: v_dual_lshlrev_b32 v140, 2, v67
	v_lshlrev_b32_e32 v143, 2, v66
	ds_store_b32 v62, v179 offset:1024
	ds_store_b32 v63, v183 offset:1024
	ds_store_b32 v139, v187 offset:1024
	ds_store_b32 v140, v191 offset:1024
	ds_store_b32 v143, v138 offset:1024
	s_wait_dscnt 0x0
	s_barrier_signal -1
	s_barrier_wait -1
	s_and_saveexec_b32 s15, vcc_lo
	s_cbranch_execnz .LBB626_251
; %bb.183:                              ;   in Loop: Header=BB626_104 Depth=2
	s_or_b32 exec_lo, exec_lo, s15
	v_cmp_lt_u32_e64 s15, v3, v137
	s_and_saveexec_b32 s16, s15
	s_cbranch_execnz .LBB626_252
.LBB626_184:                            ;   in Loop: Header=BB626_104 Depth=2
	s_or_b32 exec_lo, exec_lo, s16
	v_cmp_lt_u32_e64 s16, v70, v137
	s_and_saveexec_b32 s17, s16
	s_cbranch_execnz .LBB626_253
.LBB626_185:                            ;   in Loop: Header=BB626_104 Depth=2
	s_or_b32 exec_lo, exec_lo, s17
	v_cmp_lt_u32_e64 s17, v71, v137
	s_and_saveexec_b32 s18, s17
	s_cbranch_execnz .LBB626_254
.LBB626_186:                            ;   in Loop: Header=BB626_104 Depth=2
	s_or_b32 exec_lo, exec_lo, s18
	v_cmp_lt_u32_e64 s18, v72, v137
	s_and_saveexec_b32 s19, s18
	s_cbranch_execnz .LBB626_255
.LBB626_187:                            ;   in Loop: Header=BB626_104 Depth=2
	s_or_b32 exec_lo, exec_lo, s19
	v_cmp_lt_u32_e64 s19, v73, v137
	s_and_saveexec_b32 s20, s19
	s_cbranch_execnz .LBB626_256
.LBB626_188:                            ;   in Loop: Header=BB626_104 Depth=2
	s_or_b32 exec_lo, exec_lo, s20
	v_cmp_lt_u32_e64 s20, v74, v137
	s_and_saveexec_b32 s21, s20
	s_cbranch_execnz .LBB626_257
.LBB626_189:                            ;   in Loop: Header=BB626_104 Depth=2
	s_or_b32 exec_lo, exec_lo, s21
	v_cmp_lt_u32_e64 s21, v75, v137
	s_and_saveexec_b32 s22, s21
	s_cbranch_execnz .LBB626_258
.LBB626_190:                            ;   in Loop: Header=BB626_104 Depth=2
	s_or_b32 exec_lo, exec_lo, s22
	v_cmp_lt_u32_e64 s22, v76, v137
	s_and_saveexec_b32 s23, s22
	s_cbranch_execnz .LBB626_259
.LBB626_191:                            ;   in Loop: Header=BB626_104 Depth=2
	s_or_b32 exec_lo, exec_lo, s23
	v_cmp_lt_u32_e64 s23, v77, v137
	s_and_saveexec_b32 s24, s23
	s_cbranch_execnz .LBB626_260
.LBB626_192:                            ;   in Loop: Header=BB626_104 Depth=2
	s_or_b32 exec_lo, exec_lo, s24
	v_cmp_lt_u32_e64 s24, v78, v137
	s_and_saveexec_b32 s25, s24
	s_cbranch_execnz .LBB626_261
.LBB626_193:                            ;   in Loop: Header=BB626_104 Depth=2
	s_or_b32 exec_lo, exec_lo, s25
	v_cmp_lt_u32_e64 s25, v79, v137
	s_and_saveexec_b32 s26, s25
	s_cbranch_execnz .LBB626_262
.LBB626_194:                            ;   in Loop: Header=BB626_104 Depth=2
	s_or_b32 exec_lo, exec_lo, s26
	v_cmp_lt_u32_e64 s26, v80, v137
	s_and_saveexec_b32 s27, s26
	s_cbranch_execnz .LBB626_263
.LBB626_195:                            ;   in Loop: Header=BB626_104 Depth=2
	s_or_b32 exec_lo, exec_lo, s27
	v_cmp_lt_u32_e64 s27, v81, v137
	s_and_saveexec_b32 s28, s27
	s_cbranch_execnz .LBB626_264
.LBB626_196:                            ;   in Loop: Header=BB626_104 Depth=2
	s_or_b32 exec_lo, exec_lo, s28
	v_cmp_lt_u32_e64 s28, v82, v137
	s_and_saveexec_b32 s29, s28
	s_cbranch_execnz .LBB626_265
.LBB626_197:                            ;   in Loop: Header=BB626_104 Depth=2
	s_or_b32 exec_lo, exec_lo, s29
	v_cmp_lt_u32_e64 s29, v83, v137
	s_and_saveexec_b32 s57, s29
	s_cbranch_execz .LBB626_199
.LBB626_198:                            ;   in Loop: Header=BB626_104 Depth=2
	ds_load_b32 v62, v93 offset:16384
	s_wait_dscnt 0x0
	v_lshrrev_b32_e32 v63, s43, v62
	v_xor_b32_e32 v62, 0x80000000, v62
	s_delay_alu instid0(VALU_DEP_2) | instskip(NEXT) | instid1(VALU_DEP_1)
	v_and_b32_e32 v63, s48, v63
	v_lshlrev_b32_e32 v63, 2, v63
	ds_load_b32 v63, v63
	s_wait_dscnt 0x0
	v_add_nc_u32_e32 v63, v63, v83
	global_store_b32 v63, v62, s[38:39] scale_offset
.LBB626_199:                            ;   in Loop: Header=BB626_104 Depth=2
	s_wait_xcnt 0x0
	s_or_b32 exec_lo, exec_lo, s57
	v_lshl_add_u64 v[62:63], s[30:31], 3, v[26:27]
	v_cmp_lt_u32_e64 s30, v99, v137
	s_and_saveexec_b32 s57, s30
	s_delay_alu instid0(SALU_CYCLE_1)
	s_xor_b32 s30, exec_lo, s57
	s_cbranch_execnz .LBB626_266
; %bb.200:                              ;   in Loop: Header=BB626_104 Depth=2
	s_or_b32 exec_lo, exec_lo, s30
	s_delay_alu instid0(SALU_CYCLE_1)
	s_mov_b32 s57, exec_lo
	v_cmpx_lt_u32_e64 v102, v137
	s_cbranch_execnz .LBB626_267
.LBB626_201:                            ;   in Loop: Header=BB626_104 Depth=2
	s_or_b32 exec_lo, exec_lo, s57
	s_delay_alu instid0(SALU_CYCLE_1)
	s_mov_b32 s57, exec_lo
	v_cmpx_lt_u32_e64 v103, v137
	s_cbranch_execnz .LBB626_268
.LBB626_202:                            ;   in Loop: Header=BB626_104 Depth=2
	s_or_b32 exec_lo, exec_lo, s57
	s_delay_alu instid0(SALU_CYCLE_1)
	s_mov_b32 s57, exec_lo
	v_cmpx_lt_u32_e64 v104, v137
	s_cbranch_execnz .LBB626_269
.LBB626_203:                            ;   in Loop: Header=BB626_104 Depth=2
	s_or_b32 exec_lo, exec_lo, s57
	s_delay_alu instid0(SALU_CYCLE_1)
	s_mov_b32 s57, exec_lo
	v_cmpx_lt_u32_e64 v105, v137
	s_cbranch_execnz .LBB626_270
.LBB626_204:                            ;   in Loop: Header=BB626_104 Depth=2
	s_or_b32 exec_lo, exec_lo, s57
	s_delay_alu instid0(SALU_CYCLE_1)
	s_mov_b32 s57, exec_lo
	v_cmpx_lt_u32_e64 v106, v137
	s_cbranch_execnz .LBB626_271
.LBB626_205:                            ;   in Loop: Header=BB626_104 Depth=2
	s_or_b32 exec_lo, exec_lo, s57
	s_delay_alu instid0(SALU_CYCLE_1)
	s_mov_b32 s57, exec_lo
	v_cmpx_lt_u32_e64 v107, v137
	s_cbranch_execnz .LBB626_272
.LBB626_206:                            ;   in Loop: Header=BB626_104 Depth=2
	s_or_b32 exec_lo, exec_lo, s57
	s_delay_alu instid0(SALU_CYCLE_1)
	s_mov_b32 s57, exec_lo
	v_cmpx_lt_u32_e64 v108, v137
	s_cbranch_execnz .LBB626_273
.LBB626_207:                            ;   in Loop: Header=BB626_104 Depth=2
	s_or_b32 exec_lo, exec_lo, s57
	s_delay_alu instid0(SALU_CYCLE_1)
	s_mov_b32 s57, exec_lo
	v_cmpx_lt_u32_e64 v109, v137
	s_cbranch_execnz .LBB626_274
.LBB626_208:                            ;   in Loop: Header=BB626_104 Depth=2
	s_or_b32 exec_lo, exec_lo, s57
	s_delay_alu instid0(SALU_CYCLE_1)
	s_mov_b32 s57, exec_lo
	v_cmpx_lt_u32_e64 v110, v137
	s_cbranch_execnz .LBB626_275
.LBB626_209:                            ;   in Loop: Header=BB626_104 Depth=2
	s_or_b32 exec_lo, exec_lo, s57
	s_delay_alu instid0(SALU_CYCLE_1)
	s_mov_b32 s57, exec_lo
	v_cmpx_lt_u32_e64 v111, v137
	s_cbranch_execnz .LBB626_276
.LBB626_210:                            ;   in Loop: Header=BB626_104 Depth=2
	s_or_b32 exec_lo, exec_lo, s57
	s_delay_alu instid0(SALU_CYCLE_1)
	s_mov_b32 s57, exec_lo
	v_cmpx_lt_u32_e64 v112, v137
	s_cbranch_execnz .LBB626_277
.LBB626_211:                            ;   in Loop: Header=BB626_104 Depth=2
	s_or_b32 exec_lo, exec_lo, s57
	s_delay_alu instid0(SALU_CYCLE_1)
	s_mov_b32 s57, exec_lo
	v_cmpx_lt_u32_e64 v113, v137
	s_cbranch_execnz .LBB626_278
.LBB626_212:                            ;   in Loop: Header=BB626_104 Depth=2
	s_or_b32 exec_lo, exec_lo, s57
	s_delay_alu instid0(SALU_CYCLE_1)
	s_mov_b32 s57, exec_lo
	v_cmpx_lt_u32_e64 v114, v137
	s_cbranch_execnz .LBB626_279
.LBB626_213:                            ;   in Loop: Header=BB626_104 Depth=2
	s_or_b32 exec_lo, exec_lo, s57
	s_delay_alu instid0(SALU_CYCLE_1)
	s_mov_b32 s57, exec_lo
	v_cmpx_lt_u32_e64 v115, v137
	s_cbranch_execnz .LBB626_280
.LBB626_214:                            ;   in Loop: Header=BB626_104 Depth=2
	s_or_b32 exec_lo, exec_lo, s57
	s_delay_alu instid0(SALU_CYCLE_1)
	s_mov_b32 s57, exec_lo
	v_cmpx_lt_u32_e64 v116, v137
	s_cbranch_execnz .LBB626_281
.LBB626_215:                            ;   in Loop: Header=BB626_104 Depth=2
	s_or_b32 exec_lo, exec_lo, s57
	s_and_saveexec_b32 s30, vcc_lo
	s_cbranch_execnz .LBB626_282
.LBB626_216:                            ;   in Loop: Header=BB626_104 Depth=2
	s_or_b32 exec_lo, exec_lo, s30
	s_and_saveexec_b32 s30, s15
	s_cbranch_execnz .LBB626_283
.LBB626_217:                            ;   in Loop: Header=BB626_104 Depth=2
	s_or_b32 exec_lo, exec_lo, s30
	s_and_saveexec_b32 s30, s16
	s_cbranch_execnz .LBB626_284
.LBB626_218:                            ;   in Loop: Header=BB626_104 Depth=2
	s_or_b32 exec_lo, exec_lo, s30
	s_and_saveexec_b32 s30, s17
	s_cbranch_execnz .LBB626_285
.LBB626_219:                            ;   in Loop: Header=BB626_104 Depth=2
	s_or_b32 exec_lo, exec_lo, s30
	s_and_saveexec_b32 s30, s18
	s_cbranch_execnz .LBB626_286
.LBB626_220:                            ;   in Loop: Header=BB626_104 Depth=2
	s_or_b32 exec_lo, exec_lo, s30
	s_and_saveexec_b32 s30, s19
	s_cbranch_execnz .LBB626_287
.LBB626_221:                            ;   in Loop: Header=BB626_104 Depth=2
	s_or_b32 exec_lo, exec_lo, s30
	s_and_saveexec_b32 s30, s20
	s_cbranch_execnz .LBB626_288
.LBB626_222:                            ;   in Loop: Header=BB626_104 Depth=2
	s_or_b32 exec_lo, exec_lo, s30
	s_and_saveexec_b32 s30, s21
	s_cbranch_execnz .LBB626_289
.LBB626_223:                            ;   in Loop: Header=BB626_104 Depth=2
	s_or_b32 exec_lo, exec_lo, s30
	s_and_saveexec_b32 s30, s22
	s_cbranch_execnz .LBB626_290
.LBB626_224:                            ;   in Loop: Header=BB626_104 Depth=2
	s_or_b32 exec_lo, exec_lo, s30
	s_and_saveexec_b32 s30, s23
	s_cbranch_execnz .LBB626_291
.LBB626_225:                            ;   in Loop: Header=BB626_104 Depth=2
	s_or_b32 exec_lo, exec_lo, s30
	s_and_saveexec_b32 s30, s24
	s_cbranch_execnz .LBB626_292
.LBB626_226:                            ;   in Loop: Header=BB626_104 Depth=2
	s_or_b32 exec_lo, exec_lo, s30
	s_and_saveexec_b32 s30, s25
	s_cbranch_execnz .LBB626_293
.LBB626_227:                            ;   in Loop: Header=BB626_104 Depth=2
	s_or_b32 exec_lo, exec_lo, s30
	s_and_saveexec_b32 s30, s26
	s_cbranch_execnz .LBB626_294
.LBB626_228:                            ;   in Loop: Header=BB626_104 Depth=2
	s_or_b32 exec_lo, exec_lo, s30
	s_and_saveexec_b32 s30, s27
	s_cbranch_execnz .LBB626_295
.LBB626_229:                            ;   in Loop: Header=BB626_104 Depth=2
	s_or_b32 exec_lo, exec_lo, s30
	s_and_saveexec_b32 s30, s28
	s_cbranch_execnz .LBB626_296
.LBB626_230:                            ;   in Loop: Header=BB626_104 Depth=2
	s_or_b32 exec_lo, exec_lo, s30
	s_and_saveexec_b32 s30, s29
	s_cbranch_execz .LBB626_232
.LBB626_231:                            ;   in Loop: Header=BB626_104 Depth=2
	ds_load_b32 v62, v93 offset:16384
	s_wait_dscnt 0x0
	v_lshrrev_b32_e32 v62, s43, v62
	s_delay_alu instid0(VALU_DEP_1)
	v_and_b32_e32 v121, s48, v62
.LBB626_232:                            ;   in Loop: Header=BB626_104 Depth=2
	s_or_b32 exec_lo, exec_lo, s30
	v_dual_lshlrev_b32 v62, 3, v162 :: v_dual_lshlrev_b32 v138, 3, v149
	s_wait_loadcnt 0x0
	s_wait_storecnt 0x0
	s_barrier_signal -1
	s_barrier_wait -1
	ds_store_b64 v62, v[60:61] offset:1024
	v_dual_lshlrev_b32 v62, 3, v158 :: v_dual_lshlrev_b32 v139, 3, v148
	v_lshlrev_b32_e32 v63, 3, v154
	v_lshlrev_b32_e32 v137, 3, v150
	ds_store_b64 v62, v[58:59] offset:1024
	ds_store_b64 v63, v[56:57] offset:1024
	;; [unrolled: 1-line block ×5, first 2 shown]
	v_dual_lshlrev_b32 v62, 3, v146 :: v_dual_lshlrev_b32 v139, 3, v141
	v_dual_lshlrev_b32 v63, 3, v145 :: v_dual_lshlrev_b32 v137, 3, v144
	v_lshlrev_b32_e32 v138, 3, v142
	ds_store_b64 v62, v[48:49] offset:1024
	ds_store_b64 v63, v[46:47] offset:1024
	;; [unrolled: 1-line block ×5, first 2 shown]
	v_lshlrev_b32_e32 v62, 3, v65
	v_dual_lshlrev_b32 v63, 3, v69 :: v_dual_lshlrev_b32 v65, 3, v68
	v_dual_lshlrev_b32 v67, 3, v67 :: v_dual_lshlrev_b32 v66, 3, v66
	ds_store_b64 v62, v[38:39] offset:1024
	ds_store_b64 v63, v[36:37] offset:1024
	;; [unrolled: 1-line block ×5, first 2 shown]
	s_wait_dscnt 0x0
	s_barrier_signal -1
	s_barrier_wait -1
	s_and_saveexec_b32 s30, vcc_lo
	s_cbranch_execnz .LBB626_297
; %bb.233:                              ;   in Loop: Header=BB626_104 Depth=2
	s_or_b32 exec_lo, exec_lo, s30
	s_and_saveexec_b32 s30, s15
	s_cbranch_execnz .LBB626_298
.LBB626_234:                            ;   in Loop: Header=BB626_104 Depth=2
	s_or_b32 exec_lo, exec_lo, s30
	s_and_saveexec_b32 s15, s16
	s_cbranch_execnz .LBB626_299
.LBB626_235:                            ;   in Loop: Header=BB626_104 Depth=2
	s_or_b32 exec_lo, exec_lo, s15
	s_and_saveexec_b32 s15, s17
	s_cbranch_execnz .LBB626_300
.LBB626_236:                            ;   in Loop: Header=BB626_104 Depth=2
	s_or_b32 exec_lo, exec_lo, s15
	s_and_saveexec_b32 s15, s18
	s_cbranch_execnz .LBB626_301
.LBB626_237:                            ;   in Loop: Header=BB626_104 Depth=2
	s_or_b32 exec_lo, exec_lo, s15
	s_and_saveexec_b32 s15, s19
	s_cbranch_execnz .LBB626_302
.LBB626_238:                            ;   in Loop: Header=BB626_104 Depth=2
	s_or_b32 exec_lo, exec_lo, s15
	s_and_saveexec_b32 s15, s20
	s_cbranch_execnz .LBB626_303
.LBB626_239:                            ;   in Loop: Header=BB626_104 Depth=2
	s_or_b32 exec_lo, exec_lo, s15
	s_and_saveexec_b32 s15, s21
	s_cbranch_execnz .LBB626_304
.LBB626_240:                            ;   in Loop: Header=BB626_104 Depth=2
	s_or_b32 exec_lo, exec_lo, s15
	s_and_saveexec_b32 s15, s22
	s_cbranch_execnz .LBB626_305
.LBB626_241:                            ;   in Loop: Header=BB626_104 Depth=2
	s_or_b32 exec_lo, exec_lo, s15
	s_and_saveexec_b32 s15, s23
	s_cbranch_execnz .LBB626_306
.LBB626_242:                            ;   in Loop: Header=BB626_104 Depth=2
	s_or_b32 exec_lo, exec_lo, s15
	s_and_saveexec_b32 s15, s24
	s_cbranch_execnz .LBB626_307
.LBB626_243:                            ;   in Loop: Header=BB626_104 Depth=2
	s_or_b32 exec_lo, exec_lo, s15
	s_and_saveexec_b32 s15, s25
	s_cbranch_execnz .LBB626_308
.LBB626_244:                            ;   in Loop: Header=BB626_104 Depth=2
	s_or_b32 exec_lo, exec_lo, s15
	s_and_saveexec_b32 s15, s26
	s_cbranch_execnz .LBB626_309
.LBB626_245:                            ;   in Loop: Header=BB626_104 Depth=2
	s_or_b32 exec_lo, exec_lo, s15
	s_and_saveexec_b32 s15, s27
	s_cbranch_execnz .LBB626_310
.LBB626_246:                            ;   in Loop: Header=BB626_104 Depth=2
	s_or_b32 exec_lo, exec_lo, s15
	s_and_saveexec_b32 s15, s28
	s_cbranch_execnz .LBB626_311
.LBB626_247:                            ;   in Loop: Header=BB626_104 Depth=2
	s_or_b32 exec_lo, exec_lo, s15
	s_and_saveexec_b32 s15, s29
	s_cbranch_execz .LBB626_249
.LBB626_248:                            ;   in Loop: Header=BB626_104 Depth=2
	v_dual_lshlrev_b32 v62, 2, v121 :: v_dual_add_nc_u32 v63, v93, v4
	ds_load_b32 v65, v62
	ds_load_b64 v[62:63], v63 offset:31744
	s_wait_dscnt 0x1
	v_add_nc_u32_e32 v65, v65, v83
	s_wait_dscnt 0x0
	global_store_b64 v65, v[62:63], s[44:45] scale_offset
.LBB626_249:                            ;   in Loop: Header=BB626_104 Depth=2
	s_wait_xcnt 0x0
	s_or_b32 exec_lo, exec_lo, s15
	s_wait_storecnt 0x0
	s_barrier_signal -1
	s_barrier_wait -1
	s_and_saveexec_b32 s15, s0
	s_cbranch_execz .LBB626_103
; %bb.250:                              ;   in Loop: Header=BB626_104 Depth=2
	ds_load_b32 v62, v4
	s_wait_dscnt 0x0
	v_add_nc_u32_e32 v62, v62, v64
	ds_store_b32 v4, v62
	s_branch .LBB626_103
.LBB626_251:                            ;   in Loop: Header=BB626_104 Depth=2
	ds_load_b32 v62, v93 offset:1024
	s_wait_dscnt 0x0
	v_lshrrev_b32_e32 v63, s43, v62
	v_xor_b32_e32 v62, 0x80000000, v62
	s_delay_alu instid0(VALU_DEP_2) | instskip(NEXT) | instid1(VALU_DEP_1)
	v_and_b32_e32 v63, s48, v63
	v_lshlrev_b32_e32 v63, 2, v63
	ds_load_b32 v63, v63
	s_wait_dscnt 0x0
	v_add_nc_u32_e32 v63, v63, v2
	global_store_b32 v63, v62, s[38:39] scale_offset
	s_wait_xcnt 0x0
	s_or_b32 exec_lo, exec_lo, s15
	v_cmp_lt_u32_e64 s15, v3, v137
	s_and_saveexec_b32 s16, s15
	s_cbranch_execz .LBB626_184
.LBB626_252:                            ;   in Loop: Header=BB626_104 Depth=2
	ds_load_b32 v62, v93 offset:2048
	s_wait_dscnt 0x0
	v_lshrrev_b32_e32 v63, s43, v62
	v_xor_b32_e32 v62, 0x80000000, v62
	s_delay_alu instid0(VALU_DEP_2) | instskip(NEXT) | instid1(VALU_DEP_1)
	v_and_b32_e32 v63, s48, v63
	v_lshlrev_b32_e32 v63, 2, v63
	ds_load_b32 v63, v63
	s_wait_dscnt 0x0
	v_add_nc_u32_e32 v63, v63, v3
	global_store_b32 v63, v62, s[38:39] scale_offset
	s_wait_xcnt 0x0
	s_or_b32 exec_lo, exec_lo, s16
	v_cmp_lt_u32_e64 s16, v70, v137
	s_and_saveexec_b32 s17, s16
	s_cbranch_execz .LBB626_185
.LBB626_253:                            ;   in Loop: Header=BB626_104 Depth=2
	ds_load_b32 v62, v93 offset:3072
	s_wait_dscnt 0x0
	v_lshrrev_b32_e32 v63, s43, v62
	v_xor_b32_e32 v62, 0x80000000, v62
	s_delay_alu instid0(VALU_DEP_2) | instskip(NEXT) | instid1(VALU_DEP_1)
	v_and_b32_e32 v63, s48, v63
	v_lshlrev_b32_e32 v63, 2, v63
	ds_load_b32 v63, v63
	s_wait_dscnt 0x0
	v_add_nc_u32_e32 v63, v63, v70
	global_store_b32 v63, v62, s[38:39] scale_offset
	s_wait_xcnt 0x0
	s_or_b32 exec_lo, exec_lo, s17
	v_cmp_lt_u32_e64 s17, v71, v137
	s_and_saveexec_b32 s18, s17
	s_cbranch_execz .LBB626_186
.LBB626_254:                            ;   in Loop: Header=BB626_104 Depth=2
	ds_load_b32 v62, v93 offset:4096
	s_wait_dscnt 0x0
	v_lshrrev_b32_e32 v63, s43, v62
	v_xor_b32_e32 v62, 0x80000000, v62
	s_delay_alu instid0(VALU_DEP_2) | instskip(NEXT) | instid1(VALU_DEP_1)
	v_and_b32_e32 v63, s48, v63
	v_lshlrev_b32_e32 v63, 2, v63
	ds_load_b32 v63, v63
	s_wait_dscnt 0x0
	v_add_nc_u32_e32 v63, v63, v71
	global_store_b32 v63, v62, s[38:39] scale_offset
	s_wait_xcnt 0x0
	s_or_b32 exec_lo, exec_lo, s18
	v_cmp_lt_u32_e64 s18, v72, v137
	s_and_saveexec_b32 s19, s18
	s_cbranch_execz .LBB626_187
.LBB626_255:                            ;   in Loop: Header=BB626_104 Depth=2
	ds_load_b32 v62, v93 offset:5120
	s_wait_dscnt 0x0
	v_lshrrev_b32_e32 v63, s43, v62
	v_xor_b32_e32 v62, 0x80000000, v62
	s_delay_alu instid0(VALU_DEP_2) | instskip(NEXT) | instid1(VALU_DEP_1)
	v_and_b32_e32 v63, s48, v63
	v_lshlrev_b32_e32 v63, 2, v63
	ds_load_b32 v63, v63
	s_wait_dscnt 0x0
	v_add_nc_u32_e32 v63, v63, v72
	global_store_b32 v63, v62, s[38:39] scale_offset
	s_wait_xcnt 0x0
	s_or_b32 exec_lo, exec_lo, s19
	v_cmp_lt_u32_e64 s19, v73, v137
	s_and_saveexec_b32 s20, s19
	s_cbranch_execz .LBB626_188
.LBB626_256:                            ;   in Loop: Header=BB626_104 Depth=2
	ds_load_b32 v62, v93 offset:6144
	s_wait_dscnt 0x0
	v_lshrrev_b32_e32 v63, s43, v62
	v_xor_b32_e32 v62, 0x80000000, v62
	s_delay_alu instid0(VALU_DEP_2) | instskip(NEXT) | instid1(VALU_DEP_1)
	v_and_b32_e32 v63, s48, v63
	v_lshlrev_b32_e32 v63, 2, v63
	ds_load_b32 v63, v63
	s_wait_dscnt 0x0
	v_add_nc_u32_e32 v63, v63, v73
	global_store_b32 v63, v62, s[38:39] scale_offset
	s_wait_xcnt 0x0
	s_or_b32 exec_lo, exec_lo, s20
	v_cmp_lt_u32_e64 s20, v74, v137
	s_and_saveexec_b32 s21, s20
	s_cbranch_execz .LBB626_189
.LBB626_257:                            ;   in Loop: Header=BB626_104 Depth=2
	ds_load_b32 v62, v93 offset:7168
	s_wait_dscnt 0x0
	v_lshrrev_b32_e32 v63, s43, v62
	v_xor_b32_e32 v62, 0x80000000, v62
	s_delay_alu instid0(VALU_DEP_2) | instskip(NEXT) | instid1(VALU_DEP_1)
	v_and_b32_e32 v63, s48, v63
	v_lshlrev_b32_e32 v63, 2, v63
	ds_load_b32 v63, v63
	s_wait_dscnt 0x0
	v_add_nc_u32_e32 v63, v63, v74
	global_store_b32 v63, v62, s[38:39] scale_offset
	s_wait_xcnt 0x0
	s_or_b32 exec_lo, exec_lo, s21
	v_cmp_lt_u32_e64 s21, v75, v137
	s_and_saveexec_b32 s22, s21
	s_cbranch_execz .LBB626_190
.LBB626_258:                            ;   in Loop: Header=BB626_104 Depth=2
	ds_load_b32 v62, v93 offset:8192
	s_wait_dscnt 0x0
	v_lshrrev_b32_e32 v63, s43, v62
	v_xor_b32_e32 v62, 0x80000000, v62
	s_delay_alu instid0(VALU_DEP_2) | instskip(NEXT) | instid1(VALU_DEP_1)
	v_and_b32_e32 v63, s48, v63
	v_lshlrev_b32_e32 v63, 2, v63
	ds_load_b32 v63, v63
	s_wait_dscnt 0x0
	v_add_nc_u32_e32 v63, v63, v75
	global_store_b32 v63, v62, s[38:39] scale_offset
	s_wait_xcnt 0x0
	s_or_b32 exec_lo, exec_lo, s22
	v_cmp_lt_u32_e64 s22, v76, v137
	s_and_saveexec_b32 s23, s22
	s_cbranch_execz .LBB626_191
.LBB626_259:                            ;   in Loop: Header=BB626_104 Depth=2
	ds_load_b32 v62, v93 offset:9216
	s_wait_dscnt 0x0
	v_lshrrev_b32_e32 v63, s43, v62
	v_xor_b32_e32 v62, 0x80000000, v62
	s_delay_alu instid0(VALU_DEP_2) | instskip(NEXT) | instid1(VALU_DEP_1)
	v_and_b32_e32 v63, s48, v63
	v_lshlrev_b32_e32 v63, 2, v63
	ds_load_b32 v63, v63
	s_wait_dscnt 0x0
	v_add_nc_u32_e32 v63, v63, v76
	global_store_b32 v63, v62, s[38:39] scale_offset
	s_wait_xcnt 0x0
	s_or_b32 exec_lo, exec_lo, s23
	v_cmp_lt_u32_e64 s23, v77, v137
	s_and_saveexec_b32 s24, s23
	s_cbranch_execz .LBB626_192
.LBB626_260:                            ;   in Loop: Header=BB626_104 Depth=2
	ds_load_b32 v62, v93 offset:10240
	s_wait_dscnt 0x0
	v_lshrrev_b32_e32 v63, s43, v62
	v_xor_b32_e32 v62, 0x80000000, v62
	s_delay_alu instid0(VALU_DEP_2) | instskip(NEXT) | instid1(VALU_DEP_1)
	v_and_b32_e32 v63, s48, v63
	v_lshlrev_b32_e32 v63, 2, v63
	ds_load_b32 v63, v63
	s_wait_dscnt 0x0
	v_add_nc_u32_e32 v63, v63, v77
	global_store_b32 v63, v62, s[38:39] scale_offset
	s_wait_xcnt 0x0
	s_or_b32 exec_lo, exec_lo, s24
	v_cmp_lt_u32_e64 s24, v78, v137
	s_and_saveexec_b32 s25, s24
	s_cbranch_execz .LBB626_193
.LBB626_261:                            ;   in Loop: Header=BB626_104 Depth=2
	ds_load_b32 v62, v93 offset:11264
	s_wait_dscnt 0x0
	v_lshrrev_b32_e32 v63, s43, v62
	v_xor_b32_e32 v62, 0x80000000, v62
	s_delay_alu instid0(VALU_DEP_2) | instskip(NEXT) | instid1(VALU_DEP_1)
	v_and_b32_e32 v63, s48, v63
	v_lshlrev_b32_e32 v63, 2, v63
	ds_load_b32 v63, v63
	s_wait_dscnt 0x0
	v_add_nc_u32_e32 v63, v63, v78
	global_store_b32 v63, v62, s[38:39] scale_offset
	s_wait_xcnt 0x0
	s_or_b32 exec_lo, exec_lo, s25
	v_cmp_lt_u32_e64 s25, v79, v137
	s_and_saveexec_b32 s26, s25
	s_cbranch_execz .LBB626_194
.LBB626_262:                            ;   in Loop: Header=BB626_104 Depth=2
	ds_load_b32 v62, v93 offset:12288
	s_wait_dscnt 0x0
	v_lshrrev_b32_e32 v63, s43, v62
	v_xor_b32_e32 v62, 0x80000000, v62
	s_delay_alu instid0(VALU_DEP_2) | instskip(NEXT) | instid1(VALU_DEP_1)
	v_and_b32_e32 v63, s48, v63
	v_lshlrev_b32_e32 v63, 2, v63
	ds_load_b32 v63, v63
	s_wait_dscnt 0x0
	v_add_nc_u32_e32 v63, v63, v79
	global_store_b32 v63, v62, s[38:39] scale_offset
	s_wait_xcnt 0x0
	s_or_b32 exec_lo, exec_lo, s26
	v_cmp_lt_u32_e64 s26, v80, v137
	s_and_saveexec_b32 s27, s26
	s_cbranch_execz .LBB626_195
.LBB626_263:                            ;   in Loop: Header=BB626_104 Depth=2
	ds_load_b32 v62, v93 offset:13312
	s_wait_dscnt 0x0
	v_lshrrev_b32_e32 v63, s43, v62
	v_xor_b32_e32 v62, 0x80000000, v62
	s_delay_alu instid0(VALU_DEP_2) | instskip(NEXT) | instid1(VALU_DEP_1)
	v_and_b32_e32 v63, s48, v63
	v_lshlrev_b32_e32 v63, 2, v63
	ds_load_b32 v63, v63
	s_wait_dscnt 0x0
	v_add_nc_u32_e32 v63, v63, v80
	global_store_b32 v63, v62, s[38:39] scale_offset
	s_wait_xcnt 0x0
	s_or_b32 exec_lo, exec_lo, s27
	v_cmp_lt_u32_e64 s27, v81, v137
	s_and_saveexec_b32 s28, s27
	s_cbranch_execz .LBB626_196
.LBB626_264:                            ;   in Loop: Header=BB626_104 Depth=2
	ds_load_b32 v62, v93 offset:14336
	s_wait_dscnt 0x0
	v_lshrrev_b32_e32 v63, s43, v62
	v_xor_b32_e32 v62, 0x80000000, v62
	s_delay_alu instid0(VALU_DEP_2) | instskip(NEXT) | instid1(VALU_DEP_1)
	v_and_b32_e32 v63, s48, v63
	v_lshlrev_b32_e32 v63, 2, v63
	ds_load_b32 v63, v63
	s_wait_dscnt 0x0
	v_add_nc_u32_e32 v63, v63, v81
	global_store_b32 v63, v62, s[38:39] scale_offset
	s_wait_xcnt 0x0
	s_or_b32 exec_lo, exec_lo, s28
	v_cmp_lt_u32_e64 s28, v82, v137
	s_and_saveexec_b32 s29, s28
	s_cbranch_execz .LBB626_197
.LBB626_265:                            ;   in Loop: Header=BB626_104 Depth=2
	ds_load_b32 v62, v93 offset:15360
	s_wait_dscnt 0x0
	v_lshrrev_b32_e32 v63, s43, v62
	v_xor_b32_e32 v62, 0x80000000, v62
	s_delay_alu instid0(VALU_DEP_2) | instskip(NEXT) | instid1(VALU_DEP_1)
	v_and_b32_e32 v63, s48, v63
	v_lshlrev_b32_e32 v63, 2, v63
	ds_load_b32 v63, v63
	s_wait_dscnt 0x0
	v_add_nc_u32_e32 v63, v63, v82
	global_store_b32 v63, v62, s[38:39] scale_offset
	s_wait_xcnt 0x0
	s_or_b32 exec_lo, exec_lo, s29
	v_cmp_lt_u32_e64 s29, v83, v137
	s_and_saveexec_b32 s57, s29
	s_cbranch_execnz .LBB626_198
	s_branch .LBB626_199
.LBB626_266:                            ;   in Loop: Header=BB626_104 Depth=2
	global_load_b64 v[60:61], v[62:63], off
	s_wait_xcnt 0x0
	s_or_b32 exec_lo, exec_lo, s30
	s_delay_alu instid0(SALU_CYCLE_1)
	s_mov_b32 s57, exec_lo
	v_cmpx_lt_u32_e64 v102, v137
	s_cbranch_execz .LBB626_201
.LBB626_267:                            ;   in Loop: Header=BB626_104 Depth=2
	global_load_b64 v[58:59], v[62:63], off offset:256
	s_wait_xcnt 0x0
	s_or_b32 exec_lo, exec_lo, s57
	s_delay_alu instid0(SALU_CYCLE_1)
	s_mov_b32 s57, exec_lo
	v_cmpx_lt_u32_e64 v103, v137
	s_cbranch_execz .LBB626_202
.LBB626_268:                            ;   in Loop: Header=BB626_104 Depth=2
	global_load_b64 v[56:57], v[62:63], off offset:512
	s_wait_xcnt 0x0
	s_or_b32 exec_lo, exec_lo, s57
	s_delay_alu instid0(SALU_CYCLE_1)
	s_mov_b32 s57, exec_lo
	v_cmpx_lt_u32_e64 v104, v137
	s_cbranch_execz .LBB626_203
.LBB626_269:                            ;   in Loop: Header=BB626_104 Depth=2
	global_load_b64 v[54:55], v[62:63], off offset:768
	s_wait_xcnt 0x0
	s_or_b32 exec_lo, exec_lo, s57
	s_delay_alu instid0(SALU_CYCLE_1)
	s_mov_b32 s57, exec_lo
	v_cmpx_lt_u32_e64 v105, v137
	s_cbranch_execz .LBB626_204
.LBB626_270:                            ;   in Loop: Header=BB626_104 Depth=2
	global_load_b64 v[52:53], v[62:63], off offset:1024
	s_wait_xcnt 0x0
	s_or_b32 exec_lo, exec_lo, s57
	s_delay_alu instid0(SALU_CYCLE_1)
	s_mov_b32 s57, exec_lo
	v_cmpx_lt_u32_e64 v106, v137
	s_cbranch_execz .LBB626_205
.LBB626_271:                            ;   in Loop: Header=BB626_104 Depth=2
	global_load_b64 v[50:51], v[62:63], off offset:1280
	s_wait_xcnt 0x0
	s_or_b32 exec_lo, exec_lo, s57
	s_delay_alu instid0(SALU_CYCLE_1)
	s_mov_b32 s57, exec_lo
	v_cmpx_lt_u32_e64 v107, v137
	s_cbranch_execz .LBB626_206
.LBB626_272:                            ;   in Loop: Header=BB626_104 Depth=2
	global_load_b64 v[48:49], v[62:63], off offset:1536
	s_wait_xcnt 0x0
	s_or_b32 exec_lo, exec_lo, s57
	s_delay_alu instid0(SALU_CYCLE_1)
	s_mov_b32 s57, exec_lo
	v_cmpx_lt_u32_e64 v108, v137
	s_cbranch_execz .LBB626_207
.LBB626_273:                            ;   in Loop: Header=BB626_104 Depth=2
	global_load_b64 v[46:47], v[62:63], off offset:1792
	s_wait_xcnt 0x0
	s_or_b32 exec_lo, exec_lo, s57
	s_delay_alu instid0(SALU_CYCLE_1)
	s_mov_b32 s57, exec_lo
	v_cmpx_lt_u32_e64 v109, v137
	s_cbranch_execz .LBB626_208
.LBB626_274:                            ;   in Loop: Header=BB626_104 Depth=2
	global_load_b64 v[44:45], v[62:63], off offset:2048
	s_wait_xcnt 0x0
	s_or_b32 exec_lo, exec_lo, s57
	s_delay_alu instid0(SALU_CYCLE_1)
	s_mov_b32 s57, exec_lo
	v_cmpx_lt_u32_e64 v110, v137
	s_cbranch_execz .LBB626_209
.LBB626_275:                            ;   in Loop: Header=BB626_104 Depth=2
	global_load_b64 v[42:43], v[62:63], off offset:2304
	s_wait_xcnt 0x0
	s_or_b32 exec_lo, exec_lo, s57
	s_delay_alu instid0(SALU_CYCLE_1)
	s_mov_b32 s57, exec_lo
	v_cmpx_lt_u32_e64 v111, v137
	s_cbranch_execz .LBB626_210
.LBB626_276:                            ;   in Loop: Header=BB626_104 Depth=2
	global_load_b64 v[40:41], v[62:63], off offset:2560
	s_wait_xcnt 0x0
	s_or_b32 exec_lo, exec_lo, s57
	s_delay_alu instid0(SALU_CYCLE_1)
	s_mov_b32 s57, exec_lo
	v_cmpx_lt_u32_e64 v112, v137
	s_cbranch_execz .LBB626_211
.LBB626_277:                            ;   in Loop: Header=BB626_104 Depth=2
	global_load_b64 v[38:39], v[62:63], off offset:2816
	s_wait_xcnt 0x0
	s_or_b32 exec_lo, exec_lo, s57
	s_delay_alu instid0(SALU_CYCLE_1)
	s_mov_b32 s57, exec_lo
	v_cmpx_lt_u32_e64 v113, v137
	s_cbranch_execz .LBB626_212
.LBB626_278:                            ;   in Loop: Header=BB626_104 Depth=2
	global_load_b64 v[36:37], v[62:63], off offset:3072
	s_wait_xcnt 0x0
	s_or_b32 exec_lo, exec_lo, s57
	s_delay_alu instid0(SALU_CYCLE_1)
	s_mov_b32 s57, exec_lo
	v_cmpx_lt_u32_e64 v114, v137
	s_cbranch_execz .LBB626_213
.LBB626_279:                            ;   in Loop: Header=BB626_104 Depth=2
	global_load_b64 v[34:35], v[62:63], off offset:3328
	s_wait_xcnt 0x0
	s_or_b32 exec_lo, exec_lo, s57
	s_delay_alu instid0(SALU_CYCLE_1)
	s_mov_b32 s57, exec_lo
	v_cmpx_lt_u32_e64 v115, v137
	s_cbranch_execz .LBB626_214
.LBB626_280:                            ;   in Loop: Header=BB626_104 Depth=2
	global_load_b64 v[32:33], v[62:63], off offset:3584
	s_wait_xcnt 0x0
	s_or_b32 exec_lo, exec_lo, s57
	s_delay_alu instid0(SALU_CYCLE_1)
	s_mov_b32 s57, exec_lo
	v_cmpx_lt_u32_e64 v116, v137
	s_cbranch_execz .LBB626_215
.LBB626_281:                            ;   in Loop: Header=BB626_104 Depth=2
	global_load_b64 v[30:31], v[62:63], off offset:3840
	s_wait_xcnt 0x0
	s_or_b32 exec_lo, exec_lo, s57
	s_and_saveexec_b32 s30, vcc_lo
	s_cbranch_execz .LBB626_216
.LBB626_282:                            ;   in Loop: Header=BB626_104 Depth=2
	ds_load_b32 v62, v93 offset:1024
	s_wait_dscnt 0x0
	v_lshrrev_b32_e32 v62, s43, v62
	s_delay_alu instid0(VALU_DEP_1)
	v_and_b32_e32 v136, s48, v62
	s_or_b32 exec_lo, exec_lo, s30
	s_and_saveexec_b32 s30, s15
	s_cbranch_execz .LBB626_217
.LBB626_283:                            ;   in Loop: Header=BB626_104 Depth=2
	ds_load_b32 v62, v93 offset:2048
	s_wait_dscnt 0x0
	v_lshrrev_b32_e32 v62, s43, v62
	s_delay_alu instid0(VALU_DEP_1)
	v_and_b32_e32 v135, s48, v62
	s_or_b32 exec_lo, exec_lo, s30
	s_and_saveexec_b32 s30, s16
	s_cbranch_execz .LBB626_218
.LBB626_284:                            ;   in Loop: Header=BB626_104 Depth=2
	ds_load_b32 v62, v93 offset:3072
	s_wait_dscnt 0x0
	v_lshrrev_b32_e32 v62, s43, v62
	s_delay_alu instid0(VALU_DEP_1)
	v_and_b32_e32 v134, s48, v62
	s_or_b32 exec_lo, exec_lo, s30
	s_and_saveexec_b32 s30, s17
	s_cbranch_execz .LBB626_219
.LBB626_285:                            ;   in Loop: Header=BB626_104 Depth=2
	ds_load_b32 v62, v93 offset:4096
	s_wait_dscnt 0x0
	v_lshrrev_b32_e32 v62, s43, v62
	s_delay_alu instid0(VALU_DEP_1)
	v_and_b32_e32 v133, s48, v62
	s_or_b32 exec_lo, exec_lo, s30
	s_and_saveexec_b32 s30, s18
	s_cbranch_execz .LBB626_220
.LBB626_286:                            ;   in Loop: Header=BB626_104 Depth=2
	ds_load_b32 v62, v93 offset:5120
	s_wait_dscnt 0x0
	v_lshrrev_b32_e32 v62, s43, v62
	s_delay_alu instid0(VALU_DEP_1)
	v_and_b32_e32 v132, s48, v62
	s_or_b32 exec_lo, exec_lo, s30
	s_and_saveexec_b32 s30, s19
	s_cbranch_execz .LBB626_221
.LBB626_287:                            ;   in Loop: Header=BB626_104 Depth=2
	ds_load_b32 v62, v93 offset:6144
	s_wait_dscnt 0x0
	v_lshrrev_b32_e32 v62, s43, v62
	s_delay_alu instid0(VALU_DEP_1)
	v_and_b32_e32 v131, s48, v62
	s_or_b32 exec_lo, exec_lo, s30
	s_and_saveexec_b32 s30, s20
	s_cbranch_execz .LBB626_222
.LBB626_288:                            ;   in Loop: Header=BB626_104 Depth=2
	ds_load_b32 v62, v93 offset:7168
	s_wait_dscnt 0x0
	v_lshrrev_b32_e32 v62, s43, v62
	s_delay_alu instid0(VALU_DEP_1)
	v_and_b32_e32 v130, s48, v62
	s_or_b32 exec_lo, exec_lo, s30
	s_and_saveexec_b32 s30, s21
	s_cbranch_execz .LBB626_223
.LBB626_289:                            ;   in Loop: Header=BB626_104 Depth=2
	ds_load_b32 v62, v93 offset:8192
	s_wait_dscnt 0x0
	v_lshrrev_b32_e32 v62, s43, v62
	s_delay_alu instid0(VALU_DEP_1)
	v_and_b32_e32 v129, s48, v62
	s_or_b32 exec_lo, exec_lo, s30
	s_and_saveexec_b32 s30, s22
	s_cbranch_execz .LBB626_224
.LBB626_290:                            ;   in Loop: Header=BB626_104 Depth=2
	ds_load_b32 v62, v93 offset:9216
	s_wait_dscnt 0x0
	v_lshrrev_b32_e32 v62, s43, v62
	s_delay_alu instid0(VALU_DEP_1)
	v_and_b32_e32 v128, s48, v62
	s_or_b32 exec_lo, exec_lo, s30
	s_and_saveexec_b32 s30, s23
	s_cbranch_execz .LBB626_225
.LBB626_291:                            ;   in Loop: Header=BB626_104 Depth=2
	ds_load_b32 v62, v93 offset:10240
	s_wait_dscnt 0x0
	v_lshrrev_b32_e32 v62, s43, v62
	s_delay_alu instid0(VALU_DEP_1)
	v_and_b32_e32 v127, s48, v62
	s_or_b32 exec_lo, exec_lo, s30
	s_and_saveexec_b32 s30, s24
	s_cbranch_execz .LBB626_226
.LBB626_292:                            ;   in Loop: Header=BB626_104 Depth=2
	ds_load_b32 v62, v93 offset:11264
	s_wait_dscnt 0x0
	v_lshrrev_b32_e32 v62, s43, v62
	s_delay_alu instid0(VALU_DEP_1)
	v_and_b32_e32 v126, s48, v62
	s_or_b32 exec_lo, exec_lo, s30
	s_and_saveexec_b32 s30, s25
	s_cbranch_execz .LBB626_227
.LBB626_293:                            ;   in Loop: Header=BB626_104 Depth=2
	ds_load_b32 v62, v93 offset:12288
	s_wait_dscnt 0x0
	v_lshrrev_b32_e32 v62, s43, v62
	s_delay_alu instid0(VALU_DEP_1)
	v_and_b32_e32 v125, s48, v62
	s_or_b32 exec_lo, exec_lo, s30
	s_and_saveexec_b32 s30, s26
	s_cbranch_execz .LBB626_228
.LBB626_294:                            ;   in Loop: Header=BB626_104 Depth=2
	ds_load_b32 v62, v93 offset:13312
	s_wait_dscnt 0x0
	v_lshrrev_b32_e32 v62, s43, v62
	s_delay_alu instid0(VALU_DEP_1)
	v_and_b32_e32 v124, s48, v62
	s_or_b32 exec_lo, exec_lo, s30
	s_and_saveexec_b32 s30, s27
	s_cbranch_execz .LBB626_229
.LBB626_295:                            ;   in Loop: Header=BB626_104 Depth=2
	ds_load_b32 v62, v93 offset:14336
	s_wait_dscnt 0x0
	v_lshrrev_b32_e32 v62, s43, v62
	s_delay_alu instid0(VALU_DEP_1)
	v_and_b32_e32 v123, s48, v62
	s_or_b32 exec_lo, exec_lo, s30
	s_and_saveexec_b32 s30, s28
	s_cbranch_execz .LBB626_230
.LBB626_296:                            ;   in Loop: Header=BB626_104 Depth=2
	ds_load_b32 v62, v93 offset:15360
	s_wait_dscnt 0x0
	v_lshrrev_b32_e32 v62, s43, v62
	s_delay_alu instid0(VALU_DEP_1)
	v_and_b32_e32 v122, s48, v62
	s_or_b32 exec_lo, exec_lo, s30
	s_and_saveexec_b32 s30, s29
	s_cbranch_execnz .LBB626_231
	s_branch .LBB626_232
.LBB626_297:                            ;   in Loop: Header=BB626_104 Depth=2
	v_lshlrev_b32_e32 v62, 2, v136
	v_add_nc_u32_e32 v63, v93, v4
	ds_load_b32 v65, v62
	ds_load_b64 v[62:63], v63 offset:1024
	s_wait_dscnt 0x1
	v_add_nc_u32_e32 v65, v65, v2
	s_wait_dscnt 0x0
	global_store_b64 v65, v[62:63], s[44:45] scale_offset
	s_wait_xcnt 0x0
	s_or_b32 exec_lo, exec_lo, s30
	s_and_saveexec_b32 s30, s15
	s_cbranch_execz .LBB626_234
.LBB626_298:                            ;   in Loop: Header=BB626_104 Depth=2
	v_dual_lshlrev_b32 v62, 2, v135 :: v_dual_add_nc_u32 v63, v93, v4
	ds_load_b32 v65, v62
	ds_load_b64 v[62:63], v63 offset:3072
	s_wait_dscnt 0x1
	v_add_nc_u32_e32 v65, v65, v3
	s_wait_dscnt 0x0
	global_store_b64 v65, v[62:63], s[44:45] scale_offset
	s_wait_xcnt 0x0
	s_or_b32 exec_lo, exec_lo, s30
	s_and_saveexec_b32 s15, s16
	s_cbranch_execz .LBB626_235
.LBB626_299:                            ;   in Loop: Header=BB626_104 Depth=2
	v_dual_lshlrev_b32 v62, 2, v134 :: v_dual_add_nc_u32 v63, v93, v4
	ds_load_b32 v65, v62
	ds_load_b64 v[62:63], v63 offset:5120
	s_wait_dscnt 0x1
	v_add_nc_u32_e32 v65, v65, v70
	s_wait_dscnt 0x0
	global_store_b64 v65, v[62:63], s[44:45] scale_offset
	s_wait_xcnt 0x0
	s_or_b32 exec_lo, exec_lo, s15
	s_and_saveexec_b32 s15, s17
	s_cbranch_execz .LBB626_236
.LBB626_300:                            ;   in Loop: Header=BB626_104 Depth=2
	v_dual_lshlrev_b32 v62, 2, v133 :: v_dual_add_nc_u32 v63, v93, v4
	ds_load_b32 v65, v62
	ds_load_b64 v[62:63], v63 offset:7168
	s_wait_dscnt 0x1
	v_add_nc_u32_e32 v65, v65, v71
	s_wait_dscnt 0x0
	global_store_b64 v65, v[62:63], s[44:45] scale_offset
	s_wait_xcnt 0x0
	s_or_b32 exec_lo, exec_lo, s15
	s_and_saveexec_b32 s15, s18
	s_cbranch_execz .LBB626_237
.LBB626_301:                            ;   in Loop: Header=BB626_104 Depth=2
	v_lshlrev_b32_e32 v62, 2, v132
	v_add_nc_u32_e32 v63, v93, v4
	ds_load_b32 v65, v62
	ds_load_b64 v[62:63], v63 offset:9216
	s_wait_dscnt 0x1
	v_add_nc_u32_e32 v65, v65, v72
	s_wait_dscnt 0x0
	global_store_b64 v65, v[62:63], s[44:45] scale_offset
	s_wait_xcnt 0x0
	s_or_b32 exec_lo, exec_lo, s15
	s_and_saveexec_b32 s15, s19
	s_cbranch_execz .LBB626_238
.LBB626_302:                            ;   in Loop: Header=BB626_104 Depth=2
	v_dual_lshlrev_b32 v62, 2, v131 :: v_dual_add_nc_u32 v63, v93, v4
	ds_load_b32 v65, v62
	ds_load_b64 v[62:63], v63 offset:11264
	s_wait_dscnt 0x1
	v_add_nc_u32_e32 v65, v65, v73
	s_wait_dscnt 0x0
	global_store_b64 v65, v[62:63], s[44:45] scale_offset
	s_wait_xcnt 0x0
	s_or_b32 exec_lo, exec_lo, s15
	s_and_saveexec_b32 s15, s20
	s_cbranch_execz .LBB626_239
.LBB626_303:                            ;   in Loop: Header=BB626_104 Depth=2
	v_dual_lshlrev_b32 v62, 2, v130 :: v_dual_add_nc_u32 v63, v93, v4
	ds_load_b32 v65, v62
	ds_load_b64 v[62:63], v63 offset:13312
	s_wait_dscnt 0x1
	v_add_nc_u32_e32 v65, v65, v74
	s_wait_dscnt 0x0
	global_store_b64 v65, v[62:63], s[44:45] scale_offset
	s_wait_xcnt 0x0
	s_or_b32 exec_lo, exec_lo, s15
	s_and_saveexec_b32 s15, s21
	s_cbranch_execz .LBB626_240
.LBB626_304:                            ;   in Loop: Header=BB626_104 Depth=2
	v_dual_lshlrev_b32 v62, 2, v129 :: v_dual_add_nc_u32 v63, v93, v4
	ds_load_b32 v65, v62
	ds_load_b64 v[62:63], v63 offset:15360
	s_wait_dscnt 0x1
	v_add_nc_u32_e32 v65, v65, v75
	s_wait_dscnt 0x0
	global_store_b64 v65, v[62:63], s[44:45] scale_offset
	s_wait_xcnt 0x0
	s_or_b32 exec_lo, exec_lo, s15
	s_and_saveexec_b32 s15, s22
	s_cbranch_execz .LBB626_241
.LBB626_305:                            ;   in Loop: Header=BB626_104 Depth=2
	v_lshlrev_b32_e32 v62, 2, v128
	v_add_nc_u32_e32 v63, v93, v4
	ds_load_b32 v65, v62
	ds_load_b64 v[62:63], v63 offset:17408
	s_wait_dscnt 0x1
	v_add_nc_u32_e32 v65, v65, v76
	s_wait_dscnt 0x0
	global_store_b64 v65, v[62:63], s[44:45] scale_offset
	s_wait_xcnt 0x0
	s_or_b32 exec_lo, exec_lo, s15
	s_and_saveexec_b32 s15, s23
	s_cbranch_execz .LBB626_242
.LBB626_306:                            ;   in Loop: Header=BB626_104 Depth=2
	v_dual_lshlrev_b32 v62, 2, v127 :: v_dual_add_nc_u32 v63, v93, v4
	ds_load_b32 v65, v62
	ds_load_b64 v[62:63], v63 offset:19456
	s_wait_dscnt 0x1
	v_add_nc_u32_e32 v65, v65, v77
	s_wait_dscnt 0x0
	global_store_b64 v65, v[62:63], s[44:45] scale_offset
	s_wait_xcnt 0x0
	s_or_b32 exec_lo, exec_lo, s15
	s_and_saveexec_b32 s15, s24
	s_cbranch_execz .LBB626_243
.LBB626_307:                            ;   in Loop: Header=BB626_104 Depth=2
	v_dual_lshlrev_b32 v62, 2, v126 :: v_dual_add_nc_u32 v63, v93, v4
	ds_load_b32 v65, v62
	ds_load_b64 v[62:63], v63 offset:21504
	s_wait_dscnt 0x1
	v_add_nc_u32_e32 v65, v65, v78
	s_wait_dscnt 0x0
	global_store_b64 v65, v[62:63], s[44:45] scale_offset
	s_wait_xcnt 0x0
	s_or_b32 exec_lo, exec_lo, s15
	s_and_saveexec_b32 s15, s25
	s_cbranch_execz .LBB626_244
.LBB626_308:                            ;   in Loop: Header=BB626_104 Depth=2
	v_dual_lshlrev_b32 v62, 2, v125 :: v_dual_add_nc_u32 v63, v93, v4
	ds_load_b32 v65, v62
	ds_load_b64 v[62:63], v63 offset:23552
	s_wait_dscnt 0x1
	v_add_nc_u32_e32 v65, v65, v79
	s_wait_dscnt 0x0
	global_store_b64 v65, v[62:63], s[44:45] scale_offset
	s_wait_xcnt 0x0
	s_or_b32 exec_lo, exec_lo, s15
	s_and_saveexec_b32 s15, s26
	s_cbranch_execz .LBB626_245
.LBB626_309:                            ;   in Loop: Header=BB626_104 Depth=2
	v_lshlrev_b32_e32 v62, 2, v124
	v_add_nc_u32_e32 v63, v93, v4
	ds_load_b32 v65, v62
	ds_load_b64 v[62:63], v63 offset:25600
	s_wait_dscnt 0x1
	v_add_nc_u32_e32 v65, v65, v80
	s_wait_dscnt 0x0
	global_store_b64 v65, v[62:63], s[44:45] scale_offset
	s_wait_xcnt 0x0
	s_or_b32 exec_lo, exec_lo, s15
	s_and_saveexec_b32 s15, s27
	s_cbranch_execz .LBB626_246
.LBB626_310:                            ;   in Loop: Header=BB626_104 Depth=2
	v_dual_lshlrev_b32 v62, 2, v123 :: v_dual_add_nc_u32 v63, v93, v4
	ds_load_b32 v65, v62
	ds_load_b64 v[62:63], v63 offset:27648
	s_wait_dscnt 0x1
	v_add_nc_u32_e32 v65, v65, v81
	s_wait_dscnt 0x0
	global_store_b64 v65, v[62:63], s[44:45] scale_offset
	s_wait_xcnt 0x0
	s_or_b32 exec_lo, exec_lo, s15
	s_and_saveexec_b32 s15, s28
	s_cbranch_execz .LBB626_247
.LBB626_311:                            ;   in Loop: Header=BB626_104 Depth=2
	v_dual_lshlrev_b32 v62, 2, v122 :: v_dual_add_nc_u32 v63, v93, v4
	ds_load_b32 v65, v62
	ds_load_b64 v[62:63], v63 offset:29696
	s_wait_dscnt 0x1
	v_add_nc_u32_e32 v65, v65, v82
	s_wait_dscnt 0x0
	global_store_b64 v65, v[62:63], s[44:45] scale_offset
	s_wait_xcnt 0x0
	s_or_b32 exec_lo, exec_lo, s15
	s_and_saveexec_b32 s15, s29
	s_cbranch_execnz .LBB626_248
	s_branch .LBB626_249
.LBB626_312:                            ;   in Loop: Header=BB626_20 Depth=1
	s_wait_dscnt 0x0
	s_barrier_signal -1
	s_mov_b32 s7, 0
	s_barrier_wait -1
.LBB626_313:                            ;   in Loop: Header=BB626_20 Depth=1
	s_and_b32 vcc_lo, exec_lo, s7
	s_cbranch_vccz .LBB626_605
; %bb.314:                              ;   in Loop: Header=BB626_20 Depth=1
	s_mov_b32 s7, s54
	s_mov_b32 s30, s52
	s_barrier_signal -1
	s_barrier_wait -1
                                        ; implicit-def: $vgpr25
                                        ; implicit-def: $vgpr26
                                        ; implicit-def: $vgpr27
                                        ; implicit-def: $vgpr28
                                        ; implicit-def: $vgpr29
                                        ; implicit-def: $vgpr30
                                        ; implicit-def: $vgpr31
                                        ; implicit-def: $vgpr32
                                        ; implicit-def: $vgpr33
                                        ; implicit-def: $vgpr34
                                        ; implicit-def: $vgpr35
                                        ; implicit-def: $vgpr36
                                        ; implicit-def: $vgpr37
                                        ; implicit-def: $vgpr38
                                        ; implicit-def: $vgpr39
                                        ; implicit-def: $vgpr40
	s_branch .LBB626_316
.LBB626_315:                            ;   in Loop: Header=BB626_316 Depth=2
	s_or_b32 exec_lo, exec_lo, s8
	s_addk_co_i32 s7, 0xf000
	s_cmp_ge_u32 s10, s51
	s_mov_b32 s30, s10
	s_cbranch_scc1 .LBB626_384
.LBB626_316:                            ;   Parent Loop BB626_20 Depth=1
                                        ; =>  This Inner Loop Header: Depth=2
	s_add_co_i32 s10, s30, 0x1000
	s_mov_b32 s8, -1
	s_cmp_gt_u32 s10, s51
                                        ; implicit-def: $vgpr41
                                        ; implicit-def: $vgpr42
                                        ; implicit-def: $vgpr43
                                        ; implicit-def: $vgpr44
                                        ; implicit-def: $vgpr45
                                        ; implicit-def: $vgpr46
                                        ; implicit-def: $vgpr47
                                        ; implicit-def: $vgpr48
                                        ; implicit-def: $vgpr49
                                        ; implicit-def: $vgpr50
                                        ; implicit-def: $vgpr51
                                        ; implicit-def: $vgpr52
                                        ; implicit-def: $vgpr53
                                        ; implicit-def: $vgpr54
                                        ; implicit-def: $vgpr55
                                        ; implicit-def: $vgpr56
	s_cbranch_scc1 .LBB626_318
; %bb.317:                              ;   in Loop: Header=BB626_316 Depth=2
	v_lshl_add_u64 v[56:57], s[30:31], 2, v[20:21]
	s_mov_b32 s8, 0
	s_clause 0xf
	global_load_b32 v41, v[56:57], off
	global_load_b32 v42, v[56:57], off offset:1024
	global_load_b32 v43, v[56:57], off offset:2048
	;; [unrolled: 1-line block ×15, first 2 shown]
.LBB626_318:                            ;   in Loop: Header=BB626_316 Depth=2
	s_and_not1_b32 vcc_lo, exec_lo, s8
	s_movk_i32 s8, 0x1000
	s_cbranch_vccnz .LBB626_337
; %bb.319:                              ;   in Loop: Header=BB626_316 Depth=2
	s_lshl_b64 s[8:9], s[30:31], 2
	s_mov_b32 s11, exec_lo
	s_add_nc_u64 s[8:9], s[38:39], s[8:9]
	s_wait_xcnt 0x0
	v_cmpx_gt_u32_e64 s7, v2
	s_cbranch_execnz .LBB626_369
; %bb.320:                              ;   in Loop: Header=BB626_316 Depth=2
	s_or_b32 exec_lo, exec_lo, s11
	s_delay_alu instid0(SALU_CYCLE_1)
	s_mov_b32 s11, exec_lo
	v_cmpx_gt_u32_e64 s7, v3
	s_cbranch_execnz .LBB626_370
.LBB626_321:                            ;   in Loop: Header=BB626_316 Depth=2
	s_or_b32 exec_lo, exec_lo, s11
	s_delay_alu instid0(SALU_CYCLE_1)
	s_mov_b32 s11, exec_lo
	v_cmpx_gt_u32_e64 s7, v70
	s_cbranch_execnz .LBB626_371
.LBB626_322:                            ;   in Loop: Header=BB626_316 Depth=2
	s_or_b32 exec_lo, exec_lo, s11
	s_delay_alu instid0(SALU_CYCLE_1)
	s_mov_b32 s11, exec_lo
	v_cmpx_gt_u32_e64 s7, v71
	s_cbranch_execnz .LBB626_372
.LBB626_323:                            ;   in Loop: Header=BB626_316 Depth=2
	s_or_b32 exec_lo, exec_lo, s11
	s_delay_alu instid0(SALU_CYCLE_1)
	s_mov_b32 s11, exec_lo
	v_cmpx_gt_u32_e64 s7, v72
	s_cbranch_execnz .LBB626_373
.LBB626_324:                            ;   in Loop: Header=BB626_316 Depth=2
	s_or_b32 exec_lo, exec_lo, s11
	s_delay_alu instid0(SALU_CYCLE_1)
	s_mov_b32 s11, exec_lo
	v_cmpx_gt_u32_e64 s7, v73
	s_cbranch_execnz .LBB626_374
.LBB626_325:                            ;   in Loop: Header=BB626_316 Depth=2
	s_or_b32 exec_lo, exec_lo, s11
	s_delay_alu instid0(SALU_CYCLE_1)
	s_mov_b32 s11, exec_lo
	v_cmpx_gt_u32_e64 s7, v74
	s_cbranch_execnz .LBB626_375
.LBB626_326:                            ;   in Loop: Header=BB626_316 Depth=2
	s_or_b32 exec_lo, exec_lo, s11
	s_delay_alu instid0(SALU_CYCLE_1)
	s_mov_b32 s11, exec_lo
	v_cmpx_gt_u32_e64 s7, v75
	s_cbranch_execnz .LBB626_376
.LBB626_327:                            ;   in Loop: Header=BB626_316 Depth=2
	s_or_b32 exec_lo, exec_lo, s11
	s_delay_alu instid0(SALU_CYCLE_1)
	s_mov_b32 s11, exec_lo
	v_cmpx_gt_u32_e64 s7, v76
	s_cbranch_execnz .LBB626_377
.LBB626_328:                            ;   in Loop: Header=BB626_316 Depth=2
	s_or_b32 exec_lo, exec_lo, s11
	s_delay_alu instid0(SALU_CYCLE_1)
	s_mov_b32 s11, exec_lo
	v_cmpx_gt_u32_e64 s7, v77
	s_cbranch_execnz .LBB626_378
.LBB626_329:                            ;   in Loop: Header=BB626_316 Depth=2
	s_or_b32 exec_lo, exec_lo, s11
	s_delay_alu instid0(SALU_CYCLE_1)
	s_mov_b32 s11, exec_lo
	v_cmpx_gt_u32_e64 s7, v78
	s_cbranch_execnz .LBB626_379
.LBB626_330:                            ;   in Loop: Header=BB626_316 Depth=2
	s_or_b32 exec_lo, exec_lo, s11
	s_delay_alu instid0(SALU_CYCLE_1)
	s_mov_b32 s11, exec_lo
	v_cmpx_gt_u32_e64 s7, v79
	s_cbranch_execnz .LBB626_380
.LBB626_331:                            ;   in Loop: Header=BB626_316 Depth=2
	s_or_b32 exec_lo, exec_lo, s11
	s_delay_alu instid0(SALU_CYCLE_1)
	s_mov_b32 s11, exec_lo
	v_cmpx_gt_u32_e64 s7, v80
	s_cbranch_execnz .LBB626_381
.LBB626_332:                            ;   in Loop: Header=BB626_316 Depth=2
	s_or_b32 exec_lo, exec_lo, s11
	s_delay_alu instid0(SALU_CYCLE_1)
	s_mov_b32 s11, exec_lo
	v_cmpx_gt_u32_e64 s7, v81
	s_cbranch_execnz .LBB626_382
.LBB626_333:                            ;   in Loop: Header=BB626_316 Depth=2
	s_or_b32 exec_lo, exec_lo, s11
	s_delay_alu instid0(SALU_CYCLE_1)
	s_mov_b32 s11, exec_lo
	v_cmpx_gt_u32_e64 s7, v82
	s_cbranch_execnz .LBB626_383
.LBB626_334:                            ;   in Loop: Header=BB626_316 Depth=2
	s_or_b32 exec_lo, exec_lo, s11
	s_delay_alu instid0(SALU_CYCLE_1)
	s_mov_b32 s11, exec_lo
	v_cmpx_gt_u32_e64 s7, v83
	s_cbranch_execz .LBB626_336
.LBB626_335:                            ;   in Loop: Header=BB626_316 Depth=2
	global_load_b32 v25, v2, s[8:9] offset:15360 scale_offset
.LBB626_336:                            ;   in Loop: Header=BB626_316 Depth=2
	s_wait_xcnt 0x0
	s_or_b32 exec_lo, exec_lo, s11
	s_wait_loadcnt 0x0
	v_dual_mov_b32 v41, v40 :: v_dual_mov_b32 v42, v39
	v_dual_mov_b32 v43, v38 :: v_dual_mov_b32 v44, v37
	;; [unrolled: 1-line block ×8, first 2 shown]
	s_mov_b32 s8, s7
.LBB626_337:                            ;   in Loop: Header=BB626_316 Depth=2
	s_wait_loadcnt 0x0
	s_delay_alu instid0(VALU_DEP_1)
	v_dual_mov_b32 v25, v56 :: v_dual_mov_b32 v26, v55
	v_dual_mov_b32 v27, v54 :: v_dual_mov_b32 v28, v53
	;; [unrolled: 1-line block ×8, first 2 shown]
	s_mov_b32 s9, exec_lo
	s_wait_xcnt 0x0
	v_cmpx_gt_u32_e64 s8, v2
	s_cbranch_execnz .LBB626_353
; %bb.338:                              ;   in Loop: Header=BB626_316 Depth=2
	s_or_b32 exec_lo, exec_lo, s9
	s_delay_alu instid0(SALU_CYCLE_1)
	s_mov_b32 s9, exec_lo
	v_cmpx_gt_u32_e64 s8, v3
	s_cbranch_execnz .LBB626_354
.LBB626_339:                            ;   in Loop: Header=BB626_316 Depth=2
	s_or_b32 exec_lo, exec_lo, s9
	s_delay_alu instid0(SALU_CYCLE_1)
	s_mov_b32 s9, exec_lo
	v_cmpx_gt_u32_e64 s8, v70
	s_cbranch_execnz .LBB626_355
.LBB626_340:                            ;   in Loop: Header=BB626_316 Depth=2
	s_or_b32 exec_lo, exec_lo, s9
	s_delay_alu instid0(SALU_CYCLE_1)
	s_mov_b32 s9, exec_lo
	v_cmpx_gt_u32_e64 s8, v71
	s_cbranch_execnz .LBB626_356
.LBB626_341:                            ;   in Loop: Header=BB626_316 Depth=2
	s_or_b32 exec_lo, exec_lo, s9
	s_delay_alu instid0(SALU_CYCLE_1)
	s_mov_b32 s9, exec_lo
	v_cmpx_gt_u32_e64 s8, v72
	s_cbranch_execnz .LBB626_357
.LBB626_342:                            ;   in Loop: Header=BB626_316 Depth=2
	s_or_b32 exec_lo, exec_lo, s9
	s_delay_alu instid0(SALU_CYCLE_1)
	s_mov_b32 s9, exec_lo
	v_cmpx_gt_u32_e64 s8, v73
	s_cbranch_execnz .LBB626_358
.LBB626_343:                            ;   in Loop: Header=BB626_316 Depth=2
	s_or_b32 exec_lo, exec_lo, s9
	s_delay_alu instid0(SALU_CYCLE_1)
	s_mov_b32 s9, exec_lo
	v_cmpx_gt_u32_e64 s8, v74
	s_cbranch_execnz .LBB626_359
.LBB626_344:                            ;   in Loop: Header=BB626_316 Depth=2
	s_or_b32 exec_lo, exec_lo, s9
	s_delay_alu instid0(SALU_CYCLE_1)
	s_mov_b32 s9, exec_lo
	v_cmpx_gt_u32_e64 s8, v75
	s_cbranch_execnz .LBB626_360
.LBB626_345:                            ;   in Loop: Header=BB626_316 Depth=2
	s_or_b32 exec_lo, exec_lo, s9
	s_delay_alu instid0(SALU_CYCLE_1)
	s_mov_b32 s9, exec_lo
	v_cmpx_gt_u32_e64 s8, v76
	s_cbranch_execnz .LBB626_361
.LBB626_346:                            ;   in Loop: Header=BB626_316 Depth=2
	s_or_b32 exec_lo, exec_lo, s9
	s_delay_alu instid0(SALU_CYCLE_1)
	s_mov_b32 s9, exec_lo
	v_cmpx_gt_u32_e64 s8, v77
	s_cbranch_execnz .LBB626_362
.LBB626_347:                            ;   in Loop: Header=BB626_316 Depth=2
	s_or_b32 exec_lo, exec_lo, s9
	s_delay_alu instid0(SALU_CYCLE_1)
	s_mov_b32 s9, exec_lo
	v_cmpx_gt_u32_e64 s8, v78
	s_cbranch_execnz .LBB626_363
.LBB626_348:                            ;   in Loop: Header=BB626_316 Depth=2
	s_or_b32 exec_lo, exec_lo, s9
	s_delay_alu instid0(SALU_CYCLE_1)
	s_mov_b32 s9, exec_lo
	v_cmpx_gt_u32_e64 s8, v79
	s_cbranch_execnz .LBB626_364
.LBB626_349:                            ;   in Loop: Header=BB626_316 Depth=2
	s_or_b32 exec_lo, exec_lo, s9
	s_delay_alu instid0(SALU_CYCLE_1)
	s_mov_b32 s9, exec_lo
	v_cmpx_gt_u32_e64 s8, v80
	s_cbranch_execnz .LBB626_365
.LBB626_350:                            ;   in Loop: Header=BB626_316 Depth=2
	s_or_b32 exec_lo, exec_lo, s9
	s_delay_alu instid0(SALU_CYCLE_1)
	s_mov_b32 s9, exec_lo
	v_cmpx_gt_u32_e64 s8, v81
	s_cbranch_execnz .LBB626_366
.LBB626_351:                            ;   in Loop: Header=BB626_316 Depth=2
	s_or_b32 exec_lo, exec_lo, s9
	s_delay_alu instid0(SALU_CYCLE_1)
	s_mov_b32 s9, exec_lo
	v_cmpx_gt_u32_e64 s8, v82
	s_cbranch_execnz .LBB626_367
.LBB626_352:                            ;   in Loop: Header=BB626_316 Depth=2
	s_or_b32 exec_lo, exec_lo, s9
	v_cmp_gt_u32_e32 vcc_lo, s8, v83
	s_and_saveexec_b32 s8, vcc_lo
	s_cbranch_execz .LBB626_315
	s_branch .LBB626_368
.LBB626_353:                            ;   in Loop: Header=BB626_316 Depth=2
	v_xor_b32_e32 v41, 0x80000000, v40
	s_delay_alu instid0(VALU_DEP_1) | instskip(NEXT) | instid1(VALU_DEP_1)
	v_lshrrev_b32_e32 v41, s43, v41
	v_and_b32_e32 v41, s48, v41
	s_delay_alu instid0(VALU_DEP_1) | instskip(SKIP_2) | instid1(SALU_CYCLE_1)
	v_lshl_or_b32 v41, v41, 4, v84
	ds_add_u32 v41, v95
	s_or_b32 exec_lo, exec_lo, s9
	s_mov_b32 s9, exec_lo
	v_cmpx_gt_u32_e64 s8, v3
	s_cbranch_execz .LBB626_339
.LBB626_354:                            ;   in Loop: Header=BB626_316 Depth=2
	v_xor_b32_e32 v41, 0x80000000, v39
	s_delay_alu instid0(VALU_DEP_1) | instskip(NEXT) | instid1(VALU_DEP_1)
	v_lshrrev_b32_e32 v41, s43, v41
	v_and_b32_e32 v41, s48, v41
	s_delay_alu instid0(VALU_DEP_1) | instskip(SKIP_2) | instid1(SALU_CYCLE_1)
	v_lshl_or_b32 v41, v41, 4, v84
	ds_add_u32 v41, v95
	s_or_b32 exec_lo, exec_lo, s9
	s_mov_b32 s9, exec_lo
	v_cmpx_gt_u32_e64 s8, v70
	s_cbranch_execz .LBB626_340
.LBB626_355:                            ;   in Loop: Header=BB626_316 Depth=2
	v_xor_b32_e32 v41, 0x80000000, v38
	s_delay_alu instid0(VALU_DEP_1) | instskip(NEXT) | instid1(VALU_DEP_1)
	v_lshrrev_b32_e32 v41, s43, v41
	v_and_b32_e32 v41, s48, v41
	s_delay_alu instid0(VALU_DEP_1) | instskip(SKIP_2) | instid1(SALU_CYCLE_1)
	v_lshl_or_b32 v41, v41, 4, v84
	ds_add_u32 v41, v95
	s_or_b32 exec_lo, exec_lo, s9
	s_mov_b32 s9, exec_lo
	v_cmpx_gt_u32_e64 s8, v71
	s_cbranch_execz .LBB626_341
.LBB626_356:                            ;   in Loop: Header=BB626_316 Depth=2
	v_xor_b32_e32 v41, 0x80000000, v37
	s_delay_alu instid0(VALU_DEP_1) | instskip(NEXT) | instid1(VALU_DEP_1)
	v_lshrrev_b32_e32 v41, s43, v41
	v_and_b32_e32 v41, s48, v41
	s_delay_alu instid0(VALU_DEP_1) | instskip(SKIP_2) | instid1(SALU_CYCLE_1)
	v_lshl_or_b32 v41, v41, 4, v84
	ds_add_u32 v41, v95
	s_or_b32 exec_lo, exec_lo, s9
	s_mov_b32 s9, exec_lo
	v_cmpx_gt_u32_e64 s8, v72
	s_cbranch_execz .LBB626_342
.LBB626_357:                            ;   in Loop: Header=BB626_316 Depth=2
	v_xor_b32_e32 v41, 0x80000000, v36
	s_delay_alu instid0(VALU_DEP_1) | instskip(NEXT) | instid1(VALU_DEP_1)
	v_lshrrev_b32_e32 v41, s43, v41
	v_and_b32_e32 v41, s48, v41
	s_delay_alu instid0(VALU_DEP_1) | instskip(SKIP_2) | instid1(SALU_CYCLE_1)
	v_lshl_or_b32 v41, v41, 4, v84
	ds_add_u32 v41, v95
	s_or_b32 exec_lo, exec_lo, s9
	s_mov_b32 s9, exec_lo
	v_cmpx_gt_u32_e64 s8, v73
	s_cbranch_execz .LBB626_343
.LBB626_358:                            ;   in Loop: Header=BB626_316 Depth=2
	v_xor_b32_e32 v41, 0x80000000, v35
	s_delay_alu instid0(VALU_DEP_1) | instskip(NEXT) | instid1(VALU_DEP_1)
	v_lshrrev_b32_e32 v41, s43, v41
	v_and_b32_e32 v41, s48, v41
	s_delay_alu instid0(VALU_DEP_1) | instskip(SKIP_2) | instid1(SALU_CYCLE_1)
	v_lshl_or_b32 v41, v41, 4, v84
	ds_add_u32 v41, v95
	s_or_b32 exec_lo, exec_lo, s9
	s_mov_b32 s9, exec_lo
	v_cmpx_gt_u32_e64 s8, v74
	s_cbranch_execz .LBB626_344
.LBB626_359:                            ;   in Loop: Header=BB626_316 Depth=2
	v_xor_b32_e32 v41, 0x80000000, v34
	s_delay_alu instid0(VALU_DEP_1) | instskip(NEXT) | instid1(VALU_DEP_1)
	v_lshrrev_b32_e32 v41, s43, v41
	v_and_b32_e32 v41, s48, v41
	s_delay_alu instid0(VALU_DEP_1) | instskip(SKIP_2) | instid1(SALU_CYCLE_1)
	v_lshl_or_b32 v41, v41, 4, v84
	ds_add_u32 v41, v95
	s_or_b32 exec_lo, exec_lo, s9
	s_mov_b32 s9, exec_lo
	v_cmpx_gt_u32_e64 s8, v75
	s_cbranch_execz .LBB626_345
.LBB626_360:                            ;   in Loop: Header=BB626_316 Depth=2
	v_xor_b32_e32 v41, 0x80000000, v33
	s_delay_alu instid0(VALU_DEP_1) | instskip(NEXT) | instid1(VALU_DEP_1)
	v_lshrrev_b32_e32 v41, s43, v41
	v_and_b32_e32 v41, s48, v41
	s_delay_alu instid0(VALU_DEP_1) | instskip(SKIP_2) | instid1(SALU_CYCLE_1)
	v_lshl_or_b32 v41, v41, 4, v84
	ds_add_u32 v41, v95
	s_or_b32 exec_lo, exec_lo, s9
	s_mov_b32 s9, exec_lo
	v_cmpx_gt_u32_e64 s8, v76
	s_cbranch_execz .LBB626_346
.LBB626_361:                            ;   in Loop: Header=BB626_316 Depth=2
	v_xor_b32_e32 v41, 0x80000000, v32
	s_delay_alu instid0(VALU_DEP_1) | instskip(NEXT) | instid1(VALU_DEP_1)
	v_lshrrev_b32_e32 v41, s43, v41
	v_and_b32_e32 v41, s48, v41
	s_delay_alu instid0(VALU_DEP_1) | instskip(SKIP_2) | instid1(SALU_CYCLE_1)
	v_lshl_or_b32 v41, v41, 4, v84
	ds_add_u32 v41, v95
	s_or_b32 exec_lo, exec_lo, s9
	s_mov_b32 s9, exec_lo
	v_cmpx_gt_u32_e64 s8, v77
	s_cbranch_execz .LBB626_347
.LBB626_362:                            ;   in Loop: Header=BB626_316 Depth=2
	v_xor_b32_e32 v41, 0x80000000, v31
	s_delay_alu instid0(VALU_DEP_1) | instskip(NEXT) | instid1(VALU_DEP_1)
	v_lshrrev_b32_e32 v41, s43, v41
	v_and_b32_e32 v41, s48, v41
	s_delay_alu instid0(VALU_DEP_1) | instskip(SKIP_2) | instid1(SALU_CYCLE_1)
	v_lshl_or_b32 v41, v41, 4, v84
	ds_add_u32 v41, v95
	s_or_b32 exec_lo, exec_lo, s9
	s_mov_b32 s9, exec_lo
	v_cmpx_gt_u32_e64 s8, v78
	s_cbranch_execz .LBB626_348
.LBB626_363:                            ;   in Loop: Header=BB626_316 Depth=2
	v_xor_b32_e32 v41, 0x80000000, v30
	s_delay_alu instid0(VALU_DEP_1) | instskip(NEXT) | instid1(VALU_DEP_1)
	v_lshrrev_b32_e32 v41, s43, v41
	v_and_b32_e32 v41, s48, v41
	s_delay_alu instid0(VALU_DEP_1) | instskip(SKIP_2) | instid1(SALU_CYCLE_1)
	v_lshl_or_b32 v41, v41, 4, v84
	ds_add_u32 v41, v95
	s_or_b32 exec_lo, exec_lo, s9
	s_mov_b32 s9, exec_lo
	v_cmpx_gt_u32_e64 s8, v79
	s_cbranch_execz .LBB626_349
.LBB626_364:                            ;   in Loop: Header=BB626_316 Depth=2
	v_xor_b32_e32 v41, 0x80000000, v29
	s_delay_alu instid0(VALU_DEP_1) | instskip(NEXT) | instid1(VALU_DEP_1)
	v_lshrrev_b32_e32 v41, s43, v41
	v_and_b32_e32 v41, s48, v41
	s_delay_alu instid0(VALU_DEP_1) | instskip(SKIP_2) | instid1(SALU_CYCLE_1)
	v_lshl_or_b32 v41, v41, 4, v84
	ds_add_u32 v41, v95
	s_or_b32 exec_lo, exec_lo, s9
	s_mov_b32 s9, exec_lo
	v_cmpx_gt_u32_e64 s8, v80
	s_cbranch_execz .LBB626_350
.LBB626_365:                            ;   in Loop: Header=BB626_316 Depth=2
	v_xor_b32_e32 v41, 0x80000000, v28
	s_delay_alu instid0(VALU_DEP_1) | instskip(NEXT) | instid1(VALU_DEP_1)
	v_lshrrev_b32_e32 v41, s43, v41
	v_and_b32_e32 v41, s48, v41
	s_delay_alu instid0(VALU_DEP_1) | instskip(SKIP_2) | instid1(SALU_CYCLE_1)
	v_lshl_or_b32 v41, v41, 4, v84
	ds_add_u32 v41, v95
	s_or_b32 exec_lo, exec_lo, s9
	s_mov_b32 s9, exec_lo
	v_cmpx_gt_u32_e64 s8, v81
	s_cbranch_execz .LBB626_351
.LBB626_366:                            ;   in Loop: Header=BB626_316 Depth=2
	v_xor_b32_e32 v41, 0x80000000, v27
	s_delay_alu instid0(VALU_DEP_1) | instskip(NEXT) | instid1(VALU_DEP_1)
	v_lshrrev_b32_e32 v41, s43, v41
	v_and_b32_e32 v41, s48, v41
	s_delay_alu instid0(VALU_DEP_1) | instskip(SKIP_2) | instid1(SALU_CYCLE_1)
	v_lshl_or_b32 v41, v41, 4, v84
	ds_add_u32 v41, v95
	s_or_b32 exec_lo, exec_lo, s9
	s_mov_b32 s9, exec_lo
	v_cmpx_gt_u32_e64 s8, v82
	s_cbranch_execz .LBB626_352
.LBB626_367:                            ;   in Loop: Header=BB626_316 Depth=2
	v_xor_b32_e32 v41, 0x80000000, v26
	s_delay_alu instid0(VALU_DEP_1) | instskip(NEXT) | instid1(VALU_DEP_1)
	v_lshrrev_b32_e32 v41, s43, v41
	v_and_b32_e32 v41, s48, v41
	s_delay_alu instid0(VALU_DEP_1)
	v_lshl_or_b32 v41, v41, 4, v84
	ds_add_u32 v41, v95
	s_or_b32 exec_lo, exec_lo, s9
	v_cmp_gt_u32_e32 vcc_lo, s8, v83
	s_and_saveexec_b32 s8, vcc_lo
	s_cbranch_execz .LBB626_315
.LBB626_368:                            ;   in Loop: Header=BB626_316 Depth=2
	v_xor_b32_e32 v41, 0x80000000, v25
	s_delay_alu instid0(VALU_DEP_1) | instskip(NEXT) | instid1(VALU_DEP_1)
	v_lshrrev_b32_e32 v41, s43, v41
	v_and_b32_e32 v41, s48, v41
	s_delay_alu instid0(VALU_DEP_1)
	v_lshl_or_b32 v41, v41, 4, v84
	ds_add_u32 v41, v95
	s_branch .LBB626_315
.LBB626_369:                            ;   in Loop: Header=BB626_316 Depth=2
	global_load_b32 v40, v2, s[8:9] scale_offset
	s_wait_xcnt 0x0
	s_or_b32 exec_lo, exec_lo, s11
	s_delay_alu instid0(SALU_CYCLE_1)
	s_mov_b32 s11, exec_lo
	v_cmpx_gt_u32_e64 s7, v3
	s_cbranch_execz .LBB626_321
.LBB626_370:                            ;   in Loop: Header=BB626_316 Depth=2
	global_load_b32 v39, v2, s[8:9] offset:1024 scale_offset
	s_wait_xcnt 0x0
	s_or_b32 exec_lo, exec_lo, s11
	s_delay_alu instid0(SALU_CYCLE_1)
	s_mov_b32 s11, exec_lo
	v_cmpx_gt_u32_e64 s7, v70
	s_cbranch_execz .LBB626_322
.LBB626_371:                            ;   in Loop: Header=BB626_316 Depth=2
	global_load_b32 v38, v2, s[8:9] offset:2048 scale_offset
	s_wait_xcnt 0x0
	s_or_b32 exec_lo, exec_lo, s11
	s_delay_alu instid0(SALU_CYCLE_1)
	s_mov_b32 s11, exec_lo
	v_cmpx_gt_u32_e64 s7, v71
	s_cbranch_execz .LBB626_323
.LBB626_372:                            ;   in Loop: Header=BB626_316 Depth=2
	global_load_b32 v37, v2, s[8:9] offset:3072 scale_offset
	s_wait_xcnt 0x0
	s_or_b32 exec_lo, exec_lo, s11
	s_delay_alu instid0(SALU_CYCLE_1)
	s_mov_b32 s11, exec_lo
	v_cmpx_gt_u32_e64 s7, v72
	s_cbranch_execz .LBB626_324
.LBB626_373:                            ;   in Loop: Header=BB626_316 Depth=2
	global_load_b32 v36, v2, s[8:9] offset:4096 scale_offset
	s_wait_xcnt 0x0
	s_or_b32 exec_lo, exec_lo, s11
	s_delay_alu instid0(SALU_CYCLE_1)
	s_mov_b32 s11, exec_lo
	v_cmpx_gt_u32_e64 s7, v73
	s_cbranch_execz .LBB626_325
.LBB626_374:                            ;   in Loop: Header=BB626_316 Depth=2
	global_load_b32 v35, v2, s[8:9] offset:5120 scale_offset
	s_wait_xcnt 0x0
	s_or_b32 exec_lo, exec_lo, s11
	s_delay_alu instid0(SALU_CYCLE_1)
	s_mov_b32 s11, exec_lo
	v_cmpx_gt_u32_e64 s7, v74
	s_cbranch_execz .LBB626_326
.LBB626_375:                            ;   in Loop: Header=BB626_316 Depth=2
	global_load_b32 v34, v2, s[8:9] offset:6144 scale_offset
	s_wait_xcnt 0x0
	s_or_b32 exec_lo, exec_lo, s11
	s_delay_alu instid0(SALU_CYCLE_1)
	s_mov_b32 s11, exec_lo
	v_cmpx_gt_u32_e64 s7, v75
	s_cbranch_execz .LBB626_327
.LBB626_376:                            ;   in Loop: Header=BB626_316 Depth=2
	global_load_b32 v33, v2, s[8:9] offset:7168 scale_offset
	s_wait_xcnt 0x0
	s_or_b32 exec_lo, exec_lo, s11
	s_delay_alu instid0(SALU_CYCLE_1)
	s_mov_b32 s11, exec_lo
	v_cmpx_gt_u32_e64 s7, v76
	s_cbranch_execz .LBB626_328
.LBB626_377:                            ;   in Loop: Header=BB626_316 Depth=2
	global_load_b32 v32, v2, s[8:9] offset:8192 scale_offset
	s_wait_xcnt 0x0
	s_or_b32 exec_lo, exec_lo, s11
	s_delay_alu instid0(SALU_CYCLE_1)
	s_mov_b32 s11, exec_lo
	v_cmpx_gt_u32_e64 s7, v77
	s_cbranch_execz .LBB626_329
.LBB626_378:                            ;   in Loop: Header=BB626_316 Depth=2
	global_load_b32 v31, v2, s[8:9] offset:9216 scale_offset
	s_wait_xcnt 0x0
	s_or_b32 exec_lo, exec_lo, s11
	s_delay_alu instid0(SALU_CYCLE_1)
	s_mov_b32 s11, exec_lo
	v_cmpx_gt_u32_e64 s7, v78
	s_cbranch_execz .LBB626_330
.LBB626_379:                            ;   in Loop: Header=BB626_316 Depth=2
	global_load_b32 v30, v2, s[8:9] offset:10240 scale_offset
	s_wait_xcnt 0x0
	s_or_b32 exec_lo, exec_lo, s11
	s_delay_alu instid0(SALU_CYCLE_1)
	s_mov_b32 s11, exec_lo
	v_cmpx_gt_u32_e64 s7, v79
	s_cbranch_execz .LBB626_331
.LBB626_380:                            ;   in Loop: Header=BB626_316 Depth=2
	global_load_b32 v29, v2, s[8:9] offset:11264 scale_offset
	s_wait_xcnt 0x0
	s_or_b32 exec_lo, exec_lo, s11
	s_delay_alu instid0(SALU_CYCLE_1)
	s_mov_b32 s11, exec_lo
	v_cmpx_gt_u32_e64 s7, v80
	s_cbranch_execz .LBB626_332
.LBB626_381:                            ;   in Loop: Header=BB626_316 Depth=2
	global_load_b32 v28, v2, s[8:9] offset:12288 scale_offset
	s_wait_xcnt 0x0
	s_or_b32 exec_lo, exec_lo, s11
	s_delay_alu instid0(SALU_CYCLE_1)
	s_mov_b32 s11, exec_lo
	v_cmpx_gt_u32_e64 s7, v81
	s_cbranch_execz .LBB626_333
.LBB626_382:                            ;   in Loop: Header=BB626_316 Depth=2
	global_load_b32 v27, v2, s[8:9] offset:13312 scale_offset
	s_wait_xcnt 0x0
	s_or_b32 exec_lo, exec_lo, s11
	s_delay_alu instid0(SALU_CYCLE_1)
	s_mov_b32 s11, exec_lo
	v_cmpx_gt_u32_e64 s7, v82
	s_cbranch_execz .LBB626_334
.LBB626_383:                            ;   in Loop: Header=BB626_316 Depth=2
	global_load_b32 v26, v2, s[8:9] offset:14336 scale_offset
	s_wait_xcnt 0x0
	s_or_b32 exec_lo, exec_lo, s11
	s_delay_alu instid0(SALU_CYCLE_1)
	s_mov_b32 s11, exec_lo
	v_cmpx_gt_u32_e64 s7, v83
	s_cbranch_execnz .LBB626_335
	s_branch .LBB626_336
.LBB626_384:                            ;   in Loop: Header=BB626_20 Depth=1
	v_mov_b32_e32 v25, 0
	s_wait_dscnt 0x0
	s_barrier_signal -1
	s_barrier_wait -1
	s_and_saveexec_b32 s7, s0
	s_cbranch_execz .LBB626_386
; %bb.385:                              ;   in Loop: Header=BB626_20 Depth=1
	ds_load_2addr_b64 v[26:29], v86 offset1:1
	s_wait_dscnt 0x0
	v_add_nc_u32_e32 v25, v27, v26
	s_delay_alu instid0(VALU_DEP_1)
	v_add3_u32 v25, v25, v28, v29
.LBB626_386:                            ;   in Loop: Header=BB626_20 Depth=1
	s_or_b32 exec_lo, exec_lo, s7
	s_delay_alu instid0(VALU_DEP_1)
	v_mov_b32_dpp v26, v25 row_shr:1 row_mask:0xf bank_mask:0xf
	v_cmp_eq_u32_e64 s7, 0, v96
	v_cmp_lt_u32_e64 s8, 1, v96
	v_cmp_lt_u32_e64 s9, 3, v96
	;; [unrolled: 1-line block ×3, first 2 shown]
	v_cmp_eq_u32_e64 s11, 0, v98
	v_cndmask_b32_e64 v26, v26, 0, s7
	s_delay_alu instid0(VALU_DEP_1) | instskip(NEXT) | instid1(VALU_DEP_1)
	v_add_nc_u32_e32 v25, v26, v25
	v_mov_b32_dpp v26, v25 row_shr:2 row_mask:0xf bank_mask:0xf
	s_delay_alu instid0(VALU_DEP_1) | instskip(NEXT) | instid1(VALU_DEP_1)
	v_cndmask_b32_e64 v26, 0, v26, s8
	v_add_nc_u32_e32 v25, v25, v26
	s_delay_alu instid0(VALU_DEP_1) | instskip(NEXT) | instid1(VALU_DEP_1)
	v_mov_b32_dpp v26, v25 row_shr:4 row_mask:0xf bank_mask:0xf
	v_cndmask_b32_e64 v26, 0, v26, s9
	s_delay_alu instid0(VALU_DEP_1) | instskip(NEXT) | instid1(VALU_DEP_1)
	v_add_nc_u32_e32 v25, v25, v26
	v_mov_b32_dpp v26, v25 row_shr:8 row_mask:0xf bank_mask:0xf
	s_delay_alu instid0(VALU_DEP_1) | instskip(NEXT) | instid1(VALU_DEP_1)
	v_cndmask_b32_e64 v26, 0, v26, s10
	v_add_nc_u32_e32 v25, v25, v26
	ds_swizzle_b32 v26, v25 offset:swizzle(BROADCAST,32,15)
	s_wait_dscnt 0x0
	v_and_b32_e32 v26, v97, v26
	s_delay_alu instid0(VALU_DEP_1)
	v_add_nc_u32_e32 v25, v25, v26
	s_and_saveexec_b32 s12, s1
; %bb.387:                              ;   in Loop: Header=BB626_20 Depth=1
	ds_store_b32 v87, v25
; %bb.388:                              ;   in Loop: Header=BB626_20 Depth=1
	s_or_b32 exec_lo, exec_lo, s12
	s_wait_dscnt 0x0
	s_barrier_signal -1
	s_barrier_wait -1
	s_and_saveexec_b32 s12, s4
	s_cbranch_execz .LBB626_390
; %bb.389:                              ;   in Loop: Header=BB626_20 Depth=1
	ds_load_b32 v26, v88
	v_cmp_ne_u32_e32 vcc_lo, 0, v100
	s_wait_dscnt 0x0
	v_mov_b32_dpp v27, v26 row_shr:1 row_mask:0xf bank_mask:0xf
	s_delay_alu instid0(VALU_DEP_1) | instskip(SKIP_1) | instid1(VALU_DEP_2)
	v_cndmask_b32_e32 v27, 0, v27, vcc_lo
	v_cmp_lt_u32_e32 vcc_lo, 1, v100
	v_add_nc_u32_e32 v26, v27, v26
	s_delay_alu instid0(VALU_DEP_1) | instskip(NEXT) | instid1(VALU_DEP_1)
	v_mov_b32_dpp v27, v26 row_shr:2 row_mask:0xf bank_mask:0xf
	v_cndmask_b32_e32 v27, 0, v27, vcc_lo
	v_cmp_lt_u32_e32 vcc_lo, 3, v100
	s_delay_alu instid0(VALU_DEP_2) | instskip(NEXT) | instid1(VALU_DEP_1)
	v_add_nc_u32_e32 v26, v26, v27
	v_mov_b32_dpp v27, v26 row_shr:4 row_mask:0xf bank_mask:0xf
	s_delay_alu instid0(VALU_DEP_1) | instskip(NEXT) | instid1(VALU_DEP_1)
	v_cndmask_b32_e32 v27, 0, v27, vcc_lo
	v_add_nc_u32_e32 v26, v26, v27
	ds_store_b32 v88, v26
.LBB626_390:                            ;   in Loop: Header=BB626_20 Depth=1
	s_or_b32 exec_lo, exec_lo, s12
	v_mov_b32_e32 v26, 0
	s_wait_dscnt 0x0
	s_barrier_signal -1
	s_barrier_wait -1
	s_and_saveexec_b32 s12, s5
; %bb.391:                              ;   in Loop: Header=BB626_20 Depth=1
	ds_load_b32 v26, v89
; %bb.392:                              ;   in Loop: Header=BB626_20 Depth=1
	s_or_b32 exec_lo, exec_lo, s12
	v_cmp_gt_i32_e32 vcc_lo, 0, v101
	s_wait_dscnt 0x0
	s_barrier_signal -1
	s_barrier_wait -1
	v_dual_cndmask_b32 v27, v101, v94, vcc_lo :: v_dual_add_nc_u32 v25, v26, v25
	s_delay_alu instid0(VALU_DEP_1)
	v_lshlrev_b32_e32 v120, 2, v27
	ds_bpermute_b32 v25, v120, v25
	s_and_saveexec_b32 s12, s0
	s_cbranch_execz .LBB626_394
; %bb.393:                              ;   in Loop: Header=BB626_20 Depth=1
	s_wait_dscnt 0x0
	v_cndmask_b32_e64 v25, v25, v26, s6
	s_delay_alu instid0(VALU_DEP_1)
	v_add_nc_u32_e32 v25, s52, v25
	ds_store_b32 v4, v25
.LBB626_394:                            ;   in Loop: Header=BB626_20 Depth=1
	s_or_b32 exec_lo, exec_lo, s12
	s_load_b64 s[12:13], s[34:35], 0x0
	s_mov_b32 s55, s54
                                        ; implicit-def: $vgpr32_vgpr33
                                        ; implicit-def: $vgpr34_vgpr35
                                        ; implicit-def: $vgpr36_vgpr37
                                        ; implicit-def: $vgpr38_vgpr39
                                        ; implicit-def: $vgpr40_vgpr41
                                        ; implicit-def: $vgpr42_vgpr43
                                        ; implicit-def: $vgpr44_vgpr45
                                        ; implicit-def: $vgpr46_vgpr47
                                        ; implicit-def: $vgpr48_vgpr49
                                        ; implicit-def: $vgpr50_vgpr51
                                        ; implicit-def: $vgpr52_vgpr53
                                        ; implicit-def: $vgpr54_vgpr55
                                        ; implicit-def: $vgpr56_vgpr57
                                        ; implicit-def: $vgpr58_vgpr59
                                        ; implicit-def: $vgpr60_vgpr61
                                        ; implicit-def: $vgpr121
                                        ; implicit-def: $vgpr122
                                        ; implicit-def: $vgpr123
                                        ; implicit-def: $vgpr124
                                        ; implicit-def: $vgpr125
                                        ; implicit-def: $vgpr126
                                        ; implicit-def: $vgpr127
                                        ; implicit-def: $vgpr128
                                        ; implicit-def: $vgpr129
                                        ; implicit-def: $vgpr130
                                        ; implicit-def: $vgpr131
                                        ; implicit-def: $vgpr132
                                        ; implicit-def: $vgpr133
                                        ; implicit-def: $vgpr134
                                        ; implicit-def: $vgpr135
                                        ; implicit-def: $vgpr136
	s_wait_kmcnt 0x0
	s_cmp_lt_u32 s33, s12
	s_cselect_b32 s30, 12, 18
	s_cmp_lt_u32 s42, s13
	s_mov_b32 s13, s31
	s_cselect_b32 s12, 14, 20
	s_delay_alu instid0(SALU_CYCLE_1)
	s_add_nc_u64 s[12:13], s[34:35], s[12:13]
	s_load_u16 s14, s[12:13], 0x0
	s_wait_xcnt 0x0
	s_add_nc_u64 s[12:13], s[34:35], s[30:31]
	s_mov_b32 s30, s52
	s_load_u16 s12, s[12:13], 0x0
	s_wait_xcnt 0x0
	v_cmp_lt_u32_e64 s13, 1, v100
	s_wait_dscnt 0x0
	s_wait_kmcnt 0x0
	v_mad_u32_u24 v25, v90, s14, v92
	v_cmp_lt_u32_e64 s14, 3, v100
	s_delay_alu instid0(VALU_DEP_2) | instskip(SKIP_2) | instid1(VALU_DEP_3)
	v_mad_u32 v26, v25, s12, v2
	v_mov_b32_e32 v25, v1
	v_cmp_eq_u32_e64 s12, 0, v100
	v_lshrrev_b32_e32 v30, 3, v26
	v_add_nc_u64_e32 v[26:27], v[10:11], v[0:1]
	s_delay_alu instid0(VALU_DEP_4) | instskip(NEXT) | instid1(VALU_DEP_3)
	v_add_nc_u64_e32 v[28:29], v[12:13], v[24:25]
	v_and_b32_e32 v25, 0x1ffffffc, v30
                                        ; implicit-def: $vgpr30_vgpr31
	s_branch .LBB626_396
.LBB626_395:                            ;   in Loop: Header=BB626_396 Depth=2
	s_or_b32 exec_lo, exec_lo, s15
	s_addk_co_i32 s55, 0xf000
	s_cmp_lt_u32 s56, s51
	s_mov_b32 s30, s56
	s_cbranch_scc0 .LBB626_604
.LBB626_396:                            ;   Parent Loop BB626_20 Depth=1
                                        ; =>  This Inner Loop Header: Depth=2
	s_add_co_i32 s56, s30, 0x1000
	s_delay_alu instid0(SALU_CYCLE_1)
	s_cmp_gt_u32 s56, s51
	s_cbranch_scc1 .LBB626_398
; %bb.397:                              ;   in Loop: Header=BB626_396 Depth=2
	s_delay_alu instid0(VALU_DEP_2)
	v_lshl_add_u64 v[62:63], s[30:31], 2, v[28:29]
	s_mov_b32 s15, -1
	s_clause 0xe
	global_load_b32 v139, v[62:63], off
	global_load_b32 v140, v[62:63], off offset:128
	global_load_b32 v143, v[62:63], off offset:256
	;; [unrolled: 1-line block ×14, first 2 shown]
	s_movk_i32 s16, 0x1000
	s_cbranch_execz .LBB626_399
	s_branch .LBB626_430
.LBB626_398:                            ;   in Loop: Header=BB626_396 Depth=2
	s_mov_b32 s15, 0
                                        ; implicit-def: $vgpr139
                                        ; implicit-def: $vgpr140
                                        ; implicit-def: $vgpr143
                                        ; implicit-def: $vgpr147
                                        ; implicit-def: $vgpr151
                                        ; implicit-def: $vgpr155
                                        ; implicit-def: $vgpr159
                                        ; implicit-def: $vgpr163
                                        ; implicit-def: $vgpr166
                                        ; implicit-def: $vgpr69
                                        ; implicit-def: $vgpr68
                                        ; implicit-def: $vgpr67
                                        ; implicit-def: $vgpr66
                                        ; implicit-def: $vgpr65
                                        ; implicit-def: $vgpr64
	s_movk_i32 s16, 0x1000
.LBB626_399:                            ;   in Loop: Header=BB626_396 Depth=2
	s_wait_xcnt 0x0
	v_lshl_add_u64 v[62:63], s[30:31], 2, v[28:29]
	s_wait_loadcnt 0xd
	v_bfrev_b32_e32 v140, -2
	v_bfrev_b32_e32 v139, -2
	s_mov_b32 s15, exec_lo
	v_cmpx_gt_u32_e64 s55, v99
	s_cbranch_execz .LBB626_401
; %bb.400:                              ;   in Loop: Header=BB626_396 Depth=2
	global_load_b32 v139, v[62:63], off
.LBB626_401:                            ;   in Loop: Header=BB626_396 Depth=2
	s_wait_xcnt 0x0
	s_or_b32 exec_lo, exec_lo, s15
	s_delay_alu instid0(SALU_CYCLE_1)
	s_mov_b32 s15, exec_lo
	v_cmpx_gt_u32_e64 s55, v102
	s_cbranch_execz .LBB626_403
; %bb.402:                              ;   in Loop: Header=BB626_396 Depth=2
	global_load_b32 v140, v[62:63], off offset:128
.LBB626_403:                            ;   in Loop: Header=BB626_396 Depth=2
	s_wait_xcnt 0x0
	s_or_b32 exec_lo, exec_lo, s15
	s_wait_loadcnt 0xb
	v_bfrev_b32_e32 v147, -2
	v_bfrev_b32_e32 v143, -2
	s_mov_b32 s15, exec_lo
	v_cmpx_gt_u32_e64 s55, v103
	s_cbranch_execz .LBB626_405
; %bb.404:                              ;   in Loop: Header=BB626_396 Depth=2
	global_load_b32 v143, v[62:63], off offset:256
.LBB626_405:                            ;   in Loop: Header=BB626_396 Depth=2
	s_wait_xcnt 0x0
	s_or_b32 exec_lo, exec_lo, s15
	s_delay_alu instid0(SALU_CYCLE_1)
	s_mov_b32 s15, exec_lo
	v_cmpx_gt_u32_e64 s55, v104
	s_cbranch_execz .LBB626_407
; %bb.406:                              ;   in Loop: Header=BB626_396 Depth=2
	global_load_b32 v147, v[62:63], off offset:384
.LBB626_407:                            ;   in Loop: Header=BB626_396 Depth=2
	s_wait_xcnt 0x0
	s_or_b32 exec_lo, exec_lo, s15
	s_wait_loadcnt 0x9
	v_bfrev_b32_e32 v155, -2
	v_bfrev_b32_e32 v151, -2
	s_mov_b32 s15, exec_lo
	v_cmpx_gt_u32_e64 s55, v105
	s_cbranch_execz .LBB626_409
; %bb.408:                              ;   in Loop: Header=BB626_396 Depth=2
	global_load_b32 v151, v[62:63], off offset:512
.LBB626_409:                            ;   in Loop: Header=BB626_396 Depth=2
	;; [unrolled: 20-line block ×6, first 2 shown]
	s_wait_xcnt 0x0
	s_or_b32 exec_lo, exec_lo, s15
	s_delay_alu instid0(SALU_CYCLE_1)
	s_mov_b32 s15, exec_lo
	v_cmpx_gt_u32_e64 s55, v114
	s_cbranch_execz .LBB626_427
; %bb.426:                              ;   in Loop: Header=BB626_396 Depth=2
	global_load_b32 v65, v[62:63], off offset:1664
.LBB626_427:                            ;   in Loop: Header=BB626_396 Depth=2
	s_wait_xcnt 0x0
	s_or_b32 exec_lo, exec_lo, s15
	s_wait_loadcnt 0x0
	v_bfrev_b32_e32 v64, -2
	s_mov_b32 s15, exec_lo
	v_cmpx_gt_u32_e64 s55, v115
	s_cbranch_execz .LBB626_429
; %bb.428:                              ;   in Loop: Header=BB626_396 Depth=2
	global_load_b32 v64, v[62:63], off offset:1792
.LBB626_429:                            ;   in Loop: Header=BB626_396 Depth=2
	s_wait_xcnt 0x0
	s_or_b32 exec_lo, exec_lo, s15
	v_cmp_gt_u32_e64 s15, s55, v116
	s_sub_co_i32 s16, s51, s30
.LBB626_430:                            ;   in Loop: Header=BB626_396 Depth=2
	v_dual_mov_b32 v138, -1 :: v_dual_mov_b32 v137, s55
	s_wait_xcnt 0x0
	s_and_saveexec_b32 s17, s15
	s_cbranch_execz .LBB626_432
; %bb.431:                              ;   in Loop: Header=BB626_396 Depth=2
	v_lshl_add_u64 v[62:63], s[30:31], 2, v[28:29]
	v_mov_b32_e32 v137, s16
	global_load_b32 v62, v[62:63], off offset:1920
	s_wait_loadcnt 0x0
	v_xor_b32_e32 v138, 0x80000000, v62
.LBB626_432:                            ;   in Loop: Header=BB626_396 Depth=2
	s_wait_xcnt 0x0
	s_or_b32 exec_lo, exec_lo, s17
	s_wait_loadcnt 0xe
	v_xor_b32_e32 v139, 0x80000000, v139
	ds_store_2addr_b32 v5, v1, v1 offset1:1
	ds_store_2addr_b32 v117, v1, v1 offset1:1
	;; [unrolled: 1-line block ×4, first 2 shown]
	ds_store_b32 v91, v1 offset:1088
	s_wait_loadcnt_dscnt 0x0
	s_barrier_signal -1
	v_lshrrev_b32_e32 v62, s43, v139
	s_barrier_wait -1
	; wave barrier
	s_delay_alu instid0(VALU_DEP_1) | instskip(NEXT) | instid1(VALU_DEP_1)
	v_and_b32_e32 v142, s48, v62
	v_lshlrev_b32_e32 v141, 30, v142
	v_bitop3_b32 v63, v62, 1, s48 bitop3:0x80
	s_delay_alu instid0(VALU_DEP_1) | instskip(NEXT) | instid1(VALU_DEP_1)
	v_add_co_u32 v62, s15, v63, -1
	v_cndmask_b32_e64 v63, 0, 1, s15
	s_delay_alu instid0(VALU_DEP_4) | instskip(NEXT) | instid1(VALU_DEP_2)
	v_cmp_gt_i32_e64 s15, 0, v141
	v_cmp_ne_u32_e32 vcc_lo, 0, v63
	v_not_b32_e32 v63, v141
	s_delay_alu instid0(VALU_DEP_1) | instskip(SKIP_3) | instid1(VALU_DEP_4)
	v_dual_ashrrev_i32 v63, 31, v63 :: v_dual_lshlrev_b32 v144, 29, v142
	v_dual_lshlrev_b32 v145, 28, v142 :: v_dual_lshlrev_b32 v146, 27, v142
	v_dual_lshlrev_b32 v148, 26, v142 :: v_dual_lshlrev_b32 v149, 25, v142
	v_lshlrev_b32_e32 v150, 24, v142
	v_cmp_gt_i32_e64 s16, 0, v144
	v_not_b32_e32 v141, v144
	v_not_b32_e32 v144, v145
	v_cmp_gt_i32_e64 s17, 0, v145
	v_cmp_gt_i32_e64 s18, 0, v146
	v_not_b32_e32 v145, v146
	v_not_b32_e32 v146, v148
	v_dual_ashrrev_i32 v141, 31, v141 :: v_dual_bitop2_b32 v62, vcc_lo, v62 bitop3:0x14
	v_dual_ashrrev_i32 v144, 31, v144 :: v_dual_bitop2_b32 v63, s15, v63 bitop3:0x14
	v_cmp_gt_i32_e64 s19, 0, v148
	v_not_b32_e32 v148, v149
	s_delay_alu instid0(VALU_DEP_3)
	v_dual_ashrrev_i32 v145, 31, v145 :: v_dual_bitop2_b32 v144, s17, v144 bitop3:0x14
	v_dual_ashrrev_i32 v146, 31, v146 :: v_dual_bitop2_b32 v141, s16, v141 bitop3:0x14
	v_bitop3_b32 v62, v62, v63, exec_lo bitop3:0x80
	v_not_b32_e32 v63, v150
	v_cmp_gt_i32_e64 s20, 0, v149
	v_dual_ashrrev_i32 v148, 31, v148 :: v_dual_bitop2_b32 v145, s18, v145 bitop3:0x14
	s_delay_alu instid0(VALU_DEP_4) | instskip(SKIP_2) | instid1(VALU_DEP_4)
	v_bitop3_b32 v62, v62, v144, v141 bitop3:0x80
	v_cmp_gt_i32_e32 vcc_lo, 0, v150
	v_dual_ashrrev_i32 v63, 31, v63 :: v_dual_bitop2_b32 v141, s19, v146 bitop3:0x14
	v_xor_b32_e32 v144, s20, v148
	s_delay_alu instid0(VALU_DEP_2) | instskip(NEXT) | instid1(VALU_DEP_3)
	v_xor_b32_e32 v63, vcc_lo, v63
	v_bitop3_b32 v62, v62, v141, v145 bitop3:0x80
	s_delay_alu instid0(VALU_DEP_1) | instskip(SKIP_1) | instid1(VALU_DEP_2)
	v_bitop3_b32 v62, v62, v63, v144 bitop3:0x80
	v_mul_u32_u24_e32 v63, 36, v142
	v_mbcnt_lo_u32_b32 v141, v62, 0
	v_cmp_ne_u32_e64 s15, 0, v62
	s_delay_alu instid0(VALU_DEP_3) | instskip(NEXT) | instid1(VALU_DEP_3)
	v_add_nc_u32_e32 v142, v25, v63
	v_cmp_eq_u32_e32 vcc_lo, 0, v141
	s_and_b32 s16, s15, vcc_lo
	s_delay_alu instid0(SALU_CYCLE_1)
	s_and_saveexec_b32 s15, s16
; %bb.433:                              ;   in Loop: Header=BB626_396 Depth=2
	v_bcnt_u32_b32 v62, v62, 0
	ds_store_b32 v142, v62 offset:1056
; %bb.434:                              ;   in Loop: Header=BB626_396 Depth=2
	s_or_b32 exec_lo, exec_lo, s15
	v_xor_b32_e32 v140, 0x80000000, v140
	; wave barrier
	s_delay_alu instid0(VALU_DEP_1) | instskip(NEXT) | instid1(VALU_DEP_1)
	v_lshrrev_b32_e32 v62, s43, v140
	v_and_b32_e32 v146, s48, v62
	s_delay_alu instid0(VALU_DEP_1) | instskip(SKIP_1) | instid1(VALU_DEP_1)
	v_lshlrev_b32_e32 v144, 30, v146
	v_bitop3_b32 v63, v62, 1, s48 bitop3:0x80
	v_add_co_u32 v62, s15, v63, -1
	s_delay_alu instid0(VALU_DEP_1) | instskip(NEXT) | instid1(VALU_DEP_4)
	v_cndmask_b32_e64 v63, 0, 1, s15
	v_cmp_gt_i32_e64 s15, 0, v144
	s_delay_alu instid0(VALU_DEP_2) | instskip(SKIP_1) | instid1(VALU_DEP_1)
	v_cmp_ne_u32_e32 vcc_lo, 0, v63
	v_not_b32_e32 v63, v144
	v_dual_ashrrev_i32 v63, 31, v63 :: v_dual_lshlrev_b32 v145, 29, v146
	v_dual_lshlrev_b32 v148, 28, v146 :: v_dual_lshlrev_b32 v149, 27, v146
	v_dual_lshlrev_b32 v150, 26, v146 :: v_dual_lshlrev_b32 v152, 25, v146
	v_lshlrev_b32_e32 v153, 24, v146
	s_delay_alu instid0(VALU_DEP_4)
	v_cmp_gt_i32_e64 s16, 0, v145
	v_not_b32_e32 v144, v145
	v_not_b32_e32 v145, v148
	v_cmp_gt_i32_e64 s17, 0, v148
	v_cmp_gt_i32_e64 s18, 0, v149
	v_not_b32_e32 v148, v149
	v_not_b32_e32 v149, v150
	v_dual_ashrrev_i32 v144, 31, v144 :: v_dual_bitop2_b32 v62, vcc_lo, v62 bitop3:0x14
	v_dual_ashrrev_i32 v145, 31, v145 :: v_dual_bitop2_b32 v63, s15, v63 bitop3:0x14
	v_cmp_gt_i32_e64 s19, 0, v150
	s_delay_alu instid0(VALU_DEP_4) | instskip(SKIP_1) | instid1(VALU_DEP_4)
	v_dual_ashrrev_i32 v148, 31, v148 :: v_dual_ashrrev_i32 v149, 31, v149
	v_not_b32_e32 v150, v153
	v_xor_b32_e32 v145, s17, v145
	v_bitop3_b32 v62, v62, v63, exec_lo bitop3:0x80
	v_not_b32_e32 v63, v152
	v_xor_b32_e32 v144, s16, v144
	v_cmp_gt_i32_e64 s20, 0, v152
	v_xor_b32_e32 v148, s18, v148
	s_delay_alu instid0(VALU_DEP_4) | instskip(NEXT) | instid1(VALU_DEP_4)
	v_dual_ashrrev_i32 v63, 31, v63 :: v_dual_bitop2_b32 v149, s19, v149 bitop3:0x14
	v_bitop3_b32 v62, v62, v145, v144 bitop3:0x80
	v_cmp_gt_i32_e32 vcc_lo, 0, v153
	v_ashrrev_i32_e32 v144, 31, v150
	v_mad_u32_u24 v145, v146, 36, v25
	v_xor_b32_e32 v63, s20, v63
	v_bitop3_b32 v62, v62, v149, v148 bitop3:0x80
	s_delay_alu instid0(VALU_DEP_4) | instskip(SKIP_3) | instid1(VALU_DEP_2)
	v_xor_b32_e32 v148, vcc_lo, v144
	ds_load_b32 v144, v145 offset:1056
	; wave barrier
	v_bitop3_b32 v62, v62, v148, v63 bitop3:0x80
	v_mul_u32_u24_e32 v63, 36, v146
	v_mbcnt_lo_u32_b32 v145, v62, 0
	v_cmp_ne_u32_e64 s15, 0, v62
	s_delay_alu instid0(VALU_DEP_3) | instskip(NEXT) | instid1(VALU_DEP_3)
	v_add_nc_u32_e32 v146, v25, v63
	v_cmp_eq_u32_e32 vcc_lo, 0, v145
	s_and_b32 s16, s15, vcc_lo
	s_delay_alu instid0(SALU_CYCLE_1)
	s_and_saveexec_b32 s15, s16
	s_cbranch_execz .LBB626_436
; %bb.435:                              ;   in Loop: Header=BB626_396 Depth=2
	s_wait_dscnt 0x0
	v_bcnt_u32_b32 v62, v62, v144
	ds_store_b32 v146, v62 offset:1056
.LBB626_436:                            ;   in Loop: Header=BB626_396 Depth=2
	s_or_b32 exec_lo, exec_lo, s15
	v_xor_b32_e32 v143, 0x80000000, v143
	; wave barrier
	s_delay_alu instid0(VALU_DEP_1) | instskip(NEXT) | instid1(VALU_DEP_1)
	v_lshrrev_b32_e32 v62, s43, v143
	v_and_b32_e32 v150, s48, v62
	s_delay_alu instid0(VALU_DEP_1) | instskip(SKIP_1) | instid1(VALU_DEP_1)
	v_lshlrev_b32_e32 v148, 30, v150
	v_bitop3_b32 v63, v62, 1, s48 bitop3:0x80
	v_add_co_u32 v62, s15, v63, -1
	s_delay_alu instid0(VALU_DEP_1) | instskip(NEXT) | instid1(VALU_DEP_4)
	v_cndmask_b32_e64 v63, 0, 1, s15
	v_cmp_gt_i32_e64 s15, 0, v148
	s_delay_alu instid0(VALU_DEP_2) | instskip(SKIP_1) | instid1(VALU_DEP_1)
	v_cmp_ne_u32_e32 vcc_lo, 0, v63
	v_not_b32_e32 v63, v148
	v_dual_ashrrev_i32 v63, 31, v63 :: v_dual_lshlrev_b32 v149, 29, v150
	v_dual_lshlrev_b32 v152, 28, v150 :: v_dual_lshlrev_b32 v153, 27, v150
	v_dual_lshlrev_b32 v154, 26, v150 :: v_dual_lshlrev_b32 v156, 25, v150
	v_lshlrev_b32_e32 v157, 24, v150
	s_delay_alu instid0(VALU_DEP_4)
	v_cmp_gt_i32_e64 s16, 0, v149
	v_not_b32_e32 v148, v149
	v_not_b32_e32 v149, v152
	v_cmp_gt_i32_e64 s17, 0, v152
	v_cmp_gt_i32_e64 s18, 0, v153
	v_not_b32_e32 v152, v153
	v_not_b32_e32 v153, v154
	v_dual_ashrrev_i32 v148, 31, v148 :: v_dual_bitop2_b32 v62, vcc_lo, v62 bitop3:0x14
	v_dual_ashrrev_i32 v149, 31, v149 :: v_dual_bitop2_b32 v63, s15, v63 bitop3:0x14
	v_cmp_gt_i32_e64 s19, 0, v154
	s_delay_alu instid0(VALU_DEP_4) | instskip(SKIP_1) | instid1(VALU_DEP_4)
	v_dual_ashrrev_i32 v152, 31, v152 :: v_dual_ashrrev_i32 v153, 31, v153
	v_not_b32_e32 v154, v157
	v_xor_b32_e32 v149, s17, v149
	v_bitop3_b32 v62, v62, v63, exec_lo bitop3:0x80
	v_not_b32_e32 v63, v156
	v_xor_b32_e32 v148, s16, v148
	v_cmp_gt_i32_e64 s20, 0, v156
	v_xor_b32_e32 v152, s18, v152
	s_delay_alu instid0(VALU_DEP_4) | instskip(NEXT) | instid1(VALU_DEP_4)
	v_dual_ashrrev_i32 v63, 31, v63 :: v_dual_bitop2_b32 v153, s19, v153 bitop3:0x14
	v_bitop3_b32 v62, v62, v149, v148 bitop3:0x80
	v_cmp_gt_i32_e32 vcc_lo, 0, v157
	v_ashrrev_i32_e32 v148, 31, v154
	v_mad_u32_u24 v149, v150, 36, v25
	v_xor_b32_e32 v63, s20, v63
	v_bitop3_b32 v62, v62, v153, v152 bitop3:0x80
	s_delay_alu instid0(VALU_DEP_4) | instskip(SKIP_3) | instid1(VALU_DEP_2)
	v_xor_b32_e32 v152, vcc_lo, v148
	ds_load_b32 v148, v149 offset:1056
	; wave barrier
	v_bitop3_b32 v62, v62, v152, v63 bitop3:0x80
	v_mul_u32_u24_e32 v63, 36, v150
	v_mbcnt_lo_u32_b32 v149, v62, 0
	v_cmp_ne_u32_e64 s15, 0, v62
	s_delay_alu instid0(VALU_DEP_3) | instskip(NEXT) | instid1(VALU_DEP_3)
	v_add_nc_u32_e32 v150, v25, v63
	v_cmp_eq_u32_e32 vcc_lo, 0, v149
	s_and_b32 s16, s15, vcc_lo
	s_delay_alu instid0(SALU_CYCLE_1)
	s_and_saveexec_b32 s15, s16
	s_cbranch_execz .LBB626_438
; %bb.437:                              ;   in Loop: Header=BB626_396 Depth=2
	s_wait_dscnt 0x0
	v_bcnt_u32_b32 v62, v62, v148
	ds_store_b32 v150, v62 offset:1056
.LBB626_438:                            ;   in Loop: Header=BB626_396 Depth=2
	s_or_b32 exec_lo, exec_lo, s15
	v_xor_b32_e32 v147, 0x80000000, v147
	; wave barrier
	s_delay_alu instid0(VALU_DEP_1) | instskip(NEXT) | instid1(VALU_DEP_1)
	v_lshrrev_b32_e32 v62, s43, v147
	v_and_b32_e32 v154, s48, v62
	s_delay_alu instid0(VALU_DEP_1) | instskip(SKIP_1) | instid1(VALU_DEP_1)
	v_lshlrev_b32_e32 v152, 30, v154
	v_bitop3_b32 v63, v62, 1, s48 bitop3:0x80
	v_add_co_u32 v62, s15, v63, -1
	s_delay_alu instid0(VALU_DEP_1) | instskip(NEXT) | instid1(VALU_DEP_4)
	v_cndmask_b32_e64 v63, 0, 1, s15
	v_cmp_gt_i32_e64 s15, 0, v152
	s_delay_alu instid0(VALU_DEP_2) | instskip(SKIP_1) | instid1(VALU_DEP_1)
	v_cmp_ne_u32_e32 vcc_lo, 0, v63
	v_not_b32_e32 v63, v152
	v_dual_ashrrev_i32 v63, 31, v63 :: v_dual_lshlrev_b32 v153, 29, v154
	v_dual_lshlrev_b32 v156, 28, v154 :: v_dual_lshlrev_b32 v157, 27, v154
	v_dual_lshlrev_b32 v158, 26, v154 :: v_dual_lshlrev_b32 v160, 25, v154
	v_lshlrev_b32_e32 v161, 24, v154
	s_delay_alu instid0(VALU_DEP_4)
	v_cmp_gt_i32_e64 s16, 0, v153
	v_not_b32_e32 v152, v153
	v_not_b32_e32 v153, v156
	v_cmp_gt_i32_e64 s17, 0, v156
	v_cmp_gt_i32_e64 s18, 0, v157
	v_not_b32_e32 v156, v157
	v_not_b32_e32 v157, v158
	v_dual_ashrrev_i32 v152, 31, v152 :: v_dual_bitop2_b32 v62, vcc_lo, v62 bitop3:0x14
	v_dual_ashrrev_i32 v153, 31, v153 :: v_dual_bitop2_b32 v63, s15, v63 bitop3:0x14
	v_cmp_gt_i32_e64 s19, 0, v158
	s_delay_alu instid0(VALU_DEP_4) | instskip(SKIP_1) | instid1(VALU_DEP_4)
	v_dual_ashrrev_i32 v156, 31, v156 :: v_dual_ashrrev_i32 v157, 31, v157
	v_not_b32_e32 v158, v161
	v_xor_b32_e32 v153, s17, v153
	v_bitop3_b32 v62, v62, v63, exec_lo bitop3:0x80
	v_not_b32_e32 v63, v160
	v_xor_b32_e32 v152, s16, v152
	v_cmp_gt_i32_e64 s20, 0, v160
	v_xor_b32_e32 v156, s18, v156
	s_delay_alu instid0(VALU_DEP_4) | instskip(NEXT) | instid1(VALU_DEP_4)
	v_dual_ashrrev_i32 v63, 31, v63 :: v_dual_bitop2_b32 v157, s19, v157 bitop3:0x14
	v_bitop3_b32 v62, v62, v153, v152 bitop3:0x80
	v_cmp_gt_i32_e32 vcc_lo, 0, v161
	v_ashrrev_i32_e32 v152, 31, v158
	v_mad_u32_u24 v153, v154, 36, v25
	v_xor_b32_e32 v63, s20, v63
	v_bitop3_b32 v62, v62, v157, v156 bitop3:0x80
	s_delay_alu instid0(VALU_DEP_4) | instskip(SKIP_3) | instid1(VALU_DEP_2)
	v_xor_b32_e32 v156, vcc_lo, v152
	ds_load_b32 v152, v153 offset:1056
	; wave barrier
	v_bitop3_b32 v62, v62, v156, v63 bitop3:0x80
	v_mul_u32_u24_e32 v63, 36, v154
	v_mbcnt_lo_u32_b32 v153, v62, 0
	v_cmp_ne_u32_e64 s15, 0, v62
	s_delay_alu instid0(VALU_DEP_3) | instskip(NEXT) | instid1(VALU_DEP_3)
	v_add_nc_u32_e32 v154, v25, v63
	v_cmp_eq_u32_e32 vcc_lo, 0, v153
	s_and_b32 s16, s15, vcc_lo
	s_delay_alu instid0(SALU_CYCLE_1)
	s_and_saveexec_b32 s15, s16
	s_cbranch_execz .LBB626_440
; %bb.439:                              ;   in Loop: Header=BB626_396 Depth=2
	s_wait_dscnt 0x0
	v_bcnt_u32_b32 v62, v62, v152
	ds_store_b32 v154, v62 offset:1056
.LBB626_440:                            ;   in Loop: Header=BB626_396 Depth=2
	s_or_b32 exec_lo, exec_lo, s15
	v_xor_b32_e32 v151, 0x80000000, v151
	; wave barrier
	s_delay_alu instid0(VALU_DEP_1) | instskip(NEXT) | instid1(VALU_DEP_1)
	v_lshrrev_b32_e32 v62, s43, v151
	v_and_b32_e32 v158, s48, v62
	s_delay_alu instid0(VALU_DEP_1) | instskip(SKIP_1) | instid1(VALU_DEP_1)
	v_lshlrev_b32_e32 v156, 30, v158
	v_bitop3_b32 v63, v62, 1, s48 bitop3:0x80
	v_add_co_u32 v62, s15, v63, -1
	s_delay_alu instid0(VALU_DEP_1) | instskip(NEXT) | instid1(VALU_DEP_4)
	v_cndmask_b32_e64 v63, 0, 1, s15
	v_cmp_gt_i32_e64 s15, 0, v156
	s_delay_alu instid0(VALU_DEP_2) | instskip(SKIP_1) | instid1(VALU_DEP_1)
	v_cmp_ne_u32_e32 vcc_lo, 0, v63
	v_not_b32_e32 v63, v156
	v_dual_ashrrev_i32 v63, 31, v63 :: v_dual_lshlrev_b32 v157, 29, v158
	v_dual_lshlrev_b32 v160, 28, v158 :: v_dual_lshlrev_b32 v161, 27, v158
	v_dual_lshlrev_b32 v162, 26, v158 :: v_dual_lshlrev_b32 v164, 25, v158
	v_lshlrev_b32_e32 v165, 24, v158
	s_delay_alu instid0(VALU_DEP_4)
	v_cmp_gt_i32_e64 s16, 0, v157
	v_not_b32_e32 v156, v157
	v_not_b32_e32 v157, v160
	v_cmp_gt_i32_e64 s17, 0, v160
	v_cmp_gt_i32_e64 s18, 0, v161
	v_not_b32_e32 v160, v161
	v_not_b32_e32 v161, v162
	v_dual_ashrrev_i32 v156, 31, v156 :: v_dual_bitop2_b32 v62, vcc_lo, v62 bitop3:0x14
	v_dual_ashrrev_i32 v157, 31, v157 :: v_dual_bitop2_b32 v63, s15, v63 bitop3:0x14
	v_cmp_gt_i32_e64 s19, 0, v162
	s_delay_alu instid0(VALU_DEP_4) | instskip(SKIP_1) | instid1(VALU_DEP_4)
	v_dual_ashrrev_i32 v160, 31, v160 :: v_dual_ashrrev_i32 v161, 31, v161
	v_not_b32_e32 v162, v165
	v_xor_b32_e32 v157, s17, v157
	v_bitop3_b32 v62, v62, v63, exec_lo bitop3:0x80
	v_not_b32_e32 v63, v164
	v_xor_b32_e32 v156, s16, v156
	v_cmp_gt_i32_e64 s20, 0, v164
	v_xor_b32_e32 v160, s18, v160
	s_delay_alu instid0(VALU_DEP_4) | instskip(NEXT) | instid1(VALU_DEP_4)
	v_dual_ashrrev_i32 v63, 31, v63 :: v_dual_bitop2_b32 v161, s19, v161 bitop3:0x14
	v_bitop3_b32 v62, v62, v157, v156 bitop3:0x80
	v_cmp_gt_i32_e32 vcc_lo, 0, v165
	v_ashrrev_i32_e32 v156, 31, v162
	v_mad_u32_u24 v157, v158, 36, v25
	v_xor_b32_e32 v63, s20, v63
	v_bitop3_b32 v62, v62, v161, v160 bitop3:0x80
	s_delay_alu instid0(VALU_DEP_4) | instskip(SKIP_3) | instid1(VALU_DEP_2)
	v_xor_b32_e32 v160, vcc_lo, v156
	ds_load_b32 v156, v157 offset:1056
	; wave barrier
	v_bitop3_b32 v62, v62, v160, v63 bitop3:0x80
	v_mul_u32_u24_e32 v63, 36, v158
	v_mbcnt_lo_u32_b32 v157, v62, 0
	v_cmp_ne_u32_e64 s15, 0, v62
	s_delay_alu instid0(VALU_DEP_3) | instskip(NEXT) | instid1(VALU_DEP_3)
	v_add_nc_u32_e32 v158, v25, v63
	v_cmp_eq_u32_e32 vcc_lo, 0, v157
	s_and_b32 s16, s15, vcc_lo
	s_delay_alu instid0(SALU_CYCLE_1)
	s_and_saveexec_b32 s15, s16
	s_cbranch_execz .LBB626_442
; %bb.441:                              ;   in Loop: Header=BB626_396 Depth=2
	s_wait_dscnt 0x0
	v_bcnt_u32_b32 v62, v62, v156
	ds_store_b32 v158, v62 offset:1056
.LBB626_442:                            ;   in Loop: Header=BB626_396 Depth=2
	s_or_b32 exec_lo, exec_lo, s15
	v_xor_b32_e32 v155, 0x80000000, v155
	; wave barrier
	s_delay_alu instid0(VALU_DEP_1) | instskip(NEXT) | instid1(VALU_DEP_1)
	v_lshrrev_b32_e32 v62, s43, v155
	v_and_b32_e32 v162, s48, v62
	s_delay_alu instid0(VALU_DEP_1) | instskip(SKIP_1) | instid1(VALU_DEP_1)
	v_lshlrev_b32_e32 v160, 30, v162
	v_bitop3_b32 v63, v62, 1, s48 bitop3:0x80
	v_add_co_u32 v62, s15, v63, -1
	s_delay_alu instid0(VALU_DEP_1) | instskip(NEXT) | instid1(VALU_DEP_4)
	v_cndmask_b32_e64 v63, 0, 1, s15
	v_cmp_gt_i32_e64 s15, 0, v160
	s_delay_alu instid0(VALU_DEP_2) | instskip(SKIP_1) | instid1(VALU_DEP_1)
	v_cmp_ne_u32_e32 vcc_lo, 0, v63
	v_not_b32_e32 v63, v160
	v_dual_ashrrev_i32 v63, 31, v63 :: v_dual_lshlrev_b32 v161, 29, v162
	v_dual_lshlrev_b32 v164, 28, v162 :: v_dual_lshlrev_b32 v165, 27, v162
	v_dual_lshlrev_b32 v167, 26, v162 :: v_dual_lshlrev_b32 v168, 25, v162
	v_lshlrev_b32_e32 v169, 24, v162
	s_delay_alu instid0(VALU_DEP_4)
	v_cmp_gt_i32_e64 s16, 0, v161
	v_not_b32_e32 v160, v161
	v_not_b32_e32 v161, v164
	v_cmp_gt_i32_e64 s17, 0, v164
	v_cmp_gt_i32_e64 s18, 0, v165
	v_not_b32_e32 v164, v165
	v_not_b32_e32 v165, v167
	v_dual_ashrrev_i32 v160, 31, v160 :: v_dual_bitop2_b32 v62, vcc_lo, v62 bitop3:0x14
	v_dual_ashrrev_i32 v161, 31, v161 :: v_dual_bitop2_b32 v63, s15, v63 bitop3:0x14
	v_cmp_gt_i32_e64 s19, 0, v167
	s_delay_alu instid0(VALU_DEP_4) | instskip(SKIP_1) | instid1(VALU_DEP_4)
	v_dual_ashrrev_i32 v164, 31, v164 :: v_dual_ashrrev_i32 v165, 31, v165
	v_not_b32_e32 v167, v169
	v_xor_b32_e32 v161, s17, v161
	v_bitop3_b32 v62, v62, v63, exec_lo bitop3:0x80
	v_not_b32_e32 v63, v168
	v_xor_b32_e32 v160, s16, v160
	v_cmp_gt_i32_e64 s20, 0, v168
	v_xor_b32_e32 v164, s18, v164
	s_delay_alu instid0(VALU_DEP_4) | instskip(NEXT) | instid1(VALU_DEP_4)
	v_dual_ashrrev_i32 v63, 31, v63 :: v_dual_bitop2_b32 v165, s19, v165 bitop3:0x14
	v_bitop3_b32 v62, v62, v161, v160 bitop3:0x80
	v_cmp_gt_i32_e32 vcc_lo, 0, v169
	v_ashrrev_i32_e32 v160, 31, v167
	v_mad_u32_u24 v161, v162, 36, v25
	v_xor_b32_e32 v63, s20, v63
	v_bitop3_b32 v62, v62, v165, v164 bitop3:0x80
	s_delay_alu instid0(VALU_DEP_4) | instskip(SKIP_3) | instid1(VALU_DEP_2)
	v_xor_b32_e32 v164, vcc_lo, v160
	ds_load_b32 v160, v161 offset:1056
	; wave barrier
	v_bitop3_b32 v62, v62, v164, v63 bitop3:0x80
	v_mul_u32_u24_e32 v63, 36, v162
	v_mbcnt_lo_u32_b32 v161, v62, 0
	v_cmp_ne_u32_e64 s15, 0, v62
	s_delay_alu instid0(VALU_DEP_3) | instskip(NEXT) | instid1(VALU_DEP_3)
	v_add_nc_u32_e32 v162, v25, v63
	v_cmp_eq_u32_e32 vcc_lo, 0, v161
	s_and_b32 s16, s15, vcc_lo
	s_delay_alu instid0(SALU_CYCLE_1)
	s_and_saveexec_b32 s15, s16
	s_cbranch_execz .LBB626_444
; %bb.443:                              ;   in Loop: Header=BB626_396 Depth=2
	s_wait_dscnt 0x0
	v_bcnt_u32_b32 v62, v62, v160
	ds_store_b32 v162, v62 offset:1056
.LBB626_444:                            ;   in Loop: Header=BB626_396 Depth=2
	s_or_b32 exec_lo, exec_lo, s15
	v_xor_b32_e32 v159, 0x80000000, v159
	; wave barrier
	s_delay_alu instid0(VALU_DEP_1) | instskip(NEXT) | instid1(VALU_DEP_1)
	v_lshrrev_b32_e32 v62, s43, v159
	v_bitop3_b32 v63, v62, 1, s48 bitop3:0x80
	v_and_b32_e32 v167, s48, v62
	s_delay_alu instid0(VALU_DEP_2) | instskip(NEXT) | instid1(VALU_DEP_1)
	v_add_co_u32 v62, s15, v63, -1
	v_cndmask_b32_e64 v63, 0, 1, s15
	s_delay_alu instid0(VALU_DEP_3) | instskip(NEXT) | instid1(VALU_DEP_2)
	v_lshlrev_b32_e32 v164, 30, v167
	v_cmp_ne_u32_e32 vcc_lo, 0, v63
	s_delay_alu instid0(VALU_DEP_2) | instskip(NEXT) | instid1(VALU_DEP_1)
	v_not_b32_e32 v63, v164
	v_dual_ashrrev_i32 v63, 31, v63 :: v_dual_bitop2_b32 v62, vcc_lo, v62 bitop3:0x14
	v_dual_lshlrev_b32 v165, 29, v167 :: v_dual_lshlrev_b32 v168, 28, v167
	v_dual_lshlrev_b32 v169, 27, v167 :: v_dual_lshlrev_b32 v170, 26, v167
	v_lshlrev_b32_e32 v171, 25, v167
	v_cmp_gt_i32_e64 s15, 0, v164
	s_delay_alu instid0(VALU_DEP_4)
	v_cmp_gt_i32_e64 s16, 0, v165
	v_not_b32_e32 v164, v165
	v_not_b32_e32 v165, v168
	v_lshlrev_b32_e32 v172, 24, v167
	v_cmp_gt_i32_e64 s17, 0, v168
	v_cmp_gt_i32_e64 s18, 0, v169
	v_not_b32_e32 v168, v169
	v_not_b32_e32 v169, v170
	v_dual_ashrrev_i32 v164, 31, v164 :: v_dual_ashrrev_i32 v165, 31, v165
	v_xor_b32_e32 v63, s15, v63
	v_cmp_gt_i32_e64 s19, 0, v170
	s_delay_alu instid0(VALU_DEP_4)
	v_dual_ashrrev_i32 v168, 31, v168 :: v_dual_ashrrev_i32 v169, 31, v169
	v_not_b32_e32 v170, v172
	v_xor_b32_e32 v165, s17, v165
	v_bitop3_b32 v62, v62, v63, exec_lo bitop3:0x80
	v_not_b32_e32 v63, v171
	v_xor_b32_e32 v164, s16, v164
	v_cmp_gt_i32_e64 s20, 0, v171
	v_xor_b32_e32 v168, s18, v168
	s_delay_alu instid0(VALU_DEP_4) | instskip(NEXT) | instid1(VALU_DEP_4)
	v_dual_ashrrev_i32 v63, 31, v63 :: v_dual_bitop2_b32 v169, s19, v169 bitop3:0x14
	v_bitop3_b32 v62, v62, v165, v164 bitop3:0x80
	v_cmp_gt_i32_e32 vcc_lo, 0, v172
	v_ashrrev_i32_e32 v164, 31, v170
	v_mad_u32_u24 v165, v167, 36, v25
	v_xor_b32_e32 v63, s20, v63
	v_bitop3_b32 v62, v62, v169, v168 bitop3:0x80
	s_delay_alu instid0(VALU_DEP_4) | instskip(SKIP_3) | instid1(VALU_DEP_2)
	v_xor_b32_e32 v168, vcc_lo, v164
	ds_load_b32 v164, v165 offset:1056
	; wave barrier
	v_bitop3_b32 v62, v62, v168, v63 bitop3:0x80
	v_mul_u32_u24_e32 v63, 36, v167
	v_mbcnt_lo_u32_b32 v165, v62, 0
	v_cmp_ne_u32_e64 s15, 0, v62
	s_delay_alu instid0(VALU_DEP_3) | instskip(NEXT) | instid1(VALU_DEP_3)
	v_add_nc_u32_e32 v167, v25, v63
	v_cmp_eq_u32_e32 vcc_lo, 0, v165
	s_and_b32 s16, s15, vcc_lo
	s_delay_alu instid0(SALU_CYCLE_1)
	s_and_saveexec_b32 s15, s16
	s_cbranch_execz .LBB626_446
; %bb.445:                              ;   in Loop: Header=BB626_396 Depth=2
	s_wait_dscnt 0x0
	v_bcnt_u32_b32 v62, v62, v164
	ds_store_b32 v167, v62 offset:1056
.LBB626_446:                            ;   in Loop: Header=BB626_396 Depth=2
	s_or_b32 exec_lo, exec_lo, s15
	v_xor_b32_e32 v163, 0x80000000, v163
	; wave barrier
	s_delay_alu instid0(VALU_DEP_1) | instskip(NEXT) | instid1(VALU_DEP_1)
	v_lshrrev_b32_e32 v62, s43, v163
	v_and_b32_e32 v170, s48, v62
	s_delay_alu instid0(VALU_DEP_1) | instskip(SKIP_1) | instid1(VALU_DEP_1)
	v_lshlrev_b32_e32 v168, 30, v170
	v_bitop3_b32 v63, v62, 1, s48 bitop3:0x80
	v_add_co_u32 v62, s15, v63, -1
	s_delay_alu instid0(VALU_DEP_1) | instskip(NEXT) | instid1(VALU_DEP_4)
	v_cndmask_b32_e64 v63, 0, 1, s15
	v_cmp_gt_i32_e64 s15, 0, v168
	s_delay_alu instid0(VALU_DEP_2) | instskip(SKIP_1) | instid1(VALU_DEP_1)
	v_cmp_ne_u32_e32 vcc_lo, 0, v63
	v_not_b32_e32 v63, v168
	v_dual_ashrrev_i32 v63, 31, v63 :: v_dual_lshlrev_b32 v169, 29, v170
	v_dual_lshlrev_b32 v171, 28, v170 :: v_dual_lshlrev_b32 v172, 27, v170
	v_dual_lshlrev_b32 v173, 26, v170 :: v_dual_lshlrev_b32 v174, 25, v170
	v_lshlrev_b32_e32 v175, 24, v170
	s_delay_alu instid0(VALU_DEP_4)
	v_cmp_gt_i32_e64 s16, 0, v169
	v_not_b32_e32 v168, v169
	v_not_b32_e32 v169, v171
	v_cmp_gt_i32_e64 s17, 0, v171
	v_cmp_gt_i32_e64 s18, 0, v172
	v_not_b32_e32 v171, v172
	v_not_b32_e32 v172, v173
	v_dual_ashrrev_i32 v168, 31, v168 :: v_dual_bitop2_b32 v62, vcc_lo, v62 bitop3:0x14
	v_dual_ashrrev_i32 v169, 31, v169 :: v_dual_bitop2_b32 v63, s15, v63 bitop3:0x14
	v_cmp_gt_i32_e64 s19, 0, v173
	s_delay_alu instid0(VALU_DEP_4) | instskip(NEXT) | instid1(VALU_DEP_3)
	v_dual_ashrrev_i32 v171, 31, v171 :: v_dual_ashrrev_i32 v172, 31, v172
	v_xor_b32_e32 v169, s17, v169
	s_delay_alu instid0(VALU_DEP_4)
	v_bitop3_b32 v62, v62, v63, exec_lo bitop3:0x80
	v_not_b32_e32 v63, v174
	v_xor_b32_e32 v168, s16, v168
	v_not_b32_e32 v173, v175
	v_cmp_gt_i32_e64 s20, 0, v174
	v_xor_b32_e32 v171, s18, v171
	v_dual_ashrrev_i32 v63, 31, v63 :: v_dual_bitop2_b32 v172, s19, v172 bitop3:0x14
	v_bitop3_b32 v62, v62, v169, v168 bitop3:0x80
	v_cmp_gt_i32_e32 vcc_lo, 0, v175
	v_ashrrev_i32_e32 v168, 31, v173
	v_mad_u32_u24 v169, v170, 36, v25
	v_xor_b32_e32 v63, s20, v63
	v_bitop3_b32 v62, v62, v172, v171 bitop3:0x80
	s_delay_alu instid0(VALU_DEP_4) | instskip(SKIP_3) | instid1(VALU_DEP_2)
	v_xor_b32_e32 v171, vcc_lo, v168
	ds_load_b32 v168, v169 offset:1056
	; wave barrier
	v_bitop3_b32 v62, v62, v171, v63 bitop3:0x80
	v_mul_u32_u24_e32 v63, 36, v170
	v_mbcnt_lo_u32_b32 v169, v62, 0
	v_cmp_ne_u32_e64 s15, 0, v62
	s_delay_alu instid0(VALU_DEP_3) | instskip(NEXT) | instid1(VALU_DEP_3)
	v_add_nc_u32_e32 v170, v25, v63
	v_cmp_eq_u32_e32 vcc_lo, 0, v169
	s_and_b32 s16, s15, vcc_lo
	s_delay_alu instid0(SALU_CYCLE_1)
	s_and_saveexec_b32 s15, s16
	s_cbranch_execz .LBB626_448
; %bb.447:                              ;   in Loop: Header=BB626_396 Depth=2
	s_wait_dscnt 0x0
	v_bcnt_u32_b32 v62, v62, v168
	ds_store_b32 v170, v62 offset:1056
.LBB626_448:                            ;   in Loop: Header=BB626_396 Depth=2
	s_or_b32 exec_lo, exec_lo, s15
	v_xor_b32_e32 v166, 0x80000000, v166
	; wave barrier
	s_delay_alu instid0(VALU_DEP_1) | instskip(NEXT) | instid1(VALU_DEP_1)
	v_lshrrev_b32_e32 v62, s43, v166
	v_and_b32_e32 v171, s48, v62
	s_delay_alu instid0(VALU_DEP_1) | instskip(SKIP_1) | instid1(VALU_DEP_1)
	v_lshlrev_b32_e32 v172, 30, v171
	v_bitop3_b32 v63, v62, 1, s48 bitop3:0x80
	v_add_co_u32 v62, s15, v63, -1
	s_delay_alu instid0(VALU_DEP_1) | instskip(NEXT) | instid1(VALU_DEP_4)
	v_cndmask_b32_e64 v63, 0, 1, s15
	v_cmp_gt_i32_e64 s15, 0, v172
	s_delay_alu instid0(VALU_DEP_2) | instskip(SKIP_1) | instid1(VALU_DEP_1)
	v_cmp_ne_u32_e32 vcc_lo, 0, v63
	v_not_b32_e32 v63, v172
	v_ashrrev_i32_e32 v63, 31, v63
	v_dual_lshlrev_b32 v173, 29, v171 :: v_dual_lshlrev_b32 v174, 28, v171
	v_dual_lshlrev_b32 v175, 27, v171 :: v_dual_lshlrev_b32 v176, 26, v171
	;; [unrolled: 1-line block ×3, first 2 shown]
	s_delay_alu instid0(VALU_DEP_3)
	v_cmp_gt_i32_e64 s16, 0, v173
	v_not_b32_e32 v172, v173
	v_not_b32_e32 v173, v174
	v_cmp_gt_i32_e64 s17, 0, v174
	v_cmp_gt_i32_e64 s18, 0, v175
	v_not_b32_e32 v174, v175
	v_not_b32_e32 v175, v176
	v_dual_ashrrev_i32 v172, 31, v172 :: v_dual_bitop2_b32 v62, vcc_lo, v62 bitop3:0x14
	v_dual_ashrrev_i32 v173, 31, v173 :: v_dual_bitop2_b32 v63, s15, v63 bitop3:0x14
	v_cmp_gt_i32_e64 s19, 0, v176
	s_delay_alu instid0(VALU_DEP_4) | instskip(SKIP_1) | instid1(VALU_DEP_4)
	v_dual_ashrrev_i32 v174, 31, v174 :: v_dual_ashrrev_i32 v175, 31, v175
	v_not_b32_e32 v176, v178
	v_xor_b32_e32 v173, s17, v173
	v_bitop3_b32 v62, v62, v63, exec_lo bitop3:0x80
	v_not_b32_e32 v63, v177
	v_xor_b32_e32 v172, s16, v172
	v_cmp_gt_i32_e64 s20, 0, v177
	v_xor_b32_e32 v174, s18, v174
	v_xor_b32_e32 v175, s19, v175
	v_ashrrev_i32_e32 v63, 31, v63
	v_bitop3_b32 v62, v62, v173, v172 bitop3:0x80
	v_cmp_gt_i32_e32 vcc_lo, 0, v178
	v_ashrrev_i32_e32 v172, 31, v176
	v_mad_u32_u24 v173, v171, 36, v25
	v_xor_b32_e32 v63, s20, v63
	v_bitop3_b32 v62, v62, v175, v174 bitop3:0x80
	s_delay_alu instid0(VALU_DEP_4) | instskip(SKIP_3) | instid1(VALU_DEP_2)
	v_xor_b32_e32 v174, vcc_lo, v172
	ds_load_b32 v172, v173 offset:1056
	; wave barrier
	v_bitop3_b32 v62, v62, v174, v63 bitop3:0x80
	v_mul_u32_u24_e32 v63, 36, v171
	v_mbcnt_lo_u32_b32 v173, v62, 0
	v_cmp_ne_u32_e64 s15, 0, v62
	s_delay_alu instid0(VALU_DEP_3) | instskip(NEXT) | instid1(VALU_DEP_3)
	v_add_nc_u32_e32 v174, v25, v63
	v_cmp_eq_u32_e32 vcc_lo, 0, v173
	s_and_b32 s16, s15, vcc_lo
	s_delay_alu instid0(SALU_CYCLE_1)
	s_and_saveexec_b32 s15, s16
	s_cbranch_execz .LBB626_450
; %bb.449:                              ;   in Loop: Header=BB626_396 Depth=2
	s_wait_dscnt 0x0
	v_bcnt_u32_b32 v62, v62, v172
	ds_store_b32 v174, v62 offset:1056
.LBB626_450:                            ;   in Loop: Header=BB626_396 Depth=2
	s_or_b32 exec_lo, exec_lo, s15
	v_xor_b32_e32 v171, 0x80000000, v69
	; wave barrier
	s_delay_alu instid0(VALU_DEP_1) | instskip(NEXT) | instid1(VALU_DEP_1)
	v_lshrrev_b32_e32 v62, s43, v171
	v_and_b32_e32 v69, s48, v62
	s_delay_alu instid0(VALU_DEP_1) | instskip(SKIP_1) | instid1(VALU_DEP_1)
	v_lshlrev_b32_e32 v175, 30, v69
	v_bitop3_b32 v63, v62, 1, s48 bitop3:0x80
	v_add_co_u32 v62, s15, v63, -1
	s_delay_alu instid0(VALU_DEP_1) | instskip(NEXT) | instid1(VALU_DEP_4)
	v_cndmask_b32_e64 v63, 0, 1, s15
	v_cmp_gt_i32_e64 s15, 0, v175
	s_delay_alu instid0(VALU_DEP_2) | instskip(SKIP_1) | instid1(VALU_DEP_1)
	v_cmp_ne_u32_e32 vcc_lo, 0, v63
	v_not_b32_e32 v63, v175
	v_dual_ashrrev_i32 v63, 31, v63 :: v_dual_lshlrev_b32 v176, 29, v69
	v_dual_lshlrev_b32 v177, 28, v69 :: v_dual_lshlrev_b32 v178, 27, v69
	v_dual_lshlrev_b32 v179, 26, v69 :: v_dual_lshlrev_b32 v180, 25, v69
	v_lshlrev_b32_e32 v181, 24, v69
	s_delay_alu instid0(VALU_DEP_4)
	v_cmp_gt_i32_e64 s16, 0, v176
	v_not_b32_e32 v175, v176
	v_not_b32_e32 v176, v177
	v_cmp_gt_i32_e64 s17, 0, v177
	v_cmp_gt_i32_e64 s18, 0, v178
	v_not_b32_e32 v177, v178
	v_not_b32_e32 v178, v179
	v_dual_ashrrev_i32 v175, 31, v175 :: v_dual_bitop2_b32 v62, vcc_lo, v62 bitop3:0x14
	v_dual_ashrrev_i32 v176, 31, v176 :: v_dual_bitop2_b32 v63, s15, v63 bitop3:0x14
	v_cmp_gt_i32_e64 s19, 0, v179
	s_delay_alu instid0(VALU_DEP_4) | instskip(NEXT) | instid1(VALU_DEP_4)
	v_dual_ashrrev_i32 v177, 31, v177 :: v_dual_ashrrev_i32 v178, 31, v178
	v_xor_b32_e32 v175, s16, v175
	s_delay_alu instid0(VALU_DEP_4)
	v_bitop3_b32 v62, v62, v63, exec_lo bitop3:0x80
	v_not_b32_e32 v63, v180
	v_xor_b32_e32 v176, s17, v176
	v_not_b32_e32 v179, v181
	v_cmp_gt_i32_e64 s20, 0, v180
	v_xor_b32_e32 v177, s18, v177
	v_dual_ashrrev_i32 v63, 31, v63 :: v_dual_bitop2_b32 v178, s19, v178 bitop3:0x14
	v_bitop3_b32 v62, v62, v176, v175 bitop3:0x80
	v_cmp_gt_i32_e32 vcc_lo, 0, v181
	v_ashrrev_i32_e32 v175, 31, v179
	v_mad_u32_u24 v176, v69, 36, v25
	v_xor_b32_e32 v63, s20, v63
	v_bitop3_b32 v62, v62, v178, v177 bitop3:0x80
	s_delay_alu instid0(VALU_DEP_4) | instskip(SKIP_3) | instid1(VALU_DEP_2)
	v_xor_b32_e32 v175, vcc_lo, v175
	ds_load_b32 v176, v176 offset:1056
	; wave barrier
	v_bitop3_b32 v62, v62, v175, v63 bitop3:0x80
	v_mul_u32_u24_e32 v63, 36, v69
	v_mbcnt_lo_u32_b32 v177, v62, 0
	v_cmp_ne_u32_e64 s15, 0, v62
	s_delay_alu instid0(VALU_DEP_3) | instskip(NEXT) | instid1(VALU_DEP_3)
	v_add_nc_u32_e32 v178, v25, v63
	v_cmp_eq_u32_e32 vcc_lo, 0, v177
	s_and_b32 s16, s15, vcc_lo
	s_delay_alu instid0(SALU_CYCLE_1)
	s_and_saveexec_b32 s15, s16
	s_cbranch_execz .LBB626_452
; %bb.451:                              ;   in Loop: Header=BB626_396 Depth=2
	s_wait_dscnt 0x0
	v_bcnt_u32_b32 v62, v62, v176
	ds_store_b32 v178, v62 offset:1056
.LBB626_452:                            ;   in Loop: Header=BB626_396 Depth=2
	s_or_b32 exec_lo, exec_lo, s15
	v_xor_b32_e32 v175, 0x80000000, v68
	; wave barrier
	s_delay_alu instid0(VALU_DEP_1) | instskip(NEXT) | instid1(VALU_DEP_1)
	v_lshrrev_b32_e32 v62, s43, v175
	v_and_b32_e32 v68, s48, v62
	s_delay_alu instid0(VALU_DEP_1) | instskip(SKIP_1) | instid1(VALU_DEP_1)
	v_lshlrev_b32_e32 v69, 30, v68
	v_bitop3_b32 v63, v62, 1, s48 bitop3:0x80
	v_add_co_u32 v62, s15, v63, -1
	s_delay_alu instid0(VALU_DEP_1) | instskip(NEXT) | instid1(VALU_DEP_4)
	v_cndmask_b32_e64 v63, 0, 1, s15
	v_cmp_gt_i32_e64 s15, 0, v69
	s_delay_alu instid0(VALU_DEP_2) | instskip(SKIP_1) | instid1(VALU_DEP_1)
	v_cmp_ne_u32_e32 vcc_lo, 0, v63
	v_not_b32_e32 v63, v69
	v_dual_ashrrev_i32 v63, 31, v63 :: v_dual_lshlrev_b32 v179, 29, v68
	v_dual_lshlrev_b32 v180, 28, v68 :: v_dual_lshlrev_b32 v181, 27, v68
	v_dual_lshlrev_b32 v182, 26, v68 :: v_dual_lshlrev_b32 v183, 25, v68
	v_lshlrev_b32_e32 v184, 24, v68
	s_delay_alu instid0(VALU_DEP_4)
	v_cmp_gt_i32_e64 s16, 0, v179
	v_not_b32_e32 v69, v179
	v_not_b32_e32 v179, v180
	v_cmp_gt_i32_e64 s17, 0, v180
	v_cmp_gt_i32_e64 s18, 0, v181
	v_not_b32_e32 v180, v181
	v_not_b32_e32 v181, v182
	v_dual_ashrrev_i32 v69, 31, v69 :: v_dual_bitop2_b32 v62, vcc_lo, v62 bitop3:0x14
	s_delay_alu instid0(VALU_DEP_3) | instskip(NEXT) | instid1(VALU_DEP_3)
	v_dual_ashrrev_i32 v179, 31, v179 :: v_dual_ashrrev_i32 v180, 31, v180
	v_dual_ashrrev_i32 v181, 31, v181 :: v_dual_bitop2_b32 v63, s15, v63 bitop3:0x14
	v_cmp_gt_i32_e64 s19, 0, v182
	v_not_b32_e32 v182, v184
	s_delay_alu instid0(VALU_DEP_4) | instskip(NEXT) | instid1(VALU_DEP_4)
	v_xor_b32_e32 v179, s17, v179
	v_bitop3_b32 v62, v62, v63, exec_lo bitop3:0x80
	v_not_b32_e32 v63, v183
	v_xor_b32_e32 v69, s16, v69
	v_cmp_gt_i32_e64 s20, 0, v183
	v_xor_b32_e32 v180, s18, v180
	s_delay_alu instid0(VALU_DEP_4) | instskip(NEXT) | instid1(VALU_DEP_4)
	v_dual_ashrrev_i32 v63, 31, v63 :: v_dual_bitop2_b32 v181, s19, v181 bitop3:0x14
	v_bitop3_b32 v62, v62, v179, v69 bitop3:0x80
	v_cmp_gt_i32_e32 vcc_lo, 0, v184
	v_ashrrev_i32_e32 v69, 31, v182
	v_mad_u32_u24 v179, v68, 36, v25
	v_xor_b32_e32 v63, s20, v63
	v_bitop3_b32 v62, v62, v181, v180 bitop3:0x80
	s_delay_alu instid0(VALU_DEP_4) | instskip(SKIP_3) | instid1(VALU_DEP_2)
	v_xor_b32_e32 v69, vcc_lo, v69
	ds_load_b32 v180, v179 offset:1056
	; wave barrier
	v_bitop3_b32 v62, v62, v69, v63 bitop3:0x80
	v_mul_u32_u24_e32 v63, 36, v68
	v_mbcnt_lo_u32_b32 v181, v62, 0
	v_cmp_ne_u32_e64 s15, 0, v62
	s_delay_alu instid0(VALU_DEP_3) | instskip(NEXT) | instid1(VALU_DEP_3)
	v_add_nc_u32_e32 v182, v25, v63
	v_cmp_eq_u32_e32 vcc_lo, 0, v181
	s_and_b32 s16, s15, vcc_lo
	s_delay_alu instid0(SALU_CYCLE_1)
	s_and_saveexec_b32 s15, s16
	s_cbranch_execz .LBB626_454
; %bb.453:                              ;   in Loop: Header=BB626_396 Depth=2
	s_wait_dscnt 0x0
	v_bcnt_u32_b32 v62, v62, v180
	ds_store_b32 v182, v62 offset:1056
.LBB626_454:                            ;   in Loop: Header=BB626_396 Depth=2
	s_or_b32 exec_lo, exec_lo, s15
	v_xor_b32_e32 v179, 0x80000000, v67
	; wave barrier
	s_delay_alu instid0(VALU_DEP_1) | instskip(NEXT) | instid1(VALU_DEP_1)
	v_lshrrev_b32_e32 v62, s43, v179
	v_bitop3_b32 v63, v62, 1, s48 bitop3:0x80
	v_and_b32_e32 v67, s48, v62
	s_delay_alu instid0(VALU_DEP_2) | instskip(NEXT) | instid1(VALU_DEP_1)
	v_add_co_u32 v62, s15, v63, -1
	v_cndmask_b32_e64 v63, 0, 1, s15
	s_delay_alu instid0(VALU_DEP_3) | instskip(NEXT) | instid1(VALU_DEP_2)
	v_lshlrev_b32_e32 v68, 30, v67
	v_cmp_ne_u32_e32 vcc_lo, 0, v63
	s_delay_alu instid0(VALU_DEP_2) | instskip(NEXT) | instid1(VALU_DEP_1)
	v_not_b32_e32 v63, v68
	v_dual_ashrrev_i32 v63, 31, v63 :: v_dual_bitop2_b32 v62, vcc_lo, v62 bitop3:0x14
	v_dual_lshlrev_b32 v69, 29, v67 :: v_dual_lshlrev_b32 v183, 28, v67
	v_dual_lshlrev_b32 v184, 27, v67 :: v_dual_lshlrev_b32 v185, 26, v67
	v_lshlrev_b32_e32 v186, 25, v67
	v_cmp_gt_i32_e64 s15, 0, v68
	s_delay_alu instid0(VALU_DEP_4)
	v_cmp_gt_i32_e64 s16, 0, v69
	v_not_b32_e32 v68, v69
	v_not_b32_e32 v69, v183
	v_lshlrev_b32_e32 v187, 24, v67
	v_cmp_gt_i32_e64 s17, 0, v183
	v_cmp_gt_i32_e64 s18, 0, v184
	v_not_b32_e32 v183, v184
	v_not_b32_e32 v184, v185
	v_dual_ashrrev_i32 v68, 31, v68 :: v_dual_ashrrev_i32 v69, 31, v69
	v_xor_b32_e32 v63, s15, v63
	v_cmp_gt_i32_e64 s19, 0, v185
	s_delay_alu instid0(VALU_DEP_4) | instskip(NEXT) | instid1(VALU_DEP_4)
	v_dual_ashrrev_i32 v183, 31, v183 :: v_dual_ashrrev_i32 v184, 31, v184
	v_xor_b32_e32 v69, s17, v69
	s_delay_alu instid0(VALU_DEP_4)
	v_bitop3_b32 v62, v62, v63, exec_lo bitop3:0x80
	v_not_b32_e32 v63, v186
	v_xor_b32_e32 v68, s16, v68
	v_not_b32_e32 v185, v187
	v_cmp_gt_i32_e64 s20, 0, v186
	v_xor_b32_e32 v183, s18, v183
	v_dual_ashrrev_i32 v63, 31, v63 :: v_dual_bitop2_b32 v184, s19, v184 bitop3:0x14
	v_bitop3_b32 v62, v62, v69, v68 bitop3:0x80
	v_cmp_gt_i32_e32 vcc_lo, 0, v187
	v_ashrrev_i32_e32 v68, 31, v185
	v_mad_u32_u24 v69, v67, 36, v25
	v_xor_b32_e32 v63, s20, v63
	v_bitop3_b32 v62, v62, v184, v183 bitop3:0x80
	s_delay_alu instid0(VALU_DEP_4) | instskip(SKIP_3) | instid1(VALU_DEP_2)
	v_xor_b32_e32 v68, vcc_lo, v68
	ds_load_b32 v184, v69 offset:1056
	; wave barrier
	v_bitop3_b32 v62, v62, v68, v63 bitop3:0x80
	v_mul_u32_u24_e32 v63, 36, v67
	v_mbcnt_lo_u32_b32 v185, v62, 0
	v_cmp_ne_u32_e64 s15, 0, v62
	s_delay_alu instid0(VALU_DEP_3) | instskip(NEXT) | instid1(VALU_DEP_3)
	v_add_nc_u32_e32 v186, v25, v63
	v_cmp_eq_u32_e32 vcc_lo, 0, v185
	s_and_b32 s16, s15, vcc_lo
	s_delay_alu instid0(SALU_CYCLE_1)
	s_and_saveexec_b32 s15, s16
	s_cbranch_execz .LBB626_456
; %bb.455:                              ;   in Loop: Header=BB626_396 Depth=2
	s_wait_dscnt 0x0
	v_bcnt_u32_b32 v62, v62, v184
	ds_store_b32 v186, v62 offset:1056
.LBB626_456:                            ;   in Loop: Header=BB626_396 Depth=2
	s_or_b32 exec_lo, exec_lo, s15
	v_xor_b32_e32 v183, 0x80000000, v66
	; wave barrier
	s_delay_alu instid0(VALU_DEP_1) | instskip(NEXT) | instid1(VALU_DEP_1)
	v_lshrrev_b32_e32 v62, s43, v183
	v_and_b32_e32 v66, s48, v62
	s_delay_alu instid0(VALU_DEP_1) | instskip(SKIP_1) | instid1(VALU_DEP_1)
	v_lshlrev_b32_e32 v67, 30, v66
	v_bitop3_b32 v63, v62, 1, s48 bitop3:0x80
	v_add_co_u32 v62, s15, v63, -1
	s_delay_alu instid0(VALU_DEP_1) | instskip(NEXT) | instid1(VALU_DEP_4)
	v_cndmask_b32_e64 v63, 0, 1, s15
	v_cmp_gt_i32_e64 s15, 0, v67
	s_delay_alu instid0(VALU_DEP_2) | instskip(SKIP_1) | instid1(VALU_DEP_1)
	v_cmp_ne_u32_e32 vcc_lo, 0, v63
	v_not_b32_e32 v63, v67
	v_dual_ashrrev_i32 v63, 31, v63 :: v_dual_lshlrev_b32 v68, 29, v66
	v_dual_lshlrev_b32 v69, 28, v66 :: v_dual_lshlrev_b32 v187, 27, v66
	v_dual_lshlrev_b32 v188, 26, v66 :: v_dual_lshlrev_b32 v189, 25, v66
	v_lshlrev_b32_e32 v190, 24, v66
	s_delay_alu instid0(VALU_DEP_4)
	v_cmp_gt_i32_e64 s16, 0, v68
	v_not_b32_e32 v67, v68
	v_not_b32_e32 v68, v69
	v_cmp_gt_i32_e64 s17, 0, v69
	v_cmp_gt_i32_e64 s18, 0, v187
	v_not_b32_e32 v69, v187
	v_not_b32_e32 v187, v188
	v_dual_ashrrev_i32 v67, 31, v67 :: v_dual_bitop2_b32 v62, vcc_lo, v62 bitop3:0x14
	v_dual_ashrrev_i32 v68, 31, v68 :: v_dual_bitop2_b32 v63, s15, v63 bitop3:0x14
	v_cmp_gt_i32_e64 s19, 0, v188
	s_delay_alu instid0(VALU_DEP_4) | instskip(NEXT) | instid1(VALU_DEP_4)
	v_dual_ashrrev_i32 v69, 31, v69 :: v_dual_ashrrev_i32 v187, 31, v187
	v_xor_b32_e32 v67, s16, v67
	s_delay_alu instid0(VALU_DEP_4)
	v_bitop3_b32 v62, v62, v63, exec_lo bitop3:0x80
	v_not_b32_e32 v63, v189
	v_xor_b32_e32 v68, s17, v68
	v_not_b32_e32 v188, v190
	v_cmp_gt_i32_e64 s20, 0, v189
	v_xor_b32_e32 v69, s18, v69
	v_xor_b32_e32 v187, s19, v187
	v_ashrrev_i32_e32 v63, 31, v63
	v_bitop3_b32 v62, v62, v68, v67 bitop3:0x80
	v_cmp_gt_i32_e32 vcc_lo, 0, v190
	v_ashrrev_i32_e32 v67, 31, v188
	v_mad_u32_u24 v68, v66, 36, v25
	v_xor_b32_e32 v63, s20, v63
	v_bitop3_b32 v62, v62, v187, v69 bitop3:0x80
	s_delay_alu instid0(VALU_DEP_4) | instskip(SKIP_3) | instid1(VALU_DEP_2)
	v_xor_b32_e32 v67, vcc_lo, v67
	ds_load_b32 v188, v68 offset:1056
	; wave barrier
	v_bitop3_b32 v62, v62, v67, v63 bitop3:0x80
	v_mul_u32_u24_e32 v63, 36, v66
	v_mbcnt_lo_u32_b32 v189, v62, 0
	v_cmp_ne_u32_e64 s15, 0, v62
	s_delay_alu instid0(VALU_DEP_3) | instskip(NEXT) | instid1(VALU_DEP_3)
	v_add_nc_u32_e32 v190, v25, v63
	v_cmp_eq_u32_e32 vcc_lo, 0, v189
	s_and_b32 s16, s15, vcc_lo
	s_delay_alu instid0(SALU_CYCLE_1)
	s_and_saveexec_b32 s15, s16
	s_cbranch_execz .LBB626_458
; %bb.457:                              ;   in Loop: Header=BB626_396 Depth=2
	s_wait_dscnt 0x0
	v_bcnt_u32_b32 v62, v62, v188
	ds_store_b32 v190, v62 offset:1056
.LBB626_458:                            ;   in Loop: Header=BB626_396 Depth=2
	s_or_b32 exec_lo, exec_lo, s15
	v_xor_b32_e32 v187, 0x80000000, v65
	; wave barrier
	s_delay_alu instid0(VALU_DEP_1) | instskip(NEXT) | instid1(VALU_DEP_1)
	v_lshrrev_b32_e32 v62, s43, v187
	v_and_b32_e32 v65, s48, v62
	s_delay_alu instid0(VALU_DEP_1) | instskip(SKIP_1) | instid1(VALU_DEP_1)
	v_lshlrev_b32_e32 v66, 30, v65
	v_bitop3_b32 v63, v62, 1, s48 bitop3:0x80
	v_add_co_u32 v62, s15, v63, -1
	s_delay_alu instid0(VALU_DEP_1) | instskip(NEXT) | instid1(VALU_DEP_4)
	v_cndmask_b32_e64 v63, 0, 1, s15
	v_cmp_gt_i32_e64 s15, 0, v66
	s_delay_alu instid0(VALU_DEP_2) | instskip(SKIP_1) | instid1(VALU_DEP_1)
	v_cmp_ne_u32_e32 vcc_lo, 0, v63
	v_not_b32_e32 v63, v66
	v_dual_ashrrev_i32 v63, 31, v63 :: v_dual_lshlrev_b32 v67, 29, v65
	v_dual_lshlrev_b32 v68, 28, v65 :: v_dual_lshlrev_b32 v69, 27, v65
	v_dual_lshlrev_b32 v191, 26, v65 :: v_dual_lshlrev_b32 v192, 25, v65
	v_lshlrev_b32_e32 v193, 24, v65
	s_delay_alu instid0(VALU_DEP_4)
	v_cmp_gt_i32_e64 s16, 0, v67
	v_not_b32_e32 v66, v67
	v_not_b32_e32 v67, v68
	v_cmp_gt_i32_e64 s17, 0, v68
	v_cmp_gt_i32_e64 s18, 0, v69
	v_not_b32_e32 v68, v69
	v_not_b32_e32 v69, v191
	v_dual_ashrrev_i32 v67, 31, v67 :: v_dual_bitop2_b32 v62, vcc_lo, v62 bitop3:0x14
	v_dual_ashrrev_i32 v66, 31, v66 :: v_dual_bitop2_b32 v63, s15, v63 bitop3:0x14
	v_cmp_gt_i32_e64 s19, 0, v191
	s_delay_alu instid0(VALU_DEP_4) | instskip(NEXT) | instid1(VALU_DEP_4)
	v_dual_ashrrev_i32 v68, 31, v68 :: v_dual_ashrrev_i32 v69, 31, v69
	v_xor_b32_e32 v67, s17, v67
	s_delay_alu instid0(VALU_DEP_4)
	v_bitop3_b32 v62, v62, v63, exec_lo bitop3:0x80
	v_not_b32_e32 v63, v192
	v_xor_b32_e32 v66, s16, v66
	v_not_b32_e32 v191, v193
	v_cmp_gt_i32_e64 s20, 0, v192
	v_xor_b32_e32 v68, s18, v68
	v_dual_ashrrev_i32 v63, 31, v63 :: v_dual_bitop2_b32 v69, s19, v69 bitop3:0x14
	v_bitop3_b32 v62, v62, v67, v66 bitop3:0x80
	v_cmp_gt_i32_e32 vcc_lo, 0, v193
	v_ashrrev_i32_e32 v66, 31, v191
	v_mad_u32_u24 v67, v65, 36, v25
	v_xor_b32_e32 v63, s20, v63
	v_bitop3_b32 v62, v62, v69, v68 bitop3:0x80
	s_delay_alu instid0(VALU_DEP_4) | instskip(SKIP_3) | instid1(VALU_DEP_2)
	v_xor_b32_e32 v66, vcc_lo, v66
	ds_load_b32 v192, v67 offset:1056
	; wave barrier
	v_bitop3_b32 v62, v62, v66, v63 bitop3:0x80
	v_mul_u32_u24_e32 v63, 36, v65
	v_mbcnt_lo_u32_b32 v193, v62, 0
	v_cmp_ne_u32_e64 s15, 0, v62
	s_delay_alu instid0(VALU_DEP_3) | instskip(NEXT) | instid1(VALU_DEP_3)
	v_add_nc_u32_e32 v194, v25, v63
	v_cmp_eq_u32_e32 vcc_lo, 0, v193
	s_and_b32 s16, s15, vcc_lo
	s_delay_alu instid0(SALU_CYCLE_1)
	s_and_saveexec_b32 s15, s16
	s_cbranch_execz .LBB626_460
; %bb.459:                              ;   in Loop: Header=BB626_396 Depth=2
	s_wait_dscnt 0x0
	v_bcnt_u32_b32 v62, v62, v192
	ds_store_b32 v194, v62 offset:1056
.LBB626_460:                            ;   in Loop: Header=BB626_396 Depth=2
	s_or_b32 exec_lo, exec_lo, s15
	v_xor_b32_e32 v191, 0x80000000, v64
	; wave barrier
	s_delay_alu instid0(VALU_DEP_1) | instskip(NEXT) | instid1(VALU_DEP_1)
	v_lshrrev_b32_e32 v62, s43, v191
	v_and_b32_e32 v64, s48, v62
	s_delay_alu instid0(VALU_DEP_1) | instskip(SKIP_1) | instid1(VALU_DEP_1)
	v_lshlrev_b32_e32 v65, 30, v64
	v_bitop3_b32 v63, v62, 1, s48 bitop3:0x80
	v_add_co_u32 v62, s15, v63, -1
	s_delay_alu instid0(VALU_DEP_1) | instskip(NEXT) | instid1(VALU_DEP_4)
	v_cndmask_b32_e64 v63, 0, 1, s15
	v_cmp_gt_i32_e64 s15, 0, v65
	s_delay_alu instid0(VALU_DEP_2) | instskip(SKIP_1) | instid1(VALU_DEP_1)
	v_cmp_ne_u32_e32 vcc_lo, 0, v63
	v_not_b32_e32 v63, v65
	v_dual_ashrrev_i32 v63, 31, v63 :: v_dual_lshlrev_b32 v66, 29, v64
	v_dual_lshlrev_b32 v67, 28, v64 :: v_dual_lshlrev_b32 v68, 27, v64
	v_dual_lshlrev_b32 v69, 26, v64 :: v_dual_lshlrev_b32 v195, 25, v64
	v_lshlrev_b32_e32 v196, 24, v64
	s_delay_alu instid0(VALU_DEP_4)
	v_cmp_gt_i32_e64 s16, 0, v66
	v_not_b32_e32 v65, v66
	v_not_b32_e32 v66, v67
	v_cmp_gt_i32_e64 s17, 0, v67
	v_cmp_gt_i32_e64 s18, 0, v68
	v_not_b32_e32 v67, v68
	v_not_b32_e32 v68, v69
	v_dual_ashrrev_i32 v65, 31, v65 :: v_dual_bitop2_b32 v62, vcc_lo, v62 bitop3:0x14
	v_dual_ashrrev_i32 v66, 31, v66 :: v_dual_bitop2_b32 v63, s15, v63 bitop3:0x14
	v_cmp_gt_i32_e64 s19, 0, v69
	s_delay_alu instid0(VALU_DEP_4) | instskip(SKIP_1) | instid1(VALU_DEP_4)
	v_dual_ashrrev_i32 v67, 31, v67 :: v_dual_ashrrev_i32 v68, 31, v68
	v_not_b32_e32 v69, v196
	v_xor_b32_e32 v66, s17, v66
	v_bitop3_b32 v62, v62, v63, exec_lo bitop3:0x80
	v_not_b32_e32 v63, v195
	v_xor_b32_e32 v65, s16, v65
	v_cmp_gt_i32_e64 s20, 0, v195
	v_xor_b32_e32 v67, s18, v67
	s_delay_alu instid0(VALU_DEP_4) | instskip(NEXT) | instid1(VALU_DEP_4)
	v_dual_ashrrev_i32 v63, 31, v63 :: v_dual_bitop2_b32 v68, s19, v68 bitop3:0x14
	v_bitop3_b32 v62, v62, v66, v65 bitop3:0x80
	v_cmp_gt_i32_e32 vcc_lo, 0, v196
	v_ashrrev_i32_e32 v65, 31, v69
	v_mad_u32_u24 v66, v64, 36, v25
	v_xor_b32_e32 v63, s20, v63
	v_bitop3_b32 v62, v62, v68, v67 bitop3:0x80
	s_delay_alu instid0(VALU_DEP_4) | instskip(SKIP_3) | instid1(VALU_DEP_2)
	v_xor_b32_e32 v65, vcc_lo, v65
	ds_load_b32 v195, v66 offset:1056
	; wave barrier
	v_bitop3_b32 v62, v62, v65, v63 bitop3:0x80
	v_mul_u32_u24_e32 v63, 36, v64
	v_mbcnt_lo_u32_b32 v196, v62, 0
	v_cmp_ne_u32_e64 s15, 0, v62
	s_delay_alu instid0(VALU_DEP_3) | instskip(NEXT) | instid1(VALU_DEP_3)
	v_add_nc_u32_e32 v197, v25, v63
	v_cmp_eq_u32_e32 vcc_lo, 0, v196
	s_and_b32 s16, s15, vcc_lo
	s_delay_alu instid0(SALU_CYCLE_1)
	s_and_saveexec_b32 s15, s16
	s_cbranch_execz .LBB626_462
; %bb.461:                              ;   in Loop: Header=BB626_396 Depth=2
	s_wait_dscnt 0x0
	v_bcnt_u32_b32 v62, v62, v195
	ds_store_b32 v197, v62 offset:1056
.LBB626_462:                            ;   in Loop: Header=BB626_396 Depth=2
	s_or_b32 exec_lo, exec_lo, s15
	v_lshrrev_b32_e32 v62, s43, v138
	; wave barrier
	s_delay_alu instid0(VALU_DEP_1) | instskip(NEXT) | instid1(VALU_DEP_1)
	v_and_b32_e32 v64, s48, v62
	v_lshlrev_b32_e32 v65, 30, v64
	v_bitop3_b32 v63, v62, 1, s48 bitop3:0x80
	s_delay_alu instid0(VALU_DEP_1) | instskip(NEXT) | instid1(VALU_DEP_1)
	v_add_co_u32 v62, s15, v63, -1
	v_cndmask_b32_e64 v63, 0, 1, s15
	s_delay_alu instid0(VALU_DEP_4) | instskip(NEXT) | instid1(VALU_DEP_2)
	v_cmp_gt_i32_e64 s15, 0, v65
	v_cmp_ne_u32_e32 vcc_lo, 0, v63
	v_not_b32_e32 v63, v65
	s_delay_alu instid0(VALU_DEP_1) | instskip(SKIP_3) | instid1(VALU_DEP_4)
	v_dual_ashrrev_i32 v63, 31, v63 :: v_dual_lshlrev_b32 v66, 29, v64
	v_dual_lshlrev_b32 v67, 28, v64 :: v_dual_lshlrev_b32 v68, 27, v64
	v_dual_lshlrev_b32 v69, 26, v64 :: v_dual_lshlrev_b32 v198, 25, v64
	v_lshlrev_b32_e32 v199, 24, v64
	v_cmp_gt_i32_e64 s16, 0, v66
	v_not_b32_e32 v65, v66
	v_not_b32_e32 v66, v67
	v_cmp_gt_i32_e64 s17, 0, v67
	v_xor_b32_e32 v62, vcc_lo, v62
	s_delay_alu instid0(VALU_DEP_4) | instskip(NEXT) | instid1(VALU_DEP_4)
	v_dual_ashrrev_i32 v65, 31, v65 :: v_dual_bitop2_b32 v63, s15, v63 bitop3:0x14
	v_ashrrev_i32_e32 v66, 31, v66
	v_cmp_gt_i32_e64 s18, 0, v68
	v_not_b32_e32 v67, v68
	v_not_b32_e32 v68, v69
	v_xor_b32_e32 v65, s16, v65
	v_xor_b32_e32 v66, s17, v66
	v_bitop3_b32 v62, v62, v63, exec_lo bitop3:0x80
	v_ashrrev_i32_e32 v63, 31, v67
	v_cmp_gt_i32_e32 vcc_lo, 0, v69
	v_ashrrev_i32_e32 v67, 31, v68
	v_not_b32_e32 v68, v198
	v_bitop3_b32 v62, v62, v66, v65 bitop3:0x80
	v_not_b32_e32 v65, v199
	v_xor_b32_e32 v63, s18, v63
	v_xor_b32_e32 v66, vcc_lo, v67
	v_cmp_gt_i32_e32 vcc_lo, 0, v198
	v_ashrrev_i32_e32 v67, 31, v68
	v_cmp_gt_i32_e64 s15, 0, v199
	v_ashrrev_i32_e32 v65, 31, v65
	v_mad_u32_u24 v68, v64, 36, v25
	v_bitop3_b32 v62, v62, v66, v63 bitop3:0x80
	v_xor_b32_e32 v63, vcc_lo, v67
	s_delay_alu instid0(VALU_DEP_4) | instskip(SKIP_3) | instid1(VALU_DEP_2)
	v_xor_b32_e32 v65, s15, v65
	ds_load_b32 v198, v68 offset:1056
	; wave barrier
	v_bitop3_b32 v62, v62, v65, v63 bitop3:0x80
	v_mul_u32_u24_e32 v63, 36, v64
	v_mbcnt_lo_u32_b32 v199, v62, 0
	v_cmp_ne_u32_e64 s15, 0, v62
	s_delay_alu instid0(VALU_DEP_3) | instskip(NEXT) | instid1(VALU_DEP_3)
	v_add_nc_u32_e32 v200, v25, v63
	v_cmp_eq_u32_e32 vcc_lo, 0, v199
	s_and_b32 s16, s15, vcc_lo
	s_delay_alu instid0(SALU_CYCLE_1)
	s_and_saveexec_b32 s15, s16
	s_cbranch_execz .LBB626_464
; %bb.463:                              ;   in Loop: Header=BB626_396 Depth=2
	s_wait_dscnt 0x0
	v_bcnt_u32_b32 v62, v62, v198
	ds_store_b32 v200, v62 offset:1056
.LBB626_464:                            ;   in Loop: Header=BB626_396 Depth=2
	s_or_b32 exec_lo, exec_lo, s15
	; wave barrier
	s_wait_dscnt 0x0
	s_barrier_signal -1
	s_barrier_wait -1
	ds_load_2addr_b32 v[68:69], v117 offset1:1
	ds_load_2addr_b32 v[66:67], v118 offset1:1
	;; [unrolled: 1-line block ×4, first 2 shown]
	ds_load_b32 v201, v91 offset:1088
	s_wait_dscnt 0x3
	v_add3_u32 v202, v69, v68, v66
	s_wait_dscnt 0x2
	s_delay_alu instid0(VALU_DEP_1) | instskip(SKIP_1) | instid1(VALU_DEP_1)
	v_add3_u32 v202, v202, v67, v64
	s_wait_dscnt 0x1
	v_add3_u32 v202, v202, v65, v62
	s_wait_dscnt 0x0
	s_delay_alu instid0(VALU_DEP_1) | instskip(NEXT) | instid1(VALU_DEP_1)
	v_add3_u32 v201, v202, v63, v201
	v_mov_b32_dpp v202, v201 row_shr:1 row_mask:0xf bank_mask:0xf
	s_delay_alu instid0(VALU_DEP_1) | instskip(NEXT) | instid1(VALU_DEP_1)
	v_cndmask_b32_e64 v202, v202, 0, s7
	v_add_nc_u32_e32 v201, v202, v201
	s_delay_alu instid0(VALU_DEP_1) | instskip(NEXT) | instid1(VALU_DEP_1)
	v_mov_b32_dpp v202, v201 row_shr:2 row_mask:0xf bank_mask:0xf
	v_cndmask_b32_e64 v202, 0, v202, s8
	s_delay_alu instid0(VALU_DEP_1) | instskip(NEXT) | instid1(VALU_DEP_1)
	v_add_nc_u32_e32 v201, v201, v202
	v_mov_b32_dpp v202, v201 row_shr:4 row_mask:0xf bank_mask:0xf
	s_delay_alu instid0(VALU_DEP_1) | instskip(NEXT) | instid1(VALU_DEP_1)
	v_cndmask_b32_e64 v202, 0, v202, s9
	v_add_nc_u32_e32 v201, v201, v202
	s_delay_alu instid0(VALU_DEP_1) | instskip(NEXT) | instid1(VALU_DEP_1)
	v_mov_b32_dpp v202, v201 row_shr:8 row_mask:0xf bank_mask:0xf
	v_cndmask_b32_e64 v202, 0, v202, s10
	s_delay_alu instid0(VALU_DEP_1) | instskip(SKIP_3) | instid1(VALU_DEP_1)
	v_add_nc_u32_e32 v201, v201, v202
	ds_swizzle_b32 v202, v201 offset:swizzle(BROADCAST,32,15)
	s_wait_dscnt 0x0
	v_cndmask_b32_e64 v202, v202, 0, s11
	v_add_nc_u32_e32 v201, v201, v202
	s_and_saveexec_b32 s15, s1
; %bb.465:                              ;   in Loop: Header=BB626_396 Depth=2
	ds_store_b32 v85, v201 offset:1024
; %bb.466:                              ;   in Loop: Header=BB626_396 Depth=2
	s_or_b32 exec_lo, exec_lo, s15
	s_wait_dscnt 0x0
	s_barrier_signal -1
	s_barrier_wait -1
	s_and_saveexec_b32 s15, s4
	s_cbranch_execz .LBB626_468
; %bb.467:                              ;   in Loop: Header=BB626_396 Depth=2
	ds_load_b32 v202, v93 offset:1024
	s_wait_dscnt 0x0
	v_mov_b32_dpp v203, v202 row_shr:1 row_mask:0xf bank_mask:0xf
	s_delay_alu instid0(VALU_DEP_1) | instskip(NEXT) | instid1(VALU_DEP_1)
	v_cndmask_b32_e64 v203, v203, 0, s12
	v_add_nc_u32_e32 v202, v203, v202
	s_delay_alu instid0(VALU_DEP_1) | instskip(NEXT) | instid1(VALU_DEP_1)
	v_mov_b32_dpp v203, v202 row_shr:2 row_mask:0xf bank_mask:0xf
	v_cndmask_b32_e64 v203, 0, v203, s13
	s_delay_alu instid0(VALU_DEP_1) | instskip(NEXT) | instid1(VALU_DEP_1)
	v_add_nc_u32_e32 v202, v202, v203
	v_mov_b32_dpp v203, v202 row_shr:4 row_mask:0xf bank_mask:0xf
	s_delay_alu instid0(VALU_DEP_1) | instskip(NEXT) | instid1(VALU_DEP_1)
	v_cndmask_b32_e64 v203, 0, v203, s14
	v_add_nc_u32_e32 v202, v202, v203
	ds_store_b32 v93, v202 offset:1024
.LBB626_468:                            ;   in Loop: Header=BB626_396 Depth=2
	s_or_b32 exec_lo, exec_lo, s15
	v_mov_b32_e32 v202, 0
	s_wait_dscnt 0x0
	s_barrier_signal -1
	s_barrier_wait -1
	s_and_saveexec_b32 s15, s5
; %bb.469:                              ;   in Loop: Header=BB626_396 Depth=2
	ds_load_b32 v202, v85 offset:1020
; %bb.470:                              ;   in Loop: Header=BB626_396 Depth=2
	s_or_b32 exec_lo, exec_lo, s15
	s_wait_dscnt 0x0
	v_add_nc_u32_e32 v201, v202, v201
	ds_bpermute_b32 v201, v120, v201
	s_wait_dscnt 0x0
	v_cndmask_b32_e64 v201, v201, v202, s6
	s_delay_alu instid0(VALU_DEP_1) | instskip(NEXT) | instid1(VALU_DEP_1)
	v_cndmask_b32_e64 v201, v201, 0, s2
	v_add_nc_u32_e32 v68, v201, v68
	s_delay_alu instid0(VALU_DEP_1) | instskip(NEXT) | instid1(VALU_DEP_1)
	v_add_nc_u32_e32 v69, v68, v69
	v_add_nc_u32_e32 v66, v69, v66
	s_delay_alu instid0(VALU_DEP_1) | instskip(NEXT) | instid1(VALU_DEP_1)
	v_add_nc_u32_e32 v67, v66, v67
	;; [unrolled: 3-line block ×3, first 2 shown]
	v_add_nc_u32_e32 v62, v65, v62
	s_delay_alu instid0(VALU_DEP_1)
	v_add_nc_u32_e32 v63, v62, v63
	ds_store_2addr_b32 v5, v65, v62 offset1:1
	ds_store_2addr_b32 v117, v201, v68 offset1:1
	;; [unrolled: 1-line block ×4, first 2 shown]
	ds_store_b32 v91, v63 offset:1088
	s_wait_dscnt 0x0
	s_barrier_signal -1
	s_barrier_wait -1
	ds_load_b32 v65, v142 offset:1056
	ds_load_b32 v67, v146 offset:1056
	;; [unrolled: 1-line block ×17, first 2 shown]
	v_mov_b32_e32 v64, 0x1000
	s_and_saveexec_b32 s15, s3
; %bb.471:                              ;   in Loop: Header=BB626_396 Depth=2
	ds_load_b32 v64, v91 offset:1092
; %bb.472:                              ;   in Loop: Header=BB626_396 Depth=2
	s_or_b32 exec_lo, exec_lo, s15
	s_wait_dscnt 0x0
	s_barrier_signal -1
	s_barrier_wait -1
	s_and_saveexec_b32 s15, s0
	s_cbranch_execz .LBB626_474
; %bb.473:                              ;   in Loop: Header=BB626_396 Depth=2
	ds_load_b32 v154, v4
	s_wait_dscnt 0x0
	v_sub_nc_u32_e32 v150, v154, v150
	ds_store_b32 v4, v150
.LBB626_474:                            ;   in Loop: Header=BB626_396 Depth=2
	s_or_b32 exec_lo, exec_lo, s15
	v_add3_u32 v158, v145, v144, v67
	v_add_nc_u32_e32 v162, v65, v141
	v_add3_u32 v154, v149, v148, v68
	v_add3_u32 v150, v153, v152, v69
	v_add3_u32 v148, v161, v160, v146
	v_add3_u32 v69, v189, v188, v62
	v_lshlrev_b32_e32 v62, 2, v158
	v_lshlrev_b32_e32 v152, 2, v162
	v_add3_u32 v149, v157, v156, v142
	v_add3_u32 v146, v165, v164, v201
	;; [unrolled: 1-line block ×4, first 2 shown]
	v_lshlrev_b32_e32 v63, 2, v154
	v_add3_u32 v144, v173, v172, v174
	v_lshlrev_b32_e32 v153, 2, v148
	ds_store_b32 v152, v139 offset:1024
	v_lshlrev_b32_e32 v139, 2, v150
	v_add3_u32 v142, v177, v176, v178
	v_lshlrev_b32_e32 v152, 2, v149
	v_add3_u32 v141, v181, v180, v182
	v_add3_u32 v65, v185, v184, v186
	ds_store_b32 v62, v140 offset:1024
	ds_store_b32 v63, v143 offset:1024
	;; [unrolled: 1-line block ×5, first 2 shown]
	v_dual_lshlrev_b32 v62, 2, v146 :: v_dual_lshlrev_b32 v139, 2, v144
	v_lshlrev_b32_e32 v63, 2, v145
	v_add3_u32 v67, v196, v195, v66
	v_dual_lshlrev_b32 v140, 2, v142 :: v_dual_lshlrev_b32 v143, 2, v141
	v_add3_u32 v66, v199, v198, v167
	ds_store_b32 v62, v159 offset:1024
	ds_store_b32 v63, v163 offset:1024
	;; [unrolled: 1-line block ×5, first 2 shown]
	v_dual_lshlrev_b32 v62, 2, v65 :: v_dual_lshlrev_b32 v139, 2, v68
	v_cmp_lt_u32_e32 vcc_lo, v2, v137
	v_dual_lshlrev_b32 v63, 2, v69 :: v_dual_lshlrev_b32 v140, 2, v67
	v_lshlrev_b32_e32 v143, 2, v66
	ds_store_b32 v62, v179 offset:1024
	ds_store_b32 v63, v183 offset:1024
	;; [unrolled: 1-line block ×5, first 2 shown]
	s_wait_dscnt 0x0
	s_barrier_signal -1
	s_barrier_wait -1
	s_and_saveexec_b32 s15, vcc_lo
	s_cbranch_execnz .LBB626_543
; %bb.475:                              ;   in Loop: Header=BB626_396 Depth=2
	s_or_b32 exec_lo, exec_lo, s15
	v_cmp_lt_u32_e64 s15, v3, v137
	s_and_saveexec_b32 s16, s15
	s_cbranch_execnz .LBB626_544
.LBB626_476:                            ;   in Loop: Header=BB626_396 Depth=2
	s_or_b32 exec_lo, exec_lo, s16
	v_cmp_lt_u32_e64 s16, v70, v137
	s_and_saveexec_b32 s17, s16
	s_cbranch_execnz .LBB626_545
.LBB626_477:                            ;   in Loop: Header=BB626_396 Depth=2
	s_or_b32 exec_lo, exec_lo, s17
	v_cmp_lt_u32_e64 s17, v71, v137
	s_and_saveexec_b32 s18, s17
	s_cbranch_execnz .LBB626_546
.LBB626_478:                            ;   in Loop: Header=BB626_396 Depth=2
	s_or_b32 exec_lo, exec_lo, s18
	v_cmp_lt_u32_e64 s18, v72, v137
	s_and_saveexec_b32 s19, s18
	s_cbranch_execnz .LBB626_547
.LBB626_479:                            ;   in Loop: Header=BB626_396 Depth=2
	s_or_b32 exec_lo, exec_lo, s19
	v_cmp_lt_u32_e64 s19, v73, v137
	s_and_saveexec_b32 s20, s19
	s_cbranch_execnz .LBB626_548
.LBB626_480:                            ;   in Loop: Header=BB626_396 Depth=2
	s_or_b32 exec_lo, exec_lo, s20
	v_cmp_lt_u32_e64 s20, v74, v137
	s_and_saveexec_b32 s21, s20
	s_cbranch_execnz .LBB626_549
.LBB626_481:                            ;   in Loop: Header=BB626_396 Depth=2
	s_or_b32 exec_lo, exec_lo, s21
	v_cmp_lt_u32_e64 s21, v75, v137
	s_and_saveexec_b32 s22, s21
	s_cbranch_execnz .LBB626_550
.LBB626_482:                            ;   in Loop: Header=BB626_396 Depth=2
	s_or_b32 exec_lo, exec_lo, s22
	v_cmp_lt_u32_e64 s22, v76, v137
	s_and_saveexec_b32 s23, s22
	s_cbranch_execnz .LBB626_551
.LBB626_483:                            ;   in Loop: Header=BB626_396 Depth=2
	s_or_b32 exec_lo, exec_lo, s23
	v_cmp_lt_u32_e64 s23, v77, v137
	s_and_saveexec_b32 s24, s23
	s_cbranch_execnz .LBB626_552
.LBB626_484:                            ;   in Loop: Header=BB626_396 Depth=2
	s_or_b32 exec_lo, exec_lo, s24
	v_cmp_lt_u32_e64 s24, v78, v137
	s_and_saveexec_b32 s25, s24
	s_cbranch_execnz .LBB626_553
.LBB626_485:                            ;   in Loop: Header=BB626_396 Depth=2
	s_or_b32 exec_lo, exec_lo, s25
	v_cmp_lt_u32_e64 s25, v79, v137
	s_and_saveexec_b32 s26, s25
	s_cbranch_execnz .LBB626_554
.LBB626_486:                            ;   in Loop: Header=BB626_396 Depth=2
	s_or_b32 exec_lo, exec_lo, s26
	v_cmp_lt_u32_e64 s26, v80, v137
	s_and_saveexec_b32 s27, s26
	s_cbranch_execnz .LBB626_555
.LBB626_487:                            ;   in Loop: Header=BB626_396 Depth=2
	s_or_b32 exec_lo, exec_lo, s27
	v_cmp_lt_u32_e64 s27, v81, v137
	s_and_saveexec_b32 s28, s27
	s_cbranch_execnz .LBB626_556
.LBB626_488:                            ;   in Loop: Header=BB626_396 Depth=2
	s_or_b32 exec_lo, exec_lo, s28
	v_cmp_lt_u32_e64 s28, v82, v137
	s_and_saveexec_b32 s29, s28
	s_cbranch_execnz .LBB626_557
.LBB626_489:                            ;   in Loop: Header=BB626_396 Depth=2
	s_or_b32 exec_lo, exec_lo, s29
	v_cmp_lt_u32_e64 s29, v83, v137
	s_and_saveexec_b32 s57, s29
	s_cbranch_execz .LBB626_491
.LBB626_490:                            ;   in Loop: Header=BB626_396 Depth=2
	ds_load_b32 v62, v93 offset:16384
	s_wait_dscnt 0x0
	v_lshrrev_b32_e32 v63, s43, v62
	v_xor_b32_e32 v62, 0x80000000, v62
	s_delay_alu instid0(VALU_DEP_2) | instskip(NEXT) | instid1(VALU_DEP_1)
	v_and_b32_e32 v63, s48, v63
	v_lshlrev_b32_e32 v63, 2, v63
	ds_load_b32 v63, v63
	s_wait_dscnt 0x0
	v_add_nc_u32_e32 v63, v63, v83
	global_store_b32 v63, v62, s[40:41] scale_offset
.LBB626_491:                            ;   in Loop: Header=BB626_396 Depth=2
	s_wait_xcnt 0x0
	s_or_b32 exec_lo, exec_lo, s57
	v_lshl_add_u64 v[62:63], s[30:31], 3, v[26:27]
	v_cmp_lt_u32_e64 s30, v99, v137
	s_and_saveexec_b32 s57, s30
	s_delay_alu instid0(SALU_CYCLE_1)
	s_xor_b32 s30, exec_lo, s57
	s_cbranch_execnz .LBB626_558
; %bb.492:                              ;   in Loop: Header=BB626_396 Depth=2
	s_or_b32 exec_lo, exec_lo, s30
	s_delay_alu instid0(SALU_CYCLE_1)
	s_mov_b32 s57, exec_lo
	v_cmpx_lt_u32_e64 v102, v137
	s_cbranch_execnz .LBB626_559
.LBB626_493:                            ;   in Loop: Header=BB626_396 Depth=2
	s_or_b32 exec_lo, exec_lo, s57
	s_delay_alu instid0(SALU_CYCLE_1)
	s_mov_b32 s57, exec_lo
	v_cmpx_lt_u32_e64 v103, v137
	s_cbranch_execnz .LBB626_560
.LBB626_494:                            ;   in Loop: Header=BB626_396 Depth=2
	s_or_b32 exec_lo, exec_lo, s57
	s_delay_alu instid0(SALU_CYCLE_1)
	s_mov_b32 s57, exec_lo
	v_cmpx_lt_u32_e64 v104, v137
	s_cbranch_execnz .LBB626_561
.LBB626_495:                            ;   in Loop: Header=BB626_396 Depth=2
	s_or_b32 exec_lo, exec_lo, s57
	s_delay_alu instid0(SALU_CYCLE_1)
	s_mov_b32 s57, exec_lo
	v_cmpx_lt_u32_e64 v105, v137
	s_cbranch_execnz .LBB626_562
.LBB626_496:                            ;   in Loop: Header=BB626_396 Depth=2
	s_or_b32 exec_lo, exec_lo, s57
	s_delay_alu instid0(SALU_CYCLE_1)
	s_mov_b32 s57, exec_lo
	v_cmpx_lt_u32_e64 v106, v137
	s_cbranch_execnz .LBB626_563
.LBB626_497:                            ;   in Loop: Header=BB626_396 Depth=2
	s_or_b32 exec_lo, exec_lo, s57
	s_delay_alu instid0(SALU_CYCLE_1)
	s_mov_b32 s57, exec_lo
	v_cmpx_lt_u32_e64 v107, v137
	s_cbranch_execnz .LBB626_564
.LBB626_498:                            ;   in Loop: Header=BB626_396 Depth=2
	s_or_b32 exec_lo, exec_lo, s57
	s_delay_alu instid0(SALU_CYCLE_1)
	s_mov_b32 s57, exec_lo
	v_cmpx_lt_u32_e64 v108, v137
	s_cbranch_execnz .LBB626_565
.LBB626_499:                            ;   in Loop: Header=BB626_396 Depth=2
	s_or_b32 exec_lo, exec_lo, s57
	s_delay_alu instid0(SALU_CYCLE_1)
	s_mov_b32 s57, exec_lo
	v_cmpx_lt_u32_e64 v109, v137
	s_cbranch_execnz .LBB626_566
.LBB626_500:                            ;   in Loop: Header=BB626_396 Depth=2
	s_or_b32 exec_lo, exec_lo, s57
	s_delay_alu instid0(SALU_CYCLE_1)
	s_mov_b32 s57, exec_lo
	v_cmpx_lt_u32_e64 v110, v137
	s_cbranch_execnz .LBB626_567
.LBB626_501:                            ;   in Loop: Header=BB626_396 Depth=2
	s_or_b32 exec_lo, exec_lo, s57
	s_delay_alu instid0(SALU_CYCLE_1)
	s_mov_b32 s57, exec_lo
	v_cmpx_lt_u32_e64 v111, v137
	s_cbranch_execnz .LBB626_568
.LBB626_502:                            ;   in Loop: Header=BB626_396 Depth=2
	s_or_b32 exec_lo, exec_lo, s57
	s_delay_alu instid0(SALU_CYCLE_1)
	s_mov_b32 s57, exec_lo
	v_cmpx_lt_u32_e64 v112, v137
	s_cbranch_execnz .LBB626_569
.LBB626_503:                            ;   in Loop: Header=BB626_396 Depth=2
	s_or_b32 exec_lo, exec_lo, s57
	s_delay_alu instid0(SALU_CYCLE_1)
	s_mov_b32 s57, exec_lo
	v_cmpx_lt_u32_e64 v113, v137
	s_cbranch_execnz .LBB626_570
.LBB626_504:                            ;   in Loop: Header=BB626_396 Depth=2
	s_or_b32 exec_lo, exec_lo, s57
	s_delay_alu instid0(SALU_CYCLE_1)
	s_mov_b32 s57, exec_lo
	v_cmpx_lt_u32_e64 v114, v137
	s_cbranch_execnz .LBB626_571
.LBB626_505:                            ;   in Loop: Header=BB626_396 Depth=2
	s_or_b32 exec_lo, exec_lo, s57
	s_delay_alu instid0(SALU_CYCLE_1)
	s_mov_b32 s57, exec_lo
	v_cmpx_lt_u32_e64 v115, v137
	s_cbranch_execnz .LBB626_572
.LBB626_506:                            ;   in Loop: Header=BB626_396 Depth=2
	s_or_b32 exec_lo, exec_lo, s57
	s_delay_alu instid0(SALU_CYCLE_1)
	s_mov_b32 s57, exec_lo
	v_cmpx_lt_u32_e64 v116, v137
	s_cbranch_execnz .LBB626_573
.LBB626_507:                            ;   in Loop: Header=BB626_396 Depth=2
	s_or_b32 exec_lo, exec_lo, s57
	s_and_saveexec_b32 s30, vcc_lo
	s_cbranch_execnz .LBB626_574
.LBB626_508:                            ;   in Loop: Header=BB626_396 Depth=2
	s_or_b32 exec_lo, exec_lo, s30
	s_and_saveexec_b32 s30, s15
	s_cbranch_execnz .LBB626_575
.LBB626_509:                            ;   in Loop: Header=BB626_396 Depth=2
	s_or_b32 exec_lo, exec_lo, s30
	s_and_saveexec_b32 s30, s16
	s_cbranch_execnz .LBB626_576
.LBB626_510:                            ;   in Loop: Header=BB626_396 Depth=2
	s_or_b32 exec_lo, exec_lo, s30
	s_and_saveexec_b32 s30, s17
	s_cbranch_execnz .LBB626_577
.LBB626_511:                            ;   in Loop: Header=BB626_396 Depth=2
	s_or_b32 exec_lo, exec_lo, s30
	s_and_saveexec_b32 s30, s18
	s_cbranch_execnz .LBB626_578
.LBB626_512:                            ;   in Loop: Header=BB626_396 Depth=2
	s_or_b32 exec_lo, exec_lo, s30
	s_and_saveexec_b32 s30, s19
	s_cbranch_execnz .LBB626_579
.LBB626_513:                            ;   in Loop: Header=BB626_396 Depth=2
	s_or_b32 exec_lo, exec_lo, s30
	s_and_saveexec_b32 s30, s20
	s_cbranch_execnz .LBB626_580
.LBB626_514:                            ;   in Loop: Header=BB626_396 Depth=2
	s_or_b32 exec_lo, exec_lo, s30
	s_and_saveexec_b32 s30, s21
	s_cbranch_execnz .LBB626_581
.LBB626_515:                            ;   in Loop: Header=BB626_396 Depth=2
	s_or_b32 exec_lo, exec_lo, s30
	s_and_saveexec_b32 s30, s22
	s_cbranch_execnz .LBB626_582
.LBB626_516:                            ;   in Loop: Header=BB626_396 Depth=2
	s_or_b32 exec_lo, exec_lo, s30
	s_and_saveexec_b32 s30, s23
	s_cbranch_execnz .LBB626_583
.LBB626_517:                            ;   in Loop: Header=BB626_396 Depth=2
	s_or_b32 exec_lo, exec_lo, s30
	s_and_saveexec_b32 s30, s24
	s_cbranch_execnz .LBB626_584
.LBB626_518:                            ;   in Loop: Header=BB626_396 Depth=2
	s_or_b32 exec_lo, exec_lo, s30
	s_and_saveexec_b32 s30, s25
	s_cbranch_execnz .LBB626_585
.LBB626_519:                            ;   in Loop: Header=BB626_396 Depth=2
	s_or_b32 exec_lo, exec_lo, s30
	s_and_saveexec_b32 s30, s26
	s_cbranch_execnz .LBB626_586
.LBB626_520:                            ;   in Loop: Header=BB626_396 Depth=2
	s_or_b32 exec_lo, exec_lo, s30
	s_and_saveexec_b32 s30, s27
	s_cbranch_execnz .LBB626_587
.LBB626_521:                            ;   in Loop: Header=BB626_396 Depth=2
	s_or_b32 exec_lo, exec_lo, s30
	s_and_saveexec_b32 s30, s28
	s_cbranch_execnz .LBB626_588
.LBB626_522:                            ;   in Loop: Header=BB626_396 Depth=2
	s_or_b32 exec_lo, exec_lo, s30
	s_and_saveexec_b32 s30, s29
	s_cbranch_execz .LBB626_524
.LBB626_523:                            ;   in Loop: Header=BB626_396 Depth=2
	ds_load_b32 v62, v93 offset:16384
	s_wait_dscnt 0x0
	v_lshrrev_b32_e32 v62, s43, v62
	s_delay_alu instid0(VALU_DEP_1)
	v_and_b32_e32 v121, s48, v62
.LBB626_524:                            ;   in Loop: Header=BB626_396 Depth=2
	s_or_b32 exec_lo, exec_lo, s30
	v_dual_lshlrev_b32 v62, 3, v162 :: v_dual_lshlrev_b32 v138, 3, v149
	s_wait_loadcnt 0x0
	s_wait_storecnt 0x0
	s_barrier_signal -1
	s_barrier_wait -1
	ds_store_b64 v62, v[60:61] offset:1024
	v_dual_lshlrev_b32 v62, 3, v158 :: v_dual_lshlrev_b32 v139, 3, v148
	v_lshlrev_b32_e32 v63, 3, v154
	v_lshlrev_b32_e32 v137, 3, v150
	ds_store_b64 v62, v[58:59] offset:1024
	ds_store_b64 v63, v[56:57] offset:1024
	;; [unrolled: 1-line block ×5, first 2 shown]
	v_dual_lshlrev_b32 v62, 3, v146 :: v_dual_lshlrev_b32 v139, 3, v141
	v_dual_lshlrev_b32 v63, 3, v145 :: v_dual_lshlrev_b32 v137, 3, v144
	v_lshlrev_b32_e32 v138, 3, v142
	ds_store_b64 v62, v[48:49] offset:1024
	ds_store_b64 v63, v[46:47] offset:1024
	;; [unrolled: 1-line block ×5, first 2 shown]
	v_lshlrev_b32_e32 v62, 3, v65
	v_dual_lshlrev_b32 v63, 3, v69 :: v_dual_lshlrev_b32 v65, 3, v68
	v_dual_lshlrev_b32 v67, 3, v67 :: v_dual_lshlrev_b32 v66, 3, v66
	ds_store_b64 v62, v[38:39] offset:1024
	ds_store_b64 v63, v[36:37] offset:1024
	ds_store_b64 v65, v[34:35] offset:1024
	ds_store_b64 v67, v[32:33] offset:1024
	ds_store_b64 v66, v[30:31] offset:1024
	s_wait_dscnt 0x0
	s_barrier_signal -1
	s_barrier_wait -1
	s_and_saveexec_b32 s30, vcc_lo
	s_cbranch_execnz .LBB626_589
; %bb.525:                              ;   in Loop: Header=BB626_396 Depth=2
	s_or_b32 exec_lo, exec_lo, s30
	s_and_saveexec_b32 s30, s15
	s_cbranch_execnz .LBB626_590
.LBB626_526:                            ;   in Loop: Header=BB626_396 Depth=2
	s_or_b32 exec_lo, exec_lo, s30
	s_and_saveexec_b32 s15, s16
	s_cbranch_execnz .LBB626_591
.LBB626_527:                            ;   in Loop: Header=BB626_396 Depth=2
	s_or_b32 exec_lo, exec_lo, s15
	s_and_saveexec_b32 s15, s17
	s_cbranch_execnz .LBB626_592
.LBB626_528:                            ;   in Loop: Header=BB626_396 Depth=2
	s_or_b32 exec_lo, exec_lo, s15
	s_and_saveexec_b32 s15, s18
	s_cbranch_execnz .LBB626_593
.LBB626_529:                            ;   in Loop: Header=BB626_396 Depth=2
	s_or_b32 exec_lo, exec_lo, s15
	s_and_saveexec_b32 s15, s19
	s_cbranch_execnz .LBB626_594
.LBB626_530:                            ;   in Loop: Header=BB626_396 Depth=2
	s_or_b32 exec_lo, exec_lo, s15
	s_and_saveexec_b32 s15, s20
	s_cbranch_execnz .LBB626_595
.LBB626_531:                            ;   in Loop: Header=BB626_396 Depth=2
	s_or_b32 exec_lo, exec_lo, s15
	s_and_saveexec_b32 s15, s21
	s_cbranch_execnz .LBB626_596
.LBB626_532:                            ;   in Loop: Header=BB626_396 Depth=2
	s_or_b32 exec_lo, exec_lo, s15
	s_and_saveexec_b32 s15, s22
	s_cbranch_execnz .LBB626_597
.LBB626_533:                            ;   in Loop: Header=BB626_396 Depth=2
	s_or_b32 exec_lo, exec_lo, s15
	s_and_saveexec_b32 s15, s23
	s_cbranch_execnz .LBB626_598
.LBB626_534:                            ;   in Loop: Header=BB626_396 Depth=2
	s_or_b32 exec_lo, exec_lo, s15
	s_and_saveexec_b32 s15, s24
	s_cbranch_execnz .LBB626_599
.LBB626_535:                            ;   in Loop: Header=BB626_396 Depth=2
	s_or_b32 exec_lo, exec_lo, s15
	s_and_saveexec_b32 s15, s25
	s_cbranch_execnz .LBB626_600
.LBB626_536:                            ;   in Loop: Header=BB626_396 Depth=2
	s_or_b32 exec_lo, exec_lo, s15
	s_and_saveexec_b32 s15, s26
	s_cbranch_execnz .LBB626_601
.LBB626_537:                            ;   in Loop: Header=BB626_396 Depth=2
	s_or_b32 exec_lo, exec_lo, s15
	s_and_saveexec_b32 s15, s27
	s_cbranch_execnz .LBB626_602
.LBB626_538:                            ;   in Loop: Header=BB626_396 Depth=2
	s_or_b32 exec_lo, exec_lo, s15
	s_and_saveexec_b32 s15, s28
	s_cbranch_execnz .LBB626_603
.LBB626_539:                            ;   in Loop: Header=BB626_396 Depth=2
	s_or_b32 exec_lo, exec_lo, s15
	s_and_saveexec_b32 s15, s29
	s_cbranch_execz .LBB626_541
.LBB626_540:                            ;   in Loop: Header=BB626_396 Depth=2
	v_dual_lshlrev_b32 v62, 2, v121 :: v_dual_add_nc_u32 v63, v93, v4
	ds_load_b32 v65, v62
	ds_load_b64 v[62:63], v63 offset:31744
	s_wait_dscnt 0x1
	v_add_nc_u32_e32 v65, v65, v83
	s_wait_dscnt 0x0
	global_store_b64 v65, v[62:63], s[46:47] scale_offset
.LBB626_541:                            ;   in Loop: Header=BB626_396 Depth=2
	s_wait_xcnt 0x0
	s_or_b32 exec_lo, exec_lo, s15
	s_wait_storecnt 0x0
	s_barrier_signal -1
	s_barrier_wait -1
	s_and_saveexec_b32 s15, s0
	s_cbranch_execz .LBB626_395
; %bb.542:                              ;   in Loop: Header=BB626_396 Depth=2
	ds_load_b32 v62, v4
	s_wait_dscnt 0x0
	v_add_nc_u32_e32 v62, v62, v64
	ds_store_b32 v4, v62
	s_branch .LBB626_395
.LBB626_543:                            ;   in Loop: Header=BB626_396 Depth=2
	ds_load_b32 v62, v93 offset:1024
	s_wait_dscnt 0x0
	v_lshrrev_b32_e32 v63, s43, v62
	v_xor_b32_e32 v62, 0x80000000, v62
	s_delay_alu instid0(VALU_DEP_2) | instskip(NEXT) | instid1(VALU_DEP_1)
	v_and_b32_e32 v63, s48, v63
	v_lshlrev_b32_e32 v63, 2, v63
	ds_load_b32 v63, v63
	s_wait_dscnt 0x0
	v_add_nc_u32_e32 v63, v63, v2
	global_store_b32 v63, v62, s[40:41] scale_offset
	s_wait_xcnt 0x0
	s_or_b32 exec_lo, exec_lo, s15
	v_cmp_lt_u32_e64 s15, v3, v137
	s_and_saveexec_b32 s16, s15
	s_cbranch_execz .LBB626_476
.LBB626_544:                            ;   in Loop: Header=BB626_396 Depth=2
	ds_load_b32 v62, v93 offset:2048
	s_wait_dscnt 0x0
	v_lshrrev_b32_e32 v63, s43, v62
	v_xor_b32_e32 v62, 0x80000000, v62
	s_delay_alu instid0(VALU_DEP_2) | instskip(NEXT) | instid1(VALU_DEP_1)
	v_and_b32_e32 v63, s48, v63
	v_lshlrev_b32_e32 v63, 2, v63
	ds_load_b32 v63, v63
	s_wait_dscnt 0x0
	v_add_nc_u32_e32 v63, v63, v3
	global_store_b32 v63, v62, s[40:41] scale_offset
	s_wait_xcnt 0x0
	s_or_b32 exec_lo, exec_lo, s16
	v_cmp_lt_u32_e64 s16, v70, v137
	s_and_saveexec_b32 s17, s16
	s_cbranch_execz .LBB626_477
.LBB626_545:                            ;   in Loop: Header=BB626_396 Depth=2
	ds_load_b32 v62, v93 offset:3072
	s_wait_dscnt 0x0
	v_lshrrev_b32_e32 v63, s43, v62
	v_xor_b32_e32 v62, 0x80000000, v62
	s_delay_alu instid0(VALU_DEP_2) | instskip(NEXT) | instid1(VALU_DEP_1)
	v_and_b32_e32 v63, s48, v63
	v_lshlrev_b32_e32 v63, 2, v63
	ds_load_b32 v63, v63
	s_wait_dscnt 0x0
	v_add_nc_u32_e32 v63, v63, v70
	global_store_b32 v63, v62, s[40:41] scale_offset
	s_wait_xcnt 0x0
	s_or_b32 exec_lo, exec_lo, s17
	v_cmp_lt_u32_e64 s17, v71, v137
	s_and_saveexec_b32 s18, s17
	s_cbranch_execz .LBB626_478
.LBB626_546:                            ;   in Loop: Header=BB626_396 Depth=2
	ds_load_b32 v62, v93 offset:4096
	s_wait_dscnt 0x0
	v_lshrrev_b32_e32 v63, s43, v62
	v_xor_b32_e32 v62, 0x80000000, v62
	s_delay_alu instid0(VALU_DEP_2) | instskip(NEXT) | instid1(VALU_DEP_1)
	v_and_b32_e32 v63, s48, v63
	v_lshlrev_b32_e32 v63, 2, v63
	ds_load_b32 v63, v63
	s_wait_dscnt 0x0
	v_add_nc_u32_e32 v63, v63, v71
	global_store_b32 v63, v62, s[40:41] scale_offset
	s_wait_xcnt 0x0
	s_or_b32 exec_lo, exec_lo, s18
	v_cmp_lt_u32_e64 s18, v72, v137
	s_and_saveexec_b32 s19, s18
	s_cbranch_execz .LBB626_479
.LBB626_547:                            ;   in Loop: Header=BB626_396 Depth=2
	ds_load_b32 v62, v93 offset:5120
	s_wait_dscnt 0x0
	v_lshrrev_b32_e32 v63, s43, v62
	v_xor_b32_e32 v62, 0x80000000, v62
	s_delay_alu instid0(VALU_DEP_2) | instskip(NEXT) | instid1(VALU_DEP_1)
	v_and_b32_e32 v63, s48, v63
	v_lshlrev_b32_e32 v63, 2, v63
	ds_load_b32 v63, v63
	s_wait_dscnt 0x0
	v_add_nc_u32_e32 v63, v63, v72
	global_store_b32 v63, v62, s[40:41] scale_offset
	s_wait_xcnt 0x0
	s_or_b32 exec_lo, exec_lo, s19
	v_cmp_lt_u32_e64 s19, v73, v137
	s_and_saveexec_b32 s20, s19
	s_cbranch_execz .LBB626_480
.LBB626_548:                            ;   in Loop: Header=BB626_396 Depth=2
	ds_load_b32 v62, v93 offset:6144
	s_wait_dscnt 0x0
	v_lshrrev_b32_e32 v63, s43, v62
	v_xor_b32_e32 v62, 0x80000000, v62
	s_delay_alu instid0(VALU_DEP_2) | instskip(NEXT) | instid1(VALU_DEP_1)
	v_and_b32_e32 v63, s48, v63
	v_lshlrev_b32_e32 v63, 2, v63
	ds_load_b32 v63, v63
	s_wait_dscnt 0x0
	v_add_nc_u32_e32 v63, v63, v73
	global_store_b32 v63, v62, s[40:41] scale_offset
	s_wait_xcnt 0x0
	s_or_b32 exec_lo, exec_lo, s20
	v_cmp_lt_u32_e64 s20, v74, v137
	s_and_saveexec_b32 s21, s20
	s_cbranch_execz .LBB626_481
.LBB626_549:                            ;   in Loop: Header=BB626_396 Depth=2
	ds_load_b32 v62, v93 offset:7168
	s_wait_dscnt 0x0
	v_lshrrev_b32_e32 v63, s43, v62
	v_xor_b32_e32 v62, 0x80000000, v62
	s_delay_alu instid0(VALU_DEP_2) | instskip(NEXT) | instid1(VALU_DEP_1)
	v_and_b32_e32 v63, s48, v63
	v_lshlrev_b32_e32 v63, 2, v63
	ds_load_b32 v63, v63
	s_wait_dscnt 0x0
	v_add_nc_u32_e32 v63, v63, v74
	global_store_b32 v63, v62, s[40:41] scale_offset
	s_wait_xcnt 0x0
	s_or_b32 exec_lo, exec_lo, s21
	v_cmp_lt_u32_e64 s21, v75, v137
	s_and_saveexec_b32 s22, s21
	s_cbranch_execz .LBB626_482
.LBB626_550:                            ;   in Loop: Header=BB626_396 Depth=2
	ds_load_b32 v62, v93 offset:8192
	s_wait_dscnt 0x0
	v_lshrrev_b32_e32 v63, s43, v62
	v_xor_b32_e32 v62, 0x80000000, v62
	s_delay_alu instid0(VALU_DEP_2) | instskip(NEXT) | instid1(VALU_DEP_1)
	v_and_b32_e32 v63, s48, v63
	v_lshlrev_b32_e32 v63, 2, v63
	ds_load_b32 v63, v63
	s_wait_dscnt 0x0
	v_add_nc_u32_e32 v63, v63, v75
	global_store_b32 v63, v62, s[40:41] scale_offset
	s_wait_xcnt 0x0
	s_or_b32 exec_lo, exec_lo, s22
	v_cmp_lt_u32_e64 s22, v76, v137
	s_and_saveexec_b32 s23, s22
	s_cbranch_execz .LBB626_483
.LBB626_551:                            ;   in Loop: Header=BB626_396 Depth=2
	ds_load_b32 v62, v93 offset:9216
	s_wait_dscnt 0x0
	v_lshrrev_b32_e32 v63, s43, v62
	v_xor_b32_e32 v62, 0x80000000, v62
	s_delay_alu instid0(VALU_DEP_2) | instskip(NEXT) | instid1(VALU_DEP_1)
	v_and_b32_e32 v63, s48, v63
	v_lshlrev_b32_e32 v63, 2, v63
	ds_load_b32 v63, v63
	s_wait_dscnt 0x0
	v_add_nc_u32_e32 v63, v63, v76
	global_store_b32 v63, v62, s[40:41] scale_offset
	s_wait_xcnt 0x0
	s_or_b32 exec_lo, exec_lo, s23
	v_cmp_lt_u32_e64 s23, v77, v137
	s_and_saveexec_b32 s24, s23
	s_cbranch_execz .LBB626_484
.LBB626_552:                            ;   in Loop: Header=BB626_396 Depth=2
	ds_load_b32 v62, v93 offset:10240
	s_wait_dscnt 0x0
	v_lshrrev_b32_e32 v63, s43, v62
	v_xor_b32_e32 v62, 0x80000000, v62
	s_delay_alu instid0(VALU_DEP_2) | instskip(NEXT) | instid1(VALU_DEP_1)
	v_and_b32_e32 v63, s48, v63
	v_lshlrev_b32_e32 v63, 2, v63
	ds_load_b32 v63, v63
	s_wait_dscnt 0x0
	v_add_nc_u32_e32 v63, v63, v77
	global_store_b32 v63, v62, s[40:41] scale_offset
	s_wait_xcnt 0x0
	s_or_b32 exec_lo, exec_lo, s24
	v_cmp_lt_u32_e64 s24, v78, v137
	s_and_saveexec_b32 s25, s24
	s_cbranch_execz .LBB626_485
.LBB626_553:                            ;   in Loop: Header=BB626_396 Depth=2
	ds_load_b32 v62, v93 offset:11264
	s_wait_dscnt 0x0
	v_lshrrev_b32_e32 v63, s43, v62
	v_xor_b32_e32 v62, 0x80000000, v62
	s_delay_alu instid0(VALU_DEP_2) | instskip(NEXT) | instid1(VALU_DEP_1)
	v_and_b32_e32 v63, s48, v63
	v_lshlrev_b32_e32 v63, 2, v63
	ds_load_b32 v63, v63
	s_wait_dscnt 0x0
	v_add_nc_u32_e32 v63, v63, v78
	global_store_b32 v63, v62, s[40:41] scale_offset
	s_wait_xcnt 0x0
	s_or_b32 exec_lo, exec_lo, s25
	v_cmp_lt_u32_e64 s25, v79, v137
	s_and_saveexec_b32 s26, s25
	s_cbranch_execz .LBB626_486
.LBB626_554:                            ;   in Loop: Header=BB626_396 Depth=2
	ds_load_b32 v62, v93 offset:12288
	s_wait_dscnt 0x0
	v_lshrrev_b32_e32 v63, s43, v62
	v_xor_b32_e32 v62, 0x80000000, v62
	s_delay_alu instid0(VALU_DEP_2) | instskip(NEXT) | instid1(VALU_DEP_1)
	v_and_b32_e32 v63, s48, v63
	v_lshlrev_b32_e32 v63, 2, v63
	ds_load_b32 v63, v63
	s_wait_dscnt 0x0
	v_add_nc_u32_e32 v63, v63, v79
	global_store_b32 v63, v62, s[40:41] scale_offset
	s_wait_xcnt 0x0
	s_or_b32 exec_lo, exec_lo, s26
	v_cmp_lt_u32_e64 s26, v80, v137
	s_and_saveexec_b32 s27, s26
	s_cbranch_execz .LBB626_487
.LBB626_555:                            ;   in Loop: Header=BB626_396 Depth=2
	ds_load_b32 v62, v93 offset:13312
	s_wait_dscnt 0x0
	v_lshrrev_b32_e32 v63, s43, v62
	v_xor_b32_e32 v62, 0x80000000, v62
	s_delay_alu instid0(VALU_DEP_2) | instskip(NEXT) | instid1(VALU_DEP_1)
	v_and_b32_e32 v63, s48, v63
	v_lshlrev_b32_e32 v63, 2, v63
	ds_load_b32 v63, v63
	s_wait_dscnt 0x0
	v_add_nc_u32_e32 v63, v63, v80
	global_store_b32 v63, v62, s[40:41] scale_offset
	s_wait_xcnt 0x0
	s_or_b32 exec_lo, exec_lo, s27
	v_cmp_lt_u32_e64 s27, v81, v137
	s_and_saveexec_b32 s28, s27
	s_cbranch_execz .LBB626_488
.LBB626_556:                            ;   in Loop: Header=BB626_396 Depth=2
	ds_load_b32 v62, v93 offset:14336
	s_wait_dscnt 0x0
	v_lshrrev_b32_e32 v63, s43, v62
	v_xor_b32_e32 v62, 0x80000000, v62
	s_delay_alu instid0(VALU_DEP_2) | instskip(NEXT) | instid1(VALU_DEP_1)
	v_and_b32_e32 v63, s48, v63
	v_lshlrev_b32_e32 v63, 2, v63
	ds_load_b32 v63, v63
	s_wait_dscnt 0x0
	v_add_nc_u32_e32 v63, v63, v81
	global_store_b32 v63, v62, s[40:41] scale_offset
	s_wait_xcnt 0x0
	s_or_b32 exec_lo, exec_lo, s28
	v_cmp_lt_u32_e64 s28, v82, v137
	s_and_saveexec_b32 s29, s28
	s_cbranch_execz .LBB626_489
.LBB626_557:                            ;   in Loop: Header=BB626_396 Depth=2
	ds_load_b32 v62, v93 offset:15360
	s_wait_dscnt 0x0
	v_lshrrev_b32_e32 v63, s43, v62
	v_xor_b32_e32 v62, 0x80000000, v62
	s_delay_alu instid0(VALU_DEP_2) | instskip(NEXT) | instid1(VALU_DEP_1)
	v_and_b32_e32 v63, s48, v63
	v_lshlrev_b32_e32 v63, 2, v63
	ds_load_b32 v63, v63
	s_wait_dscnt 0x0
	v_add_nc_u32_e32 v63, v63, v82
	global_store_b32 v63, v62, s[40:41] scale_offset
	s_wait_xcnt 0x0
	s_or_b32 exec_lo, exec_lo, s29
	v_cmp_lt_u32_e64 s29, v83, v137
	s_and_saveexec_b32 s57, s29
	s_cbranch_execnz .LBB626_490
	s_branch .LBB626_491
.LBB626_558:                            ;   in Loop: Header=BB626_396 Depth=2
	global_load_b64 v[60:61], v[62:63], off
	s_wait_xcnt 0x0
	s_or_b32 exec_lo, exec_lo, s30
	s_delay_alu instid0(SALU_CYCLE_1)
	s_mov_b32 s57, exec_lo
	v_cmpx_lt_u32_e64 v102, v137
	s_cbranch_execz .LBB626_493
.LBB626_559:                            ;   in Loop: Header=BB626_396 Depth=2
	global_load_b64 v[58:59], v[62:63], off offset:256
	s_wait_xcnt 0x0
	s_or_b32 exec_lo, exec_lo, s57
	s_delay_alu instid0(SALU_CYCLE_1)
	s_mov_b32 s57, exec_lo
	v_cmpx_lt_u32_e64 v103, v137
	s_cbranch_execz .LBB626_494
.LBB626_560:                            ;   in Loop: Header=BB626_396 Depth=2
	global_load_b64 v[56:57], v[62:63], off offset:512
	s_wait_xcnt 0x0
	s_or_b32 exec_lo, exec_lo, s57
	s_delay_alu instid0(SALU_CYCLE_1)
	s_mov_b32 s57, exec_lo
	v_cmpx_lt_u32_e64 v104, v137
	s_cbranch_execz .LBB626_495
.LBB626_561:                            ;   in Loop: Header=BB626_396 Depth=2
	global_load_b64 v[54:55], v[62:63], off offset:768
	s_wait_xcnt 0x0
	s_or_b32 exec_lo, exec_lo, s57
	s_delay_alu instid0(SALU_CYCLE_1)
	s_mov_b32 s57, exec_lo
	v_cmpx_lt_u32_e64 v105, v137
	s_cbranch_execz .LBB626_496
.LBB626_562:                            ;   in Loop: Header=BB626_396 Depth=2
	global_load_b64 v[52:53], v[62:63], off offset:1024
	s_wait_xcnt 0x0
	s_or_b32 exec_lo, exec_lo, s57
	s_delay_alu instid0(SALU_CYCLE_1)
	s_mov_b32 s57, exec_lo
	v_cmpx_lt_u32_e64 v106, v137
	s_cbranch_execz .LBB626_497
.LBB626_563:                            ;   in Loop: Header=BB626_396 Depth=2
	global_load_b64 v[50:51], v[62:63], off offset:1280
	s_wait_xcnt 0x0
	s_or_b32 exec_lo, exec_lo, s57
	s_delay_alu instid0(SALU_CYCLE_1)
	s_mov_b32 s57, exec_lo
	v_cmpx_lt_u32_e64 v107, v137
	s_cbranch_execz .LBB626_498
.LBB626_564:                            ;   in Loop: Header=BB626_396 Depth=2
	global_load_b64 v[48:49], v[62:63], off offset:1536
	s_wait_xcnt 0x0
	s_or_b32 exec_lo, exec_lo, s57
	s_delay_alu instid0(SALU_CYCLE_1)
	s_mov_b32 s57, exec_lo
	v_cmpx_lt_u32_e64 v108, v137
	s_cbranch_execz .LBB626_499
.LBB626_565:                            ;   in Loop: Header=BB626_396 Depth=2
	global_load_b64 v[46:47], v[62:63], off offset:1792
	s_wait_xcnt 0x0
	s_or_b32 exec_lo, exec_lo, s57
	s_delay_alu instid0(SALU_CYCLE_1)
	s_mov_b32 s57, exec_lo
	v_cmpx_lt_u32_e64 v109, v137
	s_cbranch_execz .LBB626_500
.LBB626_566:                            ;   in Loop: Header=BB626_396 Depth=2
	global_load_b64 v[44:45], v[62:63], off offset:2048
	s_wait_xcnt 0x0
	s_or_b32 exec_lo, exec_lo, s57
	s_delay_alu instid0(SALU_CYCLE_1)
	s_mov_b32 s57, exec_lo
	v_cmpx_lt_u32_e64 v110, v137
	s_cbranch_execz .LBB626_501
.LBB626_567:                            ;   in Loop: Header=BB626_396 Depth=2
	global_load_b64 v[42:43], v[62:63], off offset:2304
	s_wait_xcnt 0x0
	s_or_b32 exec_lo, exec_lo, s57
	s_delay_alu instid0(SALU_CYCLE_1)
	s_mov_b32 s57, exec_lo
	v_cmpx_lt_u32_e64 v111, v137
	s_cbranch_execz .LBB626_502
.LBB626_568:                            ;   in Loop: Header=BB626_396 Depth=2
	global_load_b64 v[40:41], v[62:63], off offset:2560
	s_wait_xcnt 0x0
	s_or_b32 exec_lo, exec_lo, s57
	s_delay_alu instid0(SALU_CYCLE_1)
	s_mov_b32 s57, exec_lo
	v_cmpx_lt_u32_e64 v112, v137
	s_cbranch_execz .LBB626_503
.LBB626_569:                            ;   in Loop: Header=BB626_396 Depth=2
	global_load_b64 v[38:39], v[62:63], off offset:2816
	s_wait_xcnt 0x0
	s_or_b32 exec_lo, exec_lo, s57
	s_delay_alu instid0(SALU_CYCLE_1)
	s_mov_b32 s57, exec_lo
	v_cmpx_lt_u32_e64 v113, v137
	s_cbranch_execz .LBB626_504
.LBB626_570:                            ;   in Loop: Header=BB626_396 Depth=2
	global_load_b64 v[36:37], v[62:63], off offset:3072
	s_wait_xcnt 0x0
	s_or_b32 exec_lo, exec_lo, s57
	s_delay_alu instid0(SALU_CYCLE_1)
	s_mov_b32 s57, exec_lo
	v_cmpx_lt_u32_e64 v114, v137
	s_cbranch_execz .LBB626_505
.LBB626_571:                            ;   in Loop: Header=BB626_396 Depth=2
	global_load_b64 v[34:35], v[62:63], off offset:3328
	s_wait_xcnt 0x0
	s_or_b32 exec_lo, exec_lo, s57
	s_delay_alu instid0(SALU_CYCLE_1)
	s_mov_b32 s57, exec_lo
	v_cmpx_lt_u32_e64 v115, v137
	s_cbranch_execz .LBB626_506
.LBB626_572:                            ;   in Loop: Header=BB626_396 Depth=2
	global_load_b64 v[32:33], v[62:63], off offset:3584
	s_wait_xcnt 0x0
	s_or_b32 exec_lo, exec_lo, s57
	s_delay_alu instid0(SALU_CYCLE_1)
	s_mov_b32 s57, exec_lo
	v_cmpx_lt_u32_e64 v116, v137
	s_cbranch_execz .LBB626_507
.LBB626_573:                            ;   in Loop: Header=BB626_396 Depth=2
	global_load_b64 v[30:31], v[62:63], off offset:3840
	s_wait_xcnt 0x0
	s_or_b32 exec_lo, exec_lo, s57
	s_and_saveexec_b32 s30, vcc_lo
	s_cbranch_execz .LBB626_508
.LBB626_574:                            ;   in Loop: Header=BB626_396 Depth=2
	ds_load_b32 v62, v93 offset:1024
	s_wait_dscnt 0x0
	v_lshrrev_b32_e32 v62, s43, v62
	s_delay_alu instid0(VALU_DEP_1)
	v_and_b32_e32 v136, s48, v62
	s_or_b32 exec_lo, exec_lo, s30
	s_and_saveexec_b32 s30, s15
	s_cbranch_execz .LBB626_509
.LBB626_575:                            ;   in Loop: Header=BB626_396 Depth=2
	ds_load_b32 v62, v93 offset:2048
	s_wait_dscnt 0x0
	v_lshrrev_b32_e32 v62, s43, v62
	s_delay_alu instid0(VALU_DEP_1)
	v_and_b32_e32 v135, s48, v62
	s_or_b32 exec_lo, exec_lo, s30
	s_and_saveexec_b32 s30, s16
	s_cbranch_execz .LBB626_510
.LBB626_576:                            ;   in Loop: Header=BB626_396 Depth=2
	ds_load_b32 v62, v93 offset:3072
	s_wait_dscnt 0x0
	v_lshrrev_b32_e32 v62, s43, v62
	s_delay_alu instid0(VALU_DEP_1)
	v_and_b32_e32 v134, s48, v62
	s_or_b32 exec_lo, exec_lo, s30
	s_and_saveexec_b32 s30, s17
	s_cbranch_execz .LBB626_511
.LBB626_577:                            ;   in Loop: Header=BB626_396 Depth=2
	ds_load_b32 v62, v93 offset:4096
	s_wait_dscnt 0x0
	v_lshrrev_b32_e32 v62, s43, v62
	s_delay_alu instid0(VALU_DEP_1)
	v_and_b32_e32 v133, s48, v62
	s_or_b32 exec_lo, exec_lo, s30
	s_and_saveexec_b32 s30, s18
	s_cbranch_execz .LBB626_512
.LBB626_578:                            ;   in Loop: Header=BB626_396 Depth=2
	ds_load_b32 v62, v93 offset:5120
	s_wait_dscnt 0x0
	v_lshrrev_b32_e32 v62, s43, v62
	s_delay_alu instid0(VALU_DEP_1)
	v_and_b32_e32 v132, s48, v62
	s_or_b32 exec_lo, exec_lo, s30
	s_and_saveexec_b32 s30, s19
	s_cbranch_execz .LBB626_513
.LBB626_579:                            ;   in Loop: Header=BB626_396 Depth=2
	ds_load_b32 v62, v93 offset:6144
	s_wait_dscnt 0x0
	v_lshrrev_b32_e32 v62, s43, v62
	s_delay_alu instid0(VALU_DEP_1)
	v_and_b32_e32 v131, s48, v62
	s_or_b32 exec_lo, exec_lo, s30
	s_and_saveexec_b32 s30, s20
	s_cbranch_execz .LBB626_514
.LBB626_580:                            ;   in Loop: Header=BB626_396 Depth=2
	ds_load_b32 v62, v93 offset:7168
	s_wait_dscnt 0x0
	v_lshrrev_b32_e32 v62, s43, v62
	s_delay_alu instid0(VALU_DEP_1)
	v_and_b32_e32 v130, s48, v62
	s_or_b32 exec_lo, exec_lo, s30
	s_and_saveexec_b32 s30, s21
	s_cbranch_execz .LBB626_515
.LBB626_581:                            ;   in Loop: Header=BB626_396 Depth=2
	ds_load_b32 v62, v93 offset:8192
	s_wait_dscnt 0x0
	v_lshrrev_b32_e32 v62, s43, v62
	s_delay_alu instid0(VALU_DEP_1)
	v_and_b32_e32 v129, s48, v62
	s_or_b32 exec_lo, exec_lo, s30
	s_and_saveexec_b32 s30, s22
	s_cbranch_execz .LBB626_516
.LBB626_582:                            ;   in Loop: Header=BB626_396 Depth=2
	ds_load_b32 v62, v93 offset:9216
	s_wait_dscnt 0x0
	v_lshrrev_b32_e32 v62, s43, v62
	s_delay_alu instid0(VALU_DEP_1)
	v_and_b32_e32 v128, s48, v62
	s_or_b32 exec_lo, exec_lo, s30
	s_and_saveexec_b32 s30, s23
	s_cbranch_execz .LBB626_517
.LBB626_583:                            ;   in Loop: Header=BB626_396 Depth=2
	ds_load_b32 v62, v93 offset:10240
	s_wait_dscnt 0x0
	v_lshrrev_b32_e32 v62, s43, v62
	s_delay_alu instid0(VALU_DEP_1)
	v_and_b32_e32 v127, s48, v62
	s_or_b32 exec_lo, exec_lo, s30
	s_and_saveexec_b32 s30, s24
	s_cbranch_execz .LBB626_518
.LBB626_584:                            ;   in Loop: Header=BB626_396 Depth=2
	ds_load_b32 v62, v93 offset:11264
	s_wait_dscnt 0x0
	v_lshrrev_b32_e32 v62, s43, v62
	s_delay_alu instid0(VALU_DEP_1)
	v_and_b32_e32 v126, s48, v62
	s_or_b32 exec_lo, exec_lo, s30
	s_and_saveexec_b32 s30, s25
	s_cbranch_execz .LBB626_519
.LBB626_585:                            ;   in Loop: Header=BB626_396 Depth=2
	ds_load_b32 v62, v93 offset:12288
	s_wait_dscnt 0x0
	v_lshrrev_b32_e32 v62, s43, v62
	s_delay_alu instid0(VALU_DEP_1)
	v_and_b32_e32 v125, s48, v62
	s_or_b32 exec_lo, exec_lo, s30
	s_and_saveexec_b32 s30, s26
	s_cbranch_execz .LBB626_520
.LBB626_586:                            ;   in Loop: Header=BB626_396 Depth=2
	ds_load_b32 v62, v93 offset:13312
	s_wait_dscnt 0x0
	v_lshrrev_b32_e32 v62, s43, v62
	s_delay_alu instid0(VALU_DEP_1)
	v_and_b32_e32 v124, s48, v62
	s_or_b32 exec_lo, exec_lo, s30
	s_and_saveexec_b32 s30, s27
	s_cbranch_execz .LBB626_521
.LBB626_587:                            ;   in Loop: Header=BB626_396 Depth=2
	ds_load_b32 v62, v93 offset:14336
	s_wait_dscnt 0x0
	v_lshrrev_b32_e32 v62, s43, v62
	s_delay_alu instid0(VALU_DEP_1)
	v_and_b32_e32 v123, s48, v62
	s_or_b32 exec_lo, exec_lo, s30
	s_and_saveexec_b32 s30, s28
	s_cbranch_execz .LBB626_522
.LBB626_588:                            ;   in Loop: Header=BB626_396 Depth=2
	ds_load_b32 v62, v93 offset:15360
	s_wait_dscnt 0x0
	v_lshrrev_b32_e32 v62, s43, v62
	s_delay_alu instid0(VALU_DEP_1)
	v_and_b32_e32 v122, s48, v62
	s_or_b32 exec_lo, exec_lo, s30
	s_and_saveexec_b32 s30, s29
	s_cbranch_execnz .LBB626_523
	s_branch .LBB626_524
.LBB626_589:                            ;   in Loop: Header=BB626_396 Depth=2
	v_lshlrev_b32_e32 v62, 2, v136
	v_add_nc_u32_e32 v63, v93, v4
	ds_load_b32 v65, v62
	ds_load_b64 v[62:63], v63 offset:1024
	s_wait_dscnt 0x1
	v_add_nc_u32_e32 v65, v65, v2
	s_wait_dscnt 0x0
	global_store_b64 v65, v[62:63], s[46:47] scale_offset
	s_wait_xcnt 0x0
	s_or_b32 exec_lo, exec_lo, s30
	s_and_saveexec_b32 s30, s15
	s_cbranch_execz .LBB626_526
.LBB626_590:                            ;   in Loop: Header=BB626_396 Depth=2
	v_dual_lshlrev_b32 v62, 2, v135 :: v_dual_add_nc_u32 v63, v93, v4
	ds_load_b32 v65, v62
	ds_load_b64 v[62:63], v63 offset:3072
	s_wait_dscnt 0x1
	v_add_nc_u32_e32 v65, v65, v3
	s_wait_dscnt 0x0
	global_store_b64 v65, v[62:63], s[46:47] scale_offset
	s_wait_xcnt 0x0
	s_or_b32 exec_lo, exec_lo, s30
	s_and_saveexec_b32 s15, s16
	s_cbranch_execz .LBB626_527
.LBB626_591:                            ;   in Loop: Header=BB626_396 Depth=2
	v_dual_lshlrev_b32 v62, 2, v134 :: v_dual_add_nc_u32 v63, v93, v4
	ds_load_b32 v65, v62
	ds_load_b64 v[62:63], v63 offset:5120
	s_wait_dscnt 0x1
	v_add_nc_u32_e32 v65, v65, v70
	s_wait_dscnt 0x0
	global_store_b64 v65, v[62:63], s[46:47] scale_offset
	s_wait_xcnt 0x0
	s_or_b32 exec_lo, exec_lo, s15
	s_and_saveexec_b32 s15, s17
	s_cbranch_execz .LBB626_528
.LBB626_592:                            ;   in Loop: Header=BB626_396 Depth=2
	v_dual_lshlrev_b32 v62, 2, v133 :: v_dual_add_nc_u32 v63, v93, v4
	ds_load_b32 v65, v62
	ds_load_b64 v[62:63], v63 offset:7168
	s_wait_dscnt 0x1
	v_add_nc_u32_e32 v65, v65, v71
	s_wait_dscnt 0x0
	global_store_b64 v65, v[62:63], s[46:47] scale_offset
	s_wait_xcnt 0x0
	s_or_b32 exec_lo, exec_lo, s15
	s_and_saveexec_b32 s15, s18
	s_cbranch_execz .LBB626_529
.LBB626_593:                            ;   in Loop: Header=BB626_396 Depth=2
	v_lshlrev_b32_e32 v62, 2, v132
	v_add_nc_u32_e32 v63, v93, v4
	ds_load_b32 v65, v62
	ds_load_b64 v[62:63], v63 offset:9216
	s_wait_dscnt 0x1
	v_add_nc_u32_e32 v65, v65, v72
	s_wait_dscnt 0x0
	global_store_b64 v65, v[62:63], s[46:47] scale_offset
	s_wait_xcnt 0x0
	s_or_b32 exec_lo, exec_lo, s15
	s_and_saveexec_b32 s15, s19
	s_cbranch_execz .LBB626_530
.LBB626_594:                            ;   in Loop: Header=BB626_396 Depth=2
	v_dual_lshlrev_b32 v62, 2, v131 :: v_dual_add_nc_u32 v63, v93, v4
	ds_load_b32 v65, v62
	ds_load_b64 v[62:63], v63 offset:11264
	s_wait_dscnt 0x1
	v_add_nc_u32_e32 v65, v65, v73
	s_wait_dscnt 0x0
	global_store_b64 v65, v[62:63], s[46:47] scale_offset
	s_wait_xcnt 0x0
	s_or_b32 exec_lo, exec_lo, s15
	s_and_saveexec_b32 s15, s20
	s_cbranch_execz .LBB626_531
.LBB626_595:                            ;   in Loop: Header=BB626_396 Depth=2
	v_dual_lshlrev_b32 v62, 2, v130 :: v_dual_add_nc_u32 v63, v93, v4
	ds_load_b32 v65, v62
	ds_load_b64 v[62:63], v63 offset:13312
	s_wait_dscnt 0x1
	v_add_nc_u32_e32 v65, v65, v74
	s_wait_dscnt 0x0
	global_store_b64 v65, v[62:63], s[46:47] scale_offset
	s_wait_xcnt 0x0
	s_or_b32 exec_lo, exec_lo, s15
	s_and_saveexec_b32 s15, s21
	s_cbranch_execz .LBB626_532
.LBB626_596:                            ;   in Loop: Header=BB626_396 Depth=2
	v_dual_lshlrev_b32 v62, 2, v129 :: v_dual_add_nc_u32 v63, v93, v4
	ds_load_b32 v65, v62
	ds_load_b64 v[62:63], v63 offset:15360
	s_wait_dscnt 0x1
	v_add_nc_u32_e32 v65, v65, v75
	s_wait_dscnt 0x0
	global_store_b64 v65, v[62:63], s[46:47] scale_offset
	s_wait_xcnt 0x0
	s_or_b32 exec_lo, exec_lo, s15
	s_and_saveexec_b32 s15, s22
	s_cbranch_execz .LBB626_533
.LBB626_597:                            ;   in Loop: Header=BB626_396 Depth=2
	v_lshlrev_b32_e32 v62, 2, v128
	v_add_nc_u32_e32 v63, v93, v4
	ds_load_b32 v65, v62
	ds_load_b64 v[62:63], v63 offset:17408
	s_wait_dscnt 0x1
	v_add_nc_u32_e32 v65, v65, v76
	s_wait_dscnt 0x0
	global_store_b64 v65, v[62:63], s[46:47] scale_offset
	s_wait_xcnt 0x0
	s_or_b32 exec_lo, exec_lo, s15
	s_and_saveexec_b32 s15, s23
	s_cbranch_execz .LBB626_534
.LBB626_598:                            ;   in Loop: Header=BB626_396 Depth=2
	v_dual_lshlrev_b32 v62, 2, v127 :: v_dual_add_nc_u32 v63, v93, v4
	ds_load_b32 v65, v62
	ds_load_b64 v[62:63], v63 offset:19456
	s_wait_dscnt 0x1
	v_add_nc_u32_e32 v65, v65, v77
	s_wait_dscnt 0x0
	global_store_b64 v65, v[62:63], s[46:47] scale_offset
	s_wait_xcnt 0x0
	s_or_b32 exec_lo, exec_lo, s15
	s_and_saveexec_b32 s15, s24
	s_cbranch_execz .LBB626_535
.LBB626_599:                            ;   in Loop: Header=BB626_396 Depth=2
	v_dual_lshlrev_b32 v62, 2, v126 :: v_dual_add_nc_u32 v63, v93, v4
	ds_load_b32 v65, v62
	ds_load_b64 v[62:63], v63 offset:21504
	s_wait_dscnt 0x1
	v_add_nc_u32_e32 v65, v65, v78
	s_wait_dscnt 0x0
	global_store_b64 v65, v[62:63], s[46:47] scale_offset
	s_wait_xcnt 0x0
	s_or_b32 exec_lo, exec_lo, s15
	s_and_saveexec_b32 s15, s25
	s_cbranch_execz .LBB626_536
.LBB626_600:                            ;   in Loop: Header=BB626_396 Depth=2
	v_dual_lshlrev_b32 v62, 2, v125 :: v_dual_add_nc_u32 v63, v93, v4
	ds_load_b32 v65, v62
	ds_load_b64 v[62:63], v63 offset:23552
	s_wait_dscnt 0x1
	v_add_nc_u32_e32 v65, v65, v79
	s_wait_dscnt 0x0
	global_store_b64 v65, v[62:63], s[46:47] scale_offset
	s_wait_xcnt 0x0
	s_or_b32 exec_lo, exec_lo, s15
	s_and_saveexec_b32 s15, s26
	s_cbranch_execz .LBB626_537
.LBB626_601:                            ;   in Loop: Header=BB626_396 Depth=2
	v_lshlrev_b32_e32 v62, 2, v124
	v_add_nc_u32_e32 v63, v93, v4
	ds_load_b32 v65, v62
	ds_load_b64 v[62:63], v63 offset:25600
	s_wait_dscnt 0x1
	v_add_nc_u32_e32 v65, v65, v80
	s_wait_dscnt 0x0
	global_store_b64 v65, v[62:63], s[46:47] scale_offset
	s_wait_xcnt 0x0
	s_or_b32 exec_lo, exec_lo, s15
	s_and_saveexec_b32 s15, s27
	s_cbranch_execz .LBB626_538
.LBB626_602:                            ;   in Loop: Header=BB626_396 Depth=2
	v_dual_lshlrev_b32 v62, 2, v123 :: v_dual_add_nc_u32 v63, v93, v4
	ds_load_b32 v65, v62
	ds_load_b64 v[62:63], v63 offset:27648
	s_wait_dscnt 0x1
	v_add_nc_u32_e32 v65, v65, v81
	s_wait_dscnt 0x0
	global_store_b64 v65, v[62:63], s[46:47] scale_offset
	s_wait_xcnt 0x0
	s_or_b32 exec_lo, exec_lo, s15
	s_and_saveexec_b32 s15, s28
	s_cbranch_execz .LBB626_539
.LBB626_603:                            ;   in Loop: Header=BB626_396 Depth=2
	v_dual_lshlrev_b32 v62, 2, v122 :: v_dual_add_nc_u32 v63, v93, v4
	ds_load_b32 v65, v62
	ds_load_b64 v[62:63], v63 offset:29696
	s_wait_dscnt 0x1
	v_add_nc_u32_e32 v65, v65, v82
	s_wait_dscnt 0x0
	global_store_b64 v65, v[62:63], s[46:47] scale_offset
	s_wait_xcnt 0x0
	s_or_b32 exec_lo, exec_lo, s15
	s_and_saveexec_b32 s15, s29
	s_cbranch_execnz .LBB626_540
	s_branch .LBB626_541
.LBB626_604:                            ;   in Loop: Header=BB626_20 Depth=1
	s_wait_dscnt 0x0
	s_barrier_signal -1
	s_barrier_wait -1
.LBB626_605:                            ;   in Loop: Header=BB626_20 Depth=1
	s_mov_b32 s7, 0
.LBB626_606:                            ;   in Loop: Header=BB626_20 Depth=1
	s_delay_alu instid0(SALU_CYCLE_1)
	s_and_not1_b32 vcc_lo, exec_lo, s7
	s_cbranch_vccnz .LBB626_19
; %bb.607:                              ;   in Loop: Header=BB626_20 Depth=1
	s_and_b32 vcc_lo, exec_lo, s53
	s_mov_b32 s7, -1
	s_cbranch_vccz .LBB626_899
; %bb.608:                              ;   in Loop: Header=BB626_20 Depth=1
	s_mov_b32 s7, s54
	s_mov_b32 s30, s52
	s_barrier_signal -1
	s_barrier_wait -1
                                        ; implicit-def: $vgpr25
                                        ; implicit-def: $vgpr26
                                        ; implicit-def: $vgpr27
                                        ; implicit-def: $vgpr28
                                        ; implicit-def: $vgpr29
                                        ; implicit-def: $vgpr30
                                        ; implicit-def: $vgpr31
                                        ; implicit-def: $vgpr32
                                        ; implicit-def: $vgpr33
                                        ; implicit-def: $vgpr34
                                        ; implicit-def: $vgpr35
                                        ; implicit-def: $vgpr36
                                        ; implicit-def: $vgpr37
                                        ; implicit-def: $vgpr38
                                        ; implicit-def: $vgpr39
                                        ; implicit-def: $vgpr40
	s_branch .LBB626_610
.LBB626_609:                            ;   in Loop: Header=BB626_610 Depth=2
	s_or_b32 exec_lo, exec_lo, s8
	s_addk_co_i32 s7, 0xf000
	s_cmp_ge_u32 s10, s51
	s_mov_b32 s30, s10
	s_cbranch_scc1 .LBB626_678
.LBB626_610:                            ;   Parent Loop BB626_20 Depth=1
                                        ; =>  This Inner Loop Header: Depth=2
	s_add_co_i32 s10, s30, 0x1000
	s_mov_b32 s8, -1
	s_cmp_gt_u32 s10, s51
                                        ; implicit-def: $vgpr41
                                        ; implicit-def: $vgpr42
                                        ; implicit-def: $vgpr43
                                        ; implicit-def: $vgpr44
                                        ; implicit-def: $vgpr45
                                        ; implicit-def: $vgpr46
                                        ; implicit-def: $vgpr47
                                        ; implicit-def: $vgpr48
                                        ; implicit-def: $vgpr49
                                        ; implicit-def: $vgpr50
                                        ; implicit-def: $vgpr51
                                        ; implicit-def: $vgpr52
                                        ; implicit-def: $vgpr53
                                        ; implicit-def: $vgpr54
                                        ; implicit-def: $vgpr55
                                        ; implicit-def: $vgpr56
	s_cbranch_scc1 .LBB626_612
; %bb.611:                              ;   in Loop: Header=BB626_610 Depth=2
	v_lshl_add_u64 v[56:57], s[30:31], 2, v[22:23]
	s_mov_b32 s8, 0
	s_clause 0xf
	global_load_b32 v41, v[56:57], off
	global_load_b32 v42, v[56:57], off offset:1024
	global_load_b32 v43, v[56:57], off offset:2048
	;; [unrolled: 1-line block ×15, first 2 shown]
.LBB626_612:                            ;   in Loop: Header=BB626_610 Depth=2
	s_and_not1_b32 vcc_lo, exec_lo, s8
	s_movk_i32 s8, 0x1000
	s_cbranch_vccnz .LBB626_631
; %bb.613:                              ;   in Loop: Header=BB626_610 Depth=2
	s_lshl_b64 s[8:9], s[30:31], 2
	s_mov_b32 s11, exec_lo
	s_add_nc_u64 s[8:9], s[36:37], s[8:9]
	s_wait_xcnt 0x0
	v_cmpx_gt_u32_e64 s7, v2
	s_cbranch_execnz .LBB626_663
; %bb.614:                              ;   in Loop: Header=BB626_610 Depth=2
	s_or_b32 exec_lo, exec_lo, s11
	s_delay_alu instid0(SALU_CYCLE_1)
	s_mov_b32 s11, exec_lo
	v_cmpx_gt_u32_e64 s7, v3
	s_cbranch_execnz .LBB626_664
.LBB626_615:                            ;   in Loop: Header=BB626_610 Depth=2
	s_or_b32 exec_lo, exec_lo, s11
	s_delay_alu instid0(SALU_CYCLE_1)
	s_mov_b32 s11, exec_lo
	v_cmpx_gt_u32_e64 s7, v70
	s_cbranch_execnz .LBB626_665
.LBB626_616:                            ;   in Loop: Header=BB626_610 Depth=2
	s_or_b32 exec_lo, exec_lo, s11
	s_delay_alu instid0(SALU_CYCLE_1)
	s_mov_b32 s11, exec_lo
	v_cmpx_gt_u32_e64 s7, v71
	s_cbranch_execnz .LBB626_666
.LBB626_617:                            ;   in Loop: Header=BB626_610 Depth=2
	s_or_b32 exec_lo, exec_lo, s11
	s_delay_alu instid0(SALU_CYCLE_1)
	s_mov_b32 s11, exec_lo
	v_cmpx_gt_u32_e64 s7, v72
	s_cbranch_execnz .LBB626_667
.LBB626_618:                            ;   in Loop: Header=BB626_610 Depth=2
	s_or_b32 exec_lo, exec_lo, s11
	s_delay_alu instid0(SALU_CYCLE_1)
	s_mov_b32 s11, exec_lo
	v_cmpx_gt_u32_e64 s7, v73
	s_cbranch_execnz .LBB626_668
.LBB626_619:                            ;   in Loop: Header=BB626_610 Depth=2
	s_or_b32 exec_lo, exec_lo, s11
	s_delay_alu instid0(SALU_CYCLE_1)
	s_mov_b32 s11, exec_lo
	v_cmpx_gt_u32_e64 s7, v74
	s_cbranch_execnz .LBB626_669
.LBB626_620:                            ;   in Loop: Header=BB626_610 Depth=2
	s_or_b32 exec_lo, exec_lo, s11
	s_delay_alu instid0(SALU_CYCLE_1)
	s_mov_b32 s11, exec_lo
	v_cmpx_gt_u32_e64 s7, v75
	s_cbranch_execnz .LBB626_670
.LBB626_621:                            ;   in Loop: Header=BB626_610 Depth=2
	s_or_b32 exec_lo, exec_lo, s11
	s_delay_alu instid0(SALU_CYCLE_1)
	s_mov_b32 s11, exec_lo
	v_cmpx_gt_u32_e64 s7, v76
	s_cbranch_execnz .LBB626_671
.LBB626_622:                            ;   in Loop: Header=BB626_610 Depth=2
	s_or_b32 exec_lo, exec_lo, s11
	s_delay_alu instid0(SALU_CYCLE_1)
	s_mov_b32 s11, exec_lo
	v_cmpx_gt_u32_e64 s7, v77
	s_cbranch_execnz .LBB626_672
.LBB626_623:                            ;   in Loop: Header=BB626_610 Depth=2
	s_or_b32 exec_lo, exec_lo, s11
	s_delay_alu instid0(SALU_CYCLE_1)
	s_mov_b32 s11, exec_lo
	v_cmpx_gt_u32_e64 s7, v78
	s_cbranch_execnz .LBB626_673
.LBB626_624:                            ;   in Loop: Header=BB626_610 Depth=2
	s_or_b32 exec_lo, exec_lo, s11
	s_delay_alu instid0(SALU_CYCLE_1)
	s_mov_b32 s11, exec_lo
	v_cmpx_gt_u32_e64 s7, v79
	s_cbranch_execnz .LBB626_674
.LBB626_625:                            ;   in Loop: Header=BB626_610 Depth=2
	s_or_b32 exec_lo, exec_lo, s11
	s_delay_alu instid0(SALU_CYCLE_1)
	s_mov_b32 s11, exec_lo
	v_cmpx_gt_u32_e64 s7, v80
	s_cbranch_execnz .LBB626_675
.LBB626_626:                            ;   in Loop: Header=BB626_610 Depth=2
	s_or_b32 exec_lo, exec_lo, s11
	s_delay_alu instid0(SALU_CYCLE_1)
	s_mov_b32 s11, exec_lo
	v_cmpx_gt_u32_e64 s7, v81
	s_cbranch_execnz .LBB626_676
.LBB626_627:                            ;   in Loop: Header=BB626_610 Depth=2
	s_or_b32 exec_lo, exec_lo, s11
	s_delay_alu instid0(SALU_CYCLE_1)
	s_mov_b32 s11, exec_lo
	v_cmpx_gt_u32_e64 s7, v82
	s_cbranch_execnz .LBB626_677
.LBB626_628:                            ;   in Loop: Header=BB626_610 Depth=2
	s_or_b32 exec_lo, exec_lo, s11
	s_delay_alu instid0(SALU_CYCLE_1)
	s_mov_b32 s11, exec_lo
	v_cmpx_gt_u32_e64 s7, v83
	s_cbranch_execz .LBB626_630
.LBB626_629:                            ;   in Loop: Header=BB626_610 Depth=2
	global_load_b32 v25, v2, s[8:9] offset:15360 scale_offset
.LBB626_630:                            ;   in Loop: Header=BB626_610 Depth=2
	s_wait_xcnt 0x0
	s_or_b32 exec_lo, exec_lo, s11
	s_wait_loadcnt 0x0
	v_dual_mov_b32 v41, v40 :: v_dual_mov_b32 v42, v39
	v_dual_mov_b32 v43, v38 :: v_dual_mov_b32 v44, v37
	v_dual_mov_b32 v45, v36 :: v_dual_mov_b32 v46, v35
	v_dual_mov_b32 v47, v34 :: v_dual_mov_b32 v48, v33
	v_dual_mov_b32 v49, v32 :: v_dual_mov_b32 v50, v31
	v_dual_mov_b32 v51, v30 :: v_dual_mov_b32 v52, v29
	v_dual_mov_b32 v53, v28 :: v_dual_mov_b32 v54, v27
	v_dual_mov_b32 v55, v26 :: v_dual_mov_b32 v56, v25
	s_mov_b32 s8, s7
.LBB626_631:                            ;   in Loop: Header=BB626_610 Depth=2
	s_wait_loadcnt 0x0
	s_delay_alu instid0(VALU_DEP_1)
	v_dual_mov_b32 v25, v56 :: v_dual_mov_b32 v26, v55
	v_dual_mov_b32 v27, v54 :: v_dual_mov_b32 v28, v53
	;; [unrolled: 1-line block ×8, first 2 shown]
	s_mov_b32 s9, exec_lo
	s_wait_xcnt 0x0
	v_cmpx_gt_u32_e64 s8, v2
	s_cbranch_execnz .LBB626_647
; %bb.632:                              ;   in Loop: Header=BB626_610 Depth=2
	s_or_b32 exec_lo, exec_lo, s9
	s_delay_alu instid0(SALU_CYCLE_1)
	s_mov_b32 s9, exec_lo
	v_cmpx_gt_u32_e64 s8, v3
	s_cbranch_execnz .LBB626_648
.LBB626_633:                            ;   in Loop: Header=BB626_610 Depth=2
	s_or_b32 exec_lo, exec_lo, s9
	s_delay_alu instid0(SALU_CYCLE_1)
	s_mov_b32 s9, exec_lo
	v_cmpx_gt_u32_e64 s8, v70
	s_cbranch_execnz .LBB626_649
.LBB626_634:                            ;   in Loop: Header=BB626_610 Depth=2
	s_or_b32 exec_lo, exec_lo, s9
	s_delay_alu instid0(SALU_CYCLE_1)
	s_mov_b32 s9, exec_lo
	v_cmpx_gt_u32_e64 s8, v71
	s_cbranch_execnz .LBB626_650
.LBB626_635:                            ;   in Loop: Header=BB626_610 Depth=2
	s_or_b32 exec_lo, exec_lo, s9
	s_delay_alu instid0(SALU_CYCLE_1)
	s_mov_b32 s9, exec_lo
	v_cmpx_gt_u32_e64 s8, v72
	s_cbranch_execnz .LBB626_651
.LBB626_636:                            ;   in Loop: Header=BB626_610 Depth=2
	s_or_b32 exec_lo, exec_lo, s9
	s_delay_alu instid0(SALU_CYCLE_1)
	s_mov_b32 s9, exec_lo
	v_cmpx_gt_u32_e64 s8, v73
	s_cbranch_execnz .LBB626_652
.LBB626_637:                            ;   in Loop: Header=BB626_610 Depth=2
	s_or_b32 exec_lo, exec_lo, s9
	s_delay_alu instid0(SALU_CYCLE_1)
	s_mov_b32 s9, exec_lo
	v_cmpx_gt_u32_e64 s8, v74
	s_cbranch_execnz .LBB626_653
.LBB626_638:                            ;   in Loop: Header=BB626_610 Depth=2
	s_or_b32 exec_lo, exec_lo, s9
	s_delay_alu instid0(SALU_CYCLE_1)
	s_mov_b32 s9, exec_lo
	v_cmpx_gt_u32_e64 s8, v75
	s_cbranch_execnz .LBB626_654
.LBB626_639:                            ;   in Loop: Header=BB626_610 Depth=2
	s_or_b32 exec_lo, exec_lo, s9
	s_delay_alu instid0(SALU_CYCLE_1)
	s_mov_b32 s9, exec_lo
	v_cmpx_gt_u32_e64 s8, v76
	s_cbranch_execnz .LBB626_655
.LBB626_640:                            ;   in Loop: Header=BB626_610 Depth=2
	s_or_b32 exec_lo, exec_lo, s9
	s_delay_alu instid0(SALU_CYCLE_1)
	s_mov_b32 s9, exec_lo
	v_cmpx_gt_u32_e64 s8, v77
	s_cbranch_execnz .LBB626_656
.LBB626_641:                            ;   in Loop: Header=BB626_610 Depth=2
	s_or_b32 exec_lo, exec_lo, s9
	s_delay_alu instid0(SALU_CYCLE_1)
	s_mov_b32 s9, exec_lo
	v_cmpx_gt_u32_e64 s8, v78
	s_cbranch_execnz .LBB626_657
.LBB626_642:                            ;   in Loop: Header=BB626_610 Depth=2
	s_or_b32 exec_lo, exec_lo, s9
	s_delay_alu instid0(SALU_CYCLE_1)
	s_mov_b32 s9, exec_lo
	v_cmpx_gt_u32_e64 s8, v79
	s_cbranch_execnz .LBB626_658
.LBB626_643:                            ;   in Loop: Header=BB626_610 Depth=2
	s_or_b32 exec_lo, exec_lo, s9
	s_delay_alu instid0(SALU_CYCLE_1)
	s_mov_b32 s9, exec_lo
	v_cmpx_gt_u32_e64 s8, v80
	s_cbranch_execnz .LBB626_659
.LBB626_644:                            ;   in Loop: Header=BB626_610 Depth=2
	s_or_b32 exec_lo, exec_lo, s9
	s_delay_alu instid0(SALU_CYCLE_1)
	s_mov_b32 s9, exec_lo
	v_cmpx_gt_u32_e64 s8, v81
	s_cbranch_execnz .LBB626_660
.LBB626_645:                            ;   in Loop: Header=BB626_610 Depth=2
	s_or_b32 exec_lo, exec_lo, s9
	s_delay_alu instid0(SALU_CYCLE_1)
	s_mov_b32 s9, exec_lo
	v_cmpx_gt_u32_e64 s8, v82
	s_cbranch_execnz .LBB626_661
.LBB626_646:                            ;   in Loop: Header=BB626_610 Depth=2
	s_or_b32 exec_lo, exec_lo, s9
	v_cmp_gt_u32_e32 vcc_lo, s8, v83
	s_and_saveexec_b32 s8, vcc_lo
	s_cbranch_execz .LBB626_609
	s_branch .LBB626_662
.LBB626_647:                            ;   in Loop: Header=BB626_610 Depth=2
	v_xor_b32_e32 v41, 0x80000000, v40
	s_delay_alu instid0(VALU_DEP_1) | instskip(NEXT) | instid1(VALU_DEP_1)
	v_lshrrev_b32_e32 v41, s49, v41
	v_and_b32_e32 v41, s48, v41
	s_delay_alu instid0(VALU_DEP_1) | instskip(SKIP_2) | instid1(SALU_CYCLE_1)
	v_lshl_or_b32 v41, v41, 4, v84
	ds_add_u32 v41, v95
	s_or_b32 exec_lo, exec_lo, s9
	s_mov_b32 s9, exec_lo
	v_cmpx_gt_u32_e64 s8, v3
	s_cbranch_execz .LBB626_633
.LBB626_648:                            ;   in Loop: Header=BB626_610 Depth=2
	v_xor_b32_e32 v41, 0x80000000, v39
	s_delay_alu instid0(VALU_DEP_1) | instskip(NEXT) | instid1(VALU_DEP_1)
	v_lshrrev_b32_e32 v41, s49, v41
	v_and_b32_e32 v41, s48, v41
	s_delay_alu instid0(VALU_DEP_1) | instskip(SKIP_2) | instid1(SALU_CYCLE_1)
	v_lshl_or_b32 v41, v41, 4, v84
	ds_add_u32 v41, v95
	s_or_b32 exec_lo, exec_lo, s9
	s_mov_b32 s9, exec_lo
	v_cmpx_gt_u32_e64 s8, v70
	s_cbranch_execz .LBB626_634
.LBB626_649:                            ;   in Loop: Header=BB626_610 Depth=2
	v_xor_b32_e32 v41, 0x80000000, v38
	s_delay_alu instid0(VALU_DEP_1) | instskip(NEXT) | instid1(VALU_DEP_1)
	v_lshrrev_b32_e32 v41, s49, v41
	v_and_b32_e32 v41, s48, v41
	s_delay_alu instid0(VALU_DEP_1) | instskip(SKIP_2) | instid1(SALU_CYCLE_1)
	v_lshl_or_b32 v41, v41, 4, v84
	ds_add_u32 v41, v95
	s_or_b32 exec_lo, exec_lo, s9
	s_mov_b32 s9, exec_lo
	v_cmpx_gt_u32_e64 s8, v71
	s_cbranch_execz .LBB626_635
.LBB626_650:                            ;   in Loop: Header=BB626_610 Depth=2
	v_xor_b32_e32 v41, 0x80000000, v37
	s_delay_alu instid0(VALU_DEP_1) | instskip(NEXT) | instid1(VALU_DEP_1)
	v_lshrrev_b32_e32 v41, s49, v41
	v_and_b32_e32 v41, s48, v41
	s_delay_alu instid0(VALU_DEP_1) | instskip(SKIP_2) | instid1(SALU_CYCLE_1)
	v_lshl_or_b32 v41, v41, 4, v84
	ds_add_u32 v41, v95
	s_or_b32 exec_lo, exec_lo, s9
	s_mov_b32 s9, exec_lo
	v_cmpx_gt_u32_e64 s8, v72
	s_cbranch_execz .LBB626_636
.LBB626_651:                            ;   in Loop: Header=BB626_610 Depth=2
	v_xor_b32_e32 v41, 0x80000000, v36
	s_delay_alu instid0(VALU_DEP_1) | instskip(NEXT) | instid1(VALU_DEP_1)
	v_lshrrev_b32_e32 v41, s49, v41
	v_and_b32_e32 v41, s48, v41
	s_delay_alu instid0(VALU_DEP_1) | instskip(SKIP_2) | instid1(SALU_CYCLE_1)
	v_lshl_or_b32 v41, v41, 4, v84
	ds_add_u32 v41, v95
	s_or_b32 exec_lo, exec_lo, s9
	s_mov_b32 s9, exec_lo
	v_cmpx_gt_u32_e64 s8, v73
	s_cbranch_execz .LBB626_637
.LBB626_652:                            ;   in Loop: Header=BB626_610 Depth=2
	v_xor_b32_e32 v41, 0x80000000, v35
	s_delay_alu instid0(VALU_DEP_1) | instskip(NEXT) | instid1(VALU_DEP_1)
	v_lshrrev_b32_e32 v41, s49, v41
	v_and_b32_e32 v41, s48, v41
	s_delay_alu instid0(VALU_DEP_1) | instskip(SKIP_2) | instid1(SALU_CYCLE_1)
	v_lshl_or_b32 v41, v41, 4, v84
	ds_add_u32 v41, v95
	s_or_b32 exec_lo, exec_lo, s9
	s_mov_b32 s9, exec_lo
	v_cmpx_gt_u32_e64 s8, v74
	s_cbranch_execz .LBB626_638
.LBB626_653:                            ;   in Loop: Header=BB626_610 Depth=2
	v_xor_b32_e32 v41, 0x80000000, v34
	s_delay_alu instid0(VALU_DEP_1) | instskip(NEXT) | instid1(VALU_DEP_1)
	v_lshrrev_b32_e32 v41, s49, v41
	v_and_b32_e32 v41, s48, v41
	s_delay_alu instid0(VALU_DEP_1) | instskip(SKIP_2) | instid1(SALU_CYCLE_1)
	v_lshl_or_b32 v41, v41, 4, v84
	ds_add_u32 v41, v95
	s_or_b32 exec_lo, exec_lo, s9
	s_mov_b32 s9, exec_lo
	v_cmpx_gt_u32_e64 s8, v75
	s_cbranch_execz .LBB626_639
.LBB626_654:                            ;   in Loop: Header=BB626_610 Depth=2
	v_xor_b32_e32 v41, 0x80000000, v33
	s_delay_alu instid0(VALU_DEP_1) | instskip(NEXT) | instid1(VALU_DEP_1)
	v_lshrrev_b32_e32 v41, s49, v41
	v_and_b32_e32 v41, s48, v41
	s_delay_alu instid0(VALU_DEP_1) | instskip(SKIP_2) | instid1(SALU_CYCLE_1)
	v_lshl_or_b32 v41, v41, 4, v84
	ds_add_u32 v41, v95
	s_or_b32 exec_lo, exec_lo, s9
	s_mov_b32 s9, exec_lo
	v_cmpx_gt_u32_e64 s8, v76
	s_cbranch_execz .LBB626_640
.LBB626_655:                            ;   in Loop: Header=BB626_610 Depth=2
	v_xor_b32_e32 v41, 0x80000000, v32
	s_delay_alu instid0(VALU_DEP_1) | instskip(NEXT) | instid1(VALU_DEP_1)
	v_lshrrev_b32_e32 v41, s49, v41
	v_and_b32_e32 v41, s48, v41
	s_delay_alu instid0(VALU_DEP_1) | instskip(SKIP_2) | instid1(SALU_CYCLE_1)
	v_lshl_or_b32 v41, v41, 4, v84
	ds_add_u32 v41, v95
	s_or_b32 exec_lo, exec_lo, s9
	s_mov_b32 s9, exec_lo
	v_cmpx_gt_u32_e64 s8, v77
	s_cbranch_execz .LBB626_641
.LBB626_656:                            ;   in Loop: Header=BB626_610 Depth=2
	v_xor_b32_e32 v41, 0x80000000, v31
	s_delay_alu instid0(VALU_DEP_1) | instskip(NEXT) | instid1(VALU_DEP_1)
	v_lshrrev_b32_e32 v41, s49, v41
	v_and_b32_e32 v41, s48, v41
	s_delay_alu instid0(VALU_DEP_1) | instskip(SKIP_2) | instid1(SALU_CYCLE_1)
	v_lshl_or_b32 v41, v41, 4, v84
	ds_add_u32 v41, v95
	s_or_b32 exec_lo, exec_lo, s9
	s_mov_b32 s9, exec_lo
	v_cmpx_gt_u32_e64 s8, v78
	s_cbranch_execz .LBB626_642
.LBB626_657:                            ;   in Loop: Header=BB626_610 Depth=2
	v_xor_b32_e32 v41, 0x80000000, v30
	s_delay_alu instid0(VALU_DEP_1) | instskip(NEXT) | instid1(VALU_DEP_1)
	v_lshrrev_b32_e32 v41, s49, v41
	v_and_b32_e32 v41, s48, v41
	s_delay_alu instid0(VALU_DEP_1) | instskip(SKIP_2) | instid1(SALU_CYCLE_1)
	v_lshl_or_b32 v41, v41, 4, v84
	ds_add_u32 v41, v95
	s_or_b32 exec_lo, exec_lo, s9
	s_mov_b32 s9, exec_lo
	v_cmpx_gt_u32_e64 s8, v79
	s_cbranch_execz .LBB626_643
.LBB626_658:                            ;   in Loop: Header=BB626_610 Depth=2
	v_xor_b32_e32 v41, 0x80000000, v29
	s_delay_alu instid0(VALU_DEP_1) | instskip(NEXT) | instid1(VALU_DEP_1)
	v_lshrrev_b32_e32 v41, s49, v41
	v_and_b32_e32 v41, s48, v41
	s_delay_alu instid0(VALU_DEP_1) | instskip(SKIP_2) | instid1(SALU_CYCLE_1)
	v_lshl_or_b32 v41, v41, 4, v84
	ds_add_u32 v41, v95
	s_or_b32 exec_lo, exec_lo, s9
	s_mov_b32 s9, exec_lo
	v_cmpx_gt_u32_e64 s8, v80
	s_cbranch_execz .LBB626_644
.LBB626_659:                            ;   in Loop: Header=BB626_610 Depth=2
	v_xor_b32_e32 v41, 0x80000000, v28
	s_delay_alu instid0(VALU_DEP_1) | instskip(NEXT) | instid1(VALU_DEP_1)
	v_lshrrev_b32_e32 v41, s49, v41
	v_and_b32_e32 v41, s48, v41
	s_delay_alu instid0(VALU_DEP_1) | instskip(SKIP_2) | instid1(SALU_CYCLE_1)
	v_lshl_or_b32 v41, v41, 4, v84
	ds_add_u32 v41, v95
	s_or_b32 exec_lo, exec_lo, s9
	s_mov_b32 s9, exec_lo
	v_cmpx_gt_u32_e64 s8, v81
	s_cbranch_execz .LBB626_645
.LBB626_660:                            ;   in Loop: Header=BB626_610 Depth=2
	v_xor_b32_e32 v41, 0x80000000, v27
	s_delay_alu instid0(VALU_DEP_1) | instskip(NEXT) | instid1(VALU_DEP_1)
	v_lshrrev_b32_e32 v41, s49, v41
	v_and_b32_e32 v41, s48, v41
	s_delay_alu instid0(VALU_DEP_1) | instskip(SKIP_2) | instid1(SALU_CYCLE_1)
	v_lshl_or_b32 v41, v41, 4, v84
	ds_add_u32 v41, v95
	s_or_b32 exec_lo, exec_lo, s9
	s_mov_b32 s9, exec_lo
	v_cmpx_gt_u32_e64 s8, v82
	s_cbranch_execz .LBB626_646
.LBB626_661:                            ;   in Loop: Header=BB626_610 Depth=2
	v_xor_b32_e32 v41, 0x80000000, v26
	s_delay_alu instid0(VALU_DEP_1) | instskip(NEXT) | instid1(VALU_DEP_1)
	v_lshrrev_b32_e32 v41, s49, v41
	v_and_b32_e32 v41, s48, v41
	s_delay_alu instid0(VALU_DEP_1)
	v_lshl_or_b32 v41, v41, 4, v84
	ds_add_u32 v41, v95
	s_or_b32 exec_lo, exec_lo, s9
	v_cmp_gt_u32_e32 vcc_lo, s8, v83
	s_and_saveexec_b32 s8, vcc_lo
	s_cbranch_execz .LBB626_609
.LBB626_662:                            ;   in Loop: Header=BB626_610 Depth=2
	v_xor_b32_e32 v41, 0x80000000, v25
	s_delay_alu instid0(VALU_DEP_1) | instskip(NEXT) | instid1(VALU_DEP_1)
	v_lshrrev_b32_e32 v41, s49, v41
	v_and_b32_e32 v41, s48, v41
	s_delay_alu instid0(VALU_DEP_1)
	v_lshl_or_b32 v41, v41, 4, v84
	ds_add_u32 v41, v95
	s_branch .LBB626_609
.LBB626_663:                            ;   in Loop: Header=BB626_610 Depth=2
	global_load_b32 v40, v2, s[8:9] scale_offset
	s_wait_xcnt 0x0
	s_or_b32 exec_lo, exec_lo, s11
	s_delay_alu instid0(SALU_CYCLE_1)
	s_mov_b32 s11, exec_lo
	v_cmpx_gt_u32_e64 s7, v3
	s_cbranch_execz .LBB626_615
.LBB626_664:                            ;   in Loop: Header=BB626_610 Depth=2
	global_load_b32 v39, v2, s[8:9] offset:1024 scale_offset
	s_wait_xcnt 0x0
	s_or_b32 exec_lo, exec_lo, s11
	s_delay_alu instid0(SALU_CYCLE_1)
	s_mov_b32 s11, exec_lo
	v_cmpx_gt_u32_e64 s7, v70
	s_cbranch_execz .LBB626_616
.LBB626_665:                            ;   in Loop: Header=BB626_610 Depth=2
	global_load_b32 v38, v2, s[8:9] offset:2048 scale_offset
	s_wait_xcnt 0x0
	s_or_b32 exec_lo, exec_lo, s11
	s_delay_alu instid0(SALU_CYCLE_1)
	s_mov_b32 s11, exec_lo
	v_cmpx_gt_u32_e64 s7, v71
	s_cbranch_execz .LBB626_617
.LBB626_666:                            ;   in Loop: Header=BB626_610 Depth=2
	global_load_b32 v37, v2, s[8:9] offset:3072 scale_offset
	s_wait_xcnt 0x0
	s_or_b32 exec_lo, exec_lo, s11
	s_delay_alu instid0(SALU_CYCLE_1)
	s_mov_b32 s11, exec_lo
	v_cmpx_gt_u32_e64 s7, v72
	s_cbranch_execz .LBB626_618
.LBB626_667:                            ;   in Loop: Header=BB626_610 Depth=2
	global_load_b32 v36, v2, s[8:9] offset:4096 scale_offset
	s_wait_xcnt 0x0
	s_or_b32 exec_lo, exec_lo, s11
	s_delay_alu instid0(SALU_CYCLE_1)
	s_mov_b32 s11, exec_lo
	v_cmpx_gt_u32_e64 s7, v73
	s_cbranch_execz .LBB626_619
.LBB626_668:                            ;   in Loop: Header=BB626_610 Depth=2
	global_load_b32 v35, v2, s[8:9] offset:5120 scale_offset
	s_wait_xcnt 0x0
	s_or_b32 exec_lo, exec_lo, s11
	s_delay_alu instid0(SALU_CYCLE_1)
	s_mov_b32 s11, exec_lo
	v_cmpx_gt_u32_e64 s7, v74
	s_cbranch_execz .LBB626_620
.LBB626_669:                            ;   in Loop: Header=BB626_610 Depth=2
	global_load_b32 v34, v2, s[8:9] offset:6144 scale_offset
	s_wait_xcnt 0x0
	s_or_b32 exec_lo, exec_lo, s11
	s_delay_alu instid0(SALU_CYCLE_1)
	s_mov_b32 s11, exec_lo
	v_cmpx_gt_u32_e64 s7, v75
	s_cbranch_execz .LBB626_621
.LBB626_670:                            ;   in Loop: Header=BB626_610 Depth=2
	global_load_b32 v33, v2, s[8:9] offset:7168 scale_offset
	s_wait_xcnt 0x0
	s_or_b32 exec_lo, exec_lo, s11
	s_delay_alu instid0(SALU_CYCLE_1)
	s_mov_b32 s11, exec_lo
	v_cmpx_gt_u32_e64 s7, v76
	s_cbranch_execz .LBB626_622
.LBB626_671:                            ;   in Loop: Header=BB626_610 Depth=2
	global_load_b32 v32, v2, s[8:9] offset:8192 scale_offset
	s_wait_xcnt 0x0
	s_or_b32 exec_lo, exec_lo, s11
	s_delay_alu instid0(SALU_CYCLE_1)
	s_mov_b32 s11, exec_lo
	v_cmpx_gt_u32_e64 s7, v77
	s_cbranch_execz .LBB626_623
.LBB626_672:                            ;   in Loop: Header=BB626_610 Depth=2
	global_load_b32 v31, v2, s[8:9] offset:9216 scale_offset
	s_wait_xcnt 0x0
	s_or_b32 exec_lo, exec_lo, s11
	s_delay_alu instid0(SALU_CYCLE_1)
	s_mov_b32 s11, exec_lo
	v_cmpx_gt_u32_e64 s7, v78
	s_cbranch_execz .LBB626_624
.LBB626_673:                            ;   in Loop: Header=BB626_610 Depth=2
	global_load_b32 v30, v2, s[8:9] offset:10240 scale_offset
	s_wait_xcnt 0x0
	s_or_b32 exec_lo, exec_lo, s11
	s_delay_alu instid0(SALU_CYCLE_1)
	s_mov_b32 s11, exec_lo
	v_cmpx_gt_u32_e64 s7, v79
	s_cbranch_execz .LBB626_625
.LBB626_674:                            ;   in Loop: Header=BB626_610 Depth=2
	global_load_b32 v29, v2, s[8:9] offset:11264 scale_offset
	s_wait_xcnt 0x0
	s_or_b32 exec_lo, exec_lo, s11
	s_delay_alu instid0(SALU_CYCLE_1)
	s_mov_b32 s11, exec_lo
	v_cmpx_gt_u32_e64 s7, v80
	s_cbranch_execz .LBB626_626
.LBB626_675:                            ;   in Loop: Header=BB626_610 Depth=2
	global_load_b32 v28, v2, s[8:9] offset:12288 scale_offset
	s_wait_xcnt 0x0
	s_or_b32 exec_lo, exec_lo, s11
	s_delay_alu instid0(SALU_CYCLE_1)
	s_mov_b32 s11, exec_lo
	v_cmpx_gt_u32_e64 s7, v81
	s_cbranch_execz .LBB626_627
.LBB626_676:                            ;   in Loop: Header=BB626_610 Depth=2
	global_load_b32 v27, v2, s[8:9] offset:13312 scale_offset
	s_wait_xcnt 0x0
	s_or_b32 exec_lo, exec_lo, s11
	s_delay_alu instid0(SALU_CYCLE_1)
	s_mov_b32 s11, exec_lo
	v_cmpx_gt_u32_e64 s7, v82
	s_cbranch_execz .LBB626_628
.LBB626_677:                            ;   in Loop: Header=BB626_610 Depth=2
	global_load_b32 v26, v2, s[8:9] offset:14336 scale_offset
	s_wait_xcnt 0x0
	s_or_b32 exec_lo, exec_lo, s11
	s_delay_alu instid0(SALU_CYCLE_1)
	s_mov_b32 s11, exec_lo
	v_cmpx_gt_u32_e64 s7, v83
	s_cbranch_execnz .LBB626_629
	s_branch .LBB626_630
.LBB626_678:                            ;   in Loop: Header=BB626_20 Depth=1
	v_mov_b32_e32 v25, 0
	s_wait_dscnt 0x0
	s_barrier_signal -1
	s_barrier_wait -1
	s_and_saveexec_b32 s7, s0
	s_cbranch_execz .LBB626_680
; %bb.679:                              ;   in Loop: Header=BB626_20 Depth=1
	ds_load_2addr_b64 v[26:29], v86 offset1:1
	s_wait_dscnt 0x0
	v_add_nc_u32_e32 v25, v27, v26
	s_delay_alu instid0(VALU_DEP_1)
	v_add3_u32 v25, v25, v28, v29
.LBB626_680:                            ;   in Loop: Header=BB626_20 Depth=1
	s_or_b32 exec_lo, exec_lo, s7
	s_delay_alu instid0(VALU_DEP_1)
	v_mov_b32_dpp v26, v25 row_shr:1 row_mask:0xf bank_mask:0xf
	v_cmp_eq_u32_e64 s7, 0, v96
	v_cmp_lt_u32_e64 s8, 1, v96
	v_cmp_lt_u32_e64 s9, 3, v96
	;; [unrolled: 1-line block ×3, first 2 shown]
	v_cmp_eq_u32_e64 s11, 0, v98
	v_cndmask_b32_e64 v26, v26, 0, s7
	s_delay_alu instid0(VALU_DEP_1) | instskip(NEXT) | instid1(VALU_DEP_1)
	v_add_nc_u32_e32 v25, v26, v25
	v_mov_b32_dpp v26, v25 row_shr:2 row_mask:0xf bank_mask:0xf
	s_delay_alu instid0(VALU_DEP_1) | instskip(NEXT) | instid1(VALU_DEP_1)
	v_cndmask_b32_e64 v26, 0, v26, s8
	v_add_nc_u32_e32 v25, v25, v26
	s_delay_alu instid0(VALU_DEP_1) | instskip(NEXT) | instid1(VALU_DEP_1)
	v_mov_b32_dpp v26, v25 row_shr:4 row_mask:0xf bank_mask:0xf
	v_cndmask_b32_e64 v26, 0, v26, s9
	s_delay_alu instid0(VALU_DEP_1) | instskip(NEXT) | instid1(VALU_DEP_1)
	v_add_nc_u32_e32 v25, v25, v26
	v_mov_b32_dpp v26, v25 row_shr:8 row_mask:0xf bank_mask:0xf
	s_delay_alu instid0(VALU_DEP_1) | instskip(NEXT) | instid1(VALU_DEP_1)
	v_cndmask_b32_e64 v26, 0, v26, s10
	v_add_nc_u32_e32 v25, v25, v26
	ds_swizzle_b32 v26, v25 offset:swizzle(BROADCAST,32,15)
	s_wait_dscnt 0x0
	v_and_b32_e32 v26, v97, v26
	s_delay_alu instid0(VALU_DEP_1)
	v_add_nc_u32_e32 v25, v25, v26
	s_and_saveexec_b32 s12, s1
; %bb.681:                              ;   in Loop: Header=BB626_20 Depth=1
	ds_store_b32 v87, v25
; %bb.682:                              ;   in Loop: Header=BB626_20 Depth=1
	s_or_b32 exec_lo, exec_lo, s12
	s_wait_dscnt 0x0
	s_barrier_signal -1
	s_barrier_wait -1
	s_and_saveexec_b32 s12, s4
	s_cbranch_execz .LBB626_684
; %bb.683:                              ;   in Loop: Header=BB626_20 Depth=1
	ds_load_b32 v26, v88
	v_cmp_ne_u32_e32 vcc_lo, 0, v100
	s_wait_dscnt 0x0
	v_mov_b32_dpp v27, v26 row_shr:1 row_mask:0xf bank_mask:0xf
	s_delay_alu instid0(VALU_DEP_1) | instskip(SKIP_1) | instid1(VALU_DEP_2)
	v_cndmask_b32_e32 v27, 0, v27, vcc_lo
	v_cmp_lt_u32_e32 vcc_lo, 1, v100
	v_add_nc_u32_e32 v26, v27, v26
	s_delay_alu instid0(VALU_DEP_1) | instskip(NEXT) | instid1(VALU_DEP_1)
	v_mov_b32_dpp v27, v26 row_shr:2 row_mask:0xf bank_mask:0xf
	v_cndmask_b32_e32 v27, 0, v27, vcc_lo
	v_cmp_lt_u32_e32 vcc_lo, 3, v100
	s_delay_alu instid0(VALU_DEP_2) | instskip(NEXT) | instid1(VALU_DEP_1)
	v_add_nc_u32_e32 v26, v26, v27
	v_mov_b32_dpp v27, v26 row_shr:4 row_mask:0xf bank_mask:0xf
	s_delay_alu instid0(VALU_DEP_1) | instskip(NEXT) | instid1(VALU_DEP_1)
	v_cndmask_b32_e32 v27, 0, v27, vcc_lo
	v_add_nc_u32_e32 v26, v26, v27
	ds_store_b32 v88, v26
.LBB626_684:                            ;   in Loop: Header=BB626_20 Depth=1
	s_or_b32 exec_lo, exec_lo, s12
	v_mov_b32_e32 v26, 0
	s_wait_dscnt 0x0
	s_barrier_signal -1
	s_barrier_wait -1
	s_and_saveexec_b32 s12, s5
; %bb.685:                              ;   in Loop: Header=BB626_20 Depth=1
	ds_load_b32 v26, v89
; %bb.686:                              ;   in Loop: Header=BB626_20 Depth=1
	s_or_b32 exec_lo, exec_lo, s12
	v_cmp_gt_i32_e32 vcc_lo, 0, v101
	s_wait_dscnt 0x0
	s_barrier_signal -1
	s_barrier_wait -1
	v_dual_cndmask_b32 v27, v101, v94, vcc_lo :: v_dual_add_nc_u32 v25, v26, v25
	s_delay_alu instid0(VALU_DEP_1)
	v_lshlrev_b32_e32 v120, 2, v27
	ds_bpermute_b32 v25, v120, v25
	s_and_saveexec_b32 s12, s0
	s_cbranch_execz .LBB626_688
; %bb.687:                              ;   in Loop: Header=BB626_20 Depth=1
	s_wait_dscnt 0x0
	v_cndmask_b32_e64 v25, v25, v26, s6
	s_delay_alu instid0(VALU_DEP_1)
	v_add_nc_u32_e32 v25, s52, v25
	ds_store_b32 v4, v25
.LBB626_688:                            ;   in Loop: Header=BB626_20 Depth=1
	s_or_b32 exec_lo, exec_lo, s12
	s_load_b64 s[12:13], s[34:35], 0x0
	s_mov_b32 s55, s54
                                        ; implicit-def: $vgpr32_vgpr33
                                        ; implicit-def: $vgpr34_vgpr35
                                        ; implicit-def: $vgpr36_vgpr37
                                        ; implicit-def: $vgpr38_vgpr39
                                        ; implicit-def: $vgpr40_vgpr41
                                        ; implicit-def: $vgpr42_vgpr43
                                        ; implicit-def: $vgpr44_vgpr45
                                        ; implicit-def: $vgpr46_vgpr47
                                        ; implicit-def: $vgpr48_vgpr49
                                        ; implicit-def: $vgpr50_vgpr51
                                        ; implicit-def: $vgpr52_vgpr53
                                        ; implicit-def: $vgpr54_vgpr55
                                        ; implicit-def: $vgpr56_vgpr57
                                        ; implicit-def: $vgpr58_vgpr59
                                        ; implicit-def: $vgpr60_vgpr61
                                        ; implicit-def: $vgpr121
                                        ; implicit-def: $vgpr122
                                        ; implicit-def: $vgpr123
                                        ; implicit-def: $vgpr124
                                        ; implicit-def: $vgpr125
                                        ; implicit-def: $vgpr126
                                        ; implicit-def: $vgpr127
                                        ; implicit-def: $vgpr128
                                        ; implicit-def: $vgpr129
                                        ; implicit-def: $vgpr130
                                        ; implicit-def: $vgpr131
                                        ; implicit-def: $vgpr132
                                        ; implicit-def: $vgpr133
                                        ; implicit-def: $vgpr134
                                        ; implicit-def: $vgpr135
                                        ; implicit-def: $vgpr136
	s_wait_kmcnt 0x0
	s_cmp_lt_u32 s33, s12
	s_cselect_b32 s30, 12, 18
	s_cmp_lt_u32 s42, s13
	s_mov_b32 s13, s31
	s_cselect_b32 s12, 14, 20
	s_delay_alu instid0(SALU_CYCLE_1)
	s_add_nc_u64 s[12:13], s[34:35], s[12:13]
	s_load_u16 s14, s[12:13], 0x0
	s_wait_xcnt 0x0
	s_add_nc_u64 s[12:13], s[34:35], s[30:31]
	s_mov_b32 s30, s52
	s_load_u16 s12, s[12:13], 0x0
	s_wait_xcnt 0x0
	v_cmp_lt_u32_e64 s13, 1, v100
	s_wait_dscnt 0x0
	s_wait_kmcnt 0x0
	v_mad_u32_u24 v25, v90, s14, v92
	v_cmp_lt_u32_e64 s14, 3, v100
	s_delay_alu instid0(VALU_DEP_2) | instskip(SKIP_2) | instid1(VALU_DEP_3)
	v_mad_u32 v26, v25, s12, v2
	v_mov_b32_e32 v25, v1
	v_cmp_eq_u32_e64 s12, 0, v100
	v_lshrrev_b32_e32 v30, 3, v26
	v_add_nc_u64_e32 v[26:27], v[14:15], v[0:1]
	s_delay_alu instid0(VALU_DEP_4) | instskip(NEXT) | instid1(VALU_DEP_3)
	v_add_nc_u64_e32 v[28:29], v[16:17], v[24:25]
	v_and_b32_e32 v25, 0x1ffffffc, v30
                                        ; implicit-def: $vgpr30_vgpr31
	s_branch .LBB626_690
.LBB626_689:                            ;   in Loop: Header=BB626_690 Depth=2
	s_or_b32 exec_lo, exec_lo, s15
	s_addk_co_i32 s55, 0xf000
	s_cmp_lt_u32 s56, s51
	s_mov_b32 s30, s56
	s_cbranch_scc0 .LBB626_898
.LBB626_690:                            ;   Parent Loop BB626_20 Depth=1
                                        ; =>  This Inner Loop Header: Depth=2
	s_add_co_i32 s56, s30, 0x1000
	s_delay_alu instid0(SALU_CYCLE_1)
	s_cmp_gt_u32 s56, s51
	s_cbranch_scc1 .LBB626_692
; %bb.691:                              ;   in Loop: Header=BB626_690 Depth=2
	s_delay_alu instid0(VALU_DEP_2)
	v_lshl_add_u64 v[62:63], s[30:31], 2, v[28:29]
	s_mov_b32 s15, -1
	s_clause 0xe
	global_load_b32 v139, v[62:63], off
	global_load_b32 v140, v[62:63], off offset:128
	global_load_b32 v143, v[62:63], off offset:256
	;; [unrolled: 1-line block ×14, first 2 shown]
	s_movk_i32 s16, 0x1000
	s_cbranch_execz .LBB626_693
	s_branch .LBB626_724
.LBB626_692:                            ;   in Loop: Header=BB626_690 Depth=2
	s_mov_b32 s15, 0
                                        ; implicit-def: $vgpr139
                                        ; implicit-def: $vgpr140
                                        ; implicit-def: $vgpr143
                                        ; implicit-def: $vgpr147
                                        ; implicit-def: $vgpr151
                                        ; implicit-def: $vgpr155
                                        ; implicit-def: $vgpr159
                                        ; implicit-def: $vgpr163
                                        ; implicit-def: $vgpr166
                                        ; implicit-def: $vgpr69
                                        ; implicit-def: $vgpr68
                                        ; implicit-def: $vgpr67
                                        ; implicit-def: $vgpr66
                                        ; implicit-def: $vgpr65
                                        ; implicit-def: $vgpr64
	s_movk_i32 s16, 0x1000
.LBB626_693:                            ;   in Loop: Header=BB626_690 Depth=2
	s_wait_xcnt 0x0
	v_lshl_add_u64 v[62:63], s[30:31], 2, v[28:29]
	s_wait_loadcnt 0xd
	v_bfrev_b32_e32 v140, -2
	v_bfrev_b32_e32 v139, -2
	s_mov_b32 s15, exec_lo
	v_cmpx_gt_u32_e64 s55, v99
	s_cbranch_execz .LBB626_695
; %bb.694:                              ;   in Loop: Header=BB626_690 Depth=2
	global_load_b32 v139, v[62:63], off
.LBB626_695:                            ;   in Loop: Header=BB626_690 Depth=2
	s_wait_xcnt 0x0
	s_or_b32 exec_lo, exec_lo, s15
	s_delay_alu instid0(SALU_CYCLE_1)
	s_mov_b32 s15, exec_lo
	v_cmpx_gt_u32_e64 s55, v102
	s_cbranch_execz .LBB626_697
; %bb.696:                              ;   in Loop: Header=BB626_690 Depth=2
	global_load_b32 v140, v[62:63], off offset:128
.LBB626_697:                            ;   in Loop: Header=BB626_690 Depth=2
	s_wait_xcnt 0x0
	s_or_b32 exec_lo, exec_lo, s15
	s_wait_loadcnt 0xb
	v_bfrev_b32_e32 v147, -2
	v_bfrev_b32_e32 v143, -2
	s_mov_b32 s15, exec_lo
	v_cmpx_gt_u32_e64 s55, v103
	s_cbranch_execz .LBB626_699
; %bb.698:                              ;   in Loop: Header=BB626_690 Depth=2
	global_load_b32 v143, v[62:63], off offset:256
.LBB626_699:                            ;   in Loop: Header=BB626_690 Depth=2
	s_wait_xcnt 0x0
	s_or_b32 exec_lo, exec_lo, s15
	s_delay_alu instid0(SALU_CYCLE_1)
	s_mov_b32 s15, exec_lo
	v_cmpx_gt_u32_e64 s55, v104
	s_cbranch_execz .LBB626_701
; %bb.700:                              ;   in Loop: Header=BB626_690 Depth=2
	global_load_b32 v147, v[62:63], off offset:384
.LBB626_701:                            ;   in Loop: Header=BB626_690 Depth=2
	s_wait_xcnt 0x0
	s_or_b32 exec_lo, exec_lo, s15
	s_wait_loadcnt 0x9
	v_bfrev_b32_e32 v155, -2
	v_bfrev_b32_e32 v151, -2
	s_mov_b32 s15, exec_lo
	v_cmpx_gt_u32_e64 s55, v105
	s_cbranch_execz .LBB626_703
; %bb.702:                              ;   in Loop: Header=BB626_690 Depth=2
	global_load_b32 v151, v[62:63], off offset:512
.LBB626_703:                            ;   in Loop: Header=BB626_690 Depth=2
	;; [unrolled: 20-line block ×6, first 2 shown]
	s_wait_xcnt 0x0
	s_or_b32 exec_lo, exec_lo, s15
	s_delay_alu instid0(SALU_CYCLE_1)
	s_mov_b32 s15, exec_lo
	v_cmpx_gt_u32_e64 s55, v114
	s_cbranch_execz .LBB626_721
; %bb.720:                              ;   in Loop: Header=BB626_690 Depth=2
	global_load_b32 v65, v[62:63], off offset:1664
.LBB626_721:                            ;   in Loop: Header=BB626_690 Depth=2
	s_wait_xcnt 0x0
	s_or_b32 exec_lo, exec_lo, s15
	s_wait_loadcnt 0x0
	v_bfrev_b32_e32 v64, -2
	s_mov_b32 s15, exec_lo
	v_cmpx_gt_u32_e64 s55, v115
	s_cbranch_execz .LBB626_723
; %bb.722:                              ;   in Loop: Header=BB626_690 Depth=2
	global_load_b32 v64, v[62:63], off offset:1792
.LBB626_723:                            ;   in Loop: Header=BB626_690 Depth=2
	s_wait_xcnt 0x0
	s_or_b32 exec_lo, exec_lo, s15
	v_cmp_gt_u32_e64 s15, s55, v116
	s_sub_co_i32 s16, s51, s30
.LBB626_724:                            ;   in Loop: Header=BB626_690 Depth=2
	v_dual_mov_b32 v138, -1 :: v_dual_mov_b32 v137, s55
	s_wait_xcnt 0x0
	s_and_saveexec_b32 s17, s15
	s_cbranch_execz .LBB626_726
; %bb.725:                              ;   in Loop: Header=BB626_690 Depth=2
	v_lshl_add_u64 v[62:63], s[30:31], 2, v[28:29]
	v_mov_b32_e32 v137, s16
	global_load_b32 v62, v[62:63], off offset:1920
	s_wait_loadcnt 0x0
	v_xor_b32_e32 v138, 0x80000000, v62
.LBB626_726:                            ;   in Loop: Header=BB626_690 Depth=2
	s_wait_xcnt 0x0
	s_or_b32 exec_lo, exec_lo, s17
	s_wait_loadcnt 0xe
	v_xor_b32_e32 v139, 0x80000000, v139
	ds_store_2addr_b32 v5, v1, v1 offset1:1
	ds_store_2addr_b32 v117, v1, v1 offset1:1
	;; [unrolled: 1-line block ×4, first 2 shown]
	ds_store_b32 v91, v1 offset:1088
	s_wait_loadcnt_dscnt 0x0
	s_barrier_signal -1
	v_lshrrev_b32_e32 v62, s49, v139
	s_barrier_wait -1
	; wave barrier
	s_delay_alu instid0(VALU_DEP_1) | instskip(NEXT) | instid1(VALU_DEP_1)
	v_and_b32_e32 v142, s48, v62
	v_lshlrev_b32_e32 v141, 30, v142
	v_bitop3_b32 v63, v62, 1, s48 bitop3:0x80
	s_delay_alu instid0(VALU_DEP_1) | instskip(NEXT) | instid1(VALU_DEP_1)
	v_add_co_u32 v62, s15, v63, -1
	v_cndmask_b32_e64 v63, 0, 1, s15
	s_delay_alu instid0(VALU_DEP_4) | instskip(NEXT) | instid1(VALU_DEP_2)
	v_cmp_gt_i32_e64 s15, 0, v141
	v_cmp_ne_u32_e32 vcc_lo, 0, v63
	v_not_b32_e32 v63, v141
	s_delay_alu instid0(VALU_DEP_1) | instskip(SKIP_3) | instid1(VALU_DEP_4)
	v_dual_ashrrev_i32 v63, 31, v63 :: v_dual_lshlrev_b32 v144, 29, v142
	v_dual_lshlrev_b32 v145, 28, v142 :: v_dual_lshlrev_b32 v146, 27, v142
	v_dual_lshlrev_b32 v148, 26, v142 :: v_dual_lshlrev_b32 v149, 25, v142
	v_lshlrev_b32_e32 v150, 24, v142
	v_cmp_gt_i32_e64 s16, 0, v144
	v_not_b32_e32 v141, v144
	v_not_b32_e32 v144, v145
	v_cmp_gt_i32_e64 s17, 0, v145
	v_cmp_gt_i32_e64 s18, 0, v146
	v_not_b32_e32 v145, v146
	v_not_b32_e32 v146, v148
	v_dual_ashrrev_i32 v141, 31, v141 :: v_dual_bitop2_b32 v62, vcc_lo, v62 bitop3:0x14
	v_dual_ashrrev_i32 v144, 31, v144 :: v_dual_bitop2_b32 v63, s15, v63 bitop3:0x14
	v_cmp_gt_i32_e64 s19, 0, v148
	v_not_b32_e32 v148, v149
	s_delay_alu instid0(VALU_DEP_3)
	v_dual_ashrrev_i32 v145, 31, v145 :: v_dual_bitop2_b32 v144, s17, v144 bitop3:0x14
	v_dual_ashrrev_i32 v146, 31, v146 :: v_dual_bitop2_b32 v141, s16, v141 bitop3:0x14
	v_bitop3_b32 v62, v62, v63, exec_lo bitop3:0x80
	v_not_b32_e32 v63, v150
	v_cmp_gt_i32_e64 s20, 0, v149
	v_dual_ashrrev_i32 v148, 31, v148 :: v_dual_bitop2_b32 v145, s18, v145 bitop3:0x14
	s_delay_alu instid0(VALU_DEP_4) | instskip(SKIP_2) | instid1(VALU_DEP_4)
	v_bitop3_b32 v62, v62, v144, v141 bitop3:0x80
	v_cmp_gt_i32_e32 vcc_lo, 0, v150
	v_dual_ashrrev_i32 v63, 31, v63 :: v_dual_bitop2_b32 v141, s19, v146 bitop3:0x14
	v_xor_b32_e32 v144, s20, v148
	s_delay_alu instid0(VALU_DEP_2) | instskip(NEXT) | instid1(VALU_DEP_3)
	v_xor_b32_e32 v63, vcc_lo, v63
	v_bitop3_b32 v62, v62, v141, v145 bitop3:0x80
	s_delay_alu instid0(VALU_DEP_1) | instskip(SKIP_1) | instid1(VALU_DEP_2)
	v_bitop3_b32 v62, v62, v63, v144 bitop3:0x80
	v_mul_u32_u24_e32 v63, 36, v142
	v_mbcnt_lo_u32_b32 v141, v62, 0
	v_cmp_ne_u32_e64 s15, 0, v62
	s_delay_alu instid0(VALU_DEP_3) | instskip(NEXT) | instid1(VALU_DEP_3)
	v_add_nc_u32_e32 v142, v25, v63
	v_cmp_eq_u32_e32 vcc_lo, 0, v141
	s_and_b32 s16, s15, vcc_lo
	s_delay_alu instid0(SALU_CYCLE_1)
	s_and_saveexec_b32 s15, s16
; %bb.727:                              ;   in Loop: Header=BB626_690 Depth=2
	v_bcnt_u32_b32 v62, v62, 0
	ds_store_b32 v142, v62 offset:1056
; %bb.728:                              ;   in Loop: Header=BB626_690 Depth=2
	s_or_b32 exec_lo, exec_lo, s15
	v_xor_b32_e32 v140, 0x80000000, v140
	; wave barrier
	s_delay_alu instid0(VALU_DEP_1) | instskip(NEXT) | instid1(VALU_DEP_1)
	v_lshrrev_b32_e32 v62, s49, v140
	v_and_b32_e32 v146, s48, v62
	s_delay_alu instid0(VALU_DEP_1) | instskip(SKIP_1) | instid1(VALU_DEP_1)
	v_lshlrev_b32_e32 v144, 30, v146
	v_bitop3_b32 v63, v62, 1, s48 bitop3:0x80
	v_add_co_u32 v62, s15, v63, -1
	s_delay_alu instid0(VALU_DEP_1) | instskip(NEXT) | instid1(VALU_DEP_4)
	v_cndmask_b32_e64 v63, 0, 1, s15
	v_cmp_gt_i32_e64 s15, 0, v144
	s_delay_alu instid0(VALU_DEP_2) | instskip(SKIP_1) | instid1(VALU_DEP_1)
	v_cmp_ne_u32_e32 vcc_lo, 0, v63
	v_not_b32_e32 v63, v144
	v_dual_ashrrev_i32 v63, 31, v63 :: v_dual_lshlrev_b32 v145, 29, v146
	v_dual_lshlrev_b32 v148, 28, v146 :: v_dual_lshlrev_b32 v149, 27, v146
	v_dual_lshlrev_b32 v150, 26, v146 :: v_dual_lshlrev_b32 v152, 25, v146
	v_lshlrev_b32_e32 v153, 24, v146
	s_delay_alu instid0(VALU_DEP_4)
	v_cmp_gt_i32_e64 s16, 0, v145
	v_not_b32_e32 v144, v145
	v_not_b32_e32 v145, v148
	v_cmp_gt_i32_e64 s17, 0, v148
	v_cmp_gt_i32_e64 s18, 0, v149
	v_not_b32_e32 v148, v149
	v_not_b32_e32 v149, v150
	v_dual_ashrrev_i32 v144, 31, v144 :: v_dual_bitop2_b32 v62, vcc_lo, v62 bitop3:0x14
	v_dual_ashrrev_i32 v145, 31, v145 :: v_dual_bitop2_b32 v63, s15, v63 bitop3:0x14
	v_cmp_gt_i32_e64 s19, 0, v150
	s_delay_alu instid0(VALU_DEP_4) | instskip(SKIP_1) | instid1(VALU_DEP_4)
	v_dual_ashrrev_i32 v148, 31, v148 :: v_dual_ashrrev_i32 v149, 31, v149
	v_not_b32_e32 v150, v153
	v_xor_b32_e32 v145, s17, v145
	v_bitop3_b32 v62, v62, v63, exec_lo bitop3:0x80
	v_not_b32_e32 v63, v152
	v_xor_b32_e32 v144, s16, v144
	v_cmp_gt_i32_e64 s20, 0, v152
	v_xor_b32_e32 v148, s18, v148
	s_delay_alu instid0(VALU_DEP_4) | instskip(NEXT) | instid1(VALU_DEP_4)
	v_dual_ashrrev_i32 v63, 31, v63 :: v_dual_bitop2_b32 v149, s19, v149 bitop3:0x14
	v_bitop3_b32 v62, v62, v145, v144 bitop3:0x80
	v_cmp_gt_i32_e32 vcc_lo, 0, v153
	v_ashrrev_i32_e32 v144, 31, v150
	v_mad_u32_u24 v145, v146, 36, v25
	v_xor_b32_e32 v63, s20, v63
	v_bitop3_b32 v62, v62, v149, v148 bitop3:0x80
	s_delay_alu instid0(VALU_DEP_4) | instskip(SKIP_3) | instid1(VALU_DEP_2)
	v_xor_b32_e32 v148, vcc_lo, v144
	ds_load_b32 v144, v145 offset:1056
	; wave barrier
	v_bitop3_b32 v62, v62, v148, v63 bitop3:0x80
	v_mul_u32_u24_e32 v63, 36, v146
	v_mbcnt_lo_u32_b32 v145, v62, 0
	v_cmp_ne_u32_e64 s15, 0, v62
	s_delay_alu instid0(VALU_DEP_3) | instskip(NEXT) | instid1(VALU_DEP_3)
	v_add_nc_u32_e32 v146, v25, v63
	v_cmp_eq_u32_e32 vcc_lo, 0, v145
	s_and_b32 s16, s15, vcc_lo
	s_delay_alu instid0(SALU_CYCLE_1)
	s_and_saveexec_b32 s15, s16
	s_cbranch_execz .LBB626_730
; %bb.729:                              ;   in Loop: Header=BB626_690 Depth=2
	s_wait_dscnt 0x0
	v_bcnt_u32_b32 v62, v62, v144
	ds_store_b32 v146, v62 offset:1056
.LBB626_730:                            ;   in Loop: Header=BB626_690 Depth=2
	s_or_b32 exec_lo, exec_lo, s15
	v_xor_b32_e32 v143, 0x80000000, v143
	; wave barrier
	s_delay_alu instid0(VALU_DEP_1) | instskip(NEXT) | instid1(VALU_DEP_1)
	v_lshrrev_b32_e32 v62, s49, v143
	v_and_b32_e32 v150, s48, v62
	s_delay_alu instid0(VALU_DEP_1) | instskip(SKIP_1) | instid1(VALU_DEP_1)
	v_lshlrev_b32_e32 v148, 30, v150
	v_bitop3_b32 v63, v62, 1, s48 bitop3:0x80
	v_add_co_u32 v62, s15, v63, -1
	s_delay_alu instid0(VALU_DEP_1) | instskip(NEXT) | instid1(VALU_DEP_4)
	v_cndmask_b32_e64 v63, 0, 1, s15
	v_cmp_gt_i32_e64 s15, 0, v148
	s_delay_alu instid0(VALU_DEP_2) | instskip(SKIP_1) | instid1(VALU_DEP_1)
	v_cmp_ne_u32_e32 vcc_lo, 0, v63
	v_not_b32_e32 v63, v148
	v_dual_ashrrev_i32 v63, 31, v63 :: v_dual_lshlrev_b32 v149, 29, v150
	v_dual_lshlrev_b32 v152, 28, v150 :: v_dual_lshlrev_b32 v153, 27, v150
	v_dual_lshlrev_b32 v154, 26, v150 :: v_dual_lshlrev_b32 v156, 25, v150
	v_lshlrev_b32_e32 v157, 24, v150
	s_delay_alu instid0(VALU_DEP_4)
	v_cmp_gt_i32_e64 s16, 0, v149
	v_not_b32_e32 v148, v149
	v_not_b32_e32 v149, v152
	v_cmp_gt_i32_e64 s17, 0, v152
	v_cmp_gt_i32_e64 s18, 0, v153
	v_not_b32_e32 v152, v153
	v_not_b32_e32 v153, v154
	v_dual_ashrrev_i32 v148, 31, v148 :: v_dual_bitop2_b32 v62, vcc_lo, v62 bitop3:0x14
	v_dual_ashrrev_i32 v149, 31, v149 :: v_dual_bitop2_b32 v63, s15, v63 bitop3:0x14
	v_cmp_gt_i32_e64 s19, 0, v154
	s_delay_alu instid0(VALU_DEP_4) | instskip(SKIP_1) | instid1(VALU_DEP_4)
	v_dual_ashrrev_i32 v152, 31, v152 :: v_dual_ashrrev_i32 v153, 31, v153
	v_not_b32_e32 v154, v157
	v_xor_b32_e32 v149, s17, v149
	v_bitop3_b32 v62, v62, v63, exec_lo bitop3:0x80
	v_not_b32_e32 v63, v156
	v_xor_b32_e32 v148, s16, v148
	v_cmp_gt_i32_e64 s20, 0, v156
	v_xor_b32_e32 v152, s18, v152
	s_delay_alu instid0(VALU_DEP_4) | instskip(NEXT) | instid1(VALU_DEP_4)
	v_dual_ashrrev_i32 v63, 31, v63 :: v_dual_bitop2_b32 v153, s19, v153 bitop3:0x14
	v_bitop3_b32 v62, v62, v149, v148 bitop3:0x80
	v_cmp_gt_i32_e32 vcc_lo, 0, v157
	v_ashrrev_i32_e32 v148, 31, v154
	v_mad_u32_u24 v149, v150, 36, v25
	v_xor_b32_e32 v63, s20, v63
	v_bitop3_b32 v62, v62, v153, v152 bitop3:0x80
	s_delay_alu instid0(VALU_DEP_4) | instskip(SKIP_3) | instid1(VALU_DEP_2)
	v_xor_b32_e32 v152, vcc_lo, v148
	ds_load_b32 v148, v149 offset:1056
	; wave barrier
	v_bitop3_b32 v62, v62, v152, v63 bitop3:0x80
	v_mul_u32_u24_e32 v63, 36, v150
	v_mbcnt_lo_u32_b32 v149, v62, 0
	v_cmp_ne_u32_e64 s15, 0, v62
	s_delay_alu instid0(VALU_DEP_3) | instskip(NEXT) | instid1(VALU_DEP_3)
	v_add_nc_u32_e32 v150, v25, v63
	v_cmp_eq_u32_e32 vcc_lo, 0, v149
	s_and_b32 s16, s15, vcc_lo
	s_delay_alu instid0(SALU_CYCLE_1)
	s_and_saveexec_b32 s15, s16
	s_cbranch_execz .LBB626_732
; %bb.731:                              ;   in Loop: Header=BB626_690 Depth=2
	s_wait_dscnt 0x0
	v_bcnt_u32_b32 v62, v62, v148
	ds_store_b32 v150, v62 offset:1056
.LBB626_732:                            ;   in Loop: Header=BB626_690 Depth=2
	s_or_b32 exec_lo, exec_lo, s15
	v_xor_b32_e32 v147, 0x80000000, v147
	; wave barrier
	s_delay_alu instid0(VALU_DEP_1) | instskip(NEXT) | instid1(VALU_DEP_1)
	v_lshrrev_b32_e32 v62, s49, v147
	v_and_b32_e32 v154, s48, v62
	s_delay_alu instid0(VALU_DEP_1) | instskip(SKIP_1) | instid1(VALU_DEP_1)
	v_lshlrev_b32_e32 v152, 30, v154
	v_bitop3_b32 v63, v62, 1, s48 bitop3:0x80
	v_add_co_u32 v62, s15, v63, -1
	s_delay_alu instid0(VALU_DEP_1) | instskip(NEXT) | instid1(VALU_DEP_4)
	v_cndmask_b32_e64 v63, 0, 1, s15
	v_cmp_gt_i32_e64 s15, 0, v152
	s_delay_alu instid0(VALU_DEP_2) | instskip(SKIP_1) | instid1(VALU_DEP_1)
	v_cmp_ne_u32_e32 vcc_lo, 0, v63
	v_not_b32_e32 v63, v152
	v_dual_ashrrev_i32 v63, 31, v63 :: v_dual_lshlrev_b32 v153, 29, v154
	v_dual_lshlrev_b32 v156, 28, v154 :: v_dual_lshlrev_b32 v157, 27, v154
	v_dual_lshlrev_b32 v158, 26, v154 :: v_dual_lshlrev_b32 v160, 25, v154
	v_lshlrev_b32_e32 v161, 24, v154
	s_delay_alu instid0(VALU_DEP_4)
	v_cmp_gt_i32_e64 s16, 0, v153
	v_not_b32_e32 v152, v153
	v_not_b32_e32 v153, v156
	v_cmp_gt_i32_e64 s17, 0, v156
	v_cmp_gt_i32_e64 s18, 0, v157
	v_not_b32_e32 v156, v157
	v_not_b32_e32 v157, v158
	v_dual_ashrrev_i32 v152, 31, v152 :: v_dual_bitop2_b32 v62, vcc_lo, v62 bitop3:0x14
	v_dual_ashrrev_i32 v153, 31, v153 :: v_dual_bitop2_b32 v63, s15, v63 bitop3:0x14
	v_cmp_gt_i32_e64 s19, 0, v158
	s_delay_alu instid0(VALU_DEP_4) | instskip(SKIP_1) | instid1(VALU_DEP_4)
	v_dual_ashrrev_i32 v156, 31, v156 :: v_dual_ashrrev_i32 v157, 31, v157
	v_not_b32_e32 v158, v161
	v_xor_b32_e32 v153, s17, v153
	v_bitop3_b32 v62, v62, v63, exec_lo bitop3:0x80
	v_not_b32_e32 v63, v160
	v_xor_b32_e32 v152, s16, v152
	v_cmp_gt_i32_e64 s20, 0, v160
	v_xor_b32_e32 v156, s18, v156
	s_delay_alu instid0(VALU_DEP_4) | instskip(NEXT) | instid1(VALU_DEP_4)
	v_dual_ashrrev_i32 v63, 31, v63 :: v_dual_bitop2_b32 v157, s19, v157 bitop3:0x14
	v_bitop3_b32 v62, v62, v153, v152 bitop3:0x80
	v_cmp_gt_i32_e32 vcc_lo, 0, v161
	v_ashrrev_i32_e32 v152, 31, v158
	v_mad_u32_u24 v153, v154, 36, v25
	v_xor_b32_e32 v63, s20, v63
	v_bitop3_b32 v62, v62, v157, v156 bitop3:0x80
	s_delay_alu instid0(VALU_DEP_4) | instskip(SKIP_3) | instid1(VALU_DEP_2)
	v_xor_b32_e32 v156, vcc_lo, v152
	ds_load_b32 v152, v153 offset:1056
	; wave barrier
	v_bitop3_b32 v62, v62, v156, v63 bitop3:0x80
	v_mul_u32_u24_e32 v63, 36, v154
	v_mbcnt_lo_u32_b32 v153, v62, 0
	v_cmp_ne_u32_e64 s15, 0, v62
	s_delay_alu instid0(VALU_DEP_3) | instskip(NEXT) | instid1(VALU_DEP_3)
	v_add_nc_u32_e32 v154, v25, v63
	v_cmp_eq_u32_e32 vcc_lo, 0, v153
	s_and_b32 s16, s15, vcc_lo
	s_delay_alu instid0(SALU_CYCLE_1)
	s_and_saveexec_b32 s15, s16
	s_cbranch_execz .LBB626_734
; %bb.733:                              ;   in Loop: Header=BB626_690 Depth=2
	s_wait_dscnt 0x0
	v_bcnt_u32_b32 v62, v62, v152
	ds_store_b32 v154, v62 offset:1056
.LBB626_734:                            ;   in Loop: Header=BB626_690 Depth=2
	s_or_b32 exec_lo, exec_lo, s15
	v_xor_b32_e32 v151, 0x80000000, v151
	; wave barrier
	s_delay_alu instid0(VALU_DEP_1) | instskip(NEXT) | instid1(VALU_DEP_1)
	v_lshrrev_b32_e32 v62, s49, v151
	v_and_b32_e32 v158, s48, v62
	s_delay_alu instid0(VALU_DEP_1) | instskip(SKIP_1) | instid1(VALU_DEP_1)
	v_lshlrev_b32_e32 v156, 30, v158
	v_bitop3_b32 v63, v62, 1, s48 bitop3:0x80
	v_add_co_u32 v62, s15, v63, -1
	s_delay_alu instid0(VALU_DEP_1) | instskip(NEXT) | instid1(VALU_DEP_4)
	v_cndmask_b32_e64 v63, 0, 1, s15
	v_cmp_gt_i32_e64 s15, 0, v156
	s_delay_alu instid0(VALU_DEP_2) | instskip(SKIP_1) | instid1(VALU_DEP_1)
	v_cmp_ne_u32_e32 vcc_lo, 0, v63
	v_not_b32_e32 v63, v156
	v_dual_ashrrev_i32 v63, 31, v63 :: v_dual_lshlrev_b32 v157, 29, v158
	v_dual_lshlrev_b32 v160, 28, v158 :: v_dual_lshlrev_b32 v161, 27, v158
	v_dual_lshlrev_b32 v162, 26, v158 :: v_dual_lshlrev_b32 v164, 25, v158
	v_lshlrev_b32_e32 v165, 24, v158
	s_delay_alu instid0(VALU_DEP_4)
	v_cmp_gt_i32_e64 s16, 0, v157
	v_not_b32_e32 v156, v157
	v_not_b32_e32 v157, v160
	v_cmp_gt_i32_e64 s17, 0, v160
	v_cmp_gt_i32_e64 s18, 0, v161
	v_not_b32_e32 v160, v161
	v_not_b32_e32 v161, v162
	v_dual_ashrrev_i32 v156, 31, v156 :: v_dual_bitop2_b32 v62, vcc_lo, v62 bitop3:0x14
	v_dual_ashrrev_i32 v157, 31, v157 :: v_dual_bitop2_b32 v63, s15, v63 bitop3:0x14
	v_cmp_gt_i32_e64 s19, 0, v162
	s_delay_alu instid0(VALU_DEP_4) | instskip(SKIP_1) | instid1(VALU_DEP_4)
	v_dual_ashrrev_i32 v160, 31, v160 :: v_dual_ashrrev_i32 v161, 31, v161
	v_not_b32_e32 v162, v165
	v_xor_b32_e32 v157, s17, v157
	v_bitop3_b32 v62, v62, v63, exec_lo bitop3:0x80
	v_not_b32_e32 v63, v164
	v_xor_b32_e32 v156, s16, v156
	v_cmp_gt_i32_e64 s20, 0, v164
	v_xor_b32_e32 v160, s18, v160
	s_delay_alu instid0(VALU_DEP_4) | instskip(NEXT) | instid1(VALU_DEP_4)
	v_dual_ashrrev_i32 v63, 31, v63 :: v_dual_bitop2_b32 v161, s19, v161 bitop3:0x14
	v_bitop3_b32 v62, v62, v157, v156 bitop3:0x80
	v_cmp_gt_i32_e32 vcc_lo, 0, v165
	v_ashrrev_i32_e32 v156, 31, v162
	v_mad_u32_u24 v157, v158, 36, v25
	v_xor_b32_e32 v63, s20, v63
	v_bitop3_b32 v62, v62, v161, v160 bitop3:0x80
	s_delay_alu instid0(VALU_DEP_4) | instskip(SKIP_3) | instid1(VALU_DEP_2)
	v_xor_b32_e32 v160, vcc_lo, v156
	ds_load_b32 v156, v157 offset:1056
	; wave barrier
	v_bitop3_b32 v62, v62, v160, v63 bitop3:0x80
	v_mul_u32_u24_e32 v63, 36, v158
	v_mbcnt_lo_u32_b32 v157, v62, 0
	v_cmp_ne_u32_e64 s15, 0, v62
	s_delay_alu instid0(VALU_DEP_3) | instskip(NEXT) | instid1(VALU_DEP_3)
	v_add_nc_u32_e32 v158, v25, v63
	v_cmp_eq_u32_e32 vcc_lo, 0, v157
	s_and_b32 s16, s15, vcc_lo
	s_delay_alu instid0(SALU_CYCLE_1)
	s_and_saveexec_b32 s15, s16
	s_cbranch_execz .LBB626_736
; %bb.735:                              ;   in Loop: Header=BB626_690 Depth=2
	s_wait_dscnt 0x0
	v_bcnt_u32_b32 v62, v62, v156
	ds_store_b32 v158, v62 offset:1056
.LBB626_736:                            ;   in Loop: Header=BB626_690 Depth=2
	s_or_b32 exec_lo, exec_lo, s15
	v_xor_b32_e32 v155, 0x80000000, v155
	; wave barrier
	s_delay_alu instid0(VALU_DEP_1) | instskip(NEXT) | instid1(VALU_DEP_1)
	v_lshrrev_b32_e32 v62, s49, v155
	v_and_b32_e32 v162, s48, v62
	s_delay_alu instid0(VALU_DEP_1) | instskip(SKIP_1) | instid1(VALU_DEP_1)
	v_lshlrev_b32_e32 v160, 30, v162
	v_bitop3_b32 v63, v62, 1, s48 bitop3:0x80
	v_add_co_u32 v62, s15, v63, -1
	s_delay_alu instid0(VALU_DEP_1) | instskip(NEXT) | instid1(VALU_DEP_4)
	v_cndmask_b32_e64 v63, 0, 1, s15
	v_cmp_gt_i32_e64 s15, 0, v160
	s_delay_alu instid0(VALU_DEP_2) | instskip(SKIP_1) | instid1(VALU_DEP_1)
	v_cmp_ne_u32_e32 vcc_lo, 0, v63
	v_not_b32_e32 v63, v160
	v_dual_ashrrev_i32 v63, 31, v63 :: v_dual_lshlrev_b32 v161, 29, v162
	v_dual_lshlrev_b32 v164, 28, v162 :: v_dual_lshlrev_b32 v165, 27, v162
	v_dual_lshlrev_b32 v167, 26, v162 :: v_dual_lshlrev_b32 v168, 25, v162
	v_lshlrev_b32_e32 v169, 24, v162
	s_delay_alu instid0(VALU_DEP_4)
	v_cmp_gt_i32_e64 s16, 0, v161
	v_not_b32_e32 v160, v161
	v_not_b32_e32 v161, v164
	v_cmp_gt_i32_e64 s17, 0, v164
	v_cmp_gt_i32_e64 s18, 0, v165
	v_not_b32_e32 v164, v165
	v_not_b32_e32 v165, v167
	v_dual_ashrrev_i32 v160, 31, v160 :: v_dual_bitop2_b32 v62, vcc_lo, v62 bitop3:0x14
	v_dual_ashrrev_i32 v161, 31, v161 :: v_dual_bitop2_b32 v63, s15, v63 bitop3:0x14
	v_cmp_gt_i32_e64 s19, 0, v167
	s_delay_alu instid0(VALU_DEP_4) | instskip(SKIP_1) | instid1(VALU_DEP_4)
	v_dual_ashrrev_i32 v164, 31, v164 :: v_dual_ashrrev_i32 v165, 31, v165
	v_not_b32_e32 v167, v169
	v_xor_b32_e32 v161, s17, v161
	v_bitop3_b32 v62, v62, v63, exec_lo bitop3:0x80
	v_not_b32_e32 v63, v168
	v_xor_b32_e32 v160, s16, v160
	v_cmp_gt_i32_e64 s20, 0, v168
	v_xor_b32_e32 v164, s18, v164
	s_delay_alu instid0(VALU_DEP_4) | instskip(NEXT) | instid1(VALU_DEP_4)
	v_dual_ashrrev_i32 v63, 31, v63 :: v_dual_bitop2_b32 v165, s19, v165 bitop3:0x14
	v_bitop3_b32 v62, v62, v161, v160 bitop3:0x80
	v_cmp_gt_i32_e32 vcc_lo, 0, v169
	v_ashrrev_i32_e32 v160, 31, v167
	v_mad_u32_u24 v161, v162, 36, v25
	v_xor_b32_e32 v63, s20, v63
	v_bitop3_b32 v62, v62, v165, v164 bitop3:0x80
	s_delay_alu instid0(VALU_DEP_4) | instskip(SKIP_3) | instid1(VALU_DEP_2)
	v_xor_b32_e32 v164, vcc_lo, v160
	ds_load_b32 v160, v161 offset:1056
	; wave barrier
	v_bitop3_b32 v62, v62, v164, v63 bitop3:0x80
	v_mul_u32_u24_e32 v63, 36, v162
	v_mbcnt_lo_u32_b32 v161, v62, 0
	v_cmp_ne_u32_e64 s15, 0, v62
	s_delay_alu instid0(VALU_DEP_3) | instskip(NEXT) | instid1(VALU_DEP_3)
	v_add_nc_u32_e32 v162, v25, v63
	v_cmp_eq_u32_e32 vcc_lo, 0, v161
	s_and_b32 s16, s15, vcc_lo
	s_delay_alu instid0(SALU_CYCLE_1)
	s_and_saveexec_b32 s15, s16
	s_cbranch_execz .LBB626_738
; %bb.737:                              ;   in Loop: Header=BB626_690 Depth=2
	s_wait_dscnt 0x0
	v_bcnt_u32_b32 v62, v62, v160
	ds_store_b32 v162, v62 offset:1056
.LBB626_738:                            ;   in Loop: Header=BB626_690 Depth=2
	s_or_b32 exec_lo, exec_lo, s15
	v_xor_b32_e32 v159, 0x80000000, v159
	; wave barrier
	s_delay_alu instid0(VALU_DEP_1) | instskip(NEXT) | instid1(VALU_DEP_1)
	v_lshrrev_b32_e32 v62, s49, v159
	v_bitop3_b32 v63, v62, 1, s48 bitop3:0x80
	v_and_b32_e32 v167, s48, v62
	s_delay_alu instid0(VALU_DEP_2) | instskip(NEXT) | instid1(VALU_DEP_1)
	v_add_co_u32 v62, s15, v63, -1
	v_cndmask_b32_e64 v63, 0, 1, s15
	s_delay_alu instid0(VALU_DEP_3) | instskip(NEXT) | instid1(VALU_DEP_2)
	v_lshlrev_b32_e32 v164, 30, v167
	v_cmp_ne_u32_e32 vcc_lo, 0, v63
	s_delay_alu instid0(VALU_DEP_2) | instskip(NEXT) | instid1(VALU_DEP_1)
	v_not_b32_e32 v63, v164
	v_dual_ashrrev_i32 v63, 31, v63 :: v_dual_bitop2_b32 v62, vcc_lo, v62 bitop3:0x14
	v_dual_lshlrev_b32 v165, 29, v167 :: v_dual_lshlrev_b32 v168, 28, v167
	v_dual_lshlrev_b32 v169, 27, v167 :: v_dual_lshlrev_b32 v170, 26, v167
	v_lshlrev_b32_e32 v171, 25, v167
	v_cmp_gt_i32_e64 s15, 0, v164
	s_delay_alu instid0(VALU_DEP_4)
	v_cmp_gt_i32_e64 s16, 0, v165
	v_not_b32_e32 v164, v165
	v_not_b32_e32 v165, v168
	v_lshlrev_b32_e32 v172, 24, v167
	v_cmp_gt_i32_e64 s17, 0, v168
	v_cmp_gt_i32_e64 s18, 0, v169
	v_not_b32_e32 v168, v169
	v_not_b32_e32 v169, v170
	v_dual_ashrrev_i32 v164, 31, v164 :: v_dual_ashrrev_i32 v165, 31, v165
	v_xor_b32_e32 v63, s15, v63
	v_cmp_gt_i32_e64 s19, 0, v170
	s_delay_alu instid0(VALU_DEP_4)
	v_dual_ashrrev_i32 v168, 31, v168 :: v_dual_ashrrev_i32 v169, 31, v169
	v_not_b32_e32 v170, v172
	v_xor_b32_e32 v165, s17, v165
	v_bitop3_b32 v62, v62, v63, exec_lo bitop3:0x80
	v_not_b32_e32 v63, v171
	v_xor_b32_e32 v164, s16, v164
	v_cmp_gt_i32_e64 s20, 0, v171
	v_xor_b32_e32 v168, s18, v168
	s_delay_alu instid0(VALU_DEP_4) | instskip(NEXT) | instid1(VALU_DEP_4)
	v_dual_ashrrev_i32 v63, 31, v63 :: v_dual_bitop2_b32 v169, s19, v169 bitop3:0x14
	v_bitop3_b32 v62, v62, v165, v164 bitop3:0x80
	v_cmp_gt_i32_e32 vcc_lo, 0, v172
	v_ashrrev_i32_e32 v164, 31, v170
	v_mad_u32_u24 v165, v167, 36, v25
	v_xor_b32_e32 v63, s20, v63
	v_bitop3_b32 v62, v62, v169, v168 bitop3:0x80
	s_delay_alu instid0(VALU_DEP_4) | instskip(SKIP_3) | instid1(VALU_DEP_2)
	v_xor_b32_e32 v168, vcc_lo, v164
	ds_load_b32 v164, v165 offset:1056
	; wave barrier
	v_bitop3_b32 v62, v62, v168, v63 bitop3:0x80
	v_mul_u32_u24_e32 v63, 36, v167
	v_mbcnt_lo_u32_b32 v165, v62, 0
	v_cmp_ne_u32_e64 s15, 0, v62
	s_delay_alu instid0(VALU_DEP_3) | instskip(NEXT) | instid1(VALU_DEP_3)
	v_add_nc_u32_e32 v167, v25, v63
	v_cmp_eq_u32_e32 vcc_lo, 0, v165
	s_and_b32 s16, s15, vcc_lo
	s_delay_alu instid0(SALU_CYCLE_1)
	s_and_saveexec_b32 s15, s16
	s_cbranch_execz .LBB626_740
; %bb.739:                              ;   in Loop: Header=BB626_690 Depth=2
	s_wait_dscnt 0x0
	v_bcnt_u32_b32 v62, v62, v164
	ds_store_b32 v167, v62 offset:1056
.LBB626_740:                            ;   in Loop: Header=BB626_690 Depth=2
	s_or_b32 exec_lo, exec_lo, s15
	v_xor_b32_e32 v163, 0x80000000, v163
	; wave barrier
	s_delay_alu instid0(VALU_DEP_1) | instskip(NEXT) | instid1(VALU_DEP_1)
	v_lshrrev_b32_e32 v62, s49, v163
	v_and_b32_e32 v170, s48, v62
	s_delay_alu instid0(VALU_DEP_1) | instskip(SKIP_1) | instid1(VALU_DEP_1)
	v_lshlrev_b32_e32 v168, 30, v170
	v_bitop3_b32 v63, v62, 1, s48 bitop3:0x80
	v_add_co_u32 v62, s15, v63, -1
	s_delay_alu instid0(VALU_DEP_1) | instskip(NEXT) | instid1(VALU_DEP_4)
	v_cndmask_b32_e64 v63, 0, 1, s15
	v_cmp_gt_i32_e64 s15, 0, v168
	s_delay_alu instid0(VALU_DEP_2) | instskip(SKIP_1) | instid1(VALU_DEP_1)
	v_cmp_ne_u32_e32 vcc_lo, 0, v63
	v_not_b32_e32 v63, v168
	v_dual_ashrrev_i32 v63, 31, v63 :: v_dual_lshlrev_b32 v169, 29, v170
	v_dual_lshlrev_b32 v171, 28, v170 :: v_dual_lshlrev_b32 v172, 27, v170
	v_dual_lshlrev_b32 v173, 26, v170 :: v_dual_lshlrev_b32 v174, 25, v170
	v_lshlrev_b32_e32 v175, 24, v170
	s_delay_alu instid0(VALU_DEP_4)
	v_cmp_gt_i32_e64 s16, 0, v169
	v_not_b32_e32 v168, v169
	v_not_b32_e32 v169, v171
	v_cmp_gt_i32_e64 s17, 0, v171
	v_cmp_gt_i32_e64 s18, 0, v172
	v_not_b32_e32 v171, v172
	v_not_b32_e32 v172, v173
	v_dual_ashrrev_i32 v168, 31, v168 :: v_dual_bitop2_b32 v62, vcc_lo, v62 bitop3:0x14
	v_dual_ashrrev_i32 v169, 31, v169 :: v_dual_bitop2_b32 v63, s15, v63 bitop3:0x14
	v_cmp_gt_i32_e64 s19, 0, v173
	s_delay_alu instid0(VALU_DEP_4) | instskip(NEXT) | instid1(VALU_DEP_3)
	v_dual_ashrrev_i32 v171, 31, v171 :: v_dual_ashrrev_i32 v172, 31, v172
	v_xor_b32_e32 v169, s17, v169
	s_delay_alu instid0(VALU_DEP_4)
	v_bitop3_b32 v62, v62, v63, exec_lo bitop3:0x80
	v_not_b32_e32 v63, v174
	v_xor_b32_e32 v168, s16, v168
	v_not_b32_e32 v173, v175
	v_cmp_gt_i32_e64 s20, 0, v174
	v_xor_b32_e32 v171, s18, v171
	v_dual_ashrrev_i32 v63, 31, v63 :: v_dual_bitop2_b32 v172, s19, v172 bitop3:0x14
	v_bitop3_b32 v62, v62, v169, v168 bitop3:0x80
	v_cmp_gt_i32_e32 vcc_lo, 0, v175
	v_ashrrev_i32_e32 v168, 31, v173
	v_mad_u32_u24 v169, v170, 36, v25
	v_xor_b32_e32 v63, s20, v63
	v_bitop3_b32 v62, v62, v172, v171 bitop3:0x80
	s_delay_alu instid0(VALU_DEP_4) | instskip(SKIP_3) | instid1(VALU_DEP_2)
	v_xor_b32_e32 v171, vcc_lo, v168
	ds_load_b32 v168, v169 offset:1056
	; wave barrier
	v_bitop3_b32 v62, v62, v171, v63 bitop3:0x80
	v_mul_u32_u24_e32 v63, 36, v170
	v_mbcnt_lo_u32_b32 v169, v62, 0
	v_cmp_ne_u32_e64 s15, 0, v62
	s_delay_alu instid0(VALU_DEP_3) | instskip(NEXT) | instid1(VALU_DEP_3)
	v_add_nc_u32_e32 v170, v25, v63
	v_cmp_eq_u32_e32 vcc_lo, 0, v169
	s_and_b32 s16, s15, vcc_lo
	s_delay_alu instid0(SALU_CYCLE_1)
	s_and_saveexec_b32 s15, s16
	s_cbranch_execz .LBB626_742
; %bb.741:                              ;   in Loop: Header=BB626_690 Depth=2
	s_wait_dscnt 0x0
	v_bcnt_u32_b32 v62, v62, v168
	ds_store_b32 v170, v62 offset:1056
.LBB626_742:                            ;   in Loop: Header=BB626_690 Depth=2
	s_or_b32 exec_lo, exec_lo, s15
	v_xor_b32_e32 v166, 0x80000000, v166
	; wave barrier
	s_delay_alu instid0(VALU_DEP_1) | instskip(NEXT) | instid1(VALU_DEP_1)
	v_lshrrev_b32_e32 v62, s49, v166
	v_and_b32_e32 v171, s48, v62
	s_delay_alu instid0(VALU_DEP_1) | instskip(SKIP_1) | instid1(VALU_DEP_1)
	v_lshlrev_b32_e32 v172, 30, v171
	v_bitop3_b32 v63, v62, 1, s48 bitop3:0x80
	v_add_co_u32 v62, s15, v63, -1
	s_delay_alu instid0(VALU_DEP_1) | instskip(NEXT) | instid1(VALU_DEP_4)
	v_cndmask_b32_e64 v63, 0, 1, s15
	v_cmp_gt_i32_e64 s15, 0, v172
	s_delay_alu instid0(VALU_DEP_2) | instskip(SKIP_1) | instid1(VALU_DEP_1)
	v_cmp_ne_u32_e32 vcc_lo, 0, v63
	v_not_b32_e32 v63, v172
	v_ashrrev_i32_e32 v63, 31, v63
	v_dual_lshlrev_b32 v173, 29, v171 :: v_dual_lshlrev_b32 v174, 28, v171
	v_dual_lshlrev_b32 v175, 27, v171 :: v_dual_lshlrev_b32 v176, 26, v171
	v_dual_lshlrev_b32 v177, 25, v171 :: v_dual_lshlrev_b32 v178, 24, v171
	s_delay_alu instid0(VALU_DEP_3)
	v_cmp_gt_i32_e64 s16, 0, v173
	v_not_b32_e32 v172, v173
	v_not_b32_e32 v173, v174
	v_cmp_gt_i32_e64 s17, 0, v174
	v_cmp_gt_i32_e64 s18, 0, v175
	v_not_b32_e32 v174, v175
	v_not_b32_e32 v175, v176
	v_dual_ashrrev_i32 v172, 31, v172 :: v_dual_bitop2_b32 v62, vcc_lo, v62 bitop3:0x14
	v_dual_ashrrev_i32 v173, 31, v173 :: v_dual_bitop2_b32 v63, s15, v63 bitop3:0x14
	v_cmp_gt_i32_e64 s19, 0, v176
	s_delay_alu instid0(VALU_DEP_4) | instskip(SKIP_1) | instid1(VALU_DEP_4)
	v_dual_ashrrev_i32 v174, 31, v174 :: v_dual_ashrrev_i32 v175, 31, v175
	v_not_b32_e32 v176, v178
	v_xor_b32_e32 v173, s17, v173
	v_bitop3_b32 v62, v62, v63, exec_lo bitop3:0x80
	v_not_b32_e32 v63, v177
	v_xor_b32_e32 v172, s16, v172
	v_cmp_gt_i32_e64 s20, 0, v177
	v_xor_b32_e32 v174, s18, v174
	v_xor_b32_e32 v175, s19, v175
	v_ashrrev_i32_e32 v63, 31, v63
	v_bitop3_b32 v62, v62, v173, v172 bitop3:0x80
	v_cmp_gt_i32_e32 vcc_lo, 0, v178
	v_ashrrev_i32_e32 v172, 31, v176
	v_mad_u32_u24 v173, v171, 36, v25
	v_xor_b32_e32 v63, s20, v63
	v_bitop3_b32 v62, v62, v175, v174 bitop3:0x80
	s_delay_alu instid0(VALU_DEP_4) | instskip(SKIP_3) | instid1(VALU_DEP_2)
	v_xor_b32_e32 v174, vcc_lo, v172
	ds_load_b32 v172, v173 offset:1056
	; wave barrier
	v_bitop3_b32 v62, v62, v174, v63 bitop3:0x80
	v_mul_u32_u24_e32 v63, 36, v171
	v_mbcnt_lo_u32_b32 v173, v62, 0
	v_cmp_ne_u32_e64 s15, 0, v62
	s_delay_alu instid0(VALU_DEP_3) | instskip(NEXT) | instid1(VALU_DEP_3)
	v_add_nc_u32_e32 v174, v25, v63
	v_cmp_eq_u32_e32 vcc_lo, 0, v173
	s_and_b32 s16, s15, vcc_lo
	s_delay_alu instid0(SALU_CYCLE_1)
	s_and_saveexec_b32 s15, s16
	s_cbranch_execz .LBB626_744
; %bb.743:                              ;   in Loop: Header=BB626_690 Depth=2
	s_wait_dscnt 0x0
	v_bcnt_u32_b32 v62, v62, v172
	ds_store_b32 v174, v62 offset:1056
.LBB626_744:                            ;   in Loop: Header=BB626_690 Depth=2
	s_or_b32 exec_lo, exec_lo, s15
	v_xor_b32_e32 v171, 0x80000000, v69
	; wave barrier
	s_delay_alu instid0(VALU_DEP_1) | instskip(NEXT) | instid1(VALU_DEP_1)
	v_lshrrev_b32_e32 v62, s49, v171
	v_and_b32_e32 v69, s48, v62
	s_delay_alu instid0(VALU_DEP_1) | instskip(SKIP_1) | instid1(VALU_DEP_1)
	v_lshlrev_b32_e32 v175, 30, v69
	v_bitop3_b32 v63, v62, 1, s48 bitop3:0x80
	v_add_co_u32 v62, s15, v63, -1
	s_delay_alu instid0(VALU_DEP_1) | instskip(NEXT) | instid1(VALU_DEP_4)
	v_cndmask_b32_e64 v63, 0, 1, s15
	v_cmp_gt_i32_e64 s15, 0, v175
	s_delay_alu instid0(VALU_DEP_2) | instskip(SKIP_1) | instid1(VALU_DEP_1)
	v_cmp_ne_u32_e32 vcc_lo, 0, v63
	v_not_b32_e32 v63, v175
	v_dual_ashrrev_i32 v63, 31, v63 :: v_dual_lshlrev_b32 v176, 29, v69
	v_dual_lshlrev_b32 v177, 28, v69 :: v_dual_lshlrev_b32 v178, 27, v69
	v_dual_lshlrev_b32 v179, 26, v69 :: v_dual_lshlrev_b32 v180, 25, v69
	v_lshlrev_b32_e32 v181, 24, v69
	s_delay_alu instid0(VALU_DEP_4)
	v_cmp_gt_i32_e64 s16, 0, v176
	v_not_b32_e32 v175, v176
	v_not_b32_e32 v176, v177
	v_cmp_gt_i32_e64 s17, 0, v177
	v_cmp_gt_i32_e64 s18, 0, v178
	v_not_b32_e32 v177, v178
	v_not_b32_e32 v178, v179
	v_dual_ashrrev_i32 v175, 31, v175 :: v_dual_bitop2_b32 v62, vcc_lo, v62 bitop3:0x14
	v_dual_ashrrev_i32 v176, 31, v176 :: v_dual_bitop2_b32 v63, s15, v63 bitop3:0x14
	v_cmp_gt_i32_e64 s19, 0, v179
	s_delay_alu instid0(VALU_DEP_4) | instskip(NEXT) | instid1(VALU_DEP_4)
	v_dual_ashrrev_i32 v177, 31, v177 :: v_dual_ashrrev_i32 v178, 31, v178
	v_xor_b32_e32 v175, s16, v175
	s_delay_alu instid0(VALU_DEP_4)
	v_bitop3_b32 v62, v62, v63, exec_lo bitop3:0x80
	v_not_b32_e32 v63, v180
	v_xor_b32_e32 v176, s17, v176
	v_not_b32_e32 v179, v181
	v_cmp_gt_i32_e64 s20, 0, v180
	v_xor_b32_e32 v177, s18, v177
	v_dual_ashrrev_i32 v63, 31, v63 :: v_dual_bitop2_b32 v178, s19, v178 bitop3:0x14
	v_bitop3_b32 v62, v62, v176, v175 bitop3:0x80
	v_cmp_gt_i32_e32 vcc_lo, 0, v181
	v_ashrrev_i32_e32 v175, 31, v179
	v_mad_u32_u24 v176, v69, 36, v25
	v_xor_b32_e32 v63, s20, v63
	v_bitop3_b32 v62, v62, v178, v177 bitop3:0x80
	s_delay_alu instid0(VALU_DEP_4) | instskip(SKIP_3) | instid1(VALU_DEP_2)
	v_xor_b32_e32 v175, vcc_lo, v175
	ds_load_b32 v176, v176 offset:1056
	; wave barrier
	v_bitop3_b32 v62, v62, v175, v63 bitop3:0x80
	v_mul_u32_u24_e32 v63, 36, v69
	v_mbcnt_lo_u32_b32 v177, v62, 0
	v_cmp_ne_u32_e64 s15, 0, v62
	s_delay_alu instid0(VALU_DEP_3) | instskip(NEXT) | instid1(VALU_DEP_3)
	v_add_nc_u32_e32 v178, v25, v63
	v_cmp_eq_u32_e32 vcc_lo, 0, v177
	s_and_b32 s16, s15, vcc_lo
	s_delay_alu instid0(SALU_CYCLE_1)
	s_and_saveexec_b32 s15, s16
	s_cbranch_execz .LBB626_746
; %bb.745:                              ;   in Loop: Header=BB626_690 Depth=2
	s_wait_dscnt 0x0
	v_bcnt_u32_b32 v62, v62, v176
	ds_store_b32 v178, v62 offset:1056
.LBB626_746:                            ;   in Loop: Header=BB626_690 Depth=2
	s_or_b32 exec_lo, exec_lo, s15
	v_xor_b32_e32 v175, 0x80000000, v68
	; wave barrier
	s_delay_alu instid0(VALU_DEP_1) | instskip(NEXT) | instid1(VALU_DEP_1)
	v_lshrrev_b32_e32 v62, s49, v175
	v_and_b32_e32 v68, s48, v62
	s_delay_alu instid0(VALU_DEP_1) | instskip(SKIP_1) | instid1(VALU_DEP_1)
	v_lshlrev_b32_e32 v69, 30, v68
	v_bitop3_b32 v63, v62, 1, s48 bitop3:0x80
	v_add_co_u32 v62, s15, v63, -1
	s_delay_alu instid0(VALU_DEP_1) | instskip(NEXT) | instid1(VALU_DEP_4)
	v_cndmask_b32_e64 v63, 0, 1, s15
	v_cmp_gt_i32_e64 s15, 0, v69
	s_delay_alu instid0(VALU_DEP_2) | instskip(SKIP_1) | instid1(VALU_DEP_1)
	v_cmp_ne_u32_e32 vcc_lo, 0, v63
	v_not_b32_e32 v63, v69
	v_dual_ashrrev_i32 v63, 31, v63 :: v_dual_lshlrev_b32 v179, 29, v68
	v_dual_lshlrev_b32 v180, 28, v68 :: v_dual_lshlrev_b32 v181, 27, v68
	v_dual_lshlrev_b32 v182, 26, v68 :: v_dual_lshlrev_b32 v183, 25, v68
	v_lshlrev_b32_e32 v184, 24, v68
	s_delay_alu instid0(VALU_DEP_4)
	v_cmp_gt_i32_e64 s16, 0, v179
	v_not_b32_e32 v69, v179
	v_not_b32_e32 v179, v180
	v_cmp_gt_i32_e64 s17, 0, v180
	v_cmp_gt_i32_e64 s18, 0, v181
	v_not_b32_e32 v180, v181
	v_not_b32_e32 v181, v182
	v_dual_ashrrev_i32 v69, 31, v69 :: v_dual_bitop2_b32 v62, vcc_lo, v62 bitop3:0x14
	s_delay_alu instid0(VALU_DEP_3) | instskip(NEXT) | instid1(VALU_DEP_3)
	v_dual_ashrrev_i32 v179, 31, v179 :: v_dual_ashrrev_i32 v180, 31, v180
	v_dual_ashrrev_i32 v181, 31, v181 :: v_dual_bitop2_b32 v63, s15, v63 bitop3:0x14
	v_cmp_gt_i32_e64 s19, 0, v182
	v_not_b32_e32 v182, v184
	s_delay_alu instid0(VALU_DEP_4) | instskip(NEXT) | instid1(VALU_DEP_4)
	v_xor_b32_e32 v179, s17, v179
	v_bitop3_b32 v62, v62, v63, exec_lo bitop3:0x80
	v_not_b32_e32 v63, v183
	v_xor_b32_e32 v69, s16, v69
	v_cmp_gt_i32_e64 s20, 0, v183
	v_xor_b32_e32 v180, s18, v180
	s_delay_alu instid0(VALU_DEP_4) | instskip(NEXT) | instid1(VALU_DEP_4)
	v_dual_ashrrev_i32 v63, 31, v63 :: v_dual_bitop2_b32 v181, s19, v181 bitop3:0x14
	v_bitop3_b32 v62, v62, v179, v69 bitop3:0x80
	v_cmp_gt_i32_e32 vcc_lo, 0, v184
	v_ashrrev_i32_e32 v69, 31, v182
	v_mad_u32_u24 v179, v68, 36, v25
	v_xor_b32_e32 v63, s20, v63
	v_bitop3_b32 v62, v62, v181, v180 bitop3:0x80
	s_delay_alu instid0(VALU_DEP_4) | instskip(SKIP_3) | instid1(VALU_DEP_2)
	v_xor_b32_e32 v69, vcc_lo, v69
	ds_load_b32 v180, v179 offset:1056
	; wave barrier
	v_bitop3_b32 v62, v62, v69, v63 bitop3:0x80
	v_mul_u32_u24_e32 v63, 36, v68
	v_mbcnt_lo_u32_b32 v181, v62, 0
	v_cmp_ne_u32_e64 s15, 0, v62
	s_delay_alu instid0(VALU_DEP_3) | instskip(NEXT) | instid1(VALU_DEP_3)
	v_add_nc_u32_e32 v182, v25, v63
	v_cmp_eq_u32_e32 vcc_lo, 0, v181
	s_and_b32 s16, s15, vcc_lo
	s_delay_alu instid0(SALU_CYCLE_1)
	s_and_saveexec_b32 s15, s16
	s_cbranch_execz .LBB626_748
; %bb.747:                              ;   in Loop: Header=BB626_690 Depth=2
	s_wait_dscnt 0x0
	v_bcnt_u32_b32 v62, v62, v180
	ds_store_b32 v182, v62 offset:1056
.LBB626_748:                            ;   in Loop: Header=BB626_690 Depth=2
	s_or_b32 exec_lo, exec_lo, s15
	v_xor_b32_e32 v179, 0x80000000, v67
	; wave barrier
	s_delay_alu instid0(VALU_DEP_1) | instskip(NEXT) | instid1(VALU_DEP_1)
	v_lshrrev_b32_e32 v62, s49, v179
	v_bitop3_b32 v63, v62, 1, s48 bitop3:0x80
	v_and_b32_e32 v67, s48, v62
	s_delay_alu instid0(VALU_DEP_2) | instskip(NEXT) | instid1(VALU_DEP_1)
	v_add_co_u32 v62, s15, v63, -1
	v_cndmask_b32_e64 v63, 0, 1, s15
	s_delay_alu instid0(VALU_DEP_3) | instskip(NEXT) | instid1(VALU_DEP_2)
	v_lshlrev_b32_e32 v68, 30, v67
	v_cmp_ne_u32_e32 vcc_lo, 0, v63
	s_delay_alu instid0(VALU_DEP_2) | instskip(NEXT) | instid1(VALU_DEP_1)
	v_not_b32_e32 v63, v68
	v_dual_ashrrev_i32 v63, 31, v63 :: v_dual_bitop2_b32 v62, vcc_lo, v62 bitop3:0x14
	v_dual_lshlrev_b32 v69, 29, v67 :: v_dual_lshlrev_b32 v183, 28, v67
	v_dual_lshlrev_b32 v184, 27, v67 :: v_dual_lshlrev_b32 v185, 26, v67
	v_lshlrev_b32_e32 v186, 25, v67
	v_cmp_gt_i32_e64 s15, 0, v68
	s_delay_alu instid0(VALU_DEP_4)
	v_cmp_gt_i32_e64 s16, 0, v69
	v_not_b32_e32 v68, v69
	v_not_b32_e32 v69, v183
	v_lshlrev_b32_e32 v187, 24, v67
	v_cmp_gt_i32_e64 s17, 0, v183
	v_cmp_gt_i32_e64 s18, 0, v184
	v_not_b32_e32 v183, v184
	v_not_b32_e32 v184, v185
	v_dual_ashrrev_i32 v68, 31, v68 :: v_dual_ashrrev_i32 v69, 31, v69
	v_xor_b32_e32 v63, s15, v63
	v_cmp_gt_i32_e64 s19, 0, v185
	s_delay_alu instid0(VALU_DEP_4) | instskip(NEXT) | instid1(VALU_DEP_4)
	v_dual_ashrrev_i32 v183, 31, v183 :: v_dual_ashrrev_i32 v184, 31, v184
	v_xor_b32_e32 v69, s17, v69
	s_delay_alu instid0(VALU_DEP_4)
	v_bitop3_b32 v62, v62, v63, exec_lo bitop3:0x80
	v_not_b32_e32 v63, v186
	v_xor_b32_e32 v68, s16, v68
	v_not_b32_e32 v185, v187
	v_cmp_gt_i32_e64 s20, 0, v186
	v_xor_b32_e32 v183, s18, v183
	v_dual_ashrrev_i32 v63, 31, v63 :: v_dual_bitop2_b32 v184, s19, v184 bitop3:0x14
	v_bitop3_b32 v62, v62, v69, v68 bitop3:0x80
	v_cmp_gt_i32_e32 vcc_lo, 0, v187
	v_ashrrev_i32_e32 v68, 31, v185
	v_mad_u32_u24 v69, v67, 36, v25
	v_xor_b32_e32 v63, s20, v63
	v_bitop3_b32 v62, v62, v184, v183 bitop3:0x80
	s_delay_alu instid0(VALU_DEP_4) | instskip(SKIP_3) | instid1(VALU_DEP_2)
	v_xor_b32_e32 v68, vcc_lo, v68
	ds_load_b32 v184, v69 offset:1056
	; wave barrier
	v_bitop3_b32 v62, v62, v68, v63 bitop3:0x80
	v_mul_u32_u24_e32 v63, 36, v67
	v_mbcnt_lo_u32_b32 v185, v62, 0
	v_cmp_ne_u32_e64 s15, 0, v62
	s_delay_alu instid0(VALU_DEP_3) | instskip(NEXT) | instid1(VALU_DEP_3)
	v_add_nc_u32_e32 v186, v25, v63
	v_cmp_eq_u32_e32 vcc_lo, 0, v185
	s_and_b32 s16, s15, vcc_lo
	s_delay_alu instid0(SALU_CYCLE_1)
	s_and_saveexec_b32 s15, s16
	s_cbranch_execz .LBB626_750
; %bb.749:                              ;   in Loop: Header=BB626_690 Depth=2
	s_wait_dscnt 0x0
	v_bcnt_u32_b32 v62, v62, v184
	ds_store_b32 v186, v62 offset:1056
.LBB626_750:                            ;   in Loop: Header=BB626_690 Depth=2
	s_or_b32 exec_lo, exec_lo, s15
	v_xor_b32_e32 v183, 0x80000000, v66
	; wave barrier
	s_delay_alu instid0(VALU_DEP_1) | instskip(NEXT) | instid1(VALU_DEP_1)
	v_lshrrev_b32_e32 v62, s49, v183
	v_and_b32_e32 v66, s48, v62
	s_delay_alu instid0(VALU_DEP_1) | instskip(SKIP_1) | instid1(VALU_DEP_1)
	v_lshlrev_b32_e32 v67, 30, v66
	v_bitop3_b32 v63, v62, 1, s48 bitop3:0x80
	v_add_co_u32 v62, s15, v63, -1
	s_delay_alu instid0(VALU_DEP_1) | instskip(NEXT) | instid1(VALU_DEP_4)
	v_cndmask_b32_e64 v63, 0, 1, s15
	v_cmp_gt_i32_e64 s15, 0, v67
	s_delay_alu instid0(VALU_DEP_2) | instskip(SKIP_1) | instid1(VALU_DEP_1)
	v_cmp_ne_u32_e32 vcc_lo, 0, v63
	v_not_b32_e32 v63, v67
	v_dual_ashrrev_i32 v63, 31, v63 :: v_dual_lshlrev_b32 v68, 29, v66
	v_dual_lshlrev_b32 v69, 28, v66 :: v_dual_lshlrev_b32 v187, 27, v66
	v_dual_lshlrev_b32 v188, 26, v66 :: v_dual_lshlrev_b32 v189, 25, v66
	v_lshlrev_b32_e32 v190, 24, v66
	s_delay_alu instid0(VALU_DEP_4)
	v_cmp_gt_i32_e64 s16, 0, v68
	v_not_b32_e32 v67, v68
	v_not_b32_e32 v68, v69
	v_cmp_gt_i32_e64 s17, 0, v69
	v_cmp_gt_i32_e64 s18, 0, v187
	v_not_b32_e32 v69, v187
	v_not_b32_e32 v187, v188
	v_dual_ashrrev_i32 v67, 31, v67 :: v_dual_bitop2_b32 v62, vcc_lo, v62 bitop3:0x14
	v_dual_ashrrev_i32 v68, 31, v68 :: v_dual_bitop2_b32 v63, s15, v63 bitop3:0x14
	v_cmp_gt_i32_e64 s19, 0, v188
	s_delay_alu instid0(VALU_DEP_4) | instskip(NEXT) | instid1(VALU_DEP_4)
	v_dual_ashrrev_i32 v69, 31, v69 :: v_dual_ashrrev_i32 v187, 31, v187
	v_xor_b32_e32 v67, s16, v67
	s_delay_alu instid0(VALU_DEP_4)
	v_bitop3_b32 v62, v62, v63, exec_lo bitop3:0x80
	v_not_b32_e32 v63, v189
	v_xor_b32_e32 v68, s17, v68
	v_not_b32_e32 v188, v190
	v_cmp_gt_i32_e64 s20, 0, v189
	v_xor_b32_e32 v69, s18, v69
	v_xor_b32_e32 v187, s19, v187
	v_ashrrev_i32_e32 v63, 31, v63
	v_bitop3_b32 v62, v62, v68, v67 bitop3:0x80
	v_cmp_gt_i32_e32 vcc_lo, 0, v190
	v_ashrrev_i32_e32 v67, 31, v188
	v_mad_u32_u24 v68, v66, 36, v25
	v_xor_b32_e32 v63, s20, v63
	v_bitop3_b32 v62, v62, v187, v69 bitop3:0x80
	s_delay_alu instid0(VALU_DEP_4) | instskip(SKIP_3) | instid1(VALU_DEP_2)
	v_xor_b32_e32 v67, vcc_lo, v67
	ds_load_b32 v188, v68 offset:1056
	; wave barrier
	v_bitop3_b32 v62, v62, v67, v63 bitop3:0x80
	v_mul_u32_u24_e32 v63, 36, v66
	v_mbcnt_lo_u32_b32 v189, v62, 0
	v_cmp_ne_u32_e64 s15, 0, v62
	s_delay_alu instid0(VALU_DEP_3) | instskip(NEXT) | instid1(VALU_DEP_3)
	v_add_nc_u32_e32 v190, v25, v63
	v_cmp_eq_u32_e32 vcc_lo, 0, v189
	s_and_b32 s16, s15, vcc_lo
	s_delay_alu instid0(SALU_CYCLE_1)
	s_and_saveexec_b32 s15, s16
	s_cbranch_execz .LBB626_752
; %bb.751:                              ;   in Loop: Header=BB626_690 Depth=2
	s_wait_dscnt 0x0
	v_bcnt_u32_b32 v62, v62, v188
	ds_store_b32 v190, v62 offset:1056
.LBB626_752:                            ;   in Loop: Header=BB626_690 Depth=2
	s_or_b32 exec_lo, exec_lo, s15
	v_xor_b32_e32 v187, 0x80000000, v65
	; wave barrier
	s_delay_alu instid0(VALU_DEP_1) | instskip(NEXT) | instid1(VALU_DEP_1)
	v_lshrrev_b32_e32 v62, s49, v187
	v_and_b32_e32 v65, s48, v62
	s_delay_alu instid0(VALU_DEP_1) | instskip(SKIP_1) | instid1(VALU_DEP_1)
	v_lshlrev_b32_e32 v66, 30, v65
	v_bitop3_b32 v63, v62, 1, s48 bitop3:0x80
	v_add_co_u32 v62, s15, v63, -1
	s_delay_alu instid0(VALU_DEP_1) | instskip(NEXT) | instid1(VALU_DEP_4)
	v_cndmask_b32_e64 v63, 0, 1, s15
	v_cmp_gt_i32_e64 s15, 0, v66
	s_delay_alu instid0(VALU_DEP_2) | instskip(SKIP_1) | instid1(VALU_DEP_1)
	v_cmp_ne_u32_e32 vcc_lo, 0, v63
	v_not_b32_e32 v63, v66
	v_dual_ashrrev_i32 v63, 31, v63 :: v_dual_lshlrev_b32 v67, 29, v65
	v_dual_lshlrev_b32 v68, 28, v65 :: v_dual_lshlrev_b32 v69, 27, v65
	v_dual_lshlrev_b32 v191, 26, v65 :: v_dual_lshlrev_b32 v192, 25, v65
	v_lshlrev_b32_e32 v193, 24, v65
	s_delay_alu instid0(VALU_DEP_4)
	v_cmp_gt_i32_e64 s16, 0, v67
	v_not_b32_e32 v66, v67
	v_not_b32_e32 v67, v68
	v_cmp_gt_i32_e64 s17, 0, v68
	v_cmp_gt_i32_e64 s18, 0, v69
	v_not_b32_e32 v68, v69
	v_not_b32_e32 v69, v191
	v_dual_ashrrev_i32 v67, 31, v67 :: v_dual_bitop2_b32 v62, vcc_lo, v62 bitop3:0x14
	v_dual_ashrrev_i32 v66, 31, v66 :: v_dual_bitop2_b32 v63, s15, v63 bitop3:0x14
	v_cmp_gt_i32_e64 s19, 0, v191
	s_delay_alu instid0(VALU_DEP_4) | instskip(NEXT) | instid1(VALU_DEP_4)
	v_dual_ashrrev_i32 v68, 31, v68 :: v_dual_ashrrev_i32 v69, 31, v69
	v_xor_b32_e32 v67, s17, v67
	s_delay_alu instid0(VALU_DEP_4)
	v_bitop3_b32 v62, v62, v63, exec_lo bitop3:0x80
	v_not_b32_e32 v63, v192
	v_xor_b32_e32 v66, s16, v66
	v_not_b32_e32 v191, v193
	v_cmp_gt_i32_e64 s20, 0, v192
	v_xor_b32_e32 v68, s18, v68
	v_dual_ashrrev_i32 v63, 31, v63 :: v_dual_bitop2_b32 v69, s19, v69 bitop3:0x14
	v_bitop3_b32 v62, v62, v67, v66 bitop3:0x80
	v_cmp_gt_i32_e32 vcc_lo, 0, v193
	v_ashrrev_i32_e32 v66, 31, v191
	v_mad_u32_u24 v67, v65, 36, v25
	v_xor_b32_e32 v63, s20, v63
	v_bitop3_b32 v62, v62, v69, v68 bitop3:0x80
	s_delay_alu instid0(VALU_DEP_4) | instskip(SKIP_3) | instid1(VALU_DEP_2)
	v_xor_b32_e32 v66, vcc_lo, v66
	ds_load_b32 v192, v67 offset:1056
	; wave barrier
	v_bitop3_b32 v62, v62, v66, v63 bitop3:0x80
	v_mul_u32_u24_e32 v63, 36, v65
	v_mbcnt_lo_u32_b32 v193, v62, 0
	v_cmp_ne_u32_e64 s15, 0, v62
	s_delay_alu instid0(VALU_DEP_3) | instskip(NEXT) | instid1(VALU_DEP_3)
	v_add_nc_u32_e32 v194, v25, v63
	v_cmp_eq_u32_e32 vcc_lo, 0, v193
	s_and_b32 s16, s15, vcc_lo
	s_delay_alu instid0(SALU_CYCLE_1)
	s_and_saveexec_b32 s15, s16
	s_cbranch_execz .LBB626_754
; %bb.753:                              ;   in Loop: Header=BB626_690 Depth=2
	s_wait_dscnt 0x0
	v_bcnt_u32_b32 v62, v62, v192
	ds_store_b32 v194, v62 offset:1056
.LBB626_754:                            ;   in Loop: Header=BB626_690 Depth=2
	s_or_b32 exec_lo, exec_lo, s15
	v_xor_b32_e32 v191, 0x80000000, v64
	; wave barrier
	s_delay_alu instid0(VALU_DEP_1) | instskip(NEXT) | instid1(VALU_DEP_1)
	v_lshrrev_b32_e32 v62, s49, v191
	v_and_b32_e32 v64, s48, v62
	s_delay_alu instid0(VALU_DEP_1) | instskip(SKIP_1) | instid1(VALU_DEP_1)
	v_lshlrev_b32_e32 v65, 30, v64
	v_bitop3_b32 v63, v62, 1, s48 bitop3:0x80
	v_add_co_u32 v62, s15, v63, -1
	s_delay_alu instid0(VALU_DEP_1) | instskip(NEXT) | instid1(VALU_DEP_4)
	v_cndmask_b32_e64 v63, 0, 1, s15
	v_cmp_gt_i32_e64 s15, 0, v65
	s_delay_alu instid0(VALU_DEP_2) | instskip(SKIP_1) | instid1(VALU_DEP_1)
	v_cmp_ne_u32_e32 vcc_lo, 0, v63
	v_not_b32_e32 v63, v65
	v_dual_ashrrev_i32 v63, 31, v63 :: v_dual_lshlrev_b32 v66, 29, v64
	v_dual_lshlrev_b32 v67, 28, v64 :: v_dual_lshlrev_b32 v68, 27, v64
	v_dual_lshlrev_b32 v69, 26, v64 :: v_dual_lshlrev_b32 v195, 25, v64
	v_lshlrev_b32_e32 v196, 24, v64
	s_delay_alu instid0(VALU_DEP_4)
	v_cmp_gt_i32_e64 s16, 0, v66
	v_not_b32_e32 v65, v66
	v_not_b32_e32 v66, v67
	v_cmp_gt_i32_e64 s17, 0, v67
	v_cmp_gt_i32_e64 s18, 0, v68
	v_not_b32_e32 v67, v68
	v_not_b32_e32 v68, v69
	v_dual_ashrrev_i32 v65, 31, v65 :: v_dual_bitop2_b32 v62, vcc_lo, v62 bitop3:0x14
	v_dual_ashrrev_i32 v66, 31, v66 :: v_dual_bitop2_b32 v63, s15, v63 bitop3:0x14
	v_cmp_gt_i32_e64 s19, 0, v69
	s_delay_alu instid0(VALU_DEP_4) | instskip(SKIP_1) | instid1(VALU_DEP_4)
	v_dual_ashrrev_i32 v67, 31, v67 :: v_dual_ashrrev_i32 v68, 31, v68
	v_not_b32_e32 v69, v196
	v_xor_b32_e32 v66, s17, v66
	v_bitop3_b32 v62, v62, v63, exec_lo bitop3:0x80
	v_not_b32_e32 v63, v195
	v_xor_b32_e32 v65, s16, v65
	v_cmp_gt_i32_e64 s20, 0, v195
	v_xor_b32_e32 v67, s18, v67
	s_delay_alu instid0(VALU_DEP_4) | instskip(NEXT) | instid1(VALU_DEP_4)
	v_dual_ashrrev_i32 v63, 31, v63 :: v_dual_bitop2_b32 v68, s19, v68 bitop3:0x14
	v_bitop3_b32 v62, v62, v66, v65 bitop3:0x80
	v_cmp_gt_i32_e32 vcc_lo, 0, v196
	v_ashrrev_i32_e32 v65, 31, v69
	v_mad_u32_u24 v66, v64, 36, v25
	v_xor_b32_e32 v63, s20, v63
	v_bitop3_b32 v62, v62, v68, v67 bitop3:0x80
	s_delay_alu instid0(VALU_DEP_4) | instskip(SKIP_3) | instid1(VALU_DEP_2)
	v_xor_b32_e32 v65, vcc_lo, v65
	ds_load_b32 v195, v66 offset:1056
	; wave barrier
	v_bitop3_b32 v62, v62, v65, v63 bitop3:0x80
	v_mul_u32_u24_e32 v63, 36, v64
	v_mbcnt_lo_u32_b32 v196, v62, 0
	v_cmp_ne_u32_e64 s15, 0, v62
	s_delay_alu instid0(VALU_DEP_3) | instskip(NEXT) | instid1(VALU_DEP_3)
	v_add_nc_u32_e32 v197, v25, v63
	v_cmp_eq_u32_e32 vcc_lo, 0, v196
	s_and_b32 s16, s15, vcc_lo
	s_delay_alu instid0(SALU_CYCLE_1)
	s_and_saveexec_b32 s15, s16
	s_cbranch_execz .LBB626_756
; %bb.755:                              ;   in Loop: Header=BB626_690 Depth=2
	s_wait_dscnt 0x0
	v_bcnt_u32_b32 v62, v62, v195
	ds_store_b32 v197, v62 offset:1056
.LBB626_756:                            ;   in Loop: Header=BB626_690 Depth=2
	s_or_b32 exec_lo, exec_lo, s15
	v_lshrrev_b32_e32 v62, s49, v138
	; wave barrier
	s_delay_alu instid0(VALU_DEP_1) | instskip(NEXT) | instid1(VALU_DEP_1)
	v_and_b32_e32 v64, s48, v62
	v_lshlrev_b32_e32 v65, 30, v64
	v_bitop3_b32 v63, v62, 1, s48 bitop3:0x80
	s_delay_alu instid0(VALU_DEP_1) | instskip(NEXT) | instid1(VALU_DEP_1)
	v_add_co_u32 v62, s15, v63, -1
	v_cndmask_b32_e64 v63, 0, 1, s15
	s_delay_alu instid0(VALU_DEP_4) | instskip(NEXT) | instid1(VALU_DEP_2)
	v_cmp_gt_i32_e64 s15, 0, v65
	v_cmp_ne_u32_e32 vcc_lo, 0, v63
	v_not_b32_e32 v63, v65
	s_delay_alu instid0(VALU_DEP_1) | instskip(SKIP_3) | instid1(VALU_DEP_4)
	v_dual_ashrrev_i32 v63, 31, v63 :: v_dual_lshlrev_b32 v66, 29, v64
	v_dual_lshlrev_b32 v67, 28, v64 :: v_dual_lshlrev_b32 v68, 27, v64
	v_dual_lshlrev_b32 v69, 26, v64 :: v_dual_lshlrev_b32 v198, 25, v64
	v_lshlrev_b32_e32 v199, 24, v64
	v_cmp_gt_i32_e64 s16, 0, v66
	v_not_b32_e32 v65, v66
	v_not_b32_e32 v66, v67
	v_cmp_gt_i32_e64 s17, 0, v67
	v_xor_b32_e32 v62, vcc_lo, v62
	s_delay_alu instid0(VALU_DEP_4) | instskip(NEXT) | instid1(VALU_DEP_4)
	v_dual_ashrrev_i32 v65, 31, v65 :: v_dual_bitop2_b32 v63, s15, v63 bitop3:0x14
	v_ashrrev_i32_e32 v66, 31, v66
	v_cmp_gt_i32_e64 s18, 0, v68
	v_not_b32_e32 v67, v68
	v_not_b32_e32 v68, v69
	v_xor_b32_e32 v65, s16, v65
	v_xor_b32_e32 v66, s17, v66
	v_bitop3_b32 v62, v62, v63, exec_lo bitop3:0x80
	v_ashrrev_i32_e32 v63, 31, v67
	v_cmp_gt_i32_e32 vcc_lo, 0, v69
	v_ashrrev_i32_e32 v67, 31, v68
	v_not_b32_e32 v68, v198
	v_bitop3_b32 v62, v62, v66, v65 bitop3:0x80
	v_not_b32_e32 v65, v199
	v_xor_b32_e32 v63, s18, v63
	v_xor_b32_e32 v66, vcc_lo, v67
	v_cmp_gt_i32_e32 vcc_lo, 0, v198
	v_ashrrev_i32_e32 v67, 31, v68
	v_cmp_gt_i32_e64 s15, 0, v199
	v_ashrrev_i32_e32 v65, 31, v65
	v_mad_u32_u24 v68, v64, 36, v25
	v_bitop3_b32 v62, v62, v66, v63 bitop3:0x80
	v_xor_b32_e32 v63, vcc_lo, v67
	s_delay_alu instid0(VALU_DEP_4) | instskip(SKIP_3) | instid1(VALU_DEP_2)
	v_xor_b32_e32 v65, s15, v65
	ds_load_b32 v198, v68 offset:1056
	; wave barrier
	v_bitop3_b32 v62, v62, v65, v63 bitop3:0x80
	v_mul_u32_u24_e32 v63, 36, v64
	v_mbcnt_lo_u32_b32 v199, v62, 0
	v_cmp_ne_u32_e64 s15, 0, v62
	s_delay_alu instid0(VALU_DEP_3) | instskip(NEXT) | instid1(VALU_DEP_3)
	v_add_nc_u32_e32 v200, v25, v63
	v_cmp_eq_u32_e32 vcc_lo, 0, v199
	s_and_b32 s16, s15, vcc_lo
	s_delay_alu instid0(SALU_CYCLE_1)
	s_and_saveexec_b32 s15, s16
	s_cbranch_execz .LBB626_758
; %bb.757:                              ;   in Loop: Header=BB626_690 Depth=2
	s_wait_dscnt 0x0
	v_bcnt_u32_b32 v62, v62, v198
	ds_store_b32 v200, v62 offset:1056
.LBB626_758:                            ;   in Loop: Header=BB626_690 Depth=2
	s_or_b32 exec_lo, exec_lo, s15
	; wave barrier
	s_wait_dscnt 0x0
	s_barrier_signal -1
	s_barrier_wait -1
	ds_load_2addr_b32 v[68:69], v117 offset1:1
	ds_load_2addr_b32 v[66:67], v118 offset1:1
	;; [unrolled: 1-line block ×4, first 2 shown]
	ds_load_b32 v201, v91 offset:1088
	s_wait_dscnt 0x3
	v_add3_u32 v202, v69, v68, v66
	s_wait_dscnt 0x2
	s_delay_alu instid0(VALU_DEP_1) | instskip(SKIP_1) | instid1(VALU_DEP_1)
	v_add3_u32 v202, v202, v67, v64
	s_wait_dscnt 0x1
	v_add3_u32 v202, v202, v65, v62
	s_wait_dscnt 0x0
	s_delay_alu instid0(VALU_DEP_1) | instskip(NEXT) | instid1(VALU_DEP_1)
	v_add3_u32 v201, v202, v63, v201
	v_mov_b32_dpp v202, v201 row_shr:1 row_mask:0xf bank_mask:0xf
	s_delay_alu instid0(VALU_DEP_1) | instskip(NEXT) | instid1(VALU_DEP_1)
	v_cndmask_b32_e64 v202, v202, 0, s7
	v_add_nc_u32_e32 v201, v202, v201
	s_delay_alu instid0(VALU_DEP_1) | instskip(NEXT) | instid1(VALU_DEP_1)
	v_mov_b32_dpp v202, v201 row_shr:2 row_mask:0xf bank_mask:0xf
	v_cndmask_b32_e64 v202, 0, v202, s8
	s_delay_alu instid0(VALU_DEP_1) | instskip(NEXT) | instid1(VALU_DEP_1)
	v_add_nc_u32_e32 v201, v201, v202
	v_mov_b32_dpp v202, v201 row_shr:4 row_mask:0xf bank_mask:0xf
	s_delay_alu instid0(VALU_DEP_1) | instskip(NEXT) | instid1(VALU_DEP_1)
	v_cndmask_b32_e64 v202, 0, v202, s9
	v_add_nc_u32_e32 v201, v201, v202
	s_delay_alu instid0(VALU_DEP_1) | instskip(NEXT) | instid1(VALU_DEP_1)
	v_mov_b32_dpp v202, v201 row_shr:8 row_mask:0xf bank_mask:0xf
	v_cndmask_b32_e64 v202, 0, v202, s10
	s_delay_alu instid0(VALU_DEP_1) | instskip(SKIP_3) | instid1(VALU_DEP_1)
	v_add_nc_u32_e32 v201, v201, v202
	ds_swizzle_b32 v202, v201 offset:swizzle(BROADCAST,32,15)
	s_wait_dscnt 0x0
	v_cndmask_b32_e64 v202, v202, 0, s11
	v_add_nc_u32_e32 v201, v201, v202
	s_and_saveexec_b32 s15, s1
; %bb.759:                              ;   in Loop: Header=BB626_690 Depth=2
	ds_store_b32 v85, v201 offset:1024
; %bb.760:                              ;   in Loop: Header=BB626_690 Depth=2
	s_or_b32 exec_lo, exec_lo, s15
	s_wait_dscnt 0x0
	s_barrier_signal -1
	s_barrier_wait -1
	s_and_saveexec_b32 s15, s4
	s_cbranch_execz .LBB626_762
; %bb.761:                              ;   in Loop: Header=BB626_690 Depth=2
	ds_load_b32 v202, v93 offset:1024
	s_wait_dscnt 0x0
	v_mov_b32_dpp v203, v202 row_shr:1 row_mask:0xf bank_mask:0xf
	s_delay_alu instid0(VALU_DEP_1) | instskip(NEXT) | instid1(VALU_DEP_1)
	v_cndmask_b32_e64 v203, v203, 0, s12
	v_add_nc_u32_e32 v202, v203, v202
	s_delay_alu instid0(VALU_DEP_1) | instskip(NEXT) | instid1(VALU_DEP_1)
	v_mov_b32_dpp v203, v202 row_shr:2 row_mask:0xf bank_mask:0xf
	v_cndmask_b32_e64 v203, 0, v203, s13
	s_delay_alu instid0(VALU_DEP_1) | instskip(NEXT) | instid1(VALU_DEP_1)
	v_add_nc_u32_e32 v202, v202, v203
	v_mov_b32_dpp v203, v202 row_shr:4 row_mask:0xf bank_mask:0xf
	s_delay_alu instid0(VALU_DEP_1) | instskip(NEXT) | instid1(VALU_DEP_1)
	v_cndmask_b32_e64 v203, 0, v203, s14
	v_add_nc_u32_e32 v202, v202, v203
	ds_store_b32 v93, v202 offset:1024
.LBB626_762:                            ;   in Loop: Header=BB626_690 Depth=2
	s_or_b32 exec_lo, exec_lo, s15
	v_mov_b32_e32 v202, 0
	s_wait_dscnt 0x0
	s_barrier_signal -1
	s_barrier_wait -1
	s_and_saveexec_b32 s15, s5
; %bb.763:                              ;   in Loop: Header=BB626_690 Depth=2
	ds_load_b32 v202, v85 offset:1020
; %bb.764:                              ;   in Loop: Header=BB626_690 Depth=2
	s_or_b32 exec_lo, exec_lo, s15
	s_wait_dscnt 0x0
	v_add_nc_u32_e32 v201, v202, v201
	ds_bpermute_b32 v201, v120, v201
	s_wait_dscnt 0x0
	v_cndmask_b32_e64 v201, v201, v202, s6
	s_delay_alu instid0(VALU_DEP_1) | instskip(NEXT) | instid1(VALU_DEP_1)
	v_cndmask_b32_e64 v201, v201, 0, s2
	v_add_nc_u32_e32 v68, v201, v68
	s_delay_alu instid0(VALU_DEP_1) | instskip(NEXT) | instid1(VALU_DEP_1)
	v_add_nc_u32_e32 v69, v68, v69
	v_add_nc_u32_e32 v66, v69, v66
	s_delay_alu instid0(VALU_DEP_1) | instskip(NEXT) | instid1(VALU_DEP_1)
	v_add_nc_u32_e32 v67, v66, v67
	;; [unrolled: 3-line block ×3, first 2 shown]
	v_add_nc_u32_e32 v62, v65, v62
	s_delay_alu instid0(VALU_DEP_1)
	v_add_nc_u32_e32 v63, v62, v63
	ds_store_2addr_b32 v5, v65, v62 offset1:1
	ds_store_2addr_b32 v117, v201, v68 offset1:1
	;; [unrolled: 1-line block ×4, first 2 shown]
	ds_store_b32 v91, v63 offset:1088
	s_wait_dscnt 0x0
	s_barrier_signal -1
	s_barrier_wait -1
	ds_load_b32 v65, v142 offset:1056
	ds_load_b32 v67, v146 offset:1056
	;; [unrolled: 1-line block ×17, first 2 shown]
	v_mov_b32_e32 v64, 0x1000
	s_and_saveexec_b32 s15, s3
; %bb.765:                              ;   in Loop: Header=BB626_690 Depth=2
	ds_load_b32 v64, v91 offset:1092
; %bb.766:                              ;   in Loop: Header=BB626_690 Depth=2
	s_or_b32 exec_lo, exec_lo, s15
	s_wait_dscnt 0x0
	s_barrier_signal -1
	s_barrier_wait -1
	s_and_saveexec_b32 s15, s0
	s_cbranch_execz .LBB626_768
; %bb.767:                              ;   in Loop: Header=BB626_690 Depth=2
	ds_load_b32 v154, v4
	s_wait_dscnt 0x0
	v_sub_nc_u32_e32 v150, v154, v150
	ds_store_b32 v4, v150
.LBB626_768:                            ;   in Loop: Header=BB626_690 Depth=2
	s_or_b32 exec_lo, exec_lo, s15
	v_add3_u32 v158, v145, v144, v67
	v_add_nc_u32_e32 v162, v65, v141
	v_add3_u32 v154, v149, v148, v68
	v_add3_u32 v150, v153, v152, v69
	;; [unrolled: 1-line block ×4, first 2 shown]
	v_lshlrev_b32_e32 v62, 2, v158
	v_lshlrev_b32_e32 v152, 2, v162
	v_add3_u32 v149, v157, v156, v142
	v_add3_u32 v146, v165, v164, v201
	;; [unrolled: 1-line block ×4, first 2 shown]
	v_lshlrev_b32_e32 v63, 2, v154
	v_add3_u32 v144, v173, v172, v174
	v_lshlrev_b32_e32 v153, 2, v148
	ds_store_b32 v152, v139 offset:1024
	v_lshlrev_b32_e32 v139, 2, v150
	v_add3_u32 v142, v177, v176, v178
	v_lshlrev_b32_e32 v152, 2, v149
	v_add3_u32 v141, v181, v180, v182
	v_add3_u32 v65, v185, v184, v186
	ds_store_b32 v62, v140 offset:1024
	ds_store_b32 v63, v143 offset:1024
	;; [unrolled: 1-line block ×5, first 2 shown]
	v_dual_lshlrev_b32 v62, 2, v146 :: v_dual_lshlrev_b32 v139, 2, v144
	v_lshlrev_b32_e32 v63, 2, v145
	v_add3_u32 v67, v196, v195, v66
	v_dual_lshlrev_b32 v140, 2, v142 :: v_dual_lshlrev_b32 v143, 2, v141
	v_add3_u32 v66, v199, v198, v167
	ds_store_b32 v62, v159 offset:1024
	ds_store_b32 v63, v163 offset:1024
	;; [unrolled: 1-line block ×5, first 2 shown]
	v_dual_lshlrev_b32 v62, 2, v65 :: v_dual_lshlrev_b32 v139, 2, v68
	v_cmp_lt_u32_e32 vcc_lo, v2, v137
	v_dual_lshlrev_b32 v63, 2, v69 :: v_dual_lshlrev_b32 v140, 2, v67
	v_lshlrev_b32_e32 v143, 2, v66
	ds_store_b32 v62, v179 offset:1024
	ds_store_b32 v63, v183 offset:1024
	;; [unrolled: 1-line block ×5, first 2 shown]
	s_wait_dscnt 0x0
	s_barrier_signal -1
	s_barrier_wait -1
	s_and_saveexec_b32 s15, vcc_lo
	s_cbranch_execnz .LBB626_837
; %bb.769:                              ;   in Loop: Header=BB626_690 Depth=2
	s_or_b32 exec_lo, exec_lo, s15
	v_cmp_lt_u32_e64 s15, v3, v137
	s_and_saveexec_b32 s16, s15
	s_cbranch_execnz .LBB626_838
.LBB626_770:                            ;   in Loop: Header=BB626_690 Depth=2
	s_or_b32 exec_lo, exec_lo, s16
	v_cmp_lt_u32_e64 s16, v70, v137
	s_and_saveexec_b32 s17, s16
	s_cbranch_execnz .LBB626_839
.LBB626_771:                            ;   in Loop: Header=BB626_690 Depth=2
	s_or_b32 exec_lo, exec_lo, s17
	v_cmp_lt_u32_e64 s17, v71, v137
	s_and_saveexec_b32 s18, s17
	s_cbranch_execnz .LBB626_840
.LBB626_772:                            ;   in Loop: Header=BB626_690 Depth=2
	s_or_b32 exec_lo, exec_lo, s18
	v_cmp_lt_u32_e64 s18, v72, v137
	s_and_saveexec_b32 s19, s18
	s_cbranch_execnz .LBB626_841
.LBB626_773:                            ;   in Loop: Header=BB626_690 Depth=2
	s_or_b32 exec_lo, exec_lo, s19
	v_cmp_lt_u32_e64 s19, v73, v137
	s_and_saveexec_b32 s20, s19
	s_cbranch_execnz .LBB626_842
.LBB626_774:                            ;   in Loop: Header=BB626_690 Depth=2
	s_or_b32 exec_lo, exec_lo, s20
	v_cmp_lt_u32_e64 s20, v74, v137
	s_and_saveexec_b32 s21, s20
	s_cbranch_execnz .LBB626_843
.LBB626_775:                            ;   in Loop: Header=BB626_690 Depth=2
	s_or_b32 exec_lo, exec_lo, s21
	v_cmp_lt_u32_e64 s21, v75, v137
	s_and_saveexec_b32 s22, s21
	s_cbranch_execnz .LBB626_844
.LBB626_776:                            ;   in Loop: Header=BB626_690 Depth=2
	s_or_b32 exec_lo, exec_lo, s22
	v_cmp_lt_u32_e64 s22, v76, v137
	s_and_saveexec_b32 s23, s22
	s_cbranch_execnz .LBB626_845
.LBB626_777:                            ;   in Loop: Header=BB626_690 Depth=2
	s_or_b32 exec_lo, exec_lo, s23
	v_cmp_lt_u32_e64 s23, v77, v137
	s_and_saveexec_b32 s24, s23
	s_cbranch_execnz .LBB626_846
.LBB626_778:                            ;   in Loop: Header=BB626_690 Depth=2
	s_or_b32 exec_lo, exec_lo, s24
	v_cmp_lt_u32_e64 s24, v78, v137
	s_and_saveexec_b32 s25, s24
	s_cbranch_execnz .LBB626_847
.LBB626_779:                            ;   in Loop: Header=BB626_690 Depth=2
	s_or_b32 exec_lo, exec_lo, s25
	v_cmp_lt_u32_e64 s25, v79, v137
	s_and_saveexec_b32 s26, s25
	s_cbranch_execnz .LBB626_848
.LBB626_780:                            ;   in Loop: Header=BB626_690 Depth=2
	s_or_b32 exec_lo, exec_lo, s26
	v_cmp_lt_u32_e64 s26, v80, v137
	s_and_saveexec_b32 s27, s26
	s_cbranch_execnz .LBB626_849
.LBB626_781:                            ;   in Loop: Header=BB626_690 Depth=2
	s_or_b32 exec_lo, exec_lo, s27
	v_cmp_lt_u32_e64 s27, v81, v137
	s_and_saveexec_b32 s28, s27
	s_cbranch_execnz .LBB626_850
.LBB626_782:                            ;   in Loop: Header=BB626_690 Depth=2
	s_or_b32 exec_lo, exec_lo, s28
	v_cmp_lt_u32_e64 s28, v82, v137
	s_and_saveexec_b32 s29, s28
	s_cbranch_execnz .LBB626_851
.LBB626_783:                            ;   in Loop: Header=BB626_690 Depth=2
	s_or_b32 exec_lo, exec_lo, s29
	v_cmp_lt_u32_e64 s29, v83, v137
	s_and_saveexec_b32 s57, s29
	s_cbranch_execz .LBB626_785
.LBB626_784:                            ;   in Loop: Header=BB626_690 Depth=2
	ds_load_b32 v62, v93 offset:16384
	s_wait_dscnt 0x0
	v_lshrrev_b32_e32 v63, s49, v62
	v_xor_b32_e32 v62, 0x80000000, v62
	s_delay_alu instid0(VALU_DEP_2) | instskip(NEXT) | instid1(VALU_DEP_1)
	v_and_b32_e32 v63, s48, v63
	v_lshlrev_b32_e32 v63, 2, v63
	ds_load_b32 v63, v63
	s_wait_dscnt 0x0
	v_add_nc_u32_e32 v63, v63, v83
	global_store_b32 v63, v62, s[38:39] scale_offset
.LBB626_785:                            ;   in Loop: Header=BB626_690 Depth=2
	s_wait_xcnt 0x0
	s_or_b32 exec_lo, exec_lo, s57
	v_lshl_add_u64 v[62:63], s[30:31], 3, v[26:27]
	v_cmp_lt_u32_e64 s30, v99, v137
	s_and_saveexec_b32 s57, s30
	s_delay_alu instid0(SALU_CYCLE_1)
	s_xor_b32 s30, exec_lo, s57
	s_cbranch_execnz .LBB626_852
; %bb.786:                              ;   in Loop: Header=BB626_690 Depth=2
	s_or_b32 exec_lo, exec_lo, s30
	s_delay_alu instid0(SALU_CYCLE_1)
	s_mov_b32 s57, exec_lo
	v_cmpx_lt_u32_e64 v102, v137
	s_cbranch_execnz .LBB626_853
.LBB626_787:                            ;   in Loop: Header=BB626_690 Depth=2
	s_or_b32 exec_lo, exec_lo, s57
	s_delay_alu instid0(SALU_CYCLE_1)
	s_mov_b32 s57, exec_lo
	v_cmpx_lt_u32_e64 v103, v137
	s_cbranch_execnz .LBB626_854
.LBB626_788:                            ;   in Loop: Header=BB626_690 Depth=2
	s_or_b32 exec_lo, exec_lo, s57
	s_delay_alu instid0(SALU_CYCLE_1)
	s_mov_b32 s57, exec_lo
	v_cmpx_lt_u32_e64 v104, v137
	s_cbranch_execnz .LBB626_855
.LBB626_789:                            ;   in Loop: Header=BB626_690 Depth=2
	s_or_b32 exec_lo, exec_lo, s57
	s_delay_alu instid0(SALU_CYCLE_1)
	s_mov_b32 s57, exec_lo
	v_cmpx_lt_u32_e64 v105, v137
	s_cbranch_execnz .LBB626_856
.LBB626_790:                            ;   in Loop: Header=BB626_690 Depth=2
	s_or_b32 exec_lo, exec_lo, s57
	s_delay_alu instid0(SALU_CYCLE_1)
	s_mov_b32 s57, exec_lo
	v_cmpx_lt_u32_e64 v106, v137
	s_cbranch_execnz .LBB626_857
.LBB626_791:                            ;   in Loop: Header=BB626_690 Depth=2
	s_or_b32 exec_lo, exec_lo, s57
	s_delay_alu instid0(SALU_CYCLE_1)
	s_mov_b32 s57, exec_lo
	v_cmpx_lt_u32_e64 v107, v137
	s_cbranch_execnz .LBB626_858
.LBB626_792:                            ;   in Loop: Header=BB626_690 Depth=2
	s_or_b32 exec_lo, exec_lo, s57
	s_delay_alu instid0(SALU_CYCLE_1)
	s_mov_b32 s57, exec_lo
	v_cmpx_lt_u32_e64 v108, v137
	s_cbranch_execnz .LBB626_859
.LBB626_793:                            ;   in Loop: Header=BB626_690 Depth=2
	s_or_b32 exec_lo, exec_lo, s57
	s_delay_alu instid0(SALU_CYCLE_1)
	s_mov_b32 s57, exec_lo
	v_cmpx_lt_u32_e64 v109, v137
	s_cbranch_execnz .LBB626_860
.LBB626_794:                            ;   in Loop: Header=BB626_690 Depth=2
	s_or_b32 exec_lo, exec_lo, s57
	s_delay_alu instid0(SALU_CYCLE_1)
	s_mov_b32 s57, exec_lo
	v_cmpx_lt_u32_e64 v110, v137
	s_cbranch_execnz .LBB626_861
.LBB626_795:                            ;   in Loop: Header=BB626_690 Depth=2
	s_or_b32 exec_lo, exec_lo, s57
	s_delay_alu instid0(SALU_CYCLE_1)
	s_mov_b32 s57, exec_lo
	v_cmpx_lt_u32_e64 v111, v137
	s_cbranch_execnz .LBB626_862
.LBB626_796:                            ;   in Loop: Header=BB626_690 Depth=2
	s_or_b32 exec_lo, exec_lo, s57
	s_delay_alu instid0(SALU_CYCLE_1)
	s_mov_b32 s57, exec_lo
	v_cmpx_lt_u32_e64 v112, v137
	s_cbranch_execnz .LBB626_863
.LBB626_797:                            ;   in Loop: Header=BB626_690 Depth=2
	s_or_b32 exec_lo, exec_lo, s57
	s_delay_alu instid0(SALU_CYCLE_1)
	s_mov_b32 s57, exec_lo
	v_cmpx_lt_u32_e64 v113, v137
	s_cbranch_execnz .LBB626_864
.LBB626_798:                            ;   in Loop: Header=BB626_690 Depth=2
	s_or_b32 exec_lo, exec_lo, s57
	s_delay_alu instid0(SALU_CYCLE_1)
	s_mov_b32 s57, exec_lo
	v_cmpx_lt_u32_e64 v114, v137
	s_cbranch_execnz .LBB626_865
.LBB626_799:                            ;   in Loop: Header=BB626_690 Depth=2
	s_or_b32 exec_lo, exec_lo, s57
	s_delay_alu instid0(SALU_CYCLE_1)
	s_mov_b32 s57, exec_lo
	v_cmpx_lt_u32_e64 v115, v137
	s_cbranch_execnz .LBB626_866
.LBB626_800:                            ;   in Loop: Header=BB626_690 Depth=2
	s_or_b32 exec_lo, exec_lo, s57
	s_delay_alu instid0(SALU_CYCLE_1)
	s_mov_b32 s57, exec_lo
	v_cmpx_lt_u32_e64 v116, v137
	s_cbranch_execnz .LBB626_867
.LBB626_801:                            ;   in Loop: Header=BB626_690 Depth=2
	s_or_b32 exec_lo, exec_lo, s57
	s_and_saveexec_b32 s30, vcc_lo
	s_cbranch_execnz .LBB626_868
.LBB626_802:                            ;   in Loop: Header=BB626_690 Depth=2
	s_or_b32 exec_lo, exec_lo, s30
	s_and_saveexec_b32 s30, s15
	s_cbranch_execnz .LBB626_869
.LBB626_803:                            ;   in Loop: Header=BB626_690 Depth=2
	s_or_b32 exec_lo, exec_lo, s30
	s_and_saveexec_b32 s30, s16
	s_cbranch_execnz .LBB626_870
.LBB626_804:                            ;   in Loop: Header=BB626_690 Depth=2
	s_or_b32 exec_lo, exec_lo, s30
	s_and_saveexec_b32 s30, s17
	s_cbranch_execnz .LBB626_871
.LBB626_805:                            ;   in Loop: Header=BB626_690 Depth=2
	s_or_b32 exec_lo, exec_lo, s30
	s_and_saveexec_b32 s30, s18
	s_cbranch_execnz .LBB626_872
.LBB626_806:                            ;   in Loop: Header=BB626_690 Depth=2
	s_or_b32 exec_lo, exec_lo, s30
	s_and_saveexec_b32 s30, s19
	s_cbranch_execnz .LBB626_873
.LBB626_807:                            ;   in Loop: Header=BB626_690 Depth=2
	s_or_b32 exec_lo, exec_lo, s30
	s_and_saveexec_b32 s30, s20
	s_cbranch_execnz .LBB626_874
.LBB626_808:                            ;   in Loop: Header=BB626_690 Depth=2
	s_or_b32 exec_lo, exec_lo, s30
	s_and_saveexec_b32 s30, s21
	s_cbranch_execnz .LBB626_875
.LBB626_809:                            ;   in Loop: Header=BB626_690 Depth=2
	s_or_b32 exec_lo, exec_lo, s30
	s_and_saveexec_b32 s30, s22
	s_cbranch_execnz .LBB626_876
.LBB626_810:                            ;   in Loop: Header=BB626_690 Depth=2
	s_or_b32 exec_lo, exec_lo, s30
	s_and_saveexec_b32 s30, s23
	s_cbranch_execnz .LBB626_877
.LBB626_811:                            ;   in Loop: Header=BB626_690 Depth=2
	s_or_b32 exec_lo, exec_lo, s30
	s_and_saveexec_b32 s30, s24
	s_cbranch_execnz .LBB626_878
.LBB626_812:                            ;   in Loop: Header=BB626_690 Depth=2
	s_or_b32 exec_lo, exec_lo, s30
	s_and_saveexec_b32 s30, s25
	s_cbranch_execnz .LBB626_879
.LBB626_813:                            ;   in Loop: Header=BB626_690 Depth=2
	s_or_b32 exec_lo, exec_lo, s30
	s_and_saveexec_b32 s30, s26
	s_cbranch_execnz .LBB626_880
.LBB626_814:                            ;   in Loop: Header=BB626_690 Depth=2
	s_or_b32 exec_lo, exec_lo, s30
	s_and_saveexec_b32 s30, s27
	s_cbranch_execnz .LBB626_881
.LBB626_815:                            ;   in Loop: Header=BB626_690 Depth=2
	s_or_b32 exec_lo, exec_lo, s30
	s_and_saveexec_b32 s30, s28
	s_cbranch_execnz .LBB626_882
.LBB626_816:                            ;   in Loop: Header=BB626_690 Depth=2
	s_or_b32 exec_lo, exec_lo, s30
	s_and_saveexec_b32 s30, s29
	s_cbranch_execz .LBB626_818
.LBB626_817:                            ;   in Loop: Header=BB626_690 Depth=2
	ds_load_b32 v62, v93 offset:16384
	s_wait_dscnt 0x0
	v_lshrrev_b32_e32 v62, s49, v62
	s_delay_alu instid0(VALU_DEP_1)
	v_and_b32_e32 v121, s48, v62
.LBB626_818:                            ;   in Loop: Header=BB626_690 Depth=2
	s_or_b32 exec_lo, exec_lo, s30
	v_dual_lshlrev_b32 v62, 3, v162 :: v_dual_lshlrev_b32 v138, 3, v149
	s_wait_loadcnt 0x0
	s_wait_storecnt 0x0
	s_barrier_signal -1
	s_barrier_wait -1
	ds_store_b64 v62, v[60:61] offset:1024
	v_dual_lshlrev_b32 v62, 3, v158 :: v_dual_lshlrev_b32 v139, 3, v148
	v_lshlrev_b32_e32 v63, 3, v154
	v_lshlrev_b32_e32 v137, 3, v150
	ds_store_b64 v62, v[58:59] offset:1024
	ds_store_b64 v63, v[56:57] offset:1024
	;; [unrolled: 1-line block ×5, first 2 shown]
	v_dual_lshlrev_b32 v62, 3, v146 :: v_dual_lshlrev_b32 v139, 3, v141
	v_dual_lshlrev_b32 v63, 3, v145 :: v_dual_lshlrev_b32 v137, 3, v144
	v_lshlrev_b32_e32 v138, 3, v142
	ds_store_b64 v62, v[48:49] offset:1024
	ds_store_b64 v63, v[46:47] offset:1024
	;; [unrolled: 1-line block ×5, first 2 shown]
	v_lshlrev_b32_e32 v62, 3, v65
	v_dual_lshlrev_b32 v63, 3, v69 :: v_dual_lshlrev_b32 v65, 3, v68
	v_dual_lshlrev_b32 v67, 3, v67 :: v_dual_lshlrev_b32 v66, 3, v66
	ds_store_b64 v62, v[38:39] offset:1024
	ds_store_b64 v63, v[36:37] offset:1024
	;; [unrolled: 1-line block ×5, first 2 shown]
	s_wait_dscnt 0x0
	s_barrier_signal -1
	s_barrier_wait -1
	s_and_saveexec_b32 s30, vcc_lo
	s_cbranch_execnz .LBB626_883
; %bb.819:                              ;   in Loop: Header=BB626_690 Depth=2
	s_or_b32 exec_lo, exec_lo, s30
	s_and_saveexec_b32 s30, s15
	s_cbranch_execnz .LBB626_884
.LBB626_820:                            ;   in Loop: Header=BB626_690 Depth=2
	s_or_b32 exec_lo, exec_lo, s30
	s_and_saveexec_b32 s15, s16
	s_cbranch_execnz .LBB626_885
.LBB626_821:                            ;   in Loop: Header=BB626_690 Depth=2
	s_or_b32 exec_lo, exec_lo, s15
	s_and_saveexec_b32 s15, s17
	s_cbranch_execnz .LBB626_886
.LBB626_822:                            ;   in Loop: Header=BB626_690 Depth=2
	s_or_b32 exec_lo, exec_lo, s15
	s_and_saveexec_b32 s15, s18
	s_cbranch_execnz .LBB626_887
.LBB626_823:                            ;   in Loop: Header=BB626_690 Depth=2
	s_or_b32 exec_lo, exec_lo, s15
	s_and_saveexec_b32 s15, s19
	s_cbranch_execnz .LBB626_888
.LBB626_824:                            ;   in Loop: Header=BB626_690 Depth=2
	s_or_b32 exec_lo, exec_lo, s15
	s_and_saveexec_b32 s15, s20
	s_cbranch_execnz .LBB626_889
.LBB626_825:                            ;   in Loop: Header=BB626_690 Depth=2
	s_or_b32 exec_lo, exec_lo, s15
	s_and_saveexec_b32 s15, s21
	s_cbranch_execnz .LBB626_890
.LBB626_826:                            ;   in Loop: Header=BB626_690 Depth=2
	s_or_b32 exec_lo, exec_lo, s15
	s_and_saveexec_b32 s15, s22
	s_cbranch_execnz .LBB626_891
.LBB626_827:                            ;   in Loop: Header=BB626_690 Depth=2
	s_or_b32 exec_lo, exec_lo, s15
	s_and_saveexec_b32 s15, s23
	s_cbranch_execnz .LBB626_892
.LBB626_828:                            ;   in Loop: Header=BB626_690 Depth=2
	s_or_b32 exec_lo, exec_lo, s15
	s_and_saveexec_b32 s15, s24
	s_cbranch_execnz .LBB626_893
.LBB626_829:                            ;   in Loop: Header=BB626_690 Depth=2
	s_or_b32 exec_lo, exec_lo, s15
	s_and_saveexec_b32 s15, s25
	s_cbranch_execnz .LBB626_894
.LBB626_830:                            ;   in Loop: Header=BB626_690 Depth=2
	s_or_b32 exec_lo, exec_lo, s15
	s_and_saveexec_b32 s15, s26
	s_cbranch_execnz .LBB626_895
.LBB626_831:                            ;   in Loop: Header=BB626_690 Depth=2
	s_or_b32 exec_lo, exec_lo, s15
	s_and_saveexec_b32 s15, s27
	s_cbranch_execnz .LBB626_896
.LBB626_832:                            ;   in Loop: Header=BB626_690 Depth=2
	s_or_b32 exec_lo, exec_lo, s15
	s_and_saveexec_b32 s15, s28
	s_cbranch_execnz .LBB626_897
.LBB626_833:                            ;   in Loop: Header=BB626_690 Depth=2
	s_or_b32 exec_lo, exec_lo, s15
	s_and_saveexec_b32 s15, s29
	s_cbranch_execz .LBB626_835
.LBB626_834:                            ;   in Loop: Header=BB626_690 Depth=2
	v_dual_lshlrev_b32 v62, 2, v121 :: v_dual_add_nc_u32 v63, v93, v4
	ds_load_b32 v65, v62
	ds_load_b64 v[62:63], v63 offset:31744
	s_wait_dscnt 0x1
	v_add_nc_u32_e32 v65, v65, v83
	s_wait_dscnt 0x0
	global_store_b64 v65, v[62:63], s[44:45] scale_offset
.LBB626_835:                            ;   in Loop: Header=BB626_690 Depth=2
	s_wait_xcnt 0x0
	s_or_b32 exec_lo, exec_lo, s15
	s_wait_storecnt 0x0
	s_barrier_signal -1
	s_barrier_wait -1
	s_and_saveexec_b32 s15, s0
	s_cbranch_execz .LBB626_689
; %bb.836:                              ;   in Loop: Header=BB626_690 Depth=2
	ds_load_b32 v62, v4
	s_wait_dscnt 0x0
	v_add_nc_u32_e32 v62, v62, v64
	ds_store_b32 v4, v62
	s_branch .LBB626_689
.LBB626_837:                            ;   in Loop: Header=BB626_690 Depth=2
	ds_load_b32 v62, v93 offset:1024
	s_wait_dscnt 0x0
	v_lshrrev_b32_e32 v63, s49, v62
	v_xor_b32_e32 v62, 0x80000000, v62
	s_delay_alu instid0(VALU_DEP_2) | instskip(NEXT) | instid1(VALU_DEP_1)
	v_and_b32_e32 v63, s48, v63
	v_lshlrev_b32_e32 v63, 2, v63
	ds_load_b32 v63, v63
	s_wait_dscnt 0x0
	v_add_nc_u32_e32 v63, v63, v2
	global_store_b32 v63, v62, s[38:39] scale_offset
	s_wait_xcnt 0x0
	s_or_b32 exec_lo, exec_lo, s15
	v_cmp_lt_u32_e64 s15, v3, v137
	s_and_saveexec_b32 s16, s15
	s_cbranch_execz .LBB626_770
.LBB626_838:                            ;   in Loop: Header=BB626_690 Depth=2
	ds_load_b32 v62, v93 offset:2048
	s_wait_dscnt 0x0
	v_lshrrev_b32_e32 v63, s49, v62
	v_xor_b32_e32 v62, 0x80000000, v62
	s_delay_alu instid0(VALU_DEP_2) | instskip(NEXT) | instid1(VALU_DEP_1)
	v_and_b32_e32 v63, s48, v63
	v_lshlrev_b32_e32 v63, 2, v63
	ds_load_b32 v63, v63
	s_wait_dscnt 0x0
	v_add_nc_u32_e32 v63, v63, v3
	global_store_b32 v63, v62, s[38:39] scale_offset
	s_wait_xcnt 0x0
	s_or_b32 exec_lo, exec_lo, s16
	v_cmp_lt_u32_e64 s16, v70, v137
	s_and_saveexec_b32 s17, s16
	s_cbranch_execz .LBB626_771
.LBB626_839:                            ;   in Loop: Header=BB626_690 Depth=2
	ds_load_b32 v62, v93 offset:3072
	s_wait_dscnt 0x0
	v_lshrrev_b32_e32 v63, s49, v62
	v_xor_b32_e32 v62, 0x80000000, v62
	s_delay_alu instid0(VALU_DEP_2) | instskip(NEXT) | instid1(VALU_DEP_1)
	v_and_b32_e32 v63, s48, v63
	v_lshlrev_b32_e32 v63, 2, v63
	ds_load_b32 v63, v63
	s_wait_dscnt 0x0
	v_add_nc_u32_e32 v63, v63, v70
	global_store_b32 v63, v62, s[38:39] scale_offset
	s_wait_xcnt 0x0
	s_or_b32 exec_lo, exec_lo, s17
	v_cmp_lt_u32_e64 s17, v71, v137
	s_and_saveexec_b32 s18, s17
	s_cbranch_execz .LBB626_772
.LBB626_840:                            ;   in Loop: Header=BB626_690 Depth=2
	ds_load_b32 v62, v93 offset:4096
	s_wait_dscnt 0x0
	v_lshrrev_b32_e32 v63, s49, v62
	v_xor_b32_e32 v62, 0x80000000, v62
	s_delay_alu instid0(VALU_DEP_2) | instskip(NEXT) | instid1(VALU_DEP_1)
	v_and_b32_e32 v63, s48, v63
	v_lshlrev_b32_e32 v63, 2, v63
	ds_load_b32 v63, v63
	s_wait_dscnt 0x0
	v_add_nc_u32_e32 v63, v63, v71
	global_store_b32 v63, v62, s[38:39] scale_offset
	s_wait_xcnt 0x0
	s_or_b32 exec_lo, exec_lo, s18
	v_cmp_lt_u32_e64 s18, v72, v137
	s_and_saveexec_b32 s19, s18
	s_cbranch_execz .LBB626_773
.LBB626_841:                            ;   in Loop: Header=BB626_690 Depth=2
	ds_load_b32 v62, v93 offset:5120
	s_wait_dscnt 0x0
	v_lshrrev_b32_e32 v63, s49, v62
	v_xor_b32_e32 v62, 0x80000000, v62
	s_delay_alu instid0(VALU_DEP_2) | instskip(NEXT) | instid1(VALU_DEP_1)
	v_and_b32_e32 v63, s48, v63
	v_lshlrev_b32_e32 v63, 2, v63
	ds_load_b32 v63, v63
	s_wait_dscnt 0x0
	v_add_nc_u32_e32 v63, v63, v72
	global_store_b32 v63, v62, s[38:39] scale_offset
	s_wait_xcnt 0x0
	s_or_b32 exec_lo, exec_lo, s19
	v_cmp_lt_u32_e64 s19, v73, v137
	s_and_saveexec_b32 s20, s19
	s_cbranch_execz .LBB626_774
.LBB626_842:                            ;   in Loop: Header=BB626_690 Depth=2
	ds_load_b32 v62, v93 offset:6144
	s_wait_dscnt 0x0
	v_lshrrev_b32_e32 v63, s49, v62
	v_xor_b32_e32 v62, 0x80000000, v62
	s_delay_alu instid0(VALU_DEP_2) | instskip(NEXT) | instid1(VALU_DEP_1)
	v_and_b32_e32 v63, s48, v63
	v_lshlrev_b32_e32 v63, 2, v63
	ds_load_b32 v63, v63
	s_wait_dscnt 0x0
	v_add_nc_u32_e32 v63, v63, v73
	global_store_b32 v63, v62, s[38:39] scale_offset
	s_wait_xcnt 0x0
	s_or_b32 exec_lo, exec_lo, s20
	v_cmp_lt_u32_e64 s20, v74, v137
	s_and_saveexec_b32 s21, s20
	s_cbranch_execz .LBB626_775
.LBB626_843:                            ;   in Loop: Header=BB626_690 Depth=2
	ds_load_b32 v62, v93 offset:7168
	s_wait_dscnt 0x0
	v_lshrrev_b32_e32 v63, s49, v62
	v_xor_b32_e32 v62, 0x80000000, v62
	s_delay_alu instid0(VALU_DEP_2) | instskip(NEXT) | instid1(VALU_DEP_1)
	v_and_b32_e32 v63, s48, v63
	v_lshlrev_b32_e32 v63, 2, v63
	ds_load_b32 v63, v63
	s_wait_dscnt 0x0
	v_add_nc_u32_e32 v63, v63, v74
	global_store_b32 v63, v62, s[38:39] scale_offset
	s_wait_xcnt 0x0
	s_or_b32 exec_lo, exec_lo, s21
	v_cmp_lt_u32_e64 s21, v75, v137
	s_and_saveexec_b32 s22, s21
	s_cbranch_execz .LBB626_776
.LBB626_844:                            ;   in Loop: Header=BB626_690 Depth=2
	ds_load_b32 v62, v93 offset:8192
	s_wait_dscnt 0x0
	v_lshrrev_b32_e32 v63, s49, v62
	v_xor_b32_e32 v62, 0x80000000, v62
	s_delay_alu instid0(VALU_DEP_2) | instskip(NEXT) | instid1(VALU_DEP_1)
	v_and_b32_e32 v63, s48, v63
	v_lshlrev_b32_e32 v63, 2, v63
	ds_load_b32 v63, v63
	s_wait_dscnt 0x0
	v_add_nc_u32_e32 v63, v63, v75
	global_store_b32 v63, v62, s[38:39] scale_offset
	s_wait_xcnt 0x0
	s_or_b32 exec_lo, exec_lo, s22
	v_cmp_lt_u32_e64 s22, v76, v137
	s_and_saveexec_b32 s23, s22
	s_cbranch_execz .LBB626_777
.LBB626_845:                            ;   in Loop: Header=BB626_690 Depth=2
	ds_load_b32 v62, v93 offset:9216
	s_wait_dscnt 0x0
	v_lshrrev_b32_e32 v63, s49, v62
	v_xor_b32_e32 v62, 0x80000000, v62
	s_delay_alu instid0(VALU_DEP_2) | instskip(NEXT) | instid1(VALU_DEP_1)
	v_and_b32_e32 v63, s48, v63
	v_lshlrev_b32_e32 v63, 2, v63
	ds_load_b32 v63, v63
	s_wait_dscnt 0x0
	v_add_nc_u32_e32 v63, v63, v76
	global_store_b32 v63, v62, s[38:39] scale_offset
	s_wait_xcnt 0x0
	s_or_b32 exec_lo, exec_lo, s23
	v_cmp_lt_u32_e64 s23, v77, v137
	s_and_saveexec_b32 s24, s23
	s_cbranch_execz .LBB626_778
.LBB626_846:                            ;   in Loop: Header=BB626_690 Depth=2
	ds_load_b32 v62, v93 offset:10240
	s_wait_dscnt 0x0
	v_lshrrev_b32_e32 v63, s49, v62
	v_xor_b32_e32 v62, 0x80000000, v62
	s_delay_alu instid0(VALU_DEP_2) | instskip(NEXT) | instid1(VALU_DEP_1)
	v_and_b32_e32 v63, s48, v63
	v_lshlrev_b32_e32 v63, 2, v63
	ds_load_b32 v63, v63
	s_wait_dscnt 0x0
	v_add_nc_u32_e32 v63, v63, v77
	global_store_b32 v63, v62, s[38:39] scale_offset
	s_wait_xcnt 0x0
	s_or_b32 exec_lo, exec_lo, s24
	v_cmp_lt_u32_e64 s24, v78, v137
	s_and_saveexec_b32 s25, s24
	s_cbranch_execz .LBB626_779
.LBB626_847:                            ;   in Loop: Header=BB626_690 Depth=2
	ds_load_b32 v62, v93 offset:11264
	s_wait_dscnt 0x0
	v_lshrrev_b32_e32 v63, s49, v62
	v_xor_b32_e32 v62, 0x80000000, v62
	s_delay_alu instid0(VALU_DEP_2) | instskip(NEXT) | instid1(VALU_DEP_1)
	v_and_b32_e32 v63, s48, v63
	v_lshlrev_b32_e32 v63, 2, v63
	ds_load_b32 v63, v63
	s_wait_dscnt 0x0
	v_add_nc_u32_e32 v63, v63, v78
	global_store_b32 v63, v62, s[38:39] scale_offset
	s_wait_xcnt 0x0
	s_or_b32 exec_lo, exec_lo, s25
	v_cmp_lt_u32_e64 s25, v79, v137
	s_and_saveexec_b32 s26, s25
	s_cbranch_execz .LBB626_780
.LBB626_848:                            ;   in Loop: Header=BB626_690 Depth=2
	ds_load_b32 v62, v93 offset:12288
	s_wait_dscnt 0x0
	v_lshrrev_b32_e32 v63, s49, v62
	v_xor_b32_e32 v62, 0x80000000, v62
	s_delay_alu instid0(VALU_DEP_2) | instskip(NEXT) | instid1(VALU_DEP_1)
	v_and_b32_e32 v63, s48, v63
	v_lshlrev_b32_e32 v63, 2, v63
	ds_load_b32 v63, v63
	s_wait_dscnt 0x0
	v_add_nc_u32_e32 v63, v63, v79
	global_store_b32 v63, v62, s[38:39] scale_offset
	s_wait_xcnt 0x0
	s_or_b32 exec_lo, exec_lo, s26
	v_cmp_lt_u32_e64 s26, v80, v137
	s_and_saveexec_b32 s27, s26
	s_cbranch_execz .LBB626_781
.LBB626_849:                            ;   in Loop: Header=BB626_690 Depth=2
	ds_load_b32 v62, v93 offset:13312
	s_wait_dscnt 0x0
	v_lshrrev_b32_e32 v63, s49, v62
	v_xor_b32_e32 v62, 0x80000000, v62
	s_delay_alu instid0(VALU_DEP_2) | instskip(NEXT) | instid1(VALU_DEP_1)
	v_and_b32_e32 v63, s48, v63
	v_lshlrev_b32_e32 v63, 2, v63
	ds_load_b32 v63, v63
	s_wait_dscnt 0x0
	v_add_nc_u32_e32 v63, v63, v80
	global_store_b32 v63, v62, s[38:39] scale_offset
	s_wait_xcnt 0x0
	s_or_b32 exec_lo, exec_lo, s27
	v_cmp_lt_u32_e64 s27, v81, v137
	s_and_saveexec_b32 s28, s27
	s_cbranch_execz .LBB626_782
.LBB626_850:                            ;   in Loop: Header=BB626_690 Depth=2
	ds_load_b32 v62, v93 offset:14336
	s_wait_dscnt 0x0
	v_lshrrev_b32_e32 v63, s49, v62
	v_xor_b32_e32 v62, 0x80000000, v62
	s_delay_alu instid0(VALU_DEP_2) | instskip(NEXT) | instid1(VALU_DEP_1)
	v_and_b32_e32 v63, s48, v63
	v_lshlrev_b32_e32 v63, 2, v63
	ds_load_b32 v63, v63
	s_wait_dscnt 0x0
	v_add_nc_u32_e32 v63, v63, v81
	global_store_b32 v63, v62, s[38:39] scale_offset
	s_wait_xcnt 0x0
	s_or_b32 exec_lo, exec_lo, s28
	v_cmp_lt_u32_e64 s28, v82, v137
	s_and_saveexec_b32 s29, s28
	s_cbranch_execz .LBB626_783
.LBB626_851:                            ;   in Loop: Header=BB626_690 Depth=2
	ds_load_b32 v62, v93 offset:15360
	s_wait_dscnt 0x0
	v_lshrrev_b32_e32 v63, s49, v62
	v_xor_b32_e32 v62, 0x80000000, v62
	s_delay_alu instid0(VALU_DEP_2) | instskip(NEXT) | instid1(VALU_DEP_1)
	v_and_b32_e32 v63, s48, v63
	v_lshlrev_b32_e32 v63, 2, v63
	ds_load_b32 v63, v63
	s_wait_dscnt 0x0
	v_add_nc_u32_e32 v63, v63, v82
	global_store_b32 v63, v62, s[38:39] scale_offset
	s_wait_xcnt 0x0
	s_or_b32 exec_lo, exec_lo, s29
	v_cmp_lt_u32_e64 s29, v83, v137
	s_and_saveexec_b32 s57, s29
	s_cbranch_execnz .LBB626_784
	s_branch .LBB626_785
.LBB626_852:                            ;   in Loop: Header=BB626_690 Depth=2
	global_load_b64 v[60:61], v[62:63], off
	s_wait_xcnt 0x0
	s_or_b32 exec_lo, exec_lo, s30
	s_delay_alu instid0(SALU_CYCLE_1)
	s_mov_b32 s57, exec_lo
	v_cmpx_lt_u32_e64 v102, v137
	s_cbranch_execz .LBB626_787
.LBB626_853:                            ;   in Loop: Header=BB626_690 Depth=2
	global_load_b64 v[58:59], v[62:63], off offset:256
	s_wait_xcnt 0x0
	s_or_b32 exec_lo, exec_lo, s57
	s_delay_alu instid0(SALU_CYCLE_1)
	s_mov_b32 s57, exec_lo
	v_cmpx_lt_u32_e64 v103, v137
	s_cbranch_execz .LBB626_788
.LBB626_854:                            ;   in Loop: Header=BB626_690 Depth=2
	global_load_b64 v[56:57], v[62:63], off offset:512
	s_wait_xcnt 0x0
	s_or_b32 exec_lo, exec_lo, s57
	s_delay_alu instid0(SALU_CYCLE_1)
	s_mov_b32 s57, exec_lo
	v_cmpx_lt_u32_e64 v104, v137
	s_cbranch_execz .LBB626_789
.LBB626_855:                            ;   in Loop: Header=BB626_690 Depth=2
	global_load_b64 v[54:55], v[62:63], off offset:768
	s_wait_xcnt 0x0
	s_or_b32 exec_lo, exec_lo, s57
	s_delay_alu instid0(SALU_CYCLE_1)
	s_mov_b32 s57, exec_lo
	v_cmpx_lt_u32_e64 v105, v137
	s_cbranch_execz .LBB626_790
.LBB626_856:                            ;   in Loop: Header=BB626_690 Depth=2
	global_load_b64 v[52:53], v[62:63], off offset:1024
	s_wait_xcnt 0x0
	s_or_b32 exec_lo, exec_lo, s57
	s_delay_alu instid0(SALU_CYCLE_1)
	s_mov_b32 s57, exec_lo
	v_cmpx_lt_u32_e64 v106, v137
	s_cbranch_execz .LBB626_791
.LBB626_857:                            ;   in Loop: Header=BB626_690 Depth=2
	global_load_b64 v[50:51], v[62:63], off offset:1280
	s_wait_xcnt 0x0
	s_or_b32 exec_lo, exec_lo, s57
	s_delay_alu instid0(SALU_CYCLE_1)
	s_mov_b32 s57, exec_lo
	v_cmpx_lt_u32_e64 v107, v137
	s_cbranch_execz .LBB626_792
.LBB626_858:                            ;   in Loop: Header=BB626_690 Depth=2
	global_load_b64 v[48:49], v[62:63], off offset:1536
	s_wait_xcnt 0x0
	s_or_b32 exec_lo, exec_lo, s57
	s_delay_alu instid0(SALU_CYCLE_1)
	s_mov_b32 s57, exec_lo
	v_cmpx_lt_u32_e64 v108, v137
	s_cbranch_execz .LBB626_793
.LBB626_859:                            ;   in Loop: Header=BB626_690 Depth=2
	global_load_b64 v[46:47], v[62:63], off offset:1792
	s_wait_xcnt 0x0
	s_or_b32 exec_lo, exec_lo, s57
	s_delay_alu instid0(SALU_CYCLE_1)
	s_mov_b32 s57, exec_lo
	v_cmpx_lt_u32_e64 v109, v137
	s_cbranch_execz .LBB626_794
.LBB626_860:                            ;   in Loop: Header=BB626_690 Depth=2
	global_load_b64 v[44:45], v[62:63], off offset:2048
	s_wait_xcnt 0x0
	s_or_b32 exec_lo, exec_lo, s57
	s_delay_alu instid0(SALU_CYCLE_1)
	s_mov_b32 s57, exec_lo
	v_cmpx_lt_u32_e64 v110, v137
	s_cbranch_execz .LBB626_795
.LBB626_861:                            ;   in Loop: Header=BB626_690 Depth=2
	global_load_b64 v[42:43], v[62:63], off offset:2304
	s_wait_xcnt 0x0
	s_or_b32 exec_lo, exec_lo, s57
	s_delay_alu instid0(SALU_CYCLE_1)
	s_mov_b32 s57, exec_lo
	v_cmpx_lt_u32_e64 v111, v137
	s_cbranch_execz .LBB626_796
.LBB626_862:                            ;   in Loop: Header=BB626_690 Depth=2
	global_load_b64 v[40:41], v[62:63], off offset:2560
	s_wait_xcnt 0x0
	s_or_b32 exec_lo, exec_lo, s57
	s_delay_alu instid0(SALU_CYCLE_1)
	s_mov_b32 s57, exec_lo
	v_cmpx_lt_u32_e64 v112, v137
	s_cbranch_execz .LBB626_797
.LBB626_863:                            ;   in Loop: Header=BB626_690 Depth=2
	global_load_b64 v[38:39], v[62:63], off offset:2816
	s_wait_xcnt 0x0
	s_or_b32 exec_lo, exec_lo, s57
	s_delay_alu instid0(SALU_CYCLE_1)
	s_mov_b32 s57, exec_lo
	v_cmpx_lt_u32_e64 v113, v137
	s_cbranch_execz .LBB626_798
.LBB626_864:                            ;   in Loop: Header=BB626_690 Depth=2
	global_load_b64 v[36:37], v[62:63], off offset:3072
	s_wait_xcnt 0x0
	s_or_b32 exec_lo, exec_lo, s57
	s_delay_alu instid0(SALU_CYCLE_1)
	s_mov_b32 s57, exec_lo
	v_cmpx_lt_u32_e64 v114, v137
	s_cbranch_execz .LBB626_799
.LBB626_865:                            ;   in Loop: Header=BB626_690 Depth=2
	global_load_b64 v[34:35], v[62:63], off offset:3328
	s_wait_xcnt 0x0
	s_or_b32 exec_lo, exec_lo, s57
	s_delay_alu instid0(SALU_CYCLE_1)
	s_mov_b32 s57, exec_lo
	v_cmpx_lt_u32_e64 v115, v137
	s_cbranch_execz .LBB626_800
.LBB626_866:                            ;   in Loop: Header=BB626_690 Depth=2
	global_load_b64 v[32:33], v[62:63], off offset:3584
	s_wait_xcnt 0x0
	s_or_b32 exec_lo, exec_lo, s57
	s_delay_alu instid0(SALU_CYCLE_1)
	s_mov_b32 s57, exec_lo
	v_cmpx_lt_u32_e64 v116, v137
	s_cbranch_execz .LBB626_801
.LBB626_867:                            ;   in Loop: Header=BB626_690 Depth=2
	global_load_b64 v[30:31], v[62:63], off offset:3840
	s_wait_xcnt 0x0
	s_or_b32 exec_lo, exec_lo, s57
	s_and_saveexec_b32 s30, vcc_lo
	s_cbranch_execz .LBB626_802
.LBB626_868:                            ;   in Loop: Header=BB626_690 Depth=2
	ds_load_b32 v62, v93 offset:1024
	s_wait_dscnt 0x0
	v_lshrrev_b32_e32 v62, s49, v62
	s_delay_alu instid0(VALU_DEP_1)
	v_and_b32_e32 v136, s48, v62
	s_or_b32 exec_lo, exec_lo, s30
	s_and_saveexec_b32 s30, s15
	s_cbranch_execz .LBB626_803
.LBB626_869:                            ;   in Loop: Header=BB626_690 Depth=2
	ds_load_b32 v62, v93 offset:2048
	s_wait_dscnt 0x0
	v_lshrrev_b32_e32 v62, s49, v62
	s_delay_alu instid0(VALU_DEP_1)
	v_and_b32_e32 v135, s48, v62
	s_or_b32 exec_lo, exec_lo, s30
	s_and_saveexec_b32 s30, s16
	s_cbranch_execz .LBB626_804
.LBB626_870:                            ;   in Loop: Header=BB626_690 Depth=2
	ds_load_b32 v62, v93 offset:3072
	s_wait_dscnt 0x0
	v_lshrrev_b32_e32 v62, s49, v62
	s_delay_alu instid0(VALU_DEP_1)
	v_and_b32_e32 v134, s48, v62
	s_or_b32 exec_lo, exec_lo, s30
	s_and_saveexec_b32 s30, s17
	s_cbranch_execz .LBB626_805
.LBB626_871:                            ;   in Loop: Header=BB626_690 Depth=2
	ds_load_b32 v62, v93 offset:4096
	s_wait_dscnt 0x0
	v_lshrrev_b32_e32 v62, s49, v62
	s_delay_alu instid0(VALU_DEP_1)
	v_and_b32_e32 v133, s48, v62
	s_or_b32 exec_lo, exec_lo, s30
	s_and_saveexec_b32 s30, s18
	s_cbranch_execz .LBB626_806
.LBB626_872:                            ;   in Loop: Header=BB626_690 Depth=2
	ds_load_b32 v62, v93 offset:5120
	s_wait_dscnt 0x0
	v_lshrrev_b32_e32 v62, s49, v62
	s_delay_alu instid0(VALU_DEP_1)
	v_and_b32_e32 v132, s48, v62
	s_or_b32 exec_lo, exec_lo, s30
	s_and_saveexec_b32 s30, s19
	s_cbranch_execz .LBB626_807
.LBB626_873:                            ;   in Loop: Header=BB626_690 Depth=2
	ds_load_b32 v62, v93 offset:6144
	s_wait_dscnt 0x0
	v_lshrrev_b32_e32 v62, s49, v62
	s_delay_alu instid0(VALU_DEP_1)
	v_and_b32_e32 v131, s48, v62
	s_or_b32 exec_lo, exec_lo, s30
	s_and_saveexec_b32 s30, s20
	s_cbranch_execz .LBB626_808
.LBB626_874:                            ;   in Loop: Header=BB626_690 Depth=2
	ds_load_b32 v62, v93 offset:7168
	s_wait_dscnt 0x0
	v_lshrrev_b32_e32 v62, s49, v62
	s_delay_alu instid0(VALU_DEP_1)
	v_and_b32_e32 v130, s48, v62
	s_or_b32 exec_lo, exec_lo, s30
	s_and_saveexec_b32 s30, s21
	s_cbranch_execz .LBB626_809
.LBB626_875:                            ;   in Loop: Header=BB626_690 Depth=2
	ds_load_b32 v62, v93 offset:8192
	s_wait_dscnt 0x0
	v_lshrrev_b32_e32 v62, s49, v62
	s_delay_alu instid0(VALU_DEP_1)
	v_and_b32_e32 v129, s48, v62
	s_or_b32 exec_lo, exec_lo, s30
	s_and_saveexec_b32 s30, s22
	s_cbranch_execz .LBB626_810
.LBB626_876:                            ;   in Loop: Header=BB626_690 Depth=2
	ds_load_b32 v62, v93 offset:9216
	s_wait_dscnt 0x0
	v_lshrrev_b32_e32 v62, s49, v62
	s_delay_alu instid0(VALU_DEP_1)
	v_and_b32_e32 v128, s48, v62
	s_or_b32 exec_lo, exec_lo, s30
	s_and_saveexec_b32 s30, s23
	s_cbranch_execz .LBB626_811
.LBB626_877:                            ;   in Loop: Header=BB626_690 Depth=2
	ds_load_b32 v62, v93 offset:10240
	s_wait_dscnt 0x0
	v_lshrrev_b32_e32 v62, s49, v62
	s_delay_alu instid0(VALU_DEP_1)
	v_and_b32_e32 v127, s48, v62
	s_or_b32 exec_lo, exec_lo, s30
	s_and_saveexec_b32 s30, s24
	s_cbranch_execz .LBB626_812
.LBB626_878:                            ;   in Loop: Header=BB626_690 Depth=2
	ds_load_b32 v62, v93 offset:11264
	s_wait_dscnt 0x0
	v_lshrrev_b32_e32 v62, s49, v62
	s_delay_alu instid0(VALU_DEP_1)
	v_and_b32_e32 v126, s48, v62
	s_or_b32 exec_lo, exec_lo, s30
	s_and_saveexec_b32 s30, s25
	s_cbranch_execz .LBB626_813
.LBB626_879:                            ;   in Loop: Header=BB626_690 Depth=2
	ds_load_b32 v62, v93 offset:12288
	s_wait_dscnt 0x0
	v_lshrrev_b32_e32 v62, s49, v62
	s_delay_alu instid0(VALU_DEP_1)
	v_and_b32_e32 v125, s48, v62
	s_or_b32 exec_lo, exec_lo, s30
	s_and_saveexec_b32 s30, s26
	s_cbranch_execz .LBB626_814
.LBB626_880:                            ;   in Loop: Header=BB626_690 Depth=2
	ds_load_b32 v62, v93 offset:13312
	s_wait_dscnt 0x0
	v_lshrrev_b32_e32 v62, s49, v62
	s_delay_alu instid0(VALU_DEP_1)
	v_and_b32_e32 v124, s48, v62
	s_or_b32 exec_lo, exec_lo, s30
	s_and_saveexec_b32 s30, s27
	s_cbranch_execz .LBB626_815
.LBB626_881:                            ;   in Loop: Header=BB626_690 Depth=2
	ds_load_b32 v62, v93 offset:14336
	s_wait_dscnt 0x0
	v_lshrrev_b32_e32 v62, s49, v62
	s_delay_alu instid0(VALU_DEP_1)
	v_and_b32_e32 v123, s48, v62
	s_or_b32 exec_lo, exec_lo, s30
	s_and_saveexec_b32 s30, s28
	s_cbranch_execz .LBB626_816
.LBB626_882:                            ;   in Loop: Header=BB626_690 Depth=2
	ds_load_b32 v62, v93 offset:15360
	s_wait_dscnt 0x0
	v_lshrrev_b32_e32 v62, s49, v62
	s_delay_alu instid0(VALU_DEP_1)
	v_and_b32_e32 v122, s48, v62
	s_or_b32 exec_lo, exec_lo, s30
	s_and_saveexec_b32 s30, s29
	s_cbranch_execnz .LBB626_817
	s_branch .LBB626_818
.LBB626_883:                            ;   in Loop: Header=BB626_690 Depth=2
	v_lshlrev_b32_e32 v62, 2, v136
	v_add_nc_u32_e32 v63, v93, v4
	ds_load_b32 v65, v62
	ds_load_b64 v[62:63], v63 offset:1024
	s_wait_dscnt 0x1
	v_add_nc_u32_e32 v65, v65, v2
	s_wait_dscnt 0x0
	global_store_b64 v65, v[62:63], s[44:45] scale_offset
	s_wait_xcnt 0x0
	s_or_b32 exec_lo, exec_lo, s30
	s_and_saveexec_b32 s30, s15
	s_cbranch_execz .LBB626_820
.LBB626_884:                            ;   in Loop: Header=BB626_690 Depth=2
	v_dual_lshlrev_b32 v62, 2, v135 :: v_dual_add_nc_u32 v63, v93, v4
	ds_load_b32 v65, v62
	ds_load_b64 v[62:63], v63 offset:3072
	s_wait_dscnt 0x1
	v_add_nc_u32_e32 v65, v65, v3
	s_wait_dscnt 0x0
	global_store_b64 v65, v[62:63], s[44:45] scale_offset
	s_wait_xcnt 0x0
	s_or_b32 exec_lo, exec_lo, s30
	s_and_saveexec_b32 s15, s16
	s_cbranch_execz .LBB626_821
.LBB626_885:                            ;   in Loop: Header=BB626_690 Depth=2
	v_dual_lshlrev_b32 v62, 2, v134 :: v_dual_add_nc_u32 v63, v93, v4
	ds_load_b32 v65, v62
	ds_load_b64 v[62:63], v63 offset:5120
	s_wait_dscnt 0x1
	v_add_nc_u32_e32 v65, v65, v70
	s_wait_dscnt 0x0
	global_store_b64 v65, v[62:63], s[44:45] scale_offset
	s_wait_xcnt 0x0
	s_or_b32 exec_lo, exec_lo, s15
	s_and_saveexec_b32 s15, s17
	s_cbranch_execz .LBB626_822
.LBB626_886:                            ;   in Loop: Header=BB626_690 Depth=2
	v_dual_lshlrev_b32 v62, 2, v133 :: v_dual_add_nc_u32 v63, v93, v4
	ds_load_b32 v65, v62
	ds_load_b64 v[62:63], v63 offset:7168
	s_wait_dscnt 0x1
	v_add_nc_u32_e32 v65, v65, v71
	s_wait_dscnt 0x0
	global_store_b64 v65, v[62:63], s[44:45] scale_offset
	s_wait_xcnt 0x0
	s_or_b32 exec_lo, exec_lo, s15
	s_and_saveexec_b32 s15, s18
	s_cbranch_execz .LBB626_823
.LBB626_887:                            ;   in Loop: Header=BB626_690 Depth=2
	v_lshlrev_b32_e32 v62, 2, v132
	v_add_nc_u32_e32 v63, v93, v4
	ds_load_b32 v65, v62
	ds_load_b64 v[62:63], v63 offset:9216
	s_wait_dscnt 0x1
	v_add_nc_u32_e32 v65, v65, v72
	s_wait_dscnt 0x0
	global_store_b64 v65, v[62:63], s[44:45] scale_offset
	s_wait_xcnt 0x0
	s_or_b32 exec_lo, exec_lo, s15
	s_and_saveexec_b32 s15, s19
	s_cbranch_execz .LBB626_824
.LBB626_888:                            ;   in Loop: Header=BB626_690 Depth=2
	v_dual_lshlrev_b32 v62, 2, v131 :: v_dual_add_nc_u32 v63, v93, v4
	ds_load_b32 v65, v62
	ds_load_b64 v[62:63], v63 offset:11264
	s_wait_dscnt 0x1
	v_add_nc_u32_e32 v65, v65, v73
	s_wait_dscnt 0x0
	global_store_b64 v65, v[62:63], s[44:45] scale_offset
	s_wait_xcnt 0x0
	s_or_b32 exec_lo, exec_lo, s15
	s_and_saveexec_b32 s15, s20
	s_cbranch_execz .LBB626_825
.LBB626_889:                            ;   in Loop: Header=BB626_690 Depth=2
	v_dual_lshlrev_b32 v62, 2, v130 :: v_dual_add_nc_u32 v63, v93, v4
	ds_load_b32 v65, v62
	ds_load_b64 v[62:63], v63 offset:13312
	s_wait_dscnt 0x1
	v_add_nc_u32_e32 v65, v65, v74
	s_wait_dscnt 0x0
	global_store_b64 v65, v[62:63], s[44:45] scale_offset
	s_wait_xcnt 0x0
	s_or_b32 exec_lo, exec_lo, s15
	s_and_saveexec_b32 s15, s21
	s_cbranch_execz .LBB626_826
.LBB626_890:                            ;   in Loop: Header=BB626_690 Depth=2
	v_dual_lshlrev_b32 v62, 2, v129 :: v_dual_add_nc_u32 v63, v93, v4
	ds_load_b32 v65, v62
	ds_load_b64 v[62:63], v63 offset:15360
	s_wait_dscnt 0x1
	v_add_nc_u32_e32 v65, v65, v75
	s_wait_dscnt 0x0
	global_store_b64 v65, v[62:63], s[44:45] scale_offset
	s_wait_xcnt 0x0
	s_or_b32 exec_lo, exec_lo, s15
	s_and_saveexec_b32 s15, s22
	s_cbranch_execz .LBB626_827
.LBB626_891:                            ;   in Loop: Header=BB626_690 Depth=2
	v_lshlrev_b32_e32 v62, 2, v128
	v_add_nc_u32_e32 v63, v93, v4
	ds_load_b32 v65, v62
	ds_load_b64 v[62:63], v63 offset:17408
	s_wait_dscnt 0x1
	v_add_nc_u32_e32 v65, v65, v76
	s_wait_dscnt 0x0
	global_store_b64 v65, v[62:63], s[44:45] scale_offset
	s_wait_xcnt 0x0
	s_or_b32 exec_lo, exec_lo, s15
	s_and_saveexec_b32 s15, s23
	s_cbranch_execz .LBB626_828
.LBB626_892:                            ;   in Loop: Header=BB626_690 Depth=2
	v_dual_lshlrev_b32 v62, 2, v127 :: v_dual_add_nc_u32 v63, v93, v4
	ds_load_b32 v65, v62
	ds_load_b64 v[62:63], v63 offset:19456
	s_wait_dscnt 0x1
	v_add_nc_u32_e32 v65, v65, v77
	s_wait_dscnt 0x0
	global_store_b64 v65, v[62:63], s[44:45] scale_offset
	s_wait_xcnt 0x0
	s_or_b32 exec_lo, exec_lo, s15
	s_and_saveexec_b32 s15, s24
	s_cbranch_execz .LBB626_829
.LBB626_893:                            ;   in Loop: Header=BB626_690 Depth=2
	v_dual_lshlrev_b32 v62, 2, v126 :: v_dual_add_nc_u32 v63, v93, v4
	ds_load_b32 v65, v62
	ds_load_b64 v[62:63], v63 offset:21504
	s_wait_dscnt 0x1
	v_add_nc_u32_e32 v65, v65, v78
	s_wait_dscnt 0x0
	global_store_b64 v65, v[62:63], s[44:45] scale_offset
	s_wait_xcnt 0x0
	s_or_b32 exec_lo, exec_lo, s15
	s_and_saveexec_b32 s15, s25
	s_cbranch_execz .LBB626_830
.LBB626_894:                            ;   in Loop: Header=BB626_690 Depth=2
	v_dual_lshlrev_b32 v62, 2, v125 :: v_dual_add_nc_u32 v63, v93, v4
	ds_load_b32 v65, v62
	ds_load_b64 v[62:63], v63 offset:23552
	s_wait_dscnt 0x1
	v_add_nc_u32_e32 v65, v65, v79
	s_wait_dscnt 0x0
	global_store_b64 v65, v[62:63], s[44:45] scale_offset
	s_wait_xcnt 0x0
	s_or_b32 exec_lo, exec_lo, s15
	s_and_saveexec_b32 s15, s26
	s_cbranch_execz .LBB626_831
.LBB626_895:                            ;   in Loop: Header=BB626_690 Depth=2
	v_lshlrev_b32_e32 v62, 2, v124
	v_add_nc_u32_e32 v63, v93, v4
	ds_load_b32 v65, v62
	ds_load_b64 v[62:63], v63 offset:25600
	s_wait_dscnt 0x1
	v_add_nc_u32_e32 v65, v65, v80
	s_wait_dscnt 0x0
	global_store_b64 v65, v[62:63], s[44:45] scale_offset
	s_wait_xcnt 0x0
	s_or_b32 exec_lo, exec_lo, s15
	s_and_saveexec_b32 s15, s27
	s_cbranch_execz .LBB626_832
.LBB626_896:                            ;   in Loop: Header=BB626_690 Depth=2
	v_dual_lshlrev_b32 v62, 2, v123 :: v_dual_add_nc_u32 v63, v93, v4
	ds_load_b32 v65, v62
	ds_load_b64 v[62:63], v63 offset:27648
	s_wait_dscnt 0x1
	v_add_nc_u32_e32 v65, v65, v81
	s_wait_dscnt 0x0
	global_store_b64 v65, v[62:63], s[44:45] scale_offset
	s_wait_xcnt 0x0
	s_or_b32 exec_lo, exec_lo, s15
	s_and_saveexec_b32 s15, s28
	s_cbranch_execz .LBB626_833
.LBB626_897:                            ;   in Loop: Header=BB626_690 Depth=2
	v_dual_lshlrev_b32 v62, 2, v122 :: v_dual_add_nc_u32 v63, v93, v4
	ds_load_b32 v65, v62
	ds_load_b64 v[62:63], v63 offset:29696
	s_wait_dscnt 0x1
	v_add_nc_u32_e32 v65, v65, v82
	s_wait_dscnt 0x0
	global_store_b64 v65, v[62:63], s[44:45] scale_offset
	s_wait_xcnt 0x0
	s_or_b32 exec_lo, exec_lo, s15
	s_and_saveexec_b32 s15, s29
	s_cbranch_execnz .LBB626_834
	s_branch .LBB626_835
.LBB626_898:                            ;   in Loop: Header=BB626_20 Depth=1
	s_wait_dscnt 0x0
	s_barrier_signal -1
	s_mov_b32 s7, 0
	s_barrier_wait -1
.LBB626_899:                            ;   in Loop: Header=BB626_20 Depth=1
	s_and_b32 vcc_lo, exec_lo, s7
	s_cbranch_vccz .LBB626_19
; %bb.900:                              ;   in Loop: Header=BB626_20 Depth=1
	s_mov_b32 s7, s54
	s_mov_b32 s30, s52
	s_barrier_signal -1
	s_barrier_wait -1
                                        ; implicit-def: $vgpr25
                                        ; implicit-def: $vgpr26
                                        ; implicit-def: $vgpr27
                                        ; implicit-def: $vgpr28
                                        ; implicit-def: $vgpr29
                                        ; implicit-def: $vgpr30
                                        ; implicit-def: $vgpr31
                                        ; implicit-def: $vgpr32
                                        ; implicit-def: $vgpr33
                                        ; implicit-def: $vgpr34
                                        ; implicit-def: $vgpr35
                                        ; implicit-def: $vgpr36
                                        ; implicit-def: $vgpr37
                                        ; implicit-def: $vgpr38
                                        ; implicit-def: $vgpr39
                                        ; implicit-def: $vgpr40
	s_branch .LBB626_902
.LBB626_901:                            ;   in Loop: Header=BB626_902 Depth=2
	s_or_b32 exec_lo, exec_lo, s8
	s_addk_co_i32 s7, 0xf000
	s_cmp_ge_u32 s10, s51
	s_mov_b32 s30, s10
	s_cbranch_scc1 .LBB626_970
.LBB626_902:                            ;   Parent Loop BB626_20 Depth=1
                                        ; =>  This Inner Loop Header: Depth=2
	s_add_co_i32 s10, s30, 0x1000
	s_mov_b32 s8, -1
	s_cmp_gt_u32 s10, s51
                                        ; implicit-def: $vgpr41
                                        ; implicit-def: $vgpr42
                                        ; implicit-def: $vgpr43
                                        ; implicit-def: $vgpr44
                                        ; implicit-def: $vgpr45
                                        ; implicit-def: $vgpr46
                                        ; implicit-def: $vgpr47
                                        ; implicit-def: $vgpr48
                                        ; implicit-def: $vgpr49
                                        ; implicit-def: $vgpr50
                                        ; implicit-def: $vgpr51
                                        ; implicit-def: $vgpr52
                                        ; implicit-def: $vgpr53
                                        ; implicit-def: $vgpr54
                                        ; implicit-def: $vgpr55
                                        ; implicit-def: $vgpr56
	s_cbranch_scc1 .LBB626_904
; %bb.903:                              ;   in Loop: Header=BB626_902 Depth=2
	v_lshl_add_u64 v[56:57], s[30:31], 2, v[22:23]
	s_mov_b32 s8, 0
	s_clause 0xf
	global_load_b32 v41, v[56:57], off
	global_load_b32 v42, v[56:57], off offset:1024
	global_load_b32 v43, v[56:57], off offset:2048
	;; [unrolled: 1-line block ×15, first 2 shown]
.LBB626_904:                            ;   in Loop: Header=BB626_902 Depth=2
	s_and_not1_b32 vcc_lo, exec_lo, s8
	s_movk_i32 s8, 0x1000
	s_cbranch_vccnz .LBB626_923
; %bb.905:                              ;   in Loop: Header=BB626_902 Depth=2
	s_lshl_b64 s[8:9], s[30:31], 2
	s_mov_b32 s11, exec_lo
	s_add_nc_u64 s[8:9], s[36:37], s[8:9]
	s_wait_xcnt 0x0
	v_cmpx_gt_u32_e64 s7, v2
	s_cbranch_execnz .LBB626_955
; %bb.906:                              ;   in Loop: Header=BB626_902 Depth=2
	s_or_b32 exec_lo, exec_lo, s11
	s_delay_alu instid0(SALU_CYCLE_1)
	s_mov_b32 s11, exec_lo
	v_cmpx_gt_u32_e64 s7, v3
	s_cbranch_execnz .LBB626_956
.LBB626_907:                            ;   in Loop: Header=BB626_902 Depth=2
	s_or_b32 exec_lo, exec_lo, s11
	s_delay_alu instid0(SALU_CYCLE_1)
	s_mov_b32 s11, exec_lo
	v_cmpx_gt_u32_e64 s7, v70
	s_cbranch_execnz .LBB626_957
.LBB626_908:                            ;   in Loop: Header=BB626_902 Depth=2
	s_or_b32 exec_lo, exec_lo, s11
	s_delay_alu instid0(SALU_CYCLE_1)
	s_mov_b32 s11, exec_lo
	v_cmpx_gt_u32_e64 s7, v71
	s_cbranch_execnz .LBB626_958
.LBB626_909:                            ;   in Loop: Header=BB626_902 Depth=2
	s_or_b32 exec_lo, exec_lo, s11
	s_delay_alu instid0(SALU_CYCLE_1)
	s_mov_b32 s11, exec_lo
	v_cmpx_gt_u32_e64 s7, v72
	s_cbranch_execnz .LBB626_959
.LBB626_910:                            ;   in Loop: Header=BB626_902 Depth=2
	s_or_b32 exec_lo, exec_lo, s11
	s_delay_alu instid0(SALU_CYCLE_1)
	s_mov_b32 s11, exec_lo
	v_cmpx_gt_u32_e64 s7, v73
	s_cbranch_execnz .LBB626_960
.LBB626_911:                            ;   in Loop: Header=BB626_902 Depth=2
	s_or_b32 exec_lo, exec_lo, s11
	s_delay_alu instid0(SALU_CYCLE_1)
	s_mov_b32 s11, exec_lo
	v_cmpx_gt_u32_e64 s7, v74
	s_cbranch_execnz .LBB626_961
.LBB626_912:                            ;   in Loop: Header=BB626_902 Depth=2
	s_or_b32 exec_lo, exec_lo, s11
	s_delay_alu instid0(SALU_CYCLE_1)
	s_mov_b32 s11, exec_lo
	v_cmpx_gt_u32_e64 s7, v75
	s_cbranch_execnz .LBB626_962
.LBB626_913:                            ;   in Loop: Header=BB626_902 Depth=2
	s_or_b32 exec_lo, exec_lo, s11
	s_delay_alu instid0(SALU_CYCLE_1)
	s_mov_b32 s11, exec_lo
	v_cmpx_gt_u32_e64 s7, v76
	s_cbranch_execnz .LBB626_963
.LBB626_914:                            ;   in Loop: Header=BB626_902 Depth=2
	s_or_b32 exec_lo, exec_lo, s11
	s_delay_alu instid0(SALU_CYCLE_1)
	s_mov_b32 s11, exec_lo
	v_cmpx_gt_u32_e64 s7, v77
	s_cbranch_execnz .LBB626_964
.LBB626_915:                            ;   in Loop: Header=BB626_902 Depth=2
	s_or_b32 exec_lo, exec_lo, s11
	s_delay_alu instid0(SALU_CYCLE_1)
	s_mov_b32 s11, exec_lo
	v_cmpx_gt_u32_e64 s7, v78
	s_cbranch_execnz .LBB626_965
.LBB626_916:                            ;   in Loop: Header=BB626_902 Depth=2
	s_or_b32 exec_lo, exec_lo, s11
	s_delay_alu instid0(SALU_CYCLE_1)
	s_mov_b32 s11, exec_lo
	v_cmpx_gt_u32_e64 s7, v79
	s_cbranch_execnz .LBB626_966
.LBB626_917:                            ;   in Loop: Header=BB626_902 Depth=2
	s_or_b32 exec_lo, exec_lo, s11
	s_delay_alu instid0(SALU_CYCLE_1)
	s_mov_b32 s11, exec_lo
	v_cmpx_gt_u32_e64 s7, v80
	s_cbranch_execnz .LBB626_967
.LBB626_918:                            ;   in Loop: Header=BB626_902 Depth=2
	s_or_b32 exec_lo, exec_lo, s11
	s_delay_alu instid0(SALU_CYCLE_1)
	s_mov_b32 s11, exec_lo
	v_cmpx_gt_u32_e64 s7, v81
	s_cbranch_execnz .LBB626_968
.LBB626_919:                            ;   in Loop: Header=BB626_902 Depth=2
	s_or_b32 exec_lo, exec_lo, s11
	s_delay_alu instid0(SALU_CYCLE_1)
	s_mov_b32 s11, exec_lo
	v_cmpx_gt_u32_e64 s7, v82
	s_cbranch_execnz .LBB626_969
.LBB626_920:                            ;   in Loop: Header=BB626_902 Depth=2
	s_or_b32 exec_lo, exec_lo, s11
	s_delay_alu instid0(SALU_CYCLE_1)
	s_mov_b32 s11, exec_lo
	v_cmpx_gt_u32_e64 s7, v83
	s_cbranch_execz .LBB626_922
.LBB626_921:                            ;   in Loop: Header=BB626_902 Depth=2
	global_load_b32 v25, v2, s[8:9] offset:15360 scale_offset
.LBB626_922:                            ;   in Loop: Header=BB626_902 Depth=2
	s_wait_xcnt 0x0
	s_or_b32 exec_lo, exec_lo, s11
	s_wait_loadcnt 0x0
	v_dual_mov_b32 v41, v40 :: v_dual_mov_b32 v42, v39
	v_dual_mov_b32 v43, v38 :: v_dual_mov_b32 v44, v37
	;; [unrolled: 1-line block ×8, first 2 shown]
	s_mov_b32 s8, s7
.LBB626_923:                            ;   in Loop: Header=BB626_902 Depth=2
	s_wait_loadcnt 0x0
	s_delay_alu instid0(VALU_DEP_1)
	v_dual_mov_b32 v25, v56 :: v_dual_mov_b32 v26, v55
	v_dual_mov_b32 v27, v54 :: v_dual_mov_b32 v28, v53
	;; [unrolled: 1-line block ×8, first 2 shown]
	s_mov_b32 s9, exec_lo
	s_wait_xcnt 0x0
	v_cmpx_gt_u32_e64 s8, v2
	s_cbranch_execnz .LBB626_939
; %bb.924:                              ;   in Loop: Header=BB626_902 Depth=2
	s_or_b32 exec_lo, exec_lo, s9
	s_delay_alu instid0(SALU_CYCLE_1)
	s_mov_b32 s9, exec_lo
	v_cmpx_gt_u32_e64 s8, v3
	s_cbranch_execnz .LBB626_940
.LBB626_925:                            ;   in Loop: Header=BB626_902 Depth=2
	s_or_b32 exec_lo, exec_lo, s9
	s_delay_alu instid0(SALU_CYCLE_1)
	s_mov_b32 s9, exec_lo
	v_cmpx_gt_u32_e64 s8, v70
	s_cbranch_execnz .LBB626_941
.LBB626_926:                            ;   in Loop: Header=BB626_902 Depth=2
	s_or_b32 exec_lo, exec_lo, s9
	s_delay_alu instid0(SALU_CYCLE_1)
	s_mov_b32 s9, exec_lo
	v_cmpx_gt_u32_e64 s8, v71
	s_cbranch_execnz .LBB626_942
.LBB626_927:                            ;   in Loop: Header=BB626_902 Depth=2
	s_or_b32 exec_lo, exec_lo, s9
	s_delay_alu instid0(SALU_CYCLE_1)
	s_mov_b32 s9, exec_lo
	v_cmpx_gt_u32_e64 s8, v72
	s_cbranch_execnz .LBB626_943
.LBB626_928:                            ;   in Loop: Header=BB626_902 Depth=2
	s_or_b32 exec_lo, exec_lo, s9
	s_delay_alu instid0(SALU_CYCLE_1)
	s_mov_b32 s9, exec_lo
	v_cmpx_gt_u32_e64 s8, v73
	s_cbranch_execnz .LBB626_944
.LBB626_929:                            ;   in Loop: Header=BB626_902 Depth=2
	s_or_b32 exec_lo, exec_lo, s9
	s_delay_alu instid0(SALU_CYCLE_1)
	s_mov_b32 s9, exec_lo
	v_cmpx_gt_u32_e64 s8, v74
	s_cbranch_execnz .LBB626_945
.LBB626_930:                            ;   in Loop: Header=BB626_902 Depth=2
	s_or_b32 exec_lo, exec_lo, s9
	s_delay_alu instid0(SALU_CYCLE_1)
	s_mov_b32 s9, exec_lo
	v_cmpx_gt_u32_e64 s8, v75
	s_cbranch_execnz .LBB626_946
.LBB626_931:                            ;   in Loop: Header=BB626_902 Depth=2
	s_or_b32 exec_lo, exec_lo, s9
	s_delay_alu instid0(SALU_CYCLE_1)
	s_mov_b32 s9, exec_lo
	v_cmpx_gt_u32_e64 s8, v76
	s_cbranch_execnz .LBB626_947
.LBB626_932:                            ;   in Loop: Header=BB626_902 Depth=2
	s_or_b32 exec_lo, exec_lo, s9
	s_delay_alu instid0(SALU_CYCLE_1)
	s_mov_b32 s9, exec_lo
	v_cmpx_gt_u32_e64 s8, v77
	s_cbranch_execnz .LBB626_948
.LBB626_933:                            ;   in Loop: Header=BB626_902 Depth=2
	s_or_b32 exec_lo, exec_lo, s9
	s_delay_alu instid0(SALU_CYCLE_1)
	s_mov_b32 s9, exec_lo
	v_cmpx_gt_u32_e64 s8, v78
	s_cbranch_execnz .LBB626_949
.LBB626_934:                            ;   in Loop: Header=BB626_902 Depth=2
	s_or_b32 exec_lo, exec_lo, s9
	s_delay_alu instid0(SALU_CYCLE_1)
	s_mov_b32 s9, exec_lo
	v_cmpx_gt_u32_e64 s8, v79
	s_cbranch_execnz .LBB626_950
.LBB626_935:                            ;   in Loop: Header=BB626_902 Depth=2
	s_or_b32 exec_lo, exec_lo, s9
	s_delay_alu instid0(SALU_CYCLE_1)
	s_mov_b32 s9, exec_lo
	v_cmpx_gt_u32_e64 s8, v80
	s_cbranch_execnz .LBB626_951
.LBB626_936:                            ;   in Loop: Header=BB626_902 Depth=2
	s_or_b32 exec_lo, exec_lo, s9
	s_delay_alu instid0(SALU_CYCLE_1)
	s_mov_b32 s9, exec_lo
	v_cmpx_gt_u32_e64 s8, v81
	s_cbranch_execnz .LBB626_952
.LBB626_937:                            ;   in Loop: Header=BB626_902 Depth=2
	s_or_b32 exec_lo, exec_lo, s9
	s_delay_alu instid0(SALU_CYCLE_1)
	s_mov_b32 s9, exec_lo
	v_cmpx_gt_u32_e64 s8, v82
	s_cbranch_execnz .LBB626_953
.LBB626_938:                            ;   in Loop: Header=BB626_902 Depth=2
	s_or_b32 exec_lo, exec_lo, s9
	v_cmp_gt_u32_e32 vcc_lo, s8, v83
	s_and_saveexec_b32 s8, vcc_lo
	s_cbranch_execz .LBB626_901
	s_branch .LBB626_954
.LBB626_939:                            ;   in Loop: Header=BB626_902 Depth=2
	v_xor_b32_e32 v41, 0x80000000, v40
	s_delay_alu instid0(VALU_DEP_1) | instskip(NEXT) | instid1(VALU_DEP_1)
	v_lshrrev_b32_e32 v41, s49, v41
	v_and_b32_e32 v41, s48, v41
	s_delay_alu instid0(VALU_DEP_1) | instskip(SKIP_2) | instid1(SALU_CYCLE_1)
	v_lshl_or_b32 v41, v41, 4, v84
	ds_add_u32 v41, v95
	s_or_b32 exec_lo, exec_lo, s9
	s_mov_b32 s9, exec_lo
	v_cmpx_gt_u32_e64 s8, v3
	s_cbranch_execz .LBB626_925
.LBB626_940:                            ;   in Loop: Header=BB626_902 Depth=2
	v_xor_b32_e32 v41, 0x80000000, v39
	s_delay_alu instid0(VALU_DEP_1) | instskip(NEXT) | instid1(VALU_DEP_1)
	v_lshrrev_b32_e32 v41, s49, v41
	v_and_b32_e32 v41, s48, v41
	s_delay_alu instid0(VALU_DEP_1) | instskip(SKIP_2) | instid1(SALU_CYCLE_1)
	v_lshl_or_b32 v41, v41, 4, v84
	ds_add_u32 v41, v95
	s_or_b32 exec_lo, exec_lo, s9
	s_mov_b32 s9, exec_lo
	v_cmpx_gt_u32_e64 s8, v70
	s_cbranch_execz .LBB626_926
.LBB626_941:                            ;   in Loop: Header=BB626_902 Depth=2
	v_xor_b32_e32 v41, 0x80000000, v38
	s_delay_alu instid0(VALU_DEP_1) | instskip(NEXT) | instid1(VALU_DEP_1)
	v_lshrrev_b32_e32 v41, s49, v41
	v_and_b32_e32 v41, s48, v41
	s_delay_alu instid0(VALU_DEP_1) | instskip(SKIP_2) | instid1(SALU_CYCLE_1)
	v_lshl_or_b32 v41, v41, 4, v84
	ds_add_u32 v41, v95
	s_or_b32 exec_lo, exec_lo, s9
	s_mov_b32 s9, exec_lo
	v_cmpx_gt_u32_e64 s8, v71
	s_cbranch_execz .LBB626_927
.LBB626_942:                            ;   in Loop: Header=BB626_902 Depth=2
	v_xor_b32_e32 v41, 0x80000000, v37
	s_delay_alu instid0(VALU_DEP_1) | instskip(NEXT) | instid1(VALU_DEP_1)
	v_lshrrev_b32_e32 v41, s49, v41
	v_and_b32_e32 v41, s48, v41
	s_delay_alu instid0(VALU_DEP_1) | instskip(SKIP_2) | instid1(SALU_CYCLE_1)
	v_lshl_or_b32 v41, v41, 4, v84
	ds_add_u32 v41, v95
	s_or_b32 exec_lo, exec_lo, s9
	s_mov_b32 s9, exec_lo
	v_cmpx_gt_u32_e64 s8, v72
	s_cbranch_execz .LBB626_928
.LBB626_943:                            ;   in Loop: Header=BB626_902 Depth=2
	v_xor_b32_e32 v41, 0x80000000, v36
	s_delay_alu instid0(VALU_DEP_1) | instskip(NEXT) | instid1(VALU_DEP_1)
	v_lshrrev_b32_e32 v41, s49, v41
	v_and_b32_e32 v41, s48, v41
	s_delay_alu instid0(VALU_DEP_1) | instskip(SKIP_2) | instid1(SALU_CYCLE_1)
	v_lshl_or_b32 v41, v41, 4, v84
	ds_add_u32 v41, v95
	s_or_b32 exec_lo, exec_lo, s9
	s_mov_b32 s9, exec_lo
	v_cmpx_gt_u32_e64 s8, v73
	s_cbranch_execz .LBB626_929
.LBB626_944:                            ;   in Loop: Header=BB626_902 Depth=2
	v_xor_b32_e32 v41, 0x80000000, v35
	s_delay_alu instid0(VALU_DEP_1) | instskip(NEXT) | instid1(VALU_DEP_1)
	v_lshrrev_b32_e32 v41, s49, v41
	v_and_b32_e32 v41, s48, v41
	s_delay_alu instid0(VALU_DEP_1) | instskip(SKIP_2) | instid1(SALU_CYCLE_1)
	v_lshl_or_b32 v41, v41, 4, v84
	ds_add_u32 v41, v95
	s_or_b32 exec_lo, exec_lo, s9
	s_mov_b32 s9, exec_lo
	v_cmpx_gt_u32_e64 s8, v74
	s_cbranch_execz .LBB626_930
.LBB626_945:                            ;   in Loop: Header=BB626_902 Depth=2
	v_xor_b32_e32 v41, 0x80000000, v34
	s_delay_alu instid0(VALU_DEP_1) | instskip(NEXT) | instid1(VALU_DEP_1)
	v_lshrrev_b32_e32 v41, s49, v41
	v_and_b32_e32 v41, s48, v41
	s_delay_alu instid0(VALU_DEP_1) | instskip(SKIP_2) | instid1(SALU_CYCLE_1)
	v_lshl_or_b32 v41, v41, 4, v84
	ds_add_u32 v41, v95
	s_or_b32 exec_lo, exec_lo, s9
	s_mov_b32 s9, exec_lo
	v_cmpx_gt_u32_e64 s8, v75
	s_cbranch_execz .LBB626_931
.LBB626_946:                            ;   in Loop: Header=BB626_902 Depth=2
	v_xor_b32_e32 v41, 0x80000000, v33
	s_delay_alu instid0(VALU_DEP_1) | instskip(NEXT) | instid1(VALU_DEP_1)
	v_lshrrev_b32_e32 v41, s49, v41
	v_and_b32_e32 v41, s48, v41
	s_delay_alu instid0(VALU_DEP_1) | instskip(SKIP_2) | instid1(SALU_CYCLE_1)
	v_lshl_or_b32 v41, v41, 4, v84
	ds_add_u32 v41, v95
	s_or_b32 exec_lo, exec_lo, s9
	s_mov_b32 s9, exec_lo
	v_cmpx_gt_u32_e64 s8, v76
	s_cbranch_execz .LBB626_932
.LBB626_947:                            ;   in Loop: Header=BB626_902 Depth=2
	v_xor_b32_e32 v41, 0x80000000, v32
	s_delay_alu instid0(VALU_DEP_1) | instskip(NEXT) | instid1(VALU_DEP_1)
	v_lshrrev_b32_e32 v41, s49, v41
	v_and_b32_e32 v41, s48, v41
	s_delay_alu instid0(VALU_DEP_1) | instskip(SKIP_2) | instid1(SALU_CYCLE_1)
	v_lshl_or_b32 v41, v41, 4, v84
	ds_add_u32 v41, v95
	s_or_b32 exec_lo, exec_lo, s9
	s_mov_b32 s9, exec_lo
	v_cmpx_gt_u32_e64 s8, v77
	s_cbranch_execz .LBB626_933
.LBB626_948:                            ;   in Loop: Header=BB626_902 Depth=2
	v_xor_b32_e32 v41, 0x80000000, v31
	s_delay_alu instid0(VALU_DEP_1) | instskip(NEXT) | instid1(VALU_DEP_1)
	v_lshrrev_b32_e32 v41, s49, v41
	v_and_b32_e32 v41, s48, v41
	s_delay_alu instid0(VALU_DEP_1) | instskip(SKIP_2) | instid1(SALU_CYCLE_1)
	v_lshl_or_b32 v41, v41, 4, v84
	ds_add_u32 v41, v95
	s_or_b32 exec_lo, exec_lo, s9
	s_mov_b32 s9, exec_lo
	v_cmpx_gt_u32_e64 s8, v78
	s_cbranch_execz .LBB626_934
.LBB626_949:                            ;   in Loop: Header=BB626_902 Depth=2
	v_xor_b32_e32 v41, 0x80000000, v30
	s_delay_alu instid0(VALU_DEP_1) | instskip(NEXT) | instid1(VALU_DEP_1)
	v_lshrrev_b32_e32 v41, s49, v41
	v_and_b32_e32 v41, s48, v41
	s_delay_alu instid0(VALU_DEP_1) | instskip(SKIP_2) | instid1(SALU_CYCLE_1)
	v_lshl_or_b32 v41, v41, 4, v84
	ds_add_u32 v41, v95
	s_or_b32 exec_lo, exec_lo, s9
	s_mov_b32 s9, exec_lo
	v_cmpx_gt_u32_e64 s8, v79
	s_cbranch_execz .LBB626_935
.LBB626_950:                            ;   in Loop: Header=BB626_902 Depth=2
	v_xor_b32_e32 v41, 0x80000000, v29
	s_delay_alu instid0(VALU_DEP_1) | instskip(NEXT) | instid1(VALU_DEP_1)
	v_lshrrev_b32_e32 v41, s49, v41
	v_and_b32_e32 v41, s48, v41
	s_delay_alu instid0(VALU_DEP_1) | instskip(SKIP_2) | instid1(SALU_CYCLE_1)
	v_lshl_or_b32 v41, v41, 4, v84
	ds_add_u32 v41, v95
	s_or_b32 exec_lo, exec_lo, s9
	s_mov_b32 s9, exec_lo
	v_cmpx_gt_u32_e64 s8, v80
	s_cbranch_execz .LBB626_936
.LBB626_951:                            ;   in Loop: Header=BB626_902 Depth=2
	v_xor_b32_e32 v41, 0x80000000, v28
	s_delay_alu instid0(VALU_DEP_1) | instskip(NEXT) | instid1(VALU_DEP_1)
	v_lshrrev_b32_e32 v41, s49, v41
	v_and_b32_e32 v41, s48, v41
	s_delay_alu instid0(VALU_DEP_1) | instskip(SKIP_2) | instid1(SALU_CYCLE_1)
	v_lshl_or_b32 v41, v41, 4, v84
	ds_add_u32 v41, v95
	s_or_b32 exec_lo, exec_lo, s9
	s_mov_b32 s9, exec_lo
	v_cmpx_gt_u32_e64 s8, v81
	s_cbranch_execz .LBB626_937
.LBB626_952:                            ;   in Loop: Header=BB626_902 Depth=2
	v_xor_b32_e32 v41, 0x80000000, v27
	s_delay_alu instid0(VALU_DEP_1) | instskip(NEXT) | instid1(VALU_DEP_1)
	v_lshrrev_b32_e32 v41, s49, v41
	v_and_b32_e32 v41, s48, v41
	s_delay_alu instid0(VALU_DEP_1) | instskip(SKIP_2) | instid1(SALU_CYCLE_1)
	v_lshl_or_b32 v41, v41, 4, v84
	ds_add_u32 v41, v95
	s_or_b32 exec_lo, exec_lo, s9
	s_mov_b32 s9, exec_lo
	v_cmpx_gt_u32_e64 s8, v82
	s_cbranch_execz .LBB626_938
.LBB626_953:                            ;   in Loop: Header=BB626_902 Depth=2
	v_xor_b32_e32 v41, 0x80000000, v26
	s_delay_alu instid0(VALU_DEP_1) | instskip(NEXT) | instid1(VALU_DEP_1)
	v_lshrrev_b32_e32 v41, s49, v41
	v_and_b32_e32 v41, s48, v41
	s_delay_alu instid0(VALU_DEP_1)
	v_lshl_or_b32 v41, v41, 4, v84
	ds_add_u32 v41, v95
	s_or_b32 exec_lo, exec_lo, s9
	v_cmp_gt_u32_e32 vcc_lo, s8, v83
	s_and_saveexec_b32 s8, vcc_lo
	s_cbranch_execz .LBB626_901
.LBB626_954:                            ;   in Loop: Header=BB626_902 Depth=2
	v_xor_b32_e32 v41, 0x80000000, v25
	s_delay_alu instid0(VALU_DEP_1) | instskip(NEXT) | instid1(VALU_DEP_1)
	v_lshrrev_b32_e32 v41, s49, v41
	v_and_b32_e32 v41, s48, v41
	s_delay_alu instid0(VALU_DEP_1)
	v_lshl_or_b32 v41, v41, 4, v84
	ds_add_u32 v41, v95
	s_branch .LBB626_901
.LBB626_955:                            ;   in Loop: Header=BB626_902 Depth=2
	global_load_b32 v40, v2, s[8:9] scale_offset
	s_wait_xcnt 0x0
	s_or_b32 exec_lo, exec_lo, s11
	s_delay_alu instid0(SALU_CYCLE_1)
	s_mov_b32 s11, exec_lo
	v_cmpx_gt_u32_e64 s7, v3
	s_cbranch_execz .LBB626_907
.LBB626_956:                            ;   in Loop: Header=BB626_902 Depth=2
	global_load_b32 v39, v2, s[8:9] offset:1024 scale_offset
	s_wait_xcnt 0x0
	s_or_b32 exec_lo, exec_lo, s11
	s_delay_alu instid0(SALU_CYCLE_1)
	s_mov_b32 s11, exec_lo
	v_cmpx_gt_u32_e64 s7, v70
	s_cbranch_execz .LBB626_908
.LBB626_957:                            ;   in Loop: Header=BB626_902 Depth=2
	global_load_b32 v38, v2, s[8:9] offset:2048 scale_offset
	s_wait_xcnt 0x0
	s_or_b32 exec_lo, exec_lo, s11
	s_delay_alu instid0(SALU_CYCLE_1)
	s_mov_b32 s11, exec_lo
	v_cmpx_gt_u32_e64 s7, v71
	s_cbranch_execz .LBB626_909
.LBB626_958:                            ;   in Loop: Header=BB626_902 Depth=2
	global_load_b32 v37, v2, s[8:9] offset:3072 scale_offset
	s_wait_xcnt 0x0
	s_or_b32 exec_lo, exec_lo, s11
	s_delay_alu instid0(SALU_CYCLE_1)
	s_mov_b32 s11, exec_lo
	v_cmpx_gt_u32_e64 s7, v72
	s_cbranch_execz .LBB626_910
.LBB626_959:                            ;   in Loop: Header=BB626_902 Depth=2
	global_load_b32 v36, v2, s[8:9] offset:4096 scale_offset
	s_wait_xcnt 0x0
	s_or_b32 exec_lo, exec_lo, s11
	s_delay_alu instid0(SALU_CYCLE_1)
	s_mov_b32 s11, exec_lo
	v_cmpx_gt_u32_e64 s7, v73
	s_cbranch_execz .LBB626_911
.LBB626_960:                            ;   in Loop: Header=BB626_902 Depth=2
	global_load_b32 v35, v2, s[8:9] offset:5120 scale_offset
	s_wait_xcnt 0x0
	s_or_b32 exec_lo, exec_lo, s11
	s_delay_alu instid0(SALU_CYCLE_1)
	s_mov_b32 s11, exec_lo
	v_cmpx_gt_u32_e64 s7, v74
	s_cbranch_execz .LBB626_912
.LBB626_961:                            ;   in Loop: Header=BB626_902 Depth=2
	global_load_b32 v34, v2, s[8:9] offset:6144 scale_offset
	s_wait_xcnt 0x0
	s_or_b32 exec_lo, exec_lo, s11
	s_delay_alu instid0(SALU_CYCLE_1)
	s_mov_b32 s11, exec_lo
	v_cmpx_gt_u32_e64 s7, v75
	s_cbranch_execz .LBB626_913
.LBB626_962:                            ;   in Loop: Header=BB626_902 Depth=2
	global_load_b32 v33, v2, s[8:9] offset:7168 scale_offset
	s_wait_xcnt 0x0
	s_or_b32 exec_lo, exec_lo, s11
	s_delay_alu instid0(SALU_CYCLE_1)
	s_mov_b32 s11, exec_lo
	v_cmpx_gt_u32_e64 s7, v76
	s_cbranch_execz .LBB626_914
.LBB626_963:                            ;   in Loop: Header=BB626_902 Depth=2
	global_load_b32 v32, v2, s[8:9] offset:8192 scale_offset
	s_wait_xcnt 0x0
	s_or_b32 exec_lo, exec_lo, s11
	s_delay_alu instid0(SALU_CYCLE_1)
	s_mov_b32 s11, exec_lo
	v_cmpx_gt_u32_e64 s7, v77
	s_cbranch_execz .LBB626_915
.LBB626_964:                            ;   in Loop: Header=BB626_902 Depth=2
	global_load_b32 v31, v2, s[8:9] offset:9216 scale_offset
	s_wait_xcnt 0x0
	s_or_b32 exec_lo, exec_lo, s11
	s_delay_alu instid0(SALU_CYCLE_1)
	s_mov_b32 s11, exec_lo
	v_cmpx_gt_u32_e64 s7, v78
	s_cbranch_execz .LBB626_916
.LBB626_965:                            ;   in Loop: Header=BB626_902 Depth=2
	global_load_b32 v30, v2, s[8:9] offset:10240 scale_offset
	s_wait_xcnt 0x0
	s_or_b32 exec_lo, exec_lo, s11
	s_delay_alu instid0(SALU_CYCLE_1)
	s_mov_b32 s11, exec_lo
	v_cmpx_gt_u32_e64 s7, v79
	s_cbranch_execz .LBB626_917
.LBB626_966:                            ;   in Loop: Header=BB626_902 Depth=2
	global_load_b32 v29, v2, s[8:9] offset:11264 scale_offset
	s_wait_xcnt 0x0
	s_or_b32 exec_lo, exec_lo, s11
	s_delay_alu instid0(SALU_CYCLE_1)
	s_mov_b32 s11, exec_lo
	v_cmpx_gt_u32_e64 s7, v80
	s_cbranch_execz .LBB626_918
.LBB626_967:                            ;   in Loop: Header=BB626_902 Depth=2
	global_load_b32 v28, v2, s[8:9] offset:12288 scale_offset
	s_wait_xcnt 0x0
	s_or_b32 exec_lo, exec_lo, s11
	s_delay_alu instid0(SALU_CYCLE_1)
	s_mov_b32 s11, exec_lo
	v_cmpx_gt_u32_e64 s7, v81
	s_cbranch_execz .LBB626_919
.LBB626_968:                            ;   in Loop: Header=BB626_902 Depth=2
	global_load_b32 v27, v2, s[8:9] offset:13312 scale_offset
	s_wait_xcnt 0x0
	s_or_b32 exec_lo, exec_lo, s11
	s_delay_alu instid0(SALU_CYCLE_1)
	s_mov_b32 s11, exec_lo
	v_cmpx_gt_u32_e64 s7, v82
	s_cbranch_execz .LBB626_920
.LBB626_969:                            ;   in Loop: Header=BB626_902 Depth=2
	global_load_b32 v26, v2, s[8:9] offset:14336 scale_offset
	s_wait_xcnt 0x0
	s_or_b32 exec_lo, exec_lo, s11
	s_delay_alu instid0(SALU_CYCLE_1)
	s_mov_b32 s11, exec_lo
	v_cmpx_gt_u32_e64 s7, v83
	s_cbranch_execnz .LBB626_921
	s_branch .LBB626_922
.LBB626_970:                            ;   in Loop: Header=BB626_20 Depth=1
	v_mov_b32_e32 v25, 0
	s_wait_dscnt 0x0
	s_barrier_signal -1
	s_barrier_wait -1
	s_and_saveexec_b32 s7, s0
	s_cbranch_execz .LBB626_972
; %bb.971:                              ;   in Loop: Header=BB626_20 Depth=1
	ds_load_2addr_b64 v[26:29], v86 offset1:1
	s_wait_dscnt 0x0
	v_add_nc_u32_e32 v25, v27, v26
	s_delay_alu instid0(VALU_DEP_1)
	v_add3_u32 v25, v25, v28, v29
.LBB626_972:                            ;   in Loop: Header=BB626_20 Depth=1
	s_or_b32 exec_lo, exec_lo, s7
	s_delay_alu instid0(VALU_DEP_1)
	v_mov_b32_dpp v26, v25 row_shr:1 row_mask:0xf bank_mask:0xf
	v_cmp_eq_u32_e64 s7, 0, v96
	v_cmp_lt_u32_e64 s8, 1, v96
	v_cmp_lt_u32_e64 s9, 3, v96
	v_cmp_lt_u32_e64 s10, 7, v96
	v_cmp_eq_u32_e64 s11, 0, v98
	v_cndmask_b32_e64 v26, v26, 0, s7
	s_delay_alu instid0(VALU_DEP_1) | instskip(NEXT) | instid1(VALU_DEP_1)
	v_add_nc_u32_e32 v25, v26, v25
	v_mov_b32_dpp v26, v25 row_shr:2 row_mask:0xf bank_mask:0xf
	s_delay_alu instid0(VALU_DEP_1) | instskip(NEXT) | instid1(VALU_DEP_1)
	v_cndmask_b32_e64 v26, 0, v26, s8
	v_add_nc_u32_e32 v25, v25, v26
	s_delay_alu instid0(VALU_DEP_1) | instskip(NEXT) | instid1(VALU_DEP_1)
	v_mov_b32_dpp v26, v25 row_shr:4 row_mask:0xf bank_mask:0xf
	v_cndmask_b32_e64 v26, 0, v26, s9
	s_delay_alu instid0(VALU_DEP_1) | instskip(NEXT) | instid1(VALU_DEP_1)
	v_add_nc_u32_e32 v25, v25, v26
	v_mov_b32_dpp v26, v25 row_shr:8 row_mask:0xf bank_mask:0xf
	s_delay_alu instid0(VALU_DEP_1) | instskip(NEXT) | instid1(VALU_DEP_1)
	v_cndmask_b32_e64 v26, 0, v26, s10
	v_add_nc_u32_e32 v25, v25, v26
	ds_swizzle_b32 v26, v25 offset:swizzle(BROADCAST,32,15)
	s_wait_dscnt 0x0
	v_and_b32_e32 v26, v97, v26
	s_delay_alu instid0(VALU_DEP_1)
	v_add_nc_u32_e32 v25, v25, v26
	s_and_saveexec_b32 s12, s1
; %bb.973:                              ;   in Loop: Header=BB626_20 Depth=1
	ds_store_b32 v87, v25
; %bb.974:                              ;   in Loop: Header=BB626_20 Depth=1
	s_or_b32 exec_lo, exec_lo, s12
	s_wait_dscnt 0x0
	s_barrier_signal -1
	s_barrier_wait -1
	s_and_saveexec_b32 s12, s4
	s_cbranch_execz .LBB626_976
; %bb.975:                              ;   in Loop: Header=BB626_20 Depth=1
	ds_load_b32 v26, v88
	v_cmp_ne_u32_e32 vcc_lo, 0, v100
	s_wait_dscnt 0x0
	v_mov_b32_dpp v27, v26 row_shr:1 row_mask:0xf bank_mask:0xf
	s_delay_alu instid0(VALU_DEP_1) | instskip(SKIP_1) | instid1(VALU_DEP_2)
	v_cndmask_b32_e32 v27, 0, v27, vcc_lo
	v_cmp_lt_u32_e32 vcc_lo, 1, v100
	v_add_nc_u32_e32 v26, v27, v26
	s_delay_alu instid0(VALU_DEP_1) | instskip(NEXT) | instid1(VALU_DEP_1)
	v_mov_b32_dpp v27, v26 row_shr:2 row_mask:0xf bank_mask:0xf
	v_cndmask_b32_e32 v27, 0, v27, vcc_lo
	v_cmp_lt_u32_e32 vcc_lo, 3, v100
	s_delay_alu instid0(VALU_DEP_2) | instskip(NEXT) | instid1(VALU_DEP_1)
	v_add_nc_u32_e32 v26, v26, v27
	v_mov_b32_dpp v27, v26 row_shr:4 row_mask:0xf bank_mask:0xf
	s_delay_alu instid0(VALU_DEP_1) | instskip(NEXT) | instid1(VALU_DEP_1)
	v_cndmask_b32_e32 v27, 0, v27, vcc_lo
	v_add_nc_u32_e32 v26, v26, v27
	ds_store_b32 v88, v26
.LBB626_976:                            ;   in Loop: Header=BB626_20 Depth=1
	s_or_b32 exec_lo, exec_lo, s12
	v_mov_b32_e32 v26, 0
	s_wait_dscnt 0x0
	s_barrier_signal -1
	s_barrier_wait -1
	s_and_saveexec_b32 s12, s5
; %bb.977:                              ;   in Loop: Header=BB626_20 Depth=1
	ds_load_b32 v26, v89
; %bb.978:                              ;   in Loop: Header=BB626_20 Depth=1
	s_or_b32 exec_lo, exec_lo, s12
	v_cmp_gt_i32_e32 vcc_lo, 0, v101
	s_wait_dscnt 0x0
	s_barrier_signal -1
	s_barrier_wait -1
	v_dual_cndmask_b32 v27, v101, v94, vcc_lo :: v_dual_add_nc_u32 v25, v26, v25
	s_delay_alu instid0(VALU_DEP_1)
	v_lshlrev_b32_e32 v120, 2, v27
	ds_bpermute_b32 v25, v120, v25
	s_and_saveexec_b32 s12, s0
	s_cbranch_execz .LBB626_980
; %bb.979:                              ;   in Loop: Header=BB626_20 Depth=1
	s_wait_dscnt 0x0
	v_cndmask_b32_e64 v25, v25, v26, s6
	s_delay_alu instid0(VALU_DEP_1)
	v_add_nc_u32_e32 v25, s52, v25
	ds_store_b32 v4, v25
.LBB626_980:                            ;   in Loop: Header=BB626_20 Depth=1
	s_or_b32 exec_lo, exec_lo, s12
	s_load_b64 s[12:13], s[34:35], 0x0
	s_mov_b32 s55, s54
                                        ; implicit-def: $vgpr32_vgpr33
                                        ; implicit-def: $vgpr34_vgpr35
                                        ; implicit-def: $vgpr36_vgpr37
                                        ; implicit-def: $vgpr38_vgpr39
                                        ; implicit-def: $vgpr40_vgpr41
                                        ; implicit-def: $vgpr42_vgpr43
                                        ; implicit-def: $vgpr44_vgpr45
                                        ; implicit-def: $vgpr46_vgpr47
                                        ; implicit-def: $vgpr48_vgpr49
                                        ; implicit-def: $vgpr50_vgpr51
                                        ; implicit-def: $vgpr52_vgpr53
                                        ; implicit-def: $vgpr54_vgpr55
                                        ; implicit-def: $vgpr56_vgpr57
                                        ; implicit-def: $vgpr58_vgpr59
                                        ; implicit-def: $vgpr60_vgpr61
                                        ; implicit-def: $vgpr121
                                        ; implicit-def: $vgpr122
                                        ; implicit-def: $vgpr123
                                        ; implicit-def: $vgpr124
                                        ; implicit-def: $vgpr125
                                        ; implicit-def: $vgpr126
                                        ; implicit-def: $vgpr127
                                        ; implicit-def: $vgpr128
                                        ; implicit-def: $vgpr129
                                        ; implicit-def: $vgpr130
                                        ; implicit-def: $vgpr131
                                        ; implicit-def: $vgpr132
                                        ; implicit-def: $vgpr133
                                        ; implicit-def: $vgpr134
                                        ; implicit-def: $vgpr135
                                        ; implicit-def: $vgpr136
	s_wait_kmcnt 0x0
	s_cmp_lt_u32 s33, s12
	s_cselect_b32 s30, 12, 18
	s_cmp_lt_u32 s42, s13
	s_mov_b32 s13, s31
	s_cselect_b32 s12, 14, 20
	s_delay_alu instid0(SALU_CYCLE_1)
	s_add_nc_u64 s[12:13], s[34:35], s[12:13]
	s_load_u16 s14, s[12:13], 0x0
	s_wait_xcnt 0x0
	s_add_nc_u64 s[12:13], s[34:35], s[30:31]
	s_mov_b32 s30, s52
	s_load_u16 s12, s[12:13], 0x0
	s_wait_xcnt 0x0
	v_cmp_lt_u32_e64 s13, 1, v100
	s_wait_dscnt 0x0
	s_wait_kmcnt 0x0
	v_mad_u32_u24 v25, v90, s14, v92
	v_cmp_lt_u32_e64 s14, 3, v100
	s_delay_alu instid0(VALU_DEP_2) | instskip(SKIP_2) | instid1(VALU_DEP_3)
	v_mad_u32 v26, v25, s12, v2
	v_mov_b32_e32 v25, v1
	v_cmp_eq_u32_e64 s12, 0, v100
	v_lshrrev_b32_e32 v30, 3, v26
	v_add_nc_u64_e32 v[26:27], v[14:15], v[0:1]
	s_delay_alu instid0(VALU_DEP_4) | instskip(NEXT) | instid1(VALU_DEP_3)
	v_add_nc_u64_e32 v[28:29], v[16:17], v[24:25]
	v_and_b32_e32 v25, 0x1ffffffc, v30
                                        ; implicit-def: $vgpr30_vgpr31
	s_branch .LBB626_982
.LBB626_981:                            ;   in Loop: Header=BB626_982 Depth=2
	s_or_b32 exec_lo, exec_lo, s15
	s_addk_co_i32 s55, 0xf000
	s_cmp_lt_u32 s56, s51
	s_mov_b32 s30, s56
	s_cbranch_scc0 .LBB626_18
.LBB626_982:                            ;   Parent Loop BB626_20 Depth=1
                                        ; =>  This Inner Loop Header: Depth=2
	s_add_co_i32 s56, s30, 0x1000
	s_delay_alu instid0(SALU_CYCLE_1)
	s_cmp_gt_u32 s56, s51
	s_cbranch_scc1 .LBB626_984
; %bb.983:                              ;   in Loop: Header=BB626_982 Depth=2
	s_delay_alu instid0(VALU_DEP_2)
	v_lshl_add_u64 v[62:63], s[30:31], 2, v[28:29]
	s_mov_b32 s15, -1
	s_clause 0xe
	global_load_b32 v139, v[62:63], off
	global_load_b32 v140, v[62:63], off offset:128
	global_load_b32 v143, v[62:63], off offset:256
	;; [unrolled: 1-line block ×14, first 2 shown]
	s_movk_i32 s16, 0x1000
	s_cbranch_execz .LBB626_985
	s_branch .LBB626_1016
.LBB626_984:                            ;   in Loop: Header=BB626_982 Depth=2
	s_mov_b32 s15, 0
                                        ; implicit-def: $vgpr139
                                        ; implicit-def: $vgpr140
                                        ; implicit-def: $vgpr143
                                        ; implicit-def: $vgpr147
                                        ; implicit-def: $vgpr151
                                        ; implicit-def: $vgpr155
                                        ; implicit-def: $vgpr159
                                        ; implicit-def: $vgpr163
                                        ; implicit-def: $vgpr167
                                        ; implicit-def: $vgpr69
                                        ; implicit-def: $vgpr68
                                        ; implicit-def: $vgpr67
                                        ; implicit-def: $vgpr66
                                        ; implicit-def: $vgpr65
                                        ; implicit-def: $vgpr64
	s_movk_i32 s16, 0x1000
.LBB626_985:                            ;   in Loop: Header=BB626_982 Depth=2
	s_wait_xcnt 0x0
	v_lshl_add_u64 v[62:63], s[30:31], 2, v[28:29]
	s_wait_loadcnt 0xd
	v_bfrev_b32_e32 v140, -2
	v_bfrev_b32_e32 v139, -2
	s_mov_b32 s15, exec_lo
	v_cmpx_gt_u32_e64 s55, v99
	s_cbranch_execz .LBB626_987
; %bb.986:                              ;   in Loop: Header=BB626_982 Depth=2
	global_load_b32 v139, v[62:63], off
.LBB626_987:                            ;   in Loop: Header=BB626_982 Depth=2
	s_wait_xcnt 0x0
	s_or_b32 exec_lo, exec_lo, s15
	s_delay_alu instid0(SALU_CYCLE_1)
	s_mov_b32 s15, exec_lo
	v_cmpx_gt_u32_e64 s55, v102
	s_cbranch_execz .LBB626_989
; %bb.988:                              ;   in Loop: Header=BB626_982 Depth=2
	global_load_b32 v140, v[62:63], off offset:128
.LBB626_989:                            ;   in Loop: Header=BB626_982 Depth=2
	s_wait_xcnt 0x0
	s_or_b32 exec_lo, exec_lo, s15
	s_wait_loadcnt 0xb
	v_bfrev_b32_e32 v147, -2
	v_bfrev_b32_e32 v143, -2
	s_mov_b32 s15, exec_lo
	v_cmpx_gt_u32_e64 s55, v103
	s_cbranch_execz .LBB626_991
; %bb.990:                              ;   in Loop: Header=BB626_982 Depth=2
	global_load_b32 v143, v[62:63], off offset:256
.LBB626_991:                            ;   in Loop: Header=BB626_982 Depth=2
	s_wait_xcnt 0x0
	s_or_b32 exec_lo, exec_lo, s15
	s_delay_alu instid0(SALU_CYCLE_1)
	s_mov_b32 s15, exec_lo
	v_cmpx_gt_u32_e64 s55, v104
	s_cbranch_execz .LBB626_993
; %bb.992:                              ;   in Loop: Header=BB626_982 Depth=2
	global_load_b32 v147, v[62:63], off offset:384
.LBB626_993:                            ;   in Loop: Header=BB626_982 Depth=2
	s_wait_xcnt 0x0
	s_or_b32 exec_lo, exec_lo, s15
	s_wait_loadcnt 0x9
	v_bfrev_b32_e32 v155, -2
	v_bfrev_b32_e32 v151, -2
	s_mov_b32 s15, exec_lo
	v_cmpx_gt_u32_e64 s55, v105
	s_cbranch_execz .LBB626_995
; %bb.994:                              ;   in Loop: Header=BB626_982 Depth=2
	global_load_b32 v151, v[62:63], off offset:512
.LBB626_995:                            ;   in Loop: Header=BB626_982 Depth=2
	s_wait_xcnt 0x0
	s_or_b32 exec_lo, exec_lo, s15
	s_delay_alu instid0(SALU_CYCLE_1)
	s_mov_b32 s15, exec_lo
	v_cmpx_gt_u32_e64 s55, v106
	s_cbranch_execz .LBB626_997
; %bb.996:                              ;   in Loop: Header=BB626_982 Depth=2
	global_load_b32 v155, v[62:63], off offset:640
.LBB626_997:                            ;   in Loop: Header=BB626_982 Depth=2
	s_wait_xcnt 0x0
	s_or_b32 exec_lo, exec_lo, s15
	s_wait_loadcnt 0x7
	v_bfrev_b32_e32 v163, -2
	v_bfrev_b32_e32 v159, -2
	s_mov_b32 s15, exec_lo
	v_cmpx_gt_u32_e64 s55, v107
	s_cbranch_execz .LBB626_999
; %bb.998:                              ;   in Loop: Header=BB626_982 Depth=2
	global_load_b32 v159, v[62:63], off offset:768
.LBB626_999:                            ;   in Loop: Header=BB626_982 Depth=2
	s_wait_xcnt 0x0
	s_or_b32 exec_lo, exec_lo, s15
	s_delay_alu instid0(SALU_CYCLE_1)
	s_mov_b32 s15, exec_lo
	v_cmpx_gt_u32_e64 s55, v108
	s_cbranch_execz .LBB626_1001
; %bb.1000:                             ;   in Loop: Header=BB626_982 Depth=2
	global_load_b32 v163, v[62:63], off offset:896
.LBB626_1001:                           ;   in Loop: Header=BB626_982 Depth=2
	s_wait_xcnt 0x0
	s_or_b32 exec_lo, exec_lo, s15
	s_wait_loadcnt 0x5
	v_bfrev_b32_e32 v69, -2
	v_bfrev_b32_e32 v167, -2
	s_mov_b32 s15, exec_lo
	v_cmpx_gt_u32_e64 s55, v109
	s_cbranch_execz .LBB626_1003
; %bb.1002:                             ;   in Loop: Header=BB626_982 Depth=2
	global_load_b32 v167, v[62:63], off offset:1024
.LBB626_1003:                           ;   in Loop: Header=BB626_982 Depth=2
	s_wait_xcnt 0x0
	s_or_b32 exec_lo, exec_lo, s15
	s_delay_alu instid0(SALU_CYCLE_1)
	s_mov_b32 s15, exec_lo
	v_cmpx_gt_u32_e64 s55, v110
	s_cbranch_execz .LBB626_1005
; %bb.1004:                             ;   in Loop: Header=BB626_982 Depth=2
	global_load_b32 v69, v[62:63], off offset:1152
.LBB626_1005:                           ;   in Loop: Header=BB626_982 Depth=2
	s_wait_xcnt 0x0
	s_or_b32 exec_lo, exec_lo, s15
	s_wait_loadcnt 0x3
	v_bfrev_b32_e32 v67, -2
	v_bfrev_b32_e32 v68, -2
	s_mov_b32 s15, exec_lo
	v_cmpx_gt_u32_e64 s55, v111
	s_cbranch_execz .LBB626_1007
; %bb.1006:                             ;   in Loop: Header=BB626_982 Depth=2
	global_load_b32 v68, v[62:63], off offset:1280
.LBB626_1007:                           ;   in Loop: Header=BB626_982 Depth=2
	;; [unrolled: 20-line block ×3, first 2 shown]
	s_wait_xcnt 0x0
	s_or_b32 exec_lo, exec_lo, s15
	s_delay_alu instid0(SALU_CYCLE_1)
	s_mov_b32 s15, exec_lo
	v_cmpx_gt_u32_e64 s55, v114
	s_cbranch_execz .LBB626_1013
; %bb.1012:                             ;   in Loop: Header=BB626_982 Depth=2
	global_load_b32 v65, v[62:63], off offset:1664
.LBB626_1013:                           ;   in Loop: Header=BB626_982 Depth=2
	s_wait_xcnt 0x0
	s_or_b32 exec_lo, exec_lo, s15
	s_wait_loadcnt 0x0
	v_bfrev_b32_e32 v64, -2
	s_mov_b32 s15, exec_lo
	v_cmpx_gt_u32_e64 s55, v115
	s_cbranch_execz .LBB626_1015
; %bb.1014:                             ;   in Loop: Header=BB626_982 Depth=2
	global_load_b32 v64, v[62:63], off offset:1792
.LBB626_1015:                           ;   in Loop: Header=BB626_982 Depth=2
	s_wait_xcnt 0x0
	s_or_b32 exec_lo, exec_lo, s15
	v_cmp_gt_u32_e64 s15, s55, v116
	s_sub_co_i32 s16, s51, s30
.LBB626_1016:                           ;   in Loop: Header=BB626_982 Depth=2
	v_dual_mov_b32 v138, -1 :: v_dual_mov_b32 v137, s55
	s_wait_xcnt 0x0
	s_and_saveexec_b32 s17, s15
	s_cbranch_execz .LBB626_1018
; %bb.1017:                             ;   in Loop: Header=BB626_982 Depth=2
	v_lshl_add_u64 v[62:63], s[30:31], 2, v[28:29]
	v_mov_b32_e32 v137, s16
	global_load_b32 v62, v[62:63], off offset:1920
	s_wait_loadcnt 0x0
	v_xor_b32_e32 v138, 0x80000000, v62
.LBB626_1018:                           ;   in Loop: Header=BB626_982 Depth=2
	s_wait_xcnt 0x0
	s_or_b32 exec_lo, exec_lo, s17
	s_wait_loadcnt 0xe
	v_xor_b32_e32 v139, 0x80000000, v139
	ds_store_2addr_b32 v5, v1, v1 offset1:1
	ds_store_2addr_b32 v117, v1, v1 offset1:1
	;; [unrolled: 1-line block ×4, first 2 shown]
	ds_store_b32 v91, v1 offset:1088
	s_wait_loadcnt_dscnt 0x0
	s_barrier_signal -1
	v_lshrrev_b32_e32 v62, s49, v139
	s_barrier_wait -1
	; wave barrier
	s_delay_alu instid0(VALU_DEP_1) | instskip(NEXT) | instid1(VALU_DEP_1)
	v_and_b32_e32 v142, s48, v62
	v_lshlrev_b32_e32 v141, 30, v142
	v_bitop3_b32 v63, v62, 1, s48 bitop3:0x80
	s_delay_alu instid0(VALU_DEP_1) | instskip(NEXT) | instid1(VALU_DEP_1)
	v_add_co_u32 v62, s15, v63, -1
	v_cndmask_b32_e64 v63, 0, 1, s15
	s_delay_alu instid0(VALU_DEP_4) | instskip(NEXT) | instid1(VALU_DEP_2)
	v_cmp_gt_i32_e64 s15, 0, v141
	v_cmp_ne_u32_e32 vcc_lo, 0, v63
	v_not_b32_e32 v63, v141
	s_delay_alu instid0(VALU_DEP_1) | instskip(SKIP_3) | instid1(VALU_DEP_4)
	v_dual_ashrrev_i32 v63, 31, v63 :: v_dual_lshlrev_b32 v144, 29, v142
	v_dual_lshlrev_b32 v145, 28, v142 :: v_dual_lshlrev_b32 v146, 27, v142
	v_dual_lshlrev_b32 v148, 26, v142 :: v_dual_lshlrev_b32 v149, 25, v142
	v_lshlrev_b32_e32 v150, 24, v142
	v_cmp_gt_i32_e64 s16, 0, v144
	v_not_b32_e32 v141, v144
	v_not_b32_e32 v144, v145
	v_cmp_gt_i32_e64 s17, 0, v145
	v_cmp_gt_i32_e64 s18, 0, v146
	v_not_b32_e32 v145, v146
	v_not_b32_e32 v146, v148
	v_dual_ashrrev_i32 v141, 31, v141 :: v_dual_bitop2_b32 v62, vcc_lo, v62 bitop3:0x14
	v_dual_ashrrev_i32 v144, 31, v144 :: v_dual_bitop2_b32 v63, s15, v63 bitop3:0x14
	v_cmp_gt_i32_e64 s19, 0, v148
	v_not_b32_e32 v148, v149
	s_delay_alu instid0(VALU_DEP_3)
	v_dual_ashrrev_i32 v145, 31, v145 :: v_dual_bitop2_b32 v144, s17, v144 bitop3:0x14
	v_dual_ashrrev_i32 v146, 31, v146 :: v_dual_bitop2_b32 v141, s16, v141 bitop3:0x14
	v_bitop3_b32 v62, v62, v63, exec_lo bitop3:0x80
	v_not_b32_e32 v63, v150
	v_cmp_gt_i32_e64 s20, 0, v149
	v_dual_ashrrev_i32 v148, 31, v148 :: v_dual_bitop2_b32 v145, s18, v145 bitop3:0x14
	s_delay_alu instid0(VALU_DEP_4) | instskip(SKIP_2) | instid1(VALU_DEP_4)
	v_bitop3_b32 v62, v62, v144, v141 bitop3:0x80
	v_cmp_gt_i32_e32 vcc_lo, 0, v150
	v_dual_ashrrev_i32 v63, 31, v63 :: v_dual_bitop2_b32 v141, s19, v146 bitop3:0x14
	v_xor_b32_e32 v144, s20, v148
	s_delay_alu instid0(VALU_DEP_2) | instskip(NEXT) | instid1(VALU_DEP_3)
	v_xor_b32_e32 v63, vcc_lo, v63
	v_bitop3_b32 v62, v62, v141, v145 bitop3:0x80
	s_delay_alu instid0(VALU_DEP_1) | instskip(SKIP_1) | instid1(VALU_DEP_2)
	v_bitop3_b32 v62, v62, v63, v144 bitop3:0x80
	v_mul_u32_u24_e32 v63, 36, v142
	v_mbcnt_lo_u32_b32 v141, v62, 0
	v_cmp_ne_u32_e64 s15, 0, v62
	s_delay_alu instid0(VALU_DEP_3) | instskip(NEXT) | instid1(VALU_DEP_3)
	v_add_nc_u32_e32 v142, v25, v63
	v_cmp_eq_u32_e32 vcc_lo, 0, v141
	s_and_b32 s16, s15, vcc_lo
	s_delay_alu instid0(SALU_CYCLE_1)
	s_and_saveexec_b32 s15, s16
; %bb.1019:                             ;   in Loop: Header=BB626_982 Depth=2
	v_bcnt_u32_b32 v62, v62, 0
	ds_store_b32 v142, v62 offset:1056
; %bb.1020:                             ;   in Loop: Header=BB626_982 Depth=2
	s_or_b32 exec_lo, exec_lo, s15
	v_xor_b32_e32 v140, 0x80000000, v140
	; wave barrier
	s_delay_alu instid0(VALU_DEP_1) | instskip(NEXT) | instid1(VALU_DEP_1)
	v_lshrrev_b32_e32 v62, s49, v140
	v_and_b32_e32 v146, s48, v62
	s_delay_alu instid0(VALU_DEP_1) | instskip(SKIP_1) | instid1(VALU_DEP_1)
	v_lshlrev_b32_e32 v144, 30, v146
	v_bitop3_b32 v63, v62, 1, s48 bitop3:0x80
	v_add_co_u32 v62, s15, v63, -1
	s_delay_alu instid0(VALU_DEP_1) | instskip(NEXT) | instid1(VALU_DEP_4)
	v_cndmask_b32_e64 v63, 0, 1, s15
	v_cmp_gt_i32_e64 s15, 0, v144
	s_delay_alu instid0(VALU_DEP_2) | instskip(SKIP_1) | instid1(VALU_DEP_1)
	v_cmp_ne_u32_e32 vcc_lo, 0, v63
	v_not_b32_e32 v63, v144
	v_dual_ashrrev_i32 v63, 31, v63 :: v_dual_lshlrev_b32 v145, 29, v146
	v_dual_lshlrev_b32 v148, 28, v146 :: v_dual_lshlrev_b32 v149, 27, v146
	v_dual_lshlrev_b32 v150, 26, v146 :: v_dual_lshlrev_b32 v152, 25, v146
	v_lshlrev_b32_e32 v153, 24, v146
	s_delay_alu instid0(VALU_DEP_4)
	v_cmp_gt_i32_e64 s16, 0, v145
	v_not_b32_e32 v144, v145
	v_not_b32_e32 v145, v148
	v_cmp_gt_i32_e64 s17, 0, v148
	v_cmp_gt_i32_e64 s18, 0, v149
	v_not_b32_e32 v148, v149
	v_not_b32_e32 v149, v150
	v_dual_ashrrev_i32 v144, 31, v144 :: v_dual_bitop2_b32 v62, vcc_lo, v62 bitop3:0x14
	v_dual_ashrrev_i32 v145, 31, v145 :: v_dual_bitop2_b32 v63, s15, v63 bitop3:0x14
	v_cmp_gt_i32_e64 s19, 0, v150
	s_delay_alu instid0(VALU_DEP_4) | instskip(SKIP_1) | instid1(VALU_DEP_4)
	v_dual_ashrrev_i32 v148, 31, v148 :: v_dual_ashrrev_i32 v149, 31, v149
	v_not_b32_e32 v150, v153
	v_xor_b32_e32 v145, s17, v145
	v_bitop3_b32 v62, v62, v63, exec_lo bitop3:0x80
	v_not_b32_e32 v63, v152
	v_xor_b32_e32 v144, s16, v144
	v_cmp_gt_i32_e64 s20, 0, v152
	v_xor_b32_e32 v148, s18, v148
	s_delay_alu instid0(VALU_DEP_4) | instskip(NEXT) | instid1(VALU_DEP_4)
	v_dual_ashrrev_i32 v63, 31, v63 :: v_dual_bitop2_b32 v149, s19, v149 bitop3:0x14
	v_bitop3_b32 v62, v62, v145, v144 bitop3:0x80
	v_cmp_gt_i32_e32 vcc_lo, 0, v153
	v_ashrrev_i32_e32 v144, 31, v150
	v_mad_u32_u24 v145, v146, 36, v25
	v_xor_b32_e32 v63, s20, v63
	v_bitop3_b32 v62, v62, v149, v148 bitop3:0x80
	s_delay_alu instid0(VALU_DEP_4) | instskip(SKIP_3) | instid1(VALU_DEP_2)
	v_xor_b32_e32 v148, vcc_lo, v144
	ds_load_b32 v144, v145 offset:1056
	; wave barrier
	v_bitop3_b32 v62, v62, v148, v63 bitop3:0x80
	v_mul_u32_u24_e32 v63, 36, v146
	v_mbcnt_lo_u32_b32 v145, v62, 0
	v_cmp_ne_u32_e64 s15, 0, v62
	s_delay_alu instid0(VALU_DEP_3) | instskip(NEXT) | instid1(VALU_DEP_3)
	v_add_nc_u32_e32 v146, v25, v63
	v_cmp_eq_u32_e32 vcc_lo, 0, v145
	s_and_b32 s16, s15, vcc_lo
	s_delay_alu instid0(SALU_CYCLE_1)
	s_and_saveexec_b32 s15, s16
	s_cbranch_execz .LBB626_1022
; %bb.1021:                             ;   in Loop: Header=BB626_982 Depth=2
	s_wait_dscnt 0x0
	v_bcnt_u32_b32 v62, v62, v144
	ds_store_b32 v146, v62 offset:1056
.LBB626_1022:                           ;   in Loop: Header=BB626_982 Depth=2
	s_or_b32 exec_lo, exec_lo, s15
	v_xor_b32_e32 v143, 0x80000000, v143
	; wave barrier
	s_delay_alu instid0(VALU_DEP_1) | instskip(NEXT) | instid1(VALU_DEP_1)
	v_lshrrev_b32_e32 v62, s49, v143
	v_and_b32_e32 v150, s48, v62
	s_delay_alu instid0(VALU_DEP_1) | instskip(SKIP_1) | instid1(VALU_DEP_1)
	v_lshlrev_b32_e32 v148, 30, v150
	v_bitop3_b32 v63, v62, 1, s48 bitop3:0x80
	v_add_co_u32 v62, s15, v63, -1
	s_delay_alu instid0(VALU_DEP_1) | instskip(NEXT) | instid1(VALU_DEP_4)
	v_cndmask_b32_e64 v63, 0, 1, s15
	v_cmp_gt_i32_e64 s15, 0, v148
	s_delay_alu instid0(VALU_DEP_2) | instskip(SKIP_1) | instid1(VALU_DEP_1)
	v_cmp_ne_u32_e32 vcc_lo, 0, v63
	v_not_b32_e32 v63, v148
	v_dual_ashrrev_i32 v63, 31, v63 :: v_dual_lshlrev_b32 v149, 29, v150
	v_dual_lshlrev_b32 v152, 28, v150 :: v_dual_lshlrev_b32 v153, 27, v150
	v_dual_lshlrev_b32 v154, 26, v150 :: v_dual_lshlrev_b32 v156, 25, v150
	v_lshlrev_b32_e32 v157, 24, v150
	s_delay_alu instid0(VALU_DEP_4)
	v_cmp_gt_i32_e64 s16, 0, v149
	v_not_b32_e32 v148, v149
	v_not_b32_e32 v149, v152
	v_cmp_gt_i32_e64 s17, 0, v152
	v_cmp_gt_i32_e64 s18, 0, v153
	v_not_b32_e32 v152, v153
	v_not_b32_e32 v153, v154
	v_dual_ashrrev_i32 v148, 31, v148 :: v_dual_bitop2_b32 v62, vcc_lo, v62 bitop3:0x14
	v_dual_ashrrev_i32 v149, 31, v149 :: v_dual_bitop2_b32 v63, s15, v63 bitop3:0x14
	v_cmp_gt_i32_e64 s19, 0, v154
	s_delay_alu instid0(VALU_DEP_4) | instskip(SKIP_1) | instid1(VALU_DEP_4)
	v_dual_ashrrev_i32 v152, 31, v152 :: v_dual_ashrrev_i32 v153, 31, v153
	v_not_b32_e32 v154, v157
	v_xor_b32_e32 v149, s17, v149
	v_bitop3_b32 v62, v62, v63, exec_lo bitop3:0x80
	v_not_b32_e32 v63, v156
	v_xor_b32_e32 v148, s16, v148
	v_cmp_gt_i32_e64 s20, 0, v156
	v_xor_b32_e32 v152, s18, v152
	s_delay_alu instid0(VALU_DEP_4) | instskip(NEXT) | instid1(VALU_DEP_4)
	v_dual_ashrrev_i32 v63, 31, v63 :: v_dual_bitop2_b32 v153, s19, v153 bitop3:0x14
	v_bitop3_b32 v62, v62, v149, v148 bitop3:0x80
	v_cmp_gt_i32_e32 vcc_lo, 0, v157
	v_ashrrev_i32_e32 v148, 31, v154
	v_mad_u32_u24 v149, v150, 36, v25
	v_xor_b32_e32 v63, s20, v63
	v_bitop3_b32 v62, v62, v153, v152 bitop3:0x80
	s_delay_alu instid0(VALU_DEP_4) | instskip(SKIP_3) | instid1(VALU_DEP_2)
	v_xor_b32_e32 v152, vcc_lo, v148
	ds_load_b32 v148, v149 offset:1056
	; wave barrier
	v_bitop3_b32 v62, v62, v152, v63 bitop3:0x80
	v_mul_u32_u24_e32 v63, 36, v150
	v_mbcnt_lo_u32_b32 v149, v62, 0
	v_cmp_ne_u32_e64 s15, 0, v62
	s_delay_alu instid0(VALU_DEP_3) | instskip(NEXT) | instid1(VALU_DEP_3)
	v_add_nc_u32_e32 v150, v25, v63
	v_cmp_eq_u32_e32 vcc_lo, 0, v149
	s_and_b32 s16, s15, vcc_lo
	s_delay_alu instid0(SALU_CYCLE_1)
	s_and_saveexec_b32 s15, s16
	s_cbranch_execz .LBB626_1024
; %bb.1023:                             ;   in Loop: Header=BB626_982 Depth=2
	s_wait_dscnt 0x0
	v_bcnt_u32_b32 v62, v62, v148
	ds_store_b32 v150, v62 offset:1056
.LBB626_1024:                           ;   in Loop: Header=BB626_982 Depth=2
	s_or_b32 exec_lo, exec_lo, s15
	v_xor_b32_e32 v147, 0x80000000, v147
	; wave barrier
	s_delay_alu instid0(VALU_DEP_1) | instskip(NEXT) | instid1(VALU_DEP_1)
	v_lshrrev_b32_e32 v62, s49, v147
	v_and_b32_e32 v154, s48, v62
	s_delay_alu instid0(VALU_DEP_1) | instskip(SKIP_1) | instid1(VALU_DEP_1)
	v_lshlrev_b32_e32 v152, 30, v154
	v_bitop3_b32 v63, v62, 1, s48 bitop3:0x80
	v_add_co_u32 v62, s15, v63, -1
	s_delay_alu instid0(VALU_DEP_1) | instskip(NEXT) | instid1(VALU_DEP_4)
	v_cndmask_b32_e64 v63, 0, 1, s15
	v_cmp_gt_i32_e64 s15, 0, v152
	s_delay_alu instid0(VALU_DEP_2) | instskip(SKIP_1) | instid1(VALU_DEP_1)
	v_cmp_ne_u32_e32 vcc_lo, 0, v63
	v_not_b32_e32 v63, v152
	v_dual_ashrrev_i32 v63, 31, v63 :: v_dual_lshlrev_b32 v153, 29, v154
	v_dual_lshlrev_b32 v156, 28, v154 :: v_dual_lshlrev_b32 v157, 27, v154
	v_dual_lshlrev_b32 v158, 26, v154 :: v_dual_lshlrev_b32 v160, 25, v154
	v_lshlrev_b32_e32 v161, 24, v154
	s_delay_alu instid0(VALU_DEP_4)
	v_cmp_gt_i32_e64 s16, 0, v153
	v_not_b32_e32 v152, v153
	v_not_b32_e32 v153, v156
	v_cmp_gt_i32_e64 s17, 0, v156
	v_cmp_gt_i32_e64 s18, 0, v157
	v_not_b32_e32 v156, v157
	v_not_b32_e32 v157, v158
	v_dual_ashrrev_i32 v152, 31, v152 :: v_dual_bitop2_b32 v62, vcc_lo, v62 bitop3:0x14
	v_dual_ashrrev_i32 v153, 31, v153 :: v_dual_bitop2_b32 v63, s15, v63 bitop3:0x14
	v_cmp_gt_i32_e64 s19, 0, v158
	s_delay_alu instid0(VALU_DEP_4) | instskip(SKIP_1) | instid1(VALU_DEP_4)
	v_dual_ashrrev_i32 v156, 31, v156 :: v_dual_ashrrev_i32 v157, 31, v157
	v_not_b32_e32 v158, v161
	v_xor_b32_e32 v153, s17, v153
	v_bitop3_b32 v62, v62, v63, exec_lo bitop3:0x80
	v_not_b32_e32 v63, v160
	v_xor_b32_e32 v152, s16, v152
	v_cmp_gt_i32_e64 s20, 0, v160
	v_xor_b32_e32 v156, s18, v156
	s_delay_alu instid0(VALU_DEP_4) | instskip(NEXT) | instid1(VALU_DEP_4)
	v_dual_ashrrev_i32 v63, 31, v63 :: v_dual_bitop2_b32 v157, s19, v157 bitop3:0x14
	v_bitop3_b32 v62, v62, v153, v152 bitop3:0x80
	v_cmp_gt_i32_e32 vcc_lo, 0, v161
	v_ashrrev_i32_e32 v152, 31, v158
	v_mad_u32_u24 v153, v154, 36, v25
	v_xor_b32_e32 v63, s20, v63
	v_bitop3_b32 v62, v62, v157, v156 bitop3:0x80
	s_delay_alu instid0(VALU_DEP_4) | instskip(SKIP_3) | instid1(VALU_DEP_2)
	v_xor_b32_e32 v156, vcc_lo, v152
	ds_load_b32 v152, v153 offset:1056
	; wave barrier
	v_bitop3_b32 v62, v62, v156, v63 bitop3:0x80
	v_mul_u32_u24_e32 v63, 36, v154
	v_mbcnt_lo_u32_b32 v153, v62, 0
	v_cmp_ne_u32_e64 s15, 0, v62
	s_delay_alu instid0(VALU_DEP_3) | instskip(NEXT) | instid1(VALU_DEP_3)
	v_add_nc_u32_e32 v154, v25, v63
	v_cmp_eq_u32_e32 vcc_lo, 0, v153
	s_and_b32 s16, s15, vcc_lo
	s_delay_alu instid0(SALU_CYCLE_1)
	s_and_saveexec_b32 s15, s16
	s_cbranch_execz .LBB626_1026
; %bb.1025:                             ;   in Loop: Header=BB626_982 Depth=2
	s_wait_dscnt 0x0
	v_bcnt_u32_b32 v62, v62, v152
	ds_store_b32 v154, v62 offset:1056
.LBB626_1026:                           ;   in Loop: Header=BB626_982 Depth=2
	s_or_b32 exec_lo, exec_lo, s15
	v_xor_b32_e32 v151, 0x80000000, v151
	; wave barrier
	s_delay_alu instid0(VALU_DEP_1) | instskip(NEXT) | instid1(VALU_DEP_1)
	v_lshrrev_b32_e32 v62, s49, v151
	v_and_b32_e32 v158, s48, v62
	s_delay_alu instid0(VALU_DEP_1) | instskip(SKIP_1) | instid1(VALU_DEP_1)
	v_lshlrev_b32_e32 v156, 30, v158
	v_bitop3_b32 v63, v62, 1, s48 bitop3:0x80
	v_add_co_u32 v62, s15, v63, -1
	s_delay_alu instid0(VALU_DEP_1) | instskip(NEXT) | instid1(VALU_DEP_4)
	v_cndmask_b32_e64 v63, 0, 1, s15
	v_cmp_gt_i32_e64 s15, 0, v156
	s_delay_alu instid0(VALU_DEP_2) | instskip(SKIP_1) | instid1(VALU_DEP_1)
	v_cmp_ne_u32_e32 vcc_lo, 0, v63
	v_not_b32_e32 v63, v156
	v_dual_ashrrev_i32 v63, 31, v63 :: v_dual_lshlrev_b32 v157, 29, v158
	v_dual_lshlrev_b32 v160, 28, v158 :: v_dual_lshlrev_b32 v161, 27, v158
	v_dual_lshlrev_b32 v162, 26, v158 :: v_dual_lshlrev_b32 v164, 25, v158
	v_lshlrev_b32_e32 v165, 24, v158
	s_delay_alu instid0(VALU_DEP_4)
	v_cmp_gt_i32_e64 s16, 0, v157
	v_not_b32_e32 v156, v157
	v_not_b32_e32 v157, v160
	v_cmp_gt_i32_e64 s17, 0, v160
	v_cmp_gt_i32_e64 s18, 0, v161
	v_not_b32_e32 v160, v161
	v_not_b32_e32 v161, v162
	v_dual_ashrrev_i32 v156, 31, v156 :: v_dual_bitop2_b32 v62, vcc_lo, v62 bitop3:0x14
	v_dual_ashrrev_i32 v157, 31, v157 :: v_dual_bitop2_b32 v63, s15, v63 bitop3:0x14
	v_cmp_gt_i32_e64 s19, 0, v162
	s_delay_alu instid0(VALU_DEP_4) | instskip(SKIP_1) | instid1(VALU_DEP_4)
	v_dual_ashrrev_i32 v160, 31, v160 :: v_dual_ashrrev_i32 v161, 31, v161
	v_not_b32_e32 v162, v165
	v_xor_b32_e32 v157, s17, v157
	v_bitop3_b32 v62, v62, v63, exec_lo bitop3:0x80
	v_not_b32_e32 v63, v164
	v_xor_b32_e32 v156, s16, v156
	v_cmp_gt_i32_e64 s20, 0, v164
	v_xor_b32_e32 v160, s18, v160
	s_delay_alu instid0(VALU_DEP_4) | instskip(NEXT) | instid1(VALU_DEP_4)
	v_dual_ashrrev_i32 v63, 31, v63 :: v_dual_bitop2_b32 v161, s19, v161 bitop3:0x14
	v_bitop3_b32 v62, v62, v157, v156 bitop3:0x80
	v_cmp_gt_i32_e32 vcc_lo, 0, v165
	v_ashrrev_i32_e32 v156, 31, v162
	v_mad_u32_u24 v157, v158, 36, v25
	v_xor_b32_e32 v63, s20, v63
	v_bitop3_b32 v62, v62, v161, v160 bitop3:0x80
	s_delay_alu instid0(VALU_DEP_4) | instskip(SKIP_3) | instid1(VALU_DEP_2)
	v_xor_b32_e32 v160, vcc_lo, v156
	ds_load_b32 v156, v157 offset:1056
	; wave barrier
	v_bitop3_b32 v62, v62, v160, v63 bitop3:0x80
	v_mul_u32_u24_e32 v63, 36, v158
	v_mbcnt_lo_u32_b32 v157, v62, 0
	v_cmp_ne_u32_e64 s15, 0, v62
	s_delay_alu instid0(VALU_DEP_3) | instskip(NEXT) | instid1(VALU_DEP_3)
	v_add_nc_u32_e32 v158, v25, v63
	v_cmp_eq_u32_e32 vcc_lo, 0, v157
	s_and_b32 s16, s15, vcc_lo
	s_delay_alu instid0(SALU_CYCLE_1)
	s_and_saveexec_b32 s15, s16
	s_cbranch_execz .LBB626_1028
; %bb.1027:                             ;   in Loop: Header=BB626_982 Depth=2
	s_wait_dscnt 0x0
	v_bcnt_u32_b32 v62, v62, v156
	ds_store_b32 v158, v62 offset:1056
.LBB626_1028:                           ;   in Loop: Header=BB626_982 Depth=2
	s_or_b32 exec_lo, exec_lo, s15
	v_xor_b32_e32 v155, 0x80000000, v155
	; wave barrier
	s_delay_alu instid0(VALU_DEP_1) | instskip(NEXT) | instid1(VALU_DEP_1)
	v_lshrrev_b32_e32 v62, s49, v155
	v_and_b32_e32 v162, s48, v62
	s_delay_alu instid0(VALU_DEP_1) | instskip(SKIP_1) | instid1(VALU_DEP_1)
	v_lshlrev_b32_e32 v160, 30, v162
	v_bitop3_b32 v63, v62, 1, s48 bitop3:0x80
	v_add_co_u32 v62, s15, v63, -1
	s_delay_alu instid0(VALU_DEP_1) | instskip(NEXT) | instid1(VALU_DEP_4)
	v_cndmask_b32_e64 v63, 0, 1, s15
	v_cmp_gt_i32_e64 s15, 0, v160
	s_delay_alu instid0(VALU_DEP_2) | instskip(SKIP_1) | instid1(VALU_DEP_1)
	v_cmp_ne_u32_e32 vcc_lo, 0, v63
	v_not_b32_e32 v63, v160
	v_dual_ashrrev_i32 v63, 31, v63 :: v_dual_lshlrev_b32 v161, 29, v162
	v_dual_lshlrev_b32 v164, 28, v162 :: v_dual_lshlrev_b32 v165, 27, v162
	v_dual_lshlrev_b32 v166, 26, v162 :: v_dual_lshlrev_b32 v168, 25, v162
	v_lshlrev_b32_e32 v169, 24, v162
	s_delay_alu instid0(VALU_DEP_4)
	v_cmp_gt_i32_e64 s16, 0, v161
	v_not_b32_e32 v160, v161
	v_not_b32_e32 v161, v164
	v_cmp_gt_i32_e64 s17, 0, v164
	v_cmp_gt_i32_e64 s18, 0, v165
	v_not_b32_e32 v164, v165
	v_not_b32_e32 v165, v166
	v_dual_ashrrev_i32 v160, 31, v160 :: v_dual_bitop2_b32 v62, vcc_lo, v62 bitop3:0x14
	v_dual_ashrrev_i32 v161, 31, v161 :: v_dual_bitop2_b32 v63, s15, v63 bitop3:0x14
	v_cmp_gt_i32_e64 s19, 0, v166
	s_delay_alu instid0(VALU_DEP_4) | instskip(SKIP_1) | instid1(VALU_DEP_4)
	v_dual_ashrrev_i32 v164, 31, v164 :: v_dual_ashrrev_i32 v165, 31, v165
	v_not_b32_e32 v166, v169
	v_xor_b32_e32 v161, s17, v161
	v_bitop3_b32 v62, v62, v63, exec_lo bitop3:0x80
	v_not_b32_e32 v63, v168
	v_xor_b32_e32 v160, s16, v160
	v_cmp_gt_i32_e64 s20, 0, v168
	v_xor_b32_e32 v164, s18, v164
	s_delay_alu instid0(VALU_DEP_4) | instskip(NEXT) | instid1(VALU_DEP_4)
	v_dual_ashrrev_i32 v63, 31, v63 :: v_dual_bitop2_b32 v165, s19, v165 bitop3:0x14
	v_bitop3_b32 v62, v62, v161, v160 bitop3:0x80
	v_cmp_gt_i32_e32 vcc_lo, 0, v169
	v_ashrrev_i32_e32 v160, 31, v166
	v_mad_u32_u24 v161, v162, 36, v25
	v_xor_b32_e32 v63, s20, v63
	v_bitop3_b32 v62, v62, v165, v164 bitop3:0x80
	s_delay_alu instid0(VALU_DEP_4) | instskip(SKIP_3) | instid1(VALU_DEP_2)
	v_xor_b32_e32 v164, vcc_lo, v160
	ds_load_b32 v160, v161 offset:1056
	; wave barrier
	v_bitop3_b32 v62, v62, v164, v63 bitop3:0x80
	v_mul_u32_u24_e32 v63, 36, v162
	v_mbcnt_lo_u32_b32 v161, v62, 0
	v_cmp_ne_u32_e64 s15, 0, v62
	s_delay_alu instid0(VALU_DEP_3) | instskip(NEXT) | instid1(VALU_DEP_3)
	v_add_nc_u32_e32 v162, v25, v63
	v_cmp_eq_u32_e32 vcc_lo, 0, v161
	s_and_b32 s16, s15, vcc_lo
	s_delay_alu instid0(SALU_CYCLE_1)
	s_and_saveexec_b32 s15, s16
	s_cbranch_execz .LBB626_1030
; %bb.1029:                             ;   in Loop: Header=BB626_982 Depth=2
	s_wait_dscnt 0x0
	v_bcnt_u32_b32 v62, v62, v160
	ds_store_b32 v162, v62 offset:1056
.LBB626_1030:                           ;   in Loop: Header=BB626_982 Depth=2
	s_or_b32 exec_lo, exec_lo, s15
	v_xor_b32_e32 v159, 0x80000000, v159
	; wave barrier
	s_delay_alu instid0(VALU_DEP_1) | instskip(NEXT) | instid1(VALU_DEP_1)
	v_lshrrev_b32_e32 v62, s49, v159
	v_and_b32_e32 v166, s48, v62
	s_delay_alu instid0(VALU_DEP_1) | instskip(SKIP_1) | instid1(VALU_DEP_1)
	v_lshlrev_b32_e32 v164, 30, v166
	v_bitop3_b32 v63, v62, 1, s48 bitop3:0x80
	v_add_co_u32 v62, s15, v63, -1
	s_delay_alu instid0(VALU_DEP_1) | instskip(NEXT) | instid1(VALU_DEP_4)
	v_cndmask_b32_e64 v63, 0, 1, s15
	v_cmp_gt_i32_e64 s15, 0, v164
	s_delay_alu instid0(VALU_DEP_2) | instskip(SKIP_1) | instid1(VALU_DEP_1)
	v_cmp_ne_u32_e32 vcc_lo, 0, v63
	v_not_b32_e32 v63, v164
	v_dual_ashrrev_i32 v63, 31, v63 :: v_dual_lshlrev_b32 v165, 29, v166
	v_dual_lshlrev_b32 v168, 28, v166 :: v_dual_lshlrev_b32 v169, 27, v166
	v_dual_lshlrev_b32 v170, 26, v166 :: v_dual_lshlrev_b32 v171, 25, v166
	v_lshlrev_b32_e32 v172, 24, v166
	s_delay_alu instid0(VALU_DEP_4)
	v_cmp_gt_i32_e64 s16, 0, v165
	v_not_b32_e32 v164, v165
	v_not_b32_e32 v165, v168
	v_cmp_gt_i32_e64 s17, 0, v168
	v_cmp_gt_i32_e64 s18, 0, v169
	v_not_b32_e32 v168, v169
	v_not_b32_e32 v169, v170
	v_dual_ashrrev_i32 v164, 31, v164 :: v_dual_bitop2_b32 v62, vcc_lo, v62 bitop3:0x14
	v_dual_ashrrev_i32 v165, 31, v165 :: v_dual_bitop2_b32 v63, s15, v63 bitop3:0x14
	v_cmp_gt_i32_e64 s19, 0, v170
	s_delay_alu instid0(VALU_DEP_4) | instskip(SKIP_1) | instid1(VALU_DEP_4)
	v_dual_ashrrev_i32 v168, 31, v168 :: v_dual_ashrrev_i32 v169, 31, v169
	v_not_b32_e32 v170, v172
	v_xor_b32_e32 v165, s17, v165
	v_bitop3_b32 v62, v62, v63, exec_lo bitop3:0x80
	v_not_b32_e32 v63, v171
	v_xor_b32_e32 v164, s16, v164
	v_cmp_gt_i32_e64 s20, 0, v171
	v_xor_b32_e32 v168, s18, v168
	s_delay_alu instid0(VALU_DEP_4) | instskip(NEXT) | instid1(VALU_DEP_4)
	v_dual_ashrrev_i32 v63, 31, v63 :: v_dual_bitop2_b32 v169, s19, v169 bitop3:0x14
	v_bitop3_b32 v62, v62, v165, v164 bitop3:0x80
	v_cmp_gt_i32_e32 vcc_lo, 0, v172
	v_ashrrev_i32_e32 v164, 31, v170
	v_mad_u32_u24 v165, v166, 36, v25
	v_xor_b32_e32 v63, s20, v63
	v_bitop3_b32 v62, v62, v169, v168 bitop3:0x80
	s_delay_alu instid0(VALU_DEP_4) | instskip(SKIP_3) | instid1(VALU_DEP_2)
	v_xor_b32_e32 v168, vcc_lo, v164
	ds_load_b32 v164, v165 offset:1056
	; wave barrier
	v_bitop3_b32 v62, v62, v168, v63 bitop3:0x80
	v_mul_u32_u24_e32 v63, 36, v166
	v_mbcnt_lo_u32_b32 v165, v62, 0
	v_cmp_ne_u32_e64 s15, 0, v62
	s_delay_alu instid0(VALU_DEP_3) | instskip(NEXT) | instid1(VALU_DEP_3)
	v_add_nc_u32_e32 v166, v25, v63
	v_cmp_eq_u32_e32 vcc_lo, 0, v165
	s_and_b32 s16, s15, vcc_lo
	s_delay_alu instid0(SALU_CYCLE_1)
	s_and_saveexec_b32 s15, s16
	s_cbranch_execz .LBB626_1032
; %bb.1031:                             ;   in Loop: Header=BB626_982 Depth=2
	s_wait_dscnt 0x0
	v_bcnt_u32_b32 v62, v62, v164
	ds_store_b32 v166, v62 offset:1056
.LBB626_1032:                           ;   in Loop: Header=BB626_982 Depth=2
	s_or_b32 exec_lo, exec_lo, s15
	v_xor_b32_e32 v163, 0x80000000, v163
	; wave barrier
	s_delay_alu instid0(VALU_DEP_1) | instskip(NEXT) | instid1(VALU_DEP_1)
	v_lshrrev_b32_e32 v62, s49, v163
	v_and_b32_e32 v170, s48, v62
	s_delay_alu instid0(VALU_DEP_1) | instskip(SKIP_1) | instid1(VALU_DEP_1)
	v_lshlrev_b32_e32 v168, 30, v170
	v_bitop3_b32 v63, v62, 1, s48 bitop3:0x80
	v_add_co_u32 v62, s15, v63, -1
	s_delay_alu instid0(VALU_DEP_1) | instskip(NEXT) | instid1(VALU_DEP_4)
	v_cndmask_b32_e64 v63, 0, 1, s15
	v_cmp_gt_i32_e64 s15, 0, v168
	s_delay_alu instid0(VALU_DEP_2) | instskip(SKIP_1) | instid1(VALU_DEP_1)
	v_cmp_ne_u32_e32 vcc_lo, 0, v63
	v_not_b32_e32 v63, v168
	v_dual_ashrrev_i32 v63, 31, v63 :: v_dual_lshlrev_b32 v169, 29, v170
	v_dual_lshlrev_b32 v171, 28, v170 :: v_dual_lshlrev_b32 v172, 27, v170
	v_dual_lshlrev_b32 v173, 26, v170 :: v_dual_lshlrev_b32 v174, 25, v170
	v_lshlrev_b32_e32 v175, 24, v170
	s_delay_alu instid0(VALU_DEP_4)
	v_cmp_gt_i32_e64 s16, 0, v169
	v_not_b32_e32 v168, v169
	v_not_b32_e32 v169, v171
	v_cmp_gt_i32_e64 s17, 0, v171
	v_cmp_gt_i32_e64 s18, 0, v172
	v_not_b32_e32 v171, v172
	v_not_b32_e32 v172, v173
	v_dual_ashrrev_i32 v168, 31, v168 :: v_dual_bitop2_b32 v62, vcc_lo, v62 bitop3:0x14
	v_dual_ashrrev_i32 v169, 31, v169 :: v_dual_bitop2_b32 v63, s15, v63 bitop3:0x14
	v_cmp_gt_i32_e64 s19, 0, v173
	s_delay_alu instid0(VALU_DEP_4) | instskip(NEXT) | instid1(VALU_DEP_3)
	v_dual_ashrrev_i32 v171, 31, v171 :: v_dual_ashrrev_i32 v172, 31, v172
	v_xor_b32_e32 v169, s17, v169
	s_delay_alu instid0(VALU_DEP_4)
	v_bitop3_b32 v62, v62, v63, exec_lo bitop3:0x80
	v_not_b32_e32 v63, v174
	v_xor_b32_e32 v168, s16, v168
	v_not_b32_e32 v173, v175
	v_cmp_gt_i32_e64 s20, 0, v174
	v_xor_b32_e32 v171, s18, v171
	v_dual_ashrrev_i32 v63, 31, v63 :: v_dual_bitop2_b32 v172, s19, v172 bitop3:0x14
	v_bitop3_b32 v62, v62, v169, v168 bitop3:0x80
	v_cmp_gt_i32_e32 vcc_lo, 0, v175
	v_ashrrev_i32_e32 v168, 31, v173
	v_mad_u32_u24 v169, v170, 36, v25
	v_xor_b32_e32 v63, s20, v63
	v_bitop3_b32 v62, v62, v172, v171 bitop3:0x80
	s_delay_alu instid0(VALU_DEP_4) | instskip(SKIP_3) | instid1(VALU_DEP_2)
	v_xor_b32_e32 v171, vcc_lo, v168
	ds_load_b32 v168, v169 offset:1056
	; wave barrier
	v_bitop3_b32 v62, v62, v171, v63 bitop3:0x80
	v_mul_u32_u24_e32 v63, 36, v170
	v_mbcnt_lo_u32_b32 v169, v62, 0
	v_cmp_ne_u32_e64 s15, 0, v62
	s_delay_alu instid0(VALU_DEP_3) | instskip(NEXT) | instid1(VALU_DEP_3)
	v_add_nc_u32_e32 v170, v25, v63
	v_cmp_eq_u32_e32 vcc_lo, 0, v169
	s_and_b32 s16, s15, vcc_lo
	s_delay_alu instid0(SALU_CYCLE_1)
	s_and_saveexec_b32 s15, s16
	s_cbranch_execz .LBB626_1034
; %bb.1033:                             ;   in Loop: Header=BB626_982 Depth=2
	s_wait_dscnt 0x0
	v_bcnt_u32_b32 v62, v62, v168
	ds_store_b32 v170, v62 offset:1056
.LBB626_1034:                           ;   in Loop: Header=BB626_982 Depth=2
	s_or_b32 exec_lo, exec_lo, s15
	v_xor_b32_e32 v167, 0x80000000, v167
	; wave barrier
	s_delay_alu instid0(VALU_DEP_1) | instskip(NEXT) | instid1(VALU_DEP_1)
	v_lshrrev_b32_e32 v62, s49, v167
	v_bitop3_b32 v63, v62, 1, s48 bitop3:0x80
	v_and_b32_e32 v171, s48, v62
	s_delay_alu instid0(VALU_DEP_2) | instskip(NEXT) | instid1(VALU_DEP_1)
	v_add_co_u32 v62, s15, v63, -1
	v_cndmask_b32_e64 v63, 0, 1, s15
	s_delay_alu instid0(VALU_DEP_3) | instskip(NEXT) | instid1(VALU_DEP_2)
	v_lshlrev_b32_e32 v172, 30, v171
	v_cmp_ne_u32_e32 vcc_lo, 0, v63
	s_delay_alu instid0(VALU_DEP_2) | instskip(NEXT) | instid1(VALU_DEP_1)
	v_not_b32_e32 v63, v172
	v_dual_ashrrev_i32 v63, 31, v63 :: v_dual_bitop2_b32 v62, vcc_lo, v62 bitop3:0x14
	v_dual_lshlrev_b32 v173, 29, v171 :: v_dual_lshlrev_b32 v174, 28, v171
	v_dual_lshlrev_b32 v175, 27, v171 :: v_dual_lshlrev_b32 v176, 26, v171
	v_lshlrev_b32_e32 v177, 25, v171
	v_cmp_gt_i32_e64 s15, 0, v172
	s_delay_alu instid0(VALU_DEP_4)
	v_cmp_gt_i32_e64 s16, 0, v173
	v_not_b32_e32 v172, v173
	v_not_b32_e32 v173, v174
	v_lshlrev_b32_e32 v178, 24, v171
	v_cmp_gt_i32_e64 s17, 0, v174
	v_cmp_gt_i32_e64 s18, 0, v175
	v_not_b32_e32 v174, v175
	v_not_b32_e32 v175, v176
	v_dual_ashrrev_i32 v172, 31, v172 :: v_dual_ashrrev_i32 v173, 31, v173
	v_xor_b32_e32 v63, s15, v63
	v_cmp_gt_i32_e64 s19, 0, v176
	s_delay_alu instid0(VALU_DEP_4)
	v_dual_ashrrev_i32 v174, 31, v174 :: v_dual_ashrrev_i32 v175, 31, v175
	v_not_b32_e32 v176, v178
	v_xor_b32_e32 v173, s17, v173
	v_bitop3_b32 v62, v62, v63, exec_lo bitop3:0x80
	v_not_b32_e32 v63, v177
	v_xor_b32_e32 v172, s16, v172
	v_cmp_gt_i32_e64 s20, 0, v177
	v_xor_b32_e32 v174, s18, v174
	v_xor_b32_e32 v175, s19, v175
	v_ashrrev_i32_e32 v63, 31, v63
	v_bitop3_b32 v62, v62, v173, v172 bitop3:0x80
	v_cmp_gt_i32_e32 vcc_lo, 0, v178
	v_ashrrev_i32_e32 v172, 31, v176
	v_mad_u32_u24 v173, v171, 36, v25
	v_xor_b32_e32 v63, s20, v63
	v_bitop3_b32 v62, v62, v175, v174 bitop3:0x80
	s_delay_alu instid0(VALU_DEP_4) | instskip(SKIP_3) | instid1(VALU_DEP_2)
	v_xor_b32_e32 v174, vcc_lo, v172
	ds_load_b32 v172, v173 offset:1056
	; wave barrier
	v_bitop3_b32 v62, v62, v174, v63 bitop3:0x80
	v_mul_u32_u24_e32 v63, 36, v171
	v_mbcnt_lo_u32_b32 v173, v62, 0
	v_cmp_ne_u32_e64 s15, 0, v62
	s_delay_alu instid0(VALU_DEP_3) | instskip(NEXT) | instid1(VALU_DEP_3)
	v_add_nc_u32_e32 v174, v25, v63
	v_cmp_eq_u32_e32 vcc_lo, 0, v173
	s_and_b32 s16, s15, vcc_lo
	s_delay_alu instid0(SALU_CYCLE_1)
	s_and_saveexec_b32 s15, s16
	s_cbranch_execz .LBB626_1036
; %bb.1035:                             ;   in Loop: Header=BB626_982 Depth=2
	s_wait_dscnt 0x0
	v_bcnt_u32_b32 v62, v62, v172
	ds_store_b32 v174, v62 offset:1056
.LBB626_1036:                           ;   in Loop: Header=BB626_982 Depth=2
	s_or_b32 exec_lo, exec_lo, s15
	v_xor_b32_e32 v171, 0x80000000, v69
	; wave barrier
	s_delay_alu instid0(VALU_DEP_1) | instskip(NEXT) | instid1(VALU_DEP_1)
	v_lshrrev_b32_e32 v62, s49, v171
	v_and_b32_e32 v69, s48, v62
	s_delay_alu instid0(VALU_DEP_1) | instskip(SKIP_1) | instid1(VALU_DEP_1)
	v_lshlrev_b32_e32 v175, 30, v69
	v_bitop3_b32 v63, v62, 1, s48 bitop3:0x80
	v_add_co_u32 v62, s15, v63, -1
	s_delay_alu instid0(VALU_DEP_1) | instskip(NEXT) | instid1(VALU_DEP_4)
	v_cndmask_b32_e64 v63, 0, 1, s15
	v_cmp_gt_i32_e64 s15, 0, v175
	s_delay_alu instid0(VALU_DEP_2) | instskip(SKIP_1) | instid1(VALU_DEP_1)
	v_cmp_ne_u32_e32 vcc_lo, 0, v63
	v_not_b32_e32 v63, v175
	v_dual_ashrrev_i32 v63, 31, v63 :: v_dual_lshlrev_b32 v176, 29, v69
	v_dual_lshlrev_b32 v177, 28, v69 :: v_dual_lshlrev_b32 v178, 27, v69
	v_dual_lshlrev_b32 v179, 26, v69 :: v_dual_lshlrev_b32 v180, 25, v69
	v_lshlrev_b32_e32 v181, 24, v69
	s_delay_alu instid0(VALU_DEP_4)
	v_cmp_gt_i32_e64 s16, 0, v176
	v_not_b32_e32 v175, v176
	v_not_b32_e32 v176, v177
	v_cmp_gt_i32_e64 s17, 0, v177
	v_cmp_gt_i32_e64 s18, 0, v178
	v_not_b32_e32 v177, v178
	v_not_b32_e32 v178, v179
	v_dual_ashrrev_i32 v175, 31, v175 :: v_dual_bitop2_b32 v62, vcc_lo, v62 bitop3:0x14
	v_dual_ashrrev_i32 v176, 31, v176 :: v_dual_bitop2_b32 v63, s15, v63 bitop3:0x14
	v_cmp_gt_i32_e64 s19, 0, v179
	s_delay_alu instid0(VALU_DEP_4) | instskip(NEXT) | instid1(VALU_DEP_4)
	v_dual_ashrrev_i32 v177, 31, v177 :: v_dual_ashrrev_i32 v178, 31, v178
	v_xor_b32_e32 v175, s16, v175
	s_delay_alu instid0(VALU_DEP_4)
	v_bitop3_b32 v62, v62, v63, exec_lo bitop3:0x80
	v_not_b32_e32 v63, v180
	v_xor_b32_e32 v176, s17, v176
	v_not_b32_e32 v179, v181
	v_cmp_gt_i32_e64 s20, 0, v180
	v_xor_b32_e32 v177, s18, v177
	v_dual_ashrrev_i32 v63, 31, v63 :: v_dual_bitop2_b32 v178, s19, v178 bitop3:0x14
	v_bitop3_b32 v62, v62, v176, v175 bitop3:0x80
	v_cmp_gt_i32_e32 vcc_lo, 0, v181
	v_ashrrev_i32_e32 v175, 31, v179
	v_mad_u32_u24 v176, v69, 36, v25
	v_xor_b32_e32 v63, s20, v63
	v_bitop3_b32 v62, v62, v178, v177 bitop3:0x80
	s_delay_alu instid0(VALU_DEP_4) | instskip(SKIP_3) | instid1(VALU_DEP_2)
	v_xor_b32_e32 v175, vcc_lo, v175
	ds_load_b32 v176, v176 offset:1056
	; wave barrier
	v_bitop3_b32 v62, v62, v175, v63 bitop3:0x80
	v_mul_u32_u24_e32 v63, 36, v69
	v_mbcnt_lo_u32_b32 v177, v62, 0
	v_cmp_ne_u32_e64 s15, 0, v62
	s_delay_alu instid0(VALU_DEP_3) | instskip(NEXT) | instid1(VALU_DEP_3)
	v_add_nc_u32_e32 v178, v25, v63
	v_cmp_eq_u32_e32 vcc_lo, 0, v177
	s_and_b32 s16, s15, vcc_lo
	s_delay_alu instid0(SALU_CYCLE_1)
	s_and_saveexec_b32 s15, s16
	s_cbranch_execz .LBB626_1038
; %bb.1037:                             ;   in Loop: Header=BB626_982 Depth=2
	s_wait_dscnt 0x0
	v_bcnt_u32_b32 v62, v62, v176
	ds_store_b32 v178, v62 offset:1056
.LBB626_1038:                           ;   in Loop: Header=BB626_982 Depth=2
	s_or_b32 exec_lo, exec_lo, s15
	v_xor_b32_e32 v175, 0x80000000, v68
	; wave barrier
	s_delay_alu instid0(VALU_DEP_1) | instskip(NEXT) | instid1(VALU_DEP_1)
	v_lshrrev_b32_e32 v62, s49, v175
	v_and_b32_e32 v68, s48, v62
	s_delay_alu instid0(VALU_DEP_1) | instskip(SKIP_1) | instid1(VALU_DEP_1)
	v_lshlrev_b32_e32 v69, 30, v68
	v_bitop3_b32 v63, v62, 1, s48 bitop3:0x80
	v_add_co_u32 v62, s15, v63, -1
	s_delay_alu instid0(VALU_DEP_1) | instskip(NEXT) | instid1(VALU_DEP_4)
	v_cndmask_b32_e64 v63, 0, 1, s15
	v_cmp_gt_i32_e64 s15, 0, v69
	s_delay_alu instid0(VALU_DEP_2) | instskip(SKIP_1) | instid1(VALU_DEP_1)
	v_cmp_ne_u32_e32 vcc_lo, 0, v63
	v_not_b32_e32 v63, v69
	v_dual_ashrrev_i32 v63, 31, v63 :: v_dual_lshlrev_b32 v179, 29, v68
	v_dual_lshlrev_b32 v180, 28, v68 :: v_dual_lshlrev_b32 v181, 27, v68
	v_dual_lshlrev_b32 v182, 26, v68 :: v_dual_lshlrev_b32 v183, 25, v68
	v_lshlrev_b32_e32 v184, 24, v68
	s_delay_alu instid0(VALU_DEP_4)
	v_cmp_gt_i32_e64 s16, 0, v179
	v_not_b32_e32 v69, v179
	v_not_b32_e32 v179, v180
	v_cmp_gt_i32_e64 s17, 0, v180
	v_cmp_gt_i32_e64 s18, 0, v181
	v_not_b32_e32 v180, v181
	v_not_b32_e32 v181, v182
	v_dual_ashrrev_i32 v69, 31, v69 :: v_dual_bitop2_b32 v62, vcc_lo, v62 bitop3:0x14
	s_delay_alu instid0(VALU_DEP_3) | instskip(NEXT) | instid1(VALU_DEP_3)
	v_dual_ashrrev_i32 v179, 31, v179 :: v_dual_ashrrev_i32 v180, 31, v180
	v_dual_ashrrev_i32 v181, 31, v181 :: v_dual_bitop2_b32 v63, s15, v63 bitop3:0x14
	v_cmp_gt_i32_e64 s19, 0, v182
	v_not_b32_e32 v182, v184
	s_delay_alu instid0(VALU_DEP_4) | instskip(NEXT) | instid1(VALU_DEP_4)
	v_xor_b32_e32 v179, s17, v179
	v_bitop3_b32 v62, v62, v63, exec_lo bitop3:0x80
	v_not_b32_e32 v63, v183
	v_xor_b32_e32 v69, s16, v69
	v_cmp_gt_i32_e64 s20, 0, v183
	v_xor_b32_e32 v180, s18, v180
	s_delay_alu instid0(VALU_DEP_4) | instskip(NEXT) | instid1(VALU_DEP_4)
	v_dual_ashrrev_i32 v63, 31, v63 :: v_dual_bitop2_b32 v181, s19, v181 bitop3:0x14
	v_bitop3_b32 v62, v62, v179, v69 bitop3:0x80
	v_cmp_gt_i32_e32 vcc_lo, 0, v184
	v_ashrrev_i32_e32 v69, 31, v182
	v_mad_u32_u24 v179, v68, 36, v25
	v_xor_b32_e32 v63, s20, v63
	v_bitop3_b32 v62, v62, v181, v180 bitop3:0x80
	s_delay_alu instid0(VALU_DEP_4) | instskip(SKIP_3) | instid1(VALU_DEP_2)
	v_xor_b32_e32 v69, vcc_lo, v69
	ds_load_b32 v180, v179 offset:1056
	; wave barrier
	v_bitop3_b32 v62, v62, v69, v63 bitop3:0x80
	v_mul_u32_u24_e32 v63, 36, v68
	v_mbcnt_lo_u32_b32 v181, v62, 0
	v_cmp_ne_u32_e64 s15, 0, v62
	s_delay_alu instid0(VALU_DEP_3) | instskip(NEXT) | instid1(VALU_DEP_3)
	v_add_nc_u32_e32 v182, v25, v63
	v_cmp_eq_u32_e32 vcc_lo, 0, v181
	s_and_b32 s16, s15, vcc_lo
	s_delay_alu instid0(SALU_CYCLE_1)
	s_and_saveexec_b32 s15, s16
	s_cbranch_execz .LBB626_1040
; %bb.1039:                             ;   in Loop: Header=BB626_982 Depth=2
	s_wait_dscnt 0x0
	v_bcnt_u32_b32 v62, v62, v180
	ds_store_b32 v182, v62 offset:1056
.LBB626_1040:                           ;   in Loop: Header=BB626_982 Depth=2
	s_or_b32 exec_lo, exec_lo, s15
	v_xor_b32_e32 v179, 0x80000000, v67
	; wave barrier
	s_delay_alu instid0(VALU_DEP_1) | instskip(NEXT) | instid1(VALU_DEP_1)
	v_lshrrev_b32_e32 v62, s49, v179
	v_bitop3_b32 v63, v62, 1, s48 bitop3:0x80
	v_and_b32_e32 v67, s48, v62
	s_delay_alu instid0(VALU_DEP_2) | instskip(NEXT) | instid1(VALU_DEP_1)
	v_add_co_u32 v62, s15, v63, -1
	v_cndmask_b32_e64 v63, 0, 1, s15
	s_delay_alu instid0(VALU_DEP_3) | instskip(NEXT) | instid1(VALU_DEP_2)
	v_lshlrev_b32_e32 v68, 30, v67
	v_cmp_ne_u32_e32 vcc_lo, 0, v63
	s_delay_alu instid0(VALU_DEP_2) | instskip(NEXT) | instid1(VALU_DEP_1)
	v_not_b32_e32 v63, v68
	v_dual_ashrrev_i32 v63, 31, v63 :: v_dual_bitop2_b32 v62, vcc_lo, v62 bitop3:0x14
	v_dual_lshlrev_b32 v69, 29, v67 :: v_dual_lshlrev_b32 v183, 28, v67
	v_dual_lshlrev_b32 v184, 27, v67 :: v_dual_lshlrev_b32 v185, 26, v67
	v_lshlrev_b32_e32 v186, 25, v67
	v_cmp_gt_i32_e64 s15, 0, v68
	s_delay_alu instid0(VALU_DEP_4)
	v_cmp_gt_i32_e64 s16, 0, v69
	v_not_b32_e32 v68, v69
	v_not_b32_e32 v69, v183
	v_lshlrev_b32_e32 v187, 24, v67
	v_cmp_gt_i32_e64 s17, 0, v183
	v_cmp_gt_i32_e64 s18, 0, v184
	v_not_b32_e32 v183, v184
	v_not_b32_e32 v184, v185
	v_dual_ashrrev_i32 v68, 31, v68 :: v_dual_ashrrev_i32 v69, 31, v69
	v_xor_b32_e32 v63, s15, v63
	v_cmp_gt_i32_e64 s19, 0, v185
	s_delay_alu instid0(VALU_DEP_4) | instskip(NEXT) | instid1(VALU_DEP_4)
	v_dual_ashrrev_i32 v183, 31, v183 :: v_dual_ashrrev_i32 v184, 31, v184
	v_xor_b32_e32 v69, s17, v69
	s_delay_alu instid0(VALU_DEP_4)
	v_bitop3_b32 v62, v62, v63, exec_lo bitop3:0x80
	v_not_b32_e32 v63, v186
	v_xor_b32_e32 v68, s16, v68
	v_not_b32_e32 v185, v187
	v_cmp_gt_i32_e64 s20, 0, v186
	v_xor_b32_e32 v183, s18, v183
	v_dual_ashrrev_i32 v63, 31, v63 :: v_dual_bitop2_b32 v184, s19, v184 bitop3:0x14
	v_bitop3_b32 v62, v62, v69, v68 bitop3:0x80
	v_cmp_gt_i32_e32 vcc_lo, 0, v187
	v_ashrrev_i32_e32 v68, 31, v185
	v_mad_u32_u24 v69, v67, 36, v25
	v_xor_b32_e32 v63, s20, v63
	v_bitop3_b32 v62, v62, v184, v183 bitop3:0x80
	s_delay_alu instid0(VALU_DEP_4) | instskip(SKIP_3) | instid1(VALU_DEP_2)
	v_xor_b32_e32 v68, vcc_lo, v68
	ds_load_b32 v184, v69 offset:1056
	; wave barrier
	v_bitop3_b32 v62, v62, v68, v63 bitop3:0x80
	v_mul_u32_u24_e32 v63, 36, v67
	v_mbcnt_lo_u32_b32 v185, v62, 0
	v_cmp_ne_u32_e64 s15, 0, v62
	s_delay_alu instid0(VALU_DEP_3) | instskip(NEXT) | instid1(VALU_DEP_3)
	v_add_nc_u32_e32 v186, v25, v63
	v_cmp_eq_u32_e32 vcc_lo, 0, v185
	s_and_b32 s16, s15, vcc_lo
	s_delay_alu instid0(SALU_CYCLE_1)
	s_and_saveexec_b32 s15, s16
	s_cbranch_execz .LBB626_1042
; %bb.1041:                             ;   in Loop: Header=BB626_982 Depth=2
	s_wait_dscnt 0x0
	v_bcnt_u32_b32 v62, v62, v184
	ds_store_b32 v186, v62 offset:1056
.LBB626_1042:                           ;   in Loop: Header=BB626_982 Depth=2
	s_or_b32 exec_lo, exec_lo, s15
	v_xor_b32_e32 v183, 0x80000000, v66
	; wave barrier
	s_delay_alu instid0(VALU_DEP_1) | instskip(NEXT) | instid1(VALU_DEP_1)
	v_lshrrev_b32_e32 v62, s49, v183
	v_and_b32_e32 v66, s48, v62
	s_delay_alu instid0(VALU_DEP_1) | instskip(SKIP_1) | instid1(VALU_DEP_1)
	v_lshlrev_b32_e32 v67, 30, v66
	v_bitop3_b32 v63, v62, 1, s48 bitop3:0x80
	v_add_co_u32 v62, s15, v63, -1
	s_delay_alu instid0(VALU_DEP_1) | instskip(NEXT) | instid1(VALU_DEP_4)
	v_cndmask_b32_e64 v63, 0, 1, s15
	v_cmp_gt_i32_e64 s15, 0, v67
	s_delay_alu instid0(VALU_DEP_2) | instskip(SKIP_1) | instid1(VALU_DEP_1)
	v_cmp_ne_u32_e32 vcc_lo, 0, v63
	v_not_b32_e32 v63, v67
	v_dual_ashrrev_i32 v63, 31, v63 :: v_dual_lshlrev_b32 v68, 29, v66
	v_dual_lshlrev_b32 v69, 28, v66 :: v_dual_lshlrev_b32 v187, 27, v66
	v_dual_lshlrev_b32 v188, 26, v66 :: v_dual_lshlrev_b32 v189, 25, v66
	v_lshlrev_b32_e32 v190, 24, v66
	s_delay_alu instid0(VALU_DEP_4)
	v_cmp_gt_i32_e64 s16, 0, v68
	v_not_b32_e32 v67, v68
	v_not_b32_e32 v68, v69
	v_cmp_gt_i32_e64 s17, 0, v69
	v_cmp_gt_i32_e64 s18, 0, v187
	v_not_b32_e32 v69, v187
	v_not_b32_e32 v187, v188
	v_dual_ashrrev_i32 v67, 31, v67 :: v_dual_bitop2_b32 v62, vcc_lo, v62 bitop3:0x14
	v_dual_ashrrev_i32 v68, 31, v68 :: v_dual_bitop2_b32 v63, s15, v63 bitop3:0x14
	v_cmp_gt_i32_e64 s19, 0, v188
	s_delay_alu instid0(VALU_DEP_4) | instskip(NEXT) | instid1(VALU_DEP_4)
	v_dual_ashrrev_i32 v69, 31, v69 :: v_dual_ashrrev_i32 v187, 31, v187
	v_xor_b32_e32 v67, s16, v67
	s_delay_alu instid0(VALU_DEP_4)
	v_bitop3_b32 v62, v62, v63, exec_lo bitop3:0x80
	v_not_b32_e32 v63, v189
	v_xor_b32_e32 v68, s17, v68
	v_not_b32_e32 v188, v190
	v_cmp_gt_i32_e64 s20, 0, v189
	v_xor_b32_e32 v69, s18, v69
	v_xor_b32_e32 v187, s19, v187
	v_ashrrev_i32_e32 v63, 31, v63
	v_bitop3_b32 v62, v62, v68, v67 bitop3:0x80
	v_cmp_gt_i32_e32 vcc_lo, 0, v190
	v_ashrrev_i32_e32 v67, 31, v188
	v_mad_u32_u24 v68, v66, 36, v25
	v_xor_b32_e32 v63, s20, v63
	v_bitop3_b32 v62, v62, v187, v69 bitop3:0x80
	s_delay_alu instid0(VALU_DEP_4) | instskip(SKIP_3) | instid1(VALU_DEP_2)
	v_xor_b32_e32 v67, vcc_lo, v67
	ds_load_b32 v188, v68 offset:1056
	; wave barrier
	v_bitop3_b32 v62, v62, v67, v63 bitop3:0x80
	v_mul_u32_u24_e32 v63, 36, v66
	v_mbcnt_lo_u32_b32 v189, v62, 0
	v_cmp_ne_u32_e64 s15, 0, v62
	s_delay_alu instid0(VALU_DEP_3) | instskip(NEXT) | instid1(VALU_DEP_3)
	v_add_nc_u32_e32 v190, v25, v63
	v_cmp_eq_u32_e32 vcc_lo, 0, v189
	s_and_b32 s16, s15, vcc_lo
	s_delay_alu instid0(SALU_CYCLE_1)
	s_and_saveexec_b32 s15, s16
	s_cbranch_execz .LBB626_1044
; %bb.1043:                             ;   in Loop: Header=BB626_982 Depth=2
	s_wait_dscnt 0x0
	v_bcnt_u32_b32 v62, v62, v188
	ds_store_b32 v190, v62 offset:1056
.LBB626_1044:                           ;   in Loop: Header=BB626_982 Depth=2
	s_or_b32 exec_lo, exec_lo, s15
	v_xor_b32_e32 v187, 0x80000000, v65
	; wave barrier
	s_delay_alu instid0(VALU_DEP_1) | instskip(NEXT) | instid1(VALU_DEP_1)
	v_lshrrev_b32_e32 v62, s49, v187
	v_bitop3_b32 v63, v62, 1, s48 bitop3:0x80
	v_and_b32_e32 v65, s48, v62
	s_delay_alu instid0(VALU_DEP_2) | instskip(NEXT) | instid1(VALU_DEP_2)
	v_add_co_u32 v62, s15, v63, -1
	v_lshlrev_b32_e32 v63, 30, v65
	v_cndmask_b32_e64 v193, 0, 1, s15
	s_delay_alu instid0(VALU_DEP_2) | instskip(SKIP_1) | instid1(VALU_DEP_3)
	v_cmp_gt_i32_e32 vcc_lo, 0, v63
	v_not_b32_e32 v63, v63
	v_cmp_ne_u32_e64 s19, 0, v193
	s_delay_alu instid0(VALU_DEP_2) | instskip(SKIP_3) | instid1(VALU_DEP_4)
	v_dual_ashrrev_i32 v63, 31, v63 :: v_dual_lshlrev_b32 v66, 29, v65
	v_dual_lshlrev_b32 v67, 28, v65 :: v_dual_lshlrev_b32 v68, 27, v65
	v_dual_lshlrev_b32 v69, 26, v65 :: v_dual_lshlrev_b32 v191, 25, v65
	v_lshlrev_b32_e32 v192, 24, v65
	v_cmp_gt_i32_e64 s15, 0, v66
	v_not_b32_e32 v66, v66
	v_cmp_gt_i32_e64 s16, 0, v67
	v_not_b32_e32 v67, v67
	;; [unrolled: 2-line block ×4, first 2 shown]
	v_dual_ashrrev_i32 v66, 31, v66 :: v_dual_ashrrev_i32 v67, 31, v67
	s_delay_alu instid0(VALU_DEP_4) | instskip(NEXT) | instid1(VALU_DEP_3)
	v_dual_ashrrev_i32 v68, 31, v68 :: v_dual_bitop2_b32 v62, s19, v62 bitop3:0x14
	v_dual_ashrrev_i32 v69, 31, v69 :: v_dual_bitop2_b32 v63, vcc_lo, v63 bitop3:0x14
	v_cmp_gt_i32_e64 s20, 0, v191
	s_delay_alu instid0(VALU_DEP_4) | instskip(SKIP_1) | instid1(VALU_DEP_4)
	v_xor_b32_e32 v67, s16, v67
	v_cmp_gt_i32_e32 vcc_lo, 0, v192
	v_bitop3_b32 v62, v62, v63, exec_lo bitop3:0x80
	v_not_b32_e32 v63, v191
	v_xor_b32_e32 v66, s15, v66
	v_not_b32_e32 v191, v192
	v_xor_b32_e32 v68, s17, v68
	s_delay_alu instid0(VALU_DEP_4) | instskip(NEXT) | instid1(VALU_DEP_4)
	v_dual_ashrrev_i32 v63, 31, v63 :: v_dual_bitop2_b32 v69, s18, v69 bitop3:0x14
	v_bitop3_b32 v62, v62, v67, v66 bitop3:0x80
	s_delay_alu instid0(VALU_DEP_4) | instskip(SKIP_1) | instid1(VALU_DEP_4)
	v_ashrrev_i32_e32 v66, 31, v191
	v_mad_u32_u24 v67, v65, 36, v25
	v_xor_b32_e32 v63, s20, v63
	s_delay_alu instid0(VALU_DEP_4) | instskip(NEXT) | instid1(VALU_DEP_4)
	v_bitop3_b32 v62, v62, v69, v68 bitop3:0x80
	v_xor_b32_e32 v66, vcc_lo, v66
	ds_load_b32 v192, v67 offset:1056
	; wave barrier
	v_bitop3_b32 v62, v62, v66, v63 bitop3:0x80
	v_mul_u32_u24_e32 v63, 36, v65
	s_delay_alu instid0(VALU_DEP_2) | instskip(SKIP_1) | instid1(VALU_DEP_3)
	v_mbcnt_lo_u32_b32 v193, v62, 0
	v_cmp_ne_u32_e64 s15, 0, v62
	v_add_nc_u32_e32 v194, v25, v63
	s_delay_alu instid0(VALU_DEP_3) | instskip(SKIP_1) | instid1(SALU_CYCLE_1)
	v_cmp_eq_u32_e32 vcc_lo, 0, v193
	s_and_b32 s16, s15, vcc_lo
	s_and_saveexec_b32 s15, s16
	s_cbranch_execz .LBB626_1046
; %bb.1045:                             ;   in Loop: Header=BB626_982 Depth=2
	s_wait_dscnt 0x0
	v_bcnt_u32_b32 v62, v62, v192
	ds_store_b32 v194, v62 offset:1056
.LBB626_1046:                           ;   in Loop: Header=BB626_982 Depth=2
	s_or_b32 exec_lo, exec_lo, s15
	v_xor_b32_e32 v191, 0x80000000, v64
	; wave barrier
	s_delay_alu instid0(VALU_DEP_1) | instskip(NEXT) | instid1(VALU_DEP_1)
	v_lshrrev_b32_e32 v62, s49, v191
	v_and_b32_e32 v64, s48, v62
	s_delay_alu instid0(VALU_DEP_1) | instskip(SKIP_1) | instid1(VALU_DEP_1)
	v_lshlrev_b32_e32 v65, 30, v64
	v_bitop3_b32 v63, v62, 1, s48 bitop3:0x80
	v_add_co_u32 v62, s15, v63, -1
	s_delay_alu instid0(VALU_DEP_1) | instskip(NEXT) | instid1(VALU_DEP_4)
	v_cndmask_b32_e64 v63, 0, 1, s15
	v_cmp_gt_i32_e64 s15, 0, v65
	s_delay_alu instid0(VALU_DEP_2) | instskip(SKIP_1) | instid1(VALU_DEP_1)
	v_cmp_ne_u32_e32 vcc_lo, 0, v63
	v_not_b32_e32 v63, v65
	v_dual_ashrrev_i32 v63, 31, v63 :: v_dual_lshlrev_b32 v66, 29, v64
	v_dual_lshlrev_b32 v67, 28, v64 :: v_dual_lshlrev_b32 v68, 27, v64
	v_dual_lshlrev_b32 v69, 26, v64 :: v_dual_lshlrev_b32 v195, 25, v64
	v_lshlrev_b32_e32 v196, 24, v64
	s_delay_alu instid0(VALU_DEP_4)
	v_cmp_gt_i32_e64 s16, 0, v66
	v_not_b32_e32 v65, v66
	v_not_b32_e32 v66, v67
	v_cmp_gt_i32_e64 s17, 0, v67
	v_cmp_gt_i32_e64 s18, 0, v68
	v_not_b32_e32 v67, v68
	v_not_b32_e32 v68, v69
	v_dual_ashrrev_i32 v65, 31, v65 :: v_dual_bitop2_b32 v62, vcc_lo, v62 bitop3:0x14
	v_dual_ashrrev_i32 v66, 31, v66 :: v_dual_bitop2_b32 v63, s15, v63 bitop3:0x14
	v_cmp_gt_i32_e64 s19, 0, v69
	s_delay_alu instid0(VALU_DEP_4) | instskip(SKIP_1) | instid1(VALU_DEP_4)
	v_dual_ashrrev_i32 v67, 31, v67 :: v_dual_ashrrev_i32 v68, 31, v68
	v_not_b32_e32 v69, v196
	v_xor_b32_e32 v66, s17, v66
	v_bitop3_b32 v62, v62, v63, exec_lo bitop3:0x80
	v_not_b32_e32 v63, v195
	v_xor_b32_e32 v65, s16, v65
	v_cmp_gt_i32_e64 s20, 0, v195
	v_xor_b32_e32 v67, s18, v67
	s_delay_alu instid0(VALU_DEP_4) | instskip(NEXT) | instid1(VALU_DEP_4)
	v_dual_ashrrev_i32 v63, 31, v63 :: v_dual_bitop2_b32 v68, s19, v68 bitop3:0x14
	v_bitop3_b32 v62, v62, v66, v65 bitop3:0x80
	v_cmp_gt_i32_e32 vcc_lo, 0, v196
	v_ashrrev_i32_e32 v65, 31, v69
	v_mad_u32_u24 v66, v64, 36, v25
	v_xor_b32_e32 v63, s20, v63
	v_bitop3_b32 v62, v62, v68, v67 bitop3:0x80
	s_delay_alu instid0(VALU_DEP_4) | instskip(SKIP_3) | instid1(VALU_DEP_2)
	v_xor_b32_e32 v65, vcc_lo, v65
	ds_load_b32 v195, v66 offset:1056
	; wave barrier
	v_bitop3_b32 v62, v62, v65, v63 bitop3:0x80
	v_mul_u32_u24_e32 v63, 36, v64
	v_mbcnt_lo_u32_b32 v196, v62, 0
	v_cmp_ne_u32_e64 s15, 0, v62
	s_delay_alu instid0(VALU_DEP_3) | instskip(NEXT) | instid1(VALU_DEP_3)
	v_add_nc_u32_e32 v197, v25, v63
	v_cmp_eq_u32_e32 vcc_lo, 0, v196
	s_and_b32 s16, s15, vcc_lo
	s_delay_alu instid0(SALU_CYCLE_1)
	s_and_saveexec_b32 s15, s16
	s_cbranch_execz .LBB626_1048
; %bb.1047:                             ;   in Loop: Header=BB626_982 Depth=2
	s_wait_dscnt 0x0
	v_bcnt_u32_b32 v62, v62, v195
	ds_store_b32 v197, v62 offset:1056
.LBB626_1048:                           ;   in Loop: Header=BB626_982 Depth=2
	s_or_b32 exec_lo, exec_lo, s15
	v_lshrrev_b32_e32 v62, s49, v138
	; wave barrier
	s_delay_alu instid0(VALU_DEP_1) | instskip(NEXT) | instid1(VALU_DEP_1)
	v_and_b32_e32 v64, s48, v62
	v_lshlrev_b32_e32 v65, 30, v64
	v_bitop3_b32 v63, v62, 1, s48 bitop3:0x80
	s_delay_alu instid0(VALU_DEP_1) | instskip(NEXT) | instid1(VALU_DEP_1)
	v_add_co_u32 v62, s15, v63, -1
	v_cndmask_b32_e64 v63, 0, 1, s15
	s_delay_alu instid0(VALU_DEP_4) | instskip(NEXT) | instid1(VALU_DEP_2)
	v_cmp_gt_i32_e64 s15, 0, v65
	v_cmp_ne_u32_e32 vcc_lo, 0, v63
	v_not_b32_e32 v63, v65
	s_delay_alu instid0(VALU_DEP_1) | instskip(SKIP_3) | instid1(VALU_DEP_4)
	v_dual_ashrrev_i32 v63, 31, v63 :: v_dual_lshlrev_b32 v66, 29, v64
	v_dual_lshlrev_b32 v67, 28, v64 :: v_dual_lshlrev_b32 v68, 27, v64
	v_dual_lshlrev_b32 v69, 26, v64 :: v_dual_lshlrev_b32 v198, 25, v64
	v_lshlrev_b32_e32 v199, 24, v64
	v_cmp_gt_i32_e64 s16, 0, v66
	v_not_b32_e32 v65, v66
	v_not_b32_e32 v66, v67
	v_cmp_gt_i32_e64 s17, 0, v67
	v_xor_b32_e32 v62, vcc_lo, v62
	s_delay_alu instid0(VALU_DEP_4) | instskip(NEXT) | instid1(VALU_DEP_4)
	v_dual_ashrrev_i32 v65, 31, v65 :: v_dual_bitop2_b32 v63, s15, v63 bitop3:0x14
	v_ashrrev_i32_e32 v66, 31, v66
	v_cmp_gt_i32_e64 s18, 0, v68
	v_not_b32_e32 v67, v68
	v_not_b32_e32 v68, v69
	v_xor_b32_e32 v65, s16, v65
	v_xor_b32_e32 v66, s17, v66
	v_bitop3_b32 v62, v62, v63, exec_lo bitop3:0x80
	v_ashrrev_i32_e32 v63, 31, v67
	v_cmp_gt_i32_e32 vcc_lo, 0, v69
	v_ashrrev_i32_e32 v67, 31, v68
	v_not_b32_e32 v68, v198
	v_bitop3_b32 v62, v62, v66, v65 bitop3:0x80
	v_not_b32_e32 v65, v199
	v_xor_b32_e32 v63, s18, v63
	v_xor_b32_e32 v66, vcc_lo, v67
	v_cmp_gt_i32_e32 vcc_lo, 0, v198
	v_ashrrev_i32_e32 v67, 31, v68
	v_cmp_gt_i32_e64 s15, 0, v199
	v_ashrrev_i32_e32 v65, 31, v65
	v_mad_u32_u24 v68, v64, 36, v25
	v_bitop3_b32 v62, v62, v66, v63 bitop3:0x80
	v_xor_b32_e32 v63, vcc_lo, v67
	s_delay_alu instid0(VALU_DEP_4) | instskip(SKIP_3) | instid1(VALU_DEP_2)
	v_xor_b32_e32 v65, s15, v65
	ds_load_b32 v198, v68 offset:1056
	; wave barrier
	v_bitop3_b32 v62, v62, v65, v63 bitop3:0x80
	v_mul_u32_u24_e32 v63, 36, v64
	v_mbcnt_lo_u32_b32 v199, v62, 0
	v_cmp_ne_u32_e64 s15, 0, v62
	s_delay_alu instid0(VALU_DEP_3) | instskip(NEXT) | instid1(VALU_DEP_3)
	v_add_nc_u32_e32 v200, v25, v63
	v_cmp_eq_u32_e32 vcc_lo, 0, v199
	s_and_b32 s16, s15, vcc_lo
	s_delay_alu instid0(SALU_CYCLE_1)
	s_and_saveexec_b32 s15, s16
	s_cbranch_execz .LBB626_1050
; %bb.1049:                             ;   in Loop: Header=BB626_982 Depth=2
	s_wait_dscnt 0x0
	v_bcnt_u32_b32 v62, v62, v198
	ds_store_b32 v200, v62 offset:1056
.LBB626_1050:                           ;   in Loop: Header=BB626_982 Depth=2
	s_or_b32 exec_lo, exec_lo, s15
	; wave barrier
	s_wait_dscnt 0x0
	s_barrier_signal -1
	s_barrier_wait -1
	ds_load_2addr_b32 v[68:69], v117 offset1:1
	ds_load_2addr_b32 v[66:67], v118 offset1:1
	;; [unrolled: 1-line block ×4, first 2 shown]
	ds_load_b32 v201, v91 offset:1088
	s_wait_dscnt 0x3
	v_add3_u32 v202, v69, v68, v66
	s_wait_dscnt 0x2
	s_delay_alu instid0(VALU_DEP_1) | instskip(SKIP_1) | instid1(VALU_DEP_1)
	v_add3_u32 v202, v202, v67, v64
	s_wait_dscnt 0x1
	v_add3_u32 v202, v202, v65, v62
	s_wait_dscnt 0x0
	s_delay_alu instid0(VALU_DEP_1) | instskip(NEXT) | instid1(VALU_DEP_1)
	v_add3_u32 v201, v202, v63, v201
	v_mov_b32_dpp v202, v201 row_shr:1 row_mask:0xf bank_mask:0xf
	s_delay_alu instid0(VALU_DEP_1) | instskip(NEXT) | instid1(VALU_DEP_1)
	v_cndmask_b32_e64 v202, v202, 0, s7
	v_add_nc_u32_e32 v201, v202, v201
	s_delay_alu instid0(VALU_DEP_1) | instskip(NEXT) | instid1(VALU_DEP_1)
	v_mov_b32_dpp v202, v201 row_shr:2 row_mask:0xf bank_mask:0xf
	v_cndmask_b32_e64 v202, 0, v202, s8
	s_delay_alu instid0(VALU_DEP_1) | instskip(NEXT) | instid1(VALU_DEP_1)
	v_add_nc_u32_e32 v201, v201, v202
	v_mov_b32_dpp v202, v201 row_shr:4 row_mask:0xf bank_mask:0xf
	s_delay_alu instid0(VALU_DEP_1) | instskip(NEXT) | instid1(VALU_DEP_1)
	v_cndmask_b32_e64 v202, 0, v202, s9
	v_add_nc_u32_e32 v201, v201, v202
	s_delay_alu instid0(VALU_DEP_1) | instskip(NEXT) | instid1(VALU_DEP_1)
	v_mov_b32_dpp v202, v201 row_shr:8 row_mask:0xf bank_mask:0xf
	v_cndmask_b32_e64 v202, 0, v202, s10
	s_delay_alu instid0(VALU_DEP_1) | instskip(SKIP_3) | instid1(VALU_DEP_1)
	v_add_nc_u32_e32 v201, v201, v202
	ds_swizzle_b32 v202, v201 offset:swizzle(BROADCAST,32,15)
	s_wait_dscnt 0x0
	v_cndmask_b32_e64 v202, v202, 0, s11
	v_add_nc_u32_e32 v201, v201, v202
	s_and_saveexec_b32 s15, s1
; %bb.1051:                             ;   in Loop: Header=BB626_982 Depth=2
	ds_store_b32 v85, v201 offset:1024
; %bb.1052:                             ;   in Loop: Header=BB626_982 Depth=2
	s_or_b32 exec_lo, exec_lo, s15
	s_wait_dscnt 0x0
	s_barrier_signal -1
	s_barrier_wait -1
	s_and_saveexec_b32 s15, s4
	s_cbranch_execz .LBB626_1054
; %bb.1053:                             ;   in Loop: Header=BB626_982 Depth=2
	ds_load_b32 v202, v93 offset:1024
	s_wait_dscnt 0x0
	v_mov_b32_dpp v203, v202 row_shr:1 row_mask:0xf bank_mask:0xf
	s_delay_alu instid0(VALU_DEP_1) | instskip(NEXT) | instid1(VALU_DEP_1)
	v_cndmask_b32_e64 v203, v203, 0, s12
	v_add_nc_u32_e32 v202, v203, v202
	s_delay_alu instid0(VALU_DEP_1) | instskip(NEXT) | instid1(VALU_DEP_1)
	v_mov_b32_dpp v203, v202 row_shr:2 row_mask:0xf bank_mask:0xf
	v_cndmask_b32_e64 v203, 0, v203, s13
	s_delay_alu instid0(VALU_DEP_1) | instskip(NEXT) | instid1(VALU_DEP_1)
	v_add_nc_u32_e32 v202, v202, v203
	v_mov_b32_dpp v203, v202 row_shr:4 row_mask:0xf bank_mask:0xf
	s_delay_alu instid0(VALU_DEP_1) | instskip(NEXT) | instid1(VALU_DEP_1)
	v_cndmask_b32_e64 v203, 0, v203, s14
	v_add_nc_u32_e32 v202, v202, v203
	ds_store_b32 v93, v202 offset:1024
.LBB626_1054:                           ;   in Loop: Header=BB626_982 Depth=2
	s_or_b32 exec_lo, exec_lo, s15
	v_mov_b32_e32 v202, 0
	s_wait_dscnt 0x0
	s_barrier_signal -1
	s_barrier_wait -1
	s_and_saveexec_b32 s15, s5
; %bb.1055:                             ;   in Loop: Header=BB626_982 Depth=2
	ds_load_b32 v202, v85 offset:1020
; %bb.1056:                             ;   in Loop: Header=BB626_982 Depth=2
	s_or_b32 exec_lo, exec_lo, s15
	s_wait_dscnt 0x0
	v_add_nc_u32_e32 v201, v202, v201
	ds_bpermute_b32 v201, v120, v201
	s_wait_dscnt 0x0
	v_cndmask_b32_e64 v201, v201, v202, s6
	s_delay_alu instid0(VALU_DEP_1) | instskip(NEXT) | instid1(VALU_DEP_1)
	v_cndmask_b32_e64 v201, v201, 0, s2
	v_add_nc_u32_e32 v68, v201, v68
	s_delay_alu instid0(VALU_DEP_1) | instskip(NEXT) | instid1(VALU_DEP_1)
	v_add_nc_u32_e32 v69, v68, v69
	v_add_nc_u32_e32 v66, v69, v66
	s_delay_alu instid0(VALU_DEP_1) | instskip(NEXT) | instid1(VALU_DEP_1)
	v_add_nc_u32_e32 v67, v66, v67
	;; [unrolled: 3-line block ×3, first 2 shown]
	v_add_nc_u32_e32 v62, v65, v62
	s_delay_alu instid0(VALU_DEP_1)
	v_add_nc_u32_e32 v63, v62, v63
	ds_store_2addr_b32 v5, v65, v62 offset1:1
	ds_store_2addr_b32 v117, v201, v68 offset1:1
	;; [unrolled: 1-line block ×4, first 2 shown]
	ds_store_b32 v91, v63 offset:1088
	s_wait_dscnt 0x0
	s_barrier_signal -1
	s_barrier_wait -1
	ds_load_b32 v65, v142 offset:1056
	ds_load_b32 v67, v146 offset:1056
	;; [unrolled: 1-line block ×17, first 2 shown]
	v_mov_b32_e32 v64, 0x1000
	s_and_saveexec_b32 s15, s3
; %bb.1057:                             ;   in Loop: Header=BB626_982 Depth=2
	ds_load_b32 v64, v91 offset:1092
; %bb.1058:                             ;   in Loop: Header=BB626_982 Depth=2
	s_or_b32 exec_lo, exec_lo, s15
	s_wait_dscnt 0x0
	s_barrier_signal -1
	s_barrier_wait -1
	s_and_saveexec_b32 s15, s0
	s_cbranch_execz .LBB626_1060
; %bb.1059:                             ;   in Loop: Header=BB626_982 Depth=2
	ds_load_b32 v154, v4
	s_wait_dscnt 0x0
	v_sub_nc_u32_e32 v150, v154, v150
	ds_store_b32 v4, v150
.LBB626_1060:                           ;   in Loop: Header=BB626_982 Depth=2
	s_or_b32 exec_lo, exec_lo, s15
	v_add3_u32 v158, v145, v144, v67
	v_add_nc_u32_e32 v162, v65, v141
	v_add3_u32 v154, v149, v148, v68
	v_add3_u32 v150, v153, v152, v69
	;; [unrolled: 1-line block ×4, first 2 shown]
	v_lshlrev_b32_e32 v62, 2, v158
	v_lshlrev_b32_e32 v152, 2, v162
	v_add3_u32 v149, v157, v156, v142
	v_add3_u32 v146, v165, v164, v201
	;; [unrolled: 1-line block ×4, first 2 shown]
	v_lshlrev_b32_e32 v63, 2, v154
	v_add3_u32 v144, v173, v172, v174
	v_lshlrev_b32_e32 v153, 2, v148
	ds_store_b32 v152, v139 offset:1024
	v_lshlrev_b32_e32 v139, 2, v150
	v_add3_u32 v142, v177, v176, v178
	v_lshlrev_b32_e32 v152, 2, v149
	v_add3_u32 v141, v181, v180, v182
	v_add3_u32 v65, v185, v184, v186
	ds_store_b32 v62, v140 offset:1024
	ds_store_b32 v63, v143 offset:1024
	;; [unrolled: 1-line block ×5, first 2 shown]
	v_dual_lshlrev_b32 v62, 2, v146 :: v_dual_lshlrev_b32 v139, 2, v144
	v_lshlrev_b32_e32 v63, 2, v145
	v_add3_u32 v67, v196, v195, v66
	v_dual_lshlrev_b32 v140, 2, v142 :: v_dual_lshlrev_b32 v143, 2, v141
	v_add3_u32 v66, v199, v198, v166
	ds_store_b32 v62, v159 offset:1024
	ds_store_b32 v63, v163 offset:1024
	;; [unrolled: 1-line block ×5, first 2 shown]
	v_dual_lshlrev_b32 v62, 2, v65 :: v_dual_lshlrev_b32 v139, 2, v68
	v_cmp_lt_u32_e32 vcc_lo, v2, v137
	v_dual_lshlrev_b32 v63, 2, v69 :: v_dual_lshlrev_b32 v140, 2, v67
	v_lshlrev_b32_e32 v143, 2, v66
	ds_store_b32 v62, v179 offset:1024
	ds_store_b32 v63, v183 offset:1024
	;; [unrolled: 1-line block ×5, first 2 shown]
	s_wait_dscnt 0x0
	s_barrier_signal -1
	s_barrier_wait -1
	s_and_saveexec_b32 s15, vcc_lo
	s_cbranch_execnz .LBB626_1129
; %bb.1061:                             ;   in Loop: Header=BB626_982 Depth=2
	s_or_b32 exec_lo, exec_lo, s15
	v_cmp_lt_u32_e64 s15, v3, v137
	s_and_saveexec_b32 s16, s15
	s_cbranch_execnz .LBB626_1130
.LBB626_1062:                           ;   in Loop: Header=BB626_982 Depth=2
	s_or_b32 exec_lo, exec_lo, s16
	v_cmp_lt_u32_e64 s16, v70, v137
	s_and_saveexec_b32 s17, s16
	s_cbranch_execnz .LBB626_1131
.LBB626_1063:                           ;   in Loop: Header=BB626_982 Depth=2
	s_or_b32 exec_lo, exec_lo, s17
	v_cmp_lt_u32_e64 s17, v71, v137
	s_and_saveexec_b32 s18, s17
	s_cbranch_execnz .LBB626_1132
.LBB626_1064:                           ;   in Loop: Header=BB626_982 Depth=2
	s_or_b32 exec_lo, exec_lo, s18
	v_cmp_lt_u32_e64 s18, v72, v137
	s_and_saveexec_b32 s19, s18
	s_cbranch_execnz .LBB626_1133
.LBB626_1065:                           ;   in Loop: Header=BB626_982 Depth=2
	s_or_b32 exec_lo, exec_lo, s19
	v_cmp_lt_u32_e64 s19, v73, v137
	s_and_saveexec_b32 s20, s19
	s_cbranch_execnz .LBB626_1134
.LBB626_1066:                           ;   in Loop: Header=BB626_982 Depth=2
	s_or_b32 exec_lo, exec_lo, s20
	v_cmp_lt_u32_e64 s20, v74, v137
	s_and_saveexec_b32 s21, s20
	s_cbranch_execnz .LBB626_1135
.LBB626_1067:                           ;   in Loop: Header=BB626_982 Depth=2
	s_or_b32 exec_lo, exec_lo, s21
	v_cmp_lt_u32_e64 s21, v75, v137
	s_and_saveexec_b32 s22, s21
	s_cbranch_execnz .LBB626_1136
.LBB626_1068:                           ;   in Loop: Header=BB626_982 Depth=2
	s_or_b32 exec_lo, exec_lo, s22
	v_cmp_lt_u32_e64 s22, v76, v137
	s_and_saveexec_b32 s23, s22
	s_cbranch_execnz .LBB626_1137
.LBB626_1069:                           ;   in Loop: Header=BB626_982 Depth=2
	s_or_b32 exec_lo, exec_lo, s23
	v_cmp_lt_u32_e64 s23, v77, v137
	s_and_saveexec_b32 s24, s23
	s_cbranch_execnz .LBB626_1138
.LBB626_1070:                           ;   in Loop: Header=BB626_982 Depth=2
	s_or_b32 exec_lo, exec_lo, s24
	v_cmp_lt_u32_e64 s24, v78, v137
	s_and_saveexec_b32 s25, s24
	s_cbranch_execnz .LBB626_1139
.LBB626_1071:                           ;   in Loop: Header=BB626_982 Depth=2
	s_or_b32 exec_lo, exec_lo, s25
	v_cmp_lt_u32_e64 s25, v79, v137
	s_and_saveexec_b32 s26, s25
	s_cbranch_execnz .LBB626_1140
.LBB626_1072:                           ;   in Loop: Header=BB626_982 Depth=2
	s_or_b32 exec_lo, exec_lo, s26
	v_cmp_lt_u32_e64 s26, v80, v137
	s_and_saveexec_b32 s27, s26
	s_cbranch_execnz .LBB626_1141
.LBB626_1073:                           ;   in Loop: Header=BB626_982 Depth=2
	s_or_b32 exec_lo, exec_lo, s27
	v_cmp_lt_u32_e64 s27, v81, v137
	s_and_saveexec_b32 s28, s27
	s_cbranch_execnz .LBB626_1142
.LBB626_1074:                           ;   in Loop: Header=BB626_982 Depth=2
	s_or_b32 exec_lo, exec_lo, s28
	v_cmp_lt_u32_e64 s28, v82, v137
	s_and_saveexec_b32 s29, s28
	s_cbranch_execnz .LBB626_1143
.LBB626_1075:                           ;   in Loop: Header=BB626_982 Depth=2
	s_or_b32 exec_lo, exec_lo, s29
	v_cmp_lt_u32_e64 s29, v83, v137
	s_and_saveexec_b32 s57, s29
	s_cbranch_execz .LBB626_1077
.LBB626_1076:                           ;   in Loop: Header=BB626_982 Depth=2
	ds_load_b32 v62, v93 offset:16384
	s_wait_dscnt 0x0
	v_lshrrev_b32_e32 v63, s49, v62
	v_xor_b32_e32 v62, 0x80000000, v62
	s_delay_alu instid0(VALU_DEP_2) | instskip(NEXT) | instid1(VALU_DEP_1)
	v_and_b32_e32 v63, s48, v63
	v_lshlrev_b32_e32 v63, 2, v63
	ds_load_b32 v63, v63
	s_wait_dscnt 0x0
	v_add_nc_u32_e32 v63, v63, v83
	global_store_b32 v63, v62, s[40:41] scale_offset
.LBB626_1077:                           ;   in Loop: Header=BB626_982 Depth=2
	s_wait_xcnt 0x0
	s_or_b32 exec_lo, exec_lo, s57
	v_lshl_add_u64 v[62:63], s[30:31], 3, v[26:27]
	v_cmp_lt_u32_e64 s30, v99, v137
	s_and_saveexec_b32 s57, s30
	s_delay_alu instid0(SALU_CYCLE_1)
	s_xor_b32 s30, exec_lo, s57
	s_cbranch_execnz .LBB626_1144
; %bb.1078:                             ;   in Loop: Header=BB626_982 Depth=2
	s_or_b32 exec_lo, exec_lo, s30
	s_delay_alu instid0(SALU_CYCLE_1)
	s_mov_b32 s57, exec_lo
	v_cmpx_lt_u32_e64 v102, v137
	s_cbranch_execnz .LBB626_1145
.LBB626_1079:                           ;   in Loop: Header=BB626_982 Depth=2
	s_or_b32 exec_lo, exec_lo, s57
	s_delay_alu instid0(SALU_CYCLE_1)
	s_mov_b32 s57, exec_lo
	v_cmpx_lt_u32_e64 v103, v137
	s_cbranch_execnz .LBB626_1146
.LBB626_1080:                           ;   in Loop: Header=BB626_982 Depth=2
	s_or_b32 exec_lo, exec_lo, s57
	s_delay_alu instid0(SALU_CYCLE_1)
	s_mov_b32 s57, exec_lo
	v_cmpx_lt_u32_e64 v104, v137
	s_cbranch_execnz .LBB626_1147
.LBB626_1081:                           ;   in Loop: Header=BB626_982 Depth=2
	s_or_b32 exec_lo, exec_lo, s57
	s_delay_alu instid0(SALU_CYCLE_1)
	s_mov_b32 s57, exec_lo
	v_cmpx_lt_u32_e64 v105, v137
	s_cbranch_execnz .LBB626_1148
.LBB626_1082:                           ;   in Loop: Header=BB626_982 Depth=2
	s_or_b32 exec_lo, exec_lo, s57
	s_delay_alu instid0(SALU_CYCLE_1)
	s_mov_b32 s57, exec_lo
	v_cmpx_lt_u32_e64 v106, v137
	s_cbranch_execnz .LBB626_1149
.LBB626_1083:                           ;   in Loop: Header=BB626_982 Depth=2
	s_or_b32 exec_lo, exec_lo, s57
	s_delay_alu instid0(SALU_CYCLE_1)
	s_mov_b32 s57, exec_lo
	v_cmpx_lt_u32_e64 v107, v137
	s_cbranch_execnz .LBB626_1150
.LBB626_1084:                           ;   in Loop: Header=BB626_982 Depth=2
	s_or_b32 exec_lo, exec_lo, s57
	s_delay_alu instid0(SALU_CYCLE_1)
	s_mov_b32 s57, exec_lo
	v_cmpx_lt_u32_e64 v108, v137
	s_cbranch_execnz .LBB626_1151
.LBB626_1085:                           ;   in Loop: Header=BB626_982 Depth=2
	s_or_b32 exec_lo, exec_lo, s57
	s_delay_alu instid0(SALU_CYCLE_1)
	s_mov_b32 s57, exec_lo
	v_cmpx_lt_u32_e64 v109, v137
	s_cbranch_execnz .LBB626_1152
.LBB626_1086:                           ;   in Loop: Header=BB626_982 Depth=2
	s_or_b32 exec_lo, exec_lo, s57
	s_delay_alu instid0(SALU_CYCLE_1)
	s_mov_b32 s57, exec_lo
	v_cmpx_lt_u32_e64 v110, v137
	s_cbranch_execnz .LBB626_1153
.LBB626_1087:                           ;   in Loop: Header=BB626_982 Depth=2
	s_or_b32 exec_lo, exec_lo, s57
	s_delay_alu instid0(SALU_CYCLE_1)
	s_mov_b32 s57, exec_lo
	v_cmpx_lt_u32_e64 v111, v137
	s_cbranch_execnz .LBB626_1154
.LBB626_1088:                           ;   in Loop: Header=BB626_982 Depth=2
	s_or_b32 exec_lo, exec_lo, s57
	s_delay_alu instid0(SALU_CYCLE_1)
	s_mov_b32 s57, exec_lo
	v_cmpx_lt_u32_e64 v112, v137
	s_cbranch_execnz .LBB626_1155
.LBB626_1089:                           ;   in Loop: Header=BB626_982 Depth=2
	s_or_b32 exec_lo, exec_lo, s57
	s_delay_alu instid0(SALU_CYCLE_1)
	s_mov_b32 s57, exec_lo
	v_cmpx_lt_u32_e64 v113, v137
	s_cbranch_execnz .LBB626_1156
.LBB626_1090:                           ;   in Loop: Header=BB626_982 Depth=2
	s_or_b32 exec_lo, exec_lo, s57
	s_delay_alu instid0(SALU_CYCLE_1)
	s_mov_b32 s57, exec_lo
	v_cmpx_lt_u32_e64 v114, v137
	s_cbranch_execnz .LBB626_1157
.LBB626_1091:                           ;   in Loop: Header=BB626_982 Depth=2
	s_or_b32 exec_lo, exec_lo, s57
	s_delay_alu instid0(SALU_CYCLE_1)
	s_mov_b32 s57, exec_lo
	v_cmpx_lt_u32_e64 v115, v137
	s_cbranch_execnz .LBB626_1158
.LBB626_1092:                           ;   in Loop: Header=BB626_982 Depth=2
	s_or_b32 exec_lo, exec_lo, s57
	s_delay_alu instid0(SALU_CYCLE_1)
	s_mov_b32 s57, exec_lo
	v_cmpx_lt_u32_e64 v116, v137
	s_cbranch_execnz .LBB626_1159
.LBB626_1093:                           ;   in Loop: Header=BB626_982 Depth=2
	s_or_b32 exec_lo, exec_lo, s57
	s_and_saveexec_b32 s30, vcc_lo
	s_cbranch_execnz .LBB626_1160
.LBB626_1094:                           ;   in Loop: Header=BB626_982 Depth=2
	s_or_b32 exec_lo, exec_lo, s30
	s_and_saveexec_b32 s30, s15
	s_cbranch_execnz .LBB626_1161
.LBB626_1095:                           ;   in Loop: Header=BB626_982 Depth=2
	s_or_b32 exec_lo, exec_lo, s30
	s_and_saveexec_b32 s30, s16
	s_cbranch_execnz .LBB626_1162
.LBB626_1096:                           ;   in Loop: Header=BB626_982 Depth=2
	s_or_b32 exec_lo, exec_lo, s30
	s_and_saveexec_b32 s30, s17
	s_cbranch_execnz .LBB626_1163
.LBB626_1097:                           ;   in Loop: Header=BB626_982 Depth=2
	s_or_b32 exec_lo, exec_lo, s30
	s_and_saveexec_b32 s30, s18
	s_cbranch_execnz .LBB626_1164
.LBB626_1098:                           ;   in Loop: Header=BB626_982 Depth=2
	s_or_b32 exec_lo, exec_lo, s30
	s_and_saveexec_b32 s30, s19
	s_cbranch_execnz .LBB626_1165
.LBB626_1099:                           ;   in Loop: Header=BB626_982 Depth=2
	s_or_b32 exec_lo, exec_lo, s30
	s_and_saveexec_b32 s30, s20
	s_cbranch_execnz .LBB626_1166
.LBB626_1100:                           ;   in Loop: Header=BB626_982 Depth=2
	s_or_b32 exec_lo, exec_lo, s30
	s_and_saveexec_b32 s30, s21
	s_cbranch_execnz .LBB626_1167
.LBB626_1101:                           ;   in Loop: Header=BB626_982 Depth=2
	s_or_b32 exec_lo, exec_lo, s30
	s_and_saveexec_b32 s30, s22
	s_cbranch_execnz .LBB626_1168
.LBB626_1102:                           ;   in Loop: Header=BB626_982 Depth=2
	s_or_b32 exec_lo, exec_lo, s30
	s_and_saveexec_b32 s30, s23
	s_cbranch_execnz .LBB626_1169
.LBB626_1103:                           ;   in Loop: Header=BB626_982 Depth=2
	s_or_b32 exec_lo, exec_lo, s30
	s_and_saveexec_b32 s30, s24
	s_cbranch_execnz .LBB626_1170
.LBB626_1104:                           ;   in Loop: Header=BB626_982 Depth=2
	s_or_b32 exec_lo, exec_lo, s30
	s_and_saveexec_b32 s30, s25
	s_cbranch_execnz .LBB626_1171
.LBB626_1105:                           ;   in Loop: Header=BB626_982 Depth=2
	s_or_b32 exec_lo, exec_lo, s30
	s_and_saveexec_b32 s30, s26
	s_cbranch_execnz .LBB626_1172
.LBB626_1106:                           ;   in Loop: Header=BB626_982 Depth=2
	s_or_b32 exec_lo, exec_lo, s30
	s_and_saveexec_b32 s30, s27
	s_cbranch_execnz .LBB626_1173
.LBB626_1107:                           ;   in Loop: Header=BB626_982 Depth=2
	s_or_b32 exec_lo, exec_lo, s30
	s_and_saveexec_b32 s30, s28
	s_cbranch_execnz .LBB626_1174
.LBB626_1108:                           ;   in Loop: Header=BB626_982 Depth=2
	s_or_b32 exec_lo, exec_lo, s30
	s_and_saveexec_b32 s30, s29
	s_cbranch_execz .LBB626_1110
.LBB626_1109:                           ;   in Loop: Header=BB626_982 Depth=2
	ds_load_b32 v62, v93 offset:16384
	s_wait_dscnt 0x0
	v_lshrrev_b32_e32 v62, s49, v62
	s_delay_alu instid0(VALU_DEP_1)
	v_and_b32_e32 v121, s48, v62
.LBB626_1110:                           ;   in Loop: Header=BB626_982 Depth=2
	s_or_b32 exec_lo, exec_lo, s30
	v_dual_lshlrev_b32 v62, 3, v162 :: v_dual_lshlrev_b32 v138, 3, v149
	s_wait_loadcnt 0x0
	s_wait_storecnt 0x0
	s_barrier_signal -1
	s_barrier_wait -1
	ds_store_b64 v62, v[60:61] offset:1024
	v_dual_lshlrev_b32 v62, 3, v158 :: v_dual_lshlrev_b32 v139, 3, v148
	v_lshlrev_b32_e32 v63, 3, v154
	v_lshlrev_b32_e32 v137, 3, v150
	ds_store_b64 v62, v[58:59] offset:1024
	ds_store_b64 v63, v[56:57] offset:1024
	;; [unrolled: 1-line block ×5, first 2 shown]
	v_dual_lshlrev_b32 v62, 3, v146 :: v_dual_lshlrev_b32 v139, 3, v141
	v_dual_lshlrev_b32 v63, 3, v145 :: v_dual_lshlrev_b32 v137, 3, v144
	v_lshlrev_b32_e32 v138, 3, v142
	ds_store_b64 v62, v[48:49] offset:1024
	ds_store_b64 v63, v[46:47] offset:1024
	;; [unrolled: 1-line block ×5, first 2 shown]
	v_lshlrev_b32_e32 v62, 3, v65
	v_dual_lshlrev_b32 v63, 3, v69 :: v_dual_lshlrev_b32 v65, 3, v68
	v_dual_lshlrev_b32 v67, 3, v67 :: v_dual_lshlrev_b32 v66, 3, v66
	ds_store_b64 v62, v[38:39] offset:1024
	ds_store_b64 v63, v[36:37] offset:1024
	;; [unrolled: 1-line block ×5, first 2 shown]
	v_add_nc_u32_e32 v62, v93, v4
	s_wait_dscnt 0x0
	s_barrier_signal -1
	s_barrier_wait -1
	s_and_saveexec_b32 s30, vcc_lo
	s_cbranch_execnz .LBB626_1175
; %bb.1111:                             ;   in Loop: Header=BB626_982 Depth=2
	s_or_b32 exec_lo, exec_lo, s30
	s_and_saveexec_b32 s30, s15
	s_cbranch_execnz .LBB626_1176
.LBB626_1112:                           ;   in Loop: Header=BB626_982 Depth=2
	s_or_b32 exec_lo, exec_lo, s30
	s_and_saveexec_b32 s15, s16
	s_cbranch_execnz .LBB626_1177
.LBB626_1113:                           ;   in Loop: Header=BB626_982 Depth=2
	s_or_b32 exec_lo, exec_lo, s15
	s_and_saveexec_b32 s15, s17
	s_cbranch_execnz .LBB626_1178
.LBB626_1114:                           ;   in Loop: Header=BB626_982 Depth=2
	s_or_b32 exec_lo, exec_lo, s15
	s_and_saveexec_b32 s15, s18
	s_cbranch_execnz .LBB626_1179
.LBB626_1115:                           ;   in Loop: Header=BB626_982 Depth=2
	s_or_b32 exec_lo, exec_lo, s15
	s_and_saveexec_b32 s15, s19
	s_cbranch_execnz .LBB626_1180
.LBB626_1116:                           ;   in Loop: Header=BB626_982 Depth=2
	s_or_b32 exec_lo, exec_lo, s15
	s_and_saveexec_b32 s15, s20
	s_cbranch_execnz .LBB626_1181
.LBB626_1117:                           ;   in Loop: Header=BB626_982 Depth=2
	s_or_b32 exec_lo, exec_lo, s15
	s_and_saveexec_b32 s15, s21
	s_cbranch_execnz .LBB626_1182
.LBB626_1118:                           ;   in Loop: Header=BB626_982 Depth=2
	s_or_b32 exec_lo, exec_lo, s15
	s_and_saveexec_b32 s15, s22
	s_cbranch_execnz .LBB626_1183
.LBB626_1119:                           ;   in Loop: Header=BB626_982 Depth=2
	s_or_b32 exec_lo, exec_lo, s15
	s_and_saveexec_b32 s15, s23
	s_cbranch_execnz .LBB626_1184
.LBB626_1120:                           ;   in Loop: Header=BB626_982 Depth=2
	s_or_b32 exec_lo, exec_lo, s15
	s_and_saveexec_b32 s15, s24
	s_cbranch_execnz .LBB626_1185
.LBB626_1121:                           ;   in Loop: Header=BB626_982 Depth=2
	s_or_b32 exec_lo, exec_lo, s15
	s_and_saveexec_b32 s15, s25
	s_cbranch_execnz .LBB626_1186
.LBB626_1122:                           ;   in Loop: Header=BB626_982 Depth=2
	s_or_b32 exec_lo, exec_lo, s15
	s_and_saveexec_b32 s15, s26
	s_cbranch_execnz .LBB626_1187
.LBB626_1123:                           ;   in Loop: Header=BB626_982 Depth=2
	s_or_b32 exec_lo, exec_lo, s15
	s_and_saveexec_b32 s15, s27
	s_cbranch_execnz .LBB626_1188
.LBB626_1124:                           ;   in Loop: Header=BB626_982 Depth=2
	s_or_b32 exec_lo, exec_lo, s15
	s_and_saveexec_b32 s15, s28
	s_cbranch_execnz .LBB626_1189
.LBB626_1125:                           ;   in Loop: Header=BB626_982 Depth=2
	s_or_b32 exec_lo, exec_lo, s15
	s_and_saveexec_b32 s15, s29
	s_cbranch_execz .LBB626_1127
.LBB626_1126:                           ;   in Loop: Header=BB626_982 Depth=2
	v_lshlrev_b32_e32 v63, 2, v121
	ds_load_b32 v65, v63
	ds_load_b64 v[62:63], v62 offset:31744
	s_wait_dscnt 0x1
	v_add_nc_u32_e32 v65, v65, v83
	s_wait_dscnt 0x0
	global_store_b64 v65, v[62:63], s[46:47] scale_offset
.LBB626_1127:                           ;   in Loop: Header=BB626_982 Depth=2
	s_wait_xcnt 0x0
	s_or_b32 exec_lo, exec_lo, s15
	s_wait_storecnt 0x0
	s_barrier_signal -1
	s_barrier_wait -1
	s_and_saveexec_b32 s15, s0
	s_cbranch_execz .LBB626_981
; %bb.1128:                             ;   in Loop: Header=BB626_982 Depth=2
	ds_load_b32 v62, v4
	s_wait_dscnt 0x0
	v_add_nc_u32_e32 v62, v62, v64
	ds_store_b32 v4, v62
	s_branch .LBB626_981
.LBB626_1129:                           ;   in Loop: Header=BB626_982 Depth=2
	ds_load_b32 v62, v93 offset:1024
	s_wait_dscnt 0x0
	v_lshrrev_b32_e32 v63, s49, v62
	v_xor_b32_e32 v62, 0x80000000, v62
	s_delay_alu instid0(VALU_DEP_2) | instskip(NEXT) | instid1(VALU_DEP_1)
	v_and_b32_e32 v63, s48, v63
	v_lshlrev_b32_e32 v63, 2, v63
	ds_load_b32 v63, v63
	s_wait_dscnt 0x0
	v_add_nc_u32_e32 v63, v63, v2
	global_store_b32 v63, v62, s[40:41] scale_offset
	s_wait_xcnt 0x0
	s_or_b32 exec_lo, exec_lo, s15
	v_cmp_lt_u32_e64 s15, v3, v137
	s_and_saveexec_b32 s16, s15
	s_cbranch_execz .LBB626_1062
.LBB626_1130:                           ;   in Loop: Header=BB626_982 Depth=2
	ds_load_b32 v62, v93 offset:2048
	s_wait_dscnt 0x0
	v_lshrrev_b32_e32 v63, s49, v62
	v_xor_b32_e32 v62, 0x80000000, v62
	s_delay_alu instid0(VALU_DEP_2) | instskip(NEXT) | instid1(VALU_DEP_1)
	v_and_b32_e32 v63, s48, v63
	v_lshlrev_b32_e32 v63, 2, v63
	ds_load_b32 v63, v63
	s_wait_dscnt 0x0
	v_add_nc_u32_e32 v63, v63, v3
	global_store_b32 v63, v62, s[40:41] scale_offset
	s_wait_xcnt 0x0
	s_or_b32 exec_lo, exec_lo, s16
	v_cmp_lt_u32_e64 s16, v70, v137
	s_and_saveexec_b32 s17, s16
	s_cbranch_execz .LBB626_1063
.LBB626_1131:                           ;   in Loop: Header=BB626_982 Depth=2
	ds_load_b32 v62, v93 offset:3072
	s_wait_dscnt 0x0
	v_lshrrev_b32_e32 v63, s49, v62
	v_xor_b32_e32 v62, 0x80000000, v62
	s_delay_alu instid0(VALU_DEP_2) | instskip(NEXT) | instid1(VALU_DEP_1)
	v_and_b32_e32 v63, s48, v63
	v_lshlrev_b32_e32 v63, 2, v63
	ds_load_b32 v63, v63
	s_wait_dscnt 0x0
	v_add_nc_u32_e32 v63, v63, v70
	global_store_b32 v63, v62, s[40:41] scale_offset
	s_wait_xcnt 0x0
	s_or_b32 exec_lo, exec_lo, s17
	v_cmp_lt_u32_e64 s17, v71, v137
	s_and_saveexec_b32 s18, s17
	s_cbranch_execz .LBB626_1064
.LBB626_1132:                           ;   in Loop: Header=BB626_982 Depth=2
	ds_load_b32 v62, v93 offset:4096
	s_wait_dscnt 0x0
	v_lshrrev_b32_e32 v63, s49, v62
	v_xor_b32_e32 v62, 0x80000000, v62
	s_delay_alu instid0(VALU_DEP_2) | instskip(NEXT) | instid1(VALU_DEP_1)
	v_and_b32_e32 v63, s48, v63
	v_lshlrev_b32_e32 v63, 2, v63
	ds_load_b32 v63, v63
	s_wait_dscnt 0x0
	v_add_nc_u32_e32 v63, v63, v71
	global_store_b32 v63, v62, s[40:41] scale_offset
	s_wait_xcnt 0x0
	s_or_b32 exec_lo, exec_lo, s18
	v_cmp_lt_u32_e64 s18, v72, v137
	s_and_saveexec_b32 s19, s18
	s_cbranch_execz .LBB626_1065
.LBB626_1133:                           ;   in Loop: Header=BB626_982 Depth=2
	ds_load_b32 v62, v93 offset:5120
	s_wait_dscnt 0x0
	v_lshrrev_b32_e32 v63, s49, v62
	v_xor_b32_e32 v62, 0x80000000, v62
	s_delay_alu instid0(VALU_DEP_2) | instskip(NEXT) | instid1(VALU_DEP_1)
	v_and_b32_e32 v63, s48, v63
	v_lshlrev_b32_e32 v63, 2, v63
	ds_load_b32 v63, v63
	s_wait_dscnt 0x0
	v_add_nc_u32_e32 v63, v63, v72
	global_store_b32 v63, v62, s[40:41] scale_offset
	s_wait_xcnt 0x0
	s_or_b32 exec_lo, exec_lo, s19
	v_cmp_lt_u32_e64 s19, v73, v137
	s_and_saveexec_b32 s20, s19
	s_cbranch_execz .LBB626_1066
.LBB626_1134:                           ;   in Loop: Header=BB626_982 Depth=2
	ds_load_b32 v62, v93 offset:6144
	s_wait_dscnt 0x0
	v_lshrrev_b32_e32 v63, s49, v62
	v_xor_b32_e32 v62, 0x80000000, v62
	s_delay_alu instid0(VALU_DEP_2) | instskip(NEXT) | instid1(VALU_DEP_1)
	v_and_b32_e32 v63, s48, v63
	v_lshlrev_b32_e32 v63, 2, v63
	ds_load_b32 v63, v63
	s_wait_dscnt 0x0
	v_add_nc_u32_e32 v63, v63, v73
	global_store_b32 v63, v62, s[40:41] scale_offset
	s_wait_xcnt 0x0
	s_or_b32 exec_lo, exec_lo, s20
	v_cmp_lt_u32_e64 s20, v74, v137
	s_and_saveexec_b32 s21, s20
	s_cbranch_execz .LBB626_1067
.LBB626_1135:                           ;   in Loop: Header=BB626_982 Depth=2
	ds_load_b32 v62, v93 offset:7168
	s_wait_dscnt 0x0
	v_lshrrev_b32_e32 v63, s49, v62
	v_xor_b32_e32 v62, 0x80000000, v62
	s_delay_alu instid0(VALU_DEP_2) | instskip(NEXT) | instid1(VALU_DEP_1)
	v_and_b32_e32 v63, s48, v63
	v_lshlrev_b32_e32 v63, 2, v63
	ds_load_b32 v63, v63
	s_wait_dscnt 0x0
	v_add_nc_u32_e32 v63, v63, v74
	global_store_b32 v63, v62, s[40:41] scale_offset
	s_wait_xcnt 0x0
	s_or_b32 exec_lo, exec_lo, s21
	v_cmp_lt_u32_e64 s21, v75, v137
	s_and_saveexec_b32 s22, s21
	s_cbranch_execz .LBB626_1068
.LBB626_1136:                           ;   in Loop: Header=BB626_982 Depth=2
	ds_load_b32 v62, v93 offset:8192
	s_wait_dscnt 0x0
	v_lshrrev_b32_e32 v63, s49, v62
	v_xor_b32_e32 v62, 0x80000000, v62
	s_delay_alu instid0(VALU_DEP_2) | instskip(NEXT) | instid1(VALU_DEP_1)
	v_and_b32_e32 v63, s48, v63
	v_lshlrev_b32_e32 v63, 2, v63
	ds_load_b32 v63, v63
	s_wait_dscnt 0x0
	v_add_nc_u32_e32 v63, v63, v75
	global_store_b32 v63, v62, s[40:41] scale_offset
	s_wait_xcnt 0x0
	s_or_b32 exec_lo, exec_lo, s22
	v_cmp_lt_u32_e64 s22, v76, v137
	s_and_saveexec_b32 s23, s22
	s_cbranch_execz .LBB626_1069
.LBB626_1137:                           ;   in Loop: Header=BB626_982 Depth=2
	ds_load_b32 v62, v93 offset:9216
	s_wait_dscnt 0x0
	v_lshrrev_b32_e32 v63, s49, v62
	v_xor_b32_e32 v62, 0x80000000, v62
	s_delay_alu instid0(VALU_DEP_2) | instskip(NEXT) | instid1(VALU_DEP_1)
	v_and_b32_e32 v63, s48, v63
	v_lshlrev_b32_e32 v63, 2, v63
	ds_load_b32 v63, v63
	s_wait_dscnt 0x0
	v_add_nc_u32_e32 v63, v63, v76
	global_store_b32 v63, v62, s[40:41] scale_offset
	s_wait_xcnt 0x0
	s_or_b32 exec_lo, exec_lo, s23
	v_cmp_lt_u32_e64 s23, v77, v137
	s_and_saveexec_b32 s24, s23
	s_cbranch_execz .LBB626_1070
.LBB626_1138:                           ;   in Loop: Header=BB626_982 Depth=2
	ds_load_b32 v62, v93 offset:10240
	s_wait_dscnt 0x0
	v_lshrrev_b32_e32 v63, s49, v62
	v_xor_b32_e32 v62, 0x80000000, v62
	s_delay_alu instid0(VALU_DEP_2) | instskip(NEXT) | instid1(VALU_DEP_1)
	v_and_b32_e32 v63, s48, v63
	v_lshlrev_b32_e32 v63, 2, v63
	ds_load_b32 v63, v63
	s_wait_dscnt 0x0
	v_add_nc_u32_e32 v63, v63, v77
	global_store_b32 v63, v62, s[40:41] scale_offset
	s_wait_xcnt 0x0
	s_or_b32 exec_lo, exec_lo, s24
	v_cmp_lt_u32_e64 s24, v78, v137
	s_and_saveexec_b32 s25, s24
	s_cbranch_execz .LBB626_1071
.LBB626_1139:                           ;   in Loop: Header=BB626_982 Depth=2
	ds_load_b32 v62, v93 offset:11264
	s_wait_dscnt 0x0
	v_lshrrev_b32_e32 v63, s49, v62
	v_xor_b32_e32 v62, 0x80000000, v62
	s_delay_alu instid0(VALU_DEP_2) | instskip(NEXT) | instid1(VALU_DEP_1)
	v_and_b32_e32 v63, s48, v63
	v_lshlrev_b32_e32 v63, 2, v63
	ds_load_b32 v63, v63
	s_wait_dscnt 0x0
	v_add_nc_u32_e32 v63, v63, v78
	global_store_b32 v63, v62, s[40:41] scale_offset
	s_wait_xcnt 0x0
	s_or_b32 exec_lo, exec_lo, s25
	v_cmp_lt_u32_e64 s25, v79, v137
	s_and_saveexec_b32 s26, s25
	s_cbranch_execz .LBB626_1072
.LBB626_1140:                           ;   in Loop: Header=BB626_982 Depth=2
	ds_load_b32 v62, v93 offset:12288
	s_wait_dscnt 0x0
	v_lshrrev_b32_e32 v63, s49, v62
	v_xor_b32_e32 v62, 0x80000000, v62
	s_delay_alu instid0(VALU_DEP_2) | instskip(NEXT) | instid1(VALU_DEP_1)
	v_and_b32_e32 v63, s48, v63
	v_lshlrev_b32_e32 v63, 2, v63
	ds_load_b32 v63, v63
	s_wait_dscnt 0x0
	v_add_nc_u32_e32 v63, v63, v79
	global_store_b32 v63, v62, s[40:41] scale_offset
	s_wait_xcnt 0x0
	s_or_b32 exec_lo, exec_lo, s26
	v_cmp_lt_u32_e64 s26, v80, v137
	s_and_saveexec_b32 s27, s26
	s_cbranch_execz .LBB626_1073
.LBB626_1141:                           ;   in Loop: Header=BB626_982 Depth=2
	ds_load_b32 v62, v93 offset:13312
	s_wait_dscnt 0x0
	v_lshrrev_b32_e32 v63, s49, v62
	v_xor_b32_e32 v62, 0x80000000, v62
	s_delay_alu instid0(VALU_DEP_2) | instskip(NEXT) | instid1(VALU_DEP_1)
	v_and_b32_e32 v63, s48, v63
	v_lshlrev_b32_e32 v63, 2, v63
	ds_load_b32 v63, v63
	s_wait_dscnt 0x0
	v_add_nc_u32_e32 v63, v63, v80
	global_store_b32 v63, v62, s[40:41] scale_offset
	s_wait_xcnt 0x0
	s_or_b32 exec_lo, exec_lo, s27
	v_cmp_lt_u32_e64 s27, v81, v137
	s_and_saveexec_b32 s28, s27
	s_cbranch_execz .LBB626_1074
.LBB626_1142:                           ;   in Loop: Header=BB626_982 Depth=2
	ds_load_b32 v62, v93 offset:14336
	s_wait_dscnt 0x0
	v_lshrrev_b32_e32 v63, s49, v62
	v_xor_b32_e32 v62, 0x80000000, v62
	s_delay_alu instid0(VALU_DEP_2) | instskip(NEXT) | instid1(VALU_DEP_1)
	v_and_b32_e32 v63, s48, v63
	v_lshlrev_b32_e32 v63, 2, v63
	ds_load_b32 v63, v63
	s_wait_dscnt 0x0
	v_add_nc_u32_e32 v63, v63, v81
	global_store_b32 v63, v62, s[40:41] scale_offset
	s_wait_xcnt 0x0
	s_or_b32 exec_lo, exec_lo, s28
	v_cmp_lt_u32_e64 s28, v82, v137
	s_and_saveexec_b32 s29, s28
	s_cbranch_execz .LBB626_1075
.LBB626_1143:                           ;   in Loop: Header=BB626_982 Depth=2
	ds_load_b32 v62, v93 offset:15360
	s_wait_dscnt 0x0
	v_lshrrev_b32_e32 v63, s49, v62
	v_xor_b32_e32 v62, 0x80000000, v62
	s_delay_alu instid0(VALU_DEP_2) | instskip(NEXT) | instid1(VALU_DEP_1)
	v_and_b32_e32 v63, s48, v63
	v_lshlrev_b32_e32 v63, 2, v63
	ds_load_b32 v63, v63
	s_wait_dscnt 0x0
	v_add_nc_u32_e32 v63, v63, v82
	global_store_b32 v63, v62, s[40:41] scale_offset
	s_wait_xcnt 0x0
	s_or_b32 exec_lo, exec_lo, s29
	v_cmp_lt_u32_e64 s29, v83, v137
	s_and_saveexec_b32 s57, s29
	s_cbranch_execnz .LBB626_1076
	s_branch .LBB626_1077
.LBB626_1144:                           ;   in Loop: Header=BB626_982 Depth=2
	global_load_b64 v[60:61], v[62:63], off
	s_wait_xcnt 0x0
	s_or_b32 exec_lo, exec_lo, s30
	s_delay_alu instid0(SALU_CYCLE_1)
	s_mov_b32 s57, exec_lo
	v_cmpx_lt_u32_e64 v102, v137
	s_cbranch_execz .LBB626_1079
.LBB626_1145:                           ;   in Loop: Header=BB626_982 Depth=2
	global_load_b64 v[58:59], v[62:63], off offset:256
	s_wait_xcnt 0x0
	s_or_b32 exec_lo, exec_lo, s57
	s_delay_alu instid0(SALU_CYCLE_1)
	s_mov_b32 s57, exec_lo
	v_cmpx_lt_u32_e64 v103, v137
	s_cbranch_execz .LBB626_1080
.LBB626_1146:                           ;   in Loop: Header=BB626_982 Depth=2
	global_load_b64 v[56:57], v[62:63], off offset:512
	s_wait_xcnt 0x0
	s_or_b32 exec_lo, exec_lo, s57
	s_delay_alu instid0(SALU_CYCLE_1)
	s_mov_b32 s57, exec_lo
	v_cmpx_lt_u32_e64 v104, v137
	s_cbranch_execz .LBB626_1081
.LBB626_1147:                           ;   in Loop: Header=BB626_982 Depth=2
	global_load_b64 v[54:55], v[62:63], off offset:768
	s_wait_xcnt 0x0
	s_or_b32 exec_lo, exec_lo, s57
	s_delay_alu instid0(SALU_CYCLE_1)
	s_mov_b32 s57, exec_lo
	v_cmpx_lt_u32_e64 v105, v137
	s_cbranch_execz .LBB626_1082
.LBB626_1148:                           ;   in Loop: Header=BB626_982 Depth=2
	global_load_b64 v[52:53], v[62:63], off offset:1024
	s_wait_xcnt 0x0
	s_or_b32 exec_lo, exec_lo, s57
	s_delay_alu instid0(SALU_CYCLE_1)
	s_mov_b32 s57, exec_lo
	v_cmpx_lt_u32_e64 v106, v137
	s_cbranch_execz .LBB626_1083
.LBB626_1149:                           ;   in Loop: Header=BB626_982 Depth=2
	global_load_b64 v[50:51], v[62:63], off offset:1280
	s_wait_xcnt 0x0
	s_or_b32 exec_lo, exec_lo, s57
	s_delay_alu instid0(SALU_CYCLE_1)
	s_mov_b32 s57, exec_lo
	v_cmpx_lt_u32_e64 v107, v137
	s_cbranch_execz .LBB626_1084
.LBB626_1150:                           ;   in Loop: Header=BB626_982 Depth=2
	global_load_b64 v[48:49], v[62:63], off offset:1536
	s_wait_xcnt 0x0
	s_or_b32 exec_lo, exec_lo, s57
	s_delay_alu instid0(SALU_CYCLE_1)
	s_mov_b32 s57, exec_lo
	v_cmpx_lt_u32_e64 v108, v137
	s_cbranch_execz .LBB626_1085
.LBB626_1151:                           ;   in Loop: Header=BB626_982 Depth=2
	global_load_b64 v[46:47], v[62:63], off offset:1792
	s_wait_xcnt 0x0
	s_or_b32 exec_lo, exec_lo, s57
	s_delay_alu instid0(SALU_CYCLE_1)
	s_mov_b32 s57, exec_lo
	v_cmpx_lt_u32_e64 v109, v137
	s_cbranch_execz .LBB626_1086
.LBB626_1152:                           ;   in Loop: Header=BB626_982 Depth=2
	global_load_b64 v[44:45], v[62:63], off offset:2048
	s_wait_xcnt 0x0
	s_or_b32 exec_lo, exec_lo, s57
	s_delay_alu instid0(SALU_CYCLE_1)
	s_mov_b32 s57, exec_lo
	v_cmpx_lt_u32_e64 v110, v137
	s_cbranch_execz .LBB626_1087
.LBB626_1153:                           ;   in Loop: Header=BB626_982 Depth=2
	global_load_b64 v[42:43], v[62:63], off offset:2304
	s_wait_xcnt 0x0
	s_or_b32 exec_lo, exec_lo, s57
	s_delay_alu instid0(SALU_CYCLE_1)
	s_mov_b32 s57, exec_lo
	v_cmpx_lt_u32_e64 v111, v137
	s_cbranch_execz .LBB626_1088
.LBB626_1154:                           ;   in Loop: Header=BB626_982 Depth=2
	global_load_b64 v[40:41], v[62:63], off offset:2560
	s_wait_xcnt 0x0
	s_or_b32 exec_lo, exec_lo, s57
	s_delay_alu instid0(SALU_CYCLE_1)
	s_mov_b32 s57, exec_lo
	v_cmpx_lt_u32_e64 v112, v137
	s_cbranch_execz .LBB626_1089
.LBB626_1155:                           ;   in Loop: Header=BB626_982 Depth=2
	global_load_b64 v[38:39], v[62:63], off offset:2816
	s_wait_xcnt 0x0
	s_or_b32 exec_lo, exec_lo, s57
	s_delay_alu instid0(SALU_CYCLE_1)
	s_mov_b32 s57, exec_lo
	v_cmpx_lt_u32_e64 v113, v137
	s_cbranch_execz .LBB626_1090
.LBB626_1156:                           ;   in Loop: Header=BB626_982 Depth=2
	global_load_b64 v[36:37], v[62:63], off offset:3072
	s_wait_xcnt 0x0
	s_or_b32 exec_lo, exec_lo, s57
	s_delay_alu instid0(SALU_CYCLE_1)
	s_mov_b32 s57, exec_lo
	v_cmpx_lt_u32_e64 v114, v137
	s_cbranch_execz .LBB626_1091
.LBB626_1157:                           ;   in Loop: Header=BB626_982 Depth=2
	global_load_b64 v[34:35], v[62:63], off offset:3328
	s_wait_xcnt 0x0
	s_or_b32 exec_lo, exec_lo, s57
	s_delay_alu instid0(SALU_CYCLE_1)
	s_mov_b32 s57, exec_lo
	v_cmpx_lt_u32_e64 v115, v137
	s_cbranch_execz .LBB626_1092
.LBB626_1158:                           ;   in Loop: Header=BB626_982 Depth=2
	global_load_b64 v[32:33], v[62:63], off offset:3584
	s_wait_xcnt 0x0
	s_or_b32 exec_lo, exec_lo, s57
	s_delay_alu instid0(SALU_CYCLE_1)
	s_mov_b32 s57, exec_lo
	v_cmpx_lt_u32_e64 v116, v137
	s_cbranch_execz .LBB626_1093
.LBB626_1159:                           ;   in Loop: Header=BB626_982 Depth=2
	global_load_b64 v[30:31], v[62:63], off offset:3840
	s_wait_xcnt 0x0
	s_or_b32 exec_lo, exec_lo, s57
	s_and_saveexec_b32 s30, vcc_lo
	s_cbranch_execz .LBB626_1094
.LBB626_1160:                           ;   in Loop: Header=BB626_982 Depth=2
	ds_load_b32 v62, v93 offset:1024
	s_wait_dscnt 0x0
	v_lshrrev_b32_e32 v62, s49, v62
	s_delay_alu instid0(VALU_DEP_1)
	v_and_b32_e32 v136, s48, v62
	s_or_b32 exec_lo, exec_lo, s30
	s_and_saveexec_b32 s30, s15
	s_cbranch_execz .LBB626_1095
.LBB626_1161:                           ;   in Loop: Header=BB626_982 Depth=2
	ds_load_b32 v62, v93 offset:2048
	s_wait_dscnt 0x0
	v_lshrrev_b32_e32 v62, s49, v62
	s_delay_alu instid0(VALU_DEP_1)
	v_and_b32_e32 v135, s48, v62
	s_or_b32 exec_lo, exec_lo, s30
	s_and_saveexec_b32 s30, s16
	s_cbranch_execz .LBB626_1096
.LBB626_1162:                           ;   in Loop: Header=BB626_982 Depth=2
	ds_load_b32 v62, v93 offset:3072
	s_wait_dscnt 0x0
	v_lshrrev_b32_e32 v62, s49, v62
	s_delay_alu instid0(VALU_DEP_1)
	v_and_b32_e32 v134, s48, v62
	s_or_b32 exec_lo, exec_lo, s30
	s_and_saveexec_b32 s30, s17
	s_cbranch_execz .LBB626_1097
.LBB626_1163:                           ;   in Loop: Header=BB626_982 Depth=2
	ds_load_b32 v62, v93 offset:4096
	s_wait_dscnt 0x0
	v_lshrrev_b32_e32 v62, s49, v62
	s_delay_alu instid0(VALU_DEP_1)
	v_and_b32_e32 v133, s48, v62
	s_or_b32 exec_lo, exec_lo, s30
	s_and_saveexec_b32 s30, s18
	s_cbranch_execz .LBB626_1098
.LBB626_1164:                           ;   in Loop: Header=BB626_982 Depth=2
	ds_load_b32 v62, v93 offset:5120
	s_wait_dscnt 0x0
	v_lshrrev_b32_e32 v62, s49, v62
	s_delay_alu instid0(VALU_DEP_1)
	v_and_b32_e32 v132, s48, v62
	s_or_b32 exec_lo, exec_lo, s30
	s_and_saveexec_b32 s30, s19
	s_cbranch_execz .LBB626_1099
.LBB626_1165:                           ;   in Loop: Header=BB626_982 Depth=2
	ds_load_b32 v62, v93 offset:6144
	s_wait_dscnt 0x0
	v_lshrrev_b32_e32 v62, s49, v62
	s_delay_alu instid0(VALU_DEP_1)
	v_and_b32_e32 v131, s48, v62
	s_or_b32 exec_lo, exec_lo, s30
	s_and_saveexec_b32 s30, s20
	s_cbranch_execz .LBB626_1100
.LBB626_1166:                           ;   in Loop: Header=BB626_982 Depth=2
	ds_load_b32 v62, v93 offset:7168
	s_wait_dscnt 0x0
	v_lshrrev_b32_e32 v62, s49, v62
	s_delay_alu instid0(VALU_DEP_1)
	v_and_b32_e32 v130, s48, v62
	s_or_b32 exec_lo, exec_lo, s30
	s_and_saveexec_b32 s30, s21
	s_cbranch_execz .LBB626_1101
.LBB626_1167:                           ;   in Loop: Header=BB626_982 Depth=2
	ds_load_b32 v62, v93 offset:8192
	s_wait_dscnt 0x0
	v_lshrrev_b32_e32 v62, s49, v62
	s_delay_alu instid0(VALU_DEP_1)
	v_and_b32_e32 v129, s48, v62
	s_or_b32 exec_lo, exec_lo, s30
	s_and_saveexec_b32 s30, s22
	s_cbranch_execz .LBB626_1102
.LBB626_1168:                           ;   in Loop: Header=BB626_982 Depth=2
	ds_load_b32 v62, v93 offset:9216
	s_wait_dscnt 0x0
	v_lshrrev_b32_e32 v62, s49, v62
	s_delay_alu instid0(VALU_DEP_1)
	v_and_b32_e32 v128, s48, v62
	s_or_b32 exec_lo, exec_lo, s30
	s_and_saveexec_b32 s30, s23
	s_cbranch_execz .LBB626_1103
.LBB626_1169:                           ;   in Loop: Header=BB626_982 Depth=2
	ds_load_b32 v62, v93 offset:10240
	s_wait_dscnt 0x0
	v_lshrrev_b32_e32 v62, s49, v62
	s_delay_alu instid0(VALU_DEP_1)
	v_and_b32_e32 v127, s48, v62
	s_or_b32 exec_lo, exec_lo, s30
	s_and_saveexec_b32 s30, s24
	s_cbranch_execz .LBB626_1104
.LBB626_1170:                           ;   in Loop: Header=BB626_982 Depth=2
	ds_load_b32 v62, v93 offset:11264
	s_wait_dscnt 0x0
	v_lshrrev_b32_e32 v62, s49, v62
	s_delay_alu instid0(VALU_DEP_1)
	v_and_b32_e32 v126, s48, v62
	s_or_b32 exec_lo, exec_lo, s30
	s_and_saveexec_b32 s30, s25
	s_cbranch_execz .LBB626_1105
.LBB626_1171:                           ;   in Loop: Header=BB626_982 Depth=2
	ds_load_b32 v62, v93 offset:12288
	s_wait_dscnt 0x0
	v_lshrrev_b32_e32 v62, s49, v62
	s_delay_alu instid0(VALU_DEP_1)
	v_and_b32_e32 v125, s48, v62
	s_or_b32 exec_lo, exec_lo, s30
	s_and_saveexec_b32 s30, s26
	s_cbranch_execz .LBB626_1106
.LBB626_1172:                           ;   in Loop: Header=BB626_982 Depth=2
	ds_load_b32 v62, v93 offset:13312
	s_wait_dscnt 0x0
	v_lshrrev_b32_e32 v62, s49, v62
	s_delay_alu instid0(VALU_DEP_1)
	v_and_b32_e32 v124, s48, v62
	s_or_b32 exec_lo, exec_lo, s30
	s_and_saveexec_b32 s30, s27
	s_cbranch_execz .LBB626_1107
.LBB626_1173:                           ;   in Loop: Header=BB626_982 Depth=2
	ds_load_b32 v62, v93 offset:14336
	s_wait_dscnt 0x0
	v_lshrrev_b32_e32 v62, s49, v62
	s_delay_alu instid0(VALU_DEP_1)
	v_and_b32_e32 v123, s48, v62
	s_or_b32 exec_lo, exec_lo, s30
	s_and_saveexec_b32 s30, s28
	s_cbranch_execz .LBB626_1108
.LBB626_1174:                           ;   in Loop: Header=BB626_982 Depth=2
	ds_load_b32 v62, v93 offset:15360
	s_wait_dscnt 0x0
	v_lshrrev_b32_e32 v62, s49, v62
	s_delay_alu instid0(VALU_DEP_1)
	v_and_b32_e32 v122, s48, v62
	s_or_b32 exec_lo, exec_lo, s30
	s_and_saveexec_b32 s30, s29
	s_cbranch_execnz .LBB626_1109
	s_branch .LBB626_1110
.LBB626_1175:                           ;   in Loop: Header=BB626_982 Depth=2
	v_lshlrev_b32_e32 v63, 2, v136
	ds_load_b32 v63, v63
	ds_load_b64 v[66:67], v62 offset:1024
	s_wait_dscnt 0x1
	v_add_nc_u32_e32 v63, v63, v2
	s_wait_dscnt 0x0
	global_store_b64 v63, v[66:67], s[46:47] scale_offset
	s_wait_xcnt 0x0
	s_or_b32 exec_lo, exec_lo, s30
	s_and_saveexec_b32 s30, s15
	s_cbranch_execz .LBB626_1112
.LBB626_1176:                           ;   in Loop: Header=BB626_982 Depth=2
	v_lshlrev_b32_e32 v63, 2, v135
	ds_load_b32 v63, v63
	ds_load_b64 v[66:67], v62 offset:3072
	s_wait_dscnt 0x1
	v_add_nc_u32_e32 v63, v63, v3
	s_wait_dscnt 0x0
	global_store_b64 v63, v[66:67], s[46:47] scale_offset
	s_wait_xcnt 0x0
	s_or_b32 exec_lo, exec_lo, s30
	s_and_saveexec_b32 s15, s16
	s_cbranch_execz .LBB626_1113
.LBB626_1177:                           ;   in Loop: Header=BB626_982 Depth=2
	v_lshlrev_b32_e32 v63, 2, v134
	ds_load_b32 v63, v63
	ds_load_b64 v[66:67], v62 offset:5120
	s_wait_dscnt 0x1
	v_add_nc_u32_e32 v63, v63, v70
	s_wait_dscnt 0x0
	global_store_b64 v63, v[66:67], s[46:47] scale_offset
	s_wait_xcnt 0x0
	s_or_b32 exec_lo, exec_lo, s15
	s_and_saveexec_b32 s15, s17
	s_cbranch_execz .LBB626_1114
.LBB626_1178:                           ;   in Loop: Header=BB626_982 Depth=2
	v_lshlrev_b32_e32 v63, 2, v133
	ds_load_b32 v63, v63
	ds_load_b64 v[66:67], v62 offset:7168
	s_wait_dscnt 0x1
	v_add_nc_u32_e32 v63, v63, v71
	s_wait_dscnt 0x0
	global_store_b64 v63, v[66:67], s[46:47] scale_offset
	s_wait_xcnt 0x0
	s_or_b32 exec_lo, exec_lo, s15
	s_and_saveexec_b32 s15, s18
	s_cbranch_execz .LBB626_1115
.LBB626_1179:                           ;   in Loop: Header=BB626_982 Depth=2
	v_lshlrev_b32_e32 v63, 2, v132
	ds_load_b32 v63, v63
	ds_load_b64 v[66:67], v62 offset:9216
	s_wait_dscnt 0x1
	v_add_nc_u32_e32 v63, v63, v72
	s_wait_dscnt 0x0
	global_store_b64 v63, v[66:67], s[46:47] scale_offset
	s_wait_xcnt 0x0
	s_or_b32 exec_lo, exec_lo, s15
	s_and_saveexec_b32 s15, s19
	s_cbranch_execz .LBB626_1116
.LBB626_1180:                           ;   in Loop: Header=BB626_982 Depth=2
	v_lshlrev_b32_e32 v63, 2, v131
	ds_load_b32 v63, v63
	ds_load_b64 v[66:67], v62 offset:11264
	s_wait_dscnt 0x1
	v_add_nc_u32_e32 v63, v63, v73
	s_wait_dscnt 0x0
	global_store_b64 v63, v[66:67], s[46:47] scale_offset
	s_wait_xcnt 0x0
	s_or_b32 exec_lo, exec_lo, s15
	s_and_saveexec_b32 s15, s20
	s_cbranch_execz .LBB626_1117
.LBB626_1181:                           ;   in Loop: Header=BB626_982 Depth=2
	v_lshlrev_b32_e32 v63, 2, v130
	ds_load_b32 v63, v63
	ds_load_b64 v[66:67], v62 offset:13312
	s_wait_dscnt 0x1
	v_add_nc_u32_e32 v63, v63, v74
	s_wait_dscnt 0x0
	global_store_b64 v63, v[66:67], s[46:47] scale_offset
	s_wait_xcnt 0x0
	s_or_b32 exec_lo, exec_lo, s15
	s_and_saveexec_b32 s15, s21
	s_cbranch_execz .LBB626_1118
.LBB626_1182:                           ;   in Loop: Header=BB626_982 Depth=2
	v_lshlrev_b32_e32 v63, 2, v129
	ds_load_b32 v63, v63
	ds_load_b64 v[66:67], v62 offset:15360
	s_wait_dscnt 0x1
	v_add_nc_u32_e32 v63, v63, v75
	s_wait_dscnt 0x0
	global_store_b64 v63, v[66:67], s[46:47] scale_offset
	s_wait_xcnt 0x0
	s_or_b32 exec_lo, exec_lo, s15
	s_and_saveexec_b32 s15, s22
	s_cbranch_execz .LBB626_1119
.LBB626_1183:                           ;   in Loop: Header=BB626_982 Depth=2
	v_lshlrev_b32_e32 v63, 2, v128
	ds_load_b32 v63, v63
	ds_load_b64 v[66:67], v62 offset:17408
	s_wait_dscnt 0x1
	v_add_nc_u32_e32 v63, v63, v76
	s_wait_dscnt 0x0
	global_store_b64 v63, v[66:67], s[46:47] scale_offset
	s_wait_xcnt 0x0
	s_or_b32 exec_lo, exec_lo, s15
	s_and_saveexec_b32 s15, s23
	s_cbranch_execz .LBB626_1120
.LBB626_1184:                           ;   in Loop: Header=BB626_982 Depth=2
	v_lshlrev_b32_e32 v63, 2, v127
	ds_load_b32 v63, v63
	ds_load_b64 v[66:67], v62 offset:19456
	s_wait_dscnt 0x1
	v_add_nc_u32_e32 v63, v63, v77
	s_wait_dscnt 0x0
	global_store_b64 v63, v[66:67], s[46:47] scale_offset
	s_wait_xcnt 0x0
	s_or_b32 exec_lo, exec_lo, s15
	s_and_saveexec_b32 s15, s24
	s_cbranch_execz .LBB626_1121
.LBB626_1185:                           ;   in Loop: Header=BB626_982 Depth=2
	v_lshlrev_b32_e32 v63, 2, v126
	ds_load_b32 v63, v63
	ds_load_b64 v[66:67], v62 offset:21504
	s_wait_dscnt 0x1
	v_add_nc_u32_e32 v63, v63, v78
	s_wait_dscnt 0x0
	global_store_b64 v63, v[66:67], s[46:47] scale_offset
	s_wait_xcnt 0x0
	s_or_b32 exec_lo, exec_lo, s15
	s_and_saveexec_b32 s15, s25
	s_cbranch_execz .LBB626_1122
.LBB626_1186:                           ;   in Loop: Header=BB626_982 Depth=2
	v_lshlrev_b32_e32 v63, 2, v125
	ds_load_b32 v63, v63
	ds_load_b64 v[66:67], v62 offset:23552
	s_wait_dscnt 0x1
	v_add_nc_u32_e32 v63, v63, v79
	s_wait_dscnt 0x0
	global_store_b64 v63, v[66:67], s[46:47] scale_offset
	s_wait_xcnt 0x0
	s_or_b32 exec_lo, exec_lo, s15
	s_and_saveexec_b32 s15, s26
	s_cbranch_execz .LBB626_1123
.LBB626_1187:                           ;   in Loop: Header=BB626_982 Depth=2
	v_lshlrev_b32_e32 v63, 2, v124
	ds_load_b32 v63, v63
	ds_load_b64 v[66:67], v62 offset:25600
	s_wait_dscnt 0x1
	v_add_nc_u32_e32 v63, v63, v80
	s_wait_dscnt 0x0
	global_store_b64 v63, v[66:67], s[46:47] scale_offset
	s_wait_xcnt 0x0
	s_or_b32 exec_lo, exec_lo, s15
	s_and_saveexec_b32 s15, s27
	s_cbranch_execz .LBB626_1124
.LBB626_1188:                           ;   in Loop: Header=BB626_982 Depth=2
	v_lshlrev_b32_e32 v63, 2, v123
	ds_load_b32 v63, v63
	ds_load_b64 v[66:67], v62 offset:27648
	s_wait_dscnt 0x1
	v_add_nc_u32_e32 v63, v63, v81
	s_wait_dscnt 0x0
	global_store_b64 v63, v[66:67], s[46:47] scale_offset
	s_wait_xcnt 0x0
	s_or_b32 exec_lo, exec_lo, s15
	s_and_saveexec_b32 s15, s28
	s_cbranch_execz .LBB626_1125
.LBB626_1189:                           ;   in Loop: Header=BB626_982 Depth=2
	v_lshlrev_b32_e32 v63, 2, v122
	ds_load_b32 v63, v63
	ds_load_b64 v[66:67], v62 offset:29696
	s_wait_dscnt 0x1
	v_add_nc_u32_e32 v63, v63, v82
	s_wait_dscnt 0x0
	global_store_b64 v63, v[66:67], s[46:47] scale_offset
	s_wait_xcnt 0x0
	s_or_b32 exec_lo, exec_lo, s15
	s_and_saveexec_b32 s15, s29
	s_cbranch_execnz .LBB626_1126
	s_branch .LBB626_1127
.LBB626_1190:
	s_endpgm
	.section	.rodata,"a",@progbits
	.p2align	6, 0x0
	.amdhsa_kernel _ZN7rocprim17ROCPRIM_400000_NS6detail17trampoline_kernelINS0_14default_configENS1_36segmented_radix_sort_config_selectorIilEEZNS1_25segmented_radix_sort_implIS3_Lb0EPKiPiPKlPlN2at6native12_GLOBAL__N_18offset_tEEE10hipError_tPvRmT1_PNSt15iterator_traitsISK_E10value_typeET2_T3_PNSL_ISQ_E10value_typeET4_jRbjT5_SW_jjP12ihipStream_tbEUlT_E2_NS1_11comp_targetILNS1_3genE0ELNS1_11target_archE4294967295ELNS1_3gpuE0ELNS1_3repE0EEENS1_30default_config_static_selectorELNS0_4arch9wavefront6targetE0EEEvSK_
		.amdhsa_group_segment_fixed_size 33824
		.amdhsa_private_segment_fixed_size 0
		.amdhsa_kernarg_size 336
		.amdhsa_user_sgpr_count 4
		.amdhsa_user_sgpr_dispatch_ptr 0
		.amdhsa_user_sgpr_queue_ptr 1
		.amdhsa_user_sgpr_kernarg_segment_ptr 1
		.amdhsa_user_sgpr_dispatch_id 0
		.amdhsa_user_sgpr_kernarg_preload_length 0
		.amdhsa_user_sgpr_kernarg_preload_offset 0
		.amdhsa_user_sgpr_private_segment_size 0
		.amdhsa_wavefront_size32 1
		.amdhsa_uses_dynamic_stack 0
		.amdhsa_enable_private_segment 0
		.amdhsa_system_sgpr_workgroup_id_x 1
		.amdhsa_system_sgpr_workgroup_id_y 1
		.amdhsa_system_sgpr_workgroup_id_z 0
		.amdhsa_system_sgpr_workgroup_info 0
		.amdhsa_system_vgpr_workitem_id 2
		.amdhsa_next_free_vgpr 287
		.amdhsa_next_free_sgpr 58
		.amdhsa_named_barrier_count 0
		.amdhsa_reserve_vcc 1
		.amdhsa_float_round_mode_32 0
		.amdhsa_float_round_mode_16_64 0
		.amdhsa_float_denorm_mode_32 3
		.amdhsa_float_denorm_mode_16_64 3
		.amdhsa_fp16_overflow 0
		.amdhsa_memory_ordered 1
		.amdhsa_forward_progress 1
		.amdhsa_inst_pref_size 255
		.amdhsa_round_robin_scheduling 0
		.amdhsa_exception_fp_ieee_invalid_op 0
		.amdhsa_exception_fp_denorm_src 0
		.amdhsa_exception_fp_ieee_div_zero 0
		.amdhsa_exception_fp_ieee_overflow 0
		.amdhsa_exception_fp_ieee_underflow 0
		.amdhsa_exception_fp_ieee_inexact 0
		.amdhsa_exception_int_div_zero 0
	.end_amdhsa_kernel
	.section	.text._ZN7rocprim17ROCPRIM_400000_NS6detail17trampoline_kernelINS0_14default_configENS1_36segmented_radix_sort_config_selectorIilEEZNS1_25segmented_radix_sort_implIS3_Lb0EPKiPiPKlPlN2at6native12_GLOBAL__N_18offset_tEEE10hipError_tPvRmT1_PNSt15iterator_traitsISK_E10value_typeET2_T3_PNSL_ISQ_E10value_typeET4_jRbjT5_SW_jjP12ihipStream_tbEUlT_E2_NS1_11comp_targetILNS1_3genE0ELNS1_11target_archE4294967295ELNS1_3gpuE0ELNS1_3repE0EEENS1_30default_config_static_selectorELNS0_4arch9wavefront6targetE0EEEvSK_,"axG",@progbits,_ZN7rocprim17ROCPRIM_400000_NS6detail17trampoline_kernelINS0_14default_configENS1_36segmented_radix_sort_config_selectorIilEEZNS1_25segmented_radix_sort_implIS3_Lb0EPKiPiPKlPlN2at6native12_GLOBAL__N_18offset_tEEE10hipError_tPvRmT1_PNSt15iterator_traitsISK_E10value_typeET2_T3_PNSL_ISQ_E10value_typeET4_jRbjT5_SW_jjP12ihipStream_tbEUlT_E2_NS1_11comp_targetILNS1_3genE0ELNS1_11target_archE4294967295ELNS1_3gpuE0ELNS1_3repE0EEENS1_30default_config_static_selectorELNS0_4arch9wavefront6targetE0EEEvSK_,comdat
.Lfunc_end626:
	.size	_ZN7rocprim17ROCPRIM_400000_NS6detail17trampoline_kernelINS0_14default_configENS1_36segmented_radix_sort_config_selectorIilEEZNS1_25segmented_radix_sort_implIS3_Lb0EPKiPiPKlPlN2at6native12_GLOBAL__N_18offset_tEEE10hipError_tPvRmT1_PNSt15iterator_traitsISK_E10value_typeET2_T3_PNSL_ISQ_E10value_typeET4_jRbjT5_SW_jjP12ihipStream_tbEUlT_E2_NS1_11comp_targetILNS1_3genE0ELNS1_11target_archE4294967295ELNS1_3gpuE0ELNS1_3repE0EEENS1_30default_config_static_selectorELNS0_4arch9wavefront6targetE0EEEvSK_, .Lfunc_end626-_ZN7rocprim17ROCPRIM_400000_NS6detail17trampoline_kernelINS0_14default_configENS1_36segmented_radix_sort_config_selectorIilEEZNS1_25segmented_radix_sort_implIS3_Lb0EPKiPiPKlPlN2at6native12_GLOBAL__N_18offset_tEEE10hipError_tPvRmT1_PNSt15iterator_traitsISK_E10value_typeET2_T3_PNSL_ISQ_E10value_typeET4_jRbjT5_SW_jjP12ihipStream_tbEUlT_E2_NS1_11comp_targetILNS1_3genE0ELNS1_11target_archE4294967295ELNS1_3gpuE0ELNS1_3repE0EEENS1_30default_config_static_selectorELNS0_4arch9wavefront6targetE0EEEvSK_
                                        ; -- End function
	.set _ZN7rocprim17ROCPRIM_400000_NS6detail17trampoline_kernelINS0_14default_configENS1_36segmented_radix_sort_config_selectorIilEEZNS1_25segmented_radix_sort_implIS3_Lb0EPKiPiPKlPlN2at6native12_GLOBAL__N_18offset_tEEE10hipError_tPvRmT1_PNSt15iterator_traitsISK_E10value_typeET2_T3_PNSL_ISQ_E10value_typeET4_jRbjT5_SW_jjP12ihipStream_tbEUlT_E2_NS1_11comp_targetILNS1_3genE0ELNS1_11target_archE4294967295ELNS1_3gpuE0ELNS1_3repE0EEENS1_30default_config_static_selectorELNS0_4arch9wavefront6targetE0EEEvSK_.num_vgpr, max(204, .L_ZN7rocprim17ROCPRIM_400000_NS6detail26segmented_warp_sort_helperINS1_20WarpSortHelperConfigILj8ELj4ELj256EEEilLi256ELb0EvE4sortIPKiPiPKlPlEEvT_T0_T1_T2_jjjjRNS5_12storage_typeE.num_vgpr, .L_ZN7rocprim17ROCPRIM_400000_NS6detail40segmented_radix_sort_single_block_helperIilLj256ELj16ELb0EE4sortIPKiPiPKlPlEEbT_T0_T1_T2_jjjjRNS3_12storage_typeE.num_vgpr)
	.set _ZN7rocprim17ROCPRIM_400000_NS6detail17trampoline_kernelINS0_14default_configENS1_36segmented_radix_sort_config_selectorIilEEZNS1_25segmented_radix_sort_implIS3_Lb0EPKiPiPKlPlN2at6native12_GLOBAL__N_18offset_tEEE10hipError_tPvRmT1_PNSt15iterator_traitsISK_E10value_typeET2_T3_PNSL_ISQ_E10value_typeET4_jRbjT5_SW_jjP12ihipStream_tbEUlT_E2_NS1_11comp_targetILNS1_3genE0ELNS1_11target_archE4294967295ELNS1_3gpuE0ELNS1_3repE0EEENS1_30default_config_static_selectorELNS0_4arch9wavefront6targetE0EEEvSK_.num_agpr, max(0, .L_ZN7rocprim17ROCPRIM_400000_NS6detail26segmented_warp_sort_helperINS1_20WarpSortHelperConfigILj8ELj4ELj256EEEilLi256ELb0EvE4sortIPKiPiPKlPlEEvT_T0_T1_T2_jjjjRNS5_12storage_typeE.num_agpr, .L_ZN7rocprim17ROCPRIM_400000_NS6detail40segmented_radix_sort_single_block_helperIilLj256ELj16ELb0EE4sortIPKiPiPKlPlEEbT_T0_T1_T2_jjjjRNS3_12storage_typeE.num_agpr)
	.set _ZN7rocprim17ROCPRIM_400000_NS6detail17trampoline_kernelINS0_14default_configENS1_36segmented_radix_sort_config_selectorIilEEZNS1_25segmented_radix_sort_implIS3_Lb0EPKiPiPKlPlN2at6native12_GLOBAL__N_18offset_tEEE10hipError_tPvRmT1_PNSt15iterator_traitsISK_E10value_typeET2_T3_PNSL_ISQ_E10value_typeET4_jRbjT5_SW_jjP12ihipStream_tbEUlT_E2_NS1_11comp_targetILNS1_3genE0ELNS1_11target_archE4294967295ELNS1_3gpuE0ELNS1_3repE0EEENS1_30default_config_static_selectorELNS0_4arch9wavefront6targetE0EEEvSK_.numbered_sgpr, max(58, .L_ZN7rocprim17ROCPRIM_400000_NS6detail26segmented_warp_sort_helperINS1_20WarpSortHelperConfigILj8ELj4ELj256EEEilLi256ELb0EvE4sortIPKiPiPKlPlEEvT_T0_T1_T2_jjjjRNS5_12storage_typeE.numbered_sgpr, .L_ZN7rocprim17ROCPRIM_400000_NS6detail40segmented_radix_sort_single_block_helperIilLj256ELj16ELb0EE4sortIPKiPiPKlPlEEbT_T0_T1_T2_jjjjRNS3_12storage_typeE.numbered_sgpr)
	.set _ZN7rocprim17ROCPRIM_400000_NS6detail17trampoline_kernelINS0_14default_configENS1_36segmented_radix_sort_config_selectorIilEEZNS1_25segmented_radix_sort_implIS3_Lb0EPKiPiPKlPlN2at6native12_GLOBAL__N_18offset_tEEE10hipError_tPvRmT1_PNSt15iterator_traitsISK_E10value_typeET2_T3_PNSL_ISQ_E10value_typeET4_jRbjT5_SW_jjP12ihipStream_tbEUlT_E2_NS1_11comp_targetILNS1_3genE0ELNS1_11target_archE4294967295ELNS1_3gpuE0ELNS1_3repE0EEENS1_30default_config_static_selectorELNS0_4arch9wavefront6targetE0EEEvSK_.num_named_barrier, max(0, .L_ZN7rocprim17ROCPRIM_400000_NS6detail26segmented_warp_sort_helperINS1_20WarpSortHelperConfigILj8ELj4ELj256EEEilLi256ELb0EvE4sortIPKiPiPKlPlEEvT_T0_T1_T2_jjjjRNS5_12storage_typeE.num_named_barrier, .L_ZN7rocprim17ROCPRIM_400000_NS6detail40segmented_radix_sort_single_block_helperIilLj256ELj16ELb0EE4sortIPKiPiPKlPlEEbT_T0_T1_T2_jjjjRNS3_12storage_typeE.num_named_barrier)
	.set _ZN7rocprim17ROCPRIM_400000_NS6detail17trampoline_kernelINS0_14default_configENS1_36segmented_radix_sort_config_selectorIilEEZNS1_25segmented_radix_sort_implIS3_Lb0EPKiPiPKlPlN2at6native12_GLOBAL__N_18offset_tEEE10hipError_tPvRmT1_PNSt15iterator_traitsISK_E10value_typeET2_T3_PNSL_ISQ_E10value_typeET4_jRbjT5_SW_jjP12ihipStream_tbEUlT_E2_NS1_11comp_targetILNS1_3genE0ELNS1_11target_archE4294967295ELNS1_3gpuE0ELNS1_3repE0EEENS1_30default_config_static_selectorELNS0_4arch9wavefront6targetE0EEEvSK_.private_seg_size, 0+max(.L_ZN7rocprim17ROCPRIM_400000_NS6detail26segmented_warp_sort_helperINS1_20WarpSortHelperConfigILj8ELj4ELj256EEEilLi256ELb0EvE4sortIPKiPiPKlPlEEvT_T0_T1_T2_jjjjRNS5_12storage_typeE.private_seg_size, .L_ZN7rocprim17ROCPRIM_400000_NS6detail40segmented_radix_sort_single_block_helperIilLj256ELj16ELb0EE4sortIPKiPiPKlPlEEbT_T0_T1_T2_jjjjRNS3_12storage_typeE.private_seg_size)
	.set _ZN7rocprim17ROCPRIM_400000_NS6detail17trampoline_kernelINS0_14default_configENS1_36segmented_radix_sort_config_selectorIilEEZNS1_25segmented_radix_sort_implIS3_Lb0EPKiPiPKlPlN2at6native12_GLOBAL__N_18offset_tEEE10hipError_tPvRmT1_PNSt15iterator_traitsISK_E10value_typeET2_T3_PNSL_ISQ_E10value_typeET4_jRbjT5_SW_jjP12ihipStream_tbEUlT_E2_NS1_11comp_targetILNS1_3genE0ELNS1_11target_archE4294967295ELNS1_3gpuE0ELNS1_3repE0EEENS1_30default_config_static_selectorELNS0_4arch9wavefront6targetE0EEEvSK_.uses_vcc, or(1, .L_ZN7rocprim17ROCPRIM_400000_NS6detail26segmented_warp_sort_helperINS1_20WarpSortHelperConfigILj8ELj4ELj256EEEilLi256ELb0EvE4sortIPKiPiPKlPlEEvT_T0_T1_T2_jjjjRNS5_12storage_typeE.uses_vcc, .L_ZN7rocprim17ROCPRIM_400000_NS6detail40segmented_radix_sort_single_block_helperIilLj256ELj16ELb0EE4sortIPKiPiPKlPlEEbT_T0_T1_T2_jjjjRNS3_12storage_typeE.uses_vcc)
	.set _ZN7rocprim17ROCPRIM_400000_NS6detail17trampoline_kernelINS0_14default_configENS1_36segmented_radix_sort_config_selectorIilEEZNS1_25segmented_radix_sort_implIS3_Lb0EPKiPiPKlPlN2at6native12_GLOBAL__N_18offset_tEEE10hipError_tPvRmT1_PNSt15iterator_traitsISK_E10value_typeET2_T3_PNSL_ISQ_E10value_typeET4_jRbjT5_SW_jjP12ihipStream_tbEUlT_E2_NS1_11comp_targetILNS1_3genE0ELNS1_11target_archE4294967295ELNS1_3gpuE0ELNS1_3repE0EEENS1_30default_config_static_selectorELNS0_4arch9wavefront6targetE0EEEvSK_.uses_flat_scratch, or(0, .L_ZN7rocprim17ROCPRIM_400000_NS6detail26segmented_warp_sort_helperINS1_20WarpSortHelperConfigILj8ELj4ELj256EEEilLi256ELb0EvE4sortIPKiPiPKlPlEEvT_T0_T1_T2_jjjjRNS5_12storage_typeE.uses_flat_scratch, .L_ZN7rocprim17ROCPRIM_400000_NS6detail40segmented_radix_sort_single_block_helperIilLj256ELj16ELb0EE4sortIPKiPiPKlPlEEbT_T0_T1_T2_jjjjRNS3_12storage_typeE.uses_flat_scratch)
	.set _ZN7rocprim17ROCPRIM_400000_NS6detail17trampoline_kernelINS0_14default_configENS1_36segmented_radix_sort_config_selectorIilEEZNS1_25segmented_radix_sort_implIS3_Lb0EPKiPiPKlPlN2at6native12_GLOBAL__N_18offset_tEEE10hipError_tPvRmT1_PNSt15iterator_traitsISK_E10value_typeET2_T3_PNSL_ISQ_E10value_typeET4_jRbjT5_SW_jjP12ihipStream_tbEUlT_E2_NS1_11comp_targetILNS1_3genE0ELNS1_11target_archE4294967295ELNS1_3gpuE0ELNS1_3repE0EEENS1_30default_config_static_selectorELNS0_4arch9wavefront6targetE0EEEvSK_.has_dyn_sized_stack, or(0, .L_ZN7rocprim17ROCPRIM_400000_NS6detail26segmented_warp_sort_helperINS1_20WarpSortHelperConfigILj8ELj4ELj256EEEilLi256ELb0EvE4sortIPKiPiPKlPlEEvT_T0_T1_T2_jjjjRNS5_12storage_typeE.has_dyn_sized_stack, .L_ZN7rocprim17ROCPRIM_400000_NS6detail40segmented_radix_sort_single_block_helperIilLj256ELj16ELb0EE4sortIPKiPiPKlPlEEbT_T0_T1_T2_jjjjRNS3_12storage_typeE.has_dyn_sized_stack)
	.set _ZN7rocprim17ROCPRIM_400000_NS6detail17trampoline_kernelINS0_14default_configENS1_36segmented_radix_sort_config_selectorIilEEZNS1_25segmented_radix_sort_implIS3_Lb0EPKiPiPKlPlN2at6native12_GLOBAL__N_18offset_tEEE10hipError_tPvRmT1_PNSt15iterator_traitsISK_E10value_typeET2_T3_PNSL_ISQ_E10value_typeET4_jRbjT5_SW_jjP12ihipStream_tbEUlT_E2_NS1_11comp_targetILNS1_3genE0ELNS1_11target_archE4294967295ELNS1_3gpuE0ELNS1_3repE0EEENS1_30default_config_static_selectorELNS0_4arch9wavefront6targetE0EEEvSK_.has_recursion, or(0, .L_ZN7rocprim17ROCPRIM_400000_NS6detail26segmented_warp_sort_helperINS1_20WarpSortHelperConfigILj8ELj4ELj256EEEilLi256ELb0EvE4sortIPKiPiPKlPlEEvT_T0_T1_T2_jjjjRNS5_12storage_typeE.has_recursion, .L_ZN7rocprim17ROCPRIM_400000_NS6detail40segmented_radix_sort_single_block_helperIilLj256ELj16ELb0EE4sortIPKiPiPKlPlEEbT_T0_T1_T2_jjjjRNS3_12storage_typeE.has_recursion)
	.set _ZN7rocprim17ROCPRIM_400000_NS6detail17trampoline_kernelINS0_14default_configENS1_36segmented_radix_sort_config_selectorIilEEZNS1_25segmented_radix_sort_implIS3_Lb0EPKiPiPKlPlN2at6native12_GLOBAL__N_18offset_tEEE10hipError_tPvRmT1_PNSt15iterator_traitsISK_E10value_typeET2_T3_PNSL_ISQ_E10value_typeET4_jRbjT5_SW_jjP12ihipStream_tbEUlT_E2_NS1_11comp_targetILNS1_3genE0ELNS1_11target_archE4294967295ELNS1_3gpuE0ELNS1_3repE0EEENS1_30default_config_static_selectorELNS0_4arch9wavefront6targetE0EEEvSK_.has_indirect_call, or(0, .L_ZN7rocprim17ROCPRIM_400000_NS6detail26segmented_warp_sort_helperINS1_20WarpSortHelperConfigILj8ELj4ELj256EEEilLi256ELb0EvE4sortIPKiPiPKlPlEEvT_T0_T1_T2_jjjjRNS5_12storage_typeE.has_indirect_call, .L_ZN7rocprim17ROCPRIM_400000_NS6detail40segmented_radix_sort_single_block_helperIilLj256ELj16ELb0EE4sortIPKiPiPKlPlEEbT_T0_T1_T2_jjjjRNS3_12storage_typeE.has_indirect_call)
	.section	.AMDGPU.csdata,"",@progbits
; Kernel info:
; codeLenInByte = 68696
; TotalNumSgprs: 60
; NumVgprs: 287
; ScratchSize: 0
; MemoryBound: 0
; FloatMode: 240
; IeeeMode: 1
; LDSByteSize: 33824 bytes/workgroup (compile time only)
; SGPRBlocks: 0
; VGPRBlocks: 17
; NumSGPRsForWavesPerEU: 60
; NumVGPRsForWavesPerEU: 287
; NamedBarCnt: 0
; Occupancy: 3
; WaveLimiterHint : 1
; COMPUTE_PGM_RSRC2:SCRATCH_EN: 0
; COMPUTE_PGM_RSRC2:USER_SGPR: 4
; COMPUTE_PGM_RSRC2:TRAP_HANDLER: 0
; COMPUTE_PGM_RSRC2:TGID_X_EN: 1
; COMPUTE_PGM_RSRC2:TGID_Y_EN: 1
; COMPUTE_PGM_RSRC2:TGID_Z_EN: 0
; COMPUTE_PGM_RSRC2:TIDIG_COMP_CNT: 2
	.section	.text._ZN7rocprim17ROCPRIM_400000_NS6detail17trampoline_kernelINS0_14default_configENS1_36segmented_radix_sort_config_selectorIilEEZNS1_25segmented_radix_sort_implIS3_Lb0EPKiPiPKlPlN2at6native12_GLOBAL__N_18offset_tEEE10hipError_tPvRmT1_PNSt15iterator_traitsISK_E10value_typeET2_T3_PNSL_ISQ_E10value_typeET4_jRbjT5_SW_jjP12ihipStream_tbEUlT_E2_NS1_11comp_targetILNS1_3genE5ELNS1_11target_archE942ELNS1_3gpuE9ELNS1_3repE0EEENS1_30default_config_static_selectorELNS0_4arch9wavefront6targetE0EEEvSK_,"axG",@progbits,_ZN7rocprim17ROCPRIM_400000_NS6detail17trampoline_kernelINS0_14default_configENS1_36segmented_radix_sort_config_selectorIilEEZNS1_25segmented_radix_sort_implIS3_Lb0EPKiPiPKlPlN2at6native12_GLOBAL__N_18offset_tEEE10hipError_tPvRmT1_PNSt15iterator_traitsISK_E10value_typeET2_T3_PNSL_ISQ_E10value_typeET4_jRbjT5_SW_jjP12ihipStream_tbEUlT_E2_NS1_11comp_targetILNS1_3genE5ELNS1_11target_archE942ELNS1_3gpuE9ELNS1_3repE0EEENS1_30default_config_static_selectorELNS0_4arch9wavefront6targetE0EEEvSK_,comdat
	.globl	_ZN7rocprim17ROCPRIM_400000_NS6detail17trampoline_kernelINS0_14default_configENS1_36segmented_radix_sort_config_selectorIilEEZNS1_25segmented_radix_sort_implIS3_Lb0EPKiPiPKlPlN2at6native12_GLOBAL__N_18offset_tEEE10hipError_tPvRmT1_PNSt15iterator_traitsISK_E10value_typeET2_T3_PNSL_ISQ_E10value_typeET4_jRbjT5_SW_jjP12ihipStream_tbEUlT_E2_NS1_11comp_targetILNS1_3genE5ELNS1_11target_archE942ELNS1_3gpuE9ELNS1_3repE0EEENS1_30default_config_static_selectorELNS0_4arch9wavefront6targetE0EEEvSK_ ; -- Begin function _ZN7rocprim17ROCPRIM_400000_NS6detail17trampoline_kernelINS0_14default_configENS1_36segmented_radix_sort_config_selectorIilEEZNS1_25segmented_radix_sort_implIS3_Lb0EPKiPiPKlPlN2at6native12_GLOBAL__N_18offset_tEEE10hipError_tPvRmT1_PNSt15iterator_traitsISK_E10value_typeET2_T3_PNSL_ISQ_E10value_typeET4_jRbjT5_SW_jjP12ihipStream_tbEUlT_E2_NS1_11comp_targetILNS1_3genE5ELNS1_11target_archE942ELNS1_3gpuE9ELNS1_3repE0EEENS1_30default_config_static_selectorELNS0_4arch9wavefront6targetE0EEEvSK_
	.p2align	8
	.type	_ZN7rocprim17ROCPRIM_400000_NS6detail17trampoline_kernelINS0_14default_configENS1_36segmented_radix_sort_config_selectorIilEEZNS1_25segmented_radix_sort_implIS3_Lb0EPKiPiPKlPlN2at6native12_GLOBAL__N_18offset_tEEE10hipError_tPvRmT1_PNSt15iterator_traitsISK_E10value_typeET2_T3_PNSL_ISQ_E10value_typeET4_jRbjT5_SW_jjP12ihipStream_tbEUlT_E2_NS1_11comp_targetILNS1_3genE5ELNS1_11target_archE942ELNS1_3gpuE9ELNS1_3repE0EEENS1_30default_config_static_selectorELNS0_4arch9wavefront6targetE0EEEvSK_,@function
_ZN7rocprim17ROCPRIM_400000_NS6detail17trampoline_kernelINS0_14default_configENS1_36segmented_radix_sort_config_selectorIilEEZNS1_25segmented_radix_sort_implIS3_Lb0EPKiPiPKlPlN2at6native12_GLOBAL__N_18offset_tEEE10hipError_tPvRmT1_PNSt15iterator_traitsISK_E10value_typeET2_T3_PNSL_ISQ_E10value_typeET4_jRbjT5_SW_jjP12ihipStream_tbEUlT_E2_NS1_11comp_targetILNS1_3genE5ELNS1_11target_archE942ELNS1_3gpuE9ELNS1_3repE0EEENS1_30default_config_static_selectorELNS0_4arch9wavefront6targetE0EEEvSK_: ; @_ZN7rocprim17ROCPRIM_400000_NS6detail17trampoline_kernelINS0_14default_configENS1_36segmented_radix_sort_config_selectorIilEEZNS1_25segmented_radix_sort_implIS3_Lb0EPKiPiPKlPlN2at6native12_GLOBAL__N_18offset_tEEE10hipError_tPvRmT1_PNSt15iterator_traitsISK_E10value_typeET2_T3_PNSL_ISQ_E10value_typeET4_jRbjT5_SW_jjP12ihipStream_tbEUlT_E2_NS1_11comp_targetILNS1_3genE5ELNS1_11target_archE942ELNS1_3gpuE9ELNS1_3repE0EEENS1_30default_config_static_selectorELNS0_4arch9wavefront6targetE0EEEvSK_
; %bb.0:
	.section	.rodata,"a",@progbits
	.p2align	6, 0x0
	.amdhsa_kernel _ZN7rocprim17ROCPRIM_400000_NS6detail17trampoline_kernelINS0_14default_configENS1_36segmented_radix_sort_config_selectorIilEEZNS1_25segmented_radix_sort_implIS3_Lb0EPKiPiPKlPlN2at6native12_GLOBAL__N_18offset_tEEE10hipError_tPvRmT1_PNSt15iterator_traitsISK_E10value_typeET2_T3_PNSL_ISQ_E10value_typeET4_jRbjT5_SW_jjP12ihipStream_tbEUlT_E2_NS1_11comp_targetILNS1_3genE5ELNS1_11target_archE942ELNS1_3gpuE9ELNS1_3repE0EEENS1_30default_config_static_selectorELNS0_4arch9wavefront6targetE0EEEvSK_
		.amdhsa_group_segment_fixed_size 0
		.amdhsa_private_segment_fixed_size 0
		.amdhsa_kernarg_size 80
		.amdhsa_user_sgpr_count 2
		.amdhsa_user_sgpr_dispatch_ptr 0
		.amdhsa_user_sgpr_queue_ptr 0
		.amdhsa_user_sgpr_kernarg_segment_ptr 1
		.amdhsa_user_sgpr_dispatch_id 0
		.amdhsa_user_sgpr_kernarg_preload_length 0
		.amdhsa_user_sgpr_kernarg_preload_offset 0
		.amdhsa_user_sgpr_private_segment_size 0
		.amdhsa_wavefront_size32 1
		.amdhsa_uses_dynamic_stack 0
		.amdhsa_enable_private_segment 0
		.amdhsa_system_sgpr_workgroup_id_x 1
		.amdhsa_system_sgpr_workgroup_id_y 0
		.amdhsa_system_sgpr_workgroup_id_z 0
		.amdhsa_system_sgpr_workgroup_info 0
		.amdhsa_system_vgpr_workitem_id 0
		.amdhsa_next_free_vgpr 1
		.amdhsa_next_free_sgpr 1
		.amdhsa_named_barrier_count 0
		.amdhsa_reserve_vcc 0
		.amdhsa_float_round_mode_32 0
		.amdhsa_float_round_mode_16_64 0
		.amdhsa_float_denorm_mode_32 3
		.amdhsa_float_denorm_mode_16_64 3
		.amdhsa_fp16_overflow 0
		.amdhsa_memory_ordered 1
		.amdhsa_forward_progress 1
		.amdhsa_inst_pref_size 0
		.amdhsa_round_robin_scheduling 0
		.amdhsa_exception_fp_ieee_invalid_op 0
		.amdhsa_exception_fp_denorm_src 0
		.amdhsa_exception_fp_ieee_div_zero 0
		.amdhsa_exception_fp_ieee_overflow 0
		.amdhsa_exception_fp_ieee_underflow 0
		.amdhsa_exception_fp_ieee_inexact 0
		.amdhsa_exception_int_div_zero 0
	.end_amdhsa_kernel
	.section	.text._ZN7rocprim17ROCPRIM_400000_NS6detail17trampoline_kernelINS0_14default_configENS1_36segmented_radix_sort_config_selectorIilEEZNS1_25segmented_radix_sort_implIS3_Lb0EPKiPiPKlPlN2at6native12_GLOBAL__N_18offset_tEEE10hipError_tPvRmT1_PNSt15iterator_traitsISK_E10value_typeET2_T3_PNSL_ISQ_E10value_typeET4_jRbjT5_SW_jjP12ihipStream_tbEUlT_E2_NS1_11comp_targetILNS1_3genE5ELNS1_11target_archE942ELNS1_3gpuE9ELNS1_3repE0EEENS1_30default_config_static_selectorELNS0_4arch9wavefront6targetE0EEEvSK_,"axG",@progbits,_ZN7rocprim17ROCPRIM_400000_NS6detail17trampoline_kernelINS0_14default_configENS1_36segmented_radix_sort_config_selectorIilEEZNS1_25segmented_radix_sort_implIS3_Lb0EPKiPiPKlPlN2at6native12_GLOBAL__N_18offset_tEEE10hipError_tPvRmT1_PNSt15iterator_traitsISK_E10value_typeET2_T3_PNSL_ISQ_E10value_typeET4_jRbjT5_SW_jjP12ihipStream_tbEUlT_E2_NS1_11comp_targetILNS1_3genE5ELNS1_11target_archE942ELNS1_3gpuE9ELNS1_3repE0EEENS1_30default_config_static_selectorELNS0_4arch9wavefront6targetE0EEEvSK_,comdat
.Lfunc_end627:
	.size	_ZN7rocprim17ROCPRIM_400000_NS6detail17trampoline_kernelINS0_14default_configENS1_36segmented_radix_sort_config_selectorIilEEZNS1_25segmented_radix_sort_implIS3_Lb0EPKiPiPKlPlN2at6native12_GLOBAL__N_18offset_tEEE10hipError_tPvRmT1_PNSt15iterator_traitsISK_E10value_typeET2_T3_PNSL_ISQ_E10value_typeET4_jRbjT5_SW_jjP12ihipStream_tbEUlT_E2_NS1_11comp_targetILNS1_3genE5ELNS1_11target_archE942ELNS1_3gpuE9ELNS1_3repE0EEENS1_30default_config_static_selectorELNS0_4arch9wavefront6targetE0EEEvSK_, .Lfunc_end627-_ZN7rocprim17ROCPRIM_400000_NS6detail17trampoline_kernelINS0_14default_configENS1_36segmented_radix_sort_config_selectorIilEEZNS1_25segmented_radix_sort_implIS3_Lb0EPKiPiPKlPlN2at6native12_GLOBAL__N_18offset_tEEE10hipError_tPvRmT1_PNSt15iterator_traitsISK_E10value_typeET2_T3_PNSL_ISQ_E10value_typeET4_jRbjT5_SW_jjP12ihipStream_tbEUlT_E2_NS1_11comp_targetILNS1_3genE5ELNS1_11target_archE942ELNS1_3gpuE9ELNS1_3repE0EEENS1_30default_config_static_selectorELNS0_4arch9wavefront6targetE0EEEvSK_
                                        ; -- End function
	.set _ZN7rocprim17ROCPRIM_400000_NS6detail17trampoline_kernelINS0_14default_configENS1_36segmented_radix_sort_config_selectorIilEEZNS1_25segmented_radix_sort_implIS3_Lb0EPKiPiPKlPlN2at6native12_GLOBAL__N_18offset_tEEE10hipError_tPvRmT1_PNSt15iterator_traitsISK_E10value_typeET2_T3_PNSL_ISQ_E10value_typeET4_jRbjT5_SW_jjP12ihipStream_tbEUlT_E2_NS1_11comp_targetILNS1_3genE5ELNS1_11target_archE942ELNS1_3gpuE9ELNS1_3repE0EEENS1_30default_config_static_selectorELNS0_4arch9wavefront6targetE0EEEvSK_.num_vgpr, 0
	.set _ZN7rocprim17ROCPRIM_400000_NS6detail17trampoline_kernelINS0_14default_configENS1_36segmented_radix_sort_config_selectorIilEEZNS1_25segmented_radix_sort_implIS3_Lb0EPKiPiPKlPlN2at6native12_GLOBAL__N_18offset_tEEE10hipError_tPvRmT1_PNSt15iterator_traitsISK_E10value_typeET2_T3_PNSL_ISQ_E10value_typeET4_jRbjT5_SW_jjP12ihipStream_tbEUlT_E2_NS1_11comp_targetILNS1_3genE5ELNS1_11target_archE942ELNS1_3gpuE9ELNS1_3repE0EEENS1_30default_config_static_selectorELNS0_4arch9wavefront6targetE0EEEvSK_.num_agpr, 0
	.set _ZN7rocprim17ROCPRIM_400000_NS6detail17trampoline_kernelINS0_14default_configENS1_36segmented_radix_sort_config_selectorIilEEZNS1_25segmented_radix_sort_implIS3_Lb0EPKiPiPKlPlN2at6native12_GLOBAL__N_18offset_tEEE10hipError_tPvRmT1_PNSt15iterator_traitsISK_E10value_typeET2_T3_PNSL_ISQ_E10value_typeET4_jRbjT5_SW_jjP12ihipStream_tbEUlT_E2_NS1_11comp_targetILNS1_3genE5ELNS1_11target_archE942ELNS1_3gpuE9ELNS1_3repE0EEENS1_30default_config_static_selectorELNS0_4arch9wavefront6targetE0EEEvSK_.numbered_sgpr, 0
	.set _ZN7rocprim17ROCPRIM_400000_NS6detail17trampoline_kernelINS0_14default_configENS1_36segmented_radix_sort_config_selectorIilEEZNS1_25segmented_radix_sort_implIS3_Lb0EPKiPiPKlPlN2at6native12_GLOBAL__N_18offset_tEEE10hipError_tPvRmT1_PNSt15iterator_traitsISK_E10value_typeET2_T3_PNSL_ISQ_E10value_typeET4_jRbjT5_SW_jjP12ihipStream_tbEUlT_E2_NS1_11comp_targetILNS1_3genE5ELNS1_11target_archE942ELNS1_3gpuE9ELNS1_3repE0EEENS1_30default_config_static_selectorELNS0_4arch9wavefront6targetE0EEEvSK_.num_named_barrier, 0
	.set _ZN7rocprim17ROCPRIM_400000_NS6detail17trampoline_kernelINS0_14default_configENS1_36segmented_radix_sort_config_selectorIilEEZNS1_25segmented_radix_sort_implIS3_Lb0EPKiPiPKlPlN2at6native12_GLOBAL__N_18offset_tEEE10hipError_tPvRmT1_PNSt15iterator_traitsISK_E10value_typeET2_T3_PNSL_ISQ_E10value_typeET4_jRbjT5_SW_jjP12ihipStream_tbEUlT_E2_NS1_11comp_targetILNS1_3genE5ELNS1_11target_archE942ELNS1_3gpuE9ELNS1_3repE0EEENS1_30default_config_static_selectorELNS0_4arch9wavefront6targetE0EEEvSK_.private_seg_size, 0
	.set _ZN7rocprim17ROCPRIM_400000_NS6detail17trampoline_kernelINS0_14default_configENS1_36segmented_radix_sort_config_selectorIilEEZNS1_25segmented_radix_sort_implIS3_Lb0EPKiPiPKlPlN2at6native12_GLOBAL__N_18offset_tEEE10hipError_tPvRmT1_PNSt15iterator_traitsISK_E10value_typeET2_T3_PNSL_ISQ_E10value_typeET4_jRbjT5_SW_jjP12ihipStream_tbEUlT_E2_NS1_11comp_targetILNS1_3genE5ELNS1_11target_archE942ELNS1_3gpuE9ELNS1_3repE0EEENS1_30default_config_static_selectorELNS0_4arch9wavefront6targetE0EEEvSK_.uses_vcc, 0
	.set _ZN7rocprim17ROCPRIM_400000_NS6detail17trampoline_kernelINS0_14default_configENS1_36segmented_radix_sort_config_selectorIilEEZNS1_25segmented_radix_sort_implIS3_Lb0EPKiPiPKlPlN2at6native12_GLOBAL__N_18offset_tEEE10hipError_tPvRmT1_PNSt15iterator_traitsISK_E10value_typeET2_T3_PNSL_ISQ_E10value_typeET4_jRbjT5_SW_jjP12ihipStream_tbEUlT_E2_NS1_11comp_targetILNS1_3genE5ELNS1_11target_archE942ELNS1_3gpuE9ELNS1_3repE0EEENS1_30default_config_static_selectorELNS0_4arch9wavefront6targetE0EEEvSK_.uses_flat_scratch, 0
	.set _ZN7rocprim17ROCPRIM_400000_NS6detail17trampoline_kernelINS0_14default_configENS1_36segmented_radix_sort_config_selectorIilEEZNS1_25segmented_radix_sort_implIS3_Lb0EPKiPiPKlPlN2at6native12_GLOBAL__N_18offset_tEEE10hipError_tPvRmT1_PNSt15iterator_traitsISK_E10value_typeET2_T3_PNSL_ISQ_E10value_typeET4_jRbjT5_SW_jjP12ihipStream_tbEUlT_E2_NS1_11comp_targetILNS1_3genE5ELNS1_11target_archE942ELNS1_3gpuE9ELNS1_3repE0EEENS1_30default_config_static_selectorELNS0_4arch9wavefront6targetE0EEEvSK_.has_dyn_sized_stack, 0
	.set _ZN7rocprim17ROCPRIM_400000_NS6detail17trampoline_kernelINS0_14default_configENS1_36segmented_radix_sort_config_selectorIilEEZNS1_25segmented_radix_sort_implIS3_Lb0EPKiPiPKlPlN2at6native12_GLOBAL__N_18offset_tEEE10hipError_tPvRmT1_PNSt15iterator_traitsISK_E10value_typeET2_T3_PNSL_ISQ_E10value_typeET4_jRbjT5_SW_jjP12ihipStream_tbEUlT_E2_NS1_11comp_targetILNS1_3genE5ELNS1_11target_archE942ELNS1_3gpuE9ELNS1_3repE0EEENS1_30default_config_static_selectorELNS0_4arch9wavefront6targetE0EEEvSK_.has_recursion, 0
	.set _ZN7rocprim17ROCPRIM_400000_NS6detail17trampoline_kernelINS0_14default_configENS1_36segmented_radix_sort_config_selectorIilEEZNS1_25segmented_radix_sort_implIS3_Lb0EPKiPiPKlPlN2at6native12_GLOBAL__N_18offset_tEEE10hipError_tPvRmT1_PNSt15iterator_traitsISK_E10value_typeET2_T3_PNSL_ISQ_E10value_typeET4_jRbjT5_SW_jjP12ihipStream_tbEUlT_E2_NS1_11comp_targetILNS1_3genE5ELNS1_11target_archE942ELNS1_3gpuE9ELNS1_3repE0EEENS1_30default_config_static_selectorELNS0_4arch9wavefront6targetE0EEEvSK_.has_indirect_call, 0
	.section	.AMDGPU.csdata,"",@progbits
; Kernel info:
; codeLenInByte = 0
; TotalNumSgprs: 0
; NumVgprs: 0
; ScratchSize: 0
; MemoryBound: 0
; FloatMode: 240
; IeeeMode: 1
; LDSByteSize: 0 bytes/workgroup (compile time only)
; SGPRBlocks: 0
; VGPRBlocks: 0
; NumSGPRsForWavesPerEU: 1
; NumVGPRsForWavesPerEU: 1
; NamedBarCnt: 0
; Occupancy: 16
; WaveLimiterHint : 0
; COMPUTE_PGM_RSRC2:SCRATCH_EN: 0
; COMPUTE_PGM_RSRC2:USER_SGPR: 2
; COMPUTE_PGM_RSRC2:TRAP_HANDLER: 0
; COMPUTE_PGM_RSRC2:TGID_X_EN: 1
; COMPUTE_PGM_RSRC2:TGID_Y_EN: 0
; COMPUTE_PGM_RSRC2:TGID_Z_EN: 0
; COMPUTE_PGM_RSRC2:TIDIG_COMP_CNT: 0
	.section	.text._ZN7rocprim17ROCPRIM_400000_NS6detail17trampoline_kernelINS0_14default_configENS1_36segmented_radix_sort_config_selectorIilEEZNS1_25segmented_radix_sort_implIS3_Lb0EPKiPiPKlPlN2at6native12_GLOBAL__N_18offset_tEEE10hipError_tPvRmT1_PNSt15iterator_traitsISK_E10value_typeET2_T3_PNSL_ISQ_E10value_typeET4_jRbjT5_SW_jjP12ihipStream_tbEUlT_E2_NS1_11comp_targetILNS1_3genE4ELNS1_11target_archE910ELNS1_3gpuE8ELNS1_3repE0EEENS1_30default_config_static_selectorELNS0_4arch9wavefront6targetE0EEEvSK_,"axG",@progbits,_ZN7rocprim17ROCPRIM_400000_NS6detail17trampoline_kernelINS0_14default_configENS1_36segmented_radix_sort_config_selectorIilEEZNS1_25segmented_radix_sort_implIS3_Lb0EPKiPiPKlPlN2at6native12_GLOBAL__N_18offset_tEEE10hipError_tPvRmT1_PNSt15iterator_traitsISK_E10value_typeET2_T3_PNSL_ISQ_E10value_typeET4_jRbjT5_SW_jjP12ihipStream_tbEUlT_E2_NS1_11comp_targetILNS1_3genE4ELNS1_11target_archE910ELNS1_3gpuE8ELNS1_3repE0EEENS1_30default_config_static_selectorELNS0_4arch9wavefront6targetE0EEEvSK_,comdat
	.globl	_ZN7rocprim17ROCPRIM_400000_NS6detail17trampoline_kernelINS0_14default_configENS1_36segmented_radix_sort_config_selectorIilEEZNS1_25segmented_radix_sort_implIS3_Lb0EPKiPiPKlPlN2at6native12_GLOBAL__N_18offset_tEEE10hipError_tPvRmT1_PNSt15iterator_traitsISK_E10value_typeET2_T3_PNSL_ISQ_E10value_typeET4_jRbjT5_SW_jjP12ihipStream_tbEUlT_E2_NS1_11comp_targetILNS1_3genE4ELNS1_11target_archE910ELNS1_3gpuE8ELNS1_3repE0EEENS1_30default_config_static_selectorELNS0_4arch9wavefront6targetE0EEEvSK_ ; -- Begin function _ZN7rocprim17ROCPRIM_400000_NS6detail17trampoline_kernelINS0_14default_configENS1_36segmented_radix_sort_config_selectorIilEEZNS1_25segmented_radix_sort_implIS3_Lb0EPKiPiPKlPlN2at6native12_GLOBAL__N_18offset_tEEE10hipError_tPvRmT1_PNSt15iterator_traitsISK_E10value_typeET2_T3_PNSL_ISQ_E10value_typeET4_jRbjT5_SW_jjP12ihipStream_tbEUlT_E2_NS1_11comp_targetILNS1_3genE4ELNS1_11target_archE910ELNS1_3gpuE8ELNS1_3repE0EEENS1_30default_config_static_selectorELNS0_4arch9wavefront6targetE0EEEvSK_
	.p2align	8
	.type	_ZN7rocprim17ROCPRIM_400000_NS6detail17trampoline_kernelINS0_14default_configENS1_36segmented_radix_sort_config_selectorIilEEZNS1_25segmented_radix_sort_implIS3_Lb0EPKiPiPKlPlN2at6native12_GLOBAL__N_18offset_tEEE10hipError_tPvRmT1_PNSt15iterator_traitsISK_E10value_typeET2_T3_PNSL_ISQ_E10value_typeET4_jRbjT5_SW_jjP12ihipStream_tbEUlT_E2_NS1_11comp_targetILNS1_3genE4ELNS1_11target_archE910ELNS1_3gpuE8ELNS1_3repE0EEENS1_30default_config_static_selectorELNS0_4arch9wavefront6targetE0EEEvSK_,@function
_ZN7rocprim17ROCPRIM_400000_NS6detail17trampoline_kernelINS0_14default_configENS1_36segmented_radix_sort_config_selectorIilEEZNS1_25segmented_radix_sort_implIS3_Lb0EPKiPiPKlPlN2at6native12_GLOBAL__N_18offset_tEEE10hipError_tPvRmT1_PNSt15iterator_traitsISK_E10value_typeET2_T3_PNSL_ISQ_E10value_typeET4_jRbjT5_SW_jjP12ihipStream_tbEUlT_E2_NS1_11comp_targetILNS1_3genE4ELNS1_11target_archE910ELNS1_3gpuE8ELNS1_3repE0EEENS1_30default_config_static_selectorELNS0_4arch9wavefront6targetE0EEEvSK_: ; @_ZN7rocprim17ROCPRIM_400000_NS6detail17trampoline_kernelINS0_14default_configENS1_36segmented_radix_sort_config_selectorIilEEZNS1_25segmented_radix_sort_implIS3_Lb0EPKiPiPKlPlN2at6native12_GLOBAL__N_18offset_tEEE10hipError_tPvRmT1_PNSt15iterator_traitsISK_E10value_typeET2_T3_PNSL_ISQ_E10value_typeET4_jRbjT5_SW_jjP12ihipStream_tbEUlT_E2_NS1_11comp_targetILNS1_3genE4ELNS1_11target_archE910ELNS1_3gpuE8ELNS1_3repE0EEENS1_30default_config_static_selectorELNS0_4arch9wavefront6targetE0EEEvSK_
; %bb.0:
	.section	.rodata,"a",@progbits
	.p2align	6, 0x0
	.amdhsa_kernel _ZN7rocprim17ROCPRIM_400000_NS6detail17trampoline_kernelINS0_14default_configENS1_36segmented_radix_sort_config_selectorIilEEZNS1_25segmented_radix_sort_implIS3_Lb0EPKiPiPKlPlN2at6native12_GLOBAL__N_18offset_tEEE10hipError_tPvRmT1_PNSt15iterator_traitsISK_E10value_typeET2_T3_PNSL_ISQ_E10value_typeET4_jRbjT5_SW_jjP12ihipStream_tbEUlT_E2_NS1_11comp_targetILNS1_3genE4ELNS1_11target_archE910ELNS1_3gpuE8ELNS1_3repE0EEENS1_30default_config_static_selectorELNS0_4arch9wavefront6targetE0EEEvSK_
		.amdhsa_group_segment_fixed_size 0
		.amdhsa_private_segment_fixed_size 0
		.amdhsa_kernarg_size 80
		.amdhsa_user_sgpr_count 2
		.amdhsa_user_sgpr_dispatch_ptr 0
		.amdhsa_user_sgpr_queue_ptr 0
		.amdhsa_user_sgpr_kernarg_segment_ptr 1
		.amdhsa_user_sgpr_dispatch_id 0
		.amdhsa_user_sgpr_kernarg_preload_length 0
		.amdhsa_user_sgpr_kernarg_preload_offset 0
		.amdhsa_user_sgpr_private_segment_size 0
		.amdhsa_wavefront_size32 1
		.amdhsa_uses_dynamic_stack 0
		.amdhsa_enable_private_segment 0
		.amdhsa_system_sgpr_workgroup_id_x 1
		.amdhsa_system_sgpr_workgroup_id_y 0
		.amdhsa_system_sgpr_workgroup_id_z 0
		.amdhsa_system_sgpr_workgroup_info 0
		.amdhsa_system_vgpr_workitem_id 0
		.amdhsa_next_free_vgpr 1
		.amdhsa_next_free_sgpr 1
		.amdhsa_named_barrier_count 0
		.amdhsa_reserve_vcc 0
		.amdhsa_float_round_mode_32 0
		.amdhsa_float_round_mode_16_64 0
		.amdhsa_float_denorm_mode_32 3
		.amdhsa_float_denorm_mode_16_64 3
		.amdhsa_fp16_overflow 0
		.amdhsa_memory_ordered 1
		.amdhsa_forward_progress 1
		.amdhsa_inst_pref_size 0
		.amdhsa_round_robin_scheduling 0
		.amdhsa_exception_fp_ieee_invalid_op 0
		.amdhsa_exception_fp_denorm_src 0
		.amdhsa_exception_fp_ieee_div_zero 0
		.amdhsa_exception_fp_ieee_overflow 0
		.amdhsa_exception_fp_ieee_underflow 0
		.amdhsa_exception_fp_ieee_inexact 0
		.amdhsa_exception_int_div_zero 0
	.end_amdhsa_kernel
	.section	.text._ZN7rocprim17ROCPRIM_400000_NS6detail17trampoline_kernelINS0_14default_configENS1_36segmented_radix_sort_config_selectorIilEEZNS1_25segmented_radix_sort_implIS3_Lb0EPKiPiPKlPlN2at6native12_GLOBAL__N_18offset_tEEE10hipError_tPvRmT1_PNSt15iterator_traitsISK_E10value_typeET2_T3_PNSL_ISQ_E10value_typeET4_jRbjT5_SW_jjP12ihipStream_tbEUlT_E2_NS1_11comp_targetILNS1_3genE4ELNS1_11target_archE910ELNS1_3gpuE8ELNS1_3repE0EEENS1_30default_config_static_selectorELNS0_4arch9wavefront6targetE0EEEvSK_,"axG",@progbits,_ZN7rocprim17ROCPRIM_400000_NS6detail17trampoline_kernelINS0_14default_configENS1_36segmented_radix_sort_config_selectorIilEEZNS1_25segmented_radix_sort_implIS3_Lb0EPKiPiPKlPlN2at6native12_GLOBAL__N_18offset_tEEE10hipError_tPvRmT1_PNSt15iterator_traitsISK_E10value_typeET2_T3_PNSL_ISQ_E10value_typeET4_jRbjT5_SW_jjP12ihipStream_tbEUlT_E2_NS1_11comp_targetILNS1_3genE4ELNS1_11target_archE910ELNS1_3gpuE8ELNS1_3repE0EEENS1_30default_config_static_selectorELNS0_4arch9wavefront6targetE0EEEvSK_,comdat
.Lfunc_end628:
	.size	_ZN7rocprim17ROCPRIM_400000_NS6detail17trampoline_kernelINS0_14default_configENS1_36segmented_radix_sort_config_selectorIilEEZNS1_25segmented_radix_sort_implIS3_Lb0EPKiPiPKlPlN2at6native12_GLOBAL__N_18offset_tEEE10hipError_tPvRmT1_PNSt15iterator_traitsISK_E10value_typeET2_T3_PNSL_ISQ_E10value_typeET4_jRbjT5_SW_jjP12ihipStream_tbEUlT_E2_NS1_11comp_targetILNS1_3genE4ELNS1_11target_archE910ELNS1_3gpuE8ELNS1_3repE0EEENS1_30default_config_static_selectorELNS0_4arch9wavefront6targetE0EEEvSK_, .Lfunc_end628-_ZN7rocprim17ROCPRIM_400000_NS6detail17trampoline_kernelINS0_14default_configENS1_36segmented_radix_sort_config_selectorIilEEZNS1_25segmented_radix_sort_implIS3_Lb0EPKiPiPKlPlN2at6native12_GLOBAL__N_18offset_tEEE10hipError_tPvRmT1_PNSt15iterator_traitsISK_E10value_typeET2_T3_PNSL_ISQ_E10value_typeET4_jRbjT5_SW_jjP12ihipStream_tbEUlT_E2_NS1_11comp_targetILNS1_3genE4ELNS1_11target_archE910ELNS1_3gpuE8ELNS1_3repE0EEENS1_30default_config_static_selectorELNS0_4arch9wavefront6targetE0EEEvSK_
                                        ; -- End function
	.set _ZN7rocprim17ROCPRIM_400000_NS6detail17trampoline_kernelINS0_14default_configENS1_36segmented_radix_sort_config_selectorIilEEZNS1_25segmented_radix_sort_implIS3_Lb0EPKiPiPKlPlN2at6native12_GLOBAL__N_18offset_tEEE10hipError_tPvRmT1_PNSt15iterator_traitsISK_E10value_typeET2_T3_PNSL_ISQ_E10value_typeET4_jRbjT5_SW_jjP12ihipStream_tbEUlT_E2_NS1_11comp_targetILNS1_3genE4ELNS1_11target_archE910ELNS1_3gpuE8ELNS1_3repE0EEENS1_30default_config_static_selectorELNS0_4arch9wavefront6targetE0EEEvSK_.num_vgpr, 0
	.set _ZN7rocprim17ROCPRIM_400000_NS6detail17trampoline_kernelINS0_14default_configENS1_36segmented_radix_sort_config_selectorIilEEZNS1_25segmented_radix_sort_implIS3_Lb0EPKiPiPKlPlN2at6native12_GLOBAL__N_18offset_tEEE10hipError_tPvRmT1_PNSt15iterator_traitsISK_E10value_typeET2_T3_PNSL_ISQ_E10value_typeET4_jRbjT5_SW_jjP12ihipStream_tbEUlT_E2_NS1_11comp_targetILNS1_3genE4ELNS1_11target_archE910ELNS1_3gpuE8ELNS1_3repE0EEENS1_30default_config_static_selectorELNS0_4arch9wavefront6targetE0EEEvSK_.num_agpr, 0
	.set _ZN7rocprim17ROCPRIM_400000_NS6detail17trampoline_kernelINS0_14default_configENS1_36segmented_radix_sort_config_selectorIilEEZNS1_25segmented_radix_sort_implIS3_Lb0EPKiPiPKlPlN2at6native12_GLOBAL__N_18offset_tEEE10hipError_tPvRmT1_PNSt15iterator_traitsISK_E10value_typeET2_T3_PNSL_ISQ_E10value_typeET4_jRbjT5_SW_jjP12ihipStream_tbEUlT_E2_NS1_11comp_targetILNS1_3genE4ELNS1_11target_archE910ELNS1_3gpuE8ELNS1_3repE0EEENS1_30default_config_static_selectorELNS0_4arch9wavefront6targetE0EEEvSK_.numbered_sgpr, 0
	.set _ZN7rocprim17ROCPRIM_400000_NS6detail17trampoline_kernelINS0_14default_configENS1_36segmented_radix_sort_config_selectorIilEEZNS1_25segmented_radix_sort_implIS3_Lb0EPKiPiPKlPlN2at6native12_GLOBAL__N_18offset_tEEE10hipError_tPvRmT1_PNSt15iterator_traitsISK_E10value_typeET2_T3_PNSL_ISQ_E10value_typeET4_jRbjT5_SW_jjP12ihipStream_tbEUlT_E2_NS1_11comp_targetILNS1_3genE4ELNS1_11target_archE910ELNS1_3gpuE8ELNS1_3repE0EEENS1_30default_config_static_selectorELNS0_4arch9wavefront6targetE0EEEvSK_.num_named_barrier, 0
	.set _ZN7rocprim17ROCPRIM_400000_NS6detail17trampoline_kernelINS0_14default_configENS1_36segmented_radix_sort_config_selectorIilEEZNS1_25segmented_radix_sort_implIS3_Lb0EPKiPiPKlPlN2at6native12_GLOBAL__N_18offset_tEEE10hipError_tPvRmT1_PNSt15iterator_traitsISK_E10value_typeET2_T3_PNSL_ISQ_E10value_typeET4_jRbjT5_SW_jjP12ihipStream_tbEUlT_E2_NS1_11comp_targetILNS1_3genE4ELNS1_11target_archE910ELNS1_3gpuE8ELNS1_3repE0EEENS1_30default_config_static_selectorELNS0_4arch9wavefront6targetE0EEEvSK_.private_seg_size, 0
	.set _ZN7rocprim17ROCPRIM_400000_NS6detail17trampoline_kernelINS0_14default_configENS1_36segmented_radix_sort_config_selectorIilEEZNS1_25segmented_radix_sort_implIS3_Lb0EPKiPiPKlPlN2at6native12_GLOBAL__N_18offset_tEEE10hipError_tPvRmT1_PNSt15iterator_traitsISK_E10value_typeET2_T3_PNSL_ISQ_E10value_typeET4_jRbjT5_SW_jjP12ihipStream_tbEUlT_E2_NS1_11comp_targetILNS1_3genE4ELNS1_11target_archE910ELNS1_3gpuE8ELNS1_3repE0EEENS1_30default_config_static_selectorELNS0_4arch9wavefront6targetE0EEEvSK_.uses_vcc, 0
	.set _ZN7rocprim17ROCPRIM_400000_NS6detail17trampoline_kernelINS0_14default_configENS1_36segmented_radix_sort_config_selectorIilEEZNS1_25segmented_radix_sort_implIS3_Lb0EPKiPiPKlPlN2at6native12_GLOBAL__N_18offset_tEEE10hipError_tPvRmT1_PNSt15iterator_traitsISK_E10value_typeET2_T3_PNSL_ISQ_E10value_typeET4_jRbjT5_SW_jjP12ihipStream_tbEUlT_E2_NS1_11comp_targetILNS1_3genE4ELNS1_11target_archE910ELNS1_3gpuE8ELNS1_3repE0EEENS1_30default_config_static_selectorELNS0_4arch9wavefront6targetE0EEEvSK_.uses_flat_scratch, 0
	.set _ZN7rocprim17ROCPRIM_400000_NS6detail17trampoline_kernelINS0_14default_configENS1_36segmented_radix_sort_config_selectorIilEEZNS1_25segmented_radix_sort_implIS3_Lb0EPKiPiPKlPlN2at6native12_GLOBAL__N_18offset_tEEE10hipError_tPvRmT1_PNSt15iterator_traitsISK_E10value_typeET2_T3_PNSL_ISQ_E10value_typeET4_jRbjT5_SW_jjP12ihipStream_tbEUlT_E2_NS1_11comp_targetILNS1_3genE4ELNS1_11target_archE910ELNS1_3gpuE8ELNS1_3repE0EEENS1_30default_config_static_selectorELNS0_4arch9wavefront6targetE0EEEvSK_.has_dyn_sized_stack, 0
	.set _ZN7rocprim17ROCPRIM_400000_NS6detail17trampoline_kernelINS0_14default_configENS1_36segmented_radix_sort_config_selectorIilEEZNS1_25segmented_radix_sort_implIS3_Lb0EPKiPiPKlPlN2at6native12_GLOBAL__N_18offset_tEEE10hipError_tPvRmT1_PNSt15iterator_traitsISK_E10value_typeET2_T3_PNSL_ISQ_E10value_typeET4_jRbjT5_SW_jjP12ihipStream_tbEUlT_E2_NS1_11comp_targetILNS1_3genE4ELNS1_11target_archE910ELNS1_3gpuE8ELNS1_3repE0EEENS1_30default_config_static_selectorELNS0_4arch9wavefront6targetE0EEEvSK_.has_recursion, 0
	.set _ZN7rocprim17ROCPRIM_400000_NS6detail17trampoline_kernelINS0_14default_configENS1_36segmented_radix_sort_config_selectorIilEEZNS1_25segmented_radix_sort_implIS3_Lb0EPKiPiPKlPlN2at6native12_GLOBAL__N_18offset_tEEE10hipError_tPvRmT1_PNSt15iterator_traitsISK_E10value_typeET2_T3_PNSL_ISQ_E10value_typeET4_jRbjT5_SW_jjP12ihipStream_tbEUlT_E2_NS1_11comp_targetILNS1_3genE4ELNS1_11target_archE910ELNS1_3gpuE8ELNS1_3repE0EEENS1_30default_config_static_selectorELNS0_4arch9wavefront6targetE0EEEvSK_.has_indirect_call, 0
	.section	.AMDGPU.csdata,"",@progbits
; Kernel info:
; codeLenInByte = 0
; TotalNumSgprs: 0
; NumVgprs: 0
; ScratchSize: 0
; MemoryBound: 0
; FloatMode: 240
; IeeeMode: 1
; LDSByteSize: 0 bytes/workgroup (compile time only)
; SGPRBlocks: 0
; VGPRBlocks: 0
; NumSGPRsForWavesPerEU: 1
; NumVGPRsForWavesPerEU: 1
; NamedBarCnt: 0
; Occupancy: 16
; WaveLimiterHint : 0
; COMPUTE_PGM_RSRC2:SCRATCH_EN: 0
; COMPUTE_PGM_RSRC2:USER_SGPR: 2
; COMPUTE_PGM_RSRC2:TRAP_HANDLER: 0
; COMPUTE_PGM_RSRC2:TGID_X_EN: 1
; COMPUTE_PGM_RSRC2:TGID_Y_EN: 0
; COMPUTE_PGM_RSRC2:TGID_Z_EN: 0
; COMPUTE_PGM_RSRC2:TIDIG_COMP_CNT: 0
	.section	.text._ZN7rocprim17ROCPRIM_400000_NS6detail17trampoline_kernelINS0_14default_configENS1_36segmented_radix_sort_config_selectorIilEEZNS1_25segmented_radix_sort_implIS3_Lb0EPKiPiPKlPlN2at6native12_GLOBAL__N_18offset_tEEE10hipError_tPvRmT1_PNSt15iterator_traitsISK_E10value_typeET2_T3_PNSL_ISQ_E10value_typeET4_jRbjT5_SW_jjP12ihipStream_tbEUlT_E2_NS1_11comp_targetILNS1_3genE3ELNS1_11target_archE908ELNS1_3gpuE7ELNS1_3repE0EEENS1_30default_config_static_selectorELNS0_4arch9wavefront6targetE0EEEvSK_,"axG",@progbits,_ZN7rocprim17ROCPRIM_400000_NS6detail17trampoline_kernelINS0_14default_configENS1_36segmented_radix_sort_config_selectorIilEEZNS1_25segmented_radix_sort_implIS3_Lb0EPKiPiPKlPlN2at6native12_GLOBAL__N_18offset_tEEE10hipError_tPvRmT1_PNSt15iterator_traitsISK_E10value_typeET2_T3_PNSL_ISQ_E10value_typeET4_jRbjT5_SW_jjP12ihipStream_tbEUlT_E2_NS1_11comp_targetILNS1_3genE3ELNS1_11target_archE908ELNS1_3gpuE7ELNS1_3repE0EEENS1_30default_config_static_selectorELNS0_4arch9wavefront6targetE0EEEvSK_,comdat
	.globl	_ZN7rocprim17ROCPRIM_400000_NS6detail17trampoline_kernelINS0_14default_configENS1_36segmented_radix_sort_config_selectorIilEEZNS1_25segmented_radix_sort_implIS3_Lb0EPKiPiPKlPlN2at6native12_GLOBAL__N_18offset_tEEE10hipError_tPvRmT1_PNSt15iterator_traitsISK_E10value_typeET2_T3_PNSL_ISQ_E10value_typeET4_jRbjT5_SW_jjP12ihipStream_tbEUlT_E2_NS1_11comp_targetILNS1_3genE3ELNS1_11target_archE908ELNS1_3gpuE7ELNS1_3repE0EEENS1_30default_config_static_selectorELNS0_4arch9wavefront6targetE0EEEvSK_ ; -- Begin function _ZN7rocprim17ROCPRIM_400000_NS6detail17trampoline_kernelINS0_14default_configENS1_36segmented_radix_sort_config_selectorIilEEZNS1_25segmented_radix_sort_implIS3_Lb0EPKiPiPKlPlN2at6native12_GLOBAL__N_18offset_tEEE10hipError_tPvRmT1_PNSt15iterator_traitsISK_E10value_typeET2_T3_PNSL_ISQ_E10value_typeET4_jRbjT5_SW_jjP12ihipStream_tbEUlT_E2_NS1_11comp_targetILNS1_3genE3ELNS1_11target_archE908ELNS1_3gpuE7ELNS1_3repE0EEENS1_30default_config_static_selectorELNS0_4arch9wavefront6targetE0EEEvSK_
	.p2align	8
	.type	_ZN7rocprim17ROCPRIM_400000_NS6detail17trampoline_kernelINS0_14default_configENS1_36segmented_radix_sort_config_selectorIilEEZNS1_25segmented_radix_sort_implIS3_Lb0EPKiPiPKlPlN2at6native12_GLOBAL__N_18offset_tEEE10hipError_tPvRmT1_PNSt15iterator_traitsISK_E10value_typeET2_T3_PNSL_ISQ_E10value_typeET4_jRbjT5_SW_jjP12ihipStream_tbEUlT_E2_NS1_11comp_targetILNS1_3genE3ELNS1_11target_archE908ELNS1_3gpuE7ELNS1_3repE0EEENS1_30default_config_static_selectorELNS0_4arch9wavefront6targetE0EEEvSK_,@function
_ZN7rocprim17ROCPRIM_400000_NS6detail17trampoline_kernelINS0_14default_configENS1_36segmented_radix_sort_config_selectorIilEEZNS1_25segmented_radix_sort_implIS3_Lb0EPKiPiPKlPlN2at6native12_GLOBAL__N_18offset_tEEE10hipError_tPvRmT1_PNSt15iterator_traitsISK_E10value_typeET2_T3_PNSL_ISQ_E10value_typeET4_jRbjT5_SW_jjP12ihipStream_tbEUlT_E2_NS1_11comp_targetILNS1_3genE3ELNS1_11target_archE908ELNS1_3gpuE7ELNS1_3repE0EEENS1_30default_config_static_selectorELNS0_4arch9wavefront6targetE0EEEvSK_: ; @_ZN7rocprim17ROCPRIM_400000_NS6detail17trampoline_kernelINS0_14default_configENS1_36segmented_radix_sort_config_selectorIilEEZNS1_25segmented_radix_sort_implIS3_Lb0EPKiPiPKlPlN2at6native12_GLOBAL__N_18offset_tEEE10hipError_tPvRmT1_PNSt15iterator_traitsISK_E10value_typeET2_T3_PNSL_ISQ_E10value_typeET4_jRbjT5_SW_jjP12ihipStream_tbEUlT_E2_NS1_11comp_targetILNS1_3genE3ELNS1_11target_archE908ELNS1_3gpuE7ELNS1_3repE0EEENS1_30default_config_static_selectorELNS0_4arch9wavefront6targetE0EEEvSK_
; %bb.0:
	.section	.rodata,"a",@progbits
	.p2align	6, 0x0
	.amdhsa_kernel _ZN7rocprim17ROCPRIM_400000_NS6detail17trampoline_kernelINS0_14default_configENS1_36segmented_radix_sort_config_selectorIilEEZNS1_25segmented_radix_sort_implIS3_Lb0EPKiPiPKlPlN2at6native12_GLOBAL__N_18offset_tEEE10hipError_tPvRmT1_PNSt15iterator_traitsISK_E10value_typeET2_T3_PNSL_ISQ_E10value_typeET4_jRbjT5_SW_jjP12ihipStream_tbEUlT_E2_NS1_11comp_targetILNS1_3genE3ELNS1_11target_archE908ELNS1_3gpuE7ELNS1_3repE0EEENS1_30default_config_static_selectorELNS0_4arch9wavefront6targetE0EEEvSK_
		.amdhsa_group_segment_fixed_size 0
		.amdhsa_private_segment_fixed_size 0
		.amdhsa_kernarg_size 80
		.amdhsa_user_sgpr_count 2
		.amdhsa_user_sgpr_dispatch_ptr 0
		.amdhsa_user_sgpr_queue_ptr 0
		.amdhsa_user_sgpr_kernarg_segment_ptr 1
		.amdhsa_user_sgpr_dispatch_id 0
		.amdhsa_user_sgpr_kernarg_preload_length 0
		.amdhsa_user_sgpr_kernarg_preload_offset 0
		.amdhsa_user_sgpr_private_segment_size 0
		.amdhsa_wavefront_size32 1
		.amdhsa_uses_dynamic_stack 0
		.amdhsa_enable_private_segment 0
		.amdhsa_system_sgpr_workgroup_id_x 1
		.amdhsa_system_sgpr_workgroup_id_y 0
		.amdhsa_system_sgpr_workgroup_id_z 0
		.amdhsa_system_sgpr_workgroup_info 0
		.amdhsa_system_vgpr_workitem_id 0
		.amdhsa_next_free_vgpr 1
		.amdhsa_next_free_sgpr 1
		.amdhsa_named_barrier_count 0
		.amdhsa_reserve_vcc 0
		.amdhsa_float_round_mode_32 0
		.amdhsa_float_round_mode_16_64 0
		.amdhsa_float_denorm_mode_32 3
		.amdhsa_float_denorm_mode_16_64 3
		.amdhsa_fp16_overflow 0
		.amdhsa_memory_ordered 1
		.amdhsa_forward_progress 1
		.amdhsa_inst_pref_size 0
		.amdhsa_round_robin_scheduling 0
		.amdhsa_exception_fp_ieee_invalid_op 0
		.amdhsa_exception_fp_denorm_src 0
		.amdhsa_exception_fp_ieee_div_zero 0
		.amdhsa_exception_fp_ieee_overflow 0
		.amdhsa_exception_fp_ieee_underflow 0
		.amdhsa_exception_fp_ieee_inexact 0
		.amdhsa_exception_int_div_zero 0
	.end_amdhsa_kernel
	.section	.text._ZN7rocprim17ROCPRIM_400000_NS6detail17trampoline_kernelINS0_14default_configENS1_36segmented_radix_sort_config_selectorIilEEZNS1_25segmented_radix_sort_implIS3_Lb0EPKiPiPKlPlN2at6native12_GLOBAL__N_18offset_tEEE10hipError_tPvRmT1_PNSt15iterator_traitsISK_E10value_typeET2_T3_PNSL_ISQ_E10value_typeET4_jRbjT5_SW_jjP12ihipStream_tbEUlT_E2_NS1_11comp_targetILNS1_3genE3ELNS1_11target_archE908ELNS1_3gpuE7ELNS1_3repE0EEENS1_30default_config_static_selectorELNS0_4arch9wavefront6targetE0EEEvSK_,"axG",@progbits,_ZN7rocprim17ROCPRIM_400000_NS6detail17trampoline_kernelINS0_14default_configENS1_36segmented_radix_sort_config_selectorIilEEZNS1_25segmented_radix_sort_implIS3_Lb0EPKiPiPKlPlN2at6native12_GLOBAL__N_18offset_tEEE10hipError_tPvRmT1_PNSt15iterator_traitsISK_E10value_typeET2_T3_PNSL_ISQ_E10value_typeET4_jRbjT5_SW_jjP12ihipStream_tbEUlT_E2_NS1_11comp_targetILNS1_3genE3ELNS1_11target_archE908ELNS1_3gpuE7ELNS1_3repE0EEENS1_30default_config_static_selectorELNS0_4arch9wavefront6targetE0EEEvSK_,comdat
.Lfunc_end629:
	.size	_ZN7rocprim17ROCPRIM_400000_NS6detail17trampoline_kernelINS0_14default_configENS1_36segmented_radix_sort_config_selectorIilEEZNS1_25segmented_radix_sort_implIS3_Lb0EPKiPiPKlPlN2at6native12_GLOBAL__N_18offset_tEEE10hipError_tPvRmT1_PNSt15iterator_traitsISK_E10value_typeET2_T3_PNSL_ISQ_E10value_typeET4_jRbjT5_SW_jjP12ihipStream_tbEUlT_E2_NS1_11comp_targetILNS1_3genE3ELNS1_11target_archE908ELNS1_3gpuE7ELNS1_3repE0EEENS1_30default_config_static_selectorELNS0_4arch9wavefront6targetE0EEEvSK_, .Lfunc_end629-_ZN7rocprim17ROCPRIM_400000_NS6detail17trampoline_kernelINS0_14default_configENS1_36segmented_radix_sort_config_selectorIilEEZNS1_25segmented_radix_sort_implIS3_Lb0EPKiPiPKlPlN2at6native12_GLOBAL__N_18offset_tEEE10hipError_tPvRmT1_PNSt15iterator_traitsISK_E10value_typeET2_T3_PNSL_ISQ_E10value_typeET4_jRbjT5_SW_jjP12ihipStream_tbEUlT_E2_NS1_11comp_targetILNS1_3genE3ELNS1_11target_archE908ELNS1_3gpuE7ELNS1_3repE0EEENS1_30default_config_static_selectorELNS0_4arch9wavefront6targetE0EEEvSK_
                                        ; -- End function
	.set _ZN7rocprim17ROCPRIM_400000_NS6detail17trampoline_kernelINS0_14default_configENS1_36segmented_radix_sort_config_selectorIilEEZNS1_25segmented_radix_sort_implIS3_Lb0EPKiPiPKlPlN2at6native12_GLOBAL__N_18offset_tEEE10hipError_tPvRmT1_PNSt15iterator_traitsISK_E10value_typeET2_T3_PNSL_ISQ_E10value_typeET4_jRbjT5_SW_jjP12ihipStream_tbEUlT_E2_NS1_11comp_targetILNS1_3genE3ELNS1_11target_archE908ELNS1_3gpuE7ELNS1_3repE0EEENS1_30default_config_static_selectorELNS0_4arch9wavefront6targetE0EEEvSK_.num_vgpr, 0
	.set _ZN7rocprim17ROCPRIM_400000_NS6detail17trampoline_kernelINS0_14default_configENS1_36segmented_radix_sort_config_selectorIilEEZNS1_25segmented_radix_sort_implIS3_Lb0EPKiPiPKlPlN2at6native12_GLOBAL__N_18offset_tEEE10hipError_tPvRmT1_PNSt15iterator_traitsISK_E10value_typeET2_T3_PNSL_ISQ_E10value_typeET4_jRbjT5_SW_jjP12ihipStream_tbEUlT_E2_NS1_11comp_targetILNS1_3genE3ELNS1_11target_archE908ELNS1_3gpuE7ELNS1_3repE0EEENS1_30default_config_static_selectorELNS0_4arch9wavefront6targetE0EEEvSK_.num_agpr, 0
	.set _ZN7rocprim17ROCPRIM_400000_NS6detail17trampoline_kernelINS0_14default_configENS1_36segmented_radix_sort_config_selectorIilEEZNS1_25segmented_radix_sort_implIS3_Lb0EPKiPiPKlPlN2at6native12_GLOBAL__N_18offset_tEEE10hipError_tPvRmT1_PNSt15iterator_traitsISK_E10value_typeET2_T3_PNSL_ISQ_E10value_typeET4_jRbjT5_SW_jjP12ihipStream_tbEUlT_E2_NS1_11comp_targetILNS1_3genE3ELNS1_11target_archE908ELNS1_3gpuE7ELNS1_3repE0EEENS1_30default_config_static_selectorELNS0_4arch9wavefront6targetE0EEEvSK_.numbered_sgpr, 0
	.set _ZN7rocprim17ROCPRIM_400000_NS6detail17trampoline_kernelINS0_14default_configENS1_36segmented_radix_sort_config_selectorIilEEZNS1_25segmented_radix_sort_implIS3_Lb0EPKiPiPKlPlN2at6native12_GLOBAL__N_18offset_tEEE10hipError_tPvRmT1_PNSt15iterator_traitsISK_E10value_typeET2_T3_PNSL_ISQ_E10value_typeET4_jRbjT5_SW_jjP12ihipStream_tbEUlT_E2_NS1_11comp_targetILNS1_3genE3ELNS1_11target_archE908ELNS1_3gpuE7ELNS1_3repE0EEENS1_30default_config_static_selectorELNS0_4arch9wavefront6targetE0EEEvSK_.num_named_barrier, 0
	.set _ZN7rocprim17ROCPRIM_400000_NS6detail17trampoline_kernelINS0_14default_configENS1_36segmented_radix_sort_config_selectorIilEEZNS1_25segmented_radix_sort_implIS3_Lb0EPKiPiPKlPlN2at6native12_GLOBAL__N_18offset_tEEE10hipError_tPvRmT1_PNSt15iterator_traitsISK_E10value_typeET2_T3_PNSL_ISQ_E10value_typeET4_jRbjT5_SW_jjP12ihipStream_tbEUlT_E2_NS1_11comp_targetILNS1_3genE3ELNS1_11target_archE908ELNS1_3gpuE7ELNS1_3repE0EEENS1_30default_config_static_selectorELNS0_4arch9wavefront6targetE0EEEvSK_.private_seg_size, 0
	.set _ZN7rocprim17ROCPRIM_400000_NS6detail17trampoline_kernelINS0_14default_configENS1_36segmented_radix_sort_config_selectorIilEEZNS1_25segmented_radix_sort_implIS3_Lb0EPKiPiPKlPlN2at6native12_GLOBAL__N_18offset_tEEE10hipError_tPvRmT1_PNSt15iterator_traitsISK_E10value_typeET2_T3_PNSL_ISQ_E10value_typeET4_jRbjT5_SW_jjP12ihipStream_tbEUlT_E2_NS1_11comp_targetILNS1_3genE3ELNS1_11target_archE908ELNS1_3gpuE7ELNS1_3repE0EEENS1_30default_config_static_selectorELNS0_4arch9wavefront6targetE0EEEvSK_.uses_vcc, 0
	.set _ZN7rocprim17ROCPRIM_400000_NS6detail17trampoline_kernelINS0_14default_configENS1_36segmented_radix_sort_config_selectorIilEEZNS1_25segmented_radix_sort_implIS3_Lb0EPKiPiPKlPlN2at6native12_GLOBAL__N_18offset_tEEE10hipError_tPvRmT1_PNSt15iterator_traitsISK_E10value_typeET2_T3_PNSL_ISQ_E10value_typeET4_jRbjT5_SW_jjP12ihipStream_tbEUlT_E2_NS1_11comp_targetILNS1_3genE3ELNS1_11target_archE908ELNS1_3gpuE7ELNS1_3repE0EEENS1_30default_config_static_selectorELNS0_4arch9wavefront6targetE0EEEvSK_.uses_flat_scratch, 0
	.set _ZN7rocprim17ROCPRIM_400000_NS6detail17trampoline_kernelINS0_14default_configENS1_36segmented_radix_sort_config_selectorIilEEZNS1_25segmented_radix_sort_implIS3_Lb0EPKiPiPKlPlN2at6native12_GLOBAL__N_18offset_tEEE10hipError_tPvRmT1_PNSt15iterator_traitsISK_E10value_typeET2_T3_PNSL_ISQ_E10value_typeET4_jRbjT5_SW_jjP12ihipStream_tbEUlT_E2_NS1_11comp_targetILNS1_3genE3ELNS1_11target_archE908ELNS1_3gpuE7ELNS1_3repE0EEENS1_30default_config_static_selectorELNS0_4arch9wavefront6targetE0EEEvSK_.has_dyn_sized_stack, 0
	.set _ZN7rocprim17ROCPRIM_400000_NS6detail17trampoline_kernelINS0_14default_configENS1_36segmented_radix_sort_config_selectorIilEEZNS1_25segmented_radix_sort_implIS3_Lb0EPKiPiPKlPlN2at6native12_GLOBAL__N_18offset_tEEE10hipError_tPvRmT1_PNSt15iterator_traitsISK_E10value_typeET2_T3_PNSL_ISQ_E10value_typeET4_jRbjT5_SW_jjP12ihipStream_tbEUlT_E2_NS1_11comp_targetILNS1_3genE3ELNS1_11target_archE908ELNS1_3gpuE7ELNS1_3repE0EEENS1_30default_config_static_selectorELNS0_4arch9wavefront6targetE0EEEvSK_.has_recursion, 0
	.set _ZN7rocprim17ROCPRIM_400000_NS6detail17trampoline_kernelINS0_14default_configENS1_36segmented_radix_sort_config_selectorIilEEZNS1_25segmented_radix_sort_implIS3_Lb0EPKiPiPKlPlN2at6native12_GLOBAL__N_18offset_tEEE10hipError_tPvRmT1_PNSt15iterator_traitsISK_E10value_typeET2_T3_PNSL_ISQ_E10value_typeET4_jRbjT5_SW_jjP12ihipStream_tbEUlT_E2_NS1_11comp_targetILNS1_3genE3ELNS1_11target_archE908ELNS1_3gpuE7ELNS1_3repE0EEENS1_30default_config_static_selectorELNS0_4arch9wavefront6targetE0EEEvSK_.has_indirect_call, 0
	.section	.AMDGPU.csdata,"",@progbits
; Kernel info:
; codeLenInByte = 0
; TotalNumSgprs: 0
; NumVgprs: 0
; ScratchSize: 0
; MemoryBound: 0
; FloatMode: 240
; IeeeMode: 1
; LDSByteSize: 0 bytes/workgroup (compile time only)
; SGPRBlocks: 0
; VGPRBlocks: 0
; NumSGPRsForWavesPerEU: 1
; NumVGPRsForWavesPerEU: 1
; NamedBarCnt: 0
; Occupancy: 16
; WaveLimiterHint : 0
; COMPUTE_PGM_RSRC2:SCRATCH_EN: 0
; COMPUTE_PGM_RSRC2:USER_SGPR: 2
; COMPUTE_PGM_RSRC2:TRAP_HANDLER: 0
; COMPUTE_PGM_RSRC2:TGID_X_EN: 1
; COMPUTE_PGM_RSRC2:TGID_Y_EN: 0
; COMPUTE_PGM_RSRC2:TGID_Z_EN: 0
; COMPUTE_PGM_RSRC2:TIDIG_COMP_CNT: 0
	.section	.text._ZN7rocprim17ROCPRIM_400000_NS6detail17trampoline_kernelINS0_14default_configENS1_36segmented_radix_sort_config_selectorIilEEZNS1_25segmented_radix_sort_implIS3_Lb0EPKiPiPKlPlN2at6native12_GLOBAL__N_18offset_tEEE10hipError_tPvRmT1_PNSt15iterator_traitsISK_E10value_typeET2_T3_PNSL_ISQ_E10value_typeET4_jRbjT5_SW_jjP12ihipStream_tbEUlT_E2_NS1_11comp_targetILNS1_3genE2ELNS1_11target_archE906ELNS1_3gpuE6ELNS1_3repE0EEENS1_30default_config_static_selectorELNS0_4arch9wavefront6targetE0EEEvSK_,"axG",@progbits,_ZN7rocprim17ROCPRIM_400000_NS6detail17trampoline_kernelINS0_14default_configENS1_36segmented_radix_sort_config_selectorIilEEZNS1_25segmented_radix_sort_implIS3_Lb0EPKiPiPKlPlN2at6native12_GLOBAL__N_18offset_tEEE10hipError_tPvRmT1_PNSt15iterator_traitsISK_E10value_typeET2_T3_PNSL_ISQ_E10value_typeET4_jRbjT5_SW_jjP12ihipStream_tbEUlT_E2_NS1_11comp_targetILNS1_3genE2ELNS1_11target_archE906ELNS1_3gpuE6ELNS1_3repE0EEENS1_30default_config_static_selectorELNS0_4arch9wavefront6targetE0EEEvSK_,comdat
	.globl	_ZN7rocprim17ROCPRIM_400000_NS6detail17trampoline_kernelINS0_14default_configENS1_36segmented_radix_sort_config_selectorIilEEZNS1_25segmented_radix_sort_implIS3_Lb0EPKiPiPKlPlN2at6native12_GLOBAL__N_18offset_tEEE10hipError_tPvRmT1_PNSt15iterator_traitsISK_E10value_typeET2_T3_PNSL_ISQ_E10value_typeET4_jRbjT5_SW_jjP12ihipStream_tbEUlT_E2_NS1_11comp_targetILNS1_3genE2ELNS1_11target_archE906ELNS1_3gpuE6ELNS1_3repE0EEENS1_30default_config_static_selectorELNS0_4arch9wavefront6targetE0EEEvSK_ ; -- Begin function _ZN7rocprim17ROCPRIM_400000_NS6detail17trampoline_kernelINS0_14default_configENS1_36segmented_radix_sort_config_selectorIilEEZNS1_25segmented_radix_sort_implIS3_Lb0EPKiPiPKlPlN2at6native12_GLOBAL__N_18offset_tEEE10hipError_tPvRmT1_PNSt15iterator_traitsISK_E10value_typeET2_T3_PNSL_ISQ_E10value_typeET4_jRbjT5_SW_jjP12ihipStream_tbEUlT_E2_NS1_11comp_targetILNS1_3genE2ELNS1_11target_archE906ELNS1_3gpuE6ELNS1_3repE0EEENS1_30default_config_static_selectorELNS0_4arch9wavefront6targetE0EEEvSK_
	.p2align	8
	.type	_ZN7rocprim17ROCPRIM_400000_NS6detail17trampoline_kernelINS0_14default_configENS1_36segmented_radix_sort_config_selectorIilEEZNS1_25segmented_radix_sort_implIS3_Lb0EPKiPiPKlPlN2at6native12_GLOBAL__N_18offset_tEEE10hipError_tPvRmT1_PNSt15iterator_traitsISK_E10value_typeET2_T3_PNSL_ISQ_E10value_typeET4_jRbjT5_SW_jjP12ihipStream_tbEUlT_E2_NS1_11comp_targetILNS1_3genE2ELNS1_11target_archE906ELNS1_3gpuE6ELNS1_3repE0EEENS1_30default_config_static_selectorELNS0_4arch9wavefront6targetE0EEEvSK_,@function
_ZN7rocprim17ROCPRIM_400000_NS6detail17trampoline_kernelINS0_14default_configENS1_36segmented_radix_sort_config_selectorIilEEZNS1_25segmented_radix_sort_implIS3_Lb0EPKiPiPKlPlN2at6native12_GLOBAL__N_18offset_tEEE10hipError_tPvRmT1_PNSt15iterator_traitsISK_E10value_typeET2_T3_PNSL_ISQ_E10value_typeET4_jRbjT5_SW_jjP12ihipStream_tbEUlT_E2_NS1_11comp_targetILNS1_3genE2ELNS1_11target_archE906ELNS1_3gpuE6ELNS1_3repE0EEENS1_30default_config_static_selectorELNS0_4arch9wavefront6targetE0EEEvSK_: ; @_ZN7rocprim17ROCPRIM_400000_NS6detail17trampoline_kernelINS0_14default_configENS1_36segmented_radix_sort_config_selectorIilEEZNS1_25segmented_radix_sort_implIS3_Lb0EPKiPiPKlPlN2at6native12_GLOBAL__N_18offset_tEEE10hipError_tPvRmT1_PNSt15iterator_traitsISK_E10value_typeET2_T3_PNSL_ISQ_E10value_typeET4_jRbjT5_SW_jjP12ihipStream_tbEUlT_E2_NS1_11comp_targetILNS1_3genE2ELNS1_11target_archE906ELNS1_3gpuE6ELNS1_3repE0EEENS1_30default_config_static_selectorELNS0_4arch9wavefront6targetE0EEEvSK_
; %bb.0:
	.section	.rodata,"a",@progbits
	.p2align	6, 0x0
	.amdhsa_kernel _ZN7rocprim17ROCPRIM_400000_NS6detail17trampoline_kernelINS0_14default_configENS1_36segmented_radix_sort_config_selectorIilEEZNS1_25segmented_radix_sort_implIS3_Lb0EPKiPiPKlPlN2at6native12_GLOBAL__N_18offset_tEEE10hipError_tPvRmT1_PNSt15iterator_traitsISK_E10value_typeET2_T3_PNSL_ISQ_E10value_typeET4_jRbjT5_SW_jjP12ihipStream_tbEUlT_E2_NS1_11comp_targetILNS1_3genE2ELNS1_11target_archE906ELNS1_3gpuE6ELNS1_3repE0EEENS1_30default_config_static_selectorELNS0_4arch9wavefront6targetE0EEEvSK_
		.amdhsa_group_segment_fixed_size 0
		.amdhsa_private_segment_fixed_size 0
		.amdhsa_kernarg_size 80
		.amdhsa_user_sgpr_count 2
		.amdhsa_user_sgpr_dispatch_ptr 0
		.amdhsa_user_sgpr_queue_ptr 0
		.amdhsa_user_sgpr_kernarg_segment_ptr 1
		.amdhsa_user_sgpr_dispatch_id 0
		.amdhsa_user_sgpr_kernarg_preload_length 0
		.amdhsa_user_sgpr_kernarg_preload_offset 0
		.amdhsa_user_sgpr_private_segment_size 0
		.amdhsa_wavefront_size32 1
		.amdhsa_uses_dynamic_stack 0
		.amdhsa_enable_private_segment 0
		.amdhsa_system_sgpr_workgroup_id_x 1
		.amdhsa_system_sgpr_workgroup_id_y 0
		.amdhsa_system_sgpr_workgroup_id_z 0
		.amdhsa_system_sgpr_workgroup_info 0
		.amdhsa_system_vgpr_workitem_id 0
		.amdhsa_next_free_vgpr 1
		.amdhsa_next_free_sgpr 1
		.amdhsa_named_barrier_count 0
		.amdhsa_reserve_vcc 0
		.amdhsa_float_round_mode_32 0
		.amdhsa_float_round_mode_16_64 0
		.amdhsa_float_denorm_mode_32 3
		.amdhsa_float_denorm_mode_16_64 3
		.amdhsa_fp16_overflow 0
		.amdhsa_memory_ordered 1
		.amdhsa_forward_progress 1
		.amdhsa_inst_pref_size 0
		.amdhsa_round_robin_scheduling 0
		.amdhsa_exception_fp_ieee_invalid_op 0
		.amdhsa_exception_fp_denorm_src 0
		.amdhsa_exception_fp_ieee_div_zero 0
		.amdhsa_exception_fp_ieee_overflow 0
		.amdhsa_exception_fp_ieee_underflow 0
		.amdhsa_exception_fp_ieee_inexact 0
		.amdhsa_exception_int_div_zero 0
	.end_amdhsa_kernel
	.section	.text._ZN7rocprim17ROCPRIM_400000_NS6detail17trampoline_kernelINS0_14default_configENS1_36segmented_radix_sort_config_selectorIilEEZNS1_25segmented_radix_sort_implIS3_Lb0EPKiPiPKlPlN2at6native12_GLOBAL__N_18offset_tEEE10hipError_tPvRmT1_PNSt15iterator_traitsISK_E10value_typeET2_T3_PNSL_ISQ_E10value_typeET4_jRbjT5_SW_jjP12ihipStream_tbEUlT_E2_NS1_11comp_targetILNS1_3genE2ELNS1_11target_archE906ELNS1_3gpuE6ELNS1_3repE0EEENS1_30default_config_static_selectorELNS0_4arch9wavefront6targetE0EEEvSK_,"axG",@progbits,_ZN7rocprim17ROCPRIM_400000_NS6detail17trampoline_kernelINS0_14default_configENS1_36segmented_radix_sort_config_selectorIilEEZNS1_25segmented_radix_sort_implIS3_Lb0EPKiPiPKlPlN2at6native12_GLOBAL__N_18offset_tEEE10hipError_tPvRmT1_PNSt15iterator_traitsISK_E10value_typeET2_T3_PNSL_ISQ_E10value_typeET4_jRbjT5_SW_jjP12ihipStream_tbEUlT_E2_NS1_11comp_targetILNS1_3genE2ELNS1_11target_archE906ELNS1_3gpuE6ELNS1_3repE0EEENS1_30default_config_static_selectorELNS0_4arch9wavefront6targetE0EEEvSK_,comdat
.Lfunc_end630:
	.size	_ZN7rocprim17ROCPRIM_400000_NS6detail17trampoline_kernelINS0_14default_configENS1_36segmented_radix_sort_config_selectorIilEEZNS1_25segmented_radix_sort_implIS3_Lb0EPKiPiPKlPlN2at6native12_GLOBAL__N_18offset_tEEE10hipError_tPvRmT1_PNSt15iterator_traitsISK_E10value_typeET2_T3_PNSL_ISQ_E10value_typeET4_jRbjT5_SW_jjP12ihipStream_tbEUlT_E2_NS1_11comp_targetILNS1_3genE2ELNS1_11target_archE906ELNS1_3gpuE6ELNS1_3repE0EEENS1_30default_config_static_selectorELNS0_4arch9wavefront6targetE0EEEvSK_, .Lfunc_end630-_ZN7rocprim17ROCPRIM_400000_NS6detail17trampoline_kernelINS0_14default_configENS1_36segmented_radix_sort_config_selectorIilEEZNS1_25segmented_radix_sort_implIS3_Lb0EPKiPiPKlPlN2at6native12_GLOBAL__N_18offset_tEEE10hipError_tPvRmT1_PNSt15iterator_traitsISK_E10value_typeET2_T3_PNSL_ISQ_E10value_typeET4_jRbjT5_SW_jjP12ihipStream_tbEUlT_E2_NS1_11comp_targetILNS1_3genE2ELNS1_11target_archE906ELNS1_3gpuE6ELNS1_3repE0EEENS1_30default_config_static_selectorELNS0_4arch9wavefront6targetE0EEEvSK_
                                        ; -- End function
	.set _ZN7rocprim17ROCPRIM_400000_NS6detail17trampoline_kernelINS0_14default_configENS1_36segmented_radix_sort_config_selectorIilEEZNS1_25segmented_radix_sort_implIS3_Lb0EPKiPiPKlPlN2at6native12_GLOBAL__N_18offset_tEEE10hipError_tPvRmT1_PNSt15iterator_traitsISK_E10value_typeET2_T3_PNSL_ISQ_E10value_typeET4_jRbjT5_SW_jjP12ihipStream_tbEUlT_E2_NS1_11comp_targetILNS1_3genE2ELNS1_11target_archE906ELNS1_3gpuE6ELNS1_3repE0EEENS1_30default_config_static_selectorELNS0_4arch9wavefront6targetE0EEEvSK_.num_vgpr, 0
	.set _ZN7rocprim17ROCPRIM_400000_NS6detail17trampoline_kernelINS0_14default_configENS1_36segmented_radix_sort_config_selectorIilEEZNS1_25segmented_radix_sort_implIS3_Lb0EPKiPiPKlPlN2at6native12_GLOBAL__N_18offset_tEEE10hipError_tPvRmT1_PNSt15iterator_traitsISK_E10value_typeET2_T3_PNSL_ISQ_E10value_typeET4_jRbjT5_SW_jjP12ihipStream_tbEUlT_E2_NS1_11comp_targetILNS1_3genE2ELNS1_11target_archE906ELNS1_3gpuE6ELNS1_3repE0EEENS1_30default_config_static_selectorELNS0_4arch9wavefront6targetE0EEEvSK_.num_agpr, 0
	.set _ZN7rocprim17ROCPRIM_400000_NS6detail17trampoline_kernelINS0_14default_configENS1_36segmented_radix_sort_config_selectorIilEEZNS1_25segmented_radix_sort_implIS3_Lb0EPKiPiPKlPlN2at6native12_GLOBAL__N_18offset_tEEE10hipError_tPvRmT1_PNSt15iterator_traitsISK_E10value_typeET2_T3_PNSL_ISQ_E10value_typeET4_jRbjT5_SW_jjP12ihipStream_tbEUlT_E2_NS1_11comp_targetILNS1_3genE2ELNS1_11target_archE906ELNS1_3gpuE6ELNS1_3repE0EEENS1_30default_config_static_selectorELNS0_4arch9wavefront6targetE0EEEvSK_.numbered_sgpr, 0
	.set _ZN7rocprim17ROCPRIM_400000_NS6detail17trampoline_kernelINS0_14default_configENS1_36segmented_radix_sort_config_selectorIilEEZNS1_25segmented_radix_sort_implIS3_Lb0EPKiPiPKlPlN2at6native12_GLOBAL__N_18offset_tEEE10hipError_tPvRmT1_PNSt15iterator_traitsISK_E10value_typeET2_T3_PNSL_ISQ_E10value_typeET4_jRbjT5_SW_jjP12ihipStream_tbEUlT_E2_NS1_11comp_targetILNS1_3genE2ELNS1_11target_archE906ELNS1_3gpuE6ELNS1_3repE0EEENS1_30default_config_static_selectorELNS0_4arch9wavefront6targetE0EEEvSK_.num_named_barrier, 0
	.set _ZN7rocprim17ROCPRIM_400000_NS6detail17trampoline_kernelINS0_14default_configENS1_36segmented_radix_sort_config_selectorIilEEZNS1_25segmented_radix_sort_implIS3_Lb0EPKiPiPKlPlN2at6native12_GLOBAL__N_18offset_tEEE10hipError_tPvRmT1_PNSt15iterator_traitsISK_E10value_typeET2_T3_PNSL_ISQ_E10value_typeET4_jRbjT5_SW_jjP12ihipStream_tbEUlT_E2_NS1_11comp_targetILNS1_3genE2ELNS1_11target_archE906ELNS1_3gpuE6ELNS1_3repE0EEENS1_30default_config_static_selectorELNS0_4arch9wavefront6targetE0EEEvSK_.private_seg_size, 0
	.set _ZN7rocprim17ROCPRIM_400000_NS6detail17trampoline_kernelINS0_14default_configENS1_36segmented_radix_sort_config_selectorIilEEZNS1_25segmented_radix_sort_implIS3_Lb0EPKiPiPKlPlN2at6native12_GLOBAL__N_18offset_tEEE10hipError_tPvRmT1_PNSt15iterator_traitsISK_E10value_typeET2_T3_PNSL_ISQ_E10value_typeET4_jRbjT5_SW_jjP12ihipStream_tbEUlT_E2_NS1_11comp_targetILNS1_3genE2ELNS1_11target_archE906ELNS1_3gpuE6ELNS1_3repE0EEENS1_30default_config_static_selectorELNS0_4arch9wavefront6targetE0EEEvSK_.uses_vcc, 0
	.set _ZN7rocprim17ROCPRIM_400000_NS6detail17trampoline_kernelINS0_14default_configENS1_36segmented_radix_sort_config_selectorIilEEZNS1_25segmented_radix_sort_implIS3_Lb0EPKiPiPKlPlN2at6native12_GLOBAL__N_18offset_tEEE10hipError_tPvRmT1_PNSt15iterator_traitsISK_E10value_typeET2_T3_PNSL_ISQ_E10value_typeET4_jRbjT5_SW_jjP12ihipStream_tbEUlT_E2_NS1_11comp_targetILNS1_3genE2ELNS1_11target_archE906ELNS1_3gpuE6ELNS1_3repE0EEENS1_30default_config_static_selectorELNS0_4arch9wavefront6targetE0EEEvSK_.uses_flat_scratch, 0
	.set _ZN7rocprim17ROCPRIM_400000_NS6detail17trampoline_kernelINS0_14default_configENS1_36segmented_radix_sort_config_selectorIilEEZNS1_25segmented_radix_sort_implIS3_Lb0EPKiPiPKlPlN2at6native12_GLOBAL__N_18offset_tEEE10hipError_tPvRmT1_PNSt15iterator_traitsISK_E10value_typeET2_T3_PNSL_ISQ_E10value_typeET4_jRbjT5_SW_jjP12ihipStream_tbEUlT_E2_NS1_11comp_targetILNS1_3genE2ELNS1_11target_archE906ELNS1_3gpuE6ELNS1_3repE0EEENS1_30default_config_static_selectorELNS0_4arch9wavefront6targetE0EEEvSK_.has_dyn_sized_stack, 0
	.set _ZN7rocprim17ROCPRIM_400000_NS6detail17trampoline_kernelINS0_14default_configENS1_36segmented_radix_sort_config_selectorIilEEZNS1_25segmented_radix_sort_implIS3_Lb0EPKiPiPKlPlN2at6native12_GLOBAL__N_18offset_tEEE10hipError_tPvRmT1_PNSt15iterator_traitsISK_E10value_typeET2_T3_PNSL_ISQ_E10value_typeET4_jRbjT5_SW_jjP12ihipStream_tbEUlT_E2_NS1_11comp_targetILNS1_3genE2ELNS1_11target_archE906ELNS1_3gpuE6ELNS1_3repE0EEENS1_30default_config_static_selectorELNS0_4arch9wavefront6targetE0EEEvSK_.has_recursion, 0
	.set _ZN7rocprim17ROCPRIM_400000_NS6detail17trampoline_kernelINS0_14default_configENS1_36segmented_radix_sort_config_selectorIilEEZNS1_25segmented_radix_sort_implIS3_Lb0EPKiPiPKlPlN2at6native12_GLOBAL__N_18offset_tEEE10hipError_tPvRmT1_PNSt15iterator_traitsISK_E10value_typeET2_T3_PNSL_ISQ_E10value_typeET4_jRbjT5_SW_jjP12ihipStream_tbEUlT_E2_NS1_11comp_targetILNS1_3genE2ELNS1_11target_archE906ELNS1_3gpuE6ELNS1_3repE0EEENS1_30default_config_static_selectorELNS0_4arch9wavefront6targetE0EEEvSK_.has_indirect_call, 0
	.section	.AMDGPU.csdata,"",@progbits
; Kernel info:
; codeLenInByte = 0
; TotalNumSgprs: 0
; NumVgprs: 0
; ScratchSize: 0
; MemoryBound: 0
; FloatMode: 240
; IeeeMode: 1
; LDSByteSize: 0 bytes/workgroup (compile time only)
; SGPRBlocks: 0
; VGPRBlocks: 0
; NumSGPRsForWavesPerEU: 1
; NumVGPRsForWavesPerEU: 1
; NamedBarCnt: 0
; Occupancy: 16
; WaveLimiterHint : 0
; COMPUTE_PGM_RSRC2:SCRATCH_EN: 0
; COMPUTE_PGM_RSRC2:USER_SGPR: 2
; COMPUTE_PGM_RSRC2:TRAP_HANDLER: 0
; COMPUTE_PGM_RSRC2:TGID_X_EN: 1
; COMPUTE_PGM_RSRC2:TGID_Y_EN: 0
; COMPUTE_PGM_RSRC2:TGID_Z_EN: 0
; COMPUTE_PGM_RSRC2:TIDIG_COMP_CNT: 0
	.section	.text._ZN7rocprim17ROCPRIM_400000_NS6detail17trampoline_kernelINS0_14default_configENS1_36segmented_radix_sort_config_selectorIilEEZNS1_25segmented_radix_sort_implIS3_Lb0EPKiPiPKlPlN2at6native12_GLOBAL__N_18offset_tEEE10hipError_tPvRmT1_PNSt15iterator_traitsISK_E10value_typeET2_T3_PNSL_ISQ_E10value_typeET4_jRbjT5_SW_jjP12ihipStream_tbEUlT_E2_NS1_11comp_targetILNS1_3genE10ELNS1_11target_archE1201ELNS1_3gpuE5ELNS1_3repE0EEENS1_30default_config_static_selectorELNS0_4arch9wavefront6targetE0EEEvSK_,"axG",@progbits,_ZN7rocprim17ROCPRIM_400000_NS6detail17trampoline_kernelINS0_14default_configENS1_36segmented_radix_sort_config_selectorIilEEZNS1_25segmented_radix_sort_implIS3_Lb0EPKiPiPKlPlN2at6native12_GLOBAL__N_18offset_tEEE10hipError_tPvRmT1_PNSt15iterator_traitsISK_E10value_typeET2_T3_PNSL_ISQ_E10value_typeET4_jRbjT5_SW_jjP12ihipStream_tbEUlT_E2_NS1_11comp_targetILNS1_3genE10ELNS1_11target_archE1201ELNS1_3gpuE5ELNS1_3repE0EEENS1_30default_config_static_selectorELNS0_4arch9wavefront6targetE0EEEvSK_,comdat
	.globl	_ZN7rocprim17ROCPRIM_400000_NS6detail17trampoline_kernelINS0_14default_configENS1_36segmented_radix_sort_config_selectorIilEEZNS1_25segmented_radix_sort_implIS3_Lb0EPKiPiPKlPlN2at6native12_GLOBAL__N_18offset_tEEE10hipError_tPvRmT1_PNSt15iterator_traitsISK_E10value_typeET2_T3_PNSL_ISQ_E10value_typeET4_jRbjT5_SW_jjP12ihipStream_tbEUlT_E2_NS1_11comp_targetILNS1_3genE10ELNS1_11target_archE1201ELNS1_3gpuE5ELNS1_3repE0EEENS1_30default_config_static_selectorELNS0_4arch9wavefront6targetE0EEEvSK_ ; -- Begin function _ZN7rocprim17ROCPRIM_400000_NS6detail17trampoline_kernelINS0_14default_configENS1_36segmented_radix_sort_config_selectorIilEEZNS1_25segmented_radix_sort_implIS3_Lb0EPKiPiPKlPlN2at6native12_GLOBAL__N_18offset_tEEE10hipError_tPvRmT1_PNSt15iterator_traitsISK_E10value_typeET2_T3_PNSL_ISQ_E10value_typeET4_jRbjT5_SW_jjP12ihipStream_tbEUlT_E2_NS1_11comp_targetILNS1_3genE10ELNS1_11target_archE1201ELNS1_3gpuE5ELNS1_3repE0EEENS1_30default_config_static_selectorELNS0_4arch9wavefront6targetE0EEEvSK_
	.p2align	8
	.type	_ZN7rocprim17ROCPRIM_400000_NS6detail17trampoline_kernelINS0_14default_configENS1_36segmented_radix_sort_config_selectorIilEEZNS1_25segmented_radix_sort_implIS3_Lb0EPKiPiPKlPlN2at6native12_GLOBAL__N_18offset_tEEE10hipError_tPvRmT1_PNSt15iterator_traitsISK_E10value_typeET2_T3_PNSL_ISQ_E10value_typeET4_jRbjT5_SW_jjP12ihipStream_tbEUlT_E2_NS1_11comp_targetILNS1_3genE10ELNS1_11target_archE1201ELNS1_3gpuE5ELNS1_3repE0EEENS1_30default_config_static_selectorELNS0_4arch9wavefront6targetE0EEEvSK_,@function
_ZN7rocprim17ROCPRIM_400000_NS6detail17trampoline_kernelINS0_14default_configENS1_36segmented_radix_sort_config_selectorIilEEZNS1_25segmented_radix_sort_implIS3_Lb0EPKiPiPKlPlN2at6native12_GLOBAL__N_18offset_tEEE10hipError_tPvRmT1_PNSt15iterator_traitsISK_E10value_typeET2_T3_PNSL_ISQ_E10value_typeET4_jRbjT5_SW_jjP12ihipStream_tbEUlT_E2_NS1_11comp_targetILNS1_3genE10ELNS1_11target_archE1201ELNS1_3gpuE5ELNS1_3repE0EEENS1_30default_config_static_selectorELNS0_4arch9wavefront6targetE0EEEvSK_: ; @_ZN7rocprim17ROCPRIM_400000_NS6detail17trampoline_kernelINS0_14default_configENS1_36segmented_radix_sort_config_selectorIilEEZNS1_25segmented_radix_sort_implIS3_Lb0EPKiPiPKlPlN2at6native12_GLOBAL__N_18offset_tEEE10hipError_tPvRmT1_PNSt15iterator_traitsISK_E10value_typeET2_T3_PNSL_ISQ_E10value_typeET4_jRbjT5_SW_jjP12ihipStream_tbEUlT_E2_NS1_11comp_targetILNS1_3genE10ELNS1_11target_archE1201ELNS1_3gpuE5ELNS1_3repE0EEENS1_30default_config_static_selectorELNS0_4arch9wavefront6targetE0EEEvSK_
; %bb.0:
	.section	.rodata,"a",@progbits
	.p2align	6, 0x0
	.amdhsa_kernel _ZN7rocprim17ROCPRIM_400000_NS6detail17trampoline_kernelINS0_14default_configENS1_36segmented_radix_sort_config_selectorIilEEZNS1_25segmented_radix_sort_implIS3_Lb0EPKiPiPKlPlN2at6native12_GLOBAL__N_18offset_tEEE10hipError_tPvRmT1_PNSt15iterator_traitsISK_E10value_typeET2_T3_PNSL_ISQ_E10value_typeET4_jRbjT5_SW_jjP12ihipStream_tbEUlT_E2_NS1_11comp_targetILNS1_3genE10ELNS1_11target_archE1201ELNS1_3gpuE5ELNS1_3repE0EEENS1_30default_config_static_selectorELNS0_4arch9wavefront6targetE0EEEvSK_
		.amdhsa_group_segment_fixed_size 0
		.amdhsa_private_segment_fixed_size 0
		.amdhsa_kernarg_size 80
		.amdhsa_user_sgpr_count 2
		.amdhsa_user_sgpr_dispatch_ptr 0
		.amdhsa_user_sgpr_queue_ptr 0
		.amdhsa_user_sgpr_kernarg_segment_ptr 1
		.amdhsa_user_sgpr_dispatch_id 0
		.amdhsa_user_sgpr_kernarg_preload_length 0
		.amdhsa_user_sgpr_kernarg_preload_offset 0
		.amdhsa_user_sgpr_private_segment_size 0
		.amdhsa_wavefront_size32 1
		.amdhsa_uses_dynamic_stack 0
		.amdhsa_enable_private_segment 0
		.amdhsa_system_sgpr_workgroup_id_x 1
		.amdhsa_system_sgpr_workgroup_id_y 0
		.amdhsa_system_sgpr_workgroup_id_z 0
		.amdhsa_system_sgpr_workgroup_info 0
		.amdhsa_system_vgpr_workitem_id 0
		.amdhsa_next_free_vgpr 1
		.amdhsa_next_free_sgpr 1
		.amdhsa_named_barrier_count 0
		.amdhsa_reserve_vcc 0
		.amdhsa_float_round_mode_32 0
		.amdhsa_float_round_mode_16_64 0
		.amdhsa_float_denorm_mode_32 3
		.amdhsa_float_denorm_mode_16_64 3
		.amdhsa_fp16_overflow 0
		.amdhsa_memory_ordered 1
		.amdhsa_forward_progress 1
		.amdhsa_inst_pref_size 0
		.amdhsa_round_robin_scheduling 0
		.amdhsa_exception_fp_ieee_invalid_op 0
		.amdhsa_exception_fp_denorm_src 0
		.amdhsa_exception_fp_ieee_div_zero 0
		.amdhsa_exception_fp_ieee_overflow 0
		.amdhsa_exception_fp_ieee_underflow 0
		.amdhsa_exception_fp_ieee_inexact 0
		.amdhsa_exception_int_div_zero 0
	.end_amdhsa_kernel
	.section	.text._ZN7rocprim17ROCPRIM_400000_NS6detail17trampoline_kernelINS0_14default_configENS1_36segmented_radix_sort_config_selectorIilEEZNS1_25segmented_radix_sort_implIS3_Lb0EPKiPiPKlPlN2at6native12_GLOBAL__N_18offset_tEEE10hipError_tPvRmT1_PNSt15iterator_traitsISK_E10value_typeET2_T3_PNSL_ISQ_E10value_typeET4_jRbjT5_SW_jjP12ihipStream_tbEUlT_E2_NS1_11comp_targetILNS1_3genE10ELNS1_11target_archE1201ELNS1_3gpuE5ELNS1_3repE0EEENS1_30default_config_static_selectorELNS0_4arch9wavefront6targetE0EEEvSK_,"axG",@progbits,_ZN7rocprim17ROCPRIM_400000_NS6detail17trampoline_kernelINS0_14default_configENS1_36segmented_radix_sort_config_selectorIilEEZNS1_25segmented_radix_sort_implIS3_Lb0EPKiPiPKlPlN2at6native12_GLOBAL__N_18offset_tEEE10hipError_tPvRmT1_PNSt15iterator_traitsISK_E10value_typeET2_T3_PNSL_ISQ_E10value_typeET4_jRbjT5_SW_jjP12ihipStream_tbEUlT_E2_NS1_11comp_targetILNS1_3genE10ELNS1_11target_archE1201ELNS1_3gpuE5ELNS1_3repE0EEENS1_30default_config_static_selectorELNS0_4arch9wavefront6targetE0EEEvSK_,comdat
.Lfunc_end631:
	.size	_ZN7rocprim17ROCPRIM_400000_NS6detail17trampoline_kernelINS0_14default_configENS1_36segmented_radix_sort_config_selectorIilEEZNS1_25segmented_radix_sort_implIS3_Lb0EPKiPiPKlPlN2at6native12_GLOBAL__N_18offset_tEEE10hipError_tPvRmT1_PNSt15iterator_traitsISK_E10value_typeET2_T3_PNSL_ISQ_E10value_typeET4_jRbjT5_SW_jjP12ihipStream_tbEUlT_E2_NS1_11comp_targetILNS1_3genE10ELNS1_11target_archE1201ELNS1_3gpuE5ELNS1_3repE0EEENS1_30default_config_static_selectorELNS0_4arch9wavefront6targetE0EEEvSK_, .Lfunc_end631-_ZN7rocprim17ROCPRIM_400000_NS6detail17trampoline_kernelINS0_14default_configENS1_36segmented_radix_sort_config_selectorIilEEZNS1_25segmented_radix_sort_implIS3_Lb0EPKiPiPKlPlN2at6native12_GLOBAL__N_18offset_tEEE10hipError_tPvRmT1_PNSt15iterator_traitsISK_E10value_typeET2_T3_PNSL_ISQ_E10value_typeET4_jRbjT5_SW_jjP12ihipStream_tbEUlT_E2_NS1_11comp_targetILNS1_3genE10ELNS1_11target_archE1201ELNS1_3gpuE5ELNS1_3repE0EEENS1_30default_config_static_selectorELNS0_4arch9wavefront6targetE0EEEvSK_
                                        ; -- End function
	.set _ZN7rocprim17ROCPRIM_400000_NS6detail17trampoline_kernelINS0_14default_configENS1_36segmented_radix_sort_config_selectorIilEEZNS1_25segmented_radix_sort_implIS3_Lb0EPKiPiPKlPlN2at6native12_GLOBAL__N_18offset_tEEE10hipError_tPvRmT1_PNSt15iterator_traitsISK_E10value_typeET2_T3_PNSL_ISQ_E10value_typeET4_jRbjT5_SW_jjP12ihipStream_tbEUlT_E2_NS1_11comp_targetILNS1_3genE10ELNS1_11target_archE1201ELNS1_3gpuE5ELNS1_3repE0EEENS1_30default_config_static_selectorELNS0_4arch9wavefront6targetE0EEEvSK_.num_vgpr, 0
	.set _ZN7rocprim17ROCPRIM_400000_NS6detail17trampoline_kernelINS0_14default_configENS1_36segmented_radix_sort_config_selectorIilEEZNS1_25segmented_radix_sort_implIS3_Lb0EPKiPiPKlPlN2at6native12_GLOBAL__N_18offset_tEEE10hipError_tPvRmT1_PNSt15iterator_traitsISK_E10value_typeET2_T3_PNSL_ISQ_E10value_typeET4_jRbjT5_SW_jjP12ihipStream_tbEUlT_E2_NS1_11comp_targetILNS1_3genE10ELNS1_11target_archE1201ELNS1_3gpuE5ELNS1_3repE0EEENS1_30default_config_static_selectorELNS0_4arch9wavefront6targetE0EEEvSK_.num_agpr, 0
	.set _ZN7rocprim17ROCPRIM_400000_NS6detail17trampoline_kernelINS0_14default_configENS1_36segmented_radix_sort_config_selectorIilEEZNS1_25segmented_radix_sort_implIS3_Lb0EPKiPiPKlPlN2at6native12_GLOBAL__N_18offset_tEEE10hipError_tPvRmT1_PNSt15iterator_traitsISK_E10value_typeET2_T3_PNSL_ISQ_E10value_typeET4_jRbjT5_SW_jjP12ihipStream_tbEUlT_E2_NS1_11comp_targetILNS1_3genE10ELNS1_11target_archE1201ELNS1_3gpuE5ELNS1_3repE0EEENS1_30default_config_static_selectorELNS0_4arch9wavefront6targetE0EEEvSK_.numbered_sgpr, 0
	.set _ZN7rocprim17ROCPRIM_400000_NS6detail17trampoline_kernelINS0_14default_configENS1_36segmented_radix_sort_config_selectorIilEEZNS1_25segmented_radix_sort_implIS3_Lb0EPKiPiPKlPlN2at6native12_GLOBAL__N_18offset_tEEE10hipError_tPvRmT1_PNSt15iterator_traitsISK_E10value_typeET2_T3_PNSL_ISQ_E10value_typeET4_jRbjT5_SW_jjP12ihipStream_tbEUlT_E2_NS1_11comp_targetILNS1_3genE10ELNS1_11target_archE1201ELNS1_3gpuE5ELNS1_3repE0EEENS1_30default_config_static_selectorELNS0_4arch9wavefront6targetE0EEEvSK_.num_named_barrier, 0
	.set _ZN7rocprim17ROCPRIM_400000_NS6detail17trampoline_kernelINS0_14default_configENS1_36segmented_radix_sort_config_selectorIilEEZNS1_25segmented_radix_sort_implIS3_Lb0EPKiPiPKlPlN2at6native12_GLOBAL__N_18offset_tEEE10hipError_tPvRmT1_PNSt15iterator_traitsISK_E10value_typeET2_T3_PNSL_ISQ_E10value_typeET4_jRbjT5_SW_jjP12ihipStream_tbEUlT_E2_NS1_11comp_targetILNS1_3genE10ELNS1_11target_archE1201ELNS1_3gpuE5ELNS1_3repE0EEENS1_30default_config_static_selectorELNS0_4arch9wavefront6targetE0EEEvSK_.private_seg_size, 0
	.set _ZN7rocprim17ROCPRIM_400000_NS6detail17trampoline_kernelINS0_14default_configENS1_36segmented_radix_sort_config_selectorIilEEZNS1_25segmented_radix_sort_implIS3_Lb0EPKiPiPKlPlN2at6native12_GLOBAL__N_18offset_tEEE10hipError_tPvRmT1_PNSt15iterator_traitsISK_E10value_typeET2_T3_PNSL_ISQ_E10value_typeET4_jRbjT5_SW_jjP12ihipStream_tbEUlT_E2_NS1_11comp_targetILNS1_3genE10ELNS1_11target_archE1201ELNS1_3gpuE5ELNS1_3repE0EEENS1_30default_config_static_selectorELNS0_4arch9wavefront6targetE0EEEvSK_.uses_vcc, 0
	.set _ZN7rocprim17ROCPRIM_400000_NS6detail17trampoline_kernelINS0_14default_configENS1_36segmented_radix_sort_config_selectorIilEEZNS1_25segmented_radix_sort_implIS3_Lb0EPKiPiPKlPlN2at6native12_GLOBAL__N_18offset_tEEE10hipError_tPvRmT1_PNSt15iterator_traitsISK_E10value_typeET2_T3_PNSL_ISQ_E10value_typeET4_jRbjT5_SW_jjP12ihipStream_tbEUlT_E2_NS1_11comp_targetILNS1_3genE10ELNS1_11target_archE1201ELNS1_3gpuE5ELNS1_3repE0EEENS1_30default_config_static_selectorELNS0_4arch9wavefront6targetE0EEEvSK_.uses_flat_scratch, 0
	.set _ZN7rocprim17ROCPRIM_400000_NS6detail17trampoline_kernelINS0_14default_configENS1_36segmented_radix_sort_config_selectorIilEEZNS1_25segmented_radix_sort_implIS3_Lb0EPKiPiPKlPlN2at6native12_GLOBAL__N_18offset_tEEE10hipError_tPvRmT1_PNSt15iterator_traitsISK_E10value_typeET2_T3_PNSL_ISQ_E10value_typeET4_jRbjT5_SW_jjP12ihipStream_tbEUlT_E2_NS1_11comp_targetILNS1_3genE10ELNS1_11target_archE1201ELNS1_3gpuE5ELNS1_3repE0EEENS1_30default_config_static_selectorELNS0_4arch9wavefront6targetE0EEEvSK_.has_dyn_sized_stack, 0
	.set _ZN7rocprim17ROCPRIM_400000_NS6detail17trampoline_kernelINS0_14default_configENS1_36segmented_radix_sort_config_selectorIilEEZNS1_25segmented_radix_sort_implIS3_Lb0EPKiPiPKlPlN2at6native12_GLOBAL__N_18offset_tEEE10hipError_tPvRmT1_PNSt15iterator_traitsISK_E10value_typeET2_T3_PNSL_ISQ_E10value_typeET4_jRbjT5_SW_jjP12ihipStream_tbEUlT_E2_NS1_11comp_targetILNS1_3genE10ELNS1_11target_archE1201ELNS1_3gpuE5ELNS1_3repE0EEENS1_30default_config_static_selectorELNS0_4arch9wavefront6targetE0EEEvSK_.has_recursion, 0
	.set _ZN7rocprim17ROCPRIM_400000_NS6detail17trampoline_kernelINS0_14default_configENS1_36segmented_radix_sort_config_selectorIilEEZNS1_25segmented_radix_sort_implIS3_Lb0EPKiPiPKlPlN2at6native12_GLOBAL__N_18offset_tEEE10hipError_tPvRmT1_PNSt15iterator_traitsISK_E10value_typeET2_T3_PNSL_ISQ_E10value_typeET4_jRbjT5_SW_jjP12ihipStream_tbEUlT_E2_NS1_11comp_targetILNS1_3genE10ELNS1_11target_archE1201ELNS1_3gpuE5ELNS1_3repE0EEENS1_30default_config_static_selectorELNS0_4arch9wavefront6targetE0EEEvSK_.has_indirect_call, 0
	.section	.AMDGPU.csdata,"",@progbits
; Kernel info:
; codeLenInByte = 0
; TotalNumSgprs: 0
; NumVgprs: 0
; ScratchSize: 0
; MemoryBound: 0
; FloatMode: 240
; IeeeMode: 1
; LDSByteSize: 0 bytes/workgroup (compile time only)
; SGPRBlocks: 0
; VGPRBlocks: 0
; NumSGPRsForWavesPerEU: 1
; NumVGPRsForWavesPerEU: 1
; NamedBarCnt: 0
; Occupancy: 16
; WaveLimiterHint : 0
; COMPUTE_PGM_RSRC2:SCRATCH_EN: 0
; COMPUTE_PGM_RSRC2:USER_SGPR: 2
; COMPUTE_PGM_RSRC2:TRAP_HANDLER: 0
; COMPUTE_PGM_RSRC2:TGID_X_EN: 1
; COMPUTE_PGM_RSRC2:TGID_Y_EN: 0
; COMPUTE_PGM_RSRC2:TGID_Z_EN: 0
; COMPUTE_PGM_RSRC2:TIDIG_COMP_CNT: 0
	.section	.text._ZN7rocprim17ROCPRIM_400000_NS6detail17trampoline_kernelINS0_14default_configENS1_36segmented_radix_sort_config_selectorIilEEZNS1_25segmented_radix_sort_implIS3_Lb0EPKiPiPKlPlN2at6native12_GLOBAL__N_18offset_tEEE10hipError_tPvRmT1_PNSt15iterator_traitsISK_E10value_typeET2_T3_PNSL_ISQ_E10value_typeET4_jRbjT5_SW_jjP12ihipStream_tbEUlT_E2_NS1_11comp_targetILNS1_3genE10ELNS1_11target_archE1200ELNS1_3gpuE4ELNS1_3repE0EEENS1_30default_config_static_selectorELNS0_4arch9wavefront6targetE0EEEvSK_,"axG",@progbits,_ZN7rocprim17ROCPRIM_400000_NS6detail17trampoline_kernelINS0_14default_configENS1_36segmented_radix_sort_config_selectorIilEEZNS1_25segmented_radix_sort_implIS3_Lb0EPKiPiPKlPlN2at6native12_GLOBAL__N_18offset_tEEE10hipError_tPvRmT1_PNSt15iterator_traitsISK_E10value_typeET2_T3_PNSL_ISQ_E10value_typeET4_jRbjT5_SW_jjP12ihipStream_tbEUlT_E2_NS1_11comp_targetILNS1_3genE10ELNS1_11target_archE1200ELNS1_3gpuE4ELNS1_3repE0EEENS1_30default_config_static_selectorELNS0_4arch9wavefront6targetE0EEEvSK_,comdat
	.globl	_ZN7rocprim17ROCPRIM_400000_NS6detail17trampoline_kernelINS0_14default_configENS1_36segmented_radix_sort_config_selectorIilEEZNS1_25segmented_radix_sort_implIS3_Lb0EPKiPiPKlPlN2at6native12_GLOBAL__N_18offset_tEEE10hipError_tPvRmT1_PNSt15iterator_traitsISK_E10value_typeET2_T3_PNSL_ISQ_E10value_typeET4_jRbjT5_SW_jjP12ihipStream_tbEUlT_E2_NS1_11comp_targetILNS1_3genE10ELNS1_11target_archE1200ELNS1_3gpuE4ELNS1_3repE0EEENS1_30default_config_static_selectorELNS0_4arch9wavefront6targetE0EEEvSK_ ; -- Begin function _ZN7rocprim17ROCPRIM_400000_NS6detail17trampoline_kernelINS0_14default_configENS1_36segmented_radix_sort_config_selectorIilEEZNS1_25segmented_radix_sort_implIS3_Lb0EPKiPiPKlPlN2at6native12_GLOBAL__N_18offset_tEEE10hipError_tPvRmT1_PNSt15iterator_traitsISK_E10value_typeET2_T3_PNSL_ISQ_E10value_typeET4_jRbjT5_SW_jjP12ihipStream_tbEUlT_E2_NS1_11comp_targetILNS1_3genE10ELNS1_11target_archE1200ELNS1_3gpuE4ELNS1_3repE0EEENS1_30default_config_static_selectorELNS0_4arch9wavefront6targetE0EEEvSK_
	.p2align	8
	.type	_ZN7rocprim17ROCPRIM_400000_NS6detail17trampoline_kernelINS0_14default_configENS1_36segmented_radix_sort_config_selectorIilEEZNS1_25segmented_radix_sort_implIS3_Lb0EPKiPiPKlPlN2at6native12_GLOBAL__N_18offset_tEEE10hipError_tPvRmT1_PNSt15iterator_traitsISK_E10value_typeET2_T3_PNSL_ISQ_E10value_typeET4_jRbjT5_SW_jjP12ihipStream_tbEUlT_E2_NS1_11comp_targetILNS1_3genE10ELNS1_11target_archE1200ELNS1_3gpuE4ELNS1_3repE0EEENS1_30default_config_static_selectorELNS0_4arch9wavefront6targetE0EEEvSK_,@function
_ZN7rocprim17ROCPRIM_400000_NS6detail17trampoline_kernelINS0_14default_configENS1_36segmented_radix_sort_config_selectorIilEEZNS1_25segmented_radix_sort_implIS3_Lb0EPKiPiPKlPlN2at6native12_GLOBAL__N_18offset_tEEE10hipError_tPvRmT1_PNSt15iterator_traitsISK_E10value_typeET2_T3_PNSL_ISQ_E10value_typeET4_jRbjT5_SW_jjP12ihipStream_tbEUlT_E2_NS1_11comp_targetILNS1_3genE10ELNS1_11target_archE1200ELNS1_3gpuE4ELNS1_3repE0EEENS1_30default_config_static_selectorELNS0_4arch9wavefront6targetE0EEEvSK_: ; @_ZN7rocprim17ROCPRIM_400000_NS6detail17trampoline_kernelINS0_14default_configENS1_36segmented_radix_sort_config_selectorIilEEZNS1_25segmented_radix_sort_implIS3_Lb0EPKiPiPKlPlN2at6native12_GLOBAL__N_18offset_tEEE10hipError_tPvRmT1_PNSt15iterator_traitsISK_E10value_typeET2_T3_PNSL_ISQ_E10value_typeET4_jRbjT5_SW_jjP12ihipStream_tbEUlT_E2_NS1_11comp_targetILNS1_3genE10ELNS1_11target_archE1200ELNS1_3gpuE4ELNS1_3repE0EEENS1_30default_config_static_selectorELNS0_4arch9wavefront6targetE0EEEvSK_
; %bb.0:
	.section	.rodata,"a",@progbits
	.p2align	6, 0x0
	.amdhsa_kernel _ZN7rocprim17ROCPRIM_400000_NS6detail17trampoline_kernelINS0_14default_configENS1_36segmented_radix_sort_config_selectorIilEEZNS1_25segmented_radix_sort_implIS3_Lb0EPKiPiPKlPlN2at6native12_GLOBAL__N_18offset_tEEE10hipError_tPvRmT1_PNSt15iterator_traitsISK_E10value_typeET2_T3_PNSL_ISQ_E10value_typeET4_jRbjT5_SW_jjP12ihipStream_tbEUlT_E2_NS1_11comp_targetILNS1_3genE10ELNS1_11target_archE1200ELNS1_3gpuE4ELNS1_3repE0EEENS1_30default_config_static_selectorELNS0_4arch9wavefront6targetE0EEEvSK_
		.amdhsa_group_segment_fixed_size 0
		.amdhsa_private_segment_fixed_size 0
		.amdhsa_kernarg_size 80
		.amdhsa_user_sgpr_count 2
		.amdhsa_user_sgpr_dispatch_ptr 0
		.amdhsa_user_sgpr_queue_ptr 0
		.amdhsa_user_sgpr_kernarg_segment_ptr 1
		.amdhsa_user_sgpr_dispatch_id 0
		.amdhsa_user_sgpr_kernarg_preload_length 0
		.amdhsa_user_sgpr_kernarg_preload_offset 0
		.amdhsa_user_sgpr_private_segment_size 0
		.amdhsa_wavefront_size32 1
		.amdhsa_uses_dynamic_stack 0
		.amdhsa_enable_private_segment 0
		.amdhsa_system_sgpr_workgroup_id_x 1
		.amdhsa_system_sgpr_workgroup_id_y 0
		.amdhsa_system_sgpr_workgroup_id_z 0
		.amdhsa_system_sgpr_workgroup_info 0
		.amdhsa_system_vgpr_workitem_id 0
		.amdhsa_next_free_vgpr 1
		.amdhsa_next_free_sgpr 1
		.amdhsa_named_barrier_count 0
		.amdhsa_reserve_vcc 0
		.amdhsa_float_round_mode_32 0
		.amdhsa_float_round_mode_16_64 0
		.amdhsa_float_denorm_mode_32 3
		.amdhsa_float_denorm_mode_16_64 3
		.amdhsa_fp16_overflow 0
		.amdhsa_memory_ordered 1
		.amdhsa_forward_progress 1
		.amdhsa_inst_pref_size 0
		.amdhsa_round_robin_scheduling 0
		.amdhsa_exception_fp_ieee_invalid_op 0
		.amdhsa_exception_fp_denorm_src 0
		.amdhsa_exception_fp_ieee_div_zero 0
		.amdhsa_exception_fp_ieee_overflow 0
		.amdhsa_exception_fp_ieee_underflow 0
		.amdhsa_exception_fp_ieee_inexact 0
		.amdhsa_exception_int_div_zero 0
	.end_amdhsa_kernel
	.section	.text._ZN7rocprim17ROCPRIM_400000_NS6detail17trampoline_kernelINS0_14default_configENS1_36segmented_radix_sort_config_selectorIilEEZNS1_25segmented_radix_sort_implIS3_Lb0EPKiPiPKlPlN2at6native12_GLOBAL__N_18offset_tEEE10hipError_tPvRmT1_PNSt15iterator_traitsISK_E10value_typeET2_T3_PNSL_ISQ_E10value_typeET4_jRbjT5_SW_jjP12ihipStream_tbEUlT_E2_NS1_11comp_targetILNS1_3genE10ELNS1_11target_archE1200ELNS1_3gpuE4ELNS1_3repE0EEENS1_30default_config_static_selectorELNS0_4arch9wavefront6targetE0EEEvSK_,"axG",@progbits,_ZN7rocprim17ROCPRIM_400000_NS6detail17trampoline_kernelINS0_14default_configENS1_36segmented_radix_sort_config_selectorIilEEZNS1_25segmented_radix_sort_implIS3_Lb0EPKiPiPKlPlN2at6native12_GLOBAL__N_18offset_tEEE10hipError_tPvRmT1_PNSt15iterator_traitsISK_E10value_typeET2_T3_PNSL_ISQ_E10value_typeET4_jRbjT5_SW_jjP12ihipStream_tbEUlT_E2_NS1_11comp_targetILNS1_3genE10ELNS1_11target_archE1200ELNS1_3gpuE4ELNS1_3repE0EEENS1_30default_config_static_selectorELNS0_4arch9wavefront6targetE0EEEvSK_,comdat
.Lfunc_end632:
	.size	_ZN7rocprim17ROCPRIM_400000_NS6detail17trampoline_kernelINS0_14default_configENS1_36segmented_radix_sort_config_selectorIilEEZNS1_25segmented_radix_sort_implIS3_Lb0EPKiPiPKlPlN2at6native12_GLOBAL__N_18offset_tEEE10hipError_tPvRmT1_PNSt15iterator_traitsISK_E10value_typeET2_T3_PNSL_ISQ_E10value_typeET4_jRbjT5_SW_jjP12ihipStream_tbEUlT_E2_NS1_11comp_targetILNS1_3genE10ELNS1_11target_archE1200ELNS1_3gpuE4ELNS1_3repE0EEENS1_30default_config_static_selectorELNS0_4arch9wavefront6targetE0EEEvSK_, .Lfunc_end632-_ZN7rocprim17ROCPRIM_400000_NS6detail17trampoline_kernelINS0_14default_configENS1_36segmented_radix_sort_config_selectorIilEEZNS1_25segmented_radix_sort_implIS3_Lb0EPKiPiPKlPlN2at6native12_GLOBAL__N_18offset_tEEE10hipError_tPvRmT1_PNSt15iterator_traitsISK_E10value_typeET2_T3_PNSL_ISQ_E10value_typeET4_jRbjT5_SW_jjP12ihipStream_tbEUlT_E2_NS1_11comp_targetILNS1_3genE10ELNS1_11target_archE1200ELNS1_3gpuE4ELNS1_3repE0EEENS1_30default_config_static_selectorELNS0_4arch9wavefront6targetE0EEEvSK_
                                        ; -- End function
	.set _ZN7rocprim17ROCPRIM_400000_NS6detail17trampoline_kernelINS0_14default_configENS1_36segmented_radix_sort_config_selectorIilEEZNS1_25segmented_radix_sort_implIS3_Lb0EPKiPiPKlPlN2at6native12_GLOBAL__N_18offset_tEEE10hipError_tPvRmT1_PNSt15iterator_traitsISK_E10value_typeET2_T3_PNSL_ISQ_E10value_typeET4_jRbjT5_SW_jjP12ihipStream_tbEUlT_E2_NS1_11comp_targetILNS1_3genE10ELNS1_11target_archE1200ELNS1_3gpuE4ELNS1_3repE0EEENS1_30default_config_static_selectorELNS0_4arch9wavefront6targetE0EEEvSK_.num_vgpr, 0
	.set _ZN7rocprim17ROCPRIM_400000_NS6detail17trampoline_kernelINS0_14default_configENS1_36segmented_radix_sort_config_selectorIilEEZNS1_25segmented_radix_sort_implIS3_Lb0EPKiPiPKlPlN2at6native12_GLOBAL__N_18offset_tEEE10hipError_tPvRmT1_PNSt15iterator_traitsISK_E10value_typeET2_T3_PNSL_ISQ_E10value_typeET4_jRbjT5_SW_jjP12ihipStream_tbEUlT_E2_NS1_11comp_targetILNS1_3genE10ELNS1_11target_archE1200ELNS1_3gpuE4ELNS1_3repE0EEENS1_30default_config_static_selectorELNS0_4arch9wavefront6targetE0EEEvSK_.num_agpr, 0
	.set _ZN7rocprim17ROCPRIM_400000_NS6detail17trampoline_kernelINS0_14default_configENS1_36segmented_radix_sort_config_selectorIilEEZNS1_25segmented_radix_sort_implIS3_Lb0EPKiPiPKlPlN2at6native12_GLOBAL__N_18offset_tEEE10hipError_tPvRmT1_PNSt15iterator_traitsISK_E10value_typeET2_T3_PNSL_ISQ_E10value_typeET4_jRbjT5_SW_jjP12ihipStream_tbEUlT_E2_NS1_11comp_targetILNS1_3genE10ELNS1_11target_archE1200ELNS1_3gpuE4ELNS1_3repE0EEENS1_30default_config_static_selectorELNS0_4arch9wavefront6targetE0EEEvSK_.numbered_sgpr, 0
	.set _ZN7rocprim17ROCPRIM_400000_NS6detail17trampoline_kernelINS0_14default_configENS1_36segmented_radix_sort_config_selectorIilEEZNS1_25segmented_radix_sort_implIS3_Lb0EPKiPiPKlPlN2at6native12_GLOBAL__N_18offset_tEEE10hipError_tPvRmT1_PNSt15iterator_traitsISK_E10value_typeET2_T3_PNSL_ISQ_E10value_typeET4_jRbjT5_SW_jjP12ihipStream_tbEUlT_E2_NS1_11comp_targetILNS1_3genE10ELNS1_11target_archE1200ELNS1_3gpuE4ELNS1_3repE0EEENS1_30default_config_static_selectorELNS0_4arch9wavefront6targetE0EEEvSK_.num_named_barrier, 0
	.set _ZN7rocprim17ROCPRIM_400000_NS6detail17trampoline_kernelINS0_14default_configENS1_36segmented_radix_sort_config_selectorIilEEZNS1_25segmented_radix_sort_implIS3_Lb0EPKiPiPKlPlN2at6native12_GLOBAL__N_18offset_tEEE10hipError_tPvRmT1_PNSt15iterator_traitsISK_E10value_typeET2_T3_PNSL_ISQ_E10value_typeET4_jRbjT5_SW_jjP12ihipStream_tbEUlT_E2_NS1_11comp_targetILNS1_3genE10ELNS1_11target_archE1200ELNS1_3gpuE4ELNS1_3repE0EEENS1_30default_config_static_selectorELNS0_4arch9wavefront6targetE0EEEvSK_.private_seg_size, 0
	.set _ZN7rocprim17ROCPRIM_400000_NS6detail17trampoline_kernelINS0_14default_configENS1_36segmented_radix_sort_config_selectorIilEEZNS1_25segmented_radix_sort_implIS3_Lb0EPKiPiPKlPlN2at6native12_GLOBAL__N_18offset_tEEE10hipError_tPvRmT1_PNSt15iterator_traitsISK_E10value_typeET2_T3_PNSL_ISQ_E10value_typeET4_jRbjT5_SW_jjP12ihipStream_tbEUlT_E2_NS1_11comp_targetILNS1_3genE10ELNS1_11target_archE1200ELNS1_3gpuE4ELNS1_3repE0EEENS1_30default_config_static_selectorELNS0_4arch9wavefront6targetE0EEEvSK_.uses_vcc, 0
	.set _ZN7rocprim17ROCPRIM_400000_NS6detail17trampoline_kernelINS0_14default_configENS1_36segmented_radix_sort_config_selectorIilEEZNS1_25segmented_radix_sort_implIS3_Lb0EPKiPiPKlPlN2at6native12_GLOBAL__N_18offset_tEEE10hipError_tPvRmT1_PNSt15iterator_traitsISK_E10value_typeET2_T3_PNSL_ISQ_E10value_typeET4_jRbjT5_SW_jjP12ihipStream_tbEUlT_E2_NS1_11comp_targetILNS1_3genE10ELNS1_11target_archE1200ELNS1_3gpuE4ELNS1_3repE0EEENS1_30default_config_static_selectorELNS0_4arch9wavefront6targetE0EEEvSK_.uses_flat_scratch, 0
	.set _ZN7rocprim17ROCPRIM_400000_NS6detail17trampoline_kernelINS0_14default_configENS1_36segmented_radix_sort_config_selectorIilEEZNS1_25segmented_radix_sort_implIS3_Lb0EPKiPiPKlPlN2at6native12_GLOBAL__N_18offset_tEEE10hipError_tPvRmT1_PNSt15iterator_traitsISK_E10value_typeET2_T3_PNSL_ISQ_E10value_typeET4_jRbjT5_SW_jjP12ihipStream_tbEUlT_E2_NS1_11comp_targetILNS1_3genE10ELNS1_11target_archE1200ELNS1_3gpuE4ELNS1_3repE0EEENS1_30default_config_static_selectorELNS0_4arch9wavefront6targetE0EEEvSK_.has_dyn_sized_stack, 0
	.set _ZN7rocprim17ROCPRIM_400000_NS6detail17trampoline_kernelINS0_14default_configENS1_36segmented_radix_sort_config_selectorIilEEZNS1_25segmented_radix_sort_implIS3_Lb0EPKiPiPKlPlN2at6native12_GLOBAL__N_18offset_tEEE10hipError_tPvRmT1_PNSt15iterator_traitsISK_E10value_typeET2_T3_PNSL_ISQ_E10value_typeET4_jRbjT5_SW_jjP12ihipStream_tbEUlT_E2_NS1_11comp_targetILNS1_3genE10ELNS1_11target_archE1200ELNS1_3gpuE4ELNS1_3repE0EEENS1_30default_config_static_selectorELNS0_4arch9wavefront6targetE0EEEvSK_.has_recursion, 0
	.set _ZN7rocprim17ROCPRIM_400000_NS6detail17trampoline_kernelINS0_14default_configENS1_36segmented_radix_sort_config_selectorIilEEZNS1_25segmented_radix_sort_implIS3_Lb0EPKiPiPKlPlN2at6native12_GLOBAL__N_18offset_tEEE10hipError_tPvRmT1_PNSt15iterator_traitsISK_E10value_typeET2_T3_PNSL_ISQ_E10value_typeET4_jRbjT5_SW_jjP12ihipStream_tbEUlT_E2_NS1_11comp_targetILNS1_3genE10ELNS1_11target_archE1200ELNS1_3gpuE4ELNS1_3repE0EEENS1_30default_config_static_selectorELNS0_4arch9wavefront6targetE0EEEvSK_.has_indirect_call, 0
	.section	.AMDGPU.csdata,"",@progbits
; Kernel info:
; codeLenInByte = 0
; TotalNumSgprs: 0
; NumVgprs: 0
; ScratchSize: 0
; MemoryBound: 0
; FloatMode: 240
; IeeeMode: 1
; LDSByteSize: 0 bytes/workgroup (compile time only)
; SGPRBlocks: 0
; VGPRBlocks: 0
; NumSGPRsForWavesPerEU: 1
; NumVGPRsForWavesPerEU: 1
; NamedBarCnt: 0
; Occupancy: 16
; WaveLimiterHint : 0
; COMPUTE_PGM_RSRC2:SCRATCH_EN: 0
; COMPUTE_PGM_RSRC2:USER_SGPR: 2
; COMPUTE_PGM_RSRC2:TRAP_HANDLER: 0
; COMPUTE_PGM_RSRC2:TGID_X_EN: 1
; COMPUTE_PGM_RSRC2:TGID_Y_EN: 0
; COMPUTE_PGM_RSRC2:TGID_Z_EN: 0
; COMPUTE_PGM_RSRC2:TIDIG_COMP_CNT: 0
	.section	.text._ZN7rocprim17ROCPRIM_400000_NS6detail17trampoline_kernelINS0_14default_configENS1_36segmented_radix_sort_config_selectorIilEEZNS1_25segmented_radix_sort_implIS3_Lb0EPKiPiPKlPlN2at6native12_GLOBAL__N_18offset_tEEE10hipError_tPvRmT1_PNSt15iterator_traitsISK_E10value_typeET2_T3_PNSL_ISQ_E10value_typeET4_jRbjT5_SW_jjP12ihipStream_tbEUlT_E2_NS1_11comp_targetILNS1_3genE9ELNS1_11target_archE1100ELNS1_3gpuE3ELNS1_3repE0EEENS1_30default_config_static_selectorELNS0_4arch9wavefront6targetE0EEEvSK_,"axG",@progbits,_ZN7rocprim17ROCPRIM_400000_NS6detail17trampoline_kernelINS0_14default_configENS1_36segmented_radix_sort_config_selectorIilEEZNS1_25segmented_radix_sort_implIS3_Lb0EPKiPiPKlPlN2at6native12_GLOBAL__N_18offset_tEEE10hipError_tPvRmT1_PNSt15iterator_traitsISK_E10value_typeET2_T3_PNSL_ISQ_E10value_typeET4_jRbjT5_SW_jjP12ihipStream_tbEUlT_E2_NS1_11comp_targetILNS1_3genE9ELNS1_11target_archE1100ELNS1_3gpuE3ELNS1_3repE0EEENS1_30default_config_static_selectorELNS0_4arch9wavefront6targetE0EEEvSK_,comdat
	.globl	_ZN7rocprim17ROCPRIM_400000_NS6detail17trampoline_kernelINS0_14default_configENS1_36segmented_radix_sort_config_selectorIilEEZNS1_25segmented_radix_sort_implIS3_Lb0EPKiPiPKlPlN2at6native12_GLOBAL__N_18offset_tEEE10hipError_tPvRmT1_PNSt15iterator_traitsISK_E10value_typeET2_T3_PNSL_ISQ_E10value_typeET4_jRbjT5_SW_jjP12ihipStream_tbEUlT_E2_NS1_11comp_targetILNS1_3genE9ELNS1_11target_archE1100ELNS1_3gpuE3ELNS1_3repE0EEENS1_30default_config_static_selectorELNS0_4arch9wavefront6targetE0EEEvSK_ ; -- Begin function _ZN7rocprim17ROCPRIM_400000_NS6detail17trampoline_kernelINS0_14default_configENS1_36segmented_radix_sort_config_selectorIilEEZNS1_25segmented_radix_sort_implIS3_Lb0EPKiPiPKlPlN2at6native12_GLOBAL__N_18offset_tEEE10hipError_tPvRmT1_PNSt15iterator_traitsISK_E10value_typeET2_T3_PNSL_ISQ_E10value_typeET4_jRbjT5_SW_jjP12ihipStream_tbEUlT_E2_NS1_11comp_targetILNS1_3genE9ELNS1_11target_archE1100ELNS1_3gpuE3ELNS1_3repE0EEENS1_30default_config_static_selectorELNS0_4arch9wavefront6targetE0EEEvSK_
	.p2align	8
	.type	_ZN7rocprim17ROCPRIM_400000_NS6detail17trampoline_kernelINS0_14default_configENS1_36segmented_radix_sort_config_selectorIilEEZNS1_25segmented_radix_sort_implIS3_Lb0EPKiPiPKlPlN2at6native12_GLOBAL__N_18offset_tEEE10hipError_tPvRmT1_PNSt15iterator_traitsISK_E10value_typeET2_T3_PNSL_ISQ_E10value_typeET4_jRbjT5_SW_jjP12ihipStream_tbEUlT_E2_NS1_11comp_targetILNS1_3genE9ELNS1_11target_archE1100ELNS1_3gpuE3ELNS1_3repE0EEENS1_30default_config_static_selectorELNS0_4arch9wavefront6targetE0EEEvSK_,@function
_ZN7rocprim17ROCPRIM_400000_NS6detail17trampoline_kernelINS0_14default_configENS1_36segmented_radix_sort_config_selectorIilEEZNS1_25segmented_radix_sort_implIS3_Lb0EPKiPiPKlPlN2at6native12_GLOBAL__N_18offset_tEEE10hipError_tPvRmT1_PNSt15iterator_traitsISK_E10value_typeET2_T3_PNSL_ISQ_E10value_typeET4_jRbjT5_SW_jjP12ihipStream_tbEUlT_E2_NS1_11comp_targetILNS1_3genE9ELNS1_11target_archE1100ELNS1_3gpuE3ELNS1_3repE0EEENS1_30default_config_static_selectorELNS0_4arch9wavefront6targetE0EEEvSK_: ; @_ZN7rocprim17ROCPRIM_400000_NS6detail17trampoline_kernelINS0_14default_configENS1_36segmented_radix_sort_config_selectorIilEEZNS1_25segmented_radix_sort_implIS3_Lb0EPKiPiPKlPlN2at6native12_GLOBAL__N_18offset_tEEE10hipError_tPvRmT1_PNSt15iterator_traitsISK_E10value_typeET2_T3_PNSL_ISQ_E10value_typeET4_jRbjT5_SW_jjP12ihipStream_tbEUlT_E2_NS1_11comp_targetILNS1_3genE9ELNS1_11target_archE1100ELNS1_3gpuE3ELNS1_3repE0EEENS1_30default_config_static_selectorELNS0_4arch9wavefront6targetE0EEEvSK_
; %bb.0:
	.section	.rodata,"a",@progbits
	.p2align	6, 0x0
	.amdhsa_kernel _ZN7rocprim17ROCPRIM_400000_NS6detail17trampoline_kernelINS0_14default_configENS1_36segmented_radix_sort_config_selectorIilEEZNS1_25segmented_radix_sort_implIS3_Lb0EPKiPiPKlPlN2at6native12_GLOBAL__N_18offset_tEEE10hipError_tPvRmT1_PNSt15iterator_traitsISK_E10value_typeET2_T3_PNSL_ISQ_E10value_typeET4_jRbjT5_SW_jjP12ihipStream_tbEUlT_E2_NS1_11comp_targetILNS1_3genE9ELNS1_11target_archE1100ELNS1_3gpuE3ELNS1_3repE0EEENS1_30default_config_static_selectorELNS0_4arch9wavefront6targetE0EEEvSK_
		.amdhsa_group_segment_fixed_size 0
		.amdhsa_private_segment_fixed_size 0
		.amdhsa_kernarg_size 80
		.amdhsa_user_sgpr_count 2
		.amdhsa_user_sgpr_dispatch_ptr 0
		.amdhsa_user_sgpr_queue_ptr 0
		.amdhsa_user_sgpr_kernarg_segment_ptr 1
		.amdhsa_user_sgpr_dispatch_id 0
		.amdhsa_user_sgpr_kernarg_preload_length 0
		.amdhsa_user_sgpr_kernarg_preload_offset 0
		.amdhsa_user_sgpr_private_segment_size 0
		.amdhsa_wavefront_size32 1
		.amdhsa_uses_dynamic_stack 0
		.amdhsa_enable_private_segment 0
		.amdhsa_system_sgpr_workgroup_id_x 1
		.amdhsa_system_sgpr_workgroup_id_y 0
		.amdhsa_system_sgpr_workgroup_id_z 0
		.amdhsa_system_sgpr_workgroup_info 0
		.amdhsa_system_vgpr_workitem_id 0
		.amdhsa_next_free_vgpr 1
		.amdhsa_next_free_sgpr 1
		.amdhsa_named_barrier_count 0
		.amdhsa_reserve_vcc 0
		.amdhsa_float_round_mode_32 0
		.amdhsa_float_round_mode_16_64 0
		.amdhsa_float_denorm_mode_32 3
		.amdhsa_float_denorm_mode_16_64 3
		.amdhsa_fp16_overflow 0
		.amdhsa_memory_ordered 1
		.amdhsa_forward_progress 1
		.amdhsa_inst_pref_size 0
		.amdhsa_round_robin_scheduling 0
		.amdhsa_exception_fp_ieee_invalid_op 0
		.amdhsa_exception_fp_denorm_src 0
		.amdhsa_exception_fp_ieee_div_zero 0
		.amdhsa_exception_fp_ieee_overflow 0
		.amdhsa_exception_fp_ieee_underflow 0
		.amdhsa_exception_fp_ieee_inexact 0
		.amdhsa_exception_int_div_zero 0
	.end_amdhsa_kernel
	.section	.text._ZN7rocprim17ROCPRIM_400000_NS6detail17trampoline_kernelINS0_14default_configENS1_36segmented_radix_sort_config_selectorIilEEZNS1_25segmented_radix_sort_implIS3_Lb0EPKiPiPKlPlN2at6native12_GLOBAL__N_18offset_tEEE10hipError_tPvRmT1_PNSt15iterator_traitsISK_E10value_typeET2_T3_PNSL_ISQ_E10value_typeET4_jRbjT5_SW_jjP12ihipStream_tbEUlT_E2_NS1_11comp_targetILNS1_3genE9ELNS1_11target_archE1100ELNS1_3gpuE3ELNS1_3repE0EEENS1_30default_config_static_selectorELNS0_4arch9wavefront6targetE0EEEvSK_,"axG",@progbits,_ZN7rocprim17ROCPRIM_400000_NS6detail17trampoline_kernelINS0_14default_configENS1_36segmented_radix_sort_config_selectorIilEEZNS1_25segmented_radix_sort_implIS3_Lb0EPKiPiPKlPlN2at6native12_GLOBAL__N_18offset_tEEE10hipError_tPvRmT1_PNSt15iterator_traitsISK_E10value_typeET2_T3_PNSL_ISQ_E10value_typeET4_jRbjT5_SW_jjP12ihipStream_tbEUlT_E2_NS1_11comp_targetILNS1_3genE9ELNS1_11target_archE1100ELNS1_3gpuE3ELNS1_3repE0EEENS1_30default_config_static_selectorELNS0_4arch9wavefront6targetE0EEEvSK_,comdat
.Lfunc_end633:
	.size	_ZN7rocprim17ROCPRIM_400000_NS6detail17trampoline_kernelINS0_14default_configENS1_36segmented_radix_sort_config_selectorIilEEZNS1_25segmented_radix_sort_implIS3_Lb0EPKiPiPKlPlN2at6native12_GLOBAL__N_18offset_tEEE10hipError_tPvRmT1_PNSt15iterator_traitsISK_E10value_typeET2_T3_PNSL_ISQ_E10value_typeET4_jRbjT5_SW_jjP12ihipStream_tbEUlT_E2_NS1_11comp_targetILNS1_3genE9ELNS1_11target_archE1100ELNS1_3gpuE3ELNS1_3repE0EEENS1_30default_config_static_selectorELNS0_4arch9wavefront6targetE0EEEvSK_, .Lfunc_end633-_ZN7rocprim17ROCPRIM_400000_NS6detail17trampoline_kernelINS0_14default_configENS1_36segmented_radix_sort_config_selectorIilEEZNS1_25segmented_radix_sort_implIS3_Lb0EPKiPiPKlPlN2at6native12_GLOBAL__N_18offset_tEEE10hipError_tPvRmT1_PNSt15iterator_traitsISK_E10value_typeET2_T3_PNSL_ISQ_E10value_typeET4_jRbjT5_SW_jjP12ihipStream_tbEUlT_E2_NS1_11comp_targetILNS1_3genE9ELNS1_11target_archE1100ELNS1_3gpuE3ELNS1_3repE0EEENS1_30default_config_static_selectorELNS0_4arch9wavefront6targetE0EEEvSK_
                                        ; -- End function
	.set _ZN7rocprim17ROCPRIM_400000_NS6detail17trampoline_kernelINS0_14default_configENS1_36segmented_radix_sort_config_selectorIilEEZNS1_25segmented_radix_sort_implIS3_Lb0EPKiPiPKlPlN2at6native12_GLOBAL__N_18offset_tEEE10hipError_tPvRmT1_PNSt15iterator_traitsISK_E10value_typeET2_T3_PNSL_ISQ_E10value_typeET4_jRbjT5_SW_jjP12ihipStream_tbEUlT_E2_NS1_11comp_targetILNS1_3genE9ELNS1_11target_archE1100ELNS1_3gpuE3ELNS1_3repE0EEENS1_30default_config_static_selectorELNS0_4arch9wavefront6targetE0EEEvSK_.num_vgpr, 0
	.set _ZN7rocprim17ROCPRIM_400000_NS6detail17trampoline_kernelINS0_14default_configENS1_36segmented_radix_sort_config_selectorIilEEZNS1_25segmented_radix_sort_implIS3_Lb0EPKiPiPKlPlN2at6native12_GLOBAL__N_18offset_tEEE10hipError_tPvRmT1_PNSt15iterator_traitsISK_E10value_typeET2_T3_PNSL_ISQ_E10value_typeET4_jRbjT5_SW_jjP12ihipStream_tbEUlT_E2_NS1_11comp_targetILNS1_3genE9ELNS1_11target_archE1100ELNS1_3gpuE3ELNS1_3repE0EEENS1_30default_config_static_selectorELNS0_4arch9wavefront6targetE0EEEvSK_.num_agpr, 0
	.set _ZN7rocprim17ROCPRIM_400000_NS6detail17trampoline_kernelINS0_14default_configENS1_36segmented_radix_sort_config_selectorIilEEZNS1_25segmented_radix_sort_implIS3_Lb0EPKiPiPKlPlN2at6native12_GLOBAL__N_18offset_tEEE10hipError_tPvRmT1_PNSt15iterator_traitsISK_E10value_typeET2_T3_PNSL_ISQ_E10value_typeET4_jRbjT5_SW_jjP12ihipStream_tbEUlT_E2_NS1_11comp_targetILNS1_3genE9ELNS1_11target_archE1100ELNS1_3gpuE3ELNS1_3repE0EEENS1_30default_config_static_selectorELNS0_4arch9wavefront6targetE0EEEvSK_.numbered_sgpr, 0
	.set _ZN7rocprim17ROCPRIM_400000_NS6detail17trampoline_kernelINS0_14default_configENS1_36segmented_radix_sort_config_selectorIilEEZNS1_25segmented_radix_sort_implIS3_Lb0EPKiPiPKlPlN2at6native12_GLOBAL__N_18offset_tEEE10hipError_tPvRmT1_PNSt15iterator_traitsISK_E10value_typeET2_T3_PNSL_ISQ_E10value_typeET4_jRbjT5_SW_jjP12ihipStream_tbEUlT_E2_NS1_11comp_targetILNS1_3genE9ELNS1_11target_archE1100ELNS1_3gpuE3ELNS1_3repE0EEENS1_30default_config_static_selectorELNS0_4arch9wavefront6targetE0EEEvSK_.num_named_barrier, 0
	.set _ZN7rocprim17ROCPRIM_400000_NS6detail17trampoline_kernelINS0_14default_configENS1_36segmented_radix_sort_config_selectorIilEEZNS1_25segmented_radix_sort_implIS3_Lb0EPKiPiPKlPlN2at6native12_GLOBAL__N_18offset_tEEE10hipError_tPvRmT1_PNSt15iterator_traitsISK_E10value_typeET2_T3_PNSL_ISQ_E10value_typeET4_jRbjT5_SW_jjP12ihipStream_tbEUlT_E2_NS1_11comp_targetILNS1_3genE9ELNS1_11target_archE1100ELNS1_3gpuE3ELNS1_3repE0EEENS1_30default_config_static_selectorELNS0_4arch9wavefront6targetE0EEEvSK_.private_seg_size, 0
	.set _ZN7rocprim17ROCPRIM_400000_NS6detail17trampoline_kernelINS0_14default_configENS1_36segmented_radix_sort_config_selectorIilEEZNS1_25segmented_radix_sort_implIS3_Lb0EPKiPiPKlPlN2at6native12_GLOBAL__N_18offset_tEEE10hipError_tPvRmT1_PNSt15iterator_traitsISK_E10value_typeET2_T3_PNSL_ISQ_E10value_typeET4_jRbjT5_SW_jjP12ihipStream_tbEUlT_E2_NS1_11comp_targetILNS1_3genE9ELNS1_11target_archE1100ELNS1_3gpuE3ELNS1_3repE0EEENS1_30default_config_static_selectorELNS0_4arch9wavefront6targetE0EEEvSK_.uses_vcc, 0
	.set _ZN7rocprim17ROCPRIM_400000_NS6detail17trampoline_kernelINS0_14default_configENS1_36segmented_radix_sort_config_selectorIilEEZNS1_25segmented_radix_sort_implIS3_Lb0EPKiPiPKlPlN2at6native12_GLOBAL__N_18offset_tEEE10hipError_tPvRmT1_PNSt15iterator_traitsISK_E10value_typeET2_T3_PNSL_ISQ_E10value_typeET4_jRbjT5_SW_jjP12ihipStream_tbEUlT_E2_NS1_11comp_targetILNS1_3genE9ELNS1_11target_archE1100ELNS1_3gpuE3ELNS1_3repE0EEENS1_30default_config_static_selectorELNS0_4arch9wavefront6targetE0EEEvSK_.uses_flat_scratch, 0
	.set _ZN7rocprim17ROCPRIM_400000_NS6detail17trampoline_kernelINS0_14default_configENS1_36segmented_radix_sort_config_selectorIilEEZNS1_25segmented_radix_sort_implIS3_Lb0EPKiPiPKlPlN2at6native12_GLOBAL__N_18offset_tEEE10hipError_tPvRmT1_PNSt15iterator_traitsISK_E10value_typeET2_T3_PNSL_ISQ_E10value_typeET4_jRbjT5_SW_jjP12ihipStream_tbEUlT_E2_NS1_11comp_targetILNS1_3genE9ELNS1_11target_archE1100ELNS1_3gpuE3ELNS1_3repE0EEENS1_30default_config_static_selectorELNS0_4arch9wavefront6targetE0EEEvSK_.has_dyn_sized_stack, 0
	.set _ZN7rocprim17ROCPRIM_400000_NS6detail17trampoline_kernelINS0_14default_configENS1_36segmented_radix_sort_config_selectorIilEEZNS1_25segmented_radix_sort_implIS3_Lb0EPKiPiPKlPlN2at6native12_GLOBAL__N_18offset_tEEE10hipError_tPvRmT1_PNSt15iterator_traitsISK_E10value_typeET2_T3_PNSL_ISQ_E10value_typeET4_jRbjT5_SW_jjP12ihipStream_tbEUlT_E2_NS1_11comp_targetILNS1_3genE9ELNS1_11target_archE1100ELNS1_3gpuE3ELNS1_3repE0EEENS1_30default_config_static_selectorELNS0_4arch9wavefront6targetE0EEEvSK_.has_recursion, 0
	.set _ZN7rocprim17ROCPRIM_400000_NS6detail17trampoline_kernelINS0_14default_configENS1_36segmented_radix_sort_config_selectorIilEEZNS1_25segmented_radix_sort_implIS3_Lb0EPKiPiPKlPlN2at6native12_GLOBAL__N_18offset_tEEE10hipError_tPvRmT1_PNSt15iterator_traitsISK_E10value_typeET2_T3_PNSL_ISQ_E10value_typeET4_jRbjT5_SW_jjP12ihipStream_tbEUlT_E2_NS1_11comp_targetILNS1_3genE9ELNS1_11target_archE1100ELNS1_3gpuE3ELNS1_3repE0EEENS1_30default_config_static_selectorELNS0_4arch9wavefront6targetE0EEEvSK_.has_indirect_call, 0
	.section	.AMDGPU.csdata,"",@progbits
; Kernel info:
; codeLenInByte = 0
; TotalNumSgprs: 0
; NumVgprs: 0
; ScratchSize: 0
; MemoryBound: 0
; FloatMode: 240
; IeeeMode: 1
; LDSByteSize: 0 bytes/workgroup (compile time only)
; SGPRBlocks: 0
; VGPRBlocks: 0
; NumSGPRsForWavesPerEU: 1
; NumVGPRsForWavesPerEU: 1
; NamedBarCnt: 0
; Occupancy: 16
; WaveLimiterHint : 0
; COMPUTE_PGM_RSRC2:SCRATCH_EN: 0
; COMPUTE_PGM_RSRC2:USER_SGPR: 2
; COMPUTE_PGM_RSRC2:TRAP_HANDLER: 0
; COMPUTE_PGM_RSRC2:TGID_X_EN: 1
; COMPUTE_PGM_RSRC2:TGID_Y_EN: 0
; COMPUTE_PGM_RSRC2:TGID_Z_EN: 0
; COMPUTE_PGM_RSRC2:TIDIG_COMP_CNT: 0
	.section	.text._ZN7rocprim17ROCPRIM_400000_NS6detail17trampoline_kernelINS0_14default_configENS1_36segmented_radix_sort_config_selectorIilEEZNS1_25segmented_radix_sort_implIS3_Lb0EPKiPiPKlPlN2at6native12_GLOBAL__N_18offset_tEEE10hipError_tPvRmT1_PNSt15iterator_traitsISK_E10value_typeET2_T3_PNSL_ISQ_E10value_typeET4_jRbjT5_SW_jjP12ihipStream_tbEUlT_E2_NS1_11comp_targetILNS1_3genE8ELNS1_11target_archE1030ELNS1_3gpuE2ELNS1_3repE0EEENS1_30default_config_static_selectorELNS0_4arch9wavefront6targetE0EEEvSK_,"axG",@progbits,_ZN7rocprim17ROCPRIM_400000_NS6detail17trampoline_kernelINS0_14default_configENS1_36segmented_radix_sort_config_selectorIilEEZNS1_25segmented_radix_sort_implIS3_Lb0EPKiPiPKlPlN2at6native12_GLOBAL__N_18offset_tEEE10hipError_tPvRmT1_PNSt15iterator_traitsISK_E10value_typeET2_T3_PNSL_ISQ_E10value_typeET4_jRbjT5_SW_jjP12ihipStream_tbEUlT_E2_NS1_11comp_targetILNS1_3genE8ELNS1_11target_archE1030ELNS1_3gpuE2ELNS1_3repE0EEENS1_30default_config_static_selectorELNS0_4arch9wavefront6targetE0EEEvSK_,comdat
	.globl	_ZN7rocprim17ROCPRIM_400000_NS6detail17trampoline_kernelINS0_14default_configENS1_36segmented_radix_sort_config_selectorIilEEZNS1_25segmented_radix_sort_implIS3_Lb0EPKiPiPKlPlN2at6native12_GLOBAL__N_18offset_tEEE10hipError_tPvRmT1_PNSt15iterator_traitsISK_E10value_typeET2_T3_PNSL_ISQ_E10value_typeET4_jRbjT5_SW_jjP12ihipStream_tbEUlT_E2_NS1_11comp_targetILNS1_3genE8ELNS1_11target_archE1030ELNS1_3gpuE2ELNS1_3repE0EEENS1_30default_config_static_selectorELNS0_4arch9wavefront6targetE0EEEvSK_ ; -- Begin function _ZN7rocprim17ROCPRIM_400000_NS6detail17trampoline_kernelINS0_14default_configENS1_36segmented_radix_sort_config_selectorIilEEZNS1_25segmented_radix_sort_implIS3_Lb0EPKiPiPKlPlN2at6native12_GLOBAL__N_18offset_tEEE10hipError_tPvRmT1_PNSt15iterator_traitsISK_E10value_typeET2_T3_PNSL_ISQ_E10value_typeET4_jRbjT5_SW_jjP12ihipStream_tbEUlT_E2_NS1_11comp_targetILNS1_3genE8ELNS1_11target_archE1030ELNS1_3gpuE2ELNS1_3repE0EEENS1_30default_config_static_selectorELNS0_4arch9wavefront6targetE0EEEvSK_
	.p2align	8
	.type	_ZN7rocprim17ROCPRIM_400000_NS6detail17trampoline_kernelINS0_14default_configENS1_36segmented_radix_sort_config_selectorIilEEZNS1_25segmented_radix_sort_implIS3_Lb0EPKiPiPKlPlN2at6native12_GLOBAL__N_18offset_tEEE10hipError_tPvRmT1_PNSt15iterator_traitsISK_E10value_typeET2_T3_PNSL_ISQ_E10value_typeET4_jRbjT5_SW_jjP12ihipStream_tbEUlT_E2_NS1_11comp_targetILNS1_3genE8ELNS1_11target_archE1030ELNS1_3gpuE2ELNS1_3repE0EEENS1_30default_config_static_selectorELNS0_4arch9wavefront6targetE0EEEvSK_,@function
_ZN7rocprim17ROCPRIM_400000_NS6detail17trampoline_kernelINS0_14default_configENS1_36segmented_radix_sort_config_selectorIilEEZNS1_25segmented_radix_sort_implIS3_Lb0EPKiPiPKlPlN2at6native12_GLOBAL__N_18offset_tEEE10hipError_tPvRmT1_PNSt15iterator_traitsISK_E10value_typeET2_T3_PNSL_ISQ_E10value_typeET4_jRbjT5_SW_jjP12ihipStream_tbEUlT_E2_NS1_11comp_targetILNS1_3genE8ELNS1_11target_archE1030ELNS1_3gpuE2ELNS1_3repE0EEENS1_30default_config_static_selectorELNS0_4arch9wavefront6targetE0EEEvSK_: ; @_ZN7rocprim17ROCPRIM_400000_NS6detail17trampoline_kernelINS0_14default_configENS1_36segmented_radix_sort_config_selectorIilEEZNS1_25segmented_radix_sort_implIS3_Lb0EPKiPiPKlPlN2at6native12_GLOBAL__N_18offset_tEEE10hipError_tPvRmT1_PNSt15iterator_traitsISK_E10value_typeET2_T3_PNSL_ISQ_E10value_typeET4_jRbjT5_SW_jjP12ihipStream_tbEUlT_E2_NS1_11comp_targetILNS1_3genE8ELNS1_11target_archE1030ELNS1_3gpuE2ELNS1_3repE0EEENS1_30default_config_static_selectorELNS0_4arch9wavefront6targetE0EEEvSK_
; %bb.0:
	.section	.rodata,"a",@progbits
	.p2align	6, 0x0
	.amdhsa_kernel _ZN7rocprim17ROCPRIM_400000_NS6detail17trampoline_kernelINS0_14default_configENS1_36segmented_radix_sort_config_selectorIilEEZNS1_25segmented_radix_sort_implIS3_Lb0EPKiPiPKlPlN2at6native12_GLOBAL__N_18offset_tEEE10hipError_tPvRmT1_PNSt15iterator_traitsISK_E10value_typeET2_T3_PNSL_ISQ_E10value_typeET4_jRbjT5_SW_jjP12ihipStream_tbEUlT_E2_NS1_11comp_targetILNS1_3genE8ELNS1_11target_archE1030ELNS1_3gpuE2ELNS1_3repE0EEENS1_30default_config_static_selectorELNS0_4arch9wavefront6targetE0EEEvSK_
		.amdhsa_group_segment_fixed_size 0
		.amdhsa_private_segment_fixed_size 0
		.amdhsa_kernarg_size 80
		.amdhsa_user_sgpr_count 2
		.amdhsa_user_sgpr_dispatch_ptr 0
		.amdhsa_user_sgpr_queue_ptr 0
		.amdhsa_user_sgpr_kernarg_segment_ptr 1
		.amdhsa_user_sgpr_dispatch_id 0
		.amdhsa_user_sgpr_kernarg_preload_length 0
		.amdhsa_user_sgpr_kernarg_preload_offset 0
		.amdhsa_user_sgpr_private_segment_size 0
		.amdhsa_wavefront_size32 1
		.amdhsa_uses_dynamic_stack 0
		.amdhsa_enable_private_segment 0
		.amdhsa_system_sgpr_workgroup_id_x 1
		.amdhsa_system_sgpr_workgroup_id_y 0
		.amdhsa_system_sgpr_workgroup_id_z 0
		.amdhsa_system_sgpr_workgroup_info 0
		.amdhsa_system_vgpr_workitem_id 0
		.amdhsa_next_free_vgpr 1
		.amdhsa_next_free_sgpr 1
		.amdhsa_named_barrier_count 0
		.amdhsa_reserve_vcc 0
		.amdhsa_float_round_mode_32 0
		.amdhsa_float_round_mode_16_64 0
		.amdhsa_float_denorm_mode_32 3
		.amdhsa_float_denorm_mode_16_64 3
		.amdhsa_fp16_overflow 0
		.amdhsa_memory_ordered 1
		.amdhsa_forward_progress 1
		.amdhsa_inst_pref_size 0
		.amdhsa_round_robin_scheduling 0
		.amdhsa_exception_fp_ieee_invalid_op 0
		.amdhsa_exception_fp_denorm_src 0
		.amdhsa_exception_fp_ieee_div_zero 0
		.amdhsa_exception_fp_ieee_overflow 0
		.amdhsa_exception_fp_ieee_underflow 0
		.amdhsa_exception_fp_ieee_inexact 0
		.amdhsa_exception_int_div_zero 0
	.end_amdhsa_kernel
	.section	.text._ZN7rocprim17ROCPRIM_400000_NS6detail17trampoline_kernelINS0_14default_configENS1_36segmented_radix_sort_config_selectorIilEEZNS1_25segmented_radix_sort_implIS3_Lb0EPKiPiPKlPlN2at6native12_GLOBAL__N_18offset_tEEE10hipError_tPvRmT1_PNSt15iterator_traitsISK_E10value_typeET2_T3_PNSL_ISQ_E10value_typeET4_jRbjT5_SW_jjP12ihipStream_tbEUlT_E2_NS1_11comp_targetILNS1_3genE8ELNS1_11target_archE1030ELNS1_3gpuE2ELNS1_3repE0EEENS1_30default_config_static_selectorELNS0_4arch9wavefront6targetE0EEEvSK_,"axG",@progbits,_ZN7rocprim17ROCPRIM_400000_NS6detail17trampoline_kernelINS0_14default_configENS1_36segmented_radix_sort_config_selectorIilEEZNS1_25segmented_radix_sort_implIS3_Lb0EPKiPiPKlPlN2at6native12_GLOBAL__N_18offset_tEEE10hipError_tPvRmT1_PNSt15iterator_traitsISK_E10value_typeET2_T3_PNSL_ISQ_E10value_typeET4_jRbjT5_SW_jjP12ihipStream_tbEUlT_E2_NS1_11comp_targetILNS1_3genE8ELNS1_11target_archE1030ELNS1_3gpuE2ELNS1_3repE0EEENS1_30default_config_static_selectorELNS0_4arch9wavefront6targetE0EEEvSK_,comdat
.Lfunc_end634:
	.size	_ZN7rocprim17ROCPRIM_400000_NS6detail17trampoline_kernelINS0_14default_configENS1_36segmented_radix_sort_config_selectorIilEEZNS1_25segmented_radix_sort_implIS3_Lb0EPKiPiPKlPlN2at6native12_GLOBAL__N_18offset_tEEE10hipError_tPvRmT1_PNSt15iterator_traitsISK_E10value_typeET2_T3_PNSL_ISQ_E10value_typeET4_jRbjT5_SW_jjP12ihipStream_tbEUlT_E2_NS1_11comp_targetILNS1_3genE8ELNS1_11target_archE1030ELNS1_3gpuE2ELNS1_3repE0EEENS1_30default_config_static_selectorELNS0_4arch9wavefront6targetE0EEEvSK_, .Lfunc_end634-_ZN7rocprim17ROCPRIM_400000_NS6detail17trampoline_kernelINS0_14default_configENS1_36segmented_radix_sort_config_selectorIilEEZNS1_25segmented_radix_sort_implIS3_Lb0EPKiPiPKlPlN2at6native12_GLOBAL__N_18offset_tEEE10hipError_tPvRmT1_PNSt15iterator_traitsISK_E10value_typeET2_T3_PNSL_ISQ_E10value_typeET4_jRbjT5_SW_jjP12ihipStream_tbEUlT_E2_NS1_11comp_targetILNS1_3genE8ELNS1_11target_archE1030ELNS1_3gpuE2ELNS1_3repE0EEENS1_30default_config_static_selectorELNS0_4arch9wavefront6targetE0EEEvSK_
                                        ; -- End function
	.set _ZN7rocprim17ROCPRIM_400000_NS6detail17trampoline_kernelINS0_14default_configENS1_36segmented_radix_sort_config_selectorIilEEZNS1_25segmented_radix_sort_implIS3_Lb0EPKiPiPKlPlN2at6native12_GLOBAL__N_18offset_tEEE10hipError_tPvRmT1_PNSt15iterator_traitsISK_E10value_typeET2_T3_PNSL_ISQ_E10value_typeET4_jRbjT5_SW_jjP12ihipStream_tbEUlT_E2_NS1_11comp_targetILNS1_3genE8ELNS1_11target_archE1030ELNS1_3gpuE2ELNS1_3repE0EEENS1_30default_config_static_selectorELNS0_4arch9wavefront6targetE0EEEvSK_.num_vgpr, 0
	.set _ZN7rocprim17ROCPRIM_400000_NS6detail17trampoline_kernelINS0_14default_configENS1_36segmented_radix_sort_config_selectorIilEEZNS1_25segmented_radix_sort_implIS3_Lb0EPKiPiPKlPlN2at6native12_GLOBAL__N_18offset_tEEE10hipError_tPvRmT1_PNSt15iterator_traitsISK_E10value_typeET2_T3_PNSL_ISQ_E10value_typeET4_jRbjT5_SW_jjP12ihipStream_tbEUlT_E2_NS1_11comp_targetILNS1_3genE8ELNS1_11target_archE1030ELNS1_3gpuE2ELNS1_3repE0EEENS1_30default_config_static_selectorELNS0_4arch9wavefront6targetE0EEEvSK_.num_agpr, 0
	.set _ZN7rocprim17ROCPRIM_400000_NS6detail17trampoline_kernelINS0_14default_configENS1_36segmented_radix_sort_config_selectorIilEEZNS1_25segmented_radix_sort_implIS3_Lb0EPKiPiPKlPlN2at6native12_GLOBAL__N_18offset_tEEE10hipError_tPvRmT1_PNSt15iterator_traitsISK_E10value_typeET2_T3_PNSL_ISQ_E10value_typeET4_jRbjT5_SW_jjP12ihipStream_tbEUlT_E2_NS1_11comp_targetILNS1_3genE8ELNS1_11target_archE1030ELNS1_3gpuE2ELNS1_3repE0EEENS1_30default_config_static_selectorELNS0_4arch9wavefront6targetE0EEEvSK_.numbered_sgpr, 0
	.set _ZN7rocprim17ROCPRIM_400000_NS6detail17trampoline_kernelINS0_14default_configENS1_36segmented_radix_sort_config_selectorIilEEZNS1_25segmented_radix_sort_implIS3_Lb0EPKiPiPKlPlN2at6native12_GLOBAL__N_18offset_tEEE10hipError_tPvRmT1_PNSt15iterator_traitsISK_E10value_typeET2_T3_PNSL_ISQ_E10value_typeET4_jRbjT5_SW_jjP12ihipStream_tbEUlT_E2_NS1_11comp_targetILNS1_3genE8ELNS1_11target_archE1030ELNS1_3gpuE2ELNS1_3repE0EEENS1_30default_config_static_selectorELNS0_4arch9wavefront6targetE0EEEvSK_.num_named_barrier, 0
	.set _ZN7rocprim17ROCPRIM_400000_NS6detail17trampoline_kernelINS0_14default_configENS1_36segmented_radix_sort_config_selectorIilEEZNS1_25segmented_radix_sort_implIS3_Lb0EPKiPiPKlPlN2at6native12_GLOBAL__N_18offset_tEEE10hipError_tPvRmT1_PNSt15iterator_traitsISK_E10value_typeET2_T3_PNSL_ISQ_E10value_typeET4_jRbjT5_SW_jjP12ihipStream_tbEUlT_E2_NS1_11comp_targetILNS1_3genE8ELNS1_11target_archE1030ELNS1_3gpuE2ELNS1_3repE0EEENS1_30default_config_static_selectorELNS0_4arch9wavefront6targetE0EEEvSK_.private_seg_size, 0
	.set _ZN7rocprim17ROCPRIM_400000_NS6detail17trampoline_kernelINS0_14default_configENS1_36segmented_radix_sort_config_selectorIilEEZNS1_25segmented_radix_sort_implIS3_Lb0EPKiPiPKlPlN2at6native12_GLOBAL__N_18offset_tEEE10hipError_tPvRmT1_PNSt15iterator_traitsISK_E10value_typeET2_T3_PNSL_ISQ_E10value_typeET4_jRbjT5_SW_jjP12ihipStream_tbEUlT_E2_NS1_11comp_targetILNS1_3genE8ELNS1_11target_archE1030ELNS1_3gpuE2ELNS1_3repE0EEENS1_30default_config_static_selectorELNS0_4arch9wavefront6targetE0EEEvSK_.uses_vcc, 0
	.set _ZN7rocprim17ROCPRIM_400000_NS6detail17trampoline_kernelINS0_14default_configENS1_36segmented_radix_sort_config_selectorIilEEZNS1_25segmented_radix_sort_implIS3_Lb0EPKiPiPKlPlN2at6native12_GLOBAL__N_18offset_tEEE10hipError_tPvRmT1_PNSt15iterator_traitsISK_E10value_typeET2_T3_PNSL_ISQ_E10value_typeET4_jRbjT5_SW_jjP12ihipStream_tbEUlT_E2_NS1_11comp_targetILNS1_3genE8ELNS1_11target_archE1030ELNS1_3gpuE2ELNS1_3repE0EEENS1_30default_config_static_selectorELNS0_4arch9wavefront6targetE0EEEvSK_.uses_flat_scratch, 0
	.set _ZN7rocprim17ROCPRIM_400000_NS6detail17trampoline_kernelINS0_14default_configENS1_36segmented_radix_sort_config_selectorIilEEZNS1_25segmented_radix_sort_implIS3_Lb0EPKiPiPKlPlN2at6native12_GLOBAL__N_18offset_tEEE10hipError_tPvRmT1_PNSt15iterator_traitsISK_E10value_typeET2_T3_PNSL_ISQ_E10value_typeET4_jRbjT5_SW_jjP12ihipStream_tbEUlT_E2_NS1_11comp_targetILNS1_3genE8ELNS1_11target_archE1030ELNS1_3gpuE2ELNS1_3repE0EEENS1_30default_config_static_selectorELNS0_4arch9wavefront6targetE0EEEvSK_.has_dyn_sized_stack, 0
	.set _ZN7rocprim17ROCPRIM_400000_NS6detail17trampoline_kernelINS0_14default_configENS1_36segmented_radix_sort_config_selectorIilEEZNS1_25segmented_radix_sort_implIS3_Lb0EPKiPiPKlPlN2at6native12_GLOBAL__N_18offset_tEEE10hipError_tPvRmT1_PNSt15iterator_traitsISK_E10value_typeET2_T3_PNSL_ISQ_E10value_typeET4_jRbjT5_SW_jjP12ihipStream_tbEUlT_E2_NS1_11comp_targetILNS1_3genE8ELNS1_11target_archE1030ELNS1_3gpuE2ELNS1_3repE0EEENS1_30default_config_static_selectorELNS0_4arch9wavefront6targetE0EEEvSK_.has_recursion, 0
	.set _ZN7rocprim17ROCPRIM_400000_NS6detail17trampoline_kernelINS0_14default_configENS1_36segmented_radix_sort_config_selectorIilEEZNS1_25segmented_radix_sort_implIS3_Lb0EPKiPiPKlPlN2at6native12_GLOBAL__N_18offset_tEEE10hipError_tPvRmT1_PNSt15iterator_traitsISK_E10value_typeET2_T3_PNSL_ISQ_E10value_typeET4_jRbjT5_SW_jjP12ihipStream_tbEUlT_E2_NS1_11comp_targetILNS1_3genE8ELNS1_11target_archE1030ELNS1_3gpuE2ELNS1_3repE0EEENS1_30default_config_static_selectorELNS0_4arch9wavefront6targetE0EEEvSK_.has_indirect_call, 0
	.section	.AMDGPU.csdata,"",@progbits
; Kernel info:
; codeLenInByte = 0
; TotalNumSgprs: 0
; NumVgprs: 0
; ScratchSize: 0
; MemoryBound: 0
; FloatMode: 240
; IeeeMode: 1
; LDSByteSize: 0 bytes/workgroup (compile time only)
; SGPRBlocks: 0
; VGPRBlocks: 0
; NumSGPRsForWavesPerEU: 1
; NumVGPRsForWavesPerEU: 1
; NamedBarCnt: 0
; Occupancy: 16
; WaveLimiterHint : 0
; COMPUTE_PGM_RSRC2:SCRATCH_EN: 0
; COMPUTE_PGM_RSRC2:USER_SGPR: 2
; COMPUTE_PGM_RSRC2:TRAP_HANDLER: 0
; COMPUTE_PGM_RSRC2:TGID_X_EN: 1
; COMPUTE_PGM_RSRC2:TGID_Y_EN: 0
; COMPUTE_PGM_RSRC2:TGID_Z_EN: 0
; COMPUTE_PGM_RSRC2:TIDIG_COMP_CNT: 0
	.section	.text._ZN2at6native12_GLOBAL__N_123sort_postprocess_kernelIlEEvPKT_PS3_PlPK15HIP_vector_typeIiLj2EEii,"axG",@progbits,_ZN2at6native12_GLOBAL__N_123sort_postprocess_kernelIlEEvPKT_PS3_PlPK15HIP_vector_typeIiLj2EEii,comdat
	.globl	_ZN2at6native12_GLOBAL__N_123sort_postprocess_kernelIlEEvPKT_PS3_PlPK15HIP_vector_typeIiLj2EEii ; -- Begin function _ZN2at6native12_GLOBAL__N_123sort_postprocess_kernelIlEEvPKT_PS3_PlPK15HIP_vector_typeIiLj2EEii
	.p2align	8
	.type	_ZN2at6native12_GLOBAL__N_123sort_postprocess_kernelIlEEvPKT_PS3_PlPK15HIP_vector_typeIiLj2EEii,@function
_ZN2at6native12_GLOBAL__N_123sort_postprocess_kernelIlEEvPKT_PS3_PlPK15HIP_vector_typeIiLj2EEii: ; @_ZN2at6native12_GLOBAL__N_123sort_postprocess_kernelIlEEvPKT_PS3_PlPK15HIP_vector_typeIiLj2EEii
; %bb.0:
	s_clause 0x1
	s_load_b32 s2, s[0:1], 0x34
	s_load_b64 s[4:5], s[0:1], 0x20
	s_bfe_u32 s7, ttmp6, 0x4000c
	s_and_b32 s6, ttmp6, 15
	s_add_co_i32 s7, s7, 1
	s_getreg_b32 s8, hwreg(HW_REG_IB_STS2, 6, 4)
	s_mul_i32 s7, ttmp9, s7
	s_mov_b32 s3, 0
	s_add_co_i32 s6, s6, s7
	s_cmp_eq_u32 s8, 0
	v_mov_b32_e32 v1, 0
	s_mov_b32 s19, s3
	s_cselect_b32 s18, ttmp9, s6
	s_mov_b32 s17, s3
	s_wait_kmcnt 0x0
	s_and_b32 s16, s2, 0xffff
	s_mul_i32 s14, s5, s4
	s_mul_u64 s[12:13], s[16:17], s[18:19]
	s_ashr_i32 s15, s14, 31
	v_add_nc_u64_e32 v[2:3], s[12:13], v[0:1]
	s_mov_b32 s2, exec_lo
	s_delay_alu instid0(VALU_DEP_1)
	v_cmpx_gt_i64_e64 s[14:15], v[2:3]
	s_cbranch_execz .LBB635_3
; %bb.1:
	s_abs_i32 s17, s5
	s_add_nc_u64 s[20:21], s[0:1], 40
	s_cvt_f32_u32 s2, s17
	s_sub_co_i32 s19, 0, s17
	s_mul_i32 s18, s18, s16
	s_delay_alu instid0(SALU_CYCLE_1)
	v_rcp_iflag_f32_e32 v2, s2
	s_load_b32 s2, s[20:21], 0x0
	s_load_b256 s[4:11], s[0:1], 0x0
	s_wait_xcnt 0x0
	s_mov_b32 s1, s3
	v_nop
	s_delay_alu instid0(TRANS32_DEP_1) | instskip(SKIP_2) | instid1(SALU_CYCLE_3)
	v_readfirstlane_b32 s0, v2
	v_mov_b64_e32 v[2:3], v[0:1]
	s_mul_f32 s0, s0, 0x4f7ffffe
	s_cvt_u32_f32 s0, s0
	s_wait_kmcnt 0x0
	s_mul_i32 s2, s2, s16
	s_delay_alu instid0(SALU_CYCLE_1) | instskip(SKIP_2) | instid1(SALU_CYCLE_1)
	s_mul_i32 s19, s19, s0
	s_mov_b32 s16, s3
	s_mul_hi_u32 s19, s0, s19
	s_add_co_i32 s0, s0, s19
.LBB635_2:                              ; =>This Inner Loop Header: Depth=1
	v_add_nc_u32_e32 v6, s18, v2
	v_add_nc_u64_e32 v[2:3], s[2:3], v[2:3]
	s_delay_alu instid0(VALU_DEP_2) | instskip(NEXT) | instid1(VALU_DEP_1)
	v_sub_nc_u32_e32 v0, 0, v6
	v_max_i32_e32 v0, v6, v0
	s_delay_alu instid0(VALU_DEP_1) | instskip(NEXT) | instid1(VALU_DEP_1)
	v_mul_u64_e32 v[4:5], s[0:1], v[0:1]
	v_mul_lo_u32 v4, v5, s17
	s_delay_alu instid0(VALU_DEP_1) | instskip(NEXT) | instid1(VALU_DEP_1)
	v_dual_sub_nc_u32 v0, v0, v4 :: v_dual_ashrrev_i32 v7, 31, v6
	v_subrev_nc_u32_e32 v4, s17, v0
	v_cmp_le_u32_e32 vcc_lo, s17, v0
	s_delay_alu instid0(VALU_DEP_2) | instskip(NEXT) | instid1(VALU_DEP_1)
	v_cndmask_b32_e32 v0, v0, v4, vcc_lo
	v_subrev_nc_u32_e32 v4, s17, v0
	v_cmp_le_u32_e32 vcc_lo, s17, v0
	s_delay_alu instid0(VALU_DEP_2) | instskip(NEXT) | instid1(VALU_DEP_1)
	v_dual_cndmask_b32 v0, v0, v4, vcc_lo :: v_dual_add_nc_u32 v4, v6, v7
	v_xor_b32_e32 v0, v0, v7
	s_delay_alu instid0(VALU_DEP_1) | instskip(NEXT) | instid1(VALU_DEP_1)
	v_sub_nc_u32_e32 v4, v4, v0
	v_dual_sub_nc_u32 v6, v0, v7 :: v_dual_ashrrev_i32 v5, 31, v4
	s_delay_alu instid0(VALU_DEP_1) | instskip(NEXT) | instid1(VALU_DEP_2)
	v_ashrrev_i32_e32 v7, 31, v6
	v_lshlrev_b64_e32 v[4:5], 3, v[4:5]
	s_delay_alu instid0(VALU_DEP_2) | instskip(NEXT) | instid1(VALU_DEP_2)
	v_lshlrev_b64_e32 v[6:7], 3, v[6:7]
	v_add_nc_u64_e32 v[8:9], s[10:11], v[4:5]
	v_add_nc_u64_e32 v[10:11], s[8:9], v[4:5]
	;; [unrolled: 1-line block ×4, first 2 shown]
	s_delay_alu instid0(VALU_DEP_4) | instskip(NEXT) | instid1(VALU_DEP_4)
	v_add_nc_u64_e32 v[8:9], v[8:9], v[6:7]
	v_add_nc_u64_e32 v[10:11], v[10:11], v[6:7]
	s_delay_alu instid0(VALU_DEP_3) | instskip(SKIP_4) | instid1(VALU_DEP_1)
	v_add_nc_u64_e32 v[4:5], v[4:5], v[6:7]
	global_load_b32 v8, v[8:9], off offset:4
	s_wait_loadcnt 0x0
	s_wait_xcnt 0x0
	v_ashrrev_i32_e32 v9, 31, v8
	v_lshl_add_u64 v[12:13], v[8:9], 3, v[12:13]
	global_store_b64 v[10:11], v[8:9], off
	s_wait_xcnt 0x0
	v_add_nc_u64_e32 v[10:11], s[12:13], v[2:3]
	global_load_b64 v[8:9], v[12:13], off
	v_cmp_le_i64_e32 vcc_lo, s[14:15], v[10:11]
	s_or_b32 s16, vcc_lo, s16
	s_wait_loadcnt 0x0
	global_store_b64 v[4:5], v[8:9], off
	s_wait_xcnt 0x0
	s_and_not1_b32 exec_lo, exec_lo, s16
	s_cbranch_execnz .LBB635_2
.LBB635_3:
	s_endpgm
	.section	.rodata,"a",@progbits
	.p2align	6, 0x0
	.amdhsa_kernel _ZN2at6native12_GLOBAL__N_123sort_postprocess_kernelIlEEvPKT_PS3_PlPK15HIP_vector_typeIiLj2EEii
		.amdhsa_group_segment_fixed_size 0
		.amdhsa_private_segment_fixed_size 0
		.amdhsa_kernarg_size 296
		.amdhsa_user_sgpr_count 2
		.amdhsa_user_sgpr_dispatch_ptr 0
		.amdhsa_user_sgpr_queue_ptr 0
		.amdhsa_user_sgpr_kernarg_segment_ptr 1
		.amdhsa_user_sgpr_dispatch_id 0
		.amdhsa_user_sgpr_kernarg_preload_length 0
		.amdhsa_user_sgpr_kernarg_preload_offset 0
		.amdhsa_user_sgpr_private_segment_size 0
		.amdhsa_wavefront_size32 1
		.amdhsa_uses_dynamic_stack 0
		.amdhsa_enable_private_segment 0
		.amdhsa_system_sgpr_workgroup_id_x 1
		.amdhsa_system_sgpr_workgroup_id_y 0
		.amdhsa_system_sgpr_workgroup_id_z 0
		.amdhsa_system_sgpr_workgroup_info 0
		.amdhsa_system_vgpr_workitem_id 0
		.amdhsa_next_free_vgpr 14
		.amdhsa_next_free_sgpr 22
		.amdhsa_named_barrier_count 0
		.amdhsa_reserve_vcc 1
		.amdhsa_float_round_mode_32 0
		.amdhsa_float_round_mode_16_64 0
		.amdhsa_float_denorm_mode_32 3
		.amdhsa_float_denorm_mode_16_64 3
		.amdhsa_fp16_overflow 0
		.amdhsa_memory_ordered 1
		.amdhsa_forward_progress 1
		.amdhsa_inst_pref_size 4
		.amdhsa_round_robin_scheduling 0
		.amdhsa_exception_fp_ieee_invalid_op 0
		.amdhsa_exception_fp_denorm_src 0
		.amdhsa_exception_fp_ieee_div_zero 0
		.amdhsa_exception_fp_ieee_overflow 0
		.amdhsa_exception_fp_ieee_underflow 0
		.amdhsa_exception_fp_ieee_inexact 0
		.amdhsa_exception_int_div_zero 0
	.end_amdhsa_kernel
	.section	.text._ZN2at6native12_GLOBAL__N_123sort_postprocess_kernelIlEEvPKT_PS3_PlPK15HIP_vector_typeIiLj2EEii,"axG",@progbits,_ZN2at6native12_GLOBAL__N_123sort_postprocess_kernelIlEEvPKT_PS3_PlPK15HIP_vector_typeIiLj2EEii,comdat
.Lfunc_end635:
	.size	_ZN2at6native12_GLOBAL__N_123sort_postprocess_kernelIlEEvPKT_PS3_PlPK15HIP_vector_typeIiLj2EEii, .Lfunc_end635-_ZN2at6native12_GLOBAL__N_123sort_postprocess_kernelIlEEvPKT_PS3_PlPK15HIP_vector_typeIiLj2EEii
                                        ; -- End function
	.set _ZN2at6native12_GLOBAL__N_123sort_postprocess_kernelIlEEvPKT_PS3_PlPK15HIP_vector_typeIiLj2EEii.num_vgpr, 14
	.set _ZN2at6native12_GLOBAL__N_123sort_postprocess_kernelIlEEvPKT_PS3_PlPK15HIP_vector_typeIiLj2EEii.num_agpr, 0
	.set _ZN2at6native12_GLOBAL__N_123sort_postprocess_kernelIlEEvPKT_PS3_PlPK15HIP_vector_typeIiLj2EEii.numbered_sgpr, 22
	.set _ZN2at6native12_GLOBAL__N_123sort_postprocess_kernelIlEEvPKT_PS3_PlPK15HIP_vector_typeIiLj2EEii.num_named_barrier, 0
	.set _ZN2at6native12_GLOBAL__N_123sort_postprocess_kernelIlEEvPKT_PS3_PlPK15HIP_vector_typeIiLj2EEii.private_seg_size, 0
	.set _ZN2at6native12_GLOBAL__N_123sort_postprocess_kernelIlEEvPKT_PS3_PlPK15HIP_vector_typeIiLj2EEii.uses_vcc, 1
	.set _ZN2at6native12_GLOBAL__N_123sort_postprocess_kernelIlEEvPKT_PS3_PlPK15HIP_vector_typeIiLj2EEii.uses_flat_scratch, 0
	.set _ZN2at6native12_GLOBAL__N_123sort_postprocess_kernelIlEEvPKT_PS3_PlPK15HIP_vector_typeIiLj2EEii.has_dyn_sized_stack, 0
	.set _ZN2at6native12_GLOBAL__N_123sort_postprocess_kernelIlEEvPKT_PS3_PlPK15HIP_vector_typeIiLj2EEii.has_recursion, 0
	.set _ZN2at6native12_GLOBAL__N_123sort_postprocess_kernelIlEEvPKT_PS3_PlPK15HIP_vector_typeIiLj2EEii.has_indirect_call, 0
	.section	.AMDGPU.csdata,"",@progbits
; Kernel info:
; codeLenInByte = 504
; TotalNumSgprs: 24
; NumVgprs: 14
; ScratchSize: 0
; MemoryBound: 0
; FloatMode: 240
; IeeeMode: 1
; LDSByteSize: 0 bytes/workgroup (compile time only)
; SGPRBlocks: 0
; VGPRBlocks: 0
; NumSGPRsForWavesPerEU: 24
; NumVGPRsForWavesPerEU: 14
; NamedBarCnt: 0
; Occupancy: 16
; WaveLimiterHint : 1
; COMPUTE_PGM_RSRC2:SCRATCH_EN: 0
; COMPUTE_PGM_RSRC2:USER_SGPR: 2
; COMPUTE_PGM_RSRC2:TRAP_HANDLER: 0
; COMPUTE_PGM_RSRC2:TGID_X_EN: 1
; COMPUTE_PGM_RSRC2:TGID_Y_EN: 0
; COMPUTE_PGM_RSRC2:TGID_Z_EN: 0
; COMPUTE_PGM_RSRC2:TIDIG_COMP_CNT: 0
	.section	.text._ZN7rocprim17ROCPRIM_400000_NS6detail17trampoline_kernelINS0_13select_configILj256ELj13ELNS0_17block_load_methodE3ELS4_3ELS4_3ELNS0_20block_scan_algorithmE0ELj4294967295EEENS1_25partition_config_selectorILNS1_17partition_subalgoE4EjNS0_10empty_typeEbEEZZNS1_14partition_implILS8_4ELb0ES6_15HIP_vector_typeIjLj2EENS0_17counting_iteratorIjlEEPS9_SG_NS0_5tupleIJPjSI_NS0_16reverse_iteratorISI_EEEEENSH_IJSG_SG_SG_EEES9_SI_JZNS1_25segmented_radix_sort_implINS0_14default_configELb1EPKlPlSQ_SR_N2at6native12_GLOBAL__N_18offset_tEEE10hipError_tPvRmT1_PNSt15iterator_traitsISZ_E10value_typeET2_T3_PNS10_IS15_E10value_typeET4_jRbjT5_S1B_jjP12ihipStream_tbEUljE_ZNSN_ISO_Lb1ESQ_SR_SQ_SR_SV_EESW_SX_SY_SZ_S13_S14_S15_S18_S19_jS1A_jS1B_S1B_jjS1D_bEUljE0_EEESW_SX_SY_S15_S19_S1B_T6_T7_T9_mT8_S1D_bDpT10_ENKUlT_T0_E_clISt17integral_constantIbLb0EES1R_EEDaS1M_S1N_EUlS1M_E_NS1_11comp_targetILNS1_3genE0ELNS1_11target_archE4294967295ELNS1_3gpuE0ELNS1_3repE0EEENS1_30default_config_static_selectorELNS0_4arch9wavefront6targetE0EEEvSZ_,"axG",@progbits,_ZN7rocprim17ROCPRIM_400000_NS6detail17trampoline_kernelINS0_13select_configILj256ELj13ELNS0_17block_load_methodE3ELS4_3ELS4_3ELNS0_20block_scan_algorithmE0ELj4294967295EEENS1_25partition_config_selectorILNS1_17partition_subalgoE4EjNS0_10empty_typeEbEEZZNS1_14partition_implILS8_4ELb0ES6_15HIP_vector_typeIjLj2EENS0_17counting_iteratorIjlEEPS9_SG_NS0_5tupleIJPjSI_NS0_16reverse_iteratorISI_EEEEENSH_IJSG_SG_SG_EEES9_SI_JZNS1_25segmented_radix_sort_implINS0_14default_configELb1EPKlPlSQ_SR_N2at6native12_GLOBAL__N_18offset_tEEE10hipError_tPvRmT1_PNSt15iterator_traitsISZ_E10value_typeET2_T3_PNS10_IS15_E10value_typeET4_jRbjT5_S1B_jjP12ihipStream_tbEUljE_ZNSN_ISO_Lb1ESQ_SR_SQ_SR_SV_EESW_SX_SY_SZ_S13_S14_S15_S18_S19_jS1A_jS1B_S1B_jjS1D_bEUljE0_EEESW_SX_SY_S15_S19_S1B_T6_T7_T9_mT8_S1D_bDpT10_ENKUlT_T0_E_clISt17integral_constantIbLb0EES1R_EEDaS1M_S1N_EUlS1M_E_NS1_11comp_targetILNS1_3genE0ELNS1_11target_archE4294967295ELNS1_3gpuE0ELNS1_3repE0EEENS1_30default_config_static_selectorELNS0_4arch9wavefront6targetE0EEEvSZ_,comdat
	.globl	_ZN7rocprim17ROCPRIM_400000_NS6detail17trampoline_kernelINS0_13select_configILj256ELj13ELNS0_17block_load_methodE3ELS4_3ELS4_3ELNS0_20block_scan_algorithmE0ELj4294967295EEENS1_25partition_config_selectorILNS1_17partition_subalgoE4EjNS0_10empty_typeEbEEZZNS1_14partition_implILS8_4ELb0ES6_15HIP_vector_typeIjLj2EENS0_17counting_iteratorIjlEEPS9_SG_NS0_5tupleIJPjSI_NS0_16reverse_iteratorISI_EEEEENSH_IJSG_SG_SG_EEES9_SI_JZNS1_25segmented_radix_sort_implINS0_14default_configELb1EPKlPlSQ_SR_N2at6native12_GLOBAL__N_18offset_tEEE10hipError_tPvRmT1_PNSt15iterator_traitsISZ_E10value_typeET2_T3_PNS10_IS15_E10value_typeET4_jRbjT5_S1B_jjP12ihipStream_tbEUljE_ZNSN_ISO_Lb1ESQ_SR_SQ_SR_SV_EESW_SX_SY_SZ_S13_S14_S15_S18_S19_jS1A_jS1B_S1B_jjS1D_bEUljE0_EEESW_SX_SY_S15_S19_S1B_T6_T7_T9_mT8_S1D_bDpT10_ENKUlT_T0_E_clISt17integral_constantIbLb0EES1R_EEDaS1M_S1N_EUlS1M_E_NS1_11comp_targetILNS1_3genE0ELNS1_11target_archE4294967295ELNS1_3gpuE0ELNS1_3repE0EEENS1_30default_config_static_selectorELNS0_4arch9wavefront6targetE0EEEvSZ_ ; -- Begin function _ZN7rocprim17ROCPRIM_400000_NS6detail17trampoline_kernelINS0_13select_configILj256ELj13ELNS0_17block_load_methodE3ELS4_3ELS4_3ELNS0_20block_scan_algorithmE0ELj4294967295EEENS1_25partition_config_selectorILNS1_17partition_subalgoE4EjNS0_10empty_typeEbEEZZNS1_14partition_implILS8_4ELb0ES6_15HIP_vector_typeIjLj2EENS0_17counting_iteratorIjlEEPS9_SG_NS0_5tupleIJPjSI_NS0_16reverse_iteratorISI_EEEEENSH_IJSG_SG_SG_EEES9_SI_JZNS1_25segmented_radix_sort_implINS0_14default_configELb1EPKlPlSQ_SR_N2at6native12_GLOBAL__N_18offset_tEEE10hipError_tPvRmT1_PNSt15iterator_traitsISZ_E10value_typeET2_T3_PNS10_IS15_E10value_typeET4_jRbjT5_S1B_jjP12ihipStream_tbEUljE_ZNSN_ISO_Lb1ESQ_SR_SQ_SR_SV_EESW_SX_SY_SZ_S13_S14_S15_S18_S19_jS1A_jS1B_S1B_jjS1D_bEUljE0_EEESW_SX_SY_S15_S19_S1B_T6_T7_T9_mT8_S1D_bDpT10_ENKUlT_T0_E_clISt17integral_constantIbLb0EES1R_EEDaS1M_S1N_EUlS1M_E_NS1_11comp_targetILNS1_3genE0ELNS1_11target_archE4294967295ELNS1_3gpuE0ELNS1_3repE0EEENS1_30default_config_static_selectorELNS0_4arch9wavefront6targetE0EEEvSZ_
	.p2align	8
	.type	_ZN7rocprim17ROCPRIM_400000_NS6detail17trampoline_kernelINS0_13select_configILj256ELj13ELNS0_17block_load_methodE3ELS4_3ELS4_3ELNS0_20block_scan_algorithmE0ELj4294967295EEENS1_25partition_config_selectorILNS1_17partition_subalgoE4EjNS0_10empty_typeEbEEZZNS1_14partition_implILS8_4ELb0ES6_15HIP_vector_typeIjLj2EENS0_17counting_iteratorIjlEEPS9_SG_NS0_5tupleIJPjSI_NS0_16reverse_iteratorISI_EEEEENSH_IJSG_SG_SG_EEES9_SI_JZNS1_25segmented_radix_sort_implINS0_14default_configELb1EPKlPlSQ_SR_N2at6native12_GLOBAL__N_18offset_tEEE10hipError_tPvRmT1_PNSt15iterator_traitsISZ_E10value_typeET2_T3_PNS10_IS15_E10value_typeET4_jRbjT5_S1B_jjP12ihipStream_tbEUljE_ZNSN_ISO_Lb1ESQ_SR_SQ_SR_SV_EESW_SX_SY_SZ_S13_S14_S15_S18_S19_jS1A_jS1B_S1B_jjS1D_bEUljE0_EEESW_SX_SY_S15_S19_S1B_T6_T7_T9_mT8_S1D_bDpT10_ENKUlT_T0_E_clISt17integral_constantIbLb0EES1R_EEDaS1M_S1N_EUlS1M_E_NS1_11comp_targetILNS1_3genE0ELNS1_11target_archE4294967295ELNS1_3gpuE0ELNS1_3repE0EEENS1_30default_config_static_selectorELNS0_4arch9wavefront6targetE0EEEvSZ_,@function
_ZN7rocprim17ROCPRIM_400000_NS6detail17trampoline_kernelINS0_13select_configILj256ELj13ELNS0_17block_load_methodE3ELS4_3ELS4_3ELNS0_20block_scan_algorithmE0ELj4294967295EEENS1_25partition_config_selectorILNS1_17partition_subalgoE4EjNS0_10empty_typeEbEEZZNS1_14partition_implILS8_4ELb0ES6_15HIP_vector_typeIjLj2EENS0_17counting_iteratorIjlEEPS9_SG_NS0_5tupleIJPjSI_NS0_16reverse_iteratorISI_EEEEENSH_IJSG_SG_SG_EEES9_SI_JZNS1_25segmented_radix_sort_implINS0_14default_configELb1EPKlPlSQ_SR_N2at6native12_GLOBAL__N_18offset_tEEE10hipError_tPvRmT1_PNSt15iterator_traitsISZ_E10value_typeET2_T3_PNS10_IS15_E10value_typeET4_jRbjT5_S1B_jjP12ihipStream_tbEUljE_ZNSN_ISO_Lb1ESQ_SR_SQ_SR_SV_EESW_SX_SY_SZ_S13_S14_S15_S18_S19_jS1A_jS1B_S1B_jjS1D_bEUljE0_EEESW_SX_SY_S15_S19_S1B_T6_T7_T9_mT8_S1D_bDpT10_ENKUlT_T0_E_clISt17integral_constantIbLb0EES1R_EEDaS1M_S1N_EUlS1M_E_NS1_11comp_targetILNS1_3genE0ELNS1_11target_archE4294967295ELNS1_3gpuE0ELNS1_3repE0EEENS1_30default_config_static_selectorELNS0_4arch9wavefront6targetE0EEEvSZ_: ; @_ZN7rocprim17ROCPRIM_400000_NS6detail17trampoline_kernelINS0_13select_configILj256ELj13ELNS0_17block_load_methodE3ELS4_3ELS4_3ELNS0_20block_scan_algorithmE0ELj4294967295EEENS1_25partition_config_selectorILNS1_17partition_subalgoE4EjNS0_10empty_typeEbEEZZNS1_14partition_implILS8_4ELb0ES6_15HIP_vector_typeIjLj2EENS0_17counting_iteratorIjlEEPS9_SG_NS0_5tupleIJPjSI_NS0_16reverse_iteratorISI_EEEEENSH_IJSG_SG_SG_EEES9_SI_JZNS1_25segmented_radix_sort_implINS0_14default_configELb1EPKlPlSQ_SR_N2at6native12_GLOBAL__N_18offset_tEEE10hipError_tPvRmT1_PNSt15iterator_traitsISZ_E10value_typeET2_T3_PNS10_IS15_E10value_typeET4_jRbjT5_S1B_jjP12ihipStream_tbEUljE_ZNSN_ISO_Lb1ESQ_SR_SQ_SR_SV_EESW_SX_SY_SZ_S13_S14_S15_S18_S19_jS1A_jS1B_S1B_jjS1D_bEUljE0_EEESW_SX_SY_S15_S19_S1B_T6_T7_T9_mT8_S1D_bDpT10_ENKUlT_T0_E_clISt17integral_constantIbLb0EES1R_EEDaS1M_S1N_EUlS1M_E_NS1_11comp_targetILNS1_3genE0ELNS1_11target_archE4294967295ELNS1_3gpuE0ELNS1_3repE0EEENS1_30default_config_static_selectorELNS0_4arch9wavefront6targetE0EEEvSZ_
; %bb.0:
	s_clause 0x4
	s_load_b128 s[24:27], s[0:1], 0x58
	s_load_b32 s4, s[0:1], 0x80
	s_load_b64 s[34:35], s[0:1], 0x10
	s_load_b64 s[2:3], s[0:1], 0x68
	s_load_b32 s8, s[0:1], 0x8
	s_bfe_u32 s5, ttmp6, 0x4000c
	s_and_b32 s6, ttmp6, 15
	s_add_co_i32 s5, s5, 1
	s_getreg_b32 s7, hwreg(HW_REG_IB_STS2, 6, 4)
	s_mul_i32 s5, ttmp9, s5
	s_load_b64 s[42:43], s[0:1], 0xa8
	s_add_co_i32 s6, s6, s5
	s_cmp_eq_u32 s7, 0
	s_load_b256 s[16:23], s[0:1], 0x88
	s_cselect_b32 s33, ttmp9, s6
	s_mov_b32 s5, 0
	s_mul_i32 s40, s33, 0xd00
	s_wait_kmcnt 0x0
	s_add_co_i32 s9, s4, -1
	s_mulk_i32 s4, 0xd00
	s_load_b128 s[28:31], s[26:27], 0x0
	s_cmp_eq_u32 s33, s9
	s_add_nc_u64 s[6:7], s[34:35], s[4:5]
	s_cselect_b32 s15, -1, 0
	s_cmp_lg_u32 s33, s9
	v_cmp_gt_u64_e64 s3, s[2:3], s[6:7]
	s_cselect_b32 s5, -1, 0
	s_add_co_i32 s6, s8, s40
	s_delay_alu instid0(SALU_CYCLE_1) | instskip(NEXT) | instid1(SALU_CYCLE_1)
	s_add_co_i32 s6, s6, s34
	v_add_nc_u32_e32 v1, s6, v0
	s_or_b32 s3, s5, s3
	s_mov_b32 s5, -1
	s_and_b32 vcc_lo, exec_lo, s3
	s_delay_alu instid0(VALU_DEP_1)
	v_add_nc_u32_e32 v2, 0x100, v1
	v_add_nc_u32_e32 v3, 0x200, v1
	;; [unrolled: 1-line block ×12, first 2 shown]
	s_cbranch_vccz .LBB636_2
; %bb.1:
	v_lshlrev_b32_e32 v14, 2, v0
	s_mov_b32 s5, 0
	ds_store_2addr_stride64_b32 v14, v1, v2 offset1:4
	ds_store_2addr_stride64_b32 v14, v3, v4 offset0:8 offset1:12
	ds_store_2addr_stride64_b32 v14, v5, v6 offset0:16 offset1:20
	;; [unrolled: 1-line block ×5, first 2 shown]
	ds_store_b32 v14, v13 offset:12288
	s_wait_dscnt 0x0
	s_barrier_signal -1
	s_barrier_wait -1
.LBB636_2:
	s_and_not1_b32 vcc_lo, exec_lo, s5
	s_add_co_i32 s4, s4, s34
	s_cbranch_vccnz .LBB636_4
; %bb.3:
	v_lshlrev_b32_e32 v14, 2, v0
	ds_store_2addr_stride64_b32 v14, v1, v2 offset1:4
	ds_store_2addr_stride64_b32 v14, v3, v4 offset0:8 offset1:12
	ds_store_2addr_stride64_b32 v14, v5, v6 offset0:16 offset1:20
	;; [unrolled: 1-line block ×5, first 2 shown]
	ds_store_b32 v14, v13 offset:12288
	s_wait_dscnt 0x0
	s_barrier_signal -1
	s_barrier_wait -1
.LBB636_4:
	v_mul_u32_u24_e32 v30, 13, v0
	s_load_b128 s[36:39], s[0:1], 0x28
	s_wait_xcnt 0x0
	s_load_b64 s[26:27], s[0:1], 0x38
	v_cndmask_b32_e64 v29, 0, 1, s3
	s_sub_co_i32 s41, s2, s4
	v_lshlrev_b32_e32 v1, 2, v30
	s_and_not1_b32 vcc_lo, exec_lo, s3
	ds_load_b32 v28, v1 offset:48
	ds_load_2addr_b32 v[10:11], v1 offset0:10 offset1:11
	ds_load_2addr_b32 v[12:13], v1 offset0:8 offset1:9
	;; [unrolled: 1-line block ×4, first 2 shown]
	ds_load_2addr_b32 v[20:21], v1 offset1:1
	ds_load_2addr_b32 v[18:19], v1 offset0:2 offset1:3
	s_wait_dscnt 0x0
	s_barrier_signal -1
	s_barrier_wait -1
	s_cbranch_vccnz .LBB636_32
; %bb.5:
	v_dual_add_nc_u32 v1, s17, v20 :: v_dual_add_nc_u32 v2, s19, v20
	s_mov_b32 s45, 0
	s_mov_b32 s44, 0
	s_mov_b32 s3, exec_lo
	s_delay_alu instid0(VALU_DEP_1) | instskip(SKIP_1) | instid1(VALU_DEP_1)
	v_mul_lo_u32 v1, v1, s16
	v_mul_lo_u32 v2, v2, s18
	v_sub_nc_u32_e32 v1, v1, v2
	s_delay_alu instid0(VALU_DEP_1)
	v_cmp_lt_u32_e32 vcc_lo, s20, v1
	v_cmpx_ge_u32_e64 s20, v1
	s_cbranch_execz .LBB636_7
; %bb.6:
	v_dual_add_nc_u32 v1, s22, v20 :: v_dual_add_nc_u32 v2, s42, v20
	s_delay_alu instid0(VALU_DEP_1) | instskip(NEXT) | instid1(VALU_DEP_2)
	v_mul_lo_u32 v1, v1, s21
	v_mul_lo_u32 v2, v2, s23
	s_delay_alu instid0(VALU_DEP_1) | instskip(NEXT) | instid1(VALU_DEP_1)
	v_sub_nc_u32_e32 v1, v1, v2
	v_cmp_lt_u32_e64 s2, s43, v1
	s_and_b32 s44, s2, exec_lo
.LBB636_7:
	s_or_b32 exec_lo, exec_lo, s3
	v_dual_add_nc_u32 v1, s17, v21 :: v_dual_add_nc_u32 v2, s19, v21
	s_mov_b32 s4, exec_lo
	s_delay_alu instid0(VALU_DEP_1) | instskip(NEXT) | instid1(VALU_DEP_2)
	v_mul_lo_u32 v1, v1, s16
	v_mul_lo_u32 v2, v2, s18
	s_delay_alu instid0(VALU_DEP_1) | instskip(NEXT) | instid1(VALU_DEP_1)
	v_sub_nc_u32_e32 v1, v1, v2
	v_cmp_lt_u32_e64 s2, s20, v1
	v_cmpx_ge_u32_e64 s20, v1
	s_cbranch_execz .LBB636_9
; %bb.8:
	v_dual_add_nc_u32 v1, s22, v21 :: v_dual_add_nc_u32 v2, s42, v21
	s_delay_alu instid0(VALU_DEP_1) | instskip(NEXT) | instid1(VALU_DEP_2)
	v_mul_lo_u32 v1, v1, s21
	v_mul_lo_u32 v2, v2, s23
	s_delay_alu instid0(VALU_DEP_1) | instskip(NEXT) | instid1(VALU_DEP_1)
	v_sub_nc_u32_e32 v1, v1, v2
	v_cmp_lt_u32_e64 s3, s43, v1
	s_and_b32 s45, s3, exec_lo
.LBB636_9:
	s_or_b32 exec_lo, exec_lo, s4
	v_dual_add_nc_u32 v1, s17, v18 :: v_dual_add_nc_u32 v2, s19, v18
	s_mov_b32 s47, 0
	s_mov_b32 s46, 0
	s_mov_b32 s5, exec_lo
	s_delay_alu instid0(VALU_DEP_1) | instskip(SKIP_1) | instid1(VALU_DEP_1)
	v_mul_lo_u32 v1, v1, s16
	v_mul_lo_u32 v2, v2, s18
	v_sub_nc_u32_e32 v1, v1, v2
	s_delay_alu instid0(VALU_DEP_1)
	v_cmp_lt_u32_e64 s3, s20, v1
	v_cmpx_ge_u32_e64 s20, v1
	s_cbranch_execz .LBB636_11
; %bb.10:
	v_dual_add_nc_u32 v1, s22, v18 :: v_dual_add_nc_u32 v2, s42, v18
	s_delay_alu instid0(VALU_DEP_1) | instskip(NEXT) | instid1(VALU_DEP_2)
	v_mul_lo_u32 v1, v1, s21
	v_mul_lo_u32 v2, v2, s23
	s_delay_alu instid0(VALU_DEP_1) | instskip(NEXT) | instid1(VALU_DEP_1)
	v_sub_nc_u32_e32 v1, v1, v2
	v_cmp_lt_u32_e64 s4, s43, v1
	s_and_b32 s46, s4, exec_lo
.LBB636_11:
	s_or_b32 exec_lo, exec_lo, s5
	v_dual_add_nc_u32 v1, s17, v19 :: v_dual_add_nc_u32 v2, s19, v19
	s_mov_b32 s6, exec_lo
	s_delay_alu instid0(VALU_DEP_1) | instskip(NEXT) | instid1(VALU_DEP_2)
	v_mul_lo_u32 v1, v1, s16
	v_mul_lo_u32 v2, v2, s18
	s_delay_alu instid0(VALU_DEP_1) | instskip(NEXT) | instid1(VALU_DEP_1)
	v_sub_nc_u32_e32 v1, v1, v2
	v_cmp_lt_u32_e64 s4, s20, v1
	v_cmpx_ge_u32_e64 s20, v1
	s_cbranch_execz .LBB636_13
; %bb.12:
	v_dual_add_nc_u32 v1, s22, v19 :: v_dual_add_nc_u32 v2, s42, v19
	s_delay_alu instid0(VALU_DEP_1) | instskip(NEXT) | instid1(VALU_DEP_2)
	v_mul_lo_u32 v1, v1, s21
	v_mul_lo_u32 v2, v2, s23
	s_delay_alu instid0(VALU_DEP_1) | instskip(NEXT) | instid1(VALU_DEP_1)
	v_sub_nc_u32_e32 v1, v1, v2
	v_cmp_lt_u32_e64 s5, s43, v1
	s_and_b32 s47, s5, exec_lo
.LBB636_13:
	s_or_b32 exec_lo, exec_lo, s6
	v_dual_add_nc_u32 v1, s17, v16 :: v_dual_add_nc_u32 v2, s19, v16
	s_mov_b32 s49, 0
	s_mov_b32 s48, 0
	s_mov_b32 s7, exec_lo
	s_delay_alu instid0(VALU_DEP_1) | instskip(SKIP_1) | instid1(VALU_DEP_1)
	v_mul_lo_u32 v1, v1, s16
	v_mul_lo_u32 v2, v2, s18
	v_sub_nc_u32_e32 v1, v1, v2
	s_delay_alu instid0(VALU_DEP_1)
	v_cmp_lt_u32_e64 s5, s20, v1
	;; [unrolled: 44-line block ×6, first 2 shown]
	v_cmpx_ge_u32_e64 s20, v1
	s_cbranch_execz .LBB636_31
; %bb.30:
	v_dual_add_nc_u32 v1, s22, v28 :: v_dual_add_nc_u32 v2, s42, v28
	s_delay_alu instid0(VALU_DEP_1) | instskip(NEXT) | instid1(VALU_DEP_2)
	v_mul_lo_u32 v1, v1, s21
	v_mul_lo_u32 v2, v2, s23
	s_delay_alu instid0(VALU_DEP_1) | instskip(NEXT) | instid1(VALU_DEP_1)
	v_sub_nc_u32_e32 v1, v1, v2
	v_cmp_lt_u32_e64 s14, s43, v1
	s_and_b32 s57, s14, exec_lo
.LBB636_31:
	s_or_b32 exec_lo, exec_lo, s58
	v_cndmask_b32_e64 v2, 0, 1, s2
	v_cndmask_b32_e64 v4, 0, 1, s4
	v_cndmask_b32_e64 v1, 0, 1, vcc_lo
	v_cndmask_b32_e64 v3, 0, 1, s3
	v_cndmask_b32_e64 v6, 0, 1, s6
	v_lshlrev_b16 v2, 8, v2
	v_lshlrev_b16 v4, 8, v4
	v_cndmask_b32_e64 v8, 0, 1, s8
	v_cndmask_b32_e64 v22, 0, 1, s10
	;; [unrolled: 1-line block ×3, first 2 shown]
	v_or_b32_e32 v1, v1, v2
	v_or_b32_e32 v2, v3, v4
	v_cndmask_b32_e64 v4, 0, 1, s46
	v_cndmask_b32_e64 v5, 0, 1, s5
	;; [unrolled: 1-line block ×4, first 2 shown]
	v_lshlrev_b32_e32 v2, 16, v2
	v_and_b32_e32 v1, 0xffff, v1
	v_cndmask_b32_e64 v33, 0, 1, s50
	v_cndmask_b32_e64 v36, 0, 1, s48
	;; [unrolled: 1-line block ×4, first 2 shown]
	v_or_b32_e32 v31, v1, v2
	v_lshlrev_b16 v1, 8, v6
	v_lshlrev_b16 v2, 8, v8
	v_lshlrev_b16 v6, 8, v22
	v_lshlrev_b16 v8, 8, v25
	v_lshlrev_b16 v4, 8, v4
	v_cndmask_b32_e64 v7, 0, 1, s7
	v_cndmask_b32_e64 v24, 0, 1, s56
	;; [unrolled: 1-line block ×6, first 2 shown]
	v_lshlrev_b16 v22, 8, v39
	v_or_b32_e32 v4, v37, v4
	v_or_b32_e32 v1, v5, v1
	;; [unrolled: 1-line block ×4, first 2 shown]
	v_lshlrev_b16 v8, 8, v36
	v_lshlrev_b16 v9, 8, v33
	v_cndmask_b32_e64 v26, 0, 1, s54
	v_cndmask_b32_e64 v32, 0, 1, s51
	v_lshlrev_b16 v23, 8, v24
	v_or_b32_e32 v3, v3, v8
	v_or_b32_e32 v8, v35, v9
	;; [unrolled: 1-line block ×4, first 2 shown]
	v_lshlrev_b16 v22, 8, v27
	v_and_b32_e32 v5, 0xffff, v5
	v_lshlrev_b32_e32 v4, 16, v4
	v_and_b32_e32 v1, 0xffff, v1
	v_and_b32_e32 v7, 0xffff, v7
	v_or_b32_e32 v9, v32, v22
	v_or_b32_e32 v22, v26, v23
	v_and_b32_e32 v3, 0xffff, v3
	v_dual_lshlrev_b32 v8, 16, v8 :: v_dual_lshlrev_b32 v2, 16, v2
	s_delay_alu instid0(VALU_DEP_4) | instskip(NEXT) | instid1(VALU_DEP_4)
	v_and_b32_e32 v9, 0xffff, v9
	v_lshlrev_b32_e32 v22, 16, v22
	v_lshlrev_b32_e32 v6, 16, v6
	v_cndmask_b32_e64 v34, 0, 1, s55
	v_cndmask_b32_e64 v38, 0, 1, s57
	v_or_b32_e32 v33, v1, v2
	v_or_b32_e32 v37, v7, v4
	;; [unrolled: 1-line block ×5, first 2 shown]
	s_load_b64 s[4:5], s[0:1], 0x78
	s_and_b32 vcc_lo, exec_lo, s52
	s_add_co_i32 s6, s41, 0xd00
	s_cbranch_vccnz .LBB636_33
	s_branch .LBB636_110
.LBB636_32:
                                        ; implicit-def: $vgpr38
                                        ; implicit-def: $vgpr34
                                        ; implicit-def: $vgpr35
                                        ; implicit-def: $vgpr32
                                        ; implicit-def: $vgpr37
                                        ; implicit-def: $vgpr36
                                        ; implicit-def: $vgpr33
                                        ; implicit-def: $vgpr31
	s_load_b64 s[4:5], s[0:1], 0x78
	s_add_co_i32 s6, s41, 0xd00
	s_cbranch_execz .LBB636_110
.LBB636_33:
	v_dual_mov_b32 v2, 0 :: v_dual_mov_b32 v1, 0
	s_wait_xcnt 0x0
	s_mov_b32 s1, exec_lo
	v_cmpx_gt_u32_e64 s6, v30
	s_cbranch_execz .LBB636_37
; %bb.34:
	v_dual_add_nc_u32 v1, s17, v20 :: v_dual_add_nc_u32 v2, s19, v20
	s_mov_b32 s3, 0
	s_mov_b32 s2, exec_lo
	s_delay_alu instid0(VALU_DEP_1) | instskip(NEXT) | instid1(VALU_DEP_2)
	v_mul_lo_u32 v1, v1, s16
	v_mul_lo_u32 v2, v2, s18
	s_delay_alu instid0(VALU_DEP_1) | instskip(NEXT) | instid1(VALU_DEP_1)
	v_sub_nc_u32_e32 v1, v1, v2
	v_cmp_lt_u32_e32 vcc_lo, s20, v1
	v_cmpx_ge_u32_e64 s20, v1
	s_cbranch_execz .LBB636_36
; %bb.35:
	v_dual_add_nc_u32 v1, s22, v20 :: v_dual_add_nc_u32 v2, s42, v20
	s_delay_alu instid0(VALU_DEP_1) | instskip(NEXT) | instid1(VALU_DEP_2)
	v_mul_lo_u32 v1, v1, s21
	v_mul_lo_u32 v2, v2, s23
	s_delay_alu instid0(VALU_DEP_1) | instskip(NEXT) | instid1(VALU_DEP_1)
	v_sub_nc_u32_e32 v1, v1, v2
	v_cmp_lt_u32_e64 s0, s43, v1
	s_and_b32 s3, s0, exec_lo
.LBB636_36:
	s_or_b32 exec_lo, exec_lo, s2
	v_cndmask_b32_e64 v2, 0, 1, s3
	v_cndmask_b32_e64 v1, 0, 1, vcc_lo
.LBB636_37:
	s_or_b32 exec_lo, exec_lo, s1
	s_delay_alu instid0(VALU_DEP_2) | instskip(SKIP_2) | instid1(VALU_DEP_3)
	v_lshlrev_b16 v2, 8, v2
	v_add_nc_u32_e32 v3, 1, v30
	v_lshlrev_b16 v9, 8, 0
                                        ; implicit-def: $vgpr5
                                        ; implicit-def: $vgpr7
                                        ; implicit-def: $vgpr4
                                        ; implicit-def: $vgpr8
	v_and_b32_e32 v6, 0xffff, v2
	s_delay_alu instid0(VALU_DEP_3) | instskip(NEXT) | instid1(VALU_DEP_2)
	v_cmp_le_u32_e32 vcc_lo, s6, v3
                                        ; implicit-def: $vgpr3
                                        ; implicit-def: $vgpr2
	v_lshrrev_b32_e32 v22, 8, v6
	s_and_saveexec_b32 s0, vcc_lo
	s_delay_alu instid0(SALU_CYCLE_1)
	s_xor_b32 s0, exec_lo, s0
	s_cbranch_execz .LBB636_39
; %bb.38:
	s_delay_alu instid0(VALU_DEP_1) | instskip(SKIP_3) | instid1(VALU_DEP_4)
	v_lshlrev_b16 v2, 8, v22
	v_bitop3_b16 v3, 0, v9, 0xff bitop3:0xec
	v_and_b32_e32 v8, 0xff, v1
                                        ; implicit-def: $vgpr1
                                        ; implicit-def: $vgpr9
                                        ; implicit-def: $vgpr22
	v_mov_b32_e32 v5, 0
	v_bitop3_b16 v6, v6, v2, 0xff bitop3:0xec
	v_mov_b32_e32 v2, 0
	v_and_b32_e32 v4, 0xffff, v3
	v_and_b32_e32 v3, 0xffff, v3
	s_delay_alu instid0(VALU_DEP_4)
	v_and_b32_e32 v7, 0xffff, v6
                                        ; implicit-def: $vgpr6
.LBB636_39:
	s_and_not1_saveexec_b32 s1, s0
	s_cbranch_execz .LBB636_43
; %bb.40:
	v_dual_add_nc_u32 v2, s17, v21 :: v_dual_add_nc_u32 v3, s19, v21
	s_mov_b32 s2, 0
	s_mov_b32 s3, exec_lo
	s_delay_alu instid0(VALU_DEP_1) | instskip(NEXT) | instid1(VALU_DEP_2)
	v_mul_lo_u32 v2, v2, s16
	v_mul_lo_u32 v3, v3, s18
	s_delay_alu instid0(VALU_DEP_1) | instskip(NEXT) | instid1(VALU_DEP_1)
	v_sub_nc_u32_e32 v2, v2, v3
	v_cmp_lt_u32_e32 vcc_lo, s20, v2
	v_cmpx_ge_u32_e64 s20, v2
	s_cbranch_execz .LBB636_42
; %bb.41:
	v_dual_add_nc_u32 v2, s22, v21 :: v_dual_add_nc_u32 v3, s42, v21
	s_delay_alu instid0(VALU_DEP_1) | instskip(NEXT) | instid1(VALU_DEP_2)
	v_mul_lo_u32 v2, v2, s21
	v_mul_lo_u32 v3, v3, s23
	s_delay_alu instid0(VALU_DEP_1) | instskip(NEXT) | instid1(VALU_DEP_1)
	v_sub_nc_u32_e32 v2, v2, v3
	v_cmp_lt_u32_e64 s0, s43, v2
	s_and_b32 s2, s0, exec_lo
.LBB636_42:
	s_or_b32 exec_lo, exec_lo, s3
	v_cndmask_b32_e64 v2, 0, 1, vcc_lo
	v_lshlrev_b16 v3, 8, v22
	v_cndmask_b32_e64 v7, 0, 1, s2
	v_mov_b32_e32 v5, 0
	s_delay_alu instid0(VALU_DEP_4) | instskip(NEXT) | instid1(VALU_DEP_4)
	v_lshlrev_b16 v2, 8, v2
	v_bitop3_b16 v3, v6, v3, 0xff bitop3:0xec
	v_bitop3_b16 v6, 0, v9, 0xff bitop3:0xec
	s_delay_alu instid0(VALU_DEP_3) | instskip(NEXT) | instid1(VALU_DEP_3)
	v_bitop3_b16 v1, v1, v2, 0xff bitop3:0xec
	v_and_b32_e32 v3, 0xffff, v3
	v_mov_b32_e32 v2, 0
	s_delay_alu instid0(VALU_DEP_4) | instskip(NEXT) | instid1(VALU_DEP_4)
	v_and_b32_e32 v4, 0xffff, v6
	v_and_b32_e32 v8, 0xffff, v1
	s_delay_alu instid0(VALU_DEP_4)
	v_lshl_or_b32 v7, v7, 16, v3
	v_and_b32_e32 v3, 0xffff, v6
.LBB636_43:
	s_or_b32 exec_lo, exec_lo, s1
	s_delay_alu instid0(VALU_DEP_3) | instskip(NEXT) | instid1(VALU_DEP_1)
	v_dual_add_nc_u32 v1, 2, v30 :: v_dual_lshrrev_b32 v9, 8, v8
                                        ; implicit-def: $vgpr6
	v_cmp_le_u32_e32 vcc_lo, s6, v1
                                        ; implicit-def: $vgpr1
	s_and_saveexec_b32 s0, vcc_lo
	s_delay_alu instid0(SALU_CYCLE_1)
	s_xor_b32 s0, exec_lo, s0
	s_cbranch_execz .LBB636_45
; %bb.44:
	v_lshlrev_b16 v1, 8, v9
	v_and_b32_e32 v9, 0xff0000, v7
	v_perm_b32 v4, v4, v4, 0x3060504
	s_delay_alu instid0(VALU_DEP_3) | instskip(NEXT) | instid1(VALU_DEP_1)
	v_bitop3_b16 v1, v8, v1, 0xff bitop3:0xec
	v_and_b32_e32 v1, 0xffff, v1
	s_delay_alu instid0(VALU_DEP_1)
	v_and_or_b32 v6, 0xff000000, v8, v1
	v_perm_b32 v1, v7, v9, 0x3020504
                                        ; implicit-def: $vgpr9
                                        ; implicit-def: $vgpr8
                                        ; implicit-def: $vgpr7
.LBB636_45:
	s_and_not1_saveexec_b32 s1, s0
	s_cbranch_execz .LBB636_49
; %bb.46:
	v_dual_add_nc_u32 v1, s17, v18 :: v_dual_add_nc_u32 v6, s19, v18
	s_mov_b32 s2, 0
	s_mov_b32 s3, exec_lo
	s_delay_alu instid0(VALU_DEP_1) | instskip(NEXT) | instid1(VALU_DEP_2)
	v_mul_lo_u32 v1, v1, s16
	v_mul_lo_u32 v6, v6, s18
	s_delay_alu instid0(VALU_DEP_1) | instskip(NEXT) | instid1(VALU_DEP_1)
	v_sub_nc_u32_e32 v1, v1, v6
	v_cmp_lt_u32_e32 vcc_lo, s20, v1
	v_cmpx_ge_u32_e64 s20, v1
	s_cbranch_execz .LBB636_48
; %bb.47:
	v_dual_add_nc_u32 v1, s22, v18 :: v_dual_add_nc_u32 v6, s42, v18
	s_delay_alu instid0(VALU_DEP_1) | instskip(NEXT) | instid1(VALU_DEP_2)
	v_mul_lo_u32 v1, v1, s21
	v_mul_lo_u32 v6, v6, s23
	s_delay_alu instid0(VALU_DEP_1) | instskip(NEXT) | instid1(VALU_DEP_1)
	v_sub_nc_u32_e32 v1, v1, v6
	v_cmp_lt_u32_e64 s0, s43, v1
	s_and_b32 s2, s0, exec_lo
.LBB636_48:
	s_or_b32 exec_lo, exec_lo, s3
	v_dual_lshrrev_b32 v1, 24, v8 :: v_dual_lshrrev_b32 v23, 8, v7
	v_cndmask_b32_e64 v6, 0, 1, s2
	v_cndmask_b32_e64 v22, 0, 1, vcc_lo
	v_lshlrev_b16 v9, 8, v9
	s_delay_alu instid0(VALU_DEP_4)
	v_lshlrev_b16 v1, 8, v1
	v_lshrrev_b32_e32 v24, 16, v7
	v_lshlrev_b16 v6, 8, v6
	v_lshlrev_b16 v23, 8, v23
	v_bitop3_b16 v8, v8, v9, 0xff bitop3:0xec
	v_or_b32_e32 v1, v22, v1
	s_delay_alu instid0(VALU_DEP_4) | instskip(NEXT) | instid1(VALU_DEP_4)
	v_bitop3_b16 v6, v24, v6, 0xff bitop3:0xec
	v_bitop3_b16 v7, v7, v23, 0xff bitop3:0xec
	s_delay_alu instid0(VALU_DEP_4) | instskip(NEXT) | instid1(VALU_DEP_3)
	v_and_b32_e32 v8, 0xffff, v8
	v_dual_lshlrev_b32 v1, 16, v1 :: v_dual_lshlrev_b32 v9, 16, v6
	s_delay_alu instid0(VALU_DEP_3) | instskip(NEXT) | instid1(VALU_DEP_2)
	v_and_b32_e32 v7, 0xffff, v7
	v_or_b32_e32 v6, v8, v1
	s_delay_alu instid0(VALU_DEP_2)
	v_or_b32_e32 v1, v7, v9
.LBB636_49:
	s_or_b32 exec_lo, exec_lo, s1
	v_dual_add_nc_u32 v8, 3, v30 :: v_dual_lshrrev_b32 v9, 24, v5
	v_lshrrev_b32_e32 v7, 16, v5
                                        ; implicit-def: $vgpr31
	s_delay_alu instid0(VALU_DEP_2) | instskip(SKIP_2) | instid1(SALU_CYCLE_1)
	v_cmp_le_u32_e32 vcc_lo, s6, v8
	v_lshrrev_b32_e32 v8, 8, v5
                                        ; implicit-def: $vgpr5
	s_and_saveexec_b32 s0, vcc_lo
	s_xor_b32 s0, exec_lo, s0
	s_cbranch_execz .LBB636_51
; %bb.50:
	v_lshlrev_b16 v5, 8, v9
	v_lshlrev_b16 v8, 8, v8
	v_perm_b32 v4, v4, v4, 0x3060504
	v_perm_b32 v3, v3, v3, 0x3060504
                                        ; implicit-def: $vgpr9
	s_delay_alu instid0(VALU_DEP_4) | instskip(SKIP_2) | instid1(VALU_DEP_3)
	v_bitop3_b16 v5, v7, v5, 0xff bitop3:0xec
	v_and_b32_e32 v7, 0xff0000, v6
	v_and_b32_e32 v8, 0xffff, v8
	v_lshlrev_b32_e32 v5, 16, v5
	s_delay_alu instid0(VALU_DEP_3) | instskip(NEXT) | instid1(VALU_DEP_2)
	v_perm_b32 v31, v6, v7, 0x3020504
                                        ; implicit-def: $vgpr6
                                        ; implicit-def: $vgpr7
	v_or_b32_e32 v5, v8, v5
                                        ; implicit-def: $vgpr8
.LBB636_51:
	s_and_not1_saveexec_b32 s1, s0
	s_cbranch_execz .LBB636_55
; %bb.52:
	v_dual_add_nc_u32 v5, s17, v19 :: v_dual_add_nc_u32 v22, s19, v19
	s_mov_b32 s2, 0
	s_mov_b32 s3, exec_lo
	s_delay_alu instid0(VALU_DEP_1) | instskip(NEXT) | instid1(VALU_DEP_2)
	v_mul_lo_u32 v5, v5, s16
	v_mul_lo_u32 v22, v22, s18
	s_delay_alu instid0(VALU_DEP_1) | instskip(NEXT) | instid1(VALU_DEP_1)
	v_sub_nc_u32_e32 v5, v5, v22
	v_cmp_lt_u32_e32 vcc_lo, s20, v5
	v_cmpx_ge_u32_e64 s20, v5
	s_cbranch_execz .LBB636_54
; %bb.53:
	v_dual_add_nc_u32 v5, s22, v19 :: v_dual_add_nc_u32 v22, s42, v19
	s_delay_alu instid0(VALU_DEP_1) | instskip(NEXT) | instid1(VALU_DEP_2)
	v_mul_lo_u32 v5, v5, s21
	v_mul_lo_u32 v22, v22, s23
	s_delay_alu instid0(VALU_DEP_1) | instskip(NEXT) | instid1(VALU_DEP_1)
	v_sub_nc_u32_e32 v5, v5, v22
	v_cmp_lt_u32_e64 s0, s43, v5
	s_and_b32 s2, s0, exec_lo
.LBB636_54:
	s_or_b32 exec_lo, exec_lo, s3
	v_cndmask_b32_e64 v5, 0, 1, vcc_lo
	v_dual_lshrrev_b32 v22, 8, v6 :: v_dual_lshrrev_b32 v24, 16, v6
	v_cndmask_b32_e64 v23, 0, 1, s2
	v_lshlrev_b16 v9, 8, v9
	s_delay_alu instid0(VALU_DEP_4) | instskip(NEXT) | instid1(VALU_DEP_4)
	v_lshlrev_b16 v5, 8, v5
	v_lshlrev_b16 v22, 8, v22
	;; [unrolled: 1-line block ×3, first 2 shown]
	s_delay_alu instid0(VALU_DEP_4) | instskip(NEXT) | instid1(VALU_DEP_4)
	v_bitop3_b16 v7, v7, v9, 0xff bitop3:0xec
	v_bitop3_b16 v5, v24, v5, 0xff bitop3:0xec
	s_delay_alu instid0(VALU_DEP_4) | instskip(NEXT) | instid1(VALU_DEP_3)
	v_bitop3_b16 v6, v6, v22, 0xff bitop3:0xec
	v_dual_lshlrev_b32 v7, 16, v7 :: v_dual_bitop2_b32 v8, v23, v8 bitop3:0x54
	s_delay_alu instid0(VALU_DEP_3) | instskip(NEXT) | instid1(VALU_DEP_3)
	v_lshlrev_b32_e32 v5, 16, v5
	v_and_b32_e32 v6, 0xffff, v6
	s_delay_alu instid0(VALU_DEP_3) | instskip(NEXT) | instid1(VALU_DEP_2)
	v_and_b32_e32 v8, 0xffff, v8
	v_or_b32_e32 v31, v6, v5
	s_delay_alu instid0(VALU_DEP_2)
	v_or_b32_e32 v5, v8, v7
.LBB636_55:
	s_or_b32 exec_lo, exec_lo, s1
	v_dual_add_nc_u32 v6, 4, v30 :: v_dual_lshrrev_b32 v22, 8, v4
	v_dual_lshrrev_b32 v7, 16, v4 :: v_dual_lshrrev_b32 v23, 24, v4
	s_delay_alu instid0(VALU_DEP_3) | instskip(NEXT) | instid1(VALU_DEP_3)
	v_dual_lshrrev_b32 v9, 24, v5 :: v_dual_lshrrev_b32 v8, 16, v5
	v_cmp_le_u32_e32 vcc_lo, s6, v6
                                        ; implicit-def: $vgpr4
                                        ; implicit-def: $vgpr6
	s_and_saveexec_b32 s0, vcc_lo
	s_delay_alu instid0(SALU_CYCLE_1)
	s_xor_b32 s0, exec_lo, s0
	s_cbranch_execz .LBB636_57
; %bb.56:
	v_lshlrev_b16 v4, 8, v23
	v_lshlrev_b16 v6, 8, v22
	;; [unrolled: 1-line block ×3, first 2 shown]
	v_perm_b32 v3, v3, v3, 0x3060504
                                        ; implicit-def: $vgpr22
                                        ; implicit-def: $vgpr23
	s_delay_alu instid0(VALU_DEP_4) | instskip(NEXT) | instid1(VALU_DEP_4)
	v_bitop3_b16 v4, v7, v4, 0xff bitop3:0xec
	v_and_b32_e32 v6, 0xffff, v6
	s_delay_alu instid0(VALU_DEP_4) | instskip(NEXT) | instid1(VALU_DEP_3)
	v_bitop3_b16 v7, v8, v9, 0xff bitop3:0xec
                                        ; implicit-def: $vgpr9
	v_lshlrev_b32_e32 v8, 16, v4
	s_delay_alu instid0(VALU_DEP_2) | instskip(NEXT) | instid1(VALU_DEP_2)
	v_perm_b32 v4, v7, v5, 0x5040c00
                                        ; implicit-def: $vgpr5
                                        ; implicit-def: $vgpr7
	v_or_b32_e32 v6, v6, v8
                                        ; implicit-def: $vgpr8
.LBB636_57:
	s_and_not1_saveexec_b32 s1, s0
	s_cbranch_execz .LBB636_61
; %bb.58:
	v_dual_add_nc_u32 v4, s17, v16 :: v_dual_add_nc_u32 v6, s19, v16
	s_mov_b32 s2, 0
	s_mov_b32 s3, exec_lo
	s_delay_alu instid0(VALU_DEP_1) | instskip(NEXT) | instid1(VALU_DEP_2)
	v_mul_lo_u32 v4, v4, s16
	v_mul_lo_u32 v6, v6, s18
	s_delay_alu instid0(VALU_DEP_1) | instskip(NEXT) | instid1(VALU_DEP_1)
	v_sub_nc_u32_e32 v4, v4, v6
	v_cmp_lt_u32_e32 vcc_lo, s20, v4
	v_cmpx_ge_u32_e64 s20, v4
	s_cbranch_execz .LBB636_60
; %bb.59:
	v_dual_add_nc_u32 v4, s22, v16 :: v_dual_add_nc_u32 v6, s42, v16
	s_delay_alu instid0(VALU_DEP_1) | instskip(NEXT) | instid1(VALU_DEP_2)
	v_mul_lo_u32 v4, v4, s21
	v_mul_lo_u32 v6, v6, s23
	s_delay_alu instid0(VALU_DEP_1) | instskip(NEXT) | instid1(VALU_DEP_1)
	v_sub_nc_u32_e32 v4, v4, v6
	v_cmp_lt_u32_e64 s0, s43, v4
	s_and_b32 s2, s0, exec_lo
.LBB636_60:
	s_or_b32 exec_lo, exec_lo, s3
	v_cndmask_b32_e64 v4, 0, 1, s2
	v_cndmask_b32_e64 v6, 0, 1, vcc_lo
	v_lshlrev_b16 v23, 8, v23
	v_lshlrev_b16 v22, 8, v22
	;; [unrolled: 1-line block ×4, first 2 shown]
	s_delay_alu instid0(VALU_DEP_4) | instskip(NEXT) | instid1(VALU_DEP_4)
	v_bitop3_b16 v7, v7, v23, 0xff bitop3:0xec
	v_or_b32_e32 v6, v6, v22
	s_delay_alu instid0(VALU_DEP_4) | instskip(NEXT) | instid1(VALU_DEP_4)
	v_bitop3_b16 v8, v8, v9, 0xff bitop3:0xec
	v_bitop3_b16 v4, v5, v4, 0xff bitop3:0xec
	s_delay_alu instid0(VALU_DEP_4) | instskip(NEXT) | instid1(VALU_DEP_4)
	v_lshlrev_b32_e32 v5, 16, v7
	v_and_b32_e32 v6, 0xffff, v6
	s_delay_alu instid0(VALU_DEP_4) | instskip(NEXT) | instid1(VALU_DEP_4)
	v_lshlrev_b32_e32 v7, 16, v8
	v_and_b32_e32 v4, 0xffff, v4
	s_delay_alu instid0(VALU_DEP_3) | instskip(NEXT) | instid1(VALU_DEP_2)
	v_or_b32_e32 v6, v6, v5
	v_or_b32_e32 v4, v4, v7
.LBB636_61:
	s_or_b32 exec_lo, exec_lo, s1
	s_delay_alu instid0(VALU_DEP_1) | instskip(NEXT) | instid1(VALU_DEP_2)
	v_dual_add_nc_u32 v5, 5, v30 :: v_dual_lshrrev_b32 v22, 8, v4
	v_dual_lshrrev_b32 v8, 16, v6 :: v_dual_lshrrev_b32 v9, 24, v6
                                        ; implicit-def: $vgpr7
	s_delay_alu instid0(VALU_DEP_2) | instskip(SKIP_1) | instid1(SALU_CYCLE_1)
	v_cmp_le_u32_e32 vcc_lo, s6, v5
                                        ; implicit-def: $vgpr5
	s_and_saveexec_b32 s0, vcc_lo
	s_xor_b32 s0, exec_lo, s0
	s_cbranch_execz .LBB636_63
; %bb.62:
	v_lshlrev_b16 v5, 8, v22
	v_lshlrev_b16 v7, 8, v9
	v_perm_b32 v3, v3, v3, 0x3060504
                                        ; implicit-def: $vgpr9
                                        ; implicit-def: $vgpr22
	s_delay_alu instid0(VALU_DEP_3) | instskip(NEXT) | instid1(VALU_DEP_3)
	v_bitop3_b16 v5, v4, v5, 0xff bitop3:0xec
	v_bitop3_b16 v7, v8, v7, 0xff bitop3:0xec
                                        ; implicit-def: $vgpr8
	s_delay_alu instid0(VALU_DEP_2) | instskip(NEXT) | instid1(VALU_DEP_2)
	v_and_b32_e32 v5, 0xffff, v5
	v_perm_b32 v7, v7, v6, 0x5040c00
                                        ; implicit-def: $vgpr6
	s_delay_alu instid0(VALU_DEP_2)
	v_and_or_b32 v5, 0xff000000, v4, v5
                                        ; implicit-def: $vgpr4
.LBB636_63:
	s_and_not1_saveexec_b32 s1, s0
	s_cbranch_execz .LBB636_67
; %bb.64:
	v_dual_add_nc_u32 v5, s17, v17 :: v_dual_add_nc_u32 v7, s19, v17
	s_mov_b32 s2, 0
	s_mov_b32 s3, exec_lo
	s_delay_alu instid0(VALU_DEP_1) | instskip(NEXT) | instid1(VALU_DEP_2)
	v_mul_lo_u32 v5, v5, s16
	v_mul_lo_u32 v7, v7, s18
	s_delay_alu instid0(VALU_DEP_1) | instskip(NEXT) | instid1(VALU_DEP_1)
	v_sub_nc_u32_e32 v5, v5, v7
	v_cmp_lt_u32_e32 vcc_lo, s20, v5
	v_cmpx_ge_u32_e64 s20, v5
	s_cbranch_execz .LBB636_66
; %bb.65:
	v_dual_add_nc_u32 v5, s22, v17 :: v_dual_add_nc_u32 v7, s42, v17
	s_delay_alu instid0(VALU_DEP_1) | instskip(NEXT) | instid1(VALU_DEP_2)
	v_mul_lo_u32 v5, v5, s21
	v_mul_lo_u32 v7, v7, s23
	s_delay_alu instid0(VALU_DEP_1) | instskip(NEXT) | instid1(VALU_DEP_1)
	v_sub_nc_u32_e32 v5, v5, v7
	v_cmp_lt_u32_e64 s0, s43, v5
	s_and_b32 s2, s0, exec_lo
.LBB636_66:
	s_or_b32 exec_lo, exec_lo, s3
	v_cndmask_b32_e64 v5, 0, 1, vcc_lo
	v_lshrrev_b32_e32 v7, 24, v4
	v_cndmask_b32_e64 v23, 0, 1, s2
	v_lshlrev_b16 v9, 8, v9
	v_lshlrev_b16 v22, 8, v22
	;; [unrolled: 1-line block ×4, first 2 shown]
	s_delay_alu instid0(VALU_DEP_4) | instskip(NEXT) | instid1(VALU_DEP_4)
	v_bitop3_b16 v8, v8, v9, 0xff bitop3:0xec
	v_bitop3_b16 v4, v4, v22, 0xff bitop3:0xec
	s_delay_alu instid0(VALU_DEP_4) | instskip(NEXT) | instid1(VALU_DEP_3)
	v_bitop3_b16 v5, v6, v5, 0xff bitop3:0xec
	v_dual_lshlrev_b32 v7, 16, v8 :: v_dual_bitop2_b32 v6, v23, v7 bitop3:0x54
	s_delay_alu instid0(VALU_DEP_3) | instskip(NEXT) | instid1(VALU_DEP_3)
	v_and_b32_e32 v4, 0xffff, v4
	v_and_b32_e32 v5, 0xffff, v5
	s_delay_alu instid0(VALU_DEP_1) | instskip(NEXT) | instid1(VALU_DEP_1)
	v_dual_lshlrev_b32 v6, 16, v6 :: v_dual_bitop2_b32 v7, v5, v7 bitop3:0x54
	v_or_b32_e32 v5, v4, v6
.LBB636_67:
	s_or_b32 exec_lo, exec_lo, s1
	s_delay_alu instid0(VALU_DEP_2) | instskip(NEXT) | instid1(VALU_DEP_1)
	v_dual_add_nc_u32 v4, 6, v30 :: v_dual_lshrrev_b32 v6, 8, v7
                                        ; implicit-def: $vgpr32
	v_cmp_le_u32_e32 vcc_lo, s6, v4
                                        ; implicit-def: $vgpr4
	s_and_saveexec_b32 s0, vcc_lo
	s_delay_alu instid0(SALU_CYCLE_1)
	s_xor_b32 s0, exec_lo, s0
	s_cbranch_execz .LBB636_69
; %bb.68:
	v_lshlrev_b16 v4, 8, v6
	v_and_b32_e32 v6, 0xff0000, v5
	v_perm_b32 v3, v3, v3, 0x3060504
	s_delay_alu instid0(VALU_DEP_3) | instskip(NEXT) | instid1(VALU_DEP_3)
	v_bitop3_b16 v4, v7, v4, 0xff bitop3:0xec
	v_perm_b32 v32, v5, v6, 0x3020504
                                        ; implicit-def: $vgpr6
                                        ; implicit-def: $vgpr5
	s_delay_alu instid0(VALU_DEP_2) | instskip(NEXT) | instid1(VALU_DEP_1)
	v_and_b32_e32 v4, 0xffff, v4
	v_and_or_b32 v4, 0xff000000, v7, v4
                                        ; implicit-def: $vgpr7
.LBB636_69:
	s_and_not1_saveexec_b32 s1, s0
	s_cbranch_execz .LBB636_73
; %bb.70:
	v_dual_add_nc_u32 v4, s17, v14 :: v_dual_add_nc_u32 v8, s19, v14
	s_mov_b32 s2, 0
	s_mov_b32 s3, exec_lo
	s_delay_alu instid0(VALU_DEP_1) | instskip(NEXT) | instid1(VALU_DEP_2)
	v_mul_lo_u32 v4, v4, s16
	v_mul_lo_u32 v8, v8, s18
	s_delay_alu instid0(VALU_DEP_1) | instskip(NEXT) | instid1(VALU_DEP_1)
	v_sub_nc_u32_e32 v4, v4, v8
	v_cmp_lt_u32_e32 vcc_lo, s20, v4
	v_cmpx_ge_u32_e64 s20, v4
	s_cbranch_execz .LBB636_72
; %bb.71:
	v_dual_add_nc_u32 v4, s22, v14 :: v_dual_add_nc_u32 v8, s42, v14
	s_delay_alu instid0(VALU_DEP_1) | instskip(NEXT) | instid1(VALU_DEP_2)
	v_mul_lo_u32 v4, v4, s21
	v_mul_lo_u32 v8, v8, s23
	s_delay_alu instid0(VALU_DEP_1) | instskip(NEXT) | instid1(VALU_DEP_1)
	v_sub_nc_u32_e32 v4, v4, v8
	v_cmp_lt_u32_e64 s0, s43, v4
	s_and_b32 s2, s0, exec_lo
.LBB636_72:
	s_or_b32 exec_lo, exec_lo, s3
	v_dual_lshrrev_b32 v4, 24, v7 :: v_dual_lshrrev_b32 v22, 8, v5
	v_cndmask_b32_e64 v8, 0, 1, s2
	v_cndmask_b32_e64 v9, 0, 1, vcc_lo
	v_lshlrev_b16 v6, 8, v6
	s_delay_alu instid0(VALU_DEP_4)
	v_lshlrev_b16 v4, 8, v4
	v_lshrrev_b32_e32 v23, 16, v5
	v_lshlrev_b16 v8, 8, v8
	v_lshlrev_b16 v22, 8, v22
	v_bitop3_b16 v6, v7, v6, 0xff bitop3:0xec
	v_or_b32_e32 v4, v9, v4
	s_delay_alu instid0(VALU_DEP_4) | instskip(NEXT) | instid1(VALU_DEP_4)
	v_bitop3_b16 v7, v23, v8, 0xff bitop3:0xec
	v_bitop3_b16 v5, v5, v22, 0xff bitop3:0xec
	s_delay_alu instid0(VALU_DEP_4) | instskip(NEXT) | instid1(VALU_DEP_3)
	v_and_b32_e32 v6, 0xffff, v6
	v_dual_lshlrev_b32 v4, 16, v4 :: v_dual_lshlrev_b32 v7, 16, v7
	s_delay_alu instid0(VALU_DEP_3) | instskip(NEXT) | instid1(VALU_DEP_2)
	v_and_b32_e32 v5, 0xffff, v5
	v_or_b32_e32 v4, v6, v4
	s_delay_alu instid0(VALU_DEP_2)
	v_or_b32_e32 v32, v5, v7
.LBB636_73:
	s_or_b32 exec_lo, exec_lo, s1
	v_dual_add_nc_u32 v7, 7, v30 :: v_dual_lshrrev_b32 v5, 8, v3
	v_lshrrev_b32_e32 v6, 16, v3
                                        ; implicit-def: $vgpr33
	s_delay_alu instid0(VALU_DEP_2) | instskip(SKIP_2) | instid1(SALU_CYCLE_1)
	v_cmp_le_u32_e32 vcc_lo, s6, v7
	v_lshrrev_b32_e32 v7, 24, v3
                                        ; implicit-def: $vgpr3
	s_and_saveexec_b32 s0, vcc_lo
	s_xor_b32 s0, exec_lo, s0
	s_cbranch_execz .LBB636_75
; %bb.74:
	s_delay_alu instid0(VALU_DEP_1) | instskip(SKIP_1) | instid1(VALU_DEP_2)
	v_lshlrev_b16 v3, 8, v7
	v_lshlrev_b16 v5, 8, v5
                                        ; implicit-def: $vgpr7
	v_bitop3_b16 v3, v6, v3, 0xff bitop3:0xec
	v_and_b32_e32 v6, 0xff0000, v4
	s_delay_alu instid0(VALU_DEP_3) | instskip(NEXT) | instid1(VALU_DEP_3)
	v_and_b32_e32 v5, 0xffff, v5
	v_lshlrev_b32_e32 v3, 16, v3
	s_delay_alu instid0(VALU_DEP_3) | instskip(NEXT) | instid1(VALU_DEP_2)
	v_perm_b32 v33, v4, v6, 0x3020504
                                        ; implicit-def: $vgpr4
                                        ; implicit-def: $vgpr6
	v_or_b32_e32 v3, v5, v3
                                        ; implicit-def: $vgpr5
.LBB636_75:
	s_and_not1_saveexec_b32 s1, s0
	s_cbranch_execz .LBB636_79
; %bb.76:
	v_dual_add_nc_u32 v3, s17, v15 :: v_dual_add_nc_u32 v8, s19, v15
	s_mov_b32 s2, 0
	s_mov_b32 s3, exec_lo
	s_delay_alu instid0(VALU_DEP_1) | instskip(NEXT) | instid1(VALU_DEP_2)
	v_mul_lo_u32 v3, v3, s16
	v_mul_lo_u32 v8, v8, s18
	s_delay_alu instid0(VALU_DEP_1) | instskip(NEXT) | instid1(VALU_DEP_1)
	v_sub_nc_u32_e32 v3, v3, v8
	v_cmp_lt_u32_e32 vcc_lo, s20, v3
	v_cmpx_ge_u32_e64 s20, v3
	s_cbranch_execz .LBB636_78
; %bb.77:
	v_dual_add_nc_u32 v3, s22, v15 :: v_dual_add_nc_u32 v8, s42, v15
	s_delay_alu instid0(VALU_DEP_1) | instskip(NEXT) | instid1(VALU_DEP_2)
	v_mul_lo_u32 v3, v3, s21
	v_mul_lo_u32 v8, v8, s23
	s_delay_alu instid0(VALU_DEP_1) | instskip(NEXT) | instid1(VALU_DEP_1)
	v_sub_nc_u32_e32 v3, v3, v8
	v_cmp_lt_u32_e64 s0, s43, v3
	s_and_b32 s2, s0, exec_lo
.LBB636_78:
	s_or_b32 exec_lo, exec_lo, s3
	v_cndmask_b32_e64 v3, 0, 1, vcc_lo
	v_dual_lshrrev_b32 v8, 8, v4 :: v_dual_lshrrev_b32 v22, 16, v4
	v_cndmask_b32_e64 v9, 0, 1, s2
	v_lshlrev_b16 v7, 8, v7
	s_delay_alu instid0(VALU_DEP_4) | instskip(NEXT) | instid1(VALU_DEP_4)
	v_lshlrev_b16 v3, 8, v3
	v_lshlrev_b16 v8, 8, v8
	;; [unrolled: 1-line block ×3, first 2 shown]
	s_delay_alu instid0(VALU_DEP_4) | instskip(NEXT) | instid1(VALU_DEP_4)
	v_bitop3_b16 v6, v6, v7, 0xff bitop3:0xec
	v_bitop3_b16 v3, v22, v3, 0xff bitop3:0xec
	s_delay_alu instid0(VALU_DEP_4) | instskip(NEXT) | instid1(VALU_DEP_3)
	v_bitop3_b16 v4, v4, v8, 0xff bitop3:0xec
	v_dual_lshlrev_b32 v6, 16, v6 :: v_dual_bitop2_b32 v5, v9, v5 bitop3:0x54
	s_delay_alu instid0(VALU_DEP_3) | instskip(NEXT) | instid1(VALU_DEP_3)
	v_lshlrev_b32_e32 v3, 16, v3
	v_and_b32_e32 v4, 0xffff, v4
	s_delay_alu instid0(VALU_DEP_3) | instskip(NEXT) | instid1(VALU_DEP_2)
	v_and_b32_e32 v5, 0xffff, v5
	v_or_b32_e32 v33, v4, v3
	s_delay_alu instid0(VALU_DEP_2)
	v_or_b32_e32 v3, v5, v6
.LBB636_79:
	s_or_b32 exec_lo, exec_lo, s1
	s_delay_alu instid0(VALU_DEP_1) | instskip(SKIP_2) | instid1(VALU_DEP_3)
	v_dual_add_nc_u32 v4, 8, v30 :: v_dual_lshrrev_b32 v5, 16, v3
	v_dual_lshrrev_b32 v6, 24, v3 :: v_dual_lshrrev_b32 v9, 24, v2
	v_dual_lshrrev_b32 v7, 16, v2 :: v_dual_lshrrev_b32 v8, 8, v2
	v_cmp_le_u32_e32 vcc_lo, s6, v4
                                        ; implicit-def: $vgpr2
                                        ; implicit-def: $vgpr4
	s_and_saveexec_b32 s0, vcc_lo
	s_delay_alu instid0(SALU_CYCLE_1)
	s_xor_b32 s0, exec_lo, s0
	s_cbranch_execz .LBB636_81
; %bb.80:
	v_lshlrev_b16 v2, 8, v9
	v_lshlrev_b16 v4, 8, v8
	;; [unrolled: 1-line block ×3, first 2 shown]
	v_perm_b32 v1, v1, v1, 0x3060504
                                        ; implicit-def: $vgpr9
                                        ; implicit-def: $vgpr8
	s_delay_alu instid0(VALU_DEP_4) | instskip(NEXT) | instid1(VALU_DEP_4)
	v_bitop3_b16 v2, v7, v2, 0xff bitop3:0xec
	v_and_b32_e32 v4, 0xffff, v4
	s_delay_alu instid0(VALU_DEP_4) | instskip(NEXT) | instid1(VALU_DEP_3)
	v_bitop3_b16 v5, v5, v6, 0xff bitop3:0xec
                                        ; implicit-def: $vgpr6
                                        ; implicit-def: $vgpr7
	v_lshlrev_b32_e32 v2, 16, v2
	s_delay_alu instid0(VALU_DEP_1) | instskip(NEXT) | instid1(VALU_DEP_3)
	v_or_b32_e32 v4, v4, v2
	v_perm_b32 v2, v5, v3, 0x5040c00
                                        ; implicit-def: $vgpr3
                                        ; implicit-def: $vgpr5
.LBB636_81:
	s_and_not1_saveexec_b32 s1, s0
	s_cbranch_execz .LBB636_85
; %bb.82:
	v_dual_add_nc_u32 v2, s17, v12 :: v_dual_add_nc_u32 v4, s19, v12
	s_mov_b32 s2, 0
	s_mov_b32 s3, exec_lo
	s_delay_alu instid0(VALU_DEP_1) | instskip(NEXT) | instid1(VALU_DEP_2)
	v_mul_lo_u32 v2, v2, s16
	v_mul_lo_u32 v4, v4, s18
	s_delay_alu instid0(VALU_DEP_1) | instskip(NEXT) | instid1(VALU_DEP_1)
	v_sub_nc_u32_e32 v2, v2, v4
	v_cmp_lt_u32_e32 vcc_lo, s20, v2
	v_cmpx_ge_u32_e64 s20, v2
	s_cbranch_execz .LBB636_84
; %bb.83:
	v_dual_add_nc_u32 v2, s22, v12 :: v_dual_add_nc_u32 v4, s42, v12
	s_delay_alu instid0(VALU_DEP_1) | instskip(NEXT) | instid1(VALU_DEP_2)
	v_mul_lo_u32 v2, v2, s21
	v_mul_lo_u32 v4, v4, s23
	s_delay_alu instid0(VALU_DEP_1) | instskip(NEXT) | instid1(VALU_DEP_1)
	v_sub_nc_u32_e32 v2, v2, v4
	v_cmp_lt_u32_e64 s0, s43, v2
	s_and_b32 s2, s0, exec_lo
.LBB636_84:
	s_or_b32 exec_lo, exec_lo, s3
	v_cndmask_b32_e64 v2, 0, 1, s2
	v_cndmask_b32_e64 v4, 0, 1, vcc_lo
	v_lshlrev_b16 v9, 8, v9
	v_lshlrev_b16 v8, 8, v8
	;; [unrolled: 1-line block ×4, first 2 shown]
	s_delay_alu instid0(VALU_DEP_4) | instskip(NEXT) | instid1(VALU_DEP_4)
	v_bitop3_b16 v7, v7, v9, 0xff bitop3:0xec
	v_or_b32_e32 v4, v4, v8
	s_delay_alu instid0(VALU_DEP_4) | instskip(NEXT) | instid1(VALU_DEP_4)
	v_bitop3_b16 v5, v5, v6, 0xff bitop3:0xec
	v_bitop3_b16 v2, v3, v2, 0xff bitop3:0xec
	s_delay_alu instid0(VALU_DEP_4) | instskip(NEXT) | instid1(VALU_DEP_4)
	v_lshlrev_b32_e32 v3, 16, v7
	v_and_b32_e32 v4, 0xffff, v4
	s_delay_alu instid0(VALU_DEP_4) | instskip(NEXT) | instid1(VALU_DEP_4)
	v_lshlrev_b32_e32 v5, 16, v5
	v_and_b32_e32 v2, 0xffff, v2
	s_delay_alu instid0(VALU_DEP_3) | instskip(NEXT) | instid1(VALU_DEP_2)
	v_or_b32_e32 v4, v4, v3
	v_or_b32_e32 v2, v2, v5
.LBB636_85:
	s_or_b32 exec_lo, exec_lo, s1
	s_delay_alu instid0(VALU_DEP_2) | instskip(NEXT) | instid1(VALU_DEP_2)
	v_dual_add_nc_u32 v3, 9, v30 :: v_dual_lshrrev_b32 v8, 24, v4
	v_dual_lshrrev_b32 v7, 8, v2 :: v_dual_lshrrev_b32 v6, 16, v4
                                        ; implicit-def: $vgpr5
	s_delay_alu instid0(VALU_DEP_2) | instskip(SKIP_1) | instid1(SALU_CYCLE_1)
	v_cmp_le_u32_e32 vcc_lo, s6, v3
                                        ; implicit-def: $vgpr3
	s_and_saveexec_b32 s0, vcc_lo
	s_xor_b32 s0, exec_lo, s0
	s_cbranch_execz .LBB636_87
; %bb.86:
	v_lshlrev_b16 v3, 8, v7
	v_lshlrev_b16 v5, 8, v8
	v_perm_b32 v1, v1, v1, 0x3060504
                                        ; implicit-def: $vgpr7
                                        ; implicit-def: $vgpr8
	s_delay_alu instid0(VALU_DEP_3) | instskip(NEXT) | instid1(VALU_DEP_3)
	v_bitop3_b16 v3, v2, v3, 0xff bitop3:0xec
	v_bitop3_b16 v5, v6, v5, 0xff bitop3:0xec
                                        ; implicit-def: $vgpr6
	s_delay_alu instid0(VALU_DEP_2) | instskip(NEXT) | instid1(VALU_DEP_2)
	v_and_b32_e32 v3, 0xffff, v3
	v_perm_b32 v5, v5, v4, 0x5040c00
                                        ; implicit-def: $vgpr4
	s_delay_alu instid0(VALU_DEP_2)
	v_and_or_b32 v3, 0xff000000, v2, v3
                                        ; implicit-def: $vgpr2
.LBB636_87:
	s_and_not1_saveexec_b32 s1, s0
	s_cbranch_execz .LBB636_91
; %bb.88:
	v_dual_add_nc_u32 v3, s17, v13 :: v_dual_add_nc_u32 v5, s19, v13
	s_mov_b32 s2, 0
	s_mov_b32 s3, exec_lo
	s_delay_alu instid0(VALU_DEP_1) | instskip(NEXT) | instid1(VALU_DEP_2)
	v_mul_lo_u32 v3, v3, s16
	v_mul_lo_u32 v5, v5, s18
	s_delay_alu instid0(VALU_DEP_1) | instskip(NEXT) | instid1(VALU_DEP_1)
	v_sub_nc_u32_e32 v3, v3, v5
	v_cmp_lt_u32_e32 vcc_lo, s20, v3
	v_cmpx_ge_u32_e64 s20, v3
	s_cbranch_execz .LBB636_90
; %bb.89:
	v_dual_add_nc_u32 v3, s22, v13 :: v_dual_add_nc_u32 v5, s42, v13
	s_delay_alu instid0(VALU_DEP_1) | instskip(NEXT) | instid1(VALU_DEP_2)
	v_mul_lo_u32 v3, v3, s21
	v_mul_lo_u32 v5, v5, s23
	s_delay_alu instid0(VALU_DEP_1) | instskip(NEXT) | instid1(VALU_DEP_1)
	v_sub_nc_u32_e32 v3, v3, v5
	v_cmp_lt_u32_e64 s0, s43, v3
	s_and_b32 s2, s0, exec_lo
.LBB636_90:
	s_or_b32 exec_lo, exec_lo, s3
	v_cndmask_b32_e64 v3, 0, 1, vcc_lo
	v_lshrrev_b32_e32 v5, 24, v2
	v_cndmask_b32_e64 v9, 0, 1, s2
	v_lshlrev_b16 v8, 8, v8
	v_lshlrev_b16 v7, 8, v7
	;; [unrolled: 1-line block ×4, first 2 shown]
	s_delay_alu instid0(VALU_DEP_4) | instskip(NEXT) | instid1(VALU_DEP_4)
	v_bitop3_b16 v6, v6, v8, 0xff bitop3:0xec
	v_bitop3_b16 v2, v2, v7, 0xff bitop3:0xec
	s_delay_alu instid0(VALU_DEP_4) | instskip(NEXT) | instid1(VALU_DEP_3)
	v_bitop3_b16 v3, v4, v3, 0xff bitop3:0xec
	v_dual_lshlrev_b32 v5, 16, v6 :: v_dual_bitop2_b32 v4, v9, v5 bitop3:0x54
	s_delay_alu instid0(VALU_DEP_3) | instskip(NEXT) | instid1(VALU_DEP_3)
	v_and_b32_e32 v2, 0xffff, v2
	v_and_b32_e32 v3, 0xffff, v3
	s_delay_alu instid0(VALU_DEP_1) | instskip(NEXT) | instid1(VALU_DEP_1)
	v_dual_lshlrev_b32 v4, 16, v4 :: v_dual_bitop2_b32 v5, v3, v5 bitop3:0x54
	v_or_b32_e32 v3, v2, v4
.LBB636_91:
	s_or_b32 exec_lo, exec_lo, s1
	s_delay_alu instid0(VALU_DEP_2) | instskip(NEXT) | instid1(VALU_DEP_1)
	v_dual_add_nc_u32 v2, 10, v30 :: v_dual_lshrrev_b32 v4, 8, v5
                                        ; implicit-def: $vgpr35
	v_cmp_le_u32_e32 vcc_lo, s6, v2
                                        ; implicit-def: $vgpr2
	s_and_saveexec_b32 s0, vcc_lo
	s_delay_alu instid0(SALU_CYCLE_1)
	s_xor_b32 s0, exec_lo, s0
	s_cbranch_execz .LBB636_93
; %bb.92:
	v_lshlrev_b16 v2, 8, v4
	v_and_b32_e32 v4, 0xff0000, v3
	v_perm_b32 v1, v1, v1, 0x3060504
	s_delay_alu instid0(VALU_DEP_3) | instskip(NEXT) | instid1(VALU_DEP_3)
	v_bitop3_b16 v2, v5, v2, 0xff bitop3:0xec
	v_perm_b32 v35, v3, v4, 0x3020504
                                        ; implicit-def: $vgpr4
                                        ; implicit-def: $vgpr3
	s_delay_alu instid0(VALU_DEP_2) | instskip(NEXT) | instid1(VALU_DEP_1)
	v_and_b32_e32 v2, 0xffff, v2
	v_and_or_b32 v2, 0xff000000, v5, v2
                                        ; implicit-def: $vgpr5
.LBB636_93:
	s_and_not1_saveexec_b32 s1, s0
	s_cbranch_execz .LBB636_97
; %bb.94:
	v_dual_add_nc_u32 v2, s17, v10 :: v_dual_add_nc_u32 v6, s19, v10
	s_mov_b32 s2, 0
	s_mov_b32 s3, exec_lo
	s_delay_alu instid0(VALU_DEP_1) | instskip(NEXT) | instid1(VALU_DEP_2)
	v_mul_lo_u32 v2, v2, s16
	v_mul_lo_u32 v6, v6, s18
	s_delay_alu instid0(VALU_DEP_1) | instskip(NEXT) | instid1(VALU_DEP_1)
	v_sub_nc_u32_e32 v2, v2, v6
	v_cmp_lt_u32_e32 vcc_lo, s20, v2
	v_cmpx_ge_u32_e64 s20, v2
	s_cbranch_execz .LBB636_96
; %bb.95:
	v_dual_add_nc_u32 v2, s22, v10 :: v_dual_add_nc_u32 v6, s42, v10
	s_delay_alu instid0(VALU_DEP_1) | instskip(NEXT) | instid1(VALU_DEP_2)
	v_mul_lo_u32 v2, v2, s21
	v_mul_lo_u32 v6, v6, s23
	s_delay_alu instid0(VALU_DEP_1) | instskip(NEXT) | instid1(VALU_DEP_1)
	v_sub_nc_u32_e32 v2, v2, v6
	v_cmp_lt_u32_e64 s0, s43, v2
	s_and_b32 s2, s0, exec_lo
.LBB636_96:
	s_or_b32 exec_lo, exec_lo, s3
	v_dual_lshrrev_b32 v2, 24, v5 :: v_dual_lshrrev_b32 v8, 8, v3
	v_cndmask_b32_e64 v6, 0, 1, s2
	v_cndmask_b32_e64 v7, 0, 1, vcc_lo
	v_lshlrev_b16 v4, 8, v4
	s_delay_alu instid0(VALU_DEP_4)
	v_lshlrev_b16 v2, 8, v2
	v_lshrrev_b32_e32 v9, 16, v3
	v_lshlrev_b16 v6, 8, v6
	v_lshlrev_b16 v8, 8, v8
	v_bitop3_b16 v4, v5, v4, 0xff bitop3:0xec
	v_or_b32_e32 v2, v7, v2
	s_delay_alu instid0(VALU_DEP_4) | instskip(NEXT) | instid1(VALU_DEP_4)
	v_bitop3_b16 v5, v9, v6, 0xff bitop3:0xec
	v_bitop3_b16 v3, v3, v8, 0xff bitop3:0xec
	s_delay_alu instid0(VALU_DEP_4) | instskip(NEXT) | instid1(VALU_DEP_3)
	v_and_b32_e32 v4, 0xffff, v4
	v_dual_lshlrev_b32 v2, 16, v2 :: v_dual_lshlrev_b32 v5, 16, v5
	s_delay_alu instid0(VALU_DEP_3) | instskip(NEXT) | instid1(VALU_DEP_2)
	v_and_b32_e32 v3, 0xffff, v3
	v_or_b32_e32 v2, v4, v2
	s_delay_alu instid0(VALU_DEP_2)
	v_or_b32_e32 v35, v3, v5
.LBB636_97:
	s_or_b32 exec_lo, exec_lo, s1
	v_dual_mov_b32 v34, 0 :: v_dual_add_nc_u32 v3, 11, v30
	s_mov_b32 s0, exec_lo
                                        ; implicit-def: $vgpr36
	s_delay_alu instid0(VALU_DEP_1)
	v_cmpx_le_u32_e64 s6, v3
	s_xor_b32 s0, exec_lo, s0
; %bb.98:
	v_and_b32_e32 v3, 0xff0000, v2
	v_perm_b32 v1, v1, v1, 0x3060504
	s_delay_alu instid0(VALU_DEP_2)
	v_perm_b32 v36, v2, v3, 0x3020504
                                        ; implicit-def: $vgpr2
; %bb.99:
	s_and_not1_saveexec_b32 s1, s0
	s_cbranch_execz .LBB636_103
; %bb.100:
	v_dual_add_nc_u32 v3, s17, v11 :: v_dual_add_nc_u32 v4, s19, v11
	s_mov_b32 s2, 0
	s_mov_b32 s3, exec_lo
	s_delay_alu instid0(VALU_DEP_1) | instskip(NEXT) | instid1(VALU_DEP_2)
	v_mul_lo_u32 v3, v3, s16
	v_mul_lo_u32 v4, v4, s18
	s_delay_alu instid0(VALU_DEP_1) | instskip(NEXT) | instid1(VALU_DEP_1)
	v_sub_nc_u32_e32 v3, v3, v4
	v_cmp_lt_u32_e32 vcc_lo, s20, v3
	v_cmpx_ge_u32_e64 s20, v3
	s_cbranch_execz .LBB636_102
; %bb.101:
	v_dual_add_nc_u32 v3, s22, v11 :: v_dual_add_nc_u32 v4, s42, v11
	s_delay_alu instid0(VALU_DEP_1) | instskip(NEXT) | instid1(VALU_DEP_2)
	v_mul_lo_u32 v3, v3, s21
	v_mul_lo_u32 v4, v4, s23
	s_delay_alu instid0(VALU_DEP_1) | instskip(NEXT) | instid1(VALU_DEP_1)
	v_sub_nc_u32_e32 v3, v3, v4
	v_cmp_lt_u32_e64 s0, s43, v3
	s_and_b32 s2, s0, exec_lo
.LBB636_102:
	s_or_b32 exec_lo, exec_lo, s3
	v_cndmask_b32_e64 v3, 0, 1, vcc_lo
	v_dual_lshrrev_b32 v4, 8, v2 :: v_dual_lshrrev_b32 v5, 16, v2
	v_cndmask_b32_e64 v34, 0, 1, s2
	s_delay_alu instid0(VALU_DEP_3) | instskip(NEXT) | instid1(VALU_DEP_3)
	v_lshlrev_b16 v3, 8, v3
	v_lshlrev_b16 v4, 8, v4
	s_delay_alu instid0(VALU_DEP_2) | instskip(NEXT) | instid1(VALU_DEP_2)
	v_bitop3_b16 v3, v5, v3, 0xff bitop3:0xec
	v_bitop3_b16 v2, v2, v4, 0xff bitop3:0xec
	s_delay_alu instid0(VALU_DEP_2) | instskip(NEXT) | instid1(VALU_DEP_2)
	v_lshlrev_b32_e32 v3, 16, v3
	v_and_b32_e32 v2, 0xffff, v2
	s_delay_alu instid0(VALU_DEP_1)
	v_or_b32_e32 v36, v2, v3
.LBB636_103:
	s_or_b32 exec_lo, exec_lo, s1
	v_dual_add_nc_u32 v4, 12, v30 :: v_dual_lshrrev_b32 v2, 8, v1
	v_dual_lshrrev_b32 v3, 16, v1 :: v_dual_lshrrev_b32 v1, 24, v1
	s_mov_b32 s0, exec_lo
                                        ; implicit-def: $vgpr37
	s_delay_alu instid0(VALU_DEP_2)
	v_cmpx_le_u32_e64 s6, v4
	s_xor_b32 s0, exec_lo, s0
; %bb.104:
	s_delay_alu instid0(VALU_DEP_2) | instskip(SKIP_1) | instid1(VALU_DEP_2)
	v_lshlrev_b16 v1, 8, v1
	v_lshlrev_b16 v2, 8, v2
	v_bitop3_b16 v1, v3, v1, 0xff bitop3:0xec
	s_delay_alu instid0(VALU_DEP_2) | instskip(NEXT) | instid1(VALU_DEP_2)
	v_and_b32_e32 v2, 0xffff, v2
                                        ; implicit-def: $vgpr3
	v_lshlrev_b32_e32 v1, 16, v1
	s_delay_alu instid0(VALU_DEP_1)
	v_or_b32_e32 v37, v2, v1
                                        ; implicit-def: $vgpr1
                                        ; implicit-def: $vgpr2
; %bb.105:
	s_or_saveexec_b32 s1, s0
	v_mov_b32_e32 v38, 0
	s_xor_b32 exec_lo, exec_lo, s1
	s_cbranch_execz .LBB636_109
; %bb.106:
	v_dual_add_nc_u32 v4, s19, v28 :: v_dual_add_nc_u32 v5, s17, v28
	s_mov_b32 s2, 0
	s_mov_b32 s3, exec_lo
	s_delay_alu instid0(VALU_DEP_1) | instskip(NEXT) | instid1(VALU_DEP_2)
	v_mul_lo_u32 v4, v4, s18
	v_mul_lo_u32 v5, v5, s16
	s_delay_alu instid0(VALU_DEP_1) | instskip(NEXT) | instid1(VALU_DEP_1)
	v_sub_nc_u32_e32 v4, v5, v4
	v_cmp_lt_u32_e32 vcc_lo, s20, v4
	v_cmpx_ge_u32_e64 s20, v4
	s_cbranch_execz .LBB636_108
; %bb.107:
	v_dual_add_nc_u32 v4, s42, v28 :: v_dual_add_nc_u32 v5, s22, v28
	s_delay_alu instid0(VALU_DEP_1) | instskip(NEXT) | instid1(VALU_DEP_2)
	v_mul_lo_u32 v4, v4, s23
	v_mul_lo_u32 v5, v5, s21
	s_delay_alu instid0(VALU_DEP_1) | instskip(NEXT) | instid1(VALU_DEP_1)
	v_sub_nc_u32_e32 v4, v5, v4
	v_cmp_lt_u32_e64 s0, s43, v4
	s_and_b32 s2, s0, exec_lo
.LBB636_108:
	s_or_b32 exec_lo, exec_lo, s3
	v_cndmask_b32_e64 v4, 0, 1, vcc_lo
	v_lshlrev_b16 v1, 8, v1
	v_lshlrev_b16 v2, 8, v2
	v_cndmask_b32_e64 v38, 0, 1, s2
	s_delay_alu instid0(VALU_DEP_3) | instskip(NEXT) | instid1(VALU_DEP_1)
	v_bitop3_b16 v1, v3, v1, 0xff bitop3:0xec
	v_dual_lshlrev_b32 v1, 16, v1 :: v_dual_bitop2_b32 v2, v4, v2 bitop3:0x54
	s_delay_alu instid0(VALU_DEP_1) | instskip(NEXT) | instid1(VALU_DEP_1)
	v_and_b32_e32 v2, 0xffff, v2
	v_or_b32_e32 v37, v2, v1
.LBB636_109:
	s_or_b32 exec_lo, exec_lo, s1
.LBB636_110:
	v_and_b32_e32 v61, 0xff, v31
	s_delay_alu instid0(VALU_DEP_2)
	v_bfe_u32 v62, v37, 8, 8
	v_bfe_u32 v59, v31, 8, 8
	v_bfe_u32 v60, v37, 16, 8
	v_bfe_u32 v58, v31, 16, 8
	v_dual_lshrrev_b32 v44, 24, v37 :: v_dual_lshrrev_b32 v43, 24, v31
	v_and_b32_e32 v57, 0xff, v32
	v_and_b32_e32 v55, 0xff, v33
	v_bfe_u32 v56, v32, 8, 8
	v_add3_u32 v1, v59, v61, v58
	v_add3_u32 v2, v60, v62, v44
	v_bfe_u32 v53, v33, 8, 8
	v_bfe_u32 v54, v32, 16, 8
	;; [unrolled: 1-line block ×3, first 2 shown]
	v_dual_lshrrev_b32 v42, 24, v32 :: v_dual_lshrrev_b32 v41, 24, v33
	v_add3_u32 v1, v1, v43, v55
	v_add3_u32 v2, v2, v57, v56
	v_and_b32_e32 v52, 0xff, v35
	v_and_b32_e32 v48, 0xff, v36
	v_bfe_u32 v50, v35, 8, 8
	v_add3_u32 v1, v1, v53, v51
	v_add3_u32 v2, v2, v54, v42
	v_bfe_u32 v47, v36, 8, 8
	v_bfe_u32 v49, v35, 16, 8
	;; [unrolled: 1-line block ×3, first 2 shown]
	v_dual_lshrrev_b32 v40, 24, v35 :: v_dual_lshrrev_b32 v39, 24, v36
	v_add3_u32 v1, v1, v41, v48
	v_add3_u32 v2, v2, v52, v50
	v_mbcnt_lo_u32_b32 v63, -1, 0
	v_and_b32_e32 v45, 0xff, v34
	v_and_b32_e32 v3, 0xff, v37
	;; [unrolled: 1-line block ×3, first 2 shown]
	v_add3_u32 v1, v1, v47, v46
	v_add3_u32 v2, v2, v49, v40
	v_dual_lshrrev_b32 v64, 5, v0 :: v_dual_bitop2_b32 v65, 15, v63 bitop3:0x40
	v_and_b32_e32 v67, 16, v63
	s_delay_alu instid0(VALU_DEP_4) | instskip(NEXT) | instid1(VALU_DEP_4)
	v_add3_u32 v68, v1, v39, v3
	v_add3_u32 v69, v2, v45, v4
	s_wait_xcnt 0x0
	v_cmp_eq_u32_e64 s1, 0, v65
	v_cmp_lt_u32_e64 s0, 1, v65
	v_cmp_lt_u32_e64 s2, 3, v65
	v_or_b32_e32 v66, 31, v0
	s_cmp_lg_u32 s33, 0
	s_mov_b32 s3, -1
	v_cmp_lt_u32_e32 vcc_lo, 7, v65
	s_cbranch_scc0 .LBB636_131
; %bb.111:
	v_mov_b32_dpp v1, v69 row_shr:1 row_mask:0xf bank_mask:0xf
	v_mov_b32_dpp v2, v68 row_shr:1 row_mask:0xf bank_mask:0xf
	s_mov_b32 s3, exec_lo
	s_delay_alu instid0(VALU_DEP_1) | instskip(NEXT) | instid1(VALU_DEP_1)
	v_dual_add_nc_u32 v1, v1, v69 :: v_dual_add_nc_u32 v2, v2, v68
	v_dual_cndmask_b32 v1, v1, v69, s1 :: v_dual_cndmask_b32 v2, v2, v68, s1
	s_delay_alu instid0(VALU_DEP_1) | instskip(NEXT) | instid1(VALU_DEP_2)
	v_mov_b32_dpp v3, v1 row_shr:2 row_mask:0xf bank_mask:0xf
	v_mov_b32_dpp v4, v2 row_shr:2 row_mask:0xf bank_mask:0xf
	s_delay_alu instid0(VALU_DEP_1) | instskip(NEXT) | instid1(VALU_DEP_1)
	v_dual_add_nc_u32 v3, v1, v3 :: v_dual_add_nc_u32 v4, v2, v4
	v_dual_cndmask_b32 v1, v1, v3, s0 :: v_dual_cndmask_b32 v2, v2, v4, s0
	s_delay_alu instid0(VALU_DEP_1) | instskip(NEXT) | instid1(VALU_DEP_2)
	v_mov_b32_dpp v3, v1 row_shr:4 row_mask:0xf bank_mask:0xf
	v_mov_b32_dpp v4, v2 row_shr:4 row_mask:0xf bank_mask:0xf
	;; [unrolled: 6-line block ×3, first 2 shown]
	s_delay_alu instid0(VALU_DEP_1) | instskip(NEXT) | instid1(VALU_DEP_1)
	v_dual_add_nc_u32 v3, v1, v3 :: v_dual_add_nc_u32 v4, v2, v4
	v_dual_cndmask_b32 v1, v1, v3 :: v_dual_cndmask_b32 v2, v2, v4
	v_cmp_eq_u32_e32 vcc_lo, 0, v67
	ds_swizzle_b32 v3, v1 offset:swizzle(BROADCAST,32,15)
	ds_swizzle_b32 v4, v2 offset:swizzle(BROADCAST,32,15)
	s_wait_dscnt 0x0
	v_dual_add_nc_u32 v3, v1, v3 :: v_dual_add_nc_u32 v4, v2, v4
	v_cmpx_eq_u32_e64 v0, v66
; %bb.112:
	s_delay_alu instid0(VALU_DEP_2) | instskip(NEXT) | instid1(VALU_DEP_3)
	v_dual_lshlrev_b32 v5, 3, v64 :: v_dual_cndmask_b32 v7, v3, v1, vcc_lo
	v_cndmask_b32_e32 v6, v4, v2, vcc_lo
	ds_store_b64 v5, v[6:7]
; %bb.113:
	s_or_b32 exec_lo, exec_lo, s3
	s_delay_alu instid0(SALU_CYCLE_1)
	s_mov_b32 s3, exec_lo
	s_wait_dscnt 0x0
	s_barrier_signal -1
	s_barrier_wait -1
	v_cmpx_gt_u32_e32 8, v0
	s_cbranch_execz .LBB636_115
; %bb.114:
	v_dual_lshlrev_b32 v5, 3, v0 :: v_dual_bitop2_b32 v22, 7, v63 bitop3:0x40
	ds_load_b64 v[6:7], v5
	v_cmp_eq_u32_e64 s2, 0, v22
	s_wait_dscnt 0x0
	v_mov_b32_dpp v8, v6 row_shr:1 row_mask:0xf bank_mask:0xf
	v_mov_b32_dpp v9, v7 row_shr:1 row_mask:0xf bank_mask:0xf
	s_delay_alu instid0(VALU_DEP_1) | instskip(NEXT) | instid1(VALU_DEP_1)
	v_dual_add_nc_u32 v8, v8, v6 :: v_dual_add_nc_u32 v9, v9, v7
	v_dual_cndmask_b32 v6, v8, v6, s2 :: v_dual_cndmask_b32 v7, v9, v7, s2
	v_cmp_lt_u32_e64 s2, 1, v22
	s_delay_alu instid0(VALU_DEP_2) | instskip(NEXT) | instid1(VALU_DEP_3)
	v_mov_b32_dpp v8, v6 row_shr:2 row_mask:0xf bank_mask:0xf
	v_mov_b32_dpp v9, v7 row_shr:2 row_mask:0xf bank_mask:0xf
	s_delay_alu instid0(VALU_DEP_1) | instskip(NEXT) | instid1(VALU_DEP_1)
	v_dual_add_nc_u32 v8, v6, v8 :: v_dual_add_nc_u32 v9, v7, v9
	v_dual_cndmask_b32 v6, v6, v8, s2 :: v_dual_cndmask_b32 v7, v7, v9, s2
	v_cmp_lt_u32_e64 s2, 3, v22
	s_delay_alu instid0(VALU_DEP_2) | instskip(NEXT) | instid1(VALU_DEP_3)
	v_mov_b32_dpp v8, v6 row_shr:4 row_mask:0xf bank_mask:0xf
	v_mov_b32_dpp v9, v7 row_shr:4 row_mask:0xf bank_mask:0xf
	s_delay_alu instid0(VALU_DEP_1) | instskip(NEXT) | instid1(VALU_DEP_1)
	v_dual_cndmask_b32 v8, 0, v8, s2 :: v_dual_cndmask_b32 v9, 0, v9, s2
	v_dual_add_nc_u32 v6, v8, v6 :: v_dual_add_nc_u32 v7, v9, v7
	ds_store_b64 v5, v[6:7]
.LBB636_115:
	s_or_b32 exec_lo, exec_lo, s3
	v_dual_cndmask_b32 v1, v3, v1 :: v_dual_cndmask_b32 v2, v4, v2
	s_mov_b32 s3, exec_lo
	v_cmp_gt_u32_e32 vcc_lo, 32, v0
	s_wait_dscnt 0x0
	s_barrier_signal -1
	s_barrier_wait -1
                                        ; implicit-def: $vgpr22
	v_cmpx_lt_u32_e32 31, v0
	s_cbranch_execz .LBB636_117
; %bb.116:
	v_lshl_add_u32 v3, v64, 3, -8
	ds_load_b64 v[22:23], v3
	s_wait_dscnt 0x0
	v_dual_add_nc_u32 v1, v23, v1 :: v_dual_add_nc_u32 v2, v22, v2
.LBB636_117:
	s_or_b32 exec_lo, exec_lo, s3
	v_sub_co_u32 v3, s2, v63, 1
	s_delay_alu instid0(VALU_DEP_1) | instskip(NEXT) | instid1(VALU_DEP_1)
	v_cmp_gt_i32_e64 s3, 0, v3
	v_cndmask_b32_e64 v3, v3, v63, s3
	s_delay_alu instid0(VALU_DEP_1)
	v_lshlrev_b32_e32 v3, 2, v3
	ds_bpermute_b32 v70, v3, v2
	ds_bpermute_b32 v1, v3, v1
	s_and_saveexec_b32 s3, vcc_lo
	s_cbranch_execz .LBB636_136
; %bb.118:
	v_mov_b32_e32 v5, 0
	ds_load_b64 v[2:3], v5 offset:56
	s_and_saveexec_b32 s7, s2
	s_cbranch_execz .LBB636_120
; %bb.119:
	s_add_co_i32 s8, s33, 32
	s_mov_b32 s9, 0
	v_mov_b32_e32 v4, 1
	s_lshl_b64 s[8:9], s[8:9], 4
	s_wait_kmcnt 0x0
	s_add_nc_u64 s[8:9], s[4:5], s[8:9]
	s_delay_alu instid0(SALU_CYCLE_1)
	v_mov_b64_e32 v[6:7], s[8:9]
	s_wait_dscnt 0x0
	;;#ASMSTART
	global_store_b128 v[6:7], v[2:5] off scope:SCOPE_DEV	
s_wait_storecnt 0x0
	;;#ASMEND
.LBB636_120:
	s_or_b32 exec_lo, exec_lo, s7
	v_xad_u32 v24, v63, -1, s33
	s_mov_b32 s8, 0
	s_mov_b32 s7, exec_lo
	s_delay_alu instid0(VALU_DEP_1) | instskip(SKIP_1) | instid1(VALU_DEP_1)
	v_add_nc_u32_e32 v4, 32, v24
	s_wait_kmcnt 0x0
	v_lshl_add_u64 v[4:5], v[4:5], 4, s[4:5]
	;;#ASMSTART
	global_load_b128 v[6:9], v[4:5] off scope:SCOPE_DEV	
s_wait_loadcnt 0x0
	;;#ASMEND
	v_and_b32_e32 v9, 0xff, v8
	s_delay_alu instid0(VALU_DEP_1)
	v_cmpx_eq_u16_e32 0, v9
	s_cbranch_execz .LBB636_123
.LBB636_121:                            ; =>This Inner Loop Header: Depth=1
	;;#ASMSTART
	global_load_b128 v[6:9], v[4:5] off scope:SCOPE_DEV	
s_wait_loadcnt 0x0
	;;#ASMEND
	v_and_b32_e32 v9, 0xff, v8
	s_delay_alu instid0(VALU_DEP_1) | instskip(SKIP_1) | instid1(SALU_CYCLE_1)
	v_cmp_ne_u16_e32 vcc_lo, 0, v9
	s_or_b32 s8, vcc_lo, s8
	s_and_not1_b32 exec_lo, exec_lo, s8
	s_cbranch_execnz .LBB636_121
; %bb.122:
	s_or_b32 exec_lo, exec_lo, s8
.LBB636_123:
	s_delay_alu instid0(SALU_CYCLE_1)
	s_or_b32 exec_lo, exec_lo, s7
	v_cmp_ne_u32_e32 vcc_lo, 31, v63
	v_lshlrev_b32_e64 v72, v63, -1
	v_lshl_or_b32 v79, v63, 2, 64
	v_dual_add_nc_u32 v76, 4, v63 :: v_dual_add_nc_u32 v80, 16, v63
	v_add_co_ci_u32_e64 v4, null, 0, v63, vcc_lo
	s_delay_alu instid0(VALU_DEP_1)
	v_lshlrev_b32_e32 v71, 2, v4
	v_and_b32_e32 v4, 0xff, v8
	ds_bpermute_b32 v5, v71, v7
	v_cmp_eq_u16_e32 vcc_lo, 2, v4
	s_wait_dscnt 0x0
	v_add_nc_u32_e32 v5, v5, v7
	ds_bpermute_b32 v4, v71, v6
	v_and_b32_e32 v9, vcc_lo, v72
	v_cmp_gt_u32_e32 vcc_lo, 30, v63
	v_cndmask_b32_e64 v25, 0, 2, vcc_lo
	s_delay_alu instid0(VALU_DEP_1) | instskip(SKIP_3) | instid1(VALU_DEP_1)
	v_add_lshl_u32 v73, v25, v63, 2
	s_wait_dscnt 0x0
	v_add_nc_u32_e32 v4, v4, v6
	v_or_b32_e32 v9, 0x80000000, v9
	v_ctz_i32_b32_e32 v9, v9
	s_delay_alu instid0(VALU_DEP_1) | instskip(NEXT) | instid1(VALU_DEP_4)
	v_cmp_lt_u32_e32 vcc_lo, v63, v9
	v_dual_cndmask_b32 v5, v7, v5 :: v_dual_cndmask_b32 v4, v6, v4
	v_cmp_gt_u32_e32 vcc_lo, 28, v63
	ds_bpermute_b32 v6, v73, v5
	ds_bpermute_b32 v7, v73, v4
	v_add_nc_u32_e32 v74, 2, v63
	v_cndmask_b32_e64 v25, 0, 4, vcc_lo
	s_delay_alu instid0(VALU_DEP_1) | instskip(SKIP_4) | instid1(VALU_DEP_2)
	v_add_lshl_u32 v75, v25, v63, 2
	s_wait_dscnt 0x1
	v_add_nc_u32_e32 v6, v5, v6
	v_cmp_gt_u32_e32 vcc_lo, v74, v9
	s_wait_dscnt 0x0
	v_dual_add_nc_u32 v7, v4, v7 :: v_dual_cndmask_b32 v5, v6, v5, vcc_lo
	s_delay_alu instid0(VALU_DEP_1)
	v_cndmask_b32_e32 v4, v7, v4, vcc_lo
	v_cmp_gt_u32_e32 vcc_lo, 24, v63
	ds_bpermute_b32 v6, v75, v5
	ds_bpermute_b32 v7, v75, v4
	v_cndmask_b32_e64 v25, 0, 8, vcc_lo
	v_cmp_gt_u32_e32 vcc_lo, v76, v9
	s_delay_alu instid0(VALU_DEP_2) | instskip(SKIP_3) | instid1(VALU_DEP_1)
	v_add_lshl_u32 v77, v25, v63, 2
	s_wait_dscnt 0x1
	v_dual_mov_b32 v25, 0 :: v_dual_add_nc_u32 v6, v5, v6
	s_wait_dscnt 0x0
	v_dual_add_nc_u32 v7, v4, v7 :: v_dual_cndmask_b32 v5, v6, v5, vcc_lo
	s_delay_alu instid0(VALU_DEP_1) | instskip(SKIP_4) | instid1(VALU_DEP_1)
	v_cndmask_b32_e32 v4, v7, v4, vcc_lo
	ds_bpermute_b32 v6, v77, v5
	ds_bpermute_b32 v7, v77, v4
	s_wait_dscnt 0x1
	v_dual_add_nc_u32 v78, 8, v63 :: v_dual_add_nc_u32 v6, v5, v6
	v_cmp_gt_u32_e32 vcc_lo, v78, v9
	s_wait_dscnt 0x0
	s_delay_alu instid0(VALU_DEP_2) | instskip(NEXT) | instid1(VALU_DEP_1)
	v_dual_add_nc_u32 v7, v4, v7 :: v_dual_cndmask_b32 v5, v6, v5, vcc_lo
	v_cndmask_b32_e32 v4, v7, v4, vcc_lo
	v_cmp_le_u32_e32 vcc_lo, v80, v9
	ds_bpermute_b32 v7, v79, v5
	ds_bpermute_b32 v6, v79, v4
	s_wait_dscnt 0x0
	v_dual_cndmask_b32 v7, 0, v7 :: v_dual_cndmask_b32 v6, 0, v6
	s_delay_alu instid0(VALU_DEP_1)
	v_dual_add_nc_u32 v7, v7, v5 :: v_dual_add_nc_u32 v6, v6, v4
	s_branch .LBB636_127
.LBB636_124:                            ;   in Loop: Header=BB636_127 Depth=1
	s_or_b32 exec_lo, exec_lo, s8
.LBB636_125:                            ;   in Loop: Header=BB636_127 Depth=1
	s_delay_alu instid0(SALU_CYCLE_1)
	s_or_b32 exec_lo, exec_lo, s7
	ds_bpermute_b32 v9, v71, v6
	ds_bpermute_b32 v26, v71, v7
	v_and_b32_e32 v27, 0xff, v8
	v_subrev_nc_u32_e32 v24, 32, v24
	s_mov_b32 s7, 0
	s_delay_alu instid0(VALU_DEP_2) | instskip(SKIP_1) | instid1(VALU_DEP_1)
	v_cmp_eq_u16_e32 vcc_lo, 2, v27
	v_and_or_b32 v27, vcc_lo, v72, 0x80000000
	v_ctz_i32_b32_e32 v27, v27
	s_wait_dscnt 0x0
	v_dual_add_nc_u32 v9, v9, v6 :: v_dual_add_nc_u32 v26, v26, v7
	s_delay_alu instid0(VALU_DEP_2) | instskip(NEXT) | instid1(VALU_DEP_2)
	v_cmp_lt_u32_e32 vcc_lo, v63, v27
	v_dual_cndmask_b32 v7, v7, v26 :: v_dual_cndmask_b32 v6, v6, v9
	v_cmp_gt_u32_e32 vcc_lo, v74, v27
	ds_bpermute_b32 v26, v73, v7
	ds_bpermute_b32 v9, v73, v6
	s_wait_dscnt 0x0
	v_dual_add_nc_u32 v26, v7, v26 :: v_dual_add_nc_u32 v9, v6, v9
	s_delay_alu instid0(VALU_DEP_1)
	v_dual_cndmask_b32 v7, v26, v7 :: v_dual_cndmask_b32 v6, v9, v6
	v_cmp_gt_u32_e32 vcc_lo, v76, v27
	ds_bpermute_b32 v26, v75, v7
	ds_bpermute_b32 v9, v75, v6
	s_wait_dscnt 0x0
	v_dual_add_nc_u32 v26, v7, v26 :: v_dual_add_nc_u32 v9, v6, v9
	s_delay_alu instid0(VALU_DEP_1)
	;; [unrolled: 7-line block ×3, first 2 shown]
	v_dual_cndmask_b32 v7, v26, v7 :: v_dual_cndmask_b32 v6, v9, v6
	v_cmp_le_u32_e32 vcc_lo, v80, v27
	ds_bpermute_b32 v26, v79, v7
	ds_bpermute_b32 v9, v79, v6
	s_wait_dscnt 0x0
	v_dual_cndmask_b32 v26, 0, v26 :: v_dual_cndmask_b32 v9, 0, v9
	s_delay_alu instid0(VALU_DEP_1) | instskip(NEXT) | instid1(VALU_DEP_2)
	v_add3_u32 v7, v7, v5, v26
	v_add3_u32 v6, v6, v4, v9
.LBB636_126:                            ;   in Loop: Header=BB636_127 Depth=1
	s_and_b32 vcc_lo, exec_lo, s7
	s_cbranch_vccnz .LBB636_132
.LBB636_127:                            ; =>This Loop Header: Depth=1
                                        ;     Child Loop BB636_130 Depth 2
	v_and_b32_e32 v4, 0xff, v8
	s_mov_b32 s7, -1
                                        ; implicit-def: $vgpr8
	s_delay_alu instid0(VALU_DEP_1)
	v_cmp_ne_u16_e32 vcc_lo, 2, v4
	v_mov_b64_e32 v[4:5], v[6:7]
                                        ; implicit-def: $vgpr6_vgpr7
	s_cmp_lg_u32 vcc_lo, exec_lo
	s_cbranch_scc1 .LBB636_126
; %bb.128:                              ;   in Loop: Header=BB636_127 Depth=1
	v_lshl_add_u64 v[26:27], v[24:25], 4, s[4:5]
	;;#ASMSTART
	global_load_b128 v[6:9], v[26:27] off scope:SCOPE_DEV	
s_wait_loadcnt 0x0
	;;#ASMEND
	v_and_b32_e32 v9, 0xff, v8
	s_mov_b32 s7, exec_lo
	s_delay_alu instid0(VALU_DEP_1)
	v_cmpx_eq_u16_e32 0, v9
	s_cbranch_execz .LBB636_125
; %bb.129:                              ;   in Loop: Header=BB636_127 Depth=1
	s_mov_b32 s8, 0
.LBB636_130:                            ;   Parent Loop BB636_127 Depth=1
                                        ; =>  This Inner Loop Header: Depth=2
	;;#ASMSTART
	global_load_b128 v[6:9], v[26:27] off scope:SCOPE_DEV	
s_wait_loadcnt 0x0
	;;#ASMEND
	v_and_b32_e32 v9, 0xff, v8
	s_delay_alu instid0(VALU_DEP_1) | instskip(SKIP_1) | instid1(SALU_CYCLE_1)
	v_cmp_ne_u16_e32 vcc_lo, 0, v9
	s_or_b32 s8, vcc_lo, s8
	s_and_not1_b32 exec_lo, exec_lo, s8
	s_cbranch_execnz .LBB636_130
	s_branch .LBB636_124
.LBB636_131:
                                        ; implicit-def: $vgpr1
                                        ; implicit-def: $vgpr4
                                        ; implicit-def: $vgpr6
                                        ; implicit-def: $vgpr8
                                        ; implicit-def: $vgpr22
	s_and_b32 vcc_lo, exec_lo, s3
	s_cbranch_vccnz .LBB636_137
	s_branch .LBB636_146
.LBB636_132:
	s_and_saveexec_b32 s7, s2
	s_cbranch_execz .LBB636_134
; %bb.133:
	s_add_co_i32 s8, s33, 32
	s_mov_b32 s9, 0
	v_dual_mov_b32 v8, 2 :: v_dual_mov_b32 v9, 0
	s_lshl_b64 s[8:9], s[8:9], 4
	v_dual_add_nc_u32 v7, v5, v3 :: v_dual_add_nc_u32 v6, v4, v2
	s_add_nc_u64 s[8:9], s[4:5], s[8:9]
	s_delay_alu instid0(SALU_CYCLE_1)
	v_mov_b64_e32 v[24:25], s[8:9]
	;;#ASMSTART
	global_store_b128 v[24:25], v[6:9] off scope:SCOPE_DEV	
s_wait_storecnt 0x0
	;;#ASMEND
	ds_store_b128 v9, v[2:5] offset:13312
.LBB636_134:
	s_or_b32 exec_lo, exec_lo, s7
	v_cmp_eq_u32_e32 vcc_lo, 0, v0
	s_and_b32 exec_lo, exec_lo, vcc_lo
; %bb.135:
	v_mov_b32_e32 v2, 0
	ds_store_b64 v2, v[4:5] offset:56
.LBB636_136:
	s_or_b32 exec_lo, exec_lo, s3
	s_wait_dscnt 0x0
	v_dual_mov_b32 v2, 0 :: v_dual_cndmask_b32 v1, v1, v23, s2
	s_barrier_signal -1
	s_barrier_wait -1
	ds_load_b64 v[8:9], v2 offset:56
	s_wait_dscnt 0x0
	s_barrier_signal -1
	s_barrier_wait -1
	ds_load_b128 v[2:5], v2 offset:13312
	v_cndmask_b32_e64 v6, v70, v22, s2
	v_cmp_eq_u32_e32 vcc_lo, 0, v0
	s_delay_alu instid0(VALU_DEP_2) | instskip(SKIP_2) | instid1(VALU_DEP_2)
	v_dual_add_nc_u32 v1, v9, v1 :: v_dual_add_nc_u32 v7, v8, v6
	s_wait_dscnt 0x0
	v_mov_b32_e32 v6, v5
	v_dual_cndmask_b32 v1, v1, v9 :: v_dual_cndmask_b32 v22, v7, v8
	v_mov_b32_e32 v8, v3
	s_branch .LBB636_146
.LBB636_137:
	v_mov_b32_dpp v1, v68 row_shr:1 row_mask:0xf bank_mask:0xf
	v_mov_b32_dpp v2, v69 row_shr:1 row_mask:0xf bank_mask:0xf
	v_cmp_lt_u32_e32 vcc_lo, 3, v65
	s_delay_alu instid0(VALU_DEP_2) | instskip(NEXT) | instid1(VALU_DEP_1)
	v_dual_add_nc_u32 v1, v1, v68 :: v_dual_add_nc_u32 v2, v2, v69
	v_dual_cndmask_b32 v1, v1, v68, s1 :: v_dual_cndmask_b32 v2, v2, v69, s1
	s_mov_b32 s1, exec_lo
	s_delay_alu instid0(VALU_DEP_1) | instskip(NEXT) | instid1(VALU_DEP_2)
	v_mov_b32_dpp v3, v1 row_shr:2 row_mask:0xf bank_mask:0xf
	v_mov_b32_dpp v4, v2 row_shr:2 row_mask:0xf bank_mask:0xf
	s_delay_alu instid0(VALU_DEP_1) | instskip(NEXT) | instid1(VALU_DEP_1)
	v_dual_add_nc_u32 v3, v1, v3 :: v_dual_add_nc_u32 v4, v2, v4
	v_dual_cndmask_b32 v1, v1, v3, s0 :: v_dual_cndmask_b32 v2, v2, v4, s0
	s_delay_alu instid0(VALU_DEP_1) | instskip(NEXT) | instid1(VALU_DEP_2)
	v_mov_b32_dpp v3, v1 row_shr:4 row_mask:0xf bank_mask:0xf
	v_mov_b32_dpp v4, v2 row_shr:4 row_mask:0xf bank_mask:0xf
	s_delay_alu instid0(VALU_DEP_1) | instskip(NEXT) | instid1(VALU_DEP_1)
	v_dual_add_nc_u32 v3, v1, v3 :: v_dual_add_nc_u32 v4, v2, v4
	v_dual_cndmask_b32 v3, v1, v3 :: v_dual_cndmask_b32 v2, v2, v4
	v_cmp_lt_u32_e32 vcc_lo, 7, v65
	s_delay_alu instid0(VALU_DEP_2) | instskip(NEXT) | instid1(VALU_DEP_3)
	v_mov_b32_dpp v1, v3 row_shr:8 row_mask:0xf bank_mask:0xf
	v_mov_b32_dpp v4, v2 row_shr:8 row_mask:0xf bank_mask:0xf
	s_delay_alu instid0(VALU_DEP_1) | instskip(NEXT) | instid1(VALU_DEP_1)
	v_dual_add_nc_u32 v5, v3, v1 :: v_dual_add_nc_u32 v1, v2, v4
	v_cndmask_b32_e32 v1, v2, v1, vcc_lo
	s_delay_alu instid0(VALU_DEP_2)
	v_cndmask_b32_e32 v2, v3, v5, vcc_lo
	v_cmp_eq_u32_e32 vcc_lo, 0, v67
	ds_swizzle_b32 v4, v2 offset:swizzle(BROADCAST,32,15)
	s_wait_dscnt 0x0
	v_add_nc_u32_e32 v4, v2, v4
	ds_swizzle_b32 v3, v1 offset:swizzle(BROADCAST,32,15)
	s_wait_dscnt 0x0
	v_add_nc_u32_e32 v3, v1, v3
	v_cmpx_eq_u32_e64 v0, v66
; %bb.138:
	s_delay_alu instid0(VALU_DEP_2)
	v_dual_cndmask_b32 v6, v4, v2 :: v_dual_cndmask_b32 v7, v3, v1
	v_lshlrev_b32_e32 v5, 3, v64
	ds_store_b64 v5, v[6:7]
; %bb.139:
	s_or_b32 exec_lo, exec_lo, s1
	s_delay_alu instid0(SALU_CYCLE_1)
	s_mov_b32 s1, exec_lo
	s_wait_dscnt 0x0
	s_barrier_signal -1
	s_barrier_wait -1
	v_cmpx_gt_u32_e32 8, v0
	s_cbranch_execz .LBB636_141
; %bb.140:
	v_dual_lshlrev_b32 v5, 3, v0 :: v_dual_bitop2_b32 v22, 7, v63 bitop3:0x40
	ds_load_b64 v[6:7], v5
	v_cmp_eq_u32_e64 s0, 0, v22
	s_wait_dscnt 0x0
	v_mov_b32_dpp v8, v6 row_shr:1 row_mask:0xf bank_mask:0xf
	v_mov_b32_dpp v9, v7 row_shr:1 row_mask:0xf bank_mask:0xf
	s_delay_alu instid0(VALU_DEP_1) | instskip(NEXT) | instid1(VALU_DEP_1)
	v_dual_add_nc_u32 v8, v8, v6 :: v_dual_add_nc_u32 v9, v9, v7
	v_dual_cndmask_b32 v6, v8, v6, s0 :: v_dual_cndmask_b32 v7, v9, v7, s0
	v_cmp_lt_u32_e64 s0, 1, v22
	s_delay_alu instid0(VALU_DEP_2) | instskip(NEXT) | instid1(VALU_DEP_3)
	v_mov_b32_dpp v8, v6 row_shr:2 row_mask:0xf bank_mask:0xf
	v_mov_b32_dpp v9, v7 row_shr:2 row_mask:0xf bank_mask:0xf
	s_delay_alu instid0(VALU_DEP_1) | instskip(NEXT) | instid1(VALU_DEP_1)
	v_dual_add_nc_u32 v8, v6, v8 :: v_dual_add_nc_u32 v9, v7, v9
	v_dual_cndmask_b32 v6, v6, v8, s0 :: v_dual_cndmask_b32 v7, v7, v9, s0
	v_cmp_lt_u32_e64 s0, 3, v22
	s_delay_alu instid0(VALU_DEP_2) | instskip(NEXT) | instid1(VALU_DEP_3)
	v_mov_b32_dpp v8, v6 row_shr:4 row_mask:0xf bank_mask:0xf
	v_mov_b32_dpp v9, v7 row_shr:4 row_mask:0xf bank_mask:0xf
	s_delay_alu instid0(VALU_DEP_1) | instskip(NEXT) | instid1(VALU_DEP_1)
	v_dual_cndmask_b32 v8, 0, v8, s0 :: v_dual_cndmask_b32 v9, 0, v9, s0
	v_dual_add_nc_u32 v6, v8, v6 :: v_dual_add_nc_u32 v7, v9, v7
	ds_store_b64 v5, v[6:7]
.LBB636_141:
	s_or_b32 exec_lo, exec_lo, s1
	v_dual_mov_b32 v5, 0 :: v_dual_mov_b32 v6, 0
	v_mov_b32_e32 v7, 0
	s_mov_b32 s1, exec_lo
	s_wait_dscnt 0x0
	s_barrier_signal -1
	s_barrier_wait -1
	v_cmpx_lt_u32_e32 31, v0
; %bb.142:
	v_lshl_add_u32 v6, v64, 3, -8
	ds_load_b64 v[6:7], v6
; %bb.143:
	s_or_b32 exec_lo, exec_lo, s1
	v_sub_co_u32 v8, s0, v63, 1
	v_dual_cndmask_b32 v2, v4, v2 :: v_dual_cndmask_b32 v1, v3, v1
	v_cmp_eq_u32_e32 vcc_lo, 0, v0
	s_delay_alu instid0(VALU_DEP_3) | instskip(SKIP_1) | instid1(VALU_DEP_1)
	v_cmp_gt_i32_e64 s1, 0, v8
	s_wait_dscnt 0x0
	v_dual_add_nc_u32 v2, v6, v2 :: v_dual_cndmask_b32 v4, v8, v63, s1
	s_delay_alu instid0(VALU_DEP_1)
	v_dual_lshlrev_b32 v3, 2, v4 :: v_dual_add_nc_u32 v4, v7, v1
	ds_bpermute_b32 v1, v3, v2
	ds_bpermute_b32 v8, v3, v4
	ds_load_b64 v[2:3], v5 offset:56
	s_and_saveexec_b32 s1, vcc_lo
	s_cbranch_execz .LBB636_145
; %bb.144:
	s_wait_kmcnt 0x0
	s_add_nc_u64 s[2:3], s[4:5], 0x200
	v_dual_mov_b32 v4, 2 :: v_dual_mov_b32 v5, 0
	v_mov_b64_e32 v[22:23], s[2:3]
	s_wait_dscnt 0x0
	;;#ASMSTART
	global_store_b128 v[22:23], v[2:5] off scope:SCOPE_DEV	
s_wait_storecnt 0x0
	;;#ASMEND
.LBB636_145:
	s_or_b32 exec_lo, exec_lo, s1
	s_wait_dscnt 0x1
	v_dual_cndmask_b32 v5, v8, v7, s0 :: v_dual_cndmask_b32 v7, v1, v6, s0
	v_dual_mov_b32 v6, 0 :: v_dual_mov_b32 v4, 0
	s_wait_dscnt 0x0
	v_mov_b32_e32 v8, v3
	s_delay_alu instid0(VALU_DEP_3)
	v_cndmask_b32_e64 v1, v5, 0, vcc_lo
	v_cndmask_b32_e64 v22, v7, 0, vcc_lo
	s_barrier_signal -1
	s_barrier_wait -1
.LBB636_146:
	s_delay_alu instid0(VALU_DEP_1) | instskip(SKIP_1) | instid1(VALU_DEP_2)
	v_dual_add_nc_u32 v62, v1, v62 :: v_dual_add_nc_u32 v70, v22, v61
	v_dual_mov_b32 v5, 0 :: v_dual_lshrrev_b32 v68, 16, v37
	v_dual_lshrrev_b32 v3, 8, v37 :: v_dual_add_nc_u32 v71, v62, v60
	s_delay_alu instid0(VALU_DEP_3) | instskip(SKIP_1) | instid1(VALU_DEP_3)
	v_dual_add_nc_u32 v59, v70, v59 :: v_dual_lshlrev_b32 v60, 1, v2
	v_dual_sub_nc_u32 v72, v22, v4 :: v_dual_sub_nc_u32 v1, v1, v6
	v_dual_add_nc_u32 v73, v71, v44 :: v_dual_bitop2_b32 v74, 1, v31 bitop3:0x40
	s_delay_alu instid0(VALU_DEP_3) | instskip(NEXT) | instid1(VALU_DEP_3)
	v_dual_add_nc_u32 v58, v59, v58 :: v_dual_bitop2_b32 v75, 1, v3 bitop3:0x40
	v_dual_add_nc_u32 v1, v1, v2 :: v_dual_sub_nc_u32 v70, v70, v4
	s_delay_alu instid0(VALU_DEP_2)
	v_dual_add_nc_u32 v57, v73, v57 :: v_dual_add_nc_u32 v76, v58, v43
	v_mov_b32_e32 v61, v5
	s_wait_kmcnt 0x0
	v_add_nc_u64_e32 v[22:23], s[28:29], v[4:5]
	v_dual_mov_b32 v3, v5 :: v_dual_mov_b32 v7, v5
	v_dual_add_nc_u32 v55, v76, v55 :: v_dual_add_nc_u32 v56, v57, v56
	v_cmp_eq_u32_e32 vcc_lo, 1, v75
	v_dual_lshrrev_b32 v69, 8, v31 :: v_dual_lshrrev_b32 v67, 16, v31
	s_delay_alu instid0(VALU_DEP_3) | instskip(NEXT) | instid1(VALU_DEP_4)
	v_dual_add_nc_u32 v53, v55, v53 :: v_dual_mov_b32 v9, v5
	v_add_nc_u32_e32 v54, v56, v54
	v_add3_u32 v5, v60, v8, v30
	s_delay_alu instid0(VALU_DEP_3) | instskip(NEXT) | instid1(VALU_DEP_3)
	v_dual_sub_nc_u32 v62, v62, v6 :: v_dual_add_nc_u32 v51, v53, v51
	v_dual_add_nc_u32 v78, v72, v1 :: v_dual_add_nc_u32 v77, v54, v42
	s_delay_alu instid0(VALU_DEP_2) | instskip(NEXT) | instid1(VALU_DEP_2)
	v_dual_sub_nc_u32 v59, v59, v4 :: v_dual_add_nc_u32 v62, v62, v2
	v_dual_add_nc_u32 v79, v51, v41 :: v_dual_sub_nc_u32 v78, v5, v78
	s_delay_alu instid0(VALU_DEP_3) | instskip(SKIP_1) | instid1(VALU_DEP_3)
	v_add_nc_u32_e32 v52, v77, v52
	v_dual_sub_nc_u32 v73, v73, v6 :: v_dual_sub_nc_u32 v58, v58, v4
	v_add_nc_u32_e32 v48, v79, v48
	s_delay_alu instid0(VALU_DEP_4) | instskip(SKIP_2) | instid1(VALU_DEP_4)
	v_dual_sub_nc_u32 v71, v71, v6 :: v_dual_cndmask_b32 v1, v78, v1, vcc_lo
	v_cmp_eq_u32_e32 vcc_lo, 1, v74
	v_add_nc_u32_e32 v50, v52, v50
	v_dual_add_nc_u32 v80, v62, v70 :: v_dual_add_nc_u32 v47, v48, v47
	v_dual_lshrrev_b32 v66, 8, v32 :: v_dual_lshrrev_b32 v65, 16, v32
	v_dual_cndmask_b32 v1, v1, v72, vcc_lo :: v_dual_add_nc_u32 v71, v71, v2
	s_delay_alu instid0(VALU_DEP_3) | instskip(NEXT) | instid1(VALU_DEP_4)
	v_dual_add_nc_u32 v49, v50, v49 :: v_dual_add_nc_u32 v46, v47, v46
	v_sub_nc_u32_e32 v74, v5, v80
	s_delay_alu instid0(VALU_DEP_3) | instskip(NEXT) | instid1(VALU_DEP_3)
	v_dual_add_nc_u32 v75, v71, v59 :: v_dual_bitop2_b32 v68, 1, v68 bitop3:0x40
	v_dual_add_nc_u32 v72, v49, v40 :: v_dual_bitop2_b32 v69, 1, v69 bitop3:0x40
	s_delay_alu instid0(VALU_DEP_3) | instskip(NEXT) | instid1(VALU_DEP_3)
	v_add_nc_u32_e32 v74, 1, v74
	v_cmp_eq_u32_e32 vcc_lo, 1, v68
	s_delay_alu instid0(VALU_DEP_3) | instskip(SKIP_1) | instid1(VALU_DEP_4)
	v_dual_sub_nc_u32 v75, v5, v75 :: v_dual_add_nc_u32 v45, v72, v45
	v_dual_add_nc_u32 v68, v73, v2 :: v_dual_bitop2_b32 v44, 1, v44 bitop3:0x40
	v_cndmask_b32_e32 v62, v74, v62, vcc_lo
	v_cmp_eq_u32_e32 vcc_lo, 1, v69
	s_delay_alu instid0(VALU_DEP_3)
	v_dual_add_nc_u32 v73, 2, v75 :: v_dual_add_nc_u32 v69, v58, v68
	v_dual_lshlrev_b32 v1, 2, v1 :: v_dual_bitop2_b32 v67, 1, v67 bitop3:0x40
	v_add_nc_u32_e32 v78, v46, v39
	v_cndmask_b32_e32 v62, v62, v70, vcc_lo
	v_cmp_eq_u32_e32 vcc_lo, 1, v44
	v_dual_sub_nc_u32 v57, v57, v6 :: v_dual_bitop2_b32 v43, 1, v43 bitop3:0x40
	ds_store_b32 v1, v20
	v_dual_lshlrev_b32 v20, 2, v62 :: v_dual_cndmask_b32 v44, v73, v71, vcc_lo
	v_cmp_eq_u32_e32 vcc_lo, 1, v67
	v_sub_nc_u32_e32 v1, v5, v69
	v_dual_lshrrev_b32 v63, 16, v33 :: v_dual_lshrrev_b32 v64, 8, v33
	ds_store_b32 v20, v21
	v_dual_cndmask_b32 v44, v44, v59, vcc_lo :: v_dual_bitop2_b32 v32, 1, v32 bitop3:0x40
	v_dual_add_nc_u32 v1, 3, v1 :: v_dual_add_nc_u32 v57, v57, v2
	v_dual_sub_nc_u32 v54, v54, v6 :: v_dual_lshrrev_b32 v25, 16, v35
	v_lshrrev_b32_e32 v27, 8, v35
	s_delay_alu instid0(VALU_DEP_4)
	v_cmp_eq_u32_e32 vcc_lo, 1, v32
	v_sub_nc_u32_e32 v56, v56, v6
	v_sub_nc_u32_e32 v32, v76, v4
	v_dual_lshrrev_b32 v26, 8, v36 :: v_dual_lshrrev_b32 v24, 16, v36
	v_cndmask_b32_e32 v1, v1, v68, vcc_lo
	v_cmp_eq_u32_e32 vcc_lo, 1, v43
	v_dual_sub_nc_u32 v55, v55, v4 :: v_dual_add_nc_u32 v56, v56, v2
	v_dual_add_nc_u32 v43, v32, v57 :: v_dual_lshlrev_b32 v21, 2, v44
	s_delay_alu instid0(VALU_DEP_4) | instskip(NEXT) | instid1(VALU_DEP_2)
	v_dual_cndmask_b32 v1, v1, v58, vcc_lo :: v_dual_bitop2_b32 v58, 1, v65 bitop3:0x40
	v_dual_add_nc_u32 v20, v55, v56 :: v_dual_sub_nc_u32 v43, v5, v43
	s_delay_alu instid0(VALU_DEP_2) | instskip(NEXT) | instid1(VALU_DEP_2)
	v_dual_lshlrev_b32 v1, 2, v1 :: v_dual_bitop2_b32 v44, 1, v66 bitop3:0x40
	v_dual_sub_nc_u32 v20, v5, v20 :: v_dual_bitop2_b32 v33, 1, v33 bitop3:0x40
	s_delay_alu instid0(VALU_DEP_3) | instskip(NEXT) | instid1(VALU_DEP_3)
	v_add_nc_u32_e32 v43, 4, v43
	v_cmp_eq_u32_e32 vcc_lo, 1, v44
	v_dual_sub_nc_u32 v53, v53, v4 :: v_dual_add_nc_u32 v54, v54, v2
	s_delay_alu instid0(VALU_DEP_4)
	v_add_nc_u32_e32 v20, 5, v20
	ds_store_b32 v21, v18
	v_cndmask_b32_e32 v43, v43, v57, vcc_lo
	v_cmp_eq_u32_e32 vcc_lo, 1, v58
	v_and_b32_e32 v44, 1, v64
	ds_store_b32 v1, v19
	v_and_b32_e32 v21, 1, v63
	v_sub_nc_u64_e32 v[30:31], s[30:31], v[2:3]
	v_dual_cndmask_b32 v20, v20, v56, vcc_lo :: v_dual_add_nc_u32 v56, v53, v54
	v_cmp_eq_u32_e32 vcc_lo, 1, v33
	v_sub_nc_u32_e32 v33, v52, v6
	s_mov_b32 s41, 0
	s_delay_alu instid0(VALU_DEP_3)
	v_dual_sub_nc_u32 v18, v5, v56 :: v_dual_bitop2_b32 v27, 1, v27 bitop3:0x40
	v_cndmask_b32_e32 v32, v43, v32, vcc_lo
	v_cmp_eq_u32_e32 vcc_lo, 1, v44
	v_add_nc_u64_e32 v[30:31], v[30:31], v[6:7]
	s_add_nc_u64 s[0:1], s[34:35], s[40:41]
	v_dual_add_nc_u32 v18, 6, v18 :: v_dual_cndmask_b32 v20, v20, v55, vcc_lo
	v_dual_lshlrev_b32 v1, 2, v32 :: v_dual_sub_nc_u32 v32, v77, v6
	s_delay_alu instid0(VALU_DEP_2)
	v_dual_lshlrev_b32 v19, 2, v20 :: v_dual_bitop2_b32 v20, 1, v42 bitop3:0x40
	v_sub_nc_u32_e32 v42, v79, v4
	ds_store_b32 v1, v16
	ds_store_b32 v19, v17
	v_cmp_eq_u32_e32 vcc_lo, 1, v20
	v_dual_sub_nc_u32 v20, v51, v4 :: v_dual_add_nc_u32 v32, v32, v2
	v_dual_add_nc_u32 v33, v33, v2 :: v_dual_bitop2_b32 v19, 1, v35 bitop3:0x40
	v_cndmask_b32_e32 v18, v18, v54, vcc_lo
	v_cmp_eq_u32_e32 vcc_lo, 1, v21
	s_delay_alu instid0(VALU_DEP_4) | instskip(NEXT) | instid1(VALU_DEP_3)
	v_add_nc_u32_e32 v21, v20, v32
	v_dual_cndmask_b32 v18, v18, v53 :: v_dual_sub_nc_u32 v35, v48, v4
	v_add_nc_u32_e32 v1, v42, v33
	s_delay_alu instid0(VALU_DEP_3) | instskip(SKIP_1) | instid1(VALU_DEP_4)
	v_dual_sub_nc_u32 v17, v5, v21 :: v_dual_sub_nc_u32 v21, v50, v6
	v_cmp_eq_u32_e32 vcc_lo, 1, v19
	v_dual_lshlrev_b32 v16, 2, v18 :: v_dual_bitop2_b32 v18, 1, v41 bitop3:0x40
	s_delay_alu instid0(VALU_DEP_4) | instskip(NEXT) | instid1(VALU_DEP_4)
	v_sub_nc_u32_e32 v1, v5, v1
	v_dual_add_nc_u32 v17, 7, v17 :: v_dual_add_nc_u32 v21, v21, v2
	ds_store_b32 v16, v14
	v_dual_add_nc_u32 v1, 8, v1 :: v_dual_cndmask_b32 v17, v17, v32, vcc_lo
	v_cmp_eq_u32_e32 vcc_lo, 1, v27
	v_dual_add_nc_u32 v27, v35, v21 :: v_dual_bitop2_b32 v19, 1, v36 bitop3:0x40
	s_delay_alu instid0(VALU_DEP_3) | instskip(SKIP_1) | instid1(VALU_DEP_3)
	v_cndmask_b32_e32 v1, v1, v33, vcc_lo
	v_cmp_eq_u32_e32 vcc_lo, 1, v18
	v_dual_sub_nc_u32 v14, v5, v27 :: v_dual_bitop2_b32 v18, 1, v25 bitop3:0x40
	v_cndmask_b32_e32 v17, v17, v20, vcc_lo
	v_cmp_eq_u32_e32 vcc_lo, 1, v19
	v_dual_sub_nc_u32 v19, v47, v4 :: v_dual_cndmask_b32 v1, v1, v42, vcc_lo
	s_delay_alu instid0(VALU_DEP_4) | instskip(NEXT) | instid1(VALU_DEP_2)
	v_cmp_eq_u32_e32 vcc_lo, 1, v18
	v_lshlrev_b32_e32 v1, 2, v1
	v_dual_lshlrev_b32 v16, 2, v17 :: v_dual_sub_nc_u32 v17, v49, v6
	ds_store_b32 v16, v15
	v_add_nc_u32_e32 v17, v17, v2
	v_add_nc_u32_e32 v14, 9, v14
	ds_store_b32 v1, v12
	v_dual_sub_nc_u32 v16, v45, v6 :: v_dual_add_nc_u32 v15, v19, v17
	v_dual_cndmask_b32 v14, v14, v21, vcc_lo :: v_dual_bitop2_b32 v20, 1, v26 bitop3:0x40
	v_sub_nc_u32_e32 v12, v72, v6
	s_delay_alu instid0(VALU_DEP_3) | instskip(NEXT) | instid1(VALU_DEP_3)
	v_add_nc_u32_e32 v16, v16, v2
	v_cmp_eq_u32_e32 vcc_lo, 1, v20
	v_sub_nc_u32_e32 v20, v78, v4
	v_cndmask_b32_e32 v1, v14, v35, vcc_lo
	v_dual_sub_nc_u32 v14, v5, v15 :: v_dual_bitop2_b32 v15, 1, v40 bitop3:0x40
	v_dual_sub_nc_u32 v18, v46, v4 :: v_dual_add_nc_u32 v12, v12, v2
	s_delay_alu instid0(VALU_DEP_2) | instskip(NEXT) | instid1(VALU_DEP_3)
	v_dual_add_nc_u32 v14, 10, v14 :: v_dual_bitop2_b32 v4, 1, v24 bitop3:0x40
	v_cmp_eq_u32_e32 vcc_lo, 1, v15
	v_add_nc_u32_e32 v15, v20, v16
	s_delay_alu instid0(VALU_DEP_4) | instskip(NEXT) | instid1(VALU_DEP_4)
	v_dual_add_nc_u32 v21, v18, v12 :: v_dual_lshlrev_b32 v1, 2, v1
	v_cndmask_b32_e32 v14, v14, v17, vcc_lo
	v_cmp_eq_u32_e32 vcc_lo, 1, v4
	s_delay_alu instid0(VALU_DEP_3) | instskip(SKIP_4) | instid1(VALU_DEP_3)
	v_dual_sub_nc_u32 v17, v5, v21 :: v_dual_sub_nc_u32 v4, v5, v15
	ds_store_b32 v1, v13
	v_dual_cndmask_b32 v14, v14, v19, vcc_lo :: v_dual_bitop2_b32 v19, 1, v34 bitop3:0x40
	v_dual_add_nc_u32 v17, 11, v17 :: v_dual_bitop2_b32 v15, 1, v39 bitop3:0x40
	v_dual_add_nc_u32 v24, 12, v4 :: v_dual_bitop2_b32 v21, 1, v38 bitop3:0x40
	v_cmp_eq_u32_e32 vcc_lo, 1, v19
	v_add_nc_u64_e32 v[4:5], v[8:9], v[60:61]
	s_delay_alu instid0(VALU_DEP_4) | instskip(SKIP_2) | instid1(VALU_DEP_4)
	v_dual_lshlrev_b32 v14, 2, v14 :: v_dual_cndmask_b32 v12, v17, v12, vcc_lo
	v_and_b32_e32 v17, 1, v37
	v_cmp_eq_u32_e32 vcc_lo, 1, v21
	v_add_nc_u64_e32 v[4:5], v[4:5], v[30:31]
	ds_store_b32 v14, v10
	v_cndmask_b32_e32 v16, v24, v16, vcc_lo
	v_cmp_eq_u32_e32 vcc_lo, 1, v15
	v_add_nc_u64_e32 v[4:5], v[4:5], v[22:23]
	v_cndmask_b32_e32 v12, v12, v18, vcc_lo
	v_cmp_eq_u32_e32 vcc_lo, 1, v17
	v_cndmask_b32_e32 v15, v16, v20, vcc_lo
	v_cmp_ne_u32_e32 vcc_lo, 1, v29
	s_delay_alu instid0(VALU_DEP_2)
	v_dual_lshlrev_b32 v10, 2, v15 :: v_dual_lshlrev_b32 v1, 2, v12
	v_lshlrev_b64_e32 v[12:13], 2, v[30:31]
	v_lshlrev_b64_e32 v[14:15], 2, v[22:23]
	s_and_b32 vcc_lo, exec_lo, vcc_lo
	ds_store_b32 v1, v11
	ds_store_b32 v10, v28
	v_sub_nc_u64_e32 v[10:11], s[0:1], v[4:5]
	v_add_nc_u64_e32 v[4:5], s[38:39], v[12:13]
	v_add_nc_u64_e32 v[12:13], s[36:37], v[14:15]
	v_add_nc_u32_e32 v14, v2, v8
	s_mov_b32 s0, -1
	s_wait_dscnt 0x0
	s_barrier_signal -1
	s_barrier_wait -1
	s_cbranch_vccz .LBB636_150
; %bb.147:
	s_and_b32 vcc_lo, exec_lo, s0
	s_cbranch_vccnz .LBB636_255
.LBB636_148:
	v_cmp_eq_u32_e32 vcc_lo, 0, v0
	s_and_b32 s0, vcc_lo, s15
	s_delay_alu instid0(SALU_CYCLE_1)
	s_and_saveexec_b32 s1, s0
	s_cbranch_execnz .LBB636_373
.LBB636_149:
	s_sendmsg sendmsg(MSG_DEALLOC_VGPRS)
	s_endpgm
.LBB636_150:
	s_mov_b32 s0, exec_lo
	v_cmpx_ge_u32_e64 v0, v2
	s_xor_b32 s0, exec_lo, s0
	s_cbranch_execz .LBB636_156
; %bb.151:
	v_mov_b32_e32 v1, 0
	s_mov_b32 s1, exec_lo
	v_cmpx_ge_u32_e64 v0, v14
	s_xor_b32 s1, exec_lo, s1
	s_cbranch_execz .LBB636_153
; %bb.152:
	v_lshlrev_b32_e32 v15, 2, v0
	v_add_nc_u64_e32 v[16:17], v[10:11], v[0:1]
	ds_load_b32 v1, v15
	v_lshlrev_b64_e32 v[16:17], 2, v[16:17]
	s_delay_alu instid0(VALU_DEP_1)
	v_sub_nc_u64_e32 v[16:17], s[26:27], v[16:17]
	s_wait_dscnt 0x0
	global_store_b32 v[16:17], v1, off offset:-4
.LBB636_153:
	s_wait_xcnt 0x0
	s_and_not1_saveexec_b32 s1, s1
	s_cbranch_execz .LBB636_155
; %bb.154:
	v_lshlrev_b32_e32 v1, 2, v0
	v_readfirstlane_b32 s2, v4
	v_readfirstlane_b32 s3, v5
	ds_load_b32 v1, v1
	s_wait_dscnt 0x0
	global_store_b32 v0, v1, s[2:3] scale_offset
.LBB636_155:
	s_wait_xcnt 0x0
	s_or_b32 exec_lo, exec_lo, s1
.LBB636_156:
	s_and_not1_saveexec_b32 s0, s0
	s_cbranch_execz .LBB636_158
; %bb.157:
	v_lshlrev_b32_e32 v1, 2, v0
	v_readfirstlane_b32 s2, v12
	v_readfirstlane_b32 s3, v13
	ds_load_b32 v1, v1
	s_wait_dscnt 0x0
	global_store_b32 v0, v1, s[2:3] scale_offset
.LBB636_158:
	s_wait_xcnt 0x0
	s_or_b32 exec_lo, exec_lo, s0
	v_or_b32_e32 v1, 0x100, v0
	s_mov_b32 s0, exec_lo
	s_delay_alu instid0(VALU_DEP_1)
	v_cmpx_ge_u32_e64 v1, v2
	s_xor_b32 s0, exec_lo, s0
	s_cbranch_execz .LBB636_164
; %bb.159:
	s_mov_b32 s1, exec_lo
	v_cmpx_ge_u32_e64 v1, v14
	s_xor_b32 s1, exec_lo, s1
	s_cbranch_execz .LBB636_161
; %bb.160:
	v_dual_mov_b32 v1, 0 :: v_dual_lshlrev_b32 v15, 2, v0
	s_delay_alu instid0(VALU_DEP_1) | instskip(SKIP_2) | instid1(VALU_DEP_1)
	v_add_nc_u64_e32 v[16:17], v[10:11], v[0:1]
	ds_load_b32 v1, v15 offset:1024
	v_lshlrev_b64_e32 v[16:17], 2, v[16:17]
	v_sub_nc_u64_e32 v[16:17], s[26:27], v[16:17]
	s_wait_dscnt 0x0
	global_store_b32 v[16:17], v1, off offset:-1028
.LBB636_161:
	s_wait_xcnt 0x0
	s_and_not1_saveexec_b32 s1, s1
	s_cbranch_execz .LBB636_163
; %bb.162:
	v_lshlrev_b32_e32 v1, 2, v0
	v_readfirstlane_b32 s2, v4
	v_readfirstlane_b32 s3, v5
	ds_load_b32 v1, v1 offset:1024
	s_wait_dscnt 0x0
	global_store_b32 v0, v1, s[2:3] offset:1024 scale_offset
.LBB636_163:
	s_wait_xcnt 0x0
	s_or_b32 exec_lo, exec_lo, s1
.LBB636_164:
	s_and_not1_saveexec_b32 s0, s0
	s_cbranch_execz .LBB636_166
; %bb.165:
	v_lshlrev_b32_e32 v1, 2, v0
	v_readfirstlane_b32 s2, v12
	v_readfirstlane_b32 s3, v13
	ds_load_b32 v1, v1 offset:1024
	s_wait_dscnt 0x0
	global_store_b32 v0, v1, s[2:3] offset:1024 scale_offset
.LBB636_166:
	s_wait_xcnt 0x0
	s_or_b32 exec_lo, exec_lo, s0
	v_or_b32_e32 v1, 0x200, v0
	s_mov_b32 s0, exec_lo
	s_delay_alu instid0(VALU_DEP_1)
	v_cmpx_ge_u32_e64 v1, v2
	s_xor_b32 s0, exec_lo, s0
	s_cbranch_execz .LBB636_172
; %bb.167:
	s_mov_b32 s1, exec_lo
	v_cmpx_ge_u32_e64 v1, v14
	s_xor_b32 s1, exec_lo, s1
	s_cbranch_execz .LBB636_169
; %bb.168:
	v_dual_mov_b32 v1, 0 :: v_dual_lshlrev_b32 v15, 2, v0
	s_delay_alu instid0(VALU_DEP_1) | instskip(SKIP_2) | instid1(VALU_DEP_1)
	v_add_nc_u64_e32 v[16:17], v[10:11], v[0:1]
	ds_load_b32 v1, v15 offset:2048
	v_lshlrev_b64_e32 v[16:17], 2, v[16:17]
	v_sub_nc_u64_e32 v[16:17], s[26:27], v[16:17]
	s_wait_dscnt 0x0
	global_store_b32 v[16:17], v1, off offset:-2052
.LBB636_169:
	s_wait_xcnt 0x0
	s_and_not1_saveexec_b32 s1, s1
	s_cbranch_execz .LBB636_171
; %bb.170:
	v_lshlrev_b32_e32 v1, 2, v0
	v_readfirstlane_b32 s2, v4
	v_readfirstlane_b32 s3, v5
	ds_load_b32 v1, v1 offset:2048
	s_wait_dscnt 0x0
	global_store_b32 v0, v1, s[2:3] offset:2048 scale_offset
.LBB636_171:
	s_wait_xcnt 0x0
	s_or_b32 exec_lo, exec_lo, s1
.LBB636_172:
	s_and_not1_saveexec_b32 s0, s0
	s_cbranch_execz .LBB636_174
; %bb.173:
	v_lshlrev_b32_e32 v1, 2, v0
	v_readfirstlane_b32 s2, v12
	v_readfirstlane_b32 s3, v13
	ds_load_b32 v1, v1 offset:2048
	s_wait_dscnt 0x0
	global_store_b32 v0, v1, s[2:3] offset:2048 scale_offset
.LBB636_174:
	s_wait_xcnt 0x0
	s_or_b32 exec_lo, exec_lo, s0
	v_or_b32_e32 v1, 0x300, v0
	s_mov_b32 s0, exec_lo
	s_delay_alu instid0(VALU_DEP_1)
	v_cmpx_ge_u32_e64 v1, v2
	s_xor_b32 s0, exec_lo, s0
	s_cbranch_execz .LBB636_180
; %bb.175:
	s_mov_b32 s1, exec_lo
	v_cmpx_ge_u32_e64 v1, v14
	s_xor_b32 s1, exec_lo, s1
	s_cbranch_execz .LBB636_177
; %bb.176:
	v_dual_mov_b32 v1, 0 :: v_dual_lshlrev_b32 v15, 2, v0
	s_delay_alu instid0(VALU_DEP_1) | instskip(SKIP_2) | instid1(VALU_DEP_1)
	v_add_nc_u64_e32 v[16:17], v[10:11], v[0:1]
	ds_load_b32 v1, v15 offset:3072
	v_lshlrev_b64_e32 v[16:17], 2, v[16:17]
	v_sub_nc_u64_e32 v[16:17], s[26:27], v[16:17]
	s_wait_dscnt 0x0
	global_store_b32 v[16:17], v1, off offset:-3076
.LBB636_177:
	s_wait_xcnt 0x0
	s_and_not1_saveexec_b32 s1, s1
	s_cbranch_execz .LBB636_179
; %bb.178:
	v_lshlrev_b32_e32 v1, 2, v0
	v_readfirstlane_b32 s2, v4
	v_readfirstlane_b32 s3, v5
	ds_load_b32 v1, v1 offset:3072
	s_wait_dscnt 0x0
	global_store_b32 v0, v1, s[2:3] offset:3072 scale_offset
.LBB636_179:
	s_wait_xcnt 0x0
	s_or_b32 exec_lo, exec_lo, s1
.LBB636_180:
	s_and_not1_saveexec_b32 s0, s0
	s_cbranch_execz .LBB636_182
; %bb.181:
	v_lshlrev_b32_e32 v1, 2, v0
	v_readfirstlane_b32 s2, v12
	v_readfirstlane_b32 s3, v13
	ds_load_b32 v1, v1 offset:3072
	s_wait_dscnt 0x0
	global_store_b32 v0, v1, s[2:3] offset:3072 scale_offset
.LBB636_182:
	s_wait_xcnt 0x0
	s_or_b32 exec_lo, exec_lo, s0
	v_or_b32_e32 v1, 0x400, v0
	s_mov_b32 s0, exec_lo
	s_delay_alu instid0(VALU_DEP_1)
	v_cmpx_ge_u32_e64 v1, v2
	s_xor_b32 s0, exec_lo, s0
	s_cbranch_execz .LBB636_188
; %bb.183:
	s_mov_b32 s1, exec_lo
	v_cmpx_ge_u32_e64 v1, v14
	s_xor_b32 s1, exec_lo, s1
	s_cbranch_execz .LBB636_185
; %bb.184:
	v_dual_mov_b32 v1, 0 :: v_dual_lshlrev_b32 v15, 2, v0
	s_delay_alu instid0(VALU_DEP_1) | instskip(SKIP_2) | instid1(VALU_DEP_1)
	v_add_nc_u64_e32 v[16:17], v[10:11], v[0:1]
	ds_load_b32 v1, v15 offset:4096
	v_lshlrev_b64_e32 v[16:17], 2, v[16:17]
	v_sub_nc_u64_e32 v[16:17], s[26:27], v[16:17]
	s_wait_dscnt 0x0
	global_store_b32 v[16:17], v1, off offset:-4100
.LBB636_185:
	s_wait_xcnt 0x0
	s_and_not1_saveexec_b32 s1, s1
	s_cbranch_execz .LBB636_187
; %bb.186:
	v_lshlrev_b32_e32 v1, 2, v0
	v_readfirstlane_b32 s2, v4
	v_readfirstlane_b32 s3, v5
	ds_load_b32 v1, v1 offset:4096
	s_wait_dscnt 0x0
	global_store_b32 v0, v1, s[2:3] offset:4096 scale_offset
.LBB636_187:
	s_wait_xcnt 0x0
	s_or_b32 exec_lo, exec_lo, s1
.LBB636_188:
	s_and_not1_saveexec_b32 s0, s0
	s_cbranch_execz .LBB636_190
; %bb.189:
	v_lshlrev_b32_e32 v1, 2, v0
	v_readfirstlane_b32 s2, v12
	v_readfirstlane_b32 s3, v13
	ds_load_b32 v1, v1 offset:4096
	s_wait_dscnt 0x0
	global_store_b32 v0, v1, s[2:3] offset:4096 scale_offset
.LBB636_190:
	s_wait_xcnt 0x0
	s_or_b32 exec_lo, exec_lo, s0
	v_or_b32_e32 v1, 0x500, v0
	s_mov_b32 s0, exec_lo
	s_delay_alu instid0(VALU_DEP_1)
	v_cmpx_ge_u32_e64 v1, v2
	s_xor_b32 s0, exec_lo, s0
	s_cbranch_execz .LBB636_196
; %bb.191:
	s_mov_b32 s1, exec_lo
	v_cmpx_ge_u32_e64 v1, v14
	s_xor_b32 s1, exec_lo, s1
	s_cbranch_execz .LBB636_193
; %bb.192:
	v_dual_mov_b32 v1, 0 :: v_dual_lshlrev_b32 v15, 2, v0
	s_delay_alu instid0(VALU_DEP_1) | instskip(SKIP_2) | instid1(VALU_DEP_1)
	v_add_nc_u64_e32 v[16:17], v[10:11], v[0:1]
	ds_load_b32 v1, v15 offset:5120
	v_lshlrev_b64_e32 v[16:17], 2, v[16:17]
	v_sub_nc_u64_e32 v[16:17], s[26:27], v[16:17]
	s_wait_dscnt 0x0
	global_store_b32 v[16:17], v1, off offset:-5124
.LBB636_193:
	s_wait_xcnt 0x0
	s_and_not1_saveexec_b32 s1, s1
	s_cbranch_execz .LBB636_195
; %bb.194:
	v_lshlrev_b32_e32 v1, 2, v0
	v_readfirstlane_b32 s2, v4
	v_readfirstlane_b32 s3, v5
	ds_load_b32 v1, v1 offset:5120
	s_wait_dscnt 0x0
	global_store_b32 v0, v1, s[2:3] offset:5120 scale_offset
.LBB636_195:
	s_wait_xcnt 0x0
	s_or_b32 exec_lo, exec_lo, s1
.LBB636_196:
	s_and_not1_saveexec_b32 s0, s0
	s_cbranch_execz .LBB636_198
; %bb.197:
	v_lshlrev_b32_e32 v1, 2, v0
	v_readfirstlane_b32 s2, v12
	v_readfirstlane_b32 s3, v13
	ds_load_b32 v1, v1 offset:5120
	s_wait_dscnt 0x0
	global_store_b32 v0, v1, s[2:3] offset:5120 scale_offset
.LBB636_198:
	s_wait_xcnt 0x0
	s_or_b32 exec_lo, exec_lo, s0
	v_or_b32_e32 v1, 0x600, v0
	s_mov_b32 s0, exec_lo
	s_delay_alu instid0(VALU_DEP_1)
	v_cmpx_ge_u32_e64 v1, v2
	s_xor_b32 s0, exec_lo, s0
	s_cbranch_execz .LBB636_204
; %bb.199:
	s_mov_b32 s1, exec_lo
	v_cmpx_ge_u32_e64 v1, v14
	s_xor_b32 s1, exec_lo, s1
	s_cbranch_execz .LBB636_201
; %bb.200:
	v_dual_mov_b32 v1, 0 :: v_dual_lshlrev_b32 v15, 2, v0
	s_delay_alu instid0(VALU_DEP_1) | instskip(SKIP_2) | instid1(VALU_DEP_1)
	v_add_nc_u64_e32 v[16:17], v[10:11], v[0:1]
	ds_load_b32 v1, v15 offset:6144
	v_lshlrev_b64_e32 v[16:17], 2, v[16:17]
	v_sub_nc_u64_e32 v[16:17], s[26:27], v[16:17]
	s_wait_dscnt 0x0
	global_store_b32 v[16:17], v1, off offset:-6148
.LBB636_201:
	s_wait_xcnt 0x0
	s_and_not1_saveexec_b32 s1, s1
	s_cbranch_execz .LBB636_203
; %bb.202:
	v_lshlrev_b32_e32 v1, 2, v0
	v_readfirstlane_b32 s2, v4
	v_readfirstlane_b32 s3, v5
	ds_load_b32 v1, v1 offset:6144
	s_wait_dscnt 0x0
	global_store_b32 v0, v1, s[2:3] offset:6144 scale_offset
.LBB636_203:
	s_wait_xcnt 0x0
	s_or_b32 exec_lo, exec_lo, s1
.LBB636_204:
	s_and_not1_saveexec_b32 s0, s0
	s_cbranch_execz .LBB636_206
; %bb.205:
	v_lshlrev_b32_e32 v1, 2, v0
	v_readfirstlane_b32 s2, v12
	v_readfirstlane_b32 s3, v13
	ds_load_b32 v1, v1 offset:6144
	s_wait_dscnt 0x0
	global_store_b32 v0, v1, s[2:3] offset:6144 scale_offset
.LBB636_206:
	s_wait_xcnt 0x0
	s_or_b32 exec_lo, exec_lo, s0
	v_or_b32_e32 v1, 0x700, v0
	s_mov_b32 s0, exec_lo
	s_delay_alu instid0(VALU_DEP_1)
	v_cmpx_ge_u32_e64 v1, v2
	s_xor_b32 s0, exec_lo, s0
	s_cbranch_execz .LBB636_212
; %bb.207:
	s_mov_b32 s1, exec_lo
	v_cmpx_ge_u32_e64 v1, v14
	s_xor_b32 s1, exec_lo, s1
	s_cbranch_execz .LBB636_209
; %bb.208:
	v_dual_mov_b32 v1, 0 :: v_dual_lshlrev_b32 v15, 2, v0
	s_delay_alu instid0(VALU_DEP_1) | instskip(SKIP_2) | instid1(VALU_DEP_1)
	v_add_nc_u64_e32 v[16:17], v[10:11], v[0:1]
	ds_load_b32 v1, v15 offset:7168
	v_lshlrev_b64_e32 v[16:17], 2, v[16:17]
	v_sub_nc_u64_e32 v[16:17], s[26:27], v[16:17]
	s_wait_dscnt 0x0
	global_store_b32 v[16:17], v1, off offset:-7172
.LBB636_209:
	s_wait_xcnt 0x0
	s_and_not1_saveexec_b32 s1, s1
	s_cbranch_execz .LBB636_211
; %bb.210:
	v_lshlrev_b32_e32 v1, 2, v0
	v_readfirstlane_b32 s2, v4
	v_readfirstlane_b32 s3, v5
	ds_load_b32 v1, v1 offset:7168
	s_wait_dscnt 0x0
	global_store_b32 v0, v1, s[2:3] offset:7168 scale_offset
.LBB636_211:
	s_wait_xcnt 0x0
	s_or_b32 exec_lo, exec_lo, s1
.LBB636_212:
	s_and_not1_saveexec_b32 s0, s0
	s_cbranch_execz .LBB636_214
; %bb.213:
	v_lshlrev_b32_e32 v1, 2, v0
	v_readfirstlane_b32 s2, v12
	v_readfirstlane_b32 s3, v13
	ds_load_b32 v1, v1 offset:7168
	s_wait_dscnt 0x0
	global_store_b32 v0, v1, s[2:3] offset:7168 scale_offset
.LBB636_214:
	s_wait_xcnt 0x0
	s_or_b32 exec_lo, exec_lo, s0
	v_or_b32_e32 v1, 0x800, v0
	s_mov_b32 s0, exec_lo
	s_delay_alu instid0(VALU_DEP_1)
	v_cmpx_ge_u32_e64 v1, v2
	s_xor_b32 s0, exec_lo, s0
	s_cbranch_execz .LBB636_220
; %bb.215:
	s_mov_b32 s1, exec_lo
	v_cmpx_ge_u32_e64 v1, v14
	s_xor_b32 s1, exec_lo, s1
	s_cbranch_execz .LBB636_217
; %bb.216:
	v_dual_mov_b32 v1, 0 :: v_dual_lshlrev_b32 v15, 2, v0
	s_delay_alu instid0(VALU_DEP_1) | instskip(SKIP_2) | instid1(VALU_DEP_1)
	v_add_nc_u64_e32 v[16:17], v[10:11], v[0:1]
	ds_load_b32 v1, v15 offset:8192
	v_lshlrev_b64_e32 v[16:17], 2, v[16:17]
	v_sub_nc_u64_e32 v[16:17], s[26:27], v[16:17]
	s_wait_dscnt 0x0
	global_store_b32 v[16:17], v1, off offset:-8196
.LBB636_217:
	s_wait_xcnt 0x0
	s_and_not1_saveexec_b32 s1, s1
	s_cbranch_execz .LBB636_219
; %bb.218:
	v_lshlrev_b32_e32 v1, 2, v0
	v_readfirstlane_b32 s2, v4
	v_readfirstlane_b32 s3, v5
	ds_load_b32 v1, v1 offset:8192
	s_wait_dscnt 0x0
	global_store_b32 v0, v1, s[2:3] offset:8192 scale_offset
.LBB636_219:
	s_wait_xcnt 0x0
	s_or_b32 exec_lo, exec_lo, s1
.LBB636_220:
	s_and_not1_saveexec_b32 s0, s0
	s_cbranch_execz .LBB636_222
; %bb.221:
	v_lshlrev_b32_e32 v1, 2, v0
	v_readfirstlane_b32 s2, v12
	v_readfirstlane_b32 s3, v13
	ds_load_b32 v1, v1 offset:8192
	s_wait_dscnt 0x0
	global_store_b32 v0, v1, s[2:3] offset:8192 scale_offset
.LBB636_222:
	s_wait_xcnt 0x0
	s_or_b32 exec_lo, exec_lo, s0
	v_or_b32_e32 v1, 0x900, v0
	s_mov_b32 s0, exec_lo
	s_delay_alu instid0(VALU_DEP_1)
	v_cmpx_ge_u32_e64 v1, v2
	s_xor_b32 s0, exec_lo, s0
	s_cbranch_execz .LBB636_228
; %bb.223:
	s_mov_b32 s1, exec_lo
	v_cmpx_ge_u32_e64 v1, v14
	s_xor_b32 s1, exec_lo, s1
	s_cbranch_execz .LBB636_225
; %bb.224:
	v_dual_mov_b32 v1, 0 :: v_dual_lshlrev_b32 v15, 2, v0
	s_delay_alu instid0(VALU_DEP_1) | instskip(SKIP_2) | instid1(VALU_DEP_1)
	v_add_nc_u64_e32 v[16:17], v[10:11], v[0:1]
	ds_load_b32 v1, v15 offset:9216
	v_lshlrev_b64_e32 v[16:17], 2, v[16:17]
	v_sub_nc_u64_e32 v[16:17], s[26:27], v[16:17]
	s_wait_dscnt 0x0
	global_store_b32 v[16:17], v1, off offset:-9220
.LBB636_225:
	s_wait_xcnt 0x0
	s_and_not1_saveexec_b32 s1, s1
	s_cbranch_execz .LBB636_227
; %bb.226:
	v_lshlrev_b32_e32 v1, 2, v0
	v_readfirstlane_b32 s2, v4
	v_readfirstlane_b32 s3, v5
	ds_load_b32 v1, v1 offset:9216
	s_wait_dscnt 0x0
	global_store_b32 v0, v1, s[2:3] offset:9216 scale_offset
.LBB636_227:
	s_wait_xcnt 0x0
	s_or_b32 exec_lo, exec_lo, s1
.LBB636_228:
	s_and_not1_saveexec_b32 s0, s0
	s_cbranch_execz .LBB636_230
; %bb.229:
	v_lshlrev_b32_e32 v1, 2, v0
	v_readfirstlane_b32 s2, v12
	v_readfirstlane_b32 s3, v13
	ds_load_b32 v1, v1 offset:9216
	s_wait_dscnt 0x0
	global_store_b32 v0, v1, s[2:3] offset:9216 scale_offset
.LBB636_230:
	s_wait_xcnt 0x0
	s_or_b32 exec_lo, exec_lo, s0
	v_or_b32_e32 v1, 0xa00, v0
	s_mov_b32 s0, exec_lo
	s_delay_alu instid0(VALU_DEP_1)
	v_cmpx_ge_u32_e64 v1, v2
	s_xor_b32 s0, exec_lo, s0
	s_cbranch_execz .LBB636_236
; %bb.231:
	s_mov_b32 s1, exec_lo
	v_cmpx_ge_u32_e64 v1, v14
	s_xor_b32 s1, exec_lo, s1
	s_cbranch_execz .LBB636_233
; %bb.232:
	v_dual_mov_b32 v1, 0 :: v_dual_lshlrev_b32 v15, 2, v0
	s_delay_alu instid0(VALU_DEP_1) | instskip(SKIP_2) | instid1(VALU_DEP_1)
	v_add_nc_u64_e32 v[16:17], v[10:11], v[0:1]
	ds_load_b32 v1, v15 offset:10240
	v_lshlrev_b64_e32 v[16:17], 2, v[16:17]
	v_sub_nc_u64_e32 v[16:17], s[26:27], v[16:17]
	s_wait_dscnt 0x0
	global_store_b32 v[16:17], v1, off offset:-10244
.LBB636_233:
	s_wait_xcnt 0x0
	s_and_not1_saveexec_b32 s1, s1
	s_cbranch_execz .LBB636_235
; %bb.234:
	v_lshlrev_b32_e32 v1, 2, v0
	v_readfirstlane_b32 s2, v4
	v_readfirstlane_b32 s3, v5
	ds_load_b32 v1, v1 offset:10240
	s_wait_dscnt 0x0
	global_store_b32 v0, v1, s[2:3] offset:10240 scale_offset
.LBB636_235:
	s_wait_xcnt 0x0
	s_or_b32 exec_lo, exec_lo, s1
.LBB636_236:
	s_and_not1_saveexec_b32 s0, s0
	s_cbranch_execz .LBB636_238
; %bb.237:
	v_lshlrev_b32_e32 v1, 2, v0
	v_readfirstlane_b32 s2, v12
	v_readfirstlane_b32 s3, v13
	ds_load_b32 v1, v1 offset:10240
	s_wait_dscnt 0x0
	global_store_b32 v0, v1, s[2:3] offset:10240 scale_offset
.LBB636_238:
	s_wait_xcnt 0x0
	s_or_b32 exec_lo, exec_lo, s0
	v_or_b32_e32 v1, 0xb00, v0
	s_mov_b32 s0, exec_lo
	s_delay_alu instid0(VALU_DEP_1)
	v_cmpx_ge_u32_e64 v1, v2
	s_xor_b32 s0, exec_lo, s0
	s_cbranch_execz .LBB636_244
; %bb.239:
	s_mov_b32 s1, exec_lo
	v_cmpx_ge_u32_e64 v1, v14
	s_xor_b32 s1, exec_lo, s1
	s_cbranch_execz .LBB636_241
; %bb.240:
	v_dual_mov_b32 v1, 0 :: v_dual_lshlrev_b32 v15, 2, v0
	s_delay_alu instid0(VALU_DEP_1) | instskip(SKIP_2) | instid1(VALU_DEP_1)
	v_add_nc_u64_e32 v[16:17], v[10:11], v[0:1]
	ds_load_b32 v1, v15 offset:11264
	v_lshlrev_b64_e32 v[16:17], 2, v[16:17]
	v_sub_nc_u64_e32 v[16:17], s[26:27], v[16:17]
	s_wait_dscnt 0x0
	global_store_b32 v[16:17], v1, off offset:-11268
.LBB636_241:
	s_wait_xcnt 0x0
	s_and_not1_saveexec_b32 s1, s1
	s_cbranch_execz .LBB636_243
; %bb.242:
	v_lshlrev_b32_e32 v1, 2, v0
	v_readfirstlane_b32 s2, v4
	v_readfirstlane_b32 s3, v5
	ds_load_b32 v1, v1 offset:11264
	s_wait_dscnt 0x0
	global_store_b32 v0, v1, s[2:3] offset:11264 scale_offset
.LBB636_243:
	s_wait_xcnt 0x0
	s_or_b32 exec_lo, exec_lo, s1
.LBB636_244:
	s_and_not1_saveexec_b32 s0, s0
	s_cbranch_execz .LBB636_246
; %bb.245:
	v_lshlrev_b32_e32 v1, 2, v0
	v_readfirstlane_b32 s2, v12
	v_readfirstlane_b32 s3, v13
	ds_load_b32 v1, v1 offset:11264
	s_wait_dscnt 0x0
	global_store_b32 v0, v1, s[2:3] offset:11264 scale_offset
.LBB636_246:
	s_wait_xcnt 0x0
	s_or_b32 exec_lo, exec_lo, s0
	v_or_b32_e32 v1, 0xc00, v0
	s_mov_b32 s0, exec_lo
	s_delay_alu instid0(VALU_DEP_1)
	v_cmpx_ge_u32_e64 v1, v2
	s_xor_b32 s0, exec_lo, s0
	s_cbranch_execz .LBB636_252
; %bb.247:
	s_mov_b32 s1, exec_lo
	v_cmpx_ge_u32_e64 v1, v14
	s_xor_b32 s1, exec_lo, s1
	s_cbranch_execz .LBB636_249
; %bb.248:
	v_dual_mov_b32 v1, 0 :: v_dual_lshlrev_b32 v15, 2, v0
	s_delay_alu instid0(VALU_DEP_1) | instskip(SKIP_2) | instid1(VALU_DEP_1)
	v_add_nc_u64_e32 v[16:17], v[10:11], v[0:1]
	ds_load_b32 v1, v15 offset:12288
	v_lshlrev_b64_e32 v[16:17], 2, v[16:17]
	v_sub_nc_u64_e32 v[16:17], s[26:27], v[16:17]
	s_wait_dscnt 0x0
	global_store_b32 v[16:17], v1, off offset:-12292
.LBB636_249:
	s_wait_xcnt 0x0
	s_and_not1_saveexec_b32 s1, s1
	s_cbranch_execz .LBB636_251
; %bb.250:
	v_lshlrev_b32_e32 v1, 2, v0
	v_readfirstlane_b32 s2, v4
	v_readfirstlane_b32 s3, v5
	ds_load_b32 v1, v1 offset:12288
	s_wait_dscnt 0x0
	global_store_b32 v0, v1, s[2:3] offset:12288 scale_offset
.LBB636_251:
	s_wait_xcnt 0x0
	s_or_b32 exec_lo, exec_lo, s1
.LBB636_252:
	s_and_not1_saveexec_b32 s0, s0
	s_cbranch_execz .LBB636_254
; %bb.253:
	v_lshlrev_b32_e32 v1, 2, v0
	v_readfirstlane_b32 s2, v12
	v_readfirstlane_b32 s3, v13
	ds_load_b32 v1, v1 offset:12288
	s_wait_dscnt 0x0
	global_store_b32 v0, v1, s[2:3] offset:12288 scale_offset
.LBB636_254:
	s_wait_xcnt 0x0
	s_or_b32 exec_lo, exec_lo, s0
	s_branch .LBB636_148
.LBB636_255:
	s_mov_b32 s0, exec_lo
	v_cmpx_gt_u32_e64 s6, v0
	s_cbranch_execz .LBB636_264
; %bb.256:
	s_mov_b32 s1, exec_lo
	v_cmpx_ge_u32_e64 v0, v2
	s_xor_b32 s1, exec_lo, s1
	s_cbranch_execz .LBB636_262
; %bb.257:
	v_mov_b32_e32 v1, 0
	s_mov_b32 s2, exec_lo
	v_cmpx_ge_u32_e64 v0, v14
	s_xor_b32 s2, exec_lo, s2
	s_cbranch_execz .LBB636_259
; %bb.258:
	v_lshlrev_b32_e32 v15, 2, v0
	v_add_nc_u64_e32 v[16:17], v[10:11], v[0:1]
	ds_load_b32 v1, v15
	v_lshlrev_b64_e32 v[16:17], 2, v[16:17]
	s_delay_alu instid0(VALU_DEP_1)
	v_sub_nc_u64_e32 v[16:17], s[26:27], v[16:17]
	s_wait_dscnt 0x0
	global_store_b32 v[16:17], v1, off offset:-4
.LBB636_259:
	s_wait_xcnt 0x0
	s_and_not1_saveexec_b32 s2, s2
	s_cbranch_execz .LBB636_261
; %bb.260:
	v_lshlrev_b32_e32 v1, 2, v0
	v_readfirstlane_b32 s4, v4
	v_readfirstlane_b32 s5, v5
	ds_load_b32 v1, v1
	s_wait_dscnt 0x0
	global_store_b32 v0, v1, s[4:5] scale_offset
.LBB636_261:
	s_wait_xcnt 0x0
	s_or_b32 exec_lo, exec_lo, s2
.LBB636_262:
	s_and_not1_saveexec_b32 s1, s1
	s_cbranch_execz .LBB636_264
; %bb.263:
	v_lshlrev_b32_e32 v1, 2, v0
	v_readfirstlane_b32 s2, v12
	v_readfirstlane_b32 s3, v13
	ds_load_b32 v1, v1
	s_wait_dscnt 0x0
	global_store_b32 v0, v1, s[2:3] scale_offset
.LBB636_264:
	s_wait_xcnt 0x0
	s_or_b32 exec_lo, exec_lo, s0
	v_or_b32_e32 v1, 0x100, v0
	s_mov_b32 s0, exec_lo
	s_delay_alu instid0(VALU_DEP_1)
	v_cmpx_gt_u32_e64 s6, v1
	s_cbranch_execz .LBB636_273
; %bb.265:
	s_mov_b32 s1, exec_lo
	v_cmpx_ge_u32_e64 v1, v2
	s_xor_b32 s1, exec_lo, s1
	s_cbranch_execz .LBB636_271
; %bb.266:
	s_mov_b32 s2, exec_lo
	v_cmpx_ge_u32_e64 v1, v14
	s_xor_b32 s2, exec_lo, s2
	s_cbranch_execz .LBB636_268
; %bb.267:
	v_dual_mov_b32 v1, 0 :: v_dual_lshlrev_b32 v15, 2, v0
	s_delay_alu instid0(VALU_DEP_1) | instskip(SKIP_2) | instid1(VALU_DEP_1)
	v_add_nc_u64_e32 v[16:17], v[10:11], v[0:1]
	ds_load_b32 v1, v15 offset:1024
	v_lshlrev_b64_e32 v[16:17], 2, v[16:17]
	v_sub_nc_u64_e32 v[16:17], s[26:27], v[16:17]
	s_wait_dscnt 0x0
	global_store_b32 v[16:17], v1, off offset:-1028
.LBB636_268:
	s_wait_xcnt 0x0
	s_and_not1_saveexec_b32 s2, s2
	s_cbranch_execz .LBB636_270
; %bb.269:
	v_lshlrev_b32_e32 v1, 2, v0
	v_readfirstlane_b32 s4, v4
	v_readfirstlane_b32 s5, v5
	ds_load_b32 v1, v1 offset:1024
	s_wait_dscnt 0x0
	global_store_b32 v0, v1, s[4:5] offset:1024 scale_offset
.LBB636_270:
	s_wait_xcnt 0x0
	s_or_b32 exec_lo, exec_lo, s2
.LBB636_271:
	s_and_not1_saveexec_b32 s1, s1
	s_cbranch_execz .LBB636_273
; %bb.272:
	v_lshlrev_b32_e32 v1, 2, v0
	v_readfirstlane_b32 s2, v12
	v_readfirstlane_b32 s3, v13
	ds_load_b32 v1, v1 offset:1024
	s_wait_dscnt 0x0
	global_store_b32 v0, v1, s[2:3] offset:1024 scale_offset
.LBB636_273:
	s_wait_xcnt 0x0
	s_or_b32 exec_lo, exec_lo, s0
	v_or_b32_e32 v1, 0x200, v0
	s_mov_b32 s0, exec_lo
	s_delay_alu instid0(VALU_DEP_1)
	v_cmpx_gt_u32_e64 s6, v1
	s_cbranch_execz .LBB636_282
; %bb.274:
	s_mov_b32 s1, exec_lo
	v_cmpx_ge_u32_e64 v1, v2
	s_xor_b32 s1, exec_lo, s1
	s_cbranch_execz .LBB636_280
; %bb.275:
	s_mov_b32 s2, exec_lo
	v_cmpx_ge_u32_e64 v1, v14
	s_xor_b32 s2, exec_lo, s2
	s_cbranch_execz .LBB636_277
; %bb.276:
	v_dual_mov_b32 v1, 0 :: v_dual_lshlrev_b32 v15, 2, v0
	s_delay_alu instid0(VALU_DEP_1) | instskip(SKIP_2) | instid1(VALU_DEP_1)
	v_add_nc_u64_e32 v[16:17], v[10:11], v[0:1]
	ds_load_b32 v1, v15 offset:2048
	v_lshlrev_b64_e32 v[16:17], 2, v[16:17]
	v_sub_nc_u64_e32 v[16:17], s[26:27], v[16:17]
	s_wait_dscnt 0x0
	global_store_b32 v[16:17], v1, off offset:-2052
.LBB636_277:
	s_wait_xcnt 0x0
	s_and_not1_saveexec_b32 s2, s2
	s_cbranch_execz .LBB636_279
; %bb.278:
	v_lshlrev_b32_e32 v1, 2, v0
	v_readfirstlane_b32 s4, v4
	v_readfirstlane_b32 s5, v5
	ds_load_b32 v1, v1 offset:2048
	s_wait_dscnt 0x0
	global_store_b32 v0, v1, s[4:5] offset:2048 scale_offset
.LBB636_279:
	s_wait_xcnt 0x0
	s_or_b32 exec_lo, exec_lo, s2
.LBB636_280:
	s_and_not1_saveexec_b32 s1, s1
	s_cbranch_execz .LBB636_282
; %bb.281:
	v_lshlrev_b32_e32 v1, 2, v0
	v_readfirstlane_b32 s2, v12
	v_readfirstlane_b32 s3, v13
	ds_load_b32 v1, v1 offset:2048
	s_wait_dscnt 0x0
	global_store_b32 v0, v1, s[2:3] offset:2048 scale_offset
.LBB636_282:
	;; [unrolled: 51-line block ×11, first 2 shown]
	s_wait_xcnt 0x0
	s_or_b32 exec_lo, exec_lo, s0
	v_or_b32_e32 v1, 0xc00, v0
	s_mov_b32 s0, exec_lo
	s_delay_alu instid0(VALU_DEP_1)
	v_cmpx_gt_u32_e64 s6, v1
	s_cbranch_execz .LBB636_372
; %bb.364:
	s_mov_b32 s1, exec_lo
	v_cmpx_ge_u32_e64 v1, v2
	s_xor_b32 s1, exec_lo, s1
	s_cbranch_execz .LBB636_370
; %bb.365:
	s_mov_b32 s2, exec_lo
	v_cmpx_ge_u32_e64 v1, v14
	s_xor_b32 s2, exec_lo, s2
	s_cbranch_execz .LBB636_367
; %bb.366:
	v_dual_mov_b32 v1, 0 :: v_dual_lshlrev_b32 v12, 2, v0
	s_delay_alu instid0(VALU_DEP_1) | instskip(SKIP_2) | instid1(VALU_DEP_1)
	v_add_nc_u64_e32 v[4:5], v[10:11], v[0:1]
	ds_load_b32 v1, v12 offset:12288
	v_lshlrev_b64_e32 v[4:5], 2, v[4:5]
	v_sub_nc_u64_e32 v[4:5], s[26:27], v[4:5]
	s_wait_dscnt 0x0
	global_store_b32 v[4:5], v1, off offset:-12292
                                        ; implicit-def: $vgpr4_vgpr5
.LBB636_367:
	s_wait_xcnt 0x0
	s_and_not1_saveexec_b32 s2, s2
	s_cbranch_execz .LBB636_369
; %bb.368:
	v_lshlrev_b32_e32 v1, 2, v0
	v_readfirstlane_b32 s4, v4
	v_readfirstlane_b32 s5, v5
	ds_load_b32 v1, v1 offset:12288
	s_wait_dscnt 0x0
	global_store_b32 v0, v1, s[4:5] offset:12288 scale_offset
.LBB636_369:
	s_wait_xcnt 0x0
	s_or_b32 exec_lo, exec_lo, s2
                                        ; implicit-def: $vgpr12_vgpr13
.LBB636_370:
	s_and_not1_saveexec_b32 s1, s1
	s_cbranch_execz .LBB636_372
; %bb.371:
	v_lshlrev_b32_e32 v1, 2, v0
	v_readfirstlane_b32 s2, v12
	v_readfirstlane_b32 s3, v13
	ds_load_b32 v1, v1 offset:12288
	s_wait_dscnt 0x0
	global_store_b32 v0, v1, s[2:3] offset:12288 scale_offset
.LBB636_372:
	s_wait_xcnt 0x0
	s_or_b32 exec_lo, exec_lo, s0
	v_cmp_eq_u32_e32 vcc_lo, 0, v0
	s_and_b32 s0, vcc_lo, s15
	s_delay_alu instid0(SALU_CYCLE_1)
	s_and_saveexec_b32 s1, s0
	s_cbranch_execz .LBB636_149
.LBB636_373:
	v_add_nc_u64_e32 v[0:1], s[30:31], v[8:9]
	v_add_nc_u64_e32 v[2:3], v[22:23], v[2:3]
	s_delay_alu instid0(VALU_DEP_2)
	v_add_nc_u64_e32 v[4:5], v[0:1], v[6:7]
	v_mov_b32_e32 v0, 0
	global_store_b128 v0, v[2:5], s[24:25]
	s_sendmsg sendmsg(MSG_DEALLOC_VGPRS)
	s_endpgm
	.section	.rodata,"a",@progbits
	.p2align	6, 0x0
	.amdhsa_kernel _ZN7rocprim17ROCPRIM_400000_NS6detail17trampoline_kernelINS0_13select_configILj256ELj13ELNS0_17block_load_methodE3ELS4_3ELS4_3ELNS0_20block_scan_algorithmE0ELj4294967295EEENS1_25partition_config_selectorILNS1_17partition_subalgoE4EjNS0_10empty_typeEbEEZZNS1_14partition_implILS8_4ELb0ES6_15HIP_vector_typeIjLj2EENS0_17counting_iteratorIjlEEPS9_SG_NS0_5tupleIJPjSI_NS0_16reverse_iteratorISI_EEEEENSH_IJSG_SG_SG_EEES9_SI_JZNS1_25segmented_radix_sort_implINS0_14default_configELb1EPKlPlSQ_SR_N2at6native12_GLOBAL__N_18offset_tEEE10hipError_tPvRmT1_PNSt15iterator_traitsISZ_E10value_typeET2_T3_PNS10_IS15_E10value_typeET4_jRbjT5_S1B_jjP12ihipStream_tbEUljE_ZNSN_ISO_Lb1ESQ_SR_SQ_SR_SV_EESW_SX_SY_SZ_S13_S14_S15_S18_S19_jS1A_jS1B_S1B_jjS1D_bEUljE0_EEESW_SX_SY_S15_S19_S1B_T6_T7_T9_mT8_S1D_bDpT10_ENKUlT_T0_E_clISt17integral_constantIbLb0EES1R_EEDaS1M_S1N_EUlS1M_E_NS1_11comp_targetILNS1_3genE0ELNS1_11target_archE4294967295ELNS1_3gpuE0ELNS1_3repE0EEENS1_30default_config_static_selectorELNS0_4arch9wavefront6targetE0EEEvSZ_
		.amdhsa_group_segment_fixed_size 13328
		.amdhsa_private_segment_fixed_size 0
		.amdhsa_kernarg_size 176
		.amdhsa_user_sgpr_count 2
		.amdhsa_user_sgpr_dispatch_ptr 0
		.amdhsa_user_sgpr_queue_ptr 0
		.amdhsa_user_sgpr_kernarg_segment_ptr 1
		.amdhsa_user_sgpr_dispatch_id 0
		.amdhsa_user_sgpr_kernarg_preload_length 0
		.amdhsa_user_sgpr_kernarg_preload_offset 0
		.amdhsa_user_sgpr_private_segment_size 0
		.amdhsa_wavefront_size32 1
		.amdhsa_uses_dynamic_stack 0
		.amdhsa_enable_private_segment 0
		.amdhsa_system_sgpr_workgroup_id_x 1
		.amdhsa_system_sgpr_workgroup_id_y 0
		.amdhsa_system_sgpr_workgroup_id_z 0
		.amdhsa_system_sgpr_workgroup_info 0
		.amdhsa_system_vgpr_workitem_id 0
		.amdhsa_next_free_vgpr 81
		.amdhsa_next_free_sgpr 59
		.amdhsa_named_barrier_count 0
		.amdhsa_reserve_vcc 1
		.amdhsa_float_round_mode_32 0
		.amdhsa_float_round_mode_16_64 0
		.amdhsa_float_denorm_mode_32 3
		.amdhsa_float_denorm_mode_16_64 3
		.amdhsa_fp16_overflow 0
		.amdhsa_memory_ordered 1
		.amdhsa_forward_progress 1
		.amdhsa_inst_pref_size 139
		.amdhsa_round_robin_scheduling 0
		.amdhsa_exception_fp_ieee_invalid_op 0
		.amdhsa_exception_fp_denorm_src 0
		.amdhsa_exception_fp_ieee_div_zero 0
		.amdhsa_exception_fp_ieee_overflow 0
		.amdhsa_exception_fp_ieee_underflow 0
		.amdhsa_exception_fp_ieee_inexact 0
		.amdhsa_exception_int_div_zero 0
	.end_amdhsa_kernel
	.section	.text._ZN7rocprim17ROCPRIM_400000_NS6detail17trampoline_kernelINS0_13select_configILj256ELj13ELNS0_17block_load_methodE3ELS4_3ELS4_3ELNS0_20block_scan_algorithmE0ELj4294967295EEENS1_25partition_config_selectorILNS1_17partition_subalgoE4EjNS0_10empty_typeEbEEZZNS1_14partition_implILS8_4ELb0ES6_15HIP_vector_typeIjLj2EENS0_17counting_iteratorIjlEEPS9_SG_NS0_5tupleIJPjSI_NS0_16reverse_iteratorISI_EEEEENSH_IJSG_SG_SG_EEES9_SI_JZNS1_25segmented_radix_sort_implINS0_14default_configELb1EPKlPlSQ_SR_N2at6native12_GLOBAL__N_18offset_tEEE10hipError_tPvRmT1_PNSt15iterator_traitsISZ_E10value_typeET2_T3_PNS10_IS15_E10value_typeET4_jRbjT5_S1B_jjP12ihipStream_tbEUljE_ZNSN_ISO_Lb1ESQ_SR_SQ_SR_SV_EESW_SX_SY_SZ_S13_S14_S15_S18_S19_jS1A_jS1B_S1B_jjS1D_bEUljE0_EEESW_SX_SY_S15_S19_S1B_T6_T7_T9_mT8_S1D_bDpT10_ENKUlT_T0_E_clISt17integral_constantIbLb0EES1R_EEDaS1M_S1N_EUlS1M_E_NS1_11comp_targetILNS1_3genE0ELNS1_11target_archE4294967295ELNS1_3gpuE0ELNS1_3repE0EEENS1_30default_config_static_selectorELNS0_4arch9wavefront6targetE0EEEvSZ_,"axG",@progbits,_ZN7rocprim17ROCPRIM_400000_NS6detail17trampoline_kernelINS0_13select_configILj256ELj13ELNS0_17block_load_methodE3ELS4_3ELS4_3ELNS0_20block_scan_algorithmE0ELj4294967295EEENS1_25partition_config_selectorILNS1_17partition_subalgoE4EjNS0_10empty_typeEbEEZZNS1_14partition_implILS8_4ELb0ES6_15HIP_vector_typeIjLj2EENS0_17counting_iteratorIjlEEPS9_SG_NS0_5tupleIJPjSI_NS0_16reverse_iteratorISI_EEEEENSH_IJSG_SG_SG_EEES9_SI_JZNS1_25segmented_radix_sort_implINS0_14default_configELb1EPKlPlSQ_SR_N2at6native12_GLOBAL__N_18offset_tEEE10hipError_tPvRmT1_PNSt15iterator_traitsISZ_E10value_typeET2_T3_PNS10_IS15_E10value_typeET4_jRbjT5_S1B_jjP12ihipStream_tbEUljE_ZNSN_ISO_Lb1ESQ_SR_SQ_SR_SV_EESW_SX_SY_SZ_S13_S14_S15_S18_S19_jS1A_jS1B_S1B_jjS1D_bEUljE0_EEESW_SX_SY_S15_S19_S1B_T6_T7_T9_mT8_S1D_bDpT10_ENKUlT_T0_E_clISt17integral_constantIbLb0EES1R_EEDaS1M_S1N_EUlS1M_E_NS1_11comp_targetILNS1_3genE0ELNS1_11target_archE4294967295ELNS1_3gpuE0ELNS1_3repE0EEENS1_30default_config_static_selectorELNS0_4arch9wavefront6targetE0EEEvSZ_,comdat
.Lfunc_end636:
	.size	_ZN7rocprim17ROCPRIM_400000_NS6detail17trampoline_kernelINS0_13select_configILj256ELj13ELNS0_17block_load_methodE3ELS4_3ELS4_3ELNS0_20block_scan_algorithmE0ELj4294967295EEENS1_25partition_config_selectorILNS1_17partition_subalgoE4EjNS0_10empty_typeEbEEZZNS1_14partition_implILS8_4ELb0ES6_15HIP_vector_typeIjLj2EENS0_17counting_iteratorIjlEEPS9_SG_NS0_5tupleIJPjSI_NS0_16reverse_iteratorISI_EEEEENSH_IJSG_SG_SG_EEES9_SI_JZNS1_25segmented_radix_sort_implINS0_14default_configELb1EPKlPlSQ_SR_N2at6native12_GLOBAL__N_18offset_tEEE10hipError_tPvRmT1_PNSt15iterator_traitsISZ_E10value_typeET2_T3_PNS10_IS15_E10value_typeET4_jRbjT5_S1B_jjP12ihipStream_tbEUljE_ZNSN_ISO_Lb1ESQ_SR_SQ_SR_SV_EESW_SX_SY_SZ_S13_S14_S15_S18_S19_jS1A_jS1B_S1B_jjS1D_bEUljE0_EEESW_SX_SY_S15_S19_S1B_T6_T7_T9_mT8_S1D_bDpT10_ENKUlT_T0_E_clISt17integral_constantIbLb0EES1R_EEDaS1M_S1N_EUlS1M_E_NS1_11comp_targetILNS1_3genE0ELNS1_11target_archE4294967295ELNS1_3gpuE0ELNS1_3repE0EEENS1_30default_config_static_selectorELNS0_4arch9wavefront6targetE0EEEvSZ_, .Lfunc_end636-_ZN7rocprim17ROCPRIM_400000_NS6detail17trampoline_kernelINS0_13select_configILj256ELj13ELNS0_17block_load_methodE3ELS4_3ELS4_3ELNS0_20block_scan_algorithmE0ELj4294967295EEENS1_25partition_config_selectorILNS1_17partition_subalgoE4EjNS0_10empty_typeEbEEZZNS1_14partition_implILS8_4ELb0ES6_15HIP_vector_typeIjLj2EENS0_17counting_iteratorIjlEEPS9_SG_NS0_5tupleIJPjSI_NS0_16reverse_iteratorISI_EEEEENSH_IJSG_SG_SG_EEES9_SI_JZNS1_25segmented_radix_sort_implINS0_14default_configELb1EPKlPlSQ_SR_N2at6native12_GLOBAL__N_18offset_tEEE10hipError_tPvRmT1_PNSt15iterator_traitsISZ_E10value_typeET2_T3_PNS10_IS15_E10value_typeET4_jRbjT5_S1B_jjP12ihipStream_tbEUljE_ZNSN_ISO_Lb1ESQ_SR_SQ_SR_SV_EESW_SX_SY_SZ_S13_S14_S15_S18_S19_jS1A_jS1B_S1B_jjS1D_bEUljE0_EEESW_SX_SY_S15_S19_S1B_T6_T7_T9_mT8_S1D_bDpT10_ENKUlT_T0_E_clISt17integral_constantIbLb0EES1R_EEDaS1M_S1N_EUlS1M_E_NS1_11comp_targetILNS1_3genE0ELNS1_11target_archE4294967295ELNS1_3gpuE0ELNS1_3repE0EEENS1_30default_config_static_selectorELNS0_4arch9wavefront6targetE0EEEvSZ_
                                        ; -- End function
	.set _ZN7rocprim17ROCPRIM_400000_NS6detail17trampoline_kernelINS0_13select_configILj256ELj13ELNS0_17block_load_methodE3ELS4_3ELS4_3ELNS0_20block_scan_algorithmE0ELj4294967295EEENS1_25partition_config_selectorILNS1_17partition_subalgoE4EjNS0_10empty_typeEbEEZZNS1_14partition_implILS8_4ELb0ES6_15HIP_vector_typeIjLj2EENS0_17counting_iteratorIjlEEPS9_SG_NS0_5tupleIJPjSI_NS0_16reverse_iteratorISI_EEEEENSH_IJSG_SG_SG_EEES9_SI_JZNS1_25segmented_radix_sort_implINS0_14default_configELb1EPKlPlSQ_SR_N2at6native12_GLOBAL__N_18offset_tEEE10hipError_tPvRmT1_PNSt15iterator_traitsISZ_E10value_typeET2_T3_PNS10_IS15_E10value_typeET4_jRbjT5_S1B_jjP12ihipStream_tbEUljE_ZNSN_ISO_Lb1ESQ_SR_SQ_SR_SV_EESW_SX_SY_SZ_S13_S14_S15_S18_S19_jS1A_jS1B_S1B_jjS1D_bEUljE0_EEESW_SX_SY_S15_S19_S1B_T6_T7_T9_mT8_S1D_bDpT10_ENKUlT_T0_E_clISt17integral_constantIbLb0EES1R_EEDaS1M_S1N_EUlS1M_E_NS1_11comp_targetILNS1_3genE0ELNS1_11target_archE4294967295ELNS1_3gpuE0ELNS1_3repE0EEENS1_30default_config_static_selectorELNS0_4arch9wavefront6targetE0EEEvSZ_.num_vgpr, 81
	.set _ZN7rocprim17ROCPRIM_400000_NS6detail17trampoline_kernelINS0_13select_configILj256ELj13ELNS0_17block_load_methodE3ELS4_3ELS4_3ELNS0_20block_scan_algorithmE0ELj4294967295EEENS1_25partition_config_selectorILNS1_17partition_subalgoE4EjNS0_10empty_typeEbEEZZNS1_14partition_implILS8_4ELb0ES6_15HIP_vector_typeIjLj2EENS0_17counting_iteratorIjlEEPS9_SG_NS0_5tupleIJPjSI_NS0_16reverse_iteratorISI_EEEEENSH_IJSG_SG_SG_EEES9_SI_JZNS1_25segmented_radix_sort_implINS0_14default_configELb1EPKlPlSQ_SR_N2at6native12_GLOBAL__N_18offset_tEEE10hipError_tPvRmT1_PNSt15iterator_traitsISZ_E10value_typeET2_T3_PNS10_IS15_E10value_typeET4_jRbjT5_S1B_jjP12ihipStream_tbEUljE_ZNSN_ISO_Lb1ESQ_SR_SQ_SR_SV_EESW_SX_SY_SZ_S13_S14_S15_S18_S19_jS1A_jS1B_S1B_jjS1D_bEUljE0_EEESW_SX_SY_S15_S19_S1B_T6_T7_T9_mT8_S1D_bDpT10_ENKUlT_T0_E_clISt17integral_constantIbLb0EES1R_EEDaS1M_S1N_EUlS1M_E_NS1_11comp_targetILNS1_3genE0ELNS1_11target_archE4294967295ELNS1_3gpuE0ELNS1_3repE0EEENS1_30default_config_static_selectorELNS0_4arch9wavefront6targetE0EEEvSZ_.num_agpr, 0
	.set _ZN7rocprim17ROCPRIM_400000_NS6detail17trampoline_kernelINS0_13select_configILj256ELj13ELNS0_17block_load_methodE3ELS4_3ELS4_3ELNS0_20block_scan_algorithmE0ELj4294967295EEENS1_25partition_config_selectorILNS1_17partition_subalgoE4EjNS0_10empty_typeEbEEZZNS1_14partition_implILS8_4ELb0ES6_15HIP_vector_typeIjLj2EENS0_17counting_iteratorIjlEEPS9_SG_NS0_5tupleIJPjSI_NS0_16reverse_iteratorISI_EEEEENSH_IJSG_SG_SG_EEES9_SI_JZNS1_25segmented_radix_sort_implINS0_14default_configELb1EPKlPlSQ_SR_N2at6native12_GLOBAL__N_18offset_tEEE10hipError_tPvRmT1_PNSt15iterator_traitsISZ_E10value_typeET2_T3_PNS10_IS15_E10value_typeET4_jRbjT5_S1B_jjP12ihipStream_tbEUljE_ZNSN_ISO_Lb1ESQ_SR_SQ_SR_SV_EESW_SX_SY_SZ_S13_S14_S15_S18_S19_jS1A_jS1B_S1B_jjS1D_bEUljE0_EEESW_SX_SY_S15_S19_S1B_T6_T7_T9_mT8_S1D_bDpT10_ENKUlT_T0_E_clISt17integral_constantIbLb0EES1R_EEDaS1M_S1N_EUlS1M_E_NS1_11comp_targetILNS1_3genE0ELNS1_11target_archE4294967295ELNS1_3gpuE0ELNS1_3repE0EEENS1_30default_config_static_selectorELNS0_4arch9wavefront6targetE0EEEvSZ_.numbered_sgpr, 59
	.set _ZN7rocprim17ROCPRIM_400000_NS6detail17trampoline_kernelINS0_13select_configILj256ELj13ELNS0_17block_load_methodE3ELS4_3ELS4_3ELNS0_20block_scan_algorithmE0ELj4294967295EEENS1_25partition_config_selectorILNS1_17partition_subalgoE4EjNS0_10empty_typeEbEEZZNS1_14partition_implILS8_4ELb0ES6_15HIP_vector_typeIjLj2EENS0_17counting_iteratorIjlEEPS9_SG_NS0_5tupleIJPjSI_NS0_16reverse_iteratorISI_EEEEENSH_IJSG_SG_SG_EEES9_SI_JZNS1_25segmented_radix_sort_implINS0_14default_configELb1EPKlPlSQ_SR_N2at6native12_GLOBAL__N_18offset_tEEE10hipError_tPvRmT1_PNSt15iterator_traitsISZ_E10value_typeET2_T3_PNS10_IS15_E10value_typeET4_jRbjT5_S1B_jjP12ihipStream_tbEUljE_ZNSN_ISO_Lb1ESQ_SR_SQ_SR_SV_EESW_SX_SY_SZ_S13_S14_S15_S18_S19_jS1A_jS1B_S1B_jjS1D_bEUljE0_EEESW_SX_SY_S15_S19_S1B_T6_T7_T9_mT8_S1D_bDpT10_ENKUlT_T0_E_clISt17integral_constantIbLb0EES1R_EEDaS1M_S1N_EUlS1M_E_NS1_11comp_targetILNS1_3genE0ELNS1_11target_archE4294967295ELNS1_3gpuE0ELNS1_3repE0EEENS1_30default_config_static_selectorELNS0_4arch9wavefront6targetE0EEEvSZ_.num_named_barrier, 0
	.set _ZN7rocprim17ROCPRIM_400000_NS6detail17trampoline_kernelINS0_13select_configILj256ELj13ELNS0_17block_load_methodE3ELS4_3ELS4_3ELNS0_20block_scan_algorithmE0ELj4294967295EEENS1_25partition_config_selectorILNS1_17partition_subalgoE4EjNS0_10empty_typeEbEEZZNS1_14partition_implILS8_4ELb0ES6_15HIP_vector_typeIjLj2EENS0_17counting_iteratorIjlEEPS9_SG_NS0_5tupleIJPjSI_NS0_16reverse_iteratorISI_EEEEENSH_IJSG_SG_SG_EEES9_SI_JZNS1_25segmented_radix_sort_implINS0_14default_configELb1EPKlPlSQ_SR_N2at6native12_GLOBAL__N_18offset_tEEE10hipError_tPvRmT1_PNSt15iterator_traitsISZ_E10value_typeET2_T3_PNS10_IS15_E10value_typeET4_jRbjT5_S1B_jjP12ihipStream_tbEUljE_ZNSN_ISO_Lb1ESQ_SR_SQ_SR_SV_EESW_SX_SY_SZ_S13_S14_S15_S18_S19_jS1A_jS1B_S1B_jjS1D_bEUljE0_EEESW_SX_SY_S15_S19_S1B_T6_T7_T9_mT8_S1D_bDpT10_ENKUlT_T0_E_clISt17integral_constantIbLb0EES1R_EEDaS1M_S1N_EUlS1M_E_NS1_11comp_targetILNS1_3genE0ELNS1_11target_archE4294967295ELNS1_3gpuE0ELNS1_3repE0EEENS1_30default_config_static_selectorELNS0_4arch9wavefront6targetE0EEEvSZ_.private_seg_size, 0
	.set _ZN7rocprim17ROCPRIM_400000_NS6detail17trampoline_kernelINS0_13select_configILj256ELj13ELNS0_17block_load_methodE3ELS4_3ELS4_3ELNS0_20block_scan_algorithmE0ELj4294967295EEENS1_25partition_config_selectorILNS1_17partition_subalgoE4EjNS0_10empty_typeEbEEZZNS1_14partition_implILS8_4ELb0ES6_15HIP_vector_typeIjLj2EENS0_17counting_iteratorIjlEEPS9_SG_NS0_5tupleIJPjSI_NS0_16reverse_iteratorISI_EEEEENSH_IJSG_SG_SG_EEES9_SI_JZNS1_25segmented_radix_sort_implINS0_14default_configELb1EPKlPlSQ_SR_N2at6native12_GLOBAL__N_18offset_tEEE10hipError_tPvRmT1_PNSt15iterator_traitsISZ_E10value_typeET2_T3_PNS10_IS15_E10value_typeET4_jRbjT5_S1B_jjP12ihipStream_tbEUljE_ZNSN_ISO_Lb1ESQ_SR_SQ_SR_SV_EESW_SX_SY_SZ_S13_S14_S15_S18_S19_jS1A_jS1B_S1B_jjS1D_bEUljE0_EEESW_SX_SY_S15_S19_S1B_T6_T7_T9_mT8_S1D_bDpT10_ENKUlT_T0_E_clISt17integral_constantIbLb0EES1R_EEDaS1M_S1N_EUlS1M_E_NS1_11comp_targetILNS1_3genE0ELNS1_11target_archE4294967295ELNS1_3gpuE0ELNS1_3repE0EEENS1_30default_config_static_selectorELNS0_4arch9wavefront6targetE0EEEvSZ_.uses_vcc, 1
	.set _ZN7rocprim17ROCPRIM_400000_NS6detail17trampoline_kernelINS0_13select_configILj256ELj13ELNS0_17block_load_methodE3ELS4_3ELS4_3ELNS0_20block_scan_algorithmE0ELj4294967295EEENS1_25partition_config_selectorILNS1_17partition_subalgoE4EjNS0_10empty_typeEbEEZZNS1_14partition_implILS8_4ELb0ES6_15HIP_vector_typeIjLj2EENS0_17counting_iteratorIjlEEPS9_SG_NS0_5tupleIJPjSI_NS0_16reverse_iteratorISI_EEEEENSH_IJSG_SG_SG_EEES9_SI_JZNS1_25segmented_radix_sort_implINS0_14default_configELb1EPKlPlSQ_SR_N2at6native12_GLOBAL__N_18offset_tEEE10hipError_tPvRmT1_PNSt15iterator_traitsISZ_E10value_typeET2_T3_PNS10_IS15_E10value_typeET4_jRbjT5_S1B_jjP12ihipStream_tbEUljE_ZNSN_ISO_Lb1ESQ_SR_SQ_SR_SV_EESW_SX_SY_SZ_S13_S14_S15_S18_S19_jS1A_jS1B_S1B_jjS1D_bEUljE0_EEESW_SX_SY_S15_S19_S1B_T6_T7_T9_mT8_S1D_bDpT10_ENKUlT_T0_E_clISt17integral_constantIbLb0EES1R_EEDaS1M_S1N_EUlS1M_E_NS1_11comp_targetILNS1_3genE0ELNS1_11target_archE4294967295ELNS1_3gpuE0ELNS1_3repE0EEENS1_30default_config_static_selectorELNS0_4arch9wavefront6targetE0EEEvSZ_.uses_flat_scratch, 0
	.set _ZN7rocprim17ROCPRIM_400000_NS6detail17trampoline_kernelINS0_13select_configILj256ELj13ELNS0_17block_load_methodE3ELS4_3ELS4_3ELNS0_20block_scan_algorithmE0ELj4294967295EEENS1_25partition_config_selectorILNS1_17partition_subalgoE4EjNS0_10empty_typeEbEEZZNS1_14partition_implILS8_4ELb0ES6_15HIP_vector_typeIjLj2EENS0_17counting_iteratorIjlEEPS9_SG_NS0_5tupleIJPjSI_NS0_16reverse_iteratorISI_EEEEENSH_IJSG_SG_SG_EEES9_SI_JZNS1_25segmented_radix_sort_implINS0_14default_configELb1EPKlPlSQ_SR_N2at6native12_GLOBAL__N_18offset_tEEE10hipError_tPvRmT1_PNSt15iterator_traitsISZ_E10value_typeET2_T3_PNS10_IS15_E10value_typeET4_jRbjT5_S1B_jjP12ihipStream_tbEUljE_ZNSN_ISO_Lb1ESQ_SR_SQ_SR_SV_EESW_SX_SY_SZ_S13_S14_S15_S18_S19_jS1A_jS1B_S1B_jjS1D_bEUljE0_EEESW_SX_SY_S15_S19_S1B_T6_T7_T9_mT8_S1D_bDpT10_ENKUlT_T0_E_clISt17integral_constantIbLb0EES1R_EEDaS1M_S1N_EUlS1M_E_NS1_11comp_targetILNS1_3genE0ELNS1_11target_archE4294967295ELNS1_3gpuE0ELNS1_3repE0EEENS1_30default_config_static_selectorELNS0_4arch9wavefront6targetE0EEEvSZ_.has_dyn_sized_stack, 0
	.set _ZN7rocprim17ROCPRIM_400000_NS6detail17trampoline_kernelINS0_13select_configILj256ELj13ELNS0_17block_load_methodE3ELS4_3ELS4_3ELNS0_20block_scan_algorithmE0ELj4294967295EEENS1_25partition_config_selectorILNS1_17partition_subalgoE4EjNS0_10empty_typeEbEEZZNS1_14partition_implILS8_4ELb0ES6_15HIP_vector_typeIjLj2EENS0_17counting_iteratorIjlEEPS9_SG_NS0_5tupleIJPjSI_NS0_16reverse_iteratorISI_EEEEENSH_IJSG_SG_SG_EEES9_SI_JZNS1_25segmented_radix_sort_implINS0_14default_configELb1EPKlPlSQ_SR_N2at6native12_GLOBAL__N_18offset_tEEE10hipError_tPvRmT1_PNSt15iterator_traitsISZ_E10value_typeET2_T3_PNS10_IS15_E10value_typeET4_jRbjT5_S1B_jjP12ihipStream_tbEUljE_ZNSN_ISO_Lb1ESQ_SR_SQ_SR_SV_EESW_SX_SY_SZ_S13_S14_S15_S18_S19_jS1A_jS1B_S1B_jjS1D_bEUljE0_EEESW_SX_SY_S15_S19_S1B_T6_T7_T9_mT8_S1D_bDpT10_ENKUlT_T0_E_clISt17integral_constantIbLb0EES1R_EEDaS1M_S1N_EUlS1M_E_NS1_11comp_targetILNS1_3genE0ELNS1_11target_archE4294967295ELNS1_3gpuE0ELNS1_3repE0EEENS1_30default_config_static_selectorELNS0_4arch9wavefront6targetE0EEEvSZ_.has_recursion, 0
	.set _ZN7rocprim17ROCPRIM_400000_NS6detail17trampoline_kernelINS0_13select_configILj256ELj13ELNS0_17block_load_methodE3ELS4_3ELS4_3ELNS0_20block_scan_algorithmE0ELj4294967295EEENS1_25partition_config_selectorILNS1_17partition_subalgoE4EjNS0_10empty_typeEbEEZZNS1_14partition_implILS8_4ELb0ES6_15HIP_vector_typeIjLj2EENS0_17counting_iteratorIjlEEPS9_SG_NS0_5tupleIJPjSI_NS0_16reverse_iteratorISI_EEEEENSH_IJSG_SG_SG_EEES9_SI_JZNS1_25segmented_radix_sort_implINS0_14default_configELb1EPKlPlSQ_SR_N2at6native12_GLOBAL__N_18offset_tEEE10hipError_tPvRmT1_PNSt15iterator_traitsISZ_E10value_typeET2_T3_PNS10_IS15_E10value_typeET4_jRbjT5_S1B_jjP12ihipStream_tbEUljE_ZNSN_ISO_Lb1ESQ_SR_SQ_SR_SV_EESW_SX_SY_SZ_S13_S14_S15_S18_S19_jS1A_jS1B_S1B_jjS1D_bEUljE0_EEESW_SX_SY_S15_S19_S1B_T6_T7_T9_mT8_S1D_bDpT10_ENKUlT_T0_E_clISt17integral_constantIbLb0EES1R_EEDaS1M_S1N_EUlS1M_E_NS1_11comp_targetILNS1_3genE0ELNS1_11target_archE4294967295ELNS1_3gpuE0ELNS1_3repE0EEENS1_30default_config_static_selectorELNS0_4arch9wavefront6targetE0EEEvSZ_.has_indirect_call, 0
	.section	.AMDGPU.csdata,"",@progbits
; Kernel info:
; codeLenInByte = 17784
; TotalNumSgprs: 61
; NumVgprs: 81
; ScratchSize: 0
; MemoryBound: 0
; FloatMode: 240
; IeeeMode: 1
; LDSByteSize: 13328 bytes/workgroup (compile time only)
; SGPRBlocks: 0
; VGPRBlocks: 5
; NumSGPRsForWavesPerEU: 61
; NumVGPRsForWavesPerEU: 81
; NamedBarCnt: 0
; Occupancy: 10
; WaveLimiterHint : 1
; COMPUTE_PGM_RSRC2:SCRATCH_EN: 0
; COMPUTE_PGM_RSRC2:USER_SGPR: 2
; COMPUTE_PGM_RSRC2:TRAP_HANDLER: 0
; COMPUTE_PGM_RSRC2:TGID_X_EN: 1
; COMPUTE_PGM_RSRC2:TGID_Y_EN: 0
; COMPUTE_PGM_RSRC2:TGID_Z_EN: 0
; COMPUTE_PGM_RSRC2:TIDIG_COMP_CNT: 0
	.section	.text._ZN7rocprim17ROCPRIM_400000_NS6detail17trampoline_kernelINS0_13select_configILj256ELj13ELNS0_17block_load_methodE3ELS4_3ELS4_3ELNS0_20block_scan_algorithmE0ELj4294967295EEENS1_25partition_config_selectorILNS1_17partition_subalgoE4EjNS0_10empty_typeEbEEZZNS1_14partition_implILS8_4ELb0ES6_15HIP_vector_typeIjLj2EENS0_17counting_iteratorIjlEEPS9_SG_NS0_5tupleIJPjSI_NS0_16reverse_iteratorISI_EEEEENSH_IJSG_SG_SG_EEES9_SI_JZNS1_25segmented_radix_sort_implINS0_14default_configELb1EPKlPlSQ_SR_N2at6native12_GLOBAL__N_18offset_tEEE10hipError_tPvRmT1_PNSt15iterator_traitsISZ_E10value_typeET2_T3_PNS10_IS15_E10value_typeET4_jRbjT5_S1B_jjP12ihipStream_tbEUljE_ZNSN_ISO_Lb1ESQ_SR_SQ_SR_SV_EESW_SX_SY_SZ_S13_S14_S15_S18_S19_jS1A_jS1B_S1B_jjS1D_bEUljE0_EEESW_SX_SY_S15_S19_S1B_T6_T7_T9_mT8_S1D_bDpT10_ENKUlT_T0_E_clISt17integral_constantIbLb0EES1R_EEDaS1M_S1N_EUlS1M_E_NS1_11comp_targetILNS1_3genE5ELNS1_11target_archE942ELNS1_3gpuE9ELNS1_3repE0EEENS1_30default_config_static_selectorELNS0_4arch9wavefront6targetE0EEEvSZ_,"axG",@progbits,_ZN7rocprim17ROCPRIM_400000_NS6detail17trampoline_kernelINS0_13select_configILj256ELj13ELNS0_17block_load_methodE3ELS4_3ELS4_3ELNS0_20block_scan_algorithmE0ELj4294967295EEENS1_25partition_config_selectorILNS1_17partition_subalgoE4EjNS0_10empty_typeEbEEZZNS1_14partition_implILS8_4ELb0ES6_15HIP_vector_typeIjLj2EENS0_17counting_iteratorIjlEEPS9_SG_NS0_5tupleIJPjSI_NS0_16reverse_iteratorISI_EEEEENSH_IJSG_SG_SG_EEES9_SI_JZNS1_25segmented_radix_sort_implINS0_14default_configELb1EPKlPlSQ_SR_N2at6native12_GLOBAL__N_18offset_tEEE10hipError_tPvRmT1_PNSt15iterator_traitsISZ_E10value_typeET2_T3_PNS10_IS15_E10value_typeET4_jRbjT5_S1B_jjP12ihipStream_tbEUljE_ZNSN_ISO_Lb1ESQ_SR_SQ_SR_SV_EESW_SX_SY_SZ_S13_S14_S15_S18_S19_jS1A_jS1B_S1B_jjS1D_bEUljE0_EEESW_SX_SY_S15_S19_S1B_T6_T7_T9_mT8_S1D_bDpT10_ENKUlT_T0_E_clISt17integral_constantIbLb0EES1R_EEDaS1M_S1N_EUlS1M_E_NS1_11comp_targetILNS1_3genE5ELNS1_11target_archE942ELNS1_3gpuE9ELNS1_3repE0EEENS1_30default_config_static_selectorELNS0_4arch9wavefront6targetE0EEEvSZ_,comdat
	.globl	_ZN7rocprim17ROCPRIM_400000_NS6detail17trampoline_kernelINS0_13select_configILj256ELj13ELNS0_17block_load_methodE3ELS4_3ELS4_3ELNS0_20block_scan_algorithmE0ELj4294967295EEENS1_25partition_config_selectorILNS1_17partition_subalgoE4EjNS0_10empty_typeEbEEZZNS1_14partition_implILS8_4ELb0ES6_15HIP_vector_typeIjLj2EENS0_17counting_iteratorIjlEEPS9_SG_NS0_5tupleIJPjSI_NS0_16reverse_iteratorISI_EEEEENSH_IJSG_SG_SG_EEES9_SI_JZNS1_25segmented_radix_sort_implINS0_14default_configELb1EPKlPlSQ_SR_N2at6native12_GLOBAL__N_18offset_tEEE10hipError_tPvRmT1_PNSt15iterator_traitsISZ_E10value_typeET2_T3_PNS10_IS15_E10value_typeET4_jRbjT5_S1B_jjP12ihipStream_tbEUljE_ZNSN_ISO_Lb1ESQ_SR_SQ_SR_SV_EESW_SX_SY_SZ_S13_S14_S15_S18_S19_jS1A_jS1B_S1B_jjS1D_bEUljE0_EEESW_SX_SY_S15_S19_S1B_T6_T7_T9_mT8_S1D_bDpT10_ENKUlT_T0_E_clISt17integral_constantIbLb0EES1R_EEDaS1M_S1N_EUlS1M_E_NS1_11comp_targetILNS1_3genE5ELNS1_11target_archE942ELNS1_3gpuE9ELNS1_3repE0EEENS1_30default_config_static_selectorELNS0_4arch9wavefront6targetE0EEEvSZ_ ; -- Begin function _ZN7rocprim17ROCPRIM_400000_NS6detail17trampoline_kernelINS0_13select_configILj256ELj13ELNS0_17block_load_methodE3ELS4_3ELS4_3ELNS0_20block_scan_algorithmE0ELj4294967295EEENS1_25partition_config_selectorILNS1_17partition_subalgoE4EjNS0_10empty_typeEbEEZZNS1_14partition_implILS8_4ELb0ES6_15HIP_vector_typeIjLj2EENS0_17counting_iteratorIjlEEPS9_SG_NS0_5tupleIJPjSI_NS0_16reverse_iteratorISI_EEEEENSH_IJSG_SG_SG_EEES9_SI_JZNS1_25segmented_radix_sort_implINS0_14default_configELb1EPKlPlSQ_SR_N2at6native12_GLOBAL__N_18offset_tEEE10hipError_tPvRmT1_PNSt15iterator_traitsISZ_E10value_typeET2_T3_PNS10_IS15_E10value_typeET4_jRbjT5_S1B_jjP12ihipStream_tbEUljE_ZNSN_ISO_Lb1ESQ_SR_SQ_SR_SV_EESW_SX_SY_SZ_S13_S14_S15_S18_S19_jS1A_jS1B_S1B_jjS1D_bEUljE0_EEESW_SX_SY_S15_S19_S1B_T6_T7_T9_mT8_S1D_bDpT10_ENKUlT_T0_E_clISt17integral_constantIbLb0EES1R_EEDaS1M_S1N_EUlS1M_E_NS1_11comp_targetILNS1_3genE5ELNS1_11target_archE942ELNS1_3gpuE9ELNS1_3repE0EEENS1_30default_config_static_selectorELNS0_4arch9wavefront6targetE0EEEvSZ_
	.p2align	8
	.type	_ZN7rocprim17ROCPRIM_400000_NS6detail17trampoline_kernelINS0_13select_configILj256ELj13ELNS0_17block_load_methodE3ELS4_3ELS4_3ELNS0_20block_scan_algorithmE0ELj4294967295EEENS1_25partition_config_selectorILNS1_17partition_subalgoE4EjNS0_10empty_typeEbEEZZNS1_14partition_implILS8_4ELb0ES6_15HIP_vector_typeIjLj2EENS0_17counting_iteratorIjlEEPS9_SG_NS0_5tupleIJPjSI_NS0_16reverse_iteratorISI_EEEEENSH_IJSG_SG_SG_EEES9_SI_JZNS1_25segmented_radix_sort_implINS0_14default_configELb1EPKlPlSQ_SR_N2at6native12_GLOBAL__N_18offset_tEEE10hipError_tPvRmT1_PNSt15iterator_traitsISZ_E10value_typeET2_T3_PNS10_IS15_E10value_typeET4_jRbjT5_S1B_jjP12ihipStream_tbEUljE_ZNSN_ISO_Lb1ESQ_SR_SQ_SR_SV_EESW_SX_SY_SZ_S13_S14_S15_S18_S19_jS1A_jS1B_S1B_jjS1D_bEUljE0_EEESW_SX_SY_S15_S19_S1B_T6_T7_T9_mT8_S1D_bDpT10_ENKUlT_T0_E_clISt17integral_constantIbLb0EES1R_EEDaS1M_S1N_EUlS1M_E_NS1_11comp_targetILNS1_3genE5ELNS1_11target_archE942ELNS1_3gpuE9ELNS1_3repE0EEENS1_30default_config_static_selectorELNS0_4arch9wavefront6targetE0EEEvSZ_,@function
_ZN7rocprim17ROCPRIM_400000_NS6detail17trampoline_kernelINS0_13select_configILj256ELj13ELNS0_17block_load_methodE3ELS4_3ELS4_3ELNS0_20block_scan_algorithmE0ELj4294967295EEENS1_25partition_config_selectorILNS1_17partition_subalgoE4EjNS0_10empty_typeEbEEZZNS1_14partition_implILS8_4ELb0ES6_15HIP_vector_typeIjLj2EENS0_17counting_iteratorIjlEEPS9_SG_NS0_5tupleIJPjSI_NS0_16reverse_iteratorISI_EEEEENSH_IJSG_SG_SG_EEES9_SI_JZNS1_25segmented_radix_sort_implINS0_14default_configELb1EPKlPlSQ_SR_N2at6native12_GLOBAL__N_18offset_tEEE10hipError_tPvRmT1_PNSt15iterator_traitsISZ_E10value_typeET2_T3_PNS10_IS15_E10value_typeET4_jRbjT5_S1B_jjP12ihipStream_tbEUljE_ZNSN_ISO_Lb1ESQ_SR_SQ_SR_SV_EESW_SX_SY_SZ_S13_S14_S15_S18_S19_jS1A_jS1B_S1B_jjS1D_bEUljE0_EEESW_SX_SY_S15_S19_S1B_T6_T7_T9_mT8_S1D_bDpT10_ENKUlT_T0_E_clISt17integral_constantIbLb0EES1R_EEDaS1M_S1N_EUlS1M_E_NS1_11comp_targetILNS1_3genE5ELNS1_11target_archE942ELNS1_3gpuE9ELNS1_3repE0EEENS1_30default_config_static_selectorELNS0_4arch9wavefront6targetE0EEEvSZ_: ; @_ZN7rocprim17ROCPRIM_400000_NS6detail17trampoline_kernelINS0_13select_configILj256ELj13ELNS0_17block_load_methodE3ELS4_3ELS4_3ELNS0_20block_scan_algorithmE0ELj4294967295EEENS1_25partition_config_selectorILNS1_17partition_subalgoE4EjNS0_10empty_typeEbEEZZNS1_14partition_implILS8_4ELb0ES6_15HIP_vector_typeIjLj2EENS0_17counting_iteratorIjlEEPS9_SG_NS0_5tupleIJPjSI_NS0_16reverse_iteratorISI_EEEEENSH_IJSG_SG_SG_EEES9_SI_JZNS1_25segmented_radix_sort_implINS0_14default_configELb1EPKlPlSQ_SR_N2at6native12_GLOBAL__N_18offset_tEEE10hipError_tPvRmT1_PNSt15iterator_traitsISZ_E10value_typeET2_T3_PNS10_IS15_E10value_typeET4_jRbjT5_S1B_jjP12ihipStream_tbEUljE_ZNSN_ISO_Lb1ESQ_SR_SQ_SR_SV_EESW_SX_SY_SZ_S13_S14_S15_S18_S19_jS1A_jS1B_S1B_jjS1D_bEUljE0_EEESW_SX_SY_S15_S19_S1B_T6_T7_T9_mT8_S1D_bDpT10_ENKUlT_T0_E_clISt17integral_constantIbLb0EES1R_EEDaS1M_S1N_EUlS1M_E_NS1_11comp_targetILNS1_3genE5ELNS1_11target_archE942ELNS1_3gpuE9ELNS1_3repE0EEENS1_30default_config_static_selectorELNS0_4arch9wavefront6targetE0EEEvSZ_
; %bb.0:
	.section	.rodata,"a",@progbits
	.p2align	6, 0x0
	.amdhsa_kernel _ZN7rocprim17ROCPRIM_400000_NS6detail17trampoline_kernelINS0_13select_configILj256ELj13ELNS0_17block_load_methodE3ELS4_3ELS4_3ELNS0_20block_scan_algorithmE0ELj4294967295EEENS1_25partition_config_selectorILNS1_17partition_subalgoE4EjNS0_10empty_typeEbEEZZNS1_14partition_implILS8_4ELb0ES6_15HIP_vector_typeIjLj2EENS0_17counting_iteratorIjlEEPS9_SG_NS0_5tupleIJPjSI_NS0_16reverse_iteratorISI_EEEEENSH_IJSG_SG_SG_EEES9_SI_JZNS1_25segmented_radix_sort_implINS0_14default_configELb1EPKlPlSQ_SR_N2at6native12_GLOBAL__N_18offset_tEEE10hipError_tPvRmT1_PNSt15iterator_traitsISZ_E10value_typeET2_T3_PNS10_IS15_E10value_typeET4_jRbjT5_S1B_jjP12ihipStream_tbEUljE_ZNSN_ISO_Lb1ESQ_SR_SQ_SR_SV_EESW_SX_SY_SZ_S13_S14_S15_S18_S19_jS1A_jS1B_S1B_jjS1D_bEUljE0_EEESW_SX_SY_S15_S19_S1B_T6_T7_T9_mT8_S1D_bDpT10_ENKUlT_T0_E_clISt17integral_constantIbLb0EES1R_EEDaS1M_S1N_EUlS1M_E_NS1_11comp_targetILNS1_3genE5ELNS1_11target_archE942ELNS1_3gpuE9ELNS1_3repE0EEENS1_30default_config_static_selectorELNS0_4arch9wavefront6targetE0EEEvSZ_
		.amdhsa_group_segment_fixed_size 0
		.amdhsa_private_segment_fixed_size 0
		.amdhsa_kernarg_size 176
		.amdhsa_user_sgpr_count 2
		.amdhsa_user_sgpr_dispatch_ptr 0
		.amdhsa_user_sgpr_queue_ptr 0
		.amdhsa_user_sgpr_kernarg_segment_ptr 1
		.amdhsa_user_sgpr_dispatch_id 0
		.amdhsa_user_sgpr_kernarg_preload_length 0
		.amdhsa_user_sgpr_kernarg_preload_offset 0
		.amdhsa_user_sgpr_private_segment_size 0
		.amdhsa_wavefront_size32 1
		.amdhsa_uses_dynamic_stack 0
		.amdhsa_enable_private_segment 0
		.amdhsa_system_sgpr_workgroup_id_x 1
		.amdhsa_system_sgpr_workgroup_id_y 0
		.amdhsa_system_sgpr_workgroup_id_z 0
		.amdhsa_system_sgpr_workgroup_info 0
		.amdhsa_system_vgpr_workitem_id 0
		.amdhsa_next_free_vgpr 1
		.amdhsa_next_free_sgpr 1
		.amdhsa_named_barrier_count 0
		.amdhsa_reserve_vcc 0
		.amdhsa_float_round_mode_32 0
		.amdhsa_float_round_mode_16_64 0
		.amdhsa_float_denorm_mode_32 3
		.amdhsa_float_denorm_mode_16_64 3
		.amdhsa_fp16_overflow 0
		.amdhsa_memory_ordered 1
		.amdhsa_forward_progress 1
		.amdhsa_inst_pref_size 0
		.amdhsa_round_robin_scheduling 0
		.amdhsa_exception_fp_ieee_invalid_op 0
		.amdhsa_exception_fp_denorm_src 0
		.amdhsa_exception_fp_ieee_div_zero 0
		.amdhsa_exception_fp_ieee_overflow 0
		.amdhsa_exception_fp_ieee_underflow 0
		.amdhsa_exception_fp_ieee_inexact 0
		.amdhsa_exception_int_div_zero 0
	.end_amdhsa_kernel
	.section	.text._ZN7rocprim17ROCPRIM_400000_NS6detail17trampoline_kernelINS0_13select_configILj256ELj13ELNS0_17block_load_methodE3ELS4_3ELS4_3ELNS0_20block_scan_algorithmE0ELj4294967295EEENS1_25partition_config_selectorILNS1_17partition_subalgoE4EjNS0_10empty_typeEbEEZZNS1_14partition_implILS8_4ELb0ES6_15HIP_vector_typeIjLj2EENS0_17counting_iteratorIjlEEPS9_SG_NS0_5tupleIJPjSI_NS0_16reverse_iteratorISI_EEEEENSH_IJSG_SG_SG_EEES9_SI_JZNS1_25segmented_radix_sort_implINS0_14default_configELb1EPKlPlSQ_SR_N2at6native12_GLOBAL__N_18offset_tEEE10hipError_tPvRmT1_PNSt15iterator_traitsISZ_E10value_typeET2_T3_PNS10_IS15_E10value_typeET4_jRbjT5_S1B_jjP12ihipStream_tbEUljE_ZNSN_ISO_Lb1ESQ_SR_SQ_SR_SV_EESW_SX_SY_SZ_S13_S14_S15_S18_S19_jS1A_jS1B_S1B_jjS1D_bEUljE0_EEESW_SX_SY_S15_S19_S1B_T6_T7_T9_mT8_S1D_bDpT10_ENKUlT_T0_E_clISt17integral_constantIbLb0EES1R_EEDaS1M_S1N_EUlS1M_E_NS1_11comp_targetILNS1_3genE5ELNS1_11target_archE942ELNS1_3gpuE9ELNS1_3repE0EEENS1_30default_config_static_selectorELNS0_4arch9wavefront6targetE0EEEvSZ_,"axG",@progbits,_ZN7rocprim17ROCPRIM_400000_NS6detail17trampoline_kernelINS0_13select_configILj256ELj13ELNS0_17block_load_methodE3ELS4_3ELS4_3ELNS0_20block_scan_algorithmE0ELj4294967295EEENS1_25partition_config_selectorILNS1_17partition_subalgoE4EjNS0_10empty_typeEbEEZZNS1_14partition_implILS8_4ELb0ES6_15HIP_vector_typeIjLj2EENS0_17counting_iteratorIjlEEPS9_SG_NS0_5tupleIJPjSI_NS0_16reverse_iteratorISI_EEEEENSH_IJSG_SG_SG_EEES9_SI_JZNS1_25segmented_radix_sort_implINS0_14default_configELb1EPKlPlSQ_SR_N2at6native12_GLOBAL__N_18offset_tEEE10hipError_tPvRmT1_PNSt15iterator_traitsISZ_E10value_typeET2_T3_PNS10_IS15_E10value_typeET4_jRbjT5_S1B_jjP12ihipStream_tbEUljE_ZNSN_ISO_Lb1ESQ_SR_SQ_SR_SV_EESW_SX_SY_SZ_S13_S14_S15_S18_S19_jS1A_jS1B_S1B_jjS1D_bEUljE0_EEESW_SX_SY_S15_S19_S1B_T6_T7_T9_mT8_S1D_bDpT10_ENKUlT_T0_E_clISt17integral_constantIbLb0EES1R_EEDaS1M_S1N_EUlS1M_E_NS1_11comp_targetILNS1_3genE5ELNS1_11target_archE942ELNS1_3gpuE9ELNS1_3repE0EEENS1_30default_config_static_selectorELNS0_4arch9wavefront6targetE0EEEvSZ_,comdat
.Lfunc_end637:
	.size	_ZN7rocprim17ROCPRIM_400000_NS6detail17trampoline_kernelINS0_13select_configILj256ELj13ELNS0_17block_load_methodE3ELS4_3ELS4_3ELNS0_20block_scan_algorithmE0ELj4294967295EEENS1_25partition_config_selectorILNS1_17partition_subalgoE4EjNS0_10empty_typeEbEEZZNS1_14partition_implILS8_4ELb0ES6_15HIP_vector_typeIjLj2EENS0_17counting_iteratorIjlEEPS9_SG_NS0_5tupleIJPjSI_NS0_16reverse_iteratorISI_EEEEENSH_IJSG_SG_SG_EEES9_SI_JZNS1_25segmented_radix_sort_implINS0_14default_configELb1EPKlPlSQ_SR_N2at6native12_GLOBAL__N_18offset_tEEE10hipError_tPvRmT1_PNSt15iterator_traitsISZ_E10value_typeET2_T3_PNS10_IS15_E10value_typeET4_jRbjT5_S1B_jjP12ihipStream_tbEUljE_ZNSN_ISO_Lb1ESQ_SR_SQ_SR_SV_EESW_SX_SY_SZ_S13_S14_S15_S18_S19_jS1A_jS1B_S1B_jjS1D_bEUljE0_EEESW_SX_SY_S15_S19_S1B_T6_T7_T9_mT8_S1D_bDpT10_ENKUlT_T0_E_clISt17integral_constantIbLb0EES1R_EEDaS1M_S1N_EUlS1M_E_NS1_11comp_targetILNS1_3genE5ELNS1_11target_archE942ELNS1_3gpuE9ELNS1_3repE0EEENS1_30default_config_static_selectorELNS0_4arch9wavefront6targetE0EEEvSZ_, .Lfunc_end637-_ZN7rocprim17ROCPRIM_400000_NS6detail17trampoline_kernelINS0_13select_configILj256ELj13ELNS0_17block_load_methodE3ELS4_3ELS4_3ELNS0_20block_scan_algorithmE0ELj4294967295EEENS1_25partition_config_selectorILNS1_17partition_subalgoE4EjNS0_10empty_typeEbEEZZNS1_14partition_implILS8_4ELb0ES6_15HIP_vector_typeIjLj2EENS0_17counting_iteratorIjlEEPS9_SG_NS0_5tupleIJPjSI_NS0_16reverse_iteratorISI_EEEEENSH_IJSG_SG_SG_EEES9_SI_JZNS1_25segmented_radix_sort_implINS0_14default_configELb1EPKlPlSQ_SR_N2at6native12_GLOBAL__N_18offset_tEEE10hipError_tPvRmT1_PNSt15iterator_traitsISZ_E10value_typeET2_T3_PNS10_IS15_E10value_typeET4_jRbjT5_S1B_jjP12ihipStream_tbEUljE_ZNSN_ISO_Lb1ESQ_SR_SQ_SR_SV_EESW_SX_SY_SZ_S13_S14_S15_S18_S19_jS1A_jS1B_S1B_jjS1D_bEUljE0_EEESW_SX_SY_S15_S19_S1B_T6_T7_T9_mT8_S1D_bDpT10_ENKUlT_T0_E_clISt17integral_constantIbLb0EES1R_EEDaS1M_S1N_EUlS1M_E_NS1_11comp_targetILNS1_3genE5ELNS1_11target_archE942ELNS1_3gpuE9ELNS1_3repE0EEENS1_30default_config_static_selectorELNS0_4arch9wavefront6targetE0EEEvSZ_
                                        ; -- End function
	.set _ZN7rocprim17ROCPRIM_400000_NS6detail17trampoline_kernelINS0_13select_configILj256ELj13ELNS0_17block_load_methodE3ELS4_3ELS4_3ELNS0_20block_scan_algorithmE0ELj4294967295EEENS1_25partition_config_selectorILNS1_17partition_subalgoE4EjNS0_10empty_typeEbEEZZNS1_14partition_implILS8_4ELb0ES6_15HIP_vector_typeIjLj2EENS0_17counting_iteratorIjlEEPS9_SG_NS0_5tupleIJPjSI_NS0_16reverse_iteratorISI_EEEEENSH_IJSG_SG_SG_EEES9_SI_JZNS1_25segmented_radix_sort_implINS0_14default_configELb1EPKlPlSQ_SR_N2at6native12_GLOBAL__N_18offset_tEEE10hipError_tPvRmT1_PNSt15iterator_traitsISZ_E10value_typeET2_T3_PNS10_IS15_E10value_typeET4_jRbjT5_S1B_jjP12ihipStream_tbEUljE_ZNSN_ISO_Lb1ESQ_SR_SQ_SR_SV_EESW_SX_SY_SZ_S13_S14_S15_S18_S19_jS1A_jS1B_S1B_jjS1D_bEUljE0_EEESW_SX_SY_S15_S19_S1B_T6_T7_T9_mT8_S1D_bDpT10_ENKUlT_T0_E_clISt17integral_constantIbLb0EES1R_EEDaS1M_S1N_EUlS1M_E_NS1_11comp_targetILNS1_3genE5ELNS1_11target_archE942ELNS1_3gpuE9ELNS1_3repE0EEENS1_30default_config_static_selectorELNS0_4arch9wavefront6targetE0EEEvSZ_.num_vgpr, 0
	.set _ZN7rocprim17ROCPRIM_400000_NS6detail17trampoline_kernelINS0_13select_configILj256ELj13ELNS0_17block_load_methodE3ELS4_3ELS4_3ELNS0_20block_scan_algorithmE0ELj4294967295EEENS1_25partition_config_selectorILNS1_17partition_subalgoE4EjNS0_10empty_typeEbEEZZNS1_14partition_implILS8_4ELb0ES6_15HIP_vector_typeIjLj2EENS0_17counting_iteratorIjlEEPS9_SG_NS0_5tupleIJPjSI_NS0_16reverse_iteratorISI_EEEEENSH_IJSG_SG_SG_EEES9_SI_JZNS1_25segmented_radix_sort_implINS0_14default_configELb1EPKlPlSQ_SR_N2at6native12_GLOBAL__N_18offset_tEEE10hipError_tPvRmT1_PNSt15iterator_traitsISZ_E10value_typeET2_T3_PNS10_IS15_E10value_typeET4_jRbjT5_S1B_jjP12ihipStream_tbEUljE_ZNSN_ISO_Lb1ESQ_SR_SQ_SR_SV_EESW_SX_SY_SZ_S13_S14_S15_S18_S19_jS1A_jS1B_S1B_jjS1D_bEUljE0_EEESW_SX_SY_S15_S19_S1B_T6_T7_T9_mT8_S1D_bDpT10_ENKUlT_T0_E_clISt17integral_constantIbLb0EES1R_EEDaS1M_S1N_EUlS1M_E_NS1_11comp_targetILNS1_3genE5ELNS1_11target_archE942ELNS1_3gpuE9ELNS1_3repE0EEENS1_30default_config_static_selectorELNS0_4arch9wavefront6targetE0EEEvSZ_.num_agpr, 0
	.set _ZN7rocprim17ROCPRIM_400000_NS6detail17trampoline_kernelINS0_13select_configILj256ELj13ELNS0_17block_load_methodE3ELS4_3ELS4_3ELNS0_20block_scan_algorithmE0ELj4294967295EEENS1_25partition_config_selectorILNS1_17partition_subalgoE4EjNS0_10empty_typeEbEEZZNS1_14partition_implILS8_4ELb0ES6_15HIP_vector_typeIjLj2EENS0_17counting_iteratorIjlEEPS9_SG_NS0_5tupleIJPjSI_NS0_16reverse_iteratorISI_EEEEENSH_IJSG_SG_SG_EEES9_SI_JZNS1_25segmented_radix_sort_implINS0_14default_configELb1EPKlPlSQ_SR_N2at6native12_GLOBAL__N_18offset_tEEE10hipError_tPvRmT1_PNSt15iterator_traitsISZ_E10value_typeET2_T3_PNS10_IS15_E10value_typeET4_jRbjT5_S1B_jjP12ihipStream_tbEUljE_ZNSN_ISO_Lb1ESQ_SR_SQ_SR_SV_EESW_SX_SY_SZ_S13_S14_S15_S18_S19_jS1A_jS1B_S1B_jjS1D_bEUljE0_EEESW_SX_SY_S15_S19_S1B_T6_T7_T9_mT8_S1D_bDpT10_ENKUlT_T0_E_clISt17integral_constantIbLb0EES1R_EEDaS1M_S1N_EUlS1M_E_NS1_11comp_targetILNS1_3genE5ELNS1_11target_archE942ELNS1_3gpuE9ELNS1_3repE0EEENS1_30default_config_static_selectorELNS0_4arch9wavefront6targetE0EEEvSZ_.numbered_sgpr, 0
	.set _ZN7rocprim17ROCPRIM_400000_NS6detail17trampoline_kernelINS0_13select_configILj256ELj13ELNS0_17block_load_methodE3ELS4_3ELS4_3ELNS0_20block_scan_algorithmE0ELj4294967295EEENS1_25partition_config_selectorILNS1_17partition_subalgoE4EjNS0_10empty_typeEbEEZZNS1_14partition_implILS8_4ELb0ES6_15HIP_vector_typeIjLj2EENS0_17counting_iteratorIjlEEPS9_SG_NS0_5tupleIJPjSI_NS0_16reverse_iteratorISI_EEEEENSH_IJSG_SG_SG_EEES9_SI_JZNS1_25segmented_radix_sort_implINS0_14default_configELb1EPKlPlSQ_SR_N2at6native12_GLOBAL__N_18offset_tEEE10hipError_tPvRmT1_PNSt15iterator_traitsISZ_E10value_typeET2_T3_PNS10_IS15_E10value_typeET4_jRbjT5_S1B_jjP12ihipStream_tbEUljE_ZNSN_ISO_Lb1ESQ_SR_SQ_SR_SV_EESW_SX_SY_SZ_S13_S14_S15_S18_S19_jS1A_jS1B_S1B_jjS1D_bEUljE0_EEESW_SX_SY_S15_S19_S1B_T6_T7_T9_mT8_S1D_bDpT10_ENKUlT_T0_E_clISt17integral_constantIbLb0EES1R_EEDaS1M_S1N_EUlS1M_E_NS1_11comp_targetILNS1_3genE5ELNS1_11target_archE942ELNS1_3gpuE9ELNS1_3repE0EEENS1_30default_config_static_selectorELNS0_4arch9wavefront6targetE0EEEvSZ_.num_named_barrier, 0
	.set _ZN7rocprim17ROCPRIM_400000_NS6detail17trampoline_kernelINS0_13select_configILj256ELj13ELNS0_17block_load_methodE3ELS4_3ELS4_3ELNS0_20block_scan_algorithmE0ELj4294967295EEENS1_25partition_config_selectorILNS1_17partition_subalgoE4EjNS0_10empty_typeEbEEZZNS1_14partition_implILS8_4ELb0ES6_15HIP_vector_typeIjLj2EENS0_17counting_iteratorIjlEEPS9_SG_NS0_5tupleIJPjSI_NS0_16reverse_iteratorISI_EEEEENSH_IJSG_SG_SG_EEES9_SI_JZNS1_25segmented_radix_sort_implINS0_14default_configELb1EPKlPlSQ_SR_N2at6native12_GLOBAL__N_18offset_tEEE10hipError_tPvRmT1_PNSt15iterator_traitsISZ_E10value_typeET2_T3_PNS10_IS15_E10value_typeET4_jRbjT5_S1B_jjP12ihipStream_tbEUljE_ZNSN_ISO_Lb1ESQ_SR_SQ_SR_SV_EESW_SX_SY_SZ_S13_S14_S15_S18_S19_jS1A_jS1B_S1B_jjS1D_bEUljE0_EEESW_SX_SY_S15_S19_S1B_T6_T7_T9_mT8_S1D_bDpT10_ENKUlT_T0_E_clISt17integral_constantIbLb0EES1R_EEDaS1M_S1N_EUlS1M_E_NS1_11comp_targetILNS1_3genE5ELNS1_11target_archE942ELNS1_3gpuE9ELNS1_3repE0EEENS1_30default_config_static_selectorELNS0_4arch9wavefront6targetE0EEEvSZ_.private_seg_size, 0
	.set _ZN7rocprim17ROCPRIM_400000_NS6detail17trampoline_kernelINS0_13select_configILj256ELj13ELNS0_17block_load_methodE3ELS4_3ELS4_3ELNS0_20block_scan_algorithmE0ELj4294967295EEENS1_25partition_config_selectorILNS1_17partition_subalgoE4EjNS0_10empty_typeEbEEZZNS1_14partition_implILS8_4ELb0ES6_15HIP_vector_typeIjLj2EENS0_17counting_iteratorIjlEEPS9_SG_NS0_5tupleIJPjSI_NS0_16reverse_iteratorISI_EEEEENSH_IJSG_SG_SG_EEES9_SI_JZNS1_25segmented_radix_sort_implINS0_14default_configELb1EPKlPlSQ_SR_N2at6native12_GLOBAL__N_18offset_tEEE10hipError_tPvRmT1_PNSt15iterator_traitsISZ_E10value_typeET2_T3_PNS10_IS15_E10value_typeET4_jRbjT5_S1B_jjP12ihipStream_tbEUljE_ZNSN_ISO_Lb1ESQ_SR_SQ_SR_SV_EESW_SX_SY_SZ_S13_S14_S15_S18_S19_jS1A_jS1B_S1B_jjS1D_bEUljE0_EEESW_SX_SY_S15_S19_S1B_T6_T7_T9_mT8_S1D_bDpT10_ENKUlT_T0_E_clISt17integral_constantIbLb0EES1R_EEDaS1M_S1N_EUlS1M_E_NS1_11comp_targetILNS1_3genE5ELNS1_11target_archE942ELNS1_3gpuE9ELNS1_3repE0EEENS1_30default_config_static_selectorELNS0_4arch9wavefront6targetE0EEEvSZ_.uses_vcc, 0
	.set _ZN7rocprim17ROCPRIM_400000_NS6detail17trampoline_kernelINS0_13select_configILj256ELj13ELNS0_17block_load_methodE3ELS4_3ELS4_3ELNS0_20block_scan_algorithmE0ELj4294967295EEENS1_25partition_config_selectorILNS1_17partition_subalgoE4EjNS0_10empty_typeEbEEZZNS1_14partition_implILS8_4ELb0ES6_15HIP_vector_typeIjLj2EENS0_17counting_iteratorIjlEEPS9_SG_NS0_5tupleIJPjSI_NS0_16reverse_iteratorISI_EEEEENSH_IJSG_SG_SG_EEES9_SI_JZNS1_25segmented_radix_sort_implINS0_14default_configELb1EPKlPlSQ_SR_N2at6native12_GLOBAL__N_18offset_tEEE10hipError_tPvRmT1_PNSt15iterator_traitsISZ_E10value_typeET2_T3_PNS10_IS15_E10value_typeET4_jRbjT5_S1B_jjP12ihipStream_tbEUljE_ZNSN_ISO_Lb1ESQ_SR_SQ_SR_SV_EESW_SX_SY_SZ_S13_S14_S15_S18_S19_jS1A_jS1B_S1B_jjS1D_bEUljE0_EEESW_SX_SY_S15_S19_S1B_T6_T7_T9_mT8_S1D_bDpT10_ENKUlT_T0_E_clISt17integral_constantIbLb0EES1R_EEDaS1M_S1N_EUlS1M_E_NS1_11comp_targetILNS1_3genE5ELNS1_11target_archE942ELNS1_3gpuE9ELNS1_3repE0EEENS1_30default_config_static_selectorELNS0_4arch9wavefront6targetE0EEEvSZ_.uses_flat_scratch, 0
	.set _ZN7rocprim17ROCPRIM_400000_NS6detail17trampoline_kernelINS0_13select_configILj256ELj13ELNS0_17block_load_methodE3ELS4_3ELS4_3ELNS0_20block_scan_algorithmE0ELj4294967295EEENS1_25partition_config_selectorILNS1_17partition_subalgoE4EjNS0_10empty_typeEbEEZZNS1_14partition_implILS8_4ELb0ES6_15HIP_vector_typeIjLj2EENS0_17counting_iteratorIjlEEPS9_SG_NS0_5tupleIJPjSI_NS0_16reverse_iteratorISI_EEEEENSH_IJSG_SG_SG_EEES9_SI_JZNS1_25segmented_radix_sort_implINS0_14default_configELb1EPKlPlSQ_SR_N2at6native12_GLOBAL__N_18offset_tEEE10hipError_tPvRmT1_PNSt15iterator_traitsISZ_E10value_typeET2_T3_PNS10_IS15_E10value_typeET4_jRbjT5_S1B_jjP12ihipStream_tbEUljE_ZNSN_ISO_Lb1ESQ_SR_SQ_SR_SV_EESW_SX_SY_SZ_S13_S14_S15_S18_S19_jS1A_jS1B_S1B_jjS1D_bEUljE0_EEESW_SX_SY_S15_S19_S1B_T6_T7_T9_mT8_S1D_bDpT10_ENKUlT_T0_E_clISt17integral_constantIbLb0EES1R_EEDaS1M_S1N_EUlS1M_E_NS1_11comp_targetILNS1_3genE5ELNS1_11target_archE942ELNS1_3gpuE9ELNS1_3repE0EEENS1_30default_config_static_selectorELNS0_4arch9wavefront6targetE0EEEvSZ_.has_dyn_sized_stack, 0
	.set _ZN7rocprim17ROCPRIM_400000_NS6detail17trampoline_kernelINS0_13select_configILj256ELj13ELNS0_17block_load_methodE3ELS4_3ELS4_3ELNS0_20block_scan_algorithmE0ELj4294967295EEENS1_25partition_config_selectorILNS1_17partition_subalgoE4EjNS0_10empty_typeEbEEZZNS1_14partition_implILS8_4ELb0ES6_15HIP_vector_typeIjLj2EENS0_17counting_iteratorIjlEEPS9_SG_NS0_5tupleIJPjSI_NS0_16reverse_iteratorISI_EEEEENSH_IJSG_SG_SG_EEES9_SI_JZNS1_25segmented_radix_sort_implINS0_14default_configELb1EPKlPlSQ_SR_N2at6native12_GLOBAL__N_18offset_tEEE10hipError_tPvRmT1_PNSt15iterator_traitsISZ_E10value_typeET2_T3_PNS10_IS15_E10value_typeET4_jRbjT5_S1B_jjP12ihipStream_tbEUljE_ZNSN_ISO_Lb1ESQ_SR_SQ_SR_SV_EESW_SX_SY_SZ_S13_S14_S15_S18_S19_jS1A_jS1B_S1B_jjS1D_bEUljE0_EEESW_SX_SY_S15_S19_S1B_T6_T7_T9_mT8_S1D_bDpT10_ENKUlT_T0_E_clISt17integral_constantIbLb0EES1R_EEDaS1M_S1N_EUlS1M_E_NS1_11comp_targetILNS1_3genE5ELNS1_11target_archE942ELNS1_3gpuE9ELNS1_3repE0EEENS1_30default_config_static_selectorELNS0_4arch9wavefront6targetE0EEEvSZ_.has_recursion, 0
	.set _ZN7rocprim17ROCPRIM_400000_NS6detail17trampoline_kernelINS0_13select_configILj256ELj13ELNS0_17block_load_methodE3ELS4_3ELS4_3ELNS0_20block_scan_algorithmE0ELj4294967295EEENS1_25partition_config_selectorILNS1_17partition_subalgoE4EjNS0_10empty_typeEbEEZZNS1_14partition_implILS8_4ELb0ES6_15HIP_vector_typeIjLj2EENS0_17counting_iteratorIjlEEPS9_SG_NS0_5tupleIJPjSI_NS0_16reverse_iteratorISI_EEEEENSH_IJSG_SG_SG_EEES9_SI_JZNS1_25segmented_radix_sort_implINS0_14default_configELb1EPKlPlSQ_SR_N2at6native12_GLOBAL__N_18offset_tEEE10hipError_tPvRmT1_PNSt15iterator_traitsISZ_E10value_typeET2_T3_PNS10_IS15_E10value_typeET4_jRbjT5_S1B_jjP12ihipStream_tbEUljE_ZNSN_ISO_Lb1ESQ_SR_SQ_SR_SV_EESW_SX_SY_SZ_S13_S14_S15_S18_S19_jS1A_jS1B_S1B_jjS1D_bEUljE0_EEESW_SX_SY_S15_S19_S1B_T6_T7_T9_mT8_S1D_bDpT10_ENKUlT_T0_E_clISt17integral_constantIbLb0EES1R_EEDaS1M_S1N_EUlS1M_E_NS1_11comp_targetILNS1_3genE5ELNS1_11target_archE942ELNS1_3gpuE9ELNS1_3repE0EEENS1_30default_config_static_selectorELNS0_4arch9wavefront6targetE0EEEvSZ_.has_indirect_call, 0
	.section	.AMDGPU.csdata,"",@progbits
; Kernel info:
; codeLenInByte = 0
; TotalNumSgprs: 0
; NumVgprs: 0
; ScratchSize: 0
; MemoryBound: 0
; FloatMode: 240
; IeeeMode: 1
; LDSByteSize: 0 bytes/workgroup (compile time only)
; SGPRBlocks: 0
; VGPRBlocks: 0
; NumSGPRsForWavesPerEU: 1
; NumVGPRsForWavesPerEU: 1
; NamedBarCnt: 0
; Occupancy: 16
; WaveLimiterHint : 0
; COMPUTE_PGM_RSRC2:SCRATCH_EN: 0
; COMPUTE_PGM_RSRC2:USER_SGPR: 2
; COMPUTE_PGM_RSRC2:TRAP_HANDLER: 0
; COMPUTE_PGM_RSRC2:TGID_X_EN: 1
; COMPUTE_PGM_RSRC2:TGID_Y_EN: 0
; COMPUTE_PGM_RSRC2:TGID_Z_EN: 0
; COMPUTE_PGM_RSRC2:TIDIG_COMP_CNT: 0
	.section	.text._ZN7rocprim17ROCPRIM_400000_NS6detail17trampoline_kernelINS0_13select_configILj256ELj13ELNS0_17block_load_methodE3ELS4_3ELS4_3ELNS0_20block_scan_algorithmE0ELj4294967295EEENS1_25partition_config_selectorILNS1_17partition_subalgoE4EjNS0_10empty_typeEbEEZZNS1_14partition_implILS8_4ELb0ES6_15HIP_vector_typeIjLj2EENS0_17counting_iteratorIjlEEPS9_SG_NS0_5tupleIJPjSI_NS0_16reverse_iteratorISI_EEEEENSH_IJSG_SG_SG_EEES9_SI_JZNS1_25segmented_radix_sort_implINS0_14default_configELb1EPKlPlSQ_SR_N2at6native12_GLOBAL__N_18offset_tEEE10hipError_tPvRmT1_PNSt15iterator_traitsISZ_E10value_typeET2_T3_PNS10_IS15_E10value_typeET4_jRbjT5_S1B_jjP12ihipStream_tbEUljE_ZNSN_ISO_Lb1ESQ_SR_SQ_SR_SV_EESW_SX_SY_SZ_S13_S14_S15_S18_S19_jS1A_jS1B_S1B_jjS1D_bEUljE0_EEESW_SX_SY_S15_S19_S1B_T6_T7_T9_mT8_S1D_bDpT10_ENKUlT_T0_E_clISt17integral_constantIbLb0EES1R_EEDaS1M_S1N_EUlS1M_E_NS1_11comp_targetILNS1_3genE4ELNS1_11target_archE910ELNS1_3gpuE8ELNS1_3repE0EEENS1_30default_config_static_selectorELNS0_4arch9wavefront6targetE0EEEvSZ_,"axG",@progbits,_ZN7rocprim17ROCPRIM_400000_NS6detail17trampoline_kernelINS0_13select_configILj256ELj13ELNS0_17block_load_methodE3ELS4_3ELS4_3ELNS0_20block_scan_algorithmE0ELj4294967295EEENS1_25partition_config_selectorILNS1_17partition_subalgoE4EjNS0_10empty_typeEbEEZZNS1_14partition_implILS8_4ELb0ES6_15HIP_vector_typeIjLj2EENS0_17counting_iteratorIjlEEPS9_SG_NS0_5tupleIJPjSI_NS0_16reverse_iteratorISI_EEEEENSH_IJSG_SG_SG_EEES9_SI_JZNS1_25segmented_radix_sort_implINS0_14default_configELb1EPKlPlSQ_SR_N2at6native12_GLOBAL__N_18offset_tEEE10hipError_tPvRmT1_PNSt15iterator_traitsISZ_E10value_typeET2_T3_PNS10_IS15_E10value_typeET4_jRbjT5_S1B_jjP12ihipStream_tbEUljE_ZNSN_ISO_Lb1ESQ_SR_SQ_SR_SV_EESW_SX_SY_SZ_S13_S14_S15_S18_S19_jS1A_jS1B_S1B_jjS1D_bEUljE0_EEESW_SX_SY_S15_S19_S1B_T6_T7_T9_mT8_S1D_bDpT10_ENKUlT_T0_E_clISt17integral_constantIbLb0EES1R_EEDaS1M_S1N_EUlS1M_E_NS1_11comp_targetILNS1_3genE4ELNS1_11target_archE910ELNS1_3gpuE8ELNS1_3repE0EEENS1_30default_config_static_selectorELNS0_4arch9wavefront6targetE0EEEvSZ_,comdat
	.globl	_ZN7rocprim17ROCPRIM_400000_NS6detail17trampoline_kernelINS0_13select_configILj256ELj13ELNS0_17block_load_methodE3ELS4_3ELS4_3ELNS0_20block_scan_algorithmE0ELj4294967295EEENS1_25partition_config_selectorILNS1_17partition_subalgoE4EjNS0_10empty_typeEbEEZZNS1_14partition_implILS8_4ELb0ES6_15HIP_vector_typeIjLj2EENS0_17counting_iteratorIjlEEPS9_SG_NS0_5tupleIJPjSI_NS0_16reverse_iteratorISI_EEEEENSH_IJSG_SG_SG_EEES9_SI_JZNS1_25segmented_radix_sort_implINS0_14default_configELb1EPKlPlSQ_SR_N2at6native12_GLOBAL__N_18offset_tEEE10hipError_tPvRmT1_PNSt15iterator_traitsISZ_E10value_typeET2_T3_PNS10_IS15_E10value_typeET4_jRbjT5_S1B_jjP12ihipStream_tbEUljE_ZNSN_ISO_Lb1ESQ_SR_SQ_SR_SV_EESW_SX_SY_SZ_S13_S14_S15_S18_S19_jS1A_jS1B_S1B_jjS1D_bEUljE0_EEESW_SX_SY_S15_S19_S1B_T6_T7_T9_mT8_S1D_bDpT10_ENKUlT_T0_E_clISt17integral_constantIbLb0EES1R_EEDaS1M_S1N_EUlS1M_E_NS1_11comp_targetILNS1_3genE4ELNS1_11target_archE910ELNS1_3gpuE8ELNS1_3repE0EEENS1_30default_config_static_selectorELNS0_4arch9wavefront6targetE0EEEvSZ_ ; -- Begin function _ZN7rocprim17ROCPRIM_400000_NS6detail17trampoline_kernelINS0_13select_configILj256ELj13ELNS0_17block_load_methodE3ELS4_3ELS4_3ELNS0_20block_scan_algorithmE0ELj4294967295EEENS1_25partition_config_selectorILNS1_17partition_subalgoE4EjNS0_10empty_typeEbEEZZNS1_14partition_implILS8_4ELb0ES6_15HIP_vector_typeIjLj2EENS0_17counting_iteratorIjlEEPS9_SG_NS0_5tupleIJPjSI_NS0_16reverse_iteratorISI_EEEEENSH_IJSG_SG_SG_EEES9_SI_JZNS1_25segmented_radix_sort_implINS0_14default_configELb1EPKlPlSQ_SR_N2at6native12_GLOBAL__N_18offset_tEEE10hipError_tPvRmT1_PNSt15iterator_traitsISZ_E10value_typeET2_T3_PNS10_IS15_E10value_typeET4_jRbjT5_S1B_jjP12ihipStream_tbEUljE_ZNSN_ISO_Lb1ESQ_SR_SQ_SR_SV_EESW_SX_SY_SZ_S13_S14_S15_S18_S19_jS1A_jS1B_S1B_jjS1D_bEUljE0_EEESW_SX_SY_S15_S19_S1B_T6_T7_T9_mT8_S1D_bDpT10_ENKUlT_T0_E_clISt17integral_constantIbLb0EES1R_EEDaS1M_S1N_EUlS1M_E_NS1_11comp_targetILNS1_3genE4ELNS1_11target_archE910ELNS1_3gpuE8ELNS1_3repE0EEENS1_30default_config_static_selectorELNS0_4arch9wavefront6targetE0EEEvSZ_
	.p2align	8
	.type	_ZN7rocprim17ROCPRIM_400000_NS6detail17trampoline_kernelINS0_13select_configILj256ELj13ELNS0_17block_load_methodE3ELS4_3ELS4_3ELNS0_20block_scan_algorithmE0ELj4294967295EEENS1_25partition_config_selectorILNS1_17partition_subalgoE4EjNS0_10empty_typeEbEEZZNS1_14partition_implILS8_4ELb0ES6_15HIP_vector_typeIjLj2EENS0_17counting_iteratorIjlEEPS9_SG_NS0_5tupleIJPjSI_NS0_16reverse_iteratorISI_EEEEENSH_IJSG_SG_SG_EEES9_SI_JZNS1_25segmented_radix_sort_implINS0_14default_configELb1EPKlPlSQ_SR_N2at6native12_GLOBAL__N_18offset_tEEE10hipError_tPvRmT1_PNSt15iterator_traitsISZ_E10value_typeET2_T3_PNS10_IS15_E10value_typeET4_jRbjT5_S1B_jjP12ihipStream_tbEUljE_ZNSN_ISO_Lb1ESQ_SR_SQ_SR_SV_EESW_SX_SY_SZ_S13_S14_S15_S18_S19_jS1A_jS1B_S1B_jjS1D_bEUljE0_EEESW_SX_SY_S15_S19_S1B_T6_T7_T9_mT8_S1D_bDpT10_ENKUlT_T0_E_clISt17integral_constantIbLb0EES1R_EEDaS1M_S1N_EUlS1M_E_NS1_11comp_targetILNS1_3genE4ELNS1_11target_archE910ELNS1_3gpuE8ELNS1_3repE0EEENS1_30default_config_static_selectorELNS0_4arch9wavefront6targetE0EEEvSZ_,@function
_ZN7rocprim17ROCPRIM_400000_NS6detail17trampoline_kernelINS0_13select_configILj256ELj13ELNS0_17block_load_methodE3ELS4_3ELS4_3ELNS0_20block_scan_algorithmE0ELj4294967295EEENS1_25partition_config_selectorILNS1_17partition_subalgoE4EjNS0_10empty_typeEbEEZZNS1_14partition_implILS8_4ELb0ES6_15HIP_vector_typeIjLj2EENS0_17counting_iteratorIjlEEPS9_SG_NS0_5tupleIJPjSI_NS0_16reverse_iteratorISI_EEEEENSH_IJSG_SG_SG_EEES9_SI_JZNS1_25segmented_radix_sort_implINS0_14default_configELb1EPKlPlSQ_SR_N2at6native12_GLOBAL__N_18offset_tEEE10hipError_tPvRmT1_PNSt15iterator_traitsISZ_E10value_typeET2_T3_PNS10_IS15_E10value_typeET4_jRbjT5_S1B_jjP12ihipStream_tbEUljE_ZNSN_ISO_Lb1ESQ_SR_SQ_SR_SV_EESW_SX_SY_SZ_S13_S14_S15_S18_S19_jS1A_jS1B_S1B_jjS1D_bEUljE0_EEESW_SX_SY_S15_S19_S1B_T6_T7_T9_mT8_S1D_bDpT10_ENKUlT_T0_E_clISt17integral_constantIbLb0EES1R_EEDaS1M_S1N_EUlS1M_E_NS1_11comp_targetILNS1_3genE4ELNS1_11target_archE910ELNS1_3gpuE8ELNS1_3repE0EEENS1_30default_config_static_selectorELNS0_4arch9wavefront6targetE0EEEvSZ_: ; @_ZN7rocprim17ROCPRIM_400000_NS6detail17trampoline_kernelINS0_13select_configILj256ELj13ELNS0_17block_load_methodE3ELS4_3ELS4_3ELNS0_20block_scan_algorithmE0ELj4294967295EEENS1_25partition_config_selectorILNS1_17partition_subalgoE4EjNS0_10empty_typeEbEEZZNS1_14partition_implILS8_4ELb0ES6_15HIP_vector_typeIjLj2EENS0_17counting_iteratorIjlEEPS9_SG_NS0_5tupleIJPjSI_NS0_16reverse_iteratorISI_EEEEENSH_IJSG_SG_SG_EEES9_SI_JZNS1_25segmented_radix_sort_implINS0_14default_configELb1EPKlPlSQ_SR_N2at6native12_GLOBAL__N_18offset_tEEE10hipError_tPvRmT1_PNSt15iterator_traitsISZ_E10value_typeET2_T3_PNS10_IS15_E10value_typeET4_jRbjT5_S1B_jjP12ihipStream_tbEUljE_ZNSN_ISO_Lb1ESQ_SR_SQ_SR_SV_EESW_SX_SY_SZ_S13_S14_S15_S18_S19_jS1A_jS1B_S1B_jjS1D_bEUljE0_EEESW_SX_SY_S15_S19_S1B_T6_T7_T9_mT8_S1D_bDpT10_ENKUlT_T0_E_clISt17integral_constantIbLb0EES1R_EEDaS1M_S1N_EUlS1M_E_NS1_11comp_targetILNS1_3genE4ELNS1_11target_archE910ELNS1_3gpuE8ELNS1_3repE0EEENS1_30default_config_static_selectorELNS0_4arch9wavefront6targetE0EEEvSZ_
; %bb.0:
	.section	.rodata,"a",@progbits
	.p2align	6, 0x0
	.amdhsa_kernel _ZN7rocprim17ROCPRIM_400000_NS6detail17trampoline_kernelINS0_13select_configILj256ELj13ELNS0_17block_load_methodE3ELS4_3ELS4_3ELNS0_20block_scan_algorithmE0ELj4294967295EEENS1_25partition_config_selectorILNS1_17partition_subalgoE4EjNS0_10empty_typeEbEEZZNS1_14partition_implILS8_4ELb0ES6_15HIP_vector_typeIjLj2EENS0_17counting_iteratorIjlEEPS9_SG_NS0_5tupleIJPjSI_NS0_16reverse_iteratorISI_EEEEENSH_IJSG_SG_SG_EEES9_SI_JZNS1_25segmented_radix_sort_implINS0_14default_configELb1EPKlPlSQ_SR_N2at6native12_GLOBAL__N_18offset_tEEE10hipError_tPvRmT1_PNSt15iterator_traitsISZ_E10value_typeET2_T3_PNS10_IS15_E10value_typeET4_jRbjT5_S1B_jjP12ihipStream_tbEUljE_ZNSN_ISO_Lb1ESQ_SR_SQ_SR_SV_EESW_SX_SY_SZ_S13_S14_S15_S18_S19_jS1A_jS1B_S1B_jjS1D_bEUljE0_EEESW_SX_SY_S15_S19_S1B_T6_T7_T9_mT8_S1D_bDpT10_ENKUlT_T0_E_clISt17integral_constantIbLb0EES1R_EEDaS1M_S1N_EUlS1M_E_NS1_11comp_targetILNS1_3genE4ELNS1_11target_archE910ELNS1_3gpuE8ELNS1_3repE0EEENS1_30default_config_static_selectorELNS0_4arch9wavefront6targetE0EEEvSZ_
		.amdhsa_group_segment_fixed_size 0
		.amdhsa_private_segment_fixed_size 0
		.amdhsa_kernarg_size 176
		.amdhsa_user_sgpr_count 2
		.amdhsa_user_sgpr_dispatch_ptr 0
		.amdhsa_user_sgpr_queue_ptr 0
		.amdhsa_user_sgpr_kernarg_segment_ptr 1
		.amdhsa_user_sgpr_dispatch_id 0
		.amdhsa_user_sgpr_kernarg_preload_length 0
		.amdhsa_user_sgpr_kernarg_preload_offset 0
		.amdhsa_user_sgpr_private_segment_size 0
		.amdhsa_wavefront_size32 1
		.amdhsa_uses_dynamic_stack 0
		.amdhsa_enable_private_segment 0
		.amdhsa_system_sgpr_workgroup_id_x 1
		.amdhsa_system_sgpr_workgroup_id_y 0
		.amdhsa_system_sgpr_workgroup_id_z 0
		.amdhsa_system_sgpr_workgroup_info 0
		.amdhsa_system_vgpr_workitem_id 0
		.amdhsa_next_free_vgpr 1
		.amdhsa_next_free_sgpr 1
		.amdhsa_named_barrier_count 0
		.amdhsa_reserve_vcc 0
		.amdhsa_float_round_mode_32 0
		.amdhsa_float_round_mode_16_64 0
		.amdhsa_float_denorm_mode_32 3
		.amdhsa_float_denorm_mode_16_64 3
		.amdhsa_fp16_overflow 0
		.amdhsa_memory_ordered 1
		.amdhsa_forward_progress 1
		.amdhsa_inst_pref_size 0
		.amdhsa_round_robin_scheduling 0
		.amdhsa_exception_fp_ieee_invalid_op 0
		.amdhsa_exception_fp_denorm_src 0
		.amdhsa_exception_fp_ieee_div_zero 0
		.amdhsa_exception_fp_ieee_overflow 0
		.amdhsa_exception_fp_ieee_underflow 0
		.amdhsa_exception_fp_ieee_inexact 0
		.amdhsa_exception_int_div_zero 0
	.end_amdhsa_kernel
	.section	.text._ZN7rocprim17ROCPRIM_400000_NS6detail17trampoline_kernelINS0_13select_configILj256ELj13ELNS0_17block_load_methodE3ELS4_3ELS4_3ELNS0_20block_scan_algorithmE0ELj4294967295EEENS1_25partition_config_selectorILNS1_17partition_subalgoE4EjNS0_10empty_typeEbEEZZNS1_14partition_implILS8_4ELb0ES6_15HIP_vector_typeIjLj2EENS0_17counting_iteratorIjlEEPS9_SG_NS0_5tupleIJPjSI_NS0_16reverse_iteratorISI_EEEEENSH_IJSG_SG_SG_EEES9_SI_JZNS1_25segmented_radix_sort_implINS0_14default_configELb1EPKlPlSQ_SR_N2at6native12_GLOBAL__N_18offset_tEEE10hipError_tPvRmT1_PNSt15iterator_traitsISZ_E10value_typeET2_T3_PNS10_IS15_E10value_typeET4_jRbjT5_S1B_jjP12ihipStream_tbEUljE_ZNSN_ISO_Lb1ESQ_SR_SQ_SR_SV_EESW_SX_SY_SZ_S13_S14_S15_S18_S19_jS1A_jS1B_S1B_jjS1D_bEUljE0_EEESW_SX_SY_S15_S19_S1B_T6_T7_T9_mT8_S1D_bDpT10_ENKUlT_T0_E_clISt17integral_constantIbLb0EES1R_EEDaS1M_S1N_EUlS1M_E_NS1_11comp_targetILNS1_3genE4ELNS1_11target_archE910ELNS1_3gpuE8ELNS1_3repE0EEENS1_30default_config_static_selectorELNS0_4arch9wavefront6targetE0EEEvSZ_,"axG",@progbits,_ZN7rocprim17ROCPRIM_400000_NS6detail17trampoline_kernelINS0_13select_configILj256ELj13ELNS0_17block_load_methodE3ELS4_3ELS4_3ELNS0_20block_scan_algorithmE0ELj4294967295EEENS1_25partition_config_selectorILNS1_17partition_subalgoE4EjNS0_10empty_typeEbEEZZNS1_14partition_implILS8_4ELb0ES6_15HIP_vector_typeIjLj2EENS0_17counting_iteratorIjlEEPS9_SG_NS0_5tupleIJPjSI_NS0_16reverse_iteratorISI_EEEEENSH_IJSG_SG_SG_EEES9_SI_JZNS1_25segmented_radix_sort_implINS0_14default_configELb1EPKlPlSQ_SR_N2at6native12_GLOBAL__N_18offset_tEEE10hipError_tPvRmT1_PNSt15iterator_traitsISZ_E10value_typeET2_T3_PNS10_IS15_E10value_typeET4_jRbjT5_S1B_jjP12ihipStream_tbEUljE_ZNSN_ISO_Lb1ESQ_SR_SQ_SR_SV_EESW_SX_SY_SZ_S13_S14_S15_S18_S19_jS1A_jS1B_S1B_jjS1D_bEUljE0_EEESW_SX_SY_S15_S19_S1B_T6_T7_T9_mT8_S1D_bDpT10_ENKUlT_T0_E_clISt17integral_constantIbLb0EES1R_EEDaS1M_S1N_EUlS1M_E_NS1_11comp_targetILNS1_3genE4ELNS1_11target_archE910ELNS1_3gpuE8ELNS1_3repE0EEENS1_30default_config_static_selectorELNS0_4arch9wavefront6targetE0EEEvSZ_,comdat
.Lfunc_end638:
	.size	_ZN7rocprim17ROCPRIM_400000_NS6detail17trampoline_kernelINS0_13select_configILj256ELj13ELNS0_17block_load_methodE3ELS4_3ELS4_3ELNS0_20block_scan_algorithmE0ELj4294967295EEENS1_25partition_config_selectorILNS1_17partition_subalgoE4EjNS0_10empty_typeEbEEZZNS1_14partition_implILS8_4ELb0ES6_15HIP_vector_typeIjLj2EENS0_17counting_iteratorIjlEEPS9_SG_NS0_5tupleIJPjSI_NS0_16reverse_iteratorISI_EEEEENSH_IJSG_SG_SG_EEES9_SI_JZNS1_25segmented_radix_sort_implINS0_14default_configELb1EPKlPlSQ_SR_N2at6native12_GLOBAL__N_18offset_tEEE10hipError_tPvRmT1_PNSt15iterator_traitsISZ_E10value_typeET2_T3_PNS10_IS15_E10value_typeET4_jRbjT5_S1B_jjP12ihipStream_tbEUljE_ZNSN_ISO_Lb1ESQ_SR_SQ_SR_SV_EESW_SX_SY_SZ_S13_S14_S15_S18_S19_jS1A_jS1B_S1B_jjS1D_bEUljE0_EEESW_SX_SY_S15_S19_S1B_T6_T7_T9_mT8_S1D_bDpT10_ENKUlT_T0_E_clISt17integral_constantIbLb0EES1R_EEDaS1M_S1N_EUlS1M_E_NS1_11comp_targetILNS1_3genE4ELNS1_11target_archE910ELNS1_3gpuE8ELNS1_3repE0EEENS1_30default_config_static_selectorELNS0_4arch9wavefront6targetE0EEEvSZ_, .Lfunc_end638-_ZN7rocprim17ROCPRIM_400000_NS6detail17trampoline_kernelINS0_13select_configILj256ELj13ELNS0_17block_load_methodE3ELS4_3ELS4_3ELNS0_20block_scan_algorithmE0ELj4294967295EEENS1_25partition_config_selectorILNS1_17partition_subalgoE4EjNS0_10empty_typeEbEEZZNS1_14partition_implILS8_4ELb0ES6_15HIP_vector_typeIjLj2EENS0_17counting_iteratorIjlEEPS9_SG_NS0_5tupleIJPjSI_NS0_16reverse_iteratorISI_EEEEENSH_IJSG_SG_SG_EEES9_SI_JZNS1_25segmented_radix_sort_implINS0_14default_configELb1EPKlPlSQ_SR_N2at6native12_GLOBAL__N_18offset_tEEE10hipError_tPvRmT1_PNSt15iterator_traitsISZ_E10value_typeET2_T3_PNS10_IS15_E10value_typeET4_jRbjT5_S1B_jjP12ihipStream_tbEUljE_ZNSN_ISO_Lb1ESQ_SR_SQ_SR_SV_EESW_SX_SY_SZ_S13_S14_S15_S18_S19_jS1A_jS1B_S1B_jjS1D_bEUljE0_EEESW_SX_SY_S15_S19_S1B_T6_T7_T9_mT8_S1D_bDpT10_ENKUlT_T0_E_clISt17integral_constantIbLb0EES1R_EEDaS1M_S1N_EUlS1M_E_NS1_11comp_targetILNS1_3genE4ELNS1_11target_archE910ELNS1_3gpuE8ELNS1_3repE0EEENS1_30default_config_static_selectorELNS0_4arch9wavefront6targetE0EEEvSZ_
                                        ; -- End function
	.set _ZN7rocprim17ROCPRIM_400000_NS6detail17trampoline_kernelINS0_13select_configILj256ELj13ELNS0_17block_load_methodE3ELS4_3ELS4_3ELNS0_20block_scan_algorithmE0ELj4294967295EEENS1_25partition_config_selectorILNS1_17partition_subalgoE4EjNS0_10empty_typeEbEEZZNS1_14partition_implILS8_4ELb0ES6_15HIP_vector_typeIjLj2EENS0_17counting_iteratorIjlEEPS9_SG_NS0_5tupleIJPjSI_NS0_16reverse_iteratorISI_EEEEENSH_IJSG_SG_SG_EEES9_SI_JZNS1_25segmented_radix_sort_implINS0_14default_configELb1EPKlPlSQ_SR_N2at6native12_GLOBAL__N_18offset_tEEE10hipError_tPvRmT1_PNSt15iterator_traitsISZ_E10value_typeET2_T3_PNS10_IS15_E10value_typeET4_jRbjT5_S1B_jjP12ihipStream_tbEUljE_ZNSN_ISO_Lb1ESQ_SR_SQ_SR_SV_EESW_SX_SY_SZ_S13_S14_S15_S18_S19_jS1A_jS1B_S1B_jjS1D_bEUljE0_EEESW_SX_SY_S15_S19_S1B_T6_T7_T9_mT8_S1D_bDpT10_ENKUlT_T0_E_clISt17integral_constantIbLb0EES1R_EEDaS1M_S1N_EUlS1M_E_NS1_11comp_targetILNS1_3genE4ELNS1_11target_archE910ELNS1_3gpuE8ELNS1_3repE0EEENS1_30default_config_static_selectorELNS0_4arch9wavefront6targetE0EEEvSZ_.num_vgpr, 0
	.set _ZN7rocprim17ROCPRIM_400000_NS6detail17trampoline_kernelINS0_13select_configILj256ELj13ELNS0_17block_load_methodE3ELS4_3ELS4_3ELNS0_20block_scan_algorithmE0ELj4294967295EEENS1_25partition_config_selectorILNS1_17partition_subalgoE4EjNS0_10empty_typeEbEEZZNS1_14partition_implILS8_4ELb0ES6_15HIP_vector_typeIjLj2EENS0_17counting_iteratorIjlEEPS9_SG_NS0_5tupleIJPjSI_NS0_16reverse_iteratorISI_EEEEENSH_IJSG_SG_SG_EEES9_SI_JZNS1_25segmented_radix_sort_implINS0_14default_configELb1EPKlPlSQ_SR_N2at6native12_GLOBAL__N_18offset_tEEE10hipError_tPvRmT1_PNSt15iterator_traitsISZ_E10value_typeET2_T3_PNS10_IS15_E10value_typeET4_jRbjT5_S1B_jjP12ihipStream_tbEUljE_ZNSN_ISO_Lb1ESQ_SR_SQ_SR_SV_EESW_SX_SY_SZ_S13_S14_S15_S18_S19_jS1A_jS1B_S1B_jjS1D_bEUljE0_EEESW_SX_SY_S15_S19_S1B_T6_T7_T9_mT8_S1D_bDpT10_ENKUlT_T0_E_clISt17integral_constantIbLb0EES1R_EEDaS1M_S1N_EUlS1M_E_NS1_11comp_targetILNS1_3genE4ELNS1_11target_archE910ELNS1_3gpuE8ELNS1_3repE0EEENS1_30default_config_static_selectorELNS0_4arch9wavefront6targetE0EEEvSZ_.num_agpr, 0
	.set _ZN7rocprim17ROCPRIM_400000_NS6detail17trampoline_kernelINS0_13select_configILj256ELj13ELNS0_17block_load_methodE3ELS4_3ELS4_3ELNS0_20block_scan_algorithmE0ELj4294967295EEENS1_25partition_config_selectorILNS1_17partition_subalgoE4EjNS0_10empty_typeEbEEZZNS1_14partition_implILS8_4ELb0ES6_15HIP_vector_typeIjLj2EENS0_17counting_iteratorIjlEEPS9_SG_NS0_5tupleIJPjSI_NS0_16reverse_iteratorISI_EEEEENSH_IJSG_SG_SG_EEES9_SI_JZNS1_25segmented_radix_sort_implINS0_14default_configELb1EPKlPlSQ_SR_N2at6native12_GLOBAL__N_18offset_tEEE10hipError_tPvRmT1_PNSt15iterator_traitsISZ_E10value_typeET2_T3_PNS10_IS15_E10value_typeET4_jRbjT5_S1B_jjP12ihipStream_tbEUljE_ZNSN_ISO_Lb1ESQ_SR_SQ_SR_SV_EESW_SX_SY_SZ_S13_S14_S15_S18_S19_jS1A_jS1B_S1B_jjS1D_bEUljE0_EEESW_SX_SY_S15_S19_S1B_T6_T7_T9_mT8_S1D_bDpT10_ENKUlT_T0_E_clISt17integral_constantIbLb0EES1R_EEDaS1M_S1N_EUlS1M_E_NS1_11comp_targetILNS1_3genE4ELNS1_11target_archE910ELNS1_3gpuE8ELNS1_3repE0EEENS1_30default_config_static_selectorELNS0_4arch9wavefront6targetE0EEEvSZ_.numbered_sgpr, 0
	.set _ZN7rocprim17ROCPRIM_400000_NS6detail17trampoline_kernelINS0_13select_configILj256ELj13ELNS0_17block_load_methodE3ELS4_3ELS4_3ELNS0_20block_scan_algorithmE0ELj4294967295EEENS1_25partition_config_selectorILNS1_17partition_subalgoE4EjNS0_10empty_typeEbEEZZNS1_14partition_implILS8_4ELb0ES6_15HIP_vector_typeIjLj2EENS0_17counting_iteratorIjlEEPS9_SG_NS0_5tupleIJPjSI_NS0_16reverse_iteratorISI_EEEEENSH_IJSG_SG_SG_EEES9_SI_JZNS1_25segmented_radix_sort_implINS0_14default_configELb1EPKlPlSQ_SR_N2at6native12_GLOBAL__N_18offset_tEEE10hipError_tPvRmT1_PNSt15iterator_traitsISZ_E10value_typeET2_T3_PNS10_IS15_E10value_typeET4_jRbjT5_S1B_jjP12ihipStream_tbEUljE_ZNSN_ISO_Lb1ESQ_SR_SQ_SR_SV_EESW_SX_SY_SZ_S13_S14_S15_S18_S19_jS1A_jS1B_S1B_jjS1D_bEUljE0_EEESW_SX_SY_S15_S19_S1B_T6_T7_T9_mT8_S1D_bDpT10_ENKUlT_T0_E_clISt17integral_constantIbLb0EES1R_EEDaS1M_S1N_EUlS1M_E_NS1_11comp_targetILNS1_3genE4ELNS1_11target_archE910ELNS1_3gpuE8ELNS1_3repE0EEENS1_30default_config_static_selectorELNS0_4arch9wavefront6targetE0EEEvSZ_.num_named_barrier, 0
	.set _ZN7rocprim17ROCPRIM_400000_NS6detail17trampoline_kernelINS0_13select_configILj256ELj13ELNS0_17block_load_methodE3ELS4_3ELS4_3ELNS0_20block_scan_algorithmE0ELj4294967295EEENS1_25partition_config_selectorILNS1_17partition_subalgoE4EjNS0_10empty_typeEbEEZZNS1_14partition_implILS8_4ELb0ES6_15HIP_vector_typeIjLj2EENS0_17counting_iteratorIjlEEPS9_SG_NS0_5tupleIJPjSI_NS0_16reverse_iteratorISI_EEEEENSH_IJSG_SG_SG_EEES9_SI_JZNS1_25segmented_radix_sort_implINS0_14default_configELb1EPKlPlSQ_SR_N2at6native12_GLOBAL__N_18offset_tEEE10hipError_tPvRmT1_PNSt15iterator_traitsISZ_E10value_typeET2_T3_PNS10_IS15_E10value_typeET4_jRbjT5_S1B_jjP12ihipStream_tbEUljE_ZNSN_ISO_Lb1ESQ_SR_SQ_SR_SV_EESW_SX_SY_SZ_S13_S14_S15_S18_S19_jS1A_jS1B_S1B_jjS1D_bEUljE0_EEESW_SX_SY_S15_S19_S1B_T6_T7_T9_mT8_S1D_bDpT10_ENKUlT_T0_E_clISt17integral_constantIbLb0EES1R_EEDaS1M_S1N_EUlS1M_E_NS1_11comp_targetILNS1_3genE4ELNS1_11target_archE910ELNS1_3gpuE8ELNS1_3repE0EEENS1_30default_config_static_selectorELNS0_4arch9wavefront6targetE0EEEvSZ_.private_seg_size, 0
	.set _ZN7rocprim17ROCPRIM_400000_NS6detail17trampoline_kernelINS0_13select_configILj256ELj13ELNS0_17block_load_methodE3ELS4_3ELS4_3ELNS0_20block_scan_algorithmE0ELj4294967295EEENS1_25partition_config_selectorILNS1_17partition_subalgoE4EjNS0_10empty_typeEbEEZZNS1_14partition_implILS8_4ELb0ES6_15HIP_vector_typeIjLj2EENS0_17counting_iteratorIjlEEPS9_SG_NS0_5tupleIJPjSI_NS0_16reverse_iteratorISI_EEEEENSH_IJSG_SG_SG_EEES9_SI_JZNS1_25segmented_radix_sort_implINS0_14default_configELb1EPKlPlSQ_SR_N2at6native12_GLOBAL__N_18offset_tEEE10hipError_tPvRmT1_PNSt15iterator_traitsISZ_E10value_typeET2_T3_PNS10_IS15_E10value_typeET4_jRbjT5_S1B_jjP12ihipStream_tbEUljE_ZNSN_ISO_Lb1ESQ_SR_SQ_SR_SV_EESW_SX_SY_SZ_S13_S14_S15_S18_S19_jS1A_jS1B_S1B_jjS1D_bEUljE0_EEESW_SX_SY_S15_S19_S1B_T6_T7_T9_mT8_S1D_bDpT10_ENKUlT_T0_E_clISt17integral_constantIbLb0EES1R_EEDaS1M_S1N_EUlS1M_E_NS1_11comp_targetILNS1_3genE4ELNS1_11target_archE910ELNS1_3gpuE8ELNS1_3repE0EEENS1_30default_config_static_selectorELNS0_4arch9wavefront6targetE0EEEvSZ_.uses_vcc, 0
	.set _ZN7rocprim17ROCPRIM_400000_NS6detail17trampoline_kernelINS0_13select_configILj256ELj13ELNS0_17block_load_methodE3ELS4_3ELS4_3ELNS0_20block_scan_algorithmE0ELj4294967295EEENS1_25partition_config_selectorILNS1_17partition_subalgoE4EjNS0_10empty_typeEbEEZZNS1_14partition_implILS8_4ELb0ES6_15HIP_vector_typeIjLj2EENS0_17counting_iteratorIjlEEPS9_SG_NS0_5tupleIJPjSI_NS0_16reverse_iteratorISI_EEEEENSH_IJSG_SG_SG_EEES9_SI_JZNS1_25segmented_radix_sort_implINS0_14default_configELb1EPKlPlSQ_SR_N2at6native12_GLOBAL__N_18offset_tEEE10hipError_tPvRmT1_PNSt15iterator_traitsISZ_E10value_typeET2_T3_PNS10_IS15_E10value_typeET4_jRbjT5_S1B_jjP12ihipStream_tbEUljE_ZNSN_ISO_Lb1ESQ_SR_SQ_SR_SV_EESW_SX_SY_SZ_S13_S14_S15_S18_S19_jS1A_jS1B_S1B_jjS1D_bEUljE0_EEESW_SX_SY_S15_S19_S1B_T6_T7_T9_mT8_S1D_bDpT10_ENKUlT_T0_E_clISt17integral_constantIbLb0EES1R_EEDaS1M_S1N_EUlS1M_E_NS1_11comp_targetILNS1_3genE4ELNS1_11target_archE910ELNS1_3gpuE8ELNS1_3repE0EEENS1_30default_config_static_selectorELNS0_4arch9wavefront6targetE0EEEvSZ_.uses_flat_scratch, 0
	.set _ZN7rocprim17ROCPRIM_400000_NS6detail17trampoline_kernelINS0_13select_configILj256ELj13ELNS0_17block_load_methodE3ELS4_3ELS4_3ELNS0_20block_scan_algorithmE0ELj4294967295EEENS1_25partition_config_selectorILNS1_17partition_subalgoE4EjNS0_10empty_typeEbEEZZNS1_14partition_implILS8_4ELb0ES6_15HIP_vector_typeIjLj2EENS0_17counting_iteratorIjlEEPS9_SG_NS0_5tupleIJPjSI_NS0_16reverse_iteratorISI_EEEEENSH_IJSG_SG_SG_EEES9_SI_JZNS1_25segmented_radix_sort_implINS0_14default_configELb1EPKlPlSQ_SR_N2at6native12_GLOBAL__N_18offset_tEEE10hipError_tPvRmT1_PNSt15iterator_traitsISZ_E10value_typeET2_T3_PNS10_IS15_E10value_typeET4_jRbjT5_S1B_jjP12ihipStream_tbEUljE_ZNSN_ISO_Lb1ESQ_SR_SQ_SR_SV_EESW_SX_SY_SZ_S13_S14_S15_S18_S19_jS1A_jS1B_S1B_jjS1D_bEUljE0_EEESW_SX_SY_S15_S19_S1B_T6_T7_T9_mT8_S1D_bDpT10_ENKUlT_T0_E_clISt17integral_constantIbLb0EES1R_EEDaS1M_S1N_EUlS1M_E_NS1_11comp_targetILNS1_3genE4ELNS1_11target_archE910ELNS1_3gpuE8ELNS1_3repE0EEENS1_30default_config_static_selectorELNS0_4arch9wavefront6targetE0EEEvSZ_.has_dyn_sized_stack, 0
	.set _ZN7rocprim17ROCPRIM_400000_NS6detail17trampoline_kernelINS0_13select_configILj256ELj13ELNS0_17block_load_methodE3ELS4_3ELS4_3ELNS0_20block_scan_algorithmE0ELj4294967295EEENS1_25partition_config_selectorILNS1_17partition_subalgoE4EjNS0_10empty_typeEbEEZZNS1_14partition_implILS8_4ELb0ES6_15HIP_vector_typeIjLj2EENS0_17counting_iteratorIjlEEPS9_SG_NS0_5tupleIJPjSI_NS0_16reverse_iteratorISI_EEEEENSH_IJSG_SG_SG_EEES9_SI_JZNS1_25segmented_radix_sort_implINS0_14default_configELb1EPKlPlSQ_SR_N2at6native12_GLOBAL__N_18offset_tEEE10hipError_tPvRmT1_PNSt15iterator_traitsISZ_E10value_typeET2_T3_PNS10_IS15_E10value_typeET4_jRbjT5_S1B_jjP12ihipStream_tbEUljE_ZNSN_ISO_Lb1ESQ_SR_SQ_SR_SV_EESW_SX_SY_SZ_S13_S14_S15_S18_S19_jS1A_jS1B_S1B_jjS1D_bEUljE0_EEESW_SX_SY_S15_S19_S1B_T6_T7_T9_mT8_S1D_bDpT10_ENKUlT_T0_E_clISt17integral_constantIbLb0EES1R_EEDaS1M_S1N_EUlS1M_E_NS1_11comp_targetILNS1_3genE4ELNS1_11target_archE910ELNS1_3gpuE8ELNS1_3repE0EEENS1_30default_config_static_selectorELNS0_4arch9wavefront6targetE0EEEvSZ_.has_recursion, 0
	.set _ZN7rocprim17ROCPRIM_400000_NS6detail17trampoline_kernelINS0_13select_configILj256ELj13ELNS0_17block_load_methodE3ELS4_3ELS4_3ELNS0_20block_scan_algorithmE0ELj4294967295EEENS1_25partition_config_selectorILNS1_17partition_subalgoE4EjNS0_10empty_typeEbEEZZNS1_14partition_implILS8_4ELb0ES6_15HIP_vector_typeIjLj2EENS0_17counting_iteratorIjlEEPS9_SG_NS0_5tupleIJPjSI_NS0_16reverse_iteratorISI_EEEEENSH_IJSG_SG_SG_EEES9_SI_JZNS1_25segmented_radix_sort_implINS0_14default_configELb1EPKlPlSQ_SR_N2at6native12_GLOBAL__N_18offset_tEEE10hipError_tPvRmT1_PNSt15iterator_traitsISZ_E10value_typeET2_T3_PNS10_IS15_E10value_typeET4_jRbjT5_S1B_jjP12ihipStream_tbEUljE_ZNSN_ISO_Lb1ESQ_SR_SQ_SR_SV_EESW_SX_SY_SZ_S13_S14_S15_S18_S19_jS1A_jS1B_S1B_jjS1D_bEUljE0_EEESW_SX_SY_S15_S19_S1B_T6_T7_T9_mT8_S1D_bDpT10_ENKUlT_T0_E_clISt17integral_constantIbLb0EES1R_EEDaS1M_S1N_EUlS1M_E_NS1_11comp_targetILNS1_3genE4ELNS1_11target_archE910ELNS1_3gpuE8ELNS1_3repE0EEENS1_30default_config_static_selectorELNS0_4arch9wavefront6targetE0EEEvSZ_.has_indirect_call, 0
	.section	.AMDGPU.csdata,"",@progbits
; Kernel info:
; codeLenInByte = 0
; TotalNumSgprs: 0
; NumVgprs: 0
; ScratchSize: 0
; MemoryBound: 0
; FloatMode: 240
; IeeeMode: 1
; LDSByteSize: 0 bytes/workgroup (compile time only)
; SGPRBlocks: 0
; VGPRBlocks: 0
; NumSGPRsForWavesPerEU: 1
; NumVGPRsForWavesPerEU: 1
; NamedBarCnt: 0
; Occupancy: 16
; WaveLimiterHint : 0
; COMPUTE_PGM_RSRC2:SCRATCH_EN: 0
; COMPUTE_PGM_RSRC2:USER_SGPR: 2
; COMPUTE_PGM_RSRC2:TRAP_HANDLER: 0
; COMPUTE_PGM_RSRC2:TGID_X_EN: 1
; COMPUTE_PGM_RSRC2:TGID_Y_EN: 0
; COMPUTE_PGM_RSRC2:TGID_Z_EN: 0
; COMPUTE_PGM_RSRC2:TIDIG_COMP_CNT: 0
	.section	.text._ZN7rocprim17ROCPRIM_400000_NS6detail17trampoline_kernelINS0_13select_configILj256ELj13ELNS0_17block_load_methodE3ELS4_3ELS4_3ELNS0_20block_scan_algorithmE0ELj4294967295EEENS1_25partition_config_selectorILNS1_17partition_subalgoE4EjNS0_10empty_typeEbEEZZNS1_14partition_implILS8_4ELb0ES6_15HIP_vector_typeIjLj2EENS0_17counting_iteratorIjlEEPS9_SG_NS0_5tupleIJPjSI_NS0_16reverse_iteratorISI_EEEEENSH_IJSG_SG_SG_EEES9_SI_JZNS1_25segmented_radix_sort_implINS0_14default_configELb1EPKlPlSQ_SR_N2at6native12_GLOBAL__N_18offset_tEEE10hipError_tPvRmT1_PNSt15iterator_traitsISZ_E10value_typeET2_T3_PNS10_IS15_E10value_typeET4_jRbjT5_S1B_jjP12ihipStream_tbEUljE_ZNSN_ISO_Lb1ESQ_SR_SQ_SR_SV_EESW_SX_SY_SZ_S13_S14_S15_S18_S19_jS1A_jS1B_S1B_jjS1D_bEUljE0_EEESW_SX_SY_S15_S19_S1B_T6_T7_T9_mT8_S1D_bDpT10_ENKUlT_T0_E_clISt17integral_constantIbLb0EES1R_EEDaS1M_S1N_EUlS1M_E_NS1_11comp_targetILNS1_3genE3ELNS1_11target_archE908ELNS1_3gpuE7ELNS1_3repE0EEENS1_30default_config_static_selectorELNS0_4arch9wavefront6targetE0EEEvSZ_,"axG",@progbits,_ZN7rocprim17ROCPRIM_400000_NS6detail17trampoline_kernelINS0_13select_configILj256ELj13ELNS0_17block_load_methodE3ELS4_3ELS4_3ELNS0_20block_scan_algorithmE0ELj4294967295EEENS1_25partition_config_selectorILNS1_17partition_subalgoE4EjNS0_10empty_typeEbEEZZNS1_14partition_implILS8_4ELb0ES6_15HIP_vector_typeIjLj2EENS0_17counting_iteratorIjlEEPS9_SG_NS0_5tupleIJPjSI_NS0_16reverse_iteratorISI_EEEEENSH_IJSG_SG_SG_EEES9_SI_JZNS1_25segmented_radix_sort_implINS0_14default_configELb1EPKlPlSQ_SR_N2at6native12_GLOBAL__N_18offset_tEEE10hipError_tPvRmT1_PNSt15iterator_traitsISZ_E10value_typeET2_T3_PNS10_IS15_E10value_typeET4_jRbjT5_S1B_jjP12ihipStream_tbEUljE_ZNSN_ISO_Lb1ESQ_SR_SQ_SR_SV_EESW_SX_SY_SZ_S13_S14_S15_S18_S19_jS1A_jS1B_S1B_jjS1D_bEUljE0_EEESW_SX_SY_S15_S19_S1B_T6_T7_T9_mT8_S1D_bDpT10_ENKUlT_T0_E_clISt17integral_constantIbLb0EES1R_EEDaS1M_S1N_EUlS1M_E_NS1_11comp_targetILNS1_3genE3ELNS1_11target_archE908ELNS1_3gpuE7ELNS1_3repE0EEENS1_30default_config_static_selectorELNS0_4arch9wavefront6targetE0EEEvSZ_,comdat
	.globl	_ZN7rocprim17ROCPRIM_400000_NS6detail17trampoline_kernelINS0_13select_configILj256ELj13ELNS0_17block_load_methodE3ELS4_3ELS4_3ELNS0_20block_scan_algorithmE0ELj4294967295EEENS1_25partition_config_selectorILNS1_17partition_subalgoE4EjNS0_10empty_typeEbEEZZNS1_14partition_implILS8_4ELb0ES6_15HIP_vector_typeIjLj2EENS0_17counting_iteratorIjlEEPS9_SG_NS0_5tupleIJPjSI_NS0_16reverse_iteratorISI_EEEEENSH_IJSG_SG_SG_EEES9_SI_JZNS1_25segmented_radix_sort_implINS0_14default_configELb1EPKlPlSQ_SR_N2at6native12_GLOBAL__N_18offset_tEEE10hipError_tPvRmT1_PNSt15iterator_traitsISZ_E10value_typeET2_T3_PNS10_IS15_E10value_typeET4_jRbjT5_S1B_jjP12ihipStream_tbEUljE_ZNSN_ISO_Lb1ESQ_SR_SQ_SR_SV_EESW_SX_SY_SZ_S13_S14_S15_S18_S19_jS1A_jS1B_S1B_jjS1D_bEUljE0_EEESW_SX_SY_S15_S19_S1B_T6_T7_T9_mT8_S1D_bDpT10_ENKUlT_T0_E_clISt17integral_constantIbLb0EES1R_EEDaS1M_S1N_EUlS1M_E_NS1_11comp_targetILNS1_3genE3ELNS1_11target_archE908ELNS1_3gpuE7ELNS1_3repE0EEENS1_30default_config_static_selectorELNS0_4arch9wavefront6targetE0EEEvSZ_ ; -- Begin function _ZN7rocprim17ROCPRIM_400000_NS6detail17trampoline_kernelINS0_13select_configILj256ELj13ELNS0_17block_load_methodE3ELS4_3ELS4_3ELNS0_20block_scan_algorithmE0ELj4294967295EEENS1_25partition_config_selectorILNS1_17partition_subalgoE4EjNS0_10empty_typeEbEEZZNS1_14partition_implILS8_4ELb0ES6_15HIP_vector_typeIjLj2EENS0_17counting_iteratorIjlEEPS9_SG_NS0_5tupleIJPjSI_NS0_16reverse_iteratorISI_EEEEENSH_IJSG_SG_SG_EEES9_SI_JZNS1_25segmented_radix_sort_implINS0_14default_configELb1EPKlPlSQ_SR_N2at6native12_GLOBAL__N_18offset_tEEE10hipError_tPvRmT1_PNSt15iterator_traitsISZ_E10value_typeET2_T3_PNS10_IS15_E10value_typeET4_jRbjT5_S1B_jjP12ihipStream_tbEUljE_ZNSN_ISO_Lb1ESQ_SR_SQ_SR_SV_EESW_SX_SY_SZ_S13_S14_S15_S18_S19_jS1A_jS1B_S1B_jjS1D_bEUljE0_EEESW_SX_SY_S15_S19_S1B_T6_T7_T9_mT8_S1D_bDpT10_ENKUlT_T0_E_clISt17integral_constantIbLb0EES1R_EEDaS1M_S1N_EUlS1M_E_NS1_11comp_targetILNS1_3genE3ELNS1_11target_archE908ELNS1_3gpuE7ELNS1_3repE0EEENS1_30default_config_static_selectorELNS0_4arch9wavefront6targetE0EEEvSZ_
	.p2align	8
	.type	_ZN7rocprim17ROCPRIM_400000_NS6detail17trampoline_kernelINS0_13select_configILj256ELj13ELNS0_17block_load_methodE3ELS4_3ELS4_3ELNS0_20block_scan_algorithmE0ELj4294967295EEENS1_25partition_config_selectorILNS1_17partition_subalgoE4EjNS0_10empty_typeEbEEZZNS1_14partition_implILS8_4ELb0ES6_15HIP_vector_typeIjLj2EENS0_17counting_iteratorIjlEEPS9_SG_NS0_5tupleIJPjSI_NS0_16reverse_iteratorISI_EEEEENSH_IJSG_SG_SG_EEES9_SI_JZNS1_25segmented_radix_sort_implINS0_14default_configELb1EPKlPlSQ_SR_N2at6native12_GLOBAL__N_18offset_tEEE10hipError_tPvRmT1_PNSt15iterator_traitsISZ_E10value_typeET2_T3_PNS10_IS15_E10value_typeET4_jRbjT5_S1B_jjP12ihipStream_tbEUljE_ZNSN_ISO_Lb1ESQ_SR_SQ_SR_SV_EESW_SX_SY_SZ_S13_S14_S15_S18_S19_jS1A_jS1B_S1B_jjS1D_bEUljE0_EEESW_SX_SY_S15_S19_S1B_T6_T7_T9_mT8_S1D_bDpT10_ENKUlT_T0_E_clISt17integral_constantIbLb0EES1R_EEDaS1M_S1N_EUlS1M_E_NS1_11comp_targetILNS1_3genE3ELNS1_11target_archE908ELNS1_3gpuE7ELNS1_3repE0EEENS1_30default_config_static_selectorELNS0_4arch9wavefront6targetE0EEEvSZ_,@function
_ZN7rocprim17ROCPRIM_400000_NS6detail17trampoline_kernelINS0_13select_configILj256ELj13ELNS0_17block_load_methodE3ELS4_3ELS4_3ELNS0_20block_scan_algorithmE0ELj4294967295EEENS1_25partition_config_selectorILNS1_17partition_subalgoE4EjNS0_10empty_typeEbEEZZNS1_14partition_implILS8_4ELb0ES6_15HIP_vector_typeIjLj2EENS0_17counting_iteratorIjlEEPS9_SG_NS0_5tupleIJPjSI_NS0_16reverse_iteratorISI_EEEEENSH_IJSG_SG_SG_EEES9_SI_JZNS1_25segmented_radix_sort_implINS0_14default_configELb1EPKlPlSQ_SR_N2at6native12_GLOBAL__N_18offset_tEEE10hipError_tPvRmT1_PNSt15iterator_traitsISZ_E10value_typeET2_T3_PNS10_IS15_E10value_typeET4_jRbjT5_S1B_jjP12ihipStream_tbEUljE_ZNSN_ISO_Lb1ESQ_SR_SQ_SR_SV_EESW_SX_SY_SZ_S13_S14_S15_S18_S19_jS1A_jS1B_S1B_jjS1D_bEUljE0_EEESW_SX_SY_S15_S19_S1B_T6_T7_T9_mT8_S1D_bDpT10_ENKUlT_T0_E_clISt17integral_constantIbLb0EES1R_EEDaS1M_S1N_EUlS1M_E_NS1_11comp_targetILNS1_3genE3ELNS1_11target_archE908ELNS1_3gpuE7ELNS1_3repE0EEENS1_30default_config_static_selectorELNS0_4arch9wavefront6targetE0EEEvSZ_: ; @_ZN7rocprim17ROCPRIM_400000_NS6detail17trampoline_kernelINS0_13select_configILj256ELj13ELNS0_17block_load_methodE3ELS4_3ELS4_3ELNS0_20block_scan_algorithmE0ELj4294967295EEENS1_25partition_config_selectorILNS1_17partition_subalgoE4EjNS0_10empty_typeEbEEZZNS1_14partition_implILS8_4ELb0ES6_15HIP_vector_typeIjLj2EENS0_17counting_iteratorIjlEEPS9_SG_NS0_5tupleIJPjSI_NS0_16reverse_iteratorISI_EEEEENSH_IJSG_SG_SG_EEES9_SI_JZNS1_25segmented_radix_sort_implINS0_14default_configELb1EPKlPlSQ_SR_N2at6native12_GLOBAL__N_18offset_tEEE10hipError_tPvRmT1_PNSt15iterator_traitsISZ_E10value_typeET2_T3_PNS10_IS15_E10value_typeET4_jRbjT5_S1B_jjP12ihipStream_tbEUljE_ZNSN_ISO_Lb1ESQ_SR_SQ_SR_SV_EESW_SX_SY_SZ_S13_S14_S15_S18_S19_jS1A_jS1B_S1B_jjS1D_bEUljE0_EEESW_SX_SY_S15_S19_S1B_T6_T7_T9_mT8_S1D_bDpT10_ENKUlT_T0_E_clISt17integral_constantIbLb0EES1R_EEDaS1M_S1N_EUlS1M_E_NS1_11comp_targetILNS1_3genE3ELNS1_11target_archE908ELNS1_3gpuE7ELNS1_3repE0EEENS1_30default_config_static_selectorELNS0_4arch9wavefront6targetE0EEEvSZ_
; %bb.0:
	.section	.rodata,"a",@progbits
	.p2align	6, 0x0
	.amdhsa_kernel _ZN7rocprim17ROCPRIM_400000_NS6detail17trampoline_kernelINS0_13select_configILj256ELj13ELNS0_17block_load_methodE3ELS4_3ELS4_3ELNS0_20block_scan_algorithmE0ELj4294967295EEENS1_25partition_config_selectorILNS1_17partition_subalgoE4EjNS0_10empty_typeEbEEZZNS1_14partition_implILS8_4ELb0ES6_15HIP_vector_typeIjLj2EENS0_17counting_iteratorIjlEEPS9_SG_NS0_5tupleIJPjSI_NS0_16reverse_iteratorISI_EEEEENSH_IJSG_SG_SG_EEES9_SI_JZNS1_25segmented_radix_sort_implINS0_14default_configELb1EPKlPlSQ_SR_N2at6native12_GLOBAL__N_18offset_tEEE10hipError_tPvRmT1_PNSt15iterator_traitsISZ_E10value_typeET2_T3_PNS10_IS15_E10value_typeET4_jRbjT5_S1B_jjP12ihipStream_tbEUljE_ZNSN_ISO_Lb1ESQ_SR_SQ_SR_SV_EESW_SX_SY_SZ_S13_S14_S15_S18_S19_jS1A_jS1B_S1B_jjS1D_bEUljE0_EEESW_SX_SY_S15_S19_S1B_T6_T7_T9_mT8_S1D_bDpT10_ENKUlT_T0_E_clISt17integral_constantIbLb0EES1R_EEDaS1M_S1N_EUlS1M_E_NS1_11comp_targetILNS1_3genE3ELNS1_11target_archE908ELNS1_3gpuE7ELNS1_3repE0EEENS1_30default_config_static_selectorELNS0_4arch9wavefront6targetE0EEEvSZ_
		.amdhsa_group_segment_fixed_size 0
		.amdhsa_private_segment_fixed_size 0
		.amdhsa_kernarg_size 176
		.amdhsa_user_sgpr_count 2
		.amdhsa_user_sgpr_dispatch_ptr 0
		.amdhsa_user_sgpr_queue_ptr 0
		.amdhsa_user_sgpr_kernarg_segment_ptr 1
		.amdhsa_user_sgpr_dispatch_id 0
		.amdhsa_user_sgpr_kernarg_preload_length 0
		.amdhsa_user_sgpr_kernarg_preload_offset 0
		.amdhsa_user_sgpr_private_segment_size 0
		.amdhsa_wavefront_size32 1
		.amdhsa_uses_dynamic_stack 0
		.amdhsa_enable_private_segment 0
		.amdhsa_system_sgpr_workgroup_id_x 1
		.amdhsa_system_sgpr_workgroup_id_y 0
		.amdhsa_system_sgpr_workgroup_id_z 0
		.amdhsa_system_sgpr_workgroup_info 0
		.amdhsa_system_vgpr_workitem_id 0
		.amdhsa_next_free_vgpr 1
		.amdhsa_next_free_sgpr 1
		.amdhsa_named_barrier_count 0
		.amdhsa_reserve_vcc 0
		.amdhsa_float_round_mode_32 0
		.amdhsa_float_round_mode_16_64 0
		.amdhsa_float_denorm_mode_32 3
		.amdhsa_float_denorm_mode_16_64 3
		.amdhsa_fp16_overflow 0
		.amdhsa_memory_ordered 1
		.amdhsa_forward_progress 1
		.amdhsa_inst_pref_size 0
		.amdhsa_round_robin_scheduling 0
		.amdhsa_exception_fp_ieee_invalid_op 0
		.amdhsa_exception_fp_denorm_src 0
		.amdhsa_exception_fp_ieee_div_zero 0
		.amdhsa_exception_fp_ieee_overflow 0
		.amdhsa_exception_fp_ieee_underflow 0
		.amdhsa_exception_fp_ieee_inexact 0
		.amdhsa_exception_int_div_zero 0
	.end_amdhsa_kernel
	.section	.text._ZN7rocprim17ROCPRIM_400000_NS6detail17trampoline_kernelINS0_13select_configILj256ELj13ELNS0_17block_load_methodE3ELS4_3ELS4_3ELNS0_20block_scan_algorithmE0ELj4294967295EEENS1_25partition_config_selectorILNS1_17partition_subalgoE4EjNS0_10empty_typeEbEEZZNS1_14partition_implILS8_4ELb0ES6_15HIP_vector_typeIjLj2EENS0_17counting_iteratorIjlEEPS9_SG_NS0_5tupleIJPjSI_NS0_16reverse_iteratorISI_EEEEENSH_IJSG_SG_SG_EEES9_SI_JZNS1_25segmented_radix_sort_implINS0_14default_configELb1EPKlPlSQ_SR_N2at6native12_GLOBAL__N_18offset_tEEE10hipError_tPvRmT1_PNSt15iterator_traitsISZ_E10value_typeET2_T3_PNS10_IS15_E10value_typeET4_jRbjT5_S1B_jjP12ihipStream_tbEUljE_ZNSN_ISO_Lb1ESQ_SR_SQ_SR_SV_EESW_SX_SY_SZ_S13_S14_S15_S18_S19_jS1A_jS1B_S1B_jjS1D_bEUljE0_EEESW_SX_SY_S15_S19_S1B_T6_T7_T9_mT8_S1D_bDpT10_ENKUlT_T0_E_clISt17integral_constantIbLb0EES1R_EEDaS1M_S1N_EUlS1M_E_NS1_11comp_targetILNS1_3genE3ELNS1_11target_archE908ELNS1_3gpuE7ELNS1_3repE0EEENS1_30default_config_static_selectorELNS0_4arch9wavefront6targetE0EEEvSZ_,"axG",@progbits,_ZN7rocprim17ROCPRIM_400000_NS6detail17trampoline_kernelINS0_13select_configILj256ELj13ELNS0_17block_load_methodE3ELS4_3ELS4_3ELNS0_20block_scan_algorithmE0ELj4294967295EEENS1_25partition_config_selectorILNS1_17partition_subalgoE4EjNS0_10empty_typeEbEEZZNS1_14partition_implILS8_4ELb0ES6_15HIP_vector_typeIjLj2EENS0_17counting_iteratorIjlEEPS9_SG_NS0_5tupleIJPjSI_NS0_16reverse_iteratorISI_EEEEENSH_IJSG_SG_SG_EEES9_SI_JZNS1_25segmented_radix_sort_implINS0_14default_configELb1EPKlPlSQ_SR_N2at6native12_GLOBAL__N_18offset_tEEE10hipError_tPvRmT1_PNSt15iterator_traitsISZ_E10value_typeET2_T3_PNS10_IS15_E10value_typeET4_jRbjT5_S1B_jjP12ihipStream_tbEUljE_ZNSN_ISO_Lb1ESQ_SR_SQ_SR_SV_EESW_SX_SY_SZ_S13_S14_S15_S18_S19_jS1A_jS1B_S1B_jjS1D_bEUljE0_EEESW_SX_SY_S15_S19_S1B_T6_T7_T9_mT8_S1D_bDpT10_ENKUlT_T0_E_clISt17integral_constantIbLb0EES1R_EEDaS1M_S1N_EUlS1M_E_NS1_11comp_targetILNS1_3genE3ELNS1_11target_archE908ELNS1_3gpuE7ELNS1_3repE0EEENS1_30default_config_static_selectorELNS0_4arch9wavefront6targetE0EEEvSZ_,comdat
.Lfunc_end639:
	.size	_ZN7rocprim17ROCPRIM_400000_NS6detail17trampoline_kernelINS0_13select_configILj256ELj13ELNS0_17block_load_methodE3ELS4_3ELS4_3ELNS0_20block_scan_algorithmE0ELj4294967295EEENS1_25partition_config_selectorILNS1_17partition_subalgoE4EjNS0_10empty_typeEbEEZZNS1_14partition_implILS8_4ELb0ES6_15HIP_vector_typeIjLj2EENS0_17counting_iteratorIjlEEPS9_SG_NS0_5tupleIJPjSI_NS0_16reverse_iteratorISI_EEEEENSH_IJSG_SG_SG_EEES9_SI_JZNS1_25segmented_radix_sort_implINS0_14default_configELb1EPKlPlSQ_SR_N2at6native12_GLOBAL__N_18offset_tEEE10hipError_tPvRmT1_PNSt15iterator_traitsISZ_E10value_typeET2_T3_PNS10_IS15_E10value_typeET4_jRbjT5_S1B_jjP12ihipStream_tbEUljE_ZNSN_ISO_Lb1ESQ_SR_SQ_SR_SV_EESW_SX_SY_SZ_S13_S14_S15_S18_S19_jS1A_jS1B_S1B_jjS1D_bEUljE0_EEESW_SX_SY_S15_S19_S1B_T6_T7_T9_mT8_S1D_bDpT10_ENKUlT_T0_E_clISt17integral_constantIbLb0EES1R_EEDaS1M_S1N_EUlS1M_E_NS1_11comp_targetILNS1_3genE3ELNS1_11target_archE908ELNS1_3gpuE7ELNS1_3repE0EEENS1_30default_config_static_selectorELNS0_4arch9wavefront6targetE0EEEvSZ_, .Lfunc_end639-_ZN7rocprim17ROCPRIM_400000_NS6detail17trampoline_kernelINS0_13select_configILj256ELj13ELNS0_17block_load_methodE3ELS4_3ELS4_3ELNS0_20block_scan_algorithmE0ELj4294967295EEENS1_25partition_config_selectorILNS1_17partition_subalgoE4EjNS0_10empty_typeEbEEZZNS1_14partition_implILS8_4ELb0ES6_15HIP_vector_typeIjLj2EENS0_17counting_iteratorIjlEEPS9_SG_NS0_5tupleIJPjSI_NS0_16reverse_iteratorISI_EEEEENSH_IJSG_SG_SG_EEES9_SI_JZNS1_25segmented_radix_sort_implINS0_14default_configELb1EPKlPlSQ_SR_N2at6native12_GLOBAL__N_18offset_tEEE10hipError_tPvRmT1_PNSt15iterator_traitsISZ_E10value_typeET2_T3_PNS10_IS15_E10value_typeET4_jRbjT5_S1B_jjP12ihipStream_tbEUljE_ZNSN_ISO_Lb1ESQ_SR_SQ_SR_SV_EESW_SX_SY_SZ_S13_S14_S15_S18_S19_jS1A_jS1B_S1B_jjS1D_bEUljE0_EEESW_SX_SY_S15_S19_S1B_T6_T7_T9_mT8_S1D_bDpT10_ENKUlT_T0_E_clISt17integral_constantIbLb0EES1R_EEDaS1M_S1N_EUlS1M_E_NS1_11comp_targetILNS1_3genE3ELNS1_11target_archE908ELNS1_3gpuE7ELNS1_3repE0EEENS1_30default_config_static_selectorELNS0_4arch9wavefront6targetE0EEEvSZ_
                                        ; -- End function
	.set _ZN7rocprim17ROCPRIM_400000_NS6detail17trampoline_kernelINS0_13select_configILj256ELj13ELNS0_17block_load_methodE3ELS4_3ELS4_3ELNS0_20block_scan_algorithmE0ELj4294967295EEENS1_25partition_config_selectorILNS1_17partition_subalgoE4EjNS0_10empty_typeEbEEZZNS1_14partition_implILS8_4ELb0ES6_15HIP_vector_typeIjLj2EENS0_17counting_iteratorIjlEEPS9_SG_NS0_5tupleIJPjSI_NS0_16reverse_iteratorISI_EEEEENSH_IJSG_SG_SG_EEES9_SI_JZNS1_25segmented_radix_sort_implINS0_14default_configELb1EPKlPlSQ_SR_N2at6native12_GLOBAL__N_18offset_tEEE10hipError_tPvRmT1_PNSt15iterator_traitsISZ_E10value_typeET2_T3_PNS10_IS15_E10value_typeET4_jRbjT5_S1B_jjP12ihipStream_tbEUljE_ZNSN_ISO_Lb1ESQ_SR_SQ_SR_SV_EESW_SX_SY_SZ_S13_S14_S15_S18_S19_jS1A_jS1B_S1B_jjS1D_bEUljE0_EEESW_SX_SY_S15_S19_S1B_T6_T7_T9_mT8_S1D_bDpT10_ENKUlT_T0_E_clISt17integral_constantIbLb0EES1R_EEDaS1M_S1N_EUlS1M_E_NS1_11comp_targetILNS1_3genE3ELNS1_11target_archE908ELNS1_3gpuE7ELNS1_3repE0EEENS1_30default_config_static_selectorELNS0_4arch9wavefront6targetE0EEEvSZ_.num_vgpr, 0
	.set _ZN7rocprim17ROCPRIM_400000_NS6detail17trampoline_kernelINS0_13select_configILj256ELj13ELNS0_17block_load_methodE3ELS4_3ELS4_3ELNS0_20block_scan_algorithmE0ELj4294967295EEENS1_25partition_config_selectorILNS1_17partition_subalgoE4EjNS0_10empty_typeEbEEZZNS1_14partition_implILS8_4ELb0ES6_15HIP_vector_typeIjLj2EENS0_17counting_iteratorIjlEEPS9_SG_NS0_5tupleIJPjSI_NS0_16reverse_iteratorISI_EEEEENSH_IJSG_SG_SG_EEES9_SI_JZNS1_25segmented_radix_sort_implINS0_14default_configELb1EPKlPlSQ_SR_N2at6native12_GLOBAL__N_18offset_tEEE10hipError_tPvRmT1_PNSt15iterator_traitsISZ_E10value_typeET2_T3_PNS10_IS15_E10value_typeET4_jRbjT5_S1B_jjP12ihipStream_tbEUljE_ZNSN_ISO_Lb1ESQ_SR_SQ_SR_SV_EESW_SX_SY_SZ_S13_S14_S15_S18_S19_jS1A_jS1B_S1B_jjS1D_bEUljE0_EEESW_SX_SY_S15_S19_S1B_T6_T7_T9_mT8_S1D_bDpT10_ENKUlT_T0_E_clISt17integral_constantIbLb0EES1R_EEDaS1M_S1N_EUlS1M_E_NS1_11comp_targetILNS1_3genE3ELNS1_11target_archE908ELNS1_3gpuE7ELNS1_3repE0EEENS1_30default_config_static_selectorELNS0_4arch9wavefront6targetE0EEEvSZ_.num_agpr, 0
	.set _ZN7rocprim17ROCPRIM_400000_NS6detail17trampoline_kernelINS0_13select_configILj256ELj13ELNS0_17block_load_methodE3ELS4_3ELS4_3ELNS0_20block_scan_algorithmE0ELj4294967295EEENS1_25partition_config_selectorILNS1_17partition_subalgoE4EjNS0_10empty_typeEbEEZZNS1_14partition_implILS8_4ELb0ES6_15HIP_vector_typeIjLj2EENS0_17counting_iteratorIjlEEPS9_SG_NS0_5tupleIJPjSI_NS0_16reverse_iteratorISI_EEEEENSH_IJSG_SG_SG_EEES9_SI_JZNS1_25segmented_radix_sort_implINS0_14default_configELb1EPKlPlSQ_SR_N2at6native12_GLOBAL__N_18offset_tEEE10hipError_tPvRmT1_PNSt15iterator_traitsISZ_E10value_typeET2_T3_PNS10_IS15_E10value_typeET4_jRbjT5_S1B_jjP12ihipStream_tbEUljE_ZNSN_ISO_Lb1ESQ_SR_SQ_SR_SV_EESW_SX_SY_SZ_S13_S14_S15_S18_S19_jS1A_jS1B_S1B_jjS1D_bEUljE0_EEESW_SX_SY_S15_S19_S1B_T6_T7_T9_mT8_S1D_bDpT10_ENKUlT_T0_E_clISt17integral_constantIbLb0EES1R_EEDaS1M_S1N_EUlS1M_E_NS1_11comp_targetILNS1_3genE3ELNS1_11target_archE908ELNS1_3gpuE7ELNS1_3repE0EEENS1_30default_config_static_selectorELNS0_4arch9wavefront6targetE0EEEvSZ_.numbered_sgpr, 0
	.set _ZN7rocprim17ROCPRIM_400000_NS6detail17trampoline_kernelINS0_13select_configILj256ELj13ELNS0_17block_load_methodE3ELS4_3ELS4_3ELNS0_20block_scan_algorithmE0ELj4294967295EEENS1_25partition_config_selectorILNS1_17partition_subalgoE4EjNS0_10empty_typeEbEEZZNS1_14partition_implILS8_4ELb0ES6_15HIP_vector_typeIjLj2EENS0_17counting_iteratorIjlEEPS9_SG_NS0_5tupleIJPjSI_NS0_16reverse_iteratorISI_EEEEENSH_IJSG_SG_SG_EEES9_SI_JZNS1_25segmented_radix_sort_implINS0_14default_configELb1EPKlPlSQ_SR_N2at6native12_GLOBAL__N_18offset_tEEE10hipError_tPvRmT1_PNSt15iterator_traitsISZ_E10value_typeET2_T3_PNS10_IS15_E10value_typeET4_jRbjT5_S1B_jjP12ihipStream_tbEUljE_ZNSN_ISO_Lb1ESQ_SR_SQ_SR_SV_EESW_SX_SY_SZ_S13_S14_S15_S18_S19_jS1A_jS1B_S1B_jjS1D_bEUljE0_EEESW_SX_SY_S15_S19_S1B_T6_T7_T9_mT8_S1D_bDpT10_ENKUlT_T0_E_clISt17integral_constantIbLb0EES1R_EEDaS1M_S1N_EUlS1M_E_NS1_11comp_targetILNS1_3genE3ELNS1_11target_archE908ELNS1_3gpuE7ELNS1_3repE0EEENS1_30default_config_static_selectorELNS0_4arch9wavefront6targetE0EEEvSZ_.num_named_barrier, 0
	.set _ZN7rocprim17ROCPRIM_400000_NS6detail17trampoline_kernelINS0_13select_configILj256ELj13ELNS0_17block_load_methodE3ELS4_3ELS4_3ELNS0_20block_scan_algorithmE0ELj4294967295EEENS1_25partition_config_selectorILNS1_17partition_subalgoE4EjNS0_10empty_typeEbEEZZNS1_14partition_implILS8_4ELb0ES6_15HIP_vector_typeIjLj2EENS0_17counting_iteratorIjlEEPS9_SG_NS0_5tupleIJPjSI_NS0_16reverse_iteratorISI_EEEEENSH_IJSG_SG_SG_EEES9_SI_JZNS1_25segmented_radix_sort_implINS0_14default_configELb1EPKlPlSQ_SR_N2at6native12_GLOBAL__N_18offset_tEEE10hipError_tPvRmT1_PNSt15iterator_traitsISZ_E10value_typeET2_T3_PNS10_IS15_E10value_typeET4_jRbjT5_S1B_jjP12ihipStream_tbEUljE_ZNSN_ISO_Lb1ESQ_SR_SQ_SR_SV_EESW_SX_SY_SZ_S13_S14_S15_S18_S19_jS1A_jS1B_S1B_jjS1D_bEUljE0_EEESW_SX_SY_S15_S19_S1B_T6_T7_T9_mT8_S1D_bDpT10_ENKUlT_T0_E_clISt17integral_constantIbLb0EES1R_EEDaS1M_S1N_EUlS1M_E_NS1_11comp_targetILNS1_3genE3ELNS1_11target_archE908ELNS1_3gpuE7ELNS1_3repE0EEENS1_30default_config_static_selectorELNS0_4arch9wavefront6targetE0EEEvSZ_.private_seg_size, 0
	.set _ZN7rocprim17ROCPRIM_400000_NS6detail17trampoline_kernelINS0_13select_configILj256ELj13ELNS0_17block_load_methodE3ELS4_3ELS4_3ELNS0_20block_scan_algorithmE0ELj4294967295EEENS1_25partition_config_selectorILNS1_17partition_subalgoE4EjNS0_10empty_typeEbEEZZNS1_14partition_implILS8_4ELb0ES6_15HIP_vector_typeIjLj2EENS0_17counting_iteratorIjlEEPS9_SG_NS0_5tupleIJPjSI_NS0_16reverse_iteratorISI_EEEEENSH_IJSG_SG_SG_EEES9_SI_JZNS1_25segmented_radix_sort_implINS0_14default_configELb1EPKlPlSQ_SR_N2at6native12_GLOBAL__N_18offset_tEEE10hipError_tPvRmT1_PNSt15iterator_traitsISZ_E10value_typeET2_T3_PNS10_IS15_E10value_typeET4_jRbjT5_S1B_jjP12ihipStream_tbEUljE_ZNSN_ISO_Lb1ESQ_SR_SQ_SR_SV_EESW_SX_SY_SZ_S13_S14_S15_S18_S19_jS1A_jS1B_S1B_jjS1D_bEUljE0_EEESW_SX_SY_S15_S19_S1B_T6_T7_T9_mT8_S1D_bDpT10_ENKUlT_T0_E_clISt17integral_constantIbLb0EES1R_EEDaS1M_S1N_EUlS1M_E_NS1_11comp_targetILNS1_3genE3ELNS1_11target_archE908ELNS1_3gpuE7ELNS1_3repE0EEENS1_30default_config_static_selectorELNS0_4arch9wavefront6targetE0EEEvSZ_.uses_vcc, 0
	.set _ZN7rocprim17ROCPRIM_400000_NS6detail17trampoline_kernelINS0_13select_configILj256ELj13ELNS0_17block_load_methodE3ELS4_3ELS4_3ELNS0_20block_scan_algorithmE0ELj4294967295EEENS1_25partition_config_selectorILNS1_17partition_subalgoE4EjNS0_10empty_typeEbEEZZNS1_14partition_implILS8_4ELb0ES6_15HIP_vector_typeIjLj2EENS0_17counting_iteratorIjlEEPS9_SG_NS0_5tupleIJPjSI_NS0_16reverse_iteratorISI_EEEEENSH_IJSG_SG_SG_EEES9_SI_JZNS1_25segmented_radix_sort_implINS0_14default_configELb1EPKlPlSQ_SR_N2at6native12_GLOBAL__N_18offset_tEEE10hipError_tPvRmT1_PNSt15iterator_traitsISZ_E10value_typeET2_T3_PNS10_IS15_E10value_typeET4_jRbjT5_S1B_jjP12ihipStream_tbEUljE_ZNSN_ISO_Lb1ESQ_SR_SQ_SR_SV_EESW_SX_SY_SZ_S13_S14_S15_S18_S19_jS1A_jS1B_S1B_jjS1D_bEUljE0_EEESW_SX_SY_S15_S19_S1B_T6_T7_T9_mT8_S1D_bDpT10_ENKUlT_T0_E_clISt17integral_constantIbLb0EES1R_EEDaS1M_S1N_EUlS1M_E_NS1_11comp_targetILNS1_3genE3ELNS1_11target_archE908ELNS1_3gpuE7ELNS1_3repE0EEENS1_30default_config_static_selectorELNS0_4arch9wavefront6targetE0EEEvSZ_.uses_flat_scratch, 0
	.set _ZN7rocprim17ROCPRIM_400000_NS6detail17trampoline_kernelINS0_13select_configILj256ELj13ELNS0_17block_load_methodE3ELS4_3ELS4_3ELNS0_20block_scan_algorithmE0ELj4294967295EEENS1_25partition_config_selectorILNS1_17partition_subalgoE4EjNS0_10empty_typeEbEEZZNS1_14partition_implILS8_4ELb0ES6_15HIP_vector_typeIjLj2EENS0_17counting_iteratorIjlEEPS9_SG_NS0_5tupleIJPjSI_NS0_16reverse_iteratorISI_EEEEENSH_IJSG_SG_SG_EEES9_SI_JZNS1_25segmented_radix_sort_implINS0_14default_configELb1EPKlPlSQ_SR_N2at6native12_GLOBAL__N_18offset_tEEE10hipError_tPvRmT1_PNSt15iterator_traitsISZ_E10value_typeET2_T3_PNS10_IS15_E10value_typeET4_jRbjT5_S1B_jjP12ihipStream_tbEUljE_ZNSN_ISO_Lb1ESQ_SR_SQ_SR_SV_EESW_SX_SY_SZ_S13_S14_S15_S18_S19_jS1A_jS1B_S1B_jjS1D_bEUljE0_EEESW_SX_SY_S15_S19_S1B_T6_T7_T9_mT8_S1D_bDpT10_ENKUlT_T0_E_clISt17integral_constantIbLb0EES1R_EEDaS1M_S1N_EUlS1M_E_NS1_11comp_targetILNS1_3genE3ELNS1_11target_archE908ELNS1_3gpuE7ELNS1_3repE0EEENS1_30default_config_static_selectorELNS0_4arch9wavefront6targetE0EEEvSZ_.has_dyn_sized_stack, 0
	.set _ZN7rocprim17ROCPRIM_400000_NS6detail17trampoline_kernelINS0_13select_configILj256ELj13ELNS0_17block_load_methodE3ELS4_3ELS4_3ELNS0_20block_scan_algorithmE0ELj4294967295EEENS1_25partition_config_selectorILNS1_17partition_subalgoE4EjNS0_10empty_typeEbEEZZNS1_14partition_implILS8_4ELb0ES6_15HIP_vector_typeIjLj2EENS0_17counting_iteratorIjlEEPS9_SG_NS0_5tupleIJPjSI_NS0_16reverse_iteratorISI_EEEEENSH_IJSG_SG_SG_EEES9_SI_JZNS1_25segmented_radix_sort_implINS0_14default_configELb1EPKlPlSQ_SR_N2at6native12_GLOBAL__N_18offset_tEEE10hipError_tPvRmT1_PNSt15iterator_traitsISZ_E10value_typeET2_T3_PNS10_IS15_E10value_typeET4_jRbjT5_S1B_jjP12ihipStream_tbEUljE_ZNSN_ISO_Lb1ESQ_SR_SQ_SR_SV_EESW_SX_SY_SZ_S13_S14_S15_S18_S19_jS1A_jS1B_S1B_jjS1D_bEUljE0_EEESW_SX_SY_S15_S19_S1B_T6_T7_T9_mT8_S1D_bDpT10_ENKUlT_T0_E_clISt17integral_constantIbLb0EES1R_EEDaS1M_S1N_EUlS1M_E_NS1_11comp_targetILNS1_3genE3ELNS1_11target_archE908ELNS1_3gpuE7ELNS1_3repE0EEENS1_30default_config_static_selectorELNS0_4arch9wavefront6targetE0EEEvSZ_.has_recursion, 0
	.set _ZN7rocprim17ROCPRIM_400000_NS6detail17trampoline_kernelINS0_13select_configILj256ELj13ELNS0_17block_load_methodE3ELS4_3ELS4_3ELNS0_20block_scan_algorithmE0ELj4294967295EEENS1_25partition_config_selectorILNS1_17partition_subalgoE4EjNS0_10empty_typeEbEEZZNS1_14partition_implILS8_4ELb0ES6_15HIP_vector_typeIjLj2EENS0_17counting_iteratorIjlEEPS9_SG_NS0_5tupleIJPjSI_NS0_16reverse_iteratorISI_EEEEENSH_IJSG_SG_SG_EEES9_SI_JZNS1_25segmented_radix_sort_implINS0_14default_configELb1EPKlPlSQ_SR_N2at6native12_GLOBAL__N_18offset_tEEE10hipError_tPvRmT1_PNSt15iterator_traitsISZ_E10value_typeET2_T3_PNS10_IS15_E10value_typeET4_jRbjT5_S1B_jjP12ihipStream_tbEUljE_ZNSN_ISO_Lb1ESQ_SR_SQ_SR_SV_EESW_SX_SY_SZ_S13_S14_S15_S18_S19_jS1A_jS1B_S1B_jjS1D_bEUljE0_EEESW_SX_SY_S15_S19_S1B_T6_T7_T9_mT8_S1D_bDpT10_ENKUlT_T0_E_clISt17integral_constantIbLb0EES1R_EEDaS1M_S1N_EUlS1M_E_NS1_11comp_targetILNS1_3genE3ELNS1_11target_archE908ELNS1_3gpuE7ELNS1_3repE0EEENS1_30default_config_static_selectorELNS0_4arch9wavefront6targetE0EEEvSZ_.has_indirect_call, 0
	.section	.AMDGPU.csdata,"",@progbits
; Kernel info:
; codeLenInByte = 0
; TotalNumSgprs: 0
; NumVgprs: 0
; ScratchSize: 0
; MemoryBound: 0
; FloatMode: 240
; IeeeMode: 1
; LDSByteSize: 0 bytes/workgroup (compile time only)
; SGPRBlocks: 0
; VGPRBlocks: 0
; NumSGPRsForWavesPerEU: 1
; NumVGPRsForWavesPerEU: 1
; NamedBarCnt: 0
; Occupancy: 16
; WaveLimiterHint : 0
; COMPUTE_PGM_RSRC2:SCRATCH_EN: 0
; COMPUTE_PGM_RSRC2:USER_SGPR: 2
; COMPUTE_PGM_RSRC2:TRAP_HANDLER: 0
; COMPUTE_PGM_RSRC2:TGID_X_EN: 1
; COMPUTE_PGM_RSRC2:TGID_Y_EN: 0
; COMPUTE_PGM_RSRC2:TGID_Z_EN: 0
; COMPUTE_PGM_RSRC2:TIDIG_COMP_CNT: 0
	.section	.text._ZN7rocprim17ROCPRIM_400000_NS6detail17trampoline_kernelINS0_13select_configILj256ELj13ELNS0_17block_load_methodE3ELS4_3ELS4_3ELNS0_20block_scan_algorithmE0ELj4294967295EEENS1_25partition_config_selectorILNS1_17partition_subalgoE4EjNS0_10empty_typeEbEEZZNS1_14partition_implILS8_4ELb0ES6_15HIP_vector_typeIjLj2EENS0_17counting_iteratorIjlEEPS9_SG_NS0_5tupleIJPjSI_NS0_16reverse_iteratorISI_EEEEENSH_IJSG_SG_SG_EEES9_SI_JZNS1_25segmented_radix_sort_implINS0_14default_configELb1EPKlPlSQ_SR_N2at6native12_GLOBAL__N_18offset_tEEE10hipError_tPvRmT1_PNSt15iterator_traitsISZ_E10value_typeET2_T3_PNS10_IS15_E10value_typeET4_jRbjT5_S1B_jjP12ihipStream_tbEUljE_ZNSN_ISO_Lb1ESQ_SR_SQ_SR_SV_EESW_SX_SY_SZ_S13_S14_S15_S18_S19_jS1A_jS1B_S1B_jjS1D_bEUljE0_EEESW_SX_SY_S15_S19_S1B_T6_T7_T9_mT8_S1D_bDpT10_ENKUlT_T0_E_clISt17integral_constantIbLb0EES1R_EEDaS1M_S1N_EUlS1M_E_NS1_11comp_targetILNS1_3genE2ELNS1_11target_archE906ELNS1_3gpuE6ELNS1_3repE0EEENS1_30default_config_static_selectorELNS0_4arch9wavefront6targetE0EEEvSZ_,"axG",@progbits,_ZN7rocprim17ROCPRIM_400000_NS6detail17trampoline_kernelINS0_13select_configILj256ELj13ELNS0_17block_load_methodE3ELS4_3ELS4_3ELNS0_20block_scan_algorithmE0ELj4294967295EEENS1_25partition_config_selectorILNS1_17partition_subalgoE4EjNS0_10empty_typeEbEEZZNS1_14partition_implILS8_4ELb0ES6_15HIP_vector_typeIjLj2EENS0_17counting_iteratorIjlEEPS9_SG_NS0_5tupleIJPjSI_NS0_16reverse_iteratorISI_EEEEENSH_IJSG_SG_SG_EEES9_SI_JZNS1_25segmented_radix_sort_implINS0_14default_configELb1EPKlPlSQ_SR_N2at6native12_GLOBAL__N_18offset_tEEE10hipError_tPvRmT1_PNSt15iterator_traitsISZ_E10value_typeET2_T3_PNS10_IS15_E10value_typeET4_jRbjT5_S1B_jjP12ihipStream_tbEUljE_ZNSN_ISO_Lb1ESQ_SR_SQ_SR_SV_EESW_SX_SY_SZ_S13_S14_S15_S18_S19_jS1A_jS1B_S1B_jjS1D_bEUljE0_EEESW_SX_SY_S15_S19_S1B_T6_T7_T9_mT8_S1D_bDpT10_ENKUlT_T0_E_clISt17integral_constantIbLb0EES1R_EEDaS1M_S1N_EUlS1M_E_NS1_11comp_targetILNS1_3genE2ELNS1_11target_archE906ELNS1_3gpuE6ELNS1_3repE0EEENS1_30default_config_static_selectorELNS0_4arch9wavefront6targetE0EEEvSZ_,comdat
	.globl	_ZN7rocprim17ROCPRIM_400000_NS6detail17trampoline_kernelINS0_13select_configILj256ELj13ELNS0_17block_load_methodE3ELS4_3ELS4_3ELNS0_20block_scan_algorithmE0ELj4294967295EEENS1_25partition_config_selectorILNS1_17partition_subalgoE4EjNS0_10empty_typeEbEEZZNS1_14partition_implILS8_4ELb0ES6_15HIP_vector_typeIjLj2EENS0_17counting_iteratorIjlEEPS9_SG_NS0_5tupleIJPjSI_NS0_16reverse_iteratorISI_EEEEENSH_IJSG_SG_SG_EEES9_SI_JZNS1_25segmented_radix_sort_implINS0_14default_configELb1EPKlPlSQ_SR_N2at6native12_GLOBAL__N_18offset_tEEE10hipError_tPvRmT1_PNSt15iterator_traitsISZ_E10value_typeET2_T3_PNS10_IS15_E10value_typeET4_jRbjT5_S1B_jjP12ihipStream_tbEUljE_ZNSN_ISO_Lb1ESQ_SR_SQ_SR_SV_EESW_SX_SY_SZ_S13_S14_S15_S18_S19_jS1A_jS1B_S1B_jjS1D_bEUljE0_EEESW_SX_SY_S15_S19_S1B_T6_T7_T9_mT8_S1D_bDpT10_ENKUlT_T0_E_clISt17integral_constantIbLb0EES1R_EEDaS1M_S1N_EUlS1M_E_NS1_11comp_targetILNS1_3genE2ELNS1_11target_archE906ELNS1_3gpuE6ELNS1_3repE0EEENS1_30default_config_static_selectorELNS0_4arch9wavefront6targetE0EEEvSZ_ ; -- Begin function _ZN7rocprim17ROCPRIM_400000_NS6detail17trampoline_kernelINS0_13select_configILj256ELj13ELNS0_17block_load_methodE3ELS4_3ELS4_3ELNS0_20block_scan_algorithmE0ELj4294967295EEENS1_25partition_config_selectorILNS1_17partition_subalgoE4EjNS0_10empty_typeEbEEZZNS1_14partition_implILS8_4ELb0ES6_15HIP_vector_typeIjLj2EENS0_17counting_iteratorIjlEEPS9_SG_NS0_5tupleIJPjSI_NS0_16reverse_iteratorISI_EEEEENSH_IJSG_SG_SG_EEES9_SI_JZNS1_25segmented_radix_sort_implINS0_14default_configELb1EPKlPlSQ_SR_N2at6native12_GLOBAL__N_18offset_tEEE10hipError_tPvRmT1_PNSt15iterator_traitsISZ_E10value_typeET2_T3_PNS10_IS15_E10value_typeET4_jRbjT5_S1B_jjP12ihipStream_tbEUljE_ZNSN_ISO_Lb1ESQ_SR_SQ_SR_SV_EESW_SX_SY_SZ_S13_S14_S15_S18_S19_jS1A_jS1B_S1B_jjS1D_bEUljE0_EEESW_SX_SY_S15_S19_S1B_T6_T7_T9_mT8_S1D_bDpT10_ENKUlT_T0_E_clISt17integral_constantIbLb0EES1R_EEDaS1M_S1N_EUlS1M_E_NS1_11comp_targetILNS1_3genE2ELNS1_11target_archE906ELNS1_3gpuE6ELNS1_3repE0EEENS1_30default_config_static_selectorELNS0_4arch9wavefront6targetE0EEEvSZ_
	.p2align	8
	.type	_ZN7rocprim17ROCPRIM_400000_NS6detail17trampoline_kernelINS0_13select_configILj256ELj13ELNS0_17block_load_methodE3ELS4_3ELS4_3ELNS0_20block_scan_algorithmE0ELj4294967295EEENS1_25partition_config_selectorILNS1_17partition_subalgoE4EjNS0_10empty_typeEbEEZZNS1_14partition_implILS8_4ELb0ES6_15HIP_vector_typeIjLj2EENS0_17counting_iteratorIjlEEPS9_SG_NS0_5tupleIJPjSI_NS0_16reverse_iteratorISI_EEEEENSH_IJSG_SG_SG_EEES9_SI_JZNS1_25segmented_radix_sort_implINS0_14default_configELb1EPKlPlSQ_SR_N2at6native12_GLOBAL__N_18offset_tEEE10hipError_tPvRmT1_PNSt15iterator_traitsISZ_E10value_typeET2_T3_PNS10_IS15_E10value_typeET4_jRbjT5_S1B_jjP12ihipStream_tbEUljE_ZNSN_ISO_Lb1ESQ_SR_SQ_SR_SV_EESW_SX_SY_SZ_S13_S14_S15_S18_S19_jS1A_jS1B_S1B_jjS1D_bEUljE0_EEESW_SX_SY_S15_S19_S1B_T6_T7_T9_mT8_S1D_bDpT10_ENKUlT_T0_E_clISt17integral_constantIbLb0EES1R_EEDaS1M_S1N_EUlS1M_E_NS1_11comp_targetILNS1_3genE2ELNS1_11target_archE906ELNS1_3gpuE6ELNS1_3repE0EEENS1_30default_config_static_selectorELNS0_4arch9wavefront6targetE0EEEvSZ_,@function
_ZN7rocprim17ROCPRIM_400000_NS6detail17trampoline_kernelINS0_13select_configILj256ELj13ELNS0_17block_load_methodE3ELS4_3ELS4_3ELNS0_20block_scan_algorithmE0ELj4294967295EEENS1_25partition_config_selectorILNS1_17partition_subalgoE4EjNS0_10empty_typeEbEEZZNS1_14partition_implILS8_4ELb0ES6_15HIP_vector_typeIjLj2EENS0_17counting_iteratorIjlEEPS9_SG_NS0_5tupleIJPjSI_NS0_16reverse_iteratorISI_EEEEENSH_IJSG_SG_SG_EEES9_SI_JZNS1_25segmented_radix_sort_implINS0_14default_configELb1EPKlPlSQ_SR_N2at6native12_GLOBAL__N_18offset_tEEE10hipError_tPvRmT1_PNSt15iterator_traitsISZ_E10value_typeET2_T3_PNS10_IS15_E10value_typeET4_jRbjT5_S1B_jjP12ihipStream_tbEUljE_ZNSN_ISO_Lb1ESQ_SR_SQ_SR_SV_EESW_SX_SY_SZ_S13_S14_S15_S18_S19_jS1A_jS1B_S1B_jjS1D_bEUljE0_EEESW_SX_SY_S15_S19_S1B_T6_T7_T9_mT8_S1D_bDpT10_ENKUlT_T0_E_clISt17integral_constantIbLb0EES1R_EEDaS1M_S1N_EUlS1M_E_NS1_11comp_targetILNS1_3genE2ELNS1_11target_archE906ELNS1_3gpuE6ELNS1_3repE0EEENS1_30default_config_static_selectorELNS0_4arch9wavefront6targetE0EEEvSZ_: ; @_ZN7rocprim17ROCPRIM_400000_NS6detail17trampoline_kernelINS0_13select_configILj256ELj13ELNS0_17block_load_methodE3ELS4_3ELS4_3ELNS0_20block_scan_algorithmE0ELj4294967295EEENS1_25partition_config_selectorILNS1_17partition_subalgoE4EjNS0_10empty_typeEbEEZZNS1_14partition_implILS8_4ELb0ES6_15HIP_vector_typeIjLj2EENS0_17counting_iteratorIjlEEPS9_SG_NS0_5tupleIJPjSI_NS0_16reverse_iteratorISI_EEEEENSH_IJSG_SG_SG_EEES9_SI_JZNS1_25segmented_radix_sort_implINS0_14default_configELb1EPKlPlSQ_SR_N2at6native12_GLOBAL__N_18offset_tEEE10hipError_tPvRmT1_PNSt15iterator_traitsISZ_E10value_typeET2_T3_PNS10_IS15_E10value_typeET4_jRbjT5_S1B_jjP12ihipStream_tbEUljE_ZNSN_ISO_Lb1ESQ_SR_SQ_SR_SV_EESW_SX_SY_SZ_S13_S14_S15_S18_S19_jS1A_jS1B_S1B_jjS1D_bEUljE0_EEESW_SX_SY_S15_S19_S1B_T6_T7_T9_mT8_S1D_bDpT10_ENKUlT_T0_E_clISt17integral_constantIbLb0EES1R_EEDaS1M_S1N_EUlS1M_E_NS1_11comp_targetILNS1_3genE2ELNS1_11target_archE906ELNS1_3gpuE6ELNS1_3repE0EEENS1_30default_config_static_selectorELNS0_4arch9wavefront6targetE0EEEvSZ_
; %bb.0:
	.section	.rodata,"a",@progbits
	.p2align	6, 0x0
	.amdhsa_kernel _ZN7rocprim17ROCPRIM_400000_NS6detail17trampoline_kernelINS0_13select_configILj256ELj13ELNS0_17block_load_methodE3ELS4_3ELS4_3ELNS0_20block_scan_algorithmE0ELj4294967295EEENS1_25partition_config_selectorILNS1_17partition_subalgoE4EjNS0_10empty_typeEbEEZZNS1_14partition_implILS8_4ELb0ES6_15HIP_vector_typeIjLj2EENS0_17counting_iteratorIjlEEPS9_SG_NS0_5tupleIJPjSI_NS0_16reverse_iteratorISI_EEEEENSH_IJSG_SG_SG_EEES9_SI_JZNS1_25segmented_radix_sort_implINS0_14default_configELb1EPKlPlSQ_SR_N2at6native12_GLOBAL__N_18offset_tEEE10hipError_tPvRmT1_PNSt15iterator_traitsISZ_E10value_typeET2_T3_PNS10_IS15_E10value_typeET4_jRbjT5_S1B_jjP12ihipStream_tbEUljE_ZNSN_ISO_Lb1ESQ_SR_SQ_SR_SV_EESW_SX_SY_SZ_S13_S14_S15_S18_S19_jS1A_jS1B_S1B_jjS1D_bEUljE0_EEESW_SX_SY_S15_S19_S1B_T6_T7_T9_mT8_S1D_bDpT10_ENKUlT_T0_E_clISt17integral_constantIbLb0EES1R_EEDaS1M_S1N_EUlS1M_E_NS1_11comp_targetILNS1_3genE2ELNS1_11target_archE906ELNS1_3gpuE6ELNS1_3repE0EEENS1_30default_config_static_selectorELNS0_4arch9wavefront6targetE0EEEvSZ_
		.amdhsa_group_segment_fixed_size 0
		.amdhsa_private_segment_fixed_size 0
		.amdhsa_kernarg_size 176
		.amdhsa_user_sgpr_count 2
		.amdhsa_user_sgpr_dispatch_ptr 0
		.amdhsa_user_sgpr_queue_ptr 0
		.amdhsa_user_sgpr_kernarg_segment_ptr 1
		.amdhsa_user_sgpr_dispatch_id 0
		.amdhsa_user_sgpr_kernarg_preload_length 0
		.amdhsa_user_sgpr_kernarg_preload_offset 0
		.amdhsa_user_sgpr_private_segment_size 0
		.amdhsa_wavefront_size32 1
		.amdhsa_uses_dynamic_stack 0
		.amdhsa_enable_private_segment 0
		.amdhsa_system_sgpr_workgroup_id_x 1
		.amdhsa_system_sgpr_workgroup_id_y 0
		.amdhsa_system_sgpr_workgroup_id_z 0
		.amdhsa_system_sgpr_workgroup_info 0
		.amdhsa_system_vgpr_workitem_id 0
		.amdhsa_next_free_vgpr 1
		.amdhsa_next_free_sgpr 1
		.amdhsa_named_barrier_count 0
		.amdhsa_reserve_vcc 0
		.amdhsa_float_round_mode_32 0
		.amdhsa_float_round_mode_16_64 0
		.amdhsa_float_denorm_mode_32 3
		.amdhsa_float_denorm_mode_16_64 3
		.amdhsa_fp16_overflow 0
		.amdhsa_memory_ordered 1
		.amdhsa_forward_progress 1
		.amdhsa_inst_pref_size 0
		.amdhsa_round_robin_scheduling 0
		.amdhsa_exception_fp_ieee_invalid_op 0
		.amdhsa_exception_fp_denorm_src 0
		.amdhsa_exception_fp_ieee_div_zero 0
		.amdhsa_exception_fp_ieee_overflow 0
		.amdhsa_exception_fp_ieee_underflow 0
		.amdhsa_exception_fp_ieee_inexact 0
		.amdhsa_exception_int_div_zero 0
	.end_amdhsa_kernel
	.section	.text._ZN7rocprim17ROCPRIM_400000_NS6detail17trampoline_kernelINS0_13select_configILj256ELj13ELNS0_17block_load_methodE3ELS4_3ELS4_3ELNS0_20block_scan_algorithmE0ELj4294967295EEENS1_25partition_config_selectorILNS1_17partition_subalgoE4EjNS0_10empty_typeEbEEZZNS1_14partition_implILS8_4ELb0ES6_15HIP_vector_typeIjLj2EENS0_17counting_iteratorIjlEEPS9_SG_NS0_5tupleIJPjSI_NS0_16reverse_iteratorISI_EEEEENSH_IJSG_SG_SG_EEES9_SI_JZNS1_25segmented_radix_sort_implINS0_14default_configELb1EPKlPlSQ_SR_N2at6native12_GLOBAL__N_18offset_tEEE10hipError_tPvRmT1_PNSt15iterator_traitsISZ_E10value_typeET2_T3_PNS10_IS15_E10value_typeET4_jRbjT5_S1B_jjP12ihipStream_tbEUljE_ZNSN_ISO_Lb1ESQ_SR_SQ_SR_SV_EESW_SX_SY_SZ_S13_S14_S15_S18_S19_jS1A_jS1B_S1B_jjS1D_bEUljE0_EEESW_SX_SY_S15_S19_S1B_T6_T7_T9_mT8_S1D_bDpT10_ENKUlT_T0_E_clISt17integral_constantIbLb0EES1R_EEDaS1M_S1N_EUlS1M_E_NS1_11comp_targetILNS1_3genE2ELNS1_11target_archE906ELNS1_3gpuE6ELNS1_3repE0EEENS1_30default_config_static_selectorELNS0_4arch9wavefront6targetE0EEEvSZ_,"axG",@progbits,_ZN7rocprim17ROCPRIM_400000_NS6detail17trampoline_kernelINS0_13select_configILj256ELj13ELNS0_17block_load_methodE3ELS4_3ELS4_3ELNS0_20block_scan_algorithmE0ELj4294967295EEENS1_25partition_config_selectorILNS1_17partition_subalgoE4EjNS0_10empty_typeEbEEZZNS1_14partition_implILS8_4ELb0ES6_15HIP_vector_typeIjLj2EENS0_17counting_iteratorIjlEEPS9_SG_NS0_5tupleIJPjSI_NS0_16reverse_iteratorISI_EEEEENSH_IJSG_SG_SG_EEES9_SI_JZNS1_25segmented_radix_sort_implINS0_14default_configELb1EPKlPlSQ_SR_N2at6native12_GLOBAL__N_18offset_tEEE10hipError_tPvRmT1_PNSt15iterator_traitsISZ_E10value_typeET2_T3_PNS10_IS15_E10value_typeET4_jRbjT5_S1B_jjP12ihipStream_tbEUljE_ZNSN_ISO_Lb1ESQ_SR_SQ_SR_SV_EESW_SX_SY_SZ_S13_S14_S15_S18_S19_jS1A_jS1B_S1B_jjS1D_bEUljE0_EEESW_SX_SY_S15_S19_S1B_T6_T7_T9_mT8_S1D_bDpT10_ENKUlT_T0_E_clISt17integral_constantIbLb0EES1R_EEDaS1M_S1N_EUlS1M_E_NS1_11comp_targetILNS1_3genE2ELNS1_11target_archE906ELNS1_3gpuE6ELNS1_3repE0EEENS1_30default_config_static_selectorELNS0_4arch9wavefront6targetE0EEEvSZ_,comdat
.Lfunc_end640:
	.size	_ZN7rocprim17ROCPRIM_400000_NS6detail17trampoline_kernelINS0_13select_configILj256ELj13ELNS0_17block_load_methodE3ELS4_3ELS4_3ELNS0_20block_scan_algorithmE0ELj4294967295EEENS1_25partition_config_selectorILNS1_17partition_subalgoE4EjNS0_10empty_typeEbEEZZNS1_14partition_implILS8_4ELb0ES6_15HIP_vector_typeIjLj2EENS0_17counting_iteratorIjlEEPS9_SG_NS0_5tupleIJPjSI_NS0_16reverse_iteratorISI_EEEEENSH_IJSG_SG_SG_EEES9_SI_JZNS1_25segmented_radix_sort_implINS0_14default_configELb1EPKlPlSQ_SR_N2at6native12_GLOBAL__N_18offset_tEEE10hipError_tPvRmT1_PNSt15iterator_traitsISZ_E10value_typeET2_T3_PNS10_IS15_E10value_typeET4_jRbjT5_S1B_jjP12ihipStream_tbEUljE_ZNSN_ISO_Lb1ESQ_SR_SQ_SR_SV_EESW_SX_SY_SZ_S13_S14_S15_S18_S19_jS1A_jS1B_S1B_jjS1D_bEUljE0_EEESW_SX_SY_S15_S19_S1B_T6_T7_T9_mT8_S1D_bDpT10_ENKUlT_T0_E_clISt17integral_constantIbLb0EES1R_EEDaS1M_S1N_EUlS1M_E_NS1_11comp_targetILNS1_3genE2ELNS1_11target_archE906ELNS1_3gpuE6ELNS1_3repE0EEENS1_30default_config_static_selectorELNS0_4arch9wavefront6targetE0EEEvSZ_, .Lfunc_end640-_ZN7rocprim17ROCPRIM_400000_NS6detail17trampoline_kernelINS0_13select_configILj256ELj13ELNS0_17block_load_methodE3ELS4_3ELS4_3ELNS0_20block_scan_algorithmE0ELj4294967295EEENS1_25partition_config_selectorILNS1_17partition_subalgoE4EjNS0_10empty_typeEbEEZZNS1_14partition_implILS8_4ELb0ES6_15HIP_vector_typeIjLj2EENS0_17counting_iteratorIjlEEPS9_SG_NS0_5tupleIJPjSI_NS0_16reverse_iteratorISI_EEEEENSH_IJSG_SG_SG_EEES9_SI_JZNS1_25segmented_radix_sort_implINS0_14default_configELb1EPKlPlSQ_SR_N2at6native12_GLOBAL__N_18offset_tEEE10hipError_tPvRmT1_PNSt15iterator_traitsISZ_E10value_typeET2_T3_PNS10_IS15_E10value_typeET4_jRbjT5_S1B_jjP12ihipStream_tbEUljE_ZNSN_ISO_Lb1ESQ_SR_SQ_SR_SV_EESW_SX_SY_SZ_S13_S14_S15_S18_S19_jS1A_jS1B_S1B_jjS1D_bEUljE0_EEESW_SX_SY_S15_S19_S1B_T6_T7_T9_mT8_S1D_bDpT10_ENKUlT_T0_E_clISt17integral_constantIbLb0EES1R_EEDaS1M_S1N_EUlS1M_E_NS1_11comp_targetILNS1_3genE2ELNS1_11target_archE906ELNS1_3gpuE6ELNS1_3repE0EEENS1_30default_config_static_selectorELNS0_4arch9wavefront6targetE0EEEvSZ_
                                        ; -- End function
	.set _ZN7rocprim17ROCPRIM_400000_NS6detail17trampoline_kernelINS0_13select_configILj256ELj13ELNS0_17block_load_methodE3ELS4_3ELS4_3ELNS0_20block_scan_algorithmE0ELj4294967295EEENS1_25partition_config_selectorILNS1_17partition_subalgoE4EjNS0_10empty_typeEbEEZZNS1_14partition_implILS8_4ELb0ES6_15HIP_vector_typeIjLj2EENS0_17counting_iteratorIjlEEPS9_SG_NS0_5tupleIJPjSI_NS0_16reverse_iteratorISI_EEEEENSH_IJSG_SG_SG_EEES9_SI_JZNS1_25segmented_radix_sort_implINS0_14default_configELb1EPKlPlSQ_SR_N2at6native12_GLOBAL__N_18offset_tEEE10hipError_tPvRmT1_PNSt15iterator_traitsISZ_E10value_typeET2_T3_PNS10_IS15_E10value_typeET4_jRbjT5_S1B_jjP12ihipStream_tbEUljE_ZNSN_ISO_Lb1ESQ_SR_SQ_SR_SV_EESW_SX_SY_SZ_S13_S14_S15_S18_S19_jS1A_jS1B_S1B_jjS1D_bEUljE0_EEESW_SX_SY_S15_S19_S1B_T6_T7_T9_mT8_S1D_bDpT10_ENKUlT_T0_E_clISt17integral_constantIbLb0EES1R_EEDaS1M_S1N_EUlS1M_E_NS1_11comp_targetILNS1_3genE2ELNS1_11target_archE906ELNS1_3gpuE6ELNS1_3repE0EEENS1_30default_config_static_selectorELNS0_4arch9wavefront6targetE0EEEvSZ_.num_vgpr, 0
	.set _ZN7rocprim17ROCPRIM_400000_NS6detail17trampoline_kernelINS0_13select_configILj256ELj13ELNS0_17block_load_methodE3ELS4_3ELS4_3ELNS0_20block_scan_algorithmE0ELj4294967295EEENS1_25partition_config_selectorILNS1_17partition_subalgoE4EjNS0_10empty_typeEbEEZZNS1_14partition_implILS8_4ELb0ES6_15HIP_vector_typeIjLj2EENS0_17counting_iteratorIjlEEPS9_SG_NS0_5tupleIJPjSI_NS0_16reverse_iteratorISI_EEEEENSH_IJSG_SG_SG_EEES9_SI_JZNS1_25segmented_radix_sort_implINS0_14default_configELb1EPKlPlSQ_SR_N2at6native12_GLOBAL__N_18offset_tEEE10hipError_tPvRmT1_PNSt15iterator_traitsISZ_E10value_typeET2_T3_PNS10_IS15_E10value_typeET4_jRbjT5_S1B_jjP12ihipStream_tbEUljE_ZNSN_ISO_Lb1ESQ_SR_SQ_SR_SV_EESW_SX_SY_SZ_S13_S14_S15_S18_S19_jS1A_jS1B_S1B_jjS1D_bEUljE0_EEESW_SX_SY_S15_S19_S1B_T6_T7_T9_mT8_S1D_bDpT10_ENKUlT_T0_E_clISt17integral_constantIbLb0EES1R_EEDaS1M_S1N_EUlS1M_E_NS1_11comp_targetILNS1_3genE2ELNS1_11target_archE906ELNS1_3gpuE6ELNS1_3repE0EEENS1_30default_config_static_selectorELNS0_4arch9wavefront6targetE0EEEvSZ_.num_agpr, 0
	.set _ZN7rocprim17ROCPRIM_400000_NS6detail17trampoline_kernelINS0_13select_configILj256ELj13ELNS0_17block_load_methodE3ELS4_3ELS4_3ELNS0_20block_scan_algorithmE0ELj4294967295EEENS1_25partition_config_selectorILNS1_17partition_subalgoE4EjNS0_10empty_typeEbEEZZNS1_14partition_implILS8_4ELb0ES6_15HIP_vector_typeIjLj2EENS0_17counting_iteratorIjlEEPS9_SG_NS0_5tupleIJPjSI_NS0_16reverse_iteratorISI_EEEEENSH_IJSG_SG_SG_EEES9_SI_JZNS1_25segmented_radix_sort_implINS0_14default_configELb1EPKlPlSQ_SR_N2at6native12_GLOBAL__N_18offset_tEEE10hipError_tPvRmT1_PNSt15iterator_traitsISZ_E10value_typeET2_T3_PNS10_IS15_E10value_typeET4_jRbjT5_S1B_jjP12ihipStream_tbEUljE_ZNSN_ISO_Lb1ESQ_SR_SQ_SR_SV_EESW_SX_SY_SZ_S13_S14_S15_S18_S19_jS1A_jS1B_S1B_jjS1D_bEUljE0_EEESW_SX_SY_S15_S19_S1B_T6_T7_T9_mT8_S1D_bDpT10_ENKUlT_T0_E_clISt17integral_constantIbLb0EES1R_EEDaS1M_S1N_EUlS1M_E_NS1_11comp_targetILNS1_3genE2ELNS1_11target_archE906ELNS1_3gpuE6ELNS1_3repE0EEENS1_30default_config_static_selectorELNS0_4arch9wavefront6targetE0EEEvSZ_.numbered_sgpr, 0
	.set _ZN7rocprim17ROCPRIM_400000_NS6detail17trampoline_kernelINS0_13select_configILj256ELj13ELNS0_17block_load_methodE3ELS4_3ELS4_3ELNS0_20block_scan_algorithmE0ELj4294967295EEENS1_25partition_config_selectorILNS1_17partition_subalgoE4EjNS0_10empty_typeEbEEZZNS1_14partition_implILS8_4ELb0ES6_15HIP_vector_typeIjLj2EENS0_17counting_iteratorIjlEEPS9_SG_NS0_5tupleIJPjSI_NS0_16reverse_iteratorISI_EEEEENSH_IJSG_SG_SG_EEES9_SI_JZNS1_25segmented_radix_sort_implINS0_14default_configELb1EPKlPlSQ_SR_N2at6native12_GLOBAL__N_18offset_tEEE10hipError_tPvRmT1_PNSt15iterator_traitsISZ_E10value_typeET2_T3_PNS10_IS15_E10value_typeET4_jRbjT5_S1B_jjP12ihipStream_tbEUljE_ZNSN_ISO_Lb1ESQ_SR_SQ_SR_SV_EESW_SX_SY_SZ_S13_S14_S15_S18_S19_jS1A_jS1B_S1B_jjS1D_bEUljE0_EEESW_SX_SY_S15_S19_S1B_T6_T7_T9_mT8_S1D_bDpT10_ENKUlT_T0_E_clISt17integral_constantIbLb0EES1R_EEDaS1M_S1N_EUlS1M_E_NS1_11comp_targetILNS1_3genE2ELNS1_11target_archE906ELNS1_3gpuE6ELNS1_3repE0EEENS1_30default_config_static_selectorELNS0_4arch9wavefront6targetE0EEEvSZ_.num_named_barrier, 0
	.set _ZN7rocprim17ROCPRIM_400000_NS6detail17trampoline_kernelINS0_13select_configILj256ELj13ELNS0_17block_load_methodE3ELS4_3ELS4_3ELNS0_20block_scan_algorithmE0ELj4294967295EEENS1_25partition_config_selectorILNS1_17partition_subalgoE4EjNS0_10empty_typeEbEEZZNS1_14partition_implILS8_4ELb0ES6_15HIP_vector_typeIjLj2EENS0_17counting_iteratorIjlEEPS9_SG_NS0_5tupleIJPjSI_NS0_16reverse_iteratorISI_EEEEENSH_IJSG_SG_SG_EEES9_SI_JZNS1_25segmented_radix_sort_implINS0_14default_configELb1EPKlPlSQ_SR_N2at6native12_GLOBAL__N_18offset_tEEE10hipError_tPvRmT1_PNSt15iterator_traitsISZ_E10value_typeET2_T3_PNS10_IS15_E10value_typeET4_jRbjT5_S1B_jjP12ihipStream_tbEUljE_ZNSN_ISO_Lb1ESQ_SR_SQ_SR_SV_EESW_SX_SY_SZ_S13_S14_S15_S18_S19_jS1A_jS1B_S1B_jjS1D_bEUljE0_EEESW_SX_SY_S15_S19_S1B_T6_T7_T9_mT8_S1D_bDpT10_ENKUlT_T0_E_clISt17integral_constantIbLb0EES1R_EEDaS1M_S1N_EUlS1M_E_NS1_11comp_targetILNS1_3genE2ELNS1_11target_archE906ELNS1_3gpuE6ELNS1_3repE0EEENS1_30default_config_static_selectorELNS0_4arch9wavefront6targetE0EEEvSZ_.private_seg_size, 0
	.set _ZN7rocprim17ROCPRIM_400000_NS6detail17trampoline_kernelINS0_13select_configILj256ELj13ELNS0_17block_load_methodE3ELS4_3ELS4_3ELNS0_20block_scan_algorithmE0ELj4294967295EEENS1_25partition_config_selectorILNS1_17partition_subalgoE4EjNS0_10empty_typeEbEEZZNS1_14partition_implILS8_4ELb0ES6_15HIP_vector_typeIjLj2EENS0_17counting_iteratorIjlEEPS9_SG_NS0_5tupleIJPjSI_NS0_16reverse_iteratorISI_EEEEENSH_IJSG_SG_SG_EEES9_SI_JZNS1_25segmented_radix_sort_implINS0_14default_configELb1EPKlPlSQ_SR_N2at6native12_GLOBAL__N_18offset_tEEE10hipError_tPvRmT1_PNSt15iterator_traitsISZ_E10value_typeET2_T3_PNS10_IS15_E10value_typeET4_jRbjT5_S1B_jjP12ihipStream_tbEUljE_ZNSN_ISO_Lb1ESQ_SR_SQ_SR_SV_EESW_SX_SY_SZ_S13_S14_S15_S18_S19_jS1A_jS1B_S1B_jjS1D_bEUljE0_EEESW_SX_SY_S15_S19_S1B_T6_T7_T9_mT8_S1D_bDpT10_ENKUlT_T0_E_clISt17integral_constantIbLb0EES1R_EEDaS1M_S1N_EUlS1M_E_NS1_11comp_targetILNS1_3genE2ELNS1_11target_archE906ELNS1_3gpuE6ELNS1_3repE0EEENS1_30default_config_static_selectorELNS0_4arch9wavefront6targetE0EEEvSZ_.uses_vcc, 0
	.set _ZN7rocprim17ROCPRIM_400000_NS6detail17trampoline_kernelINS0_13select_configILj256ELj13ELNS0_17block_load_methodE3ELS4_3ELS4_3ELNS0_20block_scan_algorithmE0ELj4294967295EEENS1_25partition_config_selectorILNS1_17partition_subalgoE4EjNS0_10empty_typeEbEEZZNS1_14partition_implILS8_4ELb0ES6_15HIP_vector_typeIjLj2EENS0_17counting_iteratorIjlEEPS9_SG_NS0_5tupleIJPjSI_NS0_16reverse_iteratorISI_EEEEENSH_IJSG_SG_SG_EEES9_SI_JZNS1_25segmented_radix_sort_implINS0_14default_configELb1EPKlPlSQ_SR_N2at6native12_GLOBAL__N_18offset_tEEE10hipError_tPvRmT1_PNSt15iterator_traitsISZ_E10value_typeET2_T3_PNS10_IS15_E10value_typeET4_jRbjT5_S1B_jjP12ihipStream_tbEUljE_ZNSN_ISO_Lb1ESQ_SR_SQ_SR_SV_EESW_SX_SY_SZ_S13_S14_S15_S18_S19_jS1A_jS1B_S1B_jjS1D_bEUljE0_EEESW_SX_SY_S15_S19_S1B_T6_T7_T9_mT8_S1D_bDpT10_ENKUlT_T0_E_clISt17integral_constantIbLb0EES1R_EEDaS1M_S1N_EUlS1M_E_NS1_11comp_targetILNS1_3genE2ELNS1_11target_archE906ELNS1_3gpuE6ELNS1_3repE0EEENS1_30default_config_static_selectorELNS0_4arch9wavefront6targetE0EEEvSZ_.uses_flat_scratch, 0
	.set _ZN7rocprim17ROCPRIM_400000_NS6detail17trampoline_kernelINS0_13select_configILj256ELj13ELNS0_17block_load_methodE3ELS4_3ELS4_3ELNS0_20block_scan_algorithmE0ELj4294967295EEENS1_25partition_config_selectorILNS1_17partition_subalgoE4EjNS0_10empty_typeEbEEZZNS1_14partition_implILS8_4ELb0ES6_15HIP_vector_typeIjLj2EENS0_17counting_iteratorIjlEEPS9_SG_NS0_5tupleIJPjSI_NS0_16reverse_iteratorISI_EEEEENSH_IJSG_SG_SG_EEES9_SI_JZNS1_25segmented_radix_sort_implINS0_14default_configELb1EPKlPlSQ_SR_N2at6native12_GLOBAL__N_18offset_tEEE10hipError_tPvRmT1_PNSt15iterator_traitsISZ_E10value_typeET2_T3_PNS10_IS15_E10value_typeET4_jRbjT5_S1B_jjP12ihipStream_tbEUljE_ZNSN_ISO_Lb1ESQ_SR_SQ_SR_SV_EESW_SX_SY_SZ_S13_S14_S15_S18_S19_jS1A_jS1B_S1B_jjS1D_bEUljE0_EEESW_SX_SY_S15_S19_S1B_T6_T7_T9_mT8_S1D_bDpT10_ENKUlT_T0_E_clISt17integral_constantIbLb0EES1R_EEDaS1M_S1N_EUlS1M_E_NS1_11comp_targetILNS1_3genE2ELNS1_11target_archE906ELNS1_3gpuE6ELNS1_3repE0EEENS1_30default_config_static_selectorELNS0_4arch9wavefront6targetE0EEEvSZ_.has_dyn_sized_stack, 0
	.set _ZN7rocprim17ROCPRIM_400000_NS6detail17trampoline_kernelINS0_13select_configILj256ELj13ELNS0_17block_load_methodE3ELS4_3ELS4_3ELNS0_20block_scan_algorithmE0ELj4294967295EEENS1_25partition_config_selectorILNS1_17partition_subalgoE4EjNS0_10empty_typeEbEEZZNS1_14partition_implILS8_4ELb0ES6_15HIP_vector_typeIjLj2EENS0_17counting_iteratorIjlEEPS9_SG_NS0_5tupleIJPjSI_NS0_16reverse_iteratorISI_EEEEENSH_IJSG_SG_SG_EEES9_SI_JZNS1_25segmented_radix_sort_implINS0_14default_configELb1EPKlPlSQ_SR_N2at6native12_GLOBAL__N_18offset_tEEE10hipError_tPvRmT1_PNSt15iterator_traitsISZ_E10value_typeET2_T3_PNS10_IS15_E10value_typeET4_jRbjT5_S1B_jjP12ihipStream_tbEUljE_ZNSN_ISO_Lb1ESQ_SR_SQ_SR_SV_EESW_SX_SY_SZ_S13_S14_S15_S18_S19_jS1A_jS1B_S1B_jjS1D_bEUljE0_EEESW_SX_SY_S15_S19_S1B_T6_T7_T9_mT8_S1D_bDpT10_ENKUlT_T0_E_clISt17integral_constantIbLb0EES1R_EEDaS1M_S1N_EUlS1M_E_NS1_11comp_targetILNS1_3genE2ELNS1_11target_archE906ELNS1_3gpuE6ELNS1_3repE0EEENS1_30default_config_static_selectorELNS0_4arch9wavefront6targetE0EEEvSZ_.has_recursion, 0
	.set _ZN7rocprim17ROCPRIM_400000_NS6detail17trampoline_kernelINS0_13select_configILj256ELj13ELNS0_17block_load_methodE3ELS4_3ELS4_3ELNS0_20block_scan_algorithmE0ELj4294967295EEENS1_25partition_config_selectorILNS1_17partition_subalgoE4EjNS0_10empty_typeEbEEZZNS1_14partition_implILS8_4ELb0ES6_15HIP_vector_typeIjLj2EENS0_17counting_iteratorIjlEEPS9_SG_NS0_5tupleIJPjSI_NS0_16reverse_iteratorISI_EEEEENSH_IJSG_SG_SG_EEES9_SI_JZNS1_25segmented_radix_sort_implINS0_14default_configELb1EPKlPlSQ_SR_N2at6native12_GLOBAL__N_18offset_tEEE10hipError_tPvRmT1_PNSt15iterator_traitsISZ_E10value_typeET2_T3_PNS10_IS15_E10value_typeET4_jRbjT5_S1B_jjP12ihipStream_tbEUljE_ZNSN_ISO_Lb1ESQ_SR_SQ_SR_SV_EESW_SX_SY_SZ_S13_S14_S15_S18_S19_jS1A_jS1B_S1B_jjS1D_bEUljE0_EEESW_SX_SY_S15_S19_S1B_T6_T7_T9_mT8_S1D_bDpT10_ENKUlT_T0_E_clISt17integral_constantIbLb0EES1R_EEDaS1M_S1N_EUlS1M_E_NS1_11comp_targetILNS1_3genE2ELNS1_11target_archE906ELNS1_3gpuE6ELNS1_3repE0EEENS1_30default_config_static_selectorELNS0_4arch9wavefront6targetE0EEEvSZ_.has_indirect_call, 0
	.section	.AMDGPU.csdata,"",@progbits
; Kernel info:
; codeLenInByte = 0
; TotalNumSgprs: 0
; NumVgprs: 0
; ScratchSize: 0
; MemoryBound: 0
; FloatMode: 240
; IeeeMode: 1
; LDSByteSize: 0 bytes/workgroup (compile time only)
; SGPRBlocks: 0
; VGPRBlocks: 0
; NumSGPRsForWavesPerEU: 1
; NumVGPRsForWavesPerEU: 1
; NamedBarCnt: 0
; Occupancy: 16
; WaveLimiterHint : 0
; COMPUTE_PGM_RSRC2:SCRATCH_EN: 0
; COMPUTE_PGM_RSRC2:USER_SGPR: 2
; COMPUTE_PGM_RSRC2:TRAP_HANDLER: 0
; COMPUTE_PGM_RSRC2:TGID_X_EN: 1
; COMPUTE_PGM_RSRC2:TGID_Y_EN: 0
; COMPUTE_PGM_RSRC2:TGID_Z_EN: 0
; COMPUTE_PGM_RSRC2:TIDIG_COMP_CNT: 0
	.section	.text._ZN7rocprim17ROCPRIM_400000_NS6detail17trampoline_kernelINS0_13select_configILj256ELj13ELNS0_17block_load_methodE3ELS4_3ELS4_3ELNS0_20block_scan_algorithmE0ELj4294967295EEENS1_25partition_config_selectorILNS1_17partition_subalgoE4EjNS0_10empty_typeEbEEZZNS1_14partition_implILS8_4ELb0ES6_15HIP_vector_typeIjLj2EENS0_17counting_iteratorIjlEEPS9_SG_NS0_5tupleIJPjSI_NS0_16reverse_iteratorISI_EEEEENSH_IJSG_SG_SG_EEES9_SI_JZNS1_25segmented_radix_sort_implINS0_14default_configELb1EPKlPlSQ_SR_N2at6native12_GLOBAL__N_18offset_tEEE10hipError_tPvRmT1_PNSt15iterator_traitsISZ_E10value_typeET2_T3_PNS10_IS15_E10value_typeET4_jRbjT5_S1B_jjP12ihipStream_tbEUljE_ZNSN_ISO_Lb1ESQ_SR_SQ_SR_SV_EESW_SX_SY_SZ_S13_S14_S15_S18_S19_jS1A_jS1B_S1B_jjS1D_bEUljE0_EEESW_SX_SY_S15_S19_S1B_T6_T7_T9_mT8_S1D_bDpT10_ENKUlT_T0_E_clISt17integral_constantIbLb0EES1R_EEDaS1M_S1N_EUlS1M_E_NS1_11comp_targetILNS1_3genE10ELNS1_11target_archE1200ELNS1_3gpuE4ELNS1_3repE0EEENS1_30default_config_static_selectorELNS0_4arch9wavefront6targetE0EEEvSZ_,"axG",@progbits,_ZN7rocprim17ROCPRIM_400000_NS6detail17trampoline_kernelINS0_13select_configILj256ELj13ELNS0_17block_load_methodE3ELS4_3ELS4_3ELNS0_20block_scan_algorithmE0ELj4294967295EEENS1_25partition_config_selectorILNS1_17partition_subalgoE4EjNS0_10empty_typeEbEEZZNS1_14partition_implILS8_4ELb0ES6_15HIP_vector_typeIjLj2EENS0_17counting_iteratorIjlEEPS9_SG_NS0_5tupleIJPjSI_NS0_16reverse_iteratorISI_EEEEENSH_IJSG_SG_SG_EEES9_SI_JZNS1_25segmented_radix_sort_implINS0_14default_configELb1EPKlPlSQ_SR_N2at6native12_GLOBAL__N_18offset_tEEE10hipError_tPvRmT1_PNSt15iterator_traitsISZ_E10value_typeET2_T3_PNS10_IS15_E10value_typeET4_jRbjT5_S1B_jjP12ihipStream_tbEUljE_ZNSN_ISO_Lb1ESQ_SR_SQ_SR_SV_EESW_SX_SY_SZ_S13_S14_S15_S18_S19_jS1A_jS1B_S1B_jjS1D_bEUljE0_EEESW_SX_SY_S15_S19_S1B_T6_T7_T9_mT8_S1D_bDpT10_ENKUlT_T0_E_clISt17integral_constantIbLb0EES1R_EEDaS1M_S1N_EUlS1M_E_NS1_11comp_targetILNS1_3genE10ELNS1_11target_archE1200ELNS1_3gpuE4ELNS1_3repE0EEENS1_30default_config_static_selectorELNS0_4arch9wavefront6targetE0EEEvSZ_,comdat
	.globl	_ZN7rocprim17ROCPRIM_400000_NS6detail17trampoline_kernelINS0_13select_configILj256ELj13ELNS0_17block_load_methodE3ELS4_3ELS4_3ELNS0_20block_scan_algorithmE0ELj4294967295EEENS1_25partition_config_selectorILNS1_17partition_subalgoE4EjNS0_10empty_typeEbEEZZNS1_14partition_implILS8_4ELb0ES6_15HIP_vector_typeIjLj2EENS0_17counting_iteratorIjlEEPS9_SG_NS0_5tupleIJPjSI_NS0_16reverse_iteratorISI_EEEEENSH_IJSG_SG_SG_EEES9_SI_JZNS1_25segmented_radix_sort_implINS0_14default_configELb1EPKlPlSQ_SR_N2at6native12_GLOBAL__N_18offset_tEEE10hipError_tPvRmT1_PNSt15iterator_traitsISZ_E10value_typeET2_T3_PNS10_IS15_E10value_typeET4_jRbjT5_S1B_jjP12ihipStream_tbEUljE_ZNSN_ISO_Lb1ESQ_SR_SQ_SR_SV_EESW_SX_SY_SZ_S13_S14_S15_S18_S19_jS1A_jS1B_S1B_jjS1D_bEUljE0_EEESW_SX_SY_S15_S19_S1B_T6_T7_T9_mT8_S1D_bDpT10_ENKUlT_T0_E_clISt17integral_constantIbLb0EES1R_EEDaS1M_S1N_EUlS1M_E_NS1_11comp_targetILNS1_3genE10ELNS1_11target_archE1200ELNS1_3gpuE4ELNS1_3repE0EEENS1_30default_config_static_selectorELNS0_4arch9wavefront6targetE0EEEvSZ_ ; -- Begin function _ZN7rocprim17ROCPRIM_400000_NS6detail17trampoline_kernelINS0_13select_configILj256ELj13ELNS0_17block_load_methodE3ELS4_3ELS4_3ELNS0_20block_scan_algorithmE0ELj4294967295EEENS1_25partition_config_selectorILNS1_17partition_subalgoE4EjNS0_10empty_typeEbEEZZNS1_14partition_implILS8_4ELb0ES6_15HIP_vector_typeIjLj2EENS0_17counting_iteratorIjlEEPS9_SG_NS0_5tupleIJPjSI_NS0_16reverse_iteratorISI_EEEEENSH_IJSG_SG_SG_EEES9_SI_JZNS1_25segmented_radix_sort_implINS0_14default_configELb1EPKlPlSQ_SR_N2at6native12_GLOBAL__N_18offset_tEEE10hipError_tPvRmT1_PNSt15iterator_traitsISZ_E10value_typeET2_T3_PNS10_IS15_E10value_typeET4_jRbjT5_S1B_jjP12ihipStream_tbEUljE_ZNSN_ISO_Lb1ESQ_SR_SQ_SR_SV_EESW_SX_SY_SZ_S13_S14_S15_S18_S19_jS1A_jS1B_S1B_jjS1D_bEUljE0_EEESW_SX_SY_S15_S19_S1B_T6_T7_T9_mT8_S1D_bDpT10_ENKUlT_T0_E_clISt17integral_constantIbLb0EES1R_EEDaS1M_S1N_EUlS1M_E_NS1_11comp_targetILNS1_3genE10ELNS1_11target_archE1200ELNS1_3gpuE4ELNS1_3repE0EEENS1_30default_config_static_selectorELNS0_4arch9wavefront6targetE0EEEvSZ_
	.p2align	8
	.type	_ZN7rocprim17ROCPRIM_400000_NS6detail17trampoline_kernelINS0_13select_configILj256ELj13ELNS0_17block_load_methodE3ELS4_3ELS4_3ELNS0_20block_scan_algorithmE0ELj4294967295EEENS1_25partition_config_selectorILNS1_17partition_subalgoE4EjNS0_10empty_typeEbEEZZNS1_14partition_implILS8_4ELb0ES6_15HIP_vector_typeIjLj2EENS0_17counting_iteratorIjlEEPS9_SG_NS0_5tupleIJPjSI_NS0_16reverse_iteratorISI_EEEEENSH_IJSG_SG_SG_EEES9_SI_JZNS1_25segmented_radix_sort_implINS0_14default_configELb1EPKlPlSQ_SR_N2at6native12_GLOBAL__N_18offset_tEEE10hipError_tPvRmT1_PNSt15iterator_traitsISZ_E10value_typeET2_T3_PNS10_IS15_E10value_typeET4_jRbjT5_S1B_jjP12ihipStream_tbEUljE_ZNSN_ISO_Lb1ESQ_SR_SQ_SR_SV_EESW_SX_SY_SZ_S13_S14_S15_S18_S19_jS1A_jS1B_S1B_jjS1D_bEUljE0_EEESW_SX_SY_S15_S19_S1B_T6_T7_T9_mT8_S1D_bDpT10_ENKUlT_T0_E_clISt17integral_constantIbLb0EES1R_EEDaS1M_S1N_EUlS1M_E_NS1_11comp_targetILNS1_3genE10ELNS1_11target_archE1200ELNS1_3gpuE4ELNS1_3repE0EEENS1_30default_config_static_selectorELNS0_4arch9wavefront6targetE0EEEvSZ_,@function
_ZN7rocprim17ROCPRIM_400000_NS6detail17trampoline_kernelINS0_13select_configILj256ELj13ELNS0_17block_load_methodE3ELS4_3ELS4_3ELNS0_20block_scan_algorithmE0ELj4294967295EEENS1_25partition_config_selectorILNS1_17partition_subalgoE4EjNS0_10empty_typeEbEEZZNS1_14partition_implILS8_4ELb0ES6_15HIP_vector_typeIjLj2EENS0_17counting_iteratorIjlEEPS9_SG_NS0_5tupleIJPjSI_NS0_16reverse_iteratorISI_EEEEENSH_IJSG_SG_SG_EEES9_SI_JZNS1_25segmented_radix_sort_implINS0_14default_configELb1EPKlPlSQ_SR_N2at6native12_GLOBAL__N_18offset_tEEE10hipError_tPvRmT1_PNSt15iterator_traitsISZ_E10value_typeET2_T3_PNS10_IS15_E10value_typeET4_jRbjT5_S1B_jjP12ihipStream_tbEUljE_ZNSN_ISO_Lb1ESQ_SR_SQ_SR_SV_EESW_SX_SY_SZ_S13_S14_S15_S18_S19_jS1A_jS1B_S1B_jjS1D_bEUljE0_EEESW_SX_SY_S15_S19_S1B_T6_T7_T9_mT8_S1D_bDpT10_ENKUlT_T0_E_clISt17integral_constantIbLb0EES1R_EEDaS1M_S1N_EUlS1M_E_NS1_11comp_targetILNS1_3genE10ELNS1_11target_archE1200ELNS1_3gpuE4ELNS1_3repE0EEENS1_30default_config_static_selectorELNS0_4arch9wavefront6targetE0EEEvSZ_: ; @_ZN7rocprim17ROCPRIM_400000_NS6detail17trampoline_kernelINS0_13select_configILj256ELj13ELNS0_17block_load_methodE3ELS4_3ELS4_3ELNS0_20block_scan_algorithmE0ELj4294967295EEENS1_25partition_config_selectorILNS1_17partition_subalgoE4EjNS0_10empty_typeEbEEZZNS1_14partition_implILS8_4ELb0ES6_15HIP_vector_typeIjLj2EENS0_17counting_iteratorIjlEEPS9_SG_NS0_5tupleIJPjSI_NS0_16reverse_iteratorISI_EEEEENSH_IJSG_SG_SG_EEES9_SI_JZNS1_25segmented_radix_sort_implINS0_14default_configELb1EPKlPlSQ_SR_N2at6native12_GLOBAL__N_18offset_tEEE10hipError_tPvRmT1_PNSt15iterator_traitsISZ_E10value_typeET2_T3_PNS10_IS15_E10value_typeET4_jRbjT5_S1B_jjP12ihipStream_tbEUljE_ZNSN_ISO_Lb1ESQ_SR_SQ_SR_SV_EESW_SX_SY_SZ_S13_S14_S15_S18_S19_jS1A_jS1B_S1B_jjS1D_bEUljE0_EEESW_SX_SY_S15_S19_S1B_T6_T7_T9_mT8_S1D_bDpT10_ENKUlT_T0_E_clISt17integral_constantIbLb0EES1R_EEDaS1M_S1N_EUlS1M_E_NS1_11comp_targetILNS1_3genE10ELNS1_11target_archE1200ELNS1_3gpuE4ELNS1_3repE0EEENS1_30default_config_static_selectorELNS0_4arch9wavefront6targetE0EEEvSZ_
; %bb.0:
	.section	.rodata,"a",@progbits
	.p2align	6, 0x0
	.amdhsa_kernel _ZN7rocprim17ROCPRIM_400000_NS6detail17trampoline_kernelINS0_13select_configILj256ELj13ELNS0_17block_load_methodE3ELS4_3ELS4_3ELNS0_20block_scan_algorithmE0ELj4294967295EEENS1_25partition_config_selectorILNS1_17partition_subalgoE4EjNS0_10empty_typeEbEEZZNS1_14partition_implILS8_4ELb0ES6_15HIP_vector_typeIjLj2EENS0_17counting_iteratorIjlEEPS9_SG_NS0_5tupleIJPjSI_NS0_16reverse_iteratorISI_EEEEENSH_IJSG_SG_SG_EEES9_SI_JZNS1_25segmented_radix_sort_implINS0_14default_configELb1EPKlPlSQ_SR_N2at6native12_GLOBAL__N_18offset_tEEE10hipError_tPvRmT1_PNSt15iterator_traitsISZ_E10value_typeET2_T3_PNS10_IS15_E10value_typeET4_jRbjT5_S1B_jjP12ihipStream_tbEUljE_ZNSN_ISO_Lb1ESQ_SR_SQ_SR_SV_EESW_SX_SY_SZ_S13_S14_S15_S18_S19_jS1A_jS1B_S1B_jjS1D_bEUljE0_EEESW_SX_SY_S15_S19_S1B_T6_T7_T9_mT8_S1D_bDpT10_ENKUlT_T0_E_clISt17integral_constantIbLb0EES1R_EEDaS1M_S1N_EUlS1M_E_NS1_11comp_targetILNS1_3genE10ELNS1_11target_archE1200ELNS1_3gpuE4ELNS1_3repE0EEENS1_30default_config_static_selectorELNS0_4arch9wavefront6targetE0EEEvSZ_
		.amdhsa_group_segment_fixed_size 0
		.amdhsa_private_segment_fixed_size 0
		.amdhsa_kernarg_size 176
		.amdhsa_user_sgpr_count 2
		.amdhsa_user_sgpr_dispatch_ptr 0
		.amdhsa_user_sgpr_queue_ptr 0
		.amdhsa_user_sgpr_kernarg_segment_ptr 1
		.amdhsa_user_sgpr_dispatch_id 0
		.amdhsa_user_sgpr_kernarg_preload_length 0
		.amdhsa_user_sgpr_kernarg_preload_offset 0
		.amdhsa_user_sgpr_private_segment_size 0
		.amdhsa_wavefront_size32 1
		.amdhsa_uses_dynamic_stack 0
		.amdhsa_enable_private_segment 0
		.amdhsa_system_sgpr_workgroup_id_x 1
		.amdhsa_system_sgpr_workgroup_id_y 0
		.amdhsa_system_sgpr_workgroup_id_z 0
		.amdhsa_system_sgpr_workgroup_info 0
		.amdhsa_system_vgpr_workitem_id 0
		.amdhsa_next_free_vgpr 1
		.amdhsa_next_free_sgpr 1
		.amdhsa_named_barrier_count 0
		.amdhsa_reserve_vcc 0
		.amdhsa_float_round_mode_32 0
		.amdhsa_float_round_mode_16_64 0
		.amdhsa_float_denorm_mode_32 3
		.amdhsa_float_denorm_mode_16_64 3
		.amdhsa_fp16_overflow 0
		.amdhsa_memory_ordered 1
		.amdhsa_forward_progress 1
		.amdhsa_inst_pref_size 0
		.amdhsa_round_robin_scheduling 0
		.amdhsa_exception_fp_ieee_invalid_op 0
		.amdhsa_exception_fp_denorm_src 0
		.amdhsa_exception_fp_ieee_div_zero 0
		.amdhsa_exception_fp_ieee_overflow 0
		.amdhsa_exception_fp_ieee_underflow 0
		.amdhsa_exception_fp_ieee_inexact 0
		.amdhsa_exception_int_div_zero 0
	.end_amdhsa_kernel
	.section	.text._ZN7rocprim17ROCPRIM_400000_NS6detail17trampoline_kernelINS0_13select_configILj256ELj13ELNS0_17block_load_methodE3ELS4_3ELS4_3ELNS0_20block_scan_algorithmE0ELj4294967295EEENS1_25partition_config_selectorILNS1_17partition_subalgoE4EjNS0_10empty_typeEbEEZZNS1_14partition_implILS8_4ELb0ES6_15HIP_vector_typeIjLj2EENS0_17counting_iteratorIjlEEPS9_SG_NS0_5tupleIJPjSI_NS0_16reverse_iteratorISI_EEEEENSH_IJSG_SG_SG_EEES9_SI_JZNS1_25segmented_radix_sort_implINS0_14default_configELb1EPKlPlSQ_SR_N2at6native12_GLOBAL__N_18offset_tEEE10hipError_tPvRmT1_PNSt15iterator_traitsISZ_E10value_typeET2_T3_PNS10_IS15_E10value_typeET4_jRbjT5_S1B_jjP12ihipStream_tbEUljE_ZNSN_ISO_Lb1ESQ_SR_SQ_SR_SV_EESW_SX_SY_SZ_S13_S14_S15_S18_S19_jS1A_jS1B_S1B_jjS1D_bEUljE0_EEESW_SX_SY_S15_S19_S1B_T6_T7_T9_mT8_S1D_bDpT10_ENKUlT_T0_E_clISt17integral_constantIbLb0EES1R_EEDaS1M_S1N_EUlS1M_E_NS1_11comp_targetILNS1_3genE10ELNS1_11target_archE1200ELNS1_3gpuE4ELNS1_3repE0EEENS1_30default_config_static_selectorELNS0_4arch9wavefront6targetE0EEEvSZ_,"axG",@progbits,_ZN7rocprim17ROCPRIM_400000_NS6detail17trampoline_kernelINS0_13select_configILj256ELj13ELNS0_17block_load_methodE3ELS4_3ELS4_3ELNS0_20block_scan_algorithmE0ELj4294967295EEENS1_25partition_config_selectorILNS1_17partition_subalgoE4EjNS0_10empty_typeEbEEZZNS1_14partition_implILS8_4ELb0ES6_15HIP_vector_typeIjLj2EENS0_17counting_iteratorIjlEEPS9_SG_NS0_5tupleIJPjSI_NS0_16reverse_iteratorISI_EEEEENSH_IJSG_SG_SG_EEES9_SI_JZNS1_25segmented_radix_sort_implINS0_14default_configELb1EPKlPlSQ_SR_N2at6native12_GLOBAL__N_18offset_tEEE10hipError_tPvRmT1_PNSt15iterator_traitsISZ_E10value_typeET2_T3_PNS10_IS15_E10value_typeET4_jRbjT5_S1B_jjP12ihipStream_tbEUljE_ZNSN_ISO_Lb1ESQ_SR_SQ_SR_SV_EESW_SX_SY_SZ_S13_S14_S15_S18_S19_jS1A_jS1B_S1B_jjS1D_bEUljE0_EEESW_SX_SY_S15_S19_S1B_T6_T7_T9_mT8_S1D_bDpT10_ENKUlT_T0_E_clISt17integral_constantIbLb0EES1R_EEDaS1M_S1N_EUlS1M_E_NS1_11comp_targetILNS1_3genE10ELNS1_11target_archE1200ELNS1_3gpuE4ELNS1_3repE0EEENS1_30default_config_static_selectorELNS0_4arch9wavefront6targetE0EEEvSZ_,comdat
.Lfunc_end641:
	.size	_ZN7rocprim17ROCPRIM_400000_NS6detail17trampoline_kernelINS0_13select_configILj256ELj13ELNS0_17block_load_methodE3ELS4_3ELS4_3ELNS0_20block_scan_algorithmE0ELj4294967295EEENS1_25partition_config_selectorILNS1_17partition_subalgoE4EjNS0_10empty_typeEbEEZZNS1_14partition_implILS8_4ELb0ES6_15HIP_vector_typeIjLj2EENS0_17counting_iteratorIjlEEPS9_SG_NS0_5tupleIJPjSI_NS0_16reverse_iteratorISI_EEEEENSH_IJSG_SG_SG_EEES9_SI_JZNS1_25segmented_radix_sort_implINS0_14default_configELb1EPKlPlSQ_SR_N2at6native12_GLOBAL__N_18offset_tEEE10hipError_tPvRmT1_PNSt15iterator_traitsISZ_E10value_typeET2_T3_PNS10_IS15_E10value_typeET4_jRbjT5_S1B_jjP12ihipStream_tbEUljE_ZNSN_ISO_Lb1ESQ_SR_SQ_SR_SV_EESW_SX_SY_SZ_S13_S14_S15_S18_S19_jS1A_jS1B_S1B_jjS1D_bEUljE0_EEESW_SX_SY_S15_S19_S1B_T6_T7_T9_mT8_S1D_bDpT10_ENKUlT_T0_E_clISt17integral_constantIbLb0EES1R_EEDaS1M_S1N_EUlS1M_E_NS1_11comp_targetILNS1_3genE10ELNS1_11target_archE1200ELNS1_3gpuE4ELNS1_3repE0EEENS1_30default_config_static_selectorELNS0_4arch9wavefront6targetE0EEEvSZ_, .Lfunc_end641-_ZN7rocprim17ROCPRIM_400000_NS6detail17trampoline_kernelINS0_13select_configILj256ELj13ELNS0_17block_load_methodE3ELS4_3ELS4_3ELNS0_20block_scan_algorithmE0ELj4294967295EEENS1_25partition_config_selectorILNS1_17partition_subalgoE4EjNS0_10empty_typeEbEEZZNS1_14partition_implILS8_4ELb0ES6_15HIP_vector_typeIjLj2EENS0_17counting_iteratorIjlEEPS9_SG_NS0_5tupleIJPjSI_NS0_16reverse_iteratorISI_EEEEENSH_IJSG_SG_SG_EEES9_SI_JZNS1_25segmented_radix_sort_implINS0_14default_configELb1EPKlPlSQ_SR_N2at6native12_GLOBAL__N_18offset_tEEE10hipError_tPvRmT1_PNSt15iterator_traitsISZ_E10value_typeET2_T3_PNS10_IS15_E10value_typeET4_jRbjT5_S1B_jjP12ihipStream_tbEUljE_ZNSN_ISO_Lb1ESQ_SR_SQ_SR_SV_EESW_SX_SY_SZ_S13_S14_S15_S18_S19_jS1A_jS1B_S1B_jjS1D_bEUljE0_EEESW_SX_SY_S15_S19_S1B_T6_T7_T9_mT8_S1D_bDpT10_ENKUlT_T0_E_clISt17integral_constantIbLb0EES1R_EEDaS1M_S1N_EUlS1M_E_NS1_11comp_targetILNS1_3genE10ELNS1_11target_archE1200ELNS1_3gpuE4ELNS1_3repE0EEENS1_30default_config_static_selectorELNS0_4arch9wavefront6targetE0EEEvSZ_
                                        ; -- End function
	.set _ZN7rocprim17ROCPRIM_400000_NS6detail17trampoline_kernelINS0_13select_configILj256ELj13ELNS0_17block_load_methodE3ELS4_3ELS4_3ELNS0_20block_scan_algorithmE0ELj4294967295EEENS1_25partition_config_selectorILNS1_17partition_subalgoE4EjNS0_10empty_typeEbEEZZNS1_14partition_implILS8_4ELb0ES6_15HIP_vector_typeIjLj2EENS0_17counting_iteratorIjlEEPS9_SG_NS0_5tupleIJPjSI_NS0_16reverse_iteratorISI_EEEEENSH_IJSG_SG_SG_EEES9_SI_JZNS1_25segmented_radix_sort_implINS0_14default_configELb1EPKlPlSQ_SR_N2at6native12_GLOBAL__N_18offset_tEEE10hipError_tPvRmT1_PNSt15iterator_traitsISZ_E10value_typeET2_T3_PNS10_IS15_E10value_typeET4_jRbjT5_S1B_jjP12ihipStream_tbEUljE_ZNSN_ISO_Lb1ESQ_SR_SQ_SR_SV_EESW_SX_SY_SZ_S13_S14_S15_S18_S19_jS1A_jS1B_S1B_jjS1D_bEUljE0_EEESW_SX_SY_S15_S19_S1B_T6_T7_T9_mT8_S1D_bDpT10_ENKUlT_T0_E_clISt17integral_constantIbLb0EES1R_EEDaS1M_S1N_EUlS1M_E_NS1_11comp_targetILNS1_3genE10ELNS1_11target_archE1200ELNS1_3gpuE4ELNS1_3repE0EEENS1_30default_config_static_selectorELNS0_4arch9wavefront6targetE0EEEvSZ_.num_vgpr, 0
	.set _ZN7rocprim17ROCPRIM_400000_NS6detail17trampoline_kernelINS0_13select_configILj256ELj13ELNS0_17block_load_methodE3ELS4_3ELS4_3ELNS0_20block_scan_algorithmE0ELj4294967295EEENS1_25partition_config_selectorILNS1_17partition_subalgoE4EjNS0_10empty_typeEbEEZZNS1_14partition_implILS8_4ELb0ES6_15HIP_vector_typeIjLj2EENS0_17counting_iteratorIjlEEPS9_SG_NS0_5tupleIJPjSI_NS0_16reverse_iteratorISI_EEEEENSH_IJSG_SG_SG_EEES9_SI_JZNS1_25segmented_radix_sort_implINS0_14default_configELb1EPKlPlSQ_SR_N2at6native12_GLOBAL__N_18offset_tEEE10hipError_tPvRmT1_PNSt15iterator_traitsISZ_E10value_typeET2_T3_PNS10_IS15_E10value_typeET4_jRbjT5_S1B_jjP12ihipStream_tbEUljE_ZNSN_ISO_Lb1ESQ_SR_SQ_SR_SV_EESW_SX_SY_SZ_S13_S14_S15_S18_S19_jS1A_jS1B_S1B_jjS1D_bEUljE0_EEESW_SX_SY_S15_S19_S1B_T6_T7_T9_mT8_S1D_bDpT10_ENKUlT_T0_E_clISt17integral_constantIbLb0EES1R_EEDaS1M_S1N_EUlS1M_E_NS1_11comp_targetILNS1_3genE10ELNS1_11target_archE1200ELNS1_3gpuE4ELNS1_3repE0EEENS1_30default_config_static_selectorELNS0_4arch9wavefront6targetE0EEEvSZ_.num_agpr, 0
	.set _ZN7rocprim17ROCPRIM_400000_NS6detail17trampoline_kernelINS0_13select_configILj256ELj13ELNS0_17block_load_methodE3ELS4_3ELS4_3ELNS0_20block_scan_algorithmE0ELj4294967295EEENS1_25partition_config_selectorILNS1_17partition_subalgoE4EjNS0_10empty_typeEbEEZZNS1_14partition_implILS8_4ELb0ES6_15HIP_vector_typeIjLj2EENS0_17counting_iteratorIjlEEPS9_SG_NS0_5tupleIJPjSI_NS0_16reverse_iteratorISI_EEEEENSH_IJSG_SG_SG_EEES9_SI_JZNS1_25segmented_radix_sort_implINS0_14default_configELb1EPKlPlSQ_SR_N2at6native12_GLOBAL__N_18offset_tEEE10hipError_tPvRmT1_PNSt15iterator_traitsISZ_E10value_typeET2_T3_PNS10_IS15_E10value_typeET4_jRbjT5_S1B_jjP12ihipStream_tbEUljE_ZNSN_ISO_Lb1ESQ_SR_SQ_SR_SV_EESW_SX_SY_SZ_S13_S14_S15_S18_S19_jS1A_jS1B_S1B_jjS1D_bEUljE0_EEESW_SX_SY_S15_S19_S1B_T6_T7_T9_mT8_S1D_bDpT10_ENKUlT_T0_E_clISt17integral_constantIbLb0EES1R_EEDaS1M_S1N_EUlS1M_E_NS1_11comp_targetILNS1_3genE10ELNS1_11target_archE1200ELNS1_3gpuE4ELNS1_3repE0EEENS1_30default_config_static_selectorELNS0_4arch9wavefront6targetE0EEEvSZ_.numbered_sgpr, 0
	.set _ZN7rocprim17ROCPRIM_400000_NS6detail17trampoline_kernelINS0_13select_configILj256ELj13ELNS0_17block_load_methodE3ELS4_3ELS4_3ELNS0_20block_scan_algorithmE0ELj4294967295EEENS1_25partition_config_selectorILNS1_17partition_subalgoE4EjNS0_10empty_typeEbEEZZNS1_14partition_implILS8_4ELb0ES6_15HIP_vector_typeIjLj2EENS0_17counting_iteratorIjlEEPS9_SG_NS0_5tupleIJPjSI_NS0_16reverse_iteratorISI_EEEEENSH_IJSG_SG_SG_EEES9_SI_JZNS1_25segmented_radix_sort_implINS0_14default_configELb1EPKlPlSQ_SR_N2at6native12_GLOBAL__N_18offset_tEEE10hipError_tPvRmT1_PNSt15iterator_traitsISZ_E10value_typeET2_T3_PNS10_IS15_E10value_typeET4_jRbjT5_S1B_jjP12ihipStream_tbEUljE_ZNSN_ISO_Lb1ESQ_SR_SQ_SR_SV_EESW_SX_SY_SZ_S13_S14_S15_S18_S19_jS1A_jS1B_S1B_jjS1D_bEUljE0_EEESW_SX_SY_S15_S19_S1B_T6_T7_T9_mT8_S1D_bDpT10_ENKUlT_T0_E_clISt17integral_constantIbLb0EES1R_EEDaS1M_S1N_EUlS1M_E_NS1_11comp_targetILNS1_3genE10ELNS1_11target_archE1200ELNS1_3gpuE4ELNS1_3repE0EEENS1_30default_config_static_selectorELNS0_4arch9wavefront6targetE0EEEvSZ_.num_named_barrier, 0
	.set _ZN7rocprim17ROCPRIM_400000_NS6detail17trampoline_kernelINS0_13select_configILj256ELj13ELNS0_17block_load_methodE3ELS4_3ELS4_3ELNS0_20block_scan_algorithmE0ELj4294967295EEENS1_25partition_config_selectorILNS1_17partition_subalgoE4EjNS0_10empty_typeEbEEZZNS1_14partition_implILS8_4ELb0ES6_15HIP_vector_typeIjLj2EENS0_17counting_iteratorIjlEEPS9_SG_NS0_5tupleIJPjSI_NS0_16reverse_iteratorISI_EEEEENSH_IJSG_SG_SG_EEES9_SI_JZNS1_25segmented_radix_sort_implINS0_14default_configELb1EPKlPlSQ_SR_N2at6native12_GLOBAL__N_18offset_tEEE10hipError_tPvRmT1_PNSt15iterator_traitsISZ_E10value_typeET2_T3_PNS10_IS15_E10value_typeET4_jRbjT5_S1B_jjP12ihipStream_tbEUljE_ZNSN_ISO_Lb1ESQ_SR_SQ_SR_SV_EESW_SX_SY_SZ_S13_S14_S15_S18_S19_jS1A_jS1B_S1B_jjS1D_bEUljE0_EEESW_SX_SY_S15_S19_S1B_T6_T7_T9_mT8_S1D_bDpT10_ENKUlT_T0_E_clISt17integral_constantIbLb0EES1R_EEDaS1M_S1N_EUlS1M_E_NS1_11comp_targetILNS1_3genE10ELNS1_11target_archE1200ELNS1_3gpuE4ELNS1_3repE0EEENS1_30default_config_static_selectorELNS0_4arch9wavefront6targetE0EEEvSZ_.private_seg_size, 0
	.set _ZN7rocprim17ROCPRIM_400000_NS6detail17trampoline_kernelINS0_13select_configILj256ELj13ELNS0_17block_load_methodE3ELS4_3ELS4_3ELNS0_20block_scan_algorithmE0ELj4294967295EEENS1_25partition_config_selectorILNS1_17partition_subalgoE4EjNS0_10empty_typeEbEEZZNS1_14partition_implILS8_4ELb0ES6_15HIP_vector_typeIjLj2EENS0_17counting_iteratorIjlEEPS9_SG_NS0_5tupleIJPjSI_NS0_16reverse_iteratorISI_EEEEENSH_IJSG_SG_SG_EEES9_SI_JZNS1_25segmented_radix_sort_implINS0_14default_configELb1EPKlPlSQ_SR_N2at6native12_GLOBAL__N_18offset_tEEE10hipError_tPvRmT1_PNSt15iterator_traitsISZ_E10value_typeET2_T3_PNS10_IS15_E10value_typeET4_jRbjT5_S1B_jjP12ihipStream_tbEUljE_ZNSN_ISO_Lb1ESQ_SR_SQ_SR_SV_EESW_SX_SY_SZ_S13_S14_S15_S18_S19_jS1A_jS1B_S1B_jjS1D_bEUljE0_EEESW_SX_SY_S15_S19_S1B_T6_T7_T9_mT8_S1D_bDpT10_ENKUlT_T0_E_clISt17integral_constantIbLb0EES1R_EEDaS1M_S1N_EUlS1M_E_NS1_11comp_targetILNS1_3genE10ELNS1_11target_archE1200ELNS1_3gpuE4ELNS1_3repE0EEENS1_30default_config_static_selectorELNS0_4arch9wavefront6targetE0EEEvSZ_.uses_vcc, 0
	.set _ZN7rocprim17ROCPRIM_400000_NS6detail17trampoline_kernelINS0_13select_configILj256ELj13ELNS0_17block_load_methodE3ELS4_3ELS4_3ELNS0_20block_scan_algorithmE0ELj4294967295EEENS1_25partition_config_selectorILNS1_17partition_subalgoE4EjNS0_10empty_typeEbEEZZNS1_14partition_implILS8_4ELb0ES6_15HIP_vector_typeIjLj2EENS0_17counting_iteratorIjlEEPS9_SG_NS0_5tupleIJPjSI_NS0_16reverse_iteratorISI_EEEEENSH_IJSG_SG_SG_EEES9_SI_JZNS1_25segmented_radix_sort_implINS0_14default_configELb1EPKlPlSQ_SR_N2at6native12_GLOBAL__N_18offset_tEEE10hipError_tPvRmT1_PNSt15iterator_traitsISZ_E10value_typeET2_T3_PNS10_IS15_E10value_typeET4_jRbjT5_S1B_jjP12ihipStream_tbEUljE_ZNSN_ISO_Lb1ESQ_SR_SQ_SR_SV_EESW_SX_SY_SZ_S13_S14_S15_S18_S19_jS1A_jS1B_S1B_jjS1D_bEUljE0_EEESW_SX_SY_S15_S19_S1B_T6_T7_T9_mT8_S1D_bDpT10_ENKUlT_T0_E_clISt17integral_constantIbLb0EES1R_EEDaS1M_S1N_EUlS1M_E_NS1_11comp_targetILNS1_3genE10ELNS1_11target_archE1200ELNS1_3gpuE4ELNS1_3repE0EEENS1_30default_config_static_selectorELNS0_4arch9wavefront6targetE0EEEvSZ_.uses_flat_scratch, 0
	.set _ZN7rocprim17ROCPRIM_400000_NS6detail17trampoline_kernelINS0_13select_configILj256ELj13ELNS0_17block_load_methodE3ELS4_3ELS4_3ELNS0_20block_scan_algorithmE0ELj4294967295EEENS1_25partition_config_selectorILNS1_17partition_subalgoE4EjNS0_10empty_typeEbEEZZNS1_14partition_implILS8_4ELb0ES6_15HIP_vector_typeIjLj2EENS0_17counting_iteratorIjlEEPS9_SG_NS0_5tupleIJPjSI_NS0_16reverse_iteratorISI_EEEEENSH_IJSG_SG_SG_EEES9_SI_JZNS1_25segmented_radix_sort_implINS0_14default_configELb1EPKlPlSQ_SR_N2at6native12_GLOBAL__N_18offset_tEEE10hipError_tPvRmT1_PNSt15iterator_traitsISZ_E10value_typeET2_T3_PNS10_IS15_E10value_typeET4_jRbjT5_S1B_jjP12ihipStream_tbEUljE_ZNSN_ISO_Lb1ESQ_SR_SQ_SR_SV_EESW_SX_SY_SZ_S13_S14_S15_S18_S19_jS1A_jS1B_S1B_jjS1D_bEUljE0_EEESW_SX_SY_S15_S19_S1B_T6_T7_T9_mT8_S1D_bDpT10_ENKUlT_T0_E_clISt17integral_constantIbLb0EES1R_EEDaS1M_S1N_EUlS1M_E_NS1_11comp_targetILNS1_3genE10ELNS1_11target_archE1200ELNS1_3gpuE4ELNS1_3repE0EEENS1_30default_config_static_selectorELNS0_4arch9wavefront6targetE0EEEvSZ_.has_dyn_sized_stack, 0
	.set _ZN7rocprim17ROCPRIM_400000_NS6detail17trampoline_kernelINS0_13select_configILj256ELj13ELNS0_17block_load_methodE3ELS4_3ELS4_3ELNS0_20block_scan_algorithmE0ELj4294967295EEENS1_25partition_config_selectorILNS1_17partition_subalgoE4EjNS0_10empty_typeEbEEZZNS1_14partition_implILS8_4ELb0ES6_15HIP_vector_typeIjLj2EENS0_17counting_iteratorIjlEEPS9_SG_NS0_5tupleIJPjSI_NS0_16reverse_iteratorISI_EEEEENSH_IJSG_SG_SG_EEES9_SI_JZNS1_25segmented_radix_sort_implINS0_14default_configELb1EPKlPlSQ_SR_N2at6native12_GLOBAL__N_18offset_tEEE10hipError_tPvRmT1_PNSt15iterator_traitsISZ_E10value_typeET2_T3_PNS10_IS15_E10value_typeET4_jRbjT5_S1B_jjP12ihipStream_tbEUljE_ZNSN_ISO_Lb1ESQ_SR_SQ_SR_SV_EESW_SX_SY_SZ_S13_S14_S15_S18_S19_jS1A_jS1B_S1B_jjS1D_bEUljE0_EEESW_SX_SY_S15_S19_S1B_T6_T7_T9_mT8_S1D_bDpT10_ENKUlT_T0_E_clISt17integral_constantIbLb0EES1R_EEDaS1M_S1N_EUlS1M_E_NS1_11comp_targetILNS1_3genE10ELNS1_11target_archE1200ELNS1_3gpuE4ELNS1_3repE0EEENS1_30default_config_static_selectorELNS0_4arch9wavefront6targetE0EEEvSZ_.has_recursion, 0
	.set _ZN7rocprim17ROCPRIM_400000_NS6detail17trampoline_kernelINS0_13select_configILj256ELj13ELNS0_17block_load_methodE3ELS4_3ELS4_3ELNS0_20block_scan_algorithmE0ELj4294967295EEENS1_25partition_config_selectorILNS1_17partition_subalgoE4EjNS0_10empty_typeEbEEZZNS1_14partition_implILS8_4ELb0ES6_15HIP_vector_typeIjLj2EENS0_17counting_iteratorIjlEEPS9_SG_NS0_5tupleIJPjSI_NS0_16reverse_iteratorISI_EEEEENSH_IJSG_SG_SG_EEES9_SI_JZNS1_25segmented_radix_sort_implINS0_14default_configELb1EPKlPlSQ_SR_N2at6native12_GLOBAL__N_18offset_tEEE10hipError_tPvRmT1_PNSt15iterator_traitsISZ_E10value_typeET2_T3_PNS10_IS15_E10value_typeET4_jRbjT5_S1B_jjP12ihipStream_tbEUljE_ZNSN_ISO_Lb1ESQ_SR_SQ_SR_SV_EESW_SX_SY_SZ_S13_S14_S15_S18_S19_jS1A_jS1B_S1B_jjS1D_bEUljE0_EEESW_SX_SY_S15_S19_S1B_T6_T7_T9_mT8_S1D_bDpT10_ENKUlT_T0_E_clISt17integral_constantIbLb0EES1R_EEDaS1M_S1N_EUlS1M_E_NS1_11comp_targetILNS1_3genE10ELNS1_11target_archE1200ELNS1_3gpuE4ELNS1_3repE0EEENS1_30default_config_static_selectorELNS0_4arch9wavefront6targetE0EEEvSZ_.has_indirect_call, 0
	.section	.AMDGPU.csdata,"",@progbits
; Kernel info:
; codeLenInByte = 0
; TotalNumSgprs: 0
; NumVgprs: 0
; ScratchSize: 0
; MemoryBound: 0
; FloatMode: 240
; IeeeMode: 1
; LDSByteSize: 0 bytes/workgroup (compile time only)
; SGPRBlocks: 0
; VGPRBlocks: 0
; NumSGPRsForWavesPerEU: 1
; NumVGPRsForWavesPerEU: 1
; NamedBarCnt: 0
; Occupancy: 16
; WaveLimiterHint : 0
; COMPUTE_PGM_RSRC2:SCRATCH_EN: 0
; COMPUTE_PGM_RSRC2:USER_SGPR: 2
; COMPUTE_PGM_RSRC2:TRAP_HANDLER: 0
; COMPUTE_PGM_RSRC2:TGID_X_EN: 1
; COMPUTE_PGM_RSRC2:TGID_Y_EN: 0
; COMPUTE_PGM_RSRC2:TGID_Z_EN: 0
; COMPUTE_PGM_RSRC2:TIDIG_COMP_CNT: 0
	.section	.text._ZN7rocprim17ROCPRIM_400000_NS6detail17trampoline_kernelINS0_13select_configILj256ELj13ELNS0_17block_load_methodE3ELS4_3ELS4_3ELNS0_20block_scan_algorithmE0ELj4294967295EEENS1_25partition_config_selectorILNS1_17partition_subalgoE4EjNS0_10empty_typeEbEEZZNS1_14partition_implILS8_4ELb0ES6_15HIP_vector_typeIjLj2EENS0_17counting_iteratorIjlEEPS9_SG_NS0_5tupleIJPjSI_NS0_16reverse_iteratorISI_EEEEENSH_IJSG_SG_SG_EEES9_SI_JZNS1_25segmented_radix_sort_implINS0_14default_configELb1EPKlPlSQ_SR_N2at6native12_GLOBAL__N_18offset_tEEE10hipError_tPvRmT1_PNSt15iterator_traitsISZ_E10value_typeET2_T3_PNS10_IS15_E10value_typeET4_jRbjT5_S1B_jjP12ihipStream_tbEUljE_ZNSN_ISO_Lb1ESQ_SR_SQ_SR_SV_EESW_SX_SY_SZ_S13_S14_S15_S18_S19_jS1A_jS1B_S1B_jjS1D_bEUljE0_EEESW_SX_SY_S15_S19_S1B_T6_T7_T9_mT8_S1D_bDpT10_ENKUlT_T0_E_clISt17integral_constantIbLb0EES1R_EEDaS1M_S1N_EUlS1M_E_NS1_11comp_targetILNS1_3genE9ELNS1_11target_archE1100ELNS1_3gpuE3ELNS1_3repE0EEENS1_30default_config_static_selectorELNS0_4arch9wavefront6targetE0EEEvSZ_,"axG",@progbits,_ZN7rocprim17ROCPRIM_400000_NS6detail17trampoline_kernelINS0_13select_configILj256ELj13ELNS0_17block_load_methodE3ELS4_3ELS4_3ELNS0_20block_scan_algorithmE0ELj4294967295EEENS1_25partition_config_selectorILNS1_17partition_subalgoE4EjNS0_10empty_typeEbEEZZNS1_14partition_implILS8_4ELb0ES6_15HIP_vector_typeIjLj2EENS0_17counting_iteratorIjlEEPS9_SG_NS0_5tupleIJPjSI_NS0_16reverse_iteratorISI_EEEEENSH_IJSG_SG_SG_EEES9_SI_JZNS1_25segmented_radix_sort_implINS0_14default_configELb1EPKlPlSQ_SR_N2at6native12_GLOBAL__N_18offset_tEEE10hipError_tPvRmT1_PNSt15iterator_traitsISZ_E10value_typeET2_T3_PNS10_IS15_E10value_typeET4_jRbjT5_S1B_jjP12ihipStream_tbEUljE_ZNSN_ISO_Lb1ESQ_SR_SQ_SR_SV_EESW_SX_SY_SZ_S13_S14_S15_S18_S19_jS1A_jS1B_S1B_jjS1D_bEUljE0_EEESW_SX_SY_S15_S19_S1B_T6_T7_T9_mT8_S1D_bDpT10_ENKUlT_T0_E_clISt17integral_constantIbLb0EES1R_EEDaS1M_S1N_EUlS1M_E_NS1_11comp_targetILNS1_3genE9ELNS1_11target_archE1100ELNS1_3gpuE3ELNS1_3repE0EEENS1_30default_config_static_selectorELNS0_4arch9wavefront6targetE0EEEvSZ_,comdat
	.globl	_ZN7rocprim17ROCPRIM_400000_NS6detail17trampoline_kernelINS0_13select_configILj256ELj13ELNS0_17block_load_methodE3ELS4_3ELS4_3ELNS0_20block_scan_algorithmE0ELj4294967295EEENS1_25partition_config_selectorILNS1_17partition_subalgoE4EjNS0_10empty_typeEbEEZZNS1_14partition_implILS8_4ELb0ES6_15HIP_vector_typeIjLj2EENS0_17counting_iteratorIjlEEPS9_SG_NS0_5tupleIJPjSI_NS0_16reverse_iteratorISI_EEEEENSH_IJSG_SG_SG_EEES9_SI_JZNS1_25segmented_radix_sort_implINS0_14default_configELb1EPKlPlSQ_SR_N2at6native12_GLOBAL__N_18offset_tEEE10hipError_tPvRmT1_PNSt15iterator_traitsISZ_E10value_typeET2_T3_PNS10_IS15_E10value_typeET4_jRbjT5_S1B_jjP12ihipStream_tbEUljE_ZNSN_ISO_Lb1ESQ_SR_SQ_SR_SV_EESW_SX_SY_SZ_S13_S14_S15_S18_S19_jS1A_jS1B_S1B_jjS1D_bEUljE0_EEESW_SX_SY_S15_S19_S1B_T6_T7_T9_mT8_S1D_bDpT10_ENKUlT_T0_E_clISt17integral_constantIbLb0EES1R_EEDaS1M_S1N_EUlS1M_E_NS1_11comp_targetILNS1_3genE9ELNS1_11target_archE1100ELNS1_3gpuE3ELNS1_3repE0EEENS1_30default_config_static_selectorELNS0_4arch9wavefront6targetE0EEEvSZ_ ; -- Begin function _ZN7rocprim17ROCPRIM_400000_NS6detail17trampoline_kernelINS0_13select_configILj256ELj13ELNS0_17block_load_methodE3ELS4_3ELS4_3ELNS0_20block_scan_algorithmE0ELj4294967295EEENS1_25partition_config_selectorILNS1_17partition_subalgoE4EjNS0_10empty_typeEbEEZZNS1_14partition_implILS8_4ELb0ES6_15HIP_vector_typeIjLj2EENS0_17counting_iteratorIjlEEPS9_SG_NS0_5tupleIJPjSI_NS0_16reverse_iteratorISI_EEEEENSH_IJSG_SG_SG_EEES9_SI_JZNS1_25segmented_radix_sort_implINS0_14default_configELb1EPKlPlSQ_SR_N2at6native12_GLOBAL__N_18offset_tEEE10hipError_tPvRmT1_PNSt15iterator_traitsISZ_E10value_typeET2_T3_PNS10_IS15_E10value_typeET4_jRbjT5_S1B_jjP12ihipStream_tbEUljE_ZNSN_ISO_Lb1ESQ_SR_SQ_SR_SV_EESW_SX_SY_SZ_S13_S14_S15_S18_S19_jS1A_jS1B_S1B_jjS1D_bEUljE0_EEESW_SX_SY_S15_S19_S1B_T6_T7_T9_mT8_S1D_bDpT10_ENKUlT_T0_E_clISt17integral_constantIbLb0EES1R_EEDaS1M_S1N_EUlS1M_E_NS1_11comp_targetILNS1_3genE9ELNS1_11target_archE1100ELNS1_3gpuE3ELNS1_3repE0EEENS1_30default_config_static_selectorELNS0_4arch9wavefront6targetE0EEEvSZ_
	.p2align	8
	.type	_ZN7rocprim17ROCPRIM_400000_NS6detail17trampoline_kernelINS0_13select_configILj256ELj13ELNS0_17block_load_methodE3ELS4_3ELS4_3ELNS0_20block_scan_algorithmE0ELj4294967295EEENS1_25partition_config_selectorILNS1_17partition_subalgoE4EjNS0_10empty_typeEbEEZZNS1_14partition_implILS8_4ELb0ES6_15HIP_vector_typeIjLj2EENS0_17counting_iteratorIjlEEPS9_SG_NS0_5tupleIJPjSI_NS0_16reverse_iteratorISI_EEEEENSH_IJSG_SG_SG_EEES9_SI_JZNS1_25segmented_radix_sort_implINS0_14default_configELb1EPKlPlSQ_SR_N2at6native12_GLOBAL__N_18offset_tEEE10hipError_tPvRmT1_PNSt15iterator_traitsISZ_E10value_typeET2_T3_PNS10_IS15_E10value_typeET4_jRbjT5_S1B_jjP12ihipStream_tbEUljE_ZNSN_ISO_Lb1ESQ_SR_SQ_SR_SV_EESW_SX_SY_SZ_S13_S14_S15_S18_S19_jS1A_jS1B_S1B_jjS1D_bEUljE0_EEESW_SX_SY_S15_S19_S1B_T6_T7_T9_mT8_S1D_bDpT10_ENKUlT_T0_E_clISt17integral_constantIbLb0EES1R_EEDaS1M_S1N_EUlS1M_E_NS1_11comp_targetILNS1_3genE9ELNS1_11target_archE1100ELNS1_3gpuE3ELNS1_3repE0EEENS1_30default_config_static_selectorELNS0_4arch9wavefront6targetE0EEEvSZ_,@function
_ZN7rocprim17ROCPRIM_400000_NS6detail17trampoline_kernelINS0_13select_configILj256ELj13ELNS0_17block_load_methodE3ELS4_3ELS4_3ELNS0_20block_scan_algorithmE0ELj4294967295EEENS1_25partition_config_selectorILNS1_17partition_subalgoE4EjNS0_10empty_typeEbEEZZNS1_14partition_implILS8_4ELb0ES6_15HIP_vector_typeIjLj2EENS0_17counting_iteratorIjlEEPS9_SG_NS0_5tupleIJPjSI_NS0_16reverse_iteratorISI_EEEEENSH_IJSG_SG_SG_EEES9_SI_JZNS1_25segmented_radix_sort_implINS0_14default_configELb1EPKlPlSQ_SR_N2at6native12_GLOBAL__N_18offset_tEEE10hipError_tPvRmT1_PNSt15iterator_traitsISZ_E10value_typeET2_T3_PNS10_IS15_E10value_typeET4_jRbjT5_S1B_jjP12ihipStream_tbEUljE_ZNSN_ISO_Lb1ESQ_SR_SQ_SR_SV_EESW_SX_SY_SZ_S13_S14_S15_S18_S19_jS1A_jS1B_S1B_jjS1D_bEUljE0_EEESW_SX_SY_S15_S19_S1B_T6_T7_T9_mT8_S1D_bDpT10_ENKUlT_T0_E_clISt17integral_constantIbLb0EES1R_EEDaS1M_S1N_EUlS1M_E_NS1_11comp_targetILNS1_3genE9ELNS1_11target_archE1100ELNS1_3gpuE3ELNS1_3repE0EEENS1_30default_config_static_selectorELNS0_4arch9wavefront6targetE0EEEvSZ_: ; @_ZN7rocprim17ROCPRIM_400000_NS6detail17trampoline_kernelINS0_13select_configILj256ELj13ELNS0_17block_load_methodE3ELS4_3ELS4_3ELNS0_20block_scan_algorithmE0ELj4294967295EEENS1_25partition_config_selectorILNS1_17partition_subalgoE4EjNS0_10empty_typeEbEEZZNS1_14partition_implILS8_4ELb0ES6_15HIP_vector_typeIjLj2EENS0_17counting_iteratorIjlEEPS9_SG_NS0_5tupleIJPjSI_NS0_16reverse_iteratorISI_EEEEENSH_IJSG_SG_SG_EEES9_SI_JZNS1_25segmented_radix_sort_implINS0_14default_configELb1EPKlPlSQ_SR_N2at6native12_GLOBAL__N_18offset_tEEE10hipError_tPvRmT1_PNSt15iterator_traitsISZ_E10value_typeET2_T3_PNS10_IS15_E10value_typeET4_jRbjT5_S1B_jjP12ihipStream_tbEUljE_ZNSN_ISO_Lb1ESQ_SR_SQ_SR_SV_EESW_SX_SY_SZ_S13_S14_S15_S18_S19_jS1A_jS1B_S1B_jjS1D_bEUljE0_EEESW_SX_SY_S15_S19_S1B_T6_T7_T9_mT8_S1D_bDpT10_ENKUlT_T0_E_clISt17integral_constantIbLb0EES1R_EEDaS1M_S1N_EUlS1M_E_NS1_11comp_targetILNS1_3genE9ELNS1_11target_archE1100ELNS1_3gpuE3ELNS1_3repE0EEENS1_30default_config_static_selectorELNS0_4arch9wavefront6targetE0EEEvSZ_
; %bb.0:
	.section	.rodata,"a",@progbits
	.p2align	6, 0x0
	.amdhsa_kernel _ZN7rocprim17ROCPRIM_400000_NS6detail17trampoline_kernelINS0_13select_configILj256ELj13ELNS0_17block_load_methodE3ELS4_3ELS4_3ELNS0_20block_scan_algorithmE0ELj4294967295EEENS1_25partition_config_selectorILNS1_17partition_subalgoE4EjNS0_10empty_typeEbEEZZNS1_14partition_implILS8_4ELb0ES6_15HIP_vector_typeIjLj2EENS0_17counting_iteratorIjlEEPS9_SG_NS0_5tupleIJPjSI_NS0_16reverse_iteratorISI_EEEEENSH_IJSG_SG_SG_EEES9_SI_JZNS1_25segmented_radix_sort_implINS0_14default_configELb1EPKlPlSQ_SR_N2at6native12_GLOBAL__N_18offset_tEEE10hipError_tPvRmT1_PNSt15iterator_traitsISZ_E10value_typeET2_T3_PNS10_IS15_E10value_typeET4_jRbjT5_S1B_jjP12ihipStream_tbEUljE_ZNSN_ISO_Lb1ESQ_SR_SQ_SR_SV_EESW_SX_SY_SZ_S13_S14_S15_S18_S19_jS1A_jS1B_S1B_jjS1D_bEUljE0_EEESW_SX_SY_S15_S19_S1B_T6_T7_T9_mT8_S1D_bDpT10_ENKUlT_T0_E_clISt17integral_constantIbLb0EES1R_EEDaS1M_S1N_EUlS1M_E_NS1_11comp_targetILNS1_3genE9ELNS1_11target_archE1100ELNS1_3gpuE3ELNS1_3repE0EEENS1_30default_config_static_selectorELNS0_4arch9wavefront6targetE0EEEvSZ_
		.amdhsa_group_segment_fixed_size 0
		.amdhsa_private_segment_fixed_size 0
		.amdhsa_kernarg_size 176
		.amdhsa_user_sgpr_count 2
		.amdhsa_user_sgpr_dispatch_ptr 0
		.amdhsa_user_sgpr_queue_ptr 0
		.amdhsa_user_sgpr_kernarg_segment_ptr 1
		.amdhsa_user_sgpr_dispatch_id 0
		.amdhsa_user_sgpr_kernarg_preload_length 0
		.amdhsa_user_sgpr_kernarg_preload_offset 0
		.amdhsa_user_sgpr_private_segment_size 0
		.amdhsa_wavefront_size32 1
		.amdhsa_uses_dynamic_stack 0
		.amdhsa_enable_private_segment 0
		.amdhsa_system_sgpr_workgroup_id_x 1
		.amdhsa_system_sgpr_workgroup_id_y 0
		.amdhsa_system_sgpr_workgroup_id_z 0
		.amdhsa_system_sgpr_workgroup_info 0
		.amdhsa_system_vgpr_workitem_id 0
		.amdhsa_next_free_vgpr 1
		.amdhsa_next_free_sgpr 1
		.amdhsa_named_barrier_count 0
		.amdhsa_reserve_vcc 0
		.amdhsa_float_round_mode_32 0
		.amdhsa_float_round_mode_16_64 0
		.amdhsa_float_denorm_mode_32 3
		.amdhsa_float_denorm_mode_16_64 3
		.amdhsa_fp16_overflow 0
		.amdhsa_memory_ordered 1
		.amdhsa_forward_progress 1
		.amdhsa_inst_pref_size 0
		.amdhsa_round_robin_scheduling 0
		.amdhsa_exception_fp_ieee_invalid_op 0
		.amdhsa_exception_fp_denorm_src 0
		.amdhsa_exception_fp_ieee_div_zero 0
		.amdhsa_exception_fp_ieee_overflow 0
		.amdhsa_exception_fp_ieee_underflow 0
		.amdhsa_exception_fp_ieee_inexact 0
		.amdhsa_exception_int_div_zero 0
	.end_amdhsa_kernel
	.section	.text._ZN7rocprim17ROCPRIM_400000_NS6detail17trampoline_kernelINS0_13select_configILj256ELj13ELNS0_17block_load_methodE3ELS4_3ELS4_3ELNS0_20block_scan_algorithmE0ELj4294967295EEENS1_25partition_config_selectorILNS1_17partition_subalgoE4EjNS0_10empty_typeEbEEZZNS1_14partition_implILS8_4ELb0ES6_15HIP_vector_typeIjLj2EENS0_17counting_iteratorIjlEEPS9_SG_NS0_5tupleIJPjSI_NS0_16reverse_iteratorISI_EEEEENSH_IJSG_SG_SG_EEES9_SI_JZNS1_25segmented_radix_sort_implINS0_14default_configELb1EPKlPlSQ_SR_N2at6native12_GLOBAL__N_18offset_tEEE10hipError_tPvRmT1_PNSt15iterator_traitsISZ_E10value_typeET2_T3_PNS10_IS15_E10value_typeET4_jRbjT5_S1B_jjP12ihipStream_tbEUljE_ZNSN_ISO_Lb1ESQ_SR_SQ_SR_SV_EESW_SX_SY_SZ_S13_S14_S15_S18_S19_jS1A_jS1B_S1B_jjS1D_bEUljE0_EEESW_SX_SY_S15_S19_S1B_T6_T7_T9_mT8_S1D_bDpT10_ENKUlT_T0_E_clISt17integral_constantIbLb0EES1R_EEDaS1M_S1N_EUlS1M_E_NS1_11comp_targetILNS1_3genE9ELNS1_11target_archE1100ELNS1_3gpuE3ELNS1_3repE0EEENS1_30default_config_static_selectorELNS0_4arch9wavefront6targetE0EEEvSZ_,"axG",@progbits,_ZN7rocprim17ROCPRIM_400000_NS6detail17trampoline_kernelINS0_13select_configILj256ELj13ELNS0_17block_load_methodE3ELS4_3ELS4_3ELNS0_20block_scan_algorithmE0ELj4294967295EEENS1_25partition_config_selectorILNS1_17partition_subalgoE4EjNS0_10empty_typeEbEEZZNS1_14partition_implILS8_4ELb0ES6_15HIP_vector_typeIjLj2EENS0_17counting_iteratorIjlEEPS9_SG_NS0_5tupleIJPjSI_NS0_16reverse_iteratorISI_EEEEENSH_IJSG_SG_SG_EEES9_SI_JZNS1_25segmented_radix_sort_implINS0_14default_configELb1EPKlPlSQ_SR_N2at6native12_GLOBAL__N_18offset_tEEE10hipError_tPvRmT1_PNSt15iterator_traitsISZ_E10value_typeET2_T3_PNS10_IS15_E10value_typeET4_jRbjT5_S1B_jjP12ihipStream_tbEUljE_ZNSN_ISO_Lb1ESQ_SR_SQ_SR_SV_EESW_SX_SY_SZ_S13_S14_S15_S18_S19_jS1A_jS1B_S1B_jjS1D_bEUljE0_EEESW_SX_SY_S15_S19_S1B_T6_T7_T9_mT8_S1D_bDpT10_ENKUlT_T0_E_clISt17integral_constantIbLb0EES1R_EEDaS1M_S1N_EUlS1M_E_NS1_11comp_targetILNS1_3genE9ELNS1_11target_archE1100ELNS1_3gpuE3ELNS1_3repE0EEENS1_30default_config_static_selectorELNS0_4arch9wavefront6targetE0EEEvSZ_,comdat
.Lfunc_end642:
	.size	_ZN7rocprim17ROCPRIM_400000_NS6detail17trampoline_kernelINS0_13select_configILj256ELj13ELNS0_17block_load_methodE3ELS4_3ELS4_3ELNS0_20block_scan_algorithmE0ELj4294967295EEENS1_25partition_config_selectorILNS1_17partition_subalgoE4EjNS0_10empty_typeEbEEZZNS1_14partition_implILS8_4ELb0ES6_15HIP_vector_typeIjLj2EENS0_17counting_iteratorIjlEEPS9_SG_NS0_5tupleIJPjSI_NS0_16reverse_iteratorISI_EEEEENSH_IJSG_SG_SG_EEES9_SI_JZNS1_25segmented_radix_sort_implINS0_14default_configELb1EPKlPlSQ_SR_N2at6native12_GLOBAL__N_18offset_tEEE10hipError_tPvRmT1_PNSt15iterator_traitsISZ_E10value_typeET2_T3_PNS10_IS15_E10value_typeET4_jRbjT5_S1B_jjP12ihipStream_tbEUljE_ZNSN_ISO_Lb1ESQ_SR_SQ_SR_SV_EESW_SX_SY_SZ_S13_S14_S15_S18_S19_jS1A_jS1B_S1B_jjS1D_bEUljE0_EEESW_SX_SY_S15_S19_S1B_T6_T7_T9_mT8_S1D_bDpT10_ENKUlT_T0_E_clISt17integral_constantIbLb0EES1R_EEDaS1M_S1N_EUlS1M_E_NS1_11comp_targetILNS1_3genE9ELNS1_11target_archE1100ELNS1_3gpuE3ELNS1_3repE0EEENS1_30default_config_static_selectorELNS0_4arch9wavefront6targetE0EEEvSZ_, .Lfunc_end642-_ZN7rocprim17ROCPRIM_400000_NS6detail17trampoline_kernelINS0_13select_configILj256ELj13ELNS0_17block_load_methodE3ELS4_3ELS4_3ELNS0_20block_scan_algorithmE0ELj4294967295EEENS1_25partition_config_selectorILNS1_17partition_subalgoE4EjNS0_10empty_typeEbEEZZNS1_14partition_implILS8_4ELb0ES6_15HIP_vector_typeIjLj2EENS0_17counting_iteratorIjlEEPS9_SG_NS0_5tupleIJPjSI_NS0_16reverse_iteratorISI_EEEEENSH_IJSG_SG_SG_EEES9_SI_JZNS1_25segmented_radix_sort_implINS0_14default_configELb1EPKlPlSQ_SR_N2at6native12_GLOBAL__N_18offset_tEEE10hipError_tPvRmT1_PNSt15iterator_traitsISZ_E10value_typeET2_T3_PNS10_IS15_E10value_typeET4_jRbjT5_S1B_jjP12ihipStream_tbEUljE_ZNSN_ISO_Lb1ESQ_SR_SQ_SR_SV_EESW_SX_SY_SZ_S13_S14_S15_S18_S19_jS1A_jS1B_S1B_jjS1D_bEUljE0_EEESW_SX_SY_S15_S19_S1B_T6_T7_T9_mT8_S1D_bDpT10_ENKUlT_T0_E_clISt17integral_constantIbLb0EES1R_EEDaS1M_S1N_EUlS1M_E_NS1_11comp_targetILNS1_3genE9ELNS1_11target_archE1100ELNS1_3gpuE3ELNS1_3repE0EEENS1_30default_config_static_selectorELNS0_4arch9wavefront6targetE0EEEvSZ_
                                        ; -- End function
	.set _ZN7rocprim17ROCPRIM_400000_NS6detail17trampoline_kernelINS0_13select_configILj256ELj13ELNS0_17block_load_methodE3ELS4_3ELS4_3ELNS0_20block_scan_algorithmE0ELj4294967295EEENS1_25partition_config_selectorILNS1_17partition_subalgoE4EjNS0_10empty_typeEbEEZZNS1_14partition_implILS8_4ELb0ES6_15HIP_vector_typeIjLj2EENS0_17counting_iteratorIjlEEPS9_SG_NS0_5tupleIJPjSI_NS0_16reverse_iteratorISI_EEEEENSH_IJSG_SG_SG_EEES9_SI_JZNS1_25segmented_radix_sort_implINS0_14default_configELb1EPKlPlSQ_SR_N2at6native12_GLOBAL__N_18offset_tEEE10hipError_tPvRmT1_PNSt15iterator_traitsISZ_E10value_typeET2_T3_PNS10_IS15_E10value_typeET4_jRbjT5_S1B_jjP12ihipStream_tbEUljE_ZNSN_ISO_Lb1ESQ_SR_SQ_SR_SV_EESW_SX_SY_SZ_S13_S14_S15_S18_S19_jS1A_jS1B_S1B_jjS1D_bEUljE0_EEESW_SX_SY_S15_S19_S1B_T6_T7_T9_mT8_S1D_bDpT10_ENKUlT_T0_E_clISt17integral_constantIbLb0EES1R_EEDaS1M_S1N_EUlS1M_E_NS1_11comp_targetILNS1_3genE9ELNS1_11target_archE1100ELNS1_3gpuE3ELNS1_3repE0EEENS1_30default_config_static_selectorELNS0_4arch9wavefront6targetE0EEEvSZ_.num_vgpr, 0
	.set _ZN7rocprim17ROCPRIM_400000_NS6detail17trampoline_kernelINS0_13select_configILj256ELj13ELNS0_17block_load_methodE3ELS4_3ELS4_3ELNS0_20block_scan_algorithmE0ELj4294967295EEENS1_25partition_config_selectorILNS1_17partition_subalgoE4EjNS0_10empty_typeEbEEZZNS1_14partition_implILS8_4ELb0ES6_15HIP_vector_typeIjLj2EENS0_17counting_iteratorIjlEEPS9_SG_NS0_5tupleIJPjSI_NS0_16reverse_iteratorISI_EEEEENSH_IJSG_SG_SG_EEES9_SI_JZNS1_25segmented_radix_sort_implINS0_14default_configELb1EPKlPlSQ_SR_N2at6native12_GLOBAL__N_18offset_tEEE10hipError_tPvRmT1_PNSt15iterator_traitsISZ_E10value_typeET2_T3_PNS10_IS15_E10value_typeET4_jRbjT5_S1B_jjP12ihipStream_tbEUljE_ZNSN_ISO_Lb1ESQ_SR_SQ_SR_SV_EESW_SX_SY_SZ_S13_S14_S15_S18_S19_jS1A_jS1B_S1B_jjS1D_bEUljE0_EEESW_SX_SY_S15_S19_S1B_T6_T7_T9_mT8_S1D_bDpT10_ENKUlT_T0_E_clISt17integral_constantIbLb0EES1R_EEDaS1M_S1N_EUlS1M_E_NS1_11comp_targetILNS1_3genE9ELNS1_11target_archE1100ELNS1_3gpuE3ELNS1_3repE0EEENS1_30default_config_static_selectorELNS0_4arch9wavefront6targetE0EEEvSZ_.num_agpr, 0
	.set _ZN7rocprim17ROCPRIM_400000_NS6detail17trampoline_kernelINS0_13select_configILj256ELj13ELNS0_17block_load_methodE3ELS4_3ELS4_3ELNS0_20block_scan_algorithmE0ELj4294967295EEENS1_25partition_config_selectorILNS1_17partition_subalgoE4EjNS0_10empty_typeEbEEZZNS1_14partition_implILS8_4ELb0ES6_15HIP_vector_typeIjLj2EENS0_17counting_iteratorIjlEEPS9_SG_NS0_5tupleIJPjSI_NS0_16reverse_iteratorISI_EEEEENSH_IJSG_SG_SG_EEES9_SI_JZNS1_25segmented_radix_sort_implINS0_14default_configELb1EPKlPlSQ_SR_N2at6native12_GLOBAL__N_18offset_tEEE10hipError_tPvRmT1_PNSt15iterator_traitsISZ_E10value_typeET2_T3_PNS10_IS15_E10value_typeET4_jRbjT5_S1B_jjP12ihipStream_tbEUljE_ZNSN_ISO_Lb1ESQ_SR_SQ_SR_SV_EESW_SX_SY_SZ_S13_S14_S15_S18_S19_jS1A_jS1B_S1B_jjS1D_bEUljE0_EEESW_SX_SY_S15_S19_S1B_T6_T7_T9_mT8_S1D_bDpT10_ENKUlT_T0_E_clISt17integral_constantIbLb0EES1R_EEDaS1M_S1N_EUlS1M_E_NS1_11comp_targetILNS1_3genE9ELNS1_11target_archE1100ELNS1_3gpuE3ELNS1_3repE0EEENS1_30default_config_static_selectorELNS0_4arch9wavefront6targetE0EEEvSZ_.numbered_sgpr, 0
	.set _ZN7rocprim17ROCPRIM_400000_NS6detail17trampoline_kernelINS0_13select_configILj256ELj13ELNS0_17block_load_methodE3ELS4_3ELS4_3ELNS0_20block_scan_algorithmE0ELj4294967295EEENS1_25partition_config_selectorILNS1_17partition_subalgoE4EjNS0_10empty_typeEbEEZZNS1_14partition_implILS8_4ELb0ES6_15HIP_vector_typeIjLj2EENS0_17counting_iteratorIjlEEPS9_SG_NS0_5tupleIJPjSI_NS0_16reverse_iteratorISI_EEEEENSH_IJSG_SG_SG_EEES9_SI_JZNS1_25segmented_radix_sort_implINS0_14default_configELb1EPKlPlSQ_SR_N2at6native12_GLOBAL__N_18offset_tEEE10hipError_tPvRmT1_PNSt15iterator_traitsISZ_E10value_typeET2_T3_PNS10_IS15_E10value_typeET4_jRbjT5_S1B_jjP12ihipStream_tbEUljE_ZNSN_ISO_Lb1ESQ_SR_SQ_SR_SV_EESW_SX_SY_SZ_S13_S14_S15_S18_S19_jS1A_jS1B_S1B_jjS1D_bEUljE0_EEESW_SX_SY_S15_S19_S1B_T6_T7_T9_mT8_S1D_bDpT10_ENKUlT_T0_E_clISt17integral_constantIbLb0EES1R_EEDaS1M_S1N_EUlS1M_E_NS1_11comp_targetILNS1_3genE9ELNS1_11target_archE1100ELNS1_3gpuE3ELNS1_3repE0EEENS1_30default_config_static_selectorELNS0_4arch9wavefront6targetE0EEEvSZ_.num_named_barrier, 0
	.set _ZN7rocprim17ROCPRIM_400000_NS6detail17trampoline_kernelINS0_13select_configILj256ELj13ELNS0_17block_load_methodE3ELS4_3ELS4_3ELNS0_20block_scan_algorithmE0ELj4294967295EEENS1_25partition_config_selectorILNS1_17partition_subalgoE4EjNS0_10empty_typeEbEEZZNS1_14partition_implILS8_4ELb0ES6_15HIP_vector_typeIjLj2EENS0_17counting_iteratorIjlEEPS9_SG_NS0_5tupleIJPjSI_NS0_16reverse_iteratorISI_EEEEENSH_IJSG_SG_SG_EEES9_SI_JZNS1_25segmented_radix_sort_implINS0_14default_configELb1EPKlPlSQ_SR_N2at6native12_GLOBAL__N_18offset_tEEE10hipError_tPvRmT1_PNSt15iterator_traitsISZ_E10value_typeET2_T3_PNS10_IS15_E10value_typeET4_jRbjT5_S1B_jjP12ihipStream_tbEUljE_ZNSN_ISO_Lb1ESQ_SR_SQ_SR_SV_EESW_SX_SY_SZ_S13_S14_S15_S18_S19_jS1A_jS1B_S1B_jjS1D_bEUljE0_EEESW_SX_SY_S15_S19_S1B_T6_T7_T9_mT8_S1D_bDpT10_ENKUlT_T0_E_clISt17integral_constantIbLb0EES1R_EEDaS1M_S1N_EUlS1M_E_NS1_11comp_targetILNS1_3genE9ELNS1_11target_archE1100ELNS1_3gpuE3ELNS1_3repE0EEENS1_30default_config_static_selectorELNS0_4arch9wavefront6targetE0EEEvSZ_.private_seg_size, 0
	.set _ZN7rocprim17ROCPRIM_400000_NS6detail17trampoline_kernelINS0_13select_configILj256ELj13ELNS0_17block_load_methodE3ELS4_3ELS4_3ELNS0_20block_scan_algorithmE0ELj4294967295EEENS1_25partition_config_selectorILNS1_17partition_subalgoE4EjNS0_10empty_typeEbEEZZNS1_14partition_implILS8_4ELb0ES6_15HIP_vector_typeIjLj2EENS0_17counting_iteratorIjlEEPS9_SG_NS0_5tupleIJPjSI_NS0_16reverse_iteratorISI_EEEEENSH_IJSG_SG_SG_EEES9_SI_JZNS1_25segmented_radix_sort_implINS0_14default_configELb1EPKlPlSQ_SR_N2at6native12_GLOBAL__N_18offset_tEEE10hipError_tPvRmT1_PNSt15iterator_traitsISZ_E10value_typeET2_T3_PNS10_IS15_E10value_typeET4_jRbjT5_S1B_jjP12ihipStream_tbEUljE_ZNSN_ISO_Lb1ESQ_SR_SQ_SR_SV_EESW_SX_SY_SZ_S13_S14_S15_S18_S19_jS1A_jS1B_S1B_jjS1D_bEUljE0_EEESW_SX_SY_S15_S19_S1B_T6_T7_T9_mT8_S1D_bDpT10_ENKUlT_T0_E_clISt17integral_constantIbLb0EES1R_EEDaS1M_S1N_EUlS1M_E_NS1_11comp_targetILNS1_3genE9ELNS1_11target_archE1100ELNS1_3gpuE3ELNS1_3repE0EEENS1_30default_config_static_selectorELNS0_4arch9wavefront6targetE0EEEvSZ_.uses_vcc, 0
	.set _ZN7rocprim17ROCPRIM_400000_NS6detail17trampoline_kernelINS0_13select_configILj256ELj13ELNS0_17block_load_methodE3ELS4_3ELS4_3ELNS0_20block_scan_algorithmE0ELj4294967295EEENS1_25partition_config_selectorILNS1_17partition_subalgoE4EjNS0_10empty_typeEbEEZZNS1_14partition_implILS8_4ELb0ES6_15HIP_vector_typeIjLj2EENS0_17counting_iteratorIjlEEPS9_SG_NS0_5tupleIJPjSI_NS0_16reverse_iteratorISI_EEEEENSH_IJSG_SG_SG_EEES9_SI_JZNS1_25segmented_radix_sort_implINS0_14default_configELb1EPKlPlSQ_SR_N2at6native12_GLOBAL__N_18offset_tEEE10hipError_tPvRmT1_PNSt15iterator_traitsISZ_E10value_typeET2_T3_PNS10_IS15_E10value_typeET4_jRbjT5_S1B_jjP12ihipStream_tbEUljE_ZNSN_ISO_Lb1ESQ_SR_SQ_SR_SV_EESW_SX_SY_SZ_S13_S14_S15_S18_S19_jS1A_jS1B_S1B_jjS1D_bEUljE0_EEESW_SX_SY_S15_S19_S1B_T6_T7_T9_mT8_S1D_bDpT10_ENKUlT_T0_E_clISt17integral_constantIbLb0EES1R_EEDaS1M_S1N_EUlS1M_E_NS1_11comp_targetILNS1_3genE9ELNS1_11target_archE1100ELNS1_3gpuE3ELNS1_3repE0EEENS1_30default_config_static_selectorELNS0_4arch9wavefront6targetE0EEEvSZ_.uses_flat_scratch, 0
	.set _ZN7rocprim17ROCPRIM_400000_NS6detail17trampoline_kernelINS0_13select_configILj256ELj13ELNS0_17block_load_methodE3ELS4_3ELS4_3ELNS0_20block_scan_algorithmE0ELj4294967295EEENS1_25partition_config_selectorILNS1_17partition_subalgoE4EjNS0_10empty_typeEbEEZZNS1_14partition_implILS8_4ELb0ES6_15HIP_vector_typeIjLj2EENS0_17counting_iteratorIjlEEPS9_SG_NS0_5tupleIJPjSI_NS0_16reverse_iteratorISI_EEEEENSH_IJSG_SG_SG_EEES9_SI_JZNS1_25segmented_radix_sort_implINS0_14default_configELb1EPKlPlSQ_SR_N2at6native12_GLOBAL__N_18offset_tEEE10hipError_tPvRmT1_PNSt15iterator_traitsISZ_E10value_typeET2_T3_PNS10_IS15_E10value_typeET4_jRbjT5_S1B_jjP12ihipStream_tbEUljE_ZNSN_ISO_Lb1ESQ_SR_SQ_SR_SV_EESW_SX_SY_SZ_S13_S14_S15_S18_S19_jS1A_jS1B_S1B_jjS1D_bEUljE0_EEESW_SX_SY_S15_S19_S1B_T6_T7_T9_mT8_S1D_bDpT10_ENKUlT_T0_E_clISt17integral_constantIbLb0EES1R_EEDaS1M_S1N_EUlS1M_E_NS1_11comp_targetILNS1_3genE9ELNS1_11target_archE1100ELNS1_3gpuE3ELNS1_3repE0EEENS1_30default_config_static_selectorELNS0_4arch9wavefront6targetE0EEEvSZ_.has_dyn_sized_stack, 0
	.set _ZN7rocprim17ROCPRIM_400000_NS6detail17trampoline_kernelINS0_13select_configILj256ELj13ELNS0_17block_load_methodE3ELS4_3ELS4_3ELNS0_20block_scan_algorithmE0ELj4294967295EEENS1_25partition_config_selectorILNS1_17partition_subalgoE4EjNS0_10empty_typeEbEEZZNS1_14partition_implILS8_4ELb0ES6_15HIP_vector_typeIjLj2EENS0_17counting_iteratorIjlEEPS9_SG_NS0_5tupleIJPjSI_NS0_16reverse_iteratorISI_EEEEENSH_IJSG_SG_SG_EEES9_SI_JZNS1_25segmented_radix_sort_implINS0_14default_configELb1EPKlPlSQ_SR_N2at6native12_GLOBAL__N_18offset_tEEE10hipError_tPvRmT1_PNSt15iterator_traitsISZ_E10value_typeET2_T3_PNS10_IS15_E10value_typeET4_jRbjT5_S1B_jjP12ihipStream_tbEUljE_ZNSN_ISO_Lb1ESQ_SR_SQ_SR_SV_EESW_SX_SY_SZ_S13_S14_S15_S18_S19_jS1A_jS1B_S1B_jjS1D_bEUljE0_EEESW_SX_SY_S15_S19_S1B_T6_T7_T9_mT8_S1D_bDpT10_ENKUlT_T0_E_clISt17integral_constantIbLb0EES1R_EEDaS1M_S1N_EUlS1M_E_NS1_11comp_targetILNS1_3genE9ELNS1_11target_archE1100ELNS1_3gpuE3ELNS1_3repE0EEENS1_30default_config_static_selectorELNS0_4arch9wavefront6targetE0EEEvSZ_.has_recursion, 0
	.set _ZN7rocprim17ROCPRIM_400000_NS6detail17trampoline_kernelINS0_13select_configILj256ELj13ELNS0_17block_load_methodE3ELS4_3ELS4_3ELNS0_20block_scan_algorithmE0ELj4294967295EEENS1_25partition_config_selectorILNS1_17partition_subalgoE4EjNS0_10empty_typeEbEEZZNS1_14partition_implILS8_4ELb0ES6_15HIP_vector_typeIjLj2EENS0_17counting_iteratorIjlEEPS9_SG_NS0_5tupleIJPjSI_NS0_16reverse_iteratorISI_EEEEENSH_IJSG_SG_SG_EEES9_SI_JZNS1_25segmented_radix_sort_implINS0_14default_configELb1EPKlPlSQ_SR_N2at6native12_GLOBAL__N_18offset_tEEE10hipError_tPvRmT1_PNSt15iterator_traitsISZ_E10value_typeET2_T3_PNS10_IS15_E10value_typeET4_jRbjT5_S1B_jjP12ihipStream_tbEUljE_ZNSN_ISO_Lb1ESQ_SR_SQ_SR_SV_EESW_SX_SY_SZ_S13_S14_S15_S18_S19_jS1A_jS1B_S1B_jjS1D_bEUljE0_EEESW_SX_SY_S15_S19_S1B_T6_T7_T9_mT8_S1D_bDpT10_ENKUlT_T0_E_clISt17integral_constantIbLb0EES1R_EEDaS1M_S1N_EUlS1M_E_NS1_11comp_targetILNS1_3genE9ELNS1_11target_archE1100ELNS1_3gpuE3ELNS1_3repE0EEENS1_30default_config_static_selectorELNS0_4arch9wavefront6targetE0EEEvSZ_.has_indirect_call, 0
	.section	.AMDGPU.csdata,"",@progbits
; Kernel info:
; codeLenInByte = 0
; TotalNumSgprs: 0
; NumVgprs: 0
; ScratchSize: 0
; MemoryBound: 0
; FloatMode: 240
; IeeeMode: 1
; LDSByteSize: 0 bytes/workgroup (compile time only)
; SGPRBlocks: 0
; VGPRBlocks: 0
; NumSGPRsForWavesPerEU: 1
; NumVGPRsForWavesPerEU: 1
; NamedBarCnt: 0
; Occupancy: 16
; WaveLimiterHint : 0
; COMPUTE_PGM_RSRC2:SCRATCH_EN: 0
; COMPUTE_PGM_RSRC2:USER_SGPR: 2
; COMPUTE_PGM_RSRC2:TRAP_HANDLER: 0
; COMPUTE_PGM_RSRC2:TGID_X_EN: 1
; COMPUTE_PGM_RSRC2:TGID_Y_EN: 0
; COMPUTE_PGM_RSRC2:TGID_Z_EN: 0
; COMPUTE_PGM_RSRC2:TIDIG_COMP_CNT: 0
	.section	.text._ZN7rocprim17ROCPRIM_400000_NS6detail17trampoline_kernelINS0_13select_configILj256ELj13ELNS0_17block_load_methodE3ELS4_3ELS4_3ELNS0_20block_scan_algorithmE0ELj4294967295EEENS1_25partition_config_selectorILNS1_17partition_subalgoE4EjNS0_10empty_typeEbEEZZNS1_14partition_implILS8_4ELb0ES6_15HIP_vector_typeIjLj2EENS0_17counting_iteratorIjlEEPS9_SG_NS0_5tupleIJPjSI_NS0_16reverse_iteratorISI_EEEEENSH_IJSG_SG_SG_EEES9_SI_JZNS1_25segmented_radix_sort_implINS0_14default_configELb1EPKlPlSQ_SR_N2at6native12_GLOBAL__N_18offset_tEEE10hipError_tPvRmT1_PNSt15iterator_traitsISZ_E10value_typeET2_T3_PNS10_IS15_E10value_typeET4_jRbjT5_S1B_jjP12ihipStream_tbEUljE_ZNSN_ISO_Lb1ESQ_SR_SQ_SR_SV_EESW_SX_SY_SZ_S13_S14_S15_S18_S19_jS1A_jS1B_S1B_jjS1D_bEUljE0_EEESW_SX_SY_S15_S19_S1B_T6_T7_T9_mT8_S1D_bDpT10_ENKUlT_T0_E_clISt17integral_constantIbLb0EES1R_EEDaS1M_S1N_EUlS1M_E_NS1_11comp_targetILNS1_3genE8ELNS1_11target_archE1030ELNS1_3gpuE2ELNS1_3repE0EEENS1_30default_config_static_selectorELNS0_4arch9wavefront6targetE0EEEvSZ_,"axG",@progbits,_ZN7rocprim17ROCPRIM_400000_NS6detail17trampoline_kernelINS0_13select_configILj256ELj13ELNS0_17block_load_methodE3ELS4_3ELS4_3ELNS0_20block_scan_algorithmE0ELj4294967295EEENS1_25partition_config_selectorILNS1_17partition_subalgoE4EjNS0_10empty_typeEbEEZZNS1_14partition_implILS8_4ELb0ES6_15HIP_vector_typeIjLj2EENS0_17counting_iteratorIjlEEPS9_SG_NS0_5tupleIJPjSI_NS0_16reverse_iteratorISI_EEEEENSH_IJSG_SG_SG_EEES9_SI_JZNS1_25segmented_radix_sort_implINS0_14default_configELb1EPKlPlSQ_SR_N2at6native12_GLOBAL__N_18offset_tEEE10hipError_tPvRmT1_PNSt15iterator_traitsISZ_E10value_typeET2_T3_PNS10_IS15_E10value_typeET4_jRbjT5_S1B_jjP12ihipStream_tbEUljE_ZNSN_ISO_Lb1ESQ_SR_SQ_SR_SV_EESW_SX_SY_SZ_S13_S14_S15_S18_S19_jS1A_jS1B_S1B_jjS1D_bEUljE0_EEESW_SX_SY_S15_S19_S1B_T6_T7_T9_mT8_S1D_bDpT10_ENKUlT_T0_E_clISt17integral_constantIbLb0EES1R_EEDaS1M_S1N_EUlS1M_E_NS1_11comp_targetILNS1_3genE8ELNS1_11target_archE1030ELNS1_3gpuE2ELNS1_3repE0EEENS1_30default_config_static_selectorELNS0_4arch9wavefront6targetE0EEEvSZ_,comdat
	.globl	_ZN7rocprim17ROCPRIM_400000_NS6detail17trampoline_kernelINS0_13select_configILj256ELj13ELNS0_17block_load_methodE3ELS4_3ELS4_3ELNS0_20block_scan_algorithmE0ELj4294967295EEENS1_25partition_config_selectorILNS1_17partition_subalgoE4EjNS0_10empty_typeEbEEZZNS1_14partition_implILS8_4ELb0ES6_15HIP_vector_typeIjLj2EENS0_17counting_iteratorIjlEEPS9_SG_NS0_5tupleIJPjSI_NS0_16reverse_iteratorISI_EEEEENSH_IJSG_SG_SG_EEES9_SI_JZNS1_25segmented_radix_sort_implINS0_14default_configELb1EPKlPlSQ_SR_N2at6native12_GLOBAL__N_18offset_tEEE10hipError_tPvRmT1_PNSt15iterator_traitsISZ_E10value_typeET2_T3_PNS10_IS15_E10value_typeET4_jRbjT5_S1B_jjP12ihipStream_tbEUljE_ZNSN_ISO_Lb1ESQ_SR_SQ_SR_SV_EESW_SX_SY_SZ_S13_S14_S15_S18_S19_jS1A_jS1B_S1B_jjS1D_bEUljE0_EEESW_SX_SY_S15_S19_S1B_T6_T7_T9_mT8_S1D_bDpT10_ENKUlT_T0_E_clISt17integral_constantIbLb0EES1R_EEDaS1M_S1N_EUlS1M_E_NS1_11comp_targetILNS1_3genE8ELNS1_11target_archE1030ELNS1_3gpuE2ELNS1_3repE0EEENS1_30default_config_static_selectorELNS0_4arch9wavefront6targetE0EEEvSZ_ ; -- Begin function _ZN7rocprim17ROCPRIM_400000_NS6detail17trampoline_kernelINS0_13select_configILj256ELj13ELNS0_17block_load_methodE3ELS4_3ELS4_3ELNS0_20block_scan_algorithmE0ELj4294967295EEENS1_25partition_config_selectorILNS1_17partition_subalgoE4EjNS0_10empty_typeEbEEZZNS1_14partition_implILS8_4ELb0ES6_15HIP_vector_typeIjLj2EENS0_17counting_iteratorIjlEEPS9_SG_NS0_5tupleIJPjSI_NS0_16reverse_iteratorISI_EEEEENSH_IJSG_SG_SG_EEES9_SI_JZNS1_25segmented_radix_sort_implINS0_14default_configELb1EPKlPlSQ_SR_N2at6native12_GLOBAL__N_18offset_tEEE10hipError_tPvRmT1_PNSt15iterator_traitsISZ_E10value_typeET2_T3_PNS10_IS15_E10value_typeET4_jRbjT5_S1B_jjP12ihipStream_tbEUljE_ZNSN_ISO_Lb1ESQ_SR_SQ_SR_SV_EESW_SX_SY_SZ_S13_S14_S15_S18_S19_jS1A_jS1B_S1B_jjS1D_bEUljE0_EEESW_SX_SY_S15_S19_S1B_T6_T7_T9_mT8_S1D_bDpT10_ENKUlT_T0_E_clISt17integral_constantIbLb0EES1R_EEDaS1M_S1N_EUlS1M_E_NS1_11comp_targetILNS1_3genE8ELNS1_11target_archE1030ELNS1_3gpuE2ELNS1_3repE0EEENS1_30default_config_static_selectorELNS0_4arch9wavefront6targetE0EEEvSZ_
	.p2align	8
	.type	_ZN7rocprim17ROCPRIM_400000_NS6detail17trampoline_kernelINS0_13select_configILj256ELj13ELNS0_17block_load_methodE3ELS4_3ELS4_3ELNS0_20block_scan_algorithmE0ELj4294967295EEENS1_25partition_config_selectorILNS1_17partition_subalgoE4EjNS0_10empty_typeEbEEZZNS1_14partition_implILS8_4ELb0ES6_15HIP_vector_typeIjLj2EENS0_17counting_iteratorIjlEEPS9_SG_NS0_5tupleIJPjSI_NS0_16reverse_iteratorISI_EEEEENSH_IJSG_SG_SG_EEES9_SI_JZNS1_25segmented_radix_sort_implINS0_14default_configELb1EPKlPlSQ_SR_N2at6native12_GLOBAL__N_18offset_tEEE10hipError_tPvRmT1_PNSt15iterator_traitsISZ_E10value_typeET2_T3_PNS10_IS15_E10value_typeET4_jRbjT5_S1B_jjP12ihipStream_tbEUljE_ZNSN_ISO_Lb1ESQ_SR_SQ_SR_SV_EESW_SX_SY_SZ_S13_S14_S15_S18_S19_jS1A_jS1B_S1B_jjS1D_bEUljE0_EEESW_SX_SY_S15_S19_S1B_T6_T7_T9_mT8_S1D_bDpT10_ENKUlT_T0_E_clISt17integral_constantIbLb0EES1R_EEDaS1M_S1N_EUlS1M_E_NS1_11comp_targetILNS1_3genE8ELNS1_11target_archE1030ELNS1_3gpuE2ELNS1_3repE0EEENS1_30default_config_static_selectorELNS0_4arch9wavefront6targetE0EEEvSZ_,@function
_ZN7rocprim17ROCPRIM_400000_NS6detail17trampoline_kernelINS0_13select_configILj256ELj13ELNS0_17block_load_methodE3ELS4_3ELS4_3ELNS0_20block_scan_algorithmE0ELj4294967295EEENS1_25partition_config_selectorILNS1_17partition_subalgoE4EjNS0_10empty_typeEbEEZZNS1_14partition_implILS8_4ELb0ES6_15HIP_vector_typeIjLj2EENS0_17counting_iteratorIjlEEPS9_SG_NS0_5tupleIJPjSI_NS0_16reverse_iteratorISI_EEEEENSH_IJSG_SG_SG_EEES9_SI_JZNS1_25segmented_radix_sort_implINS0_14default_configELb1EPKlPlSQ_SR_N2at6native12_GLOBAL__N_18offset_tEEE10hipError_tPvRmT1_PNSt15iterator_traitsISZ_E10value_typeET2_T3_PNS10_IS15_E10value_typeET4_jRbjT5_S1B_jjP12ihipStream_tbEUljE_ZNSN_ISO_Lb1ESQ_SR_SQ_SR_SV_EESW_SX_SY_SZ_S13_S14_S15_S18_S19_jS1A_jS1B_S1B_jjS1D_bEUljE0_EEESW_SX_SY_S15_S19_S1B_T6_T7_T9_mT8_S1D_bDpT10_ENKUlT_T0_E_clISt17integral_constantIbLb0EES1R_EEDaS1M_S1N_EUlS1M_E_NS1_11comp_targetILNS1_3genE8ELNS1_11target_archE1030ELNS1_3gpuE2ELNS1_3repE0EEENS1_30default_config_static_selectorELNS0_4arch9wavefront6targetE0EEEvSZ_: ; @_ZN7rocprim17ROCPRIM_400000_NS6detail17trampoline_kernelINS0_13select_configILj256ELj13ELNS0_17block_load_methodE3ELS4_3ELS4_3ELNS0_20block_scan_algorithmE0ELj4294967295EEENS1_25partition_config_selectorILNS1_17partition_subalgoE4EjNS0_10empty_typeEbEEZZNS1_14partition_implILS8_4ELb0ES6_15HIP_vector_typeIjLj2EENS0_17counting_iteratorIjlEEPS9_SG_NS0_5tupleIJPjSI_NS0_16reverse_iteratorISI_EEEEENSH_IJSG_SG_SG_EEES9_SI_JZNS1_25segmented_radix_sort_implINS0_14default_configELb1EPKlPlSQ_SR_N2at6native12_GLOBAL__N_18offset_tEEE10hipError_tPvRmT1_PNSt15iterator_traitsISZ_E10value_typeET2_T3_PNS10_IS15_E10value_typeET4_jRbjT5_S1B_jjP12ihipStream_tbEUljE_ZNSN_ISO_Lb1ESQ_SR_SQ_SR_SV_EESW_SX_SY_SZ_S13_S14_S15_S18_S19_jS1A_jS1B_S1B_jjS1D_bEUljE0_EEESW_SX_SY_S15_S19_S1B_T6_T7_T9_mT8_S1D_bDpT10_ENKUlT_T0_E_clISt17integral_constantIbLb0EES1R_EEDaS1M_S1N_EUlS1M_E_NS1_11comp_targetILNS1_3genE8ELNS1_11target_archE1030ELNS1_3gpuE2ELNS1_3repE0EEENS1_30default_config_static_selectorELNS0_4arch9wavefront6targetE0EEEvSZ_
; %bb.0:
	.section	.rodata,"a",@progbits
	.p2align	6, 0x0
	.amdhsa_kernel _ZN7rocprim17ROCPRIM_400000_NS6detail17trampoline_kernelINS0_13select_configILj256ELj13ELNS0_17block_load_methodE3ELS4_3ELS4_3ELNS0_20block_scan_algorithmE0ELj4294967295EEENS1_25partition_config_selectorILNS1_17partition_subalgoE4EjNS0_10empty_typeEbEEZZNS1_14partition_implILS8_4ELb0ES6_15HIP_vector_typeIjLj2EENS0_17counting_iteratorIjlEEPS9_SG_NS0_5tupleIJPjSI_NS0_16reverse_iteratorISI_EEEEENSH_IJSG_SG_SG_EEES9_SI_JZNS1_25segmented_radix_sort_implINS0_14default_configELb1EPKlPlSQ_SR_N2at6native12_GLOBAL__N_18offset_tEEE10hipError_tPvRmT1_PNSt15iterator_traitsISZ_E10value_typeET2_T3_PNS10_IS15_E10value_typeET4_jRbjT5_S1B_jjP12ihipStream_tbEUljE_ZNSN_ISO_Lb1ESQ_SR_SQ_SR_SV_EESW_SX_SY_SZ_S13_S14_S15_S18_S19_jS1A_jS1B_S1B_jjS1D_bEUljE0_EEESW_SX_SY_S15_S19_S1B_T6_T7_T9_mT8_S1D_bDpT10_ENKUlT_T0_E_clISt17integral_constantIbLb0EES1R_EEDaS1M_S1N_EUlS1M_E_NS1_11comp_targetILNS1_3genE8ELNS1_11target_archE1030ELNS1_3gpuE2ELNS1_3repE0EEENS1_30default_config_static_selectorELNS0_4arch9wavefront6targetE0EEEvSZ_
		.amdhsa_group_segment_fixed_size 0
		.amdhsa_private_segment_fixed_size 0
		.amdhsa_kernarg_size 176
		.amdhsa_user_sgpr_count 2
		.amdhsa_user_sgpr_dispatch_ptr 0
		.amdhsa_user_sgpr_queue_ptr 0
		.amdhsa_user_sgpr_kernarg_segment_ptr 1
		.amdhsa_user_sgpr_dispatch_id 0
		.amdhsa_user_sgpr_kernarg_preload_length 0
		.amdhsa_user_sgpr_kernarg_preload_offset 0
		.amdhsa_user_sgpr_private_segment_size 0
		.amdhsa_wavefront_size32 1
		.amdhsa_uses_dynamic_stack 0
		.amdhsa_enable_private_segment 0
		.amdhsa_system_sgpr_workgroup_id_x 1
		.amdhsa_system_sgpr_workgroup_id_y 0
		.amdhsa_system_sgpr_workgroup_id_z 0
		.amdhsa_system_sgpr_workgroup_info 0
		.amdhsa_system_vgpr_workitem_id 0
		.amdhsa_next_free_vgpr 1
		.amdhsa_next_free_sgpr 1
		.amdhsa_named_barrier_count 0
		.amdhsa_reserve_vcc 0
		.amdhsa_float_round_mode_32 0
		.amdhsa_float_round_mode_16_64 0
		.amdhsa_float_denorm_mode_32 3
		.amdhsa_float_denorm_mode_16_64 3
		.amdhsa_fp16_overflow 0
		.amdhsa_memory_ordered 1
		.amdhsa_forward_progress 1
		.amdhsa_inst_pref_size 0
		.amdhsa_round_robin_scheduling 0
		.amdhsa_exception_fp_ieee_invalid_op 0
		.amdhsa_exception_fp_denorm_src 0
		.amdhsa_exception_fp_ieee_div_zero 0
		.amdhsa_exception_fp_ieee_overflow 0
		.amdhsa_exception_fp_ieee_underflow 0
		.amdhsa_exception_fp_ieee_inexact 0
		.amdhsa_exception_int_div_zero 0
	.end_amdhsa_kernel
	.section	.text._ZN7rocprim17ROCPRIM_400000_NS6detail17trampoline_kernelINS0_13select_configILj256ELj13ELNS0_17block_load_methodE3ELS4_3ELS4_3ELNS0_20block_scan_algorithmE0ELj4294967295EEENS1_25partition_config_selectorILNS1_17partition_subalgoE4EjNS0_10empty_typeEbEEZZNS1_14partition_implILS8_4ELb0ES6_15HIP_vector_typeIjLj2EENS0_17counting_iteratorIjlEEPS9_SG_NS0_5tupleIJPjSI_NS0_16reverse_iteratorISI_EEEEENSH_IJSG_SG_SG_EEES9_SI_JZNS1_25segmented_radix_sort_implINS0_14default_configELb1EPKlPlSQ_SR_N2at6native12_GLOBAL__N_18offset_tEEE10hipError_tPvRmT1_PNSt15iterator_traitsISZ_E10value_typeET2_T3_PNS10_IS15_E10value_typeET4_jRbjT5_S1B_jjP12ihipStream_tbEUljE_ZNSN_ISO_Lb1ESQ_SR_SQ_SR_SV_EESW_SX_SY_SZ_S13_S14_S15_S18_S19_jS1A_jS1B_S1B_jjS1D_bEUljE0_EEESW_SX_SY_S15_S19_S1B_T6_T7_T9_mT8_S1D_bDpT10_ENKUlT_T0_E_clISt17integral_constantIbLb0EES1R_EEDaS1M_S1N_EUlS1M_E_NS1_11comp_targetILNS1_3genE8ELNS1_11target_archE1030ELNS1_3gpuE2ELNS1_3repE0EEENS1_30default_config_static_selectorELNS0_4arch9wavefront6targetE0EEEvSZ_,"axG",@progbits,_ZN7rocprim17ROCPRIM_400000_NS6detail17trampoline_kernelINS0_13select_configILj256ELj13ELNS0_17block_load_methodE3ELS4_3ELS4_3ELNS0_20block_scan_algorithmE0ELj4294967295EEENS1_25partition_config_selectorILNS1_17partition_subalgoE4EjNS0_10empty_typeEbEEZZNS1_14partition_implILS8_4ELb0ES6_15HIP_vector_typeIjLj2EENS0_17counting_iteratorIjlEEPS9_SG_NS0_5tupleIJPjSI_NS0_16reverse_iteratorISI_EEEEENSH_IJSG_SG_SG_EEES9_SI_JZNS1_25segmented_radix_sort_implINS0_14default_configELb1EPKlPlSQ_SR_N2at6native12_GLOBAL__N_18offset_tEEE10hipError_tPvRmT1_PNSt15iterator_traitsISZ_E10value_typeET2_T3_PNS10_IS15_E10value_typeET4_jRbjT5_S1B_jjP12ihipStream_tbEUljE_ZNSN_ISO_Lb1ESQ_SR_SQ_SR_SV_EESW_SX_SY_SZ_S13_S14_S15_S18_S19_jS1A_jS1B_S1B_jjS1D_bEUljE0_EEESW_SX_SY_S15_S19_S1B_T6_T7_T9_mT8_S1D_bDpT10_ENKUlT_T0_E_clISt17integral_constantIbLb0EES1R_EEDaS1M_S1N_EUlS1M_E_NS1_11comp_targetILNS1_3genE8ELNS1_11target_archE1030ELNS1_3gpuE2ELNS1_3repE0EEENS1_30default_config_static_selectorELNS0_4arch9wavefront6targetE0EEEvSZ_,comdat
.Lfunc_end643:
	.size	_ZN7rocprim17ROCPRIM_400000_NS6detail17trampoline_kernelINS0_13select_configILj256ELj13ELNS0_17block_load_methodE3ELS4_3ELS4_3ELNS0_20block_scan_algorithmE0ELj4294967295EEENS1_25partition_config_selectorILNS1_17partition_subalgoE4EjNS0_10empty_typeEbEEZZNS1_14partition_implILS8_4ELb0ES6_15HIP_vector_typeIjLj2EENS0_17counting_iteratorIjlEEPS9_SG_NS0_5tupleIJPjSI_NS0_16reverse_iteratorISI_EEEEENSH_IJSG_SG_SG_EEES9_SI_JZNS1_25segmented_radix_sort_implINS0_14default_configELb1EPKlPlSQ_SR_N2at6native12_GLOBAL__N_18offset_tEEE10hipError_tPvRmT1_PNSt15iterator_traitsISZ_E10value_typeET2_T3_PNS10_IS15_E10value_typeET4_jRbjT5_S1B_jjP12ihipStream_tbEUljE_ZNSN_ISO_Lb1ESQ_SR_SQ_SR_SV_EESW_SX_SY_SZ_S13_S14_S15_S18_S19_jS1A_jS1B_S1B_jjS1D_bEUljE0_EEESW_SX_SY_S15_S19_S1B_T6_T7_T9_mT8_S1D_bDpT10_ENKUlT_T0_E_clISt17integral_constantIbLb0EES1R_EEDaS1M_S1N_EUlS1M_E_NS1_11comp_targetILNS1_3genE8ELNS1_11target_archE1030ELNS1_3gpuE2ELNS1_3repE0EEENS1_30default_config_static_selectorELNS0_4arch9wavefront6targetE0EEEvSZ_, .Lfunc_end643-_ZN7rocprim17ROCPRIM_400000_NS6detail17trampoline_kernelINS0_13select_configILj256ELj13ELNS0_17block_load_methodE3ELS4_3ELS4_3ELNS0_20block_scan_algorithmE0ELj4294967295EEENS1_25partition_config_selectorILNS1_17partition_subalgoE4EjNS0_10empty_typeEbEEZZNS1_14partition_implILS8_4ELb0ES6_15HIP_vector_typeIjLj2EENS0_17counting_iteratorIjlEEPS9_SG_NS0_5tupleIJPjSI_NS0_16reverse_iteratorISI_EEEEENSH_IJSG_SG_SG_EEES9_SI_JZNS1_25segmented_radix_sort_implINS0_14default_configELb1EPKlPlSQ_SR_N2at6native12_GLOBAL__N_18offset_tEEE10hipError_tPvRmT1_PNSt15iterator_traitsISZ_E10value_typeET2_T3_PNS10_IS15_E10value_typeET4_jRbjT5_S1B_jjP12ihipStream_tbEUljE_ZNSN_ISO_Lb1ESQ_SR_SQ_SR_SV_EESW_SX_SY_SZ_S13_S14_S15_S18_S19_jS1A_jS1B_S1B_jjS1D_bEUljE0_EEESW_SX_SY_S15_S19_S1B_T6_T7_T9_mT8_S1D_bDpT10_ENKUlT_T0_E_clISt17integral_constantIbLb0EES1R_EEDaS1M_S1N_EUlS1M_E_NS1_11comp_targetILNS1_3genE8ELNS1_11target_archE1030ELNS1_3gpuE2ELNS1_3repE0EEENS1_30default_config_static_selectorELNS0_4arch9wavefront6targetE0EEEvSZ_
                                        ; -- End function
	.set _ZN7rocprim17ROCPRIM_400000_NS6detail17trampoline_kernelINS0_13select_configILj256ELj13ELNS0_17block_load_methodE3ELS4_3ELS4_3ELNS0_20block_scan_algorithmE0ELj4294967295EEENS1_25partition_config_selectorILNS1_17partition_subalgoE4EjNS0_10empty_typeEbEEZZNS1_14partition_implILS8_4ELb0ES6_15HIP_vector_typeIjLj2EENS0_17counting_iteratorIjlEEPS9_SG_NS0_5tupleIJPjSI_NS0_16reverse_iteratorISI_EEEEENSH_IJSG_SG_SG_EEES9_SI_JZNS1_25segmented_radix_sort_implINS0_14default_configELb1EPKlPlSQ_SR_N2at6native12_GLOBAL__N_18offset_tEEE10hipError_tPvRmT1_PNSt15iterator_traitsISZ_E10value_typeET2_T3_PNS10_IS15_E10value_typeET4_jRbjT5_S1B_jjP12ihipStream_tbEUljE_ZNSN_ISO_Lb1ESQ_SR_SQ_SR_SV_EESW_SX_SY_SZ_S13_S14_S15_S18_S19_jS1A_jS1B_S1B_jjS1D_bEUljE0_EEESW_SX_SY_S15_S19_S1B_T6_T7_T9_mT8_S1D_bDpT10_ENKUlT_T0_E_clISt17integral_constantIbLb0EES1R_EEDaS1M_S1N_EUlS1M_E_NS1_11comp_targetILNS1_3genE8ELNS1_11target_archE1030ELNS1_3gpuE2ELNS1_3repE0EEENS1_30default_config_static_selectorELNS0_4arch9wavefront6targetE0EEEvSZ_.num_vgpr, 0
	.set _ZN7rocprim17ROCPRIM_400000_NS6detail17trampoline_kernelINS0_13select_configILj256ELj13ELNS0_17block_load_methodE3ELS4_3ELS4_3ELNS0_20block_scan_algorithmE0ELj4294967295EEENS1_25partition_config_selectorILNS1_17partition_subalgoE4EjNS0_10empty_typeEbEEZZNS1_14partition_implILS8_4ELb0ES6_15HIP_vector_typeIjLj2EENS0_17counting_iteratorIjlEEPS9_SG_NS0_5tupleIJPjSI_NS0_16reverse_iteratorISI_EEEEENSH_IJSG_SG_SG_EEES9_SI_JZNS1_25segmented_radix_sort_implINS0_14default_configELb1EPKlPlSQ_SR_N2at6native12_GLOBAL__N_18offset_tEEE10hipError_tPvRmT1_PNSt15iterator_traitsISZ_E10value_typeET2_T3_PNS10_IS15_E10value_typeET4_jRbjT5_S1B_jjP12ihipStream_tbEUljE_ZNSN_ISO_Lb1ESQ_SR_SQ_SR_SV_EESW_SX_SY_SZ_S13_S14_S15_S18_S19_jS1A_jS1B_S1B_jjS1D_bEUljE0_EEESW_SX_SY_S15_S19_S1B_T6_T7_T9_mT8_S1D_bDpT10_ENKUlT_T0_E_clISt17integral_constantIbLb0EES1R_EEDaS1M_S1N_EUlS1M_E_NS1_11comp_targetILNS1_3genE8ELNS1_11target_archE1030ELNS1_3gpuE2ELNS1_3repE0EEENS1_30default_config_static_selectorELNS0_4arch9wavefront6targetE0EEEvSZ_.num_agpr, 0
	.set _ZN7rocprim17ROCPRIM_400000_NS6detail17trampoline_kernelINS0_13select_configILj256ELj13ELNS0_17block_load_methodE3ELS4_3ELS4_3ELNS0_20block_scan_algorithmE0ELj4294967295EEENS1_25partition_config_selectorILNS1_17partition_subalgoE4EjNS0_10empty_typeEbEEZZNS1_14partition_implILS8_4ELb0ES6_15HIP_vector_typeIjLj2EENS0_17counting_iteratorIjlEEPS9_SG_NS0_5tupleIJPjSI_NS0_16reverse_iteratorISI_EEEEENSH_IJSG_SG_SG_EEES9_SI_JZNS1_25segmented_radix_sort_implINS0_14default_configELb1EPKlPlSQ_SR_N2at6native12_GLOBAL__N_18offset_tEEE10hipError_tPvRmT1_PNSt15iterator_traitsISZ_E10value_typeET2_T3_PNS10_IS15_E10value_typeET4_jRbjT5_S1B_jjP12ihipStream_tbEUljE_ZNSN_ISO_Lb1ESQ_SR_SQ_SR_SV_EESW_SX_SY_SZ_S13_S14_S15_S18_S19_jS1A_jS1B_S1B_jjS1D_bEUljE0_EEESW_SX_SY_S15_S19_S1B_T6_T7_T9_mT8_S1D_bDpT10_ENKUlT_T0_E_clISt17integral_constantIbLb0EES1R_EEDaS1M_S1N_EUlS1M_E_NS1_11comp_targetILNS1_3genE8ELNS1_11target_archE1030ELNS1_3gpuE2ELNS1_3repE0EEENS1_30default_config_static_selectorELNS0_4arch9wavefront6targetE0EEEvSZ_.numbered_sgpr, 0
	.set _ZN7rocprim17ROCPRIM_400000_NS6detail17trampoline_kernelINS0_13select_configILj256ELj13ELNS0_17block_load_methodE3ELS4_3ELS4_3ELNS0_20block_scan_algorithmE0ELj4294967295EEENS1_25partition_config_selectorILNS1_17partition_subalgoE4EjNS0_10empty_typeEbEEZZNS1_14partition_implILS8_4ELb0ES6_15HIP_vector_typeIjLj2EENS0_17counting_iteratorIjlEEPS9_SG_NS0_5tupleIJPjSI_NS0_16reverse_iteratorISI_EEEEENSH_IJSG_SG_SG_EEES9_SI_JZNS1_25segmented_radix_sort_implINS0_14default_configELb1EPKlPlSQ_SR_N2at6native12_GLOBAL__N_18offset_tEEE10hipError_tPvRmT1_PNSt15iterator_traitsISZ_E10value_typeET2_T3_PNS10_IS15_E10value_typeET4_jRbjT5_S1B_jjP12ihipStream_tbEUljE_ZNSN_ISO_Lb1ESQ_SR_SQ_SR_SV_EESW_SX_SY_SZ_S13_S14_S15_S18_S19_jS1A_jS1B_S1B_jjS1D_bEUljE0_EEESW_SX_SY_S15_S19_S1B_T6_T7_T9_mT8_S1D_bDpT10_ENKUlT_T0_E_clISt17integral_constantIbLb0EES1R_EEDaS1M_S1N_EUlS1M_E_NS1_11comp_targetILNS1_3genE8ELNS1_11target_archE1030ELNS1_3gpuE2ELNS1_3repE0EEENS1_30default_config_static_selectorELNS0_4arch9wavefront6targetE0EEEvSZ_.num_named_barrier, 0
	.set _ZN7rocprim17ROCPRIM_400000_NS6detail17trampoline_kernelINS0_13select_configILj256ELj13ELNS0_17block_load_methodE3ELS4_3ELS4_3ELNS0_20block_scan_algorithmE0ELj4294967295EEENS1_25partition_config_selectorILNS1_17partition_subalgoE4EjNS0_10empty_typeEbEEZZNS1_14partition_implILS8_4ELb0ES6_15HIP_vector_typeIjLj2EENS0_17counting_iteratorIjlEEPS9_SG_NS0_5tupleIJPjSI_NS0_16reverse_iteratorISI_EEEEENSH_IJSG_SG_SG_EEES9_SI_JZNS1_25segmented_radix_sort_implINS0_14default_configELb1EPKlPlSQ_SR_N2at6native12_GLOBAL__N_18offset_tEEE10hipError_tPvRmT1_PNSt15iterator_traitsISZ_E10value_typeET2_T3_PNS10_IS15_E10value_typeET4_jRbjT5_S1B_jjP12ihipStream_tbEUljE_ZNSN_ISO_Lb1ESQ_SR_SQ_SR_SV_EESW_SX_SY_SZ_S13_S14_S15_S18_S19_jS1A_jS1B_S1B_jjS1D_bEUljE0_EEESW_SX_SY_S15_S19_S1B_T6_T7_T9_mT8_S1D_bDpT10_ENKUlT_T0_E_clISt17integral_constantIbLb0EES1R_EEDaS1M_S1N_EUlS1M_E_NS1_11comp_targetILNS1_3genE8ELNS1_11target_archE1030ELNS1_3gpuE2ELNS1_3repE0EEENS1_30default_config_static_selectorELNS0_4arch9wavefront6targetE0EEEvSZ_.private_seg_size, 0
	.set _ZN7rocprim17ROCPRIM_400000_NS6detail17trampoline_kernelINS0_13select_configILj256ELj13ELNS0_17block_load_methodE3ELS4_3ELS4_3ELNS0_20block_scan_algorithmE0ELj4294967295EEENS1_25partition_config_selectorILNS1_17partition_subalgoE4EjNS0_10empty_typeEbEEZZNS1_14partition_implILS8_4ELb0ES6_15HIP_vector_typeIjLj2EENS0_17counting_iteratorIjlEEPS9_SG_NS0_5tupleIJPjSI_NS0_16reverse_iteratorISI_EEEEENSH_IJSG_SG_SG_EEES9_SI_JZNS1_25segmented_radix_sort_implINS0_14default_configELb1EPKlPlSQ_SR_N2at6native12_GLOBAL__N_18offset_tEEE10hipError_tPvRmT1_PNSt15iterator_traitsISZ_E10value_typeET2_T3_PNS10_IS15_E10value_typeET4_jRbjT5_S1B_jjP12ihipStream_tbEUljE_ZNSN_ISO_Lb1ESQ_SR_SQ_SR_SV_EESW_SX_SY_SZ_S13_S14_S15_S18_S19_jS1A_jS1B_S1B_jjS1D_bEUljE0_EEESW_SX_SY_S15_S19_S1B_T6_T7_T9_mT8_S1D_bDpT10_ENKUlT_T0_E_clISt17integral_constantIbLb0EES1R_EEDaS1M_S1N_EUlS1M_E_NS1_11comp_targetILNS1_3genE8ELNS1_11target_archE1030ELNS1_3gpuE2ELNS1_3repE0EEENS1_30default_config_static_selectorELNS0_4arch9wavefront6targetE0EEEvSZ_.uses_vcc, 0
	.set _ZN7rocprim17ROCPRIM_400000_NS6detail17trampoline_kernelINS0_13select_configILj256ELj13ELNS0_17block_load_methodE3ELS4_3ELS4_3ELNS0_20block_scan_algorithmE0ELj4294967295EEENS1_25partition_config_selectorILNS1_17partition_subalgoE4EjNS0_10empty_typeEbEEZZNS1_14partition_implILS8_4ELb0ES6_15HIP_vector_typeIjLj2EENS0_17counting_iteratorIjlEEPS9_SG_NS0_5tupleIJPjSI_NS0_16reverse_iteratorISI_EEEEENSH_IJSG_SG_SG_EEES9_SI_JZNS1_25segmented_radix_sort_implINS0_14default_configELb1EPKlPlSQ_SR_N2at6native12_GLOBAL__N_18offset_tEEE10hipError_tPvRmT1_PNSt15iterator_traitsISZ_E10value_typeET2_T3_PNS10_IS15_E10value_typeET4_jRbjT5_S1B_jjP12ihipStream_tbEUljE_ZNSN_ISO_Lb1ESQ_SR_SQ_SR_SV_EESW_SX_SY_SZ_S13_S14_S15_S18_S19_jS1A_jS1B_S1B_jjS1D_bEUljE0_EEESW_SX_SY_S15_S19_S1B_T6_T7_T9_mT8_S1D_bDpT10_ENKUlT_T0_E_clISt17integral_constantIbLb0EES1R_EEDaS1M_S1N_EUlS1M_E_NS1_11comp_targetILNS1_3genE8ELNS1_11target_archE1030ELNS1_3gpuE2ELNS1_3repE0EEENS1_30default_config_static_selectorELNS0_4arch9wavefront6targetE0EEEvSZ_.uses_flat_scratch, 0
	.set _ZN7rocprim17ROCPRIM_400000_NS6detail17trampoline_kernelINS0_13select_configILj256ELj13ELNS0_17block_load_methodE3ELS4_3ELS4_3ELNS0_20block_scan_algorithmE0ELj4294967295EEENS1_25partition_config_selectorILNS1_17partition_subalgoE4EjNS0_10empty_typeEbEEZZNS1_14partition_implILS8_4ELb0ES6_15HIP_vector_typeIjLj2EENS0_17counting_iteratorIjlEEPS9_SG_NS0_5tupleIJPjSI_NS0_16reverse_iteratorISI_EEEEENSH_IJSG_SG_SG_EEES9_SI_JZNS1_25segmented_radix_sort_implINS0_14default_configELb1EPKlPlSQ_SR_N2at6native12_GLOBAL__N_18offset_tEEE10hipError_tPvRmT1_PNSt15iterator_traitsISZ_E10value_typeET2_T3_PNS10_IS15_E10value_typeET4_jRbjT5_S1B_jjP12ihipStream_tbEUljE_ZNSN_ISO_Lb1ESQ_SR_SQ_SR_SV_EESW_SX_SY_SZ_S13_S14_S15_S18_S19_jS1A_jS1B_S1B_jjS1D_bEUljE0_EEESW_SX_SY_S15_S19_S1B_T6_T7_T9_mT8_S1D_bDpT10_ENKUlT_T0_E_clISt17integral_constantIbLb0EES1R_EEDaS1M_S1N_EUlS1M_E_NS1_11comp_targetILNS1_3genE8ELNS1_11target_archE1030ELNS1_3gpuE2ELNS1_3repE0EEENS1_30default_config_static_selectorELNS0_4arch9wavefront6targetE0EEEvSZ_.has_dyn_sized_stack, 0
	.set _ZN7rocprim17ROCPRIM_400000_NS6detail17trampoline_kernelINS0_13select_configILj256ELj13ELNS0_17block_load_methodE3ELS4_3ELS4_3ELNS0_20block_scan_algorithmE0ELj4294967295EEENS1_25partition_config_selectorILNS1_17partition_subalgoE4EjNS0_10empty_typeEbEEZZNS1_14partition_implILS8_4ELb0ES6_15HIP_vector_typeIjLj2EENS0_17counting_iteratorIjlEEPS9_SG_NS0_5tupleIJPjSI_NS0_16reverse_iteratorISI_EEEEENSH_IJSG_SG_SG_EEES9_SI_JZNS1_25segmented_radix_sort_implINS0_14default_configELb1EPKlPlSQ_SR_N2at6native12_GLOBAL__N_18offset_tEEE10hipError_tPvRmT1_PNSt15iterator_traitsISZ_E10value_typeET2_T3_PNS10_IS15_E10value_typeET4_jRbjT5_S1B_jjP12ihipStream_tbEUljE_ZNSN_ISO_Lb1ESQ_SR_SQ_SR_SV_EESW_SX_SY_SZ_S13_S14_S15_S18_S19_jS1A_jS1B_S1B_jjS1D_bEUljE0_EEESW_SX_SY_S15_S19_S1B_T6_T7_T9_mT8_S1D_bDpT10_ENKUlT_T0_E_clISt17integral_constantIbLb0EES1R_EEDaS1M_S1N_EUlS1M_E_NS1_11comp_targetILNS1_3genE8ELNS1_11target_archE1030ELNS1_3gpuE2ELNS1_3repE0EEENS1_30default_config_static_selectorELNS0_4arch9wavefront6targetE0EEEvSZ_.has_recursion, 0
	.set _ZN7rocprim17ROCPRIM_400000_NS6detail17trampoline_kernelINS0_13select_configILj256ELj13ELNS0_17block_load_methodE3ELS4_3ELS4_3ELNS0_20block_scan_algorithmE0ELj4294967295EEENS1_25partition_config_selectorILNS1_17partition_subalgoE4EjNS0_10empty_typeEbEEZZNS1_14partition_implILS8_4ELb0ES6_15HIP_vector_typeIjLj2EENS0_17counting_iteratorIjlEEPS9_SG_NS0_5tupleIJPjSI_NS0_16reverse_iteratorISI_EEEEENSH_IJSG_SG_SG_EEES9_SI_JZNS1_25segmented_radix_sort_implINS0_14default_configELb1EPKlPlSQ_SR_N2at6native12_GLOBAL__N_18offset_tEEE10hipError_tPvRmT1_PNSt15iterator_traitsISZ_E10value_typeET2_T3_PNS10_IS15_E10value_typeET4_jRbjT5_S1B_jjP12ihipStream_tbEUljE_ZNSN_ISO_Lb1ESQ_SR_SQ_SR_SV_EESW_SX_SY_SZ_S13_S14_S15_S18_S19_jS1A_jS1B_S1B_jjS1D_bEUljE0_EEESW_SX_SY_S15_S19_S1B_T6_T7_T9_mT8_S1D_bDpT10_ENKUlT_T0_E_clISt17integral_constantIbLb0EES1R_EEDaS1M_S1N_EUlS1M_E_NS1_11comp_targetILNS1_3genE8ELNS1_11target_archE1030ELNS1_3gpuE2ELNS1_3repE0EEENS1_30default_config_static_selectorELNS0_4arch9wavefront6targetE0EEEvSZ_.has_indirect_call, 0
	.section	.AMDGPU.csdata,"",@progbits
; Kernel info:
; codeLenInByte = 0
; TotalNumSgprs: 0
; NumVgprs: 0
; ScratchSize: 0
; MemoryBound: 0
; FloatMode: 240
; IeeeMode: 1
; LDSByteSize: 0 bytes/workgroup (compile time only)
; SGPRBlocks: 0
; VGPRBlocks: 0
; NumSGPRsForWavesPerEU: 1
; NumVGPRsForWavesPerEU: 1
; NamedBarCnt: 0
; Occupancy: 16
; WaveLimiterHint : 0
; COMPUTE_PGM_RSRC2:SCRATCH_EN: 0
; COMPUTE_PGM_RSRC2:USER_SGPR: 2
; COMPUTE_PGM_RSRC2:TRAP_HANDLER: 0
; COMPUTE_PGM_RSRC2:TGID_X_EN: 1
; COMPUTE_PGM_RSRC2:TGID_Y_EN: 0
; COMPUTE_PGM_RSRC2:TGID_Z_EN: 0
; COMPUTE_PGM_RSRC2:TIDIG_COMP_CNT: 0
	.section	.text._ZN7rocprim17ROCPRIM_400000_NS6detail17trampoline_kernelINS0_13select_configILj256ELj13ELNS0_17block_load_methodE3ELS4_3ELS4_3ELNS0_20block_scan_algorithmE0ELj4294967295EEENS1_25partition_config_selectorILNS1_17partition_subalgoE4EjNS0_10empty_typeEbEEZZNS1_14partition_implILS8_4ELb0ES6_15HIP_vector_typeIjLj2EENS0_17counting_iteratorIjlEEPS9_SG_NS0_5tupleIJPjSI_NS0_16reverse_iteratorISI_EEEEENSH_IJSG_SG_SG_EEES9_SI_JZNS1_25segmented_radix_sort_implINS0_14default_configELb1EPKlPlSQ_SR_N2at6native12_GLOBAL__N_18offset_tEEE10hipError_tPvRmT1_PNSt15iterator_traitsISZ_E10value_typeET2_T3_PNS10_IS15_E10value_typeET4_jRbjT5_S1B_jjP12ihipStream_tbEUljE_ZNSN_ISO_Lb1ESQ_SR_SQ_SR_SV_EESW_SX_SY_SZ_S13_S14_S15_S18_S19_jS1A_jS1B_S1B_jjS1D_bEUljE0_EEESW_SX_SY_S15_S19_S1B_T6_T7_T9_mT8_S1D_bDpT10_ENKUlT_T0_E_clISt17integral_constantIbLb1EES1R_EEDaS1M_S1N_EUlS1M_E_NS1_11comp_targetILNS1_3genE0ELNS1_11target_archE4294967295ELNS1_3gpuE0ELNS1_3repE0EEENS1_30default_config_static_selectorELNS0_4arch9wavefront6targetE0EEEvSZ_,"axG",@progbits,_ZN7rocprim17ROCPRIM_400000_NS6detail17trampoline_kernelINS0_13select_configILj256ELj13ELNS0_17block_load_methodE3ELS4_3ELS4_3ELNS0_20block_scan_algorithmE0ELj4294967295EEENS1_25partition_config_selectorILNS1_17partition_subalgoE4EjNS0_10empty_typeEbEEZZNS1_14partition_implILS8_4ELb0ES6_15HIP_vector_typeIjLj2EENS0_17counting_iteratorIjlEEPS9_SG_NS0_5tupleIJPjSI_NS0_16reverse_iteratorISI_EEEEENSH_IJSG_SG_SG_EEES9_SI_JZNS1_25segmented_radix_sort_implINS0_14default_configELb1EPKlPlSQ_SR_N2at6native12_GLOBAL__N_18offset_tEEE10hipError_tPvRmT1_PNSt15iterator_traitsISZ_E10value_typeET2_T3_PNS10_IS15_E10value_typeET4_jRbjT5_S1B_jjP12ihipStream_tbEUljE_ZNSN_ISO_Lb1ESQ_SR_SQ_SR_SV_EESW_SX_SY_SZ_S13_S14_S15_S18_S19_jS1A_jS1B_S1B_jjS1D_bEUljE0_EEESW_SX_SY_S15_S19_S1B_T6_T7_T9_mT8_S1D_bDpT10_ENKUlT_T0_E_clISt17integral_constantIbLb1EES1R_EEDaS1M_S1N_EUlS1M_E_NS1_11comp_targetILNS1_3genE0ELNS1_11target_archE4294967295ELNS1_3gpuE0ELNS1_3repE0EEENS1_30default_config_static_selectorELNS0_4arch9wavefront6targetE0EEEvSZ_,comdat
	.globl	_ZN7rocprim17ROCPRIM_400000_NS6detail17trampoline_kernelINS0_13select_configILj256ELj13ELNS0_17block_load_methodE3ELS4_3ELS4_3ELNS0_20block_scan_algorithmE0ELj4294967295EEENS1_25partition_config_selectorILNS1_17partition_subalgoE4EjNS0_10empty_typeEbEEZZNS1_14partition_implILS8_4ELb0ES6_15HIP_vector_typeIjLj2EENS0_17counting_iteratorIjlEEPS9_SG_NS0_5tupleIJPjSI_NS0_16reverse_iteratorISI_EEEEENSH_IJSG_SG_SG_EEES9_SI_JZNS1_25segmented_radix_sort_implINS0_14default_configELb1EPKlPlSQ_SR_N2at6native12_GLOBAL__N_18offset_tEEE10hipError_tPvRmT1_PNSt15iterator_traitsISZ_E10value_typeET2_T3_PNS10_IS15_E10value_typeET4_jRbjT5_S1B_jjP12ihipStream_tbEUljE_ZNSN_ISO_Lb1ESQ_SR_SQ_SR_SV_EESW_SX_SY_SZ_S13_S14_S15_S18_S19_jS1A_jS1B_S1B_jjS1D_bEUljE0_EEESW_SX_SY_S15_S19_S1B_T6_T7_T9_mT8_S1D_bDpT10_ENKUlT_T0_E_clISt17integral_constantIbLb1EES1R_EEDaS1M_S1N_EUlS1M_E_NS1_11comp_targetILNS1_3genE0ELNS1_11target_archE4294967295ELNS1_3gpuE0ELNS1_3repE0EEENS1_30default_config_static_selectorELNS0_4arch9wavefront6targetE0EEEvSZ_ ; -- Begin function _ZN7rocprim17ROCPRIM_400000_NS6detail17trampoline_kernelINS0_13select_configILj256ELj13ELNS0_17block_load_methodE3ELS4_3ELS4_3ELNS0_20block_scan_algorithmE0ELj4294967295EEENS1_25partition_config_selectorILNS1_17partition_subalgoE4EjNS0_10empty_typeEbEEZZNS1_14partition_implILS8_4ELb0ES6_15HIP_vector_typeIjLj2EENS0_17counting_iteratorIjlEEPS9_SG_NS0_5tupleIJPjSI_NS0_16reverse_iteratorISI_EEEEENSH_IJSG_SG_SG_EEES9_SI_JZNS1_25segmented_radix_sort_implINS0_14default_configELb1EPKlPlSQ_SR_N2at6native12_GLOBAL__N_18offset_tEEE10hipError_tPvRmT1_PNSt15iterator_traitsISZ_E10value_typeET2_T3_PNS10_IS15_E10value_typeET4_jRbjT5_S1B_jjP12ihipStream_tbEUljE_ZNSN_ISO_Lb1ESQ_SR_SQ_SR_SV_EESW_SX_SY_SZ_S13_S14_S15_S18_S19_jS1A_jS1B_S1B_jjS1D_bEUljE0_EEESW_SX_SY_S15_S19_S1B_T6_T7_T9_mT8_S1D_bDpT10_ENKUlT_T0_E_clISt17integral_constantIbLb1EES1R_EEDaS1M_S1N_EUlS1M_E_NS1_11comp_targetILNS1_3genE0ELNS1_11target_archE4294967295ELNS1_3gpuE0ELNS1_3repE0EEENS1_30default_config_static_selectorELNS0_4arch9wavefront6targetE0EEEvSZ_
	.p2align	8
	.type	_ZN7rocprim17ROCPRIM_400000_NS6detail17trampoline_kernelINS0_13select_configILj256ELj13ELNS0_17block_load_methodE3ELS4_3ELS4_3ELNS0_20block_scan_algorithmE0ELj4294967295EEENS1_25partition_config_selectorILNS1_17partition_subalgoE4EjNS0_10empty_typeEbEEZZNS1_14partition_implILS8_4ELb0ES6_15HIP_vector_typeIjLj2EENS0_17counting_iteratorIjlEEPS9_SG_NS0_5tupleIJPjSI_NS0_16reverse_iteratorISI_EEEEENSH_IJSG_SG_SG_EEES9_SI_JZNS1_25segmented_radix_sort_implINS0_14default_configELb1EPKlPlSQ_SR_N2at6native12_GLOBAL__N_18offset_tEEE10hipError_tPvRmT1_PNSt15iterator_traitsISZ_E10value_typeET2_T3_PNS10_IS15_E10value_typeET4_jRbjT5_S1B_jjP12ihipStream_tbEUljE_ZNSN_ISO_Lb1ESQ_SR_SQ_SR_SV_EESW_SX_SY_SZ_S13_S14_S15_S18_S19_jS1A_jS1B_S1B_jjS1D_bEUljE0_EEESW_SX_SY_S15_S19_S1B_T6_T7_T9_mT8_S1D_bDpT10_ENKUlT_T0_E_clISt17integral_constantIbLb1EES1R_EEDaS1M_S1N_EUlS1M_E_NS1_11comp_targetILNS1_3genE0ELNS1_11target_archE4294967295ELNS1_3gpuE0ELNS1_3repE0EEENS1_30default_config_static_selectorELNS0_4arch9wavefront6targetE0EEEvSZ_,@function
_ZN7rocprim17ROCPRIM_400000_NS6detail17trampoline_kernelINS0_13select_configILj256ELj13ELNS0_17block_load_methodE3ELS4_3ELS4_3ELNS0_20block_scan_algorithmE0ELj4294967295EEENS1_25partition_config_selectorILNS1_17partition_subalgoE4EjNS0_10empty_typeEbEEZZNS1_14partition_implILS8_4ELb0ES6_15HIP_vector_typeIjLj2EENS0_17counting_iteratorIjlEEPS9_SG_NS0_5tupleIJPjSI_NS0_16reverse_iteratorISI_EEEEENSH_IJSG_SG_SG_EEES9_SI_JZNS1_25segmented_radix_sort_implINS0_14default_configELb1EPKlPlSQ_SR_N2at6native12_GLOBAL__N_18offset_tEEE10hipError_tPvRmT1_PNSt15iterator_traitsISZ_E10value_typeET2_T3_PNS10_IS15_E10value_typeET4_jRbjT5_S1B_jjP12ihipStream_tbEUljE_ZNSN_ISO_Lb1ESQ_SR_SQ_SR_SV_EESW_SX_SY_SZ_S13_S14_S15_S18_S19_jS1A_jS1B_S1B_jjS1D_bEUljE0_EEESW_SX_SY_S15_S19_S1B_T6_T7_T9_mT8_S1D_bDpT10_ENKUlT_T0_E_clISt17integral_constantIbLb1EES1R_EEDaS1M_S1N_EUlS1M_E_NS1_11comp_targetILNS1_3genE0ELNS1_11target_archE4294967295ELNS1_3gpuE0ELNS1_3repE0EEENS1_30default_config_static_selectorELNS0_4arch9wavefront6targetE0EEEvSZ_: ; @_ZN7rocprim17ROCPRIM_400000_NS6detail17trampoline_kernelINS0_13select_configILj256ELj13ELNS0_17block_load_methodE3ELS4_3ELS4_3ELNS0_20block_scan_algorithmE0ELj4294967295EEENS1_25partition_config_selectorILNS1_17partition_subalgoE4EjNS0_10empty_typeEbEEZZNS1_14partition_implILS8_4ELb0ES6_15HIP_vector_typeIjLj2EENS0_17counting_iteratorIjlEEPS9_SG_NS0_5tupleIJPjSI_NS0_16reverse_iteratorISI_EEEEENSH_IJSG_SG_SG_EEES9_SI_JZNS1_25segmented_radix_sort_implINS0_14default_configELb1EPKlPlSQ_SR_N2at6native12_GLOBAL__N_18offset_tEEE10hipError_tPvRmT1_PNSt15iterator_traitsISZ_E10value_typeET2_T3_PNS10_IS15_E10value_typeET4_jRbjT5_S1B_jjP12ihipStream_tbEUljE_ZNSN_ISO_Lb1ESQ_SR_SQ_SR_SV_EESW_SX_SY_SZ_S13_S14_S15_S18_S19_jS1A_jS1B_S1B_jjS1D_bEUljE0_EEESW_SX_SY_S15_S19_S1B_T6_T7_T9_mT8_S1D_bDpT10_ENKUlT_T0_E_clISt17integral_constantIbLb1EES1R_EEDaS1M_S1N_EUlS1M_E_NS1_11comp_targetILNS1_3genE0ELNS1_11target_archE4294967295ELNS1_3gpuE0ELNS1_3repE0EEENS1_30default_config_static_selectorELNS0_4arch9wavefront6targetE0EEEvSZ_
; %bb.0:
	s_endpgm
	.section	.rodata,"a",@progbits
	.p2align	6, 0x0
	.amdhsa_kernel _ZN7rocprim17ROCPRIM_400000_NS6detail17trampoline_kernelINS0_13select_configILj256ELj13ELNS0_17block_load_methodE3ELS4_3ELS4_3ELNS0_20block_scan_algorithmE0ELj4294967295EEENS1_25partition_config_selectorILNS1_17partition_subalgoE4EjNS0_10empty_typeEbEEZZNS1_14partition_implILS8_4ELb0ES6_15HIP_vector_typeIjLj2EENS0_17counting_iteratorIjlEEPS9_SG_NS0_5tupleIJPjSI_NS0_16reverse_iteratorISI_EEEEENSH_IJSG_SG_SG_EEES9_SI_JZNS1_25segmented_radix_sort_implINS0_14default_configELb1EPKlPlSQ_SR_N2at6native12_GLOBAL__N_18offset_tEEE10hipError_tPvRmT1_PNSt15iterator_traitsISZ_E10value_typeET2_T3_PNS10_IS15_E10value_typeET4_jRbjT5_S1B_jjP12ihipStream_tbEUljE_ZNSN_ISO_Lb1ESQ_SR_SQ_SR_SV_EESW_SX_SY_SZ_S13_S14_S15_S18_S19_jS1A_jS1B_S1B_jjS1D_bEUljE0_EEESW_SX_SY_S15_S19_S1B_T6_T7_T9_mT8_S1D_bDpT10_ENKUlT_T0_E_clISt17integral_constantIbLb1EES1R_EEDaS1M_S1N_EUlS1M_E_NS1_11comp_targetILNS1_3genE0ELNS1_11target_archE4294967295ELNS1_3gpuE0ELNS1_3repE0EEENS1_30default_config_static_selectorELNS0_4arch9wavefront6targetE0EEEvSZ_
		.amdhsa_group_segment_fixed_size 0
		.amdhsa_private_segment_fixed_size 0
		.amdhsa_kernarg_size 184
		.amdhsa_user_sgpr_count 2
		.amdhsa_user_sgpr_dispatch_ptr 0
		.amdhsa_user_sgpr_queue_ptr 0
		.amdhsa_user_sgpr_kernarg_segment_ptr 1
		.amdhsa_user_sgpr_dispatch_id 0
		.amdhsa_user_sgpr_kernarg_preload_length 0
		.amdhsa_user_sgpr_kernarg_preload_offset 0
		.amdhsa_user_sgpr_private_segment_size 0
		.amdhsa_wavefront_size32 1
		.amdhsa_uses_dynamic_stack 0
		.amdhsa_enable_private_segment 0
		.amdhsa_system_sgpr_workgroup_id_x 1
		.amdhsa_system_sgpr_workgroup_id_y 0
		.amdhsa_system_sgpr_workgroup_id_z 0
		.amdhsa_system_sgpr_workgroup_info 0
		.amdhsa_system_vgpr_workitem_id 0
		.amdhsa_next_free_vgpr 1
		.amdhsa_next_free_sgpr 1
		.amdhsa_named_barrier_count 0
		.amdhsa_reserve_vcc 0
		.amdhsa_float_round_mode_32 0
		.amdhsa_float_round_mode_16_64 0
		.amdhsa_float_denorm_mode_32 3
		.amdhsa_float_denorm_mode_16_64 3
		.amdhsa_fp16_overflow 0
		.amdhsa_memory_ordered 1
		.amdhsa_forward_progress 1
		.amdhsa_inst_pref_size 1
		.amdhsa_round_robin_scheduling 0
		.amdhsa_exception_fp_ieee_invalid_op 0
		.amdhsa_exception_fp_denorm_src 0
		.amdhsa_exception_fp_ieee_div_zero 0
		.amdhsa_exception_fp_ieee_overflow 0
		.amdhsa_exception_fp_ieee_underflow 0
		.amdhsa_exception_fp_ieee_inexact 0
		.amdhsa_exception_int_div_zero 0
	.end_amdhsa_kernel
	.section	.text._ZN7rocprim17ROCPRIM_400000_NS6detail17trampoline_kernelINS0_13select_configILj256ELj13ELNS0_17block_load_methodE3ELS4_3ELS4_3ELNS0_20block_scan_algorithmE0ELj4294967295EEENS1_25partition_config_selectorILNS1_17partition_subalgoE4EjNS0_10empty_typeEbEEZZNS1_14partition_implILS8_4ELb0ES6_15HIP_vector_typeIjLj2EENS0_17counting_iteratorIjlEEPS9_SG_NS0_5tupleIJPjSI_NS0_16reverse_iteratorISI_EEEEENSH_IJSG_SG_SG_EEES9_SI_JZNS1_25segmented_radix_sort_implINS0_14default_configELb1EPKlPlSQ_SR_N2at6native12_GLOBAL__N_18offset_tEEE10hipError_tPvRmT1_PNSt15iterator_traitsISZ_E10value_typeET2_T3_PNS10_IS15_E10value_typeET4_jRbjT5_S1B_jjP12ihipStream_tbEUljE_ZNSN_ISO_Lb1ESQ_SR_SQ_SR_SV_EESW_SX_SY_SZ_S13_S14_S15_S18_S19_jS1A_jS1B_S1B_jjS1D_bEUljE0_EEESW_SX_SY_S15_S19_S1B_T6_T7_T9_mT8_S1D_bDpT10_ENKUlT_T0_E_clISt17integral_constantIbLb1EES1R_EEDaS1M_S1N_EUlS1M_E_NS1_11comp_targetILNS1_3genE0ELNS1_11target_archE4294967295ELNS1_3gpuE0ELNS1_3repE0EEENS1_30default_config_static_selectorELNS0_4arch9wavefront6targetE0EEEvSZ_,"axG",@progbits,_ZN7rocprim17ROCPRIM_400000_NS6detail17trampoline_kernelINS0_13select_configILj256ELj13ELNS0_17block_load_methodE3ELS4_3ELS4_3ELNS0_20block_scan_algorithmE0ELj4294967295EEENS1_25partition_config_selectorILNS1_17partition_subalgoE4EjNS0_10empty_typeEbEEZZNS1_14partition_implILS8_4ELb0ES6_15HIP_vector_typeIjLj2EENS0_17counting_iteratorIjlEEPS9_SG_NS0_5tupleIJPjSI_NS0_16reverse_iteratorISI_EEEEENSH_IJSG_SG_SG_EEES9_SI_JZNS1_25segmented_radix_sort_implINS0_14default_configELb1EPKlPlSQ_SR_N2at6native12_GLOBAL__N_18offset_tEEE10hipError_tPvRmT1_PNSt15iterator_traitsISZ_E10value_typeET2_T3_PNS10_IS15_E10value_typeET4_jRbjT5_S1B_jjP12ihipStream_tbEUljE_ZNSN_ISO_Lb1ESQ_SR_SQ_SR_SV_EESW_SX_SY_SZ_S13_S14_S15_S18_S19_jS1A_jS1B_S1B_jjS1D_bEUljE0_EEESW_SX_SY_S15_S19_S1B_T6_T7_T9_mT8_S1D_bDpT10_ENKUlT_T0_E_clISt17integral_constantIbLb1EES1R_EEDaS1M_S1N_EUlS1M_E_NS1_11comp_targetILNS1_3genE0ELNS1_11target_archE4294967295ELNS1_3gpuE0ELNS1_3repE0EEENS1_30default_config_static_selectorELNS0_4arch9wavefront6targetE0EEEvSZ_,comdat
.Lfunc_end644:
	.size	_ZN7rocprim17ROCPRIM_400000_NS6detail17trampoline_kernelINS0_13select_configILj256ELj13ELNS0_17block_load_methodE3ELS4_3ELS4_3ELNS0_20block_scan_algorithmE0ELj4294967295EEENS1_25partition_config_selectorILNS1_17partition_subalgoE4EjNS0_10empty_typeEbEEZZNS1_14partition_implILS8_4ELb0ES6_15HIP_vector_typeIjLj2EENS0_17counting_iteratorIjlEEPS9_SG_NS0_5tupleIJPjSI_NS0_16reverse_iteratorISI_EEEEENSH_IJSG_SG_SG_EEES9_SI_JZNS1_25segmented_radix_sort_implINS0_14default_configELb1EPKlPlSQ_SR_N2at6native12_GLOBAL__N_18offset_tEEE10hipError_tPvRmT1_PNSt15iterator_traitsISZ_E10value_typeET2_T3_PNS10_IS15_E10value_typeET4_jRbjT5_S1B_jjP12ihipStream_tbEUljE_ZNSN_ISO_Lb1ESQ_SR_SQ_SR_SV_EESW_SX_SY_SZ_S13_S14_S15_S18_S19_jS1A_jS1B_S1B_jjS1D_bEUljE0_EEESW_SX_SY_S15_S19_S1B_T6_T7_T9_mT8_S1D_bDpT10_ENKUlT_T0_E_clISt17integral_constantIbLb1EES1R_EEDaS1M_S1N_EUlS1M_E_NS1_11comp_targetILNS1_3genE0ELNS1_11target_archE4294967295ELNS1_3gpuE0ELNS1_3repE0EEENS1_30default_config_static_selectorELNS0_4arch9wavefront6targetE0EEEvSZ_, .Lfunc_end644-_ZN7rocprim17ROCPRIM_400000_NS6detail17trampoline_kernelINS0_13select_configILj256ELj13ELNS0_17block_load_methodE3ELS4_3ELS4_3ELNS0_20block_scan_algorithmE0ELj4294967295EEENS1_25partition_config_selectorILNS1_17partition_subalgoE4EjNS0_10empty_typeEbEEZZNS1_14partition_implILS8_4ELb0ES6_15HIP_vector_typeIjLj2EENS0_17counting_iteratorIjlEEPS9_SG_NS0_5tupleIJPjSI_NS0_16reverse_iteratorISI_EEEEENSH_IJSG_SG_SG_EEES9_SI_JZNS1_25segmented_radix_sort_implINS0_14default_configELb1EPKlPlSQ_SR_N2at6native12_GLOBAL__N_18offset_tEEE10hipError_tPvRmT1_PNSt15iterator_traitsISZ_E10value_typeET2_T3_PNS10_IS15_E10value_typeET4_jRbjT5_S1B_jjP12ihipStream_tbEUljE_ZNSN_ISO_Lb1ESQ_SR_SQ_SR_SV_EESW_SX_SY_SZ_S13_S14_S15_S18_S19_jS1A_jS1B_S1B_jjS1D_bEUljE0_EEESW_SX_SY_S15_S19_S1B_T6_T7_T9_mT8_S1D_bDpT10_ENKUlT_T0_E_clISt17integral_constantIbLb1EES1R_EEDaS1M_S1N_EUlS1M_E_NS1_11comp_targetILNS1_3genE0ELNS1_11target_archE4294967295ELNS1_3gpuE0ELNS1_3repE0EEENS1_30default_config_static_selectorELNS0_4arch9wavefront6targetE0EEEvSZ_
                                        ; -- End function
	.set _ZN7rocprim17ROCPRIM_400000_NS6detail17trampoline_kernelINS0_13select_configILj256ELj13ELNS0_17block_load_methodE3ELS4_3ELS4_3ELNS0_20block_scan_algorithmE0ELj4294967295EEENS1_25partition_config_selectorILNS1_17partition_subalgoE4EjNS0_10empty_typeEbEEZZNS1_14partition_implILS8_4ELb0ES6_15HIP_vector_typeIjLj2EENS0_17counting_iteratorIjlEEPS9_SG_NS0_5tupleIJPjSI_NS0_16reverse_iteratorISI_EEEEENSH_IJSG_SG_SG_EEES9_SI_JZNS1_25segmented_radix_sort_implINS0_14default_configELb1EPKlPlSQ_SR_N2at6native12_GLOBAL__N_18offset_tEEE10hipError_tPvRmT1_PNSt15iterator_traitsISZ_E10value_typeET2_T3_PNS10_IS15_E10value_typeET4_jRbjT5_S1B_jjP12ihipStream_tbEUljE_ZNSN_ISO_Lb1ESQ_SR_SQ_SR_SV_EESW_SX_SY_SZ_S13_S14_S15_S18_S19_jS1A_jS1B_S1B_jjS1D_bEUljE0_EEESW_SX_SY_S15_S19_S1B_T6_T7_T9_mT8_S1D_bDpT10_ENKUlT_T0_E_clISt17integral_constantIbLb1EES1R_EEDaS1M_S1N_EUlS1M_E_NS1_11comp_targetILNS1_3genE0ELNS1_11target_archE4294967295ELNS1_3gpuE0ELNS1_3repE0EEENS1_30default_config_static_selectorELNS0_4arch9wavefront6targetE0EEEvSZ_.num_vgpr, 0
	.set _ZN7rocprim17ROCPRIM_400000_NS6detail17trampoline_kernelINS0_13select_configILj256ELj13ELNS0_17block_load_methodE3ELS4_3ELS4_3ELNS0_20block_scan_algorithmE0ELj4294967295EEENS1_25partition_config_selectorILNS1_17partition_subalgoE4EjNS0_10empty_typeEbEEZZNS1_14partition_implILS8_4ELb0ES6_15HIP_vector_typeIjLj2EENS0_17counting_iteratorIjlEEPS9_SG_NS0_5tupleIJPjSI_NS0_16reverse_iteratorISI_EEEEENSH_IJSG_SG_SG_EEES9_SI_JZNS1_25segmented_radix_sort_implINS0_14default_configELb1EPKlPlSQ_SR_N2at6native12_GLOBAL__N_18offset_tEEE10hipError_tPvRmT1_PNSt15iterator_traitsISZ_E10value_typeET2_T3_PNS10_IS15_E10value_typeET4_jRbjT5_S1B_jjP12ihipStream_tbEUljE_ZNSN_ISO_Lb1ESQ_SR_SQ_SR_SV_EESW_SX_SY_SZ_S13_S14_S15_S18_S19_jS1A_jS1B_S1B_jjS1D_bEUljE0_EEESW_SX_SY_S15_S19_S1B_T6_T7_T9_mT8_S1D_bDpT10_ENKUlT_T0_E_clISt17integral_constantIbLb1EES1R_EEDaS1M_S1N_EUlS1M_E_NS1_11comp_targetILNS1_3genE0ELNS1_11target_archE4294967295ELNS1_3gpuE0ELNS1_3repE0EEENS1_30default_config_static_selectorELNS0_4arch9wavefront6targetE0EEEvSZ_.num_agpr, 0
	.set _ZN7rocprim17ROCPRIM_400000_NS6detail17trampoline_kernelINS0_13select_configILj256ELj13ELNS0_17block_load_methodE3ELS4_3ELS4_3ELNS0_20block_scan_algorithmE0ELj4294967295EEENS1_25partition_config_selectorILNS1_17partition_subalgoE4EjNS0_10empty_typeEbEEZZNS1_14partition_implILS8_4ELb0ES6_15HIP_vector_typeIjLj2EENS0_17counting_iteratorIjlEEPS9_SG_NS0_5tupleIJPjSI_NS0_16reverse_iteratorISI_EEEEENSH_IJSG_SG_SG_EEES9_SI_JZNS1_25segmented_radix_sort_implINS0_14default_configELb1EPKlPlSQ_SR_N2at6native12_GLOBAL__N_18offset_tEEE10hipError_tPvRmT1_PNSt15iterator_traitsISZ_E10value_typeET2_T3_PNS10_IS15_E10value_typeET4_jRbjT5_S1B_jjP12ihipStream_tbEUljE_ZNSN_ISO_Lb1ESQ_SR_SQ_SR_SV_EESW_SX_SY_SZ_S13_S14_S15_S18_S19_jS1A_jS1B_S1B_jjS1D_bEUljE0_EEESW_SX_SY_S15_S19_S1B_T6_T7_T9_mT8_S1D_bDpT10_ENKUlT_T0_E_clISt17integral_constantIbLb1EES1R_EEDaS1M_S1N_EUlS1M_E_NS1_11comp_targetILNS1_3genE0ELNS1_11target_archE4294967295ELNS1_3gpuE0ELNS1_3repE0EEENS1_30default_config_static_selectorELNS0_4arch9wavefront6targetE0EEEvSZ_.numbered_sgpr, 0
	.set _ZN7rocprim17ROCPRIM_400000_NS6detail17trampoline_kernelINS0_13select_configILj256ELj13ELNS0_17block_load_methodE3ELS4_3ELS4_3ELNS0_20block_scan_algorithmE0ELj4294967295EEENS1_25partition_config_selectorILNS1_17partition_subalgoE4EjNS0_10empty_typeEbEEZZNS1_14partition_implILS8_4ELb0ES6_15HIP_vector_typeIjLj2EENS0_17counting_iteratorIjlEEPS9_SG_NS0_5tupleIJPjSI_NS0_16reverse_iteratorISI_EEEEENSH_IJSG_SG_SG_EEES9_SI_JZNS1_25segmented_radix_sort_implINS0_14default_configELb1EPKlPlSQ_SR_N2at6native12_GLOBAL__N_18offset_tEEE10hipError_tPvRmT1_PNSt15iterator_traitsISZ_E10value_typeET2_T3_PNS10_IS15_E10value_typeET4_jRbjT5_S1B_jjP12ihipStream_tbEUljE_ZNSN_ISO_Lb1ESQ_SR_SQ_SR_SV_EESW_SX_SY_SZ_S13_S14_S15_S18_S19_jS1A_jS1B_S1B_jjS1D_bEUljE0_EEESW_SX_SY_S15_S19_S1B_T6_T7_T9_mT8_S1D_bDpT10_ENKUlT_T0_E_clISt17integral_constantIbLb1EES1R_EEDaS1M_S1N_EUlS1M_E_NS1_11comp_targetILNS1_3genE0ELNS1_11target_archE4294967295ELNS1_3gpuE0ELNS1_3repE0EEENS1_30default_config_static_selectorELNS0_4arch9wavefront6targetE0EEEvSZ_.num_named_barrier, 0
	.set _ZN7rocprim17ROCPRIM_400000_NS6detail17trampoline_kernelINS0_13select_configILj256ELj13ELNS0_17block_load_methodE3ELS4_3ELS4_3ELNS0_20block_scan_algorithmE0ELj4294967295EEENS1_25partition_config_selectorILNS1_17partition_subalgoE4EjNS0_10empty_typeEbEEZZNS1_14partition_implILS8_4ELb0ES6_15HIP_vector_typeIjLj2EENS0_17counting_iteratorIjlEEPS9_SG_NS0_5tupleIJPjSI_NS0_16reverse_iteratorISI_EEEEENSH_IJSG_SG_SG_EEES9_SI_JZNS1_25segmented_radix_sort_implINS0_14default_configELb1EPKlPlSQ_SR_N2at6native12_GLOBAL__N_18offset_tEEE10hipError_tPvRmT1_PNSt15iterator_traitsISZ_E10value_typeET2_T3_PNS10_IS15_E10value_typeET4_jRbjT5_S1B_jjP12ihipStream_tbEUljE_ZNSN_ISO_Lb1ESQ_SR_SQ_SR_SV_EESW_SX_SY_SZ_S13_S14_S15_S18_S19_jS1A_jS1B_S1B_jjS1D_bEUljE0_EEESW_SX_SY_S15_S19_S1B_T6_T7_T9_mT8_S1D_bDpT10_ENKUlT_T0_E_clISt17integral_constantIbLb1EES1R_EEDaS1M_S1N_EUlS1M_E_NS1_11comp_targetILNS1_3genE0ELNS1_11target_archE4294967295ELNS1_3gpuE0ELNS1_3repE0EEENS1_30default_config_static_selectorELNS0_4arch9wavefront6targetE0EEEvSZ_.private_seg_size, 0
	.set _ZN7rocprim17ROCPRIM_400000_NS6detail17trampoline_kernelINS0_13select_configILj256ELj13ELNS0_17block_load_methodE3ELS4_3ELS4_3ELNS0_20block_scan_algorithmE0ELj4294967295EEENS1_25partition_config_selectorILNS1_17partition_subalgoE4EjNS0_10empty_typeEbEEZZNS1_14partition_implILS8_4ELb0ES6_15HIP_vector_typeIjLj2EENS0_17counting_iteratorIjlEEPS9_SG_NS0_5tupleIJPjSI_NS0_16reverse_iteratorISI_EEEEENSH_IJSG_SG_SG_EEES9_SI_JZNS1_25segmented_radix_sort_implINS0_14default_configELb1EPKlPlSQ_SR_N2at6native12_GLOBAL__N_18offset_tEEE10hipError_tPvRmT1_PNSt15iterator_traitsISZ_E10value_typeET2_T3_PNS10_IS15_E10value_typeET4_jRbjT5_S1B_jjP12ihipStream_tbEUljE_ZNSN_ISO_Lb1ESQ_SR_SQ_SR_SV_EESW_SX_SY_SZ_S13_S14_S15_S18_S19_jS1A_jS1B_S1B_jjS1D_bEUljE0_EEESW_SX_SY_S15_S19_S1B_T6_T7_T9_mT8_S1D_bDpT10_ENKUlT_T0_E_clISt17integral_constantIbLb1EES1R_EEDaS1M_S1N_EUlS1M_E_NS1_11comp_targetILNS1_3genE0ELNS1_11target_archE4294967295ELNS1_3gpuE0ELNS1_3repE0EEENS1_30default_config_static_selectorELNS0_4arch9wavefront6targetE0EEEvSZ_.uses_vcc, 0
	.set _ZN7rocprim17ROCPRIM_400000_NS6detail17trampoline_kernelINS0_13select_configILj256ELj13ELNS0_17block_load_methodE3ELS4_3ELS4_3ELNS0_20block_scan_algorithmE0ELj4294967295EEENS1_25partition_config_selectorILNS1_17partition_subalgoE4EjNS0_10empty_typeEbEEZZNS1_14partition_implILS8_4ELb0ES6_15HIP_vector_typeIjLj2EENS0_17counting_iteratorIjlEEPS9_SG_NS0_5tupleIJPjSI_NS0_16reverse_iteratorISI_EEEEENSH_IJSG_SG_SG_EEES9_SI_JZNS1_25segmented_radix_sort_implINS0_14default_configELb1EPKlPlSQ_SR_N2at6native12_GLOBAL__N_18offset_tEEE10hipError_tPvRmT1_PNSt15iterator_traitsISZ_E10value_typeET2_T3_PNS10_IS15_E10value_typeET4_jRbjT5_S1B_jjP12ihipStream_tbEUljE_ZNSN_ISO_Lb1ESQ_SR_SQ_SR_SV_EESW_SX_SY_SZ_S13_S14_S15_S18_S19_jS1A_jS1B_S1B_jjS1D_bEUljE0_EEESW_SX_SY_S15_S19_S1B_T6_T7_T9_mT8_S1D_bDpT10_ENKUlT_T0_E_clISt17integral_constantIbLb1EES1R_EEDaS1M_S1N_EUlS1M_E_NS1_11comp_targetILNS1_3genE0ELNS1_11target_archE4294967295ELNS1_3gpuE0ELNS1_3repE0EEENS1_30default_config_static_selectorELNS0_4arch9wavefront6targetE0EEEvSZ_.uses_flat_scratch, 0
	.set _ZN7rocprim17ROCPRIM_400000_NS6detail17trampoline_kernelINS0_13select_configILj256ELj13ELNS0_17block_load_methodE3ELS4_3ELS4_3ELNS0_20block_scan_algorithmE0ELj4294967295EEENS1_25partition_config_selectorILNS1_17partition_subalgoE4EjNS0_10empty_typeEbEEZZNS1_14partition_implILS8_4ELb0ES6_15HIP_vector_typeIjLj2EENS0_17counting_iteratorIjlEEPS9_SG_NS0_5tupleIJPjSI_NS0_16reverse_iteratorISI_EEEEENSH_IJSG_SG_SG_EEES9_SI_JZNS1_25segmented_radix_sort_implINS0_14default_configELb1EPKlPlSQ_SR_N2at6native12_GLOBAL__N_18offset_tEEE10hipError_tPvRmT1_PNSt15iterator_traitsISZ_E10value_typeET2_T3_PNS10_IS15_E10value_typeET4_jRbjT5_S1B_jjP12ihipStream_tbEUljE_ZNSN_ISO_Lb1ESQ_SR_SQ_SR_SV_EESW_SX_SY_SZ_S13_S14_S15_S18_S19_jS1A_jS1B_S1B_jjS1D_bEUljE0_EEESW_SX_SY_S15_S19_S1B_T6_T7_T9_mT8_S1D_bDpT10_ENKUlT_T0_E_clISt17integral_constantIbLb1EES1R_EEDaS1M_S1N_EUlS1M_E_NS1_11comp_targetILNS1_3genE0ELNS1_11target_archE4294967295ELNS1_3gpuE0ELNS1_3repE0EEENS1_30default_config_static_selectorELNS0_4arch9wavefront6targetE0EEEvSZ_.has_dyn_sized_stack, 0
	.set _ZN7rocprim17ROCPRIM_400000_NS6detail17trampoline_kernelINS0_13select_configILj256ELj13ELNS0_17block_load_methodE3ELS4_3ELS4_3ELNS0_20block_scan_algorithmE0ELj4294967295EEENS1_25partition_config_selectorILNS1_17partition_subalgoE4EjNS0_10empty_typeEbEEZZNS1_14partition_implILS8_4ELb0ES6_15HIP_vector_typeIjLj2EENS0_17counting_iteratorIjlEEPS9_SG_NS0_5tupleIJPjSI_NS0_16reverse_iteratorISI_EEEEENSH_IJSG_SG_SG_EEES9_SI_JZNS1_25segmented_radix_sort_implINS0_14default_configELb1EPKlPlSQ_SR_N2at6native12_GLOBAL__N_18offset_tEEE10hipError_tPvRmT1_PNSt15iterator_traitsISZ_E10value_typeET2_T3_PNS10_IS15_E10value_typeET4_jRbjT5_S1B_jjP12ihipStream_tbEUljE_ZNSN_ISO_Lb1ESQ_SR_SQ_SR_SV_EESW_SX_SY_SZ_S13_S14_S15_S18_S19_jS1A_jS1B_S1B_jjS1D_bEUljE0_EEESW_SX_SY_S15_S19_S1B_T6_T7_T9_mT8_S1D_bDpT10_ENKUlT_T0_E_clISt17integral_constantIbLb1EES1R_EEDaS1M_S1N_EUlS1M_E_NS1_11comp_targetILNS1_3genE0ELNS1_11target_archE4294967295ELNS1_3gpuE0ELNS1_3repE0EEENS1_30default_config_static_selectorELNS0_4arch9wavefront6targetE0EEEvSZ_.has_recursion, 0
	.set _ZN7rocprim17ROCPRIM_400000_NS6detail17trampoline_kernelINS0_13select_configILj256ELj13ELNS0_17block_load_methodE3ELS4_3ELS4_3ELNS0_20block_scan_algorithmE0ELj4294967295EEENS1_25partition_config_selectorILNS1_17partition_subalgoE4EjNS0_10empty_typeEbEEZZNS1_14partition_implILS8_4ELb0ES6_15HIP_vector_typeIjLj2EENS0_17counting_iteratorIjlEEPS9_SG_NS0_5tupleIJPjSI_NS0_16reverse_iteratorISI_EEEEENSH_IJSG_SG_SG_EEES9_SI_JZNS1_25segmented_radix_sort_implINS0_14default_configELb1EPKlPlSQ_SR_N2at6native12_GLOBAL__N_18offset_tEEE10hipError_tPvRmT1_PNSt15iterator_traitsISZ_E10value_typeET2_T3_PNS10_IS15_E10value_typeET4_jRbjT5_S1B_jjP12ihipStream_tbEUljE_ZNSN_ISO_Lb1ESQ_SR_SQ_SR_SV_EESW_SX_SY_SZ_S13_S14_S15_S18_S19_jS1A_jS1B_S1B_jjS1D_bEUljE0_EEESW_SX_SY_S15_S19_S1B_T6_T7_T9_mT8_S1D_bDpT10_ENKUlT_T0_E_clISt17integral_constantIbLb1EES1R_EEDaS1M_S1N_EUlS1M_E_NS1_11comp_targetILNS1_3genE0ELNS1_11target_archE4294967295ELNS1_3gpuE0ELNS1_3repE0EEENS1_30default_config_static_selectorELNS0_4arch9wavefront6targetE0EEEvSZ_.has_indirect_call, 0
	.section	.AMDGPU.csdata,"",@progbits
; Kernel info:
; codeLenInByte = 4
; TotalNumSgprs: 0
; NumVgprs: 0
; ScratchSize: 0
; MemoryBound: 0
; FloatMode: 240
; IeeeMode: 1
; LDSByteSize: 0 bytes/workgroup (compile time only)
; SGPRBlocks: 0
; VGPRBlocks: 0
; NumSGPRsForWavesPerEU: 1
; NumVGPRsForWavesPerEU: 1
; NamedBarCnt: 0
; Occupancy: 16
; WaveLimiterHint : 0
; COMPUTE_PGM_RSRC2:SCRATCH_EN: 0
; COMPUTE_PGM_RSRC2:USER_SGPR: 2
; COMPUTE_PGM_RSRC2:TRAP_HANDLER: 0
; COMPUTE_PGM_RSRC2:TGID_X_EN: 1
; COMPUTE_PGM_RSRC2:TGID_Y_EN: 0
; COMPUTE_PGM_RSRC2:TGID_Z_EN: 0
; COMPUTE_PGM_RSRC2:TIDIG_COMP_CNT: 0
	.section	.text._ZN7rocprim17ROCPRIM_400000_NS6detail17trampoline_kernelINS0_13select_configILj256ELj13ELNS0_17block_load_methodE3ELS4_3ELS4_3ELNS0_20block_scan_algorithmE0ELj4294967295EEENS1_25partition_config_selectorILNS1_17partition_subalgoE4EjNS0_10empty_typeEbEEZZNS1_14partition_implILS8_4ELb0ES6_15HIP_vector_typeIjLj2EENS0_17counting_iteratorIjlEEPS9_SG_NS0_5tupleIJPjSI_NS0_16reverse_iteratorISI_EEEEENSH_IJSG_SG_SG_EEES9_SI_JZNS1_25segmented_radix_sort_implINS0_14default_configELb1EPKlPlSQ_SR_N2at6native12_GLOBAL__N_18offset_tEEE10hipError_tPvRmT1_PNSt15iterator_traitsISZ_E10value_typeET2_T3_PNS10_IS15_E10value_typeET4_jRbjT5_S1B_jjP12ihipStream_tbEUljE_ZNSN_ISO_Lb1ESQ_SR_SQ_SR_SV_EESW_SX_SY_SZ_S13_S14_S15_S18_S19_jS1A_jS1B_S1B_jjS1D_bEUljE0_EEESW_SX_SY_S15_S19_S1B_T6_T7_T9_mT8_S1D_bDpT10_ENKUlT_T0_E_clISt17integral_constantIbLb1EES1R_EEDaS1M_S1N_EUlS1M_E_NS1_11comp_targetILNS1_3genE5ELNS1_11target_archE942ELNS1_3gpuE9ELNS1_3repE0EEENS1_30default_config_static_selectorELNS0_4arch9wavefront6targetE0EEEvSZ_,"axG",@progbits,_ZN7rocprim17ROCPRIM_400000_NS6detail17trampoline_kernelINS0_13select_configILj256ELj13ELNS0_17block_load_methodE3ELS4_3ELS4_3ELNS0_20block_scan_algorithmE0ELj4294967295EEENS1_25partition_config_selectorILNS1_17partition_subalgoE4EjNS0_10empty_typeEbEEZZNS1_14partition_implILS8_4ELb0ES6_15HIP_vector_typeIjLj2EENS0_17counting_iteratorIjlEEPS9_SG_NS0_5tupleIJPjSI_NS0_16reverse_iteratorISI_EEEEENSH_IJSG_SG_SG_EEES9_SI_JZNS1_25segmented_radix_sort_implINS0_14default_configELb1EPKlPlSQ_SR_N2at6native12_GLOBAL__N_18offset_tEEE10hipError_tPvRmT1_PNSt15iterator_traitsISZ_E10value_typeET2_T3_PNS10_IS15_E10value_typeET4_jRbjT5_S1B_jjP12ihipStream_tbEUljE_ZNSN_ISO_Lb1ESQ_SR_SQ_SR_SV_EESW_SX_SY_SZ_S13_S14_S15_S18_S19_jS1A_jS1B_S1B_jjS1D_bEUljE0_EEESW_SX_SY_S15_S19_S1B_T6_T7_T9_mT8_S1D_bDpT10_ENKUlT_T0_E_clISt17integral_constantIbLb1EES1R_EEDaS1M_S1N_EUlS1M_E_NS1_11comp_targetILNS1_3genE5ELNS1_11target_archE942ELNS1_3gpuE9ELNS1_3repE0EEENS1_30default_config_static_selectorELNS0_4arch9wavefront6targetE0EEEvSZ_,comdat
	.globl	_ZN7rocprim17ROCPRIM_400000_NS6detail17trampoline_kernelINS0_13select_configILj256ELj13ELNS0_17block_load_methodE3ELS4_3ELS4_3ELNS0_20block_scan_algorithmE0ELj4294967295EEENS1_25partition_config_selectorILNS1_17partition_subalgoE4EjNS0_10empty_typeEbEEZZNS1_14partition_implILS8_4ELb0ES6_15HIP_vector_typeIjLj2EENS0_17counting_iteratorIjlEEPS9_SG_NS0_5tupleIJPjSI_NS0_16reverse_iteratorISI_EEEEENSH_IJSG_SG_SG_EEES9_SI_JZNS1_25segmented_radix_sort_implINS0_14default_configELb1EPKlPlSQ_SR_N2at6native12_GLOBAL__N_18offset_tEEE10hipError_tPvRmT1_PNSt15iterator_traitsISZ_E10value_typeET2_T3_PNS10_IS15_E10value_typeET4_jRbjT5_S1B_jjP12ihipStream_tbEUljE_ZNSN_ISO_Lb1ESQ_SR_SQ_SR_SV_EESW_SX_SY_SZ_S13_S14_S15_S18_S19_jS1A_jS1B_S1B_jjS1D_bEUljE0_EEESW_SX_SY_S15_S19_S1B_T6_T7_T9_mT8_S1D_bDpT10_ENKUlT_T0_E_clISt17integral_constantIbLb1EES1R_EEDaS1M_S1N_EUlS1M_E_NS1_11comp_targetILNS1_3genE5ELNS1_11target_archE942ELNS1_3gpuE9ELNS1_3repE0EEENS1_30default_config_static_selectorELNS0_4arch9wavefront6targetE0EEEvSZ_ ; -- Begin function _ZN7rocprim17ROCPRIM_400000_NS6detail17trampoline_kernelINS0_13select_configILj256ELj13ELNS0_17block_load_methodE3ELS4_3ELS4_3ELNS0_20block_scan_algorithmE0ELj4294967295EEENS1_25partition_config_selectorILNS1_17partition_subalgoE4EjNS0_10empty_typeEbEEZZNS1_14partition_implILS8_4ELb0ES6_15HIP_vector_typeIjLj2EENS0_17counting_iteratorIjlEEPS9_SG_NS0_5tupleIJPjSI_NS0_16reverse_iteratorISI_EEEEENSH_IJSG_SG_SG_EEES9_SI_JZNS1_25segmented_radix_sort_implINS0_14default_configELb1EPKlPlSQ_SR_N2at6native12_GLOBAL__N_18offset_tEEE10hipError_tPvRmT1_PNSt15iterator_traitsISZ_E10value_typeET2_T3_PNS10_IS15_E10value_typeET4_jRbjT5_S1B_jjP12ihipStream_tbEUljE_ZNSN_ISO_Lb1ESQ_SR_SQ_SR_SV_EESW_SX_SY_SZ_S13_S14_S15_S18_S19_jS1A_jS1B_S1B_jjS1D_bEUljE0_EEESW_SX_SY_S15_S19_S1B_T6_T7_T9_mT8_S1D_bDpT10_ENKUlT_T0_E_clISt17integral_constantIbLb1EES1R_EEDaS1M_S1N_EUlS1M_E_NS1_11comp_targetILNS1_3genE5ELNS1_11target_archE942ELNS1_3gpuE9ELNS1_3repE0EEENS1_30default_config_static_selectorELNS0_4arch9wavefront6targetE0EEEvSZ_
	.p2align	8
	.type	_ZN7rocprim17ROCPRIM_400000_NS6detail17trampoline_kernelINS0_13select_configILj256ELj13ELNS0_17block_load_methodE3ELS4_3ELS4_3ELNS0_20block_scan_algorithmE0ELj4294967295EEENS1_25partition_config_selectorILNS1_17partition_subalgoE4EjNS0_10empty_typeEbEEZZNS1_14partition_implILS8_4ELb0ES6_15HIP_vector_typeIjLj2EENS0_17counting_iteratorIjlEEPS9_SG_NS0_5tupleIJPjSI_NS0_16reverse_iteratorISI_EEEEENSH_IJSG_SG_SG_EEES9_SI_JZNS1_25segmented_radix_sort_implINS0_14default_configELb1EPKlPlSQ_SR_N2at6native12_GLOBAL__N_18offset_tEEE10hipError_tPvRmT1_PNSt15iterator_traitsISZ_E10value_typeET2_T3_PNS10_IS15_E10value_typeET4_jRbjT5_S1B_jjP12ihipStream_tbEUljE_ZNSN_ISO_Lb1ESQ_SR_SQ_SR_SV_EESW_SX_SY_SZ_S13_S14_S15_S18_S19_jS1A_jS1B_S1B_jjS1D_bEUljE0_EEESW_SX_SY_S15_S19_S1B_T6_T7_T9_mT8_S1D_bDpT10_ENKUlT_T0_E_clISt17integral_constantIbLb1EES1R_EEDaS1M_S1N_EUlS1M_E_NS1_11comp_targetILNS1_3genE5ELNS1_11target_archE942ELNS1_3gpuE9ELNS1_3repE0EEENS1_30default_config_static_selectorELNS0_4arch9wavefront6targetE0EEEvSZ_,@function
_ZN7rocprim17ROCPRIM_400000_NS6detail17trampoline_kernelINS0_13select_configILj256ELj13ELNS0_17block_load_methodE3ELS4_3ELS4_3ELNS0_20block_scan_algorithmE0ELj4294967295EEENS1_25partition_config_selectorILNS1_17partition_subalgoE4EjNS0_10empty_typeEbEEZZNS1_14partition_implILS8_4ELb0ES6_15HIP_vector_typeIjLj2EENS0_17counting_iteratorIjlEEPS9_SG_NS0_5tupleIJPjSI_NS0_16reverse_iteratorISI_EEEEENSH_IJSG_SG_SG_EEES9_SI_JZNS1_25segmented_radix_sort_implINS0_14default_configELb1EPKlPlSQ_SR_N2at6native12_GLOBAL__N_18offset_tEEE10hipError_tPvRmT1_PNSt15iterator_traitsISZ_E10value_typeET2_T3_PNS10_IS15_E10value_typeET4_jRbjT5_S1B_jjP12ihipStream_tbEUljE_ZNSN_ISO_Lb1ESQ_SR_SQ_SR_SV_EESW_SX_SY_SZ_S13_S14_S15_S18_S19_jS1A_jS1B_S1B_jjS1D_bEUljE0_EEESW_SX_SY_S15_S19_S1B_T6_T7_T9_mT8_S1D_bDpT10_ENKUlT_T0_E_clISt17integral_constantIbLb1EES1R_EEDaS1M_S1N_EUlS1M_E_NS1_11comp_targetILNS1_3genE5ELNS1_11target_archE942ELNS1_3gpuE9ELNS1_3repE0EEENS1_30default_config_static_selectorELNS0_4arch9wavefront6targetE0EEEvSZ_: ; @_ZN7rocprim17ROCPRIM_400000_NS6detail17trampoline_kernelINS0_13select_configILj256ELj13ELNS0_17block_load_methodE3ELS4_3ELS4_3ELNS0_20block_scan_algorithmE0ELj4294967295EEENS1_25partition_config_selectorILNS1_17partition_subalgoE4EjNS0_10empty_typeEbEEZZNS1_14partition_implILS8_4ELb0ES6_15HIP_vector_typeIjLj2EENS0_17counting_iteratorIjlEEPS9_SG_NS0_5tupleIJPjSI_NS0_16reverse_iteratorISI_EEEEENSH_IJSG_SG_SG_EEES9_SI_JZNS1_25segmented_radix_sort_implINS0_14default_configELb1EPKlPlSQ_SR_N2at6native12_GLOBAL__N_18offset_tEEE10hipError_tPvRmT1_PNSt15iterator_traitsISZ_E10value_typeET2_T3_PNS10_IS15_E10value_typeET4_jRbjT5_S1B_jjP12ihipStream_tbEUljE_ZNSN_ISO_Lb1ESQ_SR_SQ_SR_SV_EESW_SX_SY_SZ_S13_S14_S15_S18_S19_jS1A_jS1B_S1B_jjS1D_bEUljE0_EEESW_SX_SY_S15_S19_S1B_T6_T7_T9_mT8_S1D_bDpT10_ENKUlT_T0_E_clISt17integral_constantIbLb1EES1R_EEDaS1M_S1N_EUlS1M_E_NS1_11comp_targetILNS1_3genE5ELNS1_11target_archE942ELNS1_3gpuE9ELNS1_3repE0EEENS1_30default_config_static_selectorELNS0_4arch9wavefront6targetE0EEEvSZ_
; %bb.0:
	.section	.rodata,"a",@progbits
	.p2align	6, 0x0
	.amdhsa_kernel _ZN7rocprim17ROCPRIM_400000_NS6detail17trampoline_kernelINS0_13select_configILj256ELj13ELNS0_17block_load_methodE3ELS4_3ELS4_3ELNS0_20block_scan_algorithmE0ELj4294967295EEENS1_25partition_config_selectorILNS1_17partition_subalgoE4EjNS0_10empty_typeEbEEZZNS1_14partition_implILS8_4ELb0ES6_15HIP_vector_typeIjLj2EENS0_17counting_iteratorIjlEEPS9_SG_NS0_5tupleIJPjSI_NS0_16reverse_iteratorISI_EEEEENSH_IJSG_SG_SG_EEES9_SI_JZNS1_25segmented_radix_sort_implINS0_14default_configELb1EPKlPlSQ_SR_N2at6native12_GLOBAL__N_18offset_tEEE10hipError_tPvRmT1_PNSt15iterator_traitsISZ_E10value_typeET2_T3_PNS10_IS15_E10value_typeET4_jRbjT5_S1B_jjP12ihipStream_tbEUljE_ZNSN_ISO_Lb1ESQ_SR_SQ_SR_SV_EESW_SX_SY_SZ_S13_S14_S15_S18_S19_jS1A_jS1B_S1B_jjS1D_bEUljE0_EEESW_SX_SY_S15_S19_S1B_T6_T7_T9_mT8_S1D_bDpT10_ENKUlT_T0_E_clISt17integral_constantIbLb1EES1R_EEDaS1M_S1N_EUlS1M_E_NS1_11comp_targetILNS1_3genE5ELNS1_11target_archE942ELNS1_3gpuE9ELNS1_3repE0EEENS1_30default_config_static_selectorELNS0_4arch9wavefront6targetE0EEEvSZ_
		.amdhsa_group_segment_fixed_size 0
		.amdhsa_private_segment_fixed_size 0
		.amdhsa_kernarg_size 184
		.amdhsa_user_sgpr_count 2
		.amdhsa_user_sgpr_dispatch_ptr 0
		.amdhsa_user_sgpr_queue_ptr 0
		.amdhsa_user_sgpr_kernarg_segment_ptr 1
		.amdhsa_user_sgpr_dispatch_id 0
		.amdhsa_user_sgpr_kernarg_preload_length 0
		.amdhsa_user_sgpr_kernarg_preload_offset 0
		.amdhsa_user_sgpr_private_segment_size 0
		.amdhsa_wavefront_size32 1
		.amdhsa_uses_dynamic_stack 0
		.amdhsa_enable_private_segment 0
		.amdhsa_system_sgpr_workgroup_id_x 1
		.amdhsa_system_sgpr_workgroup_id_y 0
		.amdhsa_system_sgpr_workgroup_id_z 0
		.amdhsa_system_sgpr_workgroup_info 0
		.amdhsa_system_vgpr_workitem_id 0
		.amdhsa_next_free_vgpr 1
		.amdhsa_next_free_sgpr 1
		.amdhsa_named_barrier_count 0
		.amdhsa_reserve_vcc 0
		.amdhsa_float_round_mode_32 0
		.amdhsa_float_round_mode_16_64 0
		.amdhsa_float_denorm_mode_32 3
		.amdhsa_float_denorm_mode_16_64 3
		.amdhsa_fp16_overflow 0
		.amdhsa_memory_ordered 1
		.amdhsa_forward_progress 1
		.amdhsa_inst_pref_size 0
		.amdhsa_round_robin_scheduling 0
		.amdhsa_exception_fp_ieee_invalid_op 0
		.amdhsa_exception_fp_denorm_src 0
		.amdhsa_exception_fp_ieee_div_zero 0
		.amdhsa_exception_fp_ieee_overflow 0
		.amdhsa_exception_fp_ieee_underflow 0
		.amdhsa_exception_fp_ieee_inexact 0
		.amdhsa_exception_int_div_zero 0
	.end_amdhsa_kernel
	.section	.text._ZN7rocprim17ROCPRIM_400000_NS6detail17trampoline_kernelINS0_13select_configILj256ELj13ELNS0_17block_load_methodE3ELS4_3ELS4_3ELNS0_20block_scan_algorithmE0ELj4294967295EEENS1_25partition_config_selectorILNS1_17partition_subalgoE4EjNS0_10empty_typeEbEEZZNS1_14partition_implILS8_4ELb0ES6_15HIP_vector_typeIjLj2EENS0_17counting_iteratorIjlEEPS9_SG_NS0_5tupleIJPjSI_NS0_16reverse_iteratorISI_EEEEENSH_IJSG_SG_SG_EEES9_SI_JZNS1_25segmented_radix_sort_implINS0_14default_configELb1EPKlPlSQ_SR_N2at6native12_GLOBAL__N_18offset_tEEE10hipError_tPvRmT1_PNSt15iterator_traitsISZ_E10value_typeET2_T3_PNS10_IS15_E10value_typeET4_jRbjT5_S1B_jjP12ihipStream_tbEUljE_ZNSN_ISO_Lb1ESQ_SR_SQ_SR_SV_EESW_SX_SY_SZ_S13_S14_S15_S18_S19_jS1A_jS1B_S1B_jjS1D_bEUljE0_EEESW_SX_SY_S15_S19_S1B_T6_T7_T9_mT8_S1D_bDpT10_ENKUlT_T0_E_clISt17integral_constantIbLb1EES1R_EEDaS1M_S1N_EUlS1M_E_NS1_11comp_targetILNS1_3genE5ELNS1_11target_archE942ELNS1_3gpuE9ELNS1_3repE0EEENS1_30default_config_static_selectorELNS0_4arch9wavefront6targetE0EEEvSZ_,"axG",@progbits,_ZN7rocprim17ROCPRIM_400000_NS6detail17trampoline_kernelINS0_13select_configILj256ELj13ELNS0_17block_load_methodE3ELS4_3ELS4_3ELNS0_20block_scan_algorithmE0ELj4294967295EEENS1_25partition_config_selectorILNS1_17partition_subalgoE4EjNS0_10empty_typeEbEEZZNS1_14partition_implILS8_4ELb0ES6_15HIP_vector_typeIjLj2EENS0_17counting_iteratorIjlEEPS9_SG_NS0_5tupleIJPjSI_NS0_16reverse_iteratorISI_EEEEENSH_IJSG_SG_SG_EEES9_SI_JZNS1_25segmented_radix_sort_implINS0_14default_configELb1EPKlPlSQ_SR_N2at6native12_GLOBAL__N_18offset_tEEE10hipError_tPvRmT1_PNSt15iterator_traitsISZ_E10value_typeET2_T3_PNS10_IS15_E10value_typeET4_jRbjT5_S1B_jjP12ihipStream_tbEUljE_ZNSN_ISO_Lb1ESQ_SR_SQ_SR_SV_EESW_SX_SY_SZ_S13_S14_S15_S18_S19_jS1A_jS1B_S1B_jjS1D_bEUljE0_EEESW_SX_SY_S15_S19_S1B_T6_T7_T9_mT8_S1D_bDpT10_ENKUlT_T0_E_clISt17integral_constantIbLb1EES1R_EEDaS1M_S1N_EUlS1M_E_NS1_11comp_targetILNS1_3genE5ELNS1_11target_archE942ELNS1_3gpuE9ELNS1_3repE0EEENS1_30default_config_static_selectorELNS0_4arch9wavefront6targetE0EEEvSZ_,comdat
.Lfunc_end645:
	.size	_ZN7rocprim17ROCPRIM_400000_NS6detail17trampoline_kernelINS0_13select_configILj256ELj13ELNS0_17block_load_methodE3ELS4_3ELS4_3ELNS0_20block_scan_algorithmE0ELj4294967295EEENS1_25partition_config_selectorILNS1_17partition_subalgoE4EjNS0_10empty_typeEbEEZZNS1_14partition_implILS8_4ELb0ES6_15HIP_vector_typeIjLj2EENS0_17counting_iteratorIjlEEPS9_SG_NS0_5tupleIJPjSI_NS0_16reverse_iteratorISI_EEEEENSH_IJSG_SG_SG_EEES9_SI_JZNS1_25segmented_radix_sort_implINS0_14default_configELb1EPKlPlSQ_SR_N2at6native12_GLOBAL__N_18offset_tEEE10hipError_tPvRmT1_PNSt15iterator_traitsISZ_E10value_typeET2_T3_PNS10_IS15_E10value_typeET4_jRbjT5_S1B_jjP12ihipStream_tbEUljE_ZNSN_ISO_Lb1ESQ_SR_SQ_SR_SV_EESW_SX_SY_SZ_S13_S14_S15_S18_S19_jS1A_jS1B_S1B_jjS1D_bEUljE0_EEESW_SX_SY_S15_S19_S1B_T6_T7_T9_mT8_S1D_bDpT10_ENKUlT_T0_E_clISt17integral_constantIbLb1EES1R_EEDaS1M_S1N_EUlS1M_E_NS1_11comp_targetILNS1_3genE5ELNS1_11target_archE942ELNS1_3gpuE9ELNS1_3repE0EEENS1_30default_config_static_selectorELNS0_4arch9wavefront6targetE0EEEvSZ_, .Lfunc_end645-_ZN7rocprim17ROCPRIM_400000_NS6detail17trampoline_kernelINS0_13select_configILj256ELj13ELNS0_17block_load_methodE3ELS4_3ELS4_3ELNS0_20block_scan_algorithmE0ELj4294967295EEENS1_25partition_config_selectorILNS1_17partition_subalgoE4EjNS0_10empty_typeEbEEZZNS1_14partition_implILS8_4ELb0ES6_15HIP_vector_typeIjLj2EENS0_17counting_iteratorIjlEEPS9_SG_NS0_5tupleIJPjSI_NS0_16reverse_iteratorISI_EEEEENSH_IJSG_SG_SG_EEES9_SI_JZNS1_25segmented_radix_sort_implINS0_14default_configELb1EPKlPlSQ_SR_N2at6native12_GLOBAL__N_18offset_tEEE10hipError_tPvRmT1_PNSt15iterator_traitsISZ_E10value_typeET2_T3_PNS10_IS15_E10value_typeET4_jRbjT5_S1B_jjP12ihipStream_tbEUljE_ZNSN_ISO_Lb1ESQ_SR_SQ_SR_SV_EESW_SX_SY_SZ_S13_S14_S15_S18_S19_jS1A_jS1B_S1B_jjS1D_bEUljE0_EEESW_SX_SY_S15_S19_S1B_T6_T7_T9_mT8_S1D_bDpT10_ENKUlT_T0_E_clISt17integral_constantIbLb1EES1R_EEDaS1M_S1N_EUlS1M_E_NS1_11comp_targetILNS1_3genE5ELNS1_11target_archE942ELNS1_3gpuE9ELNS1_3repE0EEENS1_30default_config_static_selectorELNS0_4arch9wavefront6targetE0EEEvSZ_
                                        ; -- End function
	.set _ZN7rocprim17ROCPRIM_400000_NS6detail17trampoline_kernelINS0_13select_configILj256ELj13ELNS0_17block_load_methodE3ELS4_3ELS4_3ELNS0_20block_scan_algorithmE0ELj4294967295EEENS1_25partition_config_selectorILNS1_17partition_subalgoE4EjNS0_10empty_typeEbEEZZNS1_14partition_implILS8_4ELb0ES6_15HIP_vector_typeIjLj2EENS0_17counting_iteratorIjlEEPS9_SG_NS0_5tupleIJPjSI_NS0_16reverse_iteratorISI_EEEEENSH_IJSG_SG_SG_EEES9_SI_JZNS1_25segmented_radix_sort_implINS0_14default_configELb1EPKlPlSQ_SR_N2at6native12_GLOBAL__N_18offset_tEEE10hipError_tPvRmT1_PNSt15iterator_traitsISZ_E10value_typeET2_T3_PNS10_IS15_E10value_typeET4_jRbjT5_S1B_jjP12ihipStream_tbEUljE_ZNSN_ISO_Lb1ESQ_SR_SQ_SR_SV_EESW_SX_SY_SZ_S13_S14_S15_S18_S19_jS1A_jS1B_S1B_jjS1D_bEUljE0_EEESW_SX_SY_S15_S19_S1B_T6_T7_T9_mT8_S1D_bDpT10_ENKUlT_T0_E_clISt17integral_constantIbLb1EES1R_EEDaS1M_S1N_EUlS1M_E_NS1_11comp_targetILNS1_3genE5ELNS1_11target_archE942ELNS1_3gpuE9ELNS1_3repE0EEENS1_30default_config_static_selectorELNS0_4arch9wavefront6targetE0EEEvSZ_.num_vgpr, 0
	.set _ZN7rocprim17ROCPRIM_400000_NS6detail17trampoline_kernelINS0_13select_configILj256ELj13ELNS0_17block_load_methodE3ELS4_3ELS4_3ELNS0_20block_scan_algorithmE0ELj4294967295EEENS1_25partition_config_selectorILNS1_17partition_subalgoE4EjNS0_10empty_typeEbEEZZNS1_14partition_implILS8_4ELb0ES6_15HIP_vector_typeIjLj2EENS0_17counting_iteratorIjlEEPS9_SG_NS0_5tupleIJPjSI_NS0_16reverse_iteratorISI_EEEEENSH_IJSG_SG_SG_EEES9_SI_JZNS1_25segmented_radix_sort_implINS0_14default_configELb1EPKlPlSQ_SR_N2at6native12_GLOBAL__N_18offset_tEEE10hipError_tPvRmT1_PNSt15iterator_traitsISZ_E10value_typeET2_T3_PNS10_IS15_E10value_typeET4_jRbjT5_S1B_jjP12ihipStream_tbEUljE_ZNSN_ISO_Lb1ESQ_SR_SQ_SR_SV_EESW_SX_SY_SZ_S13_S14_S15_S18_S19_jS1A_jS1B_S1B_jjS1D_bEUljE0_EEESW_SX_SY_S15_S19_S1B_T6_T7_T9_mT8_S1D_bDpT10_ENKUlT_T0_E_clISt17integral_constantIbLb1EES1R_EEDaS1M_S1N_EUlS1M_E_NS1_11comp_targetILNS1_3genE5ELNS1_11target_archE942ELNS1_3gpuE9ELNS1_3repE0EEENS1_30default_config_static_selectorELNS0_4arch9wavefront6targetE0EEEvSZ_.num_agpr, 0
	.set _ZN7rocprim17ROCPRIM_400000_NS6detail17trampoline_kernelINS0_13select_configILj256ELj13ELNS0_17block_load_methodE3ELS4_3ELS4_3ELNS0_20block_scan_algorithmE0ELj4294967295EEENS1_25partition_config_selectorILNS1_17partition_subalgoE4EjNS0_10empty_typeEbEEZZNS1_14partition_implILS8_4ELb0ES6_15HIP_vector_typeIjLj2EENS0_17counting_iteratorIjlEEPS9_SG_NS0_5tupleIJPjSI_NS0_16reverse_iteratorISI_EEEEENSH_IJSG_SG_SG_EEES9_SI_JZNS1_25segmented_radix_sort_implINS0_14default_configELb1EPKlPlSQ_SR_N2at6native12_GLOBAL__N_18offset_tEEE10hipError_tPvRmT1_PNSt15iterator_traitsISZ_E10value_typeET2_T3_PNS10_IS15_E10value_typeET4_jRbjT5_S1B_jjP12ihipStream_tbEUljE_ZNSN_ISO_Lb1ESQ_SR_SQ_SR_SV_EESW_SX_SY_SZ_S13_S14_S15_S18_S19_jS1A_jS1B_S1B_jjS1D_bEUljE0_EEESW_SX_SY_S15_S19_S1B_T6_T7_T9_mT8_S1D_bDpT10_ENKUlT_T0_E_clISt17integral_constantIbLb1EES1R_EEDaS1M_S1N_EUlS1M_E_NS1_11comp_targetILNS1_3genE5ELNS1_11target_archE942ELNS1_3gpuE9ELNS1_3repE0EEENS1_30default_config_static_selectorELNS0_4arch9wavefront6targetE0EEEvSZ_.numbered_sgpr, 0
	.set _ZN7rocprim17ROCPRIM_400000_NS6detail17trampoline_kernelINS0_13select_configILj256ELj13ELNS0_17block_load_methodE3ELS4_3ELS4_3ELNS0_20block_scan_algorithmE0ELj4294967295EEENS1_25partition_config_selectorILNS1_17partition_subalgoE4EjNS0_10empty_typeEbEEZZNS1_14partition_implILS8_4ELb0ES6_15HIP_vector_typeIjLj2EENS0_17counting_iteratorIjlEEPS9_SG_NS0_5tupleIJPjSI_NS0_16reverse_iteratorISI_EEEEENSH_IJSG_SG_SG_EEES9_SI_JZNS1_25segmented_radix_sort_implINS0_14default_configELb1EPKlPlSQ_SR_N2at6native12_GLOBAL__N_18offset_tEEE10hipError_tPvRmT1_PNSt15iterator_traitsISZ_E10value_typeET2_T3_PNS10_IS15_E10value_typeET4_jRbjT5_S1B_jjP12ihipStream_tbEUljE_ZNSN_ISO_Lb1ESQ_SR_SQ_SR_SV_EESW_SX_SY_SZ_S13_S14_S15_S18_S19_jS1A_jS1B_S1B_jjS1D_bEUljE0_EEESW_SX_SY_S15_S19_S1B_T6_T7_T9_mT8_S1D_bDpT10_ENKUlT_T0_E_clISt17integral_constantIbLb1EES1R_EEDaS1M_S1N_EUlS1M_E_NS1_11comp_targetILNS1_3genE5ELNS1_11target_archE942ELNS1_3gpuE9ELNS1_3repE0EEENS1_30default_config_static_selectorELNS0_4arch9wavefront6targetE0EEEvSZ_.num_named_barrier, 0
	.set _ZN7rocprim17ROCPRIM_400000_NS6detail17trampoline_kernelINS0_13select_configILj256ELj13ELNS0_17block_load_methodE3ELS4_3ELS4_3ELNS0_20block_scan_algorithmE0ELj4294967295EEENS1_25partition_config_selectorILNS1_17partition_subalgoE4EjNS0_10empty_typeEbEEZZNS1_14partition_implILS8_4ELb0ES6_15HIP_vector_typeIjLj2EENS0_17counting_iteratorIjlEEPS9_SG_NS0_5tupleIJPjSI_NS0_16reverse_iteratorISI_EEEEENSH_IJSG_SG_SG_EEES9_SI_JZNS1_25segmented_radix_sort_implINS0_14default_configELb1EPKlPlSQ_SR_N2at6native12_GLOBAL__N_18offset_tEEE10hipError_tPvRmT1_PNSt15iterator_traitsISZ_E10value_typeET2_T3_PNS10_IS15_E10value_typeET4_jRbjT5_S1B_jjP12ihipStream_tbEUljE_ZNSN_ISO_Lb1ESQ_SR_SQ_SR_SV_EESW_SX_SY_SZ_S13_S14_S15_S18_S19_jS1A_jS1B_S1B_jjS1D_bEUljE0_EEESW_SX_SY_S15_S19_S1B_T6_T7_T9_mT8_S1D_bDpT10_ENKUlT_T0_E_clISt17integral_constantIbLb1EES1R_EEDaS1M_S1N_EUlS1M_E_NS1_11comp_targetILNS1_3genE5ELNS1_11target_archE942ELNS1_3gpuE9ELNS1_3repE0EEENS1_30default_config_static_selectorELNS0_4arch9wavefront6targetE0EEEvSZ_.private_seg_size, 0
	.set _ZN7rocprim17ROCPRIM_400000_NS6detail17trampoline_kernelINS0_13select_configILj256ELj13ELNS0_17block_load_methodE3ELS4_3ELS4_3ELNS0_20block_scan_algorithmE0ELj4294967295EEENS1_25partition_config_selectorILNS1_17partition_subalgoE4EjNS0_10empty_typeEbEEZZNS1_14partition_implILS8_4ELb0ES6_15HIP_vector_typeIjLj2EENS0_17counting_iteratorIjlEEPS9_SG_NS0_5tupleIJPjSI_NS0_16reverse_iteratorISI_EEEEENSH_IJSG_SG_SG_EEES9_SI_JZNS1_25segmented_radix_sort_implINS0_14default_configELb1EPKlPlSQ_SR_N2at6native12_GLOBAL__N_18offset_tEEE10hipError_tPvRmT1_PNSt15iterator_traitsISZ_E10value_typeET2_T3_PNS10_IS15_E10value_typeET4_jRbjT5_S1B_jjP12ihipStream_tbEUljE_ZNSN_ISO_Lb1ESQ_SR_SQ_SR_SV_EESW_SX_SY_SZ_S13_S14_S15_S18_S19_jS1A_jS1B_S1B_jjS1D_bEUljE0_EEESW_SX_SY_S15_S19_S1B_T6_T7_T9_mT8_S1D_bDpT10_ENKUlT_T0_E_clISt17integral_constantIbLb1EES1R_EEDaS1M_S1N_EUlS1M_E_NS1_11comp_targetILNS1_3genE5ELNS1_11target_archE942ELNS1_3gpuE9ELNS1_3repE0EEENS1_30default_config_static_selectorELNS0_4arch9wavefront6targetE0EEEvSZ_.uses_vcc, 0
	.set _ZN7rocprim17ROCPRIM_400000_NS6detail17trampoline_kernelINS0_13select_configILj256ELj13ELNS0_17block_load_methodE3ELS4_3ELS4_3ELNS0_20block_scan_algorithmE0ELj4294967295EEENS1_25partition_config_selectorILNS1_17partition_subalgoE4EjNS0_10empty_typeEbEEZZNS1_14partition_implILS8_4ELb0ES6_15HIP_vector_typeIjLj2EENS0_17counting_iteratorIjlEEPS9_SG_NS0_5tupleIJPjSI_NS0_16reverse_iteratorISI_EEEEENSH_IJSG_SG_SG_EEES9_SI_JZNS1_25segmented_radix_sort_implINS0_14default_configELb1EPKlPlSQ_SR_N2at6native12_GLOBAL__N_18offset_tEEE10hipError_tPvRmT1_PNSt15iterator_traitsISZ_E10value_typeET2_T3_PNS10_IS15_E10value_typeET4_jRbjT5_S1B_jjP12ihipStream_tbEUljE_ZNSN_ISO_Lb1ESQ_SR_SQ_SR_SV_EESW_SX_SY_SZ_S13_S14_S15_S18_S19_jS1A_jS1B_S1B_jjS1D_bEUljE0_EEESW_SX_SY_S15_S19_S1B_T6_T7_T9_mT8_S1D_bDpT10_ENKUlT_T0_E_clISt17integral_constantIbLb1EES1R_EEDaS1M_S1N_EUlS1M_E_NS1_11comp_targetILNS1_3genE5ELNS1_11target_archE942ELNS1_3gpuE9ELNS1_3repE0EEENS1_30default_config_static_selectorELNS0_4arch9wavefront6targetE0EEEvSZ_.uses_flat_scratch, 0
	.set _ZN7rocprim17ROCPRIM_400000_NS6detail17trampoline_kernelINS0_13select_configILj256ELj13ELNS0_17block_load_methodE3ELS4_3ELS4_3ELNS0_20block_scan_algorithmE0ELj4294967295EEENS1_25partition_config_selectorILNS1_17partition_subalgoE4EjNS0_10empty_typeEbEEZZNS1_14partition_implILS8_4ELb0ES6_15HIP_vector_typeIjLj2EENS0_17counting_iteratorIjlEEPS9_SG_NS0_5tupleIJPjSI_NS0_16reverse_iteratorISI_EEEEENSH_IJSG_SG_SG_EEES9_SI_JZNS1_25segmented_radix_sort_implINS0_14default_configELb1EPKlPlSQ_SR_N2at6native12_GLOBAL__N_18offset_tEEE10hipError_tPvRmT1_PNSt15iterator_traitsISZ_E10value_typeET2_T3_PNS10_IS15_E10value_typeET4_jRbjT5_S1B_jjP12ihipStream_tbEUljE_ZNSN_ISO_Lb1ESQ_SR_SQ_SR_SV_EESW_SX_SY_SZ_S13_S14_S15_S18_S19_jS1A_jS1B_S1B_jjS1D_bEUljE0_EEESW_SX_SY_S15_S19_S1B_T6_T7_T9_mT8_S1D_bDpT10_ENKUlT_T0_E_clISt17integral_constantIbLb1EES1R_EEDaS1M_S1N_EUlS1M_E_NS1_11comp_targetILNS1_3genE5ELNS1_11target_archE942ELNS1_3gpuE9ELNS1_3repE0EEENS1_30default_config_static_selectorELNS0_4arch9wavefront6targetE0EEEvSZ_.has_dyn_sized_stack, 0
	.set _ZN7rocprim17ROCPRIM_400000_NS6detail17trampoline_kernelINS0_13select_configILj256ELj13ELNS0_17block_load_methodE3ELS4_3ELS4_3ELNS0_20block_scan_algorithmE0ELj4294967295EEENS1_25partition_config_selectorILNS1_17partition_subalgoE4EjNS0_10empty_typeEbEEZZNS1_14partition_implILS8_4ELb0ES6_15HIP_vector_typeIjLj2EENS0_17counting_iteratorIjlEEPS9_SG_NS0_5tupleIJPjSI_NS0_16reverse_iteratorISI_EEEEENSH_IJSG_SG_SG_EEES9_SI_JZNS1_25segmented_radix_sort_implINS0_14default_configELb1EPKlPlSQ_SR_N2at6native12_GLOBAL__N_18offset_tEEE10hipError_tPvRmT1_PNSt15iterator_traitsISZ_E10value_typeET2_T3_PNS10_IS15_E10value_typeET4_jRbjT5_S1B_jjP12ihipStream_tbEUljE_ZNSN_ISO_Lb1ESQ_SR_SQ_SR_SV_EESW_SX_SY_SZ_S13_S14_S15_S18_S19_jS1A_jS1B_S1B_jjS1D_bEUljE0_EEESW_SX_SY_S15_S19_S1B_T6_T7_T9_mT8_S1D_bDpT10_ENKUlT_T0_E_clISt17integral_constantIbLb1EES1R_EEDaS1M_S1N_EUlS1M_E_NS1_11comp_targetILNS1_3genE5ELNS1_11target_archE942ELNS1_3gpuE9ELNS1_3repE0EEENS1_30default_config_static_selectorELNS0_4arch9wavefront6targetE0EEEvSZ_.has_recursion, 0
	.set _ZN7rocprim17ROCPRIM_400000_NS6detail17trampoline_kernelINS0_13select_configILj256ELj13ELNS0_17block_load_methodE3ELS4_3ELS4_3ELNS0_20block_scan_algorithmE0ELj4294967295EEENS1_25partition_config_selectorILNS1_17partition_subalgoE4EjNS0_10empty_typeEbEEZZNS1_14partition_implILS8_4ELb0ES6_15HIP_vector_typeIjLj2EENS0_17counting_iteratorIjlEEPS9_SG_NS0_5tupleIJPjSI_NS0_16reverse_iteratorISI_EEEEENSH_IJSG_SG_SG_EEES9_SI_JZNS1_25segmented_radix_sort_implINS0_14default_configELb1EPKlPlSQ_SR_N2at6native12_GLOBAL__N_18offset_tEEE10hipError_tPvRmT1_PNSt15iterator_traitsISZ_E10value_typeET2_T3_PNS10_IS15_E10value_typeET4_jRbjT5_S1B_jjP12ihipStream_tbEUljE_ZNSN_ISO_Lb1ESQ_SR_SQ_SR_SV_EESW_SX_SY_SZ_S13_S14_S15_S18_S19_jS1A_jS1B_S1B_jjS1D_bEUljE0_EEESW_SX_SY_S15_S19_S1B_T6_T7_T9_mT8_S1D_bDpT10_ENKUlT_T0_E_clISt17integral_constantIbLb1EES1R_EEDaS1M_S1N_EUlS1M_E_NS1_11comp_targetILNS1_3genE5ELNS1_11target_archE942ELNS1_3gpuE9ELNS1_3repE0EEENS1_30default_config_static_selectorELNS0_4arch9wavefront6targetE0EEEvSZ_.has_indirect_call, 0
	.section	.AMDGPU.csdata,"",@progbits
; Kernel info:
; codeLenInByte = 0
; TotalNumSgprs: 0
; NumVgprs: 0
; ScratchSize: 0
; MemoryBound: 0
; FloatMode: 240
; IeeeMode: 1
; LDSByteSize: 0 bytes/workgroup (compile time only)
; SGPRBlocks: 0
; VGPRBlocks: 0
; NumSGPRsForWavesPerEU: 1
; NumVGPRsForWavesPerEU: 1
; NamedBarCnt: 0
; Occupancy: 16
; WaveLimiterHint : 0
; COMPUTE_PGM_RSRC2:SCRATCH_EN: 0
; COMPUTE_PGM_RSRC2:USER_SGPR: 2
; COMPUTE_PGM_RSRC2:TRAP_HANDLER: 0
; COMPUTE_PGM_RSRC2:TGID_X_EN: 1
; COMPUTE_PGM_RSRC2:TGID_Y_EN: 0
; COMPUTE_PGM_RSRC2:TGID_Z_EN: 0
; COMPUTE_PGM_RSRC2:TIDIG_COMP_CNT: 0
	.section	.text._ZN7rocprim17ROCPRIM_400000_NS6detail17trampoline_kernelINS0_13select_configILj256ELj13ELNS0_17block_load_methodE3ELS4_3ELS4_3ELNS0_20block_scan_algorithmE0ELj4294967295EEENS1_25partition_config_selectorILNS1_17partition_subalgoE4EjNS0_10empty_typeEbEEZZNS1_14partition_implILS8_4ELb0ES6_15HIP_vector_typeIjLj2EENS0_17counting_iteratorIjlEEPS9_SG_NS0_5tupleIJPjSI_NS0_16reverse_iteratorISI_EEEEENSH_IJSG_SG_SG_EEES9_SI_JZNS1_25segmented_radix_sort_implINS0_14default_configELb1EPKlPlSQ_SR_N2at6native12_GLOBAL__N_18offset_tEEE10hipError_tPvRmT1_PNSt15iterator_traitsISZ_E10value_typeET2_T3_PNS10_IS15_E10value_typeET4_jRbjT5_S1B_jjP12ihipStream_tbEUljE_ZNSN_ISO_Lb1ESQ_SR_SQ_SR_SV_EESW_SX_SY_SZ_S13_S14_S15_S18_S19_jS1A_jS1B_S1B_jjS1D_bEUljE0_EEESW_SX_SY_S15_S19_S1B_T6_T7_T9_mT8_S1D_bDpT10_ENKUlT_T0_E_clISt17integral_constantIbLb1EES1R_EEDaS1M_S1N_EUlS1M_E_NS1_11comp_targetILNS1_3genE4ELNS1_11target_archE910ELNS1_3gpuE8ELNS1_3repE0EEENS1_30default_config_static_selectorELNS0_4arch9wavefront6targetE0EEEvSZ_,"axG",@progbits,_ZN7rocprim17ROCPRIM_400000_NS6detail17trampoline_kernelINS0_13select_configILj256ELj13ELNS0_17block_load_methodE3ELS4_3ELS4_3ELNS0_20block_scan_algorithmE0ELj4294967295EEENS1_25partition_config_selectorILNS1_17partition_subalgoE4EjNS0_10empty_typeEbEEZZNS1_14partition_implILS8_4ELb0ES6_15HIP_vector_typeIjLj2EENS0_17counting_iteratorIjlEEPS9_SG_NS0_5tupleIJPjSI_NS0_16reverse_iteratorISI_EEEEENSH_IJSG_SG_SG_EEES9_SI_JZNS1_25segmented_radix_sort_implINS0_14default_configELb1EPKlPlSQ_SR_N2at6native12_GLOBAL__N_18offset_tEEE10hipError_tPvRmT1_PNSt15iterator_traitsISZ_E10value_typeET2_T3_PNS10_IS15_E10value_typeET4_jRbjT5_S1B_jjP12ihipStream_tbEUljE_ZNSN_ISO_Lb1ESQ_SR_SQ_SR_SV_EESW_SX_SY_SZ_S13_S14_S15_S18_S19_jS1A_jS1B_S1B_jjS1D_bEUljE0_EEESW_SX_SY_S15_S19_S1B_T6_T7_T9_mT8_S1D_bDpT10_ENKUlT_T0_E_clISt17integral_constantIbLb1EES1R_EEDaS1M_S1N_EUlS1M_E_NS1_11comp_targetILNS1_3genE4ELNS1_11target_archE910ELNS1_3gpuE8ELNS1_3repE0EEENS1_30default_config_static_selectorELNS0_4arch9wavefront6targetE0EEEvSZ_,comdat
	.globl	_ZN7rocprim17ROCPRIM_400000_NS6detail17trampoline_kernelINS0_13select_configILj256ELj13ELNS0_17block_load_methodE3ELS4_3ELS4_3ELNS0_20block_scan_algorithmE0ELj4294967295EEENS1_25partition_config_selectorILNS1_17partition_subalgoE4EjNS0_10empty_typeEbEEZZNS1_14partition_implILS8_4ELb0ES6_15HIP_vector_typeIjLj2EENS0_17counting_iteratorIjlEEPS9_SG_NS0_5tupleIJPjSI_NS0_16reverse_iteratorISI_EEEEENSH_IJSG_SG_SG_EEES9_SI_JZNS1_25segmented_radix_sort_implINS0_14default_configELb1EPKlPlSQ_SR_N2at6native12_GLOBAL__N_18offset_tEEE10hipError_tPvRmT1_PNSt15iterator_traitsISZ_E10value_typeET2_T3_PNS10_IS15_E10value_typeET4_jRbjT5_S1B_jjP12ihipStream_tbEUljE_ZNSN_ISO_Lb1ESQ_SR_SQ_SR_SV_EESW_SX_SY_SZ_S13_S14_S15_S18_S19_jS1A_jS1B_S1B_jjS1D_bEUljE0_EEESW_SX_SY_S15_S19_S1B_T6_T7_T9_mT8_S1D_bDpT10_ENKUlT_T0_E_clISt17integral_constantIbLb1EES1R_EEDaS1M_S1N_EUlS1M_E_NS1_11comp_targetILNS1_3genE4ELNS1_11target_archE910ELNS1_3gpuE8ELNS1_3repE0EEENS1_30default_config_static_selectorELNS0_4arch9wavefront6targetE0EEEvSZ_ ; -- Begin function _ZN7rocprim17ROCPRIM_400000_NS6detail17trampoline_kernelINS0_13select_configILj256ELj13ELNS0_17block_load_methodE3ELS4_3ELS4_3ELNS0_20block_scan_algorithmE0ELj4294967295EEENS1_25partition_config_selectorILNS1_17partition_subalgoE4EjNS0_10empty_typeEbEEZZNS1_14partition_implILS8_4ELb0ES6_15HIP_vector_typeIjLj2EENS0_17counting_iteratorIjlEEPS9_SG_NS0_5tupleIJPjSI_NS0_16reverse_iteratorISI_EEEEENSH_IJSG_SG_SG_EEES9_SI_JZNS1_25segmented_radix_sort_implINS0_14default_configELb1EPKlPlSQ_SR_N2at6native12_GLOBAL__N_18offset_tEEE10hipError_tPvRmT1_PNSt15iterator_traitsISZ_E10value_typeET2_T3_PNS10_IS15_E10value_typeET4_jRbjT5_S1B_jjP12ihipStream_tbEUljE_ZNSN_ISO_Lb1ESQ_SR_SQ_SR_SV_EESW_SX_SY_SZ_S13_S14_S15_S18_S19_jS1A_jS1B_S1B_jjS1D_bEUljE0_EEESW_SX_SY_S15_S19_S1B_T6_T7_T9_mT8_S1D_bDpT10_ENKUlT_T0_E_clISt17integral_constantIbLb1EES1R_EEDaS1M_S1N_EUlS1M_E_NS1_11comp_targetILNS1_3genE4ELNS1_11target_archE910ELNS1_3gpuE8ELNS1_3repE0EEENS1_30default_config_static_selectorELNS0_4arch9wavefront6targetE0EEEvSZ_
	.p2align	8
	.type	_ZN7rocprim17ROCPRIM_400000_NS6detail17trampoline_kernelINS0_13select_configILj256ELj13ELNS0_17block_load_methodE3ELS4_3ELS4_3ELNS0_20block_scan_algorithmE0ELj4294967295EEENS1_25partition_config_selectorILNS1_17partition_subalgoE4EjNS0_10empty_typeEbEEZZNS1_14partition_implILS8_4ELb0ES6_15HIP_vector_typeIjLj2EENS0_17counting_iteratorIjlEEPS9_SG_NS0_5tupleIJPjSI_NS0_16reverse_iteratorISI_EEEEENSH_IJSG_SG_SG_EEES9_SI_JZNS1_25segmented_radix_sort_implINS0_14default_configELb1EPKlPlSQ_SR_N2at6native12_GLOBAL__N_18offset_tEEE10hipError_tPvRmT1_PNSt15iterator_traitsISZ_E10value_typeET2_T3_PNS10_IS15_E10value_typeET4_jRbjT5_S1B_jjP12ihipStream_tbEUljE_ZNSN_ISO_Lb1ESQ_SR_SQ_SR_SV_EESW_SX_SY_SZ_S13_S14_S15_S18_S19_jS1A_jS1B_S1B_jjS1D_bEUljE0_EEESW_SX_SY_S15_S19_S1B_T6_T7_T9_mT8_S1D_bDpT10_ENKUlT_T0_E_clISt17integral_constantIbLb1EES1R_EEDaS1M_S1N_EUlS1M_E_NS1_11comp_targetILNS1_3genE4ELNS1_11target_archE910ELNS1_3gpuE8ELNS1_3repE0EEENS1_30default_config_static_selectorELNS0_4arch9wavefront6targetE0EEEvSZ_,@function
_ZN7rocprim17ROCPRIM_400000_NS6detail17trampoline_kernelINS0_13select_configILj256ELj13ELNS0_17block_load_methodE3ELS4_3ELS4_3ELNS0_20block_scan_algorithmE0ELj4294967295EEENS1_25partition_config_selectorILNS1_17partition_subalgoE4EjNS0_10empty_typeEbEEZZNS1_14partition_implILS8_4ELb0ES6_15HIP_vector_typeIjLj2EENS0_17counting_iteratorIjlEEPS9_SG_NS0_5tupleIJPjSI_NS0_16reverse_iteratorISI_EEEEENSH_IJSG_SG_SG_EEES9_SI_JZNS1_25segmented_radix_sort_implINS0_14default_configELb1EPKlPlSQ_SR_N2at6native12_GLOBAL__N_18offset_tEEE10hipError_tPvRmT1_PNSt15iterator_traitsISZ_E10value_typeET2_T3_PNS10_IS15_E10value_typeET4_jRbjT5_S1B_jjP12ihipStream_tbEUljE_ZNSN_ISO_Lb1ESQ_SR_SQ_SR_SV_EESW_SX_SY_SZ_S13_S14_S15_S18_S19_jS1A_jS1B_S1B_jjS1D_bEUljE0_EEESW_SX_SY_S15_S19_S1B_T6_T7_T9_mT8_S1D_bDpT10_ENKUlT_T0_E_clISt17integral_constantIbLb1EES1R_EEDaS1M_S1N_EUlS1M_E_NS1_11comp_targetILNS1_3genE4ELNS1_11target_archE910ELNS1_3gpuE8ELNS1_3repE0EEENS1_30default_config_static_selectorELNS0_4arch9wavefront6targetE0EEEvSZ_: ; @_ZN7rocprim17ROCPRIM_400000_NS6detail17trampoline_kernelINS0_13select_configILj256ELj13ELNS0_17block_load_methodE3ELS4_3ELS4_3ELNS0_20block_scan_algorithmE0ELj4294967295EEENS1_25partition_config_selectorILNS1_17partition_subalgoE4EjNS0_10empty_typeEbEEZZNS1_14partition_implILS8_4ELb0ES6_15HIP_vector_typeIjLj2EENS0_17counting_iteratorIjlEEPS9_SG_NS0_5tupleIJPjSI_NS0_16reverse_iteratorISI_EEEEENSH_IJSG_SG_SG_EEES9_SI_JZNS1_25segmented_radix_sort_implINS0_14default_configELb1EPKlPlSQ_SR_N2at6native12_GLOBAL__N_18offset_tEEE10hipError_tPvRmT1_PNSt15iterator_traitsISZ_E10value_typeET2_T3_PNS10_IS15_E10value_typeET4_jRbjT5_S1B_jjP12ihipStream_tbEUljE_ZNSN_ISO_Lb1ESQ_SR_SQ_SR_SV_EESW_SX_SY_SZ_S13_S14_S15_S18_S19_jS1A_jS1B_S1B_jjS1D_bEUljE0_EEESW_SX_SY_S15_S19_S1B_T6_T7_T9_mT8_S1D_bDpT10_ENKUlT_T0_E_clISt17integral_constantIbLb1EES1R_EEDaS1M_S1N_EUlS1M_E_NS1_11comp_targetILNS1_3genE4ELNS1_11target_archE910ELNS1_3gpuE8ELNS1_3repE0EEENS1_30default_config_static_selectorELNS0_4arch9wavefront6targetE0EEEvSZ_
; %bb.0:
	.section	.rodata,"a",@progbits
	.p2align	6, 0x0
	.amdhsa_kernel _ZN7rocprim17ROCPRIM_400000_NS6detail17trampoline_kernelINS0_13select_configILj256ELj13ELNS0_17block_load_methodE3ELS4_3ELS4_3ELNS0_20block_scan_algorithmE0ELj4294967295EEENS1_25partition_config_selectorILNS1_17partition_subalgoE4EjNS0_10empty_typeEbEEZZNS1_14partition_implILS8_4ELb0ES6_15HIP_vector_typeIjLj2EENS0_17counting_iteratorIjlEEPS9_SG_NS0_5tupleIJPjSI_NS0_16reverse_iteratorISI_EEEEENSH_IJSG_SG_SG_EEES9_SI_JZNS1_25segmented_radix_sort_implINS0_14default_configELb1EPKlPlSQ_SR_N2at6native12_GLOBAL__N_18offset_tEEE10hipError_tPvRmT1_PNSt15iterator_traitsISZ_E10value_typeET2_T3_PNS10_IS15_E10value_typeET4_jRbjT5_S1B_jjP12ihipStream_tbEUljE_ZNSN_ISO_Lb1ESQ_SR_SQ_SR_SV_EESW_SX_SY_SZ_S13_S14_S15_S18_S19_jS1A_jS1B_S1B_jjS1D_bEUljE0_EEESW_SX_SY_S15_S19_S1B_T6_T7_T9_mT8_S1D_bDpT10_ENKUlT_T0_E_clISt17integral_constantIbLb1EES1R_EEDaS1M_S1N_EUlS1M_E_NS1_11comp_targetILNS1_3genE4ELNS1_11target_archE910ELNS1_3gpuE8ELNS1_3repE0EEENS1_30default_config_static_selectorELNS0_4arch9wavefront6targetE0EEEvSZ_
		.amdhsa_group_segment_fixed_size 0
		.amdhsa_private_segment_fixed_size 0
		.amdhsa_kernarg_size 184
		.amdhsa_user_sgpr_count 2
		.amdhsa_user_sgpr_dispatch_ptr 0
		.amdhsa_user_sgpr_queue_ptr 0
		.amdhsa_user_sgpr_kernarg_segment_ptr 1
		.amdhsa_user_sgpr_dispatch_id 0
		.amdhsa_user_sgpr_kernarg_preload_length 0
		.amdhsa_user_sgpr_kernarg_preload_offset 0
		.amdhsa_user_sgpr_private_segment_size 0
		.amdhsa_wavefront_size32 1
		.amdhsa_uses_dynamic_stack 0
		.amdhsa_enable_private_segment 0
		.amdhsa_system_sgpr_workgroup_id_x 1
		.amdhsa_system_sgpr_workgroup_id_y 0
		.amdhsa_system_sgpr_workgroup_id_z 0
		.amdhsa_system_sgpr_workgroup_info 0
		.amdhsa_system_vgpr_workitem_id 0
		.amdhsa_next_free_vgpr 1
		.amdhsa_next_free_sgpr 1
		.amdhsa_named_barrier_count 0
		.amdhsa_reserve_vcc 0
		.amdhsa_float_round_mode_32 0
		.amdhsa_float_round_mode_16_64 0
		.amdhsa_float_denorm_mode_32 3
		.amdhsa_float_denorm_mode_16_64 3
		.amdhsa_fp16_overflow 0
		.amdhsa_memory_ordered 1
		.amdhsa_forward_progress 1
		.amdhsa_inst_pref_size 0
		.amdhsa_round_robin_scheduling 0
		.amdhsa_exception_fp_ieee_invalid_op 0
		.amdhsa_exception_fp_denorm_src 0
		.amdhsa_exception_fp_ieee_div_zero 0
		.amdhsa_exception_fp_ieee_overflow 0
		.amdhsa_exception_fp_ieee_underflow 0
		.amdhsa_exception_fp_ieee_inexact 0
		.amdhsa_exception_int_div_zero 0
	.end_amdhsa_kernel
	.section	.text._ZN7rocprim17ROCPRIM_400000_NS6detail17trampoline_kernelINS0_13select_configILj256ELj13ELNS0_17block_load_methodE3ELS4_3ELS4_3ELNS0_20block_scan_algorithmE0ELj4294967295EEENS1_25partition_config_selectorILNS1_17partition_subalgoE4EjNS0_10empty_typeEbEEZZNS1_14partition_implILS8_4ELb0ES6_15HIP_vector_typeIjLj2EENS0_17counting_iteratorIjlEEPS9_SG_NS0_5tupleIJPjSI_NS0_16reverse_iteratorISI_EEEEENSH_IJSG_SG_SG_EEES9_SI_JZNS1_25segmented_radix_sort_implINS0_14default_configELb1EPKlPlSQ_SR_N2at6native12_GLOBAL__N_18offset_tEEE10hipError_tPvRmT1_PNSt15iterator_traitsISZ_E10value_typeET2_T3_PNS10_IS15_E10value_typeET4_jRbjT5_S1B_jjP12ihipStream_tbEUljE_ZNSN_ISO_Lb1ESQ_SR_SQ_SR_SV_EESW_SX_SY_SZ_S13_S14_S15_S18_S19_jS1A_jS1B_S1B_jjS1D_bEUljE0_EEESW_SX_SY_S15_S19_S1B_T6_T7_T9_mT8_S1D_bDpT10_ENKUlT_T0_E_clISt17integral_constantIbLb1EES1R_EEDaS1M_S1N_EUlS1M_E_NS1_11comp_targetILNS1_3genE4ELNS1_11target_archE910ELNS1_3gpuE8ELNS1_3repE0EEENS1_30default_config_static_selectorELNS0_4arch9wavefront6targetE0EEEvSZ_,"axG",@progbits,_ZN7rocprim17ROCPRIM_400000_NS6detail17trampoline_kernelINS0_13select_configILj256ELj13ELNS0_17block_load_methodE3ELS4_3ELS4_3ELNS0_20block_scan_algorithmE0ELj4294967295EEENS1_25partition_config_selectorILNS1_17partition_subalgoE4EjNS0_10empty_typeEbEEZZNS1_14partition_implILS8_4ELb0ES6_15HIP_vector_typeIjLj2EENS0_17counting_iteratorIjlEEPS9_SG_NS0_5tupleIJPjSI_NS0_16reverse_iteratorISI_EEEEENSH_IJSG_SG_SG_EEES9_SI_JZNS1_25segmented_radix_sort_implINS0_14default_configELb1EPKlPlSQ_SR_N2at6native12_GLOBAL__N_18offset_tEEE10hipError_tPvRmT1_PNSt15iterator_traitsISZ_E10value_typeET2_T3_PNS10_IS15_E10value_typeET4_jRbjT5_S1B_jjP12ihipStream_tbEUljE_ZNSN_ISO_Lb1ESQ_SR_SQ_SR_SV_EESW_SX_SY_SZ_S13_S14_S15_S18_S19_jS1A_jS1B_S1B_jjS1D_bEUljE0_EEESW_SX_SY_S15_S19_S1B_T6_T7_T9_mT8_S1D_bDpT10_ENKUlT_T0_E_clISt17integral_constantIbLb1EES1R_EEDaS1M_S1N_EUlS1M_E_NS1_11comp_targetILNS1_3genE4ELNS1_11target_archE910ELNS1_3gpuE8ELNS1_3repE0EEENS1_30default_config_static_selectorELNS0_4arch9wavefront6targetE0EEEvSZ_,comdat
.Lfunc_end646:
	.size	_ZN7rocprim17ROCPRIM_400000_NS6detail17trampoline_kernelINS0_13select_configILj256ELj13ELNS0_17block_load_methodE3ELS4_3ELS4_3ELNS0_20block_scan_algorithmE0ELj4294967295EEENS1_25partition_config_selectorILNS1_17partition_subalgoE4EjNS0_10empty_typeEbEEZZNS1_14partition_implILS8_4ELb0ES6_15HIP_vector_typeIjLj2EENS0_17counting_iteratorIjlEEPS9_SG_NS0_5tupleIJPjSI_NS0_16reverse_iteratorISI_EEEEENSH_IJSG_SG_SG_EEES9_SI_JZNS1_25segmented_radix_sort_implINS0_14default_configELb1EPKlPlSQ_SR_N2at6native12_GLOBAL__N_18offset_tEEE10hipError_tPvRmT1_PNSt15iterator_traitsISZ_E10value_typeET2_T3_PNS10_IS15_E10value_typeET4_jRbjT5_S1B_jjP12ihipStream_tbEUljE_ZNSN_ISO_Lb1ESQ_SR_SQ_SR_SV_EESW_SX_SY_SZ_S13_S14_S15_S18_S19_jS1A_jS1B_S1B_jjS1D_bEUljE0_EEESW_SX_SY_S15_S19_S1B_T6_T7_T9_mT8_S1D_bDpT10_ENKUlT_T0_E_clISt17integral_constantIbLb1EES1R_EEDaS1M_S1N_EUlS1M_E_NS1_11comp_targetILNS1_3genE4ELNS1_11target_archE910ELNS1_3gpuE8ELNS1_3repE0EEENS1_30default_config_static_selectorELNS0_4arch9wavefront6targetE0EEEvSZ_, .Lfunc_end646-_ZN7rocprim17ROCPRIM_400000_NS6detail17trampoline_kernelINS0_13select_configILj256ELj13ELNS0_17block_load_methodE3ELS4_3ELS4_3ELNS0_20block_scan_algorithmE0ELj4294967295EEENS1_25partition_config_selectorILNS1_17partition_subalgoE4EjNS0_10empty_typeEbEEZZNS1_14partition_implILS8_4ELb0ES6_15HIP_vector_typeIjLj2EENS0_17counting_iteratorIjlEEPS9_SG_NS0_5tupleIJPjSI_NS0_16reverse_iteratorISI_EEEEENSH_IJSG_SG_SG_EEES9_SI_JZNS1_25segmented_radix_sort_implINS0_14default_configELb1EPKlPlSQ_SR_N2at6native12_GLOBAL__N_18offset_tEEE10hipError_tPvRmT1_PNSt15iterator_traitsISZ_E10value_typeET2_T3_PNS10_IS15_E10value_typeET4_jRbjT5_S1B_jjP12ihipStream_tbEUljE_ZNSN_ISO_Lb1ESQ_SR_SQ_SR_SV_EESW_SX_SY_SZ_S13_S14_S15_S18_S19_jS1A_jS1B_S1B_jjS1D_bEUljE0_EEESW_SX_SY_S15_S19_S1B_T6_T7_T9_mT8_S1D_bDpT10_ENKUlT_T0_E_clISt17integral_constantIbLb1EES1R_EEDaS1M_S1N_EUlS1M_E_NS1_11comp_targetILNS1_3genE4ELNS1_11target_archE910ELNS1_3gpuE8ELNS1_3repE0EEENS1_30default_config_static_selectorELNS0_4arch9wavefront6targetE0EEEvSZ_
                                        ; -- End function
	.set _ZN7rocprim17ROCPRIM_400000_NS6detail17trampoline_kernelINS0_13select_configILj256ELj13ELNS0_17block_load_methodE3ELS4_3ELS4_3ELNS0_20block_scan_algorithmE0ELj4294967295EEENS1_25partition_config_selectorILNS1_17partition_subalgoE4EjNS0_10empty_typeEbEEZZNS1_14partition_implILS8_4ELb0ES6_15HIP_vector_typeIjLj2EENS0_17counting_iteratorIjlEEPS9_SG_NS0_5tupleIJPjSI_NS0_16reverse_iteratorISI_EEEEENSH_IJSG_SG_SG_EEES9_SI_JZNS1_25segmented_radix_sort_implINS0_14default_configELb1EPKlPlSQ_SR_N2at6native12_GLOBAL__N_18offset_tEEE10hipError_tPvRmT1_PNSt15iterator_traitsISZ_E10value_typeET2_T3_PNS10_IS15_E10value_typeET4_jRbjT5_S1B_jjP12ihipStream_tbEUljE_ZNSN_ISO_Lb1ESQ_SR_SQ_SR_SV_EESW_SX_SY_SZ_S13_S14_S15_S18_S19_jS1A_jS1B_S1B_jjS1D_bEUljE0_EEESW_SX_SY_S15_S19_S1B_T6_T7_T9_mT8_S1D_bDpT10_ENKUlT_T0_E_clISt17integral_constantIbLb1EES1R_EEDaS1M_S1N_EUlS1M_E_NS1_11comp_targetILNS1_3genE4ELNS1_11target_archE910ELNS1_3gpuE8ELNS1_3repE0EEENS1_30default_config_static_selectorELNS0_4arch9wavefront6targetE0EEEvSZ_.num_vgpr, 0
	.set _ZN7rocprim17ROCPRIM_400000_NS6detail17trampoline_kernelINS0_13select_configILj256ELj13ELNS0_17block_load_methodE3ELS4_3ELS4_3ELNS0_20block_scan_algorithmE0ELj4294967295EEENS1_25partition_config_selectorILNS1_17partition_subalgoE4EjNS0_10empty_typeEbEEZZNS1_14partition_implILS8_4ELb0ES6_15HIP_vector_typeIjLj2EENS0_17counting_iteratorIjlEEPS9_SG_NS0_5tupleIJPjSI_NS0_16reverse_iteratorISI_EEEEENSH_IJSG_SG_SG_EEES9_SI_JZNS1_25segmented_radix_sort_implINS0_14default_configELb1EPKlPlSQ_SR_N2at6native12_GLOBAL__N_18offset_tEEE10hipError_tPvRmT1_PNSt15iterator_traitsISZ_E10value_typeET2_T3_PNS10_IS15_E10value_typeET4_jRbjT5_S1B_jjP12ihipStream_tbEUljE_ZNSN_ISO_Lb1ESQ_SR_SQ_SR_SV_EESW_SX_SY_SZ_S13_S14_S15_S18_S19_jS1A_jS1B_S1B_jjS1D_bEUljE0_EEESW_SX_SY_S15_S19_S1B_T6_T7_T9_mT8_S1D_bDpT10_ENKUlT_T0_E_clISt17integral_constantIbLb1EES1R_EEDaS1M_S1N_EUlS1M_E_NS1_11comp_targetILNS1_3genE4ELNS1_11target_archE910ELNS1_3gpuE8ELNS1_3repE0EEENS1_30default_config_static_selectorELNS0_4arch9wavefront6targetE0EEEvSZ_.num_agpr, 0
	.set _ZN7rocprim17ROCPRIM_400000_NS6detail17trampoline_kernelINS0_13select_configILj256ELj13ELNS0_17block_load_methodE3ELS4_3ELS4_3ELNS0_20block_scan_algorithmE0ELj4294967295EEENS1_25partition_config_selectorILNS1_17partition_subalgoE4EjNS0_10empty_typeEbEEZZNS1_14partition_implILS8_4ELb0ES6_15HIP_vector_typeIjLj2EENS0_17counting_iteratorIjlEEPS9_SG_NS0_5tupleIJPjSI_NS0_16reverse_iteratorISI_EEEEENSH_IJSG_SG_SG_EEES9_SI_JZNS1_25segmented_radix_sort_implINS0_14default_configELb1EPKlPlSQ_SR_N2at6native12_GLOBAL__N_18offset_tEEE10hipError_tPvRmT1_PNSt15iterator_traitsISZ_E10value_typeET2_T3_PNS10_IS15_E10value_typeET4_jRbjT5_S1B_jjP12ihipStream_tbEUljE_ZNSN_ISO_Lb1ESQ_SR_SQ_SR_SV_EESW_SX_SY_SZ_S13_S14_S15_S18_S19_jS1A_jS1B_S1B_jjS1D_bEUljE0_EEESW_SX_SY_S15_S19_S1B_T6_T7_T9_mT8_S1D_bDpT10_ENKUlT_T0_E_clISt17integral_constantIbLb1EES1R_EEDaS1M_S1N_EUlS1M_E_NS1_11comp_targetILNS1_3genE4ELNS1_11target_archE910ELNS1_3gpuE8ELNS1_3repE0EEENS1_30default_config_static_selectorELNS0_4arch9wavefront6targetE0EEEvSZ_.numbered_sgpr, 0
	.set _ZN7rocprim17ROCPRIM_400000_NS6detail17trampoline_kernelINS0_13select_configILj256ELj13ELNS0_17block_load_methodE3ELS4_3ELS4_3ELNS0_20block_scan_algorithmE0ELj4294967295EEENS1_25partition_config_selectorILNS1_17partition_subalgoE4EjNS0_10empty_typeEbEEZZNS1_14partition_implILS8_4ELb0ES6_15HIP_vector_typeIjLj2EENS0_17counting_iteratorIjlEEPS9_SG_NS0_5tupleIJPjSI_NS0_16reverse_iteratorISI_EEEEENSH_IJSG_SG_SG_EEES9_SI_JZNS1_25segmented_radix_sort_implINS0_14default_configELb1EPKlPlSQ_SR_N2at6native12_GLOBAL__N_18offset_tEEE10hipError_tPvRmT1_PNSt15iterator_traitsISZ_E10value_typeET2_T3_PNS10_IS15_E10value_typeET4_jRbjT5_S1B_jjP12ihipStream_tbEUljE_ZNSN_ISO_Lb1ESQ_SR_SQ_SR_SV_EESW_SX_SY_SZ_S13_S14_S15_S18_S19_jS1A_jS1B_S1B_jjS1D_bEUljE0_EEESW_SX_SY_S15_S19_S1B_T6_T7_T9_mT8_S1D_bDpT10_ENKUlT_T0_E_clISt17integral_constantIbLb1EES1R_EEDaS1M_S1N_EUlS1M_E_NS1_11comp_targetILNS1_3genE4ELNS1_11target_archE910ELNS1_3gpuE8ELNS1_3repE0EEENS1_30default_config_static_selectorELNS0_4arch9wavefront6targetE0EEEvSZ_.num_named_barrier, 0
	.set _ZN7rocprim17ROCPRIM_400000_NS6detail17trampoline_kernelINS0_13select_configILj256ELj13ELNS0_17block_load_methodE3ELS4_3ELS4_3ELNS0_20block_scan_algorithmE0ELj4294967295EEENS1_25partition_config_selectorILNS1_17partition_subalgoE4EjNS0_10empty_typeEbEEZZNS1_14partition_implILS8_4ELb0ES6_15HIP_vector_typeIjLj2EENS0_17counting_iteratorIjlEEPS9_SG_NS0_5tupleIJPjSI_NS0_16reverse_iteratorISI_EEEEENSH_IJSG_SG_SG_EEES9_SI_JZNS1_25segmented_radix_sort_implINS0_14default_configELb1EPKlPlSQ_SR_N2at6native12_GLOBAL__N_18offset_tEEE10hipError_tPvRmT1_PNSt15iterator_traitsISZ_E10value_typeET2_T3_PNS10_IS15_E10value_typeET4_jRbjT5_S1B_jjP12ihipStream_tbEUljE_ZNSN_ISO_Lb1ESQ_SR_SQ_SR_SV_EESW_SX_SY_SZ_S13_S14_S15_S18_S19_jS1A_jS1B_S1B_jjS1D_bEUljE0_EEESW_SX_SY_S15_S19_S1B_T6_T7_T9_mT8_S1D_bDpT10_ENKUlT_T0_E_clISt17integral_constantIbLb1EES1R_EEDaS1M_S1N_EUlS1M_E_NS1_11comp_targetILNS1_3genE4ELNS1_11target_archE910ELNS1_3gpuE8ELNS1_3repE0EEENS1_30default_config_static_selectorELNS0_4arch9wavefront6targetE0EEEvSZ_.private_seg_size, 0
	.set _ZN7rocprim17ROCPRIM_400000_NS6detail17trampoline_kernelINS0_13select_configILj256ELj13ELNS0_17block_load_methodE3ELS4_3ELS4_3ELNS0_20block_scan_algorithmE0ELj4294967295EEENS1_25partition_config_selectorILNS1_17partition_subalgoE4EjNS0_10empty_typeEbEEZZNS1_14partition_implILS8_4ELb0ES6_15HIP_vector_typeIjLj2EENS0_17counting_iteratorIjlEEPS9_SG_NS0_5tupleIJPjSI_NS0_16reverse_iteratorISI_EEEEENSH_IJSG_SG_SG_EEES9_SI_JZNS1_25segmented_radix_sort_implINS0_14default_configELb1EPKlPlSQ_SR_N2at6native12_GLOBAL__N_18offset_tEEE10hipError_tPvRmT1_PNSt15iterator_traitsISZ_E10value_typeET2_T3_PNS10_IS15_E10value_typeET4_jRbjT5_S1B_jjP12ihipStream_tbEUljE_ZNSN_ISO_Lb1ESQ_SR_SQ_SR_SV_EESW_SX_SY_SZ_S13_S14_S15_S18_S19_jS1A_jS1B_S1B_jjS1D_bEUljE0_EEESW_SX_SY_S15_S19_S1B_T6_T7_T9_mT8_S1D_bDpT10_ENKUlT_T0_E_clISt17integral_constantIbLb1EES1R_EEDaS1M_S1N_EUlS1M_E_NS1_11comp_targetILNS1_3genE4ELNS1_11target_archE910ELNS1_3gpuE8ELNS1_3repE0EEENS1_30default_config_static_selectorELNS0_4arch9wavefront6targetE0EEEvSZ_.uses_vcc, 0
	.set _ZN7rocprim17ROCPRIM_400000_NS6detail17trampoline_kernelINS0_13select_configILj256ELj13ELNS0_17block_load_methodE3ELS4_3ELS4_3ELNS0_20block_scan_algorithmE0ELj4294967295EEENS1_25partition_config_selectorILNS1_17partition_subalgoE4EjNS0_10empty_typeEbEEZZNS1_14partition_implILS8_4ELb0ES6_15HIP_vector_typeIjLj2EENS0_17counting_iteratorIjlEEPS9_SG_NS0_5tupleIJPjSI_NS0_16reverse_iteratorISI_EEEEENSH_IJSG_SG_SG_EEES9_SI_JZNS1_25segmented_radix_sort_implINS0_14default_configELb1EPKlPlSQ_SR_N2at6native12_GLOBAL__N_18offset_tEEE10hipError_tPvRmT1_PNSt15iterator_traitsISZ_E10value_typeET2_T3_PNS10_IS15_E10value_typeET4_jRbjT5_S1B_jjP12ihipStream_tbEUljE_ZNSN_ISO_Lb1ESQ_SR_SQ_SR_SV_EESW_SX_SY_SZ_S13_S14_S15_S18_S19_jS1A_jS1B_S1B_jjS1D_bEUljE0_EEESW_SX_SY_S15_S19_S1B_T6_T7_T9_mT8_S1D_bDpT10_ENKUlT_T0_E_clISt17integral_constantIbLb1EES1R_EEDaS1M_S1N_EUlS1M_E_NS1_11comp_targetILNS1_3genE4ELNS1_11target_archE910ELNS1_3gpuE8ELNS1_3repE0EEENS1_30default_config_static_selectorELNS0_4arch9wavefront6targetE0EEEvSZ_.uses_flat_scratch, 0
	.set _ZN7rocprim17ROCPRIM_400000_NS6detail17trampoline_kernelINS0_13select_configILj256ELj13ELNS0_17block_load_methodE3ELS4_3ELS4_3ELNS0_20block_scan_algorithmE0ELj4294967295EEENS1_25partition_config_selectorILNS1_17partition_subalgoE4EjNS0_10empty_typeEbEEZZNS1_14partition_implILS8_4ELb0ES6_15HIP_vector_typeIjLj2EENS0_17counting_iteratorIjlEEPS9_SG_NS0_5tupleIJPjSI_NS0_16reverse_iteratorISI_EEEEENSH_IJSG_SG_SG_EEES9_SI_JZNS1_25segmented_radix_sort_implINS0_14default_configELb1EPKlPlSQ_SR_N2at6native12_GLOBAL__N_18offset_tEEE10hipError_tPvRmT1_PNSt15iterator_traitsISZ_E10value_typeET2_T3_PNS10_IS15_E10value_typeET4_jRbjT5_S1B_jjP12ihipStream_tbEUljE_ZNSN_ISO_Lb1ESQ_SR_SQ_SR_SV_EESW_SX_SY_SZ_S13_S14_S15_S18_S19_jS1A_jS1B_S1B_jjS1D_bEUljE0_EEESW_SX_SY_S15_S19_S1B_T6_T7_T9_mT8_S1D_bDpT10_ENKUlT_T0_E_clISt17integral_constantIbLb1EES1R_EEDaS1M_S1N_EUlS1M_E_NS1_11comp_targetILNS1_3genE4ELNS1_11target_archE910ELNS1_3gpuE8ELNS1_3repE0EEENS1_30default_config_static_selectorELNS0_4arch9wavefront6targetE0EEEvSZ_.has_dyn_sized_stack, 0
	.set _ZN7rocprim17ROCPRIM_400000_NS6detail17trampoline_kernelINS0_13select_configILj256ELj13ELNS0_17block_load_methodE3ELS4_3ELS4_3ELNS0_20block_scan_algorithmE0ELj4294967295EEENS1_25partition_config_selectorILNS1_17partition_subalgoE4EjNS0_10empty_typeEbEEZZNS1_14partition_implILS8_4ELb0ES6_15HIP_vector_typeIjLj2EENS0_17counting_iteratorIjlEEPS9_SG_NS0_5tupleIJPjSI_NS0_16reverse_iteratorISI_EEEEENSH_IJSG_SG_SG_EEES9_SI_JZNS1_25segmented_radix_sort_implINS0_14default_configELb1EPKlPlSQ_SR_N2at6native12_GLOBAL__N_18offset_tEEE10hipError_tPvRmT1_PNSt15iterator_traitsISZ_E10value_typeET2_T3_PNS10_IS15_E10value_typeET4_jRbjT5_S1B_jjP12ihipStream_tbEUljE_ZNSN_ISO_Lb1ESQ_SR_SQ_SR_SV_EESW_SX_SY_SZ_S13_S14_S15_S18_S19_jS1A_jS1B_S1B_jjS1D_bEUljE0_EEESW_SX_SY_S15_S19_S1B_T6_T7_T9_mT8_S1D_bDpT10_ENKUlT_T0_E_clISt17integral_constantIbLb1EES1R_EEDaS1M_S1N_EUlS1M_E_NS1_11comp_targetILNS1_3genE4ELNS1_11target_archE910ELNS1_3gpuE8ELNS1_3repE0EEENS1_30default_config_static_selectorELNS0_4arch9wavefront6targetE0EEEvSZ_.has_recursion, 0
	.set _ZN7rocprim17ROCPRIM_400000_NS6detail17trampoline_kernelINS0_13select_configILj256ELj13ELNS0_17block_load_methodE3ELS4_3ELS4_3ELNS0_20block_scan_algorithmE0ELj4294967295EEENS1_25partition_config_selectorILNS1_17partition_subalgoE4EjNS0_10empty_typeEbEEZZNS1_14partition_implILS8_4ELb0ES6_15HIP_vector_typeIjLj2EENS0_17counting_iteratorIjlEEPS9_SG_NS0_5tupleIJPjSI_NS0_16reverse_iteratorISI_EEEEENSH_IJSG_SG_SG_EEES9_SI_JZNS1_25segmented_radix_sort_implINS0_14default_configELb1EPKlPlSQ_SR_N2at6native12_GLOBAL__N_18offset_tEEE10hipError_tPvRmT1_PNSt15iterator_traitsISZ_E10value_typeET2_T3_PNS10_IS15_E10value_typeET4_jRbjT5_S1B_jjP12ihipStream_tbEUljE_ZNSN_ISO_Lb1ESQ_SR_SQ_SR_SV_EESW_SX_SY_SZ_S13_S14_S15_S18_S19_jS1A_jS1B_S1B_jjS1D_bEUljE0_EEESW_SX_SY_S15_S19_S1B_T6_T7_T9_mT8_S1D_bDpT10_ENKUlT_T0_E_clISt17integral_constantIbLb1EES1R_EEDaS1M_S1N_EUlS1M_E_NS1_11comp_targetILNS1_3genE4ELNS1_11target_archE910ELNS1_3gpuE8ELNS1_3repE0EEENS1_30default_config_static_selectorELNS0_4arch9wavefront6targetE0EEEvSZ_.has_indirect_call, 0
	.section	.AMDGPU.csdata,"",@progbits
; Kernel info:
; codeLenInByte = 0
; TotalNumSgprs: 0
; NumVgprs: 0
; ScratchSize: 0
; MemoryBound: 0
; FloatMode: 240
; IeeeMode: 1
; LDSByteSize: 0 bytes/workgroup (compile time only)
; SGPRBlocks: 0
; VGPRBlocks: 0
; NumSGPRsForWavesPerEU: 1
; NumVGPRsForWavesPerEU: 1
; NamedBarCnt: 0
; Occupancy: 16
; WaveLimiterHint : 0
; COMPUTE_PGM_RSRC2:SCRATCH_EN: 0
; COMPUTE_PGM_RSRC2:USER_SGPR: 2
; COMPUTE_PGM_RSRC2:TRAP_HANDLER: 0
; COMPUTE_PGM_RSRC2:TGID_X_EN: 1
; COMPUTE_PGM_RSRC2:TGID_Y_EN: 0
; COMPUTE_PGM_RSRC2:TGID_Z_EN: 0
; COMPUTE_PGM_RSRC2:TIDIG_COMP_CNT: 0
	.section	.text._ZN7rocprim17ROCPRIM_400000_NS6detail17trampoline_kernelINS0_13select_configILj256ELj13ELNS0_17block_load_methodE3ELS4_3ELS4_3ELNS0_20block_scan_algorithmE0ELj4294967295EEENS1_25partition_config_selectorILNS1_17partition_subalgoE4EjNS0_10empty_typeEbEEZZNS1_14partition_implILS8_4ELb0ES6_15HIP_vector_typeIjLj2EENS0_17counting_iteratorIjlEEPS9_SG_NS0_5tupleIJPjSI_NS0_16reverse_iteratorISI_EEEEENSH_IJSG_SG_SG_EEES9_SI_JZNS1_25segmented_radix_sort_implINS0_14default_configELb1EPKlPlSQ_SR_N2at6native12_GLOBAL__N_18offset_tEEE10hipError_tPvRmT1_PNSt15iterator_traitsISZ_E10value_typeET2_T3_PNS10_IS15_E10value_typeET4_jRbjT5_S1B_jjP12ihipStream_tbEUljE_ZNSN_ISO_Lb1ESQ_SR_SQ_SR_SV_EESW_SX_SY_SZ_S13_S14_S15_S18_S19_jS1A_jS1B_S1B_jjS1D_bEUljE0_EEESW_SX_SY_S15_S19_S1B_T6_T7_T9_mT8_S1D_bDpT10_ENKUlT_T0_E_clISt17integral_constantIbLb1EES1R_EEDaS1M_S1N_EUlS1M_E_NS1_11comp_targetILNS1_3genE3ELNS1_11target_archE908ELNS1_3gpuE7ELNS1_3repE0EEENS1_30default_config_static_selectorELNS0_4arch9wavefront6targetE0EEEvSZ_,"axG",@progbits,_ZN7rocprim17ROCPRIM_400000_NS6detail17trampoline_kernelINS0_13select_configILj256ELj13ELNS0_17block_load_methodE3ELS4_3ELS4_3ELNS0_20block_scan_algorithmE0ELj4294967295EEENS1_25partition_config_selectorILNS1_17partition_subalgoE4EjNS0_10empty_typeEbEEZZNS1_14partition_implILS8_4ELb0ES6_15HIP_vector_typeIjLj2EENS0_17counting_iteratorIjlEEPS9_SG_NS0_5tupleIJPjSI_NS0_16reverse_iteratorISI_EEEEENSH_IJSG_SG_SG_EEES9_SI_JZNS1_25segmented_radix_sort_implINS0_14default_configELb1EPKlPlSQ_SR_N2at6native12_GLOBAL__N_18offset_tEEE10hipError_tPvRmT1_PNSt15iterator_traitsISZ_E10value_typeET2_T3_PNS10_IS15_E10value_typeET4_jRbjT5_S1B_jjP12ihipStream_tbEUljE_ZNSN_ISO_Lb1ESQ_SR_SQ_SR_SV_EESW_SX_SY_SZ_S13_S14_S15_S18_S19_jS1A_jS1B_S1B_jjS1D_bEUljE0_EEESW_SX_SY_S15_S19_S1B_T6_T7_T9_mT8_S1D_bDpT10_ENKUlT_T0_E_clISt17integral_constantIbLb1EES1R_EEDaS1M_S1N_EUlS1M_E_NS1_11comp_targetILNS1_3genE3ELNS1_11target_archE908ELNS1_3gpuE7ELNS1_3repE0EEENS1_30default_config_static_selectorELNS0_4arch9wavefront6targetE0EEEvSZ_,comdat
	.globl	_ZN7rocprim17ROCPRIM_400000_NS6detail17trampoline_kernelINS0_13select_configILj256ELj13ELNS0_17block_load_methodE3ELS4_3ELS4_3ELNS0_20block_scan_algorithmE0ELj4294967295EEENS1_25partition_config_selectorILNS1_17partition_subalgoE4EjNS0_10empty_typeEbEEZZNS1_14partition_implILS8_4ELb0ES6_15HIP_vector_typeIjLj2EENS0_17counting_iteratorIjlEEPS9_SG_NS0_5tupleIJPjSI_NS0_16reverse_iteratorISI_EEEEENSH_IJSG_SG_SG_EEES9_SI_JZNS1_25segmented_radix_sort_implINS0_14default_configELb1EPKlPlSQ_SR_N2at6native12_GLOBAL__N_18offset_tEEE10hipError_tPvRmT1_PNSt15iterator_traitsISZ_E10value_typeET2_T3_PNS10_IS15_E10value_typeET4_jRbjT5_S1B_jjP12ihipStream_tbEUljE_ZNSN_ISO_Lb1ESQ_SR_SQ_SR_SV_EESW_SX_SY_SZ_S13_S14_S15_S18_S19_jS1A_jS1B_S1B_jjS1D_bEUljE0_EEESW_SX_SY_S15_S19_S1B_T6_T7_T9_mT8_S1D_bDpT10_ENKUlT_T0_E_clISt17integral_constantIbLb1EES1R_EEDaS1M_S1N_EUlS1M_E_NS1_11comp_targetILNS1_3genE3ELNS1_11target_archE908ELNS1_3gpuE7ELNS1_3repE0EEENS1_30default_config_static_selectorELNS0_4arch9wavefront6targetE0EEEvSZ_ ; -- Begin function _ZN7rocprim17ROCPRIM_400000_NS6detail17trampoline_kernelINS0_13select_configILj256ELj13ELNS0_17block_load_methodE3ELS4_3ELS4_3ELNS0_20block_scan_algorithmE0ELj4294967295EEENS1_25partition_config_selectorILNS1_17partition_subalgoE4EjNS0_10empty_typeEbEEZZNS1_14partition_implILS8_4ELb0ES6_15HIP_vector_typeIjLj2EENS0_17counting_iteratorIjlEEPS9_SG_NS0_5tupleIJPjSI_NS0_16reverse_iteratorISI_EEEEENSH_IJSG_SG_SG_EEES9_SI_JZNS1_25segmented_radix_sort_implINS0_14default_configELb1EPKlPlSQ_SR_N2at6native12_GLOBAL__N_18offset_tEEE10hipError_tPvRmT1_PNSt15iterator_traitsISZ_E10value_typeET2_T3_PNS10_IS15_E10value_typeET4_jRbjT5_S1B_jjP12ihipStream_tbEUljE_ZNSN_ISO_Lb1ESQ_SR_SQ_SR_SV_EESW_SX_SY_SZ_S13_S14_S15_S18_S19_jS1A_jS1B_S1B_jjS1D_bEUljE0_EEESW_SX_SY_S15_S19_S1B_T6_T7_T9_mT8_S1D_bDpT10_ENKUlT_T0_E_clISt17integral_constantIbLb1EES1R_EEDaS1M_S1N_EUlS1M_E_NS1_11comp_targetILNS1_3genE3ELNS1_11target_archE908ELNS1_3gpuE7ELNS1_3repE0EEENS1_30default_config_static_selectorELNS0_4arch9wavefront6targetE0EEEvSZ_
	.p2align	8
	.type	_ZN7rocprim17ROCPRIM_400000_NS6detail17trampoline_kernelINS0_13select_configILj256ELj13ELNS0_17block_load_methodE3ELS4_3ELS4_3ELNS0_20block_scan_algorithmE0ELj4294967295EEENS1_25partition_config_selectorILNS1_17partition_subalgoE4EjNS0_10empty_typeEbEEZZNS1_14partition_implILS8_4ELb0ES6_15HIP_vector_typeIjLj2EENS0_17counting_iteratorIjlEEPS9_SG_NS0_5tupleIJPjSI_NS0_16reverse_iteratorISI_EEEEENSH_IJSG_SG_SG_EEES9_SI_JZNS1_25segmented_radix_sort_implINS0_14default_configELb1EPKlPlSQ_SR_N2at6native12_GLOBAL__N_18offset_tEEE10hipError_tPvRmT1_PNSt15iterator_traitsISZ_E10value_typeET2_T3_PNS10_IS15_E10value_typeET4_jRbjT5_S1B_jjP12ihipStream_tbEUljE_ZNSN_ISO_Lb1ESQ_SR_SQ_SR_SV_EESW_SX_SY_SZ_S13_S14_S15_S18_S19_jS1A_jS1B_S1B_jjS1D_bEUljE0_EEESW_SX_SY_S15_S19_S1B_T6_T7_T9_mT8_S1D_bDpT10_ENKUlT_T0_E_clISt17integral_constantIbLb1EES1R_EEDaS1M_S1N_EUlS1M_E_NS1_11comp_targetILNS1_3genE3ELNS1_11target_archE908ELNS1_3gpuE7ELNS1_3repE0EEENS1_30default_config_static_selectorELNS0_4arch9wavefront6targetE0EEEvSZ_,@function
_ZN7rocprim17ROCPRIM_400000_NS6detail17trampoline_kernelINS0_13select_configILj256ELj13ELNS0_17block_load_methodE3ELS4_3ELS4_3ELNS0_20block_scan_algorithmE0ELj4294967295EEENS1_25partition_config_selectorILNS1_17partition_subalgoE4EjNS0_10empty_typeEbEEZZNS1_14partition_implILS8_4ELb0ES6_15HIP_vector_typeIjLj2EENS0_17counting_iteratorIjlEEPS9_SG_NS0_5tupleIJPjSI_NS0_16reverse_iteratorISI_EEEEENSH_IJSG_SG_SG_EEES9_SI_JZNS1_25segmented_radix_sort_implINS0_14default_configELb1EPKlPlSQ_SR_N2at6native12_GLOBAL__N_18offset_tEEE10hipError_tPvRmT1_PNSt15iterator_traitsISZ_E10value_typeET2_T3_PNS10_IS15_E10value_typeET4_jRbjT5_S1B_jjP12ihipStream_tbEUljE_ZNSN_ISO_Lb1ESQ_SR_SQ_SR_SV_EESW_SX_SY_SZ_S13_S14_S15_S18_S19_jS1A_jS1B_S1B_jjS1D_bEUljE0_EEESW_SX_SY_S15_S19_S1B_T6_T7_T9_mT8_S1D_bDpT10_ENKUlT_T0_E_clISt17integral_constantIbLb1EES1R_EEDaS1M_S1N_EUlS1M_E_NS1_11comp_targetILNS1_3genE3ELNS1_11target_archE908ELNS1_3gpuE7ELNS1_3repE0EEENS1_30default_config_static_selectorELNS0_4arch9wavefront6targetE0EEEvSZ_: ; @_ZN7rocprim17ROCPRIM_400000_NS6detail17trampoline_kernelINS0_13select_configILj256ELj13ELNS0_17block_load_methodE3ELS4_3ELS4_3ELNS0_20block_scan_algorithmE0ELj4294967295EEENS1_25partition_config_selectorILNS1_17partition_subalgoE4EjNS0_10empty_typeEbEEZZNS1_14partition_implILS8_4ELb0ES6_15HIP_vector_typeIjLj2EENS0_17counting_iteratorIjlEEPS9_SG_NS0_5tupleIJPjSI_NS0_16reverse_iteratorISI_EEEEENSH_IJSG_SG_SG_EEES9_SI_JZNS1_25segmented_radix_sort_implINS0_14default_configELb1EPKlPlSQ_SR_N2at6native12_GLOBAL__N_18offset_tEEE10hipError_tPvRmT1_PNSt15iterator_traitsISZ_E10value_typeET2_T3_PNS10_IS15_E10value_typeET4_jRbjT5_S1B_jjP12ihipStream_tbEUljE_ZNSN_ISO_Lb1ESQ_SR_SQ_SR_SV_EESW_SX_SY_SZ_S13_S14_S15_S18_S19_jS1A_jS1B_S1B_jjS1D_bEUljE0_EEESW_SX_SY_S15_S19_S1B_T6_T7_T9_mT8_S1D_bDpT10_ENKUlT_T0_E_clISt17integral_constantIbLb1EES1R_EEDaS1M_S1N_EUlS1M_E_NS1_11comp_targetILNS1_3genE3ELNS1_11target_archE908ELNS1_3gpuE7ELNS1_3repE0EEENS1_30default_config_static_selectorELNS0_4arch9wavefront6targetE0EEEvSZ_
; %bb.0:
	.section	.rodata,"a",@progbits
	.p2align	6, 0x0
	.amdhsa_kernel _ZN7rocprim17ROCPRIM_400000_NS6detail17trampoline_kernelINS0_13select_configILj256ELj13ELNS0_17block_load_methodE3ELS4_3ELS4_3ELNS0_20block_scan_algorithmE0ELj4294967295EEENS1_25partition_config_selectorILNS1_17partition_subalgoE4EjNS0_10empty_typeEbEEZZNS1_14partition_implILS8_4ELb0ES6_15HIP_vector_typeIjLj2EENS0_17counting_iteratorIjlEEPS9_SG_NS0_5tupleIJPjSI_NS0_16reverse_iteratorISI_EEEEENSH_IJSG_SG_SG_EEES9_SI_JZNS1_25segmented_radix_sort_implINS0_14default_configELb1EPKlPlSQ_SR_N2at6native12_GLOBAL__N_18offset_tEEE10hipError_tPvRmT1_PNSt15iterator_traitsISZ_E10value_typeET2_T3_PNS10_IS15_E10value_typeET4_jRbjT5_S1B_jjP12ihipStream_tbEUljE_ZNSN_ISO_Lb1ESQ_SR_SQ_SR_SV_EESW_SX_SY_SZ_S13_S14_S15_S18_S19_jS1A_jS1B_S1B_jjS1D_bEUljE0_EEESW_SX_SY_S15_S19_S1B_T6_T7_T9_mT8_S1D_bDpT10_ENKUlT_T0_E_clISt17integral_constantIbLb1EES1R_EEDaS1M_S1N_EUlS1M_E_NS1_11comp_targetILNS1_3genE3ELNS1_11target_archE908ELNS1_3gpuE7ELNS1_3repE0EEENS1_30default_config_static_selectorELNS0_4arch9wavefront6targetE0EEEvSZ_
		.amdhsa_group_segment_fixed_size 0
		.amdhsa_private_segment_fixed_size 0
		.amdhsa_kernarg_size 184
		.amdhsa_user_sgpr_count 2
		.amdhsa_user_sgpr_dispatch_ptr 0
		.amdhsa_user_sgpr_queue_ptr 0
		.amdhsa_user_sgpr_kernarg_segment_ptr 1
		.amdhsa_user_sgpr_dispatch_id 0
		.amdhsa_user_sgpr_kernarg_preload_length 0
		.amdhsa_user_sgpr_kernarg_preload_offset 0
		.amdhsa_user_sgpr_private_segment_size 0
		.amdhsa_wavefront_size32 1
		.amdhsa_uses_dynamic_stack 0
		.amdhsa_enable_private_segment 0
		.amdhsa_system_sgpr_workgroup_id_x 1
		.amdhsa_system_sgpr_workgroup_id_y 0
		.amdhsa_system_sgpr_workgroup_id_z 0
		.amdhsa_system_sgpr_workgroup_info 0
		.amdhsa_system_vgpr_workitem_id 0
		.amdhsa_next_free_vgpr 1
		.amdhsa_next_free_sgpr 1
		.amdhsa_named_barrier_count 0
		.amdhsa_reserve_vcc 0
		.amdhsa_float_round_mode_32 0
		.amdhsa_float_round_mode_16_64 0
		.amdhsa_float_denorm_mode_32 3
		.amdhsa_float_denorm_mode_16_64 3
		.amdhsa_fp16_overflow 0
		.amdhsa_memory_ordered 1
		.amdhsa_forward_progress 1
		.amdhsa_inst_pref_size 0
		.amdhsa_round_robin_scheduling 0
		.amdhsa_exception_fp_ieee_invalid_op 0
		.amdhsa_exception_fp_denorm_src 0
		.amdhsa_exception_fp_ieee_div_zero 0
		.amdhsa_exception_fp_ieee_overflow 0
		.amdhsa_exception_fp_ieee_underflow 0
		.amdhsa_exception_fp_ieee_inexact 0
		.amdhsa_exception_int_div_zero 0
	.end_amdhsa_kernel
	.section	.text._ZN7rocprim17ROCPRIM_400000_NS6detail17trampoline_kernelINS0_13select_configILj256ELj13ELNS0_17block_load_methodE3ELS4_3ELS4_3ELNS0_20block_scan_algorithmE0ELj4294967295EEENS1_25partition_config_selectorILNS1_17partition_subalgoE4EjNS0_10empty_typeEbEEZZNS1_14partition_implILS8_4ELb0ES6_15HIP_vector_typeIjLj2EENS0_17counting_iteratorIjlEEPS9_SG_NS0_5tupleIJPjSI_NS0_16reverse_iteratorISI_EEEEENSH_IJSG_SG_SG_EEES9_SI_JZNS1_25segmented_radix_sort_implINS0_14default_configELb1EPKlPlSQ_SR_N2at6native12_GLOBAL__N_18offset_tEEE10hipError_tPvRmT1_PNSt15iterator_traitsISZ_E10value_typeET2_T3_PNS10_IS15_E10value_typeET4_jRbjT5_S1B_jjP12ihipStream_tbEUljE_ZNSN_ISO_Lb1ESQ_SR_SQ_SR_SV_EESW_SX_SY_SZ_S13_S14_S15_S18_S19_jS1A_jS1B_S1B_jjS1D_bEUljE0_EEESW_SX_SY_S15_S19_S1B_T6_T7_T9_mT8_S1D_bDpT10_ENKUlT_T0_E_clISt17integral_constantIbLb1EES1R_EEDaS1M_S1N_EUlS1M_E_NS1_11comp_targetILNS1_3genE3ELNS1_11target_archE908ELNS1_3gpuE7ELNS1_3repE0EEENS1_30default_config_static_selectorELNS0_4arch9wavefront6targetE0EEEvSZ_,"axG",@progbits,_ZN7rocprim17ROCPRIM_400000_NS6detail17trampoline_kernelINS0_13select_configILj256ELj13ELNS0_17block_load_methodE3ELS4_3ELS4_3ELNS0_20block_scan_algorithmE0ELj4294967295EEENS1_25partition_config_selectorILNS1_17partition_subalgoE4EjNS0_10empty_typeEbEEZZNS1_14partition_implILS8_4ELb0ES6_15HIP_vector_typeIjLj2EENS0_17counting_iteratorIjlEEPS9_SG_NS0_5tupleIJPjSI_NS0_16reverse_iteratorISI_EEEEENSH_IJSG_SG_SG_EEES9_SI_JZNS1_25segmented_radix_sort_implINS0_14default_configELb1EPKlPlSQ_SR_N2at6native12_GLOBAL__N_18offset_tEEE10hipError_tPvRmT1_PNSt15iterator_traitsISZ_E10value_typeET2_T3_PNS10_IS15_E10value_typeET4_jRbjT5_S1B_jjP12ihipStream_tbEUljE_ZNSN_ISO_Lb1ESQ_SR_SQ_SR_SV_EESW_SX_SY_SZ_S13_S14_S15_S18_S19_jS1A_jS1B_S1B_jjS1D_bEUljE0_EEESW_SX_SY_S15_S19_S1B_T6_T7_T9_mT8_S1D_bDpT10_ENKUlT_T0_E_clISt17integral_constantIbLb1EES1R_EEDaS1M_S1N_EUlS1M_E_NS1_11comp_targetILNS1_3genE3ELNS1_11target_archE908ELNS1_3gpuE7ELNS1_3repE0EEENS1_30default_config_static_selectorELNS0_4arch9wavefront6targetE0EEEvSZ_,comdat
.Lfunc_end647:
	.size	_ZN7rocprim17ROCPRIM_400000_NS6detail17trampoline_kernelINS0_13select_configILj256ELj13ELNS0_17block_load_methodE3ELS4_3ELS4_3ELNS0_20block_scan_algorithmE0ELj4294967295EEENS1_25partition_config_selectorILNS1_17partition_subalgoE4EjNS0_10empty_typeEbEEZZNS1_14partition_implILS8_4ELb0ES6_15HIP_vector_typeIjLj2EENS0_17counting_iteratorIjlEEPS9_SG_NS0_5tupleIJPjSI_NS0_16reverse_iteratorISI_EEEEENSH_IJSG_SG_SG_EEES9_SI_JZNS1_25segmented_radix_sort_implINS0_14default_configELb1EPKlPlSQ_SR_N2at6native12_GLOBAL__N_18offset_tEEE10hipError_tPvRmT1_PNSt15iterator_traitsISZ_E10value_typeET2_T3_PNS10_IS15_E10value_typeET4_jRbjT5_S1B_jjP12ihipStream_tbEUljE_ZNSN_ISO_Lb1ESQ_SR_SQ_SR_SV_EESW_SX_SY_SZ_S13_S14_S15_S18_S19_jS1A_jS1B_S1B_jjS1D_bEUljE0_EEESW_SX_SY_S15_S19_S1B_T6_T7_T9_mT8_S1D_bDpT10_ENKUlT_T0_E_clISt17integral_constantIbLb1EES1R_EEDaS1M_S1N_EUlS1M_E_NS1_11comp_targetILNS1_3genE3ELNS1_11target_archE908ELNS1_3gpuE7ELNS1_3repE0EEENS1_30default_config_static_selectorELNS0_4arch9wavefront6targetE0EEEvSZ_, .Lfunc_end647-_ZN7rocprim17ROCPRIM_400000_NS6detail17trampoline_kernelINS0_13select_configILj256ELj13ELNS0_17block_load_methodE3ELS4_3ELS4_3ELNS0_20block_scan_algorithmE0ELj4294967295EEENS1_25partition_config_selectorILNS1_17partition_subalgoE4EjNS0_10empty_typeEbEEZZNS1_14partition_implILS8_4ELb0ES6_15HIP_vector_typeIjLj2EENS0_17counting_iteratorIjlEEPS9_SG_NS0_5tupleIJPjSI_NS0_16reverse_iteratorISI_EEEEENSH_IJSG_SG_SG_EEES9_SI_JZNS1_25segmented_radix_sort_implINS0_14default_configELb1EPKlPlSQ_SR_N2at6native12_GLOBAL__N_18offset_tEEE10hipError_tPvRmT1_PNSt15iterator_traitsISZ_E10value_typeET2_T3_PNS10_IS15_E10value_typeET4_jRbjT5_S1B_jjP12ihipStream_tbEUljE_ZNSN_ISO_Lb1ESQ_SR_SQ_SR_SV_EESW_SX_SY_SZ_S13_S14_S15_S18_S19_jS1A_jS1B_S1B_jjS1D_bEUljE0_EEESW_SX_SY_S15_S19_S1B_T6_T7_T9_mT8_S1D_bDpT10_ENKUlT_T0_E_clISt17integral_constantIbLb1EES1R_EEDaS1M_S1N_EUlS1M_E_NS1_11comp_targetILNS1_3genE3ELNS1_11target_archE908ELNS1_3gpuE7ELNS1_3repE0EEENS1_30default_config_static_selectorELNS0_4arch9wavefront6targetE0EEEvSZ_
                                        ; -- End function
	.set _ZN7rocprim17ROCPRIM_400000_NS6detail17trampoline_kernelINS0_13select_configILj256ELj13ELNS0_17block_load_methodE3ELS4_3ELS4_3ELNS0_20block_scan_algorithmE0ELj4294967295EEENS1_25partition_config_selectorILNS1_17partition_subalgoE4EjNS0_10empty_typeEbEEZZNS1_14partition_implILS8_4ELb0ES6_15HIP_vector_typeIjLj2EENS0_17counting_iteratorIjlEEPS9_SG_NS0_5tupleIJPjSI_NS0_16reverse_iteratorISI_EEEEENSH_IJSG_SG_SG_EEES9_SI_JZNS1_25segmented_radix_sort_implINS0_14default_configELb1EPKlPlSQ_SR_N2at6native12_GLOBAL__N_18offset_tEEE10hipError_tPvRmT1_PNSt15iterator_traitsISZ_E10value_typeET2_T3_PNS10_IS15_E10value_typeET4_jRbjT5_S1B_jjP12ihipStream_tbEUljE_ZNSN_ISO_Lb1ESQ_SR_SQ_SR_SV_EESW_SX_SY_SZ_S13_S14_S15_S18_S19_jS1A_jS1B_S1B_jjS1D_bEUljE0_EEESW_SX_SY_S15_S19_S1B_T6_T7_T9_mT8_S1D_bDpT10_ENKUlT_T0_E_clISt17integral_constantIbLb1EES1R_EEDaS1M_S1N_EUlS1M_E_NS1_11comp_targetILNS1_3genE3ELNS1_11target_archE908ELNS1_3gpuE7ELNS1_3repE0EEENS1_30default_config_static_selectorELNS0_4arch9wavefront6targetE0EEEvSZ_.num_vgpr, 0
	.set _ZN7rocprim17ROCPRIM_400000_NS6detail17trampoline_kernelINS0_13select_configILj256ELj13ELNS0_17block_load_methodE3ELS4_3ELS4_3ELNS0_20block_scan_algorithmE0ELj4294967295EEENS1_25partition_config_selectorILNS1_17partition_subalgoE4EjNS0_10empty_typeEbEEZZNS1_14partition_implILS8_4ELb0ES6_15HIP_vector_typeIjLj2EENS0_17counting_iteratorIjlEEPS9_SG_NS0_5tupleIJPjSI_NS0_16reverse_iteratorISI_EEEEENSH_IJSG_SG_SG_EEES9_SI_JZNS1_25segmented_radix_sort_implINS0_14default_configELb1EPKlPlSQ_SR_N2at6native12_GLOBAL__N_18offset_tEEE10hipError_tPvRmT1_PNSt15iterator_traitsISZ_E10value_typeET2_T3_PNS10_IS15_E10value_typeET4_jRbjT5_S1B_jjP12ihipStream_tbEUljE_ZNSN_ISO_Lb1ESQ_SR_SQ_SR_SV_EESW_SX_SY_SZ_S13_S14_S15_S18_S19_jS1A_jS1B_S1B_jjS1D_bEUljE0_EEESW_SX_SY_S15_S19_S1B_T6_T7_T9_mT8_S1D_bDpT10_ENKUlT_T0_E_clISt17integral_constantIbLb1EES1R_EEDaS1M_S1N_EUlS1M_E_NS1_11comp_targetILNS1_3genE3ELNS1_11target_archE908ELNS1_3gpuE7ELNS1_3repE0EEENS1_30default_config_static_selectorELNS0_4arch9wavefront6targetE0EEEvSZ_.num_agpr, 0
	.set _ZN7rocprim17ROCPRIM_400000_NS6detail17trampoline_kernelINS0_13select_configILj256ELj13ELNS0_17block_load_methodE3ELS4_3ELS4_3ELNS0_20block_scan_algorithmE0ELj4294967295EEENS1_25partition_config_selectorILNS1_17partition_subalgoE4EjNS0_10empty_typeEbEEZZNS1_14partition_implILS8_4ELb0ES6_15HIP_vector_typeIjLj2EENS0_17counting_iteratorIjlEEPS9_SG_NS0_5tupleIJPjSI_NS0_16reverse_iteratorISI_EEEEENSH_IJSG_SG_SG_EEES9_SI_JZNS1_25segmented_radix_sort_implINS0_14default_configELb1EPKlPlSQ_SR_N2at6native12_GLOBAL__N_18offset_tEEE10hipError_tPvRmT1_PNSt15iterator_traitsISZ_E10value_typeET2_T3_PNS10_IS15_E10value_typeET4_jRbjT5_S1B_jjP12ihipStream_tbEUljE_ZNSN_ISO_Lb1ESQ_SR_SQ_SR_SV_EESW_SX_SY_SZ_S13_S14_S15_S18_S19_jS1A_jS1B_S1B_jjS1D_bEUljE0_EEESW_SX_SY_S15_S19_S1B_T6_T7_T9_mT8_S1D_bDpT10_ENKUlT_T0_E_clISt17integral_constantIbLb1EES1R_EEDaS1M_S1N_EUlS1M_E_NS1_11comp_targetILNS1_3genE3ELNS1_11target_archE908ELNS1_3gpuE7ELNS1_3repE0EEENS1_30default_config_static_selectorELNS0_4arch9wavefront6targetE0EEEvSZ_.numbered_sgpr, 0
	.set _ZN7rocprim17ROCPRIM_400000_NS6detail17trampoline_kernelINS0_13select_configILj256ELj13ELNS0_17block_load_methodE3ELS4_3ELS4_3ELNS0_20block_scan_algorithmE0ELj4294967295EEENS1_25partition_config_selectorILNS1_17partition_subalgoE4EjNS0_10empty_typeEbEEZZNS1_14partition_implILS8_4ELb0ES6_15HIP_vector_typeIjLj2EENS0_17counting_iteratorIjlEEPS9_SG_NS0_5tupleIJPjSI_NS0_16reverse_iteratorISI_EEEEENSH_IJSG_SG_SG_EEES9_SI_JZNS1_25segmented_radix_sort_implINS0_14default_configELb1EPKlPlSQ_SR_N2at6native12_GLOBAL__N_18offset_tEEE10hipError_tPvRmT1_PNSt15iterator_traitsISZ_E10value_typeET2_T3_PNS10_IS15_E10value_typeET4_jRbjT5_S1B_jjP12ihipStream_tbEUljE_ZNSN_ISO_Lb1ESQ_SR_SQ_SR_SV_EESW_SX_SY_SZ_S13_S14_S15_S18_S19_jS1A_jS1B_S1B_jjS1D_bEUljE0_EEESW_SX_SY_S15_S19_S1B_T6_T7_T9_mT8_S1D_bDpT10_ENKUlT_T0_E_clISt17integral_constantIbLb1EES1R_EEDaS1M_S1N_EUlS1M_E_NS1_11comp_targetILNS1_3genE3ELNS1_11target_archE908ELNS1_3gpuE7ELNS1_3repE0EEENS1_30default_config_static_selectorELNS0_4arch9wavefront6targetE0EEEvSZ_.num_named_barrier, 0
	.set _ZN7rocprim17ROCPRIM_400000_NS6detail17trampoline_kernelINS0_13select_configILj256ELj13ELNS0_17block_load_methodE3ELS4_3ELS4_3ELNS0_20block_scan_algorithmE0ELj4294967295EEENS1_25partition_config_selectorILNS1_17partition_subalgoE4EjNS0_10empty_typeEbEEZZNS1_14partition_implILS8_4ELb0ES6_15HIP_vector_typeIjLj2EENS0_17counting_iteratorIjlEEPS9_SG_NS0_5tupleIJPjSI_NS0_16reverse_iteratorISI_EEEEENSH_IJSG_SG_SG_EEES9_SI_JZNS1_25segmented_radix_sort_implINS0_14default_configELb1EPKlPlSQ_SR_N2at6native12_GLOBAL__N_18offset_tEEE10hipError_tPvRmT1_PNSt15iterator_traitsISZ_E10value_typeET2_T3_PNS10_IS15_E10value_typeET4_jRbjT5_S1B_jjP12ihipStream_tbEUljE_ZNSN_ISO_Lb1ESQ_SR_SQ_SR_SV_EESW_SX_SY_SZ_S13_S14_S15_S18_S19_jS1A_jS1B_S1B_jjS1D_bEUljE0_EEESW_SX_SY_S15_S19_S1B_T6_T7_T9_mT8_S1D_bDpT10_ENKUlT_T0_E_clISt17integral_constantIbLb1EES1R_EEDaS1M_S1N_EUlS1M_E_NS1_11comp_targetILNS1_3genE3ELNS1_11target_archE908ELNS1_3gpuE7ELNS1_3repE0EEENS1_30default_config_static_selectorELNS0_4arch9wavefront6targetE0EEEvSZ_.private_seg_size, 0
	.set _ZN7rocprim17ROCPRIM_400000_NS6detail17trampoline_kernelINS0_13select_configILj256ELj13ELNS0_17block_load_methodE3ELS4_3ELS4_3ELNS0_20block_scan_algorithmE0ELj4294967295EEENS1_25partition_config_selectorILNS1_17partition_subalgoE4EjNS0_10empty_typeEbEEZZNS1_14partition_implILS8_4ELb0ES6_15HIP_vector_typeIjLj2EENS0_17counting_iteratorIjlEEPS9_SG_NS0_5tupleIJPjSI_NS0_16reverse_iteratorISI_EEEEENSH_IJSG_SG_SG_EEES9_SI_JZNS1_25segmented_radix_sort_implINS0_14default_configELb1EPKlPlSQ_SR_N2at6native12_GLOBAL__N_18offset_tEEE10hipError_tPvRmT1_PNSt15iterator_traitsISZ_E10value_typeET2_T3_PNS10_IS15_E10value_typeET4_jRbjT5_S1B_jjP12ihipStream_tbEUljE_ZNSN_ISO_Lb1ESQ_SR_SQ_SR_SV_EESW_SX_SY_SZ_S13_S14_S15_S18_S19_jS1A_jS1B_S1B_jjS1D_bEUljE0_EEESW_SX_SY_S15_S19_S1B_T6_T7_T9_mT8_S1D_bDpT10_ENKUlT_T0_E_clISt17integral_constantIbLb1EES1R_EEDaS1M_S1N_EUlS1M_E_NS1_11comp_targetILNS1_3genE3ELNS1_11target_archE908ELNS1_3gpuE7ELNS1_3repE0EEENS1_30default_config_static_selectorELNS0_4arch9wavefront6targetE0EEEvSZ_.uses_vcc, 0
	.set _ZN7rocprim17ROCPRIM_400000_NS6detail17trampoline_kernelINS0_13select_configILj256ELj13ELNS0_17block_load_methodE3ELS4_3ELS4_3ELNS0_20block_scan_algorithmE0ELj4294967295EEENS1_25partition_config_selectorILNS1_17partition_subalgoE4EjNS0_10empty_typeEbEEZZNS1_14partition_implILS8_4ELb0ES6_15HIP_vector_typeIjLj2EENS0_17counting_iteratorIjlEEPS9_SG_NS0_5tupleIJPjSI_NS0_16reverse_iteratorISI_EEEEENSH_IJSG_SG_SG_EEES9_SI_JZNS1_25segmented_radix_sort_implINS0_14default_configELb1EPKlPlSQ_SR_N2at6native12_GLOBAL__N_18offset_tEEE10hipError_tPvRmT1_PNSt15iterator_traitsISZ_E10value_typeET2_T3_PNS10_IS15_E10value_typeET4_jRbjT5_S1B_jjP12ihipStream_tbEUljE_ZNSN_ISO_Lb1ESQ_SR_SQ_SR_SV_EESW_SX_SY_SZ_S13_S14_S15_S18_S19_jS1A_jS1B_S1B_jjS1D_bEUljE0_EEESW_SX_SY_S15_S19_S1B_T6_T7_T9_mT8_S1D_bDpT10_ENKUlT_T0_E_clISt17integral_constantIbLb1EES1R_EEDaS1M_S1N_EUlS1M_E_NS1_11comp_targetILNS1_3genE3ELNS1_11target_archE908ELNS1_3gpuE7ELNS1_3repE0EEENS1_30default_config_static_selectorELNS0_4arch9wavefront6targetE0EEEvSZ_.uses_flat_scratch, 0
	.set _ZN7rocprim17ROCPRIM_400000_NS6detail17trampoline_kernelINS0_13select_configILj256ELj13ELNS0_17block_load_methodE3ELS4_3ELS4_3ELNS0_20block_scan_algorithmE0ELj4294967295EEENS1_25partition_config_selectorILNS1_17partition_subalgoE4EjNS0_10empty_typeEbEEZZNS1_14partition_implILS8_4ELb0ES6_15HIP_vector_typeIjLj2EENS0_17counting_iteratorIjlEEPS9_SG_NS0_5tupleIJPjSI_NS0_16reverse_iteratorISI_EEEEENSH_IJSG_SG_SG_EEES9_SI_JZNS1_25segmented_radix_sort_implINS0_14default_configELb1EPKlPlSQ_SR_N2at6native12_GLOBAL__N_18offset_tEEE10hipError_tPvRmT1_PNSt15iterator_traitsISZ_E10value_typeET2_T3_PNS10_IS15_E10value_typeET4_jRbjT5_S1B_jjP12ihipStream_tbEUljE_ZNSN_ISO_Lb1ESQ_SR_SQ_SR_SV_EESW_SX_SY_SZ_S13_S14_S15_S18_S19_jS1A_jS1B_S1B_jjS1D_bEUljE0_EEESW_SX_SY_S15_S19_S1B_T6_T7_T9_mT8_S1D_bDpT10_ENKUlT_T0_E_clISt17integral_constantIbLb1EES1R_EEDaS1M_S1N_EUlS1M_E_NS1_11comp_targetILNS1_3genE3ELNS1_11target_archE908ELNS1_3gpuE7ELNS1_3repE0EEENS1_30default_config_static_selectorELNS0_4arch9wavefront6targetE0EEEvSZ_.has_dyn_sized_stack, 0
	.set _ZN7rocprim17ROCPRIM_400000_NS6detail17trampoline_kernelINS0_13select_configILj256ELj13ELNS0_17block_load_methodE3ELS4_3ELS4_3ELNS0_20block_scan_algorithmE0ELj4294967295EEENS1_25partition_config_selectorILNS1_17partition_subalgoE4EjNS0_10empty_typeEbEEZZNS1_14partition_implILS8_4ELb0ES6_15HIP_vector_typeIjLj2EENS0_17counting_iteratorIjlEEPS9_SG_NS0_5tupleIJPjSI_NS0_16reverse_iteratorISI_EEEEENSH_IJSG_SG_SG_EEES9_SI_JZNS1_25segmented_radix_sort_implINS0_14default_configELb1EPKlPlSQ_SR_N2at6native12_GLOBAL__N_18offset_tEEE10hipError_tPvRmT1_PNSt15iterator_traitsISZ_E10value_typeET2_T3_PNS10_IS15_E10value_typeET4_jRbjT5_S1B_jjP12ihipStream_tbEUljE_ZNSN_ISO_Lb1ESQ_SR_SQ_SR_SV_EESW_SX_SY_SZ_S13_S14_S15_S18_S19_jS1A_jS1B_S1B_jjS1D_bEUljE0_EEESW_SX_SY_S15_S19_S1B_T6_T7_T9_mT8_S1D_bDpT10_ENKUlT_T0_E_clISt17integral_constantIbLb1EES1R_EEDaS1M_S1N_EUlS1M_E_NS1_11comp_targetILNS1_3genE3ELNS1_11target_archE908ELNS1_3gpuE7ELNS1_3repE0EEENS1_30default_config_static_selectorELNS0_4arch9wavefront6targetE0EEEvSZ_.has_recursion, 0
	.set _ZN7rocprim17ROCPRIM_400000_NS6detail17trampoline_kernelINS0_13select_configILj256ELj13ELNS0_17block_load_methodE3ELS4_3ELS4_3ELNS0_20block_scan_algorithmE0ELj4294967295EEENS1_25partition_config_selectorILNS1_17partition_subalgoE4EjNS0_10empty_typeEbEEZZNS1_14partition_implILS8_4ELb0ES6_15HIP_vector_typeIjLj2EENS0_17counting_iteratorIjlEEPS9_SG_NS0_5tupleIJPjSI_NS0_16reverse_iteratorISI_EEEEENSH_IJSG_SG_SG_EEES9_SI_JZNS1_25segmented_radix_sort_implINS0_14default_configELb1EPKlPlSQ_SR_N2at6native12_GLOBAL__N_18offset_tEEE10hipError_tPvRmT1_PNSt15iterator_traitsISZ_E10value_typeET2_T3_PNS10_IS15_E10value_typeET4_jRbjT5_S1B_jjP12ihipStream_tbEUljE_ZNSN_ISO_Lb1ESQ_SR_SQ_SR_SV_EESW_SX_SY_SZ_S13_S14_S15_S18_S19_jS1A_jS1B_S1B_jjS1D_bEUljE0_EEESW_SX_SY_S15_S19_S1B_T6_T7_T9_mT8_S1D_bDpT10_ENKUlT_T0_E_clISt17integral_constantIbLb1EES1R_EEDaS1M_S1N_EUlS1M_E_NS1_11comp_targetILNS1_3genE3ELNS1_11target_archE908ELNS1_3gpuE7ELNS1_3repE0EEENS1_30default_config_static_selectorELNS0_4arch9wavefront6targetE0EEEvSZ_.has_indirect_call, 0
	.section	.AMDGPU.csdata,"",@progbits
; Kernel info:
; codeLenInByte = 0
; TotalNumSgprs: 0
; NumVgprs: 0
; ScratchSize: 0
; MemoryBound: 0
; FloatMode: 240
; IeeeMode: 1
; LDSByteSize: 0 bytes/workgroup (compile time only)
; SGPRBlocks: 0
; VGPRBlocks: 0
; NumSGPRsForWavesPerEU: 1
; NumVGPRsForWavesPerEU: 1
; NamedBarCnt: 0
; Occupancy: 16
; WaveLimiterHint : 0
; COMPUTE_PGM_RSRC2:SCRATCH_EN: 0
; COMPUTE_PGM_RSRC2:USER_SGPR: 2
; COMPUTE_PGM_RSRC2:TRAP_HANDLER: 0
; COMPUTE_PGM_RSRC2:TGID_X_EN: 1
; COMPUTE_PGM_RSRC2:TGID_Y_EN: 0
; COMPUTE_PGM_RSRC2:TGID_Z_EN: 0
; COMPUTE_PGM_RSRC2:TIDIG_COMP_CNT: 0
	.section	.text._ZN7rocprim17ROCPRIM_400000_NS6detail17trampoline_kernelINS0_13select_configILj256ELj13ELNS0_17block_load_methodE3ELS4_3ELS4_3ELNS0_20block_scan_algorithmE0ELj4294967295EEENS1_25partition_config_selectorILNS1_17partition_subalgoE4EjNS0_10empty_typeEbEEZZNS1_14partition_implILS8_4ELb0ES6_15HIP_vector_typeIjLj2EENS0_17counting_iteratorIjlEEPS9_SG_NS0_5tupleIJPjSI_NS0_16reverse_iteratorISI_EEEEENSH_IJSG_SG_SG_EEES9_SI_JZNS1_25segmented_radix_sort_implINS0_14default_configELb1EPKlPlSQ_SR_N2at6native12_GLOBAL__N_18offset_tEEE10hipError_tPvRmT1_PNSt15iterator_traitsISZ_E10value_typeET2_T3_PNS10_IS15_E10value_typeET4_jRbjT5_S1B_jjP12ihipStream_tbEUljE_ZNSN_ISO_Lb1ESQ_SR_SQ_SR_SV_EESW_SX_SY_SZ_S13_S14_S15_S18_S19_jS1A_jS1B_S1B_jjS1D_bEUljE0_EEESW_SX_SY_S15_S19_S1B_T6_T7_T9_mT8_S1D_bDpT10_ENKUlT_T0_E_clISt17integral_constantIbLb1EES1R_EEDaS1M_S1N_EUlS1M_E_NS1_11comp_targetILNS1_3genE2ELNS1_11target_archE906ELNS1_3gpuE6ELNS1_3repE0EEENS1_30default_config_static_selectorELNS0_4arch9wavefront6targetE0EEEvSZ_,"axG",@progbits,_ZN7rocprim17ROCPRIM_400000_NS6detail17trampoline_kernelINS0_13select_configILj256ELj13ELNS0_17block_load_methodE3ELS4_3ELS4_3ELNS0_20block_scan_algorithmE0ELj4294967295EEENS1_25partition_config_selectorILNS1_17partition_subalgoE4EjNS0_10empty_typeEbEEZZNS1_14partition_implILS8_4ELb0ES6_15HIP_vector_typeIjLj2EENS0_17counting_iteratorIjlEEPS9_SG_NS0_5tupleIJPjSI_NS0_16reverse_iteratorISI_EEEEENSH_IJSG_SG_SG_EEES9_SI_JZNS1_25segmented_radix_sort_implINS0_14default_configELb1EPKlPlSQ_SR_N2at6native12_GLOBAL__N_18offset_tEEE10hipError_tPvRmT1_PNSt15iterator_traitsISZ_E10value_typeET2_T3_PNS10_IS15_E10value_typeET4_jRbjT5_S1B_jjP12ihipStream_tbEUljE_ZNSN_ISO_Lb1ESQ_SR_SQ_SR_SV_EESW_SX_SY_SZ_S13_S14_S15_S18_S19_jS1A_jS1B_S1B_jjS1D_bEUljE0_EEESW_SX_SY_S15_S19_S1B_T6_T7_T9_mT8_S1D_bDpT10_ENKUlT_T0_E_clISt17integral_constantIbLb1EES1R_EEDaS1M_S1N_EUlS1M_E_NS1_11comp_targetILNS1_3genE2ELNS1_11target_archE906ELNS1_3gpuE6ELNS1_3repE0EEENS1_30default_config_static_selectorELNS0_4arch9wavefront6targetE0EEEvSZ_,comdat
	.globl	_ZN7rocprim17ROCPRIM_400000_NS6detail17trampoline_kernelINS0_13select_configILj256ELj13ELNS0_17block_load_methodE3ELS4_3ELS4_3ELNS0_20block_scan_algorithmE0ELj4294967295EEENS1_25partition_config_selectorILNS1_17partition_subalgoE4EjNS0_10empty_typeEbEEZZNS1_14partition_implILS8_4ELb0ES6_15HIP_vector_typeIjLj2EENS0_17counting_iteratorIjlEEPS9_SG_NS0_5tupleIJPjSI_NS0_16reverse_iteratorISI_EEEEENSH_IJSG_SG_SG_EEES9_SI_JZNS1_25segmented_radix_sort_implINS0_14default_configELb1EPKlPlSQ_SR_N2at6native12_GLOBAL__N_18offset_tEEE10hipError_tPvRmT1_PNSt15iterator_traitsISZ_E10value_typeET2_T3_PNS10_IS15_E10value_typeET4_jRbjT5_S1B_jjP12ihipStream_tbEUljE_ZNSN_ISO_Lb1ESQ_SR_SQ_SR_SV_EESW_SX_SY_SZ_S13_S14_S15_S18_S19_jS1A_jS1B_S1B_jjS1D_bEUljE0_EEESW_SX_SY_S15_S19_S1B_T6_T7_T9_mT8_S1D_bDpT10_ENKUlT_T0_E_clISt17integral_constantIbLb1EES1R_EEDaS1M_S1N_EUlS1M_E_NS1_11comp_targetILNS1_3genE2ELNS1_11target_archE906ELNS1_3gpuE6ELNS1_3repE0EEENS1_30default_config_static_selectorELNS0_4arch9wavefront6targetE0EEEvSZ_ ; -- Begin function _ZN7rocprim17ROCPRIM_400000_NS6detail17trampoline_kernelINS0_13select_configILj256ELj13ELNS0_17block_load_methodE3ELS4_3ELS4_3ELNS0_20block_scan_algorithmE0ELj4294967295EEENS1_25partition_config_selectorILNS1_17partition_subalgoE4EjNS0_10empty_typeEbEEZZNS1_14partition_implILS8_4ELb0ES6_15HIP_vector_typeIjLj2EENS0_17counting_iteratorIjlEEPS9_SG_NS0_5tupleIJPjSI_NS0_16reverse_iteratorISI_EEEEENSH_IJSG_SG_SG_EEES9_SI_JZNS1_25segmented_radix_sort_implINS0_14default_configELb1EPKlPlSQ_SR_N2at6native12_GLOBAL__N_18offset_tEEE10hipError_tPvRmT1_PNSt15iterator_traitsISZ_E10value_typeET2_T3_PNS10_IS15_E10value_typeET4_jRbjT5_S1B_jjP12ihipStream_tbEUljE_ZNSN_ISO_Lb1ESQ_SR_SQ_SR_SV_EESW_SX_SY_SZ_S13_S14_S15_S18_S19_jS1A_jS1B_S1B_jjS1D_bEUljE0_EEESW_SX_SY_S15_S19_S1B_T6_T7_T9_mT8_S1D_bDpT10_ENKUlT_T0_E_clISt17integral_constantIbLb1EES1R_EEDaS1M_S1N_EUlS1M_E_NS1_11comp_targetILNS1_3genE2ELNS1_11target_archE906ELNS1_3gpuE6ELNS1_3repE0EEENS1_30default_config_static_selectorELNS0_4arch9wavefront6targetE0EEEvSZ_
	.p2align	8
	.type	_ZN7rocprim17ROCPRIM_400000_NS6detail17trampoline_kernelINS0_13select_configILj256ELj13ELNS0_17block_load_methodE3ELS4_3ELS4_3ELNS0_20block_scan_algorithmE0ELj4294967295EEENS1_25partition_config_selectorILNS1_17partition_subalgoE4EjNS0_10empty_typeEbEEZZNS1_14partition_implILS8_4ELb0ES6_15HIP_vector_typeIjLj2EENS0_17counting_iteratorIjlEEPS9_SG_NS0_5tupleIJPjSI_NS0_16reverse_iteratorISI_EEEEENSH_IJSG_SG_SG_EEES9_SI_JZNS1_25segmented_radix_sort_implINS0_14default_configELb1EPKlPlSQ_SR_N2at6native12_GLOBAL__N_18offset_tEEE10hipError_tPvRmT1_PNSt15iterator_traitsISZ_E10value_typeET2_T3_PNS10_IS15_E10value_typeET4_jRbjT5_S1B_jjP12ihipStream_tbEUljE_ZNSN_ISO_Lb1ESQ_SR_SQ_SR_SV_EESW_SX_SY_SZ_S13_S14_S15_S18_S19_jS1A_jS1B_S1B_jjS1D_bEUljE0_EEESW_SX_SY_S15_S19_S1B_T6_T7_T9_mT8_S1D_bDpT10_ENKUlT_T0_E_clISt17integral_constantIbLb1EES1R_EEDaS1M_S1N_EUlS1M_E_NS1_11comp_targetILNS1_3genE2ELNS1_11target_archE906ELNS1_3gpuE6ELNS1_3repE0EEENS1_30default_config_static_selectorELNS0_4arch9wavefront6targetE0EEEvSZ_,@function
_ZN7rocprim17ROCPRIM_400000_NS6detail17trampoline_kernelINS0_13select_configILj256ELj13ELNS0_17block_load_methodE3ELS4_3ELS4_3ELNS0_20block_scan_algorithmE0ELj4294967295EEENS1_25partition_config_selectorILNS1_17partition_subalgoE4EjNS0_10empty_typeEbEEZZNS1_14partition_implILS8_4ELb0ES6_15HIP_vector_typeIjLj2EENS0_17counting_iteratorIjlEEPS9_SG_NS0_5tupleIJPjSI_NS0_16reverse_iteratorISI_EEEEENSH_IJSG_SG_SG_EEES9_SI_JZNS1_25segmented_radix_sort_implINS0_14default_configELb1EPKlPlSQ_SR_N2at6native12_GLOBAL__N_18offset_tEEE10hipError_tPvRmT1_PNSt15iterator_traitsISZ_E10value_typeET2_T3_PNS10_IS15_E10value_typeET4_jRbjT5_S1B_jjP12ihipStream_tbEUljE_ZNSN_ISO_Lb1ESQ_SR_SQ_SR_SV_EESW_SX_SY_SZ_S13_S14_S15_S18_S19_jS1A_jS1B_S1B_jjS1D_bEUljE0_EEESW_SX_SY_S15_S19_S1B_T6_T7_T9_mT8_S1D_bDpT10_ENKUlT_T0_E_clISt17integral_constantIbLb1EES1R_EEDaS1M_S1N_EUlS1M_E_NS1_11comp_targetILNS1_3genE2ELNS1_11target_archE906ELNS1_3gpuE6ELNS1_3repE0EEENS1_30default_config_static_selectorELNS0_4arch9wavefront6targetE0EEEvSZ_: ; @_ZN7rocprim17ROCPRIM_400000_NS6detail17trampoline_kernelINS0_13select_configILj256ELj13ELNS0_17block_load_methodE3ELS4_3ELS4_3ELNS0_20block_scan_algorithmE0ELj4294967295EEENS1_25partition_config_selectorILNS1_17partition_subalgoE4EjNS0_10empty_typeEbEEZZNS1_14partition_implILS8_4ELb0ES6_15HIP_vector_typeIjLj2EENS0_17counting_iteratorIjlEEPS9_SG_NS0_5tupleIJPjSI_NS0_16reverse_iteratorISI_EEEEENSH_IJSG_SG_SG_EEES9_SI_JZNS1_25segmented_radix_sort_implINS0_14default_configELb1EPKlPlSQ_SR_N2at6native12_GLOBAL__N_18offset_tEEE10hipError_tPvRmT1_PNSt15iterator_traitsISZ_E10value_typeET2_T3_PNS10_IS15_E10value_typeET4_jRbjT5_S1B_jjP12ihipStream_tbEUljE_ZNSN_ISO_Lb1ESQ_SR_SQ_SR_SV_EESW_SX_SY_SZ_S13_S14_S15_S18_S19_jS1A_jS1B_S1B_jjS1D_bEUljE0_EEESW_SX_SY_S15_S19_S1B_T6_T7_T9_mT8_S1D_bDpT10_ENKUlT_T0_E_clISt17integral_constantIbLb1EES1R_EEDaS1M_S1N_EUlS1M_E_NS1_11comp_targetILNS1_3genE2ELNS1_11target_archE906ELNS1_3gpuE6ELNS1_3repE0EEENS1_30default_config_static_selectorELNS0_4arch9wavefront6targetE0EEEvSZ_
; %bb.0:
	.section	.rodata,"a",@progbits
	.p2align	6, 0x0
	.amdhsa_kernel _ZN7rocprim17ROCPRIM_400000_NS6detail17trampoline_kernelINS0_13select_configILj256ELj13ELNS0_17block_load_methodE3ELS4_3ELS4_3ELNS0_20block_scan_algorithmE0ELj4294967295EEENS1_25partition_config_selectorILNS1_17partition_subalgoE4EjNS0_10empty_typeEbEEZZNS1_14partition_implILS8_4ELb0ES6_15HIP_vector_typeIjLj2EENS0_17counting_iteratorIjlEEPS9_SG_NS0_5tupleIJPjSI_NS0_16reverse_iteratorISI_EEEEENSH_IJSG_SG_SG_EEES9_SI_JZNS1_25segmented_radix_sort_implINS0_14default_configELb1EPKlPlSQ_SR_N2at6native12_GLOBAL__N_18offset_tEEE10hipError_tPvRmT1_PNSt15iterator_traitsISZ_E10value_typeET2_T3_PNS10_IS15_E10value_typeET4_jRbjT5_S1B_jjP12ihipStream_tbEUljE_ZNSN_ISO_Lb1ESQ_SR_SQ_SR_SV_EESW_SX_SY_SZ_S13_S14_S15_S18_S19_jS1A_jS1B_S1B_jjS1D_bEUljE0_EEESW_SX_SY_S15_S19_S1B_T6_T7_T9_mT8_S1D_bDpT10_ENKUlT_T0_E_clISt17integral_constantIbLb1EES1R_EEDaS1M_S1N_EUlS1M_E_NS1_11comp_targetILNS1_3genE2ELNS1_11target_archE906ELNS1_3gpuE6ELNS1_3repE0EEENS1_30default_config_static_selectorELNS0_4arch9wavefront6targetE0EEEvSZ_
		.amdhsa_group_segment_fixed_size 0
		.amdhsa_private_segment_fixed_size 0
		.amdhsa_kernarg_size 184
		.amdhsa_user_sgpr_count 2
		.amdhsa_user_sgpr_dispatch_ptr 0
		.amdhsa_user_sgpr_queue_ptr 0
		.amdhsa_user_sgpr_kernarg_segment_ptr 1
		.amdhsa_user_sgpr_dispatch_id 0
		.amdhsa_user_sgpr_kernarg_preload_length 0
		.amdhsa_user_sgpr_kernarg_preload_offset 0
		.amdhsa_user_sgpr_private_segment_size 0
		.amdhsa_wavefront_size32 1
		.amdhsa_uses_dynamic_stack 0
		.amdhsa_enable_private_segment 0
		.amdhsa_system_sgpr_workgroup_id_x 1
		.amdhsa_system_sgpr_workgroup_id_y 0
		.amdhsa_system_sgpr_workgroup_id_z 0
		.amdhsa_system_sgpr_workgroup_info 0
		.amdhsa_system_vgpr_workitem_id 0
		.amdhsa_next_free_vgpr 1
		.amdhsa_next_free_sgpr 1
		.amdhsa_named_barrier_count 0
		.amdhsa_reserve_vcc 0
		.amdhsa_float_round_mode_32 0
		.amdhsa_float_round_mode_16_64 0
		.amdhsa_float_denorm_mode_32 3
		.amdhsa_float_denorm_mode_16_64 3
		.amdhsa_fp16_overflow 0
		.amdhsa_memory_ordered 1
		.amdhsa_forward_progress 1
		.amdhsa_inst_pref_size 0
		.amdhsa_round_robin_scheduling 0
		.amdhsa_exception_fp_ieee_invalid_op 0
		.amdhsa_exception_fp_denorm_src 0
		.amdhsa_exception_fp_ieee_div_zero 0
		.amdhsa_exception_fp_ieee_overflow 0
		.amdhsa_exception_fp_ieee_underflow 0
		.amdhsa_exception_fp_ieee_inexact 0
		.amdhsa_exception_int_div_zero 0
	.end_amdhsa_kernel
	.section	.text._ZN7rocprim17ROCPRIM_400000_NS6detail17trampoline_kernelINS0_13select_configILj256ELj13ELNS0_17block_load_methodE3ELS4_3ELS4_3ELNS0_20block_scan_algorithmE0ELj4294967295EEENS1_25partition_config_selectorILNS1_17partition_subalgoE4EjNS0_10empty_typeEbEEZZNS1_14partition_implILS8_4ELb0ES6_15HIP_vector_typeIjLj2EENS0_17counting_iteratorIjlEEPS9_SG_NS0_5tupleIJPjSI_NS0_16reverse_iteratorISI_EEEEENSH_IJSG_SG_SG_EEES9_SI_JZNS1_25segmented_radix_sort_implINS0_14default_configELb1EPKlPlSQ_SR_N2at6native12_GLOBAL__N_18offset_tEEE10hipError_tPvRmT1_PNSt15iterator_traitsISZ_E10value_typeET2_T3_PNS10_IS15_E10value_typeET4_jRbjT5_S1B_jjP12ihipStream_tbEUljE_ZNSN_ISO_Lb1ESQ_SR_SQ_SR_SV_EESW_SX_SY_SZ_S13_S14_S15_S18_S19_jS1A_jS1B_S1B_jjS1D_bEUljE0_EEESW_SX_SY_S15_S19_S1B_T6_T7_T9_mT8_S1D_bDpT10_ENKUlT_T0_E_clISt17integral_constantIbLb1EES1R_EEDaS1M_S1N_EUlS1M_E_NS1_11comp_targetILNS1_3genE2ELNS1_11target_archE906ELNS1_3gpuE6ELNS1_3repE0EEENS1_30default_config_static_selectorELNS0_4arch9wavefront6targetE0EEEvSZ_,"axG",@progbits,_ZN7rocprim17ROCPRIM_400000_NS6detail17trampoline_kernelINS0_13select_configILj256ELj13ELNS0_17block_load_methodE3ELS4_3ELS4_3ELNS0_20block_scan_algorithmE0ELj4294967295EEENS1_25partition_config_selectorILNS1_17partition_subalgoE4EjNS0_10empty_typeEbEEZZNS1_14partition_implILS8_4ELb0ES6_15HIP_vector_typeIjLj2EENS0_17counting_iteratorIjlEEPS9_SG_NS0_5tupleIJPjSI_NS0_16reverse_iteratorISI_EEEEENSH_IJSG_SG_SG_EEES9_SI_JZNS1_25segmented_radix_sort_implINS0_14default_configELb1EPKlPlSQ_SR_N2at6native12_GLOBAL__N_18offset_tEEE10hipError_tPvRmT1_PNSt15iterator_traitsISZ_E10value_typeET2_T3_PNS10_IS15_E10value_typeET4_jRbjT5_S1B_jjP12ihipStream_tbEUljE_ZNSN_ISO_Lb1ESQ_SR_SQ_SR_SV_EESW_SX_SY_SZ_S13_S14_S15_S18_S19_jS1A_jS1B_S1B_jjS1D_bEUljE0_EEESW_SX_SY_S15_S19_S1B_T6_T7_T9_mT8_S1D_bDpT10_ENKUlT_T0_E_clISt17integral_constantIbLb1EES1R_EEDaS1M_S1N_EUlS1M_E_NS1_11comp_targetILNS1_3genE2ELNS1_11target_archE906ELNS1_3gpuE6ELNS1_3repE0EEENS1_30default_config_static_selectorELNS0_4arch9wavefront6targetE0EEEvSZ_,comdat
.Lfunc_end648:
	.size	_ZN7rocprim17ROCPRIM_400000_NS6detail17trampoline_kernelINS0_13select_configILj256ELj13ELNS0_17block_load_methodE3ELS4_3ELS4_3ELNS0_20block_scan_algorithmE0ELj4294967295EEENS1_25partition_config_selectorILNS1_17partition_subalgoE4EjNS0_10empty_typeEbEEZZNS1_14partition_implILS8_4ELb0ES6_15HIP_vector_typeIjLj2EENS0_17counting_iteratorIjlEEPS9_SG_NS0_5tupleIJPjSI_NS0_16reverse_iteratorISI_EEEEENSH_IJSG_SG_SG_EEES9_SI_JZNS1_25segmented_radix_sort_implINS0_14default_configELb1EPKlPlSQ_SR_N2at6native12_GLOBAL__N_18offset_tEEE10hipError_tPvRmT1_PNSt15iterator_traitsISZ_E10value_typeET2_T3_PNS10_IS15_E10value_typeET4_jRbjT5_S1B_jjP12ihipStream_tbEUljE_ZNSN_ISO_Lb1ESQ_SR_SQ_SR_SV_EESW_SX_SY_SZ_S13_S14_S15_S18_S19_jS1A_jS1B_S1B_jjS1D_bEUljE0_EEESW_SX_SY_S15_S19_S1B_T6_T7_T9_mT8_S1D_bDpT10_ENKUlT_T0_E_clISt17integral_constantIbLb1EES1R_EEDaS1M_S1N_EUlS1M_E_NS1_11comp_targetILNS1_3genE2ELNS1_11target_archE906ELNS1_3gpuE6ELNS1_3repE0EEENS1_30default_config_static_selectorELNS0_4arch9wavefront6targetE0EEEvSZ_, .Lfunc_end648-_ZN7rocprim17ROCPRIM_400000_NS6detail17trampoline_kernelINS0_13select_configILj256ELj13ELNS0_17block_load_methodE3ELS4_3ELS4_3ELNS0_20block_scan_algorithmE0ELj4294967295EEENS1_25partition_config_selectorILNS1_17partition_subalgoE4EjNS0_10empty_typeEbEEZZNS1_14partition_implILS8_4ELb0ES6_15HIP_vector_typeIjLj2EENS0_17counting_iteratorIjlEEPS9_SG_NS0_5tupleIJPjSI_NS0_16reverse_iteratorISI_EEEEENSH_IJSG_SG_SG_EEES9_SI_JZNS1_25segmented_radix_sort_implINS0_14default_configELb1EPKlPlSQ_SR_N2at6native12_GLOBAL__N_18offset_tEEE10hipError_tPvRmT1_PNSt15iterator_traitsISZ_E10value_typeET2_T3_PNS10_IS15_E10value_typeET4_jRbjT5_S1B_jjP12ihipStream_tbEUljE_ZNSN_ISO_Lb1ESQ_SR_SQ_SR_SV_EESW_SX_SY_SZ_S13_S14_S15_S18_S19_jS1A_jS1B_S1B_jjS1D_bEUljE0_EEESW_SX_SY_S15_S19_S1B_T6_T7_T9_mT8_S1D_bDpT10_ENKUlT_T0_E_clISt17integral_constantIbLb1EES1R_EEDaS1M_S1N_EUlS1M_E_NS1_11comp_targetILNS1_3genE2ELNS1_11target_archE906ELNS1_3gpuE6ELNS1_3repE0EEENS1_30default_config_static_selectorELNS0_4arch9wavefront6targetE0EEEvSZ_
                                        ; -- End function
	.set _ZN7rocprim17ROCPRIM_400000_NS6detail17trampoline_kernelINS0_13select_configILj256ELj13ELNS0_17block_load_methodE3ELS4_3ELS4_3ELNS0_20block_scan_algorithmE0ELj4294967295EEENS1_25partition_config_selectorILNS1_17partition_subalgoE4EjNS0_10empty_typeEbEEZZNS1_14partition_implILS8_4ELb0ES6_15HIP_vector_typeIjLj2EENS0_17counting_iteratorIjlEEPS9_SG_NS0_5tupleIJPjSI_NS0_16reverse_iteratorISI_EEEEENSH_IJSG_SG_SG_EEES9_SI_JZNS1_25segmented_radix_sort_implINS0_14default_configELb1EPKlPlSQ_SR_N2at6native12_GLOBAL__N_18offset_tEEE10hipError_tPvRmT1_PNSt15iterator_traitsISZ_E10value_typeET2_T3_PNS10_IS15_E10value_typeET4_jRbjT5_S1B_jjP12ihipStream_tbEUljE_ZNSN_ISO_Lb1ESQ_SR_SQ_SR_SV_EESW_SX_SY_SZ_S13_S14_S15_S18_S19_jS1A_jS1B_S1B_jjS1D_bEUljE0_EEESW_SX_SY_S15_S19_S1B_T6_T7_T9_mT8_S1D_bDpT10_ENKUlT_T0_E_clISt17integral_constantIbLb1EES1R_EEDaS1M_S1N_EUlS1M_E_NS1_11comp_targetILNS1_3genE2ELNS1_11target_archE906ELNS1_3gpuE6ELNS1_3repE0EEENS1_30default_config_static_selectorELNS0_4arch9wavefront6targetE0EEEvSZ_.num_vgpr, 0
	.set _ZN7rocprim17ROCPRIM_400000_NS6detail17trampoline_kernelINS0_13select_configILj256ELj13ELNS0_17block_load_methodE3ELS4_3ELS4_3ELNS0_20block_scan_algorithmE0ELj4294967295EEENS1_25partition_config_selectorILNS1_17partition_subalgoE4EjNS0_10empty_typeEbEEZZNS1_14partition_implILS8_4ELb0ES6_15HIP_vector_typeIjLj2EENS0_17counting_iteratorIjlEEPS9_SG_NS0_5tupleIJPjSI_NS0_16reverse_iteratorISI_EEEEENSH_IJSG_SG_SG_EEES9_SI_JZNS1_25segmented_radix_sort_implINS0_14default_configELb1EPKlPlSQ_SR_N2at6native12_GLOBAL__N_18offset_tEEE10hipError_tPvRmT1_PNSt15iterator_traitsISZ_E10value_typeET2_T3_PNS10_IS15_E10value_typeET4_jRbjT5_S1B_jjP12ihipStream_tbEUljE_ZNSN_ISO_Lb1ESQ_SR_SQ_SR_SV_EESW_SX_SY_SZ_S13_S14_S15_S18_S19_jS1A_jS1B_S1B_jjS1D_bEUljE0_EEESW_SX_SY_S15_S19_S1B_T6_T7_T9_mT8_S1D_bDpT10_ENKUlT_T0_E_clISt17integral_constantIbLb1EES1R_EEDaS1M_S1N_EUlS1M_E_NS1_11comp_targetILNS1_3genE2ELNS1_11target_archE906ELNS1_3gpuE6ELNS1_3repE0EEENS1_30default_config_static_selectorELNS0_4arch9wavefront6targetE0EEEvSZ_.num_agpr, 0
	.set _ZN7rocprim17ROCPRIM_400000_NS6detail17trampoline_kernelINS0_13select_configILj256ELj13ELNS0_17block_load_methodE3ELS4_3ELS4_3ELNS0_20block_scan_algorithmE0ELj4294967295EEENS1_25partition_config_selectorILNS1_17partition_subalgoE4EjNS0_10empty_typeEbEEZZNS1_14partition_implILS8_4ELb0ES6_15HIP_vector_typeIjLj2EENS0_17counting_iteratorIjlEEPS9_SG_NS0_5tupleIJPjSI_NS0_16reverse_iteratorISI_EEEEENSH_IJSG_SG_SG_EEES9_SI_JZNS1_25segmented_radix_sort_implINS0_14default_configELb1EPKlPlSQ_SR_N2at6native12_GLOBAL__N_18offset_tEEE10hipError_tPvRmT1_PNSt15iterator_traitsISZ_E10value_typeET2_T3_PNS10_IS15_E10value_typeET4_jRbjT5_S1B_jjP12ihipStream_tbEUljE_ZNSN_ISO_Lb1ESQ_SR_SQ_SR_SV_EESW_SX_SY_SZ_S13_S14_S15_S18_S19_jS1A_jS1B_S1B_jjS1D_bEUljE0_EEESW_SX_SY_S15_S19_S1B_T6_T7_T9_mT8_S1D_bDpT10_ENKUlT_T0_E_clISt17integral_constantIbLb1EES1R_EEDaS1M_S1N_EUlS1M_E_NS1_11comp_targetILNS1_3genE2ELNS1_11target_archE906ELNS1_3gpuE6ELNS1_3repE0EEENS1_30default_config_static_selectorELNS0_4arch9wavefront6targetE0EEEvSZ_.numbered_sgpr, 0
	.set _ZN7rocprim17ROCPRIM_400000_NS6detail17trampoline_kernelINS0_13select_configILj256ELj13ELNS0_17block_load_methodE3ELS4_3ELS4_3ELNS0_20block_scan_algorithmE0ELj4294967295EEENS1_25partition_config_selectorILNS1_17partition_subalgoE4EjNS0_10empty_typeEbEEZZNS1_14partition_implILS8_4ELb0ES6_15HIP_vector_typeIjLj2EENS0_17counting_iteratorIjlEEPS9_SG_NS0_5tupleIJPjSI_NS0_16reverse_iteratorISI_EEEEENSH_IJSG_SG_SG_EEES9_SI_JZNS1_25segmented_radix_sort_implINS0_14default_configELb1EPKlPlSQ_SR_N2at6native12_GLOBAL__N_18offset_tEEE10hipError_tPvRmT1_PNSt15iterator_traitsISZ_E10value_typeET2_T3_PNS10_IS15_E10value_typeET4_jRbjT5_S1B_jjP12ihipStream_tbEUljE_ZNSN_ISO_Lb1ESQ_SR_SQ_SR_SV_EESW_SX_SY_SZ_S13_S14_S15_S18_S19_jS1A_jS1B_S1B_jjS1D_bEUljE0_EEESW_SX_SY_S15_S19_S1B_T6_T7_T9_mT8_S1D_bDpT10_ENKUlT_T0_E_clISt17integral_constantIbLb1EES1R_EEDaS1M_S1N_EUlS1M_E_NS1_11comp_targetILNS1_3genE2ELNS1_11target_archE906ELNS1_3gpuE6ELNS1_3repE0EEENS1_30default_config_static_selectorELNS0_4arch9wavefront6targetE0EEEvSZ_.num_named_barrier, 0
	.set _ZN7rocprim17ROCPRIM_400000_NS6detail17trampoline_kernelINS0_13select_configILj256ELj13ELNS0_17block_load_methodE3ELS4_3ELS4_3ELNS0_20block_scan_algorithmE0ELj4294967295EEENS1_25partition_config_selectorILNS1_17partition_subalgoE4EjNS0_10empty_typeEbEEZZNS1_14partition_implILS8_4ELb0ES6_15HIP_vector_typeIjLj2EENS0_17counting_iteratorIjlEEPS9_SG_NS0_5tupleIJPjSI_NS0_16reverse_iteratorISI_EEEEENSH_IJSG_SG_SG_EEES9_SI_JZNS1_25segmented_radix_sort_implINS0_14default_configELb1EPKlPlSQ_SR_N2at6native12_GLOBAL__N_18offset_tEEE10hipError_tPvRmT1_PNSt15iterator_traitsISZ_E10value_typeET2_T3_PNS10_IS15_E10value_typeET4_jRbjT5_S1B_jjP12ihipStream_tbEUljE_ZNSN_ISO_Lb1ESQ_SR_SQ_SR_SV_EESW_SX_SY_SZ_S13_S14_S15_S18_S19_jS1A_jS1B_S1B_jjS1D_bEUljE0_EEESW_SX_SY_S15_S19_S1B_T6_T7_T9_mT8_S1D_bDpT10_ENKUlT_T0_E_clISt17integral_constantIbLb1EES1R_EEDaS1M_S1N_EUlS1M_E_NS1_11comp_targetILNS1_3genE2ELNS1_11target_archE906ELNS1_3gpuE6ELNS1_3repE0EEENS1_30default_config_static_selectorELNS0_4arch9wavefront6targetE0EEEvSZ_.private_seg_size, 0
	.set _ZN7rocprim17ROCPRIM_400000_NS6detail17trampoline_kernelINS0_13select_configILj256ELj13ELNS0_17block_load_methodE3ELS4_3ELS4_3ELNS0_20block_scan_algorithmE0ELj4294967295EEENS1_25partition_config_selectorILNS1_17partition_subalgoE4EjNS0_10empty_typeEbEEZZNS1_14partition_implILS8_4ELb0ES6_15HIP_vector_typeIjLj2EENS0_17counting_iteratorIjlEEPS9_SG_NS0_5tupleIJPjSI_NS0_16reverse_iteratorISI_EEEEENSH_IJSG_SG_SG_EEES9_SI_JZNS1_25segmented_radix_sort_implINS0_14default_configELb1EPKlPlSQ_SR_N2at6native12_GLOBAL__N_18offset_tEEE10hipError_tPvRmT1_PNSt15iterator_traitsISZ_E10value_typeET2_T3_PNS10_IS15_E10value_typeET4_jRbjT5_S1B_jjP12ihipStream_tbEUljE_ZNSN_ISO_Lb1ESQ_SR_SQ_SR_SV_EESW_SX_SY_SZ_S13_S14_S15_S18_S19_jS1A_jS1B_S1B_jjS1D_bEUljE0_EEESW_SX_SY_S15_S19_S1B_T6_T7_T9_mT8_S1D_bDpT10_ENKUlT_T0_E_clISt17integral_constantIbLb1EES1R_EEDaS1M_S1N_EUlS1M_E_NS1_11comp_targetILNS1_3genE2ELNS1_11target_archE906ELNS1_3gpuE6ELNS1_3repE0EEENS1_30default_config_static_selectorELNS0_4arch9wavefront6targetE0EEEvSZ_.uses_vcc, 0
	.set _ZN7rocprim17ROCPRIM_400000_NS6detail17trampoline_kernelINS0_13select_configILj256ELj13ELNS0_17block_load_methodE3ELS4_3ELS4_3ELNS0_20block_scan_algorithmE0ELj4294967295EEENS1_25partition_config_selectorILNS1_17partition_subalgoE4EjNS0_10empty_typeEbEEZZNS1_14partition_implILS8_4ELb0ES6_15HIP_vector_typeIjLj2EENS0_17counting_iteratorIjlEEPS9_SG_NS0_5tupleIJPjSI_NS0_16reverse_iteratorISI_EEEEENSH_IJSG_SG_SG_EEES9_SI_JZNS1_25segmented_radix_sort_implINS0_14default_configELb1EPKlPlSQ_SR_N2at6native12_GLOBAL__N_18offset_tEEE10hipError_tPvRmT1_PNSt15iterator_traitsISZ_E10value_typeET2_T3_PNS10_IS15_E10value_typeET4_jRbjT5_S1B_jjP12ihipStream_tbEUljE_ZNSN_ISO_Lb1ESQ_SR_SQ_SR_SV_EESW_SX_SY_SZ_S13_S14_S15_S18_S19_jS1A_jS1B_S1B_jjS1D_bEUljE0_EEESW_SX_SY_S15_S19_S1B_T6_T7_T9_mT8_S1D_bDpT10_ENKUlT_T0_E_clISt17integral_constantIbLb1EES1R_EEDaS1M_S1N_EUlS1M_E_NS1_11comp_targetILNS1_3genE2ELNS1_11target_archE906ELNS1_3gpuE6ELNS1_3repE0EEENS1_30default_config_static_selectorELNS0_4arch9wavefront6targetE0EEEvSZ_.uses_flat_scratch, 0
	.set _ZN7rocprim17ROCPRIM_400000_NS6detail17trampoline_kernelINS0_13select_configILj256ELj13ELNS0_17block_load_methodE3ELS4_3ELS4_3ELNS0_20block_scan_algorithmE0ELj4294967295EEENS1_25partition_config_selectorILNS1_17partition_subalgoE4EjNS0_10empty_typeEbEEZZNS1_14partition_implILS8_4ELb0ES6_15HIP_vector_typeIjLj2EENS0_17counting_iteratorIjlEEPS9_SG_NS0_5tupleIJPjSI_NS0_16reverse_iteratorISI_EEEEENSH_IJSG_SG_SG_EEES9_SI_JZNS1_25segmented_radix_sort_implINS0_14default_configELb1EPKlPlSQ_SR_N2at6native12_GLOBAL__N_18offset_tEEE10hipError_tPvRmT1_PNSt15iterator_traitsISZ_E10value_typeET2_T3_PNS10_IS15_E10value_typeET4_jRbjT5_S1B_jjP12ihipStream_tbEUljE_ZNSN_ISO_Lb1ESQ_SR_SQ_SR_SV_EESW_SX_SY_SZ_S13_S14_S15_S18_S19_jS1A_jS1B_S1B_jjS1D_bEUljE0_EEESW_SX_SY_S15_S19_S1B_T6_T7_T9_mT8_S1D_bDpT10_ENKUlT_T0_E_clISt17integral_constantIbLb1EES1R_EEDaS1M_S1N_EUlS1M_E_NS1_11comp_targetILNS1_3genE2ELNS1_11target_archE906ELNS1_3gpuE6ELNS1_3repE0EEENS1_30default_config_static_selectorELNS0_4arch9wavefront6targetE0EEEvSZ_.has_dyn_sized_stack, 0
	.set _ZN7rocprim17ROCPRIM_400000_NS6detail17trampoline_kernelINS0_13select_configILj256ELj13ELNS0_17block_load_methodE3ELS4_3ELS4_3ELNS0_20block_scan_algorithmE0ELj4294967295EEENS1_25partition_config_selectorILNS1_17partition_subalgoE4EjNS0_10empty_typeEbEEZZNS1_14partition_implILS8_4ELb0ES6_15HIP_vector_typeIjLj2EENS0_17counting_iteratorIjlEEPS9_SG_NS0_5tupleIJPjSI_NS0_16reverse_iteratorISI_EEEEENSH_IJSG_SG_SG_EEES9_SI_JZNS1_25segmented_radix_sort_implINS0_14default_configELb1EPKlPlSQ_SR_N2at6native12_GLOBAL__N_18offset_tEEE10hipError_tPvRmT1_PNSt15iterator_traitsISZ_E10value_typeET2_T3_PNS10_IS15_E10value_typeET4_jRbjT5_S1B_jjP12ihipStream_tbEUljE_ZNSN_ISO_Lb1ESQ_SR_SQ_SR_SV_EESW_SX_SY_SZ_S13_S14_S15_S18_S19_jS1A_jS1B_S1B_jjS1D_bEUljE0_EEESW_SX_SY_S15_S19_S1B_T6_T7_T9_mT8_S1D_bDpT10_ENKUlT_T0_E_clISt17integral_constantIbLb1EES1R_EEDaS1M_S1N_EUlS1M_E_NS1_11comp_targetILNS1_3genE2ELNS1_11target_archE906ELNS1_3gpuE6ELNS1_3repE0EEENS1_30default_config_static_selectorELNS0_4arch9wavefront6targetE0EEEvSZ_.has_recursion, 0
	.set _ZN7rocprim17ROCPRIM_400000_NS6detail17trampoline_kernelINS0_13select_configILj256ELj13ELNS0_17block_load_methodE3ELS4_3ELS4_3ELNS0_20block_scan_algorithmE0ELj4294967295EEENS1_25partition_config_selectorILNS1_17partition_subalgoE4EjNS0_10empty_typeEbEEZZNS1_14partition_implILS8_4ELb0ES6_15HIP_vector_typeIjLj2EENS0_17counting_iteratorIjlEEPS9_SG_NS0_5tupleIJPjSI_NS0_16reverse_iteratorISI_EEEEENSH_IJSG_SG_SG_EEES9_SI_JZNS1_25segmented_radix_sort_implINS0_14default_configELb1EPKlPlSQ_SR_N2at6native12_GLOBAL__N_18offset_tEEE10hipError_tPvRmT1_PNSt15iterator_traitsISZ_E10value_typeET2_T3_PNS10_IS15_E10value_typeET4_jRbjT5_S1B_jjP12ihipStream_tbEUljE_ZNSN_ISO_Lb1ESQ_SR_SQ_SR_SV_EESW_SX_SY_SZ_S13_S14_S15_S18_S19_jS1A_jS1B_S1B_jjS1D_bEUljE0_EEESW_SX_SY_S15_S19_S1B_T6_T7_T9_mT8_S1D_bDpT10_ENKUlT_T0_E_clISt17integral_constantIbLb1EES1R_EEDaS1M_S1N_EUlS1M_E_NS1_11comp_targetILNS1_3genE2ELNS1_11target_archE906ELNS1_3gpuE6ELNS1_3repE0EEENS1_30default_config_static_selectorELNS0_4arch9wavefront6targetE0EEEvSZ_.has_indirect_call, 0
	.section	.AMDGPU.csdata,"",@progbits
; Kernel info:
; codeLenInByte = 0
; TotalNumSgprs: 0
; NumVgprs: 0
; ScratchSize: 0
; MemoryBound: 0
; FloatMode: 240
; IeeeMode: 1
; LDSByteSize: 0 bytes/workgroup (compile time only)
; SGPRBlocks: 0
; VGPRBlocks: 0
; NumSGPRsForWavesPerEU: 1
; NumVGPRsForWavesPerEU: 1
; NamedBarCnt: 0
; Occupancy: 16
; WaveLimiterHint : 0
; COMPUTE_PGM_RSRC2:SCRATCH_EN: 0
; COMPUTE_PGM_RSRC2:USER_SGPR: 2
; COMPUTE_PGM_RSRC2:TRAP_HANDLER: 0
; COMPUTE_PGM_RSRC2:TGID_X_EN: 1
; COMPUTE_PGM_RSRC2:TGID_Y_EN: 0
; COMPUTE_PGM_RSRC2:TGID_Z_EN: 0
; COMPUTE_PGM_RSRC2:TIDIG_COMP_CNT: 0
	.section	.text._ZN7rocprim17ROCPRIM_400000_NS6detail17trampoline_kernelINS0_13select_configILj256ELj13ELNS0_17block_load_methodE3ELS4_3ELS4_3ELNS0_20block_scan_algorithmE0ELj4294967295EEENS1_25partition_config_selectorILNS1_17partition_subalgoE4EjNS0_10empty_typeEbEEZZNS1_14partition_implILS8_4ELb0ES6_15HIP_vector_typeIjLj2EENS0_17counting_iteratorIjlEEPS9_SG_NS0_5tupleIJPjSI_NS0_16reverse_iteratorISI_EEEEENSH_IJSG_SG_SG_EEES9_SI_JZNS1_25segmented_radix_sort_implINS0_14default_configELb1EPKlPlSQ_SR_N2at6native12_GLOBAL__N_18offset_tEEE10hipError_tPvRmT1_PNSt15iterator_traitsISZ_E10value_typeET2_T3_PNS10_IS15_E10value_typeET4_jRbjT5_S1B_jjP12ihipStream_tbEUljE_ZNSN_ISO_Lb1ESQ_SR_SQ_SR_SV_EESW_SX_SY_SZ_S13_S14_S15_S18_S19_jS1A_jS1B_S1B_jjS1D_bEUljE0_EEESW_SX_SY_S15_S19_S1B_T6_T7_T9_mT8_S1D_bDpT10_ENKUlT_T0_E_clISt17integral_constantIbLb1EES1R_EEDaS1M_S1N_EUlS1M_E_NS1_11comp_targetILNS1_3genE10ELNS1_11target_archE1200ELNS1_3gpuE4ELNS1_3repE0EEENS1_30default_config_static_selectorELNS0_4arch9wavefront6targetE0EEEvSZ_,"axG",@progbits,_ZN7rocprim17ROCPRIM_400000_NS6detail17trampoline_kernelINS0_13select_configILj256ELj13ELNS0_17block_load_methodE3ELS4_3ELS4_3ELNS0_20block_scan_algorithmE0ELj4294967295EEENS1_25partition_config_selectorILNS1_17partition_subalgoE4EjNS0_10empty_typeEbEEZZNS1_14partition_implILS8_4ELb0ES6_15HIP_vector_typeIjLj2EENS0_17counting_iteratorIjlEEPS9_SG_NS0_5tupleIJPjSI_NS0_16reverse_iteratorISI_EEEEENSH_IJSG_SG_SG_EEES9_SI_JZNS1_25segmented_radix_sort_implINS0_14default_configELb1EPKlPlSQ_SR_N2at6native12_GLOBAL__N_18offset_tEEE10hipError_tPvRmT1_PNSt15iterator_traitsISZ_E10value_typeET2_T3_PNS10_IS15_E10value_typeET4_jRbjT5_S1B_jjP12ihipStream_tbEUljE_ZNSN_ISO_Lb1ESQ_SR_SQ_SR_SV_EESW_SX_SY_SZ_S13_S14_S15_S18_S19_jS1A_jS1B_S1B_jjS1D_bEUljE0_EEESW_SX_SY_S15_S19_S1B_T6_T7_T9_mT8_S1D_bDpT10_ENKUlT_T0_E_clISt17integral_constantIbLb1EES1R_EEDaS1M_S1N_EUlS1M_E_NS1_11comp_targetILNS1_3genE10ELNS1_11target_archE1200ELNS1_3gpuE4ELNS1_3repE0EEENS1_30default_config_static_selectorELNS0_4arch9wavefront6targetE0EEEvSZ_,comdat
	.globl	_ZN7rocprim17ROCPRIM_400000_NS6detail17trampoline_kernelINS0_13select_configILj256ELj13ELNS0_17block_load_methodE3ELS4_3ELS4_3ELNS0_20block_scan_algorithmE0ELj4294967295EEENS1_25partition_config_selectorILNS1_17partition_subalgoE4EjNS0_10empty_typeEbEEZZNS1_14partition_implILS8_4ELb0ES6_15HIP_vector_typeIjLj2EENS0_17counting_iteratorIjlEEPS9_SG_NS0_5tupleIJPjSI_NS0_16reverse_iteratorISI_EEEEENSH_IJSG_SG_SG_EEES9_SI_JZNS1_25segmented_radix_sort_implINS0_14default_configELb1EPKlPlSQ_SR_N2at6native12_GLOBAL__N_18offset_tEEE10hipError_tPvRmT1_PNSt15iterator_traitsISZ_E10value_typeET2_T3_PNS10_IS15_E10value_typeET4_jRbjT5_S1B_jjP12ihipStream_tbEUljE_ZNSN_ISO_Lb1ESQ_SR_SQ_SR_SV_EESW_SX_SY_SZ_S13_S14_S15_S18_S19_jS1A_jS1B_S1B_jjS1D_bEUljE0_EEESW_SX_SY_S15_S19_S1B_T6_T7_T9_mT8_S1D_bDpT10_ENKUlT_T0_E_clISt17integral_constantIbLb1EES1R_EEDaS1M_S1N_EUlS1M_E_NS1_11comp_targetILNS1_3genE10ELNS1_11target_archE1200ELNS1_3gpuE4ELNS1_3repE0EEENS1_30default_config_static_selectorELNS0_4arch9wavefront6targetE0EEEvSZ_ ; -- Begin function _ZN7rocprim17ROCPRIM_400000_NS6detail17trampoline_kernelINS0_13select_configILj256ELj13ELNS0_17block_load_methodE3ELS4_3ELS4_3ELNS0_20block_scan_algorithmE0ELj4294967295EEENS1_25partition_config_selectorILNS1_17partition_subalgoE4EjNS0_10empty_typeEbEEZZNS1_14partition_implILS8_4ELb0ES6_15HIP_vector_typeIjLj2EENS0_17counting_iteratorIjlEEPS9_SG_NS0_5tupleIJPjSI_NS0_16reverse_iteratorISI_EEEEENSH_IJSG_SG_SG_EEES9_SI_JZNS1_25segmented_radix_sort_implINS0_14default_configELb1EPKlPlSQ_SR_N2at6native12_GLOBAL__N_18offset_tEEE10hipError_tPvRmT1_PNSt15iterator_traitsISZ_E10value_typeET2_T3_PNS10_IS15_E10value_typeET4_jRbjT5_S1B_jjP12ihipStream_tbEUljE_ZNSN_ISO_Lb1ESQ_SR_SQ_SR_SV_EESW_SX_SY_SZ_S13_S14_S15_S18_S19_jS1A_jS1B_S1B_jjS1D_bEUljE0_EEESW_SX_SY_S15_S19_S1B_T6_T7_T9_mT8_S1D_bDpT10_ENKUlT_T0_E_clISt17integral_constantIbLb1EES1R_EEDaS1M_S1N_EUlS1M_E_NS1_11comp_targetILNS1_3genE10ELNS1_11target_archE1200ELNS1_3gpuE4ELNS1_3repE0EEENS1_30default_config_static_selectorELNS0_4arch9wavefront6targetE0EEEvSZ_
	.p2align	8
	.type	_ZN7rocprim17ROCPRIM_400000_NS6detail17trampoline_kernelINS0_13select_configILj256ELj13ELNS0_17block_load_methodE3ELS4_3ELS4_3ELNS0_20block_scan_algorithmE0ELj4294967295EEENS1_25partition_config_selectorILNS1_17partition_subalgoE4EjNS0_10empty_typeEbEEZZNS1_14partition_implILS8_4ELb0ES6_15HIP_vector_typeIjLj2EENS0_17counting_iteratorIjlEEPS9_SG_NS0_5tupleIJPjSI_NS0_16reverse_iteratorISI_EEEEENSH_IJSG_SG_SG_EEES9_SI_JZNS1_25segmented_radix_sort_implINS0_14default_configELb1EPKlPlSQ_SR_N2at6native12_GLOBAL__N_18offset_tEEE10hipError_tPvRmT1_PNSt15iterator_traitsISZ_E10value_typeET2_T3_PNS10_IS15_E10value_typeET4_jRbjT5_S1B_jjP12ihipStream_tbEUljE_ZNSN_ISO_Lb1ESQ_SR_SQ_SR_SV_EESW_SX_SY_SZ_S13_S14_S15_S18_S19_jS1A_jS1B_S1B_jjS1D_bEUljE0_EEESW_SX_SY_S15_S19_S1B_T6_T7_T9_mT8_S1D_bDpT10_ENKUlT_T0_E_clISt17integral_constantIbLb1EES1R_EEDaS1M_S1N_EUlS1M_E_NS1_11comp_targetILNS1_3genE10ELNS1_11target_archE1200ELNS1_3gpuE4ELNS1_3repE0EEENS1_30default_config_static_selectorELNS0_4arch9wavefront6targetE0EEEvSZ_,@function
_ZN7rocprim17ROCPRIM_400000_NS6detail17trampoline_kernelINS0_13select_configILj256ELj13ELNS0_17block_load_methodE3ELS4_3ELS4_3ELNS0_20block_scan_algorithmE0ELj4294967295EEENS1_25partition_config_selectorILNS1_17partition_subalgoE4EjNS0_10empty_typeEbEEZZNS1_14partition_implILS8_4ELb0ES6_15HIP_vector_typeIjLj2EENS0_17counting_iteratorIjlEEPS9_SG_NS0_5tupleIJPjSI_NS0_16reverse_iteratorISI_EEEEENSH_IJSG_SG_SG_EEES9_SI_JZNS1_25segmented_radix_sort_implINS0_14default_configELb1EPKlPlSQ_SR_N2at6native12_GLOBAL__N_18offset_tEEE10hipError_tPvRmT1_PNSt15iterator_traitsISZ_E10value_typeET2_T3_PNS10_IS15_E10value_typeET4_jRbjT5_S1B_jjP12ihipStream_tbEUljE_ZNSN_ISO_Lb1ESQ_SR_SQ_SR_SV_EESW_SX_SY_SZ_S13_S14_S15_S18_S19_jS1A_jS1B_S1B_jjS1D_bEUljE0_EEESW_SX_SY_S15_S19_S1B_T6_T7_T9_mT8_S1D_bDpT10_ENKUlT_T0_E_clISt17integral_constantIbLb1EES1R_EEDaS1M_S1N_EUlS1M_E_NS1_11comp_targetILNS1_3genE10ELNS1_11target_archE1200ELNS1_3gpuE4ELNS1_3repE0EEENS1_30default_config_static_selectorELNS0_4arch9wavefront6targetE0EEEvSZ_: ; @_ZN7rocprim17ROCPRIM_400000_NS6detail17trampoline_kernelINS0_13select_configILj256ELj13ELNS0_17block_load_methodE3ELS4_3ELS4_3ELNS0_20block_scan_algorithmE0ELj4294967295EEENS1_25partition_config_selectorILNS1_17partition_subalgoE4EjNS0_10empty_typeEbEEZZNS1_14partition_implILS8_4ELb0ES6_15HIP_vector_typeIjLj2EENS0_17counting_iteratorIjlEEPS9_SG_NS0_5tupleIJPjSI_NS0_16reverse_iteratorISI_EEEEENSH_IJSG_SG_SG_EEES9_SI_JZNS1_25segmented_radix_sort_implINS0_14default_configELb1EPKlPlSQ_SR_N2at6native12_GLOBAL__N_18offset_tEEE10hipError_tPvRmT1_PNSt15iterator_traitsISZ_E10value_typeET2_T3_PNS10_IS15_E10value_typeET4_jRbjT5_S1B_jjP12ihipStream_tbEUljE_ZNSN_ISO_Lb1ESQ_SR_SQ_SR_SV_EESW_SX_SY_SZ_S13_S14_S15_S18_S19_jS1A_jS1B_S1B_jjS1D_bEUljE0_EEESW_SX_SY_S15_S19_S1B_T6_T7_T9_mT8_S1D_bDpT10_ENKUlT_T0_E_clISt17integral_constantIbLb1EES1R_EEDaS1M_S1N_EUlS1M_E_NS1_11comp_targetILNS1_3genE10ELNS1_11target_archE1200ELNS1_3gpuE4ELNS1_3repE0EEENS1_30default_config_static_selectorELNS0_4arch9wavefront6targetE0EEEvSZ_
; %bb.0:
	.section	.rodata,"a",@progbits
	.p2align	6, 0x0
	.amdhsa_kernel _ZN7rocprim17ROCPRIM_400000_NS6detail17trampoline_kernelINS0_13select_configILj256ELj13ELNS0_17block_load_methodE3ELS4_3ELS4_3ELNS0_20block_scan_algorithmE0ELj4294967295EEENS1_25partition_config_selectorILNS1_17partition_subalgoE4EjNS0_10empty_typeEbEEZZNS1_14partition_implILS8_4ELb0ES6_15HIP_vector_typeIjLj2EENS0_17counting_iteratorIjlEEPS9_SG_NS0_5tupleIJPjSI_NS0_16reverse_iteratorISI_EEEEENSH_IJSG_SG_SG_EEES9_SI_JZNS1_25segmented_radix_sort_implINS0_14default_configELb1EPKlPlSQ_SR_N2at6native12_GLOBAL__N_18offset_tEEE10hipError_tPvRmT1_PNSt15iterator_traitsISZ_E10value_typeET2_T3_PNS10_IS15_E10value_typeET4_jRbjT5_S1B_jjP12ihipStream_tbEUljE_ZNSN_ISO_Lb1ESQ_SR_SQ_SR_SV_EESW_SX_SY_SZ_S13_S14_S15_S18_S19_jS1A_jS1B_S1B_jjS1D_bEUljE0_EEESW_SX_SY_S15_S19_S1B_T6_T7_T9_mT8_S1D_bDpT10_ENKUlT_T0_E_clISt17integral_constantIbLb1EES1R_EEDaS1M_S1N_EUlS1M_E_NS1_11comp_targetILNS1_3genE10ELNS1_11target_archE1200ELNS1_3gpuE4ELNS1_3repE0EEENS1_30default_config_static_selectorELNS0_4arch9wavefront6targetE0EEEvSZ_
		.amdhsa_group_segment_fixed_size 0
		.amdhsa_private_segment_fixed_size 0
		.amdhsa_kernarg_size 184
		.amdhsa_user_sgpr_count 2
		.amdhsa_user_sgpr_dispatch_ptr 0
		.amdhsa_user_sgpr_queue_ptr 0
		.amdhsa_user_sgpr_kernarg_segment_ptr 1
		.amdhsa_user_sgpr_dispatch_id 0
		.amdhsa_user_sgpr_kernarg_preload_length 0
		.amdhsa_user_sgpr_kernarg_preload_offset 0
		.amdhsa_user_sgpr_private_segment_size 0
		.amdhsa_wavefront_size32 1
		.amdhsa_uses_dynamic_stack 0
		.amdhsa_enable_private_segment 0
		.amdhsa_system_sgpr_workgroup_id_x 1
		.amdhsa_system_sgpr_workgroup_id_y 0
		.amdhsa_system_sgpr_workgroup_id_z 0
		.amdhsa_system_sgpr_workgroup_info 0
		.amdhsa_system_vgpr_workitem_id 0
		.amdhsa_next_free_vgpr 1
		.amdhsa_next_free_sgpr 1
		.amdhsa_named_barrier_count 0
		.amdhsa_reserve_vcc 0
		.amdhsa_float_round_mode_32 0
		.amdhsa_float_round_mode_16_64 0
		.amdhsa_float_denorm_mode_32 3
		.amdhsa_float_denorm_mode_16_64 3
		.amdhsa_fp16_overflow 0
		.amdhsa_memory_ordered 1
		.amdhsa_forward_progress 1
		.amdhsa_inst_pref_size 0
		.amdhsa_round_robin_scheduling 0
		.amdhsa_exception_fp_ieee_invalid_op 0
		.amdhsa_exception_fp_denorm_src 0
		.amdhsa_exception_fp_ieee_div_zero 0
		.amdhsa_exception_fp_ieee_overflow 0
		.amdhsa_exception_fp_ieee_underflow 0
		.amdhsa_exception_fp_ieee_inexact 0
		.amdhsa_exception_int_div_zero 0
	.end_amdhsa_kernel
	.section	.text._ZN7rocprim17ROCPRIM_400000_NS6detail17trampoline_kernelINS0_13select_configILj256ELj13ELNS0_17block_load_methodE3ELS4_3ELS4_3ELNS0_20block_scan_algorithmE0ELj4294967295EEENS1_25partition_config_selectorILNS1_17partition_subalgoE4EjNS0_10empty_typeEbEEZZNS1_14partition_implILS8_4ELb0ES6_15HIP_vector_typeIjLj2EENS0_17counting_iteratorIjlEEPS9_SG_NS0_5tupleIJPjSI_NS0_16reverse_iteratorISI_EEEEENSH_IJSG_SG_SG_EEES9_SI_JZNS1_25segmented_radix_sort_implINS0_14default_configELb1EPKlPlSQ_SR_N2at6native12_GLOBAL__N_18offset_tEEE10hipError_tPvRmT1_PNSt15iterator_traitsISZ_E10value_typeET2_T3_PNS10_IS15_E10value_typeET4_jRbjT5_S1B_jjP12ihipStream_tbEUljE_ZNSN_ISO_Lb1ESQ_SR_SQ_SR_SV_EESW_SX_SY_SZ_S13_S14_S15_S18_S19_jS1A_jS1B_S1B_jjS1D_bEUljE0_EEESW_SX_SY_S15_S19_S1B_T6_T7_T9_mT8_S1D_bDpT10_ENKUlT_T0_E_clISt17integral_constantIbLb1EES1R_EEDaS1M_S1N_EUlS1M_E_NS1_11comp_targetILNS1_3genE10ELNS1_11target_archE1200ELNS1_3gpuE4ELNS1_3repE0EEENS1_30default_config_static_selectorELNS0_4arch9wavefront6targetE0EEEvSZ_,"axG",@progbits,_ZN7rocprim17ROCPRIM_400000_NS6detail17trampoline_kernelINS0_13select_configILj256ELj13ELNS0_17block_load_methodE3ELS4_3ELS4_3ELNS0_20block_scan_algorithmE0ELj4294967295EEENS1_25partition_config_selectorILNS1_17partition_subalgoE4EjNS0_10empty_typeEbEEZZNS1_14partition_implILS8_4ELb0ES6_15HIP_vector_typeIjLj2EENS0_17counting_iteratorIjlEEPS9_SG_NS0_5tupleIJPjSI_NS0_16reverse_iteratorISI_EEEEENSH_IJSG_SG_SG_EEES9_SI_JZNS1_25segmented_radix_sort_implINS0_14default_configELb1EPKlPlSQ_SR_N2at6native12_GLOBAL__N_18offset_tEEE10hipError_tPvRmT1_PNSt15iterator_traitsISZ_E10value_typeET2_T3_PNS10_IS15_E10value_typeET4_jRbjT5_S1B_jjP12ihipStream_tbEUljE_ZNSN_ISO_Lb1ESQ_SR_SQ_SR_SV_EESW_SX_SY_SZ_S13_S14_S15_S18_S19_jS1A_jS1B_S1B_jjS1D_bEUljE0_EEESW_SX_SY_S15_S19_S1B_T6_T7_T9_mT8_S1D_bDpT10_ENKUlT_T0_E_clISt17integral_constantIbLb1EES1R_EEDaS1M_S1N_EUlS1M_E_NS1_11comp_targetILNS1_3genE10ELNS1_11target_archE1200ELNS1_3gpuE4ELNS1_3repE0EEENS1_30default_config_static_selectorELNS0_4arch9wavefront6targetE0EEEvSZ_,comdat
.Lfunc_end649:
	.size	_ZN7rocprim17ROCPRIM_400000_NS6detail17trampoline_kernelINS0_13select_configILj256ELj13ELNS0_17block_load_methodE3ELS4_3ELS4_3ELNS0_20block_scan_algorithmE0ELj4294967295EEENS1_25partition_config_selectorILNS1_17partition_subalgoE4EjNS0_10empty_typeEbEEZZNS1_14partition_implILS8_4ELb0ES6_15HIP_vector_typeIjLj2EENS0_17counting_iteratorIjlEEPS9_SG_NS0_5tupleIJPjSI_NS0_16reverse_iteratorISI_EEEEENSH_IJSG_SG_SG_EEES9_SI_JZNS1_25segmented_radix_sort_implINS0_14default_configELb1EPKlPlSQ_SR_N2at6native12_GLOBAL__N_18offset_tEEE10hipError_tPvRmT1_PNSt15iterator_traitsISZ_E10value_typeET2_T3_PNS10_IS15_E10value_typeET4_jRbjT5_S1B_jjP12ihipStream_tbEUljE_ZNSN_ISO_Lb1ESQ_SR_SQ_SR_SV_EESW_SX_SY_SZ_S13_S14_S15_S18_S19_jS1A_jS1B_S1B_jjS1D_bEUljE0_EEESW_SX_SY_S15_S19_S1B_T6_T7_T9_mT8_S1D_bDpT10_ENKUlT_T0_E_clISt17integral_constantIbLb1EES1R_EEDaS1M_S1N_EUlS1M_E_NS1_11comp_targetILNS1_3genE10ELNS1_11target_archE1200ELNS1_3gpuE4ELNS1_3repE0EEENS1_30default_config_static_selectorELNS0_4arch9wavefront6targetE0EEEvSZ_, .Lfunc_end649-_ZN7rocprim17ROCPRIM_400000_NS6detail17trampoline_kernelINS0_13select_configILj256ELj13ELNS0_17block_load_methodE3ELS4_3ELS4_3ELNS0_20block_scan_algorithmE0ELj4294967295EEENS1_25partition_config_selectorILNS1_17partition_subalgoE4EjNS0_10empty_typeEbEEZZNS1_14partition_implILS8_4ELb0ES6_15HIP_vector_typeIjLj2EENS0_17counting_iteratorIjlEEPS9_SG_NS0_5tupleIJPjSI_NS0_16reverse_iteratorISI_EEEEENSH_IJSG_SG_SG_EEES9_SI_JZNS1_25segmented_radix_sort_implINS0_14default_configELb1EPKlPlSQ_SR_N2at6native12_GLOBAL__N_18offset_tEEE10hipError_tPvRmT1_PNSt15iterator_traitsISZ_E10value_typeET2_T3_PNS10_IS15_E10value_typeET4_jRbjT5_S1B_jjP12ihipStream_tbEUljE_ZNSN_ISO_Lb1ESQ_SR_SQ_SR_SV_EESW_SX_SY_SZ_S13_S14_S15_S18_S19_jS1A_jS1B_S1B_jjS1D_bEUljE0_EEESW_SX_SY_S15_S19_S1B_T6_T7_T9_mT8_S1D_bDpT10_ENKUlT_T0_E_clISt17integral_constantIbLb1EES1R_EEDaS1M_S1N_EUlS1M_E_NS1_11comp_targetILNS1_3genE10ELNS1_11target_archE1200ELNS1_3gpuE4ELNS1_3repE0EEENS1_30default_config_static_selectorELNS0_4arch9wavefront6targetE0EEEvSZ_
                                        ; -- End function
	.set _ZN7rocprim17ROCPRIM_400000_NS6detail17trampoline_kernelINS0_13select_configILj256ELj13ELNS0_17block_load_methodE3ELS4_3ELS4_3ELNS0_20block_scan_algorithmE0ELj4294967295EEENS1_25partition_config_selectorILNS1_17partition_subalgoE4EjNS0_10empty_typeEbEEZZNS1_14partition_implILS8_4ELb0ES6_15HIP_vector_typeIjLj2EENS0_17counting_iteratorIjlEEPS9_SG_NS0_5tupleIJPjSI_NS0_16reverse_iteratorISI_EEEEENSH_IJSG_SG_SG_EEES9_SI_JZNS1_25segmented_radix_sort_implINS0_14default_configELb1EPKlPlSQ_SR_N2at6native12_GLOBAL__N_18offset_tEEE10hipError_tPvRmT1_PNSt15iterator_traitsISZ_E10value_typeET2_T3_PNS10_IS15_E10value_typeET4_jRbjT5_S1B_jjP12ihipStream_tbEUljE_ZNSN_ISO_Lb1ESQ_SR_SQ_SR_SV_EESW_SX_SY_SZ_S13_S14_S15_S18_S19_jS1A_jS1B_S1B_jjS1D_bEUljE0_EEESW_SX_SY_S15_S19_S1B_T6_T7_T9_mT8_S1D_bDpT10_ENKUlT_T0_E_clISt17integral_constantIbLb1EES1R_EEDaS1M_S1N_EUlS1M_E_NS1_11comp_targetILNS1_3genE10ELNS1_11target_archE1200ELNS1_3gpuE4ELNS1_3repE0EEENS1_30default_config_static_selectorELNS0_4arch9wavefront6targetE0EEEvSZ_.num_vgpr, 0
	.set _ZN7rocprim17ROCPRIM_400000_NS6detail17trampoline_kernelINS0_13select_configILj256ELj13ELNS0_17block_load_methodE3ELS4_3ELS4_3ELNS0_20block_scan_algorithmE0ELj4294967295EEENS1_25partition_config_selectorILNS1_17partition_subalgoE4EjNS0_10empty_typeEbEEZZNS1_14partition_implILS8_4ELb0ES6_15HIP_vector_typeIjLj2EENS0_17counting_iteratorIjlEEPS9_SG_NS0_5tupleIJPjSI_NS0_16reverse_iteratorISI_EEEEENSH_IJSG_SG_SG_EEES9_SI_JZNS1_25segmented_radix_sort_implINS0_14default_configELb1EPKlPlSQ_SR_N2at6native12_GLOBAL__N_18offset_tEEE10hipError_tPvRmT1_PNSt15iterator_traitsISZ_E10value_typeET2_T3_PNS10_IS15_E10value_typeET4_jRbjT5_S1B_jjP12ihipStream_tbEUljE_ZNSN_ISO_Lb1ESQ_SR_SQ_SR_SV_EESW_SX_SY_SZ_S13_S14_S15_S18_S19_jS1A_jS1B_S1B_jjS1D_bEUljE0_EEESW_SX_SY_S15_S19_S1B_T6_T7_T9_mT8_S1D_bDpT10_ENKUlT_T0_E_clISt17integral_constantIbLb1EES1R_EEDaS1M_S1N_EUlS1M_E_NS1_11comp_targetILNS1_3genE10ELNS1_11target_archE1200ELNS1_3gpuE4ELNS1_3repE0EEENS1_30default_config_static_selectorELNS0_4arch9wavefront6targetE0EEEvSZ_.num_agpr, 0
	.set _ZN7rocprim17ROCPRIM_400000_NS6detail17trampoline_kernelINS0_13select_configILj256ELj13ELNS0_17block_load_methodE3ELS4_3ELS4_3ELNS0_20block_scan_algorithmE0ELj4294967295EEENS1_25partition_config_selectorILNS1_17partition_subalgoE4EjNS0_10empty_typeEbEEZZNS1_14partition_implILS8_4ELb0ES6_15HIP_vector_typeIjLj2EENS0_17counting_iteratorIjlEEPS9_SG_NS0_5tupleIJPjSI_NS0_16reverse_iteratorISI_EEEEENSH_IJSG_SG_SG_EEES9_SI_JZNS1_25segmented_radix_sort_implINS0_14default_configELb1EPKlPlSQ_SR_N2at6native12_GLOBAL__N_18offset_tEEE10hipError_tPvRmT1_PNSt15iterator_traitsISZ_E10value_typeET2_T3_PNS10_IS15_E10value_typeET4_jRbjT5_S1B_jjP12ihipStream_tbEUljE_ZNSN_ISO_Lb1ESQ_SR_SQ_SR_SV_EESW_SX_SY_SZ_S13_S14_S15_S18_S19_jS1A_jS1B_S1B_jjS1D_bEUljE0_EEESW_SX_SY_S15_S19_S1B_T6_T7_T9_mT8_S1D_bDpT10_ENKUlT_T0_E_clISt17integral_constantIbLb1EES1R_EEDaS1M_S1N_EUlS1M_E_NS1_11comp_targetILNS1_3genE10ELNS1_11target_archE1200ELNS1_3gpuE4ELNS1_3repE0EEENS1_30default_config_static_selectorELNS0_4arch9wavefront6targetE0EEEvSZ_.numbered_sgpr, 0
	.set _ZN7rocprim17ROCPRIM_400000_NS6detail17trampoline_kernelINS0_13select_configILj256ELj13ELNS0_17block_load_methodE3ELS4_3ELS4_3ELNS0_20block_scan_algorithmE0ELj4294967295EEENS1_25partition_config_selectorILNS1_17partition_subalgoE4EjNS0_10empty_typeEbEEZZNS1_14partition_implILS8_4ELb0ES6_15HIP_vector_typeIjLj2EENS0_17counting_iteratorIjlEEPS9_SG_NS0_5tupleIJPjSI_NS0_16reverse_iteratorISI_EEEEENSH_IJSG_SG_SG_EEES9_SI_JZNS1_25segmented_radix_sort_implINS0_14default_configELb1EPKlPlSQ_SR_N2at6native12_GLOBAL__N_18offset_tEEE10hipError_tPvRmT1_PNSt15iterator_traitsISZ_E10value_typeET2_T3_PNS10_IS15_E10value_typeET4_jRbjT5_S1B_jjP12ihipStream_tbEUljE_ZNSN_ISO_Lb1ESQ_SR_SQ_SR_SV_EESW_SX_SY_SZ_S13_S14_S15_S18_S19_jS1A_jS1B_S1B_jjS1D_bEUljE0_EEESW_SX_SY_S15_S19_S1B_T6_T7_T9_mT8_S1D_bDpT10_ENKUlT_T0_E_clISt17integral_constantIbLb1EES1R_EEDaS1M_S1N_EUlS1M_E_NS1_11comp_targetILNS1_3genE10ELNS1_11target_archE1200ELNS1_3gpuE4ELNS1_3repE0EEENS1_30default_config_static_selectorELNS0_4arch9wavefront6targetE0EEEvSZ_.num_named_barrier, 0
	.set _ZN7rocprim17ROCPRIM_400000_NS6detail17trampoline_kernelINS0_13select_configILj256ELj13ELNS0_17block_load_methodE3ELS4_3ELS4_3ELNS0_20block_scan_algorithmE0ELj4294967295EEENS1_25partition_config_selectorILNS1_17partition_subalgoE4EjNS0_10empty_typeEbEEZZNS1_14partition_implILS8_4ELb0ES6_15HIP_vector_typeIjLj2EENS0_17counting_iteratorIjlEEPS9_SG_NS0_5tupleIJPjSI_NS0_16reverse_iteratorISI_EEEEENSH_IJSG_SG_SG_EEES9_SI_JZNS1_25segmented_radix_sort_implINS0_14default_configELb1EPKlPlSQ_SR_N2at6native12_GLOBAL__N_18offset_tEEE10hipError_tPvRmT1_PNSt15iterator_traitsISZ_E10value_typeET2_T3_PNS10_IS15_E10value_typeET4_jRbjT5_S1B_jjP12ihipStream_tbEUljE_ZNSN_ISO_Lb1ESQ_SR_SQ_SR_SV_EESW_SX_SY_SZ_S13_S14_S15_S18_S19_jS1A_jS1B_S1B_jjS1D_bEUljE0_EEESW_SX_SY_S15_S19_S1B_T6_T7_T9_mT8_S1D_bDpT10_ENKUlT_T0_E_clISt17integral_constantIbLb1EES1R_EEDaS1M_S1N_EUlS1M_E_NS1_11comp_targetILNS1_3genE10ELNS1_11target_archE1200ELNS1_3gpuE4ELNS1_3repE0EEENS1_30default_config_static_selectorELNS0_4arch9wavefront6targetE0EEEvSZ_.private_seg_size, 0
	.set _ZN7rocprim17ROCPRIM_400000_NS6detail17trampoline_kernelINS0_13select_configILj256ELj13ELNS0_17block_load_methodE3ELS4_3ELS4_3ELNS0_20block_scan_algorithmE0ELj4294967295EEENS1_25partition_config_selectorILNS1_17partition_subalgoE4EjNS0_10empty_typeEbEEZZNS1_14partition_implILS8_4ELb0ES6_15HIP_vector_typeIjLj2EENS0_17counting_iteratorIjlEEPS9_SG_NS0_5tupleIJPjSI_NS0_16reverse_iteratorISI_EEEEENSH_IJSG_SG_SG_EEES9_SI_JZNS1_25segmented_radix_sort_implINS0_14default_configELb1EPKlPlSQ_SR_N2at6native12_GLOBAL__N_18offset_tEEE10hipError_tPvRmT1_PNSt15iterator_traitsISZ_E10value_typeET2_T3_PNS10_IS15_E10value_typeET4_jRbjT5_S1B_jjP12ihipStream_tbEUljE_ZNSN_ISO_Lb1ESQ_SR_SQ_SR_SV_EESW_SX_SY_SZ_S13_S14_S15_S18_S19_jS1A_jS1B_S1B_jjS1D_bEUljE0_EEESW_SX_SY_S15_S19_S1B_T6_T7_T9_mT8_S1D_bDpT10_ENKUlT_T0_E_clISt17integral_constantIbLb1EES1R_EEDaS1M_S1N_EUlS1M_E_NS1_11comp_targetILNS1_3genE10ELNS1_11target_archE1200ELNS1_3gpuE4ELNS1_3repE0EEENS1_30default_config_static_selectorELNS0_4arch9wavefront6targetE0EEEvSZ_.uses_vcc, 0
	.set _ZN7rocprim17ROCPRIM_400000_NS6detail17trampoline_kernelINS0_13select_configILj256ELj13ELNS0_17block_load_methodE3ELS4_3ELS4_3ELNS0_20block_scan_algorithmE0ELj4294967295EEENS1_25partition_config_selectorILNS1_17partition_subalgoE4EjNS0_10empty_typeEbEEZZNS1_14partition_implILS8_4ELb0ES6_15HIP_vector_typeIjLj2EENS0_17counting_iteratorIjlEEPS9_SG_NS0_5tupleIJPjSI_NS0_16reverse_iteratorISI_EEEEENSH_IJSG_SG_SG_EEES9_SI_JZNS1_25segmented_radix_sort_implINS0_14default_configELb1EPKlPlSQ_SR_N2at6native12_GLOBAL__N_18offset_tEEE10hipError_tPvRmT1_PNSt15iterator_traitsISZ_E10value_typeET2_T3_PNS10_IS15_E10value_typeET4_jRbjT5_S1B_jjP12ihipStream_tbEUljE_ZNSN_ISO_Lb1ESQ_SR_SQ_SR_SV_EESW_SX_SY_SZ_S13_S14_S15_S18_S19_jS1A_jS1B_S1B_jjS1D_bEUljE0_EEESW_SX_SY_S15_S19_S1B_T6_T7_T9_mT8_S1D_bDpT10_ENKUlT_T0_E_clISt17integral_constantIbLb1EES1R_EEDaS1M_S1N_EUlS1M_E_NS1_11comp_targetILNS1_3genE10ELNS1_11target_archE1200ELNS1_3gpuE4ELNS1_3repE0EEENS1_30default_config_static_selectorELNS0_4arch9wavefront6targetE0EEEvSZ_.uses_flat_scratch, 0
	.set _ZN7rocprim17ROCPRIM_400000_NS6detail17trampoline_kernelINS0_13select_configILj256ELj13ELNS0_17block_load_methodE3ELS4_3ELS4_3ELNS0_20block_scan_algorithmE0ELj4294967295EEENS1_25partition_config_selectorILNS1_17partition_subalgoE4EjNS0_10empty_typeEbEEZZNS1_14partition_implILS8_4ELb0ES6_15HIP_vector_typeIjLj2EENS0_17counting_iteratorIjlEEPS9_SG_NS0_5tupleIJPjSI_NS0_16reverse_iteratorISI_EEEEENSH_IJSG_SG_SG_EEES9_SI_JZNS1_25segmented_radix_sort_implINS0_14default_configELb1EPKlPlSQ_SR_N2at6native12_GLOBAL__N_18offset_tEEE10hipError_tPvRmT1_PNSt15iterator_traitsISZ_E10value_typeET2_T3_PNS10_IS15_E10value_typeET4_jRbjT5_S1B_jjP12ihipStream_tbEUljE_ZNSN_ISO_Lb1ESQ_SR_SQ_SR_SV_EESW_SX_SY_SZ_S13_S14_S15_S18_S19_jS1A_jS1B_S1B_jjS1D_bEUljE0_EEESW_SX_SY_S15_S19_S1B_T6_T7_T9_mT8_S1D_bDpT10_ENKUlT_T0_E_clISt17integral_constantIbLb1EES1R_EEDaS1M_S1N_EUlS1M_E_NS1_11comp_targetILNS1_3genE10ELNS1_11target_archE1200ELNS1_3gpuE4ELNS1_3repE0EEENS1_30default_config_static_selectorELNS0_4arch9wavefront6targetE0EEEvSZ_.has_dyn_sized_stack, 0
	.set _ZN7rocprim17ROCPRIM_400000_NS6detail17trampoline_kernelINS0_13select_configILj256ELj13ELNS0_17block_load_methodE3ELS4_3ELS4_3ELNS0_20block_scan_algorithmE0ELj4294967295EEENS1_25partition_config_selectorILNS1_17partition_subalgoE4EjNS0_10empty_typeEbEEZZNS1_14partition_implILS8_4ELb0ES6_15HIP_vector_typeIjLj2EENS0_17counting_iteratorIjlEEPS9_SG_NS0_5tupleIJPjSI_NS0_16reverse_iteratorISI_EEEEENSH_IJSG_SG_SG_EEES9_SI_JZNS1_25segmented_radix_sort_implINS0_14default_configELb1EPKlPlSQ_SR_N2at6native12_GLOBAL__N_18offset_tEEE10hipError_tPvRmT1_PNSt15iterator_traitsISZ_E10value_typeET2_T3_PNS10_IS15_E10value_typeET4_jRbjT5_S1B_jjP12ihipStream_tbEUljE_ZNSN_ISO_Lb1ESQ_SR_SQ_SR_SV_EESW_SX_SY_SZ_S13_S14_S15_S18_S19_jS1A_jS1B_S1B_jjS1D_bEUljE0_EEESW_SX_SY_S15_S19_S1B_T6_T7_T9_mT8_S1D_bDpT10_ENKUlT_T0_E_clISt17integral_constantIbLb1EES1R_EEDaS1M_S1N_EUlS1M_E_NS1_11comp_targetILNS1_3genE10ELNS1_11target_archE1200ELNS1_3gpuE4ELNS1_3repE0EEENS1_30default_config_static_selectorELNS0_4arch9wavefront6targetE0EEEvSZ_.has_recursion, 0
	.set _ZN7rocprim17ROCPRIM_400000_NS6detail17trampoline_kernelINS0_13select_configILj256ELj13ELNS0_17block_load_methodE3ELS4_3ELS4_3ELNS0_20block_scan_algorithmE0ELj4294967295EEENS1_25partition_config_selectorILNS1_17partition_subalgoE4EjNS0_10empty_typeEbEEZZNS1_14partition_implILS8_4ELb0ES6_15HIP_vector_typeIjLj2EENS0_17counting_iteratorIjlEEPS9_SG_NS0_5tupleIJPjSI_NS0_16reverse_iteratorISI_EEEEENSH_IJSG_SG_SG_EEES9_SI_JZNS1_25segmented_radix_sort_implINS0_14default_configELb1EPKlPlSQ_SR_N2at6native12_GLOBAL__N_18offset_tEEE10hipError_tPvRmT1_PNSt15iterator_traitsISZ_E10value_typeET2_T3_PNS10_IS15_E10value_typeET4_jRbjT5_S1B_jjP12ihipStream_tbEUljE_ZNSN_ISO_Lb1ESQ_SR_SQ_SR_SV_EESW_SX_SY_SZ_S13_S14_S15_S18_S19_jS1A_jS1B_S1B_jjS1D_bEUljE0_EEESW_SX_SY_S15_S19_S1B_T6_T7_T9_mT8_S1D_bDpT10_ENKUlT_T0_E_clISt17integral_constantIbLb1EES1R_EEDaS1M_S1N_EUlS1M_E_NS1_11comp_targetILNS1_3genE10ELNS1_11target_archE1200ELNS1_3gpuE4ELNS1_3repE0EEENS1_30default_config_static_selectorELNS0_4arch9wavefront6targetE0EEEvSZ_.has_indirect_call, 0
	.section	.AMDGPU.csdata,"",@progbits
; Kernel info:
; codeLenInByte = 0
; TotalNumSgprs: 0
; NumVgprs: 0
; ScratchSize: 0
; MemoryBound: 0
; FloatMode: 240
; IeeeMode: 1
; LDSByteSize: 0 bytes/workgroup (compile time only)
; SGPRBlocks: 0
; VGPRBlocks: 0
; NumSGPRsForWavesPerEU: 1
; NumVGPRsForWavesPerEU: 1
; NamedBarCnt: 0
; Occupancy: 16
; WaveLimiterHint : 0
; COMPUTE_PGM_RSRC2:SCRATCH_EN: 0
; COMPUTE_PGM_RSRC2:USER_SGPR: 2
; COMPUTE_PGM_RSRC2:TRAP_HANDLER: 0
; COMPUTE_PGM_RSRC2:TGID_X_EN: 1
; COMPUTE_PGM_RSRC2:TGID_Y_EN: 0
; COMPUTE_PGM_RSRC2:TGID_Z_EN: 0
; COMPUTE_PGM_RSRC2:TIDIG_COMP_CNT: 0
	.section	.text._ZN7rocprim17ROCPRIM_400000_NS6detail17trampoline_kernelINS0_13select_configILj256ELj13ELNS0_17block_load_methodE3ELS4_3ELS4_3ELNS0_20block_scan_algorithmE0ELj4294967295EEENS1_25partition_config_selectorILNS1_17partition_subalgoE4EjNS0_10empty_typeEbEEZZNS1_14partition_implILS8_4ELb0ES6_15HIP_vector_typeIjLj2EENS0_17counting_iteratorIjlEEPS9_SG_NS0_5tupleIJPjSI_NS0_16reverse_iteratorISI_EEEEENSH_IJSG_SG_SG_EEES9_SI_JZNS1_25segmented_radix_sort_implINS0_14default_configELb1EPKlPlSQ_SR_N2at6native12_GLOBAL__N_18offset_tEEE10hipError_tPvRmT1_PNSt15iterator_traitsISZ_E10value_typeET2_T3_PNS10_IS15_E10value_typeET4_jRbjT5_S1B_jjP12ihipStream_tbEUljE_ZNSN_ISO_Lb1ESQ_SR_SQ_SR_SV_EESW_SX_SY_SZ_S13_S14_S15_S18_S19_jS1A_jS1B_S1B_jjS1D_bEUljE0_EEESW_SX_SY_S15_S19_S1B_T6_T7_T9_mT8_S1D_bDpT10_ENKUlT_T0_E_clISt17integral_constantIbLb1EES1R_EEDaS1M_S1N_EUlS1M_E_NS1_11comp_targetILNS1_3genE9ELNS1_11target_archE1100ELNS1_3gpuE3ELNS1_3repE0EEENS1_30default_config_static_selectorELNS0_4arch9wavefront6targetE0EEEvSZ_,"axG",@progbits,_ZN7rocprim17ROCPRIM_400000_NS6detail17trampoline_kernelINS0_13select_configILj256ELj13ELNS0_17block_load_methodE3ELS4_3ELS4_3ELNS0_20block_scan_algorithmE0ELj4294967295EEENS1_25partition_config_selectorILNS1_17partition_subalgoE4EjNS0_10empty_typeEbEEZZNS1_14partition_implILS8_4ELb0ES6_15HIP_vector_typeIjLj2EENS0_17counting_iteratorIjlEEPS9_SG_NS0_5tupleIJPjSI_NS0_16reverse_iteratorISI_EEEEENSH_IJSG_SG_SG_EEES9_SI_JZNS1_25segmented_radix_sort_implINS0_14default_configELb1EPKlPlSQ_SR_N2at6native12_GLOBAL__N_18offset_tEEE10hipError_tPvRmT1_PNSt15iterator_traitsISZ_E10value_typeET2_T3_PNS10_IS15_E10value_typeET4_jRbjT5_S1B_jjP12ihipStream_tbEUljE_ZNSN_ISO_Lb1ESQ_SR_SQ_SR_SV_EESW_SX_SY_SZ_S13_S14_S15_S18_S19_jS1A_jS1B_S1B_jjS1D_bEUljE0_EEESW_SX_SY_S15_S19_S1B_T6_T7_T9_mT8_S1D_bDpT10_ENKUlT_T0_E_clISt17integral_constantIbLb1EES1R_EEDaS1M_S1N_EUlS1M_E_NS1_11comp_targetILNS1_3genE9ELNS1_11target_archE1100ELNS1_3gpuE3ELNS1_3repE0EEENS1_30default_config_static_selectorELNS0_4arch9wavefront6targetE0EEEvSZ_,comdat
	.globl	_ZN7rocprim17ROCPRIM_400000_NS6detail17trampoline_kernelINS0_13select_configILj256ELj13ELNS0_17block_load_methodE3ELS4_3ELS4_3ELNS0_20block_scan_algorithmE0ELj4294967295EEENS1_25partition_config_selectorILNS1_17partition_subalgoE4EjNS0_10empty_typeEbEEZZNS1_14partition_implILS8_4ELb0ES6_15HIP_vector_typeIjLj2EENS0_17counting_iteratorIjlEEPS9_SG_NS0_5tupleIJPjSI_NS0_16reverse_iteratorISI_EEEEENSH_IJSG_SG_SG_EEES9_SI_JZNS1_25segmented_radix_sort_implINS0_14default_configELb1EPKlPlSQ_SR_N2at6native12_GLOBAL__N_18offset_tEEE10hipError_tPvRmT1_PNSt15iterator_traitsISZ_E10value_typeET2_T3_PNS10_IS15_E10value_typeET4_jRbjT5_S1B_jjP12ihipStream_tbEUljE_ZNSN_ISO_Lb1ESQ_SR_SQ_SR_SV_EESW_SX_SY_SZ_S13_S14_S15_S18_S19_jS1A_jS1B_S1B_jjS1D_bEUljE0_EEESW_SX_SY_S15_S19_S1B_T6_T7_T9_mT8_S1D_bDpT10_ENKUlT_T0_E_clISt17integral_constantIbLb1EES1R_EEDaS1M_S1N_EUlS1M_E_NS1_11comp_targetILNS1_3genE9ELNS1_11target_archE1100ELNS1_3gpuE3ELNS1_3repE0EEENS1_30default_config_static_selectorELNS0_4arch9wavefront6targetE0EEEvSZ_ ; -- Begin function _ZN7rocprim17ROCPRIM_400000_NS6detail17trampoline_kernelINS0_13select_configILj256ELj13ELNS0_17block_load_methodE3ELS4_3ELS4_3ELNS0_20block_scan_algorithmE0ELj4294967295EEENS1_25partition_config_selectorILNS1_17partition_subalgoE4EjNS0_10empty_typeEbEEZZNS1_14partition_implILS8_4ELb0ES6_15HIP_vector_typeIjLj2EENS0_17counting_iteratorIjlEEPS9_SG_NS0_5tupleIJPjSI_NS0_16reverse_iteratorISI_EEEEENSH_IJSG_SG_SG_EEES9_SI_JZNS1_25segmented_radix_sort_implINS0_14default_configELb1EPKlPlSQ_SR_N2at6native12_GLOBAL__N_18offset_tEEE10hipError_tPvRmT1_PNSt15iterator_traitsISZ_E10value_typeET2_T3_PNS10_IS15_E10value_typeET4_jRbjT5_S1B_jjP12ihipStream_tbEUljE_ZNSN_ISO_Lb1ESQ_SR_SQ_SR_SV_EESW_SX_SY_SZ_S13_S14_S15_S18_S19_jS1A_jS1B_S1B_jjS1D_bEUljE0_EEESW_SX_SY_S15_S19_S1B_T6_T7_T9_mT8_S1D_bDpT10_ENKUlT_T0_E_clISt17integral_constantIbLb1EES1R_EEDaS1M_S1N_EUlS1M_E_NS1_11comp_targetILNS1_3genE9ELNS1_11target_archE1100ELNS1_3gpuE3ELNS1_3repE0EEENS1_30default_config_static_selectorELNS0_4arch9wavefront6targetE0EEEvSZ_
	.p2align	8
	.type	_ZN7rocprim17ROCPRIM_400000_NS6detail17trampoline_kernelINS0_13select_configILj256ELj13ELNS0_17block_load_methodE3ELS4_3ELS4_3ELNS0_20block_scan_algorithmE0ELj4294967295EEENS1_25partition_config_selectorILNS1_17partition_subalgoE4EjNS0_10empty_typeEbEEZZNS1_14partition_implILS8_4ELb0ES6_15HIP_vector_typeIjLj2EENS0_17counting_iteratorIjlEEPS9_SG_NS0_5tupleIJPjSI_NS0_16reverse_iteratorISI_EEEEENSH_IJSG_SG_SG_EEES9_SI_JZNS1_25segmented_radix_sort_implINS0_14default_configELb1EPKlPlSQ_SR_N2at6native12_GLOBAL__N_18offset_tEEE10hipError_tPvRmT1_PNSt15iterator_traitsISZ_E10value_typeET2_T3_PNS10_IS15_E10value_typeET4_jRbjT5_S1B_jjP12ihipStream_tbEUljE_ZNSN_ISO_Lb1ESQ_SR_SQ_SR_SV_EESW_SX_SY_SZ_S13_S14_S15_S18_S19_jS1A_jS1B_S1B_jjS1D_bEUljE0_EEESW_SX_SY_S15_S19_S1B_T6_T7_T9_mT8_S1D_bDpT10_ENKUlT_T0_E_clISt17integral_constantIbLb1EES1R_EEDaS1M_S1N_EUlS1M_E_NS1_11comp_targetILNS1_3genE9ELNS1_11target_archE1100ELNS1_3gpuE3ELNS1_3repE0EEENS1_30default_config_static_selectorELNS0_4arch9wavefront6targetE0EEEvSZ_,@function
_ZN7rocprim17ROCPRIM_400000_NS6detail17trampoline_kernelINS0_13select_configILj256ELj13ELNS0_17block_load_methodE3ELS4_3ELS4_3ELNS0_20block_scan_algorithmE0ELj4294967295EEENS1_25partition_config_selectorILNS1_17partition_subalgoE4EjNS0_10empty_typeEbEEZZNS1_14partition_implILS8_4ELb0ES6_15HIP_vector_typeIjLj2EENS0_17counting_iteratorIjlEEPS9_SG_NS0_5tupleIJPjSI_NS0_16reverse_iteratorISI_EEEEENSH_IJSG_SG_SG_EEES9_SI_JZNS1_25segmented_radix_sort_implINS0_14default_configELb1EPKlPlSQ_SR_N2at6native12_GLOBAL__N_18offset_tEEE10hipError_tPvRmT1_PNSt15iterator_traitsISZ_E10value_typeET2_T3_PNS10_IS15_E10value_typeET4_jRbjT5_S1B_jjP12ihipStream_tbEUljE_ZNSN_ISO_Lb1ESQ_SR_SQ_SR_SV_EESW_SX_SY_SZ_S13_S14_S15_S18_S19_jS1A_jS1B_S1B_jjS1D_bEUljE0_EEESW_SX_SY_S15_S19_S1B_T6_T7_T9_mT8_S1D_bDpT10_ENKUlT_T0_E_clISt17integral_constantIbLb1EES1R_EEDaS1M_S1N_EUlS1M_E_NS1_11comp_targetILNS1_3genE9ELNS1_11target_archE1100ELNS1_3gpuE3ELNS1_3repE0EEENS1_30default_config_static_selectorELNS0_4arch9wavefront6targetE0EEEvSZ_: ; @_ZN7rocprim17ROCPRIM_400000_NS6detail17trampoline_kernelINS0_13select_configILj256ELj13ELNS0_17block_load_methodE3ELS4_3ELS4_3ELNS0_20block_scan_algorithmE0ELj4294967295EEENS1_25partition_config_selectorILNS1_17partition_subalgoE4EjNS0_10empty_typeEbEEZZNS1_14partition_implILS8_4ELb0ES6_15HIP_vector_typeIjLj2EENS0_17counting_iteratorIjlEEPS9_SG_NS0_5tupleIJPjSI_NS0_16reverse_iteratorISI_EEEEENSH_IJSG_SG_SG_EEES9_SI_JZNS1_25segmented_radix_sort_implINS0_14default_configELb1EPKlPlSQ_SR_N2at6native12_GLOBAL__N_18offset_tEEE10hipError_tPvRmT1_PNSt15iterator_traitsISZ_E10value_typeET2_T3_PNS10_IS15_E10value_typeET4_jRbjT5_S1B_jjP12ihipStream_tbEUljE_ZNSN_ISO_Lb1ESQ_SR_SQ_SR_SV_EESW_SX_SY_SZ_S13_S14_S15_S18_S19_jS1A_jS1B_S1B_jjS1D_bEUljE0_EEESW_SX_SY_S15_S19_S1B_T6_T7_T9_mT8_S1D_bDpT10_ENKUlT_T0_E_clISt17integral_constantIbLb1EES1R_EEDaS1M_S1N_EUlS1M_E_NS1_11comp_targetILNS1_3genE9ELNS1_11target_archE1100ELNS1_3gpuE3ELNS1_3repE0EEENS1_30default_config_static_selectorELNS0_4arch9wavefront6targetE0EEEvSZ_
; %bb.0:
	.section	.rodata,"a",@progbits
	.p2align	6, 0x0
	.amdhsa_kernel _ZN7rocprim17ROCPRIM_400000_NS6detail17trampoline_kernelINS0_13select_configILj256ELj13ELNS0_17block_load_methodE3ELS4_3ELS4_3ELNS0_20block_scan_algorithmE0ELj4294967295EEENS1_25partition_config_selectorILNS1_17partition_subalgoE4EjNS0_10empty_typeEbEEZZNS1_14partition_implILS8_4ELb0ES6_15HIP_vector_typeIjLj2EENS0_17counting_iteratorIjlEEPS9_SG_NS0_5tupleIJPjSI_NS0_16reverse_iteratorISI_EEEEENSH_IJSG_SG_SG_EEES9_SI_JZNS1_25segmented_radix_sort_implINS0_14default_configELb1EPKlPlSQ_SR_N2at6native12_GLOBAL__N_18offset_tEEE10hipError_tPvRmT1_PNSt15iterator_traitsISZ_E10value_typeET2_T3_PNS10_IS15_E10value_typeET4_jRbjT5_S1B_jjP12ihipStream_tbEUljE_ZNSN_ISO_Lb1ESQ_SR_SQ_SR_SV_EESW_SX_SY_SZ_S13_S14_S15_S18_S19_jS1A_jS1B_S1B_jjS1D_bEUljE0_EEESW_SX_SY_S15_S19_S1B_T6_T7_T9_mT8_S1D_bDpT10_ENKUlT_T0_E_clISt17integral_constantIbLb1EES1R_EEDaS1M_S1N_EUlS1M_E_NS1_11comp_targetILNS1_3genE9ELNS1_11target_archE1100ELNS1_3gpuE3ELNS1_3repE0EEENS1_30default_config_static_selectorELNS0_4arch9wavefront6targetE0EEEvSZ_
		.amdhsa_group_segment_fixed_size 0
		.amdhsa_private_segment_fixed_size 0
		.amdhsa_kernarg_size 184
		.amdhsa_user_sgpr_count 2
		.amdhsa_user_sgpr_dispatch_ptr 0
		.amdhsa_user_sgpr_queue_ptr 0
		.amdhsa_user_sgpr_kernarg_segment_ptr 1
		.amdhsa_user_sgpr_dispatch_id 0
		.amdhsa_user_sgpr_kernarg_preload_length 0
		.amdhsa_user_sgpr_kernarg_preload_offset 0
		.amdhsa_user_sgpr_private_segment_size 0
		.amdhsa_wavefront_size32 1
		.amdhsa_uses_dynamic_stack 0
		.amdhsa_enable_private_segment 0
		.amdhsa_system_sgpr_workgroup_id_x 1
		.amdhsa_system_sgpr_workgroup_id_y 0
		.amdhsa_system_sgpr_workgroup_id_z 0
		.amdhsa_system_sgpr_workgroup_info 0
		.amdhsa_system_vgpr_workitem_id 0
		.amdhsa_next_free_vgpr 1
		.amdhsa_next_free_sgpr 1
		.amdhsa_named_barrier_count 0
		.amdhsa_reserve_vcc 0
		.amdhsa_float_round_mode_32 0
		.amdhsa_float_round_mode_16_64 0
		.amdhsa_float_denorm_mode_32 3
		.amdhsa_float_denorm_mode_16_64 3
		.amdhsa_fp16_overflow 0
		.amdhsa_memory_ordered 1
		.amdhsa_forward_progress 1
		.amdhsa_inst_pref_size 0
		.amdhsa_round_robin_scheduling 0
		.amdhsa_exception_fp_ieee_invalid_op 0
		.amdhsa_exception_fp_denorm_src 0
		.amdhsa_exception_fp_ieee_div_zero 0
		.amdhsa_exception_fp_ieee_overflow 0
		.amdhsa_exception_fp_ieee_underflow 0
		.amdhsa_exception_fp_ieee_inexact 0
		.amdhsa_exception_int_div_zero 0
	.end_amdhsa_kernel
	.section	.text._ZN7rocprim17ROCPRIM_400000_NS6detail17trampoline_kernelINS0_13select_configILj256ELj13ELNS0_17block_load_methodE3ELS4_3ELS4_3ELNS0_20block_scan_algorithmE0ELj4294967295EEENS1_25partition_config_selectorILNS1_17partition_subalgoE4EjNS0_10empty_typeEbEEZZNS1_14partition_implILS8_4ELb0ES6_15HIP_vector_typeIjLj2EENS0_17counting_iteratorIjlEEPS9_SG_NS0_5tupleIJPjSI_NS0_16reverse_iteratorISI_EEEEENSH_IJSG_SG_SG_EEES9_SI_JZNS1_25segmented_radix_sort_implINS0_14default_configELb1EPKlPlSQ_SR_N2at6native12_GLOBAL__N_18offset_tEEE10hipError_tPvRmT1_PNSt15iterator_traitsISZ_E10value_typeET2_T3_PNS10_IS15_E10value_typeET4_jRbjT5_S1B_jjP12ihipStream_tbEUljE_ZNSN_ISO_Lb1ESQ_SR_SQ_SR_SV_EESW_SX_SY_SZ_S13_S14_S15_S18_S19_jS1A_jS1B_S1B_jjS1D_bEUljE0_EEESW_SX_SY_S15_S19_S1B_T6_T7_T9_mT8_S1D_bDpT10_ENKUlT_T0_E_clISt17integral_constantIbLb1EES1R_EEDaS1M_S1N_EUlS1M_E_NS1_11comp_targetILNS1_3genE9ELNS1_11target_archE1100ELNS1_3gpuE3ELNS1_3repE0EEENS1_30default_config_static_selectorELNS0_4arch9wavefront6targetE0EEEvSZ_,"axG",@progbits,_ZN7rocprim17ROCPRIM_400000_NS6detail17trampoline_kernelINS0_13select_configILj256ELj13ELNS0_17block_load_methodE3ELS4_3ELS4_3ELNS0_20block_scan_algorithmE0ELj4294967295EEENS1_25partition_config_selectorILNS1_17partition_subalgoE4EjNS0_10empty_typeEbEEZZNS1_14partition_implILS8_4ELb0ES6_15HIP_vector_typeIjLj2EENS0_17counting_iteratorIjlEEPS9_SG_NS0_5tupleIJPjSI_NS0_16reverse_iteratorISI_EEEEENSH_IJSG_SG_SG_EEES9_SI_JZNS1_25segmented_radix_sort_implINS0_14default_configELb1EPKlPlSQ_SR_N2at6native12_GLOBAL__N_18offset_tEEE10hipError_tPvRmT1_PNSt15iterator_traitsISZ_E10value_typeET2_T3_PNS10_IS15_E10value_typeET4_jRbjT5_S1B_jjP12ihipStream_tbEUljE_ZNSN_ISO_Lb1ESQ_SR_SQ_SR_SV_EESW_SX_SY_SZ_S13_S14_S15_S18_S19_jS1A_jS1B_S1B_jjS1D_bEUljE0_EEESW_SX_SY_S15_S19_S1B_T6_T7_T9_mT8_S1D_bDpT10_ENKUlT_T0_E_clISt17integral_constantIbLb1EES1R_EEDaS1M_S1N_EUlS1M_E_NS1_11comp_targetILNS1_3genE9ELNS1_11target_archE1100ELNS1_3gpuE3ELNS1_3repE0EEENS1_30default_config_static_selectorELNS0_4arch9wavefront6targetE0EEEvSZ_,comdat
.Lfunc_end650:
	.size	_ZN7rocprim17ROCPRIM_400000_NS6detail17trampoline_kernelINS0_13select_configILj256ELj13ELNS0_17block_load_methodE3ELS4_3ELS4_3ELNS0_20block_scan_algorithmE0ELj4294967295EEENS1_25partition_config_selectorILNS1_17partition_subalgoE4EjNS0_10empty_typeEbEEZZNS1_14partition_implILS8_4ELb0ES6_15HIP_vector_typeIjLj2EENS0_17counting_iteratorIjlEEPS9_SG_NS0_5tupleIJPjSI_NS0_16reverse_iteratorISI_EEEEENSH_IJSG_SG_SG_EEES9_SI_JZNS1_25segmented_radix_sort_implINS0_14default_configELb1EPKlPlSQ_SR_N2at6native12_GLOBAL__N_18offset_tEEE10hipError_tPvRmT1_PNSt15iterator_traitsISZ_E10value_typeET2_T3_PNS10_IS15_E10value_typeET4_jRbjT5_S1B_jjP12ihipStream_tbEUljE_ZNSN_ISO_Lb1ESQ_SR_SQ_SR_SV_EESW_SX_SY_SZ_S13_S14_S15_S18_S19_jS1A_jS1B_S1B_jjS1D_bEUljE0_EEESW_SX_SY_S15_S19_S1B_T6_T7_T9_mT8_S1D_bDpT10_ENKUlT_T0_E_clISt17integral_constantIbLb1EES1R_EEDaS1M_S1N_EUlS1M_E_NS1_11comp_targetILNS1_3genE9ELNS1_11target_archE1100ELNS1_3gpuE3ELNS1_3repE0EEENS1_30default_config_static_selectorELNS0_4arch9wavefront6targetE0EEEvSZ_, .Lfunc_end650-_ZN7rocprim17ROCPRIM_400000_NS6detail17trampoline_kernelINS0_13select_configILj256ELj13ELNS0_17block_load_methodE3ELS4_3ELS4_3ELNS0_20block_scan_algorithmE0ELj4294967295EEENS1_25partition_config_selectorILNS1_17partition_subalgoE4EjNS0_10empty_typeEbEEZZNS1_14partition_implILS8_4ELb0ES6_15HIP_vector_typeIjLj2EENS0_17counting_iteratorIjlEEPS9_SG_NS0_5tupleIJPjSI_NS0_16reverse_iteratorISI_EEEEENSH_IJSG_SG_SG_EEES9_SI_JZNS1_25segmented_radix_sort_implINS0_14default_configELb1EPKlPlSQ_SR_N2at6native12_GLOBAL__N_18offset_tEEE10hipError_tPvRmT1_PNSt15iterator_traitsISZ_E10value_typeET2_T3_PNS10_IS15_E10value_typeET4_jRbjT5_S1B_jjP12ihipStream_tbEUljE_ZNSN_ISO_Lb1ESQ_SR_SQ_SR_SV_EESW_SX_SY_SZ_S13_S14_S15_S18_S19_jS1A_jS1B_S1B_jjS1D_bEUljE0_EEESW_SX_SY_S15_S19_S1B_T6_T7_T9_mT8_S1D_bDpT10_ENKUlT_T0_E_clISt17integral_constantIbLb1EES1R_EEDaS1M_S1N_EUlS1M_E_NS1_11comp_targetILNS1_3genE9ELNS1_11target_archE1100ELNS1_3gpuE3ELNS1_3repE0EEENS1_30default_config_static_selectorELNS0_4arch9wavefront6targetE0EEEvSZ_
                                        ; -- End function
	.set _ZN7rocprim17ROCPRIM_400000_NS6detail17trampoline_kernelINS0_13select_configILj256ELj13ELNS0_17block_load_methodE3ELS4_3ELS4_3ELNS0_20block_scan_algorithmE0ELj4294967295EEENS1_25partition_config_selectorILNS1_17partition_subalgoE4EjNS0_10empty_typeEbEEZZNS1_14partition_implILS8_4ELb0ES6_15HIP_vector_typeIjLj2EENS0_17counting_iteratorIjlEEPS9_SG_NS0_5tupleIJPjSI_NS0_16reverse_iteratorISI_EEEEENSH_IJSG_SG_SG_EEES9_SI_JZNS1_25segmented_radix_sort_implINS0_14default_configELb1EPKlPlSQ_SR_N2at6native12_GLOBAL__N_18offset_tEEE10hipError_tPvRmT1_PNSt15iterator_traitsISZ_E10value_typeET2_T3_PNS10_IS15_E10value_typeET4_jRbjT5_S1B_jjP12ihipStream_tbEUljE_ZNSN_ISO_Lb1ESQ_SR_SQ_SR_SV_EESW_SX_SY_SZ_S13_S14_S15_S18_S19_jS1A_jS1B_S1B_jjS1D_bEUljE0_EEESW_SX_SY_S15_S19_S1B_T6_T7_T9_mT8_S1D_bDpT10_ENKUlT_T0_E_clISt17integral_constantIbLb1EES1R_EEDaS1M_S1N_EUlS1M_E_NS1_11comp_targetILNS1_3genE9ELNS1_11target_archE1100ELNS1_3gpuE3ELNS1_3repE0EEENS1_30default_config_static_selectorELNS0_4arch9wavefront6targetE0EEEvSZ_.num_vgpr, 0
	.set _ZN7rocprim17ROCPRIM_400000_NS6detail17trampoline_kernelINS0_13select_configILj256ELj13ELNS0_17block_load_methodE3ELS4_3ELS4_3ELNS0_20block_scan_algorithmE0ELj4294967295EEENS1_25partition_config_selectorILNS1_17partition_subalgoE4EjNS0_10empty_typeEbEEZZNS1_14partition_implILS8_4ELb0ES6_15HIP_vector_typeIjLj2EENS0_17counting_iteratorIjlEEPS9_SG_NS0_5tupleIJPjSI_NS0_16reverse_iteratorISI_EEEEENSH_IJSG_SG_SG_EEES9_SI_JZNS1_25segmented_radix_sort_implINS0_14default_configELb1EPKlPlSQ_SR_N2at6native12_GLOBAL__N_18offset_tEEE10hipError_tPvRmT1_PNSt15iterator_traitsISZ_E10value_typeET2_T3_PNS10_IS15_E10value_typeET4_jRbjT5_S1B_jjP12ihipStream_tbEUljE_ZNSN_ISO_Lb1ESQ_SR_SQ_SR_SV_EESW_SX_SY_SZ_S13_S14_S15_S18_S19_jS1A_jS1B_S1B_jjS1D_bEUljE0_EEESW_SX_SY_S15_S19_S1B_T6_T7_T9_mT8_S1D_bDpT10_ENKUlT_T0_E_clISt17integral_constantIbLb1EES1R_EEDaS1M_S1N_EUlS1M_E_NS1_11comp_targetILNS1_3genE9ELNS1_11target_archE1100ELNS1_3gpuE3ELNS1_3repE0EEENS1_30default_config_static_selectorELNS0_4arch9wavefront6targetE0EEEvSZ_.num_agpr, 0
	.set _ZN7rocprim17ROCPRIM_400000_NS6detail17trampoline_kernelINS0_13select_configILj256ELj13ELNS0_17block_load_methodE3ELS4_3ELS4_3ELNS0_20block_scan_algorithmE0ELj4294967295EEENS1_25partition_config_selectorILNS1_17partition_subalgoE4EjNS0_10empty_typeEbEEZZNS1_14partition_implILS8_4ELb0ES6_15HIP_vector_typeIjLj2EENS0_17counting_iteratorIjlEEPS9_SG_NS0_5tupleIJPjSI_NS0_16reverse_iteratorISI_EEEEENSH_IJSG_SG_SG_EEES9_SI_JZNS1_25segmented_radix_sort_implINS0_14default_configELb1EPKlPlSQ_SR_N2at6native12_GLOBAL__N_18offset_tEEE10hipError_tPvRmT1_PNSt15iterator_traitsISZ_E10value_typeET2_T3_PNS10_IS15_E10value_typeET4_jRbjT5_S1B_jjP12ihipStream_tbEUljE_ZNSN_ISO_Lb1ESQ_SR_SQ_SR_SV_EESW_SX_SY_SZ_S13_S14_S15_S18_S19_jS1A_jS1B_S1B_jjS1D_bEUljE0_EEESW_SX_SY_S15_S19_S1B_T6_T7_T9_mT8_S1D_bDpT10_ENKUlT_T0_E_clISt17integral_constantIbLb1EES1R_EEDaS1M_S1N_EUlS1M_E_NS1_11comp_targetILNS1_3genE9ELNS1_11target_archE1100ELNS1_3gpuE3ELNS1_3repE0EEENS1_30default_config_static_selectorELNS0_4arch9wavefront6targetE0EEEvSZ_.numbered_sgpr, 0
	.set _ZN7rocprim17ROCPRIM_400000_NS6detail17trampoline_kernelINS0_13select_configILj256ELj13ELNS0_17block_load_methodE3ELS4_3ELS4_3ELNS0_20block_scan_algorithmE0ELj4294967295EEENS1_25partition_config_selectorILNS1_17partition_subalgoE4EjNS0_10empty_typeEbEEZZNS1_14partition_implILS8_4ELb0ES6_15HIP_vector_typeIjLj2EENS0_17counting_iteratorIjlEEPS9_SG_NS0_5tupleIJPjSI_NS0_16reverse_iteratorISI_EEEEENSH_IJSG_SG_SG_EEES9_SI_JZNS1_25segmented_radix_sort_implINS0_14default_configELb1EPKlPlSQ_SR_N2at6native12_GLOBAL__N_18offset_tEEE10hipError_tPvRmT1_PNSt15iterator_traitsISZ_E10value_typeET2_T3_PNS10_IS15_E10value_typeET4_jRbjT5_S1B_jjP12ihipStream_tbEUljE_ZNSN_ISO_Lb1ESQ_SR_SQ_SR_SV_EESW_SX_SY_SZ_S13_S14_S15_S18_S19_jS1A_jS1B_S1B_jjS1D_bEUljE0_EEESW_SX_SY_S15_S19_S1B_T6_T7_T9_mT8_S1D_bDpT10_ENKUlT_T0_E_clISt17integral_constantIbLb1EES1R_EEDaS1M_S1N_EUlS1M_E_NS1_11comp_targetILNS1_3genE9ELNS1_11target_archE1100ELNS1_3gpuE3ELNS1_3repE0EEENS1_30default_config_static_selectorELNS0_4arch9wavefront6targetE0EEEvSZ_.num_named_barrier, 0
	.set _ZN7rocprim17ROCPRIM_400000_NS6detail17trampoline_kernelINS0_13select_configILj256ELj13ELNS0_17block_load_methodE3ELS4_3ELS4_3ELNS0_20block_scan_algorithmE0ELj4294967295EEENS1_25partition_config_selectorILNS1_17partition_subalgoE4EjNS0_10empty_typeEbEEZZNS1_14partition_implILS8_4ELb0ES6_15HIP_vector_typeIjLj2EENS0_17counting_iteratorIjlEEPS9_SG_NS0_5tupleIJPjSI_NS0_16reverse_iteratorISI_EEEEENSH_IJSG_SG_SG_EEES9_SI_JZNS1_25segmented_radix_sort_implINS0_14default_configELb1EPKlPlSQ_SR_N2at6native12_GLOBAL__N_18offset_tEEE10hipError_tPvRmT1_PNSt15iterator_traitsISZ_E10value_typeET2_T3_PNS10_IS15_E10value_typeET4_jRbjT5_S1B_jjP12ihipStream_tbEUljE_ZNSN_ISO_Lb1ESQ_SR_SQ_SR_SV_EESW_SX_SY_SZ_S13_S14_S15_S18_S19_jS1A_jS1B_S1B_jjS1D_bEUljE0_EEESW_SX_SY_S15_S19_S1B_T6_T7_T9_mT8_S1D_bDpT10_ENKUlT_T0_E_clISt17integral_constantIbLb1EES1R_EEDaS1M_S1N_EUlS1M_E_NS1_11comp_targetILNS1_3genE9ELNS1_11target_archE1100ELNS1_3gpuE3ELNS1_3repE0EEENS1_30default_config_static_selectorELNS0_4arch9wavefront6targetE0EEEvSZ_.private_seg_size, 0
	.set _ZN7rocprim17ROCPRIM_400000_NS6detail17trampoline_kernelINS0_13select_configILj256ELj13ELNS0_17block_load_methodE3ELS4_3ELS4_3ELNS0_20block_scan_algorithmE0ELj4294967295EEENS1_25partition_config_selectorILNS1_17partition_subalgoE4EjNS0_10empty_typeEbEEZZNS1_14partition_implILS8_4ELb0ES6_15HIP_vector_typeIjLj2EENS0_17counting_iteratorIjlEEPS9_SG_NS0_5tupleIJPjSI_NS0_16reverse_iteratorISI_EEEEENSH_IJSG_SG_SG_EEES9_SI_JZNS1_25segmented_radix_sort_implINS0_14default_configELb1EPKlPlSQ_SR_N2at6native12_GLOBAL__N_18offset_tEEE10hipError_tPvRmT1_PNSt15iterator_traitsISZ_E10value_typeET2_T3_PNS10_IS15_E10value_typeET4_jRbjT5_S1B_jjP12ihipStream_tbEUljE_ZNSN_ISO_Lb1ESQ_SR_SQ_SR_SV_EESW_SX_SY_SZ_S13_S14_S15_S18_S19_jS1A_jS1B_S1B_jjS1D_bEUljE0_EEESW_SX_SY_S15_S19_S1B_T6_T7_T9_mT8_S1D_bDpT10_ENKUlT_T0_E_clISt17integral_constantIbLb1EES1R_EEDaS1M_S1N_EUlS1M_E_NS1_11comp_targetILNS1_3genE9ELNS1_11target_archE1100ELNS1_3gpuE3ELNS1_3repE0EEENS1_30default_config_static_selectorELNS0_4arch9wavefront6targetE0EEEvSZ_.uses_vcc, 0
	.set _ZN7rocprim17ROCPRIM_400000_NS6detail17trampoline_kernelINS0_13select_configILj256ELj13ELNS0_17block_load_methodE3ELS4_3ELS4_3ELNS0_20block_scan_algorithmE0ELj4294967295EEENS1_25partition_config_selectorILNS1_17partition_subalgoE4EjNS0_10empty_typeEbEEZZNS1_14partition_implILS8_4ELb0ES6_15HIP_vector_typeIjLj2EENS0_17counting_iteratorIjlEEPS9_SG_NS0_5tupleIJPjSI_NS0_16reverse_iteratorISI_EEEEENSH_IJSG_SG_SG_EEES9_SI_JZNS1_25segmented_radix_sort_implINS0_14default_configELb1EPKlPlSQ_SR_N2at6native12_GLOBAL__N_18offset_tEEE10hipError_tPvRmT1_PNSt15iterator_traitsISZ_E10value_typeET2_T3_PNS10_IS15_E10value_typeET4_jRbjT5_S1B_jjP12ihipStream_tbEUljE_ZNSN_ISO_Lb1ESQ_SR_SQ_SR_SV_EESW_SX_SY_SZ_S13_S14_S15_S18_S19_jS1A_jS1B_S1B_jjS1D_bEUljE0_EEESW_SX_SY_S15_S19_S1B_T6_T7_T9_mT8_S1D_bDpT10_ENKUlT_T0_E_clISt17integral_constantIbLb1EES1R_EEDaS1M_S1N_EUlS1M_E_NS1_11comp_targetILNS1_3genE9ELNS1_11target_archE1100ELNS1_3gpuE3ELNS1_3repE0EEENS1_30default_config_static_selectorELNS0_4arch9wavefront6targetE0EEEvSZ_.uses_flat_scratch, 0
	.set _ZN7rocprim17ROCPRIM_400000_NS6detail17trampoline_kernelINS0_13select_configILj256ELj13ELNS0_17block_load_methodE3ELS4_3ELS4_3ELNS0_20block_scan_algorithmE0ELj4294967295EEENS1_25partition_config_selectorILNS1_17partition_subalgoE4EjNS0_10empty_typeEbEEZZNS1_14partition_implILS8_4ELb0ES6_15HIP_vector_typeIjLj2EENS0_17counting_iteratorIjlEEPS9_SG_NS0_5tupleIJPjSI_NS0_16reverse_iteratorISI_EEEEENSH_IJSG_SG_SG_EEES9_SI_JZNS1_25segmented_radix_sort_implINS0_14default_configELb1EPKlPlSQ_SR_N2at6native12_GLOBAL__N_18offset_tEEE10hipError_tPvRmT1_PNSt15iterator_traitsISZ_E10value_typeET2_T3_PNS10_IS15_E10value_typeET4_jRbjT5_S1B_jjP12ihipStream_tbEUljE_ZNSN_ISO_Lb1ESQ_SR_SQ_SR_SV_EESW_SX_SY_SZ_S13_S14_S15_S18_S19_jS1A_jS1B_S1B_jjS1D_bEUljE0_EEESW_SX_SY_S15_S19_S1B_T6_T7_T9_mT8_S1D_bDpT10_ENKUlT_T0_E_clISt17integral_constantIbLb1EES1R_EEDaS1M_S1N_EUlS1M_E_NS1_11comp_targetILNS1_3genE9ELNS1_11target_archE1100ELNS1_3gpuE3ELNS1_3repE0EEENS1_30default_config_static_selectorELNS0_4arch9wavefront6targetE0EEEvSZ_.has_dyn_sized_stack, 0
	.set _ZN7rocprim17ROCPRIM_400000_NS6detail17trampoline_kernelINS0_13select_configILj256ELj13ELNS0_17block_load_methodE3ELS4_3ELS4_3ELNS0_20block_scan_algorithmE0ELj4294967295EEENS1_25partition_config_selectorILNS1_17partition_subalgoE4EjNS0_10empty_typeEbEEZZNS1_14partition_implILS8_4ELb0ES6_15HIP_vector_typeIjLj2EENS0_17counting_iteratorIjlEEPS9_SG_NS0_5tupleIJPjSI_NS0_16reverse_iteratorISI_EEEEENSH_IJSG_SG_SG_EEES9_SI_JZNS1_25segmented_radix_sort_implINS0_14default_configELb1EPKlPlSQ_SR_N2at6native12_GLOBAL__N_18offset_tEEE10hipError_tPvRmT1_PNSt15iterator_traitsISZ_E10value_typeET2_T3_PNS10_IS15_E10value_typeET4_jRbjT5_S1B_jjP12ihipStream_tbEUljE_ZNSN_ISO_Lb1ESQ_SR_SQ_SR_SV_EESW_SX_SY_SZ_S13_S14_S15_S18_S19_jS1A_jS1B_S1B_jjS1D_bEUljE0_EEESW_SX_SY_S15_S19_S1B_T6_T7_T9_mT8_S1D_bDpT10_ENKUlT_T0_E_clISt17integral_constantIbLb1EES1R_EEDaS1M_S1N_EUlS1M_E_NS1_11comp_targetILNS1_3genE9ELNS1_11target_archE1100ELNS1_3gpuE3ELNS1_3repE0EEENS1_30default_config_static_selectorELNS0_4arch9wavefront6targetE0EEEvSZ_.has_recursion, 0
	.set _ZN7rocprim17ROCPRIM_400000_NS6detail17trampoline_kernelINS0_13select_configILj256ELj13ELNS0_17block_load_methodE3ELS4_3ELS4_3ELNS0_20block_scan_algorithmE0ELj4294967295EEENS1_25partition_config_selectorILNS1_17partition_subalgoE4EjNS0_10empty_typeEbEEZZNS1_14partition_implILS8_4ELb0ES6_15HIP_vector_typeIjLj2EENS0_17counting_iteratorIjlEEPS9_SG_NS0_5tupleIJPjSI_NS0_16reverse_iteratorISI_EEEEENSH_IJSG_SG_SG_EEES9_SI_JZNS1_25segmented_radix_sort_implINS0_14default_configELb1EPKlPlSQ_SR_N2at6native12_GLOBAL__N_18offset_tEEE10hipError_tPvRmT1_PNSt15iterator_traitsISZ_E10value_typeET2_T3_PNS10_IS15_E10value_typeET4_jRbjT5_S1B_jjP12ihipStream_tbEUljE_ZNSN_ISO_Lb1ESQ_SR_SQ_SR_SV_EESW_SX_SY_SZ_S13_S14_S15_S18_S19_jS1A_jS1B_S1B_jjS1D_bEUljE0_EEESW_SX_SY_S15_S19_S1B_T6_T7_T9_mT8_S1D_bDpT10_ENKUlT_T0_E_clISt17integral_constantIbLb1EES1R_EEDaS1M_S1N_EUlS1M_E_NS1_11comp_targetILNS1_3genE9ELNS1_11target_archE1100ELNS1_3gpuE3ELNS1_3repE0EEENS1_30default_config_static_selectorELNS0_4arch9wavefront6targetE0EEEvSZ_.has_indirect_call, 0
	.section	.AMDGPU.csdata,"",@progbits
; Kernel info:
; codeLenInByte = 0
; TotalNumSgprs: 0
; NumVgprs: 0
; ScratchSize: 0
; MemoryBound: 0
; FloatMode: 240
; IeeeMode: 1
; LDSByteSize: 0 bytes/workgroup (compile time only)
; SGPRBlocks: 0
; VGPRBlocks: 0
; NumSGPRsForWavesPerEU: 1
; NumVGPRsForWavesPerEU: 1
; NamedBarCnt: 0
; Occupancy: 16
; WaveLimiterHint : 0
; COMPUTE_PGM_RSRC2:SCRATCH_EN: 0
; COMPUTE_PGM_RSRC2:USER_SGPR: 2
; COMPUTE_PGM_RSRC2:TRAP_HANDLER: 0
; COMPUTE_PGM_RSRC2:TGID_X_EN: 1
; COMPUTE_PGM_RSRC2:TGID_Y_EN: 0
; COMPUTE_PGM_RSRC2:TGID_Z_EN: 0
; COMPUTE_PGM_RSRC2:TIDIG_COMP_CNT: 0
	.section	.text._ZN7rocprim17ROCPRIM_400000_NS6detail17trampoline_kernelINS0_13select_configILj256ELj13ELNS0_17block_load_methodE3ELS4_3ELS4_3ELNS0_20block_scan_algorithmE0ELj4294967295EEENS1_25partition_config_selectorILNS1_17partition_subalgoE4EjNS0_10empty_typeEbEEZZNS1_14partition_implILS8_4ELb0ES6_15HIP_vector_typeIjLj2EENS0_17counting_iteratorIjlEEPS9_SG_NS0_5tupleIJPjSI_NS0_16reverse_iteratorISI_EEEEENSH_IJSG_SG_SG_EEES9_SI_JZNS1_25segmented_radix_sort_implINS0_14default_configELb1EPKlPlSQ_SR_N2at6native12_GLOBAL__N_18offset_tEEE10hipError_tPvRmT1_PNSt15iterator_traitsISZ_E10value_typeET2_T3_PNS10_IS15_E10value_typeET4_jRbjT5_S1B_jjP12ihipStream_tbEUljE_ZNSN_ISO_Lb1ESQ_SR_SQ_SR_SV_EESW_SX_SY_SZ_S13_S14_S15_S18_S19_jS1A_jS1B_S1B_jjS1D_bEUljE0_EEESW_SX_SY_S15_S19_S1B_T6_T7_T9_mT8_S1D_bDpT10_ENKUlT_T0_E_clISt17integral_constantIbLb1EES1R_EEDaS1M_S1N_EUlS1M_E_NS1_11comp_targetILNS1_3genE8ELNS1_11target_archE1030ELNS1_3gpuE2ELNS1_3repE0EEENS1_30default_config_static_selectorELNS0_4arch9wavefront6targetE0EEEvSZ_,"axG",@progbits,_ZN7rocprim17ROCPRIM_400000_NS6detail17trampoline_kernelINS0_13select_configILj256ELj13ELNS0_17block_load_methodE3ELS4_3ELS4_3ELNS0_20block_scan_algorithmE0ELj4294967295EEENS1_25partition_config_selectorILNS1_17partition_subalgoE4EjNS0_10empty_typeEbEEZZNS1_14partition_implILS8_4ELb0ES6_15HIP_vector_typeIjLj2EENS0_17counting_iteratorIjlEEPS9_SG_NS0_5tupleIJPjSI_NS0_16reverse_iteratorISI_EEEEENSH_IJSG_SG_SG_EEES9_SI_JZNS1_25segmented_radix_sort_implINS0_14default_configELb1EPKlPlSQ_SR_N2at6native12_GLOBAL__N_18offset_tEEE10hipError_tPvRmT1_PNSt15iterator_traitsISZ_E10value_typeET2_T3_PNS10_IS15_E10value_typeET4_jRbjT5_S1B_jjP12ihipStream_tbEUljE_ZNSN_ISO_Lb1ESQ_SR_SQ_SR_SV_EESW_SX_SY_SZ_S13_S14_S15_S18_S19_jS1A_jS1B_S1B_jjS1D_bEUljE0_EEESW_SX_SY_S15_S19_S1B_T6_T7_T9_mT8_S1D_bDpT10_ENKUlT_T0_E_clISt17integral_constantIbLb1EES1R_EEDaS1M_S1N_EUlS1M_E_NS1_11comp_targetILNS1_3genE8ELNS1_11target_archE1030ELNS1_3gpuE2ELNS1_3repE0EEENS1_30default_config_static_selectorELNS0_4arch9wavefront6targetE0EEEvSZ_,comdat
	.globl	_ZN7rocprim17ROCPRIM_400000_NS6detail17trampoline_kernelINS0_13select_configILj256ELj13ELNS0_17block_load_methodE3ELS4_3ELS4_3ELNS0_20block_scan_algorithmE0ELj4294967295EEENS1_25partition_config_selectorILNS1_17partition_subalgoE4EjNS0_10empty_typeEbEEZZNS1_14partition_implILS8_4ELb0ES6_15HIP_vector_typeIjLj2EENS0_17counting_iteratorIjlEEPS9_SG_NS0_5tupleIJPjSI_NS0_16reverse_iteratorISI_EEEEENSH_IJSG_SG_SG_EEES9_SI_JZNS1_25segmented_radix_sort_implINS0_14default_configELb1EPKlPlSQ_SR_N2at6native12_GLOBAL__N_18offset_tEEE10hipError_tPvRmT1_PNSt15iterator_traitsISZ_E10value_typeET2_T3_PNS10_IS15_E10value_typeET4_jRbjT5_S1B_jjP12ihipStream_tbEUljE_ZNSN_ISO_Lb1ESQ_SR_SQ_SR_SV_EESW_SX_SY_SZ_S13_S14_S15_S18_S19_jS1A_jS1B_S1B_jjS1D_bEUljE0_EEESW_SX_SY_S15_S19_S1B_T6_T7_T9_mT8_S1D_bDpT10_ENKUlT_T0_E_clISt17integral_constantIbLb1EES1R_EEDaS1M_S1N_EUlS1M_E_NS1_11comp_targetILNS1_3genE8ELNS1_11target_archE1030ELNS1_3gpuE2ELNS1_3repE0EEENS1_30default_config_static_selectorELNS0_4arch9wavefront6targetE0EEEvSZ_ ; -- Begin function _ZN7rocprim17ROCPRIM_400000_NS6detail17trampoline_kernelINS0_13select_configILj256ELj13ELNS0_17block_load_methodE3ELS4_3ELS4_3ELNS0_20block_scan_algorithmE0ELj4294967295EEENS1_25partition_config_selectorILNS1_17partition_subalgoE4EjNS0_10empty_typeEbEEZZNS1_14partition_implILS8_4ELb0ES6_15HIP_vector_typeIjLj2EENS0_17counting_iteratorIjlEEPS9_SG_NS0_5tupleIJPjSI_NS0_16reverse_iteratorISI_EEEEENSH_IJSG_SG_SG_EEES9_SI_JZNS1_25segmented_radix_sort_implINS0_14default_configELb1EPKlPlSQ_SR_N2at6native12_GLOBAL__N_18offset_tEEE10hipError_tPvRmT1_PNSt15iterator_traitsISZ_E10value_typeET2_T3_PNS10_IS15_E10value_typeET4_jRbjT5_S1B_jjP12ihipStream_tbEUljE_ZNSN_ISO_Lb1ESQ_SR_SQ_SR_SV_EESW_SX_SY_SZ_S13_S14_S15_S18_S19_jS1A_jS1B_S1B_jjS1D_bEUljE0_EEESW_SX_SY_S15_S19_S1B_T6_T7_T9_mT8_S1D_bDpT10_ENKUlT_T0_E_clISt17integral_constantIbLb1EES1R_EEDaS1M_S1N_EUlS1M_E_NS1_11comp_targetILNS1_3genE8ELNS1_11target_archE1030ELNS1_3gpuE2ELNS1_3repE0EEENS1_30default_config_static_selectorELNS0_4arch9wavefront6targetE0EEEvSZ_
	.p2align	8
	.type	_ZN7rocprim17ROCPRIM_400000_NS6detail17trampoline_kernelINS0_13select_configILj256ELj13ELNS0_17block_load_methodE3ELS4_3ELS4_3ELNS0_20block_scan_algorithmE0ELj4294967295EEENS1_25partition_config_selectorILNS1_17partition_subalgoE4EjNS0_10empty_typeEbEEZZNS1_14partition_implILS8_4ELb0ES6_15HIP_vector_typeIjLj2EENS0_17counting_iteratorIjlEEPS9_SG_NS0_5tupleIJPjSI_NS0_16reverse_iteratorISI_EEEEENSH_IJSG_SG_SG_EEES9_SI_JZNS1_25segmented_radix_sort_implINS0_14default_configELb1EPKlPlSQ_SR_N2at6native12_GLOBAL__N_18offset_tEEE10hipError_tPvRmT1_PNSt15iterator_traitsISZ_E10value_typeET2_T3_PNS10_IS15_E10value_typeET4_jRbjT5_S1B_jjP12ihipStream_tbEUljE_ZNSN_ISO_Lb1ESQ_SR_SQ_SR_SV_EESW_SX_SY_SZ_S13_S14_S15_S18_S19_jS1A_jS1B_S1B_jjS1D_bEUljE0_EEESW_SX_SY_S15_S19_S1B_T6_T7_T9_mT8_S1D_bDpT10_ENKUlT_T0_E_clISt17integral_constantIbLb1EES1R_EEDaS1M_S1N_EUlS1M_E_NS1_11comp_targetILNS1_3genE8ELNS1_11target_archE1030ELNS1_3gpuE2ELNS1_3repE0EEENS1_30default_config_static_selectorELNS0_4arch9wavefront6targetE0EEEvSZ_,@function
_ZN7rocprim17ROCPRIM_400000_NS6detail17trampoline_kernelINS0_13select_configILj256ELj13ELNS0_17block_load_methodE3ELS4_3ELS4_3ELNS0_20block_scan_algorithmE0ELj4294967295EEENS1_25partition_config_selectorILNS1_17partition_subalgoE4EjNS0_10empty_typeEbEEZZNS1_14partition_implILS8_4ELb0ES6_15HIP_vector_typeIjLj2EENS0_17counting_iteratorIjlEEPS9_SG_NS0_5tupleIJPjSI_NS0_16reverse_iteratorISI_EEEEENSH_IJSG_SG_SG_EEES9_SI_JZNS1_25segmented_radix_sort_implINS0_14default_configELb1EPKlPlSQ_SR_N2at6native12_GLOBAL__N_18offset_tEEE10hipError_tPvRmT1_PNSt15iterator_traitsISZ_E10value_typeET2_T3_PNS10_IS15_E10value_typeET4_jRbjT5_S1B_jjP12ihipStream_tbEUljE_ZNSN_ISO_Lb1ESQ_SR_SQ_SR_SV_EESW_SX_SY_SZ_S13_S14_S15_S18_S19_jS1A_jS1B_S1B_jjS1D_bEUljE0_EEESW_SX_SY_S15_S19_S1B_T6_T7_T9_mT8_S1D_bDpT10_ENKUlT_T0_E_clISt17integral_constantIbLb1EES1R_EEDaS1M_S1N_EUlS1M_E_NS1_11comp_targetILNS1_3genE8ELNS1_11target_archE1030ELNS1_3gpuE2ELNS1_3repE0EEENS1_30default_config_static_selectorELNS0_4arch9wavefront6targetE0EEEvSZ_: ; @_ZN7rocprim17ROCPRIM_400000_NS6detail17trampoline_kernelINS0_13select_configILj256ELj13ELNS0_17block_load_methodE3ELS4_3ELS4_3ELNS0_20block_scan_algorithmE0ELj4294967295EEENS1_25partition_config_selectorILNS1_17partition_subalgoE4EjNS0_10empty_typeEbEEZZNS1_14partition_implILS8_4ELb0ES6_15HIP_vector_typeIjLj2EENS0_17counting_iteratorIjlEEPS9_SG_NS0_5tupleIJPjSI_NS0_16reverse_iteratorISI_EEEEENSH_IJSG_SG_SG_EEES9_SI_JZNS1_25segmented_radix_sort_implINS0_14default_configELb1EPKlPlSQ_SR_N2at6native12_GLOBAL__N_18offset_tEEE10hipError_tPvRmT1_PNSt15iterator_traitsISZ_E10value_typeET2_T3_PNS10_IS15_E10value_typeET4_jRbjT5_S1B_jjP12ihipStream_tbEUljE_ZNSN_ISO_Lb1ESQ_SR_SQ_SR_SV_EESW_SX_SY_SZ_S13_S14_S15_S18_S19_jS1A_jS1B_S1B_jjS1D_bEUljE0_EEESW_SX_SY_S15_S19_S1B_T6_T7_T9_mT8_S1D_bDpT10_ENKUlT_T0_E_clISt17integral_constantIbLb1EES1R_EEDaS1M_S1N_EUlS1M_E_NS1_11comp_targetILNS1_3genE8ELNS1_11target_archE1030ELNS1_3gpuE2ELNS1_3repE0EEENS1_30default_config_static_selectorELNS0_4arch9wavefront6targetE0EEEvSZ_
; %bb.0:
	.section	.rodata,"a",@progbits
	.p2align	6, 0x0
	.amdhsa_kernel _ZN7rocprim17ROCPRIM_400000_NS6detail17trampoline_kernelINS0_13select_configILj256ELj13ELNS0_17block_load_methodE3ELS4_3ELS4_3ELNS0_20block_scan_algorithmE0ELj4294967295EEENS1_25partition_config_selectorILNS1_17partition_subalgoE4EjNS0_10empty_typeEbEEZZNS1_14partition_implILS8_4ELb0ES6_15HIP_vector_typeIjLj2EENS0_17counting_iteratorIjlEEPS9_SG_NS0_5tupleIJPjSI_NS0_16reverse_iteratorISI_EEEEENSH_IJSG_SG_SG_EEES9_SI_JZNS1_25segmented_radix_sort_implINS0_14default_configELb1EPKlPlSQ_SR_N2at6native12_GLOBAL__N_18offset_tEEE10hipError_tPvRmT1_PNSt15iterator_traitsISZ_E10value_typeET2_T3_PNS10_IS15_E10value_typeET4_jRbjT5_S1B_jjP12ihipStream_tbEUljE_ZNSN_ISO_Lb1ESQ_SR_SQ_SR_SV_EESW_SX_SY_SZ_S13_S14_S15_S18_S19_jS1A_jS1B_S1B_jjS1D_bEUljE0_EEESW_SX_SY_S15_S19_S1B_T6_T7_T9_mT8_S1D_bDpT10_ENKUlT_T0_E_clISt17integral_constantIbLb1EES1R_EEDaS1M_S1N_EUlS1M_E_NS1_11comp_targetILNS1_3genE8ELNS1_11target_archE1030ELNS1_3gpuE2ELNS1_3repE0EEENS1_30default_config_static_selectorELNS0_4arch9wavefront6targetE0EEEvSZ_
		.amdhsa_group_segment_fixed_size 0
		.amdhsa_private_segment_fixed_size 0
		.amdhsa_kernarg_size 184
		.amdhsa_user_sgpr_count 2
		.amdhsa_user_sgpr_dispatch_ptr 0
		.amdhsa_user_sgpr_queue_ptr 0
		.amdhsa_user_sgpr_kernarg_segment_ptr 1
		.amdhsa_user_sgpr_dispatch_id 0
		.amdhsa_user_sgpr_kernarg_preload_length 0
		.amdhsa_user_sgpr_kernarg_preload_offset 0
		.amdhsa_user_sgpr_private_segment_size 0
		.amdhsa_wavefront_size32 1
		.amdhsa_uses_dynamic_stack 0
		.amdhsa_enable_private_segment 0
		.amdhsa_system_sgpr_workgroup_id_x 1
		.amdhsa_system_sgpr_workgroup_id_y 0
		.amdhsa_system_sgpr_workgroup_id_z 0
		.amdhsa_system_sgpr_workgroup_info 0
		.amdhsa_system_vgpr_workitem_id 0
		.amdhsa_next_free_vgpr 1
		.amdhsa_next_free_sgpr 1
		.amdhsa_named_barrier_count 0
		.amdhsa_reserve_vcc 0
		.amdhsa_float_round_mode_32 0
		.amdhsa_float_round_mode_16_64 0
		.amdhsa_float_denorm_mode_32 3
		.amdhsa_float_denorm_mode_16_64 3
		.amdhsa_fp16_overflow 0
		.amdhsa_memory_ordered 1
		.amdhsa_forward_progress 1
		.amdhsa_inst_pref_size 0
		.amdhsa_round_robin_scheduling 0
		.amdhsa_exception_fp_ieee_invalid_op 0
		.amdhsa_exception_fp_denorm_src 0
		.amdhsa_exception_fp_ieee_div_zero 0
		.amdhsa_exception_fp_ieee_overflow 0
		.amdhsa_exception_fp_ieee_underflow 0
		.amdhsa_exception_fp_ieee_inexact 0
		.amdhsa_exception_int_div_zero 0
	.end_amdhsa_kernel
	.section	.text._ZN7rocprim17ROCPRIM_400000_NS6detail17trampoline_kernelINS0_13select_configILj256ELj13ELNS0_17block_load_methodE3ELS4_3ELS4_3ELNS0_20block_scan_algorithmE0ELj4294967295EEENS1_25partition_config_selectorILNS1_17partition_subalgoE4EjNS0_10empty_typeEbEEZZNS1_14partition_implILS8_4ELb0ES6_15HIP_vector_typeIjLj2EENS0_17counting_iteratorIjlEEPS9_SG_NS0_5tupleIJPjSI_NS0_16reverse_iteratorISI_EEEEENSH_IJSG_SG_SG_EEES9_SI_JZNS1_25segmented_radix_sort_implINS0_14default_configELb1EPKlPlSQ_SR_N2at6native12_GLOBAL__N_18offset_tEEE10hipError_tPvRmT1_PNSt15iterator_traitsISZ_E10value_typeET2_T3_PNS10_IS15_E10value_typeET4_jRbjT5_S1B_jjP12ihipStream_tbEUljE_ZNSN_ISO_Lb1ESQ_SR_SQ_SR_SV_EESW_SX_SY_SZ_S13_S14_S15_S18_S19_jS1A_jS1B_S1B_jjS1D_bEUljE0_EEESW_SX_SY_S15_S19_S1B_T6_T7_T9_mT8_S1D_bDpT10_ENKUlT_T0_E_clISt17integral_constantIbLb1EES1R_EEDaS1M_S1N_EUlS1M_E_NS1_11comp_targetILNS1_3genE8ELNS1_11target_archE1030ELNS1_3gpuE2ELNS1_3repE0EEENS1_30default_config_static_selectorELNS0_4arch9wavefront6targetE0EEEvSZ_,"axG",@progbits,_ZN7rocprim17ROCPRIM_400000_NS6detail17trampoline_kernelINS0_13select_configILj256ELj13ELNS0_17block_load_methodE3ELS4_3ELS4_3ELNS0_20block_scan_algorithmE0ELj4294967295EEENS1_25partition_config_selectorILNS1_17partition_subalgoE4EjNS0_10empty_typeEbEEZZNS1_14partition_implILS8_4ELb0ES6_15HIP_vector_typeIjLj2EENS0_17counting_iteratorIjlEEPS9_SG_NS0_5tupleIJPjSI_NS0_16reverse_iteratorISI_EEEEENSH_IJSG_SG_SG_EEES9_SI_JZNS1_25segmented_radix_sort_implINS0_14default_configELb1EPKlPlSQ_SR_N2at6native12_GLOBAL__N_18offset_tEEE10hipError_tPvRmT1_PNSt15iterator_traitsISZ_E10value_typeET2_T3_PNS10_IS15_E10value_typeET4_jRbjT5_S1B_jjP12ihipStream_tbEUljE_ZNSN_ISO_Lb1ESQ_SR_SQ_SR_SV_EESW_SX_SY_SZ_S13_S14_S15_S18_S19_jS1A_jS1B_S1B_jjS1D_bEUljE0_EEESW_SX_SY_S15_S19_S1B_T6_T7_T9_mT8_S1D_bDpT10_ENKUlT_T0_E_clISt17integral_constantIbLb1EES1R_EEDaS1M_S1N_EUlS1M_E_NS1_11comp_targetILNS1_3genE8ELNS1_11target_archE1030ELNS1_3gpuE2ELNS1_3repE0EEENS1_30default_config_static_selectorELNS0_4arch9wavefront6targetE0EEEvSZ_,comdat
.Lfunc_end651:
	.size	_ZN7rocprim17ROCPRIM_400000_NS6detail17trampoline_kernelINS0_13select_configILj256ELj13ELNS0_17block_load_methodE3ELS4_3ELS4_3ELNS0_20block_scan_algorithmE0ELj4294967295EEENS1_25partition_config_selectorILNS1_17partition_subalgoE4EjNS0_10empty_typeEbEEZZNS1_14partition_implILS8_4ELb0ES6_15HIP_vector_typeIjLj2EENS0_17counting_iteratorIjlEEPS9_SG_NS0_5tupleIJPjSI_NS0_16reverse_iteratorISI_EEEEENSH_IJSG_SG_SG_EEES9_SI_JZNS1_25segmented_radix_sort_implINS0_14default_configELb1EPKlPlSQ_SR_N2at6native12_GLOBAL__N_18offset_tEEE10hipError_tPvRmT1_PNSt15iterator_traitsISZ_E10value_typeET2_T3_PNS10_IS15_E10value_typeET4_jRbjT5_S1B_jjP12ihipStream_tbEUljE_ZNSN_ISO_Lb1ESQ_SR_SQ_SR_SV_EESW_SX_SY_SZ_S13_S14_S15_S18_S19_jS1A_jS1B_S1B_jjS1D_bEUljE0_EEESW_SX_SY_S15_S19_S1B_T6_T7_T9_mT8_S1D_bDpT10_ENKUlT_T0_E_clISt17integral_constantIbLb1EES1R_EEDaS1M_S1N_EUlS1M_E_NS1_11comp_targetILNS1_3genE8ELNS1_11target_archE1030ELNS1_3gpuE2ELNS1_3repE0EEENS1_30default_config_static_selectorELNS0_4arch9wavefront6targetE0EEEvSZ_, .Lfunc_end651-_ZN7rocprim17ROCPRIM_400000_NS6detail17trampoline_kernelINS0_13select_configILj256ELj13ELNS0_17block_load_methodE3ELS4_3ELS4_3ELNS0_20block_scan_algorithmE0ELj4294967295EEENS1_25partition_config_selectorILNS1_17partition_subalgoE4EjNS0_10empty_typeEbEEZZNS1_14partition_implILS8_4ELb0ES6_15HIP_vector_typeIjLj2EENS0_17counting_iteratorIjlEEPS9_SG_NS0_5tupleIJPjSI_NS0_16reverse_iteratorISI_EEEEENSH_IJSG_SG_SG_EEES9_SI_JZNS1_25segmented_radix_sort_implINS0_14default_configELb1EPKlPlSQ_SR_N2at6native12_GLOBAL__N_18offset_tEEE10hipError_tPvRmT1_PNSt15iterator_traitsISZ_E10value_typeET2_T3_PNS10_IS15_E10value_typeET4_jRbjT5_S1B_jjP12ihipStream_tbEUljE_ZNSN_ISO_Lb1ESQ_SR_SQ_SR_SV_EESW_SX_SY_SZ_S13_S14_S15_S18_S19_jS1A_jS1B_S1B_jjS1D_bEUljE0_EEESW_SX_SY_S15_S19_S1B_T6_T7_T9_mT8_S1D_bDpT10_ENKUlT_T0_E_clISt17integral_constantIbLb1EES1R_EEDaS1M_S1N_EUlS1M_E_NS1_11comp_targetILNS1_3genE8ELNS1_11target_archE1030ELNS1_3gpuE2ELNS1_3repE0EEENS1_30default_config_static_selectorELNS0_4arch9wavefront6targetE0EEEvSZ_
                                        ; -- End function
	.set _ZN7rocprim17ROCPRIM_400000_NS6detail17trampoline_kernelINS0_13select_configILj256ELj13ELNS0_17block_load_methodE3ELS4_3ELS4_3ELNS0_20block_scan_algorithmE0ELj4294967295EEENS1_25partition_config_selectorILNS1_17partition_subalgoE4EjNS0_10empty_typeEbEEZZNS1_14partition_implILS8_4ELb0ES6_15HIP_vector_typeIjLj2EENS0_17counting_iteratorIjlEEPS9_SG_NS0_5tupleIJPjSI_NS0_16reverse_iteratorISI_EEEEENSH_IJSG_SG_SG_EEES9_SI_JZNS1_25segmented_radix_sort_implINS0_14default_configELb1EPKlPlSQ_SR_N2at6native12_GLOBAL__N_18offset_tEEE10hipError_tPvRmT1_PNSt15iterator_traitsISZ_E10value_typeET2_T3_PNS10_IS15_E10value_typeET4_jRbjT5_S1B_jjP12ihipStream_tbEUljE_ZNSN_ISO_Lb1ESQ_SR_SQ_SR_SV_EESW_SX_SY_SZ_S13_S14_S15_S18_S19_jS1A_jS1B_S1B_jjS1D_bEUljE0_EEESW_SX_SY_S15_S19_S1B_T6_T7_T9_mT8_S1D_bDpT10_ENKUlT_T0_E_clISt17integral_constantIbLb1EES1R_EEDaS1M_S1N_EUlS1M_E_NS1_11comp_targetILNS1_3genE8ELNS1_11target_archE1030ELNS1_3gpuE2ELNS1_3repE0EEENS1_30default_config_static_selectorELNS0_4arch9wavefront6targetE0EEEvSZ_.num_vgpr, 0
	.set _ZN7rocprim17ROCPRIM_400000_NS6detail17trampoline_kernelINS0_13select_configILj256ELj13ELNS0_17block_load_methodE3ELS4_3ELS4_3ELNS0_20block_scan_algorithmE0ELj4294967295EEENS1_25partition_config_selectorILNS1_17partition_subalgoE4EjNS0_10empty_typeEbEEZZNS1_14partition_implILS8_4ELb0ES6_15HIP_vector_typeIjLj2EENS0_17counting_iteratorIjlEEPS9_SG_NS0_5tupleIJPjSI_NS0_16reverse_iteratorISI_EEEEENSH_IJSG_SG_SG_EEES9_SI_JZNS1_25segmented_radix_sort_implINS0_14default_configELb1EPKlPlSQ_SR_N2at6native12_GLOBAL__N_18offset_tEEE10hipError_tPvRmT1_PNSt15iterator_traitsISZ_E10value_typeET2_T3_PNS10_IS15_E10value_typeET4_jRbjT5_S1B_jjP12ihipStream_tbEUljE_ZNSN_ISO_Lb1ESQ_SR_SQ_SR_SV_EESW_SX_SY_SZ_S13_S14_S15_S18_S19_jS1A_jS1B_S1B_jjS1D_bEUljE0_EEESW_SX_SY_S15_S19_S1B_T6_T7_T9_mT8_S1D_bDpT10_ENKUlT_T0_E_clISt17integral_constantIbLb1EES1R_EEDaS1M_S1N_EUlS1M_E_NS1_11comp_targetILNS1_3genE8ELNS1_11target_archE1030ELNS1_3gpuE2ELNS1_3repE0EEENS1_30default_config_static_selectorELNS0_4arch9wavefront6targetE0EEEvSZ_.num_agpr, 0
	.set _ZN7rocprim17ROCPRIM_400000_NS6detail17trampoline_kernelINS0_13select_configILj256ELj13ELNS0_17block_load_methodE3ELS4_3ELS4_3ELNS0_20block_scan_algorithmE0ELj4294967295EEENS1_25partition_config_selectorILNS1_17partition_subalgoE4EjNS0_10empty_typeEbEEZZNS1_14partition_implILS8_4ELb0ES6_15HIP_vector_typeIjLj2EENS0_17counting_iteratorIjlEEPS9_SG_NS0_5tupleIJPjSI_NS0_16reverse_iteratorISI_EEEEENSH_IJSG_SG_SG_EEES9_SI_JZNS1_25segmented_radix_sort_implINS0_14default_configELb1EPKlPlSQ_SR_N2at6native12_GLOBAL__N_18offset_tEEE10hipError_tPvRmT1_PNSt15iterator_traitsISZ_E10value_typeET2_T3_PNS10_IS15_E10value_typeET4_jRbjT5_S1B_jjP12ihipStream_tbEUljE_ZNSN_ISO_Lb1ESQ_SR_SQ_SR_SV_EESW_SX_SY_SZ_S13_S14_S15_S18_S19_jS1A_jS1B_S1B_jjS1D_bEUljE0_EEESW_SX_SY_S15_S19_S1B_T6_T7_T9_mT8_S1D_bDpT10_ENKUlT_T0_E_clISt17integral_constantIbLb1EES1R_EEDaS1M_S1N_EUlS1M_E_NS1_11comp_targetILNS1_3genE8ELNS1_11target_archE1030ELNS1_3gpuE2ELNS1_3repE0EEENS1_30default_config_static_selectorELNS0_4arch9wavefront6targetE0EEEvSZ_.numbered_sgpr, 0
	.set _ZN7rocprim17ROCPRIM_400000_NS6detail17trampoline_kernelINS0_13select_configILj256ELj13ELNS0_17block_load_methodE3ELS4_3ELS4_3ELNS0_20block_scan_algorithmE0ELj4294967295EEENS1_25partition_config_selectorILNS1_17partition_subalgoE4EjNS0_10empty_typeEbEEZZNS1_14partition_implILS8_4ELb0ES6_15HIP_vector_typeIjLj2EENS0_17counting_iteratorIjlEEPS9_SG_NS0_5tupleIJPjSI_NS0_16reverse_iteratorISI_EEEEENSH_IJSG_SG_SG_EEES9_SI_JZNS1_25segmented_radix_sort_implINS0_14default_configELb1EPKlPlSQ_SR_N2at6native12_GLOBAL__N_18offset_tEEE10hipError_tPvRmT1_PNSt15iterator_traitsISZ_E10value_typeET2_T3_PNS10_IS15_E10value_typeET4_jRbjT5_S1B_jjP12ihipStream_tbEUljE_ZNSN_ISO_Lb1ESQ_SR_SQ_SR_SV_EESW_SX_SY_SZ_S13_S14_S15_S18_S19_jS1A_jS1B_S1B_jjS1D_bEUljE0_EEESW_SX_SY_S15_S19_S1B_T6_T7_T9_mT8_S1D_bDpT10_ENKUlT_T0_E_clISt17integral_constantIbLb1EES1R_EEDaS1M_S1N_EUlS1M_E_NS1_11comp_targetILNS1_3genE8ELNS1_11target_archE1030ELNS1_3gpuE2ELNS1_3repE0EEENS1_30default_config_static_selectorELNS0_4arch9wavefront6targetE0EEEvSZ_.num_named_barrier, 0
	.set _ZN7rocprim17ROCPRIM_400000_NS6detail17trampoline_kernelINS0_13select_configILj256ELj13ELNS0_17block_load_methodE3ELS4_3ELS4_3ELNS0_20block_scan_algorithmE0ELj4294967295EEENS1_25partition_config_selectorILNS1_17partition_subalgoE4EjNS0_10empty_typeEbEEZZNS1_14partition_implILS8_4ELb0ES6_15HIP_vector_typeIjLj2EENS0_17counting_iteratorIjlEEPS9_SG_NS0_5tupleIJPjSI_NS0_16reverse_iteratorISI_EEEEENSH_IJSG_SG_SG_EEES9_SI_JZNS1_25segmented_radix_sort_implINS0_14default_configELb1EPKlPlSQ_SR_N2at6native12_GLOBAL__N_18offset_tEEE10hipError_tPvRmT1_PNSt15iterator_traitsISZ_E10value_typeET2_T3_PNS10_IS15_E10value_typeET4_jRbjT5_S1B_jjP12ihipStream_tbEUljE_ZNSN_ISO_Lb1ESQ_SR_SQ_SR_SV_EESW_SX_SY_SZ_S13_S14_S15_S18_S19_jS1A_jS1B_S1B_jjS1D_bEUljE0_EEESW_SX_SY_S15_S19_S1B_T6_T7_T9_mT8_S1D_bDpT10_ENKUlT_T0_E_clISt17integral_constantIbLb1EES1R_EEDaS1M_S1N_EUlS1M_E_NS1_11comp_targetILNS1_3genE8ELNS1_11target_archE1030ELNS1_3gpuE2ELNS1_3repE0EEENS1_30default_config_static_selectorELNS0_4arch9wavefront6targetE0EEEvSZ_.private_seg_size, 0
	.set _ZN7rocprim17ROCPRIM_400000_NS6detail17trampoline_kernelINS0_13select_configILj256ELj13ELNS0_17block_load_methodE3ELS4_3ELS4_3ELNS0_20block_scan_algorithmE0ELj4294967295EEENS1_25partition_config_selectorILNS1_17partition_subalgoE4EjNS0_10empty_typeEbEEZZNS1_14partition_implILS8_4ELb0ES6_15HIP_vector_typeIjLj2EENS0_17counting_iteratorIjlEEPS9_SG_NS0_5tupleIJPjSI_NS0_16reverse_iteratorISI_EEEEENSH_IJSG_SG_SG_EEES9_SI_JZNS1_25segmented_radix_sort_implINS0_14default_configELb1EPKlPlSQ_SR_N2at6native12_GLOBAL__N_18offset_tEEE10hipError_tPvRmT1_PNSt15iterator_traitsISZ_E10value_typeET2_T3_PNS10_IS15_E10value_typeET4_jRbjT5_S1B_jjP12ihipStream_tbEUljE_ZNSN_ISO_Lb1ESQ_SR_SQ_SR_SV_EESW_SX_SY_SZ_S13_S14_S15_S18_S19_jS1A_jS1B_S1B_jjS1D_bEUljE0_EEESW_SX_SY_S15_S19_S1B_T6_T7_T9_mT8_S1D_bDpT10_ENKUlT_T0_E_clISt17integral_constantIbLb1EES1R_EEDaS1M_S1N_EUlS1M_E_NS1_11comp_targetILNS1_3genE8ELNS1_11target_archE1030ELNS1_3gpuE2ELNS1_3repE0EEENS1_30default_config_static_selectorELNS0_4arch9wavefront6targetE0EEEvSZ_.uses_vcc, 0
	.set _ZN7rocprim17ROCPRIM_400000_NS6detail17trampoline_kernelINS0_13select_configILj256ELj13ELNS0_17block_load_methodE3ELS4_3ELS4_3ELNS0_20block_scan_algorithmE0ELj4294967295EEENS1_25partition_config_selectorILNS1_17partition_subalgoE4EjNS0_10empty_typeEbEEZZNS1_14partition_implILS8_4ELb0ES6_15HIP_vector_typeIjLj2EENS0_17counting_iteratorIjlEEPS9_SG_NS0_5tupleIJPjSI_NS0_16reverse_iteratorISI_EEEEENSH_IJSG_SG_SG_EEES9_SI_JZNS1_25segmented_radix_sort_implINS0_14default_configELb1EPKlPlSQ_SR_N2at6native12_GLOBAL__N_18offset_tEEE10hipError_tPvRmT1_PNSt15iterator_traitsISZ_E10value_typeET2_T3_PNS10_IS15_E10value_typeET4_jRbjT5_S1B_jjP12ihipStream_tbEUljE_ZNSN_ISO_Lb1ESQ_SR_SQ_SR_SV_EESW_SX_SY_SZ_S13_S14_S15_S18_S19_jS1A_jS1B_S1B_jjS1D_bEUljE0_EEESW_SX_SY_S15_S19_S1B_T6_T7_T9_mT8_S1D_bDpT10_ENKUlT_T0_E_clISt17integral_constantIbLb1EES1R_EEDaS1M_S1N_EUlS1M_E_NS1_11comp_targetILNS1_3genE8ELNS1_11target_archE1030ELNS1_3gpuE2ELNS1_3repE0EEENS1_30default_config_static_selectorELNS0_4arch9wavefront6targetE0EEEvSZ_.uses_flat_scratch, 0
	.set _ZN7rocprim17ROCPRIM_400000_NS6detail17trampoline_kernelINS0_13select_configILj256ELj13ELNS0_17block_load_methodE3ELS4_3ELS4_3ELNS0_20block_scan_algorithmE0ELj4294967295EEENS1_25partition_config_selectorILNS1_17partition_subalgoE4EjNS0_10empty_typeEbEEZZNS1_14partition_implILS8_4ELb0ES6_15HIP_vector_typeIjLj2EENS0_17counting_iteratorIjlEEPS9_SG_NS0_5tupleIJPjSI_NS0_16reverse_iteratorISI_EEEEENSH_IJSG_SG_SG_EEES9_SI_JZNS1_25segmented_radix_sort_implINS0_14default_configELb1EPKlPlSQ_SR_N2at6native12_GLOBAL__N_18offset_tEEE10hipError_tPvRmT1_PNSt15iterator_traitsISZ_E10value_typeET2_T3_PNS10_IS15_E10value_typeET4_jRbjT5_S1B_jjP12ihipStream_tbEUljE_ZNSN_ISO_Lb1ESQ_SR_SQ_SR_SV_EESW_SX_SY_SZ_S13_S14_S15_S18_S19_jS1A_jS1B_S1B_jjS1D_bEUljE0_EEESW_SX_SY_S15_S19_S1B_T6_T7_T9_mT8_S1D_bDpT10_ENKUlT_T0_E_clISt17integral_constantIbLb1EES1R_EEDaS1M_S1N_EUlS1M_E_NS1_11comp_targetILNS1_3genE8ELNS1_11target_archE1030ELNS1_3gpuE2ELNS1_3repE0EEENS1_30default_config_static_selectorELNS0_4arch9wavefront6targetE0EEEvSZ_.has_dyn_sized_stack, 0
	.set _ZN7rocprim17ROCPRIM_400000_NS6detail17trampoline_kernelINS0_13select_configILj256ELj13ELNS0_17block_load_methodE3ELS4_3ELS4_3ELNS0_20block_scan_algorithmE0ELj4294967295EEENS1_25partition_config_selectorILNS1_17partition_subalgoE4EjNS0_10empty_typeEbEEZZNS1_14partition_implILS8_4ELb0ES6_15HIP_vector_typeIjLj2EENS0_17counting_iteratorIjlEEPS9_SG_NS0_5tupleIJPjSI_NS0_16reverse_iteratorISI_EEEEENSH_IJSG_SG_SG_EEES9_SI_JZNS1_25segmented_radix_sort_implINS0_14default_configELb1EPKlPlSQ_SR_N2at6native12_GLOBAL__N_18offset_tEEE10hipError_tPvRmT1_PNSt15iterator_traitsISZ_E10value_typeET2_T3_PNS10_IS15_E10value_typeET4_jRbjT5_S1B_jjP12ihipStream_tbEUljE_ZNSN_ISO_Lb1ESQ_SR_SQ_SR_SV_EESW_SX_SY_SZ_S13_S14_S15_S18_S19_jS1A_jS1B_S1B_jjS1D_bEUljE0_EEESW_SX_SY_S15_S19_S1B_T6_T7_T9_mT8_S1D_bDpT10_ENKUlT_T0_E_clISt17integral_constantIbLb1EES1R_EEDaS1M_S1N_EUlS1M_E_NS1_11comp_targetILNS1_3genE8ELNS1_11target_archE1030ELNS1_3gpuE2ELNS1_3repE0EEENS1_30default_config_static_selectorELNS0_4arch9wavefront6targetE0EEEvSZ_.has_recursion, 0
	.set _ZN7rocprim17ROCPRIM_400000_NS6detail17trampoline_kernelINS0_13select_configILj256ELj13ELNS0_17block_load_methodE3ELS4_3ELS4_3ELNS0_20block_scan_algorithmE0ELj4294967295EEENS1_25partition_config_selectorILNS1_17partition_subalgoE4EjNS0_10empty_typeEbEEZZNS1_14partition_implILS8_4ELb0ES6_15HIP_vector_typeIjLj2EENS0_17counting_iteratorIjlEEPS9_SG_NS0_5tupleIJPjSI_NS0_16reverse_iteratorISI_EEEEENSH_IJSG_SG_SG_EEES9_SI_JZNS1_25segmented_radix_sort_implINS0_14default_configELb1EPKlPlSQ_SR_N2at6native12_GLOBAL__N_18offset_tEEE10hipError_tPvRmT1_PNSt15iterator_traitsISZ_E10value_typeET2_T3_PNS10_IS15_E10value_typeET4_jRbjT5_S1B_jjP12ihipStream_tbEUljE_ZNSN_ISO_Lb1ESQ_SR_SQ_SR_SV_EESW_SX_SY_SZ_S13_S14_S15_S18_S19_jS1A_jS1B_S1B_jjS1D_bEUljE0_EEESW_SX_SY_S15_S19_S1B_T6_T7_T9_mT8_S1D_bDpT10_ENKUlT_T0_E_clISt17integral_constantIbLb1EES1R_EEDaS1M_S1N_EUlS1M_E_NS1_11comp_targetILNS1_3genE8ELNS1_11target_archE1030ELNS1_3gpuE2ELNS1_3repE0EEENS1_30default_config_static_selectorELNS0_4arch9wavefront6targetE0EEEvSZ_.has_indirect_call, 0
	.section	.AMDGPU.csdata,"",@progbits
; Kernel info:
; codeLenInByte = 0
; TotalNumSgprs: 0
; NumVgprs: 0
; ScratchSize: 0
; MemoryBound: 0
; FloatMode: 240
; IeeeMode: 1
; LDSByteSize: 0 bytes/workgroup (compile time only)
; SGPRBlocks: 0
; VGPRBlocks: 0
; NumSGPRsForWavesPerEU: 1
; NumVGPRsForWavesPerEU: 1
; NamedBarCnt: 0
; Occupancy: 16
; WaveLimiterHint : 0
; COMPUTE_PGM_RSRC2:SCRATCH_EN: 0
; COMPUTE_PGM_RSRC2:USER_SGPR: 2
; COMPUTE_PGM_RSRC2:TRAP_HANDLER: 0
; COMPUTE_PGM_RSRC2:TGID_X_EN: 1
; COMPUTE_PGM_RSRC2:TGID_Y_EN: 0
; COMPUTE_PGM_RSRC2:TGID_Z_EN: 0
; COMPUTE_PGM_RSRC2:TIDIG_COMP_CNT: 0
	.section	.text._ZN7rocprim17ROCPRIM_400000_NS6detail17trampoline_kernelINS0_13select_configILj256ELj13ELNS0_17block_load_methodE3ELS4_3ELS4_3ELNS0_20block_scan_algorithmE0ELj4294967295EEENS1_25partition_config_selectorILNS1_17partition_subalgoE4EjNS0_10empty_typeEbEEZZNS1_14partition_implILS8_4ELb0ES6_15HIP_vector_typeIjLj2EENS0_17counting_iteratorIjlEEPS9_SG_NS0_5tupleIJPjSI_NS0_16reverse_iteratorISI_EEEEENSH_IJSG_SG_SG_EEES9_SI_JZNS1_25segmented_radix_sort_implINS0_14default_configELb1EPKlPlSQ_SR_N2at6native12_GLOBAL__N_18offset_tEEE10hipError_tPvRmT1_PNSt15iterator_traitsISZ_E10value_typeET2_T3_PNS10_IS15_E10value_typeET4_jRbjT5_S1B_jjP12ihipStream_tbEUljE_ZNSN_ISO_Lb1ESQ_SR_SQ_SR_SV_EESW_SX_SY_SZ_S13_S14_S15_S18_S19_jS1A_jS1B_S1B_jjS1D_bEUljE0_EEESW_SX_SY_S15_S19_S1B_T6_T7_T9_mT8_S1D_bDpT10_ENKUlT_T0_E_clISt17integral_constantIbLb1EES1Q_IbLb0EEEEDaS1M_S1N_EUlS1M_E_NS1_11comp_targetILNS1_3genE0ELNS1_11target_archE4294967295ELNS1_3gpuE0ELNS1_3repE0EEENS1_30default_config_static_selectorELNS0_4arch9wavefront6targetE0EEEvSZ_,"axG",@progbits,_ZN7rocprim17ROCPRIM_400000_NS6detail17trampoline_kernelINS0_13select_configILj256ELj13ELNS0_17block_load_methodE3ELS4_3ELS4_3ELNS0_20block_scan_algorithmE0ELj4294967295EEENS1_25partition_config_selectorILNS1_17partition_subalgoE4EjNS0_10empty_typeEbEEZZNS1_14partition_implILS8_4ELb0ES6_15HIP_vector_typeIjLj2EENS0_17counting_iteratorIjlEEPS9_SG_NS0_5tupleIJPjSI_NS0_16reverse_iteratorISI_EEEEENSH_IJSG_SG_SG_EEES9_SI_JZNS1_25segmented_radix_sort_implINS0_14default_configELb1EPKlPlSQ_SR_N2at6native12_GLOBAL__N_18offset_tEEE10hipError_tPvRmT1_PNSt15iterator_traitsISZ_E10value_typeET2_T3_PNS10_IS15_E10value_typeET4_jRbjT5_S1B_jjP12ihipStream_tbEUljE_ZNSN_ISO_Lb1ESQ_SR_SQ_SR_SV_EESW_SX_SY_SZ_S13_S14_S15_S18_S19_jS1A_jS1B_S1B_jjS1D_bEUljE0_EEESW_SX_SY_S15_S19_S1B_T6_T7_T9_mT8_S1D_bDpT10_ENKUlT_T0_E_clISt17integral_constantIbLb1EES1Q_IbLb0EEEEDaS1M_S1N_EUlS1M_E_NS1_11comp_targetILNS1_3genE0ELNS1_11target_archE4294967295ELNS1_3gpuE0ELNS1_3repE0EEENS1_30default_config_static_selectorELNS0_4arch9wavefront6targetE0EEEvSZ_,comdat
	.globl	_ZN7rocprim17ROCPRIM_400000_NS6detail17trampoline_kernelINS0_13select_configILj256ELj13ELNS0_17block_load_methodE3ELS4_3ELS4_3ELNS0_20block_scan_algorithmE0ELj4294967295EEENS1_25partition_config_selectorILNS1_17partition_subalgoE4EjNS0_10empty_typeEbEEZZNS1_14partition_implILS8_4ELb0ES6_15HIP_vector_typeIjLj2EENS0_17counting_iteratorIjlEEPS9_SG_NS0_5tupleIJPjSI_NS0_16reverse_iteratorISI_EEEEENSH_IJSG_SG_SG_EEES9_SI_JZNS1_25segmented_radix_sort_implINS0_14default_configELb1EPKlPlSQ_SR_N2at6native12_GLOBAL__N_18offset_tEEE10hipError_tPvRmT1_PNSt15iterator_traitsISZ_E10value_typeET2_T3_PNS10_IS15_E10value_typeET4_jRbjT5_S1B_jjP12ihipStream_tbEUljE_ZNSN_ISO_Lb1ESQ_SR_SQ_SR_SV_EESW_SX_SY_SZ_S13_S14_S15_S18_S19_jS1A_jS1B_S1B_jjS1D_bEUljE0_EEESW_SX_SY_S15_S19_S1B_T6_T7_T9_mT8_S1D_bDpT10_ENKUlT_T0_E_clISt17integral_constantIbLb1EES1Q_IbLb0EEEEDaS1M_S1N_EUlS1M_E_NS1_11comp_targetILNS1_3genE0ELNS1_11target_archE4294967295ELNS1_3gpuE0ELNS1_3repE0EEENS1_30default_config_static_selectorELNS0_4arch9wavefront6targetE0EEEvSZ_ ; -- Begin function _ZN7rocprim17ROCPRIM_400000_NS6detail17trampoline_kernelINS0_13select_configILj256ELj13ELNS0_17block_load_methodE3ELS4_3ELS4_3ELNS0_20block_scan_algorithmE0ELj4294967295EEENS1_25partition_config_selectorILNS1_17partition_subalgoE4EjNS0_10empty_typeEbEEZZNS1_14partition_implILS8_4ELb0ES6_15HIP_vector_typeIjLj2EENS0_17counting_iteratorIjlEEPS9_SG_NS0_5tupleIJPjSI_NS0_16reverse_iteratorISI_EEEEENSH_IJSG_SG_SG_EEES9_SI_JZNS1_25segmented_radix_sort_implINS0_14default_configELb1EPKlPlSQ_SR_N2at6native12_GLOBAL__N_18offset_tEEE10hipError_tPvRmT1_PNSt15iterator_traitsISZ_E10value_typeET2_T3_PNS10_IS15_E10value_typeET4_jRbjT5_S1B_jjP12ihipStream_tbEUljE_ZNSN_ISO_Lb1ESQ_SR_SQ_SR_SV_EESW_SX_SY_SZ_S13_S14_S15_S18_S19_jS1A_jS1B_S1B_jjS1D_bEUljE0_EEESW_SX_SY_S15_S19_S1B_T6_T7_T9_mT8_S1D_bDpT10_ENKUlT_T0_E_clISt17integral_constantIbLb1EES1Q_IbLb0EEEEDaS1M_S1N_EUlS1M_E_NS1_11comp_targetILNS1_3genE0ELNS1_11target_archE4294967295ELNS1_3gpuE0ELNS1_3repE0EEENS1_30default_config_static_selectorELNS0_4arch9wavefront6targetE0EEEvSZ_
	.p2align	8
	.type	_ZN7rocprim17ROCPRIM_400000_NS6detail17trampoline_kernelINS0_13select_configILj256ELj13ELNS0_17block_load_methodE3ELS4_3ELS4_3ELNS0_20block_scan_algorithmE0ELj4294967295EEENS1_25partition_config_selectorILNS1_17partition_subalgoE4EjNS0_10empty_typeEbEEZZNS1_14partition_implILS8_4ELb0ES6_15HIP_vector_typeIjLj2EENS0_17counting_iteratorIjlEEPS9_SG_NS0_5tupleIJPjSI_NS0_16reverse_iteratorISI_EEEEENSH_IJSG_SG_SG_EEES9_SI_JZNS1_25segmented_radix_sort_implINS0_14default_configELb1EPKlPlSQ_SR_N2at6native12_GLOBAL__N_18offset_tEEE10hipError_tPvRmT1_PNSt15iterator_traitsISZ_E10value_typeET2_T3_PNS10_IS15_E10value_typeET4_jRbjT5_S1B_jjP12ihipStream_tbEUljE_ZNSN_ISO_Lb1ESQ_SR_SQ_SR_SV_EESW_SX_SY_SZ_S13_S14_S15_S18_S19_jS1A_jS1B_S1B_jjS1D_bEUljE0_EEESW_SX_SY_S15_S19_S1B_T6_T7_T9_mT8_S1D_bDpT10_ENKUlT_T0_E_clISt17integral_constantIbLb1EES1Q_IbLb0EEEEDaS1M_S1N_EUlS1M_E_NS1_11comp_targetILNS1_3genE0ELNS1_11target_archE4294967295ELNS1_3gpuE0ELNS1_3repE0EEENS1_30default_config_static_selectorELNS0_4arch9wavefront6targetE0EEEvSZ_,@function
_ZN7rocprim17ROCPRIM_400000_NS6detail17trampoline_kernelINS0_13select_configILj256ELj13ELNS0_17block_load_methodE3ELS4_3ELS4_3ELNS0_20block_scan_algorithmE0ELj4294967295EEENS1_25partition_config_selectorILNS1_17partition_subalgoE4EjNS0_10empty_typeEbEEZZNS1_14partition_implILS8_4ELb0ES6_15HIP_vector_typeIjLj2EENS0_17counting_iteratorIjlEEPS9_SG_NS0_5tupleIJPjSI_NS0_16reverse_iteratorISI_EEEEENSH_IJSG_SG_SG_EEES9_SI_JZNS1_25segmented_radix_sort_implINS0_14default_configELb1EPKlPlSQ_SR_N2at6native12_GLOBAL__N_18offset_tEEE10hipError_tPvRmT1_PNSt15iterator_traitsISZ_E10value_typeET2_T3_PNS10_IS15_E10value_typeET4_jRbjT5_S1B_jjP12ihipStream_tbEUljE_ZNSN_ISO_Lb1ESQ_SR_SQ_SR_SV_EESW_SX_SY_SZ_S13_S14_S15_S18_S19_jS1A_jS1B_S1B_jjS1D_bEUljE0_EEESW_SX_SY_S15_S19_S1B_T6_T7_T9_mT8_S1D_bDpT10_ENKUlT_T0_E_clISt17integral_constantIbLb1EES1Q_IbLb0EEEEDaS1M_S1N_EUlS1M_E_NS1_11comp_targetILNS1_3genE0ELNS1_11target_archE4294967295ELNS1_3gpuE0ELNS1_3repE0EEENS1_30default_config_static_selectorELNS0_4arch9wavefront6targetE0EEEvSZ_: ; @_ZN7rocprim17ROCPRIM_400000_NS6detail17trampoline_kernelINS0_13select_configILj256ELj13ELNS0_17block_load_methodE3ELS4_3ELS4_3ELNS0_20block_scan_algorithmE0ELj4294967295EEENS1_25partition_config_selectorILNS1_17partition_subalgoE4EjNS0_10empty_typeEbEEZZNS1_14partition_implILS8_4ELb0ES6_15HIP_vector_typeIjLj2EENS0_17counting_iteratorIjlEEPS9_SG_NS0_5tupleIJPjSI_NS0_16reverse_iteratorISI_EEEEENSH_IJSG_SG_SG_EEES9_SI_JZNS1_25segmented_radix_sort_implINS0_14default_configELb1EPKlPlSQ_SR_N2at6native12_GLOBAL__N_18offset_tEEE10hipError_tPvRmT1_PNSt15iterator_traitsISZ_E10value_typeET2_T3_PNS10_IS15_E10value_typeET4_jRbjT5_S1B_jjP12ihipStream_tbEUljE_ZNSN_ISO_Lb1ESQ_SR_SQ_SR_SV_EESW_SX_SY_SZ_S13_S14_S15_S18_S19_jS1A_jS1B_S1B_jjS1D_bEUljE0_EEESW_SX_SY_S15_S19_S1B_T6_T7_T9_mT8_S1D_bDpT10_ENKUlT_T0_E_clISt17integral_constantIbLb1EES1Q_IbLb0EEEEDaS1M_S1N_EUlS1M_E_NS1_11comp_targetILNS1_3genE0ELNS1_11target_archE4294967295ELNS1_3gpuE0ELNS1_3repE0EEENS1_30default_config_static_selectorELNS0_4arch9wavefront6targetE0EEEvSZ_
; %bb.0:
	s_endpgm
	.section	.rodata,"a",@progbits
	.p2align	6, 0x0
	.amdhsa_kernel _ZN7rocprim17ROCPRIM_400000_NS6detail17trampoline_kernelINS0_13select_configILj256ELj13ELNS0_17block_load_methodE3ELS4_3ELS4_3ELNS0_20block_scan_algorithmE0ELj4294967295EEENS1_25partition_config_selectorILNS1_17partition_subalgoE4EjNS0_10empty_typeEbEEZZNS1_14partition_implILS8_4ELb0ES6_15HIP_vector_typeIjLj2EENS0_17counting_iteratorIjlEEPS9_SG_NS0_5tupleIJPjSI_NS0_16reverse_iteratorISI_EEEEENSH_IJSG_SG_SG_EEES9_SI_JZNS1_25segmented_radix_sort_implINS0_14default_configELb1EPKlPlSQ_SR_N2at6native12_GLOBAL__N_18offset_tEEE10hipError_tPvRmT1_PNSt15iterator_traitsISZ_E10value_typeET2_T3_PNS10_IS15_E10value_typeET4_jRbjT5_S1B_jjP12ihipStream_tbEUljE_ZNSN_ISO_Lb1ESQ_SR_SQ_SR_SV_EESW_SX_SY_SZ_S13_S14_S15_S18_S19_jS1A_jS1B_S1B_jjS1D_bEUljE0_EEESW_SX_SY_S15_S19_S1B_T6_T7_T9_mT8_S1D_bDpT10_ENKUlT_T0_E_clISt17integral_constantIbLb1EES1Q_IbLb0EEEEDaS1M_S1N_EUlS1M_E_NS1_11comp_targetILNS1_3genE0ELNS1_11target_archE4294967295ELNS1_3gpuE0ELNS1_3repE0EEENS1_30default_config_static_selectorELNS0_4arch9wavefront6targetE0EEEvSZ_
		.amdhsa_group_segment_fixed_size 0
		.amdhsa_private_segment_fixed_size 0
		.amdhsa_kernarg_size 176
		.amdhsa_user_sgpr_count 2
		.amdhsa_user_sgpr_dispatch_ptr 0
		.amdhsa_user_sgpr_queue_ptr 0
		.amdhsa_user_sgpr_kernarg_segment_ptr 1
		.amdhsa_user_sgpr_dispatch_id 0
		.amdhsa_user_sgpr_kernarg_preload_length 0
		.amdhsa_user_sgpr_kernarg_preload_offset 0
		.amdhsa_user_sgpr_private_segment_size 0
		.amdhsa_wavefront_size32 1
		.amdhsa_uses_dynamic_stack 0
		.amdhsa_enable_private_segment 0
		.amdhsa_system_sgpr_workgroup_id_x 1
		.amdhsa_system_sgpr_workgroup_id_y 0
		.amdhsa_system_sgpr_workgroup_id_z 0
		.amdhsa_system_sgpr_workgroup_info 0
		.amdhsa_system_vgpr_workitem_id 0
		.amdhsa_next_free_vgpr 1
		.amdhsa_next_free_sgpr 1
		.amdhsa_named_barrier_count 0
		.amdhsa_reserve_vcc 0
		.amdhsa_float_round_mode_32 0
		.amdhsa_float_round_mode_16_64 0
		.amdhsa_float_denorm_mode_32 3
		.amdhsa_float_denorm_mode_16_64 3
		.amdhsa_fp16_overflow 0
		.amdhsa_memory_ordered 1
		.amdhsa_forward_progress 1
		.amdhsa_inst_pref_size 1
		.amdhsa_round_robin_scheduling 0
		.amdhsa_exception_fp_ieee_invalid_op 0
		.amdhsa_exception_fp_denorm_src 0
		.amdhsa_exception_fp_ieee_div_zero 0
		.amdhsa_exception_fp_ieee_overflow 0
		.amdhsa_exception_fp_ieee_underflow 0
		.amdhsa_exception_fp_ieee_inexact 0
		.amdhsa_exception_int_div_zero 0
	.end_amdhsa_kernel
	.section	.text._ZN7rocprim17ROCPRIM_400000_NS6detail17trampoline_kernelINS0_13select_configILj256ELj13ELNS0_17block_load_methodE3ELS4_3ELS4_3ELNS0_20block_scan_algorithmE0ELj4294967295EEENS1_25partition_config_selectorILNS1_17partition_subalgoE4EjNS0_10empty_typeEbEEZZNS1_14partition_implILS8_4ELb0ES6_15HIP_vector_typeIjLj2EENS0_17counting_iteratorIjlEEPS9_SG_NS0_5tupleIJPjSI_NS0_16reverse_iteratorISI_EEEEENSH_IJSG_SG_SG_EEES9_SI_JZNS1_25segmented_radix_sort_implINS0_14default_configELb1EPKlPlSQ_SR_N2at6native12_GLOBAL__N_18offset_tEEE10hipError_tPvRmT1_PNSt15iterator_traitsISZ_E10value_typeET2_T3_PNS10_IS15_E10value_typeET4_jRbjT5_S1B_jjP12ihipStream_tbEUljE_ZNSN_ISO_Lb1ESQ_SR_SQ_SR_SV_EESW_SX_SY_SZ_S13_S14_S15_S18_S19_jS1A_jS1B_S1B_jjS1D_bEUljE0_EEESW_SX_SY_S15_S19_S1B_T6_T7_T9_mT8_S1D_bDpT10_ENKUlT_T0_E_clISt17integral_constantIbLb1EES1Q_IbLb0EEEEDaS1M_S1N_EUlS1M_E_NS1_11comp_targetILNS1_3genE0ELNS1_11target_archE4294967295ELNS1_3gpuE0ELNS1_3repE0EEENS1_30default_config_static_selectorELNS0_4arch9wavefront6targetE0EEEvSZ_,"axG",@progbits,_ZN7rocprim17ROCPRIM_400000_NS6detail17trampoline_kernelINS0_13select_configILj256ELj13ELNS0_17block_load_methodE3ELS4_3ELS4_3ELNS0_20block_scan_algorithmE0ELj4294967295EEENS1_25partition_config_selectorILNS1_17partition_subalgoE4EjNS0_10empty_typeEbEEZZNS1_14partition_implILS8_4ELb0ES6_15HIP_vector_typeIjLj2EENS0_17counting_iteratorIjlEEPS9_SG_NS0_5tupleIJPjSI_NS0_16reverse_iteratorISI_EEEEENSH_IJSG_SG_SG_EEES9_SI_JZNS1_25segmented_radix_sort_implINS0_14default_configELb1EPKlPlSQ_SR_N2at6native12_GLOBAL__N_18offset_tEEE10hipError_tPvRmT1_PNSt15iterator_traitsISZ_E10value_typeET2_T3_PNS10_IS15_E10value_typeET4_jRbjT5_S1B_jjP12ihipStream_tbEUljE_ZNSN_ISO_Lb1ESQ_SR_SQ_SR_SV_EESW_SX_SY_SZ_S13_S14_S15_S18_S19_jS1A_jS1B_S1B_jjS1D_bEUljE0_EEESW_SX_SY_S15_S19_S1B_T6_T7_T9_mT8_S1D_bDpT10_ENKUlT_T0_E_clISt17integral_constantIbLb1EES1Q_IbLb0EEEEDaS1M_S1N_EUlS1M_E_NS1_11comp_targetILNS1_3genE0ELNS1_11target_archE4294967295ELNS1_3gpuE0ELNS1_3repE0EEENS1_30default_config_static_selectorELNS0_4arch9wavefront6targetE0EEEvSZ_,comdat
.Lfunc_end652:
	.size	_ZN7rocprim17ROCPRIM_400000_NS6detail17trampoline_kernelINS0_13select_configILj256ELj13ELNS0_17block_load_methodE3ELS4_3ELS4_3ELNS0_20block_scan_algorithmE0ELj4294967295EEENS1_25partition_config_selectorILNS1_17partition_subalgoE4EjNS0_10empty_typeEbEEZZNS1_14partition_implILS8_4ELb0ES6_15HIP_vector_typeIjLj2EENS0_17counting_iteratorIjlEEPS9_SG_NS0_5tupleIJPjSI_NS0_16reverse_iteratorISI_EEEEENSH_IJSG_SG_SG_EEES9_SI_JZNS1_25segmented_radix_sort_implINS0_14default_configELb1EPKlPlSQ_SR_N2at6native12_GLOBAL__N_18offset_tEEE10hipError_tPvRmT1_PNSt15iterator_traitsISZ_E10value_typeET2_T3_PNS10_IS15_E10value_typeET4_jRbjT5_S1B_jjP12ihipStream_tbEUljE_ZNSN_ISO_Lb1ESQ_SR_SQ_SR_SV_EESW_SX_SY_SZ_S13_S14_S15_S18_S19_jS1A_jS1B_S1B_jjS1D_bEUljE0_EEESW_SX_SY_S15_S19_S1B_T6_T7_T9_mT8_S1D_bDpT10_ENKUlT_T0_E_clISt17integral_constantIbLb1EES1Q_IbLb0EEEEDaS1M_S1N_EUlS1M_E_NS1_11comp_targetILNS1_3genE0ELNS1_11target_archE4294967295ELNS1_3gpuE0ELNS1_3repE0EEENS1_30default_config_static_selectorELNS0_4arch9wavefront6targetE0EEEvSZ_, .Lfunc_end652-_ZN7rocprim17ROCPRIM_400000_NS6detail17trampoline_kernelINS0_13select_configILj256ELj13ELNS0_17block_load_methodE3ELS4_3ELS4_3ELNS0_20block_scan_algorithmE0ELj4294967295EEENS1_25partition_config_selectorILNS1_17partition_subalgoE4EjNS0_10empty_typeEbEEZZNS1_14partition_implILS8_4ELb0ES6_15HIP_vector_typeIjLj2EENS0_17counting_iteratorIjlEEPS9_SG_NS0_5tupleIJPjSI_NS0_16reverse_iteratorISI_EEEEENSH_IJSG_SG_SG_EEES9_SI_JZNS1_25segmented_radix_sort_implINS0_14default_configELb1EPKlPlSQ_SR_N2at6native12_GLOBAL__N_18offset_tEEE10hipError_tPvRmT1_PNSt15iterator_traitsISZ_E10value_typeET2_T3_PNS10_IS15_E10value_typeET4_jRbjT5_S1B_jjP12ihipStream_tbEUljE_ZNSN_ISO_Lb1ESQ_SR_SQ_SR_SV_EESW_SX_SY_SZ_S13_S14_S15_S18_S19_jS1A_jS1B_S1B_jjS1D_bEUljE0_EEESW_SX_SY_S15_S19_S1B_T6_T7_T9_mT8_S1D_bDpT10_ENKUlT_T0_E_clISt17integral_constantIbLb1EES1Q_IbLb0EEEEDaS1M_S1N_EUlS1M_E_NS1_11comp_targetILNS1_3genE0ELNS1_11target_archE4294967295ELNS1_3gpuE0ELNS1_3repE0EEENS1_30default_config_static_selectorELNS0_4arch9wavefront6targetE0EEEvSZ_
                                        ; -- End function
	.set _ZN7rocprim17ROCPRIM_400000_NS6detail17trampoline_kernelINS0_13select_configILj256ELj13ELNS0_17block_load_methodE3ELS4_3ELS4_3ELNS0_20block_scan_algorithmE0ELj4294967295EEENS1_25partition_config_selectorILNS1_17partition_subalgoE4EjNS0_10empty_typeEbEEZZNS1_14partition_implILS8_4ELb0ES6_15HIP_vector_typeIjLj2EENS0_17counting_iteratorIjlEEPS9_SG_NS0_5tupleIJPjSI_NS0_16reverse_iteratorISI_EEEEENSH_IJSG_SG_SG_EEES9_SI_JZNS1_25segmented_radix_sort_implINS0_14default_configELb1EPKlPlSQ_SR_N2at6native12_GLOBAL__N_18offset_tEEE10hipError_tPvRmT1_PNSt15iterator_traitsISZ_E10value_typeET2_T3_PNS10_IS15_E10value_typeET4_jRbjT5_S1B_jjP12ihipStream_tbEUljE_ZNSN_ISO_Lb1ESQ_SR_SQ_SR_SV_EESW_SX_SY_SZ_S13_S14_S15_S18_S19_jS1A_jS1B_S1B_jjS1D_bEUljE0_EEESW_SX_SY_S15_S19_S1B_T6_T7_T9_mT8_S1D_bDpT10_ENKUlT_T0_E_clISt17integral_constantIbLb1EES1Q_IbLb0EEEEDaS1M_S1N_EUlS1M_E_NS1_11comp_targetILNS1_3genE0ELNS1_11target_archE4294967295ELNS1_3gpuE0ELNS1_3repE0EEENS1_30default_config_static_selectorELNS0_4arch9wavefront6targetE0EEEvSZ_.num_vgpr, 0
	.set _ZN7rocprim17ROCPRIM_400000_NS6detail17trampoline_kernelINS0_13select_configILj256ELj13ELNS0_17block_load_methodE3ELS4_3ELS4_3ELNS0_20block_scan_algorithmE0ELj4294967295EEENS1_25partition_config_selectorILNS1_17partition_subalgoE4EjNS0_10empty_typeEbEEZZNS1_14partition_implILS8_4ELb0ES6_15HIP_vector_typeIjLj2EENS0_17counting_iteratorIjlEEPS9_SG_NS0_5tupleIJPjSI_NS0_16reverse_iteratorISI_EEEEENSH_IJSG_SG_SG_EEES9_SI_JZNS1_25segmented_radix_sort_implINS0_14default_configELb1EPKlPlSQ_SR_N2at6native12_GLOBAL__N_18offset_tEEE10hipError_tPvRmT1_PNSt15iterator_traitsISZ_E10value_typeET2_T3_PNS10_IS15_E10value_typeET4_jRbjT5_S1B_jjP12ihipStream_tbEUljE_ZNSN_ISO_Lb1ESQ_SR_SQ_SR_SV_EESW_SX_SY_SZ_S13_S14_S15_S18_S19_jS1A_jS1B_S1B_jjS1D_bEUljE0_EEESW_SX_SY_S15_S19_S1B_T6_T7_T9_mT8_S1D_bDpT10_ENKUlT_T0_E_clISt17integral_constantIbLb1EES1Q_IbLb0EEEEDaS1M_S1N_EUlS1M_E_NS1_11comp_targetILNS1_3genE0ELNS1_11target_archE4294967295ELNS1_3gpuE0ELNS1_3repE0EEENS1_30default_config_static_selectorELNS0_4arch9wavefront6targetE0EEEvSZ_.num_agpr, 0
	.set _ZN7rocprim17ROCPRIM_400000_NS6detail17trampoline_kernelINS0_13select_configILj256ELj13ELNS0_17block_load_methodE3ELS4_3ELS4_3ELNS0_20block_scan_algorithmE0ELj4294967295EEENS1_25partition_config_selectorILNS1_17partition_subalgoE4EjNS0_10empty_typeEbEEZZNS1_14partition_implILS8_4ELb0ES6_15HIP_vector_typeIjLj2EENS0_17counting_iteratorIjlEEPS9_SG_NS0_5tupleIJPjSI_NS0_16reverse_iteratorISI_EEEEENSH_IJSG_SG_SG_EEES9_SI_JZNS1_25segmented_radix_sort_implINS0_14default_configELb1EPKlPlSQ_SR_N2at6native12_GLOBAL__N_18offset_tEEE10hipError_tPvRmT1_PNSt15iterator_traitsISZ_E10value_typeET2_T3_PNS10_IS15_E10value_typeET4_jRbjT5_S1B_jjP12ihipStream_tbEUljE_ZNSN_ISO_Lb1ESQ_SR_SQ_SR_SV_EESW_SX_SY_SZ_S13_S14_S15_S18_S19_jS1A_jS1B_S1B_jjS1D_bEUljE0_EEESW_SX_SY_S15_S19_S1B_T6_T7_T9_mT8_S1D_bDpT10_ENKUlT_T0_E_clISt17integral_constantIbLb1EES1Q_IbLb0EEEEDaS1M_S1N_EUlS1M_E_NS1_11comp_targetILNS1_3genE0ELNS1_11target_archE4294967295ELNS1_3gpuE0ELNS1_3repE0EEENS1_30default_config_static_selectorELNS0_4arch9wavefront6targetE0EEEvSZ_.numbered_sgpr, 0
	.set _ZN7rocprim17ROCPRIM_400000_NS6detail17trampoline_kernelINS0_13select_configILj256ELj13ELNS0_17block_load_methodE3ELS4_3ELS4_3ELNS0_20block_scan_algorithmE0ELj4294967295EEENS1_25partition_config_selectorILNS1_17partition_subalgoE4EjNS0_10empty_typeEbEEZZNS1_14partition_implILS8_4ELb0ES6_15HIP_vector_typeIjLj2EENS0_17counting_iteratorIjlEEPS9_SG_NS0_5tupleIJPjSI_NS0_16reverse_iteratorISI_EEEEENSH_IJSG_SG_SG_EEES9_SI_JZNS1_25segmented_radix_sort_implINS0_14default_configELb1EPKlPlSQ_SR_N2at6native12_GLOBAL__N_18offset_tEEE10hipError_tPvRmT1_PNSt15iterator_traitsISZ_E10value_typeET2_T3_PNS10_IS15_E10value_typeET4_jRbjT5_S1B_jjP12ihipStream_tbEUljE_ZNSN_ISO_Lb1ESQ_SR_SQ_SR_SV_EESW_SX_SY_SZ_S13_S14_S15_S18_S19_jS1A_jS1B_S1B_jjS1D_bEUljE0_EEESW_SX_SY_S15_S19_S1B_T6_T7_T9_mT8_S1D_bDpT10_ENKUlT_T0_E_clISt17integral_constantIbLb1EES1Q_IbLb0EEEEDaS1M_S1N_EUlS1M_E_NS1_11comp_targetILNS1_3genE0ELNS1_11target_archE4294967295ELNS1_3gpuE0ELNS1_3repE0EEENS1_30default_config_static_selectorELNS0_4arch9wavefront6targetE0EEEvSZ_.num_named_barrier, 0
	.set _ZN7rocprim17ROCPRIM_400000_NS6detail17trampoline_kernelINS0_13select_configILj256ELj13ELNS0_17block_load_methodE3ELS4_3ELS4_3ELNS0_20block_scan_algorithmE0ELj4294967295EEENS1_25partition_config_selectorILNS1_17partition_subalgoE4EjNS0_10empty_typeEbEEZZNS1_14partition_implILS8_4ELb0ES6_15HIP_vector_typeIjLj2EENS0_17counting_iteratorIjlEEPS9_SG_NS0_5tupleIJPjSI_NS0_16reverse_iteratorISI_EEEEENSH_IJSG_SG_SG_EEES9_SI_JZNS1_25segmented_radix_sort_implINS0_14default_configELb1EPKlPlSQ_SR_N2at6native12_GLOBAL__N_18offset_tEEE10hipError_tPvRmT1_PNSt15iterator_traitsISZ_E10value_typeET2_T3_PNS10_IS15_E10value_typeET4_jRbjT5_S1B_jjP12ihipStream_tbEUljE_ZNSN_ISO_Lb1ESQ_SR_SQ_SR_SV_EESW_SX_SY_SZ_S13_S14_S15_S18_S19_jS1A_jS1B_S1B_jjS1D_bEUljE0_EEESW_SX_SY_S15_S19_S1B_T6_T7_T9_mT8_S1D_bDpT10_ENKUlT_T0_E_clISt17integral_constantIbLb1EES1Q_IbLb0EEEEDaS1M_S1N_EUlS1M_E_NS1_11comp_targetILNS1_3genE0ELNS1_11target_archE4294967295ELNS1_3gpuE0ELNS1_3repE0EEENS1_30default_config_static_selectorELNS0_4arch9wavefront6targetE0EEEvSZ_.private_seg_size, 0
	.set _ZN7rocprim17ROCPRIM_400000_NS6detail17trampoline_kernelINS0_13select_configILj256ELj13ELNS0_17block_load_methodE3ELS4_3ELS4_3ELNS0_20block_scan_algorithmE0ELj4294967295EEENS1_25partition_config_selectorILNS1_17partition_subalgoE4EjNS0_10empty_typeEbEEZZNS1_14partition_implILS8_4ELb0ES6_15HIP_vector_typeIjLj2EENS0_17counting_iteratorIjlEEPS9_SG_NS0_5tupleIJPjSI_NS0_16reverse_iteratorISI_EEEEENSH_IJSG_SG_SG_EEES9_SI_JZNS1_25segmented_radix_sort_implINS0_14default_configELb1EPKlPlSQ_SR_N2at6native12_GLOBAL__N_18offset_tEEE10hipError_tPvRmT1_PNSt15iterator_traitsISZ_E10value_typeET2_T3_PNS10_IS15_E10value_typeET4_jRbjT5_S1B_jjP12ihipStream_tbEUljE_ZNSN_ISO_Lb1ESQ_SR_SQ_SR_SV_EESW_SX_SY_SZ_S13_S14_S15_S18_S19_jS1A_jS1B_S1B_jjS1D_bEUljE0_EEESW_SX_SY_S15_S19_S1B_T6_T7_T9_mT8_S1D_bDpT10_ENKUlT_T0_E_clISt17integral_constantIbLb1EES1Q_IbLb0EEEEDaS1M_S1N_EUlS1M_E_NS1_11comp_targetILNS1_3genE0ELNS1_11target_archE4294967295ELNS1_3gpuE0ELNS1_3repE0EEENS1_30default_config_static_selectorELNS0_4arch9wavefront6targetE0EEEvSZ_.uses_vcc, 0
	.set _ZN7rocprim17ROCPRIM_400000_NS6detail17trampoline_kernelINS0_13select_configILj256ELj13ELNS0_17block_load_methodE3ELS4_3ELS4_3ELNS0_20block_scan_algorithmE0ELj4294967295EEENS1_25partition_config_selectorILNS1_17partition_subalgoE4EjNS0_10empty_typeEbEEZZNS1_14partition_implILS8_4ELb0ES6_15HIP_vector_typeIjLj2EENS0_17counting_iteratorIjlEEPS9_SG_NS0_5tupleIJPjSI_NS0_16reverse_iteratorISI_EEEEENSH_IJSG_SG_SG_EEES9_SI_JZNS1_25segmented_radix_sort_implINS0_14default_configELb1EPKlPlSQ_SR_N2at6native12_GLOBAL__N_18offset_tEEE10hipError_tPvRmT1_PNSt15iterator_traitsISZ_E10value_typeET2_T3_PNS10_IS15_E10value_typeET4_jRbjT5_S1B_jjP12ihipStream_tbEUljE_ZNSN_ISO_Lb1ESQ_SR_SQ_SR_SV_EESW_SX_SY_SZ_S13_S14_S15_S18_S19_jS1A_jS1B_S1B_jjS1D_bEUljE0_EEESW_SX_SY_S15_S19_S1B_T6_T7_T9_mT8_S1D_bDpT10_ENKUlT_T0_E_clISt17integral_constantIbLb1EES1Q_IbLb0EEEEDaS1M_S1N_EUlS1M_E_NS1_11comp_targetILNS1_3genE0ELNS1_11target_archE4294967295ELNS1_3gpuE0ELNS1_3repE0EEENS1_30default_config_static_selectorELNS0_4arch9wavefront6targetE0EEEvSZ_.uses_flat_scratch, 0
	.set _ZN7rocprim17ROCPRIM_400000_NS6detail17trampoline_kernelINS0_13select_configILj256ELj13ELNS0_17block_load_methodE3ELS4_3ELS4_3ELNS0_20block_scan_algorithmE0ELj4294967295EEENS1_25partition_config_selectorILNS1_17partition_subalgoE4EjNS0_10empty_typeEbEEZZNS1_14partition_implILS8_4ELb0ES6_15HIP_vector_typeIjLj2EENS0_17counting_iteratorIjlEEPS9_SG_NS0_5tupleIJPjSI_NS0_16reverse_iteratorISI_EEEEENSH_IJSG_SG_SG_EEES9_SI_JZNS1_25segmented_radix_sort_implINS0_14default_configELb1EPKlPlSQ_SR_N2at6native12_GLOBAL__N_18offset_tEEE10hipError_tPvRmT1_PNSt15iterator_traitsISZ_E10value_typeET2_T3_PNS10_IS15_E10value_typeET4_jRbjT5_S1B_jjP12ihipStream_tbEUljE_ZNSN_ISO_Lb1ESQ_SR_SQ_SR_SV_EESW_SX_SY_SZ_S13_S14_S15_S18_S19_jS1A_jS1B_S1B_jjS1D_bEUljE0_EEESW_SX_SY_S15_S19_S1B_T6_T7_T9_mT8_S1D_bDpT10_ENKUlT_T0_E_clISt17integral_constantIbLb1EES1Q_IbLb0EEEEDaS1M_S1N_EUlS1M_E_NS1_11comp_targetILNS1_3genE0ELNS1_11target_archE4294967295ELNS1_3gpuE0ELNS1_3repE0EEENS1_30default_config_static_selectorELNS0_4arch9wavefront6targetE0EEEvSZ_.has_dyn_sized_stack, 0
	.set _ZN7rocprim17ROCPRIM_400000_NS6detail17trampoline_kernelINS0_13select_configILj256ELj13ELNS0_17block_load_methodE3ELS4_3ELS4_3ELNS0_20block_scan_algorithmE0ELj4294967295EEENS1_25partition_config_selectorILNS1_17partition_subalgoE4EjNS0_10empty_typeEbEEZZNS1_14partition_implILS8_4ELb0ES6_15HIP_vector_typeIjLj2EENS0_17counting_iteratorIjlEEPS9_SG_NS0_5tupleIJPjSI_NS0_16reverse_iteratorISI_EEEEENSH_IJSG_SG_SG_EEES9_SI_JZNS1_25segmented_radix_sort_implINS0_14default_configELb1EPKlPlSQ_SR_N2at6native12_GLOBAL__N_18offset_tEEE10hipError_tPvRmT1_PNSt15iterator_traitsISZ_E10value_typeET2_T3_PNS10_IS15_E10value_typeET4_jRbjT5_S1B_jjP12ihipStream_tbEUljE_ZNSN_ISO_Lb1ESQ_SR_SQ_SR_SV_EESW_SX_SY_SZ_S13_S14_S15_S18_S19_jS1A_jS1B_S1B_jjS1D_bEUljE0_EEESW_SX_SY_S15_S19_S1B_T6_T7_T9_mT8_S1D_bDpT10_ENKUlT_T0_E_clISt17integral_constantIbLb1EES1Q_IbLb0EEEEDaS1M_S1N_EUlS1M_E_NS1_11comp_targetILNS1_3genE0ELNS1_11target_archE4294967295ELNS1_3gpuE0ELNS1_3repE0EEENS1_30default_config_static_selectorELNS0_4arch9wavefront6targetE0EEEvSZ_.has_recursion, 0
	.set _ZN7rocprim17ROCPRIM_400000_NS6detail17trampoline_kernelINS0_13select_configILj256ELj13ELNS0_17block_load_methodE3ELS4_3ELS4_3ELNS0_20block_scan_algorithmE0ELj4294967295EEENS1_25partition_config_selectorILNS1_17partition_subalgoE4EjNS0_10empty_typeEbEEZZNS1_14partition_implILS8_4ELb0ES6_15HIP_vector_typeIjLj2EENS0_17counting_iteratorIjlEEPS9_SG_NS0_5tupleIJPjSI_NS0_16reverse_iteratorISI_EEEEENSH_IJSG_SG_SG_EEES9_SI_JZNS1_25segmented_radix_sort_implINS0_14default_configELb1EPKlPlSQ_SR_N2at6native12_GLOBAL__N_18offset_tEEE10hipError_tPvRmT1_PNSt15iterator_traitsISZ_E10value_typeET2_T3_PNS10_IS15_E10value_typeET4_jRbjT5_S1B_jjP12ihipStream_tbEUljE_ZNSN_ISO_Lb1ESQ_SR_SQ_SR_SV_EESW_SX_SY_SZ_S13_S14_S15_S18_S19_jS1A_jS1B_S1B_jjS1D_bEUljE0_EEESW_SX_SY_S15_S19_S1B_T6_T7_T9_mT8_S1D_bDpT10_ENKUlT_T0_E_clISt17integral_constantIbLb1EES1Q_IbLb0EEEEDaS1M_S1N_EUlS1M_E_NS1_11comp_targetILNS1_3genE0ELNS1_11target_archE4294967295ELNS1_3gpuE0ELNS1_3repE0EEENS1_30default_config_static_selectorELNS0_4arch9wavefront6targetE0EEEvSZ_.has_indirect_call, 0
	.section	.AMDGPU.csdata,"",@progbits
; Kernel info:
; codeLenInByte = 4
; TotalNumSgprs: 0
; NumVgprs: 0
; ScratchSize: 0
; MemoryBound: 0
; FloatMode: 240
; IeeeMode: 1
; LDSByteSize: 0 bytes/workgroup (compile time only)
; SGPRBlocks: 0
; VGPRBlocks: 0
; NumSGPRsForWavesPerEU: 1
; NumVGPRsForWavesPerEU: 1
; NamedBarCnt: 0
; Occupancy: 16
; WaveLimiterHint : 0
; COMPUTE_PGM_RSRC2:SCRATCH_EN: 0
; COMPUTE_PGM_RSRC2:USER_SGPR: 2
; COMPUTE_PGM_RSRC2:TRAP_HANDLER: 0
; COMPUTE_PGM_RSRC2:TGID_X_EN: 1
; COMPUTE_PGM_RSRC2:TGID_Y_EN: 0
; COMPUTE_PGM_RSRC2:TGID_Z_EN: 0
; COMPUTE_PGM_RSRC2:TIDIG_COMP_CNT: 0
	.section	.text._ZN7rocprim17ROCPRIM_400000_NS6detail17trampoline_kernelINS0_13select_configILj256ELj13ELNS0_17block_load_methodE3ELS4_3ELS4_3ELNS0_20block_scan_algorithmE0ELj4294967295EEENS1_25partition_config_selectorILNS1_17partition_subalgoE4EjNS0_10empty_typeEbEEZZNS1_14partition_implILS8_4ELb0ES6_15HIP_vector_typeIjLj2EENS0_17counting_iteratorIjlEEPS9_SG_NS0_5tupleIJPjSI_NS0_16reverse_iteratorISI_EEEEENSH_IJSG_SG_SG_EEES9_SI_JZNS1_25segmented_radix_sort_implINS0_14default_configELb1EPKlPlSQ_SR_N2at6native12_GLOBAL__N_18offset_tEEE10hipError_tPvRmT1_PNSt15iterator_traitsISZ_E10value_typeET2_T3_PNS10_IS15_E10value_typeET4_jRbjT5_S1B_jjP12ihipStream_tbEUljE_ZNSN_ISO_Lb1ESQ_SR_SQ_SR_SV_EESW_SX_SY_SZ_S13_S14_S15_S18_S19_jS1A_jS1B_S1B_jjS1D_bEUljE0_EEESW_SX_SY_S15_S19_S1B_T6_T7_T9_mT8_S1D_bDpT10_ENKUlT_T0_E_clISt17integral_constantIbLb1EES1Q_IbLb0EEEEDaS1M_S1N_EUlS1M_E_NS1_11comp_targetILNS1_3genE5ELNS1_11target_archE942ELNS1_3gpuE9ELNS1_3repE0EEENS1_30default_config_static_selectorELNS0_4arch9wavefront6targetE0EEEvSZ_,"axG",@progbits,_ZN7rocprim17ROCPRIM_400000_NS6detail17trampoline_kernelINS0_13select_configILj256ELj13ELNS0_17block_load_methodE3ELS4_3ELS4_3ELNS0_20block_scan_algorithmE0ELj4294967295EEENS1_25partition_config_selectorILNS1_17partition_subalgoE4EjNS0_10empty_typeEbEEZZNS1_14partition_implILS8_4ELb0ES6_15HIP_vector_typeIjLj2EENS0_17counting_iteratorIjlEEPS9_SG_NS0_5tupleIJPjSI_NS0_16reverse_iteratorISI_EEEEENSH_IJSG_SG_SG_EEES9_SI_JZNS1_25segmented_radix_sort_implINS0_14default_configELb1EPKlPlSQ_SR_N2at6native12_GLOBAL__N_18offset_tEEE10hipError_tPvRmT1_PNSt15iterator_traitsISZ_E10value_typeET2_T3_PNS10_IS15_E10value_typeET4_jRbjT5_S1B_jjP12ihipStream_tbEUljE_ZNSN_ISO_Lb1ESQ_SR_SQ_SR_SV_EESW_SX_SY_SZ_S13_S14_S15_S18_S19_jS1A_jS1B_S1B_jjS1D_bEUljE0_EEESW_SX_SY_S15_S19_S1B_T6_T7_T9_mT8_S1D_bDpT10_ENKUlT_T0_E_clISt17integral_constantIbLb1EES1Q_IbLb0EEEEDaS1M_S1N_EUlS1M_E_NS1_11comp_targetILNS1_3genE5ELNS1_11target_archE942ELNS1_3gpuE9ELNS1_3repE0EEENS1_30default_config_static_selectorELNS0_4arch9wavefront6targetE0EEEvSZ_,comdat
	.globl	_ZN7rocprim17ROCPRIM_400000_NS6detail17trampoline_kernelINS0_13select_configILj256ELj13ELNS0_17block_load_methodE3ELS4_3ELS4_3ELNS0_20block_scan_algorithmE0ELj4294967295EEENS1_25partition_config_selectorILNS1_17partition_subalgoE4EjNS0_10empty_typeEbEEZZNS1_14partition_implILS8_4ELb0ES6_15HIP_vector_typeIjLj2EENS0_17counting_iteratorIjlEEPS9_SG_NS0_5tupleIJPjSI_NS0_16reverse_iteratorISI_EEEEENSH_IJSG_SG_SG_EEES9_SI_JZNS1_25segmented_radix_sort_implINS0_14default_configELb1EPKlPlSQ_SR_N2at6native12_GLOBAL__N_18offset_tEEE10hipError_tPvRmT1_PNSt15iterator_traitsISZ_E10value_typeET2_T3_PNS10_IS15_E10value_typeET4_jRbjT5_S1B_jjP12ihipStream_tbEUljE_ZNSN_ISO_Lb1ESQ_SR_SQ_SR_SV_EESW_SX_SY_SZ_S13_S14_S15_S18_S19_jS1A_jS1B_S1B_jjS1D_bEUljE0_EEESW_SX_SY_S15_S19_S1B_T6_T7_T9_mT8_S1D_bDpT10_ENKUlT_T0_E_clISt17integral_constantIbLb1EES1Q_IbLb0EEEEDaS1M_S1N_EUlS1M_E_NS1_11comp_targetILNS1_3genE5ELNS1_11target_archE942ELNS1_3gpuE9ELNS1_3repE0EEENS1_30default_config_static_selectorELNS0_4arch9wavefront6targetE0EEEvSZ_ ; -- Begin function _ZN7rocprim17ROCPRIM_400000_NS6detail17trampoline_kernelINS0_13select_configILj256ELj13ELNS0_17block_load_methodE3ELS4_3ELS4_3ELNS0_20block_scan_algorithmE0ELj4294967295EEENS1_25partition_config_selectorILNS1_17partition_subalgoE4EjNS0_10empty_typeEbEEZZNS1_14partition_implILS8_4ELb0ES6_15HIP_vector_typeIjLj2EENS0_17counting_iteratorIjlEEPS9_SG_NS0_5tupleIJPjSI_NS0_16reverse_iteratorISI_EEEEENSH_IJSG_SG_SG_EEES9_SI_JZNS1_25segmented_radix_sort_implINS0_14default_configELb1EPKlPlSQ_SR_N2at6native12_GLOBAL__N_18offset_tEEE10hipError_tPvRmT1_PNSt15iterator_traitsISZ_E10value_typeET2_T3_PNS10_IS15_E10value_typeET4_jRbjT5_S1B_jjP12ihipStream_tbEUljE_ZNSN_ISO_Lb1ESQ_SR_SQ_SR_SV_EESW_SX_SY_SZ_S13_S14_S15_S18_S19_jS1A_jS1B_S1B_jjS1D_bEUljE0_EEESW_SX_SY_S15_S19_S1B_T6_T7_T9_mT8_S1D_bDpT10_ENKUlT_T0_E_clISt17integral_constantIbLb1EES1Q_IbLb0EEEEDaS1M_S1N_EUlS1M_E_NS1_11comp_targetILNS1_3genE5ELNS1_11target_archE942ELNS1_3gpuE9ELNS1_3repE0EEENS1_30default_config_static_selectorELNS0_4arch9wavefront6targetE0EEEvSZ_
	.p2align	8
	.type	_ZN7rocprim17ROCPRIM_400000_NS6detail17trampoline_kernelINS0_13select_configILj256ELj13ELNS0_17block_load_methodE3ELS4_3ELS4_3ELNS0_20block_scan_algorithmE0ELj4294967295EEENS1_25partition_config_selectorILNS1_17partition_subalgoE4EjNS0_10empty_typeEbEEZZNS1_14partition_implILS8_4ELb0ES6_15HIP_vector_typeIjLj2EENS0_17counting_iteratorIjlEEPS9_SG_NS0_5tupleIJPjSI_NS0_16reverse_iteratorISI_EEEEENSH_IJSG_SG_SG_EEES9_SI_JZNS1_25segmented_radix_sort_implINS0_14default_configELb1EPKlPlSQ_SR_N2at6native12_GLOBAL__N_18offset_tEEE10hipError_tPvRmT1_PNSt15iterator_traitsISZ_E10value_typeET2_T3_PNS10_IS15_E10value_typeET4_jRbjT5_S1B_jjP12ihipStream_tbEUljE_ZNSN_ISO_Lb1ESQ_SR_SQ_SR_SV_EESW_SX_SY_SZ_S13_S14_S15_S18_S19_jS1A_jS1B_S1B_jjS1D_bEUljE0_EEESW_SX_SY_S15_S19_S1B_T6_T7_T9_mT8_S1D_bDpT10_ENKUlT_T0_E_clISt17integral_constantIbLb1EES1Q_IbLb0EEEEDaS1M_S1N_EUlS1M_E_NS1_11comp_targetILNS1_3genE5ELNS1_11target_archE942ELNS1_3gpuE9ELNS1_3repE0EEENS1_30default_config_static_selectorELNS0_4arch9wavefront6targetE0EEEvSZ_,@function
_ZN7rocprim17ROCPRIM_400000_NS6detail17trampoline_kernelINS0_13select_configILj256ELj13ELNS0_17block_load_methodE3ELS4_3ELS4_3ELNS0_20block_scan_algorithmE0ELj4294967295EEENS1_25partition_config_selectorILNS1_17partition_subalgoE4EjNS0_10empty_typeEbEEZZNS1_14partition_implILS8_4ELb0ES6_15HIP_vector_typeIjLj2EENS0_17counting_iteratorIjlEEPS9_SG_NS0_5tupleIJPjSI_NS0_16reverse_iteratorISI_EEEEENSH_IJSG_SG_SG_EEES9_SI_JZNS1_25segmented_radix_sort_implINS0_14default_configELb1EPKlPlSQ_SR_N2at6native12_GLOBAL__N_18offset_tEEE10hipError_tPvRmT1_PNSt15iterator_traitsISZ_E10value_typeET2_T3_PNS10_IS15_E10value_typeET4_jRbjT5_S1B_jjP12ihipStream_tbEUljE_ZNSN_ISO_Lb1ESQ_SR_SQ_SR_SV_EESW_SX_SY_SZ_S13_S14_S15_S18_S19_jS1A_jS1B_S1B_jjS1D_bEUljE0_EEESW_SX_SY_S15_S19_S1B_T6_T7_T9_mT8_S1D_bDpT10_ENKUlT_T0_E_clISt17integral_constantIbLb1EES1Q_IbLb0EEEEDaS1M_S1N_EUlS1M_E_NS1_11comp_targetILNS1_3genE5ELNS1_11target_archE942ELNS1_3gpuE9ELNS1_3repE0EEENS1_30default_config_static_selectorELNS0_4arch9wavefront6targetE0EEEvSZ_: ; @_ZN7rocprim17ROCPRIM_400000_NS6detail17trampoline_kernelINS0_13select_configILj256ELj13ELNS0_17block_load_methodE3ELS4_3ELS4_3ELNS0_20block_scan_algorithmE0ELj4294967295EEENS1_25partition_config_selectorILNS1_17partition_subalgoE4EjNS0_10empty_typeEbEEZZNS1_14partition_implILS8_4ELb0ES6_15HIP_vector_typeIjLj2EENS0_17counting_iteratorIjlEEPS9_SG_NS0_5tupleIJPjSI_NS0_16reverse_iteratorISI_EEEEENSH_IJSG_SG_SG_EEES9_SI_JZNS1_25segmented_radix_sort_implINS0_14default_configELb1EPKlPlSQ_SR_N2at6native12_GLOBAL__N_18offset_tEEE10hipError_tPvRmT1_PNSt15iterator_traitsISZ_E10value_typeET2_T3_PNS10_IS15_E10value_typeET4_jRbjT5_S1B_jjP12ihipStream_tbEUljE_ZNSN_ISO_Lb1ESQ_SR_SQ_SR_SV_EESW_SX_SY_SZ_S13_S14_S15_S18_S19_jS1A_jS1B_S1B_jjS1D_bEUljE0_EEESW_SX_SY_S15_S19_S1B_T6_T7_T9_mT8_S1D_bDpT10_ENKUlT_T0_E_clISt17integral_constantIbLb1EES1Q_IbLb0EEEEDaS1M_S1N_EUlS1M_E_NS1_11comp_targetILNS1_3genE5ELNS1_11target_archE942ELNS1_3gpuE9ELNS1_3repE0EEENS1_30default_config_static_selectorELNS0_4arch9wavefront6targetE0EEEvSZ_
; %bb.0:
	.section	.rodata,"a",@progbits
	.p2align	6, 0x0
	.amdhsa_kernel _ZN7rocprim17ROCPRIM_400000_NS6detail17trampoline_kernelINS0_13select_configILj256ELj13ELNS0_17block_load_methodE3ELS4_3ELS4_3ELNS0_20block_scan_algorithmE0ELj4294967295EEENS1_25partition_config_selectorILNS1_17partition_subalgoE4EjNS0_10empty_typeEbEEZZNS1_14partition_implILS8_4ELb0ES6_15HIP_vector_typeIjLj2EENS0_17counting_iteratorIjlEEPS9_SG_NS0_5tupleIJPjSI_NS0_16reverse_iteratorISI_EEEEENSH_IJSG_SG_SG_EEES9_SI_JZNS1_25segmented_radix_sort_implINS0_14default_configELb1EPKlPlSQ_SR_N2at6native12_GLOBAL__N_18offset_tEEE10hipError_tPvRmT1_PNSt15iterator_traitsISZ_E10value_typeET2_T3_PNS10_IS15_E10value_typeET4_jRbjT5_S1B_jjP12ihipStream_tbEUljE_ZNSN_ISO_Lb1ESQ_SR_SQ_SR_SV_EESW_SX_SY_SZ_S13_S14_S15_S18_S19_jS1A_jS1B_S1B_jjS1D_bEUljE0_EEESW_SX_SY_S15_S19_S1B_T6_T7_T9_mT8_S1D_bDpT10_ENKUlT_T0_E_clISt17integral_constantIbLb1EES1Q_IbLb0EEEEDaS1M_S1N_EUlS1M_E_NS1_11comp_targetILNS1_3genE5ELNS1_11target_archE942ELNS1_3gpuE9ELNS1_3repE0EEENS1_30default_config_static_selectorELNS0_4arch9wavefront6targetE0EEEvSZ_
		.amdhsa_group_segment_fixed_size 0
		.amdhsa_private_segment_fixed_size 0
		.amdhsa_kernarg_size 176
		.amdhsa_user_sgpr_count 2
		.amdhsa_user_sgpr_dispatch_ptr 0
		.amdhsa_user_sgpr_queue_ptr 0
		.amdhsa_user_sgpr_kernarg_segment_ptr 1
		.amdhsa_user_sgpr_dispatch_id 0
		.amdhsa_user_sgpr_kernarg_preload_length 0
		.amdhsa_user_sgpr_kernarg_preload_offset 0
		.amdhsa_user_sgpr_private_segment_size 0
		.amdhsa_wavefront_size32 1
		.amdhsa_uses_dynamic_stack 0
		.amdhsa_enable_private_segment 0
		.amdhsa_system_sgpr_workgroup_id_x 1
		.amdhsa_system_sgpr_workgroup_id_y 0
		.amdhsa_system_sgpr_workgroup_id_z 0
		.amdhsa_system_sgpr_workgroup_info 0
		.amdhsa_system_vgpr_workitem_id 0
		.amdhsa_next_free_vgpr 1
		.amdhsa_next_free_sgpr 1
		.amdhsa_named_barrier_count 0
		.amdhsa_reserve_vcc 0
		.amdhsa_float_round_mode_32 0
		.amdhsa_float_round_mode_16_64 0
		.amdhsa_float_denorm_mode_32 3
		.amdhsa_float_denorm_mode_16_64 3
		.amdhsa_fp16_overflow 0
		.amdhsa_memory_ordered 1
		.amdhsa_forward_progress 1
		.amdhsa_inst_pref_size 0
		.amdhsa_round_robin_scheduling 0
		.amdhsa_exception_fp_ieee_invalid_op 0
		.amdhsa_exception_fp_denorm_src 0
		.amdhsa_exception_fp_ieee_div_zero 0
		.amdhsa_exception_fp_ieee_overflow 0
		.amdhsa_exception_fp_ieee_underflow 0
		.amdhsa_exception_fp_ieee_inexact 0
		.amdhsa_exception_int_div_zero 0
	.end_amdhsa_kernel
	.section	.text._ZN7rocprim17ROCPRIM_400000_NS6detail17trampoline_kernelINS0_13select_configILj256ELj13ELNS0_17block_load_methodE3ELS4_3ELS4_3ELNS0_20block_scan_algorithmE0ELj4294967295EEENS1_25partition_config_selectorILNS1_17partition_subalgoE4EjNS0_10empty_typeEbEEZZNS1_14partition_implILS8_4ELb0ES6_15HIP_vector_typeIjLj2EENS0_17counting_iteratorIjlEEPS9_SG_NS0_5tupleIJPjSI_NS0_16reverse_iteratorISI_EEEEENSH_IJSG_SG_SG_EEES9_SI_JZNS1_25segmented_radix_sort_implINS0_14default_configELb1EPKlPlSQ_SR_N2at6native12_GLOBAL__N_18offset_tEEE10hipError_tPvRmT1_PNSt15iterator_traitsISZ_E10value_typeET2_T3_PNS10_IS15_E10value_typeET4_jRbjT5_S1B_jjP12ihipStream_tbEUljE_ZNSN_ISO_Lb1ESQ_SR_SQ_SR_SV_EESW_SX_SY_SZ_S13_S14_S15_S18_S19_jS1A_jS1B_S1B_jjS1D_bEUljE0_EEESW_SX_SY_S15_S19_S1B_T6_T7_T9_mT8_S1D_bDpT10_ENKUlT_T0_E_clISt17integral_constantIbLb1EES1Q_IbLb0EEEEDaS1M_S1N_EUlS1M_E_NS1_11comp_targetILNS1_3genE5ELNS1_11target_archE942ELNS1_3gpuE9ELNS1_3repE0EEENS1_30default_config_static_selectorELNS0_4arch9wavefront6targetE0EEEvSZ_,"axG",@progbits,_ZN7rocprim17ROCPRIM_400000_NS6detail17trampoline_kernelINS0_13select_configILj256ELj13ELNS0_17block_load_methodE3ELS4_3ELS4_3ELNS0_20block_scan_algorithmE0ELj4294967295EEENS1_25partition_config_selectorILNS1_17partition_subalgoE4EjNS0_10empty_typeEbEEZZNS1_14partition_implILS8_4ELb0ES6_15HIP_vector_typeIjLj2EENS0_17counting_iteratorIjlEEPS9_SG_NS0_5tupleIJPjSI_NS0_16reverse_iteratorISI_EEEEENSH_IJSG_SG_SG_EEES9_SI_JZNS1_25segmented_radix_sort_implINS0_14default_configELb1EPKlPlSQ_SR_N2at6native12_GLOBAL__N_18offset_tEEE10hipError_tPvRmT1_PNSt15iterator_traitsISZ_E10value_typeET2_T3_PNS10_IS15_E10value_typeET4_jRbjT5_S1B_jjP12ihipStream_tbEUljE_ZNSN_ISO_Lb1ESQ_SR_SQ_SR_SV_EESW_SX_SY_SZ_S13_S14_S15_S18_S19_jS1A_jS1B_S1B_jjS1D_bEUljE0_EEESW_SX_SY_S15_S19_S1B_T6_T7_T9_mT8_S1D_bDpT10_ENKUlT_T0_E_clISt17integral_constantIbLb1EES1Q_IbLb0EEEEDaS1M_S1N_EUlS1M_E_NS1_11comp_targetILNS1_3genE5ELNS1_11target_archE942ELNS1_3gpuE9ELNS1_3repE0EEENS1_30default_config_static_selectorELNS0_4arch9wavefront6targetE0EEEvSZ_,comdat
.Lfunc_end653:
	.size	_ZN7rocprim17ROCPRIM_400000_NS6detail17trampoline_kernelINS0_13select_configILj256ELj13ELNS0_17block_load_methodE3ELS4_3ELS4_3ELNS0_20block_scan_algorithmE0ELj4294967295EEENS1_25partition_config_selectorILNS1_17partition_subalgoE4EjNS0_10empty_typeEbEEZZNS1_14partition_implILS8_4ELb0ES6_15HIP_vector_typeIjLj2EENS0_17counting_iteratorIjlEEPS9_SG_NS0_5tupleIJPjSI_NS0_16reverse_iteratorISI_EEEEENSH_IJSG_SG_SG_EEES9_SI_JZNS1_25segmented_radix_sort_implINS0_14default_configELb1EPKlPlSQ_SR_N2at6native12_GLOBAL__N_18offset_tEEE10hipError_tPvRmT1_PNSt15iterator_traitsISZ_E10value_typeET2_T3_PNS10_IS15_E10value_typeET4_jRbjT5_S1B_jjP12ihipStream_tbEUljE_ZNSN_ISO_Lb1ESQ_SR_SQ_SR_SV_EESW_SX_SY_SZ_S13_S14_S15_S18_S19_jS1A_jS1B_S1B_jjS1D_bEUljE0_EEESW_SX_SY_S15_S19_S1B_T6_T7_T9_mT8_S1D_bDpT10_ENKUlT_T0_E_clISt17integral_constantIbLb1EES1Q_IbLb0EEEEDaS1M_S1N_EUlS1M_E_NS1_11comp_targetILNS1_3genE5ELNS1_11target_archE942ELNS1_3gpuE9ELNS1_3repE0EEENS1_30default_config_static_selectorELNS0_4arch9wavefront6targetE0EEEvSZ_, .Lfunc_end653-_ZN7rocprim17ROCPRIM_400000_NS6detail17trampoline_kernelINS0_13select_configILj256ELj13ELNS0_17block_load_methodE3ELS4_3ELS4_3ELNS0_20block_scan_algorithmE0ELj4294967295EEENS1_25partition_config_selectorILNS1_17partition_subalgoE4EjNS0_10empty_typeEbEEZZNS1_14partition_implILS8_4ELb0ES6_15HIP_vector_typeIjLj2EENS0_17counting_iteratorIjlEEPS9_SG_NS0_5tupleIJPjSI_NS0_16reverse_iteratorISI_EEEEENSH_IJSG_SG_SG_EEES9_SI_JZNS1_25segmented_radix_sort_implINS0_14default_configELb1EPKlPlSQ_SR_N2at6native12_GLOBAL__N_18offset_tEEE10hipError_tPvRmT1_PNSt15iterator_traitsISZ_E10value_typeET2_T3_PNS10_IS15_E10value_typeET4_jRbjT5_S1B_jjP12ihipStream_tbEUljE_ZNSN_ISO_Lb1ESQ_SR_SQ_SR_SV_EESW_SX_SY_SZ_S13_S14_S15_S18_S19_jS1A_jS1B_S1B_jjS1D_bEUljE0_EEESW_SX_SY_S15_S19_S1B_T6_T7_T9_mT8_S1D_bDpT10_ENKUlT_T0_E_clISt17integral_constantIbLb1EES1Q_IbLb0EEEEDaS1M_S1N_EUlS1M_E_NS1_11comp_targetILNS1_3genE5ELNS1_11target_archE942ELNS1_3gpuE9ELNS1_3repE0EEENS1_30default_config_static_selectorELNS0_4arch9wavefront6targetE0EEEvSZ_
                                        ; -- End function
	.set _ZN7rocprim17ROCPRIM_400000_NS6detail17trampoline_kernelINS0_13select_configILj256ELj13ELNS0_17block_load_methodE3ELS4_3ELS4_3ELNS0_20block_scan_algorithmE0ELj4294967295EEENS1_25partition_config_selectorILNS1_17partition_subalgoE4EjNS0_10empty_typeEbEEZZNS1_14partition_implILS8_4ELb0ES6_15HIP_vector_typeIjLj2EENS0_17counting_iteratorIjlEEPS9_SG_NS0_5tupleIJPjSI_NS0_16reverse_iteratorISI_EEEEENSH_IJSG_SG_SG_EEES9_SI_JZNS1_25segmented_radix_sort_implINS0_14default_configELb1EPKlPlSQ_SR_N2at6native12_GLOBAL__N_18offset_tEEE10hipError_tPvRmT1_PNSt15iterator_traitsISZ_E10value_typeET2_T3_PNS10_IS15_E10value_typeET4_jRbjT5_S1B_jjP12ihipStream_tbEUljE_ZNSN_ISO_Lb1ESQ_SR_SQ_SR_SV_EESW_SX_SY_SZ_S13_S14_S15_S18_S19_jS1A_jS1B_S1B_jjS1D_bEUljE0_EEESW_SX_SY_S15_S19_S1B_T6_T7_T9_mT8_S1D_bDpT10_ENKUlT_T0_E_clISt17integral_constantIbLb1EES1Q_IbLb0EEEEDaS1M_S1N_EUlS1M_E_NS1_11comp_targetILNS1_3genE5ELNS1_11target_archE942ELNS1_3gpuE9ELNS1_3repE0EEENS1_30default_config_static_selectorELNS0_4arch9wavefront6targetE0EEEvSZ_.num_vgpr, 0
	.set _ZN7rocprim17ROCPRIM_400000_NS6detail17trampoline_kernelINS0_13select_configILj256ELj13ELNS0_17block_load_methodE3ELS4_3ELS4_3ELNS0_20block_scan_algorithmE0ELj4294967295EEENS1_25partition_config_selectorILNS1_17partition_subalgoE4EjNS0_10empty_typeEbEEZZNS1_14partition_implILS8_4ELb0ES6_15HIP_vector_typeIjLj2EENS0_17counting_iteratorIjlEEPS9_SG_NS0_5tupleIJPjSI_NS0_16reverse_iteratorISI_EEEEENSH_IJSG_SG_SG_EEES9_SI_JZNS1_25segmented_radix_sort_implINS0_14default_configELb1EPKlPlSQ_SR_N2at6native12_GLOBAL__N_18offset_tEEE10hipError_tPvRmT1_PNSt15iterator_traitsISZ_E10value_typeET2_T3_PNS10_IS15_E10value_typeET4_jRbjT5_S1B_jjP12ihipStream_tbEUljE_ZNSN_ISO_Lb1ESQ_SR_SQ_SR_SV_EESW_SX_SY_SZ_S13_S14_S15_S18_S19_jS1A_jS1B_S1B_jjS1D_bEUljE0_EEESW_SX_SY_S15_S19_S1B_T6_T7_T9_mT8_S1D_bDpT10_ENKUlT_T0_E_clISt17integral_constantIbLb1EES1Q_IbLb0EEEEDaS1M_S1N_EUlS1M_E_NS1_11comp_targetILNS1_3genE5ELNS1_11target_archE942ELNS1_3gpuE9ELNS1_3repE0EEENS1_30default_config_static_selectorELNS0_4arch9wavefront6targetE0EEEvSZ_.num_agpr, 0
	.set _ZN7rocprim17ROCPRIM_400000_NS6detail17trampoline_kernelINS0_13select_configILj256ELj13ELNS0_17block_load_methodE3ELS4_3ELS4_3ELNS0_20block_scan_algorithmE0ELj4294967295EEENS1_25partition_config_selectorILNS1_17partition_subalgoE4EjNS0_10empty_typeEbEEZZNS1_14partition_implILS8_4ELb0ES6_15HIP_vector_typeIjLj2EENS0_17counting_iteratorIjlEEPS9_SG_NS0_5tupleIJPjSI_NS0_16reverse_iteratorISI_EEEEENSH_IJSG_SG_SG_EEES9_SI_JZNS1_25segmented_radix_sort_implINS0_14default_configELb1EPKlPlSQ_SR_N2at6native12_GLOBAL__N_18offset_tEEE10hipError_tPvRmT1_PNSt15iterator_traitsISZ_E10value_typeET2_T3_PNS10_IS15_E10value_typeET4_jRbjT5_S1B_jjP12ihipStream_tbEUljE_ZNSN_ISO_Lb1ESQ_SR_SQ_SR_SV_EESW_SX_SY_SZ_S13_S14_S15_S18_S19_jS1A_jS1B_S1B_jjS1D_bEUljE0_EEESW_SX_SY_S15_S19_S1B_T6_T7_T9_mT8_S1D_bDpT10_ENKUlT_T0_E_clISt17integral_constantIbLb1EES1Q_IbLb0EEEEDaS1M_S1N_EUlS1M_E_NS1_11comp_targetILNS1_3genE5ELNS1_11target_archE942ELNS1_3gpuE9ELNS1_3repE0EEENS1_30default_config_static_selectorELNS0_4arch9wavefront6targetE0EEEvSZ_.numbered_sgpr, 0
	.set _ZN7rocprim17ROCPRIM_400000_NS6detail17trampoline_kernelINS0_13select_configILj256ELj13ELNS0_17block_load_methodE3ELS4_3ELS4_3ELNS0_20block_scan_algorithmE0ELj4294967295EEENS1_25partition_config_selectorILNS1_17partition_subalgoE4EjNS0_10empty_typeEbEEZZNS1_14partition_implILS8_4ELb0ES6_15HIP_vector_typeIjLj2EENS0_17counting_iteratorIjlEEPS9_SG_NS0_5tupleIJPjSI_NS0_16reverse_iteratorISI_EEEEENSH_IJSG_SG_SG_EEES9_SI_JZNS1_25segmented_radix_sort_implINS0_14default_configELb1EPKlPlSQ_SR_N2at6native12_GLOBAL__N_18offset_tEEE10hipError_tPvRmT1_PNSt15iterator_traitsISZ_E10value_typeET2_T3_PNS10_IS15_E10value_typeET4_jRbjT5_S1B_jjP12ihipStream_tbEUljE_ZNSN_ISO_Lb1ESQ_SR_SQ_SR_SV_EESW_SX_SY_SZ_S13_S14_S15_S18_S19_jS1A_jS1B_S1B_jjS1D_bEUljE0_EEESW_SX_SY_S15_S19_S1B_T6_T7_T9_mT8_S1D_bDpT10_ENKUlT_T0_E_clISt17integral_constantIbLb1EES1Q_IbLb0EEEEDaS1M_S1N_EUlS1M_E_NS1_11comp_targetILNS1_3genE5ELNS1_11target_archE942ELNS1_3gpuE9ELNS1_3repE0EEENS1_30default_config_static_selectorELNS0_4arch9wavefront6targetE0EEEvSZ_.num_named_barrier, 0
	.set _ZN7rocprim17ROCPRIM_400000_NS6detail17trampoline_kernelINS0_13select_configILj256ELj13ELNS0_17block_load_methodE3ELS4_3ELS4_3ELNS0_20block_scan_algorithmE0ELj4294967295EEENS1_25partition_config_selectorILNS1_17partition_subalgoE4EjNS0_10empty_typeEbEEZZNS1_14partition_implILS8_4ELb0ES6_15HIP_vector_typeIjLj2EENS0_17counting_iteratorIjlEEPS9_SG_NS0_5tupleIJPjSI_NS0_16reverse_iteratorISI_EEEEENSH_IJSG_SG_SG_EEES9_SI_JZNS1_25segmented_radix_sort_implINS0_14default_configELb1EPKlPlSQ_SR_N2at6native12_GLOBAL__N_18offset_tEEE10hipError_tPvRmT1_PNSt15iterator_traitsISZ_E10value_typeET2_T3_PNS10_IS15_E10value_typeET4_jRbjT5_S1B_jjP12ihipStream_tbEUljE_ZNSN_ISO_Lb1ESQ_SR_SQ_SR_SV_EESW_SX_SY_SZ_S13_S14_S15_S18_S19_jS1A_jS1B_S1B_jjS1D_bEUljE0_EEESW_SX_SY_S15_S19_S1B_T6_T7_T9_mT8_S1D_bDpT10_ENKUlT_T0_E_clISt17integral_constantIbLb1EES1Q_IbLb0EEEEDaS1M_S1N_EUlS1M_E_NS1_11comp_targetILNS1_3genE5ELNS1_11target_archE942ELNS1_3gpuE9ELNS1_3repE0EEENS1_30default_config_static_selectorELNS0_4arch9wavefront6targetE0EEEvSZ_.private_seg_size, 0
	.set _ZN7rocprim17ROCPRIM_400000_NS6detail17trampoline_kernelINS0_13select_configILj256ELj13ELNS0_17block_load_methodE3ELS4_3ELS4_3ELNS0_20block_scan_algorithmE0ELj4294967295EEENS1_25partition_config_selectorILNS1_17partition_subalgoE4EjNS0_10empty_typeEbEEZZNS1_14partition_implILS8_4ELb0ES6_15HIP_vector_typeIjLj2EENS0_17counting_iteratorIjlEEPS9_SG_NS0_5tupleIJPjSI_NS0_16reverse_iteratorISI_EEEEENSH_IJSG_SG_SG_EEES9_SI_JZNS1_25segmented_radix_sort_implINS0_14default_configELb1EPKlPlSQ_SR_N2at6native12_GLOBAL__N_18offset_tEEE10hipError_tPvRmT1_PNSt15iterator_traitsISZ_E10value_typeET2_T3_PNS10_IS15_E10value_typeET4_jRbjT5_S1B_jjP12ihipStream_tbEUljE_ZNSN_ISO_Lb1ESQ_SR_SQ_SR_SV_EESW_SX_SY_SZ_S13_S14_S15_S18_S19_jS1A_jS1B_S1B_jjS1D_bEUljE0_EEESW_SX_SY_S15_S19_S1B_T6_T7_T9_mT8_S1D_bDpT10_ENKUlT_T0_E_clISt17integral_constantIbLb1EES1Q_IbLb0EEEEDaS1M_S1N_EUlS1M_E_NS1_11comp_targetILNS1_3genE5ELNS1_11target_archE942ELNS1_3gpuE9ELNS1_3repE0EEENS1_30default_config_static_selectorELNS0_4arch9wavefront6targetE0EEEvSZ_.uses_vcc, 0
	.set _ZN7rocprim17ROCPRIM_400000_NS6detail17trampoline_kernelINS0_13select_configILj256ELj13ELNS0_17block_load_methodE3ELS4_3ELS4_3ELNS0_20block_scan_algorithmE0ELj4294967295EEENS1_25partition_config_selectorILNS1_17partition_subalgoE4EjNS0_10empty_typeEbEEZZNS1_14partition_implILS8_4ELb0ES6_15HIP_vector_typeIjLj2EENS0_17counting_iteratorIjlEEPS9_SG_NS0_5tupleIJPjSI_NS0_16reverse_iteratorISI_EEEEENSH_IJSG_SG_SG_EEES9_SI_JZNS1_25segmented_radix_sort_implINS0_14default_configELb1EPKlPlSQ_SR_N2at6native12_GLOBAL__N_18offset_tEEE10hipError_tPvRmT1_PNSt15iterator_traitsISZ_E10value_typeET2_T3_PNS10_IS15_E10value_typeET4_jRbjT5_S1B_jjP12ihipStream_tbEUljE_ZNSN_ISO_Lb1ESQ_SR_SQ_SR_SV_EESW_SX_SY_SZ_S13_S14_S15_S18_S19_jS1A_jS1B_S1B_jjS1D_bEUljE0_EEESW_SX_SY_S15_S19_S1B_T6_T7_T9_mT8_S1D_bDpT10_ENKUlT_T0_E_clISt17integral_constantIbLb1EES1Q_IbLb0EEEEDaS1M_S1N_EUlS1M_E_NS1_11comp_targetILNS1_3genE5ELNS1_11target_archE942ELNS1_3gpuE9ELNS1_3repE0EEENS1_30default_config_static_selectorELNS0_4arch9wavefront6targetE0EEEvSZ_.uses_flat_scratch, 0
	.set _ZN7rocprim17ROCPRIM_400000_NS6detail17trampoline_kernelINS0_13select_configILj256ELj13ELNS0_17block_load_methodE3ELS4_3ELS4_3ELNS0_20block_scan_algorithmE0ELj4294967295EEENS1_25partition_config_selectorILNS1_17partition_subalgoE4EjNS0_10empty_typeEbEEZZNS1_14partition_implILS8_4ELb0ES6_15HIP_vector_typeIjLj2EENS0_17counting_iteratorIjlEEPS9_SG_NS0_5tupleIJPjSI_NS0_16reverse_iteratorISI_EEEEENSH_IJSG_SG_SG_EEES9_SI_JZNS1_25segmented_radix_sort_implINS0_14default_configELb1EPKlPlSQ_SR_N2at6native12_GLOBAL__N_18offset_tEEE10hipError_tPvRmT1_PNSt15iterator_traitsISZ_E10value_typeET2_T3_PNS10_IS15_E10value_typeET4_jRbjT5_S1B_jjP12ihipStream_tbEUljE_ZNSN_ISO_Lb1ESQ_SR_SQ_SR_SV_EESW_SX_SY_SZ_S13_S14_S15_S18_S19_jS1A_jS1B_S1B_jjS1D_bEUljE0_EEESW_SX_SY_S15_S19_S1B_T6_T7_T9_mT8_S1D_bDpT10_ENKUlT_T0_E_clISt17integral_constantIbLb1EES1Q_IbLb0EEEEDaS1M_S1N_EUlS1M_E_NS1_11comp_targetILNS1_3genE5ELNS1_11target_archE942ELNS1_3gpuE9ELNS1_3repE0EEENS1_30default_config_static_selectorELNS0_4arch9wavefront6targetE0EEEvSZ_.has_dyn_sized_stack, 0
	.set _ZN7rocprim17ROCPRIM_400000_NS6detail17trampoline_kernelINS0_13select_configILj256ELj13ELNS0_17block_load_methodE3ELS4_3ELS4_3ELNS0_20block_scan_algorithmE0ELj4294967295EEENS1_25partition_config_selectorILNS1_17partition_subalgoE4EjNS0_10empty_typeEbEEZZNS1_14partition_implILS8_4ELb0ES6_15HIP_vector_typeIjLj2EENS0_17counting_iteratorIjlEEPS9_SG_NS0_5tupleIJPjSI_NS0_16reverse_iteratorISI_EEEEENSH_IJSG_SG_SG_EEES9_SI_JZNS1_25segmented_radix_sort_implINS0_14default_configELb1EPKlPlSQ_SR_N2at6native12_GLOBAL__N_18offset_tEEE10hipError_tPvRmT1_PNSt15iterator_traitsISZ_E10value_typeET2_T3_PNS10_IS15_E10value_typeET4_jRbjT5_S1B_jjP12ihipStream_tbEUljE_ZNSN_ISO_Lb1ESQ_SR_SQ_SR_SV_EESW_SX_SY_SZ_S13_S14_S15_S18_S19_jS1A_jS1B_S1B_jjS1D_bEUljE0_EEESW_SX_SY_S15_S19_S1B_T6_T7_T9_mT8_S1D_bDpT10_ENKUlT_T0_E_clISt17integral_constantIbLb1EES1Q_IbLb0EEEEDaS1M_S1N_EUlS1M_E_NS1_11comp_targetILNS1_3genE5ELNS1_11target_archE942ELNS1_3gpuE9ELNS1_3repE0EEENS1_30default_config_static_selectorELNS0_4arch9wavefront6targetE0EEEvSZ_.has_recursion, 0
	.set _ZN7rocprim17ROCPRIM_400000_NS6detail17trampoline_kernelINS0_13select_configILj256ELj13ELNS0_17block_load_methodE3ELS4_3ELS4_3ELNS0_20block_scan_algorithmE0ELj4294967295EEENS1_25partition_config_selectorILNS1_17partition_subalgoE4EjNS0_10empty_typeEbEEZZNS1_14partition_implILS8_4ELb0ES6_15HIP_vector_typeIjLj2EENS0_17counting_iteratorIjlEEPS9_SG_NS0_5tupleIJPjSI_NS0_16reverse_iteratorISI_EEEEENSH_IJSG_SG_SG_EEES9_SI_JZNS1_25segmented_radix_sort_implINS0_14default_configELb1EPKlPlSQ_SR_N2at6native12_GLOBAL__N_18offset_tEEE10hipError_tPvRmT1_PNSt15iterator_traitsISZ_E10value_typeET2_T3_PNS10_IS15_E10value_typeET4_jRbjT5_S1B_jjP12ihipStream_tbEUljE_ZNSN_ISO_Lb1ESQ_SR_SQ_SR_SV_EESW_SX_SY_SZ_S13_S14_S15_S18_S19_jS1A_jS1B_S1B_jjS1D_bEUljE0_EEESW_SX_SY_S15_S19_S1B_T6_T7_T9_mT8_S1D_bDpT10_ENKUlT_T0_E_clISt17integral_constantIbLb1EES1Q_IbLb0EEEEDaS1M_S1N_EUlS1M_E_NS1_11comp_targetILNS1_3genE5ELNS1_11target_archE942ELNS1_3gpuE9ELNS1_3repE0EEENS1_30default_config_static_selectorELNS0_4arch9wavefront6targetE0EEEvSZ_.has_indirect_call, 0
	.section	.AMDGPU.csdata,"",@progbits
; Kernel info:
; codeLenInByte = 0
; TotalNumSgprs: 0
; NumVgprs: 0
; ScratchSize: 0
; MemoryBound: 0
; FloatMode: 240
; IeeeMode: 1
; LDSByteSize: 0 bytes/workgroup (compile time only)
; SGPRBlocks: 0
; VGPRBlocks: 0
; NumSGPRsForWavesPerEU: 1
; NumVGPRsForWavesPerEU: 1
; NamedBarCnt: 0
; Occupancy: 16
; WaveLimiterHint : 0
; COMPUTE_PGM_RSRC2:SCRATCH_EN: 0
; COMPUTE_PGM_RSRC2:USER_SGPR: 2
; COMPUTE_PGM_RSRC2:TRAP_HANDLER: 0
; COMPUTE_PGM_RSRC2:TGID_X_EN: 1
; COMPUTE_PGM_RSRC2:TGID_Y_EN: 0
; COMPUTE_PGM_RSRC2:TGID_Z_EN: 0
; COMPUTE_PGM_RSRC2:TIDIG_COMP_CNT: 0
	.section	.text._ZN7rocprim17ROCPRIM_400000_NS6detail17trampoline_kernelINS0_13select_configILj256ELj13ELNS0_17block_load_methodE3ELS4_3ELS4_3ELNS0_20block_scan_algorithmE0ELj4294967295EEENS1_25partition_config_selectorILNS1_17partition_subalgoE4EjNS0_10empty_typeEbEEZZNS1_14partition_implILS8_4ELb0ES6_15HIP_vector_typeIjLj2EENS0_17counting_iteratorIjlEEPS9_SG_NS0_5tupleIJPjSI_NS0_16reverse_iteratorISI_EEEEENSH_IJSG_SG_SG_EEES9_SI_JZNS1_25segmented_radix_sort_implINS0_14default_configELb1EPKlPlSQ_SR_N2at6native12_GLOBAL__N_18offset_tEEE10hipError_tPvRmT1_PNSt15iterator_traitsISZ_E10value_typeET2_T3_PNS10_IS15_E10value_typeET4_jRbjT5_S1B_jjP12ihipStream_tbEUljE_ZNSN_ISO_Lb1ESQ_SR_SQ_SR_SV_EESW_SX_SY_SZ_S13_S14_S15_S18_S19_jS1A_jS1B_S1B_jjS1D_bEUljE0_EEESW_SX_SY_S15_S19_S1B_T6_T7_T9_mT8_S1D_bDpT10_ENKUlT_T0_E_clISt17integral_constantIbLb1EES1Q_IbLb0EEEEDaS1M_S1N_EUlS1M_E_NS1_11comp_targetILNS1_3genE4ELNS1_11target_archE910ELNS1_3gpuE8ELNS1_3repE0EEENS1_30default_config_static_selectorELNS0_4arch9wavefront6targetE0EEEvSZ_,"axG",@progbits,_ZN7rocprim17ROCPRIM_400000_NS6detail17trampoline_kernelINS0_13select_configILj256ELj13ELNS0_17block_load_methodE3ELS4_3ELS4_3ELNS0_20block_scan_algorithmE0ELj4294967295EEENS1_25partition_config_selectorILNS1_17partition_subalgoE4EjNS0_10empty_typeEbEEZZNS1_14partition_implILS8_4ELb0ES6_15HIP_vector_typeIjLj2EENS0_17counting_iteratorIjlEEPS9_SG_NS0_5tupleIJPjSI_NS0_16reverse_iteratorISI_EEEEENSH_IJSG_SG_SG_EEES9_SI_JZNS1_25segmented_radix_sort_implINS0_14default_configELb1EPKlPlSQ_SR_N2at6native12_GLOBAL__N_18offset_tEEE10hipError_tPvRmT1_PNSt15iterator_traitsISZ_E10value_typeET2_T3_PNS10_IS15_E10value_typeET4_jRbjT5_S1B_jjP12ihipStream_tbEUljE_ZNSN_ISO_Lb1ESQ_SR_SQ_SR_SV_EESW_SX_SY_SZ_S13_S14_S15_S18_S19_jS1A_jS1B_S1B_jjS1D_bEUljE0_EEESW_SX_SY_S15_S19_S1B_T6_T7_T9_mT8_S1D_bDpT10_ENKUlT_T0_E_clISt17integral_constantIbLb1EES1Q_IbLb0EEEEDaS1M_S1N_EUlS1M_E_NS1_11comp_targetILNS1_3genE4ELNS1_11target_archE910ELNS1_3gpuE8ELNS1_3repE0EEENS1_30default_config_static_selectorELNS0_4arch9wavefront6targetE0EEEvSZ_,comdat
	.globl	_ZN7rocprim17ROCPRIM_400000_NS6detail17trampoline_kernelINS0_13select_configILj256ELj13ELNS0_17block_load_methodE3ELS4_3ELS4_3ELNS0_20block_scan_algorithmE0ELj4294967295EEENS1_25partition_config_selectorILNS1_17partition_subalgoE4EjNS0_10empty_typeEbEEZZNS1_14partition_implILS8_4ELb0ES6_15HIP_vector_typeIjLj2EENS0_17counting_iteratorIjlEEPS9_SG_NS0_5tupleIJPjSI_NS0_16reverse_iteratorISI_EEEEENSH_IJSG_SG_SG_EEES9_SI_JZNS1_25segmented_radix_sort_implINS0_14default_configELb1EPKlPlSQ_SR_N2at6native12_GLOBAL__N_18offset_tEEE10hipError_tPvRmT1_PNSt15iterator_traitsISZ_E10value_typeET2_T3_PNS10_IS15_E10value_typeET4_jRbjT5_S1B_jjP12ihipStream_tbEUljE_ZNSN_ISO_Lb1ESQ_SR_SQ_SR_SV_EESW_SX_SY_SZ_S13_S14_S15_S18_S19_jS1A_jS1B_S1B_jjS1D_bEUljE0_EEESW_SX_SY_S15_S19_S1B_T6_T7_T9_mT8_S1D_bDpT10_ENKUlT_T0_E_clISt17integral_constantIbLb1EES1Q_IbLb0EEEEDaS1M_S1N_EUlS1M_E_NS1_11comp_targetILNS1_3genE4ELNS1_11target_archE910ELNS1_3gpuE8ELNS1_3repE0EEENS1_30default_config_static_selectorELNS0_4arch9wavefront6targetE0EEEvSZ_ ; -- Begin function _ZN7rocprim17ROCPRIM_400000_NS6detail17trampoline_kernelINS0_13select_configILj256ELj13ELNS0_17block_load_methodE3ELS4_3ELS4_3ELNS0_20block_scan_algorithmE0ELj4294967295EEENS1_25partition_config_selectorILNS1_17partition_subalgoE4EjNS0_10empty_typeEbEEZZNS1_14partition_implILS8_4ELb0ES6_15HIP_vector_typeIjLj2EENS0_17counting_iteratorIjlEEPS9_SG_NS0_5tupleIJPjSI_NS0_16reverse_iteratorISI_EEEEENSH_IJSG_SG_SG_EEES9_SI_JZNS1_25segmented_radix_sort_implINS0_14default_configELb1EPKlPlSQ_SR_N2at6native12_GLOBAL__N_18offset_tEEE10hipError_tPvRmT1_PNSt15iterator_traitsISZ_E10value_typeET2_T3_PNS10_IS15_E10value_typeET4_jRbjT5_S1B_jjP12ihipStream_tbEUljE_ZNSN_ISO_Lb1ESQ_SR_SQ_SR_SV_EESW_SX_SY_SZ_S13_S14_S15_S18_S19_jS1A_jS1B_S1B_jjS1D_bEUljE0_EEESW_SX_SY_S15_S19_S1B_T6_T7_T9_mT8_S1D_bDpT10_ENKUlT_T0_E_clISt17integral_constantIbLb1EES1Q_IbLb0EEEEDaS1M_S1N_EUlS1M_E_NS1_11comp_targetILNS1_3genE4ELNS1_11target_archE910ELNS1_3gpuE8ELNS1_3repE0EEENS1_30default_config_static_selectorELNS0_4arch9wavefront6targetE0EEEvSZ_
	.p2align	8
	.type	_ZN7rocprim17ROCPRIM_400000_NS6detail17trampoline_kernelINS0_13select_configILj256ELj13ELNS0_17block_load_methodE3ELS4_3ELS4_3ELNS0_20block_scan_algorithmE0ELj4294967295EEENS1_25partition_config_selectorILNS1_17partition_subalgoE4EjNS0_10empty_typeEbEEZZNS1_14partition_implILS8_4ELb0ES6_15HIP_vector_typeIjLj2EENS0_17counting_iteratorIjlEEPS9_SG_NS0_5tupleIJPjSI_NS0_16reverse_iteratorISI_EEEEENSH_IJSG_SG_SG_EEES9_SI_JZNS1_25segmented_radix_sort_implINS0_14default_configELb1EPKlPlSQ_SR_N2at6native12_GLOBAL__N_18offset_tEEE10hipError_tPvRmT1_PNSt15iterator_traitsISZ_E10value_typeET2_T3_PNS10_IS15_E10value_typeET4_jRbjT5_S1B_jjP12ihipStream_tbEUljE_ZNSN_ISO_Lb1ESQ_SR_SQ_SR_SV_EESW_SX_SY_SZ_S13_S14_S15_S18_S19_jS1A_jS1B_S1B_jjS1D_bEUljE0_EEESW_SX_SY_S15_S19_S1B_T6_T7_T9_mT8_S1D_bDpT10_ENKUlT_T0_E_clISt17integral_constantIbLb1EES1Q_IbLb0EEEEDaS1M_S1N_EUlS1M_E_NS1_11comp_targetILNS1_3genE4ELNS1_11target_archE910ELNS1_3gpuE8ELNS1_3repE0EEENS1_30default_config_static_selectorELNS0_4arch9wavefront6targetE0EEEvSZ_,@function
_ZN7rocprim17ROCPRIM_400000_NS6detail17trampoline_kernelINS0_13select_configILj256ELj13ELNS0_17block_load_methodE3ELS4_3ELS4_3ELNS0_20block_scan_algorithmE0ELj4294967295EEENS1_25partition_config_selectorILNS1_17partition_subalgoE4EjNS0_10empty_typeEbEEZZNS1_14partition_implILS8_4ELb0ES6_15HIP_vector_typeIjLj2EENS0_17counting_iteratorIjlEEPS9_SG_NS0_5tupleIJPjSI_NS0_16reverse_iteratorISI_EEEEENSH_IJSG_SG_SG_EEES9_SI_JZNS1_25segmented_radix_sort_implINS0_14default_configELb1EPKlPlSQ_SR_N2at6native12_GLOBAL__N_18offset_tEEE10hipError_tPvRmT1_PNSt15iterator_traitsISZ_E10value_typeET2_T3_PNS10_IS15_E10value_typeET4_jRbjT5_S1B_jjP12ihipStream_tbEUljE_ZNSN_ISO_Lb1ESQ_SR_SQ_SR_SV_EESW_SX_SY_SZ_S13_S14_S15_S18_S19_jS1A_jS1B_S1B_jjS1D_bEUljE0_EEESW_SX_SY_S15_S19_S1B_T6_T7_T9_mT8_S1D_bDpT10_ENKUlT_T0_E_clISt17integral_constantIbLb1EES1Q_IbLb0EEEEDaS1M_S1N_EUlS1M_E_NS1_11comp_targetILNS1_3genE4ELNS1_11target_archE910ELNS1_3gpuE8ELNS1_3repE0EEENS1_30default_config_static_selectorELNS0_4arch9wavefront6targetE0EEEvSZ_: ; @_ZN7rocprim17ROCPRIM_400000_NS6detail17trampoline_kernelINS0_13select_configILj256ELj13ELNS0_17block_load_methodE3ELS4_3ELS4_3ELNS0_20block_scan_algorithmE0ELj4294967295EEENS1_25partition_config_selectorILNS1_17partition_subalgoE4EjNS0_10empty_typeEbEEZZNS1_14partition_implILS8_4ELb0ES6_15HIP_vector_typeIjLj2EENS0_17counting_iteratorIjlEEPS9_SG_NS0_5tupleIJPjSI_NS0_16reverse_iteratorISI_EEEEENSH_IJSG_SG_SG_EEES9_SI_JZNS1_25segmented_radix_sort_implINS0_14default_configELb1EPKlPlSQ_SR_N2at6native12_GLOBAL__N_18offset_tEEE10hipError_tPvRmT1_PNSt15iterator_traitsISZ_E10value_typeET2_T3_PNS10_IS15_E10value_typeET4_jRbjT5_S1B_jjP12ihipStream_tbEUljE_ZNSN_ISO_Lb1ESQ_SR_SQ_SR_SV_EESW_SX_SY_SZ_S13_S14_S15_S18_S19_jS1A_jS1B_S1B_jjS1D_bEUljE0_EEESW_SX_SY_S15_S19_S1B_T6_T7_T9_mT8_S1D_bDpT10_ENKUlT_T0_E_clISt17integral_constantIbLb1EES1Q_IbLb0EEEEDaS1M_S1N_EUlS1M_E_NS1_11comp_targetILNS1_3genE4ELNS1_11target_archE910ELNS1_3gpuE8ELNS1_3repE0EEENS1_30default_config_static_selectorELNS0_4arch9wavefront6targetE0EEEvSZ_
; %bb.0:
	.section	.rodata,"a",@progbits
	.p2align	6, 0x0
	.amdhsa_kernel _ZN7rocprim17ROCPRIM_400000_NS6detail17trampoline_kernelINS0_13select_configILj256ELj13ELNS0_17block_load_methodE3ELS4_3ELS4_3ELNS0_20block_scan_algorithmE0ELj4294967295EEENS1_25partition_config_selectorILNS1_17partition_subalgoE4EjNS0_10empty_typeEbEEZZNS1_14partition_implILS8_4ELb0ES6_15HIP_vector_typeIjLj2EENS0_17counting_iteratorIjlEEPS9_SG_NS0_5tupleIJPjSI_NS0_16reverse_iteratorISI_EEEEENSH_IJSG_SG_SG_EEES9_SI_JZNS1_25segmented_radix_sort_implINS0_14default_configELb1EPKlPlSQ_SR_N2at6native12_GLOBAL__N_18offset_tEEE10hipError_tPvRmT1_PNSt15iterator_traitsISZ_E10value_typeET2_T3_PNS10_IS15_E10value_typeET4_jRbjT5_S1B_jjP12ihipStream_tbEUljE_ZNSN_ISO_Lb1ESQ_SR_SQ_SR_SV_EESW_SX_SY_SZ_S13_S14_S15_S18_S19_jS1A_jS1B_S1B_jjS1D_bEUljE0_EEESW_SX_SY_S15_S19_S1B_T6_T7_T9_mT8_S1D_bDpT10_ENKUlT_T0_E_clISt17integral_constantIbLb1EES1Q_IbLb0EEEEDaS1M_S1N_EUlS1M_E_NS1_11comp_targetILNS1_3genE4ELNS1_11target_archE910ELNS1_3gpuE8ELNS1_3repE0EEENS1_30default_config_static_selectorELNS0_4arch9wavefront6targetE0EEEvSZ_
		.amdhsa_group_segment_fixed_size 0
		.amdhsa_private_segment_fixed_size 0
		.amdhsa_kernarg_size 176
		.amdhsa_user_sgpr_count 2
		.amdhsa_user_sgpr_dispatch_ptr 0
		.amdhsa_user_sgpr_queue_ptr 0
		.amdhsa_user_sgpr_kernarg_segment_ptr 1
		.amdhsa_user_sgpr_dispatch_id 0
		.amdhsa_user_sgpr_kernarg_preload_length 0
		.amdhsa_user_sgpr_kernarg_preload_offset 0
		.amdhsa_user_sgpr_private_segment_size 0
		.amdhsa_wavefront_size32 1
		.amdhsa_uses_dynamic_stack 0
		.amdhsa_enable_private_segment 0
		.amdhsa_system_sgpr_workgroup_id_x 1
		.amdhsa_system_sgpr_workgroup_id_y 0
		.amdhsa_system_sgpr_workgroup_id_z 0
		.amdhsa_system_sgpr_workgroup_info 0
		.amdhsa_system_vgpr_workitem_id 0
		.amdhsa_next_free_vgpr 1
		.amdhsa_next_free_sgpr 1
		.amdhsa_named_barrier_count 0
		.amdhsa_reserve_vcc 0
		.amdhsa_float_round_mode_32 0
		.amdhsa_float_round_mode_16_64 0
		.amdhsa_float_denorm_mode_32 3
		.amdhsa_float_denorm_mode_16_64 3
		.amdhsa_fp16_overflow 0
		.amdhsa_memory_ordered 1
		.amdhsa_forward_progress 1
		.amdhsa_inst_pref_size 0
		.amdhsa_round_robin_scheduling 0
		.amdhsa_exception_fp_ieee_invalid_op 0
		.amdhsa_exception_fp_denorm_src 0
		.amdhsa_exception_fp_ieee_div_zero 0
		.amdhsa_exception_fp_ieee_overflow 0
		.amdhsa_exception_fp_ieee_underflow 0
		.amdhsa_exception_fp_ieee_inexact 0
		.amdhsa_exception_int_div_zero 0
	.end_amdhsa_kernel
	.section	.text._ZN7rocprim17ROCPRIM_400000_NS6detail17trampoline_kernelINS0_13select_configILj256ELj13ELNS0_17block_load_methodE3ELS4_3ELS4_3ELNS0_20block_scan_algorithmE0ELj4294967295EEENS1_25partition_config_selectorILNS1_17partition_subalgoE4EjNS0_10empty_typeEbEEZZNS1_14partition_implILS8_4ELb0ES6_15HIP_vector_typeIjLj2EENS0_17counting_iteratorIjlEEPS9_SG_NS0_5tupleIJPjSI_NS0_16reverse_iteratorISI_EEEEENSH_IJSG_SG_SG_EEES9_SI_JZNS1_25segmented_radix_sort_implINS0_14default_configELb1EPKlPlSQ_SR_N2at6native12_GLOBAL__N_18offset_tEEE10hipError_tPvRmT1_PNSt15iterator_traitsISZ_E10value_typeET2_T3_PNS10_IS15_E10value_typeET4_jRbjT5_S1B_jjP12ihipStream_tbEUljE_ZNSN_ISO_Lb1ESQ_SR_SQ_SR_SV_EESW_SX_SY_SZ_S13_S14_S15_S18_S19_jS1A_jS1B_S1B_jjS1D_bEUljE0_EEESW_SX_SY_S15_S19_S1B_T6_T7_T9_mT8_S1D_bDpT10_ENKUlT_T0_E_clISt17integral_constantIbLb1EES1Q_IbLb0EEEEDaS1M_S1N_EUlS1M_E_NS1_11comp_targetILNS1_3genE4ELNS1_11target_archE910ELNS1_3gpuE8ELNS1_3repE0EEENS1_30default_config_static_selectorELNS0_4arch9wavefront6targetE0EEEvSZ_,"axG",@progbits,_ZN7rocprim17ROCPRIM_400000_NS6detail17trampoline_kernelINS0_13select_configILj256ELj13ELNS0_17block_load_methodE3ELS4_3ELS4_3ELNS0_20block_scan_algorithmE0ELj4294967295EEENS1_25partition_config_selectorILNS1_17partition_subalgoE4EjNS0_10empty_typeEbEEZZNS1_14partition_implILS8_4ELb0ES6_15HIP_vector_typeIjLj2EENS0_17counting_iteratorIjlEEPS9_SG_NS0_5tupleIJPjSI_NS0_16reverse_iteratorISI_EEEEENSH_IJSG_SG_SG_EEES9_SI_JZNS1_25segmented_radix_sort_implINS0_14default_configELb1EPKlPlSQ_SR_N2at6native12_GLOBAL__N_18offset_tEEE10hipError_tPvRmT1_PNSt15iterator_traitsISZ_E10value_typeET2_T3_PNS10_IS15_E10value_typeET4_jRbjT5_S1B_jjP12ihipStream_tbEUljE_ZNSN_ISO_Lb1ESQ_SR_SQ_SR_SV_EESW_SX_SY_SZ_S13_S14_S15_S18_S19_jS1A_jS1B_S1B_jjS1D_bEUljE0_EEESW_SX_SY_S15_S19_S1B_T6_T7_T9_mT8_S1D_bDpT10_ENKUlT_T0_E_clISt17integral_constantIbLb1EES1Q_IbLb0EEEEDaS1M_S1N_EUlS1M_E_NS1_11comp_targetILNS1_3genE4ELNS1_11target_archE910ELNS1_3gpuE8ELNS1_3repE0EEENS1_30default_config_static_selectorELNS0_4arch9wavefront6targetE0EEEvSZ_,comdat
.Lfunc_end654:
	.size	_ZN7rocprim17ROCPRIM_400000_NS6detail17trampoline_kernelINS0_13select_configILj256ELj13ELNS0_17block_load_methodE3ELS4_3ELS4_3ELNS0_20block_scan_algorithmE0ELj4294967295EEENS1_25partition_config_selectorILNS1_17partition_subalgoE4EjNS0_10empty_typeEbEEZZNS1_14partition_implILS8_4ELb0ES6_15HIP_vector_typeIjLj2EENS0_17counting_iteratorIjlEEPS9_SG_NS0_5tupleIJPjSI_NS0_16reverse_iteratorISI_EEEEENSH_IJSG_SG_SG_EEES9_SI_JZNS1_25segmented_radix_sort_implINS0_14default_configELb1EPKlPlSQ_SR_N2at6native12_GLOBAL__N_18offset_tEEE10hipError_tPvRmT1_PNSt15iterator_traitsISZ_E10value_typeET2_T3_PNS10_IS15_E10value_typeET4_jRbjT5_S1B_jjP12ihipStream_tbEUljE_ZNSN_ISO_Lb1ESQ_SR_SQ_SR_SV_EESW_SX_SY_SZ_S13_S14_S15_S18_S19_jS1A_jS1B_S1B_jjS1D_bEUljE0_EEESW_SX_SY_S15_S19_S1B_T6_T7_T9_mT8_S1D_bDpT10_ENKUlT_T0_E_clISt17integral_constantIbLb1EES1Q_IbLb0EEEEDaS1M_S1N_EUlS1M_E_NS1_11comp_targetILNS1_3genE4ELNS1_11target_archE910ELNS1_3gpuE8ELNS1_3repE0EEENS1_30default_config_static_selectorELNS0_4arch9wavefront6targetE0EEEvSZ_, .Lfunc_end654-_ZN7rocprim17ROCPRIM_400000_NS6detail17trampoline_kernelINS0_13select_configILj256ELj13ELNS0_17block_load_methodE3ELS4_3ELS4_3ELNS0_20block_scan_algorithmE0ELj4294967295EEENS1_25partition_config_selectorILNS1_17partition_subalgoE4EjNS0_10empty_typeEbEEZZNS1_14partition_implILS8_4ELb0ES6_15HIP_vector_typeIjLj2EENS0_17counting_iteratorIjlEEPS9_SG_NS0_5tupleIJPjSI_NS0_16reverse_iteratorISI_EEEEENSH_IJSG_SG_SG_EEES9_SI_JZNS1_25segmented_radix_sort_implINS0_14default_configELb1EPKlPlSQ_SR_N2at6native12_GLOBAL__N_18offset_tEEE10hipError_tPvRmT1_PNSt15iterator_traitsISZ_E10value_typeET2_T3_PNS10_IS15_E10value_typeET4_jRbjT5_S1B_jjP12ihipStream_tbEUljE_ZNSN_ISO_Lb1ESQ_SR_SQ_SR_SV_EESW_SX_SY_SZ_S13_S14_S15_S18_S19_jS1A_jS1B_S1B_jjS1D_bEUljE0_EEESW_SX_SY_S15_S19_S1B_T6_T7_T9_mT8_S1D_bDpT10_ENKUlT_T0_E_clISt17integral_constantIbLb1EES1Q_IbLb0EEEEDaS1M_S1N_EUlS1M_E_NS1_11comp_targetILNS1_3genE4ELNS1_11target_archE910ELNS1_3gpuE8ELNS1_3repE0EEENS1_30default_config_static_selectorELNS0_4arch9wavefront6targetE0EEEvSZ_
                                        ; -- End function
	.set _ZN7rocprim17ROCPRIM_400000_NS6detail17trampoline_kernelINS0_13select_configILj256ELj13ELNS0_17block_load_methodE3ELS4_3ELS4_3ELNS0_20block_scan_algorithmE0ELj4294967295EEENS1_25partition_config_selectorILNS1_17partition_subalgoE4EjNS0_10empty_typeEbEEZZNS1_14partition_implILS8_4ELb0ES6_15HIP_vector_typeIjLj2EENS0_17counting_iteratorIjlEEPS9_SG_NS0_5tupleIJPjSI_NS0_16reverse_iteratorISI_EEEEENSH_IJSG_SG_SG_EEES9_SI_JZNS1_25segmented_radix_sort_implINS0_14default_configELb1EPKlPlSQ_SR_N2at6native12_GLOBAL__N_18offset_tEEE10hipError_tPvRmT1_PNSt15iterator_traitsISZ_E10value_typeET2_T3_PNS10_IS15_E10value_typeET4_jRbjT5_S1B_jjP12ihipStream_tbEUljE_ZNSN_ISO_Lb1ESQ_SR_SQ_SR_SV_EESW_SX_SY_SZ_S13_S14_S15_S18_S19_jS1A_jS1B_S1B_jjS1D_bEUljE0_EEESW_SX_SY_S15_S19_S1B_T6_T7_T9_mT8_S1D_bDpT10_ENKUlT_T0_E_clISt17integral_constantIbLb1EES1Q_IbLb0EEEEDaS1M_S1N_EUlS1M_E_NS1_11comp_targetILNS1_3genE4ELNS1_11target_archE910ELNS1_3gpuE8ELNS1_3repE0EEENS1_30default_config_static_selectorELNS0_4arch9wavefront6targetE0EEEvSZ_.num_vgpr, 0
	.set _ZN7rocprim17ROCPRIM_400000_NS6detail17trampoline_kernelINS0_13select_configILj256ELj13ELNS0_17block_load_methodE3ELS4_3ELS4_3ELNS0_20block_scan_algorithmE0ELj4294967295EEENS1_25partition_config_selectorILNS1_17partition_subalgoE4EjNS0_10empty_typeEbEEZZNS1_14partition_implILS8_4ELb0ES6_15HIP_vector_typeIjLj2EENS0_17counting_iteratorIjlEEPS9_SG_NS0_5tupleIJPjSI_NS0_16reverse_iteratorISI_EEEEENSH_IJSG_SG_SG_EEES9_SI_JZNS1_25segmented_radix_sort_implINS0_14default_configELb1EPKlPlSQ_SR_N2at6native12_GLOBAL__N_18offset_tEEE10hipError_tPvRmT1_PNSt15iterator_traitsISZ_E10value_typeET2_T3_PNS10_IS15_E10value_typeET4_jRbjT5_S1B_jjP12ihipStream_tbEUljE_ZNSN_ISO_Lb1ESQ_SR_SQ_SR_SV_EESW_SX_SY_SZ_S13_S14_S15_S18_S19_jS1A_jS1B_S1B_jjS1D_bEUljE0_EEESW_SX_SY_S15_S19_S1B_T6_T7_T9_mT8_S1D_bDpT10_ENKUlT_T0_E_clISt17integral_constantIbLb1EES1Q_IbLb0EEEEDaS1M_S1N_EUlS1M_E_NS1_11comp_targetILNS1_3genE4ELNS1_11target_archE910ELNS1_3gpuE8ELNS1_3repE0EEENS1_30default_config_static_selectorELNS0_4arch9wavefront6targetE0EEEvSZ_.num_agpr, 0
	.set _ZN7rocprim17ROCPRIM_400000_NS6detail17trampoline_kernelINS0_13select_configILj256ELj13ELNS0_17block_load_methodE3ELS4_3ELS4_3ELNS0_20block_scan_algorithmE0ELj4294967295EEENS1_25partition_config_selectorILNS1_17partition_subalgoE4EjNS0_10empty_typeEbEEZZNS1_14partition_implILS8_4ELb0ES6_15HIP_vector_typeIjLj2EENS0_17counting_iteratorIjlEEPS9_SG_NS0_5tupleIJPjSI_NS0_16reverse_iteratorISI_EEEEENSH_IJSG_SG_SG_EEES9_SI_JZNS1_25segmented_radix_sort_implINS0_14default_configELb1EPKlPlSQ_SR_N2at6native12_GLOBAL__N_18offset_tEEE10hipError_tPvRmT1_PNSt15iterator_traitsISZ_E10value_typeET2_T3_PNS10_IS15_E10value_typeET4_jRbjT5_S1B_jjP12ihipStream_tbEUljE_ZNSN_ISO_Lb1ESQ_SR_SQ_SR_SV_EESW_SX_SY_SZ_S13_S14_S15_S18_S19_jS1A_jS1B_S1B_jjS1D_bEUljE0_EEESW_SX_SY_S15_S19_S1B_T6_T7_T9_mT8_S1D_bDpT10_ENKUlT_T0_E_clISt17integral_constantIbLb1EES1Q_IbLb0EEEEDaS1M_S1N_EUlS1M_E_NS1_11comp_targetILNS1_3genE4ELNS1_11target_archE910ELNS1_3gpuE8ELNS1_3repE0EEENS1_30default_config_static_selectorELNS0_4arch9wavefront6targetE0EEEvSZ_.numbered_sgpr, 0
	.set _ZN7rocprim17ROCPRIM_400000_NS6detail17trampoline_kernelINS0_13select_configILj256ELj13ELNS0_17block_load_methodE3ELS4_3ELS4_3ELNS0_20block_scan_algorithmE0ELj4294967295EEENS1_25partition_config_selectorILNS1_17partition_subalgoE4EjNS0_10empty_typeEbEEZZNS1_14partition_implILS8_4ELb0ES6_15HIP_vector_typeIjLj2EENS0_17counting_iteratorIjlEEPS9_SG_NS0_5tupleIJPjSI_NS0_16reverse_iteratorISI_EEEEENSH_IJSG_SG_SG_EEES9_SI_JZNS1_25segmented_radix_sort_implINS0_14default_configELb1EPKlPlSQ_SR_N2at6native12_GLOBAL__N_18offset_tEEE10hipError_tPvRmT1_PNSt15iterator_traitsISZ_E10value_typeET2_T3_PNS10_IS15_E10value_typeET4_jRbjT5_S1B_jjP12ihipStream_tbEUljE_ZNSN_ISO_Lb1ESQ_SR_SQ_SR_SV_EESW_SX_SY_SZ_S13_S14_S15_S18_S19_jS1A_jS1B_S1B_jjS1D_bEUljE0_EEESW_SX_SY_S15_S19_S1B_T6_T7_T9_mT8_S1D_bDpT10_ENKUlT_T0_E_clISt17integral_constantIbLb1EES1Q_IbLb0EEEEDaS1M_S1N_EUlS1M_E_NS1_11comp_targetILNS1_3genE4ELNS1_11target_archE910ELNS1_3gpuE8ELNS1_3repE0EEENS1_30default_config_static_selectorELNS0_4arch9wavefront6targetE0EEEvSZ_.num_named_barrier, 0
	.set _ZN7rocprim17ROCPRIM_400000_NS6detail17trampoline_kernelINS0_13select_configILj256ELj13ELNS0_17block_load_methodE3ELS4_3ELS4_3ELNS0_20block_scan_algorithmE0ELj4294967295EEENS1_25partition_config_selectorILNS1_17partition_subalgoE4EjNS0_10empty_typeEbEEZZNS1_14partition_implILS8_4ELb0ES6_15HIP_vector_typeIjLj2EENS0_17counting_iteratorIjlEEPS9_SG_NS0_5tupleIJPjSI_NS0_16reverse_iteratorISI_EEEEENSH_IJSG_SG_SG_EEES9_SI_JZNS1_25segmented_radix_sort_implINS0_14default_configELb1EPKlPlSQ_SR_N2at6native12_GLOBAL__N_18offset_tEEE10hipError_tPvRmT1_PNSt15iterator_traitsISZ_E10value_typeET2_T3_PNS10_IS15_E10value_typeET4_jRbjT5_S1B_jjP12ihipStream_tbEUljE_ZNSN_ISO_Lb1ESQ_SR_SQ_SR_SV_EESW_SX_SY_SZ_S13_S14_S15_S18_S19_jS1A_jS1B_S1B_jjS1D_bEUljE0_EEESW_SX_SY_S15_S19_S1B_T6_T7_T9_mT8_S1D_bDpT10_ENKUlT_T0_E_clISt17integral_constantIbLb1EES1Q_IbLb0EEEEDaS1M_S1N_EUlS1M_E_NS1_11comp_targetILNS1_3genE4ELNS1_11target_archE910ELNS1_3gpuE8ELNS1_3repE0EEENS1_30default_config_static_selectorELNS0_4arch9wavefront6targetE0EEEvSZ_.private_seg_size, 0
	.set _ZN7rocprim17ROCPRIM_400000_NS6detail17trampoline_kernelINS0_13select_configILj256ELj13ELNS0_17block_load_methodE3ELS4_3ELS4_3ELNS0_20block_scan_algorithmE0ELj4294967295EEENS1_25partition_config_selectorILNS1_17partition_subalgoE4EjNS0_10empty_typeEbEEZZNS1_14partition_implILS8_4ELb0ES6_15HIP_vector_typeIjLj2EENS0_17counting_iteratorIjlEEPS9_SG_NS0_5tupleIJPjSI_NS0_16reverse_iteratorISI_EEEEENSH_IJSG_SG_SG_EEES9_SI_JZNS1_25segmented_radix_sort_implINS0_14default_configELb1EPKlPlSQ_SR_N2at6native12_GLOBAL__N_18offset_tEEE10hipError_tPvRmT1_PNSt15iterator_traitsISZ_E10value_typeET2_T3_PNS10_IS15_E10value_typeET4_jRbjT5_S1B_jjP12ihipStream_tbEUljE_ZNSN_ISO_Lb1ESQ_SR_SQ_SR_SV_EESW_SX_SY_SZ_S13_S14_S15_S18_S19_jS1A_jS1B_S1B_jjS1D_bEUljE0_EEESW_SX_SY_S15_S19_S1B_T6_T7_T9_mT8_S1D_bDpT10_ENKUlT_T0_E_clISt17integral_constantIbLb1EES1Q_IbLb0EEEEDaS1M_S1N_EUlS1M_E_NS1_11comp_targetILNS1_3genE4ELNS1_11target_archE910ELNS1_3gpuE8ELNS1_3repE0EEENS1_30default_config_static_selectorELNS0_4arch9wavefront6targetE0EEEvSZ_.uses_vcc, 0
	.set _ZN7rocprim17ROCPRIM_400000_NS6detail17trampoline_kernelINS0_13select_configILj256ELj13ELNS0_17block_load_methodE3ELS4_3ELS4_3ELNS0_20block_scan_algorithmE0ELj4294967295EEENS1_25partition_config_selectorILNS1_17partition_subalgoE4EjNS0_10empty_typeEbEEZZNS1_14partition_implILS8_4ELb0ES6_15HIP_vector_typeIjLj2EENS0_17counting_iteratorIjlEEPS9_SG_NS0_5tupleIJPjSI_NS0_16reverse_iteratorISI_EEEEENSH_IJSG_SG_SG_EEES9_SI_JZNS1_25segmented_radix_sort_implINS0_14default_configELb1EPKlPlSQ_SR_N2at6native12_GLOBAL__N_18offset_tEEE10hipError_tPvRmT1_PNSt15iterator_traitsISZ_E10value_typeET2_T3_PNS10_IS15_E10value_typeET4_jRbjT5_S1B_jjP12ihipStream_tbEUljE_ZNSN_ISO_Lb1ESQ_SR_SQ_SR_SV_EESW_SX_SY_SZ_S13_S14_S15_S18_S19_jS1A_jS1B_S1B_jjS1D_bEUljE0_EEESW_SX_SY_S15_S19_S1B_T6_T7_T9_mT8_S1D_bDpT10_ENKUlT_T0_E_clISt17integral_constantIbLb1EES1Q_IbLb0EEEEDaS1M_S1N_EUlS1M_E_NS1_11comp_targetILNS1_3genE4ELNS1_11target_archE910ELNS1_3gpuE8ELNS1_3repE0EEENS1_30default_config_static_selectorELNS0_4arch9wavefront6targetE0EEEvSZ_.uses_flat_scratch, 0
	.set _ZN7rocprim17ROCPRIM_400000_NS6detail17trampoline_kernelINS0_13select_configILj256ELj13ELNS0_17block_load_methodE3ELS4_3ELS4_3ELNS0_20block_scan_algorithmE0ELj4294967295EEENS1_25partition_config_selectorILNS1_17partition_subalgoE4EjNS0_10empty_typeEbEEZZNS1_14partition_implILS8_4ELb0ES6_15HIP_vector_typeIjLj2EENS0_17counting_iteratorIjlEEPS9_SG_NS0_5tupleIJPjSI_NS0_16reverse_iteratorISI_EEEEENSH_IJSG_SG_SG_EEES9_SI_JZNS1_25segmented_radix_sort_implINS0_14default_configELb1EPKlPlSQ_SR_N2at6native12_GLOBAL__N_18offset_tEEE10hipError_tPvRmT1_PNSt15iterator_traitsISZ_E10value_typeET2_T3_PNS10_IS15_E10value_typeET4_jRbjT5_S1B_jjP12ihipStream_tbEUljE_ZNSN_ISO_Lb1ESQ_SR_SQ_SR_SV_EESW_SX_SY_SZ_S13_S14_S15_S18_S19_jS1A_jS1B_S1B_jjS1D_bEUljE0_EEESW_SX_SY_S15_S19_S1B_T6_T7_T9_mT8_S1D_bDpT10_ENKUlT_T0_E_clISt17integral_constantIbLb1EES1Q_IbLb0EEEEDaS1M_S1N_EUlS1M_E_NS1_11comp_targetILNS1_3genE4ELNS1_11target_archE910ELNS1_3gpuE8ELNS1_3repE0EEENS1_30default_config_static_selectorELNS0_4arch9wavefront6targetE0EEEvSZ_.has_dyn_sized_stack, 0
	.set _ZN7rocprim17ROCPRIM_400000_NS6detail17trampoline_kernelINS0_13select_configILj256ELj13ELNS0_17block_load_methodE3ELS4_3ELS4_3ELNS0_20block_scan_algorithmE0ELj4294967295EEENS1_25partition_config_selectorILNS1_17partition_subalgoE4EjNS0_10empty_typeEbEEZZNS1_14partition_implILS8_4ELb0ES6_15HIP_vector_typeIjLj2EENS0_17counting_iteratorIjlEEPS9_SG_NS0_5tupleIJPjSI_NS0_16reverse_iteratorISI_EEEEENSH_IJSG_SG_SG_EEES9_SI_JZNS1_25segmented_radix_sort_implINS0_14default_configELb1EPKlPlSQ_SR_N2at6native12_GLOBAL__N_18offset_tEEE10hipError_tPvRmT1_PNSt15iterator_traitsISZ_E10value_typeET2_T3_PNS10_IS15_E10value_typeET4_jRbjT5_S1B_jjP12ihipStream_tbEUljE_ZNSN_ISO_Lb1ESQ_SR_SQ_SR_SV_EESW_SX_SY_SZ_S13_S14_S15_S18_S19_jS1A_jS1B_S1B_jjS1D_bEUljE0_EEESW_SX_SY_S15_S19_S1B_T6_T7_T9_mT8_S1D_bDpT10_ENKUlT_T0_E_clISt17integral_constantIbLb1EES1Q_IbLb0EEEEDaS1M_S1N_EUlS1M_E_NS1_11comp_targetILNS1_3genE4ELNS1_11target_archE910ELNS1_3gpuE8ELNS1_3repE0EEENS1_30default_config_static_selectorELNS0_4arch9wavefront6targetE0EEEvSZ_.has_recursion, 0
	.set _ZN7rocprim17ROCPRIM_400000_NS6detail17trampoline_kernelINS0_13select_configILj256ELj13ELNS0_17block_load_methodE3ELS4_3ELS4_3ELNS0_20block_scan_algorithmE0ELj4294967295EEENS1_25partition_config_selectorILNS1_17partition_subalgoE4EjNS0_10empty_typeEbEEZZNS1_14partition_implILS8_4ELb0ES6_15HIP_vector_typeIjLj2EENS0_17counting_iteratorIjlEEPS9_SG_NS0_5tupleIJPjSI_NS0_16reverse_iteratorISI_EEEEENSH_IJSG_SG_SG_EEES9_SI_JZNS1_25segmented_radix_sort_implINS0_14default_configELb1EPKlPlSQ_SR_N2at6native12_GLOBAL__N_18offset_tEEE10hipError_tPvRmT1_PNSt15iterator_traitsISZ_E10value_typeET2_T3_PNS10_IS15_E10value_typeET4_jRbjT5_S1B_jjP12ihipStream_tbEUljE_ZNSN_ISO_Lb1ESQ_SR_SQ_SR_SV_EESW_SX_SY_SZ_S13_S14_S15_S18_S19_jS1A_jS1B_S1B_jjS1D_bEUljE0_EEESW_SX_SY_S15_S19_S1B_T6_T7_T9_mT8_S1D_bDpT10_ENKUlT_T0_E_clISt17integral_constantIbLb1EES1Q_IbLb0EEEEDaS1M_S1N_EUlS1M_E_NS1_11comp_targetILNS1_3genE4ELNS1_11target_archE910ELNS1_3gpuE8ELNS1_3repE0EEENS1_30default_config_static_selectorELNS0_4arch9wavefront6targetE0EEEvSZ_.has_indirect_call, 0
	.section	.AMDGPU.csdata,"",@progbits
; Kernel info:
; codeLenInByte = 0
; TotalNumSgprs: 0
; NumVgprs: 0
; ScratchSize: 0
; MemoryBound: 0
; FloatMode: 240
; IeeeMode: 1
; LDSByteSize: 0 bytes/workgroup (compile time only)
; SGPRBlocks: 0
; VGPRBlocks: 0
; NumSGPRsForWavesPerEU: 1
; NumVGPRsForWavesPerEU: 1
; NamedBarCnt: 0
; Occupancy: 16
; WaveLimiterHint : 0
; COMPUTE_PGM_RSRC2:SCRATCH_EN: 0
; COMPUTE_PGM_RSRC2:USER_SGPR: 2
; COMPUTE_PGM_RSRC2:TRAP_HANDLER: 0
; COMPUTE_PGM_RSRC2:TGID_X_EN: 1
; COMPUTE_PGM_RSRC2:TGID_Y_EN: 0
; COMPUTE_PGM_RSRC2:TGID_Z_EN: 0
; COMPUTE_PGM_RSRC2:TIDIG_COMP_CNT: 0
	.section	.text._ZN7rocprim17ROCPRIM_400000_NS6detail17trampoline_kernelINS0_13select_configILj256ELj13ELNS0_17block_load_methodE3ELS4_3ELS4_3ELNS0_20block_scan_algorithmE0ELj4294967295EEENS1_25partition_config_selectorILNS1_17partition_subalgoE4EjNS0_10empty_typeEbEEZZNS1_14partition_implILS8_4ELb0ES6_15HIP_vector_typeIjLj2EENS0_17counting_iteratorIjlEEPS9_SG_NS0_5tupleIJPjSI_NS0_16reverse_iteratorISI_EEEEENSH_IJSG_SG_SG_EEES9_SI_JZNS1_25segmented_radix_sort_implINS0_14default_configELb1EPKlPlSQ_SR_N2at6native12_GLOBAL__N_18offset_tEEE10hipError_tPvRmT1_PNSt15iterator_traitsISZ_E10value_typeET2_T3_PNS10_IS15_E10value_typeET4_jRbjT5_S1B_jjP12ihipStream_tbEUljE_ZNSN_ISO_Lb1ESQ_SR_SQ_SR_SV_EESW_SX_SY_SZ_S13_S14_S15_S18_S19_jS1A_jS1B_S1B_jjS1D_bEUljE0_EEESW_SX_SY_S15_S19_S1B_T6_T7_T9_mT8_S1D_bDpT10_ENKUlT_T0_E_clISt17integral_constantIbLb1EES1Q_IbLb0EEEEDaS1M_S1N_EUlS1M_E_NS1_11comp_targetILNS1_3genE3ELNS1_11target_archE908ELNS1_3gpuE7ELNS1_3repE0EEENS1_30default_config_static_selectorELNS0_4arch9wavefront6targetE0EEEvSZ_,"axG",@progbits,_ZN7rocprim17ROCPRIM_400000_NS6detail17trampoline_kernelINS0_13select_configILj256ELj13ELNS0_17block_load_methodE3ELS4_3ELS4_3ELNS0_20block_scan_algorithmE0ELj4294967295EEENS1_25partition_config_selectorILNS1_17partition_subalgoE4EjNS0_10empty_typeEbEEZZNS1_14partition_implILS8_4ELb0ES6_15HIP_vector_typeIjLj2EENS0_17counting_iteratorIjlEEPS9_SG_NS0_5tupleIJPjSI_NS0_16reverse_iteratorISI_EEEEENSH_IJSG_SG_SG_EEES9_SI_JZNS1_25segmented_radix_sort_implINS0_14default_configELb1EPKlPlSQ_SR_N2at6native12_GLOBAL__N_18offset_tEEE10hipError_tPvRmT1_PNSt15iterator_traitsISZ_E10value_typeET2_T3_PNS10_IS15_E10value_typeET4_jRbjT5_S1B_jjP12ihipStream_tbEUljE_ZNSN_ISO_Lb1ESQ_SR_SQ_SR_SV_EESW_SX_SY_SZ_S13_S14_S15_S18_S19_jS1A_jS1B_S1B_jjS1D_bEUljE0_EEESW_SX_SY_S15_S19_S1B_T6_T7_T9_mT8_S1D_bDpT10_ENKUlT_T0_E_clISt17integral_constantIbLb1EES1Q_IbLb0EEEEDaS1M_S1N_EUlS1M_E_NS1_11comp_targetILNS1_3genE3ELNS1_11target_archE908ELNS1_3gpuE7ELNS1_3repE0EEENS1_30default_config_static_selectorELNS0_4arch9wavefront6targetE0EEEvSZ_,comdat
	.globl	_ZN7rocprim17ROCPRIM_400000_NS6detail17trampoline_kernelINS0_13select_configILj256ELj13ELNS0_17block_load_methodE3ELS4_3ELS4_3ELNS0_20block_scan_algorithmE0ELj4294967295EEENS1_25partition_config_selectorILNS1_17partition_subalgoE4EjNS0_10empty_typeEbEEZZNS1_14partition_implILS8_4ELb0ES6_15HIP_vector_typeIjLj2EENS0_17counting_iteratorIjlEEPS9_SG_NS0_5tupleIJPjSI_NS0_16reverse_iteratorISI_EEEEENSH_IJSG_SG_SG_EEES9_SI_JZNS1_25segmented_radix_sort_implINS0_14default_configELb1EPKlPlSQ_SR_N2at6native12_GLOBAL__N_18offset_tEEE10hipError_tPvRmT1_PNSt15iterator_traitsISZ_E10value_typeET2_T3_PNS10_IS15_E10value_typeET4_jRbjT5_S1B_jjP12ihipStream_tbEUljE_ZNSN_ISO_Lb1ESQ_SR_SQ_SR_SV_EESW_SX_SY_SZ_S13_S14_S15_S18_S19_jS1A_jS1B_S1B_jjS1D_bEUljE0_EEESW_SX_SY_S15_S19_S1B_T6_T7_T9_mT8_S1D_bDpT10_ENKUlT_T0_E_clISt17integral_constantIbLb1EES1Q_IbLb0EEEEDaS1M_S1N_EUlS1M_E_NS1_11comp_targetILNS1_3genE3ELNS1_11target_archE908ELNS1_3gpuE7ELNS1_3repE0EEENS1_30default_config_static_selectorELNS0_4arch9wavefront6targetE0EEEvSZ_ ; -- Begin function _ZN7rocprim17ROCPRIM_400000_NS6detail17trampoline_kernelINS0_13select_configILj256ELj13ELNS0_17block_load_methodE3ELS4_3ELS4_3ELNS0_20block_scan_algorithmE0ELj4294967295EEENS1_25partition_config_selectorILNS1_17partition_subalgoE4EjNS0_10empty_typeEbEEZZNS1_14partition_implILS8_4ELb0ES6_15HIP_vector_typeIjLj2EENS0_17counting_iteratorIjlEEPS9_SG_NS0_5tupleIJPjSI_NS0_16reverse_iteratorISI_EEEEENSH_IJSG_SG_SG_EEES9_SI_JZNS1_25segmented_radix_sort_implINS0_14default_configELb1EPKlPlSQ_SR_N2at6native12_GLOBAL__N_18offset_tEEE10hipError_tPvRmT1_PNSt15iterator_traitsISZ_E10value_typeET2_T3_PNS10_IS15_E10value_typeET4_jRbjT5_S1B_jjP12ihipStream_tbEUljE_ZNSN_ISO_Lb1ESQ_SR_SQ_SR_SV_EESW_SX_SY_SZ_S13_S14_S15_S18_S19_jS1A_jS1B_S1B_jjS1D_bEUljE0_EEESW_SX_SY_S15_S19_S1B_T6_T7_T9_mT8_S1D_bDpT10_ENKUlT_T0_E_clISt17integral_constantIbLb1EES1Q_IbLb0EEEEDaS1M_S1N_EUlS1M_E_NS1_11comp_targetILNS1_3genE3ELNS1_11target_archE908ELNS1_3gpuE7ELNS1_3repE0EEENS1_30default_config_static_selectorELNS0_4arch9wavefront6targetE0EEEvSZ_
	.p2align	8
	.type	_ZN7rocprim17ROCPRIM_400000_NS6detail17trampoline_kernelINS0_13select_configILj256ELj13ELNS0_17block_load_methodE3ELS4_3ELS4_3ELNS0_20block_scan_algorithmE0ELj4294967295EEENS1_25partition_config_selectorILNS1_17partition_subalgoE4EjNS0_10empty_typeEbEEZZNS1_14partition_implILS8_4ELb0ES6_15HIP_vector_typeIjLj2EENS0_17counting_iteratorIjlEEPS9_SG_NS0_5tupleIJPjSI_NS0_16reverse_iteratorISI_EEEEENSH_IJSG_SG_SG_EEES9_SI_JZNS1_25segmented_radix_sort_implINS0_14default_configELb1EPKlPlSQ_SR_N2at6native12_GLOBAL__N_18offset_tEEE10hipError_tPvRmT1_PNSt15iterator_traitsISZ_E10value_typeET2_T3_PNS10_IS15_E10value_typeET4_jRbjT5_S1B_jjP12ihipStream_tbEUljE_ZNSN_ISO_Lb1ESQ_SR_SQ_SR_SV_EESW_SX_SY_SZ_S13_S14_S15_S18_S19_jS1A_jS1B_S1B_jjS1D_bEUljE0_EEESW_SX_SY_S15_S19_S1B_T6_T7_T9_mT8_S1D_bDpT10_ENKUlT_T0_E_clISt17integral_constantIbLb1EES1Q_IbLb0EEEEDaS1M_S1N_EUlS1M_E_NS1_11comp_targetILNS1_3genE3ELNS1_11target_archE908ELNS1_3gpuE7ELNS1_3repE0EEENS1_30default_config_static_selectorELNS0_4arch9wavefront6targetE0EEEvSZ_,@function
_ZN7rocprim17ROCPRIM_400000_NS6detail17trampoline_kernelINS0_13select_configILj256ELj13ELNS0_17block_load_methodE3ELS4_3ELS4_3ELNS0_20block_scan_algorithmE0ELj4294967295EEENS1_25partition_config_selectorILNS1_17partition_subalgoE4EjNS0_10empty_typeEbEEZZNS1_14partition_implILS8_4ELb0ES6_15HIP_vector_typeIjLj2EENS0_17counting_iteratorIjlEEPS9_SG_NS0_5tupleIJPjSI_NS0_16reverse_iteratorISI_EEEEENSH_IJSG_SG_SG_EEES9_SI_JZNS1_25segmented_radix_sort_implINS0_14default_configELb1EPKlPlSQ_SR_N2at6native12_GLOBAL__N_18offset_tEEE10hipError_tPvRmT1_PNSt15iterator_traitsISZ_E10value_typeET2_T3_PNS10_IS15_E10value_typeET4_jRbjT5_S1B_jjP12ihipStream_tbEUljE_ZNSN_ISO_Lb1ESQ_SR_SQ_SR_SV_EESW_SX_SY_SZ_S13_S14_S15_S18_S19_jS1A_jS1B_S1B_jjS1D_bEUljE0_EEESW_SX_SY_S15_S19_S1B_T6_T7_T9_mT8_S1D_bDpT10_ENKUlT_T0_E_clISt17integral_constantIbLb1EES1Q_IbLb0EEEEDaS1M_S1N_EUlS1M_E_NS1_11comp_targetILNS1_3genE3ELNS1_11target_archE908ELNS1_3gpuE7ELNS1_3repE0EEENS1_30default_config_static_selectorELNS0_4arch9wavefront6targetE0EEEvSZ_: ; @_ZN7rocprim17ROCPRIM_400000_NS6detail17trampoline_kernelINS0_13select_configILj256ELj13ELNS0_17block_load_methodE3ELS4_3ELS4_3ELNS0_20block_scan_algorithmE0ELj4294967295EEENS1_25partition_config_selectorILNS1_17partition_subalgoE4EjNS0_10empty_typeEbEEZZNS1_14partition_implILS8_4ELb0ES6_15HIP_vector_typeIjLj2EENS0_17counting_iteratorIjlEEPS9_SG_NS0_5tupleIJPjSI_NS0_16reverse_iteratorISI_EEEEENSH_IJSG_SG_SG_EEES9_SI_JZNS1_25segmented_radix_sort_implINS0_14default_configELb1EPKlPlSQ_SR_N2at6native12_GLOBAL__N_18offset_tEEE10hipError_tPvRmT1_PNSt15iterator_traitsISZ_E10value_typeET2_T3_PNS10_IS15_E10value_typeET4_jRbjT5_S1B_jjP12ihipStream_tbEUljE_ZNSN_ISO_Lb1ESQ_SR_SQ_SR_SV_EESW_SX_SY_SZ_S13_S14_S15_S18_S19_jS1A_jS1B_S1B_jjS1D_bEUljE0_EEESW_SX_SY_S15_S19_S1B_T6_T7_T9_mT8_S1D_bDpT10_ENKUlT_T0_E_clISt17integral_constantIbLb1EES1Q_IbLb0EEEEDaS1M_S1N_EUlS1M_E_NS1_11comp_targetILNS1_3genE3ELNS1_11target_archE908ELNS1_3gpuE7ELNS1_3repE0EEENS1_30default_config_static_selectorELNS0_4arch9wavefront6targetE0EEEvSZ_
; %bb.0:
	.section	.rodata,"a",@progbits
	.p2align	6, 0x0
	.amdhsa_kernel _ZN7rocprim17ROCPRIM_400000_NS6detail17trampoline_kernelINS0_13select_configILj256ELj13ELNS0_17block_load_methodE3ELS4_3ELS4_3ELNS0_20block_scan_algorithmE0ELj4294967295EEENS1_25partition_config_selectorILNS1_17partition_subalgoE4EjNS0_10empty_typeEbEEZZNS1_14partition_implILS8_4ELb0ES6_15HIP_vector_typeIjLj2EENS0_17counting_iteratorIjlEEPS9_SG_NS0_5tupleIJPjSI_NS0_16reverse_iteratorISI_EEEEENSH_IJSG_SG_SG_EEES9_SI_JZNS1_25segmented_radix_sort_implINS0_14default_configELb1EPKlPlSQ_SR_N2at6native12_GLOBAL__N_18offset_tEEE10hipError_tPvRmT1_PNSt15iterator_traitsISZ_E10value_typeET2_T3_PNS10_IS15_E10value_typeET4_jRbjT5_S1B_jjP12ihipStream_tbEUljE_ZNSN_ISO_Lb1ESQ_SR_SQ_SR_SV_EESW_SX_SY_SZ_S13_S14_S15_S18_S19_jS1A_jS1B_S1B_jjS1D_bEUljE0_EEESW_SX_SY_S15_S19_S1B_T6_T7_T9_mT8_S1D_bDpT10_ENKUlT_T0_E_clISt17integral_constantIbLb1EES1Q_IbLb0EEEEDaS1M_S1N_EUlS1M_E_NS1_11comp_targetILNS1_3genE3ELNS1_11target_archE908ELNS1_3gpuE7ELNS1_3repE0EEENS1_30default_config_static_selectorELNS0_4arch9wavefront6targetE0EEEvSZ_
		.amdhsa_group_segment_fixed_size 0
		.amdhsa_private_segment_fixed_size 0
		.amdhsa_kernarg_size 176
		.amdhsa_user_sgpr_count 2
		.amdhsa_user_sgpr_dispatch_ptr 0
		.amdhsa_user_sgpr_queue_ptr 0
		.amdhsa_user_sgpr_kernarg_segment_ptr 1
		.amdhsa_user_sgpr_dispatch_id 0
		.amdhsa_user_sgpr_kernarg_preload_length 0
		.amdhsa_user_sgpr_kernarg_preload_offset 0
		.amdhsa_user_sgpr_private_segment_size 0
		.amdhsa_wavefront_size32 1
		.amdhsa_uses_dynamic_stack 0
		.amdhsa_enable_private_segment 0
		.amdhsa_system_sgpr_workgroup_id_x 1
		.amdhsa_system_sgpr_workgroup_id_y 0
		.amdhsa_system_sgpr_workgroup_id_z 0
		.amdhsa_system_sgpr_workgroup_info 0
		.amdhsa_system_vgpr_workitem_id 0
		.amdhsa_next_free_vgpr 1
		.amdhsa_next_free_sgpr 1
		.amdhsa_named_barrier_count 0
		.amdhsa_reserve_vcc 0
		.amdhsa_float_round_mode_32 0
		.amdhsa_float_round_mode_16_64 0
		.amdhsa_float_denorm_mode_32 3
		.amdhsa_float_denorm_mode_16_64 3
		.amdhsa_fp16_overflow 0
		.amdhsa_memory_ordered 1
		.amdhsa_forward_progress 1
		.amdhsa_inst_pref_size 0
		.amdhsa_round_robin_scheduling 0
		.amdhsa_exception_fp_ieee_invalid_op 0
		.amdhsa_exception_fp_denorm_src 0
		.amdhsa_exception_fp_ieee_div_zero 0
		.amdhsa_exception_fp_ieee_overflow 0
		.amdhsa_exception_fp_ieee_underflow 0
		.amdhsa_exception_fp_ieee_inexact 0
		.amdhsa_exception_int_div_zero 0
	.end_amdhsa_kernel
	.section	.text._ZN7rocprim17ROCPRIM_400000_NS6detail17trampoline_kernelINS0_13select_configILj256ELj13ELNS0_17block_load_methodE3ELS4_3ELS4_3ELNS0_20block_scan_algorithmE0ELj4294967295EEENS1_25partition_config_selectorILNS1_17partition_subalgoE4EjNS0_10empty_typeEbEEZZNS1_14partition_implILS8_4ELb0ES6_15HIP_vector_typeIjLj2EENS0_17counting_iteratorIjlEEPS9_SG_NS0_5tupleIJPjSI_NS0_16reverse_iteratorISI_EEEEENSH_IJSG_SG_SG_EEES9_SI_JZNS1_25segmented_radix_sort_implINS0_14default_configELb1EPKlPlSQ_SR_N2at6native12_GLOBAL__N_18offset_tEEE10hipError_tPvRmT1_PNSt15iterator_traitsISZ_E10value_typeET2_T3_PNS10_IS15_E10value_typeET4_jRbjT5_S1B_jjP12ihipStream_tbEUljE_ZNSN_ISO_Lb1ESQ_SR_SQ_SR_SV_EESW_SX_SY_SZ_S13_S14_S15_S18_S19_jS1A_jS1B_S1B_jjS1D_bEUljE0_EEESW_SX_SY_S15_S19_S1B_T6_T7_T9_mT8_S1D_bDpT10_ENKUlT_T0_E_clISt17integral_constantIbLb1EES1Q_IbLb0EEEEDaS1M_S1N_EUlS1M_E_NS1_11comp_targetILNS1_3genE3ELNS1_11target_archE908ELNS1_3gpuE7ELNS1_3repE0EEENS1_30default_config_static_selectorELNS0_4arch9wavefront6targetE0EEEvSZ_,"axG",@progbits,_ZN7rocprim17ROCPRIM_400000_NS6detail17trampoline_kernelINS0_13select_configILj256ELj13ELNS0_17block_load_methodE3ELS4_3ELS4_3ELNS0_20block_scan_algorithmE0ELj4294967295EEENS1_25partition_config_selectorILNS1_17partition_subalgoE4EjNS0_10empty_typeEbEEZZNS1_14partition_implILS8_4ELb0ES6_15HIP_vector_typeIjLj2EENS0_17counting_iteratorIjlEEPS9_SG_NS0_5tupleIJPjSI_NS0_16reverse_iteratorISI_EEEEENSH_IJSG_SG_SG_EEES9_SI_JZNS1_25segmented_radix_sort_implINS0_14default_configELb1EPKlPlSQ_SR_N2at6native12_GLOBAL__N_18offset_tEEE10hipError_tPvRmT1_PNSt15iterator_traitsISZ_E10value_typeET2_T3_PNS10_IS15_E10value_typeET4_jRbjT5_S1B_jjP12ihipStream_tbEUljE_ZNSN_ISO_Lb1ESQ_SR_SQ_SR_SV_EESW_SX_SY_SZ_S13_S14_S15_S18_S19_jS1A_jS1B_S1B_jjS1D_bEUljE0_EEESW_SX_SY_S15_S19_S1B_T6_T7_T9_mT8_S1D_bDpT10_ENKUlT_T0_E_clISt17integral_constantIbLb1EES1Q_IbLb0EEEEDaS1M_S1N_EUlS1M_E_NS1_11comp_targetILNS1_3genE3ELNS1_11target_archE908ELNS1_3gpuE7ELNS1_3repE0EEENS1_30default_config_static_selectorELNS0_4arch9wavefront6targetE0EEEvSZ_,comdat
.Lfunc_end655:
	.size	_ZN7rocprim17ROCPRIM_400000_NS6detail17trampoline_kernelINS0_13select_configILj256ELj13ELNS0_17block_load_methodE3ELS4_3ELS4_3ELNS0_20block_scan_algorithmE0ELj4294967295EEENS1_25partition_config_selectorILNS1_17partition_subalgoE4EjNS0_10empty_typeEbEEZZNS1_14partition_implILS8_4ELb0ES6_15HIP_vector_typeIjLj2EENS0_17counting_iteratorIjlEEPS9_SG_NS0_5tupleIJPjSI_NS0_16reverse_iteratorISI_EEEEENSH_IJSG_SG_SG_EEES9_SI_JZNS1_25segmented_radix_sort_implINS0_14default_configELb1EPKlPlSQ_SR_N2at6native12_GLOBAL__N_18offset_tEEE10hipError_tPvRmT1_PNSt15iterator_traitsISZ_E10value_typeET2_T3_PNS10_IS15_E10value_typeET4_jRbjT5_S1B_jjP12ihipStream_tbEUljE_ZNSN_ISO_Lb1ESQ_SR_SQ_SR_SV_EESW_SX_SY_SZ_S13_S14_S15_S18_S19_jS1A_jS1B_S1B_jjS1D_bEUljE0_EEESW_SX_SY_S15_S19_S1B_T6_T7_T9_mT8_S1D_bDpT10_ENKUlT_T0_E_clISt17integral_constantIbLb1EES1Q_IbLb0EEEEDaS1M_S1N_EUlS1M_E_NS1_11comp_targetILNS1_3genE3ELNS1_11target_archE908ELNS1_3gpuE7ELNS1_3repE0EEENS1_30default_config_static_selectorELNS0_4arch9wavefront6targetE0EEEvSZ_, .Lfunc_end655-_ZN7rocprim17ROCPRIM_400000_NS6detail17trampoline_kernelINS0_13select_configILj256ELj13ELNS0_17block_load_methodE3ELS4_3ELS4_3ELNS0_20block_scan_algorithmE0ELj4294967295EEENS1_25partition_config_selectorILNS1_17partition_subalgoE4EjNS0_10empty_typeEbEEZZNS1_14partition_implILS8_4ELb0ES6_15HIP_vector_typeIjLj2EENS0_17counting_iteratorIjlEEPS9_SG_NS0_5tupleIJPjSI_NS0_16reverse_iteratorISI_EEEEENSH_IJSG_SG_SG_EEES9_SI_JZNS1_25segmented_radix_sort_implINS0_14default_configELb1EPKlPlSQ_SR_N2at6native12_GLOBAL__N_18offset_tEEE10hipError_tPvRmT1_PNSt15iterator_traitsISZ_E10value_typeET2_T3_PNS10_IS15_E10value_typeET4_jRbjT5_S1B_jjP12ihipStream_tbEUljE_ZNSN_ISO_Lb1ESQ_SR_SQ_SR_SV_EESW_SX_SY_SZ_S13_S14_S15_S18_S19_jS1A_jS1B_S1B_jjS1D_bEUljE0_EEESW_SX_SY_S15_S19_S1B_T6_T7_T9_mT8_S1D_bDpT10_ENKUlT_T0_E_clISt17integral_constantIbLb1EES1Q_IbLb0EEEEDaS1M_S1N_EUlS1M_E_NS1_11comp_targetILNS1_3genE3ELNS1_11target_archE908ELNS1_3gpuE7ELNS1_3repE0EEENS1_30default_config_static_selectorELNS0_4arch9wavefront6targetE0EEEvSZ_
                                        ; -- End function
	.set _ZN7rocprim17ROCPRIM_400000_NS6detail17trampoline_kernelINS0_13select_configILj256ELj13ELNS0_17block_load_methodE3ELS4_3ELS4_3ELNS0_20block_scan_algorithmE0ELj4294967295EEENS1_25partition_config_selectorILNS1_17partition_subalgoE4EjNS0_10empty_typeEbEEZZNS1_14partition_implILS8_4ELb0ES6_15HIP_vector_typeIjLj2EENS0_17counting_iteratorIjlEEPS9_SG_NS0_5tupleIJPjSI_NS0_16reverse_iteratorISI_EEEEENSH_IJSG_SG_SG_EEES9_SI_JZNS1_25segmented_radix_sort_implINS0_14default_configELb1EPKlPlSQ_SR_N2at6native12_GLOBAL__N_18offset_tEEE10hipError_tPvRmT1_PNSt15iterator_traitsISZ_E10value_typeET2_T3_PNS10_IS15_E10value_typeET4_jRbjT5_S1B_jjP12ihipStream_tbEUljE_ZNSN_ISO_Lb1ESQ_SR_SQ_SR_SV_EESW_SX_SY_SZ_S13_S14_S15_S18_S19_jS1A_jS1B_S1B_jjS1D_bEUljE0_EEESW_SX_SY_S15_S19_S1B_T6_T7_T9_mT8_S1D_bDpT10_ENKUlT_T0_E_clISt17integral_constantIbLb1EES1Q_IbLb0EEEEDaS1M_S1N_EUlS1M_E_NS1_11comp_targetILNS1_3genE3ELNS1_11target_archE908ELNS1_3gpuE7ELNS1_3repE0EEENS1_30default_config_static_selectorELNS0_4arch9wavefront6targetE0EEEvSZ_.num_vgpr, 0
	.set _ZN7rocprim17ROCPRIM_400000_NS6detail17trampoline_kernelINS0_13select_configILj256ELj13ELNS0_17block_load_methodE3ELS4_3ELS4_3ELNS0_20block_scan_algorithmE0ELj4294967295EEENS1_25partition_config_selectorILNS1_17partition_subalgoE4EjNS0_10empty_typeEbEEZZNS1_14partition_implILS8_4ELb0ES6_15HIP_vector_typeIjLj2EENS0_17counting_iteratorIjlEEPS9_SG_NS0_5tupleIJPjSI_NS0_16reverse_iteratorISI_EEEEENSH_IJSG_SG_SG_EEES9_SI_JZNS1_25segmented_radix_sort_implINS0_14default_configELb1EPKlPlSQ_SR_N2at6native12_GLOBAL__N_18offset_tEEE10hipError_tPvRmT1_PNSt15iterator_traitsISZ_E10value_typeET2_T3_PNS10_IS15_E10value_typeET4_jRbjT5_S1B_jjP12ihipStream_tbEUljE_ZNSN_ISO_Lb1ESQ_SR_SQ_SR_SV_EESW_SX_SY_SZ_S13_S14_S15_S18_S19_jS1A_jS1B_S1B_jjS1D_bEUljE0_EEESW_SX_SY_S15_S19_S1B_T6_T7_T9_mT8_S1D_bDpT10_ENKUlT_T0_E_clISt17integral_constantIbLb1EES1Q_IbLb0EEEEDaS1M_S1N_EUlS1M_E_NS1_11comp_targetILNS1_3genE3ELNS1_11target_archE908ELNS1_3gpuE7ELNS1_3repE0EEENS1_30default_config_static_selectorELNS0_4arch9wavefront6targetE0EEEvSZ_.num_agpr, 0
	.set _ZN7rocprim17ROCPRIM_400000_NS6detail17trampoline_kernelINS0_13select_configILj256ELj13ELNS0_17block_load_methodE3ELS4_3ELS4_3ELNS0_20block_scan_algorithmE0ELj4294967295EEENS1_25partition_config_selectorILNS1_17partition_subalgoE4EjNS0_10empty_typeEbEEZZNS1_14partition_implILS8_4ELb0ES6_15HIP_vector_typeIjLj2EENS0_17counting_iteratorIjlEEPS9_SG_NS0_5tupleIJPjSI_NS0_16reverse_iteratorISI_EEEEENSH_IJSG_SG_SG_EEES9_SI_JZNS1_25segmented_radix_sort_implINS0_14default_configELb1EPKlPlSQ_SR_N2at6native12_GLOBAL__N_18offset_tEEE10hipError_tPvRmT1_PNSt15iterator_traitsISZ_E10value_typeET2_T3_PNS10_IS15_E10value_typeET4_jRbjT5_S1B_jjP12ihipStream_tbEUljE_ZNSN_ISO_Lb1ESQ_SR_SQ_SR_SV_EESW_SX_SY_SZ_S13_S14_S15_S18_S19_jS1A_jS1B_S1B_jjS1D_bEUljE0_EEESW_SX_SY_S15_S19_S1B_T6_T7_T9_mT8_S1D_bDpT10_ENKUlT_T0_E_clISt17integral_constantIbLb1EES1Q_IbLb0EEEEDaS1M_S1N_EUlS1M_E_NS1_11comp_targetILNS1_3genE3ELNS1_11target_archE908ELNS1_3gpuE7ELNS1_3repE0EEENS1_30default_config_static_selectorELNS0_4arch9wavefront6targetE0EEEvSZ_.numbered_sgpr, 0
	.set _ZN7rocprim17ROCPRIM_400000_NS6detail17trampoline_kernelINS0_13select_configILj256ELj13ELNS0_17block_load_methodE3ELS4_3ELS4_3ELNS0_20block_scan_algorithmE0ELj4294967295EEENS1_25partition_config_selectorILNS1_17partition_subalgoE4EjNS0_10empty_typeEbEEZZNS1_14partition_implILS8_4ELb0ES6_15HIP_vector_typeIjLj2EENS0_17counting_iteratorIjlEEPS9_SG_NS0_5tupleIJPjSI_NS0_16reverse_iteratorISI_EEEEENSH_IJSG_SG_SG_EEES9_SI_JZNS1_25segmented_radix_sort_implINS0_14default_configELb1EPKlPlSQ_SR_N2at6native12_GLOBAL__N_18offset_tEEE10hipError_tPvRmT1_PNSt15iterator_traitsISZ_E10value_typeET2_T3_PNS10_IS15_E10value_typeET4_jRbjT5_S1B_jjP12ihipStream_tbEUljE_ZNSN_ISO_Lb1ESQ_SR_SQ_SR_SV_EESW_SX_SY_SZ_S13_S14_S15_S18_S19_jS1A_jS1B_S1B_jjS1D_bEUljE0_EEESW_SX_SY_S15_S19_S1B_T6_T7_T9_mT8_S1D_bDpT10_ENKUlT_T0_E_clISt17integral_constantIbLb1EES1Q_IbLb0EEEEDaS1M_S1N_EUlS1M_E_NS1_11comp_targetILNS1_3genE3ELNS1_11target_archE908ELNS1_3gpuE7ELNS1_3repE0EEENS1_30default_config_static_selectorELNS0_4arch9wavefront6targetE0EEEvSZ_.num_named_barrier, 0
	.set _ZN7rocprim17ROCPRIM_400000_NS6detail17trampoline_kernelINS0_13select_configILj256ELj13ELNS0_17block_load_methodE3ELS4_3ELS4_3ELNS0_20block_scan_algorithmE0ELj4294967295EEENS1_25partition_config_selectorILNS1_17partition_subalgoE4EjNS0_10empty_typeEbEEZZNS1_14partition_implILS8_4ELb0ES6_15HIP_vector_typeIjLj2EENS0_17counting_iteratorIjlEEPS9_SG_NS0_5tupleIJPjSI_NS0_16reverse_iteratorISI_EEEEENSH_IJSG_SG_SG_EEES9_SI_JZNS1_25segmented_radix_sort_implINS0_14default_configELb1EPKlPlSQ_SR_N2at6native12_GLOBAL__N_18offset_tEEE10hipError_tPvRmT1_PNSt15iterator_traitsISZ_E10value_typeET2_T3_PNS10_IS15_E10value_typeET4_jRbjT5_S1B_jjP12ihipStream_tbEUljE_ZNSN_ISO_Lb1ESQ_SR_SQ_SR_SV_EESW_SX_SY_SZ_S13_S14_S15_S18_S19_jS1A_jS1B_S1B_jjS1D_bEUljE0_EEESW_SX_SY_S15_S19_S1B_T6_T7_T9_mT8_S1D_bDpT10_ENKUlT_T0_E_clISt17integral_constantIbLb1EES1Q_IbLb0EEEEDaS1M_S1N_EUlS1M_E_NS1_11comp_targetILNS1_3genE3ELNS1_11target_archE908ELNS1_3gpuE7ELNS1_3repE0EEENS1_30default_config_static_selectorELNS0_4arch9wavefront6targetE0EEEvSZ_.private_seg_size, 0
	.set _ZN7rocprim17ROCPRIM_400000_NS6detail17trampoline_kernelINS0_13select_configILj256ELj13ELNS0_17block_load_methodE3ELS4_3ELS4_3ELNS0_20block_scan_algorithmE0ELj4294967295EEENS1_25partition_config_selectorILNS1_17partition_subalgoE4EjNS0_10empty_typeEbEEZZNS1_14partition_implILS8_4ELb0ES6_15HIP_vector_typeIjLj2EENS0_17counting_iteratorIjlEEPS9_SG_NS0_5tupleIJPjSI_NS0_16reverse_iteratorISI_EEEEENSH_IJSG_SG_SG_EEES9_SI_JZNS1_25segmented_radix_sort_implINS0_14default_configELb1EPKlPlSQ_SR_N2at6native12_GLOBAL__N_18offset_tEEE10hipError_tPvRmT1_PNSt15iterator_traitsISZ_E10value_typeET2_T3_PNS10_IS15_E10value_typeET4_jRbjT5_S1B_jjP12ihipStream_tbEUljE_ZNSN_ISO_Lb1ESQ_SR_SQ_SR_SV_EESW_SX_SY_SZ_S13_S14_S15_S18_S19_jS1A_jS1B_S1B_jjS1D_bEUljE0_EEESW_SX_SY_S15_S19_S1B_T6_T7_T9_mT8_S1D_bDpT10_ENKUlT_T0_E_clISt17integral_constantIbLb1EES1Q_IbLb0EEEEDaS1M_S1N_EUlS1M_E_NS1_11comp_targetILNS1_3genE3ELNS1_11target_archE908ELNS1_3gpuE7ELNS1_3repE0EEENS1_30default_config_static_selectorELNS0_4arch9wavefront6targetE0EEEvSZ_.uses_vcc, 0
	.set _ZN7rocprim17ROCPRIM_400000_NS6detail17trampoline_kernelINS0_13select_configILj256ELj13ELNS0_17block_load_methodE3ELS4_3ELS4_3ELNS0_20block_scan_algorithmE0ELj4294967295EEENS1_25partition_config_selectorILNS1_17partition_subalgoE4EjNS0_10empty_typeEbEEZZNS1_14partition_implILS8_4ELb0ES6_15HIP_vector_typeIjLj2EENS0_17counting_iteratorIjlEEPS9_SG_NS0_5tupleIJPjSI_NS0_16reverse_iteratorISI_EEEEENSH_IJSG_SG_SG_EEES9_SI_JZNS1_25segmented_radix_sort_implINS0_14default_configELb1EPKlPlSQ_SR_N2at6native12_GLOBAL__N_18offset_tEEE10hipError_tPvRmT1_PNSt15iterator_traitsISZ_E10value_typeET2_T3_PNS10_IS15_E10value_typeET4_jRbjT5_S1B_jjP12ihipStream_tbEUljE_ZNSN_ISO_Lb1ESQ_SR_SQ_SR_SV_EESW_SX_SY_SZ_S13_S14_S15_S18_S19_jS1A_jS1B_S1B_jjS1D_bEUljE0_EEESW_SX_SY_S15_S19_S1B_T6_T7_T9_mT8_S1D_bDpT10_ENKUlT_T0_E_clISt17integral_constantIbLb1EES1Q_IbLb0EEEEDaS1M_S1N_EUlS1M_E_NS1_11comp_targetILNS1_3genE3ELNS1_11target_archE908ELNS1_3gpuE7ELNS1_3repE0EEENS1_30default_config_static_selectorELNS0_4arch9wavefront6targetE0EEEvSZ_.uses_flat_scratch, 0
	.set _ZN7rocprim17ROCPRIM_400000_NS6detail17trampoline_kernelINS0_13select_configILj256ELj13ELNS0_17block_load_methodE3ELS4_3ELS4_3ELNS0_20block_scan_algorithmE0ELj4294967295EEENS1_25partition_config_selectorILNS1_17partition_subalgoE4EjNS0_10empty_typeEbEEZZNS1_14partition_implILS8_4ELb0ES6_15HIP_vector_typeIjLj2EENS0_17counting_iteratorIjlEEPS9_SG_NS0_5tupleIJPjSI_NS0_16reverse_iteratorISI_EEEEENSH_IJSG_SG_SG_EEES9_SI_JZNS1_25segmented_radix_sort_implINS0_14default_configELb1EPKlPlSQ_SR_N2at6native12_GLOBAL__N_18offset_tEEE10hipError_tPvRmT1_PNSt15iterator_traitsISZ_E10value_typeET2_T3_PNS10_IS15_E10value_typeET4_jRbjT5_S1B_jjP12ihipStream_tbEUljE_ZNSN_ISO_Lb1ESQ_SR_SQ_SR_SV_EESW_SX_SY_SZ_S13_S14_S15_S18_S19_jS1A_jS1B_S1B_jjS1D_bEUljE0_EEESW_SX_SY_S15_S19_S1B_T6_T7_T9_mT8_S1D_bDpT10_ENKUlT_T0_E_clISt17integral_constantIbLb1EES1Q_IbLb0EEEEDaS1M_S1N_EUlS1M_E_NS1_11comp_targetILNS1_3genE3ELNS1_11target_archE908ELNS1_3gpuE7ELNS1_3repE0EEENS1_30default_config_static_selectorELNS0_4arch9wavefront6targetE0EEEvSZ_.has_dyn_sized_stack, 0
	.set _ZN7rocprim17ROCPRIM_400000_NS6detail17trampoline_kernelINS0_13select_configILj256ELj13ELNS0_17block_load_methodE3ELS4_3ELS4_3ELNS0_20block_scan_algorithmE0ELj4294967295EEENS1_25partition_config_selectorILNS1_17partition_subalgoE4EjNS0_10empty_typeEbEEZZNS1_14partition_implILS8_4ELb0ES6_15HIP_vector_typeIjLj2EENS0_17counting_iteratorIjlEEPS9_SG_NS0_5tupleIJPjSI_NS0_16reverse_iteratorISI_EEEEENSH_IJSG_SG_SG_EEES9_SI_JZNS1_25segmented_radix_sort_implINS0_14default_configELb1EPKlPlSQ_SR_N2at6native12_GLOBAL__N_18offset_tEEE10hipError_tPvRmT1_PNSt15iterator_traitsISZ_E10value_typeET2_T3_PNS10_IS15_E10value_typeET4_jRbjT5_S1B_jjP12ihipStream_tbEUljE_ZNSN_ISO_Lb1ESQ_SR_SQ_SR_SV_EESW_SX_SY_SZ_S13_S14_S15_S18_S19_jS1A_jS1B_S1B_jjS1D_bEUljE0_EEESW_SX_SY_S15_S19_S1B_T6_T7_T9_mT8_S1D_bDpT10_ENKUlT_T0_E_clISt17integral_constantIbLb1EES1Q_IbLb0EEEEDaS1M_S1N_EUlS1M_E_NS1_11comp_targetILNS1_3genE3ELNS1_11target_archE908ELNS1_3gpuE7ELNS1_3repE0EEENS1_30default_config_static_selectorELNS0_4arch9wavefront6targetE0EEEvSZ_.has_recursion, 0
	.set _ZN7rocprim17ROCPRIM_400000_NS6detail17trampoline_kernelINS0_13select_configILj256ELj13ELNS0_17block_load_methodE3ELS4_3ELS4_3ELNS0_20block_scan_algorithmE0ELj4294967295EEENS1_25partition_config_selectorILNS1_17partition_subalgoE4EjNS0_10empty_typeEbEEZZNS1_14partition_implILS8_4ELb0ES6_15HIP_vector_typeIjLj2EENS0_17counting_iteratorIjlEEPS9_SG_NS0_5tupleIJPjSI_NS0_16reverse_iteratorISI_EEEEENSH_IJSG_SG_SG_EEES9_SI_JZNS1_25segmented_radix_sort_implINS0_14default_configELb1EPKlPlSQ_SR_N2at6native12_GLOBAL__N_18offset_tEEE10hipError_tPvRmT1_PNSt15iterator_traitsISZ_E10value_typeET2_T3_PNS10_IS15_E10value_typeET4_jRbjT5_S1B_jjP12ihipStream_tbEUljE_ZNSN_ISO_Lb1ESQ_SR_SQ_SR_SV_EESW_SX_SY_SZ_S13_S14_S15_S18_S19_jS1A_jS1B_S1B_jjS1D_bEUljE0_EEESW_SX_SY_S15_S19_S1B_T6_T7_T9_mT8_S1D_bDpT10_ENKUlT_T0_E_clISt17integral_constantIbLb1EES1Q_IbLb0EEEEDaS1M_S1N_EUlS1M_E_NS1_11comp_targetILNS1_3genE3ELNS1_11target_archE908ELNS1_3gpuE7ELNS1_3repE0EEENS1_30default_config_static_selectorELNS0_4arch9wavefront6targetE0EEEvSZ_.has_indirect_call, 0
	.section	.AMDGPU.csdata,"",@progbits
; Kernel info:
; codeLenInByte = 0
; TotalNumSgprs: 0
; NumVgprs: 0
; ScratchSize: 0
; MemoryBound: 0
; FloatMode: 240
; IeeeMode: 1
; LDSByteSize: 0 bytes/workgroup (compile time only)
; SGPRBlocks: 0
; VGPRBlocks: 0
; NumSGPRsForWavesPerEU: 1
; NumVGPRsForWavesPerEU: 1
; NamedBarCnt: 0
; Occupancy: 16
; WaveLimiterHint : 0
; COMPUTE_PGM_RSRC2:SCRATCH_EN: 0
; COMPUTE_PGM_RSRC2:USER_SGPR: 2
; COMPUTE_PGM_RSRC2:TRAP_HANDLER: 0
; COMPUTE_PGM_RSRC2:TGID_X_EN: 1
; COMPUTE_PGM_RSRC2:TGID_Y_EN: 0
; COMPUTE_PGM_RSRC2:TGID_Z_EN: 0
; COMPUTE_PGM_RSRC2:TIDIG_COMP_CNT: 0
	.section	.text._ZN7rocprim17ROCPRIM_400000_NS6detail17trampoline_kernelINS0_13select_configILj256ELj13ELNS0_17block_load_methodE3ELS4_3ELS4_3ELNS0_20block_scan_algorithmE0ELj4294967295EEENS1_25partition_config_selectorILNS1_17partition_subalgoE4EjNS0_10empty_typeEbEEZZNS1_14partition_implILS8_4ELb0ES6_15HIP_vector_typeIjLj2EENS0_17counting_iteratorIjlEEPS9_SG_NS0_5tupleIJPjSI_NS0_16reverse_iteratorISI_EEEEENSH_IJSG_SG_SG_EEES9_SI_JZNS1_25segmented_radix_sort_implINS0_14default_configELb1EPKlPlSQ_SR_N2at6native12_GLOBAL__N_18offset_tEEE10hipError_tPvRmT1_PNSt15iterator_traitsISZ_E10value_typeET2_T3_PNS10_IS15_E10value_typeET4_jRbjT5_S1B_jjP12ihipStream_tbEUljE_ZNSN_ISO_Lb1ESQ_SR_SQ_SR_SV_EESW_SX_SY_SZ_S13_S14_S15_S18_S19_jS1A_jS1B_S1B_jjS1D_bEUljE0_EEESW_SX_SY_S15_S19_S1B_T6_T7_T9_mT8_S1D_bDpT10_ENKUlT_T0_E_clISt17integral_constantIbLb1EES1Q_IbLb0EEEEDaS1M_S1N_EUlS1M_E_NS1_11comp_targetILNS1_3genE2ELNS1_11target_archE906ELNS1_3gpuE6ELNS1_3repE0EEENS1_30default_config_static_selectorELNS0_4arch9wavefront6targetE0EEEvSZ_,"axG",@progbits,_ZN7rocprim17ROCPRIM_400000_NS6detail17trampoline_kernelINS0_13select_configILj256ELj13ELNS0_17block_load_methodE3ELS4_3ELS4_3ELNS0_20block_scan_algorithmE0ELj4294967295EEENS1_25partition_config_selectorILNS1_17partition_subalgoE4EjNS0_10empty_typeEbEEZZNS1_14partition_implILS8_4ELb0ES6_15HIP_vector_typeIjLj2EENS0_17counting_iteratorIjlEEPS9_SG_NS0_5tupleIJPjSI_NS0_16reverse_iteratorISI_EEEEENSH_IJSG_SG_SG_EEES9_SI_JZNS1_25segmented_radix_sort_implINS0_14default_configELb1EPKlPlSQ_SR_N2at6native12_GLOBAL__N_18offset_tEEE10hipError_tPvRmT1_PNSt15iterator_traitsISZ_E10value_typeET2_T3_PNS10_IS15_E10value_typeET4_jRbjT5_S1B_jjP12ihipStream_tbEUljE_ZNSN_ISO_Lb1ESQ_SR_SQ_SR_SV_EESW_SX_SY_SZ_S13_S14_S15_S18_S19_jS1A_jS1B_S1B_jjS1D_bEUljE0_EEESW_SX_SY_S15_S19_S1B_T6_T7_T9_mT8_S1D_bDpT10_ENKUlT_T0_E_clISt17integral_constantIbLb1EES1Q_IbLb0EEEEDaS1M_S1N_EUlS1M_E_NS1_11comp_targetILNS1_3genE2ELNS1_11target_archE906ELNS1_3gpuE6ELNS1_3repE0EEENS1_30default_config_static_selectorELNS0_4arch9wavefront6targetE0EEEvSZ_,comdat
	.globl	_ZN7rocprim17ROCPRIM_400000_NS6detail17trampoline_kernelINS0_13select_configILj256ELj13ELNS0_17block_load_methodE3ELS4_3ELS4_3ELNS0_20block_scan_algorithmE0ELj4294967295EEENS1_25partition_config_selectorILNS1_17partition_subalgoE4EjNS0_10empty_typeEbEEZZNS1_14partition_implILS8_4ELb0ES6_15HIP_vector_typeIjLj2EENS0_17counting_iteratorIjlEEPS9_SG_NS0_5tupleIJPjSI_NS0_16reverse_iteratorISI_EEEEENSH_IJSG_SG_SG_EEES9_SI_JZNS1_25segmented_radix_sort_implINS0_14default_configELb1EPKlPlSQ_SR_N2at6native12_GLOBAL__N_18offset_tEEE10hipError_tPvRmT1_PNSt15iterator_traitsISZ_E10value_typeET2_T3_PNS10_IS15_E10value_typeET4_jRbjT5_S1B_jjP12ihipStream_tbEUljE_ZNSN_ISO_Lb1ESQ_SR_SQ_SR_SV_EESW_SX_SY_SZ_S13_S14_S15_S18_S19_jS1A_jS1B_S1B_jjS1D_bEUljE0_EEESW_SX_SY_S15_S19_S1B_T6_T7_T9_mT8_S1D_bDpT10_ENKUlT_T0_E_clISt17integral_constantIbLb1EES1Q_IbLb0EEEEDaS1M_S1N_EUlS1M_E_NS1_11comp_targetILNS1_3genE2ELNS1_11target_archE906ELNS1_3gpuE6ELNS1_3repE0EEENS1_30default_config_static_selectorELNS0_4arch9wavefront6targetE0EEEvSZ_ ; -- Begin function _ZN7rocprim17ROCPRIM_400000_NS6detail17trampoline_kernelINS0_13select_configILj256ELj13ELNS0_17block_load_methodE3ELS4_3ELS4_3ELNS0_20block_scan_algorithmE0ELj4294967295EEENS1_25partition_config_selectorILNS1_17partition_subalgoE4EjNS0_10empty_typeEbEEZZNS1_14partition_implILS8_4ELb0ES6_15HIP_vector_typeIjLj2EENS0_17counting_iteratorIjlEEPS9_SG_NS0_5tupleIJPjSI_NS0_16reverse_iteratorISI_EEEEENSH_IJSG_SG_SG_EEES9_SI_JZNS1_25segmented_radix_sort_implINS0_14default_configELb1EPKlPlSQ_SR_N2at6native12_GLOBAL__N_18offset_tEEE10hipError_tPvRmT1_PNSt15iterator_traitsISZ_E10value_typeET2_T3_PNS10_IS15_E10value_typeET4_jRbjT5_S1B_jjP12ihipStream_tbEUljE_ZNSN_ISO_Lb1ESQ_SR_SQ_SR_SV_EESW_SX_SY_SZ_S13_S14_S15_S18_S19_jS1A_jS1B_S1B_jjS1D_bEUljE0_EEESW_SX_SY_S15_S19_S1B_T6_T7_T9_mT8_S1D_bDpT10_ENKUlT_T0_E_clISt17integral_constantIbLb1EES1Q_IbLb0EEEEDaS1M_S1N_EUlS1M_E_NS1_11comp_targetILNS1_3genE2ELNS1_11target_archE906ELNS1_3gpuE6ELNS1_3repE0EEENS1_30default_config_static_selectorELNS0_4arch9wavefront6targetE0EEEvSZ_
	.p2align	8
	.type	_ZN7rocprim17ROCPRIM_400000_NS6detail17trampoline_kernelINS0_13select_configILj256ELj13ELNS0_17block_load_methodE3ELS4_3ELS4_3ELNS0_20block_scan_algorithmE0ELj4294967295EEENS1_25partition_config_selectorILNS1_17partition_subalgoE4EjNS0_10empty_typeEbEEZZNS1_14partition_implILS8_4ELb0ES6_15HIP_vector_typeIjLj2EENS0_17counting_iteratorIjlEEPS9_SG_NS0_5tupleIJPjSI_NS0_16reverse_iteratorISI_EEEEENSH_IJSG_SG_SG_EEES9_SI_JZNS1_25segmented_radix_sort_implINS0_14default_configELb1EPKlPlSQ_SR_N2at6native12_GLOBAL__N_18offset_tEEE10hipError_tPvRmT1_PNSt15iterator_traitsISZ_E10value_typeET2_T3_PNS10_IS15_E10value_typeET4_jRbjT5_S1B_jjP12ihipStream_tbEUljE_ZNSN_ISO_Lb1ESQ_SR_SQ_SR_SV_EESW_SX_SY_SZ_S13_S14_S15_S18_S19_jS1A_jS1B_S1B_jjS1D_bEUljE0_EEESW_SX_SY_S15_S19_S1B_T6_T7_T9_mT8_S1D_bDpT10_ENKUlT_T0_E_clISt17integral_constantIbLb1EES1Q_IbLb0EEEEDaS1M_S1N_EUlS1M_E_NS1_11comp_targetILNS1_3genE2ELNS1_11target_archE906ELNS1_3gpuE6ELNS1_3repE0EEENS1_30default_config_static_selectorELNS0_4arch9wavefront6targetE0EEEvSZ_,@function
_ZN7rocprim17ROCPRIM_400000_NS6detail17trampoline_kernelINS0_13select_configILj256ELj13ELNS0_17block_load_methodE3ELS4_3ELS4_3ELNS0_20block_scan_algorithmE0ELj4294967295EEENS1_25partition_config_selectorILNS1_17partition_subalgoE4EjNS0_10empty_typeEbEEZZNS1_14partition_implILS8_4ELb0ES6_15HIP_vector_typeIjLj2EENS0_17counting_iteratorIjlEEPS9_SG_NS0_5tupleIJPjSI_NS0_16reverse_iteratorISI_EEEEENSH_IJSG_SG_SG_EEES9_SI_JZNS1_25segmented_radix_sort_implINS0_14default_configELb1EPKlPlSQ_SR_N2at6native12_GLOBAL__N_18offset_tEEE10hipError_tPvRmT1_PNSt15iterator_traitsISZ_E10value_typeET2_T3_PNS10_IS15_E10value_typeET4_jRbjT5_S1B_jjP12ihipStream_tbEUljE_ZNSN_ISO_Lb1ESQ_SR_SQ_SR_SV_EESW_SX_SY_SZ_S13_S14_S15_S18_S19_jS1A_jS1B_S1B_jjS1D_bEUljE0_EEESW_SX_SY_S15_S19_S1B_T6_T7_T9_mT8_S1D_bDpT10_ENKUlT_T0_E_clISt17integral_constantIbLb1EES1Q_IbLb0EEEEDaS1M_S1N_EUlS1M_E_NS1_11comp_targetILNS1_3genE2ELNS1_11target_archE906ELNS1_3gpuE6ELNS1_3repE0EEENS1_30default_config_static_selectorELNS0_4arch9wavefront6targetE0EEEvSZ_: ; @_ZN7rocprim17ROCPRIM_400000_NS6detail17trampoline_kernelINS0_13select_configILj256ELj13ELNS0_17block_load_methodE3ELS4_3ELS4_3ELNS0_20block_scan_algorithmE0ELj4294967295EEENS1_25partition_config_selectorILNS1_17partition_subalgoE4EjNS0_10empty_typeEbEEZZNS1_14partition_implILS8_4ELb0ES6_15HIP_vector_typeIjLj2EENS0_17counting_iteratorIjlEEPS9_SG_NS0_5tupleIJPjSI_NS0_16reverse_iteratorISI_EEEEENSH_IJSG_SG_SG_EEES9_SI_JZNS1_25segmented_radix_sort_implINS0_14default_configELb1EPKlPlSQ_SR_N2at6native12_GLOBAL__N_18offset_tEEE10hipError_tPvRmT1_PNSt15iterator_traitsISZ_E10value_typeET2_T3_PNS10_IS15_E10value_typeET4_jRbjT5_S1B_jjP12ihipStream_tbEUljE_ZNSN_ISO_Lb1ESQ_SR_SQ_SR_SV_EESW_SX_SY_SZ_S13_S14_S15_S18_S19_jS1A_jS1B_S1B_jjS1D_bEUljE0_EEESW_SX_SY_S15_S19_S1B_T6_T7_T9_mT8_S1D_bDpT10_ENKUlT_T0_E_clISt17integral_constantIbLb1EES1Q_IbLb0EEEEDaS1M_S1N_EUlS1M_E_NS1_11comp_targetILNS1_3genE2ELNS1_11target_archE906ELNS1_3gpuE6ELNS1_3repE0EEENS1_30default_config_static_selectorELNS0_4arch9wavefront6targetE0EEEvSZ_
; %bb.0:
	.section	.rodata,"a",@progbits
	.p2align	6, 0x0
	.amdhsa_kernel _ZN7rocprim17ROCPRIM_400000_NS6detail17trampoline_kernelINS0_13select_configILj256ELj13ELNS0_17block_load_methodE3ELS4_3ELS4_3ELNS0_20block_scan_algorithmE0ELj4294967295EEENS1_25partition_config_selectorILNS1_17partition_subalgoE4EjNS0_10empty_typeEbEEZZNS1_14partition_implILS8_4ELb0ES6_15HIP_vector_typeIjLj2EENS0_17counting_iteratorIjlEEPS9_SG_NS0_5tupleIJPjSI_NS0_16reverse_iteratorISI_EEEEENSH_IJSG_SG_SG_EEES9_SI_JZNS1_25segmented_radix_sort_implINS0_14default_configELb1EPKlPlSQ_SR_N2at6native12_GLOBAL__N_18offset_tEEE10hipError_tPvRmT1_PNSt15iterator_traitsISZ_E10value_typeET2_T3_PNS10_IS15_E10value_typeET4_jRbjT5_S1B_jjP12ihipStream_tbEUljE_ZNSN_ISO_Lb1ESQ_SR_SQ_SR_SV_EESW_SX_SY_SZ_S13_S14_S15_S18_S19_jS1A_jS1B_S1B_jjS1D_bEUljE0_EEESW_SX_SY_S15_S19_S1B_T6_T7_T9_mT8_S1D_bDpT10_ENKUlT_T0_E_clISt17integral_constantIbLb1EES1Q_IbLb0EEEEDaS1M_S1N_EUlS1M_E_NS1_11comp_targetILNS1_3genE2ELNS1_11target_archE906ELNS1_3gpuE6ELNS1_3repE0EEENS1_30default_config_static_selectorELNS0_4arch9wavefront6targetE0EEEvSZ_
		.amdhsa_group_segment_fixed_size 0
		.amdhsa_private_segment_fixed_size 0
		.amdhsa_kernarg_size 176
		.amdhsa_user_sgpr_count 2
		.amdhsa_user_sgpr_dispatch_ptr 0
		.amdhsa_user_sgpr_queue_ptr 0
		.amdhsa_user_sgpr_kernarg_segment_ptr 1
		.amdhsa_user_sgpr_dispatch_id 0
		.amdhsa_user_sgpr_kernarg_preload_length 0
		.amdhsa_user_sgpr_kernarg_preload_offset 0
		.amdhsa_user_sgpr_private_segment_size 0
		.amdhsa_wavefront_size32 1
		.amdhsa_uses_dynamic_stack 0
		.amdhsa_enable_private_segment 0
		.amdhsa_system_sgpr_workgroup_id_x 1
		.amdhsa_system_sgpr_workgroup_id_y 0
		.amdhsa_system_sgpr_workgroup_id_z 0
		.amdhsa_system_sgpr_workgroup_info 0
		.amdhsa_system_vgpr_workitem_id 0
		.amdhsa_next_free_vgpr 1
		.amdhsa_next_free_sgpr 1
		.amdhsa_named_barrier_count 0
		.amdhsa_reserve_vcc 0
		.amdhsa_float_round_mode_32 0
		.amdhsa_float_round_mode_16_64 0
		.amdhsa_float_denorm_mode_32 3
		.amdhsa_float_denorm_mode_16_64 3
		.amdhsa_fp16_overflow 0
		.amdhsa_memory_ordered 1
		.amdhsa_forward_progress 1
		.amdhsa_inst_pref_size 0
		.amdhsa_round_robin_scheduling 0
		.amdhsa_exception_fp_ieee_invalid_op 0
		.amdhsa_exception_fp_denorm_src 0
		.amdhsa_exception_fp_ieee_div_zero 0
		.amdhsa_exception_fp_ieee_overflow 0
		.amdhsa_exception_fp_ieee_underflow 0
		.amdhsa_exception_fp_ieee_inexact 0
		.amdhsa_exception_int_div_zero 0
	.end_amdhsa_kernel
	.section	.text._ZN7rocprim17ROCPRIM_400000_NS6detail17trampoline_kernelINS0_13select_configILj256ELj13ELNS0_17block_load_methodE3ELS4_3ELS4_3ELNS0_20block_scan_algorithmE0ELj4294967295EEENS1_25partition_config_selectorILNS1_17partition_subalgoE4EjNS0_10empty_typeEbEEZZNS1_14partition_implILS8_4ELb0ES6_15HIP_vector_typeIjLj2EENS0_17counting_iteratorIjlEEPS9_SG_NS0_5tupleIJPjSI_NS0_16reverse_iteratorISI_EEEEENSH_IJSG_SG_SG_EEES9_SI_JZNS1_25segmented_radix_sort_implINS0_14default_configELb1EPKlPlSQ_SR_N2at6native12_GLOBAL__N_18offset_tEEE10hipError_tPvRmT1_PNSt15iterator_traitsISZ_E10value_typeET2_T3_PNS10_IS15_E10value_typeET4_jRbjT5_S1B_jjP12ihipStream_tbEUljE_ZNSN_ISO_Lb1ESQ_SR_SQ_SR_SV_EESW_SX_SY_SZ_S13_S14_S15_S18_S19_jS1A_jS1B_S1B_jjS1D_bEUljE0_EEESW_SX_SY_S15_S19_S1B_T6_T7_T9_mT8_S1D_bDpT10_ENKUlT_T0_E_clISt17integral_constantIbLb1EES1Q_IbLb0EEEEDaS1M_S1N_EUlS1M_E_NS1_11comp_targetILNS1_3genE2ELNS1_11target_archE906ELNS1_3gpuE6ELNS1_3repE0EEENS1_30default_config_static_selectorELNS0_4arch9wavefront6targetE0EEEvSZ_,"axG",@progbits,_ZN7rocprim17ROCPRIM_400000_NS6detail17trampoline_kernelINS0_13select_configILj256ELj13ELNS0_17block_load_methodE3ELS4_3ELS4_3ELNS0_20block_scan_algorithmE0ELj4294967295EEENS1_25partition_config_selectorILNS1_17partition_subalgoE4EjNS0_10empty_typeEbEEZZNS1_14partition_implILS8_4ELb0ES6_15HIP_vector_typeIjLj2EENS0_17counting_iteratorIjlEEPS9_SG_NS0_5tupleIJPjSI_NS0_16reverse_iteratorISI_EEEEENSH_IJSG_SG_SG_EEES9_SI_JZNS1_25segmented_radix_sort_implINS0_14default_configELb1EPKlPlSQ_SR_N2at6native12_GLOBAL__N_18offset_tEEE10hipError_tPvRmT1_PNSt15iterator_traitsISZ_E10value_typeET2_T3_PNS10_IS15_E10value_typeET4_jRbjT5_S1B_jjP12ihipStream_tbEUljE_ZNSN_ISO_Lb1ESQ_SR_SQ_SR_SV_EESW_SX_SY_SZ_S13_S14_S15_S18_S19_jS1A_jS1B_S1B_jjS1D_bEUljE0_EEESW_SX_SY_S15_S19_S1B_T6_T7_T9_mT8_S1D_bDpT10_ENKUlT_T0_E_clISt17integral_constantIbLb1EES1Q_IbLb0EEEEDaS1M_S1N_EUlS1M_E_NS1_11comp_targetILNS1_3genE2ELNS1_11target_archE906ELNS1_3gpuE6ELNS1_3repE0EEENS1_30default_config_static_selectorELNS0_4arch9wavefront6targetE0EEEvSZ_,comdat
.Lfunc_end656:
	.size	_ZN7rocprim17ROCPRIM_400000_NS6detail17trampoline_kernelINS0_13select_configILj256ELj13ELNS0_17block_load_methodE3ELS4_3ELS4_3ELNS0_20block_scan_algorithmE0ELj4294967295EEENS1_25partition_config_selectorILNS1_17partition_subalgoE4EjNS0_10empty_typeEbEEZZNS1_14partition_implILS8_4ELb0ES6_15HIP_vector_typeIjLj2EENS0_17counting_iteratorIjlEEPS9_SG_NS0_5tupleIJPjSI_NS0_16reverse_iteratorISI_EEEEENSH_IJSG_SG_SG_EEES9_SI_JZNS1_25segmented_radix_sort_implINS0_14default_configELb1EPKlPlSQ_SR_N2at6native12_GLOBAL__N_18offset_tEEE10hipError_tPvRmT1_PNSt15iterator_traitsISZ_E10value_typeET2_T3_PNS10_IS15_E10value_typeET4_jRbjT5_S1B_jjP12ihipStream_tbEUljE_ZNSN_ISO_Lb1ESQ_SR_SQ_SR_SV_EESW_SX_SY_SZ_S13_S14_S15_S18_S19_jS1A_jS1B_S1B_jjS1D_bEUljE0_EEESW_SX_SY_S15_S19_S1B_T6_T7_T9_mT8_S1D_bDpT10_ENKUlT_T0_E_clISt17integral_constantIbLb1EES1Q_IbLb0EEEEDaS1M_S1N_EUlS1M_E_NS1_11comp_targetILNS1_3genE2ELNS1_11target_archE906ELNS1_3gpuE6ELNS1_3repE0EEENS1_30default_config_static_selectorELNS0_4arch9wavefront6targetE0EEEvSZ_, .Lfunc_end656-_ZN7rocprim17ROCPRIM_400000_NS6detail17trampoline_kernelINS0_13select_configILj256ELj13ELNS0_17block_load_methodE3ELS4_3ELS4_3ELNS0_20block_scan_algorithmE0ELj4294967295EEENS1_25partition_config_selectorILNS1_17partition_subalgoE4EjNS0_10empty_typeEbEEZZNS1_14partition_implILS8_4ELb0ES6_15HIP_vector_typeIjLj2EENS0_17counting_iteratorIjlEEPS9_SG_NS0_5tupleIJPjSI_NS0_16reverse_iteratorISI_EEEEENSH_IJSG_SG_SG_EEES9_SI_JZNS1_25segmented_radix_sort_implINS0_14default_configELb1EPKlPlSQ_SR_N2at6native12_GLOBAL__N_18offset_tEEE10hipError_tPvRmT1_PNSt15iterator_traitsISZ_E10value_typeET2_T3_PNS10_IS15_E10value_typeET4_jRbjT5_S1B_jjP12ihipStream_tbEUljE_ZNSN_ISO_Lb1ESQ_SR_SQ_SR_SV_EESW_SX_SY_SZ_S13_S14_S15_S18_S19_jS1A_jS1B_S1B_jjS1D_bEUljE0_EEESW_SX_SY_S15_S19_S1B_T6_T7_T9_mT8_S1D_bDpT10_ENKUlT_T0_E_clISt17integral_constantIbLb1EES1Q_IbLb0EEEEDaS1M_S1N_EUlS1M_E_NS1_11comp_targetILNS1_3genE2ELNS1_11target_archE906ELNS1_3gpuE6ELNS1_3repE0EEENS1_30default_config_static_selectorELNS0_4arch9wavefront6targetE0EEEvSZ_
                                        ; -- End function
	.set _ZN7rocprim17ROCPRIM_400000_NS6detail17trampoline_kernelINS0_13select_configILj256ELj13ELNS0_17block_load_methodE3ELS4_3ELS4_3ELNS0_20block_scan_algorithmE0ELj4294967295EEENS1_25partition_config_selectorILNS1_17partition_subalgoE4EjNS0_10empty_typeEbEEZZNS1_14partition_implILS8_4ELb0ES6_15HIP_vector_typeIjLj2EENS0_17counting_iteratorIjlEEPS9_SG_NS0_5tupleIJPjSI_NS0_16reverse_iteratorISI_EEEEENSH_IJSG_SG_SG_EEES9_SI_JZNS1_25segmented_radix_sort_implINS0_14default_configELb1EPKlPlSQ_SR_N2at6native12_GLOBAL__N_18offset_tEEE10hipError_tPvRmT1_PNSt15iterator_traitsISZ_E10value_typeET2_T3_PNS10_IS15_E10value_typeET4_jRbjT5_S1B_jjP12ihipStream_tbEUljE_ZNSN_ISO_Lb1ESQ_SR_SQ_SR_SV_EESW_SX_SY_SZ_S13_S14_S15_S18_S19_jS1A_jS1B_S1B_jjS1D_bEUljE0_EEESW_SX_SY_S15_S19_S1B_T6_T7_T9_mT8_S1D_bDpT10_ENKUlT_T0_E_clISt17integral_constantIbLb1EES1Q_IbLb0EEEEDaS1M_S1N_EUlS1M_E_NS1_11comp_targetILNS1_3genE2ELNS1_11target_archE906ELNS1_3gpuE6ELNS1_3repE0EEENS1_30default_config_static_selectorELNS0_4arch9wavefront6targetE0EEEvSZ_.num_vgpr, 0
	.set _ZN7rocprim17ROCPRIM_400000_NS6detail17trampoline_kernelINS0_13select_configILj256ELj13ELNS0_17block_load_methodE3ELS4_3ELS4_3ELNS0_20block_scan_algorithmE0ELj4294967295EEENS1_25partition_config_selectorILNS1_17partition_subalgoE4EjNS0_10empty_typeEbEEZZNS1_14partition_implILS8_4ELb0ES6_15HIP_vector_typeIjLj2EENS0_17counting_iteratorIjlEEPS9_SG_NS0_5tupleIJPjSI_NS0_16reverse_iteratorISI_EEEEENSH_IJSG_SG_SG_EEES9_SI_JZNS1_25segmented_radix_sort_implINS0_14default_configELb1EPKlPlSQ_SR_N2at6native12_GLOBAL__N_18offset_tEEE10hipError_tPvRmT1_PNSt15iterator_traitsISZ_E10value_typeET2_T3_PNS10_IS15_E10value_typeET4_jRbjT5_S1B_jjP12ihipStream_tbEUljE_ZNSN_ISO_Lb1ESQ_SR_SQ_SR_SV_EESW_SX_SY_SZ_S13_S14_S15_S18_S19_jS1A_jS1B_S1B_jjS1D_bEUljE0_EEESW_SX_SY_S15_S19_S1B_T6_T7_T9_mT8_S1D_bDpT10_ENKUlT_T0_E_clISt17integral_constantIbLb1EES1Q_IbLb0EEEEDaS1M_S1N_EUlS1M_E_NS1_11comp_targetILNS1_3genE2ELNS1_11target_archE906ELNS1_3gpuE6ELNS1_3repE0EEENS1_30default_config_static_selectorELNS0_4arch9wavefront6targetE0EEEvSZ_.num_agpr, 0
	.set _ZN7rocprim17ROCPRIM_400000_NS6detail17trampoline_kernelINS0_13select_configILj256ELj13ELNS0_17block_load_methodE3ELS4_3ELS4_3ELNS0_20block_scan_algorithmE0ELj4294967295EEENS1_25partition_config_selectorILNS1_17partition_subalgoE4EjNS0_10empty_typeEbEEZZNS1_14partition_implILS8_4ELb0ES6_15HIP_vector_typeIjLj2EENS0_17counting_iteratorIjlEEPS9_SG_NS0_5tupleIJPjSI_NS0_16reverse_iteratorISI_EEEEENSH_IJSG_SG_SG_EEES9_SI_JZNS1_25segmented_radix_sort_implINS0_14default_configELb1EPKlPlSQ_SR_N2at6native12_GLOBAL__N_18offset_tEEE10hipError_tPvRmT1_PNSt15iterator_traitsISZ_E10value_typeET2_T3_PNS10_IS15_E10value_typeET4_jRbjT5_S1B_jjP12ihipStream_tbEUljE_ZNSN_ISO_Lb1ESQ_SR_SQ_SR_SV_EESW_SX_SY_SZ_S13_S14_S15_S18_S19_jS1A_jS1B_S1B_jjS1D_bEUljE0_EEESW_SX_SY_S15_S19_S1B_T6_T7_T9_mT8_S1D_bDpT10_ENKUlT_T0_E_clISt17integral_constantIbLb1EES1Q_IbLb0EEEEDaS1M_S1N_EUlS1M_E_NS1_11comp_targetILNS1_3genE2ELNS1_11target_archE906ELNS1_3gpuE6ELNS1_3repE0EEENS1_30default_config_static_selectorELNS0_4arch9wavefront6targetE0EEEvSZ_.numbered_sgpr, 0
	.set _ZN7rocprim17ROCPRIM_400000_NS6detail17trampoline_kernelINS0_13select_configILj256ELj13ELNS0_17block_load_methodE3ELS4_3ELS4_3ELNS0_20block_scan_algorithmE0ELj4294967295EEENS1_25partition_config_selectorILNS1_17partition_subalgoE4EjNS0_10empty_typeEbEEZZNS1_14partition_implILS8_4ELb0ES6_15HIP_vector_typeIjLj2EENS0_17counting_iteratorIjlEEPS9_SG_NS0_5tupleIJPjSI_NS0_16reverse_iteratorISI_EEEEENSH_IJSG_SG_SG_EEES9_SI_JZNS1_25segmented_radix_sort_implINS0_14default_configELb1EPKlPlSQ_SR_N2at6native12_GLOBAL__N_18offset_tEEE10hipError_tPvRmT1_PNSt15iterator_traitsISZ_E10value_typeET2_T3_PNS10_IS15_E10value_typeET4_jRbjT5_S1B_jjP12ihipStream_tbEUljE_ZNSN_ISO_Lb1ESQ_SR_SQ_SR_SV_EESW_SX_SY_SZ_S13_S14_S15_S18_S19_jS1A_jS1B_S1B_jjS1D_bEUljE0_EEESW_SX_SY_S15_S19_S1B_T6_T7_T9_mT8_S1D_bDpT10_ENKUlT_T0_E_clISt17integral_constantIbLb1EES1Q_IbLb0EEEEDaS1M_S1N_EUlS1M_E_NS1_11comp_targetILNS1_3genE2ELNS1_11target_archE906ELNS1_3gpuE6ELNS1_3repE0EEENS1_30default_config_static_selectorELNS0_4arch9wavefront6targetE0EEEvSZ_.num_named_barrier, 0
	.set _ZN7rocprim17ROCPRIM_400000_NS6detail17trampoline_kernelINS0_13select_configILj256ELj13ELNS0_17block_load_methodE3ELS4_3ELS4_3ELNS0_20block_scan_algorithmE0ELj4294967295EEENS1_25partition_config_selectorILNS1_17partition_subalgoE4EjNS0_10empty_typeEbEEZZNS1_14partition_implILS8_4ELb0ES6_15HIP_vector_typeIjLj2EENS0_17counting_iteratorIjlEEPS9_SG_NS0_5tupleIJPjSI_NS0_16reverse_iteratorISI_EEEEENSH_IJSG_SG_SG_EEES9_SI_JZNS1_25segmented_radix_sort_implINS0_14default_configELb1EPKlPlSQ_SR_N2at6native12_GLOBAL__N_18offset_tEEE10hipError_tPvRmT1_PNSt15iterator_traitsISZ_E10value_typeET2_T3_PNS10_IS15_E10value_typeET4_jRbjT5_S1B_jjP12ihipStream_tbEUljE_ZNSN_ISO_Lb1ESQ_SR_SQ_SR_SV_EESW_SX_SY_SZ_S13_S14_S15_S18_S19_jS1A_jS1B_S1B_jjS1D_bEUljE0_EEESW_SX_SY_S15_S19_S1B_T6_T7_T9_mT8_S1D_bDpT10_ENKUlT_T0_E_clISt17integral_constantIbLb1EES1Q_IbLb0EEEEDaS1M_S1N_EUlS1M_E_NS1_11comp_targetILNS1_3genE2ELNS1_11target_archE906ELNS1_3gpuE6ELNS1_3repE0EEENS1_30default_config_static_selectorELNS0_4arch9wavefront6targetE0EEEvSZ_.private_seg_size, 0
	.set _ZN7rocprim17ROCPRIM_400000_NS6detail17trampoline_kernelINS0_13select_configILj256ELj13ELNS0_17block_load_methodE3ELS4_3ELS4_3ELNS0_20block_scan_algorithmE0ELj4294967295EEENS1_25partition_config_selectorILNS1_17partition_subalgoE4EjNS0_10empty_typeEbEEZZNS1_14partition_implILS8_4ELb0ES6_15HIP_vector_typeIjLj2EENS0_17counting_iteratorIjlEEPS9_SG_NS0_5tupleIJPjSI_NS0_16reverse_iteratorISI_EEEEENSH_IJSG_SG_SG_EEES9_SI_JZNS1_25segmented_radix_sort_implINS0_14default_configELb1EPKlPlSQ_SR_N2at6native12_GLOBAL__N_18offset_tEEE10hipError_tPvRmT1_PNSt15iterator_traitsISZ_E10value_typeET2_T3_PNS10_IS15_E10value_typeET4_jRbjT5_S1B_jjP12ihipStream_tbEUljE_ZNSN_ISO_Lb1ESQ_SR_SQ_SR_SV_EESW_SX_SY_SZ_S13_S14_S15_S18_S19_jS1A_jS1B_S1B_jjS1D_bEUljE0_EEESW_SX_SY_S15_S19_S1B_T6_T7_T9_mT8_S1D_bDpT10_ENKUlT_T0_E_clISt17integral_constantIbLb1EES1Q_IbLb0EEEEDaS1M_S1N_EUlS1M_E_NS1_11comp_targetILNS1_3genE2ELNS1_11target_archE906ELNS1_3gpuE6ELNS1_3repE0EEENS1_30default_config_static_selectorELNS0_4arch9wavefront6targetE0EEEvSZ_.uses_vcc, 0
	.set _ZN7rocprim17ROCPRIM_400000_NS6detail17trampoline_kernelINS0_13select_configILj256ELj13ELNS0_17block_load_methodE3ELS4_3ELS4_3ELNS0_20block_scan_algorithmE0ELj4294967295EEENS1_25partition_config_selectorILNS1_17partition_subalgoE4EjNS0_10empty_typeEbEEZZNS1_14partition_implILS8_4ELb0ES6_15HIP_vector_typeIjLj2EENS0_17counting_iteratorIjlEEPS9_SG_NS0_5tupleIJPjSI_NS0_16reverse_iteratorISI_EEEEENSH_IJSG_SG_SG_EEES9_SI_JZNS1_25segmented_radix_sort_implINS0_14default_configELb1EPKlPlSQ_SR_N2at6native12_GLOBAL__N_18offset_tEEE10hipError_tPvRmT1_PNSt15iterator_traitsISZ_E10value_typeET2_T3_PNS10_IS15_E10value_typeET4_jRbjT5_S1B_jjP12ihipStream_tbEUljE_ZNSN_ISO_Lb1ESQ_SR_SQ_SR_SV_EESW_SX_SY_SZ_S13_S14_S15_S18_S19_jS1A_jS1B_S1B_jjS1D_bEUljE0_EEESW_SX_SY_S15_S19_S1B_T6_T7_T9_mT8_S1D_bDpT10_ENKUlT_T0_E_clISt17integral_constantIbLb1EES1Q_IbLb0EEEEDaS1M_S1N_EUlS1M_E_NS1_11comp_targetILNS1_3genE2ELNS1_11target_archE906ELNS1_3gpuE6ELNS1_3repE0EEENS1_30default_config_static_selectorELNS0_4arch9wavefront6targetE0EEEvSZ_.uses_flat_scratch, 0
	.set _ZN7rocprim17ROCPRIM_400000_NS6detail17trampoline_kernelINS0_13select_configILj256ELj13ELNS0_17block_load_methodE3ELS4_3ELS4_3ELNS0_20block_scan_algorithmE0ELj4294967295EEENS1_25partition_config_selectorILNS1_17partition_subalgoE4EjNS0_10empty_typeEbEEZZNS1_14partition_implILS8_4ELb0ES6_15HIP_vector_typeIjLj2EENS0_17counting_iteratorIjlEEPS9_SG_NS0_5tupleIJPjSI_NS0_16reverse_iteratorISI_EEEEENSH_IJSG_SG_SG_EEES9_SI_JZNS1_25segmented_radix_sort_implINS0_14default_configELb1EPKlPlSQ_SR_N2at6native12_GLOBAL__N_18offset_tEEE10hipError_tPvRmT1_PNSt15iterator_traitsISZ_E10value_typeET2_T3_PNS10_IS15_E10value_typeET4_jRbjT5_S1B_jjP12ihipStream_tbEUljE_ZNSN_ISO_Lb1ESQ_SR_SQ_SR_SV_EESW_SX_SY_SZ_S13_S14_S15_S18_S19_jS1A_jS1B_S1B_jjS1D_bEUljE0_EEESW_SX_SY_S15_S19_S1B_T6_T7_T9_mT8_S1D_bDpT10_ENKUlT_T0_E_clISt17integral_constantIbLb1EES1Q_IbLb0EEEEDaS1M_S1N_EUlS1M_E_NS1_11comp_targetILNS1_3genE2ELNS1_11target_archE906ELNS1_3gpuE6ELNS1_3repE0EEENS1_30default_config_static_selectorELNS0_4arch9wavefront6targetE0EEEvSZ_.has_dyn_sized_stack, 0
	.set _ZN7rocprim17ROCPRIM_400000_NS6detail17trampoline_kernelINS0_13select_configILj256ELj13ELNS0_17block_load_methodE3ELS4_3ELS4_3ELNS0_20block_scan_algorithmE0ELj4294967295EEENS1_25partition_config_selectorILNS1_17partition_subalgoE4EjNS0_10empty_typeEbEEZZNS1_14partition_implILS8_4ELb0ES6_15HIP_vector_typeIjLj2EENS0_17counting_iteratorIjlEEPS9_SG_NS0_5tupleIJPjSI_NS0_16reverse_iteratorISI_EEEEENSH_IJSG_SG_SG_EEES9_SI_JZNS1_25segmented_radix_sort_implINS0_14default_configELb1EPKlPlSQ_SR_N2at6native12_GLOBAL__N_18offset_tEEE10hipError_tPvRmT1_PNSt15iterator_traitsISZ_E10value_typeET2_T3_PNS10_IS15_E10value_typeET4_jRbjT5_S1B_jjP12ihipStream_tbEUljE_ZNSN_ISO_Lb1ESQ_SR_SQ_SR_SV_EESW_SX_SY_SZ_S13_S14_S15_S18_S19_jS1A_jS1B_S1B_jjS1D_bEUljE0_EEESW_SX_SY_S15_S19_S1B_T6_T7_T9_mT8_S1D_bDpT10_ENKUlT_T0_E_clISt17integral_constantIbLb1EES1Q_IbLb0EEEEDaS1M_S1N_EUlS1M_E_NS1_11comp_targetILNS1_3genE2ELNS1_11target_archE906ELNS1_3gpuE6ELNS1_3repE0EEENS1_30default_config_static_selectorELNS0_4arch9wavefront6targetE0EEEvSZ_.has_recursion, 0
	.set _ZN7rocprim17ROCPRIM_400000_NS6detail17trampoline_kernelINS0_13select_configILj256ELj13ELNS0_17block_load_methodE3ELS4_3ELS4_3ELNS0_20block_scan_algorithmE0ELj4294967295EEENS1_25partition_config_selectorILNS1_17partition_subalgoE4EjNS0_10empty_typeEbEEZZNS1_14partition_implILS8_4ELb0ES6_15HIP_vector_typeIjLj2EENS0_17counting_iteratorIjlEEPS9_SG_NS0_5tupleIJPjSI_NS0_16reverse_iteratorISI_EEEEENSH_IJSG_SG_SG_EEES9_SI_JZNS1_25segmented_radix_sort_implINS0_14default_configELb1EPKlPlSQ_SR_N2at6native12_GLOBAL__N_18offset_tEEE10hipError_tPvRmT1_PNSt15iterator_traitsISZ_E10value_typeET2_T3_PNS10_IS15_E10value_typeET4_jRbjT5_S1B_jjP12ihipStream_tbEUljE_ZNSN_ISO_Lb1ESQ_SR_SQ_SR_SV_EESW_SX_SY_SZ_S13_S14_S15_S18_S19_jS1A_jS1B_S1B_jjS1D_bEUljE0_EEESW_SX_SY_S15_S19_S1B_T6_T7_T9_mT8_S1D_bDpT10_ENKUlT_T0_E_clISt17integral_constantIbLb1EES1Q_IbLb0EEEEDaS1M_S1N_EUlS1M_E_NS1_11comp_targetILNS1_3genE2ELNS1_11target_archE906ELNS1_3gpuE6ELNS1_3repE0EEENS1_30default_config_static_selectorELNS0_4arch9wavefront6targetE0EEEvSZ_.has_indirect_call, 0
	.section	.AMDGPU.csdata,"",@progbits
; Kernel info:
; codeLenInByte = 0
; TotalNumSgprs: 0
; NumVgprs: 0
; ScratchSize: 0
; MemoryBound: 0
; FloatMode: 240
; IeeeMode: 1
; LDSByteSize: 0 bytes/workgroup (compile time only)
; SGPRBlocks: 0
; VGPRBlocks: 0
; NumSGPRsForWavesPerEU: 1
; NumVGPRsForWavesPerEU: 1
; NamedBarCnt: 0
; Occupancy: 16
; WaveLimiterHint : 0
; COMPUTE_PGM_RSRC2:SCRATCH_EN: 0
; COMPUTE_PGM_RSRC2:USER_SGPR: 2
; COMPUTE_PGM_RSRC2:TRAP_HANDLER: 0
; COMPUTE_PGM_RSRC2:TGID_X_EN: 1
; COMPUTE_PGM_RSRC2:TGID_Y_EN: 0
; COMPUTE_PGM_RSRC2:TGID_Z_EN: 0
; COMPUTE_PGM_RSRC2:TIDIG_COMP_CNT: 0
	.section	.text._ZN7rocprim17ROCPRIM_400000_NS6detail17trampoline_kernelINS0_13select_configILj256ELj13ELNS0_17block_load_methodE3ELS4_3ELS4_3ELNS0_20block_scan_algorithmE0ELj4294967295EEENS1_25partition_config_selectorILNS1_17partition_subalgoE4EjNS0_10empty_typeEbEEZZNS1_14partition_implILS8_4ELb0ES6_15HIP_vector_typeIjLj2EENS0_17counting_iteratorIjlEEPS9_SG_NS0_5tupleIJPjSI_NS0_16reverse_iteratorISI_EEEEENSH_IJSG_SG_SG_EEES9_SI_JZNS1_25segmented_radix_sort_implINS0_14default_configELb1EPKlPlSQ_SR_N2at6native12_GLOBAL__N_18offset_tEEE10hipError_tPvRmT1_PNSt15iterator_traitsISZ_E10value_typeET2_T3_PNS10_IS15_E10value_typeET4_jRbjT5_S1B_jjP12ihipStream_tbEUljE_ZNSN_ISO_Lb1ESQ_SR_SQ_SR_SV_EESW_SX_SY_SZ_S13_S14_S15_S18_S19_jS1A_jS1B_S1B_jjS1D_bEUljE0_EEESW_SX_SY_S15_S19_S1B_T6_T7_T9_mT8_S1D_bDpT10_ENKUlT_T0_E_clISt17integral_constantIbLb1EES1Q_IbLb0EEEEDaS1M_S1N_EUlS1M_E_NS1_11comp_targetILNS1_3genE10ELNS1_11target_archE1200ELNS1_3gpuE4ELNS1_3repE0EEENS1_30default_config_static_selectorELNS0_4arch9wavefront6targetE0EEEvSZ_,"axG",@progbits,_ZN7rocprim17ROCPRIM_400000_NS6detail17trampoline_kernelINS0_13select_configILj256ELj13ELNS0_17block_load_methodE3ELS4_3ELS4_3ELNS0_20block_scan_algorithmE0ELj4294967295EEENS1_25partition_config_selectorILNS1_17partition_subalgoE4EjNS0_10empty_typeEbEEZZNS1_14partition_implILS8_4ELb0ES6_15HIP_vector_typeIjLj2EENS0_17counting_iteratorIjlEEPS9_SG_NS0_5tupleIJPjSI_NS0_16reverse_iteratorISI_EEEEENSH_IJSG_SG_SG_EEES9_SI_JZNS1_25segmented_radix_sort_implINS0_14default_configELb1EPKlPlSQ_SR_N2at6native12_GLOBAL__N_18offset_tEEE10hipError_tPvRmT1_PNSt15iterator_traitsISZ_E10value_typeET2_T3_PNS10_IS15_E10value_typeET4_jRbjT5_S1B_jjP12ihipStream_tbEUljE_ZNSN_ISO_Lb1ESQ_SR_SQ_SR_SV_EESW_SX_SY_SZ_S13_S14_S15_S18_S19_jS1A_jS1B_S1B_jjS1D_bEUljE0_EEESW_SX_SY_S15_S19_S1B_T6_T7_T9_mT8_S1D_bDpT10_ENKUlT_T0_E_clISt17integral_constantIbLb1EES1Q_IbLb0EEEEDaS1M_S1N_EUlS1M_E_NS1_11comp_targetILNS1_3genE10ELNS1_11target_archE1200ELNS1_3gpuE4ELNS1_3repE0EEENS1_30default_config_static_selectorELNS0_4arch9wavefront6targetE0EEEvSZ_,comdat
	.globl	_ZN7rocprim17ROCPRIM_400000_NS6detail17trampoline_kernelINS0_13select_configILj256ELj13ELNS0_17block_load_methodE3ELS4_3ELS4_3ELNS0_20block_scan_algorithmE0ELj4294967295EEENS1_25partition_config_selectorILNS1_17partition_subalgoE4EjNS0_10empty_typeEbEEZZNS1_14partition_implILS8_4ELb0ES6_15HIP_vector_typeIjLj2EENS0_17counting_iteratorIjlEEPS9_SG_NS0_5tupleIJPjSI_NS0_16reverse_iteratorISI_EEEEENSH_IJSG_SG_SG_EEES9_SI_JZNS1_25segmented_radix_sort_implINS0_14default_configELb1EPKlPlSQ_SR_N2at6native12_GLOBAL__N_18offset_tEEE10hipError_tPvRmT1_PNSt15iterator_traitsISZ_E10value_typeET2_T3_PNS10_IS15_E10value_typeET4_jRbjT5_S1B_jjP12ihipStream_tbEUljE_ZNSN_ISO_Lb1ESQ_SR_SQ_SR_SV_EESW_SX_SY_SZ_S13_S14_S15_S18_S19_jS1A_jS1B_S1B_jjS1D_bEUljE0_EEESW_SX_SY_S15_S19_S1B_T6_T7_T9_mT8_S1D_bDpT10_ENKUlT_T0_E_clISt17integral_constantIbLb1EES1Q_IbLb0EEEEDaS1M_S1N_EUlS1M_E_NS1_11comp_targetILNS1_3genE10ELNS1_11target_archE1200ELNS1_3gpuE4ELNS1_3repE0EEENS1_30default_config_static_selectorELNS0_4arch9wavefront6targetE0EEEvSZ_ ; -- Begin function _ZN7rocprim17ROCPRIM_400000_NS6detail17trampoline_kernelINS0_13select_configILj256ELj13ELNS0_17block_load_methodE3ELS4_3ELS4_3ELNS0_20block_scan_algorithmE0ELj4294967295EEENS1_25partition_config_selectorILNS1_17partition_subalgoE4EjNS0_10empty_typeEbEEZZNS1_14partition_implILS8_4ELb0ES6_15HIP_vector_typeIjLj2EENS0_17counting_iteratorIjlEEPS9_SG_NS0_5tupleIJPjSI_NS0_16reverse_iteratorISI_EEEEENSH_IJSG_SG_SG_EEES9_SI_JZNS1_25segmented_radix_sort_implINS0_14default_configELb1EPKlPlSQ_SR_N2at6native12_GLOBAL__N_18offset_tEEE10hipError_tPvRmT1_PNSt15iterator_traitsISZ_E10value_typeET2_T3_PNS10_IS15_E10value_typeET4_jRbjT5_S1B_jjP12ihipStream_tbEUljE_ZNSN_ISO_Lb1ESQ_SR_SQ_SR_SV_EESW_SX_SY_SZ_S13_S14_S15_S18_S19_jS1A_jS1B_S1B_jjS1D_bEUljE0_EEESW_SX_SY_S15_S19_S1B_T6_T7_T9_mT8_S1D_bDpT10_ENKUlT_T0_E_clISt17integral_constantIbLb1EES1Q_IbLb0EEEEDaS1M_S1N_EUlS1M_E_NS1_11comp_targetILNS1_3genE10ELNS1_11target_archE1200ELNS1_3gpuE4ELNS1_3repE0EEENS1_30default_config_static_selectorELNS0_4arch9wavefront6targetE0EEEvSZ_
	.p2align	8
	.type	_ZN7rocprim17ROCPRIM_400000_NS6detail17trampoline_kernelINS0_13select_configILj256ELj13ELNS0_17block_load_methodE3ELS4_3ELS4_3ELNS0_20block_scan_algorithmE0ELj4294967295EEENS1_25partition_config_selectorILNS1_17partition_subalgoE4EjNS0_10empty_typeEbEEZZNS1_14partition_implILS8_4ELb0ES6_15HIP_vector_typeIjLj2EENS0_17counting_iteratorIjlEEPS9_SG_NS0_5tupleIJPjSI_NS0_16reverse_iteratorISI_EEEEENSH_IJSG_SG_SG_EEES9_SI_JZNS1_25segmented_radix_sort_implINS0_14default_configELb1EPKlPlSQ_SR_N2at6native12_GLOBAL__N_18offset_tEEE10hipError_tPvRmT1_PNSt15iterator_traitsISZ_E10value_typeET2_T3_PNS10_IS15_E10value_typeET4_jRbjT5_S1B_jjP12ihipStream_tbEUljE_ZNSN_ISO_Lb1ESQ_SR_SQ_SR_SV_EESW_SX_SY_SZ_S13_S14_S15_S18_S19_jS1A_jS1B_S1B_jjS1D_bEUljE0_EEESW_SX_SY_S15_S19_S1B_T6_T7_T9_mT8_S1D_bDpT10_ENKUlT_T0_E_clISt17integral_constantIbLb1EES1Q_IbLb0EEEEDaS1M_S1N_EUlS1M_E_NS1_11comp_targetILNS1_3genE10ELNS1_11target_archE1200ELNS1_3gpuE4ELNS1_3repE0EEENS1_30default_config_static_selectorELNS0_4arch9wavefront6targetE0EEEvSZ_,@function
_ZN7rocprim17ROCPRIM_400000_NS6detail17trampoline_kernelINS0_13select_configILj256ELj13ELNS0_17block_load_methodE3ELS4_3ELS4_3ELNS0_20block_scan_algorithmE0ELj4294967295EEENS1_25partition_config_selectorILNS1_17partition_subalgoE4EjNS0_10empty_typeEbEEZZNS1_14partition_implILS8_4ELb0ES6_15HIP_vector_typeIjLj2EENS0_17counting_iteratorIjlEEPS9_SG_NS0_5tupleIJPjSI_NS0_16reverse_iteratorISI_EEEEENSH_IJSG_SG_SG_EEES9_SI_JZNS1_25segmented_radix_sort_implINS0_14default_configELb1EPKlPlSQ_SR_N2at6native12_GLOBAL__N_18offset_tEEE10hipError_tPvRmT1_PNSt15iterator_traitsISZ_E10value_typeET2_T3_PNS10_IS15_E10value_typeET4_jRbjT5_S1B_jjP12ihipStream_tbEUljE_ZNSN_ISO_Lb1ESQ_SR_SQ_SR_SV_EESW_SX_SY_SZ_S13_S14_S15_S18_S19_jS1A_jS1B_S1B_jjS1D_bEUljE0_EEESW_SX_SY_S15_S19_S1B_T6_T7_T9_mT8_S1D_bDpT10_ENKUlT_T0_E_clISt17integral_constantIbLb1EES1Q_IbLb0EEEEDaS1M_S1N_EUlS1M_E_NS1_11comp_targetILNS1_3genE10ELNS1_11target_archE1200ELNS1_3gpuE4ELNS1_3repE0EEENS1_30default_config_static_selectorELNS0_4arch9wavefront6targetE0EEEvSZ_: ; @_ZN7rocprim17ROCPRIM_400000_NS6detail17trampoline_kernelINS0_13select_configILj256ELj13ELNS0_17block_load_methodE3ELS4_3ELS4_3ELNS0_20block_scan_algorithmE0ELj4294967295EEENS1_25partition_config_selectorILNS1_17partition_subalgoE4EjNS0_10empty_typeEbEEZZNS1_14partition_implILS8_4ELb0ES6_15HIP_vector_typeIjLj2EENS0_17counting_iteratorIjlEEPS9_SG_NS0_5tupleIJPjSI_NS0_16reverse_iteratorISI_EEEEENSH_IJSG_SG_SG_EEES9_SI_JZNS1_25segmented_radix_sort_implINS0_14default_configELb1EPKlPlSQ_SR_N2at6native12_GLOBAL__N_18offset_tEEE10hipError_tPvRmT1_PNSt15iterator_traitsISZ_E10value_typeET2_T3_PNS10_IS15_E10value_typeET4_jRbjT5_S1B_jjP12ihipStream_tbEUljE_ZNSN_ISO_Lb1ESQ_SR_SQ_SR_SV_EESW_SX_SY_SZ_S13_S14_S15_S18_S19_jS1A_jS1B_S1B_jjS1D_bEUljE0_EEESW_SX_SY_S15_S19_S1B_T6_T7_T9_mT8_S1D_bDpT10_ENKUlT_T0_E_clISt17integral_constantIbLb1EES1Q_IbLb0EEEEDaS1M_S1N_EUlS1M_E_NS1_11comp_targetILNS1_3genE10ELNS1_11target_archE1200ELNS1_3gpuE4ELNS1_3repE0EEENS1_30default_config_static_selectorELNS0_4arch9wavefront6targetE0EEEvSZ_
; %bb.0:
	.section	.rodata,"a",@progbits
	.p2align	6, 0x0
	.amdhsa_kernel _ZN7rocprim17ROCPRIM_400000_NS6detail17trampoline_kernelINS0_13select_configILj256ELj13ELNS0_17block_load_methodE3ELS4_3ELS4_3ELNS0_20block_scan_algorithmE0ELj4294967295EEENS1_25partition_config_selectorILNS1_17partition_subalgoE4EjNS0_10empty_typeEbEEZZNS1_14partition_implILS8_4ELb0ES6_15HIP_vector_typeIjLj2EENS0_17counting_iteratorIjlEEPS9_SG_NS0_5tupleIJPjSI_NS0_16reverse_iteratorISI_EEEEENSH_IJSG_SG_SG_EEES9_SI_JZNS1_25segmented_radix_sort_implINS0_14default_configELb1EPKlPlSQ_SR_N2at6native12_GLOBAL__N_18offset_tEEE10hipError_tPvRmT1_PNSt15iterator_traitsISZ_E10value_typeET2_T3_PNS10_IS15_E10value_typeET4_jRbjT5_S1B_jjP12ihipStream_tbEUljE_ZNSN_ISO_Lb1ESQ_SR_SQ_SR_SV_EESW_SX_SY_SZ_S13_S14_S15_S18_S19_jS1A_jS1B_S1B_jjS1D_bEUljE0_EEESW_SX_SY_S15_S19_S1B_T6_T7_T9_mT8_S1D_bDpT10_ENKUlT_T0_E_clISt17integral_constantIbLb1EES1Q_IbLb0EEEEDaS1M_S1N_EUlS1M_E_NS1_11comp_targetILNS1_3genE10ELNS1_11target_archE1200ELNS1_3gpuE4ELNS1_3repE0EEENS1_30default_config_static_selectorELNS0_4arch9wavefront6targetE0EEEvSZ_
		.amdhsa_group_segment_fixed_size 0
		.amdhsa_private_segment_fixed_size 0
		.amdhsa_kernarg_size 176
		.amdhsa_user_sgpr_count 2
		.amdhsa_user_sgpr_dispatch_ptr 0
		.amdhsa_user_sgpr_queue_ptr 0
		.amdhsa_user_sgpr_kernarg_segment_ptr 1
		.amdhsa_user_sgpr_dispatch_id 0
		.amdhsa_user_sgpr_kernarg_preload_length 0
		.amdhsa_user_sgpr_kernarg_preload_offset 0
		.amdhsa_user_sgpr_private_segment_size 0
		.amdhsa_wavefront_size32 1
		.amdhsa_uses_dynamic_stack 0
		.amdhsa_enable_private_segment 0
		.amdhsa_system_sgpr_workgroup_id_x 1
		.amdhsa_system_sgpr_workgroup_id_y 0
		.amdhsa_system_sgpr_workgroup_id_z 0
		.amdhsa_system_sgpr_workgroup_info 0
		.amdhsa_system_vgpr_workitem_id 0
		.amdhsa_next_free_vgpr 1
		.amdhsa_next_free_sgpr 1
		.amdhsa_named_barrier_count 0
		.amdhsa_reserve_vcc 0
		.amdhsa_float_round_mode_32 0
		.amdhsa_float_round_mode_16_64 0
		.amdhsa_float_denorm_mode_32 3
		.amdhsa_float_denorm_mode_16_64 3
		.amdhsa_fp16_overflow 0
		.amdhsa_memory_ordered 1
		.amdhsa_forward_progress 1
		.amdhsa_inst_pref_size 0
		.amdhsa_round_robin_scheduling 0
		.amdhsa_exception_fp_ieee_invalid_op 0
		.amdhsa_exception_fp_denorm_src 0
		.amdhsa_exception_fp_ieee_div_zero 0
		.amdhsa_exception_fp_ieee_overflow 0
		.amdhsa_exception_fp_ieee_underflow 0
		.amdhsa_exception_fp_ieee_inexact 0
		.amdhsa_exception_int_div_zero 0
	.end_amdhsa_kernel
	.section	.text._ZN7rocprim17ROCPRIM_400000_NS6detail17trampoline_kernelINS0_13select_configILj256ELj13ELNS0_17block_load_methodE3ELS4_3ELS4_3ELNS0_20block_scan_algorithmE0ELj4294967295EEENS1_25partition_config_selectorILNS1_17partition_subalgoE4EjNS0_10empty_typeEbEEZZNS1_14partition_implILS8_4ELb0ES6_15HIP_vector_typeIjLj2EENS0_17counting_iteratorIjlEEPS9_SG_NS0_5tupleIJPjSI_NS0_16reverse_iteratorISI_EEEEENSH_IJSG_SG_SG_EEES9_SI_JZNS1_25segmented_radix_sort_implINS0_14default_configELb1EPKlPlSQ_SR_N2at6native12_GLOBAL__N_18offset_tEEE10hipError_tPvRmT1_PNSt15iterator_traitsISZ_E10value_typeET2_T3_PNS10_IS15_E10value_typeET4_jRbjT5_S1B_jjP12ihipStream_tbEUljE_ZNSN_ISO_Lb1ESQ_SR_SQ_SR_SV_EESW_SX_SY_SZ_S13_S14_S15_S18_S19_jS1A_jS1B_S1B_jjS1D_bEUljE0_EEESW_SX_SY_S15_S19_S1B_T6_T7_T9_mT8_S1D_bDpT10_ENKUlT_T0_E_clISt17integral_constantIbLb1EES1Q_IbLb0EEEEDaS1M_S1N_EUlS1M_E_NS1_11comp_targetILNS1_3genE10ELNS1_11target_archE1200ELNS1_3gpuE4ELNS1_3repE0EEENS1_30default_config_static_selectorELNS0_4arch9wavefront6targetE0EEEvSZ_,"axG",@progbits,_ZN7rocprim17ROCPRIM_400000_NS6detail17trampoline_kernelINS0_13select_configILj256ELj13ELNS0_17block_load_methodE3ELS4_3ELS4_3ELNS0_20block_scan_algorithmE0ELj4294967295EEENS1_25partition_config_selectorILNS1_17partition_subalgoE4EjNS0_10empty_typeEbEEZZNS1_14partition_implILS8_4ELb0ES6_15HIP_vector_typeIjLj2EENS0_17counting_iteratorIjlEEPS9_SG_NS0_5tupleIJPjSI_NS0_16reverse_iteratorISI_EEEEENSH_IJSG_SG_SG_EEES9_SI_JZNS1_25segmented_radix_sort_implINS0_14default_configELb1EPKlPlSQ_SR_N2at6native12_GLOBAL__N_18offset_tEEE10hipError_tPvRmT1_PNSt15iterator_traitsISZ_E10value_typeET2_T3_PNS10_IS15_E10value_typeET4_jRbjT5_S1B_jjP12ihipStream_tbEUljE_ZNSN_ISO_Lb1ESQ_SR_SQ_SR_SV_EESW_SX_SY_SZ_S13_S14_S15_S18_S19_jS1A_jS1B_S1B_jjS1D_bEUljE0_EEESW_SX_SY_S15_S19_S1B_T6_T7_T9_mT8_S1D_bDpT10_ENKUlT_T0_E_clISt17integral_constantIbLb1EES1Q_IbLb0EEEEDaS1M_S1N_EUlS1M_E_NS1_11comp_targetILNS1_3genE10ELNS1_11target_archE1200ELNS1_3gpuE4ELNS1_3repE0EEENS1_30default_config_static_selectorELNS0_4arch9wavefront6targetE0EEEvSZ_,comdat
.Lfunc_end657:
	.size	_ZN7rocprim17ROCPRIM_400000_NS6detail17trampoline_kernelINS0_13select_configILj256ELj13ELNS0_17block_load_methodE3ELS4_3ELS4_3ELNS0_20block_scan_algorithmE0ELj4294967295EEENS1_25partition_config_selectorILNS1_17partition_subalgoE4EjNS0_10empty_typeEbEEZZNS1_14partition_implILS8_4ELb0ES6_15HIP_vector_typeIjLj2EENS0_17counting_iteratorIjlEEPS9_SG_NS0_5tupleIJPjSI_NS0_16reverse_iteratorISI_EEEEENSH_IJSG_SG_SG_EEES9_SI_JZNS1_25segmented_radix_sort_implINS0_14default_configELb1EPKlPlSQ_SR_N2at6native12_GLOBAL__N_18offset_tEEE10hipError_tPvRmT1_PNSt15iterator_traitsISZ_E10value_typeET2_T3_PNS10_IS15_E10value_typeET4_jRbjT5_S1B_jjP12ihipStream_tbEUljE_ZNSN_ISO_Lb1ESQ_SR_SQ_SR_SV_EESW_SX_SY_SZ_S13_S14_S15_S18_S19_jS1A_jS1B_S1B_jjS1D_bEUljE0_EEESW_SX_SY_S15_S19_S1B_T6_T7_T9_mT8_S1D_bDpT10_ENKUlT_T0_E_clISt17integral_constantIbLb1EES1Q_IbLb0EEEEDaS1M_S1N_EUlS1M_E_NS1_11comp_targetILNS1_3genE10ELNS1_11target_archE1200ELNS1_3gpuE4ELNS1_3repE0EEENS1_30default_config_static_selectorELNS0_4arch9wavefront6targetE0EEEvSZ_, .Lfunc_end657-_ZN7rocprim17ROCPRIM_400000_NS6detail17trampoline_kernelINS0_13select_configILj256ELj13ELNS0_17block_load_methodE3ELS4_3ELS4_3ELNS0_20block_scan_algorithmE0ELj4294967295EEENS1_25partition_config_selectorILNS1_17partition_subalgoE4EjNS0_10empty_typeEbEEZZNS1_14partition_implILS8_4ELb0ES6_15HIP_vector_typeIjLj2EENS0_17counting_iteratorIjlEEPS9_SG_NS0_5tupleIJPjSI_NS0_16reverse_iteratorISI_EEEEENSH_IJSG_SG_SG_EEES9_SI_JZNS1_25segmented_radix_sort_implINS0_14default_configELb1EPKlPlSQ_SR_N2at6native12_GLOBAL__N_18offset_tEEE10hipError_tPvRmT1_PNSt15iterator_traitsISZ_E10value_typeET2_T3_PNS10_IS15_E10value_typeET4_jRbjT5_S1B_jjP12ihipStream_tbEUljE_ZNSN_ISO_Lb1ESQ_SR_SQ_SR_SV_EESW_SX_SY_SZ_S13_S14_S15_S18_S19_jS1A_jS1B_S1B_jjS1D_bEUljE0_EEESW_SX_SY_S15_S19_S1B_T6_T7_T9_mT8_S1D_bDpT10_ENKUlT_T0_E_clISt17integral_constantIbLb1EES1Q_IbLb0EEEEDaS1M_S1N_EUlS1M_E_NS1_11comp_targetILNS1_3genE10ELNS1_11target_archE1200ELNS1_3gpuE4ELNS1_3repE0EEENS1_30default_config_static_selectorELNS0_4arch9wavefront6targetE0EEEvSZ_
                                        ; -- End function
	.set _ZN7rocprim17ROCPRIM_400000_NS6detail17trampoline_kernelINS0_13select_configILj256ELj13ELNS0_17block_load_methodE3ELS4_3ELS4_3ELNS0_20block_scan_algorithmE0ELj4294967295EEENS1_25partition_config_selectorILNS1_17partition_subalgoE4EjNS0_10empty_typeEbEEZZNS1_14partition_implILS8_4ELb0ES6_15HIP_vector_typeIjLj2EENS0_17counting_iteratorIjlEEPS9_SG_NS0_5tupleIJPjSI_NS0_16reverse_iteratorISI_EEEEENSH_IJSG_SG_SG_EEES9_SI_JZNS1_25segmented_radix_sort_implINS0_14default_configELb1EPKlPlSQ_SR_N2at6native12_GLOBAL__N_18offset_tEEE10hipError_tPvRmT1_PNSt15iterator_traitsISZ_E10value_typeET2_T3_PNS10_IS15_E10value_typeET4_jRbjT5_S1B_jjP12ihipStream_tbEUljE_ZNSN_ISO_Lb1ESQ_SR_SQ_SR_SV_EESW_SX_SY_SZ_S13_S14_S15_S18_S19_jS1A_jS1B_S1B_jjS1D_bEUljE0_EEESW_SX_SY_S15_S19_S1B_T6_T7_T9_mT8_S1D_bDpT10_ENKUlT_T0_E_clISt17integral_constantIbLb1EES1Q_IbLb0EEEEDaS1M_S1N_EUlS1M_E_NS1_11comp_targetILNS1_3genE10ELNS1_11target_archE1200ELNS1_3gpuE4ELNS1_3repE0EEENS1_30default_config_static_selectorELNS0_4arch9wavefront6targetE0EEEvSZ_.num_vgpr, 0
	.set _ZN7rocprim17ROCPRIM_400000_NS6detail17trampoline_kernelINS0_13select_configILj256ELj13ELNS0_17block_load_methodE3ELS4_3ELS4_3ELNS0_20block_scan_algorithmE0ELj4294967295EEENS1_25partition_config_selectorILNS1_17partition_subalgoE4EjNS0_10empty_typeEbEEZZNS1_14partition_implILS8_4ELb0ES6_15HIP_vector_typeIjLj2EENS0_17counting_iteratorIjlEEPS9_SG_NS0_5tupleIJPjSI_NS0_16reverse_iteratorISI_EEEEENSH_IJSG_SG_SG_EEES9_SI_JZNS1_25segmented_radix_sort_implINS0_14default_configELb1EPKlPlSQ_SR_N2at6native12_GLOBAL__N_18offset_tEEE10hipError_tPvRmT1_PNSt15iterator_traitsISZ_E10value_typeET2_T3_PNS10_IS15_E10value_typeET4_jRbjT5_S1B_jjP12ihipStream_tbEUljE_ZNSN_ISO_Lb1ESQ_SR_SQ_SR_SV_EESW_SX_SY_SZ_S13_S14_S15_S18_S19_jS1A_jS1B_S1B_jjS1D_bEUljE0_EEESW_SX_SY_S15_S19_S1B_T6_T7_T9_mT8_S1D_bDpT10_ENKUlT_T0_E_clISt17integral_constantIbLb1EES1Q_IbLb0EEEEDaS1M_S1N_EUlS1M_E_NS1_11comp_targetILNS1_3genE10ELNS1_11target_archE1200ELNS1_3gpuE4ELNS1_3repE0EEENS1_30default_config_static_selectorELNS0_4arch9wavefront6targetE0EEEvSZ_.num_agpr, 0
	.set _ZN7rocprim17ROCPRIM_400000_NS6detail17trampoline_kernelINS0_13select_configILj256ELj13ELNS0_17block_load_methodE3ELS4_3ELS4_3ELNS0_20block_scan_algorithmE0ELj4294967295EEENS1_25partition_config_selectorILNS1_17partition_subalgoE4EjNS0_10empty_typeEbEEZZNS1_14partition_implILS8_4ELb0ES6_15HIP_vector_typeIjLj2EENS0_17counting_iteratorIjlEEPS9_SG_NS0_5tupleIJPjSI_NS0_16reverse_iteratorISI_EEEEENSH_IJSG_SG_SG_EEES9_SI_JZNS1_25segmented_radix_sort_implINS0_14default_configELb1EPKlPlSQ_SR_N2at6native12_GLOBAL__N_18offset_tEEE10hipError_tPvRmT1_PNSt15iterator_traitsISZ_E10value_typeET2_T3_PNS10_IS15_E10value_typeET4_jRbjT5_S1B_jjP12ihipStream_tbEUljE_ZNSN_ISO_Lb1ESQ_SR_SQ_SR_SV_EESW_SX_SY_SZ_S13_S14_S15_S18_S19_jS1A_jS1B_S1B_jjS1D_bEUljE0_EEESW_SX_SY_S15_S19_S1B_T6_T7_T9_mT8_S1D_bDpT10_ENKUlT_T0_E_clISt17integral_constantIbLb1EES1Q_IbLb0EEEEDaS1M_S1N_EUlS1M_E_NS1_11comp_targetILNS1_3genE10ELNS1_11target_archE1200ELNS1_3gpuE4ELNS1_3repE0EEENS1_30default_config_static_selectorELNS0_4arch9wavefront6targetE0EEEvSZ_.numbered_sgpr, 0
	.set _ZN7rocprim17ROCPRIM_400000_NS6detail17trampoline_kernelINS0_13select_configILj256ELj13ELNS0_17block_load_methodE3ELS4_3ELS4_3ELNS0_20block_scan_algorithmE0ELj4294967295EEENS1_25partition_config_selectorILNS1_17partition_subalgoE4EjNS0_10empty_typeEbEEZZNS1_14partition_implILS8_4ELb0ES6_15HIP_vector_typeIjLj2EENS0_17counting_iteratorIjlEEPS9_SG_NS0_5tupleIJPjSI_NS0_16reverse_iteratorISI_EEEEENSH_IJSG_SG_SG_EEES9_SI_JZNS1_25segmented_radix_sort_implINS0_14default_configELb1EPKlPlSQ_SR_N2at6native12_GLOBAL__N_18offset_tEEE10hipError_tPvRmT1_PNSt15iterator_traitsISZ_E10value_typeET2_T3_PNS10_IS15_E10value_typeET4_jRbjT5_S1B_jjP12ihipStream_tbEUljE_ZNSN_ISO_Lb1ESQ_SR_SQ_SR_SV_EESW_SX_SY_SZ_S13_S14_S15_S18_S19_jS1A_jS1B_S1B_jjS1D_bEUljE0_EEESW_SX_SY_S15_S19_S1B_T6_T7_T9_mT8_S1D_bDpT10_ENKUlT_T0_E_clISt17integral_constantIbLb1EES1Q_IbLb0EEEEDaS1M_S1N_EUlS1M_E_NS1_11comp_targetILNS1_3genE10ELNS1_11target_archE1200ELNS1_3gpuE4ELNS1_3repE0EEENS1_30default_config_static_selectorELNS0_4arch9wavefront6targetE0EEEvSZ_.num_named_barrier, 0
	.set _ZN7rocprim17ROCPRIM_400000_NS6detail17trampoline_kernelINS0_13select_configILj256ELj13ELNS0_17block_load_methodE3ELS4_3ELS4_3ELNS0_20block_scan_algorithmE0ELj4294967295EEENS1_25partition_config_selectorILNS1_17partition_subalgoE4EjNS0_10empty_typeEbEEZZNS1_14partition_implILS8_4ELb0ES6_15HIP_vector_typeIjLj2EENS0_17counting_iteratorIjlEEPS9_SG_NS0_5tupleIJPjSI_NS0_16reverse_iteratorISI_EEEEENSH_IJSG_SG_SG_EEES9_SI_JZNS1_25segmented_radix_sort_implINS0_14default_configELb1EPKlPlSQ_SR_N2at6native12_GLOBAL__N_18offset_tEEE10hipError_tPvRmT1_PNSt15iterator_traitsISZ_E10value_typeET2_T3_PNS10_IS15_E10value_typeET4_jRbjT5_S1B_jjP12ihipStream_tbEUljE_ZNSN_ISO_Lb1ESQ_SR_SQ_SR_SV_EESW_SX_SY_SZ_S13_S14_S15_S18_S19_jS1A_jS1B_S1B_jjS1D_bEUljE0_EEESW_SX_SY_S15_S19_S1B_T6_T7_T9_mT8_S1D_bDpT10_ENKUlT_T0_E_clISt17integral_constantIbLb1EES1Q_IbLb0EEEEDaS1M_S1N_EUlS1M_E_NS1_11comp_targetILNS1_3genE10ELNS1_11target_archE1200ELNS1_3gpuE4ELNS1_3repE0EEENS1_30default_config_static_selectorELNS0_4arch9wavefront6targetE0EEEvSZ_.private_seg_size, 0
	.set _ZN7rocprim17ROCPRIM_400000_NS6detail17trampoline_kernelINS0_13select_configILj256ELj13ELNS0_17block_load_methodE3ELS4_3ELS4_3ELNS0_20block_scan_algorithmE0ELj4294967295EEENS1_25partition_config_selectorILNS1_17partition_subalgoE4EjNS0_10empty_typeEbEEZZNS1_14partition_implILS8_4ELb0ES6_15HIP_vector_typeIjLj2EENS0_17counting_iteratorIjlEEPS9_SG_NS0_5tupleIJPjSI_NS0_16reverse_iteratorISI_EEEEENSH_IJSG_SG_SG_EEES9_SI_JZNS1_25segmented_radix_sort_implINS0_14default_configELb1EPKlPlSQ_SR_N2at6native12_GLOBAL__N_18offset_tEEE10hipError_tPvRmT1_PNSt15iterator_traitsISZ_E10value_typeET2_T3_PNS10_IS15_E10value_typeET4_jRbjT5_S1B_jjP12ihipStream_tbEUljE_ZNSN_ISO_Lb1ESQ_SR_SQ_SR_SV_EESW_SX_SY_SZ_S13_S14_S15_S18_S19_jS1A_jS1B_S1B_jjS1D_bEUljE0_EEESW_SX_SY_S15_S19_S1B_T6_T7_T9_mT8_S1D_bDpT10_ENKUlT_T0_E_clISt17integral_constantIbLb1EES1Q_IbLb0EEEEDaS1M_S1N_EUlS1M_E_NS1_11comp_targetILNS1_3genE10ELNS1_11target_archE1200ELNS1_3gpuE4ELNS1_3repE0EEENS1_30default_config_static_selectorELNS0_4arch9wavefront6targetE0EEEvSZ_.uses_vcc, 0
	.set _ZN7rocprim17ROCPRIM_400000_NS6detail17trampoline_kernelINS0_13select_configILj256ELj13ELNS0_17block_load_methodE3ELS4_3ELS4_3ELNS0_20block_scan_algorithmE0ELj4294967295EEENS1_25partition_config_selectorILNS1_17partition_subalgoE4EjNS0_10empty_typeEbEEZZNS1_14partition_implILS8_4ELb0ES6_15HIP_vector_typeIjLj2EENS0_17counting_iteratorIjlEEPS9_SG_NS0_5tupleIJPjSI_NS0_16reverse_iteratorISI_EEEEENSH_IJSG_SG_SG_EEES9_SI_JZNS1_25segmented_radix_sort_implINS0_14default_configELb1EPKlPlSQ_SR_N2at6native12_GLOBAL__N_18offset_tEEE10hipError_tPvRmT1_PNSt15iterator_traitsISZ_E10value_typeET2_T3_PNS10_IS15_E10value_typeET4_jRbjT5_S1B_jjP12ihipStream_tbEUljE_ZNSN_ISO_Lb1ESQ_SR_SQ_SR_SV_EESW_SX_SY_SZ_S13_S14_S15_S18_S19_jS1A_jS1B_S1B_jjS1D_bEUljE0_EEESW_SX_SY_S15_S19_S1B_T6_T7_T9_mT8_S1D_bDpT10_ENKUlT_T0_E_clISt17integral_constantIbLb1EES1Q_IbLb0EEEEDaS1M_S1N_EUlS1M_E_NS1_11comp_targetILNS1_3genE10ELNS1_11target_archE1200ELNS1_3gpuE4ELNS1_3repE0EEENS1_30default_config_static_selectorELNS0_4arch9wavefront6targetE0EEEvSZ_.uses_flat_scratch, 0
	.set _ZN7rocprim17ROCPRIM_400000_NS6detail17trampoline_kernelINS0_13select_configILj256ELj13ELNS0_17block_load_methodE3ELS4_3ELS4_3ELNS0_20block_scan_algorithmE0ELj4294967295EEENS1_25partition_config_selectorILNS1_17partition_subalgoE4EjNS0_10empty_typeEbEEZZNS1_14partition_implILS8_4ELb0ES6_15HIP_vector_typeIjLj2EENS0_17counting_iteratorIjlEEPS9_SG_NS0_5tupleIJPjSI_NS0_16reverse_iteratorISI_EEEEENSH_IJSG_SG_SG_EEES9_SI_JZNS1_25segmented_radix_sort_implINS0_14default_configELb1EPKlPlSQ_SR_N2at6native12_GLOBAL__N_18offset_tEEE10hipError_tPvRmT1_PNSt15iterator_traitsISZ_E10value_typeET2_T3_PNS10_IS15_E10value_typeET4_jRbjT5_S1B_jjP12ihipStream_tbEUljE_ZNSN_ISO_Lb1ESQ_SR_SQ_SR_SV_EESW_SX_SY_SZ_S13_S14_S15_S18_S19_jS1A_jS1B_S1B_jjS1D_bEUljE0_EEESW_SX_SY_S15_S19_S1B_T6_T7_T9_mT8_S1D_bDpT10_ENKUlT_T0_E_clISt17integral_constantIbLb1EES1Q_IbLb0EEEEDaS1M_S1N_EUlS1M_E_NS1_11comp_targetILNS1_3genE10ELNS1_11target_archE1200ELNS1_3gpuE4ELNS1_3repE0EEENS1_30default_config_static_selectorELNS0_4arch9wavefront6targetE0EEEvSZ_.has_dyn_sized_stack, 0
	.set _ZN7rocprim17ROCPRIM_400000_NS6detail17trampoline_kernelINS0_13select_configILj256ELj13ELNS0_17block_load_methodE3ELS4_3ELS4_3ELNS0_20block_scan_algorithmE0ELj4294967295EEENS1_25partition_config_selectorILNS1_17partition_subalgoE4EjNS0_10empty_typeEbEEZZNS1_14partition_implILS8_4ELb0ES6_15HIP_vector_typeIjLj2EENS0_17counting_iteratorIjlEEPS9_SG_NS0_5tupleIJPjSI_NS0_16reverse_iteratorISI_EEEEENSH_IJSG_SG_SG_EEES9_SI_JZNS1_25segmented_radix_sort_implINS0_14default_configELb1EPKlPlSQ_SR_N2at6native12_GLOBAL__N_18offset_tEEE10hipError_tPvRmT1_PNSt15iterator_traitsISZ_E10value_typeET2_T3_PNS10_IS15_E10value_typeET4_jRbjT5_S1B_jjP12ihipStream_tbEUljE_ZNSN_ISO_Lb1ESQ_SR_SQ_SR_SV_EESW_SX_SY_SZ_S13_S14_S15_S18_S19_jS1A_jS1B_S1B_jjS1D_bEUljE0_EEESW_SX_SY_S15_S19_S1B_T6_T7_T9_mT8_S1D_bDpT10_ENKUlT_T0_E_clISt17integral_constantIbLb1EES1Q_IbLb0EEEEDaS1M_S1N_EUlS1M_E_NS1_11comp_targetILNS1_3genE10ELNS1_11target_archE1200ELNS1_3gpuE4ELNS1_3repE0EEENS1_30default_config_static_selectorELNS0_4arch9wavefront6targetE0EEEvSZ_.has_recursion, 0
	.set _ZN7rocprim17ROCPRIM_400000_NS6detail17trampoline_kernelINS0_13select_configILj256ELj13ELNS0_17block_load_methodE3ELS4_3ELS4_3ELNS0_20block_scan_algorithmE0ELj4294967295EEENS1_25partition_config_selectorILNS1_17partition_subalgoE4EjNS0_10empty_typeEbEEZZNS1_14partition_implILS8_4ELb0ES6_15HIP_vector_typeIjLj2EENS0_17counting_iteratorIjlEEPS9_SG_NS0_5tupleIJPjSI_NS0_16reverse_iteratorISI_EEEEENSH_IJSG_SG_SG_EEES9_SI_JZNS1_25segmented_radix_sort_implINS0_14default_configELb1EPKlPlSQ_SR_N2at6native12_GLOBAL__N_18offset_tEEE10hipError_tPvRmT1_PNSt15iterator_traitsISZ_E10value_typeET2_T3_PNS10_IS15_E10value_typeET4_jRbjT5_S1B_jjP12ihipStream_tbEUljE_ZNSN_ISO_Lb1ESQ_SR_SQ_SR_SV_EESW_SX_SY_SZ_S13_S14_S15_S18_S19_jS1A_jS1B_S1B_jjS1D_bEUljE0_EEESW_SX_SY_S15_S19_S1B_T6_T7_T9_mT8_S1D_bDpT10_ENKUlT_T0_E_clISt17integral_constantIbLb1EES1Q_IbLb0EEEEDaS1M_S1N_EUlS1M_E_NS1_11comp_targetILNS1_3genE10ELNS1_11target_archE1200ELNS1_3gpuE4ELNS1_3repE0EEENS1_30default_config_static_selectorELNS0_4arch9wavefront6targetE0EEEvSZ_.has_indirect_call, 0
	.section	.AMDGPU.csdata,"",@progbits
; Kernel info:
; codeLenInByte = 0
; TotalNumSgprs: 0
; NumVgprs: 0
; ScratchSize: 0
; MemoryBound: 0
; FloatMode: 240
; IeeeMode: 1
; LDSByteSize: 0 bytes/workgroup (compile time only)
; SGPRBlocks: 0
; VGPRBlocks: 0
; NumSGPRsForWavesPerEU: 1
; NumVGPRsForWavesPerEU: 1
; NamedBarCnt: 0
; Occupancy: 16
; WaveLimiterHint : 0
; COMPUTE_PGM_RSRC2:SCRATCH_EN: 0
; COMPUTE_PGM_RSRC2:USER_SGPR: 2
; COMPUTE_PGM_RSRC2:TRAP_HANDLER: 0
; COMPUTE_PGM_RSRC2:TGID_X_EN: 1
; COMPUTE_PGM_RSRC2:TGID_Y_EN: 0
; COMPUTE_PGM_RSRC2:TGID_Z_EN: 0
; COMPUTE_PGM_RSRC2:TIDIG_COMP_CNT: 0
	.section	.text._ZN7rocprim17ROCPRIM_400000_NS6detail17trampoline_kernelINS0_13select_configILj256ELj13ELNS0_17block_load_methodE3ELS4_3ELS4_3ELNS0_20block_scan_algorithmE0ELj4294967295EEENS1_25partition_config_selectorILNS1_17partition_subalgoE4EjNS0_10empty_typeEbEEZZNS1_14partition_implILS8_4ELb0ES6_15HIP_vector_typeIjLj2EENS0_17counting_iteratorIjlEEPS9_SG_NS0_5tupleIJPjSI_NS0_16reverse_iteratorISI_EEEEENSH_IJSG_SG_SG_EEES9_SI_JZNS1_25segmented_radix_sort_implINS0_14default_configELb1EPKlPlSQ_SR_N2at6native12_GLOBAL__N_18offset_tEEE10hipError_tPvRmT1_PNSt15iterator_traitsISZ_E10value_typeET2_T3_PNS10_IS15_E10value_typeET4_jRbjT5_S1B_jjP12ihipStream_tbEUljE_ZNSN_ISO_Lb1ESQ_SR_SQ_SR_SV_EESW_SX_SY_SZ_S13_S14_S15_S18_S19_jS1A_jS1B_S1B_jjS1D_bEUljE0_EEESW_SX_SY_S15_S19_S1B_T6_T7_T9_mT8_S1D_bDpT10_ENKUlT_T0_E_clISt17integral_constantIbLb1EES1Q_IbLb0EEEEDaS1M_S1N_EUlS1M_E_NS1_11comp_targetILNS1_3genE9ELNS1_11target_archE1100ELNS1_3gpuE3ELNS1_3repE0EEENS1_30default_config_static_selectorELNS0_4arch9wavefront6targetE0EEEvSZ_,"axG",@progbits,_ZN7rocprim17ROCPRIM_400000_NS6detail17trampoline_kernelINS0_13select_configILj256ELj13ELNS0_17block_load_methodE3ELS4_3ELS4_3ELNS0_20block_scan_algorithmE0ELj4294967295EEENS1_25partition_config_selectorILNS1_17partition_subalgoE4EjNS0_10empty_typeEbEEZZNS1_14partition_implILS8_4ELb0ES6_15HIP_vector_typeIjLj2EENS0_17counting_iteratorIjlEEPS9_SG_NS0_5tupleIJPjSI_NS0_16reverse_iteratorISI_EEEEENSH_IJSG_SG_SG_EEES9_SI_JZNS1_25segmented_radix_sort_implINS0_14default_configELb1EPKlPlSQ_SR_N2at6native12_GLOBAL__N_18offset_tEEE10hipError_tPvRmT1_PNSt15iterator_traitsISZ_E10value_typeET2_T3_PNS10_IS15_E10value_typeET4_jRbjT5_S1B_jjP12ihipStream_tbEUljE_ZNSN_ISO_Lb1ESQ_SR_SQ_SR_SV_EESW_SX_SY_SZ_S13_S14_S15_S18_S19_jS1A_jS1B_S1B_jjS1D_bEUljE0_EEESW_SX_SY_S15_S19_S1B_T6_T7_T9_mT8_S1D_bDpT10_ENKUlT_T0_E_clISt17integral_constantIbLb1EES1Q_IbLb0EEEEDaS1M_S1N_EUlS1M_E_NS1_11comp_targetILNS1_3genE9ELNS1_11target_archE1100ELNS1_3gpuE3ELNS1_3repE0EEENS1_30default_config_static_selectorELNS0_4arch9wavefront6targetE0EEEvSZ_,comdat
	.globl	_ZN7rocprim17ROCPRIM_400000_NS6detail17trampoline_kernelINS0_13select_configILj256ELj13ELNS0_17block_load_methodE3ELS4_3ELS4_3ELNS0_20block_scan_algorithmE0ELj4294967295EEENS1_25partition_config_selectorILNS1_17partition_subalgoE4EjNS0_10empty_typeEbEEZZNS1_14partition_implILS8_4ELb0ES6_15HIP_vector_typeIjLj2EENS0_17counting_iteratorIjlEEPS9_SG_NS0_5tupleIJPjSI_NS0_16reverse_iteratorISI_EEEEENSH_IJSG_SG_SG_EEES9_SI_JZNS1_25segmented_radix_sort_implINS0_14default_configELb1EPKlPlSQ_SR_N2at6native12_GLOBAL__N_18offset_tEEE10hipError_tPvRmT1_PNSt15iterator_traitsISZ_E10value_typeET2_T3_PNS10_IS15_E10value_typeET4_jRbjT5_S1B_jjP12ihipStream_tbEUljE_ZNSN_ISO_Lb1ESQ_SR_SQ_SR_SV_EESW_SX_SY_SZ_S13_S14_S15_S18_S19_jS1A_jS1B_S1B_jjS1D_bEUljE0_EEESW_SX_SY_S15_S19_S1B_T6_T7_T9_mT8_S1D_bDpT10_ENKUlT_T0_E_clISt17integral_constantIbLb1EES1Q_IbLb0EEEEDaS1M_S1N_EUlS1M_E_NS1_11comp_targetILNS1_3genE9ELNS1_11target_archE1100ELNS1_3gpuE3ELNS1_3repE0EEENS1_30default_config_static_selectorELNS0_4arch9wavefront6targetE0EEEvSZ_ ; -- Begin function _ZN7rocprim17ROCPRIM_400000_NS6detail17trampoline_kernelINS0_13select_configILj256ELj13ELNS0_17block_load_methodE3ELS4_3ELS4_3ELNS0_20block_scan_algorithmE0ELj4294967295EEENS1_25partition_config_selectorILNS1_17partition_subalgoE4EjNS0_10empty_typeEbEEZZNS1_14partition_implILS8_4ELb0ES6_15HIP_vector_typeIjLj2EENS0_17counting_iteratorIjlEEPS9_SG_NS0_5tupleIJPjSI_NS0_16reverse_iteratorISI_EEEEENSH_IJSG_SG_SG_EEES9_SI_JZNS1_25segmented_radix_sort_implINS0_14default_configELb1EPKlPlSQ_SR_N2at6native12_GLOBAL__N_18offset_tEEE10hipError_tPvRmT1_PNSt15iterator_traitsISZ_E10value_typeET2_T3_PNS10_IS15_E10value_typeET4_jRbjT5_S1B_jjP12ihipStream_tbEUljE_ZNSN_ISO_Lb1ESQ_SR_SQ_SR_SV_EESW_SX_SY_SZ_S13_S14_S15_S18_S19_jS1A_jS1B_S1B_jjS1D_bEUljE0_EEESW_SX_SY_S15_S19_S1B_T6_T7_T9_mT8_S1D_bDpT10_ENKUlT_T0_E_clISt17integral_constantIbLb1EES1Q_IbLb0EEEEDaS1M_S1N_EUlS1M_E_NS1_11comp_targetILNS1_3genE9ELNS1_11target_archE1100ELNS1_3gpuE3ELNS1_3repE0EEENS1_30default_config_static_selectorELNS0_4arch9wavefront6targetE0EEEvSZ_
	.p2align	8
	.type	_ZN7rocprim17ROCPRIM_400000_NS6detail17trampoline_kernelINS0_13select_configILj256ELj13ELNS0_17block_load_methodE3ELS4_3ELS4_3ELNS0_20block_scan_algorithmE0ELj4294967295EEENS1_25partition_config_selectorILNS1_17partition_subalgoE4EjNS0_10empty_typeEbEEZZNS1_14partition_implILS8_4ELb0ES6_15HIP_vector_typeIjLj2EENS0_17counting_iteratorIjlEEPS9_SG_NS0_5tupleIJPjSI_NS0_16reverse_iteratorISI_EEEEENSH_IJSG_SG_SG_EEES9_SI_JZNS1_25segmented_radix_sort_implINS0_14default_configELb1EPKlPlSQ_SR_N2at6native12_GLOBAL__N_18offset_tEEE10hipError_tPvRmT1_PNSt15iterator_traitsISZ_E10value_typeET2_T3_PNS10_IS15_E10value_typeET4_jRbjT5_S1B_jjP12ihipStream_tbEUljE_ZNSN_ISO_Lb1ESQ_SR_SQ_SR_SV_EESW_SX_SY_SZ_S13_S14_S15_S18_S19_jS1A_jS1B_S1B_jjS1D_bEUljE0_EEESW_SX_SY_S15_S19_S1B_T6_T7_T9_mT8_S1D_bDpT10_ENKUlT_T0_E_clISt17integral_constantIbLb1EES1Q_IbLb0EEEEDaS1M_S1N_EUlS1M_E_NS1_11comp_targetILNS1_3genE9ELNS1_11target_archE1100ELNS1_3gpuE3ELNS1_3repE0EEENS1_30default_config_static_selectorELNS0_4arch9wavefront6targetE0EEEvSZ_,@function
_ZN7rocprim17ROCPRIM_400000_NS6detail17trampoline_kernelINS0_13select_configILj256ELj13ELNS0_17block_load_methodE3ELS4_3ELS4_3ELNS0_20block_scan_algorithmE0ELj4294967295EEENS1_25partition_config_selectorILNS1_17partition_subalgoE4EjNS0_10empty_typeEbEEZZNS1_14partition_implILS8_4ELb0ES6_15HIP_vector_typeIjLj2EENS0_17counting_iteratorIjlEEPS9_SG_NS0_5tupleIJPjSI_NS0_16reverse_iteratorISI_EEEEENSH_IJSG_SG_SG_EEES9_SI_JZNS1_25segmented_radix_sort_implINS0_14default_configELb1EPKlPlSQ_SR_N2at6native12_GLOBAL__N_18offset_tEEE10hipError_tPvRmT1_PNSt15iterator_traitsISZ_E10value_typeET2_T3_PNS10_IS15_E10value_typeET4_jRbjT5_S1B_jjP12ihipStream_tbEUljE_ZNSN_ISO_Lb1ESQ_SR_SQ_SR_SV_EESW_SX_SY_SZ_S13_S14_S15_S18_S19_jS1A_jS1B_S1B_jjS1D_bEUljE0_EEESW_SX_SY_S15_S19_S1B_T6_T7_T9_mT8_S1D_bDpT10_ENKUlT_T0_E_clISt17integral_constantIbLb1EES1Q_IbLb0EEEEDaS1M_S1N_EUlS1M_E_NS1_11comp_targetILNS1_3genE9ELNS1_11target_archE1100ELNS1_3gpuE3ELNS1_3repE0EEENS1_30default_config_static_selectorELNS0_4arch9wavefront6targetE0EEEvSZ_: ; @_ZN7rocprim17ROCPRIM_400000_NS6detail17trampoline_kernelINS0_13select_configILj256ELj13ELNS0_17block_load_methodE3ELS4_3ELS4_3ELNS0_20block_scan_algorithmE0ELj4294967295EEENS1_25partition_config_selectorILNS1_17partition_subalgoE4EjNS0_10empty_typeEbEEZZNS1_14partition_implILS8_4ELb0ES6_15HIP_vector_typeIjLj2EENS0_17counting_iteratorIjlEEPS9_SG_NS0_5tupleIJPjSI_NS0_16reverse_iteratorISI_EEEEENSH_IJSG_SG_SG_EEES9_SI_JZNS1_25segmented_radix_sort_implINS0_14default_configELb1EPKlPlSQ_SR_N2at6native12_GLOBAL__N_18offset_tEEE10hipError_tPvRmT1_PNSt15iterator_traitsISZ_E10value_typeET2_T3_PNS10_IS15_E10value_typeET4_jRbjT5_S1B_jjP12ihipStream_tbEUljE_ZNSN_ISO_Lb1ESQ_SR_SQ_SR_SV_EESW_SX_SY_SZ_S13_S14_S15_S18_S19_jS1A_jS1B_S1B_jjS1D_bEUljE0_EEESW_SX_SY_S15_S19_S1B_T6_T7_T9_mT8_S1D_bDpT10_ENKUlT_T0_E_clISt17integral_constantIbLb1EES1Q_IbLb0EEEEDaS1M_S1N_EUlS1M_E_NS1_11comp_targetILNS1_3genE9ELNS1_11target_archE1100ELNS1_3gpuE3ELNS1_3repE0EEENS1_30default_config_static_selectorELNS0_4arch9wavefront6targetE0EEEvSZ_
; %bb.0:
	.section	.rodata,"a",@progbits
	.p2align	6, 0x0
	.amdhsa_kernel _ZN7rocprim17ROCPRIM_400000_NS6detail17trampoline_kernelINS0_13select_configILj256ELj13ELNS0_17block_load_methodE3ELS4_3ELS4_3ELNS0_20block_scan_algorithmE0ELj4294967295EEENS1_25partition_config_selectorILNS1_17partition_subalgoE4EjNS0_10empty_typeEbEEZZNS1_14partition_implILS8_4ELb0ES6_15HIP_vector_typeIjLj2EENS0_17counting_iteratorIjlEEPS9_SG_NS0_5tupleIJPjSI_NS0_16reverse_iteratorISI_EEEEENSH_IJSG_SG_SG_EEES9_SI_JZNS1_25segmented_radix_sort_implINS0_14default_configELb1EPKlPlSQ_SR_N2at6native12_GLOBAL__N_18offset_tEEE10hipError_tPvRmT1_PNSt15iterator_traitsISZ_E10value_typeET2_T3_PNS10_IS15_E10value_typeET4_jRbjT5_S1B_jjP12ihipStream_tbEUljE_ZNSN_ISO_Lb1ESQ_SR_SQ_SR_SV_EESW_SX_SY_SZ_S13_S14_S15_S18_S19_jS1A_jS1B_S1B_jjS1D_bEUljE0_EEESW_SX_SY_S15_S19_S1B_T6_T7_T9_mT8_S1D_bDpT10_ENKUlT_T0_E_clISt17integral_constantIbLb1EES1Q_IbLb0EEEEDaS1M_S1N_EUlS1M_E_NS1_11comp_targetILNS1_3genE9ELNS1_11target_archE1100ELNS1_3gpuE3ELNS1_3repE0EEENS1_30default_config_static_selectorELNS0_4arch9wavefront6targetE0EEEvSZ_
		.amdhsa_group_segment_fixed_size 0
		.amdhsa_private_segment_fixed_size 0
		.amdhsa_kernarg_size 176
		.amdhsa_user_sgpr_count 2
		.amdhsa_user_sgpr_dispatch_ptr 0
		.amdhsa_user_sgpr_queue_ptr 0
		.amdhsa_user_sgpr_kernarg_segment_ptr 1
		.amdhsa_user_sgpr_dispatch_id 0
		.amdhsa_user_sgpr_kernarg_preload_length 0
		.amdhsa_user_sgpr_kernarg_preload_offset 0
		.amdhsa_user_sgpr_private_segment_size 0
		.amdhsa_wavefront_size32 1
		.amdhsa_uses_dynamic_stack 0
		.amdhsa_enable_private_segment 0
		.amdhsa_system_sgpr_workgroup_id_x 1
		.amdhsa_system_sgpr_workgroup_id_y 0
		.amdhsa_system_sgpr_workgroup_id_z 0
		.amdhsa_system_sgpr_workgroup_info 0
		.amdhsa_system_vgpr_workitem_id 0
		.amdhsa_next_free_vgpr 1
		.amdhsa_next_free_sgpr 1
		.amdhsa_named_barrier_count 0
		.amdhsa_reserve_vcc 0
		.amdhsa_float_round_mode_32 0
		.amdhsa_float_round_mode_16_64 0
		.amdhsa_float_denorm_mode_32 3
		.amdhsa_float_denorm_mode_16_64 3
		.amdhsa_fp16_overflow 0
		.amdhsa_memory_ordered 1
		.amdhsa_forward_progress 1
		.amdhsa_inst_pref_size 0
		.amdhsa_round_robin_scheduling 0
		.amdhsa_exception_fp_ieee_invalid_op 0
		.amdhsa_exception_fp_denorm_src 0
		.amdhsa_exception_fp_ieee_div_zero 0
		.amdhsa_exception_fp_ieee_overflow 0
		.amdhsa_exception_fp_ieee_underflow 0
		.amdhsa_exception_fp_ieee_inexact 0
		.amdhsa_exception_int_div_zero 0
	.end_amdhsa_kernel
	.section	.text._ZN7rocprim17ROCPRIM_400000_NS6detail17trampoline_kernelINS0_13select_configILj256ELj13ELNS0_17block_load_methodE3ELS4_3ELS4_3ELNS0_20block_scan_algorithmE0ELj4294967295EEENS1_25partition_config_selectorILNS1_17partition_subalgoE4EjNS0_10empty_typeEbEEZZNS1_14partition_implILS8_4ELb0ES6_15HIP_vector_typeIjLj2EENS0_17counting_iteratorIjlEEPS9_SG_NS0_5tupleIJPjSI_NS0_16reverse_iteratorISI_EEEEENSH_IJSG_SG_SG_EEES9_SI_JZNS1_25segmented_radix_sort_implINS0_14default_configELb1EPKlPlSQ_SR_N2at6native12_GLOBAL__N_18offset_tEEE10hipError_tPvRmT1_PNSt15iterator_traitsISZ_E10value_typeET2_T3_PNS10_IS15_E10value_typeET4_jRbjT5_S1B_jjP12ihipStream_tbEUljE_ZNSN_ISO_Lb1ESQ_SR_SQ_SR_SV_EESW_SX_SY_SZ_S13_S14_S15_S18_S19_jS1A_jS1B_S1B_jjS1D_bEUljE0_EEESW_SX_SY_S15_S19_S1B_T6_T7_T9_mT8_S1D_bDpT10_ENKUlT_T0_E_clISt17integral_constantIbLb1EES1Q_IbLb0EEEEDaS1M_S1N_EUlS1M_E_NS1_11comp_targetILNS1_3genE9ELNS1_11target_archE1100ELNS1_3gpuE3ELNS1_3repE0EEENS1_30default_config_static_selectorELNS0_4arch9wavefront6targetE0EEEvSZ_,"axG",@progbits,_ZN7rocprim17ROCPRIM_400000_NS6detail17trampoline_kernelINS0_13select_configILj256ELj13ELNS0_17block_load_methodE3ELS4_3ELS4_3ELNS0_20block_scan_algorithmE0ELj4294967295EEENS1_25partition_config_selectorILNS1_17partition_subalgoE4EjNS0_10empty_typeEbEEZZNS1_14partition_implILS8_4ELb0ES6_15HIP_vector_typeIjLj2EENS0_17counting_iteratorIjlEEPS9_SG_NS0_5tupleIJPjSI_NS0_16reverse_iteratorISI_EEEEENSH_IJSG_SG_SG_EEES9_SI_JZNS1_25segmented_radix_sort_implINS0_14default_configELb1EPKlPlSQ_SR_N2at6native12_GLOBAL__N_18offset_tEEE10hipError_tPvRmT1_PNSt15iterator_traitsISZ_E10value_typeET2_T3_PNS10_IS15_E10value_typeET4_jRbjT5_S1B_jjP12ihipStream_tbEUljE_ZNSN_ISO_Lb1ESQ_SR_SQ_SR_SV_EESW_SX_SY_SZ_S13_S14_S15_S18_S19_jS1A_jS1B_S1B_jjS1D_bEUljE0_EEESW_SX_SY_S15_S19_S1B_T6_T7_T9_mT8_S1D_bDpT10_ENKUlT_T0_E_clISt17integral_constantIbLb1EES1Q_IbLb0EEEEDaS1M_S1N_EUlS1M_E_NS1_11comp_targetILNS1_3genE9ELNS1_11target_archE1100ELNS1_3gpuE3ELNS1_3repE0EEENS1_30default_config_static_selectorELNS0_4arch9wavefront6targetE0EEEvSZ_,comdat
.Lfunc_end658:
	.size	_ZN7rocprim17ROCPRIM_400000_NS6detail17trampoline_kernelINS0_13select_configILj256ELj13ELNS0_17block_load_methodE3ELS4_3ELS4_3ELNS0_20block_scan_algorithmE0ELj4294967295EEENS1_25partition_config_selectorILNS1_17partition_subalgoE4EjNS0_10empty_typeEbEEZZNS1_14partition_implILS8_4ELb0ES6_15HIP_vector_typeIjLj2EENS0_17counting_iteratorIjlEEPS9_SG_NS0_5tupleIJPjSI_NS0_16reverse_iteratorISI_EEEEENSH_IJSG_SG_SG_EEES9_SI_JZNS1_25segmented_radix_sort_implINS0_14default_configELb1EPKlPlSQ_SR_N2at6native12_GLOBAL__N_18offset_tEEE10hipError_tPvRmT1_PNSt15iterator_traitsISZ_E10value_typeET2_T3_PNS10_IS15_E10value_typeET4_jRbjT5_S1B_jjP12ihipStream_tbEUljE_ZNSN_ISO_Lb1ESQ_SR_SQ_SR_SV_EESW_SX_SY_SZ_S13_S14_S15_S18_S19_jS1A_jS1B_S1B_jjS1D_bEUljE0_EEESW_SX_SY_S15_S19_S1B_T6_T7_T9_mT8_S1D_bDpT10_ENKUlT_T0_E_clISt17integral_constantIbLb1EES1Q_IbLb0EEEEDaS1M_S1N_EUlS1M_E_NS1_11comp_targetILNS1_3genE9ELNS1_11target_archE1100ELNS1_3gpuE3ELNS1_3repE0EEENS1_30default_config_static_selectorELNS0_4arch9wavefront6targetE0EEEvSZ_, .Lfunc_end658-_ZN7rocprim17ROCPRIM_400000_NS6detail17trampoline_kernelINS0_13select_configILj256ELj13ELNS0_17block_load_methodE3ELS4_3ELS4_3ELNS0_20block_scan_algorithmE0ELj4294967295EEENS1_25partition_config_selectorILNS1_17partition_subalgoE4EjNS0_10empty_typeEbEEZZNS1_14partition_implILS8_4ELb0ES6_15HIP_vector_typeIjLj2EENS0_17counting_iteratorIjlEEPS9_SG_NS0_5tupleIJPjSI_NS0_16reverse_iteratorISI_EEEEENSH_IJSG_SG_SG_EEES9_SI_JZNS1_25segmented_radix_sort_implINS0_14default_configELb1EPKlPlSQ_SR_N2at6native12_GLOBAL__N_18offset_tEEE10hipError_tPvRmT1_PNSt15iterator_traitsISZ_E10value_typeET2_T3_PNS10_IS15_E10value_typeET4_jRbjT5_S1B_jjP12ihipStream_tbEUljE_ZNSN_ISO_Lb1ESQ_SR_SQ_SR_SV_EESW_SX_SY_SZ_S13_S14_S15_S18_S19_jS1A_jS1B_S1B_jjS1D_bEUljE0_EEESW_SX_SY_S15_S19_S1B_T6_T7_T9_mT8_S1D_bDpT10_ENKUlT_T0_E_clISt17integral_constantIbLb1EES1Q_IbLb0EEEEDaS1M_S1N_EUlS1M_E_NS1_11comp_targetILNS1_3genE9ELNS1_11target_archE1100ELNS1_3gpuE3ELNS1_3repE0EEENS1_30default_config_static_selectorELNS0_4arch9wavefront6targetE0EEEvSZ_
                                        ; -- End function
	.set _ZN7rocprim17ROCPRIM_400000_NS6detail17trampoline_kernelINS0_13select_configILj256ELj13ELNS0_17block_load_methodE3ELS4_3ELS4_3ELNS0_20block_scan_algorithmE0ELj4294967295EEENS1_25partition_config_selectorILNS1_17partition_subalgoE4EjNS0_10empty_typeEbEEZZNS1_14partition_implILS8_4ELb0ES6_15HIP_vector_typeIjLj2EENS0_17counting_iteratorIjlEEPS9_SG_NS0_5tupleIJPjSI_NS0_16reverse_iteratorISI_EEEEENSH_IJSG_SG_SG_EEES9_SI_JZNS1_25segmented_radix_sort_implINS0_14default_configELb1EPKlPlSQ_SR_N2at6native12_GLOBAL__N_18offset_tEEE10hipError_tPvRmT1_PNSt15iterator_traitsISZ_E10value_typeET2_T3_PNS10_IS15_E10value_typeET4_jRbjT5_S1B_jjP12ihipStream_tbEUljE_ZNSN_ISO_Lb1ESQ_SR_SQ_SR_SV_EESW_SX_SY_SZ_S13_S14_S15_S18_S19_jS1A_jS1B_S1B_jjS1D_bEUljE0_EEESW_SX_SY_S15_S19_S1B_T6_T7_T9_mT8_S1D_bDpT10_ENKUlT_T0_E_clISt17integral_constantIbLb1EES1Q_IbLb0EEEEDaS1M_S1N_EUlS1M_E_NS1_11comp_targetILNS1_3genE9ELNS1_11target_archE1100ELNS1_3gpuE3ELNS1_3repE0EEENS1_30default_config_static_selectorELNS0_4arch9wavefront6targetE0EEEvSZ_.num_vgpr, 0
	.set _ZN7rocprim17ROCPRIM_400000_NS6detail17trampoline_kernelINS0_13select_configILj256ELj13ELNS0_17block_load_methodE3ELS4_3ELS4_3ELNS0_20block_scan_algorithmE0ELj4294967295EEENS1_25partition_config_selectorILNS1_17partition_subalgoE4EjNS0_10empty_typeEbEEZZNS1_14partition_implILS8_4ELb0ES6_15HIP_vector_typeIjLj2EENS0_17counting_iteratorIjlEEPS9_SG_NS0_5tupleIJPjSI_NS0_16reverse_iteratorISI_EEEEENSH_IJSG_SG_SG_EEES9_SI_JZNS1_25segmented_radix_sort_implINS0_14default_configELb1EPKlPlSQ_SR_N2at6native12_GLOBAL__N_18offset_tEEE10hipError_tPvRmT1_PNSt15iterator_traitsISZ_E10value_typeET2_T3_PNS10_IS15_E10value_typeET4_jRbjT5_S1B_jjP12ihipStream_tbEUljE_ZNSN_ISO_Lb1ESQ_SR_SQ_SR_SV_EESW_SX_SY_SZ_S13_S14_S15_S18_S19_jS1A_jS1B_S1B_jjS1D_bEUljE0_EEESW_SX_SY_S15_S19_S1B_T6_T7_T9_mT8_S1D_bDpT10_ENKUlT_T0_E_clISt17integral_constantIbLb1EES1Q_IbLb0EEEEDaS1M_S1N_EUlS1M_E_NS1_11comp_targetILNS1_3genE9ELNS1_11target_archE1100ELNS1_3gpuE3ELNS1_3repE0EEENS1_30default_config_static_selectorELNS0_4arch9wavefront6targetE0EEEvSZ_.num_agpr, 0
	.set _ZN7rocprim17ROCPRIM_400000_NS6detail17trampoline_kernelINS0_13select_configILj256ELj13ELNS0_17block_load_methodE3ELS4_3ELS4_3ELNS0_20block_scan_algorithmE0ELj4294967295EEENS1_25partition_config_selectorILNS1_17partition_subalgoE4EjNS0_10empty_typeEbEEZZNS1_14partition_implILS8_4ELb0ES6_15HIP_vector_typeIjLj2EENS0_17counting_iteratorIjlEEPS9_SG_NS0_5tupleIJPjSI_NS0_16reverse_iteratorISI_EEEEENSH_IJSG_SG_SG_EEES9_SI_JZNS1_25segmented_radix_sort_implINS0_14default_configELb1EPKlPlSQ_SR_N2at6native12_GLOBAL__N_18offset_tEEE10hipError_tPvRmT1_PNSt15iterator_traitsISZ_E10value_typeET2_T3_PNS10_IS15_E10value_typeET4_jRbjT5_S1B_jjP12ihipStream_tbEUljE_ZNSN_ISO_Lb1ESQ_SR_SQ_SR_SV_EESW_SX_SY_SZ_S13_S14_S15_S18_S19_jS1A_jS1B_S1B_jjS1D_bEUljE0_EEESW_SX_SY_S15_S19_S1B_T6_T7_T9_mT8_S1D_bDpT10_ENKUlT_T0_E_clISt17integral_constantIbLb1EES1Q_IbLb0EEEEDaS1M_S1N_EUlS1M_E_NS1_11comp_targetILNS1_3genE9ELNS1_11target_archE1100ELNS1_3gpuE3ELNS1_3repE0EEENS1_30default_config_static_selectorELNS0_4arch9wavefront6targetE0EEEvSZ_.numbered_sgpr, 0
	.set _ZN7rocprim17ROCPRIM_400000_NS6detail17trampoline_kernelINS0_13select_configILj256ELj13ELNS0_17block_load_methodE3ELS4_3ELS4_3ELNS0_20block_scan_algorithmE0ELj4294967295EEENS1_25partition_config_selectorILNS1_17partition_subalgoE4EjNS0_10empty_typeEbEEZZNS1_14partition_implILS8_4ELb0ES6_15HIP_vector_typeIjLj2EENS0_17counting_iteratorIjlEEPS9_SG_NS0_5tupleIJPjSI_NS0_16reverse_iteratorISI_EEEEENSH_IJSG_SG_SG_EEES9_SI_JZNS1_25segmented_radix_sort_implINS0_14default_configELb1EPKlPlSQ_SR_N2at6native12_GLOBAL__N_18offset_tEEE10hipError_tPvRmT1_PNSt15iterator_traitsISZ_E10value_typeET2_T3_PNS10_IS15_E10value_typeET4_jRbjT5_S1B_jjP12ihipStream_tbEUljE_ZNSN_ISO_Lb1ESQ_SR_SQ_SR_SV_EESW_SX_SY_SZ_S13_S14_S15_S18_S19_jS1A_jS1B_S1B_jjS1D_bEUljE0_EEESW_SX_SY_S15_S19_S1B_T6_T7_T9_mT8_S1D_bDpT10_ENKUlT_T0_E_clISt17integral_constantIbLb1EES1Q_IbLb0EEEEDaS1M_S1N_EUlS1M_E_NS1_11comp_targetILNS1_3genE9ELNS1_11target_archE1100ELNS1_3gpuE3ELNS1_3repE0EEENS1_30default_config_static_selectorELNS0_4arch9wavefront6targetE0EEEvSZ_.num_named_barrier, 0
	.set _ZN7rocprim17ROCPRIM_400000_NS6detail17trampoline_kernelINS0_13select_configILj256ELj13ELNS0_17block_load_methodE3ELS4_3ELS4_3ELNS0_20block_scan_algorithmE0ELj4294967295EEENS1_25partition_config_selectorILNS1_17partition_subalgoE4EjNS0_10empty_typeEbEEZZNS1_14partition_implILS8_4ELb0ES6_15HIP_vector_typeIjLj2EENS0_17counting_iteratorIjlEEPS9_SG_NS0_5tupleIJPjSI_NS0_16reverse_iteratorISI_EEEEENSH_IJSG_SG_SG_EEES9_SI_JZNS1_25segmented_radix_sort_implINS0_14default_configELb1EPKlPlSQ_SR_N2at6native12_GLOBAL__N_18offset_tEEE10hipError_tPvRmT1_PNSt15iterator_traitsISZ_E10value_typeET2_T3_PNS10_IS15_E10value_typeET4_jRbjT5_S1B_jjP12ihipStream_tbEUljE_ZNSN_ISO_Lb1ESQ_SR_SQ_SR_SV_EESW_SX_SY_SZ_S13_S14_S15_S18_S19_jS1A_jS1B_S1B_jjS1D_bEUljE0_EEESW_SX_SY_S15_S19_S1B_T6_T7_T9_mT8_S1D_bDpT10_ENKUlT_T0_E_clISt17integral_constantIbLb1EES1Q_IbLb0EEEEDaS1M_S1N_EUlS1M_E_NS1_11comp_targetILNS1_3genE9ELNS1_11target_archE1100ELNS1_3gpuE3ELNS1_3repE0EEENS1_30default_config_static_selectorELNS0_4arch9wavefront6targetE0EEEvSZ_.private_seg_size, 0
	.set _ZN7rocprim17ROCPRIM_400000_NS6detail17trampoline_kernelINS0_13select_configILj256ELj13ELNS0_17block_load_methodE3ELS4_3ELS4_3ELNS0_20block_scan_algorithmE0ELj4294967295EEENS1_25partition_config_selectorILNS1_17partition_subalgoE4EjNS0_10empty_typeEbEEZZNS1_14partition_implILS8_4ELb0ES6_15HIP_vector_typeIjLj2EENS0_17counting_iteratorIjlEEPS9_SG_NS0_5tupleIJPjSI_NS0_16reverse_iteratorISI_EEEEENSH_IJSG_SG_SG_EEES9_SI_JZNS1_25segmented_radix_sort_implINS0_14default_configELb1EPKlPlSQ_SR_N2at6native12_GLOBAL__N_18offset_tEEE10hipError_tPvRmT1_PNSt15iterator_traitsISZ_E10value_typeET2_T3_PNS10_IS15_E10value_typeET4_jRbjT5_S1B_jjP12ihipStream_tbEUljE_ZNSN_ISO_Lb1ESQ_SR_SQ_SR_SV_EESW_SX_SY_SZ_S13_S14_S15_S18_S19_jS1A_jS1B_S1B_jjS1D_bEUljE0_EEESW_SX_SY_S15_S19_S1B_T6_T7_T9_mT8_S1D_bDpT10_ENKUlT_T0_E_clISt17integral_constantIbLb1EES1Q_IbLb0EEEEDaS1M_S1N_EUlS1M_E_NS1_11comp_targetILNS1_3genE9ELNS1_11target_archE1100ELNS1_3gpuE3ELNS1_3repE0EEENS1_30default_config_static_selectorELNS0_4arch9wavefront6targetE0EEEvSZ_.uses_vcc, 0
	.set _ZN7rocprim17ROCPRIM_400000_NS6detail17trampoline_kernelINS0_13select_configILj256ELj13ELNS0_17block_load_methodE3ELS4_3ELS4_3ELNS0_20block_scan_algorithmE0ELj4294967295EEENS1_25partition_config_selectorILNS1_17partition_subalgoE4EjNS0_10empty_typeEbEEZZNS1_14partition_implILS8_4ELb0ES6_15HIP_vector_typeIjLj2EENS0_17counting_iteratorIjlEEPS9_SG_NS0_5tupleIJPjSI_NS0_16reverse_iteratorISI_EEEEENSH_IJSG_SG_SG_EEES9_SI_JZNS1_25segmented_radix_sort_implINS0_14default_configELb1EPKlPlSQ_SR_N2at6native12_GLOBAL__N_18offset_tEEE10hipError_tPvRmT1_PNSt15iterator_traitsISZ_E10value_typeET2_T3_PNS10_IS15_E10value_typeET4_jRbjT5_S1B_jjP12ihipStream_tbEUljE_ZNSN_ISO_Lb1ESQ_SR_SQ_SR_SV_EESW_SX_SY_SZ_S13_S14_S15_S18_S19_jS1A_jS1B_S1B_jjS1D_bEUljE0_EEESW_SX_SY_S15_S19_S1B_T6_T7_T9_mT8_S1D_bDpT10_ENKUlT_T0_E_clISt17integral_constantIbLb1EES1Q_IbLb0EEEEDaS1M_S1N_EUlS1M_E_NS1_11comp_targetILNS1_3genE9ELNS1_11target_archE1100ELNS1_3gpuE3ELNS1_3repE0EEENS1_30default_config_static_selectorELNS0_4arch9wavefront6targetE0EEEvSZ_.uses_flat_scratch, 0
	.set _ZN7rocprim17ROCPRIM_400000_NS6detail17trampoline_kernelINS0_13select_configILj256ELj13ELNS0_17block_load_methodE3ELS4_3ELS4_3ELNS0_20block_scan_algorithmE0ELj4294967295EEENS1_25partition_config_selectorILNS1_17partition_subalgoE4EjNS0_10empty_typeEbEEZZNS1_14partition_implILS8_4ELb0ES6_15HIP_vector_typeIjLj2EENS0_17counting_iteratorIjlEEPS9_SG_NS0_5tupleIJPjSI_NS0_16reverse_iteratorISI_EEEEENSH_IJSG_SG_SG_EEES9_SI_JZNS1_25segmented_radix_sort_implINS0_14default_configELb1EPKlPlSQ_SR_N2at6native12_GLOBAL__N_18offset_tEEE10hipError_tPvRmT1_PNSt15iterator_traitsISZ_E10value_typeET2_T3_PNS10_IS15_E10value_typeET4_jRbjT5_S1B_jjP12ihipStream_tbEUljE_ZNSN_ISO_Lb1ESQ_SR_SQ_SR_SV_EESW_SX_SY_SZ_S13_S14_S15_S18_S19_jS1A_jS1B_S1B_jjS1D_bEUljE0_EEESW_SX_SY_S15_S19_S1B_T6_T7_T9_mT8_S1D_bDpT10_ENKUlT_T0_E_clISt17integral_constantIbLb1EES1Q_IbLb0EEEEDaS1M_S1N_EUlS1M_E_NS1_11comp_targetILNS1_3genE9ELNS1_11target_archE1100ELNS1_3gpuE3ELNS1_3repE0EEENS1_30default_config_static_selectorELNS0_4arch9wavefront6targetE0EEEvSZ_.has_dyn_sized_stack, 0
	.set _ZN7rocprim17ROCPRIM_400000_NS6detail17trampoline_kernelINS0_13select_configILj256ELj13ELNS0_17block_load_methodE3ELS4_3ELS4_3ELNS0_20block_scan_algorithmE0ELj4294967295EEENS1_25partition_config_selectorILNS1_17partition_subalgoE4EjNS0_10empty_typeEbEEZZNS1_14partition_implILS8_4ELb0ES6_15HIP_vector_typeIjLj2EENS0_17counting_iteratorIjlEEPS9_SG_NS0_5tupleIJPjSI_NS0_16reverse_iteratorISI_EEEEENSH_IJSG_SG_SG_EEES9_SI_JZNS1_25segmented_radix_sort_implINS0_14default_configELb1EPKlPlSQ_SR_N2at6native12_GLOBAL__N_18offset_tEEE10hipError_tPvRmT1_PNSt15iterator_traitsISZ_E10value_typeET2_T3_PNS10_IS15_E10value_typeET4_jRbjT5_S1B_jjP12ihipStream_tbEUljE_ZNSN_ISO_Lb1ESQ_SR_SQ_SR_SV_EESW_SX_SY_SZ_S13_S14_S15_S18_S19_jS1A_jS1B_S1B_jjS1D_bEUljE0_EEESW_SX_SY_S15_S19_S1B_T6_T7_T9_mT8_S1D_bDpT10_ENKUlT_T0_E_clISt17integral_constantIbLb1EES1Q_IbLb0EEEEDaS1M_S1N_EUlS1M_E_NS1_11comp_targetILNS1_3genE9ELNS1_11target_archE1100ELNS1_3gpuE3ELNS1_3repE0EEENS1_30default_config_static_selectorELNS0_4arch9wavefront6targetE0EEEvSZ_.has_recursion, 0
	.set _ZN7rocprim17ROCPRIM_400000_NS6detail17trampoline_kernelINS0_13select_configILj256ELj13ELNS0_17block_load_methodE3ELS4_3ELS4_3ELNS0_20block_scan_algorithmE0ELj4294967295EEENS1_25partition_config_selectorILNS1_17partition_subalgoE4EjNS0_10empty_typeEbEEZZNS1_14partition_implILS8_4ELb0ES6_15HIP_vector_typeIjLj2EENS0_17counting_iteratorIjlEEPS9_SG_NS0_5tupleIJPjSI_NS0_16reverse_iteratorISI_EEEEENSH_IJSG_SG_SG_EEES9_SI_JZNS1_25segmented_radix_sort_implINS0_14default_configELb1EPKlPlSQ_SR_N2at6native12_GLOBAL__N_18offset_tEEE10hipError_tPvRmT1_PNSt15iterator_traitsISZ_E10value_typeET2_T3_PNS10_IS15_E10value_typeET4_jRbjT5_S1B_jjP12ihipStream_tbEUljE_ZNSN_ISO_Lb1ESQ_SR_SQ_SR_SV_EESW_SX_SY_SZ_S13_S14_S15_S18_S19_jS1A_jS1B_S1B_jjS1D_bEUljE0_EEESW_SX_SY_S15_S19_S1B_T6_T7_T9_mT8_S1D_bDpT10_ENKUlT_T0_E_clISt17integral_constantIbLb1EES1Q_IbLb0EEEEDaS1M_S1N_EUlS1M_E_NS1_11comp_targetILNS1_3genE9ELNS1_11target_archE1100ELNS1_3gpuE3ELNS1_3repE0EEENS1_30default_config_static_selectorELNS0_4arch9wavefront6targetE0EEEvSZ_.has_indirect_call, 0
	.section	.AMDGPU.csdata,"",@progbits
; Kernel info:
; codeLenInByte = 0
; TotalNumSgprs: 0
; NumVgprs: 0
; ScratchSize: 0
; MemoryBound: 0
; FloatMode: 240
; IeeeMode: 1
; LDSByteSize: 0 bytes/workgroup (compile time only)
; SGPRBlocks: 0
; VGPRBlocks: 0
; NumSGPRsForWavesPerEU: 1
; NumVGPRsForWavesPerEU: 1
; NamedBarCnt: 0
; Occupancy: 16
; WaveLimiterHint : 0
; COMPUTE_PGM_RSRC2:SCRATCH_EN: 0
; COMPUTE_PGM_RSRC2:USER_SGPR: 2
; COMPUTE_PGM_RSRC2:TRAP_HANDLER: 0
; COMPUTE_PGM_RSRC2:TGID_X_EN: 1
; COMPUTE_PGM_RSRC2:TGID_Y_EN: 0
; COMPUTE_PGM_RSRC2:TGID_Z_EN: 0
; COMPUTE_PGM_RSRC2:TIDIG_COMP_CNT: 0
	.section	.text._ZN7rocprim17ROCPRIM_400000_NS6detail17trampoline_kernelINS0_13select_configILj256ELj13ELNS0_17block_load_methodE3ELS4_3ELS4_3ELNS0_20block_scan_algorithmE0ELj4294967295EEENS1_25partition_config_selectorILNS1_17partition_subalgoE4EjNS0_10empty_typeEbEEZZNS1_14partition_implILS8_4ELb0ES6_15HIP_vector_typeIjLj2EENS0_17counting_iteratorIjlEEPS9_SG_NS0_5tupleIJPjSI_NS0_16reverse_iteratorISI_EEEEENSH_IJSG_SG_SG_EEES9_SI_JZNS1_25segmented_radix_sort_implINS0_14default_configELb1EPKlPlSQ_SR_N2at6native12_GLOBAL__N_18offset_tEEE10hipError_tPvRmT1_PNSt15iterator_traitsISZ_E10value_typeET2_T3_PNS10_IS15_E10value_typeET4_jRbjT5_S1B_jjP12ihipStream_tbEUljE_ZNSN_ISO_Lb1ESQ_SR_SQ_SR_SV_EESW_SX_SY_SZ_S13_S14_S15_S18_S19_jS1A_jS1B_S1B_jjS1D_bEUljE0_EEESW_SX_SY_S15_S19_S1B_T6_T7_T9_mT8_S1D_bDpT10_ENKUlT_T0_E_clISt17integral_constantIbLb1EES1Q_IbLb0EEEEDaS1M_S1N_EUlS1M_E_NS1_11comp_targetILNS1_3genE8ELNS1_11target_archE1030ELNS1_3gpuE2ELNS1_3repE0EEENS1_30default_config_static_selectorELNS0_4arch9wavefront6targetE0EEEvSZ_,"axG",@progbits,_ZN7rocprim17ROCPRIM_400000_NS6detail17trampoline_kernelINS0_13select_configILj256ELj13ELNS0_17block_load_methodE3ELS4_3ELS4_3ELNS0_20block_scan_algorithmE0ELj4294967295EEENS1_25partition_config_selectorILNS1_17partition_subalgoE4EjNS0_10empty_typeEbEEZZNS1_14partition_implILS8_4ELb0ES6_15HIP_vector_typeIjLj2EENS0_17counting_iteratorIjlEEPS9_SG_NS0_5tupleIJPjSI_NS0_16reverse_iteratorISI_EEEEENSH_IJSG_SG_SG_EEES9_SI_JZNS1_25segmented_radix_sort_implINS0_14default_configELb1EPKlPlSQ_SR_N2at6native12_GLOBAL__N_18offset_tEEE10hipError_tPvRmT1_PNSt15iterator_traitsISZ_E10value_typeET2_T3_PNS10_IS15_E10value_typeET4_jRbjT5_S1B_jjP12ihipStream_tbEUljE_ZNSN_ISO_Lb1ESQ_SR_SQ_SR_SV_EESW_SX_SY_SZ_S13_S14_S15_S18_S19_jS1A_jS1B_S1B_jjS1D_bEUljE0_EEESW_SX_SY_S15_S19_S1B_T6_T7_T9_mT8_S1D_bDpT10_ENKUlT_T0_E_clISt17integral_constantIbLb1EES1Q_IbLb0EEEEDaS1M_S1N_EUlS1M_E_NS1_11comp_targetILNS1_3genE8ELNS1_11target_archE1030ELNS1_3gpuE2ELNS1_3repE0EEENS1_30default_config_static_selectorELNS0_4arch9wavefront6targetE0EEEvSZ_,comdat
	.globl	_ZN7rocprim17ROCPRIM_400000_NS6detail17trampoline_kernelINS0_13select_configILj256ELj13ELNS0_17block_load_methodE3ELS4_3ELS4_3ELNS0_20block_scan_algorithmE0ELj4294967295EEENS1_25partition_config_selectorILNS1_17partition_subalgoE4EjNS0_10empty_typeEbEEZZNS1_14partition_implILS8_4ELb0ES6_15HIP_vector_typeIjLj2EENS0_17counting_iteratorIjlEEPS9_SG_NS0_5tupleIJPjSI_NS0_16reverse_iteratorISI_EEEEENSH_IJSG_SG_SG_EEES9_SI_JZNS1_25segmented_radix_sort_implINS0_14default_configELb1EPKlPlSQ_SR_N2at6native12_GLOBAL__N_18offset_tEEE10hipError_tPvRmT1_PNSt15iterator_traitsISZ_E10value_typeET2_T3_PNS10_IS15_E10value_typeET4_jRbjT5_S1B_jjP12ihipStream_tbEUljE_ZNSN_ISO_Lb1ESQ_SR_SQ_SR_SV_EESW_SX_SY_SZ_S13_S14_S15_S18_S19_jS1A_jS1B_S1B_jjS1D_bEUljE0_EEESW_SX_SY_S15_S19_S1B_T6_T7_T9_mT8_S1D_bDpT10_ENKUlT_T0_E_clISt17integral_constantIbLb1EES1Q_IbLb0EEEEDaS1M_S1N_EUlS1M_E_NS1_11comp_targetILNS1_3genE8ELNS1_11target_archE1030ELNS1_3gpuE2ELNS1_3repE0EEENS1_30default_config_static_selectorELNS0_4arch9wavefront6targetE0EEEvSZ_ ; -- Begin function _ZN7rocprim17ROCPRIM_400000_NS6detail17trampoline_kernelINS0_13select_configILj256ELj13ELNS0_17block_load_methodE3ELS4_3ELS4_3ELNS0_20block_scan_algorithmE0ELj4294967295EEENS1_25partition_config_selectorILNS1_17partition_subalgoE4EjNS0_10empty_typeEbEEZZNS1_14partition_implILS8_4ELb0ES6_15HIP_vector_typeIjLj2EENS0_17counting_iteratorIjlEEPS9_SG_NS0_5tupleIJPjSI_NS0_16reverse_iteratorISI_EEEEENSH_IJSG_SG_SG_EEES9_SI_JZNS1_25segmented_radix_sort_implINS0_14default_configELb1EPKlPlSQ_SR_N2at6native12_GLOBAL__N_18offset_tEEE10hipError_tPvRmT1_PNSt15iterator_traitsISZ_E10value_typeET2_T3_PNS10_IS15_E10value_typeET4_jRbjT5_S1B_jjP12ihipStream_tbEUljE_ZNSN_ISO_Lb1ESQ_SR_SQ_SR_SV_EESW_SX_SY_SZ_S13_S14_S15_S18_S19_jS1A_jS1B_S1B_jjS1D_bEUljE0_EEESW_SX_SY_S15_S19_S1B_T6_T7_T9_mT8_S1D_bDpT10_ENKUlT_T0_E_clISt17integral_constantIbLb1EES1Q_IbLb0EEEEDaS1M_S1N_EUlS1M_E_NS1_11comp_targetILNS1_3genE8ELNS1_11target_archE1030ELNS1_3gpuE2ELNS1_3repE0EEENS1_30default_config_static_selectorELNS0_4arch9wavefront6targetE0EEEvSZ_
	.p2align	8
	.type	_ZN7rocprim17ROCPRIM_400000_NS6detail17trampoline_kernelINS0_13select_configILj256ELj13ELNS0_17block_load_methodE3ELS4_3ELS4_3ELNS0_20block_scan_algorithmE0ELj4294967295EEENS1_25partition_config_selectorILNS1_17partition_subalgoE4EjNS0_10empty_typeEbEEZZNS1_14partition_implILS8_4ELb0ES6_15HIP_vector_typeIjLj2EENS0_17counting_iteratorIjlEEPS9_SG_NS0_5tupleIJPjSI_NS0_16reverse_iteratorISI_EEEEENSH_IJSG_SG_SG_EEES9_SI_JZNS1_25segmented_radix_sort_implINS0_14default_configELb1EPKlPlSQ_SR_N2at6native12_GLOBAL__N_18offset_tEEE10hipError_tPvRmT1_PNSt15iterator_traitsISZ_E10value_typeET2_T3_PNS10_IS15_E10value_typeET4_jRbjT5_S1B_jjP12ihipStream_tbEUljE_ZNSN_ISO_Lb1ESQ_SR_SQ_SR_SV_EESW_SX_SY_SZ_S13_S14_S15_S18_S19_jS1A_jS1B_S1B_jjS1D_bEUljE0_EEESW_SX_SY_S15_S19_S1B_T6_T7_T9_mT8_S1D_bDpT10_ENKUlT_T0_E_clISt17integral_constantIbLb1EES1Q_IbLb0EEEEDaS1M_S1N_EUlS1M_E_NS1_11comp_targetILNS1_3genE8ELNS1_11target_archE1030ELNS1_3gpuE2ELNS1_3repE0EEENS1_30default_config_static_selectorELNS0_4arch9wavefront6targetE0EEEvSZ_,@function
_ZN7rocprim17ROCPRIM_400000_NS6detail17trampoline_kernelINS0_13select_configILj256ELj13ELNS0_17block_load_methodE3ELS4_3ELS4_3ELNS0_20block_scan_algorithmE0ELj4294967295EEENS1_25partition_config_selectorILNS1_17partition_subalgoE4EjNS0_10empty_typeEbEEZZNS1_14partition_implILS8_4ELb0ES6_15HIP_vector_typeIjLj2EENS0_17counting_iteratorIjlEEPS9_SG_NS0_5tupleIJPjSI_NS0_16reverse_iteratorISI_EEEEENSH_IJSG_SG_SG_EEES9_SI_JZNS1_25segmented_radix_sort_implINS0_14default_configELb1EPKlPlSQ_SR_N2at6native12_GLOBAL__N_18offset_tEEE10hipError_tPvRmT1_PNSt15iterator_traitsISZ_E10value_typeET2_T3_PNS10_IS15_E10value_typeET4_jRbjT5_S1B_jjP12ihipStream_tbEUljE_ZNSN_ISO_Lb1ESQ_SR_SQ_SR_SV_EESW_SX_SY_SZ_S13_S14_S15_S18_S19_jS1A_jS1B_S1B_jjS1D_bEUljE0_EEESW_SX_SY_S15_S19_S1B_T6_T7_T9_mT8_S1D_bDpT10_ENKUlT_T0_E_clISt17integral_constantIbLb1EES1Q_IbLb0EEEEDaS1M_S1N_EUlS1M_E_NS1_11comp_targetILNS1_3genE8ELNS1_11target_archE1030ELNS1_3gpuE2ELNS1_3repE0EEENS1_30default_config_static_selectorELNS0_4arch9wavefront6targetE0EEEvSZ_: ; @_ZN7rocprim17ROCPRIM_400000_NS6detail17trampoline_kernelINS0_13select_configILj256ELj13ELNS0_17block_load_methodE3ELS4_3ELS4_3ELNS0_20block_scan_algorithmE0ELj4294967295EEENS1_25partition_config_selectorILNS1_17partition_subalgoE4EjNS0_10empty_typeEbEEZZNS1_14partition_implILS8_4ELb0ES6_15HIP_vector_typeIjLj2EENS0_17counting_iteratorIjlEEPS9_SG_NS0_5tupleIJPjSI_NS0_16reverse_iteratorISI_EEEEENSH_IJSG_SG_SG_EEES9_SI_JZNS1_25segmented_radix_sort_implINS0_14default_configELb1EPKlPlSQ_SR_N2at6native12_GLOBAL__N_18offset_tEEE10hipError_tPvRmT1_PNSt15iterator_traitsISZ_E10value_typeET2_T3_PNS10_IS15_E10value_typeET4_jRbjT5_S1B_jjP12ihipStream_tbEUljE_ZNSN_ISO_Lb1ESQ_SR_SQ_SR_SV_EESW_SX_SY_SZ_S13_S14_S15_S18_S19_jS1A_jS1B_S1B_jjS1D_bEUljE0_EEESW_SX_SY_S15_S19_S1B_T6_T7_T9_mT8_S1D_bDpT10_ENKUlT_T0_E_clISt17integral_constantIbLb1EES1Q_IbLb0EEEEDaS1M_S1N_EUlS1M_E_NS1_11comp_targetILNS1_3genE8ELNS1_11target_archE1030ELNS1_3gpuE2ELNS1_3repE0EEENS1_30default_config_static_selectorELNS0_4arch9wavefront6targetE0EEEvSZ_
; %bb.0:
	.section	.rodata,"a",@progbits
	.p2align	6, 0x0
	.amdhsa_kernel _ZN7rocprim17ROCPRIM_400000_NS6detail17trampoline_kernelINS0_13select_configILj256ELj13ELNS0_17block_load_methodE3ELS4_3ELS4_3ELNS0_20block_scan_algorithmE0ELj4294967295EEENS1_25partition_config_selectorILNS1_17partition_subalgoE4EjNS0_10empty_typeEbEEZZNS1_14partition_implILS8_4ELb0ES6_15HIP_vector_typeIjLj2EENS0_17counting_iteratorIjlEEPS9_SG_NS0_5tupleIJPjSI_NS0_16reverse_iteratorISI_EEEEENSH_IJSG_SG_SG_EEES9_SI_JZNS1_25segmented_radix_sort_implINS0_14default_configELb1EPKlPlSQ_SR_N2at6native12_GLOBAL__N_18offset_tEEE10hipError_tPvRmT1_PNSt15iterator_traitsISZ_E10value_typeET2_T3_PNS10_IS15_E10value_typeET4_jRbjT5_S1B_jjP12ihipStream_tbEUljE_ZNSN_ISO_Lb1ESQ_SR_SQ_SR_SV_EESW_SX_SY_SZ_S13_S14_S15_S18_S19_jS1A_jS1B_S1B_jjS1D_bEUljE0_EEESW_SX_SY_S15_S19_S1B_T6_T7_T9_mT8_S1D_bDpT10_ENKUlT_T0_E_clISt17integral_constantIbLb1EES1Q_IbLb0EEEEDaS1M_S1N_EUlS1M_E_NS1_11comp_targetILNS1_3genE8ELNS1_11target_archE1030ELNS1_3gpuE2ELNS1_3repE0EEENS1_30default_config_static_selectorELNS0_4arch9wavefront6targetE0EEEvSZ_
		.amdhsa_group_segment_fixed_size 0
		.amdhsa_private_segment_fixed_size 0
		.amdhsa_kernarg_size 176
		.amdhsa_user_sgpr_count 2
		.amdhsa_user_sgpr_dispatch_ptr 0
		.amdhsa_user_sgpr_queue_ptr 0
		.amdhsa_user_sgpr_kernarg_segment_ptr 1
		.amdhsa_user_sgpr_dispatch_id 0
		.amdhsa_user_sgpr_kernarg_preload_length 0
		.amdhsa_user_sgpr_kernarg_preload_offset 0
		.amdhsa_user_sgpr_private_segment_size 0
		.amdhsa_wavefront_size32 1
		.amdhsa_uses_dynamic_stack 0
		.amdhsa_enable_private_segment 0
		.amdhsa_system_sgpr_workgroup_id_x 1
		.amdhsa_system_sgpr_workgroup_id_y 0
		.amdhsa_system_sgpr_workgroup_id_z 0
		.amdhsa_system_sgpr_workgroup_info 0
		.amdhsa_system_vgpr_workitem_id 0
		.amdhsa_next_free_vgpr 1
		.amdhsa_next_free_sgpr 1
		.amdhsa_named_barrier_count 0
		.amdhsa_reserve_vcc 0
		.amdhsa_float_round_mode_32 0
		.amdhsa_float_round_mode_16_64 0
		.amdhsa_float_denorm_mode_32 3
		.amdhsa_float_denorm_mode_16_64 3
		.amdhsa_fp16_overflow 0
		.amdhsa_memory_ordered 1
		.amdhsa_forward_progress 1
		.amdhsa_inst_pref_size 0
		.amdhsa_round_robin_scheduling 0
		.amdhsa_exception_fp_ieee_invalid_op 0
		.amdhsa_exception_fp_denorm_src 0
		.amdhsa_exception_fp_ieee_div_zero 0
		.amdhsa_exception_fp_ieee_overflow 0
		.amdhsa_exception_fp_ieee_underflow 0
		.amdhsa_exception_fp_ieee_inexact 0
		.amdhsa_exception_int_div_zero 0
	.end_amdhsa_kernel
	.section	.text._ZN7rocprim17ROCPRIM_400000_NS6detail17trampoline_kernelINS0_13select_configILj256ELj13ELNS0_17block_load_methodE3ELS4_3ELS4_3ELNS0_20block_scan_algorithmE0ELj4294967295EEENS1_25partition_config_selectorILNS1_17partition_subalgoE4EjNS0_10empty_typeEbEEZZNS1_14partition_implILS8_4ELb0ES6_15HIP_vector_typeIjLj2EENS0_17counting_iteratorIjlEEPS9_SG_NS0_5tupleIJPjSI_NS0_16reverse_iteratorISI_EEEEENSH_IJSG_SG_SG_EEES9_SI_JZNS1_25segmented_radix_sort_implINS0_14default_configELb1EPKlPlSQ_SR_N2at6native12_GLOBAL__N_18offset_tEEE10hipError_tPvRmT1_PNSt15iterator_traitsISZ_E10value_typeET2_T3_PNS10_IS15_E10value_typeET4_jRbjT5_S1B_jjP12ihipStream_tbEUljE_ZNSN_ISO_Lb1ESQ_SR_SQ_SR_SV_EESW_SX_SY_SZ_S13_S14_S15_S18_S19_jS1A_jS1B_S1B_jjS1D_bEUljE0_EEESW_SX_SY_S15_S19_S1B_T6_T7_T9_mT8_S1D_bDpT10_ENKUlT_T0_E_clISt17integral_constantIbLb1EES1Q_IbLb0EEEEDaS1M_S1N_EUlS1M_E_NS1_11comp_targetILNS1_3genE8ELNS1_11target_archE1030ELNS1_3gpuE2ELNS1_3repE0EEENS1_30default_config_static_selectorELNS0_4arch9wavefront6targetE0EEEvSZ_,"axG",@progbits,_ZN7rocprim17ROCPRIM_400000_NS6detail17trampoline_kernelINS0_13select_configILj256ELj13ELNS0_17block_load_methodE3ELS4_3ELS4_3ELNS0_20block_scan_algorithmE0ELj4294967295EEENS1_25partition_config_selectorILNS1_17partition_subalgoE4EjNS0_10empty_typeEbEEZZNS1_14partition_implILS8_4ELb0ES6_15HIP_vector_typeIjLj2EENS0_17counting_iteratorIjlEEPS9_SG_NS0_5tupleIJPjSI_NS0_16reverse_iteratorISI_EEEEENSH_IJSG_SG_SG_EEES9_SI_JZNS1_25segmented_radix_sort_implINS0_14default_configELb1EPKlPlSQ_SR_N2at6native12_GLOBAL__N_18offset_tEEE10hipError_tPvRmT1_PNSt15iterator_traitsISZ_E10value_typeET2_T3_PNS10_IS15_E10value_typeET4_jRbjT5_S1B_jjP12ihipStream_tbEUljE_ZNSN_ISO_Lb1ESQ_SR_SQ_SR_SV_EESW_SX_SY_SZ_S13_S14_S15_S18_S19_jS1A_jS1B_S1B_jjS1D_bEUljE0_EEESW_SX_SY_S15_S19_S1B_T6_T7_T9_mT8_S1D_bDpT10_ENKUlT_T0_E_clISt17integral_constantIbLb1EES1Q_IbLb0EEEEDaS1M_S1N_EUlS1M_E_NS1_11comp_targetILNS1_3genE8ELNS1_11target_archE1030ELNS1_3gpuE2ELNS1_3repE0EEENS1_30default_config_static_selectorELNS0_4arch9wavefront6targetE0EEEvSZ_,comdat
.Lfunc_end659:
	.size	_ZN7rocprim17ROCPRIM_400000_NS6detail17trampoline_kernelINS0_13select_configILj256ELj13ELNS0_17block_load_methodE3ELS4_3ELS4_3ELNS0_20block_scan_algorithmE0ELj4294967295EEENS1_25partition_config_selectorILNS1_17partition_subalgoE4EjNS0_10empty_typeEbEEZZNS1_14partition_implILS8_4ELb0ES6_15HIP_vector_typeIjLj2EENS0_17counting_iteratorIjlEEPS9_SG_NS0_5tupleIJPjSI_NS0_16reverse_iteratorISI_EEEEENSH_IJSG_SG_SG_EEES9_SI_JZNS1_25segmented_radix_sort_implINS0_14default_configELb1EPKlPlSQ_SR_N2at6native12_GLOBAL__N_18offset_tEEE10hipError_tPvRmT1_PNSt15iterator_traitsISZ_E10value_typeET2_T3_PNS10_IS15_E10value_typeET4_jRbjT5_S1B_jjP12ihipStream_tbEUljE_ZNSN_ISO_Lb1ESQ_SR_SQ_SR_SV_EESW_SX_SY_SZ_S13_S14_S15_S18_S19_jS1A_jS1B_S1B_jjS1D_bEUljE0_EEESW_SX_SY_S15_S19_S1B_T6_T7_T9_mT8_S1D_bDpT10_ENKUlT_T0_E_clISt17integral_constantIbLb1EES1Q_IbLb0EEEEDaS1M_S1N_EUlS1M_E_NS1_11comp_targetILNS1_3genE8ELNS1_11target_archE1030ELNS1_3gpuE2ELNS1_3repE0EEENS1_30default_config_static_selectorELNS0_4arch9wavefront6targetE0EEEvSZ_, .Lfunc_end659-_ZN7rocprim17ROCPRIM_400000_NS6detail17trampoline_kernelINS0_13select_configILj256ELj13ELNS0_17block_load_methodE3ELS4_3ELS4_3ELNS0_20block_scan_algorithmE0ELj4294967295EEENS1_25partition_config_selectorILNS1_17partition_subalgoE4EjNS0_10empty_typeEbEEZZNS1_14partition_implILS8_4ELb0ES6_15HIP_vector_typeIjLj2EENS0_17counting_iteratorIjlEEPS9_SG_NS0_5tupleIJPjSI_NS0_16reverse_iteratorISI_EEEEENSH_IJSG_SG_SG_EEES9_SI_JZNS1_25segmented_radix_sort_implINS0_14default_configELb1EPKlPlSQ_SR_N2at6native12_GLOBAL__N_18offset_tEEE10hipError_tPvRmT1_PNSt15iterator_traitsISZ_E10value_typeET2_T3_PNS10_IS15_E10value_typeET4_jRbjT5_S1B_jjP12ihipStream_tbEUljE_ZNSN_ISO_Lb1ESQ_SR_SQ_SR_SV_EESW_SX_SY_SZ_S13_S14_S15_S18_S19_jS1A_jS1B_S1B_jjS1D_bEUljE0_EEESW_SX_SY_S15_S19_S1B_T6_T7_T9_mT8_S1D_bDpT10_ENKUlT_T0_E_clISt17integral_constantIbLb1EES1Q_IbLb0EEEEDaS1M_S1N_EUlS1M_E_NS1_11comp_targetILNS1_3genE8ELNS1_11target_archE1030ELNS1_3gpuE2ELNS1_3repE0EEENS1_30default_config_static_selectorELNS0_4arch9wavefront6targetE0EEEvSZ_
                                        ; -- End function
	.set _ZN7rocprim17ROCPRIM_400000_NS6detail17trampoline_kernelINS0_13select_configILj256ELj13ELNS0_17block_load_methodE3ELS4_3ELS4_3ELNS0_20block_scan_algorithmE0ELj4294967295EEENS1_25partition_config_selectorILNS1_17partition_subalgoE4EjNS0_10empty_typeEbEEZZNS1_14partition_implILS8_4ELb0ES6_15HIP_vector_typeIjLj2EENS0_17counting_iteratorIjlEEPS9_SG_NS0_5tupleIJPjSI_NS0_16reverse_iteratorISI_EEEEENSH_IJSG_SG_SG_EEES9_SI_JZNS1_25segmented_radix_sort_implINS0_14default_configELb1EPKlPlSQ_SR_N2at6native12_GLOBAL__N_18offset_tEEE10hipError_tPvRmT1_PNSt15iterator_traitsISZ_E10value_typeET2_T3_PNS10_IS15_E10value_typeET4_jRbjT5_S1B_jjP12ihipStream_tbEUljE_ZNSN_ISO_Lb1ESQ_SR_SQ_SR_SV_EESW_SX_SY_SZ_S13_S14_S15_S18_S19_jS1A_jS1B_S1B_jjS1D_bEUljE0_EEESW_SX_SY_S15_S19_S1B_T6_T7_T9_mT8_S1D_bDpT10_ENKUlT_T0_E_clISt17integral_constantIbLb1EES1Q_IbLb0EEEEDaS1M_S1N_EUlS1M_E_NS1_11comp_targetILNS1_3genE8ELNS1_11target_archE1030ELNS1_3gpuE2ELNS1_3repE0EEENS1_30default_config_static_selectorELNS0_4arch9wavefront6targetE0EEEvSZ_.num_vgpr, 0
	.set _ZN7rocprim17ROCPRIM_400000_NS6detail17trampoline_kernelINS0_13select_configILj256ELj13ELNS0_17block_load_methodE3ELS4_3ELS4_3ELNS0_20block_scan_algorithmE0ELj4294967295EEENS1_25partition_config_selectorILNS1_17partition_subalgoE4EjNS0_10empty_typeEbEEZZNS1_14partition_implILS8_4ELb0ES6_15HIP_vector_typeIjLj2EENS0_17counting_iteratorIjlEEPS9_SG_NS0_5tupleIJPjSI_NS0_16reverse_iteratorISI_EEEEENSH_IJSG_SG_SG_EEES9_SI_JZNS1_25segmented_radix_sort_implINS0_14default_configELb1EPKlPlSQ_SR_N2at6native12_GLOBAL__N_18offset_tEEE10hipError_tPvRmT1_PNSt15iterator_traitsISZ_E10value_typeET2_T3_PNS10_IS15_E10value_typeET4_jRbjT5_S1B_jjP12ihipStream_tbEUljE_ZNSN_ISO_Lb1ESQ_SR_SQ_SR_SV_EESW_SX_SY_SZ_S13_S14_S15_S18_S19_jS1A_jS1B_S1B_jjS1D_bEUljE0_EEESW_SX_SY_S15_S19_S1B_T6_T7_T9_mT8_S1D_bDpT10_ENKUlT_T0_E_clISt17integral_constantIbLb1EES1Q_IbLb0EEEEDaS1M_S1N_EUlS1M_E_NS1_11comp_targetILNS1_3genE8ELNS1_11target_archE1030ELNS1_3gpuE2ELNS1_3repE0EEENS1_30default_config_static_selectorELNS0_4arch9wavefront6targetE0EEEvSZ_.num_agpr, 0
	.set _ZN7rocprim17ROCPRIM_400000_NS6detail17trampoline_kernelINS0_13select_configILj256ELj13ELNS0_17block_load_methodE3ELS4_3ELS4_3ELNS0_20block_scan_algorithmE0ELj4294967295EEENS1_25partition_config_selectorILNS1_17partition_subalgoE4EjNS0_10empty_typeEbEEZZNS1_14partition_implILS8_4ELb0ES6_15HIP_vector_typeIjLj2EENS0_17counting_iteratorIjlEEPS9_SG_NS0_5tupleIJPjSI_NS0_16reverse_iteratorISI_EEEEENSH_IJSG_SG_SG_EEES9_SI_JZNS1_25segmented_radix_sort_implINS0_14default_configELb1EPKlPlSQ_SR_N2at6native12_GLOBAL__N_18offset_tEEE10hipError_tPvRmT1_PNSt15iterator_traitsISZ_E10value_typeET2_T3_PNS10_IS15_E10value_typeET4_jRbjT5_S1B_jjP12ihipStream_tbEUljE_ZNSN_ISO_Lb1ESQ_SR_SQ_SR_SV_EESW_SX_SY_SZ_S13_S14_S15_S18_S19_jS1A_jS1B_S1B_jjS1D_bEUljE0_EEESW_SX_SY_S15_S19_S1B_T6_T7_T9_mT8_S1D_bDpT10_ENKUlT_T0_E_clISt17integral_constantIbLb1EES1Q_IbLb0EEEEDaS1M_S1N_EUlS1M_E_NS1_11comp_targetILNS1_3genE8ELNS1_11target_archE1030ELNS1_3gpuE2ELNS1_3repE0EEENS1_30default_config_static_selectorELNS0_4arch9wavefront6targetE0EEEvSZ_.numbered_sgpr, 0
	.set _ZN7rocprim17ROCPRIM_400000_NS6detail17trampoline_kernelINS0_13select_configILj256ELj13ELNS0_17block_load_methodE3ELS4_3ELS4_3ELNS0_20block_scan_algorithmE0ELj4294967295EEENS1_25partition_config_selectorILNS1_17partition_subalgoE4EjNS0_10empty_typeEbEEZZNS1_14partition_implILS8_4ELb0ES6_15HIP_vector_typeIjLj2EENS0_17counting_iteratorIjlEEPS9_SG_NS0_5tupleIJPjSI_NS0_16reverse_iteratorISI_EEEEENSH_IJSG_SG_SG_EEES9_SI_JZNS1_25segmented_radix_sort_implINS0_14default_configELb1EPKlPlSQ_SR_N2at6native12_GLOBAL__N_18offset_tEEE10hipError_tPvRmT1_PNSt15iterator_traitsISZ_E10value_typeET2_T3_PNS10_IS15_E10value_typeET4_jRbjT5_S1B_jjP12ihipStream_tbEUljE_ZNSN_ISO_Lb1ESQ_SR_SQ_SR_SV_EESW_SX_SY_SZ_S13_S14_S15_S18_S19_jS1A_jS1B_S1B_jjS1D_bEUljE0_EEESW_SX_SY_S15_S19_S1B_T6_T7_T9_mT8_S1D_bDpT10_ENKUlT_T0_E_clISt17integral_constantIbLb1EES1Q_IbLb0EEEEDaS1M_S1N_EUlS1M_E_NS1_11comp_targetILNS1_3genE8ELNS1_11target_archE1030ELNS1_3gpuE2ELNS1_3repE0EEENS1_30default_config_static_selectorELNS0_4arch9wavefront6targetE0EEEvSZ_.num_named_barrier, 0
	.set _ZN7rocprim17ROCPRIM_400000_NS6detail17trampoline_kernelINS0_13select_configILj256ELj13ELNS0_17block_load_methodE3ELS4_3ELS4_3ELNS0_20block_scan_algorithmE0ELj4294967295EEENS1_25partition_config_selectorILNS1_17partition_subalgoE4EjNS0_10empty_typeEbEEZZNS1_14partition_implILS8_4ELb0ES6_15HIP_vector_typeIjLj2EENS0_17counting_iteratorIjlEEPS9_SG_NS0_5tupleIJPjSI_NS0_16reverse_iteratorISI_EEEEENSH_IJSG_SG_SG_EEES9_SI_JZNS1_25segmented_radix_sort_implINS0_14default_configELb1EPKlPlSQ_SR_N2at6native12_GLOBAL__N_18offset_tEEE10hipError_tPvRmT1_PNSt15iterator_traitsISZ_E10value_typeET2_T3_PNS10_IS15_E10value_typeET4_jRbjT5_S1B_jjP12ihipStream_tbEUljE_ZNSN_ISO_Lb1ESQ_SR_SQ_SR_SV_EESW_SX_SY_SZ_S13_S14_S15_S18_S19_jS1A_jS1B_S1B_jjS1D_bEUljE0_EEESW_SX_SY_S15_S19_S1B_T6_T7_T9_mT8_S1D_bDpT10_ENKUlT_T0_E_clISt17integral_constantIbLb1EES1Q_IbLb0EEEEDaS1M_S1N_EUlS1M_E_NS1_11comp_targetILNS1_3genE8ELNS1_11target_archE1030ELNS1_3gpuE2ELNS1_3repE0EEENS1_30default_config_static_selectorELNS0_4arch9wavefront6targetE0EEEvSZ_.private_seg_size, 0
	.set _ZN7rocprim17ROCPRIM_400000_NS6detail17trampoline_kernelINS0_13select_configILj256ELj13ELNS0_17block_load_methodE3ELS4_3ELS4_3ELNS0_20block_scan_algorithmE0ELj4294967295EEENS1_25partition_config_selectorILNS1_17partition_subalgoE4EjNS0_10empty_typeEbEEZZNS1_14partition_implILS8_4ELb0ES6_15HIP_vector_typeIjLj2EENS0_17counting_iteratorIjlEEPS9_SG_NS0_5tupleIJPjSI_NS0_16reverse_iteratorISI_EEEEENSH_IJSG_SG_SG_EEES9_SI_JZNS1_25segmented_radix_sort_implINS0_14default_configELb1EPKlPlSQ_SR_N2at6native12_GLOBAL__N_18offset_tEEE10hipError_tPvRmT1_PNSt15iterator_traitsISZ_E10value_typeET2_T3_PNS10_IS15_E10value_typeET4_jRbjT5_S1B_jjP12ihipStream_tbEUljE_ZNSN_ISO_Lb1ESQ_SR_SQ_SR_SV_EESW_SX_SY_SZ_S13_S14_S15_S18_S19_jS1A_jS1B_S1B_jjS1D_bEUljE0_EEESW_SX_SY_S15_S19_S1B_T6_T7_T9_mT8_S1D_bDpT10_ENKUlT_T0_E_clISt17integral_constantIbLb1EES1Q_IbLb0EEEEDaS1M_S1N_EUlS1M_E_NS1_11comp_targetILNS1_3genE8ELNS1_11target_archE1030ELNS1_3gpuE2ELNS1_3repE0EEENS1_30default_config_static_selectorELNS0_4arch9wavefront6targetE0EEEvSZ_.uses_vcc, 0
	.set _ZN7rocprim17ROCPRIM_400000_NS6detail17trampoline_kernelINS0_13select_configILj256ELj13ELNS0_17block_load_methodE3ELS4_3ELS4_3ELNS0_20block_scan_algorithmE0ELj4294967295EEENS1_25partition_config_selectorILNS1_17partition_subalgoE4EjNS0_10empty_typeEbEEZZNS1_14partition_implILS8_4ELb0ES6_15HIP_vector_typeIjLj2EENS0_17counting_iteratorIjlEEPS9_SG_NS0_5tupleIJPjSI_NS0_16reverse_iteratorISI_EEEEENSH_IJSG_SG_SG_EEES9_SI_JZNS1_25segmented_radix_sort_implINS0_14default_configELb1EPKlPlSQ_SR_N2at6native12_GLOBAL__N_18offset_tEEE10hipError_tPvRmT1_PNSt15iterator_traitsISZ_E10value_typeET2_T3_PNS10_IS15_E10value_typeET4_jRbjT5_S1B_jjP12ihipStream_tbEUljE_ZNSN_ISO_Lb1ESQ_SR_SQ_SR_SV_EESW_SX_SY_SZ_S13_S14_S15_S18_S19_jS1A_jS1B_S1B_jjS1D_bEUljE0_EEESW_SX_SY_S15_S19_S1B_T6_T7_T9_mT8_S1D_bDpT10_ENKUlT_T0_E_clISt17integral_constantIbLb1EES1Q_IbLb0EEEEDaS1M_S1N_EUlS1M_E_NS1_11comp_targetILNS1_3genE8ELNS1_11target_archE1030ELNS1_3gpuE2ELNS1_3repE0EEENS1_30default_config_static_selectorELNS0_4arch9wavefront6targetE0EEEvSZ_.uses_flat_scratch, 0
	.set _ZN7rocprim17ROCPRIM_400000_NS6detail17trampoline_kernelINS0_13select_configILj256ELj13ELNS0_17block_load_methodE3ELS4_3ELS4_3ELNS0_20block_scan_algorithmE0ELj4294967295EEENS1_25partition_config_selectorILNS1_17partition_subalgoE4EjNS0_10empty_typeEbEEZZNS1_14partition_implILS8_4ELb0ES6_15HIP_vector_typeIjLj2EENS0_17counting_iteratorIjlEEPS9_SG_NS0_5tupleIJPjSI_NS0_16reverse_iteratorISI_EEEEENSH_IJSG_SG_SG_EEES9_SI_JZNS1_25segmented_radix_sort_implINS0_14default_configELb1EPKlPlSQ_SR_N2at6native12_GLOBAL__N_18offset_tEEE10hipError_tPvRmT1_PNSt15iterator_traitsISZ_E10value_typeET2_T3_PNS10_IS15_E10value_typeET4_jRbjT5_S1B_jjP12ihipStream_tbEUljE_ZNSN_ISO_Lb1ESQ_SR_SQ_SR_SV_EESW_SX_SY_SZ_S13_S14_S15_S18_S19_jS1A_jS1B_S1B_jjS1D_bEUljE0_EEESW_SX_SY_S15_S19_S1B_T6_T7_T9_mT8_S1D_bDpT10_ENKUlT_T0_E_clISt17integral_constantIbLb1EES1Q_IbLb0EEEEDaS1M_S1N_EUlS1M_E_NS1_11comp_targetILNS1_3genE8ELNS1_11target_archE1030ELNS1_3gpuE2ELNS1_3repE0EEENS1_30default_config_static_selectorELNS0_4arch9wavefront6targetE0EEEvSZ_.has_dyn_sized_stack, 0
	.set _ZN7rocprim17ROCPRIM_400000_NS6detail17trampoline_kernelINS0_13select_configILj256ELj13ELNS0_17block_load_methodE3ELS4_3ELS4_3ELNS0_20block_scan_algorithmE0ELj4294967295EEENS1_25partition_config_selectorILNS1_17partition_subalgoE4EjNS0_10empty_typeEbEEZZNS1_14partition_implILS8_4ELb0ES6_15HIP_vector_typeIjLj2EENS0_17counting_iteratorIjlEEPS9_SG_NS0_5tupleIJPjSI_NS0_16reverse_iteratorISI_EEEEENSH_IJSG_SG_SG_EEES9_SI_JZNS1_25segmented_radix_sort_implINS0_14default_configELb1EPKlPlSQ_SR_N2at6native12_GLOBAL__N_18offset_tEEE10hipError_tPvRmT1_PNSt15iterator_traitsISZ_E10value_typeET2_T3_PNS10_IS15_E10value_typeET4_jRbjT5_S1B_jjP12ihipStream_tbEUljE_ZNSN_ISO_Lb1ESQ_SR_SQ_SR_SV_EESW_SX_SY_SZ_S13_S14_S15_S18_S19_jS1A_jS1B_S1B_jjS1D_bEUljE0_EEESW_SX_SY_S15_S19_S1B_T6_T7_T9_mT8_S1D_bDpT10_ENKUlT_T0_E_clISt17integral_constantIbLb1EES1Q_IbLb0EEEEDaS1M_S1N_EUlS1M_E_NS1_11comp_targetILNS1_3genE8ELNS1_11target_archE1030ELNS1_3gpuE2ELNS1_3repE0EEENS1_30default_config_static_selectorELNS0_4arch9wavefront6targetE0EEEvSZ_.has_recursion, 0
	.set _ZN7rocprim17ROCPRIM_400000_NS6detail17trampoline_kernelINS0_13select_configILj256ELj13ELNS0_17block_load_methodE3ELS4_3ELS4_3ELNS0_20block_scan_algorithmE0ELj4294967295EEENS1_25partition_config_selectorILNS1_17partition_subalgoE4EjNS0_10empty_typeEbEEZZNS1_14partition_implILS8_4ELb0ES6_15HIP_vector_typeIjLj2EENS0_17counting_iteratorIjlEEPS9_SG_NS0_5tupleIJPjSI_NS0_16reverse_iteratorISI_EEEEENSH_IJSG_SG_SG_EEES9_SI_JZNS1_25segmented_radix_sort_implINS0_14default_configELb1EPKlPlSQ_SR_N2at6native12_GLOBAL__N_18offset_tEEE10hipError_tPvRmT1_PNSt15iterator_traitsISZ_E10value_typeET2_T3_PNS10_IS15_E10value_typeET4_jRbjT5_S1B_jjP12ihipStream_tbEUljE_ZNSN_ISO_Lb1ESQ_SR_SQ_SR_SV_EESW_SX_SY_SZ_S13_S14_S15_S18_S19_jS1A_jS1B_S1B_jjS1D_bEUljE0_EEESW_SX_SY_S15_S19_S1B_T6_T7_T9_mT8_S1D_bDpT10_ENKUlT_T0_E_clISt17integral_constantIbLb1EES1Q_IbLb0EEEEDaS1M_S1N_EUlS1M_E_NS1_11comp_targetILNS1_3genE8ELNS1_11target_archE1030ELNS1_3gpuE2ELNS1_3repE0EEENS1_30default_config_static_selectorELNS0_4arch9wavefront6targetE0EEEvSZ_.has_indirect_call, 0
	.section	.AMDGPU.csdata,"",@progbits
; Kernel info:
; codeLenInByte = 0
; TotalNumSgprs: 0
; NumVgprs: 0
; ScratchSize: 0
; MemoryBound: 0
; FloatMode: 240
; IeeeMode: 1
; LDSByteSize: 0 bytes/workgroup (compile time only)
; SGPRBlocks: 0
; VGPRBlocks: 0
; NumSGPRsForWavesPerEU: 1
; NumVGPRsForWavesPerEU: 1
; NamedBarCnt: 0
; Occupancy: 16
; WaveLimiterHint : 0
; COMPUTE_PGM_RSRC2:SCRATCH_EN: 0
; COMPUTE_PGM_RSRC2:USER_SGPR: 2
; COMPUTE_PGM_RSRC2:TRAP_HANDLER: 0
; COMPUTE_PGM_RSRC2:TGID_X_EN: 1
; COMPUTE_PGM_RSRC2:TGID_Y_EN: 0
; COMPUTE_PGM_RSRC2:TGID_Z_EN: 0
; COMPUTE_PGM_RSRC2:TIDIG_COMP_CNT: 0
	.section	.text._ZN7rocprim17ROCPRIM_400000_NS6detail17trampoline_kernelINS0_13select_configILj256ELj13ELNS0_17block_load_methodE3ELS4_3ELS4_3ELNS0_20block_scan_algorithmE0ELj4294967295EEENS1_25partition_config_selectorILNS1_17partition_subalgoE4EjNS0_10empty_typeEbEEZZNS1_14partition_implILS8_4ELb0ES6_15HIP_vector_typeIjLj2EENS0_17counting_iteratorIjlEEPS9_SG_NS0_5tupleIJPjSI_NS0_16reverse_iteratorISI_EEEEENSH_IJSG_SG_SG_EEES9_SI_JZNS1_25segmented_radix_sort_implINS0_14default_configELb1EPKlPlSQ_SR_N2at6native12_GLOBAL__N_18offset_tEEE10hipError_tPvRmT1_PNSt15iterator_traitsISZ_E10value_typeET2_T3_PNS10_IS15_E10value_typeET4_jRbjT5_S1B_jjP12ihipStream_tbEUljE_ZNSN_ISO_Lb1ESQ_SR_SQ_SR_SV_EESW_SX_SY_SZ_S13_S14_S15_S18_S19_jS1A_jS1B_S1B_jjS1D_bEUljE0_EEESW_SX_SY_S15_S19_S1B_T6_T7_T9_mT8_S1D_bDpT10_ENKUlT_T0_E_clISt17integral_constantIbLb0EES1Q_IbLb1EEEEDaS1M_S1N_EUlS1M_E_NS1_11comp_targetILNS1_3genE0ELNS1_11target_archE4294967295ELNS1_3gpuE0ELNS1_3repE0EEENS1_30default_config_static_selectorELNS0_4arch9wavefront6targetE0EEEvSZ_,"axG",@progbits,_ZN7rocprim17ROCPRIM_400000_NS6detail17trampoline_kernelINS0_13select_configILj256ELj13ELNS0_17block_load_methodE3ELS4_3ELS4_3ELNS0_20block_scan_algorithmE0ELj4294967295EEENS1_25partition_config_selectorILNS1_17partition_subalgoE4EjNS0_10empty_typeEbEEZZNS1_14partition_implILS8_4ELb0ES6_15HIP_vector_typeIjLj2EENS0_17counting_iteratorIjlEEPS9_SG_NS0_5tupleIJPjSI_NS0_16reverse_iteratorISI_EEEEENSH_IJSG_SG_SG_EEES9_SI_JZNS1_25segmented_radix_sort_implINS0_14default_configELb1EPKlPlSQ_SR_N2at6native12_GLOBAL__N_18offset_tEEE10hipError_tPvRmT1_PNSt15iterator_traitsISZ_E10value_typeET2_T3_PNS10_IS15_E10value_typeET4_jRbjT5_S1B_jjP12ihipStream_tbEUljE_ZNSN_ISO_Lb1ESQ_SR_SQ_SR_SV_EESW_SX_SY_SZ_S13_S14_S15_S18_S19_jS1A_jS1B_S1B_jjS1D_bEUljE0_EEESW_SX_SY_S15_S19_S1B_T6_T7_T9_mT8_S1D_bDpT10_ENKUlT_T0_E_clISt17integral_constantIbLb0EES1Q_IbLb1EEEEDaS1M_S1N_EUlS1M_E_NS1_11comp_targetILNS1_3genE0ELNS1_11target_archE4294967295ELNS1_3gpuE0ELNS1_3repE0EEENS1_30default_config_static_selectorELNS0_4arch9wavefront6targetE0EEEvSZ_,comdat
	.globl	_ZN7rocprim17ROCPRIM_400000_NS6detail17trampoline_kernelINS0_13select_configILj256ELj13ELNS0_17block_load_methodE3ELS4_3ELS4_3ELNS0_20block_scan_algorithmE0ELj4294967295EEENS1_25partition_config_selectorILNS1_17partition_subalgoE4EjNS0_10empty_typeEbEEZZNS1_14partition_implILS8_4ELb0ES6_15HIP_vector_typeIjLj2EENS0_17counting_iteratorIjlEEPS9_SG_NS0_5tupleIJPjSI_NS0_16reverse_iteratorISI_EEEEENSH_IJSG_SG_SG_EEES9_SI_JZNS1_25segmented_radix_sort_implINS0_14default_configELb1EPKlPlSQ_SR_N2at6native12_GLOBAL__N_18offset_tEEE10hipError_tPvRmT1_PNSt15iterator_traitsISZ_E10value_typeET2_T3_PNS10_IS15_E10value_typeET4_jRbjT5_S1B_jjP12ihipStream_tbEUljE_ZNSN_ISO_Lb1ESQ_SR_SQ_SR_SV_EESW_SX_SY_SZ_S13_S14_S15_S18_S19_jS1A_jS1B_S1B_jjS1D_bEUljE0_EEESW_SX_SY_S15_S19_S1B_T6_T7_T9_mT8_S1D_bDpT10_ENKUlT_T0_E_clISt17integral_constantIbLb0EES1Q_IbLb1EEEEDaS1M_S1N_EUlS1M_E_NS1_11comp_targetILNS1_3genE0ELNS1_11target_archE4294967295ELNS1_3gpuE0ELNS1_3repE0EEENS1_30default_config_static_selectorELNS0_4arch9wavefront6targetE0EEEvSZ_ ; -- Begin function _ZN7rocprim17ROCPRIM_400000_NS6detail17trampoline_kernelINS0_13select_configILj256ELj13ELNS0_17block_load_methodE3ELS4_3ELS4_3ELNS0_20block_scan_algorithmE0ELj4294967295EEENS1_25partition_config_selectorILNS1_17partition_subalgoE4EjNS0_10empty_typeEbEEZZNS1_14partition_implILS8_4ELb0ES6_15HIP_vector_typeIjLj2EENS0_17counting_iteratorIjlEEPS9_SG_NS0_5tupleIJPjSI_NS0_16reverse_iteratorISI_EEEEENSH_IJSG_SG_SG_EEES9_SI_JZNS1_25segmented_radix_sort_implINS0_14default_configELb1EPKlPlSQ_SR_N2at6native12_GLOBAL__N_18offset_tEEE10hipError_tPvRmT1_PNSt15iterator_traitsISZ_E10value_typeET2_T3_PNS10_IS15_E10value_typeET4_jRbjT5_S1B_jjP12ihipStream_tbEUljE_ZNSN_ISO_Lb1ESQ_SR_SQ_SR_SV_EESW_SX_SY_SZ_S13_S14_S15_S18_S19_jS1A_jS1B_S1B_jjS1D_bEUljE0_EEESW_SX_SY_S15_S19_S1B_T6_T7_T9_mT8_S1D_bDpT10_ENKUlT_T0_E_clISt17integral_constantIbLb0EES1Q_IbLb1EEEEDaS1M_S1N_EUlS1M_E_NS1_11comp_targetILNS1_3genE0ELNS1_11target_archE4294967295ELNS1_3gpuE0ELNS1_3repE0EEENS1_30default_config_static_selectorELNS0_4arch9wavefront6targetE0EEEvSZ_
	.p2align	8
	.type	_ZN7rocprim17ROCPRIM_400000_NS6detail17trampoline_kernelINS0_13select_configILj256ELj13ELNS0_17block_load_methodE3ELS4_3ELS4_3ELNS0_20block_scan_algorithmE0ELj4294967295EEENS1_25partition_config_selectorILNS1_17partition_subalgoE4EjNS0_10empty_typeEbEEZZNS1_14partition_implILS8_4ELb0ES6_15HIP_vector_typeIjLj2EENS0_17counting_iteratorIjlEEPS9_SG_NS0_5tupleIJPjSI_NS0_16reverse_iteratorISI_EEEEENSH_IJSG_SG_SG_EEES9_SI_JZNS1_25segmented_radix_sort_implINS0_14default_configELb1EPKlPlSQ_SR_N2at6native12_GLOBAL__N_18offset_tEEE10hipError_tPvRmT1_PNSt15iterator_traitsISZ_E10value_typeET2_T3_PNS10_IS15_E10value_typeET4_jRbjT5_S1B_jjP12ihipStream_tbEUljE_ZNSN_ISO_Lb1ESQ_SR_SQ_SR_SV_EESW_SX_SY_SZ_S13_S14_S15_S18_S19_jS1A_jS1B_S1B_jjS1D_bEUljE0_EEESW_SX_SY_S15_S19_S1B_T6_T7_T9_mT8_S1D_bDpT10_ENKUlT_T0_E_clISt17integral_constantIbLb0EES1Q_IbLb1EEEEDaS1M_S1N_EUlS1M_E_NS1_11comp_targetILNS1_3genE0ELNS1_11target_archE4294967295ELNS1_3gpuE0ELNS1_3repE0EEENS1_30default_config_static_selectorELNS0_4arch9wavefront6targetE0EEEvSZ_,@function
_ZN7rocprim17ROCPRIM_400000_NS6detail17trampoline_kernelINS0_13select_configILj256ELj13ELNS0_17block_load_methodE3ELS4_3ELS4_3ELNS0_20block_scan_algorithmE0ELj4294967295EEENS1_25partition_config_selectorILNS1_17partition_subalgoE4EjNS0_10empty_typeEbEEZZNS1_14partition_implILS8_4ELb0ES6_15HIP_vector_typeIjLj2EENS0_17counting_iteratorIjlEEPS9_SG_NS0_5tupleIJPjSI_NS0_16reverse_iteratorISI_EEEEENSH_IJSG_SG_SG_EEES9_SI_JZNS1_25segmented_radix_sort_implINS0_14default_configELb1EPKlPlSQ_SR_N2at6native12_GLOBAL__N_18offset_tEEE10hipError_tPvRmT1_PNSt15iterator_traitsISZ_E10value_typeET2_T3_PNS10_IS15_E10value_typeET4_jRbjT5_S1B_jjP12ihipStream_tbEUljE_ZNSN_ISO_Lb1ESQ_SR_SQ_SR_SV_EESW_SX_SY_SZ_S13_S14_S15_S18_S19_jS1A_jS1B_S1B_jjS1D_bEUljE0_EEESW_SX_SY_S15_S19_S1B_T6_T7_T9_mT8_S1D_bDpT10_ENKUlT_T0_E_clISt17integral_constantIbLb0EES1Q_IbLb1EEEEDaS1M_S1N_EUlS1M_E_NS1_11comp_targetILNS1_3genE0ELNS1_11target_archE4294967295ELNS1_3gpuE0ELNS1_3repE0EEENS1_30default_config_static_selectorELNS0_4arch9wavefront6targetE0EEEvSZ_: ; @_ZN7rocprim17ROCPRIM_400000_NS6detail17trampoline_kernelINS0_13select_configILj256ELj13ELNS0_17block_load_methodE3ELS4_3ELS4_3ELNS0_20block_scan_algorithmE0ELj4294967295EEENS1_25partition_config_selectorILNS1_17partition_subalgoE4EjNS0_10empty_typeEbEEZZNS1_14partition_implILS8_4ELb0ES6_15HIP_vector_typeIjLj2EENS0_17counting_iteratorIjlEEPS9_SG_NS0_5tupleIJPjSI_NS0_16reverse_iteratorISI_EEEEENSH_IJSG_SG_SG_EEES9_SI_JZNS1_25segmented_radix_sort_implINS0_14default_configELb1EPKlPlSQ_SR_N2at6native12_GLOBAL__N_18offset_tEEE10hipError_tPvRmT1_PNSt15iterator_traitsISZ_E10value_typeET2_T3_PNS10_IS15_E10value_typeET4_jRbjT5_S1B_jjP12ihipStream_tbEUljE_ZNSN_ISO_Lb1ESQ_SR_SQ_SR_SV_EESW_SX_SY_SZ_S13_S14_S15_S18_S19_jS1A_jS1B_S1B_jjS1D_bEUljE0_EEESW_SX_SY_S15_S19_S1B_T6_T7_T9_mT8_S1D_bDpT10_ENKUlT_T0_E_clISt17integral_constantIbLb0EES1Q_IbLb1EEEEDaS1M_S1N_EUlS1M_E_NS1_11comp_targetILNS1_3genE0ELNS1_11target_archE4294967295ELNS1_3gpuE0ELNS1_3repE0EEENS1_30default_config_static_selectorELNS0_4arch9wavefront6targetE0EEEvSZ_
; %bb.0:
	s_clause 0x7
	s_load_b64 s[34:35], s[0:1], 0x10
	s_load_b128 s[28:31], s[0:1], 0x28
	s_load_b64 s[14:15], s[0:1], 0x38
	s_load_b128 s[24:27], s[0:1], 0x58
	s_load_b64 s[4:5], s[0:1], 0x68
	s_load_b64 s[36:37], s[0:1], 0x78
	;; [unrolled: 1-line block ×3, first 2 shown]
	s_load_b256 s[16:23], s[0:1], 0x90
	v_cmp_eq_u32_e64 s2, 0, v0
	s_and_saveexec_b32 s3, s2
	s_cbranch_execz .LBB660_4
; %bb.1:
	s_mov_b32 s7, exec_lo
	s_mov_b32 s6, exec_lo
	v_mbcnt_lo_u32_b32 v1, s7, 0
                                        ; implicit-def: $vgpr2
	s_delay_alu instid0(VALU_DEP_1)
	v_cmpx_eq_u32_e32 0, v1
	s_cbranch_execz .LBB660_3
; %bb.2:
	s_load_b64 s[8:9], s[0:1], 0x88
	s_bcnt1_i32_b32 s7, s7
	s_delay_alu instid0(SALU_CYCLE_1)
	v_dual_mov_b32 v2, 0 :: v_dual_mov_b32 v3, s7
	s_wait_xcnt 0x0
	s_wait_kmcnt 0x0
	global_atomic_add_u32 v2, v2, v3, s[8:9] th:TH_ATOMIC_RETURN scope:SCOPE_DEV
.LBB660_3:
	s_wait_xcnt 0x0
	s_or_b32 exec_lo, exec_lo, s6
	s_wait_loadcnt 0x0
	v_readfirstlane_b32 s6, v2
	s_delay_alu instid0(VALU_DEP_1)
	v_dual_mov_b32 v2, 0 :: v_dual_add_nc_u32 v1, s6, v1
	ds_store_b32 v2, v1
.LBB660_4:
	s_or_b32 exec_lo, exec_lo, s3
	v_mov_b32_e32 v1, 0
	s_clause 0x1
	s_load_b32 s3, s[0:1], 0x8
	s_load_b32 s6, s[0:1], 0x80
	s_wait_dscnt 0x0
	s_barrier_signal -1
	s_barrier_wait -1
	ds_load_b32 v6, v1
	s_wait_dscnt 0x0
	s_barrier_signal -1
	s_barrier_wait -1
	s_wait_kmcnt 0x0
	global_load_b128 v[2:5], v1, s[26:27]
	s_mov_b32 s1, 0
	s_add_co_i32 s3, s3, s34
	s_mul_i32 s0, s6, 0xd00
	s_add_co_i32 s6, s6, -1
	s_add_nc_u64 s[8:9], s[34:35], s[0:1]
	s_delay_alu instid0(SALU_CYCLE_1)
	v_cmp_gt_u64_e64 s1, s[4:5], s[8:9]
	v_mul_lo_u32 v14, 0xd00, v6
	s_wait_xcnt 0x0
	v_readfirstlane_b32 s27, v6
	v_cmp_ne_u32_e32 vcc_lo, s6, v6
	s_cmp_eq_u32 s27, s6
	s_cselect_b32 s26, -1, 0
	s_or_b32 s1, s1, vcc_lo
	v_add3_u32 v1, v14, s3, v0
	s_and_b32 vcc_lo, exec_lo, s1
	s_mov_b32 s3, -1
	s_delay_alu instid0(VALU_DEP_1)
	v_add_nc_u32_e32 v6, 0x100, v1
	v_add_nc_u32_e32 v7, 0x200, v1
	;; [unrolled: 1-line block ×12, first 2 shown]
	s_cbranch_vccz .LBB660_6
; %bb.5:
	v_lshlrev_b32_e32 v19, 2, v0
	s_mov_b32 s3, 0
	ds_store_2addr_stride64_b32 v19, v1, v6 offset1:4
	ds_store_2addr_stride64_b32 v19, v7, v8 offset0:8 offset1:12
	ds_store_2addr_stride64_b32 v19, v9, v10 offset0:16 offset1:20
	;; [unrolled: 1-line block ×5, first 2 shown]
	ds_store_b32 v19, v18 offset:12288
	s_wait_loadcnt_dscnt 0x0
	s_barrier_signal -1
	s_barrier_wait -1
.LBB660_6:
	s_and_not1_b32 vcc_lo, exec_lo, s3
	s_add_co_i32 s0, s0, s34
	s_cbranch_vccnz .LBB660_8
; %bb.7:
	v_lshlrev_b32_e32 v19, 2, v0
	ds_store_2addr_stride64_b32 v19, v1, v6 offset1:4
	ds_store_2addr_stride64_b32 v19, v7, v8 offset0:8 offset1:12
	ds_store_2addr_stride64_b32 v19, v9, v10 offset0:16 offset1:20
	;; [unrolled: 1-line block ×5, first 2 shown]
	ds_store_b32 v19, v18 offset:12288
	s_wait_loadcnt_dscnt 0x0
	s_barrier_signal -1
	s_barrier_wait -1
.LBB660_8:
	v_mul_u32_u24_e32 v15, 13, v0
	s_wait_loadcnt 0x0
	v_cndmask_b32_e64 v35, 0, 1, s1
	s_sub_co_i32 s33, s4, s0
	s_and_not1_b32 vcc_lo, exec_lo, s1
	v_lshlrev_b32_e32 v1, 2, v15
	ds_load_b32 v34, v1 offset:48
	ds_load_2addr_b32 v[16:17], v1 offset0:10 offset1:11
	ds_load_2addr_b32 v[18:19], v1 offset0:8 offset1:9
	;; [unrolled: 1-line block ×4, first 2 shown]
	ds_load_2addr_b32 v[26:27], v1 offset1:1
	ds_load_2addr_b32 v[24:25], v1 offset0:2 offset1:3
	s_wait_dscnt 0x0
	s_barrier_signal -1
	s_barrier_wait -1
	s_cbranch_vccnz .LBB660_36
; %bb.9:
	v_dual_add_nc_u32 v1, s17, v26 :: v_dual_add_nc_u32 v6, s19, v26
	s_mov_b32 s41, 0
	s_mov_b32 s40, 0
	s_mov_b32 s1, exec_lo
	s_delay_alu instid0(VALU_DEP_1) | instskip(SKIP_1) | instid1(VALU_DEP_1)
	v_mul_lo_u32 v1, v1, s16
	v_mul_lo_u32 v6, v6, s18
	v_sub_nc_u32_e32 v1, v1, v6
	s_delay_alu instid0(VALU_DEP_1)
	v_cmp_lt_u32_e32 vcc_lo, s20, v1
	v_cmpx_ge_u32_e64 s20, v1
	s_cbranch_execz .LBB660_11
; %bb.10:
	v_dual_add_nc_u32 v1, s22, v26 :: v_dual_add_nc_u32 v6, s38, v26
	s_delay_alu instid0(VALU_DEP_1) | instskip(NEXT) | instid1(VALU_DEP_2)
	v_mul_lo_u32 v1, v1, s21
	v_mul_lo_u32 v6, v6, s23
	s_delay_alu instid0(VALU_DEP_1) | instskip(NEXT) | instid1(VALU_DEP_1)
	v_sub_nc_u32_e32 v1, v1, v6
	v_cmp_lt_u32_e64 s0, s39, v1
	s_and_b32 s40, s0, exec_lo
.LBB660_11:
	s_or_b32 exec_lo, exec_lo, s1
	v_dual_add_nc_u32 v1, s17, v27 :: v_dual_add_nc_u32 v6, s19, v27
	s_mov_b32 s3, exec_lo
	s_delay_alu instid0(VALU_DEP_1) | instskip(NEXT) | instid1(VALU_DEP_2)
	v_mul_lo_u32 v1, v1, s16
	v_mul_lo_u32 v6, v6, s18
	s_delay_alu instid0(VALU_DEP_1) | instskip(NEXT) | instid1(VALU_DEP_1)
	v_sub_nc_u32_e32 v1, v1, v6
	v_cmp_lt_u32_e64 s0, s20, v1
	v_cmpx_ge_u32_e64 s20, v1
	s_cbranch_execz .LBB660_13
; %bb.12:
	v_dual_add_nc_u32 v1, s22, v27 :: v_dual_add_nc_u32 v6, s38, v27
	s_delay_alu instid0(VALU_DEP_1) | instskip(NEXT) | instid1(VALU_DEP_2)
	v_mul_lo_u32 v1, v1, s21
	v_mul_lo_u32 v6, v6, s23
	s_delay_alu instid0(VALU_DEP_1) | instskip(NEXT) | instid1(VALU_DEP_1)
	v_sub_nc_u32_e32 v1, v1, v6
	v_cmp_lt_u32_e64 s1, s39, v1
	s_and_b32 s41, s1, exec_lo
.LBB660_13:
	s_or_b32 exec_lo, exec_lo, s3
	v_dual_add_nc_u32 v1, s17, v24 :: v_dual_add_nc_u32 v6, s19, v24
	s_mov_b32 s43, 0
	s_mov_b32 s42, 0
	s_mov_b32 s4, exec_lo
	s_delay_alu instid0(VALU_DEP_1) | instskip(SKIP_1) | instid1(VALU_DEP_1)
	v_mul_lo_u32 v1, v1, s16
	v_mul_lo_u32 v6, v6, s18
	v_sub_nc_u32_e32 v1, v1, v6
	s_delay_alu instid0(VALU_DEP_1)
	v_cmp_lt_u32_e64 s1, s20, v1
	v_cmpx_ge_u32_e64 s20, v1
	s_cbranch_execz .LBB660_15
; %bb.14:
	v_dual_add_nc_u32 v1, s22, v24 :: v_dual_add_nc_u32 v6, s38, v24
	s_delay_alu instid0(VALU_DEP_1) | instskip(NEXT) | instid1(VALU_DEP_2)
	v_mul_lo_u32 v1, v1, s21
	v_mul_lo_u32 v6, v6, s23
	s_delay_alu instid0(VALU_DEP_1) | instskip(NEXT) | instid1(VALU_DEP_1)
	v_sub_nc_u32_e32 v1, v1, v6
	v_cmp_lt_u32_e64 s3, s39, v1
	s_and_b32 s42, s3, exec_lo
.LBB660_15:
	s_or_b32 exec_lo, exec_lo, s4
	v_dual_add_nc_u32 v1, s17, v25 :: v_dual_add_nc_u32 v6, s19, v25
	s_mov_b32 s5, exec_lo
	s_delay_alu instid0(VALU_DEP_1) | instskip(NEXT) | instid1(VALU_DEP_2)
	v_mul_lo_u32 v1, v1, s16
	v_mul_lo_u32 v6, v6, s18
	s_delay_alu instid0(VALU_DEP_1) | instskip(NEXT) | instid1(VALU_DEP_1)
	v_sub_nc_u32_e32 v1, v1, v6
	v_cmp_lt_u32_e64 s3, s20, v1
	v_cmpx_ge_u32_e64 s20, v1
	s_cbranch_execz .LBB660_17
; %bb.16:
	v_dual_add_nc_u32 v1, s22, v25 :: v_dual_add_nc_u32 v6, s38, v25
	s_delay_alu instid0(VALU_DEP_1) | instskip(NEXT) | instid1(VALU_DEP_2)
	v_mul_lo_u32 v1, v1, s21
	v_mul_lo_u32 v6, v6, s23
	s_delay_alu instid0(VALU_DEP_1) | instskip(NEXT) | instid1(VALU_DEP_1)
	v_sub_nc_u32_e32 v1, v1, v6
	v_cmp_lt_u32_e64 s4, s39, v1
	s_and_b32 s43, s4, exec_lo
.LBB660_17:
	s_or_b32 exec_lo, exec_lo, s5
	v_dual_add_nc_u32 v1, s17, v22 :: v_dual_add_nc_u32 v6, s19, v22
	s_mov_b32 s45, 0
	s_mov_b32 s44, 0
	s_mov_b32 s6, exec_lo
	s_delay_alu instid0(VALU_DEP_1) | instskip(SKIP_1) | instid1(VALU_DEP_1)
	v_mul_lo_u32 v1, v1, s16
	v_mul_lo_u32 v6, v6, s18
	v_sub_nc_u32_e32 v1, v1, v6
	s_delay_alu instid0(VALU_DEP_1)
	v_cmp_lt_u32_e64 s4, s20, v1
	;; [unrolled: 44-line block ×6, first 2 shown]
	v_cmpx_ge_u32_e64 s20, v1
	s_cbranch_execz .LBB660_35
; %bb.34:
	v_dual_add_nc_u32 v1, s22, v34 :: v_dual_add_nc_u32 v6, s38, v34
	s_delay_alu instid0(VALU_DEP_1) | instskip(NEXT) | instid1(VALU_DEP_2)
	v_mul_lo_u32 v1, v1, s21
	v_mul_lo_u32 v6, v6, s23
	s_delay_alu instid0(VALU_DEP_1) | instskip(NEXT) | instid1(VALU_DEP_1)
	v_sub_nc_u32_e32 v1, v1, v6
	v_cmp_lt_u32_e64 s13, s39, v1
	s_and_b32 s53, s13, exec_lo
.LBB660_35:
	s_or_b32 exec_lo, exec_lo, s54
	v_cndmask_b32_e64 v6, 0, 1, s0
	v_cndmask_b32_e64 v8, 0, 1, s3
	v_cndmask_b32_e64 v1, 0, 1, vcc_lo
	v_cndmask_b32_e64 v7, 0, 1, s1
	v_cndmask_b32_e64 v10, 0, 1, s5
	v_lshlrev_b16 v6, 8, v6
	v_lshlrev_b16 v8, 8, v8
	v_cndmask_b32_e64 v12, 0, 1, s7
	v_cndmask_b32_e64 v28, 0, 1, s9
	;; [unrolled: 1-line block ×3, first 2 shown]
	v_or_b32_e32 v1, v1, v6
	v_or_b32_e32 v6, v7, v8
	v_cndmask_b32_e64 v8, 0, 1, s42
	v_cndmask_b32_e64 v9, 0, 1, s4
	;; [unrolled: 1-line block ×4, first 2 shown]
	v_lshlrev_b32_e32 v6, 16, v6
	v_and_b32_e32 v1, 0xffff, v1
	v_cndmask_b32_e64 v38, 0, 1, s46
	v_cndmask_b32_e64 v41, 0, 1, s44
	;; [unrolled: 1-line block ×4, first 2 shown]
	v_or_b32_e32 v36, v1, v6
	v_lshlrev_b16 v1, 8, v10
	v_lshlrev_b16 v6, 8, v12
	;; [unrolled: 1-line block ×5, first 2 shown]
	v_cndmask_b32_e64 v11, 0, 1, s6
	v_cndmask_b32_e64 v30, 0, 1, s52
	;; [unrolled: 1-line block ×6, first 2 shown]
	v_lshlrev_b16 v28, 8, v44
	v_or_b32_e32 v8, v42, v8
	v_or_b32_e32 v1, v9, v1
	;; [unrolled: 1-line block ×4, first 2 shown]
	v_lshlrev_b16 v12, 8, v41
	v_lshlrev_b16 v13, 8, v38
	v_cndmask_b32_e64 v32, 0, 1, s50
	v_cndmask_b32_e64 v37, 0, 1, s47
	v_lshlrev_b16 v29, 8, v30
	v_or_b32_e32 v7, v7, v12
	v_or_b32_e32 v12, v40, v13
	;; [unrolled: 1-line block ×4, first 2 shown]
	v_lshlrev_b16 v28, 8, v33
	v_dual_lshlrev_b32 v10, 16, v10 :: v_dual_lshlrev_b32 v8, 16, v8
	v_and_b32_e32 v1, 0xffff, v1
	s_delay_alu instid0(VALU_DEP_4) | instskip(NEXT) | instid1(VALU_DEP_4)
	v_and_b32_e32 v11, 0xffff, v11
	v_or_b32_e32 v13, v37, v28
	v_or_b32_e32 v28, v32, v29
	v_and_b32_e32 v7, 0xffff, v7
	v_dual_lshlrev_b32 v12, 16, v12 :: v_dual_lshlrev_b32 v6, 16, v6
	s_delay_alu instid0(VALU_DEP_4) | instskip(NEXT) | instid1(VALU_DEP_4)
	v_and_b32_e32 v13, 0xffff, v13
	v_lshlrev_b32_e32 v28, 16, v28
	v_and_b32_e32 v9, 0xffff, v9
	v_cndmask_b32_e64 v39, 0, 1, s51
	v_cndmask_b32_e64 v43, 0, 1, s53
	v_or_b32_e32 v38, v1, v6
	v_or_b32_e32 v42, v11, v8
	v_or_b32_e32 v41, v9, v10
	v_or_b32_e32 v37, v7, v12
	v_or_b32_e32 v40, v13, v28
	s_and_b32 vcc_lo, exec_lo, s48
	s_add_co_i32 s5, s33, 0xd00
	s_cbranch_vccnz .LBB660_37
	s_branch .LBB660_114
.LBB660_36:
                                        ; implicit-def: $vgpr43
                                        ; implicit-def: $vgpr39
                                        ; implicit-def: $vgpr40
                                        ; implicit-def: $vgpr37
                                        ; implicit-def: $vgpr42
                                        ; implicit-def: $vgpr41
                                        ; implicit-def: $vgpr38
                                        ; implicit-def: $vgpr36
	s_add_co_i32 s5, s33, 0xd00
	s_cbranch_execz .LBB660_114
.LBB660_37:
	v_dual_mov_b32 v6, 0 :: v_dual_mov_b32 v1, 0
	s_mov_b32 s1, exec_lo
	v_cmpx_gt_u32_e64 s5, v15
	s_cbranch_execz .LBB660_41
; %bb.38:
	v_dual_add_nc_u32 v1, s17, v26 :: v_dual_add_nc_u32 v6, s19, v26
	s_mov_b32 s4, 0
	s_mov_b32 s3, exec_lo
	s_delay_alu instid0(VALU_DEP_1) | instskip(NEXT) | instid1(VALU_DEP_2)
	v_mul_lo_u32 v1, v1, s16
	v_mul_lo_u32 v6, v6, s18
	s_delay_alu instid0(VALU_DEP_1) | instskip(NEXT) | instid1(VALU_DEP_1)
	v_sub_nc_u32_e32 v1, v1, v6
	v_cmp_lt_u32_e32 vcc_lo, s20, v1
	v_cmpx_ge_u32_e64 s20, v1
	s_cbranch_execz .LBB660_40
; %bb.39:
	v_dual_add_nc_u32 v1, s22, v26 :: v_dual_add_nc_u32 v6, s38, v26
	s_delay_alu instid0(VALU_DEP_1) | instskip(NEXT) | instid1(VALU_DEP_2)
	v_mul_lo_u32 v1, v1, s21
	v_mul_lo_u32 v6, v6, s23
	s_delay_alu instid0(VALU_DEP_1) | instskip(NEXT) | instid1(VALU_DEP_1)
	v_sub_nc_u32_e32 v1, v1, v6
	v_cmp_lt_u32_e64 s0, s39, v1
	s_and_b32 s4, s0, exec_lo
.LBB660_40:
	s_or_b32 exec_lo, exec_lo, s3
	v_cndmask_b32_e64 v6, 0, 1, s4
	v_cndmask_b32_e64 v1, 0, 1, vcc_lo
.LBB660_41:
	s_or_b32 exec_lo, exec_lo, s1
	s_delay_alu instid0(VALU_DEP_2) | instskip(SKIP_1) | instid1(VALU_DEP_2)
	v_lshlrev_b16 v6, 8, v6
	v_lshlrev_b16 v13, 8, 0
                                        ; implicit-def: $vgpr9
                                        ; implicit-def: $vgpr11
                                        ; implicit-def: $vgpr8
                                        ; implicit-def: $vgpr12
	v_and_b32_e32 v10, 0xffff, v6
	v_add_nc_u32_e32 v7, 1, v15
                                        ; implicit-def: $vgpr6
	s_delay_alu instid0(VALU_DEP_2) | instskip(NEXT) | instid1(VALU_DEP_2)
	v_lshrrev_b32_e32 v28, 8, v10
	v_cmp_le_u32_e32 vcc_lo, s5, v7
                                        ; implicit-def: $vgpr7
	s_and_saveexec_b32 s0, vcc_lo
	s_delay_alu instid0(SALU_CYCLE_1)
	s_xor_b32 s0, exec_lo, s0
	s_cbranch_execz .LBB660_43
; %bb.42:
	v_lshlrev_b16 v6, 8, v28
	v_bitop3_b16 v7, 0, v13, 0xff bitop3:0xec
	v_and_b32_e32 v12, 0xff, v1
                                        ; implicit-def: $vgpr1
                                        ; implicit-def: $vgpr13
                                        ; implicit-def: $vgpr28
	v_mov_b32_e32 v9, 0
	s_delay_alu instid0(VALU_DEP_4) | instskip(SKIP_3) | instid1(VALU_DEP_4)
	v_bitop3_b16 v10, v10, v6, 0xff bitop3:0xec
	v_mov_b32_e32 v6, 0
	v_and_b32_e32 v8, 0xffff, v7
	v_and_b32_e32 v7, 0xffff, v7
	;; [unrolled: 1-line block ×3, first 2 shown]
                                        ; implicit-def: $vgpr10
.LBB660_43:
	s_and_not1_saveexec_b32 s1, s0
	s_cbranch_execz .LBB660_47
; %bb.44:
	v_dual_add_nc_u32 v6, s17, v27 :: v_dual_add_nc_u32 v7, s19, v27
	s_mov_b32 s3, 0
	s_mov_b32 s4, exec_lo
	s_delay_alu instid0(VALU_DEP_1) | instskip(NEXT) | instid1(VALU_DEP_2)
	v_mul_lo_u32 v6, v6, s16
	v_mul_lo_u32 v7, v7, s18
	s_delay_alu instid0(VALU_DEP_1) | instskip(NEXT) | instid1(VALU_DEP_1)
	v_sub_nc_u32_e32 v6, v6, v7
	v_cmp_lt_u32_e32 vcc_lo, s20, v6
	v_cmpx_ge_u32_e64 s20, v6
	s_cbranch_execz .LBB660_46
; %bb.45:
	v_dual_add_nc_u32 v6, s22, v27 :: v_dual_add_nc_u32 v7, s38, v27
	s_delay_alu instid0(VALU_DEP_1) | instskip(NEXT) | instid1(VALU_DEP_2)
	v_mul_lo_u32 v6, v6, s21
	v_mul_lo_u32 v7, v7, s23
	s_delay_alu instid0(VALU_DEP_1) | instskip(NEXT) | instid1(VALU_DEP_1)
	v_sub_nc_u32_e32 v6, v6, v7
	v_cmp_lt_u32_e64 s0, s39, v6
	s_and_b32 s3, s0, exec_lo
.LBB660_46:
	s_or_b32 exec_lo, exec_lo, s4
	v_cndmask_b32_e64 v6, 0, 1, vcc_lo
	v_lshlrev_b16 v7, 8, v28
	v_cndmask_b32_e64 v11, 0, 1, s3
	v_mov_b32_e32 v9, 0
	s_delay_alu instid0(VALU_DEP_4) | instskip(NEXT) | instid1(VALU_DEP_4)
	v_lshlrev_b16 v6, 8, v6
	v_bitop3_b16 v7, v10, v7, 0xff bitop3:0xec
	v_bitop3_b16 v10, 0, v13, 0xff bitop3:0xec
	s_delay_alu instid0(VALU_DEP_3) | instskip(NEXT) | instid1(VALU_DEP_3)
	v_bitop3_b16 v1, v1, v6, 0xff bitop3:0xec
	v_and_b32_e32 v7, 0xffff, v7
	v_mov_b32_e32 v6, 0
	s_delay_alu instid0(VALU_DEP_4) | instskip(NEXT) | instid1(VALU_DEP_4)
	v_and_b32_e32 v8, 0xffff, v10
	v_and_b32_e32 v12, 0xffff, v1
	s_delay_alu instid0(VALU_DEP_4)
	v_lshl_or_b32 v11, v11, 16, v7
	v_and_b32_e32 v7, 0xffff, v10
.LBB660_47:
	s_or_b32 exec_lo, exec_lo, s1
	s_delay_alu instid0(VALU_DEP_3) | instskip(NEXT) | instid1(VALU_DEP_1)
	v_dual_add_nc_u32 v1, 2, v15 :: v_dual_lshrrev_b32 v13, 8, v12
                                        ; implicit-def: $vgpr10
	v_cmp_le_u32_e32 vcc_lo, s5, v1
                                        ; implicit-def: $vgpr1
	s_and_saveexec_b32 s0, vcc_lo
	s_delay_alu instid0(SALU_CYCLE_1)
	s_xor_b32 s0, exec_lo, s0
	s_cbranch_execz .LBB660_49
; %bb.48:
	v_lshlrev_b16 v1, 8, v13
	v_and_b32_e32 v13, 0xff0000, v11
	v_perm_b32 v8, v8, v8, 0x3060504
	s_delay_alu instid0(VALU_DEP_3) | instskip(NEXT) | instid1(VALU_DEP_1)
	v_bitop3_b16 v1, v12, v1, 0xff bitop3:0xec
	v_and_b32_e32 v1, 0xffff, v1
	s_delay_alu instid0(VALU_DEP_1)
	v_and_or_b32 v10, 0xff000000, v12, v1
	v_perm_b32 v1, v11, v13, 0x3020504
                                        ; implicit-def: $vgpr13
                                        ; implicit-def: $vgpr12
                                        ; implicit-def: $vgpr11
.LBB660_49:
	s_and_not1_saveexec_b32 s1, s0
	s_cbranch_execz .LBB660_53
; %bb.50:
	v_dual_add_nc_u32 v1, s17, v24 :: v_dual_add_nc_u32 v10, s19, v24
	s_mov_b32 s3, 0
	s_mov_b32 s4, exec_lo
	s_delay_alu instid0(VALU_DEP_1) | instskip(NEXT) | instid1(VALU_DEP_2)
	v_mul_lo_u32 v1, v1, s16
	v_mul_lo_u32 v10, v10, s18
	s_delay_alu instid0(VALU_DEP_1) | instskip(NEXT) | instid1(VALU_DEP_1)
	v_sub_nc_u32_e32 v1, v1, v10
	v_cmp_lt_u32_e32 vcc_lo, s20, v1
	v_cmpx_ge_u32_e64 s20, v1
	s_cbranch_execz .LBB660_52
; %bb.51:
	v_dual_add_nc_u32 v1, s22, v24 :: v_dual_add_nc_u32 v10, s38, v24
	s_delay_alu instid0(VALU_DEP_1) | instskip(NEXT) | instid1(VALU_DEP_2)
	v_mul_lo_u32 v1, v1, s21
	v_mul_lo_u32 v10, v10, s23
	s_delay_alu instid0(VALU_DEP_1) | instskip(NEXT) | instid1(VALU_DEP_1)
	v_sub_nc_u32_e32 v1, v1, v10
	v_cmp_lt_u32_e64 s0, s39, v1
	s_and_b32 s3, s0, exec_lo
.LBB660_52:
	s_or_b32 exec_lo, exec_lo, s4
	v_dual_lshrrev_b32 v1, 24, v12 :: v_dual_lshrrev_b32 v29, 8, v11
	v_cndmask_b32_e64 v10, 0, 1, s3
	v_cndmask_b32_e64 v28, 0, 1, vcc_lo
	v_lshlrev_b16 v13, 8, v13
	s_delay_alu instid0(VALU_DEP_4)
	v_lshlrev_b16 v1, 8, v1
	v_lshrrev_b32_e32 v30, 16, v11
	v_lshlrev_b16 v10, 8, v10
	v_lshlrev_b16 v29, 8, v29
	v_bitop3_b16 v12, v12, v13, 0xff bitop3:0xec
	v_or_b32_e32 v1, v28, v1
	s_delay_alu instid0(VALU_DEP_4) | instskip(NEXT) | instid1(VALU_DEP_4)
	v_bitop3_b16 v10, v30, v10, 0xff bitop3:0xec
	v_bitop3_b16 v11, v11, v29, 0xff bitop3:0xec
	s_delay_alu instid0(VALU_DEP_4) | instskip(NEXT) | instid1(VALU_DEP_3)
	v_and_b32_e32 v12, 0xffff, v12
	v_dual_lshlrev_b32 v1, 16, v1 :: v_dual_lshlrev_b32 v13, 16, v10
	s_delay_alu instid0(VALU_DEP_3) | instskip(NEXT) | instid1(VALU_DEP_2)
	v_and_b32_e32 v11, 0xffff, v11
	v_or_b32_e32 v10, v12, v1
	s_delay_alu instid0(VALU_DEP_2)
	v_or_b32_e32 v1, v11, v13
.LBB660_53:
	s_or_b32 exec_lo, exec_lo, s1
	v_dual_add_nc_u32 v12, 3, v15 :: v_dual_lshrrev_b32 v13, 24, v9
	v_lshrrev_b32_e32 v11, 16, v9
                                        ; implicit-def: $vgpr36
	s_delay_alu instid0(VALU_DEP_2) | instskip(SKIP_2) | instid1(SALU_CYCLE_1)
	v_cmp_le_u32_e32 vcc_lo, s5, v12
	v_lshrrev_b32_e32 v12, 8, v9
                                        ; implicit-def: $vgpr9
	s_and_saveexec_b32 s0, vcc_lo
	s_xor_b32 s0, exec_lo, s0
	s_cbranch_execz .LBB660_55
; %bb.54:
	v_lshlrev_b16 v9, 8, v13
	v_lshlrev_b16 v12, 8, v12
	v_perm_b32 v8, v8, v8, 0x3060504
	v_perm_b32 v7, v7, v7, 0x3060504
                                        ; implicit-def: $vgpr13
	s_delay_alu instid0(VALU_DEP_4) | instskip(SKIP_2) | instid1(VALU_DEP_3)
	v_bitop3_b16 v9, v11, v9, 0xff bitop3:0xec
	v_and_b32_e32 v11, 0xff0000, v10
	v_and_b32_e32 v12, 0xffff, v12
	v_lshlrev_b32_e32 v9, 16, v9
	s_delay_alu instid0(VALU_DEP_3) | instskip(NEXT) | instid1(VALU_DEP_2)
	v_perm_b32 v36, v10, v11, 0x3020504
                                        ; implicit-def: $vgpr10
                                        ; implicit-def: $vgpr11
	v_or_b32_e32 v9, v12, v9
                                        ; implicit-def: $vgpr12
.LBB660_55:
	s_and_not1_saveexec_b32 s1, s0
	s_cbranch_execz .LBB660_59
; %bb.56:
	v_dual_add_nc_u32 v9, s17, v25 :: v_dual_add_nc_u32 v28, s19, v25
	s_mov_b32 s3, 0
	s_mov_b32 s4, exec_lo
	s_delay_alu instid0(VALU_DEP_1) | instskip(NEXT) | instid1(VALU_DEP_2)
	v_mul_lo_u32 v9, v9, s16
	v_mul_lo_u32 v28, v28, s18
	s_delay_alu instid0(VALU_DEP_1) | instskip(NEXT) | instid1(VALU_DEP_1)
	v_sub_nc_u32_e32 v9, v9, v28
	v_cmp_lt_u32_e32 vcc_lo, s20, v9
	v_cmpx_ge_u32_e64 s20, v9
	s_cbranch_execz .LBB660_58
; %bb.57:
	v_dual_add_nc_u32 v9, s22, v25 :: v_dual_add_nc_u32 v28, s38, v25
	s_delay_alu instid0(VALU_DEP_1) | instskip(NEXT) | instid1(VALU_DEP_2)
	v_mul_lo_u32 v9, v9, s21
	v_mul_lo_u32 v28, v28, s23
	s_delay_alu instid0(VALU_DEP_1) | instskip(NEXT) | instid1(VALU_DEP_1)
	v_sub_nc_u32_e32 v9, v9, v28
	v_cmp_lt_u32_e64 s0, s39, v9
	s_and_b32 s3, s0, exec_lo
.LBB660_58:
	s_or_b32 exec_lo, exec_lo, s4
	v_cndmask_b32_e64 v9, 0, 1, vcc_lo
	v_dual_lshrrev_b32 v28, 8, v10 :: v_dual_lshrrev_b32 v30, 16, v10
	v_cndmask_b32_e64 v29, 0, 1, s3
	v_lshlrev_b16 v13, 8, v13
	s_delay_alu instid0(VALU_DEP_4) | instskip(NEXT) | instid1(VALU_DEP_4)
	v_lshlrev_b16 v9, 8, v9
	v_lshlrev_b16 v28, 8, v28
	;; [unrolled: 1-line block ×3, first 2 shown]
	s_delay_alu instid0(VALU_DEP_4) | instskip(NEXT) | instid1(VALU_DEP_4)
	v_bitop3_b16 v11, v11, v13, 0xff bitop3:0xec
	v_bitop3_b16 v9, v30, v9, 0xff bitop3:0xec
	s_delay_alu instid0(VALU_DEP_4) | instskip(NEXT) | instid1(VALU_DEP_3)
	v_bitop3_b16 v10, v10, v28, 0xff bitop3:0xec
	v_dual_lshlrev_b32 v11, 16, v11 :: v_dual_bitop2_b32 v12, v29, v12 bitop3:0x54
	s_delay_alu instid0(VALU_DEP_3) | instskip(NEXT) | instid1(VALU_DEP_3)
	v_lshlrev_b32_e32 v9, 16, v9
	v_and_b32_e32 v10, 0xffff, v10
	s_delay_alu instid0(VALU_DEP_3) | instskip(NEXT) | instid1(VALU_DEP_2)
	v_and_b32_e32 v12, 0xffff, v12
	v_or_b32_e32 v36, v10, v9
	s_delay_alu instid0(VALU_DEP_2)
	v_or_b32_e32 v9, v12, v11
.LBB660_59:
	s_or_b32 exec_lo, exec_lo, s1
	v_dual_add_nc_u32 v10, 4, v15 :: v_dual_lshrrev_b32 v28, 8, v8
	v_dual_lshrrev_b32 v11, 16, v8 :: v_dual_lshrrev_b32 v29, 24, v8
	s_delay_alu instid0(VALU_DEP_3) | instskip(NEXT) | instid1(VALU_DEP_3)
	v_dual_lshrrev_b32 v13, 24, v9 :: v_dual_lshrrev_b32 v12, 16, v9
	v_cmp_le_u32_e32 vcc_lo, s5, v10
                                        ; implicit-def: $vgpr8
                                        ; implicit-def: $vgpr10
	s_and_saveexec_b32 s0, vcc_lo
	s_delay_alu instid0(SALU_CYCLE_1)
	s_xor_b32 s0, exec_lo, s0
	s_cbranch_execz .LBB660_61
; %bb.60:
	v_lshlrev_b16 v8, 8, v29
	v_lshlrev_b16 v10, 8, v28
	;; [unrolled: 1-line block ×3, first 2 shown]
	v_perm_b32 v7, v7, v7, 0x3060504
                                        ; implicit-def: $vgpr28
                                        ; implicit-def: $vgpr29
	s_delay_alu instid0(VALU_DEP_4) | instskip(NEXT) | instid1(VALU_DEP_4)
	v_bitop3_b16 v8, v11, v8, 0xff bitop3:0xec
	v_and_b32_e32 v10, 0xffff, v10
	s_delay_alu instid0(VALU_DEP_4) | instskip(NEXT) | instid1(VALU_DEP_3)
	v_bitop3_b16 v11, v12, v13, 0xff bitop3:0xec
                                        ; implicit-def: $vgpr13
	v_lshlrev_b32_e32 v12, 16, v8
	s_delay_alu instid0(VALU_DEP_2) | instskip(NEXT) | instid1(VALU_DEP_2)
	v_perm_b32 v8, v11, v9, 0x5040c00
                                        ; implicit-def: $vgpr9
                                        ; implicit-def: $vgpr11
	v_or_b32_e32 v10, v10, v12
                                        ; implicit-def: $vgpr12
.LBB660_61:
	s_and_not1_saveexec_b32 s1, s0
	s_cbranch_execz .LBB660_65
; %bb.62:
	v_dual_add_nc_u32 v8, s17, v22 :: v_dual_add_nc_u32 v10, s19, v22
	s_mov_b32 s3, 0
	s_mov_b32 s4, exec_lo
	s_delay_alu instid0(VALU_DEP_1) | instskip(NEXT) | instid1(VALU_DEP_2)
	v_mul_lo_u32 v8, v8, s16
	v_mul_lo_u32 v10, v10, s18
	s_delay_alu instid0(VALU_DEP_1) | instskip(NEXT) | instid1(VALU_DEP_1)
	v_sub_nc_u32_e32 v8, v8, v10
	v_cmp_lt_u32_e32 vcc_lo, s20, v8
	v_cmpx_ge_u32_e64 s20, v8
	s_cbranch_execz .LBB660_64
; %bb.63:
	v_dual_add_nc_u32 v8, s22, v22 :: v_dual_add_nc_u32 v10, s38, v22
	s_delay_alu instid0(VALU_DEP_1) | instskip(NEXT) | instid1(VALU_DEP_2)
	v_mul_lo_u32 v8, v8, s21
	v_mul_lo_u32 v10, v10, s23
	s_delay_alu instid0(VALU_DEP_1) | instskip(NEXT) | instid1(VALU_DEP_1)
	v_sub_nc_u32_e32 v8, v8, v10
	v_cmp_lt_u32_e64 s0, s39, v8
	s_and_b32 s3, s0, exec_lo
.LBB660_64:
	s_or_b32 exec_lo, exec_lo, s4
	v_cndmask_b32_e64 v8, 0, 1, s3
	v_cndmask_b32_e64 v10, 0, 1, vcc_lo
	v_lshlrev_b16 v29, 8, v29
	v_lshlrev_b16 v28, 8, v28
	;; [unrolled: 1-line block ×4, first 2 shown]
	s_delay_alu instid0(VALU_DEP_4) | instskip(NEXT) | instid1(VALU_DEP_4)
	v_bitop3_b16 v11, v11, v29, 0xff bitop3:0xec
	v_or_b32_e32 v10, v10, v28
	s_delay_alu instid0(VALU_DEP_4) | instskip(NEXT) | instid1(VALU_DEP_4)
	v_bitop3_b16 v12, v12, v13, 0xff bitop3:0xec
	v_bitop3_b16 v8, v9, v8, 0xff bitop3:0xec
	s_delay_alu instid0(VALU_DEP_4) | instskip(NEXT) | instid1(VALU_DEP_4)
	v_lshlrev_b32_e32 v9, 16, v11
	v_and_b32_e32 v10, 0xffff, v10
	s_delay_alu instid0(VALU_DEP_4) | instskip(NEXT) | instid1(VALU_DEP_4)
	v_lshlrev_b32_e32 v11, 16, v12
	v_and_b32_e32 v8, 0xffff, v8
	s_delay_alu instid0(VALU_DEP_3) | instskip(NEXT) | instid1(VALU_DEP_2)
	v_or_b32_e32 v10, v10, v9
	v_or_b32_e32 v8, v8, v11
.LBB660_65:
	s_or_b32 exec_lo, exec_lo, s1
	s_delay_alu instid0(VALU_DEP_1) | instskip(NEXT) | instid1(VALU_DEP_2)
	v_dual_add_nc_u32 v9, 5, v15 :: v_dual_lshrrev_b32 v12, 16, v10
	v_dual_lshrrev_b32 v13, 24, v10 :: v_dual_lshrrev_b32 v28, 8, v8
                                        ; implicit-def: $vgpr11
	s_delay_alu instid0(VALU_DEP_2) | instskip(SKIP_1) | instid1(SALU_CYCLE_1)
	v_cmp_le_u32_e32 vcc_lo, s5, v9
                                        ; implicit-def: $vgpr9
	s_and_saveexec_b32 s0, vcc_lo
	s_xor_b32 s0, exec_lo, s0
	s_cbranch_execz .LBB660_67
; %bb.66:
	v_lshlrev_b16 v9, 8, v28
	v_lshlrev_b16 v11, 8, v13
	v_perm_b32 v7, v7, v7, 0x3060504
                                        ; implicit-def: $vgpr13
                                        ; implicit-def: $vgpr28
	s_delay_alu instid0(VALU_DEP_3) | instskip(NEXT) | instid1(VALU_DEP_3)
	v_bitop3_b16 v9, v8, v9, 0xff bitop3:0xec
	v_bitop3_b16 v11, v12, v11, 0xff bitop3:0xec
                                        ; implicit-def: $vgpr12
	s_delay_alu instid0(VALU_DEP_2) | instskip(NEXT) | instid1(VALU_DEP_2)
	v_and_b32_e32 v9, 0xffff, v9
	v_perm_b32 v11, v11, v10, 0x5040c00
                                        ; implicit-def: $vgpr10
	s_delay_alu instid0(VALU_DEP_2)
	v_and_or_b32 v9, 0xff000000, v8, v9
                                        ; implicit-def: $vgpr8
.LBB660_67:
	s_and_not1_saveexec_b32 s1, s0
	s_cbranch_execz .LBB660_71
; %bb.68:
	v_dual_add_nc_u32 v9, s17, v23 :: v_dual_add_nc_u32 v11, s19, v23
	s_mov_b32 s3, 0
	s_mov_b32 s4, exec_lo
	s_delay_alu instid0(VALU_DEP_1) | instskip(NEXT) | instid1(VALU_DEP_2)
	v_mul_lo_u32 v9, v9, s16
	v_mul_lo_u32 v11, v11, s18
	s_delay_alu instid0(VALU_DEP_1) | instskip(NEXT) | instid1(VALU_DEP_1)
	v_sub_nc_u32_e32 v9, v9, v11
	v_cmp_lt_u32_e32 vcc_lo, s20, v9
	v_cmpx_ge_u32_e64 s20, v9
	s_cbranch_execz .LBB660_70
; %bb.69:
	v_dual_add_nc_u32 v9, s22, v23 :: v_dual_add_nc_u32 v11, s38, v23
	s_delay_alu instid0(VALU_DEP_1) | instskip(NEXT) | instid1(VALU_DEP_2)
	v_mul_lo_u32 v9, v9, s21
	v_mul_lo_u32 v11, v11, s23
	s_delay_alu instid0(VALU_DEP_1) | instskip(NEXT) | instid1(VALU_DEP_1)
	v_sub_nc_u32_e32 v9, v9, v11
	v_cmp_lt_u32_e64 s0, s39, v9
	s_and_b32 s3, s0, exec_lo
.LBB660_70:
	s_or_b32 exec_lo, exec_lo, s4
	v_cndmask_b32_e64 v9, 0, 1, vcc_lo
	v_lshrrev_b32_e32 v11, 24, v8
	v_cndmask_b32_e64 v29, 0, 1, s3
	v_lshlrev_b16 v13, 8, v13
	v_lshlrev_b16 v28, 8, v28
	;; [unrolled: 1-line block ×4, first 2 shown]
	s_delay_alu instid0(VALU_DEP_4) | instskip(NEXT) | instid1(VALU_DEP_4)
	v_bitop3_b16 v12, v12, v13, 0xff bitop3:0xec
	v_bitop3_b16 v8, v8, v28, 0xff bitop3:0xec
	s_delay_alu instid0(VALU_DEP_4) | instskip(NEXT) | instid1(VALU_DEP_3)
	v_bitop3_b16 v9, v10, v9, 0xff bitop3:0xec
	v_dual_lshlrev_b32 v11, 16, v12 :: v_dual_bitop2_b32 v10, v29, v11 bitop3:0x54
	s_delay_alu instid0(VALU_DEP_3) | instskip(NEXT) | instid1(VALU_DEP_3)
	v_and_b32_e32 v8, 0xffff, v8
	v_and_b32_e32 v9, 0xffff, v9
	s_delay_alu instid0(VALU_DEP_1) | instskip(NEXT) | instid1(VALU_DEP_1)
	v_dual_lshlrev_b32 v10, 16, v10 :: v_dual_bitop2_b32 v11, v9, v11 bitop3:0x54
	v_or_b32_e32 v9, v8, v10
.LBB660_71:
	s_or_b32 exec_lo, exec_lo, s1
	v_add_nc_u32_e32 v8, 6, v15
	s_delay_alu instid0(VALU_DEP_3) | instskip(NEXT) | instid1(VALU_DEP_2)
	v_lshrrev_b32_e32 v10, 8, v11
                                        ; implicit-def: $vgpr37
	v_cmp_le_u32_e32 vcc_lo, s5, v8
                                        ; implicit-def: $vgpr8
	s_and_saveexec_b32 s0, vcc_lo
	s_delay_alu instid0(SALU_CYCLE_1)
	s_xor_b32 s0, exec_lo, s0
	s_cbranch_execz .LBB660_73
; %bb.72:
	v_lshlrev_b16 v8, 8, v10
	v_and_b32_e32 v10, 0xff0000, v9
	v_perm_b32 v7, v7, v7, 0x3060504
	s_delay_alu instid0(VALU_DEP_3) | instskip(NEXT) | instid1(VALU_DEP_3)
	v_bitop3_b16 v8, v11, v8, 0xff bitop3:0xec
	v_perm_b32 v37, v9, v10, 0x3020504
                                        ; implicit-def: $vgpr10
                                        ; implicit-def: $vgpr9
	s_delay_alu instid0(VALU_DEP_2) | instskip(NEXT) | instid1(VALU_DEP_1)
	v_and_b32_e32 v8, 0xffff, v8
	v_and_or_b32 v8, 0xff000000, v11, v8
                                        ; implicit-def: $vgpr11
.LBB660_73:
	s_and_not1_saveexec_b32 s1, s0
	s_cbranch_execz .LBB660_77
; %bb.74:
	v_dual_add_nc_u32 v8, s17, v20 :: v_dual_add_nc_u32 v12, s19, v20
	s_mov_b32 s3, 0
	s_mov_b32 s4, exec_lo
	s_delay_alu instid0(VALU_DEP_1) | instskip(NEXT) | instid1(VALU_DEP_2)
	v_mul_lo_u32 v8, v8, s16
	v_mul_lo_u32 v12, v12, s18
	s_delay_alu instid0(VALU_DEP_1) | instskip(NEXT) | instid1(VALU_DEP_1)
	v_sub_nc_u32_e32 v8, v8, v12
	v_cmp_lt_u32_e32 vcc_lo, s20, v8
	v_cmpx_ge_u32_e64 s20, v8
	s_cbranch_execz .LBB660_76
; %bb.75:
	v_dual_add_nc_u32 v8, s22, v20 :: v_dual_add_nc_u32 v12, s38, v20
	s_delay_alu instid0(VALU_DEP_1) | instskip(NEXT) | instid1(VALU_DEP_2)
	v_mul_lo_u32 v8, v8, s21
	v_mul_lo_u32 v12, v12, s23
	s_delay_alu instid0(VALU_DEP_1) | instskip(NEXT) | instid1(VALU_DEP_1)
	v_sub_nc_u32_e32 v8, v8, v12
	v_cmp_lt_u32_e64 s0, s39, v8
	s_and_b32 s3, s0, exec_lo
.LBB660_76:
	s_or_b32 exec_lo, exec_lo, s4
	v_dual_lshrrev_b32 v8, 24, v11 :: v_dual_lshrrev_b32 v28, 8, v9
	v_cndmask_b32_e64 v12, 0, 1, s3
	v_cndmask_b32_e64 v13, 0, 1, vcc_lo
	v_lshlrev_b16 v10, 8, v10
	s_delay_alu instid0(VALU_DEP_4)
	v_lshlrev_b16 v8, 8, v8
	v_lshrrev_b32_e32 v29, 16, v9
	v_lshlrev_b16 v12, 8, v12
	v_lshlrev_b16 v28, 8, v28
	v_bitop3_b16 v10, v11, v10, 0xff bitop3:0xec
	v_or_b32_e32 v8, v13, v8
	s_delay_alu instid0(VALU_DEP_4) | instskip(NEXT) | instid1(VALU_DEP_4)
	v_bitop3_b16 v11, v29, v12, 0xff bitop3:0xec
	v_bitop3_b16 v9, v9, v28, 0xff bitop3:0xec
	s_delay_alu instid0(VALU_DEP_4) | instskip(NEXT) | instid1(VALU_DEP_3)
	v_and_b32_e32 v10, 0xffff, v10
	v_dual_lshlrev_b32 v8, 16, v8 :: v_dual_lshlrev_b32 v11, 16, v11
	s_delay_alu instid0(VALU_DEP_3) | instskip(NEXT) | instid1(VALU_DEP_2)
	v_and_b32_e32 v9, 0xffff, v9
	v_or_b32_e32 v8, v10, v8
	s_delay_alu instid0(VALU_DEP_2)
	v_or_b32_e32 v37, v9, v11
.LBB660_77:
	s_or_b32 exec_lo, exec_lo, s1
	v_add_nc_u32_e32 v11, 7, v15
	v_dual_lshrrev_b32 v9, 8, v7 :: v_dual_lshrrev_b32 v10, 16, v7
                                        ; implicit-def: $vgpr38
	s_delay_alu instid0(VALU_DEP_2) | instskip(SKIP_2) | instid1(SALU_CYCLE_1)
	v_cmp_le_u32_e32 vcc_lo, s5, v11
	v_lshrrev_b32_e32 v11, 24, v7
                                        ; implicit-def: $vgpr7
	s_and_saveexec_b32 s0, vcc_lo
	s_xor_b32 s0, exec_lo, s0
	s_cbranch_execz .LBB660_79
; %bb.78:
	s_delay_alu instid0(VALU_DEP_1) | instskip(SKIP_1) | instid1(VALU_DEP_2)
	v_lshlrev_b16 v7, 8, v11
	v_lshlrev_b16 v9, 8, v9
                                        ; implicit-def: $vgpr11
	v_bitop3_b16 v7, v10, v7, 0xff bitop3:0xec
	v_and_b32_e32 v10, 0xff0000, v8
	s_delay_alu instid0(VALU_DEP_3) | instskip(NEXT) | instid1(VALU_DEP_3)
	v_and_b32_e32 v9, 0xffff, v9
	v_lshlrev_b32_e32 v7, 16, v7
	s_delay_alu instid0(VALU_DEP_3) | instskip(NEXT) | instid1(VALU_DEP_2)
	v_perm_b32 v38, v8, v10, 0x3020504
                                        ; implicit-def: $vgpr8
                                        ; implicit-def: $vgpr10
	v_or_b32_e32 v7, v9, v7
                                        ; implicit-def: $vgpr9
.LBB660_79:
	s_and_not1_saveexec_b32 s1, s0
	s_cbranch_execz .LBB660_83
; %bb.80:
	v_dual_add_nc_u32 v7, s17, v21 :: v_dual_add_nc_u32 v12, s19, v21
	s_mov_b32 s3, 0
	s_mov_b32 s4, exec_lo
	s_delay_alu instid0(VALU_DEP_1) | instskip(NEXT) | instid1(VALU_DEP_2)
	v_mul_lo_u32 v7, v7, s16
	v_mul_lo_u32 v12, v12, s18
	s_delay_alu instid0(VALU_DEP_1) | instskip(NEXT) | instid1(VALU_DEP_1)
	v_sub_nc_u32_e32 v7, v7, v12
	v_cmp_lt_u32_e32 vcc_lo, s20, v7
	v_cmpx_ge_u32_e64 s20, v7
	s_cbranch_execz .LBB660_82
; %bb.81:
	v_dual_add_nc_u32 v7, s22, v21 :: v_dual_add_nc_u32 v12, s38, v21
	s_delay_alu instid0(VALU_DEP_1) | instskip(NEXT) | instid1(VALU_DEP_2)
	v_mul_lo_u32 v7, v7, s21
	v_mul_lo_u32 v12, v12, s23
	s_delay_alu instid0(VALU_DEP_1) | instskip(NEXT) | instid1(VALU_DEP_1)
	v_sub_nc_u32_e32 v7, v7, v12
	v_cmp_lt_u32_e64 s0, s39, v7
	s_and_b32 s3, s0, exec_lo
.LBB660_82:
	s_or_b32 exec_lo, exec_lo, s4
	v_cndmask_b32_e64 v7, 0, 1, vcc_lo
	v_dual_lshrrev_b32 v12, 8, v8 :: v_dual_lshrrev_b32 v28, 16, v8
	v_cndmask_b32_e64 v13, 0, 1, s3
	v_lshlrev_b16 v11, 8, v11
	s_delay_alu instid0(VALU_DEP_4) | instskip(NEXT) | instid1(VALU_DEP_4)
	v_lshlrev_b16 v7, 8, v7
	v_lshlrev_b16 v12, 8, v12
	;; [unrolled: 1-line block ×3, first 2 shown]
	s_delay_alu instid0(VALU_DEP_4) | instskip(NEXT) | instid1(VALU_DEP_4)
	v_bitop3_b16 v10, v10, v11, 0xff bitop3:0xec
	v_bitop3_b16 v7, v28, v7, 0xff bitop3:0xec
	s_delay_alu instid0(VALU_DEP_4) | instskip(NEXT) | instid1(VALU_DEP_3)
	v_bitop3_b16 v8, v8, v12, 0xff bitop3:0xec
	v_dual_lshlrev_b32 v10, 16, v10 :: v_dual_bitop2_b32 v9, v13, v9 bitop3:0x54
	s_delay_alu instid0(VALU_DEP_3) | instskip(NEXT) | instid1(VALU_DEP_3)
	v_lshlrev_b32_e32 v7, 16, v7
	v_and_b32_e32 v8, 0xffff, v8
	s_delay_alu instid0(VALU_DEP_3) | instskip(NEXT) | instid1(VALU_DEP_2)
	v_and_b32_e32 v9, 0xffff, v9
	v_or_b32_e32 v38, v8, v7
	s_delay_alu instid0(VALU_DEP_2)
	v_or_b32_e32 v7, v9, v10
.LBB660_83:
	s_or_b32 exec_lo, exec_lo, s1
	v_dual_add_nc_u32 v8, 8, v15 :: v_dual_lshrrev_b32 v13, 24, v6
	s_delay_alu instid0(VALU_DEP_2) | instskip(SKIP_1) | instid1(VALU_DEP_3)
	v_dual_lshrrev_b32 v9, 16, v7 :: v_dual_lshrrev_b32 v10, 24, v7
	v_dual_lshrrev_b32 v11, 16, v6 :: v_dual_lshrrev_b32 v12, 8, v6
	v_cmp_le_u32_e32 vcc_lo, s5, v8
                                        ; implicit-def: $vgpr6
                                        ; implicit-def: $vgpr8
	s_and_saveexec_b32 s0, vcc_lo
	s_delay_alu instid0(SALU_CYCLE_1)
	s_xor_b32 s0, exec_lo, s0
	s_cbranch_execz .LBB660_85
; %bb.84:
	v_lshlrev_b16 v6, 8, v13
	v_lshlrev_b16 v8, 8, v12
	v_lshlrev_b16 v10, 8, v10
	v_perm_b32 v1, v1, v1, 0x3060504
                                        ; implicit-def: $vgpr13
                                        ; implicit-def: $vgpr12
	s_delay_alu instid0(VALU_DEP_4) | instskip(NEXT) | instid1(VALU_DEP_4)
	v_bitop3_b16 v6, v11, v6, 0xff bitop3:0xec
	v_and_b32_e32 v8, 0xffff, v8
	s_delay_alu instid0(VALU_DEP_4) | instskip(NEXT) | instid1(VALU_DEP_3)
	v_bitop3_b16 v9, v9, v10, 0xff bitop3:0xec
                                        ; implicit-def: $vgpr10
                                        ; implicit-def: $vgpr11
	v_lshlrev_b32_e32 v6, 16, v6
	s_delay_alu instid0(VALU_DEP_1) | instskip(NEXT) | instid1(VALU_DEP_3)
	v_or_b32_e32 v8, v8, v6
	v_perm_b32 v6, v9, v7, 0x5040c00
                                        ; implicit-def: $vgpr7
                                        ; implicit-def: $vgpr9
.LBB660_85:
	s_and_not1_saveexec_b32 s1, s0
	s_cbranch_execz .LBB660_89
; %bb.86:
	v_dual_add_nc_u32 v6, s17, v18 :: v_dual_add_nc_u32 v8, s19, v18
	s_mov_b32 s3, 0
	s_mov_b32 s4, exec_lo
	s_delay_alu instid0(VALU_DEP_1) | instskip(NEXT) | instid1(VALU_DEP_2)
	v_mul_lo_u32 v6, v6, s16
	v_mul_lo_u32 v8, v8, s18
	s_delay_alu instid0(VALU_DEP_1) | instskip(NEXT) | instid1(VALU_DEP_1)
	v_sub_nc_u32_e32 v6, v6, v8
	v_cmp_lt_u32_e32 vcc_lo, s20, v6
	v_cmpx_ge_u32_e64 s20, v6
	s_cbranch_execz .LBB660_88
; %bb.87:
	v_dual_add_nc_u32 v6, s22, v18 :: v_dual_add_nc_u32 v8, s38, v18
	s_delay_alu instid0(VALU_DEP_1) | instskip(NEXT) | instid1(VALU_DEP_2)
	v_mul_lo_u32 v6, v6, s21
	v_mul_lo_u32 v8, v8, s23
	s_delay_alu instid0(VALU_DEP_1) | instskip(NEXT) | instid1(VALU_DEP_1)
	v_sub_nc_u32_e32 v6, v6, v8
	v_cmp_lt_u32_e64 s0, s39, v6
	s_and_b32 s3, s0, exec_lo
.LBB660_88:
	s_or_b32 exec_lo, exec_lo, s4
	v_cndmask_b32_e64 v6, 0, 1, s3
	v_cndmask_b32_e64 v8, 0, 1, vcc_lo
	v_lshlrev_b16 v13, 8, v13
	v_lshlrev_b16 v12, 8, v12
	;; [unrolled: 1-line block ×4, first 2 shown]
	s_delay_alu instid0(VALU_DEP_4) | instskip(NEXT) | instid1(VALU_DEP_4)
	v_bitop3_b16 v11, v11, v13, 0xff bitop3:0xec
	v_or_b32_e32 v8, v8, v12
	s_delay_alu instid0(VALU_DEP_4) | instskip(NEXT) | instid1(VALU_DEP_4)
	v_bitop3_b16 v9, v9, v10, 0xff bitop3:0xec
	v_bitop3_b16 v6, v7, v6, 0xff bitop3:0xec
	s_delay_alu instid0(VALU_DEP_4) | instskip(NEXT) | instid1(VALU_DEP_4)
	v_lshlrev_b32_e32 v7, 16, v11
	v_and_b32_e32 v8, 0xffff, v8
	s_delay_alu instid0(VALU_DEP_4) | instskip(NEXT) | instid1(VALU_DEP_4)
	v_lshlrev_b32_e32 v9, 16, v9
	v_and_b32_e32 v6, 0xffff, v6
	s_delay_alu instid0(VALU_DEP_3) | instskip(NEXT) | instid1(VALU_DEP_2)
	v_or_b32_e32 v8, v8, v7
	v_or_b32_e32 v6, v6, v9
.LBB660_89:
	s_or_b32 exec_lo, exec_lo, s1
	s_delay_alu instid0(VALU_DEP_1) | instskip(NEXT) | instid1(VALU_DEP_3)
	v_dual_add_nc_u32 v7, 9, v15 :: v_dual_lshrrev_b32 v11, 8, v6
	v_dual_lshrrev_b32 v12, 24, v8 :: v_dual_lshrrev_b32 v10, 16, v8
                                        ; implicit-def: $vgpr9
	s_delay_alu instid0(VALU_DEP_2) | instskip(SKIP_1) | instid1(SALU_CYCLE_1)
	v_cmp_le_u32_e32 vcc_lo, s5, v7
                                        ; implicit-def: $vgpr7
	s_and_saveexec_b32 s0, vcc_lo
	s_xor_b32 s0, exec_lo, s0
	s_cbranch_execz .LBB660_91
; %bb.90:
	v_lshlrev_b16 v7, 8, v11
	v_lshlrev_b16 v9, 8, v12
	v_perm_b32 v1, v1, v1, 0x3060504
                                        ; implicit-def: $vgpr11
                                        ; implicit-def: $vgpr12
	s_delay_alu instid0(VALU_DEP_3) | instskip(NEXT) | instid1(VALU_DEP_3)
	v_bitop3_b16 v7, v6, v7, 0xff bitop3:0xec
	v_bitop3_b16 v9, v10, v9, 0xff bitop3:0xec
                                        ; implicit-def: $vgpr10
	s_delay_alu instid0(VALU_DEP_2) | instskip(NEXT) | instid1(VALU_DEP_2)
	v_and_b32_e32 v7, 0xffff, v7
	v_perm_b32 v9, v9, v8, 0x5040c00
                                        ; implicit-def: $vgpr8
	s_delay_alu instid0(VALU_DEP_2)
	v_and_or_b32 v7, 0xff000000, v6, v7
                                        ; implicit-def: $vgpr6
.LBB660_91:
	s_and_not1_saveexec_b32 s1, s0
	s_cbranch_execz .LBB660_95
; %bb.92:
	v_dual_add_nc_u32 v7, s17, v19 :: v_dual_add_nc_u32 v9, s19, v19
	s_mov_b32 s3, 0
	s_mov_b32 s4, exec_lo
	s_delay_alu instid0(VALU_DEP_1) | instskip(NEXT) | instid1(VALU_DEP_2)
	v_mul_lo_u32 v7, v7, s16
	v_mul_lo_u32 v9, v9, s18
	s_delay_alu instid0(VALU_DEP_1) | instskip(NEXT) | instid1(VALU_DEP_1)
	v_sub_nc_u32_e32 v7, v7, v9
	v_cmp_lt_u32_e32 vcc_lo, s20, v7
	v_cmpx_ge_u32_e64 s20, v7
	s_cbranch_execz .LBB660_94
; %bb.93:
	v_dual_add_nc_u32 v7, s22, v19 :: v_dual_add_nc_u32 v9, s38, v19
	s_delay_alu instid0(VALU_DEP_1) | instskip(NEXT) | instid1(VALU_DEP_2)
	v_mul_lo_u32 v7, v7, s21
	v_mul_lo_u32 v9, v9, s23
	s_delay_alu instid0(VALU_DEP_1) | instskip(NEXT) | instid1(VALU_DEP_1)
	v_sub_nc_u32_e32 v7, v7, v9
	v_cmp_lt_u32_e64 s0, s39, v7
	s_and_b32 s3, s0, exec_lo
.LBB660_94:
	s_or_b32 exec_lo, exec_lo, s4
	v_cndmask_b32_e64 v7, 0, 1, vcc_lo
	v_lshrrev_b32_e32 v9, 24, v6
	v_cndmask_b32_e64 v13, 0, 1, s3
	v_lshlrev_b16 v12, 8, v12
	v_lshlrev_b16 v11, 8, v11
	;; [unrolled: 1-line block ×4, first 2 shown]
	s_delay_alu instid0(VALU_DEP_4) | instskip(NEXT) | instid1(VALU_DEP_4)
	v_bitop3_b16 v10, v10, v12, 0xff bitop3:0xec
	v_bitop3_b16 v6, v6, v11, 0xff bitop3:0xec
	s_delay_alu instid0(VALU_DEP_4) | instskip(NEXT) | instid1(VALU_DEP_3)
	v_bitop3_b16 v7, v8, v7, 0xff bitop3:0xec
	v_dual_lshlrev_b32 v9, 16, v10 :: v_dual_bitop2_b32 v8, v13, v9 bitop3:0x54
	s_delay_alu instid0(VALU_DEP_3) | instskip(NEXT) | instid1(VALU_DEP_3)
	v_and_b32_e32 v6, 0xffff, v6
	v_and_b32_e32 v7, 0xffff, v7
	s_delay_alu instid0(VALU_DEP_1) | instskip(NEXT) | instid1(VALU_DEP_1)
	v_dual_lshlrev_b32 v8, 16, v8 :: v_dual_bitop2_b32 v9, v7, v9 bitop3:0x54
	v_or_b32_e32 v7, v6, v8
.LBB660_95:
	s_or_b32 exec_lo, exec_lo, s1
	s_delay_alu instid0(VALU_DEP_2) | instskip(NEXT) | instid1(VALU_DEP_1)
	v_dual_add_nc_u32 v6, 10, v15 :: v_dual_lshrrev_b32 v8, 8, v9
                                        ; implicit-def: $vgpr40
	v_cmp_le_u32_e32 vcc_lo, s5, v6
                                        ; implicit-def: $vgpr6
	s_and_saveexec_b32 s0, vcc_lo
	s_delay_alu instid0(SALU_CYCLE_1)
	s_xor_b32 s0, exec_lo, s0
	s_cbranch_execz .LBB660_97
; %bb.96:
	v_lshlrev_b16 v6, 8, v8
	v_and_b32_e32 v8, 0xff0000, v7
	v_perm_b32 v1, v1, v1, 0x3060504
	s_delay_alu instid0(VALU_DEP_3) | instskip(NEXT) | instid1(VALU_DEP_3)
	v_bitop3_b16 v6, v9, v6, 0xff bitop3:0xec
	v_perm_b32 v40, v7, v8, 0x3020504
                                        ; implicit-def: $vgpr8
                                        ; implicit-def: $vgpr7
	s_delay_alu instid0(VALU_DEP_2) | instskip(NEXT) | instid1(VALU_DEP_1)
	v_and_b32_e32 v6, 0xffff, v6
	v_and_or_b32 v6, 0xff000000, v9, v6
                                        ; implicit-def: $vgpr9
.LBB660_97:
	s_and_not1_saveexec_b32 s1, s0
	s_cbranch_execz .LBB660_101
; %bb.98:
	v_dual_add_nc_u32 v6, s17, v16 :: v_dual_add_nc_u32 v10, s19, v16
	s_mov_b32 s3, 0
	s_mov_b32 s4, exec_lo
	s_delay_alu instid0(VALU_DEP_1) | instskip(NEXT) | instid1(VALU_DEP_2)
	v_mul_lo_u32 v6, v6, s16
	v_mul_lo_u32 v10, v10, s18
	s_delay_alu instid0(VALU_DEP_1) | instskip(NEXT) | instid1(VALU_DEP_1)
	v_sub_nc_u32_e32 v6, v6, v10
	v_cmp_lt_u32_e32 vcc_lo, s20, v6
	v_cmpx_ge_u32_e64 s20, v6
	s_cbranch_execz .LBB660_100
; %bb.99:
	v_dual_add_nc_u32 v6, s22, v16 :: v_dual_add_nc_u32 v10, s38, v16
	s_delay_alu instid0(VALU_DEP_1) | instskip(NEXT) | instid1(VALU_DEP_2)
	v_mul_lo_u32 v6, v6, s21
	v_mul_lo_u32 v10, v10, s23
	s_delay_alu instid0(VALU_DEP_1) | instskip(NEXT) | instid1(VALU_DEP_1)
	v_sub_nc_u32_e32 v6, v6, v10
	v_cmp_lt_u32_e64 s0, s39, v6
	s_and_b32 s3, s0, exec_lo
.LBB660_100:
	s_or_b32 exec_lo, exec_lo, s4
	v_dual_lshrrev_b32 v6, 24, v9 :: v_dual_lshrrev_b32 v12, 8, v7
	v_cndmask_b32_e64 v10, 0, 1, s3
	v_cndmask_b32_e64 v11, 0, 1, vcc_lo
	v_lshlrev_b16 v8, 8, v8
	s_delay_alu instid0(VALU_DEP_4)
	v_lshlrev_b16 v6, 8, v6
	v_lshrrev_b32_e32 v13, 16, v7
	v_lshlrev_b16 v10, 8, v10
	v_lshlrev_b16 v12, 8, v12
	v_bitop3_b16 v8, v9, v8, 0xff bitop3:0xec
	v_or_b32_e32 v6, v11, v6
	s_delay_alu instid0(VALU_DEP_4) | instskip(NEXT) | instid1(VALU_DEP_4)
	v_bitop3_b16 v9, v13, v10, 0xff bitop3:0xec
	v_bitop3_b16 v7, v7, v12, 0xff bitop3:0xec
	s_delay_alu instid0(VALU_DEP_4) | instskip(NEXT) | instid1(VALU_DEP_3)
	v_and_b32_e32 v8, 0xffff, v8
	v_dual_lshlrev_b32 v6, 16, v6 :: v_dual_lshlrev_b32 v9, 16, v9
	s_delay_alu instid0(VALU_DEP_3) | instskip(NEXT) | instid1(VALU_DEP_2)
	v_and_b32_e32 v7, 0xffff, v7
	v_or_b32_e32 v6, v8, v6
	s_delay_alu instid0(VALU_DEP_2)
	v_or_b32_e32 v40, v7, v9
.LBB660_101:
	s_or_b32 exec_lo, exec_lo, s1
	v_dual_add_nc_u32 v7, 11, v15 :: v_dual_mov_b32 v39, 0
	s_mov_b32 s0, exec_lo
                                        ; implicit-def: $vgpr41
	s_delay_alu instid0(VALU_DEP_1)
	v_cmpx_le_u32_e64 s5, v7
	s_xor_b32 s0, exec_lo, s0
; %bb.102:
	v_and_b32_e32 v7, 0xff0000, v6
	v_perm_b32 v1, v1, v1, 0x3060504
	s_delay_alu instid0(VALU_DEP_2)
	v_perm_b32 v41, v6, v7, 0x3020504
                                        ; implicit-def: $vgpr6
; %bb.103:
	s_and_not1_saveexec_b32 s1, s0
	s_cbranch_execz .LBB660_107
; %bb.104:
	v_dual_add_nc_u32 v7, s17, v17 :: v_dual_add_nc_u32 v8, s19, v17
	s_mov_b32 s3, 0
	s_mov_b32 s4, exec_lo
	s_delay_alu instid0(VALU_DEP_1) | instskip(NEXT) | instid1(VALU_DEP_2)
	v_mul_lo_u32 v7, v7, s16
	v_mul_lo_u32 v8, v8, s18
	s_delay_alu instid0(VALU_DEP_1) | instskip(NEXT) | instid1(VALU_DEP_1)
	v_sub_nc_u32_e32 v7, v7, v8
	v_cmp_lt_u32_e32 vcc_lo, s20, v7
	v_cmpx_ge_u32_e64 s20, v7
	s_cbranch_execz .LBB660_106
; %bb.105:
	v_dual_add_nc_u32 v7, s22, v17 :: v_dual_add_nc_u32 v8, s38, v17
	s_delay_alu instid0(VALU_DEP_1) | instskip(NEXT) | instid1(VALU_DEP_2)
	v_mul_lo_u32 v7, v7, s21
	v_mul_lo_u32 v8, v8, s23
	s_delay_alu instid0(VALU_DEP_1) | instskip(NEXT) | instid1(VALU_DEP_1)
	v_sub_nc_u32_e32 v7, v7, v8
	v_cmp_lt_u32_e64 s0, s39, v7
	s_and_b32 s3, s0, exec_lo
.LBB660_106:
	s_or_b32 exec_lo, exec_lo, s4
	v_cndmask_b32_e64 v7, 0, 1, vcc_lo
	v_dual_lshrrev_b32 v8, 8, v6 :: v_dual_lshrrev_b32 v9, 16, v6
	v_cndmask_b32_e64 v39, 0, 1, s3
	s_delay_alu instid0(VALU_DEP_3) | instskip(NEXT) | instid1(VALU_DEP_3)
	v_lshlrev_b16 v7, 8, v7
	v_lshlrev_b16 v8, 8, v8
	s_delay_alu instid0(VALU_DEP_2) | instskip(NEXT) | instid1(VALU_DEP_2)
	v_bitop3_b16 v7, v9, v7, 0xff bitop3:0xec
	v_bitop3_b16 v6, v6, v8, 0xff bitop3:0xec
	s_delay_alu instid0(VALU_DEP_2) | instskip(NEXT) | instid1(VALU_DEP_2)
	v_lshlrev_b32_e32 v7, 16, v7
	v_and_b32_e32 v6, 0xffff, v6
	s_delay_alu instid0(VALU_DEP_1)
	v_or_b32_e32 v41, v6, v7
.LBB660_107:
	s_or_b32 exec_lo, exec_lo, s1
	v_dual_add_nc_u32 v8, 12, v15 :: v_dual_lshrrev_b32 v6, 8, v1
	v_dual_lshrrev_b32 v7, 16, v1 :: v_dual_lshrrev_b32 v1, 24, v1
	s_mov_b32 s0, exec_lo
                                        ; implicit-def: $vgpr42
	s_delay_alu instid0(VALU_DEP_2)
	v_cmpx_le_u32_e64 s5, v8
	s_xor_b32 s0, exec_lo, s0
; %bb.108:
	s_delay_alu instid0(VALU_DEP_2) | instskip(SKIP_1) | instid1(VALU_DEP_2)
	v_lshlrev_b16 v1, 8, v1
	v_lshlrev_b16 v6, 8, v6
	v_bitop3_b16 v1, v7, v1, 0xff bitop3:0xec
	s_delay_alu instid0(VALU_DEP_2) | instskip(NEXT) | instid1(VALU_DEP_2)
	v_and_b32_e32 v6, 0xffff, v6
                                        ; implicit-def: $vgpr7
	v_lshlrev_b32_e32 v1, 16, v1
	s_delay_alu instid0(VALU_DEP_1)
	v_or_b32_e32 v42, v6, v1
                                        ; implicit-def: $vgpr1
                                        ; implicit-def: $vgpr6
; %bb.109:
	s_or_saveexec_b32 s1, s0
	v_mov_b32_e32 v43, 0
	s_xor_b32 exec_lo, exec_lo, s1
	s_cbranch_execz .LBB660_113
; %bb.110:
	v_dual_add_nc_u32 v8, s19, v34 :: v_dual_add_nc_u32 v9, s17, v34
	s_mov_b32 s3, 0
	s_mov_b32 s4, exec_lo
	s_delay_alu instid0(VALU_DEP_1) | instskip(NEXT) | instid1(VALU_DEP_2)
	v_mul_lo_u32 v8, v8, s18
	v_mul_lo_u32 v9, v9, s16
	s_delay_alu instid0(VALU_DEP_1) | instskip(NEXT) | instid1(VALU_DEP_1)
	v_sub_nc_u32_e32 v8, v9, v8
	v_cmp_lt_u32_e32 vcc_lo, s20, v8
	v_cmpx_ge_u32_e64 s20, v8
	s_cbranch_execz .LBB660_112
; %bb.111:
	v_dual_add_nc_u32 v8, s38, v34 :: v_dual_add_nc_u32 v9, s22, v34
	s_delay_alu instid0(VALU_DEP_1) | instskip(NEXT) | instid1(VALU_DEP_2)
	v_mul_lo_u32 v8, v8, s23
	v_mul_lo_u32 v9, v9, s21
	s_delay_alu instid0(VALU_DEP_1) | instskip(NEXT) | instid1(VALU_DEP_1)
	v_sub_nc_u32_e32 v8, v9, v8
	v_cmp_lt_u32_e64 s0, s39, v8
	s_and_b32 s3, s0, exec_lo
.LBB660_112:
	s_or_b32 exec_lo, exec_lo, s4
	v_cndmask_b32_e64 v8, 0, 1, vcc_lo
	v_lshlrev_b16 v1, 8, v1
	v_lshlrev_b16 v6, 8, v6
	v_cndmask_b32_e64 v43, 0, 1, s3
	s_delay_alu instid0(VALU_DEP_3) | instskip(NEXT) | instid1(VALU_DEP_1)
	v_bitop3_b16 v1, v7, v1, 0xff bitop3:0xec
	v_dual_lshlrev_b32 v1, 16, v1 :: v_dual_bitop2_b32 v6, v8, v6 bitop3:0x54
	s_delay_alu instid0(VALU_DEP_1) | instskip(NEXT) | instid1(VALU_DEP_1)
	v_and_b32_e32 v6, 0xffff, v6
	v_or_b32_e32 v42, v6, v1
.LBB660_113:
	s_or_b32 exec_lo, exec_lo, s1
.LBB660_114:
	v_and_b32_e32 v66, 0xff, v36
	s_delay_alu instid0(VALU_DEP_2)
	v_bfe_u32 v67, v42, 8, 8
	v_bfe_u32 v64, v36, 8, 8
	;; [unrolled: 1-line block ×4, first 2 shown]
	v_dual_lshrrev_b32 v49, 24, v42 :: v_dual_lshrrev_b32 v48, 24, v36
	v_and_b32_e32 v62, 0xff, v37
	v_and_b32_e32 v60, 0xff, v38
	v_bfe_u32 v61, v37, 8, 8
	v_add3_u32 v1, v64, v66, v63
	v_add3_u32 v6, v65, v67, v49
	v_bfe_u32 v58, v38, 8, 8
	v_bfe_u32 v59, v37, 16, 8
	;; [unrolled: 1-line block ×3, first 2 shown]
	v_dual_lshrrev_b32 v47, 24, v37 :: v_dual_lshrrev_b32 v46, 24, v38
	v_add3_u32 v1, v1, v48, v60
	v_add3_u32 v6, v6, v62, v61
	v_and_b32_e32 v57, 0xff, v40
	v_and_b32_e32 v53, 0xff, v41
	v_bfe_u32 v55, v40, 8, 8
	v_add3_u32 v1, v1, v58, v56
	v_add3_u32 v6, v6, v59, v47
	v_bfe_u32 v52, v41, 8, 8
	v_bfe_u32 v54, v40, 16, 8
	;; [unrolled: 1-line block ×3, first 2 shown]
	v_dual_lshrrev_b32 v45, 24, v40 :: v_dual_lshrrev_b32 v44, 24, v41
	v_add3_u32 v1, v1, v46, v53
	v_add3_u32 v6, v6, v57, v55
	v_mbcnt_lo_u32_b32 v68, -1, 0
	v_and_b32_e32 v50, 0xff, v39
	v_and_b32_e32 v7, 0xff, v42
	;; [unrolled: 1-line block ×3, first 2 shown]
	v_add3_u32 v1, v1, v52, v51
	v_add3_u32 v6, v6, v54, v45
	v_and_b32_e32 v70, 15, v68
	v_and_b32_e32 v72, 16, v68
	v_dual_lshrrev_b32 v69, 5, v0 :: v_dual_bitop2_b32 v71, 31, v0 bitop3:0x54
	v_add3_u32 v73, v1, v44, v7
	v_add3_u32 v74, v6, v50, v8
	v_cmp_eq_u32_e64 s1, 0, v70
	v_cmp_lt_u32_e64 s0, 1, v70
	v_cmp_lt_u32_e64 s3, 3, v70
	s_cmp_lg_u32 s27, 0
	s_mov_b32 s4, -1
	v_cmp_lt_u32_e32 vcc_lo, 7, v70
	s_cbranch_scc0 .LBB660_135
; %bb.115:
	v_mov_b32_dpp v1, v74 row_shr:1 row_mask:0xf bank_mask:0xf
	v_mov_b32_dpp v6, v73 row_shr:1 row_mask:0xf bank_mask:0xf
	s_mov_b32 s4, exec_lo
	s_delay_alu instid0(VALU_DEP_1) | instskip(NEXT) | instid1(VALU_DEP_1)
	v_dual_add_nc_u32 v1, v1, v74 :: v_dual_add_nc_u32 v6, v6, v73
	v_dual_cndmask_b32 v1, v1, v74, s1 :: v_dual_cndmask_b32 v6, v6, v73, s1
	s_delay_alu instid0(VALU_DEP_1) | instskip(NEXT) | instid1(VALU_DEP_2)
	v_mov_b32_dpp v7, v1 row_shr:2 row_mask:0xf bank_mask:0xf
	v_mov_b32_dpp v8, v6 row_shr:2 row_mask:0xf bank_mask:0xf
	s_delay_alu instid0(VALU_DEP_1) | instskip(NEXT) | instid1(VALU_DEP_1)
	v_dual_add_nc_u32 v7, v1, v7 :: v_dual_add_nc_u32 v8, v6, v8
	v_dual_cndmask_b32 v1, v1, v7, s0 :: v_dual_cndmask_b32 v6, v6, v8, s0
	s_delay_alu instid0(VALU_DEP_1) | instskip(NEXT) | instid1(VALU_DEP_2)
	v_mov_b32_dpp v7, v1 row_shr:4 row_mask:0xf bank_mask:0xf
	v_mov_b32_dpp v8, v6 row_shr:4 row_mask:0xf bank_mask:0xf
	;; [unrolled: 6-line block ×3, first 2 shown]
	s_delay_alu instid0(VALU_DEP_1) | instskip(NEXT) | instid1(VALU_DEP_1)
	v_dual_add_nc_u32 v7, v1, v7 :: v_dual_add_nc_u32 v8, v6, v8
	v_dual_cndmask_b32 v1, v1, v7 :: v_dual_cndmask_b32 v6, v6, v8
	v_cmp_eq_u32_e32 vcc_lo, 0, v72
	ds_swizzle_b32 v7, v1 offset:swizzle(BROADCAST,32,15)
	ds_swizzle_b32 v8, v6 offset:swizzle(BROADCAST,32,15)
	s_wait_dscnt 0x0
	v_dual_add_nc_u32 v7, v1, v7 :: v_dual_add_nc_u32 v8, v6, v8
	v_cmpx_eq_u32_e64 v0, v71
; %bb.116:
	s_delay_alu instid0(VALU_DEP_2) | instskip(NEXT) | instid1(VALU_DEP_3)
	v_dual_cndmask_b32 v10, v8, v6 :: v_dual_lshlrev_b32 v9, 3, v69
	v_cndmask_b32_e32 v11, v7, v1, vcc_lo
	ds_store_b64 v9, v[10:11]
; %bb.117:
	s_or_b32 exec_lo, exec_lo, s4
	s_delay_alu instid0(SALU_CYCLE_1)
	s_mov_b32 s4, exec_lo
	s_wait_dscnt 0x0
	s_barrier_signal -1
	s_barrier_wait -1
	v_cmpx_gt_u32_e32 8, v0
	s_cbranch_execz .LBB660_119
; %bb.118:
	v_lshlrev_b32_e32 v9, 3, v0
	ds_load_b64 v[10:11], v9
	s_wait_dscnt 0x0
	v_mov_b32_dpp v12, v10 row_shr:1 row_mask:0xf bank_mask:0xf
	v_mov_b32_dpp v13, v11 row_shr:1 row_mask:0xf bank_mask:0xf
	s_delay_alu instid0(VALU_DEP_2) | instskip(NEXT) | instid1(VALU_DEP_2)
	v_dual_add_nc_u32 v12, v12, v10 :: v_dual_bitop2_b32 v28, 7, v68 bitop3:0x40
	v_add_nc_u32_e32 v13, v13, v11
	s_delay_alu instid0(VALU_DEP_2) | instskip(NEXT) | instid1(VALU_DEP_1)
	v_cmp_eq_u32_e64 s3, 0, v28
	v_dual_cndmask_b32 v11, v13, v11, s3 :: v_dual_cndmask_b32 v10, v12, v10, s3
	v_cmp_lt_u32_e64 s3, 1, v28
	s_delay_alu instid0(VALU_DEP_2) | instskip(NEXT) | instid1(VALU_DEP_3)
	v_mov_b32_dpp v13, v11 row_shr:2 row_mask:0xf bank_mask:0xf
	v_mov_b32_dpp v12, v10 row_shr:2 row_mask:0xf bank_mask:0xf
	s_delay_alu instid0(VALU_DEP_1) | instskip(NEXT) | instid1(VALU_DEP_1)
	v_dual_add_nc_u32 v13, v11, v13 :: v_dual_add_nc_u32 v12, v10, v12
	v_dual_cndmask_b32 v11, v11, v13, s3 :: v_dual_cndmask_b32 v10, v10, v12, s3
	v_cmp_lt_u32_e64 s3, 3, v28
	s_delay_alu instid0(VALU_DEP_2) | instskip(NEXT) | instid1(VALU_DEP_3)
	v_mov_b32_dpp v13, v11 row_shr:4 row_mask:0xf bank_mask:0xf
	v_mov_b32_dpp v12, v10 row_shr:4 row_mask:0xf bank_mask:0xf
	s_delay_alu instid0(VALU_DEP_1) | instskip(NEXT) | instid1(VALU_DEP_1)
	v_dual_cndmask_b32 v13, 0, v13, s3 :: v_dual_cndmask_b32 v12, 0, v12, s3
	v_dual_add_nc_u32 v11, v13, v11 :: v_dual_add_nc_u32 v10, v12, v10
	ds_store_b64 v9, v[10:11]
.LBB660_119:
	s_or_b32 exec_lo, exec_lo, s4
	v_dual_cndmask_b32 v1, v7, v1 :: v_dual_cndmask_b32 v6, v8, v6
	s_mov_b32 s4, exec_lo
	v_cmp_gt_u32_e32 vcc_lo, 32, v0
	s_wait_dscnt 0x0
	s_barrier_signal -1
	s_barrier_wait -1
                                        ; implicit-def: $vgpr28
	v_cmpx_lt_u32_e32 31, v0
	s_cbranch_execz .LBB660_121
; %bb.120:
	v_lshl_add_u32 v7, v69, 3, -8
	ds_load_b64 v[28:29], v7
	s_wait_dscnt 0x0
	v_dual_add_nc_u32 v1, v29, v1 :: v_dual_add_nc_u32 v6, v28, v6
.LBB660_121:
	s_or_b32 exec_lo, exec_lo, s4
	v_sub_co_u32 v7, s3, v68, 1
	s_delay_alu instid0(VALU_DEP_1) | instskip(NEXT) | instid1(VALU_DEP_1)
	v_cmp_gt_i32_e64 s4, 0, v7
	v_cndmask_b32_e64 v7, v7, v68, s4
	s_delay_alu instid0(VALU_DEP_1)
	v_lshlrev_b32_e32 v7, 2, v7
	ds_bpermute_b32 v75, v7, v6
	ds_bpermute_b32 v1, v7, v1
	s_and_saveexec_b32 s4, vcc_lo
	s_cbranch_execz .LBB660_140
; %bb.122:
	v_mov_b32_e32 v9, 0
	ds_load_b64 v[6:7], v9 offset:56
	s_and_saveexec_b32 s6, s3
	s_cbranch_execz .LBB660_124
; %bb.123:
	s_add_co_i32 s8, s27, 32
	s_mov_b32 s9, 0
	v_mov_b32_e32 v8, 1
	s_lshl_b64 s[8:9], s[8:9], 4
	s_delay_alu instid0(SALU_CYCLE_1) | instskip(NEXT) | instid1(SALU_CYCLE_1)
	s_add_nc_u64 s[8:9], s[36:37], s[8:9]
	v_mov_b64_e32 v[10:11], s[8:9]
	s_wait_dscnt 0x0
	;;#ASMSTART
	global_store_b128 v[10:11], v[6:9] off scope:SCOPE_DEV	
s_wait_storecnt 0x0
	;;#ASMEND
.LBB660_124:
	s_or_b32 exec_lo, exec_lo, s6
	v_xad_u32 v30, v68, -1, s27
	s_mov_b32 s7, 0
	s_mov_b32 s6, exec_lo
	s_delay_alu instid0(VALU_DEP_1) | instskip(NEXT) | instid1(VALU_DEP_1)
	v_add_nc_u32_e32 v8, 32, v30
	v_lshl_add_u64 v[8:9], v[8:9], 4, s[36:37]
	;;#ASMSTART
	global_load_b128 v[10:13], v[8:9] off scope:SCOPE_DEV	
s_wait_loadcnt 0x0
	;;#ASMEND
	v_and_b32_e32 v13, 0xff, v12
	s_delay_alu instid0(VALU_DEP_1)
	v_cmpx_eq_u16_e32 0, v13
	s_cbranch_execz .LBB660_127
.LBB660_125:                            ; =>This Inner Loop Header: Depth=1
	;;#ASMSTART
	global_load_b128 v[10:13], v[8:9] off scope:SCOPE_DEV	
s_wait_loadcnt 0x0
	;;#ASMEND
	v_and_b32_e32 v13, 0xff, v12
	s_delay_alu instid0(VALU_DEP_1) | instskip(SKIP_1) | instid1(SALU_CYCLE_1)
	v_cmp_ne_u16_e32 vcc_lo, 0, v13
	s_or_b32 s7, vcc_lo, s7
	s_and_not1_b32 exec_lo, exec_lo, s7
	s_cbranch_execnz .LBB660_125
; %bb.126:
	s_or_b32 exec_lo, exec_lo, s7
.LBB660_127:
	s_delay_alu instid0(SALU_CYCLE_1) | instskip(SKIP_4) | instid1(VALU_DEP_1)
	s_or_b32 exec_lo, exec_lo, s6
	v_cmp_ne_u32_e32 vcc_lo, 31, v68
	v_lshlrev_b32_e64 v77, v68, -1
	v_lshl_or_b32 v84, v68, 2, 64
	v_add_co_ci_u32_e64 v8, null, 0, v68, vcc_lo
	v_lshlrev_b32_e32 v76, 2, v8
	v_and_b32_e32 v8, 0xff, v12
	s_delay_alu instid0(VALU_DEP_1)
	v_cmp_eq_u16_e32 vcc_lo, 2, v8
	v_and_b32_e32 v13, vcc_lo, v77
	ds_bpermute_b32 v9, v76, v11
	ds_bpermute_b32 v8, v76, v10
	v_cmp_gt_u32_e32 vcc_lo, 30, v68
	v_or_b32_e32 v13, 0x80000000, v13
	v_cndmask_b32_e64 v31, 0, 2, vcc_lo
	s_delay_alu instid0(VALU_DEP_2) | instskip(NEXT) | instid1(VALU_DEP_2)
	v_ctz_i32_b32_e32 v13, v13
	v_add_lshl_u32 v78, v31, v68, 2
	s_delay_alu instid0(VALU_DEP_2) | instskip(SKIP_2) | instid1(VALU_DEP_1)
	v_cmp_lt_u32_e32 vcc_lo, v68, v13
	s_wait_dscnt 0x0
	v_dual_add_nc_u32 v9, v9, v11 :: v_dual_add_nc_u32 v8, v8, v10
	v_dual_cndmask_b32 v9, v11, v9 :: v_dual_cndmask_b32 v8, v10, v8
	v_cmp_gt_u32_e32 vcc_lo, 28, v68
	ds_bpermute_b32 v10, v78, v9
	ds_bpermute_b32 v11, v78, v8
	v_add_nc_u32_e32 v79, 2, v68
	v_cndmask_b32_e64 v31, 0, 4, vcc_lo
	s_delay_alu instid0(VALU_DEP_1) | instskip(SKIP_4) | instid1(VALU_DEP_2)
	v_add_lshl_u32 v80, v31, v68, 2
	s_wait_dscnt 0x1
	v_add_nc_u32_e32 v10, v9, v10
	v_cmp_gt_u32_e32 vcc_lo, v79, v13
	s_wait_dscnt 0x0
	v_dual_add_nc_u32 v11, v8, v11 :: v_dual_cndmask_b32 v9, v10, v9, vcc_lo
	ds_bpermute_b32 v10, v80, v9
	v_cndmask_b32_e32 v8, v11, v8, vcc_lo
	v_cmp_gt_u32_e32 vcc_lo, 24, v68
	v_cndmask_b32_e64 v31, 0, 8, vcc_lo
	s_delay_alu instid0(VALU_DEP_1)
	v_add_lshl_u32 v82, v31, v68, 2
	s_wait_dscnt 0x0
	v_dual_mov_b32 v31, 0 :: v_dual_add_nc_u32 v10, v9, v10
	ds_bpermute_b32 v11, v80, v8
	s_wait_dscnt 0x0
	v_dual_add_nc_u32 v81, 4, v68 :: v_dual_add_nc_u32 v11, v8, v11
	s_delay_alu instid0(VALU_DEP_1) | instskip(NEXT) | instid1(VALU_DEP_2)
	v_cmp_gt_u32_e32 vcc_lo, v81, v13
	v_dual_cndmask_b32 v9, v10, v9 :: v_dual_cndmask_b32 v8, v11, v8
	ds_bpermute_b32 v10, v82, v9
	ds_bpermute_b32 v11, v82, v8
	s_wait_dscnt 0x1
	v_dual_add_nc_u32 v83, 8, v68 :: v_dual_add_nc_u32 v10, v9, v10
	s_delay_alu instid0(VALU_DEP_1) | instskip(SKIP_1) | instid1(VALU_DEP_2)
	v_cmp_gt_u32_e32 vcc_lo, v83, v13
	s_wait_dscnt 0x0
	v_dual_add_nc_u32 v11, v8, v11 :: v_dual_cndmask_b32 v9, v10, v9, vcc_lo
	s_delay_alu instid0(VALU_DEP_1) | instskip(SKIP_3) | instid1(VALU_DEP_1)
	v_cndmask_b32_e32 v8, v11, v8, vcc_lo
	ds_bpermute_b32 v11, v84, v9
	ds_bpermute_b32 v10, v84, v8
	v_add_nc_u32_e32 v85, 16, v68
	v_cmp_le_u32_e32 vcc_lo, v85, v13
	s_wait_dscnt 0x0
	v_dual_cndmask_b32 v11, 0, v11 :: v_dual_cndmask_b32 v10, 0, v10
	s_delay_alu instid0(VALU_DEP_1)
	v_dual_add_nc_u32 v11, v11, v9 :: v_dual_add_nc_u32 v10, v10, v8
	s_branch .LBB660_131
.LBB660_128:                            ;   in Loop: Header=BB660_131 Depth=1
	s_or_b32 exec_lo, exec_lo, s7
.LBB660_129:                            ;   in Loop: Header=BB660_131 Depth=1
	s_delay_alu instid0(SALU_CYCLE_1)
	s_or_b32 exec_lo, exec_lo, s6
	ds_bpermute_b32 v13, v76, v10
	ds_bpermute_b32 v32, v76, v11
	v_and_b32_e32 v33, 0xff, v12
	v_subrev_nc_u32_e32 v30, 32, v30
	s_mov_b32 s6, 0
	s_delay_alu instid0(VALU_DEP_2) | instskip(SKIP_1) | instid1(VALU_DEP_1)
	v_cmp_eq_u16_e32 vcc_lo, 2, v33
	v_and_or_b32 v33, vcc_lo, v77, 0x80000000
	v_ctz_i32_b32_e32 v33, v33
	s_wait_dscnt 0x0
	v_dual_add_nc_u32 v13, v13, v10 :: v_dual_add_nc_u32 v32, v32, v11
	s_delay_alu instid0(VALU_DEP_2) | instskip(NEXT) | instid1(VALU_DEP_2)
	v_cmp_lt_u32_e32 vcc_lo, v68, v33
	v_dual_cndmask_b32 v11, v11, v32 :: v_dual_cndmask_b32 v10, v10, v13
	v_cmp_gt_u32_e32 vcc_lo, v79, v33
	ds_bpermute_b32 v32, v78, v11
	ds_bpermute_b32 v13, v78, v10
	s_wait_dscnt 0x0
	v_dual_add_nc_u32 v32, v11, v32 :: v_dual_add_nc_u32 v13, v10, v13
	s_delay_alu instid0(VALU_DEP_1)
	v_dual_cndmask_b32 v11, v32, v11 :: v_dual_cndmask_b32 v10, v13, v10
	v_cmp_gt_u32_e32 vcc_lo, v81, v33
	ds_bpermute_b32 v32, v80, v11
	ds_bpermute_b32 v13, v80, v10
	s_wait_dscnt 0x0
	v_dual_add_nc_u32 v32, v11, v32 :: v_dual_add_nc_u32 v13, v10, v13
	s_delay_alu instid0(VALU_DEP_1)
	;; [unrolled: 7-line block ×3, first 2 shown]
	v_dual_cndmask_b32 v11, v32, v11 :: v_dual_cndmask_b32 v10, v13, v10
	v_cmp_le_u32_e32 vcc_lo, v85, v33
	ds_bpermute_b32 v32, v84, v11
	ds_bpermute_b32 v13, v84, v10
	s_wait_dscnt 0x0
	v_dual_cndmask_b32 v32, 0, v32 :: v_dual_cndmask_b32 v13, 0, v13
	s_delay_alu instid0(VALU_DEP_1) | instskip(NEXT) | instid1(VALU_DEP_2)
	v_add3_u32 v11, v11, v9, v32
	v_add3_u32 v10, v10, v8, v13
.LBB660_130:                            ;   in Loop: Header=BB660_131 Depth=1
	s_and_b32 vcc_lo, exec_lo, s6
	s_cbranch_vccnz .LBB660_136
.LBB660_131:                            ; =>This Loop Header: Depth=1
                                        ;     Child Loop BB660_134 Depth 2
	v_and_b32_e32 v8, 0xff, v12
	s_mov_b32 s6, -1
                                        ; implicit-def: $vgpr12
	s_delay_alu instid0(VALU_DEP_1)
	v_cmp_ne_u16_e32 vcc_lo, 2, v8
	v_mov_b64_e32 v[8:9], v[10:11]
                                        ; implicit-def: $vgpr10_vgpr11
	s_cmp_lg_u32 vcc_lo, exec_lo
	s_cbranch_scc1 .LBB660_130
; %bb.132:                              ;   in Loop: Header=BB660_131 Depth=1
	v_lshl_add_u64 v[32:33], v[30:31], 4, s[36:37]
	;;#ASMSTART
	global_load_b128 v[10:13], v[32:33] off scope:SCOPE_DEV	
s_wait_loadcnt 0x0
	;;#ASMEND
	v_and_b32_e32 v13, 0xff, v12
	s_mov_b32 s6, exec_lo
	s_delay_alu instid0(VALU_DEP_1)
	v_cmpx_eq_u16_e32 0, v13
	s_cbranch_execz .LBB660_129
; %bb.133:                              ;   in Loop: Header=BB660_131 Depth=1
	s_mov_b32 s7, 0
.LBB660_134:                            ;   Parent Loop BB660_131 Depth=1
                                        ; =>  This Inner Loop Header: Depth=2
	;;#ASMSTART
	global_load_b128 v[10:13], v[32:33] off scope:SCOPE_DEV	
s_wait_loadcnt 0x0
	;;#ASMEND
	v_and_b32_e32 v13, 0xff, v12
	s_delay_alu instid0(VALU_DEP_1) | instskip(SKIP_1) | instid1(SALU_CYCLE_1)
	v_cmp_ne_u16_e32 vcc_lo, 0, v13
	s_or_b32 s7, vcc_lo, s7
	s_and_not1_b32 exec_lo, exec_lo, s7
	s_cbranch_execnz .LBB660_134
	s_branch .LBB660_128
.LBB660_135:
                                        ; implicit-def: $vgpr1
                                        ; implicit-def: $vgpr8
                                        ; implicit-def: $vgpr10
                                        ; implicit-def: $vgpr12
                                        ; implicit-def: $vgpr28
	s_and_b32 vcc_lo, exec_lo, s4
	s_cbranch_vccnz .LBB660_141
	s_branch .LBB660_150
.LBB660_136:
	s_and_saveexec_b32 s6, s3
	s_cbranch_execz .LBB660_138
; %bb.137:
	s_add_co_i32 s8, s27, 32
	s_mov_b32 s9, 0
	v_dual_mov_b32 v12, 2 :: v_dual_mov_b32 v13, 0
	s_lshl_b64 s[8:9], s[8:9], 4
	v_dual_add_nc_u32 v11, v9, v7 :: v_dual_add_nc_u32 v10, v8, v6
	s_add_nc_u64 s[8:9], s[36:37], s[8:9]
	s_delay_alu instid0(SALU_CYCLE_1)
	v_mov_b64_e32 v[30:31], s[8:9]
	;;#ASMSTART
	global_store_b128 v[30:31], v[10:13] off scope:SCOPE_DEV	
s_wait_storecnt 0x0
	;;#ASMEND
	ds_store_b128 v13, v[6:9] offset:13312
.LBB660_138:
	s_or_b32 exec_lo, exec_lo, s6
	s_delay_alu instid0(SALU_CYCLE_1)
	s_and_b32 exec_lo, exec_lo, s2
; %bb.139:
	v_mov_b32_e32 v6, 0
	ds_store_b64 v6, v[8:9] offset:56
.LBB660_140:
	s_or_b32 exec_lo, exec_lo, s4
	s_wait_dscnt 0x0
	v_dual_mov_b32 v6, 0 :: v_dual_cndmask_b32 v1, v1, v29, s3
	s_barrier_signal -1
	s_barrier_wait -1
	ds_load_b64 v[12:13], v6 offset:56
	s_wait_dscnt 0x0
	s_barrier_signal -1
	s_barrier_wait -1
	ds_load_b128 v[6:9], v6 offset:13312
	v_cndmask_b32_e64 v10, v75, v28, s3
	s_delay_alu instid0(VALU_DEP_1) | instskip(SKIP_2) | instid1(VALU_DEP_2)
	v_dual_add_nc_u32 v1, v13, v1 :: v_dual_add_nc_u32 v11, v12, v10
	s_wait_dscnt 0x0
	v_mov_b32_e32 v10, v9
	v_dual_cndmask_b32 v1, v1, v13, s2 :: v_dual_cndmask_b32 v28, v11, v12, s2
	v_mov_b32_e32 v12, v7
	s_branch .LBB660_150
.LBB660_141:
	v_mov_b32_dpp v1, v73 row_shr:1 row_mask:0xf bank_mask:0xf
	v_mov_b32_dpp v6, v74 row_shr:1 row_mask:0xf bank_mask:0xf
	v_cmp_lt_u32_e32 vcc_lo, 3, v70
	s_delay_alu instid0(VALU_DEP_2) | instskip(NEXT) | instid1(VALU_DEP_1)
	v_dual_add_nc_u32 v1, v1, v73 :: v_dual_add_nc_u32 v6, v6, v74
	v_dual_cndmask_b32 v1, v1, v73, s1 :: v_dual_cndmask_b32 v6, v6, v74, s1
	s_mov_b32 s1, exec_lo
	s_delay_alu instid0(VALU_DEP_1) | instskip(NEXT) | instid1(VALU_DEP_2)
	v_mov_b32_dpp v7, v1 row_shr:2 row_mask:0xf bank_mask:0xf
	v_mov_b32_dpp v8, v6 row_shr:2 row_mask:0xf bank_mask:0xf
	s_delay_alu instid0(VALU_DEP_1) | instskip(NEXT) | instid1(VALU_DEP_1)
	v_dual_add_nc_u32 v7, v1, v7 :: v_dual_add_nc_u32 v8, v6, v8
	v_dual_cndmask_b32 v1, v1, v7, s0 :: v_dual_cndmask_b32 v6, v6, v8, s0
	s_delay_alu instid0(VALU_DEP_1) | instskip(NEXT) | instid1(VALU_DEP_2)
	v_mov_b32_dpp v7, v1 row_shr:4 row_mask:0xf bank_mask:0xf
	v_mov_b32_dpp v8, v6 row_shr:4 row_mask:0xf bank_mask:0xf
	s_delay_alu instid0(VALU_DEP_1) | instskip(NEXT) | instid1(VALU_DEP_1)
	v_dual_add_nc_u32 v7, v1, v7 :: v_dual_add_nc_u32 v8, v6, v8
	v_dual_cndmask_b32 v7, v1, v7 :: v_dual_cndmask_b32 v6, v6, v8
	v_cmp_lt_u32_e32 vcc_lo, 7, v70
	s_delay_alu instid0(VALU_DEP_2) | instskip(NEXT) | instid1(VALU_DEP_3)
	v_mov_b32_dpp v1, v7 row_shr:8 row_mask:0xf bank_mask:0xf
	v_mov_b32_dpp v8, v6 row_shr:8 row_mask:0xf bank_mask:0xf
	s_delay_alu instid0(VALU_DEP_1) | instskip(NEXT) | instid1(VALU_DEP_1)
	v_dual_add_nc_u32 v9, v7, v1 :: v_dual_add_nc_u32 v1, v6, v8
	v_cndmask_b32_e32 v1, v6, v1, vcc_lo
	s_delay_alu instid0(VALU_DEP_2)
	v_cndmask_b32_e32 v6, v7, v9, vcc_lo
	v_cmp_eq_u32_e32 vcc_lo, 0, v72
	ds_swizzle_b32 v8, v6 offset:swizzle(BROADCAST,32,15)
	s_wait_dscnt 0x0
	v_add_nc_u32_e32 v8, v6, v8
	ds_swizzle_b32 v7, v1 offset:swizzle(BROADCAST,32,15)
	s_wait_dscnt 0x0
	v_add_nc_u32_e32 v7, v1, v7
	v_cmpx_eq_u32_e64 v0, v71
; %bb.142:
	s_delay_alu instid0(VALU_DEP_2)
	v_dual_cndmask_b32 v10, v8, v6 :: v_dual_cndmask_b32 v11, v7, v1
	v_lshlrev_b32_e32 v9, 3, v69
	ds_store_b64 v9, v[10:11]
; %bb.143:
	s_or_b32 exec_lo, exec_lo, s1
	s_delay_alu instid0(SALU_CYCLE_1)
	s_mov_b32 s1, exec_lo
	s_wait_dscnt 0x0
	s_barrier_signal -1
	s_barrier_wait -1
	v_cmpx_gt_u32_e32 8, v0
	s_cbranch_execz .LBB660_145
; %bb.144:
	v_lshlrev_b32_e32 v9, 3, v0
	ds_load_b64 v[10:11], v9
	s_wait_dscnt 0x0
	v_mov_b32_dpp v12, v10 row_shr:1 row_mask:0xf bank_mask:0xf
	v_mov_b32_dpp v13, v11 row_shr:1 row_mask:0xf bank_mask:0xf
	s_delay_alu instid0(VALU_DEP_2) | instskip(NEXT) | instid1(VALU_DEP_2)
	v_dual_add_nc_u32 v12, v12, v10 :: v_dual_bitop2_b32 v28, 7, v68 bitop3:0x40
	v_add_nc_u32_e32 v13, v13, v11
	s_delay_alu instid0(VALU_DEP_2) | instskip(NEXT) | instid1(VALU_DEP_1)
	v_cmp_eq_u32_e64 s0, 0, v28
	v_dual_cndmask_b32 v11, v13, v11, s0 :: v_dual_cndmask_b32 v10, v12, v10, s0
	v_cmp_lt_u32_e64 s0, 1, v28
	s_delay_alu instid0(VALU_DEP_2) | instskip(NEXT) | instid1(VALU_DEP_3)
	v_mov_b32_dpp v13, v11 row_shr:2 row_mask:0xf bank_mask:0xf
	v_mov_b32_dpp v12, v10 row_shr:2 row_mask:0xf bank_mask:0xf
	s_delay_alu instid0(VALU_DEP_1) | instskip(NEXT) | instid1(VALU_DEP_1)
	v_dual_add_nc_u32 v13, v11, v13 :: v_dual_add_nc_u32 v12, v10, v12
	v_dual_cndmask_b32 v11, v11, v13, s0 :: v_dual_cndmask_b32 v10, v10, v12, s0
	v_cmp_lt_u32_e64 s0, 3, v28
	s_delay_alu instid0(VALU_DEP_2) | instskip(NEXT) | instid1(VALU_DEP_3)
	v_mov_b32_dpp v13, v11 row_shr:4 row_mask:0xf bank_mask:0xf
	v_mov_b32_dpp v12, v10 row_shr:4 row_mask:0xf bank_mask:0xf
	s_delay_alu instid0(VALU_DEP_1) | instskip(NEXT) | instid1(VALU_DEP_1)
	v_dual_cndmask_b32 v13, 0, v13, s0 :: v_dual_cndmask_b32 v12, 0, v12, s0
	v_dual_add_nc_u32 v11, v13, v11 :: v_dual_add_nc_u32 v10, v12, v10
	ds_store_b64 v9, v[10:11]
.LBB660_145:
	s_or_b32 exec_lo, exec_lo, s1
	v_dual_mov_b32 v9, 0 :: v_dual_mov_b32 v10, 0
	v_mov_b32_e32 v11, 0
	s_mov_b32 s1, exec_lo
	s_wait_dscnt 0x0
	s_barrier_signal -1
	s_barrier_wait -1
	v_cmpx_lt_u32_e32 31, v0
; %bb.146:
	v_lshl_add_u32 v10, v69, 3, -8
	ds_load_b64 v[10:11], v10
; %bb.147:
	s_or_b32 exec_lo, exec_lo, s1
	v_sub_co_u32 v12, s0, v68, 1
	v_dual_cndmask_b32 v6, v8, v6 :: v_dual_cndmask_b32 v1, v7, v1
	s_delay_alu instid0(VALU_DEP_2) | instskip(SKIP_1) | instid1(VALU_DEP_1)
	v_cmp_gt_i32_e64 s1, 0, v12
	s_wait_dscnt 0x0
	v_dual_add_nc_u32 v6, v10, v6 :: v_dual_cndmask_b32 v8, v12, v68, s1
	s_delay_alu instid0(VALU_DEP_1)
	v_dual_lshlrev_b32 v7, 2, v8 :: v_dual_add_nc_u32 v8, v11, v1
	ds_bpermute_b32 v1, v7, v6
	ds_bpermute_b32 v12, v7, v8
	ds_load_b64 v[6:7], v9 offset:56
	s_and_saveexec_b32 s1, s2
	s_cbranch_execz .LBB660_149
; %bb.148:
	s_add_nc_u64 s[6:7], s[36:37], 0x200
	v_dual_mov_b32 v8, 2 :: v_dual_mov_b32 v9, 0
	v_mov_b64_e32 v[28:29], s[6:7]
	s_wait_dscnt 0x0
	;;#ASMSTART
	global_store_b128 v[28:29], v[6:9] off scope:SCOPE_DEV	
s_wait_storecnt 0x0
	;;#ASMEND
.LBB660_149:
	s_or_b32 exec_lo, exec_lo, s1
	s_wait_dscnt 0x1
	v_dual_cndmask_b32 v9, v12, v11, s0 :: v_dual_cndmask_b32 v11, v1, v10, s0
	v_dual_mov_b32 v10, 0 :: v_dual_mov_b32 v8, 0
	s_wait_dscnt 0x0
	v_mov_b32_e32 v12, v7
	s_delay_alu instid0(VALU_DEP_3)
	v_cndmask_b32_e64 v1, v9, 0, s2
	v_cndmask_b32_e64 v28, v11, 0, s2
	s_barrier_signal -1
	s_barrier_wait -1
.LBB660_150:
	s_delay_alu instid0(VALU_DEP_1) | instskip(SKIP_2) | instid1(VALU_DEP_3)
	v_dual_add_nc_u32 v74, v1, v67 :: v_dual_add_nc_u32 v75, v28, v66
	v_dual_lshrrev_b32 v72, 16, v42 :: v_dual_lshrrev_b32 v7, 8, v42
	v_dual_lshrrev_b32 v73, 8, v36 :: v_dual_lshrrev_b32 v71, 16, v36
	v_dual_add_nc_u32 v65, v74, v65 :: v_dual_add_nc_u32 v64, v75, v64
	v_dual_mov_b32 v9, 0 :: v_dual_lshlrev_b32 v66, 1, v6
	s_delay_alu instid0(VALU_DEP_2) | instskip(NEXT) | instid1(VALU_DEP_3)
	v_dual_add_nc_u32 v76, v65, v49 :: v_dual_bitop2_b32 v36, 1, v36 bitop3:0x40
	v_add_nc_u32_e32 v63, v64, v63
	v_dual_sub_nc_u32 v28, v28, v8 :: v_dual_sub_nc_u32 v1, v1, v10
	s_delay_alu instid0(VALU_DEP_3) | instskip(NEXT) | instid1(VALU_DEP_3)
	v_dual_add_nc_u32 v62, v76, v62 :: v_dual_bitop2_b32 v77, 1, v7 bitop3:0x40
	v_dual_mov_b32 v7, v9 :: v_dual_add_nc_u32 v78, v63, v48
	v_mov_b32_e32 v11, v9
	s_delay_alu instid0(VALU_DEP_3) | instskip(SKIP_1) | instid1(VALU_DEP_4)
	v_dual_add_nc_u32 v1, v1, v6 :: v_dual_add_nc_u32 v61, v62, v61
	v_add3_u32 v15, v66, v12, v15
	v_add_nc_u32_e32 v60, v78, v60
	s_delay_alu instid0(VALU_DEP_3) | instskip(NEXT) | instid1(VALU_DEP_4)
	v_dual_sub_nc_u32 v74, v74, v10 :: v_dual_add_nc_u32 v81, v28, v1
	v_dual_add_nc_u32 v79, v61, v59 :: v_dual_sub_nc_u32 v75, v75, v8
	s_delay_alu instid0(VALU_DEP_3) | instskip(SKIP_1) | instid1(VALU_DEP_4)
	v_add_nc_u32_e32 v80, v60, v58
	v_cmp_eq_u32_e32 vcc_lo, 1, v77
	v_dual_add_nc_u32 v74, v74, v6 :: v_dual_sub_nc_u32 v64, v64, v8
	s_delay_alu instid0(VALU_DEP_3) | instskip(SKIP_2) | instid1(VALU_DEP_3)
	v_dual_add_nc_u32 v82, v79, v47 :: v_dual_add_nc_u32 v56, v80, v56
	v_dual_sub_nc_u32 v81, v15, v81 :: v_dual_sub_nc_u32 v65, v65, v10
	v_sub_nc_u64_e32 v[58:59], v[4:5], v[6:7]
	v_dual_add_nc_u32 v57, v82, v57 :: v_dual_add_nc_u32 v83, v56, v46
	s_delay_alu instid0(VALU_DEP_3) | instskip(SKIP_1) | instid1(VALU_DEP_3)
	v_dual_cndmask_b32 v1, v81, v1, vcc_lo :: v_dual_add_nc_u32 v81, v74, v75
	v_cmp_eq_u32_e32 vcc_lo, 1, v36
	v_dual_add_nc_u32 v55, v57, v55 :: v_dual_add_nc_u32 v77, v83, v53
	v_and_b32_e32 v72, 1, v72
	v_dual_sub_nc_u32 v63, v63, v8 :: v_dual_bitop2_b32 v49, 1, v49 bitop3:0x40
	s_delay_alu instid0(VALU_DEP_3) | instskip(NEXT) | instid1(VALU_DEP_4)
	v_dual_cndmask_b32 v1, v1, v28 :: v_dual_add_nc_u32 v28, v55, v54
	v_add_nc_u32_e32 v36, v77, v52
	v_add_nc_u32_e32 v54, v65, v6
	v_add_nc_u64_e32 v[52:53], v[58:59], v[10:11]
	s_delay_alu instid0(VALU_DEP_4)
	v_lshlrev_b32_e32 v1, 2, v1
	v_add_nc_u32_e32 v58, v28, v45
	v_dual_add_nc_u32 v51, v36, v51 :: v_dual_sub_nc_u32 v59, v15, v81
	v_add_nc_u32_e32 v65, v54, v64
	ds_store_b32 v1, v26
	v_dual_add_nc_u32 v1, v58, v50 :: v_dual_add_nc_u32 v26, v51, v44
	v_dual_sub_nc_u32 v73, v76, v10 :: v_dual_bitop2_b32 v50, 1, v73 bitop3:0x40
	v_dual_sub_nc_u32 v65, v15, v65 :: v_dual_add_nc_u32 v59, 1, v59
	v_cmp_eq_u32_e32 vcc_lo, 1, v72
	s_delay_alu instid0(VALU_DEP_3) | instskip(NEXT) | instid1(VALU_DEP_3)
	v_dual_add_nc_u32 v73, v73, v6 :: v_dual_bitop2_b32 v71, 1, v71 bitop3:0x40
	v_add_nc_u32_e32 v65, 2, v65
	v_dual_lshrrev_b32 v70, 8, v37 :: v_dual_lshrrev_b32 v69, 16, v37
	v_cndmask_b32_e32 v59, v59, v74, vcc_lo
	v_cmp_eq_u32_e32 vcc_lo, 1, v49
	v_dual_add_nc_u32 v72, v63, v73 :: v_dual_lshrrev_b32 v33, 16, v38
	v_dual_lshrrev_b32 v68, 8, v38 :: v_dual_lshrrev_b32 v31, 16, v40
	v_dual_cndmask_b32 v49, v65, v54 :: v_dual_lshrrev_b32 v32, 8, v40
	v_cmp_eq_u32_e32 vcc_lo, 1, v50
	s_delay_alu instid0(VALU_DEP_4)
	v_dual_sub_nc_u32 v54, v15, v72 :: v_dual_lshrrev_b32 v30, 8, v41
	v_dual_lshrrev_b32 v29, 16, v41 :: v_dual_sub_nc_u32 v1, v1, v10
	v_cndmask_b32_e32 v50, v59, v75, vcc_lo
	v_cmp_eq_u32_e32 vcc_lo, 1, v71
	v_dual_sub_nc_u32 v59, v62, v10 :: v_dual_bitop2_b32 v37, 1, v37 bitop3:0x40
	v_dual_add_nc_u32 v54, 3, v54 :: v_dual_bitop2_b32 v48, 1, v48 bitop3:0x40
	v_cndmask_b32_e32 v49, v49, v64, vcc_lo
	v_dual_sub_nc_u32 v62, v78, v8 :: v_dual_lshlrev_b32 v50, 2, v50
	s_delay_alu instid0(VALU_DEP_4) | instskip(SKIP_1) | instid1(VALU_DEP_4)
	v_add_nc_u32_e32 v59, v59, v6
	v_cmp_eq_u32_e32 vcc_lo, 1, v37
	v_lshlrev_b32_e32 v49, 2, v49
	v_add_nc_u64_e32 v[2:3], v[2:3], v[8:9]
	ds_store_b32 v50, v27
	v_dual_sub_nc_u32 v27, v61, v10 :: v_dual_cndmask_b32 v37, v54, v73, vcc_lo
	v_add_nc_u32_e32 v54, v62, v59
	v_cmp_eq_u32_e32 vcc_lo, 1, v48
	ds_store_b32 v49, v24
	v_dual_sub_nc_u32 v48, v60, v8 :: v_dual_sub_nc_u32 v50, v79, v10
	v_dual_cndmask_b32 v37, v37, v63 :: v_dual_sub_nc_u32 v24, v15, v54
	v_dual_add_nc_u32 v27, v27, v6 :: v_dual_mov_b32 v67, v9
	s_delay_alu instid0(VALU_DEP_2) | instskip(NEXT) | instid1(VALU_DEP_3)
	v_dual_mov_b32 v13, v9 :: v_dual_add_nc_u32 v24, 4, v24
	v_dual_lshlrev_b32 v37, 2, v37 :: v_dual_bitop2_b32 v49, 1, v70 bitop3:0x40
	s_delay_alu instid0(VALU_DEP_3)
	v_add_nc_u32_e32 v54, v48, v27
	s_mov_b32 s0, -1
	v_and_b32_e32 v40, 1, v40
	ds_store_b32 v37, v25
	v_cmp_eq_u32_e32 vcc_lo, 1, v49
	v_dual_sub_nc_u32 v49, v80, v8 :: v_dual_bitop2_b32 v38, 1, v38 bitop3:0x40
	v_dual_add_nc_u32 v50, v50, v6 :: v_dual_bitop2_b32 v37, 1, v69 bitop3:0x40
	v_cndmask_b32_e32 v24, v24, v59, vcc_lo
	s_delay_alu instid0(VALU_DEP_3) | instskip(SKIP_1) | instid1(VALU_DEP_3)
	v_cmp_eq_u32_e32 vcc_lo, 1, v38
	v_and_b32_e32 v32, 1, v32
	v_dual_cndmask_b32 v24, v24, v62, vcc_lo :: v_dual_bitop2_b32 v31, 1, v31 bitop3:0x40
	v_sub_nc_u32_e32 v54, v15, v54
	v_cmp_eq_u32_e32 vcc_lo, 1, v37
	s_delay_alu instid0(VALU_DEP_3) | instskip(NEXT) | instid1(VALU_DEP_3)
	v_dual_sub_nc_u32 v37, v57, v10 :: v_dual_lshlrev_b32 v24, 2, v24
	v_add_nc_u32_e32 v38, 5, v54
	v_dual_add_nc_u32 v25, v49, v50 :: v_dual_bitop2_b32 v54, 1, v68 bitop3:0x40
	ds_store_b32 v24, v22
	v_dual_cndmask_b32 v27, v38, v27, vcc_lo :: v_dual_sub_nc_u32 v25, v15, v25
	v_and_b32_e32 v22, 1, v47
	v_cmp_eq_u32_e32 vcc_lo, 1, v54
	v_dual_sub_nc_u32 v38, v55, v10 :: v_dual_sub_nc_u32 v47, v77, v8
	s_delay_alu instid0(VALU_DEP_4) | instskip(SKIP_3) | instid1(VALU_DEP_3)
	v_dual_cndmask_b32 v25, v27, v48 :: v_dual_add_nc_u32 v24, 6, v25
	v_sub_nc_u32_e32 v27, v82, v10
	v_cmp_eq_u32_e32 vcc_lo, 1, v22
	v_and_b32_e32 v33, 1, v33
	v_dual_lshlrev_b32 v25, 2, v25 :: v_dual_add_nc_u32 v27, v27, v6
	v_cndmask_b32_e32 v22, v24, v50, vcc_lo
	v_sub_nc_u32_e32 v24, v56, v8
	s_delay_alu instid0(VALU_DEP_4)
	v_cmp_eq_u32_e32 vcc_lo, 1, v33
	ds_store_b32 v25, v23
	v_dual_sub_nc_u32 v23, v83, v8 :: v_dual_add_nc_u32 v25, v37, v6
	v_dual_cndmask_b32 v22, v22, v49 :: v_dual_add_nc_u32 v33, v24, v27
	v_and_b32_e32 v37, 1, v46
	v_cmp_eq_u32_e32 vcc_lo, 1, v40
	s_delay_alu instid0(VALU_DEP_4) | instskip(NEXT) | instid1(VALU_DEP_4)
	v_add_nc_u32_e32 v46, v23, v25
	v_dual_sub_nc_u32 v33, v15, v33 :: v_dual_lshlrev_b32 v22, 2, v22
	s_delay_alu instid0(VALU_DEP_1)
	v_dual_sub_nc_u32 v46, v15, v46 :: v_dual_add_nc_u32 v33, 7, v33
	v_add_nc_u32_e32 v38, v38, v6
	ds_store_b32 v22, v20
	v_dual_cndmask_b32 v27, v33, v27, vcc_lo :: v_dual_bitop2_b32 v22, 1, v45 bitop3:0x40
	v_cmp_eq_u32_e32 vcc_lo, 1, v37
	v_add_nc_u32_e32 v33, v47, v38
	s_delay_alu instid0(VALU_DEP_3) | instskip(SKIP_2) | instid1(VALU_DEP_3)
	v_dual_add_nc_u32 v40, 8, v46 :: v_dual_cndmask_b32 v24, v27, v24, vcc_lo
	v_and_b32_e32 v27, 1, v41
	v_cmp_eq_u32_e32 vcc_lo, 1, v32
	v_dual_sub_nc_u32 v33, v15, v33 :: v_dual_lshlrev_b32 v24, 2, v24
	s_delay_alu instid0(VALU_DEP_4) | instskip(NEXT) | instid1(VALU_DEP_4)
	v_cndmask_b32_e32 v25, v40, v25, vcc_lo
	v_cmp_eq_u32_e32 vcc_lo, 1, v27
	s_delay_alu instid0(VALU_DEP_3) | instskip(NEXT) | instid1(VALU_DEP_3)
	v_dual_add_nc_u32 v32, 9, v33 :: v_dual_bitop2_b32 v27, 1, v30 bitop3:0x40
	v_dual_cndmask_b32 v23, v25, v23 :: v_dual_sub_nc_u32 v30, v36, v8
	v_sub_nc_u32_e32 v25, v28, v10
	v_cmp_eq_u32_e32 vcc_lo, 1, v31
	s_delay_alu instid0(VALU_DEP_2)
	v_dual_lshlrev_b32 v23, 2, v23 :: v_dual_add_nc_u32 v25, v25, v6
	v_cndmask_b32_e32 v28, v32, v38, vcc_lo
	v_cmp_eq_u32_e32 vcc_lo, 1, v27
	ds_store_b32 v24, v21
	ds_store_b32 v23, v18
	v_sub_nc_u32_e32 v21, v58, v10
	v_dual_add_nc_u32 v20, v30, v25 :: v_dual_sub_nc_u32 v23, v51, v8
	v_dual_cndmask_b32 v27, v28, v47 :: v_dual_sub_nc_u32 v8, v26, v8
	s_delay_alu instid0(VALU_DEP_2) | instskip(NEXT) | instid1(VALU_DEP_2)
	v_dual_add_nc_u32 v1, v1, v6 :: v_dual_sub_nc_u32 v20, v15, v20
	v_dual_add_nc_u32 v21, v21, v6 :: v_dual_lshlrev_b32 v18, 2, v27
	v_cmp_eq_u32_e32 vcc_lo, 1, v22
	s_delay_alu instid0(VALU_DEP_3) | instskip(SKIP_3) | instid1(VALU_DEP_1)
	v_dual_add_nc_u32 v22, v8, v1 :: v_dual_add_nc_u32 v20, 10, v20
	ds_store_b32 v18, v19
	v_cndmask_b32_e32 v20, v20, v25, vcc_lo
	v_add_nc_u32_e32 v26, v23, v21
	v_dual_sub_nc_u32 v18, v15, v26 :: v_dual_bitop2_b32 v24, 1, v29 bitop3:0x40
	s_delay_alu instid0(VALU_DEP_1) | instskip(SKIP_1) | instid1(VALU_DEP_3)
	v_cmp_eq_u32_e32 vcc_lo, 1, v24
	v_dual_sub_nc_u32 v15, v15, v22 :: v_dual_bitop2_b32 v24, 1, v39 bitop3:0x40
	v_dual_add_nc_u32 v25, 11, v18 :: v_dual_bitop2_b32 v22, 1, v44 bitop3:0x40
	v_cndmask_b32_e32 v20, v20, v30, vcc_lo
	s_delay_alu instid0(VALU_DEP_3) | instskip(SKIP_4) | instid1(VALU_DEP_4)
	v_cmp_eq_u32_e32 vcc_lo, 1, v24
	v_and_b32_e32 v26, 1, v43
	v_dual_add_nc_u32 v15, 12, v15 :: v_dual_bitop2_b32 v24, 1, v42 bitop3:0x40
	v_add_nc_u64_e32 v[18:19], v[12:13], v[66:67]
	v_cndmask_b32_e32 v21, v25, v21, vcc_lo
	v_cmp_eq_u32_e32 vcc_lo, 1, v26
	s_delay_alu instid0(VALU_DEP_4)
	v_dual_cndmask_b32 v1, v15, v1 :: v_dual_lshlrev_b32 v20, 2, v20
	v_cmp_eq_u32_e32 vcc_lo, 1, v22
	v_add_nc_u64_e32 v[18:19], v[18:19], v[52:53]
	v_mov_b32_e32 v15, v9
	ds_store_b32 v20, v16
	v_cndmask_b32_e32 v21, v21, v23, vcc_lo
	v_cmp_eq_u32_e32 vcc_lo, 1, v24
	s_delay_alu instid0(VALU_DEP_2)
	v_dual_cndmask_b32 v1, v1, v8 :: v_dual_lshlrev_b32 v22, 2, v21
	v_add_nc_u64_e32 v[8:9], s[34:35], v[14:15]
	v_add_nc_u64_e32 v[14:15], v[18:19], v[2:3]
	v_lshlrev_b64_e32 v[18:19], 2, v[52:53]
	v_lshlrev_b64_e32 v[20:21], 2, v[2:3]
	v_lshlrev_b32_e32 v1, 2, v1
	v_cmp_ne_u32_e32 vcc_lo, 1, v35
	v_sub_nc_u64_e32 v[14:15], v[8:9], v[14:15]
	v_add_nc_u64_e32 v[8:9], s[30:31], v[18:19]
	v_add_nc_u32_e32 v18, v6, v12
	ds_store_b32 v22, v17
	ds_store_b32 v1, v34
	v_add_nc_u64_e32 v[16:17], s[28:29], v[20:21]
	s_wait_dscnt 0x0
	s_barrier_signal -1
	s_barrier_wait -1
	s_cbranch_vccz .LBB660_154
; %bb.151:
	s_and_b32 vcc_lo, exec_lo, s0
	s_cbranch_vccnz .LBB660_259
.LBB660_152:
	s_and_b32 s0, s2, s26
	s_delay_alu instid0(SALU_CYCLE_1)
	s_and_saveexec_b32 s1, s0
	s_cbranch_execnz .LBB660_377
.LBB660_153:
	s_sendmsg sendmsg(MSG_DEALLOC_VGPRS)
	s_endpgm
.LBB660_154:
	s_mov_b32 s0, exec_lo
	v_cmpx_ge_u32_e64 v0, v6
	s_xor_b32 s0, exec_lo, s0
	s_cbranch_execz .LBB660_160
; %bb.155:
	v_mov_b32_e32 v1, 0
	s_mov_b32 s1, exec_lo
	v_cmpx_ge_u32_e64 v0, v18
	s_xor_b32 s1, exec_lo, s1
	s_cbranch_execz .LBB660_157
; %bb.156:
	v_lshlrev_b32_e32 v19, 2, v0
	v_add_nc_u64_e32 v[20:21], v[14:15], v[0:1]
	ds_load_b32 v1, v19
	v_lshlrev_b64_e32 v[20:21], 2, v[20:21]
	s_delay_alu instid0(VALU_DEP_1)
	v_sub_nc_u64_e32 v[20:21], s[14:15], v[20:21]
	s_wait_dscnt 0x0
	global_store_b32 v[20:21], v1, off offset:-4
.LBB660_157:
	s_wait_xcnt 0x0
	s_and_not1_saveexec_b32 s1, s1
	s_cbranch_execz .LBB660_159
; %bb.158:
	v_lshlrev_b32_e32 v1, 2, v0
	v_readfirstlane_b32 s6, v8
	v_readfirstlane_b32 s7, v9
	ds_load_b32 v1, v1
	s_wait_dscnt 0x0
	global_store_b32 v0, v1, s[6:7] scale_offset
.LBB660_159:
	s_wait_xcnt 0x0
	s_or_b32 exec_lo, exec_lo, s1
.LBB660_160:
	s_and_not1_saveexec_b32 s0, s0
	s_cbranch_execz .LBB660_162
; %bb.161:
	v_lshlrev_b32_e32 v1, 2, v0
	v_readfirstlane_b32 s6, v16
	v_readfirstlane_b32 s7, v17
	ds_load_b32 v1, v1
	s_wait_dscnt 0x0
	global_store_b32 v0, v1, s[6:7] scale_offset
.LBB660_162:
	s_wait_xcnt 0x0
	s_or_b32 exec_lo, exec_lo, s0
	v_or_b32_e32 v1, 0x100, v0
	s_mov_b32 s0, exec_lo
	s_delay_alu instid0(VALU_DEP_1)
	v_cmpx_ge_u32_e64 v1, v6
	s_xor_b32 s0, exec_lo, s0
	s_cbranch_execz .LBB660_168
; %bb.163:
	s_mov_b32 s1, exec_lo
	v_cmpx_ge_u32_e64 v1, v18
	s_xor_b32 s1, exec_lo, s1
	s_cbranch_execz .LBB660_165
; %bb.164:
	v_dual_mov_b32 v1, 0 :: v_dual_lshlrev_b32 v19, 2, v0
	s_delay_alu instid0(VALU_DEP_1) | instskip(SKIP_2) | instid1(VALU_DEP_1)
	v_add_nc_u64_e32 v[20:21], v[14:15], v[0:1]
	ds_load_b32 v1, v19 offset:1024
	v_lshlrev_b64_e32 v[20:21], 2, v[20:21]
	v_sub_nc_u64_e32 v[20:21], s[14:15], v[20:21]
	s_wait_dscnt 0x0
	global_store_b32 v[20:21], v1, off offset:-1028
.LBB660_165:
	s_wait_xcnt 0x0
	s_and_not1_saveexec_b32 s1, s1
	s_cbranch_execz .LBB660_167
; %bb.166:
	v_lshlrev_b32_e32 v1, 2, v0
	v_readfirstlane_b32 s6, v8
	v_readfirstlane_b32 s7, v9
	ds_load_b32 v1, v1 offset:1024
	s_wait_dscnt 0x0
	global_store_b32 v0, v1, s[6:7] offset:1024 scale_offset
.LBB660_167:
	s_wait_xcnt 0x0
	s_or_b32 exec_lo, exec_lo, s1
.LBB660_168:
	s_and_not1_saveexec_b32 s0, s0
	s_cbranch_execz .LBB660_170
; %bb.169:
	v_lshlrev_b32_e32 v1, 2, v0
	v_readfirstlane_b32 s6, v16
	v_readfirstlane_b32 s7, v17
	ds_load_b32 v1, v1 offset:1024
	s_wait_dscnt 0x0
	global_store_b32 v0, v1, s[6:7] offset:1024 scale_offset
.LBB660_170:
	s_wait_xcnt 0x0
	s_or_b32 exec_lo, exec_lo, s0
	v_or_b32_e32 v1, 0x200, v0
	s_mov_b32 s0, exec_lo
	s_delay_alu instid0(VALU_DEP_1)
	v_cmpx_ge_u32_e64 v1, v6
	s_xor_b32 s0, exec_lo, s0
	s_cbranch_execz .LBB660_176
; %bb.171:
	s_mov_b32 s1, exec_lo
	v_cmpx_ge_u32_e64 v1, v18
	s_xor_b32 s1, exec_lo, s1
	s_cbranch_execz .LBB660_173
; %bb.172:
	v_dual_mov_b32 v1, 0 :: v_dual_lshlrev_b32 v19, 2, v0
	s_delay_alu instid0(VALU_DEP_1) | instskip(SKIP_2) | instid1(VALU_DEP_1)
	v_add_nc_u64_e32 v[20:21], v[14:15], v[0:1]
	ds_load_b32 v1, v19 offset:2048
	v_lshlrev_b64_e32 v[20:21], 2, v[20:21]
	v_sub_nc_u64_e32 v[20:21], s[14:15], v[20:21]
	s_wait_dscnt 0x0
	global_store_b32 v[20:21], v1, off offset:-2052
.LBB660_173:
	s_wait_xcnt 0x0
	s_and_not1_saveexec_b32 s1, s1
	s_cbranch_execz .LBB660_175
; %bb.174:
	v_lshlrev_b32_e32 v1, 2, v0
	v_readfirstlane_b32 s6, v8
	v_readfirstlane_b32 s7, v9
	ds_load_b32 v1, v1 offset:2048
	s_wait_dscnt 0x0
	global_store_b32 v0, v1, s[6:7] offset:2048 scale_offset
.LBB660_175:
	s_wait_xcnt 0x0
	s_or_b32 exec_lo, exec_lo, s1
.LBB660_176:
	s_and_not1_saveexec_b32 s0, s0
	s_cbranch_execz .LBB660_178
; %bb.177:
	v_lshlrev_b32_e32 v1, 2, v0
	v_readfirstlane_b32 s6, v16
	v_readfirstlane_b32 s7, v17
	ds_load_b32 v1, v1 offset:2048
	s_wait_dscnt 0x0
	global_store_b32 v0, v1, s[6:7] offset:2048 scale_offset
.LBB660_178:
	;; [unrolled: 47-line block ×12, first 2 shown]
	s_wait_xcnt 0x0
	s_or_b32 exec_lo, exec_lo, s0
	s_branch .LBB660_152
.LBB660_259:
	s_mov_b32 s0, exec_lo
	v_cmpx_gt_u32_e64 s5, v0
	s_cbranch_execz .LBB660_268
; %bb.260:
	s_mov_b32 s1, exec_lo
	v_cmpx_ge_u32_e64 v0, v6
	s_xor_b32 s1, exec_lo, s1
	s_cbranch_execz .LBB660_266
; %bb.261:
	v_mov_b32_e32 v1, 0
	s_mov_b32 s3, exec_lo
	v_cmpx_ge_u32_e64 v0, v18
	s_xor_b32 s3, exec_lo, s3
	s_cbranch_execz .LBB660_263
; %bb.262:
	v_lshlrev_b32_e32 v19, 2, v0
	v_add_nc_u64_e32 v[20:21], v[14:15], v[0:1]
	ds_load_b32 v1, v19
	v_lshlrev_b64_e32 v[20:21], 2, v[20:21]
	s_delay_alu instid0(VALU_DEP_1)
	v_sub_nc_u64_e32 v[20:21], s[14:15], v[20:21]
	s_wait_dscnt 0x0
	global_store_b32 v[20:21], v1, off offset:-4
.LBB660_263:
	s_wait_xcnt 0x0
	s_and_not1_saveexec_b32 s3, s3
	s_cbranch_execz .LBB660_265
; %bb.264:
	v_lshlrev_b32_e32 v1, 2, v0
	v_readfirstlane_b32 s6, v8
	v_readfirstlane_b32 s7, v9
	ds_load_b32 v1, v1
	s_wait_dscnt 0x0
	global_store_b32 v0, v1, s[6:7] scale_offset
.LBB660_265:
	s_wait_xcnt 0x0
	s_or_b32 exec_lo, exec_lo, s3
.LBB660_266:
	s_and_not1_saveexec_b32 s1, s1
	s_cbranch_execz .LBB660_268
; %bb.267:
	v_lshlrev_b32_e32 v1, 2, v0
	v_readfirstlane_b32 s6, v16
	v_readfirstlane_b32 s7, v17
	ds_load_b32 v1, v1
	s_wait_dscnt 0x0
	global_store_b32 v0, v1, s[6:7] scale_offset
.LBB660_268:
	s_wait_xcnt 0x0
	s_or_b32 exec_lo, exec_lo, s0
	v_or_b32_e32 v1, 0x100, v0
	s_mov_b32 s0, exec_lo
	s_delay_alu instid0(VALU_DEP_1)
	v_cmpx_gt_u32_e64 s5, v1
	s_cbranch_execz .LBB660_277
; %bb.269:
	s_mov_b32 s1, exec_lo
	v_cmpx_ge_u32_e64 v1, v6
	s_xor_b32 s1, exec_lo, s1
	s_cbranch_execz .LBB660_275
; %bb.270:
	s_mov_b32 s3, exec_lo
	v_cmpx_ge_u32_e64 v1, v18
	s_xor_b32 s3, exec_lo, s3
	s_cbranch_execz .LBB660_272
; %bb.271:
	v_dual_mov_b32 v1, 0 :: v_dual_lshlrev_b32 v19, 2, v0
	s_delay_alu instid0(VALU_DEP_1) | instskip(SKIP_2) | instid1(VALU_DEP_1)
	v_add_nc_u64_e32 v[20:21], v[14:15], v[0:1]
	ds_load_b32 v1, v19 offset:1024
	v_lshlrev_b64_e32 v[20:21], 2, v[20:21]
	v_sub_nc_u64_e32 v[20:21], s[14:15], v[20:21]
	s_wait_dscnt 0x0
	global_store_b32 v[20:21], v1, off offset:-1028
.LBB660_272:
	s_wait_xcnt 0x0
	s_and_not1_saveexec_b32 s3, s3
	s_cbranch_execz .LBB660_274
; %bb.273:
	v_lshlrev_b32_e32 v1, 2, v0
	v_readfirstlane_b32 s6, v8
	v_readfirstlane_b32 s7, v9
	ds_load_b32 v1, v1 offset:1024
	s_wait_dscnt 0x0
	global_store_b32 v0, v1, s[6:7] offset:1024 scale_offset
.LBB660_274:
	s_wait_xcnt 0x0
	s_or_b32 exec_lo, exec_lo, s3
.LBB660_275:
	s_and_not1_saveexec_b32 s1, s1
	s_cbranch_execz .LBB660_277
; %bb.276:
	v_lshlrev_b32_e32 v1, 2, v0
	v_readfirstlane_b32 s6, v16
	v_readfirstlane_b32 s7, v17
	ds_load_b32 v1, v1 offset:1024
	s_wait_dscnt 0x0
	global_store_b32 v0, v1, s[6:7] offset:1024 scale_offset
.LBB660_277:
	s_wait_xcnt 0x0
	s_or_b32 exec_lo, exec_lo, s0
	v_or_b32_e32 v1, 0x200, v0
	s_mov_b32 s0, exec_lo
	s_delay_alu instid0(VALU_DEP_1)
	v_cmpx_gt_u32_e64 s5, v1
	s_cbranch_execz .LBB660_286
; %bb.278:
	s_mov_b32 s1, exec_lo
	v_cmpx_ge_u32_e64 v1, v6
	s_xor_b32 s1, exec_lo, s1
	s_cbranch_execz .LBB660_284
; %bb.279:
	s_mov_b32 s3, exec_lo
	v_cmpx_ge_u32_e64 v1, v18
	s_xor_b32 s3, exec_lo, s3
	s_cbranch_execz .LBB660_281
; %bb.280:
	v_dual_mov_b32 v1, 0 :: v_dual_lshlrev_b32 v19, 2, v0
	s_delay_alu instid0(VALU_DEP_1) | instskip(SKIP_2) | instid1(VALU_DEP_1)
	v_add_nc_u64_e32 v[20:21], v[14:15], v[0:1]
	ds_load_b32 v1, v19 offset:2048
	v_lshlrev_b64_e32 v[20:21], 2, v[20:21]
	v_sub_nc_u64_e32 v[20:21], s[14:15], v[20:21]
	s_wait_dscnt 0x0
	global_store_b32 v[20:21], v1, off offset:-2052
.LBB660_281:
	s_wait_xcnt 0x0
	s_and_not1_saveexec_b32 s3, s3
	s_cbranch_execz .LBB660_283
; %bb.282:
	v_lshlrev_b32_e32 v1, 2, v0
	v_readfirstlane_b32 s6, v8
	v_readfirstlane_b32 s7, v9
	ds_load_b32 v1, v1 offset:2048
	s_wait_dscnt 0x0
	global_store_b32 v0, v1, s[6:7] offset:2048 scale_offset
.LBB660_283:
	s_wait_xcnt 0x0
	s_or_b32 exec_lo, exec_lo, s3
.LBB660_284:
	s_and_not1_saveexec_b32 s1, s1
	s_cbranch_execz .LBB660_286
; %bb.285:
	v_lshlrev_b32_e32 v1, 2, v0
	v_readfirstlane_b32 s6, v16
	v_readfirstlane_b32 s7, v17
	ds_load_b32 v1, v1 offset:2048
	s_wait_dscnt 0x0
	global_store_b32 v0, v1, s[6:7] offset:2048 scale_offset
.LBB660_286:
	;; [unrolled: 51-line block ×11, first 2 shown]
	s_wait_xcnt 0x0
	s_or_b32 exec_lo, exec_lo, s0
	v_or_b32_e32 v1, 0xc00, v0
	s_mov_b32 s0, exec_lo
	s_delay_alu instid0(VALU_DEP_1)
	v_cmpx_gt_u32_e64 s5, v1
	s_cbranch_execz .LBB660_376
; %bb.368:
	s_mov_b32 s1, exec_lo
	v_cmpx_ge_u32_e64 v1, v6
	s_xor_b32 s1, exec_lo, s1
	s_cbranch_execz .LBB660_374
; %bb.369:
	s_mov_b32 s3, exec_lo
	v_cmpx_ge_u32_e64 v1, v18
	s_xor_b32 s3, exec_lo, s3
	s_cbranch_execz .LBB660_371
; %bb.370:
	v_dual_mov_b32 v1, 0 :: v_dual_lshlrev_b32 v8, 2, v0
	s_delay_alu instid0(VALU_DEP_1) | instskip(SKIP_2) | instid1(VALU_DEP_1)
	v_add_nc_u64_e32 v[0:1], v[14:15], v[0:1]
	ds_load_b32 v8, v8 offset:12288
	v_lshlrev_b64_e32 v[0:1], 2, v[0:1]
	v_sub_nc_u64_e32 v[0:1], s[14:15], v[0:1]
	s_wait_dscnt 0x0
	global_store_b32 v[0:1], v8, off offset:-12292
                                        ; implicit-def: $vgpr0
                                        ; implicit-def: $vgpr8_vgpr9
.LBB660_371:
	s_wait_xcnt 0x0
	s_and_not1_saveexec_b32 s3, s3
	s_cbranch_execz .LBB660_373
; %bb.372:
	v_lshlrev_b32_e32 v1, 2, v0
	v_readfirstlane_b32 s4, v8
	v_readfirstlane_b32 s5, v9
	ds_load_b32 v1, v1 offset:12288
	s_wait_dscnt 0x0
	global_store_b32 v0, v1, s[4:5] offset:12288 scale_offset
.LBB660_373:
	s_wait_xcnt 0x0
	s_or_b32 exec_lo, exec_lo, s3
                                        ; implicit-def: $vgpr0
                                        ; implicit-def: $vgpr16_vgpr17
.LBB660_374:
	s_and_not1_saveexec_b32 s1, s1
	s_cbranch_execz .LBB660_376
; %bb.375:
	v_lshlrev_b32_e32 v1, 2, v0
	v_readfirstlane_b32 s4, v16
	v_readfirstlane_b32 s5, v17
	ds_load_b32 v1, v1 offset:12288
	s_wait_dscnt 0x0
	global_store_b32 v0, v1, s[4:5] offset:12288 scale_offset
.LBB660_376:
	s_wait_xcnt 0x0
	s_or_b32 exec_lo, exec_lo, s0
	s_and_b32 s0, s2, s26
	s_delay_alu instid0(SALU_CYCLE_1)
	s_and_saveexec_b32 s1, s0
	s_cbranch_execz .LBB660_153
.LBB660_377:
	v_add_nc_u64_e32 v[0:1], v[4:5], v[12:13]
	v_add_nc_u64_e32 v[2:3], v[2:3], v[6:7]
	s_delay_alu instid0(VALU_DEP_2)
	v_add_nc_u64_e32 v[4:5], v[0:1], v[10:11]
	v_mov_b32_e32 v0, 0
	global_store_b128 v0, v[2:5], s[24:25]
	s_sendmsg sendmsg(MSG_DEALLOC_VGPRS)
	s_endpgm
	.section	.rodata,"a",@progbits
	.p2align	6, 0x0
	.amdhsa_kernel _ZN7rocprim17ROCPRIM_400000_NS6detail17trampoline_kernelINS0_13select_configILj256ELj13ELNS0_17block_load_methodE3ELS4_3ELS4_3ELNS0_20block_scan_algorithmE0ELj4294967295EEENS1_25partition_config_selectorILNS1_17partition_subalgoE4EjNS0_10empty_typeEbEEZZNS1_14partition_implILS8_4ELb0ES6_15HIP_vector_typeIjLj2EENS0_17counting_iteratorIjlEEPS9_SG_NS0_5tupleIJPjSI_NS0_16reverse_iteratorISI_EEEEENSH_IJSG_SG_SG_EEES9_SI_JZNS1_25segmented_radix_sort_implINS0_14default_configELb1EPKlPlSQ_SR_N2at6native12_GLOBAL__N_18offset_tEEE10hipError_tPvRmT1_PNSt15iterator_traitsISZ_E10value_typeET2_T3_PNS10_IS15_E10value_typeET4_jRbjT5_S1B_jjP12ihipStream_tbEUljE_ZNSN_ISO_Lb1ESQ_SR_SQ_SR_SV_EESW_SX_SY_SZ_S13_S14_S15_S18_S19_jS1A_jS1B_S1B_jjS1D_bEUljE0_EEESW_SX_SY_S15_S19_S1B_T6_T7_T9_mT8_S1D_bDpT10_ENKUlT_T0_E_clISt17integral_constantIbLb0EES1Q_IbLb1EEEEDaS1M_S1N_EUlS1M_E_NS1_11comp_targetILNS1_3genE0ELNS1_11target_archE4294967295ELNS1_3gpuE0ELNS1_3repE0EEENS1_30default_config_static_selectorELNS0_4arch9wavefront6targetE0EEEvSZ_
		.amdhsa_group_segment_fixed_size 13328
		.amdhsa_private_segment_fixed_size 0
		.amdhsa_kernarg_size 184
		.amdhsa_user_sgpr_count 2
		.amdhsa_user_sgpr_dispatch_ptr 0
		.amdhsa_user_sgpr_queue_ptr 0
		.amdhsa_user_sgpr_kernarg_segment_ptr 1
		.amdhsa_user_sgpr_dispatch_id 0
		.amdhsa_user_sgpr_kernarg_preload_length 0
		.amdhsa_user_sgpr_kernarg_preload_offset 0
		.amdhsa_user_sgpr_private_segment_size 0
		.amdhsa_wavefront_size32 1
		.amdhsa_uses_dynamic_stack 0
		.amdhsa_enable_private_segment 0
		.amdhsa_system_sgpr_workgroup_id_x 1
		.amdhsa_system_sgpr_workgroup_id_y 0
		.amdhsa_system_sgpr_workgroup_id_z 0
		.amdhsa_system_sgpr_workgroup_info 0
		.amdhsa_system_vgpr_workitem_id 0
		.amdhsa_next_free_vgpr 86
		.amdhsa_next_free_sgpr 55
		.amdhsa_named_barrier_count 0
		.amdhsa_reserve_vcc 1
		.amdhsa_float_round_mode_32 0
		.amdhsa_float_round_mode_16_64 0
		.amdhsa_float_denorm_mode_32 3
		.amdhsa_float_denorm_mode_16_64 3
		.amdhsa_fp16_overflow 0
		.amdhsa_memory_ordered 1
		.amdhsa_forward_progress 1
		.amdhsa_inst_pref_size 140
		.amdhsa_round_robin_scheduling 0
		.amdhsa_exception_fp_ieee_invalid_op 0
		.amdhsa_exception_fp_denorm_src 0
		.amdhsa_exception_fp_ieee_div_zero 0
		.amdhsa_exception_fp_ieee_overflow 0
		.amdhsa_exception_fp_ieee_underflow 0
		.amdhsa_exception_fp_ieee_inexact 0
		.amdhsa_exception_int_div_zero 0
	.end_amdhsa_kernel
	.section	.text._ZN7rocprim17ROCPRIM_400000_NS6detail17trampoline_kernelINS0_13select_configILj256ELj13ELNS0_17block_load_methodE3ELS4_3ELS4_3ELNS0_20block_scan_algorithmE0ELj4294967295EEENS1_25partition_config_selectorILNS1_17partition_subalgoE4EjNS0_10empty_typeEbEEZZNS1_14partition_implILS8_4ELb0ES6_15HIP_vector_typeIjLj2EENS0_17counting_iteratorIjlEEPS9_SG_NS0_5tupleIJPjSI_NS0_16reverse_iteratorISI_EEEEENSH_IJSG_SG_SG_EEES9_SI_JZNS1_25segmented_radix_sort_implINS0_14default_configELb1EPKlPlSQ_SR_N2at6native12_GLOBAL__N_18offset_tEEE10hipError_tPvRmT1_PNSt15iterator_traitsISZ_E10value_typeET2_T3_PNS10_IS15_E10value_typeET4_jRbjT5_S1B_jjP12ihipStream_tbEUljE_ZNSN_ISO_Lb1ESQ_SR_SQ_SR_SV_EESW_SX_SY_SZ_S13_S14_S15_S18_S19_jS1A_jS1B_S1B_jjS1D_bEUljE0_EEESW_SX_SY_S15_S19_S1B_T6_T7_T9_mT8_S1D_bDpT10_ENKUlT_T0_E_clISt17integral_constantIbLb0EES1Q_IbLb1EEEEDaS1M_S1N_EUlS1M_E_NS1_11comp_targetILNS1_3genE0ELNS1_11target_archE4294967295ELNS1_3gpuE0ELNS1_3repE0EEENS1_30default_config_static_selectorELNS0_4arch9wavefront6targetE0EEEvSZ_,"axG",@progbits,_ZN7rocprim17ROCPRIM_400000_NS6detail17trampoline_kernelINS0_13select_configILj256ELj13ELNS0_17block_load_methodE3ELS4_3ELS4_3ELNS0_20block_scan_algorithmE0ELj4294967295EEENS1_25partition_config_selectorILNS1_17partition_subalgoE4EjNS0_10empty_typeEbEEZZNS1_14partition_implILS8_4ELb0ES6_15HIP_vector_typeIjLj2EENS0_17counting_iteratorIjlEEPS9_SG_NS0_5tupleIJPjSI_NS0_16reverse_iteratorISI_EEEEENSH_IJSG_SG_SG_EEES9_SI_JZNS1_25segmented_radix_sort_implINS0_14default_configELb1EPKlPlSQ_SR_N2at6native12_GLOBAL__N_18offset_tEEE10hipError_tPvRmT1_PNSt15iterator_traitsISZ_E10value_typeET2_T3_PNS10_IS15_E10value_typeET4_jRbjT5_S1B_jjP12ihipStream_tbEUljE_ZNSN_ISO_Lb1ESQ_SR_SQ_SR_SV_EESW_SX_SY_SZ_S13_S14_S15_S18_S19_jS1A_jS1B_S1B_jjS1D_bEUljE0_EEESW_SX_SY_S15_S19_S1B_T6_T7_T9_mT8_S1D_bDpT10_ENKUlT_T0_E_clISt17integral_constantIbLb0EES1Q_IbLb1EEEEDaS1M_S1N_EUlS1M_E_NS1_11comp_targetILNS1_3genE0ELNS1_11target_archE4294967295ELNS1_3gpuE0ELNS1_3repE0EEENS1_30default_config_static_selectorELNS0_4arch9wavefront6targetE0EEEvSZ_,comdat
.Lfunc_end660:
	.size	_ZN7rocprim17ROCPRIM_400000_NS6detail17trampoline_kernelINS0_13select_configILj256ELj13ELNS0_17block_load_methodE3ELS4_3ELS4_3ELNS0_20block_scan_algorithmE0ELj4294967295EEENS1_25partition_config_selectorILNS1_17partition_subalgoE4EjNS0_10empty_typeEbEEZZNS1_14partition_implILS8_4ELb0ES6_15HIP_vector_typeIjLj2EENS0_17counting_iteratorIjlEEPS9_SG_NS0_5tupleIJPjSI_NS0_16reverse_iteratorISI_EEEEENSH_IJSG_SG_SG_EEES9_SI_JZNS1_25segmented_radix_sort_implINS0_14default_configELb1EPKlPlSQ_SR_N2at6native12_GLOBAL__N_18offset_tEEE10hipError_tPvRmT1_PNSt15iterator_traitsISZ_E10value_typeET2_T3_PNS10_IS15_E10value_typeET4_jRbjT5_S1B_jjP12ihipStream_tbEUljE_ZNSN_ISO_Lb1ESQ_SR_SQ_SR_SV_EESW_SX_SY_SZ_S13_S14_S15_S18_S19_jS1A_jS1B_S1B_jjS1D_bEUljE0_EEESW_SX_SY_S15_S19_S1B_T6_T7_T9_mT8_S1D_bDpT10_ENKUlT_T0_E_clISt17integral_constantIbLb0EES1Q_IbLb1EEEEDaS1M_S1N_EUlS1M_E_NS1_11comp_targetILNS1_3genE0ELNS1_11target_archE4294967295ELNS1_3gpuE0ELNS1_3repE0EEENS1_30default_config_static_selectorELNS0_4arch9wavefront6targetE0EEEvSZ_, .Lfunc_end660-_ZN7rocprim17ROCPRIM_400000_NS6detail17trampoline_kernelINS0_13select_configILj256ELj13ELNS0_17block_load_methodE3ELS4_3ELS4_3ELNS0_20block_scan_algorithmE0ELj4294967295EEENS1_25partition_config_selectorILNS1_17partition_subalgoE4EjNS0_10empty_typeEbEEZZNS1_14partition_implILS8_4ELb0ES6_15HIP_vector_typeIjLj2EENS0_17counting_iteratorIjlEEPS9_SG_NS0_5tupleIJPjSI_NS0_16reverse_iteratorISI_EEEEENSH_IJSG_SG_SG_EEES9_SI_JZNS1_25segmented_radix_sort_implINS0_14default_configELb1EPKlPlSQ_SR_N2at6native12_GLOBAL__N_18offset_tEEE10hipError_tPvRmT1_PNSt15iterator_traitsISZ_E10value_typeET2_T3_PNS10_IS15_E10value_typeET4_jRbjT5_S1B_jjP12ihipStream_tbEUljE_ZNSN_ISO_Lb1ESQ_SR_SQ_SR_SV_EESW_SX_SY_SZ_S13_S14_S15_S18_S19_jS1A_jS1B_S1B_jjS1D_bEUljE0_EEESW_SX_SY_S15_S19_S1B_T6_T7_T9_mT8_S1D_bDpT10_ENKUlT_T0_E_clISt17integral_constantIbLb0EES1Q_IbLb1EEEEDaS1M_S1N_EUlS1M_E_NS1_11comp_targetILNS1_3genE0ELNS1_11target_archE4294967295ELNS1_3gpuE0ELNS1_3repE0EEENS1_30default_config_static_selectorELNS0_4arch9wavefront6targetE0EEEvSZ_
                                        ; -- End function
	.set _ZN7rocprim17ROCPRIM_400000_NS6detail17trampoline_kernelINS0_13select_configILj256ELj13ELNS0_17block_load_methodE3ELS4_3ELS4_3ELNS0_20block_scan_algorithmE0ELj4294967295EEENS1_25partition_config_selectorILNS1_17partition_subalgoE4EjNS0_10empty_typeEbEEZZNS1_14partition_implILS8_4ELb0ES6_15HIP_vector_typeIjLj2EENS0_17counting_iteratorIjlEEPS9_SG_NS0_5tupleIJPjSI_NS0_16reverse_iteratorISI_EEEEENSH_IJSG_SG_SG_EEES9_SI_JZNS1_25segmented_radix_sort_implINS0_14default_configELb1EPKlPlSQ_SR_N2at6native12_GLOBAL__N_18offset_tEEE10hipError_tPvRmT1_PNSt15iterator_traitsISZ_E10value_typeET2_T3_PNS10_IS15_E10value_typeET4_jRbjT5_S1B_jjP12ihipStream_tbEUljE_ZNSN_ISO_Lb1ESQ_SR_SQ_SR_SV_EESW_SX_SY_SZ_S13_S14_S15_S18_S19_jS1A_jS1B_S1B_jjS1D_bEUljE0_EEESW_SX_SY_S15_S19_S1B_T6_T7_T9_mT8_S1D_bDpT10_ENKUlT_T0_E_clISt17integral_constantIbLb0EES1Q_IbLb1EEEEDaS1M_S1N_EUlS1M_E_NS1_11comp_targetILNS1_3genE0ELNS1_11target_archE4294967295ELNS1_3gpuE0ELNS1_3repE0EEENS1_30default_config_static_selectorELNS0_4arch9wavefront6targetE0EEEvSZ_.num_vgpr, 86
	.set _ZN7rocprim17ROCPRIM_400000_NS6detail17trampoline_kernelINS0_13select_configILj256ELj13ELNS0_17block_load_methodE3ELS4_3ELS4_3ELNS0_20block_scan_algorithmE0ELj4294967295EEENS1_25partition_config_selectorILNS1_17partition_subalgoE4EjNS0_10empty_typeEbEEZZNS1_14partition_implILS8_4ELb0ES6_15HIP_vector_typeIjLj2EENS0_17counting_iteratorIjlEEPS9_SG_NS0_5tupleIJPjSI_NS0_16reverse_iteratorISI_EEEEENSH_IJSG_SG_SG_EEES9_SI_JZNS1_25segmented_radix_sort_implINS0_14default_configELb1EPKlPlSQ_SR_N2at6native12_GLOBAL__N_18offset_tEEE10hipError_tPvRmT1_PNSt15iterator_traitsISZ_E10value_typeET2_T3_PNS10_IS15_E10value_typeET4_jRbjT5_S1B_jjP12ihipStream_tbEUljE_ZNSN_ISO_Lb1ESQ_SR_SQ_SR_SV_EESW_SX_SY_SZ_S13_S14_S15_S18_S19_jS1A_jS1B_S1B_jjS1D_bEUljE0_EEESW_SX_SY_S15_S19_S1B_T6_T7_T9_mT8_S1D_bDpT10_ENKUlT_T0_E_clISt17integral_constantIbLb0EES1Q_IbLb1EEEEDaS1M_S1N_EUlS1M_E_NS1_11comp_targetILNS1_3genE0ELNS1_11target_archE4294967295ELNS1_3gpuE0ELNS1_3repE0EEENS1_30default_config_static_selectorELNS0_4arch9wavefront6targetE0EEEvSZ_.num_agpr, 0
	.set _ZN7rocprim17ROCPRIM_400000_NS6detail17trampoline_kernelINS0_13select_configILj256ELj13ELNS0_17block_load_methodE3ELS4_3ELS4_3ELNS0_20block_scan_algorithmE0ELj4294967295EEENS1_25partition_config_selectorILNS1_17partition_subalgoE4EjNS0_10empty_typeEbEEZZNS1_14partition_implILS8_4ELb0ES6_15HIP_vector_typeIjLj2EENS0_17counting_iteratorIjlEEPS9_SG_NS0_5tupleIJPjSI_NS0_16reverse_iteratorISI_EEEEENSH_IJSG_SG_SG_EEES9_SI_JZNS1_25segmented_radix_sort_implINS0_14default_configELb1EPKlPlSQ_SR_N2at6native12_GLOBAL__N_18offset_tEEE10hipError_tPvRmT1_PNSt15iterator_traitsISZ_E10value_typeET2_T3_PNS10_IS15_E10value_typeET4_jRbjT5_S1B_jjP12ihipStream_tbEUljE_ZNSN_ISO_Lb1ESQ_SR_SQ_SR_SV_EESW_SX_SY_SZ_S13_S14_S15_S18_S19_jS1A_jS1B_S1B_jjS1D_bEUljE0_EEESW_SX_SY_S15_S19_S1B_T6_T7_T9_mT8_S1D_bDpT10_ENKUlT_T0_E_clISt17integral_constantIbLb0EES1Q_IbLb1EEEEDaS1M_S1N_EUlS1M_E_NS1_11comp_targetILNS1_3genE0ELNS1_11target_archE4294967295ELNS1_3gpuE0ELNS1_3repE0EEENS1_30default_config_static_selectorELNS0_4arch9wavefront6targetE0EEEvSZ_.numbered_sgpr, 55
	.set _ZN7rocprim17ROCPRIM_400000_NS6detail17trampoline_kernelINS0_13select_configILj256ELj13ELNS0_17block_load_methodE3ELS4_3ELS4_3ELNS0_20block_scan_algorithmE0ELj4294967295EEENS1_25partition_config_selectorILNS1_17partition_subalgoE4EjNS0_10empty_typeEbEEZZNS1_14partition_implILS8_4ELb0ES6_15HIP_vector_typeIjLj2EENS0_17counting_iteratorIjlEEPS9_SG_NS0_5tupleIJPjSI_NS0_16reverse_iteratorISI_EEEEENSH_IJSG_SG_SG_EEES9_SI_JZNS1_25segmented_radix_sort_implINS0_14default_configELb1EPKlPlSQ_SR_N2at6native12_GLOBAL__N_18offset_tEEE10hipError_tPvRmT1_PNSt15iterator_traitsISZ_E10value_typeET2_T3_PNS10_IS15_E10value_typeET4_jRbjT5_S1B_jjP12ihipStream_tbEUljE_ZNSN_ISO_Lb1ESQ_SR_SQ_SR_SV_EESW_SX_SY_SZ_S13_S14_S15_S18_S19_jS1A_jS1B_S1B_jjS1D_bEUljE0_EEESW_SX_SY_S15_S19_S1B_T6_T7_T9_mT8_S1D_bDpT10_ENKUlT_T0_E_clISt17integral_constantIbLb0EES1Q_IbLb1EEEEDaS1M_S1N_EUlS1M_E_NS1_11comp_targetILNS1_3genE0ELNS1_11target_archE4294967295ELNS1_3gpuE0ELNS1_3repE0EEENS1_30default_config_static_selectorELNS0_4arch9wavefront6targetE0EEEvSZ_.num_named_barrier, 0
	.set _ZN7rocprim17ROCPRIM_400000_NS6detail17trampoline_kernelINS0_13select_configILj256ELj13ELNS0_17block_load_methodE3ELS4_3ELS4_3ELNS0_20block_scan_algorithmE0ELj4294967295EEENS1_25partition_config_selectorILNS1_17partition_subalgoE4EjNS0_10empty_typeEbEEZZNS1_14partition_implILS8_4ELb0ES6_15HIP_vector_typeIjLj2EENS0_17counting_iteratorIjlEEPS9_SG_NS0_5tupleIJPjSI_NS0_16reverse_iteratorISI_EEEEENSH_IJSG_SG_SG_EEES9_SI_JZNS1_25segmented_radix_sort_implINS0_14default_configELb1EPKlPlSQ_SR_N2at6native12_GLOBAL__N_18offset_tEEE10hipError_tPvRmT1_PNSt15iterator_traitsISZ_E10value_typeET2_T3_PNS10_IS15_E10value_typeET4_jRbjT5_S1B_jjP12ihipStream_tbEUljE_ZNSN_ISO_Lb1ESQ_SR_SQ_SR_SV_EESW_SX_SY_SZ_S13_S14_S15_S18_S19_jS1A_jS1B_S1B_jjS1D_bEUljE0_EEESW_SX_SY_S15_S19_S1B_T6_T7_T9_mT8_S1D_bDpT10_ENKUlT_T0_E_clISt17integral_constantIbLb0EES1Q_IbLb1EEEEDaS1M_S1N_EUlS1M_E_NS1_11comp_targetILNS1_3genE0ELNS1_11target_archE4294967295ELNS1_3gpuE0ELNS1_3repE0EEENS1_30default_config_static_selectorELNS0_4arch9wavefront6targetE0EEEvSZ_.private_seg_size, 0
	.set _ZN7rocprim17ROCPRIM_400000_NS6detail17trampoline_kernelINS0_13select_configILj256ELj13ELNS0_17block_load_methodE3ELS4_3ELS4_3ELNS0_20block_scan_algorithmE0ELj4294967295EEENS1_25partition_config_selectorILNS1_17partition_subalgoE4EjNS0_10empty_typeEbEEZZNS1_14partition_implILS8_4ELb0ES6_15HIP_vector_typeIjLj2EENS0_17counting_iteratorIjlEEPS9_SG_NS0_5tupleIJPjSI_NS0_16reverse_iteratorISI_EEEEENSH_IJSG_SG_SG_EEES9_SI_JZNS1_25segmented_radix_sort_implINS0_14default_configELb1EPKlPlSQ_SR_N2at6native12_GLOBAL__N_18offset_tEEE10hipError_tPvRmT1_PNSt15iterator_traitsISZ_E10value_typeET2_T3_PNS10_IS15_E10value_typeET4_jRbjT5_S1B_jjP12ihipStream_tbEUljE_ZNSN_ISO_Lb1ESQ_SR_SQ_SR_SV_EESW_SX_SY_SZ_S13_S14_S15_S18_S19_jS1A_jS1B_S1B_jjS1D_bEUljE0_EEESW_SX_SY_S15_S19_S1B_T6_T7_T9_mT8_S1D_bDpT10_ENKUlT_T0_E_clISt17integral_constantIbLb0EES1Q_IbLb1EEEEDaS1M_S1N_EUlS1M_E_NS1_11comp_targetILNS1_3genE0ELNS1_11target_archE4294967295ELNS1_3gpuE0ELNS1_3repE0EEENS1_30default_config_static_selectorELNS0_4arch9wavefront6targetE0EEEvSZ_.uses_vcc, 1
	.set _ZN7rocprim17ROCPRIM_400000_NS6detail17trampoline_kernelINS0_13select_configILj256ELj13ELNS0_17block_load_methodE3ELS4_3ELS4_3ELNS0_20block_scan_algorithmE0ELj4294967295EEENS1_25partition_config_selectorILNS1_17partition_subalgoE4EjNS0_10empty_typeEbEEZZNS1_14partition_implILS8_4ELb0ES6_15HIP_vector_typeIjLj2EENS0_17counting_iteratorIjlEEPS9_SG_NS0_5tupleIJPjSI_NS0_16reverse_iteratorISI_EEEEENSH_IJSG_SG_SG_EEES9_SI_JZNS1_25segmented_radix_sort_implINS0_14default_configELb1EPKlPlSQ_SR_N2at6native12_GLOBAL__N_18offset_tEEE10hipError_tPvRmT1_PNSt15iterator_traitsISZ_E10value_typeET2_T3_PNS10_IS15_E10value_typeET4_jRbjT5_S1B_jjP12ihipStream_tbEUljE_ZNSN_ISO_Lb1ESQ_SR_SQ_SR_SV_EESW_SX_SY_SZ_S13_S14_S15_S18_S19_jS1A_jS1B_S1B_jjS1D_bEUljE0_EEESW_SX_SY_S15_S19_S1B_T6_T7_T9_mT8_S1D_bDpT10_ENKUlT_T0_E_clISt17integral_constantIbLb0EES1Q_IbLb1EEEEDaS1M_S1N_EUlS1M_E_NS1_11comp_targetILNS1_3genE0ELNS1_11target_archE4294967295ELNS1_3gpuE0ELNS1_3repE0EEENS1_30default_config_static_selectorELNS0_4arch9wavefront6targetE0EEEvSZ_.uses_flat_scratch, 0
	.set _ZN7rocprim17ROCPRIM_400000_NS6detail17trampoline_kernelINS0_13select_configILj256ELj13ELNS0_17block_load_methodE3ELS4_3ELS4_3ELNS0_20block_scan_algorithmE0ELj4294967295EEENS1_25partition_config_selectorILNS1_17partition_subalgoE4EjNS0_10empty_typeEbEEZZNS1_14partition_implILS8_4ELb0ES6_15HIP_vector_typeIjLj2EENS0_17counting_iteratorIjlEEPS9_SG_NS0_5tupleIJPjSI_NS0_16reverse_iteratorISI_EEEEENSH_IJSG_SG_SG_EEES9_SI_JZNS1_25segmented_radix_sort_implINS0_14default_configELb1EPKlPlSQ_SR_N2at6native12_GLOBAL__N_18offset_tEEE10hipError_tPvRmT1_PNSt15iterator_traitsISZ_E10value_typeET2_T3_PNS10_IS15_E10value_typeET4_jRbjT5_S1B_jjP12ihipStream_tbEUljE_ZNSN_ISO_Lb1ESQ_SR_SQ_SR_SV_EESW_SX_SY_SZ_S13_S14_S15_S18_S19_jS1A_jS1B_S1B_jjS1D_bEUljE0_EEESW_SX_SY_S15_S19_S1B_T6_T7_T9_mT8_S1D_bDpT10_ENKUlT_T0_E_clISt17integral_constantIbLb0EES1Q_IbLb1EEEEDaS1M_S1N_EUlS1M_E_NS1_11comp_targetILNS1_3genE0ELNS1_11target_archE4294967295ELNS1_3gpuE0ELNS1_3repE0EEENS1_30default_config_static_selectorELNS0_4arch9wavefront6targetE0EEEvSZ_.has_dyn_sized_stack, 0
	.set _ZN7rocprim17ROCPRIM_400000_NS6detail17trampoline_kernelINS0_13select_configILj256ELj13ELNS0_17block_load_methodE3ELS4_3ELS4_3ELNS0_20block_scan_algorithmE0ELj4294967295EEENS1_25partition_config_selectorILNS1_17partition_subalgoE4EjNS0_10empty_typeEbEEZZNS1_14partition_implILS8_4ELb0ES6_15HIP_vector_typeIjLj2EENS0_17counting_iteratorIjlEEPS9_SG_NS0_5tupleIJPjSI_NS0_16reverse_iteratorISI_EEEEENSH_IJSG_SG_SG_EEES9_SI_JZNS1_25segmented_radix_sort_implINS0_14default_configELb1EPKlPlSQ_SR_N2at6native12_GLOBAL__N_18offset_tEEE10hipError_tPvRmT1_PNSt15iterator_traitsISZ_E10value_typeET2_T3_PNS10_IS15_E10value_typeET4_jRbjT5_S1B_jjP12ihipStream_tbEUljE_ZNSN_ISO_Lb1ESQ_SR_SQ_SR_SV_EESW_SX_SY_SZ_S13_S14_S15_S18_S19_jS1A_jS1B_S1B_jjS1D_bEUljE0_EEESW_SX_SY_S15_S19_S1B_T6_T7_T9_mT8_S1D_bDpT10_ENKUlT_T0_E_clISt17integral_constantIbLb0EES1Q_IbLb1EEEEDaS1M_S1N_EUlS1M_E_NS1_11comp_targetILNS1_3genE0ELNS1_11target_archE4294967295ELNS1_3gpuE0ELNS1_3repE0EEENS1_30default_config_static_selectorELNS0_4arch9wavefront6targetE0EEEvSZ_.has_recursion, 0
	.set _ZN7rocprim17ROCPRIM_400000_NS6detail17trampoline_kernelINS0_13select_configILj256ELj13ELNS0_17block_load_methodE3ELS4_3ELS4_3ELNS0_20block_scan_algorithmE0ELj4294967295EEENS1_25partition_config_selectorILNS1_17partition_subalgoE4EjNS0_10empty_typeEbEEZZNS1_14partition_implILS8_4ELb0ES6_15HIP_vector_typeIjLj2EENS0_17counting_iteratorIjlEEPS9_SG_NS0_5tupleIJPjSI_NS0_16reverse_iteratorISI_EEEEENSH_IJSG_SG_SG_EEES9_SI_JZNS1_25segmented_radix_sort_implINS0_14default_configELb1EPKlPlSQ_SR_N2at6native12_GLOBAL__N_18offset_tEEE10hipError_tPvRmT1_PNSt15iterator_traitsISZ_E10value_typeET2_T3_PNS10_IS15_E10value_typeET4_jRbjT5_S1B_jjP12ihipStream_tbEUljE_ZNSN_ISO_Lb1ESQ_SR_SQ_SR_SV_EESW_SX_SY_SZ_S13_S14_S15_S18_S19_jS1A_jS1B_S1B_jjS1D_bEUljE0_EEESW_SX_SY_S15_S19_S1B_T6_T7_T9_mT8_S1D_bDpT10_ENKUlT_T0_E_clISt17integral_constantIbLb0EES1Q_IbLb1EEEEDaS1M_S1N_EUlS1M_E_NS1_11comp_targetILNS1_3genE0ELNS1_11target_archE4294967295ELNS1_3gpuE0ELNS1_3repE0EEENS1_30default_config_static_selectorELNS0_4arch9wavefront6targetE0EEEvSZ_.has_indirect_call, 0
	.section	.AMDGPU.csdata,"",@progbits
; Kernel info:
; codeLenInByte = 17828
; TotalNumSgprs: 57
; NumVgprs: 86
; ScratchSize: 0
; MemoryBound: 0
; FloatMode: 240
; IeeeMode: 1
; LDSByteSize: 13328 bytes/workgroup (compile time only)
; SGPRBlocks: 0
; VGPRBlocks: 5
; NumSGPRsForWavesPerEU: 57
; NumVGPRsForWavesPerEU: 86
; NamedBarCnt: 0
; Occupancy: 10
; WaveLimiterHint : 1
; COMPUTE_PGM_RSRC2:SCRATCH_EN: 0
; COMPUTE_PGM_RSRC2:USER_SGPR: 2
; COMPUTE_PGM_RSRC2:TRAP_HANDLER: 0
; COMPUTE_PGM_RSRC2:TGID_X_EN: 1
; COMPUTE_PGM_RSRC2:TGID_Y_EN: 0
; COMPUTE_PGM_RSRC2:TGID_Z_EN: 0
; COMPUTE_PGM_RSRC2:TIDIG_COMP_CNT: 0
	.section	.text._ZN7rocprim17ROCPRIM_400000_NS6detail17trampoline_kernelINS0_13select_configILj256ELj13ELNS0_17block_load_methodE3ELS4_3ELS4_3ELNS0_20block_scan_algorithmE0ELj4294967295EEENS1_25partition_config_selectorILNS1_17partition_subalgoE4EjNS0_10empty_typeEbEEZZNS1_14partition_implILS8_4ELb0ES6_15HIP_vector_typeIjLj2EENS0_17counting_iteratorIjlEEPS9_SG_NS0_5tupleIJPjSI_NS0_16reverse_iteratorISI_EEEEENSH_IJSG_SG_SG_EEES9_SI_JZNS1_25segmented_radix_sort_implINS0_14default_configELb1EPKlPlSQ_SR_N2at6native12_GLOBAL__N_18offset_tEEE10hipError_tPvRmT1_PNSt15iterator_traitsISZ_E10value_typeET2_T3_PNS10_IS15_E10value_typeET4_jRbjT5_S1B_jjP12ihipStream_tbEUljE_ZNSN_ISO_Lb1ESQ_SR_SQ_SR_SV_EESW_SX_SY_SZ_S13_S14_S15_S18_S19_jS1A_jS1B_S1B_jjS1D_bEUljE0_EEESW_SX_SY_S15_S19_S1B_T6_T7_T9_mT8_S1D_bDpT10_ENKUlT_T0_E_clISt17integral_constantIbLb0EES1Q_IbLb1EEEEDaS1M_S1N_EUlS1M_E_NS1_11comp_targetILNS1_3genE5ELNS1_11target_archE942ELNS1_3gpuE9ELNS1_3repE0EEENS1_30default_config_static_selectorELNS0_4arch9wavefront6targetE0EEEvSZ_,"axG",@progbits,_ZN7rocprim17ROCPRIM_400000_NS6detail17trampoline_kernelINS0_13select_configILj256ELj13ELNS0_17block_load_methodE3ELS4_3ELS4_3ELNS0_20block_scan_algorithmE0ELj4294967295EEENS1_25partition_config_selectorILNS1_17partition_subalgoE4EjNS0_10empty_typeEbEEZZNS1_14partition_implILS8_4ELb0ES6_15HIP_vector_typeIjLj2EENS0_17counting_iteratorIjlEEPS9_SG_NS0_5tupleIJPjSI_NS0_16reverse_iteratorISI_EEEEENSH_IJSG_SG_SG_EEES9_SI_JZNS1_25segmented_radix_sort_implINS0_14default_configELb1EPKlPlSQ_SR_N2at6native12_GLOBAL__N_18offset_tEEE10hipError_tPvRmT1_PNSt15iterator_traitsISZ_E10value_typeET2_T3_PNS10_IS15_E10value_typeET4_jRbjT5_S1B_jjP12ihipStream_tbEUljE_ZNSN_ISO_Lb1ESQ_SR_SQ_SR_SV_EESW_SX_SY_SZ_S13_S14_S15_S18_S19_jS1A_jS1B_S1B_jjS1D_bEUljE0_EEESW_SX_SY_S15_S19_S1B_T6_T7_T9_mT8_S1D_bDpT10_ENKUlT_T0_E_clISt17integral_constantIbLb0EES1Q_IbLb1EEEEDaS1M_S1N_EUlS1M_E_NS1_11comp_targetILNS1_3genE5ELNS1_11target_archE942ELNS1_3gpuE9ELNS1_3repE0EEENS1_30default_config_static_selectorELNS0_4arch9wavefront6targetE0EEEvSZ_,comdat
	.globl	_ZN7rocprim17ROCPRIM_400000_NS6detail17trampoline_kernelINS0_13select_configILj256ELj13ELNS0_17block_load_methodE3ELS4_3ELS4_3ELNS0_20block_scan_algorithmE0ELj4294967295EEENS1_25partition_config_selectorILNS1_17partition_subalgoE4EjNS0_10empty_typeEbEEZZNS1_14partition_implILS8_4ELb0ES6_15HIP_vector_typeIjLj2EENS0_17counting_iteratorIjlEEPS9_SG_NS0_5tupleIJPjSI_NS0_16reverse_iteratorISI_EEEEENSH_IJSG_SG_SG_EEES9_SI_JZNS1_25segmented_radix_sort_implINS0_14default_configELb1EPKlPlSQ_SR_N2at6native12_GLOBAL__N_18offset_tEEE10hipError_tPvRmT1_PNSt15iterator_traitsISZ_E10value_typeET2_T3_PNS10_IS15_E10value_typeET4_jRbjT5_S1B_jjP12ihipStream_tbEUljE_ZNSN_ISO_Lb1ESQ_SR_SQ_SR_SV_EESW_SX_SY_SZ_S13_S14_S15_S18_S19_jS1A_jS1B_S1B_jjS1D_bEUljE0_EEESW_SX_SY_S15_S19_S1B_T6_T7_T9_mT8_S1D_bDpT10_ENKUlT_T0_E_clISt17integral_constantIbLb0EES1Q_IbLb1EEEEDaS1M_S1N_EUlS1M_E_NS1_11comp_targetILNS1_3genE5ELNS1_11target_archE942ELNS1_3gpuE9ELNS1_3repE0EEENS1_30default_config_static_selectorELNS0_4arch9wavefront6targetE0EEEvSZ_ ; -- Begin function _ZN7rocprim17ROCPRIM_400000_NS6detail17trampoline_kernelINS0_13select_configILj256ELj13ELNS0_17block_load_methodE3ELS4_3ELS4_3ELNS0_20block_scan_algorithmE0ELj4294967295EEENS1_25partition_config_selectorILNS1_17partition_subalgoE4EjNS0_10empty_typeEbEEZZNS1_14partition_implILS8_4ELb0ES6_15HIP_vector_typeIjLj2EENS0_17counting_iteratorIjlEEPS9_SG_NS0_5tupleIJPjSI_NS0_16reverse_iteratorISI_EEEEENSH_IJSG_SG_SG_EEES9_SI_JZNS1_25segmented_radix_sort_implINS0_14default_configELb1EPKlPlSQ_SR_N2at6native12_GLOBAL__N_18offset_tEEE10hipError_tPvRmT1_PNSt15iterator_traitsISZ_E10value_typeET2_T3_PNS10_IS15_E10value_typeET4_jRbjT5_S1B_jjP12ihipStream_tbEUljE_ZNSN_ISO_Lb1ESQ_SR_SQ_SR_SV_EESW_SX_SY_SZ_S13_S14_S15_S18_S19_jS1A_jS1B_S1B_jjS1D_bEUljE0_EEESW_SX_SY_S15_S19_S1B_T6_T7_T9_mT8_S1D_bDpT10_ENKUlT_T0_E_clISt17integral_constantIbLb0EES1Q_IbLb1EEEEDaS1M_S1N_EUlS1M_E_NS1_11comp_targetILNS1_3genE5ELNS1_11target_archE942ELNS1_3gpuE9ELNS1_3repE0EEENS1_30default_config_static_selectorELNS0_4arch9wavefront6targetE0EEEvSZ_
	.p2align	8
	.type	_ZN7rocprim17ROCPRIM_400000_NS6detail17trampoline_kernelINS0_13select_configILj256ELj13ELNS0_17block_load_methodE3ELS4_3ELS4_3ELNS0_20block_scan_algorithmE0ELj4294967295EEENS1_25partition_config_selectorILNS1_17partition_subalgoE4EjNS0_10empty_typeEbEEZZNS1_14partition_implILS8_4ELb0ES6_15HIP_vector_typeIjLj2EENS0_17counting_iteratorIjlEEPS9_SG_NS0_5tupleIJPjSI_NS0_16reverse_iteratorISI_EEEEENSH_IJSG_SG_SG_EEES9_SI_JZNS1_25segmented_radix_sort_implINS0_14default_configELb1EPKlPlSQ_SR_N2at6native12_GLOBAL__N_18offset_tEEE10hipError_tPvRmT1_PNSt15iterator_traitsISZ_E10value_typeET2_T3_PNS10_IS15_E10value_typeET4_jRbjT5_S1B_jjP12ihipStream_tbEUljE_ZNSN_ISO_Lb1ESQ_SR_SQ_SR_SV_EESW_SX_SY_SZ_S13_S14_S15_S18_S19_jS1A_jS1B_S1B_jjS1D_bEUljE0_EEESW_SX_SY_S15_S19_S1B_T6_T7_T9_mT8_S1D_bDpT10_ENKUlT_T0_E_clISt17integral_constantIbLb0EES1Q_IbLb1EEEEDaS1M_S1N_EUlS1M_E_NS1_11comp_targetILNS1_3genE5ELNS1_11target_archE942ELNS1_3gpuE9ELNS1_3repE0EEENS1_30default_config_static_selectorELNS0_4arch9wavefront6targetE0EEEvSZ_,@function
_ZN7rocprim17ROCPRIM_400000_NS6detail17trampoline_kernelINS0_13select_configILj256ELj13ELNS0_17block_load_methodE3ELS4_3ELS4_3ELNS0_20block_scan_algorithmE0ELj4294967295EEENS1_25partition_config_selectorILNS1_17partition_subalgoE4EjNS0_10empty_typeEbEEZZNS1_14partition_implILS8_4ELb0ES6_15HIP_vector_typeIjLj2EENS0_17counting_iteratorIjlEEPS9_SG_NS0_5tupleIJPjSI_NS0_16reverse_iteratorISI_EEEEENSH_IJSG_SG_SG_EEES9_SI_JZNS1_25segmented_radix_sort_implINS0_14default_configELb1EPKlPlSQ_SR_N2at6native12_GLOBAL__N_18offset_tEEE10hipError_tPvRmT1_PNSt15iterator_traitsISZ_E10value_typeET2_T3_PNS10_IS15_E10value_typeET4_jRbjT5_S1B_jjP12ihipStream_tbEUljE_ZNSN_ISO_Lb1ESQ_SR_SQ_SR_SV_EESW_SX_SY_SZ_S13_S14_S15_S18_S19_jS1A_jS1B_S1B_jjS1D_bEUljE0_EEESW_SX_SY_S15_S19_S1B_T6_T7_T9_mT8_S1D_bDpT10_ENKUlT_T0_E_clISt17integral_constantIbLb0EES1Q_IbLb1EEEEDaS1M_S1N_EUlS1M_E_NS1_11comp_targetILNS1_3genE5ELNS1_11target_archE942ELNS1_3gpuE9ELNS1_3repE0EEENS1_30default_config_static_selectorELNS0_4arch9wavefront6targetE0EEEvSZ_: ; @_ZN7rocprim17ROCPRIM_400000_NS6detail17trampoline_kernelINS0_13select_configILj256ELj13ELNS0_17block_load_methodE3ELS4_3ELS4_3ELNS0_20block_scan_algorithmE0ELj4294967295EEENS1_25partition_config_selectorILNS1_17partition_subalgoE4EjNS0_10empty_typeEbEEZZNS1_14partition_implILS8_4ELb0ES6_15HIP_vector_typeIjLj2EENS0_17counting_iteratorIjlEEPS9_SG_NS0_5tupleIJPjSI_NS0_16reverse_iteratorISI_EEEEENSH_IJSG_SG_SG_EEES9_SI_JZNS1_25segmented_radix_sort_implINS0_14default_configELb1EPKlPlSQ_SR_N2at6native12_GLOBAL__N_18offset_tEEE10hipError_tPvRmT1_PNSt15iterator_traitsISZ_E10value_typeET2_T3_PNS10_IS15_E10value_typeET4_jRbjT5_S1B_jjP12ihipStream_tbEUljE_ZNSN_ISO_Lb1ESQ_SR_SQ_SR_SV_EESW_SX_SY_SZ_S13_S14_S15_S18_S19_jS1A_jS1B_S1B_jjS1D_bEUljE0_EEESW_SX_SY_S15_S19_S1B_T6_T7_T9_mT8_S1D_bDpT10_ENKUlT_T0_E_clISt17integral_constantIbLb0EES1Q_IbLb1EEEEDaS1M_S1N_EUlS1M_E_NS1_11comp_targetILNS1_3genE5ELNS1_11target_archE942ELNS1_3gpuE9ELNS1_3repE0EEENS1_30default_config_static_selectorELNS0_4arch9wavefront6targetE0EEEvSZ_
; %bb.0:
	.section	.rodata,"a",@progbits
	.p2align	6, 0x0
	.amdhsa_kernel _ZN7rocprim17ROCPRIM_400000_NS6detail17trampoline_kernelINS0_13select_configILj256ELj13ELNS0_17block_load_methodE3ELS4_3ELS4_3ELNS0_20block_scan_algorithmE0ELj4294967295EEENS1_25partition_config_selectorILNS1_17partition_subalgoE4EjNS0_10empty_typeEbEEZZNS1_14partition_implILS8_4ELb0ES6_15HIP_vector_typeIjLj2EENS0_17counting_iteratorIjlEEPS9_SG_NS0_5tupleIJPjSI_NS0_16reverse_iteratorISI_EEEEENSH_IJSG_SG_SG_EEES9_SI_JZNS1_25segmented_radix_sort_implINS0_14default_configELb1EPKlPlSQ_SR_N2at6native12_GLOBAL__N_18offset_tEEE10hipError_tPvRmT1_PNSt15iterator_traitsISZ_E10value_typeET2_T3_PNS10_IS15_E10value_typeET4_jRbjT5_S1B_jjP12ihipStream_tbEUljE_ZNSN_ISO_Lb1ESQ_SR_SQ_SR_SV_EESW_SX_SY_SZ_S13_S14_S15_S18_S19_jS1A_jS1B_S1B_jjS1D_bEUljE0_EEESW_SX_SY_S15_S19_S1B_T6_T7_T9_mT8_S1D_bDpT10_ENKUlT_T0_E_clISt17integral_constantIbLb0EES1Q_IbLb1EEEEDaS1M_S1N_EUlS1M_E_NS1_11comp_targetILNS1_3genE5ELNS1_11target_archE942ELNS1_3gpuE9ELNS1_3repE0EEENS1_30default_config_static_selectorELNS0_4arch9wavefront6targetE0EEEvSZ_
		.amdhsa_group_segment_fixed_size 0
		.amdhsa_private_segment_fixed_size 0
		.amdhsa_kernarg_size 184
		.amdhsa_user_sgpr_count 2
		.amdhsa_user_sgpr_dispatch_ptr 0
		.amdhsa_user_sgpr_queue_ptr 0
		.amdhsa_user_sgpr_kernarg_segment_ptr 1
		.amdhsa_user_sgpr_dispatch_id 0
		.amdhsa_user_sgpr_kernarg_preload_length 0
		.amdhsa_user_sgpr_kernarg_preload_offset 0
		.amdhsa_user_sgpr_private_segment_size 0
		.amdhsa_wavefront_size32 1
		.amdhsa_uses_dynamic_stack 0
		.amdhsa_enable_private_segment 0
		.amdhsa_system_sgpr_workgroup_id_x 1
		.amdhsa_system_sgpr_workgroup_id_y 0
		.amdhsa_system_sgpr_workgroup_id_z 0
		.amdhsa_system_sgpr_workgroup_info 0
		.amdhsa_system_vgpr_workitem_id 0
		.amdhsa_next_free_vgpr 1
		.amdhsa_next_free_sgpr 1
		.amdhsa_named_barrier_count 0
		.amdhsa_reserve_vcc 0
		.amdhsa_float_round_mode_32 0
		.amdhsa_float_round_mode_16_64 0
		.amdhsa_float_denorm_mode_32 3
		.amdhsa_float_denorm_mode_16_64 3
		.amdhsa_fp16_overflow 0
		.amdhsa_memory_ordered 1
		.amdhsa_forward_progress 1
		.amdhsa_inst_pref_size 0
		.amdhsa_round_robin_scheduling 0
		.amdhsa_exception_fp_ieee_invalid_op 0
		.amdhsa_exception_fp_denorm_src 0
		.amdhsa_exception_fp_ieee_div_zero 0
		.amdhsa_exception_fp_ieee_overflow 0
		.amdhsa_exception_fp_ieee_underflow 0
		.amdhsa_exception_fp_ieee_inexact 0
		.amdhsa_exception_int_div_zero 0
	.end_amdhsa_kernel
	.section	.text._ZN7rocprim17ROCPRIM_400000_NS6detail17trampoline_kernelINS0_13select_configILj256ELj13ELNS0_17block_load_methodE3ELS4_3ELS4_3ELNS0_20block_scan_algorithmE0ELj4294967295EEENS1_25partition_config_selectorILNS1_17partition_subalgoE4EjNS0_10empty_typeEbEEZZNS1_14partition_implILS8_4ELb0ES6_15HIP_vector_typeIjLj2EENS0_17counting_iteratorIjlEEPS9_SG_NS0_5tupleIJPjSI_NS0_16reverse_iteratorISI_EEEEENSH_IJSG_SG_SG_EEES9_SI_JZNS1_25segmented_radix_sort_implINS0_14default_configELb1EPKlPlSQ_SR_N2at6native12_GLOBAL__N_18offset_tEEE10hipError_tPvRmT1_PNSt15iterator_traitsISZ_E10value_typeET2_T3_PNS10_IS15_E10value_typeET4_jRbjT5_S1B_jjP12ihipStream_tbEUljE_ZNSN_ISO_Lb1ESQ_SR_SQ_SR_SV_EESW_SX_SY_SZ_S13_S14_S15_S18_S19_jS1A_jS1B_S1B_jjS1D_bEUljE0_EEESW_SX_SY_S15_S19_S1B_T6_T7_T9_mT8_S1D_bDpT10_ENKUlT_T0_E_clISt17integral_constantIbLb0EES1Q_IbLb1EEEEDaS1M_S1N_EUlS1M_E_NS1_11comp_targetILNS1_3genE5ELNS1_11target_archE942ELNS1_3gpuE9ELNS1_3repE0EEENS1_30default_config_static_selectorELNS0_4arch9wavefront6targetE0EEEvSZ_,"axG",@progbits,_ZN7rocprim17ROCPRIM_400000_NS6detail17trampoline_kernelINS0_13select_configILj256ELj13ELNS0_17block_load_methodE3ELS4_3ELS4_3ELNS0_20block_scan_algorithmE0ELj4294967295EEENS1_25partition_config_selectorILNS1_17partition_subalgoE4EjNS0_10empty_typeEbEEZZNS1_14partition_implILS8_4ELb0ES6_15HIP_vector_typeIjLj2EENS0_17counting_iteratorIjlEEPS9_SG_NS0_5tupleIJPjSI_NS0_16reverse_iteratorISI_EEEEENSH_IJSG_SG_SG_EEES9_SI_JZNS1_25segmented_radix_sort_implINS0_14default_configELb1EPKlPlSQ_SR_N2at6native12_GLOBAL__N_18offset_tEEE10hipError_tPvRmT1_PNSt15iterator_traitsISZ_E10value_typeET2_T3_PNS10_IS15_E10value_typeET4_jRbjT5_S1B_jjP12ihipStream_tbEUljE_ZNSN_ISO_Lb1ESQ_SR_SQ_SR_SV_EESW_SX_SY_SZ_S13_S14_S15_S18_S19_jS1A_jS1B_S1B_jjS1D_bEUljE0_EEESW_SX_SY_S15_S19_S1B_T6_T7_T9_mT8_S1D_bDpT10_ENKUlT_T0_E_clISt17integral_constantIbLb0EES1Q_IbLb1EEEEDaS1M_S1N_EUlS1M_E_NS1_11comp_targetILNS1_3genE5ELNS1_11target_archE942ELNS1_3gpuE9ELNS1_3repE0EEENS1_30default_config_static_selectorELNS0_4arch9wavefront6targetE0EEEvSZ_,comdat
.Lfunc_end661:
	.size	_ZN7rocprim17ROCPRIM_400000_NS6detail17trampoline_kernelINS0_13select_configILj256ELj13ELNS0_17block_load_methodE3ELS4_3ELS4_3ELNS0_20block_scan_algorithmE0ELj4294967295EEENS1_25partition_config_selectorILNS1_17partition_subalgoE4EjNS0_10empty_typeEbEEZZNS1_14partition_implILS8_4ELb0ES6_15HIP_vector_typeIjLj2EENS0_17counting_iteratorIjlEEPS9_SG_NS0_5tupleIJPjSI_NS0_16reverse_iteratorISI_EEEEENSH_IJSG_SG_SG_EEES9_SI_JZNS1_25segmented_radix_sort_implINS0_14default_configELb1EPKlPlSQ_SR_N2at6native12_GLOBAL__N_18offset_tEEE10hipError_tPvRmT1_PNSt15iterator_traitsISZ_E10value_typeET2_T3_PNS10_IS15_E10value_typeET4_jRbjT5_S1B_jjP12ihipStream_tbEUljE_ZNSN_ISO_Lb1ESQ_SR_SQ_SR_SV_EESW_SX_SY_SZ_S13_S14_S15_S18_S19_jS1A_jS1B_S1B_jjS1D_bEUljE0_EEESW_SX_SY_S15_S19_S1B_T6_T7_T9_mT8_S1D_bDpT10_ENKUlT_T0_E_clISt17integral_constantIbLb0EES1Q_IbLb1EEEEDaS1M_S1N_EUlS1M_E_NS1_11comp_targetILNS1_3genE5ELNS1_11target_archE942ELNS1_3gpuE9ELNS1_3repE0EEENS1_30default_config_static_selectorELNS0_4arch9wavefront6targetE0EEEvSZ_, .Lfunc_end661-_ZN7rocprim17ROCPRIM_400000_NS6detail17trampoline_kernelINS0_13select_configILj256ELj13ELNS0_17block_load_methodE3ELS4_3ELS4_3ELNS0_20block_scan_algorithmE0ELj4294967295EEENS1_25partition_config_selectorILNS1_17partition_subalgoE4EjNS0_10empty_typeEbEEZZNS1_14partition_implILS8_4ELb0ES6_15HIP_vector_typeIjLj2EENS0_17counting_iteratorIjlEEPS9_SG_NS0_5tupleIJPjSI_NS0_16reverse_iteratorISI_EEEEENSH_IJSG_SG_SG_EEES9_SI_JZNS1_25segmented_radix_sort_implINS0_14default_configELb1EPKlPlSQ_SR_N2at6native12_GLOBAL__N_18offset_tEEE10hipError_tPvRmT1_PNSt15iterator_traitsISZ_E10value_typeET2_T3_PNS10_IS15_E10value_typeET4_jRbjT5_S1B_jjP12ihipStream_tbEUljE_ZNSN_ISO_Lb1ESQ_SR_SQ_SR_SV_EESW_SX_SY_SZ_S13_S14_S15_S18_S19_jS1A_jS1B_S1B_jjS1D_bEUljE0_EEESW_SX_SY_S15_S19_S1B_T6_T7_T9_mT8_S1D_bDpT10_ENKUlT_T0_E_clISt17integral_constantIbLb0EES1Q_IbLb1EEEEDaS1M_S1N_EUlS1M_E_NS1_11comp_targetILNS1_3genE5ELNS1_11target_archE942ELNS1_3gpuE9ELNS1_3repE0EEENS1_30default_config_static_selectorELNS0_4arch9wavefront6targetE0EEEvSZ_
                                        ; -- End function
	.set _ZN7rocprim17ROCPRIM_400000_NS6detail17trampoline_kernelINS0_13select_configILj256ELj13ELNS0_17block_load_methodE3ELS4_3ELS4_3ELNS0_20block_scan_algorithmE0ELj4294967295EEENS1_25partition_config_selectorILNS1_17partition_subalgoE4EjNS0_10empty_typeEbEEZZNS1_14partition_implILS8_4ELb0ES6_15HIP_vector_typeIjLj2EENS0_17counting_iteratorIjlEEPS9_SG_NS0_5tupleIJPjSI_NS0_16reverse_iteratorISI_EEEEENSH_IJSG_SG_SG_EEES9_SI_JZNS1_25segmented_radix_sort_implINS0_14default_configELb1EPKlPlSQ_SR_N2at6native12_GLOBAL__N_18offset_tEEE10hipError_tPvRmT1_PNSt15iterator_traitsISZ_E10value_typeET2_T3_PNS10_IS15_E10value_typeET4_jRbjT5_S1B_jjP12ihipStream_tbEUljE_ZNSN_ISO_Lb1ESQ_SR_SQ_SR_SV_EESW_SX_SY_SZ_S13_S14_S15_S18_S19_jS1A_jS1B_S1B_jjS1D_bEUljE0_EEESW_SX_SY_S15_S19_S1B_T6_T7_T9_mT8_S1D_bDpT10_ENKUlT_T0_E_clISt17integral_constantIbLb0EES1Q_IbLb1EEEEDaS1M_S1N_EUlS1M_E_NS1_11comp_targetILNS1_3genE5ELNS1_11target_archE942ELNS1_3gpuE9ELNS1_3repE0EEENS1_30default_config_static_selectorELNS0_4arch9wavefront6targetE0EEEvSZ_.num_vgpr, 0
	.set _ZN7rocprim17ROCPRIM_400000_NS6detail17trampoline_kernelINS0_13select_configILj256ELj13ELNS0_17block_load_methodE3ELS4_3ELS4_3ELNS0_20block_scan_algorithmE0ELj4294967295EEENS1_25partition_config_selectorILNS1_17partition_subalgoE4EjNS0_10empty_typeEbEEZZNS1_14partition_implILS8_4ELb0ES6_15HIP_vector_typeIjLj2EENS0_17counting_iteratorIjlEEPS9_SG_NS0_5tupleIJPjSI_NS0_16reverse_iteratorISI_EEEEENSH_IJSG_SG_SG_EEES9_SI_JZNS1_25segmented_radix_sort_implINS0_14default_configELb1EPKlPlSQ_SR_N2at6native12_GLOBAL__N_18offset_tEEE10hipError_tPvRmT1_PNSt15iterator_traitsISZ_E10value_typeET2_T3_PNS10_IS15_E10value_typeET4_jRbjT5_S1B_jjP12ihipStream_tbEUljE_ZNSN_ISO_Lb1ESQ_SR_SQ_SR_SV_EESW_SX_SY_SZ_S13_S14_S15_S18_S19_jS1A_jS1B_S1B_jjS1D_bEUljE0_EEESW_SX_SY_S15_S19_S1B_T6_T7_T9_mT8_S1D_bDpT10_ENKUlT_T0_E_clISt17integral_constantIbLb0EES1Q_IbLb1EEEEDaS1M_S1N_EUlS1M_E_NS1_11comp_targetILNS1_3genE5ELNS1_11target_archE942ELNS1_3gpuE9ELNS1_3repE0EEENS1_30default_config_static_selectorELNS0_4arch9wavefront6targetE0EEEvSZ_.num_agpr, 0
	.set _ZN7rocprim17ROCPRIM_400000_NS6detail17trampoline_kernelINS0_13select_configILj256ELj13ELNS0_17block_load_methodE3ELS4_3ELS4_3ELNS0_20block_scan_algorithmE0ELj4294967295EEENS1_25partition_config_selectorILNS1_17partition_subalgoE4EjNS0_10empty_typeEbEEZZNS1_14partition_implILS8_4ELb0ES6_15HIP_vector_typeIjLj2EENS0_17counting_iteratorIjlEEPS9_SG_NS0_5tupleIJPjSI_NS0_16reverse_iteratorISI_EEEEENSH_IJSG_SG_SG_EEES9_SI_JZNS1_25segmented_radix_sort_implINS0_14default_configELb1EPKlPlSQ_SR_N2at6native12_GLOBAL__N_18offset_tEEE10hipError_tPvRmT1_PNSt15iterator_traitsISZ_E10value_typeET2_T3_PNS10_IS15_E10value_typeET4_jRbjT5_S1B_jjP12ihipStream_tbEUljE_ZNSN_ISO_Lb1ESQ_SR_SQ_SR_SV_EESW_SX_SY_SZ_S13_S14_S15_S18_S19_jS1A_jS1B_S1B_jjS1D_bEUljE0_EEESW_SX_SY_S15_S19_S1B_T6_T7_T9_mT8_S1D_bDpT10_ENKUlT_T0_E_clISt17integral_constantIbLb0EES1Q_IbLb1EEEEDaS1M_S1N_EUlS1M_E_NS1_11comp_targetILNS1_3genE5ELNS1_11target_archE942ELNS1_3gpuE9ELNS1_3repE0EEENS1_30default_config_static_selectorELNS0_4arch9wavefront6targetE0EEEvSZ_.numbered_sgpr, 0
	.set _ZN7rocprim17ROCPRIM_400000_NS6detail17trampoline_kernelINS0_13select_configILj256ELj13ELNS0_17block_load_methodE3ELS4_3ELS4_3ELNS0_20block_scan_algorithmE0ELj4294967295EEENS1_25partition_config_selectorILNS1_17partition_subalgoE4EjNS0_10empty_typeEbEEZZNS1_14partition_implILS8_4ELb0ES6_15HIP_vector_typeIjLj2EENS0_17counting_iteratorIjlEEPS9_SG_NS0_5tupleIJPjSI_NS0_16reverse_iteratorISI_EEEEENSH_IJSG_SG_SG_EEES9_SI_JZNS1_25segmented_radix_sort_implINS0_14default_configELb1EPKlPlSQ_SR_N2at6native12_GLOBAL__N_18offset_tEEE10hipError_tPvRmT1_PNSt15iterator_traitsISZ_E10value_typeET2_T3_PNS10_IS15_E10value_typeET4_jRbjT5_S1B_jjP12ihipStream_tbEUljE_ZNSN_ISO_Lb1ESQ_SR_SQ_SR_SV_EESW_SX_SY_SZ_S13_S14_S15_S18_S19_jS1A_jS1B_S1B_jjS1D_bEUljE0_EEESW_SX_SY_S15_S19_S1B_T6_T7_T9_mT8_S1D_bDpT10_ENKUlT_T0_E_clISt17integral_constantIbLb0EES1Q_IbLb1EEEEDaS1M_S1N_EUlS1M_E_NS1_11comp_targetILNS1_3genE5ELNS1_11target_archE942ELNS1_3gpuE9ELNS1_3repE0EEENS1_30default_config_static_selectorELNS0_4arch9wavefront6targetE0EEEvSZ_.num_named_barrier, 0
	.set _ZN7rocprim17ROCPRIM_400000_NS6detail17trampoline_kernelINS0_13select_configILj256ELj13ELNS0_17block_load_methodE3ELS4_3ELS4_3ELNS0_20block_scan_algorithmE0ELj4294967295EEENS1_25partition_config_selectorILNS1_17partition_subalgoE4EjNS0_10empty_typeEbEEZZNS1_14partition_implILS8_4ELb0ES6_15HIP_vector_typeIjLj2EENS0_17counting_iteratorIjlEEPS9_SG_NS0_5tupleIJPjSI_NS0_16reverse_iteratorISI_EEEEENSH_IJSG_SG_SG_EEES9_SI_JZNS1_25segmented_radix_sort_implINS0_14default_configELb1EPKlPlSQ_SR_N2at6native12_GLOBAL__N_18offset_tEEE10hipError_tPvRmT1_PNSt15iterator_traitsISZ_E10value_typeET2_T3_PNS10_IS15_E10value_typeET4_jRbjT5_S1B_jjP12ihipStream_tbEUljE_ZNSN_ISO_Lb1ESQ_SR_SQ_SR_SV_EESW_SX_SY_SZ_S13_S14_S15_S18_S19_jS1A_jS1B_S1B_jjS1D_bEUljE0_EEESW_SX_SY_S15_S19_S1B_T6_T7_T9_mT8_S1D_bDpT10_ENKUlT_T0_E_clISt17integral_constantIbLb0EES1Q_IbLb1EEEEDaS1M_S1N_EUlS1M_E_NS1_11comp_targetILNS1_3genE5ELNS1_11target_archE942ELNS1_3gpuE9ELNS1_3repE0EEENS1_30default_config_static_selectorELNS0_4arch9wavefront6targetE0EEEvSZ_.private_seg_size, 0
	.set _ZN7rocprim17ROCPRIM_400000_NS6detail17trampoline_kernelINS0_13select_configILj256ELj13ELNS0_17block_load_methodE3ELS4_3ELS4_3ELNS0_20block_scan_algorithmE0ELj4294967295EEENS1_25partition_config_selectorILNS1_17partition_subalgoE4EjNS0_10empty_typeEbEEZZNS1_14partition_implILS8_4ELb0ES6_15HIP_vector_typeIjLj2EENS0_17counting_iteratorIjlEEPS9_SG_NS0_5tupleIJPjSI_NS0_16reverse_iteratorISI_EEEEENSH_IJSG_SG_SG_EEES9_SI_JZNS1_25segmented_radix_sort_implINS0_14default_configELb1EPKlPlSQ_SR_N2at6native12_GLOBAL__N_18offset_tEEE10hipError_tPvRmT1_PNSt15iterator_traitsISZ_E10value_typeET2_T3_PNS10_IS15_E10value_typeET4_jRbjT5_S1B_jjP12ihipStream_tbEUljE_ZNSN_ISO_Lb1ESQ_SR_SQ_SR_SV_EESW_SX_SY_SZ_S13_S14_S15_S18_S19_jS1A_jS1B_S1B_jjS1D_bEUljE0_EEESW_SX_SY_S15_S19_S1B_T6_T7_T9_mT8_S1D_bDpT10_ENKUlT_T0_E_clISt17integral_constantIbLb0EES1Q_IbLb1EEEEDaS1M_S1N_EUlS1M_E_NS1_11comp_targetILNS1_3genE5ELNS1_11target_archE942ELNS1_3gpuE9ELNS1_3repE0EEENS1_30default_config_static_selectorELNS0_4arch9wavefront6targetE0EEEvSZ_.uses_vcc, 0
	.set _ZN7rocprim17ROCPRIM_400000_NS6detail17trampoline_kernelINS0_13select_configILj256ELj13ELNS0_17block_load_methodE3ELS4_3ELS4_3ELNS0_20block_scan_algorithmE0ELj4294967295EEENS1_25partition_config_selectorILNS1_17partition_subalgoE4EjNS0_10empty_typeEbEEZZNS1_14partition_implILS8_4ELb0ES6_15HIP_vector_typeIjLj2EENS0_17counting_iteratorIjlEEPS9_SG_NS0_5tupleIJPjSI_NS0_16reverse_iteratorISI_EEEEENSH_IJSG_SG_SG_EEES9_SI_JZNS1_25segmented_radix_sort_implINS0_14default_configELb1EPKlPlSQ_SR_N2at6native12_GLOBAL__N_18offset_tEEE10hipError_tPvRmT1_PNSt15iterator_traitsISZ_E10value_typeET2_T3_PNS10_IS15_E10value_typeET4_jRbjT5_S1B_jjP12ihipStream_tbEUljE_ZNSN_ISO_Lb1ESQ_SR_SQ_SR_SV_EESW_SX_SY_SZ_S13_S14_S15_S18_S19_jS1A_jS1B_S1B_jjS1D_bEUljE0_EEESW_SX_SY_S15_S19_S1B_T6_T7_T9_mT8_S1D_bDpT10_ENKUlT_T0_E_clISt17integral_constantIbLb0EES1Q_IbLb1EEEEDaS1M_S1N_EUlS1M_E_NS1_11comp_targetILNS1_3genE5ELNS1_11target_archE942ELNS1_3gpuE9ELNS1_3repE0EEENS1_30default_config_static_selectorELNS0_4arch9wavefront6targetE0EEEvSZ_.uses_flat_scratch, 0
	.set _ZN7rocprim17ROCPRIM_400000_NS6detail17trampoline_kernelINS0_13select_configILj256ELj13ELNS0_17block_load_methodE3ELS4_3ELS4_3ELNS0_20block_scan_algorithmE0ELj4294967295EEENS1_25partition_config_selectorILNS1_17partition_subalgoE4EjNS0_10empty_typeEbEEZZNS1_14partition_implILS8_4ELb0ES6_15HIP_vector_typeIjLj2EENS0_17counting_iteratorIjlEEPS9_SG_NS0_5tupleIJPjSI_NS0_16reverse_iteratorISI_EEEEENSH_IJSG_SG_SG_EEES9_SI_JZNS1_25segmented_radix_sort_implINS0_14default_configELb1EPKlPlSQ_SR_N2at6native12_GLOBAL__N_18offset_tEEE10hipError_tPvRmT1_PNSt15iterator_traitsISZ_E10value_typeET2_T3_PNS10_IS15_E10value_typeET4_jRbjT5_S1B_jjP12ihipStream_tbEUljE_ZNSN_ISO_Lb1ESQ_SR_SQ_SR_SV_EESW_SX_SY_SZ_S13_S14_S15_S18_S19_jS1A_jS1B_S1B_jjS1D_bEUljE0_EEESW_SX_SY_S15_S19_S1B_T6_T7_T9_mT8_S1D_bDpT10_ENKUlT_T0_E_clISt17integral_constantIbLb0EES1Q_IbLb1EEEEDaS1M_S1N_EUlS1M_E_NS1_11comp_targetILNS1_3genE5ELNS1_11target_archE942ELNS1_3gpuE9ELNS1_3repE0EEENS1_30default_config_static_selectorELNS0_4arch9wavefront6targetE0EEEvSZ_.has_dyn_sized_stack, 0
	.set _ZN7rocprim17ROCPRIM_400000_NS6detail17trampoline_kernelINS0_13select_configILj256ELj13ELNS0_17block_load_methodE3ELS4_3ELS4_3ELNS0_20block_scan_algorithmE0ELj4294967295EEENS1_25partition_config_selectorILNS1_17partition_subalgoE4EjNS0_10empty_typeEbEEZZNS1_14partition_implILS8_4ELb0ES6_15HIP_vector_typeIjLj2EENS0_17counting_iteratorIjlEEPS9_SG_NS0_5tupleIJPjSI_NS0_16reverse_iteratorISI_EEEEENSH_IJSG_SG_SG_EEES9_SI_JZNS1_25segmented_radix_sort_implINS0_14default_configELb1EPKlPlSQ_SR_N2at6native12_GLOBAL__N_18offset_tEEE10hipError_tPvRmT1_PNSt15iterator_traitsISZ_E10value_typeET2_T3_PNS10_IS15_E10value_typeET4_jRbjT5_S1B_jjP12ihipStream_tbEUljE_ZNSN_ISO_Lb1ESQ_SR_SQ_SR_SV_EESW_SX_SY_SZ_S13_S14_S15_S18_S19_jS1A_jS1B_S1B_jjS1D_bEUljE0_EEESW_SX_SY_S15_S19_S1B_T6_T7_T9_mT8_S1D_bDpT10_ENKUlT_T0_E_clISt17integral_constantIbLb0EES1Q_IbLb1EEEEDaS1M_S1N_EUlS1M_E_NS1_11comp_targetILNS1_3genE5ELNS1_11target_archE942ELNS1_3gpuE9ELNS1_3repE0EEENS1_30default_config_static_selectorELNS0_4arch9wavefront6targetE0EEEvSZ_.has_recursion, 0
	.set _ZN7rocprim17ROCPRIM_400000_NS6detail17trampoline_kernelINS0_13select_configILj256ELj13ELNS0_17block_load_methodE3ELS4_3ELS4_3ELNS0_20block_scan_algorithmE0ELj4294967295EEENS1_25partition_config_selectorILNS1_17partition_subalgoE4EjNS0_10empty_typeEbEEZZNS1_14partition_implILS8_4ELb0ES6_15HIP_vector_typeIjLj2EENS0_17counting_iteratorIjlEEPS9_SG_NS0_5tupleIJPjSI_NS0_16reverse_iteratorISI_EEEEENSH_IJSG_SG_SG_EEES9_SI_JZNS1_25segmented_radix_sort_implINS0_14default_configELb1EPKlPlSQ_SR_N2at6native12_GLOBAL__N_18offset_tEEE10hipError_tPvRmT1_PNSt15iterator_traitsISZ_E10value_typeET2_T3_PNS10_IS15_E10value_typeET4_jRbjT5_S1B_jjP12ihipStream_tbEUljE_ZNSN_ISO_Lb1ESQ_SR_SQ_SR_SV_EESW_SX_SY_SZ_S13_S14_S15_S18_S19_jS1A_jS1B_S1B_jjS1D_bEUljE0_EEESW_SX_SY_S15_S19_S1B_T6_T7_T9_mT8_S1D_bDpT10_ENKUlT_T0_E_clISt17integral_constantIbLb0EES1Q_IbLb1EEEEDaS1M_S1N_EUlS1M_E_NS1_11comp_targetILNS1_3genE5ELNS1_11target_archE942ELNS1_3gpuE9ELNS1_3repE0EEENS1_30default_config_static_selectorELNS0_4arch9wavefront6targetE0EEEvSZ_.has_indirect_call, 0
	.section	.AMDGPU.csdata,"",@progbits
; Kernel info:
; codeLenInByte = 0
; TotalNumSgprs: 0
; NumVgprs: 0
; ScratchSize: 0
; MemoryBound: 0
; FloatMode: 240
; IeeeMode: 1
; LDSByteSize: 0 bytes/workgroup (compile time only)
; SGPRBlocks: 0
; VGPRBlocks: 0
; NumSGPRsForWavesPerEU: 1
; NumVGPRsForWavesPerEU: 1
; NamedBarCnt: 0
; Occupancy: 16
; WaveLimiterHint : 0
; COMPUTE_PGM_RSRC2:SCRATCH_EN: 0
; COMPUTE_PGM_RSRC2:USER_SGPR: 2
; COMPUTE_PGM_RSRC2:TRAP_HANDLER: 0
; COMPUTE_PGM_RSRC2:TGID_X_EN: 1
; COMPUTE_PGM_RSRC2:TGID_Y_EN: 0
; COMPUTE_PGM_RSRC2:TGID_Z_EN: 0
; COMPUTE_PGM_RSRC2:TIDIG_COMP_CNT: 0
	.section	.text._ZN7rocprim17ROCPRIM_400000_NS6detail17trampoline_kernelINS0_13select_configILj256ELj13ELNS0_17block_load_methodE3ELS4_3ELS4_3ELNS0_20block_scan_algorithmE0ELj4294967295EEENS1_25partition_config_selectorILNS1_17partition_subalgoE4EjNS0_10empty_typeEbEEZZNS1_14partition_implILS8_4ELb0ES6_15HIP_vector_typeIjLj2EENS0_17counting_iteratorIjlEEPS9_SG_NS0_5tupleIJPjSI_NS0_16reverse_iteratorISI_EEEEENSH_IJSG_SG_SG_EEES9_SI_JZNS1_25segmented_radix_sort_implINS0_14default_configELb1EPKlPlSQ_SR_N2at6native12_GLOBAL__N_18offset_tEEE10hipError_tPvRmT1_PNSt15iterator_traitsISZ_E10value_typeET2_T3_PNS10_IS15_E10value_typeET4_jRbjT5_S1B_jjP12ihipStream_tbEUljE_ZNSN_ISO_Lb1ESQ_SR_SQ_SR_SV_EESW_SX_SY_SZ_S13_S14_S15_S18_S19_jS1A_jS1B_S1B_jjS1D_bEUljE0_EEESW_SX_SY_S15_S19_S1B_T6_T7_T9_mT8_S1D_bDpT10_ENKUlT_T0_E_clISt17integral_constantIbLb0EES1Q_IbLb1EEEEDaS1M_S1N_EUlS1M_E_NS1_11comp_targetILNS1_3genE4ELNS1_11target_archE910ELNS1_3gpuE8ELNS1_3repE0EEENS1_30default_config_static_selectorELNS0_4arch9wavefront6targetE0EEEvSZ_,"axG",@progbits,_ZN7rocprim17ROCPRIM_400000_NS6detail17trampoline_kernelINS0_13select_configILj256ELj13ELNS0_17block_load_methodE3ELS4_3ELS4_3ELNS0_20block_scan_algorithmE0ELj4294967295EEENS1_25partition_config_selectorILNS1_17partition_subalgoE4EjNS0_10empty_typeEbEEZZNS1_14partition_implILS8_4ELb0ES6_15HIP_vector_typeIjLj2EENS0_17counting_iteratorIjlEEPS9_SG_NS0_5tupleIJPjSI_NS0_16reverse_iteratorISI_EEEEENSH_IJSG_SG_SG_EEES9_SI_JZNS1_25segmented_radix_sort_implINS0_14default_configELb1EPKlPlSQ_SR_N2at6native12_GLOBAL__N_18offset_tEEE10hipError_tPvRmT1_PNSt15iterator_traitsISZ_E10value_typeET2_T3_PNS10_IS15_E10value_typeET4_jRbjT5_S1B_jjP12ihipStream_tbEUljE_ZNSN_ISO_Lb1ESQ_SR_SQ_SR_SV_EESW_SX_SY_SZ_S13_S14_S15_S18_S19_jS1A_jS1B_S1B_jjS1D_bEUljE0_EEESW_SX_SY_S15_S19_S1B_T6_T7_T9_mT8_S1D_bDpT10_ENKUlT_T0_E_clISt17integral_constantIbLb0EES1Q_IbLb1EEEEDaS1M_S1N_EUlS1M_E_NS1_11comp_targetILNS1_3genE4ELNS1_11target_archE910ELNS1_3gpuE8ELNS1_3repE0EEENS1_30default_config_static_selectorELNS0_4arch9wavefront6targetE0EEEvSZ_,comdat
	.globl	_ZN7rocprim17ROCPRIM_400000_NS6detail17trampoline_kernelINS0_13select_configILj256ELj13ELNS0_17block_load_methodE3ELS4_3ELS4_3ELNS0_20block_scan_algorithmE0ELj4294967295EEENS1_25partition_config_selectorILNS1_17partition_subalgoE4EjNS0_10empty_typeEbEEZZNS1_14partition_implILS8_4ELb0ES6_15HIP_vector_typeIjLj2EENS0_17counting_iteratorIjlEEPS9_SG_NS0_5tupleIJPjSI_NS0_16reverse_iteratorISI_EEEEENSH_IJSG_SG_SG_EEES9_SI_JZNS1_25segmented_radix_sort_implINS0_14default_configELb1EPKlPlSQ_SR_N2at6native12_GLOBAL__N_18offset_tEEE10hipError_tPvRmT1_PNSt15iterator_traitsISZ_E10value_typeET2_T3_PNS10_IS15_E10value_typeET4_jRbjT5_S1B_jjP12ihipStream_tbEUljE_ZNSN_ISO_Lb1ESQ_SR_SQ_SR_SV_EESW_SX_SY_SZ_S13_S14_S15_S18_S19_jS1A_jS1B_S1B_jjS1D_bEUljE0_EEESW_SX_SY_S15_S19_S1B_T6_T7_T9_mT8_S1D_bDpT10_ENKUlT_T0_E_clISt17integral_constantIbLb0EES1Q_IbLb1EEEEDaS1M_S1N_EUlS1M_E_NS1_11comp_targetILNS1_3genE4ELNS1_11target_archE910ELNS1_3gpuE8ELNS1_3repE0EEENS1_30default_config_static_selectorELNS0_4arch9wavefront6targetE0EEEvSZ_ ; -- Begin function _ZN7rocprim17ROCPRIM_400000_NS6detail17trampoline_kernelINS0_13select_configILj256ELj13ELNS0_17block_load_methodE3ELS4_3ELS4_3ELNS0_20block_scan_algorithmE0ELj4294967295EEENS1_25partition_config_selectorILNS1_17partition_subalgoE4EjNS0_10empty_typeEbEEZZNS1_14partition_implILS8_4ELb0ES6_15HIP_vector_typeIjLj2EENS0_17counting_iteratorIjlEEPS9_SG_NS0_5tupleIJPjSI_NS0_16reverse_iteratorISI_EEEEENSH_IJSG_SG_SG_EEES9_SI_JZNS1_25segmented_radix_sort_implINS0_14default_configELb1EPKlPlSQ_SR_N2at6native12_GLOBAL__N_18offset_tEEE10hipError_tPvRmT1_PNSt15iterator_traitsISZ_E10value_typeET2_T3_PNS10_IS15_E10value_typeET4_jRbjT5_S1B_jjP12ihipStream_tbEUljE_ZNSN_ISO_Lb1ESQ_SR_SQ_SR_SV_EESW_SX_SY_SZ_S13_S14_S15_S18_S19_jS1A_jS1B_S1B_jjS1D_bEUljE0_EEESW_SX_SY_S15_S19_S1B_T6_T7_T9_mT8_S1D_bDpT10_ENKUlT_T0_E_clISt17integral_constantIbLb0EES1Q_IbLb1EEEEDaS1M_S1N_EUlS1M_E_NS1_11comp_targetILNS1_3genE4ELNS1_11target_archE910ELNS1_3gpuE8ELNS1_3repE0EEENS1_30default_config_static_selectorELNS0_4arch9wavefront6targetE0EEEvSZ_
	.p2align	8
	.type	_ZN7rocprim17ROCPRIM_400000_NS6detail17trampoline_kernelINS0_13select_configILj256ELj13ELNS0_17block_load_methodE3ELS4_3ELS4_3ELNS0_20block_scan_algorithmE0ELj4294967295EEENS1_25partition_config_selectorILNS1_17partition_subalgoE4EjNS0_10empty_typeEbEEZZNS1_14partition_implILS8_4ELb0ES6_15HIP_vector_typeIjLj2EENS0_17counting_iteratorIjlEEPS9_SG_NS0_5tupleIJPjSI_NS0_16reverse_iteratorISI_EEEEENSH_IJSG_SG_SG_EEES9_SI_JZNS1_25segmented_radix_sort_implINS0_14default_configELb1EPKlPlSQ_SR_N2at6native12_GLOBAL__N_18offset_tEEE10hipError_tPvRmT1_PNSt15iterator_traitsISZ_E10value_typeET2_T3_PNS10_IS15_E10value_typeET4_jRbjT5_S1B_jjP12ihipStream_tbEUljE_ZNSN_ISO_Lb1ESQ_SR_SQ_SR_SV_EESW_SX_SY_SZ_S13_S14_S15_S18_S19_jS1A_jS1B_S1B_jjS1D_bEUljE0_EEESW_SX_SY_S15_S19_S1B_T6_T7_T9_mT8_S1D_bDpT10_ENKUlT_T0_E_clISt17integral_constantIbLb0EES1Q_IbLb1EEEEDaS1M_S1N_EUlS1M_E_NS1_11comp_targetILNS1_3genE4ELNS1_11target_archE910ELNS1_3gpuE8ELNS1_3repE0EEENS1_30default_config_static_selectorELNS0_4arch9wavefront6targetE0EEEvSZ_,@function
_ZN7rocprim17ROCPRIM_400000_NS6detail17trampoline_kernelINS0_13select_configILj256ELj13ELNS0_17block_load_methodE3ELS4_3ELS4_3ELNS0_20block_scan_algorithmE0ELj4294967295EEENS1_25partition_config_selectorILNS1_17partition_subalgoE4EjNS0_10empty_typeEbEEZZNS1_14partition_implILS8_4ELb0ES6_15HIP_vector_typeIjLj2EENS0_17counting_iteratorIjlEEPS9_SG_NS0_5tupleIJPjSI_NS0_16reverse_iteratorISI_EEEEENSH_IJSG_SG_SG_EEES9_SI_JZNS1_25segmented_radix_sort_implINS0_14default_configELb1EPKlPlSQ_SR_N2at6native12_GLOBAL__N_18offset_tEEE10hipError_tPvRmT1_PNSt15iterator_traitsISZ_E10value_typeET2_T3_PNS10_IS15_E10value_typeET4_jRbjT5_S1B_jjP12ihipStream_tbEUljE_ZNSN_ISO_Lb1ESQ_SR_SQ_SR_SV_EESW_SX_SY_SZ_S13_S14_S15_S18_S19_jS1A_jS1B_S1B_jjS1D_bEUljE0_EEESW_SX_SY_S15_S19_S1B_T6_T7_T9_mT8_S1D_bDpT10_ENKUlT_T0_E_clISt17integral_constantIbLb0EES1Q_IbLb1EEEEDaS1M_S1N_EUlS1M_E_NS1_11comp_targetILNS1_3genE4ELNS1_11target_archE910ELNS1_3gpuE8ELNS1_3repE0EEENS1_30default_config_static_selectorELNS0_4arch9wavefront6targetE0EEEvSZ_: ; @_ZN7rocprim17ROCPRIM_400000_NS6detail17trampoline_kernelINS0_13select_configILj256ELj13ELNS0_17block_load_methodE3ELS4_3ELS4_3ELNS0_20block_scan_algorithmE0ELj4294967295EEENS1_25partition_config_selectorILNS1_17partition_subalgoE4EjNS0_10empty_typeEbEEZZNS1_14partition_implILS8_4ELb0ES6_15HIP_vector_typeIjLj2EENS0_17counting_iteratorIjlEEPS9_SG_NS0_5tupleIJPjSI_NS0_16reverse_iteratorISI_EEEEENSH_IJSG_SG_SG_EEES9_SI_JZNS1_25segmented_radix_sort_implINS0_14default_configELb1EPKlPlSQ_SR_N2at6native12_GLOBAL__N_18offset_tEEE10hipError_tPvRmT1_PNSt15iterator_traitsISZ_E10value_typeET2_T3_PNS10_IS15_E10value_typeET4_jRbjT5_S1B_jjP12ihipStream_tbEUljE_ZNSN_ISO_Lb1ESQ_SR_SQ_SR_SV_EESW_SX_SY_SZ_S13_S14_S15_S18_S19_jS1A_jS1B_S1B_jjS1D_bEUljE0_EEESW_SX_SY_S15_S19_S1B_T6_T7_T9_mT8_S1D_bDpT10_ENKUlT_T0_E_clISt17integral_constantIbLb0EES1Q_IbLb1EEEEDaS1M_S1N_EUlS1M_E_NS1_11comp_targetILNS1_3genE4ELNS1_11target_archE910ELNS1_3gpuE8ELNS1_3repE0EEENS1_30default_config_static_selectorELNS0_4arch9wavefront6targetE0EEEvSZ_
; %bb.0:
	.section	.rodata,"a",@progbits
	.p2align	6, 0x0
	.amdhsa_kernel _ZN7rocprim17ROCPRIM_400000_NS6detail17trampoline_kernelINS0_13select_configILj256ELj13ELNS0_17block_load_methodE3ELS4_3ELS4_3ELNS0_20block_scan_algorithmE0ELj4294967295EEENS1_25partition_config_selectorILNS1_17partition_subalgoE4EjNS0_10empty_typeEbEEZZNS1_14partition_implILS8_4ELb0ES6_15HIP_vector_typeIjLj2EENS0_17counting_iteratorIjlEEPS9_SG_NS0_5tupleIJPjSI_NS0_16reverse_iteratorISI_EEEEENSH_IJSG_SG_SG_EEES9_SI_JZNS1_25segmented_radix_sort_implINS0_14default_configELb1EPKlPlSQ_SR_N2at6native12_GLOBAL__N_18offset_tEEE10hipError_tPvRmT1_PNSt15iterator_traitsISZ_E10value_typeET2_T3_PNS10_IS15_E10value_typeET4_jRbjT5_S1B_jjP12ihipStream_tbEUljE_ZNSN_ISO_Lb1ESQ_SR_SQ_SR_SV_EESW_SX_SY_SZ_S13_S14_S15_S18_S19_jS1A_jS1B_S1B_jjS1D_bEUljE0_EEESW_SX_SY_S15_S19_S1B_T6_T7_T9_mT8_S1D_bDpT10_ENKUlT_T0_E_clISt17integral_constantIbLb0EES1Q_IbLb1EEEEDaS1M_S1N_EUlS1M_E_NS1_11comp_targetILNS1_3genE4ELNS1_11target_archE910ELNS1_3gpuE8ELNS1_3repE0EEENS1_30default_config_static_selectorELNS0_4arch9wavefront6targetE0EEEvSZ_
		.amdhsa_group_segment_fixed_size 0
		.amdhsa_private_segment_fixed_size 0
		.amdhsa_kernarg_size 184
		.amdhsa_user_sgpr_count 2
		.amdhsa_user_sgpr_dispatch_ptr 0
		.amdhsa_user_sgpr_queue_ptr 0
		.amdhsa_user_sgpr_kernarg_segment_ptr 1
		.amdhsa_user_sgpr_dispatch_id 0
		.amdhsa_user_sgpr_kernarg_preload_length 0
		.amdhsa_user_sgpr_kernarg_preload_offset 0
		.amdhsa_user_sgpr_private_segment_size 0
		.amdhsa_wavefront_size32 1
		.amdhsa_uses_dynamic_stack 0
		.amdhsa_enable_private_segment 0
		.amdhsa_system_sgpr_workgroup_id_x 1
		.amdhsa_system_sgpr_workgroup_id_y 0
		.amdhsa_system_sgpr_workgroup_id_z 0
		.amdhsa_system_sgpr_workgroup_info 0
		.amdhsa_system_vgpr_workitem_id 0
		.amdhsa_next_free_vgpr 1
		.amdhsa_next_free_sgpr 1
		.amdhsa_named_barrier_count 0
		.amdhsa_reserve_vcc 0
		.amdhsa_float_round_mode_32 0
		.amdhsa_float_round_mode_16_64 0
		.amdhsa_float_denorm_mode_32 3
		.amdhsa_float_denorm_mode_16_64 3
		.amdhsa_fp16_overflow 0
		.amdhsa_memory_ordered 1
		.amdhsa_forward_progress 1
		.amdhsa_inst_pref_size 0
		.amdhsa_round_robin_scheduling 0
		.amdhsa_exception_fp_ieee_invalid_op 0
		.amdhsa_exception_fp_denorm_src 0
		.amdhsa_exception_fp_ieee_div_zero 0
		.amdhsa_exception_fp_ieee_overflow 0
		.amdhsa_exception_fp_ieee_underflow 0
		.amdhsa_exception_fp_ieee_inexact 0
		.amdhsa_exception_int_div_zero 0
	.end_amdhsa_kernel
	.section	.text._ZN7rocprim17ROCPRIM_400000_NS6detail17trampoline_kernelINS0_13select_configILj256ELj13ELNS0_17block_load_methodE3ELS4_3ELS4_3ELNS0_20block_scan_algorithmE0ELj4294967295EEENS1_25partition_config_selectorILNS1_17partition_subalgoE4EjNS0_10empty_typeEbEEZZNS1_14partition_implILS8_4ELb0ES6_15HIP_vector_typeIjLj2EENS0_17counting_iteratorIjlEEPS9_SG_NS0_5tupleIJPjSI_NS0_16reverse_iteratorISI_EEEEENSH_IJSG_SG_SG_EEES9_SI_JZNS1_25segmented_radix_sort_implINS0_14default_configELb1EPKlPlSQ_SR_N2at6native12_GLOBAL__N_18offset_tEEE10hipError_tPvRmT1_PNSt15iterator_traitsISZ_E10value_typeET2_T3_PNS10_IS15_E10value_typeET4_jRbjT5_S1B_jjP12ihipStream_tbEUljE_ZNSN_ISO_Lb1ESQ_SR_SQ_SR_SV_EESW_SX_SY_SZ_S13_S14_S15_S18_S19_jS1A_jS1B_S1B_jjS1D_bEUljE0_EEESW_SX_SY_S15_S19_S1B_T6_T7_T9_mT8_S1D_bDpT10_ENKUlT_T0_E_clISt17integral_constantIbLb0EES1Q_IbLb1EEEEDaS1M_S1N_EUlS1M_E_NS1_11comp_targetILNS1_3genE4ELNS1_11target_archE910ELNS1_3gpuE8ELNS1_3repE0EEENS1_30default_config_static_selectorELNS0_4arch9wavefront6targetE0EEEvSZ_,"axG",@progbits,_ZN7rocprim17ROCPRIM_400000_NS6detail17trampoline_kernelINS0_13select_configILj256ELj13ELNS0_17block_load_methodE3ELS4_3ELS4_3ELNS0_20block_scan_algorithmE0ELj4294967295EEENS1_25partition_config_selectorILNS1_17partition_subalgoE4EjNS0_10empty_typeEbEEZZNS1_14partition_implILS8_4ELb0ES6_15HIP_vector_typeIjLj2EENS0_17counting_iteratorIjlEEPS9_SG_NS0_5tupleIJPjSI_NS0_16reverse_iteratorISI_EEEEENSH_IJSG_SG_SG_EEES9_SI_JZNS1_25segmented_radix_sort_implINS0_14default_configELb1EPKlPlSQ_SR_N2at6native12_GLOBAL__N_18offset_tEEE10hipError_tPvRmT1_PNSt15iterator_traitsISZ_E10value_typeET2_T3_PNS10_IS15_E10value_typeET4_jRbjT5_S1B_jjP12ihipStream_tbEUljE_ZNSN_ISO_Lb1ESQ_SR_SQ_SR_SV_EESW_SX_SY_SZ_S13_S14_S15_S18_S19_jS1A_jS1B_S1B_jjS1D_bEUljE0_EEESW_SX_SY_S15_S19_S1B_T6_T7_T9_mT8_S1D_bDpT10_ENKUlT_T0_E_clISt17integral_constantIbLb0EES1Q_IbLb1EEEEDaS1M_S1N_EUlS1M_E_NS1_11comp_targetILNS1_3genE4ELNS1_11target_archE910ELNS1_3gpuE8ELNS1_3repE0EEENS1_30default_config_static_selectorELNS0_4arch9wavefront6targetE0EEEvSZ_,comdat
.Lfunc_end662:
	.size	_ZN7rocprim17ROCPRIM_400000_NS6detail17trampoline_kernelINS0_13select_configILj256ELj13ELNS0_17block_load_methodE3ELS4_3ELS4_3ELNS0_20block_scan_algorithmE0ELj4294967295EEENS1_25partition_config_selectorILNS1_17partition_subalgoE4EjNS0_10empty_typeEbEEZZNS1_14partition_implILS8_4ELb0ES6_15HIP_vector_typeIjLj2EENS0_17counting_iteratorIjlEEPS9_SG_NS0_5tupleIJPjSI_NS0_16reverse_iteratorISI_EEEEENSH_IJSG_SG_SG_EEES9_SI_JZNS1_25segmented_radix_sort_implINS0_14default_configELb1EPKlPlSQ_SR_N2at6native12_GLOBAL__N_18offset_tEEE10hipError_tPvRmT1_PNSt15iterator_traitsISZ_E10value_typeET2_T3_PNS10_IS15_E10value_typeET4_jRbjT5_S1B_jjP12ihipStream_tbEUljE_ZNSN_ISO_Lb1ESQ_SR_SQ_SR_SV_EESW_SX_SY_SZ_S13_S14_S15_S18_S19_jS1A_jS1B_S1B_jjS1D_bEUljE0_EEESW_SX_SY_S15_S19_S1B_T6_T7_T9_mT8_S1D_bDpT10_ENKUlT_T0_E_clISt17integral_constantIbLb0EES1Q_IbLb1EEEEDaS1M_S1N_EUlS1M_E_NS1_11comp_targetILNS1_3genE4ELNS1_11target_archE910ELNS1_3gpuE8ELNS1_3repE0EEENS1_30default_config_static_selectorELNS0_4arch9wavefront6targetE0EEEvSZ_, .Lfunc_end662-_ZN7rocprim17ROCPRIM_400000_NS6detail17trampoline_kernelINS0_13select_configILj256ELj13ELNS0_17block_load_methodE3ELS4_3ELS4_3ELNS0_20block_scan_algorithmE0ELj4294967295EEENS1_25partition_config_selectorILNS1_17partition_subalgoE4EjNS0_10empty_typeEbEEZZNS1_14partition_implILS8_4ELb0ES6_15HIP_vector_typeIjLj2EENS0_17counting_iteratorIjlEEPS9_SG_NS0_5tupleIJPjSI_NS0_16reverse_iteratorISI_EEEEENSH_IJSG_SG_SG_EEES9_SI_JZNS1_25segmented_radix_sort_implINS0_14default_configELb1EPKlPlSQ_SR_N2at6native12_GLOBAL__N_18offset_tEEE10hipError_tPvRmT1_PNSt15iterator_traitsISZ_E10value_typeET2_T3_PNS10_IS15_E10value_typeET4_jRbjT5_S1B_jjP12ihipStream_tbEUljE_ZNSN_ISO_Lb1ESQ_SR_SQ_SR_SV_EESW_SX_SY_SZ_S13_S14_S15_S18_S19_jS1A_jS1B_S1B_jjS1D_bEUljE0_EEESW_SX_SY_S15_S19_S1B_T6_T7_T9_mT8_S1D_bDpT10_ENKUlT_T0_E_clISt17integral_constantIbLb0EES1Q_IbLb1EEEEDaS1M_S1N_EUlS1M_E_NS1_11comp_targetILNS1_3genE4ELNS1_11target_archE910ELNS1_3gpuE8ELNS1_3repE0EEENS1_30default_config_static_selectorELNS0_4arch9wavefront6targetE0EEEvSZ_
                                        ; -- End function
	.set _ZN7rocprim17ROCPRIM_400000_NS6detail17trampoline_kernelINS0_13select_configILj256ELj13ELNS0_17block_load_methodE3ELS4_3ELS4_3ELNS0_20block_scan_algorithmE0ELj4294967295EEENS1_25partition_config_selectorILNS1_17partition_subalgoE4EjNS0_10empty_typeEbEEZZNS1_14partition_implILS8_4ELb0ES6_15HIP_vector_typeIjLj2EENS0_17counting_iteratorIjlEEPS9_SG_NS0_5tupleIJPjSI_NS0_16reverse_iteratorISI_EEEEENSH_IJSG_SG_SG_EEES9_SI_JZNS1_25segmented_radix_sort_implINS0_14default_configELb1EPKlPlSQ_SR_N2at6native12_GLOBAL__N_18offset_tEEE10hipError_tPvRmT1_PNSt15iterator_traitsISZ_E10value_typeET2_T3_PNS10_IS15_E10value_typeET4_jRbjT5_S1B_jjP12ihipStream_tbEUljE_ZNSN_ISO_Lb1ESQ_SR_SQ_SR_SV_EESW_SX_SY_SZ_S13_S14_S15_S18_S19_jS1A_jS1B_S1B_jjS1D_bEUljE0_EEESW_SX_SY_S15_S19_S1B_T6_T7_T9_mT8_S1D_bDpT10_ENKUlT_T0_E_clISt17integral_constantIbLb0EES1Q_IbLb1EEEEDaS1M_S1N_EUlS1M_E_NS1_11comp_targetILNS1_3genE4ELNS1_11target_archE910ELNS1_3gpuE8ELNS1_3repE0EEENS1_30default_config_static_selectorELNS0_4arch9wavefront6targetE0EEEvSZ_.num_vgpr, 0
	.set _ZN7rocprim17ROCPRIM_400000_NS6detail17trampoline_kernelINS0_13select_configILj256ELj13ELNS0_17block_load_methodE3ELS4_3ELS4_3ELNS0_20block_scan_algorithmE0ELj4294967295EEENS1_25partition_config_selectorILNS1_17partition_subalgoE4EjNS0_10empty_typeEbEEZZNS1_14partition_implILS8_4ELb0ES6_15HIP_vector_typeIjLj2EENS0_17counting_iteratorIjlEEPS9_SG_NS0_5tupleIJPjSI_NS0_16reverse_iteratorISI_EEEEENSH_IJSG_SG_SG_EEES9_SI_JZNS1_25segmented_radix_sort_implINS0_14default_configELb1EPKlPlSQ_SR_N2at6native12_GLOBAL__N_18offset_tEEE10hipError_tPvRmT1_PNSt15iterator_traitsISZ_E10value_typeET2_T3_PNS10_IS15_E10value_typeET4_jRbjT5_S1B_jjP12ihipStream_tbEUljE_ZNSN_ISO_Lb1ESQ_SR_SQ_SR_SV_EESW_SX_SY_SZ_S13_S14_S15_S18_S19_jS1A_jS1B_S1B_jjS1D_bEUljE0_EEESW_SX_SY_S15_S19_S1B_T6_T7_T9_mT8_S1D_bDpT10_ENKUlT_T0_E_clISt17integral_constantIbLb0EES1Q_IbLb1EEEEDaS1M_S1N_EUlS1M_E_NS1_11comp_targetILNS1_3genE4ELNS1_11target_archE910ELNS1_3gpuE8ELNS1_3repE0EEENS1_30default_config_static_selectorELNS0_4arch9wavefront6targetE0EEEvSZ_.num_agpr, 0
	.set _ZN7rocprim17ROCPRIM_400000_NS6detail17trampoline_kernelINS0_13select_configILj256ELj13ELNS0_17block_load_methodE3ELS4_3ELS4_3ELNS0_20block_scan_algorithmE0ELj4294967295EEENS1_25partition_config_selectorILNS1_17partition_subalgoE4EjNS0_10empty_typeEbEEZZNS1_14partition_implILS8_4ELb0ES6_15HIP_vector_typeIjLj2EENS0_17counting_iteratorIjlEEPS9_SG_NS0_5tupleIJPjSI_NS0_16reverse_iteratorISI_EEEEENSH_IJSG_SG_SG_EEES9_SI_JZNS1_25segmented_radix_sort_implINS0_14default_configELb1EPKlPlSQ_SR_N2at6native12_GLOBAL__N_18offset_tEEE10hipError_tPvRmT1_PNSt15iterator_traitsISZ_E10value_typeET2_T3_PNS10_IS15_E10value_typeET4_jRbjT5_S1B_jjP12ihipStream_tbEUljE_ZNSN_ISO_Lb1ESQ_SR_SQ_SR_SV_EESW_SX_SY_SZ_S13_S14_S15_S18_S19_jS1A_jS1B_S1B_jjS1D_bEUljE0_EEESW_SX_SY_S15_S19_S1B_T6_T7_T9_mT8_S1D_bDpT10_ENKUlT_T0_E_clISt17integral_constantIbLb0EES1Q_IbLb1EEEEDaS1M_S1N_EUlS1M_E_NS1_11comp_targetILNS1_3genE4ELNS1_11target_archE910ELNS1_3gpuE8ELNS1_3repE0EEENS1_30default_config_static_selectorELNS0_4arch9wavefront6targetE0EEEvSZ_.numbered_sgpr, 0
	.set _ZN7rocprim17ROCPRIM_400000_NS6detail17trampoline_kernelINS0_13select_configILj256ELj13ELNS0_17block_load_methodE3ELS4_3ELS4_3ELNS0_20block_scan_algorithmE0ELj4294967295EEENS1_25partition_config_selectorILNS1_17partition_subalgoE4EjNS0_10empty_typeEbEEZZNS1_14partition_implILS8_4ELb0ES6_15HIP_vector_typeIjLj2EENS0_17counting_iteratorIjlEEPS9_SG_NS0_5tupleIJPjSI_NS0_16reverse_iteratorISI_EEEEENSH_IJSG_SG_SG_EEES9_SI_JZNS1_25segmented_radix_sort_implINS0_14default_configELb1EPKlPlSQ_SR_N2at6native12_GLOBAL__N_18offset_tEEE10hipError_tPvRmT1_PNSt15iterator_traitsISZ_E10value_typeET2_T3_PNS10_IS15_E10value_typeET4_jRbjT5_S1B_jjP12ihipStream_tbEUljE_ZNSN_ISO_Lb1ESQ_SR_SQ_SR_SV_EESW_SX_SY_SZ_S13_S14_S15_S18_S19_jS1A_jS1B_S1B_jjS1D_bEUljE0_EEESW_SX_SY_S15_S19_S1B_T6_T7_T9_mT8_S1D_bDpT10_ENKUlT_T0_E_clISt17integral_constantIbLb0EES1Q_IbLb1EEEEDaS1M_S1N_EUlS1M_E_NS1_11comp_targetILNS1_3genE4ELNS1_11target_archE910ELNS1_3gpuE8ELNS1_3repE0EEENS1_30default_config_static_selectorELNS0_4arch9wavefront6targetE0EEEvSZ_.num_named_barrier, 0
	.set _ZN7rocprim17ROCPRIM_400000_NS6detail17trampoline_kernelINS0_13select_configILj256ELj13ELNS0_17block_load_methodE3ELS4_3ELS4_3ELNS0_20block_scan_algorithmE0ELj4294967295EEENS1_25partition_config_selectorILNS1_17partition_subalgoE4EjNS0_10empty_typeEbEEZZNS1_14partition_implILS8_4ELb0ES6_15HIP_vector_typeIjLj2EENS0_17counting_iteratorIjlEEPS9_SG_NS0_5tupleIJPjSI_NS0_16reverse_iteratorISI_EEEEENSH_IJSG_SG_SG_EEES9_SI_JZNS1_25segmented_radix_sort_implINS0_14default_configELb1EPKlPlSQ_SR_N2at6native12_GLOBAL__N_18offset_tEEE10hipError_tPvRmT1_PNSt15iterator_traitsISZ_E10value_typeET2_T3_PNS10_IS15_E10value_typeET4_jRbjT5_S1B_jjP12ihipStream_tbEUljE_ZNSN_ISO_Lb1ESQ_SR_SQ_SR_SV_EESW_SX_SY_SZ_S13_S14_S15_S18_S19_jS1A_jS1B_S1B_jjS1D_bEUljE0_EEESW_SX_SY_S15_S19_S1B_T6_T7_T9_mT8_S1D_bDpT10_ENKUlT_T0_E_clISt17integral_constantIbLb0EES1Q_IbLb1EEEEDaS1M_S1N_EUlS1M_E_NS1_11comp_targetILNS1_3genE4ELNS1_11target_archE910ELNS1_3gpuE8ELNS1_3repE0EEENS1_30default_config_static_selectorELNS0_4arch9wavefront6targetE0EEEvSZ_.private_seg_size, 0
	.set _ZN7rocprim17ROCPRIM_400000_NS6detail17trampoline_kernelINS0_13select_configILj256ELj13ELNS0_17block_load_methodE3ELS4_3ELS4_3ELNS0_20block_scan_algorithmE0ELj4294967295EEENS1_25partition_config_selectorILNS1_17partition_subalgoE4EjNS0_10empty_typeEbEEZZNS1_14partition_implILS8_4ELb0ES6_15HIP_vector_typeIjLj2EENS0_17counting_iteratorIjlEEPS9_SG_NS0_5tupleIJPjSI_NS0_16reverse_iteratorISI_EEEEENSH_IJSG_SG_SG_EEES9_SI_JZNS1_25segmented_radix_sort_implINS0_14default_configELb1EPKlPlSQ_SR_N2at6native12_GLOBAL__N_18offset_tEEE10hipError_tPvRmT1_PNSt15iterator_traitsISZ_E10value_typeET2_T3_PNS10_IS15_E10value_typeET4_jRbjT5_S1B_jjP12ihipStream_tbEUljE_ZNSN_ISO_Lb1ESQ_SR_SQ_SR_SV_EESW_SX_SY_SZ_S13_S14_S15_S18_S19_jS1A_jS1B_S1B_jjS1D_bEUljE0_EEESW_SX_SY_S15_S19_S1B_T6_T7_T9_mT8_S1D_bDpT10_ENKUlT_T0_E_clISt17integral_constantIbLb0EES1Q_IbLb1EEEEDaS1M_S1N_EUlS1M_E_NS1_11comp_targetILNS1_3genE4ELNS1_11target_archE910ELNS1_3gpuE8ELNS1_3repE0EEENS1_30default_config_static_selectorELNS0_4arch9wavefront6targetE0EEEvSZ_.uses_vcc, 0
	.set _ZN7rocprim17ROCPRIM_400000_NS6detail17trampoline_kernelINS0_13select_configILj256ELj13ELNS0_17block_load_methodE3ELS4_3ELS4_3ELNS0_20block_scan_algorithmE0ELj4294967295EEENS1_25partition_config_selectorILNS1_17partition_subalgoE4EjNS0_10empty_typeEbEEZZNS1_14partition_implILS8_4ELb0ES6_15HIP_vector_typeIjLj2EENS0_17counting_iteratorIjlEEPS9_SG_NS0_5tupleIJPjSI_NS0_16reverse_iteratorISI_EEEEENSH_IJSG_SG_SG_EEES9_SI_JZNS1_25segmented_radix_sort_implINS0_14default_configELb1EPKlPlSQ_SR_N2at6native12_GLOBAL__N_18offset_tEEE10hipError_tPvRmT1_PNSt15iterator_traitsISZ_E10value_typeET2_T3_PNS10_IS15_E10value_typeET4_jRbjT5_S1B_jjP12ihipStream_tbEUljE_ZNSN_ISO_Lb1ESQ_SR_SQ_SR_SV_EESW_SX_SY_SZ_S13_S14_S15_S18_S19_jS1A_jS1B_S1B_jjS1D_bEUljE0_EEESW_SX_SY_S15_S19_S1B_T6_T7_T9_mT8_S1D_bDpT10_ENKUlT_T0_E_clISt17integral_constantIbLb0EES1Q_IbLb1EEEEDaS1M_S1N_EUlS1M_E_NS1_11comp_targetILNS1_3genE4ELNS1_11target_archE910ELNS1_3gpuE8ELNS1_3repE0EEENS1_30default_config_static_selectorELNS0_4arch9wavefront6targetE0EEEvSZ_.uses_flat_scratch, 0
	.set _ZN7rocprim17ROCPRIM_400000_NS6detail17trampoline_kernelINS0_13select_configILj256ELj13ELNS0_17block_load_methodE3ELS4_3ELS4_3ELNS0_20block_scan_algorithmE0ELj4294967295EEENS1_25partition_config_selectorILNS1_17partition_subalgoE4EjNS0_10empty_typeEbEEZZNS1_14partition_implILS8_4ELb0ES6_15HIP_vector_typeIjLj2EENS0_17counting_iteratorIjlEEPS9_SG_NS0_5tupleIJPjSI_NS0_16reverse_iteratorISI_EEEEENSH_IJSG_SG_SG_EEES9_SI_JZNS1_25segmented_radix_sort_implINS0_14default_configELb1EPKlPlSQ_SR_N2at6native12_GLOBAL__N_18offset_tEEE10hipError_tPvRmT1_PNSt15iterator_traitsISZ_E10value_typeET2_T3_PNS10_IS15_E10value_typeET4_jRbjT5_S1B_jjP12ihipStream_tbEUljE_ZNSN_ISO_Lb1ESQ_SR_SQ_SR_SV_EESW_SX_SY_SZ_S13_S14_S15_S18_S19_jS1A_jS1B_S1B_jjS1D_bEUljE0_EEESW_SX_SY_S15_S19_S1B_T6_T7_T9_mT8_S1D_bDpT10_ENKUlT_T0_E_clISt17integral_constantIbLb0EES1Q_IbLb1EEEEDaS1M_S1N_EUlS1M_E_NS1_11comp_targetILNS1_3genE4ELNS1_11target_archE910ELNS1_3gpuE8ELNS1_3repE0EEENS1_30default_config_static_selectorELNS0_4arch9wavefront6targetE0EEEvSZ_.has_dyn_sized_stack, 0
	.set _ZN7rocprim17ROCPRIM_400000_NS6detail17trampoline_kernelINS0_13select_configILj256ELj13ELNS0_17block_load_methodE3ELS4_3ELS4_3ELNS0_20block_scan_algorithmE0ELj4294967295EEENS1_25partition_config_selectorILNS1_17partition_subalgoE4EjNS0_10empty_typeEbEEZZNS1_14partition_implILS8_4ELb0ES6_15HIP_vector_typeIjLj2EENS0_17counting_iteratorIjlEEPS9_SG_NS0_5tupleIJPjSI_NS0_16reverse_iteratorISI_EEEEENSH_IJSG_SG_SG_EEES9_SI_JZNS1_25segmented_radix_sort_implINS0_14default_configELb1EPKlPlSQ_SR_N2at6native12_GLOBAL__N_18offset_tEEE10hipError_tPvRmT1_PNSt15iterator_traitsISZ_E10value_typeET2_T3_PNS10_IS15_E10value_typeET4_jRbjT5_S1B_jjP12ihipStream_tbEUljE_ZNSN_ISO_Lb1ESQ_SR_SQ_SR_SV_EESW_SX_SY_SZ_S13_S14_S15_S18_S19_jS1A_jS1B_S1B_jjS1D_bEUljE0_EEESW_SX_SY_S15_S19_S1B_T6_T7_T9_mT8_S1D_bDpT10_ENKUlT_T0_E_clISt17integral_constantIbLb0EES1Q_IbLb1EEEEDaS1M_S1N_EUlS1M_E_NS1_11comp_targetILNS1_3genE4ELNS1_11target_archE910ELNS1_3gpuE8ELNS1_3repE0EEENS1_30default_config_static_selectorELNS0_4arch9wavefront6targetE0EEEvSZ_.has_recursion, 0
	.set _ZN7rocprim17ROCPRIM_400000_NS6detail17trampoline_kernelINS0_13select_configILj256ELj13ELNS0_17block_load_methodE3ELS4_3ELS4_3ELNS0_20block_scan_algorithmE0ELj4294967295EEENS1_25partition_config_selectorILNS1_17partition_subalgoE4EjNS0_10empty_typeEbEEZZNS1_14partition_implILS8_4ELb0ES6_15HIP_vector_typeIjLj2EENS0_17counting_iteratorIjlEEPS9_SG_NS0_5tupleIJPjSI_NS0_16reverse_iteratorISI_EEEEENSH_IJSG_SG_SG_EEES9_SI_JZNS1_25segmented_radix_sort_implINS0_14default_configELb1EPKlPlSQ_SR_N2at6native12_GLOBAL__N_18offset_tEEE10hipError_tPvRmT1_PNSt15iterator_traitsISZ_E10value_typeET2_T3_PNS10_IS15_E10value_typeET4_jRbjT5_S1B_jjP12ihipStream_tbEUljE_ZNSN_ISO_Lb1ESQ_SR_SQ_SR_SV_EESW_SX_SY_SZ_S13_S14_S15_S18_S19_jS1A_jS1B_S1B_jjS1D_bEUljE0_EEESW_SX_SY_S15_S19_S1B_T6_T7_T9_mT8_S1D_bDpT10_ENKUlT_T0_E_clISt17integral_constantIbLb0EES1Q_IbLb1EEEEDaS1M_S1N_EUlS1M_E_NS1_11comp_targetILNS1_3genE4ELNS1_11target_archE910ELNS1_3gpuE8ELNS1_3repE0EEENS1_30default_config_static_selectorELNS0_4arch9wavefront6targetE0EEEvSZ_.has_indirect_call, 0
	.section	.AMDGPU.csdata,"",@progbits
; Kernel info:
; codeLenInByte = 0
; TotalNumSgprs: 0
; NumVgprs: 0
; ScratchSize: 0
; MemoryBound: 0
; FloatMode: 240
; IeeeMode: 1
; LDSByteSize: 0 bytes/workgroup (compile time only)
; SGPRBlocks: 0
; VGPRBlocks: 0
; NumSGPRsForWavesPerEU: 1
; NumVGPRsForWavesPerEU: 1
; NamedBarCnt: 0
; Occupancy: 16
; WaveLimiterHint : 0
; COMPUTE_PGM_RSRC2:SCRATCH_EN: 0
; COMPUTE_PGM_RSRC2:USER_SGPR: 2
; COMPUTE_PGM_RSRC2:TRAP_HANDLER: 0
; COMPUTE_PGM_RSRC2:TGID_X_EN: 1
; COMPUTE_PGM_RSRC2:TGID_Y_EN: 0
; COMPUTE_PGM_RSRC2:TGID_Z_EN: 0
; COMPUTE_PGM_RSRC2:TIDIG_COMP_CNT: 0
	.section	.text._ZN7rocprim17ROCPRIM_400000_NS6detail17trampoline_kernelINS0_13select_configILj256ELj13ELNS0_17block_load_methodE3ELS4_3ELS4_3ELNS0_20block_scan_algorithmE0ELj4294967295EEENS1_25partition_config_selectorILNS1_17partition_subalgoE4EjNS0_10empty_typeEbEEZZNS1_14partition_implILS8_4ELb0ES6_15HIP_vector_typeIjLj2EENS0_17counting_iteratorIjlEEPS9_SG_NS0_5tupleIJPjSI_NS0_16reverse_iteratorISI_EEEEENSH_IJSG_SG_SG_EEES9_SI_JZNS1_25segmented_radix_sort_implINS0_14default_configELb1EPKlPlSQ_SR_N2at6native12_GLOBAL__N_18offset_tEEE10hipError_tPvRmT1_PNSt15iterator_traitsISZ_E10value_typeET2_T3_PNS10_IS15_E10value_typeET4_jRbjT5_S1B_jjP12ihipStream_tbEUljE_ZNSN_ISO_Lb1ESQ_SR_SQ_SR_SV_EESW_SX_SY_SZ_S13_S14_S15_S18_S19_jS1A_jS1B_S1B_jjS1D_bEUljE0_EEESW_SX_SY_S15_S19_S1B_T6_T7_T9_mT8_S1D_bDpT10_ENKUlT_T0_E_clISt17integral_constantIbLb0EES1Q_IbLb1EEEEDaS1M_S1N_EUlS1M_E_NS1_11comp_targetILNS1_3genE3ELNS1_11target_archE908ELNS1_3gpuE7ELNS1_3repE0EEENS1_30default_config_static_selectorELNS0_4arch9wavefront6targetE0EEEvSZ_,"axG",@progbits,_ZN7rocprim17ROCPRIM_400000_NS6detail17trampoline_kernelINS0_13select_configILj256ELj13ELNS0_17block_load_methodE3ELS4_3ELS4_3ELNS0_20block_scan_algorithmE0ELj4294967295EEENS1_25partition_config_selectorILNS1_17partition_subalgoE4EjNS0_10empty_typeEbEEZZNS1_14partition_implILS8_4ELb0ES6_15HIP_vector_typeIjLj2EENS0_17counting_iteratorIjlEEPS9_SG_NS0_5tupleIJPjSI_NS0_16reverse_iteratorISI_EEEEENSH_IJSG_SG_SG_EEES9_SI_JZNS1_25segmented_radix_sort_implINS0_14default_configELb1EPKlPlSQ_SR_N2at6native12_GLOBAL__N_18offset_tEEE10hipError_tPvRmT1_PNSt15iterator_traitsISZ_E10value_typeET2_T3_PNS10_IS15_E10value_typeET4_jRbjT5_S1B_jjP12ihipStream_tbEUljE_ZNSN_ISO_Lb1ESQ_SR_SQ_SR_SV_EESW_SX_SY_SZ_S13_S14_S15_S18_S19_jS1A_jS1B_S1B_jjS1D_bEUljE0_EEESW_SX_SY_S15_S19_S1B_T6_T7_T9_mT8_S1D_bDpT10_ENKUlT_T0_E_clISt17integral_constantIbLb0EES1Q_IbLb1EEEEDaS1M_S1N_EUlS1M_E_NS1_11comp_targetILNS1_3genE3ELNS1_11target_archE908ELNS1_3gpuE7ELNS1_3repE0EEENS1_30default_config_static_selectorELNS0_4arch9wavefront6targetE0EEEvSZ_,comdat
	.globl	_ZN7rocprim17ROCPRIM_400000_NS6detail17trampoline_kernelINS0_13select_configILj256ELj13ELNS0_17block_load_methodE3ELS4_3ELS4_3ELNS0_20block_scan_algorithmE0ELj4294967295EEENS1_25partition_config_selectorILNS1_17partition_subalgoE4EjNS0_10empty_typeEbEEZZNS1_14partition_implILS8_4ELb0ES6_15HIP_vector_typeIjLj2EENS0_17counting_iteratorIjlEEPS9_SG_NS0_5tupleIJPjSI_NS0_16reverse_iteratorISI_EEEEENSH_IJSG_SG_SG_EEES9_SI_JZNS1_25segmented_radix_sort_implINS0_14default_configELb1EPKlPlSQ_SR_N2at6native12_GLOBAL__N_18offset_tEEE10hipError_tPvRmT1_PNSt15iterator_traitsISZ_E10value_typeET2_T3_PNS10_IS15_E10value_typeET4_jRbjT5_S1B_jjP12ihipStream_tbEUljE_ZNSN_ISO_Lb1ESQ_SR_SQ_SR_SV_EESW_SX_SY_SZ_S13_S14_S15_S18_S19_jS1A_jS1B_S1B_jjS1D_bEUljE0_EEESW_SX_SY_S15_S19_S1B_T6_T7_T9_mT8_S1D_bDpT10_ENKUlT_T0_E_clISt17integral_constantIbLb0EES1Q_IbLb1EEEEDaS1M_S1N_EUlS1M_E_NS1_11comp_targetILNS1_3genE3ELNS1_11target_archE908ELNS1_3gpuE7ELNS1_3repE0EEENS1_30default_config_static_selectorELNS0_4arch9wavefront6targetE0EEEvSZ_ ; -- Begin function _ZN7rocprim17ROCPRIM_400000_NS6detail17trampoline_kernelINS0_13select_configILj256ELj13ELNS0_17block_load_methodE3ELS4_3ELS4_3ELNS0_20block_scan_algorithmE0ELj4294967295EEENS1_25partition_config_selectorILNS1_17partition_subalgoE4EjNS0_10empty_typeEbEEZZNS1_14partition_implILS8_4ELb0ES6_15HIP_vector_typeIjLj2EENS0_17counting_iteratorIjlEEPS9_SG_NS0_5tupleIJPjSI_NS0_16reverse_iteratorISI_EEEEENSH_IJSG_SG_SG_EEES9_SI_JZNS1_25segmented_radix_sort_implINS0_14default_configELb1EPKlPlSQ_SR_N2at6native12_GLOBAL__N_18offset_tEEE10hipError_tPvRmT1_PNSt15iterator_traitsISZ_E10value_typeET2_T3_PNS10_IS15_E10value_typeET4_jRbjT5_S1B_jjP12ihipStream_tbEUljE_ZNSN_ISO_Lb1ESQ_SR_SQ_SR_SV_EESW_SX_SY_SZ_S13_S14_S15_S18_S19_jS1A_jS1B_S1B_jjS1D_bEUljE0_EEESW_SX_SY_S15_S19_S1B_T6_T7_T9_mT8_S1D_bDpT10_ENKUlT_T0_E_clISt17integral_constantIbLb0EES1Q_IbLb1EEEEDaS1M_S1N_EUlS1M_E_NS1_11comp_targetILNS1_3genE3ELNS1_11target_archE908ELNS1_3gpuE7ELNS1_3repE0EEENS1_30default_config_static_selectorELNS0_4arch9wavefront6targetE0EEEvSZ_
	.p2align	8
	.type	_ZN7rocprim17ROCPRIM_400000_NS6detail17trampoline_kernelINS0_13select_configILj256ELj13ELNS0_17block_load_methodE3ELS4_3ELS4_3ELNS0_20block_scan_algorithmE0ELj4294967295EEENS1_25partition_config_selectorILNS1_17partition_subalgoE4EjNS0_10empty_typeEbEEZZNS1_14partition_implILS8_4ELb0ES6_15HIP_vector_typeIjLj2EENS0_17counting_iteratorIjlEEPS9_SG_NS0_5tupleIJPjSI_NS0_16reverse_iteratorISI_EEEEENSH_IJSG_SG_SG_EEES9_SI_JZNS1_25segmented_radix_sort_implINS0_14default_configELb1EPKlPlSQ_SR_N2at6native12_GLOBAL__N_18offset_tEEE10hipError_tPvRmT1_PNSt15iterator_traitsISZ_E10value_typeET2_T3_PNS10_IS15_E10value_typeET4_jRbjT5_S1B_jjP12ihipStream_tbEUljE_ZNSN_ISO_Lb1ESQ_SR_SQ_SR_SV_EESW_SX_SY_SZ_S13_S14_S15_S18_S19_jS1A_jS1B_S1B_jjS1D_bEUljE0_EEESW_SX_SY_S15_S19_S1B_T6_T7_T9_mT8_S1D_bDpT10_ENKUlT_T0_E_clISt17integral_constantIbLb0EES1Q_IbLb1EEEEDaS1M_S1N_EUlS1M_E_NS1_11comp_targetILNS1_3genE3ELNS1_11target_archE908ELNS1_3gpuE7ELNS1_3repE0EEENS1_30default_config_static_selectorELNS0_4arch9wavefront6targetE0EEEvSZ_,@function
_ZN7rocprim17ROCPRIM_400000_NS6detail17trampoline_kernelINS0_13select_configILj256ELj13ELNS0_17block_load_methodE3ELS4_3ELS4_3ELNS0_20block_scan_algorithmE0ELj4294967295EEENS1_25partition_config_selectorILNS1_17partition_subalgoE4EjNS0_10empty_typeEbEEZZNS1_14partition_implILS8_4ELb0ES6_15HIP_vector_typeIjLj2EENS0_17counting_iteratorIjlEEPS9_SG_NS0_5tupleIJPjSI_NS0_16reverse_iteratorISI_EEEEENSH_IJSG_SG_SG_EEES9_SI_JZNS1_25segmented_radix_sort_implINS0_14default_configELb1EPKlPlSQ_SR_N2at6native12_GLOBAL__N_18offset_tEEE10hipError_tPvRmT1_PNSt15iterator_traitsISZ_E10value_typeET2_T3_PNS10_IS15_E10value_typeET4_jRbjT5_S1B_jjP12ihipStream_tbEUljE_ZNSN_ISO_Lb1ESQ_SR_SQ_SR_SV_EESW_SX_SY_SZ_S13_S14_S15_S18_S19_jS1A_jS1B_S1B_jjS1D_bEUljE0_EEESW_SX_SY_S15_S19_S1B_T6_T7_T9_mT8_S1D_bDpT10_ENKUlT_T0_E_clISt17integral_constantIbLb0EES1Q_IbLb1EEEEDaS1M_S1N_EUlS1M_E_NS1_11comp_targetILNS1_3genE3ELNS1_11target_archE908ELNS1_3gpuE7ELNS1_3repE0EEENS1_30default_config_static_selectorELNS0_4arch9wavefront6targetE0EEEvSZ_: ; @_ZN7rocprim17ROCPRIM_400000_NS6detail17trampoline_kernelINS0_13select_configILj256ELj13ELNS0_17block_load_methodE3ELS4_3ELS4_3ELNS0_20block_scan_algorithmE0ELj4294967295EEENS1_25partition_config_selectorILNS1_17partition_subalgoE4EjNS0_10empty_typeEbEEZZNS1_14partition_implILS8_4ELb0ES6_15HIP_vector_typeIjLj2EENS0_17counting_iteratorIjlEEPS9_SG_NS0_5tupleIJPjSI_NS0_16reverse_iteratorISI_EEEEENSH_IJSG_SG_SG_EEES9_SI_JZNS1_25segmented_radix_sort_implINS0_14default_configELb1EPKlPlSQ_SR_N2at6native12_GLOBAL__N_18offset_tEEE10hipError_tPvRmT1_PNSt15iterator_traitsISZ_E10value_typeET2_T3_PNS10_IS15_E10value_typeET4_jRbjT5_S1B_jjP12ihipStream_tbEUljE_ZNSN_ISO_Lb1ESQ_SR_SQ_SR_SV_EESW_SX_SY_SZ_S13_S14_S15_S18_S19_jS1A_jS1B_S1B_jjS1D_bEUljE0_EEESW_SX_SY_S15_S19_S1B_T6_T7_T9_mT8_S1D_bDpT10_ENKUlT_T0_E_clISt17integral_constantIbLb0EES1Q_IbLb1EEEEDaS1M_S1N_EUlS1M_E_NS1_11comp_targetILNS1_3genE3ELNS1_11target_archE908ELNS1_3gpuE7ELNS1_3repE0EEENS1_30default_config_static_selectorELNS0_4arch9wavefront6targetE0EEEvSZ_
; %bb.0:
	.section	.rodata,"a",@progbits
	.p2align	6, 0x0
	.amdhsa_kernel _ZN7rocprim17ROCPRIM_400000_NS6detail17trampoline_kernelINS0_13select_configILj256ELj13ELNS0_17block_load_methodE3ELS4_3ELS4_3ELNS0_20block_scan_algorithmE0ELj4294967295EEENS1_25partition_config_selectorILNS1_17partition_subalgoE4EjNS0_10empty_typeEbEEZZNS1_14partition_implILS8_4ELb0ES6_15HIP_vector_typeIjLj2EENS0_17counting_iteratorIjlEEPS9_SG_NS0_5tupleIJPjSI_NS0_16reverse_iteratorISI_EEEEENSH_IJSG_SG_SG_EEES9_SI_JZNS1_25segmented_radix_sort_implINS0_14default_configELb1EPKlPlSQ_SR_N2at6native12_GLOBAL__N_18offset_tEEE10hipError_tPvRmT1_PNSt15iterator_traitsISZ_E10value_typeET2_T3_PNS10_IS15_E10value_typeET4_jRbjT5_S1B_jjP12ihipStream_tbEUljE_ZNSN_ISO_Lb1ESQ_SR_SQ_SR_SV_EESW_SX_SY_SZ_S13_S14_S15_S18_S19_jS1A_jS1B_S1B_jjS1D_bEUljE0_EEESW_SX_SY_S15_S19_S1B_T6_T7_T9_mT8_S1D_bDpT10_ENKUlT_T0_E_clISt17integral_constantIbLb0EES1Q_IbLb1EEEEDaS1M_S1N_EUlS1M_E_NS1_11comp_targetILNS1_3genE3ELNS1_11target_archE908ELNS1_3gpuE7ELNS1_3repE0EEENS1_30default_config_static_selectorELNS0_4arch9wavefront6targetE0EEEvSZ_
		.amdhsa_group_segment_fixed_size 0
		.amdhsa_private_segment_fixed_size 0
		.amdhsa_kernarg_size 184
		.amdhsa_user_sgpr_count 2
		.amdhsa_user_sgpr_dispatch_ptr 0
		.amdhsa_user_sgpr_queue_ptr 0
		.amdhsa_user_sgpr_kernarg_segment_ptr 1
		.amdhsa_user_sgpr_dispatch_id 0
		.amdhsa_user_sgpr_kernarg_preload_length 0
		.amdhsa_user_sgpr_kernarg_preload_offset 0
		.amdhsa_user_sgpr_private_segment_size 0
		.amdhsa_wavefront_size32 1
		.amdhsa_uses_dynamic_stack 0
		.amdhsa_enable_private_segment 0
		.amdhsa_system_sgpr_workgroup_id_x 1
		.amdhsa_system_sgpr_workgroup_id_y 0
		.amdhsa_system_sgpr_workgroup_id_z 0
		.amdhsa_system_sgpr_workgroup_info 0
		.amdhsa_system_vgpr_workitem_id 0
		.amdhsa_next_free_vgpr 1
		.amdhsa_next_free_sgpr 1
		.amdhsa_named_barrier_count 0
		.amdhsa_reserve_vcc 0
		.amdhsa_float_round_mode_32 0
		.amdhsa_float_round_mode_16_64 0
		.amdhsa_float_denorm_mode_32 3
		.amdhsa_float_denorm_mode_16_64 3
		.amdhsa_fp16_overflow 0
		.amdhsa_memory_ordered 1
		.amdhsa_forward_progress 1
		.amdhsa_inst_pref_size 0
		.amdhsa_round_robin_scheduling 0
		.amdhsa_exception_fp_ieee_invalid_op 0
		.amdhsa_exception_fp_denorm_src 0
		.amdhsa_exception_fp_ieee_div_zero 0
		.amdhsa_exception_fp_ieee_overflow 0
		.amdhsa_exception_fp_ieee_underflow 0
		.amdhsa_exception_fp_ieee_inexact 0
		.amdhsa_exception_int_div_zero 0
	.end_amdhsa_kernel
	.section	.text._ZN7rocprim17ROCPRIM_400000_NS6detail17trampoline_kernelINS0_13select_configILj256ELj13ELNS0_17block_load_methodE3ELS4_3ELS4_3ELNS0_20block_scan_algorithmE0ELj4294967295EEENS1_25partition_config_selectorILNS1_17partition_subalgoE4EjNS0_10empty_typeEbEEZZNS1_14partition_implILS8_4ELb0ES6_15HIP_vector_typeIjLj2EENS0_17counting_iteratorIjlEEPS9_SG_NS0_5tupleIJPjSI_NS0_16reverse_iteratorISI_EEEEENSH_IJSG_SG_SG_EEES9_SI_JZNS1_25segmented_radix_sort_implINS0_14default_configELb1EPKlPlSQ_SR_N2at6native12_GLOBAL__N_18offset_tEEE10hipError_tPvRmT1_PNSt15iterator_traitsISZ_E10value_typeET2_T3_PNS10_IS15_E10value_typeET4_jRbjT5_S1B_jjP12ihipStream_tbEUljE_ZNSN_ISO_Lb1ESQ_SR_SQ_SR_SV_EESW_SX_SY_SZ_S13_S14_S15_S18_S19_jS1A_jS1B_S1B_jjS1D_bEUljE0_EEESW_SX_SY_S15_S19_S1B_T6_T7_T9_mT8_S1D_bDpT10_ENKUlT_T0_E_clISt17integral_constantIbLb0EES1Q_IbLb1EEEEDaS1M_S1N_EUlS1M_E_NS1_11comp_targetILNS1_3genE3ELNS1_11target_archE908ELNS1_3gpuE7ELNS1_3repE0EEENS1_30default_config_static_selectorELNS0_4arch9wavefront6targetE0EEEvSZ_,"axG",@progbits,_ZN7rocprim17ROCPRIM_400000_NS6detail17trampoline_kernelINS0_13select_configILj256ELj13ELNS0_17block_load_methodE3ELS4_3ELS4_3ELNS0_20block_scan_algorithmE0ELj4294967295EEENS1_25partition_config_selectorILNS1_17partition_subalgoE4EjNS0_10empty_typeEbEEZZNS1_14partition_implILS8_4ELb0ES6_15HIP_vector_typeIjLj2EENS0_17counting_iteratorIjlEEPS9_SG_NS0_5tupleIJPjSI_NS0_16reverse_iteratorISI_EEEEENSH_IJSG_SG_SG_EEES9_SI_JZNS1_25segmented_radix_sort_implINS0_14default_configELb1EPKlPlSQ_SR_N2at6native12_GLOBAL__N_18offset_tEEE10hipError_tPvRmT1_PNSt15iterator_traitsISZ_E10value_typeET2_T3_PNS10_IS15_E10value_typeET4_jRbjT5_S1B_jjP12ihipStream_tbEUljE_ZNSN_ISO_Lb1ESQ_SR_SQ_SR_SV_EESW_SX_SY_SZ_S13_S14_S15_S18_S19_jS1A_jS1B_S1B_jjS1D_bEUljE0_EEESW_SX_SY_S15_S19_S1B_T6_T7_T9_mT8_S1D_bDpT10_ENKUlT_T0_E_clISt17integral_constantIbLb0EES1Q_IbLb1EEEEDaS1M_S1N_EUlS1M_E_NS1_11comp_targetILNS1_3genE3ELNS1_11target_archE908ELNS1_3gpuE7ELNS1_3repE0EEENS1_30default_config_static_selectorELNS0_4arch9wavefront6targetE0EEEvSZ_,comdat
.Lfunc_end663:
	.size	_ZN7rocprim17ROCPRIM_400000_NS6detail17trampoline_kernelINS0_13select_configILj256ELj13ELNS0_17block_load_methodE3ELS4_3ELS4_3ELNS0_20block_scan_algorithmE0ELj4294967295EEENS1_25partition_config_selectorILNS1_17partition_subalgoE4EjNS0_10empty_typeEbEEZZNS1_14partition_implILS8_4ELb0ES6_15HIP_vector_typeIjLj2EENS0_17counting_iteratorIjlEEPS9_SG_NS0_5tupleIJPjSI_NS0_16reverse_iteratorISI_EEEEENSH_IJSG_SG_SG_EEES9_SI_JZNS1_25segmented_radix_sort_implINS0_14default_configELb1EPKlPlSQ_SR_N2at6native12_GLOBAL__N_18offset_tEEE10hipError_tPvRmT1_PNSt15iterator_traitsISZ_E10value_typeET2_T3_PNS10_IS15_E10value_typeET4_jRbjT5_S1B_jjP12ihipStream_tbEUljE_ZNSN_ISO_Lb1ESQ_SR_SQ_SR_SV_EESW_SX_SY_SZ_S13_S14_S15_S18_S19_jS1A_jS1B_S1B_jjS1D_bEUljE0_EEESW_SX_SY_S15_S19_S1B_T6_T7_T9_mT8_S1D_bDpT10_ENKUlT_T0_E_clISt17integral_constantIbLb0EES1Q_IbLb1EEEEDaS1M_S1N_EUlS1M_E_NS1_11comp_targetILNS1_3genE3ELNS1_11target_archE908ELNS1_3gpuE7ELNS1_3repE0EEENS1_30default_config_static_selectorELNS0_4arch9wavefront6targetE0EEEvSZ_, .Lfunc_end663-_ZN7rocprim17ROCPRIM_400000_NS6detail17trampoline_kernelINS0_13select_configILj256ELj13ELNS0_17block_load_methodE3ELS4_3ELS4_3ELNS0_20block_scan_algorithmE0ELj4294967295EEENS1_25partition_config_selectorILNS1_17partition_subalgoE4EjNS0_10empty_typeEbEEZZNS1_14partition_implILS8_4ELb0ES6_15HIP_vector_typeIjLj2EENS0_17counting_iteratorIjlEEPS9_SG_NS0_5tupleIJPjSI_NS0_16reverse_iteratorISI_EEEEENSH_IJSG_SG_SG_EEES9_SI_JZNS1_25segmented_radix_sort_implINS0_14default_configELb1EPKlPlSQ_SR_N2at6native12_GLOBAL__N_18offset_tEEE10hipError_tPvRmT1_PNSt15iterator_traitsISZ_E10value_typeET2_T3_PNS10_IS15_E10value_typeET4_jRbjT5_S1B_jjP12ihipStream_tbEUljE_ZNSN_ISO_Lb1ESQ_SR_SQ_SR_SV_EESW_SX_SY_SZ_S13_S14_S15_S18_S19_jS1A_jS1B_S1B_jjS1D_bEUljE0_EEESW_SX_SY_S15_S19_S1B_T6_T7_T9_mT8_S1D_bDpT10_ENKUlT_T0_E_clISt17integral_constantIbLb0EES1Q_IbLb1EEEEDaS1M_S1N_EUlS1M_E_NS1_11comp_targetILNS1_3genE3ELNS1_11target_archE908ELNS1_3gpuE7ELNS1_3repE0EEENS1_30default_config_static_selectorELNS0_4arch9wavefront6targetE0EEEvSZ_
                                        ; -- End function
	.set _ZN7rocprim17ROCPRIM_400000_NS6detail17trampoline_kernelINS0_13select_configILj256ELj13ELNS0_17block_load_methodE3ELS4_3ELS4_3ELNS0_20block_scan_algorithmE0ELj4294967295EEENS1_25partition_config_selectorILNS1_17partition_subalgoE4EjNS0_10empty_typeEbEEZZNS1_14partition_implILS8_4ELb0ES6_15HIP_vector_typeIjLj2EENS0_17counting_iteratorIjlEEPS9_SG_NS0_5tupleIJPjSI_NS0_16reverse_iteratorISI_EEEEENSH_IJSG_SG_SG_EEES9_SI_JZNS1_25segmented_radix_sort_implINS0_14default_configELb1EPKlPlSQ_SR_N2at6native12_GLOBAL__N_18offset_tEEE10hipError_tPvRmT1_PNSt15iterator_traitsISZ_E10value_typeET2_T3_PNS10_IS15_E10value_typeET4_jRbjT5_S1B_jjP12ihipStream_tbEUljE_ZNSN_ISO_Lb1ESQ_SR_SQ_SR_SV_EESW_SX_SY_SZ_S13_S14_S15_S18_S19_jS1A_jS1B_S1B_jjS1D_bEUljE0_EEESW_SX_SY_S15_S19_S1B_T6_T7_T9_mT8_S1D_bDpT10_ENKUlT_T0_E_clISt17integral_constantIbLb0EES1Q_IbLb1EEEEDaS1M_S1N_EUlS1M_E_NS1_11comp_targetILNS1_3genE3ELNS1_11target_archE908ELNS1_3gpuE7ELNS1_3repE0EEENS1_30default_config_static_selectorELNS0_4arch9wavefront6targetE0EEEvSZ_.num_vgpr, 0
	.set _ZN7rocprim17ROCPRIM_400000_NS6detail17trampoline_kernelINS0_13select_configILj256ELj13ELNS0_17block_load_methodE3ELS4_3ELS4_3ELNS0_20block_scan_algorithmE0ELj4294967295EEENS1_25partition_config_selectorILNS1_17partition_subalgoE4EjNS0_10empty_typeEbEEZZNS1_14partition_implILS8_4ELb0ES6_15HIP_vector_typeIjLj2EENS0_17counting_iteratorIjlEEPS9_SG_NS0_5tupleIJPjSI_NS0_16reverse_iteratorISI_EEEEENSH_IJSG_SG_SG_EEES9_SI_JZNS1_25segmented_radix_sort_implINS0_14default_configELb1EPKlPlSQ_SR_N2at6native12_GLOBAL__N_18offset_tEEE10hipError_tPvRmT1_PNSt15iterator_traitsISZ_E10value_typeET2_T3_PNS10_IS15_E10value_typeET4_jRbjT5_S1B_jjP12ihipStream_tbEUljE_ZNSN_ISO_Lb1ESQ_SR_SQ_SR_SV_EESW_SX_SY_SZ_S13_S14_S15_S18_S19_jS1A_jS1B_S1B_jjS1D_bEUljE0_EEESW_SX_SY_S15_S19_S1B_T6_T7_T9_mT8_S1D_bDpT10_ENKUlT_T0_E_clISt17integral_constantIbLb0EES1Q_IbLb1EEEEDaS1M_S1N_EUlS1M_E_NS1_11comp_targetILNS1_3genE3ELNS1_11target_archE908ELNS1_3gpuE7ELNS1_3repE0EEENS1_30default_config_static_selectorELNS0_4arch9wavefront6targetE0EEEvSZ_.num_agpr, 0
	.set _ZN7rocprim17ROCPRIM_400000_NS6detail17trampoline_kernelINS0_13select_configILj256ELj13ELNS0_17block_load_methodE3ELS4_3ELS4_3ELNS0_20block_scan_algorithmE0ELj4294967295EEENS1_25partition_config_selectorILNS1_17partition_subalgoE4EjNS0_10empty_typeEbEEZZNS1_14partition_implILS8_4ELb0ES6_15HIP_vector_typeIjLj2EENS0_17counting_iteratorIjlEEPS9_SG_NS0_5tupleIJPjSI_NS0_16reverse_iteratorISI_EEEEENSH_IJSG_SG_SG_EEES9_SI_JZNS1_25segmented_radix_sort_implINS0_14default_configELb1EPKlPlSQ_SR_N2at6native12_GLOBAL__N_18offset_tEEE10hipError_tPvRmT1_PNSt15iterator_traitsISZ_E10value_typeET2_T3_PNS10_IS15_E10value_typeET4_jRbjT5_S1B_jjP12ihipStream_tbEUljE_ZNSN_ISO_Lb1ESQ_SR_SQ_SR_SV_EESW_SX_SY_SZ_S13_S14_S15_S18_S19_jS1A_jS1B_S1B_jjS1D_bEUljE0_EEESW_SX_SY_S15_S19_S1B_T6_T7_T9_mT8_S1D_bDpT10_ENKUlT_T0_E_clISt17integral_constantIbLb0EES1Q_IbLb1EEEEDaS1M_S1N_EUlS1M_E_NS1_11comp_targetILNS1_3genE3ELNS1_11target_archE908ELNS1_3gpuE7ELNS1_3repE0EEENS1_30default_config_static_selectorELNS0_4arch9wavefront6targetE0EEEvSZ_.numbered_sgpr, 0
	.set _ZN7rocprim17ROCPRIM_400000_NS6detail17trampoline_kernelINS0_13select_configILj256ELj13ELNS0_17block_load_methodE3ELS4_3ELS4_3ELNS0_20block_scan_algorithmE0ELj4294967295EEENS1_25partition_config_selectorILNS1_17partition_subalgoE4EjNS0_10empty_typeEbEEZZNS1_14partition_implILS8_4ELb0ES6_15HIP_vector_typeIjLj2EENS0_17counting_iteratorIjlEEPS9_SG_NS0_5tupleIJPjSI_NS0_16reverse_iteratorISI_EEEEENSH_IJSG_SG_SG_EEES9_SI_JZNS1_25segmented_radix_sort_implINS0_14default_configELb1EPKlPlSQ_SR_N2at6native12_GLOBAL__N_18offset_tEEE10hipError_tPvRmT1_PNSt15iterator_traitsISZ_E10value_typeET2_T3_PNS10_IS15_E10value_typeET4_jRbjT5_S1B_jjP12ihipStream_tbEUljE_ZNSN_ISO_Lb1ESQ_SR_SQ_SR_SV_EESW_SX_SY_SZ_S13_S14_S15_S18_S19_jS1A_jS1B_S1B_jjS1D_bEUljE0_EEESW_SX_SY_S15_S19_S1B_T6_T7_T9_mT8_S1D_bDpT10_ENKUlT_T0_E_clISt17integral_constantIbLb0EES1Q_IbLb1EEEEDaS1M_S1N_EUlS1M_E_NS1_11comp_targetILNS1_3genE3ELNS1_11target_archE908ELNS1_3gpuE7ELNS1_3repE0EEENS1_30default_config_static_selectorELNS0_4arch9wavefront6targetE0EEEvSZ_.num_named_barrier, 0
	.set _ZN7rocprim17ROCPRIM_400000_NS6detail17trampoline_kernelINS0_13select_configILj256ELj13ELNS0_17block_load_methodE3ELS4_3ELS4_3ELNS0_20block_scan_algorithmE0ELj4294967295EEENS1_25partition_config_selectorILNS1_17partition_subalgoE4EjNS0_10empty_typeEbEEZZNS1_14partition_implILS8_4ELb0ES6_15HIP_vector_typeIjLj2EENS0_17counting_iteratorIjlEEPS9_SG_NS0_5tupleIJPjSI_NS0_16reverse_iteratorISI_EEEEENSH_IJSG_SG_SG_EEES9_SI_JZNS1_25segmented_radix_sort_implINS0_14default_configELb1EPKlPlSQ_SR_N2at6native12_GLOBAL__N_18offset_tEEE10hipError_tPvRmT1_PNSt15iterator_traitsISZ_E10value_typeET2_T3_PNS10_IS15_E10value_typeET4_jRbjT5_S1B_jjP12ihipStream_tbEUljE_ZNSN_ISO_Lb1ESQ_SR_SQ_SR_SV_EESW_SX_SY_SZ_S13_S14_S15_S18_S19_jS1A_jS1B_S1B_jjS1D_bEUljE0_EEESW_SX_SY_S15_S19_S1B_T6_T7_T9_mT8_S1D_bDpT10_ENKUlT_T0_E_clISt17integral_constantIbLb0EES1Q_IbLb1EEEEDaS1M_S1N_EUlS1M_E_NS1_11comp_targetILNS1_3genE3ELNS1_11target_archE908ELNS1_3gpuE7ELNS1_3repE0EEENS1_30default_config_static_selectorELNS0_4arch9wavefront6targetE0EEEvSZ_.private_seg_size, 0
	.set _ZN7rocprim17ROCPRIM_400000_NS6detail17trampoline_kernelINS0_13select_configILj256ELj13ELNS0_17block_load_methodE3ELS4_3ELS4_3ELNS0_20block_scan_algorithmE0ELj4294967295EEENS1_25partition_config_selectorILNS1_17partition_subalgoE4EjNS0_10empty_typeEbEEZZNS1_14partition_implILS8_4ELb0ES6_15HIP_vector_typeIjLj2EENS0_17counting_iteratorIjlEEPS9_SG_NS0_5tupleIJPjSI_NS0_16reverse_iteratorISI_EEEEENSH_IJSG_SG_SG_EEES9_SI_JZNS1_25segmented_radix_sort_implINS0_14default_configELb1EPKlPlSQ_SR_N2at6native12_GLOBAL__N_18offset_tEEE10hipError_tPvRmT1_PNSt15iterator_traitsISZ_E10value_typeET2_T3_PNS10_IS15_E10value_typeET4_jRbjT5_S1B_jjP12ihipStream_tbEUljE_ZNSN_ISO_Lb1ESQ_SR_SQ_SR_SV_EESW_SX_SY_SZ_S13_S14_S15_S18_S19_jS1A_jS1B_S1B_jjS1D_bEUljE0_EEESW_SX_SY_S15_S19_S1B_T6_T7_T9_mT8_S1D_bDpT10_ENKUlT_T0_E_clISt17integral_constantIbLb0EES1Q_IbLb1EEEEDaS1M_S1N_EUlS1M_E_NS1_11comp_targetILNS1_3genE3ELNS1_11target_archE908ELNS1_3gpuE7ELNS1_3repE0EEENS1_30default_config_static_selectorELNS0_4arch9wavefront6targetE0EEEvSZ_.uses_vcc, 0
	.set _ZN7rocprim17ROCPRIM_400000_NS6detail17trampoline_kernelINS0_13select_configILj256ELj13ELNS0_17block_load_methodE3ELS4_3ELS4_3ELNS0_20block_scan_algorithmE0ELj4294967295EEENS1_25partition_config_selectorILNS1_17partition_subalgoE4EjNS0_10empty_typeEbEEZZNS1_14partition_implILS8_4ELb0ES6_15HIP_vector_typeIjLj2EENS0_17counting_iteratorIjlEEPS9_SG_NS0_5tupleIJPjSI_NS0_16reverse_iteratorISI_EEEEENSH_IJSG_SG_SG_EEES9_SI_JZNS1_25segmented_radix_sort_implINS0_14default_configELb1EPKlPlSQ_SR_N2at6native12_GLOBAL__N_18offset_tEEE10hipError_tPvRmT1_PNSt15iterator_traitsISZ_E10value_typeET2_T3_PNS10_IS15_E10value_typeET4_jRbjT5_S1B_jjP12ihipStream_tbEUljE_ZNSN_ISO_Lb1ESQ_SR_SQ_SR_SV_EESW_SX_SY_SZ_S13_S14_S15_S18_S19_jS1A_jS1B_S1B_jjS1D_bEUljE0_EEESW_SX_SY_S15_S19_S1B_T6_T7_T9_mT8_S1D_bDpT10_ENKUlT_T0_E_clISt17integral_constantIbLb0EES1Q_IbLb1EEEEDaS1M_S1N_EUlS1M_E_NS1_11comp_targetILNS1_3genE3ELNS1_11target_archE908ELNS1_3gpuE7ELNS1_3repE0EEENS1_30default_config_static_selectorELNS0_4arch9wavefront6targetE0EEEvSZ_.uses_flat_scratch, 0
	.set _ZN7rocprim17ROCPRIM_400000_NS6detail17trampoline_kernelINS0_13select_configILj256ELj13ELNS0_17block_load_methodE3ELS4_3ELS4_3ELNS0_20block_scan_algorithmE0ELj4294967295EEENS1_25partition_config_selectorILNS1_17partition_subalgoE4EjNS0_10empty_typeEbEEZZNS1_14partition_implILS8_4ELb0ES6_15HIP_vector_typeIjLj2EENS0_17counting_iteratorIjlEEPS9_SG_NS0_5tupleIJPjSI_NS0_16reverse_iteratorISI_EEEEENSH_IJSG_SG_SG_EEES9_SI_JZNS1_25segmented_radix_sort_implINS0_14default_configELb1EPKlPlSQ_SR_N2at6native12_GLOBAL__N_18offset_tEEE10hipError_tPvRmT1_PNSt15iterator_traitsISZ_E10value_typeET2_T3_PNS10_IS15_E10value_typeET4_jRbjT5_S1B_jjP12ihipStream_tbEUljE_ZNSN_ISO_Lb1ESQ_SR_SQ_SR_SV_EESW_SX_SY_SZ_S13_S14_S15_S18_S19_jS1A_jS1B_S1B_jjS1D_bEUljE0_EEESW_SX_SY_S15_S19_S1B_T6_T7_T9_mT8_S1D_bDpT10_ENKUlT_T0_E_clISt17integral_constantIbLb0EES1Q_IbLb1EEEEDaS1M_S1N_EUlS1M_E_NS1_11comp_targetILNS1_3genE3ELNS1_11target_archE908ELNS1_3gpuE7ELNS1_3repE0EEENS1_30default_config_static_selectorELNS0_4arch9wavefront6targetE0EEEvSZ_.has_dyn_sized_stack, 0
	.set _ZN7rocprim17ROCPRIM_400000_NS6detail17trampoline_kernelINS0_13select_configILj256ELj13ELNS0_17block_load_methodE3ELS4_3ELS4_3ELNS0_20block_scan_algorithmE0ELj4294967295EEENS1_25partition_config_selectorILNS1_17partition_subalgoE4EjNS0_10empty_typeEbEEZZNS1_14partition_implILS8_4ELb0ES6_15HIP_vector_typeIjLj2EENS0_17counting_iteratorIjlEEPS9_SG_NS0_5tupleIJPjSI_NS0_16reverse_iteratorISI_EEEEENSH_IJSG_SG_SG_EEES9_SI_JZNS1_25segmented_radix_sort_implINS0_14default_configELb1EPKlPlSQ_SR_N2at6native12_GLOBAL__N_18offset_tEEE10hipError_tPvRmT1_PNSt15iterator_traitsISZ_E10value_typeET2_T3_PNS10_IS15_E10value_typeET4_jRbjT5_S1B_jjP12ihipStream_tbEUljE_ZNSN_ISO_Lb1ESQ_SR_SQ_SR_SV_EESW_SX_SY_SZ_S13_S14_S15_S18_S19_jS1A_jS1B_S1B_jjS1D_bEUljE0_EEESW_SX_SY_S15_S19_S1B_T6_T7_T9_mT8_S1D_bDpT10_ENKUlT_T0_E_clISt17integral_constantIbLb0EES1Q_IbLb1EEEEDaS1M_S1N_EUlS1M_E_NS1_11comp_targetILNS1_3genE3ELNS1_11target_archE908ELNS1_3gpuE7ELNS1_3repE0EEENS1_30default_config_static_selectorELNS0_4arch9wavefront6targetE0EEEvSZ_.has_recursion, 0
	.set _ZN7rocprim17ROCPRIM_400000_NS6detail17trampoline_kernelINS0_13select_configILj256ELj13ELNS0_17block_load_methodE3ELS4_3ELS4_3ELNS0_20block_scan_algorithmE0ELj4294967295EEENS1_25partition_config_selectorILNS1_17partition_subalgoE4EjNS0_10empty_typeEbEEZZNS1_14partition_implILS8_4ELb0ES6_15HIP_vector_typeIjLj2EENS0_17counting_iteratorIjlEEPS9_SG_NS0_5tupleIJPjSI_NS0_16reverse_iteratorISI_EEEEENSH_IJSG_SG_SG_EEES9_SI_JZNS1_25segmented_radix_sort_implINS0_14default_configELb1EPKlPlSQ_SR_N2at6native12_GLOBAL__N_18offset_tEEE10hipError_tPvRmT1_PNSt15iterator_traitsISZ_E10value_typeET2_T3_PNS10_IS15_E10value_typeET4_jRbjT5_S1B_jjP12ihipStream_tbEUljE_ZNSN_ISO_Lb1ESQ_SR_SQ_SR_SV_EESW_SX_SY_SZ_S13_S14_S15_S18_S19_jS1A_jS1B_S1B_jjS1D_bEUljE0_EEESW_SX_SY_S15_S19_S1B_T6_T7_T9_mT8_S1D_bDpT10_ENKUlT_T0_E_clISt17integral_constantIbLb0EES1Q_IbLb1EEEEDaS1M_S1N_EUlS1M_E_NS1_11comp_targetILNS1_3genE3ELNS1_11target_archE908ELNS1_3gpuE7ELNS1_3repE0EEENS1_30default_config_static_selectorELNS0_4arch9wavefront6targetE0EEEvSZ_.has_indirect_call, 0
	.section	.AMDGPU.csdata,"",@progbits
; Kernel info:
; codeLenInByte = 0
; TotalNumSgprs: 0
; NumVgprs: 0
; ScratchSize: 0
; MemoryBound: 0
; FloatMode: 240
; IeeeMode: 1
; LDSByteSize: 0 bytes/workgroup (compile time only)
; SGPRBlocks: 0
; VGPRBlocks: 0
; NumSGPRsForWavesPerEU: 1
; NumVGPRsForWavesPerEU: 1
; NamedBarCnt: 0
; Occupancy: 16
; WaveLimiterHint : 0
; COMPUTE_PGM_RSRC2:SCRATCH_EN: 0
; COMPUTE_PGM_RSRC2:USER_SGPR: 2
; COMPUTE_PGM_RSRC2:TRAP_HANDLER: 0
; COMPUTE_PGM_RSRC2:TGID_X_EN: 1
; COMPUTE_PGM_RSRC2:TGID_Y_EN: 0
; COMPUTE_PGM_RSRC2:TGID_Z_EN: 0
; COMPUTE_PGM_RSRC2:TIDIG_COMP_CNT: 0
	.section	.text._ZN7rocprim17ROCPRIM_400000_NS6detail17trampoline_kernelINS0_13select_configILj256ELj13ELNS0_17block_load_methodE3ELS4_3ELS4_3ELNS0_20block_scan_algorithmE0ELj4294967295EEENS1_25partition_config_selectorILNS1_17partition_subalgoE4EjNS0_10empty_typeEbEEZZNS1_14partition_implILS8_4ELb0ES6_15HIP_vector_typeIjLj2EENS0_17counting_iteratorIjlEEPS9_SG_NS0_5tupleIJPjSI_NS0_16reverse_iteratorISI_EEEEENSH_IJSG_SG_SG_EEES9_SI_JZNS1_25segmented_radix_sort_implINS0_14default_configELb1EPKlPlSQ_SR_N2at6native12_GLOBAL__N_18offset_tEEE10hipError_tPvRmT1_PNSt15iterator_traitsISZ_E10value_typeET2_T3_PNS10_IS15_E10value_typeET4_jRbjT5_S1B_jjP12ihipStream_tbEUljE_ZNSN_ISO_Lb1ESQ_SR_SQ_SR_SV_EESW_SX_SY_SZ_S13_S14_S15_S18_S19_jS1A_jS1B_S1B_jjS1D_bEUljE0_EEESW_SX_SY_S15_S19_S1B_T6_T7_T9_mT8_S1D_bDpT10_ENKUlT_T0_E_clISt17integral_constantIbLb0EES1Q_IbLb1EEEEDaS1M_S1N_EUlS1M_E_NS1_11comp_targetILNS1_3genE2ELNS1_11target_archE906ELNS1_3gpuE6ELNS1_3repE0EEENS1_30default_config_static_selectorELNS0_4arch9wavefront6targetE0EEEvSZ_,"axG",@progbits,_ZN7rocprim17ROCPRIM_400000_NS6detail17trampoline_kernelINS0_13select_configILj256ELj13ELNS0_17block_load_methodE3ELS4_3ELS4_3ELNS0_20block_scan_algorithmE0ELj4294967295EEENS1_25partition_config_selectorILNS1_17partition_subalgoE4EjNS0_10empty_typeEbEEZZNS1_14partition_implILS8_4ELb0ES6_15HIP_vector_typeIjLj2EENS0_17counting_iteratorIjlEEPS9_SG_NS0_5tupleIJPjSI_NS0_16reverse_iteratorISI_EEEEENSH_IJSG_SG_SG_EEES9_SI_JZNS1_25segmented_radix_sort_implINS0_14default_configELb1EPKlPlSQ_SR_N2at6native12_GLOBAL__N_18offset_tEEE10hipError_tPvRmT1_PNSt15iterator_traitsISZ_E10value_typeET2_T3_PNS10_IS15_E10value_typeET4_jRbjT5_S1B_jjP12ihipStream_tbEUljE_ZNSN_ISO_Lb1ESQ_SR_SQ_SR_SV_EESW_SX_SY_SZ_S13_S14_S15_S18_S19_jS1A_jS1B_S1B_jjS1D_bEUljE0_EEESW_SX_SY_S15_S19_S1B_T6_T7_T9_mT8_S1D_bDpT10_ENKUlT_T0_E_clISt17integral_constantIbLb0EES1Q_IbLb1EEEEDaS1M_S1N_EUlS1M_E_NS1_11comp_targetILNS1_3genE2ELNS1_11target_archE906ELNS1_3gpuE6ELNS1_3repE0EEENS1_30default_config_static_selectorELNS0_4arch9wavefront6targetE0EEEvSZ_,comdat
	.globl	_ZN7rocprim17ROCPRIM_400000_NS6detail17trampoline_kernelINS0_13select_configILj256ELj13ELNS0_17block_load_methodE3ELS4_3ELS4_3ELNS0_20block_scan_algorithmE0ELj4294967295EEENS1_25partition_config_selectorILNS1_17partition_subalgoE4EjNS0_10empty_typeEbEEZZNS1_14partition_implILS8_4ELb0ES6_15HIP_vector_typeIjLj2EENS0_17counting_iteratorIjlEEPS9_SG_NS0_5tupleIJPjSI_NS0_16reverse_iteratorISI_EEEEENSH_IJSG_SG_SG_EEES9_SI_JZNS1_25segmented_radix_sort_implINS0_14default_configELb1EPKlPlSQ_SR_N2at6native12_GLOBAL__N_18offset_tEEE10hipError_tPvRmT1_PNSt15iterator_traitsISZ_E10value_typeET2_T3_PNS10_IS15_E10value_typeET4_jRbjT5_S1B_jjP12ihipStream_tbEUljE_ZNSN_ISO_Lb1ESQ_SR_SQ_SR_SV_EESW_SX_SY_SZ_S13_S14_S15_S18_S19_jS1A_jS1B_S1B_jjS1D_bEUljE0_EEESW_SX_SY_S15_S19_S1B_T6_T7_T9_mT8_S1D_bDpT10_ENKUlT_T0_E_clISt17integral_constantIbLb0EES1Q_IbLb1EEEEDaS1M_S1N_EUlS1M_E_NS1_11comp_targetILNS1_3genE2ELNS1_11target_archE906ELNS1_3gpuE6ELNS1_3repE0EEENS1_30default_config_static_selectorELNS0_4arch9wavefront6targetE0EEEvSZ_ ; -- Begin function _ZN7rocprim17ROCPRIM_400000_NS6detail17trampoline_kernelINS0_13select_configILj256ELj13ELNS0_17block_load_methodE3ELS4_3ELS4_3ELNS0_20block_scan_algorithmE0ELj4294967295EEENS1_25partition_config_selectorILNS1_17partition_subalgoE4EjNS0_10empty_typeEbEEZZNS1_14partition_implILS8_4ELb0ES6_15HIP_vector_typeIjLj2EENS0_17counting_iteratorIjlEEPS9_SG_NS0_5tupleIJPjSI_NS0_16reverse_iteratorISI_EEEEENSH_IJSG_SG_SG_EEES9_SI_JZNS1_25segmented_radix_sort_implINS0_14default_configELb1EPKlPlSQ_SR_N2at6native12_GLOBAL__N_18offset_tEEE10hipError_tPvRmT1_PNSt15iterator_traitsISZ_E10value_typeET2_T3_PNS10_IS15_E10value_typeET4_jRbjT5_S1B_jjP12ihipStream_tbEUljE_ZNSN_ISO_Lb1ESQ_SR_SQ_SR_SV_EESW_SX_SY_SZ_S13_S14_S15_S18_S19_jS1A_jS1B_S1B_jjS1D_bEUljE0_EEESW_SX_SY_S15_S19_S1B_T6_T7_T9_mT8_S1D_bDpT10_ENKUlT_T0_E_clISt17integral_constantIbLb0EES1Q_IbLb1EEEEDaS1M_S1N_EUlS1M_E_NS1_11comp_targetILNS1_3genE2ELNS1_11target_archE906ELNS1_3gpuE6ELNS1_3repE0EEENS1_30default_config_static_selectorELNS0_4arch9wavefront6targetE0EEEvSZ_
	.p2align	8
	.type	_ZN7rocprim17ROCPRIM_400000_NS6detail17trampoline_kernelINS0_13select_configILj256ELj13ELNS0_17block_load_methodE3ELS4_3ELS4_3ELNS0_20block_scan_algorithmE0ELj4294967295EEENS1_25partition_config_selectorILNS1_17partition_subalgoE4EjNS0_10empty_typeEbEEZZNS1_14partition_implILS8_4ELb0ES6_15HIP_vector_typeIjLj2EENS0_17counting_iteratorIjlEEPS9_SG_NS0_5tupleIJPjSI_NS0_16reverse_iteratorISI_EEEEENSH_IJSG_SG_SG_EEES9_SI_JZNS1_25segmented_radix_sort_implINS0_14default_configELb1EPKlPlSQ_SR_N2at6native12_GLOBAL__N_18offset_tEEE10hipError_tPvRmT1_PNSt15iterator_traitsISZ_E10value_typeET2_T3_PNS10_IS15_E10value_typeET4_jRbjT5_S1B_jjP12ihipStream_tbEUljE_ZNSN_ISO_Lb1ESQ_SR_SQ_SR_SV_EESW_SX_SY_SZ_S13_S14_S15_S18_S19_jS1A_jS1B_S1B_jjS1D_bEUljE0_EEESW_SX_SY_S15_S19_S1B_T6_T7_T9_mT8_S1D_bDpT10_ENKUlT_T0_E_clISt17integral_constantIbLb0EES1Q_IbLb1EEEEDaS1M_S1N_EUlS1M_E_NS1_11comp_targetILNS1_3genE2ELNS1_11target_archE906ELNS1_3gpuE6ELNS1_3repE0EEENS1_30default_config_static_selectorELNS0_4arch9wavefront6targetE0EEEvSZ_,@function
_ZN7rocprim17ROCPRIM_400000_NS6detail17trampoline_kernelINS0_13select_configILj256ELj13ELNS0_17block_load_methodE3ELS4_3ELS4_3ELNS0_20block_scan_algorithmE0ELj4294967295EEENS1_25partition_config_selectorILNS1_17partition_subalgoE4EjNS0_10empty_typeEbEEZZNS1_14partition_implILS8_4ELb0ES6_15HIP_vector_typeIjLj2EENS0_17counting_iteratorIjlEEPS9_SG_NS0_5tupleIJPjSI_NS0_16reverse_iteratorISI_EEEEENSH_IJSG_SG_SG_EEES9_SI_JZNS1_25segmented_radix_sort_implINS0_14default_configELb1EPKlPlSQ_SR_N2at6native12_GLOBAL__N_18offset_tEEE10hipError_tPvRmT1_PNSt15iterator_traitsISZ_E10value_typeET2_T3_PNS10_IS15_E10value_typeET4_jRbjT5_S1B_jjP12ihipStream_tbEUljE_ZNSN_ISO_Lb1ESQ_SR_SQ_SR_SV_EESW_SX_SY_SZ_S13_S14_S15_S18_S19_jS1A_jS1B_S1B_jjS1D_bEUljE0_EEESW_SX_SY_S15_S19_S1B_T6_T7_T9_mT8_S1D_bDpT10_ENKUlT_T0_E_clISt17integral_constantIbLb0EES1Q_IbLb1EEEEDaS1M_S1N_EUlS1M_E_NS1_11comp_targetILNS1_3genE2ELNS1_11target_archE906ELNS1_3gpuE6ELNS1_3repE0EEENS1_30default_config_static_selectorELNS0_4arch9wavefront6targetE0EEEvSZ_: ; @_ZN7rocprim17ROCPRIM_400000_NS6detail17trampoline_kernelINS0_13select_configILj256ELj13ELNS0_17block_load_methodE3ELS4_3ELS4_3ELNS0_20block_scan_algorithmE0ELj4294967295EEENS1_25partition_config_selectorILNS1_17partition_subalgoE4EjNS0_10empty_typeEbEEZZNS1_14partition_implILS8_4ELb0ES6_15HIP_vector_typeIjLj2EENS0_17counting_iteratorIjlEEPS9_SG_NS0_5tupleIJPjSI_NS0_16reverse_iteratorISI_EEEEENSH_IJSG_SG_SG_EEES9_SI_JZNS1_25segmented_radix_sort_implINS0_14default_configELb1EPKlPlSQ_SR_N2at6native12_GLOBAL__N_18offset_tEEE10hipError_tPvRmT1_PNSt15iterator_traitsISZ_E10value_typeET2_T3_PNS10_IS15_E10value_typeET4_jRbjT5_S1B_jjP12ihipStream_tbEUljE_ZNSN_ISO_Lb1ESQ_SR_SQ_SR_SV_EESW_SX_SY_SZ_S13_S14_S15_S18_S19_jS1A_jS1B_S1B_jjS1D_bEUljE0_EEESW_SX_SY_S15_S19_S1B_T6_T7_T9_mT8_S1D_bDpT10_ENKUlT_T0_E_clISt17integral_constantIbLb0EES1Q_IbLb1EEEEDaS1M_S1N_EUlS1M_E_NS1_11comp_targetILNS1_3genE2ELNS1_11target_archE906ELNS1_3gpuE6ELNS1_3repE0EEENS1_30default_config_static_selectorELNS0_4arch9wavefront6targetE0EEEvSZ_
; %bb.0:
	.section	.rodata,"a",@progbits
	.p2align	6, 0x0
	.amdhsa_kernel _ZN7rocprim17ROCPRIM_400000_NS6detail17trampoline_kernelINS0_13select_configILj256ELj13ELNS0_17block_load_methodE3ELS4_3ELS4_3ELNS0_20block_scan_algorithmE0ELj4294967295EEENS1_25partition_config_selectorILNS1_17partition_subalgoE4EjNS0_10empty_typeEbEEZZNS1_14partition_implILS8_4ELb0ES6_15HIP_vector_typeIjLj2EENS0_17counting_iteratorIjlEEPS9_SG_NS0_5tupleIJPjSI_NS0_16reverse_iteratorISI_EEEEENSH_IJSG_SG_SG_EEES9_SI_JZNS1_25segmented_radix_sort_implINS0_14default_configELb1EPKlPlSQ_SR_N2at6native12_GLOBAL__N_18offset_tEEE10hipError_tPvRmT1_PNSt15iterator_traitsISZ_E10value_typeET2_T3_PNS10_IS15_E10value_typeET4_jRbjT5_S1B_jjP12ihipStream_tbEUljE_ZNSN_ISO_Lb1ESQ_SR_SQ_SR_SV_EESW_SX_SY_SZ_S13_S14_S15_S18_S19_jS1A_jS1B_S1B_jjS1D_bEUljE0_EEESW_SX_SY_S15_S19_S1B_T6_T7_T9_mT8_S1D_bDpT10_ENKUlT_T0_E_clISt17integral_constantIbLb0EES1Q_IbLb1EEEEDaS1M_S1N_EUlS1M_E_NS1_11comp_targetILNS1_3genE2ELNS1_11target_archE906ELNS1_3gpuE6ELNS1_3repE0EEENS1_30default_config_static_selectorELNS0_4arch9wavefront6targetE0EEEvSZ_
		.amdhsa_group_segment_fixed_size 0
		.amdhsa_private_segment_fixed_size 0
		.amdhsa_kernarg_size 184
		.amdhsa_user_sgpr_count 2
		.amdhsa_user_sgpr_dispatch_ptr 0
		.amdhsa_user_sgpr_queue_ptr 0
		.amdhsa_user_sgpr_kernarg_segment_ptr 1
		.amdhsa_user_sgpr_dispatch_id 0
		.amdhsa_user_sgpr_kernarg_preload_length 0
		.amdhsa_user_sgpr_kernarg_preload_offset 0
		.amdhsa_user_sgpr_private_segment_size 0
		.amdhsa_wavefront_size32 1
		.amdhsa_uses_dynamic_stack 0
		.amdhsa_enable_private_segment 0
		.amdhsa_system_sgpr_workgroup_id_x 1
		.amdhsa_system_sgpr_workgroup_id_y 0
		.amdhsa_system_sgpr_workgroup_id_z 0
		.amdhsa_system_sgpr_workgroup_info 0
		.amdhsa_system_vgpr_workitem_id 0
		.amdhsa_next_free_vgpr 1
		.amdhsa_next_free_sgpr 1
		.amdhsa_named_barrier_count 0
		.amdhsa_reserve_vcc 0
		.amdhsa_float_round_mode_32 0
		.amdhsa_float_round_mode_16_64 0
		.amdhsa_float_denorm_mode_32 3
		.amdhsa_float_denorm_mode_16_64 3
		.amdhsa_fp16_overflow 0
		.amdhsa_memory_ordered 1
		.amdhsa_forward_progress 1
		.amdhsa_inst_pref_size 0
		.amdhsa_round_robin_scheduling 0
		.amdhsa_exception_fp_ieee_invalid_op 0
		.amdhsa_exception_fp_denorm_src 0
		.amdhsa_exception_fp_ieee_div_zero 0
		.amdhsa_exception_fp_ieee_overflow 0
		.amdhsa_exception_fp_ieee_underflow 0
		.amdhsa_exception_fp_ieee_inexact 0
		.amdhsa_exception_int_div_zero 0
	.end_amdhsa_kernel
	.section	.text._ZN7rocprim17ROCPRIM_400000_NS6detail17trampoline_kernelINS0_13select_configILj256ELj13ELNS0_17block_load_methodE3ELS4_3ELS4_3ELNS0_20block_scan_algorithmE0ELj4294967295EEENS1_25partition_config_selectorILNS1_17partition_subalgoE4EjNS0_10empty_typeEbEEZZNS1_14partition_implILS8_4ELb0ES6_15HIP_vector_typeIjLj2EENS0_17counting_iteratorIjlEEPS9_SG_NS0_5tupleIJPjSI_NS0_16reverse_iteratorISI_EEEEENSH_IJSG_SG_SG_EEES9_SI_JZNS1_25segmented_radix_sort_implINS0_14default_configELb1EPKlPlSQ_SR_N2at6native12_GLOBAL__N_18offset_tEEE10hipError_tPvRmT1_PNSt15iterator_traitsISZ_E10value_typeET2_T3_PNS10_IS15_E10value_typeET4_jRbjT5_S1B_jjP12ihipStream_tbEUljE_ZNSN_ISO_Lb1ESQ_SR_SQ_SR_SV_EESW_SX_SY_SZ_S13_S14_S15_S18_S19_jS1A_jS1B_S1B_jjS1D_bEUljE0_EEESW_SX_SY_S15_S19_S1B_T6_T7_T9_mT8_S1D_bDpT10_ENKUlT_T0_E_clISt17integral_constantIbLb0EES1Q_IbLb1EEEEDaS1M_S1N_EUlS1M_E_NS1_11comp_targetILNS1_3genE2ELNS1_11target_archE906ELNS1_3gpuE6ELNS1_3repE0EEENS1_30default_config_static_selectorELNS0_4arch9wavefront6targetE0EEEvSZ_,"axG",@progbits,_ZN7rocprim17ROCPRIM_400000_NS6detail17trampoline_kernelINS0_13select_configILj256ELj13ELNS0_17block_load_methodE3ELS4_3ELS4_3ELNS0_20block_scan_algorithmE0ELj4294967295EEENS1_25partition_config_selectorILNS1_17partition_subalgoE4EjNS0_10empty_typeEbEEZZNS1_14partition_implILS8_4ELb0ES6_15HIP_vector_typeIjLj2EENS0_17counting_iteratorIjlEEPS9_SG_NS0_5tupleIJPjSI_NS0_16reverse_iteratorISI_EEEEENSH_IJSG_SG_SG_EEES9_SI_JZNS1_25segmented_radix_sort_implINS0_14default_configELb1EPKlPlSQ_SR_N2at6native12_GLOBAL__N_18offset_tEEE10hipError_tPvRmT1_PNSt15iterator_traitsISZ_E10value_typeET2_T3_PNS10_IS15_E10value_typeET4_jRbjT5_S1B_jjP12ihipStream_tbEUljE_ZNSN_ISO_Lb1ESQ_SR_SQ_SR_SV_EESW_SX_SY_SZ_S13_S14_S15_S18_S19_jS1A_jS1B_S1B_jjS1D_bEUljE0_EEESW_SX_SY_S15_S19_S1B_T6_T7_T9_mT8_S1D_bDpT10_ENKUlT_T0_E_clISt17integral_constantIbLb0EES1Q_IbLb1EEEEDaS1M_S1N_EUlS1M_E_NS1_11comp_targetILNS1_3genE2ELNS1_11target_archE906ELNS1_3gpuE6ELNS1_3repE0EEENS1_30default_config_static_selectorELNS0_4arch9wavefront6targetE0EEEvSZ_,comdat
.Lfunc_end664:
	.size	_ZN7rocprim17ROCPRIM_400000_NS6detail17trampoline_kernelINS0_13select_configILj256ELj13ELNS0_17block_load_methodE3ELS4_3ELS4_3ELNS0_20block_scan_algorithmE0ELj4294967295EEENS1_25partition_config_selectorILNS1_17partition_subalgoE4EjNS0_10empty_typeEbEEZZNS1_14partition_implILS8_4ELb0ES6_15HIP_vector_typeIjLj2EENS0_17counting_iteratorIjlEEPS9_SG_NS0_5tupleIJPjSI_NS0_16reverse_iteratorISI_EEEEENSH_IJSG_SG_SG_EEES9_SI_JZNS1_25segmented_radix_sort_implINS0_14default_configELb1EPKlPlSQ_SR_N2at6native12_GLOBAL__N_18offset_tEEE10hipError_tPvRmT1_PNSt15iterator_traitsISZ_E10value_typeET2_T3_PNS10_IS15_E10value_typeET4_jRbjT5_S1B_jjP12ihipStream_tbEUljE_ZNSN_ISO_Lb1ESQ_SR_SQ_SR_SV_EESW_SX_SY_SZ_S13_S14_S15_S18_S19_jS1A_jS1B_S1B_jjS1D_bEUljE0_EEESW_SX_SY_S15_S19_S1B_T6_T7_T9_mT8_S1D_bDpT10_ENKUlT_T0_E_clISt17integral_constantIbLb0EES1Q_IbLb1EEEEDaS1M_S1N_EUlS1M_E_NS1_11comp_targetILNS1_3genE2ELNS1_11target_archE906ELNS1_3gpuE6ELNS1_3repE0EEENS1_30default_config_static_selectorELNS0_4arch9wavefront6targetE0EEEvSZ_, .Lfunc_end664-_ZN7rocprim17ROCPRIM_400000_NS6detail17trampoline_kernelINS0_13select_configILj256ELj13ELNS0_17block_load_methodE3ELS4_3ELS4_3ELNS0_20block_scan_algorithmE0ELj4294967295EEENS1_25partition_config_selectorILNS1_17partition_subalgoE4EjNS0_10empty_typeEbEEZZNS1_14partition_implILS8_4ELb0ES6_15HIP_vector_typeIjLj2EENS0_17counting_iteratorIjlEEPS9_SG_NS0_5tupleIJPjSI_NS0_16reverse_iteratorISI_EEEEENSH_IJSG_SG_SG_EEES9_SI_JZNS1_25segmented_radix_sort_implINS0_14default_configELb1EPKlPlSQ_SR_N2at6native12_GLOBAL__N_18offset_tEEE10hipError_tPvRmT1_PNSt15iterator_traitsISZ_E10value_typeET2_T3_PNS10_IS15_E10value_typeET4_jRbjT5_S1B_jjP12ihipStream_tbEUljE_ZNSN_ISO_Lb1ESQ_SR_SQ_SR_SV_EESW_SX_SY_SZ_S13_S14_S15_S18_S19_jS1A_jS1B_S1B_jjS1D_bEUljE0_EEESW_SX_SY_S15_S19_S1B_T6_T7_T9_mT8_S1D_bDpT10_ENKUlT_T0_E_clISt17integral_constantIbLb0EES1Q_IbLb1EEEEDaS1M_S1N_EUlS1M_E_NS1_11comp_targetILNS1_3genE2ELNS1_11target_archE906ELNS1_3gpuE6ELNS1_3repE0EEENS1_30default_config_static_selectorELNS0_4arch9wavefront6targetE0EEEvSZ_
                                        ; -- End function
	.set _ZN7rocprim17ROCPRIM_400000_NS6detail17trampoline_kernelINS0_13select_configILj256ELj13ELNS0_17block_load_methodE3ELS4_3ELS4_3ELNS0_20block_scan_algorithmE0ELj4294967295EEENS1_25partition_config_selectorILNS1_17partition_subalgoE4EjNS0_10empty_typeEbEEZZNS1_14partition_implILS8_4ELb0ES6_15HIP_vector_typeIjLj2EENS0_17counting_iteratorIjlEEPS9_SG_NS0_5tupleIJPjSI_NS0_16reverse_iteratorISI_EEEEENSH_IJSG_SG_SG_EEES9_SI_JZNS1_25segmented_radix_sort_implINS0_14default_configELb1EPKlPlSQ_SR_N2at6native12_GLOBAL__N_18offset_tEEE10hipError_tPvRmT1_PNSt15iterator_traitsISZ_E10value_typeET2_T3_PNS10_IS15_E10value_typeET4_jRbjT5_S1B_jjP12ihipStream_tbEUljE_ZNSN_ISO_Lb1ESQ_SR_SQ_SR_SV_EESW_SX_SY_SZ_S13_S14_S15_S18_S19_jS1A_jS1B_S1B_jjS1D_bEUljE0_EEESW_SX_SY_S15_S19_S1B_T6_T7_T9_mT8_S1D_bDpT10_ENKUlT_T0_E_clISt17integral_constantIbLb0EES1Q_IbLb1EEEEDaS1M_S1N_EUlS1M_E_NS1_11comp_targetILNS1_3genE2ELNS1_11target_archE906ELNS1_3gpuE6ELNS1_3repE0EEENS1_30default_config_static_selectorELNS0_4arch9wavefront6targetE0EEEvSZ_.num_vgpr, 0
	.set _ZN7rocprim17ROCPRIM_400000_NS6detail17trampoline_kernelINS0_13select_configILj256ELj13ELNS0_17block_load_methodE3ELS4_3ELS4_3ELNS0_20block_scan_algorithmE0ELj4294967295EEENS1_25partition_config_selectorILNS1_17partition_subalgoE4EjNS0_10empty_typeEbEEZZNS1_14partition_implILS8_4ELb0ES6_15HIP_vector_typeIjLj2EENS0_17counting_iteratorIjlEEPS9_SG_NS0_5tupleIJPjSI_NS0_16reverse_iteratorISI_EEEEENSH_IJSG_SG_SG_EEES9_SI_JZNS1_25segmented_radix_sort_implINS0_14default_configELb1EPKlPlSQ_SR_N2at6native12_GLOBAL__N_18offset_tEEE10hipError_tPvRmT1_PNSt15iterator_traitsISZ_E10value_typeET2_T3_PNS10_IS15_E10value_typeET4_jRbjT5_S1B_jjP12ihipStream_tbEUljE_ZNSN_ISO_Lb1ESQ_SR_SQ_SR_SV_EESW_SX_SY_SZ_S13_S14_S15_S18_S19_jS1A_jS1B_S1B_jjS1D_bEUljE0_EEESW_SX_SY_S15_S19_S1B_T6_T7_T9_mT8_S1D_bDpT10_ENKUlT_T0_E_clISt17integral_constantIbLb0EES1Q_IbLb1EEEEDaS1M_S1N_EUlS1M_E_NS1_11comp_targetILNS1_3genE2ELNS1_11target_archE906ELNS1_3gpuE6ELNS1_3repE0EEENS1_30default_config_static_selectorELNS0_4arch9wavefront6targetE0EEEvSZ_.num_agpr, 0
	.set _ZN7rocprim17ROCPRIM_400000_NS6detail17trampoline_kernelINS0_13select_configILj256ELj13ELNS0_17block_load_methodE3ELS4_3ELS4_3ELNS0_20block_scan_algorithmE0ELj4294967295EEENS1_25partition_config_selectorILNS1_17partition_subalgoE4EjNS0_10empty_typeEbEEZZNS1_14partition_implILS8_4ELb0ES6_15HIP_vector_typeIjLj2EENS0_17counting_iteratorIjlEEPS9_SG_NS0_5tupleIJPjSI_NS0_16reverse_iteratorISI_EEEEENSH_IJSG_SG_SG_EEES9_SI_JZNS1_25segmented_radix_sort_implINS0_14default_configELb1EPKlPlSQ_SR_N2at6native12_GLOBAL__N_18offset_tEEE10hipError_tPvRmT1_PNSt15iterator_traitsISZ_E10value_typeET2_T3_PNS10_IS15_E10value_typeET4_jRbjT5_S1B_jjP12ihipStream_tbEUljE_ZNSN_ISO_Lb1ESQ_SR_SQ_SR_SV_EESW_SX_SY_SZ_S13_S14_S15_S18_S19_jS1A_jS1B_S1B_jjS1D_bEUljE0_EEESW_SX_SY_S15_S19_S1B_T6_T7_T9_mT8_S1D_bDpT10_ENKUlT_T0_E_clISt17integral_constantIbLb0EES1Q_IbLb1EEEEDaS1M_S1N_EUlS1M_E_NS1_11comp_targetILNS1_3genE2ELNS1_11target_archE906ELNS1_3gpuE6ELNS1_3repE0EEENS1_30default_config_static_selectorELNS0_4arch9wavefront6targetE0EEEvSZ_.numbered_sgpr, 0
	.set _ZN7rocprim17ROCPRIM_400000_NS6detail17trampoline_kernelINS0_13select_configILj256ELj13ELNS0_17block_load_methodE3ELS4_3ELS4_3ELNS0_20block_scan_algorithmE0ELj4294967295EEENS1_25partition_config_selectorILNS1_17partition_subalgoE4EjNS0_10empty_typeEbEEZZNS1_14partition_implILS8_4ELb0ES6_15HIP_vector_typeIjLj2EENS0_17counting_iteratorIjlEEPS9_SG_NS0_5tupleIJPjSI_NS0_16reverse_iteratorISI_EEEEENSH_IJSG_SG_SG_EEES9_SI_JZNS1_25segmented_radix_sort_implINS0_14default_configELb1EPKlPlSQ_SR_N2at6native12_GLOBAL__N_18offset_tEEE10hipError_tPvRmT1_PNSt15iterator_traitsISZ_E10value_typeET2_T3_PNS10_IS15_E10value_typeET4_jRbjT5_S1B_jjP12ihipStream_tbEUljE_ZNSN_ISO_Lb1ESQ_SR_SQ_SR_SV_EESW_SX_SY_SZ_S13_S14_S15_S18_S19_jS1A_jS1B_S1B_jjS1D_bEUljE0_EEESW_SX_SY_S15_S19_S1B_T6_T7_T9_mT8_S1D_bDpT10_ENKUlT_T0_E_clISt17integral_constantIbLb0EES1Q_IbLb1EEEEDaS1M_S1N_EUlS1M_E_NS1_11comp_targetILNS1_3genE2ELNS1_11target_archE906ELNS1_3gpuE6ELNS1_3repE0EEENS1_30default_config_static_selectorELNS0_4arch9wavefront6targetE0EEEvSZ_.num_named_barrier, 0
	.set _ZN7rocprim17ROCPRIM_400000_NS6detail17trampoline_kernelINS0_13select_configILj256ELj13ELNS0_17block_load_methodE3ELS4_3ELS4_3ELNS0_20block_scan_algorithmE0ELj4294967295EEENS1_25partition_config_selectorILNS1_17partition_subalgoE4EjNS0_10empty_typeEbEEZZNS1_14partition_implILS8_4ELb0ES6_15HIP_vector_typeIjLj2EENS0_17counting_iteratorIjlEEPS9_SG_NS0_5tupleIJPjSI_NS0_16reverse_iteratorISI_EEEEENSH_IJSG_SG_SG_EEES9_SI_JZNS1_25segmented_radix_sort_implINS0_14default_configELb1EPKlPlSQ_SR_N2at6native12_GLOBAL__N_18offset_tEEE10hipError_tPvRmT1_PNSt15iterator_traitsISZ_E10value_typeET2_T3_PNS10_IS15_E10value_typeET4_jRbjT5_S1B_jjP12ihipStream_tbEUljE_ZNSN_ISO_Lb1ESQ_SR_SQ_SR_SV_EESW_SX_SY_SZ_S13_S14_S15_S18_S19_jS1A_jS1B_S1B_jjS1D_bEUljE0_EEESW_SX_SY_S15_S19_S1B_T6_T7_T9_mT8_S1D_bDpT10_ENKUlT_T0_E_clISt17integral_constantIbLb0EES1Q_IbLb1EEEEDaS1M_S1N_EUlS1M_E_NS1_11comp_targetILNS1_3genE2ELNS1_11target_archE906ELNS1_3gpuE6ELNS1_3repE0EEENS1_30default_config_static_selectorELNS0_4arch9wavefront6targetE0EEEvSZ_.private_seg_size, 0
	.set _ZN7rocprim17ROCPRIM_400000_NS6detail17trampoline_kernelINS0_13select_configILj256ELj13ELNS0_17block_load_methodE3ELS4_3ELS4_3ELNS0_20block_scan_algorithmE0ELj4294967295EEENS1_25partition_config_selectorILNS1_17partition_subalgoE4EjNS0_10empty_typeEbEEZZNS1_14partition_implILS8_4ELb0ES6_15HIP_vector_typeIjLj2EENS0_17counting_iteratorIjlEEPS9_SG_NS0_5tupleIJPjSI_NS0_16reverse_iteratorISI_EEEEENSH_IJSG_SG_SG_EEES9_SI_JZNS1_25segmented_radix_sort_implINS0_14default_configELb1EPKlPlSQ_SR_N2at6native12_GLOBAL__N_18offset_tEEE10hipError_tPvRmT1_PNSt15iterator_traitsISZ_E10value_typeET2_T3_PNS10_IS15_E10value_typeET4_jRbjT5_S1B_jjP12ihipStream_tbEUljE_ZNSN_ISO_Lb1ESQ_SR_SQ_SR_SV_EESW_SX_SY_SZ_S13_S14_S15_S18_S19_jS1A_jS1B_S1B_jjS1D_bEUljE0_EEESW_SX_SY_S15_S19_S1B_T6_T7_T9_mT8_S1D_bDpT10_ENKUlT_T0_E_clISt17integral_constantIbLb0EES1Q_IbLb1EEEEDaS1M_S1N_EUlS1M_E_NS1_11comp_targetILNS1_3genE2ELNS1_11target_archE906ELNS1_3gpuE6ELNS1_3repE0EEENS1_30default_config_static_selectorELNS0_4arch9wavefront6targetE0EEEvSZ_.uses_vcc, 0
	.set _ZN7rocprim17ROCPRIM_400000_NS6detail17trampoline_kernelINS0_13select_configILj256ELj13ELNS0_17block_load_methodE3ELS4_3ELS4_3ELNS0_20block_scan_algorithmE0ELj4294967295EEENS1_25partition_config_selectorILNS1_17partition_subalgoE4EjNS0_10empty_typeEbEEZZNS1_14partition_implILS8_4ELb0ES6_15HIP_vector_typeIjLj2EENS0_17counting_iteratorIjlEEPS9_SG_NS0_5tupleIJPjSI_NS0_16reverse_iteratorISI_EEEEENSH_IJSG_SG_SG_EEES9_SI_JZNS1_25segmented_radix_sort_implINS0_14default_configELb1EPKlPlSQ_SR_N2at6native12_GLOBAL__N_18offset_tEEE10hipError_tPvRmT1_PNSt15iterator_traitsISZ_E10value_typeET2_T3_PNS10_IS15_E10value_typeET4_jRbjT5_S1B_jjP12ihipStream_tbEUljE_ZNSN_ISO_Lb1ESQ_SR_SQ_SR_SV_EESW_SX_SY_SZ_S13_S14_S15_S18_S19_jS1A_jS1B_S1B_jjS1D_bEUljE0_EEESW_SX_SY_S15_S19_S1B_T6_T7_T9_mT8_S1D_bDpT10_ENKUlT_T0_E_clISt17integral_constantIbLb0EES1Q_IbLb1EEEEDaS1M_S1N_EUlS1M_E_NS1_11comp_targetILNS1_3genE2ELNS1_11target_archE906ELNS1_3gpuE6ELNS1_3repE0EEENS1_30default_config_static_selectorELNS0_4arch9wavefront6targetE0EEEvSZ_.uses_flat_scratch, 0
	.set _ZN7rocprim17ROCPRIM_400000_NS6detail17trampoline_kernelINS0_13select_configILj256ELj13ELNS0_17block_load_methodE3ELS4_3ELS4_3ELNS0_20block_scan_algorithmE0ELj4294967295EEENS1_25partition_config_selectorILNS1_17partition_subalgoE4EjNS0_10empty_typeEbEEZZNS1_14partition_implILS8_4ELb0ES6_15HIP_vector_typeIjLj2EENS0_17counting_iteratorIjlEEPS9_SG_NS0_5tupleIJPjSI_NS0_16reverse_iteratorISI_EEEEENSH_IJSG_SG_SG_EEES9_SI_JZNS1_25segmented_radix_sort_implINS0_14default_configELb1EPKlPlSQ_SR_N2at6native12_GLOBAL__N_18offset_tEEE10hipError_tPvRmT1_PNSt15iterator_traitsISZ_E10value_typeET2_T3_PNS10_IS15_E10value_typeET4_jRbjT5_S1B_jjP12ihipStream_tbEUljE_ZNSN_ISO_Lb1ESQ_SR_SQ_SR_SV_EESW_SX_SY_SZ_S13_S14_S15_S18_S19_jS1A_jS1B_S1B_jjS1D_bEUljE0_EEESW_SX_SY_S15_S19_S1B_T6_T7_T9_mT8_S1D_bDpT10_ENKUlT_T0_E_clISt17integral_constantIbLb0EES1Q_IbLb1EEEEDaS1M_S1N_EUlS1M_E_NS1_11comp_targetILNS1_3genE2ELNS1_11target_archE906ELNS1_3gpuE6ELNS1_3repE0EEENS1_30default_config_static_selectorELNS0_4arch9wavefront6targetE0EEEvSZ_.has_dyn_sized_stack, 0
	.set _ZN7rocprim17ROCPRIM_400000_NS6detail17trampoline_kernelINS0_13select_configILj256ELj13ELNS0_17block_load_methodE3ELS4_3ELS4_3ELNS0_20block_scan_algorithmE0ELj4294967295EEENS1_25partition_config_selectorILNS1_17partition_subalgoE4EjNS0_10empty_typeEbEEZZNS1_14partition_implILS8_4ELb0ES6_15HIP_vector_typeIjLj2EENS0_17counting_iteratorIjlEEPS9_SG_NS0_5tupleIJPjSI_NS0_16reverse_iteratorISI_EEEEENSH_IJSG_SG_SG_EEES9_SI_JZNS1_25segmented_radix_sort_implINS0_14default_configELb1EPKlPlSQ_SR_N2at6native12_GLOBAL__N_18offset_tEEE10hipError_tPvRmT1_PNSt15iterator_traitsISZ_E10value_typeET2_T3_PNS10_IS15_E10value_typeET4_jRbjT5_S1B_jjP12ihipStream_tbEUljE_ZNSN_ISO_Lb1ESQ_SR_SQ_SR_SV_EESW_SX_SY_SZ_S13_S14_S15_S18_S19_jS1A_jS1B_S1B_jjS1D_bEUljE0_EEESW_SX_SY_S15_S19_S1B_T6_T7_T9_mT8_S1D_bDpT10_ENKUlT_T0_E_clISt17integral_constantIbLb0EES1Q_IbLb1EEEEDaS1M_S1N_EUlS1M_E_NS1_11comp_targetILNS1_3genE2ELNS1_11target_archE906ELNS1_3gpuE6ELNS1_3repE0EEENS1_30default_config_static_selectorELNS0_4arch9wavefront6targetE0EEEvSZ_.has_recursion, 0
	.set _ZN7rocprim17ROCPRIM_400000_NS6detail17trampoline_kernelINS0_13select_configILj256ELj13ELNS0_17block_load_methodE3ELS4_3ELS4_3ELNS0_20block_scan_algorithmE0ELj4294967295EEENS1_25partition_config_selectorILNS1_17partition_subalgoE4EjNS0_10empty_typeEbEEZZNS1_14partition_implILS8_4ELb0ES6_15HIP_vector_typeIjLj2EENS0_17counting_iteratorIjlEEPS9_SG_NS0_5tupleIJPjSI_NS0_16reverse_iteratorISI_EEEEENSH_IJSG_SG_SG_EEES9_SI_JZNS1_25segmented_radix_sort_implINS0_14default_configELb1EPKlPlSQ_SR_N2at6native12_GLOBAL__N_18offset_tEEE10hipError_tPvRmT1_PNSt15iterator_traitsISZ_E10value_typeET2_T3_PNS10_IS15_E10value_typeET4_jRbjT5_S1B_jjP12ihipStream_tbEUljE_ZNSN_ISO_Lb1ESQ_SR_SQ_SR_SV_EESW_SX_SY_SZ_S13_S14_S15_S18_S19_jS1A_jS1B_S1B_jjS1D_bEUljE0_EEESW_SX_SY_S15_S19_S1B_T6_T7_T9_mT8_S1D_bDpT10_ENKUlT_T0_E_clISt17integral_constantIbLb0EES1Q_IbLb1EEEEDaS1M_S1N_EUlS1M_E_NS1_11comp_targetILNS1_3genE2ELNS1_11target_archE906ELNS1_3gpuE6ELNS1_3repE0EEENS1_30default_config_static_selectorELNS0_4arch9wavefront6targetE0EEEvSZ_.has_indirect_call, 0
	.section	.AMDGPU.csdata,"",@progbits
; Kernel info:
; codeLenInByte = 0
; TotalNumSgprs: 0
; NumVgprs: 0
; ScratchSize: 0
; MemoryBound: 0
; FloatMode: 240
; IeeeMode: 1
; LDSByteSize: 0 bytes/workgroup (compile time only)
; SGPRBlocks: 0
; VGPRBlocks: 0
; NumSGPRsForWavesPerEU: 1
; NumVGPRsForWavesPerEU: 1
; NamedBarCnt: 0
; Occupancy: 16
; WaveLimiterHint : 0
; COMPUTE_PGM_RSRC2:SCRATCH_EN: 0
; COMPUTE_PGM_RSRC2:USER_SGPR: 2
; COMPUTE_PGM_RSRC2:TRAP_HANDLER: 0
; COMPUTE_PGM_RSRC2:TGID_X_EN: 1
; COMPUTE_PGM_RSRC2:TGID_Y_EN: 0
; COMPUTE_PGM_RSRC2:TGID_Z_EN: 0
; COMPUTE_PGM_RSRC2:TIDIG_COMP_CNT: 0
	.section	.text._ZN7rocprim17ROCPRIM_400000_NS6detail17trampoline_kernelINS0_13select_configILj256ELj13ELNS0_17block_load_methodE3ELS4_3ELS4_3ELNS0_20block_scan_algorithmE0ELj4294967295EEENS1_25partition_config_selectorILNS1_17partition_subalgoE4EjNS0_10empty_typeEbEEZZNS1_14partition_implILS8_4ELb0ES6_15HIP_vector_typeIjLj2EENS0_17counting_iteratorIjlEEPS9_SG_NS0_5tupleIJPjSI_NS0_16reverse_iteratorISI_EEEEENSH_IJSG_SG_SG_EEES9_SI_JZNS1_25segmented_radix_sort_implINS0_14default_configELb1EPKlPlSQ_SR_N2at6native12_GLOBAL__N_18offset_tEEE10hipError_tPvRmT1_PNSt15iterator_traitsISZ_E10value_typeET2_T3_PNS10_IS15_E10value_typeET4_jRbjT5_S1B_jjP12ihipStream_tbEUljE_ZNSN_ISO_Lb1ESQ_SR_SQ_SR_SV_EESW_SX_SY_SZ_S13_S14_S15_S18_S19_jS1A_jS1B_S1B_jjS1D_bEUljE0_EEESW_SX_SY_S15_S19_S1B_T6_T7_T9_mT8_S1D_bDpT10_ENKUlT_T0_E_clISt17integral_constantIbLb0EES1Q_IbLb1EEEEDaS1M_S1N_EUlS1M_E_NS1_11comp_targetILNS1_3genE10ELNS1_11target_archE1200ELNS1_3gpuE4ELNS1_3repE0EEENS1_30default_config_static_selectorELNS0_4arch9wavefront6targetE0EEEvSZ_,"axG",@progbits,_ZN7rocprim17ROCPRIM_400000_NS6detail17trampoline_kernelINS0_13select_configILj256ELj13ELNS0_17block_load_methodE3ELS4_3ELS4_3ELNS0_20block_scan_algorithmE0ELj4294967295EEENS1_25partition_config_selectorILNS1_17partition_subalgoE4EjNS0_10empty_typeEbEEZZNS1_14partition_implILS8_4ELb0ES6_15HIP_vector_typeIjLj2EENS0_17counting_iteratorIjlEEPS9_SG_NS0_5tupleIJPjSI_NS0_16reverse_iteratorISI_EEEEENSH_IJSG_SG_SG_EEES9_SI_JZNS1_25segmented_radix_sort_implINS0_14default_configELb1EPKlPlSQ_SR_N2at6native12_GLOBAL__N_18offset_tEEE10hipError_tPvRmT1_PNSt15iterator_traitsISZ_E10value_typeET2_T3_PNS10_IS15_E10value_typeET4_jRbjT5_S1B_jjP12ihipStream_tbEUljE_ZNSN_ISO_Lb1ESQ_SR_SQ_SR_SV_EESW_SX_SY_SZ_S13_S14_S15_S18_S19_jS1A_jS1B_S1B_jjS1D_bEUljE0_EEESW_SX_SY_S15_S19_S1B_T6_T7_T9_mT8_S1D_bDpT10_ENKUlT_T0_E_clISt17integral_constantIbLb0EES1Q_IbLb1EEEEDaS1M_S1N_EUlS1M_E_NS1_11comp_targetILNS1_3genE10ELNS1_11target_archE1200ELNS1_3gpuE4ELNS1_3repE0EEENS1_30default_config_static_selectorELNS0_4arch9wavefront6targetE0EEEvSZ_,comdat
	.globl	_ZN7rocprim17ROCPRIM_400000_NS6detail17trampoline_kernelINS0_13select_configILj256ELj13ELNS0_17block_load_methodE3ELS4_3ELS4_3ELNS0_20block_scan_algorithmE0ELj4294967295EEENS1_25partition_config_selectorILNS1_17partition_subalgoE4EjNS0_10empty_typeEbEEZZNS1_14partition_implILS8_4ELb0ES6_15HIP_vector_typeIjLj2EENS0_17counting_iteratorIjlEEPS9_SG_NS0_5tupleIJPjSI_NS0_16reverse_iteratorISI_EEEEENSH_IJSG_SG_SG_EEES9_SI_JZNS1_25segmented_radix_sort_implINS0_14default_configELb1EPKlPlSQ_SR_N2at6native12_GLOBAL__N_18offset_tEEE10hipError_tPvRmT1_PNSt15iterator_traitsISZ_E10value_typeET2_T3_PNS10_IS15_E10value_typeET4_jRbjT5_S1B_jjP12ihipStream_tbEUljE_ZNSN_ISO_Lb1ESQ_SR_SQ_SR_SV_EESW_SX_SY_SZ_S13_S14_S15_S18_S19_jS1A_jS1B_S1B_jjS1D_bEUljE0_EEESW_SX_SY_S15_S19_S1B_T6_T7_T9_mT8_S1D_bDpT10_ENKUlT_T0_E_clISt17integral_constantIbLb0EES1Q_IbLb1EEEEDaS1M_S1N_EUlS1M_E_NS1_11comp_targetILNS1_3genE10ELNS1_11target_archE1200ELNS1_3gpuE4ELNS1_3repE0EEENS1_30default_config_static_selectorELNS0_4arch9wavefront6targetE0EEEvSZ_ ; -- Begin function _ZN7rocprim17ROCPRIM_400000_NS6detail17trampoline_kernelINS0_13select_configILj256ELj13ELNS0_17block_load_methodE3ELS4_3ELS4_3ELNS0_20block_scan_algorithmE0ELj4294967295EEENS1_25partition_config_selectorILNS1_17partition_subalgoE4EjNS0_10empty_typeEbEEZZNS1_14partition_implILS8_4ELb0ES6_15HIP_vector_typeIjLj2EENS0_17counting_iteratorIjlEEPS9_SG_NS0_5tupleIJPjSI_NS0_16reverse_iteratorISI_EEEEENSH_IJSG_SG_SG_EEES9_SI_JZNS1_25segmented_radix_sort_implINS0_14default_configELb1EPKlPlSQ_SR_N2at6native12_GLOBAL__N_18offset_tEEE10hipError_tPvRmT1_PNSt15iterator_traitsISZ_E10value_typeET2_T3_PNS10_IS15_E10value_typeET4_jRbjT5_S1B_jjP12ihipStream_tbEUljE_ZNSN_ISO_Lb1ESQ_SR_SQ_SR_SV_EESW_SX_SY_SZ_S13_S14_S15_S18_S19_jS1A_jS1B_S1B_jjS1D_bEUljE0_EEESW_SX_SY_S15_S19_S1B_T6_T7_T9_mT8_S1D_bDpT10_ENKUlT_T0_E_clISt17integral_constantIbLb0EES1Q_IbLb1EEEEDaS1M_S1N_EUlS1M_E_NS1_11comp_targetILNS1_3genE10ELNS1_11target_archE1200ELNS1_3gpuE4ELNS1_3repE0EEENS1_30default_config_static_selectorELNS0_4arch9wavefront6targetE0EEEvSZ_
	.p2align	8
	.type	_ZN7rocprim17ROCPRIM_400000_NS6detail17trampoline_kernelINS0_13select_configILj256ELj13ELNS0_17block_load_methodE3ELS4_3ELS4_3ELNS0_20block_scan_algorithmE0ELj4294967295EEENS1_25partition_config_selectorILNS1_17partition_subalgoE4EjNS0_10empty_typeEbEEZZNS1_14partition_implILS8_4ELb0ES6_15HIP_vector_typeIjLj2EENS0_17counting_iteratorIjlEEPS9_SG_NS0_5tupleIJPjSI_NS0_16reverse_iteratorISI_EEEEENSH_IJSG_SG_SG_EEES9_SI_JZNS1_25segmented_radix_sort_implINS0_14default_configELb1EPKlPlSQ_SR_N2at6native12_GLOBAL__N_18offset_tEEE10hipError_tPvRmT1_PNSt15iterator_traitsISZ_E10value_typeET2_T3_PNS10_IS15_E10value_typeET4_jRbjT5_S1B_jjP12ihipStream_tbEUljE_ZNSN_ISO_Lb1ESQ_SR_SQ_SR_SV_EESW_SX_SY_SZ_S13_S14_S15_S18_S19_jS1A_jS1B_S1B_jjS1D_bEUljE0_EEESW_SX_SY_S15_S19_S1B_T6_T7_T9_mT8_S1D_bDpT10_ENKUlT_T0_E_clISt17integral_constantIbLb0EES1Q_IbLb1EEEEDaS1M_S1N_EUlS1M_E_NS1_11comp_targetILNS1_3genE10ELNS1_11target_archE1200ELNS1_3gpuE4ELNS1_3repE0EEENS1_30default_config_static_selectorELNS0_4arch9wavefront6targetE0EEEvSZ_,@function
_ZN7rocprim17ROCPRIM_400000_NS6detail17trampoline_kernelINS0_13select_configILj256ELj13ELNS0_17block_load_methodE3ELS4_3ELS4_3ELNS0_20block_scan_algorithmE0ELj4294967295EEENS1_25partition_config_selectorILNS1_17partition_subalgoE4EjNS0_10empty_typeEbEEZZNS1_14partition_implILS8_4ELb0ES6_15HIP_vector_typeIjLj2EENS0_17counting_iteratorIjlEEPS9_SG_NS0_5tupleIJPjSI_NS0_16reverse_iteratorISI_EEEEENSH_IJSG_SG_SG_EEES9_SI_JZNS1_25segmented_radix_sort_implINS0_14default_configELb1EPKlPlSQ_SR_N2at6native12_GLOBAL__N_18offset_tEEE10hipError_tPvRmT1_PNSt15iterator_traitsISZ_E10value_typeET2_T3_PNS10_IS15_E10value_typeET4_jRbjT5_S1B_jjP12ihipStream_tbEUljE_ZNSN_ISO_Lb1ESQ_SR_SQ_SR_SV_EESW_SX_SY_SZ_S13_S14_S15_S18_S19_jS1A_jS1B_S1B_jjS1D_bEUljE0_EEESW_SX_SY_S15_S19_S1B_T6_T7_T9_mT8_S1D_bDpT10_ENKUlT_T0_E_clISt17integral_constantIbLb0EES1Q_IbLb1EEEEDaS1M_S1N_EUlS1M_E_NS1_11comp_targetILNS1_3genE10ELNS1_11target_archE1200ELNS1_3gpuE4ELNS1_3repE0EEENS1_30default_config_static_selectorELNS0_4arch9wavefront6targetE0EEEvSZ_: ; @_ZN7rocprim17ROCPRIM_400000_NS6detail17trampoline_kernelINS0_13select_configILj256ELj13ELNS0_17block_load_methodE3ELS4_3ELS4_3ELNS0_20block_scan_algorithmE0ELj4294967295EEENS1_25partition_config_selectorILNS1_17partition_subalgoE4EjNS0_10empty_typeEbEEZZNS1_14partition_implILS8_4ELb0ES6_15HIP_vector_typeIjLj2EENS0_17counting_iteratorIjlEEPS9_SG_NS0_5tupleIJPjSI_NS0_16reverse_iteratorISI_EEEEENSH_IJSG_SG_SG_EEES9_SI_JZNS1_25segmented_radix_sort_implINS0_14default_configELb1EPKlPlSQ_SR_N2at6native12_GLOBAL__N_18offset_tEEE10hipError_tPvRmT1_PNSt15iterator_traitsISZ_E10value_typeET2_T3_PNS10_IS15_E10value_typeET4_jRbjT5_S1B_jjP12ihipStream_tbEUljE_ZNSN_ISO_Lb1ESQ_SR_SQ_SR_SV_EESW_SX_SY_SZ_S13_S14_S15_S18_S19_jS1A_jS1B_S1B_jjS1D_bEUljE0_EEESW_SX_SY_S15_S19_S1B_T6_T7_T9_mT8_S1D_bDpT10_ENKUlT_T0_E_clISt17integral_constantIbLb0EES1Q_IbLb1EEEEDaS1M_S1N_EUlS1M_E_NS1_11comp_targetILNS1_3genE10ELNS1_11target_archE1200ELNS1_3gpuE4ELNS1_3repE0EEENS1_30default_config_static_selectorELNS0_4arch9wavefront6targetE0EEEvSZ_
; %bb.0:
	.section	.rodata,"a",@progbits
	.p2align	6, 0x0
	.amdhsa_kernel _ZN7rocprim17ROCPRIM_400000_NS6detail17trampoline_kernelINS0_13select_configILj256ELj13ELNS0_17block_load_methodE3ELS4_3ELS4_3ELNS0_20block_scan_algorithmE0ELj4294967295EEENS1_25partition_config_selectorILNS1_17partition_subalgoE4EjNS0_10empty_typeEbEEZZNS1_14partition_implILS8_4ELb0ES6_15HIP_vector_typeIjLj2EENS0_17counting_iteratorIjlEEPS9_SG_NS0_5tupleIJPjSI_NS0_16reverse_iteratorISI_EEEEENSH_IJSG_SG_SG_EEES9_SI_JZNS1_25segmented_radix_sort_implINS0_14default_configELb1EPKlPlSQ_SR_N2at6native12_GLOBAL__N_18offset_tEEE10hipError_tPvRmT1_PNSt15iterator_traitsISZ_E10value_typeET2_T3_PNS10_IS15_E10value_typeET4_jRbjT5_S1B_jjP12ihipStream_tbEUljE_ZNSN_ISO_Lb1ESQ_SR_SQ_SR_SV_EESW_SX_SY_SZ_S13_S14_S15_S18_S19_jS1A_jS1B_S1B_jjS1D_bEUljE0_EEESW_SX_SY_S15_S19_S1B_T6_T7_T9_mT8_S1D_bDpT10_ENKUlT_T0_E_clISt17integral_constantIbLb0EES1Q_IbLb1EEEEDaS1M_S1N_EUlS1M_E_NS1_11comp_targetILNS1_3genE10ELNS1_11target_archE1200ELNS1_3gpuE4ELNS1_3repE0EEENS1_30default_config_static_selectorELNS0_4arch9wavefront6targetE0EEEvSZ_
		.amdhsa_group_segment_fixed_size 0
		.amdhsa_private_segment_fixed_size 0
		.amdhsa_kernarg_size 184
		.amdhsa_user_sgpr_count 2
		.amdhsa_user_sgpr_dispatch_ptr 0
		.amdhsa_user_sgpr_queue_ptr 0
		.amdhsa_user_sgpr_kernarg_segment_ptr 1
		.amdhsa_user_sgpr_dispatch_id 0
		.amdhsa_user_sgpr_kernarg_preload_length 0
		.amdhsa_user_sgpr_kernarg_preload_offset 0
		.amdhsa_user_sgpr_private_segment_size 0
		.amdhsa_wavefront_size32 1
		.amdhsa_uses_dynamic_stack 0
		.amdhsa_enable_private_segment 0
		.amdhsa_system_sgpr_workgroup_id_x 1
		.amdhsa_system_sgpr_workgroup_id_y 0
		.amdhsa_system_sgpr_workgroup_id_z 0
		.amdhsa_system_sgpr_workgroup_info 0
		.amdhsa_system_vgpr_workitem_id 0
		.amdhsa_next_free_vgpr 1
		.amdhsa_next_free_sgpr 1
		.amdhsa_named_barrier_count 0
		.amdhsa_reserve_vcc 0
		.amdhsa_float_round_mode_32 0
		.amdhsa_float_round_mode_16_64 0
		.amdhsa_float_denorm_mode_32 3
		.amdhsa_float_denorm_mode_16_64 3
		.amdhsa_fp16_overflow 0
		.amdhsa_memory_ordered 1
		.amdhsa_forward_progress 1
		.amdhsa_inst_pref_size 0
		.amdhsa_round_robin_scheduling 0
		.amdhsa_exception_fp_ieee_invalid_op 0
		.amdhsa_exception_fp_denorm_src 0
		.amdhsa_exception_fp_ieee_div_zero 0
		.amdhsa_exception_fp_ieee_overflow 0
		.amdhsa_exception_fp_ieee_underflow 0
		.amdhsa_exception_fp_ieee_inexact 0
		.amdhsa_exception_int_div_zero 0
	.end_amdhsa_kernel
	.section	.text._ZN7rocprim17ROCPRIM_400000_NS6detail17trampoline_kernelINS0_13select_configILj256ELj13ELNS0_17block_load_methodE3ELS4_3ELS4_3ELNS0_20block_scan_algorithmE0ELj4294967295EEENS1_25partition_config_selectorILNS1_17partition_subalgoE4EjNS0_10empty_typeEbEEZZNS1_14partition_implILS8_4ELb0ES6_15HIP_vector_typeIjLj2EENS0_17counting_iteratorIjlEEPS9_SG_NS0_5tupleIJPjSI_NS0_16reverse_iteratorISI_EEEEENSH_IJSG_SG_SG_EEES9_SI_JZNS1_25segmented_radix_sort_implINS0_14default_configELb1EPKlPlSQ_SR_N2at6native12_GLOBAL__N_18offset_tEEE10hipError_tPvRmT1_PNSt15iterator_traitsISZ_E10value_typeET2_T3_PNS10_IS15_E10value_typeET4_jRbjT5_S1B_jjP12ihipStream_tbEUljE_ZNSN_ISO_Lb1ESQ_SR_SQ_SR_SV_EESW_SX_SY_SZ_S13_S14_S15_S18_S19_jS1A_jS1B_S1B_jjS1D_bEUljE0_EEESW_SX_SY_S15_S19_S1B_T6_T7_T9_mT8_S1D_bDpT10_ENKUlT_T0_E_clISt17integral_constantIbLb0EES1Q_IbLb1EEEEDaS1M_S1N_EUlS1M_E_NS1_11comp_targetILNS1_3genE10ELNS1_11target_archE1200ELNS1_3gpuE4ELNS1_3repE0EEENS1_30default_config_static_selectorELNS0_4arch9wavefront6targetE0EEEvSZ_,"axG",@progbits,_ZN7rocprim17ROCPRIM_400000_NS6detail17trampoline_kernelINS0_13select_configILj256ELj13ELNS0_17block_load_methodE3ELS4_3ELS4_3ELNS0_20block_scan_algorithmE0ELj4294967295EEENS1_25partition_config_selectorILNS1_17partition_subalgoE4EjNS0_10empty_typeEbEEZZNS1_14partition_implILS8_4ELb0ES6_15HIP_vector_typeIjLj2EENS0_17counting_iteratorIjlEEPS9_SG_NS0_5tupleIJPjSI_NS0_16reverse_iteratorISI_EEEEENSH_IJSG_SG_SG_EEES9_SI_JZNS1_25segmented_radix_sort_implINS0_14default_configELb1EPKlPlSQ_SR_N2at6native12_GLOBAL__N_18offset_tEEE10hipError_tPvRmT1_PNSt15iterator_traitsISZ_E10value_typeET2_T3_PNS10_IS15_E10value_typeET4_jRbjT5_S1B_jjP12ihipStream_tbEUljE_ZNSN_ISO_Lb1ESQ_SR_SQ_SR_SV_EESW_SX_SY_SZ_S13_S14_S15_S18_S19_jS1A_jS1B_S1B_jjS1D_bEUljE0_EEESW_SX_SY_S15_S19_S1B_T6_T7_T9_mT8_S1D_bDpT10_ENKUlT_T0_E_clISt17integral_constantIbLb0EES1Q_IbLb1EEEEDaS1M_S1N_EUlS1M_E_NS1_11comp_targetILNS1_3genE10ELNS1_11target_archE1200ELNS1_3gpuE4ELNS1_3repE0EEENS1_30default_config_static_selectorELNS0_4arch9wavefront6targetE0EEEvSZ_,comdat
.Lfunc_end665:
	.size	_ZN7rocprim17ROCPRIM_400000_NS6detail17trampoline_kernelINS0_13select_configILj256ELj13ELNS0_17block_load_methodE3ELS4_3ELS4_3ELNS0_20block_scan_algorithmE0ELj4294967295EEENS1_25partition_config_selectorILNS1_17partition_subalgoE4EjNS0_10empty_typeEbEEZZNS1_14partition_implILS8_4ELb0ES6_15HIP_vector_typeIjLj2EENS0_17counting_iteratorIjlEEPS9_SG_NS0_5tupleIJPjSI_NS0_16reverse_iteratorISI_EEEEENSH_IJSG_SG_SG_EEES9_SI_JZNS1_25segmented_radix_sort_implINS0_14default_configELb1EPKlPlSQ_SR_N2at6native12_GLOBAL__N_18offset_tEEE10hipError_tPvRmT1_PNSt15iterator_traitsISZ_E10value_typeET2_T3_PNS10_IS15_E10value_typeET4_jRbjT5_S1B_jjP12ihipStream_tbEUljE_ZNSN_ISO_Lb1ESQ_SR_SQ_SR_SV_EESW_SX_SY_SZ_S13_S14_S15_S18_S19_jS1A_jS1B_S1B_jjS1D_bEUljE0_EEESW_SX_SY_S15_S19_S1B_T6_T7_T9_mT8_S1D_bDpT10_ENKUlT_T0_E_clISt17integral_constantIbLb0EES1Q_IbLb1EEEEDaS1M_S1N_EUlS1M_E_NS1_11comp_targetILNS1_3genE10ELNS1_11target_archE1200ELNS1_3gpuE4ELNS1_3repE0EEENS1_30default_config_static_selectorELNS0_4arch9wavefront6targetE0EEEvSZ_, .Lfunc_end665-_ZN7rocprim17ROCPRIM_400000_NS6detail17trampoline_kernelINS0_13select_configILj256ELj13ELNS0_17block_load_methodE3ELS4_3ELS4_3ELNS0_20block_scan_algorithmE0ELj4294967295EEENS1_25partition_config_selectorILNS1_17partition_subalgoE4EjNS0_10empty_typeEbEEZZNS1_14partition_implILS8_4ELb0ES6_15HIP_vector_typeIjLj2EENS0_17counting_iteratorIjlEEPS9_SG_NS0_5tupleIJPjSI_NS0_16reverse_iteratorISI_EEEEENSH_IJSG_SG_SG_EEES9_SI_JZNS1_25segmented_radix_sort_implINS0_14default_configELb1EPKlPlSQ_SR_N2at6native12_GLOBAL__N_18offset_tEEE10hipError_tPvRmT1_PNSt15iterator_traitsISZ_E10value_typeET2_T3_PNS10_IS15_E10value_typeET4_jRbjT5_S1B_jjP12ihipStream_tbEUljE_ZNSN_ISO_Lb1ESQ_SR_SQ_SR_SV_EESW_SX_SY_SZ_S13_S14_S15_S18_S19_jS1A_jS1B_S1B_jjS1D_bEUljE0_EEESW_SX_SY_S15_S19_S1B_T6_T7_T9_mT8_S1D_bDpT10_ENKUlT_T0_E_clISt17integral_constantIbLb0EES1Q_IbLb1EEEEDaS1M_S1N_EUlS1M_E_NS1_11comp_targetILNS1_3genE10ELNS1_11target_archE1200ELNS1_3gpuE4ELNS1_3repE0EEENS1_30default_config_static_selectorELNS0_4arch9wavefront6targetE0EEEvSZ_
                                        ; -- End function
	.set _ZN7rocprim17ROCPRIM_400000_NS6detail17trampoline_kernelINS0_13select_configILj256ELj13ELNS0_17block_load_methodE3ELS4_3ELS4_3ELNS0_20block_scan_algorithmE0ELj4294967295EEENS1_25partition_config_selectorILNS1_17partition_subalgoE4EjNS0_10empty_typeEbEEZZNS1_14partition_implILS8_4ELb0ES6_15HIP_vector_typeIjLj2EENS0_17counting_iteratorIjlEEPS9_SG_NS0_5tupleIJPjSI_NS0_16reverse_iteratorISI_EEEEENSH_IJSG_SG_SG_EEES9_SI_JZNS1_25segmented_radix_sort_implINS0_14default_configELb1EPKlPlSQ_SR_N2at6native12_GLOBAL__N_18offset_tEEE10hipError_tPvRmT1_PNSt15iterator_traitsISZ_E10value_typeET2_T3_PNS10_IS15_E10value_typeET4_jRbjT5_S1B_jjP12ihipStream_tbEUljE_ZNSN_ISO_Lb1ESQ_SR_SQ_SR_SV_EESW_SX_SY_SZ_S13_S14_S15_S18_S19_jS1A_jS1B_S1B_jjS1D_bEUljE0_EEESW_SX_SY_S15_S19_S1B_T6_T7_T9_mT8_S1D_bDpT10_ENKUlT_T0_E_clISt17integral_constantIbLb0EES1Q_IbLb1EEEEDaS1M_S1N_EUlS1M_E_NS1_11comp_targetILNS1_3genE10ELNS1_11target_archE1200ELNS1_3gpuE4ELNS1_3repE0EEENS1_30default_config_static_selectorELNS0_4arch9wavefront6targetE0EEEvSZ_.num_vgpr, 0
	.set _ZN7rocprim17ROCPRIM_400000_NS6detail17trampoline_kernelINS0_13select_configILj256ELj13ELNS0_17block_load_methodE3ELS4_3ELS4_3ELNS0_20block_scan_algorithmE0ELj4294967295EEENS1_25partition_config_selectorILNS1_17partition_subalgoE4EjNS0_10empty_typeEbEEZZNS1_14partition_implILS8_4ELb0ES6_15HIP_vector_typeIjLj2EENS0_17counting_iteratorIjlEEPS9_SG_NS0_5tupleIJPjSI_NS0_16reverse_iteratorISI_EEEEENSH_IJSG_SG_SG_EEES9_SI_JZNS1_25segmented_radix_sort_implINS0_14default_configELb1EPKlPlSQ_SR_N2at6native12_GLOBAL__N_18offset_tEEE10hipError_tPvRmT1_PNSt15iterator_traitsISZ_E10value_typeET2_T3_PNS10_IS15_E10value_typeET4_jRbjT5_S1B_jjP12ihipStream_tbEUljE_ZNSN_ISO_Lb1ESQ_SR_SQ_SR_SV_EESW_SX_SY_SZ_S13_S14_S15_S18_S19_jS1A_jS1B_S1B_jjS1D_bEUljE0_EEESW_SX_SY_S15_S19_S1B_T6_T7_T9_mT8_S1D_bDpT10_ENKUlT_T0_E_clISt17integral_constantIbLb0EES1Q_IbLb1EEEEDaS1M_S1N_EUlS1M_E_NS1_11comp_targetILNS1_3genE10ELNS1_11target_archE1200ELNS1_3gpuE4ELNS1_3repE0EEENS1_30default_config_static_selectorELNS0_4arch9wavefront6targetE0EEEvSZ_.num_agpr, 0
	.set _ZN7rocprim17ROCPRIM_400000_NS6detail17trampoline_kernelINS0_13select_configILj256ELj13ELNS0_17block_load_methodE3ELS4_3ELS4_3ELNS0_20block_scan_algorithmE0ELj4294967295EEENS1_25partition_config_selectorILNS1_17partition_subalgoE4EjNS0_10empty_typeEbEEZZNS1_14partition_implILS8_4ELb0ES6_15HIP_vector_typeIjLj2EENS0_17counting_iteratorIjlEEPS9_SG_NS0_5tupleIJPjSI_NS0_16reverse_iteratorISI_EEEEENSH_IJSG_SG_SG_EEES9_SI_JZNS1_25segmented_radix_sort_implINS0_14default_configELb1EPKlPlSQ_SR_N2at6native12_GLOBAL__N_18offset_tEEE10hipError_tPvRmT1_PNSt15iterator_traitsISZ_E10value_typeET2_T3_PNS10_IS15_E10value_typeET4_jRbjT5_S1B_jjP12ihipStream_tbEUljE_ZNSN_ISO_Lb1ESQ_SR_SQ_SR_SV_EESW_SX_SY_SZ_S13_S14_S15_S18_S19_jS1A_jS1B_S1B_jjS1D_bEUljE0_EEESW_SX_SY_S15_S19_S1B_T6_T7_T9_mT8_S1D_bDpT10_ENKUlT_T0_E_clISt17integral_constantIbLb0EES1Q_IbLb1EEEEDaS1M_S1N_EUlS1M_E_NS1_11comp_targetILNS1_3genE10ELNS1_11target_archE1200ELNS1_3gpuE4ELNS1_3repE0EEENS1_30default_config_static_selectorELNS0_4arch9wavefront6targetE0EEEvSZ_.numbered_sgpr, 0
	.set _ZN7rocprim17ROCPRIM_400000_NS6detail17trampoline_kernelINS0_13select_configILj256ELj13ELNS0_17block_load_methodE3ELS4_3ELS4_3ELNS0_20block_scan_algorithmE0ELj4294967295EEENS1_25partition_config_selectorILNS1_17partition_subalgoE4EjNS0_10empty_typeEbEEZZNS1_14partition_implILS8_4ELb0ES6_15HIP_vector_typeIjLj2EENS0_17counting_iteratorIjlEEPS9_SG_NS0_5tupleIJPjSI_NS0_16reverse_iteratorISI_EEEEENSH_IJSG_SG_SG_EEES9_SI_JZNS1_25segmented_radix_sort_implINS0_14default_configELb1EPKlPlSQ_SR_N2at6native12_GLOBAL__N_18offset_tEEE10hipError_tPvRmT1_PNSt15iterator_traitsISZ_E10value_typeET2_T3_PNS10_IS15_E10value_typeET4_jRbjT5_S1B_jjP12ihipStream_tbEUljE_ZNSN_ISO_Lb1ESQ_SR_SQ_SR_SV_EESW_SX_SY_SZ_S13_S14_S15_S18_S19_jS1A_jS1B_S1B_jjS1D_bEUljE0_EEESW_SX_SY_S15_S19_S1B_T6_T7_T9_mT8_S1D_bDpT10_ENKUlT_T0_E_clISt17integral_constantIbLb0EES1Q_IbLb1EEEEDaS1M_S1N_EUlS1M_E_NS1_11comp_targetILNS1_3genE10ELNS1_11target_archE1200ELNS1_3gpuE4ELNS1_3repE0EEENS1_30default_config_static_selectorELNS0_4arch9wavefront6targetE0EEEvSZ_.num_named_barrier, 0
	.set _ZN7rocprim17ROCPRIM_400000_NS6detail17trampoline_kernelINS0_13select_configILj256ELj13ELNS0_17block_load_methodE3ELS4_3ELS4_3ELNS0_20block_scan_algorithmE0ELj4294967295EEENS1_25partition_config_selectorILNS1_17partition_subalgoE4EjNS0_10empty_typeEbEEZZNS1_14partition_implILS8_4ELb0ES6_15HIP_vector_typeIjLj2EENS0_17counting_iteratorIjlEEPS9_SG_NS0_5tupleIJPjSI_NS0_16reverse_iteratorISI_EEEEENSH_IJSG_SG_SG_EEES9_SI_JZNS1_25segmented_radix_sort_implINS0_14default_configELb1EPKlPlSQ_SR_N2at6native12_GLOBAL__N_18offset_tEEE10hipError_tPvRmT1_PNSt15iterator_traitsISZ_E10value_typeET2_T3_PNS10_IS15_E10value_typeET4_jRbjT5_S1B_jjP12ihipStream_tbEUljE_ZNSN_ISO_Lb1ESQ_SR_SQ_SR_SV_EESW_SX_SY_SZ_S13_S14_S15_S18_S19_jS1A_jS1B_S1B_jjS1D_bEUljE0_EEESW_SX_SY_S15_S19_S1B_T6_T7_T9_mT8_S1D_bDpT10_ENKUlT_T0_E_clISt17integral_constantIbLb0EES1Q_IbLb1EEEEDaS1M_S1N_EUlS1M_E_NS1_11comp_targetILNS1_3genE10ELNS1_11target_archE1200ELNS1_3gpuE4ELNS1_3repE0EEENS1_30default_config_static_selectorELNS0_4arch9wavefront6targetE0EEEvSZ_.private_seg_size, 0
	.set _ZN7rocprim17ROCPRIM_400000_NS6detail17trampoline_kernelINS0_13select_configILj256ELj13ELNS0_17block_load_methodE3ELS4_3ELS4_3ELNS0_20block_scan_algorithmE0ELj4294967295EEENS1_25partition_config_selectorILNS1_17partition_subalgoE4EjNS0_10empty_typeEbEEZZNS1_14partition_implILS8_4ELb0ES6_15HIP_vector_typeIjLj2EENS0_17counting_iteratorIjlEEPS9_SG_NS0_5tupleIJPjSI_NS0_16reverse_iteratorISI_EEEEENSH_IJSG_SG_SG_EEES9_SI_JZNS1_25segmented_radix_sort_implINS0_14default_configELb1EPKlPlSQ_SR_N2at6native12_GLOBAL__N_18offset_tEEE10hipError_tPvRmT1_PNSt15iterator_traitsISZ_E10value_typeET2_T3_PNS10_IS15_E10value_typeET4_jRbjT5_S1B_jjP12ihipStream_tbEUljE_ZNSN_ISO_Lb1ESQ_SR_SQ_SR_SV_EESW_SX_SY_SZ_S13_S14_S15_S18_S19_jS1A_jS1B_S1B_jjS1D_bEUljE0_EEESW_SX_SY_S15_S19_S1B_T6_T7_T9_mT8_S1D_bDpT10_ENKUlT_T0_E_clISt17integral_constantIbLb0EES1Q_IbLb1EEEEDaS1M_S1N_EUlS1M_E_NS1_11comp_targetILNS1_3genE10ELNS1_11target_archE1200ELNS1_3gpuE4ELNS1_3repE0EEENS1_30default_config_static_selectorELNS0_4arch9wavefront6targetE0EEEvSZ_.uses_vcc, 0
	.set _ZN7rocprim17ROCPRIM_400000_NS6detail17trampoline_kernelINS0_13select_configILj256ELj13ELNS0_17block_load_methodE3ELS4_3ELS4_3ELNS0_20block_scan_algorithmE0ELj4294967295EEENS1_25partition_config_selectorILNS1_17partition_subalgoE4EjNS0_10empty_typeEbEEZZNS1_14partition_implILS8_4ELb0ES6_15HIP_vector_typeIjLj2EENS0_17counting_iteratorIjlEEPS9_SG_NS0_5tupleIJPjSI_NS0_16reverse_iteratorISI_EEEEENSH_IJSG_SG_SG_EEES9_SI_JZNS1_25segmented_radix_sort_implINS0_14default_configELb1EPKlPlSQ_SR_N2at6native12_GLOBAL__N_18offset_tEEE10hipError_tPvRmT1_PNSt15iterator_traitsISZ_E10value_typeET2_T3_PNS10_IS15_E10value_typeET4_jRbjT5_S1B_jjP12ihipStream_tbEUljE_ZNSN_ISO_Lb1ESQ_SR_SQ_SR_SV_EESW_SX_SY_SZ_S13_S14_S15_S18_S19_jS1A_jS1B_S1B_jjS1D_bEUljE0_EEESW_SX_SY_S15_S19_S1B_T6_T7_T9_mT8_S1D_bDpT10_ENKUlT_T0_E_clISt17integral_constantIbLb0EES1Q_IbLb1EEEEDaS1M_S1N_EUlS1M_E_NS1_11comp_targetILNS1_3genE10ELNS1_11target_archE1200ELNS1_3gpuE4ELNS1_3repE0EEENS1_30default_config_static_selectorELNS0_4arch9wavefront6targetE0EEEvSZ_.uses_flat_scratch, 0
	.set _ZN7rocprim17ROCPRIM_400000_NS6detail17trampoline_kernelINS0_13select_configILj256ELj13ELNS0_17block_load_methodE3ELS4_3ELS4_3ELNS0_20block_scan_algorithmE0ELj4294967295EEENS1_25partition_config_selectorILNS1_17partition_subalgoE4EjNS0_10empty_typeEbEEZZNS1_14partition_implILS8_4ELb0ES6_15HIP_vector_typeIjLj2EENS0_17counting_iteratorIjlEEPS9_SG_NS0_5tupleIJPjSI_NS0_16reverse_iteratorISI_EEEEENSH_IJSG_SG_SG_EEES9_SI_JZNS1_25segmented_radix_sort_implINS0_14default_configELb1EPKlPlSQ_SR_N2at6native12_GLOBAL__N_18offset_tEEE10hipError_tPvRmT1_PNSt15iterator_traitsISZ_E10value_typeET2_T3_PNS10_IS15_E10value_typeET4_jRbjT5_S1B_jjP12ihipStream_tbEUljE_ZNSN_ISO_Lb1ESQ_SR_SQ_SR_SV_EESW_SX_SY_SZ_S13_S14_S15_S18_S19_jS1A_jS1B_S1B_jjS1D_bEUljE0_EEESW_SX_SY_S15_S19_S1B_T6_T7_T9_mT8_S1D_bDpT10_ENKUlT_T0_E_clISt17integral_constantIbLb0EES1Q_IbLb1EEEEDaS1M_S1N_EUlS1M_E_NS1_11comp_targetILNS1_3genE10ELNS1_11target_archE1200ELNS1_3gpuE4ELNS1_3repE0EEENS1_30default_config_static_selectorELNS0_4arch9wavefront6targetE0EEEvSZ_.has_dyn_sized_stack, 0
	.set _ZN7rocprim17ROCPRIM_400000_NS6detail17trampoline_kernelINS0_13select_configILj256ELj13ELNS0_17block_load_methodE3ELS4_3ELS4_3ELNS0_20block_scan_algorithmE0ELj4294967295EEENS1_25partition_config_selectorILNS1_17partition_subalgoE4EjNS0_10empty_typeEbEEZZNS1_14partition_implILS8_4ELb0ES6_15HIP_vector_typeIjLj2EENS0_17counting_iteratorIjlEEPS9_SG_NS0_5tupleIJPjSI_NS0_16reverse_iteratorISI_EEEEENSH_IJSG_SG_SG_EEES9_SI_JZNS1_25segmented_radix_sort_implINS0_14default_configELb1EPKlPlSQ_SR_N2at6native12_GLOBAL__N_18offset_tEEE10hipError_tPvRmT1_PNSt15iterator_traitsISZ_E10value_typeET2_T3_PNS10_IS15_E10value_typeET4_jRbjT5_S1B_jjP12ihipStream_tbEUljE_ZNSN_ISO_Lb1ESQ_SR_SQ_SR_SV_EESW_SX_SY_SZ_S13_S14_S15_S18_S19_jS1A_jS1B_S1B_jjS1D_bEUljE0_EEESW_SX_SY_S15_S19_S1B_T6_T7_T9_mT8_S1D_bDpT10_ENKUlT_T0_E_clISt17integral_constantIbLb0EES1Q_IbLb1EEEEDaS1M_S1N_EUlS1M_E_NS1_11comp_targetILNS1_3genE10ELNS1_11target_archE1200ELNS1_3gpuE4ELNS1_3repE0EEENS1_30default_config_static_selectorELNS0_4arch9wavefront6targetE0EEEvSZ_.has_recursion, 0
	.set _ZN7rocprim17ROCPRIM_400000_NS6detail17trampoline_kernelINS0_13select_configILj256ELj13ELNS0_17block_load_methodE3ELS4_3ELS4_3ELNS0_20block_scan_algorithmE0ELj4294967295EEENS1_25partition_config_selectorILNS1_17partition_subalgoE4EjNS0_10empty_typeEbEEZZNS1_14partition_implILS8_4ELb0ES6_15HIP_vector_typeIjLj2EENS0_17counting_iteratorIjlEEPS9_SG_NS0_5tupleIJPjSI_NS0_16reverse_iteratorISI_EEEEENSH_IJSG_SG_SG_EEES9_SI_JZNS1_25segmented_radix_sort_implINS0_14default_configELb1EPKlPlSQ_SR_N2at6native12_GLOBAL__N_18offset_tEEE10hipError_tPvRmT1_PNSt15iterator_traitsISZ_E10value_typeET2_T3_PNS10_IS15_E10value_typeET4_jRbjT5_S1B_jjP12ihipStream_tbEUljE_ZNSN_ISO_Lb1ESQ_SR_SQ_SR_SV_EESW_SX_SY_SZ_S13_S14_S15_S18_S19_jS1A_jS1B_S1B_jjS1D_bEUljE0_EEESW_SX_SY_S15_S19_S1B_T6_T7_T9_mT8_S1D_bDpT10_ENKUlT_T0_E_clISt17integral_constantIbLb0EES1Q_IbLb1EEEEDaS1M_S1N_EUlS1M_E_NS1_11comp_targetILNS1_3genE10ELNS1_11target_archE1200ELNS1_3gpuE4ELNS1_3repE0EEENS1_30default_config_static_selectorELNS0_4arch9wavefront6targetE0EEEvSZ_.has_indirect_call, 0
	.section	.AMDGPU.csdata,"",@progbits
; Kernel info:
; codeLenInByte = 0
; TotalNumSgprs: 0
; NumVgprs: 0
; ScratchSize: 0
; MemoryBound: 0
; FloatMode: 240
; IeeeMode: 1
; LDSByteSize: 0 bytes/workgroup (compile time only)
; SGPRBlocks: 0
; VGPRBlocks: 0
; NumSGPRsForWavesPerEU: 1
; NumVGPRsForWavesPerEU: 1
; NamedBarCnt: 0
; Occupancy: 16
; WaveLimiterHint : 0
; COMPUTE_PGM_RSRC2:SCRATCH_EN: 0
; COMPUTE_PGM_RSRC2:USER_SGPR: 2
; COMPUTE_PGM_RSRC2:TRAP_HANDLER: 0
; COMPUTE_PGM_RSRC2:TGID_X_EN: 1
; COMPUTE_PGM_RSRC2:TGID_Y_EN: 0
; COMPUTE_PGM_RSRC2:TGID_Z_EN: 0
; COMPUTE_PGM_RSRC2:TIDIG_COMP_CNT: 0
	.section	.text._ZN7rocprim17ROCPRIM_400000_NS6detail17trampoline_kernelINS0_13select_configILj256ELj13ELNS0_17block_load_methodE3ELS4_3ELS4_3ELNS0_20block_scan_algorithmE0ELj4294967295EEENS1_25partition_config_selectorILNS1_17partition_subalgoE4EjNS0_10empty_typeEbEEZZNS1_14partition_implILS8_4ELb0ES6_15HIP_vector_typeIjLj2EENS0_17counting_iteratorIjlEEPS9_SG_NS0_5tupleIJPjSI_NS0_16reverse_iteratorISI_EEEEENSH_IJSG_SG_SG_EEES9_SI_JZNS1_25segmented_radix_sort_implINS0_14default_configELb1EPKlPlSQ_SR_N2at6native12_GLOBAL__N_18offset_tEEE10hipError_tPvRmT1_PNSt15iterator_traitsISZ_E10value_typeET2_T3_PNS10_IS15_E10value_typeET4_jRbjT5_S1B_jjP12ihipStream_tbEUljE_ZNSN_ISO_Lb1ESQ_SR_SQ_SR_SV_EESW_SX_SY_SZ_S13_S14_S15_S18_S19_jS1A_jS1B_S1B_jjS1D_bEUljE0_EEESW_SX_SY_S15_S19_S1B_T6_T7_T9_mT8_S1D_bDpT10_ENKUlT_T0_E_clISt17integral_constantIbLb0EES1Q_IbLb1EEEEDaS1M_S1N_EUlS1M_E_NS1_11comp_targetILNS1_3genE9ELNS1_11target_archE1100ELNS1_3gpuE3ELNS1_3repE0EEENS1_30default_config_static_selectorELNS0_4arch9wavefront6targetE0EEEvSZ_,"axG",@progbits,_ZN7rocprim17ROCPRIM_400000_NS6detail17trampoline_kernelINS0_13select_configILj256ELj13ELNS0_17block_load_methodE3ELS4_3ELS4_3ELNS0_20block_scan_algorithmE0ELj4294967295EEENS1_25partition_config_selectorILNS1_17partition_subalgoE4EjNS0_10empty_typeEbEEZZNS1_14partition_implILS8_4ELb0ES6_15HIP_vector_typeIjLj2EENS0_17counting_iteratorIjlEEPS9_SG_NS0_5tupleIJPjSI_NS0_16reverse_iteratorISI_EEEEENSH_IJSG_SG_SG_EEES9_SI_JZNS1_25segmented_radix_sort_implINS0_14default_configELb1EPKlPlSQ_SR_N2at6native12_GLOBAL__N_18offset_tEEE10hipError_tPvRmT1_PNSt15iterator_traitsISZ_E10value_typeET2_T3_PNS10_IS15_E10value_typeET4_jRbjT5_S1B_jjP12ihipStream_tbEUljE_ZNSN_ISO_Lb1ESQ_SR_SQ_SR_SV_EESW_SX_SY_SZ_S13_S14_S15_S18_S19_jS1A_jS1B_S1B_jjS1D_bEUljE0_EEESW_SX_SY_S15_S19_S1B_T6_T7_T9_mT8_S1D_bDpT10_ENKUlT_T0_E_clISt17integral_constantIbLb0EES1Q_IbLb1EEEEDaS1M_S1N_EUlS1M_E_NS1_11comp_targetILNS1_3genE9ELNS1_11target_archE1100ELNS1_3gpuE3ELNS1_3repE0EEENS1_30default_config_static_selectorELNS0_4arch9wavefront6targetE0EEEvSZ_,comdat
	.globl	_ZN7rocprim17ROCPRIM_400000_NS6detail17trampoline_kernelINS0_13select_configILj256ELj13ELNS0_17block_load_methodE3ELS4_3ELS4_3ELNS0_20block_scan_algorithmE0ELj4294967295EEENS1_25partition_config_selectorILNS1_17partition_subalgoE4EjNS0_10empty_typeEbEEZZNS1_14partition_implILS8_4ELb0ES6_15HIP_vector_typeIjLj2EENS0_17counting_iteratorIjlEEPS9_SG_NS0_5tupleIJPjSI_NS0_16reverse_iteratorISI_EEEEENSH_IJSG_SG_SG_EEES9_SI_JZNS1_25segmented_radix_sort_implINS0_14default_configELb1EPKlPlSQ_SR_N2at6native12_GLOBAL__N_18offset_tEEE10hipError_tPvRmT1_PNSt15iterator_traitsISZ_E10value_typeET2_T3_PNS10_IS15_E10value_typeET4_jRbjT5_S1B_jjP12ihipStream_tbEUljE_ZNSN_ISO_Lb1ESQ_SR_SQ_SR_SV_EESW_SX_SY_SZ_S13_S14_S15_S18_S19_jS1A_jS1B_S1B_jjS1D_bEUljE0_EEESW_SX_SY_S15_S19_S1B_T6_T7_T9_mT8_S1D_bDpT10_ENKUlT_T0_E_clISt17integral_constantIbLb0EES1Q_IbLb1EEEEDaS1M_S1N_EUlS1M_E_NS1_11comp_targetILNS1_3genE9ELNS1_11target_archE1100ELNS1_3gpuE3ELNS1_3repE0EEENS1_30default_config_static_selectorELNS0_4arch9wavefront6targetE0EEEvSZ_ ; -- Begin function _ZN7rocprim17ROCPRIM_400000_NS6detail17trampoline_kernelINS0_13select_configILj256ELj13ELNS0_17block_load_methodE3ELS4_3ELS4_3ELNS0_20block_scan_algorithmE0ELj4294967295EEENS1_25partition_config_selectorILNS1_17partition_subalgoE4EjNS0_10empty_typeEbEEZZNS1_14partition_implILS8_4ELb0ES6_15HIP_vector_typeIjLj2EENS0_17counting_iteratorIjlEEPS9_SG_NS0_5tupleIJPjSI_NS0_16reverse_iteratorISI_EEEEENSH_IJSG_SG_SG_EEES9_SI_JZNS1_25segmented_radix_sort_implINS0_14default_configELb1EPKlPlSQ_SR_N2at6native12_GLOBAL__N_18offset_tEEE10hipError_tPvRmT1_PNSt15iterator_traitsISZ_E10value_typeET2_T3_PNS10_IS15_E10value_typeET4_jRbjT5_S1B_jjP12ihipStream_tbEUljE_ZNSN_ISO_Lb1ESQ_SR_SQ_SR_SV_EESW_SX_SY_SZ_S13_S14_S15_S18_S19_jS1A_jS1B_S1B_jjS1D_bEUljE0_EEESW_SX_SY_S15_S19_S1B_T6_T7_T9_mT8_S1D_bDpT10_ENKUlT_T0_E_clISt17integral_constantIbLb0EES1Q_IbLb1EEEEDaS1M_S1N_EUlS1M_E_NS1_11comp_targetILNS1_3genE9ELNS1_11target_archE1100ELNS1_3gpuE3ELNS1_3repE0EEENS1_30default_config_static_selectorELNS0_4arch9wavefront6targetE0EEEvSZ_
	.p2align	8
	.type	_ZN7rocprim17ROCPRIM_400000_NS6detail17trampoline_kernelINS0_13select_configILj256ELj13ELNS0_17block_load_methodE3ELS4_3ELS4_3ELNS0_20block_scan_algorithmE0ELj4294967295EEENS1_25partition_config_selectorILNS1_17partition_subalgoE4EjNS0_10empty_typeEbEEZZNS1_14partition_implILS8_4ELb0ES6_15HIP_vector_typeIjLj2EENS0_17counting_iteratorIjlEEPS9_SG_NS0_5tupleIJPjSI_NS0_16reverse_iteratorISI_EEEEENSH_IJSG_SG_SG_EEES9_SI_JZNS1_25segmented_radix_sort_implINS0_14default_configELb1EPKlPlSQ_SR_N2at6native12_GLOBAL__N_18offset_tEEE10hipError_tPvRmT1_PNSt15iterator_traitsISZ_E10value_typeET2_T3_PNS10_IS15_E10value_typeET4_jRbjT5_S1B_jjP12ihipStream_tbEUljE_ZNSN_ISO_Lb1ESQ_SR_SQ_SR_SV_EESW_SX_SY_SZ_S13_S14_S15_S18_S19_jS1A_jS1B_S1B_jjS1D_bEUljE0_EEESW_SX_SY_S15_S19_S1B_T6_T7_T9_mT8_S1D_bDpT10_ENKUlT_T0_E_clISt17integral_constantIbLb0EES1Q_IbLb1EEEEDaS1M_S1N_EUlS1M_E_NS1_11comp_targetILNS1_3genE9ELNS1_11target_archE1100ELNS1_3gpuE3ELNS1_3repE0EEENS1_30default_config_static_selectorELNS0_4arch9wavefront6targetE0EEEvSZ_,@function
_ZN7rocprim17ROCPRIM_400000_NS6detail17trampoline_kernelINS0_13select_configILj256ELj13ELNS0_17block_load_methodE3ELS4_3ELS4_3ELNS0_20block_scan_algorithmE0ELj4294967295EEENS1_25partition_config_selectorILNS1_17partition_subalgoE4EjNS0_10empty_typeEbEEZZNS1_14partition_implILS8_4ELb0ES6_15HIP_vector_typeIjLj2EENS0_17counting_iteratorIjlEEPS9_SG_NS0_5tupleIJPjSI_NS0_16reverse_iteratorISI_EEEEENSH_IJSG_SG_SG_EEES9_SI_JZNS1_25segmented_radix_sort_implINS0_14default_configELb1EPKlPlSQ_SR_N2at6native12_GLOBAL__N_18offset_tEEE10hipError_tPvRmT1_PNSt15iterator_traitsISZ_E10value_typeET2_T3_PNS10_IS15_E10value_typeET4_jRbjT5_S1B_jjP12ihipStream_tbEUljE_ZNSN_ISO_Lb1ESQ_SR_SQ_SR_SV_EESW_SX_SY_SZ_S13_S14_S15_S18_S19_jS1A_jS1B_S1B_jjS1D_bEUljE0_EEESW_SX_SY_S15_S19_S1B_T6_T7_T9_mT8_S1D_bDpT10_ENKUlT_T0_E_clISt17integral_constantIbLb0EES1Q_IbLb1EEEEDaS1M_S1N_EUlS1M_E_NS1_11comp_targetILNS1_3genE9ELNS1_11target_archE1100ELNS1_3gpuE3ELNS1_3repE0EEENS1_30default_config_static_selectorELNS0_4arch9wavefront6targetE0EEEvSZ_: ; @_ZN7rocprim17ROCPRIM_400000_NS6detail17trampoline_kernelINS0_13select_configILj256ELj13ELNS0_17block_load_methodE3ELS4_3ELS4_3ELNS0_20block_scan_algorithmE0ELj4294967295EEENS1_25partition_config_selectorILNS1_17partition_subalgoE4EjNS0_10empty_typeEbEEZZNS1_14partition_implILS8_4ELb0ES6_15HIP_vector_typeIjLj2EENS0_17counting_iteratorIjlEEPS9_SG_NS0_5tupleIJPjSI_NS0_16reverse_iteratorISI_EEEEENSH_IJSG_SG_SG_EEES9_SI_JZNS1_25segmented_radix_sort_implINS0_14default_configELb1EPKlPlSQ_SR_N2at6native12_GLOBAL__N_18offset_tEEE10hipError_tPvRmT1_PNSt15iterator_traitsISZ_E10value_typeET2_T3_PNS10_IS15_E10value_typeET4_jRbjT5_S1B_jjP12ihipStream_tbEUljE_ZNSN_ISO_Lb1ESQ_SR_SQ_SR_SV_EESW_SX_SY_SZ_S13_S14_S15_S18_S19_jS1A_jS1B_S1B_jjS1D_bEUljE0_EEESW_SX_SY_S15_S19_S1B_T6_T7_T9_mT8_S1D_bDpT10_ENKUlT_T0_E_clISt17integral_constantIbLb0EES1Q_IbLb1EEEEDaS1M_S1N_EUlS1M_E_NS1_11comp_targetILNS1_3genE9ELNS1_11target_archE1100ELNS1_3gpuE3ELNS1_3repE0EEENS1_30default_config_static_selectorELNS0_4arch9wavefront6targetE0EEEvSZ_
; %bb.0:
	.section	.rodata,"a",@progbits
	.p2align	6, 0x0
	.amdhsa_kernel _ZN7rocprim17ROCPRIM_400000_NS6detail17trampoline_kernelINS0_13select_configILj256ELj13ELNS0_17block_load_methodE3ELS4_3ELS4_3ELNS0_20block_scan_algorithmE0ELj4294967295EEENS1_25partition_config_selectorILNS1_17partition_subalgoE4EjNS0_10empty_typeEbEEZZNS1_14partition_implILS8_4ELb0ES6_15HIP_vector_typeIjLj2EENS0_17counting_iteratorIjlEEPS9_SG_NS0_5tupleIJPjSI_NS0_16reverse_iteratorISI_EEEEENSH_IJSG_SG_SG_EEES9_SI_JZNS1_25segmented_radix_sort_implINS0_14default_configELb1EPKlPlSQ_SR_N2at6native12_GLOBAL__N_18offset_tEEE10hipError_tPvRmT1_PNSt15iterator_traitsISZ_E10value_typeET2_T3_PNS10_IS15_E10value_typeET4_jRbjT5_S1B_jjP12ihipStream_tbEUljE_ZNSN_ISO_Lb1ESQ_SR_SQ_SR_SV_EESW_SX_SY_SZ_S13_S14_S15_S18_S19_jS1A_jS1B_S1B_jjS1D_bEUljE0_EEESW_SX_SY_S15_S19_S1B_T6_T7_T9_mT8_S1D_bDpT10_ENKUlT_T0_E_clISt17integral_constantIbLb0EES1Q_IbLb1EEEEDaS1M_S1N_EUlS1M_E_NS1_11comp_targetILNS1_3genE9ELNS1_11target_archE1100ELNS1_3gpuE3ELNS1_3repE0EEENS1_30default_config_static_selectorELNS0_4arch9wavefront6targetE0EEEvSZ_
		.amdhsa_group_segment_fixed_size 0
		.amdhsa_private_segment_fixed_size 0
		.amdhsa_kernarg_size 184
		.amdhsa_user_sgpr_count 2
		.amdhsa_user_sgpr_dispatch_ptr 0
		.amdhsa_user_sgpr_queue_ptr 0
		.amdhsa_user_sgpr_kernarg_segment_ptr 1
		.amdhsa_user_sgpr_dispatch_id 0
		.amdhsa_user_sgpr_kernarg_preload_length 0
		.amdhsa_user_sgpr_kernarg_preload_offset 0
		.amdhsa_user_sgpr_private_segment_size 0
		.amdhsa_wavefront_size32 1
		.amdhsa_uses_dynamic_stack 0
		.amdhsa_enable_private_segment 0
		.amdhsa_system_sgpr_workgroup_id_x 1
		.amdhsa_system_sgpr_workgroup_id_y 0
		.amdhsa_system_sgpr_workgroup_id_z 0
		.amdhsa_system_sgpr_workgroup_info 0
		.amdhsa_system_vgpr_workitem_id 0
		.amdhsa_next_free_vgpr 1
		.amdhsa_next_free_sgpr 1
		.amdhsa_named_barrier_count 0
		.amdhsa_reserve_vcc 0
		.amdhsa_float_round_mode_32 0
		.amdhsa_float_round_mode_16_64 0
		.amdhsa_float_denorm_mode_32 3
		.amdhsa_float_denorm_mode_16_64 3
		.amdhsa_fp16_overflow 0
		.amdhsa_memory_ordered 1
		.amdhsa_forward_progress 1
		.amdhsa_inst_pref_size 0
		.amdhsa_round_robin_scheduling 0
		.amdhsa_exception_fp_ieee_invalid_op 0
		.amdhsa_exception_fp_denorm_src 0
		.amdhsa_exception_fp_ieee_div_zero 0
		.amdhsa_exception_fp_ieee_overflow 0
		.amdhsa_exception_fp_ieee_underflow 0
		.amdhsa_exception_fp_ieee_inexact 0
		.amdhsa_exception_int_div_zero 0
	.end_amdhsa_kernel
	.section	.text._ZN7rocprim17ROCPRIM_400000_NS6detail17trampoline_kernelINS0_13select_configILj256ELj13ELNS0_17block_load_methodE3ELS4_3ELS4_3ELNS0_20block_scan_algorithmE0ELj4294967295EEENS1_25partition_config_selectorILNS1_17partition_subalgoE4EjNS0_10empty_typeEbEEZZNS1_14partition_implILS8_4ELb0ES6_15HIP_vector_typeIjLj2EENS0_17counting_iteratorIjlEEPS9_SG_NS0_5tupleIJPjSI_NS0_16reverse_iteratorISI_EEEEENSH_IJSG_SG_SG_EEES9_SI_JZNS1_25segmented_radix_sort_implINS0_14default_configELb1EPKlPlSQ_SR_N2at6native12_GLOBAL__N_18offset_tEEE10hipError_tPvRmT1_PNSt15iterator_traitsISZ_E10value_typeET2_T3_PNS10_IS15_E10value_typeET4_jRbjT5_S1B_jjP12ihipStream_tbEUljE_ZNSN_ISO_Lb1ESQ_SR_SQ_SR_SV_EESW_SX_SY_SZ_S13_S14_S15_S18_S19_jS1A_jS1B_S1B_jjS1D_bEUljE0_EEESW_SX_SY_S15_S19_S1B_T6_T7_T9_mT8_S1D_bDpT10_ENKUlT_T0_E_clISt17integral_constantIbLb0EES1Q_IbLb1EEEEDaS1M_S1N_EUlS1M_E_NS1_11comp_targetILNS1_3genE9ELNS1_11target_archE1100ELNS1_3gpuE3ELNS1_3repE0EEENS1_30default_config_static_selectorELNS0_4arch9wavefront6targetE0EEEvSZ_,"axG",@progbits,_ZN7rocprim17ROCPRIM_400000_NS6detail17trampoline_kernelINS0_13select_configILj256ELj13ELNS0_17block_load_methodE3ELS4_3ELS4_3ELNS0_20block_scan_algorithmE0ELj4294967295EEENS1_25partition_config_selectorILNS1_17partition_subalgoE4EjNS0_10empty_typeEbEEZZNS1_14partition_implILS8_4ELb0ES6_15HIP_vector_typeIjLj2EENS0_17counting_iteratorIjlEEPS9_SG_NS0_5tupleIJPjSI_NS0_16reverse_iteratorISI_EEEEENSH_IJSG_SG_SG_EEES9_SI_JZNS1_25segmented_radix_sort_implINS0_14default_configELb1EPKlPlSQ_SR_N2at6native12_GLOBAL__N_18offset_tEEE10hipError_tPvRmT1_PNSt15iterator_traitsISZ_E10value_typeET2_T3_PNS10_IS15_E10value_typeET4_jRbjT5_S1B_jjP12ihipStream_tbEUljE_ZNSN_ISO_Lb1ESQ_SR_SQ_SR_SV_EESW_SX_SY_SZ_S13_S14_S15_S18_S19_jS1A_jS1B_S1B_jjS1D_bEUljE0_EEESW_SX_SY_S15_S19_S1B_T6_T7_T9_mT8_S1D_bDpT10_ENKUlT_T0_E_clISt17integral_constantIbLb0EES1Q_IbLb1EEEEDaS1M_S1N_EUlS1M_E_NS1_11comp_targetILNS1_3genE9ELNS1_11target_archE1100ELNS1_3gpuE3ELNS1_3repE0EEENS1_30default_config_static_selectorELNS0_4arch9wavefront6targetE0EEEvSZ_,comdat
.Lfunc_end666:
	.size	_ZN7rocprim17ROCPRIM_400000_NS6detail17trampoline_kernelINS0_13select_configILj256ELj13ELNS0_17block_load_methodE3ELS4_3ELS4_3ELNS0_20block_scan_algorithmE0ELj4294967295EEENS1_25partition_config_selectorILNS1_17partition_subalgoE4EjNS0_10empty_typeEbEEZZNS1_14partition_implILS8_4ELb0ES6_15HIP_vector_typeIjLj2EENS0_17counting_iteratorIjlEEPS9_SG_NS0_5tupleIJPjSI_NS0_16reverse_iteratorISI_EEEEENSH_IJSG_SG_SG_EEES9_SI_JZNS1_25segmented_radix_sort_implINS0_14default_configELb1EPKlPlSQ_SR_N2at6native12_GLOBAL__N_18offset_tEEE10hipError_tPvRmT1_PNSt15iterator_traitsISZ_E10value_typeET2_T3_PNS10_IS15_E10value_typeET4_jRbjT5_S1B_jjP12ihipStream_tbEUljE_ZNSN_ISO_Lb1ESQ_SR_SQ_SR_SV_EESW_SX_SY_SZ_S13_S14_S15_S18_S19_jS1A_jS1B_S1B_jjS1D_bEUljE0_EEESW_SX_SY_S15_S19_S1B_T6_T7_T9_mT8_S1D_bDpT10_ENKUlT_T0_E_clISt17integral_constantIbLb0EES1Q_IbLb1EEEEDaS1M_S1N_EUlS1M_E_NS1_11comp_targetILNS1_3genE9ELNS1_11target_archE1100ELNS1_3gpuE3ELNS1_3repE0EEENS1_30default_config_static_selectorELNS0_4arch9wavefront6targetE0EEEvSZ_, .Lfunc_end666-_ZN7rocprim17ROCPRIM_400000_NS6detail17trampoline_kernelINS0_13select_configILj256ELj13ELNS0_17block_load_methodE3ELS4_3ELS4_3ELNS0_20block_scan_algorithmE0ELj4294967295EEENS1_25partition_config_selectorILNS1_17partition_subalgoE4EjNS0_10empty_typeEbEEZZNS1_14partition_implILS8_4ELb0ES6_15HIP_vector_typeIjLj2EENS0_17counting_iteratorIjlEEPS9_SG_NS0_5tupleIJPjSI_NS0_16reverse_iteratorISI_EEEEENSH_IJSG_SG_SG_EEES9_SI_JZNS1_25segmented_radix_sort_implINS0_14default_configELb1EPKlPlSQ_SR_N2at6native12_GLOBAL__N_18offset_tEEE10hipError_tPvRmT1_PNSt15iterator_traitsISZ_E10value_typeET2_T3_PNS10_IS15_E10value_typeET4_jRbjT5_S1B_jjP12ihipStream_tbEUljE_ZNSN_ISO_Lb1ESQ_SR_SQ_SR_SV_EESW_SX_SY_SZ_S13_S14_S15_S18_S19_jS1A_jS1B_S1B_jjS1D_bEUljE0_EEESW_SX_SY_S15_S19_S1B_T6_T7_T9_mT8_S1D_bDpT10_ENKUlT_T0_E_clISt17integral_constantIbLb0EES1Q_IbLb1EEEEDaS1M_S1N_EUlS1M_E_NS1_11comp_targetILNS1_3genE9ELNS1_11target_archE1100ELNS1_3gpuE3ELNS1_3repE0EEENS1_30default_config_static_selectorELNS0_4arch9wavefront6targetE0EEEvSZ_
                                        ; -- End function
	.set _ZN7rocprim17ROCPRIM_400000_NS6detail17trampoline_kernelINS0_13select_configILj256ELj13ELNS0_17block_load_methodE3ELS4_3ELS4_3ELNS0_20block_scan_algorithmE0ELj4294967295EEENS1_25partition_config_selectorILNS1_17partition_subalgoE4EjNS0_10empty_typeEbEEZZNS1_14partition_implILS8_4ELb0ES6_15HIP_vector_typeIjLj2EENS0_17counting_iteratorIjlEEPS9_SG_NS0_5tupleIJPjSI_NS0_16reverse_iteratorISI_EEEEENSH_IJSG_SG_SG_EEES9_SI_JZNS1_25segmented_radix_sort_implINS0_14default_configELb1EPKlPlSQ_SR_N2at6native12_GLOBAL__N_18offset_tEEE10hipError_tPvRmT1_PNSt15iterator_traitsISZ_E10value_typeET2_T3_PNS10_IS15_E10value_typeET4_jRbjT5_S1B_jjP12ihipStream_tbEUljE_ZNSN_ISO_Lb1ESQ_SR_SQ_SR_SV_EESW_SX_SY_SZ_S13_S14_S15_S18_S19_jS1A_jS1B_S1B_jjS1D_bEUljE0_EEESW_SX_SY_S15_S19_S1B_T6_T7_T9_mT8_S1D_bDpT10_ENKUlT_T0_E_clISt17integral_constantIbLb0EES1Q_IbLb1EEEEDaS1M_S1N_EUlS1M_E_NS1_11comp_targetILNS1_3genE9ELNS1_11target_archE1100ELNS1_3gpuE3ELNS1_3repE0EEENS1_30default_config_static_selectorELNS0_4arch9wavefront6targetE0EEEvSZ_.num_vgpr, 0
	.set _ZN7rocprim17ROCPRIM_400000_NS6detail17trampoline_kernelINS0_13select_configILj256ELj13ELNS0_17block_load_methodE3ELS4_3ELS4_3ELNS0_20block_scan_algorithmE0ELj4294967295EEENS1_25partition_config_selectorILNS1_17partition_subalgoE4EjNS0_10empty_typeEbEEZZNS1_14partition_implILS8_4ELb0ES6_15HIP_vector_typeIjLj2EENS0_17counting_iteratorIjlEEPS9_SG_NS0_5tupleIJPjSI_NS0_16reverse_iteratorISI_EEEEENSH_IJSG_SG_SG_EEES9_SI_JZNS1_25segmented_radix_sort_implINS0_14default_configELb1EPKlPlSQ_SR_N2at6native12_GLOBAL__N_18offset_tEEE10hipError_tPvRmT1_PNSt15iterator_traitsISZ_E10value_typeET2_T3_PNS10_IS15_E10value_typeET4_jRbjT5_S1B_jjP12ihipStream_tbEUljE_ZNSN_ISO_Lb1ESQ_SR_SQ_SR_SV_EESW_SX_SY_SZ_S13_S14_S15_S18_S19_jS1A_jS1B_S1B_jjS1D_bEUljE0_EEESW_SX_SY_S15_S19_S1B_T6_T7_T9_mT8_S1D_bDpT10_ENKUlT_T0_E_clISt17integral_constantIbLb0EES1Q_IbLb1EEEEDaS1M_S1N_EUlS1M_E_NS1_11comp_targetILNS1_3genE9ELNS1_11target_archE1100ELNS1_3gpuE3ELNS1_3repE0EEENS1_30default_config_static_selectorELNS0_4arch9wavefront6targetE0EEEvSZ_.num_agpr, 0
	.set _ZN7rocprim17ROCPRIM_400000_NS6detail17trampoline_kernelINS0_13select_configILj256ELj13ELNS0_17block_load_methodE3ELS4_3ELS4_3ELNS0_20block_scan_algorithmE0ELj4294967295EEENS1_25partition_config_selectorILNS1_17partition_subalgoE4EjNS0_10empty_typeEbEEZZNS1_14partition_implILS8_4ELb0ES6_15HIP_vector_typeIjLj2EENS0_17counting_iteratorIjlEEPS9_SG_NS0_5tupleIJPjSI_NS0_16reverse_iteratorISI_EEEEENSH_IJSG_SG_SG_EEES9_SI_JZNS1_25segmented_radix_sort_implINS0_14default_configELb1EPKlPlSQ_SR_N2at6native12_GLOBAL__N_18offset_tEEE10hipError_tPvRmT1_PNSt15iterator_traitsISZ_E10value_typeET2_T3_PNS10_IS15_E10value_typeET4_jRbjT5_S1B_jjP12ihipStream_tbEUljE_ZNSN_ISO_Lb1ESQ_SR_SQ_SR_SV_EESW_SX_SY_SZ_S13_S14_S15_S18_S19_jS1A_jS1B_S1B_jjS1D_bEUljE0_EEESW_SX_SY_S15_S19_S1B_T6_T7_T9_mT8_S1D_bDpT10_ENKUlT_T0_E_clISt17integral_constantIbLb0EES1Q_IbLb1EEEEDaS1M_S1N_EUlS1M_E_NS1_11comp_targetILNS1_3genE9ELNS1_11target_archE1100ELNS1_3gpuE3ELNS1_3repE0EEENS1_30default_config_static_selectorELNS0_4arch9wavefront6targetE0EEEvSZ_.numbered_sgpr, 0
	.set _ZN7rocprim17ROCPRIM_400000_NS6detail17trampoline_kernelINS0_13select_configILj256ELj13ELNS0_17block_load_methodE3ELS4_3ELS4_3ELNS0_20block_scan_algorithmE0ELj4294967295EEENS1_25partition_config_selectorILNS1_17partition_subalgoE4EjNS0_10empty_typeEbEEZZNS1_14partition_implILS8_4ELb0ES6_15HIP_vector_typeIjLj2EENS0_17counting_iteratorIjlEEPS9_SG_NS0_5tupleIJPjSI_NS0_16reverse_iteratorISI_EEEEENSH_IJSG_SG_SG_EEES9_SI_JZNS1_25segmented_radix_sort_implINS0_14default_configELb1EPKlPlSQ_SR_N2at6native12_GLOBAL__N_18offset_tEEE10hipError_tPvRmT1_PNSt15iterator_traitsISZ_E10value_typeET2_T3_PNS10_IS15_E10value_typeET4_jRbjT5_S1B_jjP12ihipStream_tbEUljE_ZNSN_ISO_Lb1ESQ_SR_SQ_SR_SV_EESW_SX_SY_SZ_S13_S14_S15_S18_S19_jS1A_jS1B_S1B_jjS1D_bEUljE0_EEESW_SX_SY_S15_S19_S1B_T6_T7_T9_mT8_S1D_bDpT10_ENKUlT_T0_E_clISt17integral_constantIbLb0EES1Q_IbLb1EEEEDaS1M_S1N_EUlS1M_E_NS1_11comp_targetILNS1_3genE9ELNS1_11target_archE1100ELNS1_3gpuE3ELNS1_3repE0EEENS1_30default_config_static_selectorELNS0_4arch9wavefront6targetE0EEEvSZ_.num_named_barrier, 0
	.set _ZN7rocprim17ROCPRIM_400000_NS6detail17trampoline_kernelINS0_13select_configILj256ELj13ELNS0_17block_load_methodE3ELS4_3ELS4_3ELNS0_20block_scan_algorithmE0ELj4294967295EEENS1_25partition_config_selectorILNS1_17partition_subalgoE4EjNS0_10empty_typeEbEEZZNS1_14partition_implILS8_4ELb0ES6_15HIP_vector_typeIjLj2EENS0_17counting_iteratorIjlEEPS9_SG_NS0_5tupleIJPjSI_NS0_16reverse_iteratorISI_EEEEENSH_IJSG_SG_SG_EEES9_SI_JZNS1_25segmented_radix_sort_implINS0_14default_configELb1EPKlPlSQ_SR_N2at6native12_GLOBAL__N_18offset_tEEE10hipError_tPvRmT1_PNSt15iterator_traitsISZ_E10value_typeET2_T3_PNS10_IS15_E10value_typeET4_jRbjT5_S1B_jjP12ihipStream_tbEUljE_ZNSN_ISO_Lb1ESQ_SR_SQ_SR_SV_EESW_SX_SY_SZ_S13_S14_S15_S18_S19_jS1A_jS1B_S1B_jjS1D_bEUljE0_EEESW_SX_SY_S15_S19_S1B_T6_T7_T9_mT8_S1D_bDpT10_ENKUlT_T0_E_clISt17integral_constantIbLb0EES1Q_IbLb1EEEEDaS1M_S1N_EUlS1M_E_NS1_11comp_targetILNS1_3genE9ELNS1_11target_archE1100ELNS1_3gpuE3ELNS1_3repE0EEENS1_30default_config_static_selectorELNS0_4arch9wavefront6targetE0EEEvSZ_.private_seg_size, 0
	.set _ZN7rocprim17ROCPRIM_400000_NS6detail17trampoline_kernelINS0_13select_configILj256ELj13ELNS0_17block_load_methodE3ELS4_3ELS4_3ELNS0_20block_scan_algorithmE0ELj4294967295EEENS1_25partition_config_selectorILNS1_17partition_subalgoE4EjNS0_10empty_typeEbEEZZNS1_14partition_implILS8_4ELb0ES6_15HIP_vector_typeIjLj2EENS0_17counting_iteratorIjlEEPS9_SG_NS0_5tupleIJPjSI_NS0_16reverse_iteratorISI_EEEEENSH_IJSG_SG_SG_EEES9_SI_JZNS1_25segmented_radix_sort_implINS0_14default_configELb1EPKlPlSQ_SR_N2at6native12_GLOBAL__N_18offset_tEEE10hipError_tPvRmT1_PNSt15iterator_traitsISZ_E10value_typeET2_T3_PNS10_IS15_E10value_typeET4_jRbjT5_S1B_jjP12ihipStream_tbEUljE_ZNSN_ISO_Lb1ESQ_SR_SQ_SR_SV_EESW_SX_SY_SZ_S13_S14_S15_S18_S19_jS1A_jS1B_S1B_jjS1D_bEUljE0_EEESW_SX_SY_S15_S19_S1B_T6_T7_T9_mT8_S1D_bDpT10_ENKUlT_T0_E_clISt17integral_constantIbLb0EES1Q_IbLb1EEEEDaS1M_S1N_EUlS1M_E_NS1_11comp_targetILNS1_3genE9ELNS1_11target_archE1100ELNS1_3gpuE3ELNS1_3repE0EEENS1_30default_config_static_selectorELNS0_4arch9wavefront6targetE0EEEvSZ_.uses_vcc, 0
	.set _ZN7rocprim17ROCPRIM_400000_NS6detail17trampoline_kernelINS0_13select_configILj256ELj13ELNS0_17block_load_methodE3ELS4_3ELS4_3ELNS0_20block_scan_algorithmE0ELj4294967295EEENS1_25partition_config_selectorILNS1_17partition_subalgoE4EjNS0_10empty_typeEbEEZZNS1_14partition_implILS8_4ELb0ES6_15HIP_vector_typeIjLj2EENS0_17counting_iteratorIjlEEPS9_SG_NS0_5tupleIJPjSI_NS0_16reverse_iteratorISI_EEEEENSH_IJSG_SG_SG_EEES9_SI_JZNS1_25segmented_radix_sort_implINS0_14default_configELb1EPKlPlSQ_SR_N2at6native12_GLOBAL__N_18offset_tEEE10hipError_tPvRmT1_PNSt15iterator_traitsISZ_E10value_typeET2_T3_PNS10_IS15_E10value_typeET4_jRbjT5_S1B_jjP12ihipStream_tbEUljE_ZNSN_ISO_Lb1ESQ_SR_SQ_SR_SV_EESW_SX_SY_SZ_S13_S14_S15_S18_S19_jS1A_jS1B_S1B_jjS1D_bEUljE0_EEESW_SX_SY_S15_S19_S1B_T6_T7_T9_mT8_S1D_bDpT10_ENKUlT_T0_E_clISt17integral_constantIbLb0EES1Q_IbLb1EEEEDaS1M_S1N_EUlS1M_E_NS1_11comp_targetILNS1_3genE9ELNS1_11target_archE1100ELNS1_3gpuE3ELNS1_3repE0EEENS1_30default_config_static_selectorELNS0_4arch9wavefront6targetE0EEEvSZ_.uses_flat_scratch, 0
	.set _ZN7rocprim17ROCPRIM_400000_NS6detail17trampoline_kernelINS0_13select_configILj256ELj13ELNS0_17block_load_methodE3ELS4_3ELS4_3ELNS0_20block_scan_algorithmE0ELj4294967295EEENS1_25partition_config_selectorILNS1_17partition_subalgoE4EjNS0_10empty_typeEbEEZZNS1_14partition_implILS8_4ELb0ES6_15HIP_vector_typeIjLj2EENS0_17counting_iteratorIjlEEPS9_SG_NS0_5tupleIJPjSI_NS0_16reverse_iteratorISI_EEEEENSH_IJSG_SG_SG_EEES9_SI_JZNS1_25segmented_radix_sort_implINS0_14default_configELb1EPKlPlSQ_SR_N2at6native12_GLOBAL__N_18offset_tEEE10hipError_tPvRmT1_PNSt15iterator_traitsISZ_E10value_typeET2_T3_PNS10_IS15_E10value_typeET4_jRbjT5_S1B_jjP12ihipStream_tbEUljE_ZNSN_ISO_Lb1ESQ_SR_SQ_SR_SV_EESW_SX_SY_SZ_S13_S14_S15_S18_S19_jS1A_jS1B_S1B_jjS1D_bEUljE0_EEESW_SX_SY_S15_S19_S1B_T6_T7_T9_mT8_S1D_bDpT10_ENKUlT_T0_E_clISt17integral_constantIbLb0EES1Q_IbLb1EEEEDaS1M_S1N_EUlS1M_E_NS1_11comp_targetILNS1_3genE9ELNS1_11target_archE1100ELNS1_3gpuE3ELNS1_3repE0EEENS1_30default_config_static_selectorELNS0_4arch9wavefront6targetE0EEEvSZ_.has_dyn_sized_stack, 0
	.set _ZN7rocprim17ROCPRIM_400000_NS6detail17trampoline_kernelINS0_13select_configILj256ELj13ELNS0_17block_load_methodE3ELS4_3ELS4_3ELNS0_20block_scan_algorithmE0ELj4294967295EEENS1_25partition_config_selectorILNS1_17partition_subalgoE4EjNS0_10empty_typeEbEEZZNS1_14partition_implILS8_4ELb0ES6_15HIP_vector_typeIjLj2EENS0_17counting_iteratorIjlEEPS9_SG_NS0_5tupleIJPjSI_NS0_16reverse_iteratorISI_EEEEENSH_IJSG_SG_SG_EEES9_SI_JZNS1_25segmented_radix_sort_implINS0_14default_configELb1EPKlPlSQ_SR_N2at6native12_GLOBAL__N_18offset_tEEE10hipError_tPvRmT1_PNSt15iterator_traitsISZ_E10value_typeET2_T3_PNS10_IS15_E10value_typeET4_jRbjT5_S1B_jjP12ihipStream_tbEUljE_ZNSN_ISO_Lb1ESQ_SR_SQ_SR_SV_EESW_SX_SY_SZ_S13_S14_S15_S18_S19_jS1A_jS1B_S1B_jjS1D_bEUljE0_EEESW_SX_SY_S15_S19_S1B_T6_T7_T9_mT8_S1D_bDpT10_ENKUlT_T0_E_clISt17integral_constantIbLb0EES1Q_IbLb1EEEEDaS1M_S1N_EUlS1M_E_NS1_11comp_targetILNS1_3genE9ELNS1_11target_archE1100ELNS1_3gpuE3ELNS1_3repE0EEENS1_30default_config_static_selectorELNS0_4arch9wavefront6targetE0EEEvSZ_.has_recursion, 0
	.set _ZN7rocprim17ROCPRIM_400000_NS6detail17trampoline_kernelINS0_13select_configILj256ELj13ELNS0_17block_load_methodE3ELS4_3ELS4_3ELNS0_20block_scan_algorithmE0ELj4294967295EEENS1_25partition_config_selectorILNS1_17partition_subalgoE4EjNS0_10empty_typeEbEEZZNS1_14partition_implILS8_4ELb0ES6_15HIP_vector_typeIjLj2EENS0_17counting_iteratorIjlEEPS9_SG_NS0_5tupleIJPjSI_NS0_16reverse_iteratorISI_EEEEENSH_IJSG_SG_SG_EEES9_SI_JZNS1_25segmented_radix_sort_implINS0_14default_configELb1EPKlPlSQ_SR_N2at6native12_GLOBAL__N_18offset_tEEE10hipError_tPvRmT1_PNSt15iterator_traitsISZ_E10value_typeET2_T3_PNS10_IS15_E10value_typeET4_jRbjT5_S1B_jjP12ihipStream_tbEUljE_ZNSN_ISO_Lb1ESQ_SR_SQ_SR_SV_EESW_SX_SY_SZ_S13_S14_S15_S18_S19_jS1A_jS1B_S1B_jjS1D_bEUljE0_EEESW_SX_SY_S15_S19_S1B_T6_T7_T9_mT8_S1D_bDpT10_ENKUlT_T0_E_clISt17integral_constantIbLb0EES1Q_IbLb1EEEEDaS1M_S1N_EUlS1M_E_NS1_11comp_targetILNS1_3genE9ELNS1_11target_archE1100ELNS1_3gpuE3ELNS1_3repE0EEENS1_30default_config_static_selectorELNS0_4arch9wavefront6targetE0EEEvSZ_.has_indirect_call, 0
	.section	.AMDGPU.csdata,"",@progbits
; Kernel info:
; codeLenInByte = 0
; TotalNumSgprs: 0
; NumVgprs: 0
; ScratchSize: 0
; MemoryBound: 0
; FloatMode: 240
; IeeeMode: 1
; LDSByteSize: 0 bytes/workgroup (compile time only)
; SGPRBlocks: 0
; VGPRBlocks: 0
; NumSGPRsForWavesPerEU: 1
; NumVGPRsForWavesPerEU: 1
; NamedBarCnt: 0
; Occupancy: 16
; WaveLimiterHint : 0
; COMPUTE_PGM_RSRC2:SCRATCH_EN: 0
; COMPUTE_PGM_RSRC2:USER_SGPR: 2
; COMPUTE_PGM_RSRC2:TRAP_HANDLER: 0
; COMPUTE_PGM_RSRC2:TGID_X_EN: 1
; COMPUTE_PGM_RSRC2:TGID_Y_EN: 0
; COMPUTE_PGM_RSRC2:TGID_Z_EN: 0
; COMPUTE_PGM_RSRC2:TIDIG_COMP_CNT: 0
	.section	.text._ZN7rocprim17ROCPRIM_400000_NS6detail17trampoline_kernelINS0_13select_configILj256ELj13ELNS0_17block_load_methodE3ELS4_3ELS4_3ELNS0_20block_scan_algorithmE0ELj4294967295EEENS1_25partition_config_selectorILNS1_17partition_subalgoE4EjNS0_10empty_typeEbEEZZNS1_14partition_implILS8_4ELb0ES6_15HIP_vector_typeIjLj2EENS0_17counting_iteratorIjlEEPS9_SG_NS0_5tupleIJPjSI_NS0_16reverse_iteratorISI_EEEEENSH_IJSG_SG_SG_EEES9_SI_JZNS1_25segmented_radix_sort_implINS0_14default_configELb1EPKlPlSQ_SR_N2at6native12_GLOBAL__N_18offset_tEEE10hipError_tPvRmT1_PNSt15iterator_traitsISZ_E10value_typeET2_T3_PNS10_IS15_E10value_typeET4_jRbjT5_S1B_jjP12ihipStream_tbEUljE_ZNSN_ISO_Lb1ESQ_SR_SQ_SR_SV_EESW_SX_SY_SZ_S13_S14_S15_S18_S19_jS1A_jS1B_S1B_jjS1D_bEUljE0_EEESW_SX_SY_S15_S19_S1B_T6_T7_T9_mT8_S1D_bDpT10_ENKUlT_T0_E_clISt17integral_constantIbLb0EES1Q_IbLb1EEEEDaS1M_S1N_EUlS1M_E_NS1_11comp_targetILNS1_3genE8ELNS1_11target_archE1030ELNS1_3gpuE2ELNS1_3repE0EEENS1_30default_config_static_selectorELNS0_4arch9wavefront6targetE0EEEvSZ_,"axG",@progbits,_ZN7rocprim17ROCPRIM_400000_NS6detail17trampoline_kernelINS0_13select_configILj256ELj13ELNS0_17block_load_methodE3ELS4_3ELS4_3ELNS0_20block_scan_algorithmE0ELj4294967295EEENS1_25partition_config_selectorILNS1_17partition_subalgoE4EjNS0_10empty_typeEbEEZZNS1_14partition_implILS8_4ELb0ES6_15HIP_vector_typeIjLj2EENS0_17counting_iteratorIjlEEPS9_SG_NS0_5tupleIJPjSI_NS0_16reverse_iteratorISI_EEEEENSH_IJSG_SG_SG_EEES9_SI_JZNS1_25segmented_radix_sort_implINS0_14default_configELb1EPKlPlSQ_SR_N2at6native12_GLOBAL__N_18offset_tEEE10hipError_tPvRmT1_PNSt15iterator_traitsISZ_E10value_typeET2_T3_PNS10_IS15_E10value_typeET4_jRbjT5_S1B_jjP12ihipStream_tbEUljE_ZNSN_ISO_Lb1ESQ_SR_SQ_SR_SV_EESW_SX_SY_SZ_S13_S14_S15_S18_S19_jS1A_jS1B_S1B_jjS1D_bEUljE0_EEESW_SX_SY_S15_S19_S1B_T6_T7_T9_mT8_S1D_bDpT10_ENKUlT_T0_E_clISt17integral_constantIbLb0EES1Q_IbLb1EEEEDaS1M_S1N_EUlS1M_E_NS1_11comp_targetILNS1_3genE8ELNS1_11target_archE1030ELNS1_3gpuE2ELNS1_3repE0EEENS1_30default_config_static_selectorELNS0_4arch9wavefront6targetE0EEEvSZ_,comdat
	.globl	_ZN7rocprim17ROCPRIM_400000_NS6detail17trampoline_kernelINS0_13select_configILj256ELj13ELNS0_17block_load_methodE3ELS4_3ELS4_3ELNS0_20block_scan_algorithmE0ELj4294967295EEENS1_25partition_config_selectorILNS1_17partition_subalgoE4EjNS0_10empty_typeEbEEZZNS1_14partition_implILS8_4ELb0ES6_15HIP_vector_typeIjLj2EENS0_17counting_iteratorIjlEEPS9_SG_NS0_5tupleIJPjSI_NS0_16reverse_iteratorISI_EEEEENSH_IJSG_SG_SG_EEES9_SI_JZNS1_25segmented_radix_sort_implINS0_14default_configELb1EPKlPlSQ_SR_N2at6native12_GLOBAL__N_18offset_tEEE10hipError_tPvRmT1_PNSt15iterator_traitsISZ_E10value_typeET2_T3_PNS10_IS15_E10value_typeET4_jRbjT5_S1B_jjP12ihipStream_tbEUljE_ZNSN_ISO_Lb1ESQ_SR_SQ_SR_SV_EESW_SX_SY_SZ_S13_S14_S15_S18_S19_jS1A_jS1B_S1B_jjS1D_bEUljE0_EEESW_SX_SY_S15_S19_S1B_T6_T7_T9_mT8_S1D_bDpT10_ENKUlT_T0_E_clISt17integral_constantIbLb0EES1Q_IbLb1EEEEDaS1M_S1N_EUlS1M_E_NS1_11comp_targetILNS1_3genE8ELNS1_11target_archE1030ELNS1_3gpuE2ELNS1_3repE0EEENS1_30default_config_static_selectorELNS0_4arch9wavefront6targetE0EEEvSZ_ ; -- Begin function _ZN7rocprim17ROCPRIM_400000_NS6detail17trampoline_kernelINS0_13select_configILj256ELj13ELNS0_17block_load_methodE3ELS4_3ELS4_3ELNS0_20block_scan_algorithmE0ELj4294967295EEENS1_25partition_config_selectorILNS1_17partition_subalgoE4EjNS0_10empty_typeEbEEZZNS1_14partition_implILS8_4ELb0ES6_15HIP_vector_typeIjLj2EENS0_17counting_iteratorIjlEEPS9_SG_NS0_5tupleIJPjSI_NS0_16reverse_iteratorISI_EEEEENSH_IJSG_SG_SG_EEES9_SI_JZNS1_25segmented_radix_sort_implINS0_14default_configELb1EPKlPlSQ_SR_N2at6native12_GLOBAL__N_18offset_tEEE10hipError_tPvRmT1_PNSt15iterator_traitsISZ_E10value_typeET2_T3_PNS10_IS15_E10value_typeET4_jRbjT5_S1B_jjP12ihipStream_tbEUljE_ZNSN_ISO_Lb1ESQ_SR_SQ_SR_SV_EESW_SX_SY_SZ_S13_S14_S15_S18_S19_jS1A_jS1B_S1B_jjS1D_bEUljE0_EEESW_SX_SY_S15_S19_S1B_T6_T7_T9_mT8_S1D_bDpT10_ENKUlT_T0_E_clISt17integral_constantIbLb0EES1Q_IbLb1EEEEDaS1M_S1N_EUlS1M_E_NS1_11comp_targetILNS1_3genE8ELNS1_11target_archE1030ELNS1_3gpuE2ELNS1_3repE0EEENS1_30default_config_static_selectorELNS0_4arch9wavefront6targetE0EEEvSZ_
	.p2align	8
	.type	_ZN7rocprim17ROCPRIM_400000_NS6detail17trampoline_kernelINS0_13select_configILj256ELj13ELNS0_17block_load_methodE3ELS4_3ELS4_3ELNS0_20block_scan_algorithmE0ELj4294967295EEENS1_25partition_config_selectorILNS1_17partition_subalgoE4EjNS0_10empty_typeEbEEZZNS1_14partition_implILS8_4ELb0ES6_15HIP_vector_typeIjLj2EENS0_17counting_iteratorIjlEEPS9_SG_NS0_5tupleIJPjSI_NS0_16reverse_iteratorISI_EEEEENSH_IJSG_SG_SG_EEES9_SI_JZNS1_25segmented_radix_sort_implINS0_14default_configELb1EPKlPlSQ_SR_N2at6native12_GLOBAL__N_18offset_tEEE10hipError_tPvRmT1_PNSt15iterator_traitsISZ_E10value_typeET2_T3_PNS10_IS15_E10value_typeET4_jRbjT5_S1B_jjP12ihipStream_tbEUljE_ZNSN_ISO_Lb1ESQ_SR_SQ_SR_SV_EESW_SX_SY_SZ_S13_S14_S15_S18_S19_jS1A_jS1B_S1B_jjS1D_bEUljE0_EEESW_SX_SY_S15_S19_S1B_T6_T7_T9_mT8_S1D_bDpT10_ENKUlT_T0_E_clISt17integral_constantIbLb0EES1Q_IbLb1EEEEDaS1M_S1N_EUlS1M_E_NS1_11comp_targetILNS1_3genE8ELNS1_11target_archE1030ELNS1_3gpuE2ELNS1_3repE0EEENS1_30default_config_static_selectorELNS0_4arch9wavefront6targetE0EEEvSZ_,@function
_ZN7rocprim17ROCPRIM_400000_NS6detail17trampoline_kernelINS0_13select_configILj256ELj13ELNS0_17block_load_methodE3ELS4_3ELS4_3ELNS0_20block_scan_algorithmE0ELj4294967295EEENS1_25partition_config_selectorILNS1_17partition_subalgoE4EjNS0_10empty_typeEbEEZZNS1_14partition_implILS8_4ELb0ES6_15HIP_vector_typeIjLj2EENS0_17counting_iteratorIjlEEPS9_SG_NS0_5tupleIJPjSI_NS0_16reverse_iteratorISI_EEEEENSH_IJSG_SG_SG_EEES9_SI_JZNS1_25segmented_radix_sort_implINS0_14default_configELb1EPKlPlSQ_SR_N2at6native12_GLOBAL__N_18offset_tEEE10hipError_tPvRmT1_PNSt15iterator_traitsISZ_E10value_typeET2_T3_PNS10_IS15_E10value_typeET4_jRbjT5_S1B_jjP12ihipStream_tbEUljE_ZNSN_ISO_Lb1ESQ_SR_SQ_SR_SV_EESW_SX_SY_SZ_S13_S14_S15_S18_S19_jS1A_jS1B_S1B_jjS1D_bEUljE0_EEESW_SX_SY_S15_S19_S1B_T6_T7_T9_mT8_S1D_bDpT10_ENKUlT_T0_E_clISt17integral_constantIbLb0EES1Q_IbLb1EEEEDaS1M_S1N_EUlS1M_E_NS1_11comp_targetILNS1_3genE8ELNS1_11target_archE1030ELNS1_3gpuE2ELNS1_3repE0EEENS1_30default_config_static_selectorELNS0_4arch9wavefront6targetE0EEEvSZ_: ; @_ZN7rocprim17ROCPRIM_400000_NS6detail17trampoline_kernelINS0_13select_configILj256ELj13ELNS0_17block_load_methodE3ELS4_3ELS4_3ELNS0_20block_scan_algorithmE0ELj4294967295EEENS1_25partition_config_selectorILNS1_17partition_subalgoE4EjNS0_10empty_typeEbEEZZNS1_14partition_implILS8_4ELb0ES6_15HIP_vector_typeIjLj2EENS0_17counting_iteratorIjlEEPS9_SG_NS0_5tupleIJPjSI_NS0_16reverse_iteratorISI_EEEEENSH_IJSG_SG_SG_EEES9_SI_JZNS1_25segmented_radix_sort_implINS0_14default_configELb1EPKlPlSQ_SR_N2at6native12_GLOBAL__N_18offset_tEEE10hipError_tPvRmT1_PNSt15iterator_traitsISZ_E10value_typeET2_T3_PNS10_IS15_E10value_typeET4_jRbjT5_S1B_jjP12ihipStream_tbEUljE_ZNSN_ISO_Lb1ESQ_SR_SQ_SR_SV_EESW_SX_SY_SZ_S13_S14_S15_S18_S19_jS1A_jS1B_S1B_jjS1D_bEUljE0_EEESW_SX_SY_S15_S19_S1B_T6_T7_T9_mT8_S1D_bDpT10_ENKUlT_T0_E_clISt17integral_constantIbLb0EES1Q_IbLb1EEEEDaS1M_S1N_EUlS1M_E_NS1_11comp_targetILNS1_3genE8ELNS1_11target_archE1030ELNS1_3gpuE2ELNS1_3repE0EEENS1_30default_config_static_selectorELNS0_4arch9wavefront6targetE0EEEvSZ_
; %bb.0:
	.section	.rodata,"a",@progbits
	.p2align	6, 0x0
	.amdhsa_kernel _ZN7rocprim17ROCPRIM_400000_NS6detail17trampoline_kernelINS0_13select_configILj256ELj13ELNS0_17block_load_methodE3ELS4_3ELS4_3ELNS0_20block_scan_algorithmE0ELj4294967295EEENS1_25partition_config_selectorILNS1_17partition_subalgoE4EjNS0_10empty_typeEbEEZZNS1_14partition_implILS8_4ELb0ES6_15HIP_vector_typeIjLj2EENS0_17counting_iteratorIjlEEPS9_SG_NS0_5tupleIJPjSI_NS0_16reverse_iteratorISI_EEEEENSH_IJSG_SG_SG_EEES9_SI_JZNS1_25segmented_radix_sort_implINS0_14default_configELb1EPKlPlSQ_SR_N2at6native12_GLOBAL__N_18offset_tEEE10hipError_tPvRmT1_PNSt15iterator_traitsISZ_E10value_typeET2_T3_PNS10_IS15_E10value_typeET4_jRbjT5_S1B_jjP12ihipStream_tbEUljE_ZNSN_ISO_Lb1ESQ_SR_SQ_SR_SV_EESW_SX_SY_SZ_S13_S14_S15_S18_S19_jS1A_jS1B_S1B_jjS1D_bEUljE0_EEESW_SX_SY_S15_S19_S1B_T6_T7_T9_mT8_S1D_bDpT10_ENKUlT_T0_E_clISt17integral_constantIbLb0EES1Q_IbLb1EEEEDaS1M_S1N_EUlS1M_E_NS1_11comp_targetILNS1_3genE8ELNS1_11target_archE1030ELNS1_3gpuE2ELNS1_3repE0EEENS1_30default_config_static_selectorELNS0_4arch9wavefront6targetE0EEEvSZ_
		.amdhsa_group_segment_fixed_size 0
		.amdhsa_private_segment_fixed_size 0
		.amdhsa_kernarg_size 184
		.amdhsa_user_sgpr_count 2
		.amdhsa_user_sgpr_dispatch_ptr 0
		.amdhsa_user_sgpr_queue_ptr 0
		.amdhsa_user_sgpr_kernarg_segment_ptr 1
		.amdhsa_user_sgpr_dispatch_id 0
		.amdhsa_user_sgpr_kernarg_preload_length 0
		.amdhsa_user_sgpr_kernarg_preload_offset 0
		.amdhsa_user_sgpr_private_segment_size 0
		.amdhsa_wavefront_size32 1
		.amdhsa_uses_dynamic_stack 0
		.amdhsa_enable_private_segment 0
		.amdhsa_system_sgpr_workgroup_id_x 1
		.amdhsa_system_sgpr_workgroup_id_y 0
		.amdhsa_system_sgpr_workgroup_id_z 0
		.amdhsa_system_sgpr_workgroup_info 0
		.amdhsa_system_vgpr_workitem_id 0
		.amdhsa_next_free_vgpr 1
		.amdhsa_next_free_sgpr 1
		.amdhsa_named_barrier_count 0
		.amdhsa_reserve_vcc 0
		.amdhsa_float_round_mode_32 0
		.amdhsa_float_round_mode_16_64 0
		.amdhsa_float_denorm_mode_32 3
		.amdhsa_float_denorm_mode_16_64 3
		.amdhsa_fp16_overflow 0
		.amdhsa_memory_ordered 1
		.amdhsa_forward_progress 1
		.amdhsa_inst_pref_size 0
		.amdhsa_round_robin_scheduling 0
		.amdhsa_exception_fp_ieee_invalid_op 0
		.amdhsa_exception_fp_denorm_src 0
		.amdhsa_exception_fp_ieee_div_zero 0
		.amdhsa_exception_fp_ieee_overflow 0
		.amdhsa_exception_fp_ieee_underflow 0
		.amdhsa_exception_fp_ieee_inexact 0
		.amdhsa_exception_int_div_zero 0
	.end_amdhsa_kernel
	.section	.text._ZN7rocprim17ROCPRIM_400000_NS6detail17trampoline_kernelINS0_13select_configILj256ELj13ELNS0_17block_load_methodE3ELS4_3ELS4_3ELNS0_20block_scan_algorithmE0ELj4294967295EEENS1_25partition_config_selectorILNS1_17partition_subalgoE4EjNS0_10empty_typeEbEEZZNS1_14partition_implILS8_4ELb0ES6_15HIP_vector_typeIjLj2EENS0_17counting_iteratorIjlEEPS9_SG_NS0_5tupleIJPjSI_NS0_16reverse_iteratorISI_EEEEENSH_IJSG_SG_SG_EEES9_SI_JZNS1_25segmented_radix_sort_implINS0_14default_configELb1EPKlPlSQ_SR_N2at6native12_GLOBAL__N_18offset_tEEE10hipError_tPvRmT1_PNSt15iterator_traitsISZ_E10value_typeET2_T3_PNS10_IS15_E10value_typeET4_jRbjT5_S1B_jjP12ihipStream_tbEUljE_ZNSN_ISO_Lb1ESQ_SR_SQ_SR_SV_EESW_SX_SY_SZ_S13_S14_S15_S18_S19_jS1A_jS1B_S1B_jjS1D_bEUljE0_EEESW_SX_SY_S15_S19_S1B_T6_T7_T9_mT8_S1D_bDpT10_ENKUlT_T0_E_clISt17integral_constantIbLb0EES1Q_IbLb1EEEEDaS1M_S1N_EUlS1M_E_NS1_11comp_targetILNS1_3genE8ELNS1_11target_archE1030ELNS1_3gpuE2ELNS1_3repE0EEENS1_30default_config_static_selectorELNS0_4arch9wavefront6targetE0EEEvSZ_,"axG",@progbits,_ZN7rocprim17ROCPRIM_400000_NS6detail17trampoline_kernelINS0_13select_configILj256ELj13ELNS0_17block_load_methodE3ELS4_3ELS4_3ELNS0_20block_scan_algorithmE0ELj4294967295EEENS1_25partition_config_selectorILNS1_17partition_subalgoE4EjNS0_10empty_typeEbEEZZNS1_14partition_implILS8_4ELb0ES6_15HIP_vector_typeIjLj2EENS0_17counting_iteratorIjlEEPS9_SG_NS0_5tupleIJPjSI_NS0_16reverse_iteratorISI_EEEEENSH_IJSG_SG_SG_EEES9_SI_JZNS1_25segmented_radix_sort_implINS0_14default_configELb1EPKlPlSQ_SR_N2at6native12_GLOBAL__N_18offset_tEEE10hipError_tPvRmT1_PNSt15iterator_traitsISZ_E10value_typeET2_T3_PNS10_IS15_E10value_typeET4_jRbjT5_S1B_jjP12ihipStream_tbEUljE_ZNSN_ISO_Lb1ESQ_SR_SQ_SR_SV_EESW_SX_SY_SZ_S13_S14_S15_S18_S19_jS1A_jS1B_S1B_jjS1D_bEUljE0_EEESW_SX_SY_S15_S19_S1B_T6_T7_T9_mT8_S1D_bDpT10_ENKUlT_T0_E_clISt17integral_constantIbLb0EES1Q_IbLb1EEEEDaS1M_S1N_EUlS1M_E_NS1_11comp_targetILNS1_3genE8ELNS1_11target_archE1030ELNS1_3gpuE2ELNS1_3repE0EEENS1_30default_config_static_selectorELNS0_4arch9wavefront6targetE0EEEvSZ_,comdat
.Lfunc_end667:
	.size	_ZN7rocprim17ROCPRIM_400000_NS6detail17trampoline_kernelINS0_13select_configILj256ELj13ELNS0_17block_load_methodE3ELS4_3ELS4_3ELNS0_20block_scan_algorithmE0ELj4294967295EEENS1_25partition_config_selectorILNS1_17partition_subalgoE4EjNS0_10empty_typeEbEEZZNS1_14partition_implILS8_4ELb0ES6_15HIP_vector_typeIjLj2EENS0_17counting_iteratorIjlEEPS9_SG_NS0_5tupleIJPjSI_NS0_16reverse_iteratorISI_EEEEENSH_IJSG_SG_SG_EEES9_SI_JZNS1_25segmented_radix_sort_implINS0_14default_configELb1EPKlPlSQ_SR_N2at6native12_GLOBAL__N_18offset_tEEE10hipError_tPvRmT1_PNSt15iterator_traitsISZ_E10value_typeET2_T3_PNS10_IS15_E10value_typeET4_jRbjT5_S1B_jjP12ihipStream_tbEUljE_ZNSN_ISO_Lb1ESQ_SR_SQ_SR_SV_EESW_SX_SY_SZ_S13_S14_S15_S18_S19_jS1A_jS1B_S1B_jjS1D_bEUljE0_EEESW_SX_SY_S15_S19_S1B_T6_T7_T9_mT8_S1D_bDpT10_ENKUlT_T0_E_clISt17integral_constantIbLb0EES1Q_IbLb1EEEEDaS1M_S1N_EUlS1M_E_NS1_11comp_targetILNS1_3genE8ELNS1_11target_archE1030ELNS1_3gpuE2ELNS1_3repE0EEENS1_30default_config_static_selectorELNS0_4arch9wavefront6targetE0EEEvSZ_, .Lfunc_end667-_ZN7rocprim17ROCPRIM_400000_NS6detail17trampoline_kernelINS0_13select_configILj256ELj13ELNS0_17block_load_methodE3ELS4_3ELS4_3ELNS0_20block_scan_algorithmE0ELj4294967295EEENS1_25partition_config_selectorILNS1_17partition_subalgoE4EjNS0_10empty_typeEbEEZZNS1_14partition_implILS8_4ELb0ES6_15HIP_vector_typeIjLj2EENS0_17counting_iteratorIjlEEPS9_SG_NS0_5tupleIJPjSI_NS0_16reverse_iteratorISI_EEEEENSH_IJSG_SG_SG_EEES9_SI_JZNS1_25segmented_radix_sort_implINS0_14default_configELb1EPKlPlSQ_SR_N2at6native12_GLOBAL__N_18offset_tEEE10hipError_tPvRmT1_PNSt15iterator_traitsISZ_E10value_typeET2_T3_PNS10_IS15_E10value_typeET4_jRbjT5_S1B_jjP12ihipStream_tbEUljE_ZNSN_ISO_Lb1ESQ_SR_SQ_SR_SV_EESW_SX_SY_SZ_S13_S14_S15_S18_S19_jS1A_jS1B_S1B_jjS1D_bEUljE0_EEESW_SX_SY_S15_S19_S1B_T6_T7_T9_mT8_S1D_bDpT10_ENKUlT_T0_E_clISt17integral_constantIbLb0EES1Q_IbLb1EEEEDaS1M_S1N_EUlS1M_E_NS1_11comp_targetILNS1_3genE8ELNS1_11target_archE1030ELNS1_3gpuE2ELNS1_3repE0EEENS1_30default_config_static_selectorELNS0_4arch9wavefront6targetE0EEEvSZ_
                                        ; -- End function
	.set _ZN7rocprim17ROCPRIM_400000_NS6detail17trampoline_kernelINS0_13select_configILj256ELj13ELNS0_17block_load_methodE3ELS4_3ELS4_3ELNS0_20block_scan_algorithmE0ELj4294967295EEENS1_25partition_config_selectorILNS1_17partition_subalgoE4EjNS0_10empty_typeEbEEZZNS1_14partition_implILS8_4ELb0ES6_15HIP_vector_typeIjLj2EENS0_17counting_iteratorIjlEEPS9_SG_NS0_5tupleIJPjSI_NS0_16reverse_iteratorISI_EEEEENSH_IJSG_SG_SG_EEES9_SI_JZNS1_25segmented_radix_sort_implINS0_14default_configELb1EPKlPlSQ_SR_N2at6native12_GLOBAL__N_18offset_tEEE10hipError_tPvRmT1_PNSt15iterator_traitsISZ_E10value_typeET2_T3_PNS10_IS15_E10value_typeET4_jRbjT5_S1B_jjP12ihipStream_tbEUljE_ZNSN_ISO_Lb1ESQ_SR_SQ_SR_SV_EESW_SX_SY_SZ_S13_S14_S15_S18_S19_jS1A_jS1B_S1B_jjS1D_bEUljE0_EEESW_SX_SY_S15_S19_S1B_T6_T7_T9_mT8_S1D_bDpT10_ENKUlT_T0_E_clISt17integral_constantIbLb0EES1Q_IbLb1EEEEDaS1M_S1N_EUlS1M_E_NS1_11comp_targetILNS1_3genE8ELNS1_11target_archE1030ELNS1_3gpuE2ELNS1_3repE0EEENS1_30default_config_static_selectorELNS0_4arch9wavefront6targetE0EEEvSZ_.num_vgpr, 0
	.set _ZN7rocprim17ROCPRIM_400000_NS6detail17trampoline_kernelINS0_13select_configILj256ELj13ELNS0_17block_load_methodE3ELS4_3ELS4_3ELNS0_20block_scan_algorithmE0ELj4294967295EEENS1_25partition_config_selectorILNS1_17partition_subalgoE4EjNS0_10empty_typeEbEEZZNS1_14partition_implILS8_4ELb0ES6_15HIP_vector_typeIjLj2EENS0_17counting_iteratorIjlEEPS9_SG_NS0_5tupleIJPjSI_NS0_16reverse_iteratorISI_EEEEENSH_IJSG_SG_SG_EEES9_SI_JZNS1_25segmented_radix_sort_implINS0_14default_configELb1EPKlPlSQ_SR_N2at6native12_GLOBAL__N_18offset_tEEE10hipError_tPvRmT1_PNSt15iterator_traitsISZ_E10value_typeET2_T3_PNS10_IS15_E10value_typeET4_jRbjT5_S1B_jjP12ihipStream_tbEUljE_ZNSN_ISO_Lb1ESQ_SR_SQ_SR_SV_EESW_SX_SY_SZ_S13_S14_S15_S18_S19_jS1A_jS1B_S1B_jjS1D_bEUljE0_EEESW_SX_SY_S15_S19_S1B_T6_T7_T9_mT8_S1D_bDpT10_ENKUlT_T0_E_clISt17integral_constantIbLb0EES1Q_IbLb1EEEEDaS1M_S1N_EUlS1M_E_NS1_11comp_targetILNS1_3genE8ELNS1_11target_archE1030ELNS1_3gpuE2ELNS1_3repE0EEENS1_30default_config_static_selectorELNS0_4arch9wavefront6targetE0EEEvSZ_.num_agpr, 0
	.set _ZN7rocprim17ROCPRIM_400000_NS6detail17trampoline_kernelINS0_13select_configILj256ELj13ELNS0_17block_load_methodE3ELS4_3ELS4_3ELNS0_20block_scan_algorithmE0ELj4294967295EEENS1_25partition_config_selectorILNS1_17partition_subalgoE4EjNS0_10empty_typeEbEEZZNS1_14partition_implILS8_4ELb0ES6_15HIP_vector_typeIjLj2EENS0_17counting_iteratorIjlEEPS9_SG_NS0_5tupleIJPjSI_NS0_16reverse_iteratorISI_EEEEENSH_IJSG_SG_SG_EEES9_SI_JZNS1_25segmented_radix_sort_implINS0_14default_configELb1EPKlPlSQ_SR_N2at6native12_GLOBAL__N_18offset_tEEE10hipError_tPvRmT1_PNSt15iterator_traitsISZ_E10value_typeET2_T3_PNS10_IS15_E10value_typeET4_jRbjT5_S1B_jjP12ihipStream_tbEUljE_ZNSN_ISO_Lb1ESQ_SR_SQ_SR_SV_EESW_SX_SY_SZ_S13_S14_S15_S18_S19_jS1A_jS1B_S1B_jjS1D_bEUljE0_EEESW_SX_SY_S15_S19_S1B_T6_T7_T9_mT8_S1D_bDpT10_ENKUlT_T0_E_clISt17integral_constantIbLb0EES1Q_IbLb1EEEEDaS1M_S1N_EUlS1M_E_NS1_11comp_targetILNS1_3genE8ELNS1_11target_archE1030ELNS1_3gpuE2ELNS1_3repE0EEENS1_30default_config_static_selectorELNS0_4arch9wavefront6targetE0EEEvSZ_.numbered_sgpr, 0
	.set _ZN7rocprim17ROCPRIM_400000_NS6detail17trampoline_kernelINS0_13select_configILj256ELj13ELNS0_17block_load_methodE3ELS4_3ELS4_3ELNS0_20block_scan_algorithmE0ELj4294967295EEENS1_25partition_config_selectorILNS1_17partition_subalgoE4EjNS0_10empty_typeEbEEZZNS1_14partition_implILS8_4ELb0ES6_15HIP_vector_typeIjLj2EENS0_17counting_iteratorIjlEEPS9_SG_NS0_5tupleIJPjSI_NS0_16reverse_iteratorISI_EEEEENSH_IJSG_SG_SG_EEES9_SI_JZNS1_25segmented_radix_sort_implINS0_14default_configELb1EPKlPlSQ_SR_N2at6native12_GLOBAL__N_18offset_tEEE10hipError_tPvRmT1_PNSt15iterator_traitsISZ_E10value_typeET2_T3_PNS10_IS15_E10value_typeET4_jRbjT5_S1B_jjP12ihipStream_tbEUljE_ZNSN_ISO_Lb1ESQ_SR_SQ_SR_SV_EESW_SX_SY_SZ_S13_S14_S15_S18_S19_jS1A_jS1B_S1B_jjS1D_bEUljE0_EEESW_SX_SY_S15_S19_S1B_T6_T7_T9_mT8_S1D_bDpT10_ENKUlT_T0_E_clISt17integral_constantIbLb0EES1Q_IbLb1EEEEDaS1M_S1N_EUlS1M_E_NS1_11comp_targetILNS1_3genE8ELNS1_11target_archE1030ELNS1_3gpuE2ELNS1_3repE0EEENS1_30default_config_static_selectorELNS0_4arch9wavefront6targetE0EEEvSZ_.num_named_barrier, 0
	.set _ZN7rocprim17ROCPRIM_400000_NS6detail17trampoline_kernelINS0_13select_configILj256ELj13ELNS0_17block_load_methodE3ELS4_3ELS4_3ELNS0_20block_scan_algorithmE0ELj4294967295EEENS1_25partition_config_selectorILNS1_17partition_subalgoE4EjNS0_10empty_typeEbEEZZNS1_14partition_implILS8_4ELb0ES6_15HIP_vector_typeIjLj2EENS0_17counting_iteratorIjlEEPS9_SG_NS0_5tupleIJPjSI_NS0_16reverse_iteratorISI_EEEEENSH_IJSG_SG_SG_EEES9_SI_JZNS1_25segmented_radix_sort_implINS0_14default_configELb1EPKlPlSQ_SR_N2at6native12_GLOBAL__N_18offset_tEEE10hipError_tPvRmT1_PNSt15iterator_traitsISZ_E10value_typeET2_T3_PNS10_IS15_E10value_typeET4_jRbjT5_S1B_jjP12ihipStream_tbEUljE_ZNSN_ISO_Lb1ESQ_SR_SQ_SR_SV_EESW_SX_SY_SZ_S13_S14_S15_S18_S19_jS1A_jS1B_S1B_jjS1D_bEUljE0_EEESW_SX_SY_S15_S19_S1B_T6_T7_T9_mT8_S1D_bDpT10_ENKUlT_T0_E_clISt17integral_constantIbLb0EES1Q_IbLb1EEEEDaS1M_S1N_EUlS1M_E_NS1_11comp_targetILNS1_3genE8ELNS1_11target_archE1030ELNS1_3gpuE2ELNS1_3repE0EEENS1_30default_config_static_selectorELNS0_4arch9wavefront6targetE0EEEvSZ_.private_seg_size, 0
	.set _ZN7rocprim17ROCPRIM_400000_NS6detail17trampoline_kernelINS0_13select_configILj256ELj13ELNS0_17block_load_methodE3ELS4_3ELS4_3ELNS0_20block_scan_algorithmE0ELj4294967295EEENS1_25partition_config_selectorILNS1_17partition_subalgoE4EjNS0_10empty_typeEbEEZZNS1_14partition_implILS8_4ELb0ES6_15HIP_vector_typeIjLj2EENS0_17counting_iteratorIjlEEPS9_SG_NS0_5tupleIJPjSI_NS0_16reverse_iteratorISI_EEEEENSH_IJSG_SG_SG_EEES9_SI_JZNS1_25segmented_radix_sort_implINS0_14default_configELb1EPKlPlSQ_SR_N2at6native12_GLOBAL__N_18offset_tEEE10hipError_tPvRmT1_PNSt15iterator_traitsISZ_E10value_typeET2_T3_PNS10_IS15_E10value_typeET4_jRbjT5_S1B_jjP12ihipStream_tbEUljE_ZNSN_ISO_Lb1ESQ_SR_SQ_SR_SV_EESW_SX_SY_SZ_S13_S14_S15_S18_S19_jS1A_jS1B_S1B_jjS1D_bEUljE0_EEESW_SX_SY_S15_S19_S1B_T6_T7_T9_mT8_S1D_bDpT10_ENKUlT_T0_E_clISt17integral_constantIbLb0EES1Q_IbLb1EEEEDaS1M_S1N_EUlS1M_E_NS1_11comp_targetILNS1_3genE8ELNS1_11target_archE1030ELNS1_3gpuE2ELNS1_3repE0EEENS1_30default_config_static_selectorELNS0_4arch9wavefront6targetE0EEEvSZ_.uses_vcc, 0
	.set _ZN7rocprim17ROCPRIM_400000_NS6detail17trampoline_kernelINS0_13select_configILj256ELj13ELNS0_17block_load_methodE3ELS4_3ELS4_3ELNS0_20block_scan_algorithmE0ELj4294967295EEENS1_25partition_config_selectorILNS1_17partition_subalgoE4EjNS0_10empty_typeEbEEZZNS1_14partition_implILS8_4ELb0ES6_15HIP_vector_typeIjLj2EENS0_17counting_iteratorIjlEEPS9_SG_NS0_5tupleIJPjSI_NS0_16reverse_iteratorISI_EEEEENSH_IJSG_SG_SG_EEES9_SI_JZNS1_25segmented_radix_sort_implINS0_14default_configELb1EPKlPlSQ_SR_N2at6native12_GLOBAL__N_18offset_tEEE10hipError_tPvRmT1_PNSt15iterator_traitsISZ_E10value_typeET2_T3_PNS10_IS15_E10value_typeET4_jRbjT5_S1B_jjP12ihipStream_tbEUljE_ZNSN_ISO_Lb1ESQ_SR_SQ_SR_SV_EESW_SX_SY_SZ_S13_S14_S15_S18_S19_jS1A_jS1B_S1B_jjS1D_bEUljE0_EEESW_SX_SY_S15_S19_S1B_T6_T7_T9_mT8_S1D_bDpT10_ENKUlT_T0_E_clISt17integral_constantIbLb0EES1Q_IbLb1EEEEDaS1M_S1N_EUlS1M_E_NS1_11comp_targetILNS1_3genE8ELNS1_11target_archE1030ELNS1_3gpuE2ELNS1_3repE0EEENS1_30default_config_static_selectorELNS0_4arch9wavefront6targetE0EEEvSZ_.uses_flat_scratch, 0
	.set _ZN7rocprim17ROCPRIM_400000_NS6detail17trampoline_kernelINS0_13select_configILj256ELj13ELNS0_17block_load_methodE3ELS4_3ELS4_3ELNS0_20block_scan_algorithmE0ELj4294967295EEENS1_25partition_config_selectorILNS1_17partition_subalgoE4EjNS0_10empty_typeEbEEZZNS1_14partition_implILS8_4ELb0ES6_15HIP_vector_typeIjLj2EENS0_17counting_iteratorIjlEEPS9_SG_NS0_5tupleIJPjSI_NS0_16reverse_iteratorISI_EEEEENSH_IJSG_SG_SG_EEES9_SI_JZNS1_25segmented_radix_sort_implINS0_14default_configELb1EPKlPlSQ_SR_N2at6native12_GLOBAL__N_18offset_tEEE10hipError_tPvRmT1_PNSt15iterator_traitsISZ_E10value_typeET2_T3_PNS10_IS15_E10value_typeET4_jRbjT5_S1B_jjP12ihipStream_tbEUljE_ZNSN_ISO_Lb1ESQ_SR_SQ_SR_SV_EESW_SX_SY_SZ_S13_S14_S15_S18_S19_jS1A_jS1B_S1B_jjS1D_bEUljE0_EEESW_SX_SY_S15_S19_S1B_T6_T7_T9_mT8_S1D_bDpT10_ENKUlT_T0_E_clISt17integral_constantIbLb0EES1Q_IbLb1EEEEDaS1M_S1N_EUlS1M_E_NS1_11comp_targetILNS1_3genE8ELNS1_11target_archE1030ELNS1_3gpuE2ELNS1_3repE0EEENS1_30default_config_static_selectorELNS0_4arch9wavefront6targetE0EEEvSZ_.has_dyn_sized_stack, 0
	.set _ZN7rocprim17ROCPRIM_400000_NS6detail17trampoline_kernelINS0_13select_configILj256ELj13ELNS0_17block_load_methodE3ELS4_3ELS4_3ELNS0_20block_scan_algorithmE0ELj4294967295EEENS1_25partition_config_selectorILNS1_17partition_subalgoE4EjNS0_10empty_typeEbEEZZNS1_14partition_implILS8_4ELb0ES6_15HIP_vector_typeIjLj2EENS0_17counting_iteratorIjlEEPS9_SG_NS0_5tupleIJPjSI_NS0_16reverse_iteratorISI_EEEEENSH_IJSG_SG_SG_EEES9_SI_JZNS1_25segmented_radix_sort_implINS0_14default_configELb1EPKlPlSQ_SR_N2at6native12_GLOBAL__N_18offset_tEEE10hipError_tPvRmT1_PNSt15iterator_traitsISZ_E10value_typeET2_T3_PNS10_IS15_E10value_typeET4_jRbjT5_S1B_jjP12ihipStream_tbEUljE_ZNSN_ISO_Lb1ESQ_SR_SQ_SR_SV_EESW_SX_SY_SZ_S13_S14_S15_S18_S19_jS1A_jS1B_S1B_jjS1D_bEUljE0_EEESW_SX_SY_S15_S19_S1B_T6_T7_T9_mT8_S1D_bDpT10_ENKUlT_T0_E_clISt17integral_constantIbLb0EES1Q_IbLb1EEEEDaS1M_S1N_EUlS1M_E_NS1_11comp_targetILNS1_3genE8ELNS1_11target_archE1030ELNS1_3gpuE2ELNS1_3repE0EEENS1_30default_config_static_selectorELNS0_4arch9wavefront6targetE0EEEvSZ_.has_recursion, 0
	.set _ZN7rocprim17ROCPRIM_400000_NS6detail17trampoline_kernelINS0_13select_configILj256ELj13ELNS0_17block_load_methodE3ELS4_3ELS4_3ELNS0_20block_scan_algorithmE0ELj4294967295EEENS1_25partition_config_selectorILNS1_17partition_subalgoE4EjNS0_10empty_typeEbEEZZNS1_14partition_implILS8_4ELb0ES6_15HIP_vector_typeIjLj2EENS0_17counting_iteratorIjlEEPS9_SG_NS0_5tupleIJPjSI_NS0_16reverse_iteratorISI_EEEEENSH_IJSG_SG_SG_EEES9_SI_JZNS1_25segmented_radix_sort_implINS0_14default_configELb1EPKlPlSQ_SR_N2at6native12_GLOBAL__N_18offset_tEEE10hipError_tPvRmT1_PNSt15iterator_traitsISZ_E10value_typeET2_T3_PNS10_IS15_E10value_typeET4_jRbjT5_S1B_jjP12ihipStream_tbEUljE_ZNSN_ISO_Lb1ESQ_SR_SQ_SR_SV_EESW_SX_SY_SZ_S13_S14_S15_S18_S19_jS1A_jS1B_S1B_jjS1D_bEUljE0_EEESW_SX_SY_S15_S19_S1B_T6_T7_T9_mT8_S1D_bDpT10_ENKUlT_T0_E_clISt17integral_constantIbLb0EES1Q_IbLb1EEEEDaS1M_S1N_EUlS1M_E_NS1_11comp_targetILNS1_3genE8ELNS1_11target_archE1030ELNS1_3gpuE2ELNS1_3repE0EEENS1_30default_config_static_selectorELNS0_4arch9wavefront6targetE0EEEvSZ_.has_indirect_call, 0
	.section	.AMDGPU.csdata,"",@progbits
; Kernel info:
; codeLenInByte = 0
; TotalNumSgprs: 0
; NumVgprs: 0
; ScratchSize: 0
; MemoryBound: 0
; FloatMode: 240
; IeeeMode: 1
; LDSByteSize: 0 bytes/workgroup (compile time only)
; SGPRBlocks: 0
; VGPRBlocks: 0
; NumSGPRsForWavesPerEU: 1
; NumVGPRsForWavesPerEU: 1
; NamedBarCnt: 0
; Occupancy: 16
; WaveLimiterHint : 0
; COMPUTE_PGM_RSRC2:SCRATCH_EN: 0
; COMPUTE_PGM_RSRC2:USER_SGPR: 2
; COMPUTE_PGM_RSRC2:TRAP_HANDLER: 0
; COMPUTE_PGM_RSRC2:TGID_X_EN: 1
; COMPUTE_PGM_RSRC2:TGID_Y_EN: 0
; COMPUTE_PGM_RSRC2:TGID_Z_EN: 0
; COMPUTE_PGM_RSRC2:TIDIG_COMP_CNT: 0
	.section	.text._ZN7rocprim17ROCPRIM_400000_NS6detail17trampoline_kernelINS0_13select_configILj256ELj13ELNS0_17block_load_methodE3ELS4_3ELS4_3ELNS0_20block_scan_algorithmE0ELj4294967295EEENS1_25partition_config_selectorILNS1_17partition_subalgoE3EjNS0_10empty_typeEbEEZZNS1_14partition_implILS8_3ELb0ES6_jNS0_17counting_iteratorIjlEEPS9_SE_NS0_5tupleIJPjSE_EEENSF_IJSE_SE_EEES9_SG_JZNS1_25segmented_radix_sort_implINS0_14default_configELb1EPKlPlSM_SN_N2at6native12_GLOBAL__N_18offset_tEEE10hipError_tPvRmT1_PNSt15iterator_traitsISV_E10value_typeET2_T3_PNSW_IS11_E10value_typeET4_jRbjT5_S17_jjP12ihipStream_tbEUljE_EEESS_ST_SU_S11_S15_S17_T6_T7_T9_mT8_S19_bDpT10_ENKUlT_T0_E_clISt17integral_constantIbLb0EES1M_EEDaS1H_S1I_EUlS1H_E_NS1_11comp_targetILNS1_3genE0ELNS1_11target_archE4294967295ELNS1_3gpuE0ELNS1_3repE0EEENS1_30default_config_static_selectorELNS0_4arch9wavefront6targetE0EEEvSV_,"axG",@progbits,_ZN7rocprim17ROCPRIM_400000_NS6detail17trampoline_kernelINS0_13select_configILj256ELj13ELNS0_17block_load_methodE3ELS4_3ELS4_3ELNS0_20block_scan_algorithmE0ELj4294967295EEENS1_25partition_config_selectorILNS1_17partition_subalgoE3EjNS0_10empty_typeEbEEZZNS1_14partition_implILS8_3ELb0ES6_jNS0_17counting_iteratorIjlEEPS9_SE_NS0_5tupleIJPjSE_EEENSF_IJSE_SE_EEES9_SG_JZNS1_25segmented_radix_sort_implINS0_14default_configELb1EPKlPlSM_SN_N2at6native12_GLOBAL__N_18offset_tEEE10hipError_tPvRmT1_PNSt15iterator_traitsISV_E10value_typeET2_T3_PNSW_IS11_E10value_typeET4_jRbjT5_S17_jjP12ihipStream_tbEUljE_EEESS_ST_SU_S11_S15_S17_T6_T7_T9_mT8_S19_bDpT10_ENKUlT_T0_E_clISt17integral_constantIbLb0EES1M_EEDaS1H_S1I_EUlS1H_E_NS1_11comp_targetILNS1_3genE0ELNS1_11target_archE4294967295ELNS1_3gpuE0ELNS1_3repE0EEENS1_30default_config_static_selectorELNS0_4arch9wavefront6targetE0EEEvSV_,comdat
	.globl	_ZN7rocprim17ROCPRIM_400000_NS6detail17trampoline_kernelINS0_13select_configILj256ELj13ELNS0_17block_load_methodE3ELS4_3ELS4_3ELNS0_20block_scan_algorithmE0ELj4294967295EEENS1_25partition_config_selectorILNS1_17partition_subalgoE3EjNS0_10empty_typeEbEEZZNS1_14partition_implILS8_3ELb0ES6_jNS0_17counting_iteratorIjlEEPS9_SE_NS0_5tupleIJPjSE_EEENSF_IJSE_SE_EEES9_SG_JZNS1_25segmented_radix_sort_implINS0_14default_configELb1EPKlPlSM_SN_N2at6native12_GLOBAL__N_18offset_tEEE10hipError_tPvRmT1_PNSt15iterator_traitsISV_E10value_typeET2_T3_PNSW_IS11_E10value_typeET4_jRbjT5_S17_jjP12ihipStream_tbEUljE_EEESS_ST_SU_S11_S15_S17_T6_T7_T9_mT8_S19_bDpT10_ENKUlT_T0_E_clISt17integral_constantIbLb0EES1M_EEDaS1H_S1I_EUlS1H_E_NS1_11comp_targetILNS1_3genE0ELNS1_11target_archE4294967295ELNS1_3gpuE0ELNS1_3repE0EEENS1_30default_config_static_selectorELNS0_4arch9wavefront6targetE0EEEvSV_ ; -- Begin function _ZN7rocprim17ROCPRIM_400000_NS6detail17trampoline_kernelINS0_13select_configILj256ELj13ELNS0_17block_load_methodE3ELS4_3ELS4_3ELNS0_20block_scan_algorithmE0ELj4294967295EEENS1_25partition_config_selectorILNS1_17partition_subalgoE3EjNS0_10empty_typeEbEEZZNS1_14partition_implILS8_3ELb0ES6_jNS0_17counting_iteratorIjlEEPS9_SE_NS0_5tupleIJPjSE_EEENSF_IJSE_SE_EEES9_SG_JZNS1_25segmented_radix_sort_implINS0_14default_configELb1EPKlPlSM_SN_N2at6native12_GLOBAL__N_18offset_tEEE10hipError_tPvRmT1_PNSt15iterator_traitsISV_E10value_typeET2_T3_PNSW_IS11_E10value_typeET4_jRbjT5_S17_jjP12ihipStream_tbEUljE_EEESS_ST_SU_S11_S15_S17_T6_T7_T9_mT8_S19_bDpT10_ENKUlT_T0_E_clISt17integral_constantIbLb0EES1M_EEDaS1H_S1I_EUlS1H_E_NS1_11comp_targetILNS1_3genE0ELNS1_11target_archE4294967295ELNS1_3gpuE0ELNS1_3repE0EEENS1_30default_config_static_selectorELNS0_4arch9wavefront6targetE0EEEvSV_
	.p2align	8
	.type	_ZN7rocprim17ROCPRIM_400000_NS6detail17trampoline_kernelINS0_13select_configILj256ELj13ELNS0_17block_load_methodE3ELS4_3ELS4_3ELNS0_20block_scan_algorithmE0ELj4294967295EEENS1_25partition_config_selectorILNS1_17partition_subalgoE3EjNS0_10empty_typeEbEEZZNS1_14partition_implILS8_3ELb0ES6_jNS0_17counting_iteratorIjlEEPS9_SE_NS0_5tupleIJPjSE_EEENSF_IJSE_SE_EEES9_SG_JZNS1_25segmented_radix_sort_implINS0_14default_configELb1EPKlPlSM_SN_N2at6native12_GLOBAL__N_18offset_tEEE10hipError_tPvRmT1_PNSt15iterator_traitsISV_E10value_typeET2_T3_PNSW_IS11_E10value_typeET4_jRbjT5_S17_jjP12ihipStream_tbEUljE_EEESS_ST_SU_S11_S15_S17_T6_T7_T9_mT8_S19_bDpT10_ENKUlT_T0_E_clISt17integral_constantIbLb0EES1M_EEDaS1H_S1I_EUlS1H_E_NS1_11comp_targetILNS1_3genE0ELNS1_11target_archE4294967295ELNS1_3gpuE0ELNS1_3repE0EEENS1_30default_config_static_selectorELNS0_4arch9wavefront6targetE0EEEvSV_,@function
_ZN7rocprim17ROCPRIM_400000_NS6detail17trampoline_kernelINS0_13select_configILj256ELj13ELNS0_17block_load_methodE3ELS4_3ELS4_3ELNS0_20block_scan_algorithmE0ELj4294967295EEENS1_25partition_config_selectorILNS1_17partition_subalgoE3EjNS0_10empty_typeEbEEZZNS1_14partition_implILS8_3ELb0ES6_jNS0_17counting_iteratorIjlEEPS9_SE_NS0_5tupleIJPjSE_EEENSF_IJSE_SE_EEES9_SG_JZNS1_25segmented_radix_sort_implINS0_14default_configELb1EPKlPlSM_SN_N2at6native12_GLOBAL__N_18offset_tEEE10hipError_tPvRmT1_PNSt15iterator_traitsISV_E10value_typeET2_T3_PNSW_IS11_E10value_typeET4_jRbjT5_S17_jjP12ihipStream_tbEUljE_EEESS_ST_SU_S11_S15_S17_T6_T7_T9_mT8_S19_bDpT10_ENKUlT_T0_E_clISt17integral_constantIbLb0EES1M_EEDaS1H_S1I_EUlS1H_E_NS1_11comp_targetILNS1_3genE0ELNS1_11target_archE4294967295ELNS1_3gpuE0ELNS1_3repE0EEENS1_30default_config_static_selectorELNS0_4arch9wavefront6targetE0EEEvSV_: ; @_ZN7rocprim17ROCPRIM_400000_NS6detail17trampoline_kernelINS0_13select_configILj256ELj13ELNS0_17block_load_methodE3ELS4_3ELS4_3ELNS0_20block_scan_algorithmE0ELj4294967295EEENS1_25partition_config_selectorILNS1_17partition_subalgoE3EjNS0_10empty_typeEbEEZZNS1_14partition_implILS8_3ELb0ES6_jNS0_17counting_iteratorIjlEEPS9_SE_NS0_5tupleIJPjSE_EEENSF_IJSE_SE_EEES9_SG_JZNS1_25segmented_radix_sort_implINS0_14default_configELb1EPKlPlSM_SN_N2at6native12_GLOBAL__N_18offset_tEEE10hipError_tPvRmT1_PNSt15iterator_traitsISV_E10value_typeET2_T3_PNSW_IS11_E10value_typeET4_jRbjT5_S17_jjP12ihipStream_tbEUljE_EEESS_ST_SU_S11_S15_S17_T6_T7_T9_mT8_S19_bDpT10_ENKUlT_T0_E_clISt17integral_constantIbLb0EES1M_EEDaS1H_S1I_EUlS1H_E_NS1_11comp_targetILNS1_3genE0ELNS1_11target_archE4294967295ELNS1_3gpuE0ELNS1_3repE0EEENS1_30default_config_static_selectorELNS0_4arch9wavefront6targetE0EEEvSV_
; %bb.0:
	s_clause 0x4
	s_load_b128 s[8:11], s[0:1], 0x48
	s_load_b32 s2, s[0:1], 0x70
	s_load_b64 s[12:13], s[0:1], 0x10
	s_load_b64 s[14:15], s[0:1], 0x58
	s_load_b32 s20, s[0:1], 0x8
	s_bfe_u32 s3, ttmp6, 0x4000c
	s_and_b32 s4, ttmp6, 15
	s_add_co_i32 s3, s3, 1
	s_getreg_b32 s5, hwreg(HW_REG_IB_STS2, 6, 4)
	s_mul_i32 s3, ttmp9, s3
	s_mov_b32 s17, 0
	s_add_co_i32 s16, s4, s3
	s_cmp_eq_u32 s5, 0
	s_clause 0x1
	s_load_b32 s3, s[0:1], 0x88
	s_load_b128 s[4:7], s[0:1], 0x78
	s_cselect_b32 s24, ttmp9, s16
	v_lshlrev_b32_e32 v19, 2, v0
	s_wait_kmcnt 0x0
	s_load_b64 s[18:19], s[10:11], 0x0
	s_mul_i32 s16, s2, 0xd00
	s_add_co_i32 s2, s2, -1
	s_add_co_i32 s21, s16, s12
	s_wait_xcnt 0x0
	s_add_nc_u64 s[10:11], s[12:13], s[16:17]
	s_sub_co_i32 s23, s14, s21
	v_cmp_gt_u64_e64 s11, s[14:15], s[10:11]
	s_addk_co_i32 s23, 0xd00
	s_cmp_eq_u32 s24, s2
	s_mul_i32 s10, s24, 0xd00
	s_cselect_b32 s22, -1, 0
	s_cmp_lg_u32 s24, s2
	s_mov_b32 s17, -1
	s_cselect_b32 s2, -1, 0
	s_add_co_i32 s16, s20, s10
	s_or_b32 s11, s2, s11
	s_add_co_i32 s16, s16, s12
	s_and_b32 vcc_lo, exec_lo, s11
	v_add_nc_u32_e32 v1, s16, v0
	s_cbranch_vccz .LBB668_2
; %bb.1:
	s_delay_alu instid0(VALU_DEP_1)
	v_add_nc_u32_e32 v2, 0x100, v1
	v_add_nc_u32_e32 v3, 0x200, v1
	;; [unrolled: 1-line block ×12, first 2 shown]
	ds_store_2addr_stride64_b32 v19, v1, v2 offset1:4
	ds_store_2addr_stride64_b32 v19, v3, v4 offset0:8 offset1:12
	ds_store_2addr_stride64_b32 v19, v5, v6 offset0:16 offset1:20
	;; [unrolled: 1-line block ×5, first 2 shown]
	ds_store_b32 v19, v13 offset:12288
	s_wait_dscnt 0x0
	s_barrier_signal -1
	s_mov_b32 s17, 0
	s_barrier_wait -1
.LBB668_2:
	v_cmp_gt_u32_e64 s2, s23, v0
	v_or_b32_e32 v40, 0x100, v0
	v_or_b32_e32 v38, 0x200, v0
	;; [unrolled: 1-line block ×12, first 2 shown]
	s_and_not1_b32 vcc_lo, exec_lo, s17
	s_cbranch_vccnz .LBB668_4
; %bb.3:
	v_dual_add_nc_u32 v2, s16, v40 :: v_dual_cndmask_b32 v1, 0, v1, s2
	v_cmp_gt_u32_e32 vcc_lo, s23, v40
	v_dual_add_nc_u32 v3, s16, v38 :: v_dual_add_nc_u32 v4, s16, v36
	v_dual_add_nc_u32 v7, s16, v30 :: v_dual_add_nc_u32 v8, s16, v28
	s_delay_alu instid0(VALU_DEP_4)
	v_cndmask_b32_e32 v2, 0, v2, vcc_lo
	v_cmp_gt_u32_e32 vcc_lo, s23, v38
	v_dual_add_nc_u32 v11, s16, v22 :: v_dual_add_nc_u32 v12, s16, v20
	v_cndmask_b32_e32 v3, 0, v3, vcc_lo
	v_cmp_gt_u32_e32 vcc_lo, s23, v36
	v_dual_cndmask_b32 v4, 0, v4 :: v_dual_add_nc_u32 v5, s16, v34
	v_cmp_gt_u32_e32 vcc_lo, s23, v34
	s_delay_alu instid0(VALU_DEP_2) | instskip(SKIP_1) | instid1(VALU_DEP_2)
	v_dual_cndmask_b32 v5, 0, v5 :: v_dual_add_nc_u32 v6, s16, v32
	v_cmp_gt_u32_e32 vcc_lo, s23, v32
	v_cndmask_b32_e32 v6, 0, v6, vcc_lo
	v_cmp_gt_u32_e32 vcc_lo, s23, v30
	v_cndmask_b32_e32 v7, 0, v7, vcc_lo
	v_cmp_gt_u32_e32 vcc_lo, s23, v28
	v_dual_cndmask_b32 v8, 0, v8 :: v_dual_add_nc_u32 v9, s16, v26
	v_cmp_gt_u32_e32 vcc_lo, s23, v26
	s_delay_alu instid0(VALU_DEP_2) | instskip(SKIP_1) | instid1(VALU_DEP_2)
	v_dual_cndmask_b32 v9, 0, v9 :: v_dual_add_nc_u32 v10, s16, v24
	v_cmp_gt_u32_e32 vcc_lo, s23, v24
	v_cndmask_b32_e32 v10, 0, v10, vcc_lo
	v_cmp_gt_u32_e32 vcc_lo, s23, v22
	v_cndmask_b32_e32 v11, 0, v11, vcc_lo
	v_cmp_gt_u32_e32 vcc_lo, s23, v20
	v_dual_cndmask_b32 v12, 0, v12 :: v_dual_add_nc_u32 v13, s16, v18
	v_cmp_gt_u32_e32 vcc_lo, s23, v18
	s_delay_alu instid0(VALU_DEP_2)
	v_cndmask_b32_e32 v13, 0, v13, vcc_lo
	ds_store_2addr_stride64_b32 v19, v1, v2 offset1:4
	ds_store_2addr_stride64_b32 v19, v3, v4 offset0:8 offset1:12
	ds_store_2addr_stride64_b32 v19, v5, v6 offset0:16 offset1:20
	;; [unrolled: 1-line block ×5, first 2 shown]
	ds_store_b32 v19, v13 offset:12288
	s_wait_dscnt 0x0
	s_barrier_signal -1
	s_barrier_wait -1
.LBB668_4:
	v_mul_u32_u24_e32 v23, 13, v0
	v_cndmask_b32_e64 v21, 0, 1, s11
	s_and_not1_b32 vcc_lo, exec_lo, s11
	s_delay_alu instid0(VALU_DEP_2)
	v_lshlrev_b32_e32 v2, 2, v23
	ds_load_2addr_b32 v[50:51], v2 offset0:2 offset1:3
	ds_load_2addr_b32 v[46:47], v2 offset0:6 offset1:7
	;; [unrolled: 1-line block ×3, first 2 shown]
	ds_load_2addr_b32 v[52:53], v2 offset1:1
	ds_load_2addr_b32 v[42:43], v2 offset0:10 offset1:11
	ds_load_b32 v1, v2 offset:48
	ds_load_2addr_b32 v[44:45], v2 offset0:8 offset1:9
	s_wait_dscnt 0x0
	s_barrier_signal -1
	s_barrier_wait -1
	s_cbranch_vccnz .LBB668_6
; %bb.5:
	v_dual_add_nc_u32 v2, s5, v51 :: v_dual_add_nc_u32 v3, s5, v53
	v_dual_add_nc_u32 v4, s5, v52 :: v_dual_add_nc_u32 v5, s5, v50
	;; [unrolled: 1-line block ×4, first 2 shown]
	s_delay_alu instid0(VALU_DEP_3) | instskip(NEXT) | instid1(VALU_DEP_4)
	v_mul_lo_u32 v5, v5, s4
	v_mul_lo_u32 v4, v4, s4
	;; [unrolled: 1-line block ×8, first 2 shown]
	v_dual_add_nc_u32 v10, s5, v48 :: v_dual_add_nc_u32 v11, s7, v48
	v_dual_add_nc_u32 v14, s7, v43 :: v_dual_add_nc_u32 v15, s5, v42
	;; [unrolled: 1-line block ×3, first 2 shown]
	s_delay_alu instid0(VALU_DEP_3)
	v_mul_lo_u32 v10, v10, s4
	v_dual_sub_nc_u32 v2, v2, v6 :: v_dual_sub_nc_u32 v3, v3, v7
	v_dual_sub_nc_u32 v4, v4, v8 :: v_dual_sub_nc_u32 v5, v5, v9
	v_dual_add_nc_u32 v6, s5, v49 :: v_dual_add_nc_u32 v7, s7, v49
	v_dual_add_nc_u32 v8, s5, v47 :: v_dual_add_nc_u32 v9, s7, v47
	v_mul_lo_u32 v11, v11, s6
	s_delay_alu instid0(VALU_DEP_3) | instskip(NEXT) | instid1(VALU_DEP_4)
	v_mul_lo_u32 v6, v6, s4
	v_mul_lo_u32 v7, v7, s6
	s_delay_alu instid0(VALU_DEP_4)
	v_mul_lo_u32 v8, v8, s4
	v_mul_lo_u32 v9, v9, s6
	v_cmp_lt_u32_e32 vcc_lo, s3, v2
	v_dual_add_nc_u32 v12, s5, v46 :: v_dual_add_nc_u32 v13, s5, v44
	v_mul_lo_u32 v14, v14, s6
	v_mul_lo_u32 v16, v16, s6
	v_cndmask_b32_e64 v2, 0, 1, vcc_lo
	v_cmp_lt_u32_e32 vcc_lo, s3, v3
	v_mul_lo_u32 v13, v13, s4
	v_dual_sub_nc_u32 v6, v6, v7 :: v_dual_add_nc_u32 v7, s7, v46
	v_dual_sub_nc_u32 v8, v8, v9 :: v_dual_sub_nc_u32 v9, v10, v11
	v_dual_add_nc_u32 v11, s5, v45 :: v_dual_add_nc_u32 v10, s5, v43
	v_cndmask_b32_e64 v3, 0, 1, vcc_lo
	s_delay_alu instid0(VALU_DEP_4)
	v_cmp_lt_u32_e32 vcc_lo, s3, v6
	v_mul_lo_u32 v12, v12, s4
	v_mul_lo_u32 v7, v7, s6
	;; [unrolled: 1-line block ×4, first 2 shown]
	v_cndmask_b32_e64 v6, 0, 1, vcc_lo
	v_cmp_lt_u32_e32 vcc_lo, s3, v8
	v_lshlrev_b16 v3, 8, v3
	v_add_nc_u32_e32 v25, s7, v42
	v_mul_lo_u32 v17, v17, s6
	v_lshlrev_b16 v6, 8, v6
	v_cndmask_b32_e64 v8, 0, 1, vcc_lo
	v_cmp_lt_u32_e32 vcc_lo, s3, v4
	v_dual_sub_nc_u32 v7, v12, v7 :: v_dual_sub_nc_u32 v10, v10, v14
	v_mul_lo_u32 v12, v15, s4
	v_mul_lo_u32 v15, v25, s6
	v_dual_add_nc_u32 v25, s7, v1 :: v_dual_lshrrev_b32 v3, 8, v3
	v_sub_nc_u32_e32 v11, v11, v16
	v_cndmask_b32_e64 v4, 0, 1, vcc_lo
	v_cmp_lt_u32_e32 vcc_lo, s3, v10
	v_dual_lshrrev_b32 v6, 8, v6 :: v_dual_add_nc_u32 v14, s5, v1
	v_mul_lo_u32 v16, v25, s6
	v_lshlrev_b16 v2, 8, v2
	v_cndmask_b32_e64 v10, 0, 1, vcc_lo
	v_cmp_lt_u32_e32 vcc_lo, s3, v11
	v_mul_lo_u32 v14, v14, s4
	v_dual_sub_nc_u32 v13, v13, v17 :: v_dual_sub_nc_u32 v12, v12, v15
	v_lshlrev_b16 v3, 8, v3
	v_cndmask_b32_e64 v11, 0, 1, vcc_lo
	v_cmp_lt_u32_e32 vcc_lo, s3, v5
	v_lshrrev_b32_e32 v2, 8, v2
	v_lshlrev_b16 v8, 8, v8
	v_or_b32_e32 v3, v4, v3
	v_lshlrev_b16 v4, 8, v10
	v_cndmask_b32_e64 v5, 0, 1, vcc_lo
	v_cmp_lt_u32_e32 vcc_lo, s3, v9
	v_lshlrev_b16 v10, 8, v11
	v_sub_nc_u32_e32 v11, v14, v16
	v_lshlrev_b16 v2, 8, v2
	v_lshrrev_b32_e32 v4, 8, v4
	v_cndmask_b32_e64 v9, 0, 1, vcc_lo
	v_cmp_lt_u32_e32 vcc_lo, s3, v7
	v_lshrrev_b32_e32 v10, 8, v10
	v_lshlrev_b16 v6, 8, v6
	v_or_b32_e32 v2, v5, v2
	v_lshlrev_b16 v4, 8, v4
	v_cndmask_b32_e64 v7, 0, 1, vcc_lo
	v_cmp_lt_u32_e32 vcc_lo, s3, v13
	v_lshlrev_b16 v10, 8, v10
	v_or_b32_e32 v5, v9, v6
	v_and_b32_e32 v3, 0xffff, v3
	v_dual_lshlrev_b32 v2, 16, v2 :: v_dual_bitop2_b32 v6, v7, v8 bitop3:0x54
	v_cndmask_b32_e64 v13, 0, 1, vcc_lo
	v_cmp_lt_u32_e32 vcc_lo, s3, v12
	s_delay_alu instid0(VALU_DEP_3) | instskip(SKIP_4) | instid1(VALU_DEP_4)
	v_lshlrev_b32_e32 v6, 16, v6
	v_and_b32_e32 v5, 0xffff, v5
	v_or_b32_e32 v35, v3, v2
	v_cndmask_b32_e64 v12, 0, 1, vcc_lo
	v_cmp_lt_u32_e32 vcc_lo, s3, v11
	v_or_b32_e32 v31, v5, v6
	s_delay_alu instid0(VALU_DEP_3) | instskip(SKIP_2) | instid1(VALU_DEP_3)
	v_or_b32_e32 v4, v12, v4
	v_or_b32_e32 v7, v13, v10
	v_cndmask_b32_e64 v25, 0, 1, vcc_lo
	v_lshlrev_b32_e32 v4, 16, v4
	s_delay_alu instid0(VALU_DEP_3) | instskip(NEXT) | instid1(VALU_DEP_1)
	v_and_b32_e32 v7, 0xffff, v7
	v_or_b32_e32 v27, v7, v4
	s_load_b64 s[20:21], s[0:1], 0x68
	s_cbranch_execz .LBB668_7
	s_branch .LBB668_34
.LBB668_6:
                                        ; implicit-def: $vgpr25
                                        ; implicit-def: $vgpr27
                                        ; implicit-def: $vgpr31
                                        ; implicit-def: $vgpr35
	s_load_b64 s[20:21], s[0:1], 0x68
.LBB668_7:
	v_dual_mov_b32 v3, 0 :: v_dual_mov_b32 v2, 0
	s_mov_b32 s2, exec_lo
	v_cmpx_gt_u32_e64 s23, v23
	s_cbranch_execz .LBB668_9
; %bb.8:
	v_dual_add_nc_u32 v2, s5, v52 :: v_dual_add_nc_u32 v4, s7, v52
	s_delay_alu instid0(VALU_DEP_1) | instskip(NEXT) | instid1(VALU_DEP_2)
	v_mul_lo_u32 v2, v2, s4
	v_mul_lo_u32 v4, v4, s6
	s_delay_alu instid0(VALU_DEP_1) | instskip(NEXT) | instid1(VALU_DEP_1)
	v_sub_nc_u32_e32 v2, v2, v4
	v_cmp_lt_u32_e32 vcc_lo, s3, v2
	v_cndmask_b32_e64 v2, 0, 1, vcc_lo
.LBB668_9:
	s_or_b32 exec_lo, exec_lo, s2
	v_add_nc_u32_e32 v4, 1, v23
	s_mov_b32 s2, exec_lo
	s_delay_alu instid0(VALU_DEP_1)
	v_cmpx_gt_u32_e64 s23, v4
	s_cbranch_execz .LBB668_11
; %bb.10:
	v_dual_add_nc_u32 v3, s5, v53 :: v_dual_add_nc_u32 v4, s7, v53
	s_delay_alu instid0(VALU_DEP_1) | instskip(NEXT) | instid1(VALU_DEP_2)
	v_mul_lo_u32 v3, v3, s4
	v_mul_lo_u32 v4, v4, s6
	s_delay_alu instid0(VALU_DEP_1) | instskip(NEXT) | instid1(VALU_DEP_1)
	v_sub_nc_u32_e32 v3, v3, v4
	v_cmp_lt_u32_e32 vcc_lo, s3, v3
	v_cndmask_b32_e64 v3, 0, 1, vcc_lo
.LBB668_11:
	s_or_b32 exec_lo, exec_lo, s2
	v_dual_mov_b32 v5, 0 :: v_dual_add_nc_u32 v4, 2, v23
	s_delay_alu instid0(VALU_DEP_1)
	v_cmp_gt_u32_e32 vcc_lo, s23, v4
	v_mov_b32_e32 v4, 0
	s_and_saveexec_b32 s2, vcc_lo
	s_cbranch_execz .LBB668_13
; %bb.12:
	v_dual_add_nc_u32 v4, s5, v50 :: v_dual_add_nc_u32 v6, s7, v50
	s_delay_alu instid0(VALU_DEP_1) | instskip(NEXT) | instid1(VALU_DEP_2)
	v_mul_lo_u32 v4, v4, s4
	v_mul_lo_u32 v6, v6, s6
	s_delay_alu instid0(VALU_DEP_1) | instskip(NEXT) | instid1(VALU_DEP_1)
	v_sub_nc_u32_e32 v4, v4, v6
	v_cmp_lt_u32_e32 vcc_lo, s3, v4
	v_cndmask_b32_e64 v4, 0, 1, vcc_lo
.LBB668_13:
	s_or_b32 exec_lo, exec_lo, s2
	v_add_nc_u32_e32 v6, 3, v23
	s_mov_b32 s2, exec_lo
	s_delay_alu instid0(VALU_DEP_1)
	v_cmpx_gt_u32_e64 s23, v6
	s_cbranch_execz .LBB668_15
; %bb.14:
	v_dual_add_nc_u32 v5, s5, v51 :: v_dual_add_nc_u32 v6, s7, v51
	s_delay_alu instid0(VALU_DEP_1) | instskip(NEXT) | instid1(VALU_DEP_2)
	v_mul_lo_u32 v5, v5, s4
	v_mul_lo_u32 v6, v6, s6
	s_delay_alu instid0(VALU_DEP_1) | instskip(NEXT) | instid1(VALU_DEP_1)
	v_sub_nc_u32_e32 v5, v5, v6
	v_cmp_lt_u32_e32 vcc_lo, s3, v5
	v_cndmask_b32_e64 v5, 0, 1, vcc_lo
.LBB668_15:
	s_or_b32 exec_lo, exec_lo, s2
	v_dual_mov_b32 v7, 0 :: v_dual_add_nc_u32 v6, 4, v23
	s_delay_alu instid0(VALU_DEP_1)
	v_cmp_gt_u32_e32 vcc_lo, s23, v6
	v_mov_b32_e32 v6, 0
	s_and_saveexec_b32 s2, vcc_lo
	;; [unrolled: 33-line block ×5, first 2 shown]
	s_cbranch_execz .LBB668_29
; %bb.28:
	v_dual_add_nc_u32 v12, s5, v42 :: v_dual_add_nc_u32 v14, s7, v42
	s_delay_alu instid0(VALU_DEP_1) | instskip(NEXT) | instid1(VALU_DEP_2)
	v_mul_lo_u32 v12, v12, s4
	v_mul_lo_u32 v14, v14, s6
	s_delay_alu instid0(VALU_DEP_1) | instskip(NEXT) | instid1(VALU_DEP_1)
	v_sub_nc_u32_e32 v12, v12, v14
	v_cmp_lt_u32_e32 vcc_lo, s3, v12
	v_cndmask_b32_e64 v12, 0, 1, vcc_lo
.LBB668_29:
	s_or_b32 exec_lo, exec_lo, s2
	v_add_nc_u32_e32 v14, 11, v23
	s_mov_b32 s2, exec_lo
	s_delay_alu instid0(VALU_DEP_1)
	v_cmpx_gt_u32_e64 s23, v14
	s_cbranch_execz .LBB668_31
; %bb.30:
	v_dual_add_nc_u32 v13, s5, v43 :: v_dual_add_nc_u32 v14, s7, v43
	s_delay_alu instid0(VALU_DEP_1) | instskip(NEXT) | instid1(VALU_DEP_2)
	v_mul_lo_u32 v13, v13, s4
	v_mul_lo_u32 v14, v14, s6
	s_delay_alu instid0(VALU_DEP_1) | instskip(NEXT) | instid1(VALU_DEP_1)
	v_sub_nc_u32_e32 v13, v13, v14
	v_cmp_lt_u32_e32 vcc_lo, s3, v13
	v_cndmask_b32_e64 v13, 0, 1, vcc_lo
.LBB668_31:
	s_or_b32 exec_lo, exec_lo, s2
	v_dual_mov_b32 v25, 0 :: v_dual_add_nc_u32 v14, 12, v23
	s_mov_b32 s2, exec_lo
	s_delay_alu instid0(VALU_DEP_1)
	v_cmpx_gt_u32_e64 s23, v14
	s_cbranch_execz .LBB668_33
; %bb.32:
	v_dual_add_nc_u32 v14, s7, v1 :: v_dual_add_nc_u32 v15, s5, v1
	s_delay_alu instid0(VALU_DEP_1) | instskip(NEXT) | instid1(VALU_DEP_2)
	v_mul_lo_u32 v14, v14, s6
	v_mul_lo_u32 v15, v15, s4
	s_delay_alu instid0(VALU_DEP_1) | instskip(NEXT) | instid1(VALU_DEP_1)
	v_sub_nc_u32_e32 v14, v15, v14
	v_cmp_lt_u32_e32 vcc_lo, s3, v14
	v_cndmask_b32_e64 v25, 0, 1, vcc_lo
.LBB668_33:
	s_or_b32 exec_lo, exec_lo, s2
	v_lshlrev_b16 v5, 8, v5
	v_lshlrev_b16 v7, 8, v7
	;; [unrolled: 1-line block ×5, first 2 shown]
	v_or_b32_e32 v4, v4, v5
	v_or_b32_e32 v5, v6, v7
	;; [unrolled: 1-line block ×3, first 2 shown]
	s_delay_alu instid0(VALU_DEP_4) | instskip(NEXT) | instid1(VALU_DEP_3)
	v_or_b32_e32 v7, v10, v11
	v_and_b32_e32 v5, 0xffff, v5
	s_delay_alu instid0(VALU_DEP_3) | instskip(SKIP_3) | instid1(VALU_DEP_4)
	v_dual_lshlrev_b32 v6, 16, v6 :: v_dual_bitop2_b32 v2, v2, v3 bitop3:0x54
	v_lshlrev_b32_e32 v4, 16, v4
	v_lshlrev_b16 v3, 8, v13
	v_and_b32_e32 v7, 0xffff, v7
	v_or_b32_e32 v31, v5, v6
	v_and_b32_e32 v2, 0xffff, v2
	s_delay_alu instid0(VALU_DEP_4) | instskip(NEXT) | instid1(VALU_DEP_1)
	v_or_b32_e32 v3, v12, v3
	v_dual_lshlrev_b32 v3, 16, v3 :: v_dual_bitop2_b32 v35, v2, v4 bitop3:0x54
	s_delay_alu instid0(VALU_DEP_1)
	v_or_b32_e32 v27, v7, v3
.LBB668_34:
	s_delay_alu instid0(VALU_DEP_2)
	v_bfe_u32 v39, v35, 16, 8
	v_bfe_u32 v41, v35, 8, 8
	v_and_b32_e32 v55, 0xff, v35
	v_and_b32_e32 v56, 0xff, v31
	v_mbcnt_lo_u32_b32 v62, -1, 0
	v_lshrrev_b32_e32 v37, 24, v35
	v_bfe_u32 v57, v31, 16, 8
	v_add3_u32 v2, v41, v55, v39
	v_bfe_u32 v58, v31, 8, 8
	v_and_b32_e32 v4, 15, v62
	s_load_b64 s[16:17], s[0:1], 0x28
	v_dual_lshrrev_b32 v33, 24, v31 :: v_dual_lshrrev_b32 v63, 5, v0
	v_add3_u32 v2, v2, v37, v56
	v_and_b32_e32 v59, 0xff, v27
	v_bfe_u32 v60, v27, 16, 8
	v_bfe_u32 v61, v27, 8, 8
	v_dual_lshrrev_b32 v29, 24, v27 :: v_dual_bitop2_b32 v5, 31, v0 bitop3:0x54
	v_add3_u32 v2, v2, v58, v57
	v_and_b32_e32 v3, 0xff, v25
	v_and_b32_e32 v6, 16, v62
	v_cmp_eq_u32_e64 s5, 0, v4
	v_cmp_lt_u32_e64 s4, 1, v4
	v_add3_u32 v2, v2, v33, v59
	v_cmp_lt_u32_e64 s3, 3, v4
	v_cmp_lt_u32_e64 s2, 7, v4
	s_wait_xcnt 0x0
	v_cmp_eq_u32_e64 s1, 0, v6
	v_cmp_eq_u32_e64 s0, v0, v5
	v_add3_u32 v2, v2, v61, v60
	s_cmp_lg_u32 s24, 0
	s_mov_b32 s6, -1
	s_delay_alu instid0(VALU_DEP_1)
	v_add3_u32 v64, v2, v29, v3
	s_cbranch_scc0 .LBB668_56
; %bb.35:
	s_delay_alu instid0(VALU_DEP_1) | instskip(NEXT) | instid1(VALU_DEP_1)
	v_mov_b32_dpp v2, v64 row_shr:1 row_mask:0xf bank_mask:0xf
	v_cndmask_b32_e64 v2, v2, 0, s5
	s_delay_alu instid0(VALU_DEP_1) | instskip(NEXT) | instid1(VALU_DEP_1)
	v_add_nc_u32_e32 v2, v2, v64
	v_mov_b32_dpp v3, v2 row_shr:2 row_mask:0xf bank_mask:0xf
	s_delay_alu instid0(VALU_DEP_1) | instskip(NEXT) | instid1(VALU_DEP_1)
	v_cndmask_b32_e64 v3, 0, v3, s4
	v_add_nc_u32_e32 v2, v2, v3
	s_delay_alu instid0(VALU_DEP_1) | instskip(NEXT) | instid1(VALU_DEP_1)
	v_mov_b32_dpp v3, v2 row_shr:4 row_mask:0xf bank_mask:0xf
	v_cndmask_b32_e64 v3, 0, v3, s3
	s_delay_alu instid0(VALU_DEP_1) | instskip(NEXT) | instid1(VALU_DEP_1)
	v_add_nc_u32_e32 v2, v2, v3
	v_mov_b32_dpp v3, v2 row_shr:8 row_mask:0xf bank_mask:0xf
	s_delay_alu instid0(VALU_DEP_1) | instskip(NEXT) | instid1(VALU_DEP_1)
	v_cndmask_b32_e64 v3, 0, v3, s2
	v_add_nc_u32_e32 v2, v2, v3
	ds_swizzle_b32 v3, v2 offset:swizzle(BROADCAST,32,15)
	s_wait_dscnt 0x0
	v_cndmask_b32_e64 v3, v3, 0, s1
	s_delay_alu instid0(VALU_DEP_1)
	v_add_nc_u32_e32 v2, v2, v3
	s_and_saveexec_b32 s6, s0
; %bb.36:
	v_lshlrev_b32_e32 v3, 2, v63
	ds_store_b32 v3, v2
; %bb.37:
	s_or_b32 exec_lo, exec_lo, s6
	s_delay_alu instid0(SALU_CYCLE_1)
	s_mov_b32 s6, exec_lo
	s_wait_dscnt 0x0
	s_barrier_signal -1
	s_barrier_wait -1
	v_cmpx_gt_u32_e32 8, v0
	s_cbranch_execz .LBB668_39
; %bb.38:
	ds_load_b32 v3, v19
	s_wait_dscnt 0x0
	v_mov_b32_dpp v5, v3 row_shr:1 row_mask:0xf bank_mask:0xf
	v_and_b32_e32 v4, 7, v62
	s_delay_alu instid0(VALU_DEP_1) | instskip(NEXT) | instid1(VALU_DEP_3)
	v_cmp_ne_u32_e32 vcc_lo, 0, v4
	v_cndmask_b32_e32 v5, 0, v5, vcc_lo
	v_cmp_lt_u32_e32 vcc_lo, 1, v4
	s_delay_alu instid0(VALU_DEP_2) | instskip(NEXT) | instid1(VALU_DEP_1)
	v_add_nc_u32_e32 v3, v5, v3
	v_mov_b32_dpp v5, v3 row_shr:2 row_mask:0xf bank_mask:0xf
	s_delay_alu instid0(VALU_DEP_1) | instskip(SKIP_1) | instid1(VALU_DEP_2)
	v_cndmask_b32_e32 v5, 0, v5, vcc_lo
	v_cmp_lt_u32_e32 vcc_lo, 3, v4
	v_add_nc_u32_e32 v3, v3, v5
	s_delay_alu instid0(VALU_DEP_1) | instskip(NEXT) | instid1(VALU_DEP_1)
	v_mov_b32_dpp v5, v3 row_shr:4 row_mask:0xf bank_mask:0xf
	v_cndmask_b32_e32 v4, 0, v5, vcc_lo
	s_delay_alu instid0(VALU_DEP_1)
	v_add_nc_u32_e32 v3, v3, v4
	ds_store_b32 v19, v3
.LBB668_39:
	s_or_b32 exec_lo, exec_lo, s6
	s_delay_alu instid0(SALU_CYCLE_1)
	s_mov_b32 s7, exec_lo
	v_cmp_gt_u32_e32 vcc_lo, 32, v0
	s_wait_dscnt 0x0
	s_barrier_signal -1
	s_barrier_wait -1
                                        ; implicit-def: $vgpr10
	v_cmpx_lt_u32_e32 31, v0
	s_cbranch_execz .LBB668_41
; %bb.40:
	v_lshl_add_u32 v3, v63, 2, -4
	ds_load_b32 v10, v3
	s_wait_dscnt 0x0
	v_add_nc_u32_e32 v2, v10, v2
.LBB668_41:
	s_or_b32 exec_lo, exec_lo, s7
	v_sub_co_u32 v3, s6, v62, 1
	s_delay_alu instid0(VALU_DEP_1) | instskip(NEXT) | instid1(VALU_DEP_1)
	v_cmp_gt_i32_e64 s7, 0, v3
	v_cndmask_b32_e64 v3, v3, v62, s7
	s_delay_alu instid0(VALU_DEP_1)
	v_lshlrev_b32_e32 v3, 2, v3
	ds_bpermute_b32 v11, v3, v2
	s_and_saveexec_b32 s7, vcc_lo
	s_cbranch_execz .LBB668_61
; %bb.42:
	v_mov_b32_e32 v9, 0
	ds_load_b32 v2, v9 offset:28
	s_and_saveexec_b32 s11, s6
	s_cbranch_execz .LBB668_44
; %bb.43:
	s_add_co_i32 s25, s24, 32
	s_delay_alu instid0(SALU_CYCLE_1)
	v_dual_mov_b32 v3, 1 :: v_dual_mov_b32 v4, s25
	s_wait_dscnt 0x0
	s_wait_kmcnt 0x0
	global_store_b64 v4, v[2:3], s[20:21] scale_offset scope:SCOPE_DEV
.LBB668_44:
	s_wait_xcnt 0x0
	s_or_b32 exec_lo, exec_lo, s11
	v_xad_u32 v4, v62, -1, s24
	s_mov_b32 s25, 0
	s_mov_b32 s11, exec_lo
	s_delay_alu instid0(VALU_DEP_1)
	v_add_nc_u32_e32 v8, 32, v4
	s_wait_kmcnt 0x0
	global_load_b64 v[6:7], v8, s[20:21] scale_offset scope:SCOPE_DEV
	s_wait_loadcnt 0x0
	v_and_b32_e32 v3, 0xff, v7
	s_wait_xcnt 0x0
	s_delay_alu instid0(VALU_DEP_1)
	v_cmpx_eq_u16_e32 0, v3
	s_cbranch_execz .LBB668_48
; %bb.45:
	v_lshl_add_u64 v[8:9], v[8:9], 3, s[20:21]
.LBB668_46:                             ; =>This Inner Loop Header: Depth=1
	global_load_b64 v[6:7], v[8:9], off scope:SCOPE_DEV
	s_wait_loadcnt 0x0
	v_and_b32_e32 v3, 0xff, v7
	s_delay_alu instid0(VALU_DEP_1)
	v_cmp_ne_u16_e32 vcc_lo, 0, v3
	s_or_b32 s25, vcc_lo, s25
	s_wait_xcnt 0x0
	s_and_not1_b32 exec_lo, exec_lo, s25
	s_cbranch_execnz .LBB668_46
; %bb.47:
	s_or_b32 exec_lo, exec_lo, s25
.LBB668_48:
	s_delay_alu instid0(SALU_CYCLE_1)
	s_or_b32 exec_lo, exec_lo, s11
	v_cmp_ne_u32_e32 vcc_lo, 31, v62
	v_lshlrev_b32_e64 v13, v62, -1
	v_dual_add_nc_u32 v15, 2, v62 :: v_dual_add_nc_u32 v17, 4, v62
	v_dual_add_nc_u32 v65, 8, v62 :: v_dual_add_nc_u32 v67, 16, v62
	v_add_co_ci_u32_e64 v3, null, 0, v62, vcc_lo
	v_lshl_or_b32 v66, v62, 2, 64
	s_delay_alu instid0(VALU_DEP_2)
	v_lshlrev_b32_e32 v12, 2, v3
	v_and_b32_e32 v3, 0xff, v7
	ds_bpermute_b32 v5, v12, v6
	v_cmp_eq_u16_e32 vcc_lo, 2, v3
	v_and_or_b32 v3, vcc_lo, v13, 0x80000000
	v_cmp_gt_u32_e32 vcc_lo, 30, v62
	s_delay_alu instid0(VALU_DEP_2) | instskip(SKIP_1) | instid1(VALU_DEP_2)
	v_ctz_i32_b32_e32 v3, v3
	v_cndmask_b32_e64 v8, 0, 2, vcc_lo
	v_cmp_lt_u32_e32 vcc_lo, v62, v3
	s_delay_alu instid0(VALU_DEP_2)
	v_add_lshl_u32 v14, v8, v62, 2
	s_wait_dscnt 0x0
	v_cndmask_b32_e32 v5, 0, v5, vcc_lo
	v_cmp_gt_u32_e32 vcc_lo, 28, v62
	v_cndmask_b32_e64 v8, 0, 4, vcc_lo
	v_cmp_le_u32_e32 vcc_lo, v15, v3
	s_delay_alu instid0(VALU_DEP_4) | instskip(NEXT) | instid1(VALU_DEP_3)
	v_add_nc_u32_e32 v5, v5, v6
	v_add_lshl_u32 v16, v8, v62, 2
	ds_bpermute_b32 v6, v14, v5
	s_wait_dscnt 0x0
	v_cndmask_b32_e32 v6, 0, v6, vcc_lo
	v_cmp_gt_u32_e32 vcc_lo, 24, v62
	v_cndmask_b32_e64 v8, 0, 8, vcc_lo
	v_cmp_le_u32_e32 vcc_lo, v17, v3
	s_delay_alu instid0(VALU_DEP_4) | instskip(NEXT) | instid1(VALU_DEP_3)
	v_add_nc_u32_e32 v5, v5, v6
	v_add_lshl_u32 v54, v8, v62, 2
	ds_bpermute_b32 v6, v16, v5
	s_wait_dscnt 0x0
	v_cndmask_b32_e32 v6, 0, v6, vcc_lo
	v_cmp_le_u32_e32 vcc_lo, v65, v3
	s_delay_alu instid0(VALU_DEP_2) | instskip(SKIP_4) | instid1(VALU_DEP_2)
	v_add_nc_u32_e32 v5, v5, v6
	ds_bpermute_b32 v6, v54, v5
	s_wait_dscnt 0x0
	v_cndmask_b32_e32 v6, 0, v6, vcc_lo
	v_cmp_le_u32_e32 vcc_lo, v67, v3
	v_add_nc_u32_e32 v5, v5, v6
	ds_bpermute_b32 v6, v66, v5
	s_wait_dscnt 0x0
	v_cndmask_b32_e32 v3, 0, v6, vcc_lo
	s_delay_alu instid0(VALU_DEP_1)
	v_dual_mov_b32 v5, 0 :: v_dual_add_nc_u32 v6, v5, v3
	s_branch .LBB668_52
.LBB668_49:                             ;   in Loop: Header=BB668_52 Depth=1
	s_or_b32 exec_lo, exec_lo, s25
.LBB668_50:                             ;   in Loop: Header=BB668_52 Depth=1
	s_delay_alu instid0(SALU_CYCLE_1)
	s_or_b32 exec_lo, exec_lo, s11
	v_and_b32_e32 v8, 0xff, v7
	ds_bpermute_b32 v9, v12, v6
	v_subrev_nc_u32_e32 v4, 32, v4
	s_mov_b32 s11, 0
	v_cmp_eq_u16_e32 vcc_lo, 2, v8
	v_and_or_b32 v8, vcc_lo, v13, 0x80000000
	s_delay_alu instid0(VALU_DEP_1) | instskip(NEXT) | instid1(VALU_DEP_1)
	v_ctz_i32_b32_e32 v8, v8
	v_cmp_lt_u32_e32 vcc_lo, v62, v8
	s_wait_dscnt 0x0
	v_cndmask_b32_e32 v9, 0, v9, vcc_lo
	v_cmp_le_u32_e32 vcc_lo, v15, v8
	s_delay_alu instid0(VALU_DEP_2) | instskip(SKIP_4) | instid1(VALU_DEP_2)
	v_add_nc_u32_e32 v6, v9, v6
	ds_bpermute_b32 v9, v14, v6
	s_wait_dscnt 0x0
	v_cndmask_b32_e32 v9, 0, v9, vcc_lo
	v_cmp_le_u32_e32 vcc_lo, v17, v8
	v_add_nc_u32_e32 v6, v6, v9
	ds_bpermute_b32 v9, v16, v6
	s_wait_dscnt 0x0
	v_cndmask_b32_e32 v9, 0, v9, vcc_lo
	v_cmp_le_u32_e32 vcc_lo, v65, v8
	s_delay_alu instid0(VALU_DEP_2) | instskip(SKIP_4) | instid1(VALU_DEP_2)
	v_add_nc_u32_e32 v6, v6, v9
	ds_bpermute_b32 v9, v54, v6
	s_wait_dscnt 0x0
	v_cndmask_b32_e32 v9, 0, v9, vcc_lo
	v_cmp_le_u32_e32 vcc_lo, v67, v8
	v_add_nc_u32_e32 v6, v6, v9
	ds_bpermute_b32 v9, v66, v6
	s_wait_dscnt 0x0
	v_cndmask_b32_e32 v8, 0, v9, vcc_lo
	s_delay_alu instid0(VALU_DEP_1)
	v_add3_u32 v6, v8, v3, v6
.LBB668_51:                             ;   in Loop: Header=BB668_52 Depth=1
	s_and_b32 vcc_lo, exec_lo, s11
	s_cbranch_vccnz .LBB668_57
.LBB668_52:                             ; =>This Loop Header: Depth=1
                                        ;     Child Loop BB668_55 Depth 2
	v_and_b32_e32 v3, 0xff, v7
	s_mov_b32 s11, -1
                                        ; implicit-def: $vgpr7
	s_delay_alu instid0(VALU_DEP_1)
	v_cmp_ne_u16_e32 vcc_lo, 2, v3
	v_mov_b32_e32 v3, v6
                                        ; implicit-def: $vgpr6
	s_cmp_lg_u32 vcc_lo, exec_lo
	s_cbranch_scc1 .LBB668_51
; %bb.53:                               ;   in Loop: Header=BB668_52 Depth=1
	global_load_b64 v[6:7], v4, s[20:21] scale_offset scope:SCOPE_DEV
	s_mov_b32 s11, exec_lo
	s_wait_loadcnt 0x0
	v_and_b32_e32 v8, 0xff, v7
	s_wait_xcnt 0x0
	s_delay_alu instid0(VALU_DEP_1)
	v_cmpx_eq_u16_e32 0, v8
	s_cbranch_execz .LBB668_50
; %bb.54:                               ;   in Loop: Header=BB668_52 Depth=1
	v_lshl_add_u64 v[8:9], v[4:5], 3, s[20:21]
	s_mov_b32 s25, 0
.LBB668_55:                             ;   Parent Loop BB668_52 Depth=1
                                        ; =>  This Inner Loop Header: Depth=2
	global_load_b64 v[6:7], v[8:9], off scope:SCOPE_DEV
	s_wait_loadcnt 0x0
	v_and_b32_e32 v68, 0xff, v7
	s_delay_alu instid0(VALU_DEP_1)
	v_cmp_ne_u16_e32 vcc_lo, 0, v68
	s_or_b32 s25, vcc_lo, s25
	s_wait_xcnt 0x0
	s_and_not1_b32 exec_lo, exec_lo, s25
	s_cbranch_execnz .LBB668_55
	s_branch .LBB668_49
.LBB668_56:
                                        ; implicit-def: $vgpr2_vgpr3_vgpr4_vgpr5_vgpr6_vgpr7_vgpr8_vgpr9_vgpr10_vgpr11_vgpr12_vgpr13_vgpr14_vgpr15_vgpr16_vgpr17
                                        ; implicit-def: $vgpr54
                                        ; implicit-def: $vgpr16
	s_and_b32 vcc_lo, exec_lo, s6
	s_cbranch_vccnz .LBB668_62
	s_branch .LBB668_71
.LBB668_57:
	s_and_saveexec_b32 s11, s6
	s_cbranch_execz .LBB668_59
; %bb.58:
	s_add_co_i32 s24, s24, 32
	v_dual_mov_b32 v5, 2 :: v_dual_add_nc_u32 v4, v3, v2
	v_dual_mov_b32 v6, s24 :: v_dual_mov_b32 v7, 0
	global_store_b64 v6, v[4:5], s[20:21] scale_offset scope:SCOPE_DEV
	ds_store_b64 v7, v[2:3] offset:13312
.LBB668_59:
	s_wait_xcnt 0x0
	s_or_b32 exec_lo, exec_lo, s11
	v_cmp_eq_u32_e32 vcc_lo, 0, v0
	s_and_b32 exec_lo, exec_lo, vcc_lo
; %bb.60:
	v_mov_b32_e32 v2, 0
	ds_store_b32 v2, v3 offset:28
.LBB668_61:
	s_or_b32 exec_lo, exec_lo, s7
	s_wait_dscnt 0x0
	v_dual_mov_b32 v12, 0 :: v_dual_cndmask_b32 v3, v11, v10, s6
	s_wait_storecnt 0x0
	s_barrier_signal -1
	s_barrier_wait -1
	ds_load_b32 v2, v12 offset:28
	v_cmp_ne_u32_e32 vcc_lo, 0, v0
	s_wait_dscnt 0x0
	s_barrier_signal -1
	s_barrier_wait -1
	v_cndmask_b32_e32 v3, 0, v3, vcc_lo
	ds_load_b64 v[16:17], v12 offset:13312
	v_add_nc_u32_e32 v2, v2, v3
	s_wait_dscnt 0x0
	s_delay_alu instid0(VALU_DEP_1) | instskip(NEXT) | instid1(VALU_DEP_1)
	v_dual_mov_b32 v54, v17 :: v_dual_add_nc_u32 v3, v2, v55
	v_add_nc_u32_e32 v4, v3, v41
	s_delay_alu instid0(VALU_DEP_1) | instskip(NEXT) | instid1(VALU_DEP_1)
	v_add_nc_u32_e32 v5, v4, v39
	v_add_nc_u32_e32 v6, v5, v37
	s_delay_alu instid0(VALU_DEP_1) | instskip(NEXT) | instid1(VALU_DEP_1)
	v_add_nc_u32_e32 v7, v6, v56
	;; [unrolled: 3-line block ×5, first 2 shown]
	v_add_nc_u32_e32 v14, v13, v29
	s_branch .LBB668_71
.LBB668_62:
	v_mov_b32_dpp v2, v64 row_shr:1 row_mask:0xf bank_mask:0xf
	s_delay_alu instid0(VALU_DEP_1) | instskip(NEXT) | instid1(VALU_DEP_1)
	v_cndmask_b32_e64 v2, v2, 0, s5
	v_add_nc_u32_e32 v2, v2, v64
	s_delay_alu instid0(VALU_DEP_1) | instskip(NEXT) | instid1(VALU_DEP_1)
	v_mov_b32_dpp v3, v2 row_shr:2 row_mask:0xf bank_mask:0xf
	v_cndmask_b32_e64 v3, 0, v3, s4
	s_delay_alu instid0(VALU_DEP_1) | instskip(NEXT) | instid1(VALU_DEP_1)
	v_add_nc_u32_e32 v2, v2, v3
	v_mov_b32_dpp v3, v2 row_shr:4 row_mask:0xf bank_mask:0xf
	s_delay_alu instid0(VALU_DEP_1) | instskip(NEXT) | instid1(VALU_DEP_1)
	v_cndmask_b32_e64 v3, 0, v3, s3
	v_add_nc_u32_e32 v2, v2, v3
	s_delay_alu instid0(VALU_DEP_1) | instskip(NEXT) | instid1(VALU_DEP_1)
	v_mov_b32_dpp v3, v2 row_shr:8 row_mask:0xf bank_mask:0xf
	v_cndmask_b32_e64 v3, 0, v3, s2
	s_delay_alu instid0(VALU_DEP_1) | instskip(SKIP_3) | instid1(VALU_DEP_1)
	v_add_nc_u32_e32 v2, v2, v3
	ds_swizzle_b32 v3, v2 offset:swizzle(BROADCAST,32,15)
	s_wait_dscnt 0x0
	v_cndmask_b32_e64 v3, v3, 0, s1
	v_add_nc_u32_e32 v2, v2, v3
	s_and_saveexec_b32 s1, s0
; %bb.63:
	v_lshlrev_b32_e32 v3, 2, v63
	ds_store_b32 v3, v2
; %bb.64:
	s_or_b32 exec_lo, exec_lo, s1
	s_delay_alu instid0(SALU_CYCLE_1)
	s_mov_b32 s0, exec_lo
	s_wait_dscnt 0x0
	s_barrier_signal -1
	s_barrier_wait -1
	v_cmpx_gt_u32_e32 8, v0
	s_cbranch_execz .LBB668_66
; %bb.65:
	ds_load_b32 v3, v19
	s_wait_dscnt 0x0
	v_mov_b32_dpp v5, v3 row_shr:1 row_mask:0xf bank_mask:0xf
	v_and_b32_e32 v4, 7, v62
	s_delay_alu instid0(VALU_DEP_1) | instskip(NEXT) | instid1(VALU_DEP_3)
	v_cmp_ne_u32_e32 vcc_lo, 0, v4
	v_cndmask_b32_e32 v5, 0, v5, vcc_lo
	v_cmp_lt_u32_e32 vcc_lo, 1, v4
	s_delay_alu instid0(VALU_DEP_2) | instskip(NEXT) | instid1(VALU_DEP_1)
	v_add_nc_u32_e32 v3, v5, v3
	v_mov_b32_dpp v5, v3 row_shr:2 row_mask:0xf bank_mask:0xf
	s_delay_alu instid0(VALU_DEP_1) | instskip(SKIP_1) | instid1(VALU_DEP_2)
	v_cndmask_b32_e32 v5, 0, v5, vcc_lo
	v_cmp_lt_u32_e32 vcc_lo, 3, v4
	v_add_nc_u32_e32 v3, v3, v5
	s_delay_alu instid0(VALU_DEP_1) | instskip(NEXT) | instid1(VALU_DEP_1)
	v_mov_b32_dpp v5, v3 row_shr:4 row_mask:0xf bank_mask:0xf
	v_cndmask_b32_e32 v4, 0, v5, vcc_lo
	s_delay_alu instid0(VALU_DEP_1)
	v_add_nc_u32_e32 v3, v3, v4
	ds_store_b32 v19, v3
.LBB668_66:
	s_or_b32 exec_lo, exec_lo, s0
	v_dual_mov_b32 v4, 0 :: v_dual_mov_b32 v3, 0
	s_mov_b32 s0, exec_lo
	s_wait_dscnt 0x0
	s_barrier_signal -1
	s_barrier_wait -1
	v_cmpx_lt_u32_e32 31, v0
; %bb.67:
	v_lshl_add_u32 v3, v63, 2, -4
	ds_load_b32 v3, v3
; %bb.68:
	s_or_b32 exec_lo, exec_lo, s0
	v_sub_co_u32 v5, vcc_lo, v62, 1
	ds_load_b32 v16, v4 offset:28
	v_cmp_gt_i32_e64 s0, 0, v5
	s_delay_alu instid0(VALU_DEP_1) | instskip(SKIP_3) | instid1(VALU_DEP_3)
	v_cndmask_b32_e64 v5, v5, v62, s0
	s_wait_dscnt 0x1
	v_add_nc_u32_e32 v2, v3, v2
	v_cmp_eq_u32_e64 s0, 0, v0
	v_lshlrev_b32_e32 v5, 2, v5
	ds_bpermute_b32 v2, v5, v2
	s_and_saveexec_b32 s1, s0
	s_cbranch_execz .LBB668_70
; %bb.69:
	v_dual_mov_b32 v4, 0 :: v_dual_mov_b32 v17, 2
	s_wait_dscnt 0x1
	s_wait_kmcnt 0x0
	global_store_b64 v4, v[16:17], s[20:21] offset:256 scope:SCOPE_DEV
.LBB668_70:
	s_wait_xcnt 0x0
	s_or_b32 exec_lo, exec_lo, s1
	s_wait_dscnt 0x0
	v_cndmask_b32_e32 v2, v2, v3, vcc_lo
	s_wait_storecnt 0x0
	s_barrier_signal -1
	s_barrier_wait -1
	s_delay_alu instid0(VALU_DEP_1) | instskip(NEXT) | instid1(VALU_DEP_1)
	v_cndmask_b32_e64 v2, v2, 0, s0
	v_dual_mov_b32 v54, 0 :: v_dual_add_nc_u32 v3, v2, v55
	s_delay_alu instid0(VALU_DEP_1) | instskip(NEXT) | instid1(VALU_DEP_1)
	v_add_nc_u32_e32 v4, v3, v41
	v_add_nc_u32_e32 v5, v4, v39
	s_delay_alu instid0(VALU_DEP_1) | instskip(NEXT) | instid1(VALU_DEP_1)
	v_add_nc_u32_e32 v6, v5, v37
	v_add_nc_u32_e32 v7, v6, v56
	;; [unrolled: 3-line block ×5, first 2 shown]
	s_delay_alu instid0(VALU_DEP_1)
	v_add_nc_u32_e32 v14, v13, v29
.LBB668_71:
	v_dual_lshrrev_b32 v55, 16, v35 :: v_dual_lshrrev_b32 v56, 8, v35
	v_dual_add_nc_u32 v23, v16, v23 :: v_dual_sub_nc_u32 v3, v3, v54
	v_dual_sub_nc_u32 v2, v2, v54 :: v_dual_bitop2_b32 v35, 1, v35 bitop3:0x40
	s_delay_alu instid0(VALU_DEP_3) | instskip(NEXT) | instid1(VALU_DEP_4)
	v_dual_sub_nc_u32 v4, v4, v54 :: v_dual_bitop2_b32 v56, 1, v56 bitop3:0x40
	v_and_b32_e32 v55, 1, v55
	s_delay_alu instid0(VALU_DEP_3) | instskip(NEXT) | instid1(VALU_DEP_4)
	v_dual_sub_nc_u32 v57, v23, v3 :: v_dual_sub_nc_u32 v58, v23, v2
	v_cmp_eq_u32_e32 vcc_lo, 1, v35
	s_delay_alu instid0(VALU_DEP_4) | instskip(NEXT) | instid1(VALU_DEP_3)
	v_dual_sub_nc_u32 v5, v5, v54 :: v_dual_sub_nc_u32 v59, v23, v4
	v_dual_add_nc_u32 v57, 1, v57 :: v_dual_sub_nc_u32 v6, v6, v54
	s_delay_alu instid0(VALU_DEP_4) | instskip(SKIP_1) | instid1(VALU_DEP_4)
	v_cndmask_b32_e32 v2, v58, v2, vcc_lo
	v_cmp_eq_u32_e32 vcc_lo, 1, v56
	v_dual_sub_nc_u32 v35, v23, v5 :: v_dual_add_nc_u32 v56, 2, v59
	v_dual_lshrrev_b32 v41, 8, v31 :: v_dual_lshrrev_b32 v39, 16, v31
	v_dual_cndmask_b32 v3, v57, v3, vcc_lo :: v_dual_bitop2_b32 v37, 1, v37 bitop3:0x40
	v_lshlrev_b32_e32 v2, 2, v2
	v_cmp_eq_u32_e32 vcc_lo, 1, v55
	v_add_nc_u32_e32 v35, 3, v35
	s_delay_alu instid0(VALU_DEP_4)
	v_lshlrev_b32_e32 v3, 2, v3
	v_dual_lshrrev_b32 v15, 16, v27 :: v_dual_lshrrev_b32 v17, 8, v27
	v_cndmask_b32_e32 v4, v56, v4, vcc_lo
	v_cmp_eq_u32_e32 vcc_lo, 1, v37
	ds_store_b32 v2, v52
	ds_store_b32 v3, v53
	v_dual_lshlrev_b32 v3, 2, v4 :: v_dual_cndmask_b32 v5, v35, v5, vcc_lo
	s_delay_alu instid0(VALU_DEP_1) | instskip(SKIP_1) | instid1(VALU_DEP_2)
	v_dual_sub_nc_u32 v2, v23, v6 :: v_dual_lshlrev_b32 v4, 2, v5
	v_dual_sub_nc_u32 v5, v7, v54 :: v_dual_bitop2_b32 v7, 1, v31 bitop3:0x40
	v_add_nc_u32_e32 v2, 4, v2
	ds_store_b32 v3, v50
	ds_store_b32 v4, v51
	v_sub_nc_u32_e32 v3, v23, v5
	v_cmp_eq_u32_e32 vcc_lo, 1, v7
	s_delay_alu instid0(VALU_DEP_2) | instskip(SKIP_1) | instid1(VALU_DEP_2)
	v_dual_sub_nc_u32 v4, v8, v54 :: v_dual_add_nc_u32 v3, 5, v3
	v_dual_cndmask_b32 v2, v2, v6, vcc_lo :: v_dual_bitop2_b32 v6, 1, v41 bitop3:0x40
	v_dual_sub_nc_u32 v7, v9, v54 :: v_dual_sub_nc_u32 v8, v23, v4
	s_delay_alu instid0(VALU_DEP_2) | instskip(NEXT) | instid1(VALU_DEP_2)
	v_cmp_eq_u32_e32 vcc_lo, 1, v6
	v_dual_lshlrev_b32 v2, 2, v2 :: v_dual_add_nc_u32 v8, 6, v8
	v_cndmask_b32_e32 v3, v3, v5, vcc_lo
	s_delay_alu instid0(VALU_DEP_4)
	v_sub_nc_u32_e32 v5, v23, v7
	v_and_b32_e32 v6, 1, v39
	ds_store_b32 v2, v48
	v_dual_lshlrev_b32 v3, 2, v3 :: v_dual_add_nc_u32 v5, 7, v5
	v_cmp_eq_u32_e32 vcc_lo, 1, v6
	v_dual_sub_nc_u32 v6, v11, v54 :: v_dual_bitop2_b32 v2, 1, v33 bitop3:0x40
	ds_store_b32 v3, v49
	v_cndmask_b32_e32 v4, v8, v4, vcc_lo
	v_cmp_eq_u32_e32 vcc_lo, 1, v2
	s_delay_alu instid0(VALU_DEP_2)
	v_dual_lshlrev_b32 v4, 2, v4 :: v_dual_cndmask_b32 v2, v5, v7, vcc_lo
	v_dual_sub_nc_u32 v5, v10, v54 :: v_dual_bitop2_b32 v7, 1, v17 bitop3:0x40
	v_sub_nc_u32_e32 v3, v23, v6
	ds_store_b32 v4, v46
	v_dual_sub_nc_u32 v4, v23, v5 :: v_dual_lshlrev_b32 v2, 2, v2
	v_add_nc_u32_e32 v3, 9, v3
	v_cmp_eq_u32_e32 vcc_lo, 1, v7
	s_delay_alu instid0(VALU_DEP_3) | instskip(SKIP_3) | instid1(VALU_DEP_2)
	v_dual_sub_nc_u32 v7, v12, v54 :: v_dual_add_nc_u32 v4, 8, v4
	ds_store_b32 v2, v47
	v_dual_cndmask_b32 v3, v3, v6, vcc_lo :: v_dual_bitop2_b32 v2, 1, v27 bitop3:0x40
	v_dual_sub_nc_u32 v6, v13, v54 :: v_dual_sub_nc_u32 v8, v14, v54
	v_cmp_eq_u32_e32 vcc_lo, 1, v2
	v_dual_cndmask_b32 v2, v4, v5 :: v_dual_sub_nc_u32 v5, v23, v7
	s_delay_alu instid0(VALU_DEP_3) | instskip(SKIP_1) | instid1(VALU_DEP_3)
	v_dual_sub_nc_u32 v4, v23, v6 :: v_dual_sub_nc_u32 v9, v23, v8
	v_and_b32_e32 v10, 1, v15
	v_dual_lshlrev_b32 v2, 2, v2 :: v_dual_bitop2_b32 v12, 1, v25 bitop3:0x40
	s_delay_alu instid0(VALU_DEP_3) | instskip(NEXT) | instid1(VALU_DEP_1)
	v_dual_add_nc_u32 v4, 11, v4 :: v_dual_bitop2_b32 v11, 1, v29 bitop3:0x40
	v_cmp_eq_u32_e32 vcc_lo, 1, v11
	s_delay_alu instid0(VALU_DEP_2) | instskip(SKIP_3) | instid1(VALU_DEP_1)
	v_cndmask_b32_e32 v4, v4, v6, vcc_lo
	v_cmp_eq_u32_e32 vcc_lo, 1, v10
	v_add_nc_u32_e32 v9, 12, v9
	v_add_nc_u32_e32 v5, 10, v5
	v_cndmask_b32_e32 v5, v5, v7, vcc_lo
	v_cmp_eq_u32_e32 vcc_lo, 1, v12
	s_delay_alu instid0(VALU_DEP_2) | instskip(SKIP_3) | instid1(VALU_DEP_3)
	v_dual_lshlrev_b32 v3, 2, v3 :: v_dual_lshlrev_b32 v5, 2, v5
	v_cndmask_b32_e32 v6, v9, v8, vcc_lo
	v_lshlrev_b32_e32 v4, 2, v4
	v_cmp_ne_u32_e32 vcc_lo, 1, v21
	v_lshlrev_b32_e32 v6, 2, v6
	ds_store_b32 v2, v44
	ds_store_b32 v3, v45
	;; [unrolled: 1-line block ×5, first 2 shown]
	s_wait_dscnt 0x0
	s_barrier_signal -1
	s_barrier_wait -1
	ds_load_2addr_stride64_b32 v[14:15], v19 offset1:4
	ds_load_2addr_stride64_b32 v[12:13], v19 offset0:8 offset1:12
	ds_load_2addr_stride64_b32 v[10:11], v19 offset0:16 offset1:20
	;; [unrolled: 1-line block ×5, first 2 shown]
	ds_load_b32 v46, v19 offset:12288
	v_mov_b32_e32 v1, 0
	s_and_b32 vcc_lo, exec_lo, vcc_lo
	s_delay_alu instid0(VALU_DEP_1) | instskip(SKIP_3) | instid1(VALU_DEP_3)
	v_dual_mov_b32 v29, v1 :: v_dual_mov_b32 v55, v1
	v_dual_mov_b32 v41, v1 :: v_dual_mov_b32 v39, v1
	;; [unrolled: 1-line block ×3, first 2 shown]
	s_wait_kmcnt 0x0
	v_add_nc_u64_e32 v[2:3], s[18:19], v[54:55]
	v_dual_mov_b32 v33, v1 :: v_dual_mov_b32 v31, v1
	v_dual_mov_b32 v27, v1 :: v_dual_mov_b32 v25, v1
	;; [unrolled: 1-line block ×3, first 2 shown]
	v_mov_b32_e32 v19, v1
	s_cbranch_vccnz .LBB668_125
; %bb.72:
	v_mov_b32_e32 v17, v1
	s_mov_b32 s11, 0
	v_sub_nc_u64_e64 v[42:43], v[2:3], s[12:13]
	s_sub_nc_u64 s[0:1], s[14:15], s[10:11]
	s_delay_alu instid0(VALU_DEP_2) | instid1(SALU_CYCLE_1)
	v_add_nc_u64_e32 v[44:45], s[0:1], v[16:17]
	s_mov_b32 s0, exec_lo
	s_delay_alu instid0(VALU_DEP_1)
	v_add_nc_u64_e32 v[42:43], v[44:45], v[42:43]
                                        ; implicit-def: $vgpr44_vgpr45
	v_cmpx_ge_u32_e64 v0, v16
	s_xor_b32 s0, exec_lo, s0
; %bb.73:
	v_not_b32_e32 v44, v0
	s_delay_alu instid0(VALU_DEP_1) | instskip(NEXT) | instid1(VALU_DEP_1)
	v_ashrrev_i32_e32 v45, 31, v44
	v_add_nc_u64_e32 v[44:45], v[42:43], v[44:45]
; %bb.74:
	s_and_not1_saveexec_b32 s0, s0
; %bb.75:
	v_add_nc_u64_e32 v[44:45], v[2:3], v[0:1]
; %bb.76:
	s_or_b32 exec_lo, exec_lo, s0
	s_delay_alu instid0(VALU_DEP_1)
	v_lshl_add_u64 v[44:45], v[44:45], 2, s[16:17]
	s_mov_b32 s0, exec_lo
	s_wait_dscnt 0x6
	global_store_b32 v[44:45], v14, off
                                        ; implicit-def: $vgpr44_vgpr45
	s_wait_xcnt 0x0
	v_cmpx_ge_u32_e64 v40, v16
	s_xor_b32 s0, exec_lo, s0
; %bb.77:
	v_xor_b32_e32 v44, 0xfffffeff, v0
	s_delay_alu instid0(VALU_DEP_1) | instskip(NEXT) | instid1(VALU_DEP_1)
	v_ashrrev_i32_e32 v45, 31, v44
	v_add_nc_u64_e32 v[44:45], v[42:43], v[44:45]
; %bb.78:
	s_and_not1_saveexec_b32 s0, s0
; %bb.79:
	v_add_nc_u64_e32 v[44:45], v[2:3], v[40:41]
; %bb.80:
	s_or_b32 exec_lo, exec_lo, s0
	s_delay_alu instid0(VALU_DEP_1)
	v_lshl_add_u64 v[44:45], v[44:45], 2, s[16:17]
	s_mov_b32 s0, exec_lo
	global_store_b32 v[44:45], v15, off
                                        ; implicit-def: $vgpr44_vgpr45
	s_wait_xcnt 0x0
	v_cmpx_ge_u32_e64 v38, v16
	s_xor_b32 s0, exec_lo, s0
; %bb.81:
	v_xor_b32_e32 v44, 0xfffffdff, v0
	s_delay_alu instid0(VALU_DEP_1) | instskip(NEXT) | instid1(VALU_DEP_1)
	v_ashrrev_i32_e32 v45, 31, v44
	v_add_nc_u64_e32 v[44:45], v[42:43], v[44:45]
; %bb.82:
	s_and_not1_saveexec_b32 s0, s0
; %bb.83:
	v_add_nc_u64_e32 v[44:45], v[2:3], v[38:39]
; %bb.84:
	s_or_b32 exec_lo, exec_lo, s0
	s_delay_alu instid0(VALU_DEP_1)
	v_lshl_add_u64 v[44:45], v[44:45], 2, s[16:17]
	s_mov_b32 s0, exec_lo
	s_wait_dscnt 0x5
	global_store_b32 v[44:45], v12, off
                                        ; implicit-def: $vgpr44_vgpr45
	s_wait_xcnt 0x0
	v_cmpx_ge_u32_e64 v36, v16
	s_xor_b32 s0, exec_lo, s0
; %bb.85:
	v_xor_b32_e32 v44, 0xfffffcff, v0
	s_delay_alu instid0(VALU_DEP_1) | instskip(NEXT) | instid1(VALU_DEP_1)
	v_ashrrev_i32_e32 v45, 31, v44
	v_add_nc_u64_e32 v[44:45], v[42:43], v[44:45]
; %bb.86:
	s_and_not1_saveexec_b32 s0, s0
; %bb.87:
	v_add_nc_u64_e32 v[44:45], v[2:3], v[36:37]
; %bb.88:
	s_or_b32 exec_lo, exec_lo, s0
	s_delay_alu instid0(VALU_DEP_1)
	v_lshl_add_u64 v[44:45], v[44:45], 2, s[16:17]
	s_mov_b32 s0, exec_lo
	global_store_b32 v[44:45], v13, off
                                        ; implicit-def: $vgpr44_vgpr45
	s_wait_xcnt 0x0
	v_cmpx_ge_u32_e64 v34, v16
	s_xor_b32 s0, exec_lo, s0
; %bb.89:
	v_xor_b32_e32 v44, 0xfffffbff, v0
	;; [unrolled: 39-line block ×6, first 2 shown]
	s_delay_alu instid0(VALU_DEP_1) | instskip(NEXT) | instid1(VALU_DEP_1)
	v_ashrrev_i32_e32 v45, 31, v44
	v_add_nc_u64_e32 v[44:45], v[42:43], v[44:45]
; %bb.122:
	s_and_not1_saveexec_b32 s0, s0
; %bb.123:
	v_add_nc_u64_e32 v[44:45], v[2:3], v[18:19]
; %bb.124:
	s_or_b32 exec_lo, exec_lo, s0
	s_mov_b32 s0, -1
	s_branch .LBB668_205
.LBB668_125:
	s_mov_b32 s0, 0
                                        ; implicit-def: $vgpr44_vgpr45
	s_cbranch_execz .LBB668_205
; %bb.126:
	s_mov_b32 s11, 0
	v_mov_b32_e32 v17, 0
	s_add_nc_u64 s[2:3], s[12:13], s[10:11]
	s_mov_b32 s1, exec_lo
	s_sub_nc_u64 s[2:3], s[14:15], s[2:3]
	s_delay_alu instid0(VALU_DEP_1) | instid1(SALU_CYCLE_1)
	v_add_nc_u64_e32 v[42:43], s[2:3], v[16:17]
	s_delay_alu instid0(VALU_DEP_1)
	v_add_nc_u64_e32 v[42:43], v[42:43], v[2:3]
	v_cmpx_gt_u32_e64 s23, v0
	s_cbranch_execz .LBB668_162
; %bb.127:
	s_mov_b32 s2, exec_lo
                                        ; implicit-def: $vgpr44_vgpr45
	v_cmpx_ge_u32_e64 v0, v16
	s_xor_b32 s2, exec_lo, s2
; %bb.128:
	v_not_b32_e32 v44, v0
	s_delay_alu instid0(VALU_DEP_1) | instskip(NEXT) | instid1(VALU_DEP_1)
	v_ashrrev_i32_e32 v45, 31, v44
	v_add_nc_u64_e32 v[44:45], v[42:43], v[44:45]
; %bb.129:
	s_and_not1_saveexec_b32 s2, s2
; %bb.130:
	v_add_nc_u64_e32 v[44:45], v[2:3], v[0:1]
; %bb.131:
	s_or_b32 exec_lo, exec_lo, s2
	s_delay_alu instid0(VALU_DEP_1) | instskip(SKIP_4) | instid1(SALU_CYCLE_1)
	v_lshl_add_u64 v[44:45], v[44:45], 2, s[16:17]
	s_wait_dscnt 0x6
	global_store_b32 v[44:45], v14, off
	s_wait_xcnt 0x0
	s_or_b32 exec_lo, exec_lo, s1
	s_mov_b32 s1, exec_lo
	v_cmpx_gt_u32_e64 s23, v40
	s_cbranch_execnz .LBB668_163
.LBB668_132:
	s_or_b32 exec_lo, exec_lo, s1
	s_delay_alu instid0(SALU_CYCLE_1)
	s_mov_b32 s1, exec_lo
	v_cmpx_gt_u32_e64 s23, v38
	s_cbranch_execz .LBB668_168
.LBB668_133:
	s_mov_b32 s2, exec_lo
                                        ; implicit-def: $vgpr14_vgpr15
	v_cmpx_ge_u32_e64 v38, v16
	s_xor_b32 s2, exec_lo, s2
	s_cbranch_execz .LBB668_135
; %bb.134:
	s_wait_dscnt 0x6
	v_xor_b32_e32 v14, 0xfffffdff, v0
                                        ; implicit-def: $vgpr38_vgpr39
	s_delay_alu instid0(VALU_DEP_1) | instskip(NEXT) | instid1(VALU_DEP_1)
	v_ashrrev_i32_e32 v15, 31, v14
	v_add_nc_u64_e32 v[14:15], v[42:43], v[14:15]
.LBB668_135:
	s_and_not1_saveexec_b32 s2, s2
	s_cbranch_execz .LBB668_137
; %bb.136:
	s_wait_dscnt 0x6
	v_add_nc_u64_e32 v[14:15], v[2:3], v[38:39]
.LBB668_137:
	s_or_b32 exec_lo, exec_lo, s2
	s_wait_dscnt 0x6
	s_delay_alu instid0(VALU_DEP_1) | instskip(SKIP_4) | instid1(SALU_CYCLE_1)
	v_lshl_add_u64 v[14:15], v[14:15], 2, s[16:17]
	s_wait_dscnt 0x5
	global_store_b32 v[14:15], v12, off
	s_wait_xcnt 0x0
	s_or_b32 exec_lo, exec_lo, s1
	s_mov_b32 s1, exec_lo
	v_cmpx_gt_u32_e64 s23, v36
	s_cbranch_execnz .LBB668_169
.LBB668_138:
	s_or_b32 exec_lo, exec_lo, s1
	s_delay_alu instid0(SALU_CYCLE_1)
	s_mov_b32 s1, exec_lo
	v_cmpx_gt_u32_e64 s23, v34
	s_cbranch_execz .LBB668_174
.LBB668_139:
	s_mov_b32 s2, exec_lo
                                        ; implicit-def: $vgpr12_vgpr13
	v_cmpx_ge_u32_e64 v34, v16
	s_xor_b32 s2, exec_lo, s2
	s_cbranch_execz .LBB668_141
; %bb.140:
	s_wait_dscnt 0x5
	v_xor_b32_e32 v12, 0xfffffbff, v0
                                        ; implicit-def: $vgpr34_vgpr35
	s_delay_alu instid0(VALU_DEP_1) | instskip(NEXT) | instid1(VALU_DEP_1)
	v_ashrrev_i32_e32 v13, 31, v12
	v_add_nc_u64_e32 v[12:13], v[42:43], v[12:13]
.LBB668_141:
	s_and_not1_saveexec_b32 s2, s2
	s_cbranch_execz .LBB668_143
; %bb.142:
	s_wait_dscnt 0x5
	v_add_nc_u64_e32 v[12:13], v[2:3], v[34:35]
.LBB668_143:
	s_or_b32 exec_lo, exec_lo, s2
	s_wait_dscnt 0x5
	s_delay_alu instid0(VALU_DEP_1) | instskip(SKIP_4) | instid1(SALU_CYCLE_1)
	v_lshl_add_u64 v[12:13], v[12:13], 2, s[16:17]
	s_wait_dscnt 0x4
	global_store_b32 v[12:13], v10, off
	s_wait_xcnt 0x0
	s_or_b32 exec_lo, exec_lo, s1
	s_mov_b32 s1, exec_lo
	v_cmpx_gt_u32_e64 s23, v32
	s_cbranch_execnz .LBB668_175
.LBB668_144:
	s_or_b32 exec_lo, exec_lo, s1
	s_delay_alu instid0(SALU_CYCLE_1)
	s_mov_b32 s1, exec_lo
	v_cmpx_gt_u32_e64 s23, v30
	s_cbranch_execz .LBB668_180
.LBB668_145:
	s_mov_b32 s2, exec_lo
                                        ; implicit-def: $vgpr10_vgpr11
	v_cmpx_ge_u32_e64 v30, v16
	s_xor_b32 s2, exec_lo, s2
	s_cbranch_execz .LBB668_147
; %bb.146:
	s_wait_dscnt 0x4
	v_xor_b32_e32 v10, 0xfffff9ff, v0
                                        ; implicit-def: $vgpr30_vgpr31
	s_delay_alu instid0(VALU_DEP_1) | instskip(NEXT) | instid1(VALU_DEP_1)
	v_ashrrev_i32_e32 v11, 31, v10
	v_add_nc_u64_e32 v[10:11], v[42:43], v[10:11]
.LBB668_147:
	s_and_not1_saveexec_b32 s2, s2
	s_cbranch_execz .LBB668_149
; %bb.148:
	s_wait_dscnt 0x4
	v_add_nc_u64_e32 v[10:11], v[2:3], v[30:31]
.LBB668_149:
	s_or_b32 exec_lo, exec_lo, s2
	s_wait_dscnt 0x4
	s_delay_alu instid0(VALU_DEP_1) | instskip(SKIP_4) | instid1(SALU_CYCLE_1)
	v_lshl_add_u64 v[10:11], v[10:11], 2, s[16:17]
	s_wait_dscnt 0x3
	global_store_b32 v[10:11], v8, off
	s_wait_xcnt 0x0
	s_or_b32 exec_lo, exec_lo, s1
	s_mov_b32 s1, exec_lo
	v_cmpx_gt_u32_e64 s23, v28
	s_cbranch_execnz .LBB668_181
.LBB668_150:
	s_or_b32 exec_lo, exec_lo, s1
	s_delay_alu instid0(SALU_CYCLE_1)
	s_mov_b32 s1, exec_lo
	v_cmpx_gt_u32_e64 s23, v26
	s_cbranch_execz .LBB668_186
.LBB668_151:
	s_mov_b32 s2, exec_lo
                                        ; implicit-def: $vgpr8_vgpr9
	v_cmpx_ge_u32_e64 v26, v16
	s_xor_b32 s2, exec_lo, s2
	s_cbranch_execz .LBB668_153
; %bb.152:
	s_wait_dscnt 0x3
	v_xor_b32_e32 v8, 0xfffff7ff, v0
                                        ; implicit-def: $vgpr26_vgpr27
	s_delay_alu instid0(VALU_DEP_1) | instskip(NEXT) | instid1(VALU_DEP_1)
	v_ashrrev_i32_e32 v9, 31, v8
	v_add_nc_u64_e32 v[8:9], v[42:43], v[8:9]
.LBB668_153:
	s_and_not1_saveexec_b32 s2, s2
	s_cbranch_execz .LBB668_155
; %bb.154:
	s_wait_dscnt 0x3
	v_add_nc_u64_e32 v[8:9], v[2:3], v[26:27]
.LBB668_155:
	s_or_b32 exec_lo, exec_lo, s2
	s_wait_dscnt 0x3
	s_delay_alu instid0(VALU_DEP_1) | instskip(SKIP_4) | instid1(SALU_CYCLE_1)
	v_lshl_add_u64 v[8:9], v[8:9], 2, s[16:17]
	s_wait_dscnt 0x2
	global_store_b32 v[8:9], v6, off
	s_wait_xcnt 0x0
	s_or_b32 exec_lo, exec_lo, s1
	s_mov_b32 s1, exec_lo
	v_cmpx_gt_u32_e64 s23, v24
	s_cbranch_execnz .LBB668_187
.LBB668_156:
	s_or_b32 exec_lo, exec_lo, s1
	s_delay_alu instid0(SALU_CYCLE_1)
	s_mov_b32 s1, exec_lo
	v_cmpx_gt_u32_e64 s23, v22
	s_cbranch_execz .LBB668_192
.LBB668_157:
	s_mov_b32 s2, exec_lo
                                        ; implicit-def: $vgpr6_vgpr7
	v_cmpx_ge_u32_e64 v22, v16
	s_xor_b32 s2, exec_lo, s2
	s_cbranch_execz .LBB668_159
; %bb.158:
	s_wait_dscnt 0x2
	v_xor_b32_e32 v6, 0xfffff5ff, v0
                                        ; implicit-def: $vgpr22_vgpr23
	s_delay_alu instid0(VALU_DEP_1) | instskip(NEXT) | instid1(VALU_DEP_1)
	v_ashrrev_i32_e32 v7, 31, v6
	v_add_nc_u64_e32 v[6:7], v[42:43], v[6:7]
.LBB668_159:
	s_and_not1_saveexec_b32 s2, s2
	s_cbranch_execz .LBB668_161
; %bb.160:
	s_wait_dscnt 0x2
	v_add_nc_u64_e32 v[6:7], v[2:3], v[22:23]
.LBB668_161:
	s_or_b32 exec_lo, exec_lo, s2
	s_wait_dscnt 0x2
	s_delay_alu instid0(VALU_DEP_1) | instskip(SKIP_4) | instid1(SALU_CYCLE_1)
	v_lshl_add_u64 v[6:7], v[6:7], 2, s[16:17]
	s_wait_dscnt 0x1
	global_store_b32 v[6:7], v4, off
	s_wait_xcnt 0x0
	s_or_b32 exec_lo, exec_lo, s1
	s_mov_b32 s1, exec_lo
	v_cmpx_gt_u32_e64 s23, v20
	s_cbranch_execz .LBB668_198
	s_branch .LBB668_193
.LBB668_162:
	s_or_b32 exec_lo, exec_lo, s1
	s_delay_alu instid0(SALU_CYCLE_1)
	s_mov_b32 s1, exec_lo
	v_cmpx_gt_u32_e64 s23, v40
	s_cbranch_execz .LBB668_132
.LBB668_163:
	s_mov_b32 s2, exec_lo
                                        ; implicit-def: $vgpr44_vgpr45
	v_cmpx_ge_u32_e64 v40, v16
	s_xor_b32 s2, exec_lo, s2
; %bb.164:
	v_xor_b32_e32 v40, 0xfffffeff, v0
	s_delay_alu instid0(VALU_DEP_1) | instskip(NEXT) | instid1(VALU_DEP_1)
	v_ashrrev_i32_e32 v41, 31, v40
	v_add_nc_u64_e32 v[44:45], v[42:43], v[40:41]
                                        ; implicit-def: $vgpr40_vgpr41
; %bb.165:
	s_and_not1_saveexec_b32 s2, s2
; %bb.166:
	v_add_nc_u64_e32 v[44:45], v[2:3], v[40:41]
; %bb.167:
	s_or_b32 exec_lo, exec_lo, s2
	s_delay_alu instid0(VALU_DEP_1) | instskip(SKIP_4) | instid1(SALU_CYCLE_1)
	v_lshl_add_u64 v[40:41], v[44:45], 2, s[16:17]
	s_wait_dscnt 0x6
	global_store_b32 v[40:41], v15, off
	s_wait_xcnt 0x0
	s_or_b32 exec_lo, exec_lo, s1
	s_mov_b32 s1, exec_lo
	v_cmpx_gt_u32_e64 s23, v38
	s_cbranch_execnz .LBB668_133
.LBB668_168:
	s_or_b32 exec_lo, exec_lo, s1
	s_delay_alu instid0(SALU_CYCLE_1)
	s_mov_b32 s1, exec_lo
	v_cmpx_gt_u32_e64 s23, v36
	s_cbranch_execz .LBB668_138
.LBB668_169:
	s_mov_b32 s2, exec_lo
                                        ; implicit-def: $vgpr14_vgpr15
	v_cmpx_ge_u32_e64 v36, v16
	s_xor_b32 s2, exec_lo, s2
	s_cbranch_execz .LBB668_171
; %bb.170:
	s_wait_dscnt 0x6
	v_xor_b32_e32 v14, 0xfffffcff, v0
                                        ; implicit-def: $vgpr36_vgpr37
	s_delay_alu instid0(VALU_DEP_1) | instskip(NEXT) | instid1(VALU_DEP_1)
	v_ashrrev_i32_e32 v15, 31, v14
	v_add_nc_u64_e32 v[14:15], v[42:43], v[14:15]
.LBB668_171:
	s_and_not1_saveexec_b32 s2, s2
	s_cbranch_execz .LBB668_173
; %bb.172:
	s_wait_dscnt 0x6
	v_add_nc_u64_e32 v[14:15], v[2:3], v[36:37]
.LBB668_173:
	s_or_b32 exec_lo, exec_lo, s2
	s_wait_dscnt 0x6
	s_delay_alu instid0(VALU_DEP_1) | instskip(SKIP_4) | instid1(SALU_CYCLE_1)
	v_lshl_add_u64 v[14:15], v[14:15], 2, s[16:17]
	s_wait_dscnt 0x5
	global_store_b32 v[14:15], v13, off
	s_wait_xcnt 0x0
	s_or_b32 exec_lo, exec_lo, s1
	s_mov_b32 s1, exec_lo
	v_cmpx_gt_u32_e64 s23, v34
	s_cbranch_execnz .LBB668_139
.LBB668_174:
	s_or_b32 exec_lo, exec_lo, s1
	s_delay_alu instid0(SALU_CYCLE_1)
	s_mov_b32 s1, exec_lo
	v_cmpx_gt_u32_e64 s23, v32
	s_cbranch_execz .LBB668_144
.LBB668_175:
	s_mov_b32 s2, exec_lo
                                        ; implicit-def: $vgpr12_vgpr13
	v_cmpx_ge_u32_e64 v32, v16
	s_xor_b32 s2, exec_lo, s2
	s_cbranch_execz .LBB668_177
; %bb.176:
	s_wait_dscnt 0x5
	v_xor_b32_e32 v12, 0xfffffaff, v0
                                        ; implicit-def: $vgpr32_vgpr33
	s_delay_alu instid0(VALU_DEP_1) | instskip(NEXT) | instid1(VALU_DEP_1)
	v_ashrrev_i32_e32 v13, 31, v12
	v_add_nc_u64_e32 v[12:13], v[42:43], v[12:13]
.LBB668_177:
	s_and_not1_saveexec_b32 s2, s2
	s_cbranch_execz .LBB668_179
; %bb.178:
	s_wait_dscnt 0x5
	v_add_nc_u64_e32 v[12:13], v[2:3], v[32:33]
.LBB668_179:
	s_or_b32 exec_lo, exec_lo, s2
	s_wait_dscnt 0x5
	s_delay_alu instid0(VALU_DEP_1) | instskip(SKIP_4) | instid1(SALU_CYCLE_1)
	v_lshl_add_u64 v[12:13], v[12:13], 2, s[16:17]
	s_wait_dscnt 0x4
	global_store_b32 v[12:13], v11, off
	s_wait_xcnt 0x0
	s_or_b32 exec_lo, exec_lo, s1
	s_mov_b32 s1, exec_lo
	v_cmpx_gt_u32_e64 s23, v30
	s_cbranch_execnz .LBB668_145
.LBB668_180:
	s_or_b32 exec_lo, exec_lo, s1
	s_delay_alu instid0(SALU_CYCLE_1)
	s_mov_b32 s1, exec_lo
	v_cmpx_gt_u32_e64 s23, v28
	s_cbranch_execz .LBB668_150
.LBB668_181:
	s_mov_b32 s2, exec_lo
                                        ; implicit-def: $vgpr10_vgpr11
	v_cmpx_ge_u32_e64 v28, v16
	s_xor_b32 s2, exec_lo, s2
	s_cbranch_execz .LBB668_183
; %bb.182:
	s_wait_dscnt 0x4
	v_xor_b32_e32 v10, 0xfffff8ff, v0
                                        ; implicit-def: $vgpr28_vgpr29
	s_delay_alu instid0(VALU_DEP_1) | instskip(NEXT) | instid1(VALU_DEP_1)
	v_ashrrev_i32_e32 v11, 31, v10
	v_add_nc_u64_e32 v[10:11], v[42:43], v[10:11]
.LBB668_183:
	s_and_not1_saveexec_b32 s2, s2
	s_cbranch_execz .LBB668_185
; %bb.184:
	s_wait_dscnt 0x4
	v_add_nc_u64_e32 v[10:11], v[2:3], v[28:29]
.LBB668_185:
	s_or_b32 exec_lo, exec_lo, s2
	s_wait_dscnt 0x4
	s_delay_alu instid0(VALU_DEP_1) | instskip(SKIP_4) | instid1(SALU_CYCLE_1)
	v_lshl_add_u64 v[10:11], v[10:11], 2, s[16:17]
	s_wait_dscnt 0x3
	global_store_b32 v[10:11], v9, off
	s_wait_xcnt 0x0
	s_or_b32 exec_lo, exec_lo, s1
	s_mov_b32 s1, exec_lo
	v_cmpx_gt_u32_e64 s23, v26
	s_cbranch_execnz .LBB668_151
.LBB668_186:
	s_or_b32 exec_lo, exec_lo, s1
	s_delay_alu instid0(SALU_CYCLE_1)
	s_mov_b32 s1, exec_lo
	v_cmpx_gt_u32_e64 s23, v24
	s_cbranch_execz .LBB668_156
.LBB668_187:
	s_mov_b32 s2, exec_lo
                                        ; implicit-def: $vgpr8_vgpr9
	v_cmpx_ge_u32_e64 v24, v16
	s_xor_b32 s2, exec_lo, s2
	s_cbranch_execz .LBB668_189
; %bb.188:
	s_wait_dscnt 0x3
	v_xor_b32_e32 v8, 0xfffff6ff, v0
                                        ; implicit-def: $vgpr24_vgpr25
	s_delay_alu instid0(VALU_DEP_1) | instskip(NEXT) | instid1(VALU_DEP_1)
	v_ashrrev_i32_e32 v9, 31, v8
	v_add_nc_u64_e32 v[8:9], v[42:43], v[8:9]
.LBB668_189:
	s_and_not1_saveexec_b32 s2, s2
	s_cbranch_execz .LBB668_191
; %bb.190:
	s_wait_dscnt 0x3
	v_add_nc_u64_e32 v[8:9], v[2:3], v[24:25]
.LBB668_191:
	s_or_b32 exec_lo, exec_lo, s2
	s_wait_dscnt 0x3
	s_delay_alu instid0(VALU_DEP_1) | instskip(SKIP_4) | instid1(SALU_CYCLE_1)
	v_lshl_add_u64 v[8:9], v[8:9], 2, s[16:17]
	s_wait_dscnt 0x2
	global_store_b32 v[8:9], v7, off
	s_wait_xcnt 0x0
	s_or_b32 exec_lo, exec_lo, s1
	s_mov_b32 s1, exec_lo
	v_cmpx_gt_u32_e64 s23, v22
	s_cbranch_execnz .LBB668_157
.LBB668_192:
	s_or_b32 exec_lo, exec_lo, s1
	s_delay_alu instid0(SALU_CYCLE_1)
	s_mov_b32 s1, exec_lo
	v_cmpx_gt_u32_e64 s23, v20
	s_cbranch_execz .LBB668_198
.LBB668_193:
	s_mov_b32 s2, exec_lo
                                        ; implicit-def: $vgpr6_vgpr7
	v_cmpx_ge_u32_e64 v20, v16
	s_xor_b32 s2, exec_lo, s2
	s_cbranch_execz .LBB668_195
; %bb.194:
	s_wait_dscnt 0x2
	v_xor_b32_e32 v6, 0xfffff4ff, v0
                                        ; implicit-def: $vgpr20_vgpr21
	s_delay_alu instid0(VALU_DEP_1) | instskip(NEXT) | instid1(VALU_DEP_1)
	v_ashrrev_i32_e32 v7, 31, v6
	v_add_nc_u64_e32 v[6:7], v[42:43], v[6:7]
.LBB668_195:
	s_and_not1_saveexec_b32 s2, s2
	s_cbranch_execz .LBB668_197
; %bb.196:
	s_wait_dscnt 0x2
	v_add_nc_u64_e32 v[6:7], v[2:3], v[20:21]
.LBB668_197:
	s_or_b32 exec_lo, exec_lo, s2
	s_wait_dscnt 0x2
	s_delay_alu instid0(VALU_DEP_1)
	v_lshl_add_u64 v[6:7], v[6:7], 2, s[16:17]
	s_wait_dscnt 0x1
	global_store_b32 v[6:7], v5, off
.LBB668_198:
	s_wait_xcnt 0x0
	s_or_b32 exec_lo, exec_lo, s1
	s_delay_alu instid0(SALU_CYCLE_1)
	s_mov_b32 s1, exec_lo
                                        ; implicit-def: $vgpr44_vgpr45
	v_cmpx_gt_u32_e64 s23, v18
	s_cbranch_execz .LBB668_204
; %bb.199:
	s_mov_b32 s2, exec_lo
                                        ; implicit-def: $vgpr44_vgpr45
	v_cmpx_ge_u32_e64 v18, v16
	s_xor_b32 s2, exec_lo, s2
	s_cbranch_execz .LBB668_201
; %bb.200:
	s_wait_dscnt 0x1
	v_xor_b32_e32 v4, 0xfffff3ff, v0
                                        ; implicit-def: $vgpr18_vgpr19
	s_delay_alu instid0(VALU_DEP_1) | instskip(NEXT) | instid1(VALU_DEP_1)
	v_ashrrev_i32_e32 v5, 31, v4
	v_add_nc_u64_e32 v[44:45], v[42:43], v[4:5]
.LBB668_201:
	s_and_not1_saveexec_b32 s2, s2
; %bb.202:
	v_add_nc_u64_e32 v[44:45], v[2:3], v[18:19]
; %bb.203:
	s_or_b32 exec_lo, exec_lo, s2
	s_delay_alu instid0(SALU_CYCLE_1)
	s_or_b32 s0, s0, exec_lo
.LBB668_204:
	s_or_b32 exec_lo, exec_lo, s1
.LBB668_205:
	s_and_saveexec_b32 s1, s0
	s_cbranch_execz .LBB668_207
; %bb.206:
	s_wait_dscnt 0x1
	v_lshl_add_u64 v[4:5], v[44:45], 2, s[16:17]
	s_wait_dscnt 0x0
	global_store_b32 v[4:5], v46, off
.LBB668_207:
	s_wait_xcnt 0x0
	s_or_b32 exec_lo, exec_lo, s1
	v_cmp_eq_u32_e32 vcc_lo, 0, v0
	s_and_b32 s0, vcc_lo, s22
	s_delay_alu instid0(SALU_CYCLE_1)
	s_and_saveexec_b32 s1, s0
	s_cbranch_execz .LBB668_209
; %bb.208:
	v_mov_b32_e32 v17, 0
	s_delay_alu instid0(VALU_DEP_1)
	v_add_nc_u64_e32 v[0:1], v[2:3], v[16:17]
	global_store_b64 v17, v[0:1], s[8:9]
.LBB668_209:
	s_sendmsg sendmsg(MSG_DEALLOC_VGPRS)
	s_endpgm
	.section	.rodata,"a",@progbits
	.p2align	6, 0x0
	.amdhsa_kernel _ZN7rocprim17ROCPRIM_400000_NS6detail17trampoline_kernelINS0_13select_configILj256ELj13ELNS0_17block_load_methodE3ELS4_3ELS4_3ELNS0_20block_scan_algorithmE0ELj4294967295EEENS1_25partition_config_selectorILNS1_17partition_subalgoE3EjNS0_10empty_typeEbEEZZNS1_14partition_implILS8_3ELb0ES6_jNS0_17counting_iteratorIjlEEPS9_SE_NS0_5tupleIJPjSE_EEENSF_IJSE_SE_EEES9_SG_JZNS1_25segmented_radix_sort_implINS0_14default_configELb1EPKlPlSM_SN_N2at6native12_GLOBAL__N_18offset_tEEE10hipError_tPvRmT1_PNSt15iterator_traitsISV_E10value_typeET2_T3_PNSW_IS11_E10value_typeET4_jRbjT5_S17_jjP12ihipStream_tbEUljE_EEESS_ST_SU_S11_S15_S17_T6_T7_T9_mT8_S19_bDpT10_ENKUlT_T0_E_clISt17integral_constantIbLb0EES1M_EEDaS1H_S1I_EUlS1H_E_NS1_11comp_targetILNS1_3genE0ELNS1_11target_archE4294967295ELNS1_3gpuE0ELNS1_3repE0EEENS1_30default_config_static_selectorELNS0_4arch9wavefront6targetE0EEEvSV_
		.amdhsa_group_segment_fixed_size 13320
		.amdhsa_private_segment_fixed_size 0
		.amdhsa_kernarg_size 144
		.amdhsa_user_sgpr_count 2
		.amdhsa_user_sgpr_dispatch_ptr 0
		.amdhsa_user_sgpr_queue_ptr 0
		.amdhsa_user_sgpr_kernarg_segment_ptr 1
		.amdhsa_user_sgpr_dispatch_id 0
		.amdhsa_user_sgpr_kernarg_preload_length 0
		.amdhsa_user_sgpr_kernarg_preload_offset 0
		.amdhsa_user_sgpr_private_segment_size 0
		.amdhsa_wavefront_size32 1
		.amdhsa_uses_dynamic_stack 0
		.amdhsa_enable_private_segment 0
		.amdhsa_system_sgpr_workgroup_id_x 1
		.amdhsa_system_sgpr_workgroup_id_y 0
		.amdhsa_system_sgpr_workgroup_id_z 0
		.amdhsa_system_sgpr_workgroup_info 0
		.amdhsa_system_vgpr_workitem_id 0
		.amdhsa_next_free_vgpr 69
		.amdhsa_next_free_sgpr 26
		.amdhsa_named_barrier_count 0
		.amdhsa_reserve_vcc 1
		.amdhsa_float_round_mode_32 0
		.amdhsa_float_round_mode_16_64 0
		.amdhsa_float_denorm_mode_32 3
		.amdhsa_float_denorm_mode_16_64 3
		.amdhsa_fp16_overflow 0
		.amdhsa_memory_ordered 1
		.amdhsa_forward_progress 1
		.amdhsa_inst_pref_size 70
		.amdhsa_round_robin_scheduling 0
		.amdhsa_exception_fp_ieee_invalid_op 0
		.amdhsa_exception_fp_denorm_src 0
		.amdhsa_exception_fp_ieee_div_zero 0
		.amdhsa_exception_fp_ieee_overflow 0
		.amdhsa_exception_fp_ieee_underflow 0
		.amdhsa_exception_fp_ieee_inexact 0
		.amdhsa_exception_int_div_zero 0
	.end_amdhsa_kernel
	.section	.text._ZN7rocprim17ROCPRIM_400000_NS6detail17trampoline_kernelINS0_13select_configILj256ELj13ELNS0_17block_load_methodE3ELS4_3ELS4_3ELNS0_20block_scan_algorithmE0ELj4294967295EEENS1_25partition_config_selectorILNS1_17partition_subalgoE3EjNS0_10empty_typeEbEEZZNS1_14partition_implILS8_3ELb0ES6_jNS0_17counting_iteratorIjlEEPS9_SE_NS0_5tupleIJPjSE_EEENSF_IJSE_SE_EEES9_SG_JZNS1_25segmented_radix_sort_implINS0_14default_configELb1EPKlPlSM_SN_N2at6native12_GLOBAL__N_18offset_tEEE10hipError_tPvRmT1_PNSt15iterator_traitsISV_E10value_typeET2_T3_PNSW_IS11_E10value_typeET4_jRbjT5_S17_jjP12ihipStream_tbEUljE_EEESS_ST_SU_S11_S15_S17_T6_T7_T9_mT8_S19_bDpT10_ENKUlT_T0_E_clISt17integral_constantIbLb0EES1M_EEDaS1H_S1I_EUlS1H_E_NS1_11comp_targetILNS1_3genE0ELNS1_11target_archE4294967295ELNS1_3gpuE0ELNS1_3repE0EEENS1_30default_config_static_selectorELNS0_4arch9wavefront6targetE0EEEvSV_,"axG",@progbits,_ZN7rocprim17ROCPRIM_400000_NS6detail17trampoline_kernelINS0_13select_configILj256ELj13ELNS0_17block_load_methodE3ELS4_3ELS4_3ELNS0_20block_scan_algorithmE0ELj4294967295EEENS1_25partition_config_selectorILNS1_17partition_subalgoE3EjNS0_10empty_typeEbEEZZNS1_14partition_implILS8_3ELb0ES6_jNS0_17counting_iteratorIjlEEPS9_SE_NS0_5tupleIJPjSE_EEENSF_IJSE_SE_EEES9_SG_JZNS1_25segmented_radix_sort_implINS0_14default_configELb1EPKlPlSM_SN_N2at6native12_GLOBAL__N_18offset_tEEE10hipError_tPvRmT1_PNSt15iterator_traitsISV_E10value_typeET2_T3_PNSW_IS11_E10value_typeET4_jRbjT5_S17_jjP12ihipStream_tbEUljE_EEESS_ST_SU_S11_S15_S17_T6_T7_T9_mT8_S19_bDpT10_ENKUlT_T0_E_clISt17integral_constantIbLb0EES1M_EEDaS1H_S1I_EUlS1H_E_NS1_11comp_targetILNS1_3genE0ELNS1_11target_archE4294967295ELNS1_3gpuE0ELNS1_3repE0EEENS1_30default_config_static_selectorELNS0_4arch9wavefront6targetE0EEEvSV_,comdat
.Lfunc_end668:
	.size	_ZN7rocprim17ROCPRIM_400000_NS6detail17trampoline_kernelINS0_13select_configILj256ELj13ELNS0_17block_load_methodE3ELS4_3ELS4_3ELNS0_20block_scan_algorithmE0ELj4294967295EEENS1_25partition_config_selectorILNS1_17partition_subalgoE3EjNS0_10empty_typeEbEEZZNS1_14partition_implILS8_3ELb0ES6_jNS0_17counting_iteratorIjlEEPS9_SE_NS0_5tupleIJPjSE_EEENSF_IJSE_SE_EEES9_SG_JZNS1_25segmented_radix_sort_implINS0_14default_configELb1EPKlPlSM_SN_N2at6native12_GLOBAL__N_18offset_tEEE10hipError_tPvRmT1_PNSt15iterator_traitsISV_E10value_typeET2_T3_PNSW_IS11_E10value_typeET4_jRbjT5_S17_jjP12ihipStream_tbEUljE_EEESS_ST_SU_S11_S15_S17_T6_T7_T9_mT8_S19_bDpT10_ENKUlT_T0_E_clISt17integral_constantIbLb0EES1M_EEDaS1H_S1I_EUlS1H_E_NS1_11comp_targetILNS1_3genE0ELNS1_11target_archE4294967295ELNS1_3gpuE0ELNS1_3repE0EEENS1_30default_config_static_selectorELNS0_4arch9wavefront6targetE0EEEvSV_, .Lfunc_end668-_ZN7rocprim17ROCPRIM_400000_NS6detail17trampoline_kernelINS0_13select_configILj256ELj13ELNS0_17block_load_methodE3ELS4_3ELS4_3ELNS0_20block_scan_algorithmE0ELj4294967295EEENS1_25partition_config_selectorILNS1_17partition_subalgoE3EjNS0_10empty_typeEbEEZZNS1_14partition_implILS8_3ELb0ES6_jNS0_17counting_iteratorIjlEEPS9_SE_NS0_5tupleIJPjSE_EEENSF_IJSE_SE_EEES9_SG_JZNS1_25segmented_radix_sort_implINS0_14default_configELb1EPKlPlSM_SN_N2at6native12_GLOBAL__N_18offset_tEEE10hipError_tPvRmT1_PNSt15iterator_traitsISV_E10value_typeET2_T3_PNSW_IS11_E10value_typeET4_jRbjT5_S17_jjP12ihipStream_tbEUljE_EEESS_ST_SU_S11_S15_S17_T6_T7_T9_mT8_S19_bDpT10_ENKUlT_T0_E_clISt17integral_constantIbLb0EES1M_EEDaS1H_S1I_EUlS1H_E_NS1_11comp_targetILNS1_3genE0ELNS1_11target_archE4294967295ELNS1_3gpuE0ELNS1_3repE0EEENS1_30default_config_static_selectorELNS0_4arch9wavefront6targetE0EEEvSV_
                                        ; -- End function
	.set _ZN7rocprim17ROCPRIM_400000_NS6detail17trampoline_kernelINS0_13select_configILj256ELj13ELNS0_17block_load_methodE3ELS4_3ELS4_3ELNS0_20block_scan_algorithmE0ELj4294967295EEENS1_25partition_config_selectorILNS1_17partition_subalgoE3EjNS0_10empty_typeEbEEZZNS1_14partition_implILS8_3ELb0ES6_jNS0_17counting_iteratorIjlEEPS9_SE_NS0_5tupleIJPjSE_EEENSF_IJSE_SE_EEES9_SG_JZNS1_25segmented_radix_sort_implINS0_14default_configELb1EPKlPlSM_SN_N2at6native12_GLOBAL__N_18offset_tEEE10hipError_tPvRmT1_PNSt15iterator_traitsISV_E10value_typeET2_T3_PNSW_IS11_E10value_typeET4_jRbjT5_S17_jjP12ihipStream_tbEUljE_EEESS_ST_SU_S11_S15_S17_T6_T7_T9_mT8_S19_bDpT10_ENKUlT_T0_E_clISt17integral_constantIbLb0EES1M_EEDaS1H_S1I_EUlS1H_E_NS1_11comp_targetILNS1_3genE0ELNS1_11target_archE4294967295ELNS1_3gpuE0ELNS1_3repE0EEENS1_30default_config_static_selectorELNS0_4arch9wavefront6targetE0EEEvSV_.num_vgpr, 69
	.set _ZN7rocprim17ROCPRIM_400000_NS6detail17trampoline_kernelINS0_13select_configILj256ELj13ELNS0_17block_load_methodE3ELS4_3ELS4_3ELNS0_20block_scan_algorithmE0ELj4294967295EEENS1_25partition_config_selectorILNS1_17partition_subalgoE3EjNS0_10empty_typeEbEEZZNS1_14partition_implILS8_3ELb0ES6_jNS0_17counting_iteratorIjlEEPS9_SE_NS0_5tupleIJPjSE_EEENSF_IJSE_SE_EEES9_SG_JZNS1_25segmented_radix_sort_implINS0_14default_configELb1EPKlPlSM_SN_N2at6native12_GLOBAL__N_18offset_tEEE10hipError_tPvRmT1_PNSt15iterator_traitsISV_E10value_typeET2_T3_PNSW_IS11_E10value_typeET4_jRbjT5_S17_jjP12ihipStream_tbEUljE_EEESS_ST_SU_S11_S15_S17_T6_T7_T9_mT8_S19_bDpT10_ENKUlT_T0_E_clISt17integral_constantIbLb0EES1M_EEDaS1H_S1I_EUlS1H_E_NS1_11comp_targetILNS1_3genE0ELNS1_11target_archE4294967295ELNS1_3gpuE0ELNS1_3repE0EEENS1_30default_config_static_selectorELNS0_4arch9wavefront6targetE0EEEvSV_.num_agpr, 0
	.set _ZN7rocprim17ROCPRIM_400000_NS6detail17trampoline_kernelINS0_13select_configILj256ELj13ELNS0_17block_load_methodE3ELS4_3ELS4_3ELNS0_20block_scan_algorithmE0ELj4294967295EEENS1_25partition_config_selectorILNS1_17partition_subalgoE3EjNS0_10empty_typeEbEEZZNS1_14partition_implILS8_3ELb0ES6_jNS0_17counting_iteratorIjlEEPS9_SE_NS0_5tupleIJPjSE_EEENSF_IJSE_SE_EEES9_SG_JZNS1_25segmented_radix_sort_implINS0_14default_configELb1EPKlPlSM_SN_N2at6native12_GLOBAL__N_18offset_tEEE10hipError_tPvRmT1_PNSt15iterator_traitsISV_E10value_typeET2_T3_PNSW_IS11_E10value_typeET4_jRbjT5_S17_jjP12ihipStream_tbEUljE_EEESS_ST_SU_S11_S15_S17_T6_T7_T9_mT8_S19_bDpT10_ENKUlT_T0_E_clISt17integral_constantIbLb0EES1M_EEDaS1H_S1I_EUlS1H_E_NS1_11comp_targetILNS1_3genE0ELNS1_11target_archE4294967295ELNS1_3gpuE0ELNS1_3repE0EEENS1_30default_config_static_selectorELNS0_4arch9wavefront6targetE0EEEvSV_.numbered_sgpr, 26
	.set _ZN7rocprim17ROCPRIM_400000_NS6detail17trampoline_kernelINS0_13select_configILj256ELj13ELNS0_17block_load_methodE3ELS4_3ELS4_3ELNS0_20block_scan_algorithmE0ELj4294967295EEENS1_25partition_config_selectorILNS1_17partition_subalgoE3EjNS0_10empty_typeEbEEZZNS1_14partition_implILS8_3ELb0ES6_jNS0_17counting_iteratorIjlEEPS9_SE_NS0_5tupleIJPjSE_EEENSF_IJSE_SE_EEES9_SG_JZNS1_25segmented_radix_sort_implINS0_14default_configELb1EPKlPlSM_SN_N2at6native12_GLOBAL__N_18offset_tEEE10hipError_tPvRmT1_PNSt15iterator_traitsISV_E10value_typeET2_T3_PNSW_IS11_E10value_typeET4_jRbjT5_S17_jjP12ihipStream_tbEUljE_EEESS_ST_SU_S11_S15_S17_T6_T7_T9_mT8_S19_bDpT10_ENKUlT_T0_E_clISt17integral_constantIbLb0EES1M_EEDaS1H_S1I_EUlS1H_E_NS1_11comp_targetILNS1_3genE0ELNS1_11target_archE4294967295ELNS1_3gpuE0ELNS1_3repE0EEENS1_30default_config_static_selectorELNS0_4arch9wavefront6targetE0EEEvSV_.num_named_barrier, 0
	.set _ZN7rocprim17ROCPRIM_400000_NS6detail17trampoline_kernelINS0_13select_configILj256ELj13ELNS0_17block_load_methodE3ELS4_3ELS4_3ELNS0_20block_scan_algorithmE0ELj4294967295EEENS1_25partition_config_selectorILNS1_17partition_subalgoE3EjNS0_10empty_typeEbEEZZNS1_14partition_implILS8_3ELb0ES6_jNS0_17counting_iteratorIjlEEPS9_SE_NS0_5tupleIJPjSE_EEENSF_IJSE_SE_EEES9_SG_JZNS1_25segmented_radix_sort_implINS0_14default_configELb1EPKlPlSM_SN_N2at6native12_GLOBAL__N_18offset_tEEE10hipError_tPvRmT1_PNSt15iterator_traitsISV_E10value_typeET2_T3_PNSW_IS11_E10value_typeET4_jRbjT5_S17_jjP12ihipStream_tbEUljE_EEESS_ST_SU_S11_S15_S17_T6_T7_T9_mT8_S19_bDpT10_ENKUlT_T0_E_clISt17integral_constantIbLb0EES1M_EEDaS1H_S1I_EUlS1H_E_NS1_11comp_targetILNS1_3genE0ELNS1_11target_archE4294967295ELNS1_3gpuE0ELNS1_3repE0EEENS1_30default_config_static_selectorELNS0_4arch9wavefront6targetE0EEEvSV_.private_seg_size, 0
	.set _ZN7rocprim17ROCPRIM_400000_NS6detail17trampoline_kernelINS0_13select_configILj256ELj13ELNS0_17block_load_methodE3ELS4_3ELS4_3ELNS0_20block_scan_algorithmE0ELj4294967295EEENS1_25partition_config_selectorILNS1_17partition_subalgoE3EjNS0_10empty_typeEbEEZZNS1_14partition_implILS8_3ELb0ES6_jNS0_17counting_iteratorIjlEEPS9_SE_NS0_5tupleIJPjSE_EEENSF_IJSE_SE_EEES9_SG_JZNS1_25segmented_radix_sort_implINS0_14default_configELb1EPKlPlSM_SN_N2at6native12_GLOBAL__N_18offset_tEEE10hipError_tPvRmT1_PNSt15iterator_traitsISV_E10value_typeET2_T3_PNSW_IS11_E10value_typeET4_jRbjT5_S17_jjP12ihipStream_tbEUljE_EEESS_ST_SU_S11_S15_S17_T6_T7_T9_mT8_S19_bDpT10_ENKUlT_T0_E_clISt17integral_constantIbLb0EES1M_EEDaS1H_S1I_EUlS1H_E_NS1_11comp_targetILNS1_3genE0ELNS1_11target_archE4294967295ELNS1_3gpuE0ELNS1_3repE0EEENS1_30default_config_static_selectorELNS0_4arch9wavefront6targetE0EEEvSV_.uses_vcc, 1
	.set _ZN7rocprim17ROCPRIM_400000_NS6detail17trampoline_kernelINS0_13select_configILj256ELj13ELNS0_17block_load_methodE3ELS4_3ELS4_3ELNS0_20block_scan_algorithmE0ELj4294967295EEENS1_25partition_config_selectorILNS1_17partition_subalgoE3EjNS0_10empty_typeEbEEZZNS1_14partition_implILS8_3ELb0ES6_jNS0_17counting_iteratorIjlEEPS9_SE_NS0_5tupleIJPjSE_EEENSF_IJSE_SE_EEES9_SG_JZNS1_25segmented_radix_sort_implINS0_14default_configELb1EPKlPlSM_SN_N2at6native12_GLOBAL__N_18offset_tEEE10hipError_tPvRmT1_PNSt15iterator_traitsISV_E10value_typeET2_T3_PNSW_IS11_E10value_typeET4_jRbjT5_S17_jjP12ihipStream_tbEUljE_EEESS_ST_SU_S11_S15_S17_T6_T7_T9_mT8_S19_bDpT10_ENKUlT_T0_E_clISt17integral_constantIbLb0EES1M_EEDaS1H_S1I_EUlS1H_E_NS1_11comp_targetILNS1_3genE0ELNS1_11target_archE4294967295ELNS1_3gpuE0ELNS1_3repE0EEENS1_30default_config_static_selectorELNS0_4arch9wavefront6targetE0EEEvSV_.uses_flat_scratch, 0
	.set _ZN7rocprim17ROCPRIM_400000_NS6detail17trampoline_kernelINS0_13select_configILj256ELj13ELNS0_17block_load_methodE3ELS4_3ELS4_3ELNS0_20block_scan_algorithmE0ELj4294967295EEENS1_25partition_config_selectorILNS1_17partition_subalgoE3EjNS0_10empty_typeEbEEZZNS1_14partition_implILS8_3ELb0ES6_jNS0_17counting_iteratorIjlEEPS9_SE_NS0_5tupleIJPjSE_EEENSF_IJSE_SE_EEES9_SG_JZNS1_25segmented_radix_sort_implINS0_14default_configELb1EPKlPlSM_SN_N2at6native12_GLOBAL__N_18offset_tEEE10hipError_tPvRmT1_PNSt15iterator_traitsISV_E10value_typeET2_T3_PNSW_IS11_E10value_typeET4_jRbjT5_S17_jjP12ihipStream_tbEUljE_EEESS_ST_SU_S11_S15_S17_T6_T7_T9_mT8_S19_bDpT10_ENKUlT_T0_E_clISt17integral_constantIbLb0EES1M_EEDaS1H_S1I_EUlS1H_E_NS1_11comp_targetILNS1_3genE0ELNS1_11target_archE4294967295ELNS1_3gpuE0ELNS1_3repE0EEENS1_30default_config_static_selectorELNS0_4arch9wavefront6targetE0EEEvSV_.has_dyn_sized_stack, 0
	.set _ZN7rocprim17ROCPRIM_400000_NS6detail17trampoline_kernelINS0_13select_configILj256ELj13ELNS0_17block_load_methodE3ELS4_3ELS4_3ELNS0_20block_scan_algorithmE0ELj4294967295EEENS1_25partition_config_selectorILNS1_17partition_subalgoE3EjNS0_10empty_typeEbEEZZNS1_14partition_implILS8_3ELb0ES6_jNS0_17counting_iteratorIjlEEPS9_SE_NS0_5tupleIJPjSE_EEENSF_IJSE_SE_EEES9_SG_JZNS1_25segmented_radix_sort_implINS0_14default_configELb1EPKlPlSM_SN_N2at6native12_GLOBAL__N_18offset_tEEE10hipError_tPvRmT1_PNSt15iterator_traitsISV_E10value_typeET2_T3_PNSW_IS11_E10value_typeET4_jRbjT5_S17_jjP12ihipStream_tbEUljE_EEESS_ST_SU_S11_S15_S17_T6_T7_T9_mT8_S19_bDpT10_ENKUlT_T0_E_clISt17integral_constantIbLb0EES1M_EEDaS1H_S1I_EUlS1H_E_NS1_11comp_targetILNS1_3genE0ELNS1_11target_archE4294967295ELNS1_3gpuE0ELNS1_3repE0EEENS1_30default_config_static_selectorELNS0_4arch9wavefront6targetE0EEEvSV_.has_recursion, 0
	.set _ZN7rocprim17ROCPRIM_400000_NS6detail17trampoline_kernelINS0_13select_configILj256ELj13ELNS0_17block_load_methodE3ELS4_3ELS4_3ELNS0_20block_scan_algorithmE0ELj4294967295EEENS1_25partition_config_selectorILNS1_17partition_subalgoE3EjNS0_10empty_typeEbEEZZNS1_14partition_implILS8_3ELb0ES6_jNS0_17counting_iteratorIjlEEPS9_SE_NS0_5tupleIJPjSE_EEENSF_IJSE_SE_EEES9_SG_JZNS1_25segmented_radix_sort_implINS0_14default_configELb1EPKlPlSM_SN_N2at6native12_GLOBAL__N_18offset_tEEE10hipError_tPvRmT1_PNSt15iterator_traitsISV_E10value_typeET2_T3_PNSW_IS11_E10value_typeET4_jRbjT5_S17_jjP12ihipStream_tbEUljE_EEESS_ST_SU_S11_S15_S17_T6_T7_T9_mT8_S19_bDpT10_ENKUlT_T0_E_clISt17integral_constantIbLb0EES1M_EEDaS1H_S1I_EUlS1H_E_NS1_11comp_targetILNS1_3genE0ELNS1_11target_archE4294967295ELNS1_3gpuE0ELNS1_3repE0EEENS1_30default_config_static_selectorELNS0_4arch9wavefront6targetE0EEEvSV_.has_indirect_call, 0
	.section	.AMDGPU.csdata,"",@progbits
; Kernel info:
; codeLenInByte = 8920
; TotalNumSgprs: 28
; NumVgprs: 69
; ScratchSize: 0
; MemoryBound: 0
; FloatMode: 240
; IeeeMode: 1
; LDSByteSize: 13320 bytes/workgroup (compile time only)
; SGPRBlocks: 0
; VGPRBlocks: 4
; NumSGPRsForWavesPerEU: 28
; NumVGPRsForWavesPerEU: 69
; NamedBarCnt: 0
; Occupancy: 12
; WaveLimiterHint : 0
; COMPUTE_PGM_RSRC2:SCRATCH_EN: 0
; COMPUTE_PGM_RSRC2:USER_SGPR: 2
; COMPUTE_PGM_RSRC2:TRAP_HANDLER: 0
; COMPUTE_PGM_RSRC2:TGID_X_EN: 1
; COMPUTE_PGM_RSRC2:TGID_Y_EN: 0
; COMPUTE_PGM_RSRC2:TGID_Z_EN: 0
; COMPUTE_PGM_RSRC2:TIDIG_COMP_CNT: 0
	.section	.text._ZN7rocprim17ROCPRIM_400000_NS6detail17trampoline_kernelINS0_13select_configILj256ELj13ELNS0_17block_load_methodE3ELS4_3ELS4_3ELNS0_20block_scan_algorithmE0ELj4294967295EEENS1_25partition_config_selectorILNS1_17partition_subalgoE3EjNS0_10empty_typeEbEEZZNS1_14partition_implILS8_3ELb0ES6_jNS0_17counting_iteratorIjlEEPS9_SE_NS0_5tupleIJPjSE_EEENSF_IJSE_SE_EEES9_SG_JZNS1_25segmented_radix_sort_implINS0_14default_configELb1EPKlPlSM_SN_N2at6native12_GLOBAL__N_18offset_tEEE10hipError_tPvRmT1_PNSt15iterator_traitsISV_E10value_typeET2_T3_PNSW_IS11_E10value_typeET4_jRbjT5_S17_jjP12ihipStream_tbEUljE_EEESS_ST_SU_S11_S15_S17_T6_T7_T9_mT8_S19_bDpT10_ENKUlT_T0_E_clISt17integral_constantIbLb0EES1M_EEDaS1H_S1I_EUlS1H_E_NS1_11comp_targetILNS1_3genE5ELNS1_11target_archE942ELNS1_3gpuE9ELNS1_3repE0EEENS1_30default_config_static_selectorELNS0_4arch9wavefront6targetE0EEEvSV_,"axG",@progbits,_ZN7rocprim17ROCPRIM_400000_NS6detail17trampoline_kernelINS0_13select_configILj256ELj13ELNS0_17block_load_methodE3ELS4_3ELS4_3ELNS0_20block_scan_algorithmE0ELj4294967295EEENS1_25partition_config_selectorILNS1_17partition_subalgoE3EjNS0_10empty_typeEbEEZZNS1_14partition_implILS8_3ELb0ES6_jNS0_17counting_iteratorIjlEEPS9_SE_NS0_5tupleIJPjSE_EEENSF_IJSE_SE_EEES9_SG_JZNS1_25segmented_radix_sort_implINS0_14default_configELb1EPKlPlSM_SN_N2at6native12_GLOBAL__N_18offset_tEEE10hipError_tPvRmT1_PNSt15iterator_traitsISV_E10value_typeET2_T3_PNSW_IS11_E10value_typeET4_jRbjT5_S17_jjP12ihipStream_tbEUljE_EEESS_ST_SU_S11_S15_S17_T6_T7_T9_mT8_S19_bDpT10_ENKUlT_T0_E_clISt17integral_constantIbLb0EES1M_EEDaS1H_S1I_EUlS1H_E_NS1_11comp_targetILNS1_3genE5ELNS1_11target_archE942ELNS1_3gpuE9ELNS1_3repE0EEENS1_30default_config_static_selectorELNS0_4arch9wavefront6targetE0EEEvSV_,comdat
	.globl	_ZN7rocprim17ROCPRIM_400000_NS6detail17trampoline_kernelINS0_13select_configILj256ELj13ELNS0_17block_load_methodE3ELS4_3ELS4_3ELNS0_20block_scan_algorithmE0ELj4294967295EEENS1_25partition_config_selectorILNS1_17partition_subalgoE3EjNS0_10empty_typeEbEEZZNS1_14partition_implILS8_3ELb0ES6_jNS0_17counting_iteratorIjlEEPS9_SE_NS0_5tupleIJPjSE_EEENSF_IJSE_SE_EEES9_SG_JZNS1_25segmented_radix_sort_implINS0_14default_configELb1EPKlPlSM_SN_N2at6native12_GLOBAL__N_18offset_tEEE10hipError_tPvRmT1_PNSt15iterator_traitsISV_E10value_typeET2_T3_PNSW_IS11_E10value_typeET4_jRbjT5_S17_jjP12ihipStream_tbEUljE_EEESS_ST_SU_S11_S15_S17_T6_T7_T9_mT8_S19_bDpT10_ENKUlT_T0_E_clISt17integral_constantIbLb0EES1M_EEDaS1H_S1I_EUlS1H_E_NS1_11comp_targetILNS1_3genE5ELNS1_11target_archE942ELNS1_3gpuE9ELNS1_3repE0EEENS1_30default_config_static_selectorELNS0_4arch9wavefront6targetE0EEEvSV_ ; -- Begin function _ZN7rocprim17ROCPRIM_400000_NS6detail17trampoline_kernelINS0_13select_configILj256ELj13ELNS0_17block_load_methodE3ELS4_3ELS4_3ELNS0_20block_scan_algorithmE0ELj4294967295EEENS1_25partition_config_selectorILNS1_17partition_subalgoE3EjNS0_10empty_typeEbEEZZNS1_14partition_implILS8_3ELb0ES6_jNS0_17counting_iteratorIjlEEPS9_SE_NS0_5tupleIJPjSE_EEENSF_IJSE_SE_EEES9_SG_JZNS1_25segmented_radix_sort_implINS0_14default_configELb1EPKlPlSM_SN_N2at6native12_GLOBAL__N_18offset_tEEE10hipError_tPvRmT1_PNSt15iterator_traitsISV_E10value_typeET2_T3_PNSW_IS11_E10value_typeET4_jRbjT5_S17_jjP12ihipStream_tbEUljE_EEESS_ST_SU_S11_S15_S17_T6_T7_T9_mT8_S19_bDpT10_ENKUlT_T0_E_clISt17integral_constantIbLb0EES1M_EEDaS1H_S1I_EUlS1H_E_NS1_11comp_targetILNS1_3genE5ELNS1_11target_archE942ELNS1_3gpuE9ELNS1_3repE0EEENS1_30default_config_static_selectorELNS0_4arch9wavefront6targetE0EEEvSV_
	.p2align	8
	.type	_ZN7rocprim17ROCPRIM_400000_NS6detail17trampoline_kernelINS0_13select_configILj256ELj13ELNS0_17block_load_methodE3ELS4_3ELS4_3ELNS0_20block_scan_algorithmE0ELj4294967295EEENS1_25partition_config_selectorILNS1_17partition_subalgoE3EjNS0_10empty_typeEbEEZZNS1_14partition_implILS8_3ELb0ES6_jNS0_17counting_iteratorIjlEEPS9_SE_NS0_5tupleIJPjSE_EEENSF_IJSE_SE_EEES9_SG_JZNS1_25segmented_radix_sort_implINS0_14default_configELb1EPKlPlSM_SN_N2at6native12_GLOBAL__N_18offset_tEEE10hipError_tPvRmT1_PNSt15iterator_traitsISV_E10value_typeET2_T3_PNSW_IS11_E10value_typeET4_jRbjT5_S17_jjP12ihipStream_tbEUljE_EEESS_ST_SU_S11_S15_S17_T6_T7_T9_mT8_S19_bDpT10_ENKUlT_T0_E_clISt17integral_constantIbLb0EES1M_EEDaS1H_S1I_EUlS1H_E_NS1_11comp_targetILNS1_3genE5ELNS1_11target_archE942ELNS1_3gpuE9ELNS1_3repE0EEENS1_30default_config_static_selectorELNS0_4arch9wavefront6targetE0EEEvSV_,@function
_ZN7rocprim17ROCPRIM_400000_NS6detail17trampoline_kernelINS0_13select_configILj256ELj13ELNS0_17block_load_methodE3ELS4_3ELS4_3ELNS0_20block_scan_algorithmE0ELj4294967295EEENS1_25partition_config_selectorILNS1_17partition_subalgoE3EjNS0_10empty_typeEbEEZZNS1_14partition_implILS8_3ELb0ES6_jNS0_17counting_iteratorIjlEEPS9_SE_NS0_5tupleIJPjSE_EEENSF_IJSE_SE_EEES9_SG_JZNS1_25segmented_radix_sort_implINS0_14default_configELb1EPKlPlSM_SN_N2at6native12_GLOBAL__N_18offset_tEEE10hipError_tPvRmT1_PNSt15iterator_traitsISV_E10value_typeET2_T3_PNSW_IS11_E10value_typeET4_jRbjT5_S17_jjP12ihipStream_tbEUljE_EEESS_ST_SU_S11_S15_S17_T6_T7_T9_mT8_S19_bDpT10_ENKUlT_T0_E_clISt17integral_constantIbLb0EES1M_EEDaS1H_S1I_EUlS1H_E_NS1_11comp_targetILNS1_3genE5ELNS1_11target_archE942ELNS1_3gpuE9ELNS1_3repE0EEENS1_30default_config_static_selectorELNS0_4arch9wavefront6targetE0EEEvSV_: ; @_ZN7rocprim17ROCPRIM_400000_NS6detail17trampoline_kernelINS0_13select_configILj256ELj13ELNS0_17block_load_methodE3ELS4_3ELS4_3ELNS0_20block_scan_algorithmE0ELj4294967295EEENS1_25partition_config_selectorILNS1_17partition_subalgoE3EjNS0_10empty_typeEbEEZZNS1_14partition_implILS8_3ELb0ES6_jNS0_17counting_iteratorIjlEEPS9_SE_NS0_5tupleIJPjSE_EEENSF_IJSE_SE_EEES9_SG_JZNS1_25segmented_radix_sort_implINS0_14default_configELb1EPKlPlSM_SN_N2at6native12_GLOBAL__N_18offset_tEEE10hipError_tPvRmT1_PNSt15iterator_traitsISV_E10value_typeET2_T3_PNSW_IS11_E10value_typeET4_jRbjT5_S17_jjP12ihipStream_tbEUljE_EEESS_ST_SU_S11_S15_S17_T6_T7_T9_mT8_S19_bDpT10_ENKUlT_T0_E_clISt17integral_constantIbLb0EES1M_EEDaS1H_S1I_EUlS1H_E_NS1_11comp_targetILNS1_3genE5ELNS1_11target_archE942ELNS1_3gpuE9ELNS1_3repE0EEENS1_30default_config_static_selectorELNS0_4arch9wavefront6targetE0EEEvSV_
; %bb.0:
	.section	.rodata,"a",@progbits
	.p2align	6, 0x0
	.amdhsa_kernel _ZN7rocprim17ROCPRIM_400000_NS6detail17trampoline_kernelINS0_13select_configILj256ELj13ELNS0_17block_load_methodE3ELS4_3ELS4_3ELNS0_20block_scan_algorithmE0ELj4294967295EEENS1_25partition_config_selectorILNS1_17partition_subalgoE3EjNS0_10empty_typeEbEEZZNS1_14partition_implILS8_3ELb0ES6_jNS0_17counting_iteratorIjlEEPS9_SE_NS0_5tupleIJPjSE_EEENSF_IJSE_SE_EEES9_SG_JZNS1_25segmented_radix_sort_implINS0_14default_configELb1EPKlPlSM_SN_N2at6native12_GLOBAL__N_18offset_tEEE10hipError_tPvRmT1_PNSt15iterator_traitsISV_E10value_typeET2_T3_PNSW_IS11_E10value_typeET4_jRbjT5_S17_jjP12ihipStream_tbEUljE_EEESS_ST_SU_S11_S15_S17_T6_T7_T9_mT8_S19_bDpT10_ENKUlT_T0_E_clISt17integral_constantIbLb0EES1M_EEDaS1H_S1I_EUlS1H_E_NS1_11comp_targetILNS1_3genE5ELNS1_11target_archE942ELNS1_3gpuE9ELNS1_3repE0EEENS1_30default_config_static_selectorELNS0_4arch9wavefront6targetE0EEEvSV_
		.amdhsa_group_segment_fixed_size 0
		.amdhsa_private_segment_fixed_size 0
		.amdhsa_kernarg_size 144
		.amdhsa_user_sgpr_count 2
		.amdhsa_user_sgpr_dispatch_ptr 0
		.amdhsa_user_sgpr_queue_ptr 0
		.amdhsa_user_sgpr_kernarg_segment_ptr 1
		.amdhsa_user_sgpr_dispatch_id 0
		.amdhsa_user_sgpr_kernarg_preload_length 0
		.amdhsa_user_sgpr_kernarg_preload_offset 0
		.amdhsa_user_sgpr_private_segment_size 0
		.amdhsa_wavefront_size32 1
		.amdhsa_uses_dynamic_stack 0
		.amdhsa_enable_private_segment 0
		.amdhsa_system_sgpr_workgroup_id_x 1
		.amdhsa_system_sgpr_workgroup_id_y 0
		.amdhsa_system_sgpr_workgroup_id_z 0
		.amdhsa_system_sgpr_workgroup_info 0
		.amdhsa_system_vgpr_workitem_id 0
		.amdhsa_next_free_vgpr 1
		.amdhsa_next_free_sgpr 1
		.amdhsa_named_barrier_count 0
		.amdhsa_reserve_vcc 0
		.amdhsa_float_round_mode_32 0
		.amdhsa_float_round_mode_16_64 0
		.amdhsa_float_denorm_mode_32 3
		.amdhsa_float_denorm_mode_16_64 3
		.amdhsa_fp16_overflow 0
		.amdhsa_memory_ordered 1
		.amdhsa_forward_progress 1
		.amdhsa_inst_pref_size 0
		.amdhsa_round_robin_scheduling 0
		.amdhsa_exception_fp_ieee_invalid_op 0
		.amdhsa_exception_fp_denorm_src 0
		.amdhsa_exception_fp_ieee_div_zero 0
		.amdhsa_exception_fp_ieee_overflow 0
		.amdhsa_exception_fp_ieee_underflow 0
		.amdhsa_exception_fp_ieee_inexact 0
		.amdhsa_exception_int_div_zero 0
	.end_amdhsa_kernel
	.section	.text._ZN7rocprim17ROCPRIM_400000_NS6detail17trampoline_kernelINS0_13select_configILj256ELj13ELNS0_17block_load_methodE3ELS4_3ELS4_3ELNS0_20block_scan_algorithmE0ELj4294967295EEENS1_25partition_config_selectorILNS1_17partition_subalgoE3EjNS0_10empty_typeEbEEZZNS1_14partition_implILS8_3ELb0ES6_jNS0_17counting_iteratorIjlEEPS9_SE_NS0_5tupleIJPjSE_EEENSF_IJSE_SE_EEES9_SG_JZNS1_25segmented_radix_sort_implINS0_14default_configELb1EPKlPlSM_SN_N2at6native12_GLOBAL__N_18offset_tEEE10hipError_tPvRmT1_PNSt15iterator_traitsISV_E10value_typeET2_T3_PNSW_IS11_E10value_typeET4_jRbjT5_S17_jjP12ihipStream_tbEUljE_EEESS_ST_SU_S11_S15_S17_T6_T7_T9_mT8_S19_bDpT10_ENKUlT_T0_E_clISt17integral_constantIbLb0EES1M_EEDaS1H_S1I_EUlS1H_E_NS1_11comp_targetILNS1_3genE5ELNS1_11target_archE942ELNS1_3gpuE9ELNS1_3repE0EEENS1_30default_config_static_selectorELNS0_4arch9wavefront6targetE0EEEvSV_,"axG",@progbits,_ZN7rocprim17ROCPRIM_400000_NS6detail17trampoline_kernelINS0_13select_configILj256ELj13ELNS0_17block_load_methodE3ELS4_3ELS4_3ELNS0_20block_scan_algorithmE0ELj4294967295EEENS1_25partition_config_selectorILNS1_17partition_subalgoE3EjNS0_10empty_typeEbEEZZNS1_14partition_implILS8_3ELb0ES6_jNS0_17counting_iteratorIjlEEPS9_SE_NS0_5tupleIJPjSE_EEENSF_IJSE_SE_EEES9_SG_JZNS1_25segmented_radix_sort_implINS0_14default_configELb1EPKlPlSM_SN_N2at6native12_GLOBAL__N_18offset_tEEE10hipError_tPvRmT1_PNSt15iterator_traitsISV_E10value_typeET2_T3_PNSW_IS11_E10value_typeET4_jRbjT5_S17_jjP12ihipStream_tbEUljE_EEESS_ST_SU_S11_S15_S17_T6_T7_T9_mT8_S19_bDpT10_ENKUlT_T0_E_clISt17integral_constantIbLb0EES1M_EEDaS1H_S1I_EUlS1H_E_NS1_11comp_targetILNS1_3genE5ELNS1_11target_archE942ELNS1_3gpuE9ELNS1_3repE0EEENS1_30default_config_static_selectorELNS0_4arch9wavefront6targetE0EEEvSV_,comdat
.Lfunc_end669:
	.size	_ZN7rocprim17ROCPRIM_400000_NS6detail17trampoline_kernelINS0_13select_configILj256ELj13ELNS0_17block_load_methodE3ELS4_3ELS4_3ELNS0_20block_scan_algorithmE0ELj4294967295EEENS1_25partition_config_selectorILNS1_17partition_subalgoE3EjNS0_10empty_typeEbEEZZNS1_14partition_implILS8_3ELb0ES6_jNS0_17counting_iteratorIjlEEPS9_SE_NS0_5tupleIJPjSE_EEENSF_IJSE_SE_EEES9_SG_JZNS1_25segmented_radix_sort_implINS0_14default_configELb1EPKlPlSM_SN_N2at6native12_GLOBAL__N_18offset_tEEE10hipError_tPvRmT1_PNSt15iterator_traitsISV_E10value_typeET2_T3_PNSW_IS11_E10value_typeET4_jRbjT5_S17_jjP12ihipStream_tbEUljE_EEESS_ST_SU_S11_S15_S17_T6_T7_T9_mT8_S19_bDpT10_ENKUlT_T0_E_clISt17integral_constantIbLb0EES1M_EEDaS1H_S1I_EUlS1H_E_NS1_11comp_targetILNS1_3genE5ELNS1_11target_archE942ELNS1_3gpuE9ELNS1_3repE0EEENS1_30default_config_static_selectorELNS0_4arch9wavefront6targetE0EEEvSV_, .Lfunc_end669-_ZN7rocprim17ROCPRIM_400000_NS6detail17trampoline_kernelINS0_13select_configILj256ELj13ELNS0_17block_load_methodE3ELS4_3ELS4_3ELNS0_20block_scan_algorithmE0ELj4294967295EEENS1_25partition_config_selectorILNS1_17partition_subalgoE3EjNS0_10empty_typeEbEEZZNS1_14partition_implILS8_3ELb0ES6_jNS0_17counting_iteratorIjlEEPS9_SE_NS0_5tupleIJPjSE_EEENSF_IJSE_SE_EEES9_SG_JZNS1_25segmented_radix_sort_implINS0_14default_configELb1EPKlPlSM_SN_N2at6native12_GLOBAL__N_18offset_tEEE10hipError_tPvRmT1_PNSt15iterator_traitsISV_E10value_typeET2_T3_PNSW_IS11_E10value_typeET4_jRbjT5_S17_jjP12ihipStream_tbEUljE_EEESS_ST_SU_S11_S15_S17_T6_T7_T9_mT8_S19_bDpT10_ENKUlT_T0_E_clISt17integral_constantIbLb0EES1M_EEDaS1H_S1I_EUlS1H_E_NS1_11comp_targetILNS1_3genE5ELNS1_11target_archE942ELNS1_3gpuE9ELNS1_3repE0EEENS1_30default_config_static_selectorELNS0_4arch9wavefront6targetE0EEEvSV_
                                        ; -- End function
	.set _ZN7rocprim17ROCPRIM_400000_NS6detail17trampoline_kernelINS0_13select_configILj256ELj13ELNS0_17block_load_methodE3ELS4_3ELS4_3ELNS0_20block_scan_algorithmE0ELj4294967295EEENS1_25partition_config_selectorILNS1_17partition_subalgoE3EjNS0_10empty_typeEbEEZZNS1_14partition_implILS8_3ELb0ES6_jNS0_17counting_iteratorIjlEEPS9_SE_NS0_5tupleIJPjSE_EEENSF_IJSE_SE_EEES9_SG_JZNS1_25segmented_radix_sort_implINS0_14default_configELb1EPKlPlSM_SN_N2at6native12_GLOBAL__N_18offset_tEEE10hipError_tPvRmT1_PNSt15iterator_traitsISV_E10value_typeET2_T3_PNSW_IS11_E10value_typeET4_jRbjT5_S17_jjP12ihipStream_tbEUljE_EEESS_ST_SU_S11_S15_S17_T6_T7_T9_mT8_S19_bDpT10_ENKUlT_T0_E_clISt17integral_constantIbLb0EES1M_EEDaS1H_S1I_EUlS1H_E_NS1_11comp_targetILNS1_3genE5ELNS1_11target_archE942ELNS1_3gpuE9ELNS1_3repE0EEENS1_30default_config_static_selectorELNS0_4arch9wavefront6targetE0EEEvSV_.num_vgpr, 0
	.set _ZN7rocprim17ROCPRIM_400000_NS6detail17trampoline_kernelINS0_13select_configILj256ELj13ELNS0_17block_load_methodE3ELS4_3ELS4_3ELNS0_20block_scan_algorithmE0ELj4294967295EEENS1_25partition_config_selectorILNS1_17partition_subalgoE3EjNS0_10empty_typeEbEEZZNS1_14partition_implILS8_3ELb0ES6_jNS0_17counting_iteratorIjlEEPS9_SE_NS0_5tupleIJPjSE_EEENSF_IJSE_SE_EEES9_SG_JZNS1_25segmented_radix_sort_implINS0_14default_configELb1EPKlPlSM_SN_N2at6native12_GLOBAL__N_18offset_tEEE10hipError_tPvRmT1_PNSt15iterator_traitsISV_E10value_typeET2_T3_PNSW_IS11_E10value_typeET4_jRbjT5_S17_jjP12ihipStream_tbEUljE_EEESS_ST_SU_S11_S15_S17_T6_T7_T9_mT8_S19_bDpT10_ENKUlT_T0_E_clISt17integral_constantIbLb0EES1M_EEDaS1H_S1I_EUlS1H_E_NS1_11comp_targetILNS1_3genE5ELNS1_11target_archE942ELNS1_3gpuE9ELNS1_3repE0EEENS1_30default_config_static_selectorELNS0_4arch9wavefront6targetE0EEEvSV_.num_agpr, 0
	.set _ZN7rocprim17ROCPRIM_400000_NS6detail17trampoline_kernelINS0_13select_configILj256ELj13ELNS0_17block_load_methodE3ELS4_3ELS4_3ELNS0_20block_scan_algorithmE0ELj4294967295EEENS1_25partition_config_selectorILNS1_17partition_subalgoE3EjNS0_10empty_typeEbEEZZNS1_14partition_implILS8_3ELb0ES6_jNS0_17counting_iteratorIjlEEPS9_SE_NS0_5tupleIJPjSE_EEENSF_IJSE_SE_EEES9_SG_JZNS1_25segmented_radix_sort_implINS0_14default_configELb1EPKlPlSM_SN_N2at6native12_GLOBAL__N_18offset_tEEE10hipError_tPvRmT1_PNSt15iterator_traitsISV_E10value_typeET2_T3_PNSW_IS11_E10value_typeET4_jRbjT5_S17_jjP12ihipStream_tbEUljE_EEESS_ST_SU_S11_S15_S17_T6_T7_T9_mT8_S19_bDpT10_ENKUlT_T0_E_clISt17integral_constantIbLb0EES1M_EEDaS1H_S1I_EUlS1H_E_NS1_11comp_targetILNS1_3genE5ELNS1_11target_archE942ELNS1_3gpuE9ELNS1_3repE0EEENS1_30default_config_static_selectorELNS0_4arch9wavefront6targetE0EEEvSV_.numbered_sgpr, 0
	.set _ZN7rocprim17ROCPRIM_400000_NS6detail17trampoline_kernelINS0_13select_configILj256ELj13ELNS0_17block_load_methodE3ELS4_3ELS4_3ELNS0_20block_scan_algorithmE0ELj4294967295EEENS1_25partition_config_selectorILNS1_17partition_subalgoE3EjNS0_10empty_typeEbEEZZNS1_14partition_implILS8_3ELb0ES6_jNS0_17counting_iteratorIjlEEPS9_SE_NS0_5tupleIJPjSE_EEENSF_IJSE_SE_EEES9_SG_JZNS1_25segmented_radix_sort_implINS0_14default_configELb1EPKlPlSM_SN_N2at6native12_GLOBAL__N_18offset_tEEE10hipError_tPvRmT1_PNSt15iterator_traitsISV_E10value_typeET2_T3_PNSW_IS11_E10value_typeET4_jRbjT5_S17_jjP12ihipStream_tbEUljE_EEESS_ST_SU_S11_S15_S17_T6_T7_T9_mT8_S19_bDpT10_ENKUlT_T0_E_clISt17integral_constantIbLb0EES1M_EEDaS1H_S1I_EUlS1H_E_NS1_11comp_targetILNS1_3genE5ELNS1_11target_archE942ELNS1_3gpuE9ELNS1_3repE0EEENS1_30default_config_static_selectorELNS0_4arch9wavefront6targetE0EEEvSV_.num_named_barrier, 0
	.set _ZN7rocprim17ROCPRIM_400000_NS6detail17trampoline_kernelINS0_13select_configILj256ELj13ELNS0_17block_load_methodE3ELS4_3ELS4_3ELNS0_20block_scan_algorithmE0ELj4294967295EEENS1_25partition_config_selectorILNS1_17partition_subalgoE3EjNS0_10empty_typeEbEEZZNS1_14partition_implILS8_3ELb0ES6_jNS0_17counting_iteratorIjlEEPS9_SE_NS0_5tupleIJPjSE_EEENSF_IJSE_SE_EEES9_SG_JZNS1_25segmented_radix_sort_implINS0_14default_configELb1EPKlPlSM_SN_N2at6native12_GLOBAL__N_18offset_tEEE10hipError_tPvRmT1_PNSt15iterator_traitsISV_E10value_typeET2_T3_PNSW_IS11_E10value_typeET4_jRbjT5_S17_jjP12ihipStream_tbEUljE_EEESS_ST_SU_S11_S15_S17_T6_T7_T9_mT8_S19_bDpT10_ENKUlT_T0_E_clISt17integral_constantIbLb0EES1M_EEDaS1H_S1I_EUlS1H_E_NS1_11comp_targetILNS1_3genE5ELNS1_11target_archE942ELNS1_3gpuE9ELNS1_3repE0EEENS1_30default_config_static_selectorELNS0_4arch9wavefront6targetE0EEEvSV_.private_seg_size, 0
	.set _ZN7rocprim17ROCPRIM_400000_NS6detail17trampoline_kernelINS0_13select_configILj256ELj13ELNS0_17block_load_methodE3ELS4_3ELS4_3ELNS0_20block_scan_algorithmE0ELj4294967295EEENS1_25partition_config_selectorILNS1_17partition_subalgoE3EjNS0_10empty_typeEbEEZZNS1_14partition_implILS8_3ELb0ES6_jNS0_17counting_iteratorIjlEEPS9_SE_NS0_5tupleIJPjSE_EEENSF_IJSE_SE_EEES9_SG_JZNS1_25segmented_radix_sort_implINS0_14default_configELb1EPKlPlSM_SN_N2at6native12_GLOBAL__N_18offset_tEEE10hipError_tPvRmT1_PNSt15iterator_traitsISV_E10value_typeET2_T3_PNSW_IS11_E10value_typeET4_jRbjT5_S17_jjP12ihipStream_tbEUljE_EEESS_ST_SU_S11_S15_S17_T6_T7_T9_mT8_S19_bDpT10_ENKUlT_T0_E_clISt17integral_constantIbLb0EES1M_EEDaS1H_S1I_EUlS1H_E_NS1_11comp_targetILNS1_3genE5ELNS1_11target_archE942ELNS1_3gpuE9ELNS1_3repE0EEENS1_30default_config_static_selectorELNS0_4arch9wavefront6targetE0EEEvSV_.uses_vcc, 0
	.set _ZN7rocprim17ROCPRIM_400000_NS6detail17trampoline_kernelINS0_13select_configILj256ELj13ELNS0_17block_load_methodE3ELS4_3ELS4_3ELNS0_20block_scan_algorithmE0ELj4294967295EEENS1_25partition_config_selectorILNS1_17partition_subalgoE3EjNS0_10empty_typeEbEEZZNS1_14partition_implILS8_3ELb0ES6_jNS0_17counting_iteratorIjlEEPS9_SE_NS0_5tupleIJPjSE_EEENSF_IJSE_SE_EEES9_SG_JZNS1_25segmented_radix_sort_implINS0_14default_configELb1EPKlPlSM_SN_N2at6native12_GLOBAL__N_18offset_tEEE10hipError_tPvRmT1_PNSt15iterator_traitsISV_E10value_typeET2_T3_PNSW_IS11_E10value_typeET4_jRbjT5_S17_jjP12ihipStream_tbEUljE_EEESS_ST_SU_S11_S15_S17_T6_T7_T9_mT8_S19_bDpT10_ENKUlT_T0_E_clISt17integral_constantIbLb0EES1M_EEDaS1H_S1I_EUlS1H_E_NS1_11comp_targetILNS1_3genE5ELNS1_11target_archE942ELNS1_3gpuE9ELNS1_3repE0EEENS1_30default_config_static_selectorELNS0_4arch9wavefront6targetE0EEEvSV_.uses_flat_scratch, 0
	.set _ZN7rocprim17ROCPRIM_400000_NS6detail17trampoline_kernelINS0_13select_configILj256ELj13ELNS0_17block_load_methodE3ELS4_3ELS4_3ELNS0_20block_scan_algorithmE0ELj4294967295EEENS1_25partition_config_selectorILNS1_17partition_subalgoE3EjNS0_10empty_typeEbEEZZNS1_14partition_implILS8_3ELb0ES6_jNS0_17counting_iteratorIjlEEPS9_SE_NS0_5tupleIJPjSE_EEENSF_IJSE_SE_EEES9_SG_JZNS1_25segmented_radix_sort_implINS0_14default_configELb1EPKlPlSM_SN_N2at6native12_GLOBAL__N_18offset_tEEE10hipError_tPvRmT1_PNSt15iterator_traitsISV_E10value_typeET2_T3_PNSW_IS11_E10value_typeET4_jRbjT5_S17_jjP12ihipStream_tbEUljE_EEESS_ST_SU_S11_S15_S17_T6_T7_T9_mT8_S19_bDpT10_ENKUlT_T0_E_clISt17integral_constantIbLb0EES1M_EEDaS1H_S1I_EUlS1H_E_NS1_11comp_targetILNS1_3genE5ELNS1_11target_archE942ELNS1_3gpuE9ELNS1_3repE0EEENS1_30default_config_static_selectorELNS0_4arch9wavefront6targetE0EEEvSV_.has_dyn_sized_stack, 0
	.set _ZN7rocprim17ROCPRIM_400000_NS6detail17trampoline_kernelINS0_13select_configILj256ELj13ELNS0_17block_load_methodE3ELS4_3ELS4_3ELNS0_20block_scan_algorithmE0ELj4294967295EEENS1_25partition_config_selectorILNS1_17partition_subalgoE3EjNS0_10empty_typeEbEEZZNS1_14partition_implILS8_3ELb0ES6_jNS0_17counting_iteratorIjlEEPS9_SE_NS0_5tupleIJPjSE_EEENSF_IJSE_SE_EEES9_SG_JZNS1_25segmented_radix_sort_implINS0_14default_configELb1EPKlPlSM_SN_N2at6native12_GLOBAL__N_18offset_tEEE10hipError_tPvRmT1_PNSt15iterator_traitsISV_E10value_typeET2_T3_PNSW_IS11_E10value_typeET4_jRbjT5_S17_jjP12ihipStream_tbEUljE_EEESS_ST_SU_S11_S15_S17_T6_T7_T9_mT8_S19_bDpT10_ENKUlT_T0_E_clISt17integral_constantIbLb0EES1M_EEDaS1H_S1I_EUlS1H_E_NS1_11comp_targetILNS1_3genE5ELNS1_11target_archE942ELNS1_3gpuE9ELNS1_3repE0EEENS1_30default_config_static_selectorELNS0_4arch9wavefront6targetE0EEEvSV_.has_recursion, 0
	.set _ZN7rocprim17ROCPRIM_400000_NS6detail17trampoline_kernelINS0_13select_configILj256ELj13ELNS0_17block_load_methodE3ELS4_3ELS4_3ELNS0_20block_scan_algorithmE0ELj4294967295EEENS1_25partition_config_selectorILNS1_17partition_subalgoE3EjNS0_10empty_typeEbEEZZNS1_14partition_implILS8_3ELb0ES6_jNS0_17counting_iteratorIjlEEPS9_SE_NS0_5tupleIJPjSE_EEENSF_IJSE_SE_EEES9_SG_JZNS1_25segmented_radix_sort_implINS0_14default_configELb1EPKlPlSM_SN_N2at6native12_GLOBAL__N_18offset_tEEE10hipError_tPvRmT1_PNSt15iterator_traitsISV_E10value_typeET2_T3_PNSW_IS11_E10value_typeET4_jRbjT5_S17_jjP12ihipStream_tbEUljE_EEESS_ST_SU_S11_S15_S17_T6_T7_T9_mT8_S19_bDpT10_ENKUlT_T0_E_clISt17integral_constantIbLb0EES1M_EEDaS1H_S1I_EUlS1H_E_NS1_11comp_targetILNS1_3genE5ELNS1_11target_archE942ELNS1_3gpuE9ELNS1_3repE0EEENS1_30default_config_static_selectorELNS0_4arch9wavefront6targetE0EEEvSV_.has_indirect_call, 0
	.section	.AMDGPU.csdata,"",@progbits
; Kernel info:
; codeLenInByte = 0
; TotalNumSgprs: 0
; NumVgprs: 0
; ScratchSize: 0
; MemoryBound: 0
; FloatMode: 240
; IeeeMode: 1
; LDSByteSize: 0 bytes/workgroup (compile time only)
; SGPRBlocks: 0
; VGPRBlocks: 0
; NumSGPRsForWavesPerEU: 1
; NumVGPRsForWavesPerEU: 1
; NamedBarCnt: 0
; Occupancy: 16
; WaveLimiterHint : 0
; COMPUTE_PGM_RSRC2:SCRATCH_EN: 0
; COMPUTE_PGM_RSRC2:USER_SGPR: 2
; COMPUTE_PGM_RSRC2:TRAP_HANDLER: 0
; COMPUTE_PGM_RSRC2:TGID_X_EN: 1
; COMPUTE_PGM_RSRC2:TGID_Y_EN: 0
; COMPUTE_PGM_RSRC2:TGID_Z_EN: 0
; COMPUTE_PGM_RSRC2:TIDIG_COMP_CNT: 0
	.section	.text._ZN7rocprim17ROCPRIM_400000_NS6detail17trampoline_kernelINS0_13select_configILj256ELj13ELNS0_17block_load_methodE3ELS4_3ELS4_3ELNS0_20block_scan_algorithmE0ELj4294967295EEENS1_25partition_config_selectorILNS1_17partition_subalgoE3EjNS0_10empty_typeEbEEZZNS1_14partition_implILS8_3ELb0ES6_jNS0_17counting_iteratorIjlEEPS9_SE_NS0_5tupleIJPjSE_EEENSF_IJSE_SE_EEES9_SG_JZNS1_25segmented_radix_sort_implINS0_14default_configELb1EPKlPlSM_SN_N2at6native12_GLOBAL__N_18offset_tEEE10hipError_tPvRmT1_PNSt15iterator_traitsISV_E10value_typeET2_T3_PNSW_IS11_E10value_typeET4_jRbjT5_S17_jjP12ihipStream_tbEUljE_EEESS_ST_SU_S11_S15_S17_T6_T7_T9_mT8_S19_bDpT10_ENKUlT_T0_E_clISt17integral_constantIbLb0EES1M_EEDaS1H_S1I_EUlS1H_E_NS1_11comp_targetILNS1_3genE4ELNS1_11target_archE910ELNS1_3gpuE8ELNS1_3repE0EEENS1_30default_config_static_selectorELNS0_4arch9wavefront6targetE0EEEvSV_,"axG",@progbits,_ZN7rocprim17ROCPRIM_400000_NS6detail17trampoline_kernelINS0_13select_configILj256ELj13ELNS0_17block_load_methodE3ELS4_3ELS4_3ELNS0_20block_scan_algorithmE0ELj4294967295EEENS1_25partition_config_selectorILNS1_17partition_subalgoE3EjNS0_10empty_typeEbEEZZNS1_14partition_implILS8_3ELb0ES6_jNS0_17counting_iteratorIjlEEPS9_SE_NS0_5tupleIJPjSE_EEENSF_IJSE_SE_EEES9_SG_JZNS1_25segmented_radix_sort_implINS0_14default_configELb1EPKlPlSM_SN_N2at6native12_GLOBAL__N_18offset_tEEE10hipError_tPvRmT1_PNSt15iterator_traitsISV_E10value_typeET2_T3_PNSW_IS11_E10value_typeET4_jRbjT5_S17_jjP12ihipStream_tbEUljE_EEESS_ST_SU_S11_S15_S17_T6_T7_T9_mT8_S19_bDpT10_ENKUlT_T0_E_clISt17integral_constantIbLb0EES1M_EEDaS1H_S1I_EUlS1H_E_NS1_11comp_targetILNS1_3genE4ELNS1_11target_archE910ELNS1_3gpuE8ELNS1_3repE0EEENS1_30default_config_static_selectorELNS0_4arch9wavefront6targetE0EEEvSV_,comdat
	.globl	_ZN7rocprim17ROCPRIM_400000_NS6detail17trampoline_kernelINS0_13select_configILj256ELj13ELNS0_17block_load_methodE3ELS4_3ELS4_3ELNS0_20block_scan_algorithmE0ELj4294967295EEENS1_25partition_config_selectorILNS1_17partition_subalgoE3EjNS0_10empty_typeEbEEZZNS1_14partition_implILS8_3ELb0ES6_jNS0_17counting_iteratorIjlEEPS9_SE_NS0_5tupleIJPjSE_EEENSF_IJSE_SE_EEES9_SG_JZNS1_25segmented_radix_sort_implINS0_14default_configELb1EPKlPlSM_SN_N2at6native12_GLOBAL__N_18offset_tEEE10hipError_tPvRmT1_PNSt15iterator_traitsISV_E10value_typeET2_T3_PNSW_IS11_E10value_typeET4_jRbjT5_S17_jjP12ihipStream_tbEUljE_EEESS_ST_SU_S11_S15_S17_T6_T7_T9_mT8_S19_bDpT10_ENKUlT_T0_E_clISt17integral_constantIbLb0EES1M_EEDaS1H_S1I_EUlS1H_E_NS1_11comp_targetILNS1_3genE4ELNS1_11target_archE910ELNS1_3gpuE8ELNS1_3repE0EEENS1_30default_config_static_selectorELNS0_4arch9wavefront6targetE0EEEvSV_ ; -- Begin function _ZN7rocprim17ROCPRIM_400000_NS6detail17trampoline_kernelINS0_13select_configILj256ELj13ELNS0_17block_load_methodE3ELS4_3ELS4_3ELNS0_20block_scan_algorithmE0ELj4294967295EEENS1_25partition_config_selectorILNS1_17partition_subalgoE3EjNS0_10empty_typeEbEEZZNS1_14partition_implILS8_3ELb0ES6_jNS0_17counting_iteratorIjlEEPS9_SE_NS0_5tupleIJPjSE_EEENSF_IJSE_SE_EEES9_SG_JZNS1_25segmented_radix_sort_implINS0_14default_configELb1EPKlPlSM_SN_N2at6native12_GLOBAL__N_18offset_tEEE10hipError_tPvRmT1_PNSt15iterator_traitsISV_E10value_typeET2_T3_PNSW_IS11_E10value_typeET4_jRbjT5_S17_jjP12ihipStream_tbEUljE_EEESS_ST_SU_S11_S15_S17_T6_T7_T9_mT8_S19_bDpT10_ENKUlT_T0_E_clISt17integral_constantIbLb0EES1M_EEDaS1H_S1I_EUlS1H_E_NS1_11comp_targetILNS1_3genE4ELNS1_11target_archE910ELNS1_3gpuE8ELNS1_3repE0EEENS1_30default_config_static_selectorELNS0_4arch9wavefront6targetE0EEEvSV_
	.p2align	8
	.type	_ZN7rocprim17ROCPRIM_400000_NS6detail17trampoline_kernelINS0_13select_configILj256ELj13ELNS0_17block_load_methodE3ELS4_3ELS4_3ELNS0_20block_scan_algorithmE0ELj4294967295EEENS1_25partition_config_selectorILNS1_17partition_subalgoE3EjNS0_10empty_typeEbEEZZNS1_14partition_implILS8_3ELb0ES6_jNS0_17counting_iteratorIjlEEPS9_SE_NS0_5tupleIJPjSE_EEENSF_IJSE_SE_EEES9_SG_JZNS1_25segmented_radix_sort_implINS0_14default_configELb1EPKlPlSM_SN_N2at6native12_GLOBAL__N_18offset_tEEE10hipError_tPvRmT1_PNSt15iterator_traitsISV_E10value_typeET2_T3_PNSW_IS11_E10value_typeET4_jRbjT5_S17_jjP12ihipStream_tbEUljE_EEESS_ST_SU_S11_S15_S17_T6_T7_T9_mT8_S19_bDpT10_ENKUlT_T0_E_clISt17integral_constantIbLb0EES1M_EEDaS1H_S1I_EUlS1H_E_NS1_11comp_targetILNS1_3genE4ELNS1_11target_archE910ELNS1_3gpuE8ELNS1_3repE0EEENS1_30default_config_static_selectorELNS0_4arch9wavefront6targetE0EEEvSV_,@function
_ZN7rocprim17ROCPRIM_400000_NS6detail17trampoline_kernelINS0_13select_configILj256ELj13ELNS0_17block_load_methodE3ELS4_3ELS4_3ELNS0_20block_scan_algorithmE0ELj4294967295EEENS1_25partition_config_selectorILNS1_17partition_subalgoE3EjNS0_10empty_typeEbEEZZNS1_14partition_implILS8_3ELb0ES6_jNS0_17counting_iteratorIjlEEPS9_SE_NS0_5tupleIJPjSE_EEENSF_IJSE_SE_EEES9_SG_JZNS1_25segmented_radix_sort_implINS0_14default_configELb1EPKlPlSM_SN_N2at6native12_GLOBAL__N_18offset_tEEE10hipError_tPvRmT1_PNSt15iterator_traitsISV_E10value_typeET2_T3_PNSW_IS11_E10value_typeET4_jRbjT5_S17_jjP12ihipStream_tbEUljE_EEESS_ST_SU_S11_S15_S17_T6_T7_T9_mT8_S19_bDpT10_ENKUlT_T0_E_clISt17integral_constantIbLb0EES1M_EEDaS1H_S1I_EUlS1H_E_NS1_11comp_targetILNS1_3genE4ELNS1_11target_archE910ELNS1_3gpuE8ELNS1_3repE0EEENS1_30default_config_static_selectorELNS0_4arch9wavefront6targetE0EEEvSV_: ; @_ZN7rocprim17ROCPRIM_400000_NS6detail17trampoline_kernelINS0_13select_configILj256ELj13ELNS0_17block_load_methodE3ELS4_3ELS4_3ELNS0_20block_scan_algorithmE0ELj4294967295EEENS1_25partition_config_selectorILNS1_17partition_subalgoE3EjNS0_10empty_typeEbEEZZNS1_14partition_implILS8_3ELb0ES6_jNS0_17counting_iteratorIjlEEPS9_SE_NS0_5tupleIJPjSE_EEENSF_IJSE_SE_EEES9_SG_JZNS1_25segmented_radix_sort_implINS0_14default_configELb1EPKlPlSM_SN_N2at6native12_GLOBAL__N_18offset_tEEE10hipError_tPvRmT1_PNSt15iterator_traitsISV_E10value_typeET2_T3_PNSW_IS11_E10value_typeET4_jRbjT5_S17_jjP12ihipStream_tbEUljE_EEESS_ST_SU_S11_S15_S17_T6_T7_T9_mT8_S19_bDpT10_ENKUlT_T0_E_clISt17integral_constantIbLb0EES1M_EEDaS1H_S1I_EUlS1H_E_NS1_11comp_targetILNS1_3genE4ELNS1_11target_archE910ELNS1_3gpuE8ELNS1_3repE0EEENS1_30default_config_static_selectorELNS0_4arch9wavefront6targetE0EEEvSV_
; %bb.0:
	.section	.rodata,"a",@progbits
	.p2align	6, 0x0
	.amdhsa_kernel _ZN7rocprim17ROCPRIM_400000_NS6detail17trampoline_kernelINS0_13select_configILj256ELj13ELNS0_17block_load_methodE3ELS4_3ELS4_3ELNS0_20block_scan_algorithmE0ELj4294967295EEENS1_25partition_config_selectorILNS1_17partition_subalgoE3EjNS0_10empty_typeEbEEZZNS1_14partition_implILS8_3ELb0ES6_jNS0_17counting_iteratorIjlEEPS9_SE_NS0_5tupleIJPjSE_EEENSF_IJSE_SE_EEES9_SG_JZNS1_25segmented_radix_sort_implINS0_14default_configELb1EPKlPlSM_SN_N2at6native12_GLOBAL__N_18offset_tEEE10hipError_tPvRmT1_PNSt15iterator_traitsISV_E10value_typeET2_T3_PNSW_IS11_E10value_typeET4_jRbjT5_S17_jjP12ihipStream_tbEUljE_EEESS_ST_SU_S11_S15_S17_T6_T7_T9_mT8_S19_bDpT10_ENKUlT_T0_E_clISt17integral_constantIbLb0EES1M_EEDaS1H_S1I_EUlS1H_E_NS1_11comp_targetILNS1_3genE4ELNS1_11target_archE910ELNS1_3gpuE8ELNS1_3repE0EEENS1_30default_config_static_selectorELNS0_4arch9wavefront6targetE0EEEvSV_
		.amdhsa_group_segment_fixed_size 0
		.amdhsa_private_segment_fixed_size 0
		.amdhsa_kernarg_size 144
		.amdhsa_user_sgpr_count 2
		.amdhsa_user_sgpr_dispatch_ptr 0
		.amdhsa_user_sgpr_queue_ptr 0
		.amdhsa_user_sgpr_kernarg_segment_ptr 1
		.amdhsa_user_sgpr_dispatch_id 0
		.amdhsa_user_sgpr_kernarg_preload_length 0
		.amdhsa_user_sgpr_kernarg_preload_offset 0
		.amdhsa_user_sgpr_private_segment_size 0
		.amdhsa_wavefront_size32 1
		.amdhsa_uses_dynamic_stack 0
		.amdhsa_enable_private_segment 0
		.amdhsa_system_sgpr_workgroup_id_x 1
		.amdhsa_system_sgpr_workgroup_id_y 0
		.amdhsa_system_sgpr_workgroup_id_z 0
		.amdhsa_system_sgpr_workgroup_info 0
		.amdhsa_system_vgpr_workitem_id 0
		.amdhsa_next_free_vgpr 1
		.amdhsa_next_free_sgpr 1
		.amdhsa_named_barrier_count 0
		.amdhsa_reserve_vcc 0
		.amdhsa_float_round_mode_32 0
		.amdhsa_float_round_mode_16_64 0
		.amdhsa_float_denorm_mode_32 3
		.amdhsa_float_denorm_mode_16_64 3
		.amdhsa_fp16_overflow 0
		.amdhsa_memory_ordered 1
		.amdhsa_forward_progress 1
		.amdhsa_inst_pref_size 0
		.amdhsa_round_robin_scheduling 0
		.amdhsa_exception_fp_ieee_invalid_op 0
		.amdhsa_exception_fp_denorm_src 0
		.amdhsa_exception_fp_ieee_div_zero 0
		.amdhsa_exception_fp_ieee_overflow 0
		.amdhsa_exception_fp_ieee_underflow 0
		.amdhsa_exception_fp_ieee_inexact 0
		.amdhsa_exception_int_div_zero 0
	.end_amdhsa_kernel
	.section	.text._ZN7rocprim17ROCPRIM_400000_NS6detail17trampoline_kernelINS0_13select_configILj256ELj13ELNS0_17block_load_methodE3ELS4_3ELS4_3ELNS0_20block_scan_algorithmE0ELj4294967295EEENS1_25partition_config_selectorILNS1_17partition_subalgoE3EjNS0_10empty_typeEbEEZZNS1_14partition_implILS8_3ELb0ES6_jNS0_17counting_iteratorIjlEEPS9_SE_NS0_5tupleIJPjSE_EEENSF_IJSE_SE_EEES9_SG_JZNS1_25segmented_radix_sort_implINS0_14default_configELb1EPKlPlSM_SN_N2at6native12_GLOBAL__N_18offset_tEEE10hipError_tPvRmT1_PNSt15iterator_traitsISV_E10value_typeET2_T3_PNSW_IS11_E10value_typeET4_jRbjT5_S17_jjP12ihipStream_tbEUljE_EEESS_ST_SU_S11_S15_S17_T6_T7_T9_mT8_S19_bDpT10_ENKUlT_T0_E_clISt17integral_constantIbLb0EES1M_EEDaS1H_S1I_EUlS1H_E_NS1_11comp_targetILNS1_3genE4ELNS1_11target_archE910ELNS1_3gpuE8ELNS1_3repE0EEENS1_30default_config_static_selectorELNS0_4arch9wavefront6targetE0EEEvSV_,"axG",@progbits,_ZN7rocprim17ROCPRIM_400000_NS6detail17trampoline_kernelINS0_13select_configILj256ELj13ELNS0_17block_load_methodE3ELS4_3ELS4_3ELNS0_20block_scan_algorithmE0ELj4294967295EEENS1_25partition_config_selectorILNS1_17partition_subalgoE3EjNS0_10empty_typeEbEEZZNS1_14partition_implILS8_3ELb0ES6_jNS0_17counting_iteratorIjlEEPS9_SE_NS0_5tupleIJPjSE_EEENSF_IJSE_SE_EEES9_SG_JZNS1_25segmented_radix_sort_implINS0_14default_configELb1EPKlPlSM_SN_N2at6native12_GLOBAL__N_18offset_tEEE10hipError_tPvRmT1_PNSt15iterator_traitsISV_E10value_typeET2_T3_PNSW_IS11_E10value_typeET4_jRbjT5_S17_jjP12ihipStream_tbEUljE_EEESS_ST_SU_S11_S15_S17_T6_T7_T9_mT8_S19_bDpT10_ENKUlT_T0_E_clISt17integral_constantIbLb0EES1M_EEDaS1H_S1I_EUlS1H_E_NS1_11comp_targetILNS1_3genE4ELNS1_11target_archE910ELNS1_3gpuE8ELNS1_3repE0EEENS1_30default_config_static_selectorELNS0_4arch9wavefront6targetE0EEEvSV_,comdat
.Lfunc_end670:
	.size	_ZN7rocprim17ROCPRIM_400000_NS6detail17trampoline_kernelINS0_13select_configILj256ELj13ELNS0_17block_load_methodE3ELS4_3ELS4_3ELNS0_20block_scan_algorithmE0ELj4294967295EEENS1_25partition_config_selectorILNS1_17partition_subalgoE3EjNS0_10empty_typeEbEEZZNS1_14partition_implILS8_3ELb0ES6_jNS0_17counting_iteratorIjlEEPS9_SE_NS0_5tupleIJPjSE_EEENSF_IJSE_SE_EEES9_SG_JZNS1_25segmented_radix_sort_implINS0_14default_configELb1EPKlPlSM_SN_N2at6native12_GLOBAL__N_18offset_tEEE10hipError_tPvRmT1_PNSt15iterator_traitsISV_E10value_typeET2_T3_PNSW_IS11_E10value_typeET4_jRbjT5_S17_jjP12ihipStream_tbEUljE_EEESS_ST_SU_S11_S15_S17_T6_T7_T9_mT8_S19_bDpT10_ENKUlT_T0_E_clISt17integral_constantIbLb0EES1M_EEDaS1H_S1I_EUlS1H_E_NS1_11comp_targetILNS1_3genE4ELNS1_11target_archE910ELNS1_3gpuE8ELNS1_3repE0EEENS1_30default_config_static_selectorELNS0_4arch9wavefront6targetE0EEEvSV_, .Lfunc_end670-_ZN7rocprim17ROCPRIM_400000_NS6detail17trampoline_kernelINS0_13select_configILj256ELj13ELNS0_17block_load_methodE3ELS4_3ELS4_3ELNS0_20block_scan_algorithmE0ELj4294967295EEENS1_25partition_config_selectorILNS1_17partition_subalgoE3EjNS0_10empty_typeEbEEZZNS1_14partition_implILS8_3ELb0ES6_jNS0_17counting_iteratorIjlEEPS9_SE_NS0_5tupleIJPjSE_EEENSF_IJSE_SE_EEES9_SG_JZNS1_25segmented_radix_sort_implINS0_14default_configELb1EPKlPlSM_SN_N2at6native12_GLOBAL__N_18offset_tEEE10hipError_tPvRmT1_PNSt15iterator_traitsISV_E10value_typeET2_T3_PNSW_IS11_E10value_typeET4_jRbjT5_S17_jjP12ihipStream_tbEUljE_EEESS_ST_SU_S11_S15_S17_T6_T7_T9_mT8_S19_bDpT10_ENKUlT_T0_E_clISt17integral_constantIbLb0EES1M_EEDaS1H_S1I_EUlS1H_E_NS1_11comp_targetILNS1_3genE4ELNS1_11target_archE910ELNS1_3gpuE8ELNS1_3repE0EEENS1_30default_config_static_selectorELNS0_4arch9wavefront6targetE0EEEvSV_
                                        ; -- End function
	.set _ZN7rocprim17ROCPRIM_400000_NS6detail17trampoline_kernelINS0_13select_configILj256ELj13ELNS0_17block_load_methodE3ELS4_3ELS4_3ELNS0_20block_scan_algorithmE0ELj4294967295EEENS1_25partition_config_selectorILNS1_17partition_subalgoE3EjNS0_10empty_typeEbEEZZNS1_14partition_implILS8_3ELb0ES6_jNS0_17counting_iteratorIjlEEPS9_SE_NS0_5tupleIJPjSE_EEENSF_IJSE_SE_EEES9_SG_JZNS1_25segmented_radix_sort_implINS0_14default_configELb1EPKlPlSM_SN_N2at6native12_GLOBAL__N_18offset_tEEE10hipError_tPvRmT1_PNSt15iterator_traitsISV_E10value_typeET2_T3_PNSW_IS11_E10value_typeET4_jRbjT5_S17_jjP12ihipStream_tbEUljE_EEESS_ST_SU_S11_S15_S17_T6_T7_T9_mT8_S19_bDpT10_ENKUlT_T0_E_clISt17integral_constantIbLb0EES1M_EEDaS1H_S1I_EUlS1H_E_NS1_11comp_targetILNS1_3genE4ELNS1_11target_archE910ELNS1_3gpuE8ELNS1_3repE0EEENS1_30default_config_static_selectorELNS0_4arch9wavefront6targetE0EEEvSV_.num_vgpr, 0
	.set _ZN7rocprim17ROCPRIM_400000_NS6detail17trampoline_kernelINS0_13select_configILj256ELj13ELNS0_17block_load_methodE3ELS4_3ELS4_3ELNS0_20block_scan_algorithmE0ELj4294967295EEENS1_25partition_config_selectorILNS1_17partition_subalgoE3EjNS0_10empty_typeEbEEZZNS1_14partition_implILS8_3ELb0ES6_jNS0_17counting_iteratorIjlEEPS9_SE_NS0_5tupleIJPjSE_EEENSF_IJSE_SE_EEES9_SG_JZNS1_25segmented_radix_sort_implINS0_14default_configELb1EPKlPlSM_SN_N2at6native12_GLOBAL__N_18offset_tEEE10hipError_tPvRmT1_PNSt15iterator_traitsISV_E10value_typeET2_T3_PNSW_IS11_E10value_typeET4_jRbjT5_S17_jjP12ihipStream_tbEUljE_EEESS_ST_SU_S11_S15_S17_T6_T7_T9_mT8_S19_bDpT10_ENKUlT_T0_E_clISt17integral_constantIbLb0EES1M_EEDaS1H_S1I_EUlS1H_E_NS1_11comp_targetILNS1_3genE4ELNS1_11target_archE910ELNS1_3gpuE8ELNS1_3repE0EEENS1_30default_config_static_selectorELNS0_4arch9wavefront6targetE0EEEvSV_.num_agpr, 0
	.set _ZN7rocprim17ROCPRIM_400000_NS6detail17trampoline_kernelINS0_13select_configILj256ELj13ELNS0_17block_load_methodE3ELS4_3ELS4_3ELNS0_20block_scan_algorithmE0ELj4294967295EEENS1_25partition_config_selectorILNS1_17partition_subalgoE3EjNS0_10empty_typeEbEEZZNS1_14partition_implILS8_3ELb0ES6_jNS0_17counting_iteratorIjlEEPS9_SE_NS0_5tupleIJPjSE_EEENSF_IJSE_SE_EEES9_SG_JZNS1_25segmented_radix_sort_implINS0_14default_configELb1EPKlPlSM_SN_N2at6native12_GLOBAL__N_18offset_tEEE10hipError_tPvRmT1_PNSt15iterator_traitsISV_E10value_typeET2_T3_PNSW_IS11_E10value_typeET4_jRbjT5_S17_jjP12ihipStream_tbEUljE_EEESS_ST_SU_S11_S15_S17_T6_T7_T9_mT8_S19_bDpT10_ENKUlT_T0_E_clISt17integral_constantIbLb0EES1M_EEDaS1H_S1I_EUlS1H_E_NS1_11comp_targetILNS1_3genE4ELNS1_11target_archE910ELNS1_3gpuE8ELNS1_3repE0EEENS1_30default_config_static_selectorELNS0_4arch9wavefront6targetE0EEEvSV_.numbered_sgpr, 0
	.set _ZN7rocprim17ROCPRIM_400000_NS6detail17trampoline_kernelINS0_13select_configILj256ELj13ELNS0_17block_load_methodE3ELS4_3ELS4_3ELNS0_20block_scan_algorithmE0ELj4294967295EEENS1_25partition_config_selectorILNS1_17partition_subalgoE3EjNS0_10empty_typeEbEEZZNS1_14partition_implILS8_3ELb0ES6_jNS0_17counting_iteratorIjlEEPS9_SE_NS0_5tupleIJPjSE_EEENSF_IJSE_SE_EEES9_SG_JZNS1_25segmented_radix_sort_implINS0_14default_configELb1EPKlPlSM_SN_N2at6native12_GLOBAL__N_18offset_tEEE10hipError_tPvRmT1_PNSt15iterator_traitsISV_E10value_typeET2_T3_PNSW_IS11_E10value_typeET4_jRbjT5_S17_jjP12ihipStream_tbEUljE_EEESS_ST_SU_S11_S15_S17_T6_T7_T9_mT8_S19_bDpT10_ENKUlT_T0_E_clISt17integral_constantIbLb0EES1M_EEDaS1H_S1I_EUlS1H_E_NS1_11comp_targetILNS1_3genE4ELNS1_11target_archE910ELNS1_3gpuE8ELNS1_3repE0EEENS1_30default_config_static_selectorELNS0_4arch9wavefront6targetE0EEEvSV_.num_named_barrier, 0
	.set _ZN7rocprim17ROCPRIM_400000_NS6detail17trampoline_kernelINS0_13select_configILj256ELj13ELNS0_17block_load_methodE3ELS4_3ELS4_3ELNS0_20block_scan_algorithmE0ELj4294967295EEENS1_25partition_config_selectorILNS1_17partition_subalgoE3EjNS0_10empty_typeEbEEZZNS1_14partition_implILS8_3ELb0ES6_jNS0_17counting_iteratorIjlEEPS9_SE_NS0_5tupleIJPjSE_EEENSF_IJSE_SE_EEES9_SG_JZNS1_25segmented_radix_sort_implINS0_14default_configELb1EPKlPlSM_SN_N2at6native12_GLOBAL__N_18offset_tEEE10hipError_tPvRmT1_PNSt15iterator_traitsISV_E10value_typeET2_T3_PNSW_IS11_E10value_typeET4_jRbjT5_S17_jjP12ihipStream_tbEUljE_EEESS_ST_SU_S11_S15_S17_T6_T7_T9_mT8_S19_bDpT10_ENKUlT_T0_E_clISt17integral_constantIbLb0EES1M_EEDaS1H_S1I_EUlS1H_E_NS1_11comp_targetILNS1_3genE4ELNS1_11target_archE910ELNS1_3gpuE8ELNS1_3repE0EEENS1_30default_config_static_selectorELNS0_4arch9wavefront6targetE0EEEvSV_.private_seg_size, 0
	.set _ZN7rocprim17ROCPRIM_400000_NS6detail17trampoline_kernelINS0_13select_configILj256ELj13ELNS0_17block_load_methodE3ELS4_3ELS4_3ELNS0_20block_scan_algorithmE0ELj4294967295EEENS1_25partition_config_selectorILNS1_17partition_subalgoE3EjNS0_10empty_typeEbEEZZNS1_14partition_implILS8_3ELb0ES6_jNS0_17counting_iteratorIjlEEPS9_SE_NS0_5tupleIJPjSE_EEENSF_IJSE_SE_EEES9_SG_JZNS1_25segmented_radix_sort_implINS0_14default_configELb1EPKlPlSM_SN_N2at6native12_GLOBAL__N_18offset_tEEE10hipError_tPvRmT1_PNSt15iterator_traitsISV_E10value_typeET2_T3_PNSW_IS11_E10value_typeET4_jRbjT5_S17_jjP12ihipStream_tbEUljE_EEESS_ST_SU_S11_S15_S17_T6_T7_T9_mT8_S19_bDpT10_ENKUlT_T0_E_clISt17integral_constantIbLb0EES1M_EEDaS1H_S1I_EUlS1H_E_NS1_11comp_targetILNS1_3genE4ELNS1_11target_archE910ELNS1_3gpuE8ELNS1_3repE0EEENS1_30default_config_static_selectorELNS0_4arch9wavefront6targetE0EEEvSV_.uses_vcc, 0
	.set _ZN7rocprim17ROCPRIM_400000_NS6detail17trampoline_kernelINS0_13select_configILj256ELj13ELNS0_17block_load_methodE3ELS4_3ELS4_3ELNS0_20block_scan_algorithmE0ELj4294967295EEENS1_25partition_config_selectorILNS1_17partition_subalgoE3EjNS0_10empty_typeEbEEZZNS1_14partition_implILS8_3ELb0ES6_jNS0_17counting_iteratorIjlEEPS9_SE_NS0_5tupleIJPjSE_EEENSF_IJSE_SE_EEES9_SG_JZNS1_25segmented_radix_sort_implINS0_14default_configELb1EPKlPlSM_SN_N2at6native12_GLOBAL__N_18offset_tEEE10hipError_tPvRmT1_PNSt15iterator_traitsISV_E10value_typeET2_T3_PNSW_IS11_E10value_typeET4_jRbjT5_S17_jjP12ihipStream_tbEUljE_EEESS_ST_SU_S11_S15_S17_T6_T7_T9_mT8_S19_bDpT10_ENKUlT_T0_E_clISt17integral_constantIbLb0EES1M_EEDaS1H_S1I_EUlS1H_E_NS1_11comp_targetILNS1_3genE4ELNS1_11target_archE910ELNS1_3gpuE8ELNS1_3repE0EEENS1_30default_config_static_selectorELNS0_4arch9wavefront6targetE0EEEvSV_.uses_flat_scratch, 0
	.set _ZN7rocprim17ROCPRIM_400000_NS6detail17trampoline_kernelINS0_13select_configILj256ELj13ELNS0_17block_load_methodE3ELS4_3ELS4_3ELNS0_20block_scan_algorithmE0ELj4294967295EEENS1_25partition_config_selectorILNS1_17partition_subalgoE3EjNS0_10empty_typeEbEEZZNS1_14partition_implILS8_3ELb0ES6_jNS0_17counting_iteratorIjlEEPS9_SE_NS0_5tupleIJPjSE_EEENSF_IJSE_SE_EEES9_SG_JZNS1_25segmented_radix_sort_implINS0_14default_configELb1EPKlPlSM_SN_N2at6native12_GLOBAL__N_18offset_tEEE10hipError_tPvRmT1_PNSt15iterator_traitsISV_E10value_typeET2_T3_PNSW_IS11_E10value_typeET4_jRbjT5_S17_jjP12ihipStream_tbEUljE_EEESS_ST_SU_S11_S15_S17_T6_T7_T9_mT8_S19_bDpT10_ENKUlT_T0_E_clISt17integral_constantIbLb0EES1M_EEDaS1H_S1I_EUlS1H_E_NS1_11comp_targetILNS1_3genE4ELNS1_11target_archE910ELNS1_3gpuE8ELNS1_3repE0EEENS1_30default_config_static_selectorELNS0_4arch9wavefront6targetE0EEEvSV_.has_dyn_sized_stack, 0
	.set _ZN7rocprim17ROCPRIM_400000_NS6detail17trampoline_kernelINS0_13select_configILj256ELj13ELNS0_17block_load_methodE3ELS4_3ELS4_3ELNS0_20block_scan_algorithmE0ELj4294967295EEENS1_25partition_config_selectorILNS1_17partition_subalgoE3EjNS0_10empty_typeEbEEZZNS1_14partition_implILS8_3ELb0ES6_jNS0_17counting_iteratorIjlEEPS9_SE_NS0_5tupleIJPjSE_EEENSF_IJSE_SE_EEES9_SG_JZNS1_25segmented_radix_sort_implINS0_14default_configELb1EPKlPlSM_SN_N2at6native12_GLOBAL__N_18offset_tEEE10hipError_tPvRmT1_PNSt15iterator_traitsISV_E10value_typeET2_T3_PNSW_IS11_E10value_typeET4_jRbjT5_S17_jjP12ihipStream_tbEUljE_EEESS_ST_SU_S11_S15_S17_T6_T7_T9_mT8_S19_bDpT10_ENKUlT_T0_E_clISt17integral_constantIbLb0EES1M_EEDaS1H_S1I_EUlS1H_E_NS1_11comp_targetILNS1_3genE4ELNS1_11target_archE910ELNS1_3gpuE8ELNS1_3repE0EEENS1_30default_config_static_selectorELNS0_4arch9wavefront6targetE0EEEvSV_.has_recursion, 0
	.set _ZN7rocprim17ROCPRIM_400000_NS6detail17trampoline_kernelINS0_13select_configILj256ELj13ELNS0_17block_load_methodE3ELS4_3ELS4_3ELNS0_20block_scan_algorithmE0ELj4294967295EEENS1_25partition_config_selectorILNS1_17partition_subalgoE3EjNS0_10empty_typeEbEEZZNS1_14partition_implILS8_3ELb0ES6_jNS0_17counting_iteratorIjlEEPS9_SE_NS0_5tupleIJPjSE_EEENSF_IJSE_SE_EEES9_SG_JZNS1_25segmented_radix_sort_implINS0_14default_configELb1EPKlPlSM_SN_N2at6native12_GLOBAL__N_18offset_tEEE10hipError_tPvRmT1_PNSt15iterator_traitsISV_E10value_typeET2_T3_PNSW_IS11_E10value_typeET4_jRbjT5_S17_jjP12ihipStream_tbEUljE_EEESS_ST_SU_S11_S15_S17_T6_T7_T9_mT8_S19_bDpT10_ENKUlT_T0_E_clISt17integral_constantIbLb0EES1M_EEDaS1H_S1I_EUlS1H_E_NS1_11comp_targetILNS1_3genE4ELNS1_11target_archE910ELNS1_3gpuE8ELNS1_3repE0EEENS1_30default_config_static_selectorELNS0_4arch9wavefront6targetE0EEEvSV_.has_indirect_call, 0
	.section	.AMDGPU.csdata,"",@progbits
; Kernel info:
; codeLenInByte = 0
; TotalNumSgprs: 0
; NumVgprs: 0
; ScratchSize: 0
; MemoryBound: 0
; FloatMode: 240
; IeeeMode: 1
; LDSByteSize: 0 bytes/workgroup (compile time only)
; SGPRBlocks: 0
; VGPRBlocks: 0
; NumSGPRsForWavesPerEU: 1
; NumVGPRsForWavesPerEU: 1
; NamedBarCnt: 0
; Occupancy: 16
; WaveLimiterHint : 0
; COMPUTE_PGM_RSRC2:SCRATCH_EN: 0
; COMPUTE_PGM_RSRC2:USER_SGPR: 2
; COMPUTE_PGM_RSRC2:TRAP_HANDLER: 0
; COMPUTE_PGM_RSRC2:TGID_X_EN: 1
; COMPUTE_PGM_RSRC2:TGID_Y_EN: 0
; COMPUTE_PGM_RSRC2:TGID_Z_EN: 0
; COMPUTE_PGM_RSRC2:TIDIG_COMP_CNT: 0
	.section	.text._ZN7rocprim17ROCPRIM_400000_NS6detail17trampoline_kernelINS0_13select_configILj256ELj13ELNS0_17block_load_methodE3ELS4_3ELS4_3ELNS0_20block_scan_algorithmE0ELj4294967295EEENS1_25partition_config_selectorILNS1_17partition_subalgoE3EjNS0_10empty_typeEbEEZZNS1_14partition_implILS8_3ELb0ES6_jNS0_17counting_iteratorIjlEEPS9_SE_NS0_5tupleIJPjSE_EEENSF_IJSE_SE_EEES9_SG_JZNS1_25segmented_radix_sort_implINS0_14default_configELb1EPKlPlSM_SN_N2at6native12_GLOBAL__N_18offset_tEEE10hipError_tPvRmT1_PNSt15iterator_traitsISV_E10value_typeET2_T3_PNSW_IS11_E10value_typeET4_jRbjT5_S17_jjP12ihipStream_tbEUljE_EEESS_ST_SU_S11_S15_S17_T6_T7_T9_mT8_S19_bDpT10_ENKUlT_T0_E_clISt17integral_constantIbLb0EES1M_EEDaS1H_S1I_EUlS1H_E_NS1_11comp_targetILNS1_3genE3ELNS1_11target_archE908ELNS1_3gpuE7ELNS1_3repE0EEENS1_30default_config_static_selectorELNS0_4arch9wavefront6targetE0EEEvSV_,"axG",@progbits,_ZN7rocprim17ROCPRIM_400000_NS6detail17trampoline_kernelINS0_13select_configILj256ELj13ELNS0_17block_load_methodE3ELS4_3ELS4_3ELNS0_20block_scan_algorithmE0ELj4294967295EEENS1_25partition_config_selectorILNS1_17partition_subalgoE3EjNS0_10empty_typeEbEEZZNS1_14partition_implILS8_3ELb0ES6_jNS0_17counting_iteratorIjlEEPS9_SE_NS0_5tupleIJPjSE_EEENSF_IJSE_SE_EEES9_SG_JZNS1_25segmented_radix_sort_implINS0_14default_configELb1EPKlPlSM_SN_N2at6native12_GLOBAL__N_18offset_tEEE10hipError_tPvRmT1_PNSt15iterator_traitsISV_E10value_typeET2_T3_PNSW_IS11_E10value_typeET4_jRbjT5_S17_jjP12ihipStream_tbEUljE_EEESS_ST_SU_S11_S15_S17_T6_T7_T9_mT8_S19_bDpT10_ENKUlT_T0_E_clISt17integral_constantIbLb0EES1M_EEDaS1H_S1I_EUlS1H_E_NS1_11comp_targetILNS1_3genE3ELNS1_11target_archE908ELNS1_3gpuE7ELNS1_3repE0EEENS1_30default_config_static_selectorELNS0_4arch9wavefront6targetE0EEEvSV_,comdat
	.globl	_ZN7rocprim17ROCPRIM_400000_NS6detail17trampoline_kernelINS0_13select_configILj256ELj13ELNS0_17block_load_methodE3ELS4_3ELS4_3ELNS0_20block_scan_algorithmE0ELj4294967295EEENS1_25partition_config_selectorILNS1_17partition_subalgoE3EjNS0_10empty_typeEbEEZZNS1_14partition_implILS8_3ELb0ES6_jNS0_17counting_iteratorIjlEEPS9_SE_NS0_5tupleIJPjSE_EEENSF_IJSE_SE_EEES9_SG_JZNS1_25segmented_radix_sort_implINS0_14default_configELb1EPKlPlSM_SN_N2at6native12_GLOBAL__N_18offset_tEEE10hipError_tPvRmT1_PNSt15iterator_traitsISV_E10value_typeET2_T3_PNSW_IS11_E10value_typeET4_jRbjT5_S17_jjP12ihipStream_tbEUljE_EEESS_ST_SU_S11_S15_S17_T6_T7_T9_mT8_S19_bDpT10_ENKUlT_T0_E_clISt17integral_constantIbLb0EES1M_EEDaS1H_S1I_EUlS1H_E_NS1_11comp_targetILNS1_3genE3ELNS1_11target_archE908ELNS1_3gpuE7ELNS1_3repE0EEENS1_30default_config_static_selectorELNS0_4arch9wavefront6targetE0EEEvSV_ ; -- Begin function _ZN7rocprim17ROCPRIM_400000_NS6detail17trampoline_kernelINS0_13select_configILj256ELj13ELNS0_17block_load_methodE3ELS4_3ELS4_3ELNS0_20block_scan_algorithmE0ELj4294967295EEENS1_25partition_config_selectorILNS1_17partition_subalgoE3EjNS0_10empty_typeEbEEZZNS1_14partition_implILS8_3ELb0ES6_jNS0_17counting_iteratorIjlEEPS9_SE_NS0_5tupleIJPjSE_EEENSF_IJSE_SE_EEES9_SG_JZNS1_25segmented_radix_sort_implINS0_14default_configELb1EPKlPlSM_SN_N2at6native12_GLOBAL__N_18offset_tEEE10hipError_tPvRmT1_PNSt15iterator_traitsISV_E10value_typeET2_T3_PNSW_IS11_E10value_typeET4_jRbjT5_S17_jjP12ihipStream_tbEUljE_EEESS_ST_SU_S11_S15_S17_T6_T7_T9_mT8_S19_bDpT10_ENKUlT_T0_E_clISt17integral_constantIbLb0EES1M_EEDaS1H_S1I_EUlS1H_E_NS1_11comp_targetILNS1_3genE3ELNS1_11target_archE908ELNS1_3gpuE7ELNS1_3repE0EEENS1_30default_config_static_selectorELNS0_4arch9wavefront6targetE0EEEvSV_
	.p2align	8
	.type	_ZN7rocprim17ROCPRIM_400000_NS6detail17trampoline_kernelINS0_13select_configILj256ELj13ELNS0_17block_load_methodE3ELS4_3ELS4_3ELNS0_20block_scan_algorithmE0ELj4294967295EEENS1_25partition_config_selectorILNS1_17partition_subalgoE3EjNS0_10empty_typeEbEEZZNS1_14partition_implILS8_3ELb0ES6_jNS0_17counting_iteratorIjlEEPS9_SE_NS0_5tupleIJPjSE_EEENSF_IJSE_SE_EEES9_SG_JZNS1_25segmented_radix_sort_implINS0_14default_configELb1EPKlPlSM_SN_N2at6native12_GLOBAL__N_18offset_tEEE10hipError_tPvRmT1_PNSt15iterator_traitsISV_E10value_typeET2_T3_PNSW_IS11_E10value_typeET4_jRbjT5_S17_jjP12ihipStream_tbEUljE_EEESS_ST_SU_S11_S15_S17_T6_T7_T9_mT8_S19_bDpT10_ENKUlT_T0_E_clISt17integral_constantIbLb0EES1M_EEDaS1H_S1I_EUlS1H_E_NS1_11comp_targetILNS1_3genE3ELNS1_11target_archE908ELNS1_3gpuE7ELNS1_3repE0EEENS1_30default_config_static_selectorELNS0_4arch9wavefront6targetE0EEEvSV_,@function
_ZN7rocprim17ROCPRIM_400000_NS6detail17trampoline_kernelINS0_13select_configILj256ELj13ELNS0_17block_load_methodE3ELS4_3ELS4_3ELNS0_20block_scan_algorithmE0ELj4294967295EEENS1_25partition_config_selectorILNS1_17partition_subalgoE3EjNS0_10empty_typeEbEEZZNS1_14partition_implILS8_3ELb0ES6_jNS0_17counting_iteratorIjlEEPS9_SE_NS0_5tupleIJPjSE_EEENSF_IJSE_SE_EEES9_SG_JZNS1_25segmented_radix_sort_implINS0_14default_configELb1EPKlPlSM_SN_N2at6native12_GLOBAL__N_18offset_tEEE10hipError_tPvRmT1_PNSt15iterator_traitsISV_E10value_typeET2_T3_PNSW_IS11_E10value_typeET4_jRbjT5_S17_jjP12ihipStream_tbEUljE_EEESS_ST_SU_S11_S15_S17_T6_T7_T9_mT8_S19_bDpT10_ENKUlT_T0_E_clISt17integral_constantIbLb0EES1M_EEDaS1H_S1I_EUlS1H_E_NS1_11comp_targetILNS1_3genE3ELNS1_11target_archE908ELNS1_3gpuE7ELNS1_3repE0EEENS1_30default_config_static_selectorELNS0_4arch9wavefront6targetE0EEEvSV_: ; @_ZN7rocprim17ROCPRIM_400000_NS6detail17trampoline_kernelINS0_13select_configILj256ELj13ELNS0_17block_load_methodE3ELS4_3ELS4_3ELNS0_20block_scan_algorithmE0ELj4294967295EEENS1_25partition_config_selectorILNS1_17partition_subalgoE3EjNS0_10empty_typeEbEEZZNS1_14partition_implILS8_3ELb0ES6_jNS0_17counting_iteratorIjlEEPS9_SE_NS0_5tupleIJPjSE_EEENSF_IJSE_SE_EEES9_SG_JZNS1_25segmented_radix_sort_implINS0_14default_configELb1EPKlPlSM_SN_N2at6native12_GLOBAL__N_18offset_tEEE10hipError_tPvRmT1_PNSt15iterator_traitsISV_E10value_typeET2_T3_PNSW_IS11_E10value_typeET4_jRbjT5_S17_jjP12ihipStream_tbEUljE_EEESS_ST_SU_S11_S15_S17_T6_T7_T9_mT8_S19_bDpT10_ENKUlT_T0_E_clISt17integral_constantIbLb0EES1M_EEDaS1H_S1I_EUlS1H_E_NS1_11comp_targetILNS1_3genE3ELNS1_11target_archE908ELNS1_3gpuE7ELNS1_3repE0EEENS1_30default_config_static_selectorELNS0_4arch9wavefront6targetE0EEEvSV_
; %bb.0:
	.section	.rodata,"a",@progbits
	.p2align	6, 0x0
	.amdhsa_kernel _ZN7rocprim17ROCPRIM_400000_NS6detail17trampoline_kernelINS0_13select_configILj256ELj13ELNS0_17block_load_methodE3ELS4_3ELS4_3ELNS0_20block_scan_algorithmE0ELj4294967295EEENS1_25partition_config_selectorILNS1_17partition_subalgoE3EjNS0_10empty_typeEbEEZZNS1_14partition_implILS8_3ELb0ES6_jNS0_17counting_iteratorIjlEEPS9_SE_NS0_5tupleIJPjSE_EEENSF_IJSE_SE_EEES9_SG_JZNS1_25segmented_radix_sort_implINS0_14default_configELb1EPKlPlSM_SN_N2at6native12_GLOBAL__N_18offset_tEEE10hipError_tPvRmT1_PNSt15iterator_traitsISV_E10value_typeET2_T3_PNSW_IS11_E10value_typeET4_jRbjT5_S17_jjP12ihipStream_tbEUljE_EEESS_ST_SU_S11_S15_S17_T6_T7_T9_mT8_S19_bDpT10_ENKUlT_T0_E_clISt17integral_constantIbLb0EES1M_EEDaS1H_S1I_EUlS1H_E_NS1_11comp_targetILNS1_3genE3ELNS1_11target_archE908ELNS1_3gpuE7ELNS1_3repE0EEENS1_30default_config_static_selectorELNS0_4arch9wavefront6targetE0EEEvSV_
		.amdhsa_group_segment_fixed_size 0
		.amdhsa_private_segment_fixed_size 0
		.amdhsa_kernarg_size 144
		.amdhsa_user_sgpr_count 2
		.amdhsa_user_sgpr_dispatch_ptr 0
		.amdhsa_user_sgpr_queue_ptr 0
		.amdhsa_user_sgpr_kernarg_segment_ptr 1
		.amdhsa_user_sgpr_dispatch_id 0
		.amdhsa_user_sgpr_kernarg_preload_length 0
		.amdhsa_user_sgpr_kernarg_preload_offset 0
		.amdhsa_user_sgpr_private_segment_size 0
		.amdhsa_wavefront_size32 1
		.amdhsa_uses_dynamic_stack 0
		.amdhsa_enable_private_segment 0
		.amdhsa_system_sgpr_workgroup_id_x 1
		.amdhsa_system_sgpr_workgroup_id_y 0
		.amdhsa_system_sgpr_workgroup_id_z 0
		.amdhsa_system_sgpr_workgroup_info 0
		.amdhsa_system_vgpr_workitem_id 0
		.amdhsa_next_free_vgpr 1
		.amdhsa_next_free_sgpr 1
		.amdhsa_named_barrier_count 0
		.amdhsa_reserve_vcc 0
		.amdhsa_float_round_mode_32 0
		.amdhsa_float_round_mode_16_64 0
		.amdhsa_float_denorm_mode_32 3
		.amdhsa_float_denorm_mode_16_64 3
		.amdhsa_fp16_overflow 0
		.amdhsa_memory_ordered 1
		.amdhsa_forward_progress 1
		.amdhsa_inst_pref_size 0
		.amdhsa_round_robin_scheduling 0
		.amdhsa_exception_fp_ieee_invalid_op 0
		.amdhsa_exception_fp_denorm_src 0
		.amdhsa_exception_fp_ieee_div_zero 0
		.amdhsa_exception_fp_ieee_overflow 0
		.amdhsa_exception_fp_ieee_underflow 0
		.amdhsa_exception_fp_ieee_inexact 0
		.amdhsa_exception_int_div_zero 0
	.end_amdhsa_kernel
	.section	.text._ZN7rocprim17ROCPRIM_400000_NS6detail17trampoline_kernelINS0_13select_configILj256ELj13ELNS0_17block_load_methodE3ELS4_3ELS4_3ELNS0_20block_scan_algorithmE0ELj4294967295EEENS1_25partition_config_selectorILNS1_17partition_subalgoE3EjNS0_10empty_typeEbEEZZNS1_14partition_implILS8_3ELb0ES6_jNS0_17counting_iteratorIjlEEPS9_SE_NS0_5tupleIJPjSE_EEENSF_IJSE_SE_EEES9_SG_JZNS1_25segmented_radix_sort_implINS0_14default_configELb1EPKlPlSM_SN_N2at6native12_GLOBAL__N_18offset_tEEE10hipError_tPvRmT1_PNSt15iterator_traitsISV_E10value_typeET2_T3_PNSW_IS11_E10value_typeET4_jRbjT5_S17_jjP12ihipStream_tbEUljE_EEESS_ST_SU_S11_S15_S17_T6_T7_T9_mT8_S19_bDpT10_ENKUlT_T0_E_clISt17integral_constantIbLb0EES1M_EEDaS1H_S1I_EUlS1H_E_NS1_11comp_targetILNS1_3genE3ELNS1_11target_archE908ELNS1_3gpuE7ELNS1_3repE0EEENS1_30default_config_static_selectorELNS0_4arch9wavefront6targetE0EEEvSV_,"axG",@progbits,_ZN7rocprim17ROCPRIM_400000_NS6detail17trampoline_kernelINS0_13select_configILj256ELj13ELNS0_17block_load_methodE3ELS4_3ELS4_3ELNS0_20block_scan_algorithmE0ELj4294967295EEENS1_25partition_config_selectorILNS1_17partition_subalgoE3EjNS0_10empty_typeEbEEZZNS1_14partition_implILS8_3ELb0ES6_jNS0_17counting_iteratorIjlEEPS9_SE_NS0_5tupleIJPjSE_EEENSF_IJSE_SE_EEES9_SG_JZNS1_25segmented_radix_sort_implINS0_14default_configELb1EPKlPlSM_SN_N2at6native12_GLOBAL__N_18offset_tEEE10hipError_tPvRmT1_PNSt15iterator_traitsISV_E10value_typeET2_T3_PNSW_IS11_E10value_typeET4_jRbjT5_S17_jjP12ihipStream_tbEUljE_EEESS_ST_SU_S11_S15_S17_T6_T7_T9_mT8_S19_bDpT10_ENKUlT_T0_E_clISt17integral_constantIbLb0EES1M_EEDaS1H_S1I_EUlS1H_E_NS1_11comp_targetILNS1_3genE3ELNS1_11target_archE908ELNS1_3gpuE7ELNS1_3repE0EEENS1_30default_config_static_selectorELNS0_4arch9wavefront6targetE0EEEvSV_,comdat
.Lfunc_end671:
	.size	_ZN7rocprim17ROCPRIM_400000_NS6detail17trampoline_kernelINS0_13select_configILj256ELj13ELNS0_17block_load_methodE3ELS4_3ELS4_3ELNS0_20block_scan_algorithmE0ELj4294967295EEENS1_25partition_config_selectorILNS1_17partition_subalgoE3EjNS0_10empty_typeEbEEZZNS1_14partition_implILS8_3ELb0ES6_jNS0_17counting_iteratorIjlEEPS9_SE_NS0_5tupleIJPjSE_EEENSF_IJSE_SE_EEES9_SG_JZNS1_25segmented_radix_sort_implINS0_14default_configELb1EPKlPlSM_SN_N2at6native12_GLOBAL__N_18offset_tEEE10hipError_tPvRmT1_PNSt15iterator_traitsISV_E10value_typeET2_T3_PNSW_IS11_E10value_typeET4_jRbjT5_S17_jjP12ihipStream_tbEUljE_EEESS_ST_SU_S11_S15_S17_T6_T7_T9_mT8_S19_bDpT10_ENKUlT_T0_E_clISt17integral_constantIbLb0EES1M_EEDaS1H_S1I_EUlS1H_E_NS1_11comp_targetILNS1_3genE3ELNS1_11target_archE908ELNS1_3gpuE7ELNS1_3repE0EEENS1_30default_config_static_selectorELNS0_4arch9wavefront6targetE0EEEvSV_, .Lfunc_end671-_ZN7rocprim17ROCPRIM_400000_NS6detail17trampoline_kernelINS0_13select_configILj256ELj13ELNS0_17block_load_methodE3ELS4_3ELS4_3ELNS0_20block_scan_algorithmE0ELj4294967295EEENS1_25partition_config_selectorILNS1_17partition_subalgoE3EjNS0_10empty_typeEbEEZZNS1_14partition_implILS8_3ELb0ES6_jNS0_17counting_iteratorIjlEEPS9_SE_NS0_5tupleIJPjSE_EEENSF_IJSE_SE_EEES9_SG_JZNS1_25segmented_radix_sort_implINS0_14default_configELb1EPKlPlSM_SN_N2at6native12_GLOBAL__N_18offset_tEEE10hipError_tPvRmT1_PNSt15iterator_traitsISV_E10value_typeET2_T3_PNSW_IS11_E10value_typeET4_jRbjT5_S17_jjP12ihipStream_tbEUljE_EEESS_ST_SU_S11_S15_S17_T6_T7_T9_mT8_S19_bDpT10_ENKUlT_T0_E_clISt17integral_constantIbLb0EES1M_EEDaS1H_S1I_EUlS1H_E_NS1_11comp_targetILNS1_3genE3ELNS1_11target_archE908ELNS1_3gpuE7ELNS1_3repE0EEENS1_30default_config_static_selectorELNS0_4arch9wavefront6targetE0EEEvSV_
                                        ; -- End function
	.set _ZN7rocprim17ROCPRIM_400000_NS6detail17trampoline_kernelINS0_13select_configILj256ELj13ELNS0_17block_load_methodE3ELS4_3ELS4_3ELNS0_20block_scan_algorithmE0ELj4294967295EEENS1_25partition_config_selectorILNS1_17partition_subalgoE3EjNS0_10empty_typeEbEEZZNS1_14partition_implILS8_3ELb0ES6_jNS0_17counting_iteratorIjlEEPS9_SE_NS0_5tupleIJPjSE_EEENSF_IJSE_SE_EEES9_SG_JZNS1_25segmented_radix_sort_implINS0_14default_configELb1EPKlPlSM_SN_N2at6native12_GLOBAL__N_18offset_tEEE10hipError_tPvRmT1_PNSt15iterator_traitsISV_E10value_typeET2_T3_PNSW_IS11_E10value_typeET4_jRbjT5_S17_jjP12ihipStream_tbEUljE_EEESS_ST_SU_S11_S15_S17_T6_T7_T9_mT8_S19_bDpT10_ENKUlT_T0_E_clISt17integral_constantIbLb0EES1M_EEDaS1H_S1I_EUlS1H_E_NS1_11comp_targetILNS1_3genE3ELNS1_11target_archE908ELNS1_3gpuE7ELNS1_3repE0EEENS1_30default_config_static_selectorELNS0_4arch9wavefront6targetE0EEEvSV_.num_vgpr, 0
	.set _ZN7rocprim17ROCPRIM_400000_NS6detail17trampoline_kernelINS0_13select_configILj256ELj13ELNS0_17block_load_methodE3ELS4_3ELS4_3ELNS0_20block_scan_algorithmE0ELj4294967295EEENS1_25partition_config_selectorILNS1_17partition_subalgoE3EjNS0_10empty_typeEbEEZZNS1_14partition_implILS8_3ELb0ES6_jNS0_17counting_iteratorIjlEEPS9_SE_NS0_5tupleIJPjSE_EEENSF_IJSE_SE_EEES9_SG_JZNS1_25segmented_radix_sort_implINS0_14default_configELb1EPKlPlSM_SN_N2at6native12_GLOBAL__N_18offset_tEEE10hipError_tPvRmT1_PNSt15iterator_traitsISV_E10value_typeET2_T3_PNSW_IS11_E10value_typeET4_jRbjT5_S17_jjP12ihipStream_tbEUljE_EEESS_ST_SU_S11_S15_S17_T6_T7_T9_mT8_S19_bDpT10_ENKUlT_T0_E_clISt17integral_constantIbLb0EES1M_EEDaS1H_S1I_EUlS1H_E_NS1_11comp_targetILNS1_3genE3ELNS1_11target_archE908ELNS1_3gpuE7ELNS1_3repE0EEENS1_30default_config_static_selectorELNS0_4arch9wavefront6targetE0EEEvSV_.num_agpr, 0
	.set _ZN7rocprim17ROCPRIM_400000_NS6detail17trampoline_kernelINS0_13select_configILj256ELj13ELNS0_17block_load_methodE3ELS4_3ELS4_3ELNS0_20block_scan_algorithmE0ELj4294967295EEENS1_25partition_config_selectorILNS1_17partition_subalgoE3EjNS0_10empty_typeEbEEZZNS1_14partition_implILS8_3ELb0ES6_jNS0_17counting_iteratorIjlEEPS9_SE_NS0_5tupleIJPjSE_EEENSF_IJSE_SE_EEES9_SG_JZNS1_25segmented_radix_sort_implINS0_14default_configELb1EPKlPlSM_SN_N2at6native12_GLOBAL__N_18offset_tEEE10hipError_tPvRmT1_PNSt15iterator_traitsISV_E10value_typeET2_T3_PNSW_IS11_E10value_typeET4_jRbjT5_S17_jjP12ihipStream_tbEUljE_EEESS_ST_SU_S11_S15_S17_T6_T7_T9_mT8_S19_bDpT10_ENKUlT_T0_E_clISt17integral_constantIbLb0EES1M_EEDaS1H_S1I_EUlS1H_E_NS1_11comp_targetILNS1_3genE3ELNS1_11target_archE908ELNS1_3gpuE7ELNS1_3repE0EEENS1_30default_config_static_selectorELNS0_4arch9wavefront6targetE0EEEvSV_.numbered_sgpr, 0
	.set _ZN7rocprim17ROCPRIM_400000_NS6detail17trampoline_kernelINS0_13select_configILj256ELj13ELNS0_17block_load_methodE3ELS4_3ELS4_3ELNS0_20block_scan_algorithmE0ELj4294967295EEENS1_25partition_config_selectorILNS1_17partition_subalgoE3EjNS0_10empty_typeEbEEZZNS1_14partition_implILS8_3ELb0ES6_jNS0_17counting_iteratorIjlEEPS9_SE_NS0_5tupleIJPjSE_EEENSF_IJSE_SE_EEES9_SG_JZNS1_25segmented_radix_sort_implINS0_14default_configELb1EPKlPlSM_SN_N2at6native12_GLOBAL__N_18offset_tEEE10hipError_tPvRmT1_PNSt15iterator_traitsISV_E10value_typeET2_T3_PNSW_IS11_E10value_typeET4_jRbjT5_S17_jjP12ihipStream_tbEUljE_EEESS_ST_SU_S11_S15_S17_T6_T7_T9_mT8_S19_bDpT10_ENKUlT_T0_E_clISt17integral_constantIbLb0EES1M_EEDaS1H_S1I_EUlS1H_E_NS1_11comp_targetILNS1_3genE3ELNS1_11target_archE908ELNS1_3gpuE7ELNS1_3repE0EEENS1_30default_config_static_selectorELNS0_4arch9wavefront6targetE0EEEvSV_.num_named_barrier, 0
	.set _ZN7rocprim17ROCPRIM_400000_NS6detail17trampoline_kernelINS0_13select_configILj256ELj13ELNS0_17block_load_methodE3ELS4_3ELS4_3ELNS0_20block_scan_algorithmE0ELj4294967295EEENS1_25partition_config_selectorILNS1_17partition_subalgoE3EjNS0_10empty_typeEbEEZZNS1_14partition_implILS8_3ELb0ES6_jNS0_17counting_iteratorIjlEEPS9_SE_NS0_5tupleIJPjSE_EEENSF_IJSE_SE_EEES9_SG_JZNS1_25segmented_radix_sort_implINS0_14default_configELb1EPKlPlSM_SN_N2at6native12_GLOBAL__N_18offset_tEEE10hipError_tPvRmT1_PNSt15iterator_traitsISV_E10value_typeET2_T3_PNSW_IS11_E10value_typeET4_jRbjT5_S17_jjP12ihipStream_tbEUljE_EEESS_ST_SU_S11_S15_S17_T6_T7_T9_mT8_S19_bDpT10_ENKUlT_T0_E_clISt17integral_constantIbLb0EES1M_EEDaS1H_S1I_EUlS1H_E_NS1_11comp_targetILNS1_3genE3ELNS1_11target_archE908ELNS1_3gpuE7ELNS1_3repE0EEENS1_30default_config_static_selectorELNS0_4arch9wavefront6targetE0EEEvSV_.private_seg_size, 0
	.set _ZN7rocprim17ROCPRIM_400000_NS6detail17trampoline_kernelINS0_13select_configILj256ELj13ELNS0_17block_load_methodE3ELS4_3ELS4_3ELNS0_20block_scan_algorithmE0ELj4294967295EEENS1_25partition_config_selectorILNS1_17partition_subalgoE3EjNS0_10empty_typeEbEEZZNS1_14partition_implILS8_3ELb0ES6_jNS0_17counting_iteratorIjlEEPS9_SE_NS0_5tupleIJPjSE_EEENSF_IJSE_SE_EEES9_SG_JZNS1_25segmented_radix_sort_implINS0_14default_configELb1EPKlPlSM_SN_N2at6native12_GLOBAL__N_18offset_tEEE10hipError_tPvRmT1_PNSt15iterator_traitsISV_E10value_typeET2_T3_PNSW_IS11_E10value_typeET4_jRbjT5_S17_jjP12ihipStream_tbEUljE_EEESS_ST_SU_S11_S15_S17_T6_T7_T9_mT8_S19_bDpT10_ENKUlT_T0_E_clISt17integral_constantIbLb0EES1M_EEDaS1H_S1I_EUlS1H_E_NS1_11comp_targetILNS1_3genE3ELNS1_11target_archE908ELNS1_3gpuE7ELNS1_3repE0EEENS1_30default_config_static_selectorELNS0_4arch9wavefront6targetE0EEEvSV_.uses_vcc, 0
	.set _ZN7rocprim17ROCPRIM_400000_NS6detail17trampoline_kernelINS0_13select_configILj256ELj13ELNS0_17block_load_methodE3ELS4_3ELS4_3ELNS0_20block_scan_algorithmE0ELj4294967295EEENS1_25partition_config_selectorILNS1_17partition_subalgoE3EjNS0_10empty_typeEbEEZZNS1_14partition_implILS8_3ELb0ES6_jNS0_17counting_iteratorIjlEEPS9_SE_NS0_5tupleIJPjSE_EEENSF_IJSE_SE_EEES9_SG_JZNS1_25segmented_radix_sort_implINS0_14default_configELb1EPKlPlSM_SN_N2at6native12_GLOBAL__N_18offset_tEEE10hipError_tPvRmT1_PNSt15iterator_traitsISV_E10value_typeET2_T3_PNSW_IS11_E10value_typeET4_jRbjT5_S17_jjP12ihipStream_tbEUljE_EEESS_ST_SU_S11_S15_S17_T6_T7_T9_mT8_S19_bDpT10_ENKUlT_T0_E_clISt17integral_constantIbLb0EES1M_EEDaS1H_S1I_EUlS1H_E_NS1_11comp_targetILNS1_3genE3ELNS1_11target_archE908ELNS1_3gpuE7ELNS1_3repE0EEENS1_30default_config_static_selectorELNS0_4arch9wavefront6targetE0EEEvSV_.uses_flat_scratch, 0
	.set _ZN7rocprim17ROCPRIM_400000_NS6detail17trampoline_kernelINS0_13select_configILj256ELj13ELNS0_17block_load_methodE3ELS4_3ELS4_3ELNS0_20block_scan_algorithmE0ELj4294967295EEENS1_25partition_config_selectorILNS1_17partition_subalgoE3EjNS0_10empty_typeEbEEZZNS1_14partition_implILS8_3ELb0ES6_jNS0_17counting_iteratorIjlEEPS9_SE_NS0_5tupleIJPjSE_EEENSF_IJSE_SE_EEES9_SG_JZNS1_25segmented_radix_sort_implINS0_14default_configELb1EPKlPlSM_SN_N2at6native12_GLOBAL__N_18offset_tEEE10hipError_tPvRmT1_PNSt15iterator_traitsISV_E10value_typeET2_T3_PNSW_IS11_E10value_typeET4_jRbjT5_S17_jjP12ihipStream_tbEUljE_EEESS_ST_SU_S11_S15_S17_T6_T7_T9_mT8_S19_bDpT10_ENKUlT_T0_E_clISt17integral_constantIbLb0EES1M_EEDaS1H_S1I_EUlS1H_E_NS1_11comp_targetILNS1_3genE3ELNS1_11target_archE908ELNS1_3gpuE7ELNS1_3repE0EEENS1_30default_config_static_selectorELNS0_4arch9wavefront6targetE0EEEvSV_.has_dyn_sized_stack, 0
	.set _ZN7rocprim17ROCPRIM_400000_NS6detail17trampoline_kernelINS0_13select_configILj256ELj13ELNS0_17block_load_methodE3ELS4_3ELS4_3ELNS0_20block_scan_algorithmE0ELj4294967295EEENS1_25partition_config_selectorILNS1_17partition_subalgoE3EjNS0_10empty_typeEbEEZZNS1_14partition_implILS8_3ELb0ES6_jNS0_17counting_iteratorIjlEEPS9_SE_NS0_5tupleIJPjSE_EEENSF_IJSE_SE_EEES9_SG_JZNS1_25segmented_radix_sort_implINS0_14default_configELb1EPKlPlSM_SN_N2at6native12_GLOBAL__N_18offset_tEEE10hipError_tPvRmT1_PNSt15iterator_traitsISV_E10value_typeET2_T3_PNSW_IS11_E10value_typeET4_jRbjT5_S17_jjP12ihipStream_tbEUljE_EEESS_ST_SU_S11_S15_S17_T6_T7_T9_mT8_S19_bDpT10_ENKUlT_T0_E_clISt17integral_constantIbLb0EES1M_EEDaS1H_S1I_EUlS1H_E_NS1_11comp_targetILNS1_3genE3ELNS1_11target_archE908ELNS1_3gpuE7ELNS1_3repE0EEENS1_30default_config_static_selectorELNS0_4arch9wavefront6targetE0EEEvSV_.has_recursion, 0
	.set _ZN7rocprim17ROCPRIM_400000_NS6detail17trampoline_kernelINS0_13select_configILj256ELj13ELNS0_17block_load_methodE3ELS4_3ELS4_3ELNS0_20block_scan_algorithmE0ELj4294967295EEENS1_25partition_config_selectorILNS1_17partition_subalgoE3EjNS0_10empty_typeEbEEZZNS1_14partition_implILS8_3ELb0ES6_jNS0_17counting_iteratorIjlEEPS9_SE_NS0_5tupleIJPjSE_EEENSF_IJSE_SE_EEES9_SG_JZNS1_25segmented_radix_sort_implINS0_14default_configELb1EPKlPlSM_SN_N2at6native12_GLOBAL__N_18offset_tEEE10hipError_tPvRmT1_PNSt15iterator_traitsISV_E10value_typeET2_T3_PNSW_IS11_E10value_typeET4_jRbjT5_S17_jjP12ihipStream_tbEUljE_EEESS_ST_SU_S11_S15_S17_T6_T7_T9_mT8_S19_bDpT10_ENKUlT_T0_E_clISt17integral_constantIbLb0EES1M_EEDaS1H_S1I_EUlS1H_E_NS1_11comp_targetILNS1_3genE3ELNS1_11target_archE908ELNS1_3gpuE7ELNS1_3repE0EEENS1_30default_config_static_selectorELNS0_4arch9wavefront6targetE0EEEvSV_.has_indirect_call, 0
	.section	.AMDGPU.csdata,"",@progbits
; Kernel info:
; codeLenInByte = 0
; TotalNumSgprs: 0
; NumVgprs: 0
; ScratchSize: 0
; MemoryBound: 0
; FloatMode: 240
; IeeeMode: 1
; LDSByteSize: 0 bytes/workgroup (compile time only)
; SGPRBlocks: 0
; VGPRBlocks: 0
; NumSGPRsForWavesPerEU: 1
; NumVGPRsForWavesPerEU: 1
; NamedBarCnt: 0
; Occupancy: 16
; WaveLimiterHint : 0
; COMPUTE_PGM_RSRC2:SCRATCH_EN: 0
; COMPUTE_PGM_RSRC2:USER_SGPR: 2
; COMPUTE_PGM_RSRC2:TRAP_HANDLER: 0
; COMPUTE_PGM_RSRC2:TGID_X_EN: 1
; COMPUTE_PGM_RSRC2:TGID_Y_EN: 0
; COMPUTE_PGM_RSRC2:TGID_Z_EN: 0
; COMPUTE_PGM_RSRC2:TIDIG_COMP_CNT: 0
	.section	.text._ZN7rocprim17ROCPRIM_400000_NS6detail17trampoline_kernelINS0_13select_configILj256ELj13ELNS0_17block_load_methodE3ELS4_3ELS4_3ELNS0_20block_scan_algorithmE0ELj4294967295EEENS1_25partition_config_selectorILNS1_17partition_subalgoE3EjNS0_10empty_typeEbEEZZNS1_14partition_implILS8_3ELb0ES6_jNS0_17counting_iteratorIjlEEPS9_SE_NS0_5tupleIJPjSE_EEENSF_IJSE_SE_EEES9_SG_JZNS1_25segmented_radix_sort_implINS0_14default_configELb1EPKlPlSM_SN_N2at6native12_GLOBAL__N_18offset_tEEE10hipError_tPvRmT1_PNSt15iterator_traitsISV_E10value_typeET2_T3_PNSW_IS11_E10value_typeET4_jRbjT5_S17_jjP12ihipStream_tbEUljE_EEESS_ST_SU_S11_S15_S17_T6_T7_T9_mT8_S19_bDpT10_ENKUlT_T0_E_clISt17integral_constantIbLb0EES1M_EEDaS1H_S1I_EUlS1H_E_NS1_11comp_targetILNS1_3genE2ELNS1_11target_archE906ELNS1_3gpuE6ELNS1_3repE0EEENS1_30default_config_static_selectorELNS0_4arch9wavefront6targetE0EEEvSV_,"axG",@progbits,_ZN7rocprim17ROCPRIM_400000_NS6detail17trampoline_kernelINS0_13select_configILj256ELj13ELNS0_17block_load_methodE3ELS4_3ELS4_3ELNS0_20block_scan_algorithmE0ELj4294967295EEENS1_25partition_config_selectorILNS1_17partition_subalgoE3EjNS0_10empty_typeEbEEZZNS1_14partition_implILS8_3ELb0ES6_jNS0_17counting_iteratorIjlEEPS9_SE_NS0_5tupleIJPjSE_EEENSF_IJSE_SE_EEES9_SG_JZNS1_25segmented_radix_sort_implINS0_14default_configELb1EPKlPlSM_SN_N2at6native12_GLOBAL__N_18offset_tEEE10hipError_tPvRmT1_PNSt15iterator_traitsISV_E10value_typeET2_T3_PNSW_IS11_E10value_typeET4_jRbjT5_S17_jjP12ihipStream_tbEUljE_EEESS_ST_SU_S11_S15_S17_T6_T7_T9_mT8_S19_bDpT10_ENKUlT_T0_E_clISt17integral_constantIbLb0EES1M_EEDaS1H_S1I_EUlS1H_E_NS1_11comp_targetILNS1_3genE2ELNS1_11target_archE906ELNS1_3gpuE6ELNS1_3repE0EEENS1_30default_config_static_selectorELNS0_4arch9wavefront6targetE0EEEvSV_,comdat
	.globl	_ZN7rocprim17ROCPRIM_400000_NS6detail17trampoline_kernelINS0_13select_configILj256ELj13ELNS0_17block_load_methodE3ELS4_3ELS4_3ELNS0_20block_scan_algorithmE0ELj4294967295EEENS1_25partition_config_selectorILNS1_17partition_subalgoE3EjNS0_10empty_typeEbEEZZNS1_14partition_implILS8_3ELb0ES6_jNS0_17counting_iteratorIjlEEPS9_SE_NS0_5tupleIJPjSE_EEENSF_IJSE_SE_EEES9_SG_JZNS1_25segmented_radix_sort_implINS0_14default_configELb1EPKlPlSM_SN_N2at6native12_GLOBAL__N_18offset_tEEE10hipError_tPvRmT1_PNSt15iterator_traitsISV_E10value_typeET2_T3_PNSW_IS11_E10value_typeET4_jRbjT5_S17_jjP12ihipStream_tbEUljE_EEESS_ST_SU_S11_S15_S17_T6_T7_T9_mT8_S19_bDpT10_ENKUlT_T0_E_clISt17integral_constantIbLb0EES1M_EEDaS1H_S1I_EUlS1H_E_NS1_11comp_targetILNS1_3genE2ELNS1_11target_archE906ELNS1_3gpuE6ELNS1_3repE0EEENS1_30default_config_static_selectorELNS0_4arch9wavefront6targetE0EEEvSV_ ; -- Begin function _ZN7rocprim17ROCPRIM_400000_NS6detail17trampoline_kernelINS0_13select_configILj256ELj13ELNS0_17block_load_methodE3ELS4_3ELS4_3ELNS0_20block_scan_algorithmE0ELj4294967295EEENS1_25partition_config_selectorILNS1_17partition_subalgoE3EjNS0_10empty_typeEbEEZZNS1_14partition_implILS8_3ELb0ES6_jNS0_17counting_iteratorIjlEEPS9_SE_NS0_5tupleIJPjSE_EEENSF_IJSE_SE_EEES9_SG_JZNS1_25segmented_radix_sort_implINS0_14default_configELb1EPKlPlSM_SN_N2at6native12_GLOBAL__N_18offset_tEEE10hipError_tPvRmT1_PNSt15iterator_traitsISV_E10value_typeET2_T3_PNSW_IS11_E10value_typeET4_jRbjT5_S17_jjP12ihipStream_tbEUljE_EEESS_ST_SU_S11_S15_S17_T6_T7_T9_mT8_S19_bDpT10_ENKUlT_T0_E_clISt17integral_constantIbLb0EES1M_EEDaS1H_S1I_EUlS1H_E_NS1_11comp_targetILNS1_3genE2ELNS1_11target_archE906ELNS1_3gpuE6ELNS1_3repE0EEENS1_30default_config_static_selectorELNS0_4arch9wavefront6targetE0EEEvSV_
	.p2align	8
	.type	_ZN7rocprim17ROCPRIM_400000_NS6detail17trampoline_kernelINS0_13select_configILj256ELj13ELNS0_17block_load_methodE3ELS4_3ELS4_3ELNS0_20block_scan_algorithmE0ELj4294967295EEENS1_25partition_config_selectorILNS1_17partition_subalgoE3EjNS0_10empty_typeEbEEZZNS1_14partition_implILS8_3ELb0ES6_jNS0_17counting_iteratorIjlEEPS9_SE_NS0_5tupleIJPjSE_EEENSF_IJSE_SE_EEES9_SG_JZNS1_25segmented_radix_sort_implINS0_14default_configELb1EPKlPlSM_SN_N2at6native12_GLOBAL__N_18offset_tEEE10hipError_tPvRmT1_PNSt15iterator_traitsISV_E10value_typeET2_T3_PNSW_IS11_E10value_typeET4_jRbjT5_S17_jjP12ihipStream_tbEUljE_EEESS_ST_SU_S11_S15_S17_T6_T7_T9_mT8_S19_bDpT10_ENKUlT_T0_E_clISt17integral_constantIbLb0EES1M_EEDaS1H_S1I_EUlS1H_E_NS1_11comp_targetILNS1_3genE2ELNS1_11target_archE906ELNS1_3gpuE6ELNS1_3repE0EEENS1_30default_config_static_selectorELNS0_4arch9wavefront6targetE0EEEvSV_,@function
_ZN7rocprim17ROCPRIM_400000_NS6detail17trampoline_kernelINS0_13select_configILj256ELj13ELNS0_17block_load_methodE3ELS4_3ELS4_3ELNS0_20block_scan_algorithmE0ELj4294967295EEENS1_25partition_config_selectorILNS1_17partition_subalgoE3EjNS0_10empty_typeEbEEZZNS1_14partition_implILS8_3ELb0ES6_jNS0_17counting_iteratorIjlEEPS9_SE_NS0_5tupleIJPjSE_EEENSF_IJSE_SE_EEES9_SG_JZNS1_25segmented_radix_sort_implINS0_14default_configELb1EPKlPlSM_SN_N2at6native12_GLOBAL__N_18offset_tEEE10hipError_tPvRmT1_PNSt15iterator_traitsISV_E10value_typeET2_T3_PNSW_IS11_E10value_typeET4_jRbjT5_S17_jjP12ihipStream_tbEUljE_EEESS_ST_SU_S11_S15_S17_T6_T7_T9_mT8_S19_bDpT10_ENKUlT_T0_E_clISt17integral_constantIbLb0EES1M_EEDaS1H_S1I_EUlS1H_E_NS1_11comp_targetILNS1_3genE2ELNS1_11target_archE906ELNS1_3gpuE6ELNS1_3repE0EEENS1_30default_config_static_selectorELNS0_4arch9wavefront6targetE0EEEvSV_: ; @_ZN7rocprim17ROCPRIM_400000_NS6detail17trampoline_kernelINS0_13select_configILj256ELj13ELNS0_17block_load_methodE3ELS4_3ELS4_3ELNS0_20block_scan_algorithmE0ELj4294967295EEENS1_25partition_config_selectorILNS1_17partition_subalgoE3EjNS0_10empty_typeEbEEZZNS1_14partition_implILS8_3ELb0ES6_jNS0_17counting_iteratorIjlEEPS9_SE_NS0_5tupleIJPjSE_EEENSF_IJSE_SE_EEES9_SG_JZNS1_25segmented_radix_sort_implINS0_14default_configELb1EPKlPlSM_SN_N2at6native12_GLOBAL__N_18offset_tEEE10hipError_tPvRmT1_PNSt15iterator_traitsISV_E10value_typeET2_T3_PNSW_IS11_E10value_typeET4_jRbjT5_S17_jjP12ihipStream_tbEUljE_EEESS_ST_SU_S11_S15_S17_T6_T7_T9_mT8_S19_bDpT10_ENKUlT_T0_E_clISt17integral_constantIbLb0EES1M_EEDaS1H_S1I_EUlS1H_E_NS1_11comp_targetILNS1_3genE2ELNS1_11target_archE906ELNS1_3gpuE6ELNS1_3repE0EEENS1_30default_config_static_selectorELNS0_4arch9wavefront6targetE0EEEvSV_
; %bb.0:
	.section	.rodata,"a",@progbits
	.p2align	6, 0x0
	.amdhsa_kernel _ZN7rocprim17ROCPRIM_400000_NS6detail17trampoline_kernelINS0_13select_configILj256ELj13ELNS0_17block_load_methodE3ELS4_3ELS4_3ELNS0_20block_scan_algorithmE0ELj4294967295EEENS1_25partition_config_selectorILNS1_17partition_subalgoE3EjNS0_10empty_typeEbEEZZNS1_14partition_implILS8_3ELb0ES6_jNS0_17counting_iteratorIjlEEPS9_SE_NS0_5tupleIJPjSE_EEENSF_IJSE_SE_EEES9_SG_JZNS1_25segmented_radix_sort_implINS0_14default_configELb1EPKlPlSM_SN_N2at6native12_GLOBAL__N_18offset_tEEE10hipError_tPvRmT1_PNSt15iterator_traitsISV_E10value_typeET2_T3_PNSW_IS11_E10value_typeET4_jRbjT5_S17_jjP12ihipStream_tbEUljE_EEESS_ST_SU_S11_S15_S17_T6_T7_T9_mT8_S19_bDpT10_ENKUlT_T0_E_clISt17integral_constantIbLb0EES1M_EEDaS1H_S1I_EUlS1H_E_NS1_11comp_targetILNS1_3genE2ELNS1_11target_archE906ELNS1_3gpuE6ELNS1_3repE0EEENS1_30default_config_static_selectorELNS0_4arch9wavefront6targetE0EEEvSV_
		.amdhsa_group_segment_fixed_size 0
		.amdhsa_private_segment_fixed_size 0
		.amdhsa_kernarg_size 144
		.amdhsa_user_sgpr_count 2
		.amdhsa_user_sgpr_dispatch_ptr 0
		.amdhsa_user_sgpr_queue_ptr 0
		.amdhsa_user_sgpr_kernarg_segment_ptr 1
		.amdhsa_user_sgpr_dispatch_id 0
		.amdhsa_user_sgpr_kernarg_preload_length 0
		.amdhsa_user_sgpr_kernarg_preload_offset 0
		.amdhsa_user_sgpr_private_segment_size 0
		.amdhsa_wavefront_size32 1
		.amdhsa_uses_dynamic_stack 0
		.amdhsa_enable_private_segment 0
		.amdhsa_system_sgpr_workgroup_id_x 1
		.amdhsa_system_sgpr_workgroup_id_y 0
		.amdhsa_system_sgpr_workgroup_id_z 0
		.amdhsa_system_sgpr_workgroup_info 0
		.amdhsa_system_vgpr_workitem_id 0
		.amdhsa_next_free_vgpr 1
		.amdhsa_next_free_sgpr 1
		.amdhsa_named_barrier_count 0
		.amdhsa_reserve_vcc 0
		.amdhsa_float_round_mode_32 0
		.amdhsa_float_round_mode_16_64 0
		.amdhsa_float_denorm_mode_32 3
		.amdhsa_float_denorm_mode_16_64 3
		.amdhsa_fp16_overflow 0
		.amdhsa_memory_ordered 1
		.amdhsa_forward_progress 1
		.amdhsa_inst_pref_size 0
		.amdhsa_round_robin_scheduling 0
		.amdhsa_exception_fp_ieee_invalid_op 0
		.amdhsa_exception_fp_denorm_src 0
		.amdhsa_exception_fp_ieee_div_zero 0
		.amdhsa_exception_fp_ieee_overflow 0
		.amdhsa_exception_fp_ieee_underflow 0
		.amdhsa_exception_fp_ieee_inexact 0
		.amdhsa_exception_int_div_zero 0
	.end_amdhsa_kernel
	.section	.text._ZN7rocprim17ROCPRIM_400000_NS6detail17trampoline_kernelINS0_13select_configILj256ELj13ELNS0_17block_load_methodE3ELS4_3ELS4_3ELNS0_20block_scan_algorithmE0ELj4294967295EEENS1_25partition_config_selectorILNS1_17partition_subalgoE3EjNS0_10empty_typeEbEEZZNS1_14partition_implILS8_3ELb0ES6_jNS0_17counting_iteratorIjlEEPS9_SE_NS0_5tupleIJPjSE_EEENSF_IJSE_SE_EEES9_SG_JZNS1_25segmented_radix_sort_implINS0_14default_configELb1EPKlPlSM_SN_N2at6native12_GLOBAL__N_18offset_tEEE10hipError_tPvRmT1_PNSt15iterator_traitsISV_E10value_typeET2_T3_PNSW_IS11_E10value_typeET4_jRbjT5_S17_jjP12ihipStream_tbEUljE_EEESS_ST_SU_S11_S15_S17_T6_T7_T9_mT8_S19_bDpT10_ENKUlT_T0_E_clISt17integral_constantIbLb0EES1M_EEDaS1H_S1I_EUlS1H_E_NS1_11comp_targetILNS1_3genE2ELNS1_11target_archE906ELNS1_3gpuE6ELNS1_3repE0EEENS1_30default_config_static_selectorELNS0_4arch9wavefront6targetE0EEEvSV_,"axG",@progbits,_ZN7rocprim17ROCPRIM_400000_NS6detail17trampoline_kernelINS0_13select_configILj256ELj13ELNS0_17block_load_methodE3ELS4_3ELS4_3ELNS0_20block_scan_algorithmE0ELj4294967295EEENS1_25partition_config_selectorILNS1_17partition_subalgoE3EjNS0_10empty_typeEbEEZZNS1_14partition_implILS8_3ELb0ES6_jNS0_17counting_iteratorIjlEEPS9_SE_NS0_5tupleIJPjSE_EEENSF_IJSE_SE_EEES9_SG_JZNS1_25segmented_radix_sort_implINS0_14default_configELb1EPKlPlSM_SN_N2at6native12_GLOBAL__N_18offset_tEEE10hipError_tPvRmT1_PNSt15iterator_traitsISV_E10value_typeET2_T3_PNSW_IS11_E10value_typeET4_jRbjT5_S17_jjP12ihipStream_tbEUljE_EEESS_ST_SU_S11_S15_S17_T6_T7_T9_mT8_S19_bDpT10_ENKUlT_T0_E_clISt17integral_constantIbLb0EES1M_EEDaS1H_S1I_EUlS1H_E_NS1_11comp_targetILNS1_3genE2ELNS1_11target_archE906ELNS1_3gpuE6ELNS1_3repE0EEENS1_30default_config_static_selectorELNS0_4arch9wavefront6targetE0EEEvSV_,comdat
.Lfunc_end672:
	.size	_ZN7rocprim17ROCPRIM_400000_NS6detail17trampoline_kernelINS0_13select_configILj256ELj13ELNS0_17block_load_methodE3ELS4_3ELS4_3ELNS0_20block_scan_algorithmE0ELj4294967295EEENS1_25partition_config_selectorILNS1_17partition_subalgoE3EjNS0_10empty_typeEbEEZZNS1_14partition_implILS8_3ELb0ES6_jNS0_17counting_iteratorIjlEEPS9_SE_NS0_5tupleIJPjSE_EEENSF_IJSE_SE_EEES9_SG_JZNS1_25segmented_radix_sort_implINS0_14default_configELb1EPKlPlSM_SN_N2at6native12_GLOBAL__N_18offset_tEEE10hipError_tPvRmT1_PNSt15iterator_traitsISV_E10value_typeET2_T3_PNSW_IS11_E10value_typeET4_jRbjT5_S17_jjP12ihipStream_tbEUljE_EEESS_ST_SU_S11_S15_S17_T6_T7_T9_mT8_S19_bDpT10_ENKUlT_T0_E_clISt17integral_constantIbLb0EES1M_EEDaS1H_S1I_EUlS1H_E_NS1_11comp_targetILNS1_3genE2ELNS1_11target_archE906ELNS1_3gpuE6ELNS1_3repE0EEENS1_30default_config_static_selectorELNS0_4arch9wavefront6targetE0EEEvSV_, .Lfunc_end672-_ZN7rocprim17ROCPRIM_400000_NS6detail17trampoline_kernelINS0_13select_configILj256ELj13ELNS0_17block_load_methodE3ELS4_3ELS4_3ELNS0_20block_scan_algorithmE0ELj4294967295EEENS1_25partition_config_selectorILNS1_17partition_subalgoE3EjNS0_10empty_typeEbEEZZNS1_14partition_implILS8_3ELb0ES6_jNS0_17counting_iteratorIjlEEPS9_SE_NS0_5tupleIJPjSE_EEENSF_IJSE_SE_EEES9_SG_JZNS1_25segmented_radix_sort_implINS0_14default_configELb1EPKlPlSM_SN_N2at6native12_GLOBAL__N_18offset_tEEE10hipError_tPvRmT1_PNSt15iterator_traitsISV_E10value_typeET2_T3_PNSW_IS11_E10value_typeET4_jRbjT5_S17_jjP12ihipStream_tbEUljE_EEESS_ST_SU_S11_S15_S17_T6_T7_T9_mT8_S19_bDpT10_ENKUlT_T0_E_clISt17integral_constantIbLb0EES1M_EEDaS1H_S1I_EUlS1H_E_NS1_11comp_targetILNS1_3genE2ELNS1_11target_archE906ELNS1_3gpuE6ELNS1_3repE0EEENS1_30default_config_static_selectorELNS0_4arch9wavefront6targetE0EEEvSV_
                                        ; -- End function
	.set _ZN7rocprim17ROCPRIM_400000_NS6detail17trampoline_kernelINS0_13select_configILj256ELj13ELNS0_17block_load_methodE3ELS4_3ELS4_3ELNS0_20block_scan_algorithmE0ELj4294967295EEENS1_25partition_config_selectorILNS1_17partition_subalgoE3EjNS0_10empty_typeEbEEZZNS1_14partition_implILS8_3ELb0ES6_jNS0_17counting_iteratorIjlEEPS9_SE_NS0_5tupleIJPjSE_EEENSF_IJSE_SE_EEES9_SG_JZNS1_25segmented_radix_sort_implINS0_14default_configELb1EPKlPlSM_SN_N2at6native12_GLOBAL__N_18offset_tEEE10hipError_tPvRmT1_PNSt15iterator_traitsISV_E10value_typeET2_T3_PNSW_IS11_E10value_typeET4_jRbjT5_S17_jjP12ihipStream_tbEUljE_EEESS_ST_SU_S11_S15_S17_T6_T7_T9_mT8_S19_bDpT10_ENKUlT_T0_E_clISt17integral_constantIbLb0EES1M_EEDaS1H_S1I_EUlS1H_E_NS1_11comp_targetILNS1_3genE2ELNS1_11target_archE906ELNS1_3gpuE6ELNS1_3repE0EEENS1_30default_config_static_selectorELNS0_4arch9wavefront6targetE0EEEvSV_.num_vgpr, 0
	.set _ZN7rocprim17ROCPRIM_400000_NS6detail17trampoline_kernelINS0_13select_configILj256ELj13ELNS0_17block_load_methodE3ELS4_3ELS4_3ELNS0_20block_scan_algorithmE0ELj4294967295EEENS1_25partition_config_selectorILNS1_17partition_subalgoE3EjNS0_10empty_typeEbEEZZNS1_14partition_implILS8_3ELb0ES6_jNS0_17counting_iteratorIjlEEPS9_SE_NS0_5tupleIJPjSE_EEENSF_IJSE_SE_EEES9_SG_JZNS1_25segmented_radix_sort_implINS0_14default_configELb1EPKlPlSM_SN_N2at6native12_GLOBAL__N_18offset_tEEE10hipError_tPvRmT1_PNSt15iterator_traitsISV_E10value_typeET2_T3_PNSW_IS11_E10value_typeET4_jRbjT5_S17_jjP12ihipStream_tbEUljE_EEESS_ST_SU_S11_S15_S17_T6_T7_T9_mT8_S19_bDpT10_ENKUlT_T0_E_clISt17integral_constantIbLb0EES1M_EEDaS1H_S1I_EUlS1H_E_NS1_11comp_targetILNS1_3genE2ELNS1_11target_archE906ELNS1_3gpuE6ELNS1_3repE0EEENS1_30default_config_static_selectorELNS0_4arch9wavefront6targetE0EEEvSV_.num_agpr, 0
	.set _ZN7rocprim17ROCPRIM_400000_NS6detail17trampoline_kernelINS0_13select_configILj256ELj13ELNS0_17block_load_methodE3ELS4_3ELS4_3ELNS0_20block_scan_algorithmE0ELj4294967295EEENS1_25partition_config_selectorILNS1_17partition_subalgoE3EjNS0_10empty_typeEbEEZZNS1_14partition_implILS8_3ELb0ES6_jNS0_17counting_iteratorIjlEEPS9_SE_NS0_5tupleIJPjSE_EEENSF_IJSE_SE_EEES9_SG_JZNS1_25segmented_radix_sort_implINS0_14default_configELb1EPKlPlSM_SN_N2at6native12_GLOBAL__N_18offset_tEEE10hipError_tPvRmT1_PNSt15iterator_traitsISV_E10value_typeET2_T3_PNSW_IS11_E10value_typeET4_jRbjT5_S17_jjP12ihipStream_tbEUljE_EEESS_ST_SU_S11_S15_S17_T6_T7_T9_mT8_S19_bDpT10_ENKUlT_T0_E_clISt17integral_constantIbLb0EES1M_EEDaS1H_S1I_EUlS1H_E_NS1_11comp_targetILNS1_3genE2ELNS1_11target_archE906ELNS1_3gpuE6ELNS1_3repE0EEENS1_30default_config_static_selectorELNS0_4arch9wavefront6targetE0EEEvSV_.numbered_sgpr, 0
	.set _ZN7rocprim17ROCPRIM_400000_NS6detail17trampoline_kernelINS0_13select_configILj256ELj13ELNS0_17block_load_methodE3ELS4_3ELS4_3ELNS0_20block_scan_algorithmE0ELj4294967295EEENS1_25partition_config_selectorILNS1_17partition_subalgoE3EjNS0_10empty_typeEbEEZZNS1_14partition_implILS8_3ELb0ES6_jNS0_17counting_iteratorIjlEEPS9_SE_NS0_5tupleIJPjSE_EEENSF_IJSE_SE_EEES9_SG_JZNS1_25segmented_radix_sort_implINS0_14default_configELb1EPKlPlSM_SN_N2at6native12_GLOBAL__N_18offset_tEEE10hipError_tPvRmT1_PNSt15iterator_traitsISV_E10value_typeET2_T3_PNSW_IS11_E10value_typeET4_jRbjT5_S17_jjP12ihipStream_tbEUljE_EEESS_ST_SU_S11_S15_S17_T6_T7_T9_mT8_S19_bDpT10_ENKUlT_T0_E_clISt17integral_constantIbLb0EES1M_EEDaS1H_S1I_EUlS1H_E_NS1_11comp_targetILNS1_3genE2ELNS1_11target_archE906ELNS1_3gpuE6ELNS1_3repE0EEENS1_30default_config_static_selectorELNS0_4arch9wavefront6targetE0EEEvSV_.num_named_barrier, 0
	.set _ZN7rocprim17ROCPRIM_400000_NS6detail17trampoline_kernelINS0_13select_configILj256ELj13ELNS0_17block_load_methodE3ELS4_3ELS4_3ELNS0_20block_scan_algorithmE0ELj4294967295EEENS1_25partition_config_selectorILNS1_17partition_subalgoE3EjNS0_10empty_typeEbEEZZNS1_14partition_implILS8_3ELb0ES6_jNS0_17counting_iteratorIjlEEPS9_SE_NS0_5tupleIJPjSE_EEENSF_IJSE_SE_EEES9_SG_JZNS1_25segmented_radix_sort_implINS0_14default_configELb1EPKlPlSM_SN_N2at6native12_GLOBAL__N_18offset_tEEE10hipError_tPvRmT1_PNSt15iterator_traitsISV_E10value_typeET2_T3_PNSW_IS11_E10value_typeET4_jRbjT5_S17_jjP12ihipStream_tbEUljE_EEESS_ST_SU_S11_S15_S17_T6_T7_T9_mT8_S19_bDpT10_ENKUlT_T0_E_clISt17integral_constantIbLb0EES1M_EEDaS1H_S1I_EUlS1H_E_NS1_11comp_targetILNS1_3genE2ELNS1_11target_archE906ELNS1_3gpuE6ELNS1_3repE0EEENS1_30default_config_static_selectorELNS0_4arch9wavefront6targetE0EEEvSV_.private_seg_size, 0
	.set _ZN7rocprim17ROCPRIM_400000_NS6detail17trampoline_kernelINS0_13select_configILj256ELj13ELNS0_17block_load_methodE3ELS4_3ELS4_3ELNS0_20block_scan_algorithmE0ELj4294967295EEENS1_25partition_config_selectorILNS1_17partition_subalgoE3EjNS0_10empty_typeEbEEZZNS1_14partition_implILS8_3ELb0ES6_jNS0_17counting_iteratorIjlEEPS9_SE_NS0_5tupleIJPjSE_EEENSF_IJSE_SE_EEES9_SG_JZNS1_25segmented_radix_sort_implINS0_14default_configELb1EPKlPlSM_SN_N2at6native12_GLOBAL__N_18offset_tEEE10hipError_tPvRmT1_PNSt15iterator_traitsISV_E10value_typeET2_T3_PNSW_IS11_E10value_typeET4_jRbjT5_S17_jjP12ihipStream_tbEUljE_EEESS_ST_SU_S11_S15_S17_T6_T7_T9_mT8_S19_bDpT10_ENKUlT_T0_E_clISt17integral_constantIbLb0EES1M_EEDaS1H_S1I_EUlS1H_E_NS1_11comp_targetILNS1_3genE2ELNS1_11target_archE906ELNS1_3gpuE6ELNS1_3repE0EEENS1_30default_config_static_selectorELNS0_4arch9wavefront6targetE0EEEvSV_.uses_vcc, 0
	.set _ZN7rocprim17ROCPRIM_400000_NS6detail17trampoline_kernelINS0_13select_configILj256ELj13ELNS0_17block_load_methodE3ELS4_3ELS4_3ELNS0_20block_scan_algorithmE0ELj4294967295EEENS1_25partition_config_selectorILNS1_17partition_subalgoE3EjNS0_10empty_typeEbEEZZNS1_14partition_implILS8_3ELb0ES6_jNS0_17counting_iteratorIjlEEPS9_SE_NS0_5tupleIJPjSE_EEENSF_IJSE_SE_EEES9_SG_JZNS1_25segmented_radix_sort_implINS0_14default_configELb1EPKlPlSM_SN_N2at6native12_GLOBAL__N_18offset_tEEE10hipError_tPvRmT1_PNSt15iterator_traitsISV_E10value_typeET2_T3_PNSW_IS11_E10value_typeET4_jRbjT5_S17_jjP12ihipStream_tbEUljE_EEESS_ST_SU_S11_S15_S17_T6_T7_T9_mT8_S19_bDpT10_ENKUlT_T0_E_clISt17integral_constantIbLb0EES1M_EEDaS1H_S1I_EUlS1H_E_NS1_11comp_targetILNS1_3genE2ELNS1_11target_archE906ELNS1_3gpuE6ELNS1_3repE0EEENS1_30default_config_static_selectorELNS0_4arch9wavefront6targetE0EEEvSV_.uses_flat_scratch, 0
	.set _ZN7rocprim17ROCPRIM_400000_NS6detail17trampoline_kernelINS0_13select_configILj256ELj13ELNS0_17block_load_methodE3ELS4_3ELS4_3ELNS0_20block_scan_algorithmE0ELj4294967295EEENS1_25partition_config_selectorILNS1_17partition_subalgoE3EjNS0_10empty_typeEbEEZZNS1_14partition_implILS8_3ELb0ES6_jNS0_17counting_iteratorIjlEEPS9_SE_NS0_5tupleIJPjSE_EEENSF_IJSE_SE_EEES9_SG_JZNS1_25segmented_radix_sort_implINS0_14default_configELb1EPKlPlSM_SN_N2at6native12_GLOBAL__N_18offset_tEEE10hipError_tPvRmT1_PNSt15iterator_traitsISV_E10value_typeET2_T3_PNSW_IS11_E10value_typeET4_jRbjT5_S17_jjP12ihipStream_tbEUljE_EEESS_ST_SU_S11_S15_S17_T6_T7_T9_mT8_S19_bDpT10_ENKUlT_T0_E_clISt17integral_constantIbLb0EES1M_EEDaS1H_S1I_EUlS1H_E_NS1_11comp_targetILNS1_3genE2ELNS1_11target_archE906ELNS1_3gpuE6ELNS1_3repE0EEENS1_30default_config_static_selectorELNS0_4arch9wavefront6targetE0EEEvSV_.has_dyn_sized_stack, 0
	.set _ZN7rocprim17ROCPRIM_400000_NS6detail17trampoline_kernelINS0_13select_configILj256ELj13ELNS0_17block_load_methodE3ELS4_3ELS4_3ELNS0_20block_scan_algorithmE0ELj4294967295EEENS1_25partition_config_selectorILNS1_17partition_subalgoE3EjNS0_10empty_typeEbEEZZNS1_14partition_implILS8_3ELb0ES6_jNS0_17counting_iteratorIjlEEPS9_SE_NS0_5tupleIJPjSE_EEENSF_IJSE_SE_EEES9_SG_JZNS1_25segmented_radix_sort_implINS0_14default_configELb1EPKlPlSM_SN_N2at6native12_GLOBAL__N_18offset_tEEE10hipError_tPvRmT1_PNSt15iterator_traitsISV_E10value_typeET2_T3_PNSW_IS11_E10value_typeET4_jRbjT5_S17_jjP12ihipStream_tbEUljE_EEESS_ST_SU_S11_S15_S17_T6_T7_T9_mT8_S19_bDpT10_ENKUlT_T0_E_clISt17integral_constantIbLb0EES1M_EEDaS1H_S1I_EUlS1H_E_NS1_11comp_targetILNS1_3genE2ELNS1_11target_archE906ELNS1_3gpuE6ELNS1_3repE0EEENS1_30default_config_static_selectorELNS0_4arch9wavefront6targetE0EEEvSV_.has_recursion, 0
	.set _ZN7rocprim17ROCPRIM_400000_NS6detail17trampoline_kernelINS0_13select_configILj256ELj13ELNS0_17block_load_methodE3ELS4_3ELS4_3ELNS0_20block_scan_algorithmE0ELj4294967295EEENS1_25partition_config_selectorILNS1_17partition_subalgoE3EjNS0_10empty_typeEbEEZZNS1_14partition_implILS8_3ELb0ES6_jNS0_17counting_iteratorIjlEEPS9_SE_NS0_5tupleIJPjSE_EEENSF_IJSE_SE_EEES9_SG_JZNS1_25segmented_radix_sort_implINS0_14default_configELb1EPKlPlSM_SN_N2at6native12_GLOBAL__N_18offset_tEEE10hipError_tPvRmT1_PNSt15iterator_traitsISV_E10value_typeET2_T3_PNSW_IS11_E10value_typeET4_jRbjT5_S17_jjP12ihipStream_tbEUljE_EEESS_ST_SU_S11_S15_S17_T6_T7_T9_mT8_S19_bDpT10_ENKUlT_T0_E_clISt17integral_constantIbLb0EES1M_EEDaS1H_S1I_EUlS1H_E_NS1_11comp_targetILNS1_3genE2ELNS1_11target_archE906ELNS1_3gpuE6ELNS1_3repE0EEENS1_30default_config_static_selectorELNS0_4arch9wavefront6targetE0EEEvSV_.has_indirect_call, 0
	.section	.AMDGPU.csdata,"",@progbits
; Kernel info:
; codeLenInByte = 0
; TotalNumSgprs: 0
; NumVgprs: 0
; ScratchSize: 0
; MemoryBound: 0
; FloatMode: 240
; IeeeMode: 1
; LDSByteSize: 0 bytes/workgroup (compile time only)
; SGPRBlocks: 0
; VGPRBlocks: 0
; NumSGPRsForWavesPerEU: 1
; NumVGPRsForWavesPerEU: 1
; NamedBarCnt: 0
; Occupancy: 16
; WaveLimiterHint : 0
; COMPUTE_PGM_RSRC2:SCRATCH_EN: 0
; COMPUTE_PGM_RSRC2:USER_SGPR: 2
; COMPUTE_PGM_RSRC2:TRAP_HANDLER: 0
; COMPUTE_PGM_RSRC2:TGID_X_EN: 1
; COMPUTE_PGM_RSRC2:TGID_Y_EN: 0
; COMPUTE_PGM_RSRC2:TGID_Z_EN: 0
; COMPUTE_PGM_RSRC2:TIDIG_COMP_CNT: 0
	.section	.text._ZN7rocprim17ROCPRIM_400000_NS6detail17trampoline_kernelINS0_13select_configILj256ELj13ELNS0_17block_load_methodE3ELS4_3ELS4_3ELNS0_20block_scan_algorithmE0ELj4294967295EEENS1_25partition_config_selectorILNS1_17partition_subalgoE3EjNS0_10empty_typeEbEEZZNS1_14partition_implILS8_3ELb0ES6_jNS0_17counting_iteratorIjlEEPS9_SE_NS0_5tupleIJPjSE_EEENSF_IJSE_SE_EEES9_SG_JZNS1_25segmented_radix_sort_implINS0_14default_configELb1EPKlPlSM_SN_N2at6native12_GLOBAL__N_18offset_tEEE10hipError_tPvRmT1_PNSt15iterator_traitsISV_E10value_typeET2_T3_PNSW_IS11_E10value_typeET4_jRbjT5_S17_jjP12ihipStream_tbEUljE_EEESS_ST_SU_S11_S15_S17_T6_T7_T9_mT8_S19_bDpT10_ENKUlT_T0_E_clISt17integral_constantIbLb0EES1M_EEDaS1H_S1I_EUlS1H_E_NS1_11comp_targetILNS1_3genE10ELNS1_11target_archE1200ELNS1_3gpuE4ELNS1_3repE0EEENS1_30default_config_static_selectorELNS0_4arch9wavefront6targetE0EEEvSV_,"axG",@progbits,_ZN7rocprim17ROCPRIM_400000_NS6detail17trampoline_kernelINS0_13select_configILj256ELj13ELNS0_17block_load_methodE3ELS4_3ELS4_3ELNS0_20block_scan_algorithmE0ELj4294967295EEENS1_25partition_config_selectorILNS1_17partition_subalgoE3EjNS0_10empty_typeEbEEZZNS1_14partition_implILS8_3ELb0ES6_jNS0_17counting_iteratorIjlEEPS9_SE_NS0_5tupleIJPjSE_EEENSF_IJSE_SE_EEES9_SG_JZNS1_25segmented_radix_sort_implINS0_14default_configELb1EPKlPlSM_SN_N2at6native12_GLOBAL__N_18offset_tEEE10hipError_tPvRmT1_PNSt15iterator_traitsISV_E10value_typeET2_T3_PNSW_IS11_E10value_typeET4_jRbjT5_S17_jjP12ihipStream_tbEUljE_EEESS_ST_SU_S11_S15_S17_T6_T7_T9_mT8_S19_bDpT10_ENKUlT_T0_E_clISt17integral_constantIbLb0EES1M_EEDaS1H_S1I_EUlS1H_E_NS1_11comp_targetILNS1_3genE10ELNS1_11target_archE1200ELNS1_3gpuE4ELNS1_3repE0EEENS1_30default_config_static_selectorELNS0_4arch9wavefront6targetE0EEEvSV_,comdat
	.globl	_ZN7rocprim17ROCPRIM_400000_NS6detail17trampoline_kernelINS0_13select_configILj256ELj13ELNS0_17block_load_methodE3ELS4_3ELS4_3ELNS0_20block_scan_algorithmE0ELj4294967295EEENS1_25partition_config_selectorILNS1_17partition_subalgoE3EjNS0_10empty_typeEbEEZZNS1_14partition_implILS8_3ELb0ES6_jNS0_17counting_iteratorIjlEEPS9_SE_NS0_5tupleIJPjSE_EEENSF_IJSE_SE_EEES9_SG_JZNS1_25segmented_radix_sort_implINS0_14default_configELb1EPKlPlSM_SN_N2at6native12_GLOBAL__N_18offset_tEEE10hipError_tPvRmT1_PNSt15iterator_traitsISV_E10value_typeET2_T3_PNSW_IS11_E10value_typeET4_jRbjT5_S17_jjP12ihipStream_tbEUljE_EEESS_ST_SU_S11_S15_S17_T6_T7_T9_mT8_S19_bDpT10_ENKUlT_T0_E_clISt17integral_constantIbLb0EES1M_EEDaS1H_S1I_EUlS1H_E_NS1_11comp_targetILNS1_3genE10ELNS1_11target_archE1200ELNS1_3gpuE4ELNS1_3repE0EEENS1_30default_config_static_selectorELNS0_4arch9wavefront6targetE0EEEvSV_ ; -- Begin function _ZN7rocprim17ROCPRIM_400000_NS6detail17trampoline_kernelINS0_13select_configILj256ELj13ELNS0_17block_load_methodE3ELS4_3ELS4_3ELNS0_20block_scan_algorithmE0ELj4294967295EEENS1_25partition_config_selectorILNS1_17partition_subalgoE3EjNS0_10empty_typeEbEEZZNS1_14partition_implILS8_3ELb0ES6_jNS0_17counting_iteratorIjlEEPS9_SE_NS0_5tupleIJPjSE_EEENSF_IJSE_SE_EEES9_SG_JZNS1_25segmented_radix_sort_implINS0_14default_configELb1EPKlPlSM_SN_N2at6native12_GLOBAL__N_18offset_tEEE10hipError_tPvRmT1_PNSt15iterator_traitsISV_E10value_typeET2_T3_PNSW_IS11_E10value_typeET4_jRbjT5_S17_jjP12ihipStream_tbEUljE_EEESS_ST_SU_S11_S15_S17_T6_T7_T9_mT8_S19_bDpT10_ENKUlT_T0_E_clISt17integral_constantIbLb0EES1M_EEDaS1H_S1I_EUlS1H_E_NS1_11comp_targetILNS1_3genE10ELNS1_11target_archE1200ELNS1_3gpuE4ELNS1_3repE0EEENS1_30default_config_static_selectorELNS0_4arch9wavefront6targetE0EEEvSV_
	.p2align	8
	.type	_ZN7rocprim17ROCPRIM_400000_NS6detail17trampoline_kernelINS0_13select_configILj256ELj13ELNS0_17block_load_methodE3ELS4_3ELS4_3ELNS0_20block_scan_algorithmE0ELj4294967295EEENS1_25partition_config_selectorILNS1_17partition_subalgoE3EjNS0_10empty_typeEbEEZZNS1_14partition_implILS8_3ELb0ES6_jNS0_17counting_iteratorIjlEEPS9_SE_NS0_5tupleIJPjSE_EEENSF_IJSE_SE_EEES9_SG_JZNS1_25segmented_radix_sort_implINS0_14default_configELb1EPKlPlSM_SN_N2at6native12_GLOBAL__N_18offset_tEEE10hipError_tPvRmT1_PNSt15iterator_traitsISV_E10value_typeET2_T3_PNSW_IS11_E10value_typeET4_jRbjT5_S17_jjP12ihipStream_tbEUljE_EEESS_ST_SU_S11_S15_S17_T6_T7_T9_mT8_S19_bDpT10_ENKUlT_T0_E_clISt17integral_constantIbLb0EES1M_EEDaS1H_S1I_EUlS1H_E_NS1_11comp_targetILNS1_3genE10ELNS1_11target_archE1200ELNS1_3gpuE4ELNS1_3repE0EEENS1_30default_config_static_selectorELNS0_4arch9wavefront6targetE0EEEvSV_,@function
_ZN7rocprim17ROCPRIM_400000_NS6detail17trampoline_kernelINS0_13select_configILj256ELj13ELNS0_17block_load_methodE3ELS4_3ELS4_3ELNS0_20block_scan_algorithmE0ELj4294967295EEENS1_25partition_config_selectorILNS1_17partition_subalgoE3EjNS0_10empty_typeEbEEZZNS1_14partition_implILS8_3ELb0ES6_jNS0_17counting_iteratorIjlEEPS9_SE_NS0_5tupleIJPjSE_EEENSF_IJSE_SE_EEES9_SG_JZNS1_25segmented_radix_sort_implINS0_14default_configELb1EPKlPlSM_SN_N2at6native12_GLOBAL__N_18offset_tEEE10hipError_tPvRmT1_PNSt15iterator_traitsISV_E10value_typeET2_T3_PNSW_IS11_E10value_typeET4_jRbjT5_S17_jjP12ihipStream_tbEUljE_EEESS_ST_SU_S11_S15_S17_T6_T7_T9_mT8_S19_bDpT10_ENKUlT_T0_E_clISt17integral_constantIbLb0EES1M_EEDaS1H_S1I_EUlS1H_E_NS1_11comp_targetILNS1_3genE10ELNS1_11target_archE1200ELNS1_3gpuE4ELNS1_3repE0EEENS1_30default_config_static_selectorELNS0_4arch9wavefront6targetE0EEEvSV_: ; @_ZN7rocprim17ROCPRIM_400000_NS6detail17trampoline_kernelINS0_13select_configILj256ELj13ELNS0_17block_load_methodE3ELS4_3ELS4_3ELNS0_20block_scan_algorithmE0ELj4294967295EEENS1_25partition_config_selectorILNS1_17partition_subalgoE3EjNS0_10empty_typeEbEEZZNS1_14partition_implILS8_3ELb0ES6_jNS0_17counting_iteratorIjlEEPS9_SE_NS0_5tupleIJPjSE_EEENSF_IJSE_SE_EEES9_SG_JZNS1_25segmented_radix_sort_implINS0_14default_configELb1EPKlPlSM_SN_N2at6native12_GLOBAL__N_18offset_tEEE10hipError_tPvRmT1_PNSt15iterator_traitsISV_E10value_typeET2_T3_PNSW_IS11_E10value_typeET4_jRbjT5_S17_jjP12ihipStream_tbEUljE_EEESS_ST_SU_S11_S15_S17_T6_T7_T9_mT8_S19_bDpT10_ENKUlT_T0_E_clISt17integral_constantIbLb0EES1M_EEDaS1H_S1I_EUlS1H_E_NS1_11comp_targetILNS1_3genE10ELNS1_11target_archE1200ELNS1_3gpuE4ELNS1_3repE0EEENS1_30default_config_static_selectorELNS0_4arch9wavefront6targetE0EEEvSV_
; %bb.0:
	.section	.rodata,"a",@progbits
	.p2align	6, 0x0
	.amdhsa_kernel _ZN7rocprim17ROCPRIM_400000_NS6detail17trampoline_kernelINS0_13select_configILj256ELj13ELNS0_17block_load_methodE3ELS4_3ELS4_3ELNS0_20block_scan_algorithmE0ELj4294967295EEENS1_25partition_config_selectorILNS1_17partition_subalgoE3EjNS0_10empty_typeEbEEZZNS1_14partition_implILS8_3ELb0ES6_jNS0_17counting_iteratorIjlEEPS9_SE_NS0_5tupleIJPjSE_EEENSF_IJSE_SE_EEES9_SG_JZNS1_25segmented_radix_sort_implINS0_14default_configELb1EPKlPlSM_SN_N2at6native12_GLOBAL__N_18offset_tEEE10hipError_tPvRmT1_PNSt15iterator_traitsISV_E10value_typeET2_T3_PNSW_IS11_E10value_typeET4_jRbjT5_S17_jjP12ihipStream_tbEUljE_EEESS_ST_SU_S11_S15_S17_T6_T7_T9_mT8_S19_bDpT10_ENKUlT_T0_E_clISt17integral_constantIbLb0EES1M_EEDaS1H_S1I_EUlS1H_E_NS1_11comp_targetILNS1_3genE10ELNS1_11target_archE1200ELNS1_3gpuE4ELNS1_3repE0EEENS1_30default_config_static_selectorELNS0_4arch9wavefront6targetE0EEEvSV_
		.amdhsa_group_segment_fixed_size 0
		.amdhsa_private_segment_fixed_size 0
		.amdhsa_kernarg_size 144
		.amdhsa_user_sgpr_count 2
		.amdhsa_user_sgpr_dispatch_ptr 0
		.amdhsa_user_sgpr_queue_ptr 0
		.amdhsa_user_sgpr_kernarg_segment_ptr 1
		.amdhsa_user_sgpr_dispatch_id 0
		.amdhsa_user_sgpr_kernarg_preload_length 0
		.amdhsa_user_sgpr_kernarg_preload_offset 0
		.amdhsa_user_sgpr_private_segment_size 0
		.amdhsa_wavefront_size32 1
		.amdhsa_uses_dynamic_stack 0
		.amdhsa_enable_private_segment 0
		.amdhsa_system_sgpr_workgroup_id_x 1
		.amdhsa_system_sgpr_workgroup_id_y 0
		.amdhsa_system_sgpr_workgroup_id_z 0
		.amdhsa_system_sgpr_workgroup_info 0
		.amdhsa_system_vgpr_workitem_id 0
		.amdhsa_next_free_vgpr 1
		.amdhsa_next_free_sgpr 1
		.amdhsa_named_barrier_count 0
		.amdhsa_reserve_vcc 0
		.amdhsa_float_round_mode_32 0
		.amdhsa_float_round_mode_16_64 0
		.amdhsa_float_denorm_mode_32 3
		.amdhsa_float_denorm_mode_16_64 3
		.amdhsa_fp16_overflow 0
		.amdhsa_memory_ordered 1
		.amdhsa_forward_progress 1
		.amdhsa_inst_pref_size 0
		.amdhsa_round_robin_scheduling 0
		.amdhsa_exception_fp_ieee_invalid_op 0
		.amdhsa_exception_fp_denorm_src 0
		.amdhsa_exception_fp_ieee_div_zero 0
		.amdhsa_exception_fp_ieee_overflow 0
		.amdhsa_exception_fp_ieee_underflow 0
		.amdhsa_exception_fp_ieee_inexact 0
		.amdhsa_exception_int_div_zero 0
	.end_amdhsa_kernel
	.section	.text._ZN7rocprim17ROCPRIM_400000_NS6detail17trampoline_kernelINS0_13select_configILj256ELj13ELNS0_17block_load_methodE3ELS4_3ELS4_3ELNS0_20block_scan_algorithmE0ELj4294967295EEENS1_25partition_config_selectorILNS1_17partition_subalgoE3EjNS0_10empty_typeEbEEZZNS1_14partition_implILS8_3ELb0ES6_jNS0_17counting_iteratorIjlEEPS9_SE_NS0_5tupleIJPjSE_EEENSF_IJSE_SE_EEES9_SG_JZNS1_25segmented_radix_sort_implINS0_14default_configELb1EPKlPlSM_SN_N2at6native12_GLOBAL__N_18offset_tEEE10hipError_tPvRmT1_PNSt15iterator_traitsISV_E10value_typeET2_T3_PNSW_IS11_E10value_typeET4_jRbjT5_S17_jjP12ihipStream_tbEUljE_EEESS_ST_SU_S11_S15_S17_T6_T7_T9_mT8_S19_bDpT10_ENKUlT_T0_E_clISt17integral_constantIbLb0EES1M_EEDaS1H_S1I_EUlS1H_E_NS1_11comp_targetILNS1_3genE10ELNS1_11target_archE1200ELNS1_3gpuE4ELNS1_3repE0EEENS1_30default_config_static_selectorELNS0_4arch9wavefront6targetE0EEEvSV_,"axG",@progbits,_ZN7rocprim17ROCPRIM_400000_NS6detail17trampoline_kernelINS0_13select_configILj256ELj13ELNS0_17block_load_methodE3ELS4_3ELS4_3ELNS0_20block_scan_algorithmE0ELj4294967295EEENS1_25partition_config_selectorILNS1_17partition_subalgoE3EjNS0_10empty_typeEbEEZZNS1_14partition_implILS8_3ELb0ES6_jNS0_17counting_iteratorIjlEEPS9_SE_NS0_5tupleIJPjSE_EEENSF_IJSE_SE_EEES9_SG_JZNS1_25segmented_radix_sort_implINS0_14default_configELb1EPKlPlSM_SN_N2at6native12_GLOBAL__N_18offset_tEEE10hipError_tPvRmT1_PNSt15iterator_traitsISV_E10value_typeET2_T3_PNSW_IS11_E10value_typeET4_jRbjT5_S17_jjP12ihipStream_tbEUljE_EEESS_ST_SU_S11_S15_S17_T6_T7_T9_mT8_S19_bDpT10_ENKUlT_T0_E_clISt17integral_constantIbLb0EES1M_EEDaS1H_S1I_EUlS1H_E_NS1_11comp_targetILNS1_3genE10ELNS1_11target_archE1200ELNS1_3gpuE4ELNS1_3repE0EEENS1_30default_config_static_selectorELNS0_4arch9wavefront6targetE0EEEvSV_,comdat
.Lfunc_end673:
	.size	_ZN7rocprim17ROCPRIM_400000_NS6detail17trampoline_kernelINS0_13select_configILj256ELj13ELNS0_17block_load_methodE3ELS4_3ELS4_3ELNS0_20block_scan_algorithmE0ELj4294967295EEENS1_25partition_config_selectorILNS1_17partition_subalgoE3EjNS0_10empty_typeEbEEZZNS1_14partition_implILS8_3ELb0ES6_jNS0_17counting_iteratorIjlEEPS9_SE_NS0_5tupleIJPjSE_EEENSF_IJSE_SE_EEES9_SG_JZNS1_25segmented_radix_sort_implINS0_14default_configELb1EPKlPlSM_SN_N2at6native12_GLOBAL__N_18offset_tEEE10hipError_tPvRmT1_PNSt15iterator_traitsISV_E10value_typeET2_T3_PNSW_IS11_E10value_typeET4_jRbjT5_S17_jjP12ihipStream_tbEUljE_EEESS_ST_SU_S11_S15_S17_T6_T7_T9_mT8_S19_bDpT10_ENKUlT_T0_E_clISt17integral_constantIbLb0EES1M_EEDaS1H_S1I_EUlS1H_E_NS1_11comp_targetILNS1_3genE10ELNS1_11target_archE1200ELNS1_3gpuE4ELNS1_3repE0EEENS1_30default_config_static_selectorELNS0_4arch9wavefront6targetE0EEEvSV_, .Lfunc_end673-_ZN7rocprim17ROCPRIM_400000_NS6detail17trampoline_kernelINS0_13select_configILj256ELj13ELNS0_17block_load_methodE3ELS4_3ELS4_3ELNS0_20block_scan_algorithmE0ELj4294967295EEENS1_25partition_config_selectorILNS1_17partition_subalgoE3EjNS0_10empty_typeEbEEZZNS1_14partition_implILS8_3ELb0ES6_jNS0_17counting_iteratorIjlEEPS9_SE_NS0_5tupleIJPjSE_EEENSF_IJSE_SE_EEES9_SG_JZNS1_25segmented_radix_sort_implINS0_14default_configELb1EPKlPlSM_SN_N2at6native12_GLOBAL__N_18offset_tEEE10hipError_tPvRmT1_PNSt15iterator_traitsISV_E10value_typeET2_T3_PNSW_IS11_E10value_typeET4_jRbjT5_S17_jjP12ihipStream_tbEUljE_EEESS_ST_SU_S11_S15_S17_T6_T7_T9_mT8_S19_bDpT10_ENKUlT_T0_E_clISt17integral_constantIbLb0EES1M_EEDaS1H_S1I_EUlS1H_E_NS1_11comp_targetILNS1_3genE10ELNS1_11target_archE1200ELNS1_3gpuE4ELNS1_3repE0EEENS1_30default_config_static_selectorELNS0_4arch9wavefront6targetE0EEEvSV_
                                        ; -- End function
	.set _ZN7rocprim17ROCPRIM_400000_NS6detail17trampoline_kernelINS0_13select_configILj256ELj13ELNS0_17block_load_methodE3ELS4_3ELS4_3ELNS0_20block_scan_algorithmE0ELj4294967295EEENS1_25partition_config_selectorILNS1_17partition_subalgoE3EjNS0_10empty_typeEbEEZZNS1_14partition_implILS8_3ELb0ES6_jNS0_17counting_iteratorIjlEEPS9_SE_NS0_5tupleIJPjSE_EEENSF_IJSE_SE_EEES9_SG_JZNS1_25segmented_radix_sort_implINS0_14default_configELb1EPKlPlSM_SN_N2at6native12_GLOBAL__N_18offset_tEEE10hipError_tPvRmT1_PNSt15iterator_traitsISV_E10value_typeET2_T3_PNSW_IS11_E10value_typeET4_jRbjT5_S17_jjP12ihipStream_tbEUljE_EEESS_ST_SU_S11_S15_S17_T6_T7_T9_mT8_S19_bDpT10_ENKUlT_T0_E_clISt17integral_constantIbLb0EES1M_EEDaS1H_S1I_EUlS1H_E_NS1_11comp_targetILNS1_3genE10ELNS1_11target_archE1200ELNS1_3gpuE4ELNS1_3repE0EEENS1_30default_config_static_selectorELNS0_4arch9wavefront6targetE0EEEvSV_.num_vgpr, 0
	.set _ZN7rocprim17ROCPRIM_400000_NS6detail17trampoline_kernelINS0_13select_configILj256ELj13ELNS0_17block_load_methodE3ELS4_3ELS4_3ELNS0_20block_scan_algorithmE0ELj4294967295EEENS1_25partition_config_selectorILNS1_17partition_subalgoE3EjNS0_10empty_typeEbEEZZNS1_14partition_implILS8_3ELb0ES6_jNS0_17counting_iteratorIjlEEPS9_SE_NS0_5tupleIJPjSE_EEENSF_IJSE_SE_EEES9_SG_JZNS1_25segmented_radix_sort_implINS0_14default_configELb1EPKlPlSM_SN_N2at6native12_GLOBAL__N_18offset_tEEE10hipError_tPvRmT1_PNSt15iterator_traitsISV_E10value_typeET2_T3_PNSW_IS11_E10value_typeET4_jRbjT5_S17_jjP12ihipStream_tbEUljE_EEESS_ST_SU_S11_S15_S17_T6_T7_T9_mT8_S19_bDpT10_ENKUlT_T0_E_clISt17integral_constantIbLb0EES1M_EEDaS1H_S1I_EUlS1H_E_NS1_11comp_targetILNS1_3genE10ELNS1_11target_archE1200ELNS1_3gpuE4ELNS1_3repE0EEENS1_30default_config_static_selectorELNS0_4arch9wavefront6targetE0EEEvSV_.num_agpr, 0
	.set _ZN7rocprim17ROCPRIM_400000_NS6detail17trampoline_kernelINS0_13select_configILj256ELj13ELNS0_17block_load_methodE3ELS4_3ELS4_3ELNS0_20block_scan_algorithmE0ELj4294967295EEENS1_25partition_config_selectorILNS1_17partition_subalgoE3EjNS0_10empty_typeEbEEZZNS1_14partition_implILS8_3ELb0ES6_jNS0_17counting_iteratorIjlEEPS9_SE_NS0_5tupleIJPjSE_EEENSF_IJSE_SE_EEES9_SG_JZNS1_25segmented_radix_sort_implINS0_14default_configELb1EPKlPlSM_SN_N2at6native12_GLOBAL__N_18offset_tEEE10hipError_tPvRmT1_PNSt15iterator_traitsISV_E10value_typeET2_T3_PNSW_IS11_E10value_typeET4_jRbjT5_S17_jjP12ihipStream_tbEUljE_EEESS_ST_SU_S11_S15_S17_T6_T7_T9_mT8_S19_bDpT10_ENKUlT_T0_E_clISt17integral_constantIbLb0EES1M_EEDaS1H_S1I_EUlS1H_E_NS1_11comp_targetILNS1_3genE10ELNS1_11target_archE1200ELNS1_3gpuE4ELNS1_3repE0EEENS1_30default_config_static_selectorELNS0_4arch9wavefront6targetE0EEEvSV_.numbered_sgpr, 0
	.set _ZN7rocprim17ROCPRIM_400000_NS6detail17trampoline_kernelINS0_13select_configILj256ELj13ELNS0_17block_load_methodE3ELS4_3ELS4_3ELNS0_20block_scan_algorithmE0ELj4294967295EEENS1_25partition_config_selectorILNS1_17partition_subalgoE3EjNS0_10empty_typeEbEEZZNS1_14partition_implILS8_3ELb0ES6_jNS0_17counting_iteratorIjlEEPS9_SE_NS0_5tupleIJPjSE_EEENSF_IJSE_SE_EEES9_SG_JZNS1_25segmented_radix_sort_implINS0_14default_configELb1EPKlPlSM_SN_N2at6native12_GLOBAL__N_18offset_tEEE10hipError_tPvRmT1_PNSt15iterator_traitsISV_E10value_typeET2_T3_PNSW_IS11_E10value_typeET4_jRbjT5_S17_jjP12ihipStream_tbEUljE_EEESS_ST_SU_S11_S15_S17_T6_T7_T9_mT8_S19_bDpT10_ENKUlT_T0_E_clISt17integral_constantIbLb0EES1M_EEDaS1H_S1I_EUlS1H_E_NS1_11comp_targetILNS1_3genE10ELNS1_11target_archE1200ELNS1_3gpuE4ELNS1_3repE0EEENS1_30default_config_static_selectorELNS0_4arch9wavefront6targetE0EEEvSV_.num_named_barrier, 0
	.set _ZN7rocprim17ROCPRIM_400000_NS6detail17trampoline_kernelINS0_13select_configILj256ELj13ELNS0_17block_load_methodE3ELS4_3ELS4_3ELNS0_20block_scan_algorithmE0ELj4294967295EEENS1_25partition_config_selectorILNS1_17partition_subalgoE3EjNS0_10empty_typeEbEEZZNS1_14partition_implILS8_3ELb0ES6_jNS0_17counting_iteratorIjlEEPS9_SE_NS0_5tupleIJPjSE_EEENSF_IJSE_SE_EEES9_SG_JZNS1_25segmented_radix_sort_implINS0_14default_configELb1EPKlPlSM_SN_N2at6native12_GLOBAL__N_18offset_tEEE10hipError_tPvRmT1_PNSt15iterator_traitsISV_E10value_typeET2_T3_PNSW_IS11_E10value_typeET4_jRbjT5_S17_jjP12ihipStream_tbEUljE_EEESS_ST_SU_S11_S15_S17_T6_T7_T9_mT8_S19_bDpT10_ENKUlT_T0_E_clISt17integral_constantIbLb0EES1M_EEDaS1H_S1I_EUlS1H_E_NS1_11comp_targetILNS1_3genE10ELNS1_11target_archE1200ELNS1_3gpuE4ELNS1_3repE0EEENS1_30default_config_static_selectorELNS0_4arch9wavefront6targetE0EEEvSV_.private_seg_size, 0
	.set _ZN7rocprim17ROCPRIM_400000_NS6detail17trampoline_kernelINS0_13select_configILj256ELj13ELNS0_17block_load_methodE3ELS4_3ELS4_3ELNS0_20block_scan_algorithmE0ELj4294967295EEENS1_25partition_config_selectorILNS1_17partition_subalgoE3EjNS0_10empty_typeEbEEZZNS1_14partition_implILS8_3ELb0ES6_jNS0_17counting_iteratorIjlEEPS9_SE_NS0_5tupleIJPjSE_EEENSF_IJSE_SE_EEES9_SG_JZNS1_25segmented_radix_sort_implINS0_14default_configELb1EPKlPlSM_SN_N2at6native12_GLOBAL__N_18offset_tEEE10hipError_tPvRmT1_PNSt15iterator_traitsISV_E10value_typeET2_T3_PNSW_IS11_E10value_typeET4_jRbjT5_S17_jjP12ihipStream_tbEUljE_EEESS_ST_SU_S11_S15_S17_T6_T7_T9_mT8_S19_bDpT10_ENKUlT_T0_E_clISt17integral_constantIbLb0EES1M_EEDaS1H_S1I_EUlS1H_E_NS1_11comp_targetILNS1_3genE10ELNS1_11target_archE1200ELNS1_3gpuE4ELNS1_3repE0EEENS1_30default_config_static_selectorELNS0_4arch9wavefront6targetE0EEEvSV_.uses_vcc, 0
	.set _ZN7rocprim17ROCPRIM_400000_NS6detail17trampoline_kernelINS0_13select_configILj256ELj13ELNS0_17block_load_methodE3ELS4_3ELS4_3ELNS0_20block_scan_algorithmE0ELj4294967295EEENS1_25partition_config_selectorILNS1_17partition_subalgoE3EjNS0_10empty_typeEbEEZZNS1_14partition_implILS8_3ELb0ES6_jNS0_17counting_iteratorIjlEEPS9_SE_NS0_5tupleIJPjSE_EEENSF_IJSE_SE_EEES9_SG_JZNS1_25segmented_radix_sort_implINS0_14default_configELb1EPKlPlSM_SN_N2at6native12_GLOBAL__N_18offset_tEEE10hipError_tPvRmT1_PNSt15iterator_traitsISV_E10value_typeET2_T3_PNSW_IS11_E10value_typeET4_jRbjT5_S17_jjP12ihipStream_tbEUljE_EEESS_ST_SU_S11_S15_S17_T6_T7_T9_mT8_S19_bDpT10_ENKUlT_T0_E_clISt17integral_constantIbLb0EES1M_EEDaS1H_S1I_EUlS1H_E_NS1_11comp_targetILNS1_3genE10ELNS1_11target_archE1200ELNS1_3gpuE4ELNS1_3repE0EEENS1_30default_config_static_selectorELNS0_4arch9wavefront6targetE0EEEvSV_.uses_flat_scratch, 0
	.set _ZN7rocprim17ROCPRIM_400000_NS6detail17trampoline_kernelINS0_13select_configILj256ELj13ELNS0_17block_load_methodE3ELS4_3ELS4_3ELNS0_20block_scan_algorithmE0ELj4294967295EEENS1_25partition_config_selectorILNS1_17partition_subalgoE3EjNS0_10empty_typeEbEEZZNS1_14partition_implILS8_3ELb0ES6_jNS0_17counting_iteratorIjlEEPS9_SE_NS0_5tupleIJPjSE_EEENSF_IJSE_SE_EEES9_SG_JZNS1_25segmented_radix_sort_implINS0_14default_configELb1EPKlPlSM_SN_N2at6native12_GLOBAL__N_18offset_tEEE10hipError_tPvRmT1_PNSt15iterator_traitsISV_E10value_typeET2_T3_PNSW_IS11_E10value_typeET4_jRbjT5_S17_jjP12ihipStream_tbEUljE_EEESS_ST_SU_S11_S15_S17_T6_T7_T9_mT8_S19_bDpT10_ENKUlT_T0_E_clISt17integral_constantIbLb0EES1M_EEDaS1H_S1I_EUlS1H_E_NS1_11comp_targetILNS1_3genE10ELNS1_11target_archE1200ELNS1_3gpuE4ELNS1_3repE0EEENS1_30default_config_static_selectorELNS0_4arch9wavefront6targetE0EEEvSV_.has_dyn_sized_stack, 0
	.set _ZN7rocprim17ROCPRIM_400000_NS6detail17trampoline_kernelINS0_13select_configILj256ELj13ELNS0_17block_load_methodE3ELS4_3ELS4_3ELNS0_20block_scan_algorithmE0ELj4294967295EEENS1_25partition_config_selectorILNS1_17partition_subalgoE3EjNS0_10empty_typeEbEEZZNS1_14partition_implILS8_3ELb0ES6_jNS0_17counting_iteratorIjlEEPS9_SE_NS0_5tupleIJPjSE_EEENSF_IJSE_SE_EEES9_SG_JZNS1_25segmented_radix_sort_implINS0_14default_configELb1EPKlPlSM_SN_N2at6native12_GLOBAL__N_18offset_tEEE10hipError_tPvRmT1_PNSt15iterator_traitsISV_E10value_typeET2_T3_PNSW_IS11_E10value_typeET4_jRbjT5_S17_jjP12ihipStream_tbEUljE_EEESS_ST_SU_S11_S15_S17_T6_T7_T9_mT8_S19_bDpT10_ENKUlT_T0_E_clISt17integral_constantIbLb0EES1M_EEDaS1H_S1I_EUlS1H_E_NS1_11comp_targetILNS1_3genE10ELNS1_11target_archE1200ELNS1_3gpuE4ELNS1_3repE0EEENS1_30default_config_static_selectorELNS0_4arch9wavefront6targetE0EEEvSV_.has_recursion, 0
	.set _ZN7rocprim17ROCPRIM_400000_NS6detail17trampoline_kernelINS0_13select_configILj256ELj13ELNS0_17block_load_methodE3ELS4_3ELS4_3ELNS0_20block_scan_algorithmE0ELj4294967295EEENS1_25partition_config_selectorILNS1_17partition_subalgoE3EjNS0_10empty_typeEbEEZZNS1_14partition_implILS8_3ELb0ES6_jNS0_17counting_iteratorIjlEEPS9_SE_NS0_5tupleIJPjSE_EEENSF_IJSE_SE_EEES9_SG_JZNS1_25segmented_radix_sort_implINS0_14default_configELb1EPKlPlSM_SN_N2at6native12_GLOBAL__N_18offset_tEEE10hipError_tPvRmT1_PNSt15iterator_traitsISV_E10value_typeET2_T3_PNSW_IS11_E10value_typeET4_jRbjT5_S17_jjP12ihipStream_tbEUljE_EEESS_ST_SU_S11_S15_S17_T6_T7_T9_mT8_S19_bDpT10_ENKUlT_T0_E_clISt17integral_constantIbLb0EES1M_EEDaS1H_S1I_EUlS1H_E_NS1_11comp_targetILNS1_3genE10ELNS1_11target_archE1200ELNS1_3gpuE4ELNS1_3repE0EEENS1_30default_config_static_selectorELNS0_4arch9wavefront6targetE0EEEvSV_.has_indirect_call, 0
	.section	.AMDGPU.csdata,"",@progbits
; Kernel info:
; codeLenInByte = 0
; TotalNumSgprs: 0
; NumVgprs: 0
; ScratchSize: 0
; MemoryBound: 0
; FloatMode: 240
; IeeeMode: 1
; LDSByteSize: 0 bytes/workgroup (compile time only)
; SGPRBlocks: 0
; VGPRBlocks: 0
; NumSGPRsForWavesPerEU: 1
; NumVGPRsForWavesPerEU: 1
; NamedBarCnt: 0
; Occupancy: 16
; WaveLimiterHint : 0
; COMPUTE_PGM_RSRC2:SCRATCH_EN: 0
; COMPUTE_PGM_RSRC2:USER_SGPR: 2
; COMPUTE_PGM_RSRC2:TRAP_HANDLER: 0
; COMPUTE_PGM_RSRC2:TGID_X_EN: 1
; COMPUTE_PGM_RSRC2:TGID_Y_EN: 0
; COMPUTE_PGM_RSRC2:TGID_Z_EN: 0
; COMPUTE_PGM_RSRC2:TIDIG_COMP_CNT: 0
	.section	.text._ZN7rocprim17ROCPRIM_400000_NS6detail17trampoline_kernelINS0_13select_configILj256ELj13ELNS0_17block_load_methodE3ELS4_3ELS4_3ELNS0_20block_scan_algorithmE0ELj4294967295EEENS1_25partition_config_selectorILNS1_17partition_subalgoE3EjNS0_10empty_typeEbEEZZNS1_14partition_implILS8_3ELb0ES6_jNS0_17counting_iteratorIjlEEPS9_SE_NS0_5tupleIJPjSE_EEENSF_IJSE_SE_EEES9_SG_JZNS1_25segmented_radix_sort_implINS0_14default_configELb1EPKlPlSM_SN_N2at6native12_GLOBAL__N_18offset_tEEE10hipError_tPvRmT1_PNSt15iterator_traitsISV_E10value_typeET2_T3_PNSW_IS11_E10value_typeET4_jRbjT5_S17_jjP12ihipStream_tbEUljE_EEESS_ST_SU_S11_S15_S17_T6_T7_T9_mT8_S19_bDpT10_ENKUlT_T0_E_clISt17integral_constantIbLb0EES1M_EEDaS1H_S1I_EUlS1H_E_NS1_11comp_targetILNS1_3genE9ELNS1_11target_archE1100ELNS1_3gpuE3ELNS1_3repE0EEENS1_30default_config_static_selectorELNS0_4arch9wavefront6targetE0EEEvSV_,"axG",@progbits,_ZN7rocprim17ROCPRIM_400000_NS6detail17trampoline_kernelINS0_13select_configILj256ELj13ELNS0_17block_load_methodE3ELS4_3ELS4_3ELNS0_20block_scan_algorithmE0ELj4294967295EEENS1_25partition_config_selectorILNS1_17partition_subalgoE3EjNS0_10empty_typeEbEEZZNS1_14partition_implILS8_3ELb0ES6_jNS0_17counting_iteratorIjlEEPS9_SE_NS0_5tupleIJPjSE_EEENSF_IJSE_SE_EEES9_SG_JZNS1_25segmented_radix_sort_implINS0_14default_configELb1EPKlPlSM_SN_N2at6native12_GLOBAL__N_18offset_tEEE10hipError_tPvRmT1_PNSt15iterator_traitsISV_E10value_typeET2_T3_PNSW_IS11_E10value_typeET4_jRbjT5_S17_jjP12ihipStream_tbEUljE_EEESS_ST_SU_S11_S15_S17_T6_T7_T9_mT8_S19_bDpT10_ENKUlT_T0_E_clISt17integral_constantIbLb0EES1M_EEDaS1H_S1I_EUlS1H_E_NS1_11comp_targetILNS1_3genE9ELNS1_11target_archE1100ELNS1_3gpuE3ELNS1_3repE0EEENS1_30default_config_static_selectorELNS0_4arch9wavefront6targetE0EEEvSV_,comdat
	.globl	_ZN7rocprim17ROCPRIM_400000_NS6detail17trampoline_kernelINS0_13select_configILj256ELj13ELNS0_17block_load_methodE3ELS4_3ELS4_3ELNS0_20block_scan_algorithmE0ELj4294967295EEENS1_25partition_config_selectorILNS1_17partition_subalgoE3EjNS0_10empty_typeEbEEZZNS1_14partition_implILS8_3ELb0ES6_jNS0_17counting_iteratorIjlEEPS9_SE_NS0_5tupleIJPjSE_EEENSF_IJSE_SE_EEES9_SG_JZNS1_25segmented_radix_sort_implINS0_14default_configELb1EPKlPlSM_SN_N2at6native12_GLOBAL__N_18offset_tEEE10hipError_tPvRmT1_PNSt15iterator_traitsISV_E10value_typeET2_T3_PNSW_IS11_E10value_typeET4_jRbjT5_S17_jjP12ihipStream_tbEUljE_EEESS_ST_SU_S11_S15_S17_T6_T7_T9_mT8_S19_bDpT10_ENKUlT_T0_E_clISt17integral_constantIbLb0EES1M_EEDaS1H_S1I_EUlS1H_E_NS1_11comp_targetILNS1_3genE9ELNS1_11target_archE1100ELNS1_3gpuE3ELNS1_3repE0EEENS1_30default_config_static_selectorELNS0_4arch9wavefront6targetE0EEEvSV_ ; -- Begin function _ZN7rocprim17ROCPRIM_400000_NS6detail17trampoline_kernelINS0_13select_configILj256ELj13ELNS0_17block_load_methodE3ELS4_3ELS4_3ELNS0_20block_scan_algorithmE0ELj4294967295EEENS1_25partition_config_selectorILNS1_17partition_subalgoE3EjNS0_10empty_typeEbEEZZNS1_14partition_implILS8_3ELb0ES6_jNS0_17counting_iteratorIjlEEPS9_SE_NS0_5tupleIJPjSE_EEENSF_IJSE_SE_EEES9_SG_JZNS1_25segmented_radix_sort_implINS0_14default_configELb1EPKlPlSM_SN_N2at6native12_GLOBAL__N_18offset_tEEE10hipError_tPvRmT1_PNSt15iterator_traitsISV_E10value_typeET2_T3_PNSW_IS11_E10value_typeET4_jRbjT5_S17_jjP12ihipStream_tbEUljE_EEESS_ST_SU_S11_S15_S17_T6_T7_T9_mT8_S19_bDpT10_ENKUlT_T0_E_clISt17integral_constantIbLb0EES1M_EEDaS1H_S1I_EUlS1H_E_NS1_11comp_targetILNS1_3genE9ELNS1_11target_archE1100ELNS1_3gpuE3ELNS1_3repE0EEENS1_30default_config_static_selectorELNS0_4arch9wavefront6targetE0EEEvSV_
	.p2align	8
	.type	_ZN7rocprim17ROCPRIM_400000_NS6detail17trampoline_kernelINS0_13select_configILj256ELj13ELNS0_17block_load_methodE3ELS4_3ELS4_3ELNS0_20block_scan_algorithmE0ELj4294967295EEENS1_25partition_config_selectorILNS1_17partition_subalgoE3EjNS0_10empty_typeEbEEZZNS1_14partition_implILS8_3ELb0ES6_jNS0_17counting_iteratorIjlEEPS9_SE_NS0_5tupleIJPjSE_EEENSF_IJSE_SE_EEES9_SG_JZNS1_25segmented_radix_sort_implINS0_14default_configELb1EPKlPlSM_SN_N2at6native12_GLOBAL__N_18offset_tEEE10hipError_tPvRmT1_PNSt15iterator_traitsISV_E10value_typeET2_T3_PNSW_IS11_E10value_typeET4_jRbjT5_S17_jjP12ihipStream_tbEUljE_EEESS_ST_SU_S11_S15_S17_T6_T7_T9_mT8_S19_bDpT10_ENKUlT_T0_E_clISt17integral_constantIbLb0EES1M_EEDaS1H_S1I_EUlS1H_E_NS1_11comp_targetILNS1_3genE9ELNS1_11target_archE1100ELNS1_3gpuE3ELNS1_3repE0EEENS1_30default_config_static_selectorELNS0_4arch9wavefront6targetE0EEEvSV_,@function
_ZN7rocprim17ROCPRIM_400000_NS6detail17trampoline_kernelINS0_13select_configILj256ELj13ELNS0_17block_load_methodE3ELS4_3ELS4_3ELNS0_20block_scan_algorithmE0ELj4294967295EEENS1_25partition_config_selectorILNS1_17partition_subalgoE3EjNS0_10empty_typeEbEEZZNS1_14partition_implILS8_3ELb0ES6_jNS0_17counting_iteratorIjlEEPS9_SE_NS0_5tupleIJPjSE_EEENSF_IJSE_SE_EEES9_SG_JZNS1_25segmented_radix_sort_implINS0_14default_configELb1EPKlPlSM_SN_N2at6native12_GLOBAL__N_18offset_tEEE10hipError_tPvRmT1_PNSt15iterator_traitsISV_E10value_typeET2_T3_PNSW_IS11_E10value_typeET4_jRbjT5_S17_jjP12ihipStream_tbEUljE_EEESS_ST_SU_S11_S15_S17_T6_T7_T9_mT8_S19_bDpT10_ENKUlT_T0_E_clISt17integral_constantIbLb0EES1M_EEDaS1H_S1I_EUlS1H_E_NS1_11comp_targetILNS1_3genE9ELNS1_11target_archE1100ELNS1_3gpuE3ELNS1_3repE0EEENS1_30default_config_static_selectorELNS0_4arch9wavefront6targetE0EEEvSV_: ; @_ZN7rocprim17ROCPRIM_400000_NS6detail17trampoline_kernelINS0_13select_configILj256ELj13ELNS0_17block_load_methodE3ELS4_3ELS4_3ELNS0_20block_scan_algorithmE0ELj4294967295EEENS1_25partition_config_selectorILNS1_17partition_subalgoE3EjNS0_10empty_typeEbEEZZNS1_14partition_implILS8_3ELb0ES6_jNS0_17counting_iteratorIjlEEPS9_SE_NS0_5tupleIJPjSE_EEENSF_IJSE_SE_EEES9_SG_JZNS1_25segmented_radix_sort_implINS0_14default_configELb1EPKlPlSM_SN_N2at6native12_GLOBAL__N_18offset_tEEE10hipError_tPvRmT1_PNSt15iterator_traitsISV_E10value_typeET2_T3_PNSW_IS11_E10value_typeET4_jRbjT5_S17_jjP12ihipStream_tbEUljE_EEESS_ST_SU_S11_S15_S17_T6_T7_T9_mT8_S19_bDpT10_ENKUlT_T0_E_clISt17integral_constantIbLb0EES1M_EEDaS1H_S1I_EUlS1H_E_NS1_11comp_targetILNS1_3genE9ELNS1_11target_archE1100ELNS1_3gpuE3ELNS1_3repE0EEENS1_30default_config_static_selectorELNS0_4arch9wavefront6targetE0EEEvSV_
; %bb.0:
	.section	.rodata,"a",@progbits
	.p2align	6, 0x0
	.amdhsa_kernel _ZN7rocprim17ROCPRIM_400000_NS6detail17trampoline_kernelINS0_13select_configILj256ELj13ELNS0_17block_load_methodE3ELS4_3ELS4_3ELNS0_20block_scan_algorithmE0ELj4294967295EEENS1_25partition_config_selectorILNS1_17partition_subalgoE3EjNS0_10empty_typeEbEEZZNS1_14partition_implILS8_3ELb0ES6_jNS0_17counting_iteratorIjlEEPS9_SE_NS0_5tupleIJPjSE_EEENSF_IJSE_SE_EEES9_SG_JZNS1_25segmented_radix_sort_implINS0_14default_configELb1EPKlPlSM_SN_N2at6native12_GLOBAL__N_18offset_tEEE10hipError_tPvRmT1_PNSt15iterator_traitsISV_E10value_typeET2_T3_PNSW_IS11_E10value_typeET4_jRbjT5_S17_jjP12ihipStream_tbEUljE_EEESS_ST_SU_S11_S15_S17_T6_T7_T9_mT8_S19_bDpT10_ENKUlT_T0_E_clISt17integral_constantIbLb0EES1M_EEDaS1H_S1I_EUlS1H_E_NS1_11comp_targetILNS1_3genE9ELNS1_11target_archE1100ELNS1_3gpuE3ELNS1_3repE0EEENS1_30default_config_static_selectorELNS0_4arch9wavefront6targetE0EEEvSV_
		.amdhsa_group_segment_fixed_size 0
		.amdhsa_private_segment_fixed_size 0
		.amdhsa_kernarg_size 144
		.amdhsa_user_sgpr_count 2
		.amdhsa_user_sgpr_dispatch_ptr 0
		.amdhsa_user_sgpr_queue_ptr 0
		.amdhsa_user_sgpr_kernarg_segment_ptr 1
		.amdhsa_user_sgpr_dispatch_id 0
		.amdhsa_user_sgpr_kernarg_preload_length 0
		.amdhsa_user_sgpr_kernarg_preload_offset 0
		.amdhsa_user_sgpr_private_segment_size 0
		.amdhsa_wavefront_size32 1
		.amdhsa_uses_dynamic_stack 0
		.amdhsa_enable_private_segment 0
		.amdhsa_system_sgpr_workgroup_id_x 1
		.amdhsa_system_sgpr_workgroup_id_y 0
		.amdhsa_system_sgpr_workgroup_id_z 0
		.amdhsa_system_sgpr_workgroup_info 0
		.amdhsa_system_vgpr_workitem_id 0
		.amdhsa_next_free_vgpr 1
		.amdhsa_next_free_sgpr 1
		.amdhsa_named_barrier_count 0
		.amdhsa_reserve_vcc 0
		.amdhsa_float_round_mode_32 0
		.amdhsa_float_round_mode_16_64 0
		.amdhsa_float_denorm_mode_32 3
		.amdhsa_float_denorm_mode_16_64 3
		.amdhsa_fp16_overflow 0
		.amdhsa_memory_ordered 1
		.amdhsa_forward_progress 1
		.amdhsa_inst_pref_size 0
		.amdhsa_round_robin_scheduling 0
		.amdhsa_exception_fp_ieee_invalid_op 0
		.amdhsa_exception_fp_denorm_src 0
		.amdhsa_exception_fp_ieee_div_zero 0
		.amdhsa_exception_fp_ieee_overflow 0
		.amdhsa_exception_fp_ieee_underflow 0
		.amdhsa_exception_fp_ieee_inexact 0
		.amdhsa_exception_int_div_zero 0
	.end_amdhsa_kernel
	.section	.text._ZN7rocprim17ROCPRIM_400000_NS6detail17trampoline_kernelINS0_13select_configILj256ELj13ELNS0_17block_load_methodE3ELS4_3ELS4_3ELNS0_20block_scan_algorithmE0ELj4294967295EEENS1_25partition_config_selectorILNS1_17partition_subalgoE3EjNS0_10empty_typeEbEEZZNS1_14partition_implILS8_3ELb0ES6_jNS0_17counting_iteratorIjlEEPS9_SE_NS0_5tupleIJPjSE_EEENSF_IJSE_SE_EEES9_SG_JZNS1_25segmented_radix_sort_implINS0_14default_configELb1EPKlPlSM_SN_N2at6native12_GLOBAL__N_18offset_tEEE10hipError_tPvRmT1_PNSt15iterator_traitsISV_E10value_typeET2_T3_PNSW_IS11_E10value_typeET4_jRbjT5_S17_jjP12ihipStream_tbEUljE_EEESS_ST_SU_S11_S15_S17_T6_T7_T9_mT8_S19_bDpT10_ENKUlT_T0_E_clISt17integral_constantIbLb0EES1M_EEDaS1H_S1I_EUlS1H_E_NS1_11comp_targetILNS1_3genE9ELNS1_11target_archE1100ELNS1_3gpuE3ELNS1_3repE0EEENS1_30default_config_static_selectorELNS0_4arch9wavefront6targetE0EEEvSV_,"axG",@progbits,_ZN7rocprim17ROCPRIM_400000_NS6detail17trampoline_kernelINS0_13select_configILj256ELj13ELNS0_17block_load_methodE3ELS4_3ELS4_3ELNS0_20block_scan_algorithmE0ELj4294967295EEENS1_25partition_config_selectorILNS1_17partition_subalgoE3EjNS0_10empty_typeEbEEZZNS1_14partition_implILS8_3ELb0ES6_jNS0_17counting_iteratorIjlEEPS9_SE_NS0_5tupleIJPjSE_EEENSF_IJSE_SE_EEES9_SG_JZNS1_25segmented_radix_sort_implINS0_14default_configELb1EPKlPlSM_SN_N2at6native12_GLOBAL__N_18offset_tEEE10hipError_tPvRmT1_PNSt15iterator_traitsISV_E10value_typeET2_T3_PNSW_IS11_E10value_typeET4_jRbjT5_S17_jjP12ihipStream_tbEUljE_EEESS_ST_SU_S11_S15_S17_T6_T7_T9_mT8_S19_bDpT10_ENKUlT_T0_E_clISt17integral_constantIbLb0EES1M_EEDaS1H_S1I_EUlS1H_E_NS1_11comp_targetILNS1_3genE9ELNS1_11target_archE1100ELNS1_3gpuE3ELNS1_3repE0EEENS1_30default_config_static_selectorELNS0_4arch9wavefront6targetE0EEEvSV_,comdat
.Lfunc_end674:
	.size	_ZN7rocprim17ROCPRIM_400000_NS6detail17trampoline_kernelINS0_13select_configILj256ELj13ELNS0_17block_load_methodE3ELS4_3ELS4_3ELNS0_20block_scan_algorithmE0ELj4294967295EEENS1_25partition_config_selectorILNS1_17partition_subalgoE3EjNS0_10empty_typeEbEEZZNS1_14partition_implILS8_3ELb0ES6_jNS0_17counting_iteratorIjlEEPS9_SE_NS0_5tupleIJPjSE_EEENSF_IJSE_SE_EEES9_SG_JZNS1_25segmented_radix_sort_implINS0_14default_configELb1EPKlPlSM_SN_N2at6native12_GLOBAL__N_18offset_tEEE10hipError_tPvRmT1_PNSt15iterator_traitsISV_E10value_typeET2_T3_PNSW_IS11_E10value_typeET4_jRbjT5_S17_jjP12ihipStream_tbEUljE_EEESS_ST_SU_S11_S15_S17_T6_T7_T9_mT8_S19_bDpT10_ENKUlT_T0_E_clISt17integral_constantIbLb0EES1M_EEDaS1H_S1I_EUlS1H_E_NS1_11comp_targetILNS1_3genE9ELNS1_11target_archE1100ELNS1_3gpuE3ELNS1_3repE0EEENS1_30default_config_static_selectorELNS0_4arch9wavefront6targetE0EEEvSV_, .Lfunc_end674-_ZN7rocprim17ROCPRIM_400000_NS6detail17trampoline_kernelINS0_13select_configILj256ELj13ELNS0_17block_load_methodE3ELS4_3ELS4_3ELNS0_20block_scan_algorithmE0ELj4294967295EEENS1_25partition_config_selectorILNS1_17partition_subalgoE3EjNS0_10empty_typeEbEEZZNS1_14partition_implILS8_3ELb0ES6_jNS0_17counting_iteratorIjlEEPS9_SE_NS0_5tupleIJPjSE_EEENSF_IJSE_SE_EEES9_SG_JZNS1_25segmented_radix_sort_implINS0_14default_configELb1EPKlPlSM_SN_N2at6native12_GLOBAL__N_18offset_tEEE10hipError_tPvRmT1_PNSt15iterator_traitsISV_E10value_typeET2_T3_PNSW_IS11_E10value_typeET4_jRbjT5_S17_jjP12ihipStream_tbEUljE_EEESS_ST_SU_S11_S15_S17_T6_T7_T9_mT8_S19_bDpT10_ENKUlT_T0_E_clISt17integral_constantIbLb0EES1M_EEDaS1H_S1I_EUlS1H_E_NS1_11comp_targetILNS1_3genE9ELNS1_11target_archE1100ELNS1_3gpuE3ELNS1_3repE0EEENS1_30default_config_static_selectorELNS0_4arch9wavefront6targetE0EEEvSV_
                                        ; -- End function
	.set _ZN7rocprim17ROCPRIM_400000_NS6detail17trampoline_kernelINS0_13select_configILj256ELj13ELNS0_17block_load_methodE3ELS4_3ELS4_3ELNS0_20block_scan_algorithmE0ELj4294967295EEENS1_25partition_config_selectorILNS1_17partition_subalgoE3EjNS0_10empty_typeEbEEZZNS1_14partition_implILS8_3ELb0ES6_jNS0_17counting_iteratorIjlEEPS9_SE_NS0_5tupleIJPjSE_EEENSF_IJSE_SE_EEES9_SG_JZNS1_25segmented_radix_sort_implINS0_14default_configELb1EPKlPlSM_SN_N2at6native12_GLOBAL__N_18offset_tEEE10hipError_tPvRmT1_PNSt15iterator_traitsISV_E10value_typeET2_T3_PNSW_IS11_E10value_typeET4_jRbjT5_S17_jjP12ihipStream_tbEUljE_EEESS_ST_SU_S11_S15_S17_T6_T7_T9_mT8_S19_bDpT10_ENKUlT_T0_E_clISt17integral_constantIbLb0EES1M_EEDaS1H_S1I_EUlS1H_E_NS1_11comp_targetILNS1_3genE9ELNS1_11target_archE1100ELNS1_3gpuE3ELNS1_3repE0EEENS1_30default_config_static_selectorELNS0_4arch9wavefront6targetE0EEEvSV_.num_vgpr, 0
	.set _ZN7rocprim17ROCPRIM_400000_NS6detail17trampoline_kernelINS0_13select_configILj256ELj13ELNS0_17block_load_methodE3ELS4_3ELS4_3ELNS0_20block_scan_algorithmE0ELj4294967295EEENS1_25partition_config_selectorILNS1_17partition_subalgoE3EjNS0_10empty_typeEbEEZZNS1_14partition_implILS8_3ELb0ES6_jNS0_17counting_iteratorIjlEEPS9_SE_NS0_5tupleIJPjSE_EEENSF_IJSE_SE_EEES9_SG_JZNS1_25segmented_radix_sort_implINS0_14default_configELb1EPKlPlSM_SN_N2at6native12_GLOBAL__N_18offset_tEEE10hipError_tPvRmT1_PNSt15iterator_traitsISV_E10value_typeET2_T3_PNSW_IS11_E10value_typeET4_jRbjT5_S17_jjP12ihipStream_tbEUljE_EEESS_ST_SU_S11_S15_S17_T6_T7_T9_mT8_S19_bDpT10_ENKUlT_T0_E_clISt17integral_constantIbLb0EES1M_EEDaS1H_S1I_EUlS1H_E_NS1_11comp_targetILNS1_3genE9ELNS1_11target_archE1100ELNS1_3gpuE3ELNS1_3repE0EEENS1_30default_config_static_selectorELNS0_4arch9wavefront6targetE0EEEvSV_.num_agpr, 0
	.set _ZN7rocprim17ROCPRIM_400000_NS6detail17trampoline_kernelINS0_13select_configILj256ELj13ELNS0_17block_load_methodE3ELS4_3ELS4_3ELNS0_20block_scan_algorithmE0ELj4294967295EEENS1_25partition_config_selectorILNS1_17partition_subalgoE3EjNS0_10empty_typeEbEEZZNS1_14partition_implILS8_3ELb0ES6_jNS0_17counting_iteratorIjlEEPS9_SE_NS0_5tupleIJPjSE_EEENSF_IJSE_SE_EEES9_SG_JZNS1_25segmented_radix_sort_implINS0_14default_configELb1EPKlPlSM_SN_N2at6native12_GLOBAL__N_18offset_tEEE10hipError_tPvRmT1_PNSt15iterator_traitsISV_E10value_typeET2_T3_PNSW_IS11_E10value_typeET4_jRbjT5_S17_jjP12ihipStream_tbEUljE_EEESS_ST_SU_S11_S15_S17_T6_T7_T9_mT8_S19_bDpT10_ENKUlT_T0_E_clISt17integral_constantIbLb0EES1M_EEDaS1H_S1I_EUlS1H_E_NS1_11comp_targetILNS1_3genE9ELNS1_11target_archE1100ELNS1_3gpuE3ELNS1_3repE0EEENS1_30default_config_static_selectorELNS0_4arch9wavefront6targetE0EEEvSV_.numbered_sgpr, 0
	.set _ZN7rocprim17ROCPRIM_400000_NS6detail17trampoline_kernelINS0_13select_configILj256ELj13ELNS0_17block_load_methodE3ELS4_3ELS4_3ELNS0_20block_scan_algorithmE0ELj4294967295EEENS1_25partition_config_selectorILNS1_17partition_subalgoE3EjNS0_10empty_typeEbEEZZNS1_14partition_implILS8_3ELb0ES6_jNS0_17counting_iteratorIjlEEPS9_SE_NS0_5tupleIJPjSE_EEENSF_IJSE_SE_EEES9_SG_JZNS1_25segmented_radix_sort_implINS0_14default_configELb1EPKlPlSM_SN_N2at6native12_GLOBAL__N_18offset_tEEE10hipError_tPvRmT1_PNSt15iterator_traitsISV_E10value_typeET2_T3_PNSW_IS11_E10value_typeET4_jRbjT5_S17_jjP12ihipStream_tbEUljE_EEESS_ST_SU_S11_S15_S17_T6_T7_T9_mT8_S19_bDpT10_ENKUlT_T0_E_clISt17integral_constantIbLb0EES1M_EEDaS1H_S1I_EUlS1H_E_NS1_11comp_targetILNS1_3genE9ELNS1_11target_archE1100ELNS1_3gpuE3ELNS1_3repE0EEENS1_30default_config_static_selectorELNS0_4arch9wavefront6targetE0EEEvSV_.num_named_barrier, 0
	.set _ZN7rocprim17ROCPRIM_400000_NS6detail17trampoline_kernelINS0_13select_configILj256ELj13ELNS0_17block_load_methodE3ELS4_3ELS4_3ELNS0_20block_scan_algorithmE0ELj4294967295EEENS1_25partition_config_selectorILNS1_17partition_subalgoE3EjNS0_10empty_typeEbEEZZNS1_14partition_implILS8_3ELb0ES6_jNS0_17counting_iteratorIjlEEPS9_SE_NS0_5tupleIJPjSE_EEENSF_IJSE_SE_EEES9_SG_JZNS1_25segmented_radix_sort_implINS0_14default_configELb1EPKlPlSM_SN_N2at6native12_GLOBAL__N_18offset_tEEE10hipError_tPvRmT1_PNSt15iterator_traitsISV_E10value_typeET2_T3_PNSW_IS11_E10value_typeET4_jRbjT5_S17_jjP12ihipStream_tbEUljE_EEESS_ST_SU_S11_S15_S17_T6_T7_T9_mT8_S19_bDpT10_ENKUlT_T0_E_clISt17integral_constantIbLb0EES1M_EEDaS1H_S1I_EUlS1H_E_NS1_11comp_targetILNS1_3genE9ELNS1_11target_archE1100ELNS1_3gpuE3ELNS1_3repE0EEENS1_30default_config_static_selectorELNS0_4arch9wavefront6targetE0EEEvSV_.private_seg_size, 0
	.set _ZN7rocprim17ROCPRIM_400000_NS6detail17trampoline_kernelINS0_13select_configILj256ELj13ELNS0_17block_load_methodE3ELS4_3ELS4_3ELNS0_20block_scan_algorithmE0ELj4294967295EEENS1_25partition_config_selectorILNS1_17partition_subalgoE3EjNS0_10empty_typeEbEEZZNS1_14partition_implILS8_3ELb0ES6_jNS0_17counting_iteratorIjlEEPS9_SE_NS0_5tupleIJPjSE_EEENSF_IJSE_SE_EEES9_SG_JZNS1_25segmented_radix_sort_implINS0_14default_configELb1EPKlPlSM_SN_N2at6native12_GLOBAL__N_18offset_tEEE10hipError_tPvRmT1_PNSt15iterator_traitsISV_E10value_typeET2_T3_PNSW_IS11_E10value_typeET4_jRbjT5_S17_jjP12ihipStream_tbEUljE_EEESS_ST_SU_S11_S15_S17_T6_T7_T9_mT8_S19_bDpT10_ENKUlT_T0_E_clISt17integral_constantIbLb0EES1M_EEDaS1H_S1I_EUlS1H_E_NS1_11comp_targetILNS1_3genE9ELNS1_11target_archE1100ELNS1_3gpuE3ELNS1_3repE0EEENS1_30default_config_static_selectorELNS0_4arch9wavefront6targetE0EEEvSV_.uses_vcc, 0
	.set _ZN7rocprim17ROCPRIM_400000_NS6detail17trampoline_kernelINS0_13select_configILj256ELj13ELNS0_17block_load_methodE3ELS4_3ELS4_3ELNS0_20block_scan_algorithmE0ELj4294967295EEENS1_25partition_config_selectorILNS1_17partition_subalgoE3EjNS0_10empty_typeEbEEZZNS1_14partition_implILS8_3ELb0ES6_jNS0_17counting_iteratorIjlEEPS9_SE_NS0_5tupleIJPjSE_EEENSF_IJSE_SE_EEES9_SG_JZNS1_25segmented_radix_sort_implINS0_14default_configELb1EPKlPlSM_SN_N2at6native12_GLOBAL__N_18offset_tEEE10hipError_tPvRmT1_PNSt15iterator_traitsISV_E10value_typeET2_T3_PNSW_IS11_E10value_typeET4_jRbjT5_S17_jjP12ihipStream_tbEUljE_EEESS_ST_SU_S11_S15_S17_T6_T7_T9_mT8_S19_bDpT10_ENKUlT_T0_E_clISt17integral_constantIbLb0EES1M_EEDaS1H_S1I_EUlS1H_E_NS1_11comp_targetILNS1_3genE9ELNS1_11target_archE1100ELNS1_3gpuE3ELNS1_3repE0EEENS1_30default_config_static_selectorELNS0_4arch9wavefront6targetE0EEEvSV_.uses_flat_scratch, 0
	.set _ZN7rocprim17ROCPRIM_400000_NS6detail17trampoline_kernelINS0_13select_configILj256ELj13ELNS0_17block_load_methodE3ELS4_3ELS4_3ELNS0_20block_scan_algorithmE0ELj4294967295EEENS1_25partition_config_selectorILNS1_17partition_subalgoE3EjNS0_10empty_typeEbEEZZNS1_14partition_implILS8_3ELb0ES6_jNS0_17counting_iteratorIjlEEPS9_SE_NS0_5tupleIJPjSE_EEENSF_IJSE_SE_EEES9_SG_JZNS1_25segmented_radix_sort_implINS0_14default_configELb1EPKlPlSM_SN_N2at6native12_GLOBAL__N_18offset_tEEE10hipError_tPvRmT1_PNSt15iterator_traitsISV_E10value_typeET2_T3_PNSW_IS11_E10value_typeET4_jRbjT5_S17_jjP12ihipStream_tbEUljE_EEESS_ST_SU_S11_S15_S17_T6_T7_T9_mT8_S19_bDpT10_ENKUlT_T0_E_clISt17integral_constantIbLb0EES1M_EEDaS1H_S1I_EUlS1H_E_NS1_11comp_targetILNS1_3genE9ELNS1_11target_archE1100ELNS1_3gpuE3ELNS1_3repE0EEENS1_30default_config_static_selectorELNS0_4arch9wavefront6targetE0EEEvSV_.has_dyn_sized_stack, 0
	.set _ZN7rocprim17ROCPRIM_400000_NS6detail17trampoline_kernelINS0_13select_configILj256ELj13ELNS0_17block_load_methodE3ELS4_3ELS4_3ELNS0_20block_scan_algorithmE0ELj4294967295EEENS1_25partition_config_selectorILNS1_17partition_subalgoE3EjNS0_10empty_typeEbEEZZNS1_14partition_implILS8_3ELb0ES6_jNS0_17counting_iteratorIjlEEPS9_SE_NS0_5tupleIJPjSE_EEENSF_IJSE_SE_EEES9_SG_JZNS1_25segmented_radix_sort_implINS0_14default_configELb1EPKlPlSM_SN_N2at6native12_GLOBAL__N_18offset_tEEE10hipError_tPvRmT1_PNSt15iterator_traitsISV_E10value_typeET2_T3_PNSW_IS11_E10value_typeET4_jRbjT5_S17_jjP12ihipStream_tbEUljE_EEESS_ST_SU_S11_S15_S17_T6_T7_T9_mT8_S19_bDpT10_ENKUlT_T0_E_clISt17integral_constantIbLb0EES1M_EEDaS1H_S1I_EUlS1H_E_NS1_11comp_targetILNS1_3genE9ELNS1_11target_archE1100ELNS1_3gpuE3ELNS1_3repE0EEENS1_30default_config_static_selectorELNS0_4arch9wavefront6targetE0EEEvSV_.has_recursion, 0
	.set _ZN7rocprim17ROCPRIM_400000_NS6detail17trampoline_kernelINS0_13select_configILj256ELj13ELNS0_17block_load_methodE3ELS4_3ELS4_3ELNS0_20block_scan_algorithmE0ELj4294967295EEENS1_25partition_config_selectorILNS1_17partition_subalgoE3EjNS0_10empty_typeEbEEZZNS1_14partition_implILS8_3ELb0ES6_jNS0_17counting_iteratorIjlEEPS9_SE_NS0_5tupleIJPjSE_EEENSF_IJSE_SE_EEES9_SG_JZNS1_25segmented_radix_sort_implINS0_14default_configELb1EPKlPlSM_SN_N2at6native12_GLOBAL__N_18offset_tEEE10hipError_tPvRmT1_PNSt15iterator_traitsISV_E10value_typeET2_T3_PNSW_IS11_E10value_typeET4_jRbjT5_S17_jjP12ihipStream_tbEUljE_EEESS_ST_SU_S11_S15_S17_T6_T7_T9_mT8_S19_bDpT10_ENKUlT_T0_E_clISt17integral_constantIbLb0EES1M_EEDaS1H_S1I_EUlS1H_E_NS1_11comp_targetILNS1_3genE9ELNS1_11target_archE1100ELNS1_3gpuE3ELNS1_3repE0EEENS1_30default_config_static_selectorELNS0_4arch9wavefront6targetE0EEEvSV_.has_indirect_call, 0
	.section	.AMDGPU.csdata,"",@progbits
; Kernel info:
; codeLenInByte = 0
; TotalNumSgprs: 0
; NumVgprs: 0
; ScratchSize: 0
; MemoryBound: 0
; FloatMode: 240
; IeeeMode: 1
; LDSByteSize: 0 bytes/workgroup (compile time only)
; SGPRBlocks: 0
; VGPRBlocks: 0
; NumSGPRsForWavesPerEU: 1
; NumVGPRsForWavesPerEU: 1
; NamedBarCnt: 0
; Occupancy: 16
; WaveLimiterHint : 0
; COMPUTE_PGM_RSRC2:SCRATCH_EN: 0
; COMPUTE_PGM_RSRC2:USER_SGPR: 2
; COMPUTE_PGM_RSRC2:TRAP_HANDLER: 0
; COMPUTE_PGM_RSRC2:TGID_X_EN: 1
; COMPUTE_PGM_RSRC2:TGID_Y_EN: 0
; COMPUTE_PGM_RSRC2:TGID_Z_EN: 0
; COMPUTE_PGM_RSRC2:TIDIG_COMP_CNT: 0
	.section	.text._ZN7rocprim17ROCPRIM_400000_NS6detail17trampoline_kernelINS0_13select_configILj256ELj13ELNS0_17block_load_methodE3ELS4_3ELS4_3ELNS0_20block_scan_algorithmE0ELj4294967295EEENS1_25partition_config_selectorILNS1_17partition_subalgoE3EjNS0_10empty_typeEbEEZZNS1_14partition_implILS8_3ELb0ES6_jNS0_17counting_iteratorIjlEEPS9_SE_NS0_5tupleIJPjSE_EEENSF_IJSE_SE_EEES9_SG_JZNS1_25segmented_radix_sort_implINS0_14default_configELb1EPKlPlSM_SN_N2at6native12_GLOBAL__N_18offset_tEEE10hipError_tPvRmT1_PNSt15iterator_traitsISV_E10value_typeET2_T3_PNSW_IS11_E10value_typeET4_jRbjT5_S17_jjP12ihipStream_tbEUljE_EEESS_ST_SU_S11_S15_S17_T6_T7_T9_mT8_S19_bDpT10_ENKUlT_T0_E_clISt17integral_constantIbLb0EES1M_EEDaS1H_S1I_EUlS1H_E_NS1_11comp_targetILNS1_3genE8ELNS1_11target_archE1030ELNS1_3gpuE2ELNS1_3repE0EEENS1_30default_config_static_selectorELNS0_4arch9wavefront6targetE0EEEvSV_,"axG",@progbits,_ZN7rocprim17ROCPRIM_400000_NS6detail17trampoline_kernelINS0_13select_configILj256ELj13ELNS0_17block_load_methodE3ELS4_3ELS4_3ELNS0_20block_scan_algorithmE0ELj4294967295EEENS1_25partition_config_selectorILNS1_17partition_subalgoE3EjNS0_10empty_typeEbEEZZNS1_14partition_implILS8_3ELb0ES6_jNS0_17counting_iteratorIjlEEPS9_SE_NS0_5tupleIJPjSE_EEENSF_IJSE_SE_EEES9_SG_JZNS1_25segmented_radix_sort_implINS0_14default_configELb1EPKlPlSM_SN_N2at6native12_GLOBAL__N_18offset_tEEE10hipError_tPvRmT1_PNSt15iterator_traitsISV_E10value_typeET2_T3_PNSW_IS11_E10value_typeET4_jRbjT5_S17_jjP12ihipStream_tbEUljE_EEESS_ST_SU_S11_S15_S17_T6_T7_T9_mT8_S19_bDpT10_ENKUlT_T0_E_clISt17integral_constantIbLb0EES1M_EEDaS1H_S1I_EUlS1H_E_NS1_11comp_targetILNS1_3genE8ELNS1_11target_archE1030ELNS1_3gpuE2ELNS1_3repE0EEENS1_30default_config_static_selectorELNS0_4arch9wavefront6targetE0EEEvSV_,comdat
	.globl	_ZN7rocprim17ROCPRIM_400000_NS6detail17trampoline_kernelINS0_13select_configILj256ELj13ELNS0_17block_load_methodE3ELS4_3ELS4_3ELNS0_20block_scan_algorithmE0ELj4294967295EEENS1_25partition_config_selectorILNS1_17partition_subalgoE3EjNS0_10empty_typeEbEEZZNS1_14partition_implILS8_3ELb0ES6_jNS0_17counting_iteratorIjlEEPS9_SE_NS0_5tupleIJPjSE_EEENSF_IJSE_SE_EEES9_SG_JZNS1_25segmented_radix_sort_implINS0_14default_configELb1EPKlPlSM_SN_N2at6native12_GLOBAL__N_18offset_tEEE10hipError_tPvRmT1_PNSt15iterator_traitsISV_E10value_typeET2_T3_PNSW_IS11_E10value_typeET4_jRbjT5_S17_jjP12ihipStream_tbEUljE_EEESS_ST_SU_S11_S15_S17_T6_T7_T9_mT8_S19_bDpT10_ENKUlT_T0_E_clISt17integral_constantIbLb0EES1M_EEDaS1H_S1I_EUlS1H_E_NS1_11comp_targetILNS1_3genE8ELNS1_11target_archE1030ELNS1_3gpuE2ELNS1_3repE0EEENS1_30default_config_static_selectorELNS0_4arch9wavefront6targetE0EEEvSV_ ; -- Begin function _ZN7rocprim17ROCPRIM_400000_NS6detail17trampoline_kernelINS0_13select_configILj256ELj13ELNS0_17block_load_methodE3ELS4_3ELS4_3ELNS0_20block_scan_algorithmE0ELj4294967295EEENS1_25partition_config_selectorILNS1_17partition_subalgoE3EjNS0_10empty_typeEbEEZZNS1_14partition_implILS8_3ELb0ES6_jNS0_17counting_iteratorIjlEEPS9_SE_NS0_5tupleIJPjSE_EEENSF_IJSE_SE_EEES9_SG_JZNS1_25segmented_radix_sort_implINS0_14default_configELb1EPKlPlSM_SN_N2at6native12_GLOBAL__N_18offset_tEEE10hipError_tPvRmT1_PNSt15iterator_traitsISV_E10value_typeET2_T3_PNSW_IS11_E10value_typeET4_jRbjT5_S17_jjP12ihipStream_tbEUljE_EEESS_ST_SU_S11_S15_S17_T6_T7_T9_mT8_S19_bDpT10_ENKUlT_T0_E_clISt17integral_constantIbLb0EES1M_EEDaS1H_S1I_EUlS1H_E_NS1_11comp_targetILNS1_3genE8ELNS1_11target_archE1030ELNS1_3gpuE2ELNS1_3repE0EEENS1_30default_config_static_selectorELNS0_4arch9wavefront6targetE0EEEvSV_
	.p2align	8
	.type	_ZN7rocprim17ROCPRIM_400000_NS6detail17trampoline_kernelINS0_13select_configILj256ELj13ELNS0_17block_load_methodE3ELS4_3ELS4_3ELNS0_20block_scan_algorithmE0ELj4294967295EEENS1_25partition_config_selectorILNS1_17partition_subalgoE3EjNS0_10empty_typeEbEEZZNS1_14partition_implILS8_3ELb0ES6_jNS0_17counting_iteratorIjlEEPS9_SE_NS0_5tupleIJPjSE_EEENSF_IJSE_SE_EEES9_SG_JZNS1_25segmented_radix_sort_implINS0_14default_configELb1EPKlPlSM_SN_N2at6native12_GLOBAL__N_18offset_tEEE10hipError_tPvRmT1_PNSt15iterator_traitsISV_E10value_typeET2_T3_PNSW_IS11_E10value_typeET4_jRbjT5_S17_jjP12ihipStream_tbEUljE_EEESS_ST_SU_S11_S15_S17_T6_T7_T9_mT8_S19_bDpT10_ENKUlT_T0_E_clISt17integral_constantIbLb0EES1M_EEDaS1H_S1I_EUlS1H_E_NS1_11comp_targetILNS1_3genE8ELNS1_11target_archE1030ELNS1_3gpuE2ELNS1_3repE0EEENS1_30default_config_static_selectorELNS0_4arch9wavefront6targetE0EEEvSV_,@function
_ZN7rocprim17ROCPRIM_400000_NS6detail17trampoline_kernelINS0_13select_configILj256ELj13ELNS0_17block_load_methodE3ELS4_3ELS4_3ELNS0_20block_scan_algorithmE0ELj4294967295EEENS1_25partition_config_selectorILNS1_17partition_subalgoE3EjNS0_10empty_typeEbEEZZNS1_14partition_implILS8_3ELb0ES6_jNS0_17counting_iteratorIjlEEPS9_SE_NS0_5tupleIJPjSE_EEENSF_IJSE_SE_EEES9_SG_JZNS1_25segmented_radix_sort_implINS0_14default_configELb1EPKlPlSM_SN_N2at6native12_GLOBAL__N_18offset_tEEE10hipError_tPvRmT1_PNSt15iterator_traitsISV_E10value_typeET2_T3_PNSW_IS11_E10value_typeET4_jRbjT5_S17_jjP12ihipStream_tbEUljE_EEESS_ST_SU_S11_S15_S17_T6_T7_T9_mT8_S19_bDpT10_ENKUlT_T0_E_clISt17integral_constantIbLb0EES1M_EEDaS1H_S1I_EUlS1H_E_NS1_11comp_targetILNS1_3genE8ELNS1_11target_archE1030ELNS1_3gpuE2ELNS1_3repE0EEENS1_30default_config_static_selectorELNS0_4arch9wavefront6targetE0EEEvSV_: ; @_ZN7rocprim17ROCPRIM_400000_NS6detail17trampoline_kernelINS0_13select_configILj256ELj13ELNS0_17block_load_methodE3ELS4_3ELS4_3ELNS0_20block_scan_algorithmE0ELj4294967295EEENS1_25partition_config_selectorILNS1_17partition_subalgoE3EjNS0_10empty_typeEbEEZZNS1_14partition_implILS8_3ELb0ES6_jNS0_17counting_iteratorIjlEEPS9_SE_NS0_5tupleIJPjSE_EEENSF_IJSE_SE_EEES9_SG_JZNS1_25segmented_radix_sort_implINS0_14default_configELb1EPKlPlSM_SN_N2at6native12_GLOBAL__N_18offset_tEEE10hipError_tPvRmT1_PNSt15iterator_traitsISV_E10value_typeET2_T3_PNSW_IS11_E10value_typeET4_jRbjT5_S17_jjP12ihipStream_tbEUljE_EEESS_ST_SU_S11_S15_S17_T6_T7_T9_mT8_S19_bDpT10_ENKUlT_T0_E_clISt17integral_constantIbLb0EES1M_EEDaS1H_S1I_EUlS1H_E_NS1_11comp_targetILNS1_3genE8ELNS1_11target_archE1030ELNS1_3gpuE2ELNS1_3repE0EEENS1_30default_config_static_selectorELNS0_4arch9wavefront6targetE0EEEvSV_
; %bb.0:
	.section	.rodata,"a",@progbits
	.p2align	6, 0x0
	.amdhsa_kernel _ZN7rocprim17ROCPRIM_400000_NS6detail17trampoline_kernelINS0_13select_configILj256ELj13ELNS0_17block_load_methodE3ELS4_3ELS4_3ELNS0_20block_scan_algorithmE0ELj4294967295EEENS1_25partition_config_selectorILNS1_17partition_subalgoE3EjNS0_10empty_typeEbEEZZNS1_14partition_implILS8_3ELb0ES6_jNS0_17counting_iteratorIjlEEPS9_SE_NS0_5tupleIJPjSE_EEENSF_IJSE_SE_EEES9_SG_JZNS1_25segmented_radix_sort_implINS0_14default_configELb1EPKlPlSM_SN_N2at6native12_GLOBAL__N_18offset_tEEE10hipError_tPvRmT1_PNSt15iterator_traitsISV_E10value_typeET2_T3_PNSW_IS11_E10value_typeET4_jRbjT5_S17_jjP12ihipStream_tbEUljE_EEESS_ST_SU_S11_S15_S17_T6_T7_T9_mT8_S19_bDpT10_ENKUlT_T0_E_clISt17integral_constantIbLb0EES1M_EEDaS1H_S1I_EUlS1H_E_NS1_11comp_targetILNS1_3genE8ELNS1_11target_archE1030ELNS1_3gpuE2ELNS1_3repE0EEENS1_30default_config_static_selectorELNS0_4arch9wavefront6targetE0EEEvSV_
		.amdhsa_group_segment_fixed_size 0
		.amdhsa_private_segment_fixed_size 0
		.amdhsa_kernarg_size 144
		.amdhsa_user_sgpr_count 2
		.amdhsa_user_sgpr_dispatch_ptr 0
		.amdhsa_user_sgpr_queue_ptr 0
		.amdhsa_user_sgpr_kernarg_segment_ptr 1
		.amdhsa_user_sgpr_dispatch_id 0
		.amdhsa_user_sgpr_kernarg_preload_length 0
		.amdhsa_user_sgpr_kernarg_preload_offset 0
		.amdhsa_user_sgpr_private_segment_size 0
		.amdhsa_wavefront_size32 1
		.amdhsa_uses_dynamic_stack 0
		.amdhsa_enable_private_segment 0
		.amdhsa_system_sgpr_workgroup_id_x 1
		.amdhsa_system_sgpr_workgroup_id_y 0
		.amdhsa_system_sgpr_workgroup_id_z 0
		.amdhsa_system_sgpr_workgroup_info 0
		.amdhsa_system_vgpr_workitem_id 0
		.amdhsa_next_free_vgpr 1
		.amdhsa_next_free_sgpr 1
		.amdhsa_named_barrier_count 0
		.amdhsa_reserve_vcc 0
		.amdhsa_float_round_mode_32 0
		.amdhsa_float_round_mode_16_64 0
		.amdhsa_float_denorm_mode_32 3
		.amdhsa_float_denorm_mode_16_64 3
		.amdhsa_fp16_overflow 0
		.amdhsa_memory_ordered 1
		.amdhsa_forward_progress 1
		.amdhsa_inst_pref_size 0
		.amdhsa_round_robin_scheduling 0
		.amdhsa_exception_fp_ieee_invalid_op 0
		.amdhsa_exception_fp_denorm_src 0
		.amdhsa_exception_fp_ieee_div_zero 0
		.amdhsa_exception_fp_ieee_overflow 0
		.amdhsa_exception_fp_ieee_underflow 0
		.amdhsa_exception_fp_ieee_inexact 0
		.amdhsa_exception_int_div_zero 0
	.end_amdhsa_kernel
	.section	.text._ZN7rocprim17ROCPRIM_400000_NS6detail17trampoline_kernelINS0_13select_configILj256ELj13ELNS0_17block_load_methodE3ELS4_3ELS4_3ELNS0_20block_scan_algorithmE0ELj4294967295EEENS1_25partition_config_selectorILNS1_17partition_subalgoE3EjNS0_10empty_typeEbEEZZNS1_14partition_implILS8_3ELb0ES6_jNS0_17counting_iteratorIjlEEPS9_SE_NS0_5tupleIJPjSE_EEENSF_IJSE_SE_EEES9_SG_JZNS1_25segmented_radix_sort_implINS0_14default_configELb1EPKlPlSM_SN_N2at6native12_GLOBAL__N_18offset_tEEE10hipError_tPvRmT1_PNSt15iterator_traitsISV_E10value_typeET2_T3_PNSW_IS11_E10value_typeET4_jRbjT5_S17_jjP12ihipStream_tbEUljE_EEESS_ST_SU_S11_S15_S17_T6_T7_T9_mT8_S19_bDpT10_ENKUlT_T0_E_clISt17integral_constantIbLb0EES1M_EEDaS1H_S1I_EUlS1H_E_NS1_11comp_targetILNS1_3genE8ELNS1_11target_archE1030ELNS1_3gpuE2ELNS1_3repE0EEENS1_30default_config_static_selectorELNS0_4arch9wavefront6targetE0EEEvSV_,"axG",@progbits,_ZN7rocprim17ROCPRIM_400000_NS6detail17trampoline_kernelINS0_13select_configILj256ELj13ELNS0_17block_load_methodE3ELS4_3ELS4_3ELNS0_20block_scan_algorithmE0ELj4294967295EEENS1_25partition_config_selectorILNS1_17partition_subalgoE3EjNS0_10empty_typeEbEEZZNS1_14partition_implILS8_3ELb0ES6_jNS0_17counting_iteratorIjlEEPS9_SE_NS0_5tupleIJPjSE_EEENSF_IJSE_SE_EEES9_SG_JZNS1_25segmented_radix_sort_implINS0_14default_configELb1EPKlPlSM_SN_N2at6native12_GLOBAL__N_18offset_tEEE10hipError_tPvRmT1_PNSt15iterator_traitsISV_E10value_typeET2_T3_PNSW_IS11_E10value_typeET4_jRbjT5_S17_jjP12ihipStream_tbEUljE_EEESS_ST_SU_S11_S15_S17_T6_T7_T9_mT8_S19_bDpT10_ENKUlT_T0_E_clISt17integral_constantIbLb0EES1M_EEDaS1H_S1I_EUlS1H_E_NS1_11comp_targetILNS1_3genE8ELNS1_11target_archE1030ELNS1_3gpuE2ELNS1_3repE0EEENS1_30default_config_static_selectorELNS0_4arch9wavefront6targetE0EEEvSV_,comdat
.Lfunc_end675:
	.size	_ZN7rocprim17ROCPRIM_400000_NS6detail17trampoline_kernelINS0_13select_configILj256ELj13ELNS0_17block_load_methodE3ELS4_3ELS4_3ELNS0_20block_scan_algorithmE0ELj4294967295EEENS1_25partition_config_selectorILNS1_17partition_subalgoE3EjNS0_10empty_typeEbEEZZNS1_14partition_implILS8_3ELb0ES6_jNS0_17counting_iteratorIjlEEPS9_SE_NS0_5tupleIJPjSE_EEENSF_IJSE_SE_EEES9_SG_JZNS1_25segmented_radix_sort_implINS0_14default_configELb1EPKlPlSM_SN_N2at6native12_GLOBAL__N_18offset_tEEE10hipError_tPvRmT1_PNSt15iterator_traitsISV_E10value_typeET2_T3_PNSW_IS11_E10value_typeET4_jRbjT5_S17_jjP12ihipStream_tbEUljE_EEESS_ST_SU_S11_S15_S17_T6_T7_T9_mT8_S19_bDpT10_ENKUlT_T0_E_clISt17integral_constantIbLb0EES1M_EEDaS1H_S1I_EUlS1H_E_NS1_11comp_targetILNS1_3genE8ELNS1_11target_archE1030ELNS1_3gpuE2ELNS1_3repE0EEENS1_30default_config_static_selectorELNS0_4arch9wavefront6targetE0EEEvSV_, .Lfunc_end675-_ZN7rocprim17ROCPRIM_400000_NS6detail17trampoline_kernelINS0_13select_configILj256ELj13ELNS0_17block_load_methodE3ELS4_3ELS4_3ELNS0_20block_scan_algorithmE0ELj4294967295EEENS1_25partition_config_selectorILNS1_17partition_subalgoE3EjNS0_10empty_typeEbEEZZNS1_14partition_implILS8_3ELb0ES6_jNS0_17counting_iteratorIjlEEPS9_SE_NS0_5tupleIJPjSE_EEENSF_IJSE_SE_EEES9_SG_JZNS1_25segmented_radix_sort_implINS0_14default_configELb1EPKlPlSM_SN_N2at6native12_GLOBAL__N_18offset_tEEE10hipError_tPvRmT1_PNSt15iterator_traitsISV_E10value_typeET2_T3_PNSW_IS11_E10value_typeET4_jRbjT5_S17_jjP12ihipStream_tbEUljE_EEESS_ST_SU_S11_S15_S17_T6_T7_T9_mT8_S19_bDpT10_ENKUlT_T0_E_clISt17integral_constantIbLb0EES1M_EEDaS1H_S1I_EUlS1H_E_NS1_11comp_targetILNS1_3genE8ELNS1_11target_archE1030ELNS1_3gpuE2ELNS1_3repE0EEENS1_30default_config_static_selectorELNS0_4arch9wavefront6targetE0EEEvSV_
                                        ; -- End function
	.set _ZN7rocprim17ROCPRIM_400000_NS6detail17trampoline_kernelINS0_13select_configILj256ELj13ELNS0_17block_load_methodE3ELS4_3ELS4_3ELNS0_20block_scan_algorithmE0ELj4294967295EEENS1_25partition_config_selectorILNS1_17partition_subalgoE3EjNS0_10empty_typeEbEEZZNS1_14partition_implILS8_3ELb0ES6_jNS0_17counting_iteratorIjlEEPS9_SE_NS0_5tupleIJPjSE_EEENSF_IJSE_SE_EEES9_SG_JZNS1_25segmented_radix_sort_implINS0_14default_configELb1EPKlPlSM_SN_N2at6native12_GLOBAL__N_18offset_tEEE10hipError_tPvRmT1_PNSt15iterator_traitsISV_E10value_typeET2_T3_PNSW_IS11_E10value_typeET4_jRbjT5_S17_jjP12ihipStream_tbEUljE_EEESS_ST_SU_S11_S15_S17_T6_T7_T9_mT8_S19_bDpT10_ENKUlT_T0_E_clISt17integral_constantIbLb0EES1M_EEDaS1H_S1I_EUlS1H_E_NS1_11comp_targetILNS1_3genE8ELNS1_11target_archE1030ELNS1_3gpuE2ELNS1_3repE0EEENS1_30default_config_static_selectorELNS0_4arch9wavefront6targetE0EEEvSV_.num_vgpr, 0
	.set _ZN7rocprim17ROCPRIM_400000_NS6detail17trampoline_kernelINS0_13select_configILj256ELj13ELNS0_17block_load_methodE3ELS4_3ELS4_3ELNS0_20block_scan_algorithmE0ELj4294967295EEENS1_25partition_config_selectorILNS1_17partition_subalgoE3EjNS0_10empty_typeEbEEZZNS1_14partition_implILS8_3ELb0ES6_jNS0_17counting_iteratorIjlEEPS9_SE_NS0_5tupleIJPjSE_EEENSF_IJSE_SE_EEES9_SG_JZNS1_25segmented_radix_sort_implINS0_14default_configELb1EPKlPlSM_SN_N2at6native12_GLOBAL__N_18offset_tEEE10hipError_tPvRmT1_PNSt15iterator_traitsISV_E10value_typeET2_T3_PNSW_IS11_E10value_typeET4_jRbjT5_S17_jjP12ihipStream_tbEUljE_EEESS_ST_SU_S11_S15_S17_T6_T7_T9_mT8_S19_bDpT10_ENKUlT_T0_E_clISt17integral_constantIbLb0EES1M_EEDaS1H_S1I_EUlS1H_E_NS1_11comp_targetILNS1_3genE8ELNS1_11target_archE1030ELNS1_3gpuE2ELNS1_3repE0EEENS1_30default_config_static_selectorELNS0_4arch9wavefront6targetE0EEEvSV_.num_agpr, 0
	.set _ZN7rocprim17ROCPRIM_400000_NS6detail17trampoline_kernelINS0_13select_configILj256ELj13ELNS0_17block_load_methodE3ELS4_3ELS4_3ELNS0_20block_scan_algorithmE0ELj4294967295EEENS1_25partition_config_selectorILNS1_17partition_subalgoE3EjNS0_10empty_typeEbEEZZNS1_14partition_implILS8_3ELb0ES6_jNS0_17counting_iteratorIjlEEPS9_SE_NS0_5tupleIJPjSE_EEENSF_IJSE_SE_EEES9_SG_JZNS1_25segmented_radix_sort_implINS0_14default_configELb1EPKlPlSM_SN_N2at6native12_GLOBAL__N_18offset_tEEE10hipError_tPvRmT1_PNSt15iterator_traitsISV_E10value_typeET2_T3_PNSW_IS11_E10value_typeET4_jRbjT5_S17_jjP12ihipStream_tbEUljE_EEESS_ST_SU_S11_S15_S17_T6_T7_T9_mT8_S19_bDpT10_ENKUlT_T0_E_clISt17integral_constantIbLb0EES1M_EEDaS1H_S1I_EUlS1H_E_NS1_11comp_targetILNS1_3genE8ELNS1_11target_archE1030ELNS1_3gpuE2ELNS1_3repE0EEENS1_30default_config_static_selectorELNS0_4arch9wavefront6targetE0EEEvSV_.numbered_sgpr, 0
	.set _ZN7rocprim17ROCPRIM_400000_NS6detail17trampoline_kernelINS0_13select_configILj256ELj13ELNS0_17block_load_methodE3ELS4_3ELS4_3ELNS0_20block_scan_algorithmE0ELj4294967295EEENS1_25partition_config_selectorILNS1_17partition_subalgoE3EjNS0_10empty_typeEbEEZZNS1_14partition_implILS8_3ELb0ES6_jNS0_17counting_iteratorIjlEEPS9_SE_NS0_5tupleIJPjSE_EEENSF_IJSE_SE_EEES9_SG_JZNS1_25segmented_radix_sort_implINS0_14default_configELb1EPKlPlSM_SN_N2at6native12_GLOBAL__N_18offset_tEEE10hipError_tPvRmT1_PNSt15iterator_traitsISV_E10value_typeET2_T3_PNSW_IS11_E10value_typeET4_jRbjT5_S17_jjP12ihipStream_tbEUljE_EEESS_ST_SU_S11_S15_S17_T6_T7_T9_mT8_S19_bDpT10_ENKUlT_T0_E_clISt17integral_constantIbLb0EES1M_EEDaS1H_S1I_EUlS1H_E_NS1_11comp_targetILNS1_3genE8ELNS1_11target_archE1030ELNS1_3gpuE2ELNS1_3repE0EEENS1_30default_config_static_selectorELNS0_4arch9wavefront6targetE0EEEvSV_.num_named_barrier, 0
	.set _ZN7rocprim17ROCPRIM_400000_NS6detail17trampoline_kernelINS0_13select_configILj256ELj13ELNS0_17block_load_methodE3ELS4_3ELS4_3ELNS0_20block_scan_algorithmE0ELj4294967295EEENS1_25partition_config_selectorILNS1_17partition_subalgoE3EjNS0_10empty_typeEbEEZZNS1_14partition_implILS8_3ELb0ES6_jNS0_17counting_iteratorIjlEEPS9_SE_NS0_5tupleIJPjSE_EEENSF_IJSE_SE_EEES9_SG_JZNS1_25segmented_radix_sort_implINS0_14default_configELb1EPKlPlSM_SN_N2at6native12_GLOBAL__N_18offset_tEEE10hipError_tPvRmT1_PNSt15iterator_traitsISV_E10value_typeET2_T3_PNSW_IS11_E10value_typeET4_jRbjT5_S17_jjP12ihipStream_tbEUljE_EEESS_ST_SU_S11_S15_S17_T6_T7_T9_mT8_S19_bDpT10_ENKUlT_T0_E_clISt17integral_constantIbLb0EES1M_EEDaS1H_S1I_EUlS1H_E_NS1_11comp_targetILNS1_3genE8ELNS1_11target_archE1030ELNS1_3gpuE2ELNS1_3repE0EEENS1_30default_config_static_selectorELNS0_4arch9wavefront6targetE0EEEvSV_.private_seg_size, 0
	.set _ZN7rocprim17ROCPRIM_400000_NS6detail17trampoline_kernelINS0_13select_configILj256ELj13ELNS0_17block_load_methodE3ELS4_3ELS4_3ELNS0_20block_scan_algorithmE0ELj4294967295EEENS1_25partition_config_selectorILNS1_17partition_subalgoE3EjNS0_10empty_typeEbEEZZNS1_14partition_implILS8_3ELb0ES6_jNS0_17counting_iteratorIjlEEPS9_SE_NS0_5tupleIJPjSE_EEENSF_IJSE_SE_EEES9_SG_JZNS1_25segmented_radix_sort_implINS0_14default_configELb1EPKlPlSM_SN_N2at6native12_GLOBAL__N_18offset_tEEE10hipError_tPvRmT1_PNSt15iterator_traitsISV_E10value_typeET2_T3_PNSW_IS11_E10value_typeET4_jRbjT5_S17_jjP12ihipStream_tbEUljE_EEESS_ST_SU_S11_S15_S17_T6_T7_T9_mT8_S19_bDpT10_ENKUlT_T0_E_clISt17integral_constantIbLb0EES1M_EEDaS1H_S1I_EUlS1H_E_NS1_11comp_targetILNS1_3genE8ELNS1_11target_archE1030ELNS1_3gpuE2ELNS1_3repE0EEENS1_30default_config_static_selectorELNS0_4arch9wavefront6targetE0EEEvSV_.uses_vcc, 0
	.set _ZN7rocprim17ROCPRIM_400000_NS6detail17trampoline_kernelINS0_13select_configILj256ELj13ELNS0_17block_load_methodE3ELS4_3ELS4_3ELNS0_20block_scan_algorithmE0ELj4294967295EEENS1_25partition_config_selectorILNS1_17partition_subalgoE3EjNS0_10empty_typeEbEEZZNS1_14partition_implILS8_3ELb0ES6_jNS0_17counting_iteratorIjlEEPS9_SE_NS0_5tupleIJPjSE_EEENSF_IJSE_SE_EEES9_SG_JZNS1_25segmented_radix_sort_implINS0_14default_configELb1EPKlPlSM_SN_N2at6native12_GLOBAL__N_18offset_tEEE10hipError_tPvRmT1_PNSt15iterator_traitsISV_E10value_typeET2_T3_PNSW_IS11_E10value_typeET4_jRbjT5_S17_jjP12ihipStream_tbEUljE_EEESS_ST_SU_S11_S15_S17_T6_T7_T9_mT8_S19_bDpT10_ENKUlT_T0_E_clISt17integral_constantIbLb0EES1M_EEDaS1H_S1I_EUlS1H_E_NS1_11comp_targetILNS1_3genE8ELNS1_11target_archE1030ELNS1_3gpuE2ELNS1_3repE0EEENS1_30default_config_static_selectorELNS0_4arch9wavefront6targetE0EEEvSV_.uses_flat_scratch, 0
	.set _ZN7rocprim17ROCPRIM_400000_NS6detail17trampoline_kernelINS0_13select_configILj256ELj13ELNS0_17block_load_methodE3ELS4_3ELS4_3ELNS0_20block_scan_algorithmE0ELj4294967295EEENS1_25partition_config_selectorILNS1_17partition_subalgoE3EjNS0_10empty_typeEbEEZZNS1_14partition_implILS8_3ELb0ES6_jNS0_17counting_iteratorIjlEEPS9_SE_NS0_5tupleIJPjSE_EEENSF_IJSE_SE_EEES9_SG_JZNS1_25segmented_radix_sort_implINS0_14default_configELb1EPKlPlSM_SN_N2at6native12_GLOBAL__N_18offset_tEEE10hipError_tPvRmT1_PNSt15iterator_traitsISV_E10value_typeET2_T3_PNSW_IS11_E10value_typeET4_jRbjT5_S17_jjP12ihipStream_tbEUljE_EEESS_ST_SU_S11_S15_S17_T6_T7_T9_mT8_S19_bDpT10_ENKUlT_T0_E_clISt17integral_constantIbLb0EES1M_EEDaS1H_S1I_EUlS1H_E_NS1_11comp_targetILNS1_3genE8ELNS1_11target_archE1030ELNS1_3gpuE2ELNS1_3repE0EEENS1_30default_config_static_selectorELNS0_4arch9wavefront6targetE0EEEvSV_.has_dyn_sized_stack, 0
	.set _ZN7rocprim17ROCPRIM_400000_NS6detail17trampoline_kernelINS0_13select_configILj256ELj13ELNS0_17block_load_methodE3ELS4_3ELS4_3ELNS0_20block_scan_algorithmE0ELj4294967295EEENS1_25partition_config_selectorILNS1_17partition_subalgoE3EjNS0_10empty_typeEbEEZZNS1_14partition_implILS8_3ELb0ES6_jNS0_17counting_iteratorIjlEEPS9_SE_NS0_5tupleIJPjSE_EEENSF_IJSE_SE_EEES9_SG_JZNS1_25segmented_radix_sort_implINS0_14default_configELb1EPKlPlSM_SN_N2at6native12_GLOBAL__N_18offset_tEEE10hipError_tPvRmT1_PNSt15iterator_traitsISV_E10value_typeET2_T3_PNSW_IS11_E10value_typeET4_jRbjT5_S17_jjP12ihipStream_tbEUljE_EEESS_ST_SU_S11_S15_S17_T6_T7_T9_mT8_S19_bDpT10_ENKUlT_T0_E_clISt17integral_constantIbLb0EES1M_EEDaS1H_S1I_EUlS1H_E_NS1_11comp_targetILNS1_3genE8ELNS1_11target_archE1030ELNS1_3gpuE2ELNS1_3repE0EEENS1_30default_config_static_selectorELNS0_4arch9wavefront6targetE0EEEvSV_.has_recursion, 0
	.set _ZN7rocprim17ROCPRIM_400000_NS6detail17trampoline_kernelINS0_13select_configILj256ELj13ELNS0_17block_load_methodE3ELS4_3ELS4_3ELNS0_20block_scan_algorithmE0ELj4294967295EEENS1_25partition_config_selectorILNS1_17partition_subalgoE3EjNS0_10empty_typeEbEEZZNS1_14partition_implILS8_3ELb0ES6_jNS0_17counting_iteratorIjlEEPS9_SE_NS0_5tupleIJPjSE_EEENSF_IJSE_SE_EEES9_SG_JZNS1_25segmented_radix_sort_implINS0_14default_configELb1EPKlPlSM_SN_N2at6native12_GLOBAL__N_18offset_tEEE10hipError_tPvRmT1_PNSt15iterator_traitsISV_E10value_typeET2_T3_PNSW_IS11_E10value_typeET4_jRbjT5_S17_jjP12ihipStream_tbEUljE_EEESS_ST_SU_S11_S15_S17_T6_T7_T9_mT8_S19_bDpT10_ENKUlT_T0_E_clISt17integral_constantIbLb0EES1M_EEDaS1H_S1I_EUlS1H_E_NS1_11comp_targetILNS1_3genE8ELNS1_11target_archE1030ELNS1_3gpuE2ELNS1_3repE0EEENS1_30default_config_static_selectorELNS0_4arch9wavefront6targetE0EEEvSV_.has_indirect_call, 0
	.section	.AMDGPU.csdata,"",@progbits
; Kernel info:
; codeLenInByte = 0
; TotalNumSgprs: 0
; NumVgprs: 0
; ScratchSize: 0
; MemoryBound: 0
; FloatMode: 240
; IeeeMode: 1
; LDSByteSize: 0 bytes/workgroup (compile time only)
; SGPRBlocks: 0
; VGPRBlocks: 0
; NumSGPRsForWavesPerEU: 1
; NumVGPRsForWavesPerEU: 1
; NamedBarCnt: 0
; Occupancy: 16
; WaveLimiterHint : 0
; COMPUTE_PGM_RSRC2:SCRATCH_EN: 0
; COMPUTE_PGM_RSRC2:USER_SGPR: 2
; COMPUTE_PGM_RSRC2:TRAP_HANDLER: 0
; COMPUTE_PGM_RSRC2:TGID_X_EN: 1
; COMPUTE_PGM_RSRC2:TGID_Y_EN: 0
; COMPUTE_PGM_RSRC2:TGID_Z_EN: 0
; COMPUTE_PGM_RSRC2:TIDIG_COMP_CNT: 0
	.section	.text._ZN7rocprim17ROCPRIM_400000_NS6detail17trampoline_kernelINS0_13select_configILj256ELj13ELNS0_17block_load_methodE3ELS4_3ELS4_3ELNS0_20block_scan_algorithmE0ELj4294967295EEENS1_25partition_config_selectorILNS1_17partition_subalgoE3EjNS0_10empty_typeEbEEZZNS1_14partition_implILS8_3ELb0ES6_jNS0_17counting_iteratorIjlEEPS9_SE_NS0_5tupleIJPjSE_EEENSF_IJSE_SE_EEES9_SG_JZNS1_25segmented_radix_sort_implINS0_14default_configELb1EPKlPlSM_SN_N2at6native12_GLOBAL__N_18offset_tEEE10hipError_tPvRmT1_PNSt15iterator_traitsISV_E10value_typeET2_T3_PNSW_IS11_E10value_typeET4_jRbjT5_S17_jjP12ihipStream_tbEUljE_EEESS_ST_SU_S11_S15_S17_T6_T7_T9_mT8_S19_bDpT10_ENKUlT_T0_E_clISt17integral_constantIbLb1EES1M_EEDaS1H_S1I_EUlS1H_E_NS1_11comp_targetILNS1_3genE0ELNS1_11target_archE4294967295ELNS1_3gpuE0ELNS1_3repE0EEENS1_30default_config_static_selectorELNS0_4arch9wavefront6targetE0EEEvSV_,"axG",@progbits,_ZN7rocprim17ROCPRIM_400000_NS6detail17trampoline_kernelINS0_13select_configILj256ELj13ELNS0_17block_load_methodE3ELS4_3ELS4_3ELNS0_20block_scan_algorithmE0ELj4294967295EEENS1_25partition_config_selectorILNS1_17partition_subalgoE3EjNS0_10empty_typeEbEEZZNS1_14partition_implILS8_3ELb0ES6_jNS0_17counting_iteratorIjlEEPS9_SE_NS0_5tupleIJPjSE_EEENSF_IJSE_SE_EEES9_SG_JZNS1_25segmented_radix_sort_implINS0_14default_configELb1EPKlPlSM_SN_N2at6native12_GLOBAL__N_18offset_tEEE10hipError_tPvRmT1_PNSt15iterator_traitsISV_E10value_typeET2_T3_PNSW_IS11_E10value_typeET4_jRbjT5_S17_jjP12ihipStream_tbEUljE_EEESS_ST_SU_S11_S15_S17_T6_T7_T9_mT8_S19_bDpT10_ENKUlT_T0_E_clISt17integral_constantIbLb1EES1M_EEDaS1H_S1I_EUlS1H_E_NS1_11comp_targetILNS1_3genE0ELNS1_11target_archE4294967295ELNS1_3gpuE0ELNS1_3repE0EEENS1_30default_config_static_selectorELNS0_4arch9wavefront6targetE0EEEvSV_,comdat
	.globl	_ZN7rocprim17ROCPRIM_400000_NS6detail17trampoline_kernelINS0_13select_configILj256ELj13ELNS0_17block_load_methodE3ELS4_3ELS4_3ELNS0_20block_scan_algorithmE0ELj4294967295EEENS1_25partition_config_selectorILNS1_17partition_subalgoE3EjNS0_10empty_typeEbEEZZNS1_14partition_implILS8_3ELb0ES6_jNS0_17counting_iteratorIjlEEPS9_SE_NS0_5tupleIJPjSE_EEENSF_IJSE_SE_EEES9_SG_JZNS1_25segmented_radix_sort_implINS0_14default_configELb1EPKlPlSM_SN_N2at6native12_GLOBAL__N_18offset_tEEE10hipError_tPvRmT1_PNSt15iterator_traitsISV_E10value_typeET2_T3_PNSW_IS11_E10value_typeET4_jRbjT5_S17_jjP12ihipStream_tbEUljE_EEESS_ST_SU_S11_S15_S17_T6_T7_T9_mT8_S19_bDpT10_ENKUlT_T0_E_clISt17integral_constantIbLb1EES1M_EEDaS1H_S1I_EUlS1H_E_NS1_11comp_targetILNS1_3genE0ELNS1_11target_archE4294967295ELNS1_3gpuE0ELNS1_3repE0EEENS1_30default_config_static_selectorELNS0_4arch9wavefront6targetE0EEEvSV_ ; -- Begin function _ZN7rocprim17ROCPRIM_400000_NS6detail17trampoline_kernelINS0_13select_configILj256ELj13ELNS0_17block_load_methodE3ELS4_3ELS4_3ELNS0_20block_scan_algorithmE0ELj4294967295EEENS1_25partition_config_selectorILNS1_17partition_subalgoE3EjNS0_10empty_typeEbEEZZNS1_14partition_implILS8_3ELb0ES6_jNS0_17counting_iteratorIjlEEPS9_SE_NS0_5tupleIJPjSE_EEENSF_IJSE_SE_EEES9_SG_JZNS1_25segmented_radix_sort_implINS0_14default_configELb1EPKlPlSM_SN_N2at6native12_GLOBAL__N_18offset_tEEE10hipError_tPvRmT1_PNSt15iterator_traitsISV_E10value_typeET2_T3_PNSW_IS11_E10value_typeET4_jRbjT5_S17_jjP12ihipStream_tbEUljE_EEESS_ST_SU_S11_S15_S17_T6_T7_T9_mT8_S19_bDpT10_ENKUlT_T0_E_clISt17integral_constantIbLb1EES1M_EEDaS1H_S1I_EUlS1H_E_NS1_11comp_targetILNS1_3genE0ELNS1_11target_archE4294967295ELNS1_3gpuE0ELNS1_3repE0EEENS1_30default_config_static_selectorELNS0_4arch9wavefront6targetE0EEEvSV_
	.p2align	8
	.type	_ZN7rocprim17ROCPRIM_400000_NS6detail17trampoline_kernelINS0_13select_configILj256ELj13ELNS0_17block_load_methodE3ELS4_3ELS4_3ELNS0_20block_scan_algorithmE0ELj4294967295EEENS1_25partition_config_selectorILNS1_17partition_subalgoE3EjNS0_10empty_typeEbEEZZNS1_14partition_implILS8_3ELb0ES6_jNS0_17counting_iteratorIjlEEPS9_SE_NS0_5tupleIJPjSE_EEENSF_IJSE_SE_EEES9_SG_JZNS1_25segmented_radix_sort_implINS0_14default_configELb1EPKlPlSM_SN_N2at6native12_GLOBAL__N_18offset_tEEE10hipError_tPvRmT1_PNSt15iterator_traitsISV_E10value_typeET2_T3_PNSW_IS11_E10value_typeET4_jRbjT5_S17_jjP12ihipStream_tbEUljE_EEESS_ST_SU_S11_S15_S17_T6_T7_T9_mT8_S19_bDpT10_ENKUlT_T0_E_clISt17integral_constantIbLb1EES1M_EEDaS1H_S1I_EUlS1H_E_NS1_11comp_targetILNS1_3genE0ELNS1_11target_archE4294967295ELNS1_3gpuE0ELNS1_3repE0EEENS1_30default_config_static_selectorELNS0_4arch9wavefront6targetE0EEEvSV_,@function
_ZN7rocprim17ROCPRIM_400000_NS6detail17trampoline_kernelINS0_13select_configILj256ELj13ELNS0_17block_load_methodE3ELS4_3ELS4_3ELNS0_20block_scan_algorithmE0ELj4294967295EEENS1_25partition_config_selectorILNS1_17partition_subalgoE3EjNS0_10empty_typeEbEEZZNS1_14partition_implILS8_3ELb0ES6_jNS0_17counting_iteratorIjlEEPS9_SE_NS0_5tupleIJPjSE_EEENSF_IJSE_SE_EEES9_SG_JZNS1_25segmented_radix_sort_implINS0_14default_configELb1EPKlPlSM_SN_N2at6native12_GLOBAL__N_18offset_tEEE10hipError_tPvRmT1_PNSt15iterator_traitsISV_E10value_typeET2_T3_PNSW_IS11_E10value_typeET4_jRbjT5_S17_jjP12ihipStream_tbEUljE_EEESS_ST_SU_S11_S15_S17_T6_T7_T9_mT8_S19_bDpT10_ENKUlT_T0_E_clISt17integral_constantIbLb1EES1M_EEDaS1H_S1I_EUlS1H_E_NS1_11comp_targetILNS1_3genE0ELNS1_11target_archE4294967295ELNS1_3gpuE0ELNS1_3repE0EEENS1_30default_config_static_selectorELNS0_4arch9wavefront6targetE0EEEvSV_: ; @_ZN7rocprim17ROCPRIM_400000_NS6detail17trampoline_kernelINS0_13select_configILj256ELj13ELNS0_17block_load_methodE3ELS4_3ELS4_3ELNS0_20block_scan_algorithmE0ELj4294967295EEENS1_25partition_config_selectorILNS1_17partition_subalgoE3EjNS0_10empty_typeEbEEZZNS1_14partition_implILS8_3ELb0ES6_jNS0_17counting_iteratorIjlEEPS9_SE_NS0_5tupleIJPjSE_EEENSF_IJSE_SE_EEES9_SG_JZNS1_25segmented_radix_sort_implINS0_14default_configELb1EPKlPlSM_SN_N2at6native12_GLOBAL__N_18offset_tEEE10hipError_tPvRmT1_PNSt15iterator_traitsISV_E10value_typeET2_T3_PNSW_IS11_E10value_typeET4_jRbjT5_S17_jjP12ihipStream_tbEUljE_EEESS_ST_SU_S11_S15_S17_T6_T7_T9_mT8_S19_bDpT10_ENKUlT_T0_E_clISt17integral_constantIbLb1EES1M_EEDaS1H_S1I_EUlS1H_E_NS1_11comp_targetILNS1_3genE0ELNS1_11target_archE4294967295ELNS1_3gpuE0ELNS1_3repE0EEENS1_30default_config_static_selectorELNS0_4arch9wavefront6targetE0EEEvSV_
; %bb.0:
	s_endpgm
	.section	.rodata,"a",@progbits
	.p2align	6, 0x0
	.amdhsa_kernel _ZN7rocprim17ROCPRIM_400000_NS6detail17trampoline_kernelINS0_13select_configILj256ELj13ELNS0_17block_load_methodE3ELS4_3ELS4_3ELNS0_20block_scan_algorithmE0ELj4294967295EEENS1_25partition_config_selectorILNS1_17partition_subalgoE3EjNS0_10empty_typeEbEEZZNS1_14partition_implILS8_3ELb0ES6_jNS0_17counting_iteratorIjlEEPS9_SE_NS0_5tupleIJPjSE_EEENSF_IJSE_SE_EEES9_SG_JZNS1_25segmented_radix_sort_implINS0_14default_configELb1EPKlPlSM_SN_N2at6native12_GLOBAL__N_18offset_tEEE10hipError_tPvRmT1_PNSt15iterator_traitsISV_E10value_typeET2_T3_PNSW_IS11_E10value_typeET4_jRbjT5_S17_jjP12ihipStream_tbEUljE_EEESS_ST_SU_S11_S15_S17_T6_T7_T9_mT8_S19_bDpT10_ENKUlT_T0_E_clISt17integral_constantIbLb1EES1M_EEDaS1H_S1I_EUlS1H_E_NS1_11comp_targetILNS1_3genE0ELNS1_11target_archE4294967295ELNS1_3gpuE0ELNS1_3repE0EEENS1_30default_config_static_selectorELNS0_4arch9wavefront6targetE0EEEvSV_
		.amdhsa_group_segment_fixed_size 0
		.amdhsa_private_segment_fixed_size 0
		.amdhsa_kernarg_size 152
		.amdhsa_user_sgpr_count 2
		.amdhsa_user_sgpr_dispatch_ptr 0
		.amdhsa_user_sgpr_queue_ptr 0
		.amdhsa_user_sgpr_kernarg_segment_ptr 1
		.amdhsa_user_sgpr_dispatch_id 0
		.amdhsa_user_sgpr_kernarg_preload_length 0
		.amdhsa_user_sgpr_kernarg_preload_offset 0
		.amdhsa_user_sgpr_private_segment_size 0
		.amdhsa_wavefront_size32 1
		.amdhsa_uses_dynamic_stack 0
		.amdhsa_enable_private_segment 0
		.amdhsa_system_sgpr_workgroup_id_x 1
		.amdhsa_system_sgpr_workgroup_id_y 0
		.amdhsa_system_sgpr_workgroup_id_z 0
		.amdhsa_system_sgpr_workgroup_info 0
		.amdhsa_system_vgpr_workitem_id 0
		.amdhsa_next_free_vgpr 1
		.amdhsa_next_free_sgpr 1
		.amdhsa_named_barrier_count 0
		.amdhsa_reserve_vcc 0
		.amdhsa_float_round_mode_32 0
		.amdhsa_float_round_mode_16_64 0
		.amdhsa_float_denorm_mode_32 3
		.amdhsa_float_denorm_mode_16_64 3
		.amdhsa_fp16_overflow 0
		.amdhsa_memory_ordered 1
		.amdhsa_forward_progress 1
		.amdhsa_inst_pref_size 1
		.amdhsa_round_robin_scheduling 0
		.amdhsa_exception_fp_ieee_invalid_op 0
		.amdhsa_exception_fp_denorm_src 0
		.amdhsa_exception_fp_ieee_div_zero 0
		.amdhsa_exception_fp_ieee_overflow 0
		.amdhsa_exception_fp_ieee_underflow 0
		.amdhsa_exception_fp_ieee_inexact 0
		.amdhsa_exception_int_div_zero 0
	.end_amdhsa_kernel
	.section	.text._ZN7rocprim17ROCPRIM_400000_NS6detail17trampoline_kernelINS0_13select_configILj256ELj13ELNS0_17block_load_methodE3ELS4_3ELS4_3ELNS0_20block_scan_algorithmE0ELj4294967295EEENS1_25partition_config_selectorILNS1_17partition_subalgoE3EjNS0_10empty_typeEbEEZZNS1_14partition_implILS8_3ELb0ES6_jNS0_17counting_iteratorIjlEEPS9_SE_NS0_5tupleIJPjSE_EEENSF_IJSE_SE_EEES9_SG_JZNS1_25segmented_radix_sort_implINS0_14default_configELb1EPKlPlSM_SN_N2at6native12_GLOBAL__N_18offset_tEEE10hipError_tPvRmT1_PNSt15iterator_traitsISV_E10value_typeET2_T3_PNSW_IS11_E10value_typeET4_jRbjT5_S17_jjP12ihipStream_tbEUljE_EEESS_ST_SU_S11_S15_S17_T6_T7_T9_mT8_S19_bDpT10_ENKUlT_T0_E_clISt17integral_constantIbLb1EES1M_EEDaS1H_S1I_EUlS1H_E_NS1_11comp_targetILNS1_3genE0ELNS1_11target_archE4294967295ELNS1_3gpuE0ELNS1_3repE0EEENS1_30default_config_static_selectorELNS0_4arch9wavefront6targetE0EEEvSV_,"axG",@progbits,_ZN7rocprim17ROCPRIM_400000_NS6detail17trampoline_kernelINS0_13select_configILj256ELj13ELNS0_17block_load_methodE3ELS4_3ELS4_3ELNS0_20block_scan_algorithmE0ELj4294967295EEENS1_25partition_config_selectorILNS1_17partition_subalgoE3EjNS0_10empty_typeEbEEZZNS1_14partition_implILS8_3ELb0ES6_jNS0_17counting_iteratorIjlEEPS9_SE_NS0_5tupleIJPjSE_EEENSF_IJSE_SE_EEES9_SG_JZNS1_25segmented_radix_sort_implINS0_14default_configELb1EPKlPlSM_SN_N2at6native12_GLOBAL__N_18offset_tEEE10hipError_tPvRmT1_PNSt15iterator_traitsISV_E10value_typeET2_T3_PNSW_IS11_E10value_typeET4_jRbjT5_S17_jjP12ihipStream_tbEUljE_EEESS_ST_SU_S11_S15_S17_T6_T7_T9_mT8_S19_bDpT10_ENKUlT_T0_E_clISt17integral_constantIbLb1EES1M_EEDaS1H_S1I_EUlS1H_E_NS1_11comp_targetILNS1_3genE0ELNS1_11target_archE4294967295ELNS1_3gpuE0ELNS1_3repE0EEENS1_30default_config_static_selectorELNS0_4arch9wavefront6targetE0EEEvSV_,comdat
.Lfunc_end676:
	.size	_ZN7rocprim17ROCPRIM_400000_NS6detail17trampoline_kernelINS0_13select_configILj256ELj13ELNS0_17block_load_methodE3ELS4_3ELS4_3ELNS0_20block_scan_algorithmE0ELj4294967295EEENS1_25partition_config_selectorILNS1_17partition_subalgoE3EjNS0_10empty_typeEbEEZZNS1_14partition_implILS8_3ELb0ES6_jNS0_17counting_iteratorIjlEEPS9_SE_NS0_5tupleIJPjSE_EEENSF_IJSE_SE_EEES9_SG_JZNS1_25segmented_radix_sort_implINS0_14default_configELb1EPKlPlSM_SN_N2at6native12_GLOBAL__N_18offset_tEEE10hipError_tPvRmT1_PNSt15iterator_traitsISV_E10value_typeET2_T3_PNSW_IS11_E10value_typeET4_jRbjT5_S17_jjP12ihipStream_tbEUljE_EEESS_ST_SU_S11_S15_S17_T6_T7_T9_mT8_S19_bDpT10_ENKUlT_T0_E_clISt17integral_constantIbLb1EES1M_EEDaS1H_S1I_EUlS1H_E_NS1_11comp_targetILNS1_3genE0ELNS1_11target_archE4294967295ELNS1_3gpuE0ELNS1_3repE0EEENS1_30default_config_static_selectorELNS0_4arch9wavefront6targetE0EEEvSV_, .Lfunc_end676-_ZN7rocprim17ROCPRIM_400000_NS6detail17trampoline_kernelINS0_13select_configILj256ELj13ELNS0_17block_load_methodE3ELS4_3ELS4_3ELNS0_20block_scan_algorithmE0ELj4294967295EEENS1_25partition_config_selectorILNS1_17partition_subalgoE3EjNS0_10empty_typeEbEEZZNS1_14partition_implILS8_3ELb0ES6_jNS0_17counting_iteratorIjlEEPS9_SE_NS0_5tupleIJPjSE_EEENSF_IJSE_SE_EEES9_SG_JZNS1_25segmented_radix_sort_implINS0_14default_configELb1EPKlPlSM_SN_N2at6native12_GLOBAL__N_18offset_tEEE10hipError_tPvRmT1_PNSt15iterator_traitsISV_E10value_typeET2_T3_PNSW_IS11_E10value_typeET4_jRbjT5_S17_jjP12ihipStream_tbEUljE_EEESS_ST_SU_S11_S15_S17_T6_T7_T9_mT8_S19_bDpT10_ENKUlT_T0_E_clISt17integral_constantIbLb1EES1M_EEDaS1H_S1I_EUlS1H_E_NS1_11comp_targetILNS1_3genE0ELNS1_11target_archE4294967295ELNS1_3gpuE0ELNS1_3repE0EEENS1_30default_config_static_selectorELNS0_4arch9wavefront6targetE0EEEvSV_
                                        ; -- End function
	.set _ZN7rocprim17ROCPRIM_400000_NS6detail17trampoline_kernelINS0_13select_configILj256ELj13ELNS0_17block_load_methodE3ELS4_3ELS4_3ELNS0_20block_scan_algorithmE0ELj4294967295EEENS1_25partition_config_selectorILNS1_17partition_subalgoE3EjNS0_10empty_typeEbEEZZNS1_14partition_implILS8_3ELb0ES6_jNS0_17counting_iteratorIjlEEPS9_SE_NS0_5tupleIJPjSE_EEENSF_IJSE_SE_EEES9_SG_JZNS1_25segmented_radix_sort_implINS0_14default_configELb1EPKlPlSM_SN_N2at6native12_GLOBAL__N_18offset_tEEE10hipError_tPvRmT1_PNSt15iterator_traitsISV_E10value_typeET2_T3_PNSW_IS11_E10value_typeET4_jRbjT5_S17_jjP12ihipStream_tbEUljE_EEESS_ST_SU_S11_S15_S17_T6_T7_T9_mT8_S19_bDpT10_ENKUlT_T0_E_clISt17integral_constantIbLb1EES1M_EEDaS1H_S1I_EUlS1H_E_NS1_11comp_targetILNS1_3genE0ELNS1_11target_archE4294967295ELNS1_3gpuE0ELNS1_3repE0EEENS1_30default_config_static_selectorELNS0_4arch9wavefront6targetE0EEEvSV_.num_vgpr, 0
	.set _ZN7rocprim17ROCPRIM_400000_NS6detail17trampoline_kernelINS0_13select_configILj256ELj13ELNS0_17block_load_methodE3ELS4_3ELS4_3ELNS0_20block_scan_algorithmE0ELj4294967295EEENS1_25partition_config_selectorILNS1_17partition_subalgoE3EjNS0_10empty_typeEbEEZZNS1_14partition_implILS8_3ELb0ES6_jNS0_17counting_iteratorIjlEEPS9_SE_NS0_5tupleIJPjSE_EEENSF_IJSE_SE_EEES9_SG_JZNS1_25segmented_radix_sort_implINS0_14default_configELb1EPKlPlSM_SN_N2at6native12_GLOBAL__N_18offset_tEEE10hipError_tPvRmT1_PNSt15iterator_traitsISV_E10value_typeET2_T3_PNSW_IS11_E10value_typeET4_jRbjT5_S17_jjP12ihipStream_tbEUljE_EEESS_ST_SU_S11_S15_S17_T6_T7_T9_mT8_S19_bDpT10_ENKUlT_T0_E_clISt17integral_constantIbLb1EES1M_EEDaS1H_S1I_EUlS1H_E_NS1_11comp_targetILNS1_3genE0ELNS1_11target_archE4294967295ELNS1_3gpuE0ELNS1_3repE0EEENS1_30default_config_static_selectorELNS0_4arch9wavefront6targetE0EEEvSV_.num_agpr, 0
	.set _ZN7rocprim17ROCPRIM_400000_NS6detail17trampoline_kernelINS0_13select_configILj256ELj13ELNS0_17block_load_methodE3ELS4_3ELS4_3ELNS0_20block_scan_algorithmE0ELj4294967295EEENS1_25partition_config_selectorILNS1_17partition_subalgoE3EjNS0_10empty_typeEbEEZZNS1_14partition_implILS8_3ELb0ES6_jNS0_17counting_iteratorIjlEEPS9_SE_NS0_5tupleIJPjSE_EEENSF_IJSE_SE_EEES9_SG_JZNS1_25segmented_radix_sort_implINS0_14default_configELb1EPKlPlSM_SN_N2at6native12_GLOBAL__N_18offset_tEEE10hipError_tPvRmT1_PNSt15iterator_traitsISV_E10value_typeET2_T3_PNSW_IS11_E10value_typeET4_jRbjT5_S17_jjP12ihipStream_tbEUljE_EEESS_ST_SU_S11_S15_S17_T6_T7_T9_mT8_S19_bDpT10_ENKUlT_T0_E_clISt17integral_constantIbLb1EES1M_EEDaS1H_S1I_EUlS1H_E_NS1_11comp_targetILNS1_3genE0ELNS1_11target_archE4294967295ELNS1_3gpuE0ELNS1_3repE0EEENS1_30default_config_static_selectorELNS0_4arch9wavefront6targetE0EEEvSV_.numbered_sgpr, 0
	.set _ZN7rocprim17ROCPRIM_400000_NS6detail17trampoline_kernelINS0_13select_configILj256ELj13ELNS0_17block_load_methodE3ELS4_3ELS4_3ELNS0_20block_scan_algorithmE0ELj4294967295EEENS1_25partition_config_selectorILNS1_17partition_subalgoE3EjNS0_10empty_typeEbEEZZNS1_14partition_implILS8_3ELb0ES6_jNS0_17counting_iteratorIjlEEPS9_SE_NS0_5tupleIJPjSE_EEENSF_IJSE_SE_EEES9_SG_JZNS1_25segmented_radix_sort_implINS0_14default_configELb1EPKlPlSM_SN_N2at6native12_GLOBAL__N_18offset_tEEE10hipError_tPvRmT1_PNSt15iterator_traitsISV_E10value_typeET2_T3_PNSW_IS11_E10value_typeET4_jRbjT5_S17_jjP12ihipStream_tbEUljE_EEESS_ST_SU_S11_S15_S17_T6_T7_T9_mT8_S19_bDpT10_ENKUlT_T0_E_clISt17integral_constantIbLb1EES1M_EEDaS1H_S1I_EUlS1H_E_NS1_11comp_targetILNS1_3genE0ELNS1_11target_archE4294967295ELNS1_3gpuE0ELNS1_3repE0EEENS1_30default_config_static_selectorELNS0_4arch9wavefront6targetE0EEEvSV_.num_named_barrier, 0
	.set _ZN7rocprim17ROCPRIM_400000_NS6detail17trampoline_kernelINS0_13select_configILj256ELj13ELNS0_17block_load_methodE3ELS4_3ELS4_3ELNS0_20block_scan_algorithmE0ELj4294967295EEENS1_25partition_config_selectorILNS1_17partition_subalgoE3EjNS0_10empty_typeEbEEZZNS1_14partition_implILS8_3ELb0ES6_jNS0_17counting_iteratorIjlEEPS9_SE_NS0_5tupleIJPjSE_EEENSF_IJSE_SE_EEES9_SG_JZNS1_25segmented_radix_sort_implINS0_14default_configELb1EPKlPlSM_SN_N2at6native12_GLOBAL__N_18offset_tEEE10hipError_tPvRmT1_PNSt15iterator_traitsISV_E10value_typeET2_T3_PNSW_IS11_E10value_typeET4_jRbjT5_S17_jjP12ihipStream_tbEUljE_EEESS_ST_SU_S11_S15_S17_T6_T7_T9_mT8_S19_bDpT10_ENKUlT_T0_E_clISt17integral_constantIbLb1EES1M_EEDaS1H_S1I_EUlS1H_E_NS1_11comp_targetILNS1_3genE0ELNS1_11target_archE4294967295ELNS1_3gpuE0ELNS1_3repE0EEENS1_30default_config_static_selectorELNS0_4arch9wavefront6targetE0EEEvSV_.private_seg_size, 0
	.set _ZN7rocprim17ROCPRIM_400000_NS6detail17trampoline_kernelINS0_13select_configILj256ELj13ELNS0_17block_load_methodE3ELS4_3ELS4_3ELNS0_20block_scan_algorithmE0ELj4294967295EEENS1_25partition_config_selectorILNS1_17partition_subalgoE3EjNS0_10empty_typeEbEEZZNS1_14partition_implILS8_3ELb0ES6_jNS0_17counting_iteratorIjlEEPS9_SE_NS0_5tupleIJPjSE_EEENSF_IJSE_SE_EEES9_SG_JZNS1_25segmented_radix_sort_implINS0_14default_configELb1EPKlPlSM_SN_N2at6native12_GLOBAL__N_18offset_tEEE10hipError_tPvRmT1_PNSt15iterator_traitsISV_E10value_typeET2_T3_PNSW_IS11_E10value_typeET4_jRbjT5_S17_jjP12ihipStream_tbEUljE_EEESS_ST_SU_S11_S15_S17_T6_T7_T9_mT8_S19_bDpT10_ENKUlT_T0_E_clISt17integral_constantIbLb1EES1M_EEDaS1H_S1I_EUlS1H_E_NS1_11comp_targetILNS1_3genE0ELNS1_11target_archE4294967295ELNS1_3gpuE0ELNS1_3repE0EEENS1_30default_config_static_selectorELNS0_4arch9wavefront6targetE0EEEvSV_.uses_vcc, 0
	.set _ZN7rocprim17ROCPRIM_400000_NS6detail17trampoline_kernelINS0_13select_configILj256ELj13ELNS0_17block_load_methodE3ELS4_3ELS4_3ELNS0_20block_scan_algorithmE0ELj4294967295EEENS1_25partition_config_selectorILNS1_17partition_subalgoE3EjNS0_10empty_typeEbEEZZNS1_14partition_implILS8_3ELb0ES6_jNS0_17counting_iteratorIjlEEPS9_SE_NS0_5tupleIJPjSE_EEENSF_IJSE_SE_EEES9_SG_JZNS1_25segmented_radix_sort_implINS0_14default_configELb1EPKlPlSM_SN_N2at6native12_GLOBAL__N_18offset_tEEE10hipError_tPvRmT1_PNSt15iterator_traitsISV_E10value_typeET2_T3_PNSW_IS11_E10value_typeET4_jRbjT5_S17_jjP12ihipStream_tbEUljE_EEESS_ST_SU_S11_S15_S17_T6_T7_T9_mT8_S19_bDpT10_ENKUlT_T0_E_clISt17integral_constantIbLb1EES1M_EEDaS1H_S1I_EUlS1H_E_NS1_11comp_targetILNS1_3genE0ELNS1_11target_archE4294967295ELNS1_3gpuE0ELNS1_3repE0EEENS1_30default_config_static_selectorELNS0_4arch9wavefront6targetE0EEEvSV_.uses_flat_scratch, 0
	.set _ZN7rocprim17ROCPRIM_400000_NS6detail17trampoline_kernelINS0_13select_configILj256ELj13ELNS0_17block_load_methodE3ELS4_3ELS4_3ELNS0_20block_scan_algorithmE0ELj4294967295EEENS1_25partition_config_selectorILNS1_17partition_subalgoE3EjNS0_10empty_typeEbEEZZNS1_14partition_implILS8_3ELb0ES6_jNS0_17counting_iteratorIjlEEPS9_SE_NS0_5tupleIJPjSE_EEENSF_IJSE_SE_EEES9_SG_JZNS1_25segmented_radix_sort_implINS0_14default_configELb1EPKlPlSM_SN_N2at6native12_GLOBAL__N_18offset_tEEE10hipError_tPvRmT1_PNSt15iterator_traitsISV_E10value_typeET2_T3_PNSW_IS11_E10value_typeET4_jRbjT5_S17_jjP12ihipStream_tbEUljE_EEESS_ST_SU_S11_S15_S17_T6_T7_T9_mT8_S19_bDpT10_ENKUlT_T0_E_clISt17integral_constantIbLb1EES1M_EEDaS1H_S1I_EUlS1H_E_NS1_11comp_targetILNS1_3genE0ELNS1_11target_archE4294967295ELNS1_3gpuE0ELNS1_3repE0EEENS1_30default_config_static_selectorELNS0_4arch9wavefront6targetE0EEEvSV_.has_dyn_sized_stack, 0
	.set _ZN7rocprim17ROCPRIM_400000_NS6detail17trampoline_kernelINS0_13select_configILj256ELj13ELNS0_17block_load_methodE3ELS4_3ELS4_3ELNS0_20block_scan_algorithmE0ELj4294967295EEENS1_25partition_config_selectorILNS1_17partition_subalgoE3EjNS0_10empty_typeEbEEZZNS1_14partition_implILS8_3ELb0ES6_jNS0_17counting_iteratorIjlEEPS9_SE_NS0_5tupleIJPjSE_EEENSF_IJSE_SE_EEES9_SG_JZNS1_25segmented_radix_sort_implINS0_14default_configELb1EPKlPlSM_SN_N2at6native12_GLOBAL__N_18offset_tEEE10hipError_tPvRmT1_PNSt15iterator_traitsISV_E10value_typeET2_T3_PNSW_IS11_E10value_typeET4_jRbjT5_S17_jjP12ihipStream_tbEUljE_EEESS_ST_SU_S11_S15_S17_T6_T7_T9_mT8_S19_bDpT10_ENKUlT_T0_E_clISt17integral_constantIbLb1EES1M_EEDaS1H_S1I_EUlS1H_E_NS1_11comp_targetILNS1_3genE0ELNS1_11target_archE4294967295ELNS1_3gpuE0ELNS1_3repE0EEENS1_30default_config_static_selectorELNS0_4arch9wavefront6targetE0EEEvSV_.has_recursion, 0
	.set _ZN7rocprim17ROCPRIM_400000_NS6detail17trampoline_kernelINS0_13select_configILj256ELj13ELNS0_17block_load_methodE3ELS4_3ELS4_3ELNS0_20block_scan_algorithmE0ELj4294967295EEENS1_25partition_config_selectorILNS1_17partition_subalgoE3EjNS0_10empty_typeEbEEZZNS1_14partition_implILS8_3ELb0ES6_jNS0_17counting_iteratorIjlEEPS9_SE_NS0_5tupleIJPjSE_EEENSF_IJSE_SE_EEES9_SG_JZNS1_25segmented_radix_sort_implINS0_14default_configELb1EPKlPlSM_SN_N2at6native12_GLOBAL__N_18offset_tEEE10hipError_tPvRmT1_PNSt15iterator_traitsISV_E10value_typeET2_T3_PNSW_IS11_E10value_typeET4_jRbjT5_S17_jjP12ihipStream_tbEUljE_EEESS_ST_SU_S11_S15_S17_T6_T7_T9_mT8_S19_bDpT10_ENKUlT_T0_E_clISt17integral_constantIbLb1EES1M_EEDaS1H_S1I_EUlS1H_E_NS1_11comp_targetILNS1_3genE0ELNS1_11target_archE4294967295ELNS1_3gpuE0ELNS1_3repE0EEENS1_30default_config_static_selectorELNS0_4arch9wavefront6targetE0EEEvSV_.has_indirect_call, 0
	.section	.AMDGPU.csdata,"",@progbits
; Kernel info:
; codeLenInByte = 4
; TotalNumSgprs: 0
; NumVgprs: 0
; ScratchSize: 0
; MemoryBound: 0
; FloatMode: 240
; IeeeMode: 1
; LDSByteSize: 0 bytes/workgroup (compile time only)
; SGPRBlocks: 0
; VGPRBlocks: 0
; NumSGPRsForWavesPerEU: 1
; NumVGPRsForWavesPerEU: 1
; NamedBarCnt: 0
; Occupancy: 16
; WaveLimiterHint : 0
; COMPUTE_PGM_RSRC2:SCRATCH_EN: 0
; COMPUTE_PGM_RSRC2:USER_SGPR: 2
; COMPUTE_PGM_RSRC2:TRAP_HANDLER: 0
; COMPUTE_PGM_RSRC2:TGID_X_EN: 1
; COMPUTE_PGM_RSRC2:TGID_Y_EN: 0
; COMPUTE_PGM_RSRC2:TGID_Z_EN: 0
; COMPUTE_PGM_RSRC2:TIDIG_COMP_CNT: 0
	.section	.text._ZN7rocprim17ROCPRIM_400000_NS6detail17trampoline_kernelINS0_13select_configILj256ELj13ELNS0_17block_load_methodE3ELS4_3ELS4_3ELNS0_20block_scan_algorithmE0ELj4294967295EEENS1_25partition_config_selectorILNS1_17partition_subalgoE3EjNS0_10empty_typeEbEEZZNS1_14partition_implILS8_3ELb0ES6_jNS0_17counting_iteratorIjlEEPS9_SE_NS0_5tupleIJPjSE_EEENSF_IJSE_SE_EEES9_SG_JZNS1_25segmented_radix_sort_implINS0_14default_configELb1EPKlPlSM_SN_N2at6native12_GLOBAL__N_18offset_tEEE10hipError_tPvRmT1_PNSt15iterator_traitsISV_E10value_typeET2_T3_PNSW_IS11_E10value_typeET4_jRbjT5_S17_jjP12ihipStream_tbEUljE_EEESS_ST_SU_S11_S15_S17_T6_T7_T9_mT8_S19_bDpT10_ENKUlT_T0_E_clISt17integral_constantIbLb1EES1M_EEDaS1H_S1I_EUlS1H_E_NS1_11comp_targetILNS1_3genE5ELNS1_11target_archE942ELNS1_3gpuE9ELNS1_3repE0EEENS1_30default_config_static_selectorELNS0_4arch9wavefront6targetE0EEEvSV_,"axG",@progbits,_ZN7rocprim17ROCPRIM_400000_NS6detail17trampoline_kernelINS0_13select_configILj256ELj13ELNS0_17block_load_methodE3ELS4_3ELS4_3ELNS0_20block_scan_algorithmE0ELj4294967295EEENS1_25partition_config_selectorILNS1_17partition_subalgoE3EjNS0_10empty_typeEbEEZZNS1_14partition_implILS8_3ELb0ES6_jNS0_17counting_iteratorIjlEEPS9_SE_NS0_5tupleIJPjSE_EEENSF_IJSE_SE_EEES9_SG_JZNS1_25segmented_radix_sort_implINS0_14default_configELb1EPKlPlSM_SN_N2at6native12_GLOBAL__N_18offset_tEEE10hipError_tPvRmT1_PNSt15iterator_traitsISV_E10value_typeET2_T3_PNSW_IS11_E10value_typeET4_jRbjT5_S17_jjP12ihipStream_tbEUljE_EEESS_ST_SU_S11_S15_S17_T6_T7_T9_mT8_S19_bDpT10_ENKUlT_T0_E_clISt17integral_constantIbLb1EES1M_EEDaS1H_S1I_EUlS1H_E_NS1_11comp_targetILNS1_3genE5ELNS1_11target_archE942ELNS1_3gpuE9ELNS1_3repE0EEENS1_30default_config_static_selectorELNS0_4arch9wavefront6targetE0EEEvSV_,comdat
	.globl	_ZN7rocprim17ROCPRIM_400000_NS6detail17trampoline_kernelINS0_13select_configILj256ELj13ELNS0_17block_load_methodE3ELS4_3ELS4_3ELNS0_20block_scan_algorithmE0ELj4294967295EEENS1_25partition_config_selectorILNS1_17partition_subalgoE3EjNS0_10empty_typeEbEEZZNS1_14partition_implILS8_3ELb0ES6_jNS0_17counting_iteratorIjlEEPS9_SE_NS0_5tupleIJPjSE_EEENSF_IJSE_SE_EEES9_SG_JZNS1_25segmented_radix_sort_implINS0_14default_configELb1EPKlPlSM_SN_N2at6native12_GLOBAL__N_18offset_tEEE10hipError_tPvRmT1_PNSt15iterator_traitsISV_E10value_typeET2_T3_PNSW_IS11_E10value_typeET4_jRbjT5_S17_jjP12ihipStream_tbEUljE_EEESS_ST_SU_S11_S15_S17_T6_T7_T9_mT8_S19_bDpT10_ENKUlT_T0_E_clISt17integral_constantIbLb1EES1M_EEDaS1H_S1I_EUlS1H_E_NS1_11comp_targetILNS1_3genE5ELNS1_11target_archE942ELNS1_3gpuE9ELNS1_3repE0EEENS1_30default_config_static_selectorELNS0_4arch9wavefront6targetE0EEEvSV_ ; -- Begin function _ZN7rocprim17ROCPRIM_400000_NS6detail17trampoline_kernelINS0_13select_configILj256ELj13ELNS0_17block_load_methodE3ELS4_3ELS4_3ELNS0_20block_scan_algorithmE0ELj4294967295EEENS1_25partition_config_selectorILNS1_17partition_subalgoE3EjNS0_10empty_typeEbEEZZNS1_14partition_implILS8_3ELb0ES6_jNS0_17counting_iteratorIjlEEPS9_SE_NS0_5tupleIJPjSE_EEENSF_IJSE_SE_EEES9_SG_JZNS1_25segmented_radix_sort_implINS0_14default_configELb1EPKlPlSM_SN_N2at6native12_GLOBAL__N_18offset_tEEE10hipError_tPvRmT1_PNSt15iterator_traitsISV_E10value_typeET2_T3_PNSW_IS11_E10value_typeET4_jRbjT5_S17_jjP12ihipStream_tbEUljE_EEESS_ST_SU_S11_S15_S17_T6_T7_T9_mT8_S19_bDpT10_ENKUlT_T0_E_clISt17integral_constantIbLb1EES1M_EEDaS1H_S1I_EUlS1H_E_NS1_11comp_targetILNS1_3genE5ELNS1_11target_archE942ELNS1_3gpuE9ELNS1_3repE0EEENS1_30default_config_static_selectorELNS0_4arch9wavefront6targetE0EEEvSV_
	.p2align	8
	.type	_ZN7rocprim17ROCPRIM_400000_NS6detail17trampoline_kernelINS0_13select_configILj256ELj13ELNS0_17block_load_methodE3ELS4_3ELS4_3ELNS0_20block_scan_algorithmE0ELj4294967295EEENS1_25partition_config_selectorILNS1_17partition_subalgoE3EjNS0_10empty_typeEbEEZZNS1_14partition_implILS8_3ELb0ES6_jNS0_17counting_iteratorIjlEEPS9_SE_NS0_5tupleIJPjSE_EEENSF_IJSE_SE_EEES9_SG_JZNS1_25segmented_radix_sort_implINS0_14default_configELb1EPKlPlSM_SN_N2at6native12_GLOBAL__N_18offset_tEEE10hipError_tPvRmT1_PNSt15iterator_traitsISV_E10value_typeET2_T3_PNSW_IS11_E10value_typeET4_jRbjT5_S17_jjP12ihipStream_tbEUljE_EEESS_ST_SU_S11_S15_S17_T6_T7_T9_mT8_S19_bDpT10_ENKUlT_T0_E_clISt17integral_constantIbLb1EES1M_EEDaS1H_S1I_EUlS1H_E_NS1_11comp_targetILNS1_3genE5ELNS1_11target_archE942ELNS1_3gpuE9ELNS1_3repE0EEENS1_30default_config_static_selectorELNS0_4arch9wavefront6targetE0EEEvSV_,@function
_ZN7rocprim17ROCPRIM_400000_NS6detail17trampoline_kernelINS0_13select_configILj256ELj13ELNS0_17block_load_methodE3ELS4_3ELS4_3ELNS0_20block_scan_algorithmE0ELj4294967295EEENS1_25partition_config_selectorILNS1_17partition_subalgoE3EjNS0_10empty_typeEbEEZZNS1_14partition_implILS8_3ELb0ES6_jNS0_17counting_iteratorIjlEEPS9_SE_NS0_5tupleIJPjSE_EEENSF_IJSE_SE_EEES9_SG_JZNS1_25segmented_radix_sort_implINS0_14default_configELb1EPKlPlSM_SN_N2at6native12_GLOBAL__N_18offset_tEEE10hipError_tPvRmT1_PNSt15iterator_traitsISV_E10value_typeET2_T3_PNSW_IS11_E10value_typeET4_jRbjT5_S17_jjP12ihipStream_tbEUljE_EEESS_ST_SU_S11_S15_S17_T6_T7_T9_mT8_S19_bDpT10_ENKUlT_T0_E_clISt17integral_constantIbLb1EES1M_EEDaS1H_S1I_EUlS1H_E_NS1_11comp_targetILNS1_3genE5ELNS1_11target_archE942ELNS1_3gpuE9ELNS1_3repE0EEENS1_30default_config_static_selectorELNS0_4arch9wavefront6targetE0EEEvSV_: ; @_ZN7rocprim17ROCPRIM_400000_NS6detail17trampoline_kernelINS0_13select_configILj256ELj13ELNS0_17block_load_methodE3ELS4_3ELS4_3ELNS0_20block_scan_algorithmE0ELj4294967295EEENS1_25partition_config_selectorILNS1_17partition_subalgoE3EjNS0_10empty_typeEbEEZZNS1_14partition_implILS8_3ELb0ES6_jNS0_17counting_iteratorIjlEEPS9_SE_NS0_5tupleIJPjSE_EEENSF_IJSE_SE_EEES9_SG_JZNS1_25segmented_radix_sort_implINS0_14default_configELb1EPKlPlSM_SN_N2at6native12_GLOBAL__N_18offset_tEEE10hipError_tPvRmT1_PNSt15iterator_traitsISV_E10value_typeET2_T3_PNSW_IS11_E10value_typeET4_jRbjT5_S17_jjP12ihipStream_tbEUljE_EEESS_ST_SU_S11_S15_S17_T6_T7_T9_mT8_S19_bDpT10_ENKUlT_T0_E_clISt17integral_constantIbLb1EES1M_EEDaS1H_S1I_EUlS1H_E_NS1_11comp_targetILNS1_3genE5ELNS1_11target_archE942ELNS1_3gpuE9ELNS1_3repE0EEENS1_30default_config_static_selectorELNS0_4arch9wavefront6targetE0EEEvSV_
; %bb.0:
	.section	.rodata,"a",@progbits
	.p2align	6, 0x0
	.amdhsa_kernel _ZN7rocprim17ROCPRIM_400000_NS6detail17trampoline_kernelINS0_13select_configILj256ELj13ELNS0_17block_load_methodE3ELS4_3ELS4_3ELNS0_20block_scan_algorithmE0ELj4294967295EEENS1_25partition_config_selectorILNS1_17partition_subalgoE3EjNS0_10empty_typeEbEEZZNS1_14partition_implILS8_3ELb0ES6_jNS0_17counting_iteratorIjlEEPS9_SE_NS0_5tupleIJPjSE_EEENSF_IJSE_SE_EEES9_SG_JZNS1_25segmented_radix_sort_implINS0_14default_configELb1EPKlPlSM_SN_N2at6native12_GLOBAL__N_18offset_tEEE10hipError_tPvRmT1_PNSt15iterator_traitsISV_E10value_typeET2_T3_PNSW_IS11_E10value_typeET4_jRbjT5_S17_jjP12ihipStream_tbEUljE_EEESS_ST_SU_S11_S15_S17_T6_T7_T9_mT8_S19_bDpT10_ENKUlT_T0_E_clISt17integral_constantIbLb1EES1M_EEDaS1H_S1I_EUlS1H_E_NS1_11comp_targetILNS1_3genE5ELNS1_11target_archE942ELNS1_3gpuE9ELNS1_3repE0EEENS1_30default_config_static_selectorELNS0_4arch9wavefront6targetE0EEEvSV_
		.amdhsa_group_segment_fixed_size 0
		.amdhsa_private_segment_fixed_size 0
		.amdhsa_kernarg_size 152
		.amdhsa_user_sgpr_count 2
		.amdhsa_user_sgpr_dispatch_ptr 0
		.amdhsa_user_sgpr_queue_ptr 0
		.amdhsa_user_sgpr_kernarg_segment_ptr 1
		.amdhsa_user_sgpr_dispatch_id 0
		.amdhsa_user_sgpr_kernarg_preload_length 0
		.amdhsa_user_sgpr_kernarg_preload_offset 0
		.amdhsa_user_sgpr_private_segment_size 0
		.amdhsa_wavefront_size32 1
		.amdhsa_uses_dynamic_stack 0
		.amdhsa_enable_private_segment 0
		.amdhsa_system_sgpr_workgroup_id_x 1
		.amdhsa_system_sgpr_workgroup_id_y 0
		.amdhsa_system_sgpr_workgroup_id_z 0
		.amdhsa_system_sgpr_workgroup_info 0
		.amdhsa_system_vgpr_workitem_id 0
		.amdhsa_next_free_vgpr 1
		.amdhsa_next_free_sgpr 1
		.amdhsa_named_barrier_count 0
		.amdhsa_reserve_vcc 0
		.amdhsa_float_round_mode_32 0
		.amdhsa_float_round_mode_16_64 0
		.amdhsa_float_denorm_mode_32 3
		.amdhsa_float_denorm_mode_16_64 3
		.amdhsa_fp16_overflow 0
		.amdhsa_memory_ordered 1
		.amdhsa_forward_progress 1
		.amdhsa_inst_pref_size 0
		.amdhsa_round_robin_scheduling 0
		.amdhsa_exception_fp_ieee_invalid_op 0
		.amdhsa_exception_fp_denorm_src 0
		.amdhsa_exception_fp_ieee_div_zero 0
		.amdhsa_exception_fp_ieee_overflow 0
		.amdhsa_exception_fp_ieee_underflow 0
		.amdhsa_exception_fp_ieee_inexact 0
		.amdhsa_exception_int_div_zero 0
	.end_amdhsa_kernel
	.section	.text._ZN7rocprim17ROCPRIM_400000_NS6detail17trampoline_kernelINS0_13select_configILj256ELj13ELNS0_17block_load_methodE3ELS4_3ELS4_3ELNS0_20block_scan_algorithmE0ELj4294967295EEENS1_25partition_config_selectorILNS1_17partition_subalgoE3EjNS0_10empty_typeEbEEZZNS1_14partition_implILS8_3ELb0ES6_jNS0_17counting_iteratorIjlEEPS9_SE_NS0_5tupleIJPjSE_EEENSF_IJSE_SE_EEES9_SG_JZNS1_25segmented_radix_sort_implINS0_14default_configELb1EPKlPlSM_SN_N2at6native12_GLOBAL__N_18offset_tEEE10hipError_tPvRmT1_PNSt15iterator_traitsISV_E10value_typeET2_T3_PNSW_IS11_E10value_typeET4_jRbjT5_S17_jjP12ihipStream_tbEUljE_EEESS_ST_SU_S11_S15_S17_T6_T7_T9_mT8_S19_bDpT10_ENKUlT_T0_E_clISt17integral_constantIbLb1EES1M_EEDaS1H_S1I_EUlS1H_E_NS1_11comp_targetILNS1_3genE5ELNS1_11target_archE942ELNS1_3gpuE9ELNS1_3repE0EEENS1_30default_config_static_selectorELNS0_4arch9wavefront6targetE0EEEvSV_,"axG",@progbits,_ZN7rocprim17ROCPRIM_400000_NS6detail17trampoline_kernelINS0_13select_configILj256ELj13ELNS0_17block_load_methodE3ELS4_3ELS4_3ELNS0_20block_scan_algorithmE0ELj4294967295EEENS1_25partition_config_selectorILNS1_17partition_subalgoE3EjNS0_10empty_typeEbEEZZNS1_14partition_implILS8_3ELb0ES6_jNS0_17counting_iteratorIjlEEPS9_SE_NS0_5tupleIJPjSE_EEENSF_IJSE_SE_EEES9_SG_JZNS1_25segmented_radix_sort_implINS0_14default_configELb1EPKlPlSM_SN_N2at6native12_GLOBAL__N_18offset_tEEE10hipError_tPvRmT1_PNSt15iterator_traitsISV_E10value_typeET2_T3_PNSW_IS11_E10value_typeET4_jRbjT5_S17_jjP12ihipStream_tbEUljE_EEESS_ST_SU_S11_S15_S17_T6_T7_T9_mT8_S19_bDpT10_ENKUlT_T0_E_clISt17integral_constantIbLb1EES1M_EEDaS1H_S1I_EUlS1H_E_NS1_11comp_targetILNS1_3genE5ELNS1_11target_archE942ELNS1_3gpuE9ELNS1_3repE0EEENS1_30default_config_static_selectorELNS0_4arch9wavefront6targetE0EEEvSV_,comdat
.Lfunc_end677:
	.size	_ZN7rocprim17ROCPRIM_400000_NS6detail17trampoline_kernelINS0_13select_configILj256ELj13ELNS0_17block_load_methodE3ELS4_3ELS4_3ELNS0_20block_scan_algorithmE0ELj4294967295EEENS1_25partition_config_selectorILNS1_17partition_subalgoE3EjNS0_10empty_typeEbEEZZNS1_14partition_implILS8_3ELb0ES6_jNS0_17counting_iteratorIjlEEPS9_SE_NS0_5tupleIJPjSE_EEENSF_IJSE_SE_EEES9_SG_JZNS1_25segmented_radix_sort_implINS0_14default_configELb1EPKlPlSM_SN_N2at6native12_GLOBAL__N_18offset_tEEE10hipError_tPvRmT1_PNSt15iterator_traitsISV_E10value_typeET2_T3_PNSW_IS11_E10value_typeET4_jRbjT5_S17_jjP12ihipStream_tbEUljE_EEESS_ST_SU_S11_S15_S17_T6_T7_T9_mT8_S19_bDpT10_ENKUlT_T0_E_clISt17integral_constantIbLb1EES1M_EEDaS1H_S1I_EUlS1H_E_NS1_11comp_targetILNS1_3genE5ELNS1_11target_archE942ELNS1_3gpuE9ELNS1_3repE0EEENS1_30default_config_static_selectorELNS0_4arch9wavefront6targetE0EEEvSV_, .Lfunc_end677-_ZN7rocprim17ROCPRIM_400000_NS6detail17trampoline_kernelINS0_13select_configILj256ELj13ELNS0_17block_load_methodE3ELS4_3ELS4_3ELNS0_20block_scan_algorithmE0ELj4294967295EEENS1_25partition_config_selectorILNS1_17partition_subalgoE3EjNS0_10empty_typeEbEEZZNS1_14partition_implILS8_3ELb0ES6_jNS0_17counting_iteratorIjlEEPS9_SE_NS0_5tupleIJPjSE_EEENSF_IJSE_SE_EEES9_SG_JZNS1_25segmented_radix_sort_implINS0_14default_configELb1EPKlPlSM_SN_N2at6native12_GLOBAL__N_18offset_tEEE10hipError_tPvRmT1_PNSt15iterator_traitsISV_E10value_typeET2_T3_PNSW_IS11_E10value_typeET4_jRbjT5_S17_jjP12ihipStream_tbEUljE_EEESS_ST_SU_S11_S15_S17_T6_T7_T9_mT8_S19_bDpT10_ENKUlT_T0_E_clISt17integral_constantIbLb1EES1M_EEDaS1H_S1I_EUlS1H_E_NS1_11comp_targetILNS1_3genE5ELNS1_11target_archE942ELNS1_3gpuE9ELNS1_3repE0EEENS1_30default_config_static_selectorELNS0_4arch9wavefront6targetE0EEEvSV_
                                        ; -- End function
	.set _ZN7rocprim17ROCPRIM_400000_NS6detail17trampoline_kernelINS0_13select_configILj256ELj13ELNS0_17block_load_methodE3ELS4_3ELS4_3ELNS0_20block_scan_algorithmE0ELj4294967295EEENS1_25partition_config_selectorILNS1_17partition_subalgoE3EjNS0_10empty_typeEbEEZZNS1_14partition_implILS8_3ELb0ES6_jNS0_17counting_iteratorIjlEEPS9_SE_NS0_5tupleIJPjSE_EEENSF_IJSE_SE_EEES9_SG_JZNS1_25segmented_radix_sort_implINS0_14default_configELb1EPKlPlSM_SN_N2at6native12_GLOBAL__N_18offset_tEEE10hipError_tPvRmT1_PNSt15iterator_traitsISV_E10value_typeET2_T3_PNSW_IS11_E10value_typeET4_jRbjT5_S17_jjP12ihipStream_tbEUljE_EEESS_ST_SU_S11_S15_S17_T6_T7_T9_mT8_S19_bDpT10_ENKUlT_T0_E_clISt17integral_constantIbLb1EES1M_EEDaS1H_S1I_EUlS1H_E_NS1_11comp_targetILNS1_3genE5ELNS1_11target_archE942ELNS1_3gpuE9ELNS1_3repE0EEENS1_30default_config_static_selectorELNS0_4arch9wavefront6targetE0EEEvSV_.num_vgpr, 0
	.set _ZN7rocprim17ROCPRIM_400000_NS6detail17trampoline_kernelINS0_13select_configILj256ELj13ELNS0_17block_load_methodE3ELS4_3ELS4_3ELNS0_20block_scan_algorithmE0ELj4294967295EEENS1_25partition_config_selectorILNS1_17partition_subalgoE3EjNS0_10empty_typeEbEEZZNS1_14partition_implILS8_3ELb0ES6_jNS0_17counting_iteratorIjlEEPS9_SE_NS0_5tupleIJPjSE_EEENSF_IJSE_SE_EEES9_SG_JZNS1_25segmented_radix_sort_implINS0_14default_configELb1EPKlPlSM_SN_N2at6native12_GLOBAL__N_18offset_tEEE10hipError_tPvRmT1_PNSt15iterator_traitsISV_E10value_typeET2_T3_PNSW_IS11_E10value_typeET4_jRbjT5_S17_jjP12ihipStream_tbEUljE_EEESS_ST_SU_S11_S15_S17_T6_T7_T9_mT8_S19_bDpT10_ENKUlT_T0_E_clISt17integral_constantIbLb1EES1M_EEDaS1H_S1I_EUlS1H_E_NS1_11comp_targetILNS1_3genE5ELNS1_11target_archE942ELNS1_3gpuE9ELNS1_3repE0EEENS1_30default_config_static_selectorELNS0_4arch9wavefront6targetE0EEEvSV_.num_agpr, 0
	.set _ZN7rocprim17ROCPRIM_400000_NS6detail17trampoline_kernelINS0_13select_configILj256ELj13ELNS0_17block_load_methodE3ELS4_3ELS4_3ELNS0_20block_scan_algorithmE0ELj4294967295EEENS1_25partition_config_selectorILNS1_17partition_subalgoE3EjNS0_10empty_typeEbEEZZNS1_14partition_implILS8_3ELb0ES6_jNS0_17counting_iteratorIjlEEPS9_SE_NS0_5tupleIJPjSE_EEENSF_IJSE_SE_EEES9_SG_JZNS1_25segmented_radix_sort_implINS0_14default_configELb1EPKlPlSM_SN_N2at6native12_GLOBAL__N_18offset_tEEE10hipError_tPvRmT1_PNSt15iterator_traitsISV_E10value_typeET2_T3_PNSW_IS11_E10value_typeET4_jRbjT5_S17_jjP12ihipStream_tbEUljE_EEESS_ST_SU_S11_S15_S17_T6_T7_T9_mT8_S19_bDpT10_ENKUlT_T0_E_clISt17integral_constantIbLb1EES1M_EEDaS1H_S1I_EUlS1H_E_NS1_11comp_targetILNS1_3genE5ELNS1_11target_archE942ELNS1_3gpuE9ELNS1_3repE0EEENS1_30default_config_static_selectorELNS0_4arch9wavefront6targetE0EEEvSV_.numbered_sgpr, 0
	.set _ZN7rocprim17ROCPRIM_400000_NS6detail17trampoline_kernelINS0_13select_configILj256ELj13ELNS0_17block_load_methodE3ELS4_3ELS4_3ELNS0_20block_scan_algorithmE0ELj4294967295EEENS1_25partition_config_selectorILNS1_17partition_subalgoE3EjNS0_10empty_typeEbEEZZNS1_14partition_implILS8_3ELb0ES6_jNS0_17counting_iteratorIjlEEPS9_SE_NS0_5tupleIJPjSE_EEENSF_IJSE_SE_EEES9_SG_JZNS1_25segmented_radix_sort_implINS0_14default_configELb1EPKlPlSM_SN_N2at6native12_GLOBAL__N_18offset_tEEE10hipError_tPvRmT1_PNSt15iterator_traitsISV_E10value_typeET2_T3_PNSW_IS11_E10value_typeET4_jRbjT5_S17_jjP12ihipStream_tbEUljE_EEESS_ST_SU_S11_S15_S17_T6_T7_T9_mT8_S19_bDpT10_ENKUlT_T0_E_clISt17integral_constantIbLb1EES1M_EEDaS1H_S1I_EUlS1H_E_NS1_11comp_targetILNS1_3genE5ELNS1_11target_archE942ELNS1_3gpuE9ELNS1_3repE0EEENS1_30default_config_static_selectorELNS0_4arch9wavefront6targetE0EEEvSV_.num_named_barrier, 0
	.set _ZN7rocprim17ROCPRIM_400000_NS6detail17trampoline_kernelINS0_13select_configILj256ELj13ELNS0_17block_load_methodE3ELS4_3ELS4_3ELNS0_20block_scan_algorithmE0ELj4294967295EEENS1_25partition_config_selectorILNS1_17partition_subalgoE3EjNS0_10empty_typeEbEEZZNS1_14partition_implILS8_3ELb0ES6_jNS0_17counting_iteratorIjlEEPS9_SE_NS0_5tupleIJPjSE_EEENSF_IJSE_SE_EEES9_SG_JZNS1_25segmented_radix_sort_implINS0_14default_configELb1EPKlPlSM_SN_N2at6native12_GLOBAL__N_18offset_tEEE10hipError_tPvRmT1_PNSt15iterator_traitsISV_E10value_typeET2_T3_PNSW_IS11_E10value_typeET4_jRbjT5_S17_jjP12ihipStream_tbEUljE_EEESS_ST_SU_S11_S15_S17_T6_T7_T9_mT8_S19_bDpT10_ENKUlT_T0_E_clISt17integral_constantIbLb1EES1M_EEDaS1H_S1I_EUlS1H_E_NS1_11comp_targetILNS1_3genE5ELNS1_11target_archE942ELNS1_3gpuE9ELNS1_3repE0EEENS1_30default_config_static_selectorELNS0_4arch9wavefront6targetE0EEEvSV_.private_seg_size, 0
	.set _ZN7rocprim17ROCPRIM_400000_NS6detail17trampoline_kernelINS0_13select_configILj256ELj13ELNS0_17block_load_methodE3ELS4_3ELS4_3ELNS0_20block_scan_algorithmE0ELj4294967295EEENS1_25partition_config_selectorILNS1_17partition_subalgoE3EjNS0_10empty_typeEbEEZZNS1_14partition_implILS8_3ELb0ES6_jNS0_17counting_iteratorIjlEEPS9_SE_NS0_5tupleIJPjSE_EEENSF_IJSE_SE_EEES9_SG_JZNS1_25segmented_radix_sort_implINS0_14default_configELb1EPKlPlSM_SN_N2at6native12_GLOBAL__N_18offset_tEEE10hipError_tPvRmT1_PNSt15iterator_traitsISV_E10value_typeET2_T3_PNSW_IS11_E10value_typeET4_jRbjT5_S17_jjP12ihipStream_tbEUljE_EEESS_ST_SU_S11_S15_S17_T6_T7_T9_mT8_S19_bDpT10_ENKUlT_T0_E_clISt17integral_constantIbLb1EES1M_EEDaS1H_S1I_EUlS1H_E_NS1_11comp_targetILNS1_3genE5ELNS1_11target_archE942ELNS1_3gpuE9ELNS1_3repE0EEENS1_30default_config_static_selectorELNS0_4arch9wavefront6targetE0EEEvSV_.uses_vcc, 0
	.set _ZN7rocprim17ROCPRIM_400000_NS6detail17trampoline_kernelINS0_13select_configILj256ELj13ELNS0_17block_load_methodE3ELS4_3ELS4_3ELNS0_20block_scan_algorithmE0ELj4294967295EEENS1_25partition_config_selectorILNS1_17partition_subalgoE3EjNS0_10empty_typeEbEEZZNS1_14partition_implILS8_3ELb0ES6_jNS0_17counting_iteratorIjlEEPS9_SE_NS0_5tupleIJPjSE_EEENSF_IJSE_SE_EEES9_SG_JZNS1_25segmented_radix_sort_implINS0_14default_configELb1EPKlPlSM_SN_N2at6native12_GLOBAL__N_18offset_tEEE10hipError_tPvRmT1_PNSt15iterator_traitsISV_E10value_typeET2_T3_PNSW_IS11_E10value_typeET4_jRbjT5_S17_jjP12ihipStream_tbEUljE_EEESS_ST_SU_S11_S15_S17_T6_T7_T9_mT8_S19_bDpT10_ENKUlT_T0_E_clISt17integral_constantIbLb1EES1M_EEDaS1H_S1I_EUlS1H_E_NS1_11comp_targetILNS1_3genE5ELNS1_11target_archE942ELNS1_3gpuE9ELNS1_3repE0EEENS1_30default_config_static_selectorELNS0_4arch9wavefront6targetE0EEEvSV_.uses_flat_scratch, 0
	.set _ZN7rocprim17ROCPRIM_400000_NS6detail17trampoline_kernelINS0_13select_configILj256ELj13ELNS0_17block_load_methodE3ELS4_3ELS4_3ELNS0_20block_scan_algorithmE0ELj4294967295EEENS1_25partition_config_selectorILNS1_17partition_subalgoE3EjNS0_10empty_typeEbEEZZNS1_14partition_implILS8_3ELb0ES6_jNS0_17counting_iteratorIjlEEPS9_SE_NS0_5tupleIJPjSE_EEENSF_IJSE_SE_EEES9_SG_JZNS1_25segmented_radix_sort_implINS0_14default_configELb1EPKlPlSM_SN_N2at6native12_GLOBAL__N_18offset_tEEE10hipError_tPvRmT1_PNSt15iterator_traitsISV_E10value_typeET2_T3_PNSW_IS11_E10value_typeET4_jRbjT5_S17_jjP12ihipStream_tbEUljE_EEESS_ST_SU_S11_S15_S17_T6_T7_T9_mT8_S19_bDpT10_ENKUlT_T0_E_clISt17integral_constantIbLb1EES1M_EEDaS1H_S1I_EUlS1H_E_NS1_11comp_targetILNS1_3genE5ELNS1_11target_archE942ELNS1_3gpuE9ELNS1_3repE0EEENS1_30default_config_static_selectorELNS0_4arch9wavefront6targetE0EEEvSV_.has_dyn_sized_stack, 0
	.set _ZN7rocprim17ROCPRIM_400000_NS6detail17trampoline_kernelINS0_13select_configILj256ELj13ELNS0_17block_load_methodE3ELS4_3ELS4_3ELNS0_20block_scan_algorithmE0ELj4294967295EEENS1_25partition_config_selectorILNS1_17partition_subalgoE3EjNS0_10empty_typeEbEEZZNS1_14partition_implILS8_3ELb0ES6_jNS0_17counting_iteratorIjlEEPS9_SE_NS0_5tupleIJPjSE_EEENSF_IJSE_SE_EEES9_SG_JZNS1_25segmented_radix_sort_implINS0_14default_configELb1EPKlPlSM_SN_N2at6native12_GLOBAL__N_18offset_tEEE10hipError_tPvRmT1_PNSt15iterator_traitsISV_E10value_typeET2_T3_PNSW_IS11_E10value_typeET4_jRbjT5_S17_jjP12ihipStream_tbEUljE_EEESS_ST_SU_S11_S15_S17_T6_T7_T9_mT8_S19_bDpT10_ENKUlT_T0_E_clISt17integral_constantIbLb1EES1M_EEDaS1H_S1I_EUlS1H_E_NS1_11comp_targetILNS1_3genE5ELNS1_11target_archE942ELNS1_3gpuE9ELNS1_3repE0EEENS1_30default_config_static_selectorELNS0_4arch9wavefront6targetE0EEEvSV_.has_recursion, 0
	.set _ZN7rocprim17ROCPRIM_400000_NS6detail17trampoline_kernelINS0_13select_configILj256ELj13ELNS0_17block_load_methodE3ELS4_3ELS4_3ELNS0_20block_scan_algorithmE0ELj4294967295EEENS1_25partition_config_selectorILNS1_17partition_subalgoE3EjNS0_10empty_typeEbEEZZNS1_14partition_implILS8_3ELb0ES6_jNS0_17counting_iteratorIjlEEPS9_SE_NS0_5tupleIJPjSE_EEENSF_IJSE_SE_EEES9_SG_JZNS1_25segmented_radix_sort_implINS0_14default_configELb1EPKlPlSM_SN_N2at6native12_GLOBAL__N_18offset_tEEE10hipError_tPvRmT1_PNSt15iterator_traitsISV_E10value_typeET2_T3_PNSW_IS11_E10value_typeET4_jRbjT5_S17_jjP12ihipStream_tbEUljE_EEESS_ST_SU_S11_S15_S17_T6_T7_T9_mT8_S19_bDpT10_ENKUlT_T0_E_clISt17integral_constantIbLb1EES1M_EEDaS1H_S1I_EUlS1H_E_NS1_11comp_targetILNS1_3genE5ELNS1_11target_archE942ELNS1_3gpuE9ELNS1_3repE0EEENS1_30default_config_static_selectorELNS0_4arch9wavefront6targetE0EEEvSV_.has_indirect_call, 0
	.section	.AMDGPU.csdata,"",@progbits
; Kernel info:
; codeLenInByte = 0
; TotalNumSgprs: 0
; NumVgprs: 0
; ScratchSize: 0
; MemoryBound: 0
; FloatMode: 240
; IeeeMode: 1
; LDSByteSize: 0 bytes/workgroup (compile time only)
; SGPRBlocks: 0
; VGPRBlocks: 0
; NumSGPRsForWavesPerEU: 1
; NumVGPRsForWavesPerEU: 1
; NamedBarCnt: 0
; Occupancy: 16
; WaveLimiterHint : 0
; COMPUTE_PGM_RSRC2:SCRATCH_EN: 0
; COMPUTE_PGM_RSRC2:USER_SGPR: 2
; COMPUTE_PGM_RSRC2:TRAP_HANDLER: 0
; COMPUTE_PGM_RSRC2:TGID_X_EN: 1
; COMPUTE_PGM_RSRC2:TGID_Y_EN: 0
; COMPUTE_PGM_RSRC2:TGID_Z_EN: 0
; COMPUTE_PGM_RSRC2:TIDIG_COMP_CNT: 0
	.section	.text._ZN7rocprim17ROCPRIM_400000_NS6detail17trampoline_kernelINS0_13select_configILj256ELj13ELNS0_17block_load_methodE3ELS4_3ELS4_3ELNS0_20block_scan_algorithmE0ELj4294967295EEENS1_25partition_config_selectorILNS1_17partition_subalgoE3EjNS0_10empty_typeEbEEZZNS1_14partition_implILS8_3ELb0ES6_jNS0_17counting_iteratorIjlEEPS9_SE_NS0_5tupleIJPjSE_EEENSF_IJSE_SE_EEES9_SG_JZNS1_25segmented_radix_sort_implINS0_14default_configELb1EPKlPlSM_SN_N2at6native12_GLOBAL__N_18offset_tEEE10hipError_tPvRmT1_PNSt15iterator_traitsISV_E10value_typeET2_T3_PNSW_IS11_E10value_typeET4_jRbjT5_S17_jjP12ihipStream_tbEUljE_EEESS_ST_SU_S11_S15_S17_T6_T7_T9_mT8_S19_bDpT10_ENKUlT_T0_E_clISt17integral_constantIbLb1EES1M_EEDaS1H_S1I_EUlS1H_E_NS1_11comp_targetILNS1_3genE4ELNS1_11target_archE910ELNS1_3gpuE8ELNS1_3repE0EEENS1_30default_config_static_selectorELNS0_4arch9wavefront6targetE0EEEvSV_,"axG",@progbits,_ZN7rocprim17ROCPRIM_400000_NS6detail17trampoline_kernelINS0_13select_configILj256ELj13ELNS0_17block_load_methodE3ELS4_3ELS4_3ELNS0_20block_scan_algorithmE0ELj4294967295EEENS1_25partition_config_selectorILNS1_17partition_subalgoE3EjNS0_10empty_typeEbEEZZNS1_14partition_implILS8_3ELb0ES6_jNS0_17counting_iteratorIjlEEPS9_SE_NS0_5tupleIJPjSE_EEENSF_IJSE_SE_EEES9_SG_JZNS1_25segmented_radix_sort_implINS0_14default_configELb1EPKlPlSM_SN_N2at6native12_GLOBAL__N_18offset_tEEE10hipError_tPvRmT1_PNSt15iterator_traitsISV_E10value_typeET2_T3_PNSW_IS11_E10value_typeET4_jRbjT5_S17_jjP12ihipStream_tbEUljE_EEESS_ST_SU_S11_S15_S17_T6_T7_T9_mT8_S19_bDpT10_ENKUlT_T0_E_clISt17integral_constantIbLb1EES1M_EEDaS1H_S1I_EUlS1H_E_NS1_11comp_targetILNS1_3genE4ELNS1_11target_archE910ELNS1_3gpuE8ELNS1_3repE0EEENS1_30default_config_static_selectorELNS0_4arch9wavefront6targetE0EEEvSV_,comdat
	.globl	_ZN7rocprim17ROCPRIM_400000_NS6detail17trampoline_kernelINS0_13select_configILj256ELj13ELNS0_17block_load_methodE3ELS4_3ELS4_3ELNS0_20block_scan_algorithmE0ELj4294967295EEENS1_25partition_config_selectorILNS1_17partition_subalgoE3EjNS0_10empty_typeEbEEZZNS1_14partition_implILS8_3ELb0ES6_jNS0_17counting_iteratorIjlEEPS9_SE_NS0_5tupleIJPjSE_EEENSF_IJSE_SE_EEES9_SG_JZNS1_25segmented_radix_sort_implINS0_14default_configELb1EPKlPlSM_SN_N2at6native12_GLOBAL__N_18offset_tEEE10hipError_tPvRmT1_PNSt15iterator_traitsISV_E10value_typeET2_T3_PNSW_IS11_E10value_typeET4_jRbjT5_S17_jjP12ihipStream_tbEUljE_EEESS_ST_SU_S11_S15_S17_T6_T7_T9_mT8_S19_bDpT10_ENKUlT_T0_E_clISt17integral_constantIbLb1EES1M_EEDaS1H_S1I_EUlS1H_E_NS1_11comp_targetILNS1_3genE4ELNS1_11target_archE910ELNS1_3gpuE8ELNS1_3repE0EEENS1_30default_config_static_selectorELNS0_4arch9wavefront6targetE0EEEvSV_ ; -- Begin function _ZN7rocprim17ROCPRIM_400000_NS6detail17trampoline_kernelINS0_13select_configILj256ELj13ELNS0_17block_load_methodE3ELS4_3ELS4_3ELNS0_20block_scan_algorithmE0ELj4294967295EEENS1_25partition_config_selectorILNS1_17partition_subalgoE3EjNS0_10empty_typeEbEEZZNS1_14partition_implILS8_3ELb0ES6_jNS0_17counting_iteratorIjlEEPS9_SE_NS0_5tupleIJPjSE_EEENSF_IJSE_SE_EEES9_SG_JZNS1_25segmented_radix_sort_implINS0_14default_configELb1EPKlPlSM_SN_N2at6native12_GLOBAL__N_18offset_tEEE10hipError_tPvRmT1_PNSt15iterator_traitsISV_E10value_typeET2_T3_PNSW_IS11_E10value_typeET4_jRbjT5_S17_jjP12ihipStream_tbEUljE_EEESS_ST_SU_S11_S15_S17_T6_T7_T9_mT8_S19_bDpT10_ENKUlT_T0_E_clISt17integral_constantIbLb1EES1M_EEDaS1H_S1I_EUlS1H_E_NS1_11comp_targetILNS1_3genE4ELNS1_11target_archE910ELNS1_3gpuE8ELNS1_3repE0EEENS1_30default_config_static_selectorELNS0_4arch9wavefront6targetE0EEEvSV_
	.p2align	8
	.type	_ZN7rocprim17ROCPRIM_400000_NS6detail17trampoline_kernelINS0_13select_configILj256ELj13ELNS0_17block_load_methodE3ELS4_3ELS4_3ELNS0_20block_scan_algorithmE0ELj4294967295EEENS1_25partition_config_selectorILNS1_17partition_subalgoE3EjNS0_10empty_typeEbEEZZNS1_14partition_implILS8_3ELb0ES6_jNS0_17counting_iteratorIjlEEPS9_SE_NS0_5tupleIJPjSE_EEENSF_IJSE_SE_EEES9_SG_JZNS1_25segmented_radix_sort_implINS0_14default_configELb1EPKlPlSM_SN_N2at6native12_GLOBAL__N_18offset_tEEE10hipError_tPvRmT1_PNSt15iterator_traitsISV_E10value_typeET2_T3_PNSW_IS11_E10value_typeET4_jRbjT5_S17_jjP12ihipStream_tbEUljE_EEESS_ST_SU_S11_S15_S17_T6_T7_T9_mT8_S19_bDpT10_ENKUlT_T0_E_clISt17integral_constantIbLb1EES1M_EEDaS1H_S1I_EUlS1H_E_NS1_11comp_targetILNS1_3genE4ELNS1_11target_archE910ELNS1_3gpuE8ELNS1_3repE0EEENS1_30default_config_static_selectorELNS0_4arch9wavefront6targetE0EEEvSV_,@function
_ZN7rocprim17ROCPRIM_400000_NS6detail17trampoline_kernelINS0_13select_configILj256ELj13ELNS0_17block_load_methodE3ELS4_3ELS4_3ELNS0_20block_scan_algorithmE0ELj4294967295EEENS1_25partition_config_selectorILNS1_17partition_subalgoE3EjNS0_10empty_typeEbEEZZNS1_14partition_implILS8_3ELb0ES6_jNS0_17counting_iteratorIjlEEPS9_SE_NS0_5tupleIJPjSE_EEENSF_IJSE_SE_EEES9_SG_JZNS1_25segmented_radix_sort_implINS0_14default_configELb1EPKlPlSM_SN_N2at6native12_GLOBAL__N_18offset_tEEE10hipError_tPvRmT1_PNSt15iterator_traitsISV_E10value_typeET2_T3_PNSW_IS11_E10value_typeET4_jRbjT5_S17_jjP12ihipStream_tbEUljE_EEESS_ST_SU_S11_S15_S17_T6_T7_T9_mT8_S19_bDpT10_ENKUlT_T0_E_clISt17integral_constantIbLb1EES1M_EEDaS1H_S1I_EUlS1H_E_NS1_11comp_targetILNS1_3genE4ELNS1_11target_archE910ELNS1_3gpuE8ELNS1_3repE0EEENS1_30default_config_static_selectorELNS0_4arch9wavefront6targetE0EEEvSV_: ; @_ZN7rocprim17ROCPRIM_400000_NS6detail17trampoline_kernelINS0_13select_configILj256ELj13ELNS0_17block_load_methodE3ELS4_3ELS4_3ELNS0_20block_scan_algorithmE0ELj4294967295EEENS1_25partition_config_selectorILNS1_17partition_subalgoE3EjNS0_10empty_typeEbEEZZNS1_14partition_implILS8_3ELb0ES6_jNS0_17counting_iteratorIjlEEPS9_SE_NS0_5tupleIJPjSE_EEENSF_IJSE_SE_EEES9_SG_JZNS1_25segmented_radix_sort_implINS0_14default_configELb1EPKlPlSM_SN_N2at6native12_GLOBAL__N_18offset_tEEE10hipError_tPvRmT1_PNSt15iterator_traitsISV_E10value_typeET2_T3_PNSW_IS11_E10value_typeET4_jRbjT5_S17_jjP12ihipStream_tbEUljE_EEESS_ST_SU_S11_S15_S17_T6_T7_T9_mT8_S19_bDpT10_ENKUlT_T0_E_clISt17integral_constantIbLb1EES1M_EEDaS1H_S1I_EUlS1H_E_NS1_11comp_targetILNS1_3genE4ELNS1_11target_archE910ELNS1_3gpuE8ELNS1_3repE0EEENS1_30default_config_static_selectorELNS0_4arch9wavefront6targetE0EEEvSV_
; %bb.0:
	.section	.rodata,"a",@progbits
	.p2align	6, 0x0
	.amdhsa_kernel _ZN7rocprim17ROCPRIM_400000_NS6detail17trampoline_kernelINS0_13select_configILj256ELj13ELNS0_17block_load_methodE3ELS4_3ELS4_3ELNS0_20block_scan_algorithmE0ELj4294967295EEENS1_25partition_config_selectorILNS1_17partition_subalgoE3EjNS0_10empty_typeEbEEZZNS1_14partition_implILS8_3ELb0ES6_jNS0_17counting_iteratorIjlEEPS9_SE_NS0_5tupleIJPjSE_EEENSF_IJSE_SE_EEES9_SG_JZNS1_25segmented_radix_sort_implINS0_14default_configELb1EPKlPlSM_SN_N2at6native12_GLOBAL__N_18offset_tEEE10hipError_tPvRmT1_PNSt15iterator_traitsISV_E10value_typeET2_T3_PNSW_IS11_E10value_typeET4_jRbjT5_S17_jjP12ihipStream_tbEUljE_EEESS_ST_SU_S11_S15_S17_T6_T7_T9_mT8_S19_bDpT10_ENKUlT_T0_E_clISt17integral_constantIbLb1EES1M_EEDaS1H_S1I_EUlS1H_E_NS1_11comp_targetILNS1_3genE4ELNS1_11target_archE910ELNS1_3gpuE8ELNS1_3repE0EEENS1_30default_config_static_selectorELNS0_4arch9wavefront6targetE0EEEvSV_
		.amdhsa_group_segment_fixed_size 0
		.amdhsa_private_segment_fixed_size 0
		.amdhsa_kernarg_size 152
		.amdhsa_user_sgpr_count 2
		.amdhsa_user_sgpr_dispatch_ptr 0
		.amdhsa_user_sgpr_queue_ptr 0
		.amdhsa_user_sgpr_kernarg_segment_ptr 1
		.amdhsa_user_sgpr_dispatch_id 0
		.amdhsa_user_sgpr_kernarg_preload_length 0
		.amdhsa_user_sgpr_kernarg_preload_offset 0
		.amdhsa_user_sgpr_private_segment_size 0
		.amdhsa_wavefront_size32 1
		.amdhsa_uses_dynamic_stack 0
		.amdhsa_enable_private_segment 0
		.amdhsa_system_sgpr_workgroup_id_x 1
		.amdhsa_system_sgpr_workgroup_id_y 0
		.amdhsa_system_sgpr_workgroup_id_z 0
		.amdhsa_system_sgpr_workgroup_info 0
		.amdhsa_system_vgpr_workitem_id 0
		.amdhsa_next_free_vgpr 1
		.amdhsa_next_free_sgpr 1
		.amdhsa_named_barrier_count 0
		.amdhsa_reserve_vcc 0
		.amdhsa_float_round_mode_32 0
		.amdhsa_float_round_mode_16_64 0
		.amdhsa_float_denorm_mode_32 3
		.amdhsa_float_denorm_mode_16_64 3
		.amdhsa_fp16_overflow 0
		.amdhsa_memory_ordered 1
		.amdhsa_forward_progress 1
		.amdhsa_inst_pref_size 0
		.amdhsa_round_robin_scheduling 0
		.amdhsa_exception_fp_ieee_invalid_op 0
		.amdhsa_exception_fp_denorm_src 0
		.amdhsa_exception_fp_ieee_div_zero 0
		.amdhsa_exception_fp_ieee_overflow 0
		.amdhsa_exception_fp_ieee_underflow 0
		.amdhsa_exception_fp_ieee_inexact 0
		.amdhsa_exception_int_div_zero 0
	.end_amdhsa_kernel
	.section	.text._ZN7rocprim17ROCPRIM_400000_NS6detail17trampoline_kernelINS0_13select_configILj256ELj13ELNS0_17block_load_methodE3ELS4_3ELS4_3ELNS0_20block_scan_algorithmE0ELj4294967295EEENS1_25partition_config_selectorILNS1_17partition_subalgoE3EjNS0_10empty_typeEbEEZZNS1_14partition_implILS8_3ELb0ES6_jNS0_17counting_iteratorIjlEEPS9_SE_NS0_5tupleIJPjSE_EEENSF_IJSE_SE_EEES9_SG_JZNS1_25segmented_radix_sort_implINS0_14default_configELb1EPKlPlSM_SN_N2at6native12_GLOBAL__N_18offset_tEEE10hipError_tPvRmT1_PNSt15iterator_traitsISV_E10value_typeET2_T3_PNSW_IS11_E10value_typeET4_jRbjT5_S17_jjP12ihipStream_tbEUljE_EEESS_ST_SU_S11_S15_S17_T6_T7_T9_mT8_S19_bDpT10_ENKUlT_T0_E_clISt17integral_constantIbLb1EES1M_EEDaS1H_S1I_EUlS1H_E_NS1_11comp_targetILNS1_3genE4ELNS1_11target_archE910ELNS1_3gpuE8ELNS1_3repE0EEENS1_30default_config_static_selectorELNS0_4arch9wavefront6targetE0EEEvSV_,"axG",@progbits,_ZN7rocprim17ROCPRIM_400000_NS6detail17trampoline_kernelINS0_13select_configILj256ELj13ELNS0_17block_load_methodE3ELS4_3ELS4_3ELNS0_20block_scan_algorithmE0ELj4294967295EEENS1_25partition_config_selectorILNS1_17partition_subalgoE3EjNS0_10empty_typeEbEEZZNS1_14partition_implILS8_3ELb0ES6_jNS0_17counting_iteratorIjlEEPS9_SE_NS0_5tupleIJPjSE_EEENSF_IJSE_SE_EEES9_SG_JZNS1_25segmented_radix_sort_implINS0_14default_configELb1EPKlPlSM_SN_N2at6native12_GLOBAL__N_18offset_tEEE10hipError_tPvRmT1_PNSt15iterator_traitsISV_E10value_typeET2_T3_PNSW_IS11_E10value_typeET4_jRbjT5_S17_jjP12ihipStream_tbEUljE_EEESS_ST_SU_S11_S15_S17_T6_T7_T9_mT8_S19_bDpT10_ENKUlT_T0_E_clISt17integral_constantIbLb1EES1M_EEDaS1H_S1I_EUlS1H_E_NS1_11comp_targetILNS1_3genE4ELNS1_11target_archE910ELNS1_3gpuE8ELNS1_3repE0EEENS1_30default_config_static_selectorELNS0_4arch9wavefront6targetE0EEEvSV_,comdat
.Lfunc_end678:
	.size	_ZN7rocprim17ROCPRIM_400000_NS6detail17trampoline_kernelINS0_13select_configILj256ELj13ELNS0_17block_load_methodE3ELS4_3ELS4_3ELNS0_20block_scan_algorithmE0ELj4294967295EEENS1_25partition_config_selectorILNS1_17partition_subalgoE3EjNS0_10empty_typeEbEEZZNS1_14partition_implILS8_3ELb0ES6_jNS0_17counting_iteratorIjlEEPS9_SE_NS0_5tupleIJPjSE_EEENSF_IJSE_SE_EEES9_SG_JZNS1_25segmented_radix_sort_implINS0_14default_configELb1EPKlPlSM_SN_N2at6native12_GLOBAL__N_18offset_tEEE10hipError_tPvRmT1_PNSt15iterator_traitsISV_E10value_typeET2_T3_PNSW_IS11_E10value_typeET4_jRbjT5_S17_jjP12ihipStream_tbEUljE_EEESS_ST_SU_S11_S15_S17_T6_T7_T9_mT8_S19_bDpT10_ENKUlT_T0_E_clISt17integral_constantIbLb1EES1M_EEDaS1H_S1I_EUlS1H_E_NS1_11comp_targetILNS1_3genE4ELNS1_11target_archE910ELNS1_3gpuE8ELNS1_3repE0EEENS1_30default_config_static_selectorELNS0_4arch9wavefront6targetE0EEEvSV_, .Lfunc_end678-_ZN7rocprim17ROCPRIM_400000_NS6detail17trampoline_kernelINS0_13select_configILj256ELj13ELNS0_17block_load_methodE3ELS4_3ELS4_3ELNS0_20block_scan_algorithmE0ELj4294967295EEENS1_25partition_config_selectorILNS1_17partition_subalgoE3EjNS0_10empty_typeEbEEZZNS1_14partition_implILS8_3ELb0ES6_jNS0_17counting_iteratorIjlEEPS9_SE_NS0_5tupleIJPjSE_EEENSF_IJSE_SE_EEES9_SG_JZNS1_25segmented_radix_sort_implINS0_14default_configELb1EPKlPlSM_SN_N2at6native12_GLOBAL__N_18offset_tEEE10hipError_tPvRmT1_PNSt15iterator_traitsISV_E10value_typeET2_T3_PNSW_IS11_E10value_typeET4_jRbjT5_S17_jjP12ihipStream_tbEUljE_EEESS_ST_SU_S11_S15_S17_T6_T7_T9_mT8_S19_bDpT10_ENKUlT_T0_E_clISt17integral_constantIbLb1EES1M_EEDaS1H_S1I_EUlS1H_E_NS1_11comp_targetILNS1_3genE4ELNS1_11target_archE910ELNS1_3gpuE8ELNS1_3repE0EEENS1_30default_config_static_selectorELNS0_4arch9wavefront6targetE0EEEvSV_
                                        ; -- End function
	.set _ZN7rocprim17ROCPRIM_400000_NS6detail17trampoline_kernelINS0_13select_configILj256ELj13ELNS0_17block_load_methodE3ELS4_3ELS4_3ELNS0_20block_scan_algorithmE0ELj4294967295EEENS1_25partition_config_selectorILNS1_17partition_subalgoE3EjNS0_10empty_typeEbEEZZNS1_14partition_implILS8_3ELb0ES6_jNS0_17counting_iteratorIjlEEPS9_SE_NS0_5tupleIJPjSE_EEENSF_IJSE_SE_EEES9_SG_JZNS1_25segmented_radix_sort_implINS0_14default_configELb1EPKlPlSM_SN_N2at6native12_GLOBAL__N_18offset_tEEE10hipError_tPvRmT1_PNSt15iterator_traitsISV_E10value_typeET2_T3_PNSW_IS11_E10value_typeET4_jRbjT5_S17_jjP12ihipStream_tbEUljE_EEESS_ST_SU_S11_S15_S17_T6_T7_T9_mT8_S19_bDpT10_ENKUlT_T0_E_clISt17integral_constantIbLb1EES1M_EEDaS1H_S1I_EUlS1H_E_NS1_11comp_targetILNS1_3genE4ELNS1_11target_archE910ELNS1_3gpuE8ELNS1_3repE0EEENS1_30default_config_static_selectorELNS0_4arch9wavefront6targetE0EEEvSV_.num_vgpr, 0
	.set _ZN7rocprim17ROCPRIM_400000_NS6detail17trampoline_kernelINS0_13select_configILj256ELj13ELNS0_17block_load_methodE3ELS4_3ELS4_3ELNS0_20block_scan_algorithmE0ELj4294967295EEENS1_25partition_config_selectorILNS1_17partition_subalgoE3EjNS0_10empty_typeEbEEZZNS1_14partition_implILS8_3ELb0ES6_jNS0_17counting_iteratorIjlEEPS9_SE_NS0_5tupleIJPjSE_EEENSF_IJSE_SE_EEES9_SG_JZNS1_25segmented_radix_sort_implINS0_14default_configELb1EPKlPlSM_SN_N2at6native12_GLOBAL__N_18offset_tEEE10hipError_tPvRmT1_PNSt15iterator_traitsISV_E10value_typeET2_T3_PNSW_IS11_E10value_typeET4_jRbjT5_S17_jjP12ihipStream_tbEUljE_EEESS_ST_SU_S11_S15_S17_T6_T7_T9_mT8_S19_bDpT10_ENKUlT_T0_E_clISt17integral_constantIbLb1EES1M_EEDaS1H_S1I_EUlS1H_E_NS1_11comp_targetILNS1_3genE4ELNS1_11target_archE910ELNS1_3gpuE8ELNS1_3repE0EEENS1_30default_config_static_selectorELNS0_4arch9wavefront6targetE0EEEvSV_.num_agpr, 0
	.set _ZN7rocprim17ROCPRIM_400000_NS6detail17trampoline_kernelINS0_13select_configILj256ELj13ELNS0_17block_load_methodE3ELS4_3ELS4_3ELNS0_20block_scan_algorithmE0ELj4294967295EEENS1_25partition_config_selectorILNS1_17partition_subalgoE3EjNS0_10empty_typeEbEEZZNS1_14partition_implILS8_3ELb0ES6_jNS0_17counting_iteratorIjlEEPS9_SE_NS0_5tupleIJPjSE_EEENSF_IJSE_SE_EEES9_SG_JZNS1_25segmented_radix_sort_implINS0_14default_configELb1EPKlPlSM_SN_N2at6native12_GLOBAL__N_18offset_tEEE10hipError_tPvRmT1_PNSt15iterator_traitsISV_E10value_typeET2_T3_PNSW_IS11_E10value_typeET4_jRbjT5_S17_jjP12ihipStream_tbEUljE_EEESS_ST_SU_S11_S15_S17_T6_T7_T9_mT8_S19_bDpT10_ENKUlT_T0_E_clISt17integral_constantIbLb1EES1M_EEDaS1H_S1I_EUlS1H_E_NS1_11comp_targetILNS1_3genE4ELNS1_11target_archE910ELNS1_3gpuE8ELNS1_3repE0EEENS1_30default_config_static_selectorELNS0_4arch9wavefront6targetE0EEEvSV_.numbered_sgpr, 0
	.set _ZN7rocprim17ROCPRIM_400000_NS6detail17trampoline_kernelINS0_13select_configILj256ELj13ELNS0_17block_load_methodE3ELS4_3ELS4_3ELNS0_20block_scan_algorithmE0ELj4294967295EEENS1_25partition_config_selectorILNS1_17partition_subalgoE3EjNS0_10empty_typeEbEEZZNS1_14partition_implILS8_3ELb0ES6_jNS0_17counting_iteratorIjlEEPS9_SE_NS0_5tupleIJPjSE_EEENSF_IJSE_SE_EEES9_SG_JZNS1_25segmented_radix_sort_implINS0_14default_configELb1EPKlPlSM_SN_N2at6native12_GLOBAL__N_18offset_tEEE10hipError_tPvRmT1_PNSt15iterator_traitsISV_E10value_typeET2_T3_PNSW_IS11_E10value_typeET4_jRbjT5_S17_jjP12ihipStream_tbEUljE_EEESS_ST_SU_S11_S15_S17_T6_T7_T9_mT8_S19_bDpT10_ENKUlT_T0_E_clISt17integral_constantIbLb1EES1M_EEDaS1H_S1I_EUlS1H_E_NS1_11comp_targetILNS1_3genE4ELNS1_11target_archE910ELNS1_3gpuE8ELNS1_3repE0EEENS1_30default_config_static_selectorELNS0_4arch9wavefront6targetE0EEEvSV_.num_named_barrier, 0
	.set _ZN7rocprim17ROCPRIM_400000_NS6detail17trampoline_kernelINS0_13select_configILj256ELj13ELNS0_17block_load_methodE3ELS4_3ELS4_3ELNS0_20block_scan_algorithmE0ELj4294967295EEENS1_25partition_config_selectorILNS1_17partition_subalgoE3EjNS0_10empty_typeEbEEZZNS1_14partition_implILS8_3ELb0ES6_jNS0_17counting_iteratorIjlEEPS9_SE_NS0_5tupleIJPjSE_EEENSF_IJSE_SE_EEES9_SG_JZNS1_25segmented_radix_sort_implINS0_14default_configELb1EPKlPlSM_SN_N2at6native12_GLOBAL__N_18offset_tEEE10hipError_tPvRmT1_PNSt15iterator_traitsISV_E10value_typeET2_T3_PNSW_IS11_E10value_typeET4_jRbjT5_S17_jjP12ihipStream_tbEUljE_EEESS_ST_SU_S11_S15_S17_T6_T7_T9_mT8_S19_bDpT10_ENKUlT_T0_E_clISt17integral_constantIbLb1EES1M_EEDaS1H_S1I_EUlS1H_E_NS1_11comp_targetILNS1_3genE4ELNS1_11target_archE910ELNS1_3gpuE8ELNS1_3repE0EEENS1_30default_config_static_selectorELNS0_4arch9wavefront6targetE0EEEvSV_.private_seg_size, 0
	.set _ZN7rocprim17ROCPRIM_400000_NS6detail17trampoline_kernelINS0_13select_configILj256ELj13ELNS0_17block_load_methodE3ELS4_3ELS4_3ELNS0_20block_scan_algorithmE0ELj4294967295EEENS1_25partition_config_selectorILNS1_17partition_subalgoE3EjNS0_10empty_typeEbEEZZNS1_14partition_implILS8_3ELb0ES6_jNS0_17counting_iteratorIjlEEPS9_SE_NS0_5tupleIJPjSE_EEENSF_IJSE_SE_EEES9_SG_JZNS1_25segmented_radix_sort_implINS0_14default_configELb1EPKlPlSM_SN_N2at6native12_GLOBAL__N_18offset_tEEE10hipError_tPvRmT1_PNSt15iterator_traitsISV_E10value_typeET2_T3_PNSW_IS11_E10value_typeET4_jRbjT5_S17_jjP12ihipStream_tbEUljE_EEESS_ST_SU_S11_S15_S17_T6_T7_T9_mT8_S19_bDpT10_ENKUlT_T0_E_clISt17integral_constantIbLb1EES1M_EEDaS1H_S1I_EUlS1H_E_NS1_11comp_targetILNS1_3genE4ELNS1_11target_archE910ELNS1_3gpuE8ELNS1_3repE0EEENS1_30default_config_static_selectorELNS0_4arch9wavefront6targetE0EEEvSV_.uses_vcc, 0
	.set _ZN7rocprim17ROCPRIM_400000_NS6detail17trampoline_kernelINS0_13select_configILj256ELj13ELNS0_17block_load_methodE3ELS4_3ELS4_3ELNS0_20block_scan_algorithmE0ELj4294967295EEENS1_25partition_config_selectorILNS1_17partition_subalgoE3EjNS0_10empty_typeEbEEZZNS1_14partition_implILS8_3ELb0ES6_jNS0_17counting_iteratorIjlEEPS9_SE_NS0_5tupleIJPjSE_EEENSF_IJSE_SE_EEES9_SG_JZNS1_25segmented_radix_sort_implINS0_14default_configELb1EPKlPlSM_SN_N2at6native12_GLOBAL__N_18offset_tEEE10hipError_tPvRmT1_PNSt15iterator_traitsISV_E10value_typeET2_T3_PNSW_IS11_E10value_typeET4_jRbjT5_S17_jjP12ihipStream_tbEUljE_EEESS_ST_SU_S11_S15_S17_T6_T7_T9_mT8_S19_bDpT10_ENKUlT_T0_E_clISt17integral_constantIbLb1EES1M_EEDaS1H_S1I_EUlS1H_E_NS1_11comp_targetILNS1_3genE4ELNS1_11target_archE910ELNS1_3gpuE8ELNS1_3repE0EEENS1_30default_config_static_selectorELNS0_4arch9wavefront6targetE0EEEvSV_.uses_flat_scratch, 0
	.set _ZN7rocprim17ROCPRIM_400000_NS6detail17trampoline_kernelINS0_13select_configILj256ELj13ELNS0_17block_load_methodE3ELS4_3ELS4_3ELNS0_20block_scan_algorithmE0ELj4294967295EEENS1_25partition_config_selectorILNS1_17partition_subalgoE3EjNS0_10empty_typeEbEEZZNS1_14partition_implILS8_3ELb0ES6_jNS0_17counting_iteratorIjlEEPS9_SE_NS0_5tupleIJPjSE_EEENSF_IJSE_SE_EEES9_SG_JZNS1_25segmented_radix_sort_implINS0_14default_configELb1EPKlPlSM_SN_N2at6native12_GLOBAL__N_18offset_tEEE10hipError_tPvRmT1_PNSt15iterator_traitsISV_E10value_typeET2_T3_PNSW_IS11_E10value_typeET4_jRbjT5_S17_jjP12ihipStream_tbEUljE_EEESS_ST_SU_S11_S15_S17_T6_T7_T9_mT8_S19_bDpT10_ENKUlT_T0_E_clISt17integral_constantIbLb1EES1M_EEDaS1H_S1I_EUlS1H_E_NS1_11comp_targetILNS1_3genE4ELNS1_11target_archE910ELNS1_3gpuE8ELNS1_3repE0EEENS1_30default_config_static_selectorELNS0_4arch9wavefront6targetE0EEEvSV_.has_dyn_sized_stack, 0
	.set _ZN7rocprim17ROCPRIM_400000_NS6detail17trampoline_kernelINS0_13select_configILj256ELj13ELNS0_17block_load_methodE3ELS4_3ELS4_3ELNS0_20block_scan_algorithmE0ELj4294967295EEENS1_25partition_config_selectorILNS1_17partition_subalgoE3EjNS0_10empty_typeEbEEZZNS1_14partition_implILS8_3ELb0ES6_jNS0_17counting_iteratorIjlEEPS9_SE_NS0_5tupleIJPjSE_EEENSF_IJSE_SE_EEES9_SG_JZNS1_25segmented_radix_sort_implINS0_14default_configELb1EPKlPlSM_SN_N2at6native12_GLOBAL__N_18offset_tEEE10hipError_tPvRmT1_PNSt15iterator_traitsISV_E10value_typeET2_T3_PNSW_IS11_E10value_typeET4_jRbjT5_S17_jjP12ihipStream_tbEUljE_EEESS_ST_SU_S11_S15_S17_T6_T7_T9_mT8_S19_bDpT10_ENKUlT_T0_E_clISt17integral_constantIbLb1EES1M_EEDaS1H_S1I_EUlS1H_E_NS1_11comp_targetILNS1_3genE4ELNS1_11target_archE910ELNS1_3gpuE8ELNS1_3repE0EEENS1_30default_config_static_selectorELNS0_4arch9wavefront6targetE0EEEvSV_.has_recursion, 0
	.set _ZN7rocprim17ROCPRIM_400000_NS6detail17trampoline_kernelINS0_13select_configILj256ELj13ELNS0_17block_load_methodE3ELS4_3ELS4_3ELNS0_20block_scan_algorithmE0ELj4294967295EEENS1_25partition_config_selectorILNS1_17partition_subalgoE3EjNS0_10empty_typeEbEEZZNS1_14partition_implILS8_3ELb0ES6_jNS0_17counting_iteratorIjlEEPS9_SE_NS0_5tupleIJPjSE_EEENSF_IJSE_SE_EEES9_SG_JZNS1_25segmented_radix_sort_implINS0_14default_configELb1EPKlPlSM_SN_N2at6native12_GLOBAL__N_18offset_tEEE10hipError_tPvRmT1_PNSt15iterator_traitsISV_E10value_typeET2_T3_PNSW_IS11_E10value_typeET4_jRbjT5_S17_jjP12ihipStream_tbEUljE_EEESS_ST_SU_S11_S15_S17_T6_T7_T9_mT8_S19_bDpT10_ENKUlT_T0_E_clISt17integral_constantIbLb1EES1M_EEDaS1H_S1I_EUlS1H_E_NS1_11comp_targetILNS1_3genE4ELNS1_11target_archE910ELNS1_3gpuE8ELNS1_3repE0EEENS1_30default_config_static_selectorELNS0_4arch9wavefront6targetE0EEEvSV_.has_indirect_call, 0
	.section	.AMDGPU.csdata,"",@progbits
; Kernel info:
; codeLenInByte = 0
; TotalNumSgprs: 0
; NumVgprs: 0
; ScratchSize: 0
; MemoryBound: 0
; FloatMode: 240
; IeeeMode: 1
; LDSByteSize: 0 bytes/workgroup (compile time only)
; SGPRBlocks: 0
; VGPRBlocks: 0
; NumSGPRsForWavesPerEU: 1
; NumVGPRsForWavesPerEU: 1
; NamedBarCnt: 0
; Occupancy: 16
; WaveLimiterHint : 0
; COMPUTE_PGM_RSRC2:SCRATCH_EN: 0
; COMPUTE_PGM_RSRC2:USER_SGPR: 2
; COMPUTE_PGM_RSRC2:TRAP_HANDLER: 0
; COMPUTE_PGM_RSRC2:TGID_X_EN: 1
; COMPUTE_PGM_RSRC2:TGID_Y_EN: 0
; COMPUTE_PGM_RSRC2:TGID_Z_EN: 0
; COMPUTE_PGM_RSRC2:TIDIG_COMP_CNT: 0
	.section	.text._ZN7rocprim17ROCPRIM_400000_NS6detail17trampoline_kernelINS0_13select_configILj256ELj13ELNS0_17block_load_methodE3ELS4_3ELS4_3ELNS0_20block_scan_algorithmE0ELj4294967295EEENS1_25partition_config_selectorILNS1_17partition_subalgoE3EjNS0_10empty_typeEbEEZZNS1_14partition_implILS8_3ELb0ES6_jNS0_17counting_iteratorIjlEEPS9_SE_NS0_5tupleIJPjSE_EEENSF_IJSE_SE_EEES9_SG_JZNS1_25segmented_radix_sort_implINS0_14default_configELb1EPKlPlSM_SN_N2at6native12_GLOBAL__N_18offset_tEEE10hipError_tPvRmT1_PNSt15iterator_traitsISV_E10value_typeET2_T3_PNSW_IS11_E10value_typeET4_jRbjT5_S17_jjP12ihipStream_tbEUljE_EEESS_ST_SU_S11_S15_S17_T6_T7_T9_mT8_S19_bDpT10_ENKUlT_T0_E_clISt17integral_constantIbLb1EES1M_EEDaS1H_S1I_EUlS1H_E_NS1_11comp_targetILNS1_3genE3ELNS1_11target_archE908ELNS1_3gpuE7ELNS1_3repE0EEENS1_30default_config_static_selectorELNS0_4arch9wavefront6targetE0EEEvSV_,"axG",@progbits,_ZN7rocprim17ROCPRIM_400000_NS6detail17trampoline_kernelINS0_13select_configILj256ELj13ELNS0_17block_load_methodE3ELS4_3ELS4_3ELNS0_20block_scan_algorithmE0ELj4294967295EEENS1_25partition_config_selectorILNS1_17partition_subalgoE3EjNS0_10empty_typeEbEEZZNS1_14partition_implILS8_3ELb0ES6_jNS0_17counting_iteratorIjlEEPS9_SE_NS0_5tupleIJPjSE_EEENSF_IJSE_SE_EEES9_SG_JZNS1_25segmented_radix_sort_implINS0_14default_configELb1EPKlPlSM_SN_N2at6native12_GLOBAL__N_18offset_tEEE10hipError_tPvRmT1_PNSt15iterator_traitsISV_E10value_typeET2_T3_PNSW_IS11_E10value_typeET4_jRbjT5_S17_jjP12ihipStream_tbEUljE_EEESS_ST_SU_S11_S15_S17_T6_T7_T9_mT8_S19_bDpT10_ENKUlT_T0_E_clISt17integral_constantIbLb1EES1M_EEDaS1H_S1I_EUlS1H_E_NS1_11comp_targetILNS1_3genE3ELNS1_11target_archE908ELNS1_3gpuE7ELNS1_3repE0EEENS1_30default_config_static_selectorELNS0_4arch9wavefront6targetE0EEEvSV_,comdat
	.globl	_ZN7rocprim17ROCPRIM_400000_NS6detail17trampoline_kernelINS0_13select_configILj256ELj13ELNS0_17block_load_methodE3ELS4_3ELS4_3ELNS0_20block_scan_algorithmE0ELj4294967295EEENS1_25partition_config_selectorILNS1_17partition_subalgoE3EjNS0_10empty_typeEbEEZZNS1_14partition_implILS8_3ELb0ES6_jNS0_17counting_iteratorIjlEEPS9_SE_NS0_5tupleIJPjSE_EEENSF_IJSE_SE_EEES9_SG_JZNS1_25segmented_radix_sort_implINS0_14default_configELb1EPKlPlSM_SN_N2at6native12_GLOBAL__N_18offset_tEEE10hipError_tPvRmT1_PNSt15iterator_traitsISV_E10value_typeET2_T3_PNSW_IS11_E10value_typeET4_jRbjT5_S17_jjP12ihipStream_tbEUljE_EEESS_ST_SU_S11_S15_S17_T6_T7_T9_mT8_S19_bDpT10_ENKUlT_T0_E_clISt17integral_constantIbLb1EES1M_EEDaS1H_S1I_EUlS1H_E_NS1_11comp_targetILNS1_3genE3ELNS1_11target_archE908ELNS1_3gpuE7ELNS1_3repE0EEENS1_30default_config_static_selectorELNS0_4arch9wavefront6targetE0EEEvSV_ ; -- Begin function _ZN7rocprim17ROCPRIM_400000_NS6detail17trampoline_kernelINS0_13select_configILj256ELj13ELNS0_17block_load_methodE3ELS4_3ELS4_3ELNS0_20block_scan_algorithmE0ELj4294967295EEENS1_25partition_config_selectorILNS1_17partition_subalgoE3EjNS0_10empty_typeEbEEZZNS1_14partition_implILS8_3ELb0ES6_jNS0_17counting_iteratorIjlEEPS9_SE_NS0_5tupleIJPjSE_EEENSF_IJSE_SE_EEES9_SG_JZNS1_25segmented_radix_sort_implINS0_14default_configELb1EPKlPlSM_SN_N2at6native12_GLOBAL__N_18offset_tEEE10hipError_tPvRmT1_PNSt15iterator_traitsISV_E10value_typeET2_T3_PNSW_IS11_E10value_typeET4_jRbjT5_S17_jjP12ihipStream_tbEUljE_EEESS_ST_SU_S11_S15_S17_T6_T7_T9_mT8_S19_bDpT10_ENKUlT_T0_E_clISt17integral_constantIbLb1EES1M_EEDaS1H_S1I_EUlS1H_E_NS1_11comp_targetILNS1_3genE3ELNS1_11target_archE908ELNS1_3gpuE7ELNS1_3repE0EEENS1_30default_config_static_selectorELNS0_4arch9wavefront6targetE0EEEvSV_
	.p2align	8
	.type	_ZN7rocprim17ROCPRIM_400000_NS6detail17trampoline_kernelINS0_13select_configILj256ELj13ELNS0_17block_load_methodE3ELS4_3ELS4_3ELNS0_20block_scan_algorithmE0ELj4294967295EEENS1_25partition_config_selectorILNS1_17partition_subalgoE3EjNS0_10empty_typeEbEEZZNS1_14partition_implILS8_3ELb0ES6_jNS0_17counting_iteratorIjlEEPS9_SE_NS0_5tupleIJPjSE_EEENSF_IJSE_SE_EEES9_SG_JZNS1_25segmented_radix_sort_implINS0_14default_configELb1EPKlPlSM_SN_N2at6native12_GLOBAL__N_18offset_tEEE10hipError_tPvRmT1_PNSt15iterator_traitsISV_E10value_typeET2_T3_PNSW_IS11_E10value_typeET4_jRbjT5_S17_jjP12ihipStream_tbEUljE_EEESS_ST_SU_S11_S15_S17_T6_T7_T9_mT8_S19_bDpT10_ENKUlT_T0_E_clISt17integral_constantIbLb1EES1M_EEDaS1H_S1I_EUlS1H_E_NS1_11comp_targetILNS1_3genE3ELNS1_11target_archE908ELNS1_3gpuE7ELNS1_3repE0EEENS1_30default_config_static_selectorELNS0_4arch9wavefront6targetE0EEEvSV_,@function
_ZN7rocprim17ROCPRIM_400000_NS6detail17trampoline_kernelINS0_13select_configILj256ELj13ELNS0_17block_load_methodE3ELS4_3ELS4_3ELNS0_20block_scan_algorithmE0ELj4294967295EEENS1_25partition_config_selectorILNS1_17partition_subalgoE3EjNS0_10empty_typeEbEEZZNS1_14partition_implILS8_3ELb0ES6_jNS0_17counting_iteratorIjlEEPS9_SE_NS0_5tupleIJPjSE_EEENSF_IJSE_SE_EEES9_SG_JZNS1_25segmented_radix_sort_implINS0_14default_configELb1EPKlPlSM_SN_N2at6native12_GLOBAL__N_18offset_tEEE10hipError_tPvRmT1_PNSt15iterator_traitsISV_E10value_typeET2_T3_PNSW_IS11_E10value_typeET4_jRbjT5_S17_jjP12ihipStream_tbEUljE_EEESS_ST_SU_S11_S15_S17_T6_T7_T9_mT8_S19_bDpT10_ENKUlT_T0_E_clISt17integral_constantIbLb1EES1M_EEDaS1H_S1I_EUlS1H_E_NS1_11comp_targetILNS1_3genE3ELNS1_11target_archE908ELNS1_3gpuE7ELNS1_3repE0EEENS1_30default_config_static_selectorELNS0_4arch9wavefront6targetE0EEEvSV_: ; @_ZN7rocprim17ROCPRIM_400000_NS6detail17trampoline_kernelINS0_13select_configILj256ELj13ELNS0_17block_load_methodE3ELS4_3ELS4_3ELNS0_20block_scan_algorithmE0ELj4294967295EEENS1_25partition_config_selectorILNS1_17partition_subalgoE3EjNS0_10empty_typeEbEEZZNS1_14partition_implILS8_3ELb0ES6_jNS0_17counting_iteratorIjlEEPS9_SE_NS0_5tupleIJPjSE_EEENSF_IJSE_SE_EEES9_SG_JZNS1_25segmented_radix_sort_implINS0_14default_configELb1EPKlPlSM_SN_N2at6native12_GLOBAL__N_18offset_tEEE10hipError_tPvRmT1_PNSt15iterator_traitsISV_E10value_typeET2_T3_PNSW_IS11_E10value_typeET4_jRbjT5_S17_jjP12ihipStream_tbEUljE_EEESS_ST_SU_S11_S15_S17_T6_T7_T9_mT8_S19_bDpT10_ENKUlT_T0_E_clISt17integral_constantIbLb1EES1M_EEDaS1H_S1I_EUlS1H_E_NS1_11comp_targetILNS1_3genE3ELNS1_11target_archE908ELNS1_3gpuE7ELNS1_3repE0EEENS1_30default_config_static_selectorELNS0_4arch9wavefront6targetE0EEEvSV_
; %bb.0:
	.section	.rodata,"a",@progbits
	.p2align	6, 0x0
	.amdhsa_kernel _ZN7rocprim17ROCPRIM_400000_NS6detail17trampoline_kernelINS0_13select_configILj256ELj13ELNS0_17block_load_methodE3ELS4_3ELS4_3ELNS0_20block_scan_algorithmE0ELj4294967295EEENS1_25partition_config_selectorILNS1_17partition_subalgoE3EjNS0_10empty_typeEbEEZZNS1_14partition_implILS8_3ELb0ES6_jNS0_17counting_iteratorIjlEEPS9_SE_NS0_5tupleIJPjSE_EEENSF_IJSE_SE_EEES9_SG_JZNS1_25segmented_radix_sort_implINS0_14default_configELb1EPKlPlSM_SN_N2at6native12_GLOBAL__N_18offset_tEEE10hipError_tPvRmT1_PNSt15iterator_traitsISV_E10value_typeET2_T3_PNSW_IS11_E10value_typeET4_jRbjT5_S17_jjP12ihipStream_tbEUljE_EEESS_ST_SU_S11_S15_S17_T6_T7_T9_mT8_S19_bDpT10_ENKUlT_T0_E_clISt17integral_constantIbLb1EES1M_EEDaS1H_S1I_EUlS1H_E_NS1_11comp_targetILNS1_3genE3ELNS1_11target_archE908ELNS1_3gpuE7ELNS1_3repE0EEENS1_30default_config_static_selectorELNS0_4arch9wavefront6targetE0EEEvSV_
		.amdhsa_group_segment_fixed_size 0
		.amdhsa_private_segment_fixed_size 0
		.amdhsa_kernarg_size 152
		.amdhsa_user_sgpr_count 2
		.amdhsa_user_sgpr_dispatch_ptr 0
		.amdhsa_user_sgpr_queue_ptr 0
		.amdhsa_user_sgpr_kernarg_segment_ptr 1
		.amdhsa_user_sgpr_dispatch_id 0
		.amdhsa_user_sgpr_kernarg_preload_length 0
		.amdhsa_user_sgpr_kernarg_preload_offset 0
		.amdhsa_user_sgpr_private_segment_size 0
		.amdhsa_wavefront_size32 1
		.amdhsa_uses_dynamic_stack 0
		.amdhsa_enable_private_segment 0
		.amdhsa_system_sgpr_workgroup_id_x 1
		.amdhsa_system_sgpr_workgroup_id_y 0
		.amdhsa_system_sgpr_workgroup_id_z 0
		.amdhsa_system_sgpr_workgroup_info 0
		.amdhsa_system_vgpr_workitem_id 0
		.amdhsa_next_free_vgpr 1
		.amdhsa_next_free_sgpr 1
		.amdhsa_named_barrier_count 0
		.amdhsa_reserve_vcc 0
		.amdhsa_float_round_mode_32 0
		.amdhsa_float_round_mode_16_64 0
		.amdhsa_float_denorm_mode_32 3
		.amdhsa_float_denorm_mode_16_64 3
		.amdhsa_fp16_overflow 0
		.amdhsa_memory_ordered 1
		.amdhsa_forward_progress 1
		.amdhsa_inst_pref_size 0
		.amdhsa_round_robin_scheduling 0
		.amdhsa_exception_fp_ieee_invalid_op 0
		.amdhsa_exception_fp_denorm_src 0
		.amdhsa_exception_fp_ieee_div_zero 0
		.amdhsa_exception_fp_ieee_overflow 0
		.amdhsa_exception_fp_ieee_underflow 0
		.amdhsa_exception_fp_ieee_inexact 0
		.amdhsa_exception_int_div_zero 0
	.end_amdhsa_kernel
	.section	.text._ZN7rocprim17ROCPRIM_400000_NS6detail17trampoline_kernelINS0_13select_configILj256ELj13ELNS0_17block_load_methodE3ELS4_3ELS4_3ELNS0_20block_scan_algorithmE0ELj4294967295EEENS1_25partition_config_selectorILNS1_17partition_subalgoE3EjNS0_10empty_typeEbEEZZNS1_14partition_implILS8_3ELb0ES6_jNS0_17counting_iteratorIjlEEPS9_SE_NS0_5tupleIJPjSE_EEENSF_IJSE_SE_EEES9_SG_JZNS1_25segmented_radix_sort_implINS0_14default_configELb1EPKlPlSM_SN_N2at6native12_GLOBAL__N_18offset_tEEE10hipError_tPvRmT1_PNSt15iterator_traitsISV_E10value_typeET2_T3_PNSW_IS11_E10value_typeET4_jRbjT5_S17_jjP12ihipStream_tbEUljE_EEESS_ST_SU_S11_S15_S17_T6_T7_T9_mT8_S19_bDpT10_ENKUlT_T0_E_clISt17integral_constantIbLb1EES1M_EEDaS1H_S1I_EUlS1H_E_NS1_11comp_targetILNS1_3genE3ELNS1_11target_archE908ELNS1_3gpuE7ELNS1_3repE0EEENS1_30default_config_static_selectorELNS0_4arch9wavefront6targetE0EEEvSV_,"axG",@progbits,_ZN7rocprim17ROCPRIM_400000_NS6detail17trampoline_kernelINS0_13select_configILj256ELj13ELNS0_17block_load_methodE3ELS4_3ELS4_3ELNS0_20block_scan_algorithmE0ELj4294967295EEENS1_25partition_config_selectorILNS1_17partition_subalgoE3EjNS0_10empty_typeEbEEZZNS1_14partition_implILS8_3ELb0ES6_jNS0_17counting_iteratorIjlEEPS9_SE_NS0_5tupleIJPjSE_EEENSF_IJSE_SE_EEES9_SG_JZNS1_25segmented_radix_sort_implINS0_14default_configELb1EPKlPlSM_SN_N2at6native12_GLOBAL__N_18offset_tEEE10hipError_tPvRmT1_PNSt15iterator_traitsISV_E10value_typeET2_T3_PNSW_IS11_E10value_typeET4_jRbjT5_S17_jjP12ihipStream_tbEUljE_EEESS_ST_SU_S11_S15_S17_T6_T7_T9_mT8_S19_bDpT10_ENKUlT_T0_E_clISt17integral_constantIbLb1EES1M_EEDaS1H_S1I_EUlS1H_E_NS1_11comp_targetILNS1_3genE3ELNS1_11target_archE908ELNS1_3gpuE7ELNS1_3repE0EEENS1_30default_config_static_selectorELNS0_4arch9wavefront6targetE0EEEvSV_,comdat
.Lfunc_end679:
	.size	_ZN7rocprim17ROCPRIM_400000_NS6detail17trampoline_kernelINS0_13select_configILj256ELj13ELNS0_17block_load_methodE3ELS4_3ELS4_3ELNS0_20block_scan_algorithmE0ELj4294967295EEENS1_25partition_config_selectorILNS1_17partition_subalgoE3EjNS0_10empty_typeEbEEZZNS1_14partition_implILS8_3ELb0ES6_jNS0_17counting_iteratorIjlEEPS9_SE_NS0_5tupleIJPjSE_EEENSF_IJSE_SE_EEES9_SG_JZNS1_25segmented_radix_sort_implINS0_14default_configELb1EPKlPlSM_SN_N2at6native12_GLOBAL__N_18offset_tEEE10hipError_tPvRmT1_PNSt15iterator_traitsISV_E10value_typeET2_T3_PNSW_IS11_E10value_typeET4_jRbjT5_S17_jjP12ihipStream_tbEUljE_EEESS_ST_SU_S11_S15_S17_T6_T7_T9_mT8_S19_bDpT10_ENKUlT_T0_E_clISt17integral_constantIbLb1EES1M_EEDaS1H_S1I_EUlS1H_E_NS1_11comp_targetILNS1_3genE3ELNS1_11target_archE908ELNS1_3gpuE7ELNS1_3repE0EEENS1_30default_config_static_selectorELNS0_4arch9wavefront6targetE0EEEvSV_, .Lfunc_end679-_ZN7rocprim17ROCPRIM_400000_NS6detail17trampoline_kernelINS0_13select_configILj256ELj13ELNS0_17block_load_methodE3ELS4_3ELS4_3ELNS0_20block_scan_algorithmE0ELj4294967295EEENS1_25partition_config_selectorILNS1_17partition_subalgoE3EjNS0_10empty_typeEbEEZZNS1_14partition_implILS8_3ELb0ES6_jNS0_17counting_iteratorIjlEEPS9_SE_NS0_5tupleIJPjSE_EEENSF_IJSE_SE_EEES9_SG_JZNS1_25segmented_radix_sort_implINS0_14default_configELb1EPKlPlSM_SN_N2at6native12_GLOBAL__N_18offset_tEEE10hipError_tPvRmT1_PNSt15iterator_traitsISV_E10value_typeET2_T3_PNSW_IS11_E10value_typeET4_jRbjT5_S17_jjP12ihipStream_tbEUljE_EEESS_ST_SU_S11_S15_S17_T6_T7_T9_mT8_S19_bDpT10_ENKUlT_T0_E_clISt17integral_constantIbLb1EES1M_EEDaS1H_S1I_EUlS1H_E_NS1_11comp_targetILNS1_3genE3ELNS1_11target_archE908ELNS1_3gpuE7ELNS1_3repE0EEENS1_30default_config_static_selectorELNS0_4arch9wavefront6targetE0EEEvSV_
                                        ; -- End function
	.set _ZN7rocprim17ROCPRIM_400000_NS6detail17trampoline_kernelINS0_13select_configILj256ELj13ELNS0_17block_load_methodE3ELS4_3ELS4_3ELNS0_20block_scan_algorithmE0ELj4294967295EEENS1_25partition_config_selectorILNS1_17partition_subalgoE3EjNS0_10empty_typeEbEEZZNS1_14partition_implILS8_3ELb0ES6_jNS0_17counting_iteratorIjlEEPS9_SE_NS0_5tupleIJPjSE_EEENSF_IJSE_SE_EEES9_SG_JZNS1_25segmented_radix_sort_implINS0_14default_configELb1EPKlPlSM_SN_N2at6native12_GLOBAL__N_18offset_tEEE10hipError_tPvRmT1_PNSt15iterator_traitsISV_E10value_typeET2_T3_PNSW_IS11_E10value_typeET4_jRbjT5_S17_jjP12ihipStream_tbEUljE_EEESS_ST_SU_S11_S15_S17_T6_T7_T9_mT8_S19_bDpT10_ENKUlT_T0_E_clISt17integral_constantIbLb1EES1M_EEDaS1H_S1I_EUlS1H_E_NS1_11comp_targetILNS1_3genE3ELNS1_11target_archE908ELNS1_3gpuE7ELNS1_3repE0EEENS1_30default_config_static_selectorELNS0_4arch9wavefront6targetE0EEEvSV_.num_vgpr, 0
	.set _ZN7rocprim17ROCPRIM_400000_NS6detail17trampoline_kernelINS0_13select_configILj256ELj13ELNS0_17block_load_methodE3ELS4_3ELS4_3ELNS0_20block_scan_algorithmE0ELj4294967295EEENS1_25partition_config_selectorILNS1_17partition_subalgoE3EjNS0_10empty_typeEbEEZZNS1_14partition_implILS8_3ELb0ES6_jNS0_17counting_iteratorIjlEEPS9_SE_NS0_5tupleIJPjSE_EEENSF_IJSE_SE_EEES9_SG_JZNS1_25segmented_radix_sort_implINS0_14default_configELb1EPKlPlSM_SN_N2at6native12_GLOBAL__N_18offset_tEEE10hipError_tPvRmT1_PNSt15iterator_traitsISV_E10value_typeET2_T3_PNSW_IS11_E10value_typeET4_jRbjT5_S17_jjP12ihipStream_tbEUljE_EEESS_ST_SU_S11_S15_S17_T6_T7_T9_mT8_S19_bDpT10_ENKUlT_T0_E_clISt17integral_constantIbLb1EES1M_EEDaS1H_S1I_EUlS1H_E_NS1_11comp_targetILNS1_3genE3ELNS1_11target_archE908ELNS1_3gpuE7ELNS1_3repE0EEENS1_30default_config_static_selectorELNS0_4arch9wavefront6targetE0EEEvSV_.num_agpr, 0
	.set _ZN7rocprim17ROCPRIM_400000_NS6detail17trampoline_kernelINS0_13select_configILj256ELj13ELNS0_17block_load_methodE3ELS4_3ELS4_3ELNS0_20block_scan_algorithmE0ELj4294967295EEENS1_25partition_config_selectorILNS1_17partition_subalgoE3EjNS0_10empty_typeEbEEZZNS1_14partition_implILS8_3ELb0ES6_jNS0_17counting_iteratorIjlEEPS9_SE_NS0_5tupleIJPjSE_EEENSF_IJSE_SE_EEES9_SG_JZNS1_25segmented_radix_sort_implINS0_14default_configELb1EPKlPlSM_SN_N2at6native12_GLOBAL__N_18offset_tEEE10hipError_tPvRmT1_PNSt15iterator_traitsISV_E10value_typeET2_T3_PNSW_IS11_E10value_typeET4_jRbjT5_S17_jjP12ihipStream_tbEUljE_EEESS_ST_SU_S11_S15_S17_T6_T7_T9_mT8_S19_bDpT10_ENKUlT_T0_E_clISt17integral_constantIbLb1EES1M_EEDaS1H_S1I_EUlS1H_E_NS1_11comp_targetILNS1_3genE3ELNS1_11target_archE908ELNS1_3gpuE7ELNS1_3repE0EEENS1_30default_config_static_selectorELNS0_4arch9wavefront6targetE0EEEvSV_.numbered_sgpr, 0
	.set _ZN7rocprim17ROCPRIM_400000_NS6detail17trampoline_kernelINS0_13select_configILj256ELj13ELNS0_17block_load_methodE3ELS4_3ELS4_3ELNS0_20block_scan_algorithmE0ELj4294967295EEENS1_25partition_config_selectorILNS1_17partition_subalgoE3EjNS0_10empty_typeEbEEZZNS1_14partition_implILS8_3ELb0ES6_jNS0_17counting_iteratorIjlEEPS9_SE_NS0_5tupleIJPjSE_EEENSF_IJSE_SE_EEES9_SG_JZNS1_25segmented_radix_sort_implINS0_14default_configELb1EPKlPlSM_SN_N2at6native12_GLOBAL__N_18offset_tEEE10hipError_tPvRmT1_PNSt15iterator_traitsISV_E10value_typeET2_T3_PNSW_IS11_E10value_typeET4_jRbjT5_S17_jjP12ihipStream_tbEUljE_EEESS_ST_SU_S11_S15_S17_T6_T7_T9_mT8_S19_bDpT10_ENKUlT_T0_E_clISt17integral_constantIbLb1EES1M_EEDaS1H_S1I_EUlS1H_E_NS1_11comp_targetILNS1_3genE3ELNS1_11target_archE908ELNS1_3gpuE7ELNS1_3repE0EEENS1_30default_config_static_selectorELNS0_4arch9wavefront6targetE0EEEvSV_.num_named_barrier, 0
	.set _ZN7rocprim17ROCPRIM_400000_NS6detail17trampoline_kernelINS0_13select_configILj256ELj13ELNS0_17block_load_methodE3ELS4_3ELS4_3ELNS0_20block_scan_algorithmE0ELj4294967295EEENS1_25partition_config_selectorILNS1_17partition_subalgoE3EjNS0_10empty_typeEbEEZZNS1_14partition_implILS8_3ELb0ES6_jNS0_17counting_iteratorIjlEEPS9_SE_NS0_5tupleIJPjSE_EEENSF_IJSE_SE_EEES9_SG_JZNS1_25segmented_radix_sort_implINS0_14default_configELb1EPKlPlSM_SN_N2at6native12_GLOBAL__N_18offset_tEEE10hipError_tPvRmT1_PNSt15iterator_traitsISV_E10value_typeET2_T3_PNSW_IS11_E10value_typeET4_jRbjT5_S17_jjP12ihipStream_tbEUljE_EEESS_ST_SU_S11_S15_S17_T6_T7_T9_mT8_S19_bDpT10_ENKUlT_T0_E_clISt17integral_constantIbLb1EES1M_EEDaS1H_S1I_EUlS1H_E_NS1_11comp_targetILNS1_3genE3ELNS1_11target_archE908ELNS1_3gpuE7ELNS1_3repE0EEENS1_30default_config_static_selectorELNS0_4arch9wavefront6targetE0EEEvSV_.private_seg_size, 0
	.set _ZN7rocprim17ROCPRIM_400000_NS6detail17trampoline_kernelINS0_13select_configILj256ELj13ELNS0_17block_load_methodE3ELS4_3ELS4_3ELNS0_20block_scan_algorithmE0ELj4294967295EEENS1_25partition_config_selectorILNS1_17partition_subalgoE3EjNS0_10empty_typeEbEEZZNS1_14partition_implILS8_3ELb0ES6_jNS0_17counting_iteratorIjlEEPS9_SE_NS0_5tupleIJPjSE_EEENSF_IJSE_SE_EEES9_SG_JZNS1_25segmented_radix_sort_implINS0_14default_configELb1EPKlPlSM_SN_N2at6native12_GLOBAL__N_18offset_tEEE10hipError_tPvRmT1_PNSt15iterator_traitsISV_E10value_typeET2_T3_PNSW_IS11_E10value_typeET4_jRbjT5_S17_jjP12ihipStream_tbEUljE_EEESS_ST_SU_S11_S15_S17_T6_T7_T9_mT8_S19_bDpT10_ENKUlT_T0_E_clISt17integral_constantIbLb1EES1M_EEDaS1H_S1I_EUlS1H_E_NS1_11comp_targetILNS1_3genE3ELNS1_11target_archE908ELNS1_3gpuE7ELNS1_3repE0EEENS1_30default_config_static_selectorELNS0_4arch9wavefront6targetE0EEEvSV_.uses_vcc, 0
	.set _ZN7rocprim17ROCPRIM_400000_NS6detail17trampoline_kernelINS0_13select_configILj256ELj13ELNS0_17block_load_methodE3ELS4_3ELS4_3ELNS0_20block_scan_algorithmE0ELj4294967295EEENS1_25partition_config_selectorILNS1_17partition_subalgoE3EjNS0_10empty_typeEbEEZZNS1_14partition_implILS8_3ELb0ES6_jNS0_17counting_iteratorIjlEEPS9_SE_NS0_5tupleIJPjSE_EEENSF_IJSE_SE_EEES9_SG_JZNS1_25segmented_radix_sort_implINS0_14default_configELb1EPKlPlSM_SN_N2at6native12_GLOBAL__N_18offset_tEEE10hipError_tPvRmT1_PNSt15iterator_traitsISV_E10value_typeET2_T3_PNSW_IS11_E10value_typeET4_jRbjT5_S17_jjP12ihipStream_tbEUljE_EEESS_ST_SU_S11_S15_S17_T6_T7_T9_mT8_S19_bDpT10_ENKUlT_T0_E_clISt17integral_constantIbLb1EES1M_EEDaS1H_S1I_EUlS1H_E_NS1_11comp_targetILNS1_3genE3ELNS1_11target_archE908ELNS1_3gpuE7ELNS1_3repE0EEENS1_30default_config_static_selectorELNS0_4arch9wavefront6targetE0EEEvSV_.uses_flat_scratch, 0
	.set _ZN7rocprim17ROCPRIM_400000_NS6detail17trampoline_kernelINS0_13select_configILj256ELj13ELNS0_17block_load_methodE3ELS4_3ELS4_3ELNS0_20block_scan_algorithmE0ELj4294967295EEENS1_25partition_config_selectorILNS1_17partition_subalgoE3EjNS0_10empty_typeEbEEZZNS1_14partition_implILS8_3ELb0ES6_jNS0_17counting_iteratorIjlEEPS9_SE_NS0_5tupleIJPjSE_EEENSF_IJSE_SE_EEES9_SG_JZNS1_25segmented_radix_sort_implINS0_14default_configELb1EPKlPlSM_SN_N2at6native12_GLOBAL__N_18offset_tEEE10hipError_tPvRmT1_PNSt15iterator_traitsISV_E10value_typeET2_T3_PNSW_IS11_E10value_typeET4_jRbjT5_S17_jjP12ihipStream_tbEUljE_EEESS_ST_SU_S11_S15_S17_T6_T7_T9_mT8_S19_bDpT10_ENKUlT_T0_E_clISt17integral_constantIbLb1EES1M_EEDaS1H_S1I_EUlS1H_E_NS1_11comp_targetILNS1_3genE3ELNS1_11target_archE908ELNS1_3gpuE7ELNS1_3repE0EEENS1_30default_config_static_selectorELNS0_4arch9wavefront6targetE0EEEvSV_.has_dyn_sized_stack, 0
	.set _ZN7rocprim17ROCPRIM_400000_NS6detail17trampoline_kernelINS0_13select_configILj256ELj13ELNS0_17block_load_methodE3ELS4_3ELS4_3ELNS0_20block_scan_algorithmE0ELj4294967295EEENS1_25partition_config_selectorILNS1_17partition_subalgoE3EjNS0_10empty_typeEbEEZZNS1_14partition_implILS8_3ELb0ES6_jNS0_17counting_iteratorIjlEEPS9_SE_NS0_5tupleIJPjSE_EEENSF_IJSE_SE_EEES9_SG_JZNS1_25segmented_radix_sort_implINS0_14default_configELb1EPKlPlSM_SN_N2at6native12_GLOBAL__N_18offset_tEEE10hipError_tPvRmT1_PNSt15iterator_traitsISV_E10value_typeET2_T3_PNSW_IS11_E10value_typeET4_jRbjT5_S17_jjP12ihipStream_tbEUljE_EEESS_ST_SU_S11_S15_S17_T6_T7_T9_mT8_S19_bDpT10_ENKUlT_T0_E_clISt17integral_constantIbLb1EES1M_EEDaS1H_S1I_EUlS1H_E_NS1_11comp_targetILNS1_3genE3ELNS1_11target_archE908ELNS1_3gpuE7ELNS1_3repE0EEENS1_30default_config_static_selectorELNS0_4arch9wavefront6targetE0EEEvSV_.has_recursion, 0
	.set _ZN7rocprim17ROCPRIM_400000_NS6detail17trampoline_kernelINS0_13select_configILj256ELj13ELNS0_17block_load_methodE3ELS4_3ELS4_3ELNS0_20block_scan_algorithmE0ELj4294967295EEENS1_25partition_config_selectorILNS1_17partition_subalgoE3EjNS0_10empty_typeEbEEZZNS1_14partition_implILS8_3ELb0ES6_jNS0_17counting_iteratorIjlEEPS9_SE_NS0_5tupleIJPjSE_EEENSF_IJSE_SE_EEES9_SG_JZNS1_25segmented_radix_sort_implINS0_14default_configELb1EPKlPlSM_SN_N2at6native12_GLOBAL__N_18offset_tEEE10hipError_tPvRmT1_PNSt15iterator_traitsISV_E10value_typeET2_T3_PNSW_IS11_E10value_typeET4_jRbjT5_S17_jjP12ihipStream_tbEUljE_EEESS_ST_SU_S11_S15_S17_T6_T7_T9_mT8_S19_bDpT10_ENKUlT_T0_E_clISt17integral_constantIbLb1EES1M_EEDaS1H_S1I_EUlS1H_E_NS1_11comp_targetILNS1_3genE3ELNS1_11target_archE908ELNS1_3gpuE7ELNS1_3repE0EEENS1_30default_config_static_selectorELNS0_4arch9wavefront6targetE0EEEvSV_.has_indirect_call, 0
	.section	.AMDGPU.csdata,"",@progbits
; Kernel info:
; codeLenInByte = 0
; TotalNumSgprs: 0
; NumVgprs: 0
; ScratchSize: 0
; MemoryBound: 0
; FloatMode: 240
; IeeeMode: 1
; LDSByteSize: 0 bytes/workgroup (compile time only)
; SGPRBlocks: 0
; VGPRBlocks: 0
; NumSGPRsForWavesPerEU: 1
; NumVGPRsForWavesPerEU: 1
; NamedBarCnt: 0
; Occupancy: 16
; WaveLimiterHint : 0
; COMPUTE_PGM_RSRC2:SCRATCH_EN: 0
; COMPUTE_PGM_RSRC2:USER_SGPR: 2
; COMPUTE_PGM_RSRC2:TRAP_HANDLER: 0
; COMPUTE_PGM_RSRC2:TGID_X_EN: 1
; COMPUTE_PGM_RSRC2:TGID_Y_EN: 0
; COMPUTE_PGM_RSRC2:TGID_Z_EN: 0
; COMPUTE_PGM_RSRC2:TIDIG_COMP_CNT: 0
	.section	.text._ZN7rocprim17ROCPRIM_400000_NS6detail17trampoline_kernelINS0_13select_configILj256ELj13ELNS0_17block_load_methodE3ELS4_3ELS4_3ELNS0_20block_scan_algorithmE0ELj4294967295EEENS1_25partition_config_selectorILNS1_17partition_subalgoE3EjNS0_10empty_typeEbEEZZNS1_14partition_implILS8_3ELb0ES6_jNS0_17counting_iteratorIjlEEPS9_SE_NS0_5tupleIJPjSE_EEENSF_IJSE_SE_EEES9_SG_JZNS1_25segmented_radix_sort_implINS0_14default_configELb1EPKlPlSM_SN_N2at6native12_GLOBAL__N_18offset_tEEE10hipError_tPvRmT1_PNSt15iterator_traitsISV_E10value_typeET2_T3_PNSW_IS11_E10value_typeET4_jRbjT5_S17_jjP12ihipStream_tbEUljE_EEESS_ST_SU_S11_S15_S17_T6_T7_T9_mT8_S19_bDpT10_ENKUlT_T0_E_clISt17integral_constantIbLb1EES1M_EEDaS1H_S1I_EUlS1H_E_NS1_11comp_targetILNS1_3genE2ELNS1_11target_archE906ELNS1_3gpuE6ELNS1_3repE0EEENS1_30default_config_static_selectorELNS0_4arch9wavefront6targetE0EEEvSV_,"axG",@progbits,_ZN7rocprim17ROCPRIM_400000_NS6detail17trampoline_kernelINS0_13select_configILj256ELj13ELNS0_17block_load_methodE3ELS4_3ELS4_3ELNS0_20block_scan_algorithmE0ELj4294967295EEENS1_25partition_config_selectorILNS1_17partition_subalgoE3EjNS0_10empty_typeEbEEZZNS1_14partition_implILS8_3ELb0ES6_jNS0_17counting_iteratorIjlEEPS9_SE_NS0_5tupleIJPjSE_EEENSF_IJSE_SE_EEES9_SG_JZNS1_25segmented_radix_sort_implINS0_14default_configELb1EPKlPlSM_SN_N2at6native12_GLOBAL__N_18offset_tEEE10hipError_tPvRmT1_PNSt15iterator_traitsISV_E10value_typeET2_T3_PNSW_IS11_E10value_typeET4_jRbjT5_S17_jjP12ihipStream_tbEUljE_EEESS_ST_SU_S11_S15_S17_T6_T7_T9_mT8_S19_bDpT10_ENKUlT_T0_E_clISt17integral_constantIbLb1EES1M_EEDaS1H_S1I_EUlS1H_E_NS1_11comp_targetILNS1_3genE2ELNS1_11target_archE906ELNS1_3gpuE6ELNS1_3repE0EEENS1_30default_config_static_selectorELNS0_4arch9wavefront6targetE0EEEvSV_,comdat
	.globl	_ZN7rocprim17ROCPRIM_400000_NS6detail17trampoline_kernelINS0_13select_configILj256ELj13ELNS0_17block_load_methodE3ELS4_3ELS4_3ELNS0_20block_scan_algorithmE0ELj4294967295EEENS1_25partition_config_selectorILNS1_17partition_subalgoE3EjNS0_10empty_typeEbEEZZNS1_14partition_implILS8_3ELb0ES6_jNS0_17counting_iteratorIjlEEPS9_SE_NS0_5tupleIJPjSE_EEENSF_IJSE_SE_EEES9_SG_JZNS1_25segmented_radix_sort_implINS0_14default_configELb1EPKlPlSM_SN_N2at6native12_GLOBAL__N_18offset_tEEE10hipError_tPvRmT1_PNSt15iterator_traitsISV_E10value_typeET2_T3_PNSW_IS11_E10value_typeET4_jRbjT5_S17_jjP12ihipStream_tbEUljE_EEESS_ST_SU_S11_S15_S17_T6_T7_T9_mT8_S19_bDpT10_ENKUlT_T0_E_clISt17integral_constantIbLb1EES1M_EEDaS1H_S1I_EUlS1H_E_NS1_11comp_targetILNS1_3genE2ELNS1_11target_archE906ELNS1_3gpuE6ELNS1_3repE0EEENS1_30default_config_static_selectorELNS0_4arch9wavefront6targetE0EEEvSV_ ; -- Begin function _ZN7rocprim17ROCPRIM_400000_NS6detail17trampoline_kernelINS0_13select_configILj256ELj13ELNS0_17block_load_methodE3ELS4_3ELS4_3ELNS0_20block_scan_algorithmE0ELj4294967295EEENS1_25partition_config_selectorILNS1_17partition_subalgoE3EjNS0_10empty_typeEbEEZZNS1_14partition_implILS8_3ELb0ES6_jNS0_17counting_iteratorIjlEEPS9_SE_NS0_5tupleIJPjSE_EEENSF_IJSE_SE_EEES9_SG_JZNS1_25segmented_radix_sort_implINS0_14default_configELb1EPKlPlSM_SN_N2at6native12_GLOBAL__N_18offset_tEEE10hipError_tPvRmT1_PNSt15iterator_traitsISV_E10value_typeET2_T3_PNSW_IS11_E10value_typeET4_jRbjT5_S17_jjP12ihipStream_tbEUljE_EEESS_ST_SU_S11_S15_S17_T6_T7_T9_mT8_S19_bDpT10_ENKUlT_T0_E_clISt17integral_constantIbLb1EES1M_EEDaS1H_S1I_EUlS1H_E_NS1_11comp_targetILNS1_3genE2ELNS1_11target_archE906ELNS1_3gpuE6ELNS1_3repE0EEENS1_30default_config_static_selectorELNS0_4arch9wavefront6targetE0EEEvSV_
	.p2align	8
	.type	_ZN7rocprim17ROCPRIM_400000_NS6detail17trampoline_kernelINS0_13select_configILj256ELj13ELNS0_17block_load_methodE3ELS4_3ELS4_3ELNS0_20block_scan_algorithmE0ELj4294967295EEENS1_25partition_config_selectorILNS1_17partition_subalgoE3EjNS0_10empty_typeEbEEZZNS1_14partition_implILS8_3ELb0ES6_jNS0_17counting_iteratorIjlEEPS9_SE_NS0_5tupleIJPjSE_EEENSF_IJSE_SE_EEES9_SG_JZNS1_25segmented_radix_sort_implINS0_14default_configELb1EPKlPlSM_SN_N2at6native12_GLOBAL__N_18offset_tEEE10hipError_tPvRmT1_PNSt15iterator_traitsISV_E10value_typeET2_T3_PNSW_IS11_E10value_typeET4_jRbjT5_S17_jjP12ihipStream_tbEUljE_EEESS_ST_SU_S11_S15_S17_T6_T7_T9_mT8_S19_bDpT10_ENKUlT_T0_E_clISt17integral_constantIbLb1EES1M_EEDaS1H_S1I_EUlS1H_E_NS1_11comp_targetILNS1_3genE2ELNS1_11target_archE906ELNS1_3gpuE6ELNS1_3repE0EEENS1_30default_config_static_selectorELNS0_4arch9wavefront6targetE0EEEvSV_,@function
_ZN7rocprim17ROCPRIM_400000_NS6detail17trampoline_kernelINS0_13select_configILj256ELj13ELNS0_17block_load_methodE3ELS4_3ELS4_3ELNS0_20block_scan_algorithmE0ELj4294967295EEENS1_25partition_config_selectorILNS1_17partition_subalgoE3EjNS0_10empty_typeEbEEZZNS1_14partition_implILS8_3ELb0ES6_jNS0_17counting_iteratorIjlEEPS9_SE_NS0_5tupleIJPjSE_EEENSF_IJSE_SE_EEES9_SG_JZNS1_25segmented_radix_sort_implINS0_14default_configELb1EPKlPlSM_SN_N2at6native12_GLOBAL__N_18offset_tEEE10hipError_tPvRmT1_PNSt15iterator_traitsISV_E10value_typeET2_T3_PNSW_IS11_E10value_typeET4_jRbjT5_S17_jjP12ihipStream_tbEUljE_EEESS_ST_SU_S11_S15_S17_T6_T7_T9_mT8_S19_bDpT10_ENKUlT_T0_E_clISt17integral_constantIbLb1EES1M_EEDaS1H_S1I_EUlS1H_E_NS1_11comp_targetILNS1_3genE2ELNS1_11target_archE906ELNS1_3gpuE6ELNS1_3repE0EEENS1_30default_config_static_selectorELNS0_4arch9wavefront6targetE0EEEvSV_: ; @_ZN7rocprim17ROCPRIM_400000_NS6detail17trampoline_kernelINS0_13select_configILj256ELj13ELNS0_17block_load_methodE3ELS4_3ELS4_3ELNS0_20block_scan_algorithmE0ELj4294967295EEENS1_25partition_config_selectorILNS1_17partition_subalgoE3EjNS0_10empty_typeEbEEZZNS1_14partition_implILS8_3ELb0ES6_jNS0_17counting_iteratorIjlEEPS9_SE_NS0_5tupleIJPjSE_EEENSF_IJSE_SE_EEES9_SG_JZNS1_25segmented_radix_sort_implINS0_14default_configELb1EPKlPlSM_SN_N2at6native12_GLOBAL__N_18offset_tEEE10hipError_tPvRmT1_PNSt15iterator_traitsISV_E10value_typeET2_T3_PNSW_IS11_E10value_typeET4_jRbjT5_S17_jjP12ihipStream_tbEUljE_EEESS_ST_SU_S11_S15_S17_T6_T7_T9_mT8_S19_bDpT10_ENKUlT_T0_E_clISt17integral_constantIbLb1EES1M_EEDaS1H_S1I_EUlS1H_E_NS1_11comp_targetILNS1_3genE2ELNS1_11target_archE906ELNS1_3gpuE6ELNS1_3repE0EEENS1_30default_config_static_selectorELNS0_4arch9wavefront6targetE0EEEvSV_
; %bb.0:
	.section	.rodata,"a",@progbits
	.p2align	6, 0x0
	.amdhsa_kernel _ZN7rocprim17ROCPRIM_400000_NS6detail17trampoline_kernelINS0_13select_configILj256ELj13ELNS0_17block_load_methodE3ELS4_3ELS4_3ELNS0_20block_scan_algorithmE0ELj4294967295EEENS1_25partition_config_selectorILNS1_17partition_subalgoE3EjNS0_10empty_typeEbEEZZNS1_14partition_implILS8_3ELb0ES6_jNS0_17counting_iteratorIjlEEPS9_SE_NS0_5tupleIJPjSE_EEENSF_IJSE_SE_EEES9_SG_JZNS1_25segmented_radix_sort_implINS0_14default_configELb1EPKlPlSM_SN_N2at6native12_GLOBAL__N_18offset_tEEE10hipError_tPvRmT1_PNSt15iterator_traitsISV_E10value_typeET2_T3_PNSW_IS11_E10value_typeET4_jRbjT5_S17_jjP12ihipStream_tbEUljE_EEESS_ST_SU_S11_S15_S17_T6_T7_T9_mT8_S19_bDpT10_ENKUlT_T0_E_clISt17integral_constantIbLb1EES1M_EEDaS1H_S1I_EUlS1H_E_NS1_11comp_targetILNS1_3genE2ELNS1_11target_archE906ELNS1_3gpuE6ELNS1_3repE0EEENS1_30default_config_static_selectorELNS0_4arch9wavefront6targetE0EEEvSV_
		.amdhsa_group_segment_fixed_size 0
		.amdhsa_private_segment_fixed_size 0
		.amdhsa_kernarg_size 152
		.amdhsa_user_sgpr_count 2
		.amdhsa_user_sgpr_dispatch_ptr 0
		.amdhsa_user_sgpr_queue_ptr 0
		.amdhsa_user_sgpr_kernarg_segment_ptr 1
		.amdhsa_user_sgpr_dispatch_id 0
		.amdhsa_user_sgpr_kernarg_preload_length 0
		.amdhsa_user_sgpr_kernarg_preload_offset 0
		.amdhsa_user_sgpr_private_segment_size 0
		.amdhsa_wavefront_size32 1
		.amdhsa_uses_dynamic_stack 0
		.amdhsa_enable_private_segment 0
		.amdhsa_system_sgpr_workgroup_id_x 1
		.amdhsa_system_sgpr_workgroup_id_y 0
		.amdhsa_system_sgpr_workgroup_id_z 0
		.amdhsa_system_sgpr_workgroup_info 0
		.amdhsa_system_vgpr_workitem_id 0
		.amdhsa_next_free_vgpr 1
		.amdhsa_next_free_sgpr 1
		.amdhsa_named_barrier_count 0
		.amdhsa_reserve_vcc 0
		.amdhsa_float_round_mode_32 0
		.amdhsa_float_round_mode_16_64 0
		.amdhsa_float_denorm_mode_32 3
		.amdhsa_float_denorm_mode_16_64 3
		.amdhsa_fp16_overflow 0
		.amdhsa_memory_ordered 1
		.amdhsa_forward_progress 1
		.amdhsa_inst_pref_size 0
		.amdhsa_round_robin_scheduling 0
		.amdhsa_exception_fp_ieee_invalid_op 0
		.amdhsa_exception_fp_denorm_src 0
		.amdhsa_exception_fp_ieee_div_zero 0
		.amdhsa_exception_fp_ieee_overflow 0
		.amdhsa_exception_fp_ieee_underflow 0
		.amdhsa_exception_fp_ieee_inexact 0
		.amdhsa_exception_int_div_zero 0
	.end_amdhsa_kernel
	.section	.text._ZN7rocprim17ROCPRIM_400000_NS6detail17trampoline_kernelINS0_13select_configILj256ELj13ELNS0_17block_load_methodE3ELS4_3ELS4_3ELNS0_20block_scan_algorithmE0ELj4294967295EEENS1_25partition_config_selectorILNS1_17partition_subalgoE3EjNS0_10empty_typeEbEEZZNS1_14partition_implILS8_3ELb0ES6_jNS0_17counting_iteratorIjlEEPS9_SE_NS0_5tupleIJPjSE_EEENSF_IJSE_SE_EEES9_SG_JZNS1_25segmented_radix_sort_implINS0_14default_configELb1EPKlPlSM_SN_N2at6native12_GLOBAL__N_18offset_tEEE10hipError_tPvRmT1_PNSt15iterator_traitsISV_E10value_typeET2_T3_PNSW_IS11_E10value_typeET4_jRbjT5_S17_jjP12ihipStream_tbEUljE_EEESS_ST_SU_S11_S15_S17_T6_T7_T9_mT8_S19_bDpT10_ENKUlT_T0_E_clISt17integral_constantIbLb1EES1M_EEDaS1H_S1I_EUlS1H_E_NS1_11comp_targetILNS1_3genE2ELNS1_11target_archE906ELNS1_3gpuE6ELNS1_3repE0EEENS1_30default_config_static_selectorELNS0_4arch9wavefront6targetE0EEEvSV_,"axG",@progbits,_ZN7rocprim17ROCPRIM_400000_NS6detail17trampoline_kernelINS0_13select_configILj256ELj13ELNS0_17block_load_methodE3ELS4_3ELS4_3ELNS0_20block_scan_algorithmE0ELj4294967295EEENS1_25partition_config_selectorILNS1_17partition_subalgoE3EjNS0_10empty_typeEbEEZZNS1_14partition_implILS8_3ELb0ES6_jNS0_17counting_iteratorIjlEEPS9_SE_NS0_5tupleIJPjSE_EEENSF_IJSE_SE_EEES9_SG_JZNS1_25segmented_radix_sort_implINS0_14default_configELb1EPKlPlSM_SN_N2at6native12_GLOBAL__N_18offset_tEEE10hipError_tPvRmT1_PNSt15iterator_traitsISV_E10value_typeET2_T3_PNSW_IS11_E10value_typeET4_jRbjT5_S17_jjP12ihipStream_tbEUljE_EEESS_ST_SU_S11_S15_S17_T6_T7_T9_mT8_S19_bDpT10_ENKUlT_T0_E_clISt17integral_constantIbLb1EES1M_EEDaS1H_S1I_EUlS1H_E_NS1_11comp_targetILNS1_3genE2ELNS1_11target_archE906ELNS1_3gpuE6ELNS1_3repE0EEENS1_30default_config_static_selectorELNS0_4arch9wavefront6targetE0EEEvSV_,comdat
.Lfunc_end680:
	.size	_ZN7rocprim17ROCPRIM_400000_NS6detail17trampoline_kernelINS0_13select_configILj256ELj13ELNS0_17block_load_methodE3ELS4_3ELS4_3ELNS0_20block_scan_algorithmE0ELj4294967295EEENS1_25partition_config_selectorILNS1_17partition_subalgoE3EjNS0_10empty_typeEbEEZZNS1_14partition_implILS8_3ELb0ES6_jNS0_17counting_iteratorIjlEEPS9_SE_NS0_5tupleIJPjSE_EEENSF_IJSE_SE_EEES9_SG_JZNS1_25segmented_radix_sort_implINS0_14default_configELb1EPKlPlSM_SN_N2at6native12_GLOBAL__N_18offset_tEEE10hipError_tPvRmT1_PNSt15iterator_traitsISV_E10value_typeET2_T3_PNSW_IS11_E10value_typeET4_jRbjT5_S17_jjP12ihipStream_tbEUljE_EEESS_ST_SU_S11_S15_S17_T6_T7_T9_mT8_S19_bDpT10_ENKUlT_T0_E_clISt17integral_constantIbLb1EES1M_EEDaS1H_S1I_EUlS1H_E_NS1_11comp_targetILNS1_3genE2ELNS1_11target_archE906ELNS1_3gpuE6ELNS1_3repE0EEENS1_30default_config_static_selectorELNS0_4arch9wavefront6targetE0EEEvSV_, .Lfunc_end680-_ZN7rocprim17ROCPRIM_400000_NS6detail17trampoline_kernelINS0_13select_configILj256ELj13ELNS0_17block_load_methodE3ELS4_3ELS4_3ELNS0_20block_scan_algorithmE0ELj4294967295EEENS1_25partition_config_selectorILNS1_17partition_subalgoE3EjNS0_10empty_typeEbEEZZNS1_14partition_implILS8_3ELb0ES6_jNS0_17counting_iteratorIjlEEPS9_SE_NS0_5tupleIJPjSE_EEENSF_IJSE_SE_EEES9_SG_JZNS1_25segmented_radix_sort_implINS0_14default_configELb1EPKlPlSM_SN_N2at6native12_GLOBAL__N_18offset_tEEE10hipError_tPvRmT1_PNSt15iterator_traitsISV_E10value_typeET2_T3_PNSW_IS11_E10value_typeET4_jRbjT5_S17_jjP12ihipStream_tbEUljE_EEESS_ST_SU_S11_S15_S17_T6_T7_T9_mT8_S19_bDpT10_ENKUlT_T0_E_clISt17integral_constantIbLb1EES1M_EEDaS1H_S1I_EUlS1H_E_NS1_11comp_targetILNS1_3genE2ELNS1_11target_archE906ELNS1_3gpuE6ELNS1_3repE0EEENS1_30default_config_static_selectorELNS0_4arch9wavefront6targetE0EEEvSV_
                                        ; -- End function
	.set _ZN7rocprim17ROCPRIM_400000_NS6detail17trampoline_kernelINS0_13select_configILj256ELj13ELNS0_17block_load_methodE3ELS4_3ELS4_3ELNS0_20block_scan_algorithmE0ELj4294967295EEENS1_25partition_config_selectorILNS1_17partition_subalgoE3EjNS0_10empty_typeEbEEZZNS1_14partition_implILS8_3ELb0ES6_jNS0_17counting_iteratorIjlEEPS9_SE_NS0_5tupleIJPjSE_EEENSF_IJSE_SE_EEES9_SG_JZNS1_25segmented_radix_sort_implINS0_14default_configELb1EPKlPlSM_SN_N2at6native12_GLOBAL__N_18offset_tEEE10hipError_tPvRmT1_PNSt15iterator_traitsISV_E10value_typeET2_T3_PNSW_IS11_E10value_typeET4_jRbjT5_S17_jjP12ihipStream_tbEUljE_EEESS_ST_SU_S11_S15_S17_T6_T7_T9_mT8_S19_bDpT10_ENKUlT_T0_E_clISt17integral_constantIbLb1EES1M_EEDaS1H_S1I_EUlS1H_E_NS1_11comp_targetILNS1_3genE2ELNS1_11target_archE906ELNS1_3gpuE6ELNS1_3repE0EEENS1_30default_config_static_selectorELNS0_4arch9wavefront6targetE0EEEvSV_.num_vgpr, 0
	.set _ZN7rocprim17ROCPRIM_400000_NS6detail17trampoline_kernelINS0_13select_configILj256ELj13ELNS0_17block_load_methodE3ELS4_3ELS4_3ELNS0_20block_scan_algorithmE0ELj4294967295EEENS1_25partition_config_selectorILNS1_17partition_subalgoE3EjNS0_10empty_typeEbEEZZNS1_14partition_implILS8_3ELb0ES6_jNS0_17counting_iteratorIjlEEPS9_SE_NS0_5tupleIJPjSE_EEENSF_IJSE_SE_EEES9_SG_JZNS1_25segmented_radix_sort_implINS0_14default_configELb1EPKlPlSM_SN_N2at6native12_GLOBAL__N_18offset_tEEE10hipError_tPvRmT1_PNSt15iterator_traitsISV_E10value_typeET2_T3_PNSW_IS11_E10value_typeET4_jRbjT5_S17_jjP12ihipStream_tbEUljE_EEESS_ST_SU_S11_S15_S17_T6_T7_T9_mT8_S19_bDpT10_ENKUlT_T0_E_clISt17integral_constantIbLb1EES1M_EEDaS1H_S1I_EUlS1H_E_NS1_11comp_targetILNS1_3genE2ELNS1_11target_archE906ELNS1_3gpuE6ELNS1_3repE0EEENS1_30default_config_static_selectorELNS0_4arch9wavefront6targetE0EEEvSV_.num_agpr, 0
	.set _ZN7rocprim17ROCPRIM_400000_NS6detail17trampoline_kernelINS0_13select_configILj256ELj13ELNS0_17block_load_methodE3ELS4_3ELS4_3ELNS0_20block_scan_algorithmE0ELj4294967295EEENS1_25partition_config_selectorILNS1_17partition_subalgoE3EjNS0_10empty_typeEbEEZZNS1_14partition_implILS8_3ELb0ES6_jNS0_17counting_iteratorIjlEEPS9_SE_NS0_5tupleIJPjSE_EEENSF_IJSE_SE_EEES9_SG_JZNS1_25segmented_radix_sort_implINS0_14default_configELb1EPKlPlSM_SN_N2at6native12_GLOBAL__N_18offset_tEEE10hipError_tPvRmT1_PNSt15iterator_traitsISV_E10value_typeET2_T3_PNSW_IS11_E10value_typeET4_jRbjT5_S17_jjP12ihipStream_tbEUljE_EEESS_ST_SU_S11_S15_S17_T6_T7_T9_mT8_S19_bDpT10_ENKUlT_T0_E_clISt17integral_constantIbLb1EES1M_EEDaS1H_S1I_EUlS1H_E_NS1_11comp_targetILNS1_3genE2ELNS1_11target_archE906ELNS1_3gpuE6ELNS1_3repE0EEENS1_30default_config_static_selectorELNS0_4arch9wavefront6targetE0EEEvSV_.numbered_sgpr, 0
	.set _ZN7rocprim17ROCPRIM_400000_NS6detail17trampoline_kernelINS0_13select_configILj256ELj13ELNS0_17block_load_methodE3ELS4_3ELS4_3ELNS0_20block_scan_algorithmE0ELj4294967295EEENS1_25partition_config_selectorILNS1_17partition_subalgoE3EjNS0_10empty_typeEbEEZZNS1_14partition_implILS8_3ELb0ES6_jNS0_17counting_iteratorIjlEEPS9_SE_NS0_5tupleIJPjSE_EEENSF_IJSE_SE_EEES9_SG_JZNS1_25segmented_radix_sort_implINS0_14default_configELb1EPKlPlSM_SN_N2at6native12_GLOBAL__N_18offset_tEEE10hipError_tPvRmT1_PNSt15iterator_traitsISV_E10value_typeET2_T3_PNSW_IS11_E10value_typeET4_jRbjT5_S17_jjP12ihipStream_tbEUljE_EEESS_ST_SU_S11_S15_S17_T6_T7_T9_mT8_S19_bDpT10_ENKUlT_T0_E_clISt17integral_constantIbLb1EES1M_EEDaS1H_S1I_EUlS1H_E_NS1_11comp_targetILNS1_3genE2ELNS1_11target_archE906ELNS1_3gpuE6ELNS1_3repE0EEENS1_30default_config_static_selectorELNS0_4arch9wavefront6targetE0EEEvSV_.num_named_barrier, 0
	.set _ZN7rocprim17ROCPRIM_400000_NS6detail17trampoline_kernelINS0_13select_configILj256ELj13ELNS0_17block_load_methodE3ELS4_3ELS4_3ELNS0_20block_scan_algorithmE0ELj4294967295EEENS1_25partition_config_selectorILNS1_17partition_subalgoE3EjNS0_10empty_typeEbEEZZNS1_14partition_implILS8_3ELb0ES6_jNS0_17counting_iteratorIjlEEPS9_SE_NS0_5tupleIJPjSE_EEENSF_IJSE_SE_EEES9_SG_JZNS1_25segmented_radix_sort_implINS0_14default_configELb1EPKlPlSM_SN_N2at6native12_GLOBAL__N_18offset_tEEE10hipError_tPvRmT1_PNSt15iterator_traitsISV_E10value_typeET2_T3_PNSW_IS11_E10value_typeET4_jRbjT5_S17_jjP12ihipStream_tbEUljE_EEESS_ST_SU_S11_S15_S17_T6_T7_T9_mT8_S19_bDpT10_ENKUlT_T0_E_clISt17integral_constantIbLb1EES1M_EEDaS1H_S1I_EUlS1H_E_NS1_11comp_targetILNS1_3genE2ELNS1_11target_archE906ELNS1_3gpuE6ELNS1_3repE0EEENS1_30default_config_static_selectorELNS0_4arch9wavefront6targetE0EEEvSV_.private_seg_size, 0
	.set _ZN7rocprim17ROCPRIM_400000_NS6detail17trampoline_kernelINS0_13select_configILj256ELj13ELNS0_17block_load_methodE3ELS4_3ELS4_3ELNS0_20block_scan_algorithmE0ELj4294967295EEENS1_25partition_config_selectorILNS1_17partition_subalgoE3EjNS0_10empty_typeEbEEZZNS1_14partition_implILS8_3ELb0ES6_jNS0_17counting_iteratorIjlEEPS9_SE_NS0_5tupleIJPjSE_EEENSF_IJSE_SE_EEES9_SG_JZNS1_25segmented_radix_sort_implINS0_14default_configELb1EPKlPlSM_SN_N2at6native12_GLOBAL__N_18offset_tEEE10hipError_tPvRmT1_PNSt15iterator_traitsISV_E10value_typeET2_T3_PNSW_IS11_E10value_typeET4_jRbjT5_S17_jjP12ihipStream_tbEUljE_EEESS_ST_SU_S11_S15_S17_T6_T7_T9_mT8_S19_bDpT10_ENKUlT_T0_E_clISt17integral_constantIbLb1EES1M_EEDaS1H_S1I_EUlS1H_E_NS1_11comp_targetILNS1_3genE2ELNS1_11target_archE906ELNS1_3gpuE6ELNS1_3repE0EEENS1_30default_config_static_selectorELNS0_4arch9wavefront6targetE0EEEvSV_.uses_vcc, 0
	.set _ZN7rocprim17ROCPRIM_400000_NS6detail17trampoline_kernelINS0_13select_configILj256ELj13ELNS0_17block_load_methodE3ELS4_3ELS4_3ELNS0_20block_scan_algorithmE0ELj4294967295EEENS1_25partition_config_selectorILNS1_17partition_subalgoE3EjNS0_10empty_typeEbEEZZNS1_14partition_implILS8_3ELb0ES6_jNS0_17counting_iteratorIjlEEPS9_SE_NS0_5tupleIJPjSE_EEENSF_IJSE_SE_EEES9_SG_JZNS1_25segmented_radix_sort_implINS0_14default_configELb1EPKlPlSM_SN_N2at6native12_GLOBAL__N_18offset_tEEE10hipError_tPvRmT1_PNSt15iterator_traitsISV_E10value_typeET2_T3_PNSW_IS11_E10value_typeET4_jRbjT5_S17_jjP12ihipStream_tbEUljE_EEESS_ST_SU_S11_S15_S17_T6_T7_T9_mT8_S19_bDpT10_ENKUlT_T0_E_clISt17integral_constantIbLb1EES1M_EEDaS1H_S1I_EUlS1H_E_NS1_11comp_targetILNS1_3genE2ELNS1_11target_archE906ELNS1_3gpuE6ELNS1_3repE0EEENS1_30default_config_static_selectorELNS0_4arch9wavefront6targetE0EEEvSV_.uses_flat_scratch, 0
	.set _ZN7rocprim17ROCPRIM_400000_NS6detail17trampoline_kernelINS0_13select_configILj256ELj13ELNS0_17block_load_methodE3ELS4_3ELS4_3ELNS0_20block_scan_algorithmE0ELj4294967295EEENS1_25partition_config_selectorILNS1_17partition_subalgoE3EjNS0_10empty_typeEbEEZZNS1_14partition_implILS8_3ELb0ES6_jNS0_17counting_iteratorIjlEEPS9_SE_NS0_5tupleIJPjSE_EEENSF_IJSE_SE_EEES9_SG_JZNS1_25segmented_radix_sort_implINS0_14default_configELb1EPKlPlSM_SN_N2at6native12_GLOBAL__N_18offset_tEEE10hipError_tPvRmT1_PNSt15iterator_traitsISV_E10value_typeET2_T3_PNSW_IS11_E10value_typeET4_jRbjT5_S17_jjP12ihipStream_tbEUljE_EEESS_ST_SU_S11_S15_S17_T6_T7_T9_mT8_S19_bDpT10_ENKUlT_T0_E_clISt17integral_constantIbLb1EES1M_EEDaS1H_S1I_EUlS1H_E_NS1_11comp_targetILNS1_3genE2ELNS1_11target_archE906ELNS1_3gpuE6ELNS1_3repE0EEENS1_30default_config_static_selectorELNS0_4arch9wavefront6targetE0EEEvSV_.has_dyn_sized_stack, 0
	.set _ZN7rocprim17ROCPRIM_400000_NS6detail17trampoline_kernelINS0_13select_configILj256ELj13ELNS0_17block_load_methodE3ELS4_3ELS4_3ELNS0_20block_scan_algorithmE0ELj4294967295EEENS1_25partition_config_selectorILNS1_17partition_subalgoE3EjNS0_10empty_typeEbEEZZNS1_14partition_implILS8_3ELb0ES6_jNS0_17counting_iteratorIjlEEPS9_SE_NS0_5tupleIJPjSE_EEENSF_IJSE_SE_EEES9_SG_JZNS1_25segmented_radix_sort_implINS0_14default_configELb1EPKlPlSM_SN_N2at6native12_GLOBAL__N_18offset_tEEE10hipError_tPvRmT1_PNSt15iterator_traitsISV_E10value_typeET2_T3_PNSW_IS11_E10value_typeET4_jRbjT5_S17_jjP12ihipStream_tbEUljE_EEESS_ST_SU_S11_S15_S17_T6_T7_T9_mT8_S19_bDpT10_ENKUlT_T0_E_clISt17integral_constantIbLb1EES1M_EEDaS1H_S1I_EUlS1H_E_NS1_11comp_targetILNS1_3genE2ELNS1_11target_archE906ELNS1_3gpuE6ELNS1_3repE0EEENS1_30default_config_static_selectorELNS0_4arch9wavefront6targetE0EEEvSV_.has_recursion, 0
	.set _ZN7rocprim17ROCPRIM_400000_NS6detail17trampoline_kernelINS0_13select_configILj256ELj13ELNS0_17block_load_methodE3ELS4_3ELS4_3ELNS0_20block_scan_algorithmE0ELj4294967295EEENS1_25partition_config_selectorILNS1_17partition_subalgoE3EjNS0_10empty_typeEbEEZZNS1_14partition_implILS8_3ELb0ES6_jNS0_17counting_iteratorIjlEEPS9_SE_NS0_5tupleIJPjSE_EEENSF_IJSE_SE_EEES9_SG_JZNS1_25segmented_radix_sort_implINS0_14default_configELb1EPKlPlSM_SN_N2at6native12_GLOBAL__N_18offset_tEEE10hipError_tPvRmT1_PNSt15iterator_traitsISV_E10value_typeET2_T3_PNSW_IS11_E10value_typeET4_jRbjT5_S17_jjP12ihipStream_tbEUljE_EEESS_ST_SU_S11_S15_S17_T6_T7_T9_mT8_S19_bDpT10_ENKUlT_T0_E_clISt17integral_constantIbLb1EES1M_EEDaS1H_S1I_EUlS1H_E_NS1_11comp_targetILNS1_3genE2ELNS1_11target_archE906ELNS1_3gpuE6ELNS1_3repE0EEENS1_30default_config_static_selectorELNS0_4arch9wavefront6targetE0EEEvSV_.has_indirect_call, 0
	.section	.AMDGPU.csdata,"",@progbits
; Kernel info:
; codeLenInByte = 0
; TotalNumSgprs: 0
; NumVgprs: 0
; ScratchSize: 0
; MemoryBound: 0
; FloatMode: 240
; IeeeMode: 1
; LDSByteSize: 0 bytes/workgroup (compile time only)
; SGPRBlocks: 0
; VGPRBlocks: 0
; NumSGPRsForWavesPerEU: 1
; NumVGPRsForWavesPerEU: 1
; NamedBarCnt: 0
; Occupancy: 16
; WaveLimiterHint : 0
; COMPUTE_PGM_RSRC2:SCRATCH_EN: 0
; COMPUTE_PGM_RSRC2:USER_SGPR: 2
; COMPUTE_PGM_RSRC2:TRAP_HANDLER: 0
; COMPUTE_PGM_RSRC2:TGID_X_EN: 1
; COMPUTE_PGM_RSRC2:TGID_Y_EN: 0
; COMPUTE_PGM_RSRC2:TGID_Z_EN: 0
; COMPUTE_PGM_RSRC2:TIDIG_COMP_CNT: 0
	.section	.text._ZN7rocprim17ROCPRIM_400000_NS6detail17trampoline_kernelINS0_13select_configILj256ELj13ELNS0_17block_load_methodE3ELS4_3ELS4_3ELNS0_20block_scan_algorithmE0ELj4294967295EEENS1_25partition_config_selectorILNS1_17partition_subalgoE3EjNS0_10empty_typeEbEEZZNS1_14partition_implILS8_3ELb0ES6_jNS0_17counting_iteratorIjlEEPS9_SE_NS0_5tupleIJPjSE_EEENSF_IJSE_SE_EEES9_SG_JZNS1_25segmented_radix_sort_implINS0_14default_configELb1EPKlPlSM_SN_N2at6native12_GLOBAL__N_18offset_tEEE10hipError_tPvRmT1_PNSt15iterator_traitsISV_E10value_typeET2_T3_PNSW_IS11_E10value_typeET4_jRbjT5_S17_jjP12ihipStream_tbEUljE_EEESS_ST_SU_S11_S15_S17_T6_T7_T9_mT8_S19_bDpT10_ENKUlT_T0_E_clISt17integral_constantIbLb1EES1M_EEDaS1H_S1I_EUlS1H_E_NS1_11comp_targetILNS1_3genE10ELNS1_11target_archE1200ELNS1_3gpuE4ELNS1_3repE0EEENS1_30default_config_static_selectorELNS0_4arch9wavefront6targetE0EEEvSV_,"axG",@progbits,_ZN7rocprim17ROCPRIM_400000_NS6detail17trampoline_kernelINS0_13select_configILj256ELj13ELNS0_17block_load_methodE3ELS4_3ELS4_3ELNS0_20block_scan_algorithmE0ELj4294967295EEENS1_25partition_config_selectorILNS1_17partition_subalgoE3EjNS0_10empty_typeEbEEZZNS1_14partition_implILS8_3ELb0ES6_jNS0_17counting_iteratorIjlEEPS9_SE_NS0_5tupleIJPjSE_EEENSF_IJSE_SE_EEES9_SG_JZNS1_25segmented_radix_sort_implINS0_14default_configELb1EPKlPlSM_SN_N2at6native12_GLOBAL__N_18offset_tEEE10hipError_tPvRmT1_PNSt15iterator_traitsISV_E10value_typeET2_T3_PNSW_IS11_E10value_typeET4_jRbjT5_S17_jjP12ihipStream_tbEUljE_EEESS_ST_SU_S11_S15_S17_T6_T7_T9_mT8_S19_bDpT10_ENKUlT_T0_E_clISt17integral_constantIbLb1EES1M_EEDaS1H_S1I_EUlS1H_E_NS1_11comp_targetILNS1_3genE10ELNS1_11target_archE1200ELNS1_3gpuE4ELNS1_3repE0EEENS1_30default_config_static_selectorELNS0_4arch9wavefront6targetE0EEEvSV_,comdat
	.globl	_ZN7rocprim17ROCPRIM_400000_NS6detail17trampoline_kernelINS0_13select_configILj256ELj13ELNS0_17block_load_methodE3ELS4_3ELS4_3ELNS0_20block_scan_algorithmE0ELj4294967295EEENS1_25partition_config_selectorILNS1_17partition_subalgoE3EjNS0_10empty_typeEbEEZZNS1_14partition_implILS8_3ELb0ES6_jNS0_17counting_iteratorIjlEEPS9_SE_NS0_5tupleIJPjSE_EEENSF_IJSE_SE_EEES9_SG_JZNS1_25segmented_radix_sort_implINS0_14default_configELb1EPKlPlSM_SN_N2at6native12_GLOBAL__N_18offset_tEEE10hipError_tPvRmT1_PNSt15iterator_traitsISV_E10value_typeET2_T3_PNSW_IS11_E10value_typeET4_jRbjT5_S17_jjP12ihipStream_tbEUljE_EEESS_ST_SU_S11_S15_S17_T6_T7_T9_mT8_S19_bDpT10_ENKUlT_T0_E_clISt17integral_constantIbLb1EES1M_EEDaS1H_S1I_EUlS1H_E_NS1_11comp_targetILNS1_3genE10ELNS1_11target_archE1200ELNS1_3gpuE4ELNS1_3repE0EEENS1_30default_config_static_selectorELNS0_4arch9wavefront6targetE0EEEvSV_ ; -- Begin function _ZN7rocprim17ROCPRIM_400000_NS6detail17trampoline_kernelINS0_13select_configILj256ELj13ELNS0_17block_load_methodE3ELS4_3ELS4_3ELNS0_20block_scan_algorithmE0ELj4294967295EEENS1_25partition_config_selectorILNS1_17partition_subalgoE3EjNS0_10empty_typeEbEEZZNS1_14partition_implILS8_3ELb0ES6_jNS0_17counting_iteratorIjlEEPS9_SE_NS0_5tupleIJPjSE_EEENSF_IJSE_SE_EEES9_SG_JZNS1_25segmented_radix_sort_implINS0_14default_configELb1EPKlPlSM_SN_N2at6native12_GLOBAL__N_18offset_tEEE10hipError_tPvRmT1_PNSt15iterator_traitsISV_E10value_typeET2_T3_PNSW_IS11_E10value_typeET4_jRbjT5_S17_jjP12ihipStream_tbEUljE_EEESS_ST_SU_S11_S15_S17_T6_T7_T9_mT8_S19_bDpT10_ENKUlT_T0_E_clISt17integral_constantIbLb1EES1M_EEDaS1H_S1I_EUlS1H_E_NS1_11comp_targetILNS1_3genE10ELNS1_11target_archE1200ELNS1_3gpuE4ELNS1_3repE0EEENS1_30default_config_static_selectorELNS0_4arch9wavefront6targetE0EEEvSV_
	.p2align	8
	.type	_ZN7rocprim17ROCPRIM_400000_NS6detail17trampoline_kernelINS0_13select_configILj256ELj13ELNS0_17block_load_methodE3ELS4_3ELS4_3ELNS0_20block_scan_algorithmE0ELj4294967295EEENS1_25partition_config_selectorILNS1_17partition_subalgoE3EjNS0_10empty_typeEbEEZZNS1_14partition_implILS8_3ELb0ES6_jNS0_17counting_iteratorIjlEEPS9_SE_NS0_5tupleIJPjSE_EEENSF_IJSE_SE_EEES9_SG_JZNS1_25segmented_radix_sort_implINS0_14default_configELb1EPKlPlSM_SN_N2at6native12_GLOBAL__N_18offset_tEEE10hipError_tPvRmT1_PNSt15iterator_traitsISV_E10value_typeET2_T3_PNSW_IS11_E10value_typeET4_jRbjT5_S17_jjP12ihipStream_tbEUljE_EEESS_ST_SU_S11_S15_S17_T6_T7_T9_mT8_S19_bDpT10_ENKUlT_T0_E_clISt17integral_constantIbLb1EES1M_EEDaS1H_S1I_EUlS1H_E_NS1_11comp_targetILNS1_3genE10ELNS1_11target_archE1200ELNS1_3gpuE4ELNS1_3repE0EEENS1_30default_config_static_selectorELNS0_4arch9wavefront6targetE0EEEvSV_,@function
_ZN7rocprim17ROCPRIM_400000_NS6detail17trampoline_kernelINS0_13select_configILj256ELj13ELNS0_17block_load_methodE3ELS4_3ELS4_3ELNS0_20block_scan_algorithmE0ELj4294967295EEENS1_25partition_config_selectorILNS1_17partition_subalgoE3EjNS0_10empty_typeEbEEZZNS1_14partition_implILS8_3ELb0ES6_jNS0_17counting_iteratorIjlEEPS9_SE_NS0_5tupleIJPjSE_EEENSF_IJSE_SE_EEES9_SG_JZNS1_25segmented_radix_sort_implINS0_14default_configELb1EPKlPlSM_SN_N2at6native12_GLOBAL__N_18offset_tEEE10hipError_tPvRmT1_PNSt15iterator_traitsISV_E10value_typeET2_T3_PNSW_IS11_E10value_typeET4_jRbjT5_S17_jjP12ihipStream_tbEUljE_EEESS_ST_SU_S11_S15_S17_T6_T7_T9_mT8_S19_bDpT10_ENKUlT_T0_E_clISt17integral_constantIbLb1EES1M_EEDaS1H_S1I_EUlS1H_E_NS1_11comp_targetILNS1_3genE10ELNS1_11target_archE1200ELNS1_3gpuE4ELNS1_3repE0EEENS1_30default_config_static_selectorELNS0_4arch9wavefront6targetE0EEEvSV_: ; @_ZN7rocprim17ROCPRIM_400000_NS6detail17trampoline_kernelINS0_13select_configILj256ELj13ELNS0_17block_load_methodE3ELS4_3ELS4_3ELNS0_20block_scan_algorithmE0ELj4294967295EEENS1_25partition_config_selectorILNS1_17partition_subalgoE3EjNS0_10empty_typeEbEEZZNS1_14partition_implILS8_3ELb0ES6_jNS0_17counting_iteratorIjlEEPS9_SE_NS0_5tupleIJPjSE_EEENSF_IJSE_SE_EEES9_SG_JZNS1_25segmented_radix_sort_implINS0_14default_configELb1EPKlPlSM_SN_N2at6native12_GLOBAL__N_18offset_tEEE10hipError_tPvRmT1_PNSt15iterator_traitsISV_E10value_typeET2_T3_PNSW_IS11_E10value_typeET4_jRbjT5_S17_jjP12ihipStream_tbEUljE_EEESS_ST_SU_S11_S15_S17_T6_T7_T9_mT8_S19_bDpT10_ENKUlT_T0_E_clISt17integral_constantIbLb1EES1M_EEDaS1H_S1I_EUlS1H_E_NS1_11comp_targetILNS1_3genE10ELNS1_11target_archE1200ELNS1_3gpuE4ELNS1_3repE0EEENS1_30default_config_static_selectorELNS0_4arch9wavefront6targetE0EEEvSV_
; %bb.0:
	.section	.rodata,"a",@progbits
	.p2align	6, 0x0
	.amdhsa_kernel _ZN7rocprim17ROCPRIM_400000_NS6detail17trampoline_kernelINS0_13select_configILj256ELj13ELNS0_17block_load_methodE3ELS4_3ELS4_3ELNS0_20block_scan_algorithmE0ELj4294967295EEENS1_25partition_config_selectorILNS1_17partition_subalgoE3EjNS0_10empty_typeEbEEZZNS1_14partition_implILS8_3ELb0ES6_jNS0_17counting_iteratorIjlEEPS9_SE_NS0_5tupleIJPjSE_EEENSF_IJSE_SE_EEES9_SG_JZNS1_25segmented_radix_sort_implINS0_14default_configELb1EPKlPlSM_SN_N2at6native12_GLOBAL__N_18offset_tEEE10hipError_tPvRmT1_PNSt15iterator_traitsISV_E10value_typeET2_T3_PNSW_IS11_E10value_typeET4_jRbjT5_S17_jjP12ihipStream_tbEUljE_EEESS_ST_SU_S11_S15_S17_T6_T7_T9_mT8_S19_bDpT10_ENKUlT_T0_E_clISt17integral_constantIbLb1EES1M_EEDaS1H_S1I_EUlS1H_E_NS1_11comp_targetILNS1_3genE10ELNS1_11target_archE1200ELNS1_3gpuE4ELNS1_3repE0EEENS1_30default_config_static_selectorELNS0_4arch9wavefront6targetE0EEEvSV_
		.amdhsa_group_segment_fixed_size 0
		.amdhsa_private_segment_fixed_size 0
		.amdhsa_kernarg_size 152
		.amdhsa_user_sgpr_count 2
		.amdhsa_user_sgpr_dispatch_ptr 0
		.amdhsa_user_sgpr_queue_ptr 0
		.amdhsa_user_sgpr_kernarg_segment_ptr 1
		.amdhsa_user_sgpr_dispatch_id 0
		.amdhsa_user_sgpr_kernarg_preload_length 0
		.amdhsa_user_sgpr_kernarg_preload_offset 0
		.amdhsa_user_sgpr_private_segment_size 0
		.amdhsa_wavefront_size32 1
		.amdhsa_uses_dynamic_stack 0
		.amdhsa_enable_private_segment 0
		.amdhsa_system_sgpr_workgroup_id_x 1
		.amdhsa_system_sgpr_workgroup_id_y 0
		.amdhsa_system_sgpr_workgroup_id_z 0
		.amdhsa_system_sgpr_workgroup_info 0
		.amdhsa_system_vgpr_workitem_id 0
		.amdhsa_next_free_vgpr 1
		.amdhsa_next_free_sgpr 1
		.amdhsa_named_barrier_count 0
		.amdhsa_reserve_vcc 0
		.amdhsa_float_round_mode_32 0
		.amdhsa_float_round_mode_16_64 0
		.amdhsa_float_denorm_mode_32 3
		.amdhsa_float_denorm_mode_16_64 3
		.amdhsa_fp16_overflow 0
		.amdhsa_memory_ordered 1
		.amdhsa_forward_progress 1
		.amdhsa_inst_pref_size 0
		.amdhsa_round_robin_scheduling 0
		.amdhsa_exception_fp_ieee_invalid_op 0
		.amdhsa_exception_fp_denorm_src 0
		.amdhsa_exception_fp_ieee_div_zero 0
		.amdhsa_exception_fp_ieee_overflow 0
		.amdhsa_exception_fp_ieee_underflow 0
		.amdhsa_exception_fp_ieee_inexact 0
		.amdhsa_exception_int_div_zero 0
	.end_amdhsa_kernel
	.section	.text._ZN7rocprim17ROCPRIM_400000_NS6detail17trampoline_kernelINS0_13select_configILj256ELj13ELNS0_17block_load_methodE3ELS4_3ELS4_3ELNS0_20block_scan_algorithmE0ELj4294967295EEENS1_25partition_config_selectorILNS1_17partition_subalgoE3EjNS0_10empty_typeEbEEZZNS1_14partition_implILS8_3ELb0ES6_jNS0_17counting_iteratorIjlEEPS9_SE_NS0_5tupleIJPjSE_EEENSF_IJSE_SE_EEES9_SG_JZNS1_25segmented_radix_sort_implINS0_14default_configELb1EPKlPlSM_SN_N2at6native12_GLOBAL__N_18offset_tEEE10hipError_tPvRmT1_PNSt15iterator_traitsISV_E10value_typeET2_T3_PNSW_IS11_E10value_typeET4_jRbjT5_S17_jjP12ihipStream_tbEUljE_EEESS_ST_SU_S11_S15_S17_T6_T7_T9_mT8_S19_bDpT10_ENKUlT_T0_E_clISt17integral_constantIbLb1EES1M_EEDaS1H_S1I_EUlS1H_E_NS1_11comp_targetILNS1_3genE10ELNS1_11target_archE1200ELNS1_3gpuE4ELNS1_3repE0EEENS1_30default_config_static_selectorELNS0_4arch9wavefront6targetE0EEEvSV_,"axG",@progbits,_ZN7rocprim17ROCPRIM_400000_NS6detail17trampoline_kernelINS0_13select_configILj256ELj13ELNS0_17block_load_methodE3ELS4_3ELS4_3ELNS0_20block_scan_algorithmE0ELj4294967295EEENS1_25partition_config_selectorILNS1_17partition_subalgoE3EjNS0_10empty_typeEbEEZZNS1_14partition_implILS8_3ELb0ES6_jNS0_17counting_iteratorIjlEEPS9_SE_NS0_5tupleIJPjSE_EEENSF_IJSE_SE_EEES9_SG_JZNS1_25segmented_radix_sort_implINS0_14default_configELb1EPKlPlSM_SN_N2at6native12_GLOBAL__N_18offset_tEEE10hipError_tPvRmT1_PNSt15iterator_traitsISV_E10value_typeET2_T3_PNSW_IS11_E10value_typeET4_jRbjT5_S17_jjP12ihipStream_tbEUljE_EEESS_ST_SU_S11_S15_S17_T6_T7_T9_mT8_S19_bDpT10_ENKUlT_T0_E_clISt17integral_constantIbLb1EES1M_EEDaS1H_S1I_EUlS1H_E_NS1_11comp_targetILNS1_3genE10ELNS1_11target_archE1200ELNS1_3gpuE4ELNS1_3repE0EEENS1_30default_config_static_selectorELNS0_4arch9wavefront6targetE0EEEvSV_,comdat
.Lfunc_end681:
	.size	_ZN7rocprim17ROCPRIM_400000_NS6detail17trampoline_kernelINS0_13select_configILj256ELj13ELNS0_17block_load_methodE3ELS4_3ELS4_3ELNS0_20block_scan_algorithmE0ELj4294967295EEENS1_25partition_config_selectorILNS1_17partition_subalgoE3EjNS0_10empty_typeEbEEZZNS1_14partition_implILS8_3ELb0ES6_jNS0_17counting_iteratorIjlEEPS9_SE_NS0_5tupleIJPjSE_EEENSF_IJSE_SE_EEES9_SG_JZNS1_25segmented_radix_sort_implINS0_14default_configELb1EPKlPlSM_SN_N2at6native12_GLOBAL__N_18offset_tEEE10hipError_tPvRmT1_PNSt15iterator_traitsISV_E10value_typeET2_T3_PNSW_IS11_E10value_typeET4_jRbjT5_S17_jjP12ihipStream_tbEUljE_EEESS_ST_SU_S11_S15_S17_T6_T7_T9_mT8_S19_bDpT10_ENKUlT_T0_E_clISt17integral_constantIbLb1EES1M_EEDaS1H_S1I_EUlS1H_E_NS1_11comp_targetILNS1_3genE10ELNS1_11target_archE1200ELNS1_3gpuE4ELNS1_3repE0EEENS1_30default_config_static_selectorELNS0_4arch9wavefront6targetE0EEEvSV_, .Lfunc_end681-_ZN7rocprim17ROCPRIM_400000_NS6detail17trampoline_kernelINS0_13select_configILj256ELj13ELNS0_17block_load_methodE3ELS4_3ELS4_3ELNS0_20block_scan_algorithmE0ELj4294967295EEENS1_25partition_config_selectorILNS1_17partition_subalgoE3EjNS0_10empty_typeEbEEZZNS1_14partition_implILS8_3ELb0ES6_jNS0_17counting_iteratorIjlEEPS9_SE_NS0_5tupleIJPjSE_EEENSF_IJSE_SE_EEES9_SG_JZNS1_25segmented_radix_sort_implINS0_14default_configELb1EPKlPlSM_SN_N2at6native12_GLOBAL__N_18offset_tEEE10hipError_tPvRmT1_PNSt15iterator_traitsISV_E10value_typeET2_T3_PNSW_IS11_E10value_typeET4_jRbjT5_S17_jjP12ihipStream_tbEUljE_EEESS_ST_SU_S11_S15_S17_T6_T7_T9_mT8_S19_bDpT10_ENKUlT_T0_E_clISt17integral_constantIbLb1EES1M_EEDaS1H_S1I_EUlS1H_E_NS1_11comp_targetILNS1_3genE10ELNS1_11target_archE1200ELNS1_3gpuE4ELNS1_3repE0EEENS1_30default_config_static_selectorELNS0_4arch9wavefront6targetE0EEEvSV_
                                        ; -- End function
	.set _ZN7rocprim17ROCPRIM_400000_NS6detail17trampoline_kernelINS0_13select_configILj256ELj13ELNS0_17block_load_methodE3ELS4_3ELS4_3ELNS0_20block_scan_algorithmE0ELj4294967295EEENS1_25partition_config_selectorILNS1_17partition_subalgoE3EjNS0_10empty_typeEbEEZZNS1_14partition_implILS8_3ELb0ES6_jNS0_17counting_iteratorIjlEEPS9_SE_NS0_5tupleIJPjSE_EEENSF_IJSE_SE_EEES9_SG_JZNS1_25segmented_radix_sort_implINS0_14default_configELb1EPKlPlSM_SN_N2at6native12_GLOBAL__N_18offset_tEEE10hipError_tPvRmT1_PNSt15iterator_traitsISV_E10value_typeET2_T3_PNSW_IS11_E10value_typeET4_jRbjT5_S17_jjP12ihipStream_tbEUljE_EEESS_ST_SU_S11_S15_S17_T6_T7_T9_mT8_S19_bDpT10_ENKUlT_T0_E_clISt17integral_constantIbLb1EES1M_EEDaS1H_S1I_EUlS1H_E_NS1_11comp_targetILNS1_3genE10ELNS1_11target_archE1200ELNS1_3gpuE4ELNS1_3repE0EEENS1_30default_config_static_selectorELNS0_4arch9wavefront6targetE0EEEvSV_.num_vgpr, 0
	.set _ZN7rocprim17ROCPRIM_400000_NS6detail17trampoline_kernelINS0_13select_configILj256ELj13ELNS0_17block_load_methodE3ELS4_3ELS4_3ELNS0_20block_scan_algorithmE0ELj4294967295EEENS1_25partition_config_selectorILNS1_17partition_subalgoE3EjNS0_10empty_typeEbEEZZNS1_14partition_implILS8_3ELb0ES6_jNS0_17counting_iteratorIjlEEPS9_SE_NS0_5tupleIJPjSE_EEENSF_IJSE_SE_EEES9_SG_JZNS1_25segmented_radix_sort_implINS0_14default_configELb1EPKlPlSM_SN_N2at6native12_GLOBAL__N_18offset_tEEE10hipError_tPvRmT1_PNSt15iterator_traitsISV_E10value_typeET2_T3_PNSW_IS11_E10value_typeET4_jRbjT5_S17_jjP12ihipStream_tbEUljE_EEESS_ST_SU_S11_S15_S17_T6_T7_T9_mT8_S19_bDpT10_ENKUlT_T0_E_clISt17integral_constantIbLb1EES1M_EEDaS1H_S1I_EUlS1H_E_NS1_11comp_targetILNS1_3genE10ELNS1_11target_archE1200ELNS1_3gpuE4ELNS1_3repE0EEENS1_30default_config_static_selectorELNS0_4arch9wavefront6targetE0EEEvSV_.num_agpr, 0
	.set _ZN7rocprim17ROCPRIM_400000_NS6detail17trampoline_kernelINS0_13select_configILj256ELj13ELNS0_17block_load_methodE3ELS4_3ELS4_3ELNS0_20block_scan_algorithmE0ELj4294967295EEENS1_25partition_config_selectorILNS1_17partition_subalgoE3EjNS0_10empty_typeEbEEZZNS1_14partition_implILS8_3ELb0ES6_jNS0_17counting_iteratorIjlEEPS9_SE_NS0_5tupleIJPjSE_EEENSF_IJSE_SE_EEES9_SG_JZNS1_25segmented_radix_sort_implINS0_14default_configELb1EPKlPlSM_SN_N2at6native12_GLOBAL__N_18offset_tEEE10hipError_tPvRmT1_PNSt15iterator_traitsISV_E10value_typeET2_T3_PNSW_IS11_E10value_typeET4_jRbjT5_S17_jjP12ihipStream_tbEUljE_EEESS_ST_SU_S11_S15_S17_T6_T7_T9_mT8_S19_bDpT10_ENKUlT_T0_E_clISt17integral_constantIbLb1EES1M_EEDaS1H_S1I_EUlS1H_E_NS1_11comp_targetILNS1_3genE10ELNS1_11target_archE1200ELNS1_3gpuE4ELNS1_3repE0EEENS1_30default_config_static_selectorELNS0_4arch9wavefront6targetE0EEEvSV_.numbered_sgpr, 0
	.set _ZN7rocprim17ROCPRIM_400000_NS6detail17trampoline_kernelINS0_13select_configILj256ELj13ELNS0_17block_load_methodE3ELS4_3ELS4_3ELNS0_20block_scan_algorithmE0ELj4294967295EEENS1_25partition_config_selectorILNS1_17partition_subalgoE3EjNS0_10empty_typeEbEEZZNS1_14partition_implILS8_3ELb0ES6_jNS0_17counting_iteratorIjlEEPS9_SE_NS0_5tupleIJPjSE_EEENSF_IJSE_SE_EEES9_SG_JZNS1_25segmented_radix_sort_implINS0_14default_configELb1EPKlPlSM_SN_N2at6native12_GLOBAL__N_18offset_tEEE10hipError_tPvRmT1_PNSt15iterator_traitsISV_E10value_typeET2_T3_PNSW_IS11_E10value_typeET4_jRbjT5_S17_jjP12ihipStream_tbEUljE_EEESS_ST_SU_S11_S15_S17_T6_T7_T9_mT8_S19_bDpT10_ENKUlT_T0_E_clISt17integral_constantIbLb1EES1M_EEDaS1H_S1I_EUlS1H_E_NS1_11comp_targetILNS1_3genE10ELNS1_11target_archE1200ELNS1_3gpuE4ELNS1_3repE0EEENS1_30default_config_static_selectorELNS0_4arch9wavefront6targetE0EEEvSV_.num_named_barrier, 0
	.set _ZN7rocprim17ROCPRIM_400000_NS6detail17trampoline_kernelINS0_13select_configILj256ELj13ELNS0_17block_load_methodE3ELS4_3ELS4_3ELNS0_20block_scan_algorithmE0ELj4294967295EEENS1_25partition_config_selectorILNS1_17partition_subalgoE3EjNS0_10empty_typeEbEEZZNS1_14partition_implILS8_3ELb0ES6_jNS0_17counting_iteratorIjlEEPS9_SE_NS0_5tupleIJPjSE_EEENSF_IJSE_SE_EEES9_SG_JZNS1_25segmented_radix_sort_implINS0_14default_configELb1EPKlPlSM_SN_N2at6native12_GLOBAL__N_18offset_tEEE10hipError_tPvRmT1_PNSt15iterator_traitsISV_E10value_typeET2_T3_PNSW_IS11_E10value_typeET4_jRbjT5_S17_jjP12ihipStream_tbEUljE_EEESS_ST_SU_S11_S15_S17_T6_T7_T9_mT8_S19_bDpT10_ENKUlT_T0_E_clISt17integral_constantIbLb1EES1M_EEDaS1H_S1I_EUlS1H_E_NS1_11comp_targetILNS1_3genE10ELNS1_11target_archE1200ELNS1_3gpuE4ELNS1_3repE0EEENS1_30default_config_static_selectorELNS0_4arch9wavefront6targetE0EEEvSV_.private_seg_size, 0
	.set _ZN7rocprim17ROCPRIM_400000_NS6detail17trampoline_kernelINS0_13select_configILj256ELj13ELNS0_17block_load_methodE3ELS4_3ELS4_3ELNS0_20block_scan_algorithmE0ELj4294967295EEENS1_25partition_config_selectorILNS1_17partition_subalgoE3EjNS0_10empty_typeEbEEZZNS1_14partition_implILS8_3ELb0ES6_jNS0_17counting_iteratorIjlEEPS9_SE_NS0_5tupleIJPjSE_EEENSF_IJSE_SE_EEES9_SG_JZNS1_25segmented_radix_sort_implINS0_14default_configELb1EPKlPlSM_SN_N2at6native12_GLOBAL__N_18offset_tEEE10hipError_tPvRmT1_PNSt15iterator_traitsISV_E10value_typeET2_T3_PNSW_IS11_E10value_typeET4_jRbjT5_S17_jjP12ihipStream_tbEUljE_EEESS_ST_SU_S11_S15_S17_T6_T7_T9_mT8_S19_bDpT10_ENKUlT_T0_E_clISt17integral_constantIbLb1EES1M_EEDaS1H_S1I_EUlS1H_E_NS1_11comp_targetILNS1_3genE10ELNS1_11target_archE1200ELNS1_3gpuE4ELNS1_3repE0EEENS1_30default_config_static_selectorELNS0_4arch9wavefront6targetE0EEEvSV_.uses_vcc, 0
	.set _ZN7rocprim17ROCPRIM_400000_NS6detail17trampoline_kernelINS0_13select_configILj256ELj13ELNS0_17block_load_methodE3ELS4_3ELS4_3ELNS0_20block_scan_algorithmE0ELj4294967295EEENS1_25partition_config_selectorILNS1_17partition_subalgoE3EjNS0_10empty_typeEbEEZZNS1_14partition_implILS8_3ELb0ES6_jNS0_17counting_iteratorIjlEEPS9_SE_NS0_5tupleIJPjSE_EEENSF_IJSE_SE_EEES9_SG_JZNS1_25segmented_radix_sort_implINS0_14default_configELb1EPKlPlSM_SN_N2at6native12_GLOBAL__N_18offset_tEEE10hipError_tPvRmT1_PNSt15iterator_traitsISV_E10value_typeET2_T3_PNSW_IS11_E10value_typeET4_jRbjT5_S17_jjP12ihipStream_tbEUljE_EEESS_ST_SU_S11_S15_S17_T6_T7_T9_mT8_S19_bDpT10_ENKUlT_T0_E_clISt17integral_constantIbLb1EES1M_EEDaS1H_S1I_EUlS1H_E_NS1_11comp_targetILNS1_3genE10ELNS1_11target_archE1200ELNS1_3gpuE4ELNS1_3repE0EEENS1_30default_config_static_selectorELNS0_4arch9wavefront6targetE0EEEvSV_.uses_flat_scratch, 0
	.set _ZN7rocprim17ROCPRIM_400000_NS6detail17trampoline_kernelINS0_13select_configILj256ELj13ELNS0_17block_load_methodE3ELS4_3ELS4_3ELNS0_20block_scan_algorithmE0ELj4294967295EEENS1_25partition_config_selectorILNS1_17partition_subalgoE3EjNS0_10empty_typeEbEEZZNS1_14partition_implILS8_3ELb0ES6_jNS0_17counting_iteratorIjlEEPS9_SE_NS0_5tupleIJPjSE_EEENSF_IJSE_SE_EEES9_SG_JZNS1_25segmented_radix_sort_implINS0_14default_configELb1EPKlPlSM_SN_N2at6native12_GLOBAL__N_18offset_tEEE10hipError_tPvRmT1_PNSt15iterator_traitsISV_E10value_typeET2_T3_PNSW_IS11_E10value_typeET4_jRbjT5_S17_jjP12ihipStream_tbEUljE_EEESS_ST_SU_S11_S15_S17_T6_T7_T9_mT8_S19_bDpT10_ENKUlT_T0_E_clISt17integral_constantIbLb1EES1M_EEDaS1H_S1I_EUlS1H_E_NS1_11comp_targetILNS1_3genE10ELNS1_11target_archE1200ELNS1_3gpuE4ELNS1_3repE0EEENS1_30default_config_static_selectorELNS0_4arch9wavefront6targetE0EEEvSV_.has_dyn_sized_stack, 0
	.set _ZN7rocprim17ROCPRIM_400000_NS6detail17trampoline_kernelINS0_13select_configILj256ELj13ELNS0_17block_load_methodE3ELS4_3ELS4_3ELNS0_20block_scan_algorithmE0ELj4294967295EEENS1_25partition_config_selectorILNS1_17partition_subalgoE3EjNS0_10empty_typeEbEEZZNS1_14partition_implILS8_3ELb0ES6_jNS0_17counting_iteratorIjlEEPS9_SE_NS0_5tupleIJPjSE_EEENSF_IJSE_SE_EEES9_SG_JZNS1_25segmented_radix_sort_implINS0_14default_configELb1EPKlPlSM_SN_N2at6native12_GLOBAL__N_18offset_tEEE10hipError_tPvRmT1_PNSt15iterator_traitsISV_E10value_typeET2_T3_PNSW_IS11_E10value_typeET4_jRbjT5_S17_jjP12ihipStream_tbEUljE_EEESS_ST_SU_S11_S15_S17_T6_T7_T9_mT8_S19_bDpT10_ENKUlT_T0_E_clISt17integral_constantIbLb1EES1M_EEDaS1H_S1I_EUlS1H_E_NS1_11comp_targetILNS1_3genE10ELNS1_11target_archE1200ELNS1_3gpuE4ELNS1_3repE0EEENS1_30default_config_static_selectorELNS0_4arch9wavefront6targetE0EEEvSV_.has_recursion, 0
	.set _ZN7rocprim17ROCPRIM_400000_NS6detail17trampoline_kernelINS0_13select_configILj256ELj13ELNS0_17block_load_methodE3ELS4_3ELS4_3ELNS0_20block_scan_algorithmE0ELj4294967295EEENS1_25partition_config_selectorILNS1_17partition_subalgoE3EjNS0_10empty_typeEbEEZZNS1_14partition_implILS8_3ELb0ES6_jNS0_17counting_iteratorIjlEEPS9_SE_NS0_5tupleIJPjSE_EEENSF_IJSE_SE_EEES9_SG_JZNS1_25segmented_radix_sort_implINS0_14default_configELb1EPKlPlSM_SN_N2at6native12_GLOBAL__N_18offset_tEEE10hipError_tPvRmT1_PNSt15iterator_traitsISV_E10value_typeET2_T3_PNSW_IS11_E10value_typeET4_jRbjT5_S17_jjP12ihipStream_tbEUljE_EEESS_ST_SU_S11_S15_S17_T6_T7_T9_mT8_S19_bDpT10_ENKUlT_T0_E_clISt17integral_constantIbLb1EES1M_EEDaS1H_S1I_EUlS1H_E_NS1_11comp_targetILNS1_3genE10ELNS1_11target_archE1200ELNS1_3gpuE4ELNS1_3repE0EEENS1_30default_config_static_selectorELNS0_4arch9wavefront6targetE0EEEvSV_.has_indirect_call, 0
	.section	.AMDGPU.csdata,"",@progbits
; Kernel info:
; codeLenInByte = 0
; TotalNumSgprs: 0
; NumVgprs: 0
; ScratchSize: 0
; MemoryBound: 0
; FloatMode: 240
; IeeeMode: 1
; LDSByteSize: 0 bytes/workgroup (compile time only)
; SGPRBlocks: 0
; VGPRBlocks: 0
; NumSGPRsForWavesPerEU: 1
; NumVGPRsForWavesPerEU: 1
; NamedBarCnt: 0
; Occupancy: 16
; WaveLimiterHint : 0
; COMPUTE_PGM_RSRC2:SCRATCH_EN: 0
; COMPUTE_PGM_RSRC2:USER_SGPR: 2
; COMPUTE_PGM_RSRC2:TRAP_HANDLER: 0
; COMPUTE_PGM_RSRC2:TGID_X_EN: 1
; COMPUTE_PGM_RSRC2:TGID_Y_EN: 0
; COMPUTE_PGM_RSRC2:TGID_Z_EN: 0
; COMPUTE_PGM_RSRC2:TIDIG_COMP_CNT: 0
	.section	.text._ZN7rocprim17ROCPRIM_400000_NS6detail17trampoline_kernelINS0_13select_configILj256ELj13ELNS0_17block_load_methodE3ELS4_3ELS4_3ELNS0_20block_scan_algorithmE0ELj4294967295EEENS1_25partition_config_selectorILNS1_17partition_subalgoE3EjNS0_10empty_typeEbEEZZNS1_14partition_implILS8_3ELb0ES6_jNS0_17counting_iteratorIjlEEPS9_SE_NS0_5tupleIJPjSE_EEENSF_IJSE_SE_EEES9_SG_JZNS1_25segmented_radix_sort_implINS0_14default_configELb1EPKlPlSM_SN_N2at6native12_GLOBAL__N_18offset_tEEE10hipError_tPvRmT1_PNSt15iterator_traitsISV_E10value_typeET2_T3_PNSW_IS11_E10value_typeET4_jRbjT5_S17_jjP12ihipStream_tbEUljE_EEESS_ST_SU_S11_S15_S17_T6_T7_T9_mT8_S19_bDpT10_ENKUlT_T0_E_clISt17integral_constantIbLb1EES1M_EEDaS1H_S1I_EUlS1H_E_NS1_11comp_targetILNS1_3genE9ELNS1_11target_archE1100ELNS1_3gpuE3ELNS1_3repE0EEENS1_30default_config_static_selectorELNS0_4arch9wavefront6targetE0EEEvSV_,"axG",@progbits,_ZN7rocprim17ROCPRIM_400000_NS6detail17trampoline_kernelINS0_13select_configILj256ELj13ELNS0_17block_load_methodE3ELS4_3ELS4_3ELNS0_20block_scan_algorithmE0ELj4294967295EEENS1_25partition_config_selectorILNS1_17partition_subalgoE3EjNS0_10empty_typeEbEEZZNS1_14partition_implILS8_3ELb0ES6_jNS0_17counting_iteratorIjlEEPS9_SE_NS0_5tupleIJPjSE_EEENSF_IJSE_SE_EEES9_SG_JZNS1_25segmented_radix_sort_implINS0_14default_configELb1EPKlPlSM_SN_N2at6native12_GLOBAL__N_18offset_tEEE10hipError_tPvRmT1_PNSt15iterator_traitsISV_E10value_typeET2_T3_PNSW_IS11_E10value_typeET4_jRbjT5_S17_jjP12ihipStream_tbEUljE_EEESS_ST_SU_S11_S15_S17_T6_T7_T9_mT8_S19_bDpT10_ENKUlT_T0_E_clISt17integral_constantIbLb1EES1M_EEDaS1H_S1I_EUlS1H_E_NS1_11comp_targetILNS1_3genE9ELNS1_11target_archE1100ELNS1_3gpuE3ELNS1_3repE0EEENS1_30default_config_static_selectorELNS0_4arch9wavefront6targetE0EEEvSV_,comdat
	.globl	_ZN7rocprim17ROCPRIM_400000_NS6detail17trampoline_kernelINS0_13select_configILj256ELj13ELNS0_17block_load_methodE3ELS4_3ELS4_3ELNS0_20block_scan_algorithmE0ELj4294967295EEENS1_25partition_config_selectorILNS1_17partition_subalgoE3EjNS0_10empty_typeEbEEZZNS1_14partition_implILS8_3ELb0ES6_jNS0_17counting_iteratorIjlEEPS9_SE_NS0_5tupleIJPjSE_EEENSF_IJSE_SE_EEES9_SG_JZNS1_25segmented_radix_sort_implINS0_14default_configELb1EPKlPlSM_SN_N2at6native12_GLOBAL__N_18offset_tEEE10hipError_tPvRmT1_PNSt15iterator_traitsISV_E10value_typeET2_T3_PNSW_IS11_E10value_typeET4_jRbjT5_S17_jjP12ihipStream_tbEUljE_EEESS_ST_SU_S11_S15_S17_T6_T7_T9_mT8_S19_bDpT10_ENKUlT_T0_E_clISt17integral_constantIbLb1EES1M_EEDaS1H_S1I_EUlS1H_E_NS1_11comp_targetILNS1_3genE9ELNS1_11target_archE1100ELNS1_3gpuE3ELNS1_3repE0EEENS1_30default_config_static_selectorELNS0_4arch9wavefront6targetE0EEEvSV_ ; -- Begin function _ZN7rocprim17ROCPRIM_400000_NS6detail17trampoline_kernelINS0_13select_configILj256ELj13ELNS0_17block_load_methodE3ELS4_3ELS4_3ELNS0_20block_scan_algorithmE0ELj4294967295EEENS1_25partition_config_selectorILNS1_17partition_subalgoE3EjNS0_10empty_typeEbEEZZNS1_14partition_implILS8_3ELb0ES6_jNS0_17counting_iteratorIjlEEPS9_SE_NS0_5tupleIJPjSE_EEENSF_IJSE_SE_EEES9_SG_JZNS1_25segmented_radix_sort_implINS0_14default_configELb1EPKlPlSM_SN_N2at6native12_GLOBAL__N_18offset_tEEE10hipError_tPvRmT1_PNSt15iterator_traitsISV_E10value_typeET2_T3_PNSW_IS11_E10value_typeET4_jRbjT5_S17_jjP12ihipStream_tbEUljE_EEESS_ST_SU_S11_S15_S17_T6_T7_T9_mT8_S19_bDpT10_ENKUlT_T0_E_clISt17integral_constantIbLb1EES1M_EEDaS1H_S1I_EUlS1H_E_NS1_11comp_targetILNS1_3genE9ELNS1_11target_archE1100ELNS1_3gpuE3ELNS1_3repE0EEENS1_30default_config_static_selectorELNS0_4arch9wavefront6targetE0EEEvSV_
	.p2align	8
	.type	_ZN7rocprim17ROCPRIM_400000_NS6detail17trampoline_kernelINS0_13select_configILj256ELj13ELNS0_17block_load_methodE3ELS4_3ELS4_3ELNS0_20block_scan_algorithmE0ELj4294967295EEENS1_25partition_config_selectorILNS1_17partition_subalgoE3EjNS0_10empty_typeEbEEZZNS1_14partition_implILS8_3ELb0ES6_jNS0_17counting_iteratorIjlEEPS9_SE_NS0_5tupleIJPjSE_EEENSF_IJSE_SE_EEES9_SG_JZNS1_25segmented_radix_sort_implINS0_14default_configELb1EPKlPlSM_SN_N2at6native12_GLOBAL__N_18offset_tEEE10hipError_tPvRmT1_PNSt15iterator_traitsISV_E10value_typeET2_T3_PNSW_IS11_E10value_typeET4_jRbjT5_S17_jjP12ihipStream_tbEUljE_EEESS_ST_SU_S11_S15_S17_T6_T7_T9_mT8_S19_bDpT10_ENKUlT_T0_E_clISt17integral_constantIbLb1EES1M_EEDaS1H_S1I_EUlS1H_E_NS1_11comp_targetILNS1_3genE9ELNS1_11target_archE1100ELNS1_3gpuE3ELNS1_3repE0EEENS1_30default_config_static_selectorELNS0_4arch9wavefront6targetE0EEEvSV_,@function
_ZN7rocprim17ROCPRIM_400000_NS6detail17trampoline_kernelINS0_13select_configILj256ELj13ELNS0_17block_load_methodE3ELS4_3ELS4_3ELNS0_20block_scan_algorithmE0ELj4294967295EEENS1_25partition_config_selectorILNS1_17partition_subalgoE3EjNS0_10empty_typeEbEEZZNS1_14partition_implILS8_3ELb0ES6_jNS0_17counting_iteratorIjlEEPS9_SE_NS0_5tupleIJPjSE_EEENSF_IJSE_SE_EEES9_SG_JZNS1_25segmented_radix_sort_implINS0_14default_configELb1EPKlPlSM_SN_N2at6native12_GLOBAL__N_18offset_tEEE10hipError_tPvRmT1_PNSt15iterator_traitsISV_E10value_typeET2_T3_PNSW_IS11_E10value_typeET4_jRbjT5_S17_jjP12ihipStream_tbEUljE_EEESS_ST_SU_S11_S15_S17_T6_T7_T9_mT8_S19_bDpT10_ENKUlT_T0_E_clISt17integral_constantIbLb1EES1M_EEDaS1H_S1I_EUlS1H_E_NS1_11comp_targetILNS1_3genE9ELNS1_11target_archE1100ELNS1_3gpuE3ELNS1_3repE0EEENS1_30default_config_static_selectorELNS0_4arch9wavefront6targetE0EEEvSV_: ; @_ZN7rocprim17ROCPRIM_400000_NS6detail17trampoline_kernelINS0_13select_configILj256ELj13ELNS0_17block_load_methodE3ELS4_3ELS4_3ELNS0_20block_scan_algorithmE0ELj4294967295EEENS1_25partition_config_selectorILNS1_17partition_subalgoE3EjNS0_10empty_typeEbEEZZNS1_14partition_implILS8_3ELb0ES6_jNS0_17counting_iteratorIjlEEPS9_SE_NS0_5tupleIJPjSE_EEENSF_IJSE_SE_EEES9_SG_JZNS1_25segmented_radix_sort_implINS0_14default_configELb1EPKlPlSM_SN_N2at6native12_GLOBAL__N_18offset_tEEE10hipError_tPvRmT1_PNSt15iterator_traitsISV_E10value_typeET2_T3_PNSW_IS11_E10value_typeET4_jRbjT5_S17_jjP12ihipStream_tbEUljE_EEESS_ST_SU_S11_S15_S17_T6_T7_T9_mT8_S19_bDpT10_ENKUlT_T0_E_clISt17integral_constantIbLb1EES1M_EEDaS1H_S1I_EUlS1H_E_NS1_11comp_targetILNS1_3genE9ELNS1_11target_archE1100ELNS1_3gpuE3ELNS1_3repE0EEENS1_30default_config_static_selectorELNS0_4arch9wavefront6targetE0EEEvSV_
; %bb.0:
	.section	.rodata,"a",@progbits
	.p2align	6, 0x0
	.amdhsa_kernel _ZN7rocprim17ROCPRIM_400000_NS6detail17trampoline_kernelINS0_13select_configILj256ELj13ELNS0_17block_load_methodE3ELS4_3ELS4_3ELNS0_20block_scan_algorithmE0ELj4294967295EEENS1_25partition_config_selectorILNS1_17partition_subalgoE3EjNS0_10empty_typeEbEEZZNS1_14partition_implILS8_3ELb0ES6_jNS0_17counting_iteratorIjlEEPS9_SE_NS0_5tupleIJPjSE_EEENSF_IJSE_SE_EEES9_SG_JZNS1_25segmented_radix_sort_implINS0_14default_configELb1EPKlPlSM_SN_N2at6native12_GLOBAL__N_18offset_tEEE10hipError_tPvRmT1_PNSt15iterator_traitsISV_E10value_typeET2_T3_PNSW_IS11_E10value_typeET4_jRbjT5_S17_jjP12ihipStream_tbEUljE_EEESS_ST_SU_S11_S15_S17_T6_T7_T9_mT8_S19_bDpT10_ENKUlT_T0_E_clISt17integral_constantIbLb1EES1M_EEDaS1H_S1I_EUlS1H_E_NS1_11comp_targetILNS1_3genE9ELNS1_11target_archE1100ELNS1_3gpuE3ELNS1_3repE0EEENS1_30default_config_static_selectorELNS0_4arch9wavefront6targetE0EEEvSV_
		.amdhsa_group_segment_fixed_size 0
		.amdhsa_private_segment_fixed_size 0
		.amdhsa_kernarg_size 152
		.amdhsa_user_sgpr_count 2
		.amdhsa_user_sgpr_dispatch_ptr 0
		.amdhsa_user_sgpr_queue_ptr 0
		.amdhsa_user_sgpr_kernarg_segment_ptr 1
		.amdhsa_user_sgpr_dispatch_id 0
		.amdhsa_user_sgpr_kernarg_preload_length 0
		.amdhsa_user_sgpr_kernarg_preload_offset 0
		.amdhsa_user_sgpr_private_segment_size 0
		.amdhsa_wavefront_size32 1
		.amdhsa_uses_dynamic_stack 0
		.amdhsa_enable_private_segment 0
		.amdhsa_system_sgpr_workgroup_id_x 1
		.amdhsa_system_sgpr_workgroup_id_y 0
		.amdhsa_system_sgpr_workgroup_id_z 0
		.amdhsa_system_sgpr_workgroup_info 0
		.amdhsa_system_vgpr_workitem_id 0
		.amdhsa_next_free_vgpr 1
		.amdhsa_next_free_sgpr 1
		.amdhsa_named_barrier_count 0
		.amdhsa_reserve_vcc 0
		.amdhsa_float_round_mode_32 0
		.amdhsa_float_round_mode_16_64 0
		.amdhsa_float_denorm_mode_32 3
		.amdhsa_float_denorm_mode_16_64 3
		.amdhsa_fp16_overflow 0
		.amdhsa_memory_ordered 1
		.amdhsa_forward_progress 1
		.amdhsa_inst_pref_size 0
		.amdhsa_round_robin_scheduling 0
		.amdhsa_exception_fp_ieee_invalid_op 0
		.amdhsa_exception_fp_denorm_src 0
		.amdhsa_exception_fp_ieee_div_zero 0
		.amdhsa_exception_fp_ieee_overflow 0
		.amdhsa_exception_fp_ieee_underflow 0
		.amdhsa_exception_fp_ieee_inexact 0
		.amdhsa_exception_int_div_zero 0
	.end_amdhsa_kernel
	.section	.text._ZN7rocprim17ROCPRIM_400000_NS6detail17trampoline_kernelINS0_13select_configILj256ELj13ELNS0_17block_load_methodE3ELS4_3ELS4_3ELNS0_20block_scan_algorithmE0ELj4294967295EEENS1_25partition_config_selectorILNS1_17partition_subalgoE3EjNS0_10empty_typeEbEEZZNS1_14partition_implILS8_3ELb0ES6_jNS0_17counting_iteratorIjlEEPS9_SE_NS0_5tupleIJPjSE_EEENSF_IJSE_SE_EEES9_SG_JZNS1_25segmented_radix_sort_implINS0_14default_configELb1EPKlPlSM_SN_N2at6native12_GLOBAL__N_18offset_tEEE10hipError_tPvRmT1_PNSt15iterator_traitsISV_E10value_typeET2_T3_PNSW_IS11_E10value_typeET4_jRbjT5_S17_jjP12ihipStream_tbEUljE_EEESS_ST_SU_S11_S15_S17_T6_T7_T9_mT8_S19_bDpT10_ENKUlT_T0_E_clISt17integral_constantIbLb1EES1M_EEDaS1H_S1I_EUlS1H_E_NS1_11comp_targetILNS1_3genE9ELNS1_11target_archE1100ELNS1_3gpuE3ELNS1_3repE0EEENS1_30default_config_static_selectorELNS0_4arch9wavefront6targetE0EEEvSV_,"axG",@progbits,_ZN7rocprim17ROCPRIM_400000_NS6detail17trampoline_kernelINS0_13select_configILj256ELj13ELNS0_17block_load_methodE3ELS4_3ELS4_3ELNS0_20block_scan_algorithmE0ELj4294967295EEENS1_25partition_config_selectorILNS1_17partition_subalgoE3EjNS0_10empty_typeEbEEZZNS1_14partition_implILS8_3ELb0ES6_jNS0_17counting_iteratorIjlEEPS9_SE_NS0_5tupleIJPjSE_EEENSF_IJSE_SE_EEES9_SG_JZNS1_25segmented_radix_sort_implINS0_14default_configELb1EPKlPlSM_SN_N2at6native12_GLOBAL__N_18offset_tEEE10hipError_tPvRmT1_PNSt15iterator_traitsISV_E10value_typeET2_T3_PNSW_IS11_E10value_typeET4_jRbjT5_S17_jjP12ihipStream_tbEUljE_EEESS_ST_SU_S11_S15_S17_T6_T7_T9_mT8_S19_bDpT10_ENKUlT_T0_E_clISt17integral_constantIbLb1EES1M_EEDaS1H_S1I_EUlS1H_E_NS1_11comp_targetILNS1_3genE9ELNS1_11target_archE1100ELNS1_3gpuE3ELNS1_3repE0EEENS1_30default_config_static_selectorELNS0_4arch9wavefront6targetE0EEEvSV_,comdat
.Lfunc_end682:
	.size	_ZN7rocprim17ROCPRIM_400000_NS6detail17trampoline_kernelINS0_13select_configILj256ELj13ELNS0_17block_load_methodE3ELS4_3ELS4_3ELNS0_20block_scan_algorithmE0ELj4294967295EEENS1_25partition_config_selectorILNS1_17partition_subalgoE3EjNS0_10empty_typeEbEEZZNS1_14partition_implILS8_3ELb0ES6_jNS0_17counting_iteratorIjlEEPS9_SE_NS0_5tupleIJPjSE_EEENSF_IJSE_SE_EEES9_SG_JZNS1_25segmented_radix_sort_implINS0_14default_configELb1EPKlPlSM_SN_N2at6native12_GLOBAL__N_18offset_tEEE10hipError_tPvRmT1_PNSt15iterator_traitsISV_E10value_typeET2_T3_PNSW_IS11_E10value_typeET4_jRbjT5_S17_jjP12ihipStream_tbEUljE_EEESS_ST_SU_S11_S15_S17_T6_T7_T9_mT8_S19_bDpT10_ENKUlT_T0_E_clISt17integral_constantIbLb1EES1M_EEDaS1H_S1I_EUlS1H_E_NS1_11comp_targetILNS1_3genE9ELNS1_11target_archE1100ELNS1_3gpuE3ELNS1_3repE0EEENS1_30default_config_static_selectorELNS0_4arch9wavefront6targetE0EEEvSV_, .Lfunc_end682-_ZN7rocprim17ROCPRIM_400000_NS6detail17trampoline_kernelINS0_13select_configILj256ELj13ELNS0_17block_load_methodE3ELS4_3ELS4_3ELNS0_20block_scan_algorithmE0ELj4294967295EEENS1_25partition_config_selectorILNS1_17partition_subalgoE3EjNS0_10empty_typeEbEEZZNS1_14partition_implILS8_3ELb0ES6_jNS0_17counting_iteratorIjlEEPS9_SE_NS0_5tupleIJPjSE_EEENSF_IJSE_SE_EEES9_SG_JZNS1_25segmented_radix_sort_implINS0_14default_configELb1EPKlPlSM_SN_N2at6native12_GLOBAL__N_18offset_tEEE10hipError_tPvRmT1_PNSt15iterator_traitsISV_E10value_typeET2_T3_PNSW_IS11_E10value_typeET4_jRbjT5_S17_jjP12ihipStream_tbEUljE_EEESS_ST_SU_S11_S15_S17_T6_T7_T9_mT8_S19_bDpT10_ENKUlT_T0_E_clISt17integral_constantIbLb1EES1M_EEDaS1H_S1I_EUlS1H_E_NS1_11comp_targetILNS1_3genE9ELNS1_11target_archE1100ELNS1_3gpuE3ELNS1_3repE0EEENS1_30default_config_static_selectorELNS0_4arch9wavefront6targetE0EEEvSV_
                                        ; -- End function
	.set _ZN7rocprim17ROCPRIM_400000_NS6detail17trampoline_kernelINS0_13select_configILj256ELj13ELNS0_17block_load_methodE3ELS4_3ELS4_3ELNS0_20block_scan_algorithmE0ELj4294967295EEENS1_25partition_config_selectorILNS1_17partition_subalgoE3EjNS0_10empty_typeEbEEZZNS1_14partition_implILS8_3ELb0ES6_jNS0_17counting_iteratorIjlEEPS9_SE_NS0_5tupleIJPjSE_EEENSF_IJSE_SE_EEES9_SG_JZNS1_25segmented_radix_sort_implINS0_14default_configELb1EPKlPlSM_SN_N2at6native12_GLOBAL__N_18offset_tEEE10hipError_tPvRmT1_PNSt15iterator_traitsISV_E10value_typeET2_T3_PNSW_IS11_E10value_typeET4_jRbjT5_S17_jjP12ihipStream_tbEUljE_EEESS_ST_SU_S11_S15_S17_T6_T7_T9_mT8_S19_bDpT10_ENKUlT_T0_E_clISt17integral_constantIbLb1EES1M_EEDaS1H_S1I_EUlS1H_E_NS1_11comp_targetILNS1_3genE9ELNS1_11target_archE1100ELNS1_3gpuE3ELNS1_3repE0EEENS1_30default_config_static_selectorELNS0_4arch9wavefront6targetE0EEEvSV_.num_vgpr, 0
	.set _ZN7rocprim17ROCPRIM_400000_NS6detail17trampoline_kernelINS0_13select_configILj256ELj13ELNS0_17block_load_methodE3ELS4_3ELS4_3ELNS0_20block_scan_algorithmE0ELj4294967295EEENS1_25partition_config_selectorILNS1_17partition_subalgoE3EjNS0_10empty_typeEbEEZZNS1_14partition_implILS8_3ELb0ES6_jNS0_17counting_iteratorIjlEEPS9_SE_NS0_5tupleIJPjSE_EEENSF_IJSE_SE_EEES9_SG_JZNS1_25segmented_radix_sort_implINS0_14default_configELb1EPKlPlSM_SN_N2at6native12_GLOBAL__N_18offset_tEEE10hipError_tPvRmT1_PNSt15iterator_traitsISV_E10value_typeET2_T3_PNSW_IS11_E10value_typeET4_jRbjT5_S17_jjP12ihipStream_tbEUljE_EEESS_ST_SU_S11_S15_S17_T6_T7_T9_mT8_S19_bDpT10_ENKUlT_T0_E_clISt17integral_constantIbLb1EES1M_EEDaS1H_S1I_EUlS1H_E_NS1_11comp_targetILNS1_3genE9ELNS1_11target_archE1100ELNS1_3gpuE3ELNS1_3repE0EEENS1_30default_config_static_selectorELNS0_4arch9wavefront6targetE0EEEvSV_.num_agpr, 0
	.set _ZN7rocprim17ROCPRIM_400000_NS6detail17trampoline_kernelINS0_13select_configILj256ELj13ELNS0_17block_load_methodE3ELS4_3ELS4_3ELNS0_20block_scan_algorithmE0ELj4294967295EEENS1_25partition_config_selectorILNS1_17partition_subalgoE3EjNS0_10empty_typeEbEEZZNS1_14partition_implILS8_3ELb0ES6_jNS0_17counting_iteratorIjlEEPS9_SE_NS0_5tupleIJPjSE_EEENSF_IJSE_SE_EEES9_SG_JZNS1_25segmented_radix_sort_implINS0_14default_configELb1EPKlPlSM_SN_N2at6native12_GLOBAL__N_18offset_tEEE10hipError_tPvRmT1_PNSt15iterator_traitsISV_E10value_typeET2_T3_PNSW_IS11_E10value_typeET4_jRbjT5_S17_jjP12ihipStream_tbEUljE_EEESS_ST_SU_S11_S15_S17_T6_T7_T9_mT8_S19_bDpT10_ENKUlT_T0_E_clISt17integral_constantIbLb1EES1M_EEDaS1H_S1I_EUlS1H_E_NS1_11comp_targetILNS1_3genE9ELNS1_11target_archE1100ELNS1_3gpuE3ELNS1_3repE0EEENS1_30default_config_static_selectorELNS0_4arch9wavefront6targetE0EEEvSV_.numbered_sgpr, 0
	.set _ZN7rocprim17ROCPRIM_400000_NS6detail17trampoline_kernelINS0_13select_configILj256ELj13ELNS0_17block_load_methodE3ELS4_3ELS4_3ELNS0_20block_scan_algorithmE0ELj4294967295EEENS1_25partition_config_selectorILNS1_17partition_subalgoE3EjNS0_10empty_typeEbEEZZNS1_14partition_implILS8_3ELb0ES6_jNS0_17counting_iteratorIjlEEPS9_SE_NS0_5tupleIJPjSE_EEENSF_IJSE_SE_EEES9_SG_JZNS1_25segmented_radix_sort_implINS0_14default_configELb1EPKlPlSM_SN_N2at6native12_GLOBAL__N_18offset_tEEE10hipError_tPvRmT1_PNSt15iterator_traitsISV_E10value_typeET2_T3_PNSW_IS11_E10value_typeET4_jRbjT5_S17_jjP12ihipStream_tbEUljE_EEESS_ST_SU_S11_S15_S17_T6_T7_T9_mT8_S19_bDpT10_ENKUlT_T0_E_clISt17integral_constantIbLb1EES1M_EEDaS1H_S1I_EUlS1H_E_NS1_11comp_targetILNS1_3genE9ELNS1_11target_archE1100ELNS1_3gpuE3ELNS1_3repE0EEENS1_30default_config_static_selectorELNS0_4arch9wavefront6targetE0EEEvSV_.num_named_barrier, 0
	.set _ZN7rocprim17ROCPRIM_400000_NS6detail17trampoline_kernelINS0_13select_configILj256ELj13ELNS0_17block_load_methodE3ELS4_3ELS4_3ELNS0_20block_scan_algorithmE0ELj4294967295EEENS1_25partition_config_selectorILNS1_17partition_subalgoE3EjNS0_10empty_typeEbEEZZNS1_14partition_implILS8_3ELb0ES6_jNS0_17counting_iteratorIjlEEPS9_SE_NS0_5tupleIJPjSE_EEENSF_IJSE_SE_EEES9_SG_JZNS1_25segmented_radix_sort_implINS0_14default_configELb1EPKlPlSM_SN_N2at6native12_GLOBAL__N_18offset_tEEE10hipError_tPvRmT1_PNSt15iterator_traitsISV_E10value_typeET2_T3_PNSW_IS11_E10value_typeET4_jRbjT5_S17_jjP12ihipStream_tbEUljE_EEESS_ST_SU_S11_S15_S17_T6_T7_T9_mT8_S19_bDpT10_ENKUlT_T0_E_clISt17integral_constantIbLb1EES1M_EEDaS1H_S1I_EUlS1H_E_NS1_11comp_targetILNS1_3genE9ELNS1_11target_archE1100ELNS1_3gpuE3ELNS1_3repE0EEENS1_30default_config_static_selectorELNS0_4arch9wavefront6targetE0EEEvSV_.private_seg_size, 0
	.set _ZN7rocprim17ROCPRIM_400000_NS6detail17trampoline_kernelINS0_13select_configILj256ELj13ELNS0_17block_load_methodE3ELS4_3ELS4_3ELNS0_20block_scan_algorithmE0ELj4294967295EEENS1_25partition_config_selectorILNS1_17partition_subalgoE3EjNS0_10empty_typeEbEEZZNS1_14partition_implILS8_3ELb0ES6_jNS0_17counting_iteratorIjlEEPS9_SE_NS0_5tupleIJPjSE_EEENSF_IJSE_SE_EEES9_SG_JZNS1_25segmented_radix_sort_implINS0_14default_configELb1EPKlPlSM_SN_N2at6native12_GLOBAL__N_18offset_tEEE10hipError_tPvRmT1_PNSt15iterator_traitsISV_E10value_typeET2_T3_PNSW_IS11_E10value_typeET4_jRbjT5_S17_jjP12ihipStream_tbEUljE_EEESS_ST_SU_S11_S15_S17_T6_T7_T9_mT8_S19_bDpT10_ENKUlT_T0_E_clISt17integral_constantIbLb1EES1M_EEDaS1H_S1I_EUlS1H_E_NS1_11comp_targetILNS1_3genE9ELNS1_11target_archE1100ELNS1_3gpuE3ELNS1_3repE0EEENS1_30default_config_static_selectorELNS0_4arch9wavefront6targetE0EEEvSV_.uses_vcc, 0
	.set _ZN7rocprim17ROCPRIM_400000_NS6detail17trampoline_kernelINS0_13select_configILj256ELj13ELNS0_17block_load_methodE3ELS4_3ELS4_3ELNS0_20block_scan_algorithmE0ELj4294967295EEENS1_25partition_config_selectorILNS1_17partition_subalgoE3EjNS0_10empty_typeEbEEZZNS1_14partition_implILS8_3ELb0ES6_jNS0_17counting_iteratorIjlEEPS9_SE_NS0_5tupleIJPjSE_EEENSF_IJSE_SE_EEES9_SG_JZNS1_25segmented_radix_sort_implINS0_14default_configELb1EPKlPlSM_SN_N2at6native12_GLOBAL__N_18offset_tEEE10hipError_tPvRmT1_PNSt15iterator_traitsISV_E10value_typeET2_T3_PNSW_IS11_E10value_typeET4_jRbjT5_S17_jjP12ihipStream_tbEUljE_EEESS_ST_SU_S11_S15_S17_T6_T7_T9_mT8_S19_bDpT10_ENKUlT_T0_E_clISt17integral_constantIbLb1EES1M_EEDaS1H_S1I_EUlS1H_E_NS1_11comp_targetILNS1_3genE9ELNS1_11target_archE1100ELNS1_3gpuE3ELNS1_3repE0EEENS1_30default_config_static_selectorELNS0_4arch9wavefront6targetE0EEEvSV_.uses_flat_scratch, 0
	.set _ZN7rocprim17ROCPRIM_400000_NS6detail17trampoline_kernelINS0_13select_configILj256ELj13ELNS0_17block_load_methodE3ELS4_3ELS4_3ELNS0_20block_scan_algorithmE0ELj4294967295EEENS1_25partition_config_selectorILNS1_17partition_subalgoE3EjNS0_10empty_typeEbEEZZNS1_14partition_implILS8_3ELb0ES6_jNS0_17counting_iteratorIjlEEPS9_SE_NS0_5tupleIJPjSE_EEENSF_IJSE_SE_EEES9_SG_JZNS1_25segmented_radix_sort_implINS0_14default_configELb1EPKlPlSM_SN_N2at6native12_GLOBAL__N_18offset_tEEE10hipError_tPvRmT1_PNSt15iterator_traitsISV_E10value_typeET2_T3_PNSW_IS11_E10value_typeET4_jRbjT5_S17_jjP12ihipStream_tbEUljE_EEESS_ST_SU_S11_S15_S17_T6_T7_T9_mT8_S19_bDpT10_ENKUlT_T0_E_clISt17integral_constantIbLb1EES1M_EEDaS1H_S1I_EUlS1H_E_NS1_11comp_targetILNS1_3genE9ELNS1_11target_archE1100ELNS1_3gpuE3ELNS1_3repE0EEENS1_30default_config_static_selectorELNS0_4arch9wavefront6targetE0EEEvSV_.has_dyn_sized_stack, 0
	.set _ZN7rocprim17ROCPRIM_400000_NS6detail17trampoline_kernelINS0_13select_configILj256ELj13ELNS0_17block_load_methodE3ELS4_3ELS4_3ELNS0_20block_scan_algorithmE0ELj4294967295EEENS1_25partition_config_selectorILNS1_17partition_subalgoE3EjNS0_10empty_typeEbEEZZNS1_14partition_implILS8_3ELb0ES6_jNS0_17counting_iteratorIjlEEPS9_SE_NS0_5tupleIJPjSE_EEENSF_IJSE_SE_EEES9_SG_JZNS1_25segmented_radix_sort_implINS0_14default_configELb1EPKlPlSM_SN_N2at6native12_GLOBAL__N_18offset_tEEE10hipError_tPvRmT1_PNSt15iterator_traitsISV_E10value_typeET2_T3_PNSW_IS11_E10value_typeET4_jRbjT5_S17_jjP12ihipStream_tbEUljE_EEESS_ST_SU_S11_S15_S17_T6_T7_T9_mT8_S19_bDpT10_ENKUlT_T0_E_clISt17integral_constantIbLb1EES1M_EEDaS1H_S1I_EUlS1H_E_NS1_11comp_targetILNS1_3genE9ELNS1_11target_archE1100ELNS1_3gpuE3ELNS1_3repE0EEENS1_30default_config_static_selectorELNS0_4arch9wavefront6targetE0EEEvSV_.has_recursion, 0
	.set _ZN7rocprim17ROCPRIM_400000_NS6detail17trampoline_kernelINS0_13select_configILj256ELj13ELNS0_17block_load_methodE3ELS4_3ELS4_3ELNS0_20block_scan_algorithmE0ELj4294967295EEENS1_25partition_config_selectorILNS1_17partition_subalgoE3EjNS0_10empty_typeEbEEZZNS1_14partition_implILS8_3ELb0ES6_jNS0_17counting_iteratorIjlEEPS9_SE_NS0_5tupleIJPjSE_EEENSF_IJSE_SE_EEES9_SG_JZNS1_25segmented_radix_sort_implINS0_14default_configELb1EPKlPlSM_SN_N2at6native12_GLOBAL__N_18offset_tEEE10hipError_tPvRmT1_PNSt15iterator_traitsISV_E10value_typeET2_T3_PNSW_IS11_E10value_typeET4_jRbjT5_S17_jjP12ihipStream_tbEUljE_EEESS_ST_SU_S11_S15_S17_T6_T7_T9_mT8_S19_bDpT10_ENKUlT_T0_E_clISt17integral_constantIbLb1EES1M_EEDaS1H_S1I_EUlS1H_E_NS1_11comp_targetILNS1_3genE9ELNS1_11target_archE1100ELNS1_3gpuE3ELNS1_3repE0EEENS1_30default_config_static_selectorELNS0_4arch9wavefront6targetE0EEEvSV_.has_indirect_call, 0
	.section	.AMDGPU.csdata,"",@progbits
; Kernel info:
; codeLenInByte = 0
; TotalNumSgprs: 0
; NumVgprs: 0
; ScratchSize: 0
; MemoryBound: 0
; FloatMode: 240
; IeeeMode: 1
; LDSByteSize: 0 bytes/workgroup (compile time only)
; SGPRBlocks: 0
; VGPRBlocks: 0
; NumSGPRsForWavesPerEU: 1
; NumVGPRsForWavesPerEU: 1
; NamedBarCnt: 0
; Occupancy: 16
; WaveLimiterHint : 0
; COMPUTE_PGM_RSRC2:SCRATCH_EN: 0
; COMPUTE_PGM_RSRC2:USER_SGPR: 2
; COMPUTE_PGM_RSRC2:TRAP_HANDLER: 0
; COMPUTE_PGM_RSRC2:TGID_X_EN: 1
; COMPUTE_PGM_RSRC2:TGID_Y_EN: 0
; COMPUTE_PGM_RSRC2:TGID_Z_EN: 0
; COMPUTE_PGM_RSRC2:TIDIG_COMP_CNT: 0
	.section	.text._ZN7rocprim17ROCPRIM_400000_NS6detail17trampoline_kernelINS0_13select_configILj256ELj13ELNS0_17block_load_methodE3ELS4_3ELS4_3ELNS0_20block_scan_algorithmE0ELj4294967295EEENS1_25partition_config_selectorILNS1_17partition_subalgoE3EjNS0_10empty_typeEbEEZZNS1_14partition_implILS8_3ELb0ES6_jNS0_17counting_iteratorIjlEEPS9_SE_NS0_5tupleIJPjSE_EEENSF_IJSE_SE_EEES9_SG_JZNS1_25segmented_radix_sort_implINS0_14default_configELb1EPKlPlSM_SN_N2at6native12_GLOBAL__N_18offset_tEEE10hipError_tPvRmT1_PNSt15iterator_traitsISV_E10value_typeET2_T3_PNSW_IS11_E10value_typeET4_jRbjT5_S17_jjP12ihipStream_tbEUljE_EEESS_ST_SU_S11_S15_S17_T6_T7_T9_mT8_S19_bDpT10_ENKUlT_T0_E_clISt17integral_constantIbLb1EES1M_EEDaS1H_S1I_EUlS1H_E_NS1_11comp_targetILNS1_3genE8ELNS1_11target_archE1030ELNS1_3gpuE2ELNS1_3repE0EEENS1_30default_config_static_selectorELNS0_4arch9wavefront6targetE0EEEvSV_,"axG",@progbits,_ZN7rocprim17ROCPRIM_400000_NS6detail17trampoline_kernelINS0_13select_configILj256ELj13ELNS0_17block_load_methodE3ELS4_3ELS4_3ELNS0_20block_scan_algorithmE0ELj4294967295EEENS1_25partition_config_selectorILNS1_17partition_subalgoE3EjNS0_10empty_typeEbEEZZNS1_14partition_implILS8_3ELb0ES6_jNS0_17counting_iteratorIjlEEPS9_SE_NS0_5tupleIJPjSE_EEENSF_IJSE_SE_EEES9_SG_JZNS1_25segmented_radix_sort_implINS0_14default_configELb1EPKlPlSM_SN_N2at6native12_GLOBAL__N_18offset_tEEE10hipError_tPvRmT1_PNSt15iterator_traitsISV_E10value_typeET2_T3_PNSW_IS11_E10value_typeET4_jRbjT5_S17_jjP12ihipStream_tbEUljE_EEESS_ST_SU_S11_S15_S17_T6_T7_T9_mT8_S19_bDpT10_ENKUlT_T0_E_clISt17integral_constantIbLb1EES1M_EEDaS1H_S1I_EUlS1H_E_NS1_11comp_targetILNS1_3genE8ELNS1_11target_archE1030ELNS1_3gpuE2ELNS1_3repE0EEENS1_30default_config_static_selectorELNS0_4arch9wavefront6targetE0EEEvSV_,comdat
	.globl	_ZN7rocprim17ROCPRIM_400000_NS6detail17trampoline_kernelINS0_13select_configILj256ELj13ELNS0_17block_load_methodE3ELS4_3ELS4_3ELNS0_20block_scan_algorithmE0ELj4294967295EEENS1_25partition_config_selectorILNS1_17partition_subalgoE3EjNS0_10empty_typeEbEEZZNS1_14partition_implILS8_3ELb0ES6_jNS0_17counting_iteratorIjlEEPS9_SE_NS0_5tupleIJPjSE_EEENSF_IJSE_SE_EEES9_SG_JZNS1_25segmented_radix_sort_implINS0_14default_configELb1EPKlPlSM_SN_N2at6native12_GLOBAL__N_18offset_tEEE10hipError_tPvRmT1_PNSt15iterator_traitsISV_E10value_typeET2_T3_PNSW_IS11_E10value_typeET4_jRbjT5_S17_jjP12ihipStream_tbEUljE_EEESS_ST_SU_S11_S15_S17_T6_T7_T9_mT8_S19_bDpT10_ENKUlT_T0_E_clISt17integral_constantIbLb1EES1M_EEDaS1H_S1I_EUlS1H_E_NS1_11comp_targetILNS1_3genE8ELNS1_11target_archE1030ELNS1_3gpuE2ELNS1_3repE0EEENS1_30default_config_static_selectorELNS0_4arch9wavefront6targetE0EEEvSV_ ; -- Begin function _ZN7rocprim17ROCPRIM_400000_NS6detail17trampoline_kernelINS0_13select_configILj256ELj13ELNS0_17block_load_methodE3ELS4_3ELS4_3ELNS0_20block_scan_algorithmE0ELj4294967295EEENS1_25partition_config_selectorILNS1_17partition_subalgoE3EjNS0_10empty_typeEbEEZZNS1_14partition_implILS8_3ELb0ES6_jNS0_17counting_iteratorIjlEEPS9_SE_NS0_5tupleIJPjSE_EEENSF_IJSE_SE_EEES9_SG_JZNS1_25segmented_radix_sort_implINS0_14default_configELb1EPKlPlSM_SN_N2at6native12_GLOBAL__N_18offset_tEEE10hipError_tPvRmT1_PNSt15iterator_traitsISV_E10value_typeET2_T3_PNSW_IS11_E10value_typeET4_jRbjT5_S17_jjP12ihipStream_tbEUljE_EEESS_ST_SU_S11_S15_S17_T6_T7_T9_mT8_S19_bDpT10_ENKUlT_T0_E_clISt17integral_constantIbLb1EES1M_EEDaS1H_S1I_EUlS1H_E_NS1_11comp_targetILNS1_3genE8ELNS1_11target_archE1030ELNS1_3gpuE2ELNS1_3repE0EEENS1_30default_config_static_selectorELNS0_4arch9wavefront6targetE0EEEvSV_
	.p2align	8
	.type	_ZN7rocprim17ROCPRIM_400000_NS6detail17trampoline_kernelINS0_13select_configILj256ELj13ELNS0_17block_load_methodE3ELS4_3ELS4_3ELNS0_20block_scan_algorithmE0ELj4294967295EEENS1_25partition_config_selectorILNS1_17partition_subalgoE3EjNS0_10empty_typeEbEEZZNS1_14partition_implILS8_3ELb0ES6_jNS0_17counting_iteratorIjlEEPS9_SE_NS0_5tupleIJPjSE_EEENSF_IJSE_SE_EEES9_SG_JZNS1_25segmented_radix_sort_implINS0_14default_configELb1EPKlPlSM_SN_N2at6native12_GLOBAL__N_18offset_tEEE10hipError_tPvRmT1_PNSt15iterator_traitsISV_E10value_typeET2_T3_PNSW_IS11_E10value_typeET4_jRbjT5_S17_jjP12ihipStream_tbEUljE_EEESS_ST_SU_S11_S15_S17_T6_T7_T9_mT8_S19_bDpT10_ENKUlT_T0_E_clISt17integral_constantIbLb1EES1M_EEDaS1H_S1I_EUlS1H_E_NS1_11comp_targetILNS1_3genE8ELNS1_11target_archE1030ELNS1_3gpuE2ELNS1_3repE0EEENS1_30default_config_static_selectorELNS0_4arch9wavefront6targetE0EEEvSV_,@function
_ZN7rocprim17ROCPRIM_400000_NS6detail17trampoline_kernelINS0_13select_configILj256ELj13ELNS0_17block_load_methodE3ELS4_3ELS4_3ELNS0_20block_scan_algorithmE0ELj4294967295EEENS1_25partition_config_selectorILNS1_17partition_subalgoE3EjNS0_10empty_typeEbEEZZNS1_14partition_implILS8_3ELb0ES6_jNS0_17counting_iteratorIjlEEPS9_SE_NS0_5tupleIJPjSE_EEENSF_IJSE_SE_EEES9_SG_JZNS1_25segmented_radix_sort_implINS0_14default_configELb1EPKlPlSM_SN_N2at6native12_GLOBAL__N_18offset_tEEE10hipError_tPvRmT1_PNSt15iterator_traitsISV_E10value_typeET2_T3_PNSW_IS11_E10value_typeET4_jRbjT5_S17_jjP12ihipStream_tbEUljE_EEESS_ST_SU_S11_S15_S17_T6_T7_T9_mT8_S19_bDpT10_ENKUlT_T0_E_clISt17integral_constantIbLb1EES1M_EEDaS1H_S1I_EUlS1H_E_NS1_11comp_targetILNS1_3genE8ELNS1_11target_archE1030ELNS1_3gpuE2ELNS1_3repE0EEENS1_30default_config_static_selectorELNS0_4arch9wavefront6targetE0EEEvSV_: ; @_ZN7rocprim17ROCPRIM_400000_NS6detail17trampoline_kernelINS0_13select_configILj256ELj13ELNS0_17block_load_methodE3ELS4_3ELS4_3ELNS0_20block_scan_algorithmE0ELj4294967295EEENS1_25partition_config_selectorILNS1_17partition_subalgoE3EjNS0_10empty_typeEbEEZZNS1_14partition_implILS8_3ELb0ES6_jNS0_17counting_iteratorIjlEEPS9_SE_NS0_5tupleIJPjSE_EEENSF_IJSE_SE_EEES9_SG_JZNS1_25segmented_radix_sort_implINS0_14default_configELb1EPKlPlSM_SN_N2at6native12_GLOBAL__N_18offset_tEEE10hipError_tPvRmT1_PNSt15iterator_traitsISV_E10value_typeET2_T3_PNSW_IS11_E10value_typeET4_jRbjT5_S17_jjP12ihipStream_tbEUljE_EEESS_ST_SU_S11_S15_S17_T6_T7_T9_mT8_S19_bDpT10_ENKUlT_T0_E_clISt17integral_constantIbLb1EES1M_EEDaS1H_S1I_EUlS1H_E_NS1_11comp_targetILNS1_3genE8ELNS1_11target_archE1030ELNS1_3gpuE2ELNS1_3repE0EEENS1_30default_config_static_selectorELNS0_4arch9wavefront6targetE0EEEvSV_
; %bb.0:
	.section	.rodata,"a",@progbits
	.p2align	6, 0x0
	.amdhsa_kernel _ZN7rocprim17ROCPRIM_400000_NS6detail17trampoline_kernelINS0_13select_configILj256ELj13ELNS0_17block_load_methodE3ELS4_3ELS4_3ELNS0_20block_scan_algorithmE0ELj4294967295EEENS1_25partition_config_selectorILNS1_17partition_subalgoE3EjNS0_10empty_typeEbEEZZNS1_14partition_implILS8_3ELb0ES6_jNS0_17counting_iteratorIjlEEPS9_SE_NS0_5tupleIJPjSE_EEENSF_IJSE_SE_EEES9_SG_JZNS1_25segmented_radix_sort_implINS0_14default_configELb1EPKlPlSM_SN_N2at6native12_GLOBAL__N_18offset_tEEE10hipError_tPvRmT1_PNSt15iterator_traitsISV_E10value_typeET2_T3_PNSW_IS11_E10value_typeET4_jRbjT5_S17_jjP12ihipStream_tbEUljE_EEESS_ST_SU_S11_S15_S17_T6_T7_T9_mT8_S19_bDpT10_ENKUlT_T0_E_clISt17integral_constantIbLb1EES1M_EEDaS1H_S1I_EUlS1H_E_NS1_11comp_targetILNS1_3genE8ELNS1_11target_archE1030ELNS1_3gpuE2ELNS1_3repE0EEENS1_30default_config_static_selectorELNS0_4arch9wavefront6targetE0EEEvSV_
		.amdhsa_group_segment_fixed_size 0
		.amdhsa_private_segment_fixed_size 0
		.amdhsa_kernarg_size 152
		.amdhsa_user_sgpr_count 2
		.amdhsa_user_sgpr_dispatch_ptr 0
		.amdhsa_user_sgpr_queue_ptr 0
		.amdhsa_user_sgpr_kernarg_segment_ptr 1
		.amdhsa_user_sgpr_dispatch_id 0
		.amdhsa_user_sgpr_kernarg_preload_length 0
		.amdhsa_user_sgpr_kernarg_preload_offset 0
		.amdhsa_user_sgpr_private_segment_size 0
		.amdhsa_wavefront_size32 1
		.amdhsa_uses_dynamic_stack 0
		.amdhsa_enable_private_segment 0
		.amdhsa_system_sgpr_workgroup_id_x 1
		.amdhsa_system_sgpr_workgroup_id_y 0
		.amdhsa_system_sgpr_workgroup_id_z 0
		.amdhsa_system_sgpr_workgroup_info 0
		.amdhsa_system_vgpr_workitem_id 0
		.amdhsa_next_free_vgpr 1
		.amdhsa_next_free_sgpr 1
		.amdhsa_named_barrier_count 0
		.amdhsa_reserve_vcc 0
		.amdhsa_float_round_mode_32 0
		.amdhsa_float_round_mode_16_64 0
		.amdhsa_float_denorm_mode_32 3
		.amdhsa_float_denorm_mode_16_64 3
		.amdhsa_fp16_overflow 0
		.amdhsa_memory_ordered 1
		.amdhsa_forward_progress 1
		.amdhsa_inst_pref_size 0
		.amdhsa_round_robin_scheduling 0
		.amdhsa_exception_fp_ieee_invalid_op 0
		.amdhsa_exception_fp_denorm_src 0
		.amdhsa_exception_fp_ieee_div_zero 0
		.amdhsa_exception_fp_ieee_overflow 0
		.amdhsa_exception_fp_ieee_underflow 0
		.amdhsa_exception_fp_ieee_inexact 0
		.amdhsa_exception_int_div_zero 0
	.end_amdhsa_kernel
	.section	.text._ZN7rocprim17ROCPRIM_400000_NS6detail17trampoline_kernelINS0_13select_configILj256ELj13ELNS0_17block_load_methodE3ELS4_3ELS4_3ELNS0_20block_scan_algorithmE0ELj4294967295EEENS1_25partition_config_selectorILNS1_17partition_subalgoE3EjNS0_10empty_typeEbEEZZNS1_14partition_implILS8_3ELb0ES6_jNS0_17counting_iteratorIjlEEPS9_SE_NS0_5tupleIJPjSE_EEENSF_IJSE_SE_EEES9_SG_JZNS1_25segmented_radix_sort_implINS0_14default_configELb1EPKlPlSM_SN_N2at6native12_GLOBAL__N_18offset_tEEE10hipError_tPvRmT1_PNSt15iterator_traitsISV_E10value_typeET2_T3_PNSW_IS11_E10value_typeET4_jRbjT5_S17_jjP12ihipStream_tbEUljE_EEESS_ST_SU_S11_S15_S17_T6_T7_T9_mT8_S19_bDpT10_ENKUlT_T0_E_clISt17integral_constantIbLb1EES1M_EEDaS1H_S1I_EUlS1H_E_NS1_11comp_targetILNS1_3genE8ELNS1_11target_archE1030ELNS1_3gpuE2ELNS1_3repE0EEENS1_30default_config_static_selectorELNS0_4arch9wavefront6targetE0EEEvSV_,"axG",@progbits,_ZN7rocprim17ROCPRIM_400000_NS6detail17trampoline_kernelINS0_13select_configILj256ELj13ELNS0_17block_load_methodE3ELS4_3ELS4_3ELNS0_20block_scan_algorithmE0ELj4294967295EEENS1_25partition_config_selectorILNS1_17partition_subalgoE3EjNS0_10empty_typeEbEEZZNS1_14partition_implILS8_3ELb0ES6_jNS0_17counting_iteratorIjlEEPS9_SE_NS0_5tupleIJPjSE_EEENSF_IJSE_SE_EEES9_SG_JZNS1_25segmented_radix_sort_implINS0_14default_configELb1EPKlPlSM_SN_N2at6native12_GLOBAL__N_18offset_tEEE10hipError_tPvRmT1_PNSt15iterator_traitsISV_E10value_typeET2_T3_PNSW_IS11_E10value_typeET4_jRbjT5_S17_jjP12ihipStream_tbEUljE_EEESS_ST_SU_S11_S15_S17_T6_T7_T9_mT8_S19_bDpT10_ENKUlT_T0_E_clISt17integral_constantIbLb1EES1M_EEDaS1H_S1I_EUlS1H_E_NS1_11comp_targetILNS1_3genE8ELNS1_11target_archE1030ELNS1_3gpuE2ELNS1_3repE0EEENS1_30default_config_static_selectorELNS0_4arch9wavefront6targetE0EEEvSV_,comdat
.Lfunc_end683:
	.size	_ZN7rocprim17ROCPRIM_400000_NS6detail17trampoline_kernelINS0_13select_configILj256ELj13ELNS0_17block_load_methodE3ELS4_3ELS4_3ELNS0_20block_scan_algorithmE0ELj4294967295EEENS1_25partition_config_selectorILNS1_17partition_subalgoE3EjNS0_10empty_typeEbEEZZNS1_14partition_implILS8_3ELb0ES6_jNS0_17counting_iteratorIjlEEPS9_SE_NS0_5tupleIJPjSE_EEENSF_IJSE_SE_EEES9_SG_JZNS1_25segmented_radix_sort_implINS0_14default_configELb1EPKlPlSM_SN_N2at6native12_GLOBAL__N_18offset_tEEE10hipError_tPvRmT1_PNSt15iterator_traitsISV_E10value_typeET2_T3_PNSW_IS11_E10value_typeET4_jRbjT5_S17_jjP12ihipStream_tbEUljE_EEESS_ST_SU_S11_S15_S17_T6_T7_T9_mT8_S19_bDpT10_ENKUlT_T0_E_clISt17integral_constantIbLb1EES1M_EEDaS1H_S1I_EUlS1H_E_NS1_11comp_targetILNS1_3genE8ELNS1_11target_archE1030ELNS1_3gpuE2ELNS1_3repE0EEENS1_30default_config_static_selectorELNS0_4arch9wavefront6targetE0EEEvSV_, .Lfunc_end683-_ZN7rocprim17ROCPRIM_400000_NS6detail17trampoline_kernelINS0_13select_configILj256ELj13ELNS0_17block_load_methodE3ELS4_3ELS4_3ELNS0_20block_scan_algorithmE0ELj4294967295EEENS1_25partition_config_selectorILNS1_17partition_subalgoE3EjNS0_10empty_typeEbEEZZNS1_14partition_implILS8_3ELb0ES6_jNS0_17counting_iteratorIjlEEPS9_SE_NS0_5tupleIJPjSE_EEENSF_IJSE_SE_EEES9_SG_JZNS1_25segmented_radix_sort_implINS0_14default_configELb1EPKlPlSM_SN_N2at6native12_GLOBAL__N_18offset_tEEE10hipError_tPvRmT1_PNSt15iterator_traitsISV_E10value_typeET2_T3_PNSW_IS11_E10value_typeET4_jRbjT5_S17_jjP12ihipStream_tbEUljE_EEESS_ST_SU_S11_S15_S17_T6_T7_T9_mT8_S19_bDpT10_ENKUlT_T0_E_clISt17integral_constantIbLb1EES1M_EEDaS1H_S1I_EUlS1H_E_NS1_11comp_targetILNS1_3genE8ELNS1_11target_archE1030ELNS1_3gpuE2ELNS1_3repE0EEENS1_30default_config_static_selectorELNS0_4arch9wavefront6targetE0EEEvSV_
                                        ; -- End function
	.set _ZN7rocprim17ROCPRIM_400000_NS6detail17trampoline_kernelINS0_13select_configILj256ELj13ELNS0_17block_load_methodE3ELS4_3ELS4_3ELNS0_20block_scan_algorithmE0ELj4294967295EEENS1_25partition_config_selectorILNS1_17partition_subalgoE3EjNS0_10empty_typeEbEEZZNS1_14partition_implILS8_3ELb0ES6_jNS0_17counting_iteratorIjlEEPS9_SE_NS0_5tupleIJPjSE_EEENSF_IJSE_SE_EEES9_SG_JZNS1_25segmented_radix_sort_implINS0_14default_configELb1EPKlPlSM_SN_N2at6native12_GLOBAL__N_18offset_tEEE10hipError_tPvRmT1_PNSt15iterator_traitsISV_E10value_typeET2_T3_PNSW_IS11_E10value_typeET4_jRbjT5_S17_jjP12ihipStream_tbEUljE_EEESS_ST_SU_S11_S15_S17_T6_T7_T9_mT8_S19_bDpT10_ENKUlT_T0_E_clISt17integral_constantIbLb1EES1M_EEDaS1H_S1I_EUlS1H_E_NS1_11comp_targetILNS1_3genE8ELNS1_11target_archE1030ELNS1_3gpuE2ELNS1_3repE0EEENS1_30default_config_static_selectorELNS0_4arch9wavefront6targetE0EEEvSV_.num_vgpr, 0
	.set _ZN7rocprim17ROCPRIM_400000_NS6detail17trampoline_kernelINS0_13select_configILj256ELj13ELNS0_17block_load_methodE3ELS4_3ELS4_3ELNS0_20block_scan_algorithmE0ELj4294967295EEENS1_25partition_config_selectorILNS1_17partition_subalgoE3EjNS0_10empty_typeEbEEZZNS1_14partition_implILS8_3ELb0ES6_jNS0_17counting_iteratorIjlEEPS9_SE_NS0_5tupleIJPjSE_EEENSF_IJSE_SE_EEES9_SG_JZNS1_25segmented_radix_sort_implINS0_14default_configELb1EPKlPlSM_SN_N2at6native12_GLOBAL__N_18offset_tEEE10hipError_tPvRmT1_PNSt15iterator_traitsISV_E10value_typeET2_T3_PNSW_IS11_E10value_typeET4_jRbjT5_S17_jjP12ihipStream_tbEUljE_EEESS_ST_SU_S11_S15_S17_T6_T7_T9_mT8_S19_bDpT10_ENKUlT_T0_E_clISt17integral_constantIbLb1EES1M_EEDaS1H_S1I_EUlS1H_E_NS1_11comp_targetILNS1_3genE8ELNS1_11target_archE1030ELNS1_3gpuE2ELNS1_3repE0EEENS1_30default_config_static_selectorELNS0_4arch9wavefront6targetE0EEEvSV_.num_agpr, 0
	.set _ZN7rocprim17ROCPRIM_400000_NS6detail17trampoline_kernelINS0_13select_configILj256ELj13ELNS0_17block_load_methodE3ELS4_3ELS4_3ELNS0_20block_scan_algorithmE0ELj4294967295EEENS1_25partition_config_selectorILNS1_17partition_subalgoE3EjNS0_10empty_typeEbEEZZNS1_14partition_implILS8_3ELb0ES6_jNS0_17counting_iteratorIjlEEPS9_SE_NS0_5tupleIJPjSE_EEENSF_IJSE_SE_EEES9_SG_JZNS1_25segmented_radix_sort_implINS0_14default_configELb1EPKlPlSM_SN_N2at6native12_GLOBAL__N_18offset_tEEE10hipError_tPvRmT1_PNSt15iterator_traitsISV_E10value_typeET2_T3_PNSW_IS11_E10value_typeET4_jRbjT5_S17_jjP12ihipStream_tbEUljE_EEESS_ST_SU_S11_S15_S17_T6_T7_T9_mT8_S19_bDpT10_ENKUlT_T0_E_clISt17integral_constantIbLb1EES1M_EEDaS1H_S1I_EUlS1H_E_NS1_11comp_targetILNS1_3genE8ELNS1_11target_archE1030ELNS1_3gpuE2ELNS1_3repE0EEENS1_30default_config_static_selectorELNS0_4arch9wavefront6targetE0EEEvSV_.numbered_sgpr, 0
	.set _ZN7rocprim17ROCPRIM_400000_NS6detail17trampoline_kernelINS0_13select_configILj256ELj13ELNS0_17block_load_methodE3ELS4_3ELS4_3ELNS0_20block_scan_algorithmE0ELj4294967295EEENS1_25partition_config_selectorILNS1_17partition_subalgoE3EjNS0_10empty_typeEbEEZZNS1_14partition_implILS8_3ELb0ES6_jNS0_17counting_iteratorIjlEEPS9_SE_NS0_5tupleIJPjSE_EEENSF_IJSE_SE_EEES9_SG_JZNS1_25segmented_radix_sort_implINS0_14default_configELb1EPKlPlSM_SN_N2at6native12_GLOBAL__N_18offset_tEEE10hipError_tPvRmT1_PNSt15iterator_traitsISV_E10value_typeET2_T3_PNSW_IS11_E10value_typeET4_jRbjT5_S17_jjP12ihipStream_tbEUljE_EEESS_ST_SU_S11_S15_S17_T6_T7_T9_mT8_S19_bDpT10_ENKUlT_T0_E_clISt17integral_constantIbLb1EES1M_EEDaS1H_S1I_EUlS1H_E_NS1_11comp_targetILNS1_3genE8ELNS1_11target_archE1030ELNS1_3gpuE2ELNS1_3repE0EEENS1_30default_config_static_selectorELNS0_4arch9wavefront6targetE0EEEvSV_.num_named_barrier, 0
	.set _ZN7rocprim17ROCPRIM_400000_NS6detail17trampoline_kernelINS0_13select_configILj256ELj13ELNS0_17block_load_methodE3ELS4_3ELS4_3ELNS0_20block_scan_algorithmE0ELj4294967295EEENS1_25partition_config_selectorILNS1_17partition_subalgoE3EjNS0_10empty_typeEbEEZZNS1_14partition_implILS8_3ELb0ES6_jNS0_17counting_iteratorIjlEEPS9_SE_NS0_5tupleIJPjSE_EEENSF_IJSE_SE_EEES9_SG_JZNS1_25segmented_radix_sort_implINS0_14default_configELb1EPKlPlSM_SN_N2at6native12_GLOBAL__N_18offset_tEEE10hipError_tPvRmT1_PNSt15iterator_traitsISV_E10value_typeET2_T3_PNSW_IS11_E10value_typeET4_jRbjT5_S17_jjP12ihipStream_tbEUljE_EEESS_ST_SU_S11_S15_S17_T6_T7_T9_mT8_S19_bDpT10_ENKUlT_T0_E_clISt17integral_constantIbLb1EES1M_EEDaS1H_S1I_EUlS1H_E_NS1_11comp_targetILNS1_3genE8ELNS1_11target_archE1030ELNS1_3gpuE2ELNS1_3repE0EEENS1_30default_config_static_selectorELNS0_4arch9wavefront6targetE0EEEvSV_.private_seg_size, 0
	.set _ZN7rocprim17ROCPRIM_400000_NS6detail17trampoline_kernelINS0_13select_configILj256ELj13ELNS0_17block_load_methodE3ELS4_3ELS4_3ELNS0_20block_scan_algorithmE0ELj4294967295EEENS1_25partition_config_selectorILNS1_17partition_subalgoE3EjNS0_10empty_typeEbEEZZNS1_14partition_implILS8_3ELb0ES6_jNS0_17counting_iteratorIjlEEPS9_SE_NS0_5tupleIJPjSE_EEENSF_IJSE_SE_EEES9_SG_JZNS1_25segmented_radix_sort_implINS0_14default_configELb1EPKlPlSM_SN_N2at6native12_GLOBAL__N_18offset_tEEE10hipError_tPvRmT1_PNSt15iterator_traitsISV_E10value_typeET2_T3_PNSW_IS11_E10value_typeET4_jRbjT5_S17_jjP12ihipStream_tbEUljE_EEESS_ST_SU_S11_S15_S17_T6_T7_T9_mT8_S19_bDpT10_ENKUlT_T0_E_clISt17integral_constantIbLb1EES1M_EEDaS1H_S1I_EUlS1H_E_NS1_11comp_targetILNS1_3genE8ELNS1_11target_archE1030ELNS1_3gpuE2ELNS1_3repE0EEENS1_30default_config_static_selectorELNS0_4arch9wavefront6targetE0EEEvSV_.uses_vcc, 0
	.set _ZN7rocprim17ROCPRIM_400000_NS6detail17trampoline_kernelINS0_13select_configILj256ELj13ELNS0_17block_load_methodE3ELS4_3ELS4_3ELNS0_20block_scan_algorithmE0ELj4294967295EEENS1_25partition_config_selectorILNS1_17partition_subalgoE3EjNS0_10empty_typeEbEEZZNS1_14partition_implILS8_3ELb0ES6_jNS0_17counting_iteratorIjlEEPS9_SE_NS0_5tupleIJPjSE_EEENSF_IJSE_SE_EEES9_SG_JZNS1_25segmented_radix_sort_implINS0_14default_configELb1EPKlPlSM_SN_N2at6native12_GLOBAL__N_18offset_tEEE10hipError_tPvRmT1_PNSt15iterator_traitsISV_E10value_typeET2_T3_PNSW_IS11_E10value_typeET4_jRbjT5_S17_jjP12ihipStream_tbEUljE_EEESS_ST_SU_S11_S15_S17_T6_T7_T9_mT8_S19_bDpT10_ENKUlT_T0_E_clISt17integral_constantIbLb1EES1M_EEDaS1H_S1I_EUlS1H_E_NS1_11comp_targetILNS1_3genE8ELNS1_11target_archE1030ELNS1_3gpuE2ELNS1_3repE0EEENS1_30default_config_static_selectorELNS0_4arch9wavefront6targetE0EEEvSV_.uses_flat_scratch, 0
	.set _ZN7rocprim17ROCPRIM_400000_NS6detail17trampoline_kernelINS0_13select_configILj256ELj13ELNS0_17block_load_methodE3ELS4_3ELS4_3ELNS0_20block_scan_algorithmE0ELj4294967295EEENS1_25partition_config_selectorILNS1_17partition_subalgoE3EjNS0_10empty_typeEbEEZZNS1_14partition_implILS8_3ELb0ES6_jNS0_17counting_iteratorIjlEEPS9_SE_NS0_5tupleIJPjSE_EEENSF_IJSE_SE_EEES9_SG_JZNS1_25segmented_radix_sort_implINS0_14default_configELb1EPKlPlSM_SN_N2at6native12_GLOBAL__N_18offset_tEEE10hipError_tPvRmT1_PNSt15iterator_traitsISV_E10value_typeET2_T3_PNSW_IS11_E10value_typeET4_jRbjT5_S17_jjP12ihipStream_tbEUljE_EEESS_ST_SU_S11_S15_S17_T6_T7_T9_mT8_S19_bDpT10_ENKUlT_T0_E_clISt17integral_constantIbLb1EES1M_EEDaS1H_S1I_EUlS1H_E_NS1_11comp_targetILNS1_3genE8ELNS1_11target_archE1030ELNS1_3gpuE2ELNS1_3repE0EEENS1_30default_config_static_selectorELNS0_4arch9wavefront6targetE0EEEvSV_.has_dyn_sized_stack, 0
	.set _ZN7rocprim17ROCPRIM_400000_NS6detail17trampoline_kernelINS0_13select_configILj256ELj13ELNS0_17block_load_methodE3ELS4_3ELS4_3ELNS0_20block_scan_algorithmE0ELj4294967295EEENS1_25partition_config_selectorILNS1_17partition_subalgoE3EjNS0_10empty_typeEbEEZZNS1_14partition_implILS8_3ELb0ES6_jNS0_17counting_iteratorIjlEEPS9_SE_NS0_5tupleIJPjSE_EEENSF_IJSE_SE_EEES9_SG_JZNS1_25segmented_radix_sort_implINS0_14default_configELb1EPKlPlSM_SN_N2at6native12_GLOBAL__N_18offset_tEEE10hipError_tPvRmT1_PNSt15iterator_traitsISV_E10value_typeET2_T3_PNSW_IS11_E10value_typeET4_jRbjT5_S17_jjP12ihipStream_tbEUljE_EEESS_ST_SU_S11_S15_S17_T6_T7_T9_mT8_S19_bDpT10_ENKUlT_T0_E_clISt17integral_constantIbLb1EES1M_EEDaS1H_S1I_EUlS1H_E_NS1_11comp_targetILNS1_3genE8ELNS1_11target_archE1030ELNS1_3gpuE2ELNS1_3repE0EEENS1_30default_config_static_selectorELNS0_4arch9wavefront6targetE0EEEvSV_.has_recursion, 0
	.set _ZN7rocprim17ROCPRIM_400000_NS6detail17trampoline_kernelINS0_13select_configILj256ELj13ELNS0_17block_load_methodE3ELS4_3ELS4_3ELNS0_20block_scan_algorithmE0ELj4294967295EEENS1_25partition_config_selectorILNS1_17partition_subalgoE3EjNS0_10empty_typeEbEEZZNS1_14partition_implILS8_3ELb0ES6_jNS0_17counting_iteratorIjlEEPS9_SE_NS0_5tupleIJPjSE_EEENSF_IJSE_SE_EEES9_SG_JZNS1_25segmented_radix_sort_implINS0_14default_configELb1EPKlPlSM_SN_N2at6native12_GLOBAL__N_18offset_tEEE10hipError_tPvRmT1_PNSt15iterator_traitsISV_E10value_typeET2_T3_PNSW_IS11_E10value_typeET4_jRbjT5_S17_jjP12ihipStream_tbEUljE_EEESS_ST_SU_S11_S15_S17_T6_T7_T9_mT8_S19_bDpT10_ENKUlT_T0_E_clISt17integral_constantIbLb1EES1M_EEDaS1H_S1I_EUlS1H_E_NS1_11comp_targetILNS1_3genE8ELNS1_11target_archE1030ELNS1_3gpuE2ELNS1_3repE0EEENS1_30default_config_static_selectorELNS0_4arch9wavefront6targetE0EEEvSV_.has_indirect_call, 0
	.section	.AMDGPU.csdata,"",@progbits
; Kernel info:
; codeLenInByte = 0
; TotalNumSgprs: 0
; NumVgprs: 0
; ScratchSize: 0
; MemoryBound: 0
; FloatMode: 240
; IeeeMode: 1
; LDSByteSize: 0 bytes/workgroup (compile time only)
; SGPRBlocks: 0
; VGPRBlocks: 0
; NumSGPRsForWavesPerEU: 1
; NumVGPRsForWavesPerEU: 1
; NamedBarCnt: 0
; Occupancy: 16
; WaveLimiterHint : 0
; COMPUTE_PGM_RSRC2:SCRATCH_EN: 0
; COMPUTE_PGM_RSRC2:USER_SGPR: 2
; COMPUTE_PGM_RSRC2:TRAP_HANDLER: 0
; COMPUTE_PGM_RSRC2:TGID_X_EN: 1
; COMPUTE_PGM_RSRC2:TGID_Y_EN: 0
; COMPUTE_PGM_RSRC2:TGID_Z_EN: 0
; COMPUTE_PGM_RSRC2:TIDIG_COMP_CNT: 0
	.section	.text._ZN7rocprim17ROCPRIM_400000_NS6detail17trampoline_kernelINS0_13select_configILj256ELj13ELNS0_17block_load_methodE3ELS4_3ELS4_3ELNS0_20block_scan_algorithmE0ELj4294967295EEENS1_25partition_config_selectorILNS1_17partition_subalgoE3EjNS0_10empty_typeEbEEZZNS1_14partition_implILS8_3ELb0ES6_jNS0_17counting_iteratorIjlEEPS9_SE_NS0_5tupleIJPjSE_EEENSF_IJSE_SE_EEES9_SG_JZNS1_25segmented_radix_sort_implINS0_14default_configELb1EPKlPlSM_SN_N2at6native12_GLOBAL__N_18offset_tEEE10hipError_tPvRmT1_PNSt15iterator_traitsISV_E10value_typeET2_T3_PNSW_IS11_E10value_typeET4_jRbjT5_S17_jjP12ihipStream_tbEUljE_EEESS_ST_SU_S11_S15_S17_T6_T7_T9_mT8_S19_bDpT10_ENKUlT_T0_E_clISt17integral_constantIbLb1EES1L_IbLb0EEEEDaS1H_S1I_EUlS1H_E_NS1_11comp_targetILNS1_3genE0ELNS1_11target_archE4294967295ELNS1_3gpuE0ELNS1_3repE0EEENS1_30default_config_static_selectorELNS0_4arch9wavefront6targetE0EEEvSV_,"axG",@progbits,_ZN7rocprim17ROCPRIM_400000_NS6detail17trampoline_kernelINS0_13select_configILj256ELj13ELNS0_17block_load_methodE3ELS4_3ELS4_3ELNS0_20block_scan_algorithmE0ELj4294967295EEENS1_25partition_config_selectorILNS1_17partition_subalgoE3EjNS0_10empty_typeEbEEZZNS1_14partition_implILS8_3ELb0ES6_jNS0_17counting_iteratorIjlEEPS9_SE_NS0_5tupleIJPjSE_EEENSF_IJSE_SE_EEES9_SG_JZNS1_25segmented_radix_sort_implINS0_14default_configELb1EPKlPlSM_SN_N2at6native12_GLOBAL__N_18offset_tEEE10hipError_tPvRmT1_PNSt15iterator_traitsISV_E10value_typeET2_T3_PNSW_IS11_E10value_typeET4_jRbjT5_S17_jjP12ihipStream_tbEUljE_EEESS_ST_SU_S11_S15_S17_T6_T7_T9_mT8_S19_bDpT10_ENKUlT_T0_E_clISt17integral_constantIbLb1EES1L_IbLb0EEEEDaS1H_S1I_EUlS1H_E_NS1_11comp_targetILNS1_3genE0ELNS1_11target_archE4294967295ELNS1_3gpuE0ELNS1_3repE0EEENS1_30default_config_static_selectorELNS0_4arch9wavefront6targetE0EEEvSV_,comdat
	.globl	_ZN7rocprim17ROCPRIM_400000_NS6detail17trampoline_kernelINS0_13select_configILj256ELj13ELNS0_17block_load_methodE3ELS4_3ELS4_3ELNS0_20block_scan_algorithmE0ELj4294967295EEENS1_25partition_config_selectorILNS1_17partition_subalgoE3EjNS0_10empty_typeEbEEZZNS1_14partition_implILS8_3ELb0ES6_jNS0_17counting_iteratorIjlEEPS9_SE_NS0_5tupleIJPjSE_EEENSF_IJSE_SE_EEES9_SG_JZNS1_25segmented_radix_sort_implINS0_14default_configELb1EPKlPlSM_SN_N2at6native12_GLOBAL__N_18offset_tEEE10hipError_tPvRmT1_PNSt15iterator_traitsISV_E10value_typeET2_T3_PNSW_IS11_E10value_typeET4_jRbjT5_S17_jjP12ihipStream_tbEUljE_EEESS_ST_SU_S11_S15_S17_T6_T7_T9_mT8_S19_bDpT10_ENKUlT_T0_E_clISt17integral_constantIbLb1EES1L_IbLb0EEEEDaS1H_S1I_EUlS1H_E_NS1_11comp_targetILNS1_3genE0ELNS1_11target_archE4294967295ELNS1_3gpuE0ELNS1_3repE0EEENS1_30default_config_static_selectorELNS0_4arch9wavefront6targetE0EEEvSV_ ; -- Begin function _ZN7rocprim17ROCPRIM_400000_NS6detail17trampoline_kernelINS0_13select_configILj256ELj13ELNS0_17block_load_methodE3ELS4_3ELS4_3ELNS0_20block_scan_algorithmE0ELj4294967295EEENS1_25partition_config_selectorILNS1_17partition_subalgoE3EjNS0_10empty_typeEbEEZZNS1_14partition_implILS8_3ELb0ES6_jNS0_17counting_iteratorIjlEEPS9_SE_NS0_5tupleIJPjSE_EEENSF_IJSE_SE_EEES9_SG_JZNS1_25segmented_radix_sort_implINS0_14default_configELb1EPKlPlSM_SN_N2at6native12_GLOBAL__N_18offset_tEEE10hipError_tPvRmT1_PNSt15iterator_traitsISV_E10value_typeET2_T3_PNSW_IS11_E10value_typeET4_jRbjT5_S17_jjP12ihipStream_tbEUljE_EEESS_ST_SU_S11_S15_S17_T6_T7_T9_mT8_S19_bDpT10_ENKUlT_T0_E_clISt17integral_constantIbLb1EES1L_IbLb0EEEEDaS1H_S1I_EUlS1H_E_NS1_11comp_targetILNS1_3genE0ELNS1_11target_archE4294967295ELNS1_3gpuE0ELNS1_3repE0EEENS1_30default_config_static_selectorELNS0_4arch9wavefront6targetE0EEEvSV_
	.p2align	8
	.type	_ZN7rocprim17ROCPRIM_400000_NS6detail17trampoline_kernelINS0_13select_configILj256ELj13ELNS0_17block_load_methodE3ELS4_3ELS4_3ELNS0_20block_scan_algorithmE0ELj4294967295EEENS1_25partition_config_selectorILNS1_17partition_subalgoE3EjNS0_10empty_typeEbEEZZNS1_14partition_implILS8_3ELb0ES6_jNS0_17counting_iteratorIjlEEPS9_SE_NS0_5tupleIJPjSE_EEENSF_IJSE_SE_EEES9_SG_JZNS1_25segmented_radix_sort_implINS0_14default_configELb1EPKlPlSM_SN_N2at6native12_GLOBAL__N_18offset_tEEE10hipError_tPvRmT1_PNSt15iterator_traitsISV_E10value_typeET2_T3_PNSW_IS11_E10value_typeET4_jRbjT5_S17_jjP12ihipStream_tbEUljE_EEESS_ST_SU_S11_S15_S17_T6_T7_T9_mT8_S19_bDpT10_ENKUlT_T0_E_clISt17integral_constantIbLb1EES1L_IbLb0EEEEDaS1H_S1I_EUlS1H_E_NS1_11comp_targetILNS1_3genE0ELNS1_11target_archE4294967295ELNS1_3gpuE0ELNS1_3repE0EEENS1_30default_config_static_selectorELNS0_4arch9wavefront6targetE0EEEvSV_,@function
_ZN7rocprim17ROCPRIM_400000_NS6detail17trampoline_kernelINS0_13select_configILj256ELj13ELNS0_17block_load_methodE3ELS4_3ELS4_3ELNS0_20block_scan_algorithmE0ELj4294967295EEENS1_25partition_config_selectorILNS1_17partition_subalgoE3EjNS0_10empty_typeEbEEZZNS1_14partition_implILS8_3ELb0ES6_jNS0_17counting_iteratorIjlEEPS9_SE_NS0_5tupleIJPjSE_EEENSF_IJSE_SE_EEES9_SG_JZNS1_25segmented_radix_sort_implINS0_14default_configELb1EPKlPlSM_SN_N2at6native12_GLOBAL__N_18offset_tEEE10hipError_tPvRmT1_PNSt15iterator_traitsISV_E10value_typeET2_T3_PNSW_IS11_E10value_typeET4_jRbjT5_S17_jjP12ihipStream_tbEUljE_EEESS_ST_SU_S11_S15_S17_T6_T7_T9_mT8_S19_bDpT10_ENKUlT_T0_E_clISt17integral_constantIbLb1EES1L_IbLb0EEEEDaS1H_S1I_EUlS1H_E_NS1_11comp_targetILNS1_3genE0ELNS1_11target_archE4294967295ELNS1_3gpuE0ELNS1_3repE0EEENS1_30default_config_static_selectorELNS0_4arch9wavefront6targetE0EEEvSV_: ; @_ZN7rocprim17ROCPRIM_400000_NS6detail17trampoline_kernelINS0_13select_configILj256ELj13ELNS0_17block_load_methodE3ELS4_3ELS4_3ELNS0_20block_scan_algorithmE0ELj4294967295EEENS1_25partition_config_selectorILNS1_17partition_subalgoE3EjNS0_10empty_typeEbEEZZNS1_14partition_implILS8_3ELb0ES6_jNS0_17counting_iteratorIjlEEPS9_SE_NS0_5tupleIJPjSE_EEENSF_IJSE_SE_EEES9_SG_JZNS1_25segmented_radix_sort_implINS0_14default_configELb1EPKlPlSM_SN_N2at6native12_GLOBAL__N_18offset_tEEE10hipError_tPvRmT1_PNSt15iterator_traitsISV_E10value_typeET2_T3_PNSW_IS11_E10value_typeET4_jRbjT5_S17_jjP12ihipStream_tbEUljE_EEESS_ST_SU_S11_S15_S17_T6_T7_T9_mT8_S19_bDpT10_ENKUlT_T0_E_clISt17integral_constantIbLb1EES1L_IbLb0EEEEDaS1H_S1I_EUlS1H_E_NS1_11comp_targetILNS1_3genE0ELNS1_11target_archE4294967295ELNS1_3gpuE0ELNS1_3repE0EEENS1_30default_config_static_selectorELNS0_4arch9wavefront6targetE0EEEvSV_
; %bb.0:
	s_endpgm
	.section	.rodata,"a",@progbits
	.p2align	6, 0x0
	.amdhsa_kernel _ZN7rocprim17ROCPRIM_400000_NS6detail17trampoline_kernelINS0_13select_configILj256ELj13ELNS0_17block_load_methodE3ELS4_3ELS4_3ELNS0_20block_scan_algorithmE0ELj4294967295EEENS1_25partition_config_selectorILNS1_17partition_subalgoE3EjNS0_10empty_typeEbEEZZNS1_14partition_implILS8_3ELb0ES6_jNS0_17counting_iteratorIjlEEPS9_SE_NS0_5tupleIJPjSE_EEENSF_IJSE_SE_EEES9_SG_JZNS1_25segmented_radix_sort_implINS0_14default_configELb1EPKlPlSM_SN_N2at6native12_GLOBAL__N_18offset_tEEE10hipError_tPvRmT1_PNSt15iterator_traitsISV_E10value_typeET2_T3_PNSW_IS11_E10value_typeET4_jRbjT5_S17_jjP12ihipStream_tbEUljE_EEESS_ST_SU_S11_S15_S17_T6_T7_T9_mT8_S19_bDpT10_ENKUlT_T0_E_clISt17integral_constantIbLb1EES1L_IbLb0EEEEDaS1H_S1I_EUlS1H_E_NS1_11comp_targetILNS1_3genE0ELNS1_11target_archE4294967295ELNS1_3gpuE0ELNS1_3repE0EEENS1_30default_config_static_selectorELNS0_4arch9wavefront6targetE0EEEvSV_
		.amdhsa_group_segment_fixed_size 0
		.amdhsa_private_segment_fixed_size 0
		.amdhsa_kernarg_size 144
		.amdhsa_user_sgpr_count 2
		.amdhsa_user_sgpr_dispatch_ptr 0
		.amdhsa_user_sgpr_queue_ptr 0
		.amdhsa_user_sgpr_kernarg_segment_ptr 1
		.amdhsa_user_sgpr_dispatch_id 0
		.amdhsa_user_sgpr_kernarg_preload_length 0
		.amdhsa_user_sgpr_kernarg_preload_offset 0
		.amdhsa_user_sgpr_private_segment_size 0
		.amdhsa_wavefront_size32 1
		.amdhsa_uses_dynamic_stack 0
		.amdhsa_enable_private_segment 0
		.amdhsa_system_sgpr_workgroup_id_x 1
		.amdhsa_system_sgpr_workgroup_id_y 0
		.amdhsa_system_sgpr_workgroup_id_z 0
		.amdhsa_system_sgpr_workgroup_info 0
		.amdhsa_system_vgpr_workitem_id 0
		.amdhsa_next_free_vgpr 1
		.amdhsa_next_free_sgpr 1
		.amdhsa_named_barrier_count 0
		.amdhsa_reserve_vcc 0
		.amdhsa_float_round_mode_32 0
		.amdhsa_float_round_mode_16_64 0
		.amdhsa_float_denorm_mode_32 3
		.amdhsa_float_denorm_mode_16_64 3
		.amdhsa_fp16_overflow 0
		.amdhsa_memory_ordered 1
		.amdhsa_forward_progress 1
		.amdhsa_inst_pref_size 1
		.amdhsa_round_robin_scheduling 0
		.amdhsa_exception_fp_ieee_invalid_op 0
		.amdhsa_exception_fp_denorm_src 0
		.amdhsa_exception_fp_ieee_div_zero 0
		.amdhsa_exception_fp_ieee_overflow 0
		.amdhsa_exception_fp_ieee_underflow 0
		.amdhsa_exception_fp_ieee_inexact 0
		.amdhsa_exception_int_div_zero 0
	.end_amdhsa_kernel
	.section	.text._ZN7rocprim17ROCPRIM_400000_NS6detail17trampoline_kernelINS0_13select_configILj256ELj13ELNS0_17block_load_methodE3ELS4_3ELS4_3ELNS0_20block_scan_algorithmE0ELj4294967295EEENS1_25partition_config_selectorILNS1_17partition_subalgoE3EjNS0_10empty_typeEbEEZZNS1_14partition_implILS8_3ELb0ES6_jNS0_17counting_iteratorIjlEEPS9_SE_NS0_5tupleIJPjSE_EEENSF_IJSE_SE_EEES9_SG_JZNS1_25segmented_radix_sort_implINS0_14default_configELb1EPKlPlSM_SN_N2at6native12_GLOBAL__N_18offset_tEEE10hipError_tPvRmT1_PNSt15iterator_traitsISV_E10value_typeET2_T3_PNSW_IS11_E10value_typeET4_jRbjT5_S17_jjP12ihipStream_tbEUljE_EEESS_ST_SU_S11_S15_S17_T6_T7_T9_mT8_S19_bDpT10_ENKUlT_T0_E_clISt17integral_constantIbLb1EES1L_IbLb0EEEEDaS1H_S1I_EUlS1H_E_NS1_11comp_targetILNS1_3genE0ELNS1_11target_archE4294967295ELNS1_3gpuE0ELNS1_3repE0EEENS1_30default_config_static_selectorELNS0_4arch9wavefront6targetE0EEEvSV_,"axG",@progbits,_ZN7rocprim17ROCPRIM_400000_NS6detail17trampoline_kernelINS0_13select_configILj256ELj13ELNS0_17block_load_methodE3ELS4_3ELS4_3ELNS0_20block_scan_algorithmE0ELj4294967295EEENS1_25partition_config_selectorILNS1_17partition_subalgoE3EjNS0_10empty_typeEbEEZZNS1_14partition_implILS8_3ELb0ES6_jNS0_17counting_iteratorIjlEEPS9_SE_NS0_5tupleIJPjSE_EEENSF_IJSE_SE_EEES9_SG_JZNS1_25segmented_radix_sort_implINS0_14default_configELb1EPKlPlSM_SN_N2at6native12_GLOBAL__N_18offset_tEEE10hipError_tPvRmT1_PNSt15iterator_traitsISV_E10value_typeET2_T3_PNSW_IS11_E10value_typeET4_jRbjT5_S17_jjP12ihipStream_tbEUljE_EEESS_ST_SU_S11_S15_S17_T6_T7_T9_mT8_S19_bDpT10_ENKUlT_T0_E_clISt17integral_constantIbLb1EES1L_IbLb0EEEEDaS1H_S1I_EUlS1H_E_NS1_11comp_targetILNS1_3genE0ELNS1_11target_archE4294967295ELNS1_3gpuE0ELNS1_3repE0EEENS1_30default_config_static_selectorELNS0_4arch9wavefront6targetE0EEEvSV_,comdat
.Lfunc_end684:
	.size	_ZN7rocprim17ROCPRIM_400000_NS6detail17trampoline_kernelINS0_13select_configILj256ELj13ELNS0_17block_load_methodE3ELS4_3ELS4_3ELNS0_20block_scan_algorithmE0ELj4294967295EEENS1_25partition_config_selectorILNS1_17partition_subalgoE3EjNS0_10empty_typeEbEEZZNS1_14partition_implILS8_3ELb0ES6_jNS0_17counting_iteratorIjlEEPS9_SE_NS0_5tupleIJPjSE_EEENSF_IJSE_SE_EEES9_SG_JZNS1_25segmented_radix_sort_implINS0_14default_configELb1EPKlPlSM_SN_N2at6native12_GLOBAL__N_18offset_tEEE10hipError_tPvRmT1_PNSt15iterator_traitsISV_E10value_typeET2_T3_PNSW_IS11_E10value_typeET4_jRbjT5_S17_jjP12ihipStream_tbEUljE_EEESS_ST_SU_S11_S15_S17_T6_T7_T9_mT8_S19_bDpT10_ENKUlT_T0_E_clISt17integral_constantIbLb1EES1L_IbLb0EEEEDaS1H_S1I_EUlS1H_E_NS1_11comp_targetILNS1_3genE0ELNS1_11target_archE4294967295ELNS1_3gpuE0ELNS1_3repE0EEENS1_30default_config_static_selectorELNS0_4arch9wavefront6targetE0EEEvSV_, .Lfunc_end684-_ZN7rocprim17ROCPRIM_400000_NS6detail17trampoline_kernelINS0_13select_configILj256ELj13ELNS0_17block_load_methodE3ELS4_3ELS4_3ELNS0_20block_scan_algorithmE0ELj4294967295EEENS1_25partition_config_selectorILNS1_17partition_subalgoE3EjNS0_10empty_typeEbEEZZNS1_14partition_implILS8_3ELb0ES6_jNS0_17counting_iteratorIjlEEPS9_SE_NS0_5tupleIJPjSE_EEENSF_IJSE_SE_EEES9_SG_JZNS1_25segmented_radix_sort_implINS0_14default_configELb1EPKlPlSM_SN_N2at6native12_GLOBAL__N_18offset_tEEE10hipError_tPvRmT1_PNSt15iterator_traitsISV_E10value_typeET2_T3_PNSW_IS11_E10value_typeET4_jRbjT5_S17_jjP12ihipStream_tbEUljE_EEESS_ST_SU_S11_S15_S17_T6_T7_T9_mT8_S19_bDpT10_ENKUlT_T0_E_clISt17integral_constantIbLb1EES1L_IbLb0EEEEDaS1H_S1I_EUlS1H_E_NS1_11comp_targetILNS1_3genE0ELNS1_11target_archE4294967295ELNS1_3gpuE0ELNS1_3repE0EEENS1_30default_config_static_selectorELNS0_4arch9wavefront6targetE0EEEvSV_
                                        ; -- End function
	.set _ZN7rocprim17ROCPRIM_400000_NS6detail17trampoline_kernelINS0_13select_configILj256ELj13ELNS0_17block_load_methodE3ELS4_3ELS4_3ELNS0_20block_scan_algorithmE0ELj4294967295EEENS1_25partition_config_selectorILNS1_17partition_subalgoE3EjNS0_10empty_typeEbEEZZNS1_14partition_implILS8_3ELb0ES6_jNS0_17counting_iteratorIjlEEPS9_SE_NS0_5tupleIJPjSE_EEENSF_IJSE_SE_EEES9_SG_JZNS1_25segmented_radix_sort_implINS0_14default_configELb1EPKlPlSM_SN_N2at6native12_GLOBAL__N_18offset_tEEE10hipError_tPvRmT1_PNSt15iterator_traitsISV_E10value_typeET2_T3_PNSW_IS11_E10value_typeET4_jRbjT5_S17_jjP12ihipStream_tbEUljE_EEESS_ST_SU_S11_S15_S17_T6_T7_T9_mT8_S19_bDpT10_ENKUlT_T0_E_clISt17integral_constantIbLb1EES1L_IbLb0EEEEDaS1H_S1I_EUlS1H_E_NS1_11comp_targetILNS1_3genE0ELNS1_11target_archE4294967295ELNS1_3gpuE0ELNS1_3repE0EEENS1_30default_config_static_selectorELNS0_4arch9wavefront6targetE0EEEvSV_.num_vgpr, 0
	.set _ZN7rocprim17ROCPRIM_400000_NS6detail17trampoline_kernelINS0_13select_configILj256ELj13ELNS0_17block_load_methodE3ELS4_3ELS4_3ELNS0_20block_scan_algorithmE0ELj4294967295EEENS1_25partition_config_selectorILNS1_17partition_subalgoE3EjNS0_10empty_typeEbEEZZNS1_14partition_implILS8_3ELb0ES6_jNS0_17counting_iteratorIjlEEPS9_SE_NS0_5tupleIJPjSE_EEENSF_IJSE_SE_EEES9_SG_JZNS1_25segmented_radix_sort_implINS0_14default_configELb1EPKlPlSM_SN_N2at6native12_GLOBAL__N_18offset_tEEE10hipError_tPvRmT1_PNSt15iterator_traitsISV_E10value_typeET2_T3_PNSW_IS11_E10value_typeET4_jRbjT5_S17_jjP12ihipStream_tbEUljE_EEESS_ST_SU_S11_S15_S17_T6_T7_T9_mT8_S19_bDpT10_ENKUlT_T0_E_clISt17integral_constantIbLb1EES1L_IbLb0EEEEDaS1H_S1I_EUlS1H_E_NS1_11comp_targetILNS1_3genE0ELNS1_11target_archE4294967295ELNS1_3gpuE0ELNS1_3repE0EEENS1_30default_config_static_selectorELNS0_4arch9wavefront6targetE0EEEvSV_.num_agpr, 0
	.set _ZN7rocprim17ROCPRIM_400000_NS6detail17trampoline_kernelINS0_13select_configILj256ELj13ELNS0_17block_load_methodE3ELS4_3ELS4_3ELNS0_20block_scan_algorithmE0ELj4294967295EEENS1_25partition_config_selectorILNS1_17partition_subalgoE3EjNS0_10empty_typeEbEEZZNS1_14partition_implILS8_3ELb0ES6_jNS0_17counting_iteratorIjlEEPS9_SE_NS0_5tupleIJPjSE_EEENSF_IJSE_SE_EEES9_SG_JZNS1_25segmented_radix_sort_implINS0_14default_configELb1EPKlPlSM_SN_N2at6native12_GLOBAL__N_18offset_tEEE10hipError_tPvRmT1_PNSt15iterator_traitsISV_E10value_typeET2_T3_PNSW_IS11_E10value_typeET4_jRbjT5_S17_jjP12ihipStream_tbEUljE_EEESS_ST_SU_S11_S15_S17_T6_T7_T9_mT8_S19_bDpT10_ENKUlT_T0_E_clISt17integral_constantIbLb1EES1L_IbLb0EEEEDaS1H_S1I_EUlS1H_E_NS1_11comp_targetILNS1_3genE0ELNS1_11target_archE4294967295ELNS1_3gpuE0ELNS1_3repE0EEENS1_30default_config_static_selectorELNS0_4arch9wavefront6targetE0EEEvSV_.numbered_sgpr, 0
	.set _ZN7rocprim17ROCPRIM_400000_NS6detail17trampoline_kernelINS0_13select_configILj256ELj13ELNS0_17block_load_methodE3ELS4_3ELS4_3ELNS0_20block_scan_algorithmE0ELj4294967295EEENS1_25partition_config_selectorILNS1_17partition_subalgoE3EjNS0_10empty_typeEbEEZZNS1_14partition_implILS8_3ELb0ES6_jNS0_17counting_iteratorIjlEEPS9_SE_NS0_5tupleIJPjSE_EEENSF_IJSE_SE_EEES9_SG_JZNS1_25segmented_radix_sort_implINS0_14default_configELb1EPKlPlSM_SN_N2at6native12_GLOBAL__N_18offset_tEEE10hipError_tPvRmT1_PNSt15iterator_traitsISV_E10value_typeET2_T3_PNSW_IS11_E10value_typeET4_jRbjT5_S17_jjP12ihipStream_tbEUljE_EEESS_ST_SU_S11_S15_S17_T6_T7_T9_mT8_S19_bDpT10_ENKUlT_T0_E_clISt17integral_constantIbLb1EES1L_IbLb0EEEEDaS1H_S1I_EUlS1H_E_NS1_11comp_targetILNS1_3genE0ELNS1_11target_archE4294967295ELNS1_3gpuE0ELNS1_3repE0EEENS1_30default_config_static_selectorELNS0_4arch9wavefront6targetE0EEEvSV_.num_named_barrier, 0
	.set _ZN7rocprim17ROCPRIM_400000_NS6detail17trampoline_kernelINS0_13select_configILj256ELj13ELNS0_17block_load_methodE3ELS4_3ELS4_3ELNS0_20block_scan_algorithmE0ELj4294967295EEENS1_25partition_config_selectorILNS1_17partition_subalgoE3EjNS0_10empty_typeEbEEZZNS1_14partition_implILS8_3ELb0ES6_jNS0_17counting_iteratorIjlEEPS9_SE_NS0_5tupleIJPjSE_EEENSF_IJSE_SE_EEES9_SG_JZNS1_25segmented_radix_sort_implINS0_14default_configELb1EPKlPlSM_SN_N2at6native12_GLOBAL__N_18offset_tEEE10hipError_tPvRmT1_PNSt15iterator_traitsISV_E10value_typeET2_T3_PNSW_IS11_E10value_typeET4_jRbjT5_S17_jjP12ihipStream_tbEUljE_EEESS_ST_SU_S11_S15_S17_T6_T7_T9_mT8_S19_bDpT10_ENKUlT_T0_E_clISt17integral_constantIbLb1EES1L_IbLb0EEEEDaS1H_S1I_EUlS1H_E_NS1_11comp_targetILNS1_3genE0ELNS1_11target_archE4294967295ELNS1_3gpuE0ELNS1_3repE0EEENS1_30default_config_static_selectorELNS0_4arch9wavefront6targetE0EEEvSV_.private_seg_size, 0
	.set _ZN7rocprim17ROCPRIM_400000_NS6detail17trampoline_kernelINS0_13select_configILj256ELj13ELNS0_17block_load_methodE3ELS4_3ELS4_3ELNS0_20block_scan_algorithmE0ELj4294967295EEENS1_25partition_config_selectorILNS1_17partition_subalgoE3EjNS0_10empty_typeEbEEZZNS1_14partition_implILS8_3ELb0ES6_jNS0_17counting_iteratorIjlEEPS9_SE_NS0_5tupleIJPjSE_EEENSF_IJSE_SE_EEES9_SG_JZNS1_25segmented_radix_sort_implINS0_14default_configELb1EPKlPlSM_SN_N2at6native12_GLOBAL__N_18offset_tEEE10hipError_tPvRmT1_PNSt15iterator_traitsISV_E10value_typeET2_T3_PNSW_IS11_E10value_typeET4_jRbjT5_S17_jjP12ihipStream_tbEUljE_EEESS_ST_SU_S11_S15_S17_T6_T7_T9_mT8_S19_bDpT10_ENKUlT_T0_E_clISt17integral_constantIbLb1EES1L_IbLb0EEEEDaS1H_S1I_EUlS1H_E_NS1_11comp_targetILNS1_3genE0ELNS1_11target_archE4294967295ELNS1_3gpuE0ELNS1_3repE0EEENS1_30default_config_static_selectorELNS0_4arch9wavefront6targetE0EEEvSV_.uses_vcc, 0
	.set _ZN7rocprim17ROCPRIM_400000_NS6detail17trampoline_kernelINS0_13select_configILj256ELj13ELNS0_17block_load_methodE3ELS4_3ELS4_3ELNS0_20block_scan_algorithmE0ELj4294967295EEENS1_25partition_config_selectorILNS1_17partition_subalgoE3EjNS0_10empty_typeEbEEZZNS1_14partition_implILS8_3ELb0ES6_jNS0_17counting_iteratorIjlEEPS9_SE_NS0_5tupleIJPjSE_EEENSF_IJSE_SE_EEES9_SG_JZNS1_25segmented_radix_sort_implINS0_14default_configELb1EPKlPlSM_SN_N2at6native12_GLOBAL__N_18offset_tEEE10hipError_tPvRmT1_PNSt15iterator_traitsISV_E10value_typeET2_T3_PNSW_IS11_E10value_typeET4_jRbjT5_S17_jjP12ihipStream_tbEUljE_EEESS_ST_SU_S11_S15_S17_T6_T7_T9_mT8_S19_bDpT10_ENKUlT_T0_E_clISt17integral_constantIbLb1EES1L_IbLb0EEEEDaS1H_S1I_EUlS1H_E_NS1_11comp_targetILNS1_3genE0ELNS1_11target_archE4294967295ELNS1_3gpuE0ELNS1_3repE0EEENS1_30default_config_static_selectorELNS0_4arch9wavefront6targetE0EEEvSV_.uses_flat_scratch, 0
	.set _ZN7rocprim17ROCPRIM_400000_NS6detail17trampoline_kernelINS0_13select_configILj256ELj13ELNS0_17block_load_methodE3ELS4_3ELS4_3ELNS0_20block_scan_algorithmE0ELj4294967295EEENS1_25partition_config_selectorILNS1_17partition_subalgoE3EjNS0_10empty_typeEbEEZZNS1_14partition_implILS8_3ELb0ES6_jNS0_17counting_iteratorIjlEEPS9_SE_NS0_5tupleIJPjSE_EEENSF_IJSE_SE_EEES9_SG_JZNS1_25segmented_radix_sort_implINS0_14default_configELb1EPKlPlSM_SN_N2at6native12_GLOBAL__N_18offset_tEEE10hipError_tPvRmT1_PNSt15iterator_traitsISV_E10value_typeET2_T3_PNSW_IS11_E10value_typeET4_jRbjT5_S17_jjP12ihipStream_tbEUljE_EEESS_ST_SU_S11_S15_S17_T6_T7_T9_mT8_S19_bDpT10_ENKUlT_T0_E_clISt17integral_constantIbLb1EES1L_IbLb0EEEEDaS1H_S1I_EUlS1H_E_NS1_11comp_targetILNS1_3genE0ELNS1_11target_archE4294967295ELNS1_3gpuE0ELNS1_3repE0EEENS1_30default_config_static_selectorELNS0_4arch9wavefront6targetE0EEEvSV_.has_dyn_sized_stack, 0
	.set _ZN7rocprim17ROCPRIM_400000_NS6detail17trampoline_kernelINS0_13select_configILj256ELj13ELNS0_17block_load_methodE3ELS4_3ELS4_3ELNS0_20block_scan_algorithmE0ELj4294967295EEENS1_25partition_config_selectorILNS1_17partition_subalgoE3EjNS0_10empty_typeEbEEZZNS1_14partition_implILS8_3ELb0ES6_jNS0_17counting_iteratorIjlEEPS9_SE_NS0_5tupleIJPjSE_EEENSF_IJSE_SE_EEES9_SG_JZNS1_25segmented_radix_sort_implINS0_14default_configELb1EPKlPlSM_SN_N2at6native12_GLOBAL__N_18offset_tEEE10hipError_tPvRmT1_PNSt15iterator_traitsISV_E10value_typeET2_T3_PNSW_IS11_E10value_typeET4_jRbjT5_S17_jjP12ihipStream_tbEUljE_EEESS_ST_SU_S11_S15_S17_T6_T7_T9_mT8_S19_bDpT10_ENKUlT_T0_E_clISt17integral_constantIbLb1EES1L_IbLb0EEEEDaS1H_S1I_EUlS1H_E_NS1_11comp_targetILNS1_3genE0ELNS1_11target_archE4294967295ELNS1_3gpuE0ELNS1_3repE0EEENS1_30default_config_static_selectorELNS0_4arch9wavefront6targetE0EEEvSV_.has_recursion, 0
	.set _ZN7rocprim17ROCPRIM_400000_NS6detail17trampoline_kernelINS0_13select_configILj256ELj13ELNS0_17block_load_methodE3ELS4_3ELS4_3ELNS0_20block_scan_algorithmE0ELj4294967295EEENS1_25partition_config_selectorILNS1_17partition_subalgoE3EjNS0_10empty_typeEbEEZZNS1_14partition_implILS8_3ELb0ES6_jNS0_17counting_iteratorIjlEEPS9_SE_NS0_5tupleIJPjSE_EEENSF_IJSE_SE_EEES9_SG_JZNS1_25segmented_radix_sort_implINS0_14default_configELb1EPKlPlSM_SN_N2at6native12_GLOBAL__N_18offset_tEEE10hipError_tPvRmT1_PNSt15iterator_traitsISV_E10value_typeET2_T3_PNSW_IS11_E10value_typeET4_jRbjT5_S17_jjP12ihipStream_tbEUljE_EEESS_ST_SU_S11_S15_S17_T6_T7_T9_mT8_S19_bDpT10_ENKUlT_T0_E_clISt17integral_constantIbLb1EES1L_IbLb0EEEEDaS1H_S1I_EUlS1H_E_NS1_11comp_targetILNS1_3genE0ELNS1_11target_archE4294967295ELNS1_3gpuE0ELNS1_3repE0EEENS1_30default_config_static_selectorELNS0_4arch9wavefront6targetE0EEEvSV_.has_indirect_call, 0
	.section	.AMDGPU.csdata,"",@progbits
; Kernel info:
; codeLenInByte = 4
; TotalNumSgprs: 0
; NumVgprs: 0
; ScratchSize: 0
; MemoryBound: 0
; FloatMode: 240
; IeeeMode: 1
; LDSByteSize: 0 bytes/workgroup (compile time only)
; SGPRBlocks: 0
; VGPRBlocks: 0
; NumSGPRsForWavesPerEU: 1
; NumVGPRsForWavesPerEU: 1
; NamedBarCnt: 0
; Occupancy: 16
; WaveLimiterHint : 0
; COMPUTE_PGM_RSRC2:SCRATCH_EN: 0
; COMPUTE_PGM_RSRC2:USER_SGPR: 2
; COMPUTE_PGM_RSRC2:TRAP_HANDLER: 0
; COMPUTE_PGM_RSRC2:TGID_X_EN: 1
; COMPUTE_PGM_RSRC2:TGID_Y_EN: 0
; COMPUTE_PGM_RSRC2:TGID_Z_EN: 0
; COMPUTE_PGM_RSRC2:TIDIG_COMP_CNT: 0
	.section	.text._ZN7rocprim17ROCPRIM_400000_NS6detail17trampoline_kernelINS0_13select_configILj256ELj13ELNS0_17block_load_methodE3ELS4_3ELS4_3ELNS0_20block_scan_algorithmE0ELj4294967295EEENS1_25partition_config_selectorILNS1_17partition_subalgoE3EjNS0_10empty_typeEbEEZZNS1_14partition_implILS8_3ELb0ES6_jNS0_17counting_iteratorIjlEEPS9_SE_NS0_5tupleIJPjSE_EEENSF_IJSE_SE_EEES9_SG_JZNS1_25segmented_radix_sort_implINS0_14default_configELb1EPKlPlSM_SN_N2at6native12_GLOBAL__N_18offset_tEEE10hipError_tPvRmT1_PNSt15iterator_traitsISV_E10value_typeET2_T3_PNSW_IS11_E10value_typeET4_jRbjT5_S17_jjP12ihipStream_tbEUljE_EEESS_ST_SU_S11_S15_S17_T6_T7_T9_mT8_S19_bDpT10_ENKUlT_T0_E_clISt17integral_constantIbLb1EES1L_IbLb0EEEEDaS1H_S1I_EUlS1H_E_NS1_11comp_targetILNS1_3genE5ELNS1_11target_archE942ELNS1_3gpuE9ELNS1_3repE0EEENS1_30default_config_static_selectorELNS0_4arch9wavefront6targetE0EEEvSV_,"axG",@progbits,_ZN7rocprim17ROCPRIM_400000_NS6detail17trampoline_kernelINS0_13select_configILj256ELj13ELNS0_17block_load_methodE3ELS4_3ELS4_3ELNS0_20block_scan_algorithmE0ELj4294967295EEENS1_25partition_config_selectorILNS1_17partition_subalgoE3EjNS0_10empty_typeEbEEZZNS1_14partition_implILS8_3ELb0ES6_jNS0_17counting_iteratorIjlEEPS9_SE_NS0_5tupleIJPjSE_EEENSF_IJSE_SE_EEES9_SG_JZNS1_25segmented_radix_sort_implINS0_14default_configELb1EPKlPlSM_SN_N2at6native12_GLOBAL__N_18offset_tEEE10hipError_tPvRmT1_PNSt15iterator_traitsISV_E10value_typeET2_T3_PNSW_IS11_E10value_typeET4_jRbjT5_S17_jjP12ihipStream_tbEUljE_EEESS_ST_SU_S11_S15_S17_T6_T7_T9_mT8_S19_bDpT10_ENKUlT_T0_E_clISt17integral_constantIbLb1EES1L_IbLb0EEEEDaS1H_S1I_EUlS1H_E_NS1_11comp_targetILNS1_3genE5ELNS1_11target_archE942ELNS1_3gpuE9ELNS1_3repE0EEENS1_30default_config_static_selectorELNS0_4arch9wavefront6targetE0EEEvSV_,comdat
	.globl	_ZN7rocprim17ROCPRIM_400000_NS6detail17trampoline_kernelINS0_13select_configILj256ELj13ELNS0_17block_load_methodE3ELS4_3ELS4_3ELNS0_20block_scan_algorithmE0ELj4294967295EEENS1_25partition_config_selectorILNS1_17partition_subalgoE3EjNS0_10empty_typeEbEEZZNS1_14partition_implILS8_3ELb0ES6_jNS0_17counting_iteratorIjlEEPS9_SE_NS0_5tupleIJPjSE_EEENSF_IJSE_SE_EEES9_SG_JZNS1_25segmented_radix_sort_implINS0_14default_configELb1EPKlPlSM_SN_N2at6native12_GLOBAL__N_18offset_tEEE10hipError_tPvRmT1_PNSt15iterator_traitsISV_E10value_typeET2_T3_PNSW_IS11_E10value_typeET4_jRbjT5_S17_jjP12ihipStream_tbEUljE_EEESS_ST_SU_S11_S15_S17_T6_T7_T9_mT8_S19_bDpT10_ENKUlT_T0_E_clISt17integral_constantIbLb1EES1L_IbLb0EEEEDaS1H_S1I_EUlS1H_E_NS1_11comp_targetILNS1_3genE5ELNS1_11target_archE942ELNS1_3gpuE9ELNS1_3repE0EEENS1_30default_config_static_selectorELNS0_4arch9wavefront6targetE0EEEvSV_ ; -- Begin function _ZN7rocprim17ROCPRIM_400000_NS6detail17trampoline_kernelINS0_13select_configILj256ELj13ELNS0_17block_load_methodE3ELS4_3ELS4_3ELNS0_20block_scan_algorithmE0ELj4294967295EEENS1_25partition_config_selectorILNS1_17partition_subalgoE3EjNS0_10empty_typeEbEEZZNS1_14partition_implILS8_3ELb0ES6_jNS0_17counting_iteratorIjlEEPS9_SE_NS0_5tupleIJPjSE_EEENSF_IJSE_SE_EEES9_SG_JZNS1_25segmented_radix_sort_implINS0_14default_configELb1EPKlPlSM_SN_N2at6native12_GLOBAL__N_18offset_tEEE10hipError_tPvRmT1_PNSt15iterator_traitsISV_E10value_typeET2_T3_PNSW_IS11_E10value_typeET4_jRbjT5_S17_jjP12ihipStream_tbEUljE_EEESS_ST_SU_S11_S15_S17_T6_T7_T9_mT8_S19_bDpT10_ENKUlT_T0_E_clISt17integral_constantIbLb1EES1L_IbLb0EEEEDaS1H_S1I_EUlS1H_E_NS1_11comp_targetILNS1_3genE5ELNS1_11target_archE942ELNS1_3gpuE9ELNS1_3repE0EEENS1_30default_config_static_selectorELNS0_4arch9wavefront6targetE0EEEvSV_
	.p2align	8
	.type	_ZN7rocprim17ROCPRIM_400000_NS6detail17trampoline_kernelINS0_13select_configILj256ELj13ELNS0_17block_load_methodE3ELS4_3ELS4_3ELNS0_20block_scan_algorithmE0ELj4294967295EEENS1_25partition_config_selectorILNS1_17partition_subalgoE3EjNS0_10empty_typeEbEEZZNS1_14partition_implILS8_3ELb0ES6_jNS0_17counting_iteratorIjlEEPS9_SE_NS0_5tupleIJPjSE_EEENSF_IJSE_SE_EEES9_SG_JZNS1_25segmented_radix_sort_implINS0_14default_configELb1EPKlPlSM_SN_N2at6native12_GLOBAL__N_18offset_tEEE10hipError_tPvRmT1_PNSt15iterator_traitsISV_E10value_typeET2_T3_PNSW_IS11_E10value_typeET4_jRbjT5_S17_jjP12ihipStream_tbEUljE_EEESS_ST_SU_S11_S15_S17_T6_T7_T9_mT8_S19_bDpT10_ENKUlT_T0_E_clISt17integral_constantIbLb1EES1L_IbLb0EEEEDaS1H_S1I_EUlS1H_E_NS1_11comp_targetILNS1_3genE5ELNS1_11target_archE942ELNS1_3gpuE9ELNS1_3repE0EEENS1_30default_config_static_selectorELNS0_4arch9wavefront6targetE0EEEvSV_,@function
_ZN7rocprim17ROCPRIM_400000_NS6detail17trampoline_kernelINS0_13select_configILj256ELj13ELNS0_17block_load_methodE3ELS4_3ELS4_3ELNS0_20block_scan_algorithmE0ELj4294967295EEENS1_25partition_config_selectorILNS1_17partition_subalgoE3EjNS0_10empty_typeEbEEZZNS1_14partition_implILS8_3ELb0ES6_jNS0_17counting_iteratorIjlEEPS9_SE_NS0_5tupleIJPjSE_EEENSF_IJSE_SE_EEES9_SG_JZNS1_25segmented_radix_sort_implINS0_14default_configELb1EPKlPlSM_SN_N2at6native12_GLOBAL__N_18offset_tEEE10hipError_tPvRmT1_PNSt15iterator_traitsISV_E10value_typeET2_T3_PNSW_IS11_E10value_typeET4_jRbjT5_S17_jjP12ihipStream_tbEUljE_EEESS_ST_SU_S11_S15_S17_T6_T7_T9_mT8_S19_bDpT10_ENKUlT_T0_E_clISt17integral_constantIbLb1EES1L_IbLb0EEEEDaS1H_S1I_EUlS1H_E_NS1_11comp_targetILNS1_3genE5ELNS1_11target_archE942ELNS1_3gpuE9ELNS1_3repE0EEENS1_30default_config_static_selectorELNS0_4arch9wavefront6targetE0EEEvSV_: ; @_ZN7rocprim17ROCPRIM_400000_NS6detail17trampoline_kernelINS0_13select_configILj256ELj13ELNS0_17block_load_methodE3ELS4_3ELS4_3ELNS0_20block_scan_algorithmE0ELj4294967295EEENS1_25partition_config_selectorILNS1_17partition_subalgoE3EjNS0_10empty_typeEbEEZZNS1_14partition_implILS8_3ELb0ES6_jNS0_17counting_iteratorIjlEEPS9_SE_NS0_5tupleIJPjSE_EEENSF_IJSE_SE_EEES9_SG_JZNS1_25segmented_radix_sort_implINS0_14default_configELb1EPKlPlSM_SN_N2at6native12_GLOBAL__N_18offset_tEEE10hipError_tPvRmT1_PNSt15iterator_traitsISV_E10value_typeET2_T3_PNSW_IS11_E10value_typeET4_jRbjT5_S17_jjP12ihipStream_tbEUljE_EEESS_ST_SU_S11_S15_S17_T6_T7_T9_mT8_S19_bDpT10_ENKUlT_T0_E_clISt17integral_constantIbLb1EES1L_IbLb0EEEEDaS1H_S1I_EUlS1H_E_NS1_11comp_targetILNS1_3genE5ELNS1_11target_archE942ELNS1_3gpuE9ELNS1_3repE0EEENS1_30default_config_static_selectorELNS0_4arch9wavefront6targetE0EEEvSV_
; %bb.0:
	.section	.rodata,"a",@progbits
	.p2align	6, 0x0
	.amdhsa_kernel _ZN7rocprim17ROCPRIM_400000_NS6detail17trampoline_kernelINS0_13select_configILj256ELj13ELNS0_17block_load_methodE3ELS4_3ELS4_3ELNS0_20block_scan_algorithmE0ELj4294967295EEENS1_25partition_config_selectorILNS1_17partition_subalgoE3EjNS0_10empty_typeEbEEZZNS1_14partition_implILS8_3ELb0ES6_jNS0_17counting_iteratorIjlEEPS9_SE_NS0_5tupleIJPjSE_EEENSF_IJSE_SE_EEES9_SG_JZNS1_25segmented_radix_sort_implINS0_14default_configELb1EPKlPlSM_SN_N2at6native12_GLOBAL__N_18offset_tEEE10hipError_tPvRmT1_PNSt15iterator_traitsISV_E10value_typeET2_T3_PNSW_IS11_E10value_typeET4_jRbjT5_S17_jjP12ihipStream_tbEUljE_EEESS_ST_SU_S11_S15_S17_T6_T7_T9_mT8_S19_bDpT10_ENKUlT_T0_E_clISt17integral_constantIbLb1EES1L_IbLb0EEEEDaS1H_S1I_EUlS1H_E_NS1_11comp_targetILNS1_3genE5ELNS1_11target_archE942ELNS1_3gpuE9ELNS1_3repE0EEENS1_30default_config_static_selectorELNS0_4arch9wavefront6targetE0EEEvSV_
		.amdhsa_group_segment_fixed_size 0
		.amdhsa_private_segment_fixed_size 0
		.amdhsa_kernarg_size 144
		.amdhsa_user_sgpr_count 2
		.amdhsa_user_sgpr_dispatch_ptr 0
		.amdhsa_user_sgpr_queue_ptr 0
		.amdhsa_user_sgpr_kernarg_segment_ptr 1
		.amdhsa_user_sgpr_dispatch_id 0
		.amdhsa_user_sgpr_kernarg_preload_length 0
		.amdhsa_user_sgpr_kernarg_preload_offset 0
		.amdhsa_user_sgpr_private_segment_size 0
		.amdhsa_wavefront_size32 1
		.amdhsa_uses_dynamic_stack 0
		.amdhsa_enable_private_segment 0
		.amdhsa_system_sgpr_workgroup_id_x 1
		.amdhsa_system_sgpr_workgroup_id_y 0
		.amdhsa_system_sgpr_workgroup_id_z 0
		.amdhsa_system_sgpr_workgroup_info 0
		.amdhsa_system_vgpr_workitem_id 0
		.amdhsa_next_free_vgpr 1
		.amdhsa_next_free_sgpr 1
		.amdhsa_named_barrier_count 0
		.amdhsa_reserve_vcc 0
		.amdhsa_float_round_mode_32 0
		.amdhsa_float_round_mode_16_64 0
		.amdhsa_float_denorm_mode_32 3
		.amdhsa_float_denorm_mode_16_64 3
		.amdhsa_fp16_overflow 0
		.amdhsa_memory_ordered 1
		.amdhsa_forward_progress 1
		.amdhsa_inst_pref_size 0
		.amdhsa_round_robin_scheduling 0
		.amdhsa_exception_fp_ieee_invalid_op 0
		.amdhsa_exception_fp_denorm_src 0
		.amdhsa_exception_fp_ieee_div_zero 0
		.amdhsa_exception_fp_ieee_overflow 0
		.amdhsa_exception_fp_ieee_underflow 0
		.amdhsa_exception_fp_ieee_inexact 0
		.amdhsa_exception_int_div_zero 0
	.end_amdhsa_kernel
	.section	.text._ZN7rocprim17ROCPRIM_400000_NS6detail17trampoline_kernelINS0_13select_configILj256ELj13ELNS0_17block_load_methodE3ELS4_3ELS4_3ELNS0_20block_scan_algorithmE0ELj4294967295EEENS1_25partition_config_selectorILNS1_17partition_subalgoE3EjNS0_10empty_typeEbEEZZNS1_14partition_implILS8_3ELb0ES6_jNS0_17counting_iteratorIjlEEPS9_SE_NS0_5tupleIJPjSE_EEENSF_IJSE_SE_EEES9_SG_JZNS1_25segmented_radix_sort_implINS0_14default_configELb1EPKlPlSM_SN_N2at6native12_GLOBAL__N_18offset_tEEE10hipError_tPvRmT1_PNSt15iterator_traitsISV_E10value_typeET2_T3_PNSW_IS11_E10value_typeET4_jRbjT5_S17_jjP12ihipStream_tbEUljE_EEESS_ST_SU_S11_S15_S17_T6_T7_T9_mT8_S19_bDpT10_ENKUlT_T0_E_clISt17integral_constantIbLb1EES1L_IbLb0EEEEDaS1H_S1I_EUlS1H_E_NS1_11comp_targetILNS1_3genE5ELNS1_11target_archE942ELNS1_3gpuE9ELNS1_3repE0EEENS1_30default_config_static_selectorELNS0_4arch9wavefront6targetE0EEEvSV_,"axG",@progbits,_ZN7rocprim17ROCPRIM_400000_NS6detail17trampoline_kernelINS0_13select_configILj256ELj13ELNS0_17block_load_methodE3ELS4_3ELS4_3ELNS0_20block_scan_algorithmE0ELj4294967295EEENS1_25partition_config_selectorILNS1_17partition_subalgoE3EjNS0_10empty_typeEbEEZZNS1_14partition_implILS8_3ELb0ES6_jNS0_17counting_iteratorIjlEEPS9_SE_NS0_5tupleIJPjSE_EEENSF_IJSE_SE_EEES9_SG_JZNS1_25segmented_radix_sort_implINS0_14default_configELb1EPKlPlSM_SN_N2at6native12_GLOBAL__N_18offset_tEEE10hipError_tPvRmT1_PNSt15iterator_traitsISV_E10value_typeET2_T3_PNSW_IS11_E10value_typeET4_jRbjT5_S17_jjP12ihipStream_tbEUljE_EEESS_ST_SU_S11_S15_S17_T6_T7_T9_mT8_S19_bDpT10_ENKUlT_T0_E_clISt17integral_constantIbLb1EES1L_IbLb0EEEEDaS1H_S1I_EUlS1H_E_NS1_11comp_targetILNS1_3genE5ELNS1_11target_archE942ELNS1_3gpuE9ELNS1_3repE0EEENS1_30default_config_static_selectorELNS0_4arch9wavefront6targetE0EEEvSV_,comdat
.Lfunc_end685:
	.size	_ZN7rocprim17ROCPRIM_400000_NS6detail17trampoline_kernelINS0_13select_configILj256ELj13ELNS0_17block_load_methodE3ELS4_3ELS4_3ELNS0_20block_scan_algorithmE0ELj4294967295EEENS1_25partition_config_selectorILNS1_17partition_subalgoE3EjNS0_10empty_typeEbEEZZNS1_14partition_implILS8_3ELb0ES6_jNS0_17counting_iteratorIjlEEPS9_SE_NS0_5tupleIJPjSE_EEENSF_IJSE_SE_EEES9_SG_JZNS1_25segmented_radix_sort_implINS0_14default_configELb1EPKlPlSM_SN_N2at6native12_GLOBAL__N_18offset_tEEE10hipError_tPvRmT1_PNSt15iterator_traitsISV_E10value_typeET2_T3_PNSW_IS11_E10value_typeET4_jRbjT5_S17_jjP12ihipStream_tbEUljE_EEESS_ST_SU_S11_S15_S17_T6_T7_T9_mT8_S19_bDpT10_ENKUlT_T0_E_clISt17integral_constantIbLb1EES1L_IbLb0EEEEDaS1H_S1I_EUlS1H_E_NS1_11comp_targetILNS1_3genE5ELNS1_11target_archE942ELNS1_3gpuE9ELNS1_3repE0EEENS1_30default_config_static_selectorELNS0_4arch9wavefront6targetE0EEEvSV_, .Lfunc_end685-_ZN7rocprim17ROCPRIM_400000_NS6detail17trampoline_kernelINS0_13select_configILj256ELj13ELNS0_17block_load_methodE3ELS4_3ELS4_3ELNS0_20block_scan_algorithmE0ELj4294967295EEENS1_25partition_config_selectorILNS1_17partition_subalgoE3EjNS0_10empty_typeEbEEZZNS1_14partition_implILS8_3ELb0ES6_jNS0_17counting_iteratorIjlEEPS9_SE_NS0_5tupleIJPjSE_EEENSF_IJSE_SE_EEES9_SG_JZNS1_25segmented_radix_sort_implINS0_14default_configELb1EPKlPlSM_SN_N2at6native12_GLOBAL__N_18offset_tEEE10hipError_tPvRmT1_PNSt15iterator_traitsISV_E10value_typeET2_T3_PNSW_IS11_E10value_typeET4_jRbjT5_S17_jjP12ihipStream_tbEUljE_EEESS_ST_SU_S11_S15_S17_T6_T7_T9_mT8_S19_bDpT10_ENKUlT_T0_E_clISt17integral_constantIbLb1EES1L_IbLb0EEEEDaS1H_S1I_EUlS1H_E_NS1_11comp_targetILNS1_3genE5ELNS1_11target_archE942ELNS1_3gpuE9ELNS1_3repE0EEENS1_30default_config_static_selectorELNS0_4arch9wavefront6targetE0EEEvSV_
                                        ; -- End function
	.set _ZN7rocprim17ROCPRIM_400000_NS6detail17trampoline_kernelINS0_13select_configILj256ELj13ELNS0_17block_load_methodE3ELS4_3ELS4_3ELNS0_20block_scan_algorithmE0ELj4294967295EEENS1_25partition_config_selectorILNS1_17partition_subalgoE3EjNS0_10empty_typeEbEEZZNS1_14partition_implILS8_3ELb0ES6_jNS0_17counting_iteratorIjlEEPS9_SE_NS0_5tupleIJPjSE_EEENSF_IJSE_SE_EEES9_SG_JZNS1_25segmented_radix_sort_implINS0_14default_configELb1EPKlPlSM_SN_N2at6native12_GLOBAL__N_18offset_tEEE10hipError_tPvRmT1_PNSt15iterator_traitsISV_E10value_typeET2_T3_PNSW_IS11_E10value_typeET4_jRbjT5_S17_jjP12ihipStream_tbEUljE_EEESS_ST_SU_S11_S15_S17_T6_T7_T9_mT8_S19_bDpT10_ENKUlT_T0_E_clISt17integral_constantIbLb1EES1L_IbLb0EEEEDaS1H_S1I_EUlS1H_E_NS1_11comp_targetILNS1_3genE5ELNS1_11target_archE942ELNS1_3gpuE9ELNS1_3repE0EEENS1_30default_config_static_selectorELNS0_4arch9wavefront6targetE0EEEvSV_.num_vgpr, 0
	.set _ZN7rocprim17ROCPRIM_400000_NS6detail17trampoline_kernelINS0_13select_configILj256ELj13ELNS0_17block_load_methodE3ELS4_3ELS4_3ELNS0_20block_scan_algorithmE0ELj4294967295EEENS1_25partition_config_selectorILNS1_17partition_subalgoE3EjNS0_10empty_typeEbEEZZNS1_14partition_implILS8_3ELb0ES6_jNS0_17counting_iteratorIjlEEPS9_SE_NS0_5tupleIJPjSE_EEENSF_IJSE_SE_EEES9_SG_JZNS1_25segmented_radix_sort_implINS0_14default_configELb1EPKlPlSM_SN_N2at6native12_GLOBAL__N_18offset_tEEE10hipError_tPvRmT1_PNSt15iterator_traitsISV_E10value_typeET2_T3_PNSW_IS11_E10value_typeET4_jRbjT5_S17_jjP12ihipStream_tbEUljE_EEESS_ST_SU_S11_S15_S17_T6_T7_T9_mT8_S19_bDpT10_ENKUlT_T0_E_clISt17integral_constantIbLb1EES1L_IbLb0EEEEDaS1H_S1I_EUlS1H_E_NS1_11comp_targetILNS1_3genE5ELNS1_11target_archE942ELNS1_3gpuE9ELNS1_3repE0EEENS1_30default_config_static_selectorELNS0_4arch9wavefront6targetE0EEEvSV_.num_agpr, 0
	.set _ZN7rocprim17ROCPRIM_400000_NS6detail17trampoline_kernelINS0_13select_configILj256ELj13ELNS0_17block_load_methodE3ELS4_3ELS4_3ELNS0_20block_scan_algorithmE0ELj4294967295EEENS1_25partition_config_selectorILNS1_17partition_subalgoE3EjNS0_10empty_typeEbEEZZNS1_14partition_implILS8_3ELb0ES6_jNS0_17counting_iteratorIjlEEPS9_SE_NS0_5tupleIJPjSE_EEENSF_IJSE_SE_EEES9_SG_JZNS1_25segmented_radix_sort_implINS0_14default_configELb1EPKlPlSM_SN_N2at6native12_GLOBAL__N_18offset_tEEE10hipError_tPvRmT1_PNSt15iterator_traitsISV_E10value_typeET2_T3_PNSW_IS11_E10value_typeET4_jRbjT5_S17_jjP12ihipStream_tbEUljE_EEESS_ST_SU_S11_S15_S17_T6_T7_T9_mT8_S19_bDpT10_ENKUlT_T0_E_clISt17integral_constantIbLb1EES1L_IbLb0EEEEDaS1H_S1I_EUlS1H_E_NS1_11comp_targetILNS1_3genE5ELNS1_11target_archE942ELNS1_3gpuE9ELNS1_3repE0EEENS1_30default_config_static_selectorELNS0_4arch9wavefront6targetE0EEEvSV_.numbered_sgpr, 0
	.set _ZN7rocprim17ROCPRIM_400000_NS6detail17trampoline_kernelINS0_13select_configILj256ELj13ELNS0_17block_load_methodE3ELS4_3ELS4_3ELNS0_20block_scan_algorithmE0ELj4294967295EEENS1_25partition_config_selectorILNS1_17partition_subalgoE3EjNS0_10empty_typeEbEEZZNS1_14partition_implILS8_3ELb0ES6_jNS0_17counting_iteratorIjlEEPS9_SE_NS0_5tupleIJPjSE_EEENSF_IJSE_SE_EEES9_SG_JZNS1_25segmented_radix_sort_implINS0_14default_configELb1EPKlPlSM_SN_N2at6native12_GLOBAL__N_18offset_tEEE10hipError_tPvRmT1_PNSt15iterator_traitsISV_E10value_typeET2_T3_PNSW_IS11_E10value_typeET4_jRbjT5_S17_jjP12ihipStream_tbEUljE_EEESS_ST_SU_S11_S15_S17_T6_T7_T9_mT8_S19_bDpT10_ENKUlT_T0_E_clISt17integral_constantIbLb1EES1L_IbLb0EEEEDaS1H_S1I_EUlS1H_E_NS1_11comp_targetILNS1_3genE5ELNS1_11target_archE942ELNS1_3gpuE9ELNS1_3repE0EEENS1_30default_config_static_selectorELNS0_4arch9wavefront6targetE0EEEvSV_.num_named_barrier, 0
	.set _ZN7rocprim17ROCPRIM_400000_NS6detail17trampoline_kernelINS0_13select_configILj256ELj13ELNS0_17block_load_methodE3ELS4_3ELS4_3ELNS0_20block_scan_algorithmE0ELj4294967295EEENS1_25partition_config_selectorILNS1_17partition_subalgoE3EjNS0_10empty_typeEbEEZZNS1_14partition_implILS8_3ELb0ES6_jNS0_17counting_iteratorIjlEEPS9_SE_NS0_5tupleIJPjSE_EEENSF_IJSE_SE_EEES9_SG_JZNS1_25segmented_radix_sort_implINS0_14default_configELb1EPKlPlSM_SN_N2at6native12_GLOBAL__N_18offset_tEEE10hipError_tPvRmT1_PNSt15iterator_traitsISV_E10value_typeET2_T3_PNSW_IS11_E10value_typeET4_jRbjT5_S17_jjP12ihipStream_tbEUljE_EEESS_ST_SU_S11_S15_S17_T6_T7_T9_mT8_S19_bDpT10_ENKUlT_T0_E_clISt17integral_constantIbLb1EES1L_IbLb0EEEEDaS1H_S1I_EUlS1H_E_NS1_11comp_targetILNS1_3genE5ELNS1_11target_archE942ELNS1_3gpuE9ELNS1_3repE0EEENS1_30default_config_static_selectorELNS0_4arch9wavefront6targetE0EEEvSV_.private_seg_size, 0
	.set _ZN7rocprim17ROCPRIM_400000_NS6detail17trampoline_kernelINS0_13select_configILj256ELj13ELNS0_17block_load_methodE3ELS4_3ELS4_3ELNS0_20block_scan_algorithmE0ELj4294967295EEENS1_25partition_config_selectorILNS1_17partition_subalgoE3EjNS0_10empty_typeEbEEZZNS1_14partition_implILS8_3ELb0ES6_jNS0_17counting_iteratorIjlEEPS9_SE_NS0_5tupleIJPjSE_EEENSF_IJSE_SE_EEES9_SG_JZNS1_25segmented_radix_sort_implINS0_14default_configELb1EPKlPlSM_SN_N2at6native12_GLOBAL__N_18offset_tEEE10hipError_tPvRmT1_PNSt15iterator_traitsISV_E10value_typeET2_T3_PNSW_IS11_E10value_typeET4_jRbjT5_S17_jjP12ihipStream_tbEUljE_EEESS_ST_SU_S11_S15_S17_T6_T7_T9_mT8_S19_bDpT10_ENKUlT_T0_E_clISt17integral_constantIbLb1EES1L_IbLb0EEEEDaS1H_S1I_EUlS1H_E_NS1_11comp_targetILNS1_3genE5ELNS1_11target_archE942ELNS1_3gpuE9ELNS1_3repE0EEENS1_30default_config_static_selectorELNS0_4arch9wavefront6targetE0EEEvSV_.uses_vcc, 0
	.set _ZN7rocprim17ROCPRIM_400000_NS6detail17trampoline_kernelINS0_13select_configILj256ELj13ELNS0_17block_load_methodE3ELS4_3ELS4_3ELNS0_20block_scan_algorithmE0ELj4294967295EEENS1_25partition_config_selectorILNS1_17partition_subalgoE3EjNS0_10empty_typeEbEEZZNS1_14partition_implILS8_3ELb0ES6_jNS0_17counting_iteratorIjlEEPS9_SE_NS0_5tupleIJPjSE_EEENSF_IJSE_SE_EEES9_SG_JZNS1_25segmented_radix_sort_implINS0_14default_configELb1EPKlPlSM_SN_N2at6native12_GLOBAL__N_18offset_tEEE10hipError_tPvRmT1_PNSt15iterator_traitsISV_E10value_typeET2_T3_PNSW_IS11_E10value_typeET4_jRbjT5_S17_jjP12ihipStream_tbEUljE_EEESS_ST_SU_S11_S15_S17_T6_T7_T9_mT8_S19_bDpT10_ENKUlT_T0_E_clISt17integral_constantIbLb1EES1L_IbLb0EEEEDaS1H_S1I_EUlS1H_E_NS1_11comp_targetILNS1_3genE5ELNS1_11target_archE942ELNS1_3gpuE9ELNS1_3repE0EEENS1_30default_config_static_selectorELNS0_4arch9wavefront6targetE0EEEvSV_.uses_flat_scratch, 0
	.set _ZN7rocprim17ROCPRIM_400000_NS6detail17trampoline_kernelINS0_13select_configILj256ELj13ELNS0_17block_load_methodE3ELS4_3ELS4_3ELNS0_20block_scan_algorithmE0ELj4294967295EEENS1_25partition_config_selectorILNS1_17partition_subalgoE3EjNS0_10empty_typeEbEEZZNS1_14partition_implILS8_3ELb0ES6_jNS0_17counting_iteratorIjlEEPS9_SE_NS0_5tupleIJPjSE_EEENSF_IJSE_SE_EEES9_SG_JZNS1_25segmented_radix_sort_implINS0_14default_configELb1EPKlPlSM_SN_N2at6native12_GLOBAL__N_18offset_tEEE10hipError_tPvRmT1_PNSt15iterator_traitsISV_E10value_typeET2_T3_PNSW_IS11_E10value_typeET4_jRbjT5_S17_jjP12ihipStream_tbEUljE_EEESS_ST_SU_S11_S15_S17_T6_T7_T9_mT8_S19_bDpT10_ENKUlT_T0_E_clISt17integral_constantIbLb1EES1L_IbLb0EEEEDaS1H_S1I_EUlS1H_E_NS1_11comp_targetILNS1_3genE5ELNS1_11target_archE942ELNS1_3gpuE9ELNS1_3repE0EEENS1_30default_config_static_selectorELNS0_4arch9wavefront6targetE0EEEvSV_.has_dyn_sized_stack, 0
	.set _ZN7rocprim17ROCPRIM_400000_NS6detail17trampoline_kernelINS0_13select_configILj256ELj13ELNS0_17block_load_methodE3ELS4_3ELS4_3ELNS0_20block_scan_algorithmE0ELj4294967295EEENS1_25partition_config_selectorILNS1_17partition_subalgoE3EjNS0_10empty_typeEbEEZZNS1_14partition_implILS8_3ELb0ES6_jNS0_17counting_iteratorIjlEEPS9_SE_NS0_5tupleIJPjSE_EEENSF_IJSE_SE_EEES9_SG_JZNS1_25segmented_radix_sort_implINS0_14default_configELb1EPKlPlSM_SN_N2at6native12_GLOBAL__N_18offset_tEEE10hipError_tPvRmT1_PNSt15iterator_traitsISV_E10value_typeET2_T3_PNSW_IS11_E10value_typeET4_jRbjT5_S17_jjP12ihipStream_tbEUljE_EEESS_ST_SU_S11_S15_S17_T6_T7_T9_mT8_S19_bDpT10_ENKUlT_T0_E_clISt17integral_constantIbLb1EES1L_IbLb0EEEEDaS1H_S1I_EUlS1H_E_NS1_11comp_targetILNS1_3genE5ELNS1_11target_archE942ELNS1_3gpuE9ELNS1_3repE0EEENS1_30default_config_static_selectorELNS0_4arch9wavefront6targetE0EEEvSV_.has_recursion, 0
	.set _ZN7rocprim17ROCPRIM_400000_NS6detail17trampoline_kernelINS0_13select_configILj256ELj13ELNS0_17block_load_methodE3ELS4_3ELS4_3ELNS0_20block_scan_algorithmE0ELj4294967295EEENS1_25partition_config_selectorILNS1_17partition_subalgoE3EjNS0_10empty_typeEbEEZZNS1_14partition_implILS8_3ELb0ES6_jNS0_17counting_iteratorIjlEEPS9_SE_NS0_5tupleIJPjSE_EEENSF_IJSE_SE_EEES9_SG_JZNS1_25segmented_radix_sort_implINS0_14default_configELb1EPKlPlSM_SN_N2at6native12_GLOBAL__N_18offset_tEEE10hipError_tPvRmT1_PNSt15iterator_traitsISV_E10value_typeET2_T3_PNSW_IS11_E10value_typeET4_jRbjT5_S17_jjP12ihipStream_tbEUljE_EEESS_ST_SU_S11_S15_S17_T6_T7_T9_mT8_S19_bDpT10_ENKUlT_T0_E_clISt17integral_constantIbLb1EES1L_IbLb0EEEEDaS1H_S1I_EUlS1H_E_NS1_11comp_targetILNS1_3genE5ELNS1_11target_archE942ELNS1_3gpuE9ELNS1_3repE0EEENS1_30default_config_static_selectorELNS0_4arch9wavefront6targetE0EEEvSV_.has_indirect_call, 0
	.section	.AMDGPU.csdata,"",@progbits
; Kernel info:
; codeLenInByte = 0
; TotalNumSgprs: 0
; NumVgprs: 0
; ScratchSize: 0
; MemoryBound: 0
; FloatMode: 240
; IeeeMode: 1
; LDSByteSize: 0 bytes/workgroup (compile time only)
; SGPRBlocks: 0
; VGPRBlocks: 0
; NumSGPRsForWavesPerEU: 1
; NumVGPRsForWavesPerEU: 1
; NamedBarCnt: 0
; Occupancy: 16
; WaveLimiterHint : 0
; COMPUTE_PGM_RSRC2:SCRATCH_EN: 0
; COMPUTE_PGM_RSRC2:USER_SGPR: 2
; COMPUTE_PGM_RSRC2:TRAP_HANDLER: 0
; COMPUTE_PGM_RSRC2:TGID_X_EN: 1
; COMPUTE_PGM_RSRC2:TGID_Y_EN: 0
; COMPUTE_PGM_RSRC2:TGID_Z_EN: 0
; COMPUTE_PGM_RSRC2:TIDIG_COMP_CNT: 0
	.section	.text._ZN7rocprim17ROCPRIM_400000_NS6detail17trampoline_kernelINS0_13select_configILj256ELj13ELNS0_17block_load_methodE3ELS4_3ELS4_3ELNS0_20block_scan_algorithmE0ELj4294967295EEENS1_25partition_config_selectorILNS1_17partition_subalgoE3EjNS0_10empty_typeEbEEZZNS1_14partition_implILS8_3ELb0ES6_jNS0_17counting_iteratorIjlEEPS9_SE_NS0_5tupleIJPjSE_EEENSF_IJSE_SE_EEES9_SG_JZNS1_25segmented_radix_sort_implINS0_14default_configELb1EPKlPlSM_SN_N2at6native12_GLOBAL__N_18offset_tEEE10hipError_tPvRmT1_PNSt15iterator_traitsISV_E10value_typeET2_T3_PNSW_IS11_E10value_typeET4_jRbjT5_S17_jjP12ihipStream_tbEUljE_EEESS_ST_SU_S11_S15_S17_T6_T7_T9_mT8_S19_bDpT10_ENKUlT_T0_E_clISt17integral_constantIbLb1EES1L_IbLb0EEEEDaS1H_S1I_EUlS1H_E_NS1_11comp_targetILNS1_3genE4ELNS1_11target_archE910ELNS1_3gpuE8ELNS1_3repE0EEENS1_30default_config_static_selectorELNS0_4arch9wavefront6targetE0EEEvSV_,"axG",@progbits,_ZN7rocprim17ROCPRIM_400000_NS6detail17trampoline_kernelINS0_13select_configILj256ELj13ELNS0_17block_load_methodE3ELS4_3ELS4_3ELNS0_20block_scan_algorithmE0ELj4294967295EEENS1_25partition_config_selectorILNS1_17partition_subalgoE3EjNS0_10empty_typeEbEEZZNS1_14partition_implILS8_3ELb0ES6_jNS0_17counting_iteratorIjlEEPS9_SE_NS0_5tupleIJPjSE_EEENSF_IJSE_SE_EEES9_SG_JZNS1_25segmented_radix_sort_implINS0_14default_configELb1EPKlPlSM_SN_N2at6native12_GLOBAL__N_18offset_tEEE10hipError_tPvRmT1_PNSt15iterator_traitsISV_E10value_typeET2_T3_PNSW_IS11_E10value_typeET4_jRbjT5_S17_jjP12ihipStream_tbEUljE_EEESS_ST_SU_S11_S15_S17_T6_T7_T9_mT8_S19_bDpT10_ENKUlT_T0_E_clISt17integral_constantIbLb1EES1L_IbLb0EEEEDaS1H_S1I_EUlS1H_E_NS1_11comp_targetILNS1_3genE4ELNS1_11target_archE910ELNS1_3gpuE8ELNS1_3repE0EEENS1_30default_config_static_selectorELNS0_4arch9wavefront6targetE0EEEvSV_,comdat
	.globl	_ZN7rocprim17ROCPRIM_400000_NS6detail17trampoline_kernelINS0_13select_configILj256ELj13ELNS0_17block_load_methodE3ELS4_3ELS4_3ELNS0_20block_scan_algorithmE0ELj4294967295EEENS1_25partition_config_selectorILNS1_17partition_subalgoE3EjNS0_10empty_typeEbEEZZNS1_14partition_implILS8_3ELb0ES6_jNS0_17counting_iteratorIjlEEPS9_SE_NS0_5tupleIJPjSE_EEENSF_IJSE_SE_EEES9_SG_JZNS1_25segmented_radix_sort_implINS0_14default_configELb1EPKlPlSM_SN_N2at6native12_GLOBAL__N_18offset_tEEE10hipError_tPvRmT1_PNSt15iterator_traitsISV_E10value_typeET2_T3_PNSW_IS11_E10value_typeET4_jRbjT5_S17_jjP12ihipStream_tbEUljE_EEESS_ST_SU_S11_S15_S17_T6_T7_T9_mT8_S19_bDpT10_ENKUlT_T0_E_clISt17integral_constantIbLb1EES1L_IbLb0EEEEDaS1H_S1I_EUlS1H_E_NS1_11comp_targetILNS1_3genE4ELNS1_11target_archE910ELNS1_3gpuE8ELNS1_3repE0EEENS1_30default_config_static_selectorELNS0_4arch9wavefront6targetE0EEEvSV_ ; -- Begin function _ZN7rocprim17ROCPRIM_400000_NS6detail17trampoline_kernelINS0_13select_configILj256ELj13ELNS0_17block_load_methodE3ELS4_3ELS4_3ELNS0_20block_scan_algorithmE0ELj4294967295EEENS1_25partition_config_selectorILNS1_17partition_subalgoE3EjNS0_10empty_typeEbEEZZNS1_14partition_implILS8_3ELb0ES6_jNS0_17counting_iteratorIjlEEPS9_SE_NS0_5tupleIJPjSE_EEENSF_IJSE_SE_EEES9_SG_JZNS1_25segmented_radix_sort_implINS0_14default_configELb1EPKlPlSM_SN_N2at6native12_GLOBAL__N_18offset_tEEE10hipError_tPvRmT1_PNSt15iterator_traitsISV_E10value_typeET2_T3_PNSW_IS11_E10value_typeET4_jRbjT5_S17_jjP12ihipStream_tbEUljE_EEESS_ST_SU_S11_S15_S17_T6_T7_T9_mT8_S19_bDpT10_ENKUlT_T0_E_clISt17integral_constantIbLb1EES1L_IbLb0EEEEDaS1H_S1I_EUlS1H_E_NS1_11comp_targetILNS1_3genE4ELNS1_11target_archE910ELNS1_3gpuE8ELNS1_3repE0EEENS1_30default_config_static_selectorELNS0_4arch9wavefront6targetE0EEEvSV_
	.p2align	8
	.type	_ZN7rocprim17ROCPRIM_400000_NS6detail17trampoline_kernelINS0_13select_configILj256ELj13ELNS0_17block_load_methodE3ELS4_3ELS4_3ELNS0_20block_scan_algorithmE0ELj4294967295EEENS1_25partition_config_selectorILNS1_17partition_subalgoE3EjNS0_10empty_typeEbEEZZNS1_14partition_implILS8_3ELb0ES6_jNS0_17counting_iteratorIjlEEPS9_SE_NS0_5tupleIJPjSE_EEENSF_IJSE_SE_EEES9_SG_JZNS1_25segmented_radix_sort_implINS0_14default_configELb1EPKlPlSM_SN_N2at6native12_GLOBAL__N_18offset_tEEE10hipError_tPvRmT1_PNSt15iterator_traitsISV_E10value_typeET2_T3_PNSW_IS11_E10value_typeET4_jRbjT5_S17_jjP12ihipStream_tbEUljE_EEESS_ST_SU_S11_S15_S17_T6_T7_T9_mT8_S19_bDpT10_ENKUlT_T0_E_clISt17integral_constantIbLb1EES1L_IbLb0EEEEDaS1H_S1I_EUlS1H_E_NS1_11comp_targetILNS1_3genE4ELNS1_11target_archE910ELNS1_3gpuE8ELNS1_3repE0EEENS1_30default_config_static_selectorELNS0_4arch9wavefront6targetE0EEEvSV_,@function
_ZN7rocprim17ROCPRIM_400000_NS6detail17trampoline_kernelINS0_13select_configILj256ELj13ELNS0_17block_load_methodE3ELS4_3ELS4_3ELNS0_20block_scan_algorithmE0ELj4294967295EEENS1_25partition_config_selectorILNS1_17partition_subalgoE3EjNS0_10empty_typeEbEEZZNS1_14partition_implILS8_3ELb0ES6_jNS0_17counting_iteratorIjlEEPS9_SE_NS0_5tupleIJPjSE_EEENSF_IJSE_SE_EEES9_SG_JZNS1_25segmented_radix_sort_implINS0_14default_configELb1EPKlPlSM_SN_N2at6native12_GLOBAL__N_18offset_tEEE10hipError_tPvRmT1_PNSt15iterator_traitsISV_E10value_typeET2_T3_PNSW_IS11_E10value_typeET4_jRbjT5_S17_jjP12ihipStream_tbEUljE_EEESS_ST_SU_S11_S15_S17_T6_T7_T9_mT8_S19_bDpT10_ENKUlT_T0_E_clISt17integral_constantIbLb1EES1L_IbLb0EEEEDaS1H_S1I_EUlS1H_E_NS1_11comp_targetILNS1_3genE4ELNS1_11target_archE910ELNS1_3gpuE8ELNS1_3repE0EEENS1_30default_config_static_selectorELNS0_4arch9wavefront6targetE0EEEvSV_: ; @_ZN7rocprim17ROCPRIM_400000_NS6detail17trampoline_kernelINS0_13select_configILj256ELj13ELNS0_17block_load_methodE3ELS4_3ELS4_3ELNS0_20block_scan_algorithmE0ELj4294967295EEENS1_25partition_config_selectorILNS1_17partition_subalgoE3EjNS0_10empty_typeEbEEZZNS1_14partition_implILS8_3ELb0ES6_jNS0_17counting_iteratorIjlEEPS9_SE_NS0_5tupleIJPjSE_EEENSF_IJSE_SE_EEES9_SG_JZNS1_25segmented_radix_sort_implINS0_14default_configELb1EPKlPlSM_SN_N2at6native12_GLOBAL__N_18offset_tEEE10hipError_tPvRmT1_PNSt15iterator_traitsISV_E10value_typeET2_T3_PNSW_IS11_E10value_typeET4_jRbjT5_S17_jjP12ihipStream_tbEUljE_EEESS_ST_SU_S11_S15_S17_T6_T7_T9_mT8_S19_bDpT10_ENKUlT_T0_E_clISt17integral_constantIbLb1EES1L_IbLb0EEEEDaS1H_S1I_EUlS1H_E_NS1_11comp_targetILNS1_3genE4ELNS1_11target_archE910ELNS1_3gpuE8ELNS1_3repE0EEENS1_30default_config_static_selectorELNS0_4arch9wavefront6targetE0EEEvSV_
; %bb.0:
	.section	.rodata,"a",@progbits
	.p2align	6, 0x0
	.amdhsa_kernel _ZN7rocprim17ROCPRIM_400000_NS6detail17trampoline_kernelINS0_13select_configILj256ELj13ELNS0_17block_load_methodE3ELS4_3ELS4_3ELNS0_20block_scan_algorithmE0ELj4294967295EEENS1_25partition_config_selectorILNS1_17partition_subalgoE3EjNS0_10empty_typeEbEEZZNS1_14partition_implILS8_3ELb0ES6_jNS0_17counting_iteratorIjlEEPS9_SE_NS0_5tupleIJPjSE_EEENSF_IJSE_SE_EEES9_SG_JZNS1_25segmented_radix_sort_implINS0_14default_configELb1EPKlPlSM_SN_N2at6native12_GLOBAL__N_18offset_tEEE10hipError_tPvRmT1_PNSt15iterator_traitsISV_E10value_typeET2_T3_PNSW_IS11_E10value_typeET4_jRbjT5_S17_jjP12ihipStream_tbEUljE_EEESS_ST_SU_S11_S15_S17_T6_T7_T9_mT8_S19_bDpT10_ENKUlT_T0_E_clISt17integral_constantIbLb1EES1L_IbLb0EEEEDaS1H_S1I_EUlS1H_E_NS1_11comp_targetILNS1_3genE4ELNS1_11target_archE910ELNS1_3gpuE8ELNS1_3repE0EEENS1_30default_config_static_selectorELNS0_4arch9wavefront6targetE0EEEvSV_
		.amdhsa_group_segment_fixed_size 0
		.amdhsa_private_segment_fixed_size 0
		.amdhsa_kernarg_size 144
		.amdhsa_user_sgpr_count 2
		.amdhsa_user_sgpr_dispatch_ptr 0
		.amdhsa_user_sgpr_queue_ptr 0
		.amdhsa_user_sgpr_kernarg_segment_ptr 1
		.amdhsa_user_sgpr_dispatch_id 0
		.amdhsa_user_sgpr_kernarg_preload_length 0
		.amdhsa_user_sgpr_kernarg_preload_offset 0
		.amdhsa_user_sgpr_private_segment_size 0
		.amdhsa_wavefront_size32 1
		.amdhsa_uses_dynamic_stack 0
		.amdhsa_enable_private_segment 0
		.amdhsa_system_sgpr_workgroup_id_x 1
		.amdhsa_system_sgpr_workgroup_id_y 0
		.amdhsa_system_sgpr_workgroup_id_z 0
		.amdhsa_system_sgpr_workgroup_info 0
		.amdhsa_system_vgpr_workitem_id 0
		.amdhsa_next_free_vgpr 1
		.amdhsa_next_free_sgpr 1
		.amdhsa_named_barrier_count 0
		.amdhsa_reserve_vcc 0
		.amdhsa_float_round_mode_32 0
		.amdhsa_float_round_mode_16_64 0
		.amdhsa_float_denorm_mode_32 3
		.amdhsa_float_denorm_mode_16_64 3
		.amdhsa_fp16_overflow 0
		.amdhsa_memory_ordered 1
		.amdhsa_forward_progress 1
		.amdhsa_inst_pref_size 0
		.amdhsa_round_robin_scheduling 0
		.amdhsa_exception_fp_ieee_invalid_op 0
		.amdhsa_exception_fp_denorm_src 0
		.amdhsa_exception_fp_ieee_div_zero 0
		.amdhsa_exception_fp_ieee_overflow 0
		.amdhsa_exception_fp_ieee_underflow 0
		.amdhsa_exception_fp_ieee_inexact 0
		.amdhsa_exception_int_div_zero 0
	.end_amdhsa_kernel
	.section	.text._ZN7rocprim17ROCPRIM_400000_NS6detail17trampoline_kernelINS0_13select_configILj256ELj13ELNS0_17block_load_methodE3ELS4_3ELS4_3ELNS0_20block_scan_algorithmE0ELj4294967295EEENS1_25partition_config_selectorILNS1_17partition_subalgoE3EjNS0_10empty_typeEbEEZZNS1_14partition_implILS8_3ELb0ES6_jNS0_17counting_iteratorIjlEEPS9_SE_NS0_5tupleIJPjSE_EEENSF_IJSE_SE_EEES9_SG_JZNS1_25segmented_radix_sort_implINS0_14default_configELb1EPKlPlSM_SN_N2at6native12_GLOBAL__N_18offset_tEEE10hipError_tPvRmT1_PNSt15iterator_traitsISV_E10value_typeET2_T3_PNSW_IS11_E10value_typeET4_jRbjT5_S17_jjP12ihipStream_tbEUljE_EEESS_ST_SU_S11_S15_S17_T6_T7_T9_mT8_S19_bDpT10_ENKUlT_T0_E_clISt17integral_constantIbLb1EES1L_IbLb0EEEEDaS1H_S1I_EUlS1H_E_NS1_11comp_targetILNS1_3genE4ELNS1_11target_archE910ELNS1_3gpuE8ELNS1_3repE0EEENS1_30default_config_static_selectorELNS0_4arch9wavefront6targetE0EEEvSV_,"axG",@progbits,_ZN7rocprim17ROCPRIM_400000_NS6detail17trampoline_kernelINS0_13select_configILj256ELj13ELNS0_17block_load_methodE3ELS4_3ELS4_3ELNS0_20block_scan_algorithmE0ELj4294967295EEENS1_25partition_config_selectorILNS1_17partition_subalgoE3EjNS0_10empty_typeEbEEZZNS1_14partition_implILS8_3ELb0ES6_jNS0_17counting_iteratorIjlEEPS9_SE_NS0_5tupleIJPjSE_EEENSF_IJSE_SE_EEES9_SG_JZNS1_25segmented_radix_sort_implINS0_14default_configELb1EPKlPlSM_SN_N2at6native12_GLOBAL__N_18offset_tEEE10hipError_tPvRmT1_PNSt15iterator_traitsISV_E10value_typeET2_T3_PNSW_IS11_E10value_typeET4_jRbjT5_S17_jjP12ihipStream_tbEUljE_EEESS_ST_SU_S11_S15_S17_T6_T7_T9_mT8_S19_bDpT10_ENKUlT_T0_E_clISt17integral_constantIbLb1EES1L_IbLb0EEEEDaS1H_S1I_EUlS1H_E_NS1_11comp_targetILNS1_3genE4ELNS1_11target_archE910ELNS1_3gpuE8ELNS1_3repE0EEENS1_30default_config_static_selectorELNS0_4arch9wavefront6targetE0EEEvSV_,comdat
.Lfunc_end686:
	.size	_ZN7rocprim17ROCPRIM_400000_NS6detail17trampoline_kernelINS0_13select_configILj256ELj13ELNS0_17block_load_methodE3ELS4_3ELS4_3ELNS0_20block_scan_algorithmE0ELj4294967295EEENS1_25partition_config_selectorILNS1_17partition_subalgoE3EjNS0_10empty_typeEbEEZZNS1_14partition_implILS8_3ELb0ES6_jNS0_17counting_iteratorIjlEEPS9_SE_NS0_5tupleIJPjSE_EEENSF_IJSE_SE_EEES9_SG_JZNS1_25segmented_radix_sort_implINS0_14default_configELb1EPKlPlSM_SN_N2at6native12_GLOBAL__N_18offset_tEEE10hipError_tPvRmT1_PNSt15iterator_traitsISV_E10value_typeET2_T3_PNSW_IS11_E10value_typeET4_jRbjT5_S17_jjP12ihipStream_tbEUljE_EEESS_ST_SU_S11_S15_S17_T6_T7_T9_mT8_S19_bDpT10_ENKUlT_T0_E_clISt17integral_constantIbLb1EES1L_IbLb0EEEEDaS1H_S1I_EUlS1H_E_NS1_11comp_targetILNS1_3genE4ELNS1_11target_archE910ELNS1_3gpuE8ELNS1_3repE0EEENS1_30default_config_static_selectorELNS0_4arch9wavefront6targetE0EEEvSV_, .Lfunc_end686-_ZN7rocprim17ROCPRIM_400000_NS6detail17trampoline_kernelINS0_13select_configILj256ELj13ELNS0_17block_load_methodE3ELS4_3ELS4_3ELNS0_20block_scan_algorithmE0ELj4294967295EEENS1_25partition_config_selectorILNS1_17partition_subalgoE3EjNS0_10empty_typeEbEEZZNS1_14partition_implILS8_3ELb0ES6_jNS0_17counting_iteratorIjlEEPS9_SE_NS0_5tupleIJPjSE_EEENSF_IJSE_SE_EEES9_SG_JZNS1_25segmented_radix_sort_implINS0_14default_configELb1EPKlPlSM_SN_N2at6native12_GLOBAL__N_18offset_tEEE10hipError_tPvRmT1_PNSt15iterator_traitsISV_E10value_typeET2_T3_PNSW_IS11_E10value_typeET4_jRbjT5_S17_jjP12ihipStream_tbEUljE_EEESS_ST_SU_S11_S15_S17_T6_T7_T9_mT8_S19_bDpT10_ENKUlT_T0_E_clISt17integral_constantIbLb1EES1L_IbLb0EEEEDaS1H_S1I_EUlS1H_E_NS1_11comp_targetILNS1_3genE4ELNS1_11target_archE910ELNS1_3gpuE8ELNS1_3repE0EEENS1_30default_config_static_selectorELNS0_4arch9wavefront6targetE0EEEvSV_
                                        ; -- End function
	.set _ZN7rocprim17ROCPRIM_400000_NS6detail17trampoline_kernelINS0_13select_configILj256ELj13ELNS0_17block_load_methodE3ELS4_3ELS4_3ELNS0_20block_scan_algorithmE0ELj4294967295EEENS1_25partition_config_selectorILNS1_17partition_subalgoE3EjNS0_10empty_typeEbEEZZNS1_14partition_implILS8_3ELb0ES6_jNS0_17counting_iteratorIjlEEPS9_SE_NS0_5tupleIJPjSE_EEENSF_IJSE_SE_EEES9_SG_JZNS1_25segmented_radix_sort_implINS0_14default_configELb1EPKlPlSM_SN_N2at6native12_GLOBAL__N_18offset_tEEE10hipError_tPvRmT1_PNSt15iterator_traitsISV_E10value_typeET2_T3_PNSW_IS11_E10value_typeET4_jRbjT5_S17_jjP12ihipStream_tbEUljE_EEESS_ST_SU_S11_S15_S17_T6_T7_T9_mT8_S19_bDpT10_ENKUlT_T0_E_clISt17integral_constantIbLb1EES1L_IbLb0EEEEDaS1H_S1I_EUlS1H_E_NS1_11comp_targetILNS1_3genE4ELNS1_11target_archE910ELNS1_3gpuE8ELNS1_3repE0EEENS1_30default_config_static_selectorELNS0_4arch9wavefront6targetE0EEEvSV_.num_vgpr, 0
	.set _ZN7rocprim17ROCPRIM_400000_NS6detail17trampoline_kernelINS0_13select_configILj256ELj13ELNS0_17block_load_methodE3ELS4_3ELS4_3ELNS0_20block_scan_algorithmE0ELj4294967295EEENS1_25partition_config_selectorILNS1_17partition_subalgoE3EjNS0_10empty_typeEbEEZZNS1_14partition_implILS8_3ELb0ES6_jNS0_17counting_iteratorIjlEEPS9_SE_NS0_5tupleIJPjSE_EEENSF_IJSE_SE_EEES9_SG_JZNS1_25segmented_radix_sort_implINS0_14default_configELb1EPKlPlSM_SN_N2at6native12_GLOBAL__N_18offset_tEEE10hipError_tPvRmT1_PNSt15iterator_traitsISV_E10value_typeET2_T3_PNSW_IS11_E10value_typeET4_jRbjT5_S17_jjP12ihipStream_tbEUljE_EEESS_ST_SU_S11_S15_S17_T6_T7_T9_mT8_S19_bDpT10_ENKUlT_T0_E_clISt17integral_constantIbLb1EES1L_IbLb0EEEEDaS1H_S1I_EUlS1H_E_NS1_11comp_targetILNS1_3genE4ELNS1_11target_archE910ELNS1_3gpuE8ELNS1_3repE0EEENS1_30default_config_static_selectorELNS0_4arch9wavefront6targetE0EEEvSV_.num_agpr, 0
	.set _ZN7rocprim17ROCPRIM_400000_NS6detail17trampoline_kernelINS0_13select_configILj256ELj13ELNS0_17block_load_methodE3ELS4_3ELS4_3ELNS0_20block_scan_algorithmE0ELj4294967295EEENS1_25partition_config_selectorILNS1_17partition_subalgoE3EjNS0_10empty_typeEbEEZZNS1_14partition_implILS8_3ELb0ES6_jNS0_17counting_iteratorIjlEEPS9_SE_NS0_5tupleIJPjSE_EEENSF_IJSE_SE_EEES9_SG_JZNS1_25segmented_radix_sort_implINS0_14default_configELb1EPKlPlSM_SN_N2at6native12_GLOBAL__N_18offset_tEEE10hipError_tPvRmT1_PNSt15iterator_traitsISV_E10value_typeET2_T3_PNSW_IS11_E10value_typeET4_jRbjT5_S17_jjP12ihipStream_tbEUljE_EEESS_ST_SU_S11_S15_S17_T6_T7_T9_mT8_S19_bDpT10_ENKUlT_T0_E_clISt17integral_constantIbLb1EES1L_IbLb0EEEEDaS1H_S1I_EUlS1H_E_NS1_11comp_targetILNS1_3genE4ELNS1_11target_archE910ELNS1_3gpuE8ELNS1_3repE0EEENS1_30default_config_static_selectorELNS0_4arch9wavefront6targetE0EEEvSV_.numbered_sgpr, 0
	.set _ZN7rocprim17ROCPRIM_400000_NS6detail17trampoline_kernelINS0_13select_configILj256ELj13ELNS0_17block_load_methodE3ELS4_3ELS4_3ELNS0_20block_scan_algorithmE0ELj4294967295EEENS1_25partition_config_selectorILNS1_17partition_subalgoE3EjNS0_10empty_typeEbEEZZNS1_14partition_implILS8_3ELb0ES6_jNS0_17counting_iteratorIjlEEPS9_SE_NS0_5tupleIJPjSE_EEENSF_IJSE_SE_EEES9_SG_JZNS1_25segmented_radix_sort_implINS0_14default_configELb1EPKlPlSM_SN_N2at6native12_GLOBAL__N_18offset_tEEE10hipError_tPvRmT1_PNSt15iterator_traitsISV_E10value_typeET2_T3_PNSW_IS11_E10value_typeET4_jRbjT5_S17_jjP12ihipStream_tbEUljE_EEESS_ST_SU_S11_S15_S17_T6_T7_T9_mT8_S19_bDpT10_ENKUlT_T0_E_clISt17integral_constantIbLb1EES1L_IbLb0EEEEDaS1H_S1I_EUlS1H_E_NS1_11comp_targetILNS1_3genE4ELNS1_11target_archE910ELNS1_3gpuE8ELNS1_3repE0EEENS1_30default_config_static_selectorELNS0_4arch9wavefront6targetE0EEEvSV_.num_named_barrier, 0
	.set _ZN7rocprim17ROCPRIM_400000_NS6detail17trampoline_kernelINS0_13select_configILj256ELj13ELNS0_17block_load_methodE3ELS4_3ELS4_3ELNS0_20block_scan_algorithmE0ELj4294967295EEENS1_25partition_config_selectorILNS1_17partition_subalgoE3EjNS0_10empty_typeEbEEZZNS1_14partition_implILS8_3ELb0ES6_jNS0_17counting_iteratorIjlEEPS9_SE_NS0_5tupleIJPjSE_EEENSF_IJSE_SE_EEES9_SG_JZNS1_25segmented_radix_sort_implINS0_14default_configELb1EPKlPlSM_SN_N2at6native12_GLOBAL__N_18offset_tEEE10hipError_tPvRmT1_PNSt15iterator_traitsISV_E10value_typeET2_T3_PNSW_IS11_E10value_typeET4_jRbjT5_S17_jjP12ihipStream_tbEUljE_EEESS_ST_SU_S11_S15_S17_T6_T7_T9_mT8_S19_bDpT10_ENKUlT_T0_E_clISt17integral_constantIbLb1EES1L_IbLb0EEEEDaS1H_S1I_EUlS1H_E_NS1_11comp_targetILNS1_3genE4ELNS1_11target_archE910ELNS1_3gpuE8ELNS1_3repE0EEENS1_30default_config_static_selectorELNS0_4arch9wavefront6targetE0EEEvSV_.private_seg_size, 0
	.set _ZN7rocprim17ROCPRIM_400000_NS6detail17trampoline_kernelINS0_13select_configILj256ELj13ELNS0_17block_load_methodE3ELS4_3ELS4_3ELNS0_20block_scan_algorithmE0ELj4294967295EEENS1_25partition_config_selectorILNS1_17partition_subalgoE3EjNS0_10empty_typeEbEEZZNS1_14partition_implILS8_3ELb0ES6_jNS0_17counting_iteratorIjlEEPS9_SE_NS0_5tupleIJPjSE_EEENSF_IJSE_SE_EEES9_SG_JZNS1_25segmented_radix_sort_implINS0_14default_configELb1EPKlPlSM_SN_N2at6native12_GLOBAL__N_18offset_tEEE10hipError_tPvRmT1_PNSt15iterator_traitsISV_E10value_typeET2_T3_PNSW_IS11_E10value_typeET4_jRbjT5_S17_jjP12ihipStream_tbEUljE_EEESS_ST_SU_S11_S15_S17_T6_T7_T9_mT8_S19_bDpT10_ENKUlT_T0_E_clISt17integral_constantIbLb1EES1L_IbLb0EEEEDaS1H_S1I_EUlS1H_E_NS1_11comp_targetILNS1_3genE4ELNS1_11target_archE910ELNS1_3gpuE8ELNS1_3repE0EEENS1_30default_config_static_selectorELNS0_4arch9wavefront6targetE0EEEvSV_.uses_vcc, 0
	.set _ZN7rocprim17ROCPRIM_400000_NS6detail17trampoline_kernelINS0_13select_configILj256ELj13ELNS0_17block_load_methodE3ELS4_3ELS4_3ELNS0_20block_scan_algorithmE0ELj4294967295EEENS1_25partition_config_selectorILNS1_17partition_subalgoE3EjNS0_10empty_typeEbEEZZNS1_14partition_implILS8_3ELb0ES6_jNS0_17counting_iteratorIjlEEPS9_SE_NS0_5tupleIJPjSE_EEENSF_IJSE_SE_EEES9_SG_JZNS1_25segmented_radix_sort_implINS0_14default_configELb1EPKlPlSM_SN_N2at6native12_GLOBAL__N_18offset_tEEE10hipError_tPvRmT1_PNSt15iterator_traitsISV_E10value_typeET2_T3_PNSW_IS11_E10value_typeET4_jRbjT5_S17_jjP12ihipStream_tbEUljE_EEESS_ST_SU_S11_S15_S17_T6_T7_T9_mT8_S19_bDpT10_ENKUlT_T0_E_clISt17integral_constantIbLb1EES1L_IbLb0EEEEDaS1H_S1I_EUlS1H_E_NS1_11comp_targetILNS1_3genE4ELNS1_11target_archE910ELNS1_3gpuE8ELNS1_3repE0EEENS1_30default_config_static_selectorELNS0_4arch9wavefront6targetE0EEEvSV_.uses_flat_scratch, 0
	.set _ZN7rocprim17ROCPRIM_400000_NS6detail17trampoline_kernelINS0_13select_configILj256ELj13ELNS0_17block_load_methodE3ELS4_3ELS4_3ELNS0_20block_scan_algorithmE0ELj4294967295EEENS1_25partition_config_selectorILNS1_17partition_subalgoE3EjNS0_10empty_typeEbEEZZNS1_14partition_implILS8_3ELb0ES6_jNS0_17counting_iteratorIjlEEPS9_SE_NS0_5tupleIJPjSE_EEENSF_IJSE_SE_EEES9_SG_JZNS1_25segmented_radix_sort_implINS0_14default_configELb1EPKlPlSM_SN_N2at6native12_GLOBAL__N_18offset_tEEE10hipError_tPvRmT1_PNSt15iterator_traitsISV_E10value_typeET2_T3_PNSW_IS11_E10value_typeET4_jRbjT5_S17_jjP12ihipStream_tbEUljE_EEESS_ST_SU_S11_S15_S17_T6_T7_T9_mT8_S19_bDpT10_ENKUlT_T0_E_clISt17integral_constantIbLb1EES1L_IbLb0EEEEDaS1H_S1I_EUlS1H_E_NS1_11comp_targetILNS1_3genE4ELNS1_11target_archE910ELNS1_3gpuE8ELNS1_3repE0EEENS1_30default_config_static_selectorELNS0_4arch9wavefront6targetE0EEEvSV_.has_dyn_sized_stack, 0
	.set _ZN7rocprim17ROCPRIM_400000_NS6detail17trampoline_kernelINS0_13select_configILj256ELj13ELNS0_17block_load_methodE3ELS4_3ELS4_3ELNS0_20block_scan_algorithmE0ELj4294967295EEENS1_25partition_config_selectorILNS1_17partition_subalgoE3EjNS0_10empty_typeEbEEZZNS1_14partition_implILS8_3ELb0ES6_jNS0_17counting_iteratorIjlEEPS9_SE_NS0_5tupleIJPjSE_EEENSF_IJSE_SE_EEES9_SG_JZNS1_25segmented_radix_sort_implINS0_14default_configELb1EPKlPlSM_SN_N2at6native12_GLOBAL__N_18offset_tEEE10hipError_tPvRmT1_PNSt15iterator_traitsISV_E10value_typeET2_T3_PNSW_IS11_E10value_typeET4_jRbjT5_S17_jjP12ihipStream_tbEUljE_EEESS_ST_SU_S11_S15_S17_T6_T7_T9_mT8_S19_bDpT10_ENKUlT_T0_E_clISt17integral_constantIbLb1EES1L_IbLb0EEEEDaS1H_S1I_EUlS1H_E_NS1_11comp_targetILNS1_3genE4ELNS1_11target_archE910ELNS1_3gpuE8ELNS1_3repE0EEENS1_30default_config_static_selectorELNS0_4arch9wavefront6targetE0EEEvSV_.has_recursion, 0
	.set _ZN7rocprim17ROCPRIM_400000_NS6detail17trampoline_kernelINS0_13select_configILj256ELj13ELNS0_17block_load_methodE3ELS4_3ELS4_3ELNS0_20block_scan_algorithmE0ELj4294967295EEENS1_25partition_config_selectorILNS1_17partition_subalgoE3EjNS0_10empty_typeEbEEZZNS1_14partition_implILS8_3ELb0ES6_jNS0_17counting_iteratorIjlEEPS9_SE_NS0_5tupleIJPjSE_EEENSF_IJSE_SE_EEES9_SG_JZNS1_25segmented_radix_sort_implINS0_14default_configELb1EPKlPlSM_SN_N2at6native12_GLOBAL__N_18offset_tEEE10hipError_tPvRmT1_PNSt15iterator_traitsISV_E10value_typeET2_T3_PNSW_IS11_E10value_typeET4_jRbjT5_S17_jjP12ihipStream_tbEUljE_EEESS_ST_SU_S11_S15_S17_T6_T7_T9_mT8_S19_bDpT10_ENKUlT_T0_E_clISt17integral_constantIbLb1EES1L_IbLb0EEEEDaS1H_S1I_EUlS1H_E_NS1_11comp_targetILNS1_3genE4ELNS1_11target_archE910ELNS1_3gpuE8ELNS1_3repE0EEENS1_30default_config_static_selectorELNS0_4arch9wavefront6targetE0EEEvSV_.has_indirect_call, 0
	.section	.AMDGPU.csdata,"",@progbits
; Kernel info:
; codeLenInByte = 0
; TotalNumSgprs: 0
; NumVgprs: 0
; ScratchSize: 0
; MemoryBound: 0
; FloatMode: 240
; IeeeMode: 1
; LDSByteSize: 0 bytes/workgroup (compile time only)
; SGPRBlocks: 0
; VGPRBlocks: 0
; NumSGPRsForWavesPerEU: 1
; NumVGPRsForWavesPerEU: 1
; NamedBarCnt: 0
; Occupancy: 16
; WaveLimiterHint : 0
; COMPUTE_PGM_RSRC2:SCRATCH_EN: 0
; COMPUTE_PGM_RSRC2:USER_SGPR: 2
; COMPUTE_PGM_RSRC2:TRAP_HANDLER: 0
; COMPUTE_PGM_RSRC2:TGID_X_EN: 1
; COMPUTE_PGM_RSRC2:TGID_Y_EN: 0
; COMPUTE_PGM_RSRC2:TGID_Z_EN: 0
; COMPUTE_PGM_RSRC2:TIDIG_COMP_CNT: 0
	.section	.text._ZN7rocprim17ROCPRIM_400000_NS6detail17trampoline_kernelINS0_13select_configILj256ELj13ELNS0_17block_load_methodE3ELS4_3ELS4_3ELNS0_20block_scan_algorithmE0ELj4294967295EEENS1_25partition_config_selectorILNS1_17partition_subalgoE3EjNS0_10empty_typeEbEEZZNS1_14partition_implILS8_3ELb0ES6_jNS0_17counting_iteratorIjlEEPS9_SE_NS0_5tupleIJPjSE_EEENSF_IJSE_SE_EEES9_SG_JZNS1_25segmented_radix_sort_implINS0_14default_configELb1EPKlPlSM_SN_N2at6native12_GLOBAL__N_18offset_tEEE10hipError_tPvRmT1_PNSt15iterator_traitsISV_E10value_typeET2_T3_PNSW_IS11_E10value_typeET4_jRbjT5_S17_jjP12ihipStream_tbEUljE_EEESS_ST_SU_S11_S15_S17_T6_T7_T9_mT8_S19_bDpT10_ENKUlT_T0_E_clISt17integral_constantIbLb1EES1L_IbLb0EEEEDaS1H_S1I_EUlS1H_E_NS1_11comp_targetILNS1_3genE3ELNS1_11target_archE908ELNS1_3gpuE7ELNS1_3repE0EEENS1_30default_config_static_selectorELNS0_4arch9wavefront6targetE0EEEvSV_,"axG",@progbits,_ZN7rocprim17ROCPRIM_400000_NS6detail17trampoline_kernelINS0_13select_configILj256ELj13ELNS0_17block_load_methodE3ELS4_3ELS4_3ELNS0_20block_scan_algorithmE0ELj4294967295EEENS1_25partition_config_selectorILNS1_17partition_subalgoE3EjNS0_10empty_typeEbEEZZNS1_14partition_implILS8_3ELb0ES6_jNS0_17counting_iteratorIjlEEPS9_SE_NS0_5tupleIJPjSE_EEENSF_IJSE_SE_EEES9_SG_JZNS1_25segmented_radix_sort_implINS0_14default_configELb1EPKlPlSM_SN_N2at6native12_GLOBAL__N_18offset_tEEE10hipError_tPvRmT1_PNSt15iterator_traitsISV_E10value_typeET2_T3_PNSW_IS11_E10value_typeET4_jRbjT5_S17_jjP12ihipStream_tbEUljE_EEESS_ST_SU_S11_S15_S17_T6_T7_T9_mT8_S19_bDpT10_ENKUlT_T0_E_clISt17integral_constantIbLb1EES1L_IbLb0EEEEDaS1H_S1I_EUlS1H_E_NS1_11comp_targetILNS1_3genE3ELNS1_11target_archE908ELNS1_3gpuE7ELNS1_3repE0EEENS1_30default_config_static_selectorELNS0_4arch9wavefront6targetE0EEEvSV_,comdat
	.globl	_ZN7rocprim17ROCPRIM_400000_NS6detail17trampoline_kernelINS0_13select_configILj256ELj13ELNS0_17block_load_methodE3ELS4_3ELS4_3ELNS0_20block_scan_algorithmE0ELj4294967295EEENS1_25partition_config_selectorILNS1_17partition_subalgoE3EjNS0_10empty_typeEbEEZZNS1_14partition_implILS8_3ELb0ES6_jNS0_17counting_iteratorIjlEEPS9_SE_NS0_5tupleIJPjSE_EEENSF_IJSE_SE_EEES9_SG_JZNS1_25segmented_radix_sort_implINS0_14default_configELb1EPKlPlSM_SN_N2at6native12_GLOBAL__N_18offset_tEEE10hipError_tPvRmT1_PNSt15iterator_traitsISV_E10value_typeET2_T3_PNSW_IS11_E10value_typeET4_jRbjT5_S17_jjP12ihipStream_tbEUljE_EEESS_ST_SU_S11_S15_S17_T6_T7_T9_mT8_S19_bDpT10_ENKUlT_T0_E_clISt17integral_constantIbLb1EES1L_IbLb0EEEEDaS1H_S1I_EUlS1H_E_NS1_11comp_targetILNS1_3genE3ELNS1_11target_archE908ELNS1_3gpuE7ELNS1_3repE0EEENS1_30default_config_static_selectorELNS0_4arch9wavefront6targetE0EEEvSV_ ; -- Begin function _ZN7rocprim17ROCPRIM_400000_NS6detail17trampoline_kernelINS0_13select_configILj256ELj13ELNS0_17block_load_methodE3ELS4_3ELS4_3ELNS0_20block_scan_algorithmE0ELj4294967295EEENS1_25partition_config_selectorILNS1_17partition_subalgoE3EjNS0_10empty_typeEbEEZZNS1_14partition_implILS8_3ELb0ES6_jNS0_17counting_iteratorIjlEEPS9_SE_NS0_5tupleIJPjSE_EEENSF_IJSE_SE_EEES9_SG_JZNS1_25segmented_radix_sort_implINS0_14default_configELb1EPKlPlSM_SN_N2at6native12_GLOBAL__N_18offset_tEEE10hipError_tPvRmT1_PNSt15iterator_traitsISV_E10value_typeET2_T3_PNSW_IS11_E10value_typeET4_jRbjT5_S17_jjP12ihipStream_tbEUljE_EEESS_ST_SU_S11_S15_S17_T6_T7_T9_mT8_S19_bDpT10_ENKUlT_T0_E_clISt17integral_constantIbLb1EES1L_IbLb0EEEEDaS1H_S1I_EUlS1H_E_NS1_11comp_targetILNS1_3genE3ELNS1_11target_archE908ELNS1_3gpuE7ELNS1_3repE0EEENS1_30default_config_static_selectorELNS0_4arch9wavefront6targetE0EEEvSV_
	.p2align	8
	.type	_ZN7rocprim17ROCPRIM_400000_NS6detail17trampoline_kernelINS0_13select_configILj256ELj13ELNS0_17block_load_methodE3ELS4_3ELS4_3ELNS0_20block_scan_algorithmE0ELj4294967295EEENS1_25partition_config_selectorILNS1_17partition_subalgoE3EjNS0_10empty_typeEbEEZZNS1_14partition_implILS8_3ELb0ES6_jNS0_17counting_iteratorIjlEEPS9_SE_NS0_5tupleIJPjSE_EEENSF_IJSE_SE_EEES9_SG_JZNS1_25segmented_radix_sort_implINS0_14default_configELb1EPKlPlSM_SN_N2at6native12_GLOBAL__N_18offset_tEEE10hipError_tPvRmT1_PNSt15iterator_traitsISV_E10value_typeET2_T3_PNSW_IS11_E10value_typeET4_jRbjT5_S17_jjP12ihipStream_tbEUljE_EEESS_ST_SU_S11_S15_S17_T6_T7_T9_mT8_S19_bDpT10_ENKUlT_T0_E_clISt17integral_constantIbLb1EES1L_IbLb0EEEEDaS1H_S1I_EUlS1H_E_NS1_11comp_targetILNS1_3genE3ELNS1_11target_archE908ELNS1_3gpuE7ELNS1_3repE0EEENS1_30default_config_static_selectorELNS0_4arch9wavefront6targetE0EEEvSV_,@function
_ZN7rocprim17ROCPRIM_400000_NS6detail17trampoline_kernelINS0_13select_configILj256ELj13ELNS0_17block_load_methodE3ELS4_3ELS4_3ELNS0_20block_scan_algorithmE0ELj4294967295EEENS1_25partition_config_selectorILNS1_17partition_subalgoE3EjNS0_10empty_typeEbEEZZNS1_14partition_implILS8_3ELb0ES6_jNS0_17counting_iteratorIjlEEPS9_SE_NS0_5tupleIJPjSE_EEENSF_IJSE_SE_EEES9_SG_JZNS1_25segmented_radix_sort_implINS0_14default_configELb1EPKlPlSM_SN_N2at6native12_GLOBAL__N_18offset_tEEE10hipError_tPvRmT1_PNSt15iterator_traitsISV_E10value_typeET2_T3_PNSW_IS11_E10value_typeET4_jRbjT5_S17_jjP12ihipStream_tbEUljE_EEESS_ST_SU_S11_S15_S17_T6_T7_T9_mT8_S19_bDpT10_ENKUlT_T0_E_clISt17integral_constantIbLb1EES1L_IbLb0EEEEDaS1H_S1I_EUlS1H_E_NS1_11comp_targetILNS1_3genE3ELNS1_11target_archE908ELNS1_3gpuE7ELNS1_3repE0EEENS1_30default_config_static_selectorELNS0_4arch9wavefront6targetE0EEEvSV_: ; @_ZN7rocprim17ROCPRIM_400000_NS6detail17trampoline_kernelINS0_13select_configILj256ELj13ELNS0_17block_load_methodE3ELS4_3ELS4_3ELNS0_20block_scan_algorithmE0ELj4294967295EEENS1_25partition_config_selectorILNS1_17partition_subalgoE3EjNS0_10empty_typeEbEEZZNS1_14partition_implILS8_3ELb0ES6_jNS0_17counting_iteratorIjlEEPS9_SE_NS0_5tupleIJPjSE_EEENSF_IJSE_SE_EEES9_SG_JZNS1_25segmented_radix_sort_implINS0_14default_configELb1EPKlPlSM_SN_N2at6native12_GLOBAL__N_18offset_tEEE10hipError_tPvRmT1_PNSt15iterator_traitsISV_E10value_typeET2_T3_PNSW_IS11_E10value_typeET4_jRbjT5_S17_jjP12ihipStream_tbEUljE_EEESS_ST_SU_S11_S15_S17_T6_T7_T9_mT8_S19_bDpT10_ENKUlT_T0_E_clISt17integral_constantIbLb1EES1L_IbLb0EEEEDaS1H_S1I_EUlS1H_E_NS1_11comp_targetILNS1_3genE3ELNS1_11target_archE908ELNS1_3gpuE7ELNS1_3repE0EEENS1_30default_config_static_selectorELNS0_4arch9wavefront6targetE0EEEvSV_
; %bb.0:
	.section	.rodata,"a",@progbits
	.p2align	6, 0x0
	.amdhsa_kernel _ZN7rocprim17ROCPRIM_400000_NS6detail17trampoline_kernelINS0_13select_configILj256ELj13ELNS0_17block_load_methodE3ELS4_3ELS4_3ELNS0_20block_scan_algorithmE0ELj4294967295EEENS1_25partition_config_selectorILNS1_17partition_subalgoE3EjNS0_10empty_typeEbEEZZNS1_14partition_implILS8_3ELb0ES6_jNS0_17counting_iteratorIjlEEPS9_SE_NS0_5tupleIJPjSE_EEENSF_IJSE_SE_EEES9_SG_JZNS1_25segmented_radix_sort_implINS0_14default_configELb1EPKlPlSM_SN_N2at6native12_GLOBAL__N_18offset_tEEE10hipError_tPvRmT1_PNSt15iterator_traitsISV_E10value_typeET2_T3_PNSW_IS11_E10value_typeET4_jRbjT5_S17_jjP12ihipStream_tbEUljE_EEESS_ST_SU_S11_S15_S17_T6_T7_T9_mT8_S19_bDpT10_ENKUlT_T0_E_clISt17integral_constantIbLb1EES1L_IbLb0EEEEDaS1H_S1I_EUlS1H_E_NS1_11comp_targetILNS1_3genE3ELNS1_11target_archE908ELNS1_3gpuE7ELNS1_3repE0EEENS1_30default_config_static_selectorELNS0_4arch9wavefront6targetE0EEEvSV_
		.amdhsa_group_segment_fixed_size 0
		.amdhsa_private_segment_fixed_size 0
		.amdhsa_kernarg_size 144
		.amdhsa_user_sgpr_count 2
		.amdhsa_user_sgpr_dispatch_ptr 0
		.amdhsa_user_sgpr_queue_ptr 0
		.amdhsa_user_sgpr_kernarg_segment_ptr 1
		.amdhsa_user_sgpr_dispatch_id 0
		.amdhsa_user_sgpr_kernarg_preload_length 0
		.amdhsa_user_sgpr_kernarg_preload_offset 0
		.amdhsa_user_sgpr_private_segment_size 0
		.amdhsa_wavefront_size32 1
		.amdhsa_uses_dynamic_stack 0
		.amdhsa_enable_private_segment 0
		.amdhsa_system_sgpr_workgroup_id_x 1
		.amdhsa_system_sgpr_workgroup_id_y 0
		.amdhsa_system_sgpr_workgroup_id_z 0
		.amdhsa_system_sgpr_workgroup_info 0
		.amdhsa_system_vgpr_workitem_id 0
		.amdhsa_next_free_vgpr 1
		.amdhsa_next_free_sgpr 1
		.amdhsa_named_barrier_count 0
		.amdhsa_reserve_vcc 0
		.amdhsa_float_round_mode_32 0
		.amdhsa_float_round_mode_16_64 0
		.amdhsa_float_denorm_mode_32 3
		.amdhsa_float_denorm_mode_16_64 3
		.amdhsa_fp16_overflow 0
		.amdhsa_memory_ordered 1
		.amdhsa_forward_progress 1
		.amdhsa_inst_pref_size 0
		.amdhsa_round_robin_scheduling 0
		.amdhsa_exception_fp_ieee_invalid_op 0
		.amdhsa_exception_fp_denorm_src 0
		.amdhsa_exception_fp_ieee_div_zero 0
		.amdhsa_exception_fp_ieee_overflow 0
		.amdhsa_exception_fp_ieee_underflow 0
		.amdhsa_exception_fp_ieee_inexact 0
		.amdhsa_exception_int_div_zero 0
	.end_amdhsa_kernel
	.section	.text._ZN7rocprim17ROCPRIM_400000_NS6detail17trampoline_kernelINS0_13select_configILj256ELj13ELNS0_17block_load_methodE3ELS4_3ELS4_3ELNS0_20block_scan_algorithmE0ELj4294967295EEENS1_25partition_config_selectorILNS1_17partition_subalgoE3EjNS0_10empty_typeEbEEZZNS1_14partition_implILS8_3ELb0ES6_jNS0_17counting_iteratorIjlEEPS9_SE_NS0_5tupleIJPjSE_EEENSF_IJSE_SE_EEES9_SG_JZNS1_25segmented_radix_sort_implINS0_14default_configELb1EPKlPlSM_SN_N2at6native12_GLOBAL__N_18offset_tEEE10hipError_tPvRmT1_PNSt15iterator_traitsISV_E10value_typeET2_T3_PNSW_IS11_E10value_typeET4_jRbjT5_S17_jjP12ihipStream_tbEUljE_EEESS_ST_SU_S11_S15_S17_T6_T7_T9_mT8_S19_bDpT10_ENKUlT_T0_E_clISt17integral_constantIbLb1EES1L_IbLb0EEEEDaS1H_S1I_EUlS1H_E_NS1_11comp_targetILNS1_3genE3ELNS1_11target_archE908ELNS1_3gpuE7ELNS1_3repE0EEENS1_30default_config_static_selectorELNS0_4arch9wavefront6targetE0EEEvSV_,"axG",@progbits,_ZN7rocprim17ROCPRIM_400000_NS6detail17trampoline_kernelINS0_13select_configILj256ELj13ELNS0_17block_load_methodE3ELS4_3ELS4_3ELNS0_20block_scan_algorithmE0ELj4294967295EEENS1_25partition_config_selectorILNS1_17partition_subalgoE3EjNS0_10empty_typeEbEEZZNS1_14partition_implILS8_3ELb0ES6_jNS0_17counting_iteratorIjlEEPS9_SE_NS0_5tupleIJPjSE_EEENSF_IJSE_SE_EEES9_SG_JZNS1_25segmented_radix_sort_implINS0_14default_configELb1EPKlPlSM_SN_N2at6native12_GLOBAL__N_18offset_tEEE10hipError_tPvRmT1_PNSt15iterator_traitsISV_E10value_typeET2_T3_PNSW_IS11_E10value_typeET4_jRbjT5_S17_jjP12ihipStream_tbEUljE_EEESS_ST_SU_S11_S15_S17_T6_T7_T9_mT8_S19_bDpT10_ENKUlT_T0_E_clISt17integral_constantIbLb1EES1L_IbLb0EEEEDaS1H_S1I_EUlS1H_E_NS1_11comp_targetILNS1_3genE3ELNS1_11target_archE908ELNS1_3gpuE7ELNS1_3repE0EEENS1_30default_config_static_selectorELNS0_4arch9wavefront6targetE0EEEvSV_,comdat
.Lfunc_end687:
	.size	_ZN7rocprim17ROCPRIM_400000_NS6detail17trampoline_kernelINS0_13select_configILj256ELj13ELNS0_17block_load_methodE3ELS4_3ELS4_3ELNS0_20block_scan_algorithmE0ELj4294967295EEENS1_25partition_config_selectorILNS1_17partition_subalgoE3EjNS0_10empty_typeEbEEZZNS1_14partition_implILS8_3ELb0ES6_jNS0_17counting_iteratorIjlEEPS9_SE_NS0_5tupleIJPjSE_EEENSF_IJSE_SE_EEES9_SG_JZNS1_25segmented_radix_sort_implINS0_14default_configELb1EPKlPlSM_SN_N2at6native12_GLOBAL__N_18offset_tEEE10hipError_tPvRmT1_PNSt15iterator_traitsISV_E10value_typeET2_T3_PNSW_IS11_E10value_typeET4_jRbjT5_S17_jjP12ihipStream_tbEUljE_EEESS_ST_SU_S11_S15_S17_T6_T7_T9_mT8_S19_bDpT10_ENKUlT_T0_E_clISt17integral_constantIbLb1EES1L_IbLb0EEEEDaS1H_S1I_EUlS1H_E_NS1_11comp_targetILNS1_3genE3ELNS1_11target_archE908ELNS1_3gpuE7ELNS1_3repE0EEENS1_30default_config_static_selectorELNS0_4arch9wavefront6targetE0EEEvSV_, .Lfunc_end687-_ZN7rocprim17ROCPRIM_400000_NS6detail17trampoline_kernelINS0_13select_configILj256ELj13ELNS0_17block_load_methodE3ELS4_3ELS4_3ELNS0_20block_scan_algorithmE0ELj4294967295EEENS1_25partition_config_selectorILNS1_17partition_subalgoE3EjNS0_10empty_typeEbEEZZNS1_14partition_implILS8_3ELb0ES6_jNS0_17counting_iteratorIjlEEPS9_SE_NS0_5tupleIJPjSE_EEENSF_IJSE_SE_EEES9_SG_JZNS1_25segmented_radix_sort_implINS0_14default_configELb1EPKlPlSM_SN_N2at6native12_GLOBAL__N_18offset_tEEE10hipError_tPvRmT1_PNSt15iterator_traitsISV_E10value_typeET2_T3_PNSW_IS11_E10value_typeET4_jRbjT5_S17_jjP12ihipStream_tbEUljE_EEESS_ST_SU_S11_S15_S17_T6_T7_T9_mT8_S19_bDpT10_ENKUlT_T0_E_clISt17integral_constantIbLb1EES1L_IbLb0EEEEDaS1H_S1I_EUlS1H_E_NS1_11comp_targetILNS1_3genE3ELNS1_11target_archE908ELNS1_3gpuE7ELNS1_3repE0EEENS1_30default_config_static_selectorELNS0_4arch9wavefront6targetE0EEEvSV_
                                        ; -- End function
	.set _ZN7rocprim17ROCPRIM_400000_NS6detail17trampoline_kernelINS0_13select_configILj256ELj13ELNS0_17block_load_methodE3ELS4_3ELS4_3ELNS0_20block_scan_algorithmE0ELj4294967295EEENS1_25partition_config_selectorILNS1_17partition_subalgoE3EjNS0_10empty_typeEbEEZZNS1_14partition_implILS8_3ELb0ES6_jNS0_17counting_iteratorIjlEEPS9_SE_NS0_5tupleIJPjSE_EEENSF_IJSE_SE_EEES9_SG_JZNS1_25segmented_radix_sort_implINS0_14default_configELb1EPKlPlSM_SN_N2at6native12_GLOBAL__N_18offset_tEEE10hipError_tPvRmT1_PNSt15iterator_traitsISV_E10value_typeET2_T3_PNSW_IS11_E10value_typeET4_jRbjT5_S17_jjP12ihipStream_tbEUljE_EEESS_ST_SU_S11_S15_S17_T6_T7_T9_mT8_S19_bDpT10_ENKUlT_T0_E_clISt17integral_constantIbLb1EES1L_IbLb0EEEEDaS1H_S1I_EUlS1H_E_NS1_11comp_targetILNS1_3genE3ELNS1_11target_archE908ELNS1_3gpuE7ELNS1_3repE0EEENS1_30default_config_static_selectorELNS0_4arch9wavefront6targetE0EEEvSV_.num_vgpr, 0
	.set _ZN7rocprim17ROCPRIM_400000_NS6detail17trampoline_kernelINS0_13select_configILj256ELj13ELNS0_17block_load_methodE3ELS4_3ELS4_3ELNS0_20block_scan_algorithmE0ELj4294967295EEENS1_25partition_config_selectorILNS1_17partition_subalgoE3EjNS0_10empty_typeEbEEZZNS1_14partition_implILS8_3ELb0ES6_jNS0_17counting_iteratorIjlEEPS9_SE_NS0_5tupleIJPjSE_EEENSF_IJSE_SE_EEES9_SG_JZNS1_25segmented_radix_sort_implINS0_14default_configELb1EPKlPlSM_SN_N2at6native12_GLOBAL__N_18offset_tEEE10hipError_tPvRmT1_PNSt15iterator_traitsISV_E10value_typeET2_T3_PNSW_IS11_E10value_typeET4_jRbjT5_S17_jjP12ihipStream_tbEUljE_EEESS_ST_SU_S11_S15_S17_T6_T7_T9_mT8_S19_bDpT10_ENKUlT_T0_E_clISt17integral_constantIbLb1EES1L_IbLb0EEEEDaS1H_S1I_EUlS1H_E_NS1_11comp_targetILNS1_3genE3ELNS1_11target_archE908ELNS1_3gpuE7ELNS1_3repE0EEENS1_30default_config_static_selectorELNS0_4arch9wavefront6targetE0EEEvSV_.num_agpr, 0
	.set _ZN7rocprim17ROCPRIM_400000_NS6detail17trampoline_kernelINS0_13select_configILj256ELj13ELNS0_17block_load_methodE3ELS4_3ELS4_3ELNS0_20block_scan_algorithmE0ELj4294967295EEENS1_25partition_config_selectorILNS1_17partition_subalgoE3EjNS0_10empty_typeEbEEZZNS1_14partition_implILS8_3ELb0ES6_jNS0_17counting_iteratorIjlEEPS9_SE_NS0_5tupleIJPjSE_EEENSF_IJSE_SE_EEES9_SG_JZNS1_25segmented_radix_sort_implINS0_14default_configELb1EPKlPlSM_SN_N2at6native12_GLOBAL__N_18offset_tEEE10hipError_tPvRmT1_PNSt15iterator_traitsISV_E10value_typeET2_T3_PNSW_IS11_E10value_typeET4_jRbjT5_S17_jjP12ihipStream_tbEUljE_EEESS_ST_SU_S11_S15_S17_T6_T7_T9_mT8_S19_bDpT10_ENKUlT_T0_E_clISt17integral_constantIbLb1EES1L_IbLb0EEEEDaS1H_S1I_EUlS1H_E_NS1_11comp_targetILNS1_3genE3ELNS1_11target_archE908ELNS1_3gpuE7ELNS1_3repE0EEENS1_30default_config_static_selectorELNS0_4arch9wavefront6targetE0EEEvSV_.numbered_sgpr, 0
	.set _ZN7rocprim17ROCPRIM_400000_NS6detail17trampoline_kernelINS0_13select_configILj256ELj13ELNS0_17block_load_methodE3ELS4_3ELS4_3ELNS0_20block_scan_algorithmE0ELj4294967295EEENS1_25partition_config_selectorILNS1_17partition_subalgoE3EjNS0_10empty_typeEbEEZZNS1_14partition_implILS8_3ELb0ES6_jNS0_17counting_iteratorIjlEEPS9_SE_NS0_5tupleIJPjSE_EEENSF_IJSE_SE_EEES9_SG_JZNS1_25segmented_radix_sort_implINS0_14default_configELb1EPKlPlSM_SN_N2at6native12_GLOBAL__N_18offset_tEEE10hipError_tPvRmT1_PNSt15iterator_traitsISV_E10value_typeET2_T3_PNSW_IS11_E10value_typeET4_jRbjT5_S17_jjP12ihipStream_tbEUljE_EEESS_ST_SU_S11_S15_S17_T6_T7_T9_mT8_S19_bDpT10_ENKUlT_T0_E_clISt17integral_constantIbLb1EES1L_IbLb0EEEEDaS1H_S1I_EUlS1H_E_NS1_11comp_targetILNS1_3genE3ELNS1_11target_archE908ELNS1_3gpuE7ELNS1_3repE0EEENS1_30default_config_static_selectorELNS0_4arch9wavefront6targetE0EEEvSV_.num_named_barrier, 0
	.set _ZN7rocprim17ROCPRIM_400000_NS6detail17trampoline_kernelINS0_13select_configILj256ELj13ELNS0_17block_load_methodE3ELS4_3ELS4_3ELNS0_20block_scan_algorithmE0ELj4294967295EEENS1_25partition_config_selectorILNS1_17partition_subalgoE3EjNS0_10empty_typeEbEEZZNS1_14partition_implILS8_3ELb0ES6_jNS0_17counting_iteratorIjlEEPS9_SE_NS0_5tupleIJPjSE_EEENSF_IJSE_SE_EEES9_SG_JZNS1_25segmented_radix_sort_implINS0_14default_configELb1EPKlPlSM_SN_N2at6native12_GLOBAL__N_18offset_tEEE10hipError_tPvRmT1_PNSt15iterator_traitsISV_E10value_typeET2_T3_PNSW_IS11_E10value_typeET4_jRbjT5_S17_jjP12ihipStream_tbEUljE_EEESS_ST_SU_S11_S15_S17_T6_T7_T9_mT8_S19_bDpT10_ENKUlT_T0_E_clISt17integral_constantIbLb1EES1L_IbLb0EEEEDaS1H_S1I_EUlS1H_E_NS1_11comp_targetILNS1_3genE3ELNS1_11target_archE908ELNS1_3gpuE7ELNS1_3repE0EEENS1_30default_config_static_selectorELNS0_4arch9wavefront6targetE0EEEvSV_.private_seg_size, 0
	.set _ZN7rocprim17ROCPRIM_400000_NS6detail17trampoline_kernelINS0_13select_configILj256ELj13ELNS0_17block_load_methodE3ELS4_3ELS4_3ELNS0_20block_scan_algorithmE0ELj4294967295EEENS1_25partition_config_selectorILNS1_17partition_subalgoE3EjNS0_10empty_typeEbEEZZNS1_14partition_implILS8_3ELb0ES6_jNS0_17counting_iteratorIjlEEPS9_SE_NS0_5tupleIJPjSE_EEENSF_IJSE_SE_EEES9_SG_JZNS1_25segmented_radix_sort_implINS0_14default_configELb1EPKlPlSM_SN_N2at6native12_GLOBAL__N_18offset_tEEE10hipError_tPvRmT1_PNSt15iterator_traitsISV_E10value_typeET2_T3_PNSW_IS11_E10value_typeET4_jRbjT5_S17_jjP12ihipStream_tbEUljE_EEESS_ST_SU_S11_S15_S17_T6_T7_T9_mT8_S19_bDpT10_ENKUlT_T0_E_clISt17integral_constantIbLb1EES1L_IbLb0EEEEDaS1H_S1I_EUlS1H_E_NS1_11comp_targetILNS1_3genE3ELNS1_11target_archE908ELNS1_3gpuE7ELNS1_3repE0EEENS1_30default_config_static_selectorELNS0_4arch9wavefront6targetE0EEEvSV_.uses_vcc, 0
	.set _ZN7rocprim17ROCPRIM_400000_NS6detail17trampoline_kernelINS0_13select_configILj256ELj13ELNS0_17block_load_methodE3ELS4_3ELS4_3ELNS0_20block_scan_algorithmE0ELj4294967295EEENS1_25partition_config_selectorILNS1_17partition_subalgoE3EjNS0_10empty_typeEbEEZZNS1_14partition_implILS8_3ELb0ES6_jNS0_17counting_iteratorIjlEEPS9_SE_NS0_5tupleIJPjSE_EEENSF_IJSE_SE_EEES9_SG_JZNS1_25segmented_radix_sort_implINS0_14default_configELb1EPKlPlSM_SN_N2at6native12_GLOBAL__N_18offset_tEEE10hipError_tPvRmT1_PNSt15iterator_traitsISV_E10value_typeET2_T3_PNSW_IS11_E10value_typeET4_jRbjT5_S17_jjP12ihipStream_tbEUljE_EEESS_ST_SU_S11_S15_S17_T6_T7_T9_mT8_S19_bDpT10_ENKUlT_T0_E_clISt17integral_constantIbLb1EES1L_IbLb0EEEEDaS1H_S1I_EUlS1H_E_NS1_11comp_targetILNS1_3genE3ELNS1_11target_archE908ELNS1_3gpuE7ELNS1_3repE0EEENS1_30default_config_static_selectorELNS0_4arch9wavefront6targetE0EEEvSV_.uses_flat_scratch, 0
	.set _ZN7rocprim17ROCPRIM_400000_NS6detail17trampoline_kernelINS0_13select_configILj256ELj13ELNS0_17block_load_methodE3ELS4_3ELS4_3ELNS0_20block_scan_algorithmE0ELj4294967295EEENS1_25partition_config_selectorILNS1_17partition_subalgoE3EjNS0_10empty_typeEbEEZZNS1_14partition_implILS8_3ELb0ES6_jNS0_17counting_iteratorIjlEEPS9_SE_NS0_5tupleIJPjSE_EEENSF_IJSE_SE_EEES9_SG_JZNS1_25segmented_radix_sort_implINS0_14default_configELb1EPKlPlSM_SN_N2at6native12_GLOBAL__N_18offset_tEEE10hipError_tPvRmT1_PNSt15iterator_traitsISV_E10value_typeET2_T3_PNSW_IS11_E10value_typeET4_jRbjT5_S17_jjP12ihipStream_tbEUljE_EEESS_ST_SU_S11_S15_S17_T6_T7_T9_mT8_S19_bDpT10_ENKUlT_T0_E_clISt17integral_constantIbLb1EES1L_IbLb0EEEEDaS1H_S1I_EUlS1H_E_NS1_11comp_targetILNS1_3genE3ELNS1_11target_archE908ELNS1_3gpuE7ELNS1_3repE0EEENS1_30default_config_static_selectorELNS0_4arch9wavefront6targetE0EEEvSV_.has_dyn_sized_stack, 0
	.set _ZN7rocprim17ROCPRIM_400000_NS6detail17trampoline_kernelINS0_13select_configILj256ELj13ELNS0_17block_load_methodE3ELS4_3ELS4_3ELNS0_20block_scan_algorithmE0ELj4294967295EEENS1_25partition_config_selectorILNS1_17partition_subalgoE3EjNS0_10empty_typeEbEEZZNS1_14partition_implILS8_3ELb0ES6_jNS0_17counting_iteratorIjlEEPS9_SE_NS0_5tupleIJPjSE_EEENSF_IJSE_SE_EEES9_SG_JZNS1_25segmented_radix_sort_implINS0_14default_configELb1EPKlPlSM_SN_N2at6native12_GLOBAL__N_18offset_tEEE10hipError_tPvRmT1_PNSt15iterator_traitsISV_E10value_typeET2_T3_PNSW_IS11_E10value_typeET4_jRbjT5_S17_jjP12ihipStream_tbEUljE_EEESS_ST_SU_S11_S15_S17_T6_T7_T9_mT8_S19_bDpT10_ENKUlT_T0_E_clISt17integral_constantIbLb1EES1L_IbLb0EEEEDaS1H_S1I_EUlS1H_E_NS1_11comp_targetILNS1_3genE3ELNS1_11target_archE908ELNS1_3gpuE7ELNS1_3repE0EEENS1_30default_config_static_selectorELNS0_4arch9wavefront6targetE0EEEvSV_.has_recursion, 0
	.set _ZN7rocprim17ROCPRIM_400000_NS6detail17trampoline_kernelINS0_13select_configILj256ELj13ELNS0_17block_load_methodE3ELS4_3ELS4_3ELNS0_20block_scan_algorithmE0ELj4294967295EEENS1_25partition_config_selectorILNS1_17partition_subalgoE3EjNS0_10empty_typeEbEEZZNS1_14partition_implILS8_3ELb0ES6_jNS0_17counting_iteratorIjlEEPS9_SE_NS0_5tupleIJPjSE_EEENSF_IJSE_SE_EEES9_SG_JZNS1_25segmented_radix_sort_implINS0_14default_configELb1EPKlPlSM_SN_N2at6native12_GLOBAL__N_18offset_tEEE10hipError_tPvRmT1_PNSt15iterator_traitsISV_E10value_typeET2_T3_PNSW_IS11_E10value_typeET4_jRbjT5_S17_jjP12ihipStream_tbEUljE_EEESS_ST_SU_S11_S15_S17_T6_T7_T9_mT8_S19_bDpT10_ENKUlT_T0_E_clISt17integral_constantIbLb1EES1L_IbLb0EEEEDaS1H_S1I_EUlS1H_E_NS1_11comp_targetILNS1_3genE3ELNS1_11target_archE908ELNS1_3gpuE7ELNS1_3repE0EEENS1_30default_config_static_selectorELNS0_4arch9wavefront6targetE0EEEvSV_.has_indirect_call, 0
	.section	.AMDGPU.csdata,"",@progbits
; Kernel info:
; codeLenInByte = 0
; TotalNumSgprs: 0
; NumVgprs: 0
; ScratchSize: 0
; MemoryBound: 0
; FloatMode: 240
; IeeeMode: 1
; LDSByteSize: 0 bytes/workgroup (compile time only)
; SGPRBlocks: 0
; VGPRBlocks: 0
; NumSGPRsForWavesPerEU: 1
; NumVGPRsForWavesPerEU: 1
; NamedBarCnt: 0
; Occupancy: 16
; WaveLimiterHint : 0
; COMPUTE_PGM_RSRC2:SCRATCH_EN: 0
; COMPUTE_PGM_RSRC2:USER_SGPR: 2
; COMPUTE_PGM_RSRC2:TRAP_HANDLER: 0
; COMPUTE_PGM_RSRC2:TGID_X_EN: 1
; COMPUTE_PGM_RSRC2:TGID_Y_EN: 0
; COMPUTE_PGM_RSRC2:TGID_Z_EN: 0
; COMPUTE_PGM_RSRC2:TIDIG_COMP_CNT: 0
	.section	.text._ZN7rocprim17ROCPRIM_400000_NS6detail17trampoline_kernelINS0_13select_configILj256ELj13ELNS0_17block_load_methodE3ELS4_3ELS4_3ELNS0_20block_scan_algorithmE0ELj4294967295EEENS1_25partition_config_selectorILNS1_17partition_subalgoE3EjNS0_10empty_typeEbEEZZNS1_14partition_implILS8_3ELb0ES6_jNS0_17counting_iteratorIjlEEPS9_SE_NS0_5tupleIJPjSE_EEENSF_IJSE_SE_EEES9_SG_JZNS1_25segmented_radix_sort_implINS0_14default_configELb1EPKlPlSM_SN_N2at6native12_GLOBAL__N_18offset_tEEE10hipError_tPvRmT1_PNSt15iterator_traitsISV_E10value_typeET2_T3_PNSW_IS11_E10value_typeET4_jRbjT5_S17_jjP12ihipStream_tbEUljE_EEESS_ST_SU_S11_S15_S17_T6_T7_T9_mT8_S19_bDpT10_ENKUlT_T0_E_clISt17integral_constantIbLb1EES1L_IbLb0EEEEDaS1H_S1I_EUlS1H_E_NS1_11comp_targetILNS1_3genE2ELNS1_11target_archE906ELNS1_3gpuE6ELNS1_3repE0EEENS1_30default_config_static_selectorELNS0_4arch9wavefront6targetE0EEEvSV_,"axG",@progbits,_ZN7rocprim17ROCPRIM_400000_NS6detail17trampoline_kernelINS0_13select_configILj256ELj13ELNS0_17block_load_methodE3ELS4_3ELS4_3ELNS0_20block_scan_algorithmE0ELj4294967295EEENS1_25partition_config_selectorILNS1_17partition_subalgoE3EjNS0_10empty_typeEbEEZZNS1_14partition_implILS8_3ELb0ES6_jNS0_17counting_iteratorIjlEEPS9_SE_NS0_5tupleIJPjSE_EEENSF_IJSE_SE_EEES9_SG_JZNS1_25segmented_radix_sort_implINS0_14default_configELb1EPKlPlSM_SN_N2at6native12_GLOBAL__N_18offset_tEEE10hipError_tPvRmT1_PNSt15iterator_traitsISV_E10value_typeET2_T3_PNSW_IS11_E10value_typeET4_jRbjT5_S17_jjP12ihipStream_tbEUljE_EEESS_ST_SU_S11_S15_S17_T6_T7_T9_mT8_S19_bDpT10_ENKUlT_T0_E_clISt17integral_constantIbLb1EES1L_IbLb0EEEEDaS1H_S1I_EUlS1H_E_NS1_11comp_targetILNS1_3genE2ELNS1_11target_archE906ELNS1_3gpuE6ELNS1_3repE0EEENS1_30default_config_static_selectorELNS0_4arch9wavefront6targetE0EEEvSV_,comdat
	.globl	_ZN7rocprim17ROCPRIM_400000_NS6detail17trampoline_kernelINS0_13select_configILj256ELj13ELNS0_17block_load_methodE3ELS4_3ELS4_3ELNS0_20block_scan_algorithmE0ELj4294967295EEENS1_25partition_config_selectorILNS1_17partition_subalgoE3EjNS0_10empty_typeEbEEZZNS1_14partition_implILS8_3ELb0ES6_jNS0_17counting_iteratorIjlEEPS9_SE_NS0_5tupleIJPjSE_EEENSF_IJSE_SE_EEES9_SG_JZNS1_25segmented_radix_sort_implINS0_14default_configELb1EPKlPlSM_SN_N2at6native12_GLOBAL__N_18offset_tEEE10hipError_tPvRmT1_PNSt15iterator_traitsISV_E10value_typeET2_T3_PNSW_IS11_E10value_typeET4_jRbjT5_S17_jjP12ihipStream_tbEUljE_EEESS_ST_SU_S11_S15_S17_T6_T7_T9_mT8_S19_bDpT10_ENKUlT_T0_E_clISt17integral_constantIbLb1EES1L_IbLb0EEEEDaS1H_S1I_EUlS1H_E_NS1_11comp_targetILNS1_3genE2ELNS1_11target_archE906ELNS1_3gpuE6ELNS1_3repE0EEENS1_30default_config_static_selectorELNS0_4arch9wavefront6targetE0EEEvSV_ ; -- Begin function _ZN7rocprim17ROCPRIM_400000_NS6detail17trampoline_kernelINS0_13select_configILj256ELj13ELNS0_17block_load_methodE3ELS4_3ELS4_3ELNS0_20block_scan_algorithmE0ELj4294967295EEENS1_25partition_config_selectorILNS1_17partition_subalgoE3EjNS0_10empty_typeEbEEZZNS1_14partition_implILS8_3ELb0ES6_jNS0_17counting_iteratorIjlEEPS9_SE_NS0_5tupleIJPjSE_EEENSF_IJSE_SE_EEES9_SG_JZNS1_25segmented_radix_sort_implINS0_14default_configELb1EPKlPlSM_SN_N2at6native12_GLOBAL__N_18offset_tEEE10hipError_tPvRmT1_PNSt15iterator_traitsISV_E10value_typeET2_T3_PNSW_IS11_E10value_typeET4_jRbjT5_S17_jjP12ihipStream_tbEUljE_EEESS_ST_SU_S11_S15_S17_T6_T7_T9_mT8_S19_bDpT10_ENKUlT_T0_E_clISt17integral_constantIbLb1EES1L_IbLb0EEEEDaS1H_S1I_EUlS1H_E_NS1_11comp_targetILNS1_3genE2ELNS1_11target_archE906ELNS1_3gpuE6ELNS1_3repE0EEENS1_30default_config_static_selectorELNS0_4arch9wavefront6targetE0EEEvSV_
	.p2align	8
	.type	_ZN7rocprim17ROCPRIM_400000_NS6detail17trampoline_kernelINS0_13select_configILj256ELj13ELNS0_17block_load_methodE3ELS4_3ELS4_3ELNS0_20block_scan_algorithmE0ELj4294967295EEENS1_25partition_config_selectorILNS1_17partition_subalgoE3EjNS0_10empty_typeEbEEZZNS1_14partition_implILS8_3ELb0ES6_jNS0_17counting_iteratorIjlEEPS9_SE_NS0_5tupleIJPjSE_EEENSF_IJSE_SE_EEES9_SG_JZNS1_25segmented_radix_sort_implINS0_14default_configELb1EPKlPlSM_SN_N2at6native12_GLOBAL__N_18offset_tEEE10hipError_tPvRmT1_PNSt15iterator_traitsISV_E10value_typeET2_T3_PNSW_IS11_E10value_typeET4_jRbjT5_S17_jjP12ihipStream_tbEUljE_EEESS_ST_SU_S11_S15_S17_T6_T7_T9_mT8_S19_bDpT10_ENKUlT_T0_E_clISt17integral_constantIbLb1EES1L_IbLb0EEEEDaS1H_S1I_EUlS1H_E_NS1_11comp_targetILNS1_3genE2ELNS1_11target_archE906ELNS1_3gpuE6ELNS1_3repE0EEENS1_30default_config_static_selectorELNS0_4arch9wavefront6targetE0EEEvSV_,@function
_ZN7rocprim17ROCPRIM_400000_NS6detail17trampoline_kernelINS0_13select_configILj256ELj13ELNS0_17block_load_methodE3ELS4_3ELS4_3ELNS0_20block_scan_algorithmE0ELj4294967295EEENS1_25partition_config_selectorILNS1_17partition_subalgoE3EjNS0_10empty_typeEbEEZZNS1_14partition_implILS8_3ELb0ES6_jNS0_17counting_iteratorIjlEEPS9_SE_NS0_5tupleIJPjSE_EEENSF_IJSE_SE_EEES9_SG_JZNS1_25segmented_radix_sort_implINS0_14default_configELb1EPKlPlSM_SN_N2at6native12_GLOBAL__N_18offset_tEEE10hipError_tPvRmT1_PNSt15iterator_traitsISV_E10value_typeET2_T3_PNSW_IS11_E10value_typeET4_jRbjT5_S17_jjP12ihipStream_tbEUljE_EEESS_ST_SU_S11_S15_S17_T6_T7_T9_mT8_S19_bDpT10_ENKUlT_T0_E_clISt17integral_constantIbLb1EES1L_IbLb0EEEEDaS1H_S1I_EUlS1H_E_NS1_11comp_targetILNS1_3genE2ELNS1_11target_archE906ELNS1_3gpuE6ELNS1_3repE0EEENS1_30default_config_static_selectorELNS0_4arch9wavefront6targetE0EEEvSV_: ; @_ZN7rocprim17ROCPRIM_400000_NS6detail17trampoline_kernelINS0_13select_configILj256ELj13ELNS0_17block_load_methodE3ELS4_3ELS4_3ELNS0_20block_scan_algorithmE0ELj4294967295EEENS1_25partition_config_selectorILNS1_17partition_subalgoE3EjNS0_10empty_typeEbEEZZNS1_14partition_implILS8_3ELb0ES6_jNS0_17counting_iteratorIjlEEPS9_SE_NS0_5tupleIJPjSE_EEENSF_IJSE_SE_EEES9_SG_JZNS1_25segmented_radix_sort_implINS0_14default_configELb1EPKlPlSM_SN_N2at6native12_GLOBAL__N_18offset_tEEE10hipError_tPvRmT1_PNSt15iterator_traitsISV_E10value_typeET2_T3_PNSW_IS11_E10value_typeET4_jRbjT5_S17_jjP12ihipStream_tbEUljE_EEESS_ST_SU_S11_S15_S17_T6_T7_T9_mT8_S19_bDpT10_ENKUlT_T0_E_clISt17integral_constantIbLb1EES1L_IbLb0EEEEDaS1H_S1I_EUlS1H_E_NS1_11comp_targetILNS1_3genE2ELNS1_11target_archE906ELNS1_3gpuE6ELNS1_3repE0EEENS1_30default_config_static_selectorELNS0_4arch9wavefront6targetE0EEEvSV_
; %bb.0:
	.section	.rodata,"a",@progbits
	.p2align	6, 0x0
	.amdhsa_kernel _ZN7rocprim17ROCPRIM_400000_NS6detail17trampoline_kernelINS0_13select_configILj256ELj13ELNS0_17block_load_methodE3ELS4_3ELS4_3ELNS0_20block_scan_algorithmE0ELj4294967295EEENS1_25partition_config_selectorILNS1_17partition_subalgoE3EjNS0_10empty_typeEbEEZZNS1_14partition_implILS8_3ELb0ES6_jNS0_17counting_iteratorIjlEEPS9_SE_NS0_5tupleIJPjSE_EEENSF_IJSE_SE_EEES9_SG_JZNS1_25segmented_radix_sort_implINS0_14default_configELb1EPKlPlSM_SN_N2at6native12_GLOBAL__N_18offset_tEEE10hipError_tPvRmT1_PNSt15iterator_traitsISV_E10value_typeET2_T3_PNSW_IS11_E10value_typeET4_jRbjT5_S17_jjP12ihipStream_tbEUljE_EEESS_ST_SU_S11_S15_S17_T6_T7_T9_mT8_S19_bDpT10_ENKUlT_T0_E_clISt17integral_constantIbLb1EES1L_IbLb0EEEEDaS1H_S1I_EUlS1H_E_NS1_11comp_targetILNS1_3genE2ELNS1_11target_archE906ELNS1_3gpuE6ELNS1_3repE0EEENS1_30default_config_static_selectorELNS0_4arch9wavefront6targetE0EEEvSV_
		.amdhsa_group_segment_fixed_size 0
		.amdhsa_private_segment_fixed_size 0
		.amdhsa_kernarg_size 144
		.amdhsa_user_sgpr_count 2
		.amdhsa_user_sgpr_dispatch_ptr 0
		.amdhsa_user_sgpr_queue_ptr 0
		.amdhsa_user_sgpr_kernarg_segment_ptr 1
		.amdhsa_user_sgpr_dispatch_id 0
		.amdhsa_user_sgpr_kernarg_preload_length 0
		.amdhsa_user_sgpr_kernarg_preload_offset 0
		.amdhsa_user_sgpr_private_segment_size 0
		.amdhsa_wavefront_size32 1
		.amdhsa_uses_dynamic_stack 0
		.amdhsa_enable_private_segment 0
		.amdhsa_system_sgpr_workgroup_id_x 1
		.amdhsa_system_sgpr_workgroup_id_y 0
		.amdhsa_system_sgpr_workgroup_id_z 0
		.amdhsa_system_sgpr_workgroup_info 0
		.amdhsa_system_vgpr_workitem_id 0
		.amdhsa_next_free_vgpr 1
		.amdhsa_next_free_sgpr 1
		.amdhsa_named_barrier_count 0
		.amdhsa_reserve_vcc 0
		.amdhsa_float_round_mode_32 0
		.amdhsa_float_round_mode_16_64 0
		.amdhsa_float_denorm_mode_32 3
		.amdhsa_float_denorm_mode_16_64 3
		.amdhsa_fp16_overflow 0
		.amdhsa_memory_ordered 1
		.amdhsa_forward_progress 1
		.amdhsa_inst_pref_size 0
		.amdhsa_round_robin_scheduling 0
		.amdhsa_exception_fp_ieee_invalid_op 0
		.amdhsa_exception_fp_denorm_src 0
		.amdhsa_exception_fp_ieee_div_zero 0
		.amdhsa_exception_fp_ieee_overflow 0
		.amdhsa_exception_fp_ieee_underflow 0
		.amdhsa_exception_fp_ieee_inexact 0
		.amdhsa_exception_int_div_zero 0
	.end_amdhsa_kernel
	.section	.text._ZN7rocprim17ROCPRIM_400000_NS6detail17trampoline_kernelINS0_13select_configILj256ELj13ELNS0_17block_load_methodE3ELS4_3ELS4_3ELNS0_20block_scan_algorithmE0ELj4294967295EEENS1_25partition_config_selectorILNS1_17partition_subalgoE3EjNS0_10empty_typeEbEEZZNS1_14partition_implILS8_3ELb0ES6_jNS0_17counting_iteratorIjlEEPS9_SE_NS0_5tupleIJPjSE_EEENSF_IJSE_SE_EEES9_SG_JZNS1_25segmented_radix_sort_implINS0_14default_configELb1EPKlPlSM_SN_N2at6native12_GLOBAL__N_18offset_tEEE10hipError_tPvRmT1_PNSt15iterator_traitsISV_E10value_typeET2_T3_PNSW_IS11_E10value_typeET4_jRbjT5_S17_jjP12ihipStream_tbEUljE_EEESS_ST_SU_S11_S15_S17_T6_T7_T9_mT8_S19_bDpT10_ENKUlT_T0_E_clISt17integral_constantIbLb1EES1L_IbLb0EEEEDaS1H_S1I_EUlS1H_E_NS1_11comp_targetILNS1_3genE2ELNS1_11target_archE906ELNS1_3gpuE6ELNS1_3repE0EEENS1_30default_config_static_selectorELNS0_4arch9wavefront6targetE0EEEvSV_,"axG",@progbits,_ZN7rocprim17ROCPRIM_400000_NS6detail17trampoline_kernelINS0_13select_configILj256ELj13ELNS0_17block_load_methodE3ELS4_3ELS4_3ELNS0_20block_scan_algorithmE0ELj4294967295EEENS1_25partition_config_selectorILNS1_17partition_subalgoE3EjNS0_10empty_typeEbEEZZNS1_14partition_implILS8_3ELb0ES6_jNS0_17counting_iteratorIjlEEPS9_SE_NS0_5tupleIJPjSE_EEENSF_IJSE_SE_EEES9_SG_JZNS1_25segmented_radix_sort_implINS0_14default_configELb1EPKlPlSM_SN_N2at6native12_GLOBAL__N_18offset_tEEE10hipError_tPvRmT1_PNSt15iterator_traitsISV_E10value_typeET2_T3_PNSW_IS11_E10value_typeET4_jRbjT5_S17_jjP12ihipStream_tbEUljE_EEESS_ST_SU_S11_S15_S17_T6_T7_T9_mT8_S19_bDpT10_ENKUlT_T0_E_clISt17integral_constantIbLb1EES1L_IbLb0EEEEDaS1H_S1I_EUlS1H_E_NS1_11comp_targetILNS1_3genE2ELNS1_11target_archE906ELNS1_3gpuE6ELNS1_3repE0EEENS1_30default_config_static_selectorELNS0_4arch9wavefront6targetE0EEEvSV_,comdat
.Lfunc_end688:
	.size	_ZN7rocprim17ROCPRIM_400000_NS6detail17trampoline_kernelINS0_13select_configILj256ELj13ELNS0_17block_load_methodE3ELS4_3ELS4_3ELNS0_20block_scan_algorithmE0ELj4294967295EEENS1_25partition_config_selectorILNS1_17partition_subalgoE3EjNS0_10empty_typeEbEEZZNS1_14partition_implILS8_3ELb0ES6_jNS0_17counting_iteratorIjlEEPS9_SE_NS0_5tupleIJPjSE_EEENSF_IJSE_SE_EEES9_SG_JZNS1_25segmented_radix_sort_implINS0_14default_configELb1EPKlPlSM_SN_N2at6native12_GLOBAL__N_18offset_tEEE10hipError_tPvRmT1_PNSt15iterator_traitsISV_E10value_typeET2_T3_PNSW_IS11_E10value_typeET4_jRbjT5_S17_jjP12ihipStream_tbEUljE_EEESS_ST_SU_S11_S15_S17_T6_T7_T9_mT8_S19_bDpT10_ENKUlT_T0_E_clISt17integral_constantIbLb1EES1L_IbLb0EEEEDaS1H_S1I_EUlS1H_E_NS1_11comp_targetILNS1_3genE2ELNS1_11target_archE906ELNS1_3gpuE6ELNS1_3repE0EEENS1_30default_config_static_selectorELNS0_4arch9wavefront6targetE0EEEvSV_, .Lfunc_end688-_ZN7rocprim17ROCPRIM_400000_NS6detail17trampoline_kernelINS0_13select_configILj256ELj13ELNS0_17block_load_methodE3ELS4_3ELS4_3ELNS0_20block_scan_algorithmE0ELj4294967295EEENS1_25partition_config_selectorILNS1_17partition_subalgoE3EjNS0_10empty_typeEbEEZZNS1_14partition_implILS8_3ELb0ES6_jNS0_17counting_iteratorIjlEEPS9_SE_NS0_5tupleIJPjSE_EEENSF_IJSE_SE_EEES9_SG_JZNS1_25segmented_radix_sort_implINS0_14default_configELb1EPKlPlSM_SN_N2at6native12_GLOBAL__N_18offset_tEEE10hipError_tPvRmT1_PNSt15iterator_traitsISV_E10value_typeET2_T3_PNSW_IS11_E10value_typeET4_jRbjT5_S17_jjP12ihipStream_tbEUljE_EEESS_ST_SU_S11_S15_S17_T6_T7_T9_mT8_S19_bDpT10_ENKUlT_T0_E_clISt17integral_constantIbLb1EES1L_IbLb0EEEEDaS1H_S1I_EUlS1H_E_NS1_11comp_targetILNS1_3genE2ELNS1_11target_archE906ELNS1_3gpuE6ELNS1_3repE0EEENS1_30default_config_static_selectorELNS0_4arch9wavefront6targetE0EEEvSV_
                                        ; -- End function
	.set _ZN7rocprim17ROCPRIM_400000_NS6detail17trampoline_kernelINS0_13select_configILj256ELj13ELNS0_17block_load_methodE3ELS4_3ELS4_3ELNS0_20block_scan_algorithmE0ELj4294967295EEENS1_25partition_config_selectorILNS1_17partition_subalgoE3EjNS0_10empty_typeEbEEZZNS1_14partition_implILS8_3ELb0ES6_jNS0_17counting_iteratorIjlEEPS9_SE_NS0_5tupleIJPjSE_EEENSF_IJSE_SE_EEES9_SG_JZNS1_25segmented_radix_sort_implINS0_14default_configELb1EPKlPlSM_SN_N2at6native12_GLOBAL__N_18offset_tEEE10hipError_tPvRmT1_PNSt15iterator_traitsISV_E10value_typeET2_T3_PNSW_IS11_E10value_typeET4_jRbjT5_S17_jjP12ihipStream_tbEUljE_EEESS_ST_SU_S11_S15_S17_T6_T7_T9_mT8_S19_bDpT10_ENKUlT_T0_E_clISt17integral_constantIbLb1EES1L_IbLb0EEEEDaS1H_S1I_EUlS1H_E_NS1_11comp_targetILNS1_3genE2ELNS1_11target_archE906ELNS1_3gpuE6ELNS1_3repE0EEENS1_30default_config_static_selectorELNS0_4arch9wavefront6targetE0EEEvSV_.num_vgpr, 0
	.set _ZN7rocprim17ROCPRIM_400000_NS6detail17trampoline_kernelINS0_13select_configILj256ELj13ELNS0_17block_load_methodE3ELS4_3ELS4_3ELNS0_20block_scan_algorithmE0ELj4294967295EEENS1_25partition_config_selectorILNS1_17partition_subalgoE3EjNS0_10empty_typeEbEEZZNS1_14partition_implILS8_3ELb0ES6_jNS0_17counting_iteratorIjlEEPS9_SE_NS0_5tupleIJPjSE_EEENSF_IJSE_SE_EEES9_SG_JZNS1_25segmented_radix_sort_implINS0_14default_configELb1EPKlPlSM_SN_N2at6native12_GLOBAL__N_18offset_tEEE10hipError_tPvRmT1_PNSt15iterator_traitsISV_E10value_typeET2_T3_PNSW_IS11_E10value_typeET4_jRbjT5_S17_jjP12ihipStream_tbEUljE_EEESS_ST_SU_S11_S15_S17_T6_T7_T9_mT8_S19_bDpT10_ENKUlT_T0_E_clISt17integral_constantIbLb1EES1L_IbLb0EEEEDaS1H_S1I_EUlS1H_E_NS1_11comp_targetILNS1_3genE2ELNS1_11target_archE906ELNS1_3gpuE6ELNS1_3repE0EEENS1_30default_config_static_selectorELNS0_4arch9wavefront6targetE0EEEvSV_.num_agpr, 0
	.set _ZN7rocprim17ROCPRIM_400000_NS6detail17trampoline_kernelINS0_13select_configILj256ELj13ELNS0_17block_load_methodE3ELS4_3ELS4_3ELNS0_20block_scan_algorithmE0ELj4294967295EEENS1_25partition_config_selectorILNS1_17partition_subalgoE3EjNS0_10empty_typeEbEEZZNS1_14partition_implILS8_3ELb0ES6_jNS0_17counting_iteratorIjlEEPS9_SE_NS0_5tupleIJPjSE_EEENSF_IJSE_SE_EEES9_SG_JZNS1_25segmented_radix_sort_implINS0_14default_configELb1EPKlPlSM_SN_N2at6native12_GLOBAL__N_18offset_tEEE10hipError_tPvRmT1_PNSt15iterator_traitsISV_E10value_typeET2_T3_PNSW_IS11_E10value_typeET4_jRbjT5_S17_jjP12ihipStream_tbEUljE_EEESS_ST_SU_S11_S15_S17_T6_T7_T9_mT8_S19_bDpT10_ENKUlT_T0_E_clISt17integral_constantIbLb1EES1L_IbLb0EEEEDaS1H_S1I_EUlS1H_E_NS1_11comp_targetILNS1_3genE2ELNS1_11target_archE906ELNS1_3gpuE6ELNS1_3repE0EEENS1_30default_config_static_selectorELNS0_4arch9wavefront6targetE0EEEvSV_.numbered_sgpr, 0
	.set _ZN7rocprim17ROCPRIM_400000_NS6detail17trampoline_kernelINS0_13select_configILj256ELj13ELNS0_17block_load_methodE3ELS4_3ELS4_3ELNS0_20block_scan_algorithmE0ELj4294967295EEENS1_25partition_config_selectorILNS1_17partition_subalgoE3EjNS0_10empty_typeEbEEZZNS1_14partition_implILS8_3ELb0ES6_jNS0_17counting_iteratorIjlEEPS9_SE_NS0_5tupleIJPjSE_EEENSF_IJSE_SE_EEES9_SG_JZNS1_25segmented_radix_sort_implINS0_14default_configELb1EPKlPlSM_SN_N2at6native12_GLOBAL__N_18offset_tEEE10hipError_tPvRmT1_PNSt15iterator_traitsISV_E10value_typeET2_T3_PNSW_IS11_E10value_typeET4_jRbjT5_S17_jjP12ihipStream_tbEUljE_EEESS_ST_SU_S11_S15_S17_T6_T7_T9_mT8_S19_bDpT10_ENKUlT_T0_E_clISt17integral_constantIbLb1EES1L_IbLb0EEEEDaS1H_S1I_EUlS1H_E_NS1_11comp_targetILNS1_3genE2ELNS1_11target_archE906ELNS1_3gpuE6ELNS1_3repE0EEENS1_30default_config_static_selectorELNS0_4arch9wavefront6targetE0EEEvSV_.num_named_barrier, 0
	.set _ZN7rocprim17ROCPRIM_400000_NS6detail17trampoline_kernelINS0_13select_configILj256ELj13ELNS0_17block_load_methodE3ELS4_3ELS4_3ELNS0_20block_scan_algorithmE0ELj4294967295EEENS1_25partition_config_selectorILNS1_17partition_subalgoE3EjNS0_10empty_typeEbEEZZNS1_14partition_implILS8_3ELb0ES6_jNS0_17counting_iteratorIjlEEPS9_SE_NS0_5tupleIJPjSE_EEENSF_IJSE_SE_EEES9_SG_JZNS1_25segmented_radix_sort_implINS0_14default_configELb1EPKlPlSM_SN_N2at6native12_GLOBAL__N_18offset_tEEE10hipError_tPvRmT1_PNSt15iterator_traitsISV_E10value_typeET2_T3_PNSW_IS11_E10value_typeET4_jRbjT5_S17_jjP12ihipStream_tbEUljE_EEESS_ST_SU_S11_S15_S17_T6_T7_T9_mT8_S19_bDpT10_ENKUlT_T0_E_clISt17integral_constantIbLb1EES1L_IbLb0EEEEDaS1H_S1I_EUlS1H_E_NS1_11comp_targetILNS1_3genE2ELNS1_11target_archE906ELNS1_3gpuE6ELNS1_3repE0EEENS1_30default_config_static_selectorELNS0_4arch9wavefront6targetE0EEEvSV_.private_seg_size, 0
	.set _ZN7rocprim17ROCPRIM_400000_NS6detail17trampoline_kernelINS0_13select_configILj256ELj13ELNS0_17block_load_methodE3ELS4_3ELS4_3ELNS0_20block_scan_algorithmE0ELj4294967295EEENS1_25partition_config_selectorILNS1_17partition_subalgoE3EjNS0_10empty_typeEbEEZZNS1_14partition_implILS8_3ELb0ES6_jNS0_17counting_iteratorIjlEEPS9_SE_NS0_5tupleIJPjSE_EEENSF_IJSE_SE_EEES9_SG_JZNS1_25segmented_radix_sort_implINS0_14default_configELb1EPKlPlSM_SN_N2at6native12_GLOBAL__N_18offset_tEEE10hipError_tPvRmT1_PNSt15iterator_traitsISV_E10value_typeET2_T3_PNSW_IS11_E10value_typeET4_jRbjT5_S17_jjP12ihipStream_tbEUljE_EEESS_ST_SU_S11_S15_S17_T6_T7_T9_mT8_S19_bDpT10_ENKUlT_T0_E_clISt17integral_constantIbLb1EES1L_IbLb0EEEEDaS1H_S1I_EUlS1H_E_NS1_11comp_targetILNS1_3genE2ELNS1_11target_archE906ELNS1_3gpuE6ELNS1_3repE0EEENS1_30default_config_static_selectorELNS0_4arch9wavefront6targetE0EEEvSV_.uses_vcc, 0
	.set _ZN7rocprim17ROCPRIM_400000_NS6detail17trampoline_kernelINS0_13select_configILj256ELj13ELNS0_17block_load_methodE3ELS4_3ELS4_3ELNS0_20block_scan_algorithmE0ELj4294967295EEENS1_25partition_config_selectorILNS1_17partition_subalgoE3EjNS0_10empty_typeEbEEZZNS1_14partition_implILS8_3ELb0ES6_jNS0_17counting_iteratorIjlEEPS9_SE_NS0_5tupleIJPjSE_EEENSF_IJSE_SE_EEES9_SG_JZNS1_25segmented_radix_sort_implINS0_14default_configELb1EPKlPlSM_SN_N2at6native12_GLOBAL__N_18offset_tEEE10hipError_tPvRmT1_PNSt15iterator_traitsISV_E10value_typeET2_T3_PNSW_IS11_E10value_typeET4_jRbjT5_S17_jjP12ihipStream_tbEUljE_EEESS_ST_SU_S11_S15_S17_T6_T7_T9_mT8_S19_bDpT10_ENKUlT_T0_E_clISt17integral_constantIbLb1EES1L_IbLb0EEEEDaS1H_S1I_EUlS1H_E_NS1_11comp_targetILNS1_3genE2ELNS1_11target_archE906ELNS1_3gpuE6ELNS1_3repE0EEENS1_30default_config_static_selectorELNS0_4arch9wavefront6targetE0EEEvSV_.uses_flat_scratch, 0
	.set _ZN7rocprim17ROCPRIM_400000_NS6detail17trampoline_kernelINS0_13select_configILj256ELj13ELNS0_17block_load_methodE3ELS4_3ELS4_3ELNS0_20block_scan_algorithmE0ELj4294967295EEENS1_25partition_config_selectorILNS1_17partition_subalgoE3EjNS0_10empty_typeEbEEZZNS1_14partition_implILS8_3ELb0ES6_jNS0_17counting_iteratorIjlEEPS9_SE_NS0_5tupleIJPjSE_EEENSF_IJSE_SE_EEES9_SG_JZNS1_25segmented_radix_sort_implINS0_14default_configELb1EPKlPlSM_SN_N2at6native12_GLOBAL__N_18offset_tEEE10hipError_tPvRmT1_PNSt15iterator_traitsISV_E10value_typeET2_T3_PNSW_IS11_E10value_typeET4_jRbjT5_S17_jjP12ihipStream_tbEUljE_EEESS_ST_SU_S11_S15_S17_T6_T7_T9_mT8_S19_bDpT10_ENKUlT_T0_E_clISt17integral_constantIbLb1EES1L_IbLb0EEEEDaS1H_S1I_EUlS1H_E_NS1_11comp_targetILNS1_3genE2ELNS1_11target_archE906ELNS1_3gpuE6ELNS1_3repE0EEENS1_30default_config_static_selectorELNS0_4arch9wavefront6targetE0EEEvSV_.has_dyn_sized_stack, 0
	.set _ZN7rocprim17ROCPRIM_400000_NS6detail17trampoline_kernelINS0_13select_configILj256ELj13ELNS0_17block_load_methodE3ELS4_3ELS4_3ELNS0_20block_scan_algorithmE0ELj4294967295EEENS1_25partition_config_selectorILNS1_17partition_subalgoE3EjNS0_10empty_typeEbEEZZNS1_14partition_implILS8_3ELb0ES6_jNS0_17counting_iteratorIjlEEPS9_SE_NS0_5tupleIJPjSE_EEENSF_IJSE_SE_EEES9_SG_JZNS1_25segmented_radix_sort_implINS0_14default_configELb1EPKlPlSM_SN_N2at6native12_GLOBAL__N_18offset_tEEE10hipError_tPvRmT1_PNSt15iterator_traitsISV_E10value_typeET2_T3_PNSW_IS11_E10value_typeET4_jRbjT5_S17_jjP12ihipStream_tbEUljE_EEESS_ST_SU_S11_S15_S17_T6_T7_T9_mT8_S19_bDpT10_ENKUlT_T0_E_clISt17integral_constantIbLb1EES1L_IbLb0EEEEDaS1H_S1I_EUlS1H_E_NS1_11comp_targetILNS1_3genE2ELNS1_11target_archE906ELNS1_3gpuE6ELNS1_3repE0EEENS1_30default_config_static_selectorELNS0_4arch9wavefront6targetE0EEEvSV_.has_recursion, 0
	.set _ZN7rocprim17ROCPRIM_400000_NS6detail17trampoline_kernelINS0_13select_configILj256ELj13ELNS0_17block_load_methodE3ELS4_3ELS4_3ELNS0_20block_scan_algorithmE0ELj4294967295EEENS1_25partition_config_selectorILNS1_17partition_subalgoE3EjNS0_10empty_typeEbEEZZNS1_14partition_implILS8_3ELb0ES6_jNS0_17counting_iteratorIjlEEPS9_SE_NS0_5tupleIJPjSE_EEENSF_IJSE_SE_EEES9_SG_JZNS1_25segmented_radix_sort_implINS0_14default_configELb1EPKlPlSM_SN_N2at6native12_GLOBAL__N_18offset_tEEE10hipError_tPvRmT1_PNSt15iterator_traitsISV_E10value_typeET2_T3_PNSW_IS11_E10value_typeET4_jRbjT5_S17_jjP12ihipStream_tbEUljE_EEESS_ST_SU_S11_S15_S17_T6_T7_T9_mT8_S19_bDpT10_ENKUlT_T0_E_clISt17integral_constantIbLb1EES1L_IbLb0EEEEDaS1H_S1I_EUlS1H_E_NS1_11comp_targetILNS1_3genE2ELNS1_11target_archE906ELNS1_3gpuE6ELNS1_3repE0EEENS1_30default_config_static_selectorELNS0_4arch9wavefront6targetE0EEEvSV_.has_indirect_call, 0
	.section	.AMDGPU.csdata,"",@progbits
; Kernel info:
; codeLenInByte = 0
; TotalNumSgprs: 0
; NumVgprs: 0
; ScratchSize: 0
; MemoryBound: 0
; FloatMode: 240
; IeeeMode: 1
; LDSByteSize: 0 bytes/workgroup (compile time only)
; SGPRBlocks: 0
; VGPRBlocks: 0
; NumSGPRsForWavesPerEU: 1
; NumVGPRsForWavesPerEU: 1
; NamedBarCnt: 0
; Occupancy: 16
; WaveLimiterHint : 0
; COMPUTE_PGM_RSRC2:SCRATCH_EN: 0
; COMPUTE_PGM_RSRC2:USER_SGPR: 2
; COMPUTE_PGM_RSRC2:TRAP_HANDLER: 0
; COMPUTE_PGM_RSRC2:TGID_X_EN: 1
; COMPUTE_PGM_RSRC2:TGID_Y_EN: 0
; COMPUTE_PGM_RSRC2:TGID_Z_EN: 0
; COMPUTE_PGM_RSRC2:TIDIG_COMP_CNT: 0
	.section	.text._ZN7rocprim17ROCPRIM_400000_NS6detail17trampoline_kernelINS0_13select_configILj256ELj13ELNS0_17block_load_methodE3ELS4_3ELS4_3ELNS0_20block_scan_algorithmE0ELj4294967295EEENS1_25partition_config_selectorILNS1_17partition_subalgoE3EjNS0_10empty_typeEbEEZZNS1_14partition_implILS8_3ELb0ES6_jNS0_17counting_iteratorIjlEEPS9_SE_NS0_5tupleIJPjSE_EEENSF_IJSE_SE_EEES9_SG_JZNS1_25segmented_radix_sort_implINS0_14default_configELb1EPKlPlSM_SN_N2at6native12_GLOBAL__N_18offset_tEEE10hipError_tPvRmT1_PNSt15iterator_traitsISV_E10value_typeET2_T3_PNSW_IS11_E10value_typeET4_jRbjT5_S17_jjP12ihipStream_tbEUljE_EEESS_ST_SU_S11_S15_S17_T6_T7_T9_mT8_S19_bDpT10_ENKUlT_T0_E_clISt17integral_constantIbLb1EES1L_IbLb0EEEEDaS1H_S1I_EUlS1H_E_NS1_11comp_targetILNS1_3genE10ELNS1_11target_archE1200ELNS1_3gpuE4ELNS1_3repE0EEENS1_30default_config_static_selectorELNS0_4arch9wavefront6targetE0EEEvSV_,"axG",@progbits,_ZN7rocprim17ROCPRIM_400000_NS6detail17trampoline_kernelINS0_13select_configILj256ELj13ELNS0_17block_load_methodE3ELS4_3ELS4_3ELNS0_20block_scan_algorithmE0ELj4294967295EEENS1_25partition_config_selectorILNS1_17partition_subalgoE3EjNS0_10empty_typeEbEEZZNS1_14partition_implILS8_3ELb0ES6_jNS0_17counting_iteratorIjlEEPS9_SE_NS0_5tupleIJPjSE_EEENSF_IJSE_SE_EEES9_SG_JZNS1_25segmented_radix_sort_implINS0_14default_configELb1EPKlPlSM_SN_N2at6native12_GLOBAL__N_18offset_tEEE10hipError_tPvRmT1_PNSt15iterator_traitsISV_E10value_typeET2_T3_PNSW_IS11_E10value_typeET4_jRbjT5_S17_jjP12ihipStream_tbEUljE_EEESS_ST_SU_S11_S15_S17_T6_T7_T9_mT8_S19_bDpT10_ENKUlT_T0_E_clISt17integral_constantIbLb1EES1L_IbLb0EEEEDaS1H_S1I_EUlS1H_E_NS1_11comp_targetILNS1_3genE10ELNS1_11target_archE1200ELNS1_3gpuE4ELNS1_3repE0EEENS1_30default_config_static_selectorELNS0_4arch9wavefront6targetE0EEEvSV_,comdat
	.globl	_ZN7rocprim17ROCPRIM_400000_NS6detail17trampoline_kernelINS0_13select_configILj256ELj13ELNS0_17block_load_methodE3ELS4_3ELS4_3ELNS0_20block_scan_algorithmE0ELj4294967295EEENS1_25partition_config_selectorILNS1_17partition_subalgoE3EjNS0_10empty_typeEbEEZZNS1_14partition_implILS8_3ELb0ES6_jNS0_17counting_iteratorIjlEEPS9_SE_NS0_5tupleIJPjSE_EEENSF_IJSE_SE_EEES9_SG_JZNS1_25segmented_radix_sort_implINS0_14default_configELb1EPKlPlSM_SN_N2at6native12_GLOBAL__N_18offset_tEEE10hipError_tPvRmT1_PNSt15iterator_traitsISV_E10value_typeET2_T3_PNSW_IS11_E10value_typeET4_jRbjT5_S17_jjP12ihipStream_tbEUljE_EEESS_ST_SU_S11_S15_S17_T6_T7_T9_mT8_S19_bDpT10_ENKUlT_T0_E_clISt17integral_constantIbLb1EES1L_IbLb0EEEEDaS1H_S1I_EUlS1H_E_NS1_11comp_targetILNS1_3genE10ELNS1_11target_archE1200ELNS1_3gpuE4ELNS1_3repE0EEENS1_30default_config_static_selectorELNS0_4arch9wavefront6targetE0EEEvSV_ ; -- Begin function _ZN7rocprim17ROCPRIM_400000_NS6detail17trampoline_kernelINS0_13select_configILj256ELj13ELNS0_17block_load_methodE3ELS4_3ELS4_3ELNS0_20block_scan_algorithmE0ELj4294967295EEENS1_25partition_config_selectorILNS1_17partition_subalgoE3EjNS0_10empty_typeEbEEZZNS1_14partition_implILS8_3ELb0ES6_jNS0_17counting_iteratorIjlEEPS9_SE_NS0_5tupleIJPjSE_EEENSF_IJSE_SE_EEES9_SG_JZNS1_25segmented_radix_sort_implINS0_14default_configELb1EPKlPlSM_SN_N2at6native12_GLOBAL__N_18offset_tEEE10hipError_tPvRmT1_PNSt15iterator_traitsISV_E10value_typeET2_T3_PNSW_IS11_E10value_typeET4_jRbjT5_S17_jjP12ihipStream_tbEUljE_EEESS_ST_SU_S11_S15_S17_T6_T7_T9_mT8_S19_bDpT10_ENKUlT_T0_E_clISt17integral_constantIbLb1EES1L_IbLb0EEEEDaS1H_S1I_EUlS1H_E_NS1_11comp_targetILNS1_3genE10ELNS1_11target_archE1200ELNS1_3gpuE4ELNS1_3repE0EEENS1_30default_config_static_selectorELNS0_4arch9wavefront6targetE0EEEvSV_
	.p2align	8
	.type	_ZN7rocprim17ROCPRIM_400000_NS6detail17trampoline_kernelINS0_13select_configILj256ELj13ELNS0_17block_load_methodE3ELS4_3ELS4_3ELNS0_20block_scan_algorithmE0ELj4294967295EEENS1_25partition_config_selectorILNS1_17partition_subalgoE3EjNS0_10empty_typeEbEEZZNS1_14partition_implILS8_3ELb0ES6_jNS0_17counting_iteratorIjlEEPS9_SE_NS0_5tupleIJPjSE_EEENSF_IJSE_SE_EEES9_SG_JZNS1_25segmented_radix_sort_implINS0_14default_configELb1EPKlPlSM_SN_N2at6native12_GLOBAL__N_18offset_tEEE10hipError_tPvRmT1_PNSt15iterator_traitsISV_E10value_typeET2_T3_PNSW_IS11_E10value_typeET4_jRbjT5_S17_jjP12ihipStream_tbEUljE_EEESS_ST_SU_S11_S15_S17_T6_T7_T9_mT8_S19_bDpT10_ENKUlT_T0_E_clISt17integral_constantIbLb1EES1L_IbLb0EEEEDaS1H_S1I_EUlS1H_E_NS1_11comp_targetILNS1_3genE10ELNS1_11target_archE1200ELNS1_3gpuE4ELNS1_3repE0EEENS1_30default_config_static_selectorELNS0_4arch9wavefront6targetE0EEEvSV_,@function
_ZN7rocprim17ROCPRIM_400000_NS6detail17trampoline_kernelINS0_13select_configILj256ELj13ELNS0_17block_load_methodE3ELS4_3ELS4_3ELNS0_20block_scan_algorithmE0ELj4294967295EEENS1_25partition_config_selectorILNS1_17partition_subalgoE3EjNS0_10empty_typeEbEEZZNS1_14partition_implILS8_3ELb0ES6_jNS0_17counting_iteratorIjlEEPS9_SE_NS0_5tupleIJPjSE_EEENSF_IJSE_SE_EEES9_SG_JZNS1_25segmented_radix_sort_implINS0_14default_configELb1EPKlPlSM_SN_N2at6native12_GLOBAL__N_18offset_tEEE10hipError_tPvRmT1_PNSt15iterator_traitsISV_E10value_typeET2_T3_PNSW_IS11_E10value_typeET4_jRbjT5_S17_jjP12ihipStream_tbEUljE_EEESS_ST_SU_S11_S15_S17_T6_T7_T9_mT8_S19_bDpT10_ENKUlT_T0_E_clISt17integral_constantIbLb1EES1L_IbLb0EEEEDaS1H_S1I_EUlS1H_E_NS1_11comp_targetILNS1_3genE10ELNS1_11target_archE1200ELNS1_3gpuE4ELNS1_3repE0EEENS1_30default_config_static_selectorELNS0_4arch9wavefront6targetE0EEEvSV_: ; @_ZN7rocprim17ROCPRIM_400000_NS6detail17trampoline_kernelINS0_13select_configILj256ELj13ELNS0_17block_load_methodE3ELS4_3ELS4_3ELNS0_20block_scan_algorithmE0ELj4294967295EEENS1_25partition_config_selectorILNS1_17partition_subalgoE3EjNS0_10empty_typeEbEEZZNS1_14partition_implILS8_3ELb0ES6_jNS0_17counting_iteratorIjlEEPS9_SE_NS0_5tupleIJPjSE_EEENSF_IJSE_SE_EEES9_SG_JZNS1_25segmented_radix_sort_implINS0_14default_configELb1EPKlPlSM_SN_N2at6native12_GLOBAL__N_18offset_tEEE10hipError_tPvRmT1_PNSt15iterator_traitsISV_E10value_typeET2_T3_PNSW_IS11_E10value_typeET4_jRbjT5_S17_jjP12ihipStream_tbEUljE_EEESS_ST_SU_S11_S15_S17_T6_T7_T9_mT8_S19_bDpT10_ENKUlT_T0_E_clISt17integral_constantIbLb1EES1L_IbLb0EEEEDaS1H_S1I_EUlS1H_E_NS1_11comp_targetILNS1_3genE10ELNS1_11target_archE1200ELNS1_3gpuE4ELNS1_3repE0EEENS1_30default_config_static_selectorELNS0_4arch9wavefront6targetE0EEEvSV_
; %bb.0:
	.section	.rodata,"a",@progbits
	.p2align	6, 0x0
	.amdhsa_kernel _ZN7rocprim17ROCPRIM_400000_NS6detail17trampoline_kernelINS0_13select_configILj256ELj13ELNS0_17block_load_methodE3ELS4_3ELS4_3ELNS0_20block_scan_algorithmE0ELj4294967295EEENS1_25partition_config_selectorILNS1_17partition_subalgoE3EjNS0_10empty_typeEbEEZZNS1_14partition_implILS8_3ELb0ES6_jNS0_17counting_iteratorIjlEEPS9_SE_NS0_5tupleIJPjSE_EEENSF_IJSE_SE_EEES9_SG_JZNS1_25segmented_radix_sort_implINS0_14default_configELb1EPKlPlSM_SN_N2at6native12_GLOBAL__N_18offset_tEEE10hipError_tPvRmT1_PNSt15iterator_traitsISV_E10value_typeET2_T3_PNSW_IS11_E10value_typeET4_jRbjT5_S17_jjP12ihipStream_tbEUljE_EEESS_ST_SU_S11_S15_S17_T6_T7_T9_mT8_S19_bDpT10_ENKUlT_T0_E_clISt17integral_constantIbLb1EES1L_IbLb0EEEEDaS1H_S1I_EUlS1H_E_NS1_11comp_targetILNS1_3genE10ELNS1_11target_archE1200ELNS1_3gpuE4ELNS1_3repE0EEENS1_30default_config_static_selectorELNS0_4arch9wavefront6targetE0EEEvSV_
		.amdhsa_group_segment_fixed_size 0
		.amdhsa_private_segment_fixed_size 0
		.amdhsa_kernarg_size 144
		.amdhsa_user_sgpr_count 2
		.amdhsa_user_sgpr_dispatch_ptr 0
		.amdhsa_user_sgpr_queue_ptr 0
		.amdhsa_user_sgpr_kernarg_segment_ptr 1
		.amdhsa_user_sgpr_dispatch_id 0
		.amdhsa_user_sgpr_kernarg_preload_length 0
		.amdhsa_user_sgpr_kernarg_preload_offset 0
		.amdhsa_user_sgpr_private_segment_size 0
		.amdhsa_wavefront_size32 1
		.amdhsa_uses_dynamic_stack 0
		.amdhsa_enable_private_segment 0
		.amdhsa_system_sgpr_workgroup_id_x 1
		.amdhsa_system_sgpr_workgroup_id_y 0
		.amdhsa_system_sgpr_workgroup_id_z 0
		.amdhsa_system_sgpr_workgroup_info 0
		.amdhsa_system_vgpr_workitem_id 0
		.amdhsa_next_free_vgpr 1
		.amdhsa_next_free_sgpr 1
		.amdhsa_named_barrier_count 0
		.amdhsa_reserve_vcc 0
		.amdhsa_float_round_mode_32 0
		.amdhsa_float_round_mode_16_64 0
		.amdhsa_float_denorm_mode_32 3
		.amdhsa_float_denorm_mode_16_64 3
		.amdhsa_fp16_overflow 0
		.amdhsa_memory_ordered 1
		.amdhsa_forward_progress 1
		.amdhsa_inst_pref_size 0
		.amdhsa_round_robin_scheduling 0
		.amdhsa_exception_fp_ieee_invalid_op 0
		.amdhsa_exception_fp_denorm_src 0
		.amdhsa_exception_fp_ieee_div_zero 0
		.amdhsa_exception_fp_ieee_overflow 0
		.amdhsa_exception_fp_ieee_underflow 0
		.amdhsa_exception_fp_ieee_inexact 0
		.amdhsa_exception_int_div_zero 0
	.end_amdhsa_kernel
	.section	.text._ZN7rocprim17ROCPRIM_400000_NS6detail17trampoline_kernelINS0_13select_configILj256ELj13ELNS0_17block_load_methodE3ELS4_3ELS4_3ELNS0_20block_scan_algorithmE0ELj4294967295EEENS1_25partition_config_selectorILNS1_17partition_subalgoE3EjNS0_10empty_typeEbEEZZNS1_14partition_implILS8_3ELb0ES6_jNS0_17counting_iteratorIjlEEPS9_SE_NS0_5tupleIJPjSE_EEENSF_IJSE_SE_EEES9_SG_JZNS1_25segmented_radix_sort_implINS0_14default_configELb1EPKlPlSM_SN_N2at6native12_GLOBAL__N_18offset_tEEE10hipError_tPvRmT1_PNSt15iterator_traitsISV_E10value_typeET2_T3_PNSW_IS11_E10value_typeET4_jRbjT5_S17_jjP12ihipStream_tbEUljE_EEESS_ST_SU_S11_S15_S17_T6_T7_T9_mT8_S19_bDpT10_ENKUlT_T0_E_clISt17integral_constantIbLb1EES1L_IbLb0EEEEDaS1H_S1I_EUlS1H_E_NS1_11comp_targetILNS1_3genE10ELNS1_11target_archE1200ELNS1_3gpuE4ELNS1_3repE0EEENS1_30default_config_static_selectorELNS0_4arch9wavefront6targetE0EEEvSV_,"axG",@progbits,_ZN7rocprim17ROCPRIM_400000_NS6detail17trampoline_kernelINS0_13select_configILj256ELj13ELNS0_17block_load_methodE3ELS4_3ELS4_3ELNS0_20block_scan_algorithmE0ELj4294967295EEENS1_25partition_config_selectorILNS1_17partition_subalgoE3EjNS0_10empty_typeEbEEZZNS1_14partition_implILS8_3ELb0ES6_jNS0_17counting_iteratorIjlEEPS9_SE_NS0_5tupleIJPjSE_EEENSF_IJSE_SE_EEES9_SG_JZNS1_25segmented_radix_sort_implINS0_14default_configELb1EPKlPlSM_SN_N2at6native12_GLOBAL__N_18offset_tEEE10hipError_tPvRmT1_PNSt15iterator_traitsISV_E10value_typeET2_T3_PNSW_IS11_E10value_typeET4_jRbjT5_S17_jjP12ihipStream_tbEUljE_EEESS_ST_SU_S11_S15_S17_T6_T7_T9_mT8_S19_bDpT10_ENKUlT_T0_E_clISt17integral_constantIbLb1EES1L_IbLb0EEEEDaS1H_S1I_EUlS1H_E_NS1_11comp_targetILNS1_3genE10ELNS1_11target_archE1200ELNS1_3gpuE4ELNS1_3repE0EEENS1_30default_config_static_selectorELNS0_4arch9wavefront6targetE0EEEvSV_,comdat
.Lfunc_end689:
	.size	_ZN7rocprim17ROCPRIM_400000_NS6detail17trampoline_kernelINS0_13select_configILj256ELj13ELNS0_17block_load_methodE3ELS4_3ELS4_3ELNS0_20block_scan_algorithmE0ELj4294967295EEENS1_25partition_config_selectorILNS1_17partition_subalgoE3EjNS0_10empty_typeEbEEZZNS1_14partition_implILS8_3ELb0ES6_jNS0_17counting_iteratorIjlEEPS9_SE_NS0_5tupleIJPjSE_EEENSF_IJSE_SE_EEES9_SG_JZNS1_25segmented_radix_sort_implINS0_14default_configELb1EPKlPlSM_SN_N2at6native12_GLOBAL__N_18offset_tEEE10hipError_tPvRmT1_PNSt15iterator_traitsISV_E10value_typeET2_T3_PNSW_IS11_E10value_typeET4_jRbjT5_S17_jjP12ihipStream_tbEUljE_EEESS_ST_SU_S11_S15_S17_T6_T7_T9_mT8_S19_bDpT10_ENKUlT_T0_E_clISt17integral_constantIbLb1EES1L_IbLb0EEEEDaS1H_S1I_EUlS1H_E_NS1_11comp_targetILNS1_3genE10ELNS1_11target_archE1200ELNS1_3gpuE4ELNS1_3repE0EEENS1_30default_config_static_selectorELNS0_4arch9wavefront6targetE0EEEvSV_, .Lfunc_end689-_ZN7rocprim17ROCPRIM_400000_NS6detail17trampoline_kernelINS0_13select_configILj256ELj13ELNS0_17block_load_methodE3ELS4_3ELS4_3ELNS0_20block_scan_algorithmE0ELj4294967295EEENS1_25partition_config_selectorILNS1_17partition_subalgoE3EjNS0_10empty_typeEbEEZZNS1_14partition_implILS8_3ELb0ES6_jNS0_17counting_iteratorIjlEEPS9_SE_NS0_5tupleIJPjSE_EEENSF_IJSE_SE_EEES9_SG_JZNS1_25segmented_radix_sort_implINS0_14default_configELb1EPKlPlSM_SN_N2at6native12_GLOBAL__N_18offset_tEEE10hipError_tPvRmT1_PNSt15iterator_traitsISV_E10value_typeET2_T3_PNSW_IS11_E10value_typeET4_jRbjT5_S17_jjP12ihipStream_tbEUljE_EEESS_ST_SU_S11_S15_S17_T6_T7_T9_mT8_S19_bDpT10_ENKUlT_T0_E_clISt17integral_constantIbLb1EES1L_IbLb0EEEEDaS1H_S1I_EUlS1H_E_NS1_11comp_targetILNS1_3genE10ELNS1_11target_archE1200ELNS1_3gpuE4ELNS1_3repE0EEENS1_30default_config_static_selectorELNS0_4arch9wavefront6targetE0EEEvSV_
                                        ; -- End function
	.set _ZN7rocprim17ROCPRIM_400000_NS6detail17trampoline_kernelINS0_13select_configILj256ELj13ELNS0_17block_load_methodE3ELS4_3ELS4_3ELNS0_20block_scan_algorithmE0ELj4294967295EEENS1_25partition_config_selectorILNS1_17partition_subalgoE3EjNS0_10empty_typeEbEEZZNS1_14partition_implILS8_3ELb0ES6_jNS0_17counting_iteratorIjlEEPS9_SE_NS0_5tupleIJPjSE_EEENSF_IJSE_SE_EEES9_SG_JZNS1_25segmented_radix_sort_implINS0_14default_configELb1EPKlPlSM_SN_N2at6native12_GLOBAL__N_18offset_tEEE10hipError_tPvRmT1_PNSt15iterator_traitsISV_E10value_typeET2_T3_PNSW_IS11_E10value_typeET4_jRbjT5_S17_jjP12ihipStream_tbEUljE_EEESS_ST_SU_S11_S15_S17_T6_T7_T9_mT8_S19_bDpT10_ENKUlT_T0_E_clISt17integral_constantIbLb1EES1L_IbLb0EEEEDaS1H_S1I_EUlS1H_E_NS1_11comp_targetILNS1_3genE10ELNS1_11target_archE1200ELNS1_3gpuE4ELNS1_3repE0EEENS1_30default_config_static_selectorELNS0_4arch9wavefront6targetE0EEEvSV_.num_vgpr, 0
	.set _ZN7rocprim17ROCPRIM_400000_NS6detail17trampoline_kernelINS0_13select_configILj256ELj13ELNS0_17block_load_methodE3ELS4_3ELS4_3ELNS0_20block_scan_algorithmE0ELj4294967295EEENS1_25partition_config_selectorILNS1_17partition_subalgoE3EjNS0_10empty_typeEbEEZZNS1_14partition_implILS8_3ELb0ES6_jNS0_17counting_iteratorIjlEEPS9_SE_NS0_5tupleIJPjSE_EEENSF_IJSE_SE_EEES9_SG_JZNS1_25segmented_radix_sort_implINS0_14default_configELb1EPKlPlSM_SN_N2at6native12_GLOBAL__N_18offset_tEEE10hipError_tPvRmT1_PNSt15iterator_traitsISV_E10value_typeET2_T3_PNSW_IS11_E10value_typeET4_jRbjT5_S17_jjP12ihipStream_tbEUljE_EEESS_ST_SU_S11_S15_S17_T6_T7_T9_mT8_S19_bDpT10_ENKUlT_T0_E_clISt17integral_constantIbLb1EES1L_IbLb0EEEEDaS1H_S1I_EUlS1H_E_NS1_11comp_targetILNS1_3genE10ELNS1_11target_archE1200ELNS1_3gpuE4ELNS1_3repE0EEENS1_30default_config_static_selectorELNS0_4arch9wavefront6targetE0EEEvSV_.num_agpr, 0
	.set _ZN7rocprim17ROCPRIM_400000_NS6detail17trampoline_kernelINS0_13select_configILj256ELj13ELNS0_17block_load_methodE3ELS4_3ELS4_3ELNS0_20block_scan_algorithmE0ELj4294967295EEENS1_25partition_config_selectorILNS1_17partition_subalgoE3EjNS0_10empty_typeEbEEZZNS1_14partition_implILS8_3ELb0ES6_jNS0_17counting_iteratorIjlEEPS9_SE_NS0_5tupleIJPjSE_EEENSF_IJSE_SE_EEES9_SG_JZNS1_25segmented_radix_sort_implINS0_14default_configELb1EPKlPlSM_SN_N2at6native12_GLOBAL__N_18offset_tEEE10hipError_tPvRmT1_PNSt15iterator_traitsISV_E10value_typeET2_T3_PNSW_IS11_E10value_typeET4_jRbjT5_S17_jjP12ihipStream_tbEUljE_EEESS_ST_SU_S11_S15_S17_T6_T7_T9_mT8_S19_bDpT10_ENKUlT_T0_E_clISt17integral_constantIbLb1EES1L_IbLb0EEEEDaS1H_S1I_EUlS1H_E_NS1_11comp_targetILNS1_3genE10ELNS1_11target_archE1200ELNS1_3gpuE4ELNS1_3repE0EEENS1_30default_config_static_selectorELNS0_4arch9wavefront6targetE0EEEvSV_.numbered_sgpr, 0
	.set _ZN7rocprim17ROCPRIM_400000_NS6detail17trampoline_kernelINS0_13select_configILj256ELj13ELNS0_17block_load_methodE3ELS4_3ELS4_3ELNS0_20block_scan_algorithmE0ELj4294967295EEENS1_25partition_config_selectorILNS1_17partition_subalgoE3EjNS0_10empty_typeEbEEZZNS1_14partition_implILS8_3ELb0ES6_jNS0_17counting_iteratorIjlEEPS9_SE_NS0_5tupleIJPjSE_EEENSF_IJSE_SE_EEES9_SG_JZNS1_25segmented_radix_sort_implINS0_14default_configELb1EPKlPlSM_SN_N2at6native12_GLOBAL__N_18offset_tEEE10hipError_tPvRmT1_PNSt15iterator_traitsISV_E10value_typeET2_T3_PNSW_IS11_E10value_typeET4_jRbjT5_S17_jjP12ihipStream_tbEUljE_EEESS_ST_SU_S11_S15_S17_T6_T7_T9_mT8_S19_bDpT10_ENKUlT_T0_E_clISt17integral_constantIbLb1EES1L_IbLb0EEEEDaS1H_S1I_EUlS1H_E_NS1_11comp_targetILNS1_3genE10ELNS1_11target_archE1200ELNS1_3gpuE4ELNS1_3repE0EEENS1_30default_config_static_selectorELNS0_4arch9wavefront6targetE0EEEvSV_.num_named_barrier, 0
	.set _ZN7rocprim17ROCPRIM_400000_NS6detail17trampoline_kernelINS0_13select_configILj256ELj13ELNS0_17block_load_methodE3ELS4_3ELS4_3ELNS0_20block_scan_algorithmE0ELj4294967295EEENS1_25partition_config_selectorILNS1_17partition_subalgoE3EjNS0_10empty_typeEbEEZZNS1_14partition_implILS8_3ELb0ES6_jNS0_17counting_iteratorIjlEEPS9_SE_NS0_5tupleIJPjSE_EEENSF_IJSE_SE_EEES9_SG_JZNS1_25segmented_radix_sort_implINS0_14default_configELb1EPKlPlSM_SN_N2at6native12_GLOBAL__N_18offset_tEEE10hipError_tPvRmT1_PNSt15iterator_traitsISV_E10value_typeET2_T3_PNSW_IS11_E10value_typeET4_jRbjT5_S17_jjP12ihipStream_tbEUljE_EEESS_ST_SU_S11_S15_S17_T6_T7_T9_mT8_S19_bDpT10_ENKUlT_T0_E_clISt17integral_constantIbLb1EES1L_IbLb0EEEEDaS1H_S1I_EUlS1H_E_NS1_11comp_targetILNS1_3genE10ELNS1_11target_archE1200ELNS1_3gpuE4ELNS1_3repE0EEENS1_30default_config_static_selectorELNS0_4arch9wavefront6targetE0EEEvSV_.private_seg_size, 0
	.set _ZN7rocprim17ROCPRIM_400000_NS6detail17trampoline_kernelINS0_13select_configILj256ELj13ELNS0_17block_load_methodE3ELS4_3ELS4_3ELNS0_20block_scan_algorithmE0ELj4294967295EEENS1_25partition_config_selectorILNS1_17partition_subalgoE3EjNS0_10empty_typeEbEEZZNS1_14partition_implILS8_3ELb0ES6_jNS0_17counting_iteratorIjlEEPS9_SE_NS0_5tupleIJPjSE_EEENSF_IJSE_SE_EEES9_SG_JZNS1_25segmented_radix_sort_implINS0_14default_configELb1EPKlPlSM_SN_N2at6native12_GLOBAL__N_18offset_tEEE10hipError_tPvRmT1_PNSt15iterator_traitsISV_E10value_typeET2_T3_PNSW_IS11_E10value_typeET4_jRbjT5_S17_jjP12ihipStream_tbEUljE_EEESS_ST_SU_S11_S15_S17_T6_T7_T9_mT8_S19_bDpT10_ENKUlT_T0_E_clISt17integral_constantIbLb1EES1L_IbLb0EEEEDaS1H_S1I_EUlS1H_E_NS1_11comp_targetILNS1_3genE10ELNS1_11target_archE1200ELNS1_3gpuE4ELNS1_3repE0EEENS1_30default_config_static_selectorELNS0_4arch9wavefront6targetE0EEEvSV_.uses_vcc, 0
	.set _ZN7rocprim17ROCPRIM_400000_NS6detail17trampoline_kernelINS0_13select_configILj256ELj13ELNS0_17block_load_methodE3ELS4_3ELS4_3ELNS0_20block_scan_algorithmE0ELj4294967295EEENS1_25partition_config_selectorILNS1_17partition_subalgoE3EjNS0_10empty_typeEbEEZZNS1_14partition_implILS8_3ELb0ES6_jNS0_17counting_iteratorIjlEEPS9_SE_NS0_5tupleIJPjSE_EEENSF_IJSE_SE_EEES9_SG_JZNS1_25segmented_radix_sort_implINS0_14default_configELb1EPKlPlSM_SN_N2at6native12_GLOBAL__N_18offset_tEEE10hipError_tPvRmT1_PNSt15iterator_traitsISV_E10value_typeET2_T3_PNSW_IS11_E10value_typeET4_jRbjT5_S17_jjP12ihipStream_tbEUljE_EEESS_ST_SU_S11_S15_S17_T6_T7_T9_mT8_S19_bDpT10_ENKUlT_T0_E_clISt17integral_constantIbLb1EES1L_IbLb0EEEEDaS1H_S1I_EUlS1H_E_NS1_11comp_targetILNS1_3genE10ELNS1_11target_archE1200ELNS1_3gpuE4ELNS1_3repE0EEENS1_30default_config_static_selectorELNS0_4arch9wavefront6targetE0EEEvSV_.uses_flat_scratch, 0
	.set _ZN7rocprim17ROCPRIM_400000_NS6detail17trampoline_kernelINS0_13select_configILj256ELj13ELNS0_17block_load_methodE3ELS4_3ELS4_3ELNS0_20block_scan_algorithmE0ELj4294967295EEENS1_25partition_config_selectorILNS1_17partition_subalgoE3EjNS0_10empty_typeEbEEZZNS1_14partition_implILS8_3ELb0ES6_jNS0_17counting_iteratorIjlEEPS9_SE_NS0_5tupleIJPjSE_EEENSF_IJSE_SE_EEES9_SG_JZNS1_25segmented_radix_sort_implINS0_14default_configELb1EPKlPlSM_SN_N2at6native12_GLOBAL__N_18offset_tEEE10hipError_tPvRmT1_PNSt15iterator_traitsISV_E10value_typeET2_T3_PNSW_IS11_E10value_typeET4_jRbjT5_S17_jjP12ihipStream_tbEUljE_EEESS_ST_SU_S11_S15_S17_T6_T7_T9_mT8_S19_bDpT10_ENKUlT_T0_E_clISt17integral_constantIbLb1EES1L_IbLb0EEEEDaS1H_S1I_EUlS1H_E_NS1_11comp_targetILNS1_3genE10ELNS1_11target_archE1200ELNS1_3gpuE4ELNS1_3repE0EEENS1_30default_config_static_selectorELNS0_4arch9wavefront6targetE0EEEvSV_.has_dyn_sized_stack, 0
	.set _ZN7rocprim17ROCPRIM_400000_NS6detail17trampoline_kernelINS0_13select_configILj256ELj13ELNS0_17block_load_methodE3ELS4_3ELS4_3ELNS0_20block_scan_algorithmE0ELj4294967295EEENS1_25partition_config_selectorILNS1_17partition_subalgoE3EjNS0_10empty_typeEbEEZZNS1_14partition_implILS8_3ELb0ES6_jNS0_17counting_iteratorIjlEEPS9_SE_NS0_5tupleIJPjSE_EEENSF_IJSE_SE_EEES9_SG_JZNS1_25segmented_radix_sort_implINS0_14default_configELb1EPKlPlSM_SN_N2at6native12_GLOBAL__N_18offset_tEEE10hipError_tPvRmT1_PNSt15iterator_traitsISV_E10value_typeET2_T3_PNSW_IS11_E10value_typeET4_jRbjT5_S17_jjP12ihipStream_tbEUljE_EEESS_ST_SU_S11_S15_S17_T6_T7_T9_mT8_S19_bDpT10_ENKUlT_T0_E_clISt17integral_constantIbLb1EES1L_IbLb0EEEEDaS1H_S1I_EUlS1H_E_NS1_11comp_targetILNS1_3genE10ELNS1_11target_archE1200ELNS1_3gpuE4ELNS1_3repE0EEENS1_30default_config_static_selectorELNS0_4arch9wavefront6targetE0EEEvSV_.has_recursion, 0
	.set _ZN7rocprim17ROCPRIM_400000_NS6detail17trampoline_kernelINS0_13select_configILj256ELj13ELNS0_17block_load_methodE3ELS4_3ELS4_3ELNS0_20block_scan_algorithmE0ELj4294967295EEENS1_25partition_config_selectorILNS1_17partition_subalgoE3EjNS0_10empty_typeEbEEZZNS1_14partition_implILS8_3ELb0ES6_jNS0_17counting_iteratorIjlEEPS9_SE_NS0_5tupleIJPjSE_EEENSF_IJSE_SE_EEES9_SG_JZNS1_25segmented_radix_sort_implINS0_14default_configELb1EPKlPlSM_SN_N2at6native12_GLOBAL__N_18offset_tEEE10hipError_tPvRmT1_PNSt15iterator_traitsISV_E10value_typeET2_T3_PNSW_IS11_E10value_typeET4_jRbjT5_S17_jjP12ihipStream_tbEUljE_EEESS_ST_SU_S11_S15_S17_T6_T7_T9_mT8_S19_bDpT10_ENKUlT_T0_E_clISt17integral_constantIbLb1EES1L_IbLb0EEEEDaS1H_S1I_EUlS1H_E_NS1_11comp_targetILNS1_3genE10ELNS1_11target_archE1200ELNS1_3gpuE4ELNS1_3repE0EEENS1_30default_config_static_selectorELNS0_4arch9wavefront6targetE0EEEvSV_.has_indirect_call, 0
	.section	.AMDGPU.csdata,"",@progbits
; Kernel info:
; codeLenInByte = 0
; TotalNumSgprs: 0
; NumVgprs: 0
; ScratchSize: 0
; MemoryBound: 0
; FloatMode: 240
; IeeeMode: 1
; LDSByteSize: 0 bytes/workgroup (compile time only)
; SGPRBlocks: 0
; VGPRBlocks: 0
; NumSGPRsForWavesPerEU: 1
; NumVGPRsForWavesPerEU: 1
; NamedBarCnt: 0
; Occupancy: 16
; WaveLimiterHint : 0
; COMPUTE_PGM_RSRC2:SCRATCH_EN: 0
; COMPUTE_PGM_RSRC2:USER_SGPR: 2
; COMPUTE_PGM_RSRC2:TRAP_HANDLER: 0
; COMPUTE_PGM_RSRC2:TGID_X_EN: 1
; COMPUTE_PGM_RSRC2:TGID_Y_EN: 0
; COMPUTE_PGM_RSRC2:TGID_Z_EN: 0
; COMPUTE_PGM_RSRC2:TIDIG_COMP_CNT: 0
	.section	.text._ZN7rocprim17ROCPRIM_400000_NS6detail17trampoline_kernelINS0_13select_configILj256ELj13ELNS0_17block_load_methodE3ELS4_3ELS4_3ELNS0_20block_scan_algorithmE0ELj4294967295EEENS1_25partition_config_selectorILNS1_17partition_subalgoE3EjNS0_10empty_typeEbEEZZNS1_14partition_implILS8_3ELb0ES6_jNS0_17counting_iteratorIjlEEPS9_SE_NS0_5tupleIJPjSE_EEENSF_IJSE_SE_EEES9_SG_JZNS1_25segmented_radix_sort_implINS0_14default_configELb1EPKlPlSM_SN_N2at6native12_GLOBAL__N_18offset_tEEE10hipError_tPvRmT1_PNSt15iterator_traitsISV_E10value_typeET2_T3_PNSW_IS11_E10value_typeET4_jRbjT5_S17_jjP12ihipStream_tbEUljE_EEESS_ST_SU_S11_S15_S17_T6_T7_T9_mT8_S19_bDpT10_ENKUlT_T0_E_clISt17integral_constantIbLb1EES1L_IbLb0EEEEDaS1H_S1I_EUlS1H_E_NS1_11comp_targetILNS1_3genE9ELNS1_11target_archE1100ELNS1_3gpuE3ELNS1_3repE0EEENS1_30default_config_static_selectorELNS0_4arch9wavefront6targetE0EEEvSV_,"axG",@progbits,_ZN7rocprim17ROCPRIM_400000_NS6detail17trampoline_kernelINS0_13select_configILj256ELj13ELNS0_17block_load_methodE3ELS4_3ELS4_3ELNS0_20block_scan_algorithmE0ELj4294967295EEENS1_25partition_config_selectorILNS1_17partition_subalgoE3EjNS0_10empty_typeEbEEZZNS1_14partition_implILS8_3ELb0ES6_jNS0_17counting_iteratorIjlEEPS9_SE_NS0_5tupleIJPjSE_EEENSF_IJSE_SE_EEES9_SG_JZNS1_25segmented_radix_sort_implINS0_14default_configELb1EPKlPlSM_SN_N2at6native12_GLOBAL__N_18offset_tEEE10hipError_tPvRmT1_PNSt15iterator_traitsISV_E10value_typeET2_T3_PNSW_IS11_E10value_typeET4_jRbjT5_S17_jjP12ihipStream_tbEUljE_EEESS_ST_SU_S11_S15_S17_T6_T7_T9_mT8_S19_bDpT10_ENKUlT_T0_E_clISt17integral_constantIbLb1EES1L_IbLb0EEEEDaS1H_S1I_EUlS1H_E_NS1_11comp_targetILNS1_3genE9ELNS1_11target_archE1100ELNS1_3gpuE3ELNS1_3repE0EEENS1_30default_config_static_selectorELNS0_4arch9wavefront6targetE0EEEvSV_,comdat
	.globl	_ZN7rocprim17ROCPRIM_400000_NS6detail17trampoline_kernelINS0_13select_configILj256ELj13ELNS0_17block_load_methodE3ELS4_3ELS4_3ELNS0_20block_scan_algorithmE0ELj4294967295EEENS1_25partition_config_selectorILNS1_17partition_subalgoE3EjNS0_10empty_typeEbEEZZNS1_14partition_implILS8_3ELb0ES6_jNS0_17counting_iteratorIjlEEPS9_SE_NS0_5tupleIJPjSE_EEENSF_IJSE_SE_EEES9_SG_JZNS1_25segmented_radix_sort_implINS0_14default_configELb1EPKlPlSM_SN_N2at6native12_GLOBAL__N_18offset_tEEE10hipError_tPvRmT1_PNSt15iterator_traitsISV_E10value_typeET2_T3_PNSW_IS11_E10value_typeET4_jRbjT5_S17_jjP12ihipStream_tbEUljE_EEESS_ST_SU_S11_S15_S17_T6_T7_T9_mT8_S19_bDpT10_ENKUlT_T0_E_clISt17integral_constantIbLb1EES1L_IbLb0EEEEDaS1H_S1I_EUlS1H_E_NS1_11comp_targetILNS1_3genE9ELNS1_11target_archE1100ELNS1_3gpuE3ELNS1_3repE0EEENS1_30default_config_static_selectorELNS0_4arch9wavefront6targetE0EEEvSV_ ; -- Begin function _ZN7rocprim17ROCPRIM_400000_NS6detail17trampoline_kernelINS0_13select_configILj256ELj13ELNS0_17block_load_methodE3ELS4_3ELS4_3ELNS0_20block_scan_algorithmE0ELj4294967295EEENS1_25partition_config_selectorILNS1_17partition_subalgoE3EjNS0_10empty_typeEbEEZZNS1_14partition_implILS8_3ELb0ES6_jNS0_17counting_iteratorIjlEEPS9_SE_NS0_5tupleIJPjSE_EEENSF_IJSE_SE_EEES9_SG_JZNS1_25segmented_radix_sort_implINS0_14default_configELb1EPKlPlSM_SN_N2at6native12_GLOBAL__N_18offset_tEEE10hipError_tPvRmT1_PNSt15iterator_traitsISV_E10value_typeET2_T3_PNSW_IS11_E10value_typeET4_jRbjT5_S17_jjP12ihipStream_tbEUljE_EEESS_ST_SU_S11_S15_S17_T6_T7_T9_mT8_S19_bDpT10_ENKUlT_T0_E_clISt17integral_constantIbLb1EES1L_IbLb0EEEEDaS1H_S1I_EUlS1H_E_NS1_11comp_targetILNS1_3genE9ELNS1_11target_archE1100ELNS1_3gpuE3ELNS1_3repE0EEENS1_30default_config_static_selectorELNS0_4arch9wavefront6targetE0EEEvSV_
	.p2align	8
	.type	_ZN7rocprim17ROCPRIM_400000_NS6detail17trampoline_kernelINS0_13select_configILj256ELj13ELNS0_17block_load_methodE3ELS4_3ELS4_3ELNS0_20block_scan_algorithmE0ELj4294967295EEENS1_25partition_config_selectorILNS1_17partition_subalgoE3EjNS0_10empty_typeEbEEZZNS1_14partition_implILS8_3ELb0ES6_jNS0_17counting_iteratorIjlEEPS9_SE_NS0_5tupleIJPjSE_EEENSF_IJSE_SE_EEES9_SG_JZNS1_25segmented_radix_sort_implINS0_14default_configELb1EPKlPlSM_SN_N2at6native12_GLOBAL__N_18offset_tEEE10hipError_tPvRmT1_PNSt15iterator_traitsISV_E10value_typeET2_T3_PNSW_IS11_E10value_typeET4_jRbjT5_S17_jjP12ihipStream_tbEUljE_EEESS_ST_SU_S11_S15_S17_T6_T7_T9_mT8_S19_bDpT10_ENKUlT_T0_E_clISt17integral_constantIbLb1EES1L_IbLb0EEEEDaS1H_S1I_EUlS1H_E_NS1_11comp_targetILNS1_3genE9ELNS1_11target_archE1100ELNS1_3gpuE3ELNS1_3repE0EEENS1_30default_config_static_selectorELNS0_4arch9wavefront6targetE0EEEvSV_,@function
_ZN7rocprim17ROCPRIM_400000_NS6detail17trampoline_kernelINS0_13select_configILj256ELj13ELNS0_17block_load_methodE3ELS4_3ELS4_3ELNS0_20block_scan_algorithmE0ELj4294967295EEENS1_25partition_config_selectorILNS1_17partition_subalgoE3EjNS0_10empty_typeEbEEZZNS1_14partition_implILS8_3ELb0ES6_jNS0_17counting_iteratorIjlEEPS9_SE_NS0_5tupleIJPjSE_EEENSF_IJSE_SE_EEES9_SG_JZNS1_25segmented_radix_sort_implINS0_14default_configELb1EPKlPlSM_SN_N2at6native12_GLOBAL__N_18offset_tEEE10hipError_tPvRmT1_PNSt15iterator_traitsISV_E10value_typeET2_T3_PNSW_IS11_E10value_typeET4_jRbjT5_S17_jjP12ihipStream_tbEUljE_EEESS_ST_SU_S11_S15_S17_T6_T7_T9_mT8_S19_bDpT10_ENKUlT_T0_E_clISt17integral_constantIbLb1EES1L_IbLb0EEEEDaS1H_S1I_EUlS1H_E_NS1_11comp_targetILNS1_3genE9ELNS1_11target_archE1100ELNS1_3gpuE3ELNS1_3repE0EEENS1_30default_config_static_selectorELNS0_4arch9wavefront6targetE0EEEvSV_: ; @_ZN7rocprim17ROCPRIM_400000_NS6detail17trampoline_kernelINS0_13select_configILj256ELj13ELNS0_17block_load_methodE3ELS4_3ELS4_3ELNS0_20block_scan_algorithmE0ELj4294967295EEENS1_25partition_config_selectorILNS1_17partition_subalgoE3EjNS0_10empty_typeEbEEZZNS1_14partition_implILS8_3ELb0ES6_jNS0_17counting_iteratorIjlEEPS9_SE_NS0_5tupleIJPjSE_EEENSF_IJSE_SE_EEES9_SG_JZNS1_25segmented_radix_sort_implINS0_14default_configELb1EPKlPlSM_SN_N2at6native12_GLOBAL__N_18offset_tEEE10hipError_tPvRmT1_PNSt15iterator_traitsISV_E10value_typeET2_T3_PNSW_IS11_E10value_typeET4_jRbjT5_S17_jjP12ihipStream_tbEUljE_EEESS_ST_SU_S11_S15_S17_T6_T7_T9_mT8_S19_bDpT10_ENKUlT_T0_E_clISt17integral_constantIbLb1EES1L_IbLb0EEEEDaS1H_S1I_EUlS1H_E_NS1_11comp_targetILNS1_3genE9ELNS1_11target_archE1100ELNS1_3gpuE3ELNS1_3repE0EEENS1_30default_config_static_selectorELNS0_4arch9wavefront6targetE0EEEvSV_
; %bb.0:
	.section	.rodata,"a",@progbits
	.p2align	6, 0x0
	.amdhsa_kernel _ZN7rocprim17ROCPRIM_400000_NS6detail17trampoline_kernelINS0_13select_configILj256ELj13ELNS0_17block_load_methodE3ELS4_3ELS4_3ELNS0_20block_scan_algorithmE0ELj4294967295EEENS1_25partition_config_selectorILNS1_17partition_subalgoE3EjNS0_10empty_typeEbEEZZNS1_14partition_implILS8_3ELb0ES6_jNS0_17counting_iteratorIjlEEPS9_SE_NS0_5tupleIJPjSE_EEENSF_IJSE_SE_EEES9_SG_JZNS1_25segmented_radix_sort_implINS0_14default_configELb1EPKlPlSM_SN_N2at6native12_GLOBAL__N_18offset_tEEE10hipError_tPvRmT1_PNSt15iterator_traitsISV_E10value_typeET2_T3_PNSW_IS11_E10value_typeET4_jRbjT5_S17_jjP12ihipStream_tbEUljE_EEESS_ST_SU_S11_S15_S17_T6_T7_T9_mT8_S19_bDpT10_ENKUlT_T0_E_clISt17integral_constantIbLb1EES1L_IbLb0EEEEDaS1H_S1I_EUlS1H_E_NS1_11comp_targetILNS1_3genE9ELNS1_11target_archE1100ELNS1_3gpuE3ELNS1_3repE0EEENS1_30default_config_static_selectorELNS0_4arch9wavefront6targetE0EEEvSV_
		.amdhsa_group_segment_fixed_size 0
		.amdhsa_private_segment_fixed_size 0
		.amdhsa_kernarg_size 144
		.amdhsa_user_sgpr_count 2
		.amdhsa_user_sgpr_dispatch_ptr 0
		.amdhsa_user_sgpr_queue_ptr 0
		.amdhsa_user_sgpr_kernarg_segment_ptr 1
		.amdhsa_user_sgpr_dispatch_id 0
		.amdhsa_user_sgpr_kernarg_preload_length 0
		.amdhsa_user_sgpr_kernarg_preload_offset 0
		.amdhsa_user_sgpr_private_segment_size 0
		.amdhsa_wavefront_size32 1
		.amdhsa_uses_dynamic_stack 0
		.amdhsa_enable_private_segment 0
		.amdhsa_system_sgpr_workgroup_id_x 1
		.amdhsa_system_sgpr_workgroup_id_y 0
		.amdhsa_system_sgpr_workgroup_id_z 0
		.amdhsa_system_sgpr_workgroup_info 0
		.amdhsa_system_vgpr_workitem_id 0
		.amdhsa_next_free_vgpr 1
		.amdhsa_next_free_sgpr 1
		.amdhsa_named_barrier_count 0
		.amdhsa_reserve_vcc 0
		.amdhsa_float_round_mode_32 0
		.amdhsa_float_round_mode_16_64 0
		.amdhsa_float_denorm_mode_32 3
		.amdhsa_float_denorm_mode_16_64 3
		.amdhsa_fp16_overflow 0
		.amdhsa_memory_ordered 1
		.amdhsa_forward_progress 1
		.amdhsa_inst_pref_size 0
		.amdhsa_round_robin_scheduling 0
		.amdhsa_exception_fp_ieee_invalid_op 0
		.amdhsa_exception_fp_denorm_src 0
		.amdhsa_exception_fp_ieee_div_zero 0
		.amdhsa_exception_fp_ieee_overflow 0
		.amdhsa_exception_fp_ieee_underflow 0
		.amdhsa_exception_fp_ieee_inexact 0
		.amdhsa_exception_int_div_zero 0
	.end_amdhsa_kernel
	.section	.text._ZN7rocprim17ROCPRIM_400000_NS6detail17trampoline_kernelINS0_13select_configILj256ELj13ELNS0_17block_load_methodE3ELS4_3ELS4_3ELNS0_20block_scan_algorithmE0ELj4294967295EEENS1_25partition_config_selectorILNS1_17partition_subalgoE3EjNS0_10empty_typeEbEEZZNS1_14partition_implILS8_3ELb0ES6_jNS0_17counting_iteratorIjlEEPS9_SE_NS0_5tupleIJPjSE_EEENSF_IJSE_SE_EEES9_SG_JZNS1_25segmented_radix_sort_implINS0_14default_configELb1EPKlPlSM_SN_N2at6native12_GLOBAL__N_18offset_tEEE10hipError_tPvRmT1_PNSt15iterator_traitsISV_E10value_typeET2_T3_PNSW_IS11_E10value_typeET4_jRbjT5_S17_jjP12ihipStream_tbEUljE_EEESS_ST_SU_S11_S15_S17_T6_T7_T9_mT8_S19_bDpT10_ENKUlT_T0_E_clISt17integral_constantIbLb1EES1L_IbLb0EEEEDaS1H_S1I_EUlS1H_E_NS1_11comp_targetILNS1_3genE9ELNS1_11target_archE1100ELNS1_3gpuE3ELNS1_3repE0EEENS1_30default_config_static_selectorELNS0_4arch9wavefront6targetE0EEEvSV_,"axG",@progbits,_ZN7rocprim17ROCPRIM_400000_NS6detail17trampoline_kernelINS0_13select_configILj256ELj13ELNS0_17block_load_methodE3ELS4_3ELS4_3ELNS0_20block_scan_algorithmE0ELj4294967295EEENS1_25partition_config_selectorILNS1_17partition_subalgoE3EjNS0_10empty_typeEbEEZZNS1_14partition_implILS8_3ELb0ES6_jNS0_17counting_iteratorIjlEEPS9_SE_NS0_5tupleIJPjSE_EEENSF_IJSE_SE_EEES9_SG_JZNS1_25segmented_radix_sort_implINS0_14default_configELb1EPKlPlSM_SN_N2at6native12_GLOBAL__N_18offset_tEEE10hipError_tPvRmT1_PNSt15iterator_traitsISV_E10value_typeET2_T3_PNSW_IS11_E10value_typeET4_jRbjT5_S17_jjP12ihipStream_tbEUljE_EEESS_ST_SU_S11_S15_S17_T6_T7_T9_mT8_S19_bDpT10_ENKUlT_T0_E_clISt17integral_constantIbLb1EES1L_IbLb0EEEEDaS1H_S1I_EUlS1H_E_NS1_11comp_targetILNS1_3genE9ELNS1_11target_archE1100ELNS1_3gpuE3ELNS1_3repE0EEENS1_30default_config_static_selectorELNS0_4arch9wavefront6targetE0EEEvSV_,comdat
.Lfunc_end690:
	.size	_ZN7rocprim17ROCPRIM_400000_NS6detail17trampoline_kernelINS0_13select_configILj256ELj13ELNS0_17block_load_methodE3ELS4_3ELS4_3ELNS0_20block_scan_algorithmE0ELj4294967295EEENS1_25partition_config_selectorILNS1_17partition_subalgoE3EjNS0_10empty_typeEbEEZZNS1_14partition_implILS8_3ELb0ES6_jNS0_17counting_iteratorIjlEEPS9_SE_NS0_5tupleIJPjSE_EEENSF_IJSE_SE_EEES9_SG_JZNS1_25segmented_radix_sort_implINS0_14default_configELb1EPKlPlSM_SN_N2at6native12_GLOBAL__N_18offset_tEEE10hipError_tPvRmT1_PNSt15iterator_traitsISV_E10value_typeET2_T3_PNSW_IS11_E10value_typeET4_jRbjT5_S17_jjP12ihipStream_tbEUljE_EEESS_ST_SU_S11_S15_S17_T6_T7_T9_mT8_S19_bDpT10_ENKUlT_T0_E_clISt17integral_constantIbLb1EES1L_IbLb0EEEEDaS1H_S1I_EUlS1H_E_NS1_11comp_targetILNS1_3genE9ELNS1_11target_archE1100ELNS1_3gpuE3ELNS1_3repE0EEENS1_30default_config_static_selectorELNS0_4arch9wavefront6targetE0EEEvSV_, .Lfunc_end690-_ZN7rocprim17ROCPRIM_400000_NS6detail17trampoline_kernelINS0_13select_configILj256ELj13ELNS0_17block_load_methodE3ELS4_3ELS4_3ELNS0_20block_scan_algorithmE0ELj4294967295EEENS1_25partition_config_selectorILNS1_17partition_subalgoE3EjNS0_10empty_typeEbEEZZNS1_14partition_implILS8_3ELb0ES6_jNS0_17counting_iteratorIjlEEPS9_SE_NS0_5tupleIJPjSE_EEENSF_IJSE_SE_EEES9_SG_JZNS1_25segmented_radix_sort_implINS0_14default_configELb1EPKlPlSM_SN_N2at6native12_GLOBAL__N_18offset_tEEE10hipError_tPvRmT1_PNSt15iterator_traitsISV_E10value_typeET2_T3_PNSW_IS11_E10value_typeET4_jRbjT5_S17_jjP12ihipStream_tbEUljE_EEESS_ST_SU_S11_S15_S17_T6_T7_T9_mT8_S19_bDpT10_ENKUlT_T0_E_clISt17integral_constantIbLb1EES1L_IbLb0EEEEDaS1H_S1I_EUlS1H_E_NS1_11comp_targetILNS1_3genE9ELNS1_11target_archE1100ELNS1_3gpuE3ELNS1_3repE0EEENS1_30default_config_static_selectorELNS0_4arch9wavefront6targetE0EEEvSV_
                                        ; -- End function
	.set _ZN7rocprim17ROCPRIM_400000_NS6detail17trampoline_kernelINS0_13select_configILj256ELj13ELNS0_17block_load_methodE3ELS4_3ELS4_3ELNS0_20block_scan_algorithmE0ELj4294967295EEENS1_25partition_config_selectorILNS1_17partition_subalgoE3EjNS0_10empty_typeEbEEZZNS1_14partition_implILS8_3ELb0ES6_jNS0_17counting_iteratorIjlEEPS9_SE_NS0_5tupleIJPjSE_EEENSF_IJSE_SE_EEES9_SG_JZNS1_25segmented_radix_sort_implINS0_14default_configELb1EPKlPlSM_SN_N2at6native12_GLOBAL__N_18offset_tEEE10hipError_tPvRmT1_PNSt15iterator_traitsISV_E10value_typeET2_T3_PNSW_IS11_E10value_typeET4_jRbjT5_S17_jjP12ihipStream_tbEUljE_EEESS_ST_SU_S11_S15_S17_T6_T7_T9_mT8_S19_bDpT10_ENKUlT_T0_E_clISt17integral_constantIbLb1EES1L_IbLb0EEEEDaS1H_S1I_EUlS1H_E_NS1_11comp_targetILNS1_3genE9ELNS1_11target_archE1100ELNS1_3gpuE3ELNS1_3repE0EEENS1_30default_config_static_selectorELNS0_4arch9wavefront6targetE0EEEvSV_.num_vgpr, 0
	.set _ZN7rocprim17ROCPRIM_400000_NS6detail17trampoline_kernelINS0_13select_configILj256ELj13ELNS0_17block_load_methodE3ELS4_3ELS4_3ELNS0_20block_scan_algorithmE0ELj4294967295EEENS1_25partition_config_selectorILNS1_17partition_subalgoE3EjNS0_10empty_typeEbEEZZNS1_14partition_implILS8_3ELb0ES6_jNS0_17counting_iteratorIjlEEPS9_SE_NS0_5tupleIJPjSE_EEENSF_IJSE_SE_EEES9_SG_JZNS1_25segmented_radix_sort_implINS0_14default_configELb1EPKlPlSM_SN_N2at6native12_GLOBAL__N_18offset_tEEE10hipError_tPvRmT1_PNSt15iterator_traitsISV_E10value_typeET2_T3_PNSW_IS11_E10value_typeET4_jRbjT5_S17_jjP12ihipStream_tbEUljE_EEESS_ST_SU_S11_S15_S17_T6_T7_T9_mT8_S19_bDpT10_ENKUlT_T0_E_clISt17integral_constantIbLb1EES1L_IbLb0EEEEDaS1H_S1I_EUlS1H_E_NS1_11comp_targetILNS1_3genE9ELNS1_11target_archE1100ELNS1_3gpuE3ELNS1_3repE0EEENS1_30default_config_static_selectorELNS0_4arch9wavefront6targetE0EEEvSV_.num_agpr, 0
	.set _ZN7rocprim17ROCPRIM_400000_NS6detail17trampoline_kernelINS0_13select_configILj256ELj13ELNS0_17block_load_methodE3ELS4_3ELS4_3ELNS0_20block_scan_algorithmE0ELj4294967295EEENS1_25partition_config_selectorILNS1_17partition_subalgoE3EjNS0_10empty_typeEbEEZZNS1_14partition_implILS8_3ELb0ES6_jNS0_17counting_iteratorIjlEEPS9_SE_NS0_5tupleIJPjSE_EEENSF_IJSE_SE_EEES9_SG_JZNS1_25segmented_radix_sort_implINS0_14default_configELb1EPKlPlSM_SN_N2at6native12_GLOBAL__N_18offset_tEEE10hipError_tPvRmT1_PNSt15iterator_traitsISV_E10value_typeET2_T3_PNSW_IS11_E10value_typeET4_jRbjT5_S17_jjP12ihipStream_tbEUljE_EEESS_ST_SU_S11_S15_S17_T6_T7_T9_mT8_S19_bDpT10_ENKUlT_T0_E_clISt17integral_constantIbLb1EES1L_IbLb0EEEEDaS1H_S1I_EUlS1H_E_NS1_11comp_targetILNS1_3genE9ELNS1_11target_archE1100ELNS1_3gpuE3ELNS1_3repE0EEENS1_30default_config_static_selectorELNS0_4arch9wavefront6targetE0EEEvSV_.numbered_sgpr, 0
	.set _ZN7rocprim17ROCPRIM_400000_NS6detail17trampoline_kernelINS0_13select_configILj256ELj13ELNS0_17block_load_methodE3ELS4_3ELS4_3ELNS0_20block_scan_algorithmE0ELj4294967295EEENS1_25partition_config_selectorILNS1_17partition_subalgoE3EjNS0_10empty_typeEbEEZZNS1_14partition_implILS8_3ELb0ES6_jNS0_17counting_iteratorIjlEEPS9_SE_NS0_5tupleIJPjSE_EEENSF_IJSE_SE_EEES9_SG_JZNS1_25segmented_radix_sort_implINS0_14default_configELb1EPKlPlSM_SN_N2at6native12_GLOBAL__N_18offset_tEEE10hipError_tPvRmT1_PNSt15iterator_traitsISV_E10value_typeET2_T3_PNSW_IS11_E10value_typeET4_jRbjT5_S17_jjP12ihipStream_tbEUljE_EEESS_ST_SU_S11_S15_S17_T6_T7_T9_mT8_S19_bDpT10_ENKUlT_T0_E_clISt17integral_constantIbLb1EES1L_IbLb0EEEEDaS1H_S1I_EUlS1H_E_NS1_11comp_targetILNS1_3genE9ELNS1_11target_archE1100ELNS1_3gpuE3ELNS1_3repE0EEENS1_30default_config_static_selectorELNS0_4arch9wavefront6targetE0EEEvSV_.num_named_barrier, 0
	.set _ZN7rocprim17ROCPRIM_400000_NS6detail17trampoline_kernelINS0_13select_configILj256ELj13ELNS0_17block_load_methodE3ELS4_3ELS4_3ELNS0_20block_scan_algorithmE0ELj4294967295EEENS1_25partition_config_selectorILNS1_17partition_subalgoE3EjNS0_10empty_typeEbEEZZNS1_14partition_implILS8_3ELb0ES6_jNS0_17counting_iteratorIjlEEPS9_SE_NS0_5tupleIJPjSE_EEENSF_IJSE_SE_EEES9_SG_JZNS1_25segmented_radix_sort_implINS0_14default_configELb1EPKlPlSM_SN_N2at6native12_GLOBAL__N_18offset_tEEE10hipError_tPvRmT1_PNSt15iterator_traitsISV_E10value_typeET2_T3_PNSW_IS11_E10value_typeET4_jRbjT5_S17_jjP12ihipStream_tbEUljE_EEESS_ST_SU_S11_S15_S17_T6_T7_T9_mT8_S19_bDpT10_ENKUlT_T0_E_clISt17integral_constantIbLb1EES1L_IbLb0EEEEDaS1H_S1I_EUlS1H_E_NS1_11comp_targetILNS1_3genE9ELNS1_11target_archE1100ELNS1_3gpuE3ELNS1_3repE0EEENS1_30default_config_static_selectorELNS0_4arch9wavefront6targetE0EEEvSV_.private_seg_size, 0
	.set _ZN7rocprim17ROCPRIM_400000_NS6detail17trampoline_kernelINS0_13select_configILj256ELj13ELNS0_17block_load_methodE3ELS4_3ELS4_3ELNS0_20block_scan_algorithmE0ELj4294967295EEENS1_25partition_config_selectorILNS1_17partition_subalgoE3EjNS0_10empty_typeEbEEZZNS1_14partition_implILS8_3ELb0ES6_jNS0_17counting_iteratorIjlEEPS9_SE_NS0_5tupleIJPjSE_EEENSF_IJSE_SE_EEES9_SG_JZNS1_25segmented_radix_sort_implINS0_14default_configELb1EPKlPlSM_SN_N2at6native12_GLOBAL__N_18offset_tEEE10hipError_tPvRmT1_PNSt15iterator_traitsISV_E10value_typeET2_T3_PNSW_IS11_E10value_typeET4_jRbjT5_S17_jjP12ihipStream_tbEUljE_EEESS_ST_SU_S11_S15_S17_T6_T7_T9_mT8_S19_bDpT10_ENKUlT_T0_E_clISt17integral_constantIbLb1EES1L_IbLb0EEEEDaS1H_S1I_EUlS1H_E_NS1_11comp_targetILNS1_3genE9ELNS1_11target_archE1100ELNS1_3gpuE3ELNS1_3repE0EEENS1_30default_config_static_selectorELNS0_4arch9wavefront6targetE0EEEvSV_.uses_vcc, 0
	.set _ZN7rocprim17ROCPRIM_400000_NS6detail17trampoline_kernelINS0_13select_configILj256ELj13ELNS0_17block_load_methodE3ELS4_3ELS4_3ELNS0_20block_scan_algorithmE0ELj4294967295EEENS1_25partition_config_selectorILNS1_17partition_subalgoE3EjNS0_10empty_typeEbEEZZNS1_14partition_implILS8_3ELb0ES6_jNS0_17counting_iteratorIjlEEPS9_SE_NS0_5tupleIJPjSE_EEENSF_IJSE_SE_EEES9_SG_JZNS1_25segmented_radix_sort_implINS0_14default_configELb1EPKlPlSM_SN_N2at6native12_GLOBAL__N_18offset_tEEE10hipError_tPvRmT1_PNSt15iterator_traitsISV_E10value_typeET2_T3_PNSW_IS11_E10value_typeET4_jRbjT5_S17_jjP12ihipStream_tbEUljE_EEESS_ST_SU_S11_S15_S17_T6_T7_T9_mT8_S19_bDpT10_ENKUlT_T0_E_clISt17integral_constantIbLb1EES1L_IbLb0EEEEDaS1H_S1I_EUlS1H_E_NS1_11comp_targetILNS1_3genE9ELNS1_11target_archE1100ELNS1_3gpuE3ELNS1_3repE0EEENS1_30default_config_static_selectorELNS0_4arch9wavefront6targetE0EEEvSV_.uses_flat_scratch, 0
	.set _ZN7rocprim17ROCPRIM_400000_NS6detail17trampoline_kernelINS0_13select_configILj256ELj13ELNS0_17block_load_methodE3ELS4_3ELS4_3ELNS0_20block_scan_algorithmE0ELj4294967295EEENS1_25partition_config_selectorILNS1_17partition_subalgoE3EjNS0_10empty_typeEbEEZZNS1_14partition_implILS8_3ELb0ES6_jNS0_17counting_iteratorIjlEEPS9_SE_NS0_5tupleIJPjSE_EEENSF_IJSE_SE_EEES9_SG_JZNS1_25segmented_radix_sort_implINS0_14default_configELb1EPKlPlSM_SN_N2at6native12_GLOBAL__N_18offset_tEEE10hipError_tPvRmT1_PNSt15iterator_traitsISV_E10value_typeET2_T3_PNSW_IS11_E10value_typeET4_jRbjT5_S17_jjP12ihipStream_tbEUljE_EEESS_ST_SU_S11_S15_S17_T6_T7_T9_mT8_S19_bDpT10_ENKUlT_T0_E_clISt17integral_constantIbLb1EES1L_IbLb0EEEEDaS1H_S1I_EUlS1H_E_NS1_11comp_targetILNS1_3genE9ELNS1_11target_archE1100ELNS1_3gpuE3ELNS1_3repE0EEENS1_30default_config_static_selectorELNS0_4arch9wavefront6targetE0EEEvSV_.has_dyn_sized_stack, 0
	.set _ZN7rocprim17ROCPRIM_400000_NS6detail17trampoline_kernelINS0_13select_configILj256ELj13ELNS0_17block_load_methodE3ELS4_3ELS4_3ELNS0_20block_scan_algorithmE0ELj4294967295EEENS1_25partition_config_selectorILNS1_17partition_subalgoE3EjNS0_10empty_typeEbEEZZNS1_14partition_implILS8_3ELb0ES6_jNS0_17counting_iteratorIjlEEPS9_SE_NS0_5tupleIJPjSE_EEENSF_IJSE_SE_EEES9_SG_JZNS1_25segmented_radix_sort_implINS0_14default_configELb1EPKlPlSM_SN_N2at6native12_GLOBAL__N_18offset_tEEE10hipError_tPvRmT1_PNSt15iterator_traitsISV_E10value_typeET2_T3_PNSW_IS11_E10value_typeET4_jRbjT5_S17_jjP12ihipStream_tbEUljE_EEESS_ST_SU_S11_S15_S17_T6_T7_T9_mT8_S19_bDpT10_ENKUlT_T0_E_clISt17integral_constantIbLb1EES1L_IbLb0EEEEDaS1H_S1I_EUlS1H_E_NS1_11comp_targetILNS1_3genE9ELNS1_11target_archE1100ELNS1_3gpuE3ELNS1_3repE0EEENS1_30default_config_static_selectorELNS0_4arch9wavefront6targetE0EEEvSV_.has_recursion, 0
	.set _ZN7rocprim17ROCPRIM_400000_NS6detail17trampoline_kernelINS0_13select_configILj256ELj13ELNS0_17block_load_methodE3ELS4_3ELS4_3ELNS0_20block_scan_algorithmE0ELj4294967295EEENS1_25partition_config_selectorILNS1_17partition_subalgoE3EjNS0_10empty_typeEbEEZZNS1_14partition_implILS8_3ELb0ES6_jNS0_17counting_iteratorIjlEEPS9_SE_NS0_5tupleIJPjSE_EEENSF_IJSE_SE_EEES9_SG_JZNS1_25segmented_radix_sort_implINS0_14default_configELb1EPKlPlSM_SN_N2at6native12_GLOBAL__N_18offset_tEEE10hipError_tPvRmT1_PNSt15iterator_traitsISV_E10value_typeET2_T3_PNSW_IS11_E10value_typeET4_jRbjT5_S17_jjP12ihipStream_tbEUljE_EEESS_ST_SU_S11_S15_S17_T6_T7_T9_mT8_S19_bDpT10_ENKUlT_T0_E_clISt17integral_constantIbLb1EES1L_IbLb0EEEEDaS1H_S1I_EUlS1H_E_NS1_11comp_targetILNS1_3genE9ELNS1_11target_archE1100ELNS1_3gpuE3ELNS1_3repE0EEENS1_30default_config_static_selectorELNS0_4arch9wavefront6targetE0EEEvSV_.has_indirect_call, 0
	.section	.AMDGPU.csdata,"",@progbits
; Kernel info:
; codeLenInByte = 0
; TotalNumSgprs: 0
; NumVgprs: 0
; ScratchSize: 0
; MemoryBound: 0
; FloatMode: 240
; IeeeMode: 1
; LDSByteSize: 0 bytes/workgroup (compile time only)
; SGPRBlocks: 0
; VGPRBlocks: 0
; NumSGPRsForWavesPerEU: 1
; NumVGPRsForWavesPerEU: 1
; NamedBarCnt: 0
; Occupancy: 16
; WaveLimiterHint : 0
; COMPUTE_PGM_RSRC2:SCRATCH_EN: 0
; COMPUTE_PGM_RSRC2:USER_SGPR: 2
; COMPUTE_PGM_RSRC2:TRAP_HANDLER: 0
; COMPUTE_PGM_RSRC2:TGID_X_EN: 1
; COMPUTE_PGM_RSRC2:TGID_Y_EN: 0
; COMPUTE_PGM_RSRC2:TGID_Z_EN: 0
; COMPUTE_PGM_RSRC2:TIDIG_COMP_CNT: 0
	.section	.text._ZN7rocprim17ROCPRIM_400000_NS6detail17trampoline_kernelINS0_13select_configILj256ELj13ELNS0_17block_load_methodE3ELS4_3ELS4_3ELNS0_20block_scan_algorithmE0ELj4294967295EEENS1_25partition_config_selectorILNS1_17partition_subalgoE3EjNS0_10empty_typeEbEEZZNS1_14partition_implILS8_3ELb0ES6_jNS0_17counting_iteratorIjlEEPS9_SE_NS0_5tupleIJPjSE_EEENSF_IJSE_SE_EEES9_SG_JZNS1_25segmented_radix_sort_implINS0_14default_configELb1EPKlPlSM_SN_N2at6native12_GLOBAL__N_18offset_tEEE10hipError_tPvRmT1_PNSt15iterator_traitsISV_E10value_typeET2_T3_PNSW_IS11_E10value_typeET4_jRbjT5_S17_jjP12ihipStream_tbEUljE_EEESS_ST_SU_S11_S15_S17_T6_T7_T9_mT8_S19_bDpT10_ENKUlT_T0_E_clISt17integral_constantIbLb1EES1L_IbLb0EEEEDaS1H_S1I_EUlS1H_E_NS1_11comp_targetILNS1_3genE8ELNS1_11target_archE1030ELNS1_3gpuE2ELNS1_3repE0EEENS1_30default_config_static_selectorELNS0_4arch9wavefront6targetE0EEEvSV_,"axG",@progbits,_ZN7rocprim17ROCPRIM_400000_NS6detail17trampoline_kernelINS0_13select_configILj256ELj13ELNS0_17block_load_methodE3ELS4_3ELS4_3ELNS0_20block_scan_algorithmE0ELj4294967295EEENS1_25partition_config_selectorILNS1_17partition_subalgoE3EjNS0_10empty_typeEbEEZZNS1_14partition_implILS8_3ELb0ES6_jNS0_17counting_iteratorIjlEEPS9_SE_NS0_5tupleIJPjSE_EEENSF_IJSE_SE_EEES9_SG_JZNS1_25segmented_radix_sort_implINS0_14default_configELb1EPKlPlSM_SN_N2at6native12_GLOBAL__N_18offset_tEEE10hipError_tPvRmT1_PNSt15iterator_traitsISV_E10value_typeET2_T3_PNSW_IS11_E10value_typeET4_jRbjT5_S17_jjP12ihipStream_tbEUljE_EEESS_ST_SU_S11_S15_S17_T6_T7_T9_mT8_S19_bDpT10_ENKUlT_T0_E_clISt17integral_constantIbLb1EES1L_IbLb0EEEEDaS1H_S1I_EUlS1H_E_NS1_11comp_targetILNS1_3genE8ELNS1_11target_archE1030ELNS1_3gpuE2ELNS1_3repE0EEENS1_30default_config_static_selectorELNS0_4arch9wavefront6targetE0EEEvSV_,comdat
	.globl	_ZN7rocprim17ROCPRIM_400000_NS6detail17trampoline_kernelINS0_13select_configILj256ELj13ELNS0_17block_load_methodE3ELS4_3ELS4_3ELNS0_20block_scan_algorithmE0ELj4294967295EEENS1_25partition_config_selectorILNS1_17partition_subalgoE3EjNS0_10empty_typeEbEEZZNS1_14partition_implILS8_3ELb0ES6_jNS0_17counting_iteratorIjlEEPS9_SE_NS0_5tupleIJPjSE_EEENSF_IJSE_SE_EEES9_SG_JZNS1_25segmented_radix_sort_implINS0_14default_configELb1EPKlPlSM_SN_N2at6native12_GLOBAL__N_18offset_tEEE10hipError_tPvRmT1_PNSt15iterator_traitsISV_E10value_typeET2_T3_PNSW_IS11_E10value_typeET4_jRbjT5_S17_jjP12ihipStream_tbEUljE_EEESS_ST_SU_S11_S15_S17_T6_T7_T9_mT8_S19_bDpT10_ENKUlT_T0_E_clISt17integral_constantIbLb1EES1L_IbLb0EEEEDaS1H_S1I_EUlS1H_E_NS1_11comp_targetILNS1_3genE8ELNS1_11target_archE1030ELNS1_3gpuE2ELNS1_3repE0EEENS1_30default_config_static_selectorELNS0_4arch9wavefront6targetE0EEEvSV_ ; -- Begin function _ZN7rocprim17ROCPRIM_400000_NS6detail17trampoline_kernelINS0_13select_configILj256ELj13ELNS0_17block_load_methodE3ELS4_3ELS4_3ELNS0_20block_scan_algorithmE0ELj4294967295EEENS1_25partition_config_selectorILNS1_17partition_subalgoE3EjNS0_10empty_typeEbEEZZNS1_14partition_implILS8_3ELb0ES6_jNS0_17counting_iteratorIjlEEPS9_SE_NS0_5tupleIJPjSE_EEENSF_IJSE_SE_EEES9_SG_JZNS1_25segmented_radix_sort_implINS0_14default_configELb1EPKlPlSM_SN_N2at6native12_GLOBAL__N_18offset_tEEE10hipError_tPvRmT1_PNSt15iterator_traitsISV_E10value_typeET2_T3_PNSW_IS11_E10value_typeET4_jRbjT5_S17_jjP12ihipStream_tbEUljE_EEESS_ST_SU_S11_S15_S17_T6_T7_T9_mT8_S19_bDpT10_ENKUlT_T0_E_clISt17integral_constantIbLb1EES1L_IbLb0EEEEDaS1H_S1I_EUlS1H_E_NS1_11comp_targetILNS1_3genE8ELNS1_11target_archE1030ELNS1_3gpuE2ELNS1_3repE0EEENS1_30default_config_static_selectorELNS0_4arch9wavefront6targetE0EEEvSV_
	.p2align	8
	.type	_ZN7rocprim17ROCPRIM_400000_NS6detail17trampoline_kernelINS0_13select_configILj256ELj13ELNS0_17block_load_methodE3ELS4_3ELS4_3ELNS0_20block_scan_algorithmE0ELj4294967295EEENS1_25partition_config_selectorILNS1_17partition_subalgoE3EjNS0_10empty_typeEbEEZZNS1_14partition_implILS8_3ELb0ES6_jNS0_17counting_iteratorIjlEEPS9_SE_NS0_5tupleIJPjSE_EEENSF_IJSE_SE_EEES9_SG_JZNS1_25segmented_radix_sort_implINS0_14default_configELb1EPKlPlSM_SN_N2at6native12_GLOBAL__N_18offset_tEEE10hipError_tPvRmT1_PNSt15iterator_traitsISV_E10value_typeET2_T3_PNSW_IS11_E10value_typeET4_jRbjT5_S17_jjP12ihipStream_tbEUljE_EEESS_ST_SU_S11_S15_S17_T6_T7_T9_mT8_S19_bDpT10_ENKUlT_T0_E_clISt17integral_constantIbLb1EES1L_IbLb0EEEEDaS1H_S1I_EUlS1H_E_NS1_11comp_targetILNS1_3genE8ELNS1_11target_archE1030ELNS1_3gpuE2ELNS1_3repE0EEENS1_30default_config_static_selectorELNS0_4arch9wavefront6targetE0EEEvSV_,@function
_ZN7rocprim17ROCPRIM_400000_NS6detail17trampoline_kernelINS0_13select_configILj256ELj13ELNS0_17block_load_methodE3ELS4_3ELS4_3ELNS0_20block_scan_algorithmE0ELj4294967295EEENS1_25partition_config_selectorILNS1_17partition_subalgoE3EjNS0_10empty_typeEbEEZZNS1_14partition_implILS8_3ELb0ES6_jNS0_17counting_iteratorIjlEEPS9_SE_NS0_5tupleIJPjSE_EEENSF_IJSE_SE_EEES9_SG_JZNS1_25segmented_radix_sort_implINS0_14default_configELb1EPKlPlSM_SN_N2at6native12_GLOBAL__N_18offset_tEEE10hipError_tPvRmT1_PNSt15iterator_traitsISV_E10value_typeET2_T3_PNSW_IS11_E10value_typeET4_jRbjT5_S17_jjP12ihipStream_tbEUljE_EEESS_ST_SU_S11_S15_S17_T6_T7_T9_mT8_S19_bDpT10_ENKUlT_T0_E_clISt17integral_constantIbLb1EES1L_IbLb0EEEEDaS1H_S1I_EUlS1H_E_NS1_11comp_targetILNS1_3genE8ELNS1_11target_archE1030ELNS1_3gpuE2ELNS1_3repE0EEENS1_30default_config_static_selectorELNS0_4arch9wavefront6targetE0EEEvSV_: ; @_ZN7rocprim17ROCPRIM_400000_NS6detail17trampoline_kernelINS0_13select_configILj256ELj13ELNS0_17block_load_methodE3ELS4_3ELS4_3ELNS0_20block_scan_algorithmE0ELj4294967295EEENS1_25partition_config_selectorILNS1_17partition_subalgoE3EjNS0_10empty_typeEbEEZZNS1_14partition_implILS8_3ELb0ES6_jNS0_17counting_iteratorIjlEEPS9_SE_NS0_5tupleIJPjSE_EEENSF_IJSE_SE_EEES9_SG_JZNS1_25segmented_radix_sort_implINS0_14default_configELb1EPKlPlSM_SN_N2at6native12_GLOBAL__N_18offset_tEEE10hipError_tPvRmT1_PNSt15iterator_traitsISV_E10value_typeET2_T3_PNSW_IS11_E10value_typeET4_jRbjT5_S17_jjP12ihipStream_tbEUljE_EEESS_ST_SU_S11_S15_S17_T6_T7_T9_mT8_S19_bDpT10_ENKUlT_T0_E_clISt17integral_constantIbLb1EES1L_IbLb0EEEEDaS1H_S1I_EUlS1H_E_NS1_11comp_targetILNS1_3genE8ELNS1_11target_archE1030ELNS1_3gpuE2ELNS1_3repE0EEENS1_30default_config_static_selectorELNS0_4arch9wavefront6targetE0EEEvSV_
; %bb.0:
	.section	.rodata,"a",@progbits
	.p2align	6, 0x0
	.amdhsa_kernel _ZN7rocprim17ROCPRIM_400000_NS6detail17trampoline_kernelINS0_13select_configILj256ELj13ELNS0_17block_load_methodE3ELS4_3ELS4_3ELNS0_20block_scan_algorithmE0ELj4294967295EEENS1_25partition_config_selectorILNS1_17partition_subalgoE3EjNS0_10empty_typeEbEEZZNS1_14partition_implILS8_3ELb0ES6_jNS0_17counting_iteratorIjlEEPS9_SE_NS0_5tupleIJPjSE_EEENSF_IJSE_SE_EEES9_SG_JZNS1_25segmented_radix_sort_implINS0_14default_configELb1EPKlPlSM_SN_N2at6native12_GLOBAL__N_18offset_tEEE10hipError_tPvRmT1_PNSt15iterator_traitsISV_E10value_typeET2_T3_PNSW_IS11_E10value_typeET4_jRbjT5_S17_jjP12ihipStream_tbEUljE_EEESS_ST_SU_S11_S15_S17_T6_T7_T9_mT8_S19_bDpT10_ENKUlT_T0_E_clISt17integral_constantIbLb1EES1L_IbLb0EEEEDaS1H_S1I_EUlS1H_E_NS1_11comp_targetILNS1_3genE8ELNS1_11target_archE1030ELNS1_3gpuE2ELNS1_3repE0EEENS1_30default_config_static_selectorELNS0_4arch9wavefront6targetE0EEEvSV_
		.amdhsa_group_segment_fixed_size 0
		.amdhsa_private_segment_fixed_size 0
		.amdhsa_kernarg_size 144
		.amdhsa_user_sgpr_count 2
		.amdhsa_user_sgpr_dispatch_ptr 0
		.amdhsa_user_sgpr_queue_ptr 0
		.amdhsa_user_sgpr_kernarg_segment_ptr 1
		.amdhsa_user_sgpr_dispatch_id 0
		.amdhsa_user_sgpr_kernarg_preload_length 0
		.amdhsa_user_sgpr_kernarg_preload_offset 0
		.amdhsa_user_sgpr_private_segment_size 0
		.amdhsa_wavefront_size32 1
		.amdhsa_uses_dynamic_stack 0
		.amdhsa_enable_private_segment 0
		.amdhsa_system_sgpr_workgroup_id_x 1
		.amdhsa_system_sgpr_workgroup_id_y 0
		.amdhsa_system_sgpr_workgroup_id_z 0
		.amdhsa_system_sgpr_workgroup_info 0
		.amdhsa_system_vgpr_workitem_id 0
		.amdhsa_next_free_vgpr 1
		.amdhsa_next_free_sgpr 1
		.amdhsa_named_barrier_count 0
		.amdhsa_reserve_vcc 0
		.amdhsa_float_round_mode_32 0
		.amdhsa_float_round_mode_16_64 0
		.amdhsa_float_denorm_mode_32 3
		.amdhsa_float_denorm_mode_16_64 3
		.amdhsa_fp16_overflow 0
		.amdhsa_memory_ordered 1
		.amdhsa_forward_progress 1
		.amdhsa_inst_pref_size 0
		.amdhsa_round_robin_scheduling 0
		.amdhsa_exception_fp_ieee_invalid_op 0
		.amdhsa_exception_fp_denorm_src 0
		.amdhsa_exception_fp_ieee_div_zero 0
		.amdhsa_exception_fp_ieee_overflow 0
		.amdhsa_exception_fp_ieee_underflow 0
		.amdhsa_exception_fp_ieee_inexact 0
		.amdhsa_exception_int_div_zero 0
	.end_amdhsa_kernel
	.section	.text._ZN7rocprim17ROCPRIM_400000_NS6detail17trampoline_kernelINS0_13select_configILj256ELj13ELNS0_17block_load_methodE3ELS4_3ELS4_3ELNS0_20block_scan_algorithmE0ELj4294967295EEENS1_25partition_config_selectorILNS1_17partition_subalgoE3EjNS0_10empty_typeEbEEZZNS1_14partition_implILS8_3ELb0ES6_jNS0_17counting_iteratorIjlEEPS9_SE_NS0_5tupleIJPjSE_EEENSF_IJSE_SE_EEES9_SG_JZNS1_25segmented_radix_sort_implINS0_14default_configELb1EPKlPlSM_SN_N2at6native12_GLOBAL__N_18offset_tEEE10hipError_tPvRmT1_PNSt15iterator_traitsISV_E10value_typeET2_T3_PNSW_IS11_E10value_typeET4_jRbjT5_S17_jjP12ihipStream_tbEUljE_EEESS_ST_SU_S11_S15_S17_T6_T7_T9_mT8_S19_bDpT10_ENKUlT_T0_E_clISt17integral_constantIbLb1EES1L_IbLb0EEEEDaS1H_S1I_EUlS1H_E_NS1_11comp_targetILNS1_3genE8ELNS1_11target_archE1030ELNS1_3gpuE2ELNS1_3repE0EEENS1_30default_config_static_selectorELNS0_4arch9wavefront6targetE0EEEvSV_,"axG",@progbits,_ZN7rocprim17ROCPRIM_400000_NS6detail17trampoline_kernelINS0_13select_configILj256ELj13ELNS0_17block_load_methodE3ELS4_3ELS4_3ELNS0_20block_scan_algorithmE0ELj4294967295EEENS1_25partition_config_selectorILNS1_17partition_subalgoE3EjNS0_10empty_typeEbEEZZNS1_14partition_implILS8_3ELb0ES6_jNS0_17counting_iteratorIjlEEPS9_SE_NS0_5tupleIJPjSE_EEENSF_IJSE_SE_EEES9_SG_JZNS1_25segmented_radix_sort_implINS0_14default_configELb1EPKlPlSM_SN_N2at6native12_GLOBAL__N_18offset_tEEE10hipError_tPvRmT1_PNSt15iterator_traitsISV_E10value_typeET2_T3_PNSW_IS11_E10value_typeET4_jRbjT5_S17_jjP12ihipStream_tbEUljE_EEESS_ST_SU_S11_S15_S17_T6_T7_T9_mT8_S19_bDpT10_ENKUlT_T0_E_clISt17integral_constantIbLb1EES1L_IbLb0EEEEDaS1H_S1I_EUlS1H_E_NS1_11comp_targetILNS1_3genE8ELNS1_11target_archE1030ELNS1_3gpuE2ELNS1_3repE0EEENS1_30default_config_static_selectorELNS0_4arch9wavefront6targetE0EEEvSV_,comdat
.Lfunc_end691:
	.size	_ZN7rocprim17ROCPRIM_400000_NS6detail17trampoline_kernelINS0_13select_configILj256ELj13ELNS0_17block_load_methodE3ELS4_3ELS4_3ELNS0_20block_scan_algorithmE0ELj4294967295EEENS1_25partition_config_selectorILNS1_17partition_subalgoE3EjNS0_10empty_typeEbEEZZNS1_14partition_implILS8_3ELb0ES6_jNS0_17counting_iteratorIjlEEPS9_SE_NS0_5tupleIJPjSE_EEENSF_IJSE_SE_EEES9_SG_JZNS1_25segmented_radix_sort_implINS0_14default_configELb1EPKlPlSM_SN_N2at6native12_GLOBAL__N_18offset_tEEE10hipError_tPvRmT1_PNSt15iterator_traitsISV_E10value_typeET2_T3_PNSW_IS11_E10value_typeET4_jRbjT5_S17_jjP12ihipStream_tbEUljE_EEESS_ST_SU_S11_S15_S17_T6_T7_T9_mT8_S19_bDpT10_ENKUlT_T0_E_clISt17integral_constantIbLb1EES1L_IbLb0EEEEDaS1H_S1I_EUlS1H_E_NS1_11comp_targetILNS1_3genE8ELNS1_11target_archE1030ELNS1_3gpuE2ELNS1_3repE0EEENS1_30default_config_static_selectorELNS0_4arch9wavefront6targetE0EEEvSV_, .Lfunc_end691-_ZN7rocprim17ROCPRIM_400000_NS6detail17trampoline_kernelINS0_13select_configILj256ELj13ELNS0_17block_load_methodE3ELS4_3ELS4_3ELNS0_20block_scan_algorithmE0ELj4294967295EEENS1_25partition_config_selectorILNS1_17partition_subalgoE3EjNS0_10empty_typeEbEEZZNS1_14partition_implILS8_3ELb0ES6_jNS0_17counting_iteratorIjlEEPS9_SE_NS0_5tupleIJPjSE_EEENSF_IJSE_SE_EEES9_SG_JZNS1_25segmented_radix_sort_implINS0_14default_configELb1EPKlPlSM_SN_N2at6native12_GLOBAL__N_18offset_tEEE10hipError_tPvRmT1_PNSt15iterator_traitsISV_E10value_typeET2_T3_PNSW_IS11_E10value_typeET4_jRbjT5_S17_jjP12ihipStream_tbEUljE_EEESS_ST_SU_S11_S15_S17_T6_T7_T9_mT8_S19_bDpT10_ENKUlT_T0_E_clISt17integral_constantIbLb1EES1L_IbLb0EEEEDaS1H_S1I_EUlS1H_E_NS1_11comp_targetILNS1_3genE8ELNS1_11target_archE1030ELNS1_3gpuE2ELNS1_3repE0EEENS1_30default_config_static_selectorELNS0_4arch9wavefront6targetE0EEEvSV_
                                        ; -- End function
	.set _ZN7rocprim17ROCPRIM_400000_NS6detail17trampoline_kernelINS0_13select_configILj256ELj13ELNS0_17block_load_methodE3ELS4_3ELS4_3ELNS0_20block_scan_algorithmE0ELj4294967295EEENS1_25partition_config_selectorILNS1_17partition_subalgoE3EjNS0_10empty_typeEbEEZZNS1_14partition_implILS8_3ELb0ES6_jNS0_17counting_iteratorIjlEEPS9_SE_NS0_5tupleIJPjSE_EEENSF_IJSE_SE_EEES9_SG_JZNS1_25segmented_radix_sort_implINS0_14default_configELb1EPKlPlSM_SN_N2at6native12_GLOBAL__N_18offset_tEEE10hipError_tPvRmT1_PNSt15iterator_traitsISV_E10value_typeET2_T3_PNSW_IS11_E10value_typeET4_jRbjT5_S17_jjP12ihipStream_tbEUljE_EEESS_ST_SU_S11_S15_S17_T6_T7_T9_mT8_S19_bDpT10_ENKUlT_T0_E_clISt17integral_constantIbLb1EES1L_IbLb0EEEEDaS1H_S1I_EUlS1H_E_NS1_11comp_targetILNS1_3genE8ELNS1_11target_archE1030ELNS1_3gpuE2ELNS1_3repE0EEENS1_30default_config_static_selectorELNS0_4arch9wavefront6targetE0EEEvSV_.num_vgpr, 0
	.set _ZN7rocprim17ROCPRIM_400000_NS6detail17trampoline_kernelINS0_13select_configILj256ELj13ELNS0_17block_load_methodE3ELS4_3ELS4_3ELNS0_20block_scan_algorithmE0ELj4294967295EEENS1_25partition_config_selectorILNS1_17partition_subalgoE3EjNS0_10empty_typeEbEEZZNS1_14partition_implILS8_3ELb0ES6_jNS0_17counting_iteratorIjlEEPS9_SE_NS0_5tupleIJPjSE_EEENSF_IJSE_SE_EEES9_SG_JZNS1_25segmented_radix_sort_implINS0_14default_configELb1EPKlPlSM_SN_N2at6native12_GLOBAL__N_18offset_tEEE10hipError_tPvRmT1_PNSt15iterator_traitsISV_E10value_typeET2_T3_PNSW_IS11_E10value_typeET4_jRbjT5_S17_jjP12ihipStream_tbEUljE_EEESS_ST_SU_S11_S15_S17_T6_T7_T9_mT8_S19_bDpT10_ENKUlT_T0_E_clISt17integral_constantIbLb1EES1L_IbLb0EEEEDaS1H_S1I_EUlS1H_E_NS1_11comp_targetILNS1_3genE8ELNS1_11target_archE1030ELNS1_3gpuE2ELNS1_3repE0EEENS1_30default_config_static_selectorELNS0_4arch9wavefront6targetE0EEEvSV_.num_agpr, 0
	.set _ZN7rocprim17ROCPRIM_400000_NS6detail17trampoline_kernelINS0_13select_configILj256ELj13ELNS0_17block_load_methodE3ELS4_3ELS4_3ELNS0_20block_scan_algorithmE0ELj4294967295EEENS1_25partition_config_selectorILNS1_17partition_subalgoE3EjNS0_10empty_typeEbEEZZNS1_14partition_implILS8_3ELb0ES6_jNS0_17counting_iteratorIjlEEPS9_SE_NS0_5tupleIJPjSE_EEENSF_IJSE_SE_EEES9_SG_JZNS1_25segmented_radix_sort_implINS0_14default_configELb1EPKlPlSM_SN_N2at6native12_GLOBAL__N_18offset_tEEE10hipError_tPvRmT1_PNSt15iterator_traitsISV_E10value_typeET2_T3_PNSW_IS11_E10value_typeET4_jRbjT5_S17_jjP12ihipStream_tbEUljE_EEESS_ST_SU_S11_S15_S17_T6_T7_T9_mT8_S19_bDpT10_ENKUlT_T0_E_clISt17integral_constantIbLb1EES1L_IbLb0EEEEDaS1H_S1I_EUlS1H_E_NS1_11comp_targetILNS1_3genE8ELNS1_11target_archE1030ELNS1_3gpuE2ELNS1_3repE0EEENS1_30default_config_static_selectorELNS0_4arch9wavefront6targetE0EEEvSV_.numbered_sgpr, 0
	.set _ZN7rocprim17ROCPRIM_400000_NS6detail17trampoline_kernelINS0_13select_configILj256ELj13ELNS0_17block_load_methodE3ELS4_3ELS4_3ELNS0_20block_scan_algorithmE0ELj4294967295EEENS1_25partition_config_selectorILNS1_17partition_subalgoE3EjNS0_10empty_typeEbEEZZNS1_14partition_implILS8_3ELb0ES6_jNS0_17counting_iteratorIjlEEPS9_SE_NS0_5tupleIJPjSE_EEENSF_IJSE_SE_EEES9_SG_JZNS1_25segmented_radix_sort_implINS0_14default_configELb1EPKlPlSM_SN_N2at6native12_GLOBAL__N_18offset_tEEE10hipError_tPvRmT1_PNSt15iterator_traitsISV_E10value_typeET2_T3_PNSW_IS11_E10value_typeET4_jRbjT5_S17_jjP12ihipStream_tbEUljE_EEESS_ST_SU_S11_S15_S17_T6_T7_T9_mT8_S19_bDpT10_ENKUlT_T0_E_clISt17integral_constantIbLb1EES1L_IbLb0EEEEDaS1H_S1I_EUlS1H_E_NS1_11comp_targetILNS1_3genE8ELNS1_11target_archE1030ELNS1_3gpuE2ELNS1_3repE0EEENS1_30default_config_static_selectorELNS0_4arch9wavefront6targetE0EEEvSV_.num_named_barrier, 0
	.set _ZN7rocprim17ROCPRIM_400000_NS6detail17trampoline_kernelINS0_13select_configILj256ELj13ELNS0_17block_load_methodE3ELS4_3ELS4_3ELNS0_20block_scan_algorithmE0ELj4294967295EEENS1_25partition_config_selectorILNS1_17partition_subalgoE3EjNS0_10empty_typeEbEEZZNS1_14partition_implILS8_3ELb0ES6_jNS0_17counting_iteratorIjlEEPS9_SE_NS0_5tupleIJPjSE_EEENSF_IJSE_SE_EEES9_SG_JZNS1_25segmented_radix_sort_implINS0_14default_configELb1EPKlPlSM_SN_N2at6native12_GLOBAL__N_18offset_tEEE10hipError_tPvRmT1_PNSt15iterator_traitsISV_E10value_typeET2_T3_PNSW_IS11_E10value_typeET4_jRbjT5_S17_jjP12ihipStream_tbEUljE_EEESS_ST_SU_S11_S15_S17_T6_T7_T9_mT8_S19_bDpT10_ENKUlT_T0_E_clISt17integral_constantIbLb1EES1L_IbLb0EEEEDaS1H_S1I_EUlS1H_E_NS1_11comp_targetILNS1_3genE8ELNS1_11target_archE1030ELNS1_3gpuE2ELNS1_3repE0EEENS1_30default_config_static_selectorELNS0_4arch9wavefront6targetE0EEEvSV_.private_seg_size, 0
	.set _ZN7rocprim17ROCPRIM_400000_NS6detail17trampoline_kernelINS0_13select_configILj256ELj13ELNS0_17block_load_methodE3ELS4_3ELS4_3ELNS0_20block_scan_algorithmE0ELj4294967295EEENS1_25partition_config_selectorILNS1_17partition_subalgoE3EjNS0_10empty_typeEbEEZZNS1_14partition_implILS8_3ELb0ES6_jNS0_17counting_iteratorIjlEEPS9_SE_NS0_5tupleIJPjSE_EEENSF_IJSE_SE_EEES9_SG_JZNS1_25segmented_radix_sort_implINS0_14default_configELb1EPKlPlSM_SN_N2at6native12_GLOBAL__N_18offset_tEEE10hipError_tPvRmT1_PNSt15iterator_traitsISV_E10value_typeET2_T3_PNSW_IS11_E10value_typeET4_jRbjT5_S17_jjP12ihipStream_tbEUljE_EEESS_ST_SU_S11_S15_S17_T6_T7_T9_mT8_S19_bDpT10_ENKUlT_T0_E_clISt17integral_constantIbLb1EES1L_IbLb0EEEEDaS1H_S1I_EUlS1H_E_NS1_11comp_targetILNS1_3genE8ELNS1_11target_archE1030ELNS1_3gpuE2ELNS1_3repE0EEENS1_30default_config_static_selectorELNS0_4arch9wavefront6targetE0EEEvSV_.uses_vcc, 0
	.set _ZN7rocprim17ROCPRIM_400000_NS6detail17trampoline_kernelINS0_13select_configILj256ELj13ELNS0_17block_load_methodE3ELS4_3ELS4_3ELNS0_20block_scan_algorithmE0ELj4294967295EEENS1_25partition_config_selectorILNS1_17partition_subalgoE3EjNS0_10empty_typeEbEEZZNS1_14partition_implILS8_3ELb0ES6_jNS0_17counting_iteratorIjlEEPS9_SE_NS0_5tupleIJPjSE_EEENSF_IJSE_SE_EEES9_SG_JZNS1_25segmented_radix_sort_implINS0_14default_configELb1EPKlPlSM_SN_N2at6native12_GLOBAL__N_18offset_tEEE10hipError_tPvRmT1_PNSt15iterator_traitsISV_E10value_typeET2_T3_PNSW_IS11_E10value_typeET4_jRbjT5_S17_jjP12ihipStream_tbEUljE_EEESS_ST_SU_S11_S15_S17_T6_T7_T9_mT8_S19_bDpT10_ENKUlT_T0_E_clISt17integral_constantIbLb1EES1L_IbLb0EEEEDaS1H_S1I_EUlS1H_E_NS1_11comp_targetILNS1_3genE8ELNS1_11target_archE1030ELNS1_3gpuE2ELNS1_3repE0EEENS1_30default_config_static_selectorELNS0_4arch9wavefront6targetE0EEEvSV_.uses_flat_scratch, 0
	.set _ZN7rocprim17ROCPRIM_400000_NS6detail17trampoline_kernelINS0_13select_configILj256ELj13ELNS0_17block_load_methodE3ELS4_3ELS4_3ELNS0_20block_scan_algorithmE0ELj4294967295EEENS1_25partition_config_selectorILNS1_17partition_subalgoE3EjNS0_10empty_typeEbEEZZNS1_14partition_implILS8_3ELb0ES6_jNS0_17counting_iteratorIjlEEPS9_SE_NS0_5tupleIJPjSE_EEENSF_IJSE_SE_EEES9_SG_JZNS1_25segmented_radix_sort_implINS0_14default_configELb1EPKlPlSM_SN_N2at6native12_GLOBAL__N_18offset_tEEE10hipError_tPvRmT1_PNSt15iterator_traitsISV_E10value_typeET2_T3_PNSW_IS11_E10value_typeET4_jRbjT5_S17_jjP12ihipStream_tbEUljE_EEESS_ST_SU_S11_S15_S17_T6_T7_T9_mT8_S19_bDpT10_ENKUlT_T0_E_clISt17integral_constantIbLb1EES1L_IbLb0EEEEDaS1H_S1I_EUlS1H_E_NS1_11comp_targetILNS1_3genE8ELNS1_11target_archE1030ELNS1_3gpuE2ELNS1_3repE0EEENS1_30default_config_static_selectorELNS0_4arch9wavefront6targetE0EEEvSV_.has_dyn_sized_stack, 0
	.set _ZN7rocprim17ROCPRIM_400000_NS6detail17trampoline_kernelINS0_13select_configILj256ELj13ELNS0_17block_load_methodE3ELS4_3ELS4_3ELNS0_20block_scan_algorithmE0ELj4294967295EEENS1_25partition_config_selectorILNS1_17partition_subalgoE3EjNS0_10empty_typeEbEEZZNS1_14partition_implILS8_3ELb0ES6_jNS0_17counting_iteratorIjlEEPS9_SE_NS0_5tupleIJPjSE_EEENSF_IJSE_SE_EEES9_SG_JZNS1_25segmented_radix_sort_implINS0_14default_configELb1EPKlPlSM_SN_N2at6native12_GLOBAL__N_18offset_tEEE10hipError_tPvRmT1_PNSt15iterator_traitsISV_E10value_typeET2_T3_PNSW_IS11_E10value_typeET4_jRbjT5_S17_jjP12ihipStream_tbEUljE_EEESS_ST_SU_S11_S15_S17_T6_T7_T9_mT8_S19_bDpT10_ENKUlT_T0_E_clISt17integral_constantIbLb1EES1L_IbLb0EEEEDaS1H_S1I_EUlS1H_E_NS1_11comp_targetILNS1_3genE8ELNS1_11target_archE1030ELNS1_3gpuE2ELNS1_3repE0EEENS1_30default_config_static_selectorELNS0_4arch9wavefront6targetE0EEEvSV_.has_recursion, 0
	.set _ZN7rocprim17ROCPRIM_400000_NS6detail17trampoline_kernelINS0_13select_configILj256ELj13ELNS0_17block_load_methodE3ELS4_3ELS4_3ELNS0_20block_scan_algorithmE0ELj4294967295EEENS1_25partition_config_selectorILNS1_17partition_subalgoE3EjNS0_10empty_typeEbEEZZNS1_14partition_implILS8_3ELb0ES6_jNS0_17counting_iteratorIjlEEPS9_SE_NS0_5tupleIJPjSE_EEENSF_IJSE_SE_EEES9_SG_JZNS1_25segmented_radix_sort_implINS0_14default_configELb1EPKlPlSM_SN_N2at6native12_GLOBAL__N_18offset_tEEE10hipError_tPvRmT1_PNSt15iterator_traitsISV_E10value_typeET2_T3_PNSW_IS11_E10value_typeET4_jRbjT5_S17_jjP12ihipStream_tbEUljE_EEESS_ST_SU_S11_S15_S17_T6_T7_T9_mT8_S19_bDpT10_ENKUlT_T0_E_clISt17integral_constantIbLb1EES1L_IbLb0EEEEDaS1H_S1I_EUlS1H_E_NS1_11comp_targetILNS1_3genE8ELNS1_11target_archE1030ELNS1_3gpuE2ELNS1_3repE0EEENS1_30default_config_static_selectorELNS0_4arch9wavefront6targetE0EEEvSV_.has_indirect_call, 0
	.section	.AMDGPU.csdata,"",@progbits
; Kernel info:
; codeLenInByte = 0
; TotalNumSgprs: 0
; NumVgprs: 0
; ScratchSize: 0
; MemoryBound: 0
; FloatMode: 240
; IeeeMode: 1
; LDSByteSize: 0 bytes/workgroup (compile time only)
; SGPRBlocks: 0
; VGPRBlocks: 0
; NumSGPRsForWavesPerEU: 1
; NumVGPRsForWavesPerEU: 1
; NamedBarCnt: 0
; Occupancy: 16
; WaveLimiterHint : 0
; COMPUTE_PGM_RSRC2:SCRATCH_EN: 0
; COMPUTE_PGM_RSRC2:USER_SGPR: 2
; COMPUTE_PGM_RSRC2:TRAP_HANDLER: 0
; COMPUTE_PGM_RSRC2:TGID_X_EN: 1
; COMPUTE_PGM_RSRC2:TGID_Y_EN: 0
; COMPUTE_PGM_RSRC2:TGID_Z_EN: 0
; COMPUTE_PGM_RSRC2:TIDIG_COMP_CNT: 0
	.section	.text._ZN7rocprim17ROCPRIM_400000_NS6detail17trampoline_kernelINS0_13select_configILj256ELj13ELNS0_17block_load_methodE3ELS4_3ELS4_3ELNS0_20block_scan_algorithmE0ELj4294967295EEENS1_25partition_config_selectorILNS1_17partition_subalgoE3EjNS0_10empty_typeEbEEZZNS1_14partition_implILS8_3ELb0ES6_jNS0_17counting_iteratorIjlEEPS9_SE_NS0_5tupleIJPjSE_EEENSF_IJSE_SE_EEES9_SG_JZNS1_25segmented_radix_sort_implINS0_14default_configELb1EPKlPlSM_SN_N2at6native12_GLOBAL__N_18offset_tEEE10hipError_tPvRmT1_PNSt15iterator_traitsISV_E10value_typeET2_T3_PNSW_IS11_E10value_typeET4_jRbjT5_S17_jjP12ihipStream_tbEUljE_EEESS_ST_SU_S11_S15_S17_T6_T7_T9_mT8_S19_bDpT10_ENKUlT_T0_E_clISt17integral_constantIbLb0EES1L_IbLb1EEEEDaS1H_S1I_EUlS1H_E_NS1_11comp_targetILNS1_3genE0ELNS1_11target_archE4294967295ELNS1_3gpuE0ELNS1_3repE0EEENS1_30default_config_static_selectorELNS0_4arch9wavefront6targetE0EEEvSV_,"axG",@progbits,_ZN7rocprim17ROCPRIM_400000_NS6detail17trampoline_kernelINS0_13select_configILj256ELj13ELNS0_17block_load_methodE3ELS4_3ELS4_3ELNS0_20block_scan_algorithmE0ELj4294967295EEENS1_25partition_config_selectorILNS1_17partition_subalgoE3EjNS0_10empty_typeEbEEZZNS1_14partition_implILS8_3ELb0ES6_jNS0_17counting_iteratorIjlEEPS9_SE_NS0_5tupleIJPjSE_EEENSF_IJSE_SE_EEES9_SG_JZNS1_25segmented_radix_sort_implINS0_14default_configELb1EPKlPlSM_SN_N2at6native12_GLOBAL__N_18offset_tEEE10hipError_tPvRmT1_PNSt15iterator_traitsISV_E10value_typeET2_T3_PNSW_IS11_E10value_typeET4_jRbjT5_S17_jjP12ihipStream_tbEUljE_EEESS_ST_SU_S11_S15_S17_T6_T7_T9_mT8_S19_bDpT10_ENKUlT_T0_E_clISt17integral_constantIbLb0EES1L_IbLb1EEEEDaS1H_S1I_EUlS1H_E_NS1_11comp_targetILNS1_3genE0ELNS1_11target_archE4294967295ELNS1_3gpuE0ELNS1_3repE0EEENS1_30default_config_static_selectorELNS0_4arch9wavefront6targetE0EEEvSV_,comdat
	.globl	_ZN7rocprim17ROCPRIM_400000_NS6detail17trampoline_kernelINS0_13select_configILj256ELj13ELNS0_17block_load_methodE3ELS4_3ELS4_3ELNS0_20block_scan_algorithmE0ELj4294967295EEENS1_25partition_config_selectorILNS1_17partition_subalgoE3EjNS0_10empty_typeEbEEZZNS1_14partition_implILS8_3ELb0ES6_jNS0_17counting_iteratorIjlEEPS9_SE_NS0_5tupleIJPjSE_EEENSF_IJSE_SE_EEES9_SG_JZNS1_25segmented_radix_sort_implINS0_14default_configELb1EPKlPlSM_SN_N2at6native12_GLOBAL__N_18offset_tEEE10hipError_tPvRmT1_PNSt15iterator_traitsISV_E10value_typeET2_T3_PNSW_IS11_E10value_typeET4_jRbjT5_S17_jjP12ihipStream_tbEUljE_EEESS_ST_SU_S11_S15_S17_T6_T7_T9_mT8_S19_bDpT10_ENKUlT_T0_E_clISt17integral_constantIbLb0EES1L_IbLb1EEEEDaS1H_S1I_EUlS1H_E_NS1_11comp_targetILNS1_3genE0ELNS1_11target_archE4294967295ELNS1_3gpuE0ELNS1_3repE0EEENS1_30default_config_static_selectorELNS0_4arch9wavefront6targetE0EEEvSV_ ; -- Begin function _ZN7rocprim17ROCPRIM_400000_NS6detail17trampoline_kernelINS0_13select_configILj256ELj13ELNS0_17block_load_methodE3ELS4_3ELS4_3ELNS0_20block_scan_algorithmE0ELj4294967295EEENS1_25partition_config_selectorILNS1_17partition_subalgoE3EjNS0_10empty_typeEbEEZZNS1_14partition_implILS8_3ELb0ES6_jNS0_17counting_iteratorIjlEEPS9_SE_NS0_5tupleIJPjSE_EEENSF_IJSE_SE_EEES9_SG_JZNS1_25segmented_radix_sort_implINS0_14default_configELb1EPKlPlSM_SN_N2at6native12_GLOBAL__N_18offset_tEEE10hipError_tPvRmT1_PNSt15iterator_traitsISV_E10value_typeET2_T3_PNSW_IS11_E10value_typeET4_jRbjT5_S17_jjP12ihipStream_tbEUljE_EEESS_ST_SU_S11_S15_S17_T6_T7_T9_mT8_S19_bDpT10_ENKUlT_T0_E_clISt17integral_constantIbLb0EES1L_IbLb1EEEEDaS1H_S1I_EUlS1H_E_NS1_11comp_targetILNS1_3genE0ELNS1_11target_archE4294967295ELNS1_3gpuE0ELNS1_3repE0EEENS1_30default_config_static_selectorELNS0_4arch9wavefront6targetE0EEEvSV_
	.p2align	8
	.type	_ZN7rocprim17ROCPRIM_400000_NS6detail17trampoline_kernelINS0_13select_configILj256ELj13ELNS0_17block_load_methodE3ELS4_3ELS4_3ELNS0_20block_scan_algorithmE0ELj4294967295EEENS1_25partition_config_selectorILNS1_17partition_subalgoE3EjNS0_10empty_typeEbEEZZNS1_14partition_implILS8_3ELb0ES6_jNS0_17counting_iteratorIjlEEPS9_SE_NS0_5tupleIJPjSE_EEENSF_IJSE_SE_EEES9_SG_JZNS1_25segmented_radix_sort_implINS0_14default_configELb1EPKlPlSM_SN_N2at6native12_GLOBAL__N_18offset_tEEE10hipError_tPvRmT1_PNSt15iterator_traitsISV_E10value_typeET2_T3_PNSW_IS11_E10value_typeET4_jRbjT5_S17_jjP12ihipStream_tbEUljE_EEESS_ST_SU_S11_S15_S17_T6_T7_T9_mT8_S19_bDpT10_ENKUlT_T0_E_clISt17integral_constantIbLb0EES1L_IbLb1EEEEDaS1H_S1I_EUlS1H_E_NS1_11comp_targetILNS1_3genE0ELNS1_11target_archE4294967295ELNS1_3gpuE0ELNS1_3repE0EEENS1_30default_config_static_selectorELNS0_4arch9wavefront6targetE0EEEvSV_,@function
_ZN7rocprim17ROCPRIM_400000_NS6detail17trampoline_kernelINS0_13select_configILj256ELj13ELNS0_17block_load_methodE3ELS4_3ELS4_3ELNS0_20block_scan_algorithmE0ELj4294967295EEENS1_25partition_config_selectorILNS1_17partition_subalgoE3EjNS0_10empty_typeEbEEZZNS1_14partition_implILS8_3ELb0ES6_jNS0_17counting_iteratorIjlEEPS9_SE_NS0_5tupleIJPjSE_EEENSF_IJSE_SE_EEES9_SG_JZNS1_25segmented_radix_sort_implINS0_14default_configELb1EPKlPlSM_SN_N2at6native12_GLOBAL__N_18offset_tEEE10hipError_tPvRmT1_PNSt15iterator_traitsISV_E10value_typeET2_T3_PNSW_IS11_E10value_typeET4_jRbjT5_S17_jjP12ihipStream_tbEUljE_EEESS_ST_SU_S11_S15_S17_T6_T7_T9_mT8_S19_bDpT10_ENKUlT_T0_E_clISt17integral_constantIbLb0EES1L_IbLb1EEEEDaS1H_S1I_EUlS1H_E_NS1_11comp_targetILNS1_3genE0ELNS1_11target_archE4294967295ELNS1_3gpuE0ELNS1_3repE0EEENS1_30default_config_static_selectorELNS0_4arch9wavefront6targetE0EEEvSV_: ; @_ZN7rocprim17ROCPRIM_400000_NS6detail17trampoline_kernelINS0_13select_configILj256ELj13ELNS0_17block_load_methodE3ELS4_3ELS4_3ELNS0_20block_scan_algorithmE0ELj4294967295EEENS1_25partition_config_selectorILNS1_17partition_subalgoE3EjNS0_10empty_typeEbEEZZNS1_14partition_implILS8_3ELb0ES6_jNS0_17counting_iteratorIjlEEPS9_SE_NS0_5tupleIJPjSE_EEENSF_IJSE_SE_EEES9_SG_JZNS1_25segmented_radix_sort_implINS0_14default_configELb1EPKlPlSM_SN_N2at6native12_GLOBAL__N_18offset_tEEE10hipError_tPvRmT1_PNSt15iterator_traitsISV_E10value_typeET2_T3_PNSW_IS11_E10value_typeET4_jRbjT5_S17_jjP12ihipStream_tbEUljE_EEESS_ST_SU_S11_S15_S17_T6_T7_T9_mT8_S19_bDpT10_ENKUlT_T0_E_clISt17integral_constantIbLb0EES1L_IbLb1EEEEDaS1H_S1I_EUlS1H_E_NS1_11comp_targetILNS1_3genE0ELNS1_11target_archE4294967295ELNS1_3gpuE0ELNS1_3repE0EEENS1_30default_config_static_selectorELNS0_4arch9wavefront6targetE0EEEvSV_
; %bb.0:
	s_clause 0x5
	s_load_b64 s[16:17], s[0:1], 0x10
	s_load_b128 s[12:15], s[0:1], 0x48
	s_load_b64 s[18:19], s[0:1], 0x58
	s_load_b64 s[20:21], s[0:1], 0x68
	s_load_b32 s3, s[0:1], 0x90
	s_load_b128 s[4:7], s[0:1], 0x80
	v_cmp_eq_u32_e64 s2, 0, v0
	s_and_saveexec_b32 s8, s2
	s_cbranch_execz .LBB692_4
; %bb.1:
	s_mov_b32 s10, exec_lo
	s_mov_b32 s9, exec_lo
	v_mbcnt_lo_u32_b32 v1, s10, 0
                                        ; implicit-def: $vgpr2
	s_delay_alu instid0(VALU_DEP_1)
	v_cmpx_eq_u32_e32 0, v1
	s_cbranch_execz .LBB692_3
; %bb.2:
	s_load_b64 s[22:23], s[0:1], 0x78
	s_bcnt1_i32_b32 s10, s10
	s_delay_alu instid0(SALU_CYCLE_1)
	v_dual_mov_b32 v2, 0 :: v_dual_mov_b32 v3, s10
	s_wait_xcnt 0x0
	s_wait_kmcnt 0x0
	global_atomic_add_u32 v2, v2, v3, s[22:23] th:TH_ATOMIC_RETURN scope:SCOPE_DEV
.LBB692_3:
	s_wait_xcnt 0x0
	s_or_b32 exec_lo, exec_lo, s9
	s_wait_loadcnt 0x0
	v_readfirstlane_b32 s9, v2
	s_delay_alu instid0(VALU_DEP_1)
	v_dual_mov_b32 v2, 0 :: v_dual_add_nc_u32 v1, s9, v1
	ds_store_b32 v2, v1
.LBB692_4:
	s_or_b32 exec_lo, exec_lo, s8
	v_dual_mov_b32 v1, 0 :: v_dual_lshlrev_b32 v19, 2, v0
	s_clause 0x2
	s_load_b32 s8, s[0:1], 0x8
	s_load_b64 s[10:11], s[0:1], 0x28
	s_load_b32 s9, s[0:1], 0x70
	s_wait_dscnt 0x0
	s_barrier_signal -1
	s_barrier_wait -1
	ds_load_b32 v4, v1
	s_wait_dscnt 0x0
	s_barrier_signal -1
	s_barrier_wait -1
	s_wait_kmcnt 0x0
	global_load_b64 v[42:43], v1, s[14:15]
	s_mov_b32 s1, 0
	s_add_co_i32 s8, s8, s16
	s_mul_i32 s0, s9, 0xd00
	s_add_co_i32 s9, s9, -1
	s_wait_xcnt 0x0
	s_add_nc_u64 s[14:15], s[16:17], s[0:1]
	s_add_co_i32 s0, s0, s16
	v_cmp_gt_u64_e64 s1, s[18:19], s[14:15]
	v_readfirstlane_b32 s23, v4
	s_sub_co_i32 s22, s18, s0
	v_cmp_ne_u32_e32 vcc_lo, s9, v4
	s_addk_co_i32 s22, 0xd00
	s_mov_b32 s15, -1
	s_cmp_eq_u32 s23, s9
	s_mul_i32 s14, s23, 0xd00
	s_cselect_b32 s9, -1, 0
	s_or_b32 s1, s1, vcc_lo
	s_delay_alu instid0(SALU_CYCLE_1)
	s_and_b32 vcc_lo, exec_lo, s1
	s_cbranch_vccz .LBB692_6
; %bb.5:
	v_add3_u32 v1, s14, s8, v0
	s_mov_b32 s15, 0
	s_delay_alu instid0(VALU_DEP_1)
	v_add_nc_u32_e32 v2, 0x100, v1
	v_add_nc_u32_e32 v3, 0x200, v1
	;; [unrolled: 1-line block ×12, first 2 shown]
	ds_store_2addr_stride64_b32 v19, v1, v2 offset1:4
	ds_store_2addr_stride64_b32 v19, v3, v5 offset0:8 offset1:12
	ds_store_2addr_stride64_b32 v19, v6, v7 offset0:16 offset1:20
	;; [unrolled: 1-line block ×5, first 2 shown]
	ds_store_b32 v19, v14 offset:12288
	s_wait_loadcnt_dscnt 0x0
	s_barrier_signal -1
	s_barrier_wait -1
.LBB692_6:
	v_cmp_gt_u32_e64 s0, s22, v0
	v_or_b32_e32 v40, 0x100, v0
	v_or_b32_e32 v38, 0x200, v0
	;; [unrolled: 1-line block ×12, first 2 shown]
	s_and_not1_b32 vcc_lo, exec_lo, s15
	s_cbranch_vccnz .LBB692_8
; %bb.7:
	s_add_co_i32 s8, s14, s8
	v_cmp_gt_u32_e32 vcc_lo, s22, v40
	v_dual_add_nc_u32 v1, s8, v0 :: v_dual_add_nc_u32 v3, s8, v38
	v_dual_add_nc_u32 v2, s8, v40 :: v_dual_add_nc_u32 v8, s8, v30
	s_delay_alu instid0(VALU_DEP_2) | instskip(NEXT) | instid1(VALU_DEP_2)
	v_dual_add_nc_u32 v9, s8, v28 :: v_dual_cndmask_b32 v1, 0, v1, s0
	v_dual_cndmask_b32 v2, 0, v2 :: v_dual_add_nc_u32 v5, s8, v36
	v_cmp_gt_u32_e32 vcc_lo, s22, v38
	v_dual_add_nc_u32 v12, s8, v22 :: v_dual_add_nc_u32 v13, s8, v20
	v_dual_add_nc_u32 v6, s8, v34 :: v_dual_add_nc_u32 v7, s8, v32
	v_cndmask_b32_e32 v3, 0, v3, vcc_lo
	v_cmp_gt_u32_e32 vcc_lo, s22, v36
	v_dual_add_nc_u32 v10, s8, v26 :: v_dual_add_nc_u32 v11, s8, v24
	v_cndmask_b32_e32 v5, 0, v5, vcc_lo
	v_cmp_gt_u32_e32 vcc_lo, s22, v34
	v_cndmask_b32_e32 v6, 0, v6, vcc_lo
	v_cmp_gt_u32_e32 vcc_lo, s22, v32
	;; [unrolled: 2-line block ×7, first 2 shown]
	v_dual_add_nc_u32 v14, s8, v18 :: v_dual_cndmask_b32 v12, 0, v12, vcc_lo
	v_cmp_gt_u32_e32 vcc_lo, s22, v20
	v_cndmask_b32_e32 v13, 0, v13, vcc_lo
	v_cmp_gt_u32_e32 vcc_lo, s22, v18
	s_delay_alu instid0(VALU_DEP_4)
	v_cndmask_b32_e32 v14, 0, v14, vcc_lo
	ds_store_2addr_stride64_b32 v19, v1, v2 offset1:4
	ds_store_2addr_stride64_b32 v19, v3, v5 offset0:8 offset1:12
	ds_store_2addr_stride64_b32 v19, v6, v7 offset0:16 offset1:20
	;; [unrolled: 1-line block ×5, first 2 shown]
	ds_store_b32 v19, v14 offset:12288
	s_wait_loadcnt_dscnt 0x0
	s_barrier_signal -1
	s_barrier_wait -1
.LBB692_8:
	v_mul_u32_u24_e32 v23, 13, v0
	s_wait_loadcnt 0x0
	v_cndmask_b32_e64 v21, 0, 1, s1
	s_and_not1_b32 vcc_lo, exec_lo, s1
	s_delay_alu instid0(VALU_DEP_2)
	v_lshlrev_b32_e32 v2, 2, v23
	ds_load_2addr_b32 v[52:53], v2 offset0:2 offset1:3
	ds_load_2addr_b32 v[48:49], v2 offset0:6 offset1:7
	;; [unrolled: 1-line block ×3, first 2 shown]
	ds_load_2addr_b32 v[54:55], v2 offset1:1
	ds_load_2addr_b32 v[44:45], v2 offset0:10 offset1:11
	ds_load_b32 v1, v2 offset:48
	ds_load_2addr_b32 v[46:47], v2 offset0:8 offset1:9
	s_wait_dscnt 0x0
	s_barrier_signal -1
	s_barrier_wait -1
	s_cbranch_vccnz .LBB692_10
; %bb.9:
	v_dual_add_nc_u32 v2, s5, v53 :: v_dual_add_nc_u32 v3, s5, v55
	v_dual_add_nc_u32 v5, s5, v54 :: v_dual_add_nc_u32 v6, s5, v52
	;; [unrolled: 1-line block ×4, first 2 shown]
	s_delay_alu instid0(VALU_DEP_3) | instskip(NEXT) | instid1(VALU_DEP_4)
	v_mul_lo_u32 v6, v6, s4
	v_mul_lo_u32 v5, v5, s4
	;; [unrolled: 1-line block ×8, first 2 shown]
	v_dual_add_nc_u32 v11, s5, v50 :: v_dual_add_nc_u32 v12, s7, v50
	v_dual_add_nc_u32 v13, s5, v48 :: v_dual_add_nc_u32 v15, s7, v45
	v_add_nc_u32_e32 v16, s5, v44
	s_delay_alu instid0(VALU_DEP_3) | instskip(NEXT) | instid1(VALU_DEP_4)
	v_mul_lo_u32 v11, v11, s4
	v_mul_lo_u32 v12, v12, s6
	v_dual_sub_nc_u32 v2, v2, v7 :: v_dual_sub_nc_u32 v3, v3, v8
	v_dual_sub_nc_u32 v5, v5, v9 :: v_dual_sub_nc_u32 v6, v6, v10
	v_dual_add_nc_u32 v7, s5, v51 :: v_dual_add_nc_u32 v8, s7, v51
	v_dual_add_nc_u32 v9, s5, v49 :: v_dual_add_nc_u32 v10, s7, v49
	s_delay_alu instid0(VALU_DEP_4) | instskip(NEXT) | instid1(VALU_DEP_3)
	v_cmp_lt_u32_e32 vcc_lo, s3, v2
	v_mul_lo_u32 v7, v7, s4
	s_delay_alu instid0(VALU_DEP_4) | instskip(NEXT) | instid1(VALU_DEP_4)
	v_mul_lo_u32 v8, v8, s6
	v_mul_lo_u32 v9, v9, s4
	;; [unrolled: 1-line block ×3, first 2 shown]
	v_cndmask_b32_e64 v2, 0, 1, vcc_lo
	v_cmp_lt_u32_e32 vcc_lo, s3, v3
	v_dual_add_nc_u32 v17, s7, v47 :: v_dual_add_nc_u32 v25, s7, v46
	v_mul_lo_u32 v15, v15, s6
	v_add_nc_u32_e32 v14, s5, v46
	v_cndmask_b32_e64 v3, 0, 1, vcc_lo
	s_delay_alu instid0(VALU_DEP_4) | instskip(SKIP_4) | instid1(VALU_DEP_3)
	v_mul_lo_u32 v17, v17, s6
	v_sub_nc_u32_e32 v7, v7, v8
	v_dual_add_nc_u32 v8, s7, v48 :: v_dual_sub_nc_u32 v9, v9, v10
	v_dual_sub_nc_u32 v10, v11, v12 :: v_dual_add_nc_u32 v11, s5, v45
	v_mul_lo_u32 v13, v13, s4
	v_mul_lo_u32 v8, v8, s6
	v_add_nc_u32_e32 v12, s5, v47
	v_cmp_lt_u32_e32 vcc_lo, s3, v7
	v_mul_lo_u32 v11, v11, s4
	v_lshlrev_b16 v3, 8, v3
	v_mul_lo_u32 v14, v14, s4
	v_mul_lo_u32 v12, v12, s4
	v_cndmask_b32_e64 v7, 0, 1, vcc_lo
	v_cmp_lt_u32_e32 vcc_lo, s3, v9
	v_lshrrev_b32_e32 v3, 8, v3
	v_mul_lo_u32 v25, v25, s6
	v_sub_nc_u32_e32 v8, v13, v8
	v_lshlrev_b16 v7, 8, v7
	v_cndmask_b32_e64 v9, 0, 1, vcc_lo
	v_sub_nc_u32_e32 v11, v11, v15
	v_cmp_lt_u32_e32 vcc_lo, s3, v5
	s_delay_alu instid0(VALU_DEP_4)
	v_dual_add_nc_u32 v27, s7, v44 :: v_dual_lshrrev_b32 v7, 8, v7
	v_sub_nc_u32_e32 v12, v12, v17
	v_mul_lo_u32 v13, v16, s4
	v_cndmask_b32_e64 v5, 0, 1, vcc_lo
	v_cmp_lt_u32_e32 vcc_lo, s3, v11
	v_mul_lo_u32 v16, v27, s6
	v_dual_add_nc_u32 v15, s5, v1 :: v_dual_add_nc_u32 v27, s7, v1
	v_lshlrev_b16 v2, 8, v2
	v_cndmask_b32_e64 v11, 0, 1, vcc_lo
	v_cmp_lt_u32_e32 vcc_lo, s3, v12
	s_delay_alu instid0(VALU_DEP_4)
	v_mul_lo_u32 v15, v15, s4
	v_mul_lo_u32 v17, v27, s6
	v_sub_nc_u32_e32 v14, v14, v25
	v_lshlrev_b16 v3, 8, v3
	v_cndmask_b32_e64 v12, 0, 1, vcc_lo
	v_cmp_lt_u32_e32 vcc_lo, s3, v6
	v_dual_sub_nc_u32 v13, v13, v16 :: v_dual_lshrrev_b32 v2, 8, v2
	s_delay_alu instid0(VALU_DEP_4)
	v_or_b32_e32 v3, v5, v3
	v_lshlrev_b16 v5, 8, v11
	v_cndmask_b32_e64 v6, 0, 1, vcc_lo
	v_cmp_lt_u32_e32 vcc_lo, s3, v10
	v_lshlrev_b16 v11, 8, v12
	v_lshlrev_b16 v9, 8, v9
	v_sub_nc_u32_e32 v12, v15, v17
	v_lshlrev_b16 v2, 8, v2
	v_cndmask_b32_e64 v10, 0, 1, vcc_lo
	v_cmp_lt_u32_e32 vcc_lo, s3, v8
	v_lshlrev_b16 v7, 8, v7
	v_dual_lshrrev_b32 v11, 8, v11 :: v_dual_lshrrev_b32 v5, 8, v5
	v_or_b32_e32 v2, v6, v2
	v_cndmask_b32_e64 v8, 0, 1, vcc_lo
	v_cmp_lt_u32_e32 vcc_lo, s3, v14
	s_delay_alu instid0(VALU_DEP_4)
	v_lshlrev_b16 v11, 8, v11
	v_lshlrev_b16 v5, 8, v5
	v_dual_lshlrev_b32 v2, 16, v2 :: v_dual_bitop2_b32 v6, v10, v7 bitop3:0x54
	v_cndmask_b32_e64 v14, 0, 1, vcc_lo
	v_cmp_lt_u32_e32 vcc_lo, s3, v13
	v_or_b32_e32 v7, v8, v9
	v_and_b32_e32 v3, 0xffff, v3
	v_and_b32_e32 v6, 0xffff, v6
	v_cndmask_b32_e64 v13, 0, 1, vcc_lo
	s_delay_alu instid0(VALU_DEP_4) | instskip(SKIP_2) | instid1(VALU_DEP_4)
	v_lshlrev_b32_e32 v7, 16, v7
	v_cmp_lt_u32_e32 vcc_lo, s3, v12
	v_or_b32_e32 v35, v3, v2
	v_or_b32_e32 v5, v13, v5
	;; [unrolled: 1-line block ×3, first 2 shown]
	v_cndmask_b32_e64 v25, 0, 1, vcc_lo
	s_delay_alu instid0(VALU_DEP_3) | instskip(NEXT) | instid1(VALU_DEP_3)
	v_dual_lshlrev_b32 v5, 16, v5 :: v_dual_bitop2_b32 v31, v6, v7 bitop3:0x54
	v_and_b32_e32 v8, 0xffff, v8
	s_delay_alu instid0(VALU_DEP_1)
	v_or_b32_e32 v27, v8, v5
	s_cbranch_execz .LBB692_11
	s_branch .LBB692_38
.LBB692_10:
                                        ; implicit-def: $vgpr25
                                        ; implicit-def: $vgpr27
                                        ; implicit-def: $vgpr31
                                        ; implicit-def: $vgpr35
.LBB692_11:
	v_dual_mov_b32 v3, 0 :: v_dual_mov_b32 v2, 0
	s_mov_b32 s0, exec_lo
	v_cmpx_gt_u32_e64 s22, v23
	s_cbranch_execz .LBB692_13
; %bb.12:
	v_dual_add_nc_u32 v2, s5, v54 :: v_dual_add_nc_u32 v5, s7, v54
	s_delay_alu instid0(VALU_DEP_1) | instskip(NEXT) | instid1(VALU_DEP_2)
	v_mul_lo_u32 v2, v2, s4
	v_mul_lo_u32 v5, v5, s6
	s_delay_alu instid0(VALU_DEP_1) | instskip(NEXT) | instid1(VALU_DEP_1)
	v_sub_nc_u32_e32 v2, v2, v5
	v_cmp_lt_u32_e32 vcc_lo, s3, v2
	v_cndmask_b32_e64 v2, 0, 1, vcc_lo
.LBB692_13:
	s_or_b32 exec_lo, exec_lo, s0
	v_add_nc_u32_e32 v5, 1, v23
	s_mov_b32 s0, exec_lo
	s_delay_alu instid0(VALU_DEP_1)
	v_cmpx_gt_u32_e64 s22, v5
	s_cbranch_execz .LBB692_15
; %bb.14:
	v_dual_add_nc_u32 v3, s5, v55 :: v_dual_add_nc_u32 v5, s7, v55
	s_delay_alu instid0(VALU_DEP_1) | instskip(NEXT) | instid1(VALU_DEP_2)
	v_mul_lo_u32 v3, v3, s4
	v_mul_lo_u32 v5, v5, s6
	s_delay_alu instid0(VALU_DEP_1) | instskip(NEXT) | instid1(VALU_DEP_1)
	v_sub_nc_u32_e32 v3, v3, v5
	v_cmp_lt_u32_e32 vcc_lo, s3, v3
	v_cndmask_b32_e64 v3, 0, 1, vcc_lo
.LBB692_15:
	s_or_b32 exec_lo, exec_lo, s0
	v_dual_mov_b32 v6, 0 :: v_dual_add_nc_u32 v5, 2, v23
	s_delay_alu instid0(VALU_DEP_1)
	v_cmp_gt_u32_e32 vcc_lo, s22, v5
	v_mov_b32_e32 v5, 0
	s_and_saveexec_b32 s0, vcc_lo
	s_cbranch_execz .LBB692_17
; %bb.16:
	v_dual_add_nc_u32 v5, s5, v52 :: v_dual_add_nc_u32 v7, s7, v52
	s_delay_alu instid0(VALU_DEP_1) | instskip(NEXT) | instid1(VALU_DEP_2)
	v_mul_lo_u32 v5, v5, s4
	v_mul_lo_u32 v7, v7, s6
	s_delay_alu instid0(VALU_DEP_1) | instskip(NEXT) | instid1(VALU_DEP_1)
	v_sub_nc_u32_e32 v5, v5, v7
	v_cmp_lt_u32_e32 vcc_lo, s3, v5
	v_cndmask_b32_e64 v5, 0, 1, vcc_lo
.LBB692_17:
	s_or_b32 exec_lo, exec_lo, s0
	v_add_nc_u32_e32 v7, 3, v23
	s_mov_b32 s0, exec_lo
	s_delay_alu instid0(VALU_DEP_1)
	v_cmpx_gt_u32_e64 s22, v7
	s_cbranch_execz .LBB692_19
; %bb.18:
	v_dual_add_nc_u32 v6, s5, v53 :: v_dual_add_nc_u32 v7, s7, v53
	s_delay_alu instid0(VALU_DEP_1) | instskip(NEXT) | instid1(VALU_DEP_2)
	v_mul_lo_u32 v6, v6, s4
	v_mul_lo_u32 v7, v7, s6
	s_delay_alu instid0(VALU_DEP_1) | instskip(NEXT) | instid1(VALU_DEP_1)
	v_sub_nc_u32_e32 v6, v6, v7
	v_cmp_lt_u32_e32 vcc_lo, s3, v6
	v_cndmask_b32_e64 v6, 0, 1, vcc_lo
.LBB692_19:
	s_or_b32 exec_lo, exec_lo, s0
	v_dual_mov_b32 v8, 0 :: v_dual_add_nc_u32 v7, 4, v23
	s_delay_alu instid0(VALU_DEP_1)
	v_cmp_gt_u32_e32 vcc_lo, s22, v7
	v_mov_b32_e32 v7, 0
	s_and_saveexec_b32 s0, vcc_lo
	;; [unrolled: 33-line block ×5, first 2 shown]
	s_cbranch_execz .LBB692_33
; %bb.32:
	v_dual_add_nc_u32 v13, s5, v44 :: v_dual_add_nc_u32 v15, s7, v44
	s_delay_alu instid0(VALU_DEP_1) | instskip(NEXT) | instid1(VALU_DEP_2)
	v_mul_lo_u32 v13, v13, s4
	v_mul_lo_u32 v15, v15, s6
	s_delay_alu instid0(VALU_DEP_1) | instskip(NEXT) | instid1(VALU_DEP_1)
	v_sub_nc_u32_e32 v13, v13, v15
	v_cmp_lt_u32_e32 vcc_lo, s3, v13
	v_cndmask_b32_e64 v13, 0, 1, vcc_lo
.LBB692_33:
	s_or_b32 exec_lo, exec_lo, s0
	v_add_nc_u32_e32 v15, 11, v23
	s_mov_b32 s0, exec_lo
	s_delay_alu instid0(VALU_DEP_1)
	v_cmpx_gt_u32_e64 s22, v15
	s_cbranch_execz .LBB692_35
; %bb.34:
	v_dual_add_nc_u32 v14, s5, v45 :: v_dual_add_nc_u32 v15, s7, v45
	s_delay_alu instid0(VALU_DEP_1) | instskip(NEXT) | instid1(VALU_DEP_2)
	v_mul_lo_u32 v14, v14, s4
	v_mul_lo_u32 v15, v15, s6
	s_delay_alu instid0(VALU_DEP_1) | instskip(NEXT) | instid1(VALU_DEP_1)
	v_sub_nc_u32_e32 v14, v14, v15
	v_cmp_lt_u32_e32 vcc_lo, s3, v14
	v_cndmask_b32_e64 v14, 0, 1, vcc_lo
.LBB692_35:
	s_or_b32 exec_lo, exec_lo, s0
	v_dual_add_nc_u32 v15, 12, v23 :: v_dual_mov_b32 v25, 0
	s_mov_b32 s0, exec_lo
	s_delay_alu instid0(VALU_DEP_1)
	v_cmpx_gt_u32_e64 s22, v15
	s_cbranch_execz .LBB692_37
; %bb.36:
	v_dual_add_nc_u32 v15, s7, v1 :: v_dual_add_nc_u32 v16, s5, v1
	s_delay_alu instid0(VALU_DEP_1) | instskip(NEXT) | instid1(VALU_DEP_2)
	v_mul_lo_u32 v15, v15, s6
	v_mul_lo_u32 v16, v16, s4
	s_delay_alu instid0(VALU_DEP_1) | instskip(NEXT) | instid1(VALU_DEP_1)
	v_sub_nc_u32_e32 v15, v16, v15
	v_cmp_lt_u32_e32 vcc_lo, s3, v15
	v_cndmask_b32_e64 v25, 0, 1, vcc_lo
.LBB692_37:
	s_or_b32 exec_lo, exec_lo, s0
	v_lshlrev_b16 v6, 8, v6
	v_lshlrev_b16 v8, 8, v8
	;; [unrolled: 1-line block ×5, first 2 shown]
	v_or_b32_e32 v5, v5, v6
	v_or_b32_e32 v6, v7, v8
	;; [unrolled: 1-line block ×3, first 2 shown]
	s_delay_alu instid0(VALU_DEP_1) | instskip(NEXT) | instid1(VALU_DEP_4)
	v_dual_lshlrev_b32 v7, 16, v7 :: v_dual_bitop2_b32 v8, v11, v12 bitop3:0x54
	v_dual_lshlrev_b32 v5, 16, v5 :: v_dual_bitop2_b32 v2, v2, v3 bitop3:0x54
	v_lshlrev_b16 v3, 8, v14
	s_delay_alu instid0(VALU_DEP_3) | instskip(NEXT) | instid1(VALU_DEP_3)
	v_and_b32_e32 v8, 0xffff, v8
	v_and_b32_e32 v2, 0xffff, v2
	s_delay_alu instid0(VALU_DEP_3) | instskip(NEXT) | instid1(VALU_DEP_1)
	v_or_b32_e32 v3, v13, v3
	v_dual_lshlrev_b32 v3, 16, v3 :: v_dual_bitop2_b32 v35, v2, v5 bitop3:0x54
	v_and_b32_e32 v6, 0xffff, v6
	s_delay_alu instid0(VALU_DEP_2) | instskip(NEXT) | instid1(VALU_DEP_2)
	v_or_b32_e32 v27, v8, v3
	v_or_b32_e32 v31, v6, v7
.LBB692_38:
	s_delay_alu instid0(VALU_DEP_4) | instskip(SKIP_2) | instid1(VALU_DEP_4)
	v_bfe_u32 v39, v35, 16, 8
	v_bfe_u32 v41, v35, 8, 8
	v_and_b32_e32 v57, 0xff, v35
	v_and_b32_e32 v58, 0xff, v31
	v_mbcnt_lo_u32_b32 v64, -1, 0
	v_lshrrev_b32_e32 v37, 24, v35
	v_bfe_u32 v59, v31, 16, 8
	v_add3_u32 v2, v41, v57, v39
	v_bfe_u32 v60, v31, 8, 8
	v_dual_lshrrev_b32 v33, 24, v31 :: v_dual_bitop2_b32 v5, 15, v64 bitop3:0x40
	v_lshrrev_b32_e32 v65, 5, v0
	s_delay_alu instid0(VALU_DEP_4)
	v_add3_u32 v2, v2, v37, v58
	v_and_b32_e32 v61, 0xff, v27
	v_bfe_u32 v62, v27, 16, 8
	v_bfe_u32 v63, v27, 8, 8
	v_dual_lshrrev_b32 v29, 24, v27 :: v_dual_bitop2_b32 v6, 31, v0 bitop3:0x54
	v_add3_u32 v2, v2, v60, v59
	v_and_b32_e32 v3, 0xff, v25
	v_and_b32_e32 v7, 16, v64
	v_cmp_ne_u32_e32 vcc_lo, 0, v4
	v_cmp_eq_u32_e64 s6, 0, v5
	v_add3_u32 v2, v2, v33, v61
	v_cmp_lt_u32_e64 s5, 1, v5
	v_cmp_lt_u32_e64 s4, 3, v5
	;; [unrolled: 1-line block ×3, first 2 shown]
	v_cmp_eq_u32_e64 s1, 0, v7
	v_add3_u32 v2, v2, v63, v62
	v_cmp_eq_u32_e64 s0, v0, v6
	s_mov_b32 s7, -1
	v_add3_u32 v66, v2, v29, v3
	s_cbranch_vccz .LBB692_60
; %bb.39:
	s_delay_alu instid0(VALU_DEP_1) | instskip(NEXT) | instid1(VALU_DEP_1)
	v_mov_b32_dpp v2, v66 row_shr:1 row_mask:0xf bank_mask:0xf
	v_cndmask_b32_e64 v2, v2, 0, s6
	s_delay_alu instid0(VALU_DEP_1) | instskip(NEXT) | instid1(VALU_DEP_1)
	v_add_nc_u32_e32 v2, v2, v66
	v_mov_b32_dpp v3, v2 row_shr:2 row_mask:0xf bank_mask:0xf
	s_delay_alu instid0(VALU_DEP_1) | instskip(NEXT) | instid1(VALU_DEP_1)
	v_cndmask_b32_e64 v3, 0, v3, s5
	v_add_nc_u32_e32 v2, v2, v3
	s_delay_alu instid0(VALU_DEP_1) | instskip(NEXT) | instid1(VALU_DEP_1)
	v_mov_b32_dpp v3, v2 row_shr:4 row_mask:0xf bank_mask:0xf
	v_cndmask_b32_e64 v3, 0, v3, s4
	s_delay_alu instid0(VALU_DEP_1) | instskip(NEXT) | instid1(VALU_DEP_1)
	v_add_nc_u32_e32 v2, v2, v3
	v_mov_b32_dpp v3, v2 row_shr:8 row_mask:0xf bank_mask:0xf
	s_delay_alu instid0(VALU_DEP_1) | instskip(NEXT) | instid1(VALU_DEP_1)
	v_cndmask_b32_e64 v3, 0, v3, s3
	v_add_nc_u32_e32 v2, v2, v3
	ds_swizzle_b32 v3, v2 offset:swizzle(BROADCAST,32,15)
	s_wait_dscnt 0x0
	v_cndmask_b32_e64 v3, v3, 0, s1
	s_delay_alu instid0(VALU_DEP_1)
	v_add_nc_u32_e32 v2, v2, v3
	s_and_saveexec_b32 s7, s0
; %bb.40:
	v_lshlrev_b32_e32 v3, 2, v65
	ds_store_b32 v3, v2
; %bb.41:
	s_or_b32 exec_lo, exec_lo, s7
	s_delay_alu instid0(SALU_CYCLE_1)
	s_mov_b32 s7, exec_lo
	s_wait_dscnt 0x0
	s_barrier_signal -1
	s_barrier_wait -1
	v_cmpx_gt_u32_e32 8, v0
	s_cbranch_execz .LBB692_43
; %bb.42:
	ds_load_b32 v3, v19
	s_wait_dscnt 0x0
	v_mov_b32_dpp v6, v3 row_shr:1 row_mask:0xf bank_mask:0xf
	v_and_b32_e32 v5, 7, v64
	s_delay_alu instid0(VALU_DEP_1) | instskip(NEXT) | instid1(VALU_DEP_3)
	v_cmp_ne_u32_e32 vcc_lo, 0, v5
	v_cndmask_b32_e32 v6, 0, v6, vcc_lo
	v_cmp_lt_u32_e32 vcc_lo, 1, v5
	s_delay_alu instid0(VALU_DEP_2) | instskip(NEXT) | instid1(VALU_DEP_1)
	v_add_nc_u32_e32 v3, v6, v3
	v_mov_b32_dpp v6, v3 row_shr:2 row_mask:0xf bank_mask:0xf
	s_delay_alu instid0(VALU_DEP_1) | instskip(SKIP_1) | instid1(VALU_DEP_2)
	v_cndmask_b32_e32 v6, 0, v6, vcc_lo
	v_cmp_lt_u32_e32 vcc_lo, 3, v5
	v_add_nc_u32_e32 v3, v3, v6
	s_delay_alu instid0(VALU_DEP_1) | instskip(NEXT) | instid1(VALU_DEP_1)
	v_mov_b32_dpp v6, v3 row_shr:4 row_mask:0xf bank_mask:0xf
	v_cndmask_b32_e32 v5, 0, v6, vcc_lo
	s_delay_alu instid0(VALU_DEP_1)
	v_add_nc_u32_e32 v3, v3, v5
	ds_store_b32 v19, v3
.LBB692_43:
	s_or_b32 exec_lo, exec_lo, s7
	s_delay_alu instid0(SALU_CYCLE_1)
	s_mov_b32 s8, exec_lo
	v_cmp_gt_u32_e32 vcc_lo, 32, v0
	s_wait_dscnt 0x0
	s_barrier_signal -1
	s_barrier_wait -1
                                        ; implicit-def: $vgpr10
	v_cmpx_lt_u32_e32 31, v0
	s_cbranch_execz .LBB692_45
; %bb.44:
	v_lshl_add_u32 v3, v65, 2, -4
	ds_load_b32 v10, v3
	s_wait_dscnt 0x0
	v_add_nc_u32_e32 v2, v10, v2
.LBB692_45:
	s_or_b32 exec_lo, exec_lo, s8
	v_sub_co_u32 v3, s7, v64, 1
	s_delay_alu instid0(VALU_DEP_1) | instskip(NEXT) | instid1(VALU_DEP_1)
	v_cmp_gt_i32_e64 s8, 0, v3
	v_cndmask_b32_e64 v3, v3, v64, s8
	s_delay_alu instid0(VALU_DEP_1)
	v_lshlrev_b32_e32 v3, 2, v3
	ds_bpermute_b32 v11, v3, v2
	s_and_saveexec_b32 s8, vcc_lo
	s_cbranch_execz .LBB692_65
; %bb.46:
	v_dual_mov_b32 v9, 0 :: v_dual_add_nc_u32 v12, 32, v4
	ds_load_b32 v2, v9 offset:28
	s_and_saveexec_b32 s15, s7
	s_cbranch_execz .LBB692_48
; %bb.47:
	v_mov_b32_e32 v3, 1
	s_wait_dscnt 0x0
	global_store_b64 v12, v[2:3], s[20:21] scale_offset scope:SCOPE_DEV
.LBB692_48:
	s_wait_xcnt 0x0
	s_or_b32 exec_lo, exec_lo, s15
	v_xad_u32 v4, v64, -1, v4
	s_mov_b32 s23, 0
	s_mov_b32 s15, exec_lo
	s_delay_alu instid0(VALU_DEP_1) | instskip(SKIP_4) | instid1(VALU_DEP_1)
	v_add_nc_u32_e32 v8, 32, v4
	global_load_b64 v[6:7], v8, s[20:21] scale_offset scope:SCOPE_DEV
	s_wait_loadcnt 0x0
	v_and_b32_e32 v3, 0xff, v7
	s_wait_xcnt 0x0
	v_cmpx_eq_u16_e32 0, v3
	s_cbranch_execz .LBB692_52
; %bb.49:
	v_lshl_add_u64 v[8:9], v[8:9], 3, s[20:21]
.LBB692_50:                             ; =>This Inner Loop Header: Depth=1
	global_load_b64 v[6:7], v[8:9], off scope:SCOPE_DEV
	s_wait_loadcnt 0x0
	v_and_b32_e32 v3, 0xff, v7
	s_delay_alu instid0(VALU_DEP_1)
	v_cmp_ne_u16_e32 vcc_lo, 0, v3
	s_or_b32 s23, vcc_lo, s23
	s_wait_xcnt 0x0
	s_and_not1_b32 exec_lo, exec_lo, s23
	s_cbranch_execnz .LBB692_50
; %bb.51:
	s_or_b32 exec_lo, exec_lo, s23
.LBB692_52:
	s_delay_alu instid0(SALU_CYCLE_1)
	s_or_b32 exec_lo, exec_lo, s15
	v_cmp_ne_u32_e32 vcc_lo, 31, v64
	v_lshlrev_b32_e64 v14, v64, -1
	v_lshl_or_b32 v69, v64, 2, 64
	v_dual_add_nc_u32 v16, 2, v64 :: v_dual_add_nc_u32 v56, 4, v64
	v_add_co_ci_u32_e64 v3, null, 0, v64, vcc_lo
	v_dual_add_nc_u32 v68, 8, v64 :: v_dual_add_nc_u32 v70, 16, v64
	s_delay_alu instid0(VALU_DEP_2)
	v_lshlrev_b32_e32 v13, 2, v3
	v_and_b32_e32 v3, 0xff, v7
	ds_bpermute_b32 v5, v13, v6
	v_cmp_eq_u16_e32 vcc_lo, 2, v3
	v_and_or_b32 v3, vcc_lo, v14, 0x80000000
	v_cmp_gt_u32_e32 vcc_lo, 30, v64
	s_delay_alu instid0(VALU_DEP_2) | instskip(SKIP_1) | instid1(VALU_DEP_2)
	v_ctz_i32_b32_e32 v3, v3
	v_cndmask_b32_e64 v8, 0, 2, vcc_lo
	v_cmp_lt_u32_e32 vcc_lo, v64, v3
	s_delay_alu instid0(VALU_DEP_2) | instskip(SKIP_3) | instid1(VALU_DEP_2)
	v_add_lshl_u32 v15, v8, v64, 2
	s_wait_dscnt 0x0
	v_cndmask_b32_e32 v5, 0, v5, vcc_lo
	v_cmp_gt_u32_e32 vcc_lo, 28, v64
	v_add_nc_u32_e32 v5, v5, v6
	v_cndmask_b32_e64 v8, 0, 4, vcc_lo
	v_cmp_le_u32_e32 vcc_lo, v16, v3
	ds_bpermute_b32 v6, v15, v5
	v_add_lshl_u32 v17, v8, v64, 2
	s_wait_dscnt 0x0
	v_cndmask_b32_e32 v6, 0, v6, vcc_lo
	v_cmp_gt_u32_e32 vcc_lo, 24, v64
	v_cndmask_b32_e64 v8, 0, 8, vcc_lo
	v_cmp_le_u32_e32 vcc_lo, v56, v3
	s_delay_alu instid0(VALU_DEP_4) | instskip(NEXT) | instid1(VALU_DEP_3)
	v_add_nc_u32_e32 v5, v5, v6
	v_add_lshl_u32 v67, v8, v64, 2
	ds_bpermute_b32 v6, v17, v5
	s_wait_dscnt 0x0
	v_cndmask_b32_e32 v6, 0, v6, vcc_lo
	v_cmp_le_u32_e32 vcc_lo, v68, v3
	s_delay_alu instid0(VALU_DEP_2) | instskip(SKIP_4) | instid1(VALU_DEP_2)
	v_add_nc_u32_e32 v5, v5, v6
	ds_bpermute_b32 v6, v67, v5
	s_wait_dscnt 0x0
	v_cndmask_b32_e32 v6, 0, v6, vcc_lo
	v_cmp_le_u32_e32 vcc_lo, v70, v3
	v_add_nc_u32_e32 v5, v5, v6
	ds_bpermute_b32 v6, v69, v5
	s_wait_dscnt 0x0
	v_cndmask_b32_e32 v3, 0, v6, vcc_lo
	s_delay_alu instid0(VALU_DEP_1)
	v_dual_mov_b32 v5, 0 :: v_dual_add_nc_u32 v6, v5, v3
	s_branch .LBB692_56
.LBB692_53:                             ;   in Loop: Header=BB692_56 Depth=1
	s_or_b32 exec_lo, exec_lo, s23
.LBB692_54:                             ;   in Loop: Header=BB692_56 Depth=1
	s_delay_alu instid0(SALU_CYCLE_1)
	s_or_b32 exec_lo, exec_lo, s15
	v_and_b32_e32 v8, 0xff, v7
	ds_bpermute_b32 v9, v13, v6
	v_subrev_nc_u32_e32 v4, 32, v4
	s_mov_b32 s15, 0
	v_cmp_eq_u16_e32 vcc_lo, 2, v8
	v_and_or_b32 v8, vcc_lo, v14, 0x80000000
	s_delay_alu instid0(VALU_DEP_1) | instskip(NEXT) | instid1(VALU_DEP_1)
	v_ctz_i32_b32_e32 v8, v8
	v_cmp_lt_u32_e32 vcc_lo, v64, v8
	s_wait_dscnt 0x0
	v_cndmask_b32_e32 v9, 0, v9, vcc_lo
	v_cmp_le_u32_e32 vcc_lo, v16, v8
	s_delay_alu instid0(VALU_DEP_2) | instskip(SKIP_4) | instid1(VALU_DEP_2)
	v_add_nc_u32_e32 v6, v9, v6
	ds_bpermute_b32 v9, v15, v6
	s_wait_dscnt 0x0
	v_cndmask_b32_e32 v9, 0, v9, vcc_lo
	v_cmp_le_u32_e32 vcc_lo, v56, v8
	v_add_nc_u32_e32 v6, v6, v9
	ds_bpermute_b32 v9, v17, v6
	s_wait_dscnt 0x0
	v_cndmask_b32_e32 v9, 0, v9, vcc_lo
	v_cmp_le_u32_e32 vcc_lo, v68, v8
	s_delay_alu instid0(VALU_DEP_2) | instskip(SKIP_4) | instid1(VALU_DEP_2)
	v_add_nc_u32_e32 v6, v6, v9
	ds_bpermute_b32 v9, v67, v6
	s_wait_dscnt 0x0
	v_cndmask_b32_e32 v9, 0, v9, vcc_lo
	v_cmp_le_u32_e32 vcc_lo, v70, v8
	v_add_nc_u32_e32 v6, v6, v9
	ds_bpermute_b32 v9, v69, v6
	s_wait_dscnt 0x0
	v_cndmask_b32_e32 v8, 0, v9, vcc_lo
	s_delay_alu instid0(VALU_DEP_1)
	v_add3_u32 v6, v8, v3, v6
.LBB692_55:                             ;   in Loop: Header=BB692_56 Depth=1
	s_and_b32 vcc_lo, exec_lo, s15
	s_cbranch_vccnz .LBB692_61
.LBB692_56:                             ; =>This Loop Header: Depth=1
                                        ;     Child Loop BB692_59 Depth 2
	v_and_b32_e32 v3, 0xff, v7
	s_mov_b32 s15, -1
                                        ; implicit-def: $vgpr7
	s_delay_alu instid0(VALU_DEP_1)
	v_cmp_ne_u16_e32 vcc_lo, 2, v3
	v_mov_b32_e32 v3, v6
                                        ; implicit-def: $vgpr6
	s_cmp_lg_u32 vcc_lo, exec_lo
	s_cbranch_scc1 .LBB692_55
; %bb.57:                               ;   in Loop: Header=BB692_56 Depth=1
	global_load_b64 v[6:7], v4, s[20:21] scale_offset scope:SCOPE_DEV
	s_mov_b32 s15, exec_lo
	s_wait_loadcnt 0x0
	v_and_b32_e32 v8, 0xff, v7
	s_wait_xcnt 0x0
	s_delay_alu instid0(VALU_DEP_1)
	v_cmpx_eq_u16_e32 0, v8
	s_cbranch_execz .LBB692_54
; %bb.58:                               ;   in Loop: Header=BB692_56 Depth=1
	v_lshl_add_u64 v[8:9], v[4:5], 3, s[20:21]
	s_mov_b32 s23, 0
.LBB692_59:                             ;   Parent Loop BB692_56 Depth=1
                                        ; =>  This Inner Loop Header: Depth=2
	global_load_b64 v[6:7], v[8:9], off scope:SCOPE_DEV
	s_wait_loadcnt 0x0
	v_and_b32_e32 v71, 0xff, v7
	s_delay_alu instid0(VALU_DEP_1)
	v_cmp_ne_u16_e32 vcc_lo, 0, v71
	s_or_b32 s23, vcc_lo, s23
	s_wait_xcnt 0x0
	s_and_not1_b32 exec_lo, exec_lo, s23
	s_cbranch_execnz .LBB692_59
	s_branch .LBB692_53
.LBB692_60:
                                        ; implicit-def: $vgpr2_vgpr3_vgpr4_vgpr5_vgpr6_vgpr7_vgpr8_vgpr9_vgpr10_vgpr11_vgpr12_vgpr13_vgpr14_vgpr15_vgpr16_vgpr17
                                        ; implicit-def: $vgpr56
                                        ; implicit-def: $vgpr16
	s_and_b32 vcc_lo, exec_lo, s7
	s_cbranch_vccnz .LBB692_66
	s_branch .LBB692_75
.LBB692_61:
	s_and_saveexec_b32 s15, s7
	s_cbranch_execz .LBB692_63
; %bb.62:
	v_dual_mov_b32 v5, 2 :: v_dual_add_nc_u32 v4, v3, v2
	v_mov_b32_e32 v6, 0
	global_store_b64 v12, v[4:5], s[20:21] scale_offset scope:SCOPE_DEV
	ds_store_b64 v6, v[2:3] offset:13312
.LBB692_63:
	s_wait_xcnt 0x0
	s_or_b32 exec_lo, exec_lo, s15
	s_delay_alu instid0(SALU_CYCLE_1)
	s_and_b32 exec_lo, exec_lo, s2
; %bb.64:
	v_mov_b32_e32 v2, 0
	ds_store_b32 v2, v3 offset:28
.LBB692_65:
	s_or_b32 exec_lo, exec_lo, s8
	s_wait_dscnt 0x0
	v_dual_mov_b32 v12, 0 :: v_dual_cndmask_b32 v3, v11, v10, s7
	s_wait_storecnt 0x0
	s_barrier_signal -1
	s_barrier_wait -1
	ds_load_b32 v2, v12 offset:28
	v_cndmask_b32_e64 v3, v3, 0, s2
	s_wait_dscnt 0x0
	s_barrier_signal -1
	s_barrier_wait -1
	ds_load_b64 v[16:17], v12 offset:13312
	v_add_nc_u32_e32 v2, v2, v3
	s_wait_dscnt 0x0
	s_delay_alu instid0(VALU_DEP_1) | instskip(NEXT) | instid1(VALU_DEP_1)
	v_dual_mov_b32 v56, v17 :: v_dual_add_nc_u32 v3, v2, v57
	v_add_nc_u32_e32 v4, v3, v41
	s_delay_alu instid0(VALU_DEP_1) | instskip(NEXT) | instid1(VALU_DEP_1)
	v_add_nc_u32_e32 v5, v4, v39
	v_add_nc_u32_e32 v6, v5, v37
	s_delay_alu instid0(VALU_DEP_1) | instskip(NEXT) | instid1(VALU_DEP_1)
	v_add_nc_u32_e32 v7, v6, v58
	;; [unrolled: 3-line block ×5, first 2 shown]
	v_add_nc_u32_e32 v14, v13, v29
	s_branch .LBB692_75
.LBB692_66:
	v_mov_b32_dpp v2, v66 row_shr:1 row_mask:0xf bank_mask:0xf
	s_delay_alu instid0(VALU_DEP_1) | instskip(NEXT) | instid1(VALU_DEP_1)
	v_cndmask_b32_e64 v2, v2, 0, s6
	v_add_nc_u32_e32 v2, v2, v66
	s_delay_alu instid0(VALU_DEP_1) | instskip(NEXT) | instid1(VALU_DEP_1)
	v_mov_b32_dpp v3, v2 row_shr:2 row_mask:0xf bank_mask:0xf
	v_cndmask_b32_e64 v3, 0, v3, s5
	s_delay_alu instid0(VALU_DEP_1) | instskip(NEXT) | instid1(VALU_DEP_1)
	v_add_nc_u32_e32 v2, v2, v3
	v_mov_b32_dpp v3, v2 row_shr:4 row_mask:0xf bank_mask:0xf
	s_delay_alu instid0(VALU_DEP_1) | instskip(NEXT) | instid1(VALU_DEP_1)
	v_cndmask_b32_e64 v3, 0, v3, s4
	v_add_nc_u32_e32 v2, v2, v3
	s_delay_alu instid0(VALU_DEP_1) | instskip(NEXT) | instid1(VALU_DEP_1)
	v_mov_b32_dpp v3, v2 row_shr:8 row_mask:0xf bank_mask:0xf
	v_cndmask_b32_e64 v3, 0, v3, s3
	s_delay_alu instid0(VALU_DEP_1) | instskip(SKIP_3) | instid1(VALU_DEP_1)
	v_add_nc_u32_e32 v2, v2, v3
	ds_swizzle_b32 v3, v2 offset:swizzle(BROADCAST,32,15)
	s_wait_dscnt 0x0
	v_cndmask_b32_e64 v3, v3, 0, s1
	v_add_nc_u32_e32 v2, v2, v3
	s_and_saveexec_b32 s1, s0
; %bb.67:
	v_lshlrev_b32_e32 v3, 2, v65
	ds_store_b32 v3, v2
; %bb.68:
	s_or_b32 exec_lo, exec_lo, s1
	s_delay_alu instid0(SALU_CYCLE_1)
	s_mov_b32 s0, exec_lo
	s_wait_dscnt 0x0
	s_barrier_signal -1
	s_barrier_wait -1
	v_cmpx_gt_u32_e32 8, v0
	s_cbranch_execz .LBB692_70
; %bb.69:
	ds_load_b32 v3, v19
	s_wait_dscnt 0x0
	v_mov_b32_dpp v5, v3 row_shr:1 row_mask:0xf bank_mask:0xf
	v_and_b32_e32 v4, 7, v64
	s_delay_alu instid0(VALU_DEP_1) | instskip(NEXT) | instid1(VALU_DEP_3)
	v_cmp_ne_u32_e32 vcc_lo, 0, v4
	v_cndmask_b32_e32 v5, 0, v5, vcc_lo
	v_cmp_lt_u32_e32 vcc_lo, 1, v4
	s_delay_alu instid0(VALU_DEP_2) | instskip(NEXT) | instid1(VALU_DEP_1)
	v_add_nc_u32_e32 v3, v5, v3
	v_mov_b32_dpp v5, v3 row_shr:2 row_mask:0xf bank_mask:0xf
	s_delay_alu instid0(VALU_DEP_1) | instskip(SKIP_1) | instid1(VALU_DEP_2)
	v_cndmask_b32_e32 v5, 0, v5, vcc_lo
	v_cmp_lt_u32_e32 vcc_lo, 3, v4
	v_add_nc_u32_e32 v3, v3, v5
	s_delay_alu instid0(VALU_DEP_1) | instskip(NEXT) | instid1(VALU_DEP_1)
	v_mov_b32_dpp v5, v3 row_shr:4 row_mask:0xf bank_mask:0xf
	v_cndmask_b32_e32 v4, 0, v5, vcc_lo
	s_delay_alu instid0(VALU_DEP_1)
	v_add_nc_u32_e32 v3, v3, v4
	ds_store_b32 v19, v3
.LBB692_70:
	s_or_b32 exec_lo, exec_lo, s0
	v_dual_mov_b32 v4, 0 :: v_dual_mov_b32 v3, 0
	s_mov_b32 s0, exec_lo
	s_wait_dscnt 0x0
	s_barrier_signal -1
	s_barrier_wait -1
	v_cmpx_lt_u32_e32 31, v0
; %bb.71:
	v_lshl_add_u32 v3, v65, 2, -4
	ds_load_b32 v3, v3
; %bb.72:
	s_or_b32 exec_lo, exec_lo, s0
	v_sub_co_u32 v5, vcc_lo, v64, 1
	ds_load_b32 v16, v4 offset:28
	s_wait_dscnt 0x1
	v_add_nc_u32_e32 v2, v3, v2
	v_cmp_gt_i32_e64 s0, 0, v5
	s_delay_alu instid0(VALU_DEP_1) | instskip(NEXT) | instid1(VALU_DEP_1)
	v_cndmask_b32_e64 v5, v5, v64, s0
	v_lshlrev_b32_e32 v5, 2, v5
	ds_bpermute_b32 v2, v5, v2
	s_and_saveexec_b32 s0, s2
	s_cbranch_execz .LBB692_74
; %bb.73:
	v_dual_mov_b32 v4, 0 :: v_dual_mov_b32 v17, 2
	s_wait_dscnt 0x1
	global_store_b64 v4, v[16:17], s[20:21] offset:256 scope:SCOPE_DEV
.LBB692_74:
	s_wait_xcnt 0x0
	s_or_b32 exec_lo, exec_lo, s0
	s_wait_dscnt 0x0
	v_cndmask_b32_e32 v2, v2, v3, vcc_lo
	s_wait_storecnt 0x0
	s_barrier_signal -1
	s_barrier_wait -1
	s_delay_alu instid0(VALU_DEP_1) | instskip(NEXT) | instid1(VALU_DEP_1)
	v_cndmask_b32_e64 v2, v2, 0, s2
	v_dual_mov_b32 v56, 0 :: v_dual_add_nc_u32 v3, v2, v57
	s_delay_alu instid0(VALU_DEP_1) | instskip(NEXT) | instid1(VALU_DEP_1)
	v_add_nc_u32_e32 v4, v3, v41
	v_add_nc_u32_e32 v5, v4, v39
	s_delay_alu instid0(VALU_DEP_1) | instskip(NEXT) | instid1(VALU_DEP_1)
	v_add_nc_u32_e32 v6, v5, v37
	v_add_nc_u32_e32 v7, v6, v58
	;; [unrolled: 3-line block ×5, first 2 shown]
	s_delay_alu instid0(VALU_DEP_1)
	v_add_nc_u32_e32 v14, v13, v29
.LBB692_75:
	v_dual_lshrrev_b32 v57, 16, v35 :: v_dual_lshrrev_b32 v58, 8, v35
	v_dual_add_nc_u32 v23, v16, v23 :: v_dual_sub_nc_u32 v3, v3, v56
	v_dual_sub_nc_u32 v2, v2, v56 :: v_dual_bitop2_b32 v35, 1, v35 bitop3:0x40
	s_delay_alu instid0(VALU_DEP_3) | instskip(NEXT) | instid1(VALU_DEP_3)
	v_dual_sub_nc_u32 v4, v4, v56 :: v_dual_bitop2_b32 v58, 1, v58 bitop3:0x40
	v_dual_sub_nc_u32 v59, v23, v3 :: v_dual_bitop2_b32 v57, 1, v57 bitop3:0x40
	s_delay_alu instid0(VALU_DEP_3) | instskip(NEXT) | instid1(VALU_DEP_4)
	v_dual_sub_nc_u32 v60, v23, v2 :: v_dual_sub_nc_u32 v5, v5, v56
	v_cmp_eq_u32_e32 vcc_lo, 1, v35
	s_delay_alu instid0(VALU_DEP_3) | instskip(SKIP_1) | instid1(VALU_DEP_4)
	v_dual_sub_nc_u32 v61, v23, v4 :: v_dual_add_nc_u32 v59, 1, v59
	v_dual_lshrrev_b32 v41, 8, v31 :: v_dual_lshrrev_b32 v39, 16, v31
	v_cndmask_b32_e32 v2, v60, v2, vcc_lo
	v_cmp_eq_u32_e32 vcc_lo, 1, v58
	v_dual_lshrrev_b32 v15, 16, v27 :: v_dual_lshrrev_b32 v17, 8, v27
	v_cndmask_b32_e32 v3, v59, v3, vcc_lo
	s_delay_alu instid0(VALU_DEP_4)
	v_dual_sub_nc_u32 v35, v23, v5 :: v_dual_lshlrev_b32 v2, 2, v2
	v_and_b32_e32 v37, 1, v37
	v_add_nc_u32_e32 v58, 2, v61
	v_cmp_eq_u32_e32 vcc_lo, 1, v57
	v_lshlrev_b32_e32 v3, 2, v3
	v_add_nc_u32_e32 v35, 3, v35
	ds_store_b32 v2, v54
	ds_store_b32 v3, v55
	v_cndmask_b32_e32 v4, v58, v4, vcc_lo
	v_cmp_eq_u32_e32 vcc_lo, 1, v37
	v_dual_cndmask_b32 v5, v35, v5 :: v_dual_sub_nc_u32 v6, v6, v56
	s_delay_alu instid0(VALU_DEP_1) | instskip(NEXT) | instid1(VALU_DEP_2)
	v_dual_lshlrev_b32 v3, 2, v4 :: v_dual_lshlrev_b32 v4, 2, v5
	v_sub_nc_u32_e32 v2, v23, v6
	v_dual_sub_nc_u32 v5, v7, v56 :: v_dual_bitop2_b32 v7, 1, v31 bitop3:0x40
	s_delay_alu instid0(VALU_DEP_2)
	v_add_nc_u32_e32 v2, 4, v2
	ds_store_b32 v3, v52
	ds_store_b32 v4, v53
	v_cmp_eq_u32_e32 vcc_lo, 1, v7
	v_dual_sub_nc_u32 v4, v8, v56 :: v_dual_cndmask_b32 v2, v2, v6, vcc_lo
	v_sub_nc_u32_e32 v3, v23, v5
	v_dual_sub_nc_u32 v7, v9, v56 :: v_dual_bitop2_b32 v6, 1, v41 bitop3:0x40
	s_delay_alu instid0(VALU_DEP_2) | instskip(NEXT) | instid1(VALU_DEP_2)
	v_dual_lshlrev_b32 v2, 2, v2 :: v_dual_add_nc_u32 v3, 5, v3
	v_cmp_eq_u32_e32 vcc_lo, 1, v6
	v_dual_sub_nc_u32 v8, v23, v4 :: v_dual_bitop2_b32 v6, 1, v39 bitop3:0x40
	ds_store_b32 v2, v50
	v_and_b32_e32 v2, 1, v33
	v_cndmask_b32_e32 v3, v3, v5, vcc_lo
	v_dual_sub_nc_u32 v5, v23, v7 :: v_dual_add_nc_u32 v8, 6, v8
	v_cmp_eq_u32_e32 vcc_lo, 1, v6
	s_delay_alu instid0(VALU_DEP_3) | instskip(NEXT) | instid1(VALU_DEP_3)
	v_dual_sub_nc_u32 v6, v11, v56 :: v_dual_lshlrev_b32 v3, 2, v3
	v_dual_cndmask_b32 v4, v8, v4 :: v_dual_add_nc_u32 v5, 7, v5
	v_cmp_eq_u32_e32 vcc_lo, 1, v2
	ds_store_b32 v3, v51
	v_dual_sub_nc_u32 v3, v23, v6 :: v_dual_sub_nc_u32 v8, v14, v56
	v_dual_lshlrev_b32 v4, 2, v4 :: v_dual_cndmask_b32 v2, v5, v7, vcc_lo
	v_dual_sub_nc_u32 v5, v10, v56 :: v_dual_bitop2_b32 v7, 1, v17 bitop3:0x40
	s_delay_alu instid0(VALU_DEP_3)
	v_add_nc_u32_e32 v3, 9, v3
	ds_store_b32 v4, v48
	v_dual_lshlrev_b32 v2, 2, v2 :: v_dual_sub_nc_u32 v4, v23, v5
	v_cmp_eq_u32_e32 vcc_lo, 1, v7
	v_sub_nc_u32_e32 v7, v12, v56
	v_sub_nc_u32_e32 v9, v23, v8
	ds_store_b32 v2, v49
	v_dual_add_nc_u32 v4, 8, v4 :: v_dual_bitop2_b32 v2, 1, v27 bitop3:0x40
	v_dual_cndmask_b32 v3, v3, v6 :: v_dual_sub_nc_u32 v6, v13, v56
	s_delay_alu instid0(VALU_DEP_2) | instskip(NEXT) | instid1(VALU_DEP_2)
	v_cmp_eq_u32_e32 vcc_lo, 1, v2
	v_dual_cndmask_b32 v2, v4, v5, vcc_lo :: v_dual_sub_nc_u32 v4, v23, v6
	v_and_b32_e32 v10, 1, v15
	v_dual_sub_nc_u32 v5, v23, v7 :: v_dual_bitop2_b32 v12, 1, v25 bitop3:0x40
	s_delay_alu instid0(VALU_DEP_3) | instskip(SKIP_1) | instid1(VALU_DEP_1)
	v_dual_lshlrev_b32 v2, 2, v2 :: v_dual_add_nc_u32 v4, 11, v4
	v_and_b32_e32 v11, 1, v29
	v_cmp_eq_u32_e32 vcc_lo, 1, v11
	s_delay_alu instid0(VALU_DEP_3) | instskip(SKIP_3) | instid1(VALU_DEP_1)
	v_cndmask_b32_e32 v4, v4, v6, vcc_lo
	v_cmp_eq_u32_e32 vcc_lo, 1, v10
	v_add_nc_u32_e32 v9, 12, v9
	v_add_nc_u32_e32 v5, 10, v5
	v_cndmask_b32_e32 v5, v5, v7, vcc_lo
	v_cmp_eq_u32_e32 vcc_lo, 1, v12
	s_delay_alu instid0(VALU_DEP_2) | instskip(SKIP_3) | instid1(VALU_DEP_3)
	v_dual_lshlrev_b32 v3, 2, v3 :: v_dual_lshlrev_b32 v5, 2, v5
	v_cndmask_b32_e32 v6, v9, v8, vcc_lo
	v_lshlrev_b32_e32 v4, 2, v4
	v_cmp_ne_u32_e32 vcc_lo, 1, v21
	v_lshlrev_b32_e32 v6, 2, v6
	ds_store_b32 v2, v46
	ds_store_b32 v3, v47
	;; [unrolled: 1-line block ×5, first 2 shown]
	s_wait_dscnt 0x0
	s_barrier_signal -1
	s_barrier_wait -1
	ds_load_2addr_stride64_b32 v[14:15], v19 offset1:4
	ds_load_2addr_stride64_b32 v[12:13], v19 offset0:8 offset1:12
	ds_load_2addr_stride64_b32 v[10:11], v19 offset0:16 offset1:20
	;; [unrolled: 1-line block ×5, first 2 shown]
	ds_load_b32 v46, v19 offset:12288
	v_mov_b32_e32 v1, 0
	s_and_b32 vcc_lo, exec_lo, vcc_lo
	s_delay_alu instid0(VALU_DEP_1) | instskip(SKIP_2) | instid1(VALU_DEP_3)
	v_dual_mov_b32 v29, v1 :: v_dual_mov_b32 v57, v1
	v_dual_mov_b32 v41, v1 :: v_dual_mov_b32 v39, v1
	v_dual_mov_b32 v37, v1 :: v_dual_mov_b32 v35, v1
	v_add_nc_u64_e32 v[2:3], v[42:43], v[56:57]
	v_dual_mov_b32 v33, v1 :: v_dual_mov_b32 v31, v1
	v_dual_mov_b32 v27, v1 :: v_dual_mov_b32 v25, v1
	;; [unrolled: 1-line block ×3, first 2 shown]
	v_mov_b32_e32 v19, v1
	s_cbranch_vccnz .LBB692_132
; %bb.76:
	v_mov_b32_e32 v17, v1
	s_mov_b32 s15, 0
	v_sub_nc_u64_e64 v[42:43], v[2:3], s[16:17]
	s_sub_nc_u64 s[0:1], s[18:19], s[14:15]
	s_delay_alu instid0(VALU_DEP_2) | instid1(SALU_CYCLE_1)
	v_add_nc_u64_e32 v[44:45], s[0:1], v[16:17]
	s_mov_b32 s0, exec_lo
	s_delay_alu instid0(VALU_DEP_1)
	v_add_nc_u64_e32 v[42:43], v[44:45], v[42:43]
                                        ; implicit-def: $vgpr44_vgpr45
	v_cmpx_ge_u32_e64 v0, v16
	s_xor_b32 s0, exec_lo, s0
; %bb.77:
	v_not_b32_e32 v44, v0
	s_delay_alu instid0(VALU_DEP_1) | instskip(NEXT) | instid1(VALU_DEP_1)
	v_ashrrev_i32_e32 v45, 31, v44
	v_add_nc_u64_e32 v[44:45], v[42:43], v[44:45]
; %bb.78:
	s_and_not1_saveexec_b32 s0, s0
; %bb.79:
	v_add_nc_u64_e32 v[44:45], v[2:3], v[0:1]
; %bb.80:
	s_or_b32 exec_lo, exec_lo, s0
	s_delay_alu instid0(VALU_DEP_1)
	v_lshl_add_u64 v[44:45], v[44:45], 2, s[10:11]
	s_mov_b32 s0, exec_lo
	s_wait_dscnt 0x6
	global_store_b32 v[44:45], v14, off
                                        ; implicit-def: $vgpr44_vgpr45
	s_wait_xcnt 0x0
	v_cmpx_ge_u32_e64 v40, v16
	s_xor_b32 s0, exec_lo, s0
; %bb.81:
	v_xor_b32_e32 v44, 0xfffffeff, v0
	s_delay_alu instid0(VALU_DEP_1) | instskip(NEXT) | instid1(VALU_DEP_1)
	v_ashrrev_i32_e32 v45, 31, v44
	v_add_nc_u64_e32 v[44:45], v[42:43], v[44:45]
; %bb.82:
	s_and_not1_saveexec_b32 s0, s0
; %bb.83:
	v_add_nc_u64_e32 v[44:45], v[2:3], v[40:41]
; %bb.84:
	s_or_b32 exec_lo, exec_lo, s0
	s_delay_alu instid0(VALU_DEP_1)
	v_lshl_add_u64 v[44:45], v[44:45], 2, s[10:11]
	s_mov_b32 s0, exec_lo
	global_store_b32 v[44:45], v15, off
                                        ; implicit-def: $vgpr44_vgpr45
	s_wait_xcnt 0x0
	v_cmpx_ge_u32_e64 v38, v16
	s_xor_b32 s0, exec_lo, s0
; %bb.85:
	v_xor_b32_e32 v44, 0xfffffdff, v0
	s_delay_alu instid0(VALU_DEP_1) | instskip(NEXT) | instid1(VALU_DEP_1)
	v_ashrrev_i32_e32 v45, 31, v44
	v_add_nc_u64_e32 v[44:45], v[42:43], v[44:45]
; %bb.86:
	s_and_not1_saveexec_b32 s0, s0
; %bb.87:
	v_add_nc_u64_e32 v[44:45], v[2:3], v[38:39]
; %bb.88:
	s_or_b32 exec_lo, exec_lo, s0
	s_delay_alu instid0(VALU_DEP_1)
	v_lshl_add_u64 v[44:45], v[44:45], 2, s[10:11]
	s_mov_b32 s0, exec_lo
	s_wait_dscnt 0x5
	global_store_b32 v[44:45], v12, off
                                        ; implicit-def: $vgpr44_vgpr45
	s_wait_xcnt 0x0
	v_cmpx_ge_u32_e64 v36, v16
	s_xor_b32 s0, exec_lo, s0
; %bb.89:
	v_xor_b32_e32 v44, 0xfffffcff, v0
	s_delay_alu instid0(VALU_DEP_1) | instskip(NEXT) | instid1(VALU_DEP_1)
	v_ashrrev_i32_e32 v45, 31, v44
	v_add_nc_u64_e32 v[44:45], v[42:43], v[44:45]
; %bb.90:
	s_and_not1_saveexec_b32 s0, s0
; %bb.91:
	v_add_nc_u64_e32 v[44:45], v[2:3], v[36:37]
; %bb.92:
	s_or_b32 exec_lo, exec_lo, s0
	s_delay_alu instid0(VALU_DEP_1)
	v_lshl_add_u64 v[44:45], v[44:45], 2, s[10:11]
	s_mov_b32 s0, exec_lo
	global_store_b32 v[44:45], v13, off
                                        ; implicit-def: $vgpr44_vgpr45
	s_wait_xcnt 0x0
	v_cmpx_ge_u32_e64 v34, v16
	s_xor_b32 s0, exec_lo, s0
; %bb.93:
	v_xor_b32_e32 v44, 0xfffffbff, v0
	;; [unrolled: 39-line block ×6, first 2 shown]
	s_delay_alu instid0(VALU_DEP_1) | instskip(NEXT) | instid1(VALU_DEP_1)
	v_ashrrev_i32_e32 v45, 31, v44
	v_add_nc_u64_e32 v[44:45], v[42:43], v[44:45]
; %bb.126:
	s_and_not1_saveexec_b32 s0, s0
; %bb.127:
	v_add_nc_u64_e32 v[44:45], v[2:3], v[18:19]
; %bb.128:
	s_or_b32 exec_lo, exec_lo, s0
	s_mov_b32 s0, -1
.LBB692_129:
	s_delay_alu instid0(SALU_CYCLE_1)
	s_and_saveexec_b32 s1, s0
	s_cbranch_execz .LBB692_212
.LBB692_130:
	s_delay_alu instid0(VALU_DEP_1)
	v_lshl_add_u64 v[0:1], v[44:45], 2, s[10:11]
	s_wait_dscnt 0x0
	global_store_b32 v[0:1], v46, off
	s_wait_xcnt 0x0
	s_or_b32 exec_lo, exec_lo, s1
	s_and_b32 s0, s2, s9
	s_delay_alu instid0(SALU_CYCLE_1)
	s_and_saveexec_b32 s1, s0
	s_cbranch_execnz .LBB692_213
.LBB692_131:
	s_sendmsg sendmsg(MSG_DEALLOC_VGPRS)
	s_endpgm
.LBB692_132:
	s_mov_b32 s0, 0
                                        ; implicit-def: $vgpr44_vgpr45
	s_cbranch_execz .LBB692_129
; %bb.133:
	s_mov_b32 s15, 0
	v_mov_b32_e32 v17, 0
	s_add_nc_u64 s[4:5], s[16:17], s[14:15]
	s_mov_b32 s1, exec_lo
	s_sub_nc_u64 s[4:5], s[18:19], s[4:5]
	s_delay_alu instid0(VALU_DEP_1) | instid1(SALU_CYCLE_1)
	v_add_nc_u64_e32 v[42:43], s[4:5], v[16:17]
	s_delay_alu instid0(VALU_DEP_1)
	v_add_nc_u64_e32 v[42:43], v[42:43], v[2:3]
	v_cmpx_gt_u32_e64 s22, v0
	s_cbranch_execz .LBB692_169
; %bb.134:
	s_mov_b32 s3, exec_lo
                                        ; implicit-def: $vgpr44_vgpr45
	v_cmpx_ge_u32_e64 v0, v16
	s_xor_b32 s3, exec_lo, s3
; %bb.135:
	v_not_b32_e32 v44, v0
	s_delay_alu instid0(VALU_DEP_1) | instskip(NEXT) | instid1(VALU_DEP_1)
	v_ashrrev_i32_e32 v45, 31, v44
	v_add_nc_u64_e32 v[44:45], v[42:43], v[44:45]
; %bb.136:
	s_and_not1_saveexec_b32 s3, s3
; %bb.137:
	v_add_nc_u64_e32 v[44:45], v[2:3], v[0:1]
; %bb.138:
	s_or_b32 exec_lo, exec_lo, s3
	s_delay_alu instid0(VALU_DEP_1) | instskip(SKIP_4) | instid1(SALU_CYCLE_1)
	v_lshl_add_u64 v[44:45], v[44:45], 2, s[10:11]
	s_wait_dscnt 0x6
	global_store_b32 v[44:45], v14, off
	s_wait_xcnt 0x0
	s_or_b32 exec_lo, exec_lo, s1
	s_mov_b32 s1, exec_lo
	v_cmpx_gt_u32_e64 s22, v40
	s_cbranch_execnz .LBB692_170
.LBB692_139:
	s_or_b32 exec_lo, exec_lo, s1
	s_delay_alu instid0(SALU_CYCLE_1)
	s_mov_b32 s1, exec_lo
	v_cmpx_gt_u32_e64 s22, v38
	s_cbranch_execz .LBB692_175
.LBB692_140:
	s_mov_b32 s3, exec_lo
                                        ; implicit-def: $vgpr14_vgpr15
	v_cmpx_ge_u32_e64 v38, v16
	s_xor_b32 s3, exec_lo, s3
	s_cbranch_execz .LBB692_142
; %bb.141:
	s_wait_dscnt 0x6
	v_xor_b32_e32 v14, 0xfffffdff, v0
                                        ; implicit-def: $vgpr38_vgpr39
	s_delay_alu instid0(VALU_DEP_1) | instskip(NEXT) | instid1(VALU_DEP_1)
	v_ashrrev_i32_e32 v15, 31, v14
	v_add_nc_u64_e32 v[14:15], v[42:43], v[14:15]
.LBB692_142:
	s_and_not1_saveexec_b32 s3, s3
	s_cbranch_execz .LBB692_144
; %bb.143:
	s_wait_dscnt 0x6
	v_add_nc_u64_e32 v[14:15], v[2:3], v[38:39]
.LBB692_144:
	s_or_b32 exec_lo, exec_lo, s3
	s_wait_dscnt 0x6
	s_delay_alu instid0(VALU_DEP_1) | instskip(SKIP_4) | instid1(SALU_CYCLE_1)
	v_lshl_add_u64 v[14:15], v[14:15], 2, s[10:11]
	s_wait_dscnt 0x5
	global_store_b32 v[14:15], v12, off
	s_wait_xcnt 0x0
	s_or_b32 exec_lo, exec_lo, s1
	s_mov_b32 s1, exec_lo
	v_cmpx_gt_u32_e64 s22, v36
	s_cbranch_execnz .LBB692_176
.LBB692_145:
	s_or_b32 exec_lo, exec_lo, s1
	s_delay_alu instid0(SALU_CYCLE_1)
	s_mov_b32 s1, exec_lo
	v_cmpx_gt_u32_e64 s22, v34
	s_cbranch_execz .LBB692_181
.LBB692_146:
	s_mov_b32 s3, exec_lo
                                        ; implicit-def: $vgpr12_vgpr13
	v_cmpx_ge_u32_e64 v34, v16
	s_xor_b32 s3, exec_lo, s3
	s_cbranch_execz .LBB692_148
; %bb.147:
	s_wait_dscnt 0x5
	v_xor_b32_e32 v12, 0xfffffbff, v0
                                        ; implicit-def: $vgpr34_vgpr35
	s_delay_alu instid0(VALU_DEP_1) | instskip(NEXT) | instid1(VALU_DEP_1)
	v_ashrrev_i32_e32 v13, 31, v12
	v_add_nc_u64_e32 v[12:13], v[42:43], v[12:13]
.LBB692_148:
	s_and_not1_saveexec_b32 s3, s3
	s_cbranch_execz .LBB692_150
; %bb.149:
	s_wait_dscnt 0x5
	v_add_nc_u64_e32 v[12:13], v[2:3], v[34:35]
.LBB692_150:
	s_or_b32 exec_lo, exec_lo, s3
	s_wait_dscnt 0x5
	s_delay_alu instid0(VALU_DEP_1) | instskip(SKIP_4) | instid1(SALU_CYCLE_1)
	v_lshl_add_u64 v[12:13], v[12:13], 2, s[10:11]
	s_wait_dscnt 0x4
	global_store_b32 v[12:13], v10, off
	s_wait_xcnt 0x0
	s_or_b32 exec_lo, exec_lo, s1
	s_mov_b32 s1, exec_lo
	v_cmpx_gt_u32_e64 s22, v32
	s_cbranch_execnz .LBB692_182
.LBB692_151:
	s_or_b32 exec_lo, exec_lo, s1
	s_delay_alu instid0(SALU_CYCLE_1)
	s_mov_b32 s1, exec_lo
	v_cmpx_gt_u32_e64 s22, v30
	s_cbranch_execz .LBB692_187
.LBB692_152:
	s_mov_b32 s3, exec_lo
                                        ; implicit-def: $vgpr10_vgpr11
	v_cmpx_ge_u32_e64 v30, v16
	s_xor_b32 s3, exec_lo, s3
	s_cbranch_execz .LBB692_154
; %bb.153:
	s_wait_dscnt 0x4
	v_xor_b32_e32 v10, 0xfffff9ff, v0
                                        ; implicit-def: $vgpr30_vgpr31
	s_delay_alu instid0(VALU_DEP_1) | instskip(NEXT) | instid1(VALU_DEP_1)
	v_ashrrev_i32_e32 v11, 31, v10
	v_add_nc_u64_e32 v[10:11], v[42:43], v[10:11]
.LBB692_154:
	s_and_not1_saveexec_b32 s3, s3
	s_cbranch_execz .LBB692_156
; %bb.155:
	s_wait_dscnt 0x4
	v_add_nc_u64_e32 v[10:11], v[2:3], v[30:31]
.LBB692_156:
	s_or_b32 exec_lo, exec_lo, s3
	s_wait_dscnt 0x4
	s_delay_alu instid0(VALU_DEP_1) | instskip(SKIP_4) | instid1(SALU_CYCLE_1)
	v_lshl_add_u64 v[10:11], v[10:11], 2, s[10:11]
	s_wait_dscnt 0x3
	global_store_b32 v[10:11], v8, off
	s_wait_xcnt 0x0
	s_or_b32 exec_lo, exec_lo, s1
	s_mov_b32 s1, exec_lo
	v_cmpx_gt_u32_e64 s22, v28
	s_cbranch_execnz .LBB692_188
.LBB692_157:
	s_or_b32 exec_lo, exec_lo, s1
	s_delay_alu instid0(SALU_CYCLE_1)
	s_mov_b32 s1, exec_lo
	v_cmpx_gt_u32_e64 s22, v26
	s_cbranch_execz .LBB692_193
.LBB692_158:
	s_mov_b32 s3, exec_lo
                                        ; implicit-def: $vgpr8_vgpr9
	v_cmpx_ge_u32_e64 v26, v16
	s_xor_b32 s3, exec_lo, s3
	s_cbranch_execz .LBB692_160
; %bb.159:
	s_wait_dscnt 0x3
	v_xor_b32_e32 v8, 0xfffff7ff, v0
                                        ; implicit-def: $vgpr26_vgpr27
	s_delay_alu instid0(VALU_DEP_1) | instskip(NEXT) | instid1(VALU_DEP_1)
	v_ashrrev_i32_e32 v9, 31, v8
	v_add_nc_u64_e32 v[8:9], v[42:43], v[8:9]
.LBB692_160:
	s_and_not1_saveexec_b32 s3, s3
	s_cbranch_execz .LBB692_162
; %bb.161:
	s_wait_dscnt 0x3
	v_add_nc_u64_e32 v[8:9], v[2:3], v[26:27]
.LBB692_162:
	s_or_b32 exec_lo, exec_lo, s3
	s_wait_dscnt 0x3
	s_delay_alu instid0(VALU_DEP_1) | instskip(SKIP_4) | instid1(SALU_CYCLE_1)
	v_lshl_add_u64 v[8:9], v[8:9], 2, s[10:11]
	s_wait_dscnt 0x2
	global_store_b32 v[8:9], v6, off
	s_wait_xcnt 0x0
	s_or_b32 exec_lo, exec_lo, s1
	s_mov_b32 s1, exec_lo
	v_cmpx_gt_u32_e64 s22, v24
	s_cbranch_execnz .LBB692_194
.LBB692_163:
	s_or_b32 exec_lo, exec_lo, s1
	s_delay_alu instid0(SALU_CYCLE_1)
	s_mov_b32 s1, exec_lo
	v_cmpx_gt_u32_e64 s22, v22
	s_cbranch_execz .LBB692_199
.LBB692_164:
	s_mov_b32 s3, exec_lo
                                        ; implicit-def: $vgpr6_vgpr7
	v_cmpx_ge_u32_e64 v22, v16
	s_xor_b32 s3, exec_lo, s3
	s_cbranch_execz .LBB692_166
; %bb.165:
	s_wait_dscnt 0x2
	v_xor_b32_e32 v6, 0xfffff5ff, v0
                                        ; implicit-def: $vgpr22_vgpr23
	s_delay_alu instid0(VALU_DEP_1) | instskip(NEXT) | instid1(VALU_DEP_1)
	v_ashrrev_i32_e32 v7, 31, v6
	v_add_nc_u64_e32 v[6:7], v[42:43], v[6:7]
.LBB692_166:
	s_and_not1_saveexec_b32 s3, s3
	s_cbranch_execz .LBB692_168
; %bb.167:
	s_wait_dscnt 0x2
	v_add_nc_u64_e32 v[6:7], v[2:3], v[22:23]
.LBB692_168:
	s_or_b32 exec_lo, exec_lo, s3
	s_wait_dscnt 0x2
	s_delay_alu instid0(VALU_DEP_1) | instskip(SKIP_4) | instid1(SALU_CYCLE_1)
	v_lshl_add_u64 v[6:7], v[6:7], 2, s[10:11]
	s_wait_dscnt 0x1
	global_store_b32 v[6:7], v4, off
	s_wait_xcnt 0x0
	s_or_b32 exec_lo, exec_lo, s1
	s_mov_b32 s1, exec_lo
	v_cmpx_gt_u32_e64 s22, v20
	s_cbranch_execz .LBB692_205
	s_branch .LBB692_200
.LBB692_169:
	s_or_b32 exec_lo, exec_lo, s1
	s_delay_alu instid0(SALU_CYCLE_1)
	s_mov_b32 s1, exec_lo
	v_cmpx_gt_u32_e64 s22, v40
	s_cbranch_execz .LBB692_139
.LBB692_170:
	s_mov_b32 s3, exec_lo
                                        ; implicit-def: $vgpr44_vgpr45
	v_cmpx_ge_u32_e64 v40, v16
	s_xor_b32 s3, exec_lo, s3
; %bb.171:
	v_xor_b32_e32 v40, 0xfffffeff, v0
	s_delay_alu instid0(VALU_DEP_1) | instskip(NEXT) | instid1(VALU_DEP_1)
	v_ashrrev_i32_e32 v41, 31, v40
	v_add_nc_u64_e32 v[44:45], v[42:43], v[40:41]
                                        ; implicit-def: $vgpr40_vgpr41
; %bb.172:
	s_and_not1_saveexec_b32 s3, s3
; %bb.173:
	v_add_nc_u64_e32 v[44:45], v[2:3], v[40:41]
; %bb.174:
	s_or_b32 exec_lo, exec_lo, s3
	s_delay_alu instid0(VALU_DEP_1) | instskip(SKIP_4) | instid1(SALU_CYCLE_1)
	v_lshl_add_u64 v[40:41], v[44:45], 2, s[10:11]
	s_wait_dscnt 0x6
	global_store_b32 v[40:41], v15, off
	s_wait_xcnt 0x0
	s_or_b32 exec_lo, exec_lo, s1
	s_mov_b32 s1, exec_lo
	v_cmpx_gt_u32_e64 s22, v38
	s_cbranch_execnz .LBB692_140
.LBB692_175:
	s_or_b32 exec_lo, exec_lo, s1
	s_delay_alu instid0(SALU_CYCLE_1)
	s_mov_b32 s1, exec_lo
	v_cmpx_gt_u32_e64 s22, v36
	s_cbranch_execz .LBB692_145
.LBB692_176:
	s_mov_b32 s3, exec_lo
                                        ; implicit-def: $vgpr14_vgpr15
	v_cmpx_ge_u32_e64 v36, v16
	s_xor_b32 s3, exec_lo, s3
	s_cbranch_execz .LBB692_178
; %bb.177:
	s_wait_dscnt 0x6
	v_xor_b32_e32 v14, 0xfffffcff, v0
                                        ; implicit-def: $vgpr36_vgpr37
	s_delay_alu instid0(VALU_DEP_1) | instskip(NEXT) | instid1(VALU_DEP_1)
	v_ashrrev_i32_e32 v15, 31, v14
	v_add_nc_u64_e32 v[14:15], v[42:43], v[14:15]
.LBB692_178:
	s_and_not1_saveexec_b32 s3, s3
	s_cbranch_execz .LBB692_180
; %bb.179:
	s_wait_dscnt 0x6
	v_add_nc_u64_e32 v[14:15], v[2:3], v[36:37]
.LBB692_180:
	s_or_b32 exec_lo, exec_lo, s3
	s_wait_dscnt 0x6
	s_delay_alu instid0(VALU_DEP_1) | instskip(SKIP_4) | instid1(SALU_CYCLE_1)
	v_lshl_add_u64 v[14:15], v[14:15], 2, s[10:11]
	s_wait_dscnt 0x5
	global_store_b32 v[14:15], v13, off
	s_wait_xcnt 0x0
	s_or_b32 exec_lo, exec_lo, s1
	s_mov_b32 s1, exec_lo
	v_cmpx_gt_u32_e64 s22, v34
	s_cbranch_execnz .LBB692_146
.LBB692_181:
	s_or_b32 exec_lo, exec_lo, s1
	s_delay_alu instid0(SALU_CYCLE_1)
	s_mov_b32 s1, exec_lo
	v_cmpx_gt_u32_e64 s22, v32
	s_cbranch_execz .LBB692_151
.LBB692_182:
	s_mov_b32 s3, exec_lo
                                        ; implicit-def: $vgpr12_vgpr13
	v_cmpx_ge_u32_e64 v32, v16
	s_xor_b32 s3, exec_lo, s3
	s_cbranch_execz .LBB692_184
; %bb.183:
	s_wait_dscnt 0x5
	v_xor_b32_e32 v12, 0xfffffaff, v0
                                        ; implicit-def: $vgpr32_vgpr33
	s_delay_alu instid0(VALU_DEP_1) | instskip(NEXT) | instid1(VALU_DEP_1)
	v_ashrrev_i32_e32 v13, 31, v12
	v_add_nc_u64_e32 v[12:13], v[42:43], v[12:13]
.LBB692_184:
	s_and_not1_saveexec_b32 s3, s3
	s_cbranch_execz .LBB692_186
; %bb.185:
	s_wait_dscnt 0x5
	v_add_nc_u64_e32 v[12:13], v[2:3], v[32:33]
.LBB692_186:
	s_or_b32 exec_lo, exec_lo, s3
	s_wait_dscnt 0x5
	s_delay_alu instid0(VALU_DEP_1) | instskip(SKIP_4) | instid1(SALU_CYCLE_1)
	v_lshl_add_u64 v[12:13], v[12:13], 2, s[10:11]
	s_wait_dscnt 0x4
	global_store_b32 v[12:13], v11, off
	s_wait_xcnt 0x0
	s_or_b32 exec_lo, exec_lo, s1
	s_mov_b32 s1, exec_lo
	v_cmpx_gt_u32_e64 s22, v30
	s_cbranch_execnz .LBB692_152
.LBB692_187:
	s_or_b32 exec_lo, exec_lo, s1
	s_delay_alu instid0(SALU_CYCLE_1)
	s_mov_b32 s1, exec_lo
	v_cmpx_gt_u32_e64 s22, v28
	s_cbranch_execz .LBB692_157
.LBB692_188:
	s_mov_b32 s3, exec_lo
                                        ; implicit-def: $vgpr10_vgpr11
	v_cmpx_ge_u32_e64 v28, v16
	s_xor_b32 s3, exec_lo, s3
	s_cbranch_execz .LBB692_190
; %bb.189:
	s_wait_dscnt 0x4
	v_xor_b32_e32 v10, 0xfffff8ff, v0
                                        ; implicit-def: $vgpr28_vgpr29
	s_delay_alu instid0(VALU_DEP_1) | instskip(NEXT) | instid1(VALU_DEP_1)
	v_ashrrev_i32_e32 v11, 31, v10
	v_add_nc_u64_e32 v[10:11], v[42:43], v[10:11]
.LBB692_190:
	s_and_not1_saveexec_b32 s3, s3
	s_cbranch_execz .LBB692_192
; %bb.191:
	s_wait_dscnt 0x4
	v_add_nc_u64_e32 v[10:11], v[2:3], v[28:29]
.LBB692_192:
	s_or_b32 exec_lo, exec_lo, s3
	s_wait_dscnt 0x4
	s_delay_alu instid0(VALU_DEP_1) | instskip(SKIP_4) | instid1(SALU_CYCLE_1)
	v_lshl_add_u64 v[10:11], v[10:11], 2, s[10:11]
	s_wait_dscnt 0x3
	global_store_b32 v[10:11], v9, off
	s_wait_xcnt 0x0
	s_or_b32 exec_lo, exec_lo, s1
	s_mov_b32 s1, exec_lo
	v_cmpx_gt_u32_e64 s22, v26
	s_cbranch_execnz .LBB692_158
.LBB692_193:
	s_or_b32 exec_lo, exec_lo, s1
	s_delay_alu instid0(SALU_CYCLE_1)
	s_mov_b32 s1, exec_lo
	v_cmpx_gt_u32_e64 s22, v24
	s_cbranch_execz .LBB692_163
.LBB692_194:
	s_mov_b32 s3, exec_lo
                                        ; implicit-def: $vgpr8_vgpr9
	v_cmpx_ge_u32_e64 v24, v16
	s_xor_b32 s3, exec_lo, s3
	s_cbranch_execz .LBB692_196
; %bb.195:
	s_wait_dscnt 0x3
	v_xor_b32_e32 v8, 0xfffff6ff, v0
                                        ; implicit-def: $vgpr24_vgpr25
	s_delay_alu instid0(VALU_DEP_1) | instskip(NEXT) | instid1(VALU_DEP_1)
	v_ashrrev_i32_e32 v9, 31, v8
	v_add_nc_u64_e32 v[8:9], v[42:43], v[8:9]
.LBB692_196:
	s_and_not1_saveexec_b32 s3, s3
	s_cbranch_execz .LBB692_198
; %bb.197:
	s_wait_dscnt 0x3
	v_add_nc_u64_e32 v[8:9], v[2:3], v[24:25]
.LBB692_198:
	s_or_b32 exec_lo, exec_lo, s3
	s_wait_dscnt 0x3
	s_delay_alu instid0(VALU_DEP_1) | instskip(SKIP_4) | instid1(SALU_CYCLE_1)
	v_lshl_add_u64 v[8:9], v[8:9], 2, s[10:11]
	s_wait_dscnt 0x2
	global_store_b32 v[8:9], v7, off
	s_wait_xcnt 0x0
	s_or_b32 exec_lo, exec_lo, s1
	s_mov_b32 s1, exec_lo
	v_cmpx_gt_u32_e64 s22, v22
	s_cbranch_execnz .LBB692_164
.LBB692_199:
	s_or_b32 exec_lo, exec_lo, s1
	s_delay_alu instid0(SALU_CYCLE_1)
	s_mov_b32 s1, exec_lo
	v_cmpx_gt_u32_e64 s22, v20
	s_cbranch_execz .LBB692_205
.LBB692_200:
	s_mov_b32 s3, exec_lo
                                        ; implicit-def: $vgpr6_vgpr7
	v_cmpx_ge_u32_e64 v20, v16
	s_xor_b32 s3, exec_lo, s3
	s_cbranch_execz .LBB692_202
; %bb.201:
	s_wait_dscnt 0x2
	v_xor_b32_e32 v6, 0xfffff4ff, v0
                                        ; implicit-def: $vgpr20_vgpr21
	s_delay_alu instid0(VALU_DEP_1) | instskip(NEXT) | instid1(VALU_DEP_1)
	v_ashrrev_i32_e32 v7, 31, v6
	v_add_nc_u64_e32 v[6:7], v[42:43], v[6:7]
.LBB692_202:
	s_and_not1_saveexec_b32 s3, s3
	s_cbranch_execz .LBB692_204
; %bb.203:
	s_wait_dscnt 0x2
	v_add_nc_u64_e32 v[6:7], v[2:3], v[20:21]
.LBB692_204:
	s_or_b32 exec_lo, exec_lo, s3
	s_wait_dscnt 0x2
	s_delay_alu instid0(VALU_DEP_1)
	v_lshl_add_u64 v[6:7], v[6:7], 2, s[10:11]
	s_wait_dscnt 0x1
	global_store_b32 v[6:7], v5, off
.LBB692_205:
	s_wait_xcnt 0x0
	s_or_b32 exec_lo, exec_lo, s1
	s_delay_alu instid0(SALU_CYCLE_1)
	s_mov_b32 s1, exec_lo
                                        ; implicit-def: $vgpr44_vgpr45
	v_cmpx_gt_u32_e64 s22, v18
	s_cbranch_execz .LBB692_211
; %bb.206:
	s_mov_b32 s3, exec_lo
                                        ; implicit-def: $vgpr44_vgpr45
	v_cmpx_ge_u32_e64 v18, v16
	s_xor_b32 s3, exec_lo, s3
; %bb.207:
	v_xor_b32_e32 v0, 0xfffff3ff, v0
                                        ; implicit-def: $vgpr18_vgpr19
	s_delay_alu instid0(VALU_DEP_1) | instskip(NEXT) | instid1(VALU_DEP_1)
	v_ashrrev_i32_e32 v1, 31, v0
	v_add_nc_u64_e32 v[44:45], v[42:43], v[0:1]
; %bb.208:
	s_and_not1_saveexec_b32 s3, s3
; %bb.209:
	v_add_nc_u64_e32 v[44:45], v[2:3], v[18:19]
; %bb.210:
	s_or_b32 exec_lo, exec_lo, s3
	s_delay_alu instid0(SALU_CYCLE_1)
	s_or_b32 s0, s0, exec_lo
.LBB692_211:
	s_or_b32 exec_lo, exec_lo, s1
	s_and_saveexec_b32 s1, s0
	s_cbranch_execnz .LBB692_130
.LBB692_212:
	s_or_b32 exec_lo, exec_lo, s1
	s_and_b32 s0, s2, s9
	s_delay_alu instid0(SALU_CYCLE_1)
	s_and_saveexec_b32 s1, s0
	s_cbranch_execz .LBB692_131
.LBB692_213:
	v_mov_b32_e32 v17, 0
	s_delay_alu instid0(VALU_DEP_1)
	v_add_nc_u64_e32 v[0:1], v[2:3], v[16:17]
	global_store_b64 v17, v[0:1], s[12:13]
	s_sendmsg sendmsg(MSG_DEALLOC_VGPRS)
	s_endpgm
	.section	.rodata,"a",@progbits
	.p2align	6, 0x0
	.amdhsa_kernel _ZN7rocprim17ROCPRIM_400000_NS6detail17trampoline_kernelINS0_13select_configILj256ELj13ELNS0_17block_load_methodE3ELS4_3ELS4_3ELNS0_20block_scan_algorithmE0ELj4294967295EEENS1_25partition_config_selectorILNS1_17partition_subalgoE3EjNS0_10empty_typeEbEEZZNS1_14partition_implILS8_3ELb0ES6_jNS0_17counting_iteratorIjlEEPS9_SE_NS0_5tupleIJPjSE_EEENSF_IJSE_SE_EEES9_SG_JZNS1_25segmented_radix_sort_implINS0_14default_configELb1EPKlPlSM_SN_N2at6native12_GLOBAL__N_18offset_tEEE10hipError_tPvRmT1_PNSt15iterator_traitsISV_E10value_typeET2_T3_PNSW_IS11_E10value_typeET4_jRbjT5_S17_jjP12ihipStream_tbEUljE_EEESS_ST_SU_S11_S15_S17_T6_T7_T9_mT8_S19_bDpT10_ENKUlT_T0_E_clISt17integral_constantIbLb0EES1L_IbLb1EEEEDaS1H_S1I_EUlS1H_E_NS1_11comp_targetILNS1_3genE0ELNS1_11target_archE4294967295ELNS1_3gpuE0ELNS1_3repE0EEENS1_30default_config_static_selectorELNS0_4arch9wavefront6targetE0EEEvSV_
		.amdhsa_group_segment_fixed_size 13320
		.amdhsa_private_segment_fixed_size 0
		.amdhsa_kernarg_size 152
		.amdhsa_user_sgpr_count 2
		.amdhsa_user_sgpr_dispatch_ptr 0
		.amdhsa_user_sgpr_queue_ptr 0
		.amdhsa_user_sgpr_kernarg_segment_ptr 1
		.amdhsa_user_sgpr_dispatch_id 0
		.amdhsa_user_sgpr_kernarg_preload_length 0
		.amdhsa_user_sgpr_kernarg_preload_offset 0
		.amdhsa_user_sgpr_private_segment_size 0
		.amdhsa_wavefront_size32 1
		.amdhsa_uses_dynamic_stack 0
		.amdhsa_enable_private_segment 0
		.amdhsa_system_sgpr_workgroup_id_x 1
		.amdhsa_system_sgpr_workgroup_id_y 0
		.amdhsa_system_sgpr_workgroup_id_z 0
		.amdhsa_system_sgpr_workgroup_info 0
		.amdhsa_system_vgpr_workitem_id 0
		.amdhsa_next_free_vgpr 72
		.amdhsa_next_free_sgpr 24
		.amdhsa_named_barrier_count 0
		.amdhsa_reserve_vcc 1
		.amdhsa_float_round_mode_32 0
		.amdhsa_float_round_mode_16_64 0
		.amdhsa_float_denorm_mode_32 3
		.amdhsa_float_denorm_mode_16_64 3
		.amdhsa_fp16_overflow 0
		.amdhsa_memory_ordered 1
		.amdhsa_forward_progress 1
		.amdhsa_inst_pref_size 71
		.amdhsa_round_robin_scheduling 0
		.amdhsa_exception_fp_ieee_invalid_op 0
		.amdhsa_exception_fp_denorm_src 0
		.amdhsa_exception_fp_ieee_div_zero 0
		.amdhsa_exception_fp_ieee_overflow 0
		.amdhsa_exception_fp_ieee_underflow 0
		.amdhsa_exception_fp_ieee_inexact 0
		.amdhsa_exception_int_div_zero 0
	.end_amdhsa_kernel
	.section	.text._ZN7rocprim17ROCPRIM_400000_NS6detail17trampoline_kernelINS0_13select_configILj256ELj13ELNS0_17block_load_methodE3ELS4_3ELS4_3ELNS0_20block_scan_algorithmE0ELj4294967295EEENS1_25partition_config_selectorILNS1_17partition_subalgoE3EjNS0_10empty_typeEbEEZZNS1_14partition_implILS8_3ELb0ES6_jNS0_17counting_iteratorIjlEEPS9_SE_NS0_5tupleIJPjSE_EEENSF_IJSE_SE_EEES9_SG_JZNS1_25segmented_radix_sort_implINS0_14default_configELb1EPKlPlSM_SN_N2at6native12_GLOBAL__N_18offset_tEEE10hipError_tPvRmT1_PNSt15iterator_traitsISV_E10value_typeET2_T3_PNSW_IS11_E10value_typeET4_jRbjT5_S17_jjP12ihipStream_tbEUljE_EEESS_ST_SU_S11_S15_S17_T6_T7_T9_mT8_S19_bDpT10_ENKUlT_T0_E_clISt17integral_constantIbLb0EES1L_IbLb1EEEEDaS1H_S1I_EUlS1H_E_NS1_11comp_targetILNS1_3genE0ELNS1_11target_archE4294967295ELNS1_3gpuE0ELNS1_3repE0EEENS1_30default_config_static_selectorELNS0_4arch9wavefront6targetE0EEEvSV_,"axG",@progbits,_ZN7rocprim17ROCPRIM_400000_NS6detail17trampoline_kernelINS0_13select_configILj256ELj13ELNS0_17block_load_methodE3ELS4_3ELS4_3ELNS0_20block_scan_algorithmE0ELj4294967295EEENS1_25partition_config_selectorILNS1_17partition_subalgoE3EjNS0_10empty_typeEbEEZZNS1_14partition_implILS8_3ELb0ES6_jNS0_17counting_iteratorIjlEEPS9_SE_NS0_5tupleIJPjSE_EEENSF_IJSE_SE_EEES9_SG_JZNS1_25segmented_radix_sort_implINS0_14default_configELb1EPKlPlSM_SN_N2at6native12_GLOBAL__N_18offset_tEEE10hipError_tPvRmT1_PNSt15iterator_traitsISV_E10value_typeET2_T3_PNSW_IS11_E10value_typeET4_jRbjT5_S17_jjP12ihipStream_tbEUljE_EEESS_ST_SU_S11_S15_S17_T6_T7_T9_mT8_S19_bDpT10_ENKUlT_T0_E_clISt17integral_constantIbLb0EES1L_IbLb1EEEEDaS1H_S1I_EUlS1H_E_NS1_11comp_targetILNS1_3genE0ELNS1_11target_archE4294967295ELNS1_3gpuE0ELNS1_3repE0EEENS1_30default_config_static_selectorELNS0_4arch9wavefront6targetE0EEEvSV_,comdat
.Lfunc_end692:
	.size	_ZN7rocprim17ROCPRIM_400000_NS6detail17trampoline_kernelINS0_13select_configILj256ELj13ELNS0_17block_load_methodE3ELS4_3ELS4_3ELNS0_20block_scan_algorithmE0ELj4294967295EEENS1_25partition_config_selectorILNS1_17partition_subalgoE3EjNS0_10empty_typeEbEEZZNS1_14partition_implILS8_3ELb0ES6_jNS0_17counting_iteratorIjlEEPS9_SE_NS0_5tupleIJPjSE_EEENSF_IJSE_SE_EEES9_SG_JZNS1_25segmented_radix_sort_implINS0_14default_configELb1EPKlPlSM_SN_N2at6native12_GLOBAL__N_18offset_tEEE10hipError_tPvRmT1_PNSt15iterator_traitsISV_E10value_typeET2_T3_PNSW_IS11_E10value_typeET4_jRbjT5_S17_jjP12ihipStream_tbEUljE_EEESS_ST_SU_S11_S15_S17_T6_T7_T9_mT8_S19_bDpT10_ENKUlT_T0_E_clISt17integral_constantIbLb0EES1L_IbLb1EEEEDaS1H_S1I_EUlS1H_E_NS1_11comp_targetILNS1_3genE0ELNS1_11target_archE4294967295ELNS1_3gpuE0ELNS1_3repE0EEENS1_30default_config_static_selectorELNS0_4arch9wavefront6targetE0EEEvSV_, .Lfunc_end692-_ZN7rocprim17ROCPRIM_400000_NS6detail17trampoline_kernelINS0_13select_configILj256ELj13ELNS0_17block_load_methodE3ELS4_3ELS4_3ELNS0_20block_scan_algorithmE0ELj4294967295EEENS1_25partition_config_selectorILNS1_17partition_subalgoE3EjNS0_10empty_typeEbEEZZNS1_14partition_implILS8_3ELb0ES6_jNS0_17counting_iteratorIjlEEPS9_SE_NS0_5tupleIJPjSE_EEENSF_IJSE_SE_EEES9_SG_JZNS1_25segmented_radix_sort_implINS0_14default_configELb1EPKlPlSM_SN_N2at6native12_GLOBAL__N_18offset_tEEE10hipError_tPvRmT1_PNSt15iterator_traitsISV_E10value_typeET2_T3_PNSW_IS11_E10value_typeET4_jRbjT5_S17_jjP12ihipStream_tbEUljE_EEESS_ST_SU_S11_S15_S17_T6_T7_T9_mT8_S19_bDpT10_ENKUlT_T0_E_clISt17integral_constantIbLb0EES1L_IbLb1EEEEDaS1H_S1I_EUlS1H_E_NS1_11comp_targetILNS1_3genE0ELNS1_11target_archE4294967295ELNS1_3gpuE0ELNS1_3repE0EEENS1_30default_config_static_selectorELNS0_4arch9wavefront6targetE0EEEvSV_
                                        ; -- End function
	.set _ZN7rocprim17ROCPRIM_400000_NS6detail17trampoline_kernelINS0_13select_configILj256ELj13ELNS0_17block_load_methodE3ELS4_3ELS4_3ELNS0_20block_scan_algorithmE0ELj4294967295EEENS1_25partition_config_selectorILNS1_17partition_subalgoE3EjNS0_10empty_typeEbEEZZNS1_14partition_implILS8_3ELb0ES6_jNS0_17counting_iteratorIjlEEPS9_SE_NS0_5tupleIJPjSE_EEENSF_IJSE_SE_EEES9_SG_JZNS1_25segmented_radix_sort_implINS0_14default_configELb1EPKlPlSM_SN_N2at6native12_GLOBAL__N_18offset_tEEE10hipError_tPvRmT1_PNSt15iterator_traitsISV_E10value_typeET2_T3_PNSW_IS11_E10value_typeET4_jRbjT5_S17_jjP12ihipStream_tbEUljE_EEESS_ST_SU_S11_S15_S17_T6_T7_T9_mT8_S19_bDpT10_ENKUlT_T0_E_clISt17integral_constantIbLb0EES1L_IbLb1EEEEDaS1H_S1I_EUlS1H_E_NS1_11comp_targetILNS1_3genE0ELNS1_11target_archE4294967295ELNS1_3gpuE0ELNS1_3repE0EEENS1_30default_config_static_selectorELNS0_4arch9wavefront6targetE0EEEvSV_.num_vgpr, 72
	.set _ZN7rocprim17ROCPRIM_400000_NS6detail17trampoline_kernelINS0_13select_configILj256ELj13ELNS0_17block_load_methodE3ELS4_3ELS4_3ELNS0_20block_scan_algorithmE0ELj4294967295EEENS1_25partition_config_selectorILNS1_17partition_subalgoE3EjNS0_10empty_typeEbEEZZNS1_14partition_implILS8_3ELb0ES6_jNS0_17counting_iteratorIjlEEPS9_SE_NS0_5tupleIJPjSE_EEENSF_IJSE_SE_EEES9_SG_JZNS1_25segmented_radix_sort_implINS0_14default_configELb1EPKlPlSM_SN_N2at6native12_GLOBAL__N_18offset_tEEE10hipError_tPvRmT1_PNSt15iterator_traitsISV_E10value_typeET2_T3_PNSW_IS11_E10value_typeET4_jRbjT5_S17_jjP12ihipStream_tbEUljE_EEESS_ST_SU_S11_S15_S17_T6_T7_T9_mT8_S19_bDpT10_ENKUlT_T0_E_clISt17integral_constantIbLb0EES1L_IbLb1EEEEDaS1H_S1I_EUlS1H_E_NS1_11comp_targetILNS1_3genE0ELNS1_11target_archE4294967295ELNS1_3gpuE0ELNS1_3repE0EEENS1_30default_config_static_selectorELNS0_4arch9wavefront6targetE0EEEvSV_.num_agpr, 0
	.set _ZN7rocprim17ROCPRIM_400000_NS6detail17trampoline_kernelINS0_13select_configILj256ELj13ELNS0_17block_load_methodE3ELS4_3ELS4_3ELNS0_20block_scan_algorithmE0ELj4294967295EEENS1_25partition_config_selectorILNS1_17partition_subalgoE3EjNS0_10empty_typeEbEEZZNS1_14partition_implILS8_3ELb0ES6_jNS0_17counting_iteratorIjlEEPS9_SE_NS0_5tupleIJPjSE_EEENSF_IJSE_SE_EEES9_SG_JZNS1_25segmented_radix_sort_implINS0_14default_configELb1EPKlPlSM_SN_N2at6native12_GLOBAL__N_18offset_tEEE10hipError_tPvRmT1_PNSt15iterator_traitsISV_E10value_typeET2_T3_PNSW_IS11_E10value_typeET4_jRbjT5_S17_jjP12ihipStream_tbEUljE_EEESS_ST_SU_S11_S15_S17_T6_T7_T9_mT8_S19_bDpT10_ENKUlT_T0_E_clISt17integral_constantIbLb0EES1L_IbLb1EEEEDaS1H_S1I_EUlS1H_E_NS1_11comp_targetILNS1_3genE0ELNS1_11target_archE4294967295ELNS1_3gpuE0ELNS1_3repE0EEENS1_30default_config_static_selectorELNS0_4arch9wavefront6targetE0EEEvSV_.numbered_sgpr, 24
	.set _ZN7rocprim17ROCPRIM_400000_NS6detail17trampoline_kernelINS0_13select_configILj256ELj13ELNS0_17block_load_methodE3ELS4_3ELS4_3ELNS0_20block_scan_algorithmE0ELj4294967295EEENS1_25partition_config_selectorILNS1_17partition_subalgoE3EjNS0_10empty_typeEbEEZZNS1_14partition_implILS8_3ELb0ES6_jNS0_17counting_iteratorIjlEEPS9_SE_NS0_5tupleIJPjSE_EEENSF_IJSE_SE_EEES9_SG_JZNS1_25segmented_radix_sort_implINS0_14default_configELb1EPKlPlSM_SN_N2at6native12_GLOBAL__N_18offset_tEEE10hipError_tPvRmT1_PNSt15iterator_traitsISV_E10value_typeET2_T3_PNSW_IS11_E10value_typeET4_jRbjT5_S17_jjP12ihipStream_tbEUljE_EEESS_ST_SU_S11_S15_S17_T6_T7_T9_mT8_S19_bDpT10_ENKUlT_T0_E_clISt17integral_constantIbLb0EES1L_IbLb1EEEEDaS1H_S1I_EUlS1H_E_NS1_11comp_targetILNS1_3genE0ELNS1_11target_archE4294967295ELNS1_3gpuE0ELNS1_3repE0EEENS1_30default_config_static_selectorELNS0_4arch9wavefront6targetE0EEEvSV_.num_named_barrier, 0
	.set _ZN7rocprim17ROCPRIM_400000_NS6detail17trampoline_kernelINS0_13select_configILj256ELj13ELNS0_17block_load_methodE3ELS4_3ELS4_3ELNS0_20block_scan_algorithmE0ELj4294967295EEENS1_25partition_config_selectorILNS1_17partition_subalgoE3EjNS0_10empty_typeEbEEZZNS1_14partition_implILS8_3ELb0ES6_jNS0_17counting_iteratorIjlEEPS9_SE_NS0_5tupleIJPjSE_EEENSF_IJSE_SE_EEES9_SG_JZNS1_25segmented_radix_sort_implINS0_14default_configELb1EPKlPlSM_SN_N2at6native12_GLOBAL__N_18offset_tEEE10hipError_tPvRmT1_PNSt15iterator_traitsISV_E10value_typeET2_T3_PNSW_IS11_E10value_typeET4_jRbjT5_S17_jjP12ihipStream_tbEUljE_EEESS_ST_SU_S11_S15_S17_T6_T7_T9_mT8_S19_bDpT10_ENKUlT_T0_E_clISt17integral_constantIbLb0EES1L_IbLb1EEEEDaS1H_S1I_EUlS1H_E_NS1_11comp_targetILNS1_3genE0ELNS1_11target_archE4294967295ELNS1_3gpuE0ELNS1_3repE0EEENS1_30default_config_static_selectorELNS0_4arch9wavefront6targetE0EEEvSV_.private_seg_size, 0
	.set _ZN7rocprim17ROCPRIM_400000_NS6detail17trampoline_kernelINS0_13select_configILj256ELj13ELNS0_17block_load_methodE3ELS4_3ELS4_3ELNS0_20block_scan_algorithmE0ELj4294967295EEENS1_25partition_config_selectorILNS1_17partition_subalgoE3EjNS0_10empty_typeEbEEZZNS1_14partition_implILS8_3ELb0ES6_jNS0_17counting_iteratorIjlEEPS9_SE_NS0_5tupleIJPjSE_EEENSF_IJSE_SE_EEES9_SG_JZNS1_25segmented_radix_sort_implINS0_14default_configELb1EPKlPlSM_SN_N2at6native12_GLOBAL__N_18offset_tEEE10hipError_tPvRmT1_PNSt15iterator_traitsISV_E10value_typeET2_T3_PNSW_IS11_E10value_typeET4_jRbjT5_S17_jjP12ihipStream_tbEUljE_EEESS_ST_SU_S11_S15_S17_T6_T7_T9_mT8_S19_bDpT10_ENKUlT_T0_E_clISt17integral_constantIbLb0EES1L_IbLb1EEEEDaS1H_S1I_EUlS1H_E_NS1_11comp_targetILNS1_3genE0ELNS1_11target_archE4294967295ELNS1_3gpuE0ELNS1_3repE0EEENS1_30default_config_static_selectorELNS0_4arch9wavefront6targetE0EEEvSV_.uses_vcc, 1
	.set _ZN7rocprim17ROCPRIM_400000_NS6detail17trampoline_kernelINS0_13select_configILj256ELj13ELNS0_17block_load_methodE3ELS4_3ELS4_3ELNS0_20block_scan_algorithmE0ELj4294967295EEENS1_25partition_config_selectorILNS1_17partition_subalgoE3EjNS0_10empty_typeEbEEZZNS1_14partition_implILS8_3ELb0ES6_jNS0_17counting_iteratorIjlEEPS9_SE_NS0_5tupleIJPjSE_EEENSF_IJSE_SE_EEES9_SG_JZNS1_25segmented_radix_sort_implINS0_14default_configELb1EPKlPlSM_SN_N2at6native12_GLOBAL__N_18offset_tEEE10hipError_tPvRmT1_PNSt15iterator_traitsISV_E10value_typeET2_T3_PNSW_IS11_E10value_typeET4_jRbjT5_S17_jjP12ihipStream_tbEUljE_EEESS_ST_SU_S11_S15_S17_T6_T7_T9_mT8_S19_bDpT10_ENKUlT_T0_E_clISt17integral_constantIbLb0EES1L_IbLb1EEEEDaS1H_S1I_EUlS1H_E_NS1_11comp_targetILNS1_3genE0ELNS1_11target_archE4294967295ELNS1_3gpuE0ELNS1_3repE0EEENS1_30default_config_static_selectorELNS0_4arch9wavefront6targetE0EEEvSV_.uses_flat_scratch, 0
	.set _ZN7rocprim17ROCPRIM_400000_NS6detail17trampoline_kernelINS0_13select_configILj256ELj13ELNS0_17block_load_methodE3ELS4_3ELS4_3ELNS0_20block_scan_algorithmE0ELj4294967295EEENS1_25partition_config_selectorILNS1_17partition_subalgoE3EjNS0_10empty_typeEbEEZZNS1_14partition_implILS8_3ELb0ES6_jNS0_17counting_iteratorIjlEEPS9_SE_NS0_5tupleIJPjSE_EEENSF_IJSE_SE_EEES9_SG_JZNS1_25segmented_radix_sort_implINS0_14default_configELb1EPKlPlSM_SN_N2at6native12_GLOBAL__N_18offset_tEEE10hipError_tPvRmT1_PNSt15iterator_traitsISV_E10value_typeET2_T3_PNSW_IS11_E10value_typeET4_jRbjT5_S17_jjP12ihipStream_tbEUljE_EEESS_ST_SU_S11_S15_S17_T6_T7_T9_mT8_S19_bDpT10_ENKUlT_T0_E_clISt17integral_constantIbLb0EES1L_IbLb1EEEEDaS1H_S1I_EUlS1H_E_NS1_11comp_targetILNS1_3genE0ELNS1_11target_archE4294967295ELNS1_3gpuE0ELNS1_3repE0EEENS1_30default_config_static_selectorELNS0_4arch9wavefront6targetE0EEEvSV_.has_dyn_sized_stack, 0
	.set _ZN7rocprim17ROCPRIM_400000_NS6detail17trampoline_kernelINS0_13select_configILj256ELj13ELNS0_17block_load_methodE3ELS4_3ELS4_3ELNS0_20block_scan_algorithmE0ELj4294967295EEENS1_25partition_config_selectorILNS1_17partition_subalgoE3EjNS0_10empty_typeEbEEZZNS1_14partition_implILS8_3ELb0ES6_jNS0_17counting_iteratorIjlEEPS9_SE_NS0_5tupleIJPjSE_EEENSF_IJSE_SE_EEES9_SG_JZNS1_25segmented_radix_sort_implINS0_14default_configELb1EPKlPlSM_SN_N2at6native12_GLOBAL__N_18offset_tEEE10hipError_tPvRmT1_PNSt15iterator_traitsISV_E10value_typeET2_T3_PNSW_IS11_E10value_typeET4_jRbjT5_S17_jjP12ihipStream_tbEUljE_EEESS_ST_SU_S11_S15_S17_T6_T7_T9_mT8_S19_bDpT10_ENKUlT_T0_E_clISt17integral_constantIbLb0EES1L_IbLb1EEEEDaS1H_S1I_EUlS1H_E_NS1_11comp_targetILNS1_3genE0ELNS1_11target_archE4294967295ELNS1_3gpuE0ELNS1_3repE0EEENS1_30default_config_static_selectorELNS0_4arch9wavefront6targetE0EEEvSV_.has_recursion, 0
	.set _ZN7rocprim17ROCPRIM_400000_NS6detail17trampoline_kernelINS0_13select_configILj256ELj13ELNS0_17block_load_methodE3ELS4_3ELS4_3ELNS0_20block_scan_algorithmE0ELj4294967295EEENS1_25partition_config_selectorILNS1_17partition_subalgoE3EjNS0_10empty_typeEbEEZZNS1_14partition_implILS8_3ELb0ES6_jNS0_17counting_iteratorIjlEEPS9_SE_NS0_5tupleIJPjSE_EEENSF_IJSE_SE_EEES9_SG_JZNS1_25segmented_radix_sort_implINS0_14default_configELb1EPKlPlSM_SN_N2at6native12_GLOBAL__N_18offset_tEEE10hipError_tPvRmT1_PNSt15iterator_traitsISV_E10value_typeET2_T3_PNSW_IS11_E10value_typeET4_jRbjT5_S17_jjP12ihipStream_tbEUljE_EEESS_ST_SU_S11_S15_S17_T6_T7_T9_mT8_S19_bDpT10_ENKUlT_T0_E_clISt17integral_constantIbLb0EES1L_IbLb1EEEEDaS1H_S1I_EUlS1H_E_NS1_11comp_targetILNS1_3genE0ELNS1_11target_archE4294967295ELNS1_3gpuE0ELNS1_3repE0EEENS1_30default_config_static_selectorELNS0_4arch9wavefront6targetE0EEEvSV_.has_indirect_call, 0
	.section	.AMDGPU.csdata,"",@progbits
; Kernel info:
; codeLenInByte = 9040
; TotalNumSgprs: 26
; NumVgprs: 72
; ScratchSize: 0
; MemoryBound: 0
; FloatMode: 240
; IeeeMode: 1
; LDSByteSize: 13320 bytes/workgroup (compile time only)
; SGPRBlocks: 0
; VGPRBlocks: 4
; NumSGPRsForWavesPerEU: 26
; NumVGPRsForWavesPerEU: 72
; NamedBarCnt: 0
; Occupancy: 12
; WaveLimiterHint : 0
; COMPUTE_PGM_RSRC2:SCRATCH_EN: 0
; COMPUTE_PGM_RSRC2:USER_SGPR: 2
; COMPUTE_PGM_RSRC2:TRAP_HANDLER: 0
; COMPUTE_PGM_RSRC2:TGID_X_EN: 1
; COMPUTE_PGM_RSRC2:TGID_Y_EN: 0
; COMPUTE_PGM_RSRC2:TGID_Z_EN: 0
; COMPUTE_PGM_RSRC2:TIDIG_COMP_CNT: 0
	.section	.text._ZN7rocprim17ROCPRIM_400000_NS6detail17trampoline_kernelINS0_13select_configILj256ELj13ELNS0_17block_load_methodE3ELS4_3ELS4_3ELNS0_20block_scan_algorithmE0ELj4294967295EEENS1_25partition_config_selectorILNS1_17partition_subalgoE3EjNS0_10empty_typeEbEEZZNS1_14partition_implILS8_3ELb0ES6_jNS0_17counting_iteratorIjlEEPS9_SE_NS0_5tupleIJPjSE_EEENSF_IJSE_SE_EEES9_SG_JZNS1_25segmented_radix_sort_implINS0_14default_configELb1EPKlPlSM_SN_N2at6native12_GLOBAL__N_18offset_tEEE10hipError_tPvRmT1_PNSt15iterator_traitsISV_E10value_typeET2_T3_PNSW_IS11_E10value_typeET4_jRbjT5_S17_jjP12ihipStream_tbEUljE_EEESS_ST_SU_S11_S15_S17_T6_T7_T9_mT8_S19_bDpT10_ENKUlT_T0_E_clISt17integral_constantIbLb0EES1L_IbLb1EEEEDaS1H_S1I_EUlS1H_E_NS1_11comp_targetILNS1_3genE5ELNS1_11target_archE942ELNS1_3gpuE9ELNS1_3repE0EEENS1_30default_config_static_selectorELNS0_4arch9wavefront6targetE0EEEvSV_,"axG",@progbits,_ZN7rocprim17ROCPRIM_400000_NS6detail17trampoline_kernelINS0_13select_configILj256ELj13ELNS0_17block_load_methodE3ELS4_3ELS4_3ELNS0_20block_scan_algorithmE0ELj4294967295EEENS1_25partition_config_selectorILNS1_17partition_subalgoE3EjNS0_10empty_typeEbEEZZNS1_14partition_implILS8_3ELb0ES6_jNS0_17counting_iteratorIjlEEPS9_SE_NS0_5tupleIJPjSE_EEENSF_IJSE_SE_EEES9_SG_JZNS1_25segmented_radix_sort_implINS0_14default_configELb1EPKlPlSM_SN_N2at6native12_GLOBAL__N_18offset_tEEE10hipError_tPvRmT1_PNSt15iterator_traitsISV_E10value_typeET2_T3_PNSW_IS11_E10value_typeET4_jRbjT5_S17_jjP12ihipStream_tbEUljE_EEESS_ST_SU_S11_S15_S17_T6_T7_T9_mT8_S19_bDpT10_ENKUlT_T0_E_clISt17integral_constantIbLb0EES1L_IbLb1EEEEDaS1H_S1I_EUlS1H_E_NS1_11comp_targetILNS1_3genE5ELNS1_11target_archE942ELNS1_3gpuE9ELNS1_3repE0EEENS1_30default_config_static_selectorELNS0_4arch9wavefront6targetE0EEEvSV_,comdat
	.globl	_ZN7rocprim17ROCPRIM_400000_NS6detail17trampoline_kernelINS0_13select_configILj256ELj13ELNS0_17block_load_methodE3ELS4_3ELS4_3ELNS0_20block_scan_algorithmE0ELj4294967295EEENS1_25partition_config_selectorILNS1_17partition_subalgoE3EjNS0_10empty_typeEbEEZZNS1_14partition_implILS8_3ELb0ES6_jNS0_17counting_iteratorIjlEEPS9_SE_NS0_5tupleIJPjSE_EEENSF_IJSE_SE_EEES9_SG_JZNS1_25segmented_radix_sort_implINS0_14default_configELb1EPKlPlSM_SN_N2at6native12_GLOBAL__N_18offset_tEEE10hipError_tPvRmT1_PNSt15iterator_traitsISV_E10value_typeET2_T3_PNSW_IS11_E10value_typeET4_jRbjT5_S17_jjP12ihipStream_tbEUljE_EEESS_ST_SU_S11_S15_S17_T6_T7_T9_mT8_S19_bDpT10_ENKUlT_T0_E_clISt17integral_constantIbLb0EES1L_IbLb1EEEEDaS1H_S1I_EUlS1H_E_NS1_11comp_targetILNS1_3genE5ELNS1_11target_archE942ELNS1_3gpuE9ELNS1_3repE0EEENS1_30default_config_static_selectorELNS0_4arch9wavefront6targetE0EEEvSV_ ; -- Begin function _ZN7rocprim17ROCPRIM_400000_NS6detail17trampoline_kernelINS0_13select_configILj256ELj13ELNS0_17block_load_methodE3ELS4_3ELS4_3ELNS0_20block_scan_algorithmE0ELj4294967295EEENS1_25partition_config_selectorILNS1_17partition_subalgoE3EjNS0_10empty_typeEbEEZZNS1_14partition_implILS8_3ELb0ES6_jNS0_17counting_iteratorIjlEEPS9_SE_NS0_5tupleIJPjSE_EEENSF_IJSE_SE_EEES9_SG_JZNS1_25segmented_radix_sort_implINS0_14default_configELb1EPKlPlSM_SN_N2at6native12_GLOBAL__N_18offset_tEEE10hipError_tPvRmT1_PNSt15iterator_traitsISV_E10value_typeET2_T3_PNSW_IS11_E10value_typeET4_jRbjT5_S17_jjP12ihipStream_tbEUljE_EEESS_ST_SU_S11_S15_S17_T6_T7_T9_mT8_S19_bDpT10_ENKUlT_T0_E_clISt17integral_constantIbLb0EES1L_IbLb1EEEEDaS1H_S1I_EUlS1H_E_NS1_11comp_targetILNS1_3genE5ELNS1_11target_archE942ELNS1_3gpuE9ELNS1_3repE0EEENS1_30default_config_static_selectorELNS0_4arch9wavefront6targetE0EEEvSV_
	.p2align	8
	.type	_ZN7rocprim17ROCPRIM_400000_NS6detail17trampoline_kernelINS0_13select_configILj256ELj13ELNS0_17block_load_methodE3ELS4_3ELS4_3ELNS0_20block_scan_algorithmE0ELj4294967295EEENS1_25partition_config_selectorILNS1_17partition_subalgoE3EjNS0_10empty_typeEbEEZZNS1_14partition_implILS8_3ELb0ES6_jNS0_17counting_iteratorIjlEEPS9_SE_NS0_5tupleIJPjSE_EEENSF_IJSE_SE_EEES9_SG_JZNS1_25segmented_radix_sort_implINS0_14default_configELb1EPKlPlSM_SN_N2at6native12_GLOBAL__N_18offset_tEEE10hipError_tPvRmT1_PNSt15iterator_traitsISV_E10value_typeET2_T3_PNSW_IS11_E10value_typeET4_jRbjT5_S17_jjP12ihipStream_tbEUljE_EEESS_ST_SU_S11_S15_S17_T6_T7_T9_mT8_S19_bDpT10_ENKUlT_T0_E_clISt17integral_constantIbLb0EES1L_IbLb1EEEEDaS1H_S1I_EUlS1H_E_NS1_11comp_targetILNS1_3genE5ELNS1_11target_archE942ELNS1_3gpuE9ELNS1_3repE0EEENS1_30default_config_static_selectorELNS0_4arch9wavefront6targetE0EEEvSV_,@function
_ZN7rocprim17ROCPRIM_400000_NS6detail17trampoline_kernelINS0_13select_configILj256ELj13ELNS0_17block_load_methodE3ELS4_3ELS4_3ELNS0_20block_scan_algorithmE0ELj4294967295EEENS1_25partition_config_selectorILNS1_17partition_subalgoE3EjNS0_10empty_typeEbEEZZNS1_14partition_implILS8_3ELb0ES6_jNS0_17counting_iteratorIjlEEPS9_SE_NS0_5tupleIJPjSE_EEENSF_IJSE_SE_EEES9_SG_JZNS1_25segmented_radix_sort_implINS0_14default_configELb1EPKlPlSM_SN_N2at6native12_GLOBAL__N_18offset_tEEE10hipError_tPvRmT1_PNSt15iterator_traitsISV_E10value_typeET2_T3_PNSW_IS11_E10value_typeET4_jRbjT5_S17_jjP12ihipStream_tbEUljE_EEESS_ST_SU_S11_S15_S17_T6_T7_T9_mT8_S19_bDpT10_ENKUlT_T0_E_clISt17integral_constantIbLb0EES1L_IbLb1EEEEDaS1H_S1I_EUlS1H_E_NS1_11comp_targetILNS1_3genE5ELNS1_11target_archE942ELNS1_3gpuE9ELNS1_3repE0EEENS1_30default_config_static_selectorELNS0_4arch9wavefront6targetE0EEEvSV_: ; @_ZN7rocprim17ROCPRIM_400000_NS6detail17trampoline_kernelINS0_13select_configILj256ELj13ELNS0_17block_load_methodE3ELS4_3ELS4_3ELNS0_20block_scan_algorithmE0ELj4294967295EEENS1_25partition_config_selectorILNS1_17partition_subalgoE3EjNS0_10empty_typeEbEEZZNS1_14partition_implILS8_3ELb0ES6_jNS0_17counting_iteratorIjlEEPS9_SE_NS0_5tupleIJPjSE_EEENSF_IJSE_SE_EEES9_SG_JZNS1_25segmented_radix_sort_implINS0_14default_configELb1EPKlPlSM_SN_N2at6native12_GLOBAL__N_18offset_tEEE10hipError_tPvRmT1_PNSt15iterator_traitsISV_E10value_typeET2_T3_PNSW_IS11_E10value_typeET4_jRbjT5_S17_jjP12ihipStream_tbEUljE_EEESS_ST_SU_S11_S15_S17_T6_T7_T9_mT8_S19_bDpT10_ENKUlT_T0_E_clISt17integral_constantIbLb0EES1L_IbLb1EEEEDaS1H_S1I_EUlS1H_E_NS1_11comp_targetILNS1_3genE5ELNS1_11target_archE942ELNS1_3gpuE9ELNS1_3repE0EEENS1_30default_config_static_selectorELNS0_4arch9wavefront6targetE0EEEvSV_
; %bb.0:
	.section	.rodata,"a",@progbits
	.p2align	6, 0x0
	.amdhsa_kernel _ZN7rocprim17ROCPRIM_400000_NS6detail17trampoline_kernelINS0_13select_configILj256ELj13ELNS0_17block_load_methodE3ELS4_3ELS4_3ELNS0_20block_scan_algorithmE0ELj4294967295EEENS1_25partition_config_selectorILNS1_17partition_subalgoE3EjNS0_10empty_typeEbEEZZNS1_14partition_implILS8_3ELb0ES6_jNS0_17counting_iteratorIjlEEPS9_SE_NS0_5tupleIJPjSE_EEENSF_IJSE_SE_EEES9_SG_JZNS1_25segmented_radix_sort_implINS0_14default_configELb1EPKlPlSM_SN_N2at6native12_GLOBAL__N_18offset_tEEE10hipError_tPvRmT1_PNSt15iterator_traitsISV_E10value_typeET2_T3_PNSW_IS11_E10value_typeET4_jRbjT5_S17_jjP12ihipStream_tbEUljE_EEESS_ST_SU_S11_S15_S17_T6_T7_T9_mT8_S19_bDpT10_ENKUlT_T0_E_clISt17integral_constantIbLb0EES1L_IbLb1EEEEDaS1H_S1I_EUlS1H_E_NS1_11comp_targetILNS1_3genE5ELNS1_11target_archE942ELNS1_3gpuE9ELNS1_3repE0EEENS1_30default_config_static_selectorELNS0_4arch9wavefront6targetE0EEEvSV_
		.amdhsa_group_segment_fixed_size 0
		.amdhsa_private_segment_fixed_size 0
		.amdhsa_kernarg_size 152
		.amdhsa_user_sgpr_count 2
		.amdhsa_user_sgpr_dispatch_ptr 0
		.amdhsa_user_sgpr_queue_ptr 0
		.amdhsa_user_sgpr_kernarg_segment_ptr 1
		.amdhsa_user_sgpr_dispatch_id 0
		.amdhsa_user_sgpr_kernarg_preload_length 0
		.amdhsa_user_sgpr_kernarg_preload_offset 0
		.amdhsa_user_sgpr_private_segment_size 0
		.amdhsa_wavefront_size32 1
		.amdhsa_uses_dynamic_stack 0
		.amdhsa_enable_private_segment 0
		.amdhsa_system_sgpr_workgroup_id_x 1
		.amdhsa_system_sgpr_workgroup_id_y 0
		.amdhsa_system_sgpr_workgroup_id_z 0
		.amdhsa_system_sgpr_workgroup_info 0
		.amdhsa_system_vgpr_workitem_id 0
		.amdhsa_next_free_vgpr 1
		.amdhsa_next_free_sgpr 1
		.amdhsa_named_barrier_count 0
		.amdhsa_reserve_vcc 0
		.amdhsa_float_round_mode_32 0
		.amdhsa_float_round_mode_16_64 0
		.amdhsa_float_denorm_mode_32 3
		.amdhsa_float_denorm_mode_16_64 3
		.amdhsa_fp16_overflow 0
		.amdhsa_memory_ordered 1
		.amdhsa_forward_progress 1
		.amdhsa_inst_pref_size 0
		.amdhsa_round_robin_scheduling 0
		.amdhsa_exception_fp_ieee_invalid_op 0
		.amdhsa_exception_fp_denorm_src 0
		.amdhsa_exception_fp_ieee_div_zero 0
		.amdhsa_exception_fp_ieee_overflow 0
		.amdhsa_exception_fp_ieee_underflow 0
		.amdhsa_exception_fp_ieee_inexact 0
		.amdhsa_exception_int_div_zero 0
	.end_amdhsa_kernel
	.section	.text._ZN7rocprim17ROCPRIM_400000_NS6detail17trampoline_kernelINS0_13select_configILj256ELj13ELNS0_17block_load_methodE3ELS4_3ELS4_3ELNS0_20block_scan_algorithmE0ELj4294967295EEENS1_25partition_config_selectorILNS1_17partition_subalgoE3EjNS0_10empty_typeEbEEZZNS1_14partition_implILS8_3ELb0ES6_jNS0_17counting_iteratorIjlEEPS9_SE_NS0_5tupleIJPjSE_EEENSF_IJSE_SE_EEES9_SG_JZNS1_25segmented_radix_sort_implINS0_14default_configELb1EPKlPlSM_SN_N2at6native12_GLOBAL__N_18offset_tEEE10hipError_tPvRmT1_PNSt15iterator_traitsISV_E10value_typeET2_T3_PNSW_IS11_E10value_typeET4_jRbjT5_S17_jjP12ihipStream_tbEUljE_EEESS_ST_SU_S11_S15_S17_T6_T7_T9_mT8_S19_bDpT10_ENKUlT_T0_E_clISt17integral_constantIbLb0EES1L_IbLb1EEEEDaS1H_S1I_EUlS1H_E_NS1_11comp_targetILNS1_3genE5ELNS1_11target_archE942ELNS1_3gpuE9ELNS1_3repE0EEENS1_30default_config_static_selectorELNS0_4arch9wavefront6targetE0EEEvSV_,"axG",@progbits,_ZN7rocprim17ROCPRIM_400000_NS6detail17trampoline_kernelINS0_13select_configILj256ELj13ELNS0_17block_load_methodE3ELS4_3ELS4_3ELNS0_20block_scan_algorithmE0ELj4294967295EEENS1_25partition_config_selectorILNS1_17partition_subalgoE3EjNS0_10empty_typeEbEEZZNS1_14partition_implILS8_3ELb0ES6_jNS0_17counting_iteratorIjlEEPS9_SE_NS0_5tupleIJPjSE_EEENSF_IJSE_SE_EEES9_SG_JZNS1_25segmented_radix_sort_implINS0_14default_configELb1EPKlPlSM_SN_N2at6native12_GLOBAL__N_18offset_tEEE10hipError_tPvRmT1_PNSt15iterator_traitsISV_E10value_typeET2_T3_PNSW_IS11_E10value_typeET4_jRbjT5_S17_jjP12ihipStream_tbEUljE_EEESS_ST_SU_S11_S15_S17_T6_T7_T9_mT8_S19_bDpT10_ENKUlT_T0_E_clISt17integral_constantIbLb0EES1L_IbLb1EEEEDaS1H_S1I_EUlS1H_E_NS1_11comp_targetILNS1_3genE5ELNS1_11target_archE942ELNS1_3gpuE9ELNS1_3repE0EEENS1_30default_config_static_selectorELNS0_4arch9wavefront6targetE0EEEvSV_,comdat
.Lfunc_end693:
	.size	_ZN7rocprim17ROCPRIM_400000_NS6detail17trampoline_kernelINS0_13select_configILj256ELj13ELNS0_17block_load_methodE3ELS4_3ELS4_3ELNS0_20block_scan_algorithmE0ELj4294967295EEENS1_25partition_config_selectorILNS1_17partition_subalgoE3EjNS0_10empty_typeEbEEZZNS1_14partition_implILS8_3ELb0ES6_jNS0_17counting_iteratorIjlEEPS9_SE_NS0_5tupleIJPjSE_EEENSF_IJSE_SE_EEES9_SG_JZNS1_25segmented_radix_sort_implINS0_14default_configELb1EPKlPlSM_SN_N2at6native12_GLOBAL__N_18offset_tEEE10hipError_tPvRmT1_PNSt15iterator_traitsISV_E10value_typeET2_T3_PNSW_IS11_E10value_typeET4_jRbjT5_S17_jjP12ihipStream_tbEUljE_EEESS_ST_SU_S11_S15_S17_T6_T7_T9_mT8_S19_bDpT10_ENKUlT_T0_E_clISt17integral_constantIbLb0EES1L_IbLb1EEEEDaS1H_S1I_EUlS1H_E_NS1_11comp_targetILNS1_3genE5ELNS1_11target_archE942ELNS1_3gpuE9ELNS1_3repE0EEENS1_30default_config_static_selectorELNS0_4arch9wavefront6targetE0EEEvSV_, .Lfunc_end693-_ZN7rocprim17ROCPRIM_400000_NS6detail17trampoline_kernelINS0_13select_configILj256ELj13ELNS0_17block_load_methodE3ELS4_3ELS4_3ELNS0_20block_scan_algorithmE0ELj4294967295EEENS1_25partition_config_selectorILNS1_17partition_subalgoE3EjNS0_10empty_typeEbEEZZNS1_14partition_implILS8_3ELb0ES6_jNS0_17counting_iteratorIjlEEPS9_SE_NS0_5tupleIJPjSE_EEENSF_IJSE_SE_EEES9_SG_JZNS1_25segmented_radix_sort_implINS0_14default_configELb1EPKlPlSM_SN_N2at6native12_GLOBAL__N_18offset_tEEE10hipError_tPvRmT1_PNSt15iterator_traitsISV_E10value_typeET2_T3_PNSW_IS11_E10value_typeET4_jRbjT5_S17_jjP12ihipStream_tbEUljE_EEESS_ST_SU_S11_S15_S17_T6_T7_T9_mT8_S19_bDpT10_ENKUlT_T0_E_clISt17integral_constantIbLb0EES1L_IbLb1EEEEDaS1H_S1I_EUlS1H_E_NS1_11comp_targetILNS1_3genE5ELNS1_11target_archE942ELNS1_3gpuE9ELNS1_3repE0EEENS1_30default_config_static_selectorELNS0_4arch9wavefront6targetE0EEEvSV_
                                        ; -- End function
	.set _ZN7rocprim17ROCPRIM_400000_NS6detail17trampoline_kernelINS0_13select_configILj256ELj13ELNS0_17block_load_methodE3ELS4_3ELS4_3ELNS0_20block_scan_algorithmE0ELj4294967295EEENS1_25partition_config_selectorILNS1_17partition_subalgoE3EjNS0_10empty_typeEbEEZZNS1_14partition_implILS8_3ELb0ES6_jNS0_17counting_iteratorIjlEEPS9_SE_NS0_5tupleIJPjSE_EEENSF_IJSE_SE_EEES9_SG_JZNS1_25segmented_radix_sort_implINS0_14default_configELb1EPKlPlSM_SN_N2at6native12_GLOBAL__N_18offset_tEEE10hipError_tPvRmT1_PNSt15iterator_traitsISV_E10value_typeET2_T3_PNSW_IS11_E10value_typeET4_jRbjT5_S17_jjP12ihipStream_tbEUljE_EEESS_ST_SU_S11_S15_S17_T6_T7_T9_mT8_S19_bDpT10_ENKUlT_T0_E_clISt17integral_constantIbLb0EES1L_IbLb1EEEEDaS1H_S1I_EUlS1H_E_NS1_11comp_targetILNS1_3genE5ELNS1_11target_archE942ELNS1_3gpuE9ELNS1_3repE0EEENS1_30default_config_static_selectorELNS0_4arch9wavefront6targetE0EEEvSV_.num_vgpr, 0
	.set _ZN7rocprim17ROCPRIM_400000_NS6detail17trampoline_kernelINS0_13select_configILj256ELj13ELNS0_17block_load_methodE3ELS4_3ELS4_3ELNS0_20block_scan_algorithmE0ELj4294967295EEENS1_25partition_config_selectorILNS1_17partition_subalgoE3EjNS0_10empty_typeEbEEZZNS1_14partition_implILS8_3ELb0ES6_jNS0_17counting_iteratorIjlEEPS9_SE_NS0_5tupleIJPjSE_EEENSF_IJSE_SE_EEES9_SG_JZNS1_25segmented_radix_sort_implINS0_14default_configELb1EPKlPlSM_SN_N2at6native12_GLOBAL__N_18offset_tEEE10hipError_tPvRmT1_PNSt15iterator_traitsISV_E10value_typeET2_T3_PNSW_IS11_E10value_typeET4_jRbjT5_S17_jjP12ihipStream_tbEUljE_EEESS_ST_SU_S11_S15_S17_T6_T7_T9_mT8_S19_bDpT10_ENKUlT_T0_E_clISt17integral_constantIbLb0EES1L_IbLb1EEEEDaS1H_S1I_EUlS1H_E_NS1_11comp_targetILNS1_3genE5ELNS1_11target_archE942ELNS1_3gpuE9ELNS1_3repE0EEENS1_30default_config_static_selectorELNS0_4arch9wavefront6targetE0EEEvSV_.num_agpr, 0
	.set _ZN7rocprim17ROCPRIM_400000_NS6detail17trampoline_kernelINS0_13select_configILj256ELj13ELNS0_17block_load_methodE3ELS4_3ELS4_3ELNS0_20block_scan_algorithmE0ELj4294967295EEENS1_25partition_config_selectorILNS1_17partition_subalgoE3EjNS0_10empty_typeEbEEZZNS1_14partition_implILS8_3ELb0ES6_jNS0_17counting_iteratorIjlEEPS9_SE_NS0_5tupleIJPjSE_EEENSF_IJSE_SE_EEES9_SG_JZNS1_25segmented_radix_sort_implINS0_14default_configELb1EPKlPlSM_SN_N2at6native12_GLOBAL__N_18offset_tEEE10hipError_tPvRmT1_PNSt15iterator_traitsISV_E10value_typeET2_T3_PNSW_IS11_E10value_typeET4_jRbjT5_S17_jjP12ihipStream_tbEUljE_EEESS_ST_SU_S11_S15_S17_T6_T7_T9_mT8_S19_bDpT10_ENKUlT_T0_E_clISt17integral_constantIbLb0EES1L_IbLb1EEEEDaS1H_S1I_EUlS1H_E_NS1_11comp_targetILNS1_3genE5ELNS1_11target_archE942ELNS1_3gpuE9ELNS1_3repE0EEENS1_30default_config_static_selectorELNS0_4arch9wavefront6targetE0EEEvSV_.numbered_sgpr, 0
	.set _ZN7rocprim17ROCPRIM_400000_NS6detail17trampoline_kernelINS0_13select_configILj256ELj13ELNS0_17block_load_methodE3ELS4_3ELS4_3ELNS0_20block_scan_algorithmE0ELj4294967295EEENS1_25partition_config_selectorILNS1_17partition_subalgoE3EjNS0_10empty_typeEbEEZZNS1_14partition_implILS8_3ELb0ES6_jNS0_17counting_iteratorIjlEEPS9_SE_NS0_5tupleIJPjSE_EEENSF_IJSE_SE_EEES9_SG_JZNS1_25segmented_radix_sort_implINS0_14default_configELb1EPKlPlSM_SN_N2at6native12_GLOBAL__N_18offset_tEEE10hipError_tPvRmT1_PNSt15iterator_traitsISV_E10value_typeET2_T3_PNSW_IS11_E10value_typeET4_jRbjT5_S17_jjP12ihipStream_tbEUljE_EEESS_ST_SU_S11_S15_S17_T6_T7_T9_mT8_S19_bDpT10_ENKUlT_T0_E_clISt17integral_constantIbLb0EES1L_IbLb1EEEEDaS1H_S1I_EUlS1H_E_NS1_11comp_targetILNS1_3genE5ELNS1_11target_archE942ELNS1_3gpuE9ELNS1_3repE0EEENS1_30default_config_static_selectorELNS0_4arch9wavefront6targetE0EEEvSV_.num_named_barrier, 0
	.set _ZN7rocprim17ROCPRIM_400000_NS6detail17trampoline_kernelINS0_13select_configILj256ELj13ELNS0_17block_load_methodE3ELS4_3ELS4_3ELNS0_20block_scan_algorithmE0ELj4294967295EEENS1_25partition_config_selectorILNS1_17partition_subalgoE3EjNS0_10empty_typeEbEEZZNS1_14partition_implILS8_3ELb0ES6_jNS0_17counting_iteratorIjlEEPS9_SE_NS0_5tupleIJPjSE_EEENSF_IJSE_SE_EEES9_SG_JZNS1_25segmented_radix_sort_implINS0_14default_configELb1EPKlPlSM_SN_N2at6native12_GLOBAL__N_18offset_tEEE10hipError_tPvRmT1_PNSt15iterator_traitsISV_E10value_typeET2_T3_PNSW_IS11_E10value_typeET4_jRbjT5_S17_jjP12ihipStream_tbEUljE_EEESS_ST_SU_S11_S15_S17_T6_T7_T9_mT8_S19_bDpT10_ENKUlT_T0_E_clISt17integral_constantIbLb0EES1L_IbLb1EEEEDaS1H_S1I_EUlS1H_E_NS1_11comp_targetILNS1_3genE5ELNS1_11target_archE942ELNS1_3gpuE9ELNS1_3repE0EEENS1_30default_config_static_selectorELNS0_4arch9wavefront6targetE0EEEvSV_.private_seg_size, 0
	.set _ZN7rocprim17ROCPRIM_400000_NS6detail17trampoline_kernelINS0_13select_configILj256ELj13ELNS0_17block_load_methodE3ELS4_3ELS4_3ELNS0_20block_scan_algorithmE0ELj4294967295EEENS1_25partition_config_selectorILNS1_17partition_subalgoE3EjNS0_10empty_typeEbEEZZNS1_14partition_implILS8_3ELb0ES6_jNS0_17counting_iteratorIjlEEPS9_SE_NS0_5tupleIJPjSE_EEENSF_IJSE_SE_EEES9_SG_JZNS1_25segmented_radix_sort_implINS0_14default_configELb1EPKlPlSM_SN_N2at6native12_GLOBAL__N_18offset_tEEE10hipError_tPvRmT1_PNSt15iterator_traitsISV_E10value_typeET2_T3_PNSW_IS11_E10value_typeET4_jRbjT5_S17_jjP12ihipStream_tbEUljE_EEESS_ST_SU_S11_S15_S17_T6_T7_T9_mT8_S19_bDpT10_ENKUlT_T0_E_clISt17integral_constantIbLb0EES1L_IbLb1EEEEDaS1H_S1I_EUlS1H_E_NS1_11comp_targetILNS1_3genE5ELNS1_11target_archE942ELNS1_3gpuE9ELNS1_3repE0EEENS1_30default_config_static_selectorELNS0_4arch9wavefront6targetE0EEEvSV_.uses_vcc, 0
	.set _ZN7rocprim17ROCPRIM_400000_NS6detail17trampoline_kernelINS0_13select_configILj256ELj13ELNS0_17block_load_methodE3ELS4_3ELS4_3ELNS0_20block_scan_algorithmE0ELj4294967295EEENS1_25partition_config_selectorILNS1_17partition_subalgoE3EjNS0_10empty_typeEbEEZZNS1_14partition_implILS8_3ELb0ES6_jNS0_17counting_iteratorIjlEEPS9_SE_NS0_5tupleIJPjSE_EEENSF_IJSE_SE_EEES9_SG_JZNS1_25segmented_radix_sort_implINS0_14default_configELb1EPKlPlSM_SN_N2at6native12_GLOBAL__N_18offset_tEEE10hipError_tPvRmT1_PNSt15iterator_traitsISV_E10value_typeET2_T3_PNSW_IS11_E10value_typeET4_jRbjT5_S17_jjP12ihipStream_tbEUljE_EEESS_ST_SU_S11_S15_S17_T6_T7_T9_mT8_S19_bDpT10_ENKUlT_T0_E_clISt17integral_constantIbLb0EES1L_IbLb1EEEEDaS1H_S1I_EUlS1H_E_NS1_11comp_targetILNS1_3genE5ELNS1_11target_archE942ELNS1_3gpuE9ELNS1_3repE0EEENS1_30default_config_static_selectorELNS0_4arch9wavefront6targetE0EEEvSV_.uses_flat_scratch, 0
	.set _ZN7rocprim17ROCPRIM_400000_NS6detail17trampoline_kernelINS0_13select_configILj256ELj13ELNS0_17block_load_methodE3ELS4_3ELS4_3ELNS0_20block_scan_algorithmE0ELj4294967295EEENS1_25partition_config_selectorILNS1_17partition_subalgoE3EjNS0_10empty_typeEbEEZZNS1_14partition_implILS8_3ELb0ES6_jNS0_17counting_iteratorIjlEEPS9_SE_NS0_5tupleIJPjSE_EEENSF_IJSE_SE_EEES9_SG_JZNS1_25segmented_radix_sort_implINS0_14default_configELb1EPKlPlSM_SN_N2at6native12_GLOBAL__N_18offset_tEEE10hipError_tPvRmT1_PNSt15iterator_traitsISV_E10value_typeET2_T3_PNSW_IS11_E10value_typeET4_jRbjT5_S17_jjP12ihipStream_tbEUljE_EEESS_ST_SU_S11_S15_S17_T6_T7_T9_mT8_S19_bDpT10_ENKUlT_T0_E_clISt17integral_constantIbLb0EES1L_IbLb1EEEEDaS1H_S1I_EUlS1H_E_NS1_11comp_targetILNS1_3genE5ELNS1_11target_archE942ELNS1_3gpuE9ELNS1_3repE0EEENS1_30default_config_static_selectorELNS0_4arch9wavefront6targetE0EEEvSV_.has_dyn_sized_stack, 0
	.set _ZN7rocprim17ROCPRIM_400000_NS6detail17trampoline_kernelINS0_13select_configILj256ELj13ELNS0_17block_load_methodE3ELS4_3ELS4_3ELNS0_20block_scan_algorithmE0ELj4294967295EEENS1_25partition_config_selectorILNS1_17partition_subalgoE3EjNS0_10empty_typeEbEEZZNS1_14partition_implILS8_3ELb0ES6_jNS0_17counting_iteratorIjlEEPS9_SE_NS0_5tupleIJPjSE_EEENSF_IJSE_SE_EEES9_SG_JZNS1_25segmented_radix_sort_implINS0_14default_configELb1EPKlPlSM_SN_N2at6native12_GLOBAL__N_18offset_tEEE10hipError_tPvRmT1_PNSt15iterator_traitsISV_E10value_typeET2_T3_PNSW_IS11_E10value_typeET4_jRbjT5_S17_jjP12ihipStream_tbEUljE_EEESS_ST_SU_S11_S15_S17_T6_T7_T9_mT8_S19_bDpT10_ENKUlT_T0_E_clISt17integral_constantIbLb0EES1L_IbLb1EEEEDaS1H_S1I_EUlS1H_E_NS1_11comp_targetILNS1_3genE5ELNS1_11target_archE942ELNS1_3gpuE9ELNS1_3repE0EEENS1_30default_config_static_selectorELNS0_4arch9wavefront6targetE0EEEvSV_.has_recursion, 0
	.set _ZN7rocprim17ROCPRIM_400000_NS6detail17trampoline_kernelINS0_13select_configILj256ELj13ELNS0_17block_load_methodE3ELS4_3ELS4_3ELNS0_20block_scan_algorithmE0ELj4294967295EEENS1_25partition_config_selectorILNS1_17partition_subalgoE3EjNS0_10empty_typeEbEEZZNS1_14partition_implILS8_3ELb0ES6_jNS0_17counting_iteratorIjlEEPS9_SE_NS0_5tupleIJPjSE_EEENSF_IJSE_SE_EEES9_SG_JZNS1_25segmented_radix_sort_implINS0_14default_configELb1EPKlPlSM_SN_N2at6native12_GLOBAL__N_18offset_tEEE10hipError_tPvRmT1_PNSt15iterator_traitsISV_E10value_typeET2_T3_PNSW_IS11_E10value_typeET4_jRbjT5_S17_jjP12ihipStream_tbEUljE_EEESS_ST_SU_S11_S15_S17_T6_T7_T9_mT8_S19_bDpT10_ENKUlT_T0_E_clISt17integral_constantIbLb0EES1L_IbLb1EEEEDaS1H_S1I_EUlS1H_E_NS1_11comp_targetILNS1_3genE5ELNS1_11target_archE942ELNS1_3gpuE9ELNS1_3repE0EEENS1_30default_config_static_selectorELNS0_4arch9wavefront6targetE0EEEvSV_.has_indirect_call, 0
	.section	.AMDGPU.csdata,"",@progbits
; Kernel info:
; codeLenInByte = 0
; TotalNumSgprs: 0
; NumVgprs: 0
; ScratchSize: 0
; MemoryBound: 0
; FloatMode: 240
; IeeeMode: 1
; LDSByteSize: 0 bytes/workgroup (compile time only)
; SGPRBlocks: 0
; VGPRBlocks: 0
; NumSGPRsForWavesPerEU: 1
; NumVGPRsForWavesPerEU: 1
; NamedBarCnt: 0
; Occupancy: 16
; WaveLimiterHint : 0
; COMPUTE_PGM_RSRC2:SCRATCH_EN: 0
; COMPUTE_PGM_RSRC2:USER_SGPR: 2
; COMPUTE_PGM_RSRC2:TRAP_HANDLER: 0
; COMPUTE_PGM_RSRC2:TGID_X_EN: 1
; COMPUTE_PGM_RSRC2:TGID_Y_EN: 0
; COMPUTE_PGM_RSRC2:TGID_Z_EN: 0
; COMPUTE_PGM_RSRC2:TIDIG_COMP_CNT: 0
	.section	.text._ZN7rocprim17ROCPRIM_400000_NS6detail17trampoline_kernelINS0_13select_configILj256ELj13ELNS0_17block_load_methodE3ELS4_3ELS4_3ELNS0_20block_scan_algorithmE0ELj4294967295EEENS1_25partition_config_selectorILNS1_17partition_subalgoE3EjNS0_10empty_typeEbEEZZNS1_14partition_implILS8_3ELb0ES6_jNS0_17counting_iteratorIjlEEPS9_SE_NS0_5tupleIJPjSE_EEENSF_IJSE_SE_EEES9_SG_JZNS1_25segmented_radix_sort_implINS0_14default_configELb1EPKlPlSM_SN_N2at6native12_GLOBAL__N_18offset_tEEE10hipError_tPvRmT1_PNSt15iterator_traitsISV_E10value_typeET2_T3_PNSW_IS11_E10value_typeET4_jRbjT5_S17_jjP12ihipStream_tbEUljE_EEESS_ST_SU_S11_S15_S17_T6_T7_T9_mT8_S19_bDpT10_ENKUlT_T0_E_clISt17integral_constantIbLb0EES1L_IbLb1EEEEDaS1H_S1I_EUlS1H_E_NS1_11comp_targetILNS1_3genE4ELNS1_11target_archE910ELNS1_3gpuE8ELNS1_3repE0EEENS1_30default_config_static_selectorELNS0_4arch9wavefront6targetE0EEEvSV_,"axG",@progbits,_ZN7rocprim17ROCPRIM_400000_NS6detail17trampoline_kernelINS0_13select_configILj256ELj13ELNS0_17block_load_methodE3ELS4_3ELS4_3ELNS0_20block_scan_algorithmE0ELj4294967295EEENS1_25partition_config_selectorILNS1_17partition_subalgoE3EjNS0_10empty_typeEbEEZZNS1_14partition_implILS8_3ELb0ES6_jNS0_17counting_iteratorIjlEEPS9_SE_NS0_5tupleIJPjSE_EEENSF_IJSE_SE_EEES9_SG_JZNS1_25segmented_radix_sort_implINS0_14default_configELb1EPKlPlSM_SN_N2at6native12_GLOBAL__N_18offset_tEEE10hipError_tPvRmT1_PNSt15iterator_traitsISV_E10value_typeET2_T3_PNSW_IS11_E10value_typeET4_jRbjT5_S17_jjP12ihipStream_tbEUljE_EEESS_ST_SU_S11_S15_S17_T6_T7_T9_mT8_S19_bDpT10_ENKUlT_T0_E_clISt17integral_constantIbLb0EES1L_IbLb1EEEEDaS1H_S1I_EUlS1H_E_NS1_11comp_targetILNS1_3genE4ELNS1_11target_archE910ELNS1_3gpuE8ELNS1_3repE0EEENS1_30default_config_static_selectorELNS0_4arch9wavefront6targetE0EEEvSV_,comdat
	.globl	_ZN7rocprim17ROCPRIM_400000_NS6detail17trampoline_kernelINS0_13select_configILj256ELj13ELNS0_17block_load_methodE3ELS4_3ELS4_3ELNS0_20block_scan_algorithmE0ELj4294967295EEENS1_25partition_config_selectorILNS1_17partition_subalgoE3EjNS0_10empty_typeEbEEZZNS1_14partition_implILS8_3ELb0ES6_jNS0_17counting_iteratorIjlEEPS9_SE_NS0_5tupleIJPjSE_EEENSF_IJSE_SE_EEES9_SG_JZNS1_25segmented_radix_sort_implINS0_14default_configELb1EPKlPlSM_SN_N2at6native12_GLOBAL__N_18offset_tEEE10hipError_tPvRmT1_PNSt15iterator_traitsISV_E10value_typeET2_T3_PNSW_IS11_E10value_typeET4_jRbjT5_S17_jjP12ihipStream_tbEUljE_EEESS_ST_SU_S11_S15_S17_T6_T7_T9_mT8_S19_bDpT10_ENKUlT_T0_E_clISt17integral_constantIbLb0EES1L_IbLb1EEEEDaS1H_S1I_EUlS1H_E_NS1_11comp_targetILNS1_3genE4ELNS1_11target_archE910ELNS1_3gpuE8ELNS1_3repE0EEENS1_30default_config_static_selectorELNS0_4arch9wavefront6targetE0EEEvSV_ ; -- Begin function _ZN7rocprim17ROCPRIM_400000_NS6detail17trampoline_kernelINS0_13select_configILj256ELj13ELNS0_17block_load_methodE3ELS4_3ELS4_3ELNS0_20block_scan_algorithmE0ELj4294967295EEENS1_25partition_config_selectorILNS1_17partition_subalgoE3EjNS0_10empty_typeEbEEZZNS1_14partition_implILS8_3ELb0ES6_jNS0_17counting_iteratorIjlEEPS9_SE_NS0_5tupleIJPjSE_EEENSF_IJSE_SE_EEES9_SG_JZNS1_25segmented_radix_sort_implINS0_14default_configELb1EPKlPlSM_SN_N2at6native12_GLOBAL__N_18offset_tEEE10hipError_tPvRmT1_PNSt15iterator_traitsISV_E10value_typeET2_T3_PNSW_IS11_E10value_typeET4_jRbjT5_S17_jjP12ihipStream_tbEUljE_EEESS_ST_SU_S11_S15_S17_T6_T7_T9_mT8_S19_bDpT10_ENKUlT_T0_E_clISt17integral_constantIbLb0EES1L_IbLb1EEEEDaS1H_S1I_EUlS1H_E_NS1_11comp_targetILNS1_3genE4ELNS1_11target_archE910ELNS1_3gpuE8ELNS1_3repE0EEENS1_30default_config_static_selectorELNS0_4arch9wavefront6targetE0EEEvSV_
	.p2align	8
	.type	_ZN7rocprim17ROCPRIM_400000_NS6detail17trampoline_kernelINS0_13select_configILj256ELj13ELNS0_17block_load_methodE3ELS4_3ELS4_3ELNS0_20block_scan_algorithmE0ELj4294967295EEENS1_25partition_config_selectorILNS1_17partition_subalgoE3EjNS0_10empty_typeEbEEZZNS1_14partition_implILS8_3ELb0ES6_jNS0_17counting_iteratorIjlEEPS9_SE_NS0_5tupleIJPjSE_EEENSF_IJSE_SE_EEES9_SG_JZNS1_25segmented_radix_sort_implINS0_14default_configELb1EPKlPlSM_SN_N2at6native12_GLOBAL__N_18offset_tEEE10hipError_tPvRmT1_PNSt15iterator_traitsISV_E10value_typeET2_T3_PNSW_IS11_E10value_typeET4_jRbjT5_S17_jjP12ihipStream_tbEUljE_EEESS_ST_SU_S11_S15_S17_T6_T7_T9_mT8_S19_bDpT10_ENKUlT_T0_E_clISt17integral_constantIbLb0EES1L_IbLb1EEEEDaS1H_S1I_EUlS1H_E_NS1_11comp_targetILNS1_3genE4ELNS1_11target_archE910ELNS1_3gpuE8ELNS1_3repE0EEENS1_30default_config_static_selectorELNS0_4arch9wavefront6targetE0EEEvSV_,@function
_ZN7rocprim17ROCPRIM_400000_NS6detail17trampoline_kernelINS0_13select_configILj256ELj13ELNS0_17block_load_methodE3ELS4_3ELS4_3ELNS0_20block_scan_algorithmE0ELj4294967295EEENS1_25partition_config_selectorILNS1_17partition_subalgoE3EjNS0_10empty_typeEbEEZZNS1_14partition_implILS8_3ELb0ES6_jNS0_17counting_iteratorIjlEEPS9_SE_NS0_5tupleIJPjSE_EEENSF_IJSE_SE_EEES9_SG_JZNS1_25segmented_radix_sort_implINS0_14default_configELb1EPKlPlSM_SN_N2at6native12_GLOBAL__N_18offset_tEEE10hipError_tPvRmT1_PNSt15iterator_traitsISV_E10value_typeET2_T3_PNSW_IS11_E10value_typeET4_jRbjT5_S17_jjP12ihipStream_tbEUljE_EEESS_ST_SU_S11_S15_S17_T6_T7_T9_mT8_S19_bDpT10_ENKUlT_T0_E_clISt17integral_constantIbLb0EES1L_IbLb1EEEEDaS1H_S1I_EUlS1H_E_NS1_11comp_targetILNS1_3genE4ELNS1_11target_archE910ELNS1_3gpuE8ELNS1_3repE0EEENS1_30default_config_static_selectorELNS0_4arch9wavefront6targetE0EEEvSV_: ; @_ZN7rocprim17ROCPRIM_400000_NS6detail17trampoline_kernelINS0_13select_configILj256ELj13ELNS0_17block_load_methodE3ELS4_3ELS4_3ELNS0_20block_scan_algorithmE0ELj4294967295EEENS1_25partition_config_selectorILNS1_17partition_subalgoE3EjNS0_10empty_typeEbEEZZNS1_14partition_implILS8_3ELb0ES6_jNS0_17counting_iteratorIjlEEPS9_SE_NS0_5tupleIJPjSE_EEENSF_IJSE_SE_EEES9_SG_JZNS1_25segmented_radix_sort_implINS0_14default_configELb1EPKlPlSM_SN_N2at6native12_GLOBAL__N_18offset_tEEE10hipError_tPvRmT1_PNSt15iterator_traitsISV_E10value_typeET2_T3_PNSW_IS11_E10value_typeET4_jRbjT5_S17_jjP12ihipStream_tbEUljE_EEESS_ST_SU_S11_S15_S17_T6_T7_T9_mT8_S19_bDpT10_ENKUlT_T0_E_clISt17integral_constantIbLb0EES1L_IbLb1EEEEDaS1H_S1I_EUlS1H_E_NS1_11comp_targetILNS1_3genE4ELNS1_11target_archE910ELNS1_3gpuE8ELNS1_3repE0EEENS1_30default_config_static_selectorELNS0_4arch9wavefront6targetE0EEEvSV_
; %bb.0:
	.section	.rodata,"a",@progbits
	.p2align	6, 0x0
	.amdhsa_kernel _ZN7rocprim17ROCPRIM_400000_NS6detail17trampoline_kernelINS0_13select_configILj256ELj13ELNS0_17block_load_methodE3ELS4_3ELS4_3ELNS0_20block_scan_algorithmE0ELj4294967295EEENS1_25partition_config_selectorILNS1_17partition_subalgoE3EjNS0_10empty_typeEbEEZZNS1_14partition_implILS8_3ELb0ES6_jNS0_17counting_iteratorIjlEEPS9_SE_NS0_5tupleIJPjSE_EEENSF_IJSE_SE_EEES9_SG_JZNS1_25segmented_radix_sort_implINS0_14default_configELb1EPKlPlSM_SN_N2at6native12_GLOBAL__N_18offset_tEEE10hipError_tPvRmT1_PNSt15iterator_traitsISV_E10value_typeET2_T3_PNSW_IS11_E10value_typeET4_jRbjT5_S17_jjP12ihipStream_tbEUljE_EEESS_ST_SU_S11_S15_S17_T6_T7_T9_mT8_S19_bDpT10_ENKUlT_T0_E_clISt17integral_constantIbLb0EES1L_IbLb1EEEEDaS1H_S1I_EUlS1H_E_NS1_11comp_targetILNS1_3genE4ELNS1_11target_archE910ELNS1_3gpuE8ELNS1_3repE0EEENS1_30default_config_static_selectorELNS0_4arch9wavefront6targetE0EEEvSV_
		.amdhsa_group_segment_fixed_size 0
		.amdhsa_private_segment_fixed_size 0
		.amdhsa_kernarg_size 152
		.amdhsa_user_sgpr_count 2
		.amdhsa_user_sgpr_dispatch_ptr 0
		.amdhsa_user_sgpr_queue_ptr 0
		.amdhsa_user_sgpr_kernarg_segment_ptr 1
		.amdhsa_user_sgpr_dispatch_id 0
		.amdhsa_user_sgpr_kernarg_preload_length 0
		.amdhsa_user_sgpr_kernarg_preload_offset 0
		.amdhsa_user_sgpr_private_segment_size 0
		.amdhsa_wavefront_size32 1
		.amdhsa_uses_dynamic_stack 0
		.amdhsa_enable_private_segment 0
		.amdhsa_system_sgpr_workgroup_id_x 1
		.amdhsa_system_sgpr_workgroup_id_y 0
		.amdhsa_system_sgpr_workgroup_id_z 0
		.amdhsa_system_sgpr_workgroup_info 0
		.amdhsa_system_vgpr_workitem_id 0
		.amdhsa_next_free_vgpr 1
		.amdhsa_next_free_sgpr 1
		.amdhsa_named_barrier_count 0
		.amdhsa_reserve_vcc 0
		.amdhsa_float_round_mode_32 0
		.amdhsa_float_round_mode_16_64 0
		.amdhsa_float_denorm_mode_32 3
		.amdhsa_float_denorm_mode_16_64 3
		.amdhsa_fp16_overflow 0
		.amdhsa_memory_ordered 1
		.amdhsa_forward_progress 1
		.amdhsa_inst_pref_size 0
		.amdhsa_round_robin_scheduling 0
		.amdhsa_exception_fp_ieee_invalid_op 0
		.amdhsa_exception_fp_denorm_src 0
		.amdhsa_exception_fp_ieee_div_zero 0
		.amdhsa_exception_fp_ieee_overflow 0
		.amdhsa_exception_fp_ieee_underflow 0
		.amdhsa_exception_fp_ieee_inexact 0
		.amdhsa_exception_int_div_zero 0
	.end_amdhsa_kernel
	.section	.text._ZN7rocprim17ROCPRIM_400000_NS6detail17trampoline_kernelINS0_13select_configILj256ELj13ELNS0_17block_load_methodE3ELS4_3ELS4_3ELNS0_20block_scan_algorithmE0ELj4294967295EEENS1_25partition_config_selectorILNS1_17partition_subalgoE3EjNS0_10empty_typeEbEEZZNS1_14partition_implILS8_3ELb0ES6_jNS0_17counting_iteratorIjlEEPS9_SE_NS0_5tupleIJPjSE_EEENSF_IJSE_SE_EEES9_SG_JZNS1_25segmented_radix_sort_implINS0_14default_configELb1EPKlPlSM_SN_N2at6native12_GLOBAL__N_18offset_tEEE10hipError_tPvRmT1_PNSt15iterator_traitsISV_E10value_typeET2_T3_PNSW_IS11_E10value_typeET4_jRbjT5_S17_jjP12ihipStream_tbEUljE_EEESS_ST_SU_S11_S15_S17_T6_T7_T9_mT8_S19_bDpT10_ENKUlT_T0_E_clISt17integral_constantIbLb0EES1L_IbLb1EEEEDaS1H_S1I_EUlS1H_E_NS1_11comp_targetILNS1_3genE4ELNS1_11target_archE910ELNS1_3gpuE8ELNS1_3repE0EEENS1_30default_config_static_selectorELNS0_4arch9wavefront6targetE0EEEvSV_,"axG",@progbits,_ZN7rocprim17ROCPRIM_400000_NS6detail17trampoline_kernelINS0_13select_configILj256ELj13ELNS0_17block_load_methodE3ELS4_3ELS4_3ELNS0_20block_scan_algorithmE0ELj4294967295EEENS1_25partition_config_selectorILNS1_17partition_subalgoE3EjNS0_10empty_typeEbEEZZNS1_14partition_implILS8_3ELb0ES6_jNS0_17counting_iteratorIjlEEPS9_SE_NS0_5tupleIJPjSE_EEENSF_IJSE_SE_EEES9_SG_JZNS1_25segmented_radix_sort_implINS0_14default_configELb1EPKlPlSM_SN_N2at6native12_GLOBAL__N_18offset_tEEE10hipError_tPvRmT1_PNSt15iterator_traitsISV_E10value_typeET2_T3_PNSW_IS11_E10value_typeET4_jRbjT5_S17_jjP12ihipStream_tbEUljE_EEESS_ST_SU_S11_S15_S17_T6_T7_T9_mT8_S19_bDpT10_ENKUlT_T0_E_clISt17integral_constantIbLb0EES1L_IbLb1EEEEDaS1H_S1I_EUlS1H_E_NS1_11comp_targetILNS1_3genE4ELNS1_11target_archE910ELNS1_3gpuE8ELNS1_3repE0EEENS1_30default_config_static_selectorELNS0_4arch9wavefront6targetE0EEEvSV_,comdat
.Lfunc_end694:
	.size	_ZN7rocprim17ROCPRIM_400000_NS6detail17trampoline_kernelINS0_13select_configILj256ELj13ELNS0_17block_load_methodE3ELS4_3ELS4_3ELNS0_20block_scan_algorithmE0ELj4294967295EEENS1_25partition_config_selectorILNS1_17partition_subalgoE3EjNS0_10empty_typeEbEEZZNS1_14partition_implILS8_3ELb0ES6_jNS0_17counting_iteratorIjlEEPS9_SE_NS0_5tupleIJPjSE_EEENSF_IJSE_SE_EEES9_SG_JZNS1_25segmented_radix_sort_implINS0_14default_configELb1EPKlPlSM_SN_N2at6native12_GLOBAL__N_18offset_tEEE10hipError_tPvRmT1_PNSt15iterator_traitsISV_E10value_typeET2_T3_PNSW_IS11_E10value_typeET4_jRbjT5_S17_jjP12ihipStream_tbEUljE_EEESS_ST_SU_S11_S15_S17_T6_T7_T9_mT8_S19_bDpT10_ENKUlT_T0_E_clISt17integral_constantIbLb0EES1L_IbLb1EEEEDaS1H_S1I_EUlS1H_E_NS1_11comp_targetILNS1_3genE4ELNS1_11target_archE910ELNS1_3gpuE8ELNS1_3repE0EEENS1_30default_config_static_selectorELNS0_4arch9wavefront6targetE0EEEvSV_, .Lfunc_end694-_ZN7rocprim17ROCPRIM_400000_NS6detail17trampoline_kernelINS0_13select_configILj256ELj13ELNS0_17block_load_methodE3ELS4_3ELS4_3ELNS0_20block_scan_algorithmE0ELj4294967295EEENS1_25partition_config_selectorILNS1_17partition_subalgoE3EjNS0_10empty_typeEbEEZZNS1_14partition_implILS8_3ELb0ES6_jNS0_17counting_iteratorIjlEEPS9_SE_NS0_5tupleIJPjSE_EEENSF_IJSE_SE_EEES9_SG_JZNS1_25segmented_radix_sort_implINS0_14default_configELb1EPKlPlSM_SN_N2at6native12_GLOBAL__N_18offset_tEEE10hipError_tPvRmT1_PNSt15iterator_traitsISV_E10value_typeET2_T3_PNSW_IS11_E10value_typeET4_jRbjT5_S17_jjP12ihipStream_tbEUljE_EEESS_ST_SU_S11_S15_S17_T6_T7_T9_mT8_S19_bDpT10_ENKUlT_T0_E_clISt17integral_constantIbLb0EES1L_IbLb1EEEEDaS1H_S1I_EUlS1H_E_NS1_11comp_targetILNS1_3genE4ELNS1_11target_archE910ELNS1_3gpuE8ELNS1_3repE0EEENS1_30default_config_static_selectorELNS0_4arch9wavefront6targetE0EEEvSV_
                                        ; -- End function
	.set _ZN7rocprim17ROCPRIM_400000_NS6detail17trampoline_kernelINS0_13select_configILj256ELj13ELNS0_17block_load_methodE3ELS4_3ELS4_3ELNS0_20block_scan_algorithmE0ELj4294967295EEENS1_25partition_config_selectorILNS1_17partition_subalgoE3EjNS0_10empty_typeEbEEZZNS1_14partition_implILS8_3ELb0ES6_jNS0_17counting_iteratorIjlEEPS9_SE_NS0_5tupleIJPjSE_EEENSF_IJSE_SE_EEES9_SG_JZNS1_25segmented_radix_sort_implINS0_14default_configELb1EPKlPlSM_SN_N2at6native12_GLOBAL__N_18offset_tEEE10hipError_tPvRmT1_PNSt15iterator_traitsISV_E10value_typeET2_T3_PNSW_IS11_E10value_typeET4_jRbjT5_S17_jjP12ihipStream_tbEUljE_EEESS_ST_SU_S11_S15_S17_T6_T7_T9_mT8_S19_bDpT10_ENKUlT_T0_E_clISt17integral_constantIbLb0EES1L_IbLb1EEEEDaS1H_S1I_EUlS1H_E_NS1_11comp_targetILNS1_3genE4ELNS1_11target_archE910ELNS1_3gpuE8ELNS1_3repE0EEENS1_30default_config_static_selectorELNS0_4arch9wavefront6targetE0EEEvSV_.num_vgpr, 0
	.set _ZN7rocprim17ROCPRIM_400000_NS6detail17trampoline_kernelINS0_13select_configILj256ELj13ELNS0_17block_load_methodE3ELS4_3ELS4_3ELNS0_20block_scan_algorithmE0ELj4294967295EEENS1_25partition_config_selectorILNS1_17partition_subalgoE3EjNS0_10empty_typeEbEEZZNS1_14partition_implILS8_3ELb0ES6_jNS0_17counting_iteratorIjlEEPS9_SE_NS0_5tupleIJPjSE_EEENSF_IJSE_SE_EEES9_SG_JZNS1_25segmented_radix_sort_implINS0_14default_configELb1EPKlPlSM_SN_N2at6native12_GLOBAL__N_18offset_tEEE10hipError_tPvRmT1_PNSt15iterator_traitsISV_E10value_typeET2_T3_PNSW_IS11_E10value_typeET4_jRbjT5_S17_jjP12ihipStream_tbEUljE_EEESS_ST_SU_S11_S15_S17_T6_T7_T9_mT8_S19_bDpT10_ENKUlT_T0_E_clISt17integral_constantIbLb0EES1L_IbLb1EEEEDaS1H_S1I_EUlS1H_E_NS1_11comp_targetILNS1_3genE4ELNS1_11target_archE910ELNS1_3gpuE8ELNS1_3repE0EEENS1_30default_config_static_selectorELNS0_4arch9wavefront6targetE0EEEvSV_.num_agpr, 0
	.set _ZN7rocprim17ROCPRIM_400000_NS6detail17trampoline_kernelINS0_13select_configILj256ELj13ELNS0_17block_load_methodE3ELS4_3ELS4_3ELNS0_20block_scan_algorithmE0ELj4294967295EEENS1_25partition_config_selectorILNS1_17partition_subalgoE3EjNS0_10empty_typeEbEEZZNS1_14partition_implILS8_3ELb0ES6_jNS0_17counting_iteratorIjlEEPS9_SE_NS0_5tupleIJPjSE_EEENSF_IJSE_SE_EEES9_SG_JZNS1_25segmented_radix_sort_implINS0_14default_configELb1EPKlPlSM_SN_N2at6native12_GLOBAL__N_18offset_tEEE10hipError_tPvRmT1_PNSt15iterator_traitsISV_E10value_typeET2_T3_PNSW_IS11_E10value_typeET4_jRbjT5_S17_jjP12ihipStream_tbEUljE_EEESS_ST_SU_S11_S15_S17_T6_T7_T9_mT8_S19_bDpT10_ENKUlT_T0_E_clISt17integral_constantIbLb0EES1L_IbLb1EEEEDaS1H_S1I_EUlS1H_E_NS1_11comp_targetILNS1_3genE4ELNS1_11target_archE910ELNS1_3gpuE8ELNS1_3repE0EEENS1_30default_config_static_selectorELNS0_4arch9wavefront6targetE0EEEvSV_.numbered_sgpr, 0
	.set _ZN7rocprim17ROCPRIM_400000_NS6detail17trampoline_kernelINS0_13select_configILj256ELj13ELNS0_17block_load_methodE3ELS4_3ELS4_3ELNS0_20block_scan_algorithmE0ELj4294967295EEENS1_25partition_config_selectorILNS1_17partition_subalgoE3EjNS0_10empty_typeEbEEZZNS1_14partition_implILS8_3ELb0ES6_jNS0_17counting_iteratorIjlEEPS9_SE_NS0_5tupleIJPjSE_EEENSF_IJSE_SE_EEES9_SG_JZNS1_25segmented_radix_sort_implINS0_14default_configELb1EPKlPlSM_SN_N2at6native12_GLOBAL__N_18offset_tEEE10hipError_tPvRmT1_PNSt15iterator_traitsISV_E10value_typeET2_T3_PNSW_IS11_E10value_typeET4_jRbjT5_S17_jjP12ihipStream_tbEUljE_EEESS_ST_SU_S11_S15_S17_T6_T7_T9_mT8_S19_bDpT10_ENKUlT_T0_E_clISt17integral_constantIbLb0EES1L_IbLb1EEEEDaS1H_S1I_EUlS1H_E_NS1_11comp_targetILNS1_3genE4ELNS1_11target_archE910ELNS1_3gpuE8ELNS1_3repE0EEENS1_30default_config_static_selectorELNS0_4arch9wavefront6targetE0EEEvSV_.num_named_barrier, 0
	.set _ZN7rocprim17ROCPRIM_400000_NS6detail17trampoline_kernelINS0_13select_configILj256ELj13ELNS0_17block_load_methodE3ELS4_3ELS4_3ELNS0_20block_scan_algorithmE0ELj4294967295EEENS1_25partition_config_selectorILNS1_17partition_subalgoE3EjNS0_10empty_typeEbEEZZNS1_14partition_implILS8_3ELb0ES6_jNS0_17counting_iteratorIjlEEPS9_SE_NS0_5tupleIJPjSE_EEENSF_IJSE_SE_EEES9_SG_JZNS1_25segmented_radix_sort_implINS0_14default_configELb1EPKlPlSM_SN_N2at6native12_GLOBAL__N_18offset_tEEE10hipError_tPvRmT1_PNSt15iterator_traitsISV_E10value_typeET2_T3_PNSW_IS11_E10value_typeET4_jRbjT5_S17_jjP12ihipStream_tbEUljE_EEESS_ST_SU_S11_S15_S17_T6_T7_T9_mT8_S19_bDpT10_ENKUlT_T0_E_clISt17integral_constantIbLb0EES1L_IbLb1EEEEDaS1H_S1I_EUlS1H_E_NS1_11comp_targetILNS1_3genE4ELNS1_11target_archE910ELNS1_3gpuE8ELNS1_3repE0EEENS1_30default_config_static_selectorELNS0_4arch9wavefront6targetE0EEEvSV_.private_seg_size, 0
	.set _ZN7rocprim17ROCPRIM_400000_NS6detail17trampoline_kernelINS0_13select_configILj256ELj13ELNS0_17block_load_methodE3ELS4_3ELS4_3ELNS0_20block_scan_algorithmE0ELj4294967295EEENS1_25partition_config_selectorILNS1_17partition_subalgoE3EjNS0_10empty_typeEbEEZZNS1_14partition_implILS8_3ELb0ES6_jNS0_17counting_iteratorIjlEEPS9_SE_NS0_5tupleIJPjSE_EEENSF_IJSE_SE_EEES9_SG_JZNS1_25segmented_radix_sort_implINS0_14default_configELb1EPKlPlSM_SN_N2at6native12_GLOBAL__N_18offset_tEEE10hipError_tPvRmT1_PNSt15iterator_traitsISV_E10value_typeET2_T3_PNSW_IS11_E10value_typeET4_jRbjT5_S17_jjP12ihipStream_tbEUljE_EEESS_ST_SU_S11_S15_S17_T6_T7_T9_mT8_S19_bDpT10_ENKUlT_T0_E_clISt17integral_constantIbLb0EES1L_IbLb1EEEEDaS1H_S1I_EUlS1H_E_NS1_11comp_targetILNS1_3genE4ELNS1_11target_archE910ELNS1_3gpuE8ELNS1_3repE0EEENS1_30default_config_static_selectorELNS0_4arch9wavefront6targetE0EEEvSV_.uses_vcc, 0
	.set _ZN7rocprim17ROCPRIM_400000_NS6detail17trampoline_kernelINS0_13select_configILj256ELj13ELNS0_17block_load_methodE3ELS4_3ELS4_3ELNS0_20block_scan_algorithmE0ELj4294967295EEENS1_25partition_config_selectorILNS1_17partition_subalgoE3EjNS0_10empty_typeEbEEZZNS1_14partition_implILS8_3ELb0ES6_jNS0_17counting_iteratorIjlEEPS9_SE_NS0_5tupleIJPjSE_EEENSF_IJSE_SE_EEES9_SG_JZNS1_25segmented_radix_sort_implINS0_14default_configELb1EPKlPlSM_SN_N2at6native12_GLOBAL__N_18offset_tEEE10hipError_tPvRmT1_PNSt15iterator_traitsISV_E10value_typeET2_T3_PNSW_IS11_E10value_typeET4_jRbjT5_S17_jjP12ihipStream_tbEUljE_EEESS_ST_SU_S11_S15_S17_T6_T7_T9_mT8_S19_bDpT10_ENKUlT_T0_E_clISt17integral_constantIbLb0EES1L_IbLb1EEEEDaS1H_S1I_EUlS1H_E_NS1_11comp_targetILNS1_3genE4ELNS1_11target_archE910ELNS1_3gpuE8ELNS1_3repE0EEENS1_30default_config_static_selectorELNS0_4arch9wavefront6targetE0EEEvSV_.uses_flat_scratch, 0
	.set _ZN7rocprim17ROCPRIM_400000_NS6detail17trampoline_kernelINS0_13select_configILj256ELj13ELNS0_17block_load_methodE3ELS4_3ELS4_3ELNS0_20block_scan_algorithmE0ELj4294967295EEENS1_25partition_config_selectorILNS1_17partition_subalgoE3EjNS0_10empty_typeEbEEZZNS1_14partition_implILS8_3ELb0ES6_jNS0_17counting_iteratorIjlEEPS9_SE_NS0_5tupleIJPjSE_EEENSF_IJSE_SE_EEES9_SG_JZNS1_25segmented_radix_sort_implINS0_14default_configELb1EPKlPlSM_SN_N2at6native12_GLOBAL__N_18offset_tEEE10hipError_tPvRmT1_PNSt15iterator_traitsISV_E10value_typeET2_T3_PNSW_IS11_E10value_typeET4_jRbjT5_S17_jjP12ihipStream_tbEUljE_EEESS_ST_SU_S11_S15_S17_T6_T7_T9_mT8_S19_bDpT10_ENKUlT_T0_E_clISt17integral_constantIbLb0EES1L_IbLb1EEEEDaS1H_S1I_EUlS1H_E_NS1_11comp_targetILNS1_3genE4ELNS1_11target_archE910ELNS1_3gpuE8ELNS1_3repE0EEENS1_30default_config_static_selectorELNS0_4arch9wavefront6targetE0EEEvSV_.has_dyn_sized_stack, 0
	.set _ZN7rocprim17ROCPRIM_400000_NS6detail17trampoline_kernelINS0_13select_configILj256ELj13ELNS0_17block_load_methodE3ELS4_3ELS4_3ELNS0_20block_scan_algorithmE0ELj4294967295EEENS1_25partition_config_selectorILNS1_17partition_subalgoE3EjNS0_10empty_typeEbEEZZNS1_14partition_implILS8_3ELb0ES6_jNS0_17counting_iteratorIjlEEPS9_SE_NS0_5tupleIJPjSE_EEENSF_IJSE_SE_EEES9_SG_JZNS1_25segmented_radix_sort_implINS0_14default_configELb1EPKlPlSM_SN_N2at6native12_GLOBAL__N_18offset_tEEE10hipError_tPvRmT1_PNSt15iterator_traitsISV_E10value_typeET2_T3_PNSW_IS11_E10value_typeET4_jRbjT5_S17_jjP12ihipStream_tbEUljE_EEESS_ST_SU_S11_S15_S17_T6_T7_T9_mT8_S19_bDpT10_ENKUlT_T0_E_clISt17integral_constantIbLb0EES1L_IbLb1EEEEDaS1H_S1I_EUlS1H_E_NS1_11comp_targetILNS1_3genE4ELNS1_11target_archE910ELNS1_3gpuE8ELNS1_3repE0EEENS1_30default_config_static_selectorELNS0_4arch9wavefront6targetE0EEEvSV_.has_recursion, 0
	.set _ZN7rocprim17ROCPRIM_400000_NS6detail17trampoline_kernelINS0_13select_configILj256ELj13ELNS0_17block_load_methodE3ELS4_3ELS4_3ELNS0_20block_scan_algorithmE0ELj4294967295EEENS1_25partition_config_selectorILNS1_17partition_subalgoE3EjNS0_10empty_typeEbEEZZNS1_14partition_implILS8_3ELb0ES6_jNS0_17counting_iteratorIjlEEPS9_SE_NS0_5tupleIJPjSE_EEENSF_IJSE_SE_EEES9_SG_JZNS1_25segmented_radix_sort_implINS0_14default_configELb1EPKlPlSM_SN_N2at6native12_GLOBAL__N_18offset_tEEE10hipError_tPvRmT1_PNSt15iterator_traitsISV_E10value_typeET2_T3_PNSW_IS11_E10value_typeET4_jRbjT5_S17_jjP12ihipStream_tbEUljE_EEESS_ST_SU_S11_S15_S17_T6_T7_T9_mT8_S19_bDpT10_ENKUlT_T0_E_clISt17integral_constantIbLb0EES1L_IbLb1EEEEDaS1H_S1I_EUlS1H_E_NS1_11comp_targetILNS1_3genE4ELNS1_11target_archE910ELNS1_3gpuE8ELNS1_3repE0EEENS1_30default_config_static_selectorELNS0_4arch9wavefront6targetE0EEEvSV_.has_indirect_call, 0
	.section	.AMDGPU.csdata,"",@progbits
; Kernel info:
; codeLenInByte = 0
; TotalNumSgprs: 0
; NumVgprs: 0
; ScratchSize: 0
; MemoryBound: 0
; FloatMode: 240
; IeeeMode: 1
; LDSByteSize: 0 bytes/workgroup (compile time only)
; SGPRBlocks: 0
; VGPRBlocks: 0
; NumSGPRsForWavesPerEU: 1
; NumVGPRsForWavesPerEU: 1
; NamedBarCnt: 0
; Occupancy: 16
; WaveLimiterHint : 0
; COMPUTE_PGM_RSRC2:SCRATCH_EN: 0
; COMPUTE_PGM_RSRC2:USER_SGPR: 2
; COMPUTE_PGM_RSRC2:TRAP_HANDLER: 0
; COMPUTE_PGM_RSRC2:TGID_X_EN: 1
; COMPUTE_PGM_RSRC2:TGID_Y_EN: 0
; COMPUTE_PGM_RSRC2:TGID_Z_EN: 0
; COMPUTE_PGM_RSRC2:TIDIG_COMP_CNT: 0
	.section	.text._ZN7rocprim17ROCPRIM_400000_NS6detail17trampoline_kernelINS0_13select_configILj256ELj13ELNS0_17block_load_methodE3ELS4_3ELS4_3ELNS0_20block_scan_algorithmE0ELj4294967295EEENS1_25partition_config_selectorILNS1_17partition_subalgoE3EjNS0_10empty_typeEbEEZZNS1_14partition_implILS8_3ELb0ES6_jNS0_17counting_iteratorIjlEEPS9_SE_NS0_5tupleIJPjSE_EEENSF_IJSE_SE_EEES9_SG_JZNS1_25segmented_radix_sort_implINS0_14default_configELb1EPKlPlSM_SN_N2at6native12_GLOBAL__N_18offset_tEEE10hipError_tPvRmT1_PNSt15iterator_traitsISV_E10value_typeET2_T3_PNSW_IS11_E10value_typeET4_jRbjT5_S17_jjP12ihipStream_tbEUljE_EEESS_ST_SU_S11_S15_S17_T6_T7_T9_mT8_S19_bDpT10_ENKUlT_T0_E_clISt17integral_constantIbLb0EES1L_IbLb1EEEEDaS1H_S1I_EUlS1H_E_NS1_11comp_targetILNS1_3genE3ELNS1_11target_archE908ELNS1_3gpuE7ELNS1_3repE0EEENS1_30default_config_static_selectorELNS0_4arch9wavefront6targetE0EEEvSV_,"axG",@progbits,_ZN7rocprim17ROCPRIM_400000_NS6detail17trampoline_kernelINS0_13select_configILj256ELj13ELNS0_17block_load_methodE3ELS4_3ELS4_3ELNS0_20block_scan_algorithmE0ELj4294967295EEENS1_25partition_config_selectorILNS1_17partition_subalgoE3EjNS0_10empty_typeEbEEZZNS1_14partition_implILS8_3ELb0ES6_jNS0_17counting_iteratorIjlEEPS9_SE_NS0_5tupleIJPjSE_EEENSF_IJSE_SE_EEES9_SG_JZNS1_25segmented_radix_sort_implINS0_14default_configELb1EPKlPlSM_SN_N2at6native12_GLOBAL__N_18offset_tEEE10hipError_tPvRmT1_PNSt15iterator_traitsISV_E10value_typeET2_T3_PNSW_IS11_E10value_typeET4_jRbjT5_S17_jjP12ihipStream_tbEUljE_EEESS_ST_SU_S11_S15_S17_T6_T7_T9_mT8_S19_bDpT10_ENKUlT_T0_E_clISt17integral_constantIbLb0EES1L_IbLb1EEEEDaS1H_S1I_EUlS1H_E_NS1_11comp_targetILNS1_3genE3ELNS1_11target_archE908ELNS1_3gpuE7ELNS1_3repE0EEENS1_30default_config_static_selectorELNS0_4arch9wavefront6targetE0EEEvSV_,comdat
	.globl	_ZN7rocprim17ROCPRIM_400000_NS6detail17trampoline_kernelINS0_13select_configILj256ELj13ELNS0_17block_load_methodE3ELS4_3ELS4_3ELNS0_20block_scan_algorithmE0ELj4294967295EEENS1_25partition_config_selectorILNS1_17partition_subalgoE3EjNS0_10empty_typeEbEEZZNS1_14partition_implILS8_3ELb0ES6_jNS0_17counting_iteratorIjlEEPS9_SE_NS0_5tupleIJPjSE_EEENSF_IJSE_SE_EEES9_SG_JZNS1_25segmented_radix_sort_implINS0_14default_configELb1EPKlPlSM_SN_N2at6native12_GLOBAL__N_18offset_tEEE10hipError_tPvRmT1_PNSt15iterator_traitsISV_E10value_typeET2_T3_PNSW_IS11_E10value_typeET4_jRbjT5_S17_jjP12ihipStream_tbEUljE_EEESS_ST_SU_S11_S15_S17_T6_T7_T9_mT8_S19_bDpT10_ENKUlT_T0_E_clISt17integral_constantIbLb0EES1L_IbLb1EEEEDaS1H_S1I_EUlS1H_E_NS1_11comp_targetILNS1_3genE3ELNS1_11target_archE908ELNS1_3gpuE7ELNS1_3repE0EEENS1_30default_config_static_selectorELNS0_4arch9wavefront6targetE0EEEvSV_ ; -- Begin function _ZN7rocprim17ROCPRIM_400000_NS6detail17trampoline_kernelINS0_13select_configILj256ELj13ELNS0_17block_load_methodE3ELS4_3ELS4_3ELNS0_20block_scan_algorithmE0ELj4294967295EEENS1_25partition_config_selectorILNS1_17partition_subalgoE3EjNS0_10empty_typeEbEEZZNS1_14partition_implILS8_3ELb0ES6_jNS0_17counting_iteratorIjlEEPS9_SE_NS0_5tupleIJPjSE_EEENSF_IJSE_SE_EEES9_SG_JZNS1_25segmented_radix_sort_implINS0_14default_configELb1EPKlPlSM_SN_N2at6native12_GLOBAL__N_18offset_tEEE10hipError_tPvRmT1_PNSt15iterator_traitsISV_E10value_typeET2_T3_PNSW_IS11_E10value_typeET4_jRbjT5_S17_jjP12ihipStream_tbEUljE_EEESS_ST_SU_S11_S15_S17_T6_T7_T9_mT8_S19_bDpT10_ENKUlT_T0_E_clISt17integral_constantIbLb0EES1L_IbLb1EEEEDaS1H_S1I_EUlS1H_E_NS1_11comp_targetILNS1_3genE3ELNS1_11target_archE908ELNS1_3gpuE7ELNS1_3repE0EEENS1_30default_config_static_selectorELNS0_4arch9wavefront6targetE0EEEvSV_
	.p2align	8
	.type	_ZN7rocprim17ROCPRIM_400000_NS6detail17trampoline_kernelINS0_13select_configILj256ELj13ELNS0_17block_load_methodE3ELS4_3ELS4_3ELNS0_20block_scan_algorithmE0ELj4294967295EEENS1_25partition_config_selectorILNS1_17partition_subalgoE3EjNS0_10empty_typeEbEEZZNS1_14partition_implILS8_3ELb0ES6_jNS0_17counting_iteratorIjlEEPS9_SE_NS0_5tupleIJPjSE_EEENSF_IJSE_SE_EEES9_SG_JZNS1_25segmented_radix_sort_implINS0_14default_configELb1EPKlPlSM_SN_N2at6native12_GLOBAL__N_18offset_tEEE10hipError_tPvRmT1_PNSt15iterator_traitsISV_E10value_typeET2_T3_PNSW_IS11_E10value_typeET4_jRbjT5_S17_jjP12ihipStream_tbEUljE_EEESS_ST_SU_S11_S15_S17_T6_T7_T9_mT8_S19_bDpT10_ENKUlT_T0_E_clISt17integral_constantIbLb0EES1L_IbLb1EEEEDaS1H_S1I_EUlS1H_E_NS1_11comp_targetILNS1_3genE3ELNS1_11target_archE908ELNS1_3gpuE7ELNS1_3repE0EEENS1_30default_config_static_selectorELNS0_4arch9wavefront6targetE0EEEvSV_,@function
_ZN7rocprim17ROCPRIM_400000_NS6detail17trampoline_kernelINS0_13select_configILj256ELj13ELNS0_17block_load_methodE3ELS4_3ELS4_3ELNS0_20block_scan_algorithmE0ELj4294967295EEENS1_25partition_config_selectorILNS1_17partition_subalgoE3EjNS0_10empty_typeEbEEZZNS1_14partition_implILS8_3ELb0ES6_jNS0_17counting_iteratorIjlEEPS9_SE_NS0_5tupleIJPjSE_EEENSF_IJSE_SE_EEES9_SG_JZNS1_25segmented_radix_sort_implINS0_14default_configELb1EPKlPlSM_SN_N2at6native12_GLOBAL__N_18offset_tEEE10hipError_tPvRmT1_PNSt15iterator_traitsISV_E10value_typeET2_T3_PNSW_IS11_E10value_typeET4_jRbjT5_S17_jjP12ihipStream_tbEUljE_EEESS_ST_SU_S11_S15_S17_T6_T7_T9_mT8_S19_bDpT10_ENKUlT_T0_E_clISt17integral_constantIbLb0EES1L_IbLb1EEEEDaS1H_S1I_EUlS1H_E_NS1_11comp_targetILNS1_3genE3ELNS1_11target_archE908ELNS1_3gpuE7ELNS1_3repE0EEENS1_30default_config_static_selectorELNS0_4arch9wavefront6targetE0EEEvSV_: ; @_ZN7rocprim17ROCPRIM_400000_NS6detail17trampoline_kernelINS0_13select_configILj256ELj13ELNS0_17block_load_methodE3ELS4_3ELS4_3ELNS0_20block_scan_algorithmE0ELj4294967295EEENS1_25partition_config_selectorILNS1_17partition_subalgoE3EjNS0_10empty_typeEbEEZZNS1_14partition_implILS8_3ELb0ES6_jNS0_17counting_iteratorIjlEEPS9_SE_NS0_5tupleIJPjSE_EEENSF_IJSE_SE_EEES9_SG_JZNS1_25segmented_radix_sort_implINS0_14default_configELb1EPKlPlSM_SN_N2at6native12_GLOBAL__N_18offset_tEEE10hipError_tPvRmT1_PNSt15iterator_traitsISV_E10value_typeET2_T3_PNSW_IS11_E10value_typeET4_jRbjT5_S17_jjP12ihipStream_tbEUljE_EEESS_ST_SU_S11_S15_S17_T6_T7_T9_mT8_S19_bDpT10_ENKUlT_T0_E_clISt17integral_constantIbLb0EES1L_IbLb1EEEEDaS1H_S1I_EUlS1H_E_NS1_11comp_targetILNS1_3genE3ELNS1_11target_archE908ELNS1_3gpuE7ELNS1_3repE0EEENS1_30default_config_static_selectorELNS0_4arch9wavefront6targetE0EEEvSV_
; %bb.0:
	.section	.rodata,"a",@progbits
	.p2align	6, 0x0
	.amdhsa_kernel _ZN7rocprim17ROCPRIM_400000_NS6detail17trampoline_kernelINS0_13select_configILj256ELj13ELNS0_17block_load_methodE3ELS4_3ELS4_3ELNS0_20block_scan_algorithmE0ELj4294967295EEENS1_25partition_config_selectorILNS1_17partition_subalgoE3EjNS0_10empty_typeEbEEZZNS1_14partition_implILS8_3ELb0ES6_jNS0_17counting_iteratorIjlEEPS9_SE_NS0_5tupleIJPjSE_EEENSF_IJSE_SE_EEES9_SG_JZNS1_25segmented_radix_sort_implINS0_14default_configELb1EPKlPlSM_SN_N2at6native12_GLOBAL__N_18offset_tEEE10hipError_tPvRmT1_PNSt15iterator_traitsISV_E10value_typeET2_T3_PNSW_IS11_E10value_typeET4_jRbjT5_S17_jjP12ihipStream_tbEUljE_EEESS_ST_SU_S11_S15_S17_T6_T7_T9_mT8_S19_bDpT10_ENKUlT_T0_E_clISt17integral_constantIbLb0EES1L_IbLb1EEEEDaS1H_S1I_EUlS1H_E_NS1_11comp_targetILNS1_3genE3ELNS1_11target_archE908ELNS1_3gpuE7ELNS1_3repE0EEENS1_30default_config_static_selectorELNS0_4arch9wavefront6targetE0EEEvSV_
		.amdhsa_group_segment_fixed_size 0
		.amdhsa_private_segment_fixed_size 0
		.amdhsa_kernarg_size 152
		.amdhsa_user_sgpr_count 2
		.amdhsa_user_sgpr_dispatch_ptr 0
		.amdhsa_user_sgpr_queue_ptr 0
		.amdhsa_user_sgpr_kernarg_segment_ptr 1
		.amdhsa_user_sgpr_dispatch_id 0
		.amdhsa_user_sgpr_kernarg_preload_length 0
		.amdhsa_user_sgpr_kernarg_preload_offset 0
		.amdhsa_user_sgpr_private_segment_size 0
		.amdhsa_wavefront_size32 1
		.amdhsa_uses_dynamic_stack 0
		.amdhsa_enable_private_segment 0
		.amdhsa_system_sgpr_workgroup_id_x 1
		.amdhsa_system_sgpr_workgroup_id_y 0
		.amdhsa_system_sgpr_workgroup_id_z 0
		.amdhsa_system_sgpr_workgroup_info 0
		.amdhsa_system_vgpr_workitem_id 0
		.amdhsa_next_free_vgpr 1
		.amdhsa_next_free_sgpr 1
		.amdhsa_named_barrier_count 0
		.amdhsa_reserve_vcc 0
		.amdhsa_float_round_mode_32 0
		.amdhsa_float_round_mode_16_64 0
		.amdhsa_float_denorm_mode_32 3
		.amdhsa_float_denorm_mode_16_64 3
		.amdhsa_fp16_overflow 0
		.amdhsa_memory_ordered 1
		.amdhsa_forward_progress 1
		.amdhsa_inst_pref_size 0
		.amdhsa_round_robin_scheduling 0
		.amdhsa_exception_fp_ieee_invalid_op 0
		.amdhsa_exception_fp_denorm_src 0
		.amdhsa_exception_fp_ieee_div_zero 0
		.amdhsa_exception_fp_ieee_overflow 0
		.amdhsa_exception_fp_ieee_underflow 0
		.amdhsa_exception_fp_ieee_inexact 0
		.amdhsa_exception_int_div_zero 0
	.end_amdhsa_kernel
	.section	.text._ZN7rocprim17ROCPRIM_400000_NS6detail17trampoline_kernelINS0_13select_configILj256ELj13ELNS0_17block_load_methodE3ELS4_3ELS4_3ELNS0_20block_scan_algorithmE0ELj4294967295EEENS1_25partition_config_selectorILNS1_17partition_subalgoE3EjNS0_10empty_typeEbEEZZNS1_14partition_implILS8_3ELb0ES6_jNS0_17counting_iteratorIjlEEPS9_SE_NS0_5tupleIJPjSE_EEENSF_IJSE_SE_EEES9_SG_JZNS1_25segmented_radix_sort_implINS0_14default_configELb1EPKlPlSM_SN_N2at6native12_GLOBAL__N_18offset_tEEE10hipError_tPvRmT1_PNSt15iterator_traitsISV_E10value_typeET2_T3_PNSW_IS11_E10value_typeET4_jRbjT5_S17_jjP12ihipStream_tbEUljE_EEESS_ST_SU_S11_S15_S17_T6_T7_T9_mT8_S19_bDpT10_ENKUlT_T0_E_clISt17integral_constantIbLb0EES1L_IbLb1EEEEDaS1H_S1I_EUlS1H_E_NS1_11comp_targetILNS1_3genE3ELNS1_11target_archE908ELNS1_3gpuE7ELNS1_3repE0EEENS1_30default_config_static_selectorELNS0_4arch9wavefront6targetE0EEEvSV_,"axG",@progbits,_ZN7rocprim17ROCPRIM_400000_NS6detail17trampoline_kernelINS0_13select_configILj256ELj13ELNS0_17block_load_methodE3ELS4_3ELS4_3ELNS0_20block_scan_algorithmE0ELj4294967295EEENS1_25partition_config_selectorILNS1_17partition_subalgoE3EjNS0_10empty_typeEbEEZZNS1_14partition_implILS8_3ELb0ES6_jNS0_17counting_iteratorIjlEEPS9_SE_NS0_5tupleIJPjSE_EEENSF_IJSE_SE_EEES9_SG_JZNS1_25segmented_radix_sort_implINS0_14default_configELb1EPKlPlSM_SN_N2at6native12_GLOBAL__N_18offset_tEEE10hipError_tPvRmT1_PNSt15iterator_traitsISV_E10value_typeET2_T3_PNSW_IS11_E10value_typeET4_jRbjT5_S17_jjP12ihipStream_tbEUljE_EEESS_ST_SU_S11_S15_S17_T6_T7_T9_mT8_S19_bDpT10_ENKUlT_T0_E_clISt17integral_constantIbLb0EES1L_IbLb1EEEEDaS1H_S1I_EUlS1H_E_NS1_11comp_targetILNS1_3genE3ELNS1_11target_archE908ELNS1_3gpuE7ELNS1_3repE0EEENS1_30default_config_static_selectorELNS0_4arch9wavefront6targetE0EEEvSV_,comdat
.Lfunc_end695:
	.size	_ZN7rocprim17ROCPRIM_400000_NS6detail17trampoline_kernelINS0_13select_configILj256ELj13ELNS0_17block_load_methodE3ELS4_3ELS4_3ELNS0_20block_scan_algorithmE0ELj4294967295EEENS1_25partition_config_selectorILNS1_17partition_subalgoE3EjNS0_10empty_typeEbEEZZNS1_14partition_implILS8_3ELb0ES6_jNS0_17counting_iteratorIjlEEPS9_SE_NS0_5tupleIJPjSE_EEENSF_IJSE_SE_EEES9_SG_JZNS1_25segmented_radix_sort_implINS0_14default_configELb1EPKlPlSM_SN_N2at6native12_GLOBAL__N_18offset_tEEE10hipError_tPvRmT1_PNSt15iterator_traitsISV_E10value_typeET2_T3_PNSW_IS11_E10value_typeET4_jRbjT5_S17_jjP12ihipStream_tbEUljE_EEESS_ST_SU_S11_S15_S17_T6_T7_T9_mT8_S19_bDpT10_ENKUlT_T0_E_clISt17integral_constantIbLb0EES1L_IbLb1EEEEDaS1H_S1I_EUlS1H_E_NS1_11comp_targetILNS1_3genE3ELNS1_11target_archE908ELNS1_3gpuE7ELNS1_3repE0EEENS1_30default_config_static_selectorELNS0_4arch9wavefront6targetE0EEEvSV_, .Lfunc_end695-_ZN7rocprim17ROCPRIM_400000_NS6detail17trampoline_kernelINS0_13select_configILj256ELj13ELNS0_17block_load_methodE3ELS4_3ELS4_3ELNS0_20block_scan_algorithmE0ELj4294967295EEENS1_25partition_config_selectorILNS1_17partition_subalgoE3EjNS0_10empty_typeEbEEZZNS1_14partition_implILS8_3ELb0ES6_jNS0_17counting_iteratorIjlEEPS9_SE_NS0_5tupleIJPjSE_EEENSF_IJSE_SE_EEES9_SG_JZNS1_25segmented_radix_sort_implINS0_14default_configELb1EPKlPlSM_SN_N2at6native12_GLOBAL__N_18offset_tEEE10hipError_tPvRmT1_PNSt15iterator_traitsISV_E10value_typeET2_T3_PNSW_IS11_E10value_typeET4_jRbjT5_S17_jjP12ihipStream_tbEUljE_EEESS_ST_SU_S11_S15_S17_T6_T7_T9_mT8_S19_bDpT10_ENKUlT_T0_E_clISt17integral_constantIbLb0EES1L_IbLb1EEEEDaS1H_S1I_EUlS1H_E_NS1_11comp_targetILNS1_3genE3ELNS1_11target_archE908ELNS1_3gpuE7ELNS1_3repE0EEENS1_30default_config_static_selectorELNS0_4arch9wavefront6targetE0EEEvSV_
                                        ; -- End function
	.set _ZN7rocprim17ROCPRIM_400000_NS6detail17trampoline_kernelINS0_13select_configILj256ELj13ELNS0_17block_load_methodE3ELS4_3ELS4_3ELNS0_20block_scan_algorithmE0ELj4294967295EEENS1_25partition_config_selectorILNS1_17partition_subalgoE3EjNS0_10empty_typeEbEEZZNS1_14partition_implILS8_3ELb0ES6_jNS0_17counting_iteratorIjlEEPS9_SE_NS0_5tupleIJPjSE_EEENSF_IJSE_SE_EEES9_SG_JZNS1_25segmented_radix_sort_implINS0_14default_configELb1EPKlPlSM_SN_N2at6native12_GLOBAL__N_18offset_tEEE10hipError_tPvRmT1_PNSt15iterator_traitsISV_E10value_typeET2_T3_PNSW_IS11_E10value_typeET4_jRbjT5_S17_jjP12ihipStream_tbEUljE_EEESS_ST_SU_S11_S15_S17_T6_T7_T9_mT8_S19_bDpT10_ENKUlT_T0_E_clISt17integral_constantIbLb0EES1L_IbLb1EEEEDaS1H_S1I_EUlS1H_E_NS1_11comp_targetILNS1_3genE3ELNS1_11target_archE908ELNS1_3gpuE7ELNS1_3repE0EEENS1_30default_config_static_selectorELNS0_4arch9wavefront6targetE0EEEvSV_.num_vgpr, 0
	.set _ZN7rocprim17ROCPRIM_400000_NS6detail17trampoline_kernelINS0_13select_configILj256ELj13ELNS0_17block_load_methodE3ELS4_3ELS4_3ELNS0_20block_scan_algorithmE0ELj4294967295EEENS1_25partition_config_selectorILNS1_17partition_subalgoE3EjNS0_10empty_typeEbEEZZNS1_14partition_implILS8_3ELb0ES6_jNS0_17counting_iteratorIjlEEPS9_SE_NS0_5tupleIJPjSE_EEENSF_IJSE_SE_EEES9_SG_JZNS1_25segmented_radix_sort_implINS0_14default_configELb1EPKlPlSM_SN_N2at6native12_GLOBAL__N_18offset_tEEE10hipError_tPvRmT1_PNSt15iterator_traitsISV_E10value_typeET2_T3_PNSW_IS11_E10value_typeET4_jRbjT5_S17_jjP12ihipStream_tbEUljE_EEESS_ST_SU_S11_S15_S17_T6_T7_T9_mT8_S19_bDpT10_ENKUlT_T0_E_clISt17integral_constantIbLb0EES1L_IbLb1EEEEDaS1H_S1I_EUlS1H_E_NS1_11comp_targetILNS1_3genE3ELNS1_11target_archE908ELNS1_3gpuE7ELNS1_3repE0EEENS1_30default_config_static_selectorELNS0_4arch9wavefront6targetE0EEEvSV_.num_agpr, 0
	.set _ZN7rocprim17ROCPRIM_400000_NS6detail17trampoline_kernelINS0_13select_configILj256ELj13ELNS0_17block_load_methodE3ELS4_3ELS4_3ELNS0_20block_scan_algorithmE0ELj4294967295EEENS1_25partition_config_selectorILNS1_17partition_subalgoE3EjNS0_10empty_typeEbEEZZNS1_14partition_implILS8_3ELb0ES6_jNS0_17counting_iteratorIjlEEPS9_SE_NS0_5tupleIJPjSE_EEENSF_IJSE_SE_EEES9_SG_JZNS1_25segmented_radix_sort_implINS0_14default_configELb1EPKlPlSM_SN_N2at6native12_GLOBAL__N_18offset_tEEE10hipError_tPvRmT1_PNSt15iterator_traitsISV_E10value_typeET2_T3_PNSW_IS11_E10value_typeET4_jRbjT5_S17_jjP12ihipStream_tbEUljE_EEESS_ST_SU_S11_S15_S17_T6_T7_T9_mT8_S19_bDpT10_ENKUlT_T0_E_clISt17integral_constantIbLb0EES1L_IbLb1EEEEDaS1H_S1I_EUlS1H_E_NS1_11comp_targetILNS1_3genE3ELNS1_11target_archE908ELNS1_3gpuE7ELNS1_3repE0EEENS1_30default_config_static_selectorELNS0_4arch9wavefront6targetE0EEEvSV_.numbered_sgpr, 0
	.set _ZN7rocprim17ROCPRIM_400000_NS6detail17trampoline_kernelINS0_13select_configILj256ELj13ELNS0_17block_load_methodE3ELS4_3ELS4_3ELNS0_20block_scan_algorithmE0ELj4294967295EEENS1_25partition_config_selectorILNS1_17partition_subalgoE3EjNS0_10empty_typeEbEEZZNS1_14partition_implILS8_3ELb0ES6_jNS0_17counting_iteratorIjlEEPS9_SE_NS0_5tupleIJPjSE_EEENSF_IJSE_SE_EEES9_SG_JZNS1_25segmented_radix_sort_implINS0_14default_configELb1EPKlPlSM_SN_N2at6native12_GLOBAL__N_18offset_tEEE10hipError_tPvRmT1_PNSt15iterator_traitsISV_E10value_typeET2_T3_PNSW_IS11_E10value_typeET4_jRbjT5_S17_jjP12ihipStream_tbEUljE_EEESS_ST_SU_S11_S15_S17_T6_T7_T9_mT8_S19_bDpT10_ENKUlT_T0_E_clISt17integral_constantIbLb0EES1L_IbLb1EEEEDaS1H_S1I_EUlS1H_E_NS1_11comp_targetILNS1_3genE3ELNS1_11target_archE908ELNS1_3gpuE7ELNS1_3repE0EEENS1_30default_config_static_selectorELNS0_4arch9wavefront6targetE0EEEvSV_.num_named_barrier, 0
	.set _ZN7rocprim17ROCPRIM_400000_NS6detail17trampoline_kernelINS0_13select_configILj256ELj13ELNS0_17block_load_methodE3ELS4_3ELS4_3ELNS0_20block_scan_algorithmE0ELj4294967295EEENS1_25partition_config_selectorILNS1_17partition_subalgoE3EjNS0_10empty_typeEbEEZZNS1_14partition_implILS8_3ELb0ES6_jNS0_17counting_iteratorIjlEEPS9_SE_NS0_5tupleIJPjSE_EEENSF_IJSE_SE_EEES9_SG_JZNS1_25segmented_radix_sort_implINS0_14default_configELb1EPKlPlSM_SN_N2at6native12_GLOBAL__N_18offset_tEEE10hipError_tPvRmT1_PNSt15iterator_traitsISV_E10value_typeET2_T3_PNSW_IS11_E10value_typeET4_jRbjT5_S17_jjP12ihipStream_tbEUljE_EEESS_ST_SU_S11_S15_S17_T6_T7_T9_mT8_S19_bDpT10_ENKUlT_T0_E_clISt17integral_constantIbLb0EES1L_IbLb1EEEEDaS1H_S1I_EUlS1H_E_NS1_11comp_targetILNS1_3genE3ELNS1_11target_archE908ELNS1_3gpuE7ELNS1_3repE0EEENS1_30default_config_static_selectorELNS0_4arch9wavefront6targetE0EEEvSV_.private_seg_size, 0
	.set _ZN7rocprim17ROCPRIM_400000_NS6detail17trampoline_kernelINS0_13select_configILj256ELj13ELNS0_17block_load_methodE3ELS4_3ELS4_3ELNS0_20block_scan_algorithmE0ELj4294967295EEENS1_25partition_config_selectorILNS1_17partition_subalgoE3EjNS0_10empty_typeEbEEZZNS1_14partition_implILS8_3ELb0ES6_jNS0_17counting_iteratorIjlEEPS9_SE_NS0_5tupleIJPjSE_EEENSF_IJSE_SE_EEES9_SG_JZNS1_25segmented_radix_sort_implINS0_14default_configELb1EPKlPlSM_SN_N2at6native12_GLOBAL__N_18offset_tEEE10hipError_tPvRmT1_PNSt15iterator_traitsISV_E10value_typeET2_T3_PNSW_IS11_E10value_typeET4_jRbjT5_S17_jjP12ihipStream_tbEUljE_EEESS_ST_SU_S11_S15_S17_T6_T7_T9_mT8_S19_bDpT10_ENKUlT_T0_E_clISt17integral_constantIbLb0EES1L_IbLb1EEEEDaS1H_S1I_EUlS1H_E_NS1_11comp_targetILNS1_3genE3ELNS1_11target_archE908ELNS1_3gpuE7ELNS1_3repE0EEENS1_30default_config_static_selectorELNS0_4arch9wavefront6targetE0EEEvSV_.uses_vcc, 0
	.set _ZN7rocprim17ROCPRIM_400000_NS6detail17trampoline_kernelINS0_13select_configILj256ELj13ELNS0_17block_load_methodE3ELS4_3ELS4_3ELNS0_20block_scan_algorithmE0ELj4294967295EEENS1_25partition_config_selectorILNS1_17partition_subalgoE3EjNS0_10empty_typeEbEEZZNS1_14partition_implILS8_3ELb0ES6_jNS0_17counting_iteratorIjlEEPS9_SE_NS0_5tupleIJPjSE_EEENSF_IJSE_SE_EEES9_SG_JZNS1_25segmented_radix_sort_implINS0_14default_configELb1EPKlPlSM_SN_N2at6native12_GLOBAL__N_18offset_tEEE10hipError_tPvRmT1_PNSt15iterator_traitsISV_E10value_typeET2_T3_PNSW_IS11_E10value_typeET4_jRbjT5_S17_jjP12ihipStream_tbEUljE_EEESS_ST_SU_S11_S15_S17_T6_T7_T9_mT8_S19_bDpT10_ENKUlT_T0_E_clISt17integral_constantIbLb0EES1L_IbLb1EEEEDaS1H_S1I_EUlS1H_E_NS1_11comp_targetILNS1_3genE3ELNS1_11target_archE908ELNS1_3gpuE7ELNS1_3repE0EEENS1_30default_config_static_selectorELNS0_4arch9wavefront6targetE0EEEvSV_.uses_flat_scratch, 0
	.set _ZN7rocprim17ROCPRIM_400000_NS6detail17trampoline_kernelINS0_13select_configILj256ELj13ELNS0_17block_load_methodE3ELS4_3ELS4_3ELNS0_20block_scan_algorithmE0ELj4294967295EEENS1_25partition_config_selectorILNS1_17partition_subalgoE3EjNS0_10empty_typeEbEEZZNS1_14partition_implILS8_3ELb0ES6_jNS0_17counting_iteratorIjlEEPS9_SE_NS0_5tupleIJPjSE_EEENSF_IJSE_SE_EEES9_SG_JZNS1_25segmented_radix_sort_implINS0_14default_configELb1EPKlPlSM_SN_N2at6native12_GLOBAL__N_18offset_tEEE10hipError_tPvRmT1_PNSt15iterator_traitsISV_E10value_typeET2_T3_PNSW_IS11_E10value_typeET4_jRbjT5_S17_jjP12ihipStream_tbEUljE_EEESS_ST_SU_S11_S15_S17_T6_T7_T9_mT8_S19_bDpT10_ENKUlT_T0_E_clISt17integral_constantIbLb0EES1L_IbLb1EEEEDaS1H_S1I_EUlS1H_E_NS1_11comp_targetILNS1_3genE3ELNS1_11target_archE908ELNS1_3gpuE7ELNS1_3repE0EEENS1_30default_config_static_selectorELNS0_4arch9wavefront6targetE0EEEvSV_.has_dyn_sized_stack, 0
	.set _ZN7rocprim17ROCPRIM_400000_NS6detail17trampoline_kernelINS0_13select_configILj256ELj13ELNS0_17block_load_methodE3ELS4_3ELS4_3ELNS0_20block_scan_algorithmE0ELj4294967295EEENS1_25partition_config_selectorILNS1_17partition_subalgoE3EjNS0_10empty_typeEbEEZZNS1_14partition_implILS8_3ELb0ES6_jNS0_17counting_iteratorIjlEEPS9_SE_NS0_5tupleIJPjSE_EEENSF_IJSE_SE_EEES9_SG_JZNS1_25segmented_radix_sort_implINS0_14default_configELb1EPKlPlSM_SN_N2at6native12_GLOBAL__N_18offset_tEEE10hipError_tPvRmT1_PNSt15iterator_traitsISV_E10value_typeET2_T3_PNSW_IS11_E10value_typeET4_jRbjT5_S17_jjP12ihipStream_tbEUljE_EEESS_ST_SU_S11_S15_S17_T6_T7_T9_mT8_S19_bDpT10_ENKUlT_T0_E_clISt17integral_constantIbLb0EES1L_IbLb1EEEEDaS1H_S1I_EUlS1H_E_NS1_11comp_targetILNS1_3genE3ELNS1_11target_archE908ELNS1_3gpuE7ELNS1_3repE0EEENS1_30default_config_static_selectorELNS0_4arch9wavefront6targetE0EEEvSV_.has_recursion, 0
	.set _ZN7rocprim17ROCPRIM_400000_NS6detail17trampoline_kernelINS0_13select_configILj256ELj13ELNS0_17block_load_methodE3ELS4_3ELS4_3ELNS0_20block_scan_algorithmE0ELj4294967295EEENS1_25partition_config_selectorILNS1_17partition_subalgoE3EjNS0_10empty_typeEbEEZZNS1_14partition_implILS8_3ELb0ES6_jNS0_17counting_iteratorIjlEEPS9_SE_NS0_5tupleIJPjSE_EEENSF_IJSE_SE_EEES9_SG_JZNS1_25segmented_radix_sort_implINS0_14default_configELb1EPKlPlSM_SN_N2at6native12_GLOBAL__N_18offset_tEEE10hipError_tPvRmT1_PNSt15iterator_traitsISV_E10value_typeET2_T3_PNSW_IS11_E10value_typeET4_jRbjT5_S17_jjP12ihipStream_tbEUljE_EEESS_ST_SU_S11_S15_S17_T6_T7_T9_mT8_S19_bDpT10_ENKUlT_T0_E_clISt17integral_constantIbLb0EES1L_IbLb1EEEEDaS1H_S1I_EUlS1H_E_NS1_11comp_targetILNS1_3genE3ELNS1_11target_archE908ELNS1_3gpuE7ELNS1_3repE0EEENS1_30default_config_static_selectorELNS0_4arch9wavefront6targetE0EEEvSV_.has_indirect_call, 0
	.section	.AMDGPU.csdata,"",@progbits
; Kernel info:
; codeLenInByte = 0
; TotalNumSgprs: 0
; NumVgprs: 0
; ScratchSize: 0
; MemoryBound: 0
; FloatMode: 240
; IeeeMode: 1
; LDSByteSize: 0 bytes/workgroup (compile time only)
; SGPRBlocks: 0
; VGPRBlocks: 0
; NumSGPRsForWavesPerEU: 1
; NumVGPRsForWavesPerEU: 1
; NamedBarCnt: 0
; Occupancy: 16
; WaveLimiterHint : 0
; COMPUTE_PGM_RSRC2:SCRATCH_EN: 0
; COMPUTE_PGM_RSRC2:USER_SGPR: 2
; COMPUTE_PGM_RSRC2:TRAP_HANDLER: 0
; COMPUTE_PGM_RSRC2:TGID_X_EN: 1
; COMPUTE_PGM_RSRC2:TGID_Y_EN: 0
; COMPUTE_PGM_RSRC2:TGID_Z_EN: 0
; COMPUTE_PGM_RSRC2:TIDIG_COMP_CNT: 0
	.section	.text._ZN7rocprim17ROCPRIM_400000_NS6detail17trampoline_kernelINS0_13select_configILj256ELj13ELNS0_17block_load_methodE3ELS4_3ELS4_3ELNS0_20block_scan_algorithmE0ELj4294967295EEENS1_25partition_config_selectorILNS1_17partition_subalgoE3EjNS0_10empty_typeEbEEZZNS1_14partition_implILS8_3ELb0ES6_jNS0_17counting_iteratorIjlEEPS9_SE_NS0_5tupleIJPjSE_EEENSF_IJSE_SE_EEES9_SG_JZNS1_25segmented_radix_sort_implINS0_14default_configELb1EPKlPlSM_SN_N2at6native12_GLOBAL__N_18offset_tEEE10hipError_tPvRmT1_PNSt15iterator_traitsISV_E10value_typeET2_T3_PNSW_IS11_E10value_typeET4_jRbjT5_S17_jjP12ihipStream_tbEUljE_EEESS_ST_SU_S11_S15_S17_T6_T7_T9_mT8_S19_bDpT10_ENKUlT_T0_E_clISt17integral_constantIbLb0EES1L_IbLb1EEEEDaS1H_S1I_EUlS1H_E_NS1_11comp_targetILNS1_3genE2ELNS1_11target_archE906ELNS1_3gpuE6ELNS1_3repE0EEENS1_30default_config_static_selectorELNS0_4arch9wavefront6targetE0EEEvSV_,"axG",@progbits,_ZN7rocprim17ROCPRIM_400000_NS6detail17trampoline_kernelINS0_13select_configILj256ELj13ELNS0_17block_load_methodE3ELS4_3ELS4_3ELNS0_20block_scan_algorithmE0ELj4294967295EEENS1_25partition_config_selectorILNS1_17partition_subalgoE3EjNS0_10empty_typeEbEEZZNS1_14partition_implILS8_3ELb0ES6_jNS0_17counting_iteratorIjlEEPS9_SE_NS0_5tupleIJPjSE_EEENSF_IJSE_SE_EEES9_SG_JZNS1_25segmented_radix_sort_implINS0_14default_configELb1EPKlPlSM_SN_N2at6native12_GLOBAL__N_18offset_tEEE10hipError_tPvRmT1_PNSt15iterator_traitsISV_E10value_typeET2_T3_PNSW_IS11_E10value_typeET4_jRbjT5_S17_jjP12ihipStream_tbEUljE_EEESS_ST_SU_S11_S15_S17_T6_T7_T9_mT8_S19_bDpT10_ENKUlT_T0_E_clISt17integral_constantIbLb0EES1L_IbLb1EEEEDaS1H_S1I_EUlS1H_E_NS1_11comp_targetILNS1_3genE2ELNS1_11target_archE906ELNS1_3gpuE6ELNS1_3repE0EEENS1_30default_config_static_selectorELNS0_4arch9wavefront6targetE0EEEvSV_,comdat
	.globl	_ZN7rocprim17ROCPRIM_400000_NS6detail17trampoline_kernelINS0_13select_configILj256ELj13ELNS0_17block_load_methodE3ELS4_3ELS4_3ELNS0_20block_scan_algorithmE0ELj4294967295EEENS1_25partition_config_selectorILNS1_17partition_subalgoE3EjNS0_10empty_typeEbEEZZNS1_14partition_implILS8_3ELb0ES6_jNS0_17counting_iteratorIjlEEPS9_SE_NS0_5tupleIJPjSE_EEENSF_IJSE_SE_EEES9_SG_JZNS1_25segmented_radix_sort_implINS0_14default_configELb1EPKlPlSM_SN_N2at6native12_GLOBAL__N_18offset_tEEE10hipError_tPvRmT1_PNSt15iterator_traitsISV_E10value_typeET2_T3_PNSW_IS11_E10value_typeET4_jRbjT5_S17_jjP12ihipStream_tbEUljE_EEESS_ST_SU_S11_S15_S17_T6_T7_T9_mT8_S19_bDpT10_ENKUlT_T0_E_clISt17integral_constantIbLb0EES1L_IbLb1EEEEDaS1H_S1I_EUlS1H_E_NS1_11comp_targetILNS1_3genE2ELNS1_11target_archE906ELNS1_3gpuE6ELNS1_3repE0EEENS1_30default_config_static_selectorELNS0_4arch9wavefront6targetE0EEEvSV_ ; -- Begin function _ZN7rocprim17ROCPRIM_400000_NS6detail17trampoline_kernelINS0_13select_configILj256ELj13ELNS0_17block_load_methodE3ELS4_3ELS4_3ELNS0_20block_scan_algorithmE0ELj4294967295EEENS1_25partition_config_selectorILNS1_17partition_subalgoE3EjNS0_10empty_typeEbEEZZNS1_14partition_implILS8_3ELb0ES6_jNS0_17counting_iteratorIjlEEPS9_SE_NS0_5tupleIJPjSE_EEENSF_IJSE_SE_EEES9_SG_JZNS1_25segmented_radix_sort_implINS0_14default_configELb1EPKlPlSM_SN_N2at6native12_GLOBAL__N_18offset_tEEE10hipError_tPvRmT1_PNSt15iterator_traitsISV_E10value_typeET2_T3_PNSW_IS11_E10value_typeET4_jRbjT5_S17_jjP12ihipStream_tbEUljE_EEESS_ST_SU_S11_S15_S17_T6_T7_T9_mT8_S19_bDpT10_ENKUlT_T0_E_clISt17integral_constantIbLb0EES1L_IbLb1EEEEDaS1H_S1I_EUlS1H_E_NS1_11comp_targetILNS1_3genE2ELNS1_11target_archE906ELNS1_3gpuE6ELNS1_3repE0EEENS1_30default_config_static_selectorELNS0_4arch9wavefront6targetE0EEEvSV_
	.p2align	8
	.type	_ZN7rocprim17ROCPRIM_400000_NS6detail17trampoline_kernelINS0_13select_configILj256ELj13ELNS0_17block_load_methodE3ELS4_3ELS4_3ELNS0_20block_scan_algorithmE0ELj4294967295EEENS1_25partition_config_selectorILNS1_17partition_subalgoE3EjNS0_10empty_typeEbEEZZNS1_14partition_implILS8_3ELb0ES6_jNS0_17counting_iteratorIjlEEPS9_SE_NS0_5tupleIJPjSE_EEENSF_IJSE_SE_EEES9_SG_JZNS1_25segmented_radix_sort_implINS0_14default_configELb1EPKlPlSM_SN_N2at6native12_GLOBAL__N_18offset_tEEE10hipError_tPvRmT1_PNSt15iterator_traitsISV_E10value_typeET2_T3_PNSW_IS11_E10value_typeET4_jRbjT5_S17_jjP12ihipStream_tbEUljE_EEESS_ST_SU_S11_S15_S17_T6_T7_T9_mT8_S19_bDpT10_ENKUlT_T0_E_clISt17integral_constantIbLb0EES1L_IbLb1EEEEDaS1H_S1I_EUlS1H_E_NS1_11comp_targetILNS1_3genE2ELNS1_11target_archE906ELNS1_3gpuE6ELNS1_3repE0EEENS1_30default_config_static_selectorELNS0_4arch9wavefront6targetE0EEEvSV_,@function
_ZN7rocprim17ROCPRIM_400000_NS6detail17trampoline_kernelINS0_13select_configILj256ELj13ELNS0_17block_load_methodE3ELS4_3ELS4_3ELNS0_20block_scan_algorithmE0ELj4294967295EEENS1_25partition_config_selectorILNS1_17partition_subalgoE3EjNS0_10empty_typeEbEEZZNS1_14partition_implILS8_3ELb0ES6_jNS0_17counting_iteratorIjlEEPS9_SE_NS0_5tupleIJPjSE_EEENSF_IJSE_SE_EEES9_SG_JZNS1_25segmented_radix_sort_implINS0_14default_configELb1EPKlPlSM_SN_N2at6native12_GLOBAL__N_18offset_tEEE10hipError_tPvRmT1_PNSt15iterator_traitsISV_E10value_typeET2_T3_PNSW_IS11_E10value_typeET4_jRbjT5_S17_jjP12ihipStream_tbEUljE_EEESS_ST_SU_S11_S15_S17_T6_T7_T9_mT8_S19_bDpT10_ENKUlT_T0_E_clISt17integral_constantIbLb0EES1L_IbLb1EEEEDaS1H_S1I_EUlS1H_E_NS1_11comp_targetILNS1_3genE2ELNS1_11target_archE906ELNS1_3gpuE6ELNS1_3repE0EEENS1_30default_config_static_selectorELNS0_4arch9wavefront6targetE0EEEvSV_: ; @_ZN7rocprim17ROCPRIM_400000_NS6detail17trampoline_kernelINS0_13select_configILj256ELj13ELNS0_17block_load_methodE3ELS4_3ELS4_3ELNS0_20block_scan_algorithmE0ELj4294967295EEENS1_25partition_config_selectorILNS1_17partition_subalgoE3EjNS0_10empty_typeEbEEZZNS1_14partition_implILS8_3ELb0ES6_jNS0_17counting_iteratorIjlEEPS9_SE_NS0_5tupleIJPjSE_EEENSF_IJSE_SE_EEES9_SG_JZNS1_25segmented_radix_sort_implINS0_14default_configELb1EPKlPlSM_SN_N2at6native12_GLOBAL__N_18offset_tEEE10hipError_tPvRmT1_PNSt15iterator_traitsISV_E10value_typeET2_T3_PNSW_IS11_E10value_typeET4_jRbjT5_S17_jjP12ihipStream_tbEUljE_EEESS_ST_SU_S11_S15_S17_T6_T7_T9_mT8_S19_bDpT10_ENKUlT_T0_E_clISt17integral_constantIbLb0EES1L_IbLb1EEEEDaS1H_S1I_EUlS1H_E_NS1_11comp_targetILNS1_3genE2ELNS1_11target_archE906ELNS1_3gpuE6ELNS1_3repE0EEENS1_30default_config_static_selectorELNS0_4arch9wavefront6targetE0EEEvSV_
; %bb.0:
	.section	.rodata,"a",@progbits
	.p2align	6, 0x0
	.amdhsa_kernel _ZN7rocprim17ROCPRIM_400000_NS6detail17trampoline_kernelINS0_13select_configILj256ELj13ELNS0_17block_load_methodE3ELS4_3ELS4_3ELNS0_20block_scan_algorithmE0ELj4294967295EEENS1_25partition_config_selectorILNS1_17partition_subalgoE3EjNS0_10empty_typeEbEEZZNS1_14partition_implILS8_3ELb0ES6_jNS0_17counting_iteratorIjlEEPS9_SE_NS0_5tupleIJPjSE_EEENSF_IJSE_SE_EEES9_SG_JZNS1_25segmented_radix_sort_implINS0_14default_configELb1EPKlPlSM_SN_N2at6native12_GLOBAL__N_18offset_tEEE10hipError_tPvRmT1_PNSt15iterator_traitsISV_E10value_typeET2_T3_PNSW_IS11_E10value_typeET4_jRbjT5_S17_jjP12ihipStream_tbEUljE_EEESS_ST_SU_S11_S15_S17_T6_T7_T9_mT8_S19_bDpT10_ENKUlT_T0_E_clISt17integral_constantIbLb0EES1L_IbLb1EEEEDaS1H_S1I_EUlS1H_E_NS1_11comp_targetILNS1_3genE2ELNS1_11target_archE906ELNS1_3gpuE6ELNS1_3repE0EEENS1_30default_config_static_selectorELNS0_4arch9wavefront6targetE0EEEvSV_
		.amdhsa_group_segment_fixed_size 0
		.amdhsa_private_segment_fixed_size 0
		.amdhsa_kernarg_size 152
		.amdhsa_user_sgpr_count 2
		.amdhsa_user_sgpr_dispatch_ptr 0
		.amdhsa_user_sgpr_queue_ptr 0
		.amdhsa_user_sgpr_kernarg_segment_ptr 1
		.amdhsa_user_sgpr_dispatch_id 0
		.amdhsa_user_sgpr_kernarg_preload_length 0
		.amdhsa_user_sgpr_kernarg_preload_offset 0
		.amdhsa_user_sgpr_private_segment_size 0
		.amdhsa_wavefront_size32 1
		.amdhsa_uses_dynamic_stack 0
		.amdhsa_enable_private_segment 0
		.amdhsa_system_sgpr_workgroup_id_x 1
		.amdhsa_system_sgpr_workgroup_id_y 0
		.amdhsa_system_sgpr_workgroup_id_z 0
		.amdhsa_system_sgpr_workgroup_info 0
		.amdhsa_system_vgpr_workitem_id 0
		.amdhsa_next_free_vgpr 1
		.amdhsa_next_free_sgpr 1
		.amdhsa_named_barrier_count 0
		.amdhsa_reserve_vcc 0
		.amdhsa_float_round_mode_32 0
		.amdhsa_float_round_mode_16_64 0
		.amdhsa_float_denorm_mode_32 3
		.amdhsa_float_denorm_mode_16_64 3
		.amdhsa_fp16_overflow 0
		.amdhsa_memory_ordered 1
		.amdhsa_forward_progress 1
		.amdhsa_inst_pref_size 0
		.amdhsa_round_robin_scheduling 0
		.amdhsa_exception_fp_ieee_invalid_op 0
		.amdhsa_exception_fp_denorm_src 0
		.amdhsa_exception_fp_ieee_div_zero 0
		.amdhsa_exception_fp_ieee_overflow 0
		.amdhsa_exception_fp_ieee_underflow 0
		.amdhsa_exception_fp_ieee_inexact 0
		.amdhsa_exception_int_div_zero 0
	.end_amdhsa_kernel
	.section	.text._ZN7rocprim17ROCPRIM_400000_NS6detail17trampoline_kernelINS0_13select_configILj256ELj13ELNS0_17block_load_methodE3ELS4_3ELS4_3ELNS0_20block_scan_algorithmE0ELj4294967295EEENS1_25partition_config_selectorILNS1_17partition_subalgoE3EjNS0_10empty_typeEbEEZZNS1_14partition_implILS8_3ELb0ES6_jNS0_17counting_iteratorIjlEEPS9_SE_NS0_5tupleIJPjSE_EEENSF_IJSE_SE_EEES9_SG_JZNS1_25segmented_radix_sort_implINS0_14default_configELb1EPKlPlSM_SN_N2at6native12_GLOBAL__N_18offset_tEEE10hipError_tPvRmT1_PNSt15iterator_traitsISV_E10value_typeET2_T3_PNSW_IS11_E10value_typeET4_jRbjT5_S17_jjP12ihipStream_tbEUljE_EEESS_ST_SU_S11_S15_S17_T6_T7_T9_mT8_S19_bDpT10_ENKUlT_T0_E_clISt17integral_constantIbLb0EES1L_IbLb1EEEEDaS1H_S1I_EUlS1H_E_NS1_11comp_targetILNS1_3genE2ELNS1_11target_archE906ELNS1_3gpuE6ELNS1_3repE0EEENS1_30default_config_static_selectorELNS0_4arch9wavefront6targetE0EEEvSV_,"axG",@progbits,_ZN7rocprim17ROCPRIM_400000_NS6detail17trampoline_kernelINS0_13select_configILj256ELj13ELNS0_17block_load_methodE3ELS4_3ELS4_3ELNS0_20block_scan_algorithmE0ELj4294967295EEENS1_25partition_config_selectorILNS1_17partition_subalgoE3EjNS0_10empty_typeEbEEZZNS1_14partition_implILS8_3ELb0ES6_jNS0_17counting_iteratorIjlEEPS9_SE_NS0_5tupleIJPjSE_EEENSF_IJSE_SE_EEES9_SG_JZNS1_25segmented_radix_sort_implINS0_14default_configELb1EPKlPlSM_SN_N2at6native12_GLOBAL__N_18offset_tEEE10hipError_tPvRmT1_PNSt15iterator_traitsISV_E10value_typeET2_T3_PNSW_IS11_E10value_typeET4_jRbjT5_S17_jjP12ihipStream_tbEUljE_EEESS_ST_SU_S11_S15_S17_T6_T7_T9_mT8_S19_bDpT10_ENKUlT_T0_E_clISt17integral_constantIbLb0EES1L_IbLb1EEEEDaS1H_S1I_EUlS1H_E_NS1_11comp_targetILNS1_3genE2ELNS1_11target_archE906ELNS1_3gpuE6ELNS1_3repE0EEENS1_30default_config_static_selectorELNS0_4arch9wavefront6targetE0EEEvSV_,comdat
.Lfunc_end696:
	.size	_ZN7rocprim17ROCPRIM_400000_NS6detail17trampoline_kernelINS0_13select_configILj256ELj13ELNS0_17block_load_methodE3ELS4_3ELS4_3ELNS0_20block_scan_algorithmE0ELj4294967295EEENS1_25partition_config_selectorILNS1_17partition_subalgoE3EjNS0_10empty_typeEbEEZZNS1_14partition_implILS8_3ELb0ES6_jNS0_17counting_iteratorIjlEEPS9_SE_NS0_5tupleIJPjSE_EEENSF_IJSE_SE_EEES9_SG_JZNS1_25segmented_radix_sort_implINS0_14default_configELb1EPKlPlSM_SN_N2at6native12_GLOBAL__N_18offset_tEEE10hipError_tPvRmT1_PNSt15iterator_traitsISV_E10value_typeET2_T3_PNSW_IS11_E10value_typeET4_jRbjT5_S17_jjP12ihipStream_tbEUljE_EEESS_ST_SU_S11_S15_S17_T6_T7_T9_mT8_S19_bDpT10_ENKUlT_T0_E_clISt17integral_constantIbLb0EES1L_IbLb1EEEEDaS1H_S1I_EUlS1H_E_NS1_11comp_targetILNS1_3genE2ELNS1_11target_archE906ELNS1_3gpuE6ELNS1_3repE0EEENS1_30default_config_static_selectorELNS0_4arch9wavefront6targetE0EEEvSV_, .Lfunc_end696-_ZN7rocprim17ROCPRIM_400000_NS6detail17trampoline_kernelINS0_13select_configILj256ELj13ELNS0_17block_load_methodE3ELS4_3ELS4_3ELNS0_20block_scan_algorithmE0ELj4294967295EEENS1_25partition_config_selectorILNS1_17partition_subalgoE3EjNS0_10empty_typeEbEEZZNS1_14partition_implILS8_3ELb0ES6_jNS0_17counting_iteratorIjlEEPS9_SE_NS0_5tupleIJPjSE_EEENSF_IJSE_SE_EEES9_SG_JZNS1_25segmented_radix_sort_implINS0_14default_configELb1EPKlPlSM_SN_N2at6native12_GLOBAL__N_18offset_tEEE10hipError_tPvRmT1_PNSt15iterator_traitsISV_E10value_typeET2_T3_PNSW_IS11_E10value_typeET4_jRbjT5_S17_jjP12ihipStream_tbEUljE_EEESS_ST_SU_S11_S15_S17_T6_T7_T9_mT8_S19_bDpT10_ENKUlT_T0_E_clISt17integral_constantIbLb0EES1L_IbLb1EEEEDaS1H_S1I_EUlS1H_E_NS1_11comp_targetILNS1_3genE2ELNS1_11target_archE906ELNS1_3gpuE6ELNS1_3repE0EEENS1_30default_config_static_selectorELNS0_4arch9wavefront6targetE0EEEvSV_
                                        ; -- End function
	.set _ZN7rocprim17ROCPRIM_400000_NS6detail17trampoline_kernelINS0_13select_configILj256ELj13ELNS0_17block_load_methodE3ELS4_3ELS4_3ELNS0_20block_scan_algorithmE0ELj4294967295EEENS1_25partition_config_selectorILNS1_17partition_subalgoE3EjNS0_10empty_typeEbEEZZNS1_14partition_implILS8_3ELb0ES6_jNS0_17counting_iteratorIjlEEPS9_SE_NS0_5tupleIJPjSE_EEENSF_IJSE_SE_EEES9_SG_JZNS1_25segmented_radix_sort_implINS0_14default_configELb1EPKlPlSM_SN_N2at6native12_GLOBAL__N_18offset_tEEE10hipError_tPvRmT1_PNSt15iterator_traitsISV_E10value_typeET2_T3_PNSW_IS11_E10value_typeET4_jRbjT5_S17_jjP12ihipStream_tbEUljE_EEESS_ST_SU_S11_S15_S17_T6_T7_T9_mT8_S19_bDpT10_ENKUlT_T0_E_clISt17integral_constantIbLb0EES1L_IbLb1EEEEDaS1H_S1I_EUlS1H_E_NS1_11comp_targetILNS1_3genE2ELNS1_11target_archE906ELNS1_3gpuE6ELNS1_3repE0EEENS1_30default_config_static_selectorELNS0_4arch9wavefront6targetE0EEEvSV_.num_vgpr, 0
	.set _ZN7rocprim17ROCPRIM_400000_NS6detail17trampoline_kernelINS0_13select_configILj256ELj13ELNS0_17block_load_methodE3ELS4_3ELS4_3ELNS0_20block_scan_algorithmE0ELj4294967295EEENS1_25partition_config_selectorILNS1_17partition_subalgoE3EjNS0_10empty_typeEbEEZZNS1_14partition_implILS8_3ELb0ES6_jNS0_17counting_iteratorIjlEEPS9_SE_NS0_5tupleIJPjSE_EEENSF_IJSE_SE_EEES9_SG_JZNS1_25segmented_radix_sort_implINS0_14default_configELb1EPKlPlSM_SN_N2at6native12_GLOBAL__N_18offset_tEEE10hipError_tPvRmT1_PNSt15iterator_traitsISV_E10value_typeET2_T3_PNSW_IS11_E10value_typeET4_jRbjT5_S17_jjP12ihipStream_tbEUljE_EEESS_ST_SU_S11_S15_S17_T6_T7_T9_mT8_S19_bDpT10_ENKUlT_T0_E_clISt17integral_constantIbLb0EES1L_IbLb1EEEEDaS1H_S1I_EUlS1H_E_NS1_11comp_targetILNS1_3genE2ELNS1_11target_archE906ELNS1_3gpuE6ELNS1_3repE0EEENS1_30default_config_static_selectorELNS0_4arch9wavefront6targetE0EEEvSV_.num_agpr, 0
	.set _ZN7rocprim17ROCPRIM_400000_NS6detail17trampoline_kernelINS0_13select_configILj256ELj13ELNS0_17block_load_methodE3ELS4_3ELS4_3ELNS0_20block_scan_algorithmE0ELj4294967295EEENS1_25partition_config_selectorILNS1_17partition_subalgoE3EjNS0_10empty_typeEbEEZZNS1_14partition_implILS8_3ELb0ES6_jNS0_17counting_iteratorIjlEEPS9_SE_NS0_5tupleIJPjSE_EEENSF_IJSE_SE_EEES9_SG_JZNS1_25segmented_radix_sort_implINS0_14default_configELb1EPKlPlSM_SN_N2at6native12_GLOBAL__N_18offset_tEEE10hipError_tPvRmT1_PNSt15iterator_traitsISV_E10value_typeET2_T3_PNSW_IS11_E10value_typeET4_jRbjT5_S17_jjP12ihipStream_tbEUljE_EEESS_ST_SU_S11_S15_S17_T6_T7_T9_mT8_S19_bDpT10_ENKUlT_T0_E_clISt17integral_constantIbLb0EES1L_IbLb1EEEEDaS1H_S1I_EUlS1H_E_NS1_11comp_targetILNS1_3genE2ELNS1_11target_archE906ELNS1_3gpuE6ELNS1_3repE0EEENS1_30default_config_static_selectorELNS0_4arch9wavefront6targetE0EEEvSV_.numbered_sgpr, 0
	.set _ZN7rocprim17ROCPRIM_400000_NS6detail17trampoline_kernelINS0_13select_configILj256ELj13ELNS0_17block_load_methodE3ELS4_3ELS4_3ELNS0_20block_scan_algorithmE0ELj4294967295EEENS1_25partition_config_selectorILNS1_17partition_subalgoE3EjNS0_10empty_typeEbEEZZNS1_14partition_implILS8_3ELb0ES6_jNS0_17counting_iteratorIjlEEPS9_SE_NS0_5tupleIJPjSE_EEENSF_IJSE_SE_EEES9_SG_JZNS1_25segmented_radix_sort_implINS0_14default_configELb1EPKlPlSM_SN_N2at6native12_GLOBAL__N_18offset_tEEE10hipError_tPvRmT1_PNSt15iterator_traitsISV_E10value_typeET2_T3_PNSW_IS11_E10value_typeET4_jRbjT5_S17_jjP12ihipStream_tbEUljE_EEESS_ST_SU_S11_S15_S17_T6_T7_T9_mT8_S19_bDpT10_ENKUlT_T0_E_clISt17integral_constantIbLb0EES1L_IbLb1EEEEDaS1H_S1I_EUlS1H_E_NS1_11comp_targetILNS1_3genE2ELNS1_11target_archE906ELNS1_3gpuE6ELNS1_3repE0EEENS1_30default_config_static_selectorELNS0_4arch9wavefront6targetE0EEEvSV_.num_named_barrier, 0
	.set _ZN7rocprim17ROCPRIM_400000_NS6detail17trampoline_kernelINS0_13select_configILj256ELj13ELNS0_17block_load_methodE3ELS4_3ELS4_3ELNS0_20block_scan_algorithmE0ELj4294967295EEENS1_25partition_config_selectorILNS1_17partition_subalgoE3EjNS0_10empty_typeEbEEZZNS1_14partition_implILS8_3ELb0ES6_jNS0_17counting_iteratorIjlEEPS9_SE_NS0_5tupleIJPjSE_EEENSF_IJSE_SE_EEES9_SG_JZNS1_25segmented_radix_sort_implINS0_14default_configELb1EPKlPlSM_SN_N2at6native12_GLOBAL__N_18offset_tEEE10hipError_tPvRmT1_PNSt15iterator_traitsISV_E10value_typeET2_T3_PNSW_IS11_E10value_typeET4_jRbjT5_S17_jjP12ihipStream_tbEUljE_EEESS_ST_SU_S11_S15_S17_T6_T7_T9_mT8_S19_bDpT10_ENKUlT_T0_E_clISt17integral_constantIbLb0EES1L_IbLb1EEEEDaS1H_S1I_EUlS1H_E_NS1_11comp_targetILNS1_3genE2ELNS1_11target_archE906ELNS1_3gpuE6ELNS1_3repE0EEENS1_30default_config_static_selectorELNS0_4arch9wavefront6targetE0EEEvSV_.private_seg_size, 0
	.set _ZN7rocprim17ROCPRIM_400000_NS6detail17trampoline_kernelINS0_13select_configILj256ELj13ELNS0_17block_load_methodE3ELS4_3ELS4_3ELNS0_20block_scan_algorithmE0ELj4294967295EEENS1_25partition_config_selectorILNS1_17partition_subalgoE3EjNS0_10empty_typeEbEEZZNS1_14partition_implILS8_3ELb0ES6_jNS0_17counting_iteratorIjlEEPS9_SE_NS0_5tupleIJPjSE_EEENSF_IJSE_SE_EEES9_SG_JZNS1_25segmented_radix_sort_implINS0_14default_configELb1EPKlPlSM_SN_N2at6native12_GLOBAL__N_18offset_tEEE10hipError_tPvRmT1_PNSt15iterator_traitsISV_E10value_typeET2_T3_PNSW_IS11_E10value_typeET4_jRbjT5_S17_jjP12ihipStream_tbEUljE_EEESS_ST_SU_S11_S15_S17_T6_T7_T9_mT8_S19_bDpT10_ENKUlT_T0_E_clISt17integral_constantIbLb0EES1L_IbLb1EEEEDaS1H_S1I_EUlS1H_E_NS1_11comp_targetILNS1_3genE2ELNS1_11target_archE906ELNS1_3gpuE6ELNS1_3repE0EEENS1_30default_config_static_selectorELNS0_4arch9wavefront6targetE0EEEvSV_.uses_vcc, 0
	.set _ZN7rocprim17ROCPRIM_400000_NS6detail17trampoline_kernelINS0_13select_configILj256ELj13ELNS0_17block_load_methodE3ELS4_3ELS4_3ELNS0_20block_scan_algorithmE0ELj4294967295EEENS1_25partition_config_selectorILNS1_17partition_subalgoE3EjNS0_10empty_typeEbEEZZNS1_14partition_implILS8_3ELb0ES6_jNS0_17counting_iteratorIjlEEPS9_SE_NS0_5tupleIJPjSE_EEENSF_IJSE_SE_EEES9_SG_JZNS1_25segmented_radix_sort_implINS0_14default_configELb1EPKlPlSM_SN_N2at6native12_GLOBAL__N_18offset_tEEE10hipError_tPvRmT1_PNSt15iterator_traitsISV_E10value_typeET2_T3_PNSW_IS11_E10value_typeET4_jRbjT5_S17_jjP12ihipStream_tbEUljE_EEESS_ST_SU_S11_S15_S17_T6_T7_T9_mT8_S19_bDpT10_ENKUlT_T0_E_clISt17integral_constantIbLb0EES1L_IbLb1EEEEDaS1H_S1I_EUlS1H_E_NS1_11comp_targetILNS1_3genE2ELNS1_11target_archE906ELNS1_3gpuE6ELNS1_3repE0EEENS1_30default_config_static_selectorELNS0_4arch9wavefront6targetE0EEEvSV_.uses_flat_scratch, 0
	.set _ZN7rocprim17ROCPRIM_400000_NS6detail17trampoline_kernelINS0_13select_configILj256ELj13ELNS0_17block_load_methodE3ELS4_3ELS4_3ELNS0_20block_scan_algorithmE0ELj4294967295EEENS1_25partition_config_selectorILNS1_17partition_subalgoE3EjNS0_10empty_typeEbEEZZNS1_14partition_implILS8_3ELb0ES6_jNS0_17counting_iteratorIjlEEPS9_SE_NS0_5tupleIJPjSE_EEENSF_IJSE_SE_EEES9_SG_JZNS1_25segmented_radix_sort_implINS0_14default_configELb1EPKlPlSM_SN_N2at6native12_GLOBAL__N_18offset_tEEE10hipError_tPvRmT1_PNSt15iterator_traitsISV_E10value_typeET2_T3_PNSW_IS11_E10value_typeET4_jRbjT5_S17_jjP12ihipStream_tbEUljE_EEESS_ST_SU_S11_S15_S17_T6_T7_T9_mT8_S19_bDpT10_ENKUlT_T0_E_clISt17integral_constantIbLb0EES1L_IbLb1EEEEDaS1H_S1I_EUlS1H_E_NS1_11comp_targetILNS1_3genE2ELNS1_11target_archE906ELNS1_3gpuE6ELNS1_3repE0EEENS1_30default_config_static_selectorELNS0_4arch9wavefront6targetE0EEEvSV_.has_dyn_sized_stack, 0
	.set _ZN7rocprim17ROCPRIM_400000_NS6detail17trampoline_kernelINS0_13select_configILj256ELj13ELNS0_17block_load_methodE3ELS4_3ELS4_3ELNS0_20block_scan_algorithmE0ELj4294967295EEENS1_25partition_config_selectorILNS1_17partition_subalgoE3EjNS0_10empty_typeEbEEZZNS1_14partition_implILS8_3ELb0ES6_jNS0_17counting_iteratorIjlEEPS9_SE_NS0_5tupleIJPjSE_EEENSF_IJSE_SE_EEES9_SG_JZNS1_25segmented_radix_sort_implINS0_14default_configELb1EPKlPlSM_SN_N2at6native12_GLOBAL__N_18offset_tEEE10hipError_tPvRmT1_PNSt15iterator_traitsISV_E10value_typeET2_T3_PNSW_IS11_E10value_typeET4_jRbjT5_S17_jjP12ihipStream_tbEUljE_EEESS_ST_SU_S11_S15_S17_T6_T7_T9_mT8_S19_bDpT10_ENKUlT_T0_E_clISt17integral_constantIbLb0EES1L_IbLb1EEEEDaS1H_S1I_EUlS1H_E_NS1_11comp_targetILNS1_3genE2ELNS1_11target_archE906ELNS1_3gpuE6ELNS1_3repE0EEENS1_30default_config_static_selectorELNS0_4arch9wavefront6targetE0EEEvSV_.has_recursion, 0
	.set _ZN7rocprim17ROCPRIM_400000_NS6detail17trampoline_kernelINS0_13select_configILj256ELj13ELNS0_17block_load_methodE3ELS4_3ELS4_3ELNS0_20block_scan_algorithmE0ELj4294967295EEENS1_25partition_config_selectorILNS1_17partition_subalgoE3EjNS0_10empty_typeEbEEZZNS1_14partition_implILS8_3ELb0ES6_jNS0_17counting_iteratorIjlEEPS9_SE_NS0_5tupleIJPjSE_EEENSF_IJSE_SE_EEES9_SG_JZNS1_25segmented_radix_sort_implINS0_14default_configELb1EPKlPlSM_SN_N2at6native12_GLOBAL__N_18offset_tEEE10hipError_tPvRmT1_PNSt15iterator_traitsISV_E10value_typeET2_T3_PNSW_IS11_E10value_typeET4_jRbjT5_S17_jjP12ihipStream_tbEUljE_EEESS_ST_SU_S11_S15_S17_T6_T7_T9_mT8_S19_bDpT10_ENKUlT_T0_E_clISt17integral_constantIbLb0EES1L_IbLb1EEEEDaS1H_S1I_EUlS1H_E_NS1_11comp_targetILNS1_3genE2ELNS1_11target_archE906ELNS1_3gpuE6ELNS1_3repE0EEENS1_30default_config_static_selectorELNS0_4arch9wavefront6targetE0EEEvSV_.has_indirect_call, 0
	.section	.AMDGPU.csdata,"",@progbits
; Kernel info:
; codeLenInByte = 0
; TotalNumSgprs: 0
; NumVgprs: 0
; ScratchSize: 0
; MemoryBound: 0
; FloatMode: 240
; IeeeMode: 1
; LDSByteSize: 0 bytes/workgroup (compile time only)
; SGPRBlocks: 0
; VGPRBlocks: 0
; NumSGPRsForWavesPerEU: 1
; NumVGPRsForWavesPerEU: 1
; NamedBarCnt: 0
; Occupancy: 16
; WaveLimiterHint : 0
; COMPUTE_PGM_RSRC2:SCRATCH_EN: 0
; COMPUTE_PGM_RSRC2:USER_SGPR: 2
; COMPUTE_PGM_RSRC2:TRAP_HANDLER: 0
; COMPUTE_PGM_RSRC2:TGID_X_EN: 1
; COMPUTE_PGM_RSRC2:TGID_Y_EN: 0
; COMPUTE_PGM_RSRC2:TGID_Z_EN: 0
; COMPUTE_PGM_RSRC2:TIDIG_COMP_CNT: 0
	.section	.text._ZN7rocprim17ROCPRIM_400000_NS6detail17trampoline_kernelINS0_13select_configILj256ELj13ELNS0_17block_load_methodE3ELS4_3ELS4_3ELNS0_20block_scan_algorithmE0ELj4294967295EEENS1_25partition_config_selectorILNS1_17partition_subalgoE3EjNS0_10empty_typeEbEEZZNS1_14partition_implILS8_3ELb0ES6_jNS0_17counting_iteratorIjlEEPS9_SE_NS0_5tupleIJPjSE_EEENSF_IJSE_SE_EEES9_SG_JZNS1_25segmented_radix_sort_implINS0_14default_configELb1EPKlPlSM_SN_N2at6native12_GLOBAL__N_18offset_tEEE10hipError_tPvRmT1_PNSt15iterator_traitsISV_E10value_typeET2_T3_PNSW_IS11_E10value_typeET4_jRbjT5_S17_jjP12ihipStream_tbEUljE_EEESS_ST_SU_S11_S15_S17_T6_T7_T9_mT8_S19_bDpT10_ENKUlT_T0_E_clISt17integral_constantIbLb0EES1L_IbLb1EEEEDaS1H_S1I_EUlS1H_E_NS1_11comp_targetILNS1_3genE10ELNS1_11target_archE1200ELNS1_3gpuE4ELNS1_3repE0EEENS1_30default_config_static_selectorELNS0_4arch9wavefront6targetE0EEEvSV_,"axG",@progbits,_ZN7rocprim17ROCPRIM_400000_NS6detail17trampoline_kernelINS0_13select_configILj256ELj13ELNS0_17block_load_methodE3ELS4_3ELS4_3ELNS0_20block_scan_algorithmE0ELj4294967295EEENS1_25partition_config_selectorILNS1_17partition_subalgoE3EjNS0_10empty_typeEbEEZZNS1_14partition_implILS8_3ELb0ES6_jNS0_17counting_iteratorIjlEEPS9_SE_NS0_5tupleIJPjSE_EEENSF_IJSE_SE_EEES9_SG_JZNS1_25segmented_radix_sort_implINS0_14default_configELb1EPKlPlSM_SN_N2at6native12_GLOBAL__N_18offset_tEEE10hipError_tPvRmT1_PNSt15iterator_traitsISV_E10value_typeET2_T3_PNSW_IS11_E10value_typeET4_jRbjT5_S17_jjP12ihipStream_tbEUljE_EEESS_ST_SU_S11_S15_S17_T6_T7_T9_mT8_S19_bDpT10_ENKUlT_T0_E_clISt17integral_constantIbLb0EES1L_IbLb1EEEEDaS1H_S1I_EUlS1H_E_NS1_11comp_targetILNS1_3genE10ELNS1_11target_archE1200ELNS1_3gpuE4ELNS1_3repE0EEENS1_30default_config_static_selectorELNS0_4arch9wavefront6targetE0EEEvSV_,comdat
	.globl	_ZN7rocprim17ROCPRIM_400000_NS6detail17trampoline_kernelINS0_13select_configILj256ELj13ELNS0_17block_load_methodE3ELS4_3ELS4_3ELNS0_20block_scan_algorithmE0ELj4294967295EEENS1_25partition_config_selectorILNS1_17partition_subalgoE3EjNS0_10empty_typeEbEEZZNS1_14partition_implILS8_3ELb0ES6_jNS0_17counting_iteratorIjlEEPS9_SE_NS0_5tupleIJPjSE_EEENSF_IJSE_SE_EEES9_SG_JZNS1_25segmented_radix_sort_implINS0_14default_configELb1EPKlPlSM_SN_N2at6native12_GLOBAL__N_18offset_tEEE10hipError_tPvRmT1_PNSt15iterator_traitsISV_E10value_typeET2_T3_PNSW_IS11_E10value_typeET4_jRbjT5_S17_jjP12ihipStream_tbEUljE_EEESS_ST_SU_S11_S15_S17_T6_T7_T9_mT8_S19_bDpT10_ENKUlT_T0_E_clISt17integral_constantIbLb0EES1L_IbLb1EEEEDaS1H_S1I_EUlS1H_E_NS1_11comp_targetILNS1_3genE10ELNS1_11target_archE1200ELNS1_3gpuE4ELNS1_3repE0EEENS1_30default_config_static_selectorELNS0_4arch9wavefront6targetE0EEEvSV_ ; -- Begin function _ZN7rocprim17ROCPRIM_400000_NS6detail17trampoline_kernelINS0_13select_configILj256ELj13ELNS0_17block_load_methodE3ELS4_3ELS4_3ELNS0_20block_scan_algorithmE0ELj4294967295EEENS1_25partition_config_selectorILNS1_17partition_subalgoE3EjNS0_10empty_typeEbEEZZNS1_14partition_implILS8_3ELb0ES6_jNS0_17counting_iteratorIjlEEPS9_SE_NS0_5tupleIJPjSE_EEENSF_IJSE_SE_EEES9_SG_JZNS1_25segmented_radix_sort_implINS0_14default_configELb1EPKlPlSM_SN_N2at6native12_GLOBAL__N_18offset_tEEE10hipError_tPvRmT1_PNSt15iterator_traitsISV_E10value_typeET2_T3_PNSW_IS11_E10value_typeET4_jRbjT5_S17_jjP12ihipStream_tbEUljE_EEESS_ST_SU_S11_S15_S17_T6_T7_T9_mT8_S19_bDpT10_ENKUlT_T0_E_clISt17integral_constantIbLb0EES1L_IbLb1EEEEDaS1H_S1I_EUlS1H_E_NS1_11comp_targetILNS1_3genE10ELNS1_11target_archE1200ELNS1_3gpuE4ELNS1_3repE0EEENS1_30default_config_static_selectorELNS0_4arch9wavefront6targetE0EEEvSV_
	.p2align	8
	.type	_ZN7rocprim17ROCPRIM_400000_NS6detail17trampoline_kernelINS0_13select_configILj256ELj13ELNS0_17block_load_methodE3ELS4_3ELS4_3ELNS0_20block_scan_algorithmE0ELj4294967295EEENS1_25partition_config_selectorILNS1_17partition_subalgoE3EjNS0_10empty_typeEbEEZZNS1_14partition_implILS8_3ELb0ES6_jNS0_17counting_iteratorIjlEEPS9_SE_NS0_5tupleIJPjSE_EEENSF_IJSE_SE_EEES9_SG_JZNS1_25segmented_radix_sort_implINS0_14default_configELb1EPKlPlSM_SN_N2at6native12_GLOBAL__N_18offset_tEEE10hipError_tPvRmT1_PNSt15iterator_traitsISV_E10value_typeET2_T3_PNSW_IS11_E10value_typeET4_jRbjT5_S17_jjP12ihipStream_tbEUljE_EEESS_ST_SU_S11_S15_S17_T6_T7_T9_mT8_S19_bDpT10_ENKUlT_T0_E_clISt17integral_constantIbLb0EES1L_IbLb1EEEEDaS1H_S1I_EUlS1H_E_NS1_11comp_targetILNS1_3genE10ELNS1_11target_archE1200ELNS1_3gpuE4ELNS1_3repE0EEENS1_30default_config_static_selectorELNS0_4arch9wavefront6targetE0EEEvSV_,@function
_ZN7rocprim17ROCPRIM_400000_NS6detail17trampoline_kernelINS0_13select_configILj256ELj13ELNS0_17block_load_methodE3ELS4_3ELS4_3ELNS0_20block_scan_algorithmE0ELj4294967295EEENS1_25partition_config_selectorILNS1_17partition_subalgoE3EjNS0_10empty_typeEbEEZZNS1_14partition_implILS8_3ELb0ES6_jNS0_17counting_iteratorIjlEEPS9_SE_NS0_5tupleIJPjSE_EEENSF_IJSE_SE_EEES9_SG_JZNS1_25segmented_radix_sort_implINS0_14default_configELb1EPKlPlSM_SN_N2at6native12_GLOBAL__N_18offset_tEEE10hipError_tPvRmT1_PNSt15iterator_traitsISV_E10value_typeET2_T3_PNSW_IS11_E10value_typeET4_jRbjT5_S17_jjP12ihipStream_tbEUljE_EEESS_ST_SU_S11_S15_S17_T6_T7_T9_mT8_S19_bDpT10_ENKUlT_T0_E_clISt17integral_constantIbLb0EES1L_IbLb1EEEEDaS1H_S1I_EUlS1H_E_NS1_11comp_targetILNS1_3genE10ELNS1_11target_archE1200ELNS1_3gpuE4ELNS1_3repE0EEENS1_30default_config_static_selectorELNS0_4arch9wavefront6targetE0EEEvSV_: ; @_ZN7rocprim17ROCPRIM_400000_NS6detail17trampoline_kernelINS0_13select_configILj256ELj13ELNS0_17block_load_methodE3ELS4_3ELS4_3ELNS0_20block_scan_algorithmE0ELj4294967295EEENS1_25partition_config_selectorILNS1_17partition_subalgoE3EjNS0_10empty_typeEbEEZZNS1_14partition_implILS8_3ELb0ES6_jNS0_17counting_iteratorIjlEEPS9_SE_NS0_5tupleIJPjSE_EEENSF_IJSE_SE_EEES9_SG_JZNS1_25segmented_radix_sort_implINS0_14default_configELb1EPKlPlSM_SN_N2at6native12_GLOBAL__N_18offset_tEEE10hipError_tPvRmT1_PNSt15iterator_traitsISV_E10value_typeET2_T3_PNSW_IS11_E10value_typeET4_jRbjT5_S17_jjP12ihipStream_tbEUljE_EEESS_ST_SU_S11_S15_S17_T6_T7_T9_mT8_S19_bDpT10_ENKUlT_T0_E_clISt17integral_constantIbLb0EES1L_IbLb1EEEEDaS1H_S1I_EUlS1H_E_NS1_11comp_targetILNS1_3genE10ELNS1_11target_archE1200ELNS1_3gpuE4ELNS1_3repE0EEENS1_30default_config_static_selectorELNS0_4arch9wavefront6targetE0EEEvSV_
; %bb.0:
	.section	.rodata,"a",@progbits
	.p2align	6, 0x0
	.amdhsa_kernel _ZN7rocprim17ROCPRIM_400000_NS6detail17trampoline_kernelINS0_13select_configILj256ELj13ELNS0_17block_load_methodE3ELS4_3ELS4_3ELNS0_20block_scan_algorithmE0ELj4294967295EEENS1_25partition_config_selectorILNS1_17partition_subalgoE3EjNS0_10empty_typeEbEEZZNS1_14partition_implILS8_3ELb0ES6_jNS0_17counting_iteratorIjlEEPS9_SE_NS0_5tupleIJPjSE_EEENSF_IJSE_SE_EEES9_SG_JZNS1_25segmented_radix_sort_implINS0_14default_configELb1EPKlPlSM_SN_N2at6native12_GLOBAL__N_18offset_tEEE10hipError_tPvRmT1_PNSt15iterator_traitsISV_E10value_typeET2_T3_PNSW_IS11_E10value_typeET4_jRbjT5_S17_jjP12ihipStream_tbEUljE_EEESS_ST_SU_S11_S15_S17_T6_T7_T9_mT8_S19_bDpT10_ENKUlT_T0_E_clISt17integral_constantIbLb0EES1L_IbLb1EEEEDaS1H_S1I_EUlS1H_E_NS1_11comp_targetILNS1_3genE10ELNS1_11target_archE1200ELNS1_3gpuE4ELNS1_3repE0EEENS1_30default_config_static_selectorELNS0_4arch9wavefront6targetE0EEEvSV_
		.amdhsa_group_segment_fixed_size 0
		.amdhsa_private_segment_fixed_size 0
		.amdhsa_kernarg_size 152
		.amdhsa_user_sgpr_count 2
		.amdhsa_user_sgpr_dispatch_ptr 0
		.amdhsa_user_sgpr_queue_ptr 0
		.amdhsa_user_sgpr_kernarg_segment_ptr 1
		.amdhsa_user_sgpr_dispatch_id 0
		.amdhsa_user_sgpr_kernarg_preload_length 0
		.amdhsa_user_sgpr_kernarg_preload_offset 0
		.amdhsa_user_sgpr_private_segment_size 0
		.amdhsa_wavefront_size32 1
		.amdhsa_uses_dynamic_stack 0
		.amdhsa_enable_private_segment 0
		.amdhsa_system_sgpr_workgroup_id_x 1
		.amdhsa_system_sgpr_workgroup_id_y 0
		.amdhsa_system_sgpr_workgroup_id_z 0
		.amdhsa_system_sgpr_workgroup_info 0
		.amdhsa_system_vgpr_workitem_id 0
		.amdhsa_next_free_vgpr 1
		.amdhsa_next_free_sgpr 1
		.amdhsa_named_barrier_count 0
		.amdhsa_reserve_vcc 0
		.amdhsa_float_round_mode_32 0
		.amdhsa_float_round_mode_16_64 0
		.amdhsa_float_denorm_mode_32 3
		.amdhsa_float_denorm_mode_16_64 3
		.amdhsa_fp16_overflow 0
		.amdhsa_memory_ordered 1
		.amdhsa_forward_progress 1
		.amdhsa_inst_pref_size 0
		.amdhsa_round_robin_scheduling 0
		.amdhsa_exception_fp_ieee_invalid_op 0
		.amdhsa_exception_fp_denorm_src 0
		.amdhsa_exception_fp_ieee_div_zero 0
		.amdhsa_exception_fp_ieee_overflow 0
		.amdhsa_exception_fp_ieee_underflow 0
		.amdhsa_exception_fp_ieee_inexact 0
		.amdhsa_exception_int_div_zero 0
	.end_amdhsa_kernel
	.section	.text._ZN7rocprim17ROCPRIM_400000_NS6detail17trampoline_kernelINS0_13select_configILj256ELj13ELNS0_17block_load_methodE3ELS4_3ELS4_3ELNS0_20block_scan_algorithmE0ELj4294967295EEENS1_25partition_config_selectorILNS1_17partition_subalgoE3EjNS0_10empty_typeEbEEZZNS1_14partition_implILS8_3ELb0ES6_jNS0_17counting_iteratorIjlEEPS9_SE_NS0_5tupleIJPjSE_EEENSF_IJSE_SE_EEES9_SG_JZNS1_25segmented_radix_sort_implINS0_14default_configELb1EPKlPlSM_SN_N2at6native12_GLOBAL__N_18offset_tEEE10hipError_tPvRmT1_PNSt15iterator_traitsISV_E10value_typeET2_T3_PNSW_IS11_E10value_typeET4_jRbjT5_S17_jjP12ihipStream_tbEUljE_EEESS_ST_SU_S11_S15_S17_T6_T7_T9_mT8_S19_bDpT10_ENKUlT_T0_E_clISt17integral_constantIbLb0EES1L_IbLb1EEEEDaS1H_S1I_EUlS1H_E_NS1_11comp_targetILNS1_3genE10ELNS1_11target_archE1200ELNS1_3gpuE4ELNS1_3repE0EEENS1_30default_config_static_selectorELNS0_4arch9wavefront6targetE0EEEvSV_,"axG",@progbits,_ZN7rocprim17ROCPRIM_400000_NS6detail17trampoline_kernelINS0_13select_configILj256ELj13ELNS0_17block_load_methodE3ELS4_3ELS4_3ELNS0_20block_scan_algorithmE0ELj4294967295EEENS1_25partition_config_selectorILNS1_17partition_subalgoE3EjNS0_10empty_typeEbEEZZNS1_14partition_implILS8_3ELb0ES6_jNS0_17counting_iteratorIjlEEPS9_SE_NS0_5tupleIJPjSE_EEENSF_IJSE_SE_EEES9_SG_JZNS1_25segmented_radix_sort_implINS0_14default_configELb1EPKlPlSM_SN_N2at6native12_GLOBAL__N_18offset_tEEE10hipError_tPvRmT1_PNSt15iterator_traitsISV_E10value_typeET2_T3_PNSW_IS11_E10value_typeET4_jRbjT5_S17_jjP12ihipStream_tbEUljE_EEESS_ST_SU_S11_S15_S17_T6_T7_T9_mT8_S19_bDpT10_ENKUlT_T0_E_clISt17integral_constantIbLb0EES1L_IbLb1EEEEDaS1H_S1I_EUlS1H_E_NS1_11comp_targetILNS1_3genE10ELNS1_11target_archE1200ELNS1_3gpuE4ELNS1_3repE0EEENS1_30default_config_static_selectorELNS0_4arch9wavefront6targetE0EEEvSV_,comdat
.Lfunc_end697:
	.size	_ZN7rocprim17ROCPRIM_400000_NS6detail17trampoline_kernelINS0_13select_configILj256ELj13ELNS0_17block_load_methodE3ELS4_3ELS4_3ELNS0_20block_scan_algorithmE0ELj4294967295EEENS1_25partition_config_selectorILNS1_17partition_subalgoE3EjNS0_10empty_typeEbEEZZNS1_14partition_implILS8_3ELb0ES6_jNS0_17counting_iteratorIjlEEPS9_SE_NS0_5tupleIJPjSE_EEENSF_IJSE_SE_EEES9_SG_JZNS1_25segmented_radix_sort_implINS0_14default_configELb1EPKlPlSM_SN_N2at6native12_GLOBAL__N_18offset_tEEE10hipError_tPvRmT1_PNSt15iterator_traitsISV_E10value_typeET2_T3_PNSW_IS11_E10value_typeET4_jRbjT5_S17_jjP12ihipStream_tbEUljE_EEESS_ST_SU_S11_S15_S17_T6_T7_T9_mT8_S19_bDpT10_ENKUlT_T0_E_clISt17integral_constantIbLb0EES1L_IbLb1EEEEDaS1H_S1I_EUlS1H_E_NS1_11comp_targetILNS1_3genE10ELNS1_11target_archE1200ELNS1_3gpuE4ELNS1_3repE0EEENS1_30default_config_static_selectorELNS0_4arch9wavefront6targetE0EEEvSV_, .Lfunc_end697-_ZN7rocprim17ROCPRIM_400000_NS6detail17trampoline_kernelINS0_13select_configILj256ELj13ELNS0_17block_load_methodE3ELS4_3ELS4_3ELNS0_20block_scan_algorithmE0ELj4294967295EEENS1_25partition_config_selectorILNS1_17partition_subalgoE3EjNS0_10empty_typeEbEEZZNS1_14partition_implILS8_3ELb0ES6_jNS0_17counting_iteratorIjlEEPS9_SE_NS0_5tupleIJPjSE_EEENSF_IJSE_SE_EEES9_SG_JZNS1_25segmented_radix_sort_implINS0_14default_configELb1EPKlPlSM_SN_N2at6native12_GLOBAL__N_18offset_tEEE10hipError_tPvRmT1_PNSt15iterator_traitsISV_E10value_typeET2_T3_PNSW_IS11_E10value_typeET4_jRbjT5_S17_jjP12ihipStream_tbEUljE_EEESS_ST_SU_S11_S15_S17_T6_T7_T9_mT8_S19_bDpT10_ENKUlT_T0_E_clISt17integral_constantIbLb0EES1L_IbLb1EEEEDaS1H_S1I_EUlS1H_E_NS1_11comp_targetILNS1_3genE10ELNS1_11target_archE1200ELNS1_3gpuE4ELNS1_3repE0EEENS1_30default_config_static_selectorELNS0_4arch9wavefront6targetE0EEEvSV_
                                        ; -- End function
	.set _ZN7rocprim17ROCPRIM_400000_NS6detail17trampoline_kernelINS0_13select_configILj256ELj13ELNS0_17block_load_methodE3ELS4_3ELS4_3ELNS0_20block_scan_algorithmE0ELj4294967295EEENS1_25partition_config_selectorILNS1_17partition_subalgoE3EjNS0_10empty_typeEbEEZZNS1_14partition_implILS8_3ELb0ES6_jNS0_17counting_iteratorIjlEEPS9_SE_NS0_5tupleIJPjSE_EEENSF_IJSE_SE_EEES9_SG_JZNS1_25segmented_radix_sort_implINS0_14default_configELb1EPKlPlSM_SN_N2at6native12_GLOBAL__N_18offset_tEEE10hipError_tPvRmT1_PNSt15iterator_traitsISV_E10value_typeET2_T3_PNSW_IS11_E10value_typeET4_jRbjT5_S17_jjP12ihipStream_tbEUljE_EEESS_ST_SU_S11_S15_S17_T6_T7_T9_mT8_S19_bDpT10_ENKUlT_T0_E_clISt17integral_constantIbLb0EES1L_IbLb1EEEEDaS1H_S1I_EUlS1H_E_NS1_11comp_targetILNS1_3genE10ELNS1_11target_archE1200ELNS1_3gpuE4ELNS1_3repE0EEENS1_30default_config_static_selectorELNS0_4arch9wavefront6targetE0EEEvSV_.num_vgpr, 0
	.set _ZN7rocprim17ROCPRIM_400000_NS6detail17trampoline_kernelINS0_13select_configILj256ELj13ELNS0_17block_load_methodE3ELS4_3ELS4_3ELNS0_20block_scan_algorithmE0ELj4294967295EEENS1_25partition_config_selectorILNS1_17partition_subalgoE3EjNS0_10empty_typeEbEEZZNS1_14partition_implILS8_3ELb0ES6_jNS0_17counting_iteratorIjlEEPS9_SE_NS0_5tupleIJPjSE_EEENSF_IJSE_SE_EEES9_SG_JZNS1_25segmented_radix_sort_implINS0_14default_configELb1EPKlPlSM_SN_N2at6native12_GLOBAL__N_18offset_tEEE10hipError_tPvRmT1_PNSt15iterator_traitsISV_E10value_typeET2_T3_PNSW_IS11_E10value_typeET4_jRbjT5_S17_jjP12ihipStream_tbEUljE_EEESS_ST_SU_S11_S15_S17_T6_T7_T9_mT8_S19_bDpT10_ENKUlT_T0_E_clISt17integral_constantIbLb0EES1L_IbLb1EEEEDaS1H_S1I_EUlS1H_E_NS1_11comp_targetILNS1_3genE10ELNS1_11target_archE1200ELNS1_3gpuE4ELNS1_3repE0EEENS1_30default_config_static_selectorELNS0_4arch9wavefront6targetE0EEEvSV_.num_agpr, 0
	.set _ZN7rocprim17ROCPRIM_400000_NS6detail17trampoline_kernelINS0_13select_configILj256ELj13ELNS0_17block_load_methodE3ELS4_3ELS4_3ELNS0_20block_scan_algorithmE0ELj4294967295EEENS1_25partition_config_selectorILNS1_17partition_subalgoE3EjNS0_10empty_typeEbEEZZNS1_14partition_implILS8_3ELb0ES6_jNS0_17counting_iteratorIjlEEPS9_SE_NS0_5tupleIJPjSE_EEENSF_IJSE_SE_EEES9_SG_JZNS1_25segmented_radix_sort_implINS0_14default_configELb1EPKlPlSM_SN_N2at6native12_GLOBAL__N_18offset_tEEE10hipError_tPvRmT1_PNSt15iterator_traitsISV_E10value_typeET2_T3_PNSW_IS11_E10value_typeET4_jRbjT5_S17_jjP12ihipStream_tbEUljE_EEESS_ST_SU_S11_S15_S17_T6_T7_T9_mT8_S19_bDpT10_ENKUlT_T0_E_clISt17integral_constantIbLb0EES1L_IbLb1EEEEDaS1H_S1I_EUlS1H_E_NS1_11comp_targetILNS1_3genE10ELNS1_11target_archE1200ELNS1_3gpuE4ELNS1_3repE0EEENS1_30default_config_static_selectorELNS0_4arch9wavefront6targetE0EEEvSV_.numbered_sgpr, 0
	.set _ZN7rocprim17ROCPRIM_400000_NS6detail17trampoline_kernelINS0_13select_configILj256ELj13ELNS0_17block_load_methodE3ELS4_3ELS4_3ELNS0_20block_scan_algorithmE0ELj4294967295EEENS1_25partition_config_selectorILNS1_17partition_subalgoE3EjNS0_10empty_typeEbEEZZNS1_14partition_implILS8_3ELb0ES6_jNS0_17counting_iteratorIjlEEPS9_SE_NS0_5tupleIJPjSE_EEENSF_IJSE_SE_EEES9_SG_JZNS1_25segmented_radix_sort_implINS0_14default_configELb1EPKlPlSM_SN_N2at6native12_GLOBAL__N_18offset_tEEE10hipError_tPvRmT1_PNSt15iterator_traitsISV_E10value_typeET2_T3_PNSW_IS11_E10value_typeET4_jRbjT5_S17_jjP12ihipStream_tbEUljE_EEESS_ST_SU_S11_S15_S17_T6_T7_T9_mT8_S19_bDpT10_ENKUlT_T0_E_clISt17integral_constantIbLb0EES1L_IbLb1EEEEDaS1H_S1I_EUlS1H_E_NS1_11comp_targetILNS1_3genE10ELNS1_11target_archE1200ELNS1_3gpuE4ELNS1_3repE0EEENS1_30default_config_static_selectorELNS0_4arch9wavefront6targetE0EEEvSV_.num_named_barrier, 0
	.set _ZN7rocprim17ROCPRIM_400000_NS6detail17trampoline_kernelINS0_13select_configILj256ELj13ELNS0_17block_load_methodE3ELS4_3ELS4_3ELNS0_20block_scan_algorithmE0ELj4294967295EEENS1_25partition_config_selectorILNS1_17partition_subalgoE3EjNS0_10empty_typeEbEEZZNS1_14partition_implILS8_3ELb0ES6_jNS0_17counting_iteratorIjlEEPS9_SE_NS0_5tupleIJPjSE_EEENSF_IJSE_SE_EEES9_SG_JZNS1_25segmented_radix_sort_implINS0_14default_configELb1EPKlPlSM_SN_N2at6native12_GLOBAL__N_18offset_tEEE10hipError_tPvRmT1_PNSt15iterator_traitsISV_E10value_typeET2_T3_PNSW_IS11_E10value_typeET4_jRbjT5_S17_jjP12ihipStream_tbEUljE_EEESS_ST_SU_S11_S15_S17_T6_T7_T9_mT8_S19_bDpT10_ENKUlT_T0_E_clISt17integral_constantIbLb0EES1L_IbLb1EEEEDaS1H_S1I_EUlS1H_E_NS1_11comp_targetILNS1_3genE10ELNS1_11target_archE1200ELNS1_3gpuE4ELNS1_3repE0EEENS1_30default_config_static_selectorELNS0_4arch9wavefront6targetE0EEEvSV_.private_seg_size, 0
	.set _ZN7rocprim17ROCPRIM_400000_NS6detail17trampoline_kernelINS0_13select_configILj256ELj13ELNS0_17block_load_methodE3ELS4_3ELS4_3ELNS0_20block_scan_algorithmE0ELj4294967295EEENS1_25partition_config_selectorILNS1_17partition_subalgoE3EjNS0_10empty_typeEbEEZZNS1_14partition_implILS8_3ELb0ES6_jNS0_17counting_iteratorIjlEEPS9_SE_NS0_5tupleIJPjSE_EEENSF_IJSE_SE_EEES9_SG_JZNS1_25segmented_radix_sort_implINS0_14default_configELb1EPKlPlSM_SN_N2at6native12_GLOBAL__N_18offset_tEEE10hipError_tPvRmT1_PNSt15iterator_traitsISV_E10value_typeET2_T3_PNSW_IS11_E10value_typeET4_jRbjT5_S17_jjP12ihipStream_tbEUljE_EEESS_ST_SU_S11_S15_S17_T6_T7_T9_mT8_S19_bDpT10_ENKUlT_T0_E_clISt17integral_constantIbLb0EES1L_IbLb1EEEEDaS1H_S1I_EUlS1H_E_NS1_11comp_targetILNS1_3genE10ELNS1_11target_archE1200ELNS1_3gpuE4ELNS1_3repE0EEENS1_30default_config_static_selectorELNS0_4arch9wavefront6targetE0EEEvSV_.uses_vcc, 0
	.set _ZN7rocprim17ROCPRIM_400000_NS6detail17trampoline_kernelINS0_13select_configILj256ELj13ELNS0_17block_load_methodE3ELS4_3ELS4_3ELNS0_20block_scan_algorithmE0ELj4294967295EEENS1_25partition_config_selectorILNS1_17partition_subalgoE3EjNS0_10empty_typeEbEEZZNS1_14partition_implILS8_3ELb0ES6_jNS0_17counting_iteratorIjlEEPS9_SE_NS0_5tupleIJPjSE_EEENSF_IJSE_SE_EEES9_SG_JZNS1_25segmented_radix_sort_implINS0_14default_configELb1EPKlPlSM_SN_N2at6native12_GLOBAL__N_18offset_tEEE10hipError_tPvRmT1_PNSt15iterator_traitsISV_E10value_typeET2_T3_PNSW_IS11_E10value_typeET4_jRbjT5_S17_jjP12ihipStream_tbEUljE_EEESS_ST_SU_S11_S15_S17_T6_T7_T9_mT8_S19_bDpT10_ENKUlT_T0_E_clISt17integral_constantIbLb0EES1L_IbLb1EEEEDaS1H_S1I_EUlS1H_E_NS1_11comp_targetILNS1_3genE10ELNS1_11target_archE1200ELNS1_3gpuE4ELNS1_3repE0EEENS1_30default_config_static_selectorELNS0_4arch9wavefront6targetE0EEEvSV_.uses_flat_scratch, 0
	.set _ZN7rocprim17ROCPRIM_400000_NS6detail17trampoline_kernelINS0_13select_configILj256ELj13ELNS0_17block_load_methodE3ELS4_3ELS4_3ELNS0_20block_scan_algorithmE0ELj4294967295EEENS1_25partition_config_selectorILNS1_17partition_subalgoE3EjNS0_10empty_typeEbEEZZNS1_14partition_implILS8_3ELb0ES6_jNS0_17counting_iteratorIjlEEPS9_SE_NS0_5tupleIJPjSE_EEENSF_IJSE_SE_EEES9_SG_JZNS1_25segmented_radix_sort_implINS0_14default_configELb1EPKlPlSM_SN_N2at6native12_GLOBAL__N_18offset_tEEE10hipError_tPvRmT1_PNSt15iterator_traitsISV_E10value_typeET2_T3_PNSW_IS11_E10value_typeET4_jRbjT5_S17_jjP12ihipStream_tbEUljE_EEESS_ST_SU_S11_S15_S17_T6_T7_T9_mT8_S19_bDpT10_ENKUlT_T0_E_clISt17integral_constantIbLb0EES1L_IbLb1EEEEDaS1H_S1I_EUlS1H_E_NS1_11comp_targetILNS1_3genE10ELNS1_11target_archE1200ELNS1_3gpuE4ELNS1_3repE0EEENS1_30default_config_static_selectorELNS0_4arch9wavefront6targetE0EEEvSV_.has_dyn_sized_stack, 0
	.set _ZN7rocprim17ROCPRIM_400000_NS6detail17trampoline_kernelINS0_13select_configILj256ELj13ELNS0_17block_load_methodE3ELS4_3ELS4_3ELNS0_20block_scan_algorithmE0ELj4294967295EEENS1_25partition_config_selectorILNS1_17partition_subalgoE3EjNS0_10empty_typeEbEEZZNS1_14partition_implILS8_3ELb0ES6_jNS0_17counting_iteratorIjlEEPS9_SE_NS0_5tupleIJPjSE_EEENSF_IJSE_SE_EEES9_SG_JZNS1_25segmented_radix_sort_implINS0_14default_configELb1EPKlPlSM_SN_N2at6native12_GLOBAL__N_18offset_tEEE10hipError_tPvRmT1_PNSt15iterator_traitsISV_E10value_typeET2_T3_PNSW_IS11_E10value_typeET4_jRbjT5_S17_jjP12ihipStream_tbEUljE_EEESS_ST_SU_S11_S15_S17_T6_T7_T9_mT8_S19_bDpT10_ENKUlT_T0_E_clISt17integral_constantIbLb0EES1L_IbLb1EEEEDaS1H_S1I_EUlS1H_E_NS1_11comp_targetILNS1_3genE10ELNS1_11target_archE1200ELNS1_3gpuE4ELNS1_3repE0EEENS1_30default_config_static_selectorELNS0_4arch9wavefront6targetE0EEEvSV_.has_recursion, 0
	.set _ZN7rocprim17ROCPRIM_400000_NS6detail17trampoline_kernelINS0_13select_configILj256ELj13ELNS0_17block_load_methodE3ELS4_3ELS4_3ELNS0_20block_scan_algorithmE0ELj4294967295EEENS1_25partition_config_selectorILNS1_17partition_subalgoE3EjNS0_10empty_typeEbEEZZNS1_14partition_implILS8_3ELb0ES6_jNS0_17counting_iteratorIjlEEPS9_SE_NS0_5tupleIJPjSE_EEENSF_IJSE_SE_EEES9_SG_JZNS1_25segmented_radix_sort_implINS0_14default_configELb1EPKlPlSM_SN_N2at6native12_GLOBAL__N_18offset_tEEE10hipError_tPvRmT1_PNSt15iterator_traitsISV_E10value_typeET2_T3_PNSW_IS11_E10value_typeET4_jRbjT5_S17_jjP12ihipStream_tbEUljE_EEESS_ST_SU_S11_S15_S17_T6_T7_T9_mT8_S19_bDpT10_ENKUlT_T0_E_clISt17integral_constantIbLb0EES1L_IbLb1EEEEDaS1H_S1I_EUlS1H_E_NS1_11comp_targetILNS1_3genE10ELNS1_11target_archE1200ELNS1_3gpuE4ELNS1_3repE0EEENS1_30default_config_static_selectorELNS0_4arch9wavefront6targetE0EEEvSV_.has_indirect_call, 0
	.section	.AMDGPU.csdata,"",@progbits
; Kernel info:
; codeLenInByte = 0
; TotalNumSgprs: 0
; NumVgprs: 0
; ScratchSize: 0
; MemoryBound: 0
; FloatMode: 240
; IeeeMode: 1
; LDSByteSize: 0 bytes/workgroup (compile time only)
; SGPRBlocks: 0
; VGPRBlocks: 0
; NumSGPRsForWavesPerEU: 1
; NumVGPRsForWavesPerEU: 1
; NamedBarCnt: 0
; Occupancy: 16
; WaveLimiterHint : 0
; COMPUTE_PGM_RSRC2:SCRATCH_EN: 0
; COMPUTE_PGM_RSRC2:USER_SGPR: 2
; COMPUTE_PGM_RSRC2:TRAP_HANDLER: 0
; COMPUTE_PGM_RSRC2:TGID_X_EN: 1
; COMPUTE_PGM_RSRC2:TGID_Y_EN: 0
; COMPUTE_PGM_RSRC2:TGID_Z_EN: 0
; COMPUTE_PGM_RSRC2:TIDIG_COMP_CNT: 0
	.section	.text._ZN7rocprim17ROCPRIM_400000_NS6detail17trampoline_kernelINS0_13select_configILj256ELj13ELNS0_17block_load_methodE3ELS4_3ELS4_3ELNS0_20block_scan_algorithmE0ELj4294967295EEENS1_25partition_config_selectorILNS1_17partition_subalgoE3EjNS0_10empty_typeEbEEZZNS1_14partition_implILS8_3ELb0ES6_jNS0_17counting_iteratorIjlEEPS9_SE_NS0_5tupleIJPjSE_EEENSF_IJSE_SE_EEES9_SG_JZNS1_25segmented_radix_sort_implINS0_14default_configELb1EPKlPlSM_SN_N2at6native12_GLOBAL__N_18offset_tEEE10hipError_tPvRmT1_PNSt15iterator_traitsISV_E10value_typeET2_T3_PNSW_IS11_E10value_typeET4_jRbjT5_S17_jjP12ihipStream_tbEUljE_EEESS_ST_SU_S11_S15_S17_T6_T7_T9_mT8_S19_bDpT10_ENKUlT_T0_E_clISt17integral_constantIbLb0EES1L_IbLb1EEEEDaS1H_S1I_EUlS1H_E_NS1_11comp_targetILNS1_3genE9ELNS1_11target_archE1100ELNS1_3gpuE3ELNS1_3repE0EEENS1_30default_config_static_selectorELNS0_4arch9wavefront6targetE0EEEvSV_,"axG",@progbits,_ZN7rocprim17ROCPRIM_400000_NS6detail17trampoline_kernelINS0_13select_configILj256ELj13ELNS0_17block_load_methodE3ELS4_3ELS4_3ELNS0_20block_scan_algorithmE0ELj4294967295EEENS1_25partition_config_selectorILNS1_17partition_subalgoE3EjNS0_10empty_typeEbEEZZNS1_14partition_implILS8_3ELb0ES6_jNS0_17counting_iteratorIjlEEPS9_SE_NS0_5tupleIJPjSE_EEENSF_IJSE_SE_EEES9_SG_JZNS1_25segmented_radix_sort_implINS0_14default_configELb1EPKlPlSM_SN_N2at6native12_GLOBAL__N_18offset_tEEE10hipError_tPvRmT1_PNSt15iterator_traitsISV_E10value_typeET2_T3_PNSW_IS11_E10value_typeET4_jRbjT5_S17_jjP12ihipStream_tbEUljE_EEESS_ST_SU_S11_S15_S17_T6_T7_T9_mT8_S19_bDpT10_ENKUlT_T0_E_clISt17integral_constantIbLb0EES1L_IbLb1EEEEDaS1H_S1I_EUlS1H_E_NS1_11comp_targetILNS1_3genE9ELNS1_11target_archE1100ELNS1_3gpuE3ELNS1_3repE0EEENS1_30default_config_static_selectorELNS0_4arch9wavefront6targetE0EEEvSV_,comdat
	.globl	_ZN7rocprim17ROCPRIM_400000_NS6detail17trampoline_kernelINS0_13select_configILj256ELj13ELNS0_17block_load_methodE3ELS4_3ELS4_3ELNS0_20block_scan_algorithmE0ELj4294967295EEENS1_25partition_config_selectorILNS1_17partition_subalgoE3EjNS0_10empty_typeEbEEZZNS1_14partition_implILS8_3ELb0ES6_jNS0_17counting_iteratorIjlEEPS9_SE_NS0_5tupleIJPjSE_EEENSF_IJSE_SE_EEES9_SG_JZNS1_25segmented_radix_sort_implINS0_14default_configELb1EPKlPlSM_SN_N2at6native12_GLOBAL__N_18offset_tEEE10hipError_tPvRmT1_PNSt15iterator_traitsISV_E10value_typeET2_T3_PNSW_IS11_E10value_typeET4_jRbjT5_S17_jjP12ihipStream_tbEUljE_EEESS_ST_SU_S11_S15_S17_T6_T7_T9_mT8_S19_bDpT10_ENKUlT_T0_E_clISt17integral_constantIbLb0EES1L_IbLb1EEEEDaS1H_S1I_EUlS1H_E_NS1_11comp_targetILNS1_3genE9ELNS1_11target_archE1100ELNS1_3gpuE3ELNS1_3repE0EEENS1_30default_config_static_selectorELNS0_4arch9wavefront6targetE0EEEvSV_ ; -- Begin function _ZN7rocprim17ROCPRIM_400000_NS6detail17trampoline_kernelINS0_13select_configILj256ELj13ELNS0_17block_load_methodE3ELS4_3ELS4_3ELNS0_20block_scan_algorithmE0ELj4294967295EEENS1_25partition_config_selectorILNS1_17partition_subalgoE3EjNS0_10empty_typeEbEEZZNS1_14partition_implILS8_3ELb0ES6_jNS0_17counting_iteratorIjlEEPS9_SE_NS0_5tupleIJPjSE_EEENSF_IJSE_SE_EEES9_SG_JZNS1_25segmented_radix_sort_implINS0_14default_configELb1EPKlPlSM_SN_N2at6native12_GLOBAL__N_18offset_tEEE10hipError_tPvRmT1_PNSt15iterator_traitsISV_E10value_typeET2_T3_PNSW_IS11_E10value_typeET4_jRbjT5_S17_jjP12ihipStream_tbEUljE_EEESS_ST_SU_S11_S15_S17_T6_T7_T9_mT8_S19_bDpT10_ENKUlT_T0_E_clISt17integral_constantIbLb0EES1L_IbLb1EEEEDaS1H_S1I_EUlS1H_E_NS1_11comp_targetILNS1_3genE9ELNS1_11target_archE1100ELNS1_3gpuE3ELNS1_3repE0EEENS1_30default_config_static_selectorELNS0_4arch9wavefront6targetE0EEEvSV_
	.p2align	8
	.type	_ZN7rocprim17ROCPRIM_400000_NS6detail17trampoline_kernelINS0_13select_configILj256ELj13ELNS0_17block_load_methodE3ELS4_3ELS4_3ELNS0_20block_scan_algorithmE0ELj4294967295EEENS1_25partition_config_selectorILNS1_17partition_subalgoE3EjNS0_10empty_typeEbEEZZNS1_14partition_implILS8_3ELb0ES6_jNS0_17counting_iteratorIjlEEPS9_SE_NS0_5tupleIJPjSE_EEENSF_IJSE_SE_EEES9_SG_JZNS1_25segmented_radix_sort_implINS0_14default_configELb1EPKlPlSM_SN_N2at6native12_GLOBAL__N_18offset_tEEE10hipError_tPvRmT1_PNSt15iterator_traitsISV_E10value_typeET2_T3_PNSW_IS11_E10value_typeET4_jRbjT5_S17_jjP12ihipStream_tbEUljE_EEESS_ST_SU_S11_S15_S17_T6_T7_T9_mT8_S19_bDpT10_ENKUlT_T0_E_clISt17integral_constantIbLb0EES1L_IbLb1EEEEDaS1H_S1I_EUlS1H_E_NS1_11comp_targetILNS1_3genE9ELNS1_11target_archE1100ELNS1_3gpuE3ELNS1_3repE0EEENS1_30default_config_static_selectorELNS0_4arch9wavefront6targetE0EEEvSV_,@function
_ZN7rocprim17ROCPRIM_400000_NS6detail17trampoline_kernelINS0_13select_configILj256ELj13ELNS0_17block_load_methodE3ELS4_3ELS4_3ELNS0_20block_scan_algorithmE0ELj4294967295EEENS1_25partition_config_selectorILNS1_17partition_subalgoE3EjNS0_10empty_typeEbEEZZNS1_14partition_implILS8_3ELb0ES6_jNS0_17counting_iteratorIjlEEPS9_SE_NS0_5tupleIJPjSE_EEENSF_IJSE_SE_EEES9_SG_JZNS1_25segmented_radix_sort_implINS0_14default_configELb1EPKlPlSM_SN_N2at6native12_GLOBAL__N_18offset_tEEE10hipError_tPvRmT1_PNSt15iterator_traitsISV_E10value_typeET2_T3_PNSW_IS11_E10value_typeET4_jRbjT5_S17_jjP12ihipStream_tbEUljE_EEESS_ST_SU_S11_S15_S17_T6_T7_T9_mT8_S19_bDpT10_ENKUlT_T0_E_clISt17integral_constantIbLb0EES1L_IbLb1EEEEDaS1H_S1I_EUlS1H_E_NS1_11comp_targetILNS1_3genE9ELNS1_11target_archE1100ELNS1_3gpuE3ELNS1_3repE0EEENS1_30default_config_static_selectorELNS0_4arch9wavefront6targetE0EEEvSV_: ; @_ZN7rocprim17ROCPRIM_400000_NS6detail17trampoline_kernelINS0_13select_configILj256ELj13ELNS0_17block_load_methodE3ELS4_3ELS4_3ELNS0_20block_scan_algorithmE0ELj4294967295EEENS1_25partition_config_selectorILNS1_17partition_subalgoE3EjNS0_10empty_typeEbEEZZNS1_14partition_implILS8_3ELb0ES6_jNS0_17counting_iteratorIjlEEPS9_SE_NS0_5tupleIJPjSE_EEENSF_IJSE_SE_EEES9_SG_JZNS1_25segmented_radix_sort_implINS0_14default_configELb1EPKlPlSM_SN_N2at6native12_GLOBAL__N_18offset_tEEE10hipError_tPvRmT1_PNSt15iterator_traitsISV_E10value_typeET2_T3_PNSW_IS11_E10value_typeET4_jRbjT5_S17_jjP12ihipStream_tbEUljE_EEESS_ST_SU_S11_S15_S17_T6_T7_T9_mT8_S19_bDpT10_ENKUlT_T0_E_clISt17integral_constantIbLb0EES1L_IbLb1EEEEDaS1H_S1I_EUlS1H_E_NS1_11comp_targetILNS1_3genE9ELNS1_11target_archE1100ELNS1_3gpuE3ELNS1_3repE0EEENS1_30default_config_static_selectorELNS0_4arch9wavefront6targetE0EEEvSV_
; %bb.0:
	.section	.rodata,"a",@progbits
	.p2align	6, 0x0
	.amdhsa_kernel _ZN7rocprim17ROCPRIM_400000_NS6detail17trampoline_kernelINS0_13select_configILj256ELj13ELNS0_17block_load_methodE3ELS4_3ELS4_3ELNS0_20block_scan_algorithmE0ELj4294967295EEENS1_25partition_config_selectorILNS1_17partition_subalgoE3EjNS0_10empty_typeEbEEZZNS1_14partition_implILS8_3ELb0ES6_jNS0_17counting_iteratorIjlEEPS9_SE_NS0_5tupleIJPjSE_EEENSF_IJSE_SE_EEES9_SG_JZNS1_25segmented_radix_sort_implINS0_14default_configELb1EPKlPlSM_SN_N2at6native12_GLOBAL__N_18offset_tEEE10hipError_tPvRmT1_PNSt15iterator_traitsISV_E10value_typeET2_T3_PNSW_IS11_E10value_typeET4_jRbjT5_S17_jjP12ihipStream_tbEUljE_EEESS_ST_SU_S11_S15_S17_T6_T7_T9_mT8_S19_bDpT10_ENKUlT_T0_E_clISt17integral_constantIbLb0EES1L_IbLb1EEEEDaS1H_S1I_EUlS1H_E_NS1_11comp_targetILNS1_3genE9ELNS1_11target_archE1100ELNS1_3gpuE3ELNS1_3repE0EEENS1_30default_config_static_selectorELNS0_4arch9wavefront6targetE0EEEvSV_
		.amdhsa_group_segment_fixed_size 0
		.amdhsa_private_segment_fixed_size 0
		.amdhsa_kernarg_size 152
		.amdhsa_user_sgpr_count 2
		.amdhsa_user_sgpr_dispatch_ptr 0
		.amdhsa_user_sgpr_queue_ptr 0
		.amdhsa_user_sgpr_kernarg_segment_ptr 1
		.amdhsa_user_sgpr_dispatch_id 0
		.amdhsa_user_sgpr_kernarg_preload_length 0
		.amdhsa_user_sgpr_kernarg_preload_offset 0
		.amdhsa_user_sgpr_private_segment_size 0
		.amdhsa_wavefront_size32 1
		.amdhsa_uses_dynamic_stack 0
		.amdhsa_enable_private_segment 0
		.amdhsa_system_sgpr_workgroup_id_x 1
		.amdhsa_system_sgpr_workgroup_id_y 0
		.amdhsa_system_sgpr_workgroup_id_z 0
		.amdhsa_system_sgpr_workgroup_info 0
		.amdhsa_system_vgpr_workitem_id 0
		.amdhsa_next_free_vgpr 1
		.amdhsa_next_free_sgpr 1
		.amdhsa_named_barrier_count 0
		.amdhsa_reserve_vcc 0
		.amdhsa_float_round_mode_32 0
		.amdhsa_float_round_mode_16_64 0
		.amdhsa_float_denorm_mode_32 3
		.amdhsa_float_denorm_mode_16_64 3
		.amdhsa_fp16_overflow 0
		.amdhsa_memory_ordered 1
		.amdhsa_forward_progress 1
		.amdhsa_inst_pref_size 0
		.amdhsa_round_robin_scheduling 0
		.amdhsa_exception_fp_ieee_invalid_op 0
		.amdhsa_exception_fp_denorm_src 0
		.amdhsa_exception_fp_ieee_div_zero 0
		.amdhsa_exception_fp_ieee_overflow 0
		.amdhsa_exception_fp_ieee_underflow 0
		.amdhsa_exception_fp_ieee_inexact 0
		.amdhsa_exception_int_div_zero 0
	.end_amdhsa_kernel
	.section	.text._ZN7rocprim17ROCPRIM_400000_NS6detail17trampoline_kernelINS0_13select_configILj256ELj13ELNS0_17block_load_methodE3ELS4_3ELS4_3ELNS0_20block_scan_algorithmE0ELj4294967295EEENS1_25partition_config_selectorILNS1_17partition_subalgoE3EjNS0_10empty_typeEbEEZZNS1_14partition_implILS8_3ELb0ES6_jNS0_17counting_iteratorIjlEEPS9_SE_NS0_5tupleIJPjSE_EEENSF_IJSE_SE_EEES9_SG_JZNS1_25segmented_radix_sort_implINS0_14default_configELb1EPKlPlSM_SN_N2at6native12_GLOBAL__N_18offset_tEEE10hipError_tPvRmT1_PNSt15iterator_traitsISV_E10value_typeET2_T3_PNSW_IS11_E10value_typeET4_jRbjT5_S17_jjP12ihipStream_tbEUljE_EEESS_ST_SU_S11_S15_S17_T6_T7_T9_mT8_S19_bDpT10_ENKUlT_T0_E_clISt17integral_constantIbLb0EES1L_IbLb1EEEEDaS1H_S1I_EUlS1H_E_NS1_11comp_targetILNS1_3genE9ELNS1_11target_archE1100ELNS1_3gpuE3ELNS1_3repE0EEENS1_30default_config_static_selectorELNS0_4arch9wavefront6targetE0EEEvSV_,"axG",@progbits,_ZN7rocprim17ROCPRIM_400000_NS6detail17trampoline_kernelINS0_13select_configILj256ELj13ELNS0_17block_load_methodE3ELS4_3ELS4_3ELNS0_20block_scan_algorithmE0ELj4294967295EEENS1_25partition_config_selectorILNS1_17partition_subalgoE3EjNS0_10empty_typeEbEEZZNS1_14partition_implILS8_3ELb0ES6_jNS0_17counting_iteratorIjlEEPS9_SE_NS0_5tupleIJPjSE_EEENSF_IJSE_SE_EEES9_SG_JZNS1_25segmented_radix_sort_implINS0_14default_configELb1EPKlPlSM_SN_N2at6native12_GLOBAL__N_18offset_tEEE10hipError_tPvRmT1_PNSt15iterator_traitsISV_E10value_typeET2_T3_PNSW_IS11_E10value_typeET4_jRbjT5_S17_jjP12ihipStream_tbEUljE_EEESS_ST_SU_S11_S15_S17_T6_T7_T9_mT8_S19_bDpT10_ENKUlT_T0_E_clISt17integral_constantIbLb0EES1L_IbLb1EEEEDaS1H_S1I_EUlS1H_E_NS1_11comp_targetILNS1_3genE9ELNS1_11target_archE1100ELNS1_3gpuE3ELNS1_3repE0EEENS1_30default_config_static_selectorELNS0_4arch9wavefront6targetE0EEEvSV_,comdat
.Lfunc_end698:
	.size	_ZN7rocprim17ROCPRIM_400000_NS6detail17trampoline_kernelINS0_13select_configILj256ELj13ELNS0_17block_load_methodE3ELS4_3ELS4_3ELNS0_20block_scan_algorithmE0ELj4294967295EEENS1_25partition_config_selectorILNS1_17partition_subalgoE3EjNS0_10empty_typeEbEEZZNS1_14partition_implILS8_3ELb0ES6_jNS0_17counting_iteratorIjlEEPS9_SE_NS0_5tupleIJPjSE_EEENSF_IJSE_SE_EEES9_SG_JZNS1_25segmented_radix_sort_implINS0_14default_configELb1EPKlPlSM_SN_N2at6native12_GLOBAL__N_18offset_tEEE10hipError_tPvRmT1_PNSt15iterator_traitsISV_E10value_typeET2_T3_PNSW_IS11_E10value_typeET4_jRbjT5_S17_jjP12ihipStream_tbEUljE_EEESS_ST_SU_S11_S15_S17_T6_T7_T9_mT8_S19_bDpT10_ENKUlT_T0_E_clISt17integral_constantIbLb0EES1L_IbLb1EEEEDaS1H_S1I_EUlS1H_E_NS1_11comp_targetILNS1_3genE9ELNS1_11target_archE1100ELNS1_3gpuE3ELNS1_3repE0EEENS1_30default_config_static_selectorELNS0_4arch9wavefront6targetE0EEEvSV_, .Lfunc_end698-_ZN7rocprim17ROCPRIM_400000_NS6detail17trampoline_kernelINS0_13select_configILj256ELj13ELNS0_17block_load_methodE3ELS4_3ELS4_3ELNS0_20block_scan_algorithmE0ELj4294967295EEENS1_25partition_config_selectorILNS1_17partition_subalgoE3EjNS0_10empty_typeEbEEZZNS1_14partition_implILS8_3ELb0ES6_jNS0_17counting_iteratorIjlEEPS9_SE_NS0_5tupleIJPjSE_EEENSF_IJSE_SE_EEES9_SG_JZNS1_25segmented_radix_sort_implINS0_14default_configELb1EPKlPlSM_SN_N2at6native12_GLOBAL__N_18offset_tEEE10hipError_tPvRmT1_PNSt15iterator_traitsISV_E10value_typeET2_T3_PNSW_IS11_E10value_typeET4_jRbjT5_S17_jjP12ihipStream_tbEUljE_EEESS_ST_SU_S11_S15_S17_T6_T7_T9_mT8_S19_bDpT10_ENKUlT_T0_E_clISt17integral_constantIbLb0EES1L_IbLb1EEEEDaS1H_S1I_EUlS1H_E_NS1_11comp_targetILNS1_3genE9ELNS1_11target_archE1100ELNS1_3gpuE3ELNS1_3repE0EEENS1_30default_config_static_selectorELNS0_4arch9wavefront6targetE0EEEvSV_
                                        ; -- End function
	.set _ZN7rocprim17ROCPRIM_400000_NS6detail17trampoline_kernelINS0_13select_configILj256ELj13ELNS0_17block_load_methodE3ELS4_3ELS4_3ELNS0_20block_scan_algorithmE0ELj4294967295EEENS1_25partition_config_selectorILNS1_17partition_subalgoE3EjNS0_10empty_typeEbEEZZNS1_14partition_implILS8_3ELb0ES6_jNS0_17counting_iteratorIjlEEPS9_SE_NS0_5tupleIJPjSE_EEENSF_IJSE_SE_EEES9_SG_JZNS1_25segmented_radix_sort_implINS0_14default_configELb1EPKlPlSM_SN_N2at6native12_GLOBAL__N_18offset_tEEE10hipError_tPvRmT1_PNSt15iterator_traitsISV_E10value_typeET2_T3_PNSW_IS11_E10value_typeET4_jRbjT5_S17_jjP12ihipStream_tbEUljE_EEESS_ST_SU_S11_S15_S17_T6_T7_T9_mT8_S19_bDpT10_ENKUlT_T0_E_clISt17integral_constantIbLb0EES1L_IbLb1EEEEDaS1H_S1I_EUlS1H_E_NS1_11comp_targetILNS1_3genE9ELNS1_11target_archE1100ELNS1_3gpuE3ELNS1_3repE0EEENS1_30default_config_static_selectorELNS0_4arch9wavefront6targetE0EEEvSV_.num_vgpr, 0
	.set _ZN7rocprim17ROCPRIM_400000_NS6detail17trampoline_kernelINS0_13select_configILj256ELj13ELNS0_17block_load_methodE3ELS4_3ELS4_3ELNS0_20block_scan_algorithmE0ELj4294967295EEENS1_25partition_config_selectorILNS1_17partition_subalgoE3EjNS0_10empty_typeEbEEZZNS1_14partition_implILS8_3ELb0ES6_jNS0_17counting_iteratorIjlEEPS9_SE_NS0_5tupleIJPjSE_EEENSF_IJSE_SE_EEES9_SG_JZNS1_25segmented_radix_sort_implINS0_14default_configELb1EPKlPlSM_SN_N2at6native12_GLOBAL__N_18offset_tEEE10hipError_tPvRmT1_PNSt15iterator_traitsISV_E10value_typeET2_T3_PNSW_IS11_E10value_typeET4_jRbjT5_S17_jjP12ihipStream_tbEUljE_EEESS_ST_SU_S11_S15_S17_T6_T7_T9_mT8_S19_bDpT10_ENKUlT_T0_E_clISt17integral_constantIbLb0EES1L_IbLb1EEEEDaS1H_S1I_EUlS1H_E_NS1_11comp_targetILNS1_3genE9ELNS1_11target_archE1100ELNS1_3gpuE3ELNS1_3repE0EEENS1_30default_config_static_selectorELNS0_4arch9wavefront6targetE0EEEvSV_.num_agpr, 0
	.set _ZN7rocprim17ROCPRIM_400000_NS6detail17trampoline_kernelINS0_13select_configILj256ELj13ELNS0_17block_load_methodE3ELS4_3ELS4_3ELNS0_20block_scan_algorithmE0ELj4294967295EEENS1_25partition_config_selectorILNS1_17partition_subalgoE3EjNS0_10empty_typeEbEEZZNS1_14partition_implILS8_3ELb0ES6_jNS0_17counting_iteratorIjlEEPS9_SE_NS0_5tupleIJPjSE_EEENSF_IJSE_SE_EEES9_SG_JZNS1_25segmented_radix_sort_implINS0_14default_configELb1EPKlPlSM_SN_N2at6native12_GLOBAL__N_18offset_tEEE10hipError_tPvRmT1_PNSt15iterator_traitsISV_E10value_typeET2_T3_PNSW_IS11_E10value_typeET4_jRbjT5_S17_jjP12ihipStream_tbEUljE_EEESS_ST_SU_S11_S15_S17_T6_T7_T9_mT8_S19_bDpT10_ENKUlT_T0_E_clISt17integral_constantIbLb0EES1L_IbLb1EEEEDaS1H_S1I_EUlS1H_E_NS1_11comp_targetILNS1_3genE9ELNS1_11target_archE1100ELNS1_3gpuE3ELNS1_3repE0EEENS1_30default_config_static_selectorELNS0_4arch9wavefront6targetE0EEEvSV_.numbered_sgpr, 0
	.set _ZN7rocprim17ROCPRIM_400000_NS6detail17trampoline_kernelINS0_13select_configILj256ELj13ELNS0_17block_load_methodE3ELS4_3ELS4_3ELNS0_20block_scan_algorithmE0ELj4294967295EEENS1_25partition_config_selectorILNS1_17partition_subalgoE3EjNS0_10empty_typeEbEEZZNS1_14partition_implILS8_3ELb0ES6_jNS0_17counting_iteratorIjlEEPS9_SE_NS0_5tupleIJPjSE_EEENSF_IJSE_SE_EEES9_SG_JZNS1_25segmented_radix_sort_implINS0_14default_configELb1EPKlPlSM_SN_N2at6native12_GLOBAL__N_18offset_tEEE10hipError_tPvRmT1_PNSt15iterator_traitsISV_E10value_typeET2_T3_PNSW_IS11_E10value_typeET4_jRbjT5_S17_jjP12ihipStream_tbEUljE_EEESS_ST_SU_S11_S15_S17_T6_T7_T9_mT8_S19_bDpT10_ENKUlT_T0_E_clISt17integral_constantIbLb0EES1L_IbLb1EEEEDaS1H_S1I_EUlS1H_E_NS1_11comp_targetILNS1_3genE9ELNS1_11target_archE1100ELNS1_3gpuE3ELNS1_3repE0EEENS1_30default_config_static_selectorELNS0_4arch9wavefront6targetE0EEEvSV_.num_named_barrier, 0
	.set _ZN7rocprim17ROCPRIM_400000_NS6detail17trampoline_kernelINS0_13select_configILj256ELj13ELNS0_17block_load_methodE3ELS4_3ELS4_3ELNS0_20block_scan_algorithmE0ELj4294967295EEENS1_25partition_config_selectorILNS1_17partition_subalgoE3EjNS0_10empty_typeEbEEZZNS1_14partition_implILS8_3ELb0ES6_jNS0_17counting_iteratorIjlEEPS9_SE_NS0_5tupleIJPjSE_EEENSF_IJSE_SE_EEES9_SG_JZNS1_25segmented_radix_sort_implINS0_14default_configELb1EPKlPlSM_SN_N2at6native12_GLOBAL__N_18offset_tEEE10hipError_tPvRmT1_PNSt15iterator_traitsISV_E10value_typeET2_T3_PNSW_IS11_E10value_typeET4_jRbjT5_S17_jjP12ihipStream_tbEUljE_EEESS_ST_SU_S11_S15_S17_T6_T7_T9_mT8_S19_bDpT10_ENKUlT_T0_E_clISt17integral_constantIbLb0EES1L_IbLb1EEEEDaS1H_S1I_EUlS1H_E_NS1_11comp_targetILNS1_3genE9ELNS1_11target_archE1100ELNS1_3gpuE3ELNS1_3repE0EEENS1_30default_config_static_selectorELNS0_4arch9wavefront6targetE0EEEvSV_.private_seg_size, 0
	.set _ZN7rocprim17ROCPRIM_400000_NS6detail17trampoline_kernelINS0_13select_configILj256ELj13ELNS0_17block_load_methodE3ELS4_3ELS4_3ELNS0_20block_scan_algorithmE0ELj4294967295EEENS1_25partition_config_selectorILNS1_17partition_subalgoE3EjNS0_10empty_typeEbEEZZNS1_14partition_implILS8_3ELb0ES6_jNS0_17counting_iteratorIjlEEPS9_SE_NS0_5tupleIJPjSE_EEENSF_IJSE_SE_EEES9_SG_JZNS1_25segmented_radix_sort_implINS0_14default_configELb1EPKlPlSM_SN_N2at6native12_GLOBAL__N_18offset_tEEE10hipError_tPvRmT1_PNSt15iterator_traitsISV_E10value_typeET2_T3_PNSW_IS11_E10value_typeET4_jRbjT5_S17_jjP12ihipStream_tbEUljE_EEESS_ST_SU_S11_S15_S17_T6_T7_T9_mT8_S19_bDpT10_ENKUlT_T0_E_clISt17integral_constantIbLb0EES1L_IbLb1EEEEDaS1H_S1I_EUlS1H_E_NS1_11comp_targetILNS1_3genE9ELNS1_11target_archE1100ELNS1_3gpuE3ELNS1_3repE0EEENS1_30default_config_static_selectorELNS0_4arch9wavefront6targetE0EEEvSV_.uses_vcc, 0
	.set _ZN7rocprim17ROCPRIM_400000_NS6detail17trampoline_kernelINS0_13select_configILj256ELj13ELNS0_17block_load_methodE3ELS4_3ELS4_3ELNS0_20block_scan_algorithmE0ELj4294967295EEENS1_25partition_config_selectorILNS1_17partition_subalgoE3EjNS0_10empty_typeEbEEZZNS1_14partition_implILS8_3ELb0ES6_jNS0_17counting_iteratorIjlEEPS9_SE_NS0_5tupleIJPjSE_EEENSF_IJSE_SE_EEES9_SG_JZNS1_25segmented_radix_sort_implINS0_14default_configELb1EPKlPlSM_SN_N2at6native12_GLOBAL__N_18offset_tEEE10hipError_tPvRmT1_PNSt15iterator_traitsISV_E10value_typeET2_T3_PNSW_IS11_E10value_typeET4_jRbjT5_S17_jjP12ihipStream_tbEUljE_EEESS_ST_SU_S11_S15_S17_T6_T7_T9_mT8_S19_bDpT10_ENKUlT_T0_E_clISt17integral_constantIbLb0EES1L_IbLb1EEEEDaS1H_S1I_EUlS1H_E_NS1_11comp_targetILNS1_3genE9ELNS1_11target_archE1100ELNS1_3gpuE3ELNS1_3repE0EEENS1_30default_config_static_selectorELNS0_4arch9wavefront6targetE0EEEvSV_.uses_flat_scratch, 0
	.set _ZN7rocprim17ROCPRIM_400000_NS6detail17trampoline_kernelINS0_13select_configILj256ELj13ELNS0_17block_load_methodE3ELS4_3ELS4_3ELNS0_20block_scan_algorithmE0ELj4294967295EEENS1_25partition_config_selectorILNS1_17partition_subalgoE3EjNS0_10empty_typeEbEEZZNS1_14partition_implILS8_3ELb0ES6_jNS0_17counting_iteratorIjlEEPS9_SE_NS0_5tupleIJPjSE_EEENSF_IJSE_SE_EEES9_SG_JZNS1_25segmented_radix_sort_implINS0_14default_configELb1EPKlPlSM_SN_N2at6native12_GLOBAL__N_18offset_tEEE10hipError_tPvRmT1_PNSt15iterator_traitsISV_E10value_typeET2_T3_PNSW_IS11_E10value_typeET4_jRbjT5_S17_jjP12ihipStream_tbEUljE_EEESS_ST_SU_S11_S15_S17_T6_T7_T9_mT8_S19_bDpT10_ENKUlT_T0_E_clISt17integral_constantIbLb0EES1L_IbLb1EEEEDaS1H_S1I_EUlS1H_E_NS1_11comp_targetILNS1_3genE9ELNS1_11target_archE1100ELNS1_3gpuE3ELNS1_3repE0EEENS1_30default_config_static_selectorELNS0_4arch9wavefront6targetE0EEEvSV_.has_dyn_sized_stack, 0
	.set _ZN7rocprim17ROCPRIM_400000_NS6detail17trampoline_kernelINS0_13select_configILj256ELj13ELNS0_17block_load_methodE3ELS4_3ELS4_3ELNS0_20block_scan_algorithmE0ELj4294967295EEENS1_25partition_config_selectorILNS1_17partition_subalgoE3EjNS0_10empty_typeEbEEZZNS1_14partition_implILS8_3ELb0ES6_jNS0_17counting_iteratorIjlEEPS9_SE_NS0_5tupleIJPjSE_EEENSF_IJSE_SE_EEES9_SG_JZNS1_25segmented_radix_sort_implINS0_14default_configELb1EPKlPlSM_SN_N2at6native12_GLOBAL__N_18offset_tEEE10hipError_tPvRmT1_PNSt15iterator_traitsISV_E10value_typeET2_T3_PNSW_IS11_E10value_typeET4_jRbjT5_S17_jjP12ihipStream_tbEUljE_EEESS_ST_SU_S11_S15_S17_T6_T7_T9_mT8_S19_bDpT10_ENKUlT_T0_E_clISt17integral_constantIbLb0EES1L_IbLb1EEEEDaS1H_S1I_EUlS1H_E_NS1_11comp_targetILNS1_3genE9ELNS1_11target_archE1100ELNS1_3gpuE3ELNS1_3repE0EEENS1_30default_config_static_selectorELNS0_4arch9wavefront6targetE0EEEvSV_.has_recursion, 0
	.set _ZN7rocprim17ROCPRIM_400000_NS6detail17trampoline_kernelINS0_13select_configILj256ELj13ELNS0_17block_load_methodE3ELS4_3ELS4_3ELNS0_20block_scan_algorithmE0ELj4294967295EEENS1_25partition_config_selectorILNS1_17partition_subalgoE3EjNS0_10empty_typeEbEEZZNS1_14partition_implILS8_3ELb0ES6_jNS0_17counting_iteratorIjlEEPS9_SE_NS0_5tupleIJPjSE_EEENSF_IJSE_SE_EEES9_SG_JZNS1_25segmented_radix_sort_implINS0_14default_configELb1EPKlPlSM_SN_N2at6native12_GLOBAL__N_18offset_tEEE10hipError_tPvRmT1_PNSt15iterator_traitsISV_E10value_typeET2_T3_PNSW_IS11_E10value_typeET4_jRbjT5_S17_jjP12ihipStream_tbEUljE_EEESS_ST_SU_S11_S15_S17_T6_T7_T9_mT8_S19_bDpT10_ENKUlT_T0_E_clISt17integral_constantIbLb0EES1L_IbLb1EEEEDaS1H_S1I_EUlS1H_E_NS1_11comp_targetILNS1_3genE9ELNS1_11target_archE1100ELNS1_3gpuE3ELNS1_3repE0EEENS1_30default_config_static_selectorELNS0_4arch9wavefront6targetE0EEEvSV_.has_indirect_call, 0
	.section	.AMDGPU.csdata,"",@progbits
; Kernel info:
; codeLenInByte = 0
; TotalNumSgprs: 0
; NumVgprs: 0
; ScratchSize: 0
; MemoryBound: 0
; FloatMode: 240
; IeeeMode: 1
; LDSByteSize: 0 bytes/workgroup (compile time only)
; SGPRBlocks: 0
; VGPRBlocks: 0
; NumSGPRsForWavesPerEU: 1
; NumVGPRsForWavesPerEU: 1
; NamedBarCnt: 0
; Occupancy: 16
; WaveLimiterHint : 0
; COMPUTE_PGM_RSRC2:SCRATCH_EN: 0
; COMPUTE_PGM_RSRC2:USER_SGPR: 2
; COMPUTE_PGM_RSRC2:TRAP_HANDLER: 0
; COMPUTE_PGM_RSRC2:TGID_X_EN: 1
; COMPUTE_PGM_RSRC2:TGID_Y_EN: 0
; COMPUTE_PGM_RSRC2:TGID_Z_EN: 0
; COMPUTE_PGM_RSRC2:TIDIG_COMP_CNT: 0
	.section	.text._ZN7rocprim17ROCPRIM_400000_NS6detail17trampoline_kernelINS0_13select_configILj256ELj13ELNS0_17block_load_methodE3ELS4_3ELS4_3ELNS0_20block_scan_algorithmE0ELj4294967295EEENS1_25partition_config_selectorILNS1_17partition_subalgoE3EjNS0_10empty_typeEbEEZZNS1_14partition_implILS8_3ELb0ES6_jNS0_17counting_iteratorIjlEEPS9_SE_NS0_5tupleIJPjSE_EEENSF_IJSE_SE_EEES9_SG_JZNS1_25segmented_radix_sort_implINS0_14default_configELb1EPKlPlSM_SN_N2at6native12_GLOBAL__N_18offset_tEEE10hipError_tPvRmT1_PNSt15iterator_traitsISV_E10value_typeET2_T3_PNSW_IS11_E10value_typeET4_jRbjT5_S17_jjP12ihipStream_tbEUljE_EEESS_ST_SU_S11_S15_S17_T6_T7_T9_mT8_S19_bDpT10_ENKUlT_T0_E_clISt17integral_constantIbLb0EES1L_IbLb1EEEEDaS1H_S1I_EUlS1H_E_NS1_11comp_targetILNS1_3genE8ELNS1_11target_archE1030ELNS1_3gpuE2ELNS1_3repE0EEENS1_30default_config_static_selectorELNS0_4arch9wavefront6targetE0EEEvSV_,"axG",@progbits,_ZN7rocprim17ROCPRIM_400000_NS6detail17trampoline_kernelINS0_13select_configILj256ELj13ELNS0_17block_load_methodE3ELS4_3ELS4_3ELNS0_20block_scan_algorithmE0ELj4294967295EEENS1_25partition_config_selectorILNS1_17partition_subalgoE3EjNS0_10empty_typeEbEEZZNS1_14partition_implILS8_3ELb0ES6_jNS0_17counting_iteratorIjlEEPS9_SE_NS0_5tupleIJPjSE_EEENSF_IJSE_SE_EEES9_SG_JZNS1_25segmented_radix_sort_implINS0_14default_configELb1EPKlPlSM_SN_N2at6native12_GLOBAL__N_18offset_tEEE10hipError_tPvRmT1_PNSt15iterator_traitsISV_E10value_typeET2_T3_PNSW_IS11_E10value_typeET4_jRbjT5_S17_jjP12ihipStream_tbEUljE_EEESS_ST_SU_S11_S15_S17_T6_T7_T9_mT8_S19_bDpT10_ENKUlT_T0_E_clISt17integral_constantIbLb0EES1L_IbLb1EEEEDaS1H_S1I_EUlS1H_E_NS1_11comp_targetILNS1_3genE8ELNS1_11target_archE1030ELNS1_3gpuE2ELNS1_3repE0EEENS1_30default_config_static_selectorELNS0_4arch9wavefront6targetE0EEEvSV_,comdat
	.globl	_ZN7rocprim17ROCPRIM_400000_NS6detail17trampoline_kernelINS0_13select_configILj256ELj13ELNS0_17block_load_methodE3ELS4_3ELS4_3ELNS0_20block_scan_algorithmE0ELj4294967295EEENS1_25partition_config_selectorILNS1_17partition_subalgoE3EjNS0_10empty_typeEbEEZZNS1_14partition_implILS8_3ELb0ES6_jNS0_17counting_iteratorIjlEEPS9_SE_NS0_5tupleIJPjSE_EEENSF_IJSE_SE_EEES9_SG_JZNS1_25segmented_radix_sort_implINS0_14default_configELb1EPKlPlSM_SN_N2at6native12_GLOBAL__N_18offset_tEEE10hipError_tPvRmT1_PNSt15iterator_traitsISV_E10value_typeET2_T3_PNSW_IS11_E10value_typeET4_jRbjT5_S17_jjP12ihipStream_tbEUljE_EEESS_ST_SU_S11_S15_S17_T6_T7_T9_mT8_S19_bDpT10_ENKUlT_T0_E_clISt17integral_constantIbLb0EES1L_IbLb1EEEEDaS1H_S1I_EUlS1H_E_NS1_11comp_targetILNS1_3genE8ELNS1_11target_archE1030ELNS1_3gpuE2ELNS1_3repE0EEENS1_30default_config_static_selectorELNS0_4arch9wavefront6targetE0EEEvSV_ ; -- Begin function _ZN7rocprim17ROCPRIM_400000_NS6detail17trampoline_kernelINS0_13select_configILj256ELj13ELNS0_17block_load_methodE3ELS4_3ELS4_3ELNS0_20block_scan_algorithmE0ELj4294967295EEENS1_25partition_config_selectorILNS1_17partition_subalgoE3EjNS0_10empty_typeEbEEZZNS1_14partition_implILS8_3ELb0ES6_jNS0_17counting_iteratorIjlEEPS9_SE_NS0_5tupleIJPjSE_EEENSF_IJSE_SE_EEES9_SG_JZNS1_25segmented_radix_sort_implINS0_14default_configELb1EPKlPlSM_SN_N2at6native12_GLOBAL__N_18offset_tEEE10hipError_tPvRmT1_PNSt15iterator_traitsISV_E10value_typeET2_T3_PNSW_IS11_E10value_typeET4_jRbjT5_S17_jjP12ihipStream_tbEUljE_EEESS_ST_SU_S11_S15_S17_T6_T7_T9_mT8_S19_bDpT10_ENKUlT_T0_E_clISt17integral_constantIbLb0EES1L_IbLb1EEEEDaS1H_S1I_EUlS1H_E_NS1_11comp_targetILNS1_3genE8ELNS1_11target_archE1030ELNS1_3gpuE2ELNS1_3repE0EEENS1_30default_config_static_selectorELNS0_4arch9wavefront6targetE0EEEvSV_
	.p2align	8
	.type	_ZN7rocprim17ROCPRIM_400000_NS6detail17trampoline_kernelINS0_13select_configILj256ELj13ELNS0_17block_load_methodE3ELS4_3ELS4_3ELNS0_20block_scan_algorithmE0ELj4294967295EEENS1_25partition_config_selectorILNS1_17partition_subalgoE3EjNS0_10empty_typeEbEEZZNS1_14partition_implILS8_3ELb0ES6_jNS0_17counting_iteratorIjlEEPS9_SE_NS0_5tupleIJPjSE_EEENSF_IJSE_SE_EEES9_SG_JZNS1_25segmented_radix_sort_implINS0_14default_configELb1EPKlPlSM_SN_N2at6native12_GLOBAL__N_18offset_tEEE10hipError_tPvRmT1_PNSt15iterator_traitsISV_E10value_typeET2_T3_PNSW_IS11_E10value_typeET4_jRbjT5_S17_jjP12ihipStream_tbEUljE_EEESS_ST_SU_S11_S15_S17_T6_T7_T9_mT8_S19_bDpT10_ENKUlT_T0_E_clISt17integral_constantIbLb0EES1L_IbLb1EEEEDaS1H_S1I_EUlS1H_E_NS1_11comp_targetILNS1_3genE8ELNS1_11target_archE1030ELNS1_3gpuE2ELNS1_3repE0EEENS1_30default_config_static_selectorELNS0_4arch9wavefront6targetE0EEEvSV_,@function
_ZN7rocprim17ROCPRIM_400000_NS6detail17trampoline_kernelINS0_13select_configILj256ELj13ELNS0_17block_load_methodE3ELS4_3ELS4_3ELNS0_20block_scan_algorithmE0ELj4294967295EEENS1_25partition_config_selectorILNS1_17partition_subalgoE3EjNS0_10empty_typeEbEEZZNS1_14partition_implILS8_3ELb0ES6_jNS0_17counting_iteratorIjlEEPS9_SE_NS0_5tupleIJPjSE_EEENSF_IJSE_SE_EEES9_SG_JZNS1_25segmented_radix_sort_implINS0_14default_configELb1EPKlPlSM_SN_N2at6native12_GLOBAL__N_18offset_tEEE10hipError_tPvRmT1_PNSt15iterator_traitsISV_E10value_typeET2_T3_PNSW_IS11_E10value_typeET4_jRbjT5_S17_jjP12ihipStream_tbEUljE_EEESS_ST_SU_S11_S15_S17_T6_T7_T9_mT8_S19_bDpT10_ENKUlT_T0_E_clISt17integral_constantIbLb0EES1L_IbLb1EEEEDaS1H_S1I_EUlS1H_E_NS1_11comp_targetILNS1_3genE8ELNS1_11target_archE1030ELNS1_3gpuE2ELNS1_3repE0EEENS1_30default_config_static_selectorELNS0_4arch9wavefront6targetE0EEEvSV_: ; @_ZN7rocprim17ROCPRIM_400000_NS6detail17trampoline_kernelINS0_13select_configILj256ELj13ELNS0_17block_load_methodE3ELS4_3ELS4_3ELNS0_20block_scan_algorithmE0ELj4294967295EEENS1_25partition_config_selectorILNS1_17partition_subalgoE3EjNS0_10empty_typeEbEEZZNS1_14partition_implILS8_3ELb0ES6_jNS0_17counting_iteratorIjlEEPS9_SE_NS0_5tupleIJPjSE_EEENSF_IJSE_SE_EEES9_SG_JZNS1_25segmented_radix_sort_implINS0_14default_configELb1EPKlPlSM_SN_N2at6native12_GLOBAL__N_18offset_tEEE10hipError_tPvRmT1_PNSt15iterator_traitsISV_E10value_typeET2_T3_PNSW_IS11_E10value_typeET4_jRbjT5_S17_jjP12ihipStream_tbEUljE_EEESS_ST_SU_S11_S15_S17_T6_T7_T9_mT8_S19_bDpT10_ENKUlT_T0_E_clISt17integral_constantIbLb0EES1L_IbLb1EEEEDaS1H_S1I_EUlS1H_E_NS1_11comp_targetILNS1_3genE8ELNS1_11target_archE1030ELNS1_3gpuE2ELNS1_3repE0EEENS1_30default_config_static_selectorELNS0_4arch9wavefront6targetE0EEEvSV_
; %bb.0:
	.section	.rodata,"a",@progbits
	.p2align	6, 0x0
	.amdhsa_kernel _ZN7rocprim17ROCPRIM_400000_NS6detail17trampoline_kernelINS0_13select_configILj256ELj13ELNS0_17block_load_methodE3ELS4_3ELS4_3ELNS0_20block_scan_algorithmE0ELj4294967295EEENS1_25partition_config_selectorILNS1_17partition_subalgoE3EjNS0_10empty_typeEbEEZZNS1_14partition_implILS8_3ELb0ES6_jNS0_17counting_iteratorIjlEEPS9_SE_NS0_5tupleIJPjSE_EEENSF_IJSE_SE_EEES9_SG_JZNS1_25segmented_radix_sort_implINS0_14default_configELb1EPKlPlSM_SN_N2at6native12_GLOBAL__N_18offset_tEEE10hipError_tPvRmT1_PNSt15iterator_traitsISV_E10value_typeET2_T3_PNSW_IS11_E10value_typeET4_jRbjT5_S17_jjP12ihipStream_tbEUljE_EEESS_ST_SU_S11_S15_S17_T6_T7_T9_mT8_S19_bDpT10_ENKUlT_T0_E_clISt17integral_constantIbLb0EES1L_IbLb1EEEEDaS1H_S1I_EUlS1H_E_NS1_11comp_targetILNS1_3genE8ELNS1_11target_archE1030ELNS1_3gpuE2ELNS1_3repE0EEENS1_30default_config_static_selectorELNS0_4arch9wavefront6targetE0EEEvSV_
		.amdhsa_group_segment_fixed_size 0
		.amdhsa_private_segment_fixed_size 0
		.amdhsa_kernarg_size 152
		.amdhsa_user_sgpr_count 2
		.amdhsa_user_sgpr_dispatch_ptr 0
		.amdhsa_user_sgpr_queue_ptr 0
		.amdhsa_user_sgpr_kernarg_segment_ptr 1
		.amdhsa_user_sgpr_dispatch_id 0
		.amdhsa_user_sgpr_kernarg_preload_length 0
		.amdhsa_user_sgpr_kernarg_preload_offset 0
		.amdhsa_user_sgpr_private_segment_size 0
		.amdhsa_wavefront_size32 1
		.amdhsa_uses_dynamic_stack 0
		.amdhsa_enable_private_segment 0
		.amdhsa_system_sgpr_workgroup_id_x 1
		.amdhsa_system_sgpr_workgroup_id_y 0
		.amdhsa_system_sgpr_workgroup_id_z 0
		.amdhsa_system_sgpr_workgroup_info 0
		.amdhsa_system_vgpr_workitem_id 0
		.amdhsa_next_free_vgpr 1
		.amdhsa_next_free_sgpr 1
		.amdhsa_named_barrier_count 0
		.amdhsa_reserve_vcc 0
		.amdhsa_float_round_mode_32 0
		.amdhsa_float_round_mode_16_64 0
		.amdhsa_float_denorm_mode_32 3
		.amdhsa_float_denorm_mode_16_64 3
		.amdhsa_fp16_overflow 0
		.amdhsa_memory_ordered 1
		.amdhsa_forward_progress 1
		.amdhsa_inst_pref_size 0
		.amdhsa_round_robin_scheduling 0
		.amdhsa_exception_fp_ieee_invalid_op 0
		.amdhsa_exception_fp_denorm_src 0
		.amdhsa_exception_fp_ieee_div_zero 0
		.amdhsa_exception_fp_ieee_overflow 0
		.amdhsa_exception_fp_ieee_underflow 0
		.amdhsa_exception_fp_ieee_inexact 0
		.amdhsa_exception_int_div_zero 0
	.end_amdhsa_kernel
	.section	.text._ZN7rocprim17ROCPRIM_400000_NS6detail17trampoline_kernelINS0_13select_configILj256ELj13ELNS0_17block_load_methodE3ELS4_3ELS4_3ELNS0_20block_scan_algorithmE0ELj4294967295EEENS1_25partition_config_selectorILNS1_17partition_subalgoE3EjNS0_10empty_typeEbEEZZNS1_14partition_implILS8_3ELb0ES6_jNS0_17counting_iteratorIjlEEPS9_SE_NS0_5tupleIJPjSE_EEENSF_IJSE_SE_EEES9_SG_JZNS1_25segmented_radix_sort_implINS0_14default_configELb1EPKlPlSM_SN_N2at6native12_GLOBAL__N_18offset_tEEE10hipError_tPvRmT1_PNSt15iterator_traitsISV_E10value_typeET2_T3_PNSW_IS11_E10value_typeET4_jRbjT5_S17_jjP12ihipStream_tbEUljE_EEESS_ST_SU_S11_S15_S17_T6_T7_T9_mT8_S19_bDpT10_ENKUlT_T0_E_clISt17integral_constantIbLb0EES1L_IbLb1EEEEDaS1H_S1I_EUlS1H_E_NS1_11comp_targetILNS1_3genE8ELNS1_11target_archE1030ELNS1_3gpuE2ELNS1_3repE0EEENS1_30default_config_static_selectorELNS0_4arch9wavefront6targetE0EEEvSV_,"axG",@progbits,_ZN7rocprim17ROCPRIM_400000_NS6detail17trampoline_kernelINS0_13select_configILj256ELj13ELNS0_17block_load_methodE3ELS4_3ELS4_3ELNS0_20block_scan_algorithmE0ELj4294967295EEENS1_25partition_config_selectorILNS1_17partition_subalgoE3EjNS0_10empty_typeEbEEZZNS1_14partition_implILS8_3ELb0ES6_jNS0_17counting_iteratorIjlEEPS9_SE_NS0_5tupleIJPjSE_EEENSF_IJSE_SE_EEES9_SG_JZNS1_25segmented_radix_sort_implINS0_14default_configELb1EPKlPlSM_SN_N2at6native12_GLOBAL__N_18offset_tEEE10hipError_tPvRmT1_PNSt15iterator_traitsISV_E10value_typeET2_T3_PNSW_IS11_E10value_typeET4_jRbjT5_S17_jjP12ihipStream_tbEUljE_EEESS_ST_SU_S11_S15_S17_T6_T7_T9_mT8_S19_bDpT10_ENKUlT_T0_E_clISt17integral_constantIbLb0EES1L_IbLb1EEEEDaS1H_S1I_EUlS1H_E_NS1_11comp_targetILNS1_3genE8ELNS1_11target_archE1030ELNS1_3gpuE2ELNS1_3repE0EEENS1_30default_config_static_selectorELNS0_4arch9wavefront6targetE0EEEvSV_,comdat
.Lfunc_end699:
	.size	_ZN7rocprim17ROCPRIM_400000_NS6detail17trampoline_kernelINS0_13select_configILj256ELj13ELNS0_17block_load_methodE3ELS4_3ELS4_3ELNS0_20block_scan_algorithmE0ELj4294967295EEENS1_25partition_config_selectorILNS1_17partition_subalgoE3EjNS0_10empty_typeEbEEZZNS1_14partition_implILS8_3ELb0ES6_jNS0_17counting_iteratorIjlEEPS9_SE_NS0_5tupleIJPjSE_EEENSF_IJSE_SE_EEES9_SG_JZNS1_25segmented_radix_sort_implINS0_14default_configELb1EPKlPlSM_SN_N2at6native12_GLOBAL__N_18offset_tEEE10hipError_tPvRmT1_PNSt15iterator_traitsISV_E10value_typeET2_T3_PNSW_IS11_E10value_typeET4_jRbjT5_S17_jjP12ihipStream_tbEUljE_EEESS_ST_SU_S11_S15_S17_T6_T7_T9_mT8_S19_bDpT10_ENKUlT_T0_E_clISt17integral_constantIbLb0EES1L_IbLb1EEEEDaS1H_S1I_EUlS1H_E_NS1_11comp_targetILNS1_3genE8ELNS1_11target_archE1030ELNS1_3gpuE2ELNS1_3repE0EEENS1_30default_config_static_selectorELNS0_4arch9wavefront6targetE0EEEvSV_, .Lfunc_end699-_ZN7rocprim17ROCPRIM_400000_NS6detail17trampoline_kernelINS0_13select_configILj256ELj13ELNS0_17block_load_methodE3ELS4_3ELS4_3ELNS0_20block_scan_algorithmE0ELj4294967295EEENS1_25partition_config_selectorILNS1_17partition_subalgoE3EjNS0_10empty_typeEbEEZZNS1_14partition_implILS8_3ELb0ES6_jNS0_17counting_iteratorIjlEEPS9_SE_NS0_5tupleIJPjSE_EEENSF_IJSE_SE_EEES9_SG_JZNS1_25segmented_radix_sort_implINS0_14default_configELb1EPKlPlSM_SN_N2at6native12_GLOBAL__N_18offset_tEEE10hipError_tPvRmT1_PNSt15iterator_traitsISV_E10value_typeET2_T3_PNSW_IS11_E10value_typeET4_jRbjT5_S17_jjP12ihipStream_tbEUljE_EEESS_ST_SU_S11_S15_S17_T6_T7_T9_mT8_S19_bDpT10_ENKUlT_T0_E_clISt17integral_constantIbLb0EES1L_IbLb1EEEEDaS1H_S1I_EUlS1H_E_NS1_11comp_targetILNS1_3genE8ELNS1_11target_archE1030ELNS1_3gpuE2ELNS1_3repE0EEENS1_30default_config_static_selectorELNS0_4arch9wavefront6targetE0EEEvSV_
                                        ; -- End function
	.set _ZN7rocprim17ROCPRIM_400000_NS6detail17trampoline_kernelINS0_13select_configILj256ELj13ELNS0_17block_load_methodE3ELS4_3ELS4_3ELNS0_20block_scan_algorithmE0ELj4294967295EEENS1_25partition_config_selectorILNS1_17partition_subalgoE3EjNS0_10empty_typeEbEEZZNS1_14partition_implILS8_3ELb0ES6_jNS0_17counting_iteratorIjlEEPS9_SE_NS0_5tupleIJPjSE_EEENSF_IJSE_SE_EEES9_SG_JZNS1_25segmented_radix_sort_implINS0_14default_configELb1EPKlPlSM_SN_N2at6native12_GLOBAL__N_18offset_tEEE10hipError_tPvRmT1_PNSt15iterator_traitsISV_E10value_typeET2_T3_PNSW_IS11_E10value_typeET4_jRbjT5_S17_jjP12ihipStream_tbEUljE_EEESS_ST_SU_S11_S15_S17_T6_T7_T9_mT8_S19_bDpT10_ENKUlT_T0_E_clISt17integral_constantIbLb0EES1L_IbLb1EEEEDaS1H_S1I_EUlS1H_E_NS1_11comp_targetILNS1_3genE8ELNS1_11target_archE1030ELNS1_3gpuE2ELNS1_3repE0EEENS1_30default_config_static_selectorELNS0_4arch9wavefront6targetE0EEEvSV_.num_vgpr, 0
	.set _ZN7rocprim17ROCPRIM_400000_NS6detail17trampoline_kernelINS0_13select_configILj256ELj13ELNS0_17block_load_methodE3ELS4_3ELS4_3ELNS0_20block_scan_algorithmE0ELj4294967295EEENS1_25partition_config_selectorILNS1_17partition_subalgoE3EjNS0_10empty_typeEbEEZZNS1_14partition_implILS8_3ELb0ES6_jNS0_17counting_iteratorIjlEEPS9_SE_NS0_5tupleIJPjSE_EEENSF_IJSE_SE_EEES9_SG_JZNS1_25segmented_radix_sort_implINS0_14default_configELb1EPKlPlSM_SN_N2at6native12_GLOBAL__N_18offset_tEEE10hipError_tPvRmT1_PNSt15iterator_traitsISV_E10value_typeET2_T3_PNSW_IS11_E10value_typeET4_jRbjT5_S17_jjP12ihipStream_tbEUljE_EEESS_ST_SU_S11_S15_S17_T6_T7_T9_mT8_S19_bDpT10_ENKUlT_T0_E_clISt17integral_constantIbLb0EES1L_IbLb1EEEEDaS1H_S1I_EUlS1H_E_NS1_11comp_targetILNS1_3genE8ELNS1_11target_archE1030ELNS1_3gpuE2ELNS1_3repE0EEENS1_30default_config_static_selectorELNS0_4arch9wavefront6targetE0EEEvSV_.num_agpr, 0
	.set _ZN7rocprim17ROCPRIM_400000_NS6detail17trampoline_kernelINS0_13select_configILj256ELj13ELNS0_17block_load_methodE3ELS4_3ELS4_3ELNS0_20block_scan_algorithmE0ELj4294967295EEENS1_25partition_config_selectorILNS1_17partition_subalgoE3EjNS0_10empty_typeEbEEZZNS1_14partition_implILS8_3ELb0ES6_jNS0_17counting_iteratorIjlEEPS9_SE_NS0_5tupleIJPjSE_EEENSF_IJSE_SE_EEES9_SG_JZNS1_25segmented_radix_sort_implINS0_14default_configELb1EPKlPlSM_SN_N2at6native12_GLOBAL__N_18offset_tEEE10hipError_tPvRmT1_PNSt15iterator_traitsISV_E10value_typeET2_T3_PNSW_IS11_E10value_typeET4_jRbjT5_S17_jjP12ihipStream_tbEUljE_EEESS_ST_SU_S11_S15_S17_T6_T7_T9_mT8_S19_bDpT10_ENKUlT_T0_E_clISt17integral_constantIbLb0EES1L_IbLb1EEEEDaS1H_S1I_EUlS1H_E_NS1_11comp_targetILNS1_3genE8ELNS1_11target_archE1030ELNS1_3gpuE2ELNS1_3repE0EEENS1_30default_config_static_selectorELNS0_4arch9wavefront6targetE0EEEvSV_.numbered_sgpr, 0
	.set _ZN7rocprim17ROCPRIM_400000_NS6detail17trampoline_kernelINS0_13select_configILj256ELj13ELNS0_17block_load_methodE3ELS4_3ELS4_3ELNS0_20block_scan_algorithmE0ELj4294967295EEENS1_25partition_config_selectorILNS1_17partition_subalgoE3EjNS0_10empty_typeEbEEZZNS1_14partition_implILS8_3ELb0ES6_jNS0_17counting_iteratorIjlEEPS9_SE_NS0_5tupleIJPjSE_EEENSF_IJSE_SE_EEES9_SG_JZNS1_25segmented_radix_sort_implINS0_14default_configELb1EPKlPlSM_SN_N2at6native12_GLOBAL__N_18offset_tEEE10hipError_tPvRmT1_PNSt15iterator_traitsISV_E10value_typeET2_T3_PNSW_IS11_E10value_typeET4_jRbjT5_S17_jjP12ihipStream_tbEUljE_EEESS_ST_SU_S11_S15_S17_T6_T7_T9_mT8_S19_bDpT10_ENKUlT_T0_E_clISt17integral_constantIbLb0EES1L_IbLb1EEEEDaS1H_S1I_EUlS1H_E_NS1_11comp_targetILNS1_3genE8ELNS1_11target_archE1030ELNS1_3gpuE2ELNS1_3repE0EEENS1_30default_config_static_selectorELNS0_4arch9wavefront6targetE0EEEvSV_.num_named_barrier, 0
	.set _ZN7rocprim17ROCPRIM_400000_NS6detail17trampoline_kernelINS0_13select_configILj256ELj13ELNS0_17block_load_methodE3ELS4_3ELS4_3ELNS0_20block_scan_algorithmE0ELj4294967295EEENS1_25partition_config_selectorILNS1_17partition_subalgoE3EjNS0_10empty_typeEbEEZZNS1_14partition_implILS8_3ELb0ES6_jNS0_17counting_iteratorIjlEEPS9_SE_NS0_5tupleIJPjSE_EEENSF_IJSE_SE_EEES9_SG_JZNS1_25segmented_radix_sort_implINS0_14default_configELb1EPKlPlSM_SN_N2at6native12_GLOBAL__N_18offset_tEEE10hipError_tPvRmT1_PNSt15iterator_traitsISV_E10value_typeET2_T3_PNSW_IS11_E10value_typeET4_jRbjT5_S17_jjP12ihipStream_tbEUljE_EEESS_ST_SU_S11_S15_S17_T6_T7_T9_mT8_S19_bDpT10_ENKUlT_T0_E_clISt17integral_constantIbLb0EES1L_IbLb1EEEEDaS1H_S1I_EUlS1H_E_NS1_11comp_targetILNS1_3genE8ELNS1_11target_archE1030ELNS1_3gpuE2ELNS1_3repE0EEENS1_30default_config_static_selectorELNS0_4arch9wavefront6targetE0EEEvSV_.private_seg_size, 0
	.set _ZN7rocprim17ROCPRIM_400000_NS6detail17trampoline_kernelINS0_13select_configILj256ELj13ELNS0_17block_load_methodE3ELS4_3ELS4_3ELNS0_20block_scan_algorithmE0ELj4294967295EEENS1_25partition_config_selectorILNS1_17partition_subalgoE3EjNS0_10empty_typeEbEEZZNS1_14partition_implILS8_3ELb0ES6_jNS0_17counting_iteratorIjlEEPS9_SE_NS0_5tupleIJPjSE_EEENSF_IJSE_SE_EEES9_SG_JZNS1_25segmented_radix_sort_implINS0_14default_configELb1EPKlPlSM_SN_N2at6native12_GLOBAL__N_18offset_tEEE10hipError_tPvRmT1_PNSt15iterator_traitsISV_E10value_typeET2_T3_PNSW_IS11_E10value_typeET4_jRbjT5_S17_jjP12ihipStream_tbEUljE_EEESS_ST_SU_S11_S15_S17_T6_T7_T9_mT8_S19_bDpT10_ENKUlT_T0_E_clISt17integral_constantIbLb0EES1L_IbLb1EEEEDaS1H_S1I_EUlS1H_E_NS1_11comp_targetILNS1_3genE8ELNS1_11target_archE1030ELNS1_3gpuE2ELNS1_3repE0EEENS1_30default_config_static_selectorELNS0_4arch9wavefront6targetE0EEEvSV_.uses_vcc, 0
	.set _ZN7rocprim17ROCPRIM_400000_NS6detail17trampoline_kernelINS0_13select_configILj256ELj13ELNS0_17block_load_methodE3ELS4_3ELS4_3ELNS0_20block_scan_algorithmE0ELj4294967295EEENS1_25partition_config_selectorILNS1_17partition_subalgoE3EjNS0_10empty_typeEbEEZZNS1_14partition_implILS8_3ELb0ES6_jNS0_17counting_iteratorIjlEEPS9_SE_NS0_5tupleIJPjSE_EEENSF_IJSE_SE_EEES9_SG_JZNS1_25segmented_radix_sort_implINS0_14default_configELb1EPKlPlSM_SN_N2at6native12_GLOBAL__N_18offset_tEEE10hipError_tPvRmT1_PNSt15iterator_traitsISV_E10value_typeET2_T3_PNSW_IS11_E10value_typeET4_jRbjT5_S17_jjP12ihipStream_tbEUljE_EEESS_ST_SU_S11_S15_S17_T6_T7_T9_mT8_S19_bDpT10_ENKUlT_T0_E_clISt17integral_constantIbLb0EES1L_IbLb1EEEEDaS1H_S1I_EUlS1H_E_NS1_11comp_targetILNS1_3genE8ELNS1_11target_archE1030ELNS1_3gpuE2ELNS1_3repE0EEENS1_30default_config_static_selectorELNS0_4arch9wavefront6targetE0EEEvSV_.uses_flat_scratch, 0
	.set _ZN7rocprim17ROCPRIM_400000_NS6detail17trampoline_kernelINS0_13select_configILj256ELj13ELNS0_17block_load_methodE3ELS4_3ELS4_3ELNS0_20block_scan_algorithmE0ELj4294967295EEENS1_25partition_config_selectorILNS1_17partition_subalgoE3EjNS0_10empty_typeEbEEZZNS1_14partition_implILS8_3ELb0ES6_jNS0_17counting_iteratorIjlEEPS9_SE_NS0_5tupleIJPjSE_EEENSF_IJSE_SE_EEES9_SG_JZNS1_25segmented_radix_sort_implINS0_14default_configELb1EPKlPlSM_SN_N2at6native12_GLOBAL__N_18offset_tEEE10hipError_tPvRmT1_PNSt15iterator_traitsISV_E10value_typeET2_T3_PNSW_IS11_E10value_typeET4_jRbjT5_S17_jjP12ihipStream_tbEUljE_EEESS_ST_SU_S11_S15_S17_T6_T7_T9_mT8_S19_bDpT10_ENKUlT_T0_E_clISt17integral_constantIbLb0EES1L_IbLb1EEEEDaS1H_S1I_EUlS1H_E_NS1_11comp_targetILNS1_3genE8ELNS1_11target_archE1030ELNS1_3gpuE2ELNS1_3repE0EEENS1_30default_config_static_selectorELNS0_4arch9wavefront6targetE0EEEvSV_.has_dyn_sized_stack, 0
	.set _ZN7rocprim17ROCPRIM_400000_NS6detail17trampoline_kernelINS0_13select_configILj256ELj13ELNS0_17block_load_methodE3ELS4_3ELS4_3ELNS0_20block_scan_algorithmE0ELj4294967295EEENS1_25partition_config_selectorILNS1_17partition_subalgoE3EjNS0_10empty_typeEbEEZZNS1_14partition_implILS8_3ELb0ES6_jNS0_17counting_iteratorIjlEEPS9_SE_NS0_5tupleIJPjSE_EEENSF_IJSE_SE_EEES9_SG_JZNS1_25segmented_radix_sort_implINS0_14default_configELb1EPKlPlSM_SN_N2at6native12_GLOBAL__N_18offset_tEEE10hipError_tPvRmT1_PNSt15iterator_traitsISV_E10value_typeET2_T3_PNSW_IS11_E10value_typeET4_jRbjT5_S17_jjP12ihipStream_tbEUljE_EEESS_ST_SU_S11_S15_S17_T6_T7_T9_mT8_S19_bDpT10_ENKUlT_T0_E_clISt17integral_constantIbLb0EES1L_IbLb1EEEEDaS1H_S1I_EUlS1H_E_NS1_11comp_targetILNS1_3genE8ELNS1_11target_archE1030ELNS1_3gpuE2ELNS1_3repE0EEENS1_30default_config_static_selectorELNS0_4arch9wavefront6targetE0EEEvSV_.has_recursion, 0
	.set _ZN7rocprim17ROCPRIM_400000_NS6detail17trampoline_kernelINS0_13select_configILj256ELj13ELNS0_17block_load_methodE3ELS4_3ELS4_3ELNS0_20block_scan_algorithmE0ELj4294967295EEENS1_25partition_config_selectorILNS1_17partition_subalgoE3EjNS0_10empty_typeEbEEZZNS1_14partition_implILS8_3ELb0ES6_jNS0_17counting_iteratorIjlEEPS9_SE_NS0_5tupleIJPjSE_EEENSF_IJSE_SE_EEES9_SG_JZNS1_25segmented_radix_sort_implINS0_14default_configELb1EPKlPlSM_SN_N2at6native12_GLOBAL__N_18offset_tEEE10hipError_tPvRmT1_PNSt15iterator_traitsISV_E10value_typeET2_T3_PNSW_IS11_E10value_typeET4_jRbjT5_S17_jjP12ihipStream_tbEUljE_EEESS_ST_SU_S11_S15_S17_T6_T7_T9_mT8_S19_bDpT10_ENKUlT_T0_E_clISt17integral_constantIbLb0EES1L_IbLb1EEEEDaS1H_S1I_EUlS1H_E_NS1_11comp_targetILNS1_3genE8ELNS1_11target_archE1030ELNS1_3gpuE2ELNS1_3repE0EEENS1_30default_config_static_selectorELNS0_4arch9wavefront6targetE0EEEvSV_.has_indirect_call, 0
	.section	.AMDGPU.csdata,"",@progbits
; Kernel info:
; codeLenInByte = 0
; TotalNumSgprs: 0
; NumVgprs: 0
; ScratchSize: 0
; MemoryBound: 0
; FloatMode: 240
; IeeeMode: 1
; LDSByteSize: 0 bytes/workgroup (compile time only)
; SGPRBlocks: 0
; VGPRBlocks: 0
; NumSGPRsForWavesPerEU: 1
; NumVGPRsForWavesPerEU: 1
; NamedBarCnt: 0
; Occupancy: 16
; WaveLimiterHint : 0
; COMPUTE_PGM_RSRC2:SCRATCH_EN: 0
; COMPUTE_PGM_RSRC2:USER_SGPR: 2
; COMPUTE_PGM_RSRC2:TRAP_HANDLER: 0
; COMPUTE_PGM_RSRC2:TGID_X_EN: 1
; COMPUTE_PGM_RSRC2:TGID_Y_EN: 0
; COMPUTE_PGM_RSRC2:TGID_Z_EN: 0
; COMPUTE_PGM_RSRC2:TIDIG_COMP_CNT: 0
	.text
	.p2align	2                               ; -- Begin function _ZN7rocprim17ROCPRIM_400000_NS6detail40segmented_radix_sort_single_block_helperIllLj256ELj16ELb1EE4sortIPKlPlS6_S7_EEbT_T0_T1_T2_jjjjRNS3_12storage_typeE
	.type	_ZN7rocprim17ROCPRIM_400000_NS6detail40segmented_radix_sort_single_block_helperIllLj256ELj16ELb1EE4sortIPKlPlS6_S7_EEbT_T0_T1_T2_jjjjRNS3_12storage_typeE,@function
_ZN7rocprim17ROCPRIM_400000_NS6detail40segmented_radix_sort_single_block_helperIllLj256ELj16ELb1EE4sortIPKlPlS6_S7_EEbT_T0_T1_T2_jjjjRNS3_12storage_typeE: ; @_ZN7rocprim17ROCPRIM_400000_NS6detail40segmented_radix_sort_single_block_helperIllLj256ELj16ELb1EE4sortIPKlPlS6_S7_EEbT_T0_T1_T2_jjjjRNS3_12storage_typeE
; %bb.0:
	s_wait_loadcnt_dscnt 0x0
	s_wait_kmcnt 0x0
	s_set_vgpr_msb 64                       ;  msbs: dst=1 src0=0 src1=0 src2=0
	v_sub_nc_u32_e32 v34 /*v290*/, v9, v8
	s_mov_b32 s20, exec_lo
	s_set_vgpr_msb 4                        ;  msbs: dst=0 src0=0 src1=1 src2=0
	s_delay_alu instid0(VALU_DEP_1)
	v_cmpx_gt_u32_e32 0x1001, v34 /*v290*/
	s_set_vgpr_msb 0                        ;  msbs: dst=0 src0=0 src1=0 src2=0
	s_cbranch_execz .LBB700_372
; %bb.1:
	v_bfe_u32 v9, v31, 10, 10
	v_bfe_u32 v14, v31, 20, 10
	v_and_b32_e32 v22, 0x3ff, v31
	v_mbcnt_lo_u32_b32 v34, -1, 0
	s_getreg_b32 s21, hwreg(HW_REG_IB_STS2, 6, 4)
	s_mov_b32 s0, exec_lo
	s_set_vgpr_msb 4                        ;  msbs: dst=0 src0=0 src1=1 src2=0
	v_cmpx_lt_u32_e32 0x800, v34 /*v290*/
	s_xor_b32 s19, exec_lo, s0
	s_set_vgpr_msb 0                        ;  msbs: dst=0 src0=0 src1=0 src2=0
	s_cbranch_execz .LBB700_143
; %bb.2:
	s_load_b64 s[0:1], s[8:9], 0x0
	s_bfe_u32 s3, ttmp6, 0x4000c
	s_bfe_u32 s5, ttmp6, 0x40010
	s_and_b32 s4, ttmp7, 0xffff
	s_add_co_i32 s3, s3, 1
	s_add_co_i32 s5, s5, 1
	s_and_b32 s2, ttmp6, 15
	s_bfe_u32 s6, ttmp6, 0x40004
	s_mul_i32 s3, ttmp9, s3
	s_mul_i32 s5, s4, s5
	s_add_co_i32 s2, s2, s3
	s_add_co_i32 s6, s6, s5
	s_cmp_eq_u32 s21, 0
	v_mov_b64_e32 v[130:131], -1
	s_cselect_b32 s2, ttmp9, s2
	s_cselect_b32 s3, s4, s6
	v_mov_b64_e32 v[132:133], -1
	s_wait_kmcnt 0x0
	s_cmp_lt_u32 s2, s0
	s_cselect_b32 s0, 12, 18
	s_cmp_lt_u32 s3, s1
	s_mov_b32 s1, 0
	s_cselect_b32 s2, 14, 20
	s_mov_b32 s3, s1
	s_add_nc_u64 s[0:1], s[8:9], s[0:1]
	s_add_nc_u64 s[2:3], s[8:9], s[2:3]
	s_clause 0x1
	s_load_u16 s0, s[0:1], 0x0
	s_nop 0
	s_load_u16 s2, s[2:3], 0x0
	s_wait_kmcnt 0x0
	v_mad_u32_u24 v9, v14, s2, v9
	s_delay_alu instid0(VALU_DEP_1) | instskip(NEXT) | instid1(VALU_DEP_1)
	v_mad_u32 v38, v9, s0, v22
	v_dual_mov_b32 v9, 0 :: v_dual_lshlrev_b32 v14, 4, v38
	s_delay_alu instid0(VALU_DEP_1) | instskip(SKIP_1) | instid1(VALU_DEP_3)
	v_lshl_add_u64 v[16:17], v[8:9], 3, v[0:1]
	v_dual_mov_b32 v1, v9 :: v_dual_lshlrev_b32 v0, 3, v34
	v_and_b32_e32 v14, 0xfffffe00, v14
	v_mov_b32_e32 v15, v9
	s_delay_alu instid0(VALU_DEP_3) | instskip(NEXT) | instid1(VALU_DEP_3)
	v_add_nc_u64_e32 v[16:17], v[16:17], v[0:1]
	v_or_b32_e32 v1, v14, v34
	s_delay_alu instid0(VALU_DEP_2) | instskip(SKIP_1) | instid1(VALU_DEP_2)
	v_lshl_add_u64 v[16:17], v[14:15], 3, v[16:17]
	s_set_vgpr_msb 4                        ;  msbs: dst=0 src0=0 src1=1 src2=0
	v_cmp_lt_u32_e32 vcc_lo, v1, v34 /*v290*/
	s_and_saveexec_b32 s0, vcc_lo
	s_set_vgpr_msb 0                        ;  msbs: dst=0 src0=0 src1=0 src2=0
	s_cbranch_execz .LBB700_4
; %bb.3:
	flat_load_b64 v[18:19], v[16:17]
	s_wait_loadcnt_dscnt 0x0
	v_xor_b32_e32 v133, 0x7fffffff, v19
	v_not_b32_e32 v132, v18
.LBB700_4:
	s_wait_xcnt 0x0
	s_or_b32 exec_lo, exec_lo, s0
	v_or_b32_e32 v18, 32, v1
	s_set_vgpr_msb 4                        ;  msbs: dst=0 src0=0 src1=1 src2=0
	s_delay_alu instid0(VALU_DEP_1)
	v_cmp_lt_u32_e64 s0, v18, v34 /*v290*/
	s_and_saveexec_b32 s1, s0
	s_set_vgpr_msb 0                        ;  msbs: dst=0 src0=0 src1=0 src2=0
	s_cbranch_execz .LBB700_6
; %bb.5:
	flat_load_b64 v[18:19], v[16:17] offset:256
	s_wait_loadcnt_dscnt 0x0
	v_xor_b32_e32 v131, 0x7fffffff, v19
	v_not_b32_e32 v130, v18
.LBB700_6:
	s_wait_xcnt 0x0
	s_or_b32 exec_lo, exec_lo, s1
	v_or_b32_e32 v18, 64, v1
	v_mov_b64_e32 v[134:135], -1
	v_mov_b64_e32 v[144:145], -1
	s_set_vgpr_msb 4                        ;  msbs: dst=0 src0=0 src1=1 src2=0
	s_delay_alu instid0(VALU_DEP_3)
	v_cmp_lt_u32_e64 s1, v18, v34 /*v290*/
	s_and_saveexec_b32 s2, s1
	s_set_vgpr_msb 0                        ;  msbs: dst=0 src0=0 src1=0 src2=0
	s_cbranch_execz .LBB700_8
; %bb.7:
	flat_load_b64 v[18:19], v[16:17] offset:512
	s_wait_loadcnt_dscnt 0x0
	v_xor_b32_e32 v145, 0x7fffffff, v19
	v_not_b32_e32 v144, v18
.LBB700_8:
	s_wait_xcnt 0x0
	s_or_b32 exec_lo, exec_lo, s2
	v_or_b32_e32 v18, 0x60, v1
	s_set_vgpr_msb 4                        ;  msbs: dst=0 src0=0 src1=1 src2=0
	s_delay_alu instid0(VALU_DEP_1)
	v_cmp_lt_u32_e64 s2, v18, v34 /*v290*/
	s_and_saveexec_b32 s3, s2
	s_set_vgpr_msb 0                        ;  msbs: dst=0 src0=0 src1=0 src2=0
	s_cbranch_execz .LBB700_10
; %bb.9:
	flat_load_b64 v[18:19], v[16:17] offset:768
	s_wait_loadcnt_dscnt 0x0
	v_xor_b32_e32 v135, 0x7fffffff, v19
	v_not_b32_e32 v134, v18
.LBB700_10:
	s_wait_xcnt 0x0
	s_or_b32 exec_lo, exec_lo, s3
	v_or_b32_e32 v18, 0x80, v1
	v_mov_b64_e32 v[146:147], -1
	v_mov_b64_e32 v[148:149], -1
	s_set_vgpr_msb 4                        ;  msbs: dst=0 src0=0 src1=1 src2=0
	s_delay_alu instid0(VALU_DEP_3)
	v_cmp_lt_u32_e64 s3, v18, v34 /*v290*/
	s_and_saveexec_b32 s4, s3
	s_set_vgpr_msb 0                        ;  msbs: dst=0 src0=0 src1=0 src2=0
	s_cbranch_execz .LBB700_12
; %bb.11:
	flat_load_b64 v[18:19], v[16:17] offset:1024
	s_wait_loadcnt_dscnt 0x0
	v_xor_b32_e32 v149, 0x7fffffff, v19
	v_not_b32_e32 v148, v18
.LBB700_12:
	;; [unrolled: 32-line block ×7, first 2 shown]
	s_wait_xcnt 0x0
	s_or_b32 exec_lo, exec_lo, s16
	v_or_b32_e32 v1, 0x1e0, v1
	s_set_vgpr_msb 4                        ;  msbs: dst=0 src0=0 src1=1 src2=0
	s_delay_alu instid0(VALU_DEP_1)
	v_cmp_lt_u32_e64 s16, v1, v34 /*v290*/
	s_and_saveexec_b32 s17, s16
	s_set_vgpr_msb 0                        ;  msbs: dst=0 src0=0 src1=0 src2=0
	s_cbranch_execz .LBB700_34
; %bb.33:
	flat_load_b64 v[16:17], v[16:17] offset:3840
	s_wait_loadcnt_dscnt 0x0
	v_xor_b32_e32 v183, 0x7fffffff, v17
	v_not_b32_e32 v182, v16
.LBB700_34:
	s_wait_xcnt 0x0
	s_or_b32 exec_lo, exec_lo, s17
	v_lshl_add_u64 v[4:5], v[8:9], 3, v[4:5]
	v_mov_b32_e32 v1, 0
                                        ; implicit-def: $vgpr194_vgpr195
	s_delay_alu instid0(VALU_DEP_1) | instskip(NEXT) | instid1(VALU_DEP_1)
	v_add_nc_u64_e32 v[0:1], v[4:5], v[0:1]
	v_lshl_add_u64 v[0:1], v[14:15], 3, v[0:1]
	s_and_saveexec_b32 s17, vcc_lo
	s_cbranch_execnz .LBB700_196
; %bb.35:
	s_or_b32 exec_lo, exec_lo, s17
                                        ; implicit-def: $vgpr196_vgpr197
	s_and_saveexec_b32 s17, s0
	s_cbranch_execnz .LBB700_197
.LBB700_36:
	s_or_b32 exec_lo, exec_lo, s17
                                        ; implicit-def: $vgpr198_vgpr199
	s_and_saveexec_b32 s0, s1
	s_cbranch_execnz .LBB700_198
.LBB700_37:
	s_or_b32 exec_lo, exec_lo, s0
                                        ; implicit-def: $vgpr208_vgpr209
	s_and_saveexec_b32 s0, s2
	s_cbranch_execnz .LBB700_199
.LBB700_38:
	s_or_b32 exec_lo, exec_lo, s0
                                        ; implicit-def: $vgpr210_vgpr211
	s_and_saveexec_b32 s0, s3
	s_cbranch_execnz .LBB700_200
.LBB700_39:
	s_or_b32 exec_lo, exec_lo, s0
                                        ; implicit-def: $vgpr212_vgpr213
	s_and_saveexec_b32 s0, s4
	s_cbranch_execnz .LBB700_201
.LBB700_40:
	s_or_b32 exec_lo, exec_lo, s0
                                        ; implicit-def: $vgpr214_vgpr215
	s_and_saveexec_b32 s0, s5
	s_cbranch_execnz .LBB700_202
.LBB700_41:
	s_or_b32 exec_lo, exec_lo, s0
                                        ; implicit-def: $vgpr224_vgpr225
	s_and_saveexec_b32 s0, s6
	s_cbranch_execnz .LBB700_203
.LBB700_42:
	s_or_b32 exec_lo, exec_lo, s0
                                        ; implicit-def: $vgpr226_vgpr227
	s_and_saveexec_b32 s0, s7
	s_cbranch_execnz .LBB700_204
.LBB700_43:
	s_or_b32 exec_lo, exec_lo, s0
                                        ; implicit-def: $vgpr228_vgpr229
	s_and_saveexec_b32 s0, s10
	s_cbranch_execnz .LBB700_205
.LBB700_44:
	s_or_b32 exec_lo, exec_lo, s0
                                        ; implicit-def: $vgpr240_vgpr241
	s_and_saveexec_b32 s0, s11
	s_cbranch_execnz .LBB700_206
.LBB700_45:
	s_or_b32 exec_lo, exec_lo, s0
                                        ; implicit-def: $vgpr230_vgpr231
	s_and_saveexec_b32 s0, s12
	s_cbranch_execnz .LBB700_207
.LBB700_46:
	s_or_b32 exec_lo, exec_lo, s0
                                        ; implicit-def: $vgpr242_vgpr243
	s_and_saveexec_b32 s0, s13
	s_cbranch_execnz .LBB700_208
.LBB700_47:
	s_or_b32 exec_lo, exec_lo, s0
                                        ; implicit-def: $vgpr244_vgpr245
	s_and_saveexec_b32 s0, s14
	s_cbranch_execnz .LBB700_209
.LBB700_48:
	s_or_b32 exec_lo, exec_lo, s0
                                        ; implicit-def: $vgpr246_vgpr247
	s_and_saveexec_b32 s0, s15
	s_cbranch_execnz .LBB700_210
.LBB700_49:
	s_or_b32 exec_lo, exec_lo, s0
                                        ; implicit-def: $vgpr256_vgpr257
	s_and_saveexec_b32 s0, s16
	s_cbranch_execz .LBB700_51
.LBB700_50:
	s_set_vgpr_msb 64                       ;  msbs: dst=1 src0=0 src1=0 src2=0
	flat_load_b64 v[0:1] /*v[256:257]*/, v[0:1] offset:3840
.LBB700_51:
	s_wait_xcnt 0x0
	s_or_b32 exec_lo, exec_lo, s0
	s_set_vgpr_msb 0                        ;  msbs: dst=0 src0=0 src1=0 src2=0
	v_lshl_add_u32 v0, v22, 5, v12
	v_and_b32_e32 v1, 0x3e0, v22
	v_sub_co_u32 v5, s2, v34, 1
	s_get_pc_i64 s[0:1]
	s_add_nc_u64 s[0:1], s[0:1], _ZN7rocprim17ROCPRIM_400000_NS16block_radix_sortIlLj256ELj16ElLj1ELj1ELj8ELNS0_26block_radix_rank_algorithmE2ELNS0_18block_padding_hintE2ELNS0_4arch9wavefront6targetE0EE19radix_bits_per_passE@rel64+4
	v_dual_add_nc_u32 v23, 32, v0 :: v_dual_add_nc_u32 v39, 36, v0
	s_set_vgpr_msb 64                       ;  msbs: dst=1 src0=0 src1=0 src2=0
	v_dual_add_nc_u32 v35 /*v291*/, 40, v0 :: v_dual_add_nc_u32 v36 /*v292*/, 44, v0
	v_dual_add_nc_u32 v37 /*v293*/, 48, v0 :: v_dual_add_nc_u32 v38 /*v294*/, 52, v0
	;; [unrolled: 1-line block ×3, first 2 shown]
	s_set_vgpr_msb 0                        ;  msbs: dst=0 src0=0 src1=0 src2=0
	v_min_u32_e32 v0, 0xe0, v1
	v_and_b32_e32 v1, 16, v34
	v_cmp_gt_i32_e64 s6, 0, v5
	v_and_b32_e32 v4, 15, v34
	s_load_b32 s22, s[0:1], 0x0
	v_or_b32_e32 v0, 31, v0
	v_cmp_eq_u32_e64 s4, 0, v1
	v_cndmask_b32_e64 v1, v5, v34, s6
	v_cmp_eq_u32_e32 vcc_lo, 0, v4
	s_wait_xcnt 0x0
	v_cmp_lt_u32_e64 s0, 1, v4
	v_cmp_lt_u32_e64 s1, 3, v4
	;; [unrolled: 1-line block ×3, first 2 shown]
	v_lshlrev_b32_e32 v4, 4, v22
	v_cmp_eq_u32_e64 s5, v22, v0
	v_lshrrev_b32_e32 v0, 3, v22
	s_set_vgpr_msb 64                       ;  msbs: dst=1 src0=0 src1=0 src2=0
	v_dual_lshrrev_b32 v41 /*v297*/, 5, v38 :: v_dual_lshlrev_b32 v42 /*v298*/, 2, v1
	s_set_vgpr_msb 0                        ;  msbs: dst=0 src0=0 src1=0 src2=0
	v_and_or_b32 v4, 0x3e00, v4, v34
	v_mov_b32_e32 v1, 0
	v_and_b32_e32 v0, 0x7c, v0
	v_and_b32_e32 v5, 7, v34
	v_mov_b64_e32 v[36:37], 0
	s_set_vgpr_msb 64                       ;  msbs: dst=1 src0=0 src1=0 src2=0
	v_lshl_add_u32 v45 /*v301*/, v4, 3, v12
	v_cmp_gt_u32_e64 s6, 8, v22
	v_dual_add_nc_u32 v43 /*v299*/, v12, v0 :: v_dual_sub_nc_u32 v62 /*v318*/, v11, v10
	v_cmp_lt_u32_e64 s7, 31, v22
	v_cmp_eq_u32_e64 s10, 0, v22
	v_lshl_add_u32 v44 /*v300*/, v22, 2, v12
	v_cmp_eq_u32_e64 s11, 0, v5
	v_cmp_lt_u32_e64 s12, 1, v5
	v_cmp_lt_u32_e64 s13, 3, v5
	s_set_vgpr_msb 0x44                     ;  msbs: dst=1 src0=0 src1=1 src2=0
	v_add_nc_u32_e32 v46 /*v302*/, -4, v43 /*v299*/
	v_add_nc_u32_e32 v47 /*v303*/, 0x100, v45 /*v301*/
	v_add_nc_u32_e32 v48 /*v304*/, 0x200, v45 /*v301*/
	;; [unrolled: 1-line block ×15, first 2 shown]
	s_mov_b32 s23, 0
	s_wait_storecnt 0x0
	s_wait_loadcnt_dscnt 0x0
	s_barrier_signal -1
	s_barrier_wait -1
	s_set_vgpr_msb 0                        ;  msbs: dst=0 src0=0 src1=0 src2=0
	s_branch .LBB700_53
.LBB700_52:                             ;   in Loop: Header=BB700_53 Depth=1
	s_or_b32 exec_lo, exec_lo, s15
	s_delay_alu instid0(SALU_CYCLE_1) | instskip(NEXT) | instid1(SALU_CYCLE_1)
	s_and_b32 s14, exec_lo, s16
	s_or_b32 s23, s14, s23
	s_delay_alu instid0(SALU_CYCLE_1)
	s_and_not1_b32 exec_lo, exec_lo, s23
	s_cbranch_execz .LBB700_93
.LBB700_53:                             ; =>This Inner Loop Header: Depth=1
	v_mov_b64_e32 v[48:49], v[132:133]
	s_wait_kmcnt 0x0
	s_set_vgpr_msb 4                        ;  msbs: dst=0 src0=0 src1=1 src2=0
	v_min_u32_e32 v0, s22, v62 /*v318*/
	v_mov_b64_e32 v[64:65], v[130:131]
	v_mov_b64_e32 v[32:33], v[194:195]
	;; [unrolled: 1-line block ×4, first 2 shown]
	v_lshlrev_b32_e64 v132, v0, -1
	s_set_vgpr_msb 0                        ;  msbs: dst=0 src0=0 src1=0 src2=0
	v_lshrrev_b64 v[68:69], v10, v[48:49]
	v_mov_b64_e32 v[26:27], v[208:209]
	v_mov_b64_e32 v[24:25], v[210:211]
	;; [unrolled: 1-line block ×6, first 2 shown]
	v_bitop3_b32 v0, v68, v132, v68 bitop3:0x30
	v_bitop3_b32 v80, v68, 1, v132 bitop3:0x40
	v_mov_b64_e32 v[4:5], v[228:229]
	v_mov_b64_e32 v[34:35], v[240:241]
	;; [unrolled: 1-line block ×3, first 2 shown]
	v_dual_lshlrev_b32 v86, 30, v0 :: v_dual_lshlrev_b32 v98, 29, v0
	v_add_co_u32 v96, s14, v80, -1
	s_delay_alu instid0(VALU_DEP_1) | instskip(NEXT) | instid1(VALU_DEP_3)
	v_cndmask_b32_e64 v87, 0, 1, s14
	v_not_b32_e32 v97, v86
	v_cmp_gt_i32_e64 s15, 0, v86
	v_not_b32_e32 v100, v98
	v_mov_b64_e32 v[52:53], v[242:243]
	v_cmp_ne_u32_e64 s14, 0, v87
	v_dual_ashrrev_i32 v97, 31, v97 :: v_dual_lshlrev_b32 v99, 28, v0
	v_mov_b64_e32 v[116:117], v[244:245]
	v_mov_b64_e32 v[128:129], v[246:247]
	s_set_vgpr_msb 1                        ;  msbs: dst=0 src0=1 src1=0 src2=0
	v_mov_b64_e32 v[118:119], v[0:1] /*v[256:257]*/
	v_xor_b32_e32 v97, s15, v97
	s_set_vgpr_msb 0                        ;  msbs: dst=0 src0=0 src1=0 src2=0
	v_not_b32_e32 v101, v99
	v_xor_b32_e32 v96, s14, v96
	v_cmp_gt_i32_e64 s14, 0, v98
	v_ashrrev_i32_e32 v98, 31, v100
	v_lshlrev_b32_e32 v100, 27, v0
	v_cmp_gt_i32_e64 s15, 0, v99
	v_ashrrev_i32_e32 v99, 31, v101
	v_bitop3_b32 v96, v96, v97, exec_lo bitop3:0x80
	v_lshlrev_b32_e32 v97, 26, v0
	v_not_b32_e32 v101, v100
	v_xor_b32_e32 v98, s14, v98
	v_dual_lshlrev_b32 v102, 25, v0 :: v_dual_bitop2_b32 v99, s15, v99 bitop3:0x14
	v_cmp_gt_i32_e64 s14, 0, v100
	v_not_b32_e32 v100, v97
	v_ashrrev_i32_e32 v101, 31, v101
	v_cmp_gt_i32_e64 s15, 0, v97
	v_lshlrev_b32_e32 v97, 24, v0
	v_bitop3_b32 v103, v96, v99, v98 bitop3:0x80
	v_not_b32_e32 v96, v102
	v_xor_b32_e32 v101, s14, v101
	v_cmp_gt_i32_e64 s14, 0, v102
	v_not_b32_e32 v98, v97
	v_ashrrev_i32_e32 v100, 31, v100
	v_ashrrev_i32_e32 v102, 31, v96
	s_set_vgpr_msb 16                       ;  msbs: dst=0 src0=0 src1=0 src2=1
	v_lshl_add_u32 v0, v0, 3, v41 /*v297*/
	v_mov_b64_e32 v[50:51], v[144:145]
	v_dual_ashrrev_i32 v112, 31, v98 :: v_dual_bitop2_b32 v100, s15, v100 bitop3:0x14
	v_cmp_gt_i32_e64 s15, 0, v97
	v_xor_b32_e32 v115, s14, v102
	v_mov_b64_e32 v[66:67], v[134:135]
	v_mov_b64_e32 v[70:71], v[148:149]
	s_set_vgpr_msb 0                        ;  msbs: dst=0 src0=0 src1=0 src2=0
	v_bitop3_b32 v114, v103, v100, v101 bitop3:0x80
	v_xor_b32_e32 v130, s15, v112
	v_mov_b64_e32 v[68:69], v[146:147]
	v_mov_b64_e32 v[82:83], v[160:161]
	;; [unrolled: 1-line block ×4, first 2 shown]
	v_bitop3_b32 v133, v114, v130, v115 bitop3:0x80
	v_lshl_add_u64 v[130:131], v[0:1], 2, v[12:13]
	v_mov_b64_e32 v[86:87], v[166:167]
	v_mov_b64_e32 v[98:99], v[164:165]
	;; [unrolled: 1-line block ×3, first 2 shown]
	v_mbcnt_lo_u32_b32 v0, v133, 0
	v_mov_b64_e32 v[112:113], v[180:181]
	v_mov_b64_e32 v[102:103], v[178:179]
	;; [unrolled: 1-line block ×4, first 2 shown]
	v_add_nc_u64_e32 v[130:131], 32, v[130:131]
	v_cmp_eq_u32_e64 s14, 0, v0
	v_cmp_ne_u32_e64 s15, 0, v133
	ds_store_b64 v23, v[36:37]
	s_set_vgpr_msb 1                        ;  msbs: dst=0 src0=1 src1=0 src2=0
	ds_store_b64 v35 /*v291*/, v[36:37]
	ds_store_b64 v37 /*v293*/, v[36:37]
	;; [unrolled: 1-line block ×3, first 2 shown]
	s_wait_dscnt 0x0
	s_barrier_signal -1
	s_and_b32 s15, s15, s14
	s_barrier_wait -1
	; wave barrier
	s_and_saveexec_b32 s14, s15
; %bb.54:                               ;   in Loop: Header=BB700_53 Depth=1
	s_set_vgpr_msb 0                        ;  msbs: dst=0 src0=0 src1=0 src2=0
	v_bcnt_u32_b32 v131, v133, 0
	ds_store_b32 v130, v131
; %bb.55:                               ;   in Loop: Header=BB700_53 Depth=1
	s_or_b32 exec_lo, exec_lo, s14
	v_lshrrev_b64 v[134:135], v10, v[64:65]
	v_not_b32_e32 v147, v132
	; wave barrier
	s_delay_alu instid0(VALU_DEP_1) | instskip(SKIP_1) | instid1(VALU_DEP_2)
	v_bitop3_b32 v132, v134, 1, v147 bitop3:0x80
	v_and_b32_e32 v131, v134, v147
	v_add_co_u32 v132, s14, v132, -1
	s_delay_alu instid0(VALU_DEP_1) | instskip(NEXT) | instid1(VALU_DEP_3)
	v_cndmask_b32_e64 v134, 0, 1, s14
	v_lshlrev_b32_e32 v135, 30, v131
	s_delay_alu instid0(VALU_DEP_2) | instskip(NEXT) | instid1(VALU_DEP_2)
	v_cmp_ne_u32_e64 s14, 0, v134
	v_not_b32_e32 v134, v135
	s_delay_alu instid0(VALU_DEP_1)
	v_dual_ashrrev_i32 v134, 31, v134 :: v_dual_bitop2_b32 v132, s14, v132 bitop3:0x14
	v_dual_lshlrev_b32 v144, 29, v131 :: v_dual_lshlrev_b32 v145, 28, v131
	v_lshlrev_b32_e32 v146, 27, v131
	v_cmp_gt_i32_e64 s15, 0, v135
	s_set_vgpr_msb 16                       ;  msbs: dst=0 src0=0 src1=0 src2=1
	v_lshl_add_u32 v133, v131, 3, v41 /*v297*/
	v_cmp_gt_i32_e64 s16, 0, v144
	v_not_b32_e32 v135, v144
	v_not_b32_e32 v144, v145
	v_dual_lshlrev_b32 v148, 26, v131 :: v_dual_lshlrev_b32 v149, 25, v131
	v_lshlrev_b32_e32 v131, 24, v131
	v_cmp_gt_i32_e64 s17, 0, v145
	s_delay_alu instid0(VALU_DEP_4)
	v_dual_ashrrev_i32 v135, 31, v135 :: v_dual_ashrrev_i32 v144, 31, v144
	v_xor_b32_e32 v134, s15, v134
	v_cmp_gt_i32_e64 s18, 0, v146
	v_not_b32_e32 v145, v146
	v_not_b32_e32 v146, v148
	v_xor_b32_e32 v135, s16, v135
	v_xor_b32_e32 v144, s17, v144
	v_bitop3_b32 v132, v132, v134, exec_lo bitop3:0x80
	v_ashrrev_i32_e32 v134, 31, v145
	v_cmp_gt_i32_e64 s14, 0, v148
	v_ashrrev_i32_e32 v145, 31, v146
	v_not_b32_e32 v146, v149
	s_set_vgpr_msb 0                        ;  msbs: dst=0 src0=0 src1=0 src2=0
	v_bitop3_b32 v132, v132, v144, v135 bitop3:0x80
	v_not_b32_e32 v135, v131
	v_cmp_gt_i32_e64 s15, 0, v131
	v_dual_ashrrev_i32 v145, 31, v146 :: v_dual_bitop2_b32 v144, s14, v145 bitop3:0x14
	v_cmp_gt_i32_e64 s14, 0, v149
	s_delay_alu instid0(VALU_DEP_4) | instskip(SKIP_2) | instid1(VALU_DEP_3)
	v_ashrrev_i32_e32 v131, 31, v135
	v_lshl_add_u32 v133, v133, 2, v12
	v_xor_b32_e32 v134, s18, v134
	v_xor_b32_e32 v135, s15, v131
	ds_load_b32 v131, v133 offset:32
	v_add_nc_u32_e32 v133, 32, v133
	v_bitop3_b32 v132, v132, v144, v134 bitop3:0x80
	v_xor_b32_e32 v134, s14, v145
	; wave barrier
	s_delay_alu instid0(VALU_DEP_1) | instskip(NEXT) | instid1(VALU_DEP_1)
	v_bitop3_b32 v134, v132, v135, v134 bitop3:0x80
	v_mbcnt_lo_u32_b32 v132, v134, 0
	v_cmp_ne_u32_e64 s15, 0, v134
	s_delay_alu instid0(VALU_DEP_2) | instskip(SKIP_1) | instid1(SALU_CYCLE_1)
	v_cmp_eq_u32_e64 s14, 0, v132
	s_and_b32 s15, s15, s14
	s_and_saveexec_b32 s14, s15
	s_cbranch_execz .LBB700_57
; %bb.56:                               ;   in Loop: Header=BB700_53 Depth=1
	s_wait_dscnt 0x0
	v_bcnt_u32_b32 v134, v134, v131
	ds_store_b32 v133, v134
.LBB700_57:                             ;   in Loop: Header=BB700_53 Depth=1
	s_or_b32 exec_lo, exec_lo, s14
	v_lshrrev_b64 v[134:135], v10, v[50:51]
	; wave barrier
	s_delay_alu instid0(VALU_DEP_1) | instskip(SKIP_1) | instid1(VALU_DEP_2)
	v_and_b32_e32 v135, v134, v147
	v_bitop3_b32 v134, v134, 1, v147 bitop3:0x80
	v_lshlrev_b32_e32 v146, 30, v135
	s_delay_alu instid0(VALU_DEP_2) | instskip(NEXT) | instid1(VALU_DEP_1)
	v_add_co_u32 v134, s14, v134, -1
	v_cndmask_b32_e64 v145, 0, 1, s14
	s_delay_alu instid0(VALU_DEP_1) | instskip(NEXT) | instid1(VALU_DEP_4)
	v_cmp_ne_u32_e64 s14, 0, v145
	v_not_b32_e32 v145, v146
	s_delay_alu instid0(VALU_DEP_1)
	v_dual_ashrrev_i32 v145, 31, v145 :: v_dual_bitop2_b32 v134, s14, v134 bitop3:0x14
	v_dual_lshlrev_b32 v148, 29, v135 :: v_dual_lshlrev_b32 v149, 28, v135
	v_lshlrev_b32_e32 v150, 27, v135
	v_cmp_gt_i32_e64 s15, 0, v146
	s_set_vgpr_msb 16                       ;  msbs: dst=0 src0=0 src1=0 src2=1
	v_lshl_add_u32 v144, v135, 3, v41 /*v297*/
	v_cmp_gt_i32_e64 s16, 0, v148
	v_not_b32_e32 v146, v148
	v_not_b32_e32 v148, v149
	v_dual_lshlrev_b32 v151, 26, v135 :: v_dual_lshlrev_b32 v160, 25, v135
	v_lshlrev_b32_e32 v135, 24, v135
	v_cmp_gt_i32_e64 s17, 0, v149
	v_not_b32_e32 v149, v150
	v_dual_ashrrev_i32 v146, 31, v146 :: v_dual_ashrrev_i32 v148, 31, v148
	v_xor_b32_e32 v145, s15, v145
	v_cmp_gt_i32_e64 s18, 0, v150
	v_not_b32_e32 v150, v151
	s_delay_alu instid0(VALU_DEP_4)
	v_dual_ashrrev_i32 v149, 31, v149 :: v_dual_bitop2_b32 v146, s16, v146 bitop3:0x14
	v_xor_b32_e32 v148, s17, v148
	v_bitop3_b32 v134, v134, v145, exec_lo bitop3:0x80
	v_cmp_gt_i32_e64 s14, 0, v151
	v_ashrrev_i32_e32 v145, 31, v150
	v_not_b32_e32 v150, v160
	v_cmp_gt_i32_e64 s15, 0, v135
	s_set_vgpr_msb 0                        ;  msbs: dst=0 src0=0 src1=0 src2=0
	v_bitop3_b32 v134, v134, v148, v146 bitop3:0x80
	v_not_b32_e32 v146, v135
	v_dual_ashrrev_i32 v148, 31, v150 :: v_dual_bitop2_b32 v149, s18, v149 bitop3:0x14
	v_lshl_add_u32 v144, v144, 2, v12
	v_xor_b32_e32 v145, s14, v145
	v_cmp_gt_i32_e64 s14, 0, v160
	v_ashrrev_i32_e32 v135, 31, v146
	s_delay_alu instid0(VALU_DEP_3) | instskip(NEXT) | instid1(VALU_DEP_3)
	v_bitop3_b32 v145, v134, v145, v149 bitop3:0x80
	v_xor_b32_e32 v146, s14, v148
	s_delay_alu instid0(VALU_DEP_3) | instskip(SKIP_3) | instid1(VALU_DEP_1)
	v_xor_b32_e32 v135, s15, v135
	ds_load_b32 v134, v144 offset:32
	v_add_nc_u32_e32 v144, 32, v144
	; wave barrier
	v_bitop3_b32 v145, v145, v135, v146 bitop3:0x80
	v_mbcnt_lo_u32_b32 v135, v145, 0
	v_cmp_ne_u32_e64 s15, 0, v145
	s_delay_alu instid0(VALU_DEP_2) | instskip(SKIP_1) | instid1(SALU_CYCLE_1)
	v_cmp_eq_u32_e64 s14, 0, v135
	s_and_b32 s15, s15, s14
	s_and_saveexec_b32 s14, s15
	s_cbranch_execz .LBB700_59
; %bb.58:                               ;   in Loop: Header=BB700_53 Depth=1
	s_wait_dscnt 0x0
	v_bcnt_u32_b32 v145, v145, v134
	ds_store_b32 v144, v145
.LBB700_59:                             ;   in Loop: Header=BB700_53 Depth=1
	s_or_b32 exec_lo, exec_lo, s14
	v_lshrrev_b64 v[148:149], v10, v[66:67]
	; wave barrier
	s_delay_alu instid0(VALU_DEP_1) | instskip(SKIP_1) | instid1(VALU_DEP_2)
	v_bitop3_b32 v146, v148, 1, v147 bitop3:0x80
	v_and_b32_e32 v145, v148, v147
	v_add_co_u32 v146, s14, v146, -1
	s_delay_alu instid0(VALU_DEP_1) | instskip(NEXT) | instid1(VALU_DEP_3)
	v_cndmask_b32_e64 v149, 0, 1, s14
	v_lshlrev_b32_e32 v150, 30, v145
	s_delay_alu instid0(VALU_DEP_2) | instskip(NEXT) | instid1(VALU_DEP_2)
	v_cmp_ne_u32_e64 s14, 0, v149
	v_not_b32_e32 v149, v150
	s_delay_alu instid0(VALU_DEP_1)
	v_dual_ashrrev_i32 v149, 31, v149 :: v_dual_bitop2_b32 v146, s14, v146 bitop3:0x14
	v_dual_lshlrev_b32 v151, 29, v145 :: v_dual_lshlrev_b32 v160, 28, v145
	v_lshlrev_b32_e32 v161, 27, v145
	v_cmp_gt_i32_e64 s15, 0, v150
	s_set_vgpr_msb 16                       ;  msbs: dst=0 src0=0 src1=0 src2=1
	v_lshl_add_u32 v148, v145, 3, v41 /*v297*/
	v_cmp_gt_i32_e64 s16, 0, v151
	v_not_b32_e32 v150, v151
	v_not_b32_e32 v151, v160
	v_dual_lshlrev_b32 v162, 26, v145 :: v_dual_lshlrev_b32 v163, 25, v145
	v_lshlrev_b32_e32 v145, 24, v145
	v_cmp_gt_i32_e64 s17, 0, v160
	v_not_b32_e32 v160, v161
	v_dual_ashrrev_i32 v150, 31, v150 :: v_dual_ashrrev_i32 v151, 31, v151
	v_xor_b32_e32 v149, s15, v149
	v_cmp_gt_i32_e64 s18, 0, v161
	v_not_b32_e32 v161, v162
	s_delay_alu instid0(VALU_DEP_4)
	v_dual_ashrrev_i32 v160, 31, v160 :: v_dual_bitop2_b32 v150, s16, v150 bitop3:0x14
	v_xor_b32_e32 v151, s17, v151
	v_bitop3_b32 v146, v146, v149, exec_lo bitop3:0x80
	v_cmp_gt_i32_e64 s14, 0, v162
	v_ashrrev_i32_e32 v149, 31, v161
	v_not_b32_e32 v161, v163
	v_xor_b32_e32 v160, s18, v160
	s_set_vgpr_msb 0                        ;  msbs: dst=0 src0=0 src1=0 src2=0
	v_bitop3_b32 v146, v146, v151, v150 bitop3:0x80
	v_not_b32_e32 v150, v145
	v_cmp_gt_i32_e64 s15, 0, v145
	v_ashrrev_i32_e32 v151, 31, v161
	v_lshl_add_u32 v148, v148, 2, v12
	v_xor_b32_e32 v149, s14, v149
	v_cmp_gt_i32_e64 s14, 0, v163
	v_ashrrev_i32_e32 v145, 31, v150
	s_delay_alu instid0(VALU_DEP_1) | instskip(SKIP_4) | instid1(VALU_DEP_1)
	v_xor_b32_e32 v150, s15, v145
	ds_load_b32 v145, v148 offset:32
	v_add_nc_u32_e32 v148, 32, v148
	v_bitop3_b32 v146, v146, v149, v160 bitop3:0x80
	v_xor_b32_e32 v149, s14, v151
	; wave barrier
	v_bitop3_b32 v149, v146, v150, v149 bitop3:0x80
	s_delay_alu instid0(VALU_DEP_1) | instskip(SKIP_1) | instid1(VALU_DEP_2)
	v_mbcnt_lo_u32_b32 v146, v149, 0
	v_cmp_ne_u32_e64 s15, 0, v149
	v_cmp_eq_u32_e64 s14, 0, v146
	s_and_b32 s15, s15, s14
	s_delay_alu instid0(SALU_CYCLE_1)
	s_and_saveexec_b32 s14, s15
	s_cbranch_execz .LBB700_61
; %bb.60:                               ;   in Loop: Header=BB700_53 Depth=1
	s_wait_dscnt 0x0
	v_bcnt_u32_b32 v149, v149, v145
	ds_store_b32 v148, v149
.LBB700_61:                             ;   in Loop: Header=BB700_53 Depth=1
	s_or_b32 exec_lo, exec_lo, s14
	v_lshrrev_b64 v[150:151], v10, v[70:71]
	; wave barrier
	s_delay_alu instid0(VALU_DEP_1) | instskip(SKIP_1) | instid1(VALU_DEP_2)
	v_and_b32_e32 v149, v150, v147
	v_bitop3_b32 v150, v150, 1, v147 bitop3:0x80
	v_lshlrev_b32_e32 v161, 30, v149
	s_delay_alu instid0(VALU_DEP_2) | instskip(NEXT) | instid1(VALU_DEP_1)
	v_add_co_u32 v150, s14, v150, -1
	v_cndmask_b32_e64 v160, 0, 1, s14
	s_delay_alu instid0(VALU_DEP_1) | instskip(NEXT) | instid1(VALU_DEP_4)
	v_cmp_ne_u32_e64 s14, 0, v160
	v_not_b32_e32 v160, v161
	s_delay_alu instid0(VALU_DEP_1)
	v_dual_ashrrev_i32 v160, 31, v160 :: v_dual_bitop2_b32 v150, s14, v150 bitop3:0x14
	v_dual_lshlrev_b32 v162, 29, v149 :: v_dual_lshlrev_b32 v163, 28, v149
	v_lshlrev_b32_e32 v164, 27, v149
	v_cmp_gt_i32_e64 s15, 0, v161
	s_set_vgpr_msb 16                       ;  msbs: dst=0 src0=0 src1=0 src2=1
	v_lshl_add_u32 v151, v149, 3, v41 /*v297*/
	v_cmp_gt_i32_e64 s16, 0, v162
	v_not_b32_e32 v161, v162
	v_not_b32_e32 v162, v163
	v_dual_lshlrev_b32 v165, 26, v149 :: v_dual_lshlrev_b32 v166, 25, v149
	v_lshlrev_b32_e32 v149, 24, v149
	v_cmp_gt_i32_e64 s17, 0, v163
	v_not_b32_e32 v163, v164
	v_dual_ashrrev_i32 v161, 31, v161 :: v_dual_ashrrev_i32 v162, 31, v162
	v_xor_b32_e32 v160, s15, v160
	v_cmp_gt_i32_e64 s18, 0, v164
	v_not_b32_e32 v164, v165
	s_delay_alu instid0(VALU_DEP_4)
	v_dual_ashrrev_i32 v163, 31, v163 :: v_dual_bitop2_b32 v161, s16, v161 bitop3:0x14
	v_xor_b32_e32 v162, s17, v162
	v_bitop3_b32 v150, v150, v160, exec_lo bitop3:0x80
	v_cmp_gt_i32_e64 s14, 0, v165
	v_ashrrev_i32_e32 v160, 31, v164
	v_not_b32_e32 v164, v166
	v_xor_b32_e32 v163, s18, v163
	s_set_vgpr_msb 0                        ;  msbs: dst=0 src0=0 src1=0 src2=0
	v_bitop3_b32 v150, v150, v162, v161 bitop3:0x80
	v_not_b32_e32 v161, v149
	v_cmp_gt_i32_e64 s15, 0, v149
	v_ashrrev_i32_e32 v162, 31, v164
	v_lshl_add_u32 v151, v151, 2, v12
	v_xor_b32_e32 v160, s14, v160
	v_cmp_gt_i32_e64 s14, 0, v166
	v_ashrrev_i32_e32 v149, 31, v161
	s_delay_alu instid0(VALU_DEP_1) | instskip(SKIP_4) | instid1(VALU_DEP_1)
	v_xor_b32_e32 v161, s15, v149
	ds_load_b32 v149, v151 offset:32
	v_add_nc_u32_e32 v151, 32, v151
	v_bitop3_b32 v150, v150, v160, v163 bitop3:0x80
	v_xor_b32_e32 v160, s14, v162
	; wave barrier
	v_bitop3_b32 v160, v150, v161, v160 bitop3:0x80
	s_delay_alu instid0(VALU_DEP_1) | instskip(SKIP_1) | instid1(VALU_DEP_2)
	v_mbcnt_lo_u32_b32 v150, v160, 0
	v_cmp_ne_u32_e64 s15, 0, v160
	v_cmp_eq_u32_e64 s14, 0, v150
	s_and_b32 s15, s15, s14
	s_delay_alu instid0(SALU_CYCLE_1)
	s_and_saveexec_b32 s14, s15
	s_cbranch_execz .LBB700_63
; %bb.62:                               ;   in Loop: Header=BB700_53 Depth=1
	s_wait_dscnt 0x0
	v_bcnt_u32_b32 v160, v160, v149
	ds_store_b32 v151, v160
.LBB700_63:                             ;   in Loop: Header=BB700_53 Depth=1
	s_or_b32 exec_lo, exec_lo, s14
	v_lshrrev_b64 v[160:161], v10, v[68:69]
	; wave barrier
	s_delay_alu instid0(VALU_DEP_1) | instskip(SKIP_1) | instid1(VALU_DEP_2)
	v_and_b32_e32 v161, v160, v147
	v_bitop3_b32 v160, v160, 1, v147 bitop3:0x80
	v_dual_lshlrev_b32 v164, 30, v161 :: v_dual_lshlrev_b32 v165, 29, v161
	s_delay_alu instid0(VALU_DEP_2) | instskip(NEXT) | instid1(VALU_DEP_1)
	v_add_co_u32 v160, s14, v160, -1
	v_cndmask_b32_e64 v163, 0, 1, s14
	s_delay_alu instid0(VALU_DEP_3) | instskip(NEXT) | instid1(VALU_DEP_4)
	v_cmp_gt_i32_e64 s15, 0, v164
	v_cmp_gt_i32_e64 s16, 0, v165
	s_delay_alu instid0(VALU_DEP_3) | instskip(SKIP_2) | instid1(VALU_DEP_1)
	v_cmp_ne_u32_e64 s14, 0, v163
	v_not_b32_e32 v163, v164
	v_not_b32_e32 v164, v165
	v_dual_ashrrev_i32 v163, 31, v163 :: v_dual_ashrrev_i32 v164, 31, v164
	v_dual_lshlrev_b32 v166, 28, v161 :: v_dual_lshlrev_b32 v167, 27, v161
	s_set_vgpr_msb 16                       ;  msbs: dst=0 src0=0 src1=0 src2=1
	v_lshl_add_u32 v162, v161, 3, v41 /*v297*/
	v_dual_lshlrev_b32 v176, 26, v161 :: v_dual_lshlrev_b32 v177, 25, v161
	v_lshlrev_b32_e32 v161, 24, v161
	v_not_b32_e32 v165, v166
	v_cmp_gt_i32_e64 s17, 0, v166
	v_not_b32_e32 v166, v167
	v_xor_b32_e32 v160, s14, v160
	s_delay_alu instid0(VALU_DEP_4) | instskip(SKIP_3) | instid1(VALU_DEP_4)
	v_dual_ashrrev_i32 v165, 31, v165 :: v_dual_bitop2_b32 v163, s15, v163 bitop3:0x14
	v_cmp_gt_i32_e64 s18, 0, v167
	v_not_b32_e32 v167, v176
	v_dual_ashrrev_i32 v166, 31, v166 :: v_dual_bitop2_b32 v164, s16, v164 bitop3:0x14
	v_xor_b32_e32 v165, s17, v165
	v_bitop3_b32 v160, v160, v163, exec_lo bitop3:0x80
	v_cmp_gt_i32_e64 s14, 0, v176
	v_ashrrev_i32_e32 v163, 31, v167
	v_not_b32_e32 v167, v177
	v_xor_b32_e32 v166, s18, v166
	s_set_vgpr_msb 0                        ;  msbs: dst=0 src0=0 src1=0 src2=0
	v_bitop3_b32 v160, v160, v165, v164 bitop3:0x80
	v_not_b32_e32 v164, v161
	v_cmp_gt_i32_e64 s15, 0, v161
	v_ashrrev_i32_e32 v165, 31, v167
	v_lshl_add_u32 v162, v162, 2, v12
	v_xor_b32_e32 v163, s14, v163
	v_cmp_gt_i32_e64 s14, 0, v177
	v_ashrrev_i32_e32 v161, 31, v164
	s_delay_alu instid0(VALU_DEP_3) | instskip(NEXT) | instid1(VALU_DEP_3)
	v_bitop3_b32 v163, v160, v163, v166 bitop3:0x80
	v_xor_b32_e32 v164, s14, v165
	s_delay_alu instid0(VALU_DEP_3) | instskip(SKIP_3) | instid1(VALU_DEP_1)
	v_xor_b32_e32 v161, s15, v161
	ds_load_b32 v160, v162 offset:32
	v_add_nc_u32_e32 v162, 32, v162
	; wave barrier
	v_bitop3_b32 v163, v163, v161, v164 bitop3:0x80
	v_mbcnt_lo_u32_b32 v161, v163, 0
	v_cmp_ne_u32_e64 s15, 0, v163
	s_delay_alu instid0(VALU_DEP_2) | instskip(SKIP_1) | instid1(SALU_CYCLE_1)
	v_cmp_eq_u32_e64 s14, 0, v161
	s_and_b32 s15, s15, s14
	s_and_saveexec_b32 s14, s15
	s_cbranch_execz .LBB700_65
; %bb.64:                               ;   in Loop: Header=BB700_53 Depth=1
	s_wait_dscnt 0x0
	v_bcnt_u32_b32 v163, v163, v160
	ds_store_b32 v162, v163
.LBB700_65:                             ;   in Loop: Header=BB700_53 Depth=1
	s_or_b32 exec_lo, exec_lo, s14
	v_lshrrev_b64 v[164:165], v10, v[82:83]
	; wave barrier
	s_delay_alu instid0(VALU_DEP_1) | instskip(SKIP_1) | instid1(VALU_DEP_2)
	v_and_b32_e32 v163, v164, v147
	v_bitop3_b32 v164, v164, 1, v147 bitop3:0x80
	v_lshlrev_b32_e32 v167, 30, v163
	s_delay_alu instid0(VALU_DEP_2) | instskip(NEXT) | instid1(VALU_DEP_1)
	v_add_co_u32 v164, s14, v164, -1
	v_cndmask_b32_e64 v166, 0, 1, s14
	s_delay_alu instid0(VALU_DEP_1) | instskip(NEXT) | instid1(VALU_DEP_4)
	v_cmp_ne_u32_e64 s14, 0, v166
	v_not_b32_e32 v166, v167
	s_delay_alu instid0(VALU_DEP_1)
	v_dual_ashrrev_i32 v166, 31, v166 :: v_dual_bitop2_b32 v164, s14, v164 bitop3:0x14
	v_dual_lshlrev_b32 v176, 29, v163 :: v_dual_lshlrev_b32 v177, 28, v163
	v_lshlrev_b32_e32 v178, 27, v163
	v_cmp_gt_i32_e64 s15, 0, v167
	s_set_vgpr_msb 16                       ;  msbs: dst=0 src0=0 src1=0 src2=1
	v_lshl_add_u32 v165, v163, 3, v41 /*v297*/
	v_cmp_gt_i32_e64 s16, 0, v176
	v_not_b32_e32 v167, v176
	v_not_b32_e32 v176, v177
	v_dual_lshlrev_b32 v179, 26, v163 :: v_dual_lshlrev_b32 v180, 25, v163
	v_lshlrev_b32_e32 v163, 24, v163
	v_cmp_gt_i32_e64 s17, 0, v177
	v_not_b32_e32 v177, v178
	v_dual_ashrrev_i32 v167, 31, v167 :: v_dual_ashrrev_i32 v176, 31, v176
	v_xor_b32_e32 v166, s15, v166
	v_cmp_gt_i32_e64 s18, 0, v178
	v_not_b32_e32 v178, v179
	s_delay_alu instid0(VALU_DEP_4)
	v_dual_ashrrev_i32 v177, 31, v177 :: v_dual_bitop2_b32 v167, s16, v167 bitop3:0x14
	v_xor_b32_e32 v176, s17, v176
	v_bitop3_b32 v164, v164, v166, exec_lo bitop3:0x80
	v_cmp_gt_i32_e64 s14, 0, v179
	v_ashrrev_i32_e32 v166, 31, v178
	v_not_b32_e32 v178, v180
	v_xor_b32_e32 v177, s18, v177
	s_set_vgpr_msb 0                        ;  msbs: dst=0 src0=0 src1=0 src2=0
	v_bitop3_b32 v164, v164, v176, v167 bitop3:0x80
	v_not_b32_e32 v167, v163
	v_cmp_gt_i32_e64 s15, 0, v163
	v_ashrrev_i32_e32 v176, 31, v178
	v_lshl_add_u32 v165, v165, 2, v12
	v_xor_b32_e32 v166, s14, v166
	v_cmp_gt_i32_e64 s14, 0, v180
	v_ashrrev_i32_e32 v163, 31, v167
	s_delay_alu instid0(VALU_DEP_1) | instskip(SKIP_4) | instid1(VALU_DEP_1)
	v_xor_b32_e32 v167, s15, v163
	ds_load_b32 v163, v165 offset:32
	v_add_nc_u32_e32 v165, 32, v165
	v_bitop3_b32 v164, v164, v166, v177 bitop3:0x80
	v_xor_b32_e32 v166, s14, v176
	; wave barrier
	v_bitop3_b32 v166, v164, v167, v166 bitop3:0x80
	s_delay_alu instid0(VALU_DEP_1) | instskip(SKIP_1) | instid1(VALU_DEP_2)
	v_mbcnt_lo_u32_b32 v164, v166, 0
	v_cmp_ne_u32_e64 s15, 0, v166
	v_cmp_eq_u32_e64 s14, 0, v164
	s_and_b32 s15, s15, s14
	s_delay_alu instid0(SALU_CYCLE_1)
	s_and_saveexec_b32 s14, s15
	s_cbranch_execz .LBB700_67
; %bb.66:                               ;   in Loop: Header=BB700_53 Depth=1
	s_wait_dscnt 0x0
	v_bcnt_u32_b32 v166, v166, v163
	ds_store_b32 v165, v166
.LBB700_67:                             ;   in Loop: Header=BB700_53 Depth=1
	s_or_b32 exec_lo, exec_lo, s14
	v_lshrrev_b64 v[166:167], v10, v[80:81]
	; wave barrier
	s_delay_alu instid0(VALU_DEP_1) | instskip(SKIP_1) | instid1(VALU_DEP_2)
	v_and_b32_e32 v167, v166, v147
	v_bitop3_b32 v166, v166, 1, v147 bitop3:0x80
	v_lshlrev_b32_e32 v178, 30, v167
	s_delay_alu instid0(VALU_DEP_2) | instskip(NEXT) | instid1(VALU_DEP_1)
	v_add_co_u32 v166, s14, v166, -1
	v_cndmask_b32_e64 v177, 0, 1, s14
	s_delay_alu instid0(VALU_DEP_1) | instskip(NEXT) | instid1(VALU_DEP_4)
	v_cmp_ne_u32_e64 s14, 0, v177
	v_not_b32_e32 v177, v178
	s_delay_alu instid0(VALU_DEP_1)
	v_dual_ashrrev_i32 v177, 31, v177 :: v_dual_bitop2_b32 v166, s14, v166 bitop3:0x14
	v_dual_lshlrev_b32 v179, 29, v167 :: v_dual_lshlrev_b32 v180, 28, v167
	v_lshlrev_b32_e32 v181, 27, v167
	v_cmp_gt_i32_e64 s15, 0, v178
	s_set_vgpr_msb 16                       ;  msbs: dst=0 src0=0 src1=0 src2=1
	v_lshl_add_u32 v176, v167, 3, v41 /*v297*/
	v_cmp_gt_i32_e64 s16, 0, v179
	v_not_b32_e32 v178, v179
	v_not_b32_e32 v179, v180
	v_dual_lshlrev_b32 v182, 26, v167 :: v_dual_lshlrev_b32 v183, 25, v167
	v_lshlrev_b32_e32 v167, 24, v167
	v_cmp_gt_i32_e64 s17, 0, v180
	v_not_b32_e32 v180, v181
	v_dual_ashrrev_i32 v178, 31, v178 :: v_dual_ashrrev_i32 v179, 31, v179
	v_xor_b32_e32 v177, s15, v177
	v_cmp_gt_i32_e64 s18, 0, v181
	v_not_b32_e32 v181, v182
	s_delay_alu instid0(VALU_DEP_4)
	v_dual_ashrrev_i32 v180, 31, v180 :: v_dual_bitop2_b32 v178, s16, v178 bitop3:0x14
	v_xor_b32_e32 v179, s17, v179
	v_bitop3_b32 v166, v166, v177, exec_lo bitop3:0x80
	v_cmp_gt_i32_e64 s14, 0, v182
	v_ashrrev_i32_e32 v177, 31, v181
	v_not_b32_e32 v181, v183
	v_xor_b32_e32 v180, s18, v180
	s_set_vgpr_msb 0                        ;  msbs: dst=0 src0=0 src1=0 src2=0
	v_bitop3_b32 v166, v166, v179, v178 bitop3:0x80
	v_not_b32_e32 v178, v167
	v_cmp_gt_i32_e64 s15, 0, v167
	v_ashrrev_i32_e32 v179, 31, v181
	v_lshl_add_u32 v176, v176, 2, v12
	v_xor_b32_e32 v177, s14, v177
	v_cmp_gt_i32_e64 s14, 0, v183
	v_ashrrev_i32_e32 v167, 31, v178
	s_delay_alu instid0(VALU_DEP_3) | instskip(NEXT) | instid1(VALU_DEP_3)
	v_bitop3_b32 v177, v166, v177, v180 bitop3:0x80
	v_xor_b32_e32 v178, s14, v179
	s_delay_alu instid0(VALU_DEP_3) | instskip(SKIP_3) | instid1(VALU_DEP_1)
	v_xor_b32_e32 v167, s15, v167
	ds_load_b32 v166, v176 offset:32
	v_add_nc_u32_e32 v176, 32, v176
	; wave barrier
	v_bitop3_b32 v177, v177, v167, v178 bitop3:0x80
	v_mbcnt_lo_u32_b32 v167, v177, 0
	v_cmp_ne_u32_e64 s15, 0, v177
	s_delay_alu instid0(VALU_DEP_2) | instskip(SKIP_1) | instid1(SALU_CYCLE_1)
	v_cmp_eq_u32_e64 s14, 0, v167
	s_and_b32 s15, s15, s14
	s_and_saveexec_b32 s14, s15
	s_cbranch_execz .LBB700_69
; %bb.68:                               ;   in Loop: Header=BB700_53 Depth=1
	s_wait_dscnt 0x0
	v_bcnt_u32_b32 v177, v177, v166
	ds_store_b32 v176, v177
.LBB700_69:                             ;   in Loop: Header=BB700_53 Depth=1
	s_or_b32 exec_lo, exec_lo, s14
	v_lshrrev_b64 v[178:179], v10, v[84:85]
	; wave barrier
	s_delay_alu instid0(VALU_DEP_1) | instskip(SKIP_1) | instid1(VALU_DEP_2)
	v_and_b32_e32 v177, v178, v147
	v_bitop3_b32 v178, v178, 1, v147 bitop3:0x80
	v_lshlrev_b32_e32 v181, 30, v177
	s_delay_alu instid0(VALU_DEP_2) | instskip(NEXT) | instid1(VALU_DEP_1)
	v_add_co_u32 v178, s14, v178, -1
	v_cndmask_b32_e64 v180, 0, 1, s14
	s_delay_alu instid0(VALU_DEP_1) | instskip(NEXT) | instid1(VALU_DEP_4)
	v_cmp_ne_u32_e64 s14, 0, v180
	v_not_b32_e32 v180, v181
	s_delay_alu instid0(VALU_DEP_1)
	v_dual_ashrrev_i32 v180, 31, v180 :: v_dual_bitop2_b32 v178, s14, v178 bitop3:0x14
	v_dual_lshlrev_b32 v182, 29, v177 :: v_dual_lshlrev_b32 v183, 28, v177
	v_lshlrev_b32_e32 v192, 27, v177
	v_cmp_gt_i32_e64 s15, 0, v181
	s_set_vgpr_msb 16                       ;  msbs: dst=0 src0=0 src1=0 src2=1
	v_lshl_add_u32 v179, v177, 3, v41 /*v297*/
	v_cmp_gt_i32_e64 s16, 0, v182
	v_not_b32_e32 v181, v182
	v_not_b32_e32 v182, v183
	v_dual_lshlrev_b32 v193, 26, v177 :: v_dual_lshlrev_b32 v194, 25, v177
	v_lshlrev_b32_e32 v177, 24, v177
	v_cmp_gt_i32_e64 s17, 0, v183
	v_not_b32_e32 v183, v192
	v_dual_ashrrev_i32 v181, 31, v181 :: v_dual_ashrrev_i32 v182, 31, v182
	v_xor_b32_e32 v180, s15, v180
	v_cmp_gt_i32_e64 s18, 0, v192
	v_not_b32_e32 v192, v193
	s_delay_alu instid0(VALU_DEP_4)
	v_dual_ashrrev_i32 v183, 31, v183 :: v_dual_bitop2_b32 v181, s16, v181 bitop3:0x14
	v_xor_b32_e32 v182, s17, v182
	v_bitop3_b32 v178, v178, v180, exec_lo bitop3:0x80
	v_cmp_gt_i32_e64 s14, 0, v193
	v_ashrrev_i32_e32 v180, 31, v192
	v_not_b32_e32 v192, v194
	v_xor_b32_e32 v183, s18, v183
	s_set_vgpr_msb 0                        ;  msbs: dst=0 src0=0 src1=0 src2=0
	v_bitop3_b32 v178, v178, v182, v181 bitop3:0x80
	v_not_b32_e32 v181, v177
	v_cmp_gt_i32_e64 s15, 0, v177
	v_ashrrev_i32_e32 v182, 31, v192
	v_lshl_add_u32 v179, v179, 2, v12
	v_xor_b32_e32 v180, s14, v180
	v_cmp_gt_i32_e64 s14, 0, v194
	v_ashrrev_i32_e32 v177, 31, v181
	s_delay_alu instid0(VALU_DEP_1) | instskip(SKIP_4) | instid1(VALU_DEP_1)
	v_xor_b32_e32 v181, s15, v177
	ds_load_b32 v177, v179 offset:32
	v_add_nc_u32_e32 v179, 32, v179
	v_bitop3_b32 v178, v178, v180, v183 bitop3:0x80
	v_xor_b32_e32 v180, s14, v182
	; wave barrier
	v_bitop3_b32 v180, v178, v181, v180 bitop3:0x80
	s_delay_alu instid0(VALU_DEP_1) | instskip(SKIP_1) | instid1(VALU_DEP_2)
	v_mbcnt_lo_u32_b32 v178, v180, 0
	v_cmp_ne_u32_e64 s15, 0, v180
	v_cmp_eq_u32_e64 s14, 0, v178
	s_and_b32 s15, s15, s14
	s_delay_alu instid0(SALU_CYCLE_1)
	s_and_saveexec_b32 s14, s15
	s_cbranch_execz .LBB700_71
; %bb.70:                               ;   in Loop: Header=BB700_53 Depth=1
	s_wait_dscnt 0x0
	v_bcnt_u32_b32 v180, v180, v177
	ds_store_b32 v179, v180
.LBB700_71:                             ;   in Loop: Header=BB700_53 Depth=1
	s_or_b32 exec_lo, exec_lo, s14
	v_lshrrev_b64 v[180:181], v10, v[86:87]
	; wave barrier
	s_delay_alu instid0(VALU_DEP_1) | instskip(SKIP_1) | instid1(VALU_DEP_2)
	v_and_b32_e32 v181, v180, v147
	v_bitop3_b32 v180, v180, 1, v147 bitop3:0x80
	v_dual_lshlrev_b32 v192, 30, v181 :: v_dual_lshlrev_b32 v193, 29, v181
	s_delay_alu instid0(VALU_DEP_2) | instskip(NEXT) | instid1(VALU_DEP_1)
	v_add_co_u32 v180, s14, v180, -1
	v_cndmask_b32_e64 v183, 0, 1, s14
	s_delay_alu instid0(VALU_DEP_3) | instskip(NEXT) | instid1(VALU_DEP_4)
	v_cmp_gt_i32_e64 s15, 0, v192
	v_cmp_gt_i32_e64 s16, 0, v193
	s_delay_alu instid0(VALU_DEP_3) | instskip(SKIP_2) | instid1(VALU_DEP_1)
	v_cmp_ne_u32_e64 s14, 0, v183
	v_not_b32_e32 v183, v192
	v_not_b32_e32 v192, v193
	v_dual_ashrrev_i32 v183, 31, v183 :: v_dual_ashrrev_i32 v192, 31, v192
	v_dual_lshlrev_b32 v194, 28, v181 :: v_dual_lshlrev_b32 v195, 27, v181
	s_set_vgpr_msb 16                       ;  msbs: dst=0 src0=0 src1=0 src2=1
	v_lshl_add_u32 v182, v181, 3, v41 /*v297*/
	v_dual_lshlrev_b32 v196, 26, v181 :: v_dual_lshlrev_b32 v197, 25, v181
	v_lshlrev_b32_e32 v181, 24, v181
	v_not_b32_e32 v193, v194
	v_cmp_gt_i32_e64 s17, 0, v194
	v_not_b32_e32 v194, v195
	v_xor_b32_e32 v180, s14, v180
	s_delay_alu instid0(VALU_DEP_4) | instskip(SKIP_3) | instid1(VALU_DEP_4)
	v_dual_ashrrev_i32 v193, 31, v193 :: v_dual_bitop2_b32 v183, s15, v183 bitop3:0x14
	v_cmp_gt_i32_e64 s18, 0, v195
	v_not_b32_e32 v195, v196
	v_dual_ashrrev_i32 v194, 31, v194 :: v_dual_bitop2_b32 v192, s16, v192 bitop3:0x14
	v_xor_b32_e32 v193, s17, v193
	v_bitop3_b32 v180, v180, v183, exec_lo bitop3:0x80
	v_cmp_gt_i32_e64 s14, 0, v196
	v_ashrrev_i32_e32 v183, 31, v195
	v_not_b32_e32 v195, v197
	v_xor_b32_e32 v194, s18, v194
	s_set_vgpr_msb 0                        ;  msbs: dst=0 src0=0 src1=0 src2=0
	v_bitop3_b32 v180, v180, v193, v192 bitop3:0x80
	v_not_b32_e32 v192, v181
	v_cmp_gt_i32_e64 s15, 0, v181
	v_ashrrev_i32_e32 v193, 31, v195
	v_lshl_add_u32 v182, v182, 2, v12
	v_xor_b32_e32 v183, s14, v183
	v_cmp_gt_i32_e64 s14, 0, v197
	v_ashrrev_i32_e32 v181, 31, v192
	s_delay_alu instid0(VALU_DEP_3) | instskip(NEXT) | instid1(VALU_DEP_3)
	v_bitop3_b32 v183, v180, v183, v194 bitop3:0x80
	v_xor_b32_e32 v192, s14, v193
	s_delay_alu instid0(VALU_DEP_3) | instskip(SKIP_3) | instid1(VALU_DEP_1)
	v_xor_b32_e32 v181, s15, v181
	ds_load_b32 v180, v182 offset:32
	v_add_nc_u32_e32 v182, 32, v182
	; wave barrier
	v_bitop3_b32 v183, v183, v181, v192 bitop3:0x80
	v_mbcnt_lo_u32_b32 v181, v183, 0
	v_cmp_ne_u32_e64 s15, 0, v183
	s_delay_alu instid0(VALU_DEP_2) | instskip(SKIP_1) | instid1(SALU_CYCLE_1)
	v_cmp_eq_u32_e64 s14, 0, v181
	s_and_b32 s15, s15, s14
	s_and_saveexec_b32 s14, s15
	s_cbranch_execz .LBB700_73
; %bb.72:                               ;   in Loop: Header=BB700_53 Depth=1
	s_wait_dscnt 0x0
	v_bcnt_u32_b32 v183, v183, v180
	ds_store_b32 v182, v183
.LBB700_73:                             ;   in Loop: Header=BB700_53 Depth=1
	s_or_b32 exec_lo, exec_lo, s14
	v_lshrrev_b64 v[192:193], v10, v[98:99]
	; wave barrier
	s_delay_alu instid0(VALU_DEP_1) | instskip(SKIP_1) | instid1(VALU_DEP_2)
	v_and_b32_e32 v183, v192, v147
	v_bitop3_b32 v192, v192, 1, v147 bitop3:0x80
	v_lshlrev_b32_e32 v195, 30, v183
	s_delay_alu instid0(VALU_DEP_2) | instskip(NEXT) | instid1(VALU_DEP_1)
	v_add_co_u32 v192, s14, v192, -1
	v_cndmask_b32_e64 v194, 0, 1, s14
	s_delay_alu instid0(VALU_DEP_1) | instskip(NEXT) | instid1(VALU_DEP_4)
	v_cmp_ne_u32_e64 s14, 0, v194
	v_not_b32_e32 v194, v195
	s_delay_alu instid0(VALU_DEP_1)
	v_dual_ashrrev_i32 v194, 31, v194 :: v_dual_bitop2_b32 v192, s14, v192 bitop3:0x14
	v_dual_lshlrev_b32 v196, 29, v183 :: v_dual_lshlrev_b32 v197, 28, v183
	v_lshlrev_b32_e32 v198, 27, v183
	v_cmp_gt_i32_e64 s15, 0, v195
	s_set_vgpr_msb 16                       ;  msbs: dst=0 src0=0 src1=0 src2=1
	v_lshl_add_u32 v193, v183, 3, v41 /*v297*/
	v_cmp_gt_i32_e64 s16, 0, v196
	v_not_b32_e32 v195, v196
	v_not_b32_e32 v196, v197
	v_dual_lshlrev_b32 v199, 26, v183 :: v_dual_lshlrev_b32 v208, 25, v183
	v_lshlrev_b32_e32 v183, 24, v183
	v_cmp_gt_i32_e64 s17, 0, v197
	v_not_b32_e32 v197, v198
	v_dual_ashrrev_i32 v195, 31, v195 :: v_dual_ashrrev_i32 v196, 31, v196
	v_xor_b32_e32 v194, s15, v194
	v_cmp_gt_i32_e64 s18, 0, v198
	v_not_b32_e32 v198, v199
	s_delay_alu instid0(VALU_DEP_4)
	v_dual_ashrrev_i32 v197, 31, v197 :: v_dual_bitop2_b32 v195, s16, v195 bitop3:0x14
	v_xor_b32_e32 v196, s17, v196
	v_bitop3_b32 v192, v192, v194, exec_lo bitop3:0x80
	v_cmp_gt_i32_e64 s14, 0, v199
	v_ashrrev_i32_e32 v194, 31, v198
	v_not_b32_e32 v198, v208
	v_xor_b32_e32 v197, s18, v197
	s_set_vgpr_msb 0                        ;  msbs: dst=0 src0=0 src1=0 src2=0
	v_bitop3_b32 v192, v192, v196, v195 bitop3:0x80
	v_not_b32_e32 v195, v183
	v_cmp_gt_i32_e64 s15, 0, v183
	v_ashrrev_i32_e32 v196, 31, v198
	v_lshl_add_u32 v193, v193, 2, v12
	v_xor_b32_e32 v194, s14, v194
	v_cmp_gt_i32_e64 s14, 0, v208
	v_ashrrev_i32_e32 v183, 31, v195
	s_delay_alu instid0(VALU_DEP_1) | instskip(SKIP_4) | instid1(VALU_DEP_1)
	v_xor_b32_e32 v195, s15, v183
	ds_load_b32 v183, v193 offset:32
	v_add_nc_u32_e32 v193, 32, v193
	v_bitop3_b32 v192, v192, v194, v197 bitop3:0x80
	v_xor_b32_e32 v194, s14, v196
	; wave barrier
	v_bitop3_b32 v194, v192, v195, v194 bitop3:0x80
	s_delay_alu instid0(VALU_DEP_1) | instskip(SKIP_1) | instid1(VALU_DEP_2)
	v_mbcnt_lo_u32_b32 v192, v194, 0
	v_cmp_ne_u32_e64 s15, 0, v194
	v_cmp_eq_u32_e64 s14, 0, v192
	s_and_b32 s15, s15, s14
	s_delay_alu instid0(SALU_CYCLE_1)
	s_and_saveexec_b32 s14, s15
	s_cbranch_execz .LBB700_75
; %bb.74:                               ;   in Loop: Header=BB700_53 Depth=1
	s_wait_dscnt 0x0
	v_bcnt_u32_b32 v194, v194, v183
	ds_store_b32 v193, v194
.LBB700_75:                             ;   in Loop: Header=BB700_53 Depth=1
	s_or_b32 exec_lo, exec_lo, s14
	v_lshrrev_b64 v[194:195], v10, v[96:97]
	; wave barrier
	s_delay_alu instid0(VALU_DEP_1) | instskip(SKIP_1) | instid1(VALU_DEP_2)
	v_and_b32_e32 v195, v194, v147
	v_bitop3_b32 v194, v194, 1, v147 bitop3:0x80
	v_lshlrev_b32_e32 v198, 30, v195
	s_delay_alu instid0(VALU_DEP_2) | instskip(NEXT) | instid1(VALU_DEP_1)
	v_add_co_u32 v194, s14, v194, -1
	v_cndmask_b32_e64 v197, 0, 1, s14
	s_delay_alu instid0(VALU_DEP_1) | instskip(NEXT) | instid1(VALU_DEP_4)
	v_cmp_ne_u32_e64 s14, 0, v197
	v_not_b32_e32 v197, v198
	s_delay_alu instid0(VALU_DEP_1)
	v_dual_ashrrev_i32 v197, 31, v197 :: v_dual_bitop2_b32 v194, s14, v194 bitop3:0x14
	v_dual_lshlrev_b32 v199, 29, v195 :: v_dual_lshlrev_b32 v208, 28, v195
	v_lshlrev_b32_e32 v209, 27, v195
	v_cmp_gt_i32_e64 s15, 0, v198
	s_set_vgpr_msb 16                       ;  msbs: dst=0 src0=0 src1=0 src2=1
	v_lshl_add_u32 v196, v195, 3, v41 /*v297*/
	v_cmp_gt_i32_e64 s16, 0, v199
	v_not_b32_e32 v198, v199
	v_not_b32_e32 v199, v208
	v_dual_lshlrev_b32 v210, 26, v195 :: v_dual_lshlrev_b32 v211, 25, v195
	v_lshlrev_b32_e32 v195, 24, v195
	v_cmp_gt_i32_e64 s17, 0, v208
	v_not_b32_e32 v208, v209
	v_dual_ashrrev_i32 v198, 31, v198 :: v_dual_ashrrev_i32 v199, 31, v199
	v_xor_b32_e32 v197, s15, v197
	v_cmp_gt_i32_e64 s18, 0, v209
	v_not_b32_e32 v209, v210
	s_delay_alu instid0(VALU_DEP_4)
	v_dual_ashrrev_i32 v208, 31, v208 :: v_dual_bitop2_b32 v198, s16, v198 bitop3:0x14
	v_xor_b32_e32 v199, s17, v199
	v_bitop3_b32 v194, v194, v197, exec_lo bitop3:0x80
	v_cmp_gt_i32_e64 s14, 0, v210
	v_ashrrev_i32_e32 v197, 31, v209
	v_not_b32_e32 v209, v211
	v_xor_b32_e32 v208, s18, v208
	s_set_vgpr_msb 0                        ;  msbs: dst=0 src0=0 src1=0 src2=0
	v_bitop3_b32 v194, v194, v199, v198 bitop3:0x80
	v_not_b32_e32 v198, v195
	v_cmp_gt_i32_e64 s15, 0, v195
	v_ashrrev_i32_e32 v199, 31, v209
	v_lshl_add_u32 v196, v196, 2, v12
	v_xor_b32_e32 v197, s14, v197
	v_cmp_gt_i32_e64 s14, 0, v211
	v_ashrrev_i32_e32 v195, 31, v198
	s_delay_alu instid0(VALU_DEP_3) | instskip(NEXT) | instid1(VALU_DEP_3)
	v_bitop3_b32 v197, v194, v197, v208 bitop3:0x80
	v_xor_b32_e32 v198, s14, v199
	s_delay_alu instid0(VALU_DEP_3) | instskip(SKIP_3) | instid1(VALU_DEP_1)
	v_xor_b32_e32 v195, s15, v195
	ds_load_b32 v194, v196 offset:32
	v_add_nc_u32_e32 v196, 32, v196
	; wave barrier
	v_bitop3_b32 v197, v197, v195, v198 bitop3:0x80
	v_mbcnt_lo_u32_b32 v195, v197, 0
	v_cmp_ne_u32_e64 s15, 0, v197
	s_delay_alu instid0(VALU_DEP_2) | instskip(SKIP_1) | instid1(SALU_CYCLE_1)
	v_cmp_eq_u32_e64 s14, 0, v195
	s_and_b32 s15, s15, s14
	s_and_saveexec_b32 s14, s15
	s_cbranch_execz .LBB700_77
; %bb.76:                               ;   in Loop: Header=BB700_53 Depth=1
	s_wait_dscnt 0x0
	v_bcnt_u32_b32 v197, v197, v194
	ds_store_b32 v196, v197
.LBB700_77:                             ;   in Loop: Header=BB700_53 Depth=1
	s_or_b32 exec_lo, exec_lo, s14
	v_lshrrev_b64 v[198:199], v10, v[112:113]
	; wave barrier
	s_delay_alu instid0(VALU_DEP_1) | instskip(SKIP_1) | instid1(VALU_DEP_2)
	v_and_b32_e32 v197, v198, v147
	v_bitop3_b32 v198, v198, 1, v147 bitop3:0x80
	v_lshlrev_b32_e32 v209, 30, v197
	s_delay_alu instid0(VALU_DEP_2) | instskip(NEXT) | instid1(VALU_DEP_1)
	v_add_co_u32 v198, s14, v198, -1
	v_cndmask_b32_e64 v208, 0, 1, s14
	s_delay_alu instid0(VALU_DEP_1) | instskip(NEXT) | instid1(VALU_DEP_4)
	v_cmp_ne_u32_e64 s14, 0, v208
	v_not_b32_e32 v208, v209
	s_delay_alu instid0(VALU_DEP_1)
	v_dual_ashrrev_i32 v208, 31, v208 :: v_dual_bitop2_b32 v198, s14, v198 bitop3:0x14
	v_dual_lshlrev_b32 v210, 29, v197 :: v_dual_lshlrev_b32 v211, 28, v197
	v_lshlrev_b32_e32 v212, 27, v197
	v_cmp_gt_i32_e64 s15, 0, v209
	s_set_vgpr_msb 16                       ;  msbs: dst=0 src0=0 src1=0 src2=1
	v_lshl_add_u32 v199, v197, 3, v41 /*v297*/
	v_cmp_gt_i32_e64 s16, 0, v210
	v_not_b32_e32 v209, v210
	v_not_b32_e32 v210, v211
	v_dual_lshlrev_b32 v213, 26, v197 :: v_dual_lshlrev_b32 v214, 25, v197
	v_lshlrev_b32_e32 v197, 24, v197
	v_cmp_gt_i32_e64 s17, 0, v211
	v_not_b32_e32 v211, v212
	v_dual_ashrrev_i32 v209, 31, v209 :: v_dual_ashrrev_i32 v210, 31, v210
	v_xor_b32_e32 v208, s15, v208
	v_cmp_gt_i32_e64 s18, 0, v212
	v_not_b32_e32 v212, v213
	s_delay_alu instid0(VALU_DEP_4)
	v_dual_ashrrev_i32 v211, 31, v211 :: v_dual_bitop2_b32 v209, s16, v209 bitop3:0x14
	v_xor_b32_e32 v210, s17, v210
	v_bitop3_b32 v198, v198, v208, exec_lo bitop3:0x80
	v_cmp_gt_i32_e64 s14, 0, v213
	v_ashrrev_i32_e32 v208, 31, v212
	v_not_b32_e32 v212, v214
	v_xor_b32_e32 v211, s18, v211
	s_set_vgpr_msb 0                        ;  msbs: dst=0 src0=0 src1=0 src2=0
	v_bitop3_b32 v198, v198, v210, v209 bitop3:0x80
	v_not_b32_e32 v209, v197
	v_cmp_gt_i32_e64 s15, 0, v197
	v_ashrrev_i32_e32 v210, 31, v212
	v_lshl_add_u32 v199, v199, 2, v12
	v_xor_b32_e32 v208, s14, v208
	v_cmp_gt_i32_e64 s14, 0, v214
	v_ashrrev_i32_e32 v197, 31, v209
	s_delay_alu instid0(VALU_DEP_1) | instskip(SKIP_4) | instid1(VALU_DEP_1)
	v_xor_b32_e32 v209, s15, v197
	ds_load_b32 v197, v199 offset:32
	v_add_nc_u32_e32 v199, 32, v199
	v_bitop3_b32 v198, v198, v208, v211 bitop3:0x80
	v_xor_b32_e32 v208, s14, v210
	; wave barrier
	v_bitop3_b32 v208, v198, v209, v208 bitop3:0x80
	s_delay_alu instid0(VALU_DEP_1) | instskip(SKIP_1) | instid1(VALU_DEP_2)
	v_mbcnt_lo_u32_b32 v198, v208, 0
	v_cmp_ne_u32_e64 s15, 0, v208
	v_cmp_eq_u32_e64 s14, 0, v198
	s_and_b32 s15, s15, s14
	s_delay_alu instid0(SALU_CYCLE_1)
	s_and_saveexec_b32 s14, s15
	s_cbranch_execz .LBB700_79
; %bb.78:                               ;   in Loop: Header=BB700_53 Depth=1
	s_wait_dscnt 0x0
	v_bcnt_u32_b32 v208, v208, v197
	ds_store_b32 v199, v208
.LBB700_79:                             ;   in Loop: Header=BB700_53 Depth=1
	s_or_b32 exec_lo, exec_lo, s14
	v_lshrrev_b64 v[208:209], v10, v[102:103]
	; wave barrier
	s_delay_alu instid0(VALU_DEP_1) | instskip(SKIP_1) | instid1(VALU_DEP_2)
	v_and_b32_e32 v209, v208, v147
	v_bitop3_b32 v208, v208, 1, v147 bitop3:0x80
	v_dual_lshlrev_b32 v212, 30, v209 :: v_dual_lshlrev_b32 v213, 29, v209
	s_delay_alu instid0(VALU_DEP_2) | instskip(NEXT) | instid1(VALU_DEP_1)
	v_add_co_u32 v208, s14, v208, -1
	v_cndmask_b32_e64 v211, 0, 1, s14
	s_delay_alu instid0(VALU_DEP_3) | instskip(NEXT) | instid1(VALU_DEP_4)
	v_cmp_gt_i32_e64 s15, 0, v212
	v_cmp_gt_i32_e64 s16, 0, v213
	s_delay_alu instid0(VALU_DEP_3) | instskip(SKIP_2) | instid1(VALU_DEP_1)
	v_cmp_ne_u32_e64 s14, 0, v211
	v_not_b32_e32 v211, v212
	v_not_b32_e32 v212, v213
	v_dual_ashrrev_i32 v211, 31, v211 :: v_dual_ashrrev_i32 v212, 31, v212
	v_dual_lshlrev_b32 v214, 28, v209 :: v_dual_lshlrev_b32 v215, 27, v209
	s_set_vgpr_msb 16                       ;  msbs: dst=0 src0=0 src1=0 src2=1
	v_lshl_add_u32 v210, v209, 3, v41 /*v297*/
	v_dual_lshlrev_b32 v224, 26, v209 :: v_dual_lshlrev_b32 v225, 25, v209
	v_lshlrev_b32_e32 v209, 24, v209
	v_not_b32_e32 v213, v214
	v_cmp_gt_i32_e64 s17, 0, v214
	v_not_b32_e32 v214, v215
	v_xor_b32_e32 v208, s14, v208
	s_delay_alu instid0(VALU_DEP_4) | instskip(SKIP_3) | instid1(VALU_DEP_4)
	v_dual_ashrrev_i32 v213, 31, v213 :: v_dual_bitop2_b32 v211, s15, v211 bitop3:0x14
	v_cmp_gt_i32_e64 s18, 0, v215
	v_not_b32_e32 v215, v224
	v_dual_ashrrev_i32 v214, 31, v214 :: v_dual_bitop2_b32 v212, s16, v212 bitop3:0x14
	v_xor_b32_e32 v213, s17, v213
	v_bitop3_b32 v208, v208, v211, exec_lo bitop3:0x80
	v_cmp_gt_i32_e64 s14, 0, v224
	v_ashrrev_i32_e32 v211, 31, v215
	v_not_b32_e32 v215, v225
	v_xor_b32_e32 v214, s18, v214
	s_set_vgpr_msb 0                        ;  msbs: dst=0 src0=0 src1=0 src2=0
	v_bitop3_b32 v208, v208, v213, v212 bitop3:0x80
	v_not_b32_e32 v212, v209
	v_cmp_gt_i32_e64 s15, 0, v209
	v_ashrrev_i32_e32 v213, 31, v215
	v_lshl_add_u32 v210, v210, 2, v12
	v_xor_b32_e32 v211, s14, v211
	v_cmp_gt_i32_e64 s14, 0, v225
	v_ashrrev_i32_e32 v209, 31, v212
	s_delay_alu instid0(VALU_DEP_3) | instskip(NEXT) | instid1(VALU_DEP_3)
	v_bitop3_b32 v211, v208, v211, v214 bitop3:0x80
	v_xor_b32_e32 v212, s14, v213
	s_delay_alu instid0(VALU_DEP_3) | instskip(SKIP_3) | instid1(VALU_DEP_1)
	v_xor_b32_e32 v209, s15, v209
	ds_load_b32 v208, v210 offset:32
	v_add_nc_u32_e32 v210, 32, v210
	; wave barrier
	v_bitop3_b32 v211, v211, v209, v212 bitop3:0x80
	v_mbcnt_lo_u32_b32 v209, v211, 0
	v_cmp_ne_u32_e64 s15, 0, v211
	s_delay_alu instid0(VALU_DEP_2) | instskip(SKIP_1) | instid1(SALU_CYCLE_1)
	v_cmp_eq_u32_e64 s14, 0, v209
	s_and_b32 s15, s15, s14
	s_and_saveexec_b32 s14, s15
	s_cbranch_execz .LBB700_81
; %bb.80:                               ;   in Loop: Header=BB700_53 Depth=1
	s_wait_dscnt 0x0
	v_bcnt_u32_b32 v211, v211, v208
	ds_store_b32 v210, v211
.LBB700_81:                             ;   in Loop: Header=BB700_53 Depth=1
	s_or_b32 exec_lo, exec_lo, s14
	v_lshrrev_b64 v[212:213], v10, v[100:101]
	; wave barrier
	s_delay_alu instid0(VALU_DEP_1) | instskip(SKIP_1) | instid1(VALU_DEP_2)
	v_and_b32_e32 v211, v212, v147
	v_bitop3_b32 v212, v212, 1, v147 bitop3:0x80
	v_lshlrev_b32_e32 v215, 30, v211
	s_delay_alu instid0(VALU_DEP_2) | instskip(NEXT) | instid1(VALU_DEP_1)
	v_add_co_u32 v212, s14, v212, -1
	v_cndmask_b32_e64 v214, 0, 1, s14
	s_delay_alu instid0(VALU_DEP_1) | instskip(NEXT) | instid1(VALU_DEP_4)
	v_cmp_ne_u32_e64 s14, 0, v214
	v_not_b32_e32 v214, v215
	s_delay_alu instid0(VALU_DEP_1)
	v_dual_ashrrev_i32 v214, 31, v214 :: v_dual_bitop2_b32 v212, s14, v212 bitop3:0x14
	v_dual_lshlrev_b32 v224, 29, v211 :: v_dual_lshlrev_b32 v225, 28, v211
	v_lshlrev_b32_e32 v226, 27, v211
	v_cmp_gt_i32_e64 s15, 0, v215
	s_set_vgpr_msb 16                       ;  msbs: dst=0 src0=0 src1=0 src2=1
	v_lshl_add_u32 v213, v211, 3, v41 /*v297*/
	v_cmp_gt_i32_e64 s16, 0, v224
	v_not_b32_e32 v215, v224
	v_not_b32_e32 v224, v225
	v_dual_lshlrev_b32 v227, 26, v211 :: v_dual_lshlrev_b32 v228, 25, v211
	v_lshlrev_b32_e32 v211, 24, v211
	v_cmp_gt_i32_e64 s17, 0, v225
	v_not_b32_e32 v225, v226
	v_dual_ashrrev_i32 v215, 31, v215 :: v_dual_ashrrev_i32 v224, 31, v224
	v_xor_b32_e32 v214, s15, v214
	v_cmp_gt_i32_e64 s18, 0, v226
	v_not_b32_e32 v226, v227
	s_delay_alu instid0(VALU_DEP_4)
	v_dual_ashrrev_i32 v225, 31, v225 :: v_dual_bitop2_b32 v215, s16, v215 bitop3:0x14
	v_xor_b32_e32 v224, s17, v224
	v_bitop3_b32 v212, v212, v214, exec_lo bitop3:0x80
	v_cmp_gt_i32_e64 s14, 0, v227
	v_ashrrev_i32_e32 v214, 31, v226
	v_not_b32_e32 v226, v228
	v_xor_b32_e32 v225, s18, v225
	s_set_vgpr_msb 0                        ;  msbs: dst=0 src0=0 src1=0 src2=0
	v_bitop3_b32 v212, v212, v224, v215 bitop3:0x80
	v_not_b32_e32 v215, v211
	v_cmp_gt_i32_e64 s15, 0, v211
	v_ashrrev_i32_e32 v224, 31, v226
	v_lshl_add_u32 v213, v213, 2, v12
	v_xor_b32_e32 v214, s14, v214
	v_cmp_gt_i32_e64 s14, 0, v228
	v_ashrrev_i32_e32 v211, 31, v215
	s_delay_alu instid0(VALU_DEP_1) | instskip(SKIP_4) | instid1(VALU_DEP_1)
	v_xor_b32_e32 v215, s15, v211
	ds_load_b32 v211, v213 offset:32
	v_add_nc_u32_e32 v213, 32, v213
	v_bitop3_b32 v212, v212, v214, v225 bitop3:0x80
	v_xor_b32_e32 v214, s14, v224
	; wave barrier
	v_bitop3_b32 v214, v212, v215, v214 bitop3:0x80
	s_delay_alu instid0(VALU_DEP_1) | instskip(SKIP_1) | instid1(VALU_DEP_2)
	v_mbcnt_lo_u32_b32 v212, v214, 0
	v_cmp_ne_u32_e64 s15, 0, v214
	v_cmp_eq_u32_e64 s14, 0, v212
	s_and_b32 s15, s15, s14
	s_delay_alu instid0(SALU_CYCLE_1)
	s_and_saveexec_b32 s14, s15
	s_cbranch_execz .LBB700_83
; %bb.82:                               ;   in Loop: Header=BB700_53 Depth=1
	s_wait_dscnt 0x0
	v_bcnt_u32_b32 v214, v214, v211
	ds_store_b32 v213, v214
.LBB700_83:                             ;   in Loop: Header=BB700_53 Depth=1
	s_or_b32 exec_lo, exec_lo, s14
	v_lshrrev_b64 v[214:215], v10, v[114:115]
	; wave barrier
	s_delay_alu instid0(VALU_DEP_1) | instskip(SKIP_1) | instid1(VALU_DEP_2)
	v_and_b32_e32 v215, v214, v147
	v_bitop3_b32 v147, v214, 1, v147 bitop3:0x80
	v_lshlrev_b32_e32 v225, 30, v215
	s_delay_alu instid0(VALU_DEP_2) | instskip(NEXT) | instid1(VALU_DEP_1)
	v_add_co_u32 v147, s14, v147, -1
	v_cndmask_b32_e64 v224, 0, 1, s14
	s_delay_alu instid0(VALU_DEP_1) | instskip(NEXT) | instid1(VALU_DEP_4)
	v_cmp_ne_u32_e64 s14, 0, v224
	v_not_b32_e32 v224, v225
	s_delay_alu instid0(VALU_DEP_1)
	v_dual_ashrrev_i32 v224, 31, v224 :: v_dual_lshlrev_b32 v226, 29, v215
	v_dual_lshlrev_b32 v227, 28, v215 :: v_dual_lshlrev_b32 v228, 27, v215
	v_cmp_gt_i32_e64 s15, 0, v225
	s_set_vgpr_msb 16                       ;  msbs: dst=0 src0=0 src1=0 src2=1
	v_lshl_add_u32 v214, v215, 3, v41 /*v297*/
	v_cmp_gt_i32_e64 s16, 0, v226
	v_not_b32_e32 v225, v226
	v_not_b32_e32 v226, v227
	v_dual_lshlrev_b32 v229, 26, v215 :: v_dual_lshlrev_b32 v230, 25, v215
	s_delay_alu instid0(VALU_DEP_3)
	v_dual_lshlrev_b32 v215, 24, v215 :: v_dual_ashrrev_i32 v225, 31, v225
	v_cmp_gt_i32_e64 s17, 0, v227
	v_not_b32_e32 v227, v228
	v_dual_ashrrev_i32 v226, 31, v226 :: v_dual_bitop2_b32 v147, s14, v147 bitop3:0x14
	v_xor_b32_e32 v224, s15, v224
	v_cmp_gt_i32_e64 s18, 0, v228
	v_not_b32_e32 v228, v229
	v_dual_ashrrev_i32 v227, 31, v227 :: v_dual_bitop2_b32 v225, s16, v225 bitop3:0x14
	v_xor_b32_e32 v226, s17, v226
	v_bitop3_b32 v147, v147, v224, exec_lo bitop3:0x80
	v_cmp_gt_i32_e64 s14, 0, v229
	v_ashrrev_i32_e32 v224, 31, v228
	v_not_b32_e32 v228, v230
	v_xor_b32_e32 v227, s18, v227
	s_set_vgpr_msb 0                        ;  msbs: dst=0 src0=0 src1=0 src2=0
	v_bitop3_b32 v147, v147, v226, v225 bitop3:0x80
	v_not_b32_e32 v225, v215
	v_cmp_gt_i32_e64 s15, 0, v215
	s_delay_alu instid0(VALU_DEP_2) | instskip(SKIP_3) | instid1(VALU_DEP_4)
	v_dual_ashrrev_i32 v226, 31, v228 :: v_dual_ashrrev_i32 v215, 31, v225
	v_lshl_add_u32 v225, v214, 2, v12
	v_xor_b32_e32 v224, s14, v224
	v_cmp_gt_i32_e64 s14, 0, v230
	v_xor_b32_e32 v215, s15, v215
	s_delay_alu instid0(VALU_DEP_3) | instskip(NEXT) | instid1(VALU_DEP_3)
	v_bitop3_b32 v214, v147, v224, v227 bitop3:0x80
	v_xor_b32_e32 v224, s14, v226
	ds_load_b32 v147, v225 offset:32
	; wave barrier
	v_bitop3_b32 v224, v214, v215, v224 bitop3:0x80
	v_add_nc_u32_e32 v215, 32, v225
	s_delay_alu instid0(VALU_DEP_2) | instskip(SKIP_1) | instid1(VALU_DEP_2)
	v_mbcnt_lo_u32_b32 v214, v224, 0
	v_cmp_ne_u32_e64 s15, 0, v224
	v_cmp_eq_u32_e64 s14, 0, v214
	s_and_b32 s15, s15, s14
	s_delay_alu instid0(SALU_CYCLE_1)
	s_and_saveexec_b32 s14, s15
	s_cbranch_execz .LBB700_85
; %bb.84:                               ;   in Loop: Header=BB700_53 Depth=1
	s_wait_dscnt 0x0
	v_bcnt_u32_b32 v224, v224, v147
	ds_store_b32 v215, v224
.LBB700_85:                             ;   in Loop: Header=BB700_53 Depth=1
	s_or_b32 exec_lo, exec_lo, s14
	; wave barrier
	s_wait_dscnt 0x0
	s_barrier_signal -1
	s_barrier_wait -1
	ds_load_b32 v228, v23
	ds_load_b32 v229, v39
	s_set_vgpr_msb 1                        ;  msbs: dst=0 src0=1 src1=0 src2=0
	ds_load_b32 v230, v35 /*v291*/
	ds_load_b32 v227, v36 /*v292*/
	;; [unrolled: 1-line block ×6, first 2 shown]
	s_wait_dscnt 0x6
	s_set_vgpr_msb 0                        ;  msbs: dst=0 src0=0 src1=0 src2=0
	v_add_nc_u32_e32 v240, v229, v228
	s_wait_dscnt 0x4
	s_delay_alu instid0(VALU_DEP_1) | instskip(SKIP_1) | instid1(VALU_DEP_1)
	v_add3_u32 v240, v240, v230, v227
	s_wait_dscnt 0x2
	v_add3_u32 v240, v240, v226, v225
	s_wait_dscnt 0x0
	s_delay_alu instid0(VALU_DEP_1) | instskip(NEXT) | instid1(VALU_DEP_1)
	v_add3_u32 v231, v240, v224, v231
	v_mov_b32_dpp v240, v231 row_shr:1 row_mask:0xf bank_mask:0xf
	s_delay_alu instid0(VALU_DEP_1) | instskip(NEXT) | instid1(VALU_DEP_1)
	v_cndmask_b32_e64 v240, v240, 0, vcc_lo
	v_add_nc_u32_e32 v231, v240, v231
	s_delay_alu instid0(VALU_DEP_1) | instskip(NEXT) | instid1(VALU_DEP_1)
	v_mov_b32_dpp v240, v231 row_shr:2 row_mask:0xf bank_mask:0xf
	v_cndmask_b32_e64 v240, 0, v240, s0
	s_delay_alu instid0(VALU_DEP_1) | instskip(NEXT) | instid1(VALU_DEP_1)
	v_add_nc_u32_e32 v231, v231, v240
	v_mov_b32_dpp v240, v231 row_shr:4 row_mask:0xf bank_mask:0xf
	s_delay_alu instid0(VALU_DEP_1) | instskip(NEXT) | instid1(VALU_DEP_1)
	v_cndmask_b32_e64 v240, 0, v240, s1
	v_add_nc_u32_e32 v231, v231, v240
	s_delay_alu instid0(VALU_DEP_1) | instskip(NEXT) | instid1(VALU_DEP_1)
	v_mov_b32_dpp v240, v231 row_shr:8 row_mask:0xf bank_mask:0xf
	v_cndmask_b32_e64 v240, 0, v240, s3
	s_delay_alu instid0(VALU_DEP_1) | instskip(SKIP_3) | instid1(VALU_DEP_1)
	v_add_nc_u32_e32 v231, v231, v240
	ds_swizzle_b32 v240, v231 offset:swizzle(BROADCAST,32,15)
	s_wait_dscnt 0x0
	v_cndmask_b32_e64 v240, v240, 0, s4
	v_add_nc_u32_e32 v231, v231, v240
	s_and_saveexec_b32 s14, s5
; %bb.86:                               ;   in Loop: Header=BB700_53 Depth=1
	s_set_vgpr_msb 1                        ;  msbs: dst=0 src0=1 src1=0 src2=0
	ds_store_b32 v43 /*v299*/, v231
; %bb.87:                               ;   in Loop: Header=BB700_53 Depth=1
	s_or_b32 exec_lo, exec_lo, s14
	s_wait_dscnt 0x0
	s_barrier_signal -1
	s_barrier_wait -1
	s_and_saveexec_b32 s14, s6
	s_set_vgpr_msb 0                        ;  msbs: dst=0 src0=0 src1=0 src2=0
	s_cbranch_execz .LBB700_89
; %bb.88:                               ;   in Loop: Header=BB700_53 Depth=1
	s_set_vgpr_msb 1                        ;  msbs: dst=0 src0=1 src1=0 src2=0
	ds_load_b32 v240, v44 /*v300*/
	s_wait_dscnt 0x0
	s_set_vgpr_msb 0                        ;  msbs: dst=0 src0=0 src1=0 src2=0
	v_mov_b32_dpp v241, v240 row_shr:1 row_mask:0xf bank_mask:0xf
	s_delay_alu instid0(VALU_DEP_1) | instskip(NEXT) | instid1(VALU_DEP_1)
	v_cndmask_b32_e64 v241, v241, 0, s11
	v_add_nc_u32_e32 v240, v241, v240
	s_delay_alu instid0(VALU_DEP_1) | instskip(NEXT) | instid1(VALU_DEP_1)
	v_mov_b32_dpp v241, v240 row_shr:2 row_mask:0xf bank_mask:0xf
	v_cndmask_b32_e64 v241, 0, v241, s12
	s_delay_alu instid0(VALU_DEP_1) | instskip(NEXT) | instid1(VALU_DEP_1)
	v_add_nc_u32_e32 v240, v240, v241
	v_mov_b32_dpp v241, v240 row_shr:4 row_mask:0xf bank_mask:0xf
	s_delay_alu instid0(VALU_DEP_1) | instskip(NEXT) | instid1(VALU_DEP_1)
	v_cndmask_b32_e64 v241, 0, v241, s13
	v_add_nc_u32_e32 v240, v240, v241
	s_set_vgpr_msb 1                        ;  msbs: dst=0 src0=1 src1=0 src2=0
	ds_store_b32 v44 /*v300*/, v240
.LBB700_89:                             ;   in Loop: Header=BB700_53 Depth=1
	s_or_b32 exec_lo, exec_lo, s14
	s_set_vgpr_msb 0                        ;  msbs: dst=0 src0=0 src1=0 src2=0
	v_mov_b32_e32 v240, 0
	s_wait_dscnt 0x0
	s_barrier_signal -1
	s_barrier_wait -1
	s_and_saveexec_b32 s14, s7
; %bb.90:                               ;   in Loop: Header=BB700_53 Depth=1
	s_set_vgpr_msb 1                        ;  msbs: dst=0 src0=1 src1=0 src2=0
	ds_load_b32 v240, v46 /*v302*/
; %bb.91:                               ;   in Loop: Header=BB700_53 Depth=1
	s_or_b32 exec_lo, exec_lo, s14
	s_wait_dscnt 0x0
	s_set_vgpr_msb 0                        ;  msbs: dst=0 src0=0 src1=0 src2=0
	v_dual_add_nc_u32 v231, v240, v231 :: v_dual_add_nc_u32 v10, 8, v10
	v_dual_mov_b32 v245, v1 :: v_dual_mov_b32 v247, v1
	s_set_vgpr_msb 64                       ;  msbs: dst=1 src0=0 src1=0 src2=0
	v_dual_mov_b32 v1 /*v257*/, v1 :: v_dual_mov_b32 v21 /*v277*/, v1
	s_set_vgpr_msb 1                        ;  msbs: dst=0 src0=1 src1=0 src2=0
	ds_bpermute_b32 v231, v42 /*v298*/, v231
	s_set_vgpr_msb 64                       ;  msbs: dst=1 src0=0 src1=0 src2=0
	v_dual_mov_b32 v23 /*v279*/, v1 :: v_dual_mov_b32 v25 /*v281*/, v1
	s_mov_b32 s16, -1
	s_wait_dscnt 0x0
	s_set_vgpr_msb 0                        ;  msbs: dst=0 src0=0 src1=0 src2=0
	v_dual_mov_b32 v243, v1 :: v_dual_cndmask_b32 v231, v231, v240, s2
	s_delay_alu instid0(VALU_DEP_1) | instskip(SKIP_2) | instid1(VALU_DEP_3)
	v_cndmask_b32_e64 v240, v231, 0, s10
	v_mov_b32_e32 v231, v1
	v_cmp_lt_u32_e64 s14, v10, v11
	v_add_nc_u32_e32 v228, v240, v228
	s_delay_alu instid0(VALU_DEP_1)
	v_dual_mov_b32 v229, v1 :: v_dual_add_nc_u32 v242, v228, v229
	ds_store_b32 v23, v240
	ds_store_b32 v39, v228
	s_set_vgpr_msb 1                        ;  msbs: dst=0 src0=1 src1=0 src2=0
	ds_store_b32 v35 /*v291*/, v242
	s_set_vgpr_msb 0                        ;  msbs: dst=0 src0=0 src1=0 src2=0
	v_dual_mov_b32 v241, v1 :: v_dual_add_nc_u32 v230, v242, v230
	s_delay_alu instid0(VALU_DEP_1) | instskip(NEXT) | instid1(VALU_DEP_1)
	v_dual_mov_b32 v227, v1 :: v_dual_add_nc_u32 v244, v230, v227
	v_add_nc_u32_e32 v226, v244, v226
	s_delay_alu instid0(VALU_DEP_1) | instskip(NEXT) | instid1(VALU_DEP_1)
	v_dual_mov_b32 v225, v1 :: v_dual_add_nc_u32 v246, v226, v225
	v_add_nc_u32_e32 v224, v246, v224
	s_set_vgpr_msb 1                        ;  msbs: dst=0 src0=1 src1=0 src2=0
	ds_store_b32 v36 /*v292*/, v230
	ds_store_b32 v37 /*v293*/, v244
	ds_store_b32 v38 /*v294*/, v226
	ds_store_b32 v39 /*v295*/, v246
	ds_store_b32 v40 /*v296*/, v224
	s_wait_dscnt 0x0
	s_barrier_signal -1
	s_barrier_wait -1
	s_set_vgpr_msb 0                        ;  msbs: dst=0 src0=0 src1=0 src2=0
	ds_load_b32 v130, v130
	ds_load_b32 v224, v133
	;; [unrolled: 1-line block ×16, first 2 shown]
	v_dual_mov_b32 v133, v1 :: v_dual_mov_b32 v151, v1
	v_mov_b32_e32 v165, v1
	s_wait_dscnt 0x0
	v_add_nc_u32_e32 v0, v130, v0
	v_add3_u32 v228, v132, v131, v224
	v_add3_u32 v230, v135, v134, v144
	;; [unrolled: 1-line block ×7, first 2 shown]
	s_set_vgpr_msb 64                       ;  msbs: dst=1 src0=0 src1=0 src2=0
	v_add3_u32 v0 /*v256*/, v178, v177, v179
	v_add3_u32 v20 /*v276*/, v181, v180, v182
	;; [unrolled: 1-line block ×4, first 2 shown]
	s_set_vgpr_msb 0                        ;  msbs: dst=0 src0=0 src1=0 src2=0
	v_add3_u32 v224, v198, v197, v199
	v_add3_u32 v132, v209, v208, v210
	;; [unrolled: 1-line block ×4, first 2 shown]
	s_set_vgpr_msb 64                       ;  msbs: dst=1 src0=0 src1=0 src2=0
	v_lshl_add_u64 v[2:3] /*v[258:259]*/, v[0:1], 3, v[12:13]
	v_lshl_add_u64 v[4:5] /*v[260:261]*/, v[228:229], 3, v[12:13]
	;; [unrolled: 1-line block ×8, first 2 shown]
	s_set_vgpr_msb 0x41                     ;  msbs: dst=1 src0=1 src1=0 src2=0
	v_lshl_add_u64 v[18:19] /*v[274:275]*/, v[0:1] /*v[256:257]*/, 3, v[12:13]
	v_lshl_add_u64 v[20:21] /*v[276:277]*/, v[20:21] /*v[276:277]*/, 3, v[12:13]
	;; [unrolled: 1-line block ×4, first 2 shown]
	s_set_vgpr_msb 64                       ;  msbs: dst=1 src0=0 src1=0 src2=0
	v_lshl_add_u64 v[26:27] /*v[282:283]*/, v[224:225], 3, v[12:13]
	v_lshl_add_u64 v[28:29] /*v[284:285]*/, v[132:133], 3, v[12:13]
	;; [unrolled: 1-line block ×4, first 2 shown]
                                        ; implicit-def: $vgpr194_vgpr195
                                        ; implicit-def: $vgpr196_vgpr197
                                        ; implicit-def: $vgpr198_vgpr199
                                        ; implicit-def: $vgpr208_vgpr209
                                        ; implicit-def: $vgpr210_vgpr211
                                        ; implicit-def: $vgpr212_vgpr213
                                        ; implicit-def: $vgpr214_vgpr215
                                        ; implicit-def: $vgpr224_vgpr225
                                        ; implicit-def: $vgpr226_vgpr227
                                        ; implicit-def: $vgpr228_vgpr229
                                        ; implicit-def: $vgpr240_vgpr241
                                        ; implicit-def: $vgpr230_vgpr231
                                        ; implicit-def: $vgpr242_vgpr243
                                        ; implicit-def: $vgpr244_vgpr245
                                        ; implicit-def: $vgpr246_vgpr247
                                        ; implicit-def: $vgpr256_vgpr257
                                        ; implicit-def: $vgpr132_vgpr133
                                        ; implicit-def: $vgpr130_vgpr131
                                        ; implicit-def: $vgpr144_vgpr145
                                        ; implicit-def: $vgpr134_vgpr135
                                        ; implicit-def: $vgpr148_vgpr149
                                        ; implicit-def: $vgpr146_vgpr147
                                        ; implicit-def: $vgpr160_vgpr161
                                        ; implicit-def: $vgpr150_vgpr151
                                        ; implicit-def: $vgpr176_vgpr177
                                        ; implicit-def: $vgpr166_vgpr167
                                        ; implicit-def: $vgpr164_vgpr165
                                        ; implicit-def: $vgpr162_vgpr163
                                        ; implicit-def: $vgpr180_vgpr181
                                        ; implicit-def: $vgpr178_vgpr179
                                        ; implicit-def: $vgpr192_vgpr193
                                        ; implicit-def: $vgpr182_vgpr183
	s_and_saveexec_b32 s15, s14
	s_set_vgpr_msb 0                        ;  msbs: dst=0 src0=0 src1=0 src2=0
	s_cbranch_execz .LBB700_52
; %bb.92:                               ;   in Loop: Header=BB700_53 Depth=1
	s_barrier_signal -1
	s_barrier_wait -1
	s_set_vgpr_msb 1                        ;  msbs: dst=0 src0=1 src1=0 src2=0
	ds_store_b64 v2 /*v258*/, v[48:49]
	ds_store_b64 v4 /*v260*/, v[64:65]
	;; [unrolled: 1-line block ×16, first 2 shown]
	s_wait_dscnt 0x0
	s_barrier_signal -1
	s_barrier_wait -1
	ds_load_b64 v[132:133], v45 /*v301*/
	ds_load_b64 v[130:131], v47 /*v303*/
	ds_load_b64 v[144:145], v48 /*v304*/
	ds_load_b64 v[134:135], v49 /*v305*/
	ds_load_b64 v[148:149], v50 /*v306*/
	ds_load_b64 v[146:147], v51 /*v307*/
	ds_load_b64 v[160:161], v52 /*v308*/
	ds_load_b64 v[150:151], v53 /*v309*/
	ds_load_b64 v[176:177], v54 /*v310*/
	ds_load_b64 v[166:167], v55 /*v311*/
	ds_load_b64 v[164:165], v56 /*v312*/
	ds_load_b64 v[162:163], v57 /*v313*/
	ds_load_b64 v[180:181], v58 /*v314*/
	ds_load_b64 v[178:179], v59 /*v315*/
	ds_load_b64 v[192:193], v60 /*v316*/
	ds_load_b64 v[182:183], v61 /*v317*/
	s_wait_dscnt 0x0
	s_barrier_signal -1
	s_barrier_wait -1
	ds_store_b64 v2 /*v258*/, v[32:33]
	ds_store_b64 v4 /*v260*/, v[30:31]
	;; [unrolled: 1-line block ×16, first 2 shown]
	s_wait_dscnt 0x0
	s_barrier_signal -1
	s_barrier_wait -1
	ds_load_b64 v[194:195], v45 /*v301*/
	ds_load_b64 v[196:197], v47 /*v303*/
	;; [unrolled: 1-line block ×15, first 2 shown]
	s_set_vgpr_msb 0x41                     ;  msbs: dst=1 src0=1 src1=0 src2=0
	ds_load_b64 v[0:1] /*v[256:257]*/, v61 /*v317*/
	s_set_vgpr_msb 0x44                     ;  msbs: dst=1 src0=0 src1=1 src2=0
	v_add_nc_u32_e32 v62 /*v318*/, -8, v62 /*v318*/
	s_xor_b32 s16, exec_lo, -1
	s_wait_dscnt 0x0
	s_barrier_signal -1
	s_barrier_wait -1
	s_set_vgpr_msb 0                        ;  msbs: dst=0 src0=0 src1=0 src2=0
	s_branch .LBB700_52
.LBB700_93:
	s_or_b32 exec_lo, exec_lo, s23
	v_lshl_add_u32 v0, v22, 3, v12
	s_barrier_signal -1
	s_barrier_wait -1
	s_set_vgpr_msb 1                        ;  msbs: dst=0 src0=1 src1=0 src2=0
	ds_store_b64 v2 /*v258*/, v[48:49]
	ds_store_b64 v4 /*v260*/, v[64:65]
	;; [unrolled: 1-line block ×16, first 2 shown]
	s_wait_dscnt 0x0
	s_barrier_signal -1
	s_barrier_wait -1
	s_set_vgpr_msb 0                        ;  msbs: dst=0 src0=0 src1=0 src2=0
	ds_load_2addr_stride64_b64 v[112:115], v0 offset1:4
	ds_load_2addr_stride64_b64 v[100:103], v0 offset0:8 offset1:12
	ds_load_2addr_stride64_b64 v[96:99], v0 offset0:16 offset1:20
	;; [unrolled: 1-line block ×7, first 2 shown]
	s_wait_dscnt 0x0
	s_barrier_signal -1
	s_barrier_wait -1
	s_set_vgpr_msb 1                        ;  msbs: dst=0 src0=1 src1=0 src2=0
	ds_store_b64 v2 /*v258*/, v[32:33]
	ds_store_b64 v4 /*v260*/, v[30:31]
	;; [unrolled: 1-line block ×16, first 2 shown]
	s_wait_dscnt 0x0
	s_barrier_signal -1
	s_barrier_wait -1
	s_set_vgpr_msb 4                        ;  msbs: dst=0 src0=0 src1=1 src2=0
	ds_load_2addr_stride64_b64 v[52:55], v0 offset1:4
	ds_load_2addr_stride64_b64 v[34:37], v0 offset0:8 offset1:12
	ds_load_2addr_stride64_b64 v[30:33], v0 offset0:16 offset1:20
	;; [unrolled: 1-line block ×7, first 2 shown]
	v_lshl_add_u64 v[0:1], v[8:9], 3, v[2:3]
	v_mov_b32_e32 v39, 0
	v_cmp_lt_u32_e32 vcc_lo, v38, v34 /*v290*/
	s_wait_dscnt 0x0
	s_barrier_signal -1
	s_barrier_wait -1
	v_lshl_add_u64 v[0:1], v[38:39], 3, v[0:1]
	s_and_saveexec_b32 s0, vcc_lo
	s_set_vgpr_msb 0                        ;  msbs: dst=0 src0=0 src1=0 src2=0
	s_cbranch_execz .LBB700_95
; %bb.94:
	v_xor_b32_e32 v3, 0x7fffffff, v113
	v_not_b32_e32 v2, v112
	flat_store_b64 v[0:1], v[2:3]
.LBB700_95:
	s_wait_xcnt 0x0
	s_or_b32 exec_lo, exec_lo, s0
	v_add_nc_u32_e32 v2, 0x100, v38
	s_set_vgpr_msb 4                        ;  msbs: dst=0 src0=0 src1=1 src2=0
	s_delay_alu instid0(VALU_DEP_1)
	v_cmp_lt_u32_e64 s0, v2, v34 /*v290*/
	s_and_saveexec_b32 s1, s0
	s_set_vgpr_msb 0                        ;  msbs: dst=0 src0=0 src1=0 src2=0
	s_cbranch_execz .LBB700_97
; %bb.96:
	v_xor_b32_e32 v3, 0x7fffffff, v115
	v_not_b32_e32 v2, v114
	flat_store_b64 v[0:1], v[2:3] offset:2048
.LBB700_97:
	s_wait_xcnt 0x0
	s_or_b32 exec_lo, exec_lo, s1
	v_add_nc_u32_e32 v2, 0x200, v38
	s_set_vgpr_msb 4                        ;  msbs: dst=0 src0=0 src1=1 src2=0
	s_delay_alu instid0(VALU_DEP_1)
	v_cmp_lt_u32_e64 s1, v2, v34 /*v290*/
	s_and_saveexec_b32 s2, s1
	s_set_vgpr_msb 0                        ;  msbs: dst=0 src0=0 src1=0 src2=0
	s_cbranch_execz .LBB700_99
; %bb.98:
	v_xor_b32_e32 v3, 0x7fffffff, v101
	v_not_b32_e32 v2, v100
	flat_store_b64 v[0:1], v[2:3] offset:4096
.LBB700_99:
	;; [unrolled: 14-line block ×15, first 2 shown]
	s_wait_xcnt 0x0
	s_or_b32 exec_lo, exec_lo, s17
	v_lshl_add_u64 v[0:1], v[8:9], 3, v[6:7]
	s_delay_alu instid0(VALU_DEP_1)
	v_lshl_add_u64 v[0:1], v[38:39], 3, v[0:1]
	s_and_saveexec_b32 s17, vcc_lo
	s_cbranch_execnz .LBB700_211
; %bb.126:
	s_or_b32 exec_lo, exec_lo, s17
	s_and_saveexec_b32 s17, s0
	s_cbranch_execnz .LBB700_212
.LBB700_127:
	s_or_b32 exec_lo, exec_lo, s17
	s_and_saveexec_b32 s0, s1
	s_cbranch_execnz .LBB700_213
.LBB700_128:
	s_or_b32 exec_lo, exec_lo, s0
	s_and_saveexec_b32 s0, s2
	s_cbranch_execnz .LBB700_214
.LBB700_129:
	s_or_b32 exec_lo, exec_lo, s0
	s_and_saveexec_b32 s0, s3
	s_cbranch_execnz .LBB700_215
.LBB700_130:
	s_or_b32 exec_lo, exec_lo, s0
	s_and_saveexec_b32 s0, s4
	s_cbranch_execnz .LBB700_216
.LBB700_131:
	s_or_b32 exec_lo, exec_lo, s0
	s_and_saveexec_b32 s0, s5
	s_cbranch_execnz .LBB700_217
.LBB700_132:
	s_or_b32 exec_lo, exec_lo, s0
	s_and_saveexec_b32 s0, s6
	s_cbranch_execnz .LBB700_218
.LBB700_133:
	s_or_b32 exec_lo, exec_lo, s0
	s_and_saveexec_b32 s0, s7
	s_cbranch_execnz .LBB700_219
.LBB700_134:
	s_or_b32 exec_lo, exec_lo, s0
	s_and_saveexec_b32 s0, s10
	s_cbranch_execnz .LBB700_220
.LBB700_135:
	s_or_b32 exec_lo, exec_lo, s0
	s_and_saveexec_b32 s0, s11
	s_cbranch_execnz .LBB700_221
.LBB700_136:
	s_or_b32 exec_lo, exec_lo, s0
	s_and_saveexec_b32 s0, s12
	s_cbranch_execnz .LBB700_222
.LBB700_137:
	s_or_b32 exec_lo, exec_lo, s0
	s_and_saveexec_b32 s0, s13
	s_cbranch_execnz .LBB700_223
.LBB700_138:
	s_or_b32 exec_lo, exec_lo, s0
	s_and_saveexec_b32 s0, s14
	s_cbranch_execnz .LBB700_224
.LBB700_139:
	s_or_b32 exec_lo, exec_lo, s0
	s_and_saveexec_b32 s0, s15
	s_cbranch_execnz .LBB700_225
.LBB700_140:
	s_or_b32 exec_lo, exec_lo, s0
	s_and_saveexec_b32 s0, s16
	s_cbranch_execz .LBB700_142
.LBB700_141:
	flat_store_b64 v[0:1], v[12:13] offset:30720
.LBB700_142:
	s_wait_xcnt 0x0
	s_or_b32 exec_lo, exec_lo, s0
                                        ; implicit-def: $vgpr290
                                        ; implicit-def: $vgpr8
                                        ; implicit-def: $vgpr10
                                        ; implicit-def: $vgpr11
                                        ; implicit-def: $vgpr0_vgpr1
                                        ; implicit-def: $vgpr2_vgpr3
                                        ; implicit-def: $vgpr4_vgpr5
                                        ; implicit-def: $vgpr6_vgpr7
                                        ; implicit-def: $vgpr12_vgpr13
                                        ; implicit-def: $vgpr9
                                        ; implicit-def: $vgpr14
                                        ; implicit-def: $vgpr22
                                        ; implicit-def: $vgpr34
.LBB700_143:
	s_and_not1_saveexec_b32 s0, s19
	s_cbranch_execz .LBB700_372
; %bb.144:
	s_mov_b32 s0, exec_lo
	s_set_vgpr_msb 4                        ;  msbs: dst=0 src0=0 src1=1 src2=0
	v_cmpx_lt_u32_e32 0x400, v34 /*v290*/
	s_xor_b32 s19, exec_lo, s0
	s_set_vgpr_msb 0                        ;  msbs: dst=0 src0=0 src1=0 src2=0
	s_cbranch_execz .LBB700_252
; %bb.145:
	s_load_b64 s[0:1], s[8:9], 0x0
	s_bfe_u32 s3, ttmp6, 0x4000c
	s_bfe_u32 s5, ttmp6, 0x40010
	s_and_b32 s4, ttmp7, 0xffff
	s_add_co_i32 s3, s3, 1
	s_add_co_i32 s5, s5, 1
	s_and_b32 s2, ttmp6, 15
	s_bfe_u32 s6, ttmp6, 0x40004
	s_mul_i32 s3, ttmp9, s3
	s_mul_i32 s5, s4, s5
	s_add_co_i32 s2, s2, s3
	s_add_co_i32 s6, s6, s5
	s_cmp_eq_u32 s21, 0
	v_mov_b64_e32 v[70:71], -1
	s_cselect_b32 s2, ttmp9, s2
	s_cselect_b32 s3, s4, s6
	v_mov_b64_e32 v[84:85], -1
	s_wait_kmcnt 0x0
	s_cmp_lt_u32 s2, s0
	s_cselect_b32 s0, 12, 18
	s_cmp_lt_u32 s3, s1
	s_mov_b32 s1, 0
	s_cselect_b32 s2, 14, 20
	s_mov_b32 s3, s1
	s_add_nc_u64 s[0:1], s[8:9], s[0:1]
	s_add_nc_u64 s[2:3], s[8:9], s[2:3]
	s_clause 0x1
	s_load_u16 s0, s[0:1], 0x0
	s_nop 0
	s_load_u16 s2, s[2:3], 0x0
	s_wait_kmcnt 0x0
	v_mad_u32_u24 v9, v14, s2, v9
	s_delay_alu instid0(VALU_DEP_1) | instskip(NEXT) | instid1(VALU_DEP_1)
	v_mad_u32 v38, v9, s0, v22
	v_dual_mov_b32 v9, 0 :: v_dual_lshlrev_b32 v14, 3, v38
	s_delay_alu instid0(VALU_DEP_1) | instskip(SKIP_1) | instid1(VALU_DEP_3)
	v_lshl_add_u64 v[16:17], v[8:9], 3, v[0:1]
	v_dual_mov_b32 v1, v9 :: v_dual_lshlrev_b32 v0, 3, v34
	v_and_b32_e32 v14, 0xffffff00, v14
	v_mov_b32_e32 v15, v9
	s_delay_alu instid0(VALU_DEP_3) | instskip(NEXT) | instid1(VALU_DEP_3)
	v_add_nc_u64_e32 v[16:17], v[16:17], v[0:1]
	v_or_b32_e32 v1, v14, v34
	s_delay_alu instid0(VALU_DEP_2) | instskip(SKIP_1) | instid1(VALU_DEP_2)
	v_lshl_add_u64 v[16:17], v[14:15], 3, v[16:17]
	s_set_vgpr_msb 4                        ;  msbs: dst=0 src0=0 src1=1 src2=0
	v_cmp_lt_u32_e32 vcc_lo, v1, v34 /*v290*/
	s_and_saveexec_b32 s0, vcc_lo
	s_set_vgpr_msb 0                        ;  msbs: dst=0 src0=0 src1=0 src2=0
	s_cbranch_execz .LBB700_147
; %bb.146:
	flat_load_b64 v[18:19], v[16:17]
	s_wait_loadcnt_dscnt 0x0
	v_xor_b32_e32 v85, 0x7fffffff, v19
	v_not_b32_e32 v84, v18
.LBB700_147:
	s_wait_xcnt 0x0
	s_or_b32 exec_lo, exec_lo, s0
	v_or_b32_e32 v18, 32, v1
	s_set_vgpr_msb 4                        ;  msbs: dst=0 src0=0 src1=1 src2=0
	s_delay_alu instid0(VALU_DEP_1)
	v_cmp_lt_u32_e64 s0, v18, v34 /*v290*/
	s_and_saveexec_b32 s1, s0
	s_set_vgpr_msb 0                        ;  msbs: dst=0 src0=0 src1=0 src2=0
	s_cbranch_execz .LBB700_149
; %bb.148:
	flat_load_b64 v[18:19], v[16:17] offset:256
	s_wait_loadcnt_dscnt 0x0
	v_xor_b32_e32 v71, 0x7fffffff, v19
	v_not_b32_e32 v70, v18
.LBB700_149:
	s_wait_xcnt 0x0
	s_or_b32 exec_lo, exec_lo, s1
	v_or_b32_e32 v18, 64, v1
	v_mov_b64_e32 v[66:67], -1
	v_mov_b64_e32 v[68:69], -1
	s_set_vgpr_msb 4                        ;  msbs: dst=0 src0=0 src1=1 src2=0
	s_delay_alu instid0(VALU_DEP_3)
	v_cmp_lt_u32_e64 s1, v18, v34 /*v290*/
	s_and_saveexec_b32 s2, s1
	s_set_vgpr_msb 0                        ;  msbs: dst=0 src0=0 src1=0 src2=0
	s_cbranch_execz .LBB700_151
; %bb.150:
	flat_load_b64 v[18:19], v[16:17] offset:512
	s_wait_loadcnt_dscnt 0x0
	v_xor_b32_e32 v69, 0x7fffffff, v19
	v_not_b32_e32 v68, v18
.LBB700_151:
	s_wait_xcnt 0x0
	s_or_b32 exec_lo, exec_lo, s2
	v_or_b32_e32 v18, 0x60, v1
	s_set_vgpr_msb 4                        ;  msbs: dst=0 src0=0 src1=1 src2=0
	s_delay_alu instid0(VALU_DEP_1)
	v_cmp_lt_u32_e64 s2, v18, v34 /*v290*/
	s_and_saveexec_b32 s3, s2
	s_set_vgpr_msb 0                        ;  msbs: dst=0 src0=0 src1=0 src2=0
	s_cbranch_execz .LBB700_153
; %bb.152:
	flat_load_b64 v[18:19], v[16:17] offset:768
	s_wait_loadcnt_dscnt 0x0
	v_xor_b32_e32 v67, 0x7fffffff, v19
	v_not_b32_e32 v66, v18
.LBB700_153:
	s_wait_xcnt 0x0
	s_or_b32 exec_lo, exec_lo, s3
	v_or_b32_e32 v18, 0x80, v1
	v_mov_b64_e32 v[80:81], -1
	v_mov_b64_e32 v[82:83], -1
	s_set_vgpr_msb 4                        ;  msbs: dst=0 src0=0 src1=1 src2=0
	s_delay_alu instid0(VALU_DEP_3)
	v_cmp_lt_u32_e64 s3, v18, v34 /*v290*/
	s_and_saveexec_b32 s4, s3
	s_set_vgpr_msb 0                        ;  msbs: dst=0 src0=0 src1=0 src2=0
	s_cbranch_execz .LBB700_155
; %bb.154:
	flat_load_b64 v[18:19], v[16:17] offset:1024
	s_wait_loadcnt_dscnt 0x0
	v_xor_b32_e32 v83, 0x7fffffff, v19
	v_not_b32_e32 v82, v18
.LBB700_155:
	;; [unrolled: 32-line block ×3, first 2 shown]
	s_wait_xcnt 0x0
	s_or_b32 exec_lo, exec_lo, s6
	v_or_b32_e32 v1, 0xe0, v1
	s_set_vgpr_msb 4                        ;  msbs: dst=0 src0=0 src1=1 src2=0
	s_delay_alu instid0(VALU_DEP_1)
	v_cmp_lt_u32_e64 s6, v1, v34 /*v290*/
	s_and_saveexec_b32 s7, s6
	s_set_vgpr_msb 0                        ;  msbs: dst=0 src0=0 src1=0 src2=0
	s_cbranch_execz .LBB700_161
; %bb.160:
	flat_load_b64 v[16:17], v[16:17] offset:1792
	s_wait_loadcnt_dscnt 0x0
	v_xor_b32_e32 v87, 0x7fffffff, v17
	v_not_b32_e32 v86, v16
.LBB700_161:
	s_wait_xcnt 0x0
	s_or_b32 exec_lo, exec_lo, s7
	v_lshl_add_u64 v[4:5], v[8:9], 3, v[4:5]
	v_mov_b32_e32 v1, 0
                                        ; implicit-def: $vgpr98_vgpr99
	s_delay_alu instid0(VALU_DEP_1) | instskip(NEXT) | instid1(VALU_DEP_1)
	v_add_nc_u64_e32 v[0:1], v[4:5], v[0:1]
	v_lshl_add_u64 v[0:1], v[14:15], 3, v[0:1]
	s_and_saveexec_b32 s7, vcc_lo
	s_cbranch_execnz .LBB700_285
; %bb.162:
	s_or_b32 exec_lo, exec_lo, s7
                                        ; implicit-def: $vgpr100_vgpr101
	s_and_saveexec_b32 s7, s0
	s_cbranch_execnz .LBB700_286
.LBB700_163:
	s_or_b32 exec_lo, exec_lo, s7
                                        ; implicit-def: $vgpr102_vgpr103
	s_and_saveexec_b32 s0, s1
	s_cbranch_execnz .LBB700_287
.LBB700_164:
	s_or_b32 exec_lo, exec_lo, s0
                                        ; implicit-def: $vgpr112_vgpr113
	s_and_saveexec_b32 s0, s2
	s_cbranch_execnz .LBB700_288
.LBB700_165:
	s_or_b32 exec_lo, exec_lo, s0
                                        ; implicit-def: $vgpr114_vgpr115
	s_and_saveexec_b32 s0, s3
	s_cbranch_execnz .LBB700_289
.LBB700_166:
	s_or_b32 exec_lo, exec_lo, s0
                                        ; implicit-def: $vgpr116_vgpr117
	s_and_saveexec_b32 s0, s4
	s_cbranch_execnz .LBB700_290
.LBB700_167:
	s_or_b32 exec_lo, exec_lo, s0
                                        ; implicit-def: $vgpr118_vgpr119
	s_and_saveexec_b32 s0, s5
	s_cbranch_execnz .LBB700_291
.LBB700_168:
	s_or_b32 exec_lo, exec_lo, s0
                                        ; implicit-def: $vgpr128_vgpr129
	s_and_saveexec_b32 s0, s6
	s_cbranch_execz .LBB700_170
.LBB700_169:
	flat_load_b64 v[128:129], v[0:1] offset:1792
.LBB700_170:
	s_wait_xcnt 0x0
	s_or_b32 exec_lo, exec_lo, s0
	v_lshl_add_u32 v0, v22, 5, v12
	v_lshlrev_b32_e32 v1, 3, v22
	v_sub_co_u32 v14, s2, v34, 1
	s_delay_alu instid0(VALU_DEP_3)
	v_dual_add_nc_u32 v23, 32, v0 :: v_dual_bitop2_b32 v5, 16, v34 bitop3:0x40
	v_dual_add_nc_u32 v39, 36, v0 :: v_dual_add_nc_u32 v162, 40, v0
	v_dual_add_nc_u32 v163, 44, v0 :: v_dual_add_nc_u32 v164, 48, v0
	v_dual_add_nc_u32 v165, 52, v0 :: v_dual_bitop2_b32 v4, 15, v34 bitop3:0x40
	v_dual_add_nc_u32 v166, 56, v0 :: v_dual_add_nc_u32 v167, 60, v0
	v_and_b32_e32 v0, 0x3e0, v22
	v_cmp_gt_i32_e64 s5, 0, v14
	s_get_pc_i64 s[0:1]
	s_add_nc_u64 s[0:1], s[0:1], _ZN7rocprim17ROCPRIM_400000_NS16block_radix_sortIlLj256ELj8ElLj1ELj1ELj8ELNS0_26block_radix_rank_algorithmE2ELNS0_18block_padding_hintE2ELNS0_4arch9wavefront6targetE0EE19radix_bits_per_passE@rel64+4
	v_cmp_eq_u32_e32 vcc_lo, 0, v4
	s_load_b32 s22, s[0:1], 0x0
	v_min_u32_e32 v0, 0xe0, v0
	v_lshrrev_b32_e32 v176, 5, v38
	s_wait_xcnt 0x0
	v_cmp_lt_u32_e64 s0, 1, v4
	v_cmp_lt_u32_e64 s1, 3, v4
	;; [unrolled: 1-line block ×3, first 2 shown]
	v_or_b32_e32 v0, 31, v0
	v_cmp_eq_u32_e64 s4, 0, v5
	v_cndmask_b32_e64 v5, v14, v34, s5
	v_lshrrev_b32_e32 v4, 3, v22
	v_cmp_gt_u32_e64 s6, 8, v22
	v_cmp_eq_u32_e64 s5, v22, v0
	v_cmp_lt_u32_e64 s7, 31, v22
	v_lshlrev_b32_e32 v177, 2, v5
	v_and_b32_e32 v0, 0x7c, v4
	v_and_or_b32 v4, 0x1f00, v1, v34
	v_and_b32_e32 v5, 7, v34
	v_cmp_eq_u32_e64 s10, 0, v22
	s_delay_alu instid0(VALU_DEP_4) | instskip(NEXT) | instid1(VALU_DEP_4)
	v_dual_mov_b32 v1, 0 :: v_dual_add_nc_u32 v178, v12, v0
	v_lshl_add_u32 v180, v4, 3, v12
	s_delay_alu instid0(VALU_DEP_4)
	v_cmp_eq_u32_e64 s11, 0, v5
	v_cmp_lt_u32_e64 s12, 1, v5
	v_cmp_lt_u32_e64 s13, 3, v5
	v_mov_b64_e32 v[4:5], 0
	v_lshl_add_u32 v179, v22, 2, v12
	v_add_nc_u32_e32 v181, -4, v178
	v_add_nc_u32_e32 v182, 0x100, v180
	v_add_nc_u32_e32 v183, 0x200, v180
	;; [unrolled: 1-line block ×7, first 2 shown]
	v_sub_nc_u32_e32 v197, v11, v10
	s_mov_b32 s23, 0
	s_wait_storecnt 0x0
	s_wait_loadcnt_dscnt 0x0
	s_barrier_signal -1
	s_barrier_wait -1
	s_branch .LBB700_172
.LBB700_171:                            ;   in Loop: Header=BB700_172 Depth=1
	s_or_b32 exec_lo, exec_lo, s15
	s_delay_alu instid0(SALU_CYCLE_1) | instskip(NEXT) | instid1(SALU_CYCLE_1)
	s_and_b32 s14, exec_lo, s16
	s_or_b32 s23, s14, s23
	s_delay_alu instid0(SALU_CYCLE_1)
	s_and_not1_b32 exec_lo, exec_lo, s23
	s_cbranch_execz .LBB700_226
.LBB700_172:                            ; =>This Inner Loop Header: Depth=1
	v_mov_b64_e32 v[26:27], v[84:85]
	s_wait_kmcnt 0x0
	v_min_u32_e32 v0, s22, v197
	v_mov_b64_e32 v[14:15], v[98:99]
	v_mov_b64_e32 v[16:17], v[100:101]
	v_mov_b64_e32 v[52:53], v[102:103]
	v_mov_b64_e32 v[24:25], v[112:113]
	v_lshlrev_b32_e64 v84, v0, -1
	v_lshrrev_b64 v[28:29], v10, v[26:27]
	v_mov_b64_e32 v[20:21], v[114:115]
	v_mov_b64_e32 v[18:19], v[116:117]
	;; [unrolled: 1-line block ×4, first 2 shown]
	ds_store_b64 v23, v[4:5]
	ds_store_b64 v162, v[4:5]
	;; [unrolled: 1-line block ×4, first 2 shown]
	v_bitop3_b32 v0, v28, v84, v28 bitop3:0x30
	v_bitop3_b32 v30, v28, 1, v84 bitop3:0x40
	v_mov_b64_e32 v[28:29], v[70:71]
	s_wait_dscnt 0x0
	s_barrier_signal -1
	v_dual_lshlrev_b32 v31, 30, v0 :: v_dual_lshlrev_b32 v33, 29, v0
	v_add_co_u32 v30, s14, v30, -1
	s_delay_alu instid0(VALU_DEP_1) | instskip(SKIP_1) | instid1(VALU_DEP_4)
	v_cndmask_b32_e64 v32, 0, 1, s14
	v_dual_lshlrev_b32 v34, 28, v0 :: v_dual_lshlrev_b32 v35, 27, v0
	v_not_b32_e32 v36, v31
	v_cmp_gt_i32_e64 s15, 0, v31
	s_delay_alu instid0(VALU_DEP_4)
	v_cmp_ne_u32_e64 s14, 0, v32
	v_cmp_gt_i32_e64 s16, 0, v33
	v_not_b32_e32 v31, v33
	v_ashrrev_i32_e32 v32, 31, v36
	v_not_b32_e32 v33, v34
	v_cmp_gt_i32_e64 s17, 0, v34
	s_delay_alu instid0(VALU_DEP_4) | instskip(NEXT) | instid1(VALU_DEP_3)
	v_dual_ashrrev_i32 v31, 31, v31 :: v_dual_bitop2_b32 v30, s14, v30 bitop3:0x14
	v_dual_ashrrev_i32 v33, 31, v33 :: v_dual_bitop2_b32 v32, s15, v32 bitop3:0x14
	v_lshlrev_b32_e32 v34, 26, v0
	v_not_b32_e32 v36, v35
	s_delay_alu instid0(VALU_DEP_4) | instskip(NEXT) | instid1(VALU_DEP_4)
	v_xor_b32_e32 v31, s16, v31
	v_bitop3_b32 v30, v30, v32, exec_lo bitop3:0x80
	v_xor_b32_e32 v32, s17, v33
	v_cmp_gt_i32_e64 s14, 0, v35
	v_not_b32_e32 v33, v34
	v_ashrrev_i32_e32 v35, 31, v36
	v_lshlrev_b32_e32 v36, 25, v0
	v_cmp_gt_i32_e64 s15, 0, v34
	s_delay_alu instid0(VALU_DEP_4) | instskip(SKIP_1) | instid1(VALU_DEP_4)
	v_dual_lshlrev_b32 v34, 24, v0 :: v_dual_ashrrev_i32 v33, 31, v33
	v_bitop3_b32 v37, v30, v32, v31 bitop3:0x80
	v_not_b32_e32 v30, v36
	v_xor_b32_e32 v35, s14, v35
	s_delay_alu instid0(VALU_DEP_4)
	v_not_b32_e32 v31, v34
	v_xor_b32_e32 v48, s15, v33
	v_cmp_gt_i32_e64 s14, 0, v36
	v_ashrrev_i32_e32 v36, 31, v30
	v_cmp_gt_i32_e64 s15, 0, v34
	v_ashrrev_i32_e32 v34, 31, v31
	v_mov_b64_e32 v[30:31], v[66:67]
	v_bitop3_b32 v50, v37, v48, v35 bitop3:0x80
	v_xor_b32_e32 v51, s14, v36
	v_mov_b64_e32 v[32:33], v[68:69]
	v_xor_b32_e32 v66, s15, v34
	v_lshl_add_u32 v0, v0, 3, v176
	v_mov_b64_e32 v[48:49], v[82:83]
	v_mov_b64_e32 v[36:37], v[80:81]
	;; [unrolled: 1-line block ×3, first 2 shown]
	v_bitop3_b32 v68, v50, v66, v51 bitop3:0x80
	v_lshl_add_u64 v[66:67], v[0:1], 2, v[12:13]
	v_mov_b64_e32 v[50:51], v[86:87]
	s_barrier_wait -1
	s_delay_alu instid0(VALU_DEP_3) | instskip(NEXT) | instid1(VALU_DEP_3)
	v_mbcnt_lo_u32_b32 v0, v68, 0
	v_add_nc_u64_e32 v[66:67], 32, v[66:67]
	v_cmp_ne_u32_e64 s15, 0, v68
	; wave barrier
	s_delay_alu instid0(VALU_DEP_3) | instskip(SKIP_1) | instid1(SALU_CYCLE_1)
	v_cmp_eq_u32_e64 s14, 0, v0
	s_and_b32 s15, s15, s14
	s_and_saveexec_b32 s14, s15
; %bb.173:                              ;   in Loop: Header=BB700_172 Depth=1
	v_bcnt_u32_b32 v67, v68, 0
	ds_store_b32 v66, v67
; %bb.174:                              ;   in Loop: Header=BB700_172 Depth=1
	s_or_b32 exec_lo, exec_lo, s14
	v_lshrrev_b64 v[68:69], v10, v[28:29]
	v_not_b32_e32 v81, v84
	; wave barrier
	s_delay_alu instid0(VALU_DEP_1) | instskip(SKIP_1) | instid1(VALU_DEP_2)
	v_and_b32_e32 v67, v68, v81
	v_bitop3_b32 v68, v68, 1, v81 bitop3:0x80
	v_lshlrev_b32_e32 v71, 30, v67
	s_delay_alu instid0(VALU_DEP_2) | instskip(NEXT) | instid1(VALU_DEP_1)
	v_add_co_u32 v68, s14, v68, -1
	v_cndmask_b32_e64 v70, 0, 1, s14
	s_delay_alu instid0(VALU_DEP_1) | instskip(NEXT) | instid1(VALU_DEP_4)
	v_cmp_ne_u32_e64 s14, 0, v70
	v_not_b32_e32 v70, v71
	s_delay_alu instid0(VALU_DEP_1) | instskip(SKIP_4) | instid1(VALU_DEP_4)
	v_dual_ashrrev_i32 v70, 31, v70 :: v_dual_bitop2_b32 v68, s14, v68 bitop3:0x14
	v_dual_lshlrev_b32 v80, 29, v67 :: v_dual_lshlrev_b32 v82, 28, v67
	v_dual_lshlrev_b32 v83, 27, v67 :: v_dual_lshlrev_b32 v84, 26, v67
	v_lshlrev_b32_e32 v85, 25, v67
	v_cmp_gt_i32_e64 s15, 0, v71
	v_cmp_gt_i32_e64 s16, 0, v80
	v_not_b32_e32 v71, v80
	v_not_b32_e32 v80, v82
	v_lshl_add_u32 v69, v67, 3, v176
	v_lshlrev_b32_e32 v67, 24, v67
	v_cmp_gt_i32_e64 s17, 0, v82
	v_cmp_gt_i32_e64 s18, 0, v83
	v_dual_ashrrev_i32 v71, 31, v71 :: v_dual_ashrrev_i32 v80, 31, v80
	v_not_b32_e32 v82, v83
	v_not_b32_e32 v83, v84
	v_xor_b32_e32 v70, s15, v70
	s_delay_alu instid0(VALU_DEP_4)
	v_xor_b32_e32 v71, s16, v71
	v_cmp_gt_i32_e64 s14, 0, v84
	v_cmp_gt_i32_e64 s15, 0, v67
	v_lshl_add_u32 v69, v69, 2, v12
	v_bitop3_b32 v68, v68, v70, exec_lo bitop3:0x80
	v_dual_ashrrev_i32 v70, 31, v82 :: v_dual_ashrrev_i32 v82, 31, v83
	v_not_b32_e32 v83, v85
	v_xor_b32_e32 v80, s17, v80
	s_delay_alu instid0(VALU_DEP_1)
	v_bitop3_b32 v68, v68, v80, v71 bitop3:0x80
	v_not_b32_e32 v71, v67
	v_xor_b32_e32 v70, s18, v70
	v_xor_b32_e32 v80, s14, v82
	v_cmp_gt_i32_e64 s14, 0, v85
	v_ashrrev_i32_e32 v82, 31, v83
	v_ashrrev_i32_e32 v67, 31, v71
	s_delay_alu instid0(VALU_DEP_1) | instskip(SKIP_4) | instid1(VALU_DEP_1)
	v_xor_b32_e32 v71, s15, v67
	ds_load_b32 v67, v69 offset:32
	v_add_nc_u32_e32 v69, 32, v69
	v_bitop3_b32 v68, v68, v80, v70 bitop3:0x80
	v_xor_b32_e32 v70, s14, v82
	; wave barrier
	v_bitop3_b32 v70, v68, v71, v70 bitop3:0x80
	s_delay_alu instid0(VALU_DEP_1) | instskip(SKIP_1) | instid1(VALU_DEP_2)
	v_mbcnt_lo_u32_b32 v68, v70, 0
	v_cmp_ne_u32_e64 s15, 0, v70
	v_cmp_eq_u32_e64 s14, 0, v68
	s_and_b32 s15, s15, s14
	s_delay_alu instid0(SALU_CYCLE_1)
	s_and_saveexec_b32 s14, s15
	s_cbranch_execz .LBB700_176
; %bb.175:                              ;   in Loop: Header=BB700_172 Depth=1
	s_wait_dscnt 0x0
	v_bcnt_u32_b32 v70, v70, v67
	ds_store_b32 v69, v70
.LBB700_176:                            ;   in Loop: Header=BB700_172 Depth=1
	s_or_b32 exec_lo, exec_lo, s14
	v_lshrrev_b64 v[70:71], v10, v[32:33]
	; wave barrier
	s_delay_alu instid0(VALU_DEP_1) | instskip(SKIP_1) | instid1(VALU_DEP_2)
	v_and_b32_e32 v71, v70, v81
	v_bitop3_b32 v70, v70, 1, v81 bitop3:0x80
	v_lshlrev_b32_e32 v83, 30, v71
	s_delay_alu instid0(VALU_DEP_2) | instskip(NEXT) | instid1(VALU_DEP_1)
	v_add_co_u32 v70, s14, v70, -1
	v_cndmask_b32_e64 v82, 0, 1, s14
	s_delay_alu instid0(VALU_DEP_1) | instskip(NEXT) | instid1(VALU_DEP_4)
	v_cmp_ne_u32_e64 s14, 0, v82
	v_not_b32_e32 v82, v83
	s_delay_alu instid0(VALU_DEP_2) | instskip(NEXT) | instid1(VALU_DEP_2)
	v_xor_b32_e32 v70, s14, v70
	v_dual_ashrrev_i32 v82, 31, v82 :: v_dual_lshlrev_b32 v84, 29, v71
	v_dual_lshlrev_b32 v85, 28, v71 :: v_dual_lshlrev_b32 v86, 27, v71
	v_cmp_gt_i32_e64 s15, 0, v83
	v_lshl_add_u32 v80, v71, 3, v176
	s_delay_alu instid0(VALU_DEP_4)
	v_cmp_gt_i32_e64 s16, 0, v84
	v_not_b32_e32 v83, v84
	v_not_b32_e32 v84, v85
	v_dual_lshlrev_b32 v87, 26, v71 :: v_dual_lshlrev_b32 v96, 25, v71
	v_lshlrev_b32_e32 v71, 24, v71
	v_cmp_gt_i32_e64 s17, 0, v85
	v_not_b32_e32 v85, v86
	v_dual_ashrrev_i32 v83, 31, v83 :: v_dual_ashrrev_i32 v84, 31, v84
	v_xor_b32_e32 v82, s15, v82
	v_cmp_gt_i32_e64 s18, 0, v86
	v_not_b32_e32 v86, v87
	s_delay_alu instid0(VALU_DEP_4)
	v_dual_ashrrev_i32 v85, 31, v85 :: v_dual_bitop2_b32 v83, s16, v83 bitop3:0x14
	v_xor_b32_e32 v84, s17, v84
	v_bitop3_b32 v70, v70, v82, exec_lo bitop3:0x80
	v_cmp_gt_i32_e64 s14, 0, v87
	v_ashrrev_i32_e32 v82, 31, v86
	v_not_b32_e32 v86, v96
	v_xor_b32_e32 v85, s18, v85
	v_bitop3_b32 v70, v70, v84, v83 bitop3:0x80
	v_not_b32_e32 v83, v71
	v_cmp_gt_i32_e64 s15, 0, v71
	v_ashrrev_i32_e32 v84, 31, v86
	v_lshl_add_u32 v80, v80, 2, v12
	v_xor_b32_e32 v82, s14, v82
	v_cmp_gt_i32_e64 s14, 0, v96
	v_ashrrev_i32_e32 v71, 31, v83
	s_delay_alu instid0(VALU_DEP_3) | instskip(NEXT) | instid1(VALU_DEP_3)
	v_bitop3_b32 v82, v70, v82, v85 bitop3:0x80
	v_xor_b32_e32 v83, s14, v84
	s_delay_alu instid0(VALU_DEP_3) | instskip(SKIP_3) | instid1(VALU_DEP_1)
	v_xor_b32_e32 v71, s15, v71
	ds_load_b32 v70, v80 offset:32
	v_add_nc_u32_e32 v80, 32, v80
	; wave barrier
	v_bitop3_b32 v82, v82, v71, v83 bitop3:0x80
	v_mbcnt_lo_u32_b32 v71, v82, 0
	v_cmp_ne_u32_e64 s15, 0, v82
	s_delay_alu instid0(VALU_DEP_2) | instskip(SKIP_1) | instid1(SALU_CYCLE_1)
	v_cmp_eq_u32_e64 s14, 0, v71
	s_and_b32 s15, s15, s14
	s_and_saveexec_b32 s14, s15
	s_cbranch_execz .LBB700_178
; %bb.177:                              ;   in Loop: Header=BB700_172 Depth=1
	s_wait_dscnt 0x0
	v_bcnt_u32_b32 v82, v82, v70
	ds_store_b32 v80, v82
.LBB700_178:                            ;   in Loop: Header=BB700_172 Depth=1
	s_or_b32 exec_lo, exec_lo, s14
	v_lshrrev_b64 v[82:83], v10, v[30:31]
	; wave barrier
	s_delay_alu instid0(VALU_DEP_1) | instskip(SKIP_1) | instid1(VALU_DEP_2)
	v_and_b32_e32 v83, v82, v81
	v_bitop3_b32 v82, v82, 1, v81 bitop3:0x80
	v_dual_lshlrev_b32 v86, 30, v83 :: v_dual_lshlrev_b32 v87, 29, v83
	s_delay_alu instid0(VALU_DEP_2) | instskip(NEXT) | instid1(VALU_DEP_1)
	v_add_co_u32 v82, s14, v82, -1
	v_cndmask_b32_e64 v85, 0, 1, s14
	s_delay_alu instid0(VALU_DEP_3) | instskip(NEXT) | instid1(VALU_DEP_4)
	v_cmp_gt_i32_e64 s15, 0, v86
	v_cmp_gt_i32_e64 s16, 0, v87
	s_delay_alu instid0(VALU_DEP_3) | instskip(SKIP_2) | instid1(VALU_DEP_1)
	v_cmp_ne_u32_e64 s14, 0, v85
	v_not_b32_e32 v85, v86
	v_not_b32_e32 v86, v87
	v_dual_ashrrev_i32 v85, 31, v85 :: v_dual_ashrrev_i32 v86, 31, v86
	v_dual_lshlrev_b32 v96, 28, v83 :: v_dual_lshlrev_b32 v97, 27, v83
	v_lshl_add_u32 v84, v83, 3, v176
	v_dual_lshlrev_b32 v98, 26, v83 :: v_dual_lshlrev_b32 v99, 25, v83
	v_lshlrev_b32_e32 v83, 24, v83
	s_delay_alu instid0(VALU_DEP_4) | instskip(SKIP_3) | instid1(VALU_DEP_4)
	v_not_b32_e32 v87, v96
	v_cmp_gt_i32_e64 s17, 0, v96
	v_not_b32_e32 v96, v97
	v_xor_b32_e32 v82, s14, v82
	v_dual_ashrrev_i32 v87, 31, v87 :: v_dual_bitop2_b32 v85, s15, v85 bitop3:0x14
	v_cmp_gt_i32_e64 s18, 0, v97
	v_not_b32_e32 v97, v98
	v_dual_ashrrev_i32 v96, 31, v96 :: v_dual_bitop2_b32 v86, s16, v86 bitop3:0x14
	s_delay_alu instid0(VALU_DEP_4)
	v_xor_b32_e32 v87, s17, v87
	v_bitop3_b32 v82, v82, v85, exec_lo bitop3:0x80
	v_cmp_gt_i32_e64 s14, 0, v98
	v_ashrrev_i32_e32 v85, 31, v97
	v_not_b32_e32 v97, v99
	v_xor_b32_e32 v96, s18, v96
	v_bitop3_b32 v82, v82, v87, v86 bitop3:0x80
	v_not_b32_e32 v86, v83
	v_cmp_gt_i32_e64 s15, 0, v83
	v_ashrrev_i32_e32 v87, 31, v97
	v_lshl_add_u32 v84, v84, 2, v12
	v_xor_b32_e32 v85, s14, v85
	v_cmp_gt_i32_e64 s14, 0, v99
	v_ashrrev_i32_e32 v83, 31, v86
	s_delay_alu instid0(VALU_DEP_3) | instskip(NEXT) | instid1(VALU_DEP_3)
	v_bitop3_b32 v85, v82, v85, v96 bitop3:0x80
	v_xor_b32_e32 v86, s14, v87
	s_delay_alu instid0(VALU_DEP_3) | instskip(SKIP_3) | instid1(VALU_DEP_1)
	v_xor_b32_e32 v83, s15, v83
	ds_load_b32 v82, v84 offset:32
	v_add_nc_u32_e32 v84, 32, v84
	; wave barrier
	v_bitop3_b32 v85, v85, v83, v86 bitop3:0x80
	v_mbcnt_lo_u32_b32 v83, v85, 0
	v_cmp_ne_u32_e64 s15, 0, v85
	s_delay_alu instid0(VALU_DEP_2) | instskip(SKIP_1) | instid1(SALU_CYCLE_1)
	v_cmp_eq_u32_e64 s14, 0, v83
	s_and_b32 s15, s15, s14
	s_and_saveexec_b32 s14, s15
	s_cbranch_execz .LBB700_180
; %bb.179:                              ;   in Loop: Header=BB700_172 Depth=1
	s_wait_dscnt 0x0
	v_bcnt_u32_b32 v85, v85, v82
	ds_store_b32 v84, v85
.LBB700_180:                            ;   in Loop: Header=BB700_172 Depth=1
	s_or_b32 exec_lo, exec_lo, s14
	v_lshrrev_b64 v[86:87], v10, v[48:49]
	; wave barrier
	s_delay_alu instid0(VALU_DEP_1) | instskip(SKIP_1) | instid1(VALU_DEP_2)
	v_and_b32_e32 v85, v86, v81
	v_bitop3_b32 v86, v86, 1, v81 bitop3:0x80
	v_lshlrev_b32_e32 v97, 30, v85
	s_delay_alu instid0(VALU_DEP_2) | instskip(NEXT) | instid1(VALU_DEP_1)
	v_add_co_u32 v86, s14, v86, -1
	v_cndmask_b32_e64 v96, 0, 1, s14
	s_delay_alu instid0(VALU_DEP_1) | instskip(NEXT) | instid1(VALU_DEP_4)
	v_cmp_ne_u32_e64 s14, 0, v96
	v_not_b32_e32 v96, v97
	s_delay_alu instid0(VALU_DEP_1) | instskip(SKIP_4) | instid1(VALU_DEP_4)
	v_dual_ashrrev_i32 v96, 31, v96 :: v_dual_bitop2_b32 v86, s14, v86 bitop3:0x14
	v_dual_lshlrev_b32 v98, 29, v85 :: v_dual_lshlrev_b32 v99, 28, v85
	v_lshlrev_b32_e32 v100, 27, v85
	v_cmp_gt_i32_e64 s15, 0, v97
	v_lshl_add_u32 v87, v85, 3, v176
	v_cmp_gt_i32_e64 s16, 0, v98
	v_not_b32_e32 v97, v98
	v_not_b32_e32 v98, v99
	v_dual_lshlrev_b32 v101, 26, v85 :: v_dual_lshlrev_b32 v102, 25, v85
	v_lshlrev_b32_e32 v85, 24, v85
	v_cmp_gt_i32_e64 s17, 0, v99
	v_not_b32_e32 v99, v100
	v_dual_ashrrev_i32 v97, 31, v97 :: v_dual_ashrrev_i32 v98, 31, v98
	v_xor_b32_e32 v96, s15, v96
	v_cmp_gt_i32_e64 s18, 0, v100
	v_not_b32_e32 v100, v101
	s_delay_alu instid0(VALU_DEP_4)
	v_dual_ashrrev_i32 v99, 31, v99 :: v_dual_bitop2_b32 v97, s16, v97 bitop3:0x14
	v_xor_b32_e32 v98, s17, v98
	v_bitop3_b32 v86, v86, v96, exec_lo bitop3:0x80
	v_cmp_gt_i32_e64 s14, 0, v101
	v_ashrrev_i32_e32 v96, 31, v100
	v_not_b32_e32 v100, v102
	v_xor_b32_e32 v99, s18, v99
	v_bitop3_b32 v86, v86, v98, v97 bitop3:0x80
	v_not_b32_e32 v97, v85
	v_cmp_gt_i32_e64 s15, 0, v85
	v_ashrrev_i32_e32 v98, 31, v100
	v_lshl_add_u32 v87, v87, 2, v12
	v_xor_b32_e32 v96, s14, v96
	v_cmp_gt_i32_e64 s14, 0, v102
	v_ashrrev_i32_e32 v85, 31, v97
	s_delay_alu instid0(VALU_DEP_1) | instskip(SKIP_4) | instid1(VALU_DEP_1)
	v_xor_b32_e32 v97, s15, v85
	ds_load_b32 v85, v87 offset:32
	v_add_nc_u32_e32 v87, 32, v87
	v_bitop3_b32 v86, v86, v96, v99 bitop3:0x80
	v_xor_b32_e32 v96, s14, v98
	; wave barrier
	v_bitop3_b32 v96, v86, v97, v96 bitop3:0x80
	s_delay_alu instid0(VALU_DEP_1) | instskip(SKIP_1) | instid1(VALU_DEP_2)
	v_mbcnt_lo_u32_b32 v86, v96, 0
	v_cmp_ne_u32_e64 s15, 0, v96
	v_cmp_eq_u32_e64 s14, 0, v86
	s_and_b32 s15, s15, s14
	s_delay_alu instid0(SALU_CYCLE_1)
	s_and_saveexec_b32 s14, s15
	s_cbranch_execz .LBB700_182
; %bb.181:                              ;   in Loop: Header=BB700_172 Depth=1
	s_wait_dscnt 0x0
	v_bcnt_u32_b32 v96, v96, v85
	ds_store_b32 v87, v96
.LBB700_182:                            ;   in Loop: Header=BB700_172 Depth=1
	s_or_b32 exec_lo, exec_lo, s14
	v_lshrrev_b64 v[96:97], v10, v[36:37]
	; wave barrier
	s_delay_alu instid0(VALU_DEP_1) | instskip(SKIP_1) | instid1(VALU_DEP_2)
	v_and_b32_e32 v97, v96, v81
	v_bitop3_b32 v96, v96, 1, v81 bitop3:0x80
	v_lshlrev_b32_e32 v100, 30, v97
	s_delay_alu instid0(VALU_DEP_2) | instskip(NEXT) | instid1(VALU_DEP_1)
	v_add_co_u32 v96, s14, v96, -1
	v_cndmask_b32_e64 v99, 0, 1, s14
	s_delay_alu instid0(VALU_DEP_1) | instskip(NEXT) | instid1(VALU_DEP_4)
	v_cmp_ne_u32_e64 s14, 0, v99
	v_not_b32_e32 v99, v100
	s_delay_alu instid0(VALU_DEP_1) | instskip(SKIP_4) | instid1(VALU_DEP_4)
	v_dual_ashrrev_i32 v99, 31, v99 :: v_dual_bitop2_b32 v96, s14, v96 bitop3:0x14
	v_dual_lshlrev_b32 v101, 29, v97 :: v_dual_lshlrev_b32 v102, 28, v97
	v_lshlrev_b32_e32 v103, 27, v97
	v_cmp_gt_i32_e64 s15, 0, v100
	v_lshl_add_u32 v98, v97, 3, v176
	v_cmp_gt_i32_e64 s16, 0, v101
	v_not_b32_e32 v100, v101
	v_not_b32_e32 v101, v102
	v_dual_lshlrev_b32 v112, 26, v97 :: v_dual_lshlrev_b32 v113, 25, v97
	v_lshlrev_b32_e32 v97, 24, v97
	v_cmp_gt_i32_e64 s17, 0, v102
	v_not_b32_e32 v102, v103
	v_dual_ashrrev_i32 v100, 31, v100 :: v_dual_ashrrev_i32 v101, 31, v101
	v_xor_b32_e32 v99, s15, v99
	v_cmp_gt_i32_e64 s18, 0, v103
	v_not_b32_e32 v103, v112
	s_delay_alu instid0(VALU_DEP_4)
	v_dual_ashrrev_i32 v102, 31, v102 :: v_dual_bitop2_b32 v100, s16, v100 bitop3:0x14
	v_xor_b32_e32 v101, s17, v101
	v_bitop3_b32 v96, v96, v99, exec_lo bitop3:0x80
	v_cmp_gt_i32_e64 s14, 0, v112
	v_ashrrev_i32_e32 v99, 31, v103
	v_not_b32_e32 v103, v113
	v_xor_b32_e32 v102, s18, v102
	v_bitop3_b32 v96, v96, v101, v100 bitop3:0x80
	v_not_b32_e32 v100, v97
	v_cmp_gt_i32_e64 s15, 0, v97
	v_ashrrev_i32_e32 v101, 31, v103
	v_lshl_add_u32 v98, v98, 2, v12
	v_xor_b32_e32 v99, s14, v99
	v_cmp_gt_i32_e64 s14, 0, v113
	v_ashrrev_i32_e32 v97, 31, v100
	s_delay_alu instid0(VALU_DEP_3) | instskip(NEXT) | instid1(VALU_DEP_3)
	v_bitop3_b32 v99, v96, v99, v102 bitop3:0x80
	v_xor_b32_e32 v100, s14, v101
	s_delay_alu instid0(VALU_DEP_3) | instskip(SKIP_3) | instid1(VALU_DEP_1)
	v_xor_b32_e32 v97, s15, v97
	ds_load_b32 v96, v98 offset:32
	v_add_nc_u32_e32 v98, 32, v98
	; wave barrier
	v_bitop3_b32 v99, v99, v97, v100 bitop3:0x80
	v_mbcnt_lo_u32_b32 v97, v99, 0
	v_cmp_ne_u32_e64 s15, 0, v99
	s_delay_alu instid0(VALU_DEP_2) | instskip(SKIP_1) | instid1(SALU_CYCLE_1)
	v_cmp_eq_u32_e64 s14, 0, v97
	s_and_b32 s15, s15, s14
	s_and_saveexec_b32 s14, s15
	s_cbranch_execz .LBB700_184
; %bb.183:                              ;   in Loop: Header=BB700_172 Depth=1
	s_wait_dscnt 0x0
	v_bcnt_u32_b32 v99, v99, v96
	ds_store_b32 v98, v99
.LBB700_184:                            ;   in Loop: Header=BB700_172 Depth=1
	s_or_b32 exec_lo, exec_lo, s14
	v_lshrrev_b64 v[100:101], v10, v[34:35]
	; wave barrier
	s_delay_alu instid0(VALU_DEP_1) | instskip(SKIP_1) | instid1(VALU_DEP_2)
	v_and_b32_e32 v99, v100, v81
	v_bitop3_b32 v100, v100, 1, v81 bitop3:0x80
	v_lshlrev_b32_e32 v103, 30, v99
	s_delay_alu instid0(VALU_DEP_2) | instskip(NEXT) | instid1(VALU_DEP_1)
	v_add_co_u32 v100, s14, v100, -1
	v_cndmask_b32_e64 v102, 0, 1, s14
	s_delay_alu instid0(VALU_DEP_1) | instskip(NEXT) | instid1(VALU_DEP_4)
	v_cmp_ne_u32_e64 s14, 0, v102
	v_not_b32_e32 v102, v103
	s_delay_alu instid0(VALU_DEP_1) | instskip(SKIP_4) | instid1(VALU_DEP_4)
	v_dual_ashrrev_i32 v102, 31, v102 :: v_dual_bitop2_b32 v100, s14, v100 bitop3:0x14
	v_dual_lshlrev_b32 v112, 29, v99 :: v_dual_lshlrev_b32 v113, 28, v99
	v_lshlrev_b32_e32 v114, 27, v99
	v_cmp_gt_i32_e64 s15, 0, v103
	v_lshl_add_u32 v101, v99, 3, v176
	v_cmp_gt_i32_e64 s16, 0, v112
	v_not_b32_e32 v103, v112
	v_not_b32_e32 v112, v113
	v_dual_lshlrev_b32 v115, 26, v99 :: v_dual_lshlrev_b32 v116, 25, v99
	v_lshlrev_b32_e32 v99, 24, v99
	v_cmp_gt_i32_e64 s17, 0, v113
	v_not_b32_e32 v113, v114
	v_dual_ashrrev_i32 v103, 31, v103 :: v_dual_ashrrev_i32 v112, 31, v112
	v_xor_b32_e32 v102, s15, v102
	v_cmp_gt_i32_e64 s18, 0, v114
	v_not_b32_e32 v114, v115
	s_delay_alu instid0(VALU_DEP_4)
	v_dual_ashrrev_i32 v113, 31, v113 :: v_dual_bitop2_b32 v103, s16, v103 bitop3:0x14
	v_xor_b32_e32 v112, s17, v112
	v_bitop3_b32 v100, v100, v102, exec_lo bitop3:0x80
	v_cmp_gt_i32_e64 s14, 0, v115
	v_ashrrev_i32_e32 v102, 31, v114
	v_not_b32_e32 v114, v116
	v_xor_b32_e32 v113, s18, v113
	v_bitop3_b32 v100, v100, v112, v103 bitop3:0x80
	v_not_b32_e32 v103, v99
	v_cmp_gt_i32_e64 s15, 0, v99
	v_ashrrev_i32_e32 v112, 31, v114
	v_lshl_add_u32 v101, v101, 2, v12
	v_xor_b32_e32 v102, s14, v102
	v_cmp_gt_i32_e64 s14, 0, v116
	v_ashrrev_i32_e32 v99, 31, v103
	s_delay_alu instid0(VALU_DEP_1) | instskip(SKIP_4) | instid1(VALU_DEP_1)
	v_xor_b32_e32 v103, s15, v99
	ds_load_b32 v99, v101 offset:32
	v_add_nc_u32_e32 v101, 32, v101
	v_bitop3_b32 v100, v100, v102, v113 bitop3:0x80
	v_xor_b32_e32 v102, s14, v112
	; wave barrier
	v_bitop3_b32 v102, v100, v103, v102 bitop3:0x80
	s_delay_alu instid0(VALU_DEP_1) | instskip(SKIP_1) | instid1(VALU_DEP_2)
	v_mbcnt_lo_u32_b32 v100, v102, 0
	v_cmp_ne_u32_e64 s15, 0, v102
	v_cmp_eq_u32_e64 s14, 0, v100
	s_and_b32 s15, s15, s14
	s_delay_alu instid0(SALU_CYCLE_1)
	s_and_saveexec_b32 s14, s15
	s_cbranch_execz .LBB700_186
; %bb.185:                              ;   in Loop: Header=BB700_172 Depth=1
	s_wait_dscnt 0x0
	v_bcnt_u32_b32 v102, v102, v99
	ds_store_b32 v101, v102
.LBB700_186:                            ;   in Loop: Header=BB700_172 Depth=1
	s_or_b32 exec_lo, exec_lo, s14
	v_lshrrev_b64 v[102:103], v10, v[50:51]
	; wave barrier
	s_delay_alu instid0(VALU_DEP_1) | instskip(SKIP_1) | instid1(VALU_DEP_2)
	v_and_b32_e32 v103, v102, v81
	v_bitop3_b32 v81, v102, 1, v81 bitop3:0x80
	v_lshlrev_b32_e32 v113, 30, v103
	s_delay_alu instid0(VALU_DEP_2) | instskip(NEXT) | instid1(VALU_DEP_1)
	v_add_co_u32 v81, s14, v81, -1
	v_cndmask_b32_e64 v112, 0, 1, s14
	s_delay_alu instid0(VALU_DEP_1) | instskip(NEXT) | instid1(VALU_DEP_4)
	v_cmp_ne_u32_e64 s14, 0, v112
	v_not_b32_e32 v112, v113
	s_delay_alu instid0(VALU_DEP_1) | instskip(SKIP_4) | instid1(VALU_DEP_4)
	v_dual_ashrrev_i32 v112, 31, v112 :: v_dual_bitop2_b32 v81, s14, v81 bitop3:0x14
	v_dual_lshlrev_b32 v114, 29, v103 :: v_dual_lshlrev_b32 v115, 28, v103
	v_lshlrev_b32_e32 v116, 27, v103
	v_cmp_gt_i32_e64 s15, 0, v113
	v_lshl_add_u32 v102, v103, 3, v176
	v_cmp_gt_i32_e64 s16, 0, v114
	v_not_b32_e32 v113, v114
	v_not_b32_e32 v114, v115
	v_dual_lshlrev_b32 v117, 26, v103 :: v_dual_lshlrev_b32 v118, 25, v103
	v_lshlrev_b32_e32 v103, 24, v103
	v_cmp_gt_i32_e64 s17, 0, v115
	v_not_b32_e32 v115, v116
	v_dual_ashrrev_i32 v113, 31, v113 :: v_dual_ashrrev_i32 v114, 31, v114
	v_xor_b32_e32 v112, s15, v112
	v_cmp_gt_i32_e64 s18, 0, v116
	v_not_b32_e32 v116, v117
	s_delay_alu instid0(VALU_DEP_4)
	v_dual_ashrrev_i32 v115, 31, v115 :: v_dual_bitop2_b32 v113, s16, v113 bitop3:0x14
	v_xor_b32_e32 v114, s17, v114
	v_bitop3_b32 v81, v81, v112, exec_lo bitop3:0x80
	v_cmp_gt_i32_e64 s14, 0, v117
	v_ashrrev_i32_e32 v112, 31, v116
	v_not_b32_e32 v116, v118
	v_xor_b32_e32 v115, s18, v115
	v_bitop3_b32 v81, v81, v114, v113 bitop3:0x80
	v_not_b32_e32 v113, v103
	v_cmp_gt_i32_e64 s15, 0, v103
	s_delay_alu instid0(VALU_DEP_2) | instskip(SKIP_3) | instid1(VALU_DEP_4)
	v_dual_ashrrev_i32 v114, 31, v116 :: v_dual_ashrrev_i32 v103, 31, v113
	v_lshl_add_u32 v113, v102, 2, v12
	v_xor_b32_e32 v112, s14, v112
	v_cmp_gt_i32_e64 s14, 0, v118
	v_xor_b32_e32 v103, s15, v103
	s_delay_alu instid0(VALU_DEP_3) | instskip(NEXT) | instid1(VALU_DEP_3)
	v_bitop3_b32 v102, v81, v112, v115 bitop3:0x80
	v_xor_b32_e32 v112, s14, v114
	ds_load_b32 v81, v113 offset:32
	; wave barrier
	v_bitop3_b32 v112, v102, v103, v112 bitop3:0x80
	v_add_nc_u32_e32 v103, 32, v113
	s_delay_alu instid0(VALU_DEP_2) | instskip(SKIP_1) | instid1(VALU_DEP_2)
	v_mbcnt_lo_u32_b32 v102, v112, 0
	v_cmp_ne_u32_e64 s15, 0, v112
	v_cmp_eq_u32_e64 s14, 0, v102
	s_and_b32 s15, s15, s14
	s_delay_alu instid0(SALU_CYCLE_1)
	s_and_saveexec_b32 s14, s15
	s_cbranch_execz .LBB700_188
; %bb.187:                              ;   in Loop: Header=BB700_172 Depth=1
	s_wait_dscnt 0x0
	v_bcnt_u32_b32 v112, v112, v81
	ds_store_b32 v103, v112
.LBB700_188:                            ;   in Loop: Header=BB700_172 Depth=1
	s_or_b32 exec_lo, exec_lo, s14
	; wave barrier
	s_wait_dscnt 0x0
	s_barrier_signal -1
	s_barrier_wait -1
	ds_load_b32 v113, v23
	ds_load_b32 v114, v39
	;; [unrolled: 1-line block ×8, first 2 shown]
	s_wait_dscnt 0x6
	v_add_nc_u32_e32 v128, v114, v113
	s_wait_dscnt 0x4
	s_delay_alu instid0(VALU_DEP_1) | instskip(SKIP_1) | instid1(VALU_DEP_1)
	v_add3_u32 v128, v128, v115, v116
	s_wait_dscnt 0x2
	v_add3_u32 v128, v128, v117, v118
	s_wait_dscnt 0x0
	s_delay_alu instid0(VALU_DEP_1) | instskip(NEXT) | instid1(VALU_DEP_1)
	v_add3_u32 v119, v128, v112, v119
	v_mov_b32_dpp v128, v119 row_shr:1 row_mask:0xf bank_mask:0xf
	s_delay_alu instid0(VALU_DEP_1) | instskip(NEXT) | instid1(VALU_DEP_1)
	v_cndmask_b32_e64 v128, v128, 0, vcc_lo
	v_add_nc_u32_e32 v119, v128, v119
	s_delay_alu instid0(VALU_DEP_1) | instskip(NEXT) | instid1(VALU_DEP_1)
	v_mov_b32_dpp v128, v119 row_shr:2 row_mask:0xf bank_mask:0xf
	v_cndmask_b32_e64 v128, 0, v128, s0
	s_delay_alu instid0(VALU_DEP_1) | instskip(NEXT) | instid1(VALU_DEP_1)
	v_add_nc_u32_e32 v119, v119, v128
	v_mov_b32_dpp v128, v119 row_shr:4 row_mask:0xf bank_mask:0xf
	s_delay_alu instid0(VALU_DEP_1) | instskip(NEXT) | instid1(VALU_DEP_1)
	v_cndmask_b32_e64 v128, 0, v128, s1
	v_add_nc_u32_e32 v119, v119, v128
	s_delay_alu instid0(VALU_DEP_1) | instskip(NEXT) | instid1(VALU_DEP_1)
	v_mov_b32_dpp v128, v119 row_shr:8 row_mask:0xf bank_mask:0xf
	v_cndmask_b32_e64 v128, 0, v128, s3
	s_delay_alu instid0(VALU_DEP_1) | instskip(SKIP_3) | instid1(VALU_DEP_1)
	v_add_nc_u32_e32 v119, v119, v128
	ds_swizzle_b32 v128, v119 offset:swizzle(BROADCAST,32,15)
	s_wait_dscnt 0x0
	v_cndmask_b32_e64 v128, v128, 0, s4
	v_add_nc_u32_e32 v119, v119, v128
	s_and_saveexec_b32 s14, s5
; %bb.189:                              ;   in Loop: Header=BB700_172 Depth=1
	ds_store_b32 v178, v119
; %bb.190:                              ;   in Loop: Header=BB700_172 Depth=1
	s_or_b32 exec_lo, exec_lo, s14
	s_wait_dscnt 0x0
	s_barrier_signal -1
	s_barrier_wait -1
	s_and_saveexec_b32 s14, s6
	s_cbranch_execz .LBB700_192
; %bb.191:                              ;   in Loop: Header=BB700_172 Depth=1
	ds_load_b32 v128, v179
	s_wait_dscnt 0x0
	v_mov_b32_dpp v129, v128 row_shr:1 row_mask:0xf bank_mask:0xf
	s_delay_alu instid0(VALU_DEP_1) | instskip(NEXT) | instid1(VALU_DEP_1)
	v_cndmask_b32_e64 v129, v129, 0, s11
	v_add_nc_u32_e32 v128, v129, v128
	s_delay_alu instid0(VALU_DEP_1) | instskip(NEXT) | instid1(VALU_DEP_1)
	v_mov_b32_dpp v129, v128 row_shr:2 row_mask:0xf bank_mask:0xf
	v_cndmask_b32_e64 v129, 0, v129, s12
	s_delay_alu instid0(VALU_DEP_1) | instskip(NEXT) | instid1(VALU_DEP_1)
	v_add_nc_u32_e32 v128, v128, v129
	v_mov_b32_dpp v129, v128 row_shr:4 row_mask:0xf bank_mask:0xf
	s_delay_alu instid0(VALU_DEP_1) | instskip(NEXT) | instid1(VALU_DEP_1)
	v_cndmask_b32_e64 v129, 0, v129, s13
	v_add_nc_u32_e32 v128, v128, v129
	ds_store_b32 v179, v128
.LBB700_192:                            ;   in Loop: Header=BB700_172 Depth=1
	s_or_b32 exec_lo, exec_lo, s14
	v_mov_b32_e32 v128, 0
	s_wait_dscnt 0x0
	s_barrier_signal -1
	s_barrier_wait -1
	s_and_saveexec_b32 s14, s7
; %bb.193:                              ;   in Loop: Header=BB700_172 Depth=1
	ds_load_b32 v128, v181
; %bb.194:                              ;   in Loop: Header=BB700_172 Depth=1
	s_or_b32 exec_lo, exec_lo, s14
	s_wait_dscnt 0x0
	v_add_nc_u32_e32 v119, v128, v119
	s_mov_b32 s16, -1
	v_add_nc_u32_e32 v10, 8, v10
	ds_bpermute_b32 v119, v177, v119
	v_cmp_lt_u32_e64 s14, v10, v11
	s_wait_dscnt 0x0
	v_cndmask_b32_e64 v119, v119, v128, s2
                                        ; implicit-def: $vgpr128_vgpr129
	s_delay_alu instid0(VALU_DEP_1) | instskip(NEXT) | instid1(VALU_DEP_1)
	v_cndmask_b32_e64 v119, v119, 0, s10
	v_add_nc_u32_e32 v113, v119, v113
	s_delay_alu instid0(VALU_DEP_1) | instskip(NEXT) | instid1(VALU_DEP_1)
	v_add_nc_u32_e32 v114, v113, v114
	v_add_nc_u32_e32 v115, v114, v115
	s_delay_alu instid0(VALU_DEP_1) | instskip(NEXT) | instid1(VALU_DEP_1)
	v_add_nc_u32_e32 v116, v115, v116
	v_add_nc_u32_e32 v117, v116, v117
	s_delay_alu instid0(VALU_DEP_1)
	v_add_nc_u32_e32 v118, v117, v118
	ds_store_b32 v23, v119
	ds_store_b32 v39, v113
	;; [unrolled: 1-line block ×3, first 2 shown]
	v_dual_mov_b32 v113, v1 :: v_dual_add_nc_u32 v112, v118, v112
	ds_store_b32 v163, v115
	ds_store_b32 v164, v116
	;; [unrolled: 1-line block ×5, first 2 shown]
	s_wait_dscnt 0x0
	s_barrier_signal -1
	s_barrier_wait -1
	ds_load_b32 v66, v66
	ds_load_b32 v112, v69
	ds_load_b32 v80, v80
	ds_load_b32 v84, v84
	ds_load_b32 v116, v87
	ds_load_b32 v98, v98
	ds_load_b32 v118, v101
	ds_load_b32 v119, v103
	v_dual_mov_b32 v69, v1 :: v_dual_mov_b32 v115, v1
	v_dual_mov_b32 v87, v1 :: v_dual_mov_b32 v117, v1
	;; [unrolled: 1-line block ×3, first 2 shown]
	s_wait_dscnt 0x0
	v_add_nc_u32_e32 v0, v66, v0
	v_add3_u32 v68, v68, v67, v112
	v_add3_u32 v112, v71, v70, v80
	;; [unrolled: 1-line block ×7, first 2 shown]
	v_lshl_add_u64 v[130:131], v[0:1], 3, v[12:13]
	v_lshl_add_u64 v[132:133], v[68:69], 3, v[12:13]
	;; [unrolled: 1-line block ×8, first 2 shown]
                                        ; implicit-def: $vgpr98_vgpr99
                                        ; implicit-def: $vgpr100_vgpr101
                                        ; implicit-def: $vgpr102_vgpr103
                                        ; implicit-def: $vgpr112_vgpr113
                                        ; implicit-def: $vgpr114_vgpr115
                                        ; implicit-def: $vgpr116_vgpr117
                                        ; implicit-def: $vgpr118_vgpr119
                                        ; implicit-def: $vgpr84_vgpr85
                                        ; implicit-def: $vgpr70_vgpr71
                                        ; implicit-def: $vgpr68_vgpr69
                                        ; implicit-def: $vgpr66_vgpr67
                                        ; implicit-def: $vgpr82_vgpr83
                                        ; implicit-def: $vgpr80_vgpr81
                                        ; implicit-def: $vgpr96_vgpr97
                                        ; implicit-def: $vgpr86_vgpr87
	s_and_saveexec_b32 s15, s14
	s_cbranch_execz .LBB700_171
; %bb.195:                              ;   in Loop: Header=BB700_172 Depth=1
	s_barrier_signal -1
	s_barrier_wait -1
	ds_store_b64 v130, v[26:27]
	ds_store_b64 v132, v[28:29]
	;; [unrolled: 1-line block ×8, first 2 shown]
	s_wait_dscnt 0x0
	s_barrier_signal -1
	s_barrier_wait -1
	ds_load_b64 v[84:85], v180
	ds_load_b64 v[70:71], v182
	;; [unrolled: 1-line block ×8, first 2 shown]
	s_wait_dscnt 0x0
	s_barrier_signal -1
	s_barrier_wait -1
	ds_store_b64 v130, v[14:15]
	ds_store_b64 v132, v[16:17]
	;; [unrolled: 1-line block ×8, first 2 shown]
	s_wait_dscnt 0x0
	s_barrier_signal -1
	s_barrier_wait -1
	ds_load_b64 v[98:99], v180
	ds_load_b64 v[100:101], v182
	;; [unrolled: 1-line block ×8, first 2 shown]
	v_add_nc_u32_e32 v197, -8, v197
	s_xor_b32 s16, exec_lo, -1
	s_wait_dscnt 0x0
	s_barrier_signal -1
	s_barrier_wait -1
	s_branch .LBB700_171
.LBB700_196:
	flat_load_b64 v[194:195], v[0:1]
	s_wait_xcnt 0x0
	s_or_b32 exec_lo, exec_lo, s17
                                        ; implicit-def: $vgpr196_vgpr197
	s_and_saveexec_b32 s17, s0
	s_cbranch_execz .LBB700_36
.LBB700_197:
	flat_load_b64 v[196:197], v[0:1] offset:256
	s_wait_xcnt 0x0
	s_or_b32 exec_lo, exec_lo, s17
                                        ; implicit-def: $vgpr198_vgpr199
	s_and_saveexec_b32 s0, s1
	s_cbranch_execz .LBB700_37
.LBB700_198:
	flat_load_b64 v[198:199], v[0:1] offset:512
	s_wait_xcnt 0x0
	s_or_b32 exec_lo, exec_lo, s0
                                        ; implicit-def: $vgpr208_vgpr209
	s_and_saveexec_b32 s0, s2
	s_cbranch_execz .LBB700_38
.LBB700_199:
	flat_load_b64 v[208:209], v[0:1] offset:768
	s_wait_xcnt 0x0
	s_or_b32 exec_lo, exec_lo, s0
                                        ; implicit-def: $vgpr210_vgpr211
	s_and_saveexec_b32 s0, s3
	s_cbranch_execz .LBB700_39
.LBB700_200:
	flat_load_b64 v[210:211], v[0:1] offset:1024
	s_wait_xcnt 0x0
	s_or_b32 exec_lo, exec_lo, s0
                                        ; implicit-def: $vgpr212_vgpr213
	s_and_saveexec_b32 s0, s4
	s_cbranch_execz .LBB700_40
.LBB700_201:
	flat_load_b64 v[212:213], v[0:1] offset:1280
	s_wait_xcnt 0x0
	s_or_b32 exec_lo, exec_lo, s0
                                        ; implicit-def: $vgpr214_vgpr215
	s_and_saveexec_b32 s0, s5
	s_cbranch_execz .LBB700_41
.LBB700_202:
	flat_load_b64 v[214:215], v[0:1] offset:1536
	s_wait_xcnt 0x0
	s_or_b32 exec_lo, exec_lo, s0
                                        ; implicit-def: $vgpr224_vgpr225
	s_and_saveexec_b32 s0, s6
	s_cbranch_execz .LBB700_42
.LBB700_203:
	flat_load_b64 v[224:225], v[0:1] offset:1792
	s_wait_xcnt 0x0
	s_or_b32 exec_lo, exec_lo, s0
                                        ; implicit-def: $vgpr226_vgpr227
	s_and_saveexec_b32 s0, s7
	s_cbranch_execz .LBB700_43
.LBB700_204:
	flat_load_b64 v[226:227], v[0:1] offset:2048
	s_wait_xcnt 0x0
	s_or_b32 exec_lo, exec_lo, s0
                                        ; implicit-def: $vgpr228_vgpr229
	s_and_saveexec_b32 s0, s10
	s_cbranch_execz .LBB700_44
.LBB700_205:
	flat_load_b64 v[228:229], v[0:1] offset:2304
	s_wait_xcnt 0x0
	s_or_b32 exec_lo, exec_lo, s0
                                        ; implicit-def: $vgpr240_vgpr241
	s_and_saveexec_b32 s0, s11
	s_cbranch_execz .LBB700_45
.LBB700_206:
	flat_load_b64 v[240:241], v[0:1] offset:2560
	s_wait_xcnt 0x0
	s_or_b32 exec_lo, exec_lo, s0
                                        ; implicit-def: $vgpr230_vgpr231
	s_and_saveexec_b32 s0, s12
	s_cbranch_execz .LBB700_46
.LBB700_207:
	flat_load_b64 v[230:231], v[0:1] offset:2816
	s_wait_xcnt 0x0
	s_or_b32 exec_lo, exec_lo, s0
                                        ; implicit-def: $vgpr242_vgpr243
	s_and_saveexec_b32 s0, s13
	s_cbranch_execz .LBB700_47
.LBB700_208:
	flat_load_b64 v[242:243], v[0:1] offset:3072
	s_wait_xcnt 0x0
	s_or_b32 exec_lo, exec_lo, s0
                                        ; implicit-def: $vgpr244_vgpr245
	s_and_saveexec_b32 s0, s14
	s_cbranch_execz .LBB700_48
.LBB700_209:
	flat_load_b64 v[244:245], v[0:1] offset:3328
	s_wait_xcnt 0x0
	s_or_b32 exec_lo, exec_lo, s0
                                        ; implicit-def: $vgpr246_vgpr247
	s_and_saveexec_b32 s0, s15
	s_cbranch_execz .LBB700_49
.LBB700_210:
	flat_load_b64 v[246:247], v[0:1] offset:3584
	s_wait_xcnt 0x0
	s_or_b32 exec_lo, exec_lo, s0
                                        ; implicit-def: $vgpr256_vgpr257
	s_and_saveexec_b32 s0, s16
	s_cbranch_execnz .LBB700_50
	s_branch .LBB700_51
.LBB700_211:
	flat_store_b64 v[0:1], v[52:53]
	s_wait_xcnt 0x0
	s_or_b32 exec_lo, exec_lo, s17
	s_and_saveexec_b32 s17, s0
	s_cbranch_execz .LBB700_127
.LBB700_212:
	flat_store_b64 v[0:1], v[54:55] offset:2048
	s_wait_xcnt 0x0
	s_or_b32 exec_lo, exec_lo, s17
	s_and_saveexec_b32 s0, s1
	s_cbranch_execz .LBB700_128
.LBB700_213:
	flat_store_b64 v[0:1], v[34:35] offset:4096
	s_wait_xcnt 0x0
	s_or_b32 exec_lo, exec_lo, s0
	s_and_saveexec_b32 s0, s2
	s_cbranch_execz .LBB700_129
.LBB700_214:
	flat_store_b64 v[0:1], v[36:37] offset:6144
	s_wait_xcnt 0x0
	s_or_b32 exec_lo, exec_lo, s0
	s_and_saveexec_b32 s0, s3
	s_cbranch_execz .LBB700_130
.LBB700_215:
	flat_store_b64 v[0:1], v[30:31] offset:8192
	s_wait_xcnt 0x0
	s_or_b32 exec_lo, exec_lo, s0
	s_and_saveexec_b32 s0, s4
	s_cbranch_execz .LBB700_131
.LBB700_216:
	flat_store_b64 v[0:1], v[32:33] offset:10240
	s_wait_xcnt 0x0
	s_or_b32 exec_lo, exec_lo, s0
	s_and_saveexec_b32 s0, s5
	s_cbranch_execz .LBB700_132
.LBB700_217:
	flat_store_b64 v[0:1], v[26:27] offset:12288
	s_wait_xcnt 0x0
	s_or_b32 exec_lo, exec_lo, s0
	s_and_saveexec_b32 s0, s6
	s_cbranch_execz .LBB700_133
.LBB700_218:
	flat_store_b64 v[0:1], v[28:29] offset:14336
	s_wait_xcnt 0x0
	s_or_b32 exec_lo, exec_lo, s0
	s_and_saveexec_b32 s0, s7
	s_cbranch_execz .LBB700_134
.LBB700_219:
	flat_store_b64 v[0:1], v[22:23] offset:16384
	s_wait_xcnt 0x0
	s_or_b32 exec_lo, exec_lo, s0
	s_and_saveexec_b32 s0, s10
	s_cbranch_execz .LBB700_135
.LBB700_220:
	flat_store_b64 v[0:1], v[24:25] offset:18432
	s_wait_xcnt 0x0
	s_or_b32 exec_lo, exec_lo, s0
	s_and_saveexec_b32 s0, s11
	s_cbranch_execz .LBB700_136
.LBB700_221:
	flat_store_b64 v[0:1], v[18:19] offset:20480
	s_wait_xcnt 0x0
	s_or_b32 exec_lo, exec_lo, s0
	s_and_saveexec_b32 s0, s12
	s_cbranch_execz .LBB700_137
.LBB700_222:
	flat_store_b64 v[0:1], v[20:21] offset:22528
	s_wait_xcnt 0x0
	s_or_b32 exec_lo, exec_lo, s0
	s_and_saveexec_b32 s0, s13
	s_cbranch_execz .LBB700_138
.LBB700_223:
	flat_store_b64 v[0:1], v[14:15] offset:24576
	s_wait_xcnt 0x0
	s_or_b32 exec_lo, exec_lo, s0
	s_and_saveexec_b32 s0, s14
	s_cbranch_execz .LBB700_139
.LBB700_224:
	flat_store_b64 v[0:1], v[16:17] offset:26624
	s_wait_xcnt 0x0
	s_or_b32 exec_lo, exec_lo, s0
	s_and_saveexec_b32 s0, s15
	s_cbranch_execz .LBB700_140
.LBB700_225:
	flat_store_b64 v[0:1], v[10:11] offset:28672
	s_wait_xcnt 0x0
	s_or_b32 exec_lo, exec_lo, s0
	s_and_saveexec_b32 s0, s16
	s_cbranch_execnz .LBB700_141
	s_branch .LBB700_142
.LBB700_226:
	s_or_b32 exec_lo, exec_lo, s23
	v_lshl_add_u32 v0, v22, 3, v12
	s_barrier_signal -1
	s_barrier_wait -1
	ds_store_b64 v130, v[26:27]
	ds_store_b64 v132, v[28:29]
	;; [unrolled: 1-line block ×8, first 2 shown]
	s_wait_dscnt 0x0
	s_barrier_signal -1
	s_barrier_wait -1
	ds_load_2addr_stride64_b64 v[48:51], v0 offset1:4
	ds_load_2addr_stride64_b64 v[34:37], v0 offset0:8 offset1:12
	ds_load_2addr_stride64_b64 v[30:33], v0 offset0:16 offset1:20
	;; [unrolled: 1-line block ×3, first 2 shown]
	s_wait_dscnt 0x0
	s_barrier_signal -1
	s_barrier_wait -1
	ds_store_b64 v130, v[14:15]
	ds_store_b64 v132, v[16:17]
	;; [unrolled: 1-line block ×8, first 2 shown]
	s_wait_dscnt 0x0
	s_barrier_signal -1
	s_barrier_wait -1
	ds_load_2addr_stride64_b64 v[22:25], v0 offset1:4
	ds_load_2addr_stride64_b64 v[18:21], v0 offset0:8 offset1:12
	ds_load_2addr_stride64_b64 v[14:17], v0 offset0:16 offset1:20
	;; [unrolled: 1-line block ×3, first 2 shown]
	v_lshl_add_u64 v[0:1], v[8:9], 3, v[2:3]
	v_mov_b32_e32 v39, 0
	s_set_vgpr_msb 4                        ;  msbs: dst=0 src0=0 src1=1 src2=0
	v_cmp_lt_u32_e32 vcc_lo, v38, v34 /*v290*/
	s_wait_dscnt 0x0
	s_barrier_signal -1
	s_barrier_wait -1
	v_lshl_add_u64 v[0:1], v[38:39], 3, v[0:1]
	s_and_saveexec_b32 s0, vcc_lo
	s_set_vgpr_msb 0                        ;  msbs: dst=0 src0=0 src1=0 src2=0
	s_cbranch_execz .LBB700_228
; %bb.227:
	v_xor_b32_e32 v3, 0x7fffffff, v49
	v_not_b32_e32 v2, v48
	flat_store_b64 v[0:1], v[2:3]
.LBB700_228:
	s_wait_xcnt 0x0
	s_or_b32 exec_lo, exec_lo, s0
	v_add_nc_u32_e32 v2, 0x100, v38
	s_set_vgpr_msb 4                        ;  msbs: dst=0 src0=0 src1=1 src2=0
	s_delay_alu instid0(VALU_DEP_1)
	v_cmp_lt_u32_e64 s0, v2, v34 /*v290*/
	s_and_saveexec_b32 s1, s0
	s_set_vgpr_msb 0                        ;  msbs: dst=0 src0=0 src1=0 src2=0
	s_cbranch_execz .LBB700_230
; %bb.229:
	v_xor_b32_e32 v3, 0x7fffffff, v51
	v_not_b32_e32 v2, v50
	flat_store_b64 v[0:1], v[2:3] offset:2048
.LBB700_230:
	s_wait_xcnt 0x0
	s_or_b32 exec_lo, exec_lo, s1
	v_add_nc_u32_e32 v2, 0x200, v38
	s_set_vgpr_msb 4                        ;  msbs: dst=0 src0=0 src1=1 src2=0
	s_delay_alu instid0(VALU_DEP_1)
	v_cmp_lt_u32_e64 s1, v2, v34 /*v290*/
	s_and_saveexec_b32 s2, s1
	s_set_vgpr_msb 0                        ;  msbs: dst=0 src0=0 src1=0 src2=0
	s_cbranch_execz .LBB700_232
; %bb.231:
	v_xor_b32_e32 v3, 0x7fffffff, v35
	v_not_b32_e32 v2, v34
	flat_store_b64 v[0:1], v[2:3] offset:4096
.LBB700_232:
	;; [unrolled: 14-line block ×7, first 2 shown]
	s_wait_xcnt 0x0
	s_or_b32 exec_lo, exec_lo, s7
	v_lshl_add_u64 v[0:1], v[8:9], 3, v[6:7]
	s_delay_alu instid0(VALU_DEP_1)
	v_lshl_add_u64 v[0:1], v[38:39], 3, v[0:1]
	s_and_saveexec_b32 s7, vcc_lo
	s_cbranch_execnz .LBB700_292
; %bb.243:
	s_or_b32 exec_lo, exec_lo, s7
	s_and_saveexec_b32 s7, s0
	s_cbranch_execnz .LBB700_293
.LBB700_244:
	s_or_b32 exec_lo, exec_lo, s7
	s_and_saveexec_b32 s0, s1
	s_cbranch_execnz .LBB700_294
.LBB700_245:
	s_or_b32 exec_lo, exec_lo, s0
	s_and_saveexec_b32 s0, s2
	s_cbranch_execnz .LBB700_295
.LBB700_246:
	s_or_b32 exec_lo, exec_lo, s0
	s_and_saveexec_b32 s0, s3
	s_cbranch_execnz .LBB700_296
.LBB700_247:
	s_or_b32 exec_lo, exec_lo, s0
	s_and_saveexec_b32 s0, s4
	s_cbranch_execnz .LBB700_297
.LBB700_248:
	s_or_b32 exec_lo, exec_lo, s0
	s_and_saveexec_b32 s0, s5
	s_cbranch_execnz .LBB700_298
.LBB700_249:
	s_or_b32 exec_lo, exec_lo, s0
	s_and_saveexec_b32 s0, s6
	s_cbranch_execz .LBB700_251
.LBB700_250:
	flat_store_b64 v[0:1], v[12:13] offset:14336
.LBB700_251:
	s_wait_xcnt 0x0
	s_or_b32 exec_lo, exec_lo, s0
                                        ; implicit-def: $vgpr290
                                        ; implicit-def: $vgpr8
                                        ; implicit-def: $vgpr10
                                        ; implicit-def: $vgpr11
                                        ; implicit-def: $vgpr0_vgpr1
                                        ; implicit-def: $vgpr2_vgpr3
                                        ; implicit-def: $vgpr4_vgpr5
                                        ; implicit-def: $vgpr6_vgpr7
                                        ; implicit-def: $vgpr12_vgpr13
                                        ; implicit-def: $vgpr9
                                        ; implicit-def: $vgpr14
                                        ; implicit-def: $vgpr22
                                        ; implicit-def: $vgpr34
.LBB700_252:
	s_and_not1_saveexec_b32 s0, s19
	s_cbranch_execz .LBB700_372
; %bb.253:
	s_mov_b32 s0, exec_lo
	s_set_vgpr_msb 4                        ;  msbs: dst=0 src0=0 src1=1 src2=0
	v_cmpx_lt_u32_e32 0x200, v34 /*v290*/
	s_xor_b32 s22, exec_lo, s0
	s_set_vgpr_msb 0                        ;  msbs: dst=0 src0=0 src1=0 src2=0
	s_cbranch_execz .LBB700_313
; %bb.254:
	s_load_b64 s[0:1], s[8:9], 0x0
	s_bfe_u32 s3, ttmp6, 0x4000c
	s_bfe_u32 s5, ttmp6, 0x40010
	s_and_b32 s4, ttmp7, 0xffff
	s_add_co_i32 s3, s3, 1
	s_add_co_i32 s5, s5, 1
	s_and_b32 s2, ttmp6, 15
	s_bfe_u32 s6, ttmp6, 0x40004
	s_mul_i32 s3, ttmp9, s3
	s_mul_i32 s5, s4, s5
	s_add_co_i32 s2, s2, s3
	s_add_co_i32 s6, s6, s5
	s_cmp_eq_u32 s21, 0
	s_mov_b32 s3, 0
	s_cselect_b32 s2, ttmp9, s2
	s_cselect_b32 s4, s4, s6
	v_bfrev_b32_e32 v15, 1
	v_lshlrev_b32_e32 v24, 3, v34
	s_wait_kmcnt 0x0
	s_cmp_lt_u32 s2, s0
	s_delay_alu instid0(VALU_DEP_2) | instskip(SKIP_4) | instid1(SALU_CYCLE_1)
	v_mov_b32_e32 v21, v15
	s_cselect_b32 s2, 12, 18
	s_cmp_lt_u32 s4, s1
	s_mov_b32 s1, s3
	s_cselect_b32 s0, 14, 20
	s_add_nc_u64 s[0:1], s[8:9], s[0:1]
	s_load_u16 s4, s[0:1], 0x0
	s_wait_xcnt 0x0
	s_add_nc_u64 s[0:1], s[8:9], s[2:3]
	s_load_u16 s0, s[0:1], 0x0
	s_wait_kmcnt 0x0
	v_mad_u32_u24 v9, v14, s4, v9
	s_delay_alu instid0(VALU_DEP_1) | instskip(SKIP_1) | instid1(VALU_DEP_1)
	v_mad_u32 v26, v9, s0, v22
	v_dual_mov_b32 v9, 0 :: v_dual_mov_b32 v19, v15
	v_mov_b32_e32 v20, v9
	v_lshl_add_u64 v[16:17], v[8:9], 3, v[0:1]
	v_dual_mov_b32 v1, v9 :: v_dual_mov_b32 v25, v9
	v_dual_mov_b32 v18, v9 :: v_dual_lshlrev_b32 v14, 2, v26
	s_delay_alu instid0(VALU_DEP_2) | instskip(SKIP_1) | instid1(VALU_DEP_3)
	v_add_nc_u64_e32 v[28:29], v[16:17], v[24:25]
	v_dual_mov_b32 v16, v9 :: v_dual_mov_b32 v17, v15
	v_and_b32_e32 v0, 0xffffff80, v14
	s_delay_alu instid0(VALU_DEP_1) | instskip(NEXT) | instid1(VALU_DEP_4)
	v_dual_mov_b32 v14, v9 :: v_dual_bitop2_b32 v23, v0, v34 bitop3:0x54
	v_lshl_add_u64 v[28:29], v[0:1], 3, v[28:29]
	s_set_vgpr_msb 4                        ;  msbs: dst=0 src0=0 src1=1 src2=0
	s_delay_alu instid0(VALU_DEP_2)
	v_cmp_lt_u32_e32 vcc_lo, v23, v34 /*v290*/
	s_and_saveexec_b32 s0, vcc_lo
	s_set_vgpr_msb 0                        ;  msbs: dst=0 src0=0 src1=0 src2=0
	s_cbranch_execz .LBB700_256
; %bb.255:
	flat_load_b64 v[48:49], v[28:29]
	v_dual_mov_b32 v50, v9 :: v_dual_mov_b32 v51, v15
	v_dual_mov_b32 v52, v9 :: v_dual_mov_b32 v53, v15
	;; [unrolled: 1-line block ×3, first 2 shown]
	s_wait_loadcnt_dscnt 0x0
	v_mov_b64_e32 v[14:15], v[48:49]
	v_mov_b64_e32 v[16:17], v[50:51]
	;; [unrolled: 1-line block ×4, first 2 shown]
.LBB700_256:
	s_wait_xcnt 0x0
	s_or_b32 exec_lo, exec_lo, s0
	v_or_b32_e32 v25, 32, v23
	s_set_vgpr_msb 4                        ;  msbs: dst=0 src0=0 src1=1 src2=0
	s_delay_alu instid0(VALU_DEP_1)
	v_cmp_lt_u32_e64 s0, v25, v34 /*v290*/
	s_and_saveexec_b32 s1, s0
	s_set_vgpr_msb 0                        ;  msbs: dst=0 src0=0 src1=0 src2=0
	s_cbranch_execz .LBB700_258
; %bb.257:
	flat_load_b64 v[16:17], v[28:29] offset:256
.LBB700_258:
	s_wait_xcnt 0x0
	s_or_b32 exec_lo, exec_lo, s1
	v_or_b32_e32 v25, 64, v23
	s_set_vgpr_msb 4                        ;  msbs: dst=0 src0=0 src1=1 src2=0
	s_delay_alu instid0(VALU_DEP_1)
	v_cmp_lt_u32_e64 s1, v25, v34 /*v290*/
	s_and_saveexec_b32 s2, s1
	s_set_vgpr_msb 0                        ;  msbs: dst=0 src0=0 src1=0 src2=0
	s_cbranch_execz .LBB700_260
; %bb.259:
	flat_load_b64 v[18:19], v[28:29] offset:512
.LBB700_260:
	;; [unrolled: 12-line block ×3, first 2 shown]
	s_wait_xcnt 0x0
	s_or_b32 exec_lo, exec_lo, s3
	v_lshl_add_u64 v[4:5], v[8:9], 3, v[4:5]
	v_mov_b32_e32 v25, 0
	s_delay_alu instid0(VALU_DEP_1) | instskip(NEXT) | instid1(VALU_DEP_1)
	v_add_nc_u64_e32 v[4:5], v[4:5], v[24:25]
                                        ; implicit-def: $vgpr24_vgpr25
	v_lshl_add_u64 v[0:1], v[0:1], 3, v[4:5]
	s_and_saveexec_b32 s3, vcc_lo
	s_cbranch_execnz .LBB700_337
; %bb.263:
	s_or_b32 exec_lo, exec_lo, s3
                                        ; implicit-def: $vgpr36_vgpr37
	s_and_saveexec_b32 s3, s0
	s_cbranch_execnz .LBB700_338
.LBB700_264:
	s_or_b32 exec_lo, exec_lo, s3
                                        ; implicit-def: $vgpr38_vgpr39
	s_and_saveexec_b32 s0, s1
	s_cbranch_execnz .LBB700_339
.LBB700_265:
	s_or_b32 exec_lo, exec_lo, s0
                                        ; implicit-def: $vgpr48_vgpr49
	s_and_saveexec_b32 s0, s2
	s_cbranch_execz .LBB700_267
.LBB700_266:
	flat_load_b64 v[48:49], v[0:1] offset:768
.LBB700_267:
	s_wait_xcnt 0x0
	s_or_b32 exec_lo, exec_lo, s0
	v_lshl_add_u32 v0, v22, 5, v12
	v_and_b32_e32 v1, 0x3e0, v22
	v_xor_b32_e32 v64, -1, v14
	s_wait_loadcnt_dscnt 0x0
	v_xor_b32_e32 v52, -1, v18
	v_dual_add_nc_u32 v86, 56, v0 :: v_dual_bitop2_b32 v4, 15, v34 bitop3:0x40
	v_dual_add_nc_u32 v23, 32, v0 :: v_dual_add_nc_u32 v27, 36, v0
	v_dual_add_nc_u32 v82, 40, v0 :: v_dual_add_nc_u32 v83, 44, v0
	;; [unrolled: 1-line block ×3, first 2 shown]
	v_add_nc_u32_e32 v87, 60, v0
	v_min_u32_e32 v0, 0xe0, v1
	v_sub_co_u32 v5, s2, v34, 1
	v_and_b32_e32 v1, 16, v34
	s_get_pc_i64 s[0:1]
	s_add_nc_u64 s[0:1], s[0:1], _ZN7rocprim17ROCPRIM_400000_NS16block_radix_sortIlLj256ELj4ElLj1ELj1ELj8ELNS0_26block_radix_rank_algorithmE2ELNS0_18block_padding_hintE2ELNS0_4arch9wavefront6targetE0EE19radix_bits_per_passE@rel64+4
	v_xor_b32_e32 v54, -1, v20
	v_cmp_gt_i32_e64 s6, 0, v5
	v_or_b32_e32 v0, 31, v0
	s_load_b32 s23, s[0:1], 0x0
	v_cmp_eq_u32_e32 vcc_lo, 0, v4
	s_wait_xcnt 0x0
	v_cmp_lt_u32_e64 s0, 1, v4
	v_cmp_lt_u32_e64 s1, 3, v4
	;; [unrolled: 1-line block ×3, first 2 shown]
	v_cmp_eq_u32_e64 s4, 0, v1
	v_cndmask_b32_e64 v1, v5, v34, s6
	v_cmp_eq_u32_e64 s5, v22, v0
	v_dual_lshrrev_b32 v0, 3, v22 :: v_dual_lshlrev_b32 v4, 2, v22
	v_xor_b32_e32 v65, 0x7fffffff, v15
	s_delay_alu instid0(VALU_DEP_4) | instskip(NEXT) | instid1(VALU_DEP_3)
	v_dual_lshlrev_b32 v97, 2, v1 :: v_dual_mov_b32 v1, 0
	v_and_b32_e32 v0, 0x7c, v0
	s_delay_alu instid0(VALU_DEP_4) | instskip(SKIP_2) | instid1(VALU_DEP_4)
	v_and_or_b32 v5, 0xf80, v4, v34
	v_dual_add_nc_u32 v99, v12, v4 :: v_dual_bitop2_b32 v14, 7, v34 bitop3:0x40
	v_xor_b32_e32 v51, 0x7fffffff, v17
	v_add_nc_u32_e32 v98, v12, v0
	s_delay_alu instid0(VALU_DEP_4)
	v_lshl_add_u32 v100, v5, 3, v12
	v_mov_b64_e32 v[4:5], 0
	v_dual_lshrrev_b32 v96, 5, v26 :: v_dual_bitop2_b32 v50, -1, v16 bitop3:0x14
	v_xor_b32_e32 v53, 0x7fffffff, v19
	v_xor_b32_e32 v55, 0x7fffffff, v21
	v_cmp_gt_u32_e64 s6, 8, v22
	v_cmp_lt_u32_e64 s7, 31, v22
	v_cmp_eq_u32_e64 s10, 0, v22
	v_cmp_eq_u32_e64 s11, 0, v14
	v_cmp_lt_u32_e64 s12, 1, v14
	v_cmp_lt_u32_e64 s13, 3, v14
	v_add_nc_u32_e32 v101, -4, v98
	v_add_nc_u32_e32 v102, 0x100, v100
	v_add_nc_u32_e32 v103, 0x200, v100
	;; [unrolled: 1-line block ×3, first 2 shown]
	v_sub_nc_u32_e32 v113, v11, v10
	s_mov_b32 s24, 0
	s_wait_storecnt 0x0
	s_barrier_signal -1
	s_barrier_wait -1
	s_branch .LBB700_269
.LBB700_268:                            ;   in Loop: Header=BB700_269 Depth=1
	s_or_b32 exec_lo, exec_lo, s15
	s_delay_alu instid0(SALU_CYCLE_1) | instskip(NEXT) | instid1(SALU_CYCLE_1)
	s_and_b32 s14, exec_lo, s16
	s_or_b32 s24, s14, s24
	s_delay_alu instid0(SALU_CYCLE_1)
	s_and_not1_b32 exec_lo, exec_lo, s24
	s_cbranch_execz .LBB700_299
.LBB700_269:                            ; =>This Inner Loop Header: Depth=1
	v_mov_b64_e32 v[14:15], v[64:65]
	s_wait_kmcnt 0x0
	v_min_u32_e32 v0, s23, v113
	ds_store_b64 v23, v[4:5]
	ds_store_b64 v82, v[4:5]
	;; [unrolled: 1-line block ×4, first 2 shown]
	s_wait_dscnt 0x0
	s_barrier_signal -1
	v_lshlrev_b32_e64 v64, v0, -1
	v_lshrrev_b64 v[16:17], v10, v[14:15]
	s_barrier_wait -1
	; wave barrier
	s_delay_alu instid0(VALU_DEP_1) | instskip(SKIP_2) | instid1(VALU_DEP_3)
	v_bitop3_b32 v0, v16, 1, v64 bitop3:0x40
	v_bitop3_b32 v34, v16, v64, v16 bitop3:0x30
	v_mov_b64_e32 v[16:17], v[54:55]
	v_add_co_u32 v0, s14, v0, -1
	s_delay_alu instid0(VALU_DEP_1) | instskip(NEXT) | instid1(VALU_DEP_4)
	v_cndmask_b32_e64 v18, 0, 1, s14
	v_dual_lshlrev_b32 v19, 30, v34 :: v_dual_lshlrev_b32 v20, 29, v34
	v_dual_lshlrev_b32 v21, 28, v34 :: v_dual_lshlrev_b32 v28, 27, v34
	s_delay_alu instid0(VALU_DEP_3) | instskip(NEXT) | instid1(VALU_DEP_3)
	v_cmp_ne_u32_e64 s14, 0, v18
	v_not_b32_e32 v18, v19
	v_dual_lshlrev_b32 v29, 26, v34 :: v_dual_lshlrev_b32 v30, 25, v34
	v_cmp_gt_i32_e64 s15, 0, v19
	v_cmp_gt_i32_e64 s16, 0, v20
	v_not_b32_e32 v19, v20
	v_not_b32_e32 v20, v21
	v_ashrrev_i32_e32 v18, 31, v18
	v_dual_lshlrev_b32 v31, 24, v34 :: v_dual_bitop2_b32 v0, s14, v0 bitop3:0x14
	v_cmp_gt_i32_e64 s17, 0, v21
	v_cmp_gt_i32_e64 s18, 0, v28
	v_not_b32_e32 v21, v28
	v_not_b32_e32 v28, v29
	v_dual_ashrrev_i32 v19, 31, v19 :: v_dual_ashrrev_i32 v20, 31, v20
	v_xor_b32_e32 v18, s15, v18
	v_cmp_gt_i32_e64 s19, 0, v29
	s_delay_alu instid0(VALU_DEP_4)
	v_dual_ashrrev_i32 v21, 31, v21 :: v_dual_ashrrev_i32 v28, 31, v28
	v_not_b32_e32 v29, v31
	v_xor_b32_e32 v20, s17, v20
	v_bitop3_b32 v0, v0, v18, exec_lo bitop3:0x80
	v_not_b32_e32 v18, v30
	v_xor_b32_e32 v19, s16, v19
	v_xor_b32_e32 v32, s18, v21
	;; [unrolled: 1-line block ×3, first 2 shown]
	v_cmp_gt_i32_e64 s14, 0, v30
	v_ashrrev_i32_e32 v30, 31, v18
	v_cmp_gt_i32_e64 s15, 0, v31
	v_ashrrev_i32_e32 v29, 31, v29
	v_bitop3_b32 v0, v0, v20, v19 bitop3:0x80
	v_mov_b64_e32 v[20:21], v[50:51]
	v_xor_b32_e32 v50, s14, v30
	v_mov_b64_e32 v[30:31], v[36:37]
	v_xor_b32_e32 v51, s15, v29
	v_bitop3_b32 v35, v0, v28, v32 bitop3:0x80
	v_lshl_add_u32 v0, v34, 3, v96
	v_mov_b64_e32 v[32:33], v[24:25]
	v_mov_b64_e32 v[18:19], v[52:53]
	;; [unrolled: 1-line block ×3, first 2 shown]
	v_bitop3_b32 v36, v35, v51, v50 bitop3:0x80
	v_lshl_add_u64 v[24:25], v[0:1], 2, v[12:13]
	v_mov_b64_e32 v[34:35], v[48:49]
	s_delay_alu instid0(VALU_DEP_3) | instskip(NEXT) | instid1(VALU_DEP_3)
	v_mbcnt_lo_u32_b32 v0, v36, 0
	v_add_nc_u64_e32 v[24:25], 32, v[24:25]
	v_cmp_ne_u32_e64 s15, 0, v36
	s_delay_alu instid0(VALU_DEP_3) | instskip(SKIP_1) | instid1(SALU_CYCLE_1)
	v_cmp_eq_u32_e64 s14, 0, v0
	s_and_b32 s15, s15, s14
	s_and_saveexec_b32 s14, s15
; %bb.270:                              ;   in Loop: Header=BB700_269 Depth=1
	v_bcnt_u32_b32 v25, v36, 0
	ds_store_b32 v24, v25
; %bb.271:                              ;   in Loop: Header=BB700_269 Depth=1
	s_or_b32 exec_lo, exec_lo, s14
	v_lshrrev_b64 v[36:37], v10, v[20:21]
	v_not_b32_e32 v49, v64
	; wave barrier
	s_delay_alu instid0(VALU_DEP_1) | instskip(SKIP_1) | instid1(VALU_DEP_2)
	v_and_b32_e32 v25, v36, v49
	v_bitop3_b32 v36, v36, 1, v49 bitop3:0x80
	v_lshlrev_b32_e32 v39, 30, v25
	s_delay_alu instid0(VALU_DEP_2) | instskip(NEXT) | instid1(VALU_DEP_1)
	v_add_co_u32 v36, s14, v36, -1
	v_cndmask_b32_e64 v38, 0, 1, s14
	s_delay_alu instid0(VALU_DEP_1) | instskip(NEXT) | instid1(VALU_DEP_4)
	v_cmp_ne_u32_e64 s14, 0, v38
	v_not_b32_e32 v38, v39
	s_delay_alu instid0(VALU_DEP_1) | instskip(SKIP_4) | instid1(VALU_DEP_4)
	v_dual_ashrrev_i32 v38, 31, v38 :: v_dual_bitop2_b32 v36, s14, v36 bitop3:0x14
	v_dual_lshlrev_b32 v48, 29, v25 :: v_dual_lshlrev_b32 v50, 28, v25
	v_dual_lshlrev_b32 v51, 27, v25 :: v_dual_lshlrev_b32 v52, 26, v25
	v_lshlrev_b32_e32 v53, 25, v25
	v_cmp_gt_i32_e64 s15, 0, v39
	v_cmp_gt_i32_e64 s16, 0, v48
	v_not_b32_e32 v39, v48
	v_not_b32_e32 v48, v50
	v_lshl_add_u32 v37, v25, 3, v96
	v_lshlrev_b32_e32 v25, 24, v25
	v_cmp_gt_i32_e64 s17, 0, v50
	v_cmp_gt_i32_e64 s18, 0, v51
	v_dual_ashrrev_i32 v39, 31, v39 :: v_dual_ashrrev_i32 v48, 31, v48
	v_not_b32_e32 v50, v51
	v_not_b32_e32 v51, v52
	v_xor_b32_e32 v38, s15, v38
	s_delay_alu instid0(VALU_DEP_4)
	v_xor_b32_e32 v39, s16, v39
	v_cmp_gt_i32_e64 s14, 0, v52
	v_cmp_gt_i32_e64 s15, 0, v25
	v_lshl_add_u32 v37, v37, 2, v12
	v_bitop3_b32 v36, v36, v38, exec_lo bitop3:0x80
	v_dual_ashrrev_i32 v38, 31, v50 :: v_dual_ashrrev_i32 v50, 31, v51
	v_not_b32_e32 v51, v53
	v_xor_b32_e32 v48, s17, v48
	s_delay_alu instid0(VALU_DEP_1)
	v_bitop3_b32 v36, v36, v48, v39 bitop3:0x80
	v_not_b32_e32 v39, v25
	v_xor_b32_e32 v38, s18, v38
	v_xor_b32_e32 v48, s14, v50
	v_cmp_gt_i32_e64 s14, 0, v53
	v_ashrrev_i32_e32 v50, 31, v51
	v_ashrrev_i32_e32 v25, 31, v39
	s_delay_alu instid0(VALU_DEP_1) | instskip(SKIP_4) | instid1(VALU_DEP_1)
	v_xor_b32_e32 v39, s15, v25
	ds_load_b32 v25, v37 offset:32
	v_add_nc_u32_e32 v37, 32, v37
	v_bitop3_b32 v36, v36, v48, v38 bitop3:0x80
	v_xor_b32_e32 v38, s14, v50
	; wave barrier
	v_bitop3_b32 v38, v36, v39, v38 bitop3:0x80
	s_delay_alu instid0(VALU_DEP_1) | instskip(SKIP_1) | instid1(VALU_DEP_2)
	v_mbcnt_lo_u32_b32 v36, v38, 0
	v_cmp_ne_u32_e64 s15, 0, v38
	v_cmp_eq_u32_e64 s14, 0, v36
	s_and_b32 s15, s15, s14
	s_delay_alu instid0(SALU_CYCLE_1)
	s_and_saveexec_b32 s14, s15
	s_cbranch_execz .LBB700_273
; %bb.272:                              ;   in Loop: Header=BB700_269 Depth=1
	s_wait_dscnt 0x0
	v_bcnt_u32_b32 v38, v38, v25
	ds_store_b32 v37, v38
.LBB700_273:                            ;   in Loop: Header=BB700_269 Depth=1
	s_or_b32 exec_lo, exec_lo, s14
	v_lshrrev_b64 v[38:39], v10, v[18:19]
	; wave barrier
	s_delay_alu instid0(VALU_DEP_1) | instskip(SKIP_1) | instid1(VALU_DEP_2)
	v_and_b32_e32 v39, v38, v49
	v_bitop3_b32 v38, v38, 1, v49 bitop3:0x80
	v_lshlrev_b32_e32 v51, 30, v39
	s_delay_alu instid0(VALU_DEP_2) | instskip(NEXT) | instid1(VALU_DEP_1)
	v_add_co_u32 v38, s14, v38, -1
	v_cndmask_b32_e64 v50, 0, 1, s14
	s_delay_alu instid0(VALU_DEP_1) | instskip(NEXT) | instid1(VALU_DEP_4)
	v_cmp_ne_u32_e64 s14, 0, v50
	v_not_b32_e32 v50, v51
	s_delay_alu instid0(VALU_DEP_2) | instskip(NEXT) | instid1(VALU_DEP_2)
	v_xor_b32_e32 v38, s14, v38
	v_dual_ashrrev_i32 v50, 31, v50 :: v_dual_lshlrev_b32 v52, 29, v39
	v_dual_lshlrev_b32 v53, 28, v39 :: v_dual_lshlrev_b32 v54, 27, v39
	v_cmp_gt_i32_e64 s15, 0, v51
	v_lshl_add_u32 v48, v39, 3, v96
	s_delay_alu instid0(VALU_DEP_4)
	v_cmp_gt_i32_e64 s16, 0, v52
	v_not_b32_e32 v51, v52
	v_not_b32_e32 v52, v53
	v_dual_lshlrev_b32 v55, 26, v39 :: v_dual_lshlrev_b32 v64, 25, v39
	v_lshlrev_b32_e32 v39, 24, v39
	v_cmp_gt_i32_e64 s17, 0, v53
	v_not_b32_e32 v53, v54
	v_dual_ashrrev_i32 v51, 31, v51 :: v_dual_ashrrev_i32 v52, 31, v52
	v_xor_b32_e32 v50, s15, v50
	v_cmp_gt_i32_e64 s18, 0, v54
	v_not_b32_e32 v54, v55
	s_delay_alu instid0(VALU_DEP_4)
	v_dual_ashrrev_i32 v53, 31, v53 :: v_dual_bitop2_b32 v51, s16, v51 bitop3:0x14
	v_xor_b32_e32 v52, s17, v52
	v_bitop3_b32 v38, v38, v50, exec_lo bitop3:0x80
	v_cmp_gt_i32_e64 s14, 0, v55
	v_ashrrev_i32_e32 v50, 31, v54
	v_not_b32_e32 v54, v64
	v_xor_b32_e32 v53, s18, v53
	v_bitop3_b32 v38, v38, v52, v51 bitop3:0x80
	v_not_b32_e32 v51, v39
	v_cmp_gt_i32_e64 s15, 0, v39
	v_ashrrev_i32_e32 v52, 31, v54
	v_lshl_add_u32 v48, v48, 2, v12
	v_xor_b32_e32 v50, s14, v50
	v_cmp_gt_i32_e64 s14, 0, v64
	v_ashrrev_i32_e32 v39, 31, v51
	s_delay_alu instid0(VALU_DEP_3) | instskip(NEXT) | instid1(VALU_DEP_3)
	v_bitop3_b32 v50, v38, v50, v53 bitop3:0x80
	v_xor_b32_e32 v51, s14, v52
	s_delay_alu instid0(VALU_DEP_3) | instskip(SKIP_3) | instid1(VALU_DEP_1)
	v_xor_b32_e32 v39, s15, v39
	ds_load_b32 v38, v48 offset:32
	v_add_nc_u32_e32 v48, 32, v48
	; wave barrier
	v_bitop3_b32 v50, v50, v39, v51 bitop3:0x80
	v_mbcnt_lo_u32_b32 v39, v50, 0
	v_cmp_ne_u32_e64 s15, 0, v50
	s_delay_alu instid0(VALU_DEP_2) | instskip(SKIP_1) | instid1(SALU_CYCLE_1)
	v_cmp_eq_u32_e64 s14, 0, v39
	s_and_b32 s15, s15, s14
	s_and_saveexec_b32 s14, s15
	s_cbranch_execz .LBB700_275
; %bb.274:                              ;   in Loop: Header=BB700_269 Depth=1
	s_wait_dscnt 0x0
	v_bcnt_u32_b32 v50, v50, v38
	ds_store_b32 v48, v50
.LBB700_275:                            ;   in Loop: Header=BB700_269 Depth=1
	s_or_b32 exec_lo, exec_lo, s14
	v_lshrrev_b64 v[50:51], v10, v[16:17]
	; wave barrier
	s_delay_alu instid0(VALU_DEP_1) | instskip(SKIP_1) | instid1(VALU_DEP_2)
	v_and_b32_e32 v51, v50, v49
	v_bitop3_b32 v49, v50, 1, v49 bitop3:0x80
	v_lshlrev_b32_e32 v53, 30, v51
	s_delay_alu instid0(VALU_DEP_2) | instskip(NEXT) | instid1(VALU_DEP_1)
	v_add_co_u32 v49, s14, v49, -1
	v_cndmask_b32_e64 v52, 0, 1, s14
	s_delay_alu instid0(VALU_DEP_1) | instskip(NEXT) | instid1(VALU_DEP_4)
	v_cmp_ne_u32_e64 s14, 0, v52
	v_not_b32_e32 v52, v53
	s_delay_alu instid0(VALU_DEP_1) | instskip(SKIP_4) | instid1(VALU_DEP_4)
	v_dual_ashrrev_i32 v52, 31, v52 :: v_dual_bitop2_b32 v49, s14, v49 bitop3:0x14
	v_dual_lshlrev_b32 v54, 29, v51 :: v_dual_lshlrev_b32 v55, 28, v51
	v_lshlrev_b32_e32 v64, 27, v51
	v_cmp_gt_i32_e64 s15, 0, v53
	v_lshl_add_u32 v50, v51, 3, v96
	v_cmp_gt_i32_e64 s16, 0, v54
	v_not_b32_e32 v53, v54
	v_not_b32_e32 v54, v55
	v_dual_lshlrev_b32 v65, 26, v51 :: v_dual_lshlrev_b32 v66, 25, v51
	v_lshlrev_b32_e32 v51, 24, v51
	v_cmp_gt_i32_e64 s17, 0, v55
	v_not_b32_e32 v55, v64
	v_dual_ashrrev_i32 v53, 31, v53 :: v_dual_ashrrev_i32 v54, 31, v54
	v_xor_b32_e32 v52, s15, v52
	v_cmp_gt_i32_e64 s18, 0, v64
	v_not_b32_e32 v64, v65
	s_delay_alu instid0(VALU_DEP_4)
	v_dual_ashrrev_i32 v55, 31, v55 :: v_dual_bitop2_b32 v53, s16, v53 bitop3:0x14
	v_xor_b32_e32 v54, s17, v54
	v_bitop3_b32 v49, v49, v52, exec_lo bitop3:0x80
	v_cmp_gt_i32_e64 s14, 0, v65
	v_ashrrev_i32_e32 v52, 31, v64
	v_not_b32_e32 v64, v66
	v_xor_b32_e32 v55, s18, v55
	v_bitop3_b32 v49, v49, v54, v53 bitop3:0x80
	v_not_b32_e32 v53, v51
	v_cmp_gt_i32_e64 s15, 0, v51
	s_delay_alu instid0(VALU_DEP_2) | instskip(SKIP_3) | instid1(VALU_DEP_4)
	v_dual_ashrrev_i32 v54, 31, v64 :: v_dual_ashrrev_i32 v51, 31, v53
	v_lshl_add_u32 v53, v50, 2, v12
	v_xor_b32_e32 v52, s14, v52
	v_cmp_gt_i32_e64 s14, 0, v66
	v_xor_b32_e32 v51, s15, v51
	s_delay_alu instid0(VALU_DEP_3) | instskip(NEXT) | instid1(VALU_DEP_3)
	v_bitop3_b32 v50, v49, v52, v55 bitop3:0x80
	v_xor_b32_e32 v52, s14, v54
	ds_load_b32 v49, v53 offset:32
	; wave barrier
	v_bitop3_b32 v52, v50, v51, v52 bitop3:0x80
	v_add_nc_u32_e32 v51, 32, v53
	s_delay_alu instid0(VALU_DEP_2) | instskip(SKIP_1) | instid1(VALU_DEP_2)
	v_mbcnt_lo_u32_b32 v50, v52, 0
	v_cmp_ne_u32_e64 s15, 0, v52
	v_cmp_eq_u32_e64 s14, 0, v50
	s_and_b32 s15, s15, s14
	s_delay_alu instid0(SALU_CYCLE_1)
	s_and_saveexec_b32 s14, s15
	s_cbranch_execz .LBB700_277
; %bb.276:                              ;   in Loop: Header=BB700_269 Depth=1
	s_wait_dscnt 0x0
	v_bcnt_u32_b32 v52, v52, v49
	ds_store_b32 v51, v52
.LBB700_277:                            ;   in Loop: Header=BB700_269 Depth=1
	s_or_b32 exec_lo, exec_lo, s14
	; wave barrier
	s_wait_dscnt 0x0
	s_barrier_signal -1
	s_barrier_wait -1
	ds_load_b32 v53, v23
	ds_load_b32 v54, v27
	;; [unrolled: 1-line block ×8, first 2 shown]
	s_wait_dscnt 0x6
	v_add_nc_u32_e32 v68, v54, v53
	s_wait_dscnt 0x4
	s_delay_alu instid0(VALU_DEP_1) | instskip(SKIP_1) | instid1(VALU_DEP_1)
	v_add3_u32 v68, v68, v55, v64
	s_wait_dscnt 0x2
	v_add3_u32 v68, v68, v65, v66
	s_wait_dscnt 0x0
	s_delay_alu instid0(VALU_DEP_1) | instskip(NEXT) | instid1(VALU_DEP_1)
	v_add3_u32 v67, v68, v52, v67
	v_mov_b32_dpp v68, v67 row_shr:1 row_mask:0xf bank_mask:0xf
	s_delay_alu instid0(VALU_DEP_1) | instskip(NEXT) | instid1(VALU_DEP_1)
	v_cndmask_b32_e64 v68, v68, 0, vcc_lo
	v_add_nc_u32_e32 v67, v68, v67
	s_delay_alu instid0(VALU_DEP_1) | instskip(NEXT) | instid1(VALU_DEP_1)
	v_mov_b32_dpp v68, v67 row_shr:2 row_mask:0xf bank_mask:0xf
	v_cndmask_b32_e64 v68, 0, v68, s0
	s_delay_alu instid0(VALU_DEP_1) | instskip(NEXT) | instid1(VALU_DEP_1)
	v_add_nc_u32_e32 v67, v67, v68
	v_mov_b32_dpp v68, v67 row_shr:4 row_mask:0xf bank_mask:0xf
	s_delay_alu instid0(VALU_DEP_1) | instskip(NEXT) | instid1(VALU_DEP_1)
	v_cndmask_b32_e64 v68, 0, v68, s1
	v_add_nc_u32_e32 v67, v67, v68
	s_delay_alu instid0(VALU_DEP_1) | instskip(NEXT) | instid1(VALU_DEP_1)
	v_mov_b32_dpp v68, v67 row_shr:8 row_mask:0xf bank_mask:0xf
	v_cndmask_b32_e64 v68, 0, v68, s3
	s_delay_alu instid0(VALU_DEP_1) | instskip(SKIP_3) | instid1(VALU_DEP_1)
	v_add_nc_u32_e32 v67, v67, v68
	ds_swizzle_b32 v68, v67 offset:swizzle(BROADCAST,32,15)
	s_wait_dscnt 0x0
	v_cndmask_b32_e64 v68, v68, 0, s4
	v_add_nc_u32_e32 v67, v67, v68
	s_and_saveexec_b32 s14, s5
; %bb.278:                              ;   in Loop: Header=BB700_269 Depth=1
	ds_store_b32 v98, v67
; %bb.279:                              ;   in Loop: Header=BB700_269 Depth=1
	s_or_b32 exec_lo, exec_lo, s14
	s_wait_dscnt 0x0
	s_barrier_signal -1
	s_barrier_wait -1
	s_and_saveexec_b32 s14, s6
	s_cbranch_execz .LBB700_281
; %bb.280:                              ;   in Loop: Header=BB700_269 Depth=1
	ds_load_b32 v68, v99
	s_wait_dscnt 0x0
	v_mov_b32_dpp v69, v68 row_shr:1 row_mask:0xf bank_mask:0xf
	s_delay_alu instid0(VALU_DEP_1) | instskip(NEXT) | instid1(VALU_DEP_1)
	v_cndmask_b32_e64 v69, v69, 0, s11
	v_add_nc_u32_e32 v68, v69, v68
	s_delay_alu instid0(VALU_DEP_1) | instskip(NEXT) | instid1(VALU_DEP_1)
	v_mov_b32_dpp v69, v68 row_shr:2 row_mask:0xf bank_mask:0xf
	v_cndmask_b32_e64 v69, 0, v69, s12
	s_delay_alu instid0(VALU_DEP_1) | instskip(NEXT) | instid1(VALU_DEP_1)
	v_add_nc_u32_e32 v68, v68, v69
	v_mov_b32_dpp v69, v68 row_shr:4 row_mask:0xf bank_mask:0xf
	s_delay_alu instid0(VALU_DEP_1) | instskip(NEXT) | instid1(VALU_DEP_1)
	v_cndmask_b32_e64 v69, 0, v69, s13
	v_add_nc_u32_e32 v68, v68, v69
	ds_store_b32 v99, v68
.LBB700_281:                            ;   in Loop: Header=BB700_269 Depth=1
	s_or_b32 exec_lo, exec_lo, s14
	v_mov_b32_e32 v68, 0
	s_wait_dscnt 0x0
	s_barrier_signal -1
	s_barrier_wait -1
	s_and_saveexec_b32 s14, s7
; %bb.282:                              ;   in Loop: Header=BB700_269 Depth=1
	ds_load_b32 v68, v101
; %bb.283:                              ;   in Loop: Header=BB700_269 Depth=1
	s_or_b32 exec_lo, exec_lo, s14
	s_wait_dscnt 0x0
	v_add_nc_u32_e32 v67, v68, v67
	s_mov_b32 s16, -1
	s_mov_b32 s15, exec_lo
	v_add_nc_u32_e32 v10, 8, v10
	ds_bpermute_b32 v67, v97, v67
	s_wait_dscnt 0x0
	v_cndmask_b32_e64 v67, v67, v68, s2
	s_delay_alu instid0(VALU_DEP_1) | instskip(NEXT) | instid1(VALU_DEP_1)
	v_cndmask_b32_e64 v67, v67, 0, s10
	v_add_nc_u32_e32 v53, v67, v53
	s_delay_alu instid0(VALU_DEP_1) | instskip(NEXT) | instid1(VALU_DEP_1)
	v_add_nc_u32_e32 v54, v53, v54
	v_add_nc_u32_e32 v55, v54, v55
	s_delay_alu instid0(VALU_DEP_1) | instskip(NEXT) | instid1(VALU_DEP_1)
	v_add_nc_u32_e32 v64, v55, v64
	v_add_nc_u32_e32 v65, v64, v65
	s_delay_alu instid0(VALU_DEP_1)
	v_add_nc_u32_e32 v66, v65, v66
	ds_store_b32 v23, v67
	ds_store_b32 v27, v53
	;; [unrolled: 1-line block ×3, first 2 shown]
	v_dual_mov_b32 v53, v1 :: v_dual_add_nc_u32 v52, v66, v52
	ds_store_b32 v83, v55
	ds_store_b32 v84, v64
	;; [unrolled: 1-line block ×5, first 2 shown]
	s_wait_dscnt 0x0
	s_barrier_signal -1
	s_barrier_wait -1
	ds_load_b32 v24, v24
	ds_load_b32 v52, v37
	;; [unrolled: 1-line block ×4, first 2 shown]
	v_dual_mov_b32 v37, v1 :: v_dual_mov_b32 v51, v1
	s_wait_dscnt 0x0
                                        ; implicit-def: $vgpr64_vgpr65
	v_add_nc_u32_e32 v0, v24, v0
	v_add3_u32 v36, v36, v25, v52
	v_add3_u32 v52, v39, v38, v48
	;; [unrolled: 1-line block ×3, first 2 shown]
                                        ; implicit-def: $vgpr54_vgpr55
                                        ; implicit-def: $vgpr24_vgpr25
                                        ; implicit-def: $vgpr38_vgpr39
                                        ; implicit-def: $vgpr48_vgpr49
	s_delay_alu instid0(VALU_DEP_4) | instskip(NEXT) | instid1(VALU_DEP_4)
	v_lshl_add_u64 v[66:67], v[0:1], 3, v[12:13]
	v_lshl_add_u64 v[68:69], v[36:37], 3, v[12:13]
	s_delay_alu instid0(VALU_DEP_4) | instskip(NEXT) | instid1(VALU_DEP_4)
	v_lshl_add_u64 v[70:71], v[52:53], 3, v[12:13]
	v_lshl_add_u64 v[80:81], v[50:51], 3, v[12:13]
                                        ; implicit-def: $vgpr52_vgpr53
                                        ; implicit-def: $vgpr50_vgpr51
                                        ; implicit-def: $vgpr36_vgpr37
	v_cmpx_lt_u32_e64 v10, v11
	s_cbranch_execz .LBB700_268
; %bb.284:                              ;   in Loop: Header=BB700_269 Depth=1
	s_barrier_signal -1
	s_barrier_wait -1
	ds_store_b64 v66, v[14:15]
	ds_store_b64 v68, v[20:21]
	;; [unrolled: 1-line block ×4, first 2 shown]
	s_wait_dscnt 0x0
	s_barrier_signal -1
	s_barrier_wait -1
	ds_load_b64 v[64:65], v100
	ds_load_b64 v[50:51], v102
	;; [unrolled: 1-line block ×4, first 2 shown]
	s_wait_dscnt 0x0
	s_barrier_signal -1
	s_barrier_wait -1
	ds_store_b64 v66, v[32:33]
	ds_store_b64 v68, v[30:31]
	;; [unrolled: 1-line block ×4, first 2 shown]
	s_wait_dscnt 0x0
	s_barrier_signal -1
	s_barrier_wait -1
	ds_load_b64 v[24:25], v100
	ds_load_b64 v[36:37], v102
	;; [unrolled: 1-line block ×4, first 2 shown]
	v_add_nc_u32_e32 v113, -8, v113
	s_xor_b32 s16, exec_lo, -1
	s_wait_dscnt 0x0
	s_barrier_signal -1
	s_barrier_wait -1
	s_branch .LBB700_268
.LBB700_285:
	flat_load_b64 v[98:99], v[0:1]
	s_wait_xcnt 0x0
	s_or_b32 exec_lo, exec_lo, s7
                                        ; implicit-def: $vgpr100_vgpr101
	s_and_saveexec_b32 s7, s0
	s_cbranch_execz .LBB700_163
.LBB700_286:
	flat_load_b64 v[100:101], v[0:1] offset:256
	s_wait_xcnt 0x0
	s_or_b32 exec_lo, exec_lo, s7
                                        ; implicit-def: $vgpr102_vgpr103
	s_and_saveexec_b32 s0, s1
	s_cbranch_execz .LBB700_164
.LBB700_287:
	flat_load_b64 v[102:103], v[0:1] offset:512
	s_wait_xcnt 0x0
	s_or_b32 exec_lo, exec_lo, s0
                                        ; implicit-def: $vgpr112_vgpr113
	s_and_saveexec_b32 s0, s2
	s_cbranch_execz .LBB700_165
.LBB700_288:
	flat_load_b64 v[112:113], v[0:1] offset:768
	s_wait_xcnt 0x0
	s_or_b32 exec_lo, exec_lo, s0
                                        ; implicit-def: $vgpr114_vgpr115
	s_and_saveexec_b32 s0, s3
	s_cbranch_execz .LBB700_166
.LBB700_289:
	flat_load_b64 v[114:115], v[0:1] offset:1024
	s_wait_xcnt 0x0
	s_or_b32 exec_lo, exec_lo, s0
                                        ; implicit-def: $vgpr116_vgpr117
	s_and_saveexec_b32 s0, s4
	s_cbranch_execz .LBB700_167
.LBB700_290:
	flat_load_b64 v[116:117], v[0:1] offset:1280
	s_wait_xcnt 0x0
	s_or_b32 exec_lo, exec_lo, s0
                                        ; implicit-def: $vgpr118_vgpr119
	s_and_saveexec_b32 s0, s5
	s_cbranch_execz .LBB700_168
.LBB700_291:
	flat_load_b64 v[118:119], v[0:1] offset:1536
	s_wait_xcnt 0x0
	s_or_b32 exec_lo, exec_lo, s0
                                        ; implicit-def: $vgpr128_vgpr129
	s_and_saveexec_b32 s0, s6
	s_cbranch_execnz .LBB700_169
	s_branch .LBB700_170
.LBB700_292:
	flat_store_b64 v[0:1], v[22:23]
	s_wait_xcnt 0x0
	s_or_b32 exec_lo, exec_lo, s7
	s_and_saveexec_b32 s7, s0
	s_cbranch_execz .LBB700_244
.LBB700_293:
	flat_store_b64 v[0:1], v[24:25] offset:2048
	s_wait_xcnt 0x0
	s_or_b32 exec_lo, exec_lo, s7
	s_and_saveexec_b32 s0, s1
	s_cbranch_execz .LBB700_245
.LBB700_294:
	flat_store_b64 v[0:1], v[18:19] offset:4096
	s_wait_xcnt 0x0
	s_or_b32 exec_lo, exec_lo, s0
	s_and_saveexec_b32 s0, s2
	s_cbranch_execz .LBB700_246
.LBB700_295:
	flat_store_b64 v[0:1], v[20:21] offset:6144
	s_wait_xcnt 0x0
	s_or_b32 exec_lo, exec_lo, s0
	s_and_saveexec_b32 s0, s3
	s_cbranch_execz .LBB700_247
.LBB700_296:
	flat_store_b64 v[0:1], v[14:15] offset:8192
	s_wait_xcnt 0x0
	s_or_b32 exec_lo, exec_lo, s0
	s_and_saveexec_b32 s0, s4
	s_cbranch_execz .LBB700_248
.LBB700_297:
	flat_store_b64 v[0:1], v[16:17] offset:10240
	s_wait_xcnt 0x0
	s_or_b32 exec_lo, exec_lo, s0
	s_and_saveexec_b32 s0, s5
	s_cbranch_execz .LBB700_249
.LBB700_298:
	flat_store_b64 v[0:1], v[10:11] offset:12288
	s_wait_xcnt 0x0
	s_or_b32 exec_lo, exec_lo, s0
	s_and_saveexec_b32 s0, s6
	s_cbranch_execnz .LBB700_250
	s_branch .LBB700_251
.LBB700_299:
	s_or_b32 exec_lo, exec_lo, s24
	v_lshl_add_u32 v0, v22, 3, v12
	s_barrier_signal -1
	s_barrier_wait -1
	ds_store_b64 v66, v[14:15]
	ds_store_b64 v68, v[20:21]
	;; [unrolled: 1-line block ×4, first 2 shown]
	s_wait_dscnt 0x0
	s_barrier_signal -1
	s_barrier_wait -1
	ds_load_2addr_stride64_b64 v[22:25], v0 offset1:4
	ds_load_2addr_stride64_b64 v[18:21], v0 offset0:8 offset1:12
	s_wait_dscnt 0x0
	s_barrier_signal -1
	s_barrier_wait -1
	ds_store_b64 v66, v[32:33]
	ds_store_b64 v68, v[30:31]
	;; [unrolled: 1-line block ×4, first 2 shown]
	s_wait_dscnt 0x0
	s_barrier_signal -1
	s_barrier_wait -1
	ds_load_2addr_stride64_b64 v[14:17], v0 offset1:4
	ds_load_2addr_stride64_b64 v[10:13], v0 offset0:8 offset1:12
	v_lshl_add_u64 v[0:1], v[8:9], 3, v[2:3]
	v_mov_b32_e32 v27, 0
	s_set_vgpr_msb 4                        ;  msbs: dst=0 src0=0 src1=1 src2=0
	v_cmp_lt_u32_e32 vcc_lo, v26, v34 /*v290*/
	s_wait_dscnt 0x0
	s_barrier_signal -1
	s_barrier_wait -1
	v_lshl_add_u64 v[0:1], v[26:27], 3, v[0:1]
	s_and_saveexec_b32 s0, vcc_lo
	s_set_vgpr_msb 0                        ;  msbs: dst=0 src0=0 src1=0 src2=0
	s_cbranch_execz .LBB700_301
; %bb.300:
	v_xor_b32_e32 v3, 0x7fffffff, v23
	v_not_b32_e32 v2, v22
	flat_store_b64 v[0:1], v[2:3]
.LBB700_301:
	s_wait_xcnt 0x0
	s_or_b32 exec_lo, exec_lo, s0
	v_add_nc_u32_e32 v2, 0x100, v26
	s_set_vgpr_msb 4                        ;  msbs: dst=0 src0=0 src1=1 src2=0
	s_delay_alu instid0(VALU_DEP_1)
	v_cmp_lt_u32_e64 s0, v2, v34 /*v290*/
	s_and_saveexec_b32 s1, s0
	s_set_vgpr_msb 0                        ;  msbs: dst=0 src0=0 src1=0 src2=0
	s_cbranch_execz .LBB700_303
; %bb.302:
	v_xor_b32_e32 v3, 0x7fffffff, v25
	v_not_b32_e32 v2, v24
	flat_store_b64 v[0:1], v[2:3] offset:2048
.LBB700_303:
	s_wait_xcnt 0x0
	s_or_b32 exec_lo, exec_lo, s1
	v_add_nc_u32_e32 v2, 0x200, v26
	s_set_vgpr_msb 4                        ;  msbs: dst=0 src0=0 src1=1 src2=0
	s_delay_alu instid0(VALU_DEP_1)
	v_cmp_lt_u32_e64 s1, v2, v34 /*v290*/
	s_and_saveexec_b32 s2, s1
	s_set_vgpr_msb 0                        ;  msbs: dst=0 src0=0 src1=0 src2=0
	s_cbranch_execz .LBB700_305
; %bb.304:
	v_xor_b32_e32 v3, 0x7fffffff, v19
	v_not_b32_e32 v2, v18
	flat_store_b64 v[0:1], v[2:3] offset:4096
.LBB700_305:
	;; [unrolled: 14-line block ×3, first 2 shown]
	s_wait_xcnt 0x0
	s_or_b32 exec_lo, exec_lo, s3
	v_lshl_add_u64 v[0:1], v[8:9], 3, v[6:7]
	s_delay_alu instid0(VALU_DEP_1)
	v_lshl_add_u64 v[0:1], v[26:27], 3, v[0:1]
	s_and_saveexec_b32 s3, vcc_lo
	s_cbranch_execnz .LBB700_340
; %bb.308:
	s_or_b32 exec_lo, exec_lo, s3
	s_and_saveexec_b32 s3, s0
	s_cbranch_execnz .LBB700_341
.LBB700_309:
	s_or_b32 exec_lo, exec_lo, s3
	s_and_saveexec_b32 s0, s1
	s_cbranch_execnz .LBB700_342
.LBB700_310:
	s_or_b32 exec_lo, exec_lo, s0
	s_and_saveexec_b32 s0, s2
	s_cbranch_execz .LBB700_312
.LBB700_311:
	flat_store_b64 v[0:1], v[12:13] offset:6144
.LBB700_312:
	s_wait_xcnt 0x0
	s_or_b32 exec_lo, exec_lo, s0
                                        ; implicit-def: $vgpr290
                                        ; implicit-def: $vgpr8
                                        ; implicit-def: $vgpr10
                                        ; implicit-def: $vgpr11
                                        ; implicit-def: $vgpr0_vgpr1
                                        ; implicit-def: $vgpr2_vgpr3
                                        ; implicit-def: $vgpr4_vgpr5
                                        ; implicit-def: $vgpr6_vgpr7
                                        ; implicit-def: $vgpr12_vgpr13
                                        ; implicit-def: $vgpr9
                                        ; implicit-def: $vgpr14
                                        ; implicit-def: $vgpr22
                                        ; implicit-def: $vgpr34
.LBB700_313:
	s_and_not1_saveexec_b32 s0, s22
	s_cbranch_execz .LBB700_372
; %bb.314:
	s_load_b64 s[0:1], s[8:9], 0x0
	s_bfe_u32 s3, ttmp6, 0x4000c
	s_bfe_u32 s5, ttmp6, 0x40010
	s_and_b32 s4, ttmp7, 0xffff
	s_add_co_i32 s3, s3, 1
	s_add_co_i32 s5, s5, 1
	s_and_b32 s2, ttmp6, 15
	s_bfe_u32 s6, ttmp6, 0x40004
	s_mul_i32 s3, ttmp9, s3
	s_mul_i32 s5, s4, s5
	s_add_co_i32 s2, s2, s3
	s_add_co_i32 s6, s6, s5
	s_cmp_eq_u32 s21, 0
	s_cselect_b32 s2, ttmp9, s2
	s_cselect_b32 s3, s4, s6
	s_wait_kmcnt 0x0
	s_cmp_lt_u32 s2, s0
	s_cselect_b32 s0, 12, 18
	s_cmp_lt_u32 s3, s1
	s_mov_b32 s1, 0
	s_cselect_b32 s2, 14, 20
	s_mov_b32 s3, s1
	s_add_nc_u64 s[0:1], s[8:9], s[0:1]
	s_add_nc_u64 s[2:3], s[8:9], s[2:3]
	s_clause 0x1
	s_load_u16 s0, s[0:1], 0x0
	s_nop 0
	s_load_u16 s2, s[2:3], 0x0
	s_wait_kmcnt 0x0
	v_mad_u32_u24 v9, v14, s2, v9
	s_delay_alu instid0(VALU_DEP_1)
	v_mad_u32 v18, v9, s0, v22
	v_mov_b32_e32 v9, 0
	s_mov_b32 s0, exec_lo
	s_set_vgpr_msb 4                        ;  msbs: dst=0 src0=0 src1=1 src2=0
	v_cmpx_lt_u32_e32 0x100, v34 /*v290*/
	s_xor_b32 s19, exec_lo, s0
	s_set_vgpr_msb 0                        ;  msbs: dst=0 src0=0 src1=0 src2=0
	s_cbranch_execz .LBB700_352
; %bb.315:
	v_lshl_add_u64 v[14:15], v[8:9], 3, v[0:1]
	s_delay_alu instid0(VALU_DEP_4) | instskip(SKIP_1) | instid1(VALU_DEP_2)
	v_dual_mov_b32 v21, v9 :: v_dual_lshlrev_b32 v0, 1, v18
	v_dual_mov_b32 v1, v9 :: v_dual_lshlrev_b32 v20, 3, v34
	v_and_b32_e32 v0, 0xffffffc0, v0
	s_delay_alu instid0(VALU_DEP_2) | instskip(SKIP_1) | instid1(VALU_DEP_3)
	v_add_nc_u64_e32 v[24:25], v[14:15], v[20:21]
	v_bfrev_b32_e32 v15, 1
	v_dual_mov_b32 v14, v9 :: v_dual_bitop2_b32 v19, v34, v0 bitop3:0x54
	s_delay_alu instid0(VALU_DEP_2) | instskip(NEXT) | instid1(VALU_DEP_4)
	v_dual_mov_b32 v16, v9 :: v_dual_mov_b32 v17, v15
	v_lshl_add_u64 v[24:25], v[0:1], 3, v[24:25]
	s_set_vgpr_msb 4                        ;  msbs: dst=0 src0=0 src1=1 src2=0
	s_delay_alu instid0(VALU_DEP_3)
	v_cmp_lt_u32_e32 vcc_lo, v19, v34 /*v290*/
	s_and_saveexec_b32 s0, vcc_lo
	s_set_vgpr_msb 0                        ;  msbs: dst=0 src0=0 src1=0 src2=0
	s_cbranch_execz .LBB700_317
; %bb.316:
	flat_load_b64 v[26:27], v[24:25]
	v_dual_mov_b32 v28, 0 :: v_dual_mov_b32 v29, v15
	s_wait_loadcnt_dscnt 0x0
	v_mov_b64_e32 v[14:15], v[26:27]
	s_delay_alu instid0(VALU_DEP_2)
	v_mov_b64_e32 v[16:17], v[28:29]
.LBB700_317:
	s_wait_xcnt 0x0
	s_or_b32 exec_lo, exec_lo, s0
	v_or_b32_e32 v19, 32, v19
	s_set_vgpr_msb 4                        ;  msbs: dst=0 src0=0 src1=1 src2=0
	s_delay_alu instid0(VALU_DEP_1)
	v_cmp_lt_u32_e64 s0, v19, v34 /*v290*/
	s_and_saveexec_b32 s1, s0
	s_set_vgpr_msb 0                        ;  msbs: dst=0 src0=0 src1=0 src2=0
	s_cbranch_execz .LBB700_319
; %bb.318:
	flat_load_b64 v[16:17], v[24:25] offset:256
.LBB700_319:
	s_wait_xcnt 0x0
	s_or_b32 exec_lo, exec_lo, s1
	v_lshl_add_u64 v[4:5], v[8:9], 3, v[4:5]
	v_mov_b32_e32 v21, 0
	v_mov_b64_e32 v[28:29], 0
	v_mov_b64_e32 v[26:27], 0
	s_delay_alu instid0(VALU_DEP_3) | instskip(NEXT) | instid1(VALU_DEP_1)
	v_add_nc_u64_e32 v[4:5], v[4:5], v[20:21]
	v_lshl_add_u64 v[0:1], v[0:1], 3, v[4:5]
	s_and_saveexec_b32 s1, vcc_lo
	s_cbranch_execz .LBB700_321
; %bb.320:
	flat_load_b64 v[26:27], v[0:1]
.LBB700_321:
	s_wait_xcnt 0x0
	s_or_b32 exec_lo, exec_lo, s1
	s_and_saveexec_b32 s1, s0
	s_cbranch_execz .LBB700_323
; %bb.322:
	flat_load_b64 v[28:29], v[0:1] offset:256
.LBB700_323:
	s_wait_xcnt 0x0
	s_or_b32 exec_lo, exec_lo, s1
	v_lshl_add_u32 v0, v22, 5, v12
	v_and_b32_e32 v1, 0x3e0, v22
	v_xor_b32_e32 v32, -1, v14
	v_sub_co_u32 v5, s2, v34, 1
	s_delay_alu instid0(VALU_DEP_4)
	v_dual_add_nc_u32 v19, 32, v0 :: v_dual_add_nc_u32 v23, 36, v0
	v_dual_add_nc_u32 v38, 40, v0 :: v_dual_add_nc_u32 v39, 44, v0
	v_dual_add_nc_u32 v48, 48, v0 :: v_dual_add_nc_u32 v49, 52, v0
	v_dual_add_nc_u32 v50, 56, v0 :: v_dual_bitop2_b32 v4, 15, v34 bitop3:0x40
	v_add_nc_u32_e32 v51, 60, v0
	v_min_u32_e32 v0, 0xe0, v1
	v_cmp_gt_i32_e64 s6, 0, v5
	s_get_pc_i64 s[0:1]
	s_add_nc_u64 s[0:1], s[0:1], _ZN7rocprim17ROCPRIM_400000_NS16block_radix_sortIlLj256ELj2ElLj1ELj1ELj8ELNS0_26block_radix_rank_algorithmE2ELNS0_18block_padding_hintE2ELNS0_4arch9wavefront6targetE0EE19radix_bits_per_passE@rel64+4
	v_cmp_eq_u32_e32 vcc_lo, 0, v4
	s_load_b32 s21, s[0:1], 0x0
	v_or_b32_e32 v0, 31, v0
	s_wait_xcnt 0x0
	v_cmp_lt_u32_e64 s0, 1, v4
	v_cmp_lt_u32_e64 s1, 3, v4
	;; [unrolled: 1-line block ×3, first 2 shown]
	v_lshlrev_b32_e32 v4, 1, v22
	v_cmp_eq_u32_e64 s5, v22, v0
	v_lshrrev_b32_e32 v0, 3, v22
	v_xor_b32_e32 v33, 0x7fffffff, v15
	s_wait_loadcnt_dscnt 0x0
	v_xor_b32_e32 v31, 0x7fffffff, v17
	v_and_or_b32 v4, 0x7c0, v4, v34
	v_dual_lshrrev_b32 v52, 5, v18 :: v_dual_bitop2_b32 v30, -1, v16 bitop3:0x14
	v_and_b32_e32 v0, 0x7c, v0
	v_and_b32_e32 v1, 16, v34
	s_delay_alu instid0(VALU_DEP_4)
	v_lshl_add_u32 v64, v4, 3, v12
	v_cmp_lt_u32_e64 s7, 31, v22
	v_cmp_eq_u32_e64 s8, 0, v22
	v_add_nc_u32_e32 v54, v12, v0
	v_cmp_eq_u32_e64 s4, 0, v1
	v_dual_cndmask_b32 v1, v5, v34, s6 :: v_dual_bitop2_b32 v5, 7, v34 bitop3:0x40
	v_cmp_gt_u32_e64 s6, 8, v22
	v_lshl_add_u32 v55, v22, 2, v12
	s_delay_alu instid0(VALU_DEP_3) | instskip(NEXT) | instid1(VALU_DEP_4)
	v_dual_add_nc_u32 v65, -4, v54 :: v_dual_lshlrev_b32 v53, 2, v1
	v_cmp_eq_u32_e64 s9, 0, v5
	v_cmp_lt_u32_e64 s10, 1, v5
	v_cmp_lt_u32_e64 s11, 3, v5
	v_mov_b64_e32 v[4:5], 0
	v_dual_mov_b32 v1, 0 :: v_dual_add_nc_u32 v66, 0x100, v64
	v_sub_nc_u32_e32 v67, v11, v10
	s_mov_b32 s22, 0
	s_wait_storecnt 0x0
	s_barrier_signal -1
	s_barrier_wait -1
	s_branch .LBB700_325
.LBB700_324:                            ;   in Loop: Header=BB700_325 Depth=1
	s_or_b32 exec_lo, exec_lo, s13
	s_delay_alu instid0(SALU_CYCLE_1) | instskip(NEXT) | instid1(SALU_CYCLE_1)
	s_and_b32 s12, exec_lo, s14
	s_or_b32 s22, s12, s22
	s_delay_alu instid0(SALU_CYCLE_1)
	s_and_not1_b32 exec_lo, exec_lo, s22
	s_cbranch_execz .LBB700_343
.LBB700_325:                            ; =>This Inner Loop Header: Depth=1
	v_mov_b64_e32 v[14:15], v[32:33]
	s_wait_kmcnt 0x0
	v_min_u32_e32 v0, s21, v67
	ds_store_b64 v19, v[4:5]
	ds_store_b64 v38, v[4:5]
	;; [unrolled: 1-line block ×4, first 2 shown]
	s_wait_dscnt 0x0
	s_barrier_signal -1
	v_lshlrev_b32_e64 v32, v0, -1
	v_lshrrev_b64 v[16:17], v10, v[14:15]
	s_barrier_wait -1
	; wave barrier
	s_delay_alu instid0(VALU_DEP_1) | instskip(SKIP_1) | instid1(VALU_DEP_2)
	v_bitop3_b32 v0, v16, 1, v32 bitop3:0x40
	v_bitop3_b32 v24, v16, v32, v16 bitop3:0x30
	v_add_co_u32 v0, s12, v0, -1
	s_delay_alu instid0(VALU_DEP_1) | instskip(NEXT) | instid1(VALU_DEP_3)
	v_cndmask_b32_e64 v16, 0, 1, s12
	v_dual_lshlrev_b32 v17, 30, v24 :: v_dual_lshlrev_b32 v20, 29, v24
	v_dual_lshlrev_b32 v21, 28, v24 :: v_dual_lshlrev_b32 v25, 27, v24
	s_delay_alu instid0(VALU_DEP_3) | instskip(NEXT) | instid1(VALU_DEP_3)
	v_cmp_ne_u32_e64 s12, 0, v16
	v_not_b32_e32 v16, v17
	v_dual_lshlrev_b32 v33, 26, v24 :: v_dual_lshlrev_b32 v34, 25, v24
	v_cmp_gt_i32_e64 s13, 0, v17
	v_cmp_gt_i32_e64 s14, 0, v20
	v_not_b32_e32 v17, v20
	v_cmp_gt_i32_e64 s15, 0, v21
	v_not_b32_e32 v20, v21
	v_not_b32_e32 v21, v25
	v_ashrrev_i32_e32 v16, 31, v16
	v_dual_lshlrev_b32 v35, 24, v24 :: v_dual_ashrrev_i32 v17, 31, v17
	v_cmp_gt_i32_e64 s16, 0, v25
	v_cmp_gt_i32_e64 s17, 0, v33
	v_not_b32_e32 v25, v33
	v_xor_b32_e32 v0, s12, v0
	v_dual_ashrrev_i32 v20, 31, v20 :: v_dual_bitop2_b32 v17, s14, v17 bitop3:0x14
	v_not_b32_e32 v33, v34
	v_dual_ashrrev_i32 v21, 31, v21 :: v_dual_bitop2_b32 v16, s13, v16 bitop3:0x14
	s_delay_alu instid0(VALU_DEP_3) | instskip(NEXT) | instid1(VALU_DEP_3)
	v_dual_ashrrev_i32 v25, 31, v25 :: v_dual_bitop2_b32 v20, s15, v20 bitop3:0x14
	v_ashrrev_i32_e32 v33, 31, v33
	v_cmp_gt_i32_e64 s18, 0, v34
	s_delay_alu instid0(VALU_DEP_4) | instskip(SKIP_3) | instid1(VALU_DEP_4)
	v_bitop3_b32 v0, v0, v16, exec_lo bitop3:0x80
	v_not_b32_e32 v16, v35
	v_xor_b32_e32 v21, s16, v21
	v_cmp_gt_i32_e64 s12, 0, v35
	v_bitop3_b32 v0, v0, v20, v17 bitop3:0x80
	s_delay_alu instid0(VALU_DEP_4) | instskip(SKIP_1) | instid1(VALU_DEP_2)
	v_dual_ashrrev_i32 v16, 31, v16 :: v_dual_bitop2_b32 v17, s17, v25 bitop3:0x14
	v_xor_b32_e32 v25, s18, v33
	v_xor_b32_e32 v33, s12, v16
	s_delay_alu instid0(VALU_DEP_3) | instskip(SKIP_3) | instid1(VALU_DEP_4)
	v_bitop3_b32 v34, v0, v17, v21 bitop3:0x80
	v_mov_b64_e32 v[20:21], v[28:29]
	v_lshl_add_u32 v0, v24, 3, v52
	v_mov_b64_e32 v[16:17], v[30:31]
	v_bitop3_b32 v28, v34, v33, v25 bitop3:0x80
	v_mov_b64_e32 v[24:25], v[26:27]
	s_delay_alu instid0(VALU_DEP_4) | instskip(NEXT) | instid1(VALU_DEP_3)
	v_lshl_add_u64 v[26:27], v[0:1], 2, v[12:13]
	v_mbcnt_lo_u32_b32 v0, v28, 0
	v_cmp_ne_u32_e64 s13, 0, v28
	s_delay_alu instid0(VALU_DEP_3) | instskip(NEXT) | instid1(VALU_DEP_3)
	v_add_nc_u64_e32 v[26:27], 32, v[26:27]
	v_cmp_eq_u32_e64 s12, 0, v0
	s_and_b32 s13, s13, s12
	s_delay_alu instid0(SALU_CYCLE_1)
	s_and_saveexec_b32 s12, s13
; %bb.326:                              ;   in Loop: Header=BB700_325 Depth=1
	v_bcnt_u32_b32 v27, v28, 0
	ds_store_b32 v26, v27
; %bb.327:                              ;   in Loop: Header=BB700_325 Depth=1
	s_or_b32 exec_lo, exec_lo, s12
	v_lshrrev_b64 v[28:29], v10, v[16:17]
	v_not_b32_e32 v27, v32
	; wave barrier
	s_delay_alu instid0(VALU_DEP_1) | instskip(SKIP_1) | instid1(VALU_DEP_2)
	v_and_b32_e32 v29, v28, v27
	v_bitop3_b32 v27, v28, 1, v27 bitop3:0x80
	v_lshlrev_b32_e32 v31, 30, v29
	s_delay_alu instid0(VALU_DEP_2) | instskip(NEXT) | instid1(VALU_DEP_1)
	v_add_co_u32 v27, s12, v27, -1
	v_cndmask_b32_e64 v30, 0, 1, s12
	s_delay_alu instid0(VALU_DEP_1) | instskip(NEXT) | instid1(VALU_DEP_4)
	v_cmp_ne_u32_e64 s12, 0, v30
	v_not_b32_e32 v30, v31
	s_delay_alu instid0(VALU_DEP_1) | instskip(SKIP_4) | instid1(VALU_DEP_4)
	v_dual_ashrrev_i32 v30, 31, v30 :: v_dual_bitop2_b32 v27, s12, v27 bitop3:0x14
	v_dual_lshlrev_b32 v32, 29, v29 :: v_dual_lshlrev_b32 v33, 28, v29
	v_lshlrev_b32_e32 v34, 27, v29
	v_cmp_gt_i32_e64 s13, 0, v31
	v_lshl_add_u32 v28, v29, 3, v52
	v_cmp_gt_i32_e64 s14, 0, v32
	v_not_b32_e32 v31, v32
	v_not_b32_e32 v32, v33
	v_dual_lshlrev_b32 v35, 26, v29 :: v_dual_lshlrev_b32 v36, 25, v29
	v_lshlrev_b32_e32 v29, 24, v29
	v_cmp_gt_i32_e64 s15, 0, v33
	s_delay_alu instid0(VALU_DEP_4)
	v_dual_ashrrev_i32 v31, 31, v31 :: v_dual_ashrrev_i32 v32, 31, v32
	v_xor_b32_e32 v30, s13, v30
	v_cmp_gt_i32_e64 s16, 0, v34
	v_not_b32_e32 v33, v34
	v_not_b32_e32 v34, v35
	v_xor_b32_e32 v31, s14, v31
	v_xor_b32_e32 v32, s15, v32
	v_bitop3_b32 v27, v27, v30, exec_lo bitop3:0x80
	v_ashrrev_i32_e32 v30, 31, v33
	v_cmp_gt_i32_e64 s12, 0, v35
	v_ashrrev_i32_e32 v33, 31, v34
	v_not_b32_e32 v34, v36
	v_bitop3_b32 v27, v27, v32, v31 bitop3:0x80
	v_not_b32_e32 v31, v29
	v_cmp_gt_i32_e64 s13, 0, v29
	s_delay_alu instid0(VALU_DEP_4) | instskip(SKIP_1) | instid1(VALU_DEP_4)
	v_dual_ashrrev_i32 v33, 31, v34 :: v_dual_bitop2_b32 v32, s12, v33 bitop3:0x14
	v_cmp_gt_i32_e64 s12, 0, v36
	v_ashrrev_i32_e32 v29, 31, v31
	v_lshl_add_u32 v31, v28, 2, v12
	v_xor_b32_e32 v30, s16, v30
	s_delay_alu instid0(VALU_DEP_3) | instskip(NEXT) | instid1(VALU_DEP_2)
	v_xor_b32_e32 v29, s13, v29
	v_bitop3_b32 v28, v27, v32, v30 bitop3:0x80
	v_xor_b32_e32 v30, s12, v33
	ds_load_b32 v27, v31 offset:32
	; wave barrier
	v_bitop3_b32 v30, v28, v29, v30 bitop3:0x80
	v_add_nc_u32_e32 v29, 32, v31
	s_delay_alu instid0(VALU_DEP_2) | instskip(SKIP_1) | instid1(VALU_DEP_2)
	v_mbcnt_lo_u32_b32 v28, v30, 0
	v_cmp_ne_u32_e64 s13, 0, v30
	v_cmp_eq_u32_e64 s12, 0, v28
	s_and_b32 s13, s13, s12
	s_delay_alu instid0(SALU_CYCLE_1)
	s_and_saveexec_b32 s12, s13
	s_cbranch_execz .LBB700_329
; %bb.328:                              ;   in Loop: Header=BB700_325 Depth=1
	s_wait_dscnt 0x0
	v_bcnt_u32_b32 v30, v30, v27
	ds_store_b32 v29, v30
.LBB700_329:                            ;   in Loop: Header=BB700_325 Depth=1
	s_or_b32 exec_lo, exec_lo, s12
	; wave barrier
	s_wait_dscnt 0x0
	s_barrier_signal -1
	s_barrier_wait -1
	ds_load_b32 v31, v19
	ds_load_b32 v32, v23
	;; [unrolled: 1-line block ×8, first 2 shown]
	s_wait_dscnt 0x6
	v_add_nc_u32_e32 v68, v32, v31
	s_wait_dscnt 0x4
	s_delay_alu instid0(VALU_DEP_1) | instskip(SKIP_1) | instid1(VALU_DEP_1)
	v_add3_u32 v68, v68, v33, v34
	s_wait_dscnt 0x2
	v_add3_u32 v68, v68, v35, v36
	s_wait_dscnt 0x0
	s_delay_alu instid0(VALU_DEP_1) | instskip(NEXT) | instid1(VALU_DEP_1)
	v_add3_u32 v37, v68, v30, v37
	v_mov_b32_dpp v68, v37 row_shr:1 row_mask:0xf bank_mask:0xf
	s_delay_alu instid0(VALU_DEP_1) | instskip(NEXT) | instid1(VALU_DEP_1)
	v_cndmask_b32_e64 v68, v68, 0, vcc_lo
	v_add_nc_u32_e32 v37, v68, v37
	s_delay_alu instid0(VALU_DEP_1) | instskip(NEXT) | instid1(VALU_DEP_1)
	v_mov_b32_dpp v68, v37 row_shr:2 row_mask:0xf bank_mask:0xf
	v_cndmask_b32_e64 v68, 0, v68, s0
	s_delay_alu instid0(VALU_DEP_1) | instskip(NEXT) | instid1(VALU_DEP_1)
	v_add_nc_u32_e32 v37, v37, v68
	v_mov_b32_dpp v68, v37 row_shr:4 row_mask:0xf bank_mask:0xf
	s_delay_alu instid0(VALU_DEP_1) | instskip(NEXT) | instid1(VALU_DEP_1)
	v_cndmask_b32_e64 v68, 0, v68, s1
	v_add_nc_u32_e32 v37, v37, v68
	s_delay_alu instid0(VALU_DEP_1) | instskip(NEXT) | instid1(VALU_DEP_1)
	v_mov_b32_dpp v68, v37 row_shr:8 row_mask:0xf bank_mask:0xf
	v_cndmask_b32_e64 v68, 0, v68, s3
	s_delay_alu instid0(VALU_DEP_1) | instskip(SKIP_3) | instid1(VALU_DEP_1)
	v_add_nc_u32_e32 v37, v37, v68
	ds_swizzle_b32 v68, v37 offset:swizzle(BROADCAST,32,15)
	s_wait_dscnt 0x0
	v_cndmask_b32_e64 v68, v68, 0, s4
	v_add_nc_u32_e32 v37, v37, v68
	s_and_saveexec_b32 s12, s5
; %bb.330:                              ;   in Loop: Header=BB700_325 Depth=1
	ds_store_b32 v54, v37
; %bb.331:                              ;   in Loop: Header=BB700_325 Depth=1
	s_or_b32 exec_lo, exec_lo, s12
	s_wait_dscnt 0x0
	s_barrier_signal -1
	s_barrier_wait -1
	s_and_saveexec_b32 s12, s6
	s_cbranch_execz .LBB700_333
; %bb.332:                              ;   in Loop: Header=BB700_325 Depth=1
	ds_load_b32 v68, v55
	s_wait_dscnt 0x0
	v_mov_b32_dpp v69, v68 row_shr:1 row_mask:0xf bank_mask:0xf
	s_delay_alu instid0(VALU_DEP_1) | instskip(NEXT) | instid1(VALU_DEP_1)
	v_cndmask_b32_e64 v69, v69, 0, s9
	v_add_nc_u32_e32 v68, v69, v68
	s_delay_alu instid0(VALU_DEP_1) | instskip(NEXT) | instid1(VALU_DEP_1)
	v_mov_b32_dpp v69, v68 row_shr:2 row_mask:0xf bank_mask:0xf
	v_cndmask_b32_e64 v69, 0, v69, s10
	s_delay_alu instid0(VALU_DEP_1) | instskip(NEXT) | instid1(VALU_DEP_1)
	v_add_nc_u32_e32 v68, v68, v69
	v_mov_b32_dpp v69, v68 row_shr:4 row_mask:0xf bank_mask:0xf
	s_delay_alu instid0(VALU_DEP_1) | instskip(NEXT) | instid1(VALU_DEP_1)
	v_cndmask_b32_e64 v69, 0, v69, s11
	v_add_nc_u32_e32 v68, v68, v69
	ds_store_b32 v55, v68
.LBB700_333:                            ;   in Loop: Header=BB700_325 Depth=1
	s_or_b32 exec_lo, exec_lo, s12
	v_mov_b32_e32 v68, 0
	s_wait_dscnt 0x0
	s_barrier_signal -1
	s_barrier_wait -1
	s_and_saveexec_b32 s12, s7
; %bb.334:                              ;   in Loop: Header=BB700_325 Depth=1
	ds_load_b32 v68, v65
; %bb.335:                              ;   in Loop: Header=BB700_325 Depth=1
	s_or_b32 exec_lo, exec_lo, s12
	s_wait_dscnt 0x0
	v_dual_add_nc_u32 v37, v68, v37 :: v_dual_add_nc_u32 v10, 8, v10
	s_mov_b32 s14, -1
	s_mov_b32 s13, exec_lo
	ds_bpermute_b32 v37, v53, v37
	s_wait_dscnt 0x0
	v_cndmask_b32_e64 v37, v37, v68, s2
	s_delay_alu instid0(VALU_DEP_1) | instskip(NEXT) | instid1(VALU_DEP_1)
	v_cndmask_b32_e64 v37, v37, 0, s8
	v_add_nc_u32_e32 v31, v37, v31
	s_delay_alu instid0(VALU_DEP_1) | instskip(NEXT) | instid1(VALU_DEP_1)
	v_add_nc_u32_e32 v32, v31, v32
	v_add_nc_u32_e32 v33, v32, v33
	s_delay_alu instid0(VALU_DEP_1) | instskip(NEXT) | instid1(VALU_DEP_1)
	v_add_nc_u32_e32 v34, v33, v34
	v_add_nc_u32_e32 v35, v34, v35
	s_delay_alu instid0(VALU_DEP_1)
	v_add_nc_u32_e32 v36, v35, v36
	ds_store_b32 v19, v37
	ds_store_b32 v23, v31
	;; [unrolled: 1-line block ×3, first 2 shown]
	v_add_nc_u32_e32 v30, v36, v30
	ds_store_b32 v39, v33
	ds_store_b32 v48, v34
	;; [unrolled: 1-line block ×5, first 2 shown]
	s_wait_dscnt 0x0
	s_barrier_signal -1
	s_barrier_wait -1
	ds_load_b32 v26, v26
	ds_load_b32 v30, v29
	v_mov_b32_e32 v29, v1
	s_wait_dscnt 0x0
                                        ; implicit-def: $vgpr32_vgpr33
	v_add_nc_u32_e32 v0, v26, v0
	v_add3_u32 v28, v28, v27, v30
                                        ; implicit-def: $vgpr30_vgpr31
                                        ; implicit-def: $vgpr26_vgpr27
	s_delay_alu instid0(VALU_DEP_2) | instskip(NEXT) | instid1(VALU_DEP_2)
	v_lshl_add_u64 v[34:35], v[0:1], 3, v[12:13]
	v_lshl_add_u64 v[36:37], v[28:29], 3, v[12:13]
                                        ; implicit-def: $vgpr28_vgpr29
	v_cmpx_lt_u32_e64 v10, v11
	s_cbranch_execz .LBB700_324
; %bb.336:                              ;   in Loop: Header=BB700_325 Depth=1
	s_barrier_signal -1
	s_barrier_wait -1
	ds_store_b64 v34, v[14:15]
	ds_store_b64 v36, v[16:17]
	s_wait_dscnt 0x0
	s_barrier_signal -1
	s_barrier_wait -1
	ds_load_b64 v[32:33], v64
	ds_load_b64 v[30:31], v66
	s_wait_dscnt 0x0
	s_barrier_signal -1
	s_barrier_wait -1
	ds_store_b64 v34, v[24:25]
	ds_store_b64 v36, v[20:21]
	s_wait_dscnt 0x0
	s_barrier_signal -1
	s_barrier_wait -1
	ds_load_b64 v[26:27], v64
	ds_load_b64 v[28:29], v66
	v_add_nc_u32_e32 v67, -8, v67
	s_xor_b32 s14, exec_lo, -1
	s_wait_dscnt 0x0
	s_barrier_signal -1
	s_barrier_wait -1
	s_branch .LBB700_324
.LBB700_337:
	flat_load_b64 v[24:25], v[0:1]
	s_wait_xcnt 0x0
	s_or_b32 exec_lo, exec_lo, s3
                                        ; implicit-def: $vgpr36_vgpr37
	s_and_saveexec_b32 s3, s0
	s_cbranch_execz .LBB700_264
.LBB700_338:
	flat_load_b64 v[36:37], v[0:1] offset:256
	s_wait_xcnt 0x0
	s_or_b32 exec_lo, exec_lo, s3
                                        ; implicit-def: $vgpr38_vgpr39
	s_and_saveexec_b32 s0, s1
	s_cbranch_execz .LBB700_265
.LBB700_339:
	flat_load_b64 v[38:39], v[0:1] offset:512
	s_wait_xcnt 0x0
	s_or_b32 exec_lo, exec_lo, s0
                                        ; implicit-def: $vgpr48_vgpr49
	s_and_saveexec_b32 s0, s2
	s_cbranch_execnz .LBB700_266
	s_branch .LBB700_267
.LBB700_340:
	flat_store_b64 v[0:1], v[14:15]
	s_wait_xcnt 0x0
	s_or_b32 exec_lo, exec_lo, s3
	s_and_saveexec_b32 s3, s0
	s_cbranch_execz .LBB700_309
.LBB700_341:
	flat_store_b64 v[0:1], v[16:17] offset:2048
	s_wait_xcnt 0x0
	s_or_b32 exec_lo, exec_lo, s3
	s_and_saveexec_b32 s0, s1
	s_cbranch_execz .LBB700_310
.LBB700_342:
	flat_store_b64 v[0:1], v[10:11] offset:4096
	s_wait_xcnt 0x0
	s_or_b32 exec_lo, exec_lo, s0
	s_and_saveexec_b32 s0, s2
	s_cbranch_execnz .LBB700_311
	s_branch .LBB700_312
.LBB700_343:
	s_or_b32 exec_lo, exec_lo, s22
	v_lshl_add_u32 v0, v22, 3, v12
	s_barrier_signal -1
	s_barrier_wait -1
	ds_store_b64 v34, v[14:15]
	ds_store_b64 v36, v[16:17]
	s_wait_dscnt 0x0
	s_barrier_signal -1
	s_barrier_wait -1
	ds_load_2addr_stride64_b64 v[14:17], v0 offset1:4
	s_wait_dscnt 0x0
	s_barrier_signal -1
	s_barrier_wait -1
	ds_store_b64 v34, v[24:25]
	ds_store_b64 v36, v[20:21]
	s_wait_dscnt 0x0
	s_barrier_signal -1
	s_barrier_wait -1
	ds_load_2addr_stride64_b64 v[10:13], v0 offset1:4
	v_lshl_add_u64 v[0:1], v[8:9], 3, v[2:3]
	v_mov_b32_e32 v19, 0
	s_set_vgpr_msb 4                        ;  msbs: dst=0 src0=0 src1=1 src2=0
	v_cmp_lt_u32_e32 vcc_lo, v18, v34 /*v290*/
	s_wait_dscnt 0x0
	s_barrier_signal -1
	s_barrier_wait -1
	v_lshl_add_u64 v[0:1], v[18:19], 3, v[0:1]
	s_and_saveexec_b32 s0, vcc_lo
	s_set_vgpr_msb 0                        ;  msbs: dst=0 src0=0 src1=0 src2=0
	s_cbranch_execz .LBB700_345
; %bb.344:
	v_xor_b32_e32 v3, 0x7fffffff, v15
	v_not_b32_e32 v2, v14
	flat_store_b64 v[0:1], v[2:3]
.LBB700_345:
	s_wait_xcnt 0x0
	s_or_b32 exec_lo, exec_lo, s0
	v_add_nc_u32_e32 v2, 0x100, v18
	s_set_vgpr_msb 4                        ;  msbs: dst=0 src0=0 src1=1 src2=0
	s_delay_alu instid0(VALU_DEP_1)
	v_cmp_lt_u32_e64 s0, v2, v34 /*v290*/
	s_and_saveexec_b32 s1, s0
	s_set_vgpr_msb 0                        ;  msbs: dst=0 src0=0 src1=0 src2=0
	s_cbranch_execz .LBB700_347
; %bb.346:
	v_xor_b32_e32 v3, 0x7fffffff, v17
	v_not_b32_e32 v2, v16
	flat_store_b64 v[0:1], v[2:3] offset:2048
.LBB700_347:
	s_wait_xcnt 0x0
	s_or_b32 exec_lo, exec_lo, s1
	v_lshl_add_u64 v[0:1], v[8:9], 3, v[6:7]
	s_delay_alu instid0(VALU_DEP_1)
	v_lshl_add_u64 v[0:1], v[18:19], 3, v[0:1]
	s_and_saveexec_b32 s1, vcc_lo
	s_cbranch_execz .LBB700_349
; %bb.348:
	flat_store_b64 v[0:1], v[10:11]
.LBB700_349:
	s_wait_xcnt 0x0
	s_or_b32 exec_lo, exec_lo, s1
	s_and_saveexec_b32 s1, s0
	s_cbranch_execz .LBB700_351
; %bb.350:
	flat_store_b64 v[0:1], v[12:13] offset:2048
.LBB700_351:
	s_wait_xcnt 0x0
	s_or_b32 exec_lo, exec_lo, s1
                                        ; implicit-def: $vgpr18
                                        ; implicit-def: $vgpr8_vgpr9
                                        ; implicit-def: $vgpr290
                                        ; implicit-def: $vgpr10
                                        ; implicit-def: $vgpr11
                                        ; implicit-def: $vgpr0_vgpr1
                                        ; implicit-def: $vgpr2_vgpr3
                                        ; implicit-def: $vgpr4_vgpr5
                                        ; implicit-def: $vgpr6_vgpr7
                                        ; implicit-def: $vgpr12_vgpr13
                                        ; implicit-def: $vgpr22
                                        ; implicit-def: $vgpr34
.LBB700_352:
	s_and_not1_saveexec_b32 s0, s19
	s_cbranch_execz .LBB700_372
; %bb.353:
	s_delay_alu instid0(VALU_DEP_3) | instskip(SKIP_2) | instid1(VALU_DEP_3)
	v_and_b32_e32 v14, 0xffffffe0, v18
	v_mov_b64_e32 v[24:25], -1
	v_lshlrev_b32_e32 v20, 3, v34
	v_or_b32_e32 v15, v34, v14
	s_set_vgpr_msb 4                        ;  msbs: dst=0 src0=0 src1=1 src2=0
	s_delay_alu instid0(VALU_DEP_1)
	v_cmp_lt_u32_e32 vcc_lo, v15, v34 /*v290*/
	s_and_saveexec_b32 s0, vcc_lo
	s_set_vgpr_msb 0                        ;  msbs: dst=0 src0=0 src1=0 src2=0
	s_cbranch_execz .LBB700_355
; %bb.354:
	v_lshl_add_u64 v[0:1], v[8:9], 3, v[0:1]
	v_mov_b32_e32 v21, 0
	s_delay_alu instid0(VALU_DEP_1) | instskip(SKIP_1) | instid1(VALU_DEP_1)
	v_add_nc_u64_e32 v[0:1], v[0:1], v[20:21]
	v_mov_b32_e32 v15, v21
	v_lshl_add_u64 v[0:1], v[14:15], 3, v[0:1]
	flat_load_b64 v[0:1], v[0:1]
	s_wait_loadcnt_dscnt 0x0
	v_xor_b32_e32 v25, 0x7fffffff, v1
	v_not_b32_e32 v24, v0
.LBB700_355:
	s_wait_xcnt 0x0
	s_or_b32 exec_lo, exec_lo, s0
                                        ; implicit-def: $vgpr16_vgpr17
	s_and_saveexec_b32 s0, vcc_lo
	s_cbranch_execz .LBB700_357
; %bb.356:
	v_lshl_add_u64 v[0:1], v[8:9], 3, v[4:5]
	v_mov_b32_e32 v21, 0
	s_delay_alu instid0(VALU_DEP_1) | instskip(SKIP_1) | instid1(VALU_DEP_1)
	v_add_nc_u64_e32 v[0:1], v[0:1], v[20:21]
	v_mov_b32_e32 v15, v21
	v_lshl_add_u64 v[0:1], v[14:15], 3, v[0:1]
	flat_load_b64 v[16:17], v[0:1]
.LBB700_357:
	s_wait_xcnt 0x0
	s_or_b32 exec_lo, exec_lo, s0
	v_lshl_add_u32 v0, v22, 5, v12
	v_and_b32_e32 v1, 15, v34
	v_sub_co_u32 v14, s2, v34, 1
	s_get_pc_i64 s[0:1]
	s_add_nc_u64 s[0:1], s[0:1], _ZN7rocprim17ROCPRIM_400000_NS16block_radix_sortIlLj256ELj1ElLj1ELj1ELj8ELNS0_26block_radix_rank_algorithmE2ELNS0_18block_padding_hintE2ELNS0_4arch9wavefront6targetE0EE19radix_bits_per_passE@rel64+4
	v_dual_add_nc_u32 v19, 32, v0 :: v_dual_add_nc_u32 v23, 36, v0
	v_dual_add_nc_u32 v28, 40, v0 :: v_dual_add_nc_u32 v29, 44, v0
	;; [unrolled: 1-line block ×4, first 2 shown]
	v_lshrrev_b32_e32 v35, 5, v18
	v_and_b32_e32 v0, 0x3e0, v22
	s_load_b32 s19, s[0:1], 0x0
	v_cmp_eq_u32_e32 vcc_lo, 0, v1
	s_wait_xcnt 0x0
	v_cmp_lt_u32_e64 s0, 1, v1
	v_cmp_lt_u32_e64 s1, 3, v1
	v_min_u32_e32 v4, 0xe0, v0
	v_and_b32_e32 v5, 16, v34
	v_cmp_lt_u32_e64 s3, 7, v1
	v_cmp_gt_i32_e64 s5, 0, v14
	v_cmp_gt_u32_e64 s6, 8, v22
	v_dual_lshrrev_b32 v4, 3, v22 :: v_dual_bitop2_b32 v1, 31, v4 bitop3:0x54
	v_cmp_eq_u32_e64 s4, 0, v5
	s_delay_alu instid0(VALU_DEP_4) | instskip(SKIP_1) | instid1(VALU_DEP_4)
	v_cndmask_b32_e64 v5, v14, v34, s5
	v_cmp_lt_u32_e64 s7, 31, v22
	v_cmp_eq_u32_e64 s5, v22, v1
	v_and_b32_e32 v1, 0x7c, v4
	s_delay_alu instid0(VALU_DEP_4) | instskip(SKIP_2) | instid1(VALU_DEP_4)
	v_dual_lshlrev_b32 v36, 2, v5 :: v_dual_bitop2_b32 v4, 7, v34 bitop3:0x40
	v_cmp_eq_u32_e64 s8, 0, v22
	v_lshl_add_u32 v38, v22, 2, v12
	v_dual_add_nc_u32 v37, v12, v1 :: v_dual_bitop2_b32 v0, v34, v0 bitop3:0x54
	s_delay_alu instid0(VALU_DEP_4)
	v_cmp_eq_u32_e64 s9, 0, v4
	v_cmp_lt_u32_e64 s10, 1, v4
	v_cmp_lt_u32_e64 s11, 3, v4
	v_mov_b64_e32 v[4:5], 0
	v_dual_mov_b32 v1, 0 :: v_dual_add_nc_u32 v34, -4, v37
	v_lshl_add_u32 v39, v0, 3, v12
	v_sub_nc_u32_e32 v48, v11, v10
	s_mov_b32 s21, 0
	s_wait_storecnt 0x0
	s_wait_loadcnt_dscnt 0x0
	s_barrier_signal -1
	s_barrier_wait -1
	s_branch .LBB700_359
.LBB700_358:                            ;   in Loop: Header=BB700_359 Depth=1
	s_or_b32 exec_lo, exec_lo, s13
	s_delay_alu instid0(SALU_CYCLE_1) | instskip(NEXT) | instid1(SALU_CYCLE_1)
	s_and_b32 s12, exec_lo, s14
	s_or_b32 s21, s12, s21
	s_delay_alu instid0(SALU_CYCLE_1)
	s_and_not1_b32 exec_lo, exec_lo, s21
	s_cbranch_execz .LBB700_369
.LBB700_359:                            ; =>This Inner Loop Header: Depth=1
	v_mov_b64_e32 v[14:15], v[24:25]
	s_wait_kmcnt 0x0
	v_min_u32_e32 v0, s19, v48
	ds_store_b64 v19, v[4:5]
	ds_store_b64 v28, v[4:5]
	;; [unrolled: 1-line block ×4, first 2 shown]
	s_wait_dscnt 0x0
	s_barrier_signal -1
	v_lshlrev_b32_e64 v0, v0, -1
	v_lshrrev_b64 v[20:21], v10, v[14:15]
	s_barrier_wait -1
	; wave barrier
	s_delay_alu instid0(VALU_DEP_1) | instskip(SKIP_1) | instid1(VALU_DEP_2)
	v_bitop3_b32 v21, v20, 1, v0 bitop3:0x40
	v_bitop3_b32 v0, v20, v0, v20 bitop3:0x30
	v_add_co_u32 v20, s12, v21, -1
	s_delay_alu instid0(VALU_DEP_1) | instskip(NEXT) | instid1(VALU_DEP_3)
	v_cndmask_b32_e64 v21, 0, 1, s12
	v_dual_lshlrev_b32 v24, 30, v0 :: v_dual_lshlrev_b32 v25, 29, v0
	v_dual_lshlrev_b32 v26, 28, v0 :: v_dual_lshlrev_b32 v27, 27, v0
	s_delay_alu instid0(VALU_DEP_3) | instskip(NEXT) | instid1(VALU_DEP_3)
	v_cmp_ne_u32_e64 s12, 0, v21
	v_not_b32_e32 v21, v24
	v_dual_lshlrev_b32 v49, 26, v0 :: v_dual_lshlrev_b32 v50, 25, v0
	v_lshlrev_b32_e32 v51, 24, v0
	v_cmp_gt_i32_e64 s13, 0, v24
	v_cmp_gt_i32_e64 s14, 0, v25
	v_not_b32_e32 v24, v25
	v_not_b32_e32 v25, v26
	v_ashrrev_i32_e32 v21, 31, v21
	v_cmp_gt_i32_e64 s15, 0, v26
	v_cmp_gt_i32_e64 s16, 0, v27
	v_not_b32_e32 v26, v27
	v_not_b32_e32 v27, v49
	v_dual_ashrrev_i32 v25, 31, v25 :: v_dual_bitop2_b32 v20, s12, v20 bitop3:0x14
	v_dual_ashrrev_i32 v24, 31, v24 :: v_dual_bitop2_b32 v21, s13, v21 bitop3:0x14
	v_cmp_gt_i32_e64 s17, 0, v49
	v_not_b32_e32 v49, v50
	s_delay_alu instid0(VALU_DEP_3)
	v_dual_ashrrev_i32 v26, 31, v26 :: v_dual_bitop2_b32 v24, s14, v24 bitop3:0x14
	v_dual_ashrrev_i32 v27, 31, v27 :: v_dual_bitop2_b32 v25, s15, v25 bitop3:0x14
	v_bitop3_b32 v20, v20, v21, exec_lo bitop3:0x80
	v_not_b32_e32 v21, v51
	v_cmp_gt_i32_e64 s18, 0, v50
	v_dual_ashrrev_i32 v49, 31, v49 :: v_dual_bitop2_b32 v26, s16, v26 bitop3:0x14
	s_delay_alu instid0(VALU_DEP_4) | instskip(SKIP_2) | instid1(VALU_DEP_4)
	v_bitop3_b32 v20, v20, v25, v24 bitop3:0x80
	v_cmp_gt_i32_e64 s12, 0, v51
	v_dual_ashrrev_i32 v21, 31, v21 :: v_dual_bitop2_b32 v24, s17, v27 bitop3:0x14
	v_xor_b32_e32 v25, s18, v49
	v_lshl_add_u32 v0, v0, 3, v35
	s_delay_alu instid0(VALU_DEP_3) | instskip(NEXT) | instid1(VALU_DEP_4)
	v_xor_b32_e32 v21, s12, v21
	v_bitop3_b32 v20, v20, v24, v26 bitop3:0x80
	s_delay_alu instid0(VALU_DEP_1) | instskip(SKIP_2) | instid1(VALU_DEP_3)
	v_bitop3_b32 v24, v20, v21, v25 bitop3:0x80
	v_mov_b64_e32 v[20:21], v[16:17]
	v_lshl_add_u64 v[16:17], v[0:1], 2, v[12:13]
	v_mbcnt_lo_u32_b32 v0, v24, 0
	v_cmp_ne_u32_e64 s13, 0, v24
	s_delay_alu instid0(VALU_DEP_3) | instskip(NEXT) | instid1(VALU_DEP_3)
	v_add_nc_u64_e32 v[16:17], 32, v[16:17]
	v_cmp_eq_u32_e64 s12, 0, v0
	s_and_b32 s13, s13, s12
	s_delay_alu instid0(SALU_CYCLE_1)
	s_and_saveexec_b32 s12, s13
; %bb.360:                              ;   in Loop: Header=BB700_359 Depth=1
	v_bcnt_u32_b32 v17, v24, 0
	ds_store_b32 v16, v17
; %bb.361:                              ;   in Loop: Header=BB700_359 Depth=1
	s_or_b32 exec_lo, exec_lo, s12
	; wave barrier
	s_wait_dscnt 0x0
	s_barrier_signal -1
	s_barrier_wait -1
	ds_load_b32 v24, v19
	ds_load_b32 v25, v23
	;; [unrolled: 1-line block ×8, first 2 shown]
	s_wait_dscnt 0x6
	v_add_nc_u32_e32 v52, v25, v24
	s_wait_dscnt 0x4
	s_delay_alu instid0(VALU_DEP_1) | instskip(SKIP_1) | instid1(VALU_DEP_1)
	v_add3_u32 v52, v52, v26, v27
	s_wait_dscnt 0x2
	v_add3_u32 v52, v52, v49, v50
	s_wait_dscnt 0x0
	s_delay_alu instid0(VALU_DEP_1) | instskip(NEXT) | instid1(VALU_DEP_1)
	v_add3_u32 v51, v52, v17, v51
	v_mov_b32_dpp v52, v51 row_shr:1 row_mask:0xf bank_mask:0xf
	s_delay_alu instid0(VALU_DEP_1) | instskip(NEXT) | instid1(VALU_DEP_1)
	v_cndmask_b32_e64 v52, v52, 0, vcc_lo
	v_add_nc_u32_e32 v51, v52, v51
	s_delay_alu instid0(VALU_DEP_1) | instskip(NEXT) | instid1(VALU_DEP_1)
	v_mov_b32_dpp v52, v51 row_shr:2 row_mask:0xf bank_mask:0xf
	v_cndmask_b32_e64 v52, 0, v52, s0
	s_delay_alu instid0(VALU_DEP_1) | instskip(NEXT) | instid1(VALU_DEP_1)
	v_add_nc_u32_e32 v51, v51, v52
	v_mov_b32_dpp v52, v51 row_shr:4 row_mask:0xf bank_mask:0xf
	s_delay_alu instid0(VALU_DEP_1) | instskip(NEXT) | instid1(VALU_DEP_1)
	v_cndmask_b32_e64 v52, 0, v52, s1
	v_add_nc_u32_e32 v51, v51, v52
	s_delay_alu instid0(VALU_DEP_1) | instskip(NEXT) | instid1(VALU_DEP_1)
	v_mov_b32_dpp v52, v51 row_shr:8 row_mask:0xf bank_mask:0xf
	v_cndmask_b32_e64 v52, 0, v52, s3
	s_delay_alu instid0(VALU_DEP_1) | instskip(SKIP_3) | instid1(VALU_DEP_1)
	v_add_nc_u32_e32 v51, v51, v52
	ds_swizzle_b32 v52, v51 offset:swizzle(BROADCAST,32,15)
	s_wait_dscnt 0x0
	v_cndmask_b32_e64 v52, v52, 0, s4
	v_add_nc_u32_e32 v51, v51, v52
	s_and_saveexec_b32 s12, s5
; %bb.362:                              ;   in Loop: Header=BB700_359 Depth=1
	ds_store_b32 v37, v51
; %bb.363:                              ;   in Loop: Header=BB700_359 Depth=1
	s_or_b32 exec_lo, exec_lo, s12
	s_wait_dscnt 0x0
	s_barrier_signal -1
	s_barrier_wait -1
	s_and_saveexec_b32 s12, s6
	s_cbranch_execz .LBB700_365
; %bb.364:                              ;   in Loop: Header=BB700_359 Depth=1
	ds_load_b32 v52, v38
	s_wait_dscnt 0x0
	v_mov_b32_dpp v53, v52 row_shr:1 row_mask:0xf bank_mask:0xf
	s_delay_alu instid0(VALU_DEP_1) | instskip(NEXT) | instid1(VALU_DEP_1)
	v_cndmask_b32_e64 v53, v53, 0, s9
	v_add_nc_u32_e32 v52, v53, v52
	s_delay_alu instid0(VALU_DEP_1) | instskip(NEXT) | instid1(VALU_DEP_1)
	v_mov_b32_dpp v53, v52 row_shr:2 row_mask:0xf bank_mask:0xf
	v_cndmask_b32_e64 v53, 0, v53, s10
	s_delay_alu instid0(VALU_DEP_1) | instskip(NEXT) | instid1(VALU_DEP_1)
	v_add_nc_u32_e32 v52, v52, v53
	v_mov_b32_dpp v53, v52 row_shr:4 row_mask:0xf bank_mask:0xf
	s_delay_alu instid0(VALU_DEP_1) | instskip(NEXT) | instid1(VALU_DEP_1)
	v_cndmask_b32_e64 v53, 0, v53, s11
	v_add_nc_u32_e32 v52, v52, v53
	ds_store_b32 v38, v52
.LBB700_365:                            ;   in Loop: Header=BB700_359 Depth=1
	s_or_b32 exec_lo, exec_lo, s12
	v_mov_b32_e32 v52, 0
	s_wait_dscnt 0x0
	s_barrier_signal -1
	s_barrier_wait -1
	s_and_saveexec_b32 s12, s7
; %bb.366:                              ;   in Loop: Header=BB700_359 Depth=1
	ds_load_b32 v52, v34
; %bb.367:                              ;   in Loop: Header=BB700_359 Depth=1
	s_or_b32 exec_lo, exec_lo, s12
	s_wait_dscnt 0x0
	v_add_nc_u32_e32 v51, v52, v51
	s_mov_b32 s14, -1
	s_mov_b32 s13, exec_lo
	v_add_nc_u32_e32 v10, 8, v10
	ds_bpermute_b32 v51, v36, v51
	s_wait_dscnt 0x0
	v_cndmask_b32_e64 v51, v51, v52, s2
	s_delay_alu instid0(VALU_DEP_1) | instskip(NEXT) | instid1(VALU_DEP_1)
	v_cndmask_b32_e64 v51, v51, 0, s8
	v_add_nc_u32_e32 v24, v51, v24
	s_delay_alu instid0(VALU_DEP_1) | instskip(NEXT) | instid1(VALU_DEP_1)
	v_add_nc_u32_e32 v25, v24, v25
	v_add_nc_u32_e32 v26, v25, v26
	s_delay_alu instid0(VALU_DEP_1) | instskip(SKIP_4) | instid1(VALU_DEP_1)
	v_add_nc_u32_e32 v27, v26, v27
	ds_store_b32 v19, v51
	ds_store_b32 v23, v24
	ds_store_b32 v28, v25
                                        ; implicit-def: $vgpr24_vgpr25
	v_add_nc_u32_e32 v49, v27, v49
	v_add_nc_u32_e32 v50, v49, v50
	s_delay_alu instid0(VALU_DEP_1)
	v_add_nc_u32_e32 v17, v50, v17
	ds_store_b32 v29, v26
	ds_store_b32 v30, v27
	;; [unrolled: 1-line block ×5, first 2 shown]
	s_wait_dscnt 0x0
	s_barrier_signal -1
	s_barrier_wait -1
	ds_load_b32 v16, v16
	s_wait_dscnt 0x0
	v_add_nc_u32_e32 v0, v16, v0
                                        ; implicit-def: $vgpr16_vgpr17
	s_delay_alu instid0(VALU_DEP_1)
	v_lshl_add_u64 v[26:27], v[0:1], 3, v[12:13]
	v_cmpx_lt_u32_e64 v10, v11
	s_cbranch_execz .LBB700_358
; %bb.368:                              ;   in Loop: Header=BB700_359 Depth=1
	s_barrier_signal -1
	s_barrier_wait -1
	ds_store_b64 v26, v[14:15]
	s_wait_dscnt 0x0
	s_barrier_signal -1
	s_barrier_wait -1
	ds_load_b64 v[24:25], v39
	s_wait_dscnt 0x0
	s_barrier_signal -1
	s_barrier_wait -1
	ds_store_b64 v26, v[20:21]
	s_wait_dscnt 0x0
	s_barrier_signal -1
	s_barrier_wait -1
	ds_load_b64 v[16:17], v39
	v_add_nc_u32_e32 v48, -8, v48
	s_xor_b32 s14, exec_lo, -1
	s_wait_dscnt 0x0
	s_barrier_signal -1
	s_barrier_wait -1
	s_branch .LBB700_358
.LBB700_369:
	s_or_b32 exec_lo, exec_lo, s21
	v_lshl_add_u32 v4, v22, 3, v12
	s_barrier_signal -1
	s_barrier_wait -1
	ds_store_b64 v26, v[14:15]
	s_wait_dscnt 0x0
	s_barrier_signal -1
	s_barrier_wait -1
	ds_load_b64 v[0:1], v4
	s_wait_dscnt 0x0
	s_barrier_signal -1
	s_barrier_wait -1
	ds_store_b64 v26, v[20:21]
	s_wait_dscnt 0x0
	s_barrier_signal -1
	s_barrier_wait -1
	ds_load_b64 v[4:5], v4
	s_mov_b32 s0, exec_lo
	s_wait_dscnt 0x0
	s_barrier_signal -1
	s_barrier_wait -1
	s_set_vgpr_msb 4                        ;  msbs: dst=0 src0=0 src1=1 src2=0
	v_cmpx_lt_u32_e64 v18, v34 /*v290*/
	s_set_vgpr_msb 0                        ;  msbs: dst=0 src0=0 src1=0 src2=0
	s_cbranch_execz .LBB700_371
; %bb.370:
	v_lshlrev_b64_e32 v[8:9], 3, v[8:9]
	v_mov_b32_e32 v19, 0
	v_xor_b32_e32 v1, 0x7fffffff, v1
	v_not_b32_e32 v0, v0
	s_delay_alu instid0(VALU_DEP_3) | instskip(SKIP_2) | instid1(VALU_DEP_2)
	v_lshlrev_b64_e32 v[10:11], 3, v[18:19]
	v_add_nc_u64_e32 v[2:3], v[2:3], v[8:9]
	v_add_nc_u64_e32 v[6:7], v[6:7], v[8:9]
	;; [unrolled: 1-line block ×3, first 2 shown]
	s_delay_alu instid0(VALU_DEP_2)
	v_add_nc_u64_e32 v[6:7], v[6:7], v[10:11]
	flat_store_b64 v[2:3], v[0:1]
	flat_store_b64 v[6:7], v[4:5]
.LBB700_371:
	s_wait_xcnt 0x0
	s_or_b32 exec_lo, exec_lo, s0
.LBB700_372:
	s_delay_alu instid0(SALU_CYCLE_1)
	s_or_b32 exec_lo, exec_lo, s20
	s_wait_dscnt 0x0
	s_set_pc_i64 s[30:31]
.Lfunc_end700:
	.size	_ZN7rocprim17ROCPRIM_400000_NS6detail40segmented_radix_sort_single_block_helperIllLj256ELj16ELb1EE4sortIPKlPlS6_S7_EEbT_T0_T1_T2_jjjjRNS3_12storage_typeE, .Lfunc_end700-_ZN7rocprim17ROCPRIM_400000_NS6detail40segmented_radix_sort_single_block_helperIllLj256ELj16ELb1EE4sortIPKlPlS6_S7_EEbT_T0_T1_T2_jjjjRNS3_12storage_typeE
                                        ; -- End function
	.set .L_ZN7rocprim17ROCPRIM_400000_NS6detail40segmented_radix_sort_single_block_helperIllLj256ELj16ELb1EE4sortIPKlPlS6_S7_EEbT_T0_T1_T2_jjjjRNS3_12storage_typeE.num_vgpr, 319
	.set .L_ZN7rocprim17ROCPRIM_400000_NS6detail40segmented_radix_sort_single_block_helperIllLj256ELj16ELb1EE4sortIPKlPlS6_S7_EEbT_T0_T1_T2_jjjjRNS3_12storage_typeE.num_agpr, 0
	.set .L_ZN7rocprim17ROCPRIM_400000_NS6detail40segmented_radix_sort_single_block_helperIllLj256ELj16ELb1EE4sortIPKlPlS6_S7_EEbT_T0_T1_T2_jjjjRNS3_12storage_typeE.numbered_sgpr, 32
	.set .L_ZN7rocprim17ROCPRIM_400000_NS6detail40segmented_radix_sort_single_block_helperIllLj256ELj16ELb1EE4sortIPKlPlS6_S7_EEbT_T0_T1_T2_jjjjRNS3_12storage_typeE.num_named_barrier, 0
	.set .L_ZN7rocprim17ROCPRIM_400000_NS6detail40segmented_radix_sort_single_block_helperIllLj256ELj16ELb1EE4sortIPKlPlS6_S7_EEbT_T0_T1_T2_jjjjRNS3_12storage_typeE.private_seg_size, 0
	.set .L_ZN7rocprim17ROCPRIM_400000_NS6detail40segmented_radix_sort_single_block_helperIllLj256ELj16ELb1EE4sortIPKlPlS6_S7_EEbT_T0_T1_T2_jjjjRNS3_12storage_typeE.uses_vcc, 1
	.set .L_ZN7rocprim17ROCPRIM_400000_NS6detail40segmented_radix_sort_single_block_helperIllLj256ELj16ELb1EE4sortIPKlPlS6_S7_EEbT_T0_T1_T2_jjjjRNS3_12storage_typeE.uses_flat_scratch, 0
	.set .L_ZN7rocprim17ROCPRIM_400000_NS6detail40segmented_radix_sort_single_block_helperIllLj256ELj16ELb1EE4sortIPKlPlS6_S7_EEbT_T0_T1_T2_jjjjRNS3_12storage_typeE.has_dyn_sized_stack, 0
	.set .L_ZN7rocprim17ROCPRIM_400000_NS6detail40segmented_radix_sort_single_block_helperIllLj256ELj16ELb1EE4sortIPKlPlS6_S7_EEbT_T0_T1_T2_jjjjRNS3_12storage_typeE.has_recursion, 0
	.set .L_ZN7rocprim17ROCPRIM_400000_NS6detail40segmented_radix_sort_single_block_helperIllLj256ELj16ELb1EE4sortIPKlPlS6_S7_EEbT_T0_T1_T2_jjjjRNS3_12storage_typeE.has_indirect_call, 0
	.section	.AMDGPU.csdata,"",@progbits
; Function info:
; codeLenInByte = 29608
; TotalNumSgprs: 34
; NumVgprs: 319
; ScratchSize: 0
; MemoryBound: 1
	.section	.text._ZN7rocprim17ROCPRIM_400000_NS6detail17trampoline_kernelINS0_14default_configENS1_36segmented_radix_sort_config_selectorIllEEZNS1_25segmented_radix_sort_implIS3_Lb1EPKlPlS8_S9_N2at6native12_GLOBAL__N_18offset_tEEE10hipError_tPvRmT1_PNSt15iterator_traitsISH_E10value_typeET2_T3_PNSI_ISN_E10value_typeET4_jRbjT5_ST_jjP12ihipStream_tbEUlT_E_NS1_11comp_targetILNS1_3genE0ELNS1_11target_archE4294967295ELNS1_3gpuE0ELNS1_3repE0EEENS1_30default_config_static_selectorELNS0_4arch9wavefront6targetE0EEEvSH_,"axG",@progbits,_ZN7rocprim17ROCPRIM_400000_NS6detail17trampoline_kernelINS0_14default_configENS1_36segmented_radix_sort_config_selectorIllEEZNS1_25segmented_radix_sort_implIS3_Lb1EPKlPlS8_S9_N2at6native12_GLOBAL__N_18offset_tEEE10hipError_tPvRmT1_PNSt15iterator_traitsISH_E10value_typeET2_T3_PNSI_ISN_E10value_typeET4_jRbjT5_ST_jjP12ihipStream_tbEUlT_E_NS1_11comp_targetILNS1_3genE0ELNS1_11target_archE4294967295ELNS1_3gpuE0ELNS1_3repE0EEENS1_30default_config_static_selectorELNS0_4arch9wavefront6targetE0EEEvSH_,comdat
	.globl	_ZN7rocprim17ROCPRIM_400000_NS6detail17trampoline_kernelINS0_14default_configENS1_36segmented_radix_sort_config_selectorIllEEZNS1_25segmented_radix_sort_implIS3_Lb1EPKlPlS8_S9_N2at6native12_GLOBAL__N_18offset_tEEE10hipError_tPvRmT1_PNSt15iterator_traitsISH_E10value_typeET2_T3_PNSI_ISN_E10value_typeET4_jRbjT5_ST_jjP12ihipStream_tbEUlT_E_NS1_11comp_targetILNS1_3genE0ELNS1_11target_archE4294967295ELNS1_3gpuE0ELNS1_3repE0EEENS1_30default_config_static_selectorELNS0_4arch9wavefront6targetE0EEEvSH_ ; -- Begin function _ZN7rocprim17ROCPRIM_400000_NS6detail17trampoline_kernelINS0_14default_configENS1_36segmented_radix_sort_config_selectorIllEEZNS1_25segmented_radix_sort_implIS3_Lb1EPKlPlS8_S9_N2at6native12_GLOBAL__N_18offset_tEEE10hipError_tPvRmT1_PNSt15iterator_traitsISH_E10value_typeET2_T3_PNSI_ISN_E10value_typeET4_jRbjT5_ST_jjP12ihipStream_tbEUlT_E_NS1_11comp_targetILNS1_3genE0ELNS1_11target_archE4294967295ELNS1_3gpuE0ELNS1_3repE0EEENS1_30default_config_static_selectorELNS0_4arch9wavefront6targetE0EEEvSH_
	.p2align	8
	.type	_ZN7rocprim17ROCPRIM_400000_NS6detail17trampoline_kernelINS0_14default_configENS1_36segmented_radix_sort_config_selectorIllEEZNS1_25segmented_radix_sort_implIS3_Lb1EPKlPlS8_S9_N2at6native12_GLOBAL__N_18offset_tEEE10hipError_tPvRmT1_PNSt15iterator_traitsISH_E10value_typeET2_T3_PNSI_ISN_E10value_typeET4_jRbjT5_ST_jjP12ihipStream_tbEUlT_E_NS1_11comp_targetILNS1_3genE0ELNS1_11target_archE4294967295ELNS1_3gpuE0ELNS1_3repE0EEENS1_30default_config_static_selectorELNS0_4arch9wavefront6targetE0EEEvSH_,@function
_ZN7rocprim17ROCPRIM_400000_NS6detail17trampoline_kernelINS0_14default_configENS1_36segmented_radix_sort_config_selectorIllEEZNS1_25segmented_radix_sort_implIS3_Lb1EPKlPlS8_S9_N2at6native12_GLOBAL__N_18offset_tEEE10hipError_tPvRmT1_PNSt15iterator_traitsISH_E10value_typeET2_T3_PNSI_ISN_E10value_typeET4_jRbjT5_ST_jjP12ihipStream_tbEUlT_E_NS1_11comp_targetILNS1_3genE0ELNS1_11target_archE4294967295ELNS1_3gpuE0ELNS1_3repE0EEENS1_30default_config_static_selectorELNS0_4arch9wavefront6targetE0EEEvSH_: ; @_ZN7rocprim17ROCPRIM_400000_NS6detail17trampoline_kernelINS0_14default_configENS1_36segmented_radix_sort_config_selectorIllEEZNS1_25segmented_radix_sort_implIS3_Lb1EPKlPlS8_S9_N2at6native12_GLOBAL__N_18offset_tEEE10hipError_tPvRmT1_PNSt15iterator_traitsISH_E10value_typeET2_T3_PNSI_ISN_E10value_typeET4_jRbjT5_ST_jjP12ihipStream_tbEUlT_E_NS1_11comp_targetILNS1_3genE0ELNS1_11target_archE4294967295ELNS1_3gpuE0ELNS1_3repE0EEENS1_30default_config_static_selectorELNS0_4arch9wavefront6targetE0EEEvSH_
; %bb.0:
	s_load_b64 s[8:9], s[2:3], 0x38
	s_bfe_u32 s4, ttmp6, 0x4000c
	s_and_b32 s5, ttmp6, 15
	s_add_co_i32 s4, s4, 1
	s_getreg_b32 s25, hwreg(HW_REG_IB_STS2, 6, 4)
	s_mul_i32 s4, ttmp9, s4
	s_mov_b32 s32, 0
	s_add_co_i32 s5, s5, s4
	s_cmp_eq_u32 s25, 0
	s_cselect_b32 s33, ttmp9, s5
	s_load_b128 s[4:7], s[2:3], 0x40
	s_wait_kmcnt 0x0
	s_load_b32 s10, s[8:9], s33 offset:0x0 scale_offset
	s_wait_kmcnt 0x0
	s_add_co_i32 s51, s10, s7
	s_add_co_i32 s52, s10, s5
	s_mul_i32 s51, s51, s6
	s_mul_i32 s52, s52, s4
	s_delay_alu instid0(SALU_CYCLE_1)
	s_cmp_le_u32 s51, s52
	s_cbranch_scc1 .LBB701_1182
; %bb.1:
	s_clause 0x3
	s_load_b32 s4, s[2:3], 0x30
	s_load_b128 s[44:47], s[2:3], 0x20
	s_load_b96 s[48:50], s[2:3], 0x50
	s_load_b256 s[36:43], s[2:3], 0x0
	s_wait_kmcnt 0x0
	s_bitcmp1_b32 s4, 0
	s_mov_b32 s4, -1
	s_cselect_b32 s53, -1, 0
	s_sub_co_i32 s54, s51, s52
	s_delay_alu instid0(SALU_CYCLE_1)
	s_cmp_lt_u32 s54, 0x1001
	s_cbranch_scc0 .LBB701_7
; %bb.2:
	v_cndmask_b32_e64 v1, 0, 1, s53
	s_and_b32 s4, s48, 1
	s_get_pc_i64 s[26:27]
	s_add_nc_u64 s[26:27], s[26:27], _ZN7rocprim17ROCPRIM_400000_NS6detail40segmented_radix_sort_single_block_helperIllLj256ELj16ELb1EE4sortIPKlPlS6_S7_EEbT_T0_T1_T2_jjjjRNS3_12storage_typeE@rel64+4
	s_delay_alu instid0(VALU_DEP_1)
	v_cmp_ne_u32_e32 vcc_lo, s4, v1
	s_mov_b32 s4, -1
	s_cbranch_vccnz .LBB701_4
; %bb.3:
	s_mov_b64 s[4:5], src_shared_base
	v_dual_mov_b32 v31, v0 :: v_dual_mov_b32 v40, v0
	v_dual_mov_b32 v0, s36 :: v_dual_mov_b32 v1, s37
	;; [unrolled: 1-line block ×8, first 2 shown]
	s_add_nc_u64 s[8:9], s[2:3], 0x60
	s_mov_b64 s[6:7], s[0:1]
	s_mov_b64 s[28:29], s[2:3]
	;; [unrolled: 1-line block ×3, first 2 shown]
	s_swap_pc_i64 s[30:31], s[26:27]
	v_mov_b32_e32 v0, v40
	s_mov_b64 s[0:1], s[34:35]
	s_mov_b64 s[2:3], s[28:29]
	s_mov_b32 s4, 0
.LBB701_4:
	s_delay_alu instid0(SALU_CYCLE_1)
	s_and_not1_b32 vcc_lo, exec_lo, s4
	s_cbranch_vccnz .LBB701_6
; %bb.5:
	s_mov_b64 s[4:5], src_shared_base
	v_dual_mov_b32 v31, v0 :: v_dual_mov_b32 v40, v0
	v_dual_mov_b32 v0, s36 :: v_dual_mov_b32 v1, s37
	;; [unrolled: 1-line block ×8, first 2 shown]
	s_add_nc_u64 s[8:9], s[2:3], 0x60
	s_mov_b64 s[6:7], s[0:1]
	s_mov_b64 s[28:29], s[2:3]
	s_swap_pc_i64 s[30:31], s[26:27]
	v_mov_b32_e32 v0, v40
	s_mov_b64 s[2:3], s[28:29]
.LBB701_6:
	s_mov_b32 s4, 0
.LBB701_7:
	s_delay_alu instid0(SALU_CYCLE_1)
	s_and_not1_b32 vcc_lo, exec_lo, s4
	s_cbranch_vccnz .LBB701_1182
; %bb.8:
	s_cmp_ge_u32 s49, s50
	s_cbranch_scc1 .LBB701_1182
; %bb.9:
	v_and_b32_e32 v2, 0x3ff, v0
	v_dual_mov_b32 v5, 0 :: v_dual_bitop2_b32 v1, 3, v0 bitop3:0x40
	v_lshrrev_b32_e32 v8, 3, v0
	v_mbcnt_lo_u32_b32 v124, -1, 0
	s_delay_alu instid0(VALU_DEP_4) | instskip(NEXT) | instid1(VALU_DEP_4)
	v_dual_lshlrev_b32 v3, 2, v2 :: v_dual_lshlrev_b32 v4, 3, v2
	v_dual_lshlrev_b32 v113, 2, v1 :: v_dual_bitop2_b32 v1, 31, v2 bitop3:0x54
	s_delay_alu instid0(VALU_DEP_4) | instskip(NEXT) | instid1(VALU_DEP_3)
	v_dual_lshlrev_b32 v8, 4, v2 :: v_dual_bitop2_b32 v114, 28, v8 bitop3:0x40
	v_mad_u32_u24 v115, v2, 12, v3
	v_mov_b32_e32 v21, v5
	s_delay_alu instid0(VALU_DEP_4)
	v_cmp_eq_u32_e64 s1, v2, v1
	v_lshlrev_b32_e32 v1, 5, v2
	v_and_b32_e32 v22, 0xe00, v8
	v_mad_u32_u24 v120, v2, 20, v115
	v_add_nc_u32_e32 v118, 0x83fc, v114
	s_bfe_u32 s6, ttmp6, 0x40010
	v_add_nc_u64_e32 v[6:7], s[40:41], v[4:5]
	s_delay_alu instid0(VALU_DEP_3)
	v_dual_lshlrev_b32 v20, 3, v22 :: v_dual_sub_nc_u32 v122, v120, v1
	v_or_b32_e32 v129, v124, v22
	s_add_co_i32 s6, s6, 1
	v_bfe_u32 v119, v0, 20, 10
	s_mul_i32 s6, ttmp7, s6
	s_bfe_u32 s7, ttmp6, 0x40004
	v_bfe_u32 v121, v0, 10, 10
	v_add_nc_u64_e32 v[0:1], s[46:47], v[20:21]
	v_add_nc_u64_e32 v[8:9], s[40:41], v[20:21]
	;; [unrolled: 1-line block ×8, first 2 shown]
	v_or_b32_e32 v98, 0x100, v2
	v_or_b32_e32 v99, 0x200, v2
	;; [unrolled: 1-line block ×15, first 2 shown]
	v_cmp_gt_u32_e64 s0, 0x100, v2
	v_or_b32_e32 v116, 0x8400, v114
	v_cmp_gt_u32_e64 s4, 8, v2
	v_add_nc_u32_e32 v117, 0x8400, v3
	v_cmp_lt_u32_e64 s5, 31, v2
	s_add_nc_u64 s[34:35], s[2:3], 0x60
	s_add_co_i32 s7, s7, s6
	v_cmp_eq_u32_e64 s2, 0, v2
	v_cmp_ne_u32_e64 s3, 0xff, v2
	v_dual_add_nc_u32 v123, v122, v3 :: v_dual_mov_b32 v125, 1
	v_dual_lshlrev_b32 v4, 3, v124 :: v_dual_bitop2_b32 v126, 15, v124 bitop3:0x40
	v_bfe_i32 v127, v124, 4, 1
	v_and_b32_e32 v128, 16, v124
	v_and_b32_e32 v130, 7, v124
	v_sub_co_u32 v131, s6, v124, 1
	v_or_b32_e32 v132, 32, v129
	v_or_b32_e32 v133, 64, v129
	;; [unrolled: 1-line block ×15, first 2 shown]
	s_cmp_eq_u32 s25, 0
	s_mov_b32 s31, 0
	s_cselect_b32 s42, ttmp7, s7
	s_mov_b32 s43, s49
	s_mov_b32 s48, s49
	s_branch .LBB701_12
.LBB701_10:                             ;   in Loop: Header=BB701_12 Depth=1
	s_wait_dscnt 0x0
	s_barrier_signal -1
	s_barrier_wait -1
.LBB701_11:                             ;   in Loop: Header=BB701_12 Depth=1
	s_add_co_i32 s48, s48, 8
	s_delay_alu instid0(SALU_CYCLE_1)
	s_cmp_ge_u32 s48, s50
	s_cbranch_scc1 .LBB701_1182
.LBB701_12:                             ; =>This Loop Header: Depth=1
                                        ;     Child Loop BB701_16 Depth 2
                                        ;     Child Loop BB701_96 Depth 2
	;; [unrolled: 1-line block ×8, first 2 shown]
	s_sub_co_i32 s7, s50, s48
	s_xor_b32 s53, s53, -1
	s_min_u32 s55, s7, 8
	s_cmp_lg_u32 s48, s49
	s_mov_b32 s7, -1
	ds_store_2addr_stride64_b32 v3, v5, v5 offset1:4
	ds_store_2addr_stride64_b32 v3, v5, v5 offset0:8 offset1:12
	s_wait_storecnt_dscnt 0x0
	s_cbranch_scc0 .LBB701_598
; %bb.13:                               ;   in Loop: Header=BB701_12 Depth=1
	s_lshl_b32 s7, -1, s55
	s_and_b32 vcc_lo, exec_lo, s53
	s_not_b32 s56, s7
	s_mov_b32 s7, -1
	s_cbranch_vccz .LBB701_305
; %bb.14:                               ;   in Loop: Header=BB701_12 Depth=1
	s_mov_b32 s7, s54
	s_mov_b32 s30, s52
	s_barrier_signal -1
	s_barrier_wait -1
                                        ; implicit-def: $vgpr22_vgpr23
                                        ; implicit-def: $vgpr24_vgpr25
                                        ; implicit-def: $vgpr26_vgpr27
                                        ; implicit-def: $vgpr28_vgpr29
                                        ; implicit-def: $vgpr30_vgpr31
                                        ; implicit-def: $vgpr32_vgpr33
                                        ; implicit-def: $vgpr34_vgpr35
                                        ; implicit-def: $vgpr36_vgpr37
                                        ; implicit-def: $vgpr38_vgpr39
                                        ; implicit-def: $vgpr40_vgpr41
                                        ; implicit-def: $vgpr42_vgpr43
                                        ; implicit-def: $vgpr44_vgpr45
                                        ; implicit-def: $vgpr46_vgpr47
                                        ; implicit-def: $vgpr48_vgpr49
                                        ; implicit-def: $vgpr50_vgpr51
                                        ; implicit-def: $vgpr52_vgpr53
	s_branch .LBB701_16
.LBB701_15:                             ;   in Loop: Header=BB701_16 Depth=2
	s_or_b32 exec_lo, exec_lo, s8
	s_addk_co_i32 s7, 0xf000
	s_cmp_ge_u32 s10, s51
	s_mov_b32 s30, s10
	s_cbranch_scc1 .LBB701_84
.LBB701_16:                             ;   Parent Loop BB701_12 Depth=1
                                        ; =>  This Inner Loop Header: Depth=2
	s_add_co_i32 s10, s30, 0x1000
	s_mov_b32 s8, -1
	s_cmp_gt_u32 s10, s51
                                        ; implicit-def: $vgpr54_vgpr55
                                        ; implicit-def: $vgpr56_vgpr57
                                        ; implicit-def: $vgpr58_vgpr59
                                        ; implicit-def: $vgpr60_vgpr61
                                        ; implicit-def: $vgpr62_vgpr63
                                        ; implicit-def: $vgpr64_vgpr65
                                        ; implicit-def: $vgpr66_vgpr67
                                        ; implicit-def: $vgpr68_vgpr69
                                        ; implicit-def: $vgpr70_vgpr71
                                        ; implicit-def: $vgpr72_vgpr73
                                        ; implicit-def: $vgpr74_vgpr75
                                        ; implicit-def: $vgpr76_vgpr77
                                        ; implicit-def: $vgpr78_vgpr79
                                        ; implicit-def: $vgpr80_vgpr81
                                        ; implicit-def: $vgpr82_vgpr83
                                        ; implicit-def: $vgpr84_vgpr85
	s_cbranch_scc1 .LBB701_18
; %bb.17:                               ;   in Loop: Header=BB701_16 Depth=2
	v_lshl_add_u64 v[84:85], s[30:31], 3, v[6:7]
	s_mov_b32 s8, 0
	s_clause 0xf
	global_load_b64 v[54:55], v[84:85], off
	global_load_b64 v[56:57], v[84:85], off offset:2048
	global_load_b64 v[58:59], v[84:85], off offset:4096
	;; [unrolled: 1-line block ×15, first 2 shown]
.LBB701_18:                             ;   in Loop: Header=BB701_16 Depth=2
	s_and_not1_b32 vcc_lo, exec_lo, s8
	s_movk_i32 s8, 0x1000
	s_cbranch_vccnz .LBB701_37
; %bb.19:                               ;   in Loop: Header=BB701_16 Depth=2
	s_lshl_b64 s[8:9], s[30:31], 3
	s_mov_b32 s11, exec_lo
	s_add_nc_u64 s[8:9], s[40:41], s[8:9]
	s_wait_xcnt 0x0
	v_cmpx_gt_u32_e64 s7, v2
	s_cbranch_execnz .LBB701_69
; %bb.20:                               ;   in Loop: Header=BB701_16 Depth=2
	s_or_b32 exec_lo, exec_lo, s11
	s_delay_alu instid0(SALU_CYCLE_1)
	s_mov_b32 s11, exec_lo
	v_cmpx_gt_u32_e64 s7, v98
	s_cbranch_execnz .LBB701_70
.LBB701_21:                             ;   in Loop: Header=BB701_16 Depth=2
	s_or_b32 exec_lo, exec_lo, s11
	s_delay_alu instid0(SALU_CYCLE_1)
	s_mov_b32 s11, exec_lo
	v_cmpx_gt_u32_e64 s7, v99
	s_cbranch_execnz .LBB701_71
.LBB701_22:                             ;   in Loop: Header=BB701_16 Depth=2
	s_or_b32 exec_lo, exec_lo, s11
	s_delay_alu instid0(SALU_CYCLE_1)
	s_mov_b32 s11, exec_lo
	v_cmpx_gt_u32_e64 s7, v100
	s_cbranch_execnz .LBB701_72
.LBB701_23:                             ;   in Loop: Header=BB701_16 Depth=2
	s_or_b32 exec_lo, exec_lo, s11
	s_delay_alu instid0(SALU_CYCLE_1)
	s_mov_b32 s11, exec_lo
	v_cmpx_gt_u32_e64 s7, v101
	s_cbranch_execnz .LBB701_73
.LBB701_24:                             ;   in Loop: Header=BB701_16 Depth=2
	s_or_b32 exec_lo, exec_lo, s11
	s_delay_alu instid0(SALU_CYCLE_1)
	s_mov_b32 s11, exec_lo
	v_cmpx_gt_u32_e64 s7, v102
	s_cbranch_execnz .LBB701_74
.LBB701_25:                             ;   in Loop: Header=BB701_16 Depth=2
	s_or_b32 exec_lo, exec_lo, s11
	s_delay_alu instid0(SALU_CYCLE_1)
	s_mov_b32 s11, exec_lo
	v_cmpx_gt_u32_e64 s7, v103
	s_cbranch_execnz .LBB701_75
.LBB701_26:                             ;   in Loop: Header=BB701_16 Depth=2
	s_or_b32 exec_lo, exec_lo, s11
	s_delay_alu instid0(SALU_CYCLE_1)
	s_mov_b32 s11, exec_lo
	v_cmpx_gt_u32_e64 s7, v104
	s_cbranch_execnz .LBB701_76
.LBB701_27:                             ;   in Loop: Header=BB701_16 Depth=2
	s_or_b32 exec_lo, exec_lo, s11
	s_delay_alu instid0(SALU_CYCLE_1)
	s_mov_b32 s11, exec_lo
	v_cmpx_gt_u32_e64 s7, v105
	s_cbranch_execnz .LBB701_77
.LBB701_28:                             ;   in Loop: Header=BB701_16 Depth=2
	s_or_b32 exec_lo, exec_lo, s11
	s_delay_alu instid0(SALU_CYCLE_1)
	s_mov_b32 s11, exec_lo
	v_cmpx_gt_u32_e64 s7, v106
	s_cbranch_execnz .LBB701_78
.LBB701_29:                             ;   in Loop: Header=BB701_16 Depth=2
	s_or_b32 exec_lo, exec_lo, s11
	s_delay_alu instid0(SALU_CYCLE_1)
	s_mov_b32 s11, exec_lo
	v_cmpx_gt_u32_e64 s7, v107
	s_cbranch_execnz .LBB701_79
.LBB701_30:                             ;   in Loop: Header=BB701_16 Depth=2
	s_or_b32 exec_lo, exec_lo, s11
	s_delay_alu instid0(SALU_CYCLE_1)
	s_mov_b32 s11, exec_lo
	v_cmpx_gt_u32_e64 s7, v108
	s_cbranch_execnz .LBB701_80
.LBB701_31:                             ;   in Loop: Header=BB701_16 Depth=2
	s_or_b32 exec_lo, exec_lo, s11
	s_delay_alu instid0(SALU_CYCLE_1)
	s_mov_b32 s11, exec_lo
	v_cmpx_gt_u32_e64 s7, v109
	s_cbranch_execnz .LBB701_81
.LBB701_32:                             ;   in Loop: Header=BB701_16 Depth=2
	s_or_b32 exec_lo, exec_lo, s11
	s_delay_alu instid0(SALU_CYCLE_1)
	s_mov_b32 s11, exec_lo
	v_cmpx_gt_u32_e64 s7, v110
	s_cbranch_execnz .LBB701_82
.LBB701_33:                             ;   in Loop: Header=BB701_16 Depth=2
	s_or_b32 exec_lo, exec_lo, s11
	s_delay_alu instid0(SALU_CYCLE_1)
	s_mov_b32 s11, exec_lo
	v_cmpx_gt_u32_e64 s7, v111
	s_cbranch_execnz .LBB701_83
.LBB701_34:                             ;   in Loop: Header=BB701_16 Depth=2
	s_or_b32 exec_lo, exec_lo, s11
	s_delay_alu instid0(SALU_CYCLE_1)
	s_mov_b32 s11, exec_lo
	v_cmpx_gt_u32_e64 s7, v112
	s_cbranch_execz .LBB701_36
.LBB701_35:                             ;   in Loop: Header=BB701_16 Depth=2
	global_load_b64 v[22:23], v2, s[8:9] offset:30720 scale_offset
.LBB701_36:                             ;   in Loop: Header=BB701_16 Depth=2
	s_wait_xcnt 0x0
	s_or_b32 exec_lo, exec_lo, s11
	s_wait_loadcnt 0x0
	v_mov_b64_e32 v[54:55], v[52:53]
	v_mov_b64_e32 v[56:57], v[50:51]
	;; [unrolled: 1-line block ×16, first 2 shown]
	s_mov_b32 s8, s7
.LBB701_37:                             ;   in Loop: Header=BB701_16 Depth=2
	s_wait_loadcnt 0x0
	s_delay_alu instid0(VALU_DEP_1) | instskip(NEXT) | instid1(VALU_DEP_3)
	v_mov_b64_e32 v[22:23], v[84:85]
	v_mov_b64_e32 v[24:25], v[82:83]
	v_mov_b64_e32 v[26:27], v[80:81]
	v_mov_b64_e32 v[28:29], v[78:79]
	v_mov_b64_e32 v[30:31], v[76:77]
	v_mov_b64_e32 v[32:33], v[74:75]
	v_mov_b64_e32 v[34:35], v[72:73]
	v_mov_b64_e32 v[36:37], v[70:71]
	v_mov_b64_e32 v[38:39], v[68:69]
	v_mov_b64_e32 v[40:41], v[66:67]
	v_mov_b64_e32 v[42:43], v[64:65]
	v_mov_b64_e32 v[44:45], v[62:63]
	v_mov_b64_e32 v[46:47], v[60:61]
	v_mov_b64_e32 v[48:49], v[58:59]
	v_mov_b64_e32 v[50:51], v[56:57]
	v_mov_b64_e32 v[52:53], v[54:55]
	s_mov_b32 s9, exec_lo
	s_wait_xcnt 0x0
	v_cmpx_gt_u32_e64 s8, v2
	s_cbranch_execnz .LBB701_53
; %bb.38:                               ;   in Loop: Header=BB701_16 Depth=2
	s_or_b32 exec_lo, exec_lo, s9
	s_delay_alu instid0(SALU_CYCLE_1)
	s_mov_b32 s9, exec_lo
	v_cmpx_gt_u32_e64 s8, v98
	s_cbranch_execnz .LBB701_54
.LBB701_39:                             ;   in Loop: Header=BB701_16 Depth=2
	s_or_b32 exec_lo, exec_lo, s9
	s_delay_alu instid0(SALU_CYCLE_1)
	s_mov_b32 s9, exec_lo
	v_cmpx_gt_u32_e64 s8, v99
	s_cbranch_execnz .LBB701_55
.LBB701_40:                             ;   in Loop: Header=BB701_16 Depth=2
	s_or_b32 exec_lo, exec_lo, s9
	s_delay_alu instid0(SALU_CYCLE_1)
	s_mov_b32 s9, exec_lo
	v_cmpx_gt_u32_e64 s8, v100
	s_cbranch_execnz .LBB701_56
.LBB701_41:                             ;   in Loop: Header=BB701_16 Depth=2
	s_or_b32 exec_lo, exec_lo, s9
	s_delay_alu instid0(SALU_CYCLE_1)
	s_mov_b32 s9, exec_lo
	v_cmpx_gt_u32_e64 s8, v101
	s_cbranch_execnz .LBB701_57
.LBB701_42:                             ;   in Loop: Header=BB701_16 Depth=2
	s_or_b32 exec_lo, exec_lo, s9
	s_delay_alu instid0(SALU_CYCLE_1)
	s_mov_b32 s9, exec_lo
	v_cmpx_gt_u32_e64 s8, v102
	s_cbranch_execnz .LBB701_58
.LBB701_43:                             ;   in Loop: Header=BB701_16 Depth=2
	s_or_b32 exec_lo, exec_lo, s9
	s_delay_alu instid0(SALU_CYCLE_1)
	s_mov_b32 s9, exec_lo
	v_cmpx_gt_u32_e64 s8, v103
	s_cbranch_execnz .LBB701_59
.LBB701_44:                             ;   in Loop: Header=BB701_16 Depth=2
	s_or_b32 exec_lo, exec_lo, s9
	s_delay_alu instid0(SALU_CYCLE_1)
	s_mov_b32 s9, exec_lo
	v_cmpx_gt_u32_e64 s8, v104
	s_cbranch_execnz .LBB701_60
.LBB701_45:                             ;   in Loop: Header=BB701_16 Depth=2
	s_or_b32 exec_lo, exec_lo, s9
	s_delay_alu instid0(SALU_CYCLE_1)
	s_mov_b32 s9, exec_lo
	v_cmpx_gt_u32_e64 s8, v105
	s_cbranch_execnz .LBB701_61
.LBB701_46:                             ;   in Loop: Header=BB701_16 Depth=2
	s_or_b32 exec_lo, exec_lo, s9
	s_delay_alu instid0(SALU_CYCLE_1)
	s_mov_b32 s9, exec_lo
	v_cmpx_gt_u32_e64 s8, v106
	s_cbranch_execnz .LBB701_62
.LBB701_47:                             ;   in Loop: Header=BB701_16 Depth=2
	s_or_b32 exec_lo, exec_lo, s9
	s_delay_alu instid0(SALU_CYCLE_1)
	s_mov_b32 s9, exec_lo
	v_cmpx_gt_u32_e64 s8, v107
	s_cbranch_execnz .LBB701_63
.LBB701_48:                             ;   in Loop: Header=BB701_16 Depth=2
	s_or_b32 exec_lo, exec_lo, s9
	s_delay_alu instid0(SALU_CYCLE_1)
	s_mov_b32 s9, exec_lo
	v_cmpx_gt_u32_e64 s8, v108
	s_cbranch_execnz .LBB701_64
.LBB701_49:                             ;   in Loop: Header=BB701_16 Depth=2
	s_or_b32 exec_lo, exec_lo, s9
	s_delay_alu instid0(SALU_CYCLE_1)
	s_mov_b32 s9, exec_lo
	v_cmpx_gt_u32_e64 s8, v109
	s_cbranch_execnz .LBB701_65
.LBB701_50:                             ;   in Loop: Header=BB701_16 Depth=2
	s_or_b32 exec_lo, exec_lo, s9
	s_delay_alu instid0(SALU_CYCLE_1)
	s_mov_b32 s9, exec_lo
	v_cmpx_gt_u32_e64 s8, v110
	s_cbranch_execnz .LBB701_66
.LBB701_51:                             ;   in Loop: Header=BB701_16 Depth=2
	s_or_b32 exec_lo, exec_lo, s9
	s_delay_alu instid0(SALU_CYCLE_1)
	s_mov_b32 s9, exec_lo
	v_cmpx_gt_u32_e64 s8, v111
	s_cbranch_execnz .LBB701_67
.LBB701_52:                             ;   in Loop: Header=BB701_16 Depth=2
	s_or_b32 exec_lo, exec_lo, s9
	v_cmp_gt_u32_e32 vcc_lo, s8, v112
	s_and_saveexec_b32 s8, vcc_lo
	s_cbranch_execz .LBB701_15
	s_branch .LBB701_68
.LBB701_53:                             ;   in Loop: Header=BB701_16 Depth=2
	s_delay_alu instid0(VALU_DEP_2) | instskip(NEXT) | instid1(VALU_DEP_3)
	v_xor_b32_e32 v55, 0x7fffffff, v53
	v_not_b32_e32 v54, v52
	s_delay_alu instid0(VALU_DEP_1) | instskip(NEXT) | instid1(VALU_DEP_1)
	v_lshrrev_b64 v[54:55], s48, v[54:55]
	v_and_b32_e32 v54, s56, v54
	s_delay_alu instid0(VALU_DEP_1) | instskip(SKIP_2) | instid1(SALU_CYCLE_1)
	v_lshl_or_b32 v54, v54, 4, v113
	ds_add_u32 v54, v125
	s_or_b32 exec_lo, exec_lo, s9
	s_mov_b32 s9, exec_lo
	v_cmpx_gt_u32_e64 s8, v98
	s_cbranch_execz .LBB701_39
.LBB701_54:                             ;   in Loop: Header=BB701_16 Depth=2
	v_xor_b32_e32 v55, 0x7fffffff, v51
	v_not_b32_e32 v54, v50
	s_delay_alu instid0(VALU_DEP_1) | instskip(NEXT) | instid1(VALU_DEP_1)
	v_lshrrev_b64 v[54:55], s48, v[54:55]
	v_and_b32_e32 v54, s56, v54
	s_delay_alu instid0(VALU_DEP_1) | instskip(SKIP_2) | instid1(SALU_CYCLE_1)
	v_lshl_or_b32 v54, v54, 4, v113
	ds_add_u32 v54, v125
	s_or_b32 exec_lo, exec_lo, s9
	s_mov_b32 s9, exec_lo
	v_cmpx_gt_u32_e64 s8, v99
	s_cbranch_execz .LBB701_40
.LBB701_55:                             ;   in Loop: Header=BB701_16 Depth=2
	v_xor_b32_e32 v55, 0x7fffffff, v49
	v_not_b32_e32 v54, v48
	s_delay_alu instid0(VALU_DEP_1) | instskip(NEXT) | instid1(VALU_DEP_1)
	v_lshrrev_b64 v[54:55], s48, v[54:55]
	v_and_b32_e32 v54, s56, v54
	s_delay_alu instid0(VALU_DEP_1) | instskip(SKIP_2) | instid1(SALU_CYCLE_1)
	v_lshl_or_b32 v54, v54, 4, v113
	ds_add_u32 v54, v125
	s_or_b32 exec_lo, exec_lo, s9
	s_mov_b32 s9, exec_lo
	v_cmpx_gt_u32_e64 s8, v100
	s_cbranch_execz .LBB701_41
.LBB701_56:                             ;   in Loop: Header=BB701_16 Depth=2
	v_xor_b32_e32 v55, 0x7fffffff, v47
	v_not_b32_e32 v54, v46
	s_delay_alu instid0(VALU_DEP_1) | instskip(NEXT) | instid1(VALU_DEP_1)
	v_lshrrev_b64 v[54:55], s48, v[54:55]
	v_and_b32_e32 v54, s56, v54
	s_delay_alu instid0(VALU_DEP_1) | instskip(SKIP_2) | instid1(SALU_CYCLE_1)
	v_lshl_or_b32 v54, v54, 4, v113
	ds_add_u32 v54, v125
	s_or_b32 exec_lo, exec_lo, s9
	s_mov_b32 s9, exec_lo
	v_cmpx_gt_u32_e64 s8, v101
	s_cbranch_execz .LBB701_42
.LBB701_57:                             ;   in Loop: Header=BB701_16 Depth=2
	v_xor_b32_e32 v55, 0x7fffffff, v45
	v_not_b32_e32 v54, v44
	s_delay_alu instid0(VALU_DEP_1) | instskip(NEXT) | instid1(VALU_DEP_1)
	v_lshrrev_b64 v[54:55], s48, v[54:55]
	v_and_b32_e32 v54, s56, v54
	s_delay_alu instid0(VALU_DEP_1) | instskip(SKIP_2) | instid1(SALU_CYCLE_1)
	v_lshl_or_b32 v54, v54, 4, v113
	ds_add_u32 v54, v125
	s_or_b32 exec_lo, exec_lo, s9
	s_mov_b32 s9, exec_lo
	v_cmpx_gt_u32_e64 s8, v102
	s_cbranch_execz .LBB701_43
.LBB701_58:                             ;   in Loop: Header=BB701_16 Depth=2
	v_xor_b32_e32 v55, 0x7fffffff, v43
	v_not_b32_e32 v54, v42
	s_delay_alu instid0(VALU_DEP_1) | instskip(NEXT) | instid1(VALU_DEP_1)
	v_lshrrev_b64 v[54:55], s48, v[54:55]
	v_and_b32_e32 v54, s56, v54
	s_delay_alu instid0(VALU_DEP_1) | instskip(SKIP_2) | instid1(SALU_CYCLE_1)
	v_lshl_or_b32 v54, v54, 4, v113
	ds_add_u32 v54, v125
	s_or_b32 exec_lo, exec_lo, s9
	s_mov_b32 s9, exec_lo
	v_cmpx_gt_u32_e64 s8, v103
	s_cbranch_execz .LBB701_44
.LBB701_59:                             ;   in Loop: Header=BB701_16 Depth=2
	v_xor_b32_e32 v55, 0x7fffffff, v41
	v_not_b32_e32 v54, v40
	s_delay_alu instid0(VALU_DEP_1) | instskip(NEXT) | instid1(VALU_DEP_1)
	v_lshrrev_b64 v[54:55], s48, v[54:55]
	v_and_b32_e32 v54, s56, v54
	s_delay_alu instid0(VALU_DEP_1) | instskip(SKIP_2) | instid1(SALU_CYCLE_1)
	v_lshl_or_b32 v54, v54, 4, v113
	ds_add_u32 v54, v125
	s_or_b32 exec_lo, exec_lo, s9
	s_mov_b32 s9, exec_lo
	v_cmpx_gt_u32_e64 s8, v104
	s_cbranch_execz .LBB701_45
.LBB701_60:                             ;   in Loop: Header=BB701_16 Depth=2
	v_xor_b32_e32 v55, 0x7fffffff, v39
	v_not_b32_e32 v54, v38
	s_delay_alu instid0(VALU_DEP_1) | instskip(NEXT) | instid1(VALU_DEP_1)
	v_lshrrev_b64 v[54:55], s48, v[54:55]
	v_and_b32_e32 v54, s56, v54
	s_delay_alu instid0(VALU_DEP_1) | instskip(SKIP_2) | instid1(SALU_CYCLE_1)
	v_lshl_or_b32 v54, v54, 4, v113
	ds_add_u32 v54, v125
	s_or_b32 exec_lo, exec_lo, s9
	s_mov_b32 s9, exec_lo
	v_cmpx_gt_u32_e64 s8, v105
	s_cbranch_execz .LBB701_46
.LBB701_61:                             ;   in Loop: Header=BB701_16 Depth=2
	v_xor_b32_e32 v55, 0x7fffffff, v37
	v_not_b32_e32 v54, v36
	s_delay_alu instid0(VALU_DEP_1) | instskip(NEXT) | instid1(VALU_DEP_1)
	v_lshrrev_b64 v[54:55], s48, v[54:55]
	v_and_b32_e32 v54, s56, v54
	s_delay_alu instid0(VALU_DEP_1) | instskip(SKIP_2) | instid1(SALU_CYCLE_1)
	v_lshl_or_b32 v54, v54, 4, v113
	ds_add_u32 v54, v125
	s_or_b32 exec_lo, exec_lo, s9
	s_mov_b32 s9, exec_lo
	v_cmpx_gt_u32_e64 s8, v106
	s_cbranch_execz .LBB701_47
.LBB701_62:                             ;   in Loop: Header=BB701_16 Depth=2
	v_xor_b32_e32 v55, 0x7fffffff, v35
	v_not_b32_e32 v54, v34
	s_delay_alu instid0(VALU_DEP_1) | instskip(NEXT) | instid1(VALU_DEP_1)
	v_lshrrev_b64 v[54:55], s48, v[54:55]
	v_and_b32_e32 v54, s56, v54
	s_delay_alu instid0(VALU_DEP_1) | instskip(SKIP_2) | instid1(SALU_CYCLE_1)
	v_lshl_or_b32 v54, v54, 4, v113
	ds_add_u32 v54, v125
	s_or_b32 exec_lo, exec_lo, s9
	s_mov_b32 s9, exec_lo
	v_cmpx_gt_u32_e64 s8, v107
	s_cbranch_execz .LBB701_48
.LBB701_63:                             ;   in Loop: Header=BB701_16 Depth=2
	v_xor_b32_e32 v55, 0x7fffffff, v33
	v_not_b32_e32 v54, v32
	s_delay_alu instid0(VALU_DEP_1) | instskip(NEXT) | instid1(VALU_DEP_1)
	v_lshrrev_b64 v[54:55], s48, v[54:55]
	v_and_b32_e32 v54, s56, v54
	s_delay_alu instid0(VALU_DEP_1) | instskip(SKIP_2) | instid1(SALU_CYCLE_1)
	v_lshl_or_b32 v54, v54, 4, v113
	ds_add_u32 v54, v125
	s_or_b32 exec_lo, exec_lo, s9
	s_mov_b32 s9, exec_lo
	v_cmpx_gt_u32_e64 s8, v108
	s_cbranch_execz .LBB701_49
.LBB701_64:                             ;   in Loop: Header=BB701_16 Depth=2
	v_xor_b32_e32 v55, 0x7fffffff, v31
	v_not_b32_e32 v54, v30
	s_delay_alu instid0(VALU_DEP_1) | instskip(NEXT) | instid1(VALU_DEP_1)
	v_lshrrev_b64 v[54:55], s48, v[54:55]
	v_and_b32_e32 v54, s56, v54
	s_delay_alu instid0(VALU_DEP_1) | instskip(SKIP_2) | instid1(SALU_CYCLE_1)
	v_lshl_or_b32 v54, v54, 4, v113
	ds_add_u32 v54, v125
	s_or_b32 exec_lo, exec_lo, s9
	s_mov_b32 s9, exec_lo
	v_cmpx_gt_u32_e64 s8, v109
	s_cbranch_execz .LBB701_50
.LBB701_65:                             ;   in Loop: Header=BB701_16 Depth=2
	v_xor_b32_e32 v55, 0x7fffffff, v29
	v_not_b32_e32 v54, v28
	s_delay_alu instid0(VALU_DEP_1) | instskip(NEXT) | instid1(VALU_DEP_1)
	v_lshrrev_b64 v[54:55], s48, v[54:55]
	v_and_b32_e32 v54, s56, v54
	s_delay_alu instid0(VALU_DEP_1) | instskip(SKIP_2) | instid1(SALU_CYCLE_1)
	v_lshl_or_b32 v54, v54, 4, v113
	ds_add_u32 v54, v125
	s_or_b32 exec_lo, exec_lo, s9
	s_mov_b32 s9, exec_lo
	v_cmpx_gt_u32_e64 s8, v110
	s_cbranch_execz .LBB701_51
.LBB701_66:                             ;   in Loop: Header=BB701_16 Depth=2
	v_xor_b32_e32 v55, 0x7fffffff, v27
	v_not_b32_e32 v54, v26
	s_delay_alu instid0(VALU_DEP_1) | instskip(NEXT) | instid1(VALU_DEP_1)
	v_lshrrev_b64 v[54:55], s48, v[54:55]
	v_and_b32_e32 v54, s56, v54
	s_delay_alu instid0(VALU_DEP_1) | instskip(SKIP_2) | instid1(SALU_CYCLE_1)
	v_lshl_or_b32 v54, v54, 4, v113
	ds_add_u32 v54, v125
	s_or_b32 exec_lo, exec_lo, s9
	s_mov_b32 s9, exec_lo
	v_cmpx_gt_u32_e64 s8, v111
	s_cbranch_execz .LBB701_52
.LBB701_67:                             ;   in Loop: Header=BB701_16 Depth=2
	v_xor_b32_e32 v55, 0x7fffffff, v25
	v_not_b32_e32 v54, v24
	s_delay_alu instid0(VALU_DEP_1) | instskip(NEXT) | instid1(VALU_DEP_1)
	v_lshrrev_b64 v[54:55], s48, v[54:55]
	v_and_b32_e32 v54, s56, v54
	s_delay_alu instid0(VALU_DEP_1)
	v_lshl_or_b32 v54, v54, 4, v113
	ds_add_u32 v54, v125
	s_or_b32 exec_lo, exec_lo, s9
	v_cmp_gt_u32_e32 vcc_lo, s8, v112
	s_and_saveexec_b32 s8, vcc_lo
	s_cbranch_execz .LBB701_15
.LBB701_68:                             ;   in Loop: Header=BB701_16 Depth=2
	v_xor_b32_e32 v55, 0x7fffffff, v23
	v_not_b32_e32 v54, v22
	s_delay_alu instid0(VALU_DEP_1) | instskip(NEXT) | instid1(VALU_DEP_1)
	v_lshrrev_b64 v[54:55], s48, v[54:55]
	v_and_b32_e32 v54, s56, v54
	s_delay_alu instid0(VALU_DEP_1)
	v_lshl_or_b32 v54, v54, 4, v113
	ds_add_u32 v54, v125
	s_branch .LBB701_15
.LBB701_69:                             ;   in Loop: Header=BB701_16 Depth=2
	global_load_b64 v[52:53], v2, s[8:9] scale_offset
	s_wait_xcnt 0x0
	s_or_b32 exec_lo, exec_lo, s11
	s_delay_alu instid0(SALU_CYCLE_1)
	s_mov_b32 s11, exec_lo
	v_cmpx_gt_u32_e64 s7, v98
	s_cbranch_execz .LBB701_21
.LBB701_70:                             ;   in Loop: Header=BB701_16 Depth=2
	global_load_b64 v[50:51], v2, s[8:9] offset:2048 scale_offset
	s_wait_xcnt 0x0
	s_or_b32 exec_lo, exec_lo, s11
	s_delay_alu instid0(SALU_CYCLE_1)
	s_mov_b32 s11, exec_lo
	v_cmpx_gt_u32_e64 s7, v99
	s_cbranch_execz .LBB701_22
.LBB701_71:                             ;   in Loop: Header=BB701_16 Depth=2
	global_load_b64 v[48:49], v2, s[8:9] offset:4096 scale_offset
	s_wait_xcnt 0x0
	s_or_b32 exec_lo, exec_lo, s11
	s_delay_alu instid0(SALU_CYCLE_1)
	s_mov_b32 s11, exec_lo
	v_cmpx_gt_u32_e64 s7, v100
	s_cbranch_execz .LBB701_23
.LBB701_72:                             ;   in Loop: Header=BB701_16 Depth=2
	global_load_b64 v[46:47], v2, s[8:9] offset:6144 scale_offset
	s_wait_xcnt 0x0
	s_or_b32 exec_lo, exec_lo, s11
	s_delay_alu instid0(SALU_CYCLE_1)
	s_mov_b32 s11, exec_lo
	v_cmpx_gt_u32_e64 s7, v101
	s_cbranch_execz .LBB701_24
.LBB701_73:                             ;   in Loop: Header=BB701_16 Depth=2
	global_load_b64 v[44:45], v2, s[8:9] offset:8192 scale_offset
	s_wait_xcnt 0x0
	s_or_b32 exec_lo, exec_lo, s11
	s_delay_alu instid0(SALU_CYCLE_1)
	s_mov_b32 s11, exec_lo
	v_cmpx_gt_u32_e64 s7, v102
	s_cbranch_execz .LBB701_25
.LBB701_74:                             ;   in Loop: Header=BB701_16 Depth=2
	global_load_b64 v[42:43], v2, s[8:9] offset:10240 scale_offset
	s_wait_xcnt 0x0
	s_or_b32 exec_lo, exec_lo, s11
	s_delay_alu instid0(SALU_CYCLE_1)
	s_mov_b32 s11, exec_lo
	v_cmpx_gt_u32_e64 s7, v103
	s_cbranch_execz .LBB701_26
.LBB701_75:                             ;   in Loop: Header=BB701_16 Depth=2
	global_load_b64 v[40:41], v2, s[8:9] offset:12288 scale_offset
	s_wait_xcnt 0x0
	s_or_b32 exec_lo, exec_lo, s11
	s_delay_alu instid0(SALU_CYCLE_1)
	s_mov_b32 s11, exec_lo
	v_cmpx_gt_u32_e64 s7, v104
	s_cbranch_execz .LBB701_27
.LBB701_76:                             ;   in Loop: Header=BB701_16 Depth=2
	global_load_b64 v[38:39], v2, s[8:9] offset:14336 scale_offset
	s_wait_xcnt 0x0
	s_or_b32 exec_lo, exec_lo, s11
	s_delay_alu instid0(SALU_CYCLE_1)
	s_mov_b32 s11, exec_lo
	v_cmpx_gt_u32_e64 s7, v105
	s_cbranch_execz .LBB701_28
.LBB701_77:                             ;   in Loop: Header=BB701_16 Depth=2
	global_load_b64 v[36:37], v2, s[8:9] offset:16384 scale_offset
	s_wait_xcnt 0x0
	s_or_b32 exec_lo, exec_lo, s11
	s_delay_alu instid0(SALU_CYCLE_1)
	s_mov_b32 s11, exec_lo
	v_cmpx_gt_u32_e64 s7, v106
	s_cbranch_execz .LBB701_29
.LBB701_78:                             ;   in Loop: Header=BB701_16 Depth=2
	global_load_b64 v[34:35], v2, s[8:9] offset:18432 scale_offset
	s_wait_xcnt 0x0
	s_or_b32 exec_lo, exec_lo, s11
	s_delay_alu instid0(SALU_CYCLE_1)
	s_mov_b32 s11, exec_lo
	v_cmpx_gt_u32_e64 s7, v107
	s_cbranch_execz .LBB701_30
.LBB701_79:                             ;   in Loop: Header=BB701_16 Depth=2
	global_load_b64 v[32:33], v2, s[8:9] offset:20480 scale_offset
	s_wait_xcnt 0x0
	s_or_b32 exec_lo, exec_lo, s11
	s_delay_alu instid0(SALU_CYCLE_1)
	s_mov_b32 s11, exec_lo
	v_cmpx_gt_u32_e64 s7, v108
	s_cbranch_execz .LBB701_31
.LBB701_80:                             ;   in Loop: Header=BB701_16 Depth=2
	global_load_b64 v[30:31], v2, s[8:9] offset:22528 scale_offset
	s_wait_xcnt 0x0
	s_or_b32 exec_lo, exec_lo, s11
	s_delay_alu instid0(SALU_CYCLE_1)
	s_mov_b32 s11, exec_lo
	v_cmpx_gt_u32_e64 s7, v109
	s_cbranch_execz .LBB701_32
.LBB701_81:                             ;   in Loop: Header=BB701_16 Depth=2
	global_load_b64 v[28:29], v2, s[8:9] offset:24576 scale_offset
	s_wait_xcnt 0x0
	s_or_b32 exec_lo, exec_lo, s11
	s_delay_alu instid0(SALU_CYCLE_1)
	s_mov_b32 s11, exec_lo
	v_cmpx_gt_u32_e64 s7, v110
	s_cbranch_execz .LBB701_33
.LBB701_82:                             ;   in Loop: Header=BB701_16 Depth=2
	global_load_b64 v[26:27], v2, s[8:9] offset:26624 scale_offset
	s_wait_xcnt 0x0
	s_or_b32 exec_lo, exec_lo, s11
	s_delay_alu instid0(SALU_CYCLE_1)
	s_mov_b32 s11, exec_lo
	v_cmpx_gt_u32_e64 s7, v111
	s_cbranch_execz .LBB701_34
.LBB701_83:                             ;   in Loop: Header=BB701_16 Depth=2
	global_load_b64 v[24:25], v2, s[8:9] offset:28672 scale_offset
	s_wait_xcnt 0x0
	s_or_b32 exec_lo, exec_lo, s11
	s_delay_alu instid0(SALU_CYCLE_1)
	s_mov_b32 s11, exec_lo
	v_cmpx_gt_u32_e64 s7, v112
	s_cbranch_execnz .LBB701_35
	s_branch .LBB701_36
.LBB701_84:                             ;   in Loop: Header=BB701_12 Depth=1
	v_mov_b32_e32 v22, 0
	s_wait_dscnt 0x0
	s_barrier_signal -1
	s_barrier_wait -1
	s_and_saveexec_b32 s7, s0
	s_cbranch_execz .LBB701_86
; %bb.85:                               ;   in Loop: Header=BB701_12 Depth=1
	ds_load_2addr_b64 v[22:25], v115 offset1:1
	s_wait_dscnt 0x0
	v_add_nc_u32_e32 v22, v23, v22
	s_delay_alu instid0(VALU_DEP_1)
	v_add3_u32 v22, v22, v24, v25
.LBB701_86:                             ;   in Loop: Header=BB701_12 Depth=1
	s_or_b32 exec_lo, exec_lo, s7
	s_delay_alu instid0(VALU_DEP_1)
	v_mov_b32_dpp v23, v22 row_shr:1 row_mask:0xf bank_mask:0xf
	v_cmp_eq_u32_e64 s7, 0, v126
	v_cmp_lt_u32_e64 s8, 1, v126
	v_cmp_lt_u32_e64 s9, 3, v126
	;; [unrolled: 1-line block ×3, first 2 shown]
	v_cmp_eq_u32_e64 s11, 0, v128
	v_cndmask_b32_e64 v23, v23, 0, s7
	s_delay_alu instid0(VALU_DEP_1) | instskip(NEXT) | instid1(VALU_DEP_1)
	v_add_nc_u32_e32 v22, v23, v22
	v_mov_b32_dpp v23, v22 row_shr:2 row_mask:0xf bank_mask:0xf
	s_delay_alu instid0(VALU_DEP_1) | instskip(NEXT) | instid1(VALU_DEP_1)
	v_cndmask_b32_e64 v23, 0, v23, s8
	v_add_nc_u32_e32 v22, v22, v23
	s_delay_alu instid0(VALU_DEP_1) | instskip(NEXT) | instid1(VALU_DEP_1)
	v_mov_b32_dpp v23, v22 row_shr:4 row_mask:0xf bank_mask:0xf
	v_cndmask_b32_e64 v23, 0, v23, s9
	s_delay_alu instid0(VALU_DEP_1) | instskip(NEXT) | instid1(VALU_DEP_1)
	v_add_nc_u32_e32 v22, v22, v23
	v_mov_b32_dpp v23, v22 row_shr:8 row_mask:0xf bank_mask:0xf
	s_delay_alu instid0(VALU_DEP_1) | instskip(NEXT) | instid1(VALU_DEP_1)
	v_cndmask_b32_e64 v23, 0, v23, s10
	v_add_nc_u32_e32 v22, v22, v23
	ds_swizzle_b32 v23, v22 offset:swizzle(BROADCAST,32,15)
	s_wait_dscnt 0x0
	v_and_b32_e32 v23, v127, v23
	s_delay_alu instid0(VALU_DEP_1)
	v_add_nc_u32_e32 v22, v22, v23
	s_and_saveexec_b32 s12, s1
; %bb.87:                               ;   in Loop: Header=BB701_12 Depth=1
	ds_store_b32 v116, v22
; %bb.88:                               ;   in Loop: Header=BB701_12 Depth=1
	s_or_b32 exec_lo, exec_lo, s12
	s_wait_dscnt 0x0
	s_barrier_signal -1
	s_barrier_wait -1
	s_and_saveexec_b32 s12, s4
	s_cbranch_execz .LBB701_90
; %bb.89:                               ;   in Loop: Header=BB701_12 Depth=1
	ds_load_b32 v23, v117
	v_cmp_ne_u32_e32 vcc_lo, 0, v130
	s_wait_dscnt 0x0
	v_mov_b32_dpp v24, v23 row_shr:1 row_mask:0xf bank_mask:0xf
	s_delay_alu instid0(VALU_DEP_1) | instskip(SKIP_1) | instid1(VALU_DEP_2)
	v_cndmask_b32_e32 v24, 0, v24, vcc_lo
	v_cmp_lt_u32_e32 vcc_lo, 1, v130
	v_add_nc_u32_e32 v23, v24, v23
	s_delay_alu instid0(VALU_DEP_1) | instskip(NEXT) | instid1(VALU_DEP_1)
	v_mov_b32_dpp v24, v23 row_shr:2 row_mask:0xf bank_mask:0xf
	v_cndmask_b32_e32 v24, 0, v24, vcc_lo
	v_cmp_lt_u32_e32 vcc_lo, 3, v130
	s_delay_alu instid0(VALU_DEP_2) | instskip(NEXT) | instid1(VALU_DEP_1)
	v_add_nc_u32_e32 v23, v23, v24
	v_mov_b32_dpp v24, v23 row_shr:4 row_mask:0xf bank_mask:0xf
	s_delay_alu instid0(VALU_DEP_1) | instskip(NEXT) | instid1(VALU_DEP_1)
	v_cndmask_b32_e32 v24, 0, v24, vcc_lo
	v_add_nc_u32_e32 v23, v23, v24
	ds_store_b32 v117, v23
.LBB701_90:                             ;   in Loop: Header=BB701_12 Depth=1
	s_or_b32 exec_lo, exec_lo, s12
	v_mov_b32_e32 v23, 0
	s_wait_dscnt 0x0
	s_barrier_signal -1
	s_barrier_wait -1
	s_and_saveexec_b32 s12, s5
; %bb.91:                               ;   in Loop: Header=BB701_12 Depth=1
	ds_load_b32 v23, v118
; %bb.92:                               ;   in Loop: Header=BB701_12 Depth=1
	s_or_b32 exec_lo, exec_lo, s12
	v_cmp_gt_i32_e32 vcc_lo, 0, v131
	s_wait_dscnt 0x0
	s_barrier_signal -1
	s_barrier_wait -1
	v_cndmask_b32_e32 v24, v131, v124, vcc_lo
	s_delay_alu instid0(VALU_DEP_1)
	v_dual_add_nc_u32 v22, v23, v22 :: v_dual_lshlrev_b32 v147, 2, v24
	ds_bpermute_b32 v22, v147, v22
	s_and_saveexec_b32 s12, s0
	s_cbranch_execz .LBB701_94
; %bb.93:                               ;   in Loop: Header=BB701_12 Depth=1
	s_wait_dscnt 0x0
	v_cndmask_b32_e64 v22, v22, v23, s6
	s_delay_alu instid0(VALU_DEP_1)
	v_add_nc_u32_e32 v22, s52, v22
	ds_store_b32 v3, v22
.LBB701_94:                             ;   in Loop: Header=BB701_12 Depth=1
	s_or_b32 exec_lo, exec_lo, s12
	s_clause 0x1
	s_load_b32 s12, s[34:35], 0x4
	s_load_b32 s14, s[34:35], 0xc
	v_add_nc_u64_e32 v[24:25], v[8:9], v[4:5]
	s_mov_b32 s57, s54
                                        ; implicit-def: $vgpr28_vgpr29
                                        ; implicit-def: $vgpr30_vgpr31
                                        ; implicit-def: $vgpr32_vgpr33
                                        ; implicit-def: $vgpr34_vgpr35
                                        ; implicit-def: $vgpr36_vgpr37
                                        ; implicit-def: $vgpr38_vgpr39
                                        ; implicit-def: $vgpr40_vgpr41
                                        ; implicit-def: $vgpr42_vgpr43
                                        ; implicit-def: $vgpr44_vgpr45
                                        ; implicit-def: $vgpr46_vgpr47
                                        ; implicit-def: $vgpr48_vgpr49
                                        ; implicit-def: $vgpr50_vgpr51
                                        ; implicit-def: $vgpr52_vgpr53
                                        ; implicit-def: $vgpr54_vgpr55
                                        ; implicit-def: $vgpr56_vgpr57
                                        ; implicit-def: $vgpr149
                                        ; implicit-def: $vgpr150
                                        ; implicit-def: $vgpr151
                                        ; implicit-def: $vgpr152
                                        ; implicit-def: $vgpr153
                                        ; implicit-def: $vgpr154
                                        ; implicit-def: $vgpr155
                                        ; implicit-def: $vgpr156
                                        ; implicit-def: $vgpr157
                                        ; implicit-def: $vgpr158
                                        ; implicit-def: $vgpr159
                                        ; implicit-def: $vgpr160
                                        ; implicit-def: $vgpr161
                                        ; implicit-def: $vgpr162
                                        ; implicit-def: $vgpr163
                                        ; implicit-def: $vgpr164
	s_wait_kmcnt 0x0
	s_cmp_lt_u32 s42, s12
	s_cselect_b32 s30, 14, 20
	s_delay_alu instid0(SALU_CYCLE_1)
	s_add_nc_u64 s[12:13], s[34:35], s[30:31]
	s_mov_b32 s30, s52
	s_load_u16 s12, s[12:13], 0x0
	s_wait_xcnt 0x0
	v_cmp_lt_u32_e64 s13, 1, v130
	s_wait_dscnt 0x0
	s_wait_kmcnt 0x0
	v_mad_u32_u24 v22, v119, s12, v121
	s_and_b32 s12, s14, 0xffff
	v_cmp_lt_u32_e64 s14, 3, v130
	s_delay_alu instid0(VALU_DEP_2) | instskip(SKIP_1) | instid1(VALU_DEP_2)
	v_mad_u32 v22, v22, s12, v2
	v_cmp_eq_u32_e64 s12, 0, v130
	v_lshrrev_b32_e32 v26, 3, v22
	v_add_nc_u64_e32 v[22:23], v[0:1], v[4:5]
	s_delay_alu instid0(VALU_DEP_2)
	v_and_b32_e32 v148, 0x1ffffffc, v26
                                        ; implicit-def: $vgpr26_vgpr27
	s_branch .LBB701_96
.LBB701_95:                             ;   in Loop: Header=BB701_96 Depth=2
	s_or_b32 exec_lo, exec_lo, s15
	s_addk_co_i32 s57, 0xf000
	s_cmp_lt_u32 s58, s51
	s_mov_b32 s30, s58
	s_cbranch_scc0 .LBB701_304
.LBB701_96:                             ;   Parent Loop BB701_12 Depth=1
                                        ; =>  This Inner Loop Header: Depth=2
	s_add_co_i32 s58, s30, 0x1000
	s_delay_alu instid0(SALU_CYCLE_1)
	s_cmp_gt_u32 s58, s51
	s_cbranch_scc1 .LBB701_98
; %bb.97:                               ;   in Loop: Header=BB701_96 Depth=2
	v_lshl_add_u64 v[58:59], s[30:31], 3, v[24:25]
	s_mov_b32 s15, -1
	s_clause 0xe
	global_load_b64 v[60:61], v[58:59], off
	global_load_b64 v[62:63], v[58:59], off offset:256
	global_load_b64 v[64:65], v[58:59], off offset:512
	global_load_b64 v[70:71], v[58:59], off offset:768
	global_load_b64 v[74:75], v[58:59], off offset:1024
	global_load_b64 v[78:79], v[58:59], off offset:1280
	global_load_b64 v[82:83], v[58:59], off offset:1536
	global_load_b64 v[86:87], v[58:59], off offset:1792
	global_load_b64 v[88:89], v[58:59], off offset:2048
	global_load_b64 v[84:85], v[58:59], off offset:2304
	global_load_b64 v[80:81], v[58:59], off offset:2560
	global_load_b64 v[76:77], v[58:59], off offset:2816
	global_load_b64 v[72:73], v[58:59], off offset:3072
	global_load_b64 v[68:69], v[58:59], off offset:3328
	global_load_b64 v[66:67], v[58:59], off offset:3584
	s_movk_i32 s16, 0x1000
	s_cbranch_execz .LBB701_99
	s_branch .LBB701_130
.LBB701_98:                             ;   in Loop: Header=BB701_96 Depth=2
	s_mov_b32 s15, 0
                                        ; implicit-def: $vgpr60_vgpr61
                                        ; implicit-def: $vgpr62_vgpr63
                                        ; implicit-def: $vgpr64_vgpr65
                                        ; implicit-def: $vgpr70_vgpr71
                                        ; implicit-def: $vgpr74_vgpr75
                                        ; implicit-def: $vgpr78_vgpr79
                                        ; implicit-def: $vgpr82_vgpr83
                                        ; implicit-def: $vgpr86_vgpr87
                                        ; implicit-def: $vgpr88_vgpr89
                                        ; implicit-def: $vgpr84_vgpr85
                                        ; implicit-def: $vgpr80_vgpr81
                                        ; implicit-def: $vgpr76_vgpr77
                                        ; implicit-def: $vgpr72_vgpr73
                                        ; implicit-def: $vgpr68_vgpr69
                                        ; implicit-def: $vgpr66_vgpr67
	s_movk_i32 s16, 0x1000
.LBB701_99:                             ;   in Loop: Header=BB701_96 Depth=2
	s_wait_loadcnt 0xd
	v_mov_b64_e32 v[62:63], 0x8000000000000000
	v_mov_b64_e32 v[60:61], 0x8000000000000000
	s_wait_xcnt 0x0
	v_lshl_add_u64 v[58:59], s[30:31], 3, v[24:25]
	s_mov_b32 s15, exec_lo
	v_cmpx_gt_u32_e64 s57, v129
	s_cbranch_execz .LBB701_101
; %bb.100:                              ;   in Loop: Header=BB701_96 Depth=2
	global_load_b64 v[60:61], v[58:59], off
.LBB701_101:                            ;   in Loop: Header=BB701_96 Depth=2
	s_wait_xcnt 0x0
	s_or_b32 exec_lo, exec_lo, s15
	s_delay_alu instid0(SALU_CYCLE_1)
	s_mov_b32 s15, exec_lo
	v_cmpx_gt_u32_e64 s57, v132
	s_cbranch_execz .LBB701_103
; %bb.102:                              ;   in Loop: Header=BB701_96 Depth=2
	global_load_b64 v[62:63], v[58:59], off offset:256
.LBB701_103:                            ;   in Loop: Header=BB701_96 Depth=2
	s_wait_xcnt 0x0
	s_or_b32 exec_lo, exec_lo, s15
	s_wait_loadcnt 0xb
	v_mov_b64_e32 v[70:71], 0x8000000000000000
	v_mov_b64_e32 v[64:65], 0x8000000000000000
	s_mov_b32 s15, exec_lo
	v_cmpx_gt_u32_e64 s57, v133
	s_cbranch_execz .LBB701_105
; %bb.104:                              ;   in Loop: Header=BB701_96 Depth=2
	global_load_b64 v[64:65], v[58:59], off offset:512
.LBB701_105:                            ;   in Loop: Header=BB701_96 Depth=2
	s_wait_xcnt 0x0
	s_or_b32 exec_lo, exec_lo, s15
	s_delay_alu instid0(SALU_CYCLE_1)
	s_mov_b32 s15, exec_lo
	v_cmpx_gt_u32_e64 s57, v134
	s_cbranch_execz .LBB701_107
; %bb.106:                              ;   in Loop: Header=BB701_96 Depth=2
	global_load_b64 v[70:71], v[58:59], off offset:768
.LBB701_107:                            ;   in Loop: Header=BB701_96 Depth=2
	s_wait_xcnt 0x0
	s_or_b32 exec_lo, exec_lo, s15
	s_wait_loadcnt 0x9
	v_mov_b64_e32 v[78:79], 0x8000000000000000
	v_mov_b64_e32 v[74:75], 0x8000000000000000
	s_mov_b32 s15, exec_lo
	v_cmpx_gt_u32_e64 s57, v135
	s_cbranch_execz .LBB701_109
; %bb.108:                              ;   in Loop: Header=BB701_96 Depth=2
	global_load_b64 v[74:75], v[58:59], off offset:1024
.LBB701_109:                            ;   in Loop: Header=BB701_96 Depth=2
	;; [unrolled: 20-line block ×6, first 2 shown]
	s_wait_xcnt 0x0
	s_or_b32 exec_lo, exec_lo, s15
	s_delay_alu instid0(SALU_CYCLE_1)
	s_mov_b32 s15, exec_lo
	v_cmpx_gt_u32_e64 s57, v144
	s_cbranch_execz .LBB701_127
; %bb.126:                              ;   in Loop: Header=BB701_96 Depth=2
	global_load_b64 v[68:69], v[58:59], off offset:3328
.LBB701_127:                            ;   in Loop: Header=BB701_96 Depth=2
	s_wait_xcnt 0x0
	s_or_b32 exec_lo, exec_lo, s15
	s_wait_loadcnt 0x0
	v_mov_b64_e32 v[66:67], 0x8000000000000000
	s_mov_b32 s15, exec_lo
	v_cmpx_gt_u32_e64 s57, v145
	s_cbranch_execz .LBB701_129
; %bb.128:                              ;   in Loop: Header=BB701_96 Depth=2
	global_load_b64 v[66:67], v[58:59], off offset:3584
.LBB701_129:                            ;   in Loop: Header=BB701_96 Depth=2
	s_wait_xcnt 0x0
	s_or_b32 exec_lo, exec_lo, s15
	v_cmp_gt_u32_e64 s15, s57, v146
	s_sub_co_i32 s16, s51, s30
.LBB701_130:                            ;   in Loop: Header=BB701_96 Depth=2
	s_wait_xcnt 0x0
	v_mov_b64_e32 v[58:59], -1
	v_mov_b32_e32 v165, s57
	s_and_saveexec_b32 s17, s15
	s_cbranch_execz .LBB701_132
; %bb.131:                              ;   in Loop: Header=BB701_96 Depth=2
	v_lshl_add_u64 v[58:59], s[30:31], 3, v[24:25]
	v_mov_b32_e32 v165, s16
	global_load_b64 v[58:59], v[58:59], off offset:3840
	s_wait_loadcnt 0x0
	s_wait_xcnt 0x0
	v_xor_b32_e32 v59, 0x7fffffff, v59
	v_not_b32_e32 v58, v58
.LBB701_132:                            ;   in Loop: Header=BB701_96 Depth=2
	s_or_b32 exec_lo, exec_lo, s17
	s_wait_loadcnt 0xe
	v_xor_b32_e32 v61, 0x7fffffff, v61
	v_not_b32_e32 v60, v60
	v_add_nc_u32_e32 v168, 0x420, v120
	v_add_nc_u32_e32 v169, 0x428, v120
	v_add_nc_u32_e32 v170, 0x430, v120
	s_delay_alu instid0(VALU_DEP_4) | instskip(NEXT) | instid1(VALU_DEP_1)
	v_lshrrev_b64 v[90:91], s48, v[60:61]
	v_bitop3_b32 v91, v90, 1, s56 bitop3:0x80
	v_and_b32_e32 v92, s56, v90
	s_delay_alu instid0(VALU_DEP_2) | instskip(NEXT) | instid1(VALU_DEP_1)
	v_add_co_u32 v90, s15, v91, -1
	v_cndmask_b32_e64 v91, 0, 1, s15
	s_delay_alu instid0(VALU_DEP_3) | instskip(NEXT) | instid1(VALU_DEP_2)
	v_lshlrev_b32_e32 v93, 30, v92
	v_cmp_ne_u32_e32 vcc_lo, 0, v91
	s_delay_alu instid0(VALU_DEP_2) | instskip(NEXT) | instid1(VALU_DEP_1)
	v_not_b32_e32 v91, v93
	v_dual_ashrrev_i32 v91, 31, v91 :: v_dual_bitop2_b32 v90, vcc_lo, v90 bitop3:0x14
	v_dual_lshlrev_b32 v94, 29, v92 :: v_dual_lshlrev_b32 v95, 28, v92
	v_dual_lshlrev_b32 v96, 27, v92 :: v_dual_lshlrev_b32 v97, 26, v92
	v_lshlrev_b32_e32 v166, 25, v92
	v_cmp_gt_i32_e64 s15, 0, v93
	s_delay_alu instid0(VALU_DEP_4)
	v_cmp_gt_i32_e64 s16, 0, v94
	v_not_b32_e32 v93, v94
	v_not_b32_e32 v94, v95
	v_lshlrev_b32_e32 v167, 24, v92
	v_cmp_gt_i32_e64 s17, 0, v95
	v_cmp_gt_i32_e64 s18, 0, v96
	v_not_b32_e32 v95, v96
	v_cmp_gt_i32_e64 s19, 0, v97
	v_not_b32_e32 v96, v97
	v_not_b32_e32 v97, v166
	v_dual_ashrrev_i32 v93, 31, v93 :: v_dual_ashrrev_i32 v94, 31, v94
	v_xor_b32_e32 v91, s15, v91
	s_delay_alu instid0(VALU_DEP_4) | instskip(NEXT) | instid1(VALU_DEP_3)
	v_dual_ashrrev_i32 v95, 31, v95 :: v_dual_ashrrev_i32 v96, 31, v96
	v_dual_ashrrev_i32 v97, 31, v97 :: v_dual_bitop2_b32 v94, s17, v94 bitop3:0x14
	s_delay_alu instid0(VALU_DEP_3)
	v_bitop3_b32 v90, v90, v91, exec_lo bitop3:0x80
	v_not_b32_e32 v91, v167
	v_xor_b32_e32 v93, s16, v93
	v_xor_b32_e32 v95, s18, v95
	;; [unrolled: 1-line block ×3, first 2 shown]
	v_cmp_gt_i32_e32 vcc_lo, 0, v166
	v_cmp_gt_i32_e64 s15, 0, v167
	v_ashrrev_i32_e32 v91, 31, v91
	v_bitop3_b32 v90, v90, v94, v93 bitop3:0x80
	v_add_nc_u32_e32 v167, 0x438, v120
	v_xor_b32_e32 v93, vcc_lo, v97
	s_delay_alu instid0(VALU_DEP_4) | instskip(NEXT) | instid1(VALU_DEP_4)
	v_xor_b32_e32 v91, s15, v91
	v_bitop3_b32 v90, v90, v96, v95 bitop3:0x80
	ds_store_2addr_b32 v167, v5, v5 offset1:1
	ds_store_2addr_b32 v168, v5, v5 offset1:1
	;; [unrolled: 1-line block ×4, first 2 shown]
	ds_store_b32 v120, v5 offset:1088
	s_wait_loadcnt_dscnt 0x0
	s_barrier_signal -1
	v_bitop3_b32 v90, v90, v91, v93 bitop3:0x80
	v_mul_u32_u24_e32 v91, 36, v92
	s_barrier_wait -1
	s_delay_alu instid0(VALU_DEP_2) | instskip(SKIP_1) | instid1(VALU_DEP_3)
	v_mbcnt_lo_u32_b32 v166, v90, 0
	v_cmp_ne_u32_e64 s15, 0, v90
	v_add_nc_u32_e32 v171, v148, v91
	; wave barrier
	s_delay_alu instid0(VALU_DEP_3) | instskip(SKIP_1) | instid1(SALU_CYCLE_1)
	v_cmp_eq_u32_e32 vcc_lo, 0, v166
	s_and_b32 s16, s15, vcc_lo
	s_and_saveexec_b32 s15, s16
; %bb.133:                              ;   in Loop: Header=BB701_96 Depth=2
	v_bcnt_u32_b32 v90, v90, 0
	ds_store_b32 v171, v90 offset:1056
; %bb.134:                              ;   in Loop: Header=BB701_96 Depth=2
	s_or_b32 exec_lo, exec_lo, s15
	v_xor_b32_e32 v63, 0x7fffffff, v63
	v_not_b32_e32 v62, v62
	; wave barrier
	s_delay_alu instid0(VALU_DEP_1) | instskip(NEXT) | instid1(VALU_DEP_1)
	v_lshrrev_b64 v[90:91], s48, v[62:63]
	v_bitop3_b32 v91, v90, 1, s56 bitop3:0x80
	v_and_b32_e32 v92, s56, v90
	s_delay_alu instid0(VALU_DEP_2) | instskip(NEXT) | instid1(VALU_DEP_1)
	v_add_co_u32 v90, s15, v91, -1
	v_cndmask_b32_e64 v91, 0, 1, s15
	s_delay_alu instid0(VALU_DEP_3) | instskip(NEXT) | instid1(VALU_DEP_2)
	v_lshlrev_b32_e32 v93, 30, v92
	v_cmp_ne_u32_e32 vcc_lo, 0, v91
	s_delay_alu instid0(VALU_DEP_2) | instskip(NEXT) | instid1(VALU_DEP_1)
	v_not_b32_e32 v91, v93
	v_dual_ashrrev_i32 v91, 31, v91 :: v_dual_bitop2_b32 v90, vcc_lo, v90 bitop3:0x14
	v_dual_lshlrev_b32 v94, 29, v92 :: v_dual_lshlrev_b32 v95, 28, v92
	v_dual_lshlrev_b32 v96, 27, v92 :: v_dual_lshlrev_b32 v97, 26, v92
	v_lshlrev_b32_e32 v172, 25, v92
	v_cmp_gt_i32_e64 s15, 0, v93
	s_delay_alu instid0(VALU_DEP_4)
	v_cmp_gt_i32_e64 s16, 0, v94
	v_not_b32_e32 v93, v94
	v_not_b32_e32 v94, v95
	v_lshlrev_b32_e32 v173, 24, v92
	v_cmp_gt_i32_e64 s17, 0, v95
	v_cmp_gt_i32_e64 s18, 0, v96
	v_not_b32_e32 v95, v96
	v_not_b32_e32 v96, v97
	v_dual_ashrrev_i32 v93, 31, v93 :: v_dual_ashrrev_i32 v94, 31, v94
	v_xor_b32_e32 v91, s15, v91
	v_cmp_gt_i32_e64 s19, 0, v97
	v_not_b32_e32 v97, v172
	s_delay_alu instid0(VALU_DEP_4) | instskip(SKIP_1) | instid1(VALU_DEP_3)
	v_dual_ashrrev_i32 v95, 31, v95 :: v_dual_bitop2_b32 v93, s16, v93 bitop3:0x14
	v_dual_ashrrev_i32 v96, 31, v96 :: v_dual_bitop2_b32 v94, s17, v94 bitop3:0x14
	v_ashrrev_i32_e32 v97, 31, v97
	v_bitop3_b32 v90, v90, v91, exec_lo bitop3:0x80
	v_not_b32_e32 v91, v173
	v_cmp_gt_i32_e64 s20, 0, v172
	v_xor_b32_e32 v95, s18, v95
	v_xor_b32_e32 v96, s19, v96
	v_bitop3_b32 v90, v90, v94, v93 bitop3:0x80
	v_cmp_gt_i32_e32 vcc_lo, 0, v173
	v_ashrrev_i32_e32 v91, 31, v91
	v_mad_u32_u24 v93, v92, 36, v148
	v_xor_b32_e32 v94, s20, v97
	v_bitop3_b32 v90, v90, v96, v95 bitop3:0x80
	s_delay_alu instid0(VALU_DEP_4) | instskip(SKIP_3) | instid1(VALU_DEP_2)
	v_xor_b32_e32 v91, vcc_lo, v91
	ds_load_b32 v172, v93 offset:1056
	; wave barrier
	v_bitop3_b32 v90, v90, v91, v94 bitop3:0x80
	v_mul_u32_u24_e32 v91, 36, v92
	v_mbcnt_lo_u32_b32 v173, v90, 0
	v_cmp_ne_u32_e64 s15, 0, v90
	s_delay_alu instid0(VALU_DEP_3) | instskip(NEXT) | instid1(VALU_DEP_3)
	v_add_nc_u32_e32 v174, v148, v91
	v_cmp_eq_u32_e32 vcc_lo, 0, v173
	s_and_b32 s16, s15, vcc_lo
	s_delay_alu instid0(SALU_CYCLE_1)
	s_and_saveexec_b32 s15, s16
	s_cbranch_execz .LBB701_136
; %bb.135:                              ;   in Loop: Header=BB701_96 Depth=2
	s_wait_dscnt 0x0
	v_bcnt_u32_b32 v90, v90, v172
	ds_store_b32 v174, v90 offset:1056
.LBB701_136:                            ;   in Loop: Header=BB701_96 Depth=2
	s_or_b32 exec_lo, exec_lo, s15
	v_xor_b32_e32 v65, 0x7fffffff, v65
	v_not_b32_e32 v64, v64
	; wave barrier
	s_delay_alu instid0(VALU_DEP_1) | instskip(NEXT) | instid1(VALU_DEP_1)
	v_lshrrev_b64 v[90:91], s48, v[64:65]
	v_bitop3_b32 v91, v90, 1, s56 bitop3:0x80
	v_and_b32_e32 v92, s56, v90
	s_delay_alu instid0(VALU_DEP_2) | instskip(NEXT) | instid1(VALU_DEP_1)
	v_add_co_u32 v90, s15, v91, -1
	v_cndmask_b32_e64 v91, 0, 1, s15
	s_delay_alu instid0(VALU_DEP_3) | instskip(NEXT) | instid1(VALU_DEP_2)
	v_lshlrev_b32_e32 v93, 30, v92
	v_cmp_ne_u32_e32 vcc_lo, 0, v91
	s_delay_alu instid0(VALU_DEP_2) | instskip(NEXT) | instid1(VALU_DEP_1)
	v_not_b32_e32 v91, v93
	v_dual_ashrrev_i32 v91, 31, v91 :: v_dual_bitop2_b32 v90, vcc_lo, v90 bitop3:0x14
	v_dual_lshlrev_b32 v94, 29, v92 :: v_dual_lshlrev_b32 v95, 28, v92
	v_dual_lshlrev_b32 v96, 27, v92 :: v_dual_lshlrev_b32 v97, 26, v92
	v_lshlrev_b32_e32 v175, 25, v92
	v_cmp_gt_i32_e64 s15, 0, v93
	s_delay_alu instid0(VALU_DEP_4)
	v_cmp_gt_i32_e64 s16, 0, v94
	v_not_b32_e32 v93, v94
	v_not_b32_e32 v94, v95
	v_lshlrev_b32_e32 v176, 24, v92
	v_cmp_gt_i32_e64 s17, 0, v95
	v_cmp_gt_i32_e64 s18, 0, v96
	v_not_b32_e32 v95, v96
	v_not_b32_e32 v96, v97
	v_dual_ashrrev_i32 v93, 31, v93 :: v_dual_ashrrev_i32 v94, 31, v94
	v_xor_b32_e32 v91, s15, v91
	v_cmp_gt_i32_e64 s19, 0, v97
	v_not_b32_e32 v97, v175
	s_delay_alu instid0(VALU_DEP_4) | instskip(SKIP_1) | instid1(VALU_DEP_3)
	v_dual_ashrrev_i32 v95, 31, v95 :: v_dual_bitop2_b32 v93, s16, v93 bitop3:0x14
	v_dual_ashrrev_i32 v96, 31, v96 :: v_dual_bitop2_b32 v94, s17, v94 bitop3:0x14
	v_ashrrev_i32_e32 v97, 31, v97
	v_bitop3_b32 v90, v90, v91, exec_lo bitop3:0x80
	v_not_b32_e32 v91, v176
	v_cmp_gt_i32_e64 s20, 0, v175
	v_xor_b32_e32 v95, s18, v95
	v_xor_b32_e32 v96, s19, v96
	v_bitop3_b32 v90, v90, v94, v93 bitop3:0x80
	v_cmp_gt_i32_e32 vcc_lo, 0, v176
	v_ashrrev_i32_e32 v91, 31, v91
	v_mad_u32_u24 v93, v92, 36, v148
	v_xor_b32_e32 v94, s20, v97
	v_bitop3_b32 v90, v90, v96, v95 bitop3:0x80
	s_delay_alu instid0(VALU_DEP_4) | instskip(SKIP_3) | instid1(VALU_DEP_2)
	v_xor_b32_e32 v91, vcc_lo, v91
	ds_load_b32 v175, v93 offset:1056
	; wave barrier
	v_bitop3_b32 v90, v90, v91, v94 bitop3:0x80
	v_mul_u32_u24_e32 v91, 36, v92
	v_mbcnt_lo_u32_b32 v176, v90, 0
	v_cmp_ne_u32_e64 s15, 0, v90
	s_delay_alu instid0(VALU_DEP_3) | instskip(NEXT) | instid1(VALU_DEP_3)
	v_add_nc_u32_e32 v177, v148, v91
	v_cmp_eq_u32_e32 vcc_lo, 0, v176
	s_and_b32 s16, s15, vcc_lo
	s_delay_alu instid0(SALU_CYCLE_1)
	s_and_saveexec_b32 s15, s16
	s_cbranch_execz .LBB701_138
; %bb.137:                              ;   in Loop: Header=BB701_96 Depth=2
	s_wait_dscnt 0x0
	v_bcnt_u32_b32 v90, v90, v175
	ds_store_b32 v177, v90 offset:1056
.LBB701_138:                            ;   in Loop: Header=BB701_96 Depth=2
	s_or_b32 exec_lo, exec_lo, s15
	v_xor_b32_e32 v71, 0x7fffffff, v71
	v_not_b32_e32 v70, v70
	; wave barrier
	s_delay_alu instid0(VALU_DEP_1) | instskip(NEXT) | instid1(VALU_DEP_1)
	v_lshrrev_b64 v[90:91], s48, v[70:71]
	v_bitop3_b32 v91, v90, 1, s56 bitop3:0x80
	v_and_b32_e32 v92, s56, v90
	s_delay_alu instid0(VALU_DEP_2) | instskip(NEXT) | instid1(VALU_DEP_1)
	v_add_co_u32 v90, s15, v91, -1
	v_cndmask_b32_e64 v91, 0, 1, s15
	s_delay_alu instid0(VALU_DEP_3) | instskip(NEXT) | instid1(VALU_DEP_2)
	v_lshlrev_b32_e32 v93, 30, v92
	v_cmp_ne_u32_e32 vcc_lo, 0, v91
	s_delay_alu instid0(VALU_DEP_2) | instskip(NEXT) | instid1(VALU_DEP_1)
	v_not_b32_e32 v91, v93
	v_dual_ashrrev_i32 v91, 31, v91 :: v_dual_bitop2_b32 v90, vcc_lo, v90 bitop3:0x14
	v_dual_lshlrev_b32 v94, 29, v92 :: v_dual_lshlrev_b32 v95, 28, v92
	v_dual_lshlrev_b32 v96, 27, v92 :: v_dual_lshlrev_b32 v97, 26, v92
	v_lshlrev_b32_e32 v178, 25, v92
	v_cmp_gt_i32_e64 s15, 0, v93
	s_delay_alu instid0(VALU_DEP_4)
	v_cmp_gt_i32_e64 s16, 0, v94
	v_not_b32_e32 v93, v94
	v_not_b32_e32 v94, v95
	v_lshlrev_b32_e32 v179, 24, v92
	v_cmp_gt_i32_e64 s17, 0, v95
	v_cmp_gt_i32_e64 s18, 0, v96
	v_not_b32_e32 v95, v96
	v_not_b32_e32 v96, v97
	v_dual_ashrrev_i32 v93, 31, v93 :: v_dual_ashrrev_i32 v94, 31, v94
	v_xor_b32_e32 v91, s15, v91
	v_cmp_gt_i32_e64 s19, 0, v97
	v_not_b32_e32 v97, v178
	s_delay_alu instid0(VALU_DEP_4) | instskip(SKIP_1) | instid1(VALU_DEP_3)
	v_dual_ashrrev_i32 v95, 31, v95 :: v_dual_bitop2_b32 v93, s16, v93 bitop3:0x14
	v_dual_ashrrev_i32 v96, 31, v96 :: v_dual_bitop2_b32 v94, s17, v94 bitop3:0x14
	v_ashrrev_i32_e32 v97, 31, v97
	v_bitop3_b32 v90, v90, v91, exec_lo bitop3:0x80
	v_not_b32_e32 v91, v179
	v_cmp_gt_i32_e64 s20, 0, v178
	v_xor_b32_e32 v95, s18, v95
	v_xor_b32_e32 v96, s19, v96
	v_bitop3_b32 v90, v90, v94, v93 bitop3:0x80
	v_cmp_gt_i32_e32 vcc_lo, 0, v179
	v_ashrrev_i32_e32 v91, 31, v91
	v_mad_u32_u24 v93, v92, 36, v148
	v_xor_b32_e32 v94, s20, v97
	v_bitop3_b32 v90, v90, v96, v95 bitop3:0x80
	s_delay_alu instid0(VALU_DEP_4) | instskip(SKIP_3) | instid1(VALU_DEP_2)
	v_xor_b32_e32 v91, vcc_lo, v91
	ds_load_b32 v178, v93 offset:1056
	; wave barrier
	v_bitop3_b32 v90, v90, v91, v94 bitop3:0x80
	v_mul_u32_u24_e32 v91, 36, v92
	v_mbcnt_lo_u32_b32 v179, v90, 0
	v_cmp_ne_u32_e64 s15, 0, v90
	s_delay_alu instid0(VALU_DEP_3) | instskip(NEXT) | instid1(VALU_DEP_3)
	v_add_nc_u32_e32 v180, v148, v91
	v_cmp_eq_u32_e32 vcc_lo, 0, v179
	s_and_b32 s16, s15, vcc_lo
	s_delay_alu instid0(SALU_CYCLE_1)
	s_and_saveexec_b32 s15, s16
	s_cbranch_execz .LBB701_140
; %bb.139:                              ;   in Loop: Header=BB701_96 Depth=2
	s_wait_dscnt 0x0
	v_bcnt_u32_b32 v90, v90, v178
	ds_store_b32 v180, v90 offset:1056
.LBB701_140:                            ;   in Loop: Header=BB701_96 Depth=2
	s_or_b32 exec_lo, exec_lo, s15
	v_xor_b32_e32 v75, 0x7fffffff, v75
	v_not_b32_e32 v74, v74
	; wave barrier
	s_delay_alu instid0(VALU_DEP_1) | instskip(NEXT) | instid1(VALU_DEP_1)
	v_lshrrev_b64 v[90:91], s48, v[74:75]
	v_bitop3_b32 v91, v90, 1, s56 bitop3:0x80
	v_and_b32_e32 v92, s56, v90
	s_delay_alu instid0(VALU_DEP_2) | instskip(NEXT) | instid1(VALU_DEP_1)
	v_add_co_u32 v90, s15, v91, -1
	v_cndmask_b32_e64 v91, 0, 1, s15
	s_delay_alu instid0(VALU_DEP_3) | instskip(NEXT) | instid1(VALU_DEP_2)
	v_lshlrev_b32_e32 v93, 30, v92
	v_cmp_ne_u32_e32 vcc_lo, 0, v91
	s_delay_alu instid0(VALU_DEP_2) | instskip(NEXT) | instid1(VALU_DEP_1)
	v_not_b32_e32 v91, v93
	v_dual_ashrrev_i32 v91, 31, v91 :: v_dual_bitop2_b32 v90, vcc_lo, v90 bitop3:0x14
	v_dual_lshlrev_b32 v94, 29, v92 :: v_dual_lshlrev_b32 v95, 28, v92
	v_dual_lshlrev_b32 v96, 27, v92 :: v_dual_lshlrev_b32 v97, 26, v92
	v_lshlrev_b32_e32 v181, 25, v92
	v_cmp_gt_i32_e64 s15, 0, v93
	s_delay_alu instid0(VALU_DEP_4)
	v_cmp_gt_i32_e64 s16, 0, v94
	v_not_b32_e32 v93, v94
	v_not_b32_e32 v94, v95
	v_lshlrev_b32_e32 v182, 24, v92
	v_cmp_gt_i32_e64 s17, 0, v95
	v_cmp_gt_i32_e64 s18, 0, v96
	v_not_b32_e32 v95, v96
	v_not_b32_e32 v96, v97
	v_dual_ashrrev_i32 v93, 31, v93 :: v_dual_ashrrev_i32 v94, 31, v94
	v_xor_b32_e32 v91, s15, v91
	v_cmp_gt_i32_e64 s19, 0, v97
	v_not_b32_e32 v97, v181
	s_delay_alu instid0(VALU_DEP_4) | instskip(SKIP_1) | instid1(VALU_DEP_3)
	v_dual_ashrrev_i32 v95, 31, v95 :: v_dual_bitop2_b32 v93, s16, v93 bitop3:0x14
	v_dual_ashrrev_i32 v96, 31, v96 :: v_dual_bitop2_b32 v94, s17, v94 bitop3:0x14
	v_ashrrev_i32_e32 v97, 31, v97
	v_bitop3_b32 v90, v90, v91, exec_lo bitop3:0x80
	v_not_b32_e32 v91, v182
	v_cmp_gt_i32_e64 s20, 0, v181
	v_xor_b32_e32 v95, s18, v95
	v_xor_b32_e32 v96, s19, v96
	v_bitop3_b32 v90, v90, v94, v93 bitop3:0x80
	v_cmp_gt_i32_e32 vcc_lo, 0, v182
	v_ashrrev_i32_e32 v91, 31, v91
	v_mad_u32_u24 v93, v92, 36, v148
	v_xor_b32_e32 v94, s20, v97
	v_bitop3_b32 v90, v90, v96, v95 bitop3:0x80
	s_delay_alu instid0(VALU_DEP_4) | instskip(SKIP_3) | instid1(VALU_DEP_2)
	v_xor_b32_e32 v91, vcc_lo, v91
	ds_load_b32 v181, v93 offset:1056
	; wave barrier
	v_bitop3_b32 v90, v90, v91, v94 bitop3:0x80
	v_mul_u32_u24_e32 v91, 36, v92
	v_mbcnt_lo_u32_b32 v182, v90, 0
	v_cmp_ne_u32_e64 s15, 0, v90
	s_delay_alu instid0(VALU_DEP_3) | instskip(NEXT) | instid1(VALU_DEP_3)
	v_add_nc_u32_e32 v183, v148, v91
	v_cmp_eq_u32_e32 vcc_lo, 0, v182
	s_and_b32 s16, s15, vcc_lo
	s_delay_alu instid0(SALU_CYCLE_1)
	s_and_saveexec_b32 s15, s16
	s_cbranch_execz .LBB701_142
; %bb.141:                              ;   in Loop: Header=BB701_96 Depth=2
	s_wait_dscnt 0x0
	v_bcnt_u32_b32 v90, v90, v181
	ds_store_b32 v183, v90 offset:1056
.LBB701_142:                            ;   in Loop: Header=BB701_96 Depth=2
	s_or_b32 exec_lo, exec_lo, s15
	v_xor_b32_e32 v79, 0x7fffffff, v79
	v_not_b32_e32 v78, v78
	; wave barrier
	s_delay_alu instid0(VALU_DEP_1) | instskip(NEXT) | instid1(VALU_DEP_1)
	v_lshrrev_b64 v[90:91], s48, v[78:79]
	v_bitop3_b32 v91, v90, 1, s56 bitop3:0x80
	v_and_b32_e32 v92, s56, v90
	s_delay_alu instid0(VALU_DEP_2) | instskip(NEXT) | instid1(VALU_DEP_1)
	v_add_co_u32 v90, s15, v91, -1
	v_cndmask_b32_e64 v91, 0, 1, s15
	s_delay_alu instid0(VALU_DEP_3) | instskip(NEXT) | instid1(VALU_DEP_2)
	v_lshlrev_b32_e32 v93, 30, v92
	v_cmp_ne_u32_e32 vcc_lo, 0, v91
	s_delay_alu instid0(VALU_DEP_2) | instskip(NEXT) | instid1(VALU_DEP_1)
	v_not_b32_e32 v91, v93
	v_dual_ashrrev_i32 v91, 31, v91 :: v_dual_bitop2_b32 v90, vcc_lo, v90 bitop3:0x14
	v_dual_lshlrev_b32 v94, 29, v92 :: v_dual_lshlrev_b32 v95, 28, v92
	v_dual_lshlrev_b32 v96, 27, v92 :: v_dual_lshlrev_b32 v97, 26, v92
	v_lshlrev_b32_e32 v184, 25, v92
	v_cmp_gt_i32_e64 s15, 0, v93
	s_delay_alu instid0(VALU_DEP_4)
	v_cmp_gt_i32_e64 s16, 0, v94
	v_not_b32_e32 v93, v94
	v_not_b32_e32 v94, v95
	v_lshlrev_b32_e32 v185, 24, v92
	v_cmp_gt_i32_e64 s17, 0, v95
	v_cmp_gt_i32_e64 s18, 0, v96
	v_not_b32_e32 v95, v96
	v_not_b32_e32 v96, v97
	v_dual_ashrrev_i32 v93, 31, v93 :: v_dual_ashrrev_i32 v94, 31, v94
	v_xor_b32_e32 v91, s15, v91
	v_cmp_gt_i32_e64 s19, 0, v97
	v_not_b32_e32 v97, v184
	s_delay_alu instid0(VALU_DEP_4) | instskip(SKIP_1) | instid1(VALU_DEP_3)
	v_dual_ashrrev_i32 v95, 31, v95 :: v_dual_bitop2_b32 v93, s16, v93 bitop3:0x14
	v_dual_ashrrev_i32 v96, 31, v96 :: v_dual_bitop2_b32 v94, s17, v94 bitop3:0x14
	v_ashrrev_i32_e32 v97, 31, v97
	v_bitop3_b32 v90, v90, v91, exec_lo bitop3:0x80
	v_not_b32_e32 v91, v185
	v_cmp_gt_i32_e64 s20, 0, v184
	v_xor_b32_e32 v95, s18, v95
	v_xor_b32_e32 v96, s19, v96
	v_bitop3_b32 v90, v90, v94, v93 bitop3:0x80
	v_cmp_gt_i32_e32 vcc_lo, 0, v185
	v_ashrrev_i32_e32 v91, 31, v91
	v_mad_u32_u24 v93, v92, 36, v148
	v_xor_b32_e32 v94, s20, v97
	v_bitop3_b32 v90, v90, v96, v95 bitop3:0x80
	s_delay_alu instid0(VALU_DEP_4) | instskip(SKIP_3) | instid1(VALU_DEP_2)
	v_xor_b32_e32 v91, vcc_lo, v91
	ds_load_b32 v184, v93 offset:1056
	; wave barrier
	v_bitop3_b32 v90, v90, v91, v94 bitop3:0x80
	v_mul_u32_u24_e32 v91, 36, v92
	v_mbcnt_lo_u32_b32 v185, v90, 0
	v_cmp_ne_u32_e64 s15, 0, v90
	s_delay_alu instid0(VALU_DEP_3) | instskip(NEXT) | instid1(VALU_DEP_3)
	v_add_nc_u32_e32 v186, v148, v91
	v_cmp_eq_u32_e32 vcc_lo, 0, v185
	s_and_b32 s16, s15, vcc_lo
	s_delay_alu instid0(SALU_CYCLE_1)
	s_and_saveexec_b32 s15, s16
	s_cbranch_execz .LBB701_144
; %bb.143:                              ;   in Loop: Header=BB701_96 Depth=2
	s_wait_dscnt 0x0
	v_bcnt_u32_b32 v90, v90, v184
	ds_store_b32 v186, v90 offset:1056
.LBB701_144:                            ;   in Loop: Header=BB701_96 Depth=2
	s_or_b32 exec_lo, exec_lo, s15
	v_xor_b32_e32 v83, 0x7fffffff, v83
	v_not_b32_e32 v82, v82
	; wave barrier
	s_delay_alu instid0(VALU_DEP_1) | instskip(NEXT) | instid1(VALU_DEP_1)
	v_lshrrev_b64 v[90:91], s48, v[82:83]
	v_bitop3_b32 v91, v90, 1, s56 bitop3:0x80
	v_and_b32_e32 v92, s56, v90
	s_delay_alu instid0(VALU_DEP_2) | instskip(NEXT) | instid1(VALU_DEP_1)
	v_add_co_u32 v90, s15, v91, -1
	v_cndmask_b32_e64 v91, 0, 1, s15
	s_delay_alu instid0(VALU_DEP_3) | instskip(NEXT) | instid1(VALU_DEP_2)
	v_lshlrev_b32_e32 v93, 30, v92
	v_cmp_ne_u32_e32 vcc_lo, 0, v91
	s_delay_alu instid0(VALU_DEP_2) | instskip(NEXT) | instid1(VALU_DEP_1)
	v_not_b32_e32 v91, v93
	v_dual_ashrrev_i32 v91, 31, v91 :: v_dual_bitop2_b32 v90, vcc_lo, v90 bitop3:0x14
	v_dual_lshlrev_b32 v94, 29, v92 :: v_dual_lshlrev_b32 v95, 28, v92
	v_dual_lshlrev_b32 v96, 27, v92 :: v_dual_lshlrev_b32 v97, 26, v92
	v_lshlrev_b32_e32 v187, 25, v92
	v_cmp_gt_i32_e64 s15, 0, v93
	s_delay_alu instid0(VALU_DEP_4)
	v_cmp_gt_i32_e64 s16, 0, v94
	v_not_b32_e32 v93, v94
	v_not_b32_e32 v94, v95
	v_lshlrev_b32_e32 v188, 24, v92
	v_cmp_gt_i32_e64 s17, 0, v95
	v_cmp_gt_i32_e64 s18, 0, v96
	v_not_b32_e32 v95, v96
	v_not_b32_e32 v96, v97
	v_dual_ashrrev_i32 v93, 31, v93 :: v_dual_ashrrev_i32 v94, 31, v94
	v_xor_b32_e32 v91, s15, v91
	v_cmp_gt_i32_e64 s19, 0, v97
	v_not_b32_e32 v97, v187
	s_delay_alu instid0(VALU_DEP_4) | instskip(SKIP_1) | instid1(VALU_DEP_3)
	v_dual_ashrrev_i32 v95, 31, v95 :: v_dual_bitop2_b32 v93, s16, v93 bitop3:0x14
	v_dual_ashrrev_i32 v96, 31, v96 :: v_dual_bitop2_b32 v94, s17, v94 bitop3:0x14
	v_ashrrev_i32_e32 v97, 31, v97
	v_bitop3_b32 v90, v90, v91, exec_lo bitop3:0x80
	v_not_b32_e32 v91, v188
	v_cmp_gt_i32_e64 s20, 0, v187
	v_xor_b32_e32 v95, s18, v95
	v_xor_b32_e32 v96, s19, v96
	v_bitop3_b32 v90, v90, v94, v93 bitop3:0x80
	v_cmp_gt_i32_e32 vcc_lo, 0, v188
	v_ashrrev_i32_e32 v91, 31, v91
	v_mad_u32_u24 v93, v92, 36, v148
	v_xor_b32_e32 v94, s20, v97
	v_bitop3_b32 v90, v90, v96, v95 bitop3:0x80
	s_delay_alu instid0(VALU_DEP_4) | instskip(SKIP_3) | instid1(VALU_DEP_2)
	v_xor_b32_e32 v91, vcc_lo, v91
	ds_load_b32 v187, v93 offset:1056
	; wave barrier
	v_bitop3_b32 v90, v90, v91, v94 bitop3:0x80
	v_mul_u32_u24_e32 v91, 36, v92
	v_mbcnt_lo_u32_b32 v188, v90, 0
	v_cmp_ne_u32_e64 s15, 0, v90
	s_delay_alu instid0(VALU_DEP_3) | instskip(NEXT) | instid1(VALU_DEP_3)
	v_add_nc_u32_e32 v189, v148, v91
	v_cmp_eq_u32_e32 vcc_lo, 0, v188
	s_and_b32 s16, s15, vcc_lo
	s_delay_alu instid0(SALU_CYCLE_1)
	s_and_saveexec_b32 s15, s16
	s_cbranch_execz .LBB701_146
; %bb.145:                              ;   in Loop: Header=BB701_96 Depth=2
	s_wait_dscnt 0x0
	v_bcnt_u32_b32 v90, v90, v187
	ds_store_b32 v189, v90 offset:1056
.LBB701_146:                            ;   in Loop: Header=BB701_96 Depth=2
	s_or_b32 exec_lo, exec_lo, s15
	v_xor_b32_e32 v87, 0x7fffffff, v87
	v_not_b32_e32 v86, v86
	; wave barrier
	s_delay_alu instid0(VALU_DEP_1) | instskip(NEXT) | instid1(VALU_DEP_1)
	v_lshrrev_b64 v[90:91], s48, v[86:87]
	v_bitop3_b32 v91, v90, 1, s56 bitop3:0x80
	v_and_b32_e32 v92, s56, v90
	s_delay_alu instid0(VALU_DEP_2) | instskip(NEXT) | instid1(VALU_DEP_1)
	v_add_co_u32 v90, s15, v91, -1
	v_cndmask_b32_e64 v91, 0, 1, s15
	s_delay_alu instid0(VALU_DEP_3) | instskip(NEXT) | instid1(VALU_DEP_2)
	v_lshlrev_b32_e32 v93, 30, v92
	v_cmp_ne_u32_e32 vcc_lo, 0, v91
	s_delay_alu instid0(VALU_DEP_2) | instskip(NEXT) | instid1(VALU_DEP_1)
	v_not_b32_e32 v91, v93
	v_dual_ashrrev_i32 v91, 31, v91 :: v_dual_bitop2_b32 v90, vcc_lo, v90 bitop3:0x14
	v_dual_lshlrev_b32 v94, 29, v92 :: v_dual_lshlrev_b32 v95, 28, v92
	v_dual_lshlrev_b32 v96, 27, v92 :: v_dual_lshlrev_b32 v97, 26, v92
	v_lshlrev_b32_e32 v190, 25, v92
	v_cmp_gt_i32_e64 s15, 0, v93
	s_delay_alu instid0(VALU_DEP_4)
	v_cmp_gt_i32_e64 s16, 0, v94
	v_not_b32_e32 v93, v94
	v_not_b32_e32 v94, v95
	v_lshlrev_b32_e32 v191, 24, v92
	v_cmp_gt_i32_e64 s17, 0, v95
	v_cmp_gt_i32_e64 s18, 0, v96
	v_not_b32_e32 v95, v96
	v_not_b32_e32 v96, v97
	v_dual_ashrrev_i32 v93, 31, v93 :: v_dual_ashrrev_i32 v94, 31, v94
	v_xor_b32_e32 v91, s15, v91
	v_cmp_gt_i32_e64 s19, 0, v97
	v_not_b32_e32 v97, v190
	s_delay_alu instid0(VALU_DEP_4) | instskip(SKIP_1) | instid1(VALU_DEP_3)
	v_dual_ashrrev_i32 v95, 31, v95 :: v_dual_bitop2_b32 v93, s16, v93 bitop3:0x14
	v_dual_ashrrev_i32 v96, 31, v96 :: v_dual_bitop2_b32 v94, s17, v94 bitop3:0x14
	v_ashrrev_i32_e32 v97, 31, v97
	v_bitop3_b32 v90, v90, v91, exec_lo bitop3:0x80
	v_not_b32_e32 v91, v191
	v_cmp_gt_i32_e64 s20, 0, v190
	v_xor_b32_e32 v95, s18, v95
	v_xor_b32_e32 v96, s19, v96
	v_bitop3_b32 v90, v90, v94, v93 bitop3:0x80
	v_cmp_gt_i32_e32 vcc_lo, 0, v191
	v_ashrrev_i32_e32 v91, 31, v91
	v_mad_u32_u24 v93, v92, 36, v148
	v_xor_b32_e32 v94, s20, v97
	v_bitop3_b32 v90, v90, v96, v95 bitop3:0x80
	s_delay_alu instid0(VALU_DEP_4) | instskip(SKIP_3) | instid1(VALU_DEP_2)
	v_xor_b32_e32 v91, vcc_lo, v91
	ds_load_b32 v190, v93 offset:1056
	; wave barrier
	v_bitop3_b32 v90, v90, v91, v94 bitop3:0x80
	v_mul_u32_u24_e32 v91, 36, v92
	v_mbcnt_lo_u32_b32 v191, v90, 0
	v_cmp_ne_u32_e64 s15, 0, v90
	s_delay_alu instid0(VALU_DEP_3) | instskip(NEXT) | instid1(VALU_DEP_3)
	v_add_nc_u32_e32 v192, v148, v91
	v_cmp_eq_u32_e32 vcc_lo, 0, v191
	s_and_b32 s16, s15, vcc_lo
	s_delay_alu instid0(SALU_CYCLE_1)
	s_and_saveexec_b32 s15, s16
	s_cbranch_execz .LBB701_148
; %bb.147:                              ;   in Loop: Header=BB701_96 Depth=2
	s_wait_dscnt 0x0
	v_bcnt_u32_b32 v90, v90, v190
	ds_store_b32 v192, v90 offset:1056
.LBB701_148:                            ;   in Loop: Header=BB701_96 Depth=2
	s_or_b32 exec_lo, exec_lo, s15
	v_xor_b32_e32 v89, 0x7fffffff, v89
	v_not_b32_e32 v88, v88
	; wave barrier
	s_delay_alu instid0(VALU_DEP_1) | instskip(NEXT) | instid1(VALU_DEP_1)
	v_lshrrev_b64 v[90:91], s48, v[88:89]
	v_bitop3_b32 v91, v90, 1, s56 bitop3:0x80
	v_and_b32_e32 v92, s56, v90
	s_delay_alu instid0(VALU_DEP_2) | instskip(NEXT) | instid1(VALU_DEP_1)
	v_add_co_u32 v90, s15, v91, -1
	v_cndmask_b32_e64 v91, 0, 1, s15
	s_delay_alu instid0(VALU_DEP_3) | instskip(NEXT) | instid1(VALU_DEP_2)
	v_lshlrev_b32_e32 v93, 30, v92
	v_cmp_ne_u32_e32 vcc_lo, 0, v91
	s_delay_alu instid0(VALU_DEP_2) | instskip(NEXT) | instid1(VALU_DEP_1)
	v_not_b32_e32 v91, v93
	v_dual_ashrrev_i32 v91, 31, v91 :: v_dual_bitop2_b32 v90, vcc_lo, v90 bitop3:0x14
	v_dual_lshlrev_b32 v94, 29, v92 :: v_dual_lshlrev_b32 v95, 28, v92
	v_dual_lshlrev_b32 v96, 27, v92 :: v_dual_lshlrev_b32 v97, 26, v92
	v_lshlrev_b32_e32 v193, 25, v92
	v_cmp_gt_i32_e64 s15, 0, v93
	s_delay_alu instid0(VALU_DEP_4)
	v_cmp_gt_i32_e64 s16, 0, v94
	v_not_b32_e32 v93, v94
	v_not_b32_e32 v94, v95
	v_lshlrev_b32_e32 v194, 24, v92
	v_cmp_gt_i32_e64 s17, 0, v95
	v_cmp_gt_i32_e64 s18, 0, v96
	v_not_b32_e32 v95, v96
	v_not_b32_e32 v96, v97
	v_dual_ashrrev_i32 v93, 31, v93 :: v_dual_ashrrev_i32 v94, 31, v94
	v_xor_b32_e32 v91, s15, v91
	v_cmp_gt_i32_e64 s19, 0, v97
	v_not_b32_e32 v97, v193
	s_delay_alu instid0(VALU_DEP_4) | instskip(SKIP_1) | instid1(VALU_DEP_3)
	v_dual_ashrrev_i32 v95, 31, v95 :: v_dual_bitop2_b32 v93, s16, v93 bitop3:0x14
	v_dual_ashrrev_i32 v96, 31, v96 :: v_dual_bitop2_b32 v94, s17, v94 bitop3:0x14
	v_ashrrev_i32_e32 v97, 31, v97
	v_bitop3_b32 v90, v90, v91, exec_lo bitop3:0x80
	v_not_b32_e32 v91, v194
	v_cmp_gt_i32_e64 s20, 0, v193
	v_xor_b32_e32 v95, s18, v95
	v_xor_b32_e32 v96, s19, v96
	v_bitop3_b32 v90, v90, v94, v93 bitop3:0x80
	v_cmp_gt_i32_e32 vcc_lo, 0, v194
	v_ashrrev_i32_e32 v91, 31, v91
	v_mad_u32_u24 v93, v92, 36, v148
	v_xor_b32_e32 v94, s20, v97
	v_bitop3_b32 v90, v90, v96, v95 bitop3:0x80
	s_delay_alu instid0(VALU_DEP_4) | instskip(SKIP_3) | instid1(VALU_DEP_2)
	v_xor_b32_e32 v91, vcc_lo, v91
	ds_load_b32 v193, v93 offset:1056
	; wave barrier
	v_bitop3_b32 v90, v90, v91, v94 bitop3:0x80
	v_mul_u32_u24_e32 v91, 36, v92
	v_mbcnt_lo_u32_b32 v194, v90, 0
	v_cmp_ne_u32_e64 s15, 0, v90
	s_delay_alu instid0(VALU_DEP_3) | instskip(NEXT) | instid1(VALU_DEP_3)
	v_add_nc_u32_e32 v195, v148, v91
	v_cmp_eq_u32_e32 vcc_lo, 0, v194
	s_and_b32 s16, s15, vcc_lo
	s_delay_alu instid0(SALU_CYCLE_1)
	s_and_saveexec_b32 s15, s16
	s_cbranch_execz .LBB701_150
; %bb.149:                              ;   in Loop: Header=BB701_96 Depth=2
	s_wait_dscnt 0x0
	v_bcnt_u32_b32 v90, v90, v193
	ds_store_b32 v195, v90 offset:1056
.LBB701_150:                            ;   in Loop: Header=BB701_96 Depth=2
	s_or_b32 exec_lo, exec_lo, s15
	v_xor_b32_e32 v85, 0x7fffffff, v85
	v_not_b32_e32 v84, v84
	; wave barrier
	s_delay_alu instid0(VALU_DEP_1) | instskip(NEXT) | instid1(VALU_DEP_1)
	v_lshrrev_b64 v[90:91], s48, v[84:85]
	v_bitop3_b32 v91, v90, 1, s56 bitop3:0x80
	v_and_b32_e32 v92, s56, v90
	s_delay_alu instid0(VALU_DEP_2) | instskip(NEXT) | instid1(VALU_DEP_1)
	v_add_co_u32 v90, s15, v91, -1
	v_cndmask_b32_e64 v91, 0, 1, s15
	s_delay_alu instid0(VALU_DEP_3) | instskip(NEXT) | instid1(VALU_DEP_2)
	v_lshlrev_b32_e32 v93, 30, v92
	v_cmp_ne_u32_e32 vcc_lo, 0, v91
	s_delay_alu instid0(VALU_DEP_2) | instskip(NEXT) | instid1(VALU_DEP_1)
	v_not_b32_e32 v91, v93
	v_dual_ashrrev_i32 v91, 31, v91 :: v_dual_bitop2_b32 v90, vcc_lo, v90 bitop3:0x14
	v_dual_lshlrev_b32 v94, 29, v92 :: v_dual_lshlrev_b32 v95, 28, v92
	v_dual_lshlrev_b32 v96, 27, v92 :: v_dual_lshlrev_b32 v97, 26, v92
	v_lshlrev_b32_e32 v196, 25, v92
	v_cmp_gt_i32_e64 s15, 0, v93
	s_delay_alu instid0(VALU_DEP_4)
	v_cmp_gt_i32_e64 s16, 0, v94
	v_not_b32_e32 v93, v94
	v_not_b32_e32 v94, v95
	v_lshlrev_b32_e32 v197, 24, v92
	v_cmp_gt_i32_e64 s17, 0, v95
	v_cmp_gt_i32_e64 s18, 0, v96
	v_not_b32_e32 v95, v96
	v_not_b32_e32 v96, v97
	v_dual_ashrrev_i32 v93, 31, v93 :: v_dual_ashrrev_i32 v94, 31, v94
	v_xor_b32_e32 v91, s15, v91
	v_cmp_gt_i32_e64 s19, 0, v97
	v_not_b32_e32 v97, v196
	s_delay_alu instid0(VALU_DEP_4) | instskip(SKIP_1) | instid1(VALU_DEP_3)
	v_dual_ashrrev_i32 v95, 31, v95 :: v_dual_bitop2_b32 v93, s16, v93 bitop3:0x14
	v_dual_ashrrev_i32 v96, 31, v96 :: v_dual_bitop2_b32 v94, s17, v94 bitop3:0x14
	v_ashrrev_i32_e32 v97, 31, v97
	v_bitop3_b32 v90, v90, v91, exec_lo bitop3:0x80
	v_not_b32_e32 v91, v197
	v_cmp_gt_i32_e64 s20, 0, v196
	v_xor_b32_e32 v95, s18, v95
	v_xor_b32_e32 v96, s19, v96
	v_bitop3_b32 v90, v90, v94, v93 bitop3:0x80
	v_cmp_gt_i32_e32 vcc_lo, 0, v197
	v_ashrrev_i32_e32 v91, 31, v91
	v_mad_u32_u24 v93, v92, 36, v148
	v_xor_b32_e32 v94, s20, v97
	v_bitop3_b32 v90, v90, v96, v95 bitop3:0x80
	s_delay_alu instid0(VALU_DEP_4) | instskip(SKIP_3) | instid1(VALU_DEP_2)
	v_xor_b32_e32 v91, vcc_lo, v91
	ds_load_b32 v196, v93 offset:1056
	; wave barrier
	v_bitop3_b32 v90, v90, v91, v94 bitop3:0x80
	v_mul_u32_u24_e32 v91, 36, v92
	v_mbcnt_lo_u32_b32 v197, v90, 0
	v_cmp_ne_u32_e64 s15, 0, v90
	s_delay_alu instid0(VALU_DEP_3) | instskip(NEXT) | instid1(VALU_DEP_3)
	v_add_nc_u32_e32 v198, v148, v91
	v_cmp_eq_u32_e32 vcc_lo, 0, v197
	s_and_b32 s16, s15, vcc_lo
	s_delay_alu instid0(SALU_CYCLE_1)
	s_and_saveexec_b32 s15, s16
	s_cbranch_execz .LBB701_152
; %bb.151:                              ;   in Loop: Header=BB701_96 Depth=2
	s_wait_dscnt 0x0
	v_bcnt_u32_b32 v90, v90, v196
	ds_store_b32 v198, v90 offset:1056
.LBB701_152:                            ;   in Loop: Header=BB701_96 Depth=2
	s_or_b32 exec_lo, exec_lo, s15
	v_xor_b32_e32 v81, 0x7fffffff, v81
	v_not_b32_e32 v80, v80
	; wave barrier
	s_delay_alu instid0(VALU_DEP_1) | instskip(NEXT) | instid1(VALU_DEP_1)
	v_lshrrev_b64 v[90:91], s48, v[80:81]
	v_bitop3_b32 v91, v90, 1, s56 bitop3:0x80
	v_and_b32_e32 v92, s56, v90
	s_delay_alu instid0(VALU_DEP_2) | instskip(NEXT) | instid1(VALU_DEP_1)
	v_add_co_u32 v90, s15, v91, -1
	v_cndmask_b32_e64 v91, 0, 1, s15
	s_delay_alu instid0(VALU_DEP_3) | instskip(NEXT) | instid1(VALU_DEP_2)
	v_lshlrev_b32_e32 v93, 30, v92
	v_cmp_ne_u32_e32 vcc_lo, 0, v91
	s_delay_alu instid0(VALU_DEP_2) | instskip(NEXT) | instid1(VALU_DEP_1)
	v_not_b32_e32 v91, v93
	v_dual_ashrrev_i32 v91, 31, v91 :: v_dual_bitop2_b32 v90, vcc_lo, v90 bitop3:0x14
	v_dual_lshlrev_b32 v94, 29, v92 :: v_dual_lshlrev_b32 v95, 28, v92
	v_dual_lshlrev_b32 v96, 27, v92 :: v_dual_lshlrev_b32 v97, 26, v92
	v_lshlrev_b32_e32 v199, 25, v92
	v_cmp_gt_i32_e64 s15, 0, v93
	s_delay_alu instid0(VALU_DEP_4)
	v_cmp_gt_i32_e64 s16, 0, v94
	v_not_b32_e32 v93, v94
	v_not_b32_e32 v94, v95
	v_lshlrev_b32_e32 v200, 24, v92
	v_cmp_gt_i32_e64 s17, 0, v95
	v_cmp_gt_i32_e64 s18, 0, v96
	v_not_b32_e32 v95, v96
	v_not_b32_e32 v96, v97
	v_dual_ashrrev_i32 v93, 31, v93 :: v_dual_ashrrev_i32 v94, 31, v94
	v_xor_b32_e32 v91, s15, v91
	v_cmp_gt_i32_e64 s19, 0, v97
	v_not_b32_e32 v97, v199
	s_delay_alu instid0(VALU_DEP_4) | instskip(SKIP_1) | instid1(VALU_DEP_3)
	v_dual_ashrrev_i32 v95, 31, v95 :: v_dual_bitop2_b32 v93, s16, v93 bitop3:0x14
	v_dual_ashrrev_i32 v96, 31, v96 :: v_dual_bitop2_b32 v94, s17, v94 bitop3:0x14
	v_ashrrev_i32_e32 v97, 31, v97
	v_bitop3_b32 v90, v90, v91, exec_lo bitop3:0x80
	v_not_b32_e32 v91, v200
	v_cmp_gt_i32_e64 s20, 0, v199
	v_xor_b32_e32 v95, s18, v95
	v_xor_b32_e32 v96, s19, v96
	v_bitop3_b32 v90, v90, v94, v93 bitop3:0x80
	v_cmp_gt_i32_e32 vcc_lo, 0, v200
	v_ashrrev_i32_e32 v91, 31, v91
	v_mad_u32_u24 v93, v92, 36, v148
	v_xor_b32_e32 v94, s20, v97
	v_bitop3_b32 v90, v90, v96, v95 bitop3:0x80
	s_delay_alu instid0(VALU_DEP_4) | instskip(SKIP_3) | instid1(VALU_DEP_2)
	v_xor_b32_e32 v91, vcc_lo, v91
	ds_load_b32 v199, v93 offset:1056
	; wave barrier
	v_bitop3_b32 v90, v90, v91, v94 bitop3:0x80
	v_mul_u32_u24_e32 v91, 36, v92
	v_mbcnt_lo_u32_b32 v200, v90, 0
	v_cmp_ne_u32_e64 s15, 0, v90
	s_delay_alu instid0(VALU_DEP_3) | instskip(NEXT) | instid1(VALU_DEP_3)
	v_add_nc_u32_e32 v202, v148, v91
	v_cmp_eq_u32_e32 vcc_lo, 0, v200
	s_and_b32 s16, s15, vcc_lo
	s_delay_alu instid0(SALU_CYCLE_1)
	s_and_saveexec_b32 s15, s16
	s_cbranch_execz .LBB701_154
; %bb.153:                              ;   in Loop: Header=BB701_96 Depth=2
	s_wait_dscnt 0x0
	v_bcnt_u32_b32 v90, v90, v199
	ds_store_b32 v202, v90 offset:1056
.LBB701_154:                            ;   in Loop: Header=BB701_96 Depth=2
	s_or_b32 exec_lo, exec_lo, s15
	v_xor_b32_e32 v77, 0x7fffffff, v77
	v_not_b32_e32 v76, v76
	; wave barrier
	s_delay_alu instid0(VALU_DEP_1) | instskip(NEXT) | instid1(VALU_DEP_1)
	v_lshrrev_b64 v[90:91], s48, v[76:77]
	v_bitop3_b32 v91, v90, 1, s56 bitop3:0x80
	v_and_b32_e32 v92, s56, v90
	s_delay_alu instid0(VALU_DEP_2) | instskip(NEXT) | instid1(VALU_DEP_1)
	v_add_co_u32 v90, s15, v91, -1
	v_cndmask_b32_e64 v91, 0, 1, s15
	s_delay_alu instid0(VALU_DEP_3) | instskip(NEXT) | instid1(VALU_DEP_2)
	v_lshlrev_b32_e32 v93, 30, v92
	v_cmp_ne_u32_e32 vcc_lo, 0, v91
	s_delay_alu instid0(VALU_DEP_2) | instskip(NEXT) | instid1(VALU_DEP_1)
	v_not_b32_e32 v91, v93
	v_dual_ashrrev_i32 v91, 31, v91 :: v_dual_bitop2_b32 v90, vcc_lo, v90 bitop3:0x14
	v_dual_lshlrev_b32 v94, 29, v92 :: v_dual_lshlrev_b32 v95, 28, v92
	v_dual_lshlrev_b32 v96, 27, v92 :: v_dual_lshlrev_b32 v97, 26, v92
	v_lshlrev_b32_e32 v201, 25, v92
	v_cmp_gt_i32_e64 s15, 0, v93
	s_delay_alu instid0(VALU_DEP_4)
	v_cmp_gt_i32_e64 s16, 0, v94
	v_not_b32_e32 v93, v94
	v_not_b32_e32 v94, v95
	v_lshlrev_b32_e32 v203, 24, v92
	v_cmp_gt_i32_e64 s17, 0, v95
	v_cmp_gt_i32_e64 s18, 0, v96
	v_not_b32_e32 v95, v96
	v_not_b32_e32 v96, v97
	v_dual_ashrrev_i32 v93, 31, v93 :: v_dual_ashrrev_i32 v94, 31, v94
	v_xor_b32_e32 v91, s15, v91
	v_cmp_gt_i32_e64 s19, 0, v97
	v_not_b32_e32 v97, v201
	s_delay_alu instid0(VALU_DEP_4) | instskip(SKIP_1) | instid1(VALU_DEP_3)
	v_dual_ashrrev_i32 v95, 31, v95 :: v_dual_bitop2_b32 v93, s16, v93 bitop3:0x14
	v_dual_ashrrev_i32 v96, 31, v96 :: v_dual_bitop2_b32 v94, s17, v94 bitop3:0x14
	v_ashrrev_i32_e32 v97, 31, v97
	v_bitop3_b32 v90, v90, v91, exec_lo bitop3:0x80
	v_not_b32_e32 v91, v203
	v_cmp_gt_i32_e64 s20, 0, v201
	v_xor_b32_e32 v95, s18, v95
	v_xor_b32_e32 v96, s19, v96
	v_bitop3_b32 v90, v90, v94, v93 bitop3:0x80
	v_cmp_gt_i32_e32 vcc_lo, 0, v203
	v_ashrrev_i32_e32 v91, 31, v91
	v_mad_u32_u24 v93, v92, 36, v148
	v_xor_b32_e32 v94, s20, v97
	v_bitop3_b32 v90, v90, v96, v95 bitop3:0x80
	s_delay_alu instid0(VALU_DEP_4) | instskip(SKIP_3) | instid1(VALU_DEP_2)
	v_xor_b32_e32 v91, vcc_lo, v91
	ds_load_b32 v201, v93 offset:1056
	; wave barrier
	v_bitop3_b32 v90, v90, v91, v94 bitop3:0x80
	v_mul_u32_u24_e32 v91, 36, v92
	v_mbcnt_lo_u32_b32 v203, v90, 0
	v_cmp_ne_u32_e64 s15, 0, v90
	s_delay_alu instid0(VALU_DEP_3) | instskip(NEXT) | instid1(VALU_DEP_3)
	v_add_nc_u32_e32 v205, v148, v91
	v_cmp_eq_u32_e32 vcc_lo, 0, v203
	s_and_b32 s16, s15, vcc_lo
	s_delay_alu instid0(SALU_CYCLE_1)
	s_and_saveexec_b32 s15, s16
	s_cbranch_execz .LBB701_156
; %bb.155:                              ;   in Loop: Header=BB701_96 Depth=2
	s_wait_dscnt 0x0
	v_bcnt_u32_b32 v90, v90, v201
	ds_store_b32 v205, v90 offset:1056
.LBB701_156:                            ;   in Loop: Header=BB701_96 Depth=2
	s_or_b32 exec_lo, exec_lo, s15
	v_xor_b32_e32 v73, 0x7fffffff, v73
	v_not_b32_e32 v72, v72
	; wave barrier
	s_delay_alu instid0(VALU_DEP_1) | instskip(NEXT) | instid1(VALU_DEP_1)
	v_lshrrev_b64 v[90:91], s48, v[72:73]
	v_bitop3_b32 v91, v90, 1, s56 bitop3:0x80
	v_and_b32_e32 v92, s56, v90
	s_delay_alu instid0(VALU_DEP_2) | instskip(NEXT) | instid1(VALU_DEP_1)
	v_add_co_u32 v90, s15, v91, -1
	v_cndmask_b32_e64 v91, 0, 1, s15
	s_delay_alu instid0(VALU_DEP_3) | instskip(NEXT) | instid1(VALU_DEP_2)
	v_lshlrev_b32_e32 v93, 30, v92
	v_cmp_ne_u32_e32 vcc_lo, 0, v91
	s_delay_alu instid0(VALU_DEP_2) | instskip(NEXT) | instid1(VALU_DEP_1)
	v_not_b32_e32 v91, v93
	v_dual_ashrrev_i32 v91, 31, v91 :: v_dual_bitop2_b32 v90, vcc_lo, v90 bitop3:0x14
	v_dual_lshlrev_b32 v94, 29, v92 :: v_dual_lshlrev_b32 v95, 28, v92
	v_dual_lshlrev_b32 v96, 27, v92 :: v_dual_lshlrev_b32 v97, 26, v92
	v_lshlrev_b32_e32 v204, 25, v92
	v_cmp_gt_i32_e64 s15, 0, v93
	s_delay_alu instid0(VALU_DEP_4)
	v_cmp_gt_i32_e64 s16, 0, v94
	v_not_b32_e32 v93, v94
	v_not_b32_e32 v94, v95
	v_lshlrev_b32_e32 v206, 24, v92
	v_cmp_gt_i32_e64 s17, 0, v95
	v_cmp_gt_i32_e64 s18, 0, v96
	v_not_b32_e32 v95, v96
	v_not_b32_e32 v96, v97
	v_dual_ashrrev_i32 v93, 31, v93 :: v_dual_ashrrev_i32 v94, 31, v94
	v_xor_b32_e32 v91, s15, v91
	v_cmp_gt_i32_e64 s19, 0, v97
	v_not_b32_e32 v97, v204
	s_delay_alu instid0(VALU_DEP_4) | instskip(SKIP_1) | instid1(VALU_DEP_3)
	v_dual_ashrrev_i32 v95, 31, v95 :: v_dual_bitop2_b32 v93, s16, v93 bitop3:0x14
	v_dual_ashrrev_i32 v96, 31, v96 :: v_dual_bitop2_b32 v94, s17, v94 bitop3:0x14
	v_ashrrev_i32_e32 v97, 31, v97
	v_bitop3_b32 v90, v90, v91, exec_lo bitop3:0x80
	v_not_b32_e32 v91, v206
	v_cmp_gt_i32_e64 s20, 0, v204
	v_xor_b32_e32 v95, s18, v95
	v_xor_b32_e32 v96, s19, v96
	v_bitop3_b32 v90, v90, v94, v93 bitop3:0x80
	v_cmp_gt_i32_e32 vcc_lo, 0, v206
	v_ashrrev_i32_e32 v91, 31, v91
	v_mad_u32_u24 v93, v92, 36, v148
	v_xor_b32_e32 v94, s20, v97
	v_bitop3_b32 v90, v90, v96, v95 bitop3:0x80
	s_delay_alu instid0(VALU_DEP_4) | instskip(SKIP_3) | instid1(VALU_DEP_2)
	v_xor_b32_e32 v91, vcc_lo, v91
	ds_load_b32 v204, v93 offset:1056
	; wave barrier
	v_bitop3_b32 v90, v90, v91, v94 bitop3:0x80
	v_mul_u32_u24_e32 v91, 36, v92
	v_mbcnt_lo_u32_b32 v206, v90, 0
	v_cmp_ne_u32_e64 s15, 0, v90
	s_delay_alu instid0(VALU_DEP_3) | instskip(NEXT) | instid1(VALU_DEP_3)
	v_add_nc_u32_e32 v209, v148, v91
	v_cmp_eq_u32_e32 vcc_lo, 0, v206
	s_and_b32 s16, s15, vcc_lo
	s_delay_alu instid0(SALU_CYCLE_1)
	s_and_saveexec_b32 s15, s16
	s_cbranch_execz .LBB701_158
; %bb.157:                              ;   in Loop: Header=BB701_96 Depth=2
	s_wait_dscnt 0x0
	v_bcnt_u32_b32 v90, v90, v204
	ds_store_b32 v209, v90 offset:1056
.LBB701_158:                            ;   in Loop: Header=BB701_96 Depth=2
	s_or_b32 exec_lo, exec_lo, s15
	v_xor_b32_e32 v69, 0x7fffffff, v69
	v_not_b32_e32 v68, v68
	; wave barrier
	s_delay_alu instid0(VALU_DEP_1) | instskip(NEXT) | instid1(VALU_DEP_1)
	v_lshrrev_b64 v[90:91], s48, v[68:69]
	v_bitop3_b32 v91, v90, 1, s56 bitop3:0x80
	v_and_b32_e32 v92, s56, v90
	s_delay_alu instid0(VALU_DEP_2) | instskip(NEXT) | instid1(VALU_DEP_1)
	v_add_co_u32 v90, s15, v91, -1
	v_cndmask_b32_e64 v91, 0, 1, s15
	s_delay_alu instid0(VALU_DEP_3) | instskip(NEXT) | instid1(VALU_DEP_2)
	v_lshlrev_b32_e32 v93, 30, v92
	v_cmp_ne_u32_e32 vcc_lo, 0, v91
	s_delay_alu instid0(VALU_DEP_2) | instskip(NEXT) | instid1(VALU_DEP_1)
	v_not_b32_e32 v91, v93
	v_dual_ashrrev_i32 v91, 31, v91 :: v_dual_bitop2_b32 v90, vcc_lo, v90 bitop3:0x14
	v_dual_lshlrev_b32 v94, 29, v92 :: v_dual_lshlrev_b32 v95, 28, v92
	v_dual_lshlrev_b32 v96, 27, v92 :: v_dual_lshlrev_b32 v97, 26, v92
	v_lshlrev_b32_e32 v207, 25, v92
	v_cmp_gt_i32_e64 s15, 0, v93
	s_delay_alu instid0(VALU_DEP_4)
	v_cmp_gt_i32_e64 s16, 0, v94
	v_not_b32_e32 v93, v94
	v_not_b32_e32 v94, v95
	v_lshlrev_b32_e32 v208, 24, v92
	v_cmp_gt_i32_e64 s17, 0, v95
	v_cmp_gt_i32_e64 s18, 0, v96
	v_not_b32_e32 v95, v96
	v_not_b32_e32 v96, v97
	v_dual_ashrrev_i32 v93, 31, v93 :: v_dual_ashrrev_i32 v94, 31, v94
	v_xor_b32_e32 v91, s15, v91
	v_cmp_gt_i32_e64 s19, 0, v97
	v_not_b32_e32 v97, v207
	s_delay_alu instid0(VALU_DEP_4) | instskip(SKIP_1) | instid1(VALU_DEP_3)
	v_dual_ashrrev_i32 v95, 31, v95 :: v_dual_bitop2_b32 v93, s16, v93 bitop3:0x14
	v_dual_ashrrev_i32 v96, 31, v96 :: v_dual_bitop2_b32 v94, s17, v94 bitop3:0x14
	v_ashrrev_i32_e32 v97, 31, v97
	v_bitop3_b32 v90, v90, v91, exec_lo bitop3:0x80
	v_not_b32_e32 v91, v208
	v_cmp_gt_i32_e64 s20, 0, v207
	v_xor_b32_e32 v95, s18, v95
	v_xor_b32_e32 v96, s19, v96
	v_bitop3_b32 v90, v90, v94, v93 bitop3:0x80
	v_cmp_gt_i32_e32 vcc_lo, 0, v208
	v_ashrrev_i32_e32 v91, 31, v91
	v_mad_u32_u24 v93, v92, 36, v148
	v_xor_b32_e32 v94, s20, v97
	v_bitop3_b32 v90, v90, v96, v95 bitop3:0x80
	s_delay_alu instid0(VALU_DEP_4) | instskip(SKIP_3) | instid1(VALU_DEP_2)
	v_xor_b32_e32 v91, vcc_lo, v91
	ds_load_b32 v207, v93 offset:1056
	; wave barrier
	v_bitop3_b32 v90, v90, v91, v94 bitop3:0x80
	v_mul_u32_u24_e32 v91, 36, v92
	v_mbcnt_lo_u32_b32 v208, v90, 0
	v_cmp_ne_u32_e64 s15, 0, v90
	s_delay_alu instid0(VALU_DEP_3) | instskip(NEXT) | instid1(VALU_DEP_3)
	v_add_nc_u32_e32 v212, v148, v91
	v_cmp_eq_u32_e32 vcc_lo, 0, v208
	s_and_b32 s16, s15, vcc_lo
	s_delay_alu instid0(SALU_CYCLE_1)
	s_and_saveexec_b32 s15, s16
	s_cbranch_execz .LBB701_160
; %bb.159:                              ;   in Loop: Header=BB701_96 Depth=2
	s_wait_dscnt 0x0
	v_bcnt_u32_b32 v90, v90, v207
	ds_store_b32 v212, v90 offset:1056
.LBB701_160:                            ;   in Loop: Header=BB701_96 Depth=2
	s_or_b32 exec_lo, exec_lo, s15
	v_xor_b32_e32 v67, 0x7fffffff, v67
	v_not_b32_e32 v66, v66
	; wave barrier
	s_delay_alu instid0(VALU_DEP_1) | instskip(NEXT) | instid1(VALU_DEP_1)
	v_lshrrev_b64 v[90:91], s48, v[66:67]
	v_bitop3_b32 v91, v90, 1, s56 bitop3:0x80
	v_and_b32_e32 v92, s56, v90
	s_delay_alu instid0(VALU_DEP_2) | instskip(NEXT) | instid1(VALU_DEP_1)
	v_add_co_u32 v90, s15, v91, -1
	v_cndmask_b32_e64 v91, 0, 1, s15
	s_delay_alu instid0(VALU_DEP_3) | instskip(NEXT) | instid1(VALU_DEP_2)
	v_lshlrev_b32_e32 v93, 30, v92
	v_cmp_ne_u32_e32 vcc_lo, 0, v91
	s_delay_alu instid0(VALU_DEP_2) | instskip(NEXT) | instid1(VALU_DEP_1)
	v_not_b32_e32 v91, v93
	v_dual_ashrrev_i32 v91, 31, v91 :: v_dual_bitop2_b32 v90, vcc_lo, v90 bitop3:0x14
	v_dual_lshlrev_b32 v94, 29, v92 :: v_dual_lshlrev_b32 v95, 28, v92
	v_dual_lshlrev_b32 v96, 27, v92 :: v_dual_lshlrev_b32 v97, 26, v92
	v_lshlrev_b32_e32 v210, 25, v92
	v_cmp_gt_i32_e64 s15, 0, v93
	s_delay_alu instid0(VALU_DEP_4)
	v_cmp_gt_i32_e64 s16, 0, v94
	v_not_b32_e32 v93, v94
	v_not_b32_e32 v94, v95
	v_lshlrev_b32_e32 v211, 24, v92
	v_cmp_gt_i32_e64 s17, 0, v95
	v_cmp_gt_i32_e64 s18, 0, v96
	v_not_b32_e32 v95, v96
	v_not_b32_e32 v96, v97
	v_dual_ashrrev_i32 v93, 31, v93 :: v_dual_ashrrev_i32 v94, 31, v94
	v_xor_b32_e32 v91, s15, v91
	v_cmp_gt_i32_e64 s19, 0, v97
	v_not_b32_e32 v97, v210
	s_delay_alu instid0(VALU_DEP_4) | instskip(SKIP_1) | instid1(VALU_DEP_3)
	v_dual_ashrrev_i32 v95, 31, v95 :: v_dual_bitop2_b32 v93, s16, v93 bitop3:0x14
	v_dual_ashrrev_i32 v96, 31, v96 :: v_dual_bitop2_b32 v94, s17, v94 bitop3:0x14
	v_ashrrev_i32_e32 v97, 31, v97
	v_bitop3_b32 v90, v90, v91, exec_lo bitop3:0x80
	v_not_b32_e32 v91, v211
	v_cmp_gt_i32_e64 s20, 0, v210
	v_xor_b32_e32 v95, s18, v95
	v_xor_b32_e32 v96, s19, v96
	v_bitop3_b32 v90, v90, v94, v93 bitop3:0x80
	v_cmp_gt_i32_e32 vcc_lo, 0, v211
	v_ashrrev_i32_e32 v91, 31, v91
	v_mad_u32_u24 v93, v92, 36, v148
	v_xor_b32_e32 v94, s20, v97
	v_bitop3_b32 v90, v90, v96, v95 bitop3:0x80
	s_delay_alu instid0(VALU_DEP_4) | instskip(SKIP_3) | instid1(VALU_DEP_2)
	v_xor_b32_e32 v91, vcc_lo, v91
	ds_load_b32 v210, v93 offset:1056
	; wave barrier
	v_bitop3_b32 v90, v90, v91, v94 bitop3:0x80
	v_mul_u32_u24_e32 v91, 36, v92
	v_mbcnt_lo_u32_b32 v211, v90, 0
	v_cmp_ne_u32_e64 s15, 0, v90
	s_delay_alu instid0(VALU_DEP_3) | instskip(NEXT) | instid1(VALU_DEP_3)
	v_add_nc_u32_e32 v215, v148, v91
	v_cmp_eq_u32_e32 vcc_lo, 0, v211
	s_and_b32 s16, s15, vcc_lo
	s_delay_alu instid0(SALU_CYCLE_1)
	s_and_saveexec_b32 s15, s16
	s_cbranch_execz .LBB701_162
; %bb.161:                              ;   in Loop: Header=BB701_96 Depth=2
	s_wait_dscnt 0x0
	v_bcnt_u32_b32 v90, v90, v210
	ds_store_b32 v215, v90 offset:1056
.LBB701_162:                            ;   in Loop: Header=BB701_96 Depth=2
	s_or_b32 exec_lo, exec_lo, s15
	v_lshrrev_b64 v[90:91], s48, v[58:59]
	; wave barrier
	s_delay_alu instid0(VALU_DEP_1) | instskip(SKIP_1) | instid1(VALU_DEP_2)
	v_bitop3_b32 v91, v90, 1, s56 bitop3:0x80
	v_and_b32_e32 v92, s56, v90
	v_add_co_u32 v90, s15, v91, -1
	s_delay_alu instid0(VALU_DEP_1) | instskip(NEXT) | instid1(VALU_DEP_3)
	v_cndmask_b32_e64 v91, 0, 1, s15
	v_lshlrev_b32_e32 v93, 30, v92
	s_delay_alu instid0(VALU_DEP_2) | instskip(NEXT) | instid1(VALU_DEP_2)
	v_cmp_ne_u32_e32 vcc_lo, 0, v91
	v_not_b32_e32 v91, v93
	s_delay_alu instid0(VALU_DEP_1) | instskip(SKIP_4) | instid1(VALU_DEP_4)
	v_dual_ashrrev_i32 v91, 31, v91 :: v_dual_bitop2_b32 v90, vcc_lo, v90 bitop3:0x14
	v_dual_lshlrev_b32 v94, 29, v92 :: v_dual_lshlrev_b32 v95, 28, v92
	v_dual_lshlrev_b32 v96, 27, v92 :: v_dual_lshlrev_b32 v97, 26, v92
	v_lshlrev_b32_e32 v213, 25, v92
	v_cmp_gt_i32_e64 s15, 0, v93
	v_cmp_gt_i32_e64 s16, 0, v94
	v_not_b32_e32 v93, v94
	v_not_b32_e32 v94, v95
	v_lshlrev_b32_e32 v214, 24, v92
	v_cmp_gt_i32_e64 s17, 0, v95
	v_cmp_gt_i32_e64 s18, 0, v96
	v_not_b32_e32 v95, v96
	v_dual_ashrrev_i32 v93, 31, v93 :: v_dual_ashrrev_i32 v94, 31, v94
	v_xor_b32_e32 v91, s15, v91
	v_not_b32_e32 v96, v97
	v_cmp_gt_i32_e64 s19, 0, v97
	s_delay_alu instid0(VALU_DEP_4)
	v_dual_ashrrev_i32 v95, 31, v95 :: v_dual_bitop2_b32 v93, s16, v93 bitop3:0x14
	v_xor_b32_e32 v94, s17, v94
	v_bitop3_b32 v90, v90, v91, exec_lo bitop3:0x80
	v_ashrrev_i32_e32 v91, 31, v96
	v_not_b32_e32 v96, v213
	v_not_b32_e32 v97, v214
	v_xor_b32_e32 v95, s18, v95
	v_bitop3_b32 v90, v90, v94, v93 bitop3:0x80
	v_xor_b32_e32 v91, s19, v91
	v_cmp_gt_i32_e32 vcc_lo, 0, v213
	v_ashrrev_i32_e32 v93, 31, v96
	v_cmp_gt_i32_e64 s15, 0, v214
	v_ashrrev_i32_e32 v94, 31, v97
	v_mad_u32_u24 v96, v92, 36, v148
	v_bitop3_b32 v90, v90, v91, v95 bitop3:0x80
	v_xor_b32_e32 v91, vcc_lo, v93
	s_delay_alu instid0(VALU_DEP_4) | instskip(SKIP_3) | instid1(VALU_DEP_2)
	v_xor_b32_e32 v93, s15, v94
	ds_load_b32 v213, v96 offset:1056
	; wave barrier
	v_bitop3_b32 v90, v90, v93, v91 bitop3:0x80
	v_mul_u32_u24_e32 v91, 36, v92
	v_mbcnt_lo_u32_b32 v214, v90, 0
	v_cmp_ne_u32_e64 s15, 0, v90
	s_delay_alu instid0(VALU_DEP_3) | instskip(NEXT) | instid1(VALU_DEP_3)
	v_add_nc_u32_e32 v216, v148, v91
	v_cmp_eq_u32_e32 vcc_lo, 0, v214
	s_and_b32 s16, s15, vcc_lo
	s_delay_alu instid0(SALU_CYCLE_1)
	s_and_saveexec_b32 s15, s16
	s_cbranch_execz .LBB701_164
; %bb.163:                              ;   in Loop: Header=BB701_96 Depth=2
	s_wait_dscnt 0x0
	v_bcnt_u32_b32 v90, v90, v213
	ds_store_b32 v216, v90 offset:1056
.LBB701_164:                            ;   in Loop: Header=BB701_96 Depth=2
	s_or_b32 exec_lo, exec_lo, s15
	; wave barrier
	s_wait_dscnt 0x0
	s_barrier_signal -1
	s_barrier_wait -1
	ds_load_2addr_b32 v[96:97], v168 offset1:1
	ds_load_2addr_b32 v[94:95], v169 offset1:1
	;; [unrolled: 1-line block ×4, first 2 shown]
	ds_load_b32 v217, v120 offset:1088
	s_wait_dscnt 0x3
	v_add3_u32 v218, v97, v96, v94
	s_wait_dscnt 0x2
	s_delay_alu instid0(VALU_DEP_1) | instskip(SKIP_1) | instid1(VALU_DEP_1)
	v_add3_u32 v218, v218, v95, v92
	s_wait_dscnt 0x1
	v_add3_u32 v218, v218, v93, v90
	s_wait_dscnt 0x0
	s_delay_alu instid0(VALU_DEP_1) | instskip(NEXT) | instid1(VALU_DEP_1)
	v_add3_u32 v217, v218, v91, v217
	v_mov_b32_dpp v218, v217 row_shr:1 row_mask:0xf bank_mask:0xf
	s_delay_alu instid0(VALU_DEP_1) | instskip(NEXT) | instid1(VALU_DEP_1)
	v_cndmask_b32_e64 v218, v218, 0, s7
	v_add_nc_u32_e32 v217, v218, v217
	s_delay_alu instid0(VALU_DEP_1) | instskip(NEXT) | instid1(VALU_DEP_1)
	v_mov_b32_dpp v218, v217 row_shr:2 row_mask:0xf bank_mask:0xf
	v_cndmask_b32_e64 v218, 0, v218, s8
	s_delay_alu instid0(VALU_DEP_1) | instskip(NEXT) | instid1(VALU_DEP_1)
	v_add_nc_u32_e32 v217, v217, v218
	v_mov_b32_dpp v218, v217 row_shr:4 row_mask:0xf bank_mask:0xf
	s_delay_alu instid0(VALU_DEP_1) | instskip(NEXT) | instid1(VALU_DEP_1)
	v_cndmask_b32_e64 v218, 0, v218, s9
	v_add_nc_u32_e32 v217, v217, v218
	s_delay_alu instid0(VALU_DEP_1) | instskip(NEXT) | instid1(VALU_DEP_1)
	v_mov_b32_dpp v218, v217 row_shr:8 row_mask:0xf bank_mask:0xf
	v_cndmask_b32_e64 v218, 0, v218, s10
	s_delay_alu instid0(VALU_DEP_1) | instskip(SKIP_3) | instid1(VALU_DEP_1)
	v_add_nc_u32_e32 v217, v217, v218
	ds_swizzle_b32 v218, v217 offset:swizzle(BROADCAST,32,15)
	s_wait_dscnt 0x0
	v_cndmask_b32_e64 v218, v218, 0, s11
	v_add_nc_u32_e32 v217, v217, v218
	s_and_saveexec_b32 s15, s1
; %bb.165:                              ;   in Loop: Header=BB701_96 Depth=2
	ds_store_b32 v114, v217 offset:1024
; %bb.166:                              ;   in Loop: Header=BB701_96 Depth=2
	s_or_b32 exec_lo, exec_lo, s15
	s_wait_dscnt 0x0
	s_barrier_signal -1
	s_barrier_wait -1
	s_and_saveexec_b32 s15, s4
	s_cbranch_execz .LBB701_168
; %bb.167:                              ;   in Loop: Header=BB701_96 Depth=2
	ds_load_b32 v218, v122 offset:1024
	s_wait_dscnt 0x0
	v_mov_b32_dpp v219, v218 row_shr:1 row_mask:0xf bank_mask:0xf
	s_delay_alu instid0(VALU_DEP_1) | instskip(NEXT) | instid1(VALU_DEP_1)
	v_cndmask_b32_e64 v219, v219, 0, s12
	v_add_nc_u32_e32 v218, v219, v218
	s_delay_alu instid0(VALU_DEP_1) | instskip(NEXT) | instid1(VALU_DEP_1)
	v_mov_b32_dpp v219, v218 row_shr:2 row_mask:0xf bank_mask:0xf
	v_cndmask_b32_e64 v219, 0, v219, s13
	s_delay_alu instid0(VALU_DEP_1) | instskip(NEXT) | instid1(VALU_DEP_1)
	v_add_nc_u32_e32 v218, v218, v219
	v_mov_b32_dpp v219, v218 row_shr:4 row_mask:0xf bank_mask:0xf
	s_delay_alu instid0(VALU_DEP_1) | instskip(NEXT) | instid1(VALU_DEP_1)
	v_cndmask_b32_e64 v219, 0, v219, s14
	v_add_nc_u32_e32 v218, v218, v219
	ds_store_b32 v122, v218 offset:1024
.LBB701_168:                            ;   in Loop: Header=BB701_96 Depth=2
	s_or_b32 exec_lo, exec_lo, s15
	v_mov_b32_e32 v218, 0
	s_wait_dscnt 0x0
	s_barrier_signal -1
	s_barrier_wait -1
	s_and_saveexec_b32 s15, s5
; %bb.169:                              ;   in Loop: Header=BB701_96 Depth=2
	ds_load_b32 v218, v114 offset:1020
; %bb.170:                              ;   in Loop: Header=BB701_96 Depth=2
	s_or_b32 exec_lo, exec_lo, s15
	s_wait_dscnt 0x0
	v_add_nc_u32_e32 v217, v218, v217
	ds_bpermute_b32 v217, v147, v217
	s_wait_dscnt 0x0
	v_cndmask_b32_e64 v217, v217, v218, s6
	s_delay_alu instid0(VALU_DEP_1) | instskip(NEXT) | instid1(VALU_DEP_1)
	v_cndmask_b32_e64 v217, v217, 0, s2
	v_add_nc_u32_e32 v96, v217, v96
	s_delay_alu instid0(VALU_DEP_1) | instskip(NEXT) | instid1(VALU_DEP_1)
	v_add_nc_u32_e32 v97, v96, v97
	v_add_nc_u32_e32 v94, v97, v94
	s_delay_alu instid0(VALU_DEP_1) | instskip(NEXT) | instid1(VALU_DEP_1)
	v_add_nc_u32_e32 v95, v94, v95
	;; [unrolled: 3-line block ×3, first 2 shown]
	v_add_nc_u32_e32 v90, v93, v90
	s_delay_alu instid0(VALU_DEP_1)
	v_add_nc_u32_e32 v91, v90, v91
	ds_store_2addr_b32 v167, v93, v90 offset1:1
	ds_store_2addr_b32 v168, v217, v96 offset1:1
	;; [unrolled: 1-line block ×4, first 2 shown]
	ds_store_b32 v120, v91 offset:1088
	s_wait_dscnt 0x0
	s_barrier_signal -1
	s_barrier_wait -1
	ds_load_b32 v91, v171 offset:1056
	ds_load_b32 v218, v174 offset:1056
	;; [unrolled: 1-line block ×17, first 2 shown]
	v_mov_b32_e32 v90, 0x1000
	s_and_saveexec_b32 s15, s3
; %bb.171:                              ;   in Loop: Header=BB701_96 Depth=2
	ds_load_b32 v90, v120 offset:1092
; %bb.172:                              ;   in Loop: Header=BB701_96 Depth=2
	s_or_b32 exec_lo, exec_lo, s15
	s_wait_dscnt 0x0
	s_barrier_signal -1
	s_barrier_wait -1
	s_and_saveexec_b32 s15, s0
	s_cbranch_execz .LBB701_174
; %bb.173:                              ;   in Loop: Header=BB701_96 Depth=2
	ds_load_b32 v183, v3
	s_wait_dscnt 0x0
	v_sub_nc_u32_e32 v180, v183, v180
	ds_store_b32 v3, v180
.LBB701_174:                            ;   in Loop: Header=BB701_96 Depth=2
	s_or_b32 exec_lo, exec_lo, s15
	v_dual_lshlrev_b32 v166, 3, v166 :: v_dual_lshlrev_b32 v173, 3, v173
	v_dual_lshlrev_b32 v172, 3, v172 :: v_dual_lshlrev_b32 v180, 3, v218
	v_lshlrev_b32_e32 v176, 3, v176
	s_delay_alu instid0(VALU_DEP_3)
	v_lshl_add_u32 v91, v91, 3, v166
	v_dual_lshlrev_b32 v166, 3, v175 :: v_dual_lshlrev_b32 v175, 3, v217
	v_dual_lshlrev_b32 v179, 3, v179 :: v_dual_lshlrev_b32 v178, 3, v178
	;; [unrolled: 1-line block ×5, first 2 shown]
	v_lshlrev_b32_e32 v185, 3, v92
	ds_store_b64 v91, v[60:61] offset:1024
	v_add3_u32 v60, v173, v172, v180
	v_add3_u32 v61, v176, v166, v175
	;; [unrolled: 1-line block ×5, first 2 shown]
	ds_store_b64 v60, v[62:63] offset:1024
	ds_store_b64 v61, v[64:65] offset:1024
	;; [unrolled: 1-line block ×5, first 2 shown]
	v_dual_lshlrev_b32 v62, 3, v188 :: v_dual_lshlrev_b32 v65, 3, v191
	v_dual_lshlrev_b32 v63, 3, v187 :: v_dual_lshlrev_b32 v64, 3, v177
	;; [unrolled: 1-line block ×7, first 2 shown]
	v_lshlrev_b32_e32 v169, 3, v169
	v_add3_u32 v62, v62, v63, v64
	v_add3_u32 v63, v65, v70, v71
	;; [unrolled: 1-line block ×4, first 2 shown]
	v_lshlrev_b32_e32 v71, 3, v203
	v_add3_u32 v70, v171, v172, v169
	ds_store_b64 v62, v[82:83] offset:1024
	ds_store_b64 v63, v[86:87] offset:1024
	;; [unrolled: 1-line block ×5, first 2 shown]
	v_dual_lshlrev_b32 v74, 3, v201 :: v_dual_lshlrev_b32 v75, 3, v168
	v_dual_lshlrev_b32 v78, 3, v206 :: v_dual_lshlrev_b32 v79, 3, v204
	;; [unrolled: 1-line block ×7, first 2 shown]
	v_add3_u32 v71, v71, v74, v75
	v_add3_u32 v74, v78, v79, v80
	;; [unrolled: 1-line block ×5, first 2 shown]
	v_cmp_lt_u32_e32 vcc_lo, v2, v165
	ds_store_b64 v71, v[76:77] offset:1024
	ds_store_b64 v74, v[72:73] offset:1024
	ds_store_b64 v75, v[68:69] offset:1024
	ds_store_b64 v78, v[66:67] offset:1024
	ds_store_b64 v79, v[58:59] offset:1024
	s_wait_dscnt 0x0
	s_barrier_signal -1
	s_barrier_wait -1
	s_and_saveexec_b32 s15, vcc_lo
	s_cbranch_execnz .LBB701_243
; %bb.175:                              ;   in Loop: Header=BB701_96 Depth=2
	s_or_b32 exec_lo, exec_lo, s15
	v_cmp_lt_u32_e64 s15, v98, v165
	s_and_saveexec_b32 s16, s15
	s_cbranch_execnz .LBB701_244
.LBB701_176:                            ;   in Loop: Header=BB701_96 Depth=2
	s_or_b32 exec_lo, exec_lo, s16
	v_cmp_lt_u32_e64 s16, v99, v165
	s_and_saveexec_b32 s17, s16
	s_cbranch_execnz .LBB701_245
.LBB701_177:                            ;   in Loop: Header=BB701_96 Depth=2
	s_or_b32 exec_lo, exec_lo, s17
	v_cmp_lt_u32_e64 s17, v100, v165
	s_and_saveexec_b32 s18, s17
	s_cbranch_execnz .LBB701_246
.LBB701_178:                            ;   in Loop: Header=BB701_96 Depth=2
	s_or_b32 exec_lo, exec_lo, s18
	v_cmp_lt_u32_e64 s18, v101, v165
	s_and_saveexec_b32 s19, s18
	s_cbranch_execnz .LBB701_247
.LBB701_179:                            ;   in Loop: Header=BB701_96 Depth=2
	s_or_b32 exec_lo, exec_lo, s19
	v_cmp_lt_u32_e64 s19, v102, v165
	s_and_saveexec_b32 s20, s19
	s_cbranch_execnz .LBB701_248
.LBB701_180:                            ;   in Loop: Header=BB701_96 Depth=2
	s_or_b32 exec_lo, exec_lo, s20
	v_cmp_lt_u32_e64 s20, v103, v165
	s_and_saveexec_b32 s21, s20
	s_cbranch_execnz .LBB701_249
.LBB701_181:                            ;   in Loop: Header=BB701_96 Depth=2
	s_or_b32 exec_lo, exec_lo, s21
	v_cmp_lt_u32_e64 s21, v104, v165
	s_and_saveexec_b32 s22, s21
	s_cbranch_execnz .LBB701_250
.LBB701_182:                            ;   in Loop: Header=BB701_96 Depth=2
	s_or_b32 exec_lo, exec_lo, s22
	v_cmp_lt_u32_e64 s22, v105, v165
	s_and_saveexec_b32 s23, s22
	s_cbranch_execnz .LBB701_251
.LBB701_183:                            ;   in Loop: Header=BB701_96 Depth=2
	s_or_b32 exec_lo, exec_lo, s23
	v_cmp_lt_u32_e64 s23, v106, v165
	s_and_saveexec_b32 s24, s23
	s_cbranch_execnz .LBB701_252
.LBB701_184:                            ;   in Loop: Header=BB701_96 Depth=2
	s_or_b32 exec_lo, exec_lo, s24
	v_cmp_lt_u32_e64 s24, v107, v165
	s_and_saveexec_b32 s25, s24
	s_cbranch_execnz .LBB701_253
.LBB701_185:                            ;   in Loop: Header=BB701_96 Depth=2
	s_or_b32 exec_lo, exec_lo, s25
	v_cmp_lt_u32_e64 s25, v108, v165
	s_and_saveexec_b32 s26, s25
	s_cbranch_execnz .LBB701_254
.LBB701_186:                            ;   in Loop: Header=BB701_96 Depth=2
	s_or_b32 exec_lo, exec_lo, s26
	v_cmp_lt_u32_e64 s26, v109, v165
	s_and_saveexec_b32 s27, s26
	s_cbranch_execnz .LBB701_255
.LBB701_187:                            ;   in Loop: Header=BB701_96 Depth=2
	s_or_b32 exec_lo, exec_lo, s27
	v_cmp_lt_u32_e64 s27, v110, v165
	s_and_saveexec_b32 s28, s27
	s_cbranch_execnz .LBB701_256
.LBB701_188:                            ;   in Loop: Header=BB701_96 Depth=2
	s_or_b32 exec_lo, exec_lo, s28
	v_cmp_lt_u32_e64 s28, v111, v165
	s_and_saveexec_b32 s29, s28
	s_cbranch_execnz .LBB701_257
.LBB701_189:                            ;   in Loop: Header=BB701_96 Depth=2
	s_or_b32 exec_lo, exec_lo, s29
	v_cmp_lt_u32_e64 s29, v112, v165
	s_and_saveexec_b32 s59, s29
	s_cbranch_execz .LBB701_191
.LBB701_190:                            ;   in Loop: Header=BB701_96 Depth=2
	ds_load_b64 v[58:59], v123 offset:31744
	s_wait_dscnt 0x0
	v_lshrrev_b64 v[66:67], s48, v[58:59]
	v_xor_b32_e32 v59, 0x7fffffff, v59
	v_not_b32_e32 v58, v58
	s_delay_alu instid0(VALU_DEP_3) | instskip(NEXT) | instid1(VALU_DEP_1)
	v_and_b32_e32 v66, s56, v66
	v_lshlrev_b32_e32 v66, 2, v66
	ds_load_b32 v66, v66
	s_wait_dscnt 0x0
	v_add_nc_u32_e32 v66, v66, v112
	global_store_b64 v66, v[58:59], s[38:39] scale_offset
.LBB701_191:                            ;   in Loop: Header=BB701_96 Depth=2
	s_wait_xcnt 0x0
	s_or_b32 exec_lo, exec_lo, s59
	v_lshl_add_u64 v[58:59], s[30:31], 3, v[22:23]
	v_cmp_lt_u32_e64 s30, v129, v165
	s_and_saveexec_b32 s59, s30
	s_delay_alu instid0(SALU_CYCLE_1)
	s_xor_b32 s30, exec_lo, s59
	s_cbranch_execnz .LBB701_258
; %bb.192:                              ;   in Loop: Header=BB701_96 Depth=2
	s_or_b32 exec_lo, exec_lo, s30
	s_delay_alu instid0(SALU_CYCLE_1)
	s_mov_b32 s59, exec_lo
	v_cmpx_lt_u32_e64 v132, v165
	s_cbranch_execnz .LBB701_259
.LBB701_193:                            ;   in Loop: Header=BB701_96 Depth=2
	s_or_b32 exec_lo, exec_lo, s59
	s_delay_alu instid0(SALU_CYCLE_1)
	s_mov_b32 s59, exec_lo
	v_cmpx_lt_u32_e64 v133, v165
	s_cbranch_execnz .LBB701_260
.LBB701_194:                            ;   in Loop: Header=BB701_96 Depth=2
	s_or_b32 exec_lo, exec_lo, s59
	s_delay_alu instid0(SALU_CYCLE_1)
	s_mov_b32 s59, exec_lo
	v_cmpx_lt_u32_e64 v134, v165
	s_cbranch_execnz .LBB701_261
.LBB701_195:                            ;   in Loop: Header=BB701_96 Depth=2
	s_or_b32 exec_lo, exec_lo, s59
	s_delay_alu instid0(SALU_CYCLE_1)
	s_mov_b32 s59, exec_lo
	v_cmpx_lt_u32_e64 v135, v165
	s_cbranch_execnz .LBB701_262
.LBB701_196:                            ;   in Loop: Header=BB701_96 Depth=2
	s_or_b32 exec_lo, exec_lo, s59
	s_delay_alu instid0(SALU_CYCLE_1)
	s_mov_b32 s59, exec_lo
	v_cmpx_lt_u32_e64 v136, v165
	s_cbranch_execnz .LBB701_263
.LBB701_197:                            ;   in Loop: Header=BB701_96 Depth=2
	s_or_b32 exec_lo, exec_lo, s59
	s_delay_alu instid0(SALU_CYCLE_1)
	s_mov_b32 s59, exec_lo
	v_cmpx_lt_u32_e64 v137, v165
	s_cbranch_execnz .LBB701_264
.LBB701_198:                            ;   in Loop: Header=BB701_96 Depth=2
	s_or_b32 exec_lo, exec_lo, s59
	s_delay_alu instid0(SALU_CYCLE_1)
	s_mov_b32 s59, exec_lo
	v_cmpx_lt_u32_e64 v138, v165
	s_cbranch_execnz .LBB701_265
.LBB701_199:                            ;   in Loop: Header=BB701_96 Depth=2
	s_or_b32 exec_lo, exec_lo, s59
	s_delay_alu instid0(SALU_CYCLE_1)
	s_mov_b32 s59, exec_lo
	v_cmpx_lt_u32_e64 v139, v165
	s_cbranch_execnz .LBB701_266
.LBB701_200:                            ;   in Loop: Header=BB701_96 Depth=2
	s_or_b32 exec_lo, exec_lo, s59
	s_delay_alu instid0(SALU_CYCLE_1)
	s_mov_b32 s59, exec_lo
	v_cmpx_lt_u32_e64 v140, v165
	s_cbranch_execnz .LBB701_267
.LBB701_201:                            ;   in Loop: Header=BB701_96 Depth=2
	s_or_b32 exec_lo, exec_lo, s59
	s_delay_alu instid0(SALU_CYCLE_1)
	s_mov_b32 s59, exec_lo
	v_cmpx_lt_u32_e64 v141, v165
	s_cbranch_execnz .LBB701_268
.LBB701_202:                            ;   in Loop: Header=BB701_96 Depth=2
	s_or_b32 exec_lo, exec_lo, s59
	s_delay_alu instid0(SALU_CYCLE_1)
	s_mov_b32 s59, exec_lo
	v_cmpx_lt_u32_e64 v142, v165
	s_cbranch_execnz .LBB701_269
.LBB701_203:                            ;   in Loop: Header=BB701_96 Depth=2
	s_or_b32 exec_lo, exec_lo, s59
	s_delay_alu instid0(SALU_CYCLE_1)
	s_mov_b32 s59, exec_lo
	v_cmpx_lt_u32_e64 v143, v165
	s_cbranch_execnz .LBB701_270
.LBB701_204:                            ;   in Loop: Header=BB701_96 Depth=2
	s_or_b32 exec_lo, exec_lo, s59
	s_delay_alu instid0(SALU_CYCLE_1)
	s_mov_b32 s59, exec_lo
	v_cmpx_lt_u32_e64 v144, v165
	s_cbranch_execnz .LBB701_271
.LBB701_205:                            ;   in Loop: Header=BB701_96 Depth=2
	s_or_b32 exec_lo, exec_lo, s59
	s_delay_alu instid0(SALU_CYCLE_1)
	s_mov_b32 s59, exec_lo
	v_cmpx_lt_u32_e64 v145, v165
	s_cbranch_execnz .LBB701_272
.LBB701_206:                            ;   in Loop: Header=BB701_96 Depth=2
	s_or_b32 exec_lo, exec_lo, s59
	s_delay_alu instid0(SALU_CYCLE_1)
	s_mov_b32 s59, exec_lo
	v_cmpx_lt_u32_e64 v146, v165
	s_cbranch_execnz .LBB701_273
.LBB701_207:                            ;   in Loop: Header=BB701_96 Depth=2
	s_or_b32 exec_lo, exec_lo, s59
	s_and_saveexec_b32 s30, vcc_lo
	s_cbranch_execnz .LBB701_274
.LBB701_208:                            ;   in Loop: Header=BB701_96 Depth=2
	s_or_b32 exec_lo, exec_lo, s30
	s_and_saveexec_b32 s30, s15
	s_cbranch_execnz .LBB701_275
.LBB701_209:                            ;   in Loop: Header=BB701_96 Depth=2
	s_or_b32 exec_lo, exec_lo, s30
	s_and_saveexec_b32 s30, s16
	s_cbranch_execnz .LBB701_276
.LBB701_210:                            ;   in Loop: Header=BB701_96 Depth=2
	s_or_b32 exec_lo, exec_lo, s30
	s_and_saveexec_b32 s30, s17
	s_cbranch_execnz .LBB701_277
.LBB701_211:                            ;   in Loop: Header=BB701_96 Depth=2
	s_or_b32 exec_lo, exec_lo, s30
	s_and_saveexec_b32 s30, s18
	s_cbranch_execnz .LBB701_278
.LBB701_212:                            ;   in Loop: Header=BB701_96 Depth=2
	s_or_b32 exec_lo, exec_lo, s30
	s_and_saveexec_b32 s30, s19
	s_cbranch_execnz .LBB701_279
.LBB701_213:                            ;   in Loop: Header=BB701_96 Depth=2
	s_or_b32 exec_lo, exec_lo, s30
	s_and_saveexec_b32 s30, s20
	s_cbranch_execnz .LBB701_280
.LBB701_214:                            ;   in Loop: Header=BB701_96 Depth=2
	s_or_b32 exec_lo, exec_lo, s30
	s_and_saveexec_b32 s30, s21
	s_cbranch_execnz .LBB701_281
.LBB701_215:                            ;   in Loop: Header=BB701_96 Depth=2
	s_or_b32 exec_lo, exec_lo, s30
	s_and_saveexec_b32 s30, s22
	s_cbranch_execnz .LBB701_282
.LBB701_216:                            ;   in Loop: Header=BB701_96 Depth=2
	s_or_b32 exec_lo, exec_lo, s30
	s_and_saveexec_b32 s30, s23
	s_cbranch_execnz .LBB701_283
.LBB701_217:                            ;   in Loop: Header=BB701_96 Depth=2
	s_or_b32 exec_lo, exec_lo, s30
	s_and_saveexec_b32 s30, s24
	s_cbranch_execnz .LBB701_284
.LBB701_218:                            ;   in Loop: Header=BB701_96 Depth=2
	s_or_b32 exec_lo, exec_lo, s30
	s_and_saveexec_b32 s30, s25
	s_cbranch_execnz .LBB701_285
.LBB701_219:                            ;   in Loop: Header=BB701_96 Depth=2
	s_or_b32 exec_lo, exec_lo, s30
	s_and_saveexec_b32 s30, s26
	s_cbranch_execnz .LBB701_286
.LBB701_220:                            ;   in Loop: Header=BB701_96 Depth=2
	s_or_b32 exec_lo, exec_lo, s30
	s_and_saveexec_b32 s30, s27
	s_cbranch_execnz .LBB701_287
.LBB701_221:                            ;   in Loop: Header=BB701_96 Depth=2
	s_or_b32 exec_lo, exec_lo, s30
	s_and_saveexec_b32 s30, s28
	s_cbranch_execnz .LBB701_288
.LBB701_222:                            ;   in Loop: Header=BB701_96 Depth=2
	s_or_b32 exec_lo, exec_lo, s30
	s_and_saveexec_b32 s30, s29
	s_cbranch_execz .LBB701_224
.LBB701_223:                            ;   in Loop: Header=BB701_96 Depth=2
	ds_load_b64 v[58:59], v123 offset:31744
	s_wait_dscnt 0x0
	v_lshrrev_b64 v[58:59], s48, v[58:59]
	s_delay_alu instid0(VALU_DEP_1)
	v_and_b32_e32 v149, s56, v58
.LBB701_224:                            ;   in Loop: Header=BB701_96 Depth=2
	s_or_b32 exec_lo, exec_lo, s30
	s_wait_loadcnt 0x0
	s_wait_storecnt 0x0
	s_barrier_signal -1
	s_barrier_wait -1
	ds_store_b64 v91, v[56:57] offset:1024
	ds_store_b64 v60, v[54:55] offset:1024
	;; [unrolled: 1-line block ×16, first 2 shown]
	s_wait_dscnt 0x0
	s_barrier_signal -1
	s_barrier_wait -1
	s_and_saveexec_b32 s30, vcc_lo
	s_cbranch_execnz .LBB701_289
; %bb.225:                              ;   in Loop: Header=BB701_96 Depth=2
	s_or_b32 exec_lo, exec_lo, s30
	s_and_saveexec_b32 s30, s15
	s_cbranch_execnz .LBB701_290
.LBB701_226:                            ;   in Loop: Header=BB701_96 Depth=2
	s_or_b32 exec_lo, exec_lo, s30
	s_and_saveexec_b32 s15, s16
	s_cbranch_execnz .LBB701_291
.LBB701_227:                            ;   in Loop: Header=BB701_96 Depth=2
	s_or_b32 exec_lo, exec_lo, s15
	s_and_saveexec_b32 s15, s17
	s_cbranch_execnz .LBB701_292
.LBB701_228:                            ;   in Loop: Header=BB701_96 Depth=2
	s_or_b32 exec_lo, exec_lo, s15
	s_and_saveexec_b32 s15, s18
	s_cbranch_execnz .LBB701_293
.LBB701_229:                            ;   in Loop: Header=BB701_96 Depth=2
	s_or_b32 exec_lo, exec_lo, s15
	s_and_saveexec_b32 s15, s19
	s_cbranch_execnz .LBB701_294
.LBB701_230:                            ;   in Loop: Header=BB701_96 Depth=2
	s_or_b32 exec_lo, exec_lo, s15
	s_and_saveexec_b32 s15, s20
	s_cbranch_execnz .LBB701_295
.LBB701_231:                            ;   in Loop: Header=BB701_96 Depth=2
	s_or_b32 exec_lo, exec_lo, s15
	s_and_saveexec_b32 s15, s21
	s_cbranch_execnz .LBB701_296
.LBB701_232:                            ;   in Loop: Header=BB701_96 Depth=2
	s_or_b32 exec_lo, exec_lo, s15
	s_and_saveexec_b32 s15, s22
	s_cbranch_execnz .LBB701_297
.LBB701_233:                            ;   in Loop: Header=BB701_96 Depth=2
	s_or_b32 exec_lo, exec_lo, s15
	s_and_saveexec_b32 s15, s23
	s_cbranch_execnz .LBB701_298
.LBB701_234:                            ;   in Loop: Header=BB701_96 Depth=2
	s_or_b32 exec_lo, exec_lo, s15
	s_and_saveexec_b32 s15, s24
	s_cbranch_execnz .LBB701_299
.LBB701_235:                            ;   in Loop: Header=BB701_96 Depth=2
	s_or_b32 exec_lo, exec_lo, s15
	s_and_saveexec_b32 s15, s25
	s_cbranch_execnz .LBB701_300
.LBB701_236:                            ;   in Loop: Header=BB701_96 Depth=2
	s_or_b32 exec_lo, exec_lo, s15
	s_and_saveexec_b32 s15, s26
	s_cbranch_execnz .LBB701_301
.LBB701_237:                            ;   in Loop: Header=BB701_96 Depth=2
	s_or_b32 exec_lo, exec_lo, s15
	s_and_saveexec_b32 s15, s27
	s_cbranch_execnz .LBB701_302
.LBB701_238:                            ;   in Loop: Header=BB701_96 Depth=2
	s_or_b32 exec_lo, exec_lo, s15
	s_and_saveexec_b32 s15, s28
	s_cbranch_execnz .LBB701_303
.LBB701_239:                            ;   in Loop: Header=BB701_96 Depth=2
	s_or_b32 exec_lo, exec_lo, s15
	s_and_saveexec_b32 s15, s29
	s_cbranch_execz .LBB701_241
.LBB701_240:                            ;   in Loop: Header=BB701_96 Depth=2
	v_lshlrev_b32_e32 v58, 2, v149
	ds_load_b32 v60, v58
	ds_load_b64 v[58:59], v123 offset:31744
	s_wait_dscnt 0x1
	v_add_nc_u32_e32 v60, v60, v112
	s_wait_dscnt 0x0
	global_store_b64 v60, v[58:59], s[44:45] scale_offset
.LBB701_241:                            ;   in Loop: Header=BB701_96 Depth=2
	s_wait_xcnt 0x0
	s_or_b32 exec_lo, exec_lo, s15
	s_wait_storecnt 0x0
	s_barrier_signal -1
	s_barrier_wait -1
	s_and_saveexec_b32 s15, s0
	s_cbranch_execz .LBB701_95
; %bb.242:                              ;   in Loop: Header=BB701_96 Depth=2
	ds_load_b32 v58, v3
	s_wait_dscnt 0x0
	v_add_nc_u32_e32 v58, v58, v90
	ds_store_b32 v3, v58
	s_branch .LBB701_95
.LBB701_243:                            ;   in Loop: Header=BB701_96 Depth=2
	ds_load_b64 v[58:59], v123 offset:1024
	s_wait_dscnt 0x0
	v_lshrrev_b64 v[66:67], s48, v[58:59]
	v_xor_b32_e32 v59, 0x7fffffff, v59
	v_not_b32_e32 v58, v58
	s_delay_alu instid0(VALU_DEP_3) | instskip(NEXT) | instid1(VALU_DEP_1)
	v_and_b32_e32 v66, s56, v66
	v_lshlrev_b32_e32 v66, 2, v66
	ds_load_b32 v66, v66
	s_wait_dscnt 0x0
	v_add_nc_u32_e32 v66, v66, v2
	global_store_b64 v66, v[58:59], s[38:39] scale_offset
	s_wait_xcnt 0x0
	s_or_b32 exec_lo, exec_lo, s15
	v_cmp_lt_u32_e64 s15, v98, v165
	s_and_saveexec_b32 s16, s15
	s_cbranch_execz .LBB701_176
.LBB701_244:                            ;   in Loop: Header=BB701_96 Depth=2
	ds_load_b64 v[58:59], v123 offset:3072
	s_wait_dscnt 0x0
	v_lshrrev_b64 v[66:67], s48, v[58:59]
	v_xor_b32_e32 v59, 0x7fffffff, v59
	v_not_b32_e32 v58, v58
	s_delay_alu instid0(VALU_DEP_3) | instskip(NEXT) | instid1(VALU_DEP_1)
	v_and_b32_e32 v66, s56, v66
	v_lshlrev_b32_e32 v66, 2, v66
	ds_load_b32 v66, v66
	s_wait_dscnt 0x0
	v_add_nc_u32_e32 v66, v66, v98
	global_store_b64 v66, v[58:59], s[38:39] scale_offset
	s_wait_xcnt 0x0
	s_or_b32 exec_lo, exec_lo, s16
	v_cmp_lt_u32_e64 s16, v99, v165
	s_and_saveexec_b32 s17, s16
	s_cbranch_execz .LBB701_177
.LBB701_245:                            ;   in Loop: Header=BB701_96 Depth=2
	ds_load_b64 v[58:59], v123 offset:5120
	s_wait_dscnt 0x0
	v_lshrrev_b64 v[66:67], s48, v[58:59]
	v_xor_b32_e32 v59, 0x7fffffff, v59
	v_not_b32_e32 v58, v58
	s_delay_alu instid0(VALU_DEP_3) | instskip(NEXT) | instid1(VALU_DEP_1)
	v_and_b32_e32 v66, s56, v66
	v_lshlrev_b32_e32 v66, 2, v66
	ds_load_b32 v66, v66
	s_wait_dscnt 0x0
	v_add_nc_u32_e32 v66, v66, v99
	global_store_b64 v66, v[58:59], s[38:39] scale_offset
	s_wait_xcnt 0x0
	s_or_b32 exec_lo, exec_lo, s17
	v_cmp_lt_u32_e64 s17, v100, v165
	s_and_saveexec_b32 s18, s17
	s_cbranch_execz .LBB701_178
.LBB701_246:                            ;   in Loop: Header=BB701_96 Depth=2
	ds_load_b64 v[58:59], v123 offset:7168
	s_wait_dscnt 0x0
	v_lshrrev_b64 v[66:67], s48, v[58:59]
	v_xor_b32_e32 v59, 0x7fffffff, v59
	v_not_b32_e32 v58, v58
	s_delay_alu instid0(VALU_DEP_3) | instskip(NEXT) | instid1(VALU_DEP_1)
	v_and_b32_e32 v66, s56, v66
	v_lshlrev_b32_e32 v66, 2, v66
	ds_load_b32 v66, v66
	s_wait_dscnt 0x0
	v_add_nc_u32_e32 v66, v66, v100
	global_store_b64 v66, v[58:59], s[38:39] scale_offset
	s_wait_xcnt 0x0
	s_or_b32 exec_lo, exec_lo, s18
	v_cmp_lt_u32_e64 s18, v101, v165
	s_and_saveexec_b32 s19, s18
	s_cbranch_execz .LBB701_179
.LBB701_247:                            ;   in Loop: Header=BB701_96 Depth=2
	ds_load_b64 v[58:59], v123 offset:9216
	s_wait_dscnt 0x0
	v_lshrrev_b64 v[66:67], s48, v[58:59]
	v_xor_b32_e32 v59, 0x7fffffff, v59
	v_not_b32_e32 v58, v58
	s_delay_alu instid0(VALU_DEP_3) | instskip(NEXT) | instid1(VALU_DEP_1)
	v_and_b32_e32 v66, s56, v66
	v_lshlrev_b32_e32 v66, 2, v66
	ds_load_b32 v66, v66
	s_wait_dscnt 0x0
	v_add_nc_u32_e32 v66, v66, v101
	global_store_b64 v66, v[58:59], s[38:39] scale_offset
	s_wait_xcnt 0x0
	s_or_b32 exec_lo, exec_lo, s19
	v_cmp_lt_u32_e64 s19, v102, v165
	s_and_saveexec_b32 s20, s19
	s_cbranch_execz .LBB701_180
.LBB701_248:                            ;   in Loop: Header=BB701_96 Depth=2
	ds_load_b64 v[58:59], v123 offset:11264
	s_wait_dscnt 0x0
	v_lshrrev_b64 v[66:67], s48, v[58:59]
	v_xor_b32_e32 v59, 0x7fffffff, v59
	v_not_b32_e32 v58, v58
	s_delay_alu instid0(VALU_DEP_3) | instskip(NEXT) | instid1(VALU_DEP_1)
	v_and_b32_e32 v66, s56, v66
	v_lshlrev_b32_e32 v66, 2, v66
	ds_load_b32 v66, v66
	s_wait_dscnt 0x0
	v_add_nc_u32_e32 v66, v66, v102
	global_store_b64 v66, v[58:59], s[38:39] scale_offset
	s_wait_xcnt 0x0
	s_or_b32 exec_lo, exec_lo, s20
	v_cmp_lt_u32_e64 s20, v103, v165
	s_and_saveexec_b32 s21, s20
	s_cbranch_execz .LBB701_181
.LBB701_249:                            ;   in Loop: Header=BB701_96 Depth=2
	ds_load_b64 v[58:59], v123 offset:13312
	s_wait_dscnt 0x0
	v_lshrrev_b64 v[66:67], s48, v[58:59]
	v_xor_b32_e32 v59, 0x7fffffff, v59
	v_not_b32_e32 v58, v58
	s_delay_alu instid0(VALU_DEP_3) | instskip(NEXT) | instid1(VALU_DEP_1)
	v_and_b32_e32 v66, s56, v66
	v_lshlrev_b32_e32 v66, 2, v66
	ds_load_b32 v66, v66
	s_wait_dscnt 0x0
	v_add_nc_u32_e32 v66, v66, v103
	global_store_b64 v66, v[58:59], s[38:39] scale_offset
	s_wait_xcnt 0x0
	s_or_b32 exec_lo, exec_lo, s21
	v_cmp_lt_u32_e64 s21, v104, v165
	s_and_saveexec_b32 s22, s21
	s_cbranch_execz .LBB701_182
.LBB701_250:                            ;   in Loop: Header=BB701_96 Depth=2
	ds_load_b64 v[58:59], v123 offset:15360
	s_wait_dscnt 0x0
	v_lshrrev_b64 v[66:67], s48, v[58:59]
	v_xor_b32_e32 v59, 0x7fffffff, v59
	v_not_b32_e32 v58, v58
	s_delay_alu instid0(VALU_DEP_3) | instskip(NEXT) | instid1(VALU_DEP_1)
	v_and_b32_e32 v66, s56, v66
	v_lshlrev_b32_e32 v66, 2, v66
	ds_load_b32 v66, v66
	s_wait_dscnt 0x0
	v_add_nc_u32_e32 v66, v66, v104
	global_store_b64 v66, v[58:59], s[38:39] scale_offset
	s_wait_xcnt 0x0
	s_or_b32 exec_lo, exec_lo, s22
	v_cmp_lt_u32_e64 s22, v105, v165
	s_and_saveexec_b32 s23, s22
	s_cbranch_execz .LBB701_183
.LBB701_251:                            ;   in Loop: Header=BB701_96 Depth=2
	ds_load_b64 v[58:59], v123 offset:17408
	s_wait_dscnt 0x0
	v_lshrrev_b64 v[66:67], s48, v[58:59]
	v_xor_b32_e32 v59, 0x7fffffff, v59
	v_not_b32_e32 v58, v58
	s_delay_alu instid0(VALU_DEP_3) | instskip(NEXT) | instid1(VALU_DEP_1)
	v_and_b32_e32 v66, s56, v66
	v_lshlrev_b32_e32 v66, 2, v66
	ds_load_b32 v66, v66
	s_wait_dscnt 0x0
	v_add_nc_u32_e32 v66, v66, v105
	global_store_b64 v66, v[58:59], s[38:39] scale_offset
	s_wait_xcnt 0x0
	s_or_b32 exec_lo, exec_lo, s23
	v_cmp_lt_u32_e64 s23, v106, v165
	s_and_saveexec_b32 s24, s23
	s_cbranch_execz .LBB701_184
.LBB701_252:                            ;   in Loop: Header=BB701_96 Depth=2
	ds_load_b64 v[58:59], v123 offset:19456
	s_wait_dscnt 0x0
	v_lshrrev_b64 v[66:67], s48, v[58:59]
	v_xor_b32_e32 v59, 0x7fffffff, v59
	v_not_b32_e32 v58, v58
	s_delay_alu instid0(VALU_DEP_3) | instskip(NEXT) | instid1(VALU_DEP_1)
	v_and_b32_e32 v66, s56, v66
	v_lshlrev_b32_e32 v66, 2, v66
	ds_load_b32 v66, v66
	s_wait_dscnt 0x0
	v_add_nc_u32_e32 v66, v66, v106
	global_store_b64 v66, v[58:59], s[38:39] scale_offset
	s_wait_xcnt 0x0
	s_or_b32 exec_lo, exec_lo, s24
	v_cmp_lt_u32_e64 s24, v107, v165
	s_and_saveexec_b32 s25, s24
	s_cbranch_execz .LBB701_185
.LBB701_253:                            ;   in Loop: Header=BB701_96 Depth=2
	ds_load_b64 v[58:59], v123 offset:21504
	s_wait_dscnt 0x0
	v_lshrrev_b64 v[66:67], s48, v[58:59]
	v_xor_b32_e32 v59, 0x7fffffff, v59
	v_not_b32_e32 v58, v58
	s_delay_alu instid0(VALU_DEP_3) | instskip(NEXT) | instid1(VALU_DEP_1)
	v_and_b32_e32 v66, s56, v66
	v_lshlrev_b32_e32 v66, 2, v66
	ds_load_b32 v66, v66
	s_wait_dscnt 0x0
	v_add_nc_u32_e32 v66, v66, v107
	global_store_b64 v66, v[58:59], s[38:39] scale_offset
	s_wait_xcnt 0x0
	s_or_b32 exec_lo, exec_lo, s25
	v_cmp_lt_u32_e64 s25, v108, v165
	s_and_saveexec_b32 s26, s25
	s_cbranch_execz .LBB701_186
.LBB701_254:                            ;   in Loop: Header=BB701_96 Depth=2
	ds_load_b64 v[58:59], v123 offset:23552
	s_wait_dscnt 0x0
	v_lshrrev_b64 v[66:67], s48, v[58:59]
	v_xor_b32_e32 v59, 0x7fffffff, v59
	v_not_b32_e32 v58, v58
	s_delay_alu instid0(VALU_DEP_3) | instskip(NEXT) | instid1(VALU_DEP_1)
	v_and_b32_e32 v66, s56, v66
	v_lshlrev_b32_e32 v66, 2, v66
	ds_load_b32 v66, v66
	s_wait_dscnt 0x0
	v_add_nc_u32_e32 v66, v66, v108
	global_store_b64 v66, v[58:59], s[38:39] scale_offset
	s_wait_xcnt 0x0
	s_or_b32 exec_lo, exec_lo, s26
	v_cmp_lt_u32_e64 s26, v109, v165
	s_and_saveexec_b32 s27, s26
	s_cbranch_execz .LBB701_187
.LBB701_255:                            ;   in Loop: Header=BB701_96 Depth=2
	ds_load_b64 v[58:59], v123 offset:25600
	s_wait_dscnt 0x0
	v_lshrrev_b64 v[66:67], s48, v[58:59]
	v_xor_b32_e32 v59, 0x7fffffff, v59
	v_not_b32_e32 v58, v58
	s_delay_alu instid0(VALU_DEP_3) | instskip(NEXT) | instid1(VALU_DEP_1)
	v_and_b32_e32 v66, s56, v66
	v_lshlrev_b32_e32 v66, 2, v66
	ds_load_b32 v66, v66
	s_wait_dscnt 0x0
	v_add_nc_u32_e32 v66, v66, v109
	global_store_b64 v66, v[58:59], s[38:39] scale_offset
	s_wait_xcnt 0x0
	s_or_b32 exec_lo, exec_lo, s27
	v_cmp_lt_u32_e64 s27, v110, v165
	s_and_saveexec_b32 s28, s27
	s_cbranch_execz .LBB701_188
.LBB701_256:                            ;   in Loop: Header=BB701_96 Depth=2
	ds_load_b64 v[58:59], v123 offset:27648
	s_wait_dscnt 0x0
	v_lshrrev_b64 v[66:67], s48, v[58:59]
	v_xor_b32_e32 v59, 0x7fffffff, v59
	v_not_b32_e32 v58, v58
	s_delay_alu instid0(VALU_DEP_3) | instskip(NEXT) | instid1(VALU_DEP_1)
	v_and_b32_e32 v66, s56, v66
	v_lshlrev_b32_e32 v66, 2, v66
	ds_load_b32 v66, v66
	s_wait_dscnt 0x0
	v_add_nc_u32_e32 v66, v66, v110
	global_store_b64 v66, v[58:59], s[38:39] scale_offset
	s_wait_xcnt 0x0
	s_or_b32 exec_lo, exec_lo, s28
	v_cmp_lt_u32_e64 s28, v111, v165
	s_and_saveexec_b32 s29, s28
	s_cbranch_execz .LBB701_189
.LBB701_257:                            ;   in Loop: Header=BB701_96 Depth=2
	ds_load_b64 v[58:59], v123 offset:29696
	s_wait_dscnt 0x0
	v_lshrrev_b64 v[66:67], s48, v[58:59]
	v_xor_b32_e32 v59, 0x7fffffff, v59
	v_not_b32_e32 v58, v58
	s_delay_alu instid0(VALU_DEP_3) | instskip(NEXT) | instid1(VALU_DEP_1)
	v_and_b32_e32 v66, s56, v66
	v_lshlrev_b32_e32 v66, 2, v66
	ds_load_b32 v66, v66
	s_wait_dscnt 0x0
	v_add_nc_u32_e32 v66, v66, v111
	global_store_b64 v66, v[58:59], s[38:39] scale_offset
	s_wait_xcnt 0x0
	s_or_b32 exec_lo, exec_lo, s29
	v_cmp_lt_u32_e64 s29, v112, v165
	s_and_saveexec_b32 s59, s29
	s_cbranch_execnz .LBB701_190
	s_branch .LBB701_191
.LBB701_258:                            ;   in Loop: Header=BB701_96 Depth=2
	global_load_b64 v[56:57], v[58:59], off
	s_wait_xcnt 0x0
	s_or_b32 exec_lo, exec_lo, s30
	s_delay_alu instid0(SALU_CYCLE_1)
	s_mov_b32 s59, exec_lo
	v_cmpx_lt_u32_e64 v132, v165
	s_cbranch_execz .LBB701_193
.LBB701_259:                            ;   in Loop: Header=BB701_96 Depth=2
	global_load_b64 v[54:55], v[58:59], off offset:256
	s_wait_xcnt 0x0
	s_or_b32 exec_lo, exec_lo, s59
	s_delay_alu instid0(SALU_CYCLE_1)
	s_mov_b32 s59, exec_lo
	v_cmpx_lt_u32_e64 v133, v165
	s_cbranch_execz .LBB701_194
.LBB701_260:                            ;   in Loop: Header=BB701_96 Depth=2
	global_load_b64 v[52:53], v[58:59], off offset:512
	s_wait_xcnt 0x0
	s_or_b32 exec_lo, exec_lo, s59
	s_delay_alu instid0(SALU_CYCLE_1)
	s_mov_b32 s59, exec_lo
	v_cmpx_lt_u32_e64 v134, v165
	s_cbranch_execz .LBB701_195
.LBB701_261:                            ;   in Loop: Header=BB701_96 Depth=2
	global_load_b64 v[50:51], v[58:59], off offset:768
	s_wait_xcnt 0x0
	s_or_b32 exec_lo, exec_lo, s59
	s_delay_alu instid0(SALU_CYCLE_1)
	s_mov_b32 s59, exec_lo
	v_cmpx_lt_u32_e64 v135, v165
	s_cbranch_execz .LBB701_196
.LBB701_262:                            ;   in Loop: Header=BB701_96 Depth=2
	global_load_b64 v[48:49], v[58:59], off offset:1024
	s_wait_xcnt 0x0
	s_or_b32 exec_lo, exec_lo, s59
	s_delay_alu instid0(SALU_CYCLE_1)
	s_mov_b32 s59, exec_lo
	v_cmpx_lt_u32_e64 v136, v165
	s_cbranch_execz .LBB701_197
.LBB701_263:                            ;   in Loop: Header=BB701_96 Depth=2
	global_load_b64 v[46:47], v[58:59], off offset:1280
	s_wait_xcnt 0x0
	s_or_b32 exec_lo, exec_lo, s59
	s_delay_alu instid0(SALU_CYCLE_1)
	s_mov_b32 s59, exec_lo
	v_cmpx_lt_u32_e64 v137, v165
	s_cbranch_execz .LBB701_198
.LBB701_264:                            ;   in Loop: Header=BB701_96 Depth=2
	global_load_b64 v[44:45], v[58:59], off offset:1536
	s_wait_xcnt 0x0
	s_or_b32 exec_lo, exec_lo, s59
	s_delay_alu instid0(SALU_CYCLE_1)
	s_mov_b32 s59, exec_lo
	v_cmpx_lt_u32_e64 v138, v165
	s_cbranch_execz .LBB701_199
.LBB701_265:                            ;   in Loop: Header=BB701_96 Depth=2
	global_load_b64 v[42:43], v[58:59], off offset:1792
	s_wait_xcnt 0x0
	s_or_b32 exec_lo, exec_lo, s59
	s_delay_alu instid0(SALU_CYCLE_1)
	s_mov_b32 s59, exec_lo
	v_cmpx_lt_u32_e64 v139, v165
	s_cbranch_execz .LBB701_200
.LBB701_266:                            ;   in Loop: Header=BB701_96 Depth=2
	global_load_b64 v[40:41], v[58:59], off offset:2048
	s_wait_xcnt 0x0
	s_or_b32 exec_lo, exec_lo, s59
	s_delay_alu instid0(SALU_CYCLE_1)
	s_mov_b32 s59, exec_lo
	v_cmpx_lt_u32_e64 v140, v165
	s_cbranch_execz .LBB701_201
.LBB701_267:                            ;   in Loop: Header=BB701_96 Depth=2
	global_load_b64 v[38:39], v[58:59], off offset:2304
	s_wait_xcnt 0x0
	s_or_b32 exec_lo, exec_lo, s59
	s_delay_alu instid0(SALU_CYCLE_1)
	s_mov_b32 s59, exec_lo
	v_cmpx_lt_u32_e64 v141, v165
	s_cbranch_execz .LBB701_202
.LBB701_268:                            ;   in Loop: Header=BB701_96 Depth=2
	global_load_b64 v[36:37], v[58:59], off offset:2560
	s_wait_xcnt 0x0
	s_or_b32 exec_lo, exec_lo, s59
	s_delay_alu instid0(SALU_CYCLE_1)
	s_mov_b32 s59, exec_lo
	v_cmpx_lt_u32_e64 v142, v165
	s_cbranch_execz .LBB701_203
.LBB701_269:                            ;   in Loop: Header=BB701_96 Depth=2
	global_load_b64 v[34:35], v[58:59], off offset:2816
	s_wait_xcnt 0x0
	s_or_b32 exec_lo, exec_lo, s59
	s_delay_alu instid0(SALU_CYCLE_1)
	s_mov_b32 s59, exec_lo
	v_cmpx_lt_u32_e64 v143, v165
	s_cbranch_execz .LBB701_204
.LBB701_270:                            ;   in Loop: Header=BB701_96 Depth=2
	global_load_b64 v[32:33], v[58:59], off offset:3072
	s_wait_xcnt 0x0
	s_or_b32 exec_lo, exec_lo, s59
	s_delay_alu instid0(SALU_CYCLE_1)
	s_mov_b32 s59, exec_lo
	v_cmpx_lt_u32_e64 v144, v165
	s_cbranch_execz .LBB701_205
.LBB701_271:                            ;   in Loop: Header=BB701_96 Depth=2
	global_load_b64 v[30:31], v[58:59], off offset:3328
	s_wait_xcnt 0x0
	s_or_b32 exec_lo, exec_lo, s59
	s_delay_alu instid0(SALU_CYCLE_1)
	s_mov_b32 s59, exec_lo
	v_cmpx_lt_u32_e64 v145, v165
	s_cbranch_execz .LBB701_206
.LBB701_272:                            ;   in Loop: Header=BB701_96 Depth=2
	global_load_b64 v[28:29], v[58:59], off offset:3584
	s_wait_xcnt 0x0
	s_or_b32 exec_lo, exec_lo, s59
	s_delay_alu instid0(SALU_CYCLE_1)
	s_mov_b32 s59, exec_lo
	v_cmpx_lt_u32_e64 v146, v165
	s_cbranch_execz .LBB701_207
.LBB701_273:                            ;   in Loop: Header=BB701_96 Depth=2
	global_load_b64 v[26:27], v[58:59], off offset:3840
	s_wait_xcnt 0x0
	s_or_b32 exec_lo, exec_lo, s59
	s_and_saveexec_b32 s30, vcc_lo
	s_cbranch_execz .LBB701_208
.LBB701_274:                            ;   in Loop: Header=BB701_96 Depth=2
	ds_load_b64 v[58:59], v123 offset:1024
	s_wait_dscnt 0x0
	v_lshrrev_b64 v[58:59], s48, v[58:59]
	s_delay_alu instid0(VALU_DEP_1)
	v_and_b32_e32 v164, s56, v58
	s_or_b32 exec_lo, exec_lo, s30
	s_and_saveexec_b32 s30, s15
	s_cbranch_execz .LBB701_209
.LBB701_275:                            ;   in Loop: Header=BB701_96 Depth=2
	ds_load_b64 v[58:59], v123 offset:3072
	s_wait_dscnt 0x0
	v_lshrrev_b64 v[58:59], s48, v[58:59]
	s_delay_alu instid0(VALU_DEP_1)
	v_and_b32_e32 v163, s56, v58
	s_or_b32 exec_lo, exec_lo, s30
	s_and_saveexec_b32 s30, s16
	s_cbranch_execz .LBB701_210
.LBB701_276:                            ;   in Loop: Header=BB701_96 Depth=2
	ds_load_b64 v[58:59], v123 offset:5120
	s_wait_dscnt 0x0
	v_lshrrev_b64 v[58:59], s48, v[58:59]
	s_delay_alu instid0(VALU_DEP_1)
	v_and_b32_e32 v162, s56, v58
	s_or_b32 exec_lo, exec_lo, s30
	s_and_saveexec_b32 s30, s17
	s_cbranch_execz .LBB701_211
.LBB701_277:                            ;   in Loop: Header=BB701_96 Depth=2
	ds_load_b64 v[58:59], v123 offset:7168
	s_wait_dscnt 0x0
	v_lshrrev_b64 v[58:59], s48, v[58:59]
	s_delay_alu instid0(VALU_DEP_1)
	v_and_b32_e32 v161, s56, v58
	s_or_b32 exec_lo, exec_lo, s30
	s_and_saveexec_b32 s30, s18
	s_cbranch_execz .LBB701_212
.LBB701_278:                            ;   in Loop: Header=BB701_96 Depth=2
	ds_load_b64 v[58:59], v123 offset:9216
	s_wait_dscnt 0x0
	v_lshrrev_b64 v[58:59], s48, v[58:59]
	s_delay_alu instid0(VALU_DEP_1)
	v_and_b32_e32 v160, s56, v58
	s_or_b32 exec_lo, exec_lo, s30
	s_and_saveexec_b32 s30, s19
	s_cbranch_execz .LBB701_213
.LBB701_279:                            ;   in Loop: Header=BB701_96 Depth=2
	ds_load_b64 v[58:59], v123 offset:11264
	s_wait_dscnt 0x0
	v_lshrrev_b64 v[58:59], s48, v[58:59]
	s_delay_alu instid0(VALU_DEP_1)
	v_and_b32_e32 v159, s56, v58
	s_or_b32 exec_lo, exec_lo, s30
	s_and_saveexec_b32 s30, s20
	s_cbranch_execz .LBB701_214
.LBB701_280:                            ;   in Loop: Header=BB701_96 Depth=2
	ds_load_b64 v[58:59], v123 offset:13312
	s_wait_dscnt 0x0
	v_lshrrev_b64 v[58:59], s48, v[58:59]
	s_delay_alu instid0(VALU_DEP_1)
	v_and_b32_e32 v158, s56, v58
	s_or_b32 exec_lo, exec_lo, s30
	s_and_saveexec_b32 s30, s21
	s_cbranch_execz .LBB701_215
.LBB701_281:                            ;   in Loop: Header=BB701_96 Depth=2
	ds_load_b64 v[58:59], v123 offset:15360
	s_wait_dscnt 0x0
	v_lshrrev_b64 v[58:59], s48, v[58:59]
	s_delay_alu instid0(VALU_DEP_1)
	v_and_b32_e32 v157, s56, v58
	s_or_b32 exec_lo, exec_lo, s30
	s_and_saveexec_b32 s30, s22
	s_cbranch_execz .LBB701_216
.LBB701_282:                            ;   in Loop: Header=BB701_96 Depth=2
	ds_load_b64 v[58:59], v123 offset:17408
	s_wait_dscnt 0x0
	v_lshrrev_b64 v[58:59], s48, v[58:59]
	s_delay_alu instid0(VALU_DEP_1)
	v_and_b32_e32 v156, s56, v58
	s_or_b32 exec_lo, exec_lo, s30
	s_and_saveexec_b32 s30, s23
	s_cbranch_execz .LBB701_217
.LBB701_283:                            ;   in Loop: Header=BB701_96 Depth=2
	ds_load_b64 v[58:59], v123 offset:19456
	s_wait_dscnt 0x0
	v_lshrrev_b64 v[58:59], s48, v[58:59]
	s_delay_alu instid0(VALU_DEP_1)
	v_and_b32_e32 v155, s56, v58
	s_or_b32 exec_lo, exec_lo, s30
	s_and_saveexec_b32 s30, s24
	s_cbranch_execz .LBB701_218
.LBB701_284:                            ;   in Loop: Header=BB701_96 Depth=2
	ds_load_b64 v[58:59], v123 offset:21504
	s_wait_dscnt 0x0
	v_lshrrev_b64 v[58:59], s48, v[58:59]
	s_delay_alu instid0(VALU_DEP_1)
	v_and_b32_e32 v154, s56, v58
	s_or_b32 exec_lo, exec_lo, s30
	s_and_saveexec_b32 s30, s25
	s_cbranch_execz .LBB701_219
.LBB701_285:                            ;   in Loop: Header=BB701_96 Depth=2
	ds_load_b64 v[58:59], v123 offset:23552
	s_wait_dscnt 0x0
	v_lshrrev_b64 v[58:59], s48, v[58:59]
	s_delay_alu instid0(VALU_DEP_1)
	v_and_b32_e32 v153, s56, v58
	s_or_b32 exec_lo, exec_lo, s30
	s_and_saveexec_b32 s30, s26
	s_cbranch_execz .LBB701_220
.LBB701_286:                            ;   in Loop: Header=BB701_96 Depth=2
	ds_load_b64 v[58:59], v123 offset:25600
	s_wait_dscnt 0x0
	v_lshrrev_b64 v[58:59], s48, v[58:59]
	s_delay_alu instid0(VALU_DEP_1)
	v_and_b32_e32 v152, s56, v58
	s_or_b32 exec_lo, exec_lo, s30
	s_and_saveexec_b32 s30, s27
	s_cbranch_execz .LBB701_221
.LBB701_287:                            ;   in Loop: Header=BB701_96 Depth=2
	ds_load_b64 v[58:59], v123 offset:27648
	s_wait_dscnt 0x0
	v_lshrrev_b64 v[58:59], s48, v[58:59]
	s_delay_alu instid0(VALU_DEP_1)
	v_and_b32_e32 v151, s56, v58
	s_or_b32 exec_lo, exec_lo, s30
	s_and_saveexec_b32 s30, s28
	s_cbranch_execz .LBB701_222
.LBB701_288:                            ;   in Loop: Header=BB701_96 Depth=2
	ds_load_b64 v[58:59], v123 offset:29696
	s_wait_dscnt 0x0
	v_lshrrev_b64 v[58:59], s48, v[58:59]
	s_delay_alu instid0(VALU_DEP_1)
	v_and_b32_e32 v150, s56, v58
	s_or_b32 exec_lo, exec_lo, s30
	s_and_saveexec_b32 s30, s29
	s_cbranch_execnz .LBB701_223
	s_branch .LBB701_224
.LBB701_289:                            ;   in Loop: Header=BB701_96 Depth=2
	v_lshlrev_b32_e32 v58, 2, v164
	ds_load_b32 v60, v58
	ds_load_b64 v[58:59], v123 offset:1024
	s_wait_dscnt 0x1
	v_add_nc_u32_e32 v60, v60, v2
	s_wait_dscnt 0x0
	global_store_b64 v60, v[58:59], s[44:45] scale_offset
	s_wait_xcnt 0x0
	s_or_b32 exec_lo, exec_lo, s30
	s_and_saveexec_b32 s30, s15
	s_cbranch_execz .LBB701_226
.LBB701_290:                            ;   in Loop: Header=BB701_96 Depth=2
	v_lshlrev_b32_e32 v58, 2, v163
	ds_load_b32 v60, v58
	ds_load_b64 v[58:59], v123 offset:3072
	s_wait_dscnt 0x1
	v_add_nc_u32_e32 v60, v60, v98
	s_wait_dscnt 0x0
	global_store_b64 v60, v[58:59], s[44:45] scale_offset
	s_wait_xcnt 0x0
	s_or_b32 exec_lo, exec_lo, s30
	s_and_saveexec_b32 s15, s16
	s_cbranch_execz .LBB701_227
.LBB701_291:                            ;   in Loop: Header=BB701_96 Depth=2
	v_lshlrev_b32_e32 v58, 2, v162
	ds_load_b32 v60, v58
	ds_load_b64 v[58:59], v123 offset:5120
	s_wait_dscnt 0x1
	v_add_nc_u32_e32 v60, v60, v99
	s_wait_dscnt 0x0
	global_store_b64 v60, v[58:59], s[44:45] scale_offset
	s_wait_xcnt 0x0
	s_or_b32 exec_lo, exec_lo, s15
	s_and_saveexec_b32 s15, s17
	s_cbranch_execz .LBB701_228
.LBB701_292:                            ;   in Loop: Header=BB701_96 Depth=2
	v_lshlrev_b32_e32 v58, 2, v161
	ds_load_b32 v60, v58
	ds_load_b64 v[58:59], v123 offset:7168
	s_wait_dscnt 0x1
	v_add_nc_u32_e32 v60, v60, v100
	s_wait_dscnt 0x0
	global_store_b64 v60, v[58:59], s[44:45] scale_offset
	s_wait_xcnt 0x0
	s_or_b32 exec_lo, exec_lo, s15
	s_and_saveexec_b32 s15, s18
	s_cbranch_execz .LBB701_229
.LBB701_293:                            ;   in Loop: Header=BB701_96 Depth=2
	v_lshlrev_b32_e32 v58, 2, v160
	ds_load_b32 v60, v58
	ds_load_b64 v[58:59], v123 offset:9216
	s_wait_dscnt 0x1
	v_add_nc_u32_e32 v60, v60, v101
	s_wait_dscnt 0x0
	global_store_b64 v60, v[58:59], s[44:45] scale_offset
	s_wait_xcnt 0x0
	s_or_b32 exec_lo, exec_lo, s15
	s_and_saveexec_b32 s15, s19
	s_cbranch_execz .LBB701_230
.LBB701_294:                            ;   in Loop: Header=BB701_96 Depth=2
	v_lshlrev_b32_e32 v58, 2, v159
	ds_load_b32 v60, v58
	ds_load_b64 v[58:59], v123 offset:11264
	s_wait_dscnt 0x1
	v_add_nc_u32_e32 v60, v60, v102
	s_wait_dscnt 0x0
	global_store_b64 v60, v[58:59], s[44:45] scale_offset
	s_wait_xcnt 0x0
	s_or_b32 exec_lo, exec_lo, s15
	s_and_saveexec_b32 s15, s20
	s_cbranch_execz .LBB701_231
.LBB701_295:                            ;   in Loop: Header=BB701_96 Depth=2
	v_lshlrev_b32_e32 v58, 2, v158
	ds_load_b32 v60, v58
	ds_load_b64 v[58:59], v123 offset:13312
	s_wait_dscnt 0x1
	v_add_nc_u32_e32 v60, v60, v103
	s_wait_dscnt 0x0
	global_store_b64 v60, v[58:59], s[44:45] scale_offset
	s_wait_xcnt 0x0
	s_or_b32 exec_lo, exec_lo, s15
	s_and_saveexec_b32 s15, s21
	s_cbranch_execz .LBB701_232
.LBB701_296:                            ;   in Loop: Header=BB701_96 Depth=2
	v_lshlrev_b32_e32 v58, 2, v157
	ds_load_b32 v60, v58
	ds_load_b64 v[58:59], v123 offset:15360
	s_wait_dscnt 0x1
	v_add_nc_u32_e32 v60, v60, v104
	s_wait_dscnt 0x0
	global_store_b64 v60, v[58:59], s[44:45] scale_offset
	s_wait_xcnt 0x0
	s_or_b32 exec_lo, exec_lo, s15
	s_and_saveexec_b32 s15, s22
	s_cbranch_execz .LBB701_233
.LBB701_297:                            ;   in Loop: Header=BB701_96 Depth=2
	v_lshlrev_b32_e32 v58, 2, v156
	ds_load_b32 v60, v58
	ds_load_b64 v[58:59], v123 offset:17408
	s_wait_dscnt 0x1
	v_add_nc_u32_e32 v60, v60, v105
	s_wait_dscnt 0x0
	global_store_b64 v60, v[58:59], s[44:45] scale_offset
	s_wait_xcnt 0x0
	s_or_b32 exec_lo, exec_lo, s15
	s_and_saveexec_b32 s15, s23
	s_cbranch_execz .LBB701_234
.LBB701_298:                            ;   in Loop: Header=BB701_96 Depth=2
	v_lshlrev_b32_e32 v58, 2, v155
	ds_load_b32 v60, v58
	ds_load_b64 v[58:59], v123 offset:19456
	s_wait_dscnt 0x1
	v_add_nc_u32_e32 v60, v60, v106
	s_wait_dscnt 0x0
	global_store_b64 v60, v[58:59], s[44:45] scale_offset
	s_wait_xcnt 0x0
	s_or_b32 exec_lo, exec_lo, s15
	s_and_saveexec_b32 s15, s24
	s_cbranch_execz .LBB701_235
.LBB701_299:                            ;   in Loop: Header=BB701_96 Depth=2
	v_lshlrev_b32_e32 v58, 2, v154
	ds_load_b32 v60, v58
	ds_load_b64 v[58:59], v123 offset:21504
	s_wait_dscnt 0x1
	v_add_nc_u32_e32 v60, v60, v107
	s_wait_dscnt 0x0
	global_store_b64 v60, v[58:59], s[44:45] scale_offset
	s_wait_xcnt 0x0
	s_or_b32 exec_lo, exec_lo, s15
	s_and_saveexec_b32 s15, s25
	s_cbranch_execz .LBB701_236
.LBB701_300:                            ;   in Loop: Header=BB701_96 Depth=2
	v_lshlrev_b32_e32 v58, 2, v153
	ds_load_b32 v60, v58
	ds_load_b64 v[58:59], v123 offset:23552
	s_wait_dscnt 0x1
	v_add_nc_u32_e32 v60, v60, v108
	s_wait_dscnt 0x0
	global_store_b64 v60, v[58:59], s[44:45] scale_offset
	s_wait_xcnt 0x0
	s_or_b32 exec_lo, exec_lo, s15
	s_and_saveexec_b32 s15, s26
	s_cbranch_execz .LBB701_237
.LBB701_301:                            ;   in Loop: Header=BB701_96 Depth=2
	v_lshlrev_b32_e32 v58, 2, v152
	ds_load_b32 v60, v58
	ds_load_b64 v[58:59], v123 offset:25600
	s_wait_dscnt 0x1
	v_add_nc_u32_e32 v60, v60, v109
	s_wait_dscnt 0x0
	global_store_b64 v60, v[58:59], s[44:45] scale_offset
	s_wait_xcnt 0x0
	s_or_b32 exec_lo, exec_lo, s15
	s_and_saveexec_b32 s15, s27
	s_cbranch_execz .LBB701_238
.LBB701_302:                            ;   in Loop: Header=BB701_96 Depth=2
	v_lshlrev_b32_e32 v58, 2, v151
	ds_load_b32 v60, v58
	ds_load_b64 v[58:59], v123 offset:27648
	s_wait_dscnt 0x1
	v_add_nc_u32_e32 v60, v60, v110
	s_wait_dscnt 0x0
	global_store_b64 v60, v[58:59], s[44:45] scale_offset
	s_wait_xcnt 0x0
	s_or_b32 exec_lo, exec_lo, s15
	s_and_saveexec_b32 s15, s28
	s_cbranch_execz .LBB701_239
.LBB701_303:                            ;   in Loop: Header=BB701_96 Depth=2
	v_lshlrev_b32_e32 v58, 2, v150
	ds_load_b32 v60, v58
	ds_load_b64 v[58:59], v123 offset:29696
	s_wait_dscnt 0x1
	v_add_nc_u32_e32 v60, v60, v111
	s_wait_dscnt 0x0
	global_store_b64 v60, v[58:59], s[44:45] scale_offset
	s_wait_xcnt 0x0
	s_or_b32 exec_lo, exec_lo, s15
	s_and_saveexec_b32 s15, s29
	s_cbranch_execnz .LBB701_240
	s_branch .LBB701_241
.LBB701_304:                            ;   in Loop: Header=BB701_12 Depth=1
	s_wait_dscnt 0x0
	s_barrier_signal -1
	s_mov_b32 s7, 0
	s_barrier_wait -1
.LBB701_305:                            ;   in Loop: Header=BB701_12 Depth=1
	s_and_b32 vcc_lo, exec_lo, s7
	s_cbranch_vccz .LBB701_597
; %bb.306:                              ;   in Loop: Header=BB701_12 Depth=1
	s_mov_b32 s7, s54
	s_mov_b32 s30, s52
	s_barrier_signal -1
	s_barrier_wait -1
                                        ; implicit-def: $vgpr22_vgpr23
                                        ; implicit-def: $vgpr24_vgpr25
                                        ; implicit-def: $vgpr26_vgpr27
                                        ; implicit-def: $vgpr28_vgpr29
                                        ; implicit-def: $vgpr30_vgpr31
                                        ; implicit-def: $vgpr32_vgpr33
                                        ; implicit-def: $vgpr34_vgpr35
                                        ; implicit-def: $vgpr36_vgpr37
                                        ; implicit-def: $vgpr38_vgpr39
                                        ; implicit-def: $vgpr40_vgpr41
                                        ; implicit-def: $vgpr42_vgpr43
                                        ; implicit-def: $vgpr44_vgpr45
                                        ; implicit-def: $vgpr46_vgpr47
                                        ; implicit-def: $vgpr48_vgpr49
                                        ; implicit-def: $vgpr50_vgpr51
                                        ; implicit-def: $vgpr52_vgpr53
	s_branch .LBB701_308
.LBB701_307:                            ;   in Loop: Header=BB701_308 Depth=2
	s_or_b32 exec_lo, exec_lo, s8
	s_addk_co_i32 s7, 0xf000
	s_cmp_ge_u32 s10, s51
	s_mov_b32 s30, s10
	s_cbranch_scc1 .LBB701_376
.LBB701_308:                            ;   Parent Loop BB701_12 Depth=1
                                        ; =>  This Inner Loop Header: Depth=2
	s_add_co_i32 s10, s30, 0x1000
	s_mov_b32 s8, -1
	s_cmp_gt_u32 s10, s51
                                        ; implicit-def: $vgpr54_vgpr55
                                        ; implicit-def: $vgpr56_vgpr57
                                        ; implicit-def: $vgpr58_vgpr59
                                        ; implicit-def: $vgpr60_vgpr61
                                        ; implicit-def: $vgpr62_vgpr63
                                        ; implicit-def: $vgpr64_vgpr65
                                        ; implicit-def: $vgpr66_vgpr67
                                        ; implicit-def: $vgpr68_vgpr69
                                        ; implicit-def: $vgpr70_vgpr71
                                        ; implicit-def: $vgpr72_vgpr73
                                        ; implicit-def: $vgpr74_vgpr75
                                        ; implicit-def: $vgpr76_vgpr77
                                        ; implicit-def: $vgpr78_vgpr79
                                        ; implicit-def: $vgpr80_vgpr81
                                        ; implicit-def: $vgpr82_vgpr83
                                        ; implicit-def: $vgpr84_vgpr85
	s_cbranch_scc1 .LBB701_310
; %bb.309:                              ;   in Loop: Header=BB701_308 Depth=2
	v_lshl_add_u64 v[84:85], s[30:31], 3, v[10:11]
	s_mov_b32 s8, 0
	s_clause 0xf
	global_load_b64 v[54:55], v[84:85], off
	global_load_b64 v[56:57], v[84:85], off offset:2048
	global_load_b64 v[58:59], v[84:85], off offset:4096
	;; [unrolled: 1-line block ×15, first 2 shown]
.LBB701_310:                            ;   in Loop: Header=BB701_308 Depth=2
	s_and_not1_b32 vcc_lo, exec_lo, s8
	s_movk_i32 s8, 0x1000
	s_cbranch_vccnz .LBB701_329
; %bb.311:                              ;   in Loop: Header=BB701_308 Depth=2
	s_lshl_b64 s[8:9], s[30:31], 3
	s_mov_b32 s11, exec_lo
	s_add_nc_u64 s[8:9], s[38:39], s[8:9]
	s_wait_xcnt 0x0
	v_cmpx_gt_u32_e64 s7, v2
	s_cbranch_execnz .LBB701_361
; %bb.312:                              ;   in Loop: Header=BB701_308 Depth=2
	s_or_b32 exec_lo, exec_lo, s11
	s_delay_alu instid0(SALU_CYCLE_1)
	s_mov_b32 s11, exec_lo
	v_cmpx_gt_u32_e64 s7, v98
	s_cbranch_execnz .LBB701_362
.LBB701_313:                            ;   in Loop: Header=BB701_308 Depth=2
	s_or_b32 exec_lo, exec_lo, s11
	s_delay_alu instid0(SALU_CYCLE_1)
	s_mov_b32 s11, exec_lo
	v_cmpx_gt_u32_e64 s7, v99
	s_cbranch_execnz .LBB701_363
.LBB701_314:                            ;   in Loop: Header=BB701_308 Depth=2
	s_or_b32 exec_lo, exec_lo, s11
	s_delay_alu instid0(SALU_CYCLE_1)
	s_mov_b32 s11, exec_lo
	v_cmpx_gt_u32_e64 s7, v100
	s_cbranch_execnz .LBB701_364
.LBB701_315:                            ;   in Loop: Header=BB701_308 Depth=2
	s_or_b32 exec_lo, exec_lo, s11
	s_delay_alu instid0(SALU_CYCLE_1)
	s_mov_b32 s11, exec_lo
	v_cmpx_gt_u32_e64 s7, v101
	s_cbranch_execnz .LBB701_365
.LBB701_316:                            ;   in Loop: Header=BB701_308 Depth=2
	s_or_b32 exec_lo, exec_lo, s11
	s_delay_alu instid0(SALU_CYCLE_1)
	s_mov_b32 s11, exec_lo
	v_cmpx_gt_u32_e64 s7, v102
	s_cbranch_execnz .LBB701_366
.LBB701_317:                            ;   in Loop: Header=BB701_308 Depth=2
	s_or_b32 exec_lo, exec_lo, s11
	s_delay_alu instid0(SALU_CYCLE_1)
	s_mov_b32 s11, exec_lo
	v_cmpx_gt_u32_e64 s7, v103
	s_cbranch_execnz .LBB701_367
.LBB701_318:                            ;   in Loop: Header=BB701_308 Depth=2
	s_or_b32 exec_lo, exec_lo, s11
	s_delay_alu instid0(SALU_CYCLE_1)
	s_mov_b32 s11, exec_lo
	v_cmpx_gt_u32_e64 s7, v104
	s_cbranch_execnz .LBB701_368
.LBB701_319:                            ;   in Loop: Header=BB701_308 Depth=2
	s_or_b32 exec_lo, exec_lo, s11
	s_delay_alu instid0(SALU_CYCLE_1)
	s_mov_b32 s11, exec_lo
	v_cmpx_gt_u32_e64 s7, v105
	s_cbranch_execnz .LBB701_369
.LBB701_320:                            ;   in Loop: Header=BB701_308 Depth=2
	s_or_b32 exec_lo, exec_lo, s11
	s_delay_alu instid0(SALU_CYCLE_1)
	s_mov_b32 s11, exec_lo
	v_cmpx_gt_u32_e64 s7, v106
	s_cbranch_execnz .LBB701_370
.LBB701_321:                            ;   in Loop: Header=BB701_308 Depth=2
	s_or_b32 exec_lo, exec_lo, s11
	s_delay_alu instid0(SALU_CYCLE_1)
	s_mov_b32 s11, exec_lo
	v_cmpx_gt_u32_e64 s7, v107
	s_cbranch_execnz .LBB701_371
.LBB701_322:                            ;   in Loop: Header=BB701_308 Depth=2
	s_or_b32 exec_lo, exec_lo, s11
	s_delay_alu instid0(SALU_CYCLE_1)
	s_mov_b32 s11, exec_lo
	v_cmpx_gt_u32_e64 s7, v108
	s_cbranch_execnz .LBB701_372
.LBB701_323:                            ;   in Loop: Header=BB701_308 Depth=2
	s_or_b32 exec_lo, exec_lo, s11
	s_delay_alu instid0(SALU_CYCLE_1)
	s_mov_b32 s11, exec_lo
	v_cmpx_gt_u32_e64 s7, v109
	s_cbranch_execnz .LBB701_373
.LBB701_324:                            ;   in Loop: Header=BB701_308 Depth=2
	s_or_b32 exec_lo, exec_lo, s11
	s_delay_alu instid0(SALU_CYCLE_1)
	s_mov_b32 s11, exec_lo
	v_cmpx_gt_u32_e64 s7, v110
	s_cbranch_execnz .LBB701_374
.LBB701_325:                            ;   in Loop: Header=BB701_308 Depth=2
	s_or_b32 exec_lo, exec_lo, s11
	s_delay_alu instid0(SALU_CYCLE_1)
	s_mov_b32 s11, exec_lo
	v_cmpx_gt_u32_e64 s7, v111
	s_cbranch_execnz .LBB701_375
.LBB701_326:                            ;   in Loop: Header=BB701_308 Depth=2
	s_or_b32 exec_lo, exec_lo, s11
	s_delay_alu instid0(SALU_CYCLE_1)
	s_mov_b32 s11, exec_lo
	v_cmpx_gt_u32_e64 s7, v112
	s_cbranch_execz .LBB701_328
.LBB701_327:                            ;   in Loop: Header=BB701_308 Depth=2
	global_load_b64 v[22:23], v2, s[8:9] offset:30720 scale_offset
.LBB701_328:                            ;   in Loop: Header=BB701_308 Depth=2
	s_wait_xcnt 0x0
	s_or_b32 exec_lo, exec_lo, s11
	s_wait_loadcnt 0x0
	v_mov_b64_e32 v[54:55], v[52:53]
	v_mov_b64_e32 v[56:57], v[50:51]
	;; [unrolled: 1-line block ×16, first 2 shown]
	s_mov_b32 s8, s7
.LBB701_329:                            ;   in Loop: Header=BB701_308 Depth=2
	s_wait_loadcnt 0x0
	s_delay_alu instid0(VALU_DEP_1) | instskip(NEXT) | instid1(VALU_DEP_3)
	v_mov_b64_e32 v[22:23], v[84:85]
	v_mov_b64_e32 v[24:25], v[82:83]
	;; [unrolled: 1-line block ×16, first 2 shown]
	s_mov_b32 s9, exec_lo
	s_wait_xcnt 0x0
	v_cmpx_gt_u32_e64 s8, v2
	s_cbranch_execnz .LBB701_345
; %bb.330:                              ;   in Loop: Header=BB701_308 Depth=2
	s_or_b32 exec_lo, exec_lo, s9
	s_delay_alu instid0(SALU_CYCLE_1)
	s_mov_b32 s9, exec_lo
	v_cmpx_gt_u32_e64 s8, v98
	s_cbranch_execnz .LBB701_346
.LBB701_331:                            ;   in Loop: Header=BB701_308 Depth=2
	s_or_b32 exec_lo, exec_lo, s9
	s_delay_alu instid0(SALU_CYCLE_1)
	s_mov_b32 s9, exec_lo
	v_cmpx_gt_u32_e64 s8, v99
	s_cbranch_execnz .LBB701_347
.LBB701_332:                            ;   in Loop: Header=BB701_308 Depth=2
	s_or_b32 exec_lo, exec_lo, s9
	s_delay_alu instid0(SALU_CYCLE_1)
	s_mov_b32 s9, exec_lo
	v_cmpx_gt_u32_e64 s8, v100
	s_cbranch_execnz .LBB701_348
.LBB701_333:                            ;   in Loop: Header=BB701_308 Depth=2
	s_or_b32 exec_lo, exec_lo, s9
	s_delay_alu instid0(SALU_CYCLE_1)
	s_mov_b32 s9, exec_lo
	v_cmpx_gt_u32_e64 s8, v101
	s_cbranch_execnz .LBB701_349
.LBB701_334:                            ;   in Loop: Header=BB701_308 Depth=2
	s_or_b32 exec_lo, exec_lo, s9
	s_delay_alu instid0(SALU_CYCLE_1)
	s_mov_b32 s9, exec_lo
	v_cmpx_gt_u32_e64 s8, v102
	s_cbranch_execnz .LBB701_350
.LBB701_335:                            ;   in Loop: Header=BB701_308 Depth=2
	s_or_b32 exec_lo, exec_lo, s9
	s_delay_alu instid0(SALU_CYCLE_1)
	s_mov_b32 s9, exec_lo
	v_cmpx_gt_u32_e64 s8, v103
	s_cbranch_execnz .LBB701_351
.LBB701_336:                            ;   in Loop: Header=BB701_308 Depth=2
	s_or_b32 exec_lo, exec_lo, s9
	s_delay_alu instid0(SALU_CYCLE_1)
	s_mov_b32 s9, exec_lo
	v_cmpx_gt_u32_e64 s8, v104
	s_cbranch_execnz .LBB701_352
.LBB701_337:                            ;   in Loop: Header=BB701_308 Depth=2
	s_or_b32 exec_lo, exec_lo, s9
	s_delay_alu instid0(SALU_CYCLE_1)
	s_mov_b32 s9, exec_lo
	v_cmpx_gt_u32_e64 s8, v105
	s_cbranch_execnz .LBB701_353
.LBB701_338:                            ;   in Loop: Header=BB701_308 Depth=2
	s_or_b32 exec_lo, exec_lo, s9
	s_delay_alu instid0(SALU_CYCLE_1)
	s_mov_b32 s9, exec_lo
	v_cmpx_gt_u32_e64 s8, v106
	s_cbranch_execnz .LBB701_354
.LBB701_339:                            ;   in Loop: Header=BB701_308 Depth=2
	s_or_b32 exec_lo, exec_lo, s9
	s_delay_alu instid0(SALU_CYCLE_1)
	s_mov_b32 s9, exec_lo
	v_cmpx_gt_u32_e64 s8, v107
	s_cbranch_execnz .LBB701_355
.LBB701_340:                            ;   in Loop: Header=BB701_308 Depth=2
	s_or_b32 exec_lo, exec_lo, s9
	s_delay_alu instid0(SALU_CYCLE_1)
	s_mov_b32 s9, exec_lo
	v_cmpx_gt_u32_e64 s8, v108
	s_cbranch_execnz .LBB701_356
.LBB701_341:                            ;   in Loop: Header=BB701_308 Depth=2
	s_or_b32 exec_lo, exec_lo, s9
	s_delay_alu instid0(SALU_CYCLE_1)
	s_mov_b32 s9, exec_lo
	v_cmpx_gt_u32_e64 s8, v109
	s_cbranch_execnz .LBB701_357
.LBB701_342:                            ;   in Loop: Header=BB701_308 Depth=2
	s_or_b32 exec_lo, exec_lo, s9
	s_delay_alu instid0(SALU_CYCLE_1)
	s_mov_b32 s9, exec_lo
	v_cmpx_gt_u32_e64 s8, v110
	s_cbranch_execnz .LBB701_358
.LBB701_343:                            ;   in Loop: Header=BB701_308 Depth=2
	s_or_b32 exec_lo, exec_lo, s9
	s_delay_alu instid0(SALU_CYCLE_1)
	s_mov_b32 s9, exec_lo
	v_cmpx_gt_u32_e64 s8, v111
	s_cbranch_execnz .LBB701_359
.LBB701_344:                            ;   in Loop: Header=BB701_308 Depth=2
	s_or_b32 exec_lo, exec_lo, s9
	v_cmp_gt_u32_e32 vcc_lo, s8, v112
	s_and_saveexec_b32 s8, vcc_lo
	s_cbranch_execz .LBB701_307
	s_branch .LBB701_360
.LBB701_345:                            ;   in Loop: Header=BB701_308 Depth=2
	s_delay_alu instid0(VALU_DEP_2) | instskip(NEXT) | instid1(VALU_DEP_3)
	v_xor_b32_e32 v55, 0x7fffffff, v53
	v_not_b32_e32 v54, v52
	s_delay_alu instid0(VALU_DEP_1) | instskip(NEXT) | instid1(VALU_DEP_1)
	v_lshrrev_b64 v[54:55], s48, v[54:55]
	v_and_b32_e32 v54, s56, v54
	s_delay_alu instid0(VALU_DEP_1) | instskip(SKIP_2) | instid1(SALU_CYCLE_1)
	v_lshl_or_b32 v54, v54, 4, v113
	ds_add_u32 v54, v125
	s_or_b32 exec_lo, exec_lo, s9
	s_mov_b32 s9, exec_lo
	v_cmpx_gt_u32_e64 s8, v98
	s_cbranch_execz .LBB701_331
.LBB701_346:                            ;   in Loop: Header=BB701_308 Depth=2
	v_xor_b32_e32 v55, 0x7fffffff, v51
	v_not_b32_e32 v54, v50
	s_delay_alu instid0(VALU_DEP_1) | instskip(NEXT) | instid1(VALU_DEP_1)
	v_lshrrev_b64 v[54:55], s48, v[54:55]
	v_and_b32_e32 v54, s56, v54
	s_delay_alu instid0(VALU_DEP_1) | instskip(SKIP_2) | instid1(SALU_CYCLE_1)
	v_lshl_or_b32 v54, v54, 4, v113
	ds_add_u32 v54, v125
	s_or_b32 exec_lo, exec_lo, s9
	s_mov_b32 s9, exec_lo
	v_cmpx_gt_u32_e64 s8, v99
	s_cbranch_execz .LBB701_332
.LBB701_347:                            ;   in Loop: Header=BB701_308 Depth=2
	v_xor_b32_e32 v55, 0x7fffffff, v49
	v_not_b32_e32 v54, v48
	s_delay_alu instid0(VALU_DEP_1) | instskip(NEXT) | instid1(VALU_DEP_1)
	v_lshrrev_b64 v[54:55], s48, v[54:55]
	v_and_b32_e32 v54, s56, v54
	s_delay_alu instid0(VALU_DEP_1) | instskip(SKIP_2) | instid1(SALU_CYCLE_1)
	v_lshl_or_b32 v54, v54, 4, v113
	ds_add_u32 v54, v125
	s_or_b32 exec_lo, exec_lo, s9
	s_mov_b32 s9, exec_lo
	v_cmpx_gt_u32_e64 s8, v100
	s_cbranch_execz .LBB701_333
.LBB701_348:                            ;   in Loop: Header=BB701_308 Depth=2
	v_xor_b32_e32 v55, 0x7fffffff, v47
	v_not_b32_e32 v54, v46
	s_delay_alu instid0(VALU_DEP_1) | instskip(NEXT) | instid1(VALU_DEP_1)
	v_lshrrev_b64 v[54:55], s48, v[54:55]
	v_and_b32_e32 v54, s56, v54
	s_delay_alu instid0(VALU_DEP_1) | instskip(SKIP_2) | instid1(SALU_CYCLE_1)
	v_lshl_or_b32 v54, v54, 4, v113
	ds_add_u32 v54, v125
	s_or_b32 exec_lo, exec_lo, s9
	s_mov_b32 s9, exec_lo
	v_cmpx_gt_u32_e64 s8, v101
	s_cbranch_execz .LBB701_334
.LBB701_349:                            ;   in Loop: Header=BB701_308 Depth=2
	v_xor_b32_e32 v55, 0x7fffffff, v45
	v_not_b32_e32 v54, v44
	s_delay_alu instid0(VALU_DEP_1) | instskip(NEXT) | instid1(VALU_DEP_1)
	v_lshrrev_b64 v[54:55], s48, v[54:55]
	v_and_b32_e32 v54, s56, v54
	s_delay_alu instid0(VALU_DEP_1) | instskip(SKIP_2) | instid1(SALU_CYCLE_1)
	v_lshl_or_b32 v54, v54, 4, v113
	ds_add_u32 v54, v125
	s_or_b32 exec_lo, exec_lo, s9
	s_mov_b32 s9, exec_lo
	v_cmpx_gt_u32_e64 s8, v102
	s_cbranch_execz .LBB701_335
.LBB701_350:                            ;   in Loop: Header=BB701_308 Depth=2
	v_xor_b32_e32 v55, 0x7fffffff, v43
	v_not_b32_e32 v54, v42
	s_delay_alu instid0(VALU_DEP_1) | instskip(NEXT) | instid1(VALU_DEP_1)
	v_lshrrev_b64 v[54:55], s48, v[54:55]
	v_and_b32_e32 v54, s56, v54
	s_delay_alu instid0(VALU_DEP_1) | instskip(SKIP_2) | instid1(SALU_CYCLE_1)
	v_lshl_or_b32 v54, v54, 4, v113
	ds_add_u32 v54, v125
	s_or_b32 exec_lo, exec_lo, s9
	s_mov_b32 s9, exec_lo
	v_cmpx_gt_u32_e64 s8, v103
	s_cbranch_execz .LBB701_336
.LBB701_351:                            ;   in Loop: Header=BB701_308 Depth=2
	v_xor_b32_e32 v55, 0x7fffffff, v41
	v_not_b32_e32 v54, v40
	s_delay_alu instid0(VALU_DEP_1) | instskip(NEXT) | instid1(VALU_DEP_1)
	v_lshrrev_b64 v[54:55], s48, v[54:55]
	v_and_b32_e32 v54, s56, v54
	s_delay_alu instid0(VALU_DEP_1) | instskip(SKIP_2) | instid1(SALU_CYCLE_1)
	v_lshl_or_b32 v54, v54, 4, v113
	ds_add_u32 v54, v125
	s_or_b32 exec_lo, exec_lo, s9
	s_mov_b32 s9, exec_lo
	v_cmpx_gt_u32_e64 s8, v104
	s_cbranch_execz .LBB701_337
.LBB701_352:                            ;   in Loop: Header=BB701_308 Depth=2
	v_xor_b32_e32 v55, 0x7fffffff, v39
	v_not_b32_e32 v54, v38
	s_delay_alu instid0(VALU_DEP_1) | instskip(NEXT) | instid1(VALU_DEP_1)
	v_lshrrev_b64 v[54:55], s48, v[54:55]
	v_and_b32_e32 v54, s56, v54
	s_delay_alu instid0(VALU_DEP_1) | instskip(SKIP_2) | instid1(SALU_CYCLE_1)
	v_lshl_or_b32 v54, v54, 4, v113
	ds_add_u32 v54, v125
	s_or_b32 exec_lo, exec_lo, s9
	s_mov_b32 s9, exec_lo
	v_cmpx_gt_u32_e64 s8, v105
	s_cbranch_execz .LBB701_338
.LBB701_353:                            ;   in Loop: Header=BB701_308 Depth=2
	v_xor_b32_e32 v55, 0x7fffffff, v37
	v_not_b32_e32 v54, v36
	s_delay_alu instid0(VALU_DEP_1) | instskip(NEXT) | instid1(VALU_DEP_1)
	v_lshrrev_b64 v[54:55], s48, v[54:55]
	v_and_b32_e32 v54, s56, v54
	s_delay_alu instid0(VALU_DEP_1) | instskip(SKIP_2) | instid1(SALU_CYCLE_1)
	v_lshl_or_b32 v54, v54, 4, v113
	ds_add_u32 v54, v125
	s_or_b32 exec_lo, exec_lo, s9
	s_mov_b32 s9, exec_lo
	v_cmpx_gt_u32_e64 s8, v106
	s_cbranch_execz .LBB701_339
.LBB701_354:                            ;   in Loop: Header=BB701_308 Depth=2
	v_xor_b32_e32 v55, 0x7fffffff, v35
	v_not_b32_e32 v54, v34
	s_delay_alu instid0(VALU_DEP_1) | instskip(NEXT) | instid1(VALU_DEP_1)
	v_lshrrev_b64 v[54:55], s48, v[54:55]
	v_and_b32_e32 v54, s56, v54
	s_delay_alu instid0(VALU_DEP_1) | instskip(SKIP_2) | instid1(SALU_CYCLE_1)
	v_lshl_or_b32 v54, v54, 4, v113
	ds_add_u32 v54, v125
	s_or_b32 exec_lo, exec_lo, s9
	s_mov_b32 s9, exec_lo
	v_cmpx_gt_u32_e64 s8, v107
	s_cbranch_execz .LBB701_340
.LBB701_355:                            ;   in Loop: Header=BB701_308 Depth=2
	v_xor_b32_e32 v55, 0x7fffffff, v33
	v_not_b32_e32 v54, v32
	s_delay_alu instid0(VALU_DEP_1) | instskip(NEXT) | instid1(VALU_DEP_1)
	v_lshrrev_b64 v[54:55], s48, v[54:55]
	v_and_b32_e32 v54, s56, v54
	s_delay_alu instid0(VALU_DEP_1) | instskip(SKIP_2) | instid1(SALU_CYCLE_1)
	v_lshl_or_b32 v54, v54, 4, v113
	ds_add_u32 v54, v125
	s_or_b32 exec_lo, exec_lo, s9
	s_mov_b32 s9, exec_lo
	v_cmpx_gt_u32_e64 s8, v108
	s_cbranch_execz .LBB701_341
.LBB701_356:                            ;   in Loop: Header=BB701_308 Depth=2
	v_xor_b32_e32 v55, 0x7fffffff, v31
	v_not_b32_e32 v54, v30
	s_delay_alu instid0(VALU_DEP_1) | instskip(NEXT) | instid1(VALU_DEP_1)
	v_lshrrev_b64 v[54:55], s48, v[54:55]
	v_and_b32_e32 v54, s56, v54
	s_delay_alu instid0(VALU_DEP_1) | instskip(SKIP_2) | instid1(SALU_CYCLE_1)
	v_lshl_or_b32 v54, v54, 4, v113
	ds_add_u32 v54, v125
	s_or_b32 exec_lo, exec_lo, s9
	s_mov_b32 s9, exec_lo
	v_cmpx_gt_u32_e64 s8, v109
	s_cbranch_execz .LBB701_342
.LBB701_357:                            ;   in Loop: Header=BB701_308 Depth=2
	v_xor_b32_e32 v55, 0x7fffffff, v29
	v_not_b32_e32 v54, v28
	s_delay_alu instid0(VALU_DEP_1) | instskip(NEXT) | instid1(VALU_DEP_1)
	v_lshrrev_b64 v[54:55], s48, v[54:55]
	v_and_b32_e32 v54, s56, v54
	s_delay_alu instid0(VALU_DEP_1) | instskip(SKIP_2) | instid1(SALU_CYCLE_1)
	v_lshl_or_b32 v54, v54, 4, v113
	ds_add_u32 v54, v125
	s_or_b32 exec_lo, exec_lo, s9
	s_mov_b32 s9, exec_lo
	v_cmpx_gt_u32_e64 s8, v110
	s_cbranch_execz .LBB701_343
.LBB701_358:                            ;   in Loop: Header=BB701_308 Depth=2
	v_xor_b32_e32 v55, 0x7fffffff, v27
	v_not_b32_e32 v54, v26
	s_delay_alu instid0(VALU_DEP_1) | instskip(NEXT) | instid1(VALU_DEP_1)
	v_lshrrev_b64 v[54:55], s48, v[54:55]
	v_and_b32_e32 v54, s56, v54
	s_delay_alu instid0(VALU_DEP_1) | instskip(SKIP_2) | instid1(SALU_CYCLE_1)
	v_lshl_or_b32 v54, v54, 4, v113
	ds_add_u32 v54, v125
	s_or_b32 exec_lo, exec_lo, s9
	s_mov_b32 s9, exec_lo
	v_cmpx_gt_u32_e64 s8, v111
	s_cbranch_execz .LBB701_344
.LBB701_359:                            ;   in Loop: Header=BB701_308 Depth=2
	v_xor_b32_e32 v55, 0x7fffffff, v25
	v_not_b32_e32 v54, v24
	s_delay_alu instid0(VALU_DEP_1) | instskip(NEXT) | instid1(VALU_DEP_1)
	v_lshrrev_b64 v[54:55], s48, v[54:55]
	v_and_b32_e32 v54, s56, v54
	s_delay_alu instid0(VALU_DEP_1)
	v_lshl_or_b32 v54, v54, 4, v113
	ds_add_u32 v54, v125
	s_or_b32 exec_lo, exec_lo, s9
	v_cmp_gt_u32_e32 vcc_lo, s8, v112
	s_and_saveexec_b32 s8, vcc_lo
	s_cbranch_execz .LBB701_307
.LBB701_360:                            ;   in Loop: Header=BB701_308 Depth=2
	v_xor_b32_e32 v55, 0x7fffffff, v23
	v_not_b32_e32 v54, v22
	s_delay_alu instid0(VALU_DEP_1) | instskip(NEXT) | instid1(VALU_DEP_1)
	v_lshrrev_b64 v[54:55], s48, v[54:55]
	v_and_b32_e32 v54, s56, v54
	s_delay_alu instid0(VALU_DEP_1)
	v_lshl_or_b32 v54, v54, 4, v113
	ds_add_u32 v54, v125
	s_branch .LBB701_307
.LBB701_361:                            ;   in Loop: Header=BB701_308 Depth=2
	global_load_b64 v[52:53], v2, s[8:9] scale_offset
	s_wait_xcnt 0x0
	s_or_b32 exec_lo, exec_lo, s11
	s_delay_alu instid0(SALU_CYCLE_1)
	s_mov_b32 s11, exec_lo
	v_cmpx_gt_u32_e64 s7, v98
	s_cbranch_execz .LBB701_313
.LBB701_362:                            ;   in Loop: Header=BB701_308 Depth=2
	global_load_b64 v[50:51], v2, s[8:9] offset:2048 scale_offset
	s_wait_xcnt 0x0
	s_or_b32 exec_lo, exec_lo, s11
	s_delay_alu instid0(SALU_CYCLE_1)
	s_mov_b32 s11, exec_lo
	v_cmpx_gt_u32_e64 s7, v99
	s_cbranch_execz .LBB701_314
.LBB701_363:                            ;   in Loop: Header=BB701_308 Depth=2
	global_load_b64 v[48:49], v2, s[8:9] offset:4096 scale_offset
	s_wait_xcnt 0x0
	s_or_b32 exec_lo, exec_lo, s11
	s_delay_alu instid0(SALU_CYCLE_1)
	s_mov_b32 s11, exec_lo
	v_cmpx_gt_u32_e64 s7, v100
	s_cbranch_execz .LBB701_315
.LBB701_364:                            ;   in Loop: Header=BB701_308 Depth=2
	global_load_b64 v[46:47], v2, s[8:9] offset:6144 scale_offset
	s_wait_xcnt 0x0
	s_or_b32 exec_lo, exec_lo, s11
	s_delay_alu instid0(SALU_CYCLE_1)
	s_mov_b32 s11, exec_lo
	v_cmpx_gt_u32_e64 s7, v101
	s_cbranch_execz .LBB701_316
.LBB701_365:                            ;   in Loop: Header=BB701_308 Depth=2
	global_load_b64 v[44:45], v2, s[8:9] offset:8192 scale_offset
	s_wait_xcnt 0x0
	s_or_b32 exec_lo, exec_lo, s11
	s_delay_alu instid0(SALU_CYCLE_1)
	s_mov_b32 s11, exec_lo
	v_cmpx_gt_u32_e64 s7, v102
	s_cbranch_execz .LBB701_317
.LBB701_366:                            ;   in Loop: Header=BB701_308 Depth=2
	global_load_b64 v[42:43], v2, s[8:9] offset:10240 scale_offset
	s_wait_xcnt 0x0
	s_or_b32 exec_lo, exec_lo, s11
	s_delay_alu instid0(SALU_CYCLE_1)
	s_mov_b32 s11, exec_lo
	v_cmpx_gt_u32_e64 s7, v103
	s_cbranch_execz .LBB701_318
.LBB701_367:                            ;   in Loop: Header=BB701_308 Depth=2
	global_load_b64 v[40:41], v2, s[8:9] offset:12288 scale_offset
	s_wait_xcnt 0x0
	s_or_b32 exec_lo, exec_lo, s11
	s_delay_alu instid0(SALU_CYCLE_1)
	s_mov_b32 s11, exec_lo
	v_cmpx_gt_u32_e64 s7, v104
	s_cbranch_execz .LBB701_319
.LBB701_368:                            ;   in Loop: Header=BB701_308 Depth=2
	global_load_b64 v[38:39], v2, s[8:9] offset:14336 scale_offset
	s_wait_xcnt 0x0
	s_or_b32 exec_lo, exec_lo, s11
	s_delay_alu instid0(SALU_CYCLE_1)
	s_mov_b32 s11, exec_lo
	v_cmpx_gt_u32_e64 s7, v105
	s_cbranch_execz .LBB701_320
.LBB701_369:                            ;   in Loop: Header=BB701_308 Depth=2
	global_load_b64 v[36:37], v2, s[8:9] offset:16384 scale_offset
	s_wait_xcnt 0x0
	s_or_b32 exec_lo, exec_lo, s11
	s_delay_alu instid0(SALU_CYCLE_1)
	s_mov_b32 s11, exec_lo
	v_cmpx_gt_u32_e64 s7, v106
	s_cbranch_execz .LBB701_321
.LBB701_370:                            ;   in Loop: Header=BB701_308 Depth=2
	global_load_b64 v[34:35], v2, s[8:9] offset:18432 scale_offset
	s_wait_xcnt 0x0
	s_or_b32 exec_lo, exec_lo, s11
	s_delay_alu instid0(SALU_CYCLE_1)
	s_mov_b32 s11, exec_lo
	v_cmpx_gt_u32_e64 s7, v107
	s_cbranch_execz .LBB701_322
.LBB701_371:                            ;   in Loop: Header=BB701_308 Depth=2
	global_load_b64 v[32:33], v2, s[8:9] offset:20480 scale_offset
	s_wait_xcnt 0x0
	s_or_b32 exec_lo, exec_lo, s11
	s_delay_alu instid0(SALU_CYCLE_1)
	s_mov_b32 s11, exec_lo
	v_cmpx_gt_u32_e64 s7, v108
	s_cbranch_execz .LBB701_323
.LBB701_372:                            ;   in Loop: Header=BB701_308 Depth=2
	global_load_b64 v[30:31], v2, s[8:9] offset:22528 scale_offset
	s_wait_xcnt 0x0
	s_or_b32 exec_lo, exec_lo, s11
	s_delay_alu instid0(SALU_CYCLE_1)
	s_mov_b32 s11, exec_lo
	v_cmpx_gt_u32_e64 s7, v109
	s_cbranch_execz .LBB701_324
.LBB701_373:                            ;   in Loop: Header=BB701_308 Depth=2
	global_load_b64 v[28:29], v2, s[8:9] offset:24576 scale_offset
	s_wait_xcnt 0x0
	s_or_b32 exec_lo, exec_lo, s11
	s_delay_alu instid0(SALU_CYCLE_1)
	s_mov_b32 s11, exec_lo
	v_cmpx_gt_u32_e64 s7, v110
	s_cbranch_execz .LBB701_325
.LBB701_374:                            ;   in Loop: Header=BB701_308 Depth=2
	global_load_b64 v[26:27], v2, s[8:9] offset:26624 scale_offset
	s_wait_xcnt 0x0
	s_or_b32 exec_lo, exec_lo, s11
	s_delay_alu instid0(SALU_CYCLE_1)
	s_mov_b32 s11, exec_lo
	v_cmpx_gt_u32_e64 s7, v111
	s_cbranch_execz .LBB701_326
.LBB701_375:                            ;   in Loop: Header=BB701_308 Depth=2
	global_load_b64 v[24:25], v2, s[8:9] offset:28672 scale_offset
	s_wait_xcnt 0x0
	s_or_b32 exec_lo, exec_lo, s11
	s_delay_alu instid0(SALU_CYCLE_1)
	s_mov_b32 s11, exec_lo
	v_cmpx_gt_u32_e64 s7, v112
	s_cbranch_execnz .LBB701_327
	s_branch .LBB701_328
.LBB701_376:                            ;   in Loop: Header=BB701_12 Depth=1
	v_mov_b32_e32 v22, 0
	s_wait_dscnt 0x0
	s_barrier_signal -1
	s_barrier_wait -1
	s_and_saveexec_b32 s7, s0
	s_cbranch_execz .LBB701_378
; %bb.377:                              ;   in Loop: Header=BB701_12 Depth=1
	ds_load_2addr_b64 v[22:25], v115 offset1:1
	s_wait_dscnt 0x0
	v_add_nc_u32_e32 v22, v23, v22
	s_delay_alu instid0(VALU_DEP_1)
	v_add3_u32 v22, v22, v24, v25
.LBB701_378:                            ;   in Loop: Header=BB701_12 Depth=1
	s_or_b32 exec_lo, exec_lo, s7
	s_delay_alu instid0(VALU_DEP_1)
	v_mov_b32_dpp v23, v22 row_shr:1 row_mask:0xf bank_mask:0xf
	v_cmp_eq_u32_e64 s7, 0, v126
	v_cmp_lt_u32_e64 s8, 1, v126
	v_cmp_lt_u32_e64 s9, 3, v126
	;; [unrolled: 1-line block ×3, first 2 shown]
	v_cmp_eq_u32_e64 s11, 0, v128
	v_cndmask_b32_e64 v23, v23, 0, s7
	s_delay_alu instid0(VALU_DEP_1) | instskip(NEXT) | instid1(VALU_DEP_1)
	v_add_nc_u32_e32 v22, v23, v22
	v_mov_b32_dpp v23, v22 row_shr:2 row_mask:0xf bank_mask:0xf
	s_delay_alu instid0(VALU_DEP_1) | instskip(NEXT) | instid1(VALU_DEP_1)
	v_cndmask_b32_e64 v23, 0, v23, s8
	v_add_nc_u32_e32 v22, v22, v23
	s_delay_alu instid0(VALU_DEP_1) | instskip(NEXT) | instid1(VALU_DEP_1)
	v_mov_b32_dpp v23, v22 row_shr:4 row_mask:0xf bank_mask:0xf
	v_cndmask_b32_e64 v23, 0, v23, s9
	s_delay_alu instid0(VALU_DEP_1) | instskip(NEXT) | instid1(VALU_DEP_1)
	v_add_nc_u32_e32 v22, v22, v23
	v_mov_b32_dpp v23, v22 row_shr:8 row_mask:0xf bank_mask:0xf
	s_delay_alu instid0(VALU_DEP_1) | instskip(NEXT) | instid1(VALU_DEP_1)
	v_cndmask_b32_e64 v23, 0, v23, s10
	v_add_nc_u32_e32 v22, v22, v23
	ds_swizzle_b32 v23, v22 offset:swizzle(BROADCAST,32,15)
	s_wait_dscnt 0x0
	v_and_b32_e32 v23, v127, v23
	s_delay_alu instid0(VALU_DEP_1)
	v_add_nc_u32_e32 v22, v22, v23
	s_and_saveexec_b32 s12, s1
; %bb.379:                              ;   in Loop: Header=BB701_12 Depth=1
	ds_store_b32 v116, v22
; %bb.380:                              ;   in Loop: Header=BB701_12 Depth=1
	s_or_b32 exec_lo, exec_lo, s12
	s_wait_dscnt 0x0
	s_barrier_signal -1
	s_barrier_wait -1
	s_and_saveexec_b32 s12, s4
	s_cbranch_execz .LBB701_382
; %bb.381:                              ;   in Loop: Header=BB701_12 Depth=1
	ds_load_b32 v23, v117
	v_cmp_ne_u32_e32 vcc_lo, 0, v130
	s_wait_dscnt 0x0
	v_mov_b32_dpp v24, v23 row_shr:1 row_mask:0xf bank_mask:0xf
	s_delay_alu instid0(VALU_DEP_1) | instskip(SKIP_1) | instid1(VALU_DEP_2)
	v_cndmask_b32_e32 v24, 0, v24, vcc_lo
	v_cmp_lt_u32_e32 vcc_lo, 1, v130
	v_add_nc_u32_e32 v23, v24, v23
	s_delay_alu instid0(VALU_DEP_1) | instskip(NEXT) | instid1(VALU_DEP_1)
	v_mov_b32_dpp v24, v23 row_shr:2 row_mask:0xf bank_mask:0xf
	v_cndmask_b32_e32 v24, 0, v24, vcc_lo
	v_cmp_lt_u32_e32 vcc_lo, 3, v130
	s_delay_alu instid0(VALU_DEP_2) | instskip(NEXT) | instid1(VALU_DEP_1)
	v_add_nc_u32_e32 v23, v23, v24
	v_mov_b32_dpp v24, v23 row_shr:4 row_mask:0xf bank_mask:0xf
	s_delay_alu instid0(VALU_DEP_1) | instskip(NEXT) | instid1(VALU_DEP_1)
	v_cndmask_b32_e32 v24, 0, v24, vcc_lo
	v_add_nc_u32_e32 v23, v23, v24
	ds_store_b32 v117, v23
.LBB701_382:                            ;   in Loop: Header=BB701_12 Depth=1
	s_or_b32 exec_lo, exec_lo, s12
	v_mov_b32_e32 v23, 0
	s_wait_dscnt 0x0
	s_barrier_signal -1
	s_barrier_wait -1
	s_and_saveexec_b32 s12, s5
; %bb.383:                              ;   in Loop: Header=BB701_12 Depth=1
	ds_load_b32 v23, v118
; %bb.384:                              ;   in Loop: Header=BB701_12 Depth=1
	s_or_b32 exec_lo, exec_lo, s12
	v_cmp_gt_i32_e32 vcc_lo, 0, v131
	s_wait_dscnt 0x0
	s_barrier_signal -1
	s_barrier_wait -1
	v_cndmask_b32_e32 v24, v131, v124, vcc_lo
	s_delay_alu instid0(VALU_DEP_1)
	v_dual_add_nc_u32 v22, v23, v22 :: v_dual_lshlrev_b32 v147, 2, v24
	ds_bpermute_b32 v22, v147, v22
	s_and_saveexec_b32 s12, s0
	s_cbranch_execz .LBB701_386
; %bb.385:                              ;   in Loop: Header=BB701_12 Depth=1
	s_wait_dscnt 0x0
	v_cndmask_b32_e64 v22, v22, v23, s6
	s_delay_alu instid0(VALU_DEP_1)
	v_add_nc_u32_e32 v22, s52, v22
	ds_store_b32 v3, v22
.LBB701_386:                            ;   in Loop: Header=BB701_12 Depth=1
	s_or_b32 exec_lo, exec_lo, s12
	s_load_b64 s[12:13], s[34:35], 0x0
	v_add_nc_u64_e32 v[24:25], v[14:15], v[4:5]
	s_mov_b32 s57, s54
                                        ; implicit-def: $vgpr28_vgpr29
                                        ; implicit-def: $vgpr30_vgpr31
                                        ; implicit-def: $vgpr32_vgpr33
                                        ; implicit-def: $vgpr34_vgpr35
                                        ; implicit-def: $vgpr36_vgpr37
                                        ; implicit-def: $vgpr38_vgpr39
                                        ; implicit-def: $vgpr40_vgpr41
                                        ; implicit-def: $vgpr42_vgpr43
                                        ; implicit-def: $vgpr44_vgpr45
                                        ; implicit-def: $vgpr46_vgpr47
                                        ; implicit-def: $vgpr48_vgpr49
                                        ; implicit-def: $vgpr50_vgpr51
                                        ; implicit-def: $vgpr52_vgpr53
                                        ; implicit-def: $vgpr54_vgpr55
                                        ; implicit-def: $vgpr56_vgpr57
                                        ; implicit-def: $vgpr149
                                        ; implicit-def: $vgpr150
                                        ; implicit-def: $vgpr151
                                        ; implicit-def: $vgpr152
                                        ; implicit-def: $vgpr153
                                        ; implicit-def: $vgpr154
                                        ; implicit-def: $vgpr155
                                        ; implicit-def: $vgpr156
                                        ; implicit-def: $vgpr157
                                        ; implicit-def: $vgpr158
                                        ; implicit-def: $vgpr159
                                        ; implicit-def: $vgpr160
                                        ; implicit-def: $vgpr161
                                        ; implicit-def: $vgpr162
                                        ; implicit-def: $vgpr163
                                        ; implicit-def: $vgpr164
	s_wait_kmcnt 0x0
	s_cmp_lt_u32 s33, s12
	s_cselect_b32 s30, 12, 18
	s_cmp_lt_u32 s42, s13
	s_mov_b32 s13, s31
	s_cselect_b32 s12, 14, 20
	s_delay_alu instid0(SALU_CYCLE_1)
	s_add_nc_u64 s[12:13], s[34:35], s[12:13]
	s_load_u16 s14, s[12:13], 0x0
	s_wait_xcnt 0x0
	s_add_nc_u64 s[12:13], s[34:35], s[30:31]
	s_mov_b32 s30, s52
	s_load_u16 s12, s[12:13], 0x0
	s_wait_xcnt 0x0
	v_cmp_lt_u32_e64 s13, 1, v130
	s_wait_dscnt 0x0
	s_wait_kmcnt 0x0
	v_mad_u32_u24 v22, v119, s14, v121
	v_cmp_lt_u32_e64 s14, 3, v130
	s_delay_alu instid0(VALU_DEP_2) | instskip(SKIP_1) | instid1(VALU_DEP_2)
	v_mad_u32 v22, v22, s12, v2
	v_cmp_eq_u32_e64 s12, 0, v130
	v_lshrrev_b32_e32 v26, 3, v22
	v_add_nc_u64_e32 v[22:23], v[12:13], v[4:5]
	s_delay_alu instid0(VALU_DEP_2)
	v_and_b32_e32 v148, 0x1ffffffc, v26
                                        ; implicit-def: $vgpr26_vgpr27
	s_branch .LBB701_388
.LBB701_387:                            ;   in Loop: Header=BB701_388 Depth=2
	s_or_b32 exec_lo, exec_lo, s15
	s_addk_co_i32 s57, 0xf000
	s_cmp_lt_u32 s58, s51
	s_mov_b32 s30, s58
	s_cbranch_scc0 .LBB701_596
.LBB701_388:                            ;   Parent Loop BB701_12 Depth=1
                                        ; =>  This Inner Loop Header: Depth=2
	s_add_co_i32 s58, s30, 0x1000
	s_delay_alu instid0(SALU_CYCLE_1)
	s_cmp_gt_u32 s58, s51
	s_cbranch_scc1 .LBB701_390
; %bb.389:                              ;   in Loop: Header=BB701_388 Depth=2
	v_lshl_add_u64 v[58:59], s[30:31], 3, v[24:25]
	s_mov_b32 s15, -1
	s_clause 0xe
	global_load_b64 v[60:61], v[58:59], off
	global_load_b64 v[62:63], v[58:59], off offset:256
	global_load_b64 v[64:65], v[58:59], off offset:512
	;; [unrolled: 1-line block ×14, first 2 shown]
	s_movk_i32 s16, 0x1000
	s_cbranch_execz .LBB701_391
	s_branch .LBB701_422
.LBB701_390:                            ;   in Loop: Header=BB701_388 Depth=2
	s_mov_b32 s15, 0
                                        ; implicit-def: $vgpr60_vgpr61
                                        ; implicit-def: $vgpr62_vgpr63
                                        ; implicit-def: $vgpr64_vgpr65
                                        ; implicit-def: $vgpr70_vgpr71
                                        ; implicit-def: $vgpr74_vgpr75
                                        ; implicit-def: $vgpr78_vgpr79
                                        ; implicit-def: $vgpr82_vgpr83
                                        ; implicit-def: $vgpr86_vgpr87
                                        ; implicit-def: $vgpr88_vgpr89
                                        ; implicit-def: $vgpr84_vgpr85
                                        ; implicit-def: $vgpr80_vgpr81
                                        ; implicit-def: $vgpr76_vgpr77
                                        ; implicit-def: $vgpr72_vgpr73
                                        ; implicit-def: $vgpr68_vgpr69
                                        ; implicit-def: $vgpr66_vgpr67
	s_movk_i32 s16, 0x1000
.LBB701_391:                            ;   in Loop: Header=BB701_388 Depth=2
	s_wait_loadcnt 0xd
	v_mov_b64_e32 v[62:63], 0x8000000000000000
	v_mov_b64_e32 v[60:61], 0x8000000000000000
	s_wait_xcnt 0x0
	v_lshl_add_u64 v[58:59], s[30:31], 3, v[24:25]
	s_mov_b32 s15, exec_lo
	v_cmpx_gt_u32_e64 s57, v129
	s_cbranch_execz .LBB701_393
; %bb.392:                              ;   in Loop: Header=BB701_388 Depth=2
	global_load_b64 v[60:61], v[58:59], off
.LBB701_393:                            ;   in Loop: Header=BB701_388 Depth=2
	s_wait_xcnt 0x0
	s_or_b32 exec_lo, exec_lo, s15
	s_delay_alu instid0(SALU_CYCLE_1)
	s_mov_b32 s15, exec_lo
	v_cmpx_gt_u32_e64 s57, v132
	s_cbranch_execz .LBB701_395
; %bb.394:                              ;   in Loop: Header=BB701_388 Depth=2
	global_load_b64 v[62:63], v[58:59], off offset:256
.LBB701_395:                            ;   in Loop: Header=BB701_388 Depth=2
	s_wait_xcnt 0x0
	s_or_b32 exec_lo, exec_lo, s15
	s_wait_loadcnt 0xb
	v_mov_b64_e32 v[70:71], 0x8000000000000000
	v_mov_b64_e32 v[64:65], 0x8000000000000000
	s_mov_b32 s15, exec_lo
	v_cmpx_gt_u32_e64 s57, v133
	s_cbranch_execz .LBB701_397
; %bb.396:                              ;   in Loop: Header=BB701_388 Depth=2
	global_load_b64 v[64:65], v[58:59], off offset:512
.LBB701_397:                            ;   in Loop: Header=BB701_388 Depth=2
	s_wait_xcnt 0x0
	s_or_b32 exec_lo, exec_lo, s15
	s_delay_alu instid0(SALU_CYCLE_1)
	s_mov_b32 s15, exec_lo
	v_cmpx_gt_u32_e64 s57, v134
	s_cbranch_execz .LBB701_399
; %bb.398:                              ;   in Loop: Header=BB701_388 Depth=2
	global_load_b64 v[70:71], v[58:59], off offset:768
.LBB701_399:                            ;   in Loop: Header=BB701_388 Depth=2
	s_wait_xcnt 0x0
	s_or_b32 exec_lo, exec_lo, s15
	s_wait_loadcnt 0x9
	v_mov_b64_e32 v[78:79], 0x8000000000000000
	v_mov_b64_e32 v[74:75], 0x8000000000000000
	s_mov_b32 s15, exec_lo
	v_cmpx_gt_u32_e64 s57, v135
	s_cbranch_execz .LBB701_401
; %bb.400:                              ;   in Loop: Header=BB701_388 Depth=2
	global_load_b64 v[74:75], v[58:59], off offset:1024
.LBB701_401:                            ;   in Loop: Header=BB701_388 Depth=2
	;; [unrolled: 20-line block ×6, first 2 shown]
	s_wait_xcnt 0x0
	s_or_b32 exec_lo, exec_lo, s15
	s_delay_alu instid0(SALU_CYCLE_1)
	s_mov_b32 s15, exec_lo
	v_cmpx_gt_u32_e64 s57, v144
	s_cbranch_execz .LBB701_419
; %bb.418:                              ;   in Loop: Header=BB701_388 Depth=2
	global_load_b64 v[68:69], v[58:59], off offset:3328
.LBB701_419:                            ;   in Loop: Header=BB701_388 Depth=2
	s_wait_xcnt 0x0
	s_or_b32 exec_lo, exec_lo, s15
	s_wait_loadcnt 0x0
	v_mov_b64_e32 v[66:67], 0x8000000000000000
	s_mov_b32 s15, exec_lo
	v_cmpx_gt_u32_e64 s57, v145
	s_cbranch_execz .LBB701_421
; %bb.420:                              ;   in Loop: Header=BB701_388 Depth=2
	global_load_b64 v[66:67], v[58:59], off offset:3584
.LBB701_421:                            ;   in Loop: Header=BB701_388 Depth=2
	s_wait_xcnt 0x0
	s_or_b32 exec_lo, exec_lo, s15
	v_cmp_gt_u32_e64 s15, s57, v146
	s_sub_co_i32 s16, s51, s30
.LBB701_422:                            ;   in Loop: Header=BB701_388 Depth=2
	s_wait_xcnt 0x0
	v_mov_b64_e32 v[58:59], -1
	v_mov_b32_e32 v165, s57
	s_and_saveexec_b32 s17, s15
	s_cbranch_execz .LBB701_424
; %bb.423:                              ;   in Loop: Header=BB701_388 Depth=2
	v_lshl_add_u64 v[58:59], s[30:31], 3, v[24:25]
	v_mov_b32_e32 v165, s16
	global_load_b64 v[58:59], v[58:59], off offset:3840
	s_wait_loadcnt 0x0
	s_wait_xcnt 0x0
	v_xor_b32_e32 v59, 0x7fffffff, v59
	v_not_b32_e32 v58, v58
.LBB701_424:                            ;   in Loop: Header=BB701_388 Depth=2
	s_or_b32 exec_lo, exec_lo, s17
	s_wait_loadcnt 0xe
	v_xor_b32_e32 v61, 0x7fffffff, v61
	v_not_b32_e32 v60, v60
	v_add_nc_u32_e32 v168, 0x420, v120
	v_add_nc_u32_e32 v169, 0x428, v120
	;; [unrolled: 1-line block ×3, first 2 shown]
	s_delay_alu instid0(VALU_DEP_4) | instskip(NEXT) | instid1(VALU_DEP_1)
	v_lshrrev_b64 v[90:91], s48, v[60:61]
	v_bitop3_b32 v91, v90, 1, s56 bitop3:0x80
	v_and_b32_e32 v92, s56, v90
	s_delay_alu instid0(VALU_DEP_2) | instskip(NEXT) | instid1(VALU_DEP_1)
	v_add_co_u32 v90, s15, v91, -1
	v_cndmask_b32_e64 v91, 0, 1, s15
	s_delay_alu instid0(VALU_DEP_3) | instskip(NEXT) | instid1(VALU_DEP_2)
	v_lshlrev_b32_e32 v93, 30, v92
	v_cmp_ne_u32_e32 vcc_lo, 0, v91
	s_delay_alu instid0(VALU_DEP_2) | instskip(NEXT) | instid1(VALU_DEP_1)
	v_not_b32_e32 v91, v93
	v_dual_ashrrev_i32 v91, 31, v91 :: v_dual_bitop2_b32 v90, vcc_lo, v90 bitop3:0x14
	v_dual_lshlrev_b32 v94, 29, v92 :: v_dual_lshlrev_b32 v95, 28, v92
	v_dual_lshlrev_b32 v96, 27, v92 :: v_dual_lshlrev_b32 v97, 26, v92
	v_lshlrev_b32_e32 v166, 25, v92
	v_cmp_gt_i32_e64 s15, 0, v93
	s_delay_alu instid0(VALU_DEP_4)
	v_cmp_gt_i32_e64 s16, 0, v94
	v_not_b32_e32 v93, v94
	v_not_b32_e32 v94, v95
	v_lshlrev_b32_e32 v167, 24, v92
	v_cmp_gt_i32_e64 s17, 0, v95
	v_cmp_gt_i32_e64 s18, 0, v96
	v_not_b32_e32 v95, v96
	v_cmp_gt_i32_e64 s19, 0, v97
	v_not_b32_e32 v96, v97
	v_not_b32_e32 v97, v166
	v_dual_ashrrev_i32 v93, 31, v93 :: v_dual_ashrrev_i32 v94, 31, v94
	v_xor_b32_e32 v91, s15, v91
	s_delay_alu instid0(VALU_DEP_4) | instskip(NEXT) | instid1(VALU_DEP_3)
	v_dual_ashrrev_i32 v95, 31, v95 :: v_dual_ashrrev_i32 v96, 31, v96
	v_dual_ashrrev_i32 v97, 31, v97 :: v_dual_bitop2_b32 v94, s17, v94 bitop3:0x14
	s_delay_alu instid0(VALU_DEP_3)
	v_bitop3_b32 v90, v90, v91, exec_lo bitop3:0x80
	v_not_b32_e32 v91, v167
	v_xor_b32_e32 v93, s16, v93
	v_xor_b32_e32 v95, s18, v95
	;; [unrolled: 1-line block ×3, first 2 shown]
	v_cmp_gt_i32_e32 vcc_lo, 0, v166
	v_cmp_gt_i32_e64 s15, 0, v167
	v_ashrrev_i32_e32 v91, 31, v91
	v_bitop3_b32 v90, v90, v94, v93 bitop3:0x80
	v_add_nc_u32_e32 v167, 0x438, v120
	v_xor_b32_e32 v93, vcc_lo, v97
	s_delay_alu instid0(VALU_DEP_4) | instskip(NEXT) | instid1(VALU_DEP_4)
	v_xor_b32_e32 v91, s15, v91
	v_bitop3_b32 v90, v90, v96, v95 bitop3:0x80
	ds_store_2addr_b32 v167, v5, v5 offset1:1
	ds_store_2addr_b32 v168, v5, v5 offset1:1
	;; [unrolled: 1-line block ×4, first 2 shown]
	ds_store_b32 v120, v5 offset:1088
	s_wait_loadcnt_dscnt 0x0
	s_barrier_signal -1
	v_bitop3_b32 v90, v90, v91, v93 bitop3:0x80
	v_mul_u32_u24_e32 v91, 36, v92
	s_barrier_wait -1
	s_delay_alu instid0(VALU_DEP_2) | instskip(SKIP_1) | instid1(VALU_DEP_3)
	v_mbcnt_lo_u32_b32 v166, v90, 0
	v_cmp_ne_u32_e64 s15, 0, v90
	v_add_nc_u32_e32 v171, v148, v91
	; wave barrier
	s_delay_alu instid0(VALU_DEP_3) | instskip(SKIP_1) | instid1(SALU_CYCLE_1)
	v_cmp_eq_u32_e32 vcc_lo, 0, v166
	s_and_b32 s16, s15, vcc_lo
	s_and_saveexec_b32 s15, s16
; %bb.425:                              ;   in Loop: Header=BB701_388 Depth=2
	v_bcnt_u32_b32 v90, v90, 0
	ds_store_b32 v171, v90 offset:1056
; %bb.426:                              ;   in Loop: Header=BB701_388 Depth=2
	s_or_b32 exec_lo, exec_lo, s15
	v_xor_b32_e32 v63, 0x7fffffff, v63
	v_not_b32_e32 v62, v62
	; wave barrier
	s_delay_alu instid0(VALU_DEP_1) | instskip(NEXT) | instid1(VALU_DEP_1)
	v_lshrrev_b64 v[90:91], s48, v[62:63]
	v_bitop3_b32 v91, v90, 1, s56 bitop3:0x80
	v_and_b32_e32 v92, s56, v90
	s_delay_alu instid0(VALU_DEP_2) | instskip(NEXT) | instid1(VALU_DEP_1)
	v_add_co_u32 v90, s15, v91, -1
	v_cndmask_b32_e64 v91, 0, 1, s15
	s_delay_alu instid0(VALU_DEP_3) | instskip(NEXT) | instid1(VALU_DEP_2)
	v_lshlrev_b32_e32 v93, 30, v92
	v_cmp_ne_u32_e32 vcc_lo, 0, v91
	s_delay_alu instid0(VALU_DEP_2) | instskip(NEXT) | instid1(VALU_DEP_1)
	v_not_b32_e32 v91, v93
	v_dual_ashrrev_i32 v91, 31, v91 :: v_dual_bitop2_b32 v90, vcc_lo, v90 bitop3:0x14
	v_dual_lshlrev_b32 v94, 29, v92 :: v_dual_lshlrev_b32 v95, 28, v92
	v_dual_lshlrev_b32 v96, 27, v92 :: v_dual_lshlrev_b32 v97, 26, v92
	v_lshlrev_b32_e32 v172, 25, v92
	v_cmp_gt_i32_e64 s15, 0, v93
	s_delay_alu instid0(VALU_DEP_4)
	v_cmp_gt_i32_e64 s16, 0, v94
	v_not_b32_e32 v93, v94
	v_not_b32_e32 v94, v95
	v_lshlrev_b32_e32 v173, 24, v92
	v_cmp_gt_i32_e64 s17, 0, v95
	v_cmp_gt_i32_e64 s18, 0, v96
	v_not_b32_e32 v95, v96
	v_not_b32_e32 v96, v97
	v_dual_ashrrev_i32 v93, 31, v93 :: v_dual_ashrrev_i32 v94, 31, v94
	v_xor_b32_e32 v91, s15, v91
	v_cmp_gt_i32_e64 s19, 0, v97
	v_not_b32_e32 v97, v172
	s_delay_alu instid0(VALU_DEP_4) | instskip(SKIP_1) | instid1(VALU_DEP_3)
	v_dual_ashrrev_i32 v95, 31, v95 :: v_dual_bitop2_b32 v93, s16, v93 bitop3:0x14
	v_dual_ashrrev_i32 v96, 31, v96 :: v_dual_bitop2_b32 v94, s17, v94 bitop3:0x14
	v_ashrrev_i32_e32 v97, 31, v97
	v_bitop3_b32 v90, v90, v91, exec_lo bitop3:0x80
	v_not_b32_e32 v91, v173
	v_cmp_gt_i32_e64 s20, 0, v172
	v_xor_b32_e32 v95, s18, v95
	v_xor_b32_e32 v96, s19, v96
	v_bitop3_b32 v90, v90, v94, v93 bitop3:0x80
	v_cmp_gt_i32_e32 vcc_lo, 0, v173
	v_ashrrev_i32_e32 v91, 31, v91
	v_mad_u32_u24 v93, v92, 36, v148
	v_xor_b32_e32 v94, s20, v97
	v_bitop3_b32 v90, v90, v96, v95 bitop3:0x80
	s_delay_alu instid0(VALU_DEP_4) | instskip(SKIP_3) | instid1(VALU_DEP_2)
	v_xor_b32_e32 v91, vcc_lo, v91
	ds_load_b32 v172, v93 offset:1056
	; wave barrier
	v_bitop3_b32 v90, v90, v91, v94 bitop3:0x80
	v_mul_u32_u24_e32 v91, 36, v92
	v_mbcnt_lo_u32_b32 v173, v90, 0
	v_cmp_ne_u32_e64 s15, 0, v90
	s_delay_alu instid0(VALU_DEP_3) | instskip(NEXT) | instid1(VALU_DEP_3)
	v_add_nc_u32_e32 v174, v148, v91
	v_cmp_eq_u32_e32 vcc_lo, 0, v173
	s_and_b32 s16, s15, vcc_lo
	s_delay_alu instid0(SALU_CYCLE_1)
	s_and_saveexec_b32 s15, s16
	s_cbranch_execz .LBB701_428
; %bb.427:                              ;   in Loop: Header=BB701_388 Depth=2
	s_wait_dscnt 0x0
	v_bcnt_u32_b32 v90, v90, v172
	ds_store_b32 v174, v90 offset:1056
.LBB701_428:                            ;   in Loop: Header=BB701_388 Depth=2
	s_or_b32 exec_lo, exec_lo, s15
	v_xor_b32_e32 v65, 0x7fffffff, v65
	v_not_b32_e32 v64, v64
	; wave barrier
	s_delay_alu instid0(VALU_DEP_1) | instskip(NEXT) | instid1(VALU_DEP_1)
	v_lshrrev_b64 v[90:91], s48, v[64:65]
	v_bitop3_b32 v91, v90, 1, s56 bitop3:0x80
	v_and_b32_e32 v92, s56, v90
	s_delay_alu instid0(VALU_DEP_2) | instskip(NEXT) | instid1(VALU_DEP_1)
	v_add_co_u32 v90, s15, v91, -1
	v_cndmask_b32_e64 v91, 0, 1, s15
	s_delay_alu instid0(VALU_DEP_3) | instskip(NEXT) | instid1(VALU_DEP_2)
	v_lshlrev_b32_e32 v93, 30, v92
	v_cmp_ne_u32_e32 vcc_lo, 0, v91
	s_delay_alu instid0(VALU_DEP_2) | instskip(NEXT) | instid1(VALU_DEP_1)
	v_not_b32_e32 v91, v93
	v_dual_ashrrev_i32 v91, 31, v91 :: v_dual_bitop2_b32 v90, vcc_lo, v90 bitop3:0x14
	v_dual_lshlrev_b32 v94, 29, v92 :: v_dual_lshlrev_b32 v95, 28, v92
	v_dual_lshlrev_b32 v96, 27, v92 :: v_dual_lshlrev_b32 v97, 26, v92
	v_lshlrev_b32_e32 v175, 25, v92
	v_cmp_gt_i32_e64 s15, 0, v93
	s_delay_alu instid0(VALU_DEP_4)
	v_cmp_gt_i32_e64 s16, 0, v94
	v_not_b32_e32 v93, v94
	v_not_b32_e32 v94, v95
	v_lshlrev_b32_e32 v176, 24, v92
	v_cmp_gt_i32_e64 s17, 0, v95
	v_cmp_gt_i32_e64 s18, 0, v96
	v_not_b32_e32 v95, v96
	v_not_b32_e32 v96, v97
	v_dual_ashrrev_i32 v93, 31, v93 :: v_dual_ashrrev_i32 v94, 31, v94
	v_xor_b32_e32 v91, s15, v91
	v_cmp_gt_i32_e64 s19, 0, v97
	v_not_b32_e32 v97, v175
	s_delay_alu instid0(VALU_DEP_4) | instskip(SKIP_1) | instid1(VALU_DEP_3)
	v_dual_ashrrev_i32 v95, 31, v95 :: v_dual_bitop2_b32 v93, s16, v93 bitop3:0x14
	v_dual_ashrrev_i32 v96, 31, v96 :: v_dual_bitop2_b32 v94, s17, v94 bitop3:0x14
	v_ashrrev_i32_e32 v97, 31, v97
	v_bitop3_b32 v90, v90, v91, exec_lo bitop3:0x80
	v_not_b32_e32 v91, v176
	v_cmp_gt_i32_e64 s20, 0, v175
	v_xor_b32_e32 v95, s18, v95
	v_xor_b32_e32 v96, s19, v96
	v_bitop3_b32 v90, v90, v94, v93 bitop3:0x80
	v_cmp_gt_i32_e32 vcc_lo, 0, v176
	v_ashrrev_i32_e32 v91, 31, v91
	v_mad_u32_u24 v93, v92, 36, v148
	v_xor_b32_e32 v94, s20, v97
	v_bitop3_b32 v90, v90, v96, v95 bitop3:0x80
	s_delay_alu instid0(VALU_DEP_4) | instskip(SKIP_3) | instid1(VALU_DEP_2)
	v_xor_b32_e32 v91, vcc_lo, v91
	ds_load_b32 v175, v93 offset:1056
	; wave barrier
	v_bitop3_b32 v90, v90, v91, v94 bitop3:0x80
	v_mul_u32_u24_e32 v91, 36, v92
	v_mbcnt_lo_u32_b32 v176, v90, 0
	v_cmp_ne_u32_e64 s15, 0, v90
	s_delay_alu instid0(VALU_DEP_3) | instskip(NEXT) | instid1(VALU_DEP_3)
	v_add_nc_u32_e32 v177, v148, v91
	v_cmp_eq_u32_e32 vcc_lo, 0, v176
	s_and_b32 s16, s15, vcc_lo
	s_delay_alu instid0(SALU_CYCLE_1)
	s_and_saveexec_b32 s15, s16
	s_cbranch_execz .LBB701_430
; %bb.429:                              ;   in Loop: Header=BB701_388 Depth=2
	s_wait_dscnt 0x0
	v_bcnt_u32_b32 v90, v90, v175
	ds_store_b32 v177, v90 offset:1056
.LBB701_430:                            ;   in Loop: Header=BB701_388 Depth=2
	s_or_b32 exec_lo, exec_lo, s15
	v_xor_b32_e32 v71, 0x7fffffff, v71
	v_not_b32_e32 v70, v70
	; wave barrier
	s_delay_alu instid0(VALU_DEP_1) | instskip(NEXT) | instid1(VALU_DEP_1)
	v_lshrrev_b64 v[90:91], s48, v[70:71]
	v_bitop3_b32 v91, v90, 1, s56 bitop3:0x80
	v_and_b32_e32 v92, s56, v90
	s_delay_alu instid0(VALU_DEP_2) | instskip(NEXT) | instid1(VALU_DEP_1)
	v_add_co_u32 v90, s15, v91, -1
	v_cndmask_b32_e64 v91, 0, 1, s15
	s_delay_alu instid0(VALU_DEP_3) | instskip(NEXT) | instid1(VALU_DEP_2)
	v_lshlrev_b32_e32 v93, 30, v92
	v_cmp_ne_u32_e32 vcc_lo, 0, v91
	s_delay_alu instid0(VALU_DEP_2) | instskip(NEXT) | instid1(VALU_DEP_1)
	v_not_b32_e32 v91, v93
	v_dual_ashrrev_i32 v91, 31, v91 :: v_dual_bitop2_b32 v90, vcc_lo, v90 bitop3:0x14
	v_dual_lshlrev_b32 v94, 29, v92 :: v_dual_lshlrev_b32 v95, 28, v92
	v_dual_lshlrev_b32 v96, 27, v92 :: v_dual_lshlrev_b32 v97, 26, v92
	v_lshlrev_b32_e32 v178, 25, v92
	v_cmp_gt_i32_e64 s15, 0, v93
	s_delay_alu instid0(VALU_DEP_4)
	v_cmp_gt_i32_e64 s16, 0, v94
	v_not_b32_e32 v93, v94
	v_not_b32_e32 v94, v95
	v_lshlrev_b32_e32 v179, 24, v92
	v_cmp_gt_i32_e64 s17, 0, v95
	v_cmp_gt_i32_e64 s18, 0, v96
	v_not_b32_e32 v95, v96
	v_not_b32_e32 v96, v97
	v_dual_ashrrev_i32 v93, 31, v93 :: v_dual_ashrrev_i32 v94, 31, v94
	v_xor_b32_e32 v91, s15, v91
	v_cmp_gt_i32_e64 s19, 0, v97
	v_not_b32_e32 v97, v178
	s_delay_alu instid0(VALU_DEP_4) | instskip(SKIP_1) | instid1(VALU_DEP_3)
	v_dual_ashrrev_i32 v95, 31, v95 :: v_dual_bitop2_b32 v93, s16, v93 bitop3:0x14
	v_dual_ashrrev_i32 v96, 31, v96 :: v_dual_bitop2_b32 v94, s17, v94 bitop3:0x14
	v_ashrrev_i32_e32 v97, 31, v97
	v_bitop3_b32 v90, v90, v91, exec_lo bitop3:0x80
	v_not_b32_e32 v91, v179
	v_cmp_gt_i32_e64 s20, 0, v178
	v_xor_b32_e32 v95, s18, v95
	v_xor_b32_e32 v96, s19, v96
	v_bitop3_b32 v90, v90, v94, v93 bitop3:0x80
	v_cmp_gt_i32_e32 vcc_lo, 0, v179
	v_ashrrev_i32_e32 v91, 31, v91
	v_mad_u32_u24 v93, v92, 36, v148
	v_xor_b32_e32 v94, s20, v97
	v_bitop3_b32 v90, v90, v96, v95 bitop3:0x80
	s_delay_alu instid0(VALU_DEP_4) | instskip(SKIP_3) | instid1(VALU_DEP_2)
	v_xor_b32_e32 v91, vcc_lo, v91
	ds_load_b32 v178, v93 offset:1056
	; wave barrier
	v_bitop3_b32 v90, v90, v91, v94 bitop3:0x80
	v_mul_u32_u24_e32 v91, 36, v92
	v_mbcnt_lo_u32_b32 v179, v90, 0
	v_cmp_ne_u32_e64 s15, 0, v90
	s_delay_alu instid0(VALU_DEP_3) | instskip(NEXT) | instid1(VALU_DEP_3)
	v_add_nc_u32_e32 v180, v148, v91
	v_cmp_eq_u32_e32 vcc_lo, 0, v179
	s_and_b32 s16, s15, vcc_lo
	s_delay_alu instid0(SALU_CYCLE_1)
	s_and_saveexec_b32 s15, s16
	s_cbranch_execz .LBB701_432
; %bb.431:                              ;   in Loop: Header=BB701_388 Depth=2
	s_wait_dscnt 0x0
	v_bcnt_u32_b32 v90, v90, v178
	ds_store_b32 v180, v90 offset:1056
.LBB701_432:                            ;   in Loop: Header=BB701_388 Depth=2
	s_or_b32 exec_lo, exec_lo, s15
	v_xor_b32_e32 v75, 0x7fffffff, v75
	v_not_b32_e32 v74, v74
	; wave barrier
	s_delay_alu instid0(VALU_DEP_1) | instskip(NEXT) | instid1(VALU_DEP_1)
	v_lshrrev_b64 v[90:91], s48, v[74:75]
	v_bitop3_b32 v91, v90, 1, s56 bitop3:0x80
	v_and_b32_e32 v92, s56, v90
	s_delay_alu instid0(VALU_DEP_2) | instskip(NEXT) | instid1(VALU_DEP_1)
	v_add_co_u32 v90, s15, v91, -1
	v_cndmask_b32_e64 v91, 0, 1, s15
	s_delay_alu instid0(VALU_DEP_3) | instskip(NEXT) | instid1(VALU_DEP_2)
	v_lshlrev_b32_e32 v93, 30, v92
	v_cmp_ne_u32_e32 vcc_lo, 0, v91
	s_delay_alu instid0(VALU_DEP_2) | instskip(NEXT) | instid1(VALU_DEP_1)
	v_not_b32_e32 v91, v93
	v_dual_ashrrev_i32 v91, 31, v91 :: v_dual_bitop2_b32 v90, vcc_lo, v90 bitop3:0x14
	v_dual_lshlrev_b32 v94, 29, v92 :: v_dual_lshlrev_b32 v95, 28, v92
	v_dual_lshlrev_b32 v96, 27, v92 :: v_dual_lshlrev_b32 v97, 26, v92
	v_lshlrev_b32_e32 v181, 25, v92
	v_cmp_gt_i32_e64 s15, 0, v93
	s_delay_alu instid0(VALU_DEP_4)
	v_cmp_gt_i32_e64 s16, 0, v94
	v_not_b32_e32 v93, v94
	v_not_b32_e32 v94, v95
	v_lshlrev_b32_e32 v182, 24, v92
	v_cmp_gt_i32_e64 s17, 0, v95
	v_cmp_gt_i32_e64 s18, 0, v96
	v_not_b32_e32 v95, v96
	v_not_b32_e32 v96, v97
	v_dual_ashrrev_i32 v93, 31, v93 :: v_dual_ashrrev_i32 v94, 31, v94
	v_xor_b32_e32 v91, s15, v91
	v_cmp_gt_i32_e64 s19, 0, v97
	v_not_b32_e32 v97, v181
	s_delay_alu instid0(VALU_DEP_4) | instskip(SKIP_1) | instid1(VALU_DEP_3)
	v_dual_ashrrev_i32 v95, 31, v95 :: v_dual_bitop2_b32 v93, s16, v93 bitop3:0x14
	v_dual_ashrrev_i32 v96, 31, v96 :: v_dual_bitop2_b32 v94, s17, v94 bitop3:0x14
	v_ashrrev_i32_e32 v97, 31, v97
	v_bitop3_b32 v90, v90, v91, exec_lo bitop3:0x80
	v_not_b32_e32 v91, v182
	v_cmp_gt_i32_e64 s20, 0, v181
	v_xor_b32_e32 v95, s18, v95
	v_xor_b32_e32 v96, s19, v96
	v_bitop3_b32 v90, v90, v94, v93 bitop3:0x80
	v_cmp_gt_i32_e32 vcc_lo, 0, v182
	v_ashrrev_i32_e32 v91, 31, v91
	v_mad_u32_u24 v93, v92, 36, v148
	v_xor_b32_e32 v94, s20, v97
	v_bitop3_b32 v90, v90, v96, v95 bitop3:0x80
	s_delay_alu instid0(VALU_DEP_4) | instskip(SKIP_3) | instid1(VALU_DEP_2)
	v_xor_b32_e32 v91, vcc_lo, v91
	ds_load_b32 v181, v93 offset:1056
	; wave barrier
	v_bitop3_b32 v90, v90, v91, v94 bitop3:0x80
	v_mul_u32_u24_e32 v91, 36, v92
	v_mbcnt_lo_u32_b32 v182, v90, 0
	v_cmp_ne_u32_e64 s15, 0, v90
	s_delay_alu instid0(VALU_DEP_3) | instskip(NEXT) | instid1(VALU_DEP_3)
	v_add_nc_u32_e32 v183, v148, v91
	v_cmp_eq_u32_e32 vcc_lo, 0, v182
	s_and_b32 s16, s15, vcc_lo
	s_delay_alu instid0(SALU_CYCLE_1)
	s_and_saveexec_b32 s15, s16
	s_cbranch_execz .LBB701_434
; %bb.433:                              ;   in Loop: Header=BB701_388 Depth=2
	s_wait_dscnt 0x0
	v_bcnt_u32_b32 v90, v90, v181
	ds_store_b32 v183, v90 offset:1056
.LBB701_434:                            ;   in Loop: Header=BB701_388 Depth=2
	s_or_b32 exec_lo, exec_lo, s15
	v_xor_b32_e32 v79, 0x7fffffff, v79
	v_not_b32_e32 v78, v78
	; wave barrier
	s_delay_alu instid0(VALU_DEP_1) | instskip(NEXT) | instid1(VALU_DEP_1)
	v_lshrrev_b64 v[90:91], s48, v[78:79]
	v_bitop3_b32 v91, v90, 1, s56 bitop3:0x80
	v_and_b32_e32 v92, s56, v90
	s_delay_alu instid0(VALU_DEP_2) | instskip(NEXT) | instid1(VALU_DEP_1)
	v_add_co_u32 v90, s15, v91, -1
	v_cndmask_b32_e64 v91, 0, 1, s15
	s_delay_alu instid0(VALU_DEP_3) | instskip(NEXT) | instid1(VALU_DEP_2)
	v_lshlrev_b32_e32 v93, 30, v92
	v_cmp_ne_u32_e32 vcc_lo, 0, v91
	s_delay_alu instid0(VALU_DEP_2) | instskip(NEXT) | instid1(VALU_DEP_1)
	v_not_b32_e32 v91, v93
	v_dual_ashrrev_i32 v91, 31, v91 :: v_dual_bitop2_b32 v90, vcc_lo, v90 bitop3:0x14
	v_dual_lshlrev_b32 v94, 29, v92 :: v_dual_lshlrev_b32 v95, 28, v92
	v_dual_lshlrev_b32 v96, 27, v92 :: v_dual_lshlrev_b32 v97, 26, v92
	v_lshlrev_b32_e32 v184, 25, v92
	v_cmp_gt_i32_e64 s15, 0, v93
	s_delay_alu instid0(VALU_DEP_4)
	v_cmp_gt_i32_e64 s16, 0, v94
	v_not_b32_e32 v93, v94
	v_not_b32_e32 v94, v95
	v_lshlrev_b32_e32 v185, 24, v92
	v_cmp_gt_i32_e64 s17, 0, v95
	v_cmp_gt_i32_e64 s18, 0, v96
	v_not_b32_e32 v95, v96
	v_not_b32_e32 v96, v97
	v_dual_ashrrev_i32 v93, 31, v93 :: v_dual_ashrrev_i32 v94, 31, v94
	v_xor_b32_e32 v91, s15, v91
	v_cmp_gt_i32_e64 s19, 0, v97
	v_not_b32_e32 v97, v184
	s_delay_alu instid0(VALU_DEP_4) | instskip(SKIP_1) | instid1(VALU_DEP_3)
	v_dual_ashrrev_i32 v95, 31, v95 :: v_dual_bitop2_b32 v93, s16, v93 bitop3:0x14
	v_dual_ashrrev_i32 v96, 31, v96 :: v_dual_bitop2_b32 v94, s17, v94 bitop3:0x14
	v_ashrrev_i32_e32 v97, 31, v97
	v_bitop3_b32 v90, v90, v91, exec_lo bitop3:0x80
	v_not_b32_e32 v91, v185
	v_cmp_gt_i32_e64 s20, 0, v184
	v_xor_b32_e32 v95, s18, v95
	v_xor_b32_e32 v96, s19, v96
	v_bitop3_b32 v90, v90, v94, v93 bitop3:0x80
	v_cmp_gt_i32_e32 vcc_lo, 0, v185
	v_ashrrev_i32_e32 v91, 31, v91
	v_mad_u32_u24 v93, v92, 36, v148
	v_xor_b32_e32 v94, s20, v97
	v_bitop3_b32 v90, v90, v96, v95 bitop3:0x80
	s_delay_alu instid0(VALU_DEP_4) | instskip(SKIP_3) | instid1(VALU_DEP_2)
	v_xor_b32_e32 v91, vcc_lo, v91
	ds_load_b32 v184, v93 offset:1056
	; wave barrier
	v_bitop3_b32 v90, v90, v91, v94 bitop3:0x80
	v_mul_u32_u24_e32 v91, 36, v92
	v_mbcnt_lo_u32_b32 v185, v90, 0
	v_cmp_ne_u32_e64 s15, 0, v90
	s_delay_alu instid0(VALU_DEP_3) | instskip(NEXT) | instid1(VALU_DEP_3)
	v_add_nc_u32_e32 v186, v148, v91
	v_cmp_eq_u32_e32 vcc_lo, 0, v185
	s_and_b32 s16, s15, vcc_lo
	s_delay_alu instid0(SALU_CYCLE_1)
	s_and_saveexec_b32 s15, s16
	s_cbranch_execz .LBB701_436
; %bb.435:                              ;   in Loop: Header=BB701_388 Depth=2
	s_wait_dscnt 0x0
	v_bcnt_u32_b32 v90, v90, v184
	ds_store_b32 v186, v90 offset:1056
.LBB701_436:                            ;   in Loop: Header=BB701_388 Depth=2
	s_or_b32 exec_lo, exec_lo, s15
	v_xor_b32_e32 v83, 0x7fffffff, v83
	v_not_b32_e32 v82, v82
	; wave barrier
	s_delay_alu instid0(VALU_DEP_1) | instskip(NEXT) | instid1(VALU_DEP_1)
	v_lshrrev_b64 v[90:91], s48, v[82:83]
	v_bitop3_b32 v91, v90, 1, s56 bitop3:0x80
	v_and_b32_e32 v92, s56, v90
	s_delay_alu instid0(VALU_DEP_2) | instskip(NEXT) | instid1(VALU_DEP_1)
	v_add_co_u32 v90, s15, v91, -1
	v_cndmask_b32_e64 v91, 0, 1, s15
	s_delay_alu instid0(VALU_DEP_3) | instskip(NEXT) | instid1(VALU_DEP_2)
	v_lshlrev_b32_e32 v93, 30, v92
	v_cmp_ne_u32_e32 vcc_lo, 0, v91
	s_delay_alu instid0(VALU_DEP_2) | instskip(NEXT) | instid1(VALU_DEP_1)
	v_not_b32_e32 v91, v93
	v_dual_ashrrev_i32 v91, 31, v91 :: v_dual_bitop2_b32 v90, vcc_lo, v90 bitop3:0x14
	v_dual_lshlrev_b32 v94, 29, v92 :: v_dual_lshlrev_b32 v95, 28, v92
	v_dual_lshlrev_b32 v96, 27, v92 :: v_dual_lshlrev_b32 v97, 26, v92
	v_lshlrev_b32_e32 v187, 25, v92
	v_cmp_gt_i32_e64 s15, 0, v93
	s_delay_alu instid0(VALU_DEP_4)
	v_cmp_gt_i32_e64 s16, 0, v94
	v_not_b32_e32 v93, v94
	v_not_b32_e32 v94, v95
	v_lshlrev_b32_e32 v188, 24, v92
	v_cmp_gt_i32_e64 s17, 0, v95
	v_cmp_gt_i32_e64 s18, 0, v96
	v_not_b32_e32 v95, v96
	v_not_b32_e32 v96, v97
	v_dual_ashrrev_i32 v93, 31, v93 :: v_dual_ashrrev_i32 v94, 31, v94
	v_xor_b32_e32 v91, s15, v91
	v_cmp_gt_i32_e64 s19, 0, v97
	v_not_b32_e32 v97, v187
	s_delay_alu instid0(VALU_DEP_4) | instskip(SKIP_1) | instid1(VALU_DEP_3)
	v_dual_ashrrev_i32 v95, 31, v95 :: v_dual_bitop2_b32 v93, s16, v93 bitop3:0x14
	v_dual_ashrrev_i32 v96, 31, v96 :: v_dual_bitop2_b32 v94, s17, v94 bitop3:0x14
	v_ashrrev_i32_e32 v97, 31, v97
	v_bitop3_b32 v90, v90, v91, exec_lo bitop3:0x80
	v_not_b32_e32 v91, v188
	v_cmp_gt_i32_e64 s20, 0, v187
	v_xor_b32_e32 v95, s18, v95
	v_xor_b32_e32 v96, s19, v96
	v_bitop3_b32 v90, v90, v94, v93 bitop3:0x80
	v_cmp_gt_i32_e32 vcc_lo, 0, v188
	v_ashrrev_i32_e32 v91, 31, v91
	v_mad_u32_u24 v93, v92, 36, v148
	v_xor_b32_e32 v94, s20, v97
	v_bitop3_b32 v90, v90, v96, v95 bitop3:0x80
	s_delay_alu instid0(VALU_DEP_4) | instskip(SKIP_3) | instid1(VALU_DEP_2)
	v_xor_b32_e32 v91, vcc_lo, v91
	ds_load_b32 v187, v93 offset:1056
	; wave barrier
	v_bitop3_b32 v90, v90, v91, v94 bitop3:0x80
	v_mul_u32_u24_e32 v91, 36, v92
	v_mbcnt_lo_u32_b32 v188, v90, 0
	v_cmp_ne_u32_e64 s15, 0, v90
	s_delay_alu instid0(VALU_DEP_3) | instskip(NEXT) | instid1(VALU_DEP_3)
	v_add_nc_u32_e32 v189, v148, v91
	v_cmp_eq_u32_e32 vcc_lo, 0, v188
	s_and_b32 s16, s15, vcc_lo
	s_delay_alu instid0(SALU_CYCLE_1)
	s_and_saveexec_b32 s15, s16
	s_cbranch_execz .LBB701_438
; %bb.437:                              ;   in Loop: Header=BB701_388 Depth=2
	s_wait_dscnt 0x0
	v_bcnt_u32_b32 v90, v90, v187
	ds_store_b32 v189, v90 offset:1056
.LBB701_438:                            ;   in Loop: Header=BB701_388 Depth=2
	s_or_b32 exec_lo, exec_lo, s15
	v_xor_b32_e32 v87, 0x7fffffff, v87
	v_not_b32_e32 v86, v86
	; wave barrier
	s_delay_alu instid0(VALU_DEP_1) | instskip(NEXT) | instid1(VALU_DEP_1)
	v_lshrrev_b64 v[90:91], s48, v[86:87]
	v_bitop3_b32 v91, v90, 1, s56 bitop3:0x80
	v_and_b32_e32 v92, s56, v90
	s_delay_alu instid0(VALU_DEP_2) | instskip(NEXT) | instid1(VALU_DEP_1)
	v_add_co_u32 v90, s15, v91, -1
	v_cndmask_b32_e64 v91, 0, 1, s15
	s_delay_alu instid0(VALU_DEP_3) | instskip(NEXT) | instid1(VALU_DEP_2)
	v_lshlrev_b32_e32 v93, 30, v92
	v_cmp_ne_u32_e32 vcc_lo, 0, v91
	s_delay_alu instid0(VALU_DEP_2) | instskip(NEXT) | instid1(VALU_DEP_1)
	v_not_b32_e32 v91, v93
	v_dual_ashrrev_i32 v91, 31, v91 :: v_dual_bitop2_b32 v90, vcc_lo, v90 bitop3:0x14
	v_dual_lshlrev_b32 v94, 29, v92 :: v_dual_lshlrev_b32 v95, 28, v92
	v_dual_lshlrev_b32 v96, 27, v92 :: v_dual_lshlrev_b32 v97, 26, v92
	v_lshlrev_b32_e32 v190, 25, v92
	v_cmp_gt_i32_e64 s15, 0, v93
	s_delay_alu instid0(VALU_DEP_4)
	v_cmp_gt_i32_e64 s16, 0, v94
	v_not_b32_e32 v93, v94
	v_not_b32_e32 v94, v95
	v_lshlrev_b32_e32 v191, 24, v92
	v_cmp_gt_i32_e64 s17, 0, v95
	v_cmp_gt_i32_e64 s18, 0, v96
	v_not_b32_e32 v95, v96
	v_not_b32_e32 v96, v97
	v_dual_ashrrev_i32 v93, 31, v93 :: v_dual_ashrrev_i32 v94, 31, v94
	v_xor_b32_e32 v91, s15, v91
	v_cmp_gt_i32_e64 s19, 0, v97
	v_not_b32_e32 v97, v190
	s_delay_alu instid0(VALU_DEP_4) | instskip(SKIP_1) | instid1(VALU_DEP_3)
	v_dual_ashrrev_i32 v95, 31, v95 :: v_dual_bitop2_b32 v93, s16, v93 bitop3:0x14
	v_dual_ashrrev_i32 v96, 31, v96 :: v_dual_bitop2_b32 v94, s17, v94 bitop3:0x14
	v_ashrrev_i32_e32 v97, 31, v97
	v_bitop3_b32 v90, v90, v91, exec_lo bitop3:0x80
	v_not_b32_e32 v91, v191
	v_cmp_gt_i32_e64 s20, 0, v190
	v_xor_b32_e32 v95, s18, v95
	v_xor_b32_e32 v96, s19, v96
	v_bitop3_b32 v90, v90, v94, v93 bitop3:0x80
	v_cmp_gt_i32_e32 vcc_lo, 0, v191
	v_ashrrev_i32_e32 v91, 31, v91
	v_mad_u32_u24 v93, v92, 36, v148
	v_xor_b32_e32 v94, s20, v97
	v_bitop3_b32 v90, v90, v96, v95 bitop3:0x80
	s_delay_alu instid0(VALU_DEP_4) | instskip(SKIP_3) | instid1(VALU_DEP_2)
	v_xor_b32_e32 v91, vcc_lo, v91
	ds_load_b32 v190, v93 offset:1056
	; wave barrier
	v_bitop3_b32 v90, v90, v91, v94 bitop3:0x80
	v_mul_u32_u24_e32 v91, 36, v92
	v_mbcnt_lo_u32_b32 v191, v90, 0
	v_cmp_ne_u32_e64 s15, 0, v90
	s_delay_alu instid0(VALU_DEP_3) | instskip(NEXT) | instid1(VALU_DEP_3)
	v_add_nc_u32_e32 v192, v148, v91
	v_cmp_eq_u32_e32 vcc_lo, 0, v191
	s_and_b32 s16, s15, vcc_lo
	s_delay_alu instid0(SALU_CYCLE_1)
	s_and_saveexec_b32 s15, s16
	s_cbranch_execz .LBB701_440
; %bb.439:                              ;   in Loop: Header=BB701_388 Depth=2
	s_wait_dscnt 0x0
	v_bcnt_u32_b32 v90, v90, v190
	ds_store_b32 v192, v90 offset:1056
.LBB701_440:                            ;   in Loop: Header=BB701_388 Depth=2
	s_or_b32 exec_lo, exec_lo, s15
	v_xor_b32_e32 v89, 0x7fffffff, v89
	v_not_b32_e32 v88, v88
	; wave barrier
	s_delay_alu instid0(VALU_DEP_1) | instskip(NEXT) | instid1(VALU_DEP_1)
	v_lshrrev_b64 v[90:91], s48, v[88:89]
	v_bitop3_b32 v91, v90, 1, s56 bitop3:0x80
	v_and_b32_e32 v92, s56, v90
	s_delay_alu instid0(VALU_DEP_2) | instskip(NEXT) | instid1(VALU_DEP_1)
	v_add_co_u32 v90, s15, v91, -1
	v_cndmask_b32_e64 v91, 0, 1, s15
	s_delay_alu instid0(VALU_DEP_3) | instskip(NEXT) | instid1(VALU_DEP_2)
	v_lshlrev_b32_e32 v93, 30, v92
	v_cmp_ne_u32_e32 vcc_lo, 0, v91
	s_delay_alu instid0(VALU_DEP_2) | instskip(NEXT) | instid1(VALU_DEP_1)
	v_not_b32_e32 v91, v93
	v_dual_ashrrev_i32 v91, 31, v91 :: v_dual_bitop2_b32 v90, vcc_lo, v90 bitop3:0x14
	v_dual_lshlrev_b32 v94, 29, v92 :: v_dual_lshlrev_b32 v95, 28, v92
	v_dual_lshlrev_b32 v96, 27, v92 :: v_dual_lshlrev_b32 v97, 26, v92
	v_lshlrev_b32_e32 v193, 25, v92
	v_cmp_gt_i32_e64 s15, 0, v93
	s_delay_alu instid0(VALU_DEP_4)
	v_cmp_gt_i32_e64 s16, 0, v94
	v_not_b32_e32 v93, v94
	v_not_b32_e32 v94, v95
	v_lshlrev_b32_e32 v194, 24, v92
	v_cmp_gt_i32_e64 s17, 0, v95
	v_cmp_gt_i32_e64 s18, 0, v96
	v_not_b32_e32 v95, v96
	v_not_b32_e32 v96, v97
	v_dual_ashrrev_i32 v93, 31, v93 :: v_dual_ashrrev_i32 v94, 31, v94
	v_xor_b32_e32 v91, s15, v91
	v_cmp_gt_i32_e64 s19, 0, v97
	v_not_b32_e32 v97, v193
	s_delay_alu instid0(VALU_DEP_4) | instskip(SKIP_1) | instid1(VALU_DEP_3)
	v_dual_ashrrev_i32 v95, 31, v95 :: v_dual_bitop2_b32 v93, s16, v93 bitop3:0x14
	v_dual_ashrrev_i32 v96, 31, v96 :: v_dual_bitop2_b32 v94, s17, v94 bitop3:0x14
	v_ashrrev_i32_e32 v97, 31, v97
	v_bitop3_b32 v90, v90, v91, exec_lo bitop3:0x80
	v_not_b32_e32 v91, v194
	v_cmp_gt_i32_e64 s20, 0, v193
	v_xor_b32_e32 v95, s18, v95
	v_xor_b32_e32 v96, s19, v96
	v_bitop3_b32 v90, v90, v94, v93 bitop3:0x80
	v_cmp_gt_i32_e32 vcc_lo, 0, v194
	v_ashrrev_i32_e32 v91, 31, v91
	v_mad_u32_u24 v93, v92, 36, v148
	v_xor_b32_e32 v94, s20, v97
	v_bitop3_b32 v90, v90, v96, v95 bitop3:0x80
	s_delay_alu instid0(VALU_DEP_4) | instskip(SKIP_3) | instid1(VALU_DEP_2)
	v_xor_b32_e32 v91, vcc_lo, v91
	ds_load_b32 v193, v93 offset:1056
	; wave barrier
	v_bitop3_b32 v90, v90, v91, v94 bitop3:0x80
	v_mul_u32_u24_e32 v91, 36, v92
	v_mbcnt_lo_u32_b32 v194, v90, 0
	v_cmp_ne_u32_e64 s15, 0, v90
	s_delay_alu instid0(VALU_DEP_3) | instskip(NEXT) | instid1(VALU_DEP_3)
	v_add_nc_u32_e32 v195, v148, v91
	v_cmp_eq_u32_e32 vcc_lo, 0, v194
	s_and_b32 s16, s15, vcc_lo
	s_delay_alu instid0(SALU_CYCLE_1)
	s_and_saveexec_b32 s15, s16
	s_cbranch_execz .LBB701_442
; %bb.441:                              ;   in Loop: Header=BB701_388 Depth=2
	s_wait_dscnt 0x0
	v_bcnt_u32_b32 v90, v90, v193
	ds_store_b32 v195, v90 offset:1056
.LBB701_442:                            ;   in Loop: Header=BB701_388 Depth=2
	s_or_b32 exec_lo, exec_lo, s15
	v_xor_b32_e32 v85, 0x7fffffff, v85
	v_not_b32_e32 v84, v84
	; wave barrier
	s_delay_alu instid0(VALU_DEP_1) | instskip(NEXT) | instid1(VALU_DEP_1)
	v_lshrrev_b64 v[90:91], s48, v[84:85]
	v_bitop3_b32 v91, v90, 1, s56 bitop3:0x80
	v_and_b32_e32 v92, s56, v90
	s_delay_alu instid0(VALU_DEP_2) | instskip(NEXT) | instid1(VALU_DEP_1)
	v_add_co_u32 v90, s15, v91, -1
	v_cndmask_b32_e64 v91, 0, 1, s15
	s_delay_alu instid0(VALU_DEP_3) | instskip(NEXT) | instid1(VALU_DEP_2)
	v_lshlrev_b32_e32 v93, 30, v92
	v_cmp_ne_u32_e32 vcc_lo, 0, v91
	s_delay_alu instid0(VALU_DEP_2) | instskip(NEXT) | instid1(VALU_DEP_1)
	v_not_b32_e32 v91, v93
	v_dual_ashrrev_i32 v91, 31, v91 :: v_dual_bitop2_b32 v90, vcc_lo, v90 bitop3:0x14
	v_dual_lshlrev_b32 v94, 29, v92 :: v_dual_lshlrev_b32 v95, 28, v92
	v_dual_lshlrev_b32 v96, 27, v92 :: v_dual_lshlrev_b32 v97, 26, v92
	v_lshlrev_b32_e32 v196, 25, v92
	v_cmp_gt_i32_e64 s15, 0, v93
	s_delay_alu instid0(VALU_DEP_4)
	v_cmp_gt_i32_e64 s16, 0, v94
	v_not_b32_e32 v93, v94
	v_not_b32_e32 v94, v95
	v_lshlrev_b32_e32 v197, 24, v92
	v_cmp_gt_i32_e64 s17, 0, v95
	v_cmp_gt_i32_e64 s18, 0, v96
	v_not_b32_e32 v95, v96
	v_not_b32_e32 v96, v97
	v_dual_ashrrev_i32 v93, 31, v93 :: v_dual_ashrrev_i32 v94, 31, v94
	v_xor_b32_e32 v91, s15, v91
	v_cmp_gt_i32_e64 s19, 0, v97
	v_not_b32_e32 v97, v196
	s_delay_alu instid0(VALU_DEP_4) | instskip(SKIP_1) | instid1(VALU_DEP_3)
	v_dual_ashrrev_i32 v95, 31, v95 :: v_dual_bitop2_b32 v93, s16, v93 bitop3:0x14
	v_dual_ashrrev_i32 v96, 31, v96 :: v_dual_bitop2_b32 v94, s17, v94 bitop3:0x14
	v_ashrrev_i32_e32 v97, 31, v97
	v_bitop3_b32 v90, v90, v91, exec_lo bitop3:0x80
	v_not_b32_e32 v91, v197
	v_cmp_gt_i32_e64 s20, 0, v196
	v_xor_b32_e32 v95, s18, v95
	v_xor_b32_e32 v96, s19, v96
	v_bitop3_b32 v90, v90, v94, v93 bitop3:0x80
	v_cmp_gt_i32_e32 vcc_lo, 0, v197
	v_ashrrev_i32_e32 v91, 31, v91
	v_mad_u32_u24 v93, v92, 36, v148
	v_xor_b32_e32 v94, s20, v97
	v_bitop3_b32 v90, v90, v96, v95 bitop3:0x80
	s_delay_alu instid0(VALU_DEP_4) | instskip(SKIP_3) | instid1(VALU_DEP_2)
	v_xor_b32_e32 v91, vcc_lo, v91
	ds_load_b32 v196, v93 offset:1056
	; wave barrier
	v_bitop3_b32 v90, v90, v91, v94 bitop3:0x80
	v_mul_u32_u24_e32 v91, 36, v92
	v_mbcnt_lo_u32_b32 v197, v90, 0
	v_cmp_ne_u32_e64 s15, 0, v90
	s_delay_alu instid0(VALU_DEP_3) | instskip(NEXT) | instid1(VALU_DEP_3)
	v_add_nc_u32_e32 v198, v148, v91
	v_cmp_eq_u32_e32 vcc_lo, 0, v197
	s_and_b32 s16, s15, vcc_lo
	s_delay_alu instid0(SALU_CYCLE_1)
	s_and_saveexec_b32 s15, s16
	s_cbranch_execz .LBB701_444
; %bb.443:                              ;   in Loop: Header=BB701_388 Depth=2
	s_wait_dscnt 0x0
	v_bcnt_u32_b32 v90, v90, v196
	ds_store_b32 v198, v90 offset:1056
.LBB701_444:                            ;   in Loop: Header=BB701_388 Depth=2
	s_or_b32 exec_lo, exec_lo, s15
	v_xor_b32_e32 v81, 0x7fffffff, v81
	v_not_b32_e32 v80, v80
	; wave barrier
	s_delay_alu instid0(VALU_DEP_1) | instskip(NEXT) | instid1(VALU_DEP_1)
	v_lshrrev_b64 v[90:91], s48, v[80:81]
	v_bitop3_b32 v91, v90, 1, s56 bitop3:0x80
	v_and_b32_e32 v92, s56, v90
	s_delay_alu instid0(VALU_DEP_2) | instskip(NEXT) | instid1(VALU_DEP_1)
	v_add_co_u32 v90, s15, v91, -1
	v_cndmask_b32_e64 v91, 0, 1, s15
	s_delay_alu instid0(VALU_DEP_3) | instskip(NEXT) | instid1(VALU_DEP_2)
	v_lshlrev_b32_e32 v93, 30, v92
	v_cmp_ne_u32_e32 vcc_lo, 0, v91
	s_delay_alu instid0(VALU_DEP_2) | instskip(NEXT) | instid1(VALU_DEP_1)
	v_not_b32_e32 v91, v93
	v_dual_ashrrev_i32 v91, 31, v91 :: v_dual_bitop2_b32 v90, vcc_lo, v90 bitop3:0x14
	v_dual_lshlrev_b32 v94, 29, v92 :: v_dual_lshlrev_b32 v95, 28, v92
	v_dual_lshlrev_b32 v96, 27, v92 :: v_dual_lshlrev_b32 v97, 26, v92
	v_lshlrev_b32_e32 v199, 25, v92
	v_cmp_gt_i32_e64 s15, 0, v93
	s_delay_alu instid0(VALU_DEP_4)
	v_cmp_gt_i32_e64 s16, 0, v94
	v_not_b32_e32 v93, v94
	v_not_b32_e32 v94, v95
	v_lshlrev_b32_e32 v200, 24, v92
	v_cmp_gt_i32_e64 s17, 0, v95
	v_cmp_gt_i32_e64 s18, 0, v96
	v_not_b32_e32 v95, v96
	v_not_b32_e32 v96, v97
	v_dual_ashrrev_i32 v93, 31, v93 :: v_dual_ashrrev_i32 v94, 31, v94
	v_xor_b32_e32 v91, s15, v91
	v_cmp_gt_i32_e64 s19, 0, v97
	v_not_b32_e32 v97, v199
	s_delay_alu instid0(VALU_DEP_4) | instskip(SKIP_1) | instid1(VALU_DEP_3)
	v_dual_ashrrev_i32 v95, 31, v95 :: v_dual_bitop2_b32 v93, s16, v93 bitop3:0x14
	v_dual_ashrrev_i32 v96, 31, v96 :: v_dual_bitop2_b32 v94, s17, v94 bitop3:0x14
	v_ashrrev_i32_e32 v97, 31, v97
	v_bitop3_b32 v90, v90, v91, exec_lo bitop3:0x80
	v_not_b32_e32 v91, v200
	v_cmp_gt_i32_e64 s20, 0, v199
	v_xor_b32_e32 v95, s18, v95
	v_xor_b32_e32 v96, s19, v96
	v_bitop3_b32 v90, v90, v94, v93 bitop3:0x80
	v_cmp_gt_i32_e32 vcc_lo, 0, v200
	v_ashrrev_i32_e32 v91, 31, v91
	v_mad_u32_u24 v93, v92, 36, v148
	v_xor_b32_e32 v94, s20, v97
	v_bitop3_b32 v90, v90, v96, v95 bitop3:0x80
	s_delay_alu instid0(VALU_DEP_4) | instskip(SKIP_3) | instid1(VALU_DEP_2)
	v_xor_b32_e32 v91, vcc_lo, v91
	ds_load_b32 v199, v93 offset:1056
	; wave barrier
	v_bitop3_b32 v90, v90, v91, v94 bitop3:0x80
	v_mul_u32_u24_e32 v91, 36, v92
	v_mbcnt_lo_u32_b32 v200, v90, 0
	v_cmp_ne_u32_e64 s15, 0, v90
	s_delay_alu instid0(VALU_DEP_3) | instskip(NEXT) | instid1(VALU_DEP_3)
	v_add_nc_u32_e32 v202, v148, v91
	v_cmp_eq_u32_e32 vcc_lo, 0, v200
	s_and_b32 s16, s15, vcc_lo
	s_delay_alu instid0(SALU_CYCLE_1)
	s_and_saveexec_b32 s15, s16
	s_cbranch_execz .LBB701_446
; %bb.445:                              ;   in Loop: Header=BB701_388 Depth=2
	s_wait_dscnt 0x0
	v_bcnt_u32_b32 v90, v90, v199
	ds_store_b32 v202, v90 offset:1056
.LBB701_446:                            ;   in Loop: Header=BB701_388 Depth=2
	s_or_b32 exec_lo, exec_lo, s15
	v_xor_b32_e32 v77, 0x7fffffff, v77
	v_not_b32_e32 v76, v76
	; wave barrier
	s_delay_alu instid0(VALU_DEP_1) | instskip(NEXT) | instid1(VALU_DEP_1)
	v_lshrrev_b64 v[90:91], s48, v[76:77]
	v_bitop3_b32 v91, v90, 1, s56 bitop3:0x80
	v_and_b32_e32 v92, s56, v90
	s_delay_alu instid0(VALU_DEP_2) | instskip(NEXT) | instid1(VALU_DEP_1)
	v_add_co_u32 v90, s15, v91, -1
	v_cndmask_b32_e64 v91, 0, 1, s15
	s_delay_alu instid0(VALU_DEP_3) | instskip(NEXT) | instid1(VALU_DEP_2)
	v_lshlrev_b32_e32 v93, 30, v92
	v_cmp_ne_u32_e32 vcc_lo, 0, v91
	s_delay_alu instid0(VALU_DEP_2) | instskip(NEXT) | instid1(VALU_DEP_1)
	v_not_b32_e32 v91, v93
	v_dual_ashrrev_i32 v91, 31, v91 :: v_dual_bitop2_b32 v90, vcc_lo, v90 bitop3:0x14
	v_dual_lshlrev_b32 v94, 29, v92 :: v_dual_lshlrev_b32 v95, 28, v92
	v_dual_lshlrev_b32 v96, 27, v92 :: v_dual_lshlrev_b32 v97, 26, v92
	v_lshlrev_b32_e32 v201, 25, v92
	v_cmp_gt_i32_e64 s15, 0, v93
	s_delay_alu instid0(VALU_DEP_4)
	v_cmp_gt_i32_e64 s16, 0, v94
	v_not_b32_e32 v93, v94
	v_not_b32_e32 v94, v95
	v_lshlrev_b32_e32 v203, 24, v92
	v_cmp_gt_i32_e64 s17, 0, v95
	v_cmp_gt_i32_e64 s18, 0, v96
	v_not_b32_e32 v95, v96
	v_not_b32_e32 v96, v97
	v_dual_ashrrev_i32 v93, 31, v93 :: v_dual_ashrrev_i32 v94, 31, v94
	v_xor_b32_e32 v91, s15, v91
	v_cmp_gt_i32_e64 s19, 0, v97
	v_not_b32_e32 v97, v201
	s_delay_alu instid0(VALU_DEP_4) | instskip(SKIP_1) | instid1(VALU_DEP_3)
	v_dual_ashrrev_i32 v95, 31, v95 :: v_dual_bitop2_b32 v93, s16, v93 bitop3:0x14
	v_dual_ashrrev_i32 v96, 31, v96 :: v_dual_bitop2_b32 v94, s17, v94 bitop3:0x14
	v_ashrrev_i32_e32 v97, 31, v97
	v_bitop3_b32 v90, v90, v91, exec_lo bitop3:0x80
	v_not_b32_e32 v91, v203
	v_cmp_gt_i32_e64 s20, 0, v201
	v_xor_b32_e32 v95, s18, v95
	v_xor_b32_e32 v96, s19, v96
	v_bitop3_b32 v90, v90, v94, v93 bitop3:0x80
	v_cmp_gt_i32_e32 vcc_lo, 0, v203
	v_ashrrev_i32_e32 v91, 31, v91
	v_mad_u32_u24 v93, v92, 36, v148
	v_xor_b32_e32 v94, s20, v97
	v_bitop3_b32 v90, v90, v96, v95 bitop3:0x80
	s_delay_alu instid0(VALU_DEP_4) | instskip(SKIP_3) | instid1(VALU_DEP_2)
	v_xor_b32_e32 v91, vcc_lo, v91
	ds_load_b32 v201, v93 offset:1056
	; wave barrier
	v_bitop3_b32 v90, v90, v91, v94 bitop3:0x80
	v_mul_u32_u24_e32 v91, 36, v92
	v_mbcnt_lo_u32_b32 v203, v90, 0
	v_cmp_ne_u32_e64 s15, 0, v90
	s_delay_alu instid0(VALU_DEP_3) | instskip(NEXT) | instid1(VALU_DEP_3)
	v_add_nc_u32_e32 v205, v148, v91
	v_cmp_eq_u32_e32 vcc_lo, 0, v203
	s_and_b32 s16, s15, vcc_lo
	s_delay_alu instid0(SALU_CYCLE_1)
	s_and_saveexec_b32 s15, s16
	s_cbranch_execz .LBB701_448
; %bb.447:                              ;   in Loop: Header=BB701_388 Depth=2
	s_wait_dscnt 0x0
	v_bcnt_u32_b32 v90, v90, v201
	ds_store_b32 v205, v90 offset:1056
.LBB701_448:                            ;   in Loop: Header=BB701_388 Depth=2
	s_or_b32 exec_lo, exec_lo, s15
	v_xor_b32_e32 v73, 0x7fffffff, v73
	v_not_b32_e32 v72, v72
	; wave barrier
	s_delay_alu instid0(VALU_DEP_1) | instskip(NEXT) | instid1(VALU_DEP_1)
	v_lshrrev_b64 v[90:91], s48, v[72:73]
	v_bitop3_b32 v91, v90, 1, s56 bitop3:0x80
	v_and_b32_e32 v92, s56, v90
	s_delay_alu instid0(VALU_DEP_2) | instskip(NEXT) | instid1(VALU_DEP_1)
	v_add_co_u32 v90, s15, v91, -1
	v_cndmask_b32_e64 v91, 0, 1, s15
	s_delay_alu instid0(VALU_DEP_3) | instskip(NEXT) | instid1(VALU_DEP_2)
	v_lshlrev_b32_e32 v93, 30, v92
	v_cmp_ne_u32_e32 vcc_lo, 0, v91
	s_delay_alu instid0(VALU_DEP_2) | instskip(NEXT) | instid1(VALU_DEP_1)
	v_not_b32_e32 v91, v93
	v_dual_ashrrev_i32 v91, 31, v91 :: v_dual_bitop2_b32 v90, vcc_lo, v90 bitop3:0x14
	v_dual_lshlrev_b32 v94, 29, v92 :: v_dual_lshlrev_b32 v95, 28, v92
	v_dual_lshlrev_b32 v96, 27, v92 :: v_dual_lshlrev_b32 v97, 26, v92
	v_lshlrev_b32_e32 v204, 25, v92
	v_cmp_gt_i32_e64 s15, 0, v93
	s_delay_alu instid0(VALU_DEP_4)
	v_cmp_gt_i32_e64 s16, 0, v94
	v_not_b32_e32 v93, v94
	v_not_b32_e32 v94, v95
	v_lshlrev_b32_e32 v206, 24, v92
	v_cmp_gt_i32_e64 s17, 0, v95
	v_cmp_gt_i32_e64 s18, 0, v96
	v_not_b32_e32 v95, v96
	v_not_b32_e32 v96, v97
	v_dual_ashrrev_i32 v93, 31, v93 :: v_dual_ashrrev_i32 v94, 31, v94
	v_xor_b32_e32 v91, s15, v91
	v_cmp_gt_i32_e64 s19, 0, v97
	v_not_b32_e32 v97, v204
	s_delay_alu instid0(VALU_DEP_4) | instskip(SKIP_1) | instid1(VALU_DEP_3)
	v_dual_ashrrev_i32 v95, 31, v95 :: v_dual_bitop2_b32 v93, s16, v93 bitop3:0x14
	v_dual_ashrrev_i32 v96, 31, v96 :: v_dual_bitop2_b32 v94, s17, v94 bitop3:0x14
	v_ashrrev_i32_e32 v97, 31, v97
	v_bitop3_b32 v90, v90, v91, exec_lo bitop3:0x80
	v_not_b32_e32 v91, v206
	v_cmp_gt_i32_e64 s20, 0, v204
	v_xor_b32_e32 v95, s18, v95
	v_xor_b32_e32 v96, s19, v96
	v_bitop3_b32 v90, v90, v94, v93 bitop3:0x80
	v_cmp_gt_i32_e32 vcc_lo, 0, v206
	v_ashrrev_i32_e32 v91, 31, v91
	v_mad_u32_u24 v93, v92, 36, v148
	v_xor_b32_e32 v94, s20, v97
	v_bitop3_b32 v90, v90, v96, v95 bitop3:0x80
	s_delay_alu instid0(VALU_DEP_4) | instskip(SKIP_3) | instid1(VALU_DEP_2)
	v_xor_b32_e32 v91, vcc_lo, v91
	ds_load_b32 v204, v93 offset:1056
	; wave barrier
	v_bitop3_b32 v90, v90, v91, v94 bitop3:0x80
	v_mul_u32_u24_e32 v91, 36, v92
	v_mbcnt_lo_u32_b32 v206, v90, 0
	v_cmp_ne_u32_e64 s15, 0, v90
	s_delay_alu instid0(VALU_DEP_3) | instskip(NEXT) | instid1(VALU_DEP_3)
	v_add_nc_u32_e32 v209, v148, v91
	v_cmp_eq_u32_e32 vcc_lo, 0, v206
	s_and_b32 s16, s15, vcc_lo
	s_delay_alu instid0(SALU_CYCLE_1)
	s_and_saveexec_b32 s15, s16
	s_cbranch_execz .LBB701_450
; %bb.449:                              ;   in Loop: Header=BB701_388 Depth=2
	s_wait_dscnt 0x0
	v_bcnt_u32_b32 v90, v90, v204
	ds_store_b32 v209, v90 offset:1056
.LBB701_450:                            ;   in Loop: Header=BB701_388 Depth=2
	s_or_b32 exec_lo, exec_lo, s15
	v_xor_b32_e32 v69, 0x7fffffff, v69
	v_not_b32_e32 v68, v68
	; wave barrier
	s_delay_alu instid0(VALU_DEP_1) | instskip(NEXT) | instid1(VALU_DEP_1)
	v_lshrrev_b64 v[90:91], s48, v[68:69]
	v_bitop3_b32 v91, v90, 1, s56 bitop3:0x80
	v_and_b32_e32 v92, s56, v90
	s_delay_alu instid0(VALU_DEP_2) | instskip(NEXT) | instid1(VALU_DEP_1)
	v_add_co_u32 v90, s15, v91, -1
	v_cndmask_b32_e64 v91, 0, 1, s15
	s_delay_alu instid0(VALU_DEP_3) | instskip(NEXT) | instid1(VALU_DEP_2)
	v_lshlrev_b32_e32 v93, 30, v92
	v_cmp_ne_u32_e32 vcc_lo, 0, v91
	s_delay_alu instid0(VALU_DEP_2) | instskip(NEXT) | instid1(VALU_DEP_1)
	v_not_b32_e32 v91, v93
	v_dual_ashrrev_i32 v91, 31, v91 :: v_dual_bitop2_b32 v90, vcc_lo, v90 bitop3:0x14
	v_dual_lshlrev_b32 v94, 29, v92 :: v_dual_lshlrev_b32 v95, 28, v92
	v_dual_lshlrev_b32 v96, 27, v92 :: v_dual_lshlrev_b32 v97, 26, v92
	v_lshlrev_b32_e32 v207, 25, v92
	v_cmp_gt_i32_e64 s15, 0, v93
	s_delay_alu instid0(VALU_DEP_4)
	v_cmp_gt_i32_e64 s16, 0, v94
	v_not_b32_e32 v93, v94
	v_not_b32_e32 v94, v95
	v_lshlrev_b32_e32 v208, 24, v92
	v_cmp_gt_i32_e64 s17, 0, v95
	v_cmp_gt_i32_e64 s18, 0, v96
	v_not_b32_e32 v95, v96
	v_not_b32_e32 v96, v97
	v_dual_ashrrev_i32 v93, 31, v93 :: v_dual_ashrrev_i32 v94, 31, v94
	v_xor_b32_e32 v91, s15, v91
	v_cmp_gt_i32_e64 s19, 0, v97
	v_not_b32_e32 v97, v207
	s_delay_alu instid0(VALU_DEP_4) | instskip(SKIP_1) | instid1(VALU_DEP_3)
	v_dual_ashrrev_i32 v95, 31, v95 :: v_dual_bitop2_b32 v93, s16, v93 bitop3:0x14
	v_dual_ashrrev_i32 v96, 31, v96 :: v_dual_bitop2_b32 v94, s17, v94 bitop3:0x14
	v_ashrrev_i32_e32 v97, 31, v97
	v_bitop3_b32 v90, v90, v91, exec_lo bitop3:0x80
	v_not_b32_e32 v91, v208
	v_cmp_gt_i32_e64 s20, 0, v207
	v_xor_b32_e32 v95, s18, v95
	v_xor_b32_e32 v96, s19, v96
	v_bitop3_b32 v90, v90, v94, v93 bitop3:0x80
	v_cmp_gt_i32_e32 vcc_lo, 0, v208
	v_ashrrev_i32_e32 v91, 31, v91
	v_mad_u32_u24 v93, v92, 36, v148
	v_xor_b32_e32 v94, s20, v97
	v_bitop3_b32 v90, v90, v96, v95 bitop3:0x80
	s_delay_alu instid0(VALU_DEP_4) | instskip(SKIP_3) | instid1(VALU_DEP_2)
	v_xor_b32_e32 v91, vcc_lo, v91
	ds_load_b32 v207, v93 offset:1056
	; wave barrier
	v_bitop3_b32 v90, v90, v91, v94 bitop3:0x80
	v_mul_u32_u24_e32 v91, 36, v92
	v_mbcnt_lo_u32_b32 v208, v90, 0
	v_cmp_ne_u32_e64 s15, 0, v90
	s_delay_alu instid0(VALU_DEP_3) | instskip(NEXT) | instid1(VALU_DEP_3)
	v_add_nc_u32_e32 v212, v148, v91
	v_cmp_eq_u32_e32 vcc_lo, 0, v208
	s_and_b32 s16, s15, vcc_lo
	s_delay_alu instid0(SALU_CYCLE_1)
	s_and_saveexec_b32 s15, s16
	s_cbranch_execz .LBB701_452
; %bb.451:                              ;   in Loop: Header=BB701_388 Depth=2
	s_wait_dscnt 0x0
	v_bcnt_u32_b32 v90, v90, v207
	ds_store_b32 v212, v90 offset:1056
.LBB701_452:                            ;   in Loop: Header=BB701_388 Depth=2
	s_or_b32 exec_lo, exec_lo, s15
	v_xor_b32_e32 v67, 0x7fffffff, v67
	v_not_b32_e32 v66, v66
	; wave barrier
	s_delay_alu instid0(VALU_DEP_1) | instskip(NEXT) | instid1(VALU_DEP_1)
	v_lshrrev_b64 v[90:91], s48, v[66:67]
	v_bitop3_b32 v91, v90, 1, s56 bitop3:0x80
	v_and_b32_e32 v92, s56, v90
	s_delay_alu instid0(VALU_DEP_2) | instskip(NEXT) | instid1(VALU_DEP_1)
	v_add_co_u32 v90, s15, v91, -1
	v_cndmask_b32_e64 v91, 0, 1, s15
	s_delay_alu instid0(VALU_DEP_3) | instskip(NEXT) | instid1(VALU_DEP_2)
	v_lshlrev_b32_e32 v93, 30, v92
	v_cmp_ne_u32_e32 vcc_lo, 0, v91
	s_delay_alu instid0(VALU_DEP_2) | instskip(NEXT) | instid1(VALU_DEP_1)
	v_not_b32_e32 v91, v93
	v_dual_ashrrev_i32 v91, 31, v91 :: v_dual_bitop2_b32 v90, vcc_lo, v90 bitop3:0x14
	v_dual_lshlrev_b32 v94, 29, v92 :: v_dual_lshlrev_b32 v95, 28, v92
	v_dual_lshlrev_b32 v96, 27, v92 :: v_dual_lshlrev_b32 v97, 26, v92
	v_lshlrev_b32_e32 v210, 25, v92
	v_cmp_gt_i32_e64 s15, 0, v93
	s_delay_alu instid0(VALU_DEP_4)
	v_cmp_gt_i32_e64 s16, 0, v94
	v_not_b32_e32 v93, v94
	v_not_b32_e32 v94, v95
	v_lshlrev_b32_e32 v211, 24, v92
	v_cmp_gt_i32_e64 s17, 0, v95
	v_cmp_gt_i32_e64 s18, 0, v96
	v_not_b32_e32 v95, v96
	v_not_b32_e32 v96, v97
	v_dual_ashrrev_i32 v93, 31, v93 :: v_dual_ashrrev_i32 v94, 31, v94
	v_xor_b32_e32 v91, s15, v91
	v_cmp_gt_i32_e64 s19, 0, v97
	v_not_b32_e32 v97, v210
	s_delay_alu instid0(VALU_DEP_4) | instskip(SKIP_1) | instid1(VALU_DEP_3)
	v_dual_ashrrev_i32 v95, 31, v95 :: v_dual_bitop2_b32 v93, s16, v93 bitop3:0x14
	v_dual_ashrrev_i32 v96, 31, v96 :: v_dual_bitop2_b32 v94, s17, v94 bitop3:0x14
	v_ashrrev_i32_e32 v97, 31, v97
	v_bitop3_b32 v90, v90, v91, exec_lo bitop3:0x80
	v_not_b32_e32 v91, v211
	v_cmp_gt_i32_e64 s20, 0, v210
	v_xor_b32_e32 v95, s18, v95
	v_xor_b32_e32 v96, s19, v96
	v_bitop3_b32 v90, v90, v94, v93 bitop3:0x80
	v_cmp_gt_i32_e32 vcc_lo, 0, v211
	v_ashrrev_i32_e32 v91, 31, v91
	v_mad_u32_u24 v93, v92, 36, v148
	v_xor_b32_e32 v94, s20, v97
	v_bitop3_b32 v90, v90, v96, v95 bitop3:0x80
	s_delay_alu instid0(VALU_DEP_4) | instskip(SKIP_3) | instid1(VALU_DEP_2)
	v_xor_b32_e32 v91, vcc_lo, v91
	ds_load_b32 v210, v93 offset:1056
	; wave barrier
	v_bitop3_b32 v90, v90, v91, v94 bitop3:0x80
	v_mul_u32_u24_e32 v91, 36, v92
	v_mbcnt_lo_u32_b32 v211, v90, 0
	v_cmp_ne_u32_e64 s15, 0, v90
	s_delay_alu instid0(VALU_DEP_3) | instskip(NEXT) | instid1(VALU_DEP_3)
	v_add_nc_u32_e32 v215, v148, v91
	v_cmp_eq_u32_e32 vcc_lo, 0, v211
	s_and_b32 s16, s15, vcc_lo
	s_delay_alu instid0(SALU_CYCLE_1)
	s_and_saveexec_b32 s15, s16
	s_cbranch_execz .LBB701_454
; %bb.453:                              ;   in Loop: Header=BB701_388 Depth=2
	s_wait_dscnt 0x0
	v_bcnt_u32_b32 v90, v90, v210
	ds_store_b32 v215, v90 offset:1056
.LBB701_454:                            ;   in Loop: Header=BB701_388 Depth=2
	s_or_b32 exec_lo, exec_lo, s15
	v_lshrrev_b64 v[90:91], s48, v[58:59]
	; wave barrier
	s_delay_alu instid0(VALU_DEP_1) | instskip(SKIP_1) | instid1(VALU_DEP_2)
	v_bitop3_b32 v91, v90, 1, s56 bitop3:0x80
	v_and_b32_e32 v92, s56, v90
	v_add_co_u32 v90, s15, v91, -1
	s_delay_alu instid0(VALU_DEP_1) | instskip(NEXT) | instid1(VALU_DEP_3)
	v_cndmask_b32_e64 v91, 0, 1, s15
	v_lshlrev_b32_e32 v93, 30, v92
	s_delay_alu instid0(VALU_DEP_2) | instskip(NEXT) | instid1(VALU_DEP_2)
	v_cmp_ne_u32_e32 vcc_lo, 0, v91
	v_not_b32_e32 v91, v93
	s_delay_alu instid0(VALU_DEP_1) | instskip(SKIP_4) | instid1(VALU_DEP_4)
	v_dual_ashrrev_i32 v91, 31, v91 :: v_dual_bitop2_b32 v90, vcc_lo, v90 bitop3:0x14
	v_dual_lshlrev_b32 v94, 29, v92 :: v_dual_lshlrev_b32 v95, 28, v92
	v_dual_lshlrev_b32 v96, 27, v92 :: v_dual_lshlrev_b32 v97, 26, v92
	v_lshlrev_b32_e32 v213, 25, v92
	v_cmp_gt_i32_e64 s15, 0, v93
	v_cmp_gt_i32_e64 s16, 0, v94
	v_not_b32_e32 v93, v94
	v_not_b32_e32 v94, v95
	v_lshlrev_b32_e32 v214, 24, v92
	v_cmp_gt_i32_e64 s17, 0, v95
	v_cmp_gt_i32_e64 s18, 0, v96
	v_not_b32_e32 v95, v96
	v_dual_ashrrev_i32 v93, 31, v93 :: v_dual_ashrrev_i32 v94, 31, v94
	v_xor_b32_e32 v91, s15, v91
	v_not_b32_e32 v96, v97
	v_cmp_gt_i32_e64 s19, 0, v97
	s_delay_alu instid0(VALU_DEP_4)
	v_dual_ashrrev_i32 v95, 31, v95 :: v_dual_bitop2_b32 v93, s16, v93 bitop3:0x14
	v_xor_b32_e32 v94, s17, v94
	v_bitop3_b32 v90, v90, v91, exec_lo bitop3:0x80
	v_ashrrev_i32_e32 v91, 31, v96
	v_not_b32_e32 v96, v213
	v_not_b32_e32 v97, v214
	v_xor_b32_e32 v95, s18, v95
	v_bitop3_b32 v90, v90, v94, v93 bitop3:0x80
	v_xor_b32_e32 v91, s19, v91
	v_cmp_gt_i32_e32 vcc_lo, 0, v213
	v_ashrrev_i32_e32 v93, 31, v96
	v_cmp_gt_i32_e64 s15, 0, v214
	v_ashrrev_i32_e32 v94, 31, v97
	v_mad_u32_u24 v96, v92, 36, v148
	v_bitop3_b32 v90, v90, v91, v95 bitop3:0x80
	v_xor_b32_e32 v91, vcc_lo, v93
	s_delay_alu instid0(VALU_DEP_4) | instskip(SKIP_3) | instid1(VALU_DEP_2)
	v_xor_b32_e32 v93, s15, v94
	ds_load_b32 v213, v96 offset:1056
	; wave barrier
	v_bitop3_b32 v90, v90, v93, v91 bitop3:0x80
	v_mul_u32_u24_e32 v91, 36, v92
	v_mbcnt_lo_u32_b32 v214, v90, 0
	v_cmp_ne_u32_e64 s15, 0, v90
	s_delay_alu instid0(VALU_DEP_3) | instskip(NEXT) | instid1(VALU_DEP_3)
	v_add_nc_u32_e32 v216, v148, v91
	v_cmp_eq_u32_e32 vcc_lo, 0, v214
	s_and_b32 s16, s15, vcc_lo
	s_delay_alu instid0(SALU_CYCLE_1)
	s_and_saveexec_b32 s15, s16
	s_cbranch_execz .LBB701_456
; %bb.455:                              ;   in Loop: Header=BB701_388 Depth=2
	s_wait_dscnt 0x0
	v_bcnt_u32_b32 v90, v90, v213
	ds_store_b32 v216, v90 offset:1056
.LBB701_456:                            ;   in Loop: Header=BB701_388 Depth=2
	s_or_b32 exec_lo, exec_lo, s15
	; wave barrier
	s_wait_dscnt 0x0
	s_barrier_signal -1
	s_barrier_wait -1
	ds_load_2addr_b32 v[96:97], v168 offset1:1
	ds_load_2addr_b32 v[94:95], v169 offset1:1
	;; [unrolled: 1-line block ×4, first 2 shown]
	ds_load_b32 v217, v120 offset:1088
	s_wait_dscnt 0x3
	v_add3_u32 v218, v97, v96, v94
	s_wait_dscnt 0x2
	s_delay_alu instid0(VALU_DEP_1) | instskip(SKIP_1) | instid1(VALU_DEP_1)
	v_add3_u32 v218, v218, v95, v92
	s_wait_dscnt 0x1
	v_add3_u32 v218, v218, v93, v90
	s_wait_dscnt 0x0
	s_delay_alu instid0(VALU_DEP_1) | instskip(NEXT) | instid1(VALU_DEP_1)
	v_add3_u32 v217, v218, v91, v217
	v_mov_b32_dpp v218, v217 row_shr:1 row_mask:0xf bank_mask:0xf
	s_delay_alu instid0(VALU_DEP_1) | instskip(NEXT) | instid1(VALU_DEP_1)
	v_cndmask_b32_e64 v218, v218, 0, s7
	v_add_nc_u32_e32 v217, v218, v217
	s_delay_alu instid0(VALU_DEP_1) | instskip(NEXT) | instid1(VALU_DEP_1)
	v_mov_b32_dpp v218, v217 row_shr:2 row_mask:0xf bank_mask:0xf
	v_cndmask_b32_e64 v218, 0, v218, s8
	s_delay_alu instid0(VALU_DEP_1) | instskip(NEXT) | instid1(VALU_DEP_1)
	v_add_nc_u32_e32 v217, v217, v218
	v_mov_b32_dpp v218, v217 row_shr:4 row_mask:0xf bank_mask:0xf
	s_delay_alu instid0(VALU_DEP_1) | instskip(NEXT) | instid1(VALU_DEP_1)
	v_cndmask_b32_e64 v218, 0, v218, s9
	v_add_nc_u32_e32 v217, v217, v218
	s_delay_alu instid0(VALU_DEP_1) | instskip(NEXT) | instid1(VALU_DEP_1)
	v_mov_b32_dpp v218, v217 row_shr:8 row_mask:0xf bank_mask:0xf
	v_cndmask_b32_e64 v218, 0, v218, s10
	s_delay_alu instid0(VALU_DEP_1) | instskip(SKIP_3) | instid1(VALU_DEP_1)
	v_add_nc_u32_e32 v217, v217, v218
	ds_swizzle_b32 v218, v217 offset:swizzle(BROADCAST,32,15)
	s_wait_dscnt 0x0
	v_cndmask_b32_e64 v218, v218, 0, s11
	v_add_nc_u32_e32 v217, v217, v218
	s_and_saveexec_b32 s15, s1
; %bb.457:                              ;   in Loop: Header=BB701_388 Depth=2
	ds_store_b32 v114, v217 offset:1024
; %bb.458:                              ;   in Loop: Header=BB701_388 Depth=2
	s_or_b32 exec_lo, exec_lo, s15
	s_wait_dscnt 0x0
	s_barrier_signal -1
	s_barrier_wait -1
	s_and_saveexec_b32 s15, s4
	s_cbranch_execz .LBB701_460
; %bb.459:                              ;   in Loop: Header=BB701_388 Depth=2
	ds_load_b32 v218, v122 offset:1024
	s_wait_dscnt 0x0
	v_mov_b32_dpp v219, v218 row_shr:1 row_mask:0xf bank_mask:0xf
	s_delay_alu instid0(VALU_DEP_1) | instskip(NEXT) | instid1(VALU_DEP_1)
	v_cndmask_b32_e64 v219, v219, 0, s12
	v_add_nc_u32_e32 v218, v219, v218
	s_delay_alu instid0(VALU_DEP_1) | instskip(NEXT) | instid1(VALU_DEP_1)
	v_mov_b32_dpp v219, v218 row_shr:2 row_mask:0xf bank_mask:0xf
	v_cndmask_b32_e64 v219, 0, v219, s13
	s_delay_alu instid0(VALU_DEP_1) | instskip(NEXT) | instid1(VALU_DEP_1)
	v_add_nc_u32_e32 v218, v218, v219
	v_mov_b32_dpp v219, v218 row_shr:4 row_mask:0xf bank_mask:0xf
	s_delay_alu instid0(VALU_DEP_1) | instskip(NEXT) | instid1(VALU_DEP_1)
	v_cndmask_b32_e64 v219, 0, v219, s14
	v_add_nc_u32_e32 v218, v218, v219
	ds_store_b32 v122, v218 offset:1024
.LBB701_460:                            ;   in Loop: Header=BB701_388 Depth=2
	s_or_b32 exec_lo, exec_lo, s15
	v_mov_b32_e32 v218, 0
	s_wait_dscnt 0x0
	s_barrier_signal -1
	s_barrier_wait -1
	s_and_saveexec_b32 s15, s5
; %bb.461:                              ;   in Loop: Header=BB701_388 Depth=2
	ds_load_b32 v218, v114 offset:1020
; %bb.462:                              ;   in Loop: Header=BB701_388 Depth=2
	s_or_b32 exec_lo, exec_lo, s15
	s_wait_dscnt 0x0
	v_add_nc_u32_e32 v217, v218, v217
	ds_bpermute_b32 v217, v147, v217
	s_wait_dscnt 0x0
	v_cndmask_b32_e64 v217, v217, v218, s6
	s_delay_alu instid0(VALU_DEP_1) | instskip(NEXT) | instid1(VALU_DEP_1)
	v_cndmask_b32_e64 v217, v217, 0, s2
	v_add_nc_u32_e32 v96, v217, v96
	s_delay_alu instid0(VALU_DEP_1) | instskip(NEXT) | instid1(VALU_DEP_1)
	v_add_nc_u32_e32 v97, v96, v97
	v_add_nc_u32_e32 v94, v97, v94
	s_delay_alu instid0(VALU_DEP_1) | instskip(NEXT) | instid1(VALU_DEP_1)
	v_add_nc_u32_e32 v95, v94, v95
	;; [unrolled: 3-line block ×3, first 2 shown]
	v_add_nc_u32_e32 v90, v93, v90
	s_delay_alu instid0(VALU_DEP_1)
	v_add_nc_u32_e32 v91, v90, v91
	ds_store_2addr_b32 v167, v93, v90 offset1:1
	ds_store_2addr_b32 v168, v217, v96 offset1:1
	;; [unrolled: 1-line block ×4, first 2 shown]
	ds_store_b32 v120, v91 offset:1088
	s_wait_dscnt 0x0
	s_barrier_signal -1
	s_barrier_wait -1
	ds_load_b32 v91, v171 offset:1056
	ds_load_b32 v218, v174 offset:1056
	;; [unrolled: 1-line block ×17, first 2 shown]
	v_mov_b32_e32 v90, 0x1000
	s_and_saveexec_b32 s15, s3
; %bb.463:                              ;   in Loop: Header=BB701_388 Depth=2
	ds_load_b32 v90, v120 offset:1092
; %bb.464:                              ;   in Loop: Header=BB701_388 Depth=2
	s_or_b32 exec_lo, exec_lo, s15
	s_wait_dscnt 0x0
	s_barrier_signal -1
	s_barrier_wait -1
	s_and_saveexec_b32 s15, s0
	s_cbranch_execz .LBB701_466
; %bb.465:                              ;   in Loop: Header=BB701_388 Depth=2
	ds_load_b32 v183, v3
	s_wait_dscnt 0x0
	v_sub_nc_u32_e32 v180, v183, v180
	ds_store_b32 v3, v180
.LBB701_466:                            ;   in Loop: Header=BB701_388 Depth=2
	s_or_b32 exec_lo, exec_lo, s15
	v_dual_lshlrev_b32 v166, 3, v166 :: v_dual_lshlrev_b32 v173, 3, v173
	v_dual_lshlrev_b32 v172, 3, v172 :: v_dual_lshlrev_b32 v180, 3, v218
	v_lshlrev_b32_e32 v176, 3, v176
	s_delay_alu instid0(VALU_DEP_3)
	v_lshl_add_u32 v91, v91, 3, v166
	v_dual_lshlrev_b32 v166, 3, v175 :: v_dual_lshlrev_b32 v175, 3, v217
	v_dual_lshlrev_b32 v179, 3, v179 :: v_dual_lshlrev_b32 v178, 3, v178
	;; [unrolled: 1-line block ×5, first 2 shown]
	v_lshlrev_b32_e32 v185, 3, v92
	ds_store_b64 v91, v[60:61] offset:1024
	v_add3_u32 v60, v173, v172, v180
	v_add3_u32 v61, v176, v166, v175
	;; [unrolled: 1-line block ×5, first 2 shown]
	ds_store_b64 v60, v[62:63] offset:1024
	ds_store_b64 v61, v[64:65] offset:1024
	;; [unrolled: 1-line block ×5, first 2 shown]
	v_dual_lshlrev_b32 v62, 3, v188 :: v_dual_lshlrev_b32 v65, 3, v191
	v_dual_lshlrev_b32 v63, 3, v187 :: v_dual_lshlrev_b32 v64, 3, v177
	;; [unrolled: 1-line block ×7, first 2 shown]
	v_lshlrev_b32_e32 v169, 3, v169
	v_add3_u32 v62, v62, v63, v64
	v_add3_u32 v63, v65, v70, v71
	;; [unrolled: 1-line block ×4, first 2 shown]
	v_lshlrev_b32_e32 v71, 3, v203
	v_add3_u32 v70, v171, v172, v169
	ds_store_b64 v62, v[82:83] offset:1024
	ds_store_b64 v63, v[86:87] offset:1024
	;; [unrolled: 1-line block ×5, first 2 shown]
	v_dual_lshlrev_b32 v74, 3, v201 :: v_dual_lshlrev_b32 v75, 3, v168
	v_dual_lshlrev_b32 v78, 3, v206 :: v_dual_lshlrev_b32 v79, 3, v204
	;; [unrolled: 1-line block ×7, first 2 shown]
	v_add3_u32 v71, v71, v74, v75
	v_add3_u32 v74, v78, v79, v80
	;; [unrolled: 1-line block ×5, first 2 shown]
	v_cmp_lt_u32_e32 vcc_lo, v2, v165
	ds_store_b64 v71, v[76:77] offset:1024
	ds_store_b64 v74, v[72:73] offset:1024
	;; [unrolled: 1-line block ×5, first 2 shown]
	s_wait_dscnt 0x0
	s_barrier_signal -1
	s_barrier_wait -1
	s_and_saveexec_b32 s15, vcc_lo
	s_cbranch_execnz .LBB701_535
; %bb.467:                              ;   in Loop: Header=BB701_388 Depth=2
	s_or_b32 exec_lo, exec_lo, s15
	v_cmp_lt_u32_e64 s15, v98, v165
	s_and_saveexec_b32 s16, s15
	s_cbranch_execnz .LBB701_536
.LBB701_468:                            ;   in Loop: Header=BB701_388 Depth=2
	s_or_b32 exec_lo, exec_lo, s16
	v_cmp_lt_u32_e64 s16, v99, v165
	s_and_saveexec_b32 s17, s16
	s_cbranch_execnz .LBB701_537
.LBB701_469:                            ;   in Loop: Header=BB701_388 Depth=2
	s_or_b32 exec_lo, exec_lo, s17
	v_cmp_lt_u32_e64 s17, v100, v165
	s_and_saveexec_b32 s18, s17
	s_cbranch_execnz .LBB701_538
.LBB701_470:                            ;   in Loop: Header=BB701_388 Depth=2
	s_or_b32 exec_lo, exec_lo, s18
	v_cmp_lt_u32_e64 s18, v101, v165
	s_and_saveexec_b32 s19, s18
	s_cbranch_execnz .LBB701_539
.LBB701_471:                            ;   in Loop: Header=BB701_388 Depth=2
	s_or_b32 exec_lo, exec_lo, s19
	v_cmp_lt_u32_e64 s19, v102, v165
	s_and_saveexec_b32 s20, s19
	s_cbranch_execnz .LBB701_540
.LBB701_472:                            ;   in Loop: Header=BB701_388 Depth=2
	s_or_b32 exec_lo, exec_lo, s20
	v_cmp_lt_u32_e64 s20, v103, v165
	s_and_saveexec_b32 s21, s20
	s_cbranch_execnz .LBB701_541
.LBB701_473:                            ;   in Loop: Header=BB701_388 Depth=2
	s_or_b32 exec_lo, exec_lo, s21
	v_cmp_lt_u32_e64 s21, v104, v165
	s_and_saveexec_b32 s22, s21
	s_cbranch_execnz .LBB701_542
.LBB701_474:                            ;   in Loop: Header=BB701_388 Depth=2
	s_or_b32 exec_lo, exec_lo, s22
	v_cmp_lt_u32_e64 s22, v105, v165
	s_and_saveexec_b32 s23, s22
	s_cbranch_execnz .LBB701_543
.LBB701_475:                            ;   in Loop: Header=BB701_388 Depth=2
	s_or_b32 exec_lo, exec_lo, s23
	v_cmp_lt_u32_e64 s23, v106, v165
	s_and_saveexec_b32 s24, s23
	s_cbranch_execnz .LBB701_544
.LBB701_476:                            ;   in Loop: Header=BB701_388 Depth=2
	s_or_b32 exec_lo, exec_lo, s24
	v_cmp_lt_u32_e64 s24, v107, v165
	s_and_saveexec_b32 s25, s24
	s_cbranch_execnz .LBB701_545
.LBB701_477:                            ;   in Loop: Header=BB701_388 Depth=2
	s_or_b32 exec_lo, exec_lo, s25
	v_cmp_lt_u32_e64 s25, v108, v165
	s_and_saveexec_b32 s26, s25
	s_cbranch_execnz .LBB701_546
.LBB701_478:                            ;   in Loop: Header=BB701_388 Depth=2
	s_or_b32 exec_lo, exec_lo, s26
	v_cmp_lt_u32_e64 s26, v109, v165
	s_and_saveexec_b32 s27, s26
	s_cbranch_execnz .LBB701_547
.LBB701_479:                            ;   in Loop: Header=BB701_388 Depth=2
	s_or_b32 exec_lo, exec_lo, s27
	v_cmp_lt_u32_e64 s27, v110, v165
	s_and_saveexec_b32 s28, s27
	s_cbranch_execnz .LBB701_548
.LBB701_480:                            ;   in Loop: Header=BB701_388 Depth=2
	s_or_b32 exec_lo, exec_lo, s28
	v_cmp_lt_u32_e64 s28, v111, v165
	s_and_saveexec_b32 s29, s28
	s_cbranch_execnz .LBB701_549
.LBB701_481:                            ;   in Loop: Header=BB701_388 Depth=2
	s_or_b32 exec_lo, exec_lo, s29
	v_cmp_lt_u32_e64 s29, v112, v165
	s_and_saveexec_b32 s59, s29
	s_cbranch_execz .LBB701_483
.LBB701_482:                            ;   in Loop: Header=BB701_388 Depth=2
	ds_load_b64 v[58:59], v123 offset:31744
	s_wait_dscnt 0x0
	v_lshrrev_b64 v[66:67], s48, v[58:59]
	v_xor_b32_e32 v59, 0x7fffffff, v59
	v_not_b32_e32 v58, v58
	s_delay_alu instid0(VALU_DEP_3) | instskip(NEXT) | instid1(VALU_DEP_1)
	v_and_b32_e32 v66, s56, v66
	v_lshlrev_b32_e32 v66, 2, v66
	ds_load_b32 v66, v66
	s_wait_dscnt 0x0
	v_add_nc_u32_e32 v66, v66, v112
	global_store_b64 v66, v[58:59], s[40:41] scale_offset
.LBB701_483:                            ;   in Loop: Header=BB701_388 Depth=2
	s_wait_xcnt 0x0
	s_or_b32 exec_lo, exec_lo, s59
	v_lshl_add_u64 v[58:59], s[30:31], 3, v[22:23]
	v_cmp_lt_u32_e64 s30, v129, v165
	s_and_saveexec_b32 s59, s30
	s_delay_alu instid0(SALU_CYCLE_1)
	s_xor_b32 s30, exec_lo, s59
	s_cbranch_execnz .LBB701_550
; %bb.484:                              ;   in Loop: Header=BB701_388 Depth=2
	s_or_b32 exec_lo, exec_lo, s30
	s_delay_alu instid0(SALU_CYCLE_1)
	s_mov_b32 s59, exec_lo
	v_cmpx_lt_u32_e64 v132, v165
	s_cbranch_execnz .LBB701_551
.LBB701_485:                            ;   in Loop: Header=BB701_388 Depth=2
	s_or_b32 exec_lo, exec_lo, s59
	s_delay_alu instid0(SALU_CYCLE_1)
	s_mov_b32 s59, exec_lo
	v_cmpx_lt_u32_e64 v133, v165
	s_cbranch_execnz .LBB701_552
.LBB701_486:                            ;   in Loop: Header=BB701_388 Depth=2
	s_or_b32 exec_lo, exec_lo, s59
	s_delay_alu instid0(SALU_CYCLE_1)
	s_mov_b32 s59, exec_lo
	v_cmpx_lt_u32_e64 v134, v165
	s_cbranch_execnz .LBB701_553
.LBB701_487:                            ;   in Loop: Header=BB701_388 Depth=2
	s_or_b32 exec_lo, exec_lo, s59
	s_delay_alu instid0(SALU_CYCLE_1)
	s_mov_b32 s59, exec_lo
	v_cmpx_lt_u32_e64 v135, v165
	s_cbranch_execnz .LBB701_554
.LBB701_488:                            ;   in Loop: Header=BB701_388 Depth=2
	s_or_b32 exec_lo, exec_lo, s59
	s_delay_alu instid0(SALU_CYCLE_1)
	s_mov_b32 s59, exec_lo
	v_cmpx_lt_u32_e64 v136, v165
	s_cbranch_execnz .LBB701_555
.LBB701_489:                            ;   in Loop: Header=BB701_388 Depth=2
	s_or_b32 exec_lo, exec_lo, s59
	s_delay_alu instid0(SALU_CYCLE_1)
	s_mov_b32 s59, exec_lo
	v_cmpx_lt_u32_e64 v137, v165
	s_cbranch_execnz .LBB701_556
.LBB701_490:                            ;   in Loop: Header=BB701_388 Depth=2
	s_or_b32 exec_lo, exec_lo, s59
	s_delay_alu instid0(SALU_CYCLE_1)
	s_mov_b32 s59, exec_lo
	v_cmpx_lt_u32_e64 v138, v165
	s_cbranch_execnz .LBB701_557
.LBB701_491:                            ;   in Loop: Header=BB701_388 Depth=2
	s_or_b32 exec_lo, exec_lo, s59
	s_delay_alu instid0(SALU_CYCLE_1)
	s_mov_b32 s59, exec_lo
	v_cmpx_lt_u32_e64 v139, v165
	s_cbranch_execnz .LBB701_558
.LBB701_492:                            ;   in Loop: Header=BB701_388 Depth=2
	s_or_b32 exec_lo, exec_lo, s59
	s_delay_alu instid0(SALU_CYCLE_1)
	s_mov_b32 s59, exec_lo
	v_cmpx_lt_u32_e64 v140, v165
	s_cbranch_execnz .LBB701_559
.LBB701_493:                            ;   in Loop: Header=BB701_388 Depth=2
	s_or_b32 exec_lo, exec_lo, s59
	s_delay_alu instid0(SALU_CYCLE_1)
	s_mov_b32 s59, exec_lo
	v_cmpx_lt_u32_e64 v141, v165
	s_cbranch_execnz .LBB701_560
.LBB701_494:                            ;   in Loop: Header=BB701_388 Depth=2
	s_or_b32 exec_lo, exec_lo, s59
	s_delay_alu instid0(SALU_CYCLE_1)
	s_mov_b32 s59, exec_lo
	v_cmpx_lt_u32_e64 v142, v165
	s_cbranch_execnz .LBB701_561
.LBB701_495:                            ;   in Loop: Header=BB701_388 Depth=2
	s_or_b32 exec_lo, exec_lo, s59
	s_delay_alu instid0(SALU_CYCLE_1)
	s_mov_b32 s59, exec_lo
	v_cmpx_lt_u32_e64 v143, v165
	s_cbranch_execnz .LBB701_562
.LBB701_496:                            ;   in Loop: Header=BB701_388 Depth=2
	s_or_b32 exec_lo, exec_lo, s59
	s_delay_alu instid0(SALU_CYCLE_1)
	s_mov_b32 s59, exec_lo
	v_cmpx_lt_u32_e64 v144, v165
	s_cbranch_execnz .LBB701_563
.LBB701_497:                            ;   in Loop: Header=BB701_388 Depth=2
	s_or_b32 exec_lo, exec_lo, s59
	s_delay_alu instid0(SALU_CYCLE_1)
	s_mov_b32 s59, exec_lo
	v_cmpx_lt_u32_e64 v145, v165
	s_cbranch_execnz .LBB701_564
.LBB701_498:                            ;   in Loop: Header=BB701_388 Depth=2
	s_or_b32 exec_lo, exec_lo, s59
	s_delay_alu instid0(SALU_CYCLE_1)
	s_mov_b32 s59, exec_lo
	v_cmpx_lt_u32_e64 v146, v165
	s_cbranch_execnz .LBB701_565
.LBB701_499:                            ;   in Loop: Header=BB701_388 Depth=2
	s_or_b32 exec_lo, exec_lo, s59
	s_and_saveexec_b32 s30, vcc_lo
	s_cbranch_execnz .LBB701_566
.LBB701_500:                            ;   in Loop: Header=BB701_388 Depth=2
	s_or_b32 exec_lo, exec_lo, s30
	s_and_saveexec_b32 s30, s15
	s_cbranch_execnz .LBB701_567
.LBB701_501:                            ;   in Loop: Header=BB701_388 Depth=2
	s_or_b32 exec_lo, exec_lo, s30
	s_and_saveexec_b32 s30, s16
	s_cbranch_execnz .LBB701_568
.LBB701_502:                            ;   in Loop: Header=BB701_388 Depth=2
	s_or_b32 exec_lo, exec_lo, s30
	s_and_saveexec_b32 s30, s17
	s_cbranch_execnz .LBB701_569
.LBB701_503:                            ;   in Loop: Header=BB701_388 Depth=2
	s_or_b32 exec_lo, exec_lo, s30
	s_and_saveexec_b32 s30, s18
	s_cbranch_execnz .LBB701_570
.LBB701_504:                            ;   in Loop: Header=BB701_388 Depth=2
	s_or_b32 exec_lo, exec_lo, s30
	s_and_saveexec_b32 s30, s19
	s_cbranch_execnz .LBB701_571
.LBB701_505:                            ;   in Loop: Header=BB701_388 Depth=2
	s_or_b32 exec_lo, exec_lo, s30
	s_and_saveexec_b32 s30, s20
	s_cbranch_execnz .LBB701_572
.LBB701_506:                            ;   in Loop: Header=BB701_388 Depth=2
	s_or_b32 exec_lo, exec_lo, s30
	s_and_saveexec_b32 s30, s21
	s_cbranch_execnz .LBB701_573
.LBB701_507:                            ;   in Loop: Header=BB701_388 Depth=2
	s_or_b32 exec_lo, exec_lo, s30
	s_and_saveexec_b32 s30, s22
	s_cbranch_execnz .LBB701_574
.LBB701_508:                            ;   in Loop: Header=BB701_388 Depth=2
	s_or_b32 exec_lo, exec_lo, s30
	s_and_saveexec_b32 s30, s23
	s_cbranch_execnz .LBB701_575
.LBB701_509:                            ;   in Loop: Header=BB701_388 Depth=2
	s_or_b32 exec_lo, exec_lo, s30
	s_and_saveexec_b32 s30, s24
	s_cbranch_execnz .LBB701_576
.LBB701_510:                            ;   in Loop: Header=BB701_388 Depth=2
	s_or_b32 exec_lo, exec_lo, s30
	s_and_saveexec_b32 s30, s25
	s_cbranch_execnz .LBB701_577
.LBB701_511:                            ;   in Loop: Header=BB701_388 Depth=2
	s_or_b32 exec_lo, exec_lo, s30
	s_and_saveexec_b32 s30, s26
	s_cbranch_execnz .LBB701_578
.LBB701_512:                            ;   in Loop: Header=BB701_388 Depth=2
	s_or_b32 exec_lo, exec_lo, s30
	s_and_saveexec_b32 s30, s27
	s_cbranch_execnz .LBB701_579
.LBB701_513:                            ;   in Loop: Header=BB701_388 Depth=2
	s_or_b32 exec_lo, exec_lo, s30
	s_and_saveexec_b32 s30, s28
	s_cbranch_execnz .LBB701_580
.LBB701_514:                            ;   in Loop: Header=BB701_388 Depth=2
	s_or_b32 exec_lo, exec_lo, s30
	s_and_saveexec_b32 s30, s29
	s_cbranch_execz .LBB701_516
.LBB701_515:                            ;   in Loop: Header=BB701_388 Depth=2
	ds_load_b64 v[58:59], v123 offset:31744
	s_wait_dscnt 0x0
	v_lshrrev_b64 v[58:59], s48, v[58:59]
	s_delay_alu instid0(VALU_DEP_1)
	v_and_b32_e32 v149, s56, v58
.LBB701_516:                            ;   in Loop: Header=BB701_388 Depth=2
	s_or_b32 exec_lo, exec_lo, s30
	s_wait_loadcnt 0x0
	s_wait_storecnt 0x0
	s_barrier_signal -1
	s_barrier_wait -1
	ds_store_b64 v91, v[56:57] offset:1024
	ds_store_b64 v60, v[54:55] offset:1024
	;; [unrolled: 1-line block ×16, first 2 shown]
	s_wait_dscnt 0x0
	s_barrier_signal -1
	s_barrier_wait -1
	s_and_saveexec_b32 s30, vcc_lo
	s_cbranch_execnz .LBB701_581
; %bb.517:                              ;   in Loop: Header=BB701_388 Depth=2
	s_or_b32 exec_lo, exec_lo, s30
	s_and_saveexec_b32 s30, s15
	s_cbranch_execnz .LBB701_582
.LBB701_518:                            ;   in Loop: Header=BB701_388 Depth=2
	s_or_b32 exec_lo, exec_lo, s30
	s_and_saveexec_b32 s15, s16
	s_cbranch_execnz .LBB701_583
.LBB701_519:                            ;   in Loop: Header=BB701_388 Depth=2
	s_or_b32 exec_lo, exec_lo, s15
	s_and_saveexec_b32 s15, s17
	s_cbranch_execnz .LBB701_584
.LBB701_520:                            ;   in Loop: Header=BB701_388 Depth=2
	s_or_b32 exec_lo, exec_lo, s15
	s_and_saveexec_b32 s15, s18
	s_cbranch_execnz .LBB701_585
.LBB701_521:                            ;   in Loop: Header=BB701_388 Depth=2
	s_or_b32 exec_lo, exec_lo, s15
	s_and_saveexec_b32 s15, s19
	s_cbranch_execnz .LBB701_586
.LBB701_522:                            ;   in Loop: Header=BB701_388 Depth=2
	s_or_b32 exec_lo, exec_lo, s15
	s_and_saveexec_b32 s15, s20
	s_cbranch_execnz .LBB701_587
.LBB701_523:                            ;   in Loop: Header=BB701_388 Depth=2
	s_or_b32 exec_lo, exec_lo, s15
	s_and_saveexec_b32 s15, s21
	s_cbranch_execnz .LBB701_588
.LBB701_524:                            ;   in Loop: Header=BB701_388 Depth=2
	s_or_b32 exec_lo, exec_lo, s15
	s_and_saveexec_b32 s15, s22
	s_cbranch_execnz .LBB701_589
.LBB701_525:                            ;   in Loop: Header=BB701_388 Depth=2
	s_or_b32 exec_lo, exec_lo, s15
	s_and_saveexec_b32 s15, s23
	s_cbranch_execnz .LBB701_590
.LBB701_526:                            ;   in Loop: Header=BB701_388 Depth=2
	s_or_b32 exec_lo, exec_lo, s15
	s_and_saveexec_b32 s15, s24
	s_cbranch_execnz .LBB701_591
.LBB701_527:                            ;   in Loop: Header=BB701_388 Depth=2
	s_or_b32 exec_lo, exec_lo, s15
	s_and_saveexec_b32 s15, s25
	s_cbranch_execnz .LBB701_592
.LBB701_528:                            ;   in Loop: Header=BB701_388 Depth=2
	s_or_b32 exec_lo, exec_lo, s15
	s_and_saveexec_b32 s15, s26
	s_cbranch_execnz .LBB701_593
.LBB701_529:                            ;   in Loop: Header=BB701_388 Depth=2
	s_or_b32 exec_lo, exec_lo, s15
	s_and_saveexec_b32 s15, s27
	s_cbranch_execnz .LBB701_594
.LBB701_530:                            ;   in Loop: Header=BB701_388 Depth=2
	s_or_b32 exec_lo, exec_lo, s15
	s_and_saveexec_b32 s15, s28
	s_cbranch_execnz .LBB701_595
.LBB701_531:                            ;   in Loop: Header=BB701_388 Depth=2
	s_or_b32 exec_lo, exec_lo, s15
	s_and_saveexec_b32 s15, s29
	s_cbranch_execz .LBB701_533
.LBB701_532:                            ;   in Loop: Header=BB701_388 Depth=2
	v_lshlrev_b32_e32 v58, 2, v149
	ds_load_b32 v60, v58
	ds_load_b64 v[58:59], v123 offset:31744
	s_wait_dscnt 0x1
	v_add_nc_u32_e32 v60, v60, v112
	s_wait_dscnt 0x0
	global_store_b64 v60, v[58:59], s[46:47] scale_offset
.LBB701_533:                            ;   in Loop: Header=BB701_388 Depth=2
	s_wait_xcnt 0x0
	s_or_b32 exec_lo, exec_lo, s15
	s_wait_storecnt 0x0
	s_barrier_signal -1
	s_barrier_wait -1
	s_and_saveexec_b32 s15, s0
	s_cbranch_execz .LBB701_387
; %bb.534:                              ;   in Loop: Header=BB701_388 Depth=2
	ds_load_b32 v58, v3
	s_wait_dscnt 0x0
	v_add_nc_u32_e32 v58, v58, v90
	ds_store_b32 v3, v58
	s_branch .LBB701_387
.LBB701_535:                            ;   in Loop: Header=BB701_388 Depth=2
	ds_load_b64 v[58:59], v123 offset:1024
	s_wait_dscnt 0x0
	v_lshrrev_b64 v[66:67], s48, v[58:59]
	v_xor_b32_e32 v59, 0x7fffffff, v59
	v_not_b32_e32 v58, v58
	s_delay_alu instid0(VALU_DEP_3) | instskip(NEXT) | instid1(VALU_DEP_1)
	v_and_b32_e32 v66, s56, v66
	v_lshlrev_b32_e32 v66, 2, v66
	ds_load_b32 v66, v66
	s_wait_dscnt 0x0
	v_add_nc_u32_e32 v66, v66, v2
	global_store_b64 v66, v[58:59], s[40:41] scale_offset
	s_wait_xcnt 0x0
	s_or_b32 exec_lo, exec_lo, s15
	v_cmp_lt_u32_e64 s15, v98, v165
	s_and_saveexec_b32 s16, s15
	s_cbranch_execz .LBB701_468
.LBB701_536:                            ;   in Loop: Header=BB701_388 Depth=2
	ds_load_b64 v[58:59], v123 offset:3072
	s_wait_dscnt 0x0
	v_lshrrev_b64 v[66:67], s48, v[58:59]
	v_xor_b32_e32 v59, 0x7fffffff, v59
	v_not_b32_e32 v58, v58
	s_delay_alu instid0(VALU_DEP_3) | instskip(NEXT) | instid1(VALU_DEP_1)
	v_and_b32_e32 v66, s56, v66
	v_lshlrev_b32_e32 v66, 2, v66
	ds_load_b32 v66, v66
	s_wait_dscnt 0x0
	v_add_nc_u32_e32 v66, v66, v98
	global_store_b64 v66, v[58:59], s[40:41] scale_offset
	s_wait_xcnt 0x0
	s_or_b32 exec_lo, exec_lo, s16
	v_cmp_lt_u32_e64 s16, v99, v165
	s_and_saveexec_b32 s17, s16
	s_cbranch_execz .LBB701_469
.LBB701_537:                            ;   in Loop: Header=BB701_388 Depth=2
	ds_load_b64 v[58:59], v123 offset:5120
	s_wait_dscnt 0x0
	v_lshrrev_b64 v[66:67], s48, v[58:59]
	v_xor_b32_e32 v59, 0x7fffffff, v59
	v_not_b32_e32 v58, v58
	s_delay_alu instid0(VALU_DEP_3) | instskip(NEXT) | instid1(VALU_DEP_1)
	v_and_b32_e32 v66, s56, v66
	v_lshlrev_b32_e32 v66, 2, v66
	ds_load_b32 v66, v66
	s_wait_dscnt 0x0
	v_add_nc_u32_e32 v66, v66, v99
	global_store_b64 v66, v[58:59], s[40:41] scale_offset
	s_wait_xcnt 0x0
	s_or_b32 exec_lo, exec_lo, s17
	v_cmp_lt_u32_e64 s17, v100, v165
	s_and_saveexec_b32 s18, s17
	s_cbranch_execz .LBB701_470
.LBB701_538:                            ;   in Loop: Header=BB701_388 Depth=2
	ds_load_b64 v[58:59], v123 offset:7168
	s_wait_dscnt 0x0
	v_lshrrev_b64 v[66:67], s48, v[58:59]
	v_xor_b32_e32 v59, 0x7fffffff, v59
	v_not_b32_e32 v58, v58
	s_delay_alu instid0(VALU_DEP_3) | instskip(NEXT) | instid1(VALU_DEP_1)
	v_and_b32_e32 v66, s56, v66
	v_lshlrev_b32_e32 v66, 2, v66
	ds_load_b32 v66, v66
	s_wait_dscnt 0x0
	v_add_nc_u32_e32 v66, v66, v100
	global_store_b64 v66, v[58:59], s[40:41] scale_offset
	s_wait_xcnt 0x0
	s_or_b32 exec_lo, exec_lo, s18
	v_cmp_lt_u32_e64 s18, v101, v165
	s_and_saveexec_b32 s19, s18
	s_cbranch_execz .LBB701_471
.LBB701_539:                            ;   in Loop: Header=BB701_388 Depth=2
	ds_load_b64 v[58:59], v123 offset:9216
	s_wait_dscnt 0x0
	v_lshrrev_b64 v[66:67], s48, v[58:59]
	v_xor_b32_e32 v59, 0x7fffffff, v59
	v_not_b32_e32 v58, v58
	s_delay_alu instid0(VALU_DEP_3) | instskip(NEXT) | instid1(VALU_DEP_1)
	v_and_b32_e32 v66, s56, v66
	v_lshlrev_b32_e32 v66, 2, v66
	ds_load_b32 v66, v66
	s_wait_dscnt 0x0
	v_add_nc_u32_e32 v66, v66, v101
	global_store_b64 v66, v[58:59], s[40:41] scale_offset
	s_wait_xcnt 0x0
	s_or_b32 exec_lo, exec_lo, s19
	v_cmp_lt_u32_e64 s19, v102, v165
	s_and_saveexec_b32 s20, s19
	s_cbranch_execz .LBB701_472
.LBB701_540:                            ;   in Loop: Header=BB701_388 Depth=2
	ds_load_b64 v[58:59], v123 offset:11264
	s_wait_dscnt 0x0
	v_lshrrev_b64 v[66:67], s48, v[58:59]
	v_xor_b32_e32 v59, 0x7fffffff, v59
	v_not_b32_e32 v58, v58
	s_delay_alu instid0(VALU_DEP_3) | instskip(NEXT) | instid1(VALU_DEP_1)
	v_and_b32_e32 v66, s56, v66
	v_lshlrev_b32_e32 v66, 2, v66
	ds_load_b32 v66, v66
	s_wait_dscnt 0x0
	v_add_nc_u32_e32 v66, v66, v102
	global_store_b64 v66, v[58:59], s[40:41] scale_offset
	s_wait_xcnt 0x0
	s_or_b32 exec_lo, exec_lo, s20
	v_cmp_lt_u32_e64 s20, v103, v165
	s_and_saveexec_b32 s21, s20
	s_cbranch_execz .LBB701_473
.LBB701_541:                            ;   in Loop: Header=BB701_388 Depth=2
	ds_load_b64 v[58:59], v123 offset:13312
	s_wait_dscnt 0x0
	v_lshrrev_b64 v[66:67], s48, v[58:59]
	v_xor_b32_e32 v59, 0x7fffffff, v59
	v_not_b32_e32 v58, v58
	s_delay_alu instid0(VALU_DEP_3) | instskip(NEXT) | instid1(VALU_DEP_1)
	v_and_b32_e32 v66, s56, v66
	v_lshlrev_b32_e32 v66, 2, v66
	ds_load_b32 v66, v66
	s_wait_dscnt 0x0
	v_add_nc_u32_e32 v66, v66, v103
	global_store_b64 v66, v[58:59], s[40:41] scale_offset
	s_wait_xcnt 0x0
	s_or_b32 exec_lo, exec_lo, s21
	v_cmp_lt_u32_e64 s21, v104, v165
	s_and_saveexec_b32 s22, s21
	s_cbranch_execz .LBB701_474
.LBB701_542:                            ;   in Loop: Header=BB701_388 Depth=2
	ds_load_b64 v[58:59], v123 offset:15360
	s_wait_dscnt 0x0
	v_lshrrev_b64 v[66:67], s48, v[58:59]
	v_xor_b32_e32 v59, 0x7fffffff, v59
	v_not_b32_e32 v58, v58
	s_delay_alu instid0(VALU_DEP_3) | instskip(NEXT) | instid1(VALU_DEP_1)
	v_and_b32_e32 v66, s56, v66
	v_lshlrev_b32_e32 v66, 2, v66
	ds_load_b32 v66, v66
	s_wait_dscnt 0x0
	v_add_nc_u32_e32 v66, v66, v104
	global_store_b64 v66, v[58:59], s[40:41] scale_offset
	s_wait_xcnt 0x0
	s_or_b32 exec_lo, exec_lo, s22
	v_cmp_lt_u32_e64 s22, v105, v165
	s_and_saveexec_b32 s23, s22
	s_cbranch_execz .LBB701_475
.LBB701_543:                            ;   in Loop: Header=BB701_388 Depth=2
	ds_load_b64 v[58:59], v123 offset:17408
	s_wait_dscnt 0x0
	v_lshrrev_b64 v[66:67], s48, v[58:59]
	v_xor_b32_e32 v59, 0x7fffffff, v59
	v_not_b32_e32 v58, v58
	s_delay_alu instid0(VALU_DEP_3) | instskip(NEXT) | instid1(VALU_DEP_1)
	v_and_b32_e32 v66, s56, v66
	v_lshlrev_b32_e32 v66, 2, v66
	ds_load_b32 v66, v66
	s_wait_dscnt 0x0
	v_add_nc_u32_e32 v66, v66, v105
	global_store_b64 v66, v[58:59], s[40:41] scale_offset
	s_wait_xcnt 0x0
	s_or_b32 exec_lo, exec_lo, s23
	v_cmp_lt_u32_e64 s23, v106, v165
	s_and_saveexec_b32 s24, s23
	s_cbranch_execz .LBB701_476
.LBB701_544:                            ;   in Loop: Header=BB701_388 Depth=2
	ds_load_b64 v[58:59], v123 offset:19456
	s_wait_dscnt 0x0
	v_lshrrev_b64 v[66:67], s48, v[58:59]
	v_xor_b32_e32 v59, 0x7fffffff, v59
	v_not_b32_e32 v58, v58
	s_delay_alu instid0(VALU_DEP_3) | instskip(NEXT) | instid1(VALU_DEP_1)
	v_and_b32_e32 v66, s56, v66
	v_lshlrev_b32_e32 v66, 2, v66
	ds_load_b32 v66, v66
	s_wait_dscnt 0x0
	v_add_nc_u32_e32 v66, v66, v106
	global_store_b64 v66, v[58:59], s[40:41] scale_offset
	s_wait_xcnt 0x0
	s_or_b32 exec_lo, exec_lo, s24
	v_cmp_lt_u32_e64 s24, v107, v165
	s_and_saveexec_b32 s25, s24
	s_cbranch_execz .LBB701_477
.LBB701_545:                            ;   in Loop: Header=BB701_388 Depth=2
	ds_load_b64 v[58:59], v123 offset:21504
	s_wait_dscnt 0x0
	v_lshrrev_b64 v[66:67], s48, v[58:59]
	v_xor_b32_e32 v59, 0x7fffffff, v59
	v_not_b32_e32 v58, v58
	s_delay_alu instid0(VALU_DEP_3) | instskip(NEXT) | instid1(VALU_DEP_1)
	v_and_b32_e32 v66, s56, v66
	v_lshlrev_b32_e32 v66, 2, v66
	ds_load_b32 v66, v66
	s_wait_dscnt 0x0
	v_add_nc_u32_e32 v66, v66, v107
	global_store_b64 v66, v[58:59], s[40:41] scale_offset
	s_wait_xcnt 0x0
	s_or_b32 exec_lo, exec_lo, s25
	v_cmp_lt_u32_e64 s25, v108, v165
	s_and_saveexec_b32 s26, s25
	s_cbranch_execz .LBB701_478
.LBB701_546:                            ;   in Loop: Header=BB701_388 Depth=2
	ds_load_b64 v[58:59], v123 offset:23552
	s_wait_dscnt 0x0
	v_lshrrev_b64 v[66:67], s48, v[58:59]
	v_xor_b32_e32 v59, 0x7fffffff, v59
	v_not_b32_e32 v58, v58
	s_delay_alu instid0(VALU_DEP_3) | instskip(NEXT) | instid1(VALU_DEP_1)
	v_and_b32_e32 v66, s56, v66
	v_lshlrev_b32_e32 v66, 2, v66
	ds_load_b32 v66, v66
	s_wait_dscnt 0x0
	v_add_nc_u32_e32 v66, v66, v108
	global_store_b64 v66, v[58:59], s[40:41] scale_offset
	s_wait_xcnt 0x0
	s_or_b32 exec_lo, exec_lo, s26
	v_cmp_lt_u32_e64 s26, v109, v165
	s_and_saveexec_b32 s27, s26
	s_cbranch_execz .LBB701_479
.LBB701_547:                            ;   in Loop: Header=BB701_388 Depth=2
	ds_load_b64 v[58:59], v123 offset:25600
	s_wait_dscnt 0x0
	v_lshrrev_b64 v[66:67], s48, v[58:59]
	v_xor_b32_e32 v59, 0x7fffffff, v59
	v_not_b32_e32 v58, v58
	s_delay_alu instid0(VALU_DEP_3) | instskip(NEXT) | instid1(VALU_DEP_1)
	v_and_b32_e32 v66, s56, v66
	v_lshlrev_b32_e32 v66, 2, v66
	ds_load_b32 v66, v66
	s_wait_dscnt 0x0
	v_add_nc_u32_e32 v66, v66, v109
	global_store_b64 v66, v[58:59], s[40:41] scale_offset
	s_wait_xcnt 0x0
	s_or_b32 exec_lo, exec_lo, s27
	v_cmp_lt_u32_e64 s27, v110, v165
	s_and_saveexec_b32 s28, s27
	s_cbranch_execz .LBB701_480
.LBB701_548:                            ;   in Loop: Header=BB701_388 Depth=2
	ds_load_b64 v[58:59], v123 offset:27648
	s_wait_dscnt 0x0
	v_lshrrev_b64 v[66:67], s48, v[58:59]
	v_xor_b32_e32 v59, 0x7fffffff, v59
	v_not_b32_e32 v58, v58
	s_delay_alu instid0(VALU_DEP_3) | instskip(NEXT) | instid1(VALU_DEP_1)
	v_and_b32_e32 v66, s56, v66
	v_lshlrev_b32_e32 v66, 2, v66
	ds_load_b32 v66, v66
	s_wait_dscnt 0x0
	v_add_nc_u32_e32 v66, v66, v110
	global_store_b64 v66, v[58:59], s[40:41] scale_offset
	s_wait_xcnt 0x0
	s_or_b32 exec_lo, exec_lo, s28
	v_cmp_lt_u32_e64 s28, v111, v165
	s_and_saveexec_b32 s29, s28
	s_cbranch_execz .LBB701_481
.LBB701_549:                            ;   in Loop: Header=BB701_388 Depth=2
	ds_load_b64 v[58:59], v123 offset:29696
	s_wait_dscnt 0x0
	v_lshrrev_b64 v[66:67], s48, v[58:59]
	v_xor_b32_e32 v59, 0x7fffffff, v59
	v_not_b32_e32 v58, v58
	s_delay_alu instid0(VALU_DEP_3) | instskip(NEXT) | instid1(VALU_DEP_1)
	v_and_b32_e32 v66, s56, v66
	v_lshlrev_b32_e32 v66, 2, v66
	ds_load_b32 v66, v66
	s_wait_dscnt 0x0
	v_add_nc_u32_e32 v66, v66, v111
	global_store_b64 v66, v[58:59], s[40:41] scale_offset
	s_wait_xcnt 0x0
	s_or_b32 exec_lo, exec_lo, s29
	v_cmp_lt_u32_e64 s29, v112, v165
	s_and_saveexec_b32 s59, s29
	s_cbranch_execnz .LBB701_482
	s_branch .LBB701_483
.LBB701_550:                            ;   in Loop: Header=BB701_388 Depth=2
	global_load_b64 v[56:57], v[58:59], off
	s_wait_xcnt 0x0
	s_or_b32 exec_lo, exec_lo, s30
	s_delay_alu instid0(SALU_CYCLE_1)
	s_mov_b32 s59, exec_lo
	v_cmpx_lt_u32_e64 v132, v165
	s_cbranch_execz .LBB701_485
.LBB701_551:                            ;   in Loop: Header=BB701_388 Depth=2
	global_load_b64 v[54:55], v[58:59], off offset:256
	s_wait_xcnt 0x0
	s_or_b32 exec_lo, exec_lo, s59
	s_delay_alu instid0(SALU_CYCLE_1)
	s_mov_b32 s59, exec_lo
	v_cmpx_lt_u32_e64 v133, v165
	s_cbranch_execz .LBB701_486
.LBB701_552:                            ;   in Loop: Header=BB701_388 Depth=2
	global_load_b64 v[52:53], v[58:59], off offset:512
	s_wait_xcnt 0x0
	s_or_b32 exec_lo, exec_lo, s59
	s_delay_alu instid0(SALU_CYCLE_1)
	s_mov_b32 s59, exec_lo
	v_cmpx_lt_u32_e64 v134, v165
	s_cbranch_execz .LBB701_487
.LBB701_553:                            ;   in Loop: Header=BB701_388 Depth=2
	global_load_b64 v[50:51], v[58:59], off offset:768
	s_wait_xcnt 0x0
	s_or_b32 exec_lo, exec_lo, s59
	s_delay_alu instid0(SALU_CYCLE_1)
	s_mov_b32 s59, exec_lo
	v_cmpx_lt_u32_e64 v135, v165
	s_cbranch_execz .LBB701_488
.LBB701_554:                            ;   in Loop: Header=BB701_388 Depth=2
	global_load_b64 v[48:49], v[58:59], off offset:1024
	s_wait_xcnt 0x0
	s_or_b32 exec_lo, exec_lo, s59
	s_delay_alu instid0(SALU_CYCLE_1)
	s_mov_b32 s59, exec_lo
	v_cmpx_lt_u32_e64 v136, v165
	s_cbranch_execz .LBB701_489
.LBB701_555:                            ;   in Loop: Header=BB701_388 Depth=2
	global_load_b64 v[46:47], v[58:59], off offset:1280
	s_wait_xcnt 0x0
	s_or_b32 exec_lo, exec_lo, s59
	s_delay_alu instid0(SALU_CYCLE_1)
	s_mov_b32 s59, exec_lo
	v_cmpx_lt_u32_e64 v137, v165
	s_cbranch_execz .LBB701_490
.LBB701_556:                            ;   in Loop: Header=BB701_388 Depth=2
	global_load_b64 v[44:45], v[58:59], off offset:1536
	s_wait_xcnt 0x0
	s_or_b32 exec_lo, exec_lo, s59
	s_delay_alu instid0(SALU_CYCLE_1)
	s_mov_b32 s59, exec_lo
	v_cmpx_lt_u32_e64 v138, v165
	s_cbranch_execz .LBB701_491
.LBB701_557:                            ;   in Loop: Header=BB701_388 Depth=2
	global_load_b64 v[42:43], v[58:59], off offset:1792
	s_wait_xcnt 0x0
	s_or_b32 exec_lo, exec_lo, s59
	s_delay_alu instid0(SALU_CYCLE_1)
	s_mov_b32 s59, exec_lo
	v_cmpx_lt_u32_e64 v139, v165
	s_cbranch_execz .LBB701_492
.LBB701_558:                            ;   in Loop: Header=BB701_388 Depth=2
	global_load_b64 v[40:41], v[58:59], off offset:2048
	s_wait_xcnt 0x0
	s_or_b32 exec_lo, exec_lo, s59
	s_delay_alu instid0(SALU_CYCLE_1)
	s_mov_b32 s59, exec_lo
	v_cmpx_lt_u32_e64 v140, v165
	s_cbranch_execz .LBB701_493
.LBB701_559:                            ;   in Loop: Header=BB701_388 Depth=2
	global_load_b64 v[38:39], v[58:59], off offset:2304
	s_wait_xcnt 0x0
	s_or_b32 exec_lo, exec_lo, s59
	s_delay_alu instid0(SALU_CYCLE_1)
	s_mov_b32 s59, exec_lo
	v_cmpx_lt_u32_e64 v141, v165
	s_cbranch_execz .LBB701_494
.LBB701_560:                            ;   in Loop: Header=BB701_388 Depth=2
	global_load_b64 v[36:37], v[58:59], off offset:2560
	s_wait_xcnt 0x0
	s_or_b32 exec_lo, exec_lo, s59
	s_delay_alu instid0(SALU_CYCLE_1)
	s_mov_b32 s59, exec_lo
	v_cmpx_lt_u32_e64 v142, v165
	s_cbranch_execz .LBB701_495
.LBB701_561:                            ;   in Loop: Header=BB701_388 Depth=2
	global_load_b64 v[34:35], v[58:59], off offset:2816
	s_wait_xcnt 0x0
	s_or_b32 exec_lo, exec_lo, s59
	s_delay_alu instid0(SALU_CYCLE_1)
	s_mov_b32 s59, exec_lo
	v_cmpx_lt_u32_e64 v143, v165
	s_cbranch_execz .LBB701_496
.LBB701_562:                            ;   in Loop: Header=BB701_388 Depth=2
	global_load_b64 v[32:33], v[58:59], off offset:3072
	s_wait_xcnt 0x0
	s_or_b32 exec_lo, exec_lo, s59
	s_delay_alu instid0(SALU_CYCLE_1)
	s_mov_b32 s59, exec_lo
	v_cmpx_lt_u32_e64 v144, v165
	s_cbranch_execz .LBB701_497
.LBB701_563:                            ;   in Loop: Header=BB701_388 Depth=2
	global_load_b64 v[30:31], v[58:59], off offset:3328
	s_wait_xcnt 0x0
	s_or_b32 exec_lo, exec_lo, s59
	s_delay_alu instid0(SALU_CYCLE_1)
	s_mov_b32 s59, exec_lo
	v_cmpx_lt_u32_e64 v145, v165
	s_cbranch_execz .LBB701_498
.LBB701_564:                            ;   in Loop: Header=BB701_388 Depth=2
	global_load_b64 v[28:29], v[58:59], off offset:3584
	s_wait_xcnt 0x0
	s_or_b32 exec_lo, exec_lo, s59
	s_delay_alu instid0(SALU_CYCLE_1)
	s_mov_b32 s59, exec_lo
	v_cmpx_lt_u32_e64 v146, v165
	s_cbranch_execz .LBB701_499
.LBB701_565:                            ;   in Loop: Header=BB701_388 Depth=2
	global_load_b64 v[26:27], v[58:59], off offset:3840
	s_wait_xcnt 0x0
	s_or_b32 exec_lo, exec_lo, s59
	s_and_saveexec_b32 s30, vcc_lo
	s_cbranch_execz .LBB701_500
.LBB701_566:                            ;   in Loop: Header=BB701_388 Depth=2
	ds_load_b64 v[58:59], v123 offset:1024
	s_wait_dscnt 0x0
	v_lshrrev_b64 v[58:59], s48, v[58:59]
	s_delay_alu instid0(VALU_DEP_1)
	v_and_b32_e32 v164, s56, v58
	s_or_b32 exec_lo, exec_lo, s30
	s_and_saveexec_b32 s30, s15
	s_cbranch_execz .LBB701_501
.LBB701_567:                            ;   in Loop: Header=BB701_388 Depth=2
	ds_load_b64 v[58:59], v123 offset:3072
	s_wait_dscnt 0x0
	v_lshrrev_b64 v[58:59], s48, v[58:59]
	s_delay_alu instid0(VALU_DEP_1)
	v_and_b32_e32 v163, s56, v58
	s_or_b32 exec_lo, exec_lo, s30
	s_and_saveexec_b32 s30, s16
	s_cbranch_execz .LBB701_502
.LBB701_568:                            ;   in Loop: Header=BB701_388 Depth=2
	ds_load_b64 v[58:59], v123 offset:5120
	s_wait_dscnt 0x0
	v_lshrrev_b64 v[58:59], s48, v[58:59]
	s_delay_alu instid0(VALU_DEP_1)
	v_and_b32_e32 v162, s56, v58
	s_or_b32 exec_lo, exec_lo, s30
	s_and_saveexec_b32 s30, s17
	s_cbranch_execz .LBB701_503
.LBB701_569:                            ;   in Loop: Header=BB701_388 Depth=2
	ds_load_b64 v[58:59], v123 offset:7168
	s_wait_dscnt 0x0
	v_lshrrev_b64 v[58:59], s48, v[58:59]
	s_delay_alu instid0(VALU_DEP_1)
	v_and_b32_e32 v161, s56, v58
	s_or_b32 exec_lo, exec_lo, s30
	s_and_saveexec_b32 s30, s18
	s_cbranch_execz .LBB701_504
.LBB701_570:                            ;   in Loop: Header=BB701_388 Depth=2
	ds_load_b64 v[58:59], v123 offset:9216
	s_wait_dscnt 0x0
	v_lshrrev_b64 v[58:59], s48, v[58:59]
	s_delay_alu instid0(VALU_DEP_1)
	v_and_b32_e32 v160, s56, v58
	s_or_b32 exec_lo, exec_lo, s30
	s_and_saveexec_b32 s30, s19
	s_cbranch_execz .LBB701_505
.LBB701_571:                            ;   in Loop: Header=BB701_388 Depth=2
	ds_load_b64 v[58:59], v123 offset:11264
	s_wait_dscnt 0x0
	v_lshrrev_b64 v[58:59], s48, v[58:59]
	s_delay_alu instid0(VALU_DEP_1)
	v_and_b32_e32 v159, s56, v58
	s_or_b32 exec_lo, exec_lo, s30
	s_and_saveexec_b32 s30, s20
	s_cbranch_execz .LBB701_506
.LBB701_572:                            ;   in Loop: Header=BB701_388 Depth=2
	ds_load_b64 v[58:59], v123 offset:13312
	s_wait_dscnt 0x0
	v_lshrrev_b64 v[58:59], s48, v[58:59]
	s_delay_alu instid0(VALU_DEP_1)
	v_and_b32_e32 v158, s56, v58
	s_or_b32 exec_lo, exec_lo, s30
	s_and_saveexec_b32 s30, s21
	s_cbranch_execz .LBB701_507
.LBB701_573:                            ;   in Loop: Header=BB701_388 Depth=2
	ds_load_b64 v[58:59], v123 offset:15360
	s_wait_dscnt 0x0
	v_lshrrev_b64 v[58:59], s48, v[58:59]
	s_delay_alu instid0(VALU_DEP_1)
	v_and_b32_e32 v157, s56, v58
	s_or_b32 exec_lo, exec_lo, s30
	s_and_saveexec_b32 s30, s22
	s_cbranch_execz .LBB701_508
.LBB701_574:                            ;   in Loop: Header=BB701_388 Depth=2
	ds_load_b64 v[58:59], v123 offset:17408
	s_wait_dscnt 0x0
	v_lshrrev_b64 v[58:59], s48, v[58:59]
	s_delay_alu instid0(VALU_DEP_1)
	v_and_b32_e32 v156, s56, v58
	s_or_b32 exec_lo, exec_lo, s30
	s_and_saveexec_b32 s30, s23
	s_cbranch_execz .LBB701_509
.LBB701_575:                            ;   in Loop: Header=BB701_388 Depth=2
	ds_load_b64 v[58:59], v123 offset:19456
	s_wait_dscnt 0x0
	v_lshrrev_b64 v[58:59], s48, v[58:59]
	s_delay_alu instid0(VALU_DEP_1)
	v_and_b32_e32 v155, s56, v58
	s_or_b32 exec_lo, exec_lo, s30
	s_and_saveexec_b32 s30, s24
	s_cbranch_execz .LBB701_510
.LBB701_576:                            ;   in Loop: Header=BB701_388 Depth=2
	ds_load_b64 v[58:59], v123 offset:21504
	s_wait_dscnt 0x0
	v_lshrrev_b64 v[58:59], s48, v[58:59]
	s_delay_alu instid0(VALU_DEP_1)
	v_and_b32_e32 v154, s56, v58
	s_or_b32 exec_lo, exec_lo, s30
	s_and_saveexec_b32 s30, s25
	s_cbranch_execz .LBB701_511
.LBB701_577:                            ;   in Loop: Header=BB701_388 Depth=2
	ds_load_b64 v[58:59], v123 offset:23552
	s_wait_dscnt 0x0
	v_lshrrev_b64 v[58:59], s48, v[58:59]
	s_delay_alu instid0(VALU_DEP_1)
	v_and_b32_e32 v153, s56, v58
	s_or_b32 exec_lo, exec_lo, s30
	s_and_saveexec_b32 s30, s26
	s_cbranch_execz .LBB701_512
.LBB701_578:                            ;   in Loop: Header=BB701_388 Depth=2
	ds_load_b64 v[58:59], v123 offset:25600
	s_wait_dscnt 0x0
	v_lshrrev_b64 v[58:59], s48, v[58:59]
	s_delay_alu instid0(VALU_DEP_1)
	v_and_b32_e32 v152, s56, v58
	s_or_b32 exec_lo, exec_lo, s30
	s_and_saveexec_b32 s30, s27
	s_cbranch_execz .LBB701_513
.LBB701_579:                            ;   in Loop: Header=BB701_388 Depth=2
	ds_load_b64 v[58:59], v123 offset:27648
	s_wait_dscnt 0x0
	v_lshrrev_b64 v[58:59], s48, v[58:59]
	s_delay_alu instid0(VALU_DEP_1)
	v_and_b32_e32 v151, s56, v58
	s_or_b32 exec_lo, exec_lo, s30
	s_and_saveexec_b32 s30, s28
	s_cbranch_execz .LBB701_514
.LBB701_580:                            ;   in Loop: Header=BB701_388 Depth=2
	ds_load_b64 v[58:59], v123 offset:29696
	s_wait_dscnt 0x0
	v_lshrrev_b64 v[58:59], s48, v[58:59]
	s_delay_alu instid0(VALU_DEP_1)
	v_and_b32_e32 v150, s56, v58
	s_or_b32 exec_lo, exec_lo, s30
	s_and_saveexec_b32 s30, s29
	s_cbranch_execnz .LBB701_515
	s_branch .LBB701_516
.LBB701_581:                            ;   in Loop: Header=BB701_388 Depth=2
	v_lshlrev_b32_e32 v58, 2, v164
	ds_load_b32 v60, v58
	ds_load_b64 v[58:59], v123 offset:1024
	s_wait_dscnt 0x1
	v_add_nc_u32_e32 v60, v60, v2
	s_wait_dscnt 0x0
	global_store_b64 v60, v[58:59], s[46:47] scale_offset
	s_wait_xcnt 0x0
	s_or_b32 exec_lo, exec_lo, s30
	s_and_saveexec_b32 s30, s15
	s_cbranch_execz .LBB701_518
.LBB701_582:                            ;   in Loop: Header=BB701_388 Depth=2
	v_lshlrev_b32_e32 v58, 2, v163
	ds_load_b32 v60, v58
	ds_load_b64 v[58:59], v123 offset:3072
	s_wait_dscnt 0x1
	v_add_nc_u32_e32 v60, v60, v98
	s_wait_dscnt 0x0
	global_store_b64 v60, v[58:59], s[46:47] scale_offset
	s_wait_xcnt 0x0
	s_or_b32 exec_lo, exec_lo, s30
	s_and_saveexec_b32 s15, s16
	s_cbranch_execz .LBB701_519
.LBB701_583:                            ;   in Loop: Header=BB701_388 Depth=2
	v_lshlrev_b32_e32 v58, 2, v162
	ds_load_b32 v60, v58
	ds_load_b64 v[58:59], v123 offset:5120
	s_wait_dscnt 0x1
	v_add_nc_u32_e32 v60, v60, v99
	s_wait_dscnt 0x0
	global_store_b64 v60, v[58:59], s[46:47] scale_offset
	s_wait_xcnt 0x0
	s_or_b32 exec_lo, exec_lo, s15
	s_and_saveexec_b32 s15, s17
	s_cbranch_execz .LBB701_520
.LBB701_584:                            ;   in Loop: Header=BB701_388 Depth=2
	v_lshlrev_b32_e32 v58, 2, v161
	ds_load_b32 v60, v58
	ds_load_b64 v[58:59], v123 offset:7168
	s_wait_dscnt 0x1
	v_add_nc_u32_e32 v60, v60, v100
	s_wait_dscnt 0x0
	global_store_b64 v60, v[58:59], s[46:47] scale_offset
	s_wait_xcnt 0x0
	s_or_b32 exec_lo, exec_lo, s15
	s_and_saveexec_b32 s15, s18
	s_cbranch_execz .LBB701_521
.LBB701_585:                            ;   in Loop: Header=BB701_388 Depth=2
	v_lshlrev_b32_e32 v58, 2, v160
	ds_load_b32 v60, v58
	ds_load_b64 v[58:59], v123 offset:9216
	s_wait_dscnt 0x1
	v_add_nc_u32_e32 v60, v60, v101
	s_wait_dscnt 0x0
	global_store_b64 v60, v[58:59], s[46:47] scale_offset
	s_wait_xcnt 0x0
	s_or_b32 exec_lo, exec_lo, s15
	s_and_saveexec_b32 s15, s19
	s_cbranch_execz .LBB701_522
.LBB701_586:                            ;   in Loop: Header=BB701_388 Depth=2
	v_lshlrev_b32_e32 v58, 2, v159
	ds_load_b32 v60, v58
	ds_load_b64 v[58:59], v123 offset:11264
	s_wait_dscnt 0x1
	v_add_nc_u32_e32 v60, v60, v102
	s_wait_dscnt 0x0
	global_store_b64 v60, v[58:59], s[46:47] scale_offset
	s_wait_xcnt 0x0
	s_or_b32 exec_lo, exec_lo, s15
	s_and_saveexec_b32 s15, s20
	s_cbranch_execz .LBB701_523
.LBB701_587:                            ;   in Loop: Header=BB701_388 Depth=2
	v_lshlrev_b32_e32 v58, 2, v158
	ds_load_b32 v60, v58
	ds_load_b64 v[58:59], v123 offset:13312
	s_wait_dscnt 0x1
	v_add_nc_u32_e32 v60, v60, v103
	s_wait_dscnt 0x0
	global_store_b64 v60, v[58:59], s[46:47] scale_offset
	s_wait_xcnt 0x0
	s_or_b32 exec_lo, exec_lo, s15
	s_and_saveexec_b32 s15, s21
	s_cbranch_execz .LBB701_524
.LBB701_588:                            ;   in Loop: Header=BB701_388 Depth=2
	v_lshlrev_b32_e32 v58, 2, v157
	ds_load_b32 v60, v58
	ds_load_b64 v[58:59], v123 offset:15360
	s_wait_dscnt 0x1
	v_add_nc_u32_e32 v60, v60, v104
	s_wait_dscnt 0x0
	global_store_b64 v60, v[58:59], s[46:47] scale_offset
	s_wait_xcnt 0x0
	s_or_b32 exec_lo, exec_lo, s15
	s_and_saveexec_b32 s15, s22
	s_cbranch_execz .LBB701_525
.LBB701_589:                            ;   in Loop: Header=BB701_388 Depth=2
	v_lshlrev_b32_e32 v58, 2, v156
	ds_load_b32 v60, v58
	ds_load_b64 v[58:59], v123 offset:17408
	s_wait_dscnt 0x1
	v_add_nc_u32_e32 v60, v60, v105
	s_wait_dscnt 0x0
	global_store_b64 v60, v[58:59], s[46:47] scale_offset
	s_wait_xcnt 0x0
	s_or_b32 exec_lo, exec_lo, s15
	s_and_saveexec_b32 s15, s23
	s_cbranch_execz .LBB701_526
.LBB701_590:                            ;   in Loop: Header=BB701_388 Depth=2
	v_lshlrev_b32_e32 v58, 2, v155
	ds_load_b32 v60, v58
	ds_load_b64 v[58:59], v123 offset:19456
	s_wait_dscnt 0x1
	v_add_nc_u32_e32 v60, v60, v106
	s_wait_dscnt 0x0
	global_store_b64 v60, v[58:59], s[46:47] scale_offset
	s_wait_xcnt 0x0
	s_or_b32 exec_lo, exec_lo, s15
	s_and_saveexec_b32 s15, s24
	s_cbranch_execz .LBB701_527
.LBB701_591:                            ;   in Loop: Header=BB701_388 Depth=2
	v_lshlrev_b32_e32 v58, 2, v154
	ds_load_b32 v60, v58
	ds_load_b64 v[58:59], v123 offset:21504
	s_wait_dscnt 0x1
	v_add_nc_u32_e32 v60, v60, v107
	s_wait_dscnt 0x0
	global_store_b64 v60, v[58:59], s[46:47] scale_offset
	s_wait_xcnt 0x0
	s_or_b32 exec_lo, exec_lo, s15
	s_and_saveexec_b32 s15, s25
	s_cbranch_execz .LBB701_528
.LBB701_592:                            ;   in Loop: Header=BB701_388 Depth=2
	v_lshlrev_b32_e32 v58, 2, v153
	ds_load_b32 v60, v58
	ds_load_b64 v[58:59], v123 offset:23552
	s_wait_dscnt 0x1
	v_add_nc_u32_e32 v60, v60, v108
	s_wait_dscnt 0x0
	global_store_b64 v60, v[58:59], s[46:47] scale_offset
	s_wait_xcnt 0x0
	s_or_b32 exec_lo, exec_lo, s15
	s_and_saveexec_b32 s15, s26
	s_cbranch_execz .LBB701_529
.LBB701_593:                            ;   in Loop: Header=BB701_388 Depth=2
	v_lshlrev_b32_e32 v58, 2, v152
	ds_load_b32 v60, v58
	ds_load_b64 v[58:59], v123 offset:25600
	s_wait_dscnt 0x1
	v_add_nc_u32_e32 v60, v60, v109
	s_wait_dscnt 0x0
	global_store_b64 v60, v[58:59], s[46:47] scale_offset
	s_wait_xcnt 0x0
	s_or_b32 exec_lo, exec_lo, s15
	s_and_saveexec_b32 s15, s27
	s_cbranch_execz .LBB701_530
.LBB701_594:                            ;   in Loop: Header=BB701_388 Depth=2
	v_lshlrev_b32_e32 v58, 2, v151
	ds_load_b32 v60, v58
	ds_load_b64 v[58:59], v123 offset:27648
	s_wait_dscnt 0x1
	v_add_nc_u32_e32 v60, v60, v110
	s_wait_dscnt 0x0
	global_store_b64 v60, v[58:59], s[46:47] scale_offset
	s_wait_xcnt 0x0
	s_or_b32 exec_lo, exec_lo, s15
	s_and_saveexec_b32 s15, s28
	s_cbranch_execz .LBB701_531
.LBB701_595:                            ;   in Loop: Header=BB701_388 Depth=2
	v_lshlrev_b32_e32 v58, 2, v150
	ds_load_b32 v60, v58
	ds_load_b64 v[58:59], v123 offset:29696
	s_wait_dscnt 0x1
	v_add_nc_u32_e32 v60, v60, v111
	s_wait_dscnt 0x0
	global_store_b64 v60, v[58:59], s[46:47] scale_offset
	s_wait_xcnt 0x0
	s_or_b32 exec_lo, exec_lo, s15
	s_and_saveexec_b32 s15, s29
	s_cbranch_execnz .LBB701_532
	s_branch .LBB701_533
.LBB701_596:                            ;   in Loop: Header=BB701_12 Depth=1
	s_wait_dscnt 0x0
	s_barrier_signal -1
	s_barrier_wait -1
.LBB701_597:                            ;   in Loop: Header=BB701_12 Depth=1
	s_mov_b32 s7, 0
.LBB701_598:                            ;   in Loop: Header=BB701_12 Depth=1
	s_delay_alu instid0(SALU_CYCLE_1)
	s_and_not1_b32 vcc_lo, exec_lo, s7
	s_cbranch_vccnz .LBB701_11
; %bb.599:                              ;   in Loop: Header=BB701_12 Depth=1
	s_lshl_b32 s7, -1, s55
	s_and_b32 vcc_lo, exec_lo, s53
	s_not_b32 s55, s7
	s_mov_b32 s7, -1
	s_cbranch_vccz .LBB701_891
; %bb.600:                              ;   in Loop: Header=BB701_12 Depth=1
	s_mov_b32 s7, s54
	s_mov_b32 s30, s52
	s_barrier_signal -1
	s_barrier_wait -1
                                        ; implicit-def: $vgpr22_vgpr23
                                        ; implicit-def: $vgpr24_vgpr25
                                        ; implicit-def: $vgpr26_vgpr27
                                        ; implicit-def: $vgpr28_vgpr29
                                        ; implicit-def: $vgpr30_vgpr31
                                        ; implicit-def: $vgpr32_vgpr33
                                        ; implicit-def: $vgpr34_vgpr35
                                        ; implicit-def: $vgpr36_vgpr37
                                        ; implicit-def: $vgpr38_vgpr39
                                        ; implicit-def: $vgpr40_vgpr41
                                        ; implicit-def: $vgpr42_vgpr43
                                        ; implicit-def: $vgpr44_vgpr45
                                        ; implicit-def: $vgpr46_vgpr47
                                        ; implicit-def: $vgpr48_vgpr49
                                        ; implicit-def: $vgpr50_vgpr51
                                        ; implicit-def: $vgpr52_vgpr53
	s_branch .LBB701_602
.LBB701_601:                            ;   in Loop: Header=BB701_602 Depth=2
	s_or_b32 exec_lo, exec_lo, s8
	s_addk_co_i32 s7, 0xf000
	s_cmp_ge_u32 s10, s51
	s_mov_b32 s30, s10
	s_cbranch_scc1 .LBB701_670
.LBB701_602:                            ;   Parent Loop BB701_12 Depth=1
                                        ; =>  This Inner Loop Header: Depth=2
	s_add_co_i32 s10, s30, 0x1000
	s_mov_b32 s8, -1
	s_cmp_gt_u32 s10, s51
                                        ; implicit-def: $vgpr54_vgpr55
                                        ; implicit-def: $vgpr56_vgpr57
                                        ; implicit-def: $vgpr58_vgpr59
                                        ; implicit-def: $vgpr60_vgpr61
                                        ; implicit-def: $vgpr62_vgpr63
                                        ; implicit-def: $vgpr64_vgpr65
                                        ; implicit-def: $vgpr66_vgpr67
                                        ; implicit-def: $vgpr68_vgpr69
                                        ; implicit-def: $vgpr70_vgpr71
                                        ; implicit-def: $vgpr72_vgpr73
                                        ; implicit-def: $vgpr74_vgpr75
                                        ; implicit-def: $vgpr76_vgpr77
                                        ; implicit-def: $vgpr78_vgpr79
                                        ; implicit-def: $vgpr80_vgpr81
                                        ; implicit-def: $vgpr82_vgpr83
                                        ; implicit-def: $vgpr84_vgpr85
	s_cbranch_scc1 .LBB701_604
; %bb.603:                              ;   in Loop: Header=BB701_602 Depth=2
	v_lshl_add_u64 v[84:85], s[30:31], 3, v[16:17]
	s_mov_b32 s8, 0
	s_clause 0xf
	global_load_b64 v[54:55], v[84:85], off
	global_load_b64 v[56:57], v[84:85], off offset:2048
	global_load_b64 v[58:59], v[84:85], off offset:4096
	global_load_b64 v[60:61], v[84:85], off offset:6144
	global_load_b64 v[62:63], v[84:85], off offset:8192
	global_load_b64 v[64:65], v[84:85], off offset:10240
	global_load_b64 v[66:67], v[84:85], off offset:12288
	global_load_b64 v[68:69], v[84:85], off offset:14336
	global_load_b64 v[70:71], v[84:85], off offset:16384
	global_load_b64 v[72:73], v[84:85], off offset:18432
	global_load_b64 v[74:75], v[84:85], off offset:20480
	global_load_b64 v[76:77], v[84:85], off offset:22528
	global_load_b64 v[78:79], v[84:85], off offset:24576
	global_load_b64 v[80:81], v[84:85], off offset:26624
	global_load_b64 v[82:83], v[84:85], off offset:28672
	global_load_b64 v[84:85], v[84:85], off offset:30720
.LBB701_604:                            ;   in Loop: Header=BB701_602 Depth=2
	s_and_not1_b32 vcc_lo, exec_lo, s8
	s_movk_i32 s8, 0x1000
	s_cbranch_vccnz .LBB701_623
; %bb.605:                              ;   in Loop: Header=BB701_602 Depth=2
	s_lshl_b64 s[8:9], s[30:31], 3
	s_mov_b32 s11, exec_lo
	s_add_nc_u64 s[8:9], s[36:37], s[8:9]
	s_wait_xcnt 0x0
	v_cmpx_gt_u32_e64 s7, v2
	s_cbranch_execnz .LBB701_655
; %bb.606:                              ;   in Loop: Header=BB701_602 Depth=2
	s_or_b32 exec_lo, exec_lo, s11
	s_delay_alu instid0(SALU_CYCLE_1)
	s_mov_b32 s11, exec_lo
	v_cmpx_gt_u32_e64 s7, v98
	s_cbranch_execnz .LBB701_656
.LBB701_607:                            ;   in Loop: Header=BB701_602 Depth=2
	s_or_b32 exec_lo, exec_lo, s11
	s_delay_alu instid0(SALU_CYCLE_1)
	s_mov_b32 s11, exec_lo
	v_cmpx_gt_u32_e64 s7, v99
	s_cbranch_execnz .LBB701_657
.LBB701_608:                            ;   in Loop: Header=BB701_602 Depth=2
	s_or_b32 exec_lo, exec_lo, s11
	s_delay_alu instid0(SALU_CYCLE_1)
	s_mov_b32 s11, exec_lo
	v_cmpx_gt_u32_e64 s7, v100
	s_cbranch_execnz .LBB701_658
.LBB701_609:                            ;   in Loop: Header=BB701_602 Depth=2
	s_or_b32 exec_lo, exec_lo, s11
	s_delay_alu instid0(SALU_CYCLE_1)
	s_mov_b32 s11, exec_lo
	v_cmpx_gt_u32_e64 s7, v101
	s_cbranch_execnz .LBB701_659
.LBB701_610:                            ;   in Loop: Header=BB701_602 Depth=2
	s_or_b32 exec_lo, exec_lo, s11
	s_delay_alu instid0(SALU_CYCLE_1)
	s_mov_b32 s11, exec_lo
	v_cmpx_gt_u32_e64 s7, v102
	s_cbranch_execnz .LBB701_660
.LBB701_611:                            ;   in Loop: Header=BB701_602 Depth=2
	s_or_b32 exec_lo, exec_lo, s11
	s_delay_alu instid0(SALU_CYCLE_1)
	s_mov_b32 s11, exec_lo
	v_cmpx_gt_u32_e64 s7, v103
	s_cbranch_execnz .LBB701_661
.LBB701_612:                            ;   in Loop: Header=BB701_602 Depth=2
	s_or_b32 exec_lo, exec_lo, s11
	s_delay_alu instid0(SALU_CYCLE_1)
	s_mov_b32 s11, exec_lo
	v_cmpx_gt_u32_e64 s7, v104
	s_cbranch_execnz .LBB701_662
.LBB701_613:                            ;   in Loop: Header=BB701_602 Depth=2
	s_or_b32 exec_lo, exec_lo, s11
	s_delay_alu instid0(SALU_CYCLE_1)
	s_mov_b32 s11, exec_lo
	v_cmpx_gt_u32_e64 s7, v105
	s_cbranch_execnz .LBB701_663
.LBB701_614:                            ;   in Loop: Header=BB701_602 Depth=2
	s_or_b32 exec_lo, exec_lo, s11
	s_delay_alu instid0(SALU_CYCLE_1)
	s_mov_b32 s11, exec_lo
	v_cmpx_gt_u32_e64 s7, v106
	s_cbranch_execnz .LBB701_664
.LBB701_615:                            ;   in Loop: Header=BB701_602 Depth=2
	s_or_b32 exec_lo, exec_lo, s11
	s_delay_alu instid0(SALU_CYCLE_1)
	s_mov_b32 s11, exec_lo
	v_cmpx_gt_u32_e64 s7, v107
	s_cbranch_execnz .LBB701_665
.LBB701_616:                            ;   in Loop: Header=BB701_602 Depth=2
	s_or_b32 exec_lo, exec_lo, s11
	s_delay_alu instid0(SALU_CYCLE_1)
	s_mov_b32 s11, exec_lo
	v_cmpx_gt_u32_e64 s7, v108
	s_cbranch_execnz .LBB701_666
.LBB701_617:                            ;   in Loop: Header=BB701_602 Depth=2
	s_or_b32 exec_lo, exec_lo, s11
	s_delay_alu instid0(SALU_CYCLE_1)
	s_mov_b32 s11, exec_lo
	v_cmpx_gt_u32_e64 s7, v109
	s_cbranch_execnz .LBB701_667
.LBB701_618:                            ;   in Loop: Header=BB701_602 Depth=2
	s_or_b32 exec_lo, exec_lo, s11
	s_delay_alu instid0(SALU_CYCLE_1)
	s_mov_b32 s11, exec_lo
	v_cmpx_gt_u32_e64 s7, v110
	s_cbranch_execnz .LBB701_668
.LBB701_619:                            ;   in Loop: Header=BB701_602 Depth=2
	s_or_b32 exec_lo, exec_lo, s11
	s_delay_alu instid0(SALU_CYCLE_1)
	s_mov_b32 s11, exec_lo
	v_cmpx_gt_u32_e64 s7, v111
	s_cbranch_execnz .LBB701_669
.LBB701_620:                            ;   in Loop: Header=BB701_602 Depth=2
	s_or_b32 exec_lo, exec_lo, s11
	s_delay_alu instid0(SALU_CYCLE_1)
	s_mov_b32 s11, exec_lo
	v_cmpx_gt_u32_e64 s7, v112
	s_cbranch_execz .LBB701_622
.LBB701_621:                            ;   in Loop: Header=BB701_602 Depth=2
	global_load_b64 v[22:23], v2, s[8:9] offset:30720 scale_offset
.LBB701_622:                            ;   in Loop: Header=BB701_602 Depth=2
	s_wait_xcnt 0x0
	s_or_b32 exec_lo, exec_lo, s11
	s_wait_loadcnt 0x0
	v_mov_b64_e32 v[54:55], v[52:53]
	v_mov_b64_e32 v[56:57], v[50:51]
	;; [unrolled: 1-line block ×16, first 2 shown]
	s_mov_b32 s8, s7
.LBB701_623:                            ;   in Loop: Header=BB701_602 Depth=2
	s_wait_loadcnt 0x0
	s_delay_alu instid0(VALU_DEP_1) | instskip(NEXT) | instid1(VALU_DEP_3)
	v_mov_b64_e32 v[22:23], v[84:85]
	v_mov_b64_e32 v[24:25], v[82:83]
	;; [unrolled: 1-line block ×16, first 2 shown]
	s_mov_b32 s9, exec_lo
	s_wait_xcnt 0x0
	v_cmpx_gt_u32_e64 s8, v2
	s_cbranch_execnz .LBB701_639
; %bb.624:                              ;   in Loop: Header=BB701_602 Depth=2
	s_or_b32 exec_lo, exec_lo, s9
	s_delay_alu instid0(SALU_CYCLE_1)
	s_mov_b32 s9, exec_lo
	v_cmpx_gt_u32_e64 s8, v98
	s_cbranch_execnz .LBB701_640
.LBB701_625:                            ;   in Loop: Header=BB701_602 Depth=2
	s_or_b32 exec_lo, exec_lo, s9
	s_delay_alu instid0(SALU_CYCLE_1)
	s_mov_b32 s9, exec_lo
	v_cmpx_gt_u32_e64 s8, v99
	s_cbranch_execnz .LBB701_641
.LBB701_626:                            ;   in Loop: Header=BB701_602 Depth=2
	s_or_b32 exec_lo, exec_lo, s9
	s_delay_alu instid0(SALU_CYCLE_1)
	s_mov_b32 s9, exec_lo
	v_cmpx_gt_u32_e64 s8, v100
	s_cbranch_execnz .LBB701_642
.LBB701_627:                            ;   in Loop: Header=BB701_602 Depth=2
	s_or_b32 exec_lo, exec_lo, s9
	s_delay_alu instid0(SALU_CYCLE_1)
	s_mov_b32 s9, exec_lo
	v_cmpx_gt_u32_e64 s8, v101
	s_cbranch_execnz .LBB701_643
.LBB701_628:                            ;   in Loop: Header=BB701_602 Depth=2
	s_or_b32 exec_lo, exec_lo, s9
	s_delay_alu instid0(SALU_CYCLE_1)
	s_mov_b32 s9, exec_lo
	v_cmpx_gt_u32_e64 s8, v102
	s_cbranch_execnz .LBB701_644
.LBB701_629:                            ;   in Loop: Header=BB701_602 Depth=2
	s_or_b32 exec_lo, exec_lo, s9
	s_delay_alu instid0(SALU_CYCLE_1)
	s_mov_b32 s9, exec_lo
	v_cmpx_gt_u32_e64 s8, v103
	s_cbranch_execnz .LBB701_645
.LBB701_630:                            ;   in Loop: Header=BB701_602 Depth=2
	s_or_b32 exec_lo, exec_lo, s9
	s_delay_alu instid0(SALU_CYCLE_1)
	s_mov_b32 s9, exec_lo
	v_cmpx_gt_u32_e64 s8, v104
	s_cbranch_execnz .LBB701_646
.LBB701_631:                            ;   in Loop: Header=BB701_602 Depth=2
	s_or_b32 exec_lo, exec_lo, s9
	s_delay_alu instid0(SALU_CYCLE_1)
	s_mov_b32 s9, exec_lo
	v_cmpx_gt_u32_e64 s8, v105
	s_cbranch_execnz .LBB701_647
.LBB701_632:                            ;   in Loop: Header=BB701_602 Depth=2
	s_or_b32 exec_lo, exec_lo, s9
	s_delay_alu instid0(SALU_CYCLE_1)
	s_mov_b32 s9, exec_lo
	v_cmpx_gt_u32_e64 s8, v106
	s_cbranch_execnz .LBB701_648
.LBB701_633:                            ;   in Loop: Header=BB701_602 Depth=2
	s_or_b32 exec_lo, exec_lo, s9
	s_delay_alu instid0(SALU_CYCLE_1)
	s_mov_b32 s9, exec_lo
	v_cmpx_gt_u32_e64 s8, v107
	s_cbranch_execnz .LBB701_649
.LBB701_634:                            ;   in Loop: Header=BB701_602 Depth=2
	s_or_b32 exec_lo, exec_lo, s9
	s_delay_alu instid0(SALU_CYCLE_1)
	s_mov_b32 s9, exec_lo
	v_cmpx_gt_u32_e64 s8, v108
	s_cbranch_execnz .LBB701_650
.LBB701_635:                            ;   in Loop: Header=BB701_602 Depth=2
	s_or_b32 exec_lo, exec_lo, s9
	s_delay_alu instid0(SALU_CYCLE_1)
	s_mov_b32 s9, exec_lo
	v_cmpx_gt_u32_e64 s8, v109
	s_cbranch_execnz .LBB701_651
.LBB701_636:                            ;   in Loop: Header=BB701_602 Depth=2
	s_or_b32 exec_lo, exec_lo, s9
	s_delay_alu instid0(SALU_CYCLE_1)
	s_mov_b32 s9, exec_lo
	v_cmpx_gt_u32_e64 s8, v110
	s_cbranch_execnz .LBB701_652
.LBB701_637:                            ;   in Loop: Header=BB701_602 Depth=2
	s_or_b32 exec_lo, exec_lo, s9
	s_delay_alu instid0(SALU_CYCLE_1)
	s_mov_b32 s9, exec_lo
	v_cmpx_gt_u32_e64 s8, v111
	s_cbranch_execnz .LBB701_653
.LBB701_638:                            ;   in Loop: Header=BB701_602 Depth=2
	s_or_b32 exec_lo, exec_lo, s9
	v_cmp_gt_u32_e32 vcc_lo, s8, v112
	s_and_saveexec_b32 s8, vcc_lo
	s_cbranch_execz .LBB701_601
	s_branch .LBB701_654
.LBB701_639:                            ;   in Loop: Header=BB701_602 Depth=2
	s_delay_alu instid0(VALU_DEP_2) | instskip(NEXT) | instid1(VALU_DEP_3)
	v_xor_b32_e32 v55, 0x7fffffff, v53
	v_not_b32_e32 v54, v52
	s_delay_alu instid0(VALU_DEP_1) | instskip(NEXT) | instid1(VALU_DEP_1)
	v_lshrrev_b64 v[54:55], s43, v[54:55]
	v_and_b32_e32 v54, s55, v54
	s_delay_alu instid0(VALU_DEP_1) | instskip(SKIP_2) | instid1(SALU_CYCLE_1)
	v_lshl_or_b32 v54, v54, 4, v113
	ds_add_u32 v54, v125
	s_or_b32 exec_lo, exec_lo, s9
	s_mov_b32 s9, exec_lo
	v_cmpx_gt_u32_e64 s8, v98
	s_cbranch_execz .LBB701_625
.LBB701_640:                            ;   in Loop: Header=BB701_602 Depth=2
	v_xor_b32_e32 v55, 0x7fffffff, v51
	v_not_b32_e32 v54, v50
	s_delay_alu instid0(VALU_DEP_1) | instskip(NEXT) | instid1(VALU_DEP_1)
	v_lshrrev_b64 v[54:55], s43, v[54:55]
	v_and_b32_e32 v54, s55, v54
	s_delay_alu instid0(VALU_DEP_1) | instskip(SKIP_2) | instid1(SALU_CYCLE_1)
	v_lshl_or_b32 v54, v54, 4, v113
	ds_add_u32 v54, v125
	s_or_b32 exec_lo, exec_lo, s9
	s_mov_b32 s9, exec_lo
	v_cmpx_gt_u32_e64 s8, v99
	s_cbranch_execz .LBB701_626
.LBB701_641:                            ;   in Loop: Header=BB701_602 Depth=2
	v_xor_b32_e32 v55, 0x7fffffff, v49
	v_not_b32_e32 v54, v48
	s_delay_alu instid0(VALU_DEP_1) | instskip(NEXT) | instid1(VALU_DEP_1)
	v_lshrrev_b64 v[54:55], s43, v[54:55]
	v_and_b32_e32 v54, s55, v54
	s_delay_alu instid0(VALU_DEP_1) | instskip(SKIP_2) | instid1(SALU_CYCLE_1)
	v_lshl_or_b32 v54, v54, 4, v113
	ds_add_u32 v54, v125
	s_or_b32 exec_lo, exec_lo, s9
	s_mov_b32 s9, exec_lo
	v_cmpx_gt_u32_e64 s8, v100
	s_cbranch_execz .LBB701_627
.LBB701_642:                            ;   in Loop: Header=BB701_602 Depth=2
	v_xor_b32_e32 v55, 0x7fffffff, v47
	v_not_b32_e32 v54, v46
	s_delay_alu instid0(VALU_DEP_1) | instskip(NEXT) | instid1(VALU_DEP_1)
	v_lshrrev_b64 v[54:55], s43, v[54:55]
	v_and_b32_e32 v54, s55, v54
	s_delay_alu instid0(VALU_DEP_1) | instskip(SKIP_2) | instid1(SALU_CYCLE_1)
	v_lshl_or_b32 v54, v54, 4, v113
	ds_add_u32 v54, v125
	s_or_b32 exec_lo, exec_lo, s9
	s_mov_b32 s9, exec_lo
	v_cmpx_gt_u32_e64 s8, v101
	s_cbranch_execz .LBB701_628
.LBB701_643:                            ;   in Loop: Header=BB701_602 Depth=2
	v_xor_b32_e32 v55, 0x7fffffff, v45
	v_not_b32_e32 v54, v44
	s_delay_alu instid0(VALU_DEP_1) | instskip(NEXT) | instid1(VALU_DEP_1)
	v_lshrrev_b64 v[54:55], s43, v[54:55]
	v_and_b32_e32 v54, s55, v54
	s_delay_alu instid0(VALU_DEP_1) | instskip(SKIP_2) | instid1(SALU_CYCLE_1)
	v_lshl_or_b32 v54, v54, 4, v113
	ds_add_u32 v54, v125
	s_or_b32 exec_lo, exec_lo, s9
	s_mov_b32 s9, exec_lo
	v_cmpx_gt_u32_e64 s8, v102
	s_cbranch_execz .LBB701_629
.LBB701_644:                            ;   in Loop: Header=BB701_602 Depth=2
	v_xor_b32_e32 v55, 0x7fffffff, v43
	v_not_b32_e32 v54, v42
	s_delay_alu instid0(VALU_DEP_1) | instskip(NEXT) | instid1(VALU_DEP_1)
	v_lshrrev_b64 v[54:55], s43, v[54:55]
	v_and_b32_e32 v54, s55, v54
	s_delay_alu instid0(VALU_DEP_1) | instskip(SKIP_2) | instid1(SALU_CYCLE_1)
	v_lshl_or_b32 v54, v54, 4, v113
	ds_add_u32 v54, v125
	s_or_b32 exec_lo, exec_lo, s9
	s_mov_b32 s9, exec_lo
	v_cmpx_gt_u32_e64 s8, v103
	s_cbranch_execz .LBB701_630
.LBB701_645:                            ;   in Loop: Header=BB701_602 Depth=2
	v_xor_b32_e32 v55, 0x7fffffff, v41
	v_not_b32_e32 v54, v40
	s_delay_alu instid0(VALU_DEP_1) | instskip(NEXT) | instid1(VALU_DEP_1)
	v_lshrrev_b64 v[54:55], s43, v[54:55]
	v_and_b32_e32 v54, s55, v54
	s_delay_alu instid0(VALU_DEP_1) | instskip(SKIP_2) | instid1(SALU_CYCLE_1)
	v_lshl_or_b32 v54, v54, 4, v113
	ds_add_u32 v54, v125
	s_or_b32 exec_lo, exec_lo, s9
	s_mov_b32 s9, exec_lo
	v_cmpx_gt_u32_e64 s8, v104
	s_cbranch_execz .LBB701_631
.LBB701_646:                            ;   in Loop: Header=BB701_602 Depth=2
	v_xor_b32_e32 v55, 0x7fffffff, v39
	v_not_b32_e32 v54, v38
	s_delay_alu instid0(VALU_DEP_1) | instskip(NEXT) | instid1(VALU_DEP_1)
	v_lshrrev_b64 v[54:55], s43, v[54:55]
	v_and_b32_e32 v54, s55, v54
	s_delay_alu instid0(VALU_DEP_1) | instskip(SKIP_2) | instid1(SALU_CYCLE_1)
	v_lshl_or_b32 v54, v54, 4, v113
	ds_add_u32 v54, v125
	s_or_b32 exec_lo, exec_lo, s9
	s_mov_b32 s9, exec_lo
	v_cmpx_gt_u32_e64 s8, v105
	s_cbranch_execz .LBB701_632
.LBB701_647:                            ;   in Loop: Header=BB701_602 Depth=2
	v_xor_b32_e32 v55, 0x7fffffff, v37
	v_not_b32_e32 v54, v36
	s_delay_alu instid0(VALU_DEP_1) | instskip(NEXT) | instid1(VALU_DEP_1)
	v_lshrrev_b64 v[54:55], s43, v[54:55]
	v_and_b32_e32 v54, s55, v54
	s_delay_alu instid0(VALU_DEP_1) | instskip(SKIP_2) | instid1(SALU_CYCLE_1)
	v_lshl_or_b32 v54, v54, 4, v113
	ds_add_u32 v54, v125
	s_or_b32 exec_lo, exec_lo, s9
	s_mov_b32 s9, exec_lo
	v_cmpx_gt_u32_e64 s8, v106
	s_cbranch_execz .LBB701_633
.LBB701_648:                            ;   in Loop: Header=BB701_602 Depth=2
	v_xor_b32_e32 v55, 0x7fffffff, v35
	v_not_b32_e32 v54, v34
	s_delay_alu instid0(VALU_DEP_1) | instskip(NEXT) | instid1(VALU_DEP_1)
	v_lshrrev_b64 v[54:55], s43, v[54:55]
	v_and_b32_e32 v54, s55, v54
	s_delay_alu instid0(VALU_DEP_1) | instskip(SKIP_2) | instid1(SALU_CYCLE_1)
	v_lshl_or_b32 v54, v54, 4, v113
	ds_add_u32 v54, v125
	s_or_b32 exec_lo, exec_lo, s9
	s_mov_b32 s9, exec_lo
	v_cmpx_gt_u32_e64 s8, v107
	s_cbranch_execz .LBB701_634
.LBB701_649:                            ;   in Loop: Header=BB701_602 Depth=2
	v_xor_b32_e32 v55, 0x7fffffff, v33
	v_not_b32_e32 v54, v32
	s_delay_alu instid0(VALU_DEP_1) | instskip(NEXT) | instid1(VALU_DEP_1)
	v_lshrrev_b64 v[54:55], s43, v[54:55]
	v_and_b32_e32 v54, s55, v54
	s_delay_alu instid0(VALU_DEP_1) | instskip(SKIP_2) | instid1(SALU_CYCLE_1)
	v_lshl_or_b32 v54, v54, 4, v113
	ds_add_u32 v54, v125
	s_or_b32 exec_lo, exec_lo, s9
	s_mov_b32 s9, exec_lo
	v_cmpx_gt_u32_e64 s8, v108
	s_cbranch_execz .LBB701_635
.LBB701_650:                            ;   in Loop: Header=BB701_602 Depth=2
	v_xor_b32_e32 v55, 0x7fffffff, v31
	v_not_b32_e32 v54, v30
	s_delay_alu instid0(VALU_DEP_1) | instskip(NEXT) | instid1(VALU_DEP_1)
	v_lshrrev_b64 v[54:55], s43, v[54:55]
	v_and_b32_e32 v54, s55, v54
	s_delay_alu instid0(VALU_DEP_1) | instskip(SKIP_2) | instid1(SALU_CYCLE_1)
	v_lshl_or_b32 v54, v54, 4, v113
	ds_add_u32 v54, v125
	s_or_b32 exec_lo, exec_lo, s9
	s_mov_b32 s9, exec_lo
	v_cmpx_gt_u32_e64 s8, v109
	s_cbranch_execz .LBB701_636
.LBB701_651:                            ;   in Loop: Header=BB701_602 Depth=2
	v_xor_b32_e32 v55, 0x7fffffff, v29
	v_not_b32_e32 v54, v28
	s_delay_alu instid0(VALU_DEP_1) | instskip(NEXT) | instid1(VALU_DEP_1)
	v_lshrrev_b64 v[54:55], s43, v[54:55]
	v_and_b32_e32 v54, s55, v54
	s_delay_alu instid0(VALU_DEP_1) | instskip(SKIP_2) | instid1(SALU_CYCLE_1)
	v_lshl_or_b32 v54, v54, 4, v113
	ds_add_u32 v54, v125
	s_or_b32 exec_lo, exec_lo, s9
	s_mov_b32 s9, exec_lo
	v_cmpx_gt_u32_e64 s8, v110
	s_cbranch_execz .LBB701_637
.LBB701_652:                            ;   in Loop: Header=BB701_602 Depth=2
	v_xor_b32_e32 v55, 0x7fffffff, v27
	v_not_b32_e32 v54, v26
	s_delay_alu instid0(VALU_DEP_1) | instskip(NEXT) | instid1(VALU_DEP_1)
	v_lshrrev_b64 v[54:55], s43, v[54:55]
	v_and_b32_e32 v54, s55, v54
	s_delay_alu instid0(VALU_DEP_1) | instskip(SKIP_2) | instid1(SALU_CYCLE_1)
	v_lshl_or_b32 v54, v54, 4, v113
	ds_add_u32 v54, v125
	s_or_b32 exec_lo, exec_lo, s9
	s_mov_b32 s9, exec_lo
	v_cmpx_gt_u32_e64 s8, v111
	s_cbranch_execz .LBB701_638
.LBB701_653:                            ;   in Loop: Header=BB701_602 Depth=2
	v_xor_b32_e32 v55, 0x7fffffff, v25
	v_not_b32_e32 v54, v24
	s_delay_alu instid0(VALU_DEP_1) | instskip(NEXT) | instid1(VALU_DEP_1)
	v_lshrrev_b64 v[54:55], s43, v[54:55]
	v_and_b32_e32 v54, s55, v54
	s_delay_alu instid0(VALU_DEP_1)
	v_lshl_or_b32 v54, v54, 4, v113
	ds_add_u32 v54, v125
	s_or_b32 exec_lo, exec_lo, s9
	v_cmp_gt_u32_e32 vcc_lo, s8, v112
	s_and_saveexec_b32 s8, vcc_lo
	s_cbranch_execz .LBB701_601
.LBB701_654:                            ;   in Loop: Header=BB701_602 Depth=2
	v_xor_b32_e32 v55, 0x7fffffff, v23
	v_not_b32_e32 v54, v22
	s_delay_alu instid0(VALU_DEP_1) | instskip(NEXT) | instid1(VALU_DEP_1)
	v_lshrrev_b64 v[54:55], s43, v[54:55]
	v_and_b32_e32 v54, s55, v54
	s_delay_alu instid0(VALU_DEP_1)
	v_lshl_or_b32 v54, v54, 4, v113
	ds_add_u32 v54, v125
	s_branch .LBB701_601
.LBB701_655:                            ;   in Loop: Header=BB701_602 Depth=2
	global_load_b64 v[52:53], v2, s[8:9] scale_offset
	s_wait_xcnt 0x0
	s_or_b32 exec_lo, exec_lo, s11
	s_delay_alu instid0(SALU_CYCLE_1)
	s_mov_b32 s11, exec_lo
	v_cmpx_gt_u32_e64 s7, v98
	s_cbranch_execz .LBB701_607
.LBB701_656:                            ;   in Loop: Header=BB701_602 Depth=2
	global_load_b64 v[50:51], v2, s[8:9] offset:2048 scale_offset
	s_wait_xcnt 0x0
	s_or_b32 exec_lo, exec_lo, s11
	s_delay_alu instid0(SALU_CYCLE_1)
	s_mov_b32 s11, exec_lo
	v_cmpx_gt_u32_e64 s7, v99
	s_cbranch_execz .LBB701_608
.LBB701_657:                            ;   in Loop: Header=BB701_602 Depth=2
	global_load_b64 v[48:49], v2, s[8:9] offset:4096 scale_offset
	s_wait_xcnt 0x0
	s_or_b32 exec_lo, exec_lo, s11
	s_delay_alu instid0(SALU_CYCLE_1)
	s_mov_b32 s11, exec_lo
	v_cmpx_gt_u32_e64 s7, v100
	s_cbranch_execz .LBB701_609
.LBB701_658:                            ;   in Loop: Header=BB701_602 Depth=2
	global_load_b64 v[46:47], v2, s[8:9] offset:6144 scale_offset
	s_wait_xcnt 0x0
	s_or_b32 exec_lo, exec_lo, s11
	s_delay_alu instid0(SALU_CYCLE_1)
	s_mov_b32 s11, exec_lo
	v_cmpx_gt_u32_e64 s7, v101
	s_cbranch_execz .LBB701_610
.LBB701_659:                            ;   in Loop: Header=BB701_602 Depth=2
	global_load_b64 v[44:45], v2, s[8:9] offset:8192 scale_offset
	s_wait_xcnt 0x0
	s_or_b32 exec_lo, exec_lo, s11
	s_delay_alu instid0(SALU_CYCLE_1)
	s_mov_b32 s11, exec_lo
	v_cmpx_gt_u32_e64 s7, v102
	s_cbranch_execz .LBB701_611
.LBB701_660:                            ;   in Loop: Header=BB701_602 Depth=2
	global_load_b64 v[42:43], v2, s[8:9] offset:10240 scale_offset
	s_wait_xcnt 0x0
	s_or_b32 exec_lo, exec_lo, s11
	s_delay_alu instid0(SALU_CYCLE_1)
	s_mov_b32 s11, exec_lo
	v_cmpx_gt_u32_e64 s7, v103
	s_cbranch_execz .LBB701_612
.LBB701_661:                            ;   in Loop: Header=BB701_602 Depth=2
	global_load_b64 v[40:41], v2, s[8:9] offset:12288 scale_offset
	s_wait_xcnt 0x0
	s_or_b32 exec_lo, exec_lo, s11
	s_delay_alu instid0(SALU_CYCLE_1)
	s_mov_b32 s11, exec_lo
	v_cmpx_gt_u32_e64 s7, v104
	s_cbranch_execz .LBB701_613
.LBB701_662:                            ;   in Loop: Header=BB701_602 Depth=2
	global_load_b64 v[38:39], v2, s[8:9] offset:14336 scale_offset
	s_wait_xcnt 0x0
	s_or_b32 exec_lo, exec_lo, s11
	s_delay_alu instid0(SALU_CYCLE_1)
	s_mov_b32 s11, exec_lo
	v_cmpx_gt_u32_e64 s7, v105
	s_cbranch_execz .LBB701_614
.LBB701_663:                            ;   in Loop: Header=BB701_602 Depth=2
	global_load_b64 v[36:37], v2, s[8:9] offset:16384 scale_offset
	s_wait_xcnt 0x0
	s_or_b32 exec_lo, exec_lo, s11
	s_delay_alu instid0(SALU_CYCLE_1)
	s_mov_b32 s11, exec_lo
	v_cmpx_gt_u32_e64 s7, v106
	s_cbranch_execz .LBB701_615
.LBB701_664:                            ;   in Loop: Header=BB701_602 Depth=2
	global_load_b64 v[34:35], v2, s[8:9] offset:18432 scale_offset
	s_wait_xcnt 0x0
	s_or_b32 exec_lo, exec_lo, s11
	s_delay_alu instid0(SALU_CYCLE_1)
	s_mov_b32 s11, exec_lo
	v_cmpx_gt_u32_e64 s7, v107
	s_cbranch_execz .LBB701_616
.LBB701_665:                            ;   in Loop: Header=BB701_602 Depth=2
	global_load_b64 v[32:33], v2, s[8:9] offset:20480 scale_offset
	s_wait_xcnt 0x0
	s_or_b32 exec_lo, exec_lo, s11
	s_delay_alu instid0(SALU_CYCLE_1)
	s_mov_b32 s11, exec_lo
	v_cmpx_gt_u32_e64 s7, v108
	s_cbranch_execz .LBB701_617
.LBB701_666:                            ;   in Loop: Header=BB701_602 Depth=2
	global_load_b64 v[30:31], v2, s[8:9] offset:22528 scale_offset
	s_wait_xcnt 0x0
	s_or_b32 exec_lo, exec_lo, s11
	s_delay_alu instid0(SALU_CYCLE_1)
	s_mov_b32 s11, exec_lo
	v_cmpx_gt_u32_e64 s7, v109
	s_cbranch_execz .LBB701_618
.LBB701_667:                            ;   in Loop: Header=BB701_602 Depth=2
	global_load_b64 v[28:29], v2, s[8:9] offset:24576 scale_offset
	s_wait_xcnt 0x0
	s_or_b32 exec_lo, exec_lo, s11
	s_delay_alu instid0(SALU_CYCLE_1)
	s_mov_b32 s11, exec_lo
	v_cmpx_gt_u32_e64 s7, v110
	s_cbranch_execz .LBB701_619
.LBB701_668:                            ;   in Loop: Header=BB701_602 Depth=2
	global_load_b64 v[26:27], v2, s[8:9] offset:26624 scale_offset
	s_wait_xcnt 0x0
	s_or_b32 exec_lo, exec_lo, s11
	s_delay_alu instid0(SALU_CYCLE_1)
	s_mov_b32 s11, exec_lo
	v_cmpx_gt_u32_e64 s7, v111
	s_cbranch_execz .LBB701_620
.LBB701_669:                            ;   in Loop: Header=BB701_602 Depth=2
	global_load_b64 v[24:25], v2, s[8:9] offset:28672 scale_offset
	s_wait_xcnt 0x0
	s_or_b32 exec_lo, exec_lo, s11
	s_delay_alu instid0(SALU_CYCLE_1)
	s_mov_b32 s11, exec_lo
	v_cmpx_gt_u32_e64 s7, v112
	s_cbranch_execnz .LBB701_621
	s_branch .LBB701_622
.LBB701_670:                            ;   in Loop: Header=BB701_12 Depth=1
	v_mov_b32_e32 v22, 0
	s_wait_dscnt 0x0
	s_barrier_signal -1
	s_barrier_wait -1
	s_and_saveexec_b32 s7, s0
	s_cbranch_execz .LBB701_672
; %bb.671:                              ;   in Loop: Header=BB701_12 Depth=1
	ds_load_2addr_b64 v[22:25], v115 offset1:1
	s_wait_dscnt 0x0
	v_add_nc_u32_e32 v22, v23, v22
	s_delay_alu instid0(VALU_DEP_1)
	v_add3_u32 v22, v22, v24, v25
.LBB701_672:                            ;   in Loop: Header=BB701_12 Depth=1
	s_or_b32 exec_lo, exec_lo, s7
	s_delay_alu instid0(VALU_DEP_1)
	v_mov_b32_dpp v23, v22 row_shr:1 row_mask:0xf bank_mask:0xf
	v_cmp_eq_u32_e64 s7, 0, v126
	v_cmp_lt_u32_e64 s8, 1, v126
	v_cmp_lt_u32_e64 s9, 3, v126
	;; [unrolled: 1-line block ×3, first 2 shown]
	v_cmp_eq_u32_e64 s11, 0, v128
	v_cndmask_b32_e64 v23, v23, 0, s7
	s_delay_alu instid0(VALU_DEP_1) | instskip(NEXT) | instid1(VALU_DEP_1)
	v_add_nc_u32_e32 v22, v23, v22
	v_mov_b32_dpp v23, v22 row_shr:2 row_mask:0xf bank_mask:0xf
	s_delay_alu instid0(VALU_DEP_1) | instskip(NEXT) | instid1(VALU_DEP_1)
	v_cndmask_b32_e64 v23, 0, v23, s8
	v_add_nc_u32_e32 v22, v22, v23
	s_delay_alu instid0(VALU_DEP_1) | instskip(NEXT) | instid1(VALU_DEP_1)
	v_mov_b32_dpp v23, v22 row_shr:4 row_mask:0xf bank_mask:0xf
	v_cndmask_b32_e64 v23, 0, v23, s9
	s_delay_alu instid0(VALU_DEP_1) | instskip(NEXT) | instid1(VALU_DEP_1)
	v_add_nc_u32_e32 v22, v22, v23
	v_mov_b32_dpp v23, v22 row_shr:8 row_mask:0xf bank_mask:0xf
	s_delay_alu instid0(VALU_DEP_1) | instskip(NEXT) | instid1(VALU_DEP_1)
	v_cndmask_b32_e64 v23, 0, v23, s10
	v_add_nc_u32_e32 v22, v22, v23
	ds_swizzle_b32 v23, v22 offset:swizzle(BROADCAST,32,15)
	s_wait_dscnt 0x0
	v_and_b32_e32 v23, v127, v23
	s_delay_alu instid0(VALU_DEP_1)
	v_add_nc_u32_e32 v22, v22, v23
	s_and_saveexec_b32 s12, s1
; %bb.673:                              ;   in Loop: Header=BB701_12 Depth=1
	ds_store_b32 v116, v22
; %bb.674:                              ;   in Loop: Header=BB701_12 Depth=1
	s_or_b32 exec_lo, exec_lo, s12
	s_wait_dscnt 0x0
	s_barrier_signal -1
	s_barrier_wait -1
	s_and_saveexec_b32 s12, s4
	s_cbranch_execz .LBB701_676
; %bb.675:                              ;   in Loop: Header=BB701_12 Depth=1
	ds_load_b32 v23, v117
	v_cmp_ne_u32_e32 vcc_lo, 0, v130
	s_wait_dscnt 0x0
	v_mov_b32_dpp v24, v23 row_shr:1 row_mask:0xf bank_mask:0xf
	s_delay_alu instid0(VALU_DEP_1) | instskip(SKIP_1) | instid1(VALU_DEP_2)
	v_cndmask_b32_e32 v24, 0, v24, vcc_lo
	v_cmp_lt_u32_e32 vcc_lo, 1, v130
	v_add_nc_u32_e32 v23, v24, v23
	s_delay_alu instid0(VALU_DEP_1) | instskip(NEXT) | instid1(VALU_DEP_1)
	v_mov_b32_dpp v24, v23 row_shr:2 row_mask:0xf bank_mask:0xf
	v_cndmask_b32_e32 v24, 0, v24, vcc_lo
	v_cmp_lt_u32_e32 vcc_lo, 3, v130
	s_delay_alu instid0(VALU_DEP_2) | instskip(NEXT) | instid1(VALU_DEP_1)
	v_add_nc_u32_e32 v23, v23, v24
	v_mov_b32_dpp v24, v23 row_shr:4 row_mask:0xf bank_mask:0xf
	s_delay_alu instid0(VALU_DEP_1) | instskip(NEXT) | instid1(VALU_DEP_1)
	v_cndmask_b32_e32 v24, 0, v24, vcc_lo
	v_add_nc_u32_e32 v23, v23, v24
	ds_store_b32 v117, v23
.LBB701_676:                            ;   in Loop: Header=BB701_12 Depth=1
	s_or_b32 exec_lo, exec_lo, s12
	v_mov_b32_e32 v23, 0
	s_wait_dscnt 0x0
	s_barrier_signal -1
	s_barrier_wait -1
	s_and_saveexec_b32 s12, s5
; %bb.677:                              ;   in Loop: Header=BB701_12 Depth=1
	ds_load_b32 v23, v118
; %bb.678:                              ;   in Loop: Header=BB701_12 Depth=1
	s_or_b32 exec_lo, exec_lo, s12
	v_cmp_gt_i32_e32 vcc_lo, 0, v131
	s_wait_dscnt 0x0
	s_barrier_signal -1
	s_barrier_wait -1
	v_cndmask_b32_e32 v24, v131, v124, vcc_lo
	s_delay_alu instid0(VALU_DEP_1)
	v_dual_add_nc_u32 v22, v23, v22 :: v_dual_lshlrev_b32 v147, 2, v24
	ds_bpermute_b32 v22, v147, v22
	s_and_saveexec_b32 s12, s0
	s_cbranch_execz .LBB701_680
; %bb.679:                              ;   in Loop: Header=BB701_12 Depth=1
	s_wait_dscnt 0x0
	v_cndmask_b32_e64 v22, v22, v23, s6
	s_delay_alu instid0(VALU_DEP_1)
	v_add_nc_u32_e32 v22, s52, v22
	ds_store_b32 v3, v22
.LBB701_680:                            ;   in Loop: Header=BB701_12 Depth=1
	s_or_b32 exec_lo, exec_lo, s12
	s_load_b64 s[12:13], s[34:35], 0x0
	v_add_nc_u64_e32 v[24:25], v[20:21], v[4:5]
	s_mov_b32 s56, s54
                                        ; implicit-def: $vgpr28_vgpr29
                                        ; implicit-def: $vgpr30_vgpr31
                                        ; implicit-def: $vgpr32_vgpr33
                                        ; implicit-def: $vgpr34_vgpr35
                                        ; implicit-def: $vgpr36_vgpr37
                                        ; implicit-def: $vgpr38_vgpr39
                                        ; implicit-def: $vgpr40_vgpr41
                                        ; implicit-def: $vgpr42_vgpr43
                                        ; implicit-def: $vgpr44_vgpr45
                                        ; implicit-def: $vgpr46_vgpr47
                                        ; implicit-def: $vgpr48_vgpr49
                                        ; implicit-def: $vgpr50_vgpr51
                                        ; implicit-def: $vgpr52_vgpr53
                                        ; implicit-def: $vgpr54_vgpr55
                                        ; implicit-def: $vgpr56_vgpr57
                                        ; implicit-def: $vgpr149
                                        ; implicit-def: $vgpr150
                                        ; implicit-def: $vgpr151
                                        ; implicit-def: $vgpr152
                                        ; implicit-def: $vgpr153
                                        ; implicit-def: $vgpr154
                                        ; implicit-def: $vgpr155
                                        ; implicit-def: $vgpr156
                                        ; implicit-def: $vgpr157
                                        ; implicit-def: $vgpr158
                                        ; implicit-def: $vgpr159
                                        ; implicit-def: $vgpr160
                                        ; implicit-def: $vgpr161
                                        ; implicit-def: $vgpr162
                                        ; implicit-def: $vgpr163
                                        ; implicit-def: $vgpr164
	s_wait_kmcnt 0x0
	s_cmp_lt_u32 s33, s12
	s_cselect_b32 s30, 12, 18
	s_cmp_lt_u32 s42, s13
	s_mov_b32 s13, s31
	s_cselect_b32 s12, 14, 20
	s_delay_alu instid0(SALU_CYCLE_1)
	s_add_nc_u64 s[12:13], s[34:35], s[12:13]
	s_load_u16 s14, s[12:13], 0x0
	s_wait_xcnt 0x0
	s_add_nc_u64 s[12:13], s[34:35], s[30:31]
	s_mov_b32 s30, s52
	s_load_u16 s12, s[12:13], 0x0
	s_wait_xcnt 0x0
	v_cmp_lt_u32_e64 s13, 1, v130
	s_wait_dscnt 0x0
	s_wait_kmcnt 0x0
	v_mad_u32_u24 v22, v119, s14, v121
	v_cmp_lt_u32_e64 s14, 3, v130
	s_delay_alu instid0(VALU_DEP_2) | instskip(SKIP_1) | instid1(VALU_DEP_2)
	v_mad_u32 v22, v22, s12, v2
	v_cmp_eq_u32_e64 s12, 0, v130
	v_lshrrev_b32_e32 v26, 3, v22
	v_add_nc_u64_e32 v[22:23], v[18:19], v[4:5]
	s_delay_alu instid0(VALU_DEP_2)
	v_and_b32_e32 v148, 0x1ffffffc, v26
                                        ; implicit-def: $vgpr26_vgpr27
	s_branch .LBB701_682
.LBB701_681:                            ;   in Loop: Header=BB701_682 Depth=2
	s_or_b32 exec_lo, exec_lo, s15
	s_addk_co_i32 s56, 0xf000
	s_cmp_lt_u32 s57, s51
	s_mov_b32 s30, s57
	s_cbranch_scc0 .LBB701_890
.LBB701_682:                            ;   Parent Loop BB701_12 Depth=1
                                        ; =>  This Inner Loop Header: Depth=2
	s_add_co_i32 s57, s30, 0x1000
	s_delay_alu instid0(SALU_CYCLE_1)
	s_cmp_gt_u32 s57, s51
	s_cbranch_scc1 .LBB701_684
; %bb.683:                              ;   in Loop: Header=BB701_682 Depth=2
	v_lshl_add_u64 v[58:59], s[30:31], 3, v[24:25]
	s_mov_b32 s15, -1
	s_clause 0xe
	global_load_b64 v[60:61], v[58:59], off
	global_load_b64 v[62:63], v[58:59], off offset:256
	global_load_b64 v[64:65], v[58:59], off offset:512
	;; [unrolled: 1-line block ×14, first 2 shown]
	s_movk_i32 s16, 0x1000
	s_cbranch_execz .LBB701_685
	s_branch .LBB701_716
.LBB701_684:                            ;   in Loop: Header=BB701_682 Depth=2
	s_mov_b32 s15, 0
                                        ; implicit-def: $vgpr60_vgpr61
                                        ; implicit-def: $vgpr62_vgpr63
                                        ; implicit-def: $vgpr64_vgpr65
                                        ; implicit-def: $vgpr70_vgpr71
                                        ; implicit-def: $vgpr74_vgpr75
                                        ; implicit-def: $vgpr78_vgpr79
                                        ; implicit-def: $vgpr82_vgpr83
                                        ; implicit-def: $vgpr86_vgpr87
                                        ; implicit-def: $vgpr88_vgpr89
                                        ; implicit-def: $vgpr84_vgpr85
                                        ; implicit-def: $vgpr80_vgpr81
                                        ; implicit-def: $vgpr76_vgpr77
                                        ; implicit-def: $vgpr72_vgpr73
                                        ; implicit-def: $vgpr68_vgpr69
                                        ; implicit-def: $vgpr66_vgpr67
	s_movk_i32 s16, 0x1000
.LBB701_685:                            ;   in Loop: Header=BB701_682 Depth=2
	s_wait_loadcnt 0xd
	v_mov_b64_e32 v[62:63], 0x8000000000000000
	v_mov_b64_e32 v[60:61], 0x8000000000000000
	s_wait_xcnt 0x0
	v_lshl_add_u64 v[58:59], s[30:31], 3, v[24:25]
	s_mov_b32 s15, exec_lo
	v_cmpx_gt_u32_e64 s56, v129
	s_cbranch_execz .LBB701_687
; %bb.686:                              ;   in Loop: Header=BB701_682 Depth=2
	global_load_b64 v[60:61], v[58:59], off
.LBB701_687:                            ;   in Loop: Header=BB701_682 Depth=2
	s_wait_xcnt 0x0
	s_or_b32 exec_lo, exec_lo, s15
	s_delay_alu instid0(SALU_CYCLE_1)
	s_mov_b32 s15, exec_lo
	v_cmpx_gt_u32_e64 s56, v132
	s_cbranch_execz .LBB701_689
; %bb.688:                              ;   in Loop: Header=BB701_682 Depth=2
	global_load_b64 v[62:63], v[58:59], off offset:256
.LBB701_689:                            ;   in Loop: Header=BB701_682 Depth=2
	s_wait_xcnt 0x0
	s_or_b32 exec_lo, exec_lo, s15
	s_wait_loadcnt 0xb
	v_mov_b64_e32 v[70:71], 0x8000000000000000
	v_mov_b64_e32 v[64:65], 0x8000000000000000
	s_mov_b32 s15, exec_lo
	v_cmpx_gt_u32_e64 s56, v133
	s_cbranch_execz .LBB701_691
; %bb.690:                              ;   in Loop: Header=BB701_682 Depth=2
	global_load_b64 v[64:65], v[58:59], off offset:512
.LBB701_691:                            ;   in Loop: Header=BB701_682 Depth=2
	s_wait_xcnt 0x0
	s_or_b32 exec_lo, exec_lo, s15
	s_delay_alu instid0(SALU_CYCLE_1)
	s_mov_b32 s15, exec_lo
	v_cmpx_gt_u32_e64 s56, v134
	s_cbranch_execz .LBB701_693
; %bb.692:                              ;   in Loop: Header=BB701_682 Depth=2
	global_load_b64 v[70:71], v[58:59], off offset:768
.LBB701_693:                            ;   in Loop: Header=BB701_682 Depth=2
	s_wait_xcnt 0x0
	s_or_b32 exec_lo, exec_lo, s15
	s_wait_loadcnt 0x9
	v_mov_b64_e32 v[78:79], 0x8000000000000000
	v_mov_b64_e32 v[74:75], 0x8000000000000000
	s_mov_b32 s15, exec_lo
	v_cmpx_gt_u32_e64 s56, v135
	s_cbranch_execz .LBB701_695
; %bb.694:                              ;   in Loop: Header=BB701_682 Depth=2
	global_load_b64 v[74:75], v[58:59], off offset:1024
.LBB701_695:                            ;   in Loop: Header=BB701_682 Depth=2
	;; [unrolled: 20-line block ×6, first 2 shown]
	s_wait_xcnt 0x0
	s_or_b32 exec_lo, exec_lo, s15
	s_delay_alu instid0(SALU_CYCLE_1)
	s_mov_b32 s15, exec_lo
	v_cmpx_gt_u32_e64 s56, v144
	s_cbranch_execz .LBB701_713
; %bb.712:                              ;   in Loop: Header=BB701_682 Depth=2
	global_load_b64 v[68:69], v[58:59], off offset:3328
.LBB701_713:                            ;   in Loop: Header=BB701_682 Depth=2
	s_wait_xcnt 0x0
	s_or_b32 exec_lo, exec_lo, s15
	s_wait_loadcnt 0x0
	v_mov_b64_e32 v[66:67], 0x8000000000000000
	s_mov_b32 s15, exec_lo
	v_cmpx_gt_u32_e64 s56, v145
	s_cbranch_execz .LBB701_715
; %bb.714:                              ;   in Loop: Header=BB701_682 Depth=2
	global_load_b64 v[66:67], v[58:59], off offset:3584
.LBB701_715:                            ;   in Loop: Header=BB701_682 Depth=2
	s_wait_xcnt 0x0
	s_or_b32 exec_lo, exec_lo, s15
	v_cmp_gt_u32_e64 s15, s56, v146
	s_sub_co_i32 s16, s51, s30
.LBB701_716:                            ;   in Loop: Header=BB701_682 Depth=2
	s_wait_xcnt 0x0
	v_mov_b64_e32 v[58:59], -1
	v_mov_b32_e32 v165, s56
	s_and_saveexec_b32 s17, s15
	s_cbranch_execz .LBB701_718
; %bb.717:                              ;   in Loop: Header=BB701_682 Depth=2
	v_lshl_add_u64 v[58:59], s[30:31], 3, v[24:25]
	v_mov_b32_e32 v165, s16
	global_load_b64 v[58:59], v[58:59], off offset:3840
	s_wait_loadcnt 0x0
	s_wait_xcnt 0x0
	v_xor_b32_e32 v59, 0x7fffffff, v59
	v_not_b32_e32 v58, v58
.LBB701_718:                            ;   in Loop: Header=BB701_682 Depth=2
	s_or_b32 exec_lo, exec_lo, s17
	s_wait_loadcnt 0xe
	v_xor_b32_e32 v61, 0x7fffffff, v61
	v_not_b32_e32 v60, v60
	v_add_nc_u32_e32 v168, 0x420, v120
	v_add_nc_u32_e32 v169, 0x428, v120
	;; [unrolled: 1-line block ×3, first 2 shown]
	s_delay_alu instid0(VALU_DEP_4) | instskip(NEXT) | instid1(VALU_DEP_1)
	v_lshrrev_b64 v[90:91], s43, v[60:61]
	v_bitop3_b32 v91, v90, 1, s55 bitop3:0x80
	v_and_b32_e32 v92, s55, v90
	s_delay_alu instid0(VALU_DEP_2) | instskip(NEXT) | instid1(VALU_DEP_1)
	v_add_co_u32 v90, s15, v91, -1
	v_cndmask_b32_e64 v91, 0, 1, s15
	s_delay_alu instid0(VALU_DEP_3) | instskip(NEXT) | instid1(VALU_DEP_2)
	v_lshlrev_b32_e32 v93, 30, v92
	v_cmp_ne_u32_e32 vcc_lo, 0, v91
	s_delay_alu instid0(VALU_DEP_2) | instskip(NEXT) | instid1(VALU_DEP_1)
	v_not_b32_e32 v91, v93
	v_dual_ashrrev_i32 v91, 31, v91 :: v_dual_bitop2_b32 v90, vcc_lo, v90 bitop3:0x14
	v_dual_lshlrev_b32 v94, 29, v92 :: v_dual_lshlrev_b32 v95, 28, v92
	v_dual_lshlrev_b32 v96, 27, v92 :: v_dual_lshlrev_b32 v97, 26, v92
	v_lshlrev_b32_e32 v166, 25, v92
	v_cmp_gt_i32_e64 s15, 0, v93
	s_delay_alu instid0(VALU_DEP_4)
	v_cmp_gt_i32_e64 s16, 0, v94
	v_not_b32_e32 v93, v94
	v_not_b32_e32 v94, v95
	v_lshlrev_b32_e32 v167, 24, v92
	v_cmp_gt_i32_e64 s17, 0, v95
	v_cmp_gt_i32_e64 s18, 0, v96
	v_not_b32_e32 v95, v96
	v_cmp_gt_i32_e64 s19, 0, v97
	v_not_b32_e32 v96, v97
	v_not_b32_e32 v97, v166
	v_dual_ashrrev_i32 v93, 31, v93 :: v_dual_ashrrev_i32 v94, 31, v94
	v_xor_b32_e32 v91, s15, v91
	s_delay_alu instid0(VALU_DEP_4) | instskip(NEXT) | instid1(VALU_DEP_3)
	v_dual_ashrrev_i32 v95, 31, v95 :: v_dual_ashrrev_i32 v96, 31, v96
	v_dual_ashrrev_i32 v97, 31, v97 :: v_dual_bitop2_b32 v94, s17, v94 bitop3:0x14
	s_delay_alu instid0(VALU_DEP_3)
	v_bitop3_b32 v90, v90, v91, exec_lo bitop3:0x80
	v_not_b32_e32 v91, v167
	v_xor_b32_e32 v93, s16, v93
	v_xor_b32_e32 v95, s18, v95
	;; [unrolled: 1-line block ×3, first 2 shown]
	v_cmp_gt_i32_e32 vcc_lo, 0, v166
	v_cmp_gt_i32_e64 s15, 0, v167
	v_ashrrev_i32_e32 v91, 31, v91
	v_bitop3_b32 v90, v90, v94, v93 bitop3:0x80
	v_add_nc_u32_e32 v167, 0x438, v120
	v_xor_b32_e32 v93, vcc_lo, v97
	s_delay_alu instid0(VALU_DEP_4) | instskip(NEXT) | instid1(VALU_DEP_4)
	v_xor_b32_e32 v91, s15, v91
	v_bitop3_b32 v90, v90, v96, v95 bitop3:0x80
	ds_store_2addr_b32 v167, v5, v5 offset1:1
	ds_store_2addr_b32 v168, v5, v5 offset1:1
	;; [unrolled: 1-line block ×4, first 2 shown]
	ds_store_b32 v120, v5 offset:1088
	s_wait_loadcnt_dscnt 0x0
	s_barrier_signal -1
	v_bitop3_b32 v90, v90, v91, v93 bitop3:0x80
	v_mul_u32_u24_e32 v91, 36, v92
	s_barrier_wait -1
	s_delay_alu instid0(VALU_DEP_2) | instskip(SKIP_1) | instid1(VALU_DEP_3)
	v_mbcnt_lo_u32_b32 v166, v90, 0
	v_cmp_ne_u32_e64 s15, 0, v90
	v_add_nc_u32_e32 v171, v148, v91
	; wave barrier
	s_delay_alu instid0(VALU_DEP_3) | instskip(SKIP_1) | instid1(SALU_CYCLE_1)
	v_cmp_eq_u32_e32 vcc_lo, 0, v166
	s_and_b32 s16, s15, vcc_lo
	s_and_saveexec_b32 s15, s16
; %bb.719:                              ;   in Loop: Header=BB701_682 Depth=2
	v_bcnt_u32_b32 v90, v90, 0
	ds_store_b32 v171, v90 offset:1056
; %bb.720:                              ;   in Loop: Header=BB701_682 Depth=2
	s_or_b32 exec_lo, exec_lo, s15
	v_xor_b32_e32 v63, 0x7fffffff, v63
	v_not_b32_e32 v62, v62
	; wave barrier
	s_delay_alu instid0(VALU_DEP_1) | instskip(NEXT) | instid1(VALU_DEP_1)
	v_lshrrev_b64 v[90:91], s43, v[62:63]
	v_bitop3_b32 v91, v90, 1, s55 bitop3:0x80
	v_and_b32_e32 v92, s55, v90
	s_delay_alu instid0(VALU_DEP_2) | instskip(NEXT) | instid1(VALU_DEP_1)
	v_add_co_u32 v90, s15, v91, -1
	v_cndmask_b32_e64 v91, 0, 1, s15
	s_delay_alu instid0(VALU_DEP_3) | instskip(NEXT) | instid1(VALU_DEP_2)
	v_lshlrev_b32_e32 v93, 30, v92
	v_cmp_ne_u32_e32 vcc_lo, 0, v91
	s_delay_alu instid0(VALU_DEP_2) | instskip(NEXT) | instid1(VALU_DEP_1)
	v_not_b32_e32 v91, v93
	v_dual_ashrrev_i32 v91, 31, v91 :: v_dual_bitop2_b32 v90, vcc_lo, v90 bitop3:0x14
	v_dual_lshlrev_b32 v94, 29, v92 :: v_dual_lshlrev_b32 v95, 28, v92
	v_dual_lshlrev_b32 v96, 27, v92 :: v_dual_lshlrev_b32 v97, 26, v92
	v_lshlrev_b32_e32 v172, 25, v92
	v_cmp_gt_i32_e64 s15, 0, v93
	s_delay_alu instid0(VALU_DEP_4)
	v_cmp_gt_i32_e64 s16, 0, v94
	v_not_b32_e32 v93, v94
	v_not_b32_e32 v94, v95
	v_lshlrev_b32_e32 v173, 24, v92
	v_cmp_gt_i32_e64 s17, 0, v95
	v_cmp_gt_i32_e64 s18, 0, v96
	v_not_b32_e32 v95, v96
	v_not_b32_e32 v96, v97
	v_dual_ashrrev_i32 v93, 31, v93 :: v_dual_ashrrev_i32 v94, 31, v94
	v_xor_b32_e32 v91, s15, v91
	v_cmp_gt_i32_e64 s19, 0, v97
	v_not_b32_e32 v97, v172
	s_delay_alu instid0(VALU_DEP_4) | instskip(SKIP_1) | instid1(VALU_DEP_3)
	v_dual_ashrrev_i32 v95, 31, v95 :: v_dual_bitop2_b32 v93, s16, v93 bitop3:0x14
	v_dual_ashrrev_i32 v96, 31, v96 :: v_dual_bitop2_b32 v94, s17, v94 bitop3:0x14
	v_ashrrev_i32_e32 v97, 31, v97
	v_bitop3_b32 v90, v90, v91, exec_lo bitop3:0x80
	v_not_b32_e32 v91, v173
	v_cmp_gt_i32_e64 s20, 0, v172
	v_xor_b32_e32 v95, s18, v95
	v_xor_b32_e32 v96, s19, v96
	v_bitop3_b32 v90, v90, v94, v93 bitop3:0x80
	v_cmp_gt_i32_e32 vcc_lo, 0, v173
	v_ashrrev_i32_e32 v91, 31, v91
	v_mad_u32_u24 v93, v92, 36, v148
	v_xor_b32_e32 v94, s20, v97
	v_bitop3_b32 v90, v90, v96, v95 bitop3:0x80
	s_delay_alu instid0(VALU_DEP_4) | instskip(SKIP_3) | instid1(VALU_DEP_2)
	v_xor_b32_e32 v91, vcc_lo, v91
	ds_load_b32 v172, v93 offset:1056
	; wave barrier
	v_bitop3_b32 v90, v90, v91, v94 bitop3:0x80
	v_mul_u32_u24_e32 v91, 36, v92
	v_mbcnt_lo_u32_b32 v173, v90, 0
	v_cmp_ne_u32_e64 s15, 0, v90
	s_delay_alu instid0(VALU_DEP_3) | instskip(NEXT) | instid1(VALU_DEP_3)
	v_add_nc_u32_e32 v174, v148, v91
	v_cmp_eq_u32_e32 vcc_lo, 0, v173
	s_and_b32 s16, s15, vcc_lo
	s_delay_alu instid0(SALU_CYCLE_1)
	s_and_saveexec_b32 s15, s16
	s_cbranch_execz .LBB701_722
; %bb.721:                              ;   in Loop: Header=BB701_682 Depth=2
	s_wait_dscnt 0x0
	v_bcnt_u32_b32 v90, v90, v172
	ds_store_b32 v174, v90 offset:1056
.LBB701_722:                            ;   in Loop: Header=BB701_682 Depth=2
	s_or_b32 exec_lo, exec_lo, s15
	v_xor_b32_e32 v65, 0x7fffffff, v65
	v_not_b32_e32 v64, v64
	; wave barrier
	s_delay_alu instid0(VALU_DEP_1) | instskip(NEXT) | instid1(VALU_DEP_1)
	v_lshrrev_b64 v[90:91], s43, v[64:65]
	v_bitop3_b32 v91, v90, 1, s55 bitop3:0x80
	v_and_b32_e32 v92, s55, v90
	s_delay_alu instid0(VALU_DEP_2) | instskip(NEXT) | instid1(VALU_DEP_1)
	v_add_co_u32 v90, s15, v91, -1
	v_cndmask_b32_e64 v91, 0, 1, s15
	s_delay_alu instid0(VALU_DEP_3) | instskip(NEXT) | instid1(VALU_DEP_2)
	v_lshlrev_b32_e32 v93, 30, v92
	v_cmp_ne_u32_e32 vcc_lo, 0, v91
	s_delay_alu instid0(VALU_DEP_2) | instskip(NEXT) | instid1(VALU_DEP_1)
	v_not_b32_e32 v91, v93
	v_dual_ashrrev_i32 v91, 31, v91 :: v_dual_bitop2_b32 v90, vcc_lo, v90 bitop3:0x14
	v_dual_lshlrev_b32 v94, 29, v92 :: v_dual_lshlrev_b32 v95, 28, v92
	v_dual_lshlrev_b32 v96, 27, v92 :: v_dual_lshlrev_b32 v97, 26, v92
	v_lshlrev_b32_e32 v175, 25, v92
	v_cmp_gt_i32_e64 s15, 0, v93
	s_delay_alu instid0(VALU_DEP_4)
	v_cmp_gt_i32_e64 s16, 0, v94
	v_not_b32_e32 v93, v94
	v_not_b32_e32 v94, v95
	v_lshlrev_b32_e32 v176, 24, v92
	v_cmp_gt_i32_e64 s17, 0, v95
	v_cmp_gt_i32_e64 s18, 0, v96
	v_not_b32_e32 v95, v96
	v_not_b32_e32 v96, v97
	v_dual_ashrrev_i32 v93, 31, v93 :: v_dual_ashrrev_i32 v94, 31, v94
	v_xor_b32_e32 v91, s15, v91
	v_cmp_gt_i32_e64 s19, 0, v97
	v_not_b32_e32 v97, v175
	s_delay_alu instid0(VALU_DEP_4) | instskip(SKIP_1) | instid1(VALU_DEP_3)
	v_dual_ashrrev_i32 v95, 31, v95 :: v_dual_bitop2_b32 v93, s16, v93 bitop3:0x14
	v_dual_ashrrev_i32 v96, 31, v96 :: v_dual_bitop2_b32 v94, s17, v94 bitop3:0x14
	v_ashrrev_i32_e32 v97, 31, v97
	v_bitop3_b32 v90, v90, v91, exec_lo bitop3:0x80
	v_not_b32_e32 v91, v176
	v_cmp_gt_i32_e64 s20, 0, v175
	v_xor_b32_e32 v95, s18, v95
	v_xor_b32_e32 v96, s19, v96
	v_bitop3_b32 v90, v90, v94, v93 bitop3:0x80
	v_cmp_gt_i32_e32 vcc_lo, 0, v176
	v_ashrrev_i32_e32 v91, 31, v91
	v_mad_u32_u24 v93, v92, 36, v148
	v_xor_b32_e32 v94, s20, v97
	v_bitop3_b32 v90, v90, v96, v95 bitop3:0x80
	s_delay_alu instid0(VALU_DEP_4) | instskip(SKIP_3) | instid1(VALU_DEP_2)
	v_xor_b32_e32 v91, vcc_lo, v91
	ds_load_b32 v175, v93 offset:1056
	; wave barrier
	v_bitop3_b32 v90, v90, v91, v94 bitop3:0x80
	v_mul_u32_u24_e32 v91, 36, v92
	v_mbcnt_lo_u32_b32 v176, v90, 0
	v_cmp_ne_u32_e64 s15, 0, v90
	s_delay_alu instid0(VALU_DEP_3) | instskip(NEXT) | instid1(VALU_DEP_3)
	v_add_nc_u32_e32 v177, v148, v91
	v_cmp_eq_u32_e32 vcc_lo, 0, v176
	s_and_b32 s16, s15, vcc_lo
	s_delay_alu instid0(SALU_CYCLE_1)
	s_and_saveexec_b32 s15, s16
	s_cbranch_execz .LBB701_724
; %bb.723:                              ;   in Loop: Header=BB701_682 Depth=2
	s_wait_dscnt 0x0
	v_bcnt_u32_b32 v90, v90, v175
	ds_store_b32 v177, v90 offset:1056
.LBB701_724:                            ;   in Loop: Header=BB701_682 Depth=2
	s_or_b32 exec_lo, exec_lo, s15
	v_xor_b32_e32 v71, 0x7fffffff, v71
	v_not_b32_e32 v70, v70
	; wave barrier
	s_delay_alu instid0(VALU_DEP_1) | instskip(NEXT) | instid1(VALU_DEP_1)
	v_lshrrev_b64 v[90:91], s43, v[70:71]
	v_bitop3_b32 v91, v90, 1, s55 bitop3:0x80
	v_and_b32_e32 v92, s55, v90
	s_delay_alu instid0(VALU_DEP_2) | instskip(NEXT) | instid1(VALU_DEP_1)
	v_add_co_u32 v90, s15, v91, -1
	v_cndmask_b32_e64 v91, 0, 1, s15
	s_delay_alu instid0(VALU_DEP_3) | instskip(NEXT) | instid1(VALU_DEP_2)
	v_lshlrev_b32_e32 v93, 30, v92
	v_cmp_ne_u32_e32 vcc_lo, 0, v91
	s_delay_alu instid0(VALU_DEP_2) | instskip(NEXT) | instid1(VALU_DEP_1)
	v_not_b32_e32 v91, v93
	v_dual_ashrrev_i32 v91, 31, v91 :: v_dual_bitop2_b32 v90, vcc_lo, v90 bitop3:0x14
	v_dual_lshlrev_b32 v94, 29, v92 :: v_dual_lshlrev_b32 v95, 28, v92
	v_dual_lshlrev_b32 v96, 27, v92 :: v_dual_lshlrev_b32 v97, 26, v92
	v_lshlrev_b32_e32 v178, 25, v92
	v_cmp_gt_i32_e64 s15, 0, v93
	s_delay_alu instid0(VALU_DEP_4)
	v_cmp_gt_i32_e64 s16, 0, v94
	v_not_b32_e32 v93, v94
	v_not_b32_e32 v94, v95
	v_lshlrev_b32_e32 v179, 24, v92
	v_cmp_gt_i32_e64 s17, 0, v95
	v_cmp_gt_i32_e64 s18, 0, v96
	v_not_b32_e32 v95, v96
	v_not_b32_e32 v96, v97
	v_dual_ashrrev_i32 v93, 31, v93 :: v_dual_ashrrev_i32 v94, 31, v94
	v_xor_b32_e32 v91, s15, v91
	v_cmp_gt_i32_e64 s19, 0, v97
	v_not_b32_e32 v97, v178
	s_delay_alu instid0(VALU_DEP_4) | instskip(SKIP_1) | instid1(VALU_DEP_3)
	v_dual_ashrrev_i32 v95, 31, v95 :: v_dual_bitop2_b32 v93, s16, v93 bitop3:0x14
	v_dual_ashrrev_i32 v96, 31, v96 :: v_dual_bitop2_b32 v94, s17, v94 bitop3:0x14
	v_ashrrev_i32_e32 v97, 31, v97
	v_bitop3_b32 v90, v90, v91, exec_lo bitop3:0x80
	v_not_b32_e32 v91, v179
	v_cmp_gt_i32_e64 s20, 0, v178
	v_xor_b32_e32 v95, s18, v95
	v_xor_b32_e32 v96, s19, v96
	v_bitop3_b32 v90, v90, v94, v93 bitop3:0x80
	v_cmp_gt_i32_e32 vcc_lo, 0, v179
	v_ashrrev_i32_e32 v91, 31, v91
	v_mad_u32_u24 v93, v92, 36, v148
	v_xor_b32_e32 v94, s20, v97
	v_bitop3_b32 v90, v90, v96, v95 bitop3:0x80
	s_delay_alu instid0(VALU_DEP_4) | instskip(SKIP_3) | instid1(VALU_DEP_2)
	v_xor_b32_e32 v91, vcc_lo, v91
	ds_load_b32 v178, v93 offset:1056
	; wave barrier
	v_bitop3_b32 v90, v90, v91, v94 bitop3:0x80
	v_mul_u32_u24_e32 v91, 36, v92
	v_mbcnt_lo_u32_b32 v179, v90, 0
	v_cmp_ne_u32_e64 s15, 0, v90
	s_delay_alu instid0(VALU_DEP_3) | instskip(NEXT) | instid1(VALU_DEP_3)
	v_add_nc_u32_e32 v180, v148, v91
	v_cmp_eq_u32_e32 vcc_lo, 0, v179
	s_and_b32 s16, s15, vcc_lo
	s_delay_alu instid0(SALU_CYCLE_1)
	s_and_saveexec_b32 s15, s16
	s_cbranch_execz .LBB701_726
; %bb.725:                              ;   in Loop: Header=BB701_682 Depth=2
	s_wait_dscnt 0x0
	v_bcnt_u32_b32 v90, v90, v178
	ds_store_b32 v180, v90 offset:1056
.LBB701_726:                            ;   in Loop: Header=BB701_682 Depth=2
	s_or_b32 exec_lo, exec_lo, s15
	v_xor_b32_e32 v75, 0x7fffffff, v75
	v_not_b32_e32 v74, v74
	; wave barrier
	s_delay_alu instid0(VALU_DEP_1) | instskip(NEXT) | instid1(VALU_DEP_1)
	v_lshrrev_b64 v[90:91], s43, v[74:75]
	v_bitop3_b32 v91, v90, 1, s55 bitop3:0x80
	v_and_b32_e32 v92, s55, v90
	s_delay_alu instid0(VALU_DEP_2) | instskip(NEXT) | instid1(VALU_DEP_1)
	v_add_co_u32 v90, s15, v91, -1
	v_cndmask_b32_e64 v91, 0, 1, s15
	s_delay_alu instid0(VALU_DEP_3) | instskip(NEXT) | instid1(VALU_DEP_2)
	v_lshlrev_b32_e32 v93, 30, v92
	v_cmp_ne_u32_e32 vcc_lo, 0, v91
	s_delay_alu instid0(VALU_DEP_2) | instskip(NEXT) | instid1(VALU_DEP_1)
	v_not_b32_e32 v91, v93
	v_dual_ashrrev_i32 v91, 31, v91 :: v_dual_bitop2_b32 v90, vcc_lo, v90 bitop3:0x14
	v_dual_lshlrev_b32 v94, 29, v92 :: v_dual_lshlrev_b32 v95, 28, v92
	v_dual_lshlrev_b32 v96, 27, v92 :: v_dual_lshlrev_b32 v97, 26, v92
	v_lshlrev_b32_e32 v181, 25, v92
	v_cmp_gt_i32_e64 s15, 0, v93
	s_delay_alu instid0(VALU_DEP_4)
	v_cmp_gt_i32_e64 s16, 0, v94
	v_not_b32_e32 v93, v94
	v_not_b32_e32 v94, v95
	v_lshlrev_b32_e32 v182, 24, v92
	v_cmp_gt_i32_e64 s17, 0, v95
	v_cmp_gt_i32_e64 s18, 0, v96
	v_not_b32_e32 v95, v96
	v_not_b32_e32 v96, v97
	v_dual_ashrrev_i32 v93, 31, v93 :: v_dual_ashrrev_i32 v94, 31, v94
	v_xor_b32_e32 v91, s15, v91
	v_cmp_gt_i32_e64 s19, 0, v97
	v_not_b32_e32 v97, v181
	s_delay_alu instid0(VALU_DEP_4) | instskip(SKIP_1) | instid1(VALU_DEP_3)
	v_dual_ashrrev_i32 v95, 31, v95 :: v_dual_bitop2_b32 v93, s16, v93 bitop3:0x14
	v_dual_ashrrev_i32 v96, 31, v96 :: v_dual_bitop2_b32 v94, s17, v94 bitop3:0x14
	v_ashrrev_i32_e32 v97, 31, v97
	v_bitop3_b32 v90, v90, v91, exec_lo bitop3:0x80
	v_not_b32_e32 v91, v182
	v_cmp_gt_i32_e64 s20, 0, v181
	v_xor_b32_e32 v95, s18, v95
	v_xor_b32_e32 v96, s19, v96
	v_bitop3_b32 v90, v90, v94, v93 bitop3:0x80
	v_cmp_gt_i32_e32 vcc_lo, 0, v182
	v_ashrrev_i32_e32 v91, 31, v91
	v_mad_u32_u24 v93, v92, 36, v148
	v_xor_b32_e32 v94, s20, v97
	v_bitop3_b32 v90, v90, v96, v95 bitop3:0x80
	s_delay_alu instid0(VALU_DEP_4) | instskip(SKIP_3) | instid1(VALU_DEP_2)
	v_xor_b32_e32 v91, vcc_lo, v91
	ds_load_b32 v181, v93 offset:1056
	; wave barrier
	v_bitop3_b32 v90, v90, v91, v94 bitop3:0x80
	v_mul_u32_u24_e32 v91, 36, v92
	v_mbcnt_lo_u32_b32 v182, v90, 0
	v_cmp_ne_u32_e64 s15, 0, v90
	s_delay_alu instid0(VALU_DEP_3) | instskip(NEXT) | instid1(VALU_DEP_3)
	v_add_nc_u32_e32 v183, v148, v91
	v_cmp_eq_u32_e32 vcc_lo, 0, v182
	s_and_b32 s16, s15, vcc_lo
	s_delay_alu instid0(SALU_CYCLE_1)
	s_and_saveexec_b32 s15, s16
	s_cbranch_execz .LBB701_728
; %bb.727:                              ;   in Loop: Header=BB701_682 Depth=2
	s_wait_dscnt 0x0
	v_bcnt_u32_b32 v90, v90, v181
	ds_store_b32 v183, v90 offset:1056
.LBB701_728:                            ;   in Loop: Header=BB701_682 Depth=2
	s_or_b32 exec_lo, exec_lo, s15
	v_xor_b32_e32 v79, 0x7fffffff, v79
	v_not_b32_e32 v78, v78
	; wave barrier
	s_delay_alu instid0(VALU_DEP_1) | instskip(NEXT) | instid1(VALU_DEP_1)
	v_lshrrev_b64 v[90:91], s43, v[78:79]
	v_bitop3_b32 v91, v90, 1, s55 bitop3:0x80
	v_and_b32_e32 v92, s55, v90
	s_delay_alu instid0(VALU_DEP_2) | instskip(NEXT) | instid1(VALU_DEP_1)
	v_add_co_u32 v90, s15, v91, -1
	v_cndmask_b32_e64 v91, 0, 1, s15
	s_delay_alu instid0(VALU_DEP_3) | instskip(NEXT) | instid1(VALU_DEP_2)
	v_lshlrev_b32_e32 v93, 30, v92
	v_cmp_ne_u32_e32 vcc_lo, 0, v91
	s_delay_alu instid0(VALU_DEP_2) | instskip(NEXT) | instid1(VALU_DEP_1)
	v_not_b32_e32 v91, v93
	v_dual_ashrrev_i32 v91, 31, v91 :: v_dual_bitop2_b32 v90, vcc_lo, v90 bitop3:0x14
	v_dual_lshlrev_b32 v94, 29, v92 :: v_dual_lshlrev_b32 v95, 28, v92
	v_dual_lshlrev_b32 v96, 27, v92 :: v_dual_lshlrev_b32 v97, 26, v92
	v_lshlrev_b32_e32 v184, 25, v92
	v_cmp_gt_i32_e64 s15, 0, v93
	s_delay_alu instid0(VALU_DEP_4)
	v_cmp_gt_i32_e64 s16, 0, v94
	v_not_b32_e32 v93, v94
	v_not_b32_e32 v94, v95
	v_lshlrev_b32_e32 v185, 24, v92
	v_cmp_gt_i32_e64 s17, 0, v95
	v_cmp_gt_i32_e64 s18, 0, v96
	v_not_b32_e32 v95, v96
	v_not_b32_e32 v96, v97
	v_dual_ashrrev_i32 v93, 31, v93 :: v_dual_ashrrev_i32 v94, 31, v94
	v_xor_b32_e32 v91, s15, v91
	v_cmp_gt_i32_e64 s19, 0, v97
	v_not_b32_e32 v97, v184
	s_delay_alu instid0(VALU_DEP_4) | instskip(SKIP_1) | instid1(VALU_DEP_3)
	v_dual_ashrrev_i32 v95, 31, v95 :: v_dual_bitop2_b32 v93, s16, v93 bitop3:0x14
	v_dual_ashrrev_i32 v96, 31, v96 :: v_dual_bitop2_b32 v94, s17, v94 bitop3:0x14
	v_ashrrev_i32_e32 v97, 31, v97
	v_bitop3_b32 v90, v90, v91, exec_lo bitop3:0x80
	v_not_b32_e32 v91, v185
	v_cmp_gt_i32_e64 s20, 0, v184
	v_xor_b32_e32 v95, s18, v95
	v_xor_b32_e32 v96, s19, v96
	v_bitop3_b32 v90, v90, v94, v93 bitop3:0x80
	v_cmp_gt_i32_e32 vcc_lo, 0, v185
	v_ashrrev_i32_e32 v91, 31, v91
	v_mad_u32_u24 v93, v92, 36, v148
	v_xor_b32_e32 v94, s20, v97
	v_bitop3_b32 v90, v90, v96, v95 bitop3:0x80
	s_delay_alu instid0(VALU_DEP_4) | instskip(SKIP_3) | instid1(VALU_DEP_2)
	v_xor_b32_e32 v91, vcc_lo, v91
	ds_load_b32 v184, v93 offset:1056
	; wave barrier
	v_bitop3_b32 v90, v90, v91, v94 bitop3:0x80
	v_mul_u32_u24_e32 v91, 36, v92
	v_mbcnt_lo_u32_b32 v185, v90, 0
	v_cmp_ne_u32_e64 s15, 0, v90
	s_delay_alu instid0(VALU_DEP_3) | instskip(NEXT) | instid1(VALU_DEP_3)
	v_add_nc_u32_e32 v186, v148, v91
	v_cmp_eq_u32_e32 vcc_lo, 0, v185
	s_and_b32 s16, s15, vcc_lo
	s_delay_alu instid0(SALU_CYCLE_1)
	s_and_saveexec_b32 s15, s16
	s_cbranch_execz .LBB701_730
; %bb.729:                              ;   in Loop: Header=BB701_682 Depth=2
	s_wait_dscnt 0x0
	v_bcnt_u32_b32 v90, v90, v184
	ds_store_b32 v186, v90 offset:1056
.LBB701_730:                            ;   in Loop: Header=BB701_682 Depth=2
	s_or_b32 exec_lo, exec_lo, s15
	v_xor_b32_e32 v83, 0x7fffffff, v83
	v_not_b32_e32 v82, v82
	; wave barrier
	s_delay_alu instid0(VALU_DEP_1) | instskip(NEXT) | instid1(VALU_DEP_1)
	v_lshrrev_b64 v[90:91], s43, v[82:83]
	v_bitop3_b32 v91, v90, 1, s55 bitop3:0x80
	v_and_b32_e32 v92, s55, v90
	s_delay_alu instid0(VALU_DEP_2) | instskip(NEXT) | instid1(VALU_DEP_1)
	v_add_co_u32 v90, s15, v91, -1
	v_cndmask_b32_e64 v91, 0, 1, s15
	s_delay_alu instid0(VALU_DEP_3) | instskip(NEXT) | instid1(VALU_DEP_2)
	v_lshlrev_b32_e32 v93, 30, v92
	v_cmp_ne_u32_e32 vcc_lo, 0, v91
	s_delay_alu instid0(VALU_DEP_2) | instskip(NEXT) | instid1(VALU_DEP_1)
	v_not_b32_e32 v91, v93
	v_dual_ashrrev_i32 v91, 31, v91 :: v_dual_bitop2_b32 v90, vcc_lo, v90 bitop3:0x14
	v_dual_lshlrev_b32 v94, 29, v92 :: v_dual_lshlrev_b32 v95, 28, v92
	v_dual_lshlrev_b32 v96, 27, v92 :: v_dual_lshlrev_b32 v97, 26, v92
	v_lshlrev_b32_e32 v187, 25, v92
	v_cmp_gt_i32_e64 s15, 0, v93
	s_delay_alu instid0(VALU_DEP_4)
	v_cmp_gt_i32_e64 s16, 0, v94
	v_not_b32_e32 v93, v94
	v_not_b32_e32 v94, v95
	v_lshlrev_b32_e32 v188, 24, v92
	v_cmp_gt_i32_e64 s17, 0, v95
	v_cmp_gt_i32_e64 s18, 0, v96
	v_not_b32_e32 v95, v96
	v_not_b32_e32 v96, v97
	v_dual_ashrrev_i32 v93, 31, v93 :: v_dual_ashrrev_i32 v94, 31, v94
	v_xor_b32_e32 v91, s15, v91
	v_cmp_gt_i32_e64 s19, 0, v97
	v_not_b32_e32 v97, v187
	s_delay_alu instid0(VALU_DEP_4) | instskip(SKIP_1) | instid1(VALU_DEP_3)
	v_dual_ashrrev_i32 v95, 31, v95 :: v_dual_bitop2_b32 v93, s16, v93 bitop3:0x14
	v_dual_ashrrev_i32 v96, 31, v96 :: v_dual_bitop2_b32 v94, s17, v94 bitop3:0x14
	v_ashrrev_i32_e32 v97, 31, v97
	v_bitop3_b32 v90, v90, v91, exec_lo bitop3:0x80
	v_not_b32_e32 v91, v188
	v_cmp_gt_i32_e64 s20, 0, v187
	v_xor_b32_e32 v95, s18, v95
	v_xor_b32_e32 v96, s19, v96
	v_bitop3_b32 v90, v90, v94, v93 bitop3:0x80
	v_cmp_gt_i32_e32 vcc_lo, 0, v188
	v_ashrrev_i32_e32 v91, 31, v91
	v_mad_u32_u24 v93, v92, 36, v148
	v_xor_b32_e32 v94, s20, v97
	v_bitop3_b32 v90, v90, v96, v95 bitop3:0x80
	s_delay_alu instid0(VALU_DEP_4) | instskip(SKIP_3) | instid1(VALU_DEP_2)
	v_xor_b32_e32 v91, vcc_lo, v91
	ds_load_b32 v187, v93 offset:1056
	; wave barrier
	v_bitop3_b32 v90, v90, v91, v94 bitop3:0x80
	v_mul_u32_u24_e32 v91, 36, v92
	v_mbcnt_lo_u32_b32 v188, v90, 0
	v_cmp_ne_u32_e64 s15, 0, v90
	s_delay_alu instid0(VALU_DEP_3) | instskip(NEXT) | instid1(VALU_DEP_3)
	v_add_nc_u32_e32 v189, v148, v91
	v_cmp_eq_u32_e32 vcc_lo, 0, v188
	s_and_b32 s16, s15, vcc_lo
	s_delay_alu instid0(SALU_CYCLE_1)
	s_and_saveexec_b32 s15, s16
	s_cbranch_execz .LBB701_732
; %bb.731:                              ;   in Loop: Header=BB701_682 Depth=2
	s_wait_dscnt 0x0
	v_bcnt_u32_b32 v90, v90, v187
	ds_store_b32 v189, v90 offset:1056
.LBB701_732:                            ;   in Loop: Header=BB701_682 Depth=2
	s_or_b32 exec_lo, exec_lo, s15
	v_xor_b32_e32 v87, 0x7fffffff, v87
	v_not_b32_e32 v86, v86
	; wave barrier
	s_delay_alu instid0(VALU_DEP_1) | instskip(NEXT) | instid1(VALU_DEP_1)
	v_lshrrev_b64 v[90:91], s43, v[86:87]
	v_bitop3_b32 v91, v90, 1, s55 bitop3:0x80
	v_and_b32_e32 v92, s55, v90
	s_delay_alu instid0(VALU_DEP_2) | instskip(NEXT) | instid1(VALU_DEP_1)
	v_add_co_u32 v90, s15, v91, -1
	v_cndmask_b32_e64 v91, 0, 1, s15
	s_delay_alu instid0(VALU_DEP_3) | instskip(NEXT) | instid1(VALU_DEP_2)
	v_lshlrev_b32_e32 v93, 30, v92
	v_cmp_ne_u32_e32 vcc_lo, 0, v91
	s_delay_alu instid0(VALU_DEP_2) | instskip(NEXT) | instid1(VALU_DEP_1)
	v_not_b32_e32 v91, v93
	v_dual_ashrrev_i32 v91, 31, v91 :: v_dual_bitop2_b32 v90, vcc_lo, v90 bitop3:0x14
	v_dual_lshlrev_b32 v94, 29, v92 :: v_dual_lshlrev_b32 v95, 28, v92
	v_dual_lshlrev_b32 v96, 27, v92 :: v_dual_lshlrev_b32 v97, 26, v92
	v_lshlrev_b32_e32 v190, 25, v92
	v_cmp_gt_i32_e64 s15, 0, v93
	s_delay_alu instid0(VALU_DEP_4)
	v_cmp_gt_i32_e64 s16, 0, v94
	v_not_b32_e32 v93, v94
	v_not_b32_e32 v94, v95
	v_lshlrev_b32_e32 v191, 24, v92
	v_cmp_gt_i32_e64 s17, 0, v95
	v_cmp_gt_i32_e64 s18, 0, v96
	v_not_b32_e32 v95, v96
	v_not_b32_e32 v96, v97
	v_dual_ashrrev_i32 v93, 31, v93 :: v_dual_ashrrev_i32 v94, 31, v94
	v_xor_b32_e32 v91, s15, v91
	v_cmp_gt_i32_e64 s19, 0, v97
	v_not_b32_e32 v97, v190
	s_delay_alu instid0(VALU_DEP_4) | instskip(SKIP_1) | instid1(VALU_DEP_3)
	v_dual_ashrrev_i32 v95, 31, v95 :: v_dual_bitop2_b32 v93, s16, v93 bitop3:0x14
	v_dual_ashrrev_i32 v96, 31, v96 :: v_dual_bitop2_b32 v94, s17, v94 bitop3:0x14
	v_ashrrev_i32_e32 v97, 31, v97
	v_bitop3_b32 v90, v90, v91, exec_lo bitop3:0x80
	v_not_b32_e32 v91, v191
	v_cmp_gt_i32_e64 s20, 0, v190
	v_xor_b32_e32 v95, s18, v95
	v_xor_b32_e32 v96, s19, v96
	v_bitop3_b32 v90, v90, v94, v93 bitop3:0x80
	v_cmp_gt_i32_e32 vcc_lo, 0, v191
	v_ashrrev_i32_e32 v91, 31, v91
	v_mad_u32_u24 v93, v92, 36, v148
	v_xor_b32_e32 v94, s20, v97
	v_bitop3_b32 v90, v90, v96, v95 bitop3:0x80
	s_delay_alu instid0(VALU_DEP_4) | instskip(SKIP_3) | instid1(VALU_DEP_2)
	v_xor_b32_e32 v91, vcc_lo, v91
	ds_load_b32 v190, v93 offset:1056
	; wave barrier
	v_bitop3_b32 v90, v90, v91, v94 bitop3:0x80
	v_mul_u32_u24_e32 v91, 36, v92
	v_mbcnt_lo_u32_b32 v191, v90, 0
	v_cmp_ne_u32_e64 s15, 0, v90
	s_delay_alu instid0(VALU_DEP_3) | instskip(NEXT) | instid1(VALU_DEP_3)
	v_add_nc_u32_e32 v192, v148, v91
	v_cmp_eq_u32_e32 vcc_lo, 0, v191
	s_and_b32 s16, s15, vcc_lo
	s_delay_alu instid0(SALU_CYCLE_1)
	s_and_saveexec_b32 s15, s16
	s_cbranch_execz .LBB701_734
; %bb.733:                              ;   in Loop: Header=BB701_682 Depth=2
	s_wait_dscnt 0x0
	v_bcnt_u32_b32 v90, v90, v190
	ds_store_b32 v192, v90 offset:1056
.LBB701_734:                            ;   in Loop: Header=BB701_682 Depth=2
	s_or_b32 exec_lo, exec_lo, s15
	v_xor_b32_e32 v89, 0x7fffffff, v89
	v_not_b32_e32 v88, v88
	; wave barrier
	s_delay_alu instid0(VALU_DEP_1) | instskip(NEXT) | instid1(VALU_DEP_1)
	v_lshrrev_b64 v[90:91], s43, v[88:89]
	v_bitop3_b32 v91, v90, 1, s55 bitop3:0x80
	v_and_b32_e32 v92, s55, v90
	s_delay_alu instid0(VALU_DEP_2) | instskip(NEXT) | instid1(VALU_DEP_1)
	v_add_co_u32 v90, s15, v91, -1
	v_cndmask_b32_e64 v91, 0, 1, s15
	s_delay_alu instid0(VALU_DEP_3) | instskip(NEXT) | instid1(VALU_DEP_2)
	v_lshlrev_b32_e32 v93, 30, v92
	v_cmp_ne_u32_e32 vcc_lo, 0, v91
	s_delay_alu instid0(VALU_DEP_2) | instskip(NEXT) | instid1(VALU_DEP_1)
	v_not_b32_e32 v91, v93
	v_dual_ashrrev_i32 v91, 31, v91 :: v_dual_bitop2_b32 v90, vcc_lo, v90 bitop3:0x14
	v_dual_lshlrev_b32 v94, 29, v92 :: v_dual_lshlrev_b32 v95, 28, v92
	v_dual_lshlrev_b32 v96, 27, v92 :: v_dual_lshlrev_b32 v97, 26, v92
	v_lshlrev_b32_e32 v193, 25, v92
	v_cmp_gt_i32_e64 s15, 0, v93
	s_delay_alu instid0(VALU_DEP_4)
	v_cmp_gt_i32_e64 s16, 0, v94
	v_not_b32_e32 v93, v94
	v_not_b32_e32 v94, v95
	v_lshlrev_b32_e32 v194, 24, v92
	v_cmp_gt_i32_e64 s17, 0, v95
	v_cmp_gt_i32_e64 s18, 0, v96
	v_not_b32_e32 v95, v96
	v_not_b32_e32 v96, v97
	v_dual_ashrrev_i32 v93, 31, v93 :: v_dual_ashrrev_i32 v94, 31, v94
	v_xor_b32_e32 v91, s15, v91
	v_cmp_gt_i32_e64 s19, 0, v97
	v_not_b32_e32 v97, v193
	s_delay_alu instid0(VALU_DEP_4) | instskip(SKIP_1) | instid1(VALU_DEP_3)
	v_dual_ashrrev_i32 v95, 31, v95 :: v_dual_bitop2_b32 v93, s16, v93 bitop3:0x14
	v_dual_ashrrev_i32 v96, 31, v96 :: v_dual_bitop2_b32 v94, s17, v94 bitop3:0x14
	v_ashrrev_i32_e32 v97, 31, v97
	v_bitop3_b32 v90, v90, v91, exec_lo bitop3:0x80
	v_not_b32_e32 v91, v194
	v_cmp_gt_i32_e64 s20, 0, v193
	v_xor_b32_e32 v95, s18, v95
	v_xor_b32_e32 v96, s19, v96
	v_bitop3_b32 v90, v90, v94, v93 bitop3:0x80
	v_cmp_gt_i32_e32 vcc_lo, 0, v194
	v_ashrrev_i32_e32 v91, 31, v91
	v_mad_u32_u24 v93, v92, 36, v148
	v_xor_b32_e32 v94, s20, v97
	v_bitop3_b32 v90, v90, v96, v95 bitop3:0x80
	s_delay_alu instid0(VALU_DEP_4) | instskip(SKIP_3) | instid1(VALU_DEP_2)
	v_xor_b32_e32 v91, vcc_lo, v91
	ds_load_b32 v193, v93 offset:1056
	; wave barrier
	v_bitop3_b32 v90, v90, v91, v94 bitop3:0x80
	v_mul_u32_u24_e32 v91, 36, v92
	v_mbcnt_lo_u32_b32 v194, v90, 0
	v_cmp_ne_u32_e64 s15, 0, v90
	s_delay_alu instid0(VALU_DEP_3) | instskip(NEXT) | instid1(VALU_DEP_3)
	v_add_nc_u32_e32 v195, v148, v91
	v_cmp_eq_u32_e32 vcc_lo, 0, v194
	s_and_b32 s16, s15, vcc_lo
	s_delay_alu instid0(SALU_CYCLE_1)
	s_and_saveexec_b32 s15, s16
	s_cbranch_execz .LBB701_736
; %bb.735:                              ;   in Loop: Header=BB701_682 Depth=2
	s_wait_dscnt 0x0
	v_bcnt_u32_b32 v90, v90, v193
	ds_store_b32 v195, v90 offset:1056
.LBB701_736:                            ;   in Loop: Header=BB701_682 Depth=2
	s_or_b32 exec_lo, exec_lo, s15
	v_xor_b32_e32 v85, 0x7fffffff, v85
	v_not_b32_e32 v84, v84
	; wave barrier
	s_delay_alu instid0(VALU_DEP_1) | instskip(NEXT) | instid1(VALU_DEP_1)
	v_lshrrev_b64 v[90:91], s43, v[84:85]
	v_bitop3_b32 v91, v90, 1, s55 bitop3:0x80
	v_and_b32_e32 v92, s55, v90
	s_delay_alu instid0(VALU_DEP_2) | instskip(NEXT) | instid1(VALU_DEP_1)
	v_add_co_u32 v90, s15, v91, -1
	v_cndmask_b32_e64 v91, 0, 1, s15
	s_delay_alu instid0(VALU_DEP_3) | instskip(NEXT) | instid1(VALU_DEP_2)
	v_lshlrev_b32_e32 v93, 30, v92
	v_cmp_ne_u32_e32 vcc_lo, 0, v91
	s_delay_alu instid0(VALU_DEP_2) | instskip(NEXT) | instid1(VALU_DEP_1)
	v_not_b32_e32 v91, v93
	v_dual_ashrrev_i32 v91, 31, v91 :: v_dual_bitop2_b32 v90, vcc_lo, v90 bitop3:0x14
	v_dual_lshlrev_b32 v94, 29, v92 :: v_dual_lshlrev_b32 v95, 28, v92
	v_dual_lshlrev_b32 v96, 27, v92 :: v_dual_lshlrev_b32 v97, 26, v92
	v_lshlrev_b32_e32 v196, 25, v92
	v_cmp_gt_i32_e64 s15, 0, v93
	s_delay_alu instid0(VALU_DEP_4)
	v_cmp_gt_i32_e64 s16, 0, v94
	v_not_b32_e32 v93, v94
	v_not_b32_e32 v94, v95
	v_lshlrev_b32_e32 v197, 24, v92
	v_cmp_gt_i32_e64 s17, 0, v95
	v_cmp_gt_i32_e64 s18, 0, v96
	v_not_b32_e32 v95, v96
	v_not_b32_e32 v96, v97
	v_dual_ashrrev_i32 v93, 31, v93 :: v_dual_ashrrev_i32 v94, 31, v94
	v_xor_b32_e32 v91, s15, v91
	v_cmp_gt_i32_e64 s19, 0, v97
	v_not_b32_e32 v97, v196
	s_delay_alu instid0(VALU_DEP_4) | instskip(SKIP_1) | instid1(VALU_DEP_3)
	v_dual_ashrrev_i32 v95, 31, v95 :: v_dual_bitop2_b32 v93, s16, v93 bitop3:0x14
	v_dual_ashrrev_i32 v96, 31, v96 :: v_dual_bitop2_b32 v94, s17, v94 bitop3:0x14
	v_ashrrev_i32_e32 v97, 31, v97
	v_bitop3_b32 v90, v90, v91, exec_lo bitop3:0x80
	v_not_b32_e32 v91, v197
	v_cmp_gt_i32_e64 s20, 0, v196
	v_xor_b32_e32 v95, s18, v95
	v_xor_b32_e32 v96, s19, v96
	v_bitop3_b32 v90, v90, v94, v93 bitop3:0x80
	v_cmp_gt_i32_e32 vcc_lo, 0, v197
	v_ashrrev_i32_e32 v91, 31, v91
	v_mad_u32_u24 v93, v92, 36, v148
	v_xor_b32_e32 v94, s20, v97
	v_bitop3_b32 v90, v90, v96, v95 bitop3:0x80
	s_delay_alu instid0(VALU_DEP_4) | instskip(SKIP_3) | instid1(VALU_DEP_2)
	v_xor_b32_e32 v91, vcc_lo, v91
	ds_load_b32 v196, v93 offset:1056
	; wave barrier
	v_bitop3_b32 v90, v90, v91, v94 bitop3:0x80
	v_mul_u32_u24_e32 v91, 36, v92
	v_mbcnt_lo_u32_b32 v197, v90, 0
	v_cmp_ne_u32_e64 s15, 0, v90
	s_delay_alu instid0(VALU_DEP_3) | instskip(NEXT) | instid1(VALU_DEP_3)
	v_add_nc_u32_e32 v198, v148, v91
	v_cmp_eq_u32_e32 vcc_lo, 0, v197
	s_and_b32 s16, s15, vcc_lo
	s_delay_alu instid0(SALU_CYCLE_1)
	s_and_saveexec_b32 s15, s16
	s_cbranch_execz .LBB701_738
; %bb.737:                              ;   in Loop: Header=BB701_682 Depth=2
	s_wait_dscnt 0x0
	v_bcnt_u32_b32 v90, v90, v196
	ds_store_b32 v198, v90 offset:1056
.LBB701_738:                            ;   in Loop: Header=BB701_682 Depth=2
	s_or_b32 exec_lo, exec_lo, s15
	v_xor_b32_e32 v81, 0x7fffffff, v81
	v_not_b32_e32 v80, v80
	; wave barrier
	s_delay_alu instid0(VALU_DEP_1) | instskip(NEXT) | instid1(VALU_DEP_1)
	v_lshrrev_b64 v[90:91], s43, v[80:81]
	v_bitop3_b32 v91, v90, 1, s55 bitop3:0x80
	v_and_b32_e32 v92, s55, v90
	s_delay_alu instid0(VALU_DEP_2) | instskip(NEXT) | instid1(VALU_DEP_1)
	v_add_co_u32 v90, s15, v91, -1
	v_cndmask_b32_e64 v91, 0, 1, s15
	s_delay_alu instid0(VALU_DEP_3) | instskip(NEXT) | instid1(VALU_DEP_2)
	v_lshlrev_b32_e32 v93, 30, v92
	v_cmp_ne_u32_e32 vcc_lo, 0, v91
	s_delay_alu instid0(VALU_DEP_2) | instskip(NEXT) | instid1(VALU_DEP_1)
	v_not_b32_e32 v91, v93
	v_dual_ashrrev_i32 v91, 31, v91 :: v_dual_bitop2_b32 v90, vcc_lo, v90 bitop3:0x14
	v_dual_lshlrev_b32 v94, 29, v92 :: v_dual_lshlrev_b32 v95, 28, v92
	v_dual_lshlrev_b32 v96, 27, v92 :: v_dual_lshlrev_b32 v97, 26, v92
	v_lshlrev_b32_e32 v199, 25, v92
	v_cmp_gt_i32_e64 s15, 0, v93
	s_delay_alu instid0(VALU_DEP_4)
	v_cmp_gt_i32_e64 s16, 0, v94
	v_not_b32_e32 v93, v94
	v_not_b32_e32 v94, v95
	v_lshlrev_b32_e32 v200, 24, v92
	v_cmp_gt_i32_e64 s17, 0, v95
	v_cmp_gt_i32_e64 s18, 0, v96
	v_not_b32_e32 v95, v96
	v_not_b32_e32 v96, v97
	v_dual_ashrrev_i32 v93, 31, v93 :: v_dual_ashrrev_i32 v94, 31, v94
	v_xor_b32_e32 v91, s15, v91
	v_cmp_gt_i32_e64 s19, 0, v97
	v_not_b32_e32 v97, v199
	s_delay_alu instid0(VALU_DEP_4) | instskip(SKIP_1) | instid1(VALU_DEP_3)
	v_dual_ashrrev_i32 v95, 31, v95 :: v_dual_bitop2_b32 v93, s16, v93 bitop3:0x14
	v_dual_ashrrev_i32 v96, 31, v96 :: v_dual_bitop2_b32 v94, s17, v94 bitop3:0x14
	v_ashrrev_i32_e32 v97, 31, v97
	v_bitop3_b32 v90, v90, v91, exec_lo bitop3:0x80
	v_not_b32_e32 v91, v200
	v_cmp_gt_i32_e64 s20, 0, v199
	v_xor_b32_e32 v95, s18, v95
	v_xor_b32_e32 v96, s19, v96
	v_bitop3_b32 v90, v90, v94, v93 bitop3:0x80
	v_cmp_gt_i32_e32 vcc_lo, 0, v200
	v_ashrrev_i32_e32 v91, 31, v91
	v_mad_u32_u24 v93, v92, 36, v148
	v_xor_b32_e32 v94, s20, v97
	v_bitop3_b32 v90, v90, v96, v95 bitop3:0x80
	s_delay_alu instid0(VALU_DEP_4) | instskip(SKIP_3) | instid1(VALU_DEP_2)
	v_xor_b32_e32 v91, vcc_lo, v91
	ds_load_b32 v199, v93 offset:1056
	; wave barrier
	v_bitop3_b32 v90, v90, v91, v94 bitop3:0x80
	v_mul_u32_u24_e32 v91, 36, v92
	v_mbcnt_lo_u32_b32 v200, v90, 0
	v_cmp_ne_u32_e64 s15, 0, v90
	s_delay_alu instid0(VALU_DEP_3) | instskip(NEXT) | instid1(VALU_DEP_3)
	v_add_nc_u32_e32 v202, v148, v91
	v_cmp_eq_u32_e32 vcc_lo, 0, v200
	s_and_b32 s16, s15, vcc_lo
	s_delay_alu instid0(SALU_CYCLE_1)
	s_and_saveexec_b32 s15, s16
	s_cbranch_execz .LBB701_740
; %bb.739:                              ;   in Loop: Header=BB701_682 Depth=2
	s_wait_dscnt 0x0
	v_bcnt_u32_b32 v90, v90, v199
	ds_store_b32 v202, v90 offset:1056
.LBB701_740:                            ;   in Loop: Header=BB701_682 Depth=2
	s_or_b32 exec_lo, exec_lo, s15
	v_xor_b32_e32 v77, 0x7fffffff, v77
	v_not_b32_e32 v76, v76
	; wave barrier
	s_delay_alu instid0(VALU_DEP_1) | instskip(NEXT) | instid1(VALU_DEP_1)
	v_lshrrev_b64 v[90:91], s43, v[76:77]
	v_bitop3_b32 v91, v90, 1, s55 bitop3:0x80
	v_and_b32_e32 v92, s55, v90
	s_delay_alu instid0(VALU_DEP_2) | instskip(NEXT) | instid1(VALU_DEP_1)
	v_add_co_u32 v90, s15, v91, -1
	v_cndmask_b32_e64 v91, 0, 1, s15
	s_delay_alu instid0(VALU_DEP_3) | instskip(NEXT) | instid1(VALU_DEP_2)
	v_lshlrev_b32_e32 v93, 30, v92
	v_cmp_ne_u32_e32 vcc_lo, 0, v91
	s_delay_alu instid0(VALU_DEP_2) | instskip(NEXT) | instid1(VALU_DEP_1)
	v_not_b32_e32 v91, v93
	v_dual_ashrrev_i32 v91, 31, v91 :: v_dual_bitop2_b32 v90, vcc_lo, v90 bitop3:0x14
	v_dual_lshlrev_b32 v94, 29, v92 :: v_dual_lshlrev_b32 v95, 28, v92
	v_dual_lshlrev_b32 v96, 27, v92 :: v_dual_lshlrev_b32 v97, 26, v92
	v_lshlrev_b32_e32 v201, 25, v92
	v_cmp_gt_i32_e64 s15, 0, v93
	s_delay_alu instid0(VALU_DEP_4)
	v_cmp_gt_i32_e64 s16, 0, v94
	v_not_b32_e32 v93, v94
	v_not_b32_e32 v94, v95
	v_lshlrev_b32_e32 v203, 24, v92
	v_cmp_gt_i32_e64 s17, 0, v95
	v_cmp_gt_i32_e64 s18, 0, v96
	v_not_b32_e32 v95, v96
	v_not_b32_e32 v96, v97
	v_dual_ashrrev_i32 v93, 31, v93 :: v_dual_ashrrev_i32 v94, 31, v94
	v_xor_b32_e32 v91, s15, v91
	v_cmp_gt_i32_e64 s19, 0, v97
	v_not_b32_e32 v97, v201
	s_delay_alu instid0(VALU_DEP_4) | instskip(SKIP_1) | instid1(VALU_DEP_3)
	v_dual_ashrrev_i32 v95, 31, v95 :: v_dual_bitop2_b32 v93, s16, v93 bitop3:0x14
	v_dual_ashrrev_i32 v96, 31, v96 :: v_dual_bitop2_b32 v94, s17, v94 bitop3:0x14
	v_ashrrev_i32_e32 v97, 31, v97
	v_bitop3_b32 v90, v90, v91, exec_lo bitop3:0x80
	v_not_b32_e32 v91, v203
	v_cmp_gt_i32_e64 s20, 0, v201
	v_xor_b32_e32 v95, s18, v95
	v_xor_b32_e32 v96, s19, v96
	v_bitop3_b32 v90, v90, v94, v93 bitop3:0x80
	v_cmp_gt_i32_e32 vcc_lo, 0, v203
	v_ashrrev_i32_e32 v91, 31, v91
	v_mad_u32_u24 v93, v92, 36, v148
	v_xor_b32_e32 v94, s20, v97
	v_bitop3_b32 v90, v90, v96, v95 bitop3:0x80
	s_delay_alu instid0(VALU_DEP_4) | instskip(SKIP_3) | instid1(VALU_DEP_2)
	v_xor_b32_e32 v91, vcc_lo, v91
	ds_load_b32 v201, v93 offset:1056
	; wave barrier
	v_bitop3_b32 v90, v90, v91, v94 bitop3:0x80
	v_mul_u32_u24_e32 v91, 36, v92
	v_mbcnt_lo_u32_b32 v203, v90, 0
	v_cmp_ne_u32_e64 s15, 0, v90
	s_delay_alu instid0(VALU_DEP_3) | instskip(NEXT) | instid1(VALU_DEP_3)
	v_add_nc_u32_e32 v205, v148, v91
	v_cmp_eq_u32_e32 vcc_lo, 0, v203
	s_and_b32 s16, s15, vcc_lo
	s_delay_alu instid0(SALU_CYCLE_1)
	s_and_saveexec_b32 s15, s16
	s_cbranch_execz .LBB701_742
; %bb.741:                              ;   in Loop: Header=BB701_682 Depth=2
	s_wait_dscnt 0x0
	v_bcnt_u32_b32 v90, v90, v201
	ds_store_b32 v205, v90 offset:1056
.LBB701_742:                            ;   in Loop: Header=BB701_682 Depth=2
	s_or_b32 exec_lo, exec_lo, s15
	v_xor_b32_e32 v73, 0x7fffffff, v73
	v_not_b32_e32 v72, v72
	; wave barrier
	s_delay_alu instid0(VALU_DEP_1) | instskip(NEXT) | instid1(VALU_DEP_1)
	v_lshrrev_b64 v[90:91], s43, v[72:73]
	v_bitop3_b32 v91, v90, 1, s55 bitop3:0x80
	v_and_b32_e32 v92, s55, v90
	s_delay_alu instid0(VALU_DEP_2) | instskip(NEXT) | instid1(VALU_DEP_1)
	v_add_co_u32 v90, s15, v91, -1
	v_cndmask_b32_e64 v91, 0, 1, s15
	s_delay_alu instid0(VALU_DEP_3) | instskip(NEXT) | instid1(VALU_DEP_2)
	v_lshlrev_b32_e32 v93, 30, v92
	v_cmp_ne_u32_e32 vcc_lo, 0, v91
	s_delay_alu instid0(VALU_DEP_2) | instskip(NEXT) | instid1(VALU_DEP_1)
	v_not_b32_e32 v91, v93
	v_dual_ashrrev_i32 v91, 31, v91 :: v_dual_bitop2_b32 v90, vcc_lo, v90 bitop3:0x14
	v_dual_lshlrev_b32 v94, 29, v92 :: v_dual_lshlrev_b32 v95, 28, v92
	v_dual_lshlrev_b32 v96, 27, v92 :: v_dual_lshlrev_b32 v97, 26, v92
	v_lshlrev_b32_e32 v204, 25, v92
	v_cmp_gt_i32_e64 s15, 0, v93
	s_delay_alu instid0(VALU_DEP_4)
	v_cmp_gt_i32_e64 s16, 0, v94
	v_not_b32_e32 v93, v94
	v_not_b32_e32 v94, v95
	v_lshlrev_b32_e32 v206, 24, v92
	v_cmp_gt_i32_e64 s17, 0, v95
	v_cmp_gt_i32_e64 s18, 0, v96
	v_not_b32_e32 v95, v96
	v_not_b32_e32 v96, v97
	v_dual_ashrrev_i32 v93, 31, v93 :: v_dual_ashrrev_i32 v94, 31, v94
	v_xor_b32_e32 v91, s15, v91
	v_cmp_gt_i32_e64 s19, 0, v97
	v_not_b32_e32 v97, v204
	s_delay_alu instid0(VALU_DEP_4) | instskip(SKIP_1) | instid1(VALU_DEP_3)
	v_dual_ashrrev_i32 v95, 31, v95 :: v_dual_bitop2_b32 v93, s16, v93 bitop3:0x14
	v_dual_ashrrev_i32 v96, 31, v96 :: v_dual_bitop2_b32 v94, s17, v94 bitop3:0x14
	v_ashrrev_i32_e32 v97, 31, v97
	v_bitop3_b32 v90, v90, v91, exec_lo bitop3:0x80
	v_not_b32_e32 v91, v206
	v_cmp_gt_i32_e64 s20, 0, v204
	v_xor_b32_e32 v95, s18, v95
	v_xor_b32_e32 v96, s19, v96
	v_bitop3_b32 v90, v90, v94, v93 bitop3:0x80
	v_cmp_gt_i32_e32 vcc_lo, 0, v206
	v_ashrrev_i32_e32 v91, 31, v91
	v_mad_u32_u24 v93, v92, 36, v148
	v_xor_b32_e32 v94, s20, v97
	v_bitop3_b32 v90, v90, v96, v95 bitop3:0x80
	s_delay_alu instid0(VALU_DEP_4) | instskip(SKIP_3) | instid1(VALU_DEP_2)
	v_xor_b32_e32 v91, vcc_lo, v91
	ds_load_b32 v204, v93 offset:1056
	; wave barrier
	v_bitop3_b32 v90, v90, v91, v94 bitop3:0x80
	v_mul_u32_u24_e32 v91, 36, v92
	v_mbcnt_lo_u32_b32 v206, v90, 0
	v_cmp_ne_u32_e64 s15, 0, v90
	s_delay_alu instid0(VALU_DEP_3) | instskip(NEXT) | instid1(VALU_DEP_3)
	v_add_nc_u32_e32 v209, v148, v91
	v_cmp_eq_u32_e32 vcc_lo, 0, v206
	s_and_b32 s16, s15, vcc_lo
	s_delay_alu instid0(SALU_CYCLE_1)
	s_and_saveexec_b32 s15, s16
	s_cbranch_execz .LBB701_744
; %bb.743:                              ;   in Loop: Header=BB701_682 Depth=2
	s_wait_dscnt 0x0
	v_bcnt_u32_b32 v90, v90, v204
	ds_store_b32 v209, v90 offset:1056
.LBB701_744:                            ;   in Loop: Header=BB701_682 Depth=2
	s_or_b32 exec_lo, exec_lo, s15
	v_xor_b32_e32 v69, 0x7fffffff, v69
	v_not_b32_e32 v68, v68
	; wave barrier
	s_delay_alu instid0(VALU_DEP_1) | instskip(NEXT) | instid1(VALU_DEP_1)
	v_lshrrev_b64 v[90:91], s43, v[68:69]
	v_bitop3_b32 v91, v90, 1, s55 bitop3:0x80
	v_and_b32_e32 v92, s55, v90
	s_delay_alu instid0(VALU_DEP_2) | instskip(NEXT) | instid1(VALU_DEP_1)
	v_add_co_u32 v90, s15, v91, -1
	v_cndmask_b32_e64 v91, 0, 1, s15
	s_delay_alu instid0(VALU_DEP_3) | instskip(NEXT) | instid1(VALU_DEP_2)
	v_lshlrev_b32_e32 v93, 30, v92
	v_cmp_ne_u32_e32 vcc_lo, 0, v91
	s_delay_alu instid0(VALU_DEP_2) | instskip(NEXT) | instid1(VALU_DEP_1)
	v_not_b32_e32 v91, v93
	v_dual_ashrrev_i32 v91, 31, v91 :: v_dual_bitop2_b32 v90, vcc_lo, v90 bitop3:0x14
	v_dual_lshlrev_b32 v94, 29, v92 :: v_dual_lshlrev_b32 v95, 28, v92
	v_dual_lshlrev_b32 v96, 27, v92 :: v_dual_lshlrev_b32 v97, 26, v92
	v_lshlrev_b32_e32 v207, 25, v92
	v_cmp_gt_i32_e64 s15, 0, v93
	s_delay_alu instid0(VALU_DEP_4)
	v_cmp_gt_i32_e64 s16, 0, v94
	v_not_b32_e32 v93, v94
	v_not_b32_e32 v94, v95
	v_lshlrev_b32_e32 v208, 24, v92
	v_cmp_gt_i32_e64 s17, 0, v95
	v_cmp_gt_i32_e64 s18, 0, v96
	v_not_b32_e32 v95, v96
	v_not_b32_e32 v96, v97
	v_dual_ashrrev_i32 v93, 31, v93 :: v_dual_ashrrev_i32 v94, 31, v94
	v_xor_b32_e32 v91, s15, v91
	v_cmp_gt_i32_e64 s19, 0, v97
	v_not_b32_e32 v97, v207
	s_delay_alu instid0(VALU_DEP_4) | instskip(SKIP_1) | instid1(VALU_DEP_3)
	v_dual_ashrrev_i32 v95, 31, v95 :: v_dual_bitop2_b32 v93, s16, v93 bitop3:0x14
	v_dual_ashrrev_i32 v96, 31, v96 :: v_dual_bitop2_b32 v94, s17, v94 bitop3:0x14
	v_ashrrev_i32_e32 v97, 31, v97
	v_bitop3_b32 v90, v90, v91, exec_lo bitop3:0x80
	v_not_b32_e32 v91, v208
	v_cmp_gt_i32_e64 s20, 0, v207
	v_xor_b32_e32 v95, s18, v95
	v_xor_b32_e32 v96, s19, v96
	v_bitop3_b32 v90, v90, v94, v93 bitop3:0x80
	v_cmp_gt_i32_e32 vcc_lo, 0, v208
	v_ashrrev_i32_e32 v91, 31, v91
	v_mad_u32_u24 v93, v92, 36, v148
	v_xor_b32_e32 v94, s20, v97
	v_bitop3_b32 v90, v90, v96, v95 bitop3:0x80
	s_delay_alu instid0(VALU_DEP_4) | instskip(SKIP_3) | instid1(VALU_DEP_2)
	v_xor_b32_e32 v91, vcc_lo, v91
	ds_load_b32 v207, v93 offset:1056
	; wave barrier
	v_bitop3_b32 v90, v90, v91, v94 bitop3:0x80
	v_mul_u32_u24_e32 v91, 36, v92
	v_mbcnt_lo_u32_b32 v208, v90, 0
	v_cmp_ne_u32_e64 s15, 0, v90
	s_delay_alu instid0(VALU_DEP_3) | instskip(NEXT) | instid1(VALU_DEP_3)
	v_add_nc_u32_e32 v212, v148, v91
	v_cmp_eq_u32_e32 vcc_lo, 0, v208
	s_and_b32 s16, s15, vcc_lo
	s_delay_alu instid0(SALU_CYCLE_1)
	s_and_saveexec_b32 s15, s16
	s_cbranch_execz .LBB701_746
; %bb.745:                              ;   in Loop: Header=BB701_682 Depth=2
	s_wait_dscnt 0x0
	v_bcnt_u32_b32 v90, v90, v207
	ds_store_b32 v212, v90 offset:1056
.LBB701_746:                            ;   in Loop: Header=BB701_682 Depth=2
	s_or_b32 exec_lo, exec_lo, s15
	v_xor_b32_e32 v67, 0x7fffffff, v67
	v_not_b32_e32 v66, v66
	; wave barrier
	s_delay_alu instid0(VALU_DEP_1) | instskip(NEXT) | instid1(VALU_DEP_1)
	v_lshrrev_b64 v[90:91], s43, v[66:67]
	v_bitop3_b32 v91, v90, 1, s55 bitop3:0x80
	v_and_b32_e32 v92, s55, v90
	s_delay_alu instid0(VALU_DEP_2) | instskip(NEXT) | instid1(VALU_DEP_1)
	v_add_co_u32 v90, s15, v91, -1
	v_cndmask_b32_e64 v91, 0, 1, s15
	s_delay_alu instid0(VALU_DEP_3) | instskip(NEXT) | instid1(VALU_DEP_2)
	v_lshlrev_b32_e32 v93, 30, v92
	v_cmp_ne_u32_e32 vcc_lo, 0, v91
	s_delay_alu instid0(VALU_DEP_2) | instskip(NEXT) | instid1(VALU_DEP_1)
	v_not_b32_e32 v91, v93
	v_dual_ashrrev_i32 v91, 31, v91 :: v_dual_bitop2_b32 v90, vcc_lo, v90 bitop3:0x14
	v_dual_lshlrev_b32 v94, 29, v92 :: v_dual_lshlrev_b32 v95, 28, v92
	v_dual_lshlrev_b32 v96, 27, v92 :: v_dual_lshlrev_b32 v97, 26, v92
	v_lshlrev_b32_e32 v210, 25, v92
	v_cmp_gt_i32_e64 s15, 0, v93
	s_delay_alu instid0(VALU_DEP_4)
	v_cmp_gt_i32_e64 s16, 0, v94
	v_not_b32_e32 v93, v94
	v_not_b32_e32 v94, v95
	v_lshlrev_b32_e32 v211, 24, v92
	v_cmp_gt_i32_e64 s17, 0, v95
	v_cmp_gt_i32_e64 s18, 0, v96
	v_not_b32_e32 v95, v96
	v_not_b32_e32 v96, v97
	v_dual_ashrrev_i32 v93, 31, v93 :: v_dual_ashrrev_i32 v94, 31, v94
	v_xor_b32_e32 v91, s15, v91
	v_cmp_gt_i32_e64 s19, 0, v97
	v_not_b32_e32 v97, v210
	s_delay_alu instid0(VALU_DEP_4) | instskip(SKIP_1) | instid1(VALU_DEP_3)
	v_dual_ashrrev_i32 v95, 31, v95 :: v_dual_bitop2_b32 v93, s16, v93 bitop3:0x14
	v_dual_ashrrev_i32 v96, 31, v96 :: v_dual_bitop2_b32 v94, s17, v94 bitop3:0x14
	v_ashrrev_i32_e32 v97, 31, v97
	v_bitop3_b32 v90, v90, v91, exec_lo bitop3:0x80
	v_not_b32_e32 v91, v211
	v_cmp_gt_i32_e64 s20, 0, v210
	v_xor_b32_e32 v95, s18, v95
	v_xor_b32_e32 v96, s19, v96
	v_bitop3_b32 v90, v90, v94, v93 bitop3:0x80
	v_cmp_gt_i32_e32 vcc_lo, 0, v211
	v_ashrrev_i32_e32 v91, 31, v91
	v_mad_u32_u24 v93, v92, 36, v148
	v_xor_b32_e32 v94, s20, v97
	v_bitop3_b32 v90, v90, v96, v95 bitop3:0x80
	s_delay_alu instid0(VALU_DEP_4) | instskip(SKIP_3) | instid1(VALU_DEP_2)
	v_xor_b32_e32 v91, vcc_lo, v91
	ds_load_b32 v210, v93 offset:1056
	; wave barrier
	v_bitop3_b32 v90, v90, v91, v94 bitop3:0x80
	v_mul_u32_u24_e32 v91, 36, v92
	v_mbcnt_lo_u32_b32 v211, v90, 0
	v_cmp_ne_u32_e64 s15, 0, v90
	s_delay_alu instid0(VALU_DEP_3) | instskip(NEXT) | instid1(VALU_DEP_3)
	v_add_nc_u32_e32 v215, v148, v91
	v_cmp_eq_u32_e32 vcc_lo, 0, v211
	s_and_b32 s16, s15, vcc_lo
	s_delay_alu instid0(SALU_CYCLE_1)
	s_and_saveexec_b32 s15, s16
	s_cbranch_execz .LBB701_748
; %bb.747:                              ;   in Loop: Header=BB701_682 Depth=2
	s_wait_dscnt 0x0
	v_bcnt_u32_b32 v90, v90, v210
	ds_store_b32 v215, v90 offset:1056
.LBB701_748:                            ;   in Loop: Header=BB701_682 Depth=2
	s_or_b32 exec_lo, exec_lo, s15
	v_lshrrev_b64 v[90:91], s43, v[58:59]
	; wave barrier
	s_delay_alu instid0(VALU_DEP_1) | instskip(SKIP_1) | instid1(VALU_DEP_2)
	v_bitop3_b32 v91, v90, 1, s55 bitop3:0x80
	v_and_b32_e32 v92, s55, v90
	v_add_co_u32 v90, s15, v91, -1
	s_delay_alu instid0(VALU_DEP_1) | instskip(NEXT) | instid1(VALU_DEP_3)
	v_cndmask_b32_e64 v91, 0, 1, s15
	v_lshlrev_b32_e32 v93, 30, v92
	s_delay_alu instid0(VALU_DEP_2) | instskip(NEXT) | instid1(VALU_DEP_2)
	v_cmp_ne_u32_e32 vcc_lo, 0, v91
	v_not_b32_e32 v91, v93
	s_delay_alu instid0(VALU_DEP_1) | instskip(SKIP_4) | instid1(VALU_DEP_4)
	v_dual_ashrrev_i32 v91, 31, v91 :: v_dual_bitop2_b32 v90, vcc_lo, v90 bitop3:0x14
	v_dual_lshlrev_b32 v94, 29, v92 :: v_dual_lshlrev_b32 v95, 28, v92
	v_dual_lshlrev_b32 v96, 27, v92 :: v_dual_lshlrev_b32 v97, 26, v92
	v_lshlrev_b32_e32 v213, 25, v92
	v_cmp_gt_i32_e64 s15, 0, v93
	v_cmp_gt_i32_e64 s16, 0, v94
	v_not_b32_e32 v93, v94
	v_not_b32_e32 v94, v95
	v_lshlrev_b32_e32 v214, 24, v92
	v_cmp_gt_i32_e64 s17, 0, v95
	v_cmp_gt_i32_e64 s18, 0, v96
	v_not_b32_e32 v95, v96
	v_dual_ashrrev_i32 v93, 31, v93 :: v_dual_ashrrev_i32 v94, 31, v94
	v_xor_b32_e32 v91, s15, v91
	v_not_b32_e32 v96, v97
	v_cmp_gt_i32_e64 s19, 0, v97
	s_delay_alu instid0(VALU_DEP_4)
	v_dual_ashrrev_i32 v95, 31, v95 :: v_dual_bitop2_b32 v93, s16, v93 bitop3:0x14
	v_xor_b32_e32 v94, s17, v94
	v_bitop3_b32 v90, v90, v91, exec_lo bitop3:0x80
	v_ashrrev_i32_e32 v91, 31, v96
	v_not_b32_e32 v96, v213
	v_not_b32_e32 v97, v214
	v_xor_b32_e32 v95, s18, v95
	v_bitop3_b32 v90, v90, v94, v93 bitop3:0x80
	v_xor_b32_e32 v91, s19, v91
	v_cmp_gt_i32_e32 vcc_lo, 0, v213
	v_ashrrev_i32_e32 v93, 31, v96
	v_cmp_gt_i32_e64 s15, 0, v214
	v_ashrrev_i32_e32 v94, 31, v97
	v_mad_u32_u24 v96, v92, 36, v148
	v_bitop3_b32 v90, v90, v91, v95 bitop3:0x80
	v_xor_b32_e32 v91, vcc_lo, v93
	s_delay_alu instid0(VALU_DEP_4) | instskip(SKIP_3) | instid1(VALU_DEP_2)
	v_xor_b32_e32 v93, s15, v94
	ds_load_b32 v213, v96 offset:1056
	; wave barrier
	v_bitop3_b32 v90, v90, v93, v91 bitop3:0x80
	v_mul_u32_u24_e32 v91, 36, v92
	v_mbcnt_lo_u32_b32 v214, v90, 0
	v_cmp_ne_u32_e64 s15, 0, v90
	s_delay_alu instid0(VALU_DEP_3) | instskip(NEXT) | instid1(VALU_DEP_3)
	v_add_nc_u32_e32 v216, v148, v91
	v_cmp_eq_u32_e32 vcc_lo, 0, v214
	s_and_b32 s16, s15, vcc_lo
	s_delay_alu instid0(SALU_CYCLE_1)
	s_and_saveexec_b32 s15, s16
	s_cbranch_execz .LBB701_750
; %bb.749:                              ;   in Loop: Header=BB701_682 Depth=2
	s_wait_dscnt 0x0
	v_bcnt_u32_b32 v90, v90, v213
	ds_store_b32 v216, v90 offset:1056
.LBB701_750:                            ;   in Loop: Header=BB701_682 Depth=2
	s_or_b32 exec_lo, exec_lo, s15
	; wave barrier
	s_wait_dscnt 0x0
	s_barrier_signal -1
	s_barrier_wait -1
	ds_load_2addr_b32 v[96:97], v168 offset1:1
	ds_load_2addr_b32 v[94:95], v169 offset1:1
	;; [unrolled: 1-line block ×4, first 2 shown]
	ds_load_b32 v217, v120 offset:1088
	s_wait_dscnt 0x3
	v_add3_u32 v218, v97, v96, v94
	s_wait_dscnt 0x2
	s_delay_alu instid0(VALU_DEP_1) | instskip(SKIP_1) | instid1(VALU_DEP_1)
	v_add3_u32 v218, v218, v95, v92
	s_wait_dscnt 0x1
	v_add3_u32 v218, v218, v93, v90
	s_wait_dscnt 0x0
	s_delay_alu instid0(VALU_DEP_1) | instskip(NEXT) | instid1(VALU_DEP_1)
	v_add3_u32 v217, v218, v91, v217
	v_mov_b32_dpp v218, v217 row_shr:1 row_mask:0xf bank_mask:0xf
	s_delay_alu instid0(VALU_DEP_1) | instskip(NEXT) | instid1(VALU_DEP_1)
	v_cndmask_b32_e64 v218, v218, 0, s7
	v_add_nc_u32_e32 v217, v218, v217
	s_delay_alu instid0(VALU_DEP_1) | instskip(NEXT) | instid1(VALU_DEP_1)
	v_mov_b32_dpp v218, v217 row_shr:2 row_mask:0xf bank_mask:0xf
	v_cndmask_b32_e64 v218, 0, v218, s8
	s_delay_alu instid0(VALU_DEP_1) | instskip(NEXT) | instid1(VALU_DEP_1)
	v_add_nc_u32_e32 v217, v217, v218
	v_mov_b32_dpp v218, v217 row_shr:4 row_mask:0xf bank_mask:0xf
	s_delay_alu instid0(VALU_DEP_1) | instskip(NEXT) | instid1(VALU_DEP_1)
	v_cndmask_b32_e64 v218, 0, v218, s9
	v_add_nc_u32_e32 v217, v217, v218
	s_delay_alu instid0(VALU_DEP_1) | instskip(NEXT) | instid1(VALU_DEP_1)
	v_mov_b32_dpp v218, v217 row_shr:8 row_mask:0xf bank_mask:0xf
	v_cndmask_b32_e64 v218, 0, v218, s10
	s_delay_alu instid0(VALU_DEP_1) | instskip(SKIP_3) | instid1(VALU_DEP_1)
	v_add_nc_u32_e32 v217, v217, v218
	ds_swizzle_b32 v218, v217 offset:swizzle(BROADCAST,32,15)
	s_wait_dscnt 0x0
	v_cndmask_b32_e64 v218, v218, 0, s11
	v_add_nc_u32_e32 v217, v217, v218
	s_and_saveexec_b32 s15, s1
; %bb.751:                              ;   in Loop: Header=BB701_682 Depth=2
	ds_store_b32 v114, v217 offset:1024
; %bb.752:                              ;   in Loop: Header=BB701_682 Depth=2
	s_or_b32 exec_lo, exec_lo, s15
	s_wait_dscnt 0x0
	s_barrier_signal -1
	s_barrier_wait -1
	s_and_saveexec_b32 s15, s4
	s_cbranch_execz .LBB701_754
; %bb.753:                              ;   in Loop: Header=BB701_682 Depth=2
	ds_load_b32 v218, v122 offset:1024
	s_wait_dscnt 0x0
	v_mov_b32_dpp v219, v218 row_shr:1 row_mask:0xf bank_mask:0xf
	s_delay_alu instid0(VALU_DEP_1) | instskip(NEXT) | instid1(VALU_DEP_1)
	v_cndmask_b32_e64 v219, v219, 0, s12
	v_add_nc_u32_e32 v218, v219, v218
	s_delay_alu instid0(VALU_DEP_1) | instskip(NEXT) | instid1(VALU_DEP_1)
	v_mov_b32_dpp v219, v218 row_shr:2 row_mask:0xf bank_mask:0xf
	v_cndmask_b32_e64 v219, 0, v219, s13
	s_delay_alu instid0(VALU_DEP_1) | instskip(NEXT) | instid1(VALU_DEP_1)
	v_add_nc_u32_e32 v218, v218, v219
	v_mov_b32_dpp v219, v218 row_shr:4 row_mask:0xf bank_mask:0xf
	s_delay_alu instid0(VALU_DEP_1) | instskip(NEXT) | instid1(VALU_DEP_1)
	v_cndmask_b32_e64 v219, 0, v219, s14
	v_add_nc_u32_e32 v218, v218, v219
	ds_store_b32 v122, v218 offset:1024
.LBB701_754:                            ;   in Loop: Header=BB701_682 Depth=2
	s_or_b32 exec_lo, exec_lo, s15
	v_mov_b32_e32 v218, 0
	s_wait_dscnt 0x0
	s_barrier_signal -1
	s_barrier_wait -1
	s_and_saveexec_b32 s15, s5
; %bb.755:                              ;   in Loop: Header=BB701_682 Depth=2
	ds_load_b32 v218, v114 offset:1020
; %bb.756:                              ;   in Loop: Header=BB701_682 Depth=2
	s_or_b32 exec_lo, exec_lo, s15
	s_wait_dscnt 0x0
	v_add_nc_u32_e32 v217, v218, v217
	ds_bpermute_b32 v217, v147, v217
	s_wait_dscnt 0x0
	v_cndmask_b32_e64 v217, v217, v218, s6
	s_delay_alu instid0(VALU_DEP_1) | instskip(NEXT) | instid1(VALU_DEP_1)
	v_cndmask_b32_e64 v217, v217, 0, s2
	v_add_nc_u32_e32 v96, v217, v96
	s_delay_alu instid0(VALU_DEP_1) | instskip(NEXT) | instid1(VALU_DEP_1)
	v_add_nc_u32_e32 v97, v96, v97
	v_add_nc_u32_e32 v94, v97, v94
	s_delay_alu instid0(VALU_DEP_1) | instskip(NEXT) | instid1(VALU_DEP_1)
	v_add_nc_u32_e32 v95, v94, v95
	;; [unrolled: 3-line block ×3, first 2 shown]
	v_add_nc_u32_e32 v90, v93, v90
	s_delay_alu instid0(VALU_DEP_1)
	v_add_nc_u32_e32 v91, v90, v91
	ds_store_2addr_b32 v167, v93, v90 offset1:1
	ds_store_2addr_b32 v168, v217, v96 offset1:1
	;; [unrolled: 1-line block ×4, first 2 shown]
	ds_store_b32 v120, v91 offset:1088
	s_wait_dscnt 0x0
	s_barrier_signal -1
	s_barrier_wait -1
	ds_load_b32 v91, v171 offset:1056
	ds_load_b32 v218, v174 offset:1056
	;; [unrolled: 1-line block ×17, first 2 shown]
	v_mov_b32_e32 v90, 0x1000
	s_and_saveexec_b32 s15, s3
; %bb.757:                              ;   in Loop: Header=BB701_682 Depth=2
	ds_load_b32 v90, v120 offset:1092
; %bb.758:                              ;   in Loop: Header=BB701_682 Depth=2
	s_or_b32 exec_lo, exec_lo, s15
	s_wait_dscnt 0x0
	s_barrier_signal -1
	s_barrier_wait -1
	s_and_saveexec_b32 s15, s0
	s_cbranch_execz .LBB701_760
; %bb.759:                              ;   in Loop: Header=BB701_682 Depth=2
	ds_load_b32 v183, v3
	s_wait_dscnt 0x0
	v_sub_nc_u32_e32 v180, v183, v180
	ds_store_b32 v3, v180
.LBB701_760:                            ;   in Loop: Header=BB701_682 Depth=2
	s_or_b32 exec_lo, exec_lo, s15
	v_dual_lshlrev_b32 v166, 3, v166 :: v_dual_lshlrev_b32 v173, 3, v173
	v_dual_lshlrev_b32 v172, 3, v172 :: v_dual_lshlrev_b32 v180, 3, v218
	v_lshlrev_b32_e32 v176, 3, v176
	s_delay_alu instid0(VALU_DEP_3)
	v_lshl_add_u32 v91, v91, 3, v166
	v_dual_lshlrev_b32 v166, 3, v175 :: v_dual_lshlrev_b32 v175, 3, v217
	v_dual_lshlrev_b32 v179, 3, v179 :: v_dual_lshlrev_b32 v178, 3, v178
	;; [unrolled: 1-line block ×5, first 2 shown]
	v_lshlrev_b32_e32 v185, 3, v92
	ds_store_b64 v91, v[60:61] offset:1024
	v_add3_u32 v60, v173, v172, v180
	v_add3_u32 v61, v176, v166, v175
	;; [unrolled: 1-line block ×5, first 2 shown]
	ds_store_b64 v60, v[62:63] offset:1024
	ds_store_b64 v61, v[64:65] offset:1024
	;; [unrolled: 1-line block ×5, first 2 shown]
	v_dual_lshlrev_b32 v62, 3, v188 :: v_dual_lshlrev_b32 v65, 3, v191
	v_dual_lshlrev_b32 v63, 3, v187 :: v_dual_lshlrev_b32 v64, 3, v177
	;; [unrolled: 1-line block ×7, first 2 shown]
	v_lshlrev_b32_e32 v169, 3, v169
	v_add3_u32 v62, v62, v63, v64
	v_add3_u32 v63, v65, v70, v71
	;; [unrolled: 1-line block ×4, first 2 shown]
	v_lshlrev_b32_e32 v71, 3, v203
	v_add3_u32 v70, v171, v172, v169
	ds_store_b64 v62, v[82:83] offset:1024
	ds_store_b64 v63, v[86:87] offset:1024
	;; [unrolled: 1-line block ×5, first 2 shown]
	v_dual_lshlrev_b32 v74, 3, v201 :: v_dual_lshlrev_b32 v75, 3, v168
	v_dual_lshlrev_b32 v78, 3, v206 :: v_dual_lshlrev_b32 v79, 3, v204
	;; [unrolled: 1-line block ×7, first 2 shown]
	v_add3_u32 v71, v71, v74, v75
	v_add3_u32 v74, v78, v79, v80
	v_add3_u32 v75, v81, v82, v83
	v_add3_u32 v78, v84, v85, v86
	v_add3_u32 v79, v87, v88, v89
	v_cmp_lt_u32_e32 vcc_lo, v2, v165
	ds_store_b64 v71, v[76:77] offset:1024
	ds_store_b64 v74, v[72:73] offset:1024
	;; [unrolled: 1-line block ×5, first 2 shown]
	s_wait_dscnt 0x0
	s_barrier_signal -1
	s_barrier_wait -1
	s_and_saveexec_b32 s15, vcc_lo
	s_cbranch_execnz .LBB701_829
; %bb.761:                              ;   in Loop: Header=BB701_682 Depth=2
	s_or_b32 exec_lo, exec_lo, s15
	v_cmp_lt_u32_e64 s15, v98, v165
	s_and_saveexec_b32 s16, s15
	s_cbranch_execnz .LBB701_830
.LBB701_762:                            ;   in Loop: Header=BB701_682 Depth=2
	s_or_b32 exec_lo, exec_lo, s16
	v_cmp_lt_u32_e64 s16, v99, v165
	s_and_saveexec_b32 s17, s16
	s_cbranch_execnz .LBB701_831
.LBB701_763:                            ;   in Loop: Header=BB701_682 Depth=2
	s_or_b32 exec_lo, exec_lo, s17
	v_cmp_lt_u32_e64 s17, v100, v165
	s_and_saveexec_b32 s18, s17
	s_cbranch_execnz .LBB701_832
.LBB701_764:                            ;   in Loop: Header=BB701_682 Depth=2
	s_or_b32 exec_lo, exec_lo, s18
	v_cmp_lt_u32_e64 s18, v101, v165
	s_and_saveexec_b32 s19, s18
	s_cbranch_execnz .LBB701_833
.LBB701_765:                            ;   in Loop: Header=BB701_682 Depth=2
	s_or_b32 exec_lo, exec_lo, s19
	v_cmp_lt_u32_e64 s19, v102, v165
	s_and_saveexec_b32 s20, s19
	s_cbranch_execnz .LBB701_834
.LBB701_766:                            ;   in Loop: Header=BB701_682 Depth=2
	s_or_b32 exec_lo, exec_lo, s20
	v_cmp_lt_u32_e64 s20, v103, v165
	s_and_saveexec_b32 s21, s20
	s_cbranch_execnz .LBB701_835
.LBB701_767:                            ;   in Loop: Header=BB701_682 Depth=2
	s_or_b32 exec_lo, exec_lo, s21
	v_cmp_lt_u32_e64 s21, v104, v165
	s_and_saveexec_b32 s22, s21
	s_cbranch_execnz .LBB701_836
.LBB701_768:                            ;   in Loop: Header=BB701_682 Depth=2
	s_or_b32 exec_lo, exec_lo, s22
	v_cmp_lt_u32_e64 s22, v105, v165
	s_and_saveexec_b32 s23, s22
	s_cbranch_execnz .LBB701_837
.LBB701_769:                            ;   in Loop: Header=BB701_682 Depth=2
	s_or_b32 exec_lo, exec_lo, s23
	v_cmp_lt_u32_e64 s23, v106, v165
	s_and_saveexec_b32 s24, s23
	s_cbranch_execnz .LBB701_838
.LBB701_770:                            ;   in Loop: Header=BB701_682 Depth=2
	s_or_b32 exec_lo, exec_lo, s24
	v_cmp_lt_u32_e64 s24, v107, v165
	s_and_saveexec_b32 s25, s24
	s_cbranch_execnz .LBB701_839
.LBB701_771:                            ;   in Loop: Header=BB701_682 Depth=2
	s_or_b32 exec_lo, exec_lo, s25
	v_cmp_lt_u32_e64 s25, v108, v165
	s_and_saveexec_b32 s26, s25
	s_cbranch_execnz .LBB701_840
.LBB701_772:                            ;   in Loop: Header=BB701_682 Depth=2
	s_or_b32 exec_lo, exec_lo, s26
	v_cmp_lt_u32_e64 s26, v109, v165
	s_and_saveexec_b32 s27, s26
	s_cbranch_execnz .LBB701_841
.LBB701_773:                            ;   in Loop: Header=BB701_682 Depth=2
	s_or_b32 exec_lo, exec_lo, s27
	v_cmp_lt_u32_e64 s27, v110, v165
	s_and_saveexec_b32 s28, s27
	s_cbranch_execnz .LBB701_842
.LBB701_774:                            ;   in Loop: Header=BB701_682 Depth=2
	s_or_b32 exec_lo, exec_lo, s28
	v_cmp_lt_u32_e64 s28, v111, v165
	s_and_saveexec_b32 s29, s28
	s_cbranch_execnz .LBB701_843
.LBB701_775:                            ;   in Loop: Header=BB701_682 Depth=2
	s_or_b32 exec_lo, exec_lo, s29
	v_cmp_lt_u32_e64 s29, v112, v165
	s_and_saveexec_b32 s58, s29
	s_cbranch_execz .LBB701_777
.LBB701_776:                            ;   in Loop: Header=BB701_682 Depth=2
	ds_load_b64 v[58:59], v123 offset:31744
	s_wait_dscnt 0x0
	v_lshrrev_b64 v[66:67], s43, v[58:59]
	v_xor_b32_e32 v59, 0x7fffffff, v59
	v_not_b32_e32 v58, v58
	s_delay_alu instid0(VALU_DEP_3) | instskip(NEXT) | instid1(VALU_DEP_1)
	v_and_b32_e32 v66, s55, v66
	v_lshlrev_b32_e32 v66, 2, v66
	ds_load_b32 v66, v66
	s_wait_dscnt 0x0
	v_add_nc_u32_e32 v66, v66, v112
	global_store_b64 v66, v[58:59], s[38:39] scale_offset
.LBB701_777:                            ;   in Loop: Header=BB701_682 Depth=2
	s_wait_xcnt 0x0
	s_or_b32 exec_lo, exec_lo, s58
	v_lshl_add_u64 v[58:59], s[30:31], 3, v[22:23]
	v_cmp_lt_u32_e64 s30, v129, v165
	s_and_saveexec_b32 s58, s30
	s_delay_alu instid0(SALU_CYCLE_1)
	s_xor_b32 s30, exec_lo, s58
	s_cbranch_execnz .LBB701_844
; %bb.778:                              ;   in Loop: Header=BB701_682 Depth=2
	s_or_b32 exec_lo, exec_lo, s30
	s_delay_alu instid0(SALU_CYCLE_1)
	s_mov_b32 s58, exec_lo
	v_cmpx_lt_u32_e64 v132, v165
	s_cbranch_execnz .LBB701_845
.LBB701_779:                            ;   in Loop: Header=BB701_682 Depth=2
	s_or_b32 exec_lo, exec_lo, s58
	s_delay_alu instid0(SALU_CYCLE_1)
	s_mov_b32 s58, exec_lo
	v_cmpx_lt_u32_e64 v133, v165
	s_cbranch_execnz .LBB701_846
.LBB701_780:                            ;   in Loop: Header=BB701_682 Depth=2
	s_or_b32 exec_lo, exec_lo, s58
	s_delay_alu instid0(SALU_CYCLE_1)
	s_mov_b32 s58, exec_lo
	v_cmpx_lt_u32_e64 v134, v165
	s_cbranch_execnz .LBB701_847
.LBB701_781:                            ;   in Loop: Header=BB701_682 Depth=2
	s_or_b32 exec_lo, exec_lo, s58
	s_delay_alu instid0(SALU_CYCLE_1)
	s_mov_b32 s58, exec_lo
	v_cmpx_lt_u32_e64 v135, v165
	s_cbranch_execnz .LBB701_848
.LBB701_782:                            ;   in Loop: Header=BB701_682 Depth=2
	s_or_b32 exec_lo, exec_lo, s58
	s_delay_alu instid0(SALU_CYCLE_1)
	s_mov_b32 s58, exec_lo
	v_cmpx_lt_u32_e64 v136, v165
	s_cbranch_execnz .LBB701_849
.LBB701_783:                            ;   in Loop: Header=BB701_682 Depth=2
	s_or_b32 exec_lo, exec_lo, s58
	s_delay_alu instid0(SALU_CYCLE_1)
	s_mov_b32 s58, exec_lo
	v_cmpx_lt_u32_e64 v137, v165
	s_cbranch_execnz .LBB701_850
.LBB701_784:                            ;   in Loop: Header=BB701_682 Depth=2
	s_or_b32 exec_lo, exec_lo, s58
	s_delay_alu instid0(SALU_CYCLE_1)
	s_mov_b32 s58, exec_lo
	v_cmpx_lt_u32_e64 v138, v165
	s_cbranch_execnz .LBB701_851
.LBB701_785:                            ;   in Loop: Header=BB701_682 Depth=2
	s_or_b32 exec_lo, exec_lo, s58
	s_delay_alu instid0(SALU_CYCLE_1)
	s_mov_b32 s58, exec_lo
	v_cmpx_lt_u32_e64 v139, v165
	s_cbranch_execnz .LBB701_852
.LBB701_786:                            ;   in Loop: Header=BB701_682 Depth=2
	s_or_b32 exec_lo, exec_lo, s58
	s_delay_alu instid0(SALU_CYCLE_1)
	s_mov_b32 s58, exec_lo
	v_cmpx_lt_u32_e64 v140, v165
	s_cbranch_execnz .LBB701_853
.LBB701_787:                            ;   in Loop: Header=BB701_682 Depth=2
	s_or_b32 exec_lo, exec_lo, s58
	s_delay_alu instid0(SALU_CYCLE_1)
	s_mov_b32 s58, exec_lo
	v_cmpx_lt_u32_e64 v141, v165
	s_cbranch_execnz .LBB701_854
.LBB701_788:                            ;   in Loop: Header=BB701_682 Depth=2
	s_or_b32 exec_lo, exec_lo, s58
	s_delay_alu instid0(SALU_CYCLE_1)
	s_mov_b32 s58, exec_lo
	v_cmpx_lt_u32_e64 v142, v165
	s_cbranch_execnz .LBB701_855
.LBB701_789:                            ;   in Loop: Header=BB701_682 Depth=2
	s_or_b32 exec_lo, exec_lo, s58
	s_delay_alu instid0(SALU_CYCLE_1)
	s_mov_b32 s58, exec_lo
	v_cmpx_lt_u32_e64 v143, v165
	s_cbranch_execnz .LBB701_856
.LBB701_790:                            ;   in Loop: Header=BB701_682 Depth=2
	s_or_b32 exec_lo, exec_lo, s58
	s_delay_alu instid0(SALU_CYCLE_1)
	s_mov_b32 s58, exec_lo
	v_cmpx_lt_u32_e64 v144, v165
	s_cbranch_execnz .LBB701_857
.LBB701_791:                            ;   in Loop: Header=BB701_682 Depth=2
	s_or_b32 exec_lo, exec_lo, s58
	s_delay_alu instid0(SALU_CYCLE_1)
	s_mov_b32 s58, exec_lo
	v_cmpx_lt_u32_e64 v145, v165
	s_cbranch_execnz .LBB701_858
.LBB701_792:                            ;   in Loop: Header=BB701_682 Depth=2
	s_or_b32 exec_lo, exec_lo, s58
	s_delay_alu instid0(SALU_CYCLE_1)
	s_mov_b32 s58, exec_lo
	v_cmpx_lt_u32_e64 v146, v165
	s_cbranch_execnz .LBB701_859
.LBB701_793:                            ;   in Loop: Header=BB701_682 Depth=2
	s_or_b32 exec_lo, exec_lo, s58
	s_and_saveexec_b32 s30, vcc_lo
	s_cbranch_execnz .LBB701_860
.LBB701_794:                            ;   in Loop: Header=BB701_682 Depth=2
	s_or_b32 exec_lo, exec_lo, s30
	s_and_saveexec_b32 s30, s15
	s_cbranch_execnz .LBB701_861
.LBB701_795:                            ;   in Loop: Header=BB701_682 Depth=2
	s_or_b32 exec_lo, exec_lo, s30
	s_and_saveexec_b32 s30, s16
	s_cbranch_execnz .LBB701_862
.LBB701_796:                            ;   in Loop: Header=BB701_682 Depth=2
	s_or_b32 exec_lo, exec_lo, s30
	s_and_saveexec_b32 s30, s17
	s_cbranch_execnz .LBB701_863
.LBB701_797:                            ;   in Loop: Header=BB701_682 Depth=2
	s_or_b32 exec_lo, exec_lo, s30
	s_and_saveexec_b32 s30, s18
	s_cbranch_execnz .LBB701_864
.LBB701_798:                            ;   in Loop: Header=BB701_682 Depth=2
	s_or_b32 exec_lo, exec_lo, s30
	s_and_saveexec_b32 s30, s19
	s_cbranch_execnz .LBB701_865
.LBB701_799:                            ;   in Loop: Header=BB701_682 Depth=2
	s_or_b32 exec_lo, exec_lo, s30
	s_and_saveexec_b32 s30, s20
	s_cbranch_execnz .LBB701_866
.LBB701_800:                            ;   in Loop: Header=BB701_682 Depth=2
	s_or_b32 exec_lo, exec_lo, s30
	s_and_saveexec_b32 s30, s21
	s_cbranch_execnz .LBB701_867
.LBB701_801:                            ;   in Loop: Header=BB701_682 Depth=2
	s_or_b32 exec_lo, exec_lo, s30
	s_and_saveexec_b32 s30, s22
	s_cbranch_execnz .LBB701_868
.LBB701_802:                            ;   in Loop: Header=BB701_682 Depth=2
	s_or_b32 exec_lo, exec_lo, s30
	s_and_saveexec_b32 s30, s23
	s_cbranch_execnz .LBB701_869
.LBB701_803:                            ;   in Loop: Header=BB701_682 Depth=2
	s_or_b32 exec_lo, exec_lo, s30
	s_and_saveexec_b32 s30, s24
	s_cbranch_execnz .LBB701_870
.LBB701_804:                            ;   in Loop: Header=BB701_682 Depth=2
	s_or_b32 exec_lo, exec_lo, s30
	s_and_saveexec_b32 s30, s25
	s_cbranch_execnz .LBB701_871
.LBB701_805:                            ;   in Loop: Header=BB701_682 Depth=2
	s_or_b32 exec_lo, exec_lo, s30
	s_and_saveexec_b32 s30, s26
	s_cbranch_execnz .LBB701_872
.LBB701_806:                            ;   in Loop: Header=BB701_682 Depth=2
	s_or_b32 exec_lo, exec_lo, s30
	s_and_saveexec_b32 s30, s27
	s_cbranch_execnz .LBB701_873
.LBB701_807:                            ;   in Loop: Header=BB701_682 Depth=2
	s_or_b32 exec_lo, exec_lo, s30
	s_and_saveexec_b32 s30, s28
	s_cbranch_execnz .LBB701_874
.LBB701_808:                            ;   in Loop: Header=BB701_682 Depth=2
	s_or_b32 exec_lo, exec_lo, s30
	s_and_saveexec_b32 s30, s29
	s_cbranch_execz .LBB701_810
.LBB701_809:                            ;   in Loop: Header=BB701_682 Depth=2
	ds_load_b64 v[58:59], v123 offset:31744
	s_wait_dscnt 0x0
	v_lshrrev_b64 v[58:59], s43, v[58:59]
	s_delay_alu instid0(VALU_DEP_1)
	v_and_b32_e32 v149, s55, v58
.LBB701_810:                            ;   in Loop: Header=BB701_682 Depth=2
	s_or_b32 exec_lo, exec_lo, s30
	s_wait_loadcnt 0x0
	s_wait_storecnt 0x0
	s_barrier_signal -1
	s_barrier_wait -1
	ds_store_b64 v91, v[56:57] offset:1024
	ds_store_b64 v60, v[54:55] offset:1024
	;; [unrolled: 1-line block ×16, first 2 shown]
	s_wait_dscnt 0x0
	s_barrier_signal -1
	s_barrier_wait -1
	s_and_saveexec_b32 s30, vcc_lo
	s_cbranch_execnz .LBB701_875
; %bb.811:                              ;   in Loop: Header=BB701_682 Depth=2
	s_or_b32 exec_lo, exec_lo, s30
	s_and_saveexec_b32 s30, s15
	s_cbranch_execnz .LBB701_876
.LBB701_812:                            ;   in Loop: Header=BB701_682 Depth=2
	s_or_b32 exec_lo, exec_lo, s30
	s_and_saveexec_b32 s15, s16
	s_cbranch_execnz .LBB701_877
.LBB701_813:                            ;   in Loop: Header=BB701_682 Depth=2
	s_or_b32 exec_lo, exec_lo, s15
	s_and_saveexec_b32 s15, s17
	s_cbranch_execnz .LBB701_878
.LBB701_814:                            ;   in Loop: Header=BB701_682 Depth=2
	s_or_b32 exec_lo, exec_lo, s15
	s_and_saveexec_b32 s15, s18
	s_cbranch_execnz .LBB701_879
.LBB701_815:                            ;   in Loop: Header=BB701_682 Depth=2
	s_or_b32 exec_lo, exec_lo, s15
	s_and_saveexec_b32 s15, s19
	s_cbranch_execnz .LBB701_880
.LBB701_816:                            ;   in Loop: Header=BB701_682 Depth=2
	s_or_b32 exec_lo, exec_lo, s15
	s_and_saveexec_b32 s15, s20
	s_cbranch_execnz .LBB701_881
.LBB701_817:                            ;   in Loop: Header=BB701_682 Depth=2
	s_or_b32 exec_lo, exec_lo, s15
	s_and_saveexec_b32 s15, s21
	s_cbranch_execnz .LBB701_882
.LBB701_818:                            ;   in Loop: Header=BB701_682 Depth=2
	s_or_b32 exec_lo, exec_lo, s15
	s_and_saveexec_b32 s15, s22
	s_cbranch_execnz .LBB701_883
.LBB701_819:                            ;   in Loop: Header=BB701_682 Depth=2
	s_or_b32 exec_lo, exec_lo, s15
	s_and_saveexec_b32 s15, s23
	s_cbranch_execnz .LBB701_884
.LBB701_820:                            ;   in Loop: Header=BB701_682 Depth=2
	s_or_b32 exec_lo, exec_lo, s15
	s_and_saveexec_b32 s15, s24
	s_cbranch_execnz .LBB701_885
.LBB701_821:                            ;   in Loop: Header=BB701_682 Depth=2
	s_or_b32 exec_lo, exec_lo, s15
	s_and_saveexec_b32 s15, s25
	s_cbranch_execnz .LBB701_886
.LBB701_822:                            ;   in Loop: Header=BB701_682 Depth=2
	s_or_b32 exec_lo, exec_lo, s15
	s_and_saveexec_b32 s15, s26
	s_cbranch_execnz .LBB701_887
.LBB701_823:                            ;   in Loop: Header=BB701_682 Depth=2
	s_or_b32 exec_lo, exec_lo, s15
	s_and_saveexec_b32 s15, s27
	s_cbranch_execnz .LBB701_888
.LBB701_824:                            ;   in Loop: Header=BB701_682 Depth=2
	s_or_b32 exec_lo, exec_lo, s15
	s_and_saveexec_b32 s15, s28
	s_cbranch_execnz .LBB701_889
.LBB701_825:                            ;   in Loop: Header=BB701_682 Depth=2
	s_or_b32 exec_lo, exec_lo, s15
	s_and_saveexec_b32 s15, s29
	s_cbranch_execz .LBB701_827
.LBB701_826:                            ;   in Loop: Header=BB701_682 Depth=2
	v_lshlrev_b32_e32 v58, 2, v149
	ds_load_b32 v60, v58
	ds_load_b64 v[58:59], v123 offset:31744
	s_wait_dscnt 0x1
	v_add_nc_u32_e32 v60, v60, v112
	s_wait_dscnt 0x0
	global_store_b64 v60, v[58:59], s[44:45] scale_offset
.LBB701_827:                            ;   in Loop: Header=BB701_682 Depth=2
	s_wait_xcnt 0x0
	s_or_b32 exec_lo, exec_lo, s15
	s_wait_storecnt 0x0
	s_barrier_signal -1
	s_barrier_wait -1
	s_and_saveexec_b32 s15, s0
	s_cbranch_execz .LBB701_681
; %bb.828:                              ;   in Loop: Header=BB701_682 Depth=2
	ds_load_b32 v58, v3
	s_wait_dscnt 0x0
	v_add_nc_u32_e32 v58, v58, v90
	ds_store_b32 v3, v58
	s_branch .LBB701_681
.LBB701_829:                            ;   in Loop: Header=BB701_682 Depth=2
	ds_load_b64 v[58:59], v123 offset:1024
	s_wait_dscnt 0x0
	v_lshrrev_b64 v[66:67], s43, v[58:59]
	v_xor_b32_e32 v59, 0x7fffffff, v59
	v_not_b32_e32 v58, v58
	s_delay_alu instid0(VALU_DEP_3) | instskip(NEXT) | instid1(VALU_DEP_1)
	v_and_b32_e32 v66, s55, v66
	v_lshlrev_b32_e32 v66, 2, v66
	ds_load_b32 v66, v66
	s_wait_dscnt 0x0
	v_add_nc_u32_e32 v66, v66, v2
	global_store_b64 v66, v[58:59], s[38:39] scale_offset
	s_wait_xcnt 0x0
	s_or_b32 exec_lo, exec_lo, s15
	v_cmp_lt_u32_e64 s15, v98, v165
	s_and_saveexec_b32 s16, s15
	s_cbranch_execz .LBB701_762
.LBB701_830:                            ;   in Loop: Header=BB701_682 Depth=2
	ds_load_b64 v[58:59], v123 offset:3072
	s_wait_dscnt 0x0
	v_lshrrev_b64 v[66:67], s43, v[58:59]
	v_xor_b32_e32 v59, 0x7fffffff, v59
	v_not_b32_e32 v58, v58
	s_delay_alu instid0(VALU_DEP_3) | instskip(NEXT) | instid1(VALU_DEP_1)
	v_and_b32_e32 v66, s55, v66
	v_lshlrev_b32_e32 v66, 2, v66
	ds_load_b32 v66, v66
	s_wait_dscnt 0x0
	v_add_nc_u32_e32 v66, v66, v98
	global_store_b64 v66, v[58:59], s[38:39] scale_offset
	s_wait_xcnt 0x0
	s_or_b32 exec_lo, exec_lo, s16
	v_cmp_lt_u32_e64 s16, v99, v165
	s_and_saveexec_b32 s17, s16
	s_cbranch_execz .LBB701_763
.LBB701_831:                            ;   in Loop: Header=BB701_682 Depth=2
	ds_load_b64 v[58:59], v123 offset:5120
	s_wait_dscnt 0x0
	v_lshrrev_b64 v[66:67], s43, v[58:59]
	v_xor_b32_e32 v59, 0x7fffffff, v59
	v_not_b32_e32 v58, v58
	s_delay_alu instid0(VALU_DEP_3) | instskip(NEXT) | instid1(VALU_DEP_1)
	v_and_b32_e32 v66, s55, v66
	v_lshlrev_b32_e32 v66, 2, v66
	ds_load_b32 v66, v66
	s_wait_dscnt 0x0
	v_add_nc_u32_e32 v66, v66, v99
	global_store_b64 v66, v[58:59], s[38:39] scale_offset
	s_wait_xcnt 0x0
	s_or_b32 exec_lo, exec_lo, s17
	v_cmp_lt_u32_e64 s17, v100, v165
	s_and_saveexec_b32 s18, s17
	s_cbranch_execz .LBB701_764
.LBB701_832:                            ;   in Loop: Header=BB701_682 Depth=2
	ds_load_b64 v[58:59], v123 offset:7168
	s_wait_dscnt 0x0
	v_lshrrev_b64 v[66:67], s43, v[58:59]
	v_xor_b32_e32 v59, 0x7fffffff, v59
	v_not_b32_e32 v58, v58
	s_delay_alu instid0(VALU_DEP_3) | instskip(NEXT) | instid1(VALU_DEP_1)
	v_and_b32_e32 v66, s55, v66
	v_lshlrev_b32_e32 v66, 2, v66
	ds_load_b32 v66, v66
	s_wait_dscnt 0x0
	v_add_nc_u32_e32 v66, v66, v100
	global_store_b64 v66, v[58:59], s[38:39] scale_offset
	s_wait_xcnt 0x0
	s_or_b32 exec_lo, exec_lo, s18
	v_cmp_lt_u32_e64 s18, v101, v165
	s_and_saveexec_b32 s19, s18
	s_cbranch_execz .LBB701_765
.LBB701_833:                            ;   in Loop: Header=BB701_682 Depth=2
	ds_load_b64 v[58:59], v123 offset:9216
	s_wait_dscnt 0x0
	v_lshrrev_b64 v[66:67], s43, v[58:59]
	v_xor_b32_e32 v59, 0x7fffffff, v59
	v_not_b32_e32 v58, v58
	s_delay_alu instid0(VALU_DEP_3) | instskip(NEXT) | instid1(VALU_DEP_1)
	v_and_b32_e32 v66, s55, v66
	v_lshlrev_b32_e32 v66, 2, v66
	ds_load_b32 v66, v66
	s_wait_dscnt 0x0
	v_add_nc_u32_e32 v66, v66, v101
	global_store_b64 v66, v[58:59], s[38:39] scale_offset
	s_wait_xcnt 0x0
	s_or_b32 exec_lo, exec_lo, s19
	v_cmp_lt_u32_e64 s19, v102, v165
	s_and_saveexec_b32 s20, s19
	s_cbranch_execz .LBB701_766
.LBB701_834:                            ;   in Loop: Header=BB701_682 Depth=2
	ds_load_b64 v[58:59], v123 offset:11264
	s_wait_dscnt 0x0
	v_lshrrev_b64 v[66:67], s43, v[58:59]
	v_xor_b32_e32 v59, 0x7fffffff, v59
	v_not_b32_e32 v58, v58
	s_delay_alu instid0(VALU_DEP_3) | instskip(NEXT) | instid1(VALU_DEP_1)
	v_and_b32_e32 v66, s55, v66
	v_lshlrev_b32_e32 v66, 2, v66
	ds_load_b32 v66, v66
	s_wait_dscnt 0x0
	v_add_nc_u32_e32 v66, v66, v102
	global_store_b64 v66, v[58:59], s[38:39] scale_offset
	s_wait_xcnt 0x0
	s_or_b32 exec_lo, exec_lo, s20
	v_cmp_lt_u32_e64 s20, v103, v165
	s_and_saveexec_b32 s21, s20
	s_cbranch_execz .LBB701_767
.LBB701_835:                            ;   in Loop: Header=BB701_682 Depth=2
	ds_load_b64 v[58:59], v123 offset:13312
	s_wait_dscnt 0x0
	v_lshrrev_b64 v[66:67], s43, v[58:59]
	v_xor_b32_e32 v59, 0x7fffffff, v59
	v_not_b32_e32 v58, v58
	s_delay_alu instid0(VALU_DEP_3) | instskip(NEXT) | instid1(VALU_DEP_1)
	v_and_b32_e32 v66, s55, v66
	v_lshlrev_b32_e32 v66, 2, v66
	ds_load_b32 v66, v66
	s_wait_dscnt 0x0
	v_add_nc_u32_e32 v66, v66, v103
	global_store_b64 v66, v[58:59], s[38:39] scale_offset
	s_wait_xcnt 0x0
	s_or_b32 exec_lo, exec_lo, s21
	v_cmp_lt_u32_e64 s21, v104, v165
	s_and_saveexec_b32 s22, s21
	s_cbranch_execz .LBB701_768
.LBB701_836:                            ;   in Loop: Header=BB701_682 Depth=2
	ds_load_b64 v[58:59], v123 offset:15360
	s_wait_dscnt 0x0
	v_lshrrev_b64 v[66:67], s43, v[58:59]
	v_xor_b32_e32 v59, 0x7fffffff, v59
	v_not_b32_e32 v58, v58
	s_delay_alu instid0(VALU_DEP_3) | instskip(NEXT) | instid1(VALU_DEP_1)
	v_and_b32_e32 v66, s55, v66
	v_lshlrev_b32_e32 v66, 2, v66
	ds_load_b32 v66, v66
	s_wait_dscnt 0x0
	v_add_nc_u32_e32 v66, v66, v104
	global_store_b64 v66, v[58:59], s[38:39] scale_offset
	s_wait_xcnt 0x0
	s_or_b32 exec_lo, exec_lo, s22
	v_cmp_lt_u32_e64 s22, v105, v165
	s_and_saveexec_b32 s23, s22
	s_cbranch_execz .LBB701_769
.LBB701_837:                            ;   in Loop: Header=BB701_682 Depth=2
	ds_load_b64 v[58:59], v123 offset:17408
	s_wait_dscnt 0x0
	v_lshrrev_b64 v[66:67], s43, v[58:59]
	v_xor_b32_e32 v59, 0x7fffffff, v59
	v_not_b32_e32 v58, v58
	s_delay_alu instid0(VALU_DEP_3) | instskip(NEXT) | instid1(VALU_DEP_1)
	v_and_b32_e32 v66, s55, v66
	v_lshlrev_b32_e32 v66, 2, v66
	ds_load_b32 v66, v66
	s_wait_dscnt 0x0
	v_add_nc_u32_e32 v66, v66, v105
	global_store_b64 v66, v[58:59], s[38:39] scale_offset
	s_wait_xcnt 0x0
	s_or_b32 exec_lo, exec_lo, s23
	v_cmp_lt_u32_e64 s23, v106, v165
	s_and_saveexec_b32 s24, s23
	s_cbranch_execz .LBB701_770
.LBB701_838:                            ;   in Loop: Header=BB701_682 Depth=2
	ds_load_b64 v[58:59], v123 offset:19456
	s_wait_dscnt 0x0
	v_lshrrev_b64 v[66:67], s43, v[58:59]
	v_xor_b32_e32 v59, 0x7fffffff, v59
	v_not_b32_e32 v58, v58
	s_delay_alu instid0(VALU_DEP_3) | instskip(NEXT) | instid1(VALU_DEP_1)
	v_and_b32_e32 v66, s55, v66
	v_lshlrev_b32_e32 v66, 2, v66
	ds_load_b32 v66, v66
	s_wait_dscnt 0x0
	v_add_nc_u32_e32 v66, v66, v106
	global_store_b64 v66, v[58:59], s[38:39] scale_offset
	s_wait_xcnt 0x0
	s_or_b32 exec_lo, exec_lo, s24
	v_cmp_lt_u32_e64 s24, v107, v165
	s_and_saveexec_b32 s25, s24
	s_cbranch_execz .LBB701_771
.LBB701_839:                            ;   in Loop: Header=BB701_682 Depth=2
	ds_load_b64 v[58:59], v123 offset:21504
	s_wait_dscnt 0x0
	v_lshrrev_b64 v[66:67], s43, v[58:59]
	v_xor_b32_e32 v59, 0x7fffffff, v59
	v_not_b32_e32 v58, v58
	s_delay_alu instid0(VALU_DEP_3) | instskip(NEXT) | instid1(VALU_DEP_1)
	v_and_b32_e32 v66, s55, v66
	v_lshlrev_b32_e32 v66, 2, v66
	ds_load_b32 v66, v66
	s_wait_dscnt 0x0
	v_add_nc_u32_e32 v66, v66, v107
	global_store_b64 v66, v[58:59], s[38:39] scale_offset
	s_wait_xcnt 0x0
	s_or_b32 exec_lo, exec_lo, s25
	v_cmp_lt_u32_e64 s25, v108, v165
	s_and_saveexec_b32 s26, s25
	s_cbranch_execz .LBB701_772
.LBB701_840:                            ;   in Loop: Header=BB701_682 Depth=2
	ds_load_b64 v[58:59], v123 offset:23552
	s_wait_dscnt 0x0
	v_lshrrev_b64 v[66:67], s43, v[58:59]
	v_xor_b32_e32 v59, 0x7fffffff, v59
	v_not_b32_e32 v58, v58
	s_delay_alu instid0(VALU_DEP_3) | instskip(NEXT) | instid1(VALU_DEP_1)
	v_and_b32_e32 v66, s55, v66
	v_lshlrev_b32_e32 v66, 2, v66
	ds_load_b32 v66, v66
	s_wait_dscnt 0x0
	v_add_nc_u32_e32 v66, v66, v108
	global_store_b64 v66, v[58:59], s[38:39] scale_offset
	s_wait_xcnt 0x0
	s_or_b32 exec_lo, exec_lo, s26
	v_cmp_lt_u32_e64 s26, v109, v165
	s_and_saveexec_b32 s27, s26
	s_cbranch_execz .LBB701_773
.LBB701_841:                            ;   in Loop: Header=BB701_682 Depth=2
	ds_load_b64 v[58:59], v123 offset:25600
	s_wait_dscnt 0x0
	v_lshrrev_b64 v[66:67], s43, v[58:59]
	v_xor_b32_e32 v59, 0x7fffffff, v59
	v_not_b32_e32 v58, v58
	s_delay_alu instid0(VALU_DEP_3) | instskip(NEXT) | instid1(VALU_DEP_1)
	v_and_b32_e32 v66, s55, v66
	v_lshlrev_b32_e32 v66, 2, v66
	ds_load_b32 v66, v66
	s_wait_dscnt 0x0
	v_add_nc_u32_e32 v66, v66, v109
	global_store_b64 v66, v[58:59], s[38:39] scale_offset
	s_wait_xcnt 0x0
	s_or_b32 exec_lo, exec_lo, s27
	v_cmp_lt_u32_e64 s27, v110, v165
	s_and_saveexec_b32 s28, s27
	s_cbranch_execz .LBB701_774
.LBB701_842:                            ;   in Loop: Header=BB701_682 Depth=2
	ds_load_b64 v[58:59], v123 offset:27648
	s_wait_dscnt 0x0
	v_lshrrev_b64 v[66:67], s43, v[58:59]
	v_xor_b32_e32 v59, 0x7fffffff, v59
	v_not_b32_e32 v58, v58
	s_delay_alu instid0(VALU_DEP_3) | instskip(NEXT) | instid1(VALU_DEP_1)
	v_and_b32_e32 v66, s55, v66
	v_lshlrev_b32_e32 v66, 2, v66
	ds_load_b32 v66, v66
	s_wait_dscnt 0x0
	v_add_nc_u32_e32 v66, v66, v110
	global_store_b64 v66, v[58:59], s[38:39] scale_offset
	s_wait_xcnt 0x0
	s_or_b32 exec_lo, exec_lo, s28
	v_cmp_lt_u32_e64 s28, v111, v165
	s_and_saveexec_b32 s29, s28
	s_cbranch_execz .LBB701_775
.LBB701_843:                            ;   in Loop: Header=BB701_682 Depth=2
	ds_load_b64 v[58:59], v123 offset:29696
	s_wait_dscnt 0x0
	v_lshrrev_b64 v[66:67], s43, v[58:59]
	v_xor_b32_e32 v59, 0x7fffffff, v59
	v_not_b32_e32 v58, v58
	s_delay_alu instid0(VALU_DEP_3) | instskip(NEXT) | instid1(VALU_DEP_1)
	v_and_b32_e32 v66, s55, v66
	v_lshlrev_b32_e32 v66, 2, v66
	ds_load_b32 v66, v66
	s_wait_dscnt 0x0
	v_add_nc_u32_e32 v66, v66, v111
	global_store_b64 v66, v[58:59], s[38:39] scale_offset
	s_wait_xcnt 0x0
	s_or_b32 exec_lo, exec_lo, s29
	v_cmp_lt_u32_e64 s29, v112, v165
	s_and_saveexec_b32 s58, s29
	s_cbranch_execnz .LBB701_776
	s_branch .LBB701_777
.LBB701_844:                            ;   in Loop: Header=BB701_682 Depth=2
	global_load_b64 v[56:57], v[58:59], off
	s_wait_xcnt 0x0
	s_or_b32 exec_lo, exec_lo, s30
	s_delay_alu instid0(SALU_CYCLE_1)
	s_mov_b32 s58, exec_lo
	v_cmpx_lt_u32_e64 v132, v165
	s_cbranch_execz .LBB701_779
.LBB701_845:                            ;   in Loop: Header=BB701_682 Depth=2
	global_load_b64 v[54:55], v[58:59], off offset:256
	s_wait_xcnt 0x0
	s_or_b32 exec_lo, exec_lo, s58
	s_delay_alu instid0(SALU_CYCLE_1)
	s_mov_b32 s58, exec_lo
	v_cmpx_lt_u32_e64 v133, v165
	s_cbranch_execz .LBB701_780
.LBB701_846:                            ;   in Loop: Header=BB701_682 Depth=2
	global_load_b64 v[52:53], v[58:59], off offset:512
	s_wait_xcnt 0x0
	s_or_b32 exec_lo, exec_lo, s58
	s_delay_alu instid0(SALU_CYCLE_1)
	s_mov_b32 s58, exec_lo
	v_cmpx_lt_u32_e64 v134, v165
	s_cbranch_execz .LBB701_781
.LBB701_847:                            ;   in Loop: Header=BB701_682 Depth=2
	global_load_b64 v[50:51], v[58:59], off offset:768
	s_wait_xcnt 0x0
	s_or_b32 exec_lo, exec_lo, s58
	s_delay_alu instid0(SALU_CYCLE_1)
	s_mov_b32 s58, exec_lo
	v_cmpx_lt_u32_e64 v135, v165
	s_cbranch_execz .LBB701_782
.LBB701_848:                            ;   in Loop: Header=BB701_682 Depth=2
	global_load_b64 v[48:49], v[58:59], off offset:1024
	s_wait_xcnt 0x0
	s_or_b32 exec_lo, exec_lo, s58
	s_delay_alu instid0(SALU_CYCLE_1)
	s_mov_b32 s58, exec_lo
	v_cmpx_lt_u32_e64 v136, v165
	s_cbranch_execz .LBB701_783
.LBB701_849:                            ;   in Loop: Header=BB701_682 Depth=2
	global_load_b64 v[46:47], v[58:59], off offset:1280
	s_wait_xcnt 0x0
	s_or_b32 exec_lo, exec_lo, s58
	s_delay_alu instid0(SALU_CYCLE_1)
	s_mov_b32 s58, exec_lo
	v_cmpx_lt_u32_e64 v137, v165
	s_cbranch_execz .LBB701_784
.LBB701_850:                            ;   in Loop: Header=BB701_682 Depth=2
	global_load_b64 v[44:45], v[58:59], off offset:1536
	s_wait_xcnt 0x0
	s_or_b32 exec_lo, exec_lo, s58
	s_delay_alu instid0(SALU_CYCLE_1)
	s_mov_b32 s58, exec_lo
	v_cmpx_lt_u32_e64 v138, v165
	s_cbranch_execz .LBB701_785
.LBB701_851:                            ;   in Loop: Header=BB701_682 Depth=2
	global_load_b64 v[42:43], v[58:59], off offset:1792
	s_wait_xcnt 0x0
	s_or_b32 exec_lo, exec_lo, s58
	s_delay_alu instid0(SALU_CYCLE_1)
	s_mov_b32 s58, exec_lo
	v_cmpx_lt_u32_e64 v139, v165
	s_cbranch_execz .LBB701_786
.LBB701_852:                            ;   in Loop: Header=BB701_682 Depth=2
	global_load_b64 v[40:41], v[58:59], off offset:2048
	s_wait_xcnt 0x0
	s_or_b32 exec_lo, exec_lo, s58
	s_delay_alu instid0(SALU_CYCLE_1)
	s_mov_b32 s58, exec_lo
	v_cmpx_lt_u32_e64 v140, v165
	s_cbranch_execz .LBB701_787
.LBB701_853:                            ;   in Loop: Header=BB701_682 Depth=2
	global_load_b64 v[38:39], v[58:59], off offset:2304
	s_wait_xcnt 0x0
	s_or_b32 exec_lo, exec_lo, s58
	s_delay_alu instid0(SALU_CYCLE_1)
	s_mov_b32 s58, exec_lo
	v_cmpx_lt_u32_e64 v141, v165
	s_cbranch_execz .LBB701_788
.LBB701_854:                            ;   in Loop: Header=BB701_682 Depth=2
	global_load_b64 v[36:37], v[58:59], off offset:2560
	s_wait_xcnt 0x0
	s_or_b32 exec_lo, exec_lo, s58
	s_delay_alu instid0(SALU_CYCLE_1)
	s_mov_b32 s58, exec_lo
	v_cmpx_lt_u32_e64 v142, v165
	s_cbranch_execz .LBB701_789
.LBB701_855:                            ;   in Loop: Header=BB701_682 Depth=2
	global_load_b64 v[34:35], v[58:59], off offset:2816
	s_wait_xcnt 0x0
	s_or_b32 exec_lo, exec_lo, s58
	s_delay_alu instid0(SALU_CYCLE_1)
	s_mov_b32 s58, exec_lo
	v_cmpx_lt_u32_e64 v143, v165
	s_cbranch_execz .LBB701_790
.LBB701_856:                            ;   in Loop: Header=BB701_682 Depth=2
	global_load_b64 v[32:33], v[58:59], off offset:3072
	s_wait_xcnt 0x0
	s_or_b32 exec_lo, exec_lo, s58
	s_delay_alu instid0(SALU_CYCLE_1)
	s_mov_b32 s58, exec_lo
	v_cmpx_lt_u32_e64 v144, v165
	s_cbranch_execz .LBB701_791
.LBB701_857:                            ;   in Loop: Header=BB701_682 Depth=2
	global_load_b64 v[30:31], v[58:59], off offset:3328
	s_wait_xcnt 0x0
	s_or_b32 exec_lo, exec_lo, s58
	s_delay_alu instid0(SALU_CYCLE_1)
	s_mov_b32 s58, exec_lo
	v_cmpx_lt_u32_e64 v145, v165
	s_cbranch_execz .LBB701_792
.LBB701_858:                            ;   in Loop: Header=BB701_682 Depth=2
	global_load_b64 v[28:29], v[58:59], off offset:3584
	s_wait_xcnt 0x0
	s_or_b32 exec_lo, exec_lo, s58
	s_delay_alu instid0(SALU_CYCLE_1)
	s_mov_b32 s58, exec_lo
	v_cmpx_lt_u32_e64 v146, v165
	s_cbranch_execz .LBB701_793
.LBB701_859:                            ;   in Loop: Header=BB701_682 Depth=2
	global_load_b64 v[26:27], v[58:59], off offset:3840
	s_wait_xcnt 0x0
	s_or_b32 exec_lo, exec_lo, s58
	s_and_saveexec_b32 s30, vcc_lo
	s_cbranch_execz .LBB701_794
.LBB701_860:                            ;   in Loop: Header=BB701_682 Depth=2
	ds_load_b64 v[58:59], v123 offset:1024
	s_wait_dscnt 0x0
	v_lshrrev_b64 v[58:59], s43, v[58:59]
	s_delay_alu instid0(VALU_DEP_1)
	v_and_b32_e32 v164, s55, v58
	s_or_b32 exec_lo, exec_lo, s30
	s_and_saveexec_b32 s30, s15
	s_cbranch_execz .LBB701_795
.LBB701_861:                            ;   in Loop: Header=BB701_682 Depth=2
	ds_load_b64 v[58:59], v123 offset:3072
	s_wait_dscnt 0x0
	v_lshrrev_b64 v[58:59], s43, v[58:59]
	s_delay_alu instid0(VALU_DEP_1)
	v_and_b32_e32 v163, s55, v58
	s_or_b32 exec_lo, exec_lo, s30
	s_and_saveexec_b32 s30, s16
	s_cbranch_execz .LBB701_796
.LBB701_862:                            ;   in Loop: Header=BB701_682 Depth=2
	ds_load_b64 v[58:59], v123 offset:5120
	s_wait_dscnt 0x0
	v_lshrrev_b64 v[58:59], s43, v[58:59]
	s_delay_alu instid0(VALU_DEP_1)
	v_and_b32_e32 v162, s55, v58
	s_or_b32 exec_lo, exec_lo, s30
	s_and_saveexec_b32 s30, s17
	s_cbranch_execz .LBB701_797
.LBB701_863:                            ;   in Loop: Header=BB701_682 Depth=2
	ds_load_b64 v[58:59], v123 offset:7168
	s_wait_dscnt 0x0
	v_lshrrev_b64 v[58:59], s43, v[58:59]
	s_delay_alu instid0(VALU_DEP_1)
	v_and_b32_e32 v161, s55, v58
	s_or_b32 exec_lo, exec_lo, s30
	s_and_saveexec_b32 s30, s18
	s_cbranch_execz .LBB701_798
.LBB701_864:                            ;   in Loop: Header=BB701_682 Depth=2
	ds_load_b64 v[58:59], v123 offset:9216
	s_wait_dscnt 0x0
	v_lshrrev_b64 v[58:59], s43, v[58:59]
	s_delay_alu instid0(VALU_DEP_1)
	v_and_b32_e32 v160, s55, v58
	s_or_b32 exec_lo, exec_lo, s30
	s_and_saveexec_b32 s30, s19
	s_cbranch_execz .LBB701_799
.LBB701_865:                            ;   in Loop: Header=BB701_682 Depth=2
	ds_load_b64 v[58:59], v123 offset:11264
	s_wait_dscnt 0x0
	v_lshrrev_b64 v[58:59], s43, v[58:59]
	s_delay_alu instid0(VALU_DEP_1)
	v_and_b32_e32 v159, s55, v58
	s_or_b32 exec_lo, exec_lo, s30
	s_and_saveexec_b32 s30, s20
	s_cbranch_execz .LBB701_800
.LBB701_866:                            ;   in Loop: Header=BB701_682 Depth=2
	ds_load_b64 v[58:59], v123 offset:13312
	s_wait_dscnt 0x0
	v_lshrrev_b64 v[58:59], s43, v[58:59]
	s_delay_alu instid0(VALU_DEP_1)
	v_and_b32_e32 v158, s55, v58
	s_or_b32 exec_lo, exec_lo, s30
	s_and_saveexec_b32 s30, s21
	s_cbranch_execz .LBB701_801
.LBB701_867:                            ;   in Loop: Header=BB701_682 Depth=2
	ds_load_b64 v[58:59], v123 offset:15360
	s_wait_dscnt 0x0
	v_lshrrev_b64 v[58:59], s43, v[58:59]
	s_delay_alu instid0(VALU_DEP_1)
	v_and_b32_e32 v157, s55, v58
	s_or_b32 exec_lo, exec_lo, s30
	s_and_saveexec_b32 s30, s22
	s_cbranch_execz .LBB701_802
.LBB701_868:                            ;   in Loop: Header=BB701_682 Depth=2
	ds_load_b64 v[58:59], v123 offset:17408
	s_wait_dscnt 0x0
	v_lshrrev_b64 v[58:59], s43, v[58:59]
	s_delay_alu instid0(VALU_DEP_1)
	v_and_b32_e32 v156, s55, v58
	s_or_b32 exec_lo, exec_lo, s30
	s_and_saveexec_b32 s30, s23
	s_cbranch_execz .LBB701_803
.LBB701_869:                            ;   in Loop: Header=BB701_682 Depth=2
	ds_load_b64 v[58:59], v123 offset:19456
	s_wait_dscnt 0x0
	v_lshrrev_b64 v[58:59], s43, v[58:59]
	s_delay_alu instid0(VALU_DEP_1)
	v_and_b32_e32 v155, s55, v58
	s_or_b32 exec_lo, exec_lo, s30
	s_and_saveexec_b32 s30, s24
	s_cbranch_execz .LBB701_804
.LBB701_870:                            ;   in Loop: Header=BB701_682 Depth=2
	ds_load_b64 v[58:59], v123 offset:21504
	s_wait_dscnt 0x0
	v_lshrrev_b64 v[58:59], s43, v[58:59]
	s_delay_alu instid0(VALU_DEP_1)
	v_and_b32_e32 v154, s55, v58
	s_or_b32 exec_lo, exec_lo, s30
	s_and_saveexec_b32 s30, s25
	s_cbranch_execz .LBB701_805
.LBB701_871:                            ;   in Loop: Header=BB701_682 Depth=2
	ds_load_b64 v[58:59], v123 offset:23552
	s_wait_dscnt 0x0
	v_lshrrev_b64 v[58:59], s43, v[58:59]
	s_delay_alu instid0(VALU_DEP_1)
	v_and_b32_e32 v153, s55, v58
	s_or_b32 exec_lo, exec_lo, s30
	s_and_saveexec_b32 s30, s26
	s_cbranch_execz .LBB701_806
.LBB701_872:                            ;   in Loop: Header=BB701_682 Depth=2
	ds_load_b64 v[58:59], v123 offset:25600
	s_wait_dscnt 0x0
	v_lshrrev_b64 v[58:59], s43, v[58:59]
	s_delay_alu instid0(VALU_DEP_1)
	v_and_b32_e32 v152, s55, v58
	s_or_b32 exec_lo, exec_lo, s30
	s_and_saveexec_b32 s30, s27
	s_cbranch_execz .LBB701_807
.LBB701_873:                            ;   in Loop: Header=BB701_682 Depth=2
	ds_load_b64 v[58:59], v123 offset:27648
	s_wait_dscnt 0x0
	v_lshrrev_b64 v[58:59], s43, v[58:59]
	s_delay_alu instid0(VALU_DEP_1)
	v_and_b32_e32 v151, s55, v58
	s_or_b32 exec_lo, exec_lo, s30
	s_and_saveexec_b32 s30, s28
	s_cbranch_execz .LBB701_808
.LBB701_874:                            ;   in Loop: Header=BB701_682 Depth=2
	ds_load_b64 v[58:59], v123 offset:29696
	s_wait_dscnt 0x0
	v_lshrrev_b64 v[58:59], s43, v[58:59]
	s_delay_alu instid0(VALU_DEP_1)
	v_and_b32_e32 v150, s55, v58
	s_or_b32 exec_lo, exec_lo, s30
	s_and_saveexec_b32 s30, s29
	s_cbranch_execnz .LBB701_809
	s_branch .LBB701_810
.LBB701_875:                            ;   in Loop: Header=BB701_682 Depth=2
	v_lshlrev_b32_e32 v58, 2, v164
	ds_load_b32 v60, v58
	ds_load_b64 v[58:59], v123 offset:1024
	s_wait_dscnt 0x1
	v_add_nc_u32_e32 v60, v60, v2
	s_wait_dscnt 0x0
	global_store_b64 v60, v[58:59], s[44:45] scale_offset
	s_wait_xcnt 0x0
	s_or_b32 exec_lo, exec_lo, s30
	s_and_saveexec_b32 s30, s15
	s_cbranch_execz .LBB701_812
.LBB701_876:                            ;   in Loop: Header=BB701_682 Depth=2
	v_lshlrev_b32_e32 v58, 2, v163
	ds_load_b32 v60, v58
	ds_load_b64 v[58:59], v123 offset:3072
	s_wait_dscnt 0x1
	v_add_nc_u32_e32 v60, v60, v98
	s_wait_dscnt 0x0
	global_store_b64 v60, v[58:59], s[44:45] scale_offset
	s_wait_xcnt 0x0
	s_or_b32 exec_lo, exec_lo, s30
	s_and_saveexec_b32 s15, s16
	s_cbranch_execz .LBB701_813
.LBB701_877:                            ;   in Loop: Header=BB701_682 Depth=2
	v_lshlrev_b32_e32 v58, 2, v162
	ds_load_b32 v60, v58
	ds_load_b64 v[58:59], v123 offset:5120
	s_wait_dscnt 0x1
	v_add_nc_u32_e32 v60, v60, v99
	s_wait_dscnt 0x0
	global_store_b64 v60, v[58:59], s[44:45] scale_offset
	s_wait_xcnt 0x0
	s_or_b32 exec_lo, exec_lo, s15
	s_and_saveexec_b32 s15, s17
	s_cbranch_execz .LBB701_814
.LBB701_878:                            ;   in Loop: Header=BB701_682 Depth=2
	v_lshlrev_b32_e32 v58, 2, v161
	ds_load_b32 v60, v58
	ds_load_b64 v[58:59], v123 offset:7168
	s_wait_dscnt 0x1
	v_add_nc_u32_e32 v60, v60, v100
	s_wait_dscnt 0x0
	global_store_b64 v60, v[58:59], s[44:45] scale_offset
	s_wait_xcnt 0x0
	s_or_b32 exec_lo, exec_lo, s15
	s_and_saveexec_b32 s15, s18
	s_cbranch_execz .LBB701_815
.LBB701_879:                            ;   in Loop: Header=BB701_682 Depth=2
	v_lshlrev_b32_e32 v58, 2, v160
	ds_load_b32 v60, v58
	ds_load_b64 v[58:59], v123 offset:9216
	s_wait_dscnt 0x1
	v_add_nc_u32_e32 v60, v60, v101
	s_wait_dscnt 0x0
	global_store_b64 v60, v[58:59], s[44:45] scale_offset
	s_wait_xcnt 0x0
	s_or_b32 exec_lo, exec_lo, s15
	s_and_saveexec_b32 s15, s19
	s_cbranch_execz .LBB701_816
.LBB701_880:                            ;   in Loop: Header=BB701_682 Depth=2
	v_lshlrev_b32_e32 v58, 2, v159
	ds_load_b32 v60, v58
	ds_load_b64 v[58:59], v123 offset:11264
	s_wait_dscnt 0x1
	v_add_nc_u32_e32 v60, v60, v102
	s_wait_dscnt 0x0
	global_store_b64 v60, v[58:59], s[44:45] scale_offset
	s_wait_xcnt 0x0
	s_or_b32 exec_lo, exec_lo, s15
	s_and_saveexec_b32 s15, s20
	s_cbranch_execz .LBB701_817
.LBB701_881:                            ;   in Loop: Header=BB701_682 Depth=2
	v_lshlrev_b32_e32 v58, 2, v158
	ds_load_b32 v60, v58
	ds_load_b64 v[58:59], v123 offset:13312
	s_wait_dscnt 0x1
	v_add_nc_u32_e32 v60, v60, v103
	s_wait_dscnt 0x0
	global_store_b64 v60, v[58:59], s[44:45] scale_offset
	s_wait_xcnt 0x0
	s_or_b32 exec_lo, exec_lo, s15
	s_and_saveexec_b32 s15, s21
	s_cbranch_execz .LBB701_818
.LBB701_882:                            ;   in Loop: Header=BB701_682 Depth=2
	v_lshlrev_b32_e32 v58, 2, v157
	ds_load_b32 v60, v58
	ds_load_b64 v[58:59], v123 offset:15360
	s_wait_dscnt 0x1
	v_add_nc_u32_e32 v60, v60, v104
	s_wait_dscnt 0x0
	global_store_b64 v60, v[58:59], s[44:45] scale_offset
	s_wait_xcnt 0x0
	s_or_b32 exec_lo, exec_lo, s15
	s_and_saveexec_b32 s15, s22
	s_cbranch_execz .LBB701_819
.LBB701_883:                            ;   in Loop: Header=BB701_682 Depth=2
	v_lshlrev_b32_e32 v58, 2, v156
	ds_load_b32 v60, v58
	ds_load_b64 v[58:59], v123 offset:17408
	s_wait_dscnt 0x1
	v_add_nc_u32_e32 v60, v60, v105
	s_wait_dscnt 0x0
	global_store_b64 v60, v[58:59], s[44:45] scale_offset
	s_wait_xcnt 0x0
	s_or_b32 exec_lo, exec_lo, s15
	s_and_saveexec_b32 s15, s23
	s_cbranch_execz .LBB701_820
.LBB701_884:                            ;   in Loop: Header=BB701_682 Depth=2
	v_lshlrev_b32_e32 v58, 2, v155
	ds_load_b32 v60, v58
	ds_load_b64 v[58:59], v123 offset:19456
	s_wait_dscnt 0x1
	v_add_nc_u32_e32 v60, v60, v106
	s_wait_dscnt 0x0
	global_store_b64 v60, v[58:59], s[44:45] scale_offset
	s_wait_xcnt 0x0
	s_or_b32 exec_lo, exec_lo, s15
	s_and_saveexec_b32 s15, s24
	s_cbranch_execz .LBB701_821
.LBB701_885:                            ;   in Loop: Header=BB701_682 Depth=2
	v_lshlrev_b32_e32 v58, 2, v154
	ds_load_b32 v60, v58
	ds_load_b64 v[58:59], v123 offset:21504
	s_wait_dscnt 0x1
	v_add_nc_u32_e32 v60, v60, v107
	s_wait_dscnt 0x0
	global_store_b64 v60, v[58:59], s[44:45] scale_offset
	s_wait_xcnt 0x0
	s_or_b32 exec_lo, exec_lo, s15
	s_and_saveexec_b32 s15, s25
	s_cbranch_execz .LBB701_822
.LBB701_886:                            ;   in Loop: Header=BB701_682 Depth=2
	v_lshlrev_b32_e32 v58, 2, v153
	ds_load_b32 v60, v58
	ds_load_b64 v[58:59], v123 offset:23552
	s_wait_dscnt 0x1
	v_add_nc_u32_e32 v60, v60, v108
	s_wait_dscnt 0x0
	global_store_b64 v60, v[58:59], s[44:45] scale_offset
	s_wait_xcnt 0x0
	s_or_b32 exec_lo, exec_lo, s15
	s_and_saveexec_b32 s15, s26
	s_cbranch_execz .LBB701_823
.LBB701_887:                            ;   in Loop: Header=BB701_682 Depth=2
	v_lshlrev_b32_e32 v58, 2, v152
	ds_load_b32 v60, v58
	ds_load_b64 v[58:59], v123 offset:25600
	s_wait_dscnt 0x1
	v_add_nc_u32_e32 v60, v60, v109
	s_wait_dscnt 0x0
	global_store_b64 v60, v[58:59], s[44:45] scale_offset
	s_wait_xcnt 0x0
	s_or_b32 exec_lo, exec_lo, s15
	s_and_saveexec_b32 s15, s27
	s_cbranch_execz .LBB701_824
.LBB701_888:                            ;   in Loop: Header=BB701_682 Depth=2
	v_lshlrev_b32_e32 v58, 2, v151
	ds_load_b32 v60, v58
	ds_load_b64 v[58:59], v123 offset:27648
	s_wait_dscnt 0x1
	v_add_nc_u32_e32 v60, v60, v110
	s_wait_dscnt 0x0
	global_store_b64 v60, v[58:59], s[44:45] scale_offset
	s_wait_xcnt 0x0
	s_or_b32 exec_lo, exec_lo, s15
	s_and_saveexec_b32 s15, s28
	s_cbranch_execz .LBB701_825
.LBB701_889:                            ;   in Loop: Header=BB701_682 Depth=2
	v_lshlrev_b32_e32 v58, 2, v150
	ds_load_b32 v60, v58
	ds_load_b64 v[58:59], v123 offset:29696
	s_wait_dscnt 0x1
	v_add_nc_u32_e32 v60, v60, v111
	s_wait_dscnt 0x0
	global_store_b64 v60, v[58:59], s[44:45] scale_offset
	s_wait_xcnt 0x0
	s_or_b32 exec_lo, exec_lo, s15
	s_and_saveexec_b32 s15, s29
	s_cbranch_execnz .LBB701_826
	s_branch .LBB701_827
.LBB701_890:                            ;   in Loop: Header=BB701_12 Depth=1
	s_wait_dscnt 0x0
	s_barrier_signal -1
	s_mov_b32 s7, 0
	s_barrier_wait -1
.LBB701_891:                            ;   in Loop: Header=BB701_12 Depth=1
	s_and_b32 vcc_lo, exec_lo, s7
	s_cbranch_vccz .LBB701_11
; %bb.892:                              ;   in Loop: Header=BB701_12 Depth=1
	s_mov_b32 s7, s54
	s_mov_b32 s30, s52
	s_barrier_signal -1
	s_barrier_wait -1
                                        ; implicit-def: $vgpr22_vgpr23
                                        ; implicit-def: $vgpr24_vgpr25
                                        ; implicit-def: $vgpr26_vgpr27
                                        ; implicit-def: $vgpr28_vgpr29
                                        ; implicit-def: $vgpr30_vgpr31
                                        ; implicit-def: $vgpr32_vgpr33
                                        ; implicit-def: $vgpr34_vgpr35
                                        ; implicit-def: $vgpr36_vgpr37
                                        ; implicit-def: $vgpr38_vgpr39
                                        ; implicit-def: $vgpr40_vgpr41
                                        ; implicit-def: $vgpr42_vgpr43
                                        ; implicit-def: $vgpr44_vgpr45
                                        ; implicit-def: $vgpr46_vgpr47
                                        ; implicit-def: $vgpr48_vgpr49
                                        ; implicit-def: $vgpr50_vgpr51
                                        ; implicit-def: $vgpr52_vgpr53
	s_branch .LBB701_894
.LBB701_893:                            ;   in Loop: Header=BB701_894 Depth=2
	s_or_b32 exec_lo, exec_lo, s8
	s_addk_co_i32 s7, 0xf000
	s_cmp_ge_u32 s10, s51
	s_mov_b32 s30, s10
	s_cbranch_scc1 .LBB701_962
.LBB701_894:                            ;   Parent Loop BB701_12 Depth=1
                                        ; =>  This Inner Loop Header: Depth=2
	s_add_co_i32 s10, s30, 0x1000
	s_mov_b32 s8, -1
	s_cmp_gt_u32 s10, s51
                                        ; implicit-def: $vgpr54_vgpr55
                                        ; implicit-def: $vgpr56_vgpr57
                                        ; implicit-def: $vgpr58_vgpr59
                                        ; implicit-def: $vgpr60_vgpr61
                                        ; implicit-def: $vgpr62_vgpr63
                                        ; implicit-def: $vgpr64_vgpr65
                                        ; implicit-def: $vgpr66_vgpr67
                                        ; implicit-def: $vgpr68_vgpr69
                                        ; implicit-def: $vgpr70_vgpr71
                                        ; implicit-def: $vgpr72_vgpr73
                                        ; implicit-def: $vgpr74_vgpr75
                                        ; implicit-def: $vgpr76_vgpr77
                                        ; implicit-def: $vgpr78_vgpr79
                                        ; implicit-def: $vgpr80_vgpr81
                                        ; implicit-def: $vgpr82_vgpr83
                                        ; implicit-def: $vgpr84_vgpr85
	s_cbranch_scc1 .LBB701_896
; %bb.895:                              ;   in Loop: Header=BB701_894 Depth=2
	v_lshl_add_u64 v[84:85], s[30:31], 3, v[16:17]
	s_mov_b32 s8, 0
	s_clause 0xf
	global_load_b64 v[54:55], v[84:85], off
	global_load_b64 v[56:57], v[84:85], off offset:2048
	global_load_b64 v[58:59], v[84:85], off offset:4096
	;; [unrolled: 1-line block ×15, first 2 shown]
.LBB701_896:                            ;   in Loop: Header=BB701_894 Depth=2
	s_and_not1_b32 vcc_lo, exec_lo, s8
	s_movk_i32 s8, 0x1000
	s_cbranch_vccnz .LBB701_915
; %bb.897:                              ;   in Loop: Header=BB701_894 Depth=2
	s_lshl_b64 s[8:9], s[30:31], 3
	s_mov_b32 s11, exec_lo
	s_add_nc_u64 s[8:9], s[36:37], s[8:9]
	s_wait_xcnt 0x0
	v_cmpx_gt_u32_e64 s7, v2
	s_cbranch_execnz .LBB701_947
; %bb.898:                              ;   in Loop: Header=BB701_894 Depth=2
	s_or_b32 exec_lo, exec_lo, s11
	s_delay_alu instid0(SALU_CYCLE_1)
	s_mov_b32 s11, exec_lo
	v_cmpx_gt_u32_e64 s7, v98
	s_cbranch_execnz .LBB701_948
.LBB701_899:                            ;   in Loop: Header=BB701_894 Depth=2
	s_or_b32 exec_lo, exec_lo, s11
	s_delay_alu instid0(SALU_CYCLE_1)
	s_mov_b32 s11, exec_lo
	v_cmpx_gt_u32_e64 s7, v99
	s_cbranch_execnz .LBB701_949
.LBB701_900:                            ;   in Loop: Header=BB701_894 Depth=2
	s_or_b32 exec_lo, exec_lo, s11
	s_delay_alu instid0(SALU_CYCLE_1)
	s_mov_b32 s11, exec_lo
	v_cmpx_gt_u32_e64 s7, v100
	s_cbranch_execnz .LBB701_950
.LBB701_901:                            ;   in Loop: Header=BB701_894 Depth=2
	s_or_b32 exec_lo, exec_lo, s11
	s_delay_alu instid0(SALU_CYCLE_1)
	s_mov_b32 s11, exec_lo
	v_cmpx_gt_u32_e64 s7, v101
	s_cbranch_execnz .LBB701_951
.LBB701_902:                            ;   in Loop: Header=BB701_894 Depth=2
	s_or_b32 exec_lo, exec_lo, s11
	s_delay_alu instid0(SALU_CYCLE_1)
	s_mov_b32 s11, exec_lo
	v_cmpx_gt_u32_e64 s7, v102
	s_cbranch_execnz .LBB701_952
.LBB701_903:                            ;   in Loop: Header=BB701_894 Depth=2
	s_or_b32 exec_lo, exec_lo, s11
	s_delay_alu instid0(SALU_CYCLE_1)
	s_mov_b32 s11, exec_lo
	v_cmpx_gt_u32_e64 s7, v103
	s_cbranch_execnz .LBB701_953
.LBB701_904:                            ;   in Loop: Header=BB701_894 Depth=2
	s_or_b32 exec_lo, exec_lo, s11
	s_delay_alu instid0(SALU_CYCLE_1)
	s_mov_b32 s11, exec_lo
	v_cmpx_gt_u32_e64 s7, v104
	s_cbranch_execnz .LBB701_954
.LBB701_905:                            ;   in Loop: Header=BB701_894 Depth=2
	s_or_b32 exec_lo, exec_lo, s11
	s_delay_alu instid0(SALU_CYCLE_1)
	s_mov_b32 s11, exec_lo
	v_cmpx_gt_u32_e64 s7, v105
	s_cbranch_execnz .LBB701_955
.LBB701_906:                            ;   in Loop: Header=BB701_894 Depth=2
	s_or_b32 exec_lo, exec_lo, s11
	s_delay_alu instid0(SALU_CYCLE_1)
	s_mov_b32 s11, exec_lo
	v_cmpx_gt_u32_e64 s7, v106
	s_cbranch_execnz .LBB701_956
.LBB701_907:                            ;   in Loop: Header=BB701_894 Depth=2
	s_or_b32 exec_lo, exec_lo, s11
	s_delay_alu instid0(SALU_CYCLE_1)
	s_mov_b32 s11, exec_lo
	v_cmpx_gt_u32_e64 s7, v107
	s_cbranch_execnz .LBB701_957
.LBB701_908:                            ;   in Loop: Header=BB701_894 Depth=2
	s_or_b32 exec_lo, exec_lo, s11
	s_delay_alu instid0(SALU_CYCLE_1)
	s_mov_b32 s11, exec_lo
	v_cmpx_gt_u32_e64 s7, v108
	s_cbranch_execnz .LBB701_958
.LBB701_909:                            ;   in Loop: Header=BB701_894 Depth=2
	s_or_b32 exec_lo, exec_lo, s11
	s_delay_alu instid0(SALU_CYCLE_1)
	s_mov_b32 s11, exec_lo
	v_cmpx_gt_u32_e64 s7, v109
	s_cbranch_execnz .LBB701_959
.LBB701_910:                            ;   in Loop: Header=BB701_894 Depth=2
	s_or_b32 exec_lo, exec_lo, s11
	s_delay_alu instid0(SALU_CYCLE_1)
	s_mov_b32 s11, exec_lo
	v_cmpx_gt_u32_e64 s7, v110
	s_cbranch_execnz .LBB701_960
.LBB701_911:                            ;   in Loop: Header=BB701_894 Depth=2
	s_or_b32 exec_lo, exec_lo, s11
	s_delay_alu instid0(SALU_CYCLE_1)
	s_mov_b32 s11, exec_lo
	v_cmpx_gt_u32_e64 s7, v111
	s_cbranch_execnz .LBB701_961
.LBB701_912:                            ;   in Loop: Header=BB701_894 Depth=2
	s_or_b32 exec_lo, exec_lo, s11
	s_delay_alu instid0(SALU_CYCLE_1)
	s_mov_b32 s11, exec_lo
	v_cmpx_gt_u32_e64 s7, v112
	s_cbranch_execz .LBB701_914
.LBB701_913:                            ;   in Loop: Header=BB701_894 Depth=2
	global_load_b64 v[22:23], v2, s[8:9] offset:30720 scale_offset
.LBB701_914:                            ;   in Loop: Header=BB701_894 Depth=2
	s_wait_xcnt 0x0
	s_or_b32 exec_lo, exec_lo, s11
	s_wait_loadcnt 0x0
	v_mov_b64_e32 v[54:55], v[52:53]
	v_mov_b64_e32 v[56:57], v[50:51]
	;; [unrolled: 1-line block ×16, first 2 shown]
	s_mov_b32 s8, s7
.LBB701_915:                            ;   in Loop: Header=BB701_894 Depth=2
	s_wait_loadcnt 0x0
	s_delay_alu instid0(VALU_DEP_1) | instskip(NEXT) | instid1(VALU_DEP_3)
	v_mov_b64_e32 v[22:23], v[84:85]
	v_mov_b64_e32 v[24:25], v[82:83]
	;; [unrolled: 1-line block ×16, first 2 shown]
	s_mov_b32 s9, exec_lo
	s_wait_xcnt 0x0
	v_cmpx_gt_u32_e64 s8, v2
	s_cbranch_execnz .LBB701_931
; %bb.916:                              ;   in Loop: Header=BB701_894 Depth=2
	s_or_b32 exec_lo, exec_lo, s9
	s_delay_alu instid0(SALU_CYCLE_1)
	s_mov_b32 s9, exec_lo
	v_cmpx_gt_u32_e64 s8, v98
	s_cbranch_execnz .LBB701_932
.LBB701_917:                            ;   in Loop: Header=BB701_894 Depth=2
	s_or_b32 exec_lo, exec_lo, s9
	s_delay_alu instid0(SALU_CYCLE_1)
	s_mov_b32 s9, exec_lo
	v_cmpx_gt_u32_e64 s8, v99
	s_cbranch_execnz .LBB701_933
.LBB701_918:                            ;   in Loop: Header=BB701_894 Depth=2
	s_or_b32 exec_lo, exec_lo, s9
	s_delay_alu instid0(SALU_CYCLE_1)
	s_mov_b32 s9, exec_lo
	v_cmpx_gt_u32_e64 s8, v100
	s_cbranch_execnz .LBB701_934
.LBB701_919:                            ;   in Loop: Header=BB701_894 Depth=2
	s_or_b32 exec_lo, exec_lo, s9
	s_delay_alu instid0(SALU_CYCLE_1)
	s_mov_b32 s9, exec_lo
	v_cmpx_gt_u32_e64 s8, v101
	s_cbranch_execnz .LBB701_935
.LBB701_920:                            ;   in Loop: Header=BB701_894 Depth=2
	s_or_b32 exec_lo, exec_lo, s9
	s_delay_alu instid0(SALU_CYCLE_1)
	s_mov_b32 s9, exec_lo
	v_cmpx_gt_u32_e64 s8, v102
	s_cbranch_execnz .LBB701_936
.LBB701_921:                            ;   in Loop: Header=BB701_894 Depth=2
	s_or_b32 exec_lo, exec_lo, s9
	s_delay_alu instid0(SALU_CYCLE_1)
	s_mov_b32 s9, exec_lo
	v_cmpx_gt_u32_e64 s8, v103
	s_cbranch_execnz .LBB701_937
.LBB701_922:                            ;   in Loop: Header=BB701_894 Depth=2
	s_or_b32 exec_lo, exec_lo, s9
	s_delay_alu instid0(SALU_CYCLE_1)
	s_mov_b32 s9, exec_lo
	v_cmpx_gt_u32_e64 s8, v104
	s_cbranch_execnz .LBB701_938
.LBB701_923:                            ;   in Loop: Header=BB701_894 Depth=2
	s_or_b32 exec_lo, exec_lo, s9
	s_delay_alu instid0(SALU_CYCLE_1)
	s_mov_b32 s9, exec_lo
	v_cmpx_gt_u32_e64 s8, v105
	s_cbranch_execnz .LBB701_939
.LBB701_924:                            ;   in Loop: Header=BB701_894 Depth=2
	s_or_b32 exec_lo, exec_lo, s9
	s_delay_alu instid0(SALU_CYCLE_1)
	s_mov_b32 s9, exec_lo
	v_cmpx_gt_u32_e64 s8, v106
	s_cbranch_execnz .LBB701_940
.LBB701_925:                            ;   in Loop: Header=BB701_894 Depth=2
	s_or_b32 exec_lo, exec_lo, s9
	s_delay_alu instid0(SALU_CYCLE_1)
	s_mov_b32 s9, exec_lo
	v_cmpx_gt_u32_e64 s8, v107
	s_cbranch_execnz .LBB701_941
.LBB701_926:                            ;   in Loop: Header=BB701_894 Depth=2
	s_or_b32 exec_lo, exec_lo, s9
	s_delay_alu instid0(SALU_CYCLE_1)
	s_mov_b32 s9, exec_lo
	v_cmpx_gt_u32_e64 s8, v108
	s_cbranch_execnz .LBB701_942
.LBB701_927:                            ;   in Loop: Header=BB701_894 Depth=2
	s_or_b32 exec_lo, exec_lo, s9
	s_delay_alu instid0(SALU_CYCLE_1)
	s_mov_b32 s9, exec_lo
	v_cmpx_gt_u32_e64 s8, v109
	s_cbranch_execnz .LBB701_943
.LBB701_928:                            ;   in Loop: Header=BB701_894 Depth=2
	s_or_b32 exec_lo, exec_lo, s9
	s_delay_alu instid0(SALU_CYCLE_1)
	s_mov_b32 s9, exec_lo
	v_cmpx_gt_u32_e64 s8, v110
	s_cbranch_execnz .LBB701_944
.LBB701_929:                            ;   in Loop: Header=BB701_894 Depth=2
	s_or_b32 exec_lo, exec_lo, s9
	s_delay_alu instid0(SALU_CYCLE_1)
	s_mov_b32 s9, exec_lo
	v_cmpx_gt_u32_e64 s8, v111
	s_cbranch_execnz .LBB701_945
.LBB701_930:                            ;   in Loop: Header=BB701_894 Depth=2
	s_or_b32 exec_lo, exec_lo, s9
	v_cmp_gt_u32_e32 vcc_lo, s8, v112
	s_and_saveexec_b32 s8, vcc_lo
	s_cbranch_execz .LBB701_893
	s_branch .LBB701_946
.LBB701_931:                            ;   in Loop: Header=BB701_894 Depth=2
	s_delay_alu instid0(VALU_DEP_2) | instskip(NEXT) | instid1(VALU_DEP_3)
	v_xor_b32_e32 v55, 0x7fffffff, v53
	v_not_b32_e32 v54, v52
	s_delay_alu instid0(VALU_DEP_1) | instskip(NEXT) | instid1(VALU_DEP_1)
	v_lshrrev_b64 v[54:55], s43, v[54:55]
	v_and_b32_e32 v54, s55, v54
	s_delay_alu instid0(VALU_DEP_1) | instskip(SKIP_2) | instid1(SALU_CYCLE_1)
	v_lshl_or_b32 v54, v54, 4, v113
	ds_add_u32 v54, v125
	s_or_b32 exec_lo, exec_lo, s9
	s_mov_b32 s9, exec_lo
	v_cmpx_gt_u32_e64 s8, v98
	s_cbranch_execz .LBB701_917
.LBB701_932:                            ;   in Loop: Header=BB701_894 Depth=2
	v_xor_b32_e32 v55, 0x7fffffff, v51
	v_not_b32_e32 v54, v50
	s_delay_alu instid0(VALU_DEP_1) | instskip(NEXT) | instid1(VALU_DEP_1)
	v_lshrrev_b64 v[54:55], s43, v[54:55]
	v_and_b32_e32 v54, s55, v54
	s_delay_alu instid0(VALU_DEP_1) | instskip(SKIP_2) | instid1(SALU_CYCLE_1)
	v_lshl_or_b32 v54, v54, 4, v113
	ds_add_u32 v54, v125
	s_or_b32 exec_lo, exec_lo, s9
	s_mov_b32 s9, exec_lo
	v_cmpx_gt_u32_e64 s8, v99
	s_cbranch_execz .LBB701_918
.LBB701_933:                            ;   in Loop: Header=BB701_894 Depth=2
	v_xor_b32_e32 v55, 0x7fffffff, v49
	v_not_b32_e32 v54, v48
	s_delay_alu instid0(VALU_DEP_1) | instskip(NEXT) | instid1(VALU_DEP_1)
	v_lshrrev_b64 v[54:55], s43, v[54:55]
	v_and_b32_e32 v54, s55, v54
	s_delay_alu instid0(VALU_DEP_1) | instskip(SKIP_2) | instid1(SALU_CYCLE_1)
	v_lshl_or_b32 v54, v54, 4, v113
	ds_add_u32 v54, v125
	s_or_b32 exec_lo, exec_lo, s9
	s_mov_b32 s9, exec_lo
	v_cmpx_gt_u32_e64 s8, v100
	s_cbranch_execz .LBB701_919
.LBB701_934:                            ;   in Loop: Header=BB701_894 Depth=2
	v_xor_b32_e32 v55, 0x7fffffff, v47
	v_not_b32_e32 v54, v46
	s_delay_alu instid0(VALU_DEP_1) | instskip(NEXT) | instid1(VALU_DEP_1)
	v_lshrrev_b64 v[54:55], s43, v[54:55]
	v_and_b32_e32 v54, s55, v54
	s_delay_alu instid0(VALU_DEP_1) | instskip(SKIP_2) | instid1(SALU_CYCLE_1)
	v_lshl_or_b32 v54, v54, 4, v113
	ds_add_u32 v54, v125
	s_or_b32 exec_lo, exec_lo, s9
	s_mov_b32 s9, exec_lo
	v_cmpx_gt_u32_e64 s8, v101
	s_cbranch_execz .LBB701_920
.LBB701_935:                            ;   in Loop: Header=BB701_894 Depth=2
	v_xor_b32_e32 v55, 0x7fffffff, v45
	v_not_b32_e32 v54, v44
	s_delay_alu instid0(VALU_DEP_1) | instskip(NEXT) | instid1(VALU_DEP_1)
	v_lshrrev_b64 v[54:55], s43, v[54:55]
	v_and_b32_e32 v54, s55, v54
	s_delay_alu instid0(VALU_DEP_1) | instskip(SKIP_2) | instid1(SALU_CYCLE_1)
	v_lshl_or_b32 v54, v54, 4, v113
	ds_add_u32 v54, v125
	s_or_b32 exec_lo, exec_lo, s9
	s_mov_b32 s9, exec_lo
	v_cmpx_gt_u32_e64 s8, v102
	s_cbranch_execz .LBB701_921
.LBB701_936:                            ;   in Loop: Header=BB701_894 Depth=2
	v_xor_b32_e32 v55, 0x7fffffff, v43
	v_not_b32_e32 v54, v42
	s_delay_alu instid0(VALU_DEP_1) | instskip(NEXT) | instid1(VALU_DEP_1)
	v_lshrrev_b64 v[54:55], s43, v[54:55]
	v_and_b32_e32 v54, s55, v54
	s_delay_alu instid0(VALU_DEP_1) | instskip(SKIP_2) | instid1(SALU_CYCLE_1)
	v_lshl_or_b32 v54, v54, 4, v113
	ds_add_u32 v54, v125
	s_or_b32 exec_lo, exec_lo, s9
	s_mov_b32 s9, exec_lo
	v_cmpx_gt_u32_e64 s8, v103
	s_cbranch_execz .LBB701_922
.LBB701_937:                            ;   in Loop: Header=BB701_894 Depth=2
	v_xor_b32_e32 v55, 0x7fffffff, v41
	v_not_b32_e32 v54, v40
	s_delay_alu instid0(VALU_DEP_1) | instskip(NEXT) | instid1(VALU_DEP_1)
	v_lshrrev_b64 v[54:55], s43, v[54:55]
	v_and_b32_e32 v54, s55, v54
	s_delay_alu instid0(VALU_DEP_1) | instskip(SKIP_2) | instid1(SALU_CYCLE_1)
	v_lshl_or_b32 v54, v54, 4, v113
	ds_add_u32 v54, v125
	s_or_b32 exec_lo, exec_lo, s9
	s_mov_b32 s9, exec_lo
	v_cmpx_gt_u32_e64 s8, v104
	s_cbranch_execz .LBB701_923
.LBB701_938:                            ;   in Loop: Header=BB701_894 Depth=2
	v_xor_b32_e32 v55, 0x7fffffff, v39
	v_not_b32_e32 v54, v38
	s_delay_alu instid0(VALU_DEP_1) | instskip(NEXT) | instid1(VALU_DEP_1)
	v_lshrrev_b64 v[54:55], s43, v[54:55]
	v_and_b32_e32 v54, s55, v54
	s_delay_alu instid0(VALU_DEP_1) | instskip(SKIP_2) | instid1(SALU_CYCLE_1)
	v_lshl_or_b32 v54, v54, 4, v113
	ds_add_u32 v54, v125
	s_or_b32 exec_lo, exec_lo, s9
	s_mov_b32 s9, exec_lo
	v_cmpx_gt_u32_e64 s8, v105
	s_cbranch_execz .LBB701_924
.LBB701_939:                            ;   in Loop: Header=BB701_894 Depth=2
	v_xor_b32_e32 v55, 0x7fffffff, v37
	v_not_b32_e32 v54, v36
	s_delay_alu instid0(VALU_DEP_1) | instskip(NEXT) | instid1(VALU_DEP_1)
	v_lshrrev_b64 v[54:55], s43, v[54:55]
	v_and_b32_e32 v54, s55, v54
	s_delay_alu instid0(VALU_DEP_1) | instskip(SKIP_2) | instid1(SALU_CYCLE_1)
	v_lshl_or_b32 v54, v54, 4, v113
	ds_add_u32 v54, v125
	s_or_b32 exec_lo, exec_lo, s9
	s_mov_b32 s9, exec_lo
	v_cmpx_gt_u32_e64 s8, v106
	s_cbranch_execz .LBB701_925
.LBB701_940:                            ;   in Loop: Header=BB701_894 Depth=2
	v_xor_b32_e32 v55, 0x7fffffff, v35
	v_not_b32_e32 v54, v34
	s_delay_alu instid0(VALU_DEP_1) | instskip(NEXT) | instid1(VALU_DEP_1)
	v_lshrrev_b64 v[54:55], s43, v[54:55]
	v_and_b32_e32 v54, s55, v54
	s_delay_alu instid0(VALU_DEP_1) | instskip(SKIP_2) | instid1(SALU_CYCLE_1)
	v_lshl_or_b32 v54, v54, 4, v113
	ds_add_u32 v54, v125
	s_or_b32 exec_lo, exec_lo, s9
	s_mov_b32 s9, exec_lo
	v_cmpx_gt_u32_e64 s8, v107
	s_cbranch_execz .LBB701_926
.LBB701_941:                            ;   in Loop: Header=BB701_894 Depth=2
	v_xor_b32_e32 v55, 0x7fffffff, v33
	v_not_b32_e32 v54, v32
	s_delay_alu instid0(VALU_DEP_1) | instskip(NEXT) | instid1(VALU_DEP_1)
	v_lshrrev_b64 v[54:55], s43, v[54:55]
	v_and_b32_e32 v54, s55, v54
	s_delay_alu instid0(VALU_DEP_1) | instskip(SKIP_2) | instid1(SALU_CYCLE_1)
	v_lshl_or_b32 v54, v54, 4, v113
	ds_add_u32 v54, v125
	s_or_b32 exec_lo, exec_lo, s9
	s_mov_b32 s9, exec_lo
	v_cmpx_gt_u32_e64 s8, v108
	s_cbranch_execz .LBB701_927
.LBB701_942:                            ;   in Loop: Header=BB701_894 Depth=2
	v_xor_b32_e32 v55, 0x7fffffff, v31
	v_not_b32_e32 v54, v30
	s_delay_alu instid0(VALU_DEP_1) | instskip(NEXT) | instid1(VALU_DEP_1)
	v_lshrrev_b64 v[54:55], s43, v[54:55]
	v_and_b32_e32 v54, s55, v54
	s_delay_alu instid0(VALU_DEP_1) | instskip(SKIP_2) | instid1(SALU_CYCLE_1)
	v_lshl_or_b32 v54, v54, 4, v113
	ds_add_u32 v54, v125
	s_or_b32 exec_lo, exec_lo, s9
	s_mov_b32 s9, exec_lo
	v_cmpx_gt_u32_e64 s8, v109
	s_cbranch_execz .LBB701_928
.LBB701_943:                            ;   in Loop: Header=BB701_894 Depth=2
	v_xor_b32_e32 v55, 0x7fffffff, v29
	v_not_b32_e32 v54, v28
	s_delay_alu instid0(VALU_DEP_1) | instskip(NEXT) | instid1(VALU_DEP_1)
	v_lshrrev_b64 v[54:55], s43, v[54:55]
	v_and_b32_e32 v54, s55, v54
	s_delay_alu instid0(VALU_DEP_1) | instskip(SKIP_2) | instid1(SALU_CYCLE_1)
	v_lshl_or_b32 v54, v54, 4, v113
	ds_add_u32 v54, v125
	s_or_b32 exec_lo, exec_lo, s9
	s_mov_b32 s9, exec_lo
	v_cmpx_gt_u32_e64 s8, v110
	s_cbranch_execz .LBB701_929
.LBB701_944:                            ;   in Loop: Header=BB701_894 Depth=2
	v_xor_b32_e32 v55, 0x7fffffff, v27
	v_not_b32_e32 v54, v26
	s_delay_alu instid0(VALU_DEP_1) | instskip(NEXT) | instid1(VALU_DEP_1)
	v_lshrrev_b64 v[54:55], s43, v[54:55]
	v_and_b32_e32 v54, s55, v54
	s_delay_alu instid0(VALU_DEP_1) | instskip(SKIP_2) | instid1(SALU_CYCLE_1)
	v_lshl_or_b32 v54, v54, 4, v113
	ds_add_u32 v54, v125
	s_or_b32 exec_lo, exec_lo, s9
	s_mov_b32 s9, exec_lo
	v_cmpx_gt_u32_e64 s8, v111
	s_cbranch_execz .LBB701_930
.LBB701_945:                            ;   in Loop: Header=BB701_894 Depth=2
	v_xor_b32_e32 v55, 0x7fffffff, v25
	v_not_b32_e32 v54, v24
	s_delay_alu instid0(VALU_DEP_1) | instskip(NEXT) | instid1(VALU_DEP_1)
	v_lshrrev_b64 v[54:55], s43, v[54:55]
	v_and_b32_e32 v54, s55, v54
	s_delay_alu instid0(VALU_DEP_1)
	v_lshl_or_b32 v54, v54, 4, v113
	ds_add_u32 v54, v125
	s_or_b32 exec_lo, exec_lo, s9
	v_cmp_gt_u32_e32 vcc_lo, s8, v112
	s_and_saveexec_b32 s8, vcc_lo
	s_cbranch_execz .LBB701_893
.LBB701_946:                            ;   in Loop: Header=BB701_894 Depth=2
	v_xor_b32_e32 v55, 0x7fffffff, v23
	v_not_b32_e32 v54, v22
	s_delay_alu instid0(VALU_DEP_1) | instskip(NEXT) | instid1(VALU_DEP_1)
	v_lshrrev_b64 v[54:55], s43, v[54:55]
	v_and_b32_e32 v54, s55, v54
	s_delay_alu instid0(VALU_DEP_1)
	v_lshl_or_b32 v54, v54, 4, v113
	ds_add_u32 v54, v125
	s_branch .LBB701_893
.LBB701_947:                            ;   in Loop: Header=BB701_894 Depth=2
	global_load_b64 v[52:53], v2, s[8:9] scale_offset
	s_wait_xcnt 0x0
	s_or_b32 exec_lo, exec_lo, s11
	s_delay_alu instid0(SALU_CYCLE_1)
	s_mov_b32 s11, exec_lo
	v_cmpx_gt_u32_e64 s7, v98
	s_cbranch_execz .LBB701_899
.LBB701_948:                            ;   in Loop: Header=BB701_894 Depth=2
	global_load_b64 v[50:51], v2, s[8:9] offset:2048 scale_offset
	s_wait_xcnt 0x0
	s_or_b32 exec_lo, exec_lo, s11
	s_delay_alu instid0(SALU_CYCLE_1)
	s_mov_b32 s11, exec_lo
	v_cmpx_gt_u32_e64 s7, v99
	s_cbranch_execz .LBB701_900
.LBB701_949:                            ;   in Loop: Header=BB701_894 Depth=2
	global_load_b64 v[48:49], v2, s[8:9] offset:4096 scale_offset
	s_wait_xcnt 0x0
	s_or_b32 exec_lo, exec_lo, s11
	s_delay_alu instid0(SALU_CYCLE_1)
	s_mov_b32 s11, exec_lo
	v_cmpx_gt_u32_e64 s7, v100
	s_cbranch_execz .LBB701_901
.LBB701_950:                            ;   in Loop: Header=BB701_894 Depth=2
	global_load_b64 v[46:47], v2, s[8:9] offset:6144 scale_offset
	s_wait_xcnt 0x0
	s_or_b32 exec_lo, exec_lo, s11
	s_delay_alu instid0(SALU_CYCLE_1)
	s_mov_b32 s11, exec_lo
	v_cmpx_gt_u32_e64 s7, v101
	s_cbranch_execz .LBB701_902
.LBB701_951:                            ;   in Loop: Header=BB701_894 Depth=2
	global_load_b64 v[44:45], v2, s[8:9] offset:8192 scale_offset
	s_wait_xcnt 0x0
	s_or_b32 exec_lo, exec_lo, s11
	s_delay_alu instid0(SALU_CYCLE_1)
	s_mov_b32 s11, exec_lo
	v_cmpx_gt_u32_e64 s7, v102
	s_cbranch_execz .LBB701_903
.LBB701_952:                            ;   in Loop: Header=BB701_894 Depth=2
	global_load_b64 v[42:43], v2, s[8:9] offset:10240 scale_offset
	s_wait_xcnt 0x0
	s_or_b32 exec_lo, exec_lo, s11
	s_delay_alu instid0(SALU_CYCLE_1)
	s_mov_b32 s11, exec_lo
	v_cmpx_gt_u32_e64 s7, v103
	s_cbranch_execz .LBB701_904
.LBB701_953:                            ;   in Loop: Header=BB701_894 Depth=2
	global_load_b64 v[40:41], v2, s[8:9] offset:12288 scale_offset
	s_wait_xcnt 0x0
	s_or_b32 exec_lo, exec_lo, s11
	s_delay_alu instid0(SALU_CYCLE_1)
	s_mov_b32 s11, exec_lo
	v_cmpx_gt_u32_e64 s7, v104
	s_cbranch_execz .LBB701_905
.LBB701_954:                            ;   in Loop: Header=BB701_894 Depth=2
	global_load_b64 v[38:39], v2, s[8:9] offset:14336 scale_offset
	s_wait_xcnt 0x0
	s_or_b32 exec_lo, exec_lo, s11
	s_delay_alu instid0(SALU_CYCLE_1)
	s_mov_b32 s11, exec_lo
	v_cmpx_gt_u32_e64 s7, v105
	s_cbranch_execz .LBB701_906
.LBB701_955:                            ;   in Loop: Header=BB701_894 Depth=2
	global_load_b64 v[36:37], v2, s[8:9] offset:16384 scale_offset
	s_wait_xcnt 0x0
	s_or_b32 exec_lo, exec_lo, s11
	s_delay_alu instid0(SALU_CYCLE_1)
	s_mov_b32 s11, exec_lo
	v_cmpx_gt_u32_e64 s7, v106
	s_cbranch_execz .LBB701_907
.LBB701_956:                            ;   in Loop: Header=BB701_894 Depth=2
	global_load_b64 v[34:35], v2, s[8:9] offset:18432 scale_offset
	s_wait_xcnt 0x0
	s_or_b32 exec_lo, exec_lo, s11
	s_delay_alu instid0(SALU_CYCLE_1)
	s_mov_b32 s11, exec_lo
	v_cmpx_gt_u32_e64 s7, v107
	s_cbranch_execz .LBB701_908
.LBB701_957:                            ;   in Loop: Header=BB701_894 Depth=2
	global_load_b64 v[32:33], v2, s[8:9] offset:20480 scale_offset
	s_wait_xcnt 0x0
	s_or_b32 exec_lo, exec_lo, s11
	s_delay_alu instid0(SALU_CYCLE_1)
	s_mov_b32 s11, exec_lo
	v_cmpx_gt_u32_e64 s7, v108
	s_cbranch_execz .LBB701_909
.LBB701_958:                            ;   in Loop: Header=BB701_894 Depth=2
	global_load_b64 v[30:31], v2, s[8:9] offset:22528 scale_offset
	s_wait_xcnt 0x0
	s_or_b32 exec_lo, exec_lo, s11
	s_delay_alu instid0(SALU_CYCLE_1)
	s_mov_b32 s11, exec_lo
	v_cmpx_gt_u32_e64 s7, v109
	s_cbranch_execz .LBB701_910
.LBB701_959:                            ;   in Loop: Header=BB701_894 Depth=2
	global_load_b64 v[28:29], v2, s[8:9] offset:24576 scale_offset
	s_wait_xcnt 0x0
	s_or_b32 exec_lo, exec_lo, s11
	s_delay_alu instid0(SALU_CYCLE_1)
	s_mov_b32 s11, exec_lo
	v_cmpx_gt_u32_e64 s7, v110
	s_cbranch_execz .LBB701_911
.LBB701_960:                            ;   in Loop: Header=BB701_894 Depth=2
	global_load_b64 v[26:27], v2, s[8:9] offset:26624 scale_offset
	s_wait_xcnt 0x0
	s_or_b32 exec_lo, exec_lo, s11
	s_delay_alu instid0(SALU_CYCLE_1)
	s_mov_b32 s11, exec_lo
	v_cmpx_gt_u32_e64 s7, v111
	s_cbranch_execz .LBB701_912
.LBB701_961:                            ;   in Loop: Header=BB701_894 Depth=2
	global_load_b64 v[24:25], v2, s[8:9] offset:28672 scale_offset
	s_wait_xcnt 0x0
	s_or_b32 exec_lo, exec_lo, s11
	s_delay_alu instid0(SALU_CYCLE_1)
	s_mov_b32 s11, exec_lo
	v_cmpx_gt_u32_e64 s7, v112
	s_cbranch_execnz .LBB701_913
	s_branch .LBB701_914
.LBB701_962:                            ;   in Loop: Header=BB701_12 Depth=1
	v_mov_b32_e32 v22, 0
	s_wait_dscnt 0x0
	s_barrier_signal -1
	s_barrier_wait -1
	s_and_saveexec_b32 s7, s0
	s_cbranch_execz .LBB701_964
; %bb.963:                              ;   in Loop: Header=BB701_12 Depth=1
	ds_load_2addr_b64 v[22:25], v115 offset1:1
	s_wait_dscnt 0x0
	v_add_nc_u32_e32 v22, v23, v22
	s_delay_alu instid0(VALU_DEP_1)
	v_add3_u32 v22, v22, v24, v25
.LBB701_964:                            ;   in Loop: Header=BB701_12 Depth=1
	s_or_b32 exec_lo, exec_lo, s7
	s_delay_alu instid0(VALU_DEP_1)
	v_mov_b32_dpp v23, v22 row_shr:1 row_mask:0xf bank_mask:0xf
	v_cmp_eq_u32_e64 s7, 0, v126
	v_cmp_lt_u32_e64 s8, 1, v126
	v_cmp_lt_u32_e64 s9, 3, v126
	v_cmp_lt_u32_e64 s10, 7, v126
	v_cmp_eq_u32_e64 s11, 0, v128
	v_cndmask_b32_e64 v23, v23, 0, s7
	s_delay_alu instid0(VALU_DEP_1) | instskip(NEXT) | instid1(VALU_DEP_1)
	v_add_nc_u32_e32 v22, v23, v22
	v_mov_b32_dpp v23, v22 row_shr:2 row_mask:0xf bank_mask:0xf
	s_delay_alu instid0(VALU_DEP_1) | instskip(NEXT) | instid1(VALU_DEP_1)
	v_cndmask_b32_e64 v23, 0, v23, s8
	v_add_nc_u32_e32 v22, v22, v23
	s_delay_alu instid0(VALU_DEP_1) | instskip(NEXT) | instid1(VALU_DEP_1)
	v_mov_b32_dpp v23, v22 row_shr:4 row_mask:0xf bank_mask:0xf
	v_cndmask_b32_e64 v23, 0, v23, s9
	s_delay_alu instid0(VALU_DEP_1) | instskip(NEXT) | instid1(VALU_DEP_1)
	v_add_nc_u32_e32 v22, v22, v23
	v_mov_b32_dpp v23, v22 row_shr:8 row_mask:0xf bank_mask:0xf
	s_delay_alu instid0(VALU_DEP_1) | instskip(NEXT) | instid1(VALU_DEP_1)
	v_cndmask_b32_e64 v23, 0, v23, s10
	v_add_nc_u32_e32 v22, v22, v23
	ds_swizzle_b32 v23, v22 offset:swizzle(BROADCAST,32,15)
	s_wait_dscnt 0x0
	v_and_b32_e32 v23, v127, v23
	s_delay_alu instid0(VALU_DEP_1)
	v_add_nc_u32_e32 v22, v22, v23
	s_and_saveexec_b32 s12, s1
; %bb.965:                              ;   in Loop: Header=BB701_12 Depth=1
	ds_store_b32 v116, v22
; %bb.966:                              ;   in Loop: Header=BB701_12 Depth=1
	s_or_b32 exec_lo, exec_lo, s12
	s_wait_dscnt 0x0
	s_barrier_signal -1
	s_barrier_wait -1
	s_and_saveexec_b32 s12, s4
	s_cbranch_execz .LBB701_968
; %bb.967:                              ;   in Loop: Header=BB701_12 Depth=1
	ds_load_b32 v23, v117
	v_cmp_ne_u32_e32 vcc_lo, 0, v130
	s_wait_dscnt 0x0
	v_mov_b32_dpp v24, v23 row_shr:1 row_mask:0xf bank_mask:0xf
	s_delay_alu instid0(VALU_DEP_1) | instskip(SKIP_1) | instid1(VALU_DEP_2)
	v_cndmask_b32_e32 v24, 0, v24, vcc_lo
	v_cmp_lt_u32_e32 vcc_lo, 1, v130
	v_add_nc_u32_e32 v23, v24, v23
	s_delay_alu instid0(VALU_DEP_1) | instskip(NEXT) | instid1(VALU_DEP_1)
	v_mov_b32_dpp v24, v23 row_shr:2 row_mask:0xf bank_mask:0xf
	v_cndmask_b32_e32 v24, 0, v24, vcc_lo
	v_cmp_lt_u32_e32 vcc_lo, 3, v130
	s_delay_alu instid0(VALU_DEP_2) | instskip(NEXT) | instid1(VALU_DEP_1)
	v_add_nc_u32_e32 v23, v23, v24
	v_mov_b32_dpp v24, v23 row_shr:4 row_mask:0xf bank_mask:0xf
	s_delay_alu instid0(VALU_DEP_1) | instskip(NEXT) | instid1(VALU_DEP_1)
	v_cndmask_b32_e32 v24, 0, v24, vcc_lo
	v_add_nc_u32_e32 v23, v23, v24
	ds_store_b32 v117, v23
.LBB701_968:                            ;   in Loop: Header=BB701_12 Depth=1
	s_or_b32 exec_lo, exec_lo, s12
	v_mov_b32_e32 v23, 0
	s_wait_dscnt 0x0
	s_barrier_signal -1
	s_barrier_wait -1
	s_and_saveexec_b32 s12, s5
; %bb.969:                              ;   in Loop: Header=BB701_12 Depth=1
	ds_load_b32 v23, v118
; %bb.970:                              ;   in Loop: Header=BB701_12 Depth=1
	s_or_b32 exec_lo, exec_lo, s12
	v_cmp_gt_i32_e32 vcc_lo, 0, v131
	s_wait_dscnt 0x0
	s_barrier_signal -1
	s_barrier_wait -1
	v_cndmask_b32_e32 v24, v131, v124, vcc_lo
	s_delay_alu instid0(VALU_DEP_1)
	v_dual_add_nc_u32 v22, v23, v22 :: v_dual_lshlrev_b32 v147, 2, v24
	ds_bpermute_b32 v22, v147, v22
	s_and_saveexec_b32 s12, s0
	s_cbranch_execz .LBB701_972
; %bb.971:                              ;   in Loop: Header=BB701_12 Depth=1
	s_wait_dscnt 0x0
	v_cndmask_b32_e64 v22, v22, v23, s6
	s_delay_alu instid0(VALU_DEP_1)
	v_add_nc_u32_e32 v22, s52, v22
	ds_store_b32 v3, v22
.LBB701_972:                            ;   in Loop: Header=BB701_12 Depth=1
	s_or_b32 exec_lo, exec_lo, s12
	s_load_b64 s[12:13], s[34:35], 0x0
	v_add_nc_u64_e32 v[24:25], v[20:21], v[4:5]
	s_mov_b32 s56, s54
                                        ; implicit-def: $vgpr28_vgpr29
                                        ; implicit-def: $vgpr30_vgpr31
                                        ; implicit-def: $vgpr32_vgpr33
                                        ; implicit-def: $vgpr34_vgpr35
                                        ; implicit-def: $vgpr36_vgpr37
                                        ; implicit-def: $vgpr38_vgpr39
                                        ; implicit-def: $vgpr40_vgpr41
                                        ; implicit-def: $vgpr42_vgpr43
                                        ; implicit-def: $vgpr44_vgpr45
                                        ; implicit-def: $vgpr46_vgpr47
                                        ; implicit-def: $vgpr48_vgpr49
                                        ; implicit-def: $vgpr50_vgpr51
                                        ; implicit-def: $vgpr52_vgpr53
                                        ; implicit-def: $vgpr54_vgpr55
                                        ; implicit-def: $vgpr56_vgpr57
                                        ; implicit-def: $vgpr149
                                        ; implicit-def: $vgpr150
                                        ; implicit-def: $vgpr151
                                        ; implicit-def: $vgpr152
                                        ; implicit-def: $vgpr153
                                        ; implicit-def: $vgpr154
                                        ; implicit-def: $vgpr155
                                        ; implicit-def: $vgpr156
                                        ; implicit-def: $vgpr157
                                        ; implicit-def: $vgpr158
                                        ; implicit-def: $vgpr159
                                        ; implicit-def: $vgpr160
                                        ; implicit-def: $vgpr161
                                        ; implicit-def: $vgpr162
                                        ; implicit-def: $vgpr163
                                        ; implicit-def: $vgpr164
	s_wait_kmcnt 0x0
	s_cmp_lt_u32 s33, s12
	s_cselect_b32 s30, 12, 18
	s_cmp_lt_u32 s42, s13
	s_mov_b32 s13, s31
	s_cselect_b32 s12, 14, 20
	s_delay_alu instid0(SALU_CYCLE_1)
	s_add_nc_u64 s[12:13], s[34:35], s[12:13]
	s_load_u16 s14, s[12:13], 0x0
	s_wait_xcnt 0x0
	s_add_nc_u64 s[12:13], s[34:35], s[30:31]
	s_mov_b32 s30, s52
	s_load_u16 s12, s[12:13], 0x0
	s_wait_xcnt 0x0
	v_cmp_lt_u32_e64 s13, 1, v130
	s_wait_dscnt 0x0
	s_wait_kmcnt 0x0
	v_mad_u32_u24 v22, v119, s14, v121
	v_cmp_lt_u32_e64 s14, 3, v130
	s_delay_alu instid0(VALU_DEP_2) | instskip(SKIP_1) | instid1(VALU_DEP_2)
	v_mad_u32 v22, v22, s12, v2
	v_cmp_eq_u32_e64 s12, 0, v130
	v_lshrrev_b32_e32 v26, 3, v22
	v_add_nc_u64_e32 v[22:23], v[18:19], v[4:5]
	s_delay_alu instid0(VALU_DEP_2)
	v_and_b32_e32 v148, 0x1ffffffc, v26
                                        ; implicit-def: $vgpr26_vgpr27
	s_branch .LBB701_974
.LBB701_973:                            ;   in Loop: Header=BB701_974 Depth=2
	s_or_b32 exec_lo, exec_lo, s15
	s_addk_co_i32 s56, 0xf000
	s_cmp_lt_u32 s57, s51
	s_mov_b32 s30, s57
	s_cbranch_scc0 .LBB701_10
.LBB701_974:                            ;   Parent Loop BB701_12 Depth=1
                                        ; =>  This Inner Loop Header: Depth=2
	s_add_co_i32 s57, s30, 0x1000
	s_delay_alu instid0(SALU_CYCLE_1)
	s_cmp_gt_u32 s57, s51
	s_cbranch_scc1 .LBB701_976
; %bb.975:                              ;   in Loop: Header=BB701_974 Depth=2
	v_lshl_add_u64 v[58:59], s[30:31], 3, v[24:25]
	s_mov_b32 s15, -1
	s_clause 0xe
	global_load_b64 v[60:61], v[58:59], off
	global_load_b64 v[62:63], v[58:59], off offset:256
	global_load_b64 v[64:65], v[58:59], off offset:512
	;; [unrolled: 1-line block ×14, first 2 shown]
	s_movk_i32 s16, 0x1000
	s_cbranch_execz .LBB701_977
	s_branch .LBB701_1008
.LBB701_976:                            ;   in Loop: Header=BB701_974 Depth=2
	s_mov_b32 s15, 0
                                        ; implicit-def: $vgpr60_vgpr61
                                        ; implicit-def: $vgpr62_vgpr63
                                        ; implicit-def: $vgpr64_vgpr65
                                        ; implicit-def: $vgpr70_vgpr71
                                        ; implicit-def: $vgpr74_vgpr75
                                        ; implicit-def: $vgpr78_vgpr79
                                        ; implicit-def: $vgpr82_vgpr83
                                        ; implicit-def: $vgpr86_vgpr87
                                        ; implicit-def: $vgpr88_vgpr89
                                        ; implicit-def: $vgpr84_vgpr85
                                        ; implicit-def: $vgpr80_vgpr81
                                        ; implicit-def: $vgpr76_vgpr77
                                        ; implicit-def: $vgpr72_vgpr73
                                        ; implicit-def: $vgpr68_vgpr69
                                        ; implicit-def: $vgpr66_vgpr67
	s_movk_i32 s16, 0x1000
.LBB701_977:                            ;   in Loop: Header=BB701_974 Depth=2
	s_wait_loadcnt 0xd
	v_mov_b64_e32 v[62:63], 0x8000000000000000
	v_mov_b64_e32 v[60:61], 0x8000000000000000
	s_wait_xcnt 0x0
	v_lshl_add_u64 v[58:59], s[30:31], 3, v[24:25]
	s_mov_b32 s15, exec_lo
	v_cmpx_gt_u32_e64 s56, v129
	s_cbranch_execz .LBB701_979
; %bb.978:                              ;   in Loop: Header=BB701_974 Depth=2
	global_load_b64 v[60:61], v[58:59], off
.LBB701_979:                            ;   in Loop: Header=BB701_974 Depth=2
	s_wait_xcnt 0x0
	s_or_b32 exec_lo, exec_lo, s15
	s_delay_alu instid0(SALU_CYCLE_1)
	s_mov_b32 s15, exec_lo
	v_cmpx_gt_u32_e64 s56, v132
	s_cbranch_execz .LBB701_981
; %bb.980:                              ;   in Loop: Header=BB701_974 Depth=2
	global_load_b64 v[62:63], v[58:59], off offset:256
.LBB701_981:                            ;   in Loop: Header=BB701_974 Depth=2
	s_wait_xcnt 0x0
	s_or_b32 exec_lo, exec_lo, s15
	s_wait_loadcnt 0xb
	v_mov_b64_e32 v[70:71], 0x8000000000000000
	v_mov_b64_e32 v[64:65], 0x8000000000000000
	s_mov_b32 s15, exec_lo
	v_cmpx_gt_u32_e64 s56, v133
	s_cbranch_execz .LBB701_983
; %bb.982:                              ;   in Loop: Header=BB701_974 Depth=2
	global_load_b64 v[64:65], v[58:59], off offset:512
.LBB701_983:                            ;   in Loop: Header=BB701_974 Depth=2
	s_wait_xcnt 0x0
	s_or_b32 exec_lo, exec_lo, s15
	s_delay_alu instid0(SALU_CYCLE_1)
	s_mov_b32 s15, exec_lo
	v_cmpx_gt_u32_e64 s56, v134
	s_cbranch_execz .LBB701_985
; %bb.984:                              ;   in Loop: Header=BB701_974 Depth=2
	global_load_b64 v[70:71], v[58:59], off offset:768
.LBB701_985:                            ;   in Loop: Header=BB701_974 Depth=2
	s_wait_xcnt 0x0
	s_or_b32 exec_lo, exec_lo, s15
	s_wait_loadcnt 0x9
	v_mov_b64_e32 v[78:79], 0x8000000000000000
	v_mov_b64_e32 v[74:75], 0x8000000000000000
	s_mov_b32 s15, exec_lo
	v_cmpx_gt_u32_e64 s56, v135
	s_cbranch_execz .LBB701_987
; %bb.986:                              ;   in Loop: Header=BB701_974 Depth=2
	global_load_b64 v[74:75], v[58:59], off offset:1024
.LBB701_987:                            ;   in Loop: Header=BB701_974 Depth=2
	;; [unrolled: 20-line block ×5, first 2 shown]
	s_wait_xcnt 0x0
	s_or_b32 exec_lo, exec_lo, s15
	s_delay_alu instid0(SALU_CYCLE_1)
	s_mov_b32 s15, exec_lo
	v_cmpx_gt_u32_e64 s56, v142
	s_cbranch_execz .LBB701_1001
; %bb.1000:                             ;   in Loop: Header=BB701_974 Depth=2
	global_load_b64 v[76:77], v[58:59], off offset:2816
.LBB701_1001:                           ;   in Loop: Header=BB701_974 Depth=2
	s_wait_xcnt 0x0
	s_or_b32 exec_lo, exec_lo, s15
	s_wait_loadcnt 0x1
	v_mov_b64_e32 v[68:69], 0x8000000000000000
	v_mov_b64_e32 v[72:73], 0x8000000000000000
	s_mov_b32 s15, exec_lo
	v_cmpx_gt_u32_e64 s56, v143
	s_cbranch_execz .LBB701_1003
; %bb.1002:                             ;   in Loop: Header=BB701_974 Depth=2
	global_load_b64 v[72:73], v[58:59], off offset:3072
.LBB701_1003:                           ;   in Loop: Header=BB701_974 Depth=2
	s_wait_xcnt 0x0
	s_or_b32 exec_lo, exec_lo, s15
	s_delay_alu instid0(SALU_CYCLE_1)
	s_mov_b32 s15, exec_lo
	v_cmpx_gt_u32_e64 s56, v144
	s_cbranch_execz .LBB701_1005
; %bb.1004:                             ;   in Loop: Header=BB701_974 Depth=2
	global_load_b64 v[68:69], v[58:59], off offset:3328
.LBB701_1005:                           ;   in Loop: Header=BB701_974 Depth=2
	s_wait_xcnt 0x0
	s_or_b32 exec_lo, exec_lo, s15
	s_wait_loadcnt 0x0
	v_mov_b64_e32 v[66:67], 0x8000000000000000
	s_mov_b32 s15, exec_lo
	v_cmpx_gt_u32_e64 s56, v145
	s_cbranch_execz .LBB701_1007
; %bb.1006:                             ;   in Loop: Header=BB701_974 Depth=2
	global_load_b64 v[66:67], v[58:59], off offset:3584
.LBB701_1007:                           ;   in Loop: Header=BB701_974 Depth=2
	s_wait_xcnt 0x0
	s_or_b32 exec_lo, exec_lo, s15
	v_cmp_gt_u32_e64 s15, s56, v146
	s_sub_co_i32 s16, s51, s30
.LBB701_1008:                           ;   in Loop: Header=BB701_974 Depth=2
	s_wait_xcnt 0x0
	v_mov_b64_e32 v[58:59], -1
	v_mov_b32_e32 v165, s56
	s_and_saveexec_b32 s17, s15
	s_cbranch_execz .LBB701_1010
; %bb.1009:                             ;   in Loop: Header=BB701_974 Depth=2
	v_lshl_add_u64 v[58:59], s[30:31], 3, v[24:25]
	v_mov_b32_e32 v165, s16
	global_load_b64 v[58:59], v[58:59], off offset:3840
	s_wait_loadcnt 0x0
	s_wait_xcnt 0x0
	v_xor_b32_e32 v59, 0x7fffffff, v59
	v_not_b32_e32 v58, v58
.LBB701_1010:                           ;   in Loop: Header=BB701_974 Depth=2
	s_or_b32 exec_lo, exec_lo, s17
	s_wait_loadcnt 0xe
	v_xor_b32_e32 v61, 0x7fffffff, v61
	v_not_b32_e32 v60, v60
	v_add_nc_u32_e32 v168, 0x420, v120
	v_add_nc_u32_e32 v169, 0x428, v120
	;; [unrolled: 1-line block ×3, first 2 shown]
	s_delay_alu instid0(VALU_DEP_4) | instskip(NEXT) | instid1(VALU_DEP_1)
	v_lshrrev_b64 v[90:91], s43, v[60:61]
	v_bitop3_b32 v91, v90, 1, s55 bitop3:0x80
	v_and_b32_e32 v92, s55, v90
	s_delay_alu instid0(VALU_DEP_2) | instskip(NEXT) | instid1(VALU_DEP_1)
	v_add_co_u32 v90, s15, v91, -1
	v_cndmask_b32_e64 v91, 0, 1, s15
	s_delay_alu instid0(VALU_DEP_3) | instskip(NEXT) | instid1(VALU_DEP_2)
	v_lshlrev_b32_e32 v93, 30, v92
	v_cmp_ne_u32_e32 vcc_lo, 0, v91
	s_delay_alu instid0(VALU_DEP_2) | instskip(NEXT) | instid1(VALU_DEP_1)
	v_not_b32_e32 v91, v93
	v_dual_ashrrev_i32 v91, 31, v91 :: v_dual_bitop2_b32 v90, vcc_lo, v90 bitop3:0x14
	v_dual_lshlrev_b32 v94, 29, v92 :: v_dual_lshlrev_b32 v95, 28, v92
	v_dual_lshlrev_b32 v96, 27, v92 :: v_dual_lshlrev_b32 v97, 26, v92
	v_lshlrev_b32_e32 v166, 25, v92
	v_cmp_gt_i32_e64 s15, 0, v93
	s_delay_alu instid0(VALU_DEP_4)
	v_cmp_gt_i32_e64 s16, 0, v94
	v_not_b32_e32 v93, v94
	v_not_b32_e32 v94, v95
	v_lshlrev_b32_e32 v167, 24, v92
	v_cmp_gt_i32_e64 s17, 0, v95
	v_cmp_gt_i32_e64 s18, 0, v96
	v_not_b32_e32 v95, v96
	v_cmp_gt_i32_e64 s19, 0, v97
	v_not_b32_e32 v96, v97
	v_not_b32_e32 v97, v166
	v_dual_ashrrev_i32 v93, 31, v93 :: v_dual_ashrrev_i32 v94, 31, v94
	v_xor_b32_e32 v91, s15, v91
	s_delay_alu instid0(VALU_DEP_4) | instskip(NEXT) | instid1(VALU_DEP_3)
	v_dual_ashrrev_i32 v95, 31, v95 :: v_dual_ashrrev_i32 v96, 31, v96
	v_dual_ashrrev_i32 v97, 31, v97 :: v_dual_bitop2_b32 v94, s17, v94 bitop3:0x14
	s_delay_alu instid0(VALU_DEP_3)
	v_bitop3_b32 v90, v90, v91, exec_lo bitop3:0x80
	v_not_b32_e32 v91, v167
	v_xor_b32_e32 v93, s16, v93
	v_xor_b32_e32 v95, s18, v95
	;; [unrolled: 1-line block ×3, first 2 shown]
	v_cmp_gt_i32_e32 vcc_lo, 0, v166
	v_cmp_gt_i32_e64 s15, 0, v167
	v_ashrrev_i32_e32 v91, 31, v91
	v_bitop3_b32 v90, v90, v94, v93 bitop3:0x80
	v_add_nc_u32_e32 v167, 0x438, v120
	v_xor_b32_e32 v93, vcc_lo, v97
	s_delay_alu instid0(VALU_DEP_4) | instskip(NEXT) | instid1(VALU_DEP_4)
	v_xor_b32_e32 v91, s15, v91
	v_bitop3_b32 v90, v90, v96, v95 bitop3:0x80
	ds_store_2addr_b32 v167, v5, v5 offset1:1
	ds_store_2addr_b32 v168, v5, v5 offset1:1
	;; [unrolled: 1-line block ×4, first 2 shown]
	ds_store_b32 v120, v5 offset:1088
	s_wait_loadcnt_dscnt 0x0
	s_barrier_signal -1
	v_bitop3_b32 v90, v90, v91, v93 bitop3:0x80
	v_mul_u32_u24_e32 v91, 36, v92
	s_barrier_wait -1
	s_delay_alu instid0(VALU_DEP_2) | instskip(SKIP_1) | instid1(VALU_DEP_3)
	v_mbcnt_lo_u32_b32 v166, v90, 0
	v_cmp_ne_u32_e64 s15, 0, v90
	v_add_nc_u32_e32 v171, v148, v91
	; wave barrier
	s_delay_alu instid0(VALU_DEP_3) | instskip(SKIP_1) | instid1(SALU_CYCLE_1)
	v_cmp_eq_u32_e32 vcc_lo, 0, v166
	s_and_b32 s16, s15, vcc_lo
	s_and_saveexec_b32 s15, s16
; %bb.1011:                             ;   in Loop: Header=BB701_974 Depth=2
	v_bcnt_u32_b32 v90, v90, 0
	ds_store_b32 v171, v90 offset:1056
; %bb.1012:                             ;   in Loop: Header=BB701_974 Depth=2
	s_or_b32 exec_lo, exec_lo, s15
	v_xor_b32_e32 v63, 0x7fffffff, v63
	v_not_b32_e32 v62, v62
	; wave barrier
	s_delay_alu instid0(VALU_DEP_1) | instskip(NEXT) | instid1(VALU_DEP_1)
	v_lshrrev_b64 v[90:91], s43, v[62:63]
	v_bitop3_b32 v91, v90, 1, s55 bitop3:0x80
	v_and_b32_e32 v92, s55, v90
	s_delay_alu instid0(VALU_DEP_2) | instskip(NEXT) | instid1(VALU_DEP_1)
	v_add_co_u32 v90, s15, v91, -1
	v_cndmask_b32_e64 v91, 0, 1, s15
	s_delay_alu instid0(VALU_DEP_3) | instskip(NEXT) | instid1(VALU_DEP_2)
	v_lshlrev_b32_e32 v93, 30, v92
	v_cmp_ne_u32_e32 vcc_lo, 0, v91
	s_delay_alu instid0(VALU_DEP_2) | instskip(NEXT) | instid1(VALU_DEP_1)
	v_not_b32_e32 v91, v93
	v_dual_ashrrev_i32 v91, 31, v91 :: v_dual_bitop2_b32 v90, vcc_lo, v90 bitop3:0x14
	v_dual_lshlrev_b32 v94, 29, v92 :: v_dual_lshlrev_b32 v95, 28, v92
	v_dual_lshlrev_b32 v96, 27, v92 :: v_dual_lshlrev_b32 v97, 26, v92
	v_lshlrev_b32_e32 v172, 25, v92
	v_cmp_gt_i32_e64 s15, 0, v93
	s_delay_alu instid0(VALU_DEP_4)
	v_cmp_gt_i32_e64 s16, 0, v94
	v_not_b32_e32 v93, v94
	v_not_b32_e32 v94, v95
	v_lshlrev_b32_e32 v173, 24, v92
	v_cmp_gt_i32_e64 s17, 0, v95
	v_cmp_gt_i32_e64 s18, 0, v96
	v_not_b32_e32 v95, v96
	v_not_b32_e32 v96, v97
	v_dual_ashrrev_i32 v93, 31, v93 :: v_dual_ashrrev_i32 v94, 31, v94
	v_xor_b32_e32 v91, s15, v91
	v_cmp_gt_i32_e64 s19, 0, v97
	v_not_b32_e32 v97, v172
	s_delay_alu instid0(VALU_DEP_4) | instskip(SKIP_1) | instid1(VALU_DEP_3)
	v_dual_ashrrev_i32 v95, 31, v95 :: v_dual_bitop2_b32 v93, s16, v93 bitop3:0x14
	v_dual_ashrrev_i32 v96, 31, v96 :: v_dual_bitop2_b32 v94, s17, v94 bitop3:0x14
	v_ashrrev_i32_e32 v97, 31, v97
	v_bitop3_b32 v90, v90, v91, exec_lo bitop3:0x80
	v_not_b32_e32 v91, v173
	v_cmp_gt_i32_e64 s20, 0, v172
	v_xor_b32_e32 v95, s18, v95
	v_xor_b32_e32 v96, s19, v96
	v_bitop3_b32 v90, v90, v94, v93 bitop3:0x80
	v_cmp_gt_i32_e32 vcc_lo, 0, v173
	v_ashrrev_i32_e32 v91, 31, v91
	v_mad_u32_u24 v93, v92, 36, v148
	v_xor_b32_e32 v94, s20, v97
	v_bitop3_b32 v90, v90, v96, v95 bitop3:0x80
	s_delay_alu instid0(VALU_DEP_4) | instskip(SKIP_3) | instid1(VALU_DEP_2)
	v_xor_b32_e32 v91, vcc_lo, v91
	ds_load_b32 v172, v93 offset:1056
	; wave barrier
	v_bitop3_b32 v90, v90, v91, v94 bitop3:0x80
	v_mul_u32_u24_e32 v91, 36, v92
	v_mbcnt_lo_u32_b32 v173, v90, 0
	v_cmp_ne_u32_e64 s15, 0, v90
	s_delay_alu instid0(VALU_DEP_3) | instskip(NEXT) | instid1(VALU_DEP_3)
	v_add_nc_u32_e32 v174, v148, v91
	v_cmp_eq_u32_e32 vcc_lo, 0, v173
	s_and_b32 s16, s15, vcc_lo
	s_delay_alu instid0(SALU_CYCLE_1)
	s_and_saveexec_b32 s15, s16
	s_cbranch_execz .LBB701_1014
; %bb.1013:                             ;   in Loop: Header=BB701_974 Depth=2
	s_wait_dscnt 0x0
	v_bcnt_u32_b32 v90, v90, v172
	ds_store_b32 v174, v90 offset:1056
.LBB701_1014:                           ;   in Loop: Header=BB701_974 Depth=2
	s_or_b32 exec_lo, exec_lo, s15
	v_xor_b32_e32 v65, 0x7fffffff, v65
	v_not_b32_e32 v64, v64
	; wave barrier
	s_delay_alu instid0(VALU_DEP_1) | instskip(NEXT) | instid1(VALU_DEP_1)
	v_lshrrev_b64 v[90:91], s43, v[64:65]
	v_bitop3_b32 v91, v90, 1, s55 bitop3:0x80
	v_and_b32_e32 v92, s55, v90
	s_delay_alu instid0(VALU_DEP_2) | instskip(NEXT) | instid1(VALU_DEP_1)
	v_add_co_u32 v90, s15, v91, -1
	v_cndmask_b32_e64 v91, 0, 1, s15
	s_delay_alu instid0(VALU_DEP_3) | instskip(NEXT) | instid1(VALU_DEP_2)
	v_lshlrev_b32_e32 v93, 30, v92
	v_cmp_ne_u32_e32 vcc_lo, 0, v91
	s_delay_alu instid0(VALU_DEP_2) | instskip(NEXT) | instid1(VALU_DEP_1)
	v_not_b32_e32 v91, v93
	v_dual_ashrrev_i32 v91, 31, v91 :: v_dual_bitop2_b32 v90, vcc_lo, v90 bitop3:0x14
	v_dual_lshlrev_b32 v94, 29, v92 :: v_dual_lshlrev_b32 v95, 28, v92
	v_dual_lshlrev_b32 v96, 27, v92 :: v_dual_lshlrev_b32 v97, 26, v92
	v_lshlrev_b32_e32 v175, 25, v92
	v_cmp_gt_i32_e64 s15, 0, v93
	s_delay_alu instid0(VALU_DEP_4)
	v_cmp_gt_i32_e64 s16, 0, v94
	v_not_b32_e32 v93, v94
	v_not_b32_e32 v94, v95
	v_lshlrev_b32_e32 v176, 24, v92
	v_cmp_gt_i32_e64 s17, 0, v95
	v_cmp_gt_i32_e64 s18, 0, v96
	v_not_b32_e32 v95, v96
	v_not_b32_e32 v96, v97
	v_dual_ashrrev_i32 v93, 31, v93 :: v_dual_ashrrev_i32 v94, 31, v94
	v_xor_b32_e32 v91, s15, v91
	v_cmp_gt_i32_e64 s19, 0, v97
	v_not_b32_e32 v97, v175
	s_delay_alu instid0(VALU_DEP_4) | instskip(SKIP_1) | instid1(VALU_DEP_3)
	v_dual_ashrrev_i32 v95, 31, v95 :: v_dual_bitop2_b32 v93, s16, v93 bitop3:0x14
	v_dual_ashrrev_i32 v96, 31, v96 :: v_dual_bitop2_b32 v94, s17, v94 bitop3:0x14
	v_ashrrev_i32_e32 v97, 31, v97
	v_bitop3_b32 v90, v90, v91, exec_lo bitop3:0x80
	v_not_b32_e32 v91, v176
	v_cmp_gt_i32_e64 s20, 0, v175
	v_xor_b32_e32 v95, s18, v95
	v_xor_b32_e32 v96, s19, v96
	v_bitop3_b32 v90, v90, v94, v93 bitop3:0x80
	v_cmp_gt_i32_e32 vcc_lo, 0, v176
	v_ashrrev_i32_e32 v91, 31, v91
	v_mad_u32_u24 v93, v92, 36, v148
	v_xor_b32_e32 v94, s20, v97
	v_bitop3_b32 v90, v90, v96, v95 bitop3:0x80
	s_delay_alu instid0(VALU_DEP_4) | instskip(SKIP_3) | instid1(VALU_DEP_2)
	v_xor_b32_e32 v91, vcc_lo, v91
	ds_load_b32 v175, v93 offset:1056
	; wave barrier
	v_bitop3_b32 v90, v90, v91, v94 bitop3:0x80
	v_mul_u32_u24_e32 v91, 36, v92
	v_mbcnt_lo_u32_b32 v176, v90, 0
	v_cmp_ne_u32_e64 s15, 0, v90
	s_delay_alu instid0(VALU_DEP_3) | instskip(NEXT) | instid1(VALU_DEP_3)
	v_add_nc_u32_e32 v177, v148, v91
	v_cmp_eq_u32_e32 vcc_lo, 0, v176
	s_and_b32 s16, s15, vcc_lo
	s_delay_alu instid0(SALU_CYCLE_1)
	s_and_saveexec_b32 s15, s16
	s_cbranch_execz .LBB701_1016
; %bb.1015:                             ;   in Loop: Header=BB701_974 Depth=2
	s_wait_dscnt 0x0
	v_bcnt_u32_b32 v90, v90, v175
	ds_store_b32 v177, v90 offset:1056
.LBB701_1016:                           ;   in Loop: Header=BB701_974 Depth=2
	s_or_b32 exec_lo, exec_lo, s15
	v_xor_b32_e32 v71, 0x7fffffff, v71
	v_not_b32_e32 v70, v70
	; wave barrier
	s_delay_alu instid0(VALU_DEP_1) | instskip(NEXT) | instid1(VALU_DEP_1)
	v_lshrrev_b64 v[90:91], s43, v[70:71]
	v_bitop3_b32 v91, v90, 1, s55 bitop3:0x80
	v_and_b32_e32 v92, s55, v90
	s_delay_alu instid0(VALU_DEP_2) | instskip(NEXT) | instid1(VALU_DEP_1)
	v_add_co_u32 v90, s15, v91, -1
	v_cndmask_b32_e64 v91, 0, 1, s15
	s_delay_alu instid0(VALU_DEP_3) | instskip(NEXT) | instid1(VALU_DEP_2)
	v_lshlrev_b32_e32 v93, 30, v92
	v_cmp_ne_u32_e32 vcc_lo, 0, v91
	s_delay_alu instid0(VALU_DEP_2) | instskip(NEXT) | instid1(VALU_DEP_1)
	v_not_b32_e32 v91, v93
	v_dual_ashrrev_i32 v91, 31, v91 :: v_dual_bitop2_b32 v90, vcc_lo, v90 bitop3:0x14
	v_dual_lshlrev_b32 v94, 29, v92 :: v_dual_lshlrev_b32 v95, 28, v92
	v_dual_lshlrev_b32 v96, 27, v92 :: v_dual_lshlrev_b32 v97, 26, v92
	v_lshlrev_b32_e32 v178, 25, v92
	v_cmp_gt_i32_e64 s15, 0, v93
	s_delay_alu instid0(VALU_DEP_4)
	v_cmp_gt_i32_e64 s16, 0, v94
	v_not_b32_e32 v93, v94
	v_not_b32_e32 v94, v95
	v_lshlrev_b32_e32 v179, 24, v92
	v_cmp_gt_i32_e64 s17, 0, v95
	v_cmp_gt_i32_e64 s18, 0, v96
	v_not_b32_e32 v95, v96
	v_not_b32_e32 v96, v97
	v_dual_ashrrev_i32 v93, 31, v93 :: v_dual_ashrrev_i32 v94, 31, v94
	v_xor_b32_e32 v91, s15, v91
	v_cmp_gt_i32_e64 s19, 0, v97
	v_not_b32_e32 v97, v178
	s_delay_alu instid0(VALU_DEP_4) | instskip(SKIP_1) | instid1(VALU_DEP_3)
	v_dual_ashrrev_i32 v95, 31, v95 :: v_dual_bitop2_b32 v93, s16, v93 bitop3:0x14
	v_dual_ashrrev_i32 v96, 31, v96 :: v_dual_bitop2_b32 v94, s17, v94 bitop3:0x14
	v_ashrrev_i32_e32 v97, 31, v97
	v_bitop3_b32 v90, v90, v91, exec_lo bitop3:0x80
	v_not_b32_e32 v91, v179
	v_cmp_gt_i32_e64 s20, 0, v178
	v_xor_b32_e32 v95, s18, v95
	v_xor_b32_e32 v96, s19, v96
	v_bitop3_b32 v90, v90, v94, v93 bitop3:0x80
	v_cmp_gt_i32_e32 vcc_lo, 0, v179
	v_ashrrev_i32_e32 v91, 31, v91
	v_mad_u32_u24 v93, v92, 36, v148
	v_xor_b32_e32 v94, s20, v97
	v_bitop3_b32 v90, v90, v96, v95 bitop3:0x80
	s_delay_alu instid0(VALU_DEP_4) | instskip(SKIP_3) | instid1(VALU_DEP_2)
	v_xor_b32_e32 v91, vcc_lo, v91
	ds_load_b32 v178, v93 offset:1056
	; wave barrier
	v_bitop3_b32 v90, v90, v91, v94 bitop3:0x80
	v_mul_u32_u24_e32 v91, 36, v92
	v_mbcnt_lo_u32_b32 v179, v90, 0
	v_cmp_ne_u32_e64 s15, 0, v90
	s_delay_alu instid0(VALU_DEP_3) | instskip(NEXT) | instid1(VALU_DEP_3)
	v_add_nc_u32_e32 v180, v148, v91
	v_cmp_eq_u32_e32 vcc_lo, 0, v179
	s_and_b32 s16, s15, vcc_lo
	s_delay_alu instid0(SALU_CYCLE_1)
	s_and_saveexec_b32 s15, s16
	s_cbranch_execz .LBB701_1018
; %bb.1017:                             ;   in Loop: Header=BB701_974 Depth=2
	s_wait_dscnt 0x0
	v_bcnt_u32_b32 v90, v90, v178
	ds_store_b32 v180, v90 offset:1056
.LBB701_1018:                           ;   in Loop: Header=BB701_974 Depth=2
	s_or_b32 exec_lo, exec_lo, s15
	v_xor_b32_e32 v75, 0x7fffffff, v75
	v_not_b32_e32 v74, v74
	; wave barrier
	s_delay_alu instid0(VALU_DEP_1) | instskip(NEXT) | instid1(VALU_DEP_1)
	v_lshrrev_b64 v[90:91], s43, v[74:75]
	v_bitop3_b32 v91, v90, 1, s55 bitop3:0x80
	v_and_b32_e32 v92, s55, v90
	s_delay_alu instid0(VALU_DEP_2) | instskip(NEXT) | instid1(VALU_DEP_1)
	v_add_co_u32 v90, s15, v91, -1
	v_cndmask_b32_e64 v91, 0, 1, s15
	s_delay_alu instid0(VALU_DEP_3) | instskip(NEXT) | instid1(VALU_DEP_2)
	v_lshlrev_b32_e32 v93, 30, v92
	v_cmp_ne_u32_e32 vcc_lo, 0, v91
	s_delay_alu instid0(VALU_DEP_2) | instskip(NEXT) | instid1(VALU_DEP_1)
	v_not_b32_e32 v91, v93
	v_dual_ashrrev_i32 v91, 31, v91 :: v_dual_bitop2_b32 v90, vcc_lo, v90 bitop3:0x14
	v_dual_lshlrev_b32 v94, 29, v92 :: v_dual_lshlrev_b32 v95, 28, v92
	v_dual_lshlrev_b32 v96, 27, v92 :: v_dual_lshlrev_b32 v97, 26, v92
	v_lshlrev_b32_e32 v181, 25, v92
	v_cmp_gt_i32_e64 s15, 0, v93
	s_delay_alu instid0(VALU_DEP_4)
	v_cmp_gt_i32_e64 s16, 0, v94
	v_not_b32_e32 v93, v94
	v_not_b32_e32 v94, v95
	v_lshlrev_b32_e32 v182, 24, v92
	v_cmp_gt_i32_e64 s17, 0, v95
	v_cmp_gt_i32_e64 s18, 0, v96
	v_not_b32_e32 v95, v96
	v_not_b32_e32 v96, v97
	v_dual_ashrrev_i32 v93, 31, v93 :: v_dual_ashrrev_i32 v94, 31, v94
	v_xor_b32_e32 v91, s15, v91
	v_cmp_gt_i32_e64 s19, 0, v97
	v_not_b32_e32 v97, v181
	s_delay_alu instid0(VALU_DEP_4) | instskip(SKIP_1) | instid1(VALU_DEP_3)
	v_dual_ashrrev_i32 v95, 31, v95 :: v_dual_bitop2_b32 v93, s16, v93 bitop3:0x14
	v_dual_ashrrev_i32 v96, 31, v96 :: v_dual_bitop2_b32 v94, s17, v94 bitop3:0x14
	v_ashrrev_i32_e32 v97, 31, v97
	v_bitop3_b32 v90, v90, v91, exec_lo bitop3:0x80
	v_not_b32_e32 v91, v182
	v_cmp_gt_i32_e64 s20, 0, v181
	v_xor_b32_e32 v95, s18, v95
	v_xor_b32_e32 v96, s19, v96
	v_bitop3_b32 v90, v90, v94, v93 bitop3:0x80
	v_cmp_gt_i32_e32 vcc_lo, 0, v182
	v_ashrrev_i32_e32 v91, 31, v91
	v_mad_u32_u24 v93, v92, 36, v148
	v_xor_b32_e32 v94, s20, v97
	v_bitop3_b32 v90, v90, v96, v95 bitop3:0x80
	s_delay_alu instid0(VALU_DEP_4) | instskip(SKIP_3) | instid1(VALU_DEP_2)
	v_xor_b32_e32 v91, vcc_lo, v91
	ds_load_b32 v181, v93 offset:1056
	; wave barrier
	v_bitop3_b32 v90, v90, v91, v94 bitop3:0x80
	v_mul_u32_u24_e32 v91, 36, v92
	v_mbcnt_lo_u32_b32 v182, v90, 0
	v_cmp_ne_u32_e64 s15, 0, v90
	s_delay_alu instid0(VALU_DEP_3) | instskip(NEXT) | instid1(VALU_DEP_3)
	v_add_nc_u32_e32 v183, v148, v91
	v_cmp_eq_u32_e32 vcc_lo, 0, v182
	s_and_b32 s16, s15, vcc_lo
	s_delay_alu instid0(SALU_CYCLE_1)
	s_and_saveexec_b32 s15, s16
	s_cbranch_execz .LBB701_1020
; %bb.1019:                             ;   in Loop: Header=BB701_974 Depth=2
	s_wait_dscnt 0x0
	v_bcnt_u32_b32 v90, v90, v181
	ds_store_b32 v183, v90 offset:1056
.LBB701_1020:                           ;   in Loop: Header=BB701_974 Depth=2
	s_or_b32 exec_lo, exec_lo, s15
	v_xor_b32_e32 v79, 0x7fffffff, v79
	v_not_b32_e32 v78, v78
	; wave barrier
	s_delay_alu instid0(VALU_DEP_1) | instskip(NEXT) | instid1(VALU_DEP_1)
	v_lshrrev_b64 v[90:91], s43, v[78:79]
	v_bitop3_b32 v91, v90, 1, s55 bitop3:0x80
	v_and_b32_e32 v92, s55, v90
	s_delay_alu instid0(VALU_DEP_2) | instskip(NEXT) | instid1(VALU_DEP_1)
	v_add_co_u32 v90, s15, v91, -1
	v_cndmask_b32_e64 v91, 0, 1, s15
	s_delay_alu instid0(VALU_DEP_3) | instskip(NEXT) | instid1(VALU_DEP_2)
	v_lshlrev_b32_e32 v93, 30, v92
	v_cmp_ne_u32_e32 vcc_lo, 0, v91
	s_delay_alu instid0(VALU_DEP_2) | instskip(NEXT) | instid1(VALU_DEP_1)
	v_not_b32_e32 v91, v93
	v_dual_ashrrev_i32 v91, 31, v91 :: v_dual_bitop2_b32 v90, vcc_lo, v90 bitop3:0x14
	v_dual_lshlrev_b32 v94, 29, v92 :: v_dual_lshlrev_b32 v95, 28, v92
	v_dual_lshlrev_b32 v96, 27, v92 :: v_dual_lshlrev_b32 v97, 26, v92
	v_lshlrev_b32_e32 v184, 25, v92
	v_cmp_gt_i32_e64 s15, 0, v93
	s_delay_alu instid0(VALU_DEP_4)
	v_cmp_gt_i32_e64 s16, 0, v94
	v_not_b32_e32 v93, v94
	v_not_b32_e32 v94, v95
	v_lshlrev_b32_e32 v185, 24, v92
	v_cmp_gt_i32_e64 s17, 0, v95
	v_cmp_gt_i32_e64 s18, 0, v96
	v_not_b32_e32 v95, v96
	v_not_b32_e32 v96, v97
	v_dual_ashrrev_i32 v93, 31, v93 :: v_dual_ashrrev_i32 v94, 31, v94
	v_xor_b32_e32 v91, s15, v91
	v_cmp_gt_i32_e64 s19, 0, v97
	v_not_b32_e32 v97, v184
	s_delay_alu instid0(VALU_DEP_4) | instskip(SKIP_1) | instid1(VALU_DEP_3)
	v_dual_ashrrev_i32 v95, 31, v95 :: v_dual_bitop2_b32 v93, s16, v93 bitop3:0x14
	v_dual_ashrrev_i32 v96, 31, v96 :: v_dual_bitop2_b32 v94, s17, v94 bitop3:0x14
	v_ashrrev_i32_e32 v97, 31, v97
	v_bitop3_b32 v90, v90, v91, exec_lo bitop3:0x80
	v_not_b32_e32 v91, v185
	v_cmp_gt_i32_e64 s20, 0, v184
	v_xor_b32_e32 v95, s18, v95
	v_xor_b32_e32 v96, s19, v96
	v_bitop3_b32 v90, v90, v94, v93 bitop3:0x80
	v_cmp_gt_i32_e32 vcc_lo, 0, v185
	v_ashrrev_i32_e32 v91, 31, v91
	v_mad_u32_u24 v93, v92, 36, v148
	v_xor_b32_e32 v94, s20, v97
	v_bitop3_b32 v90, v90, v96, v95 bitop3:0x80
	s_delay_alu instid0(VALU_DEP_4) | instskip(SKIP_3) | instid1(VALU_DEP_2)
	v_xor_b32_e32 v91, vcc_lo, v91
	ds_load_b32 v184, v93 offset:1056
	; wave barrier
	v_bitop3_b32 v90, v90, v91, v94 bitop3:0x80
	v_mul_u32_u24_e32 v91, 36, v92
	v_mbcnt_lo_u32_b32 v185, v90, 0
	v_cmp_ne_u32_e64 s15, 0, v90
	s_delay_alu instid0(VALU_DEP_3) | instskip(NEXT) | instid1(VALU_DEP_3)
	v_add_nc_u32_e32 v186, v148, v91
	v_cmp_eq_u32_e32 vcc_lo, 0, v185
	s_and_b32 s16, s15, vcc_lo
	s_delay_alu instid0(SALU_CYCLE_1)
	s_and_saveexec_b32 s15, s16
	s_cbranch_execz .LBB701_1022
; %bb.1021:                             ;   in Loop: Header=BB701_974 Depth=2
	s_wait_dscnt 0x0
	v_bcnt_u32_b32 v90, v90, v184
	ds_store_b32 v186, v90 offset:1056
.LBB701_1022:                           ;   in Loop: Header=BB701_974 Depth=2
	s_or_b32 exec_lo, exec_lo, s15
	v_xor_b32_e32 v83, 0x7fffffff, v83
	v_not_b32_e32 v82, v82
	; wave barrier
	s_delay_alu instid0(VALU_DEP_1) | instskip(NEXT) | instid1(VALU_DEP_1)
	v_lshrrev_b64 v[90:91], s43, v[82:83]
	v_bitop3_b32 v91, v90, 1, s55 bitop3:0x80
	v_and_b32_e32 v92, s55, v90
	s_delay_alu instid0(VALU_DEP_2) | instskip(NEXT) | instid1(VALU_DEP_1)
	v_add_co_u32 v90, s15, v91, -1
	v_cndmask_b32_e64 v91, 0, 1, s15
	s_delay_alu instid0(VALU_DEP_3) | instskip(NEXT) | instid1(VALU_DEP_2)
	v_lshlrev_b32_e32 v93, 30, v92
	v_cmp_ne_u32_e32 vcc_lo, 0, v91
	s_delay_alu instid0(VALU_DEP_2) | instskip(NEXT) | instid1(VALU_DEP_1)
	v_not_b32_e32 v91, v93
	v_dual_ashrrev_i32 v91, 31, v91 :: v_dual_bitop2_b32 v90, vcc_lo, v90 bitop3:0x14
	v_dual_lshlrev_b32 v94, 29, v92 :: v_dual_lshlrev_b32 v95, 28, v92
	v_dual_lshlrev_b32 v96, 27, v92 :: v_dual_lshlrev_b32 v97, 26, v92
	v_lshlrev_b32_e32 v187, 25, v92
	v_cmp_gt_i32_e64 s15, 0, v93
	s_delay_alu instid0(VALU_DEP_4)
	v_cmp_gt_i32_e64 s16, 0, v94
	v_not_b32_e32 v93, v94
	v_not_b32_e32 v94, v95
	v_lshlrev_b32_e32 v188, 24, v92
	v_cmp_gt_i32_e64 s17, 0, v95
	v_cmp_gt_i32_e64 s18, 0, v96
	v_not_b32_e32 v95, v96
	v_not_b32_e32 v96, v97
	v_dual_ashrrev_i32 v93, 31, v93 :: v_dual_ashrrev_i32 v94, 31, v94
	v_xor_b32_e32 v91, s15, v91
	v_cmp_gt_i32_e64 s19, 0, v97
	v_not_b32_e32 v97, v187
	s_delay_alu instid0(VALU_DEP_4) | instskip(SKIP_1) | instid1(VALU_DEP_3)
	v_dual_ashrrev_i32 v95, 31, v95 :: v_dual_bitop2_b32 v93, s16, v93 bitop3:0x14
	v_dual_ashrrev_i32 v96, 31, v96 :: v_dual_bitop2_b32 v94, s17, v94 bitop3:0x14
	v_ashrrev_i32_e32 v97, 31, v97
	v_bitop3_b32 v90, v90, v91, exec_lo bitop3:0x80
	v_not_b32_e32 v91, v188
	v_cmp_gt_i32_e64 s20, 0, v187
	v_xor_b32_e32 v95, s18, v95
	v_xor_b32_e32 v96, s19, v96
	v_bitop3_b32 v90, v90, v94, v93 bitop3:0x80
	v_cmp_gt_i32_e32 vcc_lo, 0, v188
	v_ashrrev_i32_e32 v91, 31, v91
	v_mad_u32_u24 v93, v92, 36, v148
	v_xor_b32_e32 v94, s20, v97
	v_bitop3_b32 v90, v90, v96, v95 bitop3:0x80
	s_delay_alu instid0(VALU_DEP_4) | instskip(SKIP_3) | instid1(VALU_DEP_2)
	v_xor_b32_e32 v91, vcc_lo, v91
	ds_load_b32 v187, v93 offset:1056
	; wave barrier
	v_bitop3_b32 v90, v90, v91, v94 bitop3:0x80
	v_mul_u32_u24_e32 v91, 36, v92
	v_mbcnt_lo_u32_b32 v188, v90, 0
	v_cmp_ne_u32_e64 s15, 0, v90
	s_delay_alu instid0(VALU_DEP_3) | instskip(NEXT) | instid1(VALU_DEP_3)
	v_add_nc_u32_e32 v189, v148, v91
	v_cmp_eq_u32_e32 vcc_lo, 0, v188
	s_and_b32 s16, s15, vcc_lo
	s_delay_alu instid0(SALU_CYCLE_1)
	s_and_saveexec_b32 s15, s16
	s_cbranch_execz .LBB701_1024
; %bb.1023:                             ;   in Loop: Header=BB701_974 Depth=2
	s_wait_dscnt 0x0
	v_bcnt_u32_b32 v90, v90, v187
	ds_store_b32 v189, v90 offset:1056
.LBB701_1024:                           ;   in Loop: Header=BB701_974 Depth=2
	s_or_b32 exec_lo, exec_lo, s15
	v_xor_b32_e32 v87, 0x7fffffff, v87
	v_not_b32_e32 v86, v86
	; wave barrier
	s_delay_alu instid0(VALU_DEP_1) | instskip(NEXT) | instid1(VALU_DEP_1)
	v_lshrrev_b64 v[90:91], s43, v[86:87]
	v_bitop3_b32 v91, v90, 1, s55 bitop3:0x80
	v_and_b32_e32 v92, s55, v90
	s_delay_alu instid0(VALU_DEP_2) | instskip(NEXT) | instid1(VALU_DEP_1)
	v_add_co_u32 v90, s15, v91, -1
	v_cndmask_b32_e64 v91, 0, 1, s15
	s_delay_alu instid0(VALU_DEP_3) | instskip(NEXT) | instid1(VALU_DEP_2)
	v_lshlrev_b32_e32 v93, 30, v92
	v_cmp_ne_u32_e32 vcc_lo, 0, v91
	s_delay_alu instid0(VALU_DEP_2) | instskip(NEXT) | instid1(VALU_DEP_1)
	v_not_b32_e32 v91, v93
	v_dual_ashrrev_i32 v91, 31, v91 :: v_dual_bitop2_b32 v90, vcc_lo, v90 bitop3:0x14
	v_dual_lshlrev_b32 v94, 29, v92 :: v_dual_lshlrev_b32 v95, 28, v92
	v_dual_lshlrev_b32 v96, 27, v92 :: v_dual_lshlrev_b32 v97, 26, v92
	v_lshlrev_b32_e32 v190, 25, v92
	v_cmp_gt_i32_e64 s15, 0, v93
	s_delay_alu instid0(VALU_DEP_4)
	v_cmp_gt_i32_e64 s16, 0, v94
	v_not_b32_e32 v93, v94
	v_not_b32_e32 v94, v95
	v_lshlrev_b32_e32 v191, 24, v92
	v_cmp_gt_i32_e64 s17, 0, v95
	v_cmp_gt_i32_e64 s18, 0, v96
	v_not_b32_e32 v95, v96
	v_not_b32_e32 v96, v97
	v_dual_ashrrev_i32 v93, 31, v93 :: v_dual_ashrrev_i32 v94, 31, v94
	v_xor_b32_e32 v91, s15, v91
	v_cmp_gt_i32_e64 s19, 0, v97
	v_not_b32_e32 v97, v190
	s_delay_alu instid0(VALU_DEP_4) | instskip(SKIP_1) | instid1(VALU_DEP_3)
	v_dual_ashrrev_i32 v95, 31, v95 :: v_dual_bitop2_b32 v93, s16, v93 bitop3:0x14
	v_dual_ashrrev_i32 v96, 31, v96 :: v_dual_bitop2_b32 v94, s17, v94 bitop3:0x14
	v_ashrrev_i32_e32 v97, 31, v97
	v_bitop3_b32 v90, v90, v91, exec_lo bitop3:0x80
	v_not_b32_e32 v91, v191
	v_cmp_gt_i32_e64 s20, 0, v190
	v_xor_b32_e32 v95, s18, v95
	v_xor_b32_e32 v96, s19, v96
	v_bitop3_b32 v90, v90, v94, v93 bitop3:0x80
	v_cmp_gt_i32_e32 vcc_lo, 0, v191
	v_ashrrev_i32_e32 v91, 31, v91
	v_mad_u32_u24 v93, v92, 36, v148
	v_xor_b32_e32 v94, s20, v97
	v_bitop3_b32 v90, v90, v96, v95 bitop3:0x80
	s_delay_alu instid0(VALU_DEP_4) | instskip(SKIP_3) | instid1(VALU_DEP_2)
	v_xor_b32_e32 v91, vcc_lo, v91
	ds_load_b32 v190, v93 offset:1056
	; wave barrier
	v_bitop3_b32 v90, v90, v91, v94 bitop3:0x80
	v_mul_u32_u24_e32 v91, 36, v92
	v_mbcnt_lo_u32_b32 v191, v90, 0
	v_cmp_ne_u32_e64 s15, 0, v90
	s_delay_alu instid0(VALU_DEP_3) | instskip(NEXT) | instid1(VALU_DEP_3)
	v_add_nc_u32_e32 v192, v148, v91
	v_cmp_eq_u32_e32 vcc_lo, 0, v191
	s_and_b32 s16, s15, vcc_lo
	s_delay_alu instid0(SALU_CYCLE_1)
	s_and_saveexec_b32 s15, s16
	s_cbranch_execz .LBB701_1026
; %bb.1025:                             ;   in Loop: Header=BB701_974 Depth=2
	s_wait_dscnt 0x0
	v_bcnt_u32_b32 v90, v90, v190
	ds_store_b32 v192, v90 offset:1056
.LBB701_1026:                           ;   in Loop: Header=BB701_974 Depth=2
	s_or_b32 exec_lo, exec_lo, s15
	v_xor_b32_e32 v89, 0x7fffffff, v89
	v_not_b32_e32 v88, v88
	; wave barrier
	s_delay_alu instid0(VALU_DEP_1) | instskip(NEXT) | instid1(VALU_DEP_1)
	v_lshrrev_b64 v[90:91], s43, v[88:89]
	v_bitop3_b32 v91, v90, 1, s55 bitop3:0x80
	v_and_b32_e32 v92, s55, v90
	s_delay_alu instid0(VALU_DEP_2) | instskip(NEXT) | instid1(VALU_DEP_2)
	v_add_co_u32 v90, s15, v91, -1
	v_lshlrev_b32_e32 v91, 30, v92
	v_cndmask_b32_e64 v194, 0, 1, s15
	s_delay_alu instid0(VALU_DEP_2) | instskip(SKIP_1) | instid1(VALU_DEP_3)
	v_cmp_gt_i32_e32 vcc_lo, 0, v91
	v_not_b32_e32 v91, v91
	v_cmp_ne_u32_e64 s20, 0, v194
	s_delay_alu instid0(VALU_DEP_2) | instskip(SKIP_2) | instid1(VALU_DEP_3)
	v_dual_ashrrev_i32 v91, 31, v91 :: v_dual_lshlrev_b32 v93, 29, v92
	v_dual_lshlrev_b32 v94, 28, v92 :: v_dual_lshlrev_b32 v95, 27, v92
	v_dual_lshlrev_b32 v96, 26, v92 :: v_dual_lshlrev_b32 v97, 25, v92
	v_cmp_gt_i32_e64 s15, 0, v93
	v_not_b32_e32 v93, v93
	s_delay_alu instid0(VALU_DEP_4)
	v_cmp_gt_i32_e64 s16, 0, v94
	v_not_b32_e32 v94, v94
	v_lshlrev_b32_e32 v193, 24, v92
	v_cmp_gt_i32_e64 s17, 0, v95
	v_not_b32_e32 v95, v95
	v_cmp_gt_i32_e64 s18, 0, v96
	v_not_b32_e32 v96, v96
	v_dual_ashrrev_i32 v93, 31, v93 :: v_dual_ashrrev_i32 v94, 31, v94
	v_xor_b32_e32 v91, vcc_lo, v91
	v_dual_ashrrev_i32 v95, 31, v95 :: v_dual_bitop2_b32 v90, s20, v90 bitop3:0x14
	v_cmp_gt_i32_e64 s19, 0, v97
	v_not_b32_e32 v97, v97
	v_dual_ashrrev_i32 v96, 31, v96 :: v_dual_bitop2_b32 v93, s15, v93 bitop3:0x14
	v_xor_b32_e32 v94, s16, v94
	v_bitop3_b32 v90, v90, v91, exec_lo bitop3:0x80
	v_not_b32_e32 v91, v193
	v_dual_ashrrev_i32 v97, 31, v97 :: v_dual_bitop2_b32 v95, s17, v95 bitop3:0x14
	v_xor_b32_e32 v96, s18, v96
	s_delay_alu instid0(VALU_DEP_4)
	v_bitop3_b32 v90, v90, v94, v93 bitop3:0x80
	v_cmp_gt_i32_e32 vcc_lo, 0, v193
	v_ashrrev_i32_e32 v91, 31, v91
	v_mad_u32_u24 v93, v92, 36, v148
	v_xor_b32_e32 v94, s19, v97
	v_bitop3_b32 v90, v90, v96, v95 bitop3:0x80
	s_delay_alu instid0(VALU_DEP_4) | instskip(SKIP_3) | instid1(VALU_DEP_2)
	v_xor_b32_e32 v91, vcc_lo, v91
	ds_load_b32 v193, v93 offset:1056
	; wave barrier
	v_bitop3_b32 v90, v90, v91, v94 bitop3:0x80
	v_mul_u32_u24_e32 v91, 36, v92
	v_mbcnt_lo_u32_b32 v194, v90, 0
	v_cmp_ne_u32_e64 s15, 0, v90
	s_delay_alu instid0(VALU_DEP_3) | instskip(NEXT) | instid1(VALU_DEP_3)
	v_add_nc_u32_e32 v195, v148, v91
	v_cmp_eq_u32_e32 vcc_lo, 0, v194
	s_and_b32 s16, s15, vcc_lo
	s_delay_alu instid0(SALU_CYCLE_1)
	s_and_saveexec_b32 s15, s16
	s_cbranch_execz .LBB701_1028
; %bb.1027:                             ;   in Loop: Header=BB701_974 Depth=2
	s_wait_dscnt 0x0
	v_bcnt_u32_b32 v90, v90, v193
	ds_store_b32 v195, v90 offset:1056
.LBB701_1028:                           ;   in Loop: Header=BB701_974 Depth=2
	s_or_b32 exec_lo, exec_lo, s15
	v_xor_b32_e32 v85, 0x7fffffff, v85
	v_not_b32_e32 v84, v84
	; wave barrier
	s_delay_alu instid0(VALU_DEP_1) | instskip(NEXT) | instid1(VALU_DEP_1)
	v_lshrrev_b64 v[90:91], s43, v[84:85]
	v_bitop3_b32 v91, v90, 1, s55 bitop3:0x80
	v_and_b32_e32 v92, s55, v90
	s_delay_alu instid0(VALU_DEP_2) | instskip(NEXT) | instid1(VALU_DEP_1)
	v_add_co_u32 v90, s15, v91, -1
	v_cndmask_b32_e64 v91, 0, 1, s15
	s_delay_alu instid0(VALU_DEP_3) | instskip(NEXT) | instid1(VALU_DEP_2)
	v_lshlrev_b32_e32 v93, 30, v92
	v_cmp_ne_u32_e32 vcc_lo, 0, v91
	s_delay_alu instid0(VALU_DEP_2) | instskip(NEXT) | instid1(VALU_DEP_1)
	v_not_b32_e32 v91, v93
	v_dual_ashrrev_i32 v91, 31, v91 :: v_dual_bitop2_b32 v90, vcc_lo, v90 bitop3:0x14
	v_dual_lshlrev_b32 v94, 29, v92 :: v_dual_lshlrev_b32 v95, 28, v92
	v_dual_lshlrev_b32 v96, 27, v92 :: v_dual_lshlrev_b32 v97, 26, v92
	v_lshlrev_b32_e32 v196, 25, v92
	v_cmp_gt_i32_e64 s15, 0, v93
	s_delay_alu instid0(VALU_DEP_4)
	v_cmp_gt_i32_e64 s16, 0, v94
	v_not_b32_e32 v93, v94
	v_not_b32_e32 v94, v95
	v_lshlrev_b32_e32 v197, 24, v92
	v_cmp_gt_i32_e64 s17, 0, v95
	v_cmp_gt_i32_e64 s18, 0, v96
	v_not_b32_e32 v95, v96
	v_not_b32_e32 v96, v97
	v_dual_ashrrev_i32 v93, 31, v93 :: v_dual_ashrrev_i32 v94, 31, v94
	v_xor_b32_e32 v91, s15, v91
	v_cmp_gt_i32_e64 s19, 0, v97
	v_not_b32_e32 v97, v196
	s_delay_alu instid0(VALU_DEP_4) | instskip(SKIP_1) | instid1(VALU_DEP_3)
	v_dual_ashrrev_i32 v95, 31, v95 :: v_dual_bitop2_b32 v93, s16, v93 bitop3:0x14
	v_dual_ashrrev_i32 v96, 31, v96 :: v_dual_bitop2_b32 v94, s17, v94 bitop3:0x14
	v_ashrrev_i32_e32 v97, 31, v97
	v_bitop3_b32 v90, v90, v91, exec_lo bitop3:0x80
	v_not_b32_e32 v91, v197
	v_cmp_gt_i32_e64 s20, 0, v196
	v_xor_b32_e32 v95, s18, v95
	v_xor_b32_e32 v96, s19, v96
	v_bitop3_b32 v90, v90, v94, v93 bitop3:0x80
	v_cmp_gt_i32_e32 vcc_lo, 0, v197
	v_ashrrev_i32_e32 v91, 31, v91
	v_mad_u32_u24 v93, v92, 36, v148
	v_xor_b32_e32 v94, s20, v97
	v_bitop3_b32 v90, v90, v96, v95 bitop3:0x80
	s_delay_alu instid0(VALU_DEP_4) | instskip(SKIP_3) | instid1(VALU_DEP_2)
	v_xor_b32_e32 v91, vcc_lo, v91
	ds_load_b32 v196, v93 offset:1056
	; wave barrier
	v_bitop3_b32 v90, v90, v91, v94 bitop3:0x80
	v_mul_u32_u24_e32 v91, 36, v92
	v_mbcnt_lo_u32_b32 v197, v90, 0
	v_cmp_ne_u32_e64 s15, 0, v90
	s_delay_alu instid0(VALU_DEP_3) | instskip(NEXT) | instid1(VALU_DEP_3)
	v_add_nc_u32_e32 v198, v148, v91
	v_cmp_eq_u32_e32 vcc_lo, 0, v197
	s_and_b32 s16, s15, vcc_lo
	s_delay_alu instid0(SALU_CYCLE_1)
	s_and_saveexec_b32 s15, s16
	s_cbranch_execz .LBB701_1030
; %bb.1029:                             ;   in Loop: Header=BB701_974 Depth=2
	s_wait_dscnt 0x0
	v_bcnt_u32_b32 v90, v90, v196
	ds_store_b32 v198, v90 offset:1056
.LBB701_1030:                           ;   in Loop: Header=BB701_974 Depth=2
	s_or_b32 exec_lo, exec_lo, s15
	v_xor_b32_e32 v81, 0x7fffffff, v81
	v_not_b32_e32 v80, v80
	; wave barrier
	s_delay_alu instid0(VALU_DEP_1) | instskip(NEXT) | instid1(VALU_DEP_1)
	v_lshrrev_b64 v[90:91], s43, v[80:81]
	v_bitop3_b32 v91, v90, 1, s55 bitop3:0x80
	v_and_b32_e32 v92, s55, v90
	s_delay_alu instid0(VALU_DEP_2) | instskip(NEXT) | instid1(VALU_DEP_1)
	v_add_co_u32 v90, s15, v91, -1
	v_cndmask_b32_e64 v91, 0, 1, s15
	s_delay_alu instid0(VALU_DEP_3) | instskip(NEXT) | instid1(VALU_DEP_2)
	v_lshlrev_b32_e32 v93, 30, v92
	v_cmp_ne_u32_e32 vcc_lo, 0, v91
	s_delay_alu instid0(VALU_DEP_2) | instskip(NEXT) | instid1(VALU_DEP_1)
	v_not_b32_e32 v91, v93
	v_dual_ashrrev_i32 v91, 31, v91 :: v_dual_bitop2_b32 v90, vcc_lo, v90 bitop3:0x14
	v_dual_lshlrev_b32 v94, 29, v92 :: v_dual_lshlrev_b32 v95, 28, v92
	v_dual_lshlrev_b32 v96, 27, v92 :: v_dual_lshlrev_b32 v97, 26, v92
	v_lshlrev_b32_e32 v199, 25, v92
	v_cmp_gt_i32_e64 s15, 0, v93
	s_delay_alu instid0(VALU_DEP_4)
	v_cmp_gt_i32_e64 s16, 0, v94
	v_not_b32_e32 v93, v94
	v_not_b32_e32 v94, v95
	v_lshlrev_b32_e32 v200, 24, v92
	v_cmp_gt_i32_e64 s17, 0, v95
	v_cmp_gt_i32_e64 s18, 0, v96
	v_not_b32_e32 v95, v96
	v_not_b32_e32 v96, v97
	v_dual_ashrrev_i32 v93, 31, v93 :: v_dual_ashrrev_i32 v94, 31, v94
	v_xor_b32_e32 v91, s15, v91
	v_cmp_gt_i32_e64 s19, 0, v97
	v_not_b32_e32 v97, v199
	s_delay_alu instid0(VALU_DEP_4) | instskip(SKIP_1) | instid1(VALU_DEP_3)
	v_dual_ashrrev_i32 v95, 31, v95 :: v_dual_bitop2_b32 v93, s16, v93 bitop3:0x14
	v_dual_ashrrev_i32 v96, 31, v96 :: v_dual_bitop2_b32 v94, s17, v94 bitop3:0x14
	v_ashrrev_i32_e32 v97, 31, v97
	v_bitop3_b32 v90, v90, v91, exec_lo bitop3:0x80
	v_not_b32_e32 v91, v200
	v_cmp_gt_i32_e64 s20, 0, v199
	v_xor_b32_e32 v95, s18, v95
	v_xor_b32_e32 v96, s19, v96
	v_bitop3_b32 v90, v90, v94, v93 bitop3:0x80
	v_cmp_gt_i32_e32 vcc_lo, 0, v200
	v_ashrrev_i32_e32 v91, 31, v91
	v_mad_u32_u24 v93, v92, 36, v148
	v_xor_b32_e32 v94, s20, v97
	v_bitop3_b32 v90, v90, v96, v95 bitop3:0x80
	s_delay_alu instid0(VALU_DEP_4) | instskip(SKIP_3) | instid1(VALU_DEP_2)
	v_xor_b32_e32 v91, vcc_lo, v91
	ds_load_b32 v199, v93 offset:1056
	; wave barrier
	v_bitop3_b32 v90, v90, v91, v94 bitop3:0x80
	v_mul_u32_u24_e32 v91, 36, v92
	v_mbcnt_lo_u32_b32 v200, v90, 0
	v_cmp_ne_u32_e64 s15, 0, v90
	s_delay_alu instid0(VALU_DEP_3) | instskip(NEXT) | instid1(VALU_DEP_3)
	v_add_nc_u32_e32 v202, v148, v91
	v_cmp_eq_u32_e32 vcc_lo, 0, v200
	s_and_b32 s16, s15, vcc_lo
	s_delay_alu instid0(SALU_CYCLE_1)
	s_and_saveexec_b32 s15, s16
	s_cbranch_execz .LBB701_1032
; %bb.1031:                             ;   in Loop: Header=BB701_974 Depth=2
	s_wait_dscnt 0x0
	v_bcnt_u32_b32 v90, v90, v199
	ds_store_b32 v202, v90 offset:1056
.LBB701_1032:                           ;   in Loop: Header=BB701_974 Depth=2
	s_or_b32 exec_lo, exec_lo, s15
	v_xor_b32_e32 v77, 0x7fffffff, v77
	v_not_b32_e32 v76, v76
	; wave barrier
	s_delay_alu instid0(VALU_DEP_1) | instskip(NEXT) | instid1(VALU_DEP_1)
	v_lshrrev_b64 v[90:91], s43, v[76:77]
	v_bitop3_b32 v91, v90, 1, s55 bitop3:0x80
	v_and_b32_e32 v92, s55, v90
	s_delay_alu instid0(VALU_DEP_2) | instskip(NEXT) | instid1(VALU_DEP_1)
	v_add_co_u32 v90, s15, v91, -1
	v_cndmask_b32_e64 v91, 0, 1, s15
	s_delay_alu instid0(VALU_DEP_3) | instskip(NEXT) | instid1(VALU_DEP_2)
	v_lshlrev_b32_e32 v93, 30, v92
	v_cmp_ne_u32_e32 vcc_lo, 0, v91
	s_delay_alu instid0(VALU_DEP_2) | instskip(NEXT) | instid1(VALU_DEP_1)
	v_not_b32_e32 v91, v93
	v_dual_ashrrev_i32 v91, 31, v91 :: v_dual_bitop2_b32 v90, vcc_lo, v90 bitop3:0x14
	v_dual_lshlrev_b32 v94, 29, v92 :: v_dual_lshlrev_b32 v95, 28, v92
	v_dual_lshlrev_b32 v96, 27, v92 :: v_dual_lshlrev_b32 v97, 26, v92
	v_lshlrev_b32_e32 v201, 25, v92
	v_cmp_gt_i32_e64 s15, 0, v93
	s_delay_alu instid0(VALU_DEP_4)
	v_cmp_gt_i32_e64 s16, 0, v94
	v_not_b32_e32 v93, v94
	v_not_b32_e32 v94, v95
	v_lshlrev_b32_e32 v203, 24, v92
	v_cmp_gt_i32_e64 s17, 0, v95
	v_cmp_gt_i32_e64 s18, 0, v96
	v_not_b32_e32 v95, v96
	v_not_b32_e32 v96, v97
	v_dual_ashrrev_i32 v93, 31, v93 :: v_dual_ashrrev_i32 v94, 31, v94
	v_xor_b32_e32 v91, s15, v91
	v_cmp_gt_i32_e64 s19, 0, v97
	v_not_b32_e32 v97, v201
	s_delay_alu instid0(VALU_DEP_4) | instskip(SKIP_1) | instid1(VALU_DEP_3)
	v_dual_ashrrev_i32 v95, 31, v95 :: v_dual_bitop2_b32 v93, s16, v93 bitop3:0x14
	v_dual_ashrrev_i32 v96, 31, v96 :: v_dual_bitop2_b32 v94, s17, v94 bitop3:0x14
	v_ashrrev_i32_e32 v97, 31, v97
	v_bitop3_b32 v90, v90, v91, exec_lo bitop3:0x80
	v_not_b32_e32 v91, v203
	v_cmp_gt_i32_e64 s20, 0, v201
	v_xor_b32_e32 v95, s18, v95
	v_xor_b32_e32 v96, s19, v96
	v_bitop3_b32 v90, v90, v94, v93 bitop3:0x80
	v_cmp_gt_i32_e32 vcc_lo, 0, v203
	v_ashrrev_i32_e32 v91, 31, v91
	v_mad_u32_u24 v93, v92, 36, v148
	v_xor_b32_e32 v94, s20, v97
	v_bitop3_b32 v90, v90, v96, v95 bitop3:0x80
	s_delay_alu instid0(VALU_DEP_4) | instskip(SKIP_3) | instid1(VALU_DEP_2)
	v_xor_b32_e32 v91, vcc_lo, v91
	ds_load_b32 v201, v93 offset:1056
	; wave barrier
	v_bitop3_b32 v90, v90, v91, v94 bitop3:0x80
	v_mul_u32_u24_e32 v91, 36, v92
	v_mbcnt_lo_u32_b32 v203, v90, 0
	v_cmp_ne_u32_e64 s15, 0, v90
	s_delay_alu instid0(VALU_DEP_3) | instskip(NEXT) | instid1(VALU_DEP_3)
	v_add_nc_u32_e32 v205, v148, v91
	v_cmp_eq_u32_e32 vcc_lo, 0, v203
	s_and_b32 s16, s15, vcc_lo
	s_delay_alu instid0(SALU_CYCLE_1)
	s_and_saveexec_b32 s15, s16
	s_cbranch_execz .LBB701_1034
; %bb.1033:                             ;   in Loop: Header=BB701_974 Depth=2
	s_wait_dscnt 0x0
	v_bcnt_u32_b32 v90, v90, v201
	ds_store_b32 v205, v90 offset:1056
.LBB701_1034:                           ;   in Loop: Header=BB701_974 Depth=2
	s_or_b32 exec_lo, exec_lo, s15
	v_xor_b32_e32 v73, 0x7fffffff, v73
	v_not_b32_e32 v72, v72
	; wave barrier
	s_delay_alu instid0(VALU_DEP_1) | instskip(NEXT) | instid1(VALU_DEP_1)
	v_lshrrev_b64 v[90:91], s43, v[72:73]
	v_bitop3_b32 v91, v90, 1, s55 bitop3:0x80
	v_and_b32_e32 v92, s55, v90
	s_delay_alu instid0(VALU_DEP_2) | instskip(NEXT) | instid1(VALU_DEP_1)
	v_add_co_u32 v90, s15, v91, -1
	v_cndmask_b32_e64 v91, 0, 1, s15
	s_delay_alu instid0(VALU_DEP_3) | instskip(NEXT) | instid1(VALU_DEP_2)
	v_lshlrev_b32_e32 v93, 30, v92
	v_cmp_ne_u32_e32 vcc_lo, 0, v91
	s_delay_alu instid0(VALU_DEP_2) | instskip(NEXT) | instid1(VALU_DEP_1)
	v_not_b32_e32 v91, v93
	v_dual_ashrrev_i32 v91, 31, v91 :: v_dual_bitop2_b32 v90, vcc_lo, v90 bitop3:0x14
	v_dual_lshlrev_b32 v94, 29, v92 :: v_dual_lshlrev_b32 v95, 28, v92
	v_dual_lshlrev_b32 v96, 27, v92 :: v_dual_lshlrev_b32 v97, 26, v92
	v_lshlrev_b32_e32 v204, 25, v92
	v_cmp_gt_i32_e64 s15, 0, v93
	s_delay_alu instid0(VALU_DEP_4)
	v_cmp_gt_i32_e64 s16, 0, v94
	v_not_b32_e32 v93, v94
	v_not_b32_e32 v94, v95
	v_lshlrev_b32_e32 v206, 24, v92
	v_cmp_gt_i32_e64 s17, 0, v95
	v_cmp_gt_i32_e64 s18, 0, v96
	v_not_b32_e32 v95, v96
	v_not_b32_e32 v96, v97
	v_dual_ashrrev_i32 v93, 31, v93 :: v_dual_ashrrev_i32 v94, 31, v94
	v_xor_b32_e32 v91, s15, v91
	v_cmp_gt_i32_e64 s19, 0, v97
	v_not_b32_e32 v97, v204
	s_delay_alu instid0(VALU_DEP_4) | instskip(SKIP_1) | instid1(VALU_DEP_3)
	v_dual_ashrrev_i32 v95, 31, v95 :: v_dual_bitop2_b32 v93, s16, v93 bitop3:0x14
	v_dual_ashrrev_i32 v96, 31, v96 :: v_dual_bitop2_b32 v94, s17, v94 bitop3:0x14
	v_ashrrev_i32_e32 v97, 31, v97
	v_bitop3_b32 v90, v90, v91, exec_lo bitop3:0x80
	v_not_b32_e32 v91, v206
	v_cmp_gt_i32_e64 s20, 0, v204
	v_xor_b32_e32 v95, s18, v95
	v_xor_b32_e32 v96, s19, v96
	v_bitop3_b32 v90, v90, v94, v93 bitop3:0x80
	v_cmp_gt_i32_e32 vcc_lo, 0, v206
	v_ashrrev_i32_e32 v91, 31, v91
	v_mad_u32_u24 v93, v92, 36, v148
	v_xor_b32_e32 v94, s20, v97
	v_bitop3_b32 v90, v90, v96, v95 bitop3:0x80
	s_delay_alu instid0(VALU_DEP_4) | instskip(SKIP_3) | instid1(VALU_DEP_2)
	v_xor_b32_e32 v91, vcc_lo, v91
	ds_load_b32 v204, v93 offset:1056
	; wave barrier
	v_bitop3_b32 v90, v90, v91, v94 bitop3:0x80
	v_mul_u32_u24_e32 v91, 36, v92
	v_mbcnt_lo_u32_b32 v206, v90, 0
	v_cmp_ne_u32_e64 s15, 0, v90
	s_delay_alu instid0(VALU_DEP_3) | instskip(NEXT) | instid1(VALU_DEP_3)
	v_add_nc_u32_e32 v209, v148, v91
	v_cmp_eq_u32_e32 vcc_lo, 0, v206
	s_and_b32 s16, s15, vcc_lo
	s_delay_alu instid0(SALU_CYCLE_1)
	s_and_saveexec_b32 s15, s16
	s_cbranch_execz .LBB701_1036
; %bb.1035:                             ;   in Loop: Header=BB701_974 Depth=2
	s_wait_dscnt 0x0
	v_bcnt_u32_b32 v90, v90, v204
	ds_store_b32 v209, v90 offset:1056
.LBB701_1036:                           ;   in Loop: Header=BB701_974 Depth=2
	s_or_b32 exec_lo, exec_lo, s15
	v_xor_b32_e32 v69, 0x7fffffff, v69
	v_not_b32_e32 v68, v68
	; wave barrier
	s_delay_alu instid0(VALU_DEP_1) | instskip(NEXT) | instid1(VALU_DEP_1)
	v_lshrrev_b64 v[90:91], s43, v[68:69]
	v_bitop3_b32 v91, v90, 1, s55 bitop3:0x80
	v_and_b32_e32 v92, s55, v90
	s_delay_alu instid0(VALU_DEP_2) | instskip(NEXT) | instid1(VALU_DEP_1)
	v_add_co_u32 v90, s15, v91, -1
	v_cndmask_b32_e64 v91, 0, 1, s15
	s_delay_alu instid0(VALU_DEP_3) | instskip(NEXT) | instid1(VALU_DEP_2)
	v_lshlrev_b32_e32 v93, 30, v92
	v_cmp_ne_u32_e32 vcc_lo, 0, v91
	s_delay_alu instid0(VALU_DEP_2) | instskip(NEXT) | instid1(VALU_DEP_1)
	v_not_b32_e32 v91, v93
	v_dual_ashrrev_i32 v91, 31, v91 :: v_dual_bitop2_b32 v90, vcc_lo, v90 bitop3:0x14
	v_dual_lshlrev_b32 v94, 29, v92 :: v_dual_lshlrev_b32 v95, 28, v92
	v_dual_lshlrev_b32 v96, 27, v92 :: v_dual_lshlrev_b32 v97, 26, v92
	v_lshlrev_b32_e32 v207, 25, v92
	v_cmp_gt_i32_e64 s15, 0, v93
	s_delay_alu instid0(VALU_DEP_4)
	v_cmp_gt_i32_e64 s16, 0, v94
	v_not_b32_e32 v93, v94
	v_not_b32_e32 v94, v95
	v_lshlrev_b32_e32 v208, 24, v92
	v_cmp_gt_i32_e64 s17, 0, v95
	v_cmp_gt_i32_e64 s18, 0, v96
	v_not_b32_e32 v95, v96
	v_not_b32_e32 v96, v97
	v_dual_ashrrev_i32 v93, 31, v93 :: v_dual_ashrrev_i32 v94, 31, v94
	v_xor_b32_e32 v91, s15, v91
	v_cmp_gt_i32_e64 s19, 0, v97
	v_not_b32_e32 v97, v207
	s_delay_alu instid0(VALU_DEP_4) | instskip(SKIP_1) | instid1(VALU_DEP_3)
	v_dual_ashrrev_i32 v95, 31, v95 :: v_dual_bitop2_b32 v93, s16, v93 bitop3:0x14
	v_dual_ashrrev_i32 v96, 31, v96 :: v_dual_bitop2_b32 v94, s17, v94 bitop3:0x14
	v_ashrrev_i32_e32 v97, 31, v97
	v_bitop3_b32 v90, v90, v91, exec_lo bitop3:0x80
	v_not_b32_e32 v91, v208
	v_cmp_gt_i32_e64 s20, 0, v207
	v_xor_b32_e32 v95, s18, v95
	v_xor_b32_e32 v96, s19, v96
	v_bitop3_b32 v90, v90, v94, v93 bitop3:0x80
	v_cmp_gt_i32_e32 vcc_lo, 0, v208
	v_ashrrev_i32_e32 v91, 31, v91
	v_mad_u32_u24 v93, v92, 36, v148
	v_xor_b32_e32 v94, s20, v97
	v_bitop3_b32 v90, v90, v96, v95 bitop3:0x80
	s_delay_alu instid0(VALU_DEP_4) | instskip(SKIP_3) | instid1(VALU_DEP_2)
	v_xor_b32_e32 v91, vcc_lo, v91
	ds_load_b32 v207, v93 offset:1056
	; wave barrier
	v_bitop3_b32 v90, v90, v91, v94 bitop3:0x80
	v_mul_u32_u24_e32 v91, 36, v92
	v_mbcnt_lo_u32_b32 v208, v90, 0
	v_cmp_ne_u32_e64 s15, 0, v90
	s_delay_alu instid0(VALU_DEP_3) | instskip(NEXT) | instid1(VALU_DEP_3)
	v_add_nc_u32_e32 v212, v148, v91
	v_cmp_eq_u32_e32 vcc_lo, 0, v208
	s_and_b32 s16, s15, vcc_lo
	s_delay_alu instid0(SALU_CYCLE_1)
	s_and_saveexec_b32 s15, s16
	s_cbranch_execz .LBB701_1038
; %bb.1037:                             ;   in Loop: Header=BB701_974 Depth=2
	s_wait_dscnt 0x0
	v_bcnt_u32_b32 v90, v90, v207
	ds_store_b32 v212, v90 offset:1056
.LBB701_1038:                           ;   in Loop: Header=BB701_974 Depth=2
	s_or_b32 exec_lo, exec_lo, s15
	v_xor_b32_e32 v67, 0x7fffffff, v67
	v_not_b32_e32 v66, v66
	; wave barrier
	s_delay_alu instid0(VALU_DEP_1) | instskip(NEXT) | instid1(VALU_DEP_1)
	v_lshrrev_b64 v[90:91], s43, v[66:67]
	v_bitop3_b32 v91, v90, 1, s55 bitop3:0x80
	v_and_b32_e32 v92, s55, v90
	s_delay_alu instid0(VALU_DEP_2) | instskip(NEXT) | instid1(VALU_DEP_1)
	v_add_co_u32 v90, s15, v91, -1
	v_cndmask_b32_e64 v91, 0, 1, s15
	s_delay_alu instid0(VALU_DEP_3) | instskip(NEXT) | instid1(VALU_DEP_2)
	v_lshlrev_b32_e32 v93, 30, v92
	v_cmp_ne_u32_e32 vcc_lo, 0, v91
	s_delay_alu instid0(VALU_DEP_2) | instskip(NEXT) | instid1(VALU_DEP_1)
	v_not_b32_e32 v91, v93
	v_dual_ashrrev_i32 v91, 31, v91 :: v_dual_bitop2_b32 v90, vcc_lo, v90 bitop3:0x14
	v_dual_lshlrev_b32 v94, 29, v92 :: v_dual_lshlrev_b32 v95, 28, v92
	v_dual_lshlrev_b32 v96, 27, v92 :: v_dual_lshlrev_b32 v97, 26, v92
	v_lshlrev_b32_e32 v210, 25, v92
	v_cmp_gt_i32_e64 s15, 0, v93
	s_delay_alu instid0(VALU_DEP_4)
	v_cmp_gt_i32_e64 s16, 0, v94
	v_not_b32_e32 v93, v94
	v_not_b32_e32 v94, v95
	v_lshlrev_b32_e32 v211, 24, v92
	v_cmp_gt_i32_e64 s17, 0, v95
	v_cmp_gt_i32_e64 s18, 0, v96
	v_not_b32_e32 v95, v96
	v_not_b32_e32 v96, v97
	v_dual_ashrrev_i32 v93, 31, v93 :: v_dual_ashrrev_i32 v94, 31, v94
	v_xor_b32_e32 v91, s15, v91
	v_cmp_gt_i32_e64 s19, 0, v97
	v_not_b32_e32 v97, v210
	s_delay_alu instid0(VALU_DEP_4) | instskip(SKIP_1) | instid1(VALU_DEP_3)
	v_dual_ashrrev_i32 v95, 31, v95 :: v_dual_bitop2_b32 v93, s16, v93 bitop3:0x14
	v_dual_ashrrev_i32 v96, 31, v96 :: v_dual_bitop2_b32 v94, s17, v94 bitop3:0x14
	v_ashrrev_i32_e32 v97, 31, v97
	v_bitop3_b32 v90, v90, v91, exec_lo bitop3:0x80
	v_not_b32_e32 v91, v211
	v_cmp_gt_i32_e64 s20, 0, v210
	v_xor_b32_e32 v95, s18, v95
	v_xor_b32_e32 v96, s19, v96
	v_bitop3_b32 v90, v90, v94, v93 bitop3:0x80
	v_cmp_gt_i32_e32 vcc_lo, 0, v211
	v_ashrrev_i32_e32 v91, 31, v91
	v_mad_u32_u24 v93, v92, 36, v148
	v_xor_b32_e32 v94, s20, v97
	v_bitop3_b32 v90, v90, v96, v95 bitop3:0x80
	s_delay_alu instid0(VALU_DEP_4) | instskip(SKIP_3) | instid1(VALU_DEP_2)
	v_xor_b32_e32 v91, vcc_lo, v91
	ds_load_b32 v210, v93 offset:1056
	; wave barrier
	v_bitop3_b32 v90, v90, v91, v94 bitop3:0x80
	v_mul_u32_u24_e32 v91, 36, v92
	v_mbcnt_lo_u32_b32 v211, v90, 0
	v_cmp_ne_u32_e64 s15, 0, v90
	s_delay_alu instid0(VALU_DEP_3) | instskip(NEXT) | instid1(VALU_DEP_3)
	v_add_nc_u32_e32 v215, v148, v91
	v_cmp_eq_u32_e32 vcc_lo, 0, v211
	s_and_b32 s16, s15, vcc_lo
	s_delay_alu instid0(SALU_CYCLE_1)
	s_and_saveexec_b32 s15, s16
	s_cbranch_execz .LBB701_1040
; %bb.1039:                             ;   in Loop: Header=BB701_974 Depth=2
	s_wait_dscnt 0x0
	v_bcnt_u32_b32 v90, v90, v210
	ds_store_b32 v215, v90 offset:1056
.LBB701_1040:                           ;   in Loop: Header=BB701_974 Depth=2
	s_or_b32 exec_lo, exec_lo, s15
	v_lshrrev_b64 v[90:91], s43, v[58:59]
	; wave barrier
	s_delay_alu instid0(VALU_DEP_1) | instskip(SKIP_1) | instid1(VALU_DEP_2)
	v_bitop3_b32 v91, v90, 1, s55 bitop3:0x80
	v_and_b32_e32 v92, s55, v90
	v_add_co_u32 v90, s15, v91, -1
	s_delay_alu instid0(VALU_DEP_1) | instskip(NEXT) | instid1(VALU_DEP_3)
	v_cndmask_b32_e64 v91, 0, 1, s15
	v_lshlrev_b32_e32 v93, 30, v92
	s_delay_alu instid0(VALU_DEP_2) | instskip(NEXT) | instid1(VALU_DEP_2)
	v_cmp_ne_u32_e32 vcc_lo, 0, v91
	v_not_b32_e32 v91, v93
	s_delay_alu instid0(VALU_DEP_1) | instskip(SKIP_4) | instid1(VALU_DEP_4)
	v_dual_ashrrev_i32 v91, 31, v91 :: v_dual_bitop2_b32 v90, vcc_lo, v90 bitop3:0x14
	v_dual_lshlrev_b32 v94, 29, v92 :: v_dual_lshlrev_b32 v95, 28, v92
	v_dual_lshlrev_b32 v96, 27, v92 :: v_dual_lshlrev_b32 v97, 26, v92
	v_lshlrev_b32_e32 v213, 25, v92
	v_cmp_gt_i32_e64 s15, 0, v93
	v_cmp_gt_i32_e64 s16, 0, v94
	v_not_b32_e32 v93, v94
	v_not_b32_e32 v94, v95
	v_lshlrev_b32_e32 v214, 24, v92
	v_cmp_gt_i32_e64 s17, 0, v95
	v_cmp_gt_i32_e64 s18, 0, v96
	v_not_b32_e32 v95, v96
	v_dual_ashrrev_i32 v93, 31, v93 :: v_dual_ashrrev_i32 v94, 31, v94
	v_xor_b32_e32 v91, s15, v91
	v_not_b32_e32 v96, v97
	v_cmp_gt_i32_e64 s19, 0, v97
	s_delay_alu instid0(VALU_DEP_4)
	v_dual_ashrrev_i32 v95, 31, v95 :: v_dual_bitop2_b32 v93, s16, v93 bitop3:0x14
	v_xor_b32_e32 v94, s17, v94
	v_bitop3_b32 v90, v90, v91, exec_lo bitop3:0x80
	v_ashrrev_i32_e32 v91, 31, v96
	v_not_b32_e32 v96, v213
	v_not_b32_e32 v97, v214
	v_xor_b32_e32 v95, s18, v95
	v_bitop3_b32 v90, v90, v94, v93 bitop3:0x80
	v_xor_b32_e32 v91, s19, v91
	v_cmp_gt_i32_e32 vcc_lo, 0, v213
	v_ashrrev_i32_e32 v93, 31, v96
	v_cmp_gt_i32_e64 s15, 0, v214
	v_ashrrev_i32_e32 v94, 31, v97
	v_mad_u32_u24 v96, v92, 36, v148
	v_bitop3_b32 v90, v90, v91, v95 bitop3:0x80
	v_xor_b32_e32 v91, vcc_lo, v93
	s_delay_alu instid0(VALU_DEP_4) | instskip(SKIP_3) | instid1(VALU_DEP_2)
	v_xor_b32_e32 v93, s15, v94
	ds_load_b32 v213, v96 offset:1056
	; wave barrier
	v_bitop3_b32 v90, v90, v93, v91 bitop3:0x80
	v_mul_u32_u24_e32 v91, 36, v92
	v_mbcnt_lo_u32_b32 v214, v90, 0
	v_cmp_ne_u32_e64 s15, 0, v90
	s_delay_alu instid0(VALU_DEP_3) | instskip(NEXT) | instid1(VALU_DEP_3)
	v_add_nc_u32_e32 v216, v148, v91
	v_cmp_eq_u32_e32 vcc_lo, 0, v214
	s_and_b32 s16, s15, vcc_lo
	s_delay_alu instid0(SALU_CYCLE_1)
	s_and_saveexec_b32 s15, s16
	s_cbranch_execz .LBB701_1042
; %bb.1041:                             ;   in Loop: Header=BB701_974 Depth=2
	s_wait_dscnt 0x0
	v_bcnt_u32_b32 v90, v90, v213
	ds_store_b32 v216, v90 offset:1056
.LBB701_1042:                           ;   in Loop: Header=BB701_974 Depth=2
	s_or_b32 exec_lo, exec_lo, s15
	; wave barrier
	s_wait_dscnt 0x0
	s_barrier_signal -1
	s_barrier_wait -1
	ds_load_2addr_b32 v[96:97], v168 offset1:1
	ds_load_2addr_b32 v[94:95], v169 offset1:1
	;; [unrolled: 1-line block ×4, first 2 shown]
	ds_load_b32 v217, v120 offset:1088
	s_wait_dscnt 0x3
	v_add3_u32 v218, v97, v96, v94
	s_wait_dscnt 0x2
	s_delay_alu instid0(VALU_DEP_1) | instskip(SKIP_1) | instid1(VALU_DEP_1)
	v_add3_u32 v218, v218, v95, v92
	s_wait_dscnt 0x1
	v_add3_u32 v218, v218, v93, v90
	s_wait_dscnt 0x0
	s_delay_alu instid0(VALU_DEP_1) | instskip(NEXT) | instid1(VALU_DEP_1)
	v_add3_u32 v217, v218, v91, v217
	v_mov_b32_dpp v218, v217 row_shr:1 row_mask:0xf bank_mask:0xf
	s_delay_alu instid0(VALU_DEP_1) | instskip(NEXT) | instid1(VALU_DEP_1)
	v_cndmask_b32_e64 v218, v218, 0, s7
	v_add_nc_u32_e32 v217, v218, v217
	s_delay_alu instid0(VALU_DEP_1) | instskip(NEXT) | instid1(VALU_DEP_1)
	v_mov_b32_dpp v218, v217 row_shr:2 row_mask:0xf bank_mask:0xf
	v_cndmask_b32_e64 v218, 0, v218, s8
	s_delay_alu instid0(VALU_DEP_1) | instskip(NEXT) | instid1(VALU_DEP_1)
	v_add_nc_u32_e32 v217, v217, v218
	v_mov_b32_dpp v218, v217 row_shr:4 row_mask:0xf bank_mask:0xf
	s_delay_alu instid0(VALU_DEP_1) | instskip(NEXT) | instid1(VALU_DEP_1)
	v_cndmask_b32_e64 v218, 0, v218, s9
	v_add_nc_u32_e32 v217, v217, v218
	s_delay_alu instid0(VALU_DEP_1) | instskip(NEXT) | instid1(VALU_DEP_1)
	v_mov_b32_dpp v218, v217 row_shr:8 row_mask:0xf bank_mask:0xf
	v_cndmask_b32_e64 v218, 0, v218, s10
	s_delay_alu instid0(VALU_DEP_1) | instskip(SKIP_3) | instid1(VALU_DEP_1)
	v_add_nc_u32_e32 v217, v217, v218
	ds_swizzle_b32 v218, v217 offset:swizzle(BROADCAST,32,15)
	s_wait_dscnt 0x0
	v_cndmask_b32_e64 v218, v218, 0, s11
	v_add_nc_u32_e32 v217, v217, v218
	s_and_saveexec_b32 s15, s1
; %bb.1043:                             ;   in Loop: Header=BB701_974 Depth=2
	ds_store_b32 v114, v217 offset:1024
; %bb.1044:                             ;   in Loop: Header=BB701_974 Depth=2
	s_or_b32 exec_lo, exec_lo, s15
	s_wait_dscnt 0x0
	s_barrier_signal -1
	s_barrier_wait -1
	s_and_saveexec_b32 s15, s4
	s_cbranch_execz .LBB701_1046
; %bb.1045:                             ;   in Loop: Header=BB701_974 Depth=2
	ds_load_b32 v218, v122 offset:1024
	s_wait_dscnt 0x0
	v_mov_b32_dpp v219, v218 row_shr:1 row_mask:0xf bank_mask:0xf
	s_delay_alu instid0(VALU_DEP_1) | instskip(NEXT) | instid1(VALU_DEP_1)
	v_cndmask_b32_e64 v219, v219, 0, s12
	v_add_nc_u32_e32 v218, v219, v218
	s_delay_alu instid0(VALU_DEP_1) | instskip(NEXT) | instid1(VALU_DEP_1)
	v_mov_b32_dpp v219, v218 row_shr:2 row_mask:0xf bank_mask:0xf
	v_cndmask_b32_e64 v219, 0, v219, s13
	s_delay_alu instid0(VALU_DEP_1) | instskip(NEXT) | instid1(VALU_DEP_1)
	v_add_nc_u32_e32 v218, v218, v219
	v_mov_b32_dpp v219, v218 row_shr:4 row_mask:0xf bank_mask:0xf
	s_delay_alu instid0(VALU_DEP_1) | instskip(NEXT) | instid1(VALU_DEP_1)
	v_cndmask_b32_e64 v219, 0, v219, s14
	v_add_nc_u32_e32 v218, v218, v219
	ds_store_b32 v122, v218 offset:1024
.LBB701_1046:                           ;   in Loop: Header=BB701_974 Depth=2
	s_or_b32 exec_lo, exec_lo, s15
	v_mov_b32_e32 v218, 0
	s_wait_dscnt 0x0
	s_barrier_signal -1
	s_barrier_wait -1
	s_and_saveexec_b32 s15, s5
; %bb.1047:                             ;   in Loop: Header=BB701_974 Depth=2
	ds_load_b32 v218, v114 offset:1020
; %bb.1048:                             ;   in Loop: Header=BB701_974 Depth=2
	s_or_b32 exec_lo, exec_lo, s15
	s_wait_dscnt 0x0
	v_add_nc_u32_e32 v217, v218, v217
	ds_bpermute_b32 v217, v147, v217
	s_wait_dscnt 0x0
	v_cndmask_b32_e64 v217, v217, v218, s6
	s_delay_alu instid0(VALU_DEP_1) | instskip(NEXT) | instid1(VALU_DEP_1)
	v_cndmask_b32_e64 v217, v217, 0, s2
	v_add_nc_u32_e32 v96, v217, v96
	s_delay_alu instid0(VALU_DEP_1) | instskip(NEXT) | instid1(VALU_DEP_1)
	v_add_nc_u32_e32 v97, v96, v97
	v_add_nc_u32_e32 v94, v97, v94
	s_delay_alu instid0(VALU_DEP_1) | instskip(NEXT) | instid1(VALU_DEP_1)
	v_add_nc_u32_e32 v95, v94, v95
	;; [unrolled: 3-line block ×3, first 2 shown]
	v_add_nc_u32_e32 v90, v93, v90
	s_delay_alu instid0(VALU_DEP_1)
	v_add_nc_u32_e32 v91, v90, v91
	ds_store_2addr_b32 v167, v93, v90 offset1:1
	ds_store_2addr_b32 v168, v217, v96 offset1:1
	;; [unrolled: 1-line block ×4, first 2 shown]
	ds_store_b32 v120, v91 offset:1088
	s_wait_dscnt 0x0
	s_barrier_signal -1
	s_barrier_wait -1
	ds_load_b32 v91, v171 offset:1056
	ds_load_b32 v218, v174 offset:1056
	;; [unrolled: 1-line block ×17, first 2 shown]
	v_mov_b32_e32 v90, 0x1000
	s_and_saveexec_b32 s15, s3
; %bb.1049:                             ;   in Loop: Header=BB701_974 Depth=2
	ds_load_b32 v90, v120 offset:1092
; %bb.1050:                             ;   in Loop: Header=BB701_974 Depth=2
	s_or_b32 exec_lo, exec_lo, s15
	s_wait_dscnt 0x0
	s_barrier_signal -1
	s_barrier_wait -1
	s_and_saveexec_b32 s15, s0
	s_cbranch_execz .LBB701_1052
; %bb.1051:                             ;   in Loop: Header=BB701_974 Depth=2
	ds_load_b32 v183, v3
	s_wait_dscnt 0x0
	v_sub_nc_u32_e32 v180, v183, v180
	ds_store_b32 v3, v180
.LBB701_1052:                           ;   in Loop: Header=BB701_974 Depth=2
	s_or_b32 exec_lo, exec_lo, s15
	v_dual_lshlrev_b32 v166, 3, v166 :: v_dual_lshlrev_b32 v173, 3, v173
	v_dual_lshlrev_b32 v172, 3, v172 :: v_dual_lshlrev_b32 v180, 3, v218
	v_lshlrev_b32_e32 v176, 3, v176
	s_delay_alu instid0(VALU_DEP_3)
	v_lshl_add_u32 v91, v91, 3, v166
	v_dual_lshlrev_b32 v166, 3, v175 :: v_dual_lshlrev_b32 v175, 3, v217
	v_dual_lshlrev_b32 v179, 3, v179 :: v_dual_lshlrev_b32 v178, 3, v178
	v_dual_lshlrev_b32 v181, 3, v181 :: v_dual_lshlrev_b32 v94, 3, v94
	v_dual_lshlrev_b32 v93, 3, v93 :: v_dual_lshlrev_b32 v182, 3, v182
	v_dual_lshlrev_b32 v183, 3, v185 :: v_dual_lshlrev_b32 v184, 3, v184
	v_lshlrev_b32_e32 v185, 3, v92
	ds_store_b64 v91, v[60:61] offset:1024
	v_add3_u32 v60, v173, v172, v180
	v_add3_u32 v61, v176, v166, v175
	;; [unrolled: 1-line block ×5, first 2 shown]
	ds_store_b64 v60, v[62:63] offset:1024
	ds_store_b64 v61, v[64:65] offset:1024
	;; [unrolled: 1-line block ×5, first 2 shown]
	v_dual_lshlrev_b32 v62, 3, v188 :: v_dual_lshlrev_b32 v65, 3, v191
	v_dual_lshlrev_b32 v63, 3, v187 :: v_dual_lshlrev_b32 v64, 3, v177
	;; [unrolled: 1-line block ×7, first 2 shown]
	v_lshlrev_b32_e32 v169, 3, v169
	v_add3_u32 v62, v62, v63, v64
	v_add3_u32 v63, v65, v70, v71
	;; [unrolled: 1-line block ×4, first 2 shown]
	v_lshlrev_b32_e32 v71, 3, v203
	v_add3_u32 v70, v171, v172, v169
	ds_store_b64 v62, v[82:83] offset:1024
	ds_store_b64 v63, v[86:87] offset:1024
	;; [unrolled: 1-line block ×5, first 2 shown]
	v_dual_lshlrev_b32 v74, 3, v201 :: v_dual_lshlrev_b32 v75, 3, v168
	v_dual_lshlrev_b32 v78, 3, v206 :: v_dual_lshlrev_b32 v79, 3, v204
	;; [unrolled: 1-line block ×7, first 2 shown]
	v_add3_u32 v71, v71, v74, v75
	v_add3_u32 v74, v78, v79, v80
	;; [unrolled: 1-line block ×5, first 2 shown]
	v_cmp_lt_u32_e32 vcc_lo, v2, v165
	ds_store_b64 v71, v[76:77] offset:1024
	ds_store_b64 v74, v[72:73] offset:1024
	;; [unrolled: 1-line block ×5, first 2 shown]
	s_wait_dscnt 0x0
	s_barrier_signal -1
	s_barrier_wait -1
	s_and_saveexec_b32 s15, vcc_lo
	s_cbranch_execnz .LBB701_1121
; %bb.1053:                             ;   in Loop: Header=BB701_974 Depth=2
	s_or_b32 exec_lo, exec_lo, s15
	v_cmp_lt_u32_e64 s15, v98, v165
	s_and_saveexec_b32 s16, s15
	s_cbranch_execnz .LBB701_1122
.LBB701_1054:                           ;   in Loop: Header=BB701_974 Depth=2
	s_or_b32 exec_lo, exec_lo, s16
	v_cmp_lt_u32_e64 s16, v99, v165
	s_and_saveexec_b32 s17, s16
	s_cbranch_execnz .LBB701_1123
.LBB701_1055:                           ;   in Loop: Header=BB701_974 Depth=2
	s_or_b32 exec_lo, exec_lo, s17
	v_cmp_lt_u32_e64 s17, v100, v165
	s_and_saveexec_b32 s18, s17
	s_cbranch_execnz .LBB701_1124
.LBB701_1056:                           ;   in Loop: Header=BB701_974 Depth=2
	s_or_b32 exec_lo, exec_lo, s18
	v_cmp_lt_u32_e64 s18, v101, v165
	s_and_saveexec_b32 s19, s18
	s_cbranch_execnz .LBB701_1125
.LBB701_1057:                           ;   in Loop: Header=BB701_974 Depth=2
	s_or_b32 exec_lo, exec_lo, s19
	v_cmp_lt_u32_e64 s19, v102, v165
	s_and_saveexec_b32 s20, s19
	s_cbranch_execnz .LBB701_1126
.LBB701_1058:                           ;   in Loop: Header=BB701_974 Depth=2
	s_or_b32 exec_lo, exec_lo, s20
	v_cmp_lt_u32_e64 s20, v103, v165
	s_and_saveexec_b32 s21, s20
	s_cbranch_execnz .LBB701_1127
.LBB701_1059:                           ;   in Loop: Header=BB701_974 Depth=2
	s_or_b32 exec_lo, exec_lo, s21
	v_cmp_lt_u32_e64 s21, v104, v165
	s_and_saveexec_b32 s22, s21
	s_cbranch_execnz .LBB701_1128
.LBB701_1060:                           ;   in Loop: Header=BB701_974 Depth=2
	s_or_b32 exec_lo, exec_lo, s22
	v_cmp_lt_u32_e64 s22, v105, v165
	s_and_saveexec_b32 s23, s22
	s_cbranch_execnz .LBB701_1129
.LBB701_1061:                           ;   in Loop: Header=BB701_974 Depth=2
	s_or_b32 exec_lo, exec_lo, s23
	v_cmp_lt_u32_e64 s23, v106, v165
	s_and_saveexec_b32 s24, s23
	s_cbranch_execnz .LBB701_1130
.LBB701_1062:                           ;   in Loop: Header=BB701_974 Depth=2
	s_or_b32 exec_lo, exec_lo, s24
	v_cmp_lt_u32_e64 s24, v107, v165
	s_and_saveexec_b32 s25, s24
	s_cbranch_execnz .LBB701_1131
.LBB701_1063:                           ;   in Loop: Header=BB701_974 Depth=2
	s_or_b32 exec_lo, exec_lo, s25
	v_cmp_lt_u32_e64 s25, v108, v165
	s_and_saveexec_b32 s26, s25
	s_cbranch_execnz .LBB701_1132
.LBB701_1064:                           ;   in Loop: Header=BB701_974 Depth=2
	s_or_b32 exec_lo, exec_lo, s26
	v_cmp_lt_u32_e64 s26, v109, v165
	s_and_saveexec_b32 s27, s26
	s_cbranch_execnz .LBB701_1133
.LBB701_1065:                           ;   in Loop: Header=BB701_974 Depth=2
	s_or_b32 exec_lo, exec_lo, s27
	v_cmp_lt_u32_e64 s27, v110, v165
	s_and_saveexec_b32 s28, s27
	s_cbranch_execnz .LBB701_1134
.LBB701_1066:                           ;   in Loop: Header=BB701_974 Depth=2
	s_or_b32 exec_lo, exec_lo, s28
	v_cmp_lt_u32_e64 s28, v111, v165
	s_and_saveexec_b32 s29, s28
	s_cbranch_execnz .LBB701_1135
.LBB701_1067:                           ;   in Loop: Header=BB701_974 Depth=2
	s_or_b32 exec_lo, exec_lo, s29
	v_cmp_lt_u32_e64 s29, v112, v165
	s_and_saveexec_b32 s58, s29
	s_cbranch_execz .LBB701_1069
.LBB701_1068:                           ;   in Loop: Header=BB701_974 Depth=2
	ds_load_b64 v[58:59], v123 offset:31744
	s_wait_dscnt 0x0
	v_lshrrev_b64 v[66:67], s43, v[58:59]
	v_xor_b32_e32 v59, 0x7fffffff, v59
	v_not_b32_e32 v58, v58
	s_delay_alu instid0(VALU_DEP_3) | instskip(NEXT) | instid1(VALU_DEP_1)
	v_and_b32_e32 v66, s55, v66
	v_lshlrev_b32_e32 v66, 2, v66
	ds_load_b32 v66, v66
	s_wait_dscnt 0x0
	v_add_nc_u32_e32 v66, v66, v112
	global_store_b64 v66, v[58:59], s[40:41] scale_offset
.LBB701_1069:                           ;   in Loop: Header=BB701_974 Depth=2
	s_wait_xcnt 0x0
	s_or_b32 exec_lo, exec_lo, s58
	v_lshl_add_u64 v[58:59], s[30:31], 3, v[22:23]
	v_cmp_lt_u32_e64 s30, v129, v165
	s_and_saveexec_b32 s58, s30
	s_delay_alu instid0(SALU_CYCLE_1)
	s_xor_b32 s30, exec_lo, s58
	s_cbranch_execnz .LBB701_1136
; %bb.1070:                             ;   in Loop: Header=BB701_974 Depth=2
	s_or_b32 exec_lo, exec_lo, s30
	s_delay_alu instid0(SALU_CYCLE_1)
	s_mov_b32 s58, exec_lo
	v_cmpx_lt_u32_e64 v132, v165
	s_cbranch_execnz .LBB701_1137
.LBB701_1071:                           ;   in Loop: Header=BB701_974 Depth=2
	s_or_b32 exec_lo, exec_lo, s58
	s_delay_alu instid0(SALU_CYCLE_1)
	s_mov_b32 s58, exec_lo
	v_cmpx_lt_u32_e64 v133, v165
	s_cbranch_execnz .LBB701_1138
.LBB701_1072:                           ;   in Loop: Header=BB701_974 Depth=2
	s_or_b32 exec_lo, exec_lo, s58
	s_delay_alu instid0(SALU_CYCLE_1)
	s_mov_b32 s58, exec_lo
	v_cmpx_lt_u32_e64 v134, v165
	s_cbranch_execnz .LBB701_1139
.LBB701_1073:                           ;   in Loop: Header=BB701_974 Depth=2
	s_or_b32 exec_lo, exec_lo, s58
	s_delay_alu instid0(SALU_CYCLE_1)
	s_mov_b32 s58, exec_lo
	v_cmpx_lt_u32_e64 v135, v165
	s_cbranch_execnz .LBB701_1140
.LBB701_1074:                           ;   in Loop: Header=BB701_974 Depth=2
	s_or_b32 exec_lo, exec_lo, s58
	s_delay_alu instid0(SALU_CYCLE_1)
	s_mov_b32 s58, exec_lo
	v_cmpx_lt_u32_e64 v136, v165
	s_cbranch_execnz .LBB701_1141
.LBB701_1075:                           ;   in Loop: Header=BB701_974 Depth=2
	s_or_b32 exec_lo, exec_lo, s58
	s_delay_alu instid0(SALU_CYCLE_1)
	s_mov_b32 s58, exec_lo
	v_cmpx_lt_u32_e64 v137, v165
	s_cbranch_execnz .LBB701_1142
.LBB701_1076:                           ;   in Loop: Header=BB701_974 Depth=2
	s_or_b32 exec_lo, exec_lo, s58
	s_delay_alu instid0(SALU_CYCLE_1)
	s_mov_b32 s58, exec_lo
	v_cmpx_lt_u32_e64 v138, v165
	s_cbranch_execnz .LBB701_1143
.LBB701_1077:                           ;   in Loop: Header=BB701_974 Depth=2
	s_or_b32 exec_lo, exec_lo, s58
	s_delay_alu instid0(SALU_CYCLE_1)
	s_mov_b32 s58, exec_lo
	v_cmpx_lt_u32_e64 v139, v165
	s_cbranch_execnz .LBB701_1144
.LBB701_1078:                           ;   in Loop: Header=BB701_974 Depth=2
	s_or_b32 exec_lo, exec_lo, s58
	s_delay_alu instid0(SALU_CYCLE_1)
	s_mov_b32 s58, exec_lo
	v_cmpx_lt_u32_e64 v140, v165
	s_cbranch_execnz .LBB701_1145
.LBB701_1079:                           ;   in Loop: Header=BB701_974 Depth=2
	s_or_b32 exec_lo, exec_lo, s58
	s_delay_alu instid0(SALU_CYCLE_1)
	s_mov_b32 s58, exec_lo
	v_cmpx_lt_u32_e64 v141, v165
	s_cbranch_execnz .LBB701_1146
.LBB701_1080:                           ;   in Loop: Header=BB701_974 Depth=2
	s_or_b32 exec_lo, exec_lo, s58
	s_delay_alu instid0(SALU_CYCLE_1)
	s_mov_b32 s58, exec_lo
	v_cmpx_lt_u32_e64 v142, v165
	s_cbranch_execnz .LBB701_1147
.LBB701_1081:                           ;   in Loop: Header=BB701_974 Depth=2
	s_or_b32 exec_lo, exec_lo, s58
	s_delay_alu instid0(SALU_CYCLE_1)
	s_mov_b32 s58, exec_lo
	v_cmpx_lt_u32_e64 v143, v165
	s_cbranch_execnz .LBB701_1148
.LBB701_1082:                           ;   in Loop: Header=BB701_974 Depth=2
	s_or_b32 exec_lo, exec_lo, s58
	s_delay_alu instid0(SALU_CYCLE_1)
	s_mov_b32 s58, exec_lo
	v_cmpx_lt_u32_e64 v144, v165
	s_cbranch_execnz .LBB701_1149
.LBB701_1083:                           ;   in Loop: Header=BB701_974 Depth=2
	s_or_b32 exec_lo, exec_lo, s58
	s_delay_alu instid0(SALU_CYCLE_1)
	s_mov_b32 s58, exec_lo
	v_cmpx_lt_u32_e64 v145, v165
	s_cbranch_execnz .LBB701_1150
.LBB701_1084:                           ;   in Loop: Header=BB701_974 Depth=2
	s_or_b32 exec_lo, exec_lo, s58
	s_delay_alu instid0(SALU_CYCLE_1)
	s_mov_b32 s58, exec_lo
	v_cmpx_lt_u32_e64 v146, v165
	s_cbranch_execnz .LBB701_1151
.LBB701_1085:                           ;   in Loop: Header=BB701_974 Depth=2
	s_or_b32 exec_lo, exec_lo, s58
	s_and_saveexec_b32 s30, vcc_lo
	s_cbranch_execnz .LBB701_1152
.LBB701_1086:                           ;   in Loop: Header=BB701_974 Depth=2
	s_or_b32 exec_lo, exec_lo, s30
	s_and_saveexec_b32 s30, s15
	s_cbranch_execnz .LBB701_1153
.LBB701_1087:                           ;   in Loop: Header=BB701_974 Depth=2
	s_or_b32 exec_lo, exec_lo, s30
	s_and_saveexec_b32 s30, s16
	s_cbranch_execnz .LBB701_1154
.LBB701_1088:                           ;   in Loop: Header=BB701_974 Depth=2
	s_or_b32 exec_lo, exec_lo, s30
	s_and_saveexec_b32 s30, s17
	s_cbranch_execnz .LBB701_1155
.LBB701_1089:                           ;   in Loop: Header=BB701_974 Depth=2
	s_or_b32 exec_lo, exec_lo, s30
	s_and_saveexec_b32 s30, s18
	s_cbranch_execnz .LBB701_1156
.LBB701_1090:                           ;   in Loop: Header=BB701_974 Depth=2
	s_or_b32 exec_lo, exec_lo, s30
	s_and_saveexec_b32 s30, s19
	s_cbranch_execnz .LBB701_1157
.LBB701_1091:                           ;   in Loop: Header=BB701_974 Depth=2
	s_or_b32 exec_lo, exec_lo, s30
	s_and_saveexec_b32 s30, s20
	s_cbranch_execnz .LBB701_1158
.LBB701_1092:                           ;   in Loop: Header=BB701_974 Depth=2
	s_or_b32 exec_lo, exec_lo, s30
	s_and_saveexec_b32 s30, s21
	s_cbranch_execnz .LBB701_1159
.LBB701_1093:                           ;   in Loop: Header=BB701_974 Depth=2
	s_or_b32 exec_lo, exec_lo, s30
	s_and_saveexec_b32 s30, s22
	s_cbranch_execnz .LBB701_1160
.LBB701_1094:                           ;   in Loop: Header=BB701_974 Depth=2
	s_or_b32 exec_lo, exec_lo, s30
	s_and_saveexec_b32 s30, s23
	s_cbranch_execnz .LBB701_1161
.LBB701_1095:                           ;   in Loop: Header=BB701_974 Depth=2
	s_or_b32 exec_lo, exec_lo, s30
	s_and_saveexec_b32 s30, s24
	s_cbranch_execnz .LBB701_1162
.LBB701_1096:                           ;   in Loop: Header=BB701_974 Depth=2
	s_or_b32 exec_lo, exec_lo, s30
	s_and_saveexec_b32 s30, s25
	s_cbranch_execnz .LBB701_1163
.LBB701_1097:                           ;   in Loop: Header=BB701_974 Depth=2
	s_or_b32 exec_lo, exec_lo, s30
	s_and_saveexec_b32 s30, s26
	s_cbranch_execnz .LBB701_1164
.LBB701_1098:                           ;   in Loop: Header=BB701_974 Depth=2
	s_or_b32 exec_lo, exec_lo, s30
	s_and_saveexec_b32 s30, s27
	s_cbranch_execnz .LBB701_1165
.LBB701_1099:                           ;   in Loop: Header=BB701_974 Depth=2
	s_or_b32 exec_lo, exec_lo, s30
	s_and_saveexec_b32 s30, s28
	s_cbranch_execnz .LBB701_1166
.LBB701_1100:                           ;   in Loop: Header=BB701_974 Depth=2
	s_or_b32 exec_lo, exec_lo, s30
	s_and_saveexec_b32 s30, s29
	s_cbranch_execz .LBB701_1102
.LBB701_1101:                           ;   in Loop: Header=BB701_974 Depth=2
	ds_load_b64 v[58:59], v123 offset:31744
	s_wait_dscnt 0x0
	v_lshrrev_b64 v[58:59], s43, v[58:59]
	s_delay_alu instid0(VALU_DEP_1)
	v_and_b32_e32 v149, s55, v58
.LBB701_1102:                           ;   in Loop: Header=BB701_974 Depth=2
	s_or_b32 exec_lo, exec_lo, s30
	s_wait_loadcnt 0x0
	s_wait_storecnt 0x0
	s_barrier_signal -1
	s_barrier_wait -1
	ds_store_b64 v91, v[56:57] offset:1024
	ds_store_b64 v60, v[54:55] offset:1024
	;; [unrolled: 1-line block ×16, first 2 shown]
	s_wait_dscnt 0x0
	s_barrier_signal -1
	s_barrier_wait -1
	s_and_saveexec_b32 s30, vcc_lo
	s_cbranch_execnz .LBB701_1167
; %bb.1103:                             ;   in Loop: Header=BB701_974 Depth=2
	s_or_b32 exec_lo, exec_lo, s30
	s_and_saveexec_b32 s30, s15
	s_cbranch_execnz .LBB701_1168
.LBB701_1104:                           ;   in Loop: Header=BB701_974 Depth=2
	s_or_b32 exec_lo, exec_lo, s30
	s_and_saveexec_b32 s15, s16
	s_cbranch_execnz .LBB701_1169
.LBB701_1105:                           ;   in Loop: Header=BB701_974 Depth=2
	s_or_b32 exec_lo, exec_lo, s15
	s_and_saveexec_b32 s15, s17
	s_cbranch_execnz .LBB701_1170
.LBB701_1106:                           ;   in Loop: Header=BB701_974 Depth=2
	s_or_b32 exec_lo, exec_lo, s15
	s_and_saveexec_b32 s15, s18
	s_cbranch_execnz .LBB701_1171
.LBB701_1107:                           ;   in Loop: Header=BB701_974 Depth=2
	s_or_b32 exec_lo, exec_lo, s15
	s_and_saveexec_b32 s15, s19
	s_cbranch_execnz .LBB701_1172
.LBB701_1108:                           ;   in Loop: Header=BB701_974 Depth=2
	s_or_b32 exec_lo, exec_lo, s15
	s_and_saveexec_b32 s15, s20
	s_cbranch_execnz .LBB701_1173
.LBB701_1109:                           ;   in Loop: Header=BB701_974 Depth=2
	s_or_b32 exec_lo, exec_lo, s15
	s_and_saveexec_b32 s15, s21
	s_cbranch_execnz .LBB701_1174
.LBB701_1110:                           ;   in Loop: Header=BB701_974 Depth=2
	s_or_b32 exec_lo, exec_lo, s15
	s_and_saveexec_b32 s15, s22
	s_cbranch_execnz .LBB701_1175
.LBB701_1111:                           ;   in Loop: Header=BB701_974 Depth=2
	s_or_b32 exec_lo, exec_lo, s15
	s_and_saveexec_b32 s15, s23
	s_cbranch_execnz .LBB701_1176
.LBB701_1112:                           ;   in Loop: Header=BB701_974 Depth=2
	s_or_b32 exec_lo, exec_lo, s15
	s_and_saveexec_b32 s15, s24
	s_cbranch_execnz .LBB701_1177
.LBB701_1113:                           ;   in Loop: Header=BB701_974 Depth=2
	s_or_b32 exec_lo, exec_lo, s15
	s_and_saveexec_b32 s15, s25
	s_cbranch_execnz .LBB701_1178
.LBB701_1114:                           ;   in Loop: Header=BB701_974 Depth=2
	s_or_b32 exec_lo, exec_lo, s15
	s_and_saveexec_b32 s15, s26
	s_cbranch_execnz .LBB701_1179
.LBB701_1115:                           ;   in Loop: Header=BB701_974 Depth=2
	s_or_b32 exec_lo, exec_lo, s15
	s_and_saveexec_b32 s15, s27
	s_cbranch_execnz .LBB701_1180
.LBB701_1116:                           ;   in Loop: Header=BB701_974 Depth=2
	s_or_b32 exec_lo, exec_lo, s15
	s_and_saveexec_b32 s15, s28
	s_cbranch_execnz .LBB701_1181
.LBB701_1117:                           ;   in Loop: Header=BB701_974 Depth=2
	s_or_b32 exec_lo, exec_lo, s15
	s_and_saveexec_b32 s15, s29
	s_cbranch_execz .LBB701_1119
.LBB701_1118:                           ;   in Loop: Header=BB701_974 Depth=2
	v_lshlrev_b32_e32 v58, 2, v149
	ds_load_b32 v60, v58
	ds_load_b64 v[58:59], v123 offset:31744
	s_wait_dscnt 0x1
	v_add_nc_u32_e32 v60, v60, v112
	s_wait_dscnt 0x0
	global_store_b64 v60, v[58:59], s[46:47] scale_offset
.LBB701_1119:                           ;   in Loop: Header=BB701_974 Depth=2
	s_wait_xcnt 0x0
	s_or_b32 exec_lo, exec_lo, s15
	s_wait_storecnt 0x0
	s_barrier_signal -1
	s_barrier_wait -1
	s_and_saveexec_b32 s15, s0
	s_cbranch_execz .LBB701_973
; %bb.1120:                             ;   in Loop: Header=BB701_974 Depth=2
	ds_load_b32 v58, v3
	s_wait_dscnt 0x0
	v_add_nc_u32_e32 v58, v58, v90
	ds_store_b32 v3, v58
	s_branch .LBB701_973
.LBB701_1121:                           ;   in Loop: Header=BB701_974 Depth=2
	ds_load_b64 v[58:59], v123 offset:1024
	s_wait_dscnt 0x0
	v_lshrrev_b64 v[66:67], s43, v[58:59]
	v_xor_b32_e32 v59, 0x7fffffff, v59
	v_not_b32_e32 v58, v58
	s_delay_alu instid0(VALU_DEP_3) | instskip(NEXT) | instid1(VALU_DEP_1)
	v_and_b32_e32 v66, s55, v66
	v_lshlrev_b32_e32 v66, 2, v66
	ds_load_b32 v66, v66
	s_wait_dscnt 0x0
	v_add_nc_u32_e32 v66, v66, v2
	global_store_b64 v66, v[58:59], s[40:41] scale_offset
	s_wait_xcnt 0x0
	s_or_b32 exec_lo, exec_lo, s15
	v_cmp_lt_u32_e64 s15, v98, v165
	s_and_saveexec_b32 s16, s15
	s_cbranch_execz .LBB701_1054
.LBB701_1122:                           ;   in Loop: Header=BB701_974 Depth=2
	ds_load_b64 v[58:59], v123 offset:3072
	s_wait_dscnt 0x0
	v_lshrrev_b64 v[66:67], s43, v[58:59]
	v_xor_b32_e32 v59, 0x7fffffff, v59
	v_not_b32_e32 v58, v58
	s_delay_alu instid0(VALU_DEP_3) | instskip(NEXT) | instid1(VALU_DEP_1)
	v_and_b32_e32 v66, s55, v66
	v_lshlrev_b32_e32 v66, 2, v66
	ds_load_b32 v66, v66
	s_wait_dscnt 0x0
	v_add_nc_u32_e32 v66, v66, v98
	global_store_b64 v66, v[58:59], s[40:41] scale_offset
	s_wait_xcnt 0x0
	s_or_b32 exec_lo, exec_lo, s16
	v_cmp_lt_u32_e64 s16, v99, v165
	s_and_saveexec_b32 s17, s16
	s_cbranch_execz .LBB701_1055
.LBB701_1123:                           ;   in Loop: Header=BB701_974 Depth=2
	ds_load_b64 v[58:59], v123 offset:5120
	s_wait_dscnt 0x0
	v_lshrrev_b64 v[66:67], s43, v[58:59]
	v_xor_b32_e32 v59, 0x7fffffff, v59
	v_not_b32_e32 v58, v58
	s_delay_alu instid0(VALU_DEP_3) | instskip(NEXT) | instid1(VALU_DEP_1)
	v_and_b32_e32 v66, s55, v66
	v_lshlrev_b32_e32 v66, 2, v66
	ds_load_b32 v66, v66
	s_wait_dscnt 0x0
	v_add_nc_u32_e32 v66, v66, v99
	global_store_b64 v66, v[58:59], s[40:41] scale_offset
	s_wait_xcnt 0x0
	s_or_b32 exec_lo, exec_lo, s17
	v_cmp_lt_u32_e64 s17, v100, v165
	s_and_saveexec_b32 s18, s17
	s_cbranch_execz .LBB701_1056
.LBB701_1124:                           ;   in Loop: Header=BB701_974 Depth=2
	ds_load_b64 v[58:59], v123 offset:7168
	s_wait_dscnt 0x0
	v_lshrrev_b64 v[66:67], s43, v[58:59]
	v_xor_b32_e32 v59, 0x7fffffff, v59
	v_not_b32_e32 v58, v58
	s_delay_alu instid0(VALU_DEP_3) | instskip(NEXT) | instid1(VALU_DEP_1)
	v_and_b32_e32 v66, s55, v66
	v_lshlrev_b32_e32 v66, 2, v66
	ds_load_b32 v66, v66
	s_wait_dscnt 0x0
	v_add_nc_u32_e32 v66, v66, v100
	global_store_b64 v66, v[58:59], s[40:41] scale_offset
	s_wait_xcnt 0x0
	s_or_b32 exec_lo, exec_lo, s18
	v_cmp_lt_u32_e64 s18, v101, v165
	s_and_saveexec_b32 s19, s18
	s_cbranch_execz .LBB701_1057
.LBB701_1125:                           ;   in Loop: Header=BB701_974 Depth=2
	ds_load_b64 v[58:59], v123 offset:9216
	s_wait_dscnt 0x0
	v_lshrrev_b64 v[66:67], s43, v[58:59]
	v_xor_b32_e32 v59, 0x7fffffff, v59
	v_not_b32_e32 v58, v58
	s_delay_alu instid0(VALU_DEP_3) | instskip(NEXT) | instid1(VALU_DEP_1)
	v_and_b32_e32 v66, s55, v66
	v_lshlrev_b32_e32 v66, 2, v66
	ds_load_b32 v66, v66
	s_wait_dscnt 0x0
	v_add_nc_u32_e32 v66, v66, v101
	global_store_b64 v66, v[58:59], s[40:41] scale_offset
	s_wait_xcnt 0x0
	s_or_b32 exec_lo, exec_lo, s19
	v_cmp_lt_u32_e64 s19, v102, v165
	s_and_saveexec_b32 s20, s19
	s_cbranch_execz .LBB701_1058
.LBB701_1126:                           ;   in Loop: Header=BB701_974 Depth=2
	ds_load_b64 v[58:59], v123 offset:11264
	s_wait_dscnt 0x0
	v_lshrrev_b64 v[66:67], s43, v[58:59]
	v_xor_b32_e32 v59, 0x7fffffff, v59
	v_not_b32_e32 v58, v58
	s_delay_alu instid0(VALU_DEP_3) | instskip(NEXT) | instid1(VALU_DEP_1)
	v_and_b32_e32 v66, s55, v66
	v_lshlrev_b32_e32 v66, 2, v66
	ds_load_b32 v66, v66
	s_wait_dscnt 0x0
	v_add_nc_u32_e32 v66, v66, v102
	global_store_b64 v66, v[58:59], s[40:41] scale_offset
	s_wait_xcnt 0x0
	s_or_b32 exec_lo, exec_lo, s20
	v_cmp_lt_u32_e64 s20, v103, v165
	s_and_saveexec_b32 s21, s20
	s_cbranch_execz .LBB701_1059
.LBB701_1127:                           ;   in Loop: Header=BB701_974 Depth=2
	ds_load_b64 v[58:59], v123 offset:13312
	s_wait_dscnt 0x0
	v_lshrrev_b64 v[66:67], s43, v[58:59]
	v_xor_b32_e32 v59, 0x7fffffff, v59
	v_not_b32_e32 v58, v58
	s_delay_alu instid0(VALU_DEP_3) | instskip(NEXT) | instid1(VALU_DEP_1)
	v_and_b32_e32 v66, s55, v66
	v_lshlrev_b32_e32 v66, 2, v66
	ds_load_b32 v66, v66
	s_wait_dscnt 0x0
	v_add_nc_u32_e32 v66, v66, v103
	global_store_b64 v66, v[58:59], s[40:41] scale_offset
	s_wait_xcnt 0x0
	s_or_b32 exec_lo, exec_lo, s21
	v_cmp_lt_u32_e64 s21, v104, v165
	s_and_saveexec_b32 s22, s21
	s_cbranch_execz .LBB701_1060
.LBB701_1128:                           ;   in Loop: Header=BB701_974 Depth=2
	ds_load_b64 v[58:59], v123 offset:15360
	s_wait_dscnt 0x0
	v_lshrrev_b64 v[66:67], s43, v[58:59]
	v_xor_b32_e32 v59, 0x7fffffff, v59
	v_not_b32_e32 v58, v58
	s_delay_alu instid0(VALU_DEP_3) | instskip(NEXT) | instid1(VALU_DEP_1)
	v_and_b32_e32 v66, s55, v66
	v_lshlrev_b32_e32 v66, 2, v66
	ds_load_b32 v66, v66
	s_wait_dscnt 0x0
	v_add_nc_u32_e32 v66, v66, v104
	global_store_b64 v66, v[58:59], s[40:41] scale_offset
	s_wait_xcnt 0x0
	s_or_b32 exec_lo, exec_lo, s22
	v_cmp_lt_u32_e64 s22, v105, v165
	s_and_saveexec_b32 s23, s22
	s_cbranch_execz .LBB701_1061
.LBB701_1129:                           ;   in Loop: Header=BB701_974 Depth=2
	ds_load_b64 v[58:59], v123 offset:17408
	s_wait_dscnt 0x0
	v_lshrrev_b64 v[66:67], s43, v[58:59]
	v_xor_b32_e32 v59, 0x7fffffff, v59
	v_not_b32_e32 v58, v58
	s_delay_alu instid0(VALU_DEP_3) | instskip(NEXT) | instid1(VALU_DEP_1)
	v_and_b32_e32 v66, s55, v66
	v_lshlrev_b32_e32 v66, 2, v66
	ds_load_b32 v66, v66
	s_wait_dscnt 0x0
	v_add_nc_u32_e32 v66, v66, v105
	global_store_b64 v66, v[58:59], s[40:41] scale_offset
	s_wait_xcnt 0x0
	s_or_b32 exec_lo, exec_lo, s23
	v_cmp_lt_u32_e64 s23, v106, v165
	s_and_saveexec_b32 s24, s23
	s_cbranch_execz .LBB701_1062
.LBB701_1130:                           ;   in Loop: Header=BB701_974 Depth=2
	ds_load_b64 v[58:59], v123 offset:19456
	s_wait_dscnt 0x0
	v_lshrrev_b64 v[66:67], s43, v[58:59]
	v_xor_b32_e32 v59, 0x7fffffff, v59
	v_not_b32_e32 v58, v58
	s_delay_alu instid0(VALU_DEP_3) | instskip(NEXT) | instid1(VALU_DEP_1)
	v_and_b32_e32 v66, s55, v66
	v_lshlrev_b32_e32 v66, 2, v66
	ds_load_b32 v66, v66
	s_wait_dscnt 0x0
	v_add_nc_u32_e32 v66, v66, v106
	global_store_b64 v66, v[58:59], s[40:41] scale_offset
	s_wait_xcnt 0x0
	s_or_b32 exec_lo, exec_lo, s24
	v_cmp_lt_u32_e64 s24, v107, v165
	s_and_saveexec_b32 s25, s24
	s_cbranch_execz .LBB701_1063
.LBB701_1131:                           ;   in Loop: Header=BB701_974 Depth=2
	ds_load_b64 v[58:59], v123 offset:21504
	s_wait_dscnt 0x0
	v_lshrrev_b64 v[66:67], s43, v[58:59]
	v_xor_b32_e32 v59, 0x7fffffff, v59
	v_not_b32_e32 v58, v58
	s_delay_alu instid0(VALU_DEP_3) | instskip(NEXT) | instid1(VALU_DEP_1)
	v_and_b32_e32 v66, s55, v66
	v_lshlrev_b32_e32 v66, 2, v66
	ds_load_b32 v66, v66
	s_wait_dscnt 0x0
	v_add_nc_u32_e32 v66, v66, v107
	global_store_b64 v66, v[58:59], s[40:41] scale_offset
	s_wait_xcnt 0x0
	s_or_b32 exec_lo, exec_lo, s25
	v_cmp_lt_u32_e64 s25, v108, v165
	s_and_saveexec_b32 s26, s25
	s_cbranch_execz .LBB701_1064
.LBB701_1132:                           ;   in Loop: Header=BB701_974 Depth=2
	ds_load_b64 v[58:59], v123 offset:23552
	s_wait_dscnt 0x0
	v_lshrrev_b64 v[66:67], s43, v[58:59]
	v_xor_b32_e32 v59, 0x7fffffff, v59
	v_not_b32_e32 v58, v58
	s_delay_alu instid0(VALU_DEP_3) | instskip(NEXT) | instid1(VALU_DEP_1)
	v_and_b32_e32 v66, s55, v66
	v_lshlrev_b32_e32 v66, 2, v66
	ds_load_b32 v66, v66
	s_wait_dscnt 0x0
	v_add_nc_u32_e32 v66, v66, v108
	global_store_b64 v66, v[58:59], s[40:41] scale_offset
	s_wait_xcnt 0x0
	s_or_b32 exec_lo, exec_lo, s26
	v_cmp_lt_u32_e64 s26, v109, v165
	s_and_saveexec_b32 s27, s26
	s_cbranch_execz .LBB701_1065
.LBB701_1133:                           ;   in Loop: Header=BB701_974 Depth=2
	ds_load_b64 v[58:59], v123 offset:25600
	s_wait_dscnt 0x0
	v_lshrrev_b64 v[66:67], s43, v[58:59]
	v_xor_b32_e32 v59, 0x7fffffff, v59
	v_not_b32_e32 v58, v58
	s_delay_alu instid0(VALU_DEP_3) | instskip(NEXT) | instid1(VALU_DEP_1)
	v_and_b32_e32 v66, s55, v66
	v_lshlrev_b32_e32 v66, 2, v66
	ds_load_b32 v66, v66
	s_wait_dscnt 0x0
	v_add_nc_u32_e32 v66, v66, v109
	global_store_b64 v66, v[58:59], s[40:41] scale_offset
	s_wait_xcnt 0x0
	s_or_b32 exec_lo, exec_lo, s27
	v_cmp_lt_u32_e64 s27, v110, v165
	s_and_saveexec_b32 s28, s27
	s_cbranch_execz .LBB701_1066
.LBB701_1134:                           ;   in Loop: Header=BB701_974 Depth=2
	ds_load_b64 v[58:59], v123 offset:27648
	s_wait_dscnt 0x0
	v_lshrrev_b64 v[66:67], s43, v[58:59]
	v_xor_b32_e32 v59, 0x7fffffff, v59
	v_not_b32_e32 v58, v58
	s_delay_alu instid0(VALU_DEP_3) | instskip(NEXT) | instid1(VALU_DEP_1)
	v_and_b32_e32 v66, s55, v66
	v_lshlrev_b32_e32 v66, 2, v66
	ds_load_b32 v66, v66
	s_wait_dscnt 0x0
	v_add_nc_u32_e32 v66, v66, v110
	global_store_b64 v66, v[58:59], s[40:41] scale_offset
	s_wait_xcnt 0x0
	s_or_b32 exec_lo, exec_lo, s28
	v_cmp_lt_u32_e64 s28, v111, v165
	s_and_saveexec_b32 s29, s28
	s_cbranch_execz .LBB701_1067
.LBB701_1135:                           ;   in Loop: Header=BB701_974 Depth=2
	ds_load_b64 v[58:59], v123 offset:29696
	s_wait_dscnt 0x0
	v_lshrrev_b64 v[66:67], s43, v[58:59]
	v_xor_b32_e32 v59, 0x7fffffff, v59
	v_not_b32_e32 v58, v58
	s_delay_alu instid0(VALU_DEP_3) | instskip(NEXT) | instid1(VALU_DEP_1)
	v_and_b32_e32 v66, s55, v66
	v_lshlrev_b32_e32 v66, 2, v66
	ds_load_b32 v66, v66
	s_wait_dscnt 0x0
	v_add_nc_u32_e32 v66, v66, v111
	global_store_b64 v66, v[58:59], s[40:41] scale_offset
	s_wait_xcnt 0x0
	s_or_b32 exec_lo, exec_lo, s29
	v_cmp_lt_u32_e64 s29, v112, v165
	s_and_saveexec_b32 s58, s29
	s_cbranch_execnz .LBB701_1068
	s_branch .LBB701_1069
.LBB701_1136:                           ;   in Loop: Header=BB701_974 Depth=2
	global_load_b64 v[56:57], v[58:59], off
	s_wait_xcnt 0x0
	s_or_b32 exec_lo, exec_lo, s30
	s_delay_alu instid0(SALU_CYCLE_1)
	s_mov_b32 s58, exec_lo
	v_cmpx_lt_u32_e64 v132, v165
	s_cbranch_execz .LBB701_1071
.LBB701_1137:                           ;   in Loop: Header=BB701_974 Depth=2
	global_load_b64 v[54:55], v[58:59], off offset:256
	s_wait_xcnt 0x0
	s_or_b32 exec_lo, exec_lo, s58
	s_delay_alu instid0(SALU_CYCLE_1)
	s_mov_b32 s58, exec_lo
	v_cmpx_lt_u32_e64 v133, v165
	s_cbranch_execz .LBB701_1072
.LBB701_1138:                           ;   in Loop: Header=BB701_974 Depth=2
	global_load_b64 v[52:53], v[58:59], off offset:512
	s_wait_xcnt 0x0
	s_or_b32 exec_lo, exec_lo, s58
	s_delay_alu instid0(SALU_CYCLE_1)
	s_mov_b32 s58, exec_lo
	v_cmpx_lt_u32_e64 v134, v165
	s_cbranch_execz .LBB701_1073
.LBB701_1139:                           ;   in Loop: Header=BB701_974 Depth=2
	global_load_b64 v[50:51], v[58:59], off offset:768
	s_wait_xcnt 0x0
	s_or_b32 exec_lo, exec_lo, s58
	s_delay_alu instid0(SALU_CYCLE_1)
	s_mov_b32 s58, exec_lo
	v_cmpx_lt_u32_e64 v135, v165
	s_cbranch_execz .LBB701_1074
.LBB701_1140:                           ;   in Loop: Header=BB701_974 Depth=2
	global_load_b64 v[48:49], v[58:59], off offset:1024
	s_wait_xcnt 0x0
	s_or_b32 exec_lo, exec_lo, s58
	s_delay_alu instid0(SALU_CYCLE_1)
	s_mov_b32 s58, exec_lo
	v_cmpx_lt_u32_e64 v136, v165
	s_cbranch_execz .LBB701_1075
.LBB701_1141:                           ;   in Loop: Header=BB701_974 Depth=2
	global_load_b64 v[46:47], v[58:59], off offset:1280
	s_wait_xcnt 0x0
	s_or_b32 exec_lo, exec_lo, s58
	s_delay_alu instid0(SALU_CYCLE_1)
	s_mov_b32 s58, exec_lo
	v_cmpx_lt_u32_e64 v137, v165
	s_cbranch_execz .LBB701_1076
.LBB701_1142:                           ;   in Loop: Header=BB701_974 Depth=2
	global_load_b64 v[44:45], v[58:59], off offset:1536
	s_wait_xcnt 0x0
	s_or_b32 exec_lo, exec_lo, s58
	s_delay_alu instid0(SALU_CYCLE_1)
	s_mov_b32 s58, exec_lo
	v_cmpx_lt_u32_e64 v138, v165
	s_cbranch_execz .LBB701_1077
.LBB701_1143:                           ;   in Loop: Header=BB701_974 Depth=2
	global_load_b64 v[42:43], v[58:59], off offset:1792
	s_wait_xcnt 0x0
	s_or_b32 exec_lo, exec_lo, s58
	s_delay_alu instid0(SALU_CYCLE_1)
	s_mov_b32 s58, exec_lo
	v_cmpx_lt_u32_e64 v139, v165
	s_cbranch_execz .LBB701_1078
.LBB701_1144:                           ;   in Loop: Header=BB701_974 Depth=2
	global_load_b64 v[40:41], v[58:59], off offset:2048
	s_wait_xcnt 0x0
	s_or_b32 exec_lo, exec_lo, s58
	s_delay_alu instid0(SALU_CYCLE_1)
	s_mov_b32 s58, exec_lo
	v_cmpx_lt_u32_e64 v140, v165
	s_cbranch_execz .LBB701_1079
.LBB701_1145:                           ;   in Loop: Header=BB701_974 Depth=2
	global_load_b64 v[38:39], v[58:59], off offset:2304
	s_wait_xcnt 0x0
	s_or_b32 exec_lo, exec_lo, s58
	s_delay_alu instid0(SALU_CYCLE_1)
	s_mov_b32 s58, exec_lo
	v_cmpx_lt_u32_e64 v141, v165
	s_cbranch_execz .LBB701_1080
.LBB701_1146:                           ;   in Loop: Header=BB701_974 Depth=2
	global_load_b64 v[36:37], v[58:59], off offset:2560
	s_wait_xcnt 0x0
	s_or_b32 exec_lo, exec_lo, s58
	s_delay_alu instid0(SALU_CYCLE_1)
	s_mov_b32 s58, exec_lo
	v_cmpx_lt_u32_e64 v142, v165
	s_cbranch_execz .LBB701_1081
.LBB701_1147:                           ;   in Loop: Header=BB701_974 Depth=2
	global_load_b64 v[34:35], v[58:59], off offset:2816
	s_wait_xcnt 0x0
	s_or_b32 exec_lo, exec_lo, s58
	s_delay_alu instid0(SALU_CYCLE_1)
	s_mov_b32 s58, exec_lo
	v_cmpx_lt_u32_e64 v143, v165
	s_cbranch_execz .LBB701_1082
.LBB701_1148:                           ;   in Loop: Header=BB701_974 Depth=2
	global_load_b64 v[32:33], v[58:59], off offset:3072
	s_wait_xcnt 0x0
	s_or_b32 exec_lo, exec_lo, s58
	s_delay_alu instid0(SALU_CYCLE_1)
	s_mov_b32 s58, exec_lo
	v_cmpx_lt_u32_e64 v144, v165
	s_cbranch_execz .LBB701_1083
.LBB701_1149:                           ;   in Loop: Header=BB701_974 Depth=2
	global_load_b64 v[30:31], v[58:59], off offset:3328
	s_wait_xcnt 0x0
	s_or_b32 exec_lo, exec_lo, s58
	s_delay_alu instid0(SALU_CYCLE_1)
	s_mov_b32 s58, exec_lo
	v_cmpx_lt_u32_e64 v145, v165
	s_cbranch_execz .LBB701_1084
.LBB701_1150:                           ;   in Loop: Header=BB701_974 Depth=2
	global_load_b64 v[28:29], v[58:59], off offset:3584
	s_wait_xcnt 0x0
	s_or_b32 exec_lo, exec_lo, s58
	s_delay_alu instid0(SALU_CYCLE_1)
	s_mov_b32 s58, exec_lo
	v_cmpx_lt_u32_e64 v146, v165
	s_cbranch_execz .LBB701_1085
.LBB701_1151:                           ;   in Loop: Header=BB701_974 Depth=2
	global_load_b64 v[26:27], v[58:59], off offset:3840
	s_wait_xcnt 0x0
	s_or_b32 exec_lo, exec_lo, s58
	s_and_saveexec_b32 s30, vcc_lo
	s_cbranch_execz .LBB701_1086
.LBB701_1152:                           ;   in Loop: Header=BB701_974 Depth=2
	ds_load_b64 v[58:59], v123 offset:1024
	s_wait_dscnt 0x0
	v_lshrrev_b64 v[58:59], s43, v[58:59]
	s_delay_alu instid0(VALU_DEP_1)
	v_and_b32_e32 v164, s55, v58
	s_or_b32 exec_lo, exec_lo, s30
	s_and_saveexec_b32 s30, s15
	s_cbranch_execz .LBB701_1087
.LBB701_1153:                           ;   in Loop: Header=BB701_974 Depth=2
	ds_load_b64 v[58:59], v123 offset:3072
	s_wait_dscnt 0x0
	v_lshrrev_b64 v[58:59], s43, v[58:59]
	s_delay_alu instid0(VALU_DEP_1)
	v_and_b32_e32 v163, s55, v58
	s_or_b32 exec_lo, exec_lo, s30
	s_and_saveexec_b32 s30, s16
	s_cbranch_execz .LBB701_1088
.LBB701_1154:                           ;   in Loop: Header=BB701_974 Depth=2
	ds_load_b64 v[58:59], v123 offset:5120
	s_wait_dscnt 0x0
	v_lshrrev_b64 v[58:59], s43, v[58:59]
	s_delay_alu instid0(VALU_DEP_1)
	v_and_b32_e32 v162, s55, v58
	s_or_b32 exec_lo, exec_lo, s30
	s_and_saveexec_b32 s30, s17
	s_cbranch_execz .LBB701_1089
.LBB701_1155:                           ;   in Loop: Header=BB701_974 Depth=2
	ds_load_b64 v[58:59], v123 offset:7168
	s_wait_dscnt 0x0
	v_lshrrev_b64 v[58:59], s43, v[58:59]
	s_delay_alu instid0(VALU_DEP_1)
	v_and_b32_e32 v161, s55, v58
	s_or_b32 exec_lo, exec_lo, s30
	s_and_saveexec_b32 s30, s18
	s_cbranch_execz .LBB701_1090
.LBB701_1156:                           ;   in Loop: Header=BB701_974 Depth=2
	ds_load_b64 v[58:59], v123 offset:9216
	s_wait_dscnt 0x0
	v_lshrrev_b64 v[58:59], s43, v[58:59]
	s_delay_alu instid0(VALU_DEP_1)
	v_and_b32_e32 v160, s55, v58
	s_or_b32 exec_lo, exec_lo, s30
	s_and_saveexec_b32 s30, s19
	s_cbranch_execz .LBB701_1091
.LBB701_1157:                           ;   in Loop: Header=BB701_974 Depth=2
	ds_load_b64 v[58:59], v123 offset:11264
	s_wait_dscnt 0x0
	v_lshrrev_b64 v[58:59], s43, v[58:59]
	s_delay_alu instid0(VALU_DEP_1)
	v_and_b32_e32 v159, s55, v58
	s_or_b32 exec_lo, exec_lo, s30
	s_and_saveexec_b32 s30, s20
	s_cbranch_execz .LBB701_1092
.LBB701_1158:                           ;   in Loop: Header=BB701_974 Depth=2
	ds_load_b64 v[58:59], v123 offset:13312
	s_wait_dscnt 0x0
	v_lshrrev_b64 v[58:59], s43, v[58:59]
	s_delay_alu instid0(VALU_DEP_1)
	v_and_b32_e32 v158, s55, v58
	s_or_b32 exec_lo, exec_lo, s30
	s_and_saveexec_b32 s30, s21
	s_cbranch_execz .LBB701_1093
.LBB701_1159:                           ;   in Loop: Header=BB701_974 Depth=2
	ds_load_b64 v[58:59], v123 offset:15360
	s_wait_dscnt 0x0
	v_lshrrev_b64 v[58:59], s43, v[58:59]
	s_delay_alu instid0(VALU_DEP_1)
	v_and_b32_e32 v157, s55, v58
	s_or_b32 exec_lo, exec_lo, s30
	s_and_saveexec_b32 s30, s22
	s_cbranch_execz .LBB701_1094
.LBB701_1160:                           ;   in Loop: Header=BB701_974 Depth=2
	ds_load_b64 v[58:59], v123 offset:17408
	s_wait_dscnt 0x0
	v_lshrrev_b64 v[58:59], s43, v[58:59]
	s_delay_alu instid0(VALU_DEP_1)
	v_and_b32_e32 v156, s55, v58
	s_or_b32 exec_lo, exec_lo, s30
	s_and_saveexec_b32 s30, s23
	s_cbranch_execz .LBB701_1095
.LBB701_1161:                           ;   in Loop: Header=BB701_974 Depth=2
	ds_load_b64 v[58:59], v123 offset:19456
	s_wait_dscnt 0x0
	v_lshrrev_b64 v[58:59], s43, v[58:59]
	s_delay_alu instid0(VALU_DEP_1)
	v_and_b32_e32 v155, s55, v58
	s_or_b32 exec_lo, exec_lo, s30
	s_and_saveexec_b32 s30, s24
	s_cbranch_execz .LBB701_1096
.LBB701_1162:                           ;   in Loop: Header=BB701_974 Depth=2
	ds_load_b64 v[58:59], v123 offset:21504
	s_wait_dscnt 0x0
	v_lshrrev_b64 v[58:59], s43, v[58:59]
	s_delay_alu instid0(VALU_DEP_1)
	v_and_b32_e32 v154, s55, v58
	s_or_b32 exec_lo, exec_lo, s30
	s_and_saveexec_b32 s30, s25
	s_cbranch_execz .LBB701_1097
.LBB701_1163:                           ;   in Loop: Header=BB701_974 Depth=2
	ds_load_b64 v[58:59], v123 offset:23552
	s_wait_dscnt 0x0
	v_lshrrev_b64 v[58:59], s43, v[58:59]
	s_delay_alu instid0(VALU_DEP_1)
	v_and_b32_e32 v153, s55, v58
	s_or_b32 exec_lo, exec_lo, s30
	s_and_saveexec_b32 s30, s26
	s_cbranch_execz .LBB701_1098
.LBB701_1164:                           ;   in Loop: Header=BB701_974 Depth=2
	ds_load_b64 v[58:59], v123 offset:25600
	s_wait_dscnt 0x0
	v_lshrrev_b64 v[58:59], s43, v[58:59]
	s_delay_alu instid0(VALU_DEP_1)
	v_and_b32_e32 v152, s55, v58
	s_or_b32 exec_lo, exec_lo, s30
	s_and_saveexec_b32 s30, s27
	s_cbranch_execz .LBB701_1099
.LBB701_1165:                           ;   in Loop: Header=BB701_974 Depth=2
	ds_load_b64 v[58:59], v123 offset:27648
	s_wait_dscnt 0x0
	v_lshrrev_b64 v[58:59], s43, v[58:59]
	s_delay_alu instid0(VALU_DEP_1)
	v_and_b32_e32 v151, s55, v58
	s_or_b32 exec_lo, exec_lo, s30
	s_and_saveexec_b32 s30, s28
	s_cbranch_execz .LBB701_1100
.LBB701_1166:                           ;   in Loop: Header=BB701_974 Depth=2
	ds_load_b64 v[58:59], v123 offset:29696
	s_wait_dscnt 0x0
	v_lshrrev_b64 v[58:59], s43, v[58:59]
	s_delay_alu instid0(VALU_DEP_1)
	v_and_b32_e32 v150, s55, v58
	s_or_b32 exec_lo, exec_lo, s30
	s_and_saveexec_b32 s30, s29
	s_cbranch_execnz .LBB701_1101
	s_branch .LBB701_1102
.LBB701_1167:                           ;   in Loop: Header=BB701_974 Depth=2
	v_lshlrev_b32_e32 v58, 2, v164
	ds_load_b32 v60, v58
	ds_load_b64 v[58:59], v123 offset:1024
	s_wait_dscnt 0x1
	v_add_nc_u32_e32 v60, v60, v2
	s_wait_dscnt 0x0
	global_store_b64 v60, v[58:59], s[46:47] scale_offset
	s_wait_xcnt 0x0
	s_or_b32 exec_lo, exec_lo, s30
	s_and_saveexec_b32 s30, s15
	s_cbranch_execz .LBB701_1104
.LBB701_1168:                           ;   in Loop: Header=BB701_974 Depth=2
	v_lshlrev_b32_e32 v58, 2, v163
	ds_load_b32 v60, v58
	ds_load_b64 v[58:59], v123 offset:3072
	s_wait_dscnt 0x1
	v_add_nc_u32_e32 v60, v60, v98
	s_wait_dscnt 0x0
	global_store_b64 v60, v[58:59], s[46:47] scale_offset
	s_wait_xcnt 0x0
	s_or_b32 exec_lo, exec_lo, s30
	s_and_saveexec_b32 s15, s16
	s_cbranch_execz .LBB701_1105
.LBB701_1169:                           ;   in Loop: Header=BB701_974 Depth=2
	v_lshlrev_b32_e32 v58, 2, v162
	ds_load_b32 v60, v58
	ds_load_b64 v[58:59], v123 offset:5120
	s_wait_dscnt 0x1
	v_add_nc_u32_e32 v60, v60, v99
	s_wait_dscnt 0x0
	global_store_b64 v60, v[58:59], s[46:47] scale_offset
	s_wait_xcnt 0x0
	s_or_b32 exec_lo, exec_lo, s15
	s_and_saveexec_b32 s15, s17
	s_cbranch_execz .LBB701_1106
.LBB701_1170:                           ;   in Loop: Header=BB701_974 Depth=2
	v_lshlrev_b32_e32 v58, 2, v161
	ds_load_b32 v60, v58
	ds_load_b64 v[58:59], v123 offset:7168
	s_wait_dscnt 0x1
	v_add_nc_u32_e32 v60, v60, v100
	s_wait_dscnt 0x0
	global_store_b64 v60, v[58:59], s[46:47] scale_offset
	s_wait_xcnt 0x0
	s_or_b32 exec_lo, exec_lo, s15
	s_and_saveexec_b32 s15, s18
	s_cbranch_execz .LBB701_1107
.LBB701_1171:                           ;   in Loop: Header=BB701_974 Depth=2
	v_lshlrev_b32_e32 v58, 2, v160
	ds_load_b32 v60, v58
	ds_load_b64 v[58:59], v123 offset:9216
	s_wait_dscnt 0x1
	v_add_nc_u32_e32 v60, v60, v101
	s_wait_dscnt 0x0
	global_store_b64 v60, v[58:59], s[46:47] scale_offset
	s_wait_xcnt 0x0
	s_or_b32 exec_lo, exec_lo, s15
	s_and_saveexec_b32 s15, s19
	s_cbranch_execz .LBB701_1108
.LBB701_1172:                           ;   in Loop: Header=BB701_974 Depth=2
	v_lshlrev_b32_e32 v58, 2, v159
	ds_load_b32 v60, v58
	ds_load_b64 v[58:59], v123 offset:11264
	s_wait_dscnt 0x1
	v_add_nc_u32_e32 v60, v60, v102
	s_wait_dscnt 0x0
	global_store_b64 v60, v[58:59], s[46:47] scale_offset
	s_wait_xcnt 0x0
	s_or_b32 exec_lo, exec_lo, s15
	s_and_saveexec_b32 s15, s20
	s_cbranch_execz .LBB701_1109
.LBB701_1173:                           ;   in Loop: Header=BB701_974 Depth=2
	v_lshlrev_b32_e32 v58, 2, v158
	ds_load_b32 v60, v58
	ds_load_b64 v[58:59], v123 offset:13312
	s_wait_dscnt 0x1
	v_add_nc_u32_e32 v60, v60, v103
	s_wait_dscnt 0x0
	global_store_b64 v60, v[58:59], s[46:47] scale_offset
	s_wait_xcnt 0x0
	s_or_b32 exec_lo, exec_lo, s15
	s_and_saveexec_b32 s15, s21
	s_cbranch_execz .LBB701_1110
.LBB701_1174:                           ;   in Loop: Header=BB701_974 Depth=2
	v_lshlrev_b32_e32 v58, 2, v157
	ds_load_b32 v60, v58
	ds_load_b64 v[58:59], v123 offset:15360
	s_wait_dscnt 0x1
	v_add_nc_u32_e32 v60, v60, v104
	s_wait_dscnt 0x0
	global_store_b64 v60, v[58:59], s[46:47] scale_offset
	s_wait_xcnt 0x0
	s_or_b32 exec_lo, exec_lo, s15
	s_and_saveexec_b32 s15, s22
	s_cbranch_execz .LBB701_1111
.LBB701_1175:                           ;   in Loop: Header=BB701_974 Depth=2
	v_lshlrev_b32_e32 v58, 2, v156
	ds_load_b32 v60, v58
	ds_load_b64 v[58:59], v123 offset:17408
	s_wait_dscnt 0x1
	v_add_nc_u32_e32 v60, v60, v105
	s_wait_dscnt 0x0
	global_store_b64 v60, v[58:59], s[46:47] scale_offset
	s_wait_xcnt 0x0
	s_or_b32 exec_lo, exec_lo, s15
	s_and_saveexec_b32 s15, s23
	s_cbranch_execz .LBB701_1112
.LBB701_1176:                           ;   in Loop: Header=BB701_974 Depth=2
	v_lshlrev_b32_e32 v58, 2, v155
	ds_load_b32 v60, v58
	ds_load_b64 v[58:59], v123 offset:19456
	s_wait_dscnt 0x1
	v_add_nc_u32_e32 v60, v60, v106
	s_wait_dscnt 0x0
	global_store_b64 v60, v[58:59], s[46:47] scale_offset
	s_wait_xcnt 0x0
	s_or_b32 exec_lo, exec_lo, s15
	s_and_saveexec_b32 s15, s24
	s_cbranch_execz .LBB701_1113
.LBB701_1177:                           ;   in Loop: Header=BB701_974 Depth=2
	v_lshlrev_b32_e32 v58, 2, v154
	ds_load_b32 v60, v58
	ds_load_b64 v[58:59], v123 offset:21504
	s_wait_dscnt 0x1
	v_add_nc_u32_e32 v60, v60, v107
	s_wait_dscnt 0x0
	global_store_b64 v60, v[58:59], s[46:47] scale_offset
	s_wait_xcnt 0x0
	s_or_b32 exec_lo, exec_lo, s15
	s_and_saveexec_b32 s15, s25
	s_cbranch_execz .LBB701_1114
.LBB701_1178:                           ;   in Loop: Header=BB701_974 Depth=2
	v_lshlrev_b32_e32 v58, 2, v153
	ds_load_b32 v60, v58
	ds_load_b64 v[58:59], v123 offset:23552
	s_wait_dscnt 0x1
	v_add_nc_u32_e32 v60, v60, v108
	s_wait_dscnt 0x0
	global_store_b64 v60, v[58:59], s[46:47] scale_offset
	s_wait_xcnt 0x0
	s_or_b32 exec_lo, exec_lo, s15
	s_and_saveexec_b32 s15, s26
	s_cbranch_execz .LBB701_1115
.LBB701_1179:                           ;   in Loop: Header=BB701_974 Depth=2
	v_lshlrev_b32_e32 v58, 2, v152
	ds_load_b32 v60, v58
	ds_load_b64 v[58:59], v123 offset:25600
	s_wait_dscnt 0x1
	v_add_nc_u32_e32 v60, v60, v109
	s_wait_dscnt 0x0
	global_store_b64 v60, v[58:59], s[46:47] scale_offset
	s_wait_xcnt 0x0
	s_or_b32 exec_lo, exec_lo, s15
	s_and_saveexec_b32 s15, s27
	s_cbranch_execz .LBB701_1116
.LBB701_1180:                           ;   in Loop: Header=BB701_974 Depth=2
	v_lshlrev_b32_e32 v58, 2, v151
	ds_load_b32 v60, v58
	ds_load_b64 v[58:59], v123 offset:27648
	s_wait_dscnt 0x1
	v_add_nc_u32_e32 v60, v60, v110
	s_wait_dscnt 0x0
	global_store_b64 v60, v[58:59], s[46:47] scale_offset
	s_wait_xcnt 0x0
	s_or_b32 exec_lo, exec_lo, s15
	s_and_saveexec_b32 s15, s28
	s_cbranch_execz .LBB701_1117
.LBB701_1181:                           ;   in Loop: Header=BB701_974 Depth=2
	v_lshlrev_b32_e32 v58, 2, v150
	ds_load_b32 v60, v58
	ds_load_b64 v[58:59], v123 offset:29696
	s_wait_dscnt 0x1
	v_add_nc_u32_e32 v60, v60, v111
	s_wait_dscnt 0x0
	global_store_b64 v60, v[58:59], s[46:47] scale_offset
	s_wait_xcnt 0x0
	s_or_b32 exec_lo, exec_lo, s15
	s_and_saveexec_b32 s15, s29
	s_cbranch_execnz .LBB701_1118
	s_branch .LBB701_1119
.LBB701_1182:
	s_endpgm
	.section	.rodata,"a",@progbits
	.p2align	6, 0x0
	.amdhsa_kernel _ZN7rocprim17ROCPRIM_400000_NS6detail17trampoline_kernelINS0_14default_configENS1_36segmented_radix_sort_config_selectorIllEEZNS1_25segmented_radix_sort_implIS3_Lb1EPKlPlS8_S9_N2at6native12_GLOBAL__N_18offset_tEEE10hipError_tPvRmT1_PNSt15iterator_traitsISH_E10value_typeET2_T3_PNSI_ISN_E10value_typeET4_jRbjT5_ST_jjP12ihipStream_tbEUlT_E_NS1_11comp_targetILNS1_3genE0ELNS1_11target_archE4294967295ELNS1_3gpuE0ELNS1_3repE0EEENS1_30default_config_static_selectorELNS0_4arch9wavefront6targetE0EEEvSH_
		.amdhsa_group_segment_fixed_size 33824
		.amdhsa_private_segment_fixed_size 0
		.amdhsa_kernarg_size 352
		.amdhsa_user_sgpr_count 4
		.amdhsa_user_sgpr_dispatch_ptr 0
		.amdhsa_user_sgpr_queue_ptr 1
		.amdhsa_user_sgpr_kernarg_segment_ptr 1
		.amdhsa_user_sgpr_dispatch_id 0
		.amdhsa_user_sgpr_kernarg_preload_length 0
		.amdhsa_user_sgpr_kernarg_preload_offset 0
		.amdhsa_user_sgpr_private_segment_size 0
		.amdhsa_wavefront_size32 1
		.amdhsa_uses_dynamic_stack 0
		.amdhsa_enable_private_segment 0
		.amdhsa_system_sgpr_workgroup_id_x 1
		.amdhsa_system_sgpr_workgroup_id_y 1
		.amdhsa_system_sgpr_workgroup_id_z 0
		.amdhsa_system_sgpr_workgroup_info 0
		.amdhsa_system_vgpr_workitem_id 2
		.amdhsa_next_free_vgpr 319
		.amdhsa_next_free_sgpr 60
		.amdhsa_named_barrier_count 0
		.amdhsa_reserve_vcc 1
		.amdhsa_float_round_mode_32 0
		.amdhsa_float_round_mode_16_64 0
		.amdhsa_float_denorm_mode_32 3
		.amdhsa_float_denorm_mode_16_64 3
		.amdhsa_fp16_overflow 0
		.amdhsa_memory_ordered 1
		.amdhsa_forward_progress 1
		.amdhsa_inst_pref_size 255
		.amdhsa_round_robin_scheduling 0
		.amdhsa_exception_fp_ieee_invalid_op 0
		.amdhsa_exception_fp_denorm_src 0
		.amdhsa_exception_fp_ieee_div_zero 0
		.amdhsa_exception_fp_ieee_overflow 0
		.amdhsa_exception_fp_ieee_underflow 0
		.amdhsa_exception_fp_ieee_inexact 0
		.amdhsa_exception_int_div_zero 0
	.end_amdhsa_kernel
	.section	.text._ZN7rocprim17ROCPRIM_400000_NS6detail17trampoline_kernelINS0_14default_configENS1_36segmented_radix_sort_config_selectorIllEEZNS1_25segmented_radix_sort_implIS3_Lb1EPKlPlS8_S9_N2at6native12_GLOBAL__N_18offset_tEEE10hipError_tPvRmT1_PNSt15iterator_traitsISH_E10value_typeET2_T3_PNSI_ISN_E10value_typeET4_jRbjT5_ST_jjP12ihipStream_tbEUlT_E_NS1_11comp_targetILNS1_3genE0ELNS1_11target_archE4294967295ELNS1_3gpuE0ELNS1_3repE0EEENS1_30default_config_static_selectorELNS0_4arch9wavefront6targetE0EEEvSH_,"axG",@progbits,_ZN7rocprim17ROCPRIM_400000_NS6detail17trampoline_kernelINS0_14default_configENS1_36segmented_radix_sort_config_selectorIllEEZNS1_25segmented_radix_sort_implIS3_Lb1EPKlPlS8_S9_N2at6native12_GLOBAL__N_18offset_tEEE10hipError_tPvRmT1_PNSt15iterator_traitsISH_E10value_typeET2_T3_PNSI_ISN_E10value_typeET4_jRbjT5_ST_jjP12ihipStream_tbEUlT_E_NS1_11comp_targetILNS1_3genE0ELNS1_11target_archE4294967295ELNS1_3gpuE0ELNS1_3repE0EEENS1_30default_config_static_selectorELNS0_4arch9wavefront6targetE0EEEvSH_,comdat
.Lfunc_end701:
	.size	_ZN7rocprim17ROCPRIM_400000_NS6detail17trampoline_kernelINS0_14default_configENS1_36segmented_radix_sort_config_selectorIllEEZNS1_25segmented_radix_sort_implIS3_Lb1EPKlPlS8_S9_N2at6native12_GLOBAL__N_18offset_tEEE10hipError_tPvRmT1_PNSt15iterator_traitsISH_E10value_typeET2_T3_PNSI_ISN_E10value_typeET4_jRbjT5_ST_jjP12ihipStream_tbEUlT_E_NS1_11comp_targetILNS1_3genE0ELNS1_11target_archE4294967295ELNS1_3gpuE0ELNS1_3repE0EEENS1_30default_config_static_selectorELNS0_4arch9wavefront6targetE0EEEvSH_, .Lfunc_end701-_ZN7rocprim17ROCPRIM_400000_NS6detail17trampoline_kernelINS0_14default_configENS1_36segmented_radix_sort_config_selectorIllEEZNS1_25segmented_radix_sort_implIS3_Lb1EPKlPlS8_S9_N2at6native12_GLOBAL__N_18offset_tEEE10hipError_tPvRmT1_PNSt15iterator_traitsISH_E10value_typeET2_T3_PNSI_ISN_E10value_typeET4_jRbjT5_ST_jjP12ihipStream_tbEUlT_E_NS1_11comp_targetILNS1_3genE0ELNS1_11target_archE4294967295ELNS1_3gpuE0ELNS1_3repE0EEENS1_30default_config_static_selectorELNS0_4arch9wavefront6targetE0EEEvSH_
                                        ; -- End function
	.set _ZN7rocprim17ROCPRIM_400000_NS6detail17trampoline_kernelINS0_14default_configENS1_36segmented_radix_sort_config_selectorIllEEZNS1_25segmented_radix_sort_implIS3_Lb1EPKlPlS8_S9_N2at6native12_GLOBAL__N_18offset_tEEE10hipError_tPvRmT1_PNSt15iterator_traitsISH_E10value_typeET2_T3_PNSI_ISN_E10value_typeET4_jRbjT5_ST_jjP12ihipStream_tbEUlT_E_NS1_11comp_targetILNS1_3genE0ELNS1_11target_archE4294967295ELNS1_3gpuE0ELNS1_3repE0EEENS1_30default_config_static_selectorELNS0_4arch9wavefront6targetE0EEEvSH_.num_vgpr, max(220, .L_ZN7rocprim17ROCPRIM_400000_NS6detail40segmented_radix_sort_single_block_helperIllLj256ELj16ELb1EE4sortIPKlPlS6_S7_EEbT_T0_T1_T2_jjjjRNS3_12storage_typeE.num_vgpr)
	.set _ZN7rocprim17ROCPRIM_400000_NS6detail17trampoline_kernelINS0_14default_configENS1_36segmented_radix_sort_config_selectorIllEEZNS1_25segmented_radix_sort_implIS3_Lb1EPKlPlS8_S9_N2at6native12_GLOBAL__N_18offset_tEEE10hipError_tPvRmT1_PNSt15iterator_traitsISH_E10value_typeET2_T3_PNSI_ISN_E10value_typeET4_jRbjT5_ST_jjP12ihipStream_tbEUlT_E_NS1_11comp_targetILNS1_3genE0ELNS1_11target_archE4294967295ELNS1_3gpuE0ELNS1_3repE0EEENS1_30default_config_static_selectorELNS0_4arch9wavefront6targetE0EEEvSH_.num_agpr, max(0, .L_ZN7rocprim17ROCPRIM_400000_NS6detail40segmented_radix_sort_single_block_helperIllLj256ELj16ELb1EE4sortIPKlPlS6_S7_EEbT_T0_T1_T2_jjjjRNS3_12storage_typeE.num_agpr)
	.set _ZN7rocprim17ROCPRIM_400000_NS6detail17trampoline_kernelINS0_14default_configENS1_36segmented_radix_sort_config_selectorIllEEZNS1_25segmented_radix_sort_implIS3_Lb1EPKlPlS8_S9_N2at6native12_GLOBAL__N_18offset_tEEE10hipError_tPvRmT1_PNSt15iterator_traitsISH_E10value_typeET2_T3_PNSI_ISN_E10value_typeET4_jRbjT5_ST_jjP12ihipStream_tbEUlT_E_NS1_11comp_targetILNS1_3genE0ELNS1_11target_archE4294967295ELNS1_3gpuE0ELNS1_3repE0EEENS1_30default_config_static_selectorELNS0_4arch9wavefront6targetE0EEEvSH_.numbered_sgpr, max(60, .L_ZN7rocprim17ROCPRIM_400000_NS6detail40segmented_radix_sort_single_block_helperIllLj256ELj16ELb1EE4sortIPKlPlS6_S7_EEbT_T0_T1_T2_jjjjRNS3_12storage_typeE.numbered_sgpr)
	.set _ZN7rocprim17ROCPRIM_400000_NS6detail17trampoline_kernelINS0_14default_configENS1_36segmented_radix_sort_config_selectorIllEEZNS1_25segmented_radix_sort_implIS3_Lb1EPKlPlS8_S9_N2at6native12_GLOBAL__N_18offset_tEEE10hipError_tPvRmT1_PNSt15iterator_traitsISH_E10value_typeET2_T3_PNSI_ISN_E10value_typeET4_jRbjT5_ST_jjP12ihipStream_tbEUlT_E_NS1_11comp_targetILNS1_3genE0ELNS1_11target_archE4294967295ELNS1_3gpuE0ELNS1_3repE0EEENS1_30default_config_static_selectorELNS0_4arch9wavefront6targetE0EEEvSH_.num_named_barrier, max(0, .L_ZN7rocprim17ROCPRIM_400000_NS6detail40segmented_radix_sort_single_block_helperIllLj256ELj16ELb1EE4sortIPKlPlS6_S7_EEbT_T0_T1_T2_jjjjRNS3_12storage_typeE.num_named_barrier)
	.set _ZN7rocprim17ROCPRIM_400000_NS6detail17trampoline_kernelINS0_14default_configENS1_36segmented_radix_sort_config_selectorIllEEZNS1_25segmented_radix_sort_implIS3_Lb1EPKlPlS8_S9_N2at6native12_GLOBAL__N_18offset_tEEE10hipError_tPvRmT1_PNSt15iterator_traitsISH_E10value_typeET2_T3_PNSI_ISN_E10value_typeET4_jRbjT5_ST_jjP12ihipStream_tbEUlT_E_NS1_11comp_targetILNS1_3genE0ELNS1_11target_archE4294967295ELNS1_3gpuE0ELNS1_3repE0EEENS1_30default_config_static_selectorELNS0_4arch9wavefront6targetE0EEEvSH_.private_seg_size, 0+max(.L_ZN7rocprim17ROCPRIM_400000_NS6detail40segmented_radix_sort_single_block_helperIllLj256ELj16ELb1EE4sortIPKlPlS6_S7_EEbT_T0_T1_T2_jjjjRNS3_12storage_typeE.private_seg_size)
	.set _ZN7rocprim17ROCPRIM_400000_NS6detail17trampoline_kernelINS0_14default_configENS1_36segmented_radix_sort_config_selectorIllEEZNS1_25segmented_radix_sort_implIS3_Lb1EPKlPlS8_S9_N2at6native12_GLOBAL__N_18offset_tEEE10hipError_tPvRmT1_PNSt15iterator_traitsISH_E10value_typeET2_T3_PNSI_ISN_E10value_typeET4_jRbjT5_ST_jjP12ihipStream_tbEUlT_E_NS1_11comp_targetILNS1_3genE0ELNS1_11target_archE4294967295ELNS1_3gpuE0ELNS1_3repE0EEENS1_30default_config_static_selectorELNS0_4arch9wavefront6targetE0EEEvSH_.uses_vcc, or(1, .L_ZN7rocprim17ROCPRIM_400000_NS6detail40segmented_radix_sort_single_block_helperIllLj256ELj16ELb1EE4sortIPKlPlS6_S7_EEbT_T0_T1_T2_jjjjRNS3_12storage_typeE.uses_vcc)
	.set _ZN7rocprim17ROCPRIM_400000_NS6detail17trampoline_kernelINS0_14default_configENS1_36segmented_radix_sort_config_selectorIllEEZNS1_25segmented_radix_sort_implIS3_Lb1EPKlPlS8_S9_N2at6native12_GLOBAL__N_18offset_tEEE10hipError_tPvRmT1_PNSt15iterator_traitsISH_E10value_typeET2_T3_PNSI_ISN_E10value_typeET4_jRbjT5_ST_jjP12ihipStream_tbEUlT_E_NS1_11comp_targetILNS1_3genE0ELNS1_11target_archE4294967295ELNS1_3gpuE0ELNS1_3repE0EEENS1_30default_config_static_selectorELNS0_4arch9wavefront6targetE0EEEvSH_.uses_flat_scratch, or(0, .L_ZN7rocprim17ROCPRIM_400000_NS6detail40segmented_radix_sort_single_block_helperIllLj256ELj16ELb1EE4sortIPKlPlS6_S7_EEbT_T0_T1_T2_jjjjRNS3_12storage_typeE.uses_flat_scratch)
	.set _ZN7rocprim17ROCPRIM_400000_NS6detail17trampoline_kernelINS0_14default_configENS1_36segmented_radix_sort_config_selectorIllEEZNS1_25segmented_radix_sort_implIS3_Lb1EPKlPlS8_S9_N2at6native12_GLOBAL__N_18offset_tEEE10hipError_tPvRmT1_PNSt15iterator_traitsISH_E10value_typeET2_T3_PNSI_ISN_E10value_typeET4_jRbjT5_ST_jjP12ihipStream_tbEUlT_E_NS1_11comp_targetILNS1_3genE0ELNS1_11target_archE4294967295ELNS1_3gpuE0ELNS1_3repE0EEENS1_30default_config_static_selectorELNS0_4arch9wavefront6targetE0EEEvSH_.has_dyn_sized_stack, or(0, .L_ZN7rocprim17ROCPRIM_400000_NS6detail40segmented_radix_sort_single_block_helperIllLj256ELj16ELb1EE4sortIPKlPlS6_S7_EEbT_T0_T1_T2_jjjjRNS3_12storage_typeE.has_dyn_sized_stack)
	.set _ZN7rocprim17ROCPRIM_400000_NS6detail17trampoline_kernelINS0_14default_configENS1_36segmented_radix_sort_config_selectorIllEEZNS1_25segmented_radix_sort_implIS3_Lb1EPKlPlS8_S9_N2at6native12_GLOBAL__N_18offset_tEEE10hipError_tPvRmT1_PNSt15iterator_traitsISH_E10value_typeET2_T3_PNSI_ISN_E10value_typeET4_jRbjT5_ST_jjP12ihipStream_tbEUlT_E_NS1_11comp_targetILNS1_3genE0ELNS1_11target_archE4294967295ELNS1_3gpuE0ELNS1_3repE0EEENS1_30default_config_static_selectorELNS0_4arch9wavefront6targetE0EEEvSH_.has_recursion, or(0, .L_ZN7rocprim17ROCPRIM_400000_NS6detail40segmented_radix_sort_single_block_helperIllLj256ELj16ELb1EE4sortIPKlPlS6_S7_EEbT_T0_T1_T2_jjjjRNS3_12storage_typeE.has_recursion)
	.set _ZN7rocprim17ROCPRIM_400000_NS6detail17trampoline_kernelINS0_14default_configENS1_36segmented_radix_sort_config_selectorIllEEZNS1_25segmented_radix_sort_implIS3_Lb1EPKlPlS8_S9_N2at6native12_GLOBAL__N_18offset_tEEE10hipError_tPvRmT1_PNSt15iterator_traitsISH_E10value_typeET2_T3_PNSI_ISN_E10value_typeET4_jRbjT5_ST_jjP12ihipStream_tbEUlT_E_NS1_11comp_targetILNS1_3genE0ELNS1_11target_archE4294967295ELNS1_3gpuE0ELNS1_3repE0EEENS1_30default_config_static_selectorELNS0_4arch9wavefront6targetE0EEEvSH_.has_indirect_call, or(0, .L_ZN7rocprim17ROCPRIM_400000_NS6detail40segmented_radix_sort_single_block_helperIllLj256ELj16ELb1EE4sortIPKlPlS6_S7_EEbT_T0_T1_T2_jjjjRNS3_12storage_typeE.has_indirect_call)
	.section	.AMDGPU.csdata,"",@progbits
; Kernel info:
; codeLenInByte = 70400
; TotalNumSgprs: 62
; NumVgprs: 319
; ScratchSize: 0
; MemoryBound: 0
; FloatMode: 240
; IeeeMode: 1
; LDSByteSize: 33824 bytes/workgroup (compile time only)
; SGPRBlocks: 0
; VGPRBlocks: 19
; NumSGPRsForWavesPerEU: 62
; NumVGPRsForWavesPerEU: 319
; NamedBarCnt: 0
; Occupancy: 3
; WaveLimiterHint : 1
; COMPUTE_PGM_RSRC2:SCRATCH_EN: 0
; COMPUTE_PGM_RSRC2:USER_SGPR: 4
; COMPUTE_PGM_RSRC2:TRAP_HANDLER: 0
; COMPUTE_PGM_RSRC2:TGID_X_EN: 1
; COMPUTE_PGM_RSRC2:TGID_Y_EN: 1
; COMPUTE_PGM_RSRC2:TGID_Z_EN: 0
; COMPUTE_PGM_RSRC2:TIDIG_COMP_CNT: 2
	.section	.text._ZN7rocprim17ROCPRIM_400000_NS6detail17trampoline_kernelINS0_14default_configENS1_36segmented_radix_sort_config_selectorIllEEZNS1_25segmented_radix_sort_implIS3_Lb1EPKlPlS8_S9_N2at6native12_GLOBAL__N_18offset_tEEE10hipError_tPvRmT1_PNSt15iterator_traitsISH_E10value_typeET2_T3_PNSI_ISN_E10value_typeET4_jRbjT5_ST_jjP12ihipStream_tbEUlT_E_NS1_11comp_targetILNS1_3genE5ELNS1_11target_archE942ELNS1_3gpuE9ELNS1_3repE0EEENS1_30default_config_static_selectorELNS0_4arch9wavefront6targetE0EEEvSH_,"axG",@progbits,_ZN7rocprim17ROCPRIM_400000_NS6detail17trampoline_kernelINS0_14default_configENS1_36segmented_radix_sort_config_selectorIllEEZNS1_25segmented_radix_sort_implIS3_Lb1EPKlPlS8_S9_N2at6native12_GLOBAL__N_18offset_tEEE10hipError_tPvRmT1_PNSt15iterator_traitsISH_E10value_typeET2_T3_PNSI_ISN_E10value_typeET4_jRbjT5_ST_jjP12ihipStream_tbEUlT_E_NS1_11comp_targetILNS1_3genE5ELNS1_11target_archE942ELNS1_3gpuE9ELNS1_3repE0EEENS1_30default_config_static_selectorELNS0_4arch9wavefront6targetE0EEEvSH_,comdat
	.globl	_ZN7rocprim17ROCPRIM_400000_NS6detail17trampoline_kernelINS0_14default_configENS1_36segmented_radix_sort_config_selectorIllEEZNS1_25segmented_radix_sort_implIS3_Lb1EPKlPlS8_S9_N2at6native12_GLOBAL__N_18offset_tEEE10hipError_tPvRmT1_PNSt15iterator_traitsISH_E10value_typeET2_T3_PNSI_ISN_E10value_typeET4_jRbjT5_ST_jjP12ihipStream_tbEUlT_E_NS1_11comp_targetILNS1_3genE5ELNS1_11target_archE942ELNS1_3gpuE9ELNS1_3repE0EEENS1_30default_config_static_selectorELNS0_4arch9wavefront6targetE0EEEvSH_ ; -- Begin function _ZN7rocprim17ROCPRIM_400000_NS6detail17trampoline_kernelINS0_14default_configENS1_36segmented_radix_sort_config_selectorIllEEZNS1_25segmented_radix_sort_implIS3_Lb1EPKlPlS8_S9_N2at6native12_GLOBAL__N_18offset_tEEE10hipError_tPvRmT1_PNSt15iterator_traitsISH_E10value_typeET2_T3_PNSI_ISN_E10value_typeET4_jRbjT5_ST_jjP12ihipStream_tbEUlT_E_NS1_11comp_targetILNS1_3genE5ELNS1_11target_archE942ELNS1_3gpuE9ELNS1_3repE0EEENS1_30default_config_static_selectorELNS0_4arch9wavefront6targetE0EEEvSH_
	.p2align	8
	.type	_ZN7rocprim17ROCPRIM_400000_NS6detail17trampoline_kernelINS0_14default_configENS1_36segmented_radix_sort_config_selectorIllEEZNS1_25segmented_radix_sort_implIS3_Lb1EPKlPlS8_S9_N2at6native12_GLOBAL__N_18offset_tEEE10hipError_tPvRmT1_PNSt15iterator_traitsISH_E10value_typeET2_T3_PNSI_ISN_E10value_typeET4_jRbjT5_ST_jjP12ihipStream_tbEUlT_E_NS1_11comp_targetILNS1_3genE5ELNS1_11target_archE942ELNS1_3gpuE9ELNS1_3repE0EEENS1_30default_config_static_selectorELNS0_4arch9wavefront6targetE0EEEvSH_,@function
_ZN7rocprim17ROCPRIM_400000_NS6detail17trampoline_kernelINS0_14default_configENS1_36segmented_radix_sort_config_selectorIllEEZNS1_25segmented_radix_sort_implIS3_Lb1EPKlPlS8_S9_N2at6native12_GLOBAL__N_18offset_tEEE10hipError_tPvRmT1_PNSt15iterator_traitsISH_E10value_typeET2_T3_PNSI_ISN_E10value_typeET4_jRbjT5_ST_jjP12ihipStream_tbEUlT_E_NS1_11comp_targetILNS1_3genE5ELNS1_11target_archE942ELNS1_3gpuE9ELNS1_3repE0EEENS1_30default_config_static_selectorELNS0_4arch9wavefront6targetE0EEEvSH_: ; @_ZN7rocprim17ROCPRIM_400000_NS6detail17trampoline_kernelINS0_14default_configENS1_36segmented_radix_sort_config_selectorIllEEZNS1_25segmented_radix_sort_implIS3_Lb1EPKlPlS8_S9_N2at6native12_GLOBAL__N_18offset_tEEE10hipError_tPvRmT1_PNSt15iterator_traitsISH_E10value_typeET2_T3_PNSI_ISN_E10value_typeET4_jRbjT5_ST_jjP12ihipStream_tbEUlT_E_NS1_11comp_targetILNS1_3genE5ELNS1_11target_archE942ELNS1_3gpuE9ELNS1_3repE0EEENS1_30default_config_static_selectorELNS0_4arch9wavefront6targetE0EEEvSH_
; %bb.0:
	.section	.rodata,"a",@progbits
	.p2align	6, 0x0
	.amdhsa_kernel _ZN7rocprim17ROCPRIM_400000_NS6detail17trampoline_kernelINS0_14default_configENS1_36segmented_radix_sort_config_selectorIllEEZNS1_25segmented_radix_sort_implIS3_Lb1EPKlPlS8_S9_N2at6native12_GLOBAL__N_18offset_tEEE10hipError_tPvRmT1_PNSt15iterator_traitsISH_E10value_typeET2_T3_PNSI_ISN_E10value_typeET4_jRbjT5_ST_jjP12ihipStream_tbEUlT_E_NS1_11comp_targetILNS1_3genE5ELNS1_11target_archE942ELNS1_3gpuE9ELNS1_3repE0EEENS1_30default_config_static_selectorELNS0_4arch9wavefront6targetE0EEEvSH_
		.amdhsa_group_segment_fixed_size 0
		.amdhsa_private_segment_fixed_size 0
		.amdhsa_kernarg_size 96
		.amdhsa_user_sgpr_count 2
		.amdhsa_user_sgpr_dispatch_ptr 0
		.amdhsa_user_sgpr_queue_ptr 0
		.amdhsa_user_sgpr_kernarg_segment_ptr 1
		.amdhsa_user_sgpr_dispatch_id 0
		.amdhsa_user_sgpr_kernarg_preload_length 0
		.amdhsa_user_sgpr_kernarg_preload_offset 0
		.amdhsa_user_sgpr_private_segment_size 0
		.amdhsa_wavefront_size32 1
		.amdhsa_uses_dynamic_stack 0
		.amdhsa_enable_private_segment 0
		.amdhsa_system_sgpr_workgroup_id_x 1
		.amdhsa_system_sgpr_workgroup_id_y 0
		.amdhsa_system_sgpr_workgroup_id_z 0
		.amdhsa_system_sgpr_workgroup_info 0
		.amdhsa_system_vgpr_workitem_id 0
		.amdhsa_next_free_vgpr 1
		.amdhsa_next_free_sgpr 1
		.amdhsa_named_barrier_count 0
		.amdhsa_reserve_vcc 0
		.amdhsa_float_round_mode_32 0
		.amdhsa_float_round_mode_16_64 0
		.amdhsa_float_denorm_mode_32 3
		.amdhsa_float_denorm_mode_16_64 3
		.amdhsa_fp16_overflow 0
		.amdhsa_memory_ordered 1
		.amdhsa_forward_progress 1
		.amdhsa_inst_pref_size 0
		.amdhsa_round_robin_scheduling 0
		.amdhsa_exception_fp_ieee_invalid_op 0
		.amdhsa_exception_fp_denorm_src 0
		.amdhsa_exception_fp_ieee_div_zero 0
		.amdhsa_exception_fp_ieee_overflow 0
		.amdhsa_exception_fp_ieee_underflow 0
		.amdhsa_exception_fp_ieee_inexact 0
		.amdhsa_exception_int_div_zero 0
	.end_amdhsa_kernel
	.section	.text._ZN7rocprim17ROCPRIM_400000_NS6detail17trampoline_kernelINS0_14default_configENS1_36segmented_radix_sort_config_selectorIllEEZNS1_25segmented_radix_sort_implIS3_Lb1EPKlPlS8_S9_N2at6native12_GLOBAL__N_18offset_tEEE10hipError_tPvRmT1_PNSt15iterator_traitsISH_E10value_typeET2_T3_PNSI_ISN_E10value_typeET4_jRbjT5_ST_jjP12ihipStream_tbEUlT_E_NS1_11comp_targetILNS1_3genE5ELNS1_11target_archE942ELNS1_3gpuE9ELNS1_3repE0EEENS1_30default_config_static_selectorELNS0_4arch9wavefront6targetE0EEEvSH_,"axG",@progbits,_ZN7rocprim17ROCPRIM_400000_NS6detail17trampoline_kernelINS0_14default_configENS1_36segmented_radix_sort_config_selectorIllEEZNS1_25segmented_radix_sort_implIS3_Lb1EPKlPlS8_S9_N2at6native12_GLOBAL__N_18offset_tEEE10hipError_tPvRmT1_PNSt15iterator_traitsISH_E10value_typeET2_T3_PNSI_ISN_E10value_typeET4_jRbjT5_ST_jjP12ihipStream_tbEUlT_E_NS1_11comp_targetILNS1_3genE5ELNS1_11target_archE942ELNS1_3gpuE9ELNS1_3repE0EEENS1_30default_config_static_selectorELNS0_4arch9wavefront6targetE0EEEvSH_,comdat
.Lfunc_end702:
	.size	_ZN7rocprim17ROCPRIM_400000_NS6detail17trampoline_kernelINS0_14default_configENS1_36segmented_radix_sort_config_selectorIllEEZNS1_25segmented_radix_sort_implIS3_Lb1EPKlPlS8_S9_N2at6native12_GLOBAL__N_18offset_tEEE10hipError_tPvRmT1_PNSt15iterator_traitsISH_E10value_typeET2_T3_PNSI_ISN_E10value_typeET4_jRbjT5_ST_jjP12ihipStream_tbEUlT_E_NS1_11comp_targetILNS1_3genE5ELNS1_11target_archE942ELNS1_3gpuE9ELNS1_3repE0EEENS1_30default_config_static_selectorELNS0_4arch9wavefront6targetE0EEEvSH_, .Lfunc_end702-_ZN7rocprim17ROCPRIM_400000_NS6detail17trampoline_kernelINS0_14default_configENS1_36segmented_radix_sort_config_selectorIllEEZNS1_25segmented_radix_sort_implIS3_Lb1EPKlPlS8_S9_N2at6native12_GLOBAL__N_18offset_tEEE10hipError_tPvRmT1_PNSt15iterator_traitsISH_E10value_typeET2_T3_PNSI_ISN_E10value_typeET4_jRbjT5_ST_jjP12ihipStream_tbEUlT_E_NS1_11comp_targetILNS1_3genE5ELNS1_11target_archE942ELNS1_3gpuE9ELNS1_3repE0EEENS1_30default_config_static_selectorELNS0_4arch9wavefront6targetE0EEEvSH_
                                        ; -- End function
	.set _ZN7rocprim17ROCPRIM_400000_NS6detail17trampoline_kernelINS0_14default_configENS1_36segmented_radix_sort_config_selectorIllEEZNS1_25segmented_radix_sort_implIS3_Lb1EPKlPlS8_S9_N2at6native12_GLOBAL__N_18offset_tEEE10hipError_tPvRmT1_PNSt15iterator_traitsISH_E10value_typeET2_T3_PNSI_ISN_E10value_typeET4_jRbjT5_ST_jjP12ihipStream_tbEUlT_E_NS1_11comp_targetILNS1_3genE5ELNS1_11target_archE942ELNS1_3gpuE9ELNS1_3repE0EEENS1_30default_config_static_selectorELNS0_4arch9wavefront6targetE0EEEvSH_.num_vgpr, 0
	.set _ZN7rocprim17ROCPRIM_400000_NS6detail17trampoline_kernelINS0_14default_configENS1_36segmented_radix_sort_config_selectorIllEEZNS1_25segmented_radix_sort_implIS3_Lb1EPKlPlS8_S9_N2at6native12_GLOBAL__N_18offset_tEEE10hipError_tPvRmT1_PNSt15iterator_traitsISH_E10value_typeET2_T3_PNSI_ISN_E10value_typeET4_jRbjT5_ST_jjP12ihipStream_tbEUlT_E_NS1_11comp_targetILNS1_3genE5ELNS1_11target_archE942ELNS1_3gpuE9ELNS1_3repE0EEENS1_30default_config_static_selectorELNS0_4arch9wavefront6targetE0EEEvSH_.num_agpr, 0
	.set _ZN7rocprim17ROCPRIM_400000_NS6detail17trampoline_kernelINS0_14default_configENS1_36segmented_radix_sort_config_selectorIllEEZNS1_25segmented_radix_sort_implIS3_Lb1EPKlPlS8_S9_N2at6native12_GLOBAL__N_18offset_tEEE10hipError_tPvRmT1_PNSt15iterator_traitsISH_E10value_typeET2_T3_PNSI_ISN_E10value_typeET4_jRbjT5_ST_jjP12ihipStream_tbEUlT_E_NS1_11comp_targetILNS1_3genE5ELNS1_11target_archE942ELNS1_3gpuE9ELNS1_3repE0EEENS1_30default_config_static_selectorELNS0_4arch9wavefront6targetE0EEEvSH_.numbered_sgpr, 0
	.set _ZN7rocprim17ROCPRIM_400000_NS6detail17trampoline_kernelINS0_14default_configENS1_36segmented_radix_sort_config_selectorIllEEZNS1_25segmented_radix_sort_implIS3_Lb1EPKlPlS8_S9_N2at6native12_GLOBAL__N_18offset_tEEE10hipError_tPvRmT1_PNSt15iterator_traitsISH_E10value_typeET2_T3_PNSI_ISN_E10value_typeET4_jRbjT5_ST_jjP12ihipStream_tbEUlT_E_NS1_11comp_targetILNS1_3genE5ELNS1_11target_archE942ELNS1_3gpuE9ELNS1_3repE0EEENS1_30default_config_static_selectorELNS0_4arch9wavefront6targetE0EEEvSH_.num_named_barrier, 0
	.set _ZN7rocprim17ROCPRIM_400000_NS6detail17trampoline_kernelINS0_14default_configENS1_36segmented_radix_sort_config_selectorIllEEZNS1_25segmented_radix_sort_implIS3_Lb1EPKlPlS8_S9_N2at6native12_GLOBAL__N_18offset_tEEE10hipError_tPvRmT1_PNSt15iterator_traitsISH_E10value_typeET2_T3_PNSI_ISN_E10value_typeET4_jRbjT5_ST_jjP12ihipStream_tbEUlT_E_NS1_11comp_targetILNS1_3genE5ELNS1_11target_archE942ELNS1_3gpuE9ELNS1_3repE0EEENS1_30default_config_static_selectorELNS0_4arch9wavefront6targetE0EEEvSH_.private_seg_size, 0
	.set _ZN7rocprim17ROCPRIM_400000_NS6detail17trampoline_kernelINS0_14default_configENS1_36segmented_radix_sort_config_selectorIllEEZNS1_25segmented_radix_sort_implIS3_Lb1EPKlPlS8_S9_N2at6native12_GLOBAL__N_18offset_tEEE10hipError_tPvRmT1_PNSt15iterator_traitsISH_E10value_typeET2_T3_PNSI_ISN_E10value_typeET4_jRbjT5_ST_jjP12ihipStream_tbEUlT_E_NS1_11comp_targetILNS1_3genE5ELNS1_11target_archE942ELNS1_3gpuE9ELNS1_3repE0EEENS1_30default_config_static_selectorELNS0_4arch9wavefront6targetE0EEEvSH_.uses_vcc, 0
	.set _ZN7rocprim17ROCPRIM_400000_NS6detail17trampoline_kernelINS0_14default_configENS1_36segmented_radix_sort_config_selectorIllEEZNS1_25segmented_radix_sort_implIS3_Lb1EPKlPlS8_S9_N2at6native12_GLOBAL__N_18offset_tEEE10hipError_tPvRmT1_PNSt15iterator_traitsISH_E10value_typeET2_T3_PNSI_ISN_E10value_typeET4_jRbjT5_ST_jjP12ihipStream_tbEUlT_E_NS1_11comp_targetILNS1_3genE5ELNS1_11target_archE942ELNS1_3gpuE9ELNS1_3repE0EEENS1_30default_config_static_selectorELNS0_4arch9wavefront6targetE0EEEvSH_.uses_flat_scratch, 0
	.set _ZN7rocprim17ROCPRIM_400000_NS6detail17trampoline_kernelINS0_14default_configENS1_36segmented_radix_sort_config_selectorIllEEZNS1_25segmented_radix_sort_implIS3_Lb1EPKlPlS8_S9_N2at6native12_GLOBAL__N_18offset_tEEE10hipError_tPvRmT1_PNSt15iterator_traitsISH_E10value_typeET2_T3_PNSI_ISN_E10value_typeET4_jRbjT5_ST_jjP12ihipStream_tbEUlT_E_NS1_11comp_targetILNS1_3genE5ELNS1_11target_archE942ELNS1_3gpuE9ELNS1_3repE0EEENS1_30default_config_static_selectorELNS0_4arch9wavefront6targetE0EEEvSH_.has_dyn_sized_stack, 0
	.set _ZN7rocprim17ROCPRIM_400000_NS6detail17trampoline_kernelINS0_14default_configENS1_36segmented_radix_sort_config_selectorIllEEZNS1_25segmented_radix_sort_implIS3_Lb1EPKlPlS8_S9_N2at6native12_GLOBAL__N_18offset_tEEE10hipError_tPvRmT1_PNSt15iterator_traitsISH_E10value_typeET2_T3_PNSI_ISN_E10value_typeET4_jRbjT5_ST_jjP12ihipStream_tbEUlT_E_NS1_11comp_targetILNS1_3genE5ELNS1_11target_archE942ELNS1_3gpuE9ELNS1_3repE0EEENS1_30default_config_static_selectorELNS0_4arch9wavefront6targetE0EEEvSH_.has_recursion, 0
	.set _ZN7rocprim17ROCPRIM_400000_NS6detail17trampoline_kernelINS0_14default_configENS1_36segmented_radix_sort_config_selectorIllEEZNS1_25segmented_radix_sort_implIS3_Lb1EPKlPlS8_S9_N2at6native12_GLOBAL__N_18offset_tEEE10hipError_tPvRmT1_PNSt15iterator_traitsISH_E10value_typeET2_T3_PNSI_ISN_E10value_typeET4_jRbjT5_ST_jjP12ihipStream_tbEUlT_E_NS1_11comp_targetILNS1_3genE5ELNS1_11target_archE942ELNS1_3gpuE9ELNS1_3repE0EEENS1_30default_config_static_selectorELNS0_4arch9wavefront6targetE0EEEvSH_.has_indirect_call, 0
	.section	.AMDGPU.csdata,"",@progbits
; Kernel info:
; codeLenInByte = 0
; TotalNumSgprs: 0
; NumVgprs: 0
; ScratchSize: 0
; MemoryBound: 0
; FloatMode: 240
; IeeeMode: 1
; LDSByteSize: 0 bytes/workgroup (compile time only)
; SGPRBlocks: 0
; VGPRBlocks: 0
; NumSGPRsForWavesPerEU: 1
; NumVGPRsForWavesPerEU: 1
; NamedBarCnt: 0
; Occupancy: 16
; WaveLimiterHint : 0
; COMPUTE_PGM_RSRC2:SCRATCH_EN: 0
; COMPUTE_PGM_RSRC2:USER_SGPR: 2
; COMPUTE_PGM_RSRC2:TRAP_HANDLER: 0
; COMPUTE_PGM_RSRC2:TGID_X_EN: 1
; COMPUTE_PGM_RSRC2:TGID_Y_EN: 0
; COMPUTE_PGM_RSRC2:TGID_Z_EN: 0
; COMPUTE_PGM_RSRC2:TIDIG_COMP_CNT: 0
	.section	.text._ZN7rocprim17ROCPRIM_400000_NS6detail17trampoline_kernelINS0_14default_configENS1_36segmented_radix_sort_config_selectorIllEEZNS1_25segmented_radix_sort_implIS3_Lb1EPKlPlS8_S9_N2at6native12_GLOBAL__N_18offset_tEEE10hipError_tPvRmT1_PNSt15iterator_traitsISH_E10value_typeET2_T3_PNSI_ISN_E10value_typeET4_jRbjT5_ST_jjP12ihipStream_tbEUlT_E_NS1_11comp_targetILNS1_3genE4ELNS1_11target_archE910ELNS1_3gpuE8ELNS1_3repE0EEENS1_30default_config_static_selectorELNS0_4arch9wavefront6targetE0EEEvSH_,"axG",@progbits,_ZN7rocprim17ROCPRIM_400000_NS6detail17trampoline_kernelINS0_14default_configENS1_36segmented_radix_sort_config_selectorIllEEZNS1_25segmented_radix_sort_implIS3_Lb1EPKlPlS8_S9_N2at6native12_GLOBAL__N_18offset_tEEE10hipError_tPvRmT1_PNSt15iterator_traitsISH_E10value_typeET2_T3_PNSI_ISN_E10value_typeET4_jRbjT5_ST_jjP12ihipStream_tbEUlT_E_NS1_11comp_targetILNS1_3genE4ELNS1_11target_archE910ELNS1_3gpuE8ELNS1_3repE0EEENS1_30default_config_static_selectorELNS0_4arch9wavefront6targetE0EEEvSH_,comdat
	.globl	_ZN7rocprim17ROCPRIM_400000_NS6detail17trampoline_kernelINS0_14default_configENS1_36segmented_radix_sort_config_selectorIllEEZNS1_25segmented_radix_sort_implIS3_Lb1EPKlPlS8_S9_N2at6native12_GLOBAL__N_18offset_tEEE10hipError_tPvRmT1_PNSt15iterator_traitsISH_E10value_typeET2_T3_PNSI_ISN_E10value_typeET4_jRbjT5_ST_jjP12ihipStream_tbEUlT_E_NS1_11comp_targetILNS1_3genE4ELNS1_11target_archE910ELNS1_3gpuE8ELNS1_3repE0EEENS1_30default_config_static_selectorELNS0_4arch9wavefront6targetE0EEEvSH_ ; -- Begin function _ZN7rocprim17ROCPRIM_400000_NS6detail17trampoline_kernelINS0_14default_configENS1_36segmented_radix_sort_config_selectorIllEEZNS1_25segmented_radix_sort_implIS3_Lb1EPKlPlS8_S9_N2at6native12_GLOBAL__N_18offset_tEEE10hipError_tPvRmT1_PNSt15iterator_traitsISH_E10value_typeET2_T3_PNSI_ISN_E10value_typeET4_jRbjT5_ST_jjP12ihipStream_tbEUlT_E_NS1_11comp_targetILNS1_3genE4ELNS1_11target_archE910ELNS1_3gpuE8ELNS1_3repE0EEENS1_30default_config_static_selectorELNS0_4arch9wavefront6targetE0EEEvSH_
	.p2align	8
	.type	_ZN7rocprim17ROCPRIM_400000_NS6detail17trampoline_kernelINS0_14default_configENS1_36segmented_radix_sort_config_selectorIllEEZNS1_25segmented_radix_sort_implIS3_Lb1EPKlPlS8_S9_N2at6native12_GLOBAL__N_18offset_tEEE10hipError_tPvRmT1_PNSt15iterator_traitsISH_E10value_typeET2_T3_PNSI_ISN_E10value_typeET4_jRbjT5_ST_jjP12ihipStream_tbEUlT_E_NS1_11comp_targetILNS1_3genE4ELNS1_11target_archE910ELNS1_3gpuE8ELNS1_3repE0EEENS1_30default_config_static_selectorELNS0_4arch9wavefront6targetE0EEEvSH_,@function
_ZN7rocprim17ROCPRIM_400000_NS6detail17trampoline_kernelINS0_14default_configENS1_36segmented_radix_sort_config_selectorIllEEZNS1_25segmented_radix_sort_implIS3_Lb1EPKlPlS8_S9_N2at6native12_GLOBAL__N_18offset_tEEE10hipError_tPvRmT1_PNSt15iterator_traitsISH_E10value_typeET2_T3_PNSI_ISN_E10value_typeET4_jRbjT5_ST_jjP12ihipStream_tbEUlT_E_NS1_11comp_targetILNS1_3genE4ELNS1_11target_archE910ELNS1_3gpuE8ELNS1_3repE0EEENS1_30default_config_static_selectorELNS0_4arch9wavefront6targetE0EEEvSH_: ; @_ZN7rocprim17ROCPRIM_400000_NS6detail17trampoline_kernelINS0_14default_configENS1_36segmented_radix_sort_config_selectorIllEEZNS1_25segmented_radix_sort_implIS3_Lb1EPKlPlS8_S9_N2at6native12_GLOBAL__N_18offset_tEEE10hipError_tPvRmT1_PNSt15iterator_traitsISH_E10value_typeET2_T3_PNSI_ISN_E10value_typeET4_jRbjT5_ST_jjP12ihipStream_tbEUlT_E_NS1_11comp_targetILNS1_3genE4ELNS1_11target_archE910ELNS1_3gpuE8ELNS1_3repE0EEENS1_30default_config_static_selectorELNS0_4arch9wavefront6targetE0EEEvSH_
; %bb.0:
	.section	.rodata,"a",@progbits
	.p2align	6, 0x0
	.amdhsa_kernel _ZN7rocprim17ROCPRIM_400000_NS6detail17trampoline_kernelINS0_14default_configENS1_36segmented_radix_sort_config_selectorIllEEZNS1_25segmented_radix_sort_implIS3_Lb1EPKlPlS8_S9_N2at6native12_GLOBAL__N_18offset_tEEE10hipError_tPvRmT1_PNSt15iterator_traitsISH_E10value_typeET2_T3_PNSI_ISN_E10value_typeET4_jRbjT5_ST_jjP12ihipStream_tbEUlT_E_NS1_11comp_targetILNS1_3genE4ELNS1_11target_archE910ELNS1_3gpuE8ELNS1_3repE0EEENS1_30default_config_static_selectorELNS0_4arch9wavefront6targetE0EEEvSH_
		.amdhsa_group_segment_fixed_size 0
		.amdhsa_private_segment_fixed_size 0
		.amdhsa_kernarg_size 96
		.amdhsa_user_sgpr_count 2
		.amdhsa_user_sgpr_dispatch_ptr 0
		.amdhsa_user_sgpr_queue_ptr 0
		.amdhsa_user_sgpr_kernarg_segment_ptr 1
		.amdhsa_user_sgpr_dispatch_id 0
		.amdhsa_user_sgpr_kernarg_preload_length 0
		.amdhsa_user_sgpr_kernarg_preload_offset 0
		.amdhsa_user_sgpr_private_segment_size 0
		.amdhsa_wavefront_size32 1
		.amdhsa_uses_dynamic_stack 0
		.amdhsa_enable_private_segment 0
		.amdhsa_system_sgpr_workgroup_id_x 1
		.amdhsa_system_sgpr_workgroup_id_y 0
		.amdhsa_system_sgpr_workgroup_id_z 0
		.amdhsa_system_sgpr_workgroup_info 0
		.amdhsa_system_vgpr_workitem_id 0
		.amdhsa_next_free_vgpr 1
		.amdhsa_next_free_sgpr 1
		.amdhsa_named_barrier_count 0
		.amdhsa_reserve_vcc 0
		.amdhsa_float_round_mode_32 0
		.amdhsa_float_round_mode_16_64 0
		.amdhsa_float_denorm_mode_32 3
		.amdhsa_float_denorm_mode_16_64 3
		.amdhsa_fp16_overflow 0
		.amdhsa_memory_ordered 1
		.amdhsa_forward_progress 1
		.amdhsa_inst_pref_size 0
		.amdhsa_round_robin_scheduling 0
		.amdhsa_exception_fp_ieee_invalid_op 0
		.amdhsa_exception_fp_denorm_src 0
		.amdhsa_exception_fp_ieee_div_zero 0
		.amdhsa_exception_fp_ieee_overflow 0
		.amdhsa_exception_fp_ieee_underflow 0
		.amdhsa_exception_fp_ieee_inexact 0
		.amdhsa_exception_int_div_zero 0
	.end_amdhsa_kernel
	.section	.text._ZN7rocprim17ROCPRIM_400000_NS6detail17trampoline_kernelINS0_14default_configENS1_36segmented_radix_sort_config_selectorIllEEZNS1_25segmented_radix_sort_implIS3_Lb1EPKlPlS8_S9_N2at6native12_GLOBAL__N_18offset_tEEE10hipError_tPvRmT1_PNSt15iterator_traitsISH_E10value_typeET2_T3_PNSI_ISN_E10value_typeET4_jRbjT5_ST_jjP12ihipStream_tbEUlT_E_NS1_11comp_targetILNS1_3genE4ELNS1_11target_archE910ELNS1_3gpuE8ELNS1_3repE0EEENS1_30default_config_static_selectorELNS0_4arch9wavefront6targetE0EEEvSH_,"axG",@progbits,_ZN7rocprim17ROCPRIM_400000_NS6detail17trampoline_kernelINS0_14default_configENS1_36segmented_radix_sort_config_selectorIllEEZNS1_25segmented_radix_sort_implIS3_Lb1EPKlPlS8_S9_N2at6native12_GLOBAL__N_18offset_tEEE10hipError_tPvRmT1_PNSt15iterator_traitsISH_E10value_typeET2_T3_PNSI_ISN_E10value_typeET4_jRbjT5_ST_jjP12ihipStream_tbEUlT_E_NS1_11comp_targetILNS1_3genE4ELNS1_11target_archE910ELNS1_3gpuE8ELNS1_3repE0EEENS1_30default_config_static_selectorELNS0_4arch9wavefront6targetE0EEEvSH_,comdat
.Lfunc_end703:
	.size	_ZN7rocprim17ROCPRIM_400000_NS6detail17trampoline_kernelINS0_14default_configENS1_36segmented_radix_sort_config_selectorIllEEZNS1_25segmented_radix_sort_implIS3_Lb1EPKlPlS8_S9_N2at6native12_GLOBAL__N_18offset_tEEE10hipError_tPvRmT1_PNSt15iterator_traitsISH_E10value_typeET2_T3_PNSI_ISN_E10value_typeET4_jRbjT5_ST_jjP12ihipStream_tbEUlT_E_NS1_11comp_targetILNS1_3genE4ELNS1_11target_archE910ELNS1_3gpuE8ELNS1_3repE0EEENS1_30default_config_static_selectorELNS0_4arch9wavefront6targetE0EEEvSH_, .Lfunc_end703-_ZN7rocprim17ROCPRIM_400000_NS6detail17trampoline_kernelINS0_14default_configENS1_36segmented_radix_sort_config_selectorIllEEZNS1_25segmented_radix_sort_implIS3_Lb1EPKlPlS8_S9_N2at6native12_GLOBAL__N_18offset_tEEE10hipError_tPvRmT1_PNSt15iterator_traitsISH_E10value_typeET2_T3_PNSI_ISN_E10value_typeET4_jRbjT5_ST_jjP12ihipStream_tbEUlT_E_NS1_11comp_targetILNS1_3genE4ELNS1_11target_archE910ELNS1_3gpuE8ELNS1_3repE0EEENS1_30default_config_static_selectorELNS0_4arch9wavefront6targetE0EEEvSH_
                                        ; -- End function
	.set _ZN7rocprim17ROCPRIM_400000_NS6detail17trampoline_kernelINS0_14default_configENS1_36segmented_radix_sort_config_selectorIllEEZNS1_25segmented_radix_sort_implIS3_Lb1EPKlPlS8_S9_N2at6native12_GLOBAL__N_18offset_tEEE10hipError_tPvRmT1_PNSt15iterator_traitsISH_E10value_typeET2_T3_PNSI_ISN_E10value_typeET4_jRbjT5_ST_jjP12ihipStream_tbEUlT_E_NS1_11comp_targetILNS1_3genE4ELNS1_11target_archE910ELNS1_3gpuE8ELNS1_3repE0EEENS1_30default_config_static_selectorELNS0_4arch9wavefront6targetE0EEEvSH_.num_vgpr, 0
	.set _ZN7rocprim17ROCPRIM_400000_NS6detail17trampoline_kernelINS0_14default_configENS1_36segmented_radix_sort_config_selectorIllEEZNS1_25segmented_radix_sort_implIS3_Lb1EPKlPlS8_S9_N2at6native12_GLOBAL__N_18offset_tEEE10hipError_tPvRmT1_PNSt15iterator_traitsISH_E10value_typeET2_T3_PNSI_ISN_E10value_typeET4_jRbjT5_ST_jjP12ihipStream_tbEUlT_E_NS1_11comp_targetILNS1_3genE4ELNS1_11target_archE910ELNS1_3gpuE8ELNS1_3repE0EEENS1_30default_config_static_selectorELNS0_4arch9wavefront6targetE0EEEvSH_.num_agpr, 0
	.set _ZN7rocprim17ROCPRIM_400000_NS6detail17trampoline_kernelINS0_14default_configENS1_36segmented_radix_sort_config_selectorIllEEZNS1_25segmented_radix_sort_implIS3_Lb1EPKlPlS8_S9_N2at6native12_GLOBAL__N_18offset_tEEE10hipError_tPvRmT1_PNSt15iterator_traitsISH_E10value_typeET2_T3_PNSI_ISN_E10value_typeET4_jRbjT5_ST_jjP12ihipStream_tbEUlT_E_NS1_11comp_targetILNS1_3genE4ELNS1_11target_archE910ELNS1_3gpuE8ELNS1_3repE0EEENS1_30default_config_static_selectorELNS0_4arch9wavefront6targetE0EEEvSH_.numbered_sgpr, 0
	.set _ZN7rocprim17ROCPRIM_400000_NS6detail17trampoline_kernelINS0_14default_configENS1_36segmented_radix_sort_config_selectorIllEEZNS1_25segmented_radix_sort_implIS3_Lb1EPKlPlS8_S9_N2at6native12_GLOBAL__N_18offset_tEEE10hipError_tPvRmT1_PNSt15iterator_traitsISH_E10value_typeET2_T3_PNSI_ISN_E10value_typeET4_jRbjT5_ST_jjP12ihipStream_tbEUlT_E_NS1_11comp_targetILNS1_3genE4ELNS1_11target_archE910ELNS1_3gpuE8ELNS1_3repE0EEENS1_30default_config_static_selectorELNS0_4arch9wavefront6targetE0EEEvSH_.num_named_barrier, 0
	.set _ZN7rocprim17ROCPRIM_400000_NS6detail17trampoline_kernelINS0_14default_configENS1_36segmented_radix_sort_config_selectorIllEEZNS1_25segmented_radix_sort_implIS3_Lb1EPKlPlS8_S9_N2at6native12_GLOBAL__N_18offset_tEEE10hipError_tPvRmT1_PNSt15iterator_traitsISH_E10value_typeET2_T3_PNSI_ISN_E10value_typeET4_jRbjT5_ST_jjP12ihipStream_tbEUlT_E_NS1_11comp_targetILNS1_3genE4ELNS1_11target_archE910ELNS1_3gpuE8ELNS1_3repE0EEENS1_30default_config_static_selectorELNS0_4arch9wavefront6targetE0EEEvSH_.private_seg_size, 0
	.set _ZN7rocprim17ROCPRIM_400000_NS6detail17trampoline_kernelINS0_14default_configENS1_36segmented_radix_sort_config_selectorIllEEZNS1_25segmented_radix_sort_implIS3_Lb1EPKlPlS8_S9_N2at6native12_GLOBAL__N_18offset_tEEE10hipError_tPvRmT1_PNSt15iterator_traitsISH_E10value_typeET2_T3_PNSI_ISN_E10value_typeET4_jRbjT5_ST_jjP12ihipStream_tbEUlT_E_NS1_11comp_targetILNS1_3genE4ELNS1_11target_archE910ELNS1_3gpuE8ELNS1_3repE0EEENS1_30default_config_static_selectorELNS0_4arch9wavefront6targetE0EEEvSH_.uses_vcc, 0
	.set _ZN7rocprim17ROCPRIM_400000_NS6detail17trampoline_kernelINS0_14default_configENS1_36segmented_radix_sort_config_selectorIllEEZNS1_25segmented_radix_sort_implIS3_Lb1EPKlPlS8_S9_N2at6native12_GLOBAL__N_18offset_tEEE10hipError_tPvRmT1_PNSt15iterator_traitsISH_E10value_typeET2_T3_PNSI_ISN_E10value_typeET4_jRbjT5_ST_jjP12ihipStream_tbEUlT_E_NS1_11comp_targetILNS1_3genE4ELNS1_11target_archE910ELNS1_3gpuE8ELNS1_3repE0EEENS1_30default_config_static_selectorELNS0_4arch9wavefront6targetE0EEEvSH_.uses_flat_scratch, 0
	.set _ZN7rocprim17ROCPRIM_400000_NS6detail17trampoline_kernelINS0_14default_configENS1_36segmented_radix_sort_config_selectorIllEEZNS1_25segmented_radix_sort_implIS3_Lb1EPKlPlS8_S9_N2at6native12_GLOBAL__N_18offset_tEEE10hipError_tPvRmT1_PNSt15iterator_traitsISH_E10value_typeET2_T3_PNSI_ISN_E10value_typeET4_jRbjT5_ST_jjP12ihipStream_tbEUlT_E_NS1_11comp_targetILNS1_3genE4ELNS1_11target_archE910ELNS1_3gpuE8ELNS1_3repE0EEENS1_30default_config_static_selectorELNS0_4arch9wavefront6targetE0EEEvSH_.has_dyn_sized_stack, 0
	.set _ZN7rocprim17ROCPRIM_400000_NS6detail17trampoline_kernelINS0_14default_configENS1_36segmented_radix_sort_config_selectorIllEEZNS1_25segmented_radix_sort_implIS3_Lb1EPKlPlS8_S9_N2at6native12_GLOBAL__N_18offset_tEEE10hipError_tPvRmT1_PNSt15iterator_traitsISH_E10value_typeET2_T3_PNSI_ISN_E10value_typeET4_jRbjT5_ST_jjP12ihipStream_tbEUlT_E_NS1_11comp_targetILNS1_3genE4ELNS1_11target_archE910ELNS1_3gpuE8ELNS1_3repE0EEENS1_30default_config_static_selectorELNS0_4arch9wavefront6targetE0EEEvSH_.has_recursion, 0
	.set _ZN7rocprim17ROCPRIM_400000_NS6detail17trampoline_kernelINS0_14default_configENS1_36segmented_radix_sort_config_selectorIllEEZNS1_25segmented_radix_sort_implIS3_Lb1EPKlPlS8_S9_N2at6native12_GLOBAL__N_18offset_tEEE10hipError_tPvRmT1_PNSt15iterator_traitsISH_E10value_typeET2_T3_PNSI_ISN_E10value_typeET4_jRbjT5_ST_jjP12ihipStream_tbEUlT_E_NS1_11comp_targetILNS1_3genE4ELNS1_11target_archE910ELNS1_3gpuE8ELNS1_3repE0EEENS1_30default_config_static_selectorELNS0_4arch9wavefront6targetE0EEEvSH_.has_indirect_call, 0
	.section	.AMDGPU.csdata,"",@progbits
; Kernel info:
; codeLenInByte = 0
; TotalNumSgprs: 0
; NumVgprs: 0
; ScratchSize: 0
; MemoryBound: 0
; FloatMode: 240
; IeeeMode: 1
; LDSByteSize: 0 bytes/workgroup (compile time only)
; SGPRBlocks: 0
; VGPRBlocks: 0
; NumSGPRsForWavesPerEU: 1
; NumVGPRsForWavesPerEU: 1
; NamedBarCnt: 0
; Occupancy: 16
; WaveLimiterHint : 0
; COMPUTE_PGM_RSRC2:SCRATCH_EN: 0
; COMPUTE_PGM_RSRC2:USER_SGPR: 2
; COMPUTE_PGM_RSRC2:TRAP_HANDLER: 0
; COMPUTE_PGM_RSRC2:TGID_X_EN: 1
; COMPUTE_PGM_RSRC2:TGID_Y_EN: 0
; COMPUTE_PGM_RSRC2:TGID_Z_EN: 0
; COMPUTE_PGM_RSRC2:TIDIG_COMP_CNT: 0
	.section	.text._ZN7rocprim17ROCPRIM_400000_NS6detail17trampoline_kernelINS0_14default_configENS1_36segmented_radix_sort_config_selectorIllEEZNS1_25segmented_radix_sort_implIS3_Lb1EPKlPlS8_S9_N2at6native12_GLOBAL__N_18offset_tEEE10hipError_tPvRmT1_PNSt15iterator_traitsISH_E10value_typeET2_T3_PNSI_ISN_E10value_typeET4_jRbjT5_ST_jjP12ihipStream_tbEUlT_E_NS1_11comp_targetILNS1_3genE3ELNS1_11target_archE908ELNS1_3gpuE7ELNS1_3repE0EEENS1_30default_config_static_selectorELNS0_4arch9wavefront6targetE0EEEvSH_,"axG",@progbits,_ZN7rocprim17ROCPRIM_400000_NS6detail17trampoline_kernelINS0_14default_configENS1_36segmented_radix_sort_config_selectorIllEEZNS1_25segmented_radix_sort_implIS3_Lb1EPKlPlS8_S9_N2at6native12_GLOBAL__N_18offset_tEEE10hipError_tPvRmT1_PNSt15iterator_traitsISH_E10value_typeET2_T3_PNSI_ISN_E10value_typeET4_jRbjT5_ST_jjP12ihipStream_tbEUlT_E_NS1_11comp_targetILNS1_3genE3ELNS1_11target_archE908ELNS1_3gpuE7ELNS1_3repE0EEENS1_30default_config_static_selectorELNS0_4arch9wavefront6targetE0EEEvSH_,comdat
	.globl	_ZN7rocprim17ROCPRIM_400000_NS6detail17trampoline_kernelINS0_14default_configENS1_36segmented_radix_sort_config_selectorIllEEZNS1_25segmented_radix_sort_implIS3_Lb1EPKlPlS8_S9_N2at6native12_GLOBAL__N_18offset_tEEE10hipError_tPvRmT1_PNSt15iterator_traitsISH_E10value_typeET2_T3_PNSI_ISN_E10value_typeET4_jRbjT5_ST_jjP12ihipStream_tbEUlT_E_NS1_11comp_targetILNS1_3genE3ELNS1_11target_archE908ELNS1_3gpuE7ELNS1_3repE0EEENS1_30default_config_static_selectorELNS0_4arch9wavefront6targetE0EEEvSH_ ; -- Begin function _ZN7rocprim17ROCPRIM_400000_NS6detail17trampoline_kernelINS0_14default_configENS1_36segmented_radix_sort_config_selectorIllEEZNS1_25segmented_radix_sort_implIS3_Lb1EPKlPlS8_S9_N2at6native12_GLOBAL__N_18offset_tEEE10hipError_tPvRmT1_PNSt15iterator_traitsISH_E10value_typeET2_T3_PNSI_ISN_E10value_typeET4_jRbjT5_ST_jjP12ihipStream_tbEUlT_E_NS1_11comp_targetILNS1_3genE3ELNS1_11target_archE908ELNS1_3gpuE7ELNS1_3repE0EEENS1_30default_config_static_selectorELNS0_4arch9wavefront6targetE0EEEvSH_
	.p2align	8
	.type	_ZN7rocprim17ROCPRIM_400000_NS6detail17trampoline_kernelINS0_14default_configENS1_36segmented_radix_sort_config_selectorIllEEZNS1_25segmented_radix_sort_implIS3_Lb1EPKlPlS8_S9_N2at6native12_GLOBAL__N_18offset_tEEE10hipError_tPvRmT1_PNSt15iterator_traitsISH_E10value_typeET2_T3_PNSI_ISN_E10value_typeET4_jRbjT5_ST_jjP12ihipStream_tbEUlT_E_NS1_11comp_targetILNS1_3genE3ELNS1_11target_archE908ELNS1_3gpuE7ELNS1_3repE0EEENS1_30default_config_static_selectorELNS0_4arch9wavefront6targetE0EEEvSH_,@function
_ZN7rocprim17ROCPRIM_400000_NS6detail17trampoline_kernelINS0_14default_configENS1_36segmented_radix_sort_config_selectorIllEEZNS1_25segmented_radix_sort_implIS3_Lb1EPKlPlS8_S9_N2at6native12_GLOBAL__N_18offset_tEEE10hipError_tPvRmT1_PNSt15iterator_traitsISH_E10value_typeET2_T3_PNSI_ISN_E10value_typeET4_jRbjT5_ST_jjP12ihipStream_tbEUlT_E_NS1_11comp_targetILNS1_3genE3ELNS1_11target_archE908ELNS1_3gpuE7ELNS1_3repE0EEENS1_30default_config_static_selectorELNS0_4arch9wavefront6targetE0EEEvSH_: ; @_ZN7rocprim17ROCPRIM_400000_NS6detail17trampoline_kernelINS0_14default_configENS1_36segmented_radix_sort_config_selectorIllEEZNS1_25segmented_radix_sort_implIS3_Lb1EPKlPlS8_S9_N2at6native12_GLOBAL__N_18offset_tEEE10hipError_tPvRmT1_PNSt15iterator_traitsISH_E10value_typeET2_T3_PNSI_ISN_E10value_typeET4_jRbjT5_ST_jjP12ihipStream_tbEUlT_E_NS1_11comp_targetILNS1_3genE3ELNS1_11target_archE908ELNS1_3gpuE7ELNS1_3repE0EEENS1_30default_config_static_selectorELNS0_4arch9wavefront6targetE0EEEvSH_
; %bb.0:
	.section	.rodata,"a",@progbits
	.p2align	6, 0x0
	.amdhsa_kernel _ZN7rocprim17ROCPRIM_400000_NS6detail17trampoline_kernelINS0_14default_configENS1_36segmented_radix_sort_config_selectorIllEEZNS1_25segmented_radix_sort_implIS3_Lb1EPKlPlS8_S9_N2at6native12_GLOBAL__N_18offset_tEEE10hipError_tPvRmT1_PNSt15iterator_traitsISH_E10value_typeET2_T3_PNSI_ISN_E10value_typeET4_jRbjT5_ST_jjP12ihipStream_tbEUlT_E_NS1_11comp_targetILNS1_3genE3ELNS1_11target_archE908ELNS1_3gpuE7ELNS1_3repE0EEENS1_30default_config_static_selectorELNS0_4arch9wavefront6targetE0EEEvSH_
		.amdhsa_group_segment_fixed_size 0
		.amdhsa_private_segment_fixed_size 0
		.amdhsa_kernarg_size 96
		.amdhsa_user_sgpr_count 2
		.amdhsa_user_sgpr_dispatch_ptr 0
		.amdhsa_user_sgpr_queue_ptr 0
		.amdhsa_user_sgpr_kernarg_segment_ptr 1
		.amdhsa_user_sgpr_dispatch_id 0
		.amdhsa_user_sgpr_kernarg_preload_length 0
		.amdhsa_user_sgpr_kernarg_preload_offset 0
		.amdhsa_user_sgpr_private_segment_size 0
		.amdhsa_wavefront_size32 1
		.amdhsa_uses_dynamic_stack 0
		.amdhsa_enable_private_segment 0
		.amdhsa_system_sgpr_workgroup_id_x 1
		.amdhsa_system_sgpr_workgroup_id_y 0
		.amdhsa_system_sgpr_workgroup_id_z 0
		.amdhsa_system_sgpr_workgroup_info 0
		.amdhsa_system_vgpr_workitem_id 0
		.amdhsa_next_free_vgpr 1
		.amdhsa_next_free_sgpr 1
		.amdhsa_named_barrier_count 0
		.amdhsa_reserve_vcc 0
		.amdhsa_float_round_mode_32 0
		.amdhsa_float_round_mode_16_64 0
		.amdhsa_float_denorm_mode_32 3
		.amdhsa_float_denorm_mode_16_64 3
		.amdhsa_fp16_overflow 0
		.amdhsa_memory_ordered 1
		.amdhsa_forward_progress 1
		.amdhsa_inst_pref_size 0
		.amdhsa_round_robin_scheduling 0
		.amdhsa_exception_fp_ieee_invalid_op 0
		.amdhsa_exception_fp_denorm_src 0
		.amdhsa_exception_fp_ieee_div_zero 0
		.amdhsa_exception_fp_ieee_overflow 0
		.amdhsa_exception_fp_ieee_underflow 0
		.amdhsa_exception_fp_ieee_inexact 0
		.amdhsa_exception_int_div_zero 0
	.end_amdhsa_kernel
	.section	.text._ZN7rocprim17ROCPRIM_400000_NS6detail17trampoline_kernelINS0_14default_configENS1_36segmented_radix_sort_config_selectorIllEEZNS1_25segmented_radix_sort_implIS3_Lb1EPKlPlS8_S9_N2at6native12_GLOBAL__N_18offset_tEEE10hipError_tPvRmT1_PNSt15iterator_traitsISH_E10value_typeET2_T3_PNSI_ISN_E10value_typeET4_jRbjT5_ST_jjP12ihipStream_tbEUlT_E_NS1_11comp_targetILNS1_3genE3ELNS1_11target_archE908ELNS1_3gpuE7ELNS1_3repE0EEENS1_30default_config_static_selectorELNS0_4arch9wavefront6targetE0EEEvSH_,"axG",@progbits,_ZN7rocprim17ROCPRIM_400000_NS6detail17trampoline_kernelINS0_14default_configENS1_36segmented_radix_sort_config_selectorIllEEZNS1_25segmented_radix_sort_implIS3_Lb1EPKlPlS8_S9_N2at6native12_GLOBAL__N_18offset_tEEE10hipError_tPvRmT1_PNSt15iterator_traitsISH_E10value_typeET2_T3_PNSI_ISN_E10value_typeET4_jRbjT5_ST_jjP12ihipStream_tbEUlT_E_NS1_11comp_targetILNS1_3genE3ELNS1_11target_archE908ELNS1_3gpuE7ELNS1_3repE0EEENS1_30default_config_static_selectorELNS0_4arch9wavefront6targetE0EEEvSH_,comdat
.Lfunc_end704:
	.size	_ZN7rocprim17ROCPRIM_400000_NS6detail17trampoline_kernelINS0_14default_configENS1_36segmented_radix_sort_config_selectorIllEEZNS1_25segmented_radix_sort_implIS3_Lb1EPKlPlS8_S9_N2at6native12_GLOBAL__N_18offset_tEEE10hipError_tPvRmT1_PNSt15iterator_traitsISH_E10value_typeET2_T3_PNSI_ISN_E10value_typeET4_jRbjT5_ST_jjP12ihipStream_tbEUlT_E_NS1_11comp_targetILNS1_3genE3ELNS1_11target_archE908ELNS1_3gpuE7ELNS1_3repE0EEENS1_30default_config_static_selectorELNS0_4arch9wavefront6targetE0EEEvSH_, .Lfunc_end704-_ZN7rocprim17ROCPRIM_400000_NS6detail17trampoline_kernelINS0_14default_configENS1_36segmented_radix_sort_config_selectorIllEEZNS1_25segmented_radix_sort_implIS3_Lb1EPKlPlS8_S9_N2at6native12_GLOBAL__N_18offset_tEEE10hipError_tPvRmT1_PNSt15iterator_traitsISH_E10value_typeET2_T3_PNSI_ISN_E10value_typeET4_jRbjT5_ST_jjP12ihipStream_tbEUlT_E_NS1_11comp_targetILNS1_3genE3ELNS1_11target_archE908ELNS1_3gpuE7ELNS1_3repE0EEENS1_30default_config_static_selectorELNS0_4arch9wavefront6targetE0EEEvSH_
                                        ; -- End function
	.set _ZN7rocprim17ROCPRIM_400000_NS6detail17trampoline_kernelINS0_14default_configENS1_36segmented_radix_sort_config_selectorIllEEZNS1_25segmented_radix_sort_implIS3_Lb1EPKlPlS8_S9_N2at6native12_GLOBAL__N_18offset_tEEE10hipError_tPvRmT1_PNSt15iterator_traitsISH_E10value_typeET2_T3_PNSI_ISN_E10value_typeET4_jRbjT5_ST_jjP12ihipStream_tbEUlT_E_NS1_11comp_targetILNS1_3genE3ELNS1_11target_archE908ELNS1_3gpuE7ELNS1_3repE0EEENS1_30default_config_static_selectorELNS0_4arch9wavefront6targetE0EEEvSH_.num_vgpr, 0
	.set _ZN7rocprim17ROCPRIM_400000_NS6detail17trampoline_kernelINS0_14default_configENS1_36segmented_radix_sort_config_selectorIllEEZNS1_25segmented_radix_sort_implIS3_Lb1EPKlPlS8_S9_N2at6native12_GLOBAL__N_18offset_tEEE10hipError_tPvRmT1_PNSt15iterator_traitsISH_E10value_typeET2_T3_PNSI_ISN_E10value_typeET4_jRbjT5_ST_jjP12ihipStream_tbEUlT_E_NS1_11comp_targetILNS1_3genE3ELNS1_11target_archE908ELNS1_3gpuE7ELNS1_3repE0EEENS1_30default_config_static_selectorELNS0_4arch9wavefront6targetE0EEEvSH_.num_agpr, 0
	.set _ZN7rocprim17ROCPRIM_400000_NS6detail17trampoline_kernelINS0_14default_configENS1_36segmented_radix_sort_config_selectorIllEEZNS1_25segmented_radix_sort_implIS3_Lb1EPKlPlS8_S9_N2at6native12_GLOBAL__N_18offset_tEEE10hipError_tPvRmT1_PNSt15iterator_traitsISH_E10value_typeET2_T3_PNSI_ISN_E10value_typeET4_jRbjT5_ST_jjP12ihipStream_tbEUlT_E_NS1_11comp_targetILNS1_3genE3ELNS1_11target_archE908ELNS1_3gpuE7ELNS1_3repE0EEENS1_30default_config_static_selectorELNS0_4arch9wavefront6targetE0EEEvSH_.numbered_sgpr, 0
	.set _ZN7rocprim17ROCPRIM_400000_NS6detail17trampoline_kernelINS0_14default_configENS1_36segmented_radix_sort_config_selectorIllEEZNS1_25segmented_radix_sort_implIS3_Lb1EPKlPlS8_S9_N2at6native12_GLOBAL__N_18offset_tEEE10hipError_tPvRmT1_PNSt15iterator_traitsISH_E10value_typeET2_T3_PNSI_ISN_E10value_typeET4_jRbjT5_ST_jjP12ihipStream_tbEUlT_E_NS1_11comp_targetILNS1_3genE3ELNS1_11target_archE908ELNS1_3gpuE7ELNS1_3repE0EEENS1_30default_config_static_selectorELNS0_4arch9wavefront6targetE0EEEvSH_.num_named_barrier, 0
	.set _ZN7rocprim17ROCPRIM_400000_NS6detail17trampoline_kernelINS0_14default_configENS1_36segmented_radix_sort_config_selectorIllEEZNS1_25segmented_radix_sort_implIS3_Lb1EPKlPlS8_S9_N2at6native12_GLOBAL__N_18offset_tEEE10hipError_tPvRmT1_PNSt15iterator_traitsISH_E10value_typeET2_T3_PNSI_ISN_E10value_typeET4_jRbjT5_ST_jjP12ihipStream_tbEUlT_E_NS1_11comp_targetILNS1_3genE3ELNS1_11target_archE908ELNS1_3gpuE7ELNS1_3repE0EEENS1_30default_config_static_selectorELNS0_4arch9wavefront6targetE0EEEvSH_.private_seg_size, 0
	.set _ZN7rocprim17ROCPRIM_400000_NS6detail17trampoline_kernelINS0_14default_configENS1_36segmented_radix_sort_config_selectorIllEEZNS1_25segmented_radix_sort_implIS3_Lb1EPKlPlS8_S9_N2at6native12_GLOBAL__N_18offset_tEEE10hipError_tPvRmT1_PNSt15iterator_traitsISH_E10value_typeET2_T3_PNSI_ISN_E10value_typeET4_jRbjT5_ST_jjP12ihipStream_tbEUlT_E_NS1_11comp_targetILNS1_3genE3ELNS1_11target_archE908ELNS1_3gpuE7ELNS1_3repE0EEENS1_30default_config_static_selectorELNS0_4arch9wavefront6targetE0EEEvSH_.uses_vcc, 0
	.set _ZN7rocprim17ROCPRIM_400000_NS6detail17trampoline_kernelINS0_14default_configENS1_36segmented_radix_sort_config_selectorIllEEZNS1_25segmented_radix_sort_implIS3_Lb1EPKlPlS8_S9_N2at6native12_GLOBAL__N_18offset_tEEE10hipError_tPvRmT1_PNSt15iterator_traitsISH_E10value_typeET2_T3_PNSI_ISN_E10value_typeET4_jRbjT5_ST_jjP12ihipStream_tbEUlT_E_NS1_11comp_targetILNS1_3genE3ELNS1_11target_archE908ELNS1_3gpuE7ELNS1_3repE0EEENS1_30default_config_static_selectorELNS0_4arch9wavefront6targetE0EEEvSH_.uses_flat_scratch, 0
	.set _ZN7rocprim17ROCPRIM_400000_NS6detail17trampoline_kernelINS0_14default_configENS1_36segmented_radix_sort_config_selectorIllEEZNS1_25segmented_radix_sort_implIS3_Lb1EPKlPlS8_S9_N2at6native12_GLOBAL__N_18offset_tEEE10hipError_tPvRmT1_PNSt15iterator_traitsISH_E10value_typeET2_T3_PNSI_ISN_E10value_typeET4_jRbjT5_ST_jjP12ihipStream_tbEUlT_E_NS1_11comp_targetILNS1_3genE3ELNS1_11target_archE908ELNS1_3gpuE7ELNS1_3repE0EEENS1_30default_config_static_selectorELNS0_4arch9wavefront6targetE0EEEvSH_.has_dyn_sized_stack, 0
	.set _ZN7rocprim17ROCPRIM_400000_NS6detail17trampoline_kernelINS0_14default_configENS1_36segmented_radix_sort_config_selectorIllEEZNS1_25segmented_radix_sort_implIS3_Lb1EPKlPlS8_S9_N2at6native12_GLOBAL__N_18offset_tEEE10hipError_tPvRmT1_PNSt15iterator_traitsISH_E10value_typeET2_T3_PNSI_ISN_E10value_typeET4_jRbjT5_ST_jjP12ihipStream_tbEUlT_E_NS1_11comp_targetILNS1_3genE3ELNS1_11target_archE908ELNS1_3gpuE7ELNS1_3repE0EEENS1_30default_config_static_selectorELNS0_4arch9wavefront6targetE0EEEvSH_.has_recursion, 0
	.set _ZN7rocprim17ROCPRIM_400000_NS6detail17trampoline_kernelINS0_14default_configENS1_36segmented_radix_sort_config_selectorIllEEZNS1_25segmented_radix_sort_implIS3_Lb1EPKlPlS8_S9_N2at6native12_GLOBAL__N_18offset_tEEE10hipError_tPvRmT1_PNSt15iterator_traitsISH_E10value_typeET2_T3_PNSI_ISN_E10value_typeET4_jRbjT5_ST_jjP12ihipStream_tbEUlT_E_NS1_11comp_targetILNS1_3genE3ELNS1_11target_archE908ELNS1_3gpuE7ELNS1_3repE0EEENS1_30default_config_static_selectorELNS0_4arch9wavefront6targetE0EEEvSH_.has_indirect_call, 0
	.section	.AMDGPU.csdata,"",@progbits
; Kernel info:
; codeLenInByte = 0
; TotalNumSgprs: 0
; NumVgprs: 0
; ScratchSize: 0
; MemoryBound: 0
; FloatMode: 240
; IeeeMode: 1
; LDSByteSize: 0 bytes/workgroup (compile time only)
; SGPRBlocks: 0
; VGPRBlocks: 0
; NumSGPRsForWavesPerEU: 1
; NumVGPRsForWavesPerEU: 1
; NamedBarCnt: 0
; Occupancy: 16
; WaveLimiterHint : 0
; COMPUTE_PGM_RSRC2:SCRATCH_EN: 0
; COMPUTE_PGM_RSRC2:USER_SGPR: 2
; COMPUTE_PGM_RSRC2:TRAP_HANDLER: 0
; COMPUTE_PGM_RSRC2:TGID_X_EN: 1
; COMPUTE_PGM_RSRC2:TGID_Y_EN: 0
; COMPUTE_PGM_RSRC2:TGID_Z_EN: 0
; COMPUTE_PGM_RSRC2:TIDIG_COMP_CNT: 0
	.section	.text._ZN7rocprim17ROCPRIM_400000_NS6detail17trampoline_kernelINS0_14default_configENS1_36segmented_radix_sort_config_selectorIllEEZNS1_25segmented_radix_sort_implIS3_Lb1EPKlPlS8_S9_N2at6native12_GLOBAL__N_18offset_tEEE10hipError_tPvRmT1_PNSt15iterator_traitsISH_E10value_typeET2_T3_PNSI_ISN_E10value_typeET4_jRbjT5_ST_jjP12ihipStream_tbEUlT_E_NS1_11comp_targetILNS1_3genE2ELNS1_11target_archE906ELNS1_3gpuE6ELNS1_3repE0EEENS1_30default_config_static_selectorELNS0_4arch9wavefront6targetE0EEEvSH_,"axG",@progbits,_ZN7rocprim17ROCPRIM_400000_NS6detail17trampoline_kernelINS0_14default_configENS1_36segmented_radix_sort_config_selectorIllEEZNS1_25segmented_radix_sort_implIS3_Lb1EPKlPlS8_S9_N2at6native12_GLOBAL__N_18offset_tEEE10hipError_tPvRmT1_PNSt15iterator_traitsISH_E10value_typeET2_T3_PNSI_ISN_E10value_typeET4_jRbjT5_ST_jjP12ihipStream_tbEUlT_E_NS1_11comp_targetILNS1_3genE2ELNS1_11target_archE906ELNS1_3gpuE6ELNS1_3repE0EEENS1_30default_config_static_selectorELNS0_4arch9wavefront6targetE0EEEvSH_,comdat
	.globl	_ZN7rocprim17ROCPRIM_400000_NS6detail17trampoline_kernelINS0_14default_configENS1_36segmented_radix_sort_config_selectorIllEEZNS1_25segmented_radix_sort_implIS3_Lb1EPKlPlS8_S9_N2at6native12_GLOBAL__N_18offset_tEEE10hipError_tPvRmT1_PNSt15iterator_traitsISH_E10value_typeET2_T3_PNSI_ISN_E10value_typeET4_jRbjT5_ST_jjP12ihipStream_tbEUlT_E_NS1_11comp_targetILNS1_3genE2ELNS1_11target_archE906ELNS1_3gpuE6ELNS1_3repE0EEENS1_30default_config_static_selectorELNS0_4arch9wavefront6targetE0EEEvSH_ ; -- Begin function _ZN7rocprim17ROCPRIM_400000_NS6detail17trampoline_kernelINS0_14default_configENS1_36segmented_radix_sort_config_selectorIllEEZNS1_25segmented_radix_sort_implIS3_Lb1EPKlPlS8_S9_N2at6native12_GLOBAL__N_18offset_tEEE10hipError_tPvRmT1_PNSt15iterator_traitsISH_E10value_typeET2_T3_PNSI_ISN_E10value_typeET4_jRbjT5_ST_jjP12ihipStream_tbEUlT_E_NS1_11comp_targetILNS1_3genE2ELNS1_11target_archE906ELNS1_3gpuE6ELNS1_3repE0EEENS1_30default_config_static_selectorELNS0_4arch9wavefront6targetE0EEEvSH_
	.p2align	8
	.type	_ZN7rocprim17ROCPRIM_400000_NS6detail17trampoline_kernelINS0_14default_configENS1_36segmented_radix_sort_config_selectorIllEEZNS1_25segmented_radix_sort_implIS3_Lb1EPKlPlS8_S9_N2at6native12_GLOBAL__N_18offset_tEEE10hipError_tPvRmT1_PNSt15iterator_traitsISH_E10value_typeET2_T3_PNSI_ISN_E10value_typeET4_jRbjT5_ST_jjP12ihipStream_tbEUlT_E_NS1_11comp_targetILNS1_3genE2ELNS1_11target_archE906ELNS1_3gpuE6ELNS1_3repE0EEENS1_30default_config_static_selectorELNS0_4arch9wavefront6targetE0EEEvSH_,@function
_ZN7rocprim17ROCPRIM_400000_NS6detail17trampoline_kernelINS0_14default_configENS1_36segmented_radix_sort_config_selectorIllEEZNS1_25segmented_radix_sort_implIS3_Lb1EPKlPlS8_S9_N2at6native12_GLOBAL__N_18offset_tEEE10hipError_tPvRmT1_PNSt15iterator_traitsISH_E10value_typeET2_T3_PNSI_ISN_E10value_typeET4_jRbjT5_ST_jjP12ihipStream_tbEUlT_E_NS1_11comp_targetILNS1_3genE2ELNS1_11target_archE906ELNS1_3gpuE6ELNS1_3repE0EEENS1_30default_config_static_selectorELNS0_4arch9wavefront6targetE0EEEvSH_: ; @_ZN7rocprim17ROCPRIM_400000_NS6detail17trampoline_kernelINS0_14default_configENS1_36segmented_radix_sort_config_selectorIllEEZNS1_25segmented_radix_sort_implIS3_Lb1EPKlPlS8_S9_N2at6native12_GLOBAL__N_18offset_tEEE10hipError_tPvRmT1_PNSt15iterator_traitsISH_E10value_typeET2_T3_PNSI_ISN_E10value_typeET4_jRbjT5_ST_jjP12ihipStream_tbEUlT_E_NS1_11comp_targetILNS1_3genE2ELNS1_11target_archE906ELNS1_3gpuE6ELNS1_3repE0EEENS1_30default_config_static_selectorELNS0_4arch9wavefront6targetE0EEEvSH_
; %bb.0:
	.section	.rodata,"a",@progbits
	.p2align	6, 0x0
	.amdhsa_kernel _ZN7rocprim17ROCPRIM_400000_NS6detail17trampoline_kernelINS0_14default_configENS1_36segmented_radix_sort_config_selectorIllEEZNS1_25segmented_radix_sort_implIS3_Lb1EPKlPlS8_S9_N2at6native12_GLOBAL__N_18offset_tEEE10hipError_tPvRmT1_PNSt15iterator_traitsISH_E10value_typeET2_T3_PNSI_ISN_E10value_typeET4_jRbjT5_ST_jjP12ihipStream_tbEUlT_E_NS1_11comp_targetILNS1_3genE2ELNS1_11target_archE906ELNS1_3gpuE6ELNS1_3repE0EEENS1_30default_config_static_selectorELNS0_4arch9wavefront6targetE0EEEvSH_
		.amdhsa_group_segment_fixed_size 0
		.amdhsa_private_segment_fixed_size 0
		.amdhsa_kernarg_size 96
		.amdhsa_user_sgpr_count 2
		.amdhsa_user_sgpr_dispatch_ptr 0
		.amdhsa_user_sgpr_queue_ptr 0
		.amdhsa_user_sgpr_kernarg_segment_ptr 1
		.amdhsa_user_sgpr_dispatch_id 0
		.amdhsa_user_sgpr_kernarg_preload_length 0
		.amdhsa_user_sgpr_kernarg_preload_offset 0
		.amdhsa_user_sgpr_private_segment_size 0
		.amdhsa_wavefront_size32 1
		.amdhsa_uses_dynamic_stack 0
		.amdhsa_enable_private_segment 0
		.amdhsa_system_sgpr_workgroup_id_x 1
		.amdhsa_system_sgpr_workgroup_id_y 0
		.amdhsa_system_sgpr_workgroup_id_z 0
		.amdhsa_system_sgpr_workgroup_info 0
		.amdhsa_system_vgpr_workitem_id 0
		.amdhsa_next_free_vgpr 1
		.amdhsa_next_free_sgpr 1
		.amdhsa_named_barrier_count 0
		.amdhsa_reserve_vcc 0
		.amdhsa_float_round_mode_32 0
		.amdhsa_float_round_mode_16_64 0
		.amdhsa_float_denorm_mode_32 3
		.amdhsa_float_denorm_mode_16_64 3
		.amdhsa_fp16_overflow 0
		.amdhsa_memory_ordered 1
		.amdhsa_forward_progress 1
		.amdhsa_inst_pref_size 0
		.amdhsa_round_robin_scheduling 0
		.amdhsa_exception_fp_ieee_invalid_op 0
		.amdhsa_exception_fp_denorm_src 0
		.amdhsa_exception_fp_ieee_div_zero 0
		.amdhsa_exception_fp_ieee_overflow 0
		.amdhsa_exception_fp_ieee_underflow 0
		.amdhsa_exception_fp_ieee_inexact 0
		.amdhsa_exception_int_div_zero 0
	.end_amdhsa_kernel
	.section	.text._ZN7rocprim17ROCPRIM_400000_NS6detail17trampoline_kernelINS0_14default_configENS1_36segmented_radix_sort_config_selectorIllEEZNS1_25segmented_radix_sort_implIS3_Lb1EPKlPlS8_S9_N2at6native12_GLOBAL__N_18offset_tEEE10hipError_tPvRmT1_PNSt15iterator_traitsISH_E10value_typeET2_T3_PNSI_ISN_E10value_typeET4_jRbjT5_ST_jjP12ihipStream_tbEUlT_E_NS1_11comp_targetILNS1_3genE2ELNS1_11target_archE906ELNS1_3gpuE6ELNS1_3repE0EEENS1_30default_config_static_selectorELNS0_4arch9wavefront6targetE0EEEvSH_,"axG",@progbits,_ZN7rocprim17ROCPRIM_400000_NS6detail17trampoline_kernelINS0_14default_configENS1_36segmented_radix_sort_config_selectorIllEEZNS1_25segmented_radix_sort_implIS3_Lb1EPKlPlS8_S9_N2at6native12_GLOBAL__N_18offset_tEEE10hipError_tPvRmT1_PNSt15iterator_traitsISH_E10value_typeET2_T3_PNSI_ISN_E10value_typeET4_jRbjT5_ST_jjP12ihipStream_tbEUlT_E_NS1_11comp_targetILNS1_3genE2ELNS1_11target_archE906ELNS1_3gpuE6ELNS1_3repE0EEENS1_30default_config_static_selectorELNS0_4arch9wavefront6targetE0EEEvSH_,comdat
.Lfunc_end705:
	.size	_ZN7rocprim17ROCPRIM_400000_NS6detail17trampoline_kernelINS0_14default_configENS1_36segmented_radix_sort_config_selectorIllEEZNS1_25segmented_radix_sort_implIS3_Lb1EPKlPlS8_S9_N2at6native12_GLOBAL__N_18offset_tEEE10hipError_tPvRmT1_PNSt15iterator_traitsISH_E10value_typeET2_T3_PNSI_ISN_E10value_typeET4_jRbjT5_ST_jjP12ihipStream_tbEUlT_E_NS1_11comp_targetILNS1_3genE2ELNS1_11target_archE906ELNS1_3gpuE6ELNS1_3repE0EEENS1_30default_config_static_selectorELNS0_4arch9wavefront6targetE0EEEvSH_, .Lfunc_end705-_ZN7rocprim17ROCPRIM_400000_NS6detail17trampoline_kernelINS0_14default_configENS1_36segmented_radix_sort_config_selectorIllEEZNS1_25segmented_radix_sort_implIS3_Lb1EPKlPlS8_S9_N2at6native12_GLOBAL__N_18offset_tEEE10hipError_tPvRmT1_PNSt15iterator_traitsISH_E10value_typeET2_T3_PNSI_ISN_E10value_typeET4_jRbjT5_ST_jjP12ihipStream_tbEUlT_E_NS1_11comp_targetILNS1_3genE2ELNS1_11target_archE906ELNS1_3gpuE6ELNS1_3repE0EEENS1_30default_config_static_selectorELNS0_4arch9wavefront6targetE0EEEvSH_
                                        ; -- End function
	.set _ZN7rocprim17ROCPRIM_400000_NS6detail17trampoline_kernelINS0_14default_configENS1_36segmented_radix_sort_config_selectorIllEEZNS1_25segmented_radix_sort_implIS3_Lb1EPKlPlS8_S9_N2at6native12_GLOBAL__N_18offset_tEEE10hipError_tPvRmT1_PNSt15iterator_traitsISH_E10value_typeET2_T3_PNSI_ISN_E10value_typeET4_jRbjT5_ST_jjP12ihipStream_tbEUlT_E_NS1_11comp_targetILNS1_3genE2ELNS1_11target_archE906ELNS1_3gpuE6ELNS1_3repE0EEENS1_30default_config_static_selectorELNS0_4arch9wavefront6targetE0EEEvSH_.num_vgpr, 0
	.set _ZN7rocprim17ROCPRIM_400000_NS6detail17trampoline_kernelINS0_14default_configENS1_36segmented_radix_sort_config_selectorIllEEZNS1_25segmented_radix_sort_implIS3_Lb1EPKlPlS8_S9_N2at6native12_GLOBAL__N_18offset_tEEE10hipError_tPvRmT1_PNSt15iterator_traitsISH_E10value_typeET2_T3_PNSI_ISN_E10value_typeET4_jRbjT5_ST_jjP12ihipStream_tbEUlT_E_NS1_11comp_targetILNS1_3genE2ELNS1_11target_archE906ELNS1_3gpuE6ELNS1_3repE0EEENS1_30default_config_static_selectorELNS0_4arch9wavefront6targetE0EEEvSH_.num_agpr, 0
	.set _ZN7rocprim17ROCPRIM_400000_NS6detail17trampoline_kernelINS0_14default_configENS1_36segmented_radix_sort_config_selectorIllEEZNS1_25segmented_radix_sort_implIS3_Lb1EPKlPlS8_S9_N2at6native12_GLOBAL__N_18offset_tEEE10hipError_tPvRmT1_PNSt15iterator_traitsISH_E10value_typeET2_T3_PNSI_ISN_E10value_typeET4_jRbjT5_ST_jjP12ihipStream_tbEUlT_E_NS1_11comp_targetILNS1_3genE2ELNS1_11target_archE906ELNS1_3gpuE6ELNS1_3repE0EEENS1_30default_config_static_selectorELNS0_4arch9wavefront6targetE0EEEvSH_.numbered_sgpr, 0
	.set _ZN7rocprim17ROCPRIM_400000_NS6detail17trampoline_kernelINS0_14default_configENS1_36segmented_radix_sort_config_selectorIllEEZNS1_25segmented_radix_sort_implIS3_Lb1EPKlPlS8_S9_N2at6native12_GLOBAL__N_18offset_tEEE10hipError_tPvRmT1_PNSt15iterator_traitsISH_E10value_typeET2_T3_PNSI_ISN_E10value_typeET4_jRbjT5_ST_jjP12ihipStream_tbEUlT_E_NS1_11comp_targetILNS1_3genE2ELNS1_11target_archE906ELNS1_3gpuE6ELNS1_3repE0EEENS1_30default_config_static_selectorELNS0_4arch9wavefront6targetE0EEEvSH_.num_named_barrier, 0
	.set _ZN7rocprim17ROCPRIM_400000_NS6detail17trampoline_kernelINS0_14default_configENS1_36segmented_radix_sort_config_selectorIllEEZNS1_25segmented_radix_sort_implIS3_Lb1EPKlPlS8_S9_N2at6native12_GLOBAL__N_18offset_tEEE10hipError_tPvRmT1_PNSt15iterator_traitsISH_E10value_typeET2_T3_PNSI_ISN_E10value_typeET4_jRbjT5_ST_jjP12ihipStream_tbEUlT_E_NS1_11comp_targetILNS1_3genE2ELNS1_11target_archE906ELNS1_3gpuE6ELNS1_3repE0EEENS1_30default_config_static_selectorELNS0_4arch9wavefront6targetE0EEEvSH_.private_seg_size, 0
	.set _ZN7rocprim17ROCPRIM_400000_NS6detail17trampoline_kernelINS0_14default_configENS1_36segmented_radix_sort_config_selectorIllEEZNS1_25segmented_radix_sort_implIS3_Lb1EPKlPlS8_S9_N2at6native12_GLOBAL__N_18offset_tEEE10hipError_tPvRmT1_PNSt15iterator_traitsISH_E10value_typeET2_T3_PNSI_ISN_E10value_typeET4_jRbjT5_ST_jjP12ihipStream_tbEUlT_E_NS1_11comp_targetILNS1_3genE2ELNS1_11target_archE906ELNS1_3gpuE6ELNS1_3repE0EEENS1_30default_config_static_selectorELNS0_4arch9wavefront6targetE0EEEvSH_.uses_vcc, 0
	.set _ZN7rocprim17ROCPRIM_400000_NS6detail17trampoline_kernelINS0_14default_configENS1_36segmented_radix_sort_config_selectorIllEEZNS1_25segmented_radix_sort_implIS3_Lb1EPKlPlS8_S9_N2at6native12_GLOBAL__N_18offset_tEEE10hipError_tPvRmT1_PNSt15iterator_traitsISH_E10value_typeET2_T3_PNSI_ISN_E10value_typeET4_jRbjT5_ST_jjP12ihipStream_tbEUlT_E_NS1_11comp_targetILNS1_3genE2ELNS1_11target_archE906ELNS1_3gpuE6ELNS1_3repE0EEENS1_30default_config_static_selectorELNS0_4arch9wavefront6targetE0EEEvSH_.uses_flat_scratch, 0
	.set _ZN7rocprim17ROCPRIM_400000_NS6detail17trampoline_kernelINS0_14default_configENS1_36segmented_radix_sort_config_selectorIllEEZNS1_25segmented_radix_sort_implIS3_Lb1EPKlPlS8_S9_N2at6native12_GLOBAL__N_18offset_tEEE10hipError_tPvRmT1_PNSt15iterator_traitsISH_E10value_typeET2_T3_PNSI_ISN_E10value_typeET4_jRbjT5_ST_jjP12ihipStream_tbEUlT_E_NS1_11comp_targetILNS1_3genE2ELNS1_11target_archE906ELNS1_3gpuE6ELNS1_3repE0EEENS1_30default_config_static_selectorELNS0_4arch9wavefront6targetE0EEEvSH_.has_dyn_sized_stack, 0
	.set _ZN7rocprim17ROCPRIM_400000_NS6detail17trampoline_kernelINS0_14default_configENS1_36segmented_radix_sort_config_selectorIllEEZNS1_25segmented_radix_sort_implIS3_Lb1EPKlPlS8_S9_N2at6native12_GLOBAL__N_18offset_tEEE10hipError_tPvRmT1_PNSt15iterator_traitsISH_E10value_typeET2_T3_PNSI_ISN_E10value_typeET4_jRbjT5_ST_jjP12ihipStream_tbEUlT_E_NS1_11comp_targetILNS1_3genE2ELNS1_11target_archE906ELNS1_3gpuE6ELNS1_3repE0EEENS1_30default_config_static_selectorELNS0_4arch9wavefront6targetE0EEEvSH_.has_recursion, 0
	.set _ZN7rocprim17ROCPRIM_400000_NS6detail17trampoline_kernelINS0_14default_configENS1_36segmented_radix_sort_config_selectorIllEEZNS1_25segmented_radix_sort_implIS3_Lb1EPKlPlS8_S9_N2at6native12_GLOBAL__N_18offset_tEEE10hipError_tPvRmT1_PNSt15iterator_traitsISH_E10value_typeET2_T3_PNSI_ISN_E10value_typeET4_jRbjT5_ST_jjP12ihipStream_tbEUlT_E_NS1_11comp_targetILNS1_3genE2ELNS1_11target_archE906ELNS1_3gpuE6ELNS1_3repE0EEENS1_30default_config_static_selectorELNS0_4arch9wavefront6targetE0EEEvSH_.has_indirect_call, 0
	.section	.AMDGPU.csdata,"",@progbits
; Kernel info:
; codeLenInByte = 0
; TotalNumSgprs: 0
; NumVgprs: 0
; ScratchSize: 0
; MemoryBound: 0
; FloatMode: 240
; IeeeMode: 1
; LDSByteSize: 0 bytes/workgroup (compile time only)
; SGPRBlocks: 0
; VGPRBlocks: 0
; NumSGPRsForWavesPerEU: 1
; NumVGPRsForWavesPerEU: 1
; NamedBarCnt: 0
; Occupancy: 16
; WaveLimiterHint : 0
; COMPUTE_PGM_RSRC2:SCRATCH_EN: 0
; COMPUTE_PGM_RSRC2:USER_SGPR: 2
; COMPUTE_PGM_RSRC2:TRAP_HANDLER: 0
; COMPUTE_PGM_RSRC2:TGID_X_EN: 1
; COMPUTE_PGM_RSRC2:TGID_Y_EN: 0
; COMPUTE_PGM_RSRC2:TGID_Z_EN: 0
; COMPUTE_PGM_RSRC2:TIDIG_COMP_CNT: 0
	.section	.text._ZN7rocprim17ROCPRIM_400000_NS6detail17trampoline_kernelINS0_14default_configENS1_36segmented_radix_sort_config_selectorIllEEZNS1_25segmented_radix_sort_implIS3_Lb1EPKlPlS8_S9_N2at6native12_GLOBAL__N_18offset_tEEE10hipError_tPvRmT1_PNSt15iterator_traitsISH_E10value_typeET2_T3_PNSI_ISN_E10value_typeET4_jRbjT5_ST_jjP12ihipStream_tbEUlT_E_NS1_11comp_targetILNS1_3genE10ELNS1_11target_archE1201ELNS1_3gpuE5ELNS1_3repE0EEENS1_30default_config_static_selectorELNS0_4arch9wavefront6targetE0EEEvSH_,"axG",@progbits,_ZN7rocprim17ROCPRIM_400000_NS6detail17trampoline_kernelINS0_14default_configENS1_36segmented_radix_sort_config_selectorIllEEZNS1_25segmented_radix_sort_implIS3_Lb1EPKlPlS8_S9_N2at6native12_GLOBAL__N_18offset_tEEE10hipError_tPvRmT1_PNSt15iterator_traitsISH_E10value_typeET2_T3_PNSI_ISN_E10value_typeET4_jRbjT5_ST_jjP12ihipStream_tbEUlT_E_NS1_11comp_targetILNS1_3genE10ELNS1_11target_archE1201ELNS1_3gpuE5ELNS1_3repE0EEENS1_30default_config_static_selectorELNS0_4arch9wavefront6targetE0EEEvSH_,comdat
	.globl	_ZN7rocprim17ROCPRIM_400000_NS6detail17trampoline_kernelINS0_14default_configENS1_36segmented_radix_sort_config_selectorIllEEZNS1_25segmented_radix_sort_implIS3_Lb1EPKlPlS8_S9_N2at6native12_GLOBAL__N_18offset_tEEE10hipError_tPvRmT1_PNSt15iterator_traitsISH_E10value_typeET2_T3_PNSI_ISN_E10value_typeET4_jRbjT5_ST_jjP12ihipStream_tbEUlT_E_NS1_11comp_targetILNS1_3genE10ELNS1_11target_archE1201ELNS1_3gpuE5ELNS1_3repE0EEENS1_30default_config_static_selectorELNS0_4arch9wavefront6targetE0EEEvSH_ ; -- Begin function _ZN7rocprim17ROCPRIM_400000_NS6detail17trampoline_kernelINS0_14default_configENS1_36segmented_radix_sort_config_selectorIllEEZNS1_25segmented_radix_sort_implIS3_Lb1EPKlPlS8_S9_N2at6native12_GLOBAL__N_18offset_tEEE10hipError_tPvRmT1_PNSt15iterator_traitsISH_E10value_typeET2_T3_PNSI_ISN_E10value_typeET4_jRbjT5_ST_jjP12ihipStream_tbEUlT_E_NS1_11comp_targetILNS1_3genE10ELNS1_11target_archE1201ELNS1_3gpuE5ELNS1_3repE0EEENS1_30default_config_static_selectorELNS0_4arch9wavefront6targetE0EEEvSH_
	.p2align	8
	.type	_ZN7rocprim17ROCPRIM_400000_NS6detail17trampoline_kernelINS0_14default_configENS1_36segmented_radix_sort_config_selectorIllEEZNS1_25segmented_radix_sort_implIS3_Lb1EPKlPlS8_S9_N2at6native12_GLOBAL__N_18offset_tEEE10hipError_tPvRmT1_PNSt15iterator_traitsISH_E10value_typeET2_T3_PNSI_ISN_E10value_typeET4_jRbjT5_ST_jjP12ihipStream_tbEUlT_E_NS1_11comp_targetILNS1_3genE10ELNS1_11target_archE1201ELNS1_3gpuE5ELNS1_3repE0EEENS1_30default_config_static_selectorELNS0_4arch9wavefront6targetE0EEEvSH_,@function
_ZN7rocprim17ROCPRIM_400000_NS6detail17trampoline_kernelINS0_14default_configENS1_36segmented_radix_sort_config_selectorIllEEZNS1_25segmented_radix_sort_implIS3_Lb1EPKlPlS8_S9_N2at6native12_GLOBAL__N_18offset_tEEE10hipError_tPvRmT1_PNSt15iterator_traitsISH_E10value_typeET2_T3_PNSI_ISN_E10value_typeET4_jRbjT5_ST_jjP12ihipStream_tbEUlT_E_NS1_11comp_targetILNS1_3genE10ELNS1_11target_archE1201ELNS1_3gpuE5ELNS1_3repE0EEENS1_30default_config_static_selectorELNS0_4arch9wavefront6targetE0EEEvSH_: ; @_ZN7rocprim17ROCPRIM_400000_NS6detail17trampoline_kernelINS0_14default_configENS1_36segmented_radix_sort_config_selectorIllEEZNS1_25segmented_radix_sort_implIS3_Lb1EPKlPlS8_S9_N2at6native12_GLOBAL__N_18offset_tEEE10hipError_tPvRmT1_PNSt15iterator_traitsISH_E10value_typeET2_T3_PNSI_ISN_E10value_typeET4_jRbjT5_ST_jjP12ihipStream_tbEUlT_E_NS1_11comp_targetILNS1_3genE10ELNS1_11target_archE1201ELNS1_3gpuE5ELNS1_3repE0EEENS1_30default_config_static_selectorELNS0_4arch9wavefront6targetE0EEEvSH_
; %bb.0:
	.section	.rodata,"a",@progbits
	.p2align	6, 0x0
	.amdhsa_kernel _ZN7rocprim17ROCPRIM_400000_NS6detail17trampoline_kernelINS0_14default_configENS1_36segmented_radix_sort_config_selectorIllEEZNS1_25segmented_radix_sort_implIS3_Lb1EPKlPlS8_S9_N2at6native12_GLOBAL__N_18offset_tEEE10hipError_tPvRmT1_PNSt15iterator_traitsISH_E10value_typeET2_T3_PNSI_ISN_E10value_typeET4_jRbjT5_ST_jjP12ihipStream_tbEUlT_E_NS1_11comp_targetILNS1_3genE10ELNS1_11target_archE1201ELNS1_3gpuE5ELNS1_3repE0EEENS1_30default_config_static_selectorELNS0_4arch9wavefront6targetE0EEEvSH_
		.amdhsa_group_segment_fixed_size 0
		.amdhsa_private_segment_fixed_size 0
		.amdhsa_kernarg_size 96
		.amdhsa_user_sgpr_count 2
		.amdhsa_user_sgpr_dispatch_ptr 0
		.amdhsa_user_sgpr_queue_ptr 0
		.amdhsa_user_sgpr_kernarg_segment_ptr 1
		.amdhsa_user_sgpr_dispatch_id 0
		.amdhsa_user_sgpr_kernarg_preload_length 0
		.amdhsa_user_sgpr_kernarg_preload_offset 0
		.amdhsa_user_sgpr_private_segment_size 0
		.amdhsa_wavefront_size32 1
		.amdhsa_uses_dynamic_stack 0
		.amdhsa_enable_private_segment 0
		.amdhsa_system_sgpr_workgroup_id_x 1
		.amdhsa_system_sgpr_workgroup_id_y 0
		.amdhsa_system_sgpr_workgroup_id_z 0
		.amdhsa_system_sgpr_workgroup_info 0
		.amdhsa_system_vgpr_workitem_id 0
		.amdhsa_next_free_vgpr 1
		.amdhsa_next_free_sgpr 1
		.amdhsa_named_barrier_count 0
		.amdhsa_reserve_vcc 0
		.amdhsa_float_round_mode_32 0
		.amdhsa_float_round_mode_16_64 0
		.amdhsa_float_denorm_mode_32 3
		.amdhsa_float_denorm_mode_16_64 3
		.amdhsa_fp16_overflow 0
		.amdhsa_memory_ordered 1
		.amdhsa_forward_progress 1
		.amdhsa_inst_pref_size 0
		.amdhsa_round_robin_scheduling 0
		.amdhsa_exception_fp_ieee_invalid_op 0
		.amdhsa_exception_fp_denorm_src 0
		.amdhsa_exception_fp_ieee_div_zero 0
		.amdhsa_exception_fp_ieee_overflow 0
		.amdhsa_exception_fp_ieee_underflow 0
		.amdhsa_exception_fp_ieee_inexact 0
		.amdhsa_exception_int_div_zero 0
	.end_amdhsa_kernel
	.section	.text._ZN7rocprim17ROCPRIM_400000_NS6detail17trampoline_kernelINS0_14default_configENS1_36segmented_radix_sort_config_selectorIllEEZNS1_25segmented_radix_sort_implIS3_Lb1EPKlPlS8_S9_N2at6native12_GLOBAL__N_18offset_tEEE10hipError_tPvRmT1_PNSt15iterator_traitsISH_E10value_typeET2_T3_PNSI_ISN_E10value_typeET4_jRbjT5_ST_jjP12ihipStream_tbEUlT_E_NS1_11comp_targetILNS1_3genE10ELNS1_11target_archE1201ELNS1_3gpuE5ELNS1_3repE0EEENS1_30default_config_static_selectorELNS0_4arch9wavefront6targetE0EEEvSH_,"axG",@progbits,_ZN7rocprim17ROCPRIM_400000_NS6detail17trampoline_kernelINS0_14default_configENS1_36segmented_radix_sort_config_selectorIllEEZNS1_25segmented_radix_sort_implIS3_Lb1EPKlPlS8_S9_N2at6native12_GLOBAL__N_18offset_tEEE10hipError_tPvRmT1_PNSt15iterator_traitsISH_E10value_typeET2_T3_PNSI_ISN_E10value_typeET4_jRbjT5_ST_jjP12ihipStream_tbEUlT_E_NS1_11comp_targetILNS1_3genE10ELNS1_11target_archE1201ELNS1_3gpuE5ELNS1_3repE0EEENS1_30default_config_static_selectorELNS0_4arch9wavefront6targetE0EEEvSH_,comdat
.Lfunc_end706:
	.size	_ZN7rocprim17ROCPRIM_400000_NS6detail17trampoline_kernelINS0_14default_configENS1_36segmented_radix_sort_config_selectorIllEEZNS1_25segmented_radix_sort_implIS3_Lb1EPKlPlS8_S9_N2at6native12_GLOBAL__N_18offset_tEEE10hipError_tPvRmT1_PNSt15iterator_traitsISH_E10value_typeET2_T3_PNSI_ISN_E10value_typeET4_jRbjT5_ST_jjP12ihipStream_tbEUlT_E_NS1_11comp_targetILNS1_3genE10ELNS1_11target_archE1201ELNS1_3gpuE5ELNS1_3repE0EEENS1_30default_config_static_selectorELNS0_4arch9wavefront6targetE0EEEvSH_, .Lfunc_end706-_ZN7rocprim17ROCPRIM_400000_NS6detail17trampoline_kernelINS0_14default_configENS1_36segmented_radix_sort_config_selectorIllEEZNS1_25segmented_radix_sort_implIS3_Lb1EPKlPlS8_S9_N2at6native12_GLOBAL__N_18offset_tEEE10hipError_tPvRmT1_PNSt15iterator_traitsISH_E10value_typeET2_T3_PNSI_ISN_E10value_typeET4_jRbjT5_ST_jjP12ihipStream_tbEUlT_E_NS1_11comp_targetILNS1_3genE10ELNS1_11target_archE1201ELNS1_3gpuE5ELNS1_3repE0EEENS1_30default_config_static_selectorELNS0_4arch9wavefront6targetE0EEEvSH_
                                        ; -- End function
	.set _ZN7rocprim17ROCPRIM_400000_NS6detail17trampoline_kernelINS0_14default_configENS1_36segmented_radix_sort_config_selectorIllEEZNS1_25segmented_radix_sort_implIS3_Lb1EPKlPlS8_S9_N2at6native12_GLOBAL__N_18offset_tEEE10hipError_tPvRmT1_PNSt15iterator_traitsISH_E10value_typeET2_T3_PNSI_ISN_E10value_typeET4_jRbjT5_ST_jjP12ihipStream_tbEUlT_E_NS1_11comp_targetILNS1_3genE10ELNS1_11target_archE1201ELNS1_3gpuE5ELNS1_3repE0EEENS1_30default_config_static_selectorELNS0_4arch9wavefront6targetE0EEEvSH_.num_vgpr, 0
	.set _ZN7rocprim17ROCPRIM_400000_NS6detail17trampoline_kernelINS0_14default_configENS1_36segmented_radix_sort_config_selectorIllEEZNS1_25segmented_radix_sort_implIS3_Lb1EPKlPlS8_S9_N2at6native12_GLOBAL__N_18offset_tEEE10hipError_tPvRmT1_PNSt15iterator_traitsISH_E10value_typeET2_T3_PNSI_ISN_E10value_typeET4_jRbjT5_ST_jjP12ihipStream_tbEUlT_E_NS1_11comp_targetILNS1_3genE10ELNS1_11target_archE1201ELNS1_3gpuE5ELNS1_3repE0EEENS1_30default_config_static_selectorELNS0_4arch9wavefront6targetE0EEEvSH_.num_agpr, 0
	.set _ZN7rocprim17ROCPRIM_400000_NS6detail17trampoline_kernelINS0_14default_configENS1_36segmented_radix_sort_config_selectorIllEEZNS1_25segmented_radix_sort_implIS3_Lb1EPKlPlS8_S9_N2at6native12_GLOBAL__N_18offset_tEEE10hipError_tPvRmT1_PNSt15iterator_traitsISH_E10value_typeET2_T3_PNSI_ISN_E10value_typeET4_jRbjT5_ST_jjP12ihipStream_tbEUlT_E_NS1_11comp_targetILNS1_3genE10ELNS1_11target_archE1201ELNS1_3gpuE5ELNS1_3repE0EEENS1_30default_config_static_selectorELNS0_4arch9wavefront6targetE0EEEvSH_.numbered_sgpr, 0
	.set _ZN7rocprim17ROCPRIM_400000_NS6detail17trampoline_kernelINS0_14default_configENS1_36segmented_radix_sort_config_selectorIllEEZNS1_25segmented_radix_sort_implIS3_Lb1EPKlPlS8_S9_N2at6native12_GLOBAL__N_18offset_tEEE10hipError_tPvRmT1_PNSt15iterator_traitsISH_E10value_typeET2_T3_PNSI_ISN_E10value_typeET4_jRbjT5_ST_jjP12ihipStream_tbEUlT_E_NS1_11comp_targetILNS1_3genE10ELNS1_11target_archE1201ELNS1_3gpuE5ELNS1_3repE0EEENS1_30default_config_static_selectorELNS0_4arch9wavefront6targetE0EEEvSH_.num_named_barrier, 0
	.set _ZN7rocprim17ROCPRIM_400000_NS6detail17trampoline_kernelINS0_14default_configENS1_36segmented_radix_sort_config_selectorIllEEZNS1_25segmented_radix_sort_implIS3_Lb1EPKlPlS8_S9_N2at6native12_GLOBAL__N_18offset_tEEE10hipError_tPvRmT1_PNSt15iterator_traitsISH_E10value_typeET2_T3_PNSI_ISN_E10value_typeET4_jRbjT5_ST_jjP12ihipStream_tbEUlT_E_NS1_11comp_targetILNS1_3genE10ELNS1_11target_archE1201ELNS1_3gpuE5ELNS1_3repE0EEENS1_30default_config_static_selectorELNS0_4arch9wavefront6targetE0EEEvSH_.private_seg_size, 0
	.set _ZN7rocprim17ROCPRIM_400000_NS6detail17trampoline_kernelINS0_14default_configENS1_36segmented_radix_sort_config_selectorIllEEZNS1_25segmented_radix_sort_implIS3_Lb1EPKlPlS8_S9_N2at6native12_GLOBAL__N_18offset_tEEE10hipError_tPvRmT1_PNSt15iterator_traitsISH_E10value_typeET2_T3_PNSI_ISN_E10value_typeET4_jRbjT5_ST_jjP12ihipStream_tbEUlT_E_NS1_11comp_targetILNS1_3genE10ELNS1_11target_archE1201ELNS1_3gpuE5ELNS1_3repE0EEENS1_30default_config_static_selectorELNS0_4arch9wavefront6targetE0EEEvSH_.uses_vcc, 0
	.set _ZN7rocprim17ROCPRIM_400000_NS6detail17trampoline_kernelINS0_14default_configENS1_36segmented_radix_sort_config_selectorIllEEZNS1_25segmented_radix_sort_implIS3_Lb1EPKlPlS8_S9_N2at6native12_GLOBAL__N_18offset_tEEE10hipError_tPvRmT1_PNSt15iterator_traitsISH_E10value_typeET2_T3_PNSI_ISN_E10value_typeET4_jRbjT5_ST_jjP12ihipStream_tbEUlT_E_NS1_11comp_targetILNS1_3genE10ELNS1_11target_archE1201ELNS1_3gpuE5ELNS1_3repE0EEENS1_30default_config_static_selectorELNS0_4arch9wavefront6targetE0EEEvSH_.uses_flat_scratch, 0
	.set _ZN7rocprim17ROCPRIM_400000_NS6detail17trampoline_kernelINS0_14default_configENS1_36segmented_radix_sort_config_selectorIllEEZNS1_25segmented_radix_sort_implIS3_Lb1EPKlPlS8_S9_N2at6native12_GLOBAL__N_18offset_tEEE10hipError_tPvRmT1_PNSt15iterator_traitsISH_E10value_typeET2_T3_PNSI_ISN_E10value_typeET4_jRbjT5_ST_jjP12ihipStream_tbEUlT_E_NS1_11comp_targetILNS1_3genE10ELNS1_11target_archE1201ELNS1_3gpuE5ELNS1_3repE0EEENS1_30default_config_static_selectorELNS0_4arch9wavefront6targetE0EEEvSH_.has_dyn_sized_stack, 0
	.set _ZN7rocprim17ROCPRIM_400000_NS6detail17trampoline_kernelINS0_14default_configENS1_36segmented_radix_sort_config_selectorIllEEZNS1_25segmented_radix_sort_implIS3_Lb1EPKlPlS8_S9_N2at6native12_GLOBAL__N_18offset_tEEE10hipError_tPvRmT1_PNSt15iterator_traitsISH_E10value_typeET2_T3_PNSI_ISN_E10value_typeET4_jRbjT5_ST_jjP12ihipStream_tbEUlT_E_NS1_11comp_targetILNS1_3genE10ELNS1_11target_archE1201ELNS1_3gpuE5ELNS1_3repE0EEENS1_30default_config_static_selectorELNS0_4arch9wavefront6targetE0EEEvSH_.has_recursion, 0
	.set _ZN7rocprim17ROCPRIM_400000_NS6detail17trampoline_kernelINS0_14default_configENS1_36segmented_radix_sort_config_selectorIllEEZNS1_25segmented_radix_sort_implIS3_Lb1EPKlPlS8_S9_N2at6native12_GLOBAL__N_18offset_tEEE10hipError_tPvRmT1_PNSt15iterator_traitsISH_E10value_typeET2_T3_PNSI_ISN_E10value_typeET4_jRbjT5_ST_jjP12ihipStream_tbEUlT_E_NS1_11comp_targetILNS1_3genE10ELNS1_11target_archE1201ELNS1_3gpuE5ELNS1_3repE0EEENS1_30default_config_static_selectorELNS0_4arch9wavefront6targetE0EEEvSH_.has_indirect_call, 0
	.section	.AMDGPU.csdata,"",@progbits
; Kernel info:
; codeLenInByte = 0
; TotalNumSgprs: 0
; NumVgprs: 0
; ScratchSize: 0
; MemoryBound: 0
; FloatMode: 240
; IeeeMode: 1
; LDSByteSize: 0 bytes/workgroup (compile time only)
; SGPRBlocks: 0
; VGPRBlocks: 0
; NumSGPRsForWavesPerEU: 1
; NumVGPRsForWavesPerEU: 1
; NamedBarCnt: 0
; Occupancy: 16
; WaveLimiterHint : 0
; COMPUTE_PGM_RSRC2:SCRATCH_EN: 0
; COMPUTE_PGM_RSRC2:USER_SGPR: 2
; COMPUTE_PGM_RSRC2:TRAP_HANDLER: 0
; COMPUTE_PGM_RSRC2:TGID_X_EN: 1
; COMPUTE_PGM_RSRC2:TGID_Y_EN: 0
; COMPUTE_PGM_RSRC2:TGID_Z_EN: 0
; COMPUTE_PGM_RSRC2:TIDIG_COMP_CNT: 0
	.section	.text._ZN7rocprim17ROCPRIM_400000_NS6detail17trampoline_kernelINS0_14default_configENS1_36segmented_radix_sort_config_selectorIllEEZNS1_25segmented_radix_sort_implIS3_Lb1EPKlPlS8_S9_N2at6native12_GLOBAL__N_18offset_tEEE10hipError_tPvRmT1_PNSt15iterator_traitsISH_E10value_typeET2_T3_PNSI_ISN_E10value_typeET4_jRbjT5_ST_jjP12ihipStream_tbEUlT_E_NS1_11comp_targetILNS1_3genE10ELNS1_11target_archE1200ELNS1_3gpuE4ELNS1_3repE0EEENS1_30default_config_static_selectorELNS0_4arch9wavefront6targetE0EEEvSH_,"axG",@progbits,_ZN7rocprim17ROCPRIM_400000_NS6detail17trampoline_kernelINS0_14default_configENS1_36segmented_radix_sort_config_selectorIllEEZNS1_25segmented_radix_sort_implIS3_Lb1EPKlPlS8_S9_N2at6native12_GLOBAL__N_18offset_tEEE10hipError_tPvRmT1_PNSt15iterator_traitsISH_E10value_typeET2_T3_PNSI_ISN_E10value_typeET4_jRbjT5_ST_jjP12ihipStream_tbEUlT_E_NS1_11comp_targetILNS1_3genE10ELNS1_11target_archE1200ELNS1_3gpuE4ELNS1_3repE0EEENS1_30default_config_static_selectorELNS0_4arch9wavefront6targetE0EEEvSH_,comdat
	.globl	_ZN7rocprim17ROCPRIM_400000_NS6detail17trampoline_kernelINS0_14default_configENS1_36segmented_radix_sort_config_selectorIllEEZNS1_25segmented_radix_sort_implIS3_Lb1EPKlPlS8_S9_N2at6native12_GLOBAL__N_18offset_tEEE10hipError_tPvRmT1_PNSt15iterator_traitsISH_E10value_typeET2_T3_PNSI_ISN_E10value_typeET4_jRbjT5_ST_jjP12ihipStream_tbEUlT_E_NS1_11comp_targetILNS1_3genE10ELNS1_11target_archE1200ELNS1_3gpuE4ELNS1_3repE0EEENS1_30default_config_static_selectorELNS0_4arch9wavefront6targetE0EEEvSH_ ; -- Begin function _ZN7rocprim17ROCPRIM_400000_NS6detail17trampoline_kernelINS0_14default_configENS1_36segmented_radix_sort_config_selectorIllEEZNS1_25segmented_radix_sort_implIS3_Lb1EPKlPlS8_S9_N2at6native12_GLOBAL__N_18offset_tEEE10hipError_tPvRmT1_PNSt15iterator_traitsISH_E10value_typeET2_T3_PNSI_ISN_E10value_typeET4_jRbjT5_ST_jjP12ihipStream_tbEUlT_E_NS1_11comp_targetILNS1_3genE10ELNS1_11target_archE1200ELNS1_3gpuE4ELNS1_3repE0EEENS1_30default_config_static_selectorELNS0_4arch9wavefront6targetE0EEEvSH_
	.p2align	8
	.type	_ZN7rocprim17ROCPRIM_400000_NS6detail17trampoline_kernelINS0_14default_configENS1_36segmented_radix_sort_config_selectorIllEEZNS1_25segmented_radix_sort_implIS3_Lb1EPKlPlS8_S9_N2at6native12_GLOBAL__N_18offset_tEEE10hipError_tPvRmT1_PNSt15iterator_traitsISH_E10value_typeET2_T3_PNSI_ISN_E10value_typeET4_jRbjT5_ST_jjP12ihipStream_tbEUlT_E_NS1_11comp_targetILNS1_3genE10ELNS1_11target_archE1200ELNS1_3gpuE4ELNS1_3repE0EEENS1_30default_config_static_selectorELNS0_4arch9wavefront6targetE0EEEvSH_,@function
_ZN7rocprim17ROCPRIM_400000_NS6detail17trampoline_kernelINS0_14default_configENS1_36segmented_radix_sort_config_selectorIllEEZNS1_25segmented_radix_sort_implIS3_Lb1EPKlPlS8_S9_N2at6native12_GLOBAL__N_18offset_tEEE10hipError_tPvRmT1_PNSt15iterator_traitsISH_E10value_typeET2_T3_PNSI_ISN_E10value_typeET4_jRbjT5_ST_jjP12ihipStream_tbEUlT_E_NS1_11comp_targetILNS1_3genE10ELNS1_11target_archE1200ELNS1_3gpuE4ELNS1_3repE0EEENS1_30default_config_static_selectorELNS0_4arch9wavefront6targetE0EEEvSH_: ; @_ZN7rocprim17ROCPRIM_400000_NS6detail17trampoline_kernelINS0_14default_configENS1_36segmented_radix_sort_config_selectorIllEEZNS1_25segmented_radix_sort_implIS3_Lb1EPKlPlS8_S9_N2at6native12_GLOBAL__N_18offset_tEEE10hipError_tPvRmT1_PNSt15iterator_traitsISH_E10value_typeET2_T3_PNSI_ISN_E10value_typeET4_jRbjT5_ST_jjP12ihipStream_tbEUlT_E_NS1_11comp_targetILNS1_3genE10ELNS1_11target_archE1200ELNS1_3gpuE4ELNS1_3repE0EEENS1_30default_config_static_selectorELNS0_4arch9wavefront6targetE0EEEvSH_
; %bb.0:
	.section	.rodata,"a",@progbits
	.p2align	6, 0x0
	.amdhsa_kernel _ZN7rocprim17ROCPRIM_400000_NS6detail17trampoline_kernelINS0_14default_configENS1_36segmented_radix_sort_config_selectorIllEEZNS1_25segmented_radix_sort_implIS3_Lb1EPKlPlS8_S9_N2at6native12_GLOBAL__N_18offset_tEEE10hipError_tPvRmT1_PNSt15iterator_traitsISH_E10value_typeET2_T3_PNSI_ISN_E10value_typeET4_jRbjT5_ST_jjP12ihipStream_tbEUlT_E_NS1_11comp_targetILNS1_3genE10ELNS1_11target_archE1200ELNS1_3gpuE4ELNS1_3repE0EEENS1_30default_config_static_selectorELNS0_4arch9wavefront6targetE0EEEvSH_
		.amdhsa_group_segment_fixed_size 0
		.amdhsa_private_segment_fixed_size 0
		.amdhsa_kernarg_size 96
		.amdhsa_user_sgpr_count 2
		.amdhsa_user_sgpr_dispatch_ptr 0
		.amdhsa_user_sgpr_queue_ptr 0
		.amdhsa_user_sgpr_kernarg_segment_ptr 1
		.amdhsa_user_sgpr_dispatch_id 0
		.amdhsa_user_sgpr_kernarg_preload_length 0
		.amdhsa_user_sgpr_kernarg_preload_offset 0
		.amdhsa_user_sgpr_private_segment_size 0
		.amdhsa_wavefront_size32 1
		.amdhsa_uses_dynamic_stack 0
		.amdhsa_enable_private_segment 0
		.amdhsa_system_sgpr_workgroup_id_x 1
		.amdhsa_system_sgpr_workgroup_id_y 0
		.amdhsa_system_sgpr_workgroup_id_z 0
		.amdhsa_system_sgpr_workgroup_info 0
		.amdhsa_system_vgpr_workitem_id 0
		.amdhsa_next_free_vgpr 1
		.amdhsa_next_free_sgpr 1
		.amdhsa_named_barrier_count 0
		.amdhsa_reserve_vcc 0
		.amdhsa_float_round_mode_32 0
		.amdhsa_float_round_mode_16_64 0
		.amdhsa_float_denorm_mode_32 3
		.amdhsa_float_denorm_mode_16_64 3
		.amdhsa_fp16_overflow 0
		.amdhsa_memory_ordered 1
		.amdhsa_forward_progress 1
		.amdhsa_inst_pref_size 0
		.amdhsa_round_robin_scheduling 0
		.amdhsa_exception_fp_ieee_invalid_op 0
		.amdhsa_exception_fp_denorm_src 0
		.amdhsa_exception_fp_ieee_div_zero 0
		.amdhsa_exception_fp_ieee_overflow 0
		.amdhsa_exception_fp_ieee_underflow 0
		.amdhsa_exception_fp_ieee_inexact 0
		.amdhsa_exception_int_div_zero 0
	.end_amdhsa_kernel
	.section	.text._ZN7rocprim17ROCPRIM_400000_NS6detail17trampoline_kernelINS0_14default_configENS1_36segmented_radix_sort_config_selectorIllEEZNS1_25segmented_radix_sort_implIS3_Lb1EPKlPlS8_S9_N2at6native12_GLOBAL__N_18offset_tEEE10hipError_tPvRmT1_PNSt15iterator_traitsISH_E10value_typeET2_T3_PNSI_ISN_E10value_typeET4_jRbjT5_ST_jjP12ihipStream_tbEUlT_E_NS1_11comp_targetILNS1_3genE10ELNS1_11target_archE1200ELNS1_3gpuE4ELNS1_3repE0EEENS1_30default_config_static_selectorELNS0_4arch9wavefront6targetE0EEEvSH_,"axG",@progbits,_ZN7rocprim17ROCPRIM_400000_NS6detail17trampoline_kernelINS0_14default_configENS1_36segmented_radix_sort_config_selectorIllEEZNS1_25segmented_radix_sort_implIS3_Lb1EPKlPlS8_S9_N2at6native12_GLOBAL__N_18offset_tEEE10hipError_tPvRmT1_PNSt15iterator_traitsISH_E10value_typeET2_T3_PNSI_ISN_E10value_typeET4_jRbjT5_ST_jjP12ihipStream_tbEUlT_E_NS1_11comp_targetILNS1_3genE10ELNS1_11target_archE1200ELNS1_3gpuE4ELNS1_3repE0EEENS1_30default_config_static_selectorELNS0_4arch9wavefront6targetE0EEEvSH_,comdat
.Lfunc_end707:
	.size	_ZN7rocprim17ROCPRIM_400000_NS6detail17trampoline_kernelINS0_14default_configENS1_36segmented_radix_sort_config_selectorIllEEZNS1_25segmented_radix_sort_implIS3_Lb1EPKlPlS8_S9_N2at6native12_GLOBAL__N_18offset_tEEE10hipError_tPvRmT1_PNSt15iterator_traitsISH_E10value_typeET2_T3_PNSI_ISN_E10value_typeET4_jRbjT5_ST_jjP12ihipStream_tbEUlT_E_NS1_11comp_targetILNS1_3genE10ELNS1_11target_archE1200ELNS1_3gpuE4ELNS1_3repE0EEENS1_30default_config_static_selectorELNS0_4arch9wavefront6targetE0EEEvSH_, .Lfunc_end707-_ZN7rocprim17ROCPRIM_400000_NS6detail17trampoline_kernelINS0_14default_configENS1_36segmented_radix_sort_config_selectorIllEEZNS1_25segmented_radix_sort_implIS3_Lb1EPKlPlS8_S9_N2at6native12_GLOBAL__N_18offset_tEEE10hipError_tPvRmT1_PNSt15iterator_traitsISH_E10value_typeET2_T3_PNSI_ISN_E10value_typeET4_jRbjT5_ST_jjP12ihipStream_tbEUlT_E_NS1_11comp_targetILNS1_3genE10ELNS1_11target_archE1200ELNS1_3gpuE4ELNS1_3repE0EEENS1_30default_config_static_selectorELNS0_4arch9wavefront6targetE0EEEvSH_
                                        ; -- End function
	.set _ZN7rocprim17ROCPRIM_400000_NS6detail17trampoline_kernelINS0_14default_configENS1_36segmented_radix_sort_config_selectorIllEEZNS1_25segmented_radix_sort_implIS3_Lb1EPKlPlS8_S9_N2at6native12_GLOBAL__N_18offset_tEEE10hipError_tPvRmT1_PNSt15iterator_traitsISH_E10value_typeET2_T3_PNSI_ISN_E10value_typeET4_jRbjT5_ST_jjP12ihipStream_tbEUlT_E_NS1_11comp_targetILNS1_3genE10ELNS1_11target_archE1200ELNS1_3gpuE4ELNS1_3repE0EEENS1_30default_config_static_selectorELNS0_4arch9wavefront6targetE0EEEvSH_.num_vgpr, 0
	.set _ZN7rocprim17ROCPRIM_400000_NS6detail17trampoline_kernelINS0_14default_configENS1_36segmented_radix_sort_config_selectorIllEEZNS1_25segmented_radix_sort_implIS3_Lb1EPKlPlS8_S9_N2at6native12_GLOBAL__N_18offset_tEEE10hipError_tPvRmT1_PNSt15iterator_traitsISH_E10value_typeET2_T3_PNSI_ISN_E10value_typeET4_jRbjT5_ST_jjP12ihipStream_tbEUlT_E_NS1_11comp_targetILNS1_3genE10ELNS1_11target_archE1200ELNS1_3gpuE4ELNS1_3repE0EEENS1_30default_config_static_selectorELNS0_4arch9wavefront6targetE0EEEvSH_.num_agpr, 0
	.set _ZN7rocprim17ROCPRIM_400000_NS6detail17trampoline_kernelINS0_14default_configENS1_36segmented_radix_sort_config_selectorIllEEZNS1_25segmented_radix_sort_implIS3_Lb1EPKlPlS8_S9_N2at6native12_GLOBAL__N_18offset_tEEE10hipError_tPvRmT1_PNSt15iterator_traitsISH_E10value_typeET2_T3_PNSI_ISN_E10value_typeET4_jRbjT5_ST_jjP12ihipStream_tbEUlT_E_NS1_11comp_targetILNS1_3genE10ELNS1_11target_archE1200ELNS1_3gpuE4ELNS1_3repE0EEENS1_30default_config_static_selectorELNS0_4arch9wavefront6targetE0EEEvSH_.numbered_sgpr, 0
	.set _ZN7rocprim17ROCPRIM_400000_NS6detail17trampoline_kernelINS0_14default_configENS1_36segmented_radix_sort_config_selectorIllEEZNS1_25segmented_radix_sort_implIS3_Lb1EPKlPlS8_S9_N2at6native12_GLOBAL__N_18offset_tEEE10hipError_tPvRmT1_PNSt15iterator_traitsISH_E10value_typeET2_T3_PNSI_ISN_E10value_typeET4_jRbjT5_ST_jjP12ihipStream_tbEUlT_E_NS1_11comp_targetILNS1_3genE10ELNS1_11target_archE1200ELNS1_3gpuE4ELNS1_3repE0EEENS1_30default_config_static_selectorELNS0_4arch9wavefront6targetE0EEEvSH_.num_named_barrier, 0
	.set _ZN7rocprim17ROCPRIM_400000_NS6detail17trampoline_kernelINS0_14default_configENS1_36segmented_radix_sort_config_selectorIllEEZNS1_25segmented_radix_sort_implIS3_Lb1EPKlPlS8_S9_N2at6native12_GLOBAL__N_18offset_tEEE10hipError_tPvRmT1_PNSt15iterator_traitsISH_E10value_typeET2_T3_PNSI_ISN_E10value_typeET4_jRbjT5_ST_jjP12ihipStream_tbEUlT_E_NS1_11comp_targetILNS1_3genE10ELNS1_11target_archE1200ELNS1_3gpuE4ELNS1_3repE0EEENS1_30default_config_static_selectorELNS0_4arch9wavefront6targetE0EEEvSH_.private_seg_size, 0
	.set _ZN7rocprim17ROCPRIM_400000_NS6detail17trampoline_kernelINS0_14default_configENS1_36segmented_radix_sort_config_selectorIllEEZNS1_25segmented_radix_sort_implIS3_Lb1EPKlPlS8_S9_N2at6native12_GLOBAL__N_18offset_tEEE10hipError_tPvRmT1_PNSt15iterator_traitsISH_E10value_typeET2_T3_PNSI_ISN_E10value_typeET4_jRbjT5_ST_jjP12ihipStream_tbEUlT_E_NS1_11comp_targetILNS1_3genE10ELNS1_11target_archE1200ELNS1_3gpuE4ELNS1_3repE0EEENS1_30default_config_static_selectorELNS0_4arch9wavefront6targetE0EEEvSH_.uses_vcc, 0
	.set _ZN7rocprim17ROCPRIM_400000_NS6detail17trampoline_kernelINS0_14default_configENS1_36segmented_radix_sort_config_selectorIllEEZNS1_25segmented_radix_sort_implIS3_Lb1EPKlPlS8_S9_N2at6native12_GLOBAL__N_18offset_tEEE10hipError_tPvRmT1_PNSt15iterator_traitsISH_E10value_typeET2_T3_PNSI_ISN_E10value_typeET4_jRbjT5_ST_jjP12ihipStream_tbEUlT_E_NS1_11comp_targetILNS1_3genE10ELNS1_11target_archE1200ELNS1_3gpuE4ELNS1_3repE0EEENS1_30default_config_static_selectorELNS0_4arch9wavefront6targetE0EEEvSH_.uses_flat_scratch, 0
	.set _ZN7rocprim17ROCPRIM_400000_NS6detail17trampoline_kernelINS0_14default_configENS1_36segmented_radix_sort_config_selectorIllEEZNS1_25segmented_radix_sort_implIS3_Lb1EPKlPlS8_S9_N2at6native12_GLOBAL__N_18offset_tEEE10hipError_tPvRmT1_PNSt15iterator_traitsISH_E10value_typeET2_T3_PNSI_ISN_E10value_typeET4_jRbjT5_ST_jjP12ihipStream_tbEUlT_E_NS1_11comp_targetILNS1_3genE10ELNS1_11target_archE1200ELNS1_3gpuE4ELNS1_3repE0EEENS1_30default_config_static_selectorELNS0_4arch9wavefront6targetE0EEEvSH_.has_dyn_sized_stack, 0
	.set _ZN7rocprim17ROCPRIM_400000_NS6detail17trampoline_kernelINS0_14default_configENS1_36segmented_radix_sort_config_selectorIllEEZNS1_25segmented_radix_sort_implIS3_Lb1EPKlPlS8_S9_N2at6native12_GLOBAL__N_18offset_tEEE10hipError_tPvRmT1_PNSt15iterator_traitsISH_E10value_typeET2_T3_PNSI_ISN_E10value_typeET4_jRbjT5_ST_jjP12ihipStream_tbEUlT_E_NS1_11comp_targetILNS1_3genE10ELNS1_11target_archE1200ELNS1_3gpuE4ELNS1_3repE0EEENS1_30default_config_static_selectorELNS0_4arch9wavefront6targetE0EEEvSH_.has_recursion, 0
	.set _ZN7rocprim17ROCPRIM_400000_NS6detail17trampoline_kernelINS0_14default_configENS1_36segmented_radix_sort_config_selectorIllEEZNS1_25segmented_radix_sort_implIS3_Lb1EPKlPlS8_S9_N2at6native12_GLOBAL__N_18offset_tEEE10hipError_tPvRmT1_PNSt15iterator_traitsISH_E10value_typeET2_T3_PNSI_ISN_E10value_typeET4_jRbjT5_ST_jjP12ihipStream_tbEUlT_E_NS1_11comp_targetILNS1_3genE10ELNS1_11target_archE1200ELNS1_3gpuE4ELNS1_3repE0EEENS1_30default_config_static_selectorELNS0_4arch9wavefront6targetE0EEEvSH_.has_indirect_call, 0
	.section	.AMDGPU.csdata,"",@progbits
; Kernel info:
; codeLenInByte = 0
; TotalNumSgprs: 0
; NumVgprs: 0
; ScratchSize: 0
; MemoryBound: 0
; FloatMode: 240
; IeeeMode: 1
; LDSByteSize: 0 bytes/workgroup (compile time only)
; SGPRBlocks: 0
; VGPRBlocks: 0
; NumSGPRsForWavesPerEU: 1
; NumVGPRsForWavesPerEU: 1
; NamedBarCnt: 0
; Occupancy: 16
; WaveLimiterHint : 0
; COMPUTE_PGM_RSRC2:SCRATCH_EN: 0
; COMPUTE_PGM_RSRC2:USER_SGPR: 2
; COMPUTE_PGM_RSRC2:TRAP_HANDLER: 0
; COMPUTE_PGM_RSRC2:TGID_X_EN: 1
; COMPUTE_PGM_RSRC2:TGID_Y_EN: 0
; COMPUTE_PGM_RSRC2:TGID_Z_EN: 0
; COMPUTE_PGM_RSRC2:TIDIG_COMP_CNT: 0
	.section	.text._ZN7rocprim17ROCPRIM_400000_NS6detail17trampoline_kernelINS0_14default_configENS1_36segmented_radix_sort_config_selectorIllEEZNS1_25segmented_radix_sort_implIS3_Lb1EPKlPlS8_S9_N2at6native12_GLOBAL__N_18offset_tEEE10hipError_tPvRmT1_PNSt15iterator_traitsISH_E10value_typeET2_T3_PNSI_ISN_E10value_typeET4_jRbjT5_ST_jjP12ihipStream_tbEUlT_E_NS1_11comp_targetILNS1_3genE9ELNS1_11target_archE1100ELNS1_3gpuE3ELNS1_3repE0EEENS1_30default_config_static_selectorELNS0_4arch9wavefront6targetE0EEEvSH_,"axG",@progbits,_ZN7rocprim17ROCPRIM_400000_NS6detail17trampoline_kernelINS0_14default_configENS1_36segmented_radix_sort_config_selectorIllEEZNS1_25segmented_radix_sort_implIS3_Lb1EPKlPlS8_S9_N2at6native12_GLOBAL__N_18offset_tEEE10hipError_tPvRmT1_PNSt15iterator_traitsISH_E10value_typeET2_T3_PNSI_ISN_E10value_typeET4_jRbjT5_ST_jjP12ihipStream_tbEUlT_E_NS1_11comp_targetILNS1_3genE9ELNS1_11target_archE1100ELNS1_3gpuE3ELNS1_3repE0EEENS1_30default_config_static_selectorELNS0_4arch9wavefront6targetE0EEEvSH_,comdat
	.globl	_ZN7rocprim17ROCPRIM_400000_NS6detail17trampoline_kernelINS0_14default_configENS1_36segmented_radix_sort_config_selectorIllEEZNS1_25segmented_radix_sort_implIS3_Lb1EPKlPlS8_S9_N2at6native12_GLOBAL__N_18offset_tEEE10hipError_tPvRmT1_PNSt15iterator_traitsISH_E10value_typeET2_T3_PNSI_ISN_E10value_typeET4_jRbjT5_ST_jjP12ihipStream_tbEUlT_E_NS1_11comp_targetILNS1_3genE9ELNS1_11target_archE1100ELNS1_3gpuE3ELNS1_3repE0EEENS1_30default_config_static_selectorELNS0_4arch9wavefront6targetE0EEEvSH_ ; -- Begin function _ZN7rocprim17ROCPRIM_400000_NS6detail17trampoline_kernelINS0_14default_configENS1_36segmented_radix_sort_config_selectorIllEEZNS1_25segmented_radix_sort_implIS3_Lb1EPKlPlS8_S9_N2at6native12_GLOBAL__N_18offset_tEEE10hipError_tPvRmT1_PNSt15iterator_traitsISH_E10value_typeET2_T3_PNSI_ISN_E10value_typeET4_jRbjT5_ST_jjP12ihipStream_tbEUlT_E_NS1_11comp_targetILNS1_3genE9ELNS1_11target_archE1100ELNS1_3gpuE3ELNS1_3repE0EEENS1_30default_config_static_selectorELNS0_4arch9wavefront6targetE0EEEvSH_
	.p2align	8
	.type	_ZN7rocprim17ROCPRIM_400000_NS6detail17trampoline_kernelINS0_14default_configENS1_36segmented_radix_sort_config_selectorIllEEZNS1_25segmented_radix_sort_implIS3_Lb1EPKlPlS8_S9_N2at6native12_GLOBAL__N_18offset_tEEE10hipError_tPvRmT1_PNSt15iterator_traitsISH_E10value_typeET2_T3_PNSI_ISN_E10value_typeET4_jRbjT5_ST_jjP12ihipStream_tbEUlT_E_NS1_11comp_targetILNS1_3genE9ELNS1_11target_archE1100ELNS1_3gpuE3ELNS1_3repE0EEENS1_30default_config_static_selectorELNS0_4arch9wavefront6targetE0EEEvSH_,@function
_ZN7rocprim17ROCPRIM_400000_NS6detail17trampoline_kernelINS0_14default_configENS1_36segmented_radix_sort_config_selectorIllEEZNS1_25segmented_radix_sort_implIS3_Lb1EPKlPlS8_S9_N2at6native12_GLOBAL__N_18offset_tEEE10hipError_tPvRmT1_PNSt15iterator_traitsISH_E10value_typeET2_T3_PNSI_ISN_E10value_typeET4_jRbjT5_ST_jjP12ihipStream_tbEUlT_E_NS1_11comp_targetILNS1_3genE9ELNS1_11target_archE1100ELNS1_3gpuE3ELNS1_3repE0EEENS1_30default_config_static_selectorELNS0_4arch9wavefront6targetE0EEEvSH_: ; @_ZN7rocprim17ROCPRIM_400000_NS6detail17trampoline_kernelINS0_14default_configENS1_36segmented_radix_sort_config_selectorIllEEZNS1_25segmented_radix_sort_implIS3_Lb1EPKlPlS8_S9_N2at6native12_GLOBAL__N_18offset_tEEE10hipError_tPvRmT1_PNSt15iterator_traitsISH_E10value_typeET2_T3_PNSI_ISN_E10value_typeET4_jRbjT5_ST_jjP12ihipStream_tbEUlT_E_NS1_11comp_targetILNS1_3genE9ELNS1_11target_archE1100ELNS1_3gpuE3ELNS1_3repE0EEENS1_30default_config_static_selectorELNS0_4arch9wavefront6targetE0EEEvSH_
; %bb.0:
	.section	.rodata,"a",@progbits
	.p2align	6, 0x0
	.amdhsa_kernel _ZN7rocprim17ROCPRIM_400000_NS6detail17trampoline_kernelINS0_14default_configENS1_36segmented_radix_sort_config_selectorIllEEZNS1_25segmented_radix_sort_implIS3_Lb1EPKlPlS8_S9_N2at6native12_GLOBAL__N_18offset_tEEE10hipError_tPvRmT1_PNSt15iterator_traitsISH_E10value_typeET2_T3_PNSI_ISN_E10value_typeET4_jRbjT5_ST_jjP12ihipStream_tbEUlT_E_NS1_11comp_targetILNS1_3genE9ELNS1_11target_archE1100ELNS1_3gpuE3ELNS1_3repE0EEENS1_30default_config_static_selectorELNS0_4arch9wavefront6targetE0EEEvSH_
		.amdhsa_group_segment_fixed_size 0
		.amdhsa_private_segment_fixed_size 0
		.amdhsa_kernarg_size 96
		.amdhsa_user_sgpr_count 2
		.amdhsa_user_sgpr_dispatch_ptr 0
		.amdhsa_user_sgpr_queue_ptr 0
		.amdhsa_user_sgpr_kernarg_segment_ptr 1
		.amdhsa_user_sgpr_dispatch_id 0
		.amdhsa_user_sgpr_kernarg_preload_length 0
		.amdhsa_user_sgpr_kernarg_preload_offset 0
		.amdhsa_user_sgpr_private_segment_size 0
		.amdhsa_wavefront_size32 1
		.amdhsa_uses_dynamic_stack 0
		.amdhsa_enable_private_segment 0
		.amdhsa_system_sgpr_workgroup_id_x 1
		.amdhsa_system_sgpr_workgroup_id_y 0
		.amdhsa_system_sgpr_workgroup_id_z 0
		.amdhsa_system_sgpr_workgroup_info 0
		.amdhsa_system_vgpr_workitem_id 0
		.amdhsa_next_free_vgpr 1
		.amdhsa_next_free_sgpr 1
		.amdhsa_named_barrier_count 0
		.amdhsa_reserve_vcc 0
		.amdhsa_float_round_mode_32 0
		.amdhsa_float_round_mode_16_64 0
		.amdhsa_float_denorm_mode_32 3
		.amdhsa_float_denorm_mode_16_64 3
		.amdhsa_fp16_overflow 0
		.amdhsa_memory_ordered 1
		.amdhsa_forward_progress 1
		.amdhsa_inst_pref_size 0
		.amdhsa_round_robin_scheduling 0
		.amdhsa_exception_fp_ieee_invalid_op 0
		.amdhsa_exception_fp_denorm_src 0
		.amdhsa_exception_fp_ieee_div_zero 0
		.amdhsa_exception_fp_ieee_overflow 0
		.amdhsa_exception_fp_ieee_underflow 0
		.amdhsa_exception_fp_ieee_inexact 0
		.amdhsa_exception_int_div_zero 0
	.end_amdhsa_kernel
	.section	.text._ZN7rocprim17ROCPRIM_400000_NS6detail17trampoline_kernelINS0_14default_configENS1_36segmented_radix_sort_config_selectorIllEEZNS1_25segmented_radix_sort_implIS3_Lb1EPKlPlS8_S9_N2at6native12_GLOBAL__N_18offset_tEEE10hipError_tPvRmT1_PNSt15iterator_traitsISH_E10value_typeET2_T3_PNSI_ISN_E10value_typeET4_jRbjT5_ST_jjP12ihipStream_tbEUlT_E_NS1_11comp_targetILNS1_3genE9ELNS1_11target_archE1100ELNS1_3gpuE3ELNS1_3repE0EEENS1_30default_config_static_selectorELNS0_4arch9wavefront6targetE0EEEvSH_,"axG",@progbits,_ZN7rocprim17ROCPRIM_400000_NS6detail17trampoline_kernelINS0_14default_configENS1_36segmented_radix_sort_config_selectorIllEEZNS1_25segmented_radix_sort_implIS3_Lb1EPKlPlS8_S9_N2at6native12_GLOBAL__N_18offset_tEEE10hipError_tPvRmT1_PNSt15iterator_traitsISH_E10value_typeET2_T3_PNSI_ISN_E10value_typeET4_jRbjT5_ST_jjP12ihipStream_tbEUlT_E_NS1_11comp_targetILNS1_3genE9ELNS1_11target_archE1100ELNS1_3gpuE3ELNS1_3repE0EEENS1_30default_config_static_selectorELNS0_4arch9wavefront6targetE0EEEvSH_,comdat
.Lfunc_end708:
	.size	_ZN7rocprim17ROCPRIM_400000_NS6detail17trampoline_kernelINS0_14default_configENS1_36segmented_radix_sort_config_selectorIllEEZNS1_25segmented_radix_sort_implIS3_Lb1EPKlPlS8_S9_N2at6native12_GLOBAL__N_18offset_tEEE10hipError_tPvRmT1_PNSt15iterator_traitsISH_E10value_typeET2_T3_PNSI_ISN_E10value_typeET4_jRbjT5_ST_jjP12ihipStream_tbEUlT_E_NS1_11comp_targetILNS1_3genE9ELNS1_11target_archE1100ELNS1_3gpuE3ELNS1_3repE0EEENS1_30default_config_static_selectorELNS0_4arch9wavefront6targetE0EEEvSH_, .Lfunc_end708-_ZN7rocprim17ROCPRIM_400000_NS6detail17trampoline_kernelINS0_14default_configENS1_36segmented_radix_sort_config_selectorIllEEZNS1_25segmented_radix_sort_implIS3_Lb1EPKlPlS8_S9_N2at6native12_GLOBAL__N_18offset_tEEE10hipError_tPvRmT1_PNSt15iterator_traitsISH_E10value_typeET2_T3_PNSI_ISN_E10value_typeET4_jRbjT5_ST_jjP12ihipStream_tbEUlT_E_NS1_11comp_targetILNS1_3genE9ELNS1_11target_archE1100ELNS1_3gpuE3ELNS1_3repE0EEENS1_30default_config_static_selectorELNS0_4arch9wavefront6targetE0EEEvSH_
                                        ; -- End function
	.set _ZN7rocprim17ROCPRIM_400000_NS6detail17trampoline_kernelINS0_14default_configENS1_36segmented_radix_sort_config_selectorIllEEZNS1_25segmented_radix_sort_implIS3_Lb1EPKlPlS8_S9_N2at6native12_GLOBAL__N_18offset_tEEE10hipError_tPvRmT1_PNSt15iterator_traitsISH_E10value_typeET2_T3_PNSI_ISN_E10value_typeET4_jRbjT5_ST_jjP12ihipStream_tbEUlT_E_NS1_11comp_targetILNS1_3genE9ELNS1_11target_archE1100ELNS1_3gpuE3ELNS1_3repE0EEENS1_30default_config_static_selectorELNS0_4arch9wavefront6targetE0EEEvSH_.num_vgpr, 0
	.set _ZN7rocprim17ROCPRIM_400000_NS6detail17trampoline_kernelINS0_14default_configENS1_36segmented_radix_sort_config_selectorIllEEZNS1_25segmented_radix_sort_implIS3_Lb1EPKlPlS8_S9_N2at6native12_GLOBAL__N_18offset_tEEE10hipError_tPvRmT1_PNSt15iterator_traitsISH_E10value_typeET2_T3_PNSI_ISN_E10value_typeET4_jRbjT5_ST_jjP12ihipStream_tbEUlT_E_NS1_11comp_targetILNS1_3genE9ELNS1_11target_archE1100ELNS1_3gpuE3ELNS1_3repE0EEENS1_30default_config_static_selectorELNS0_4arch9wavefront6targetE0EEEvSH_.num_agpr, 0
	.set _ZN7rocprim17ROCPRIM_400000_NS6detail17trampoline_kernelINS0_14default_configENS1_36segmented_radix_sort_config_selectorIllEEZNS1_25segmented_radix_sort_implIS3_Lb1EPKlPlS8_S9_N2at6native12_GLOBAL__N_18offset_tEEE10hipError_tPvRmT1_PNSt15iterator_traitsISH_E10value_typeET2_T3_PNSI_ISN_E10value_typeET4_jRbjT5_ST_jjP12ihipStream_tbEUlT_E_NS1_11comp_targetILNS1_3genE9ELNS1_11target_archE1100ELNS1_3gpuE3ELNS1_3repE0EEENS1_30default_config_static_selectorELNS0_4arch9wavefront6targetE0EEEvSH_.numbered_sgpr, 0
	.set _ZN7rocprim17ROCPRIM_400000_NS6detail17trampoline_kernelINS0_14default_configENS1_36segmented_radix_sort_config_selectorIllEEZNS1_25segmented_radix_sort_implIS3_Lb1EPKlPlS8_S9_N2at6native12_GLOBAL__N_18offset_tEEE10hipError_tPvRmT1_PNSt15iterator_traitsISH_E10value_typeET2_T3_PNSI_ISN_E10value_typeET4_jRbjT5_ST_jjP12ihipStream_tbEUlT_E_NS1_11comp_targetILNS1_3genE9ELNS1_11target_archE1100ELNS1_3gpuE3ELNS1_3repE0EEENS1_30default_config_static_selectorELNS0_4arch9wavefront6targetE0EEEvSH_.num_named_barrier, 0
	.set _ZN7rocprim17ROCPRIM_400000_NS6detail17trampoline_kernelINS0_14default_configENS1_36segmented_radix_sort_config_selectorIllEEZNS1_25segmented_radix_sort_implIS3_Lb1EPKlPlS8_S9_N2at6native12_GLOBAL__N_18offset_tEEE10hipError_tPvRmT1_PNSt15iterator_traitsISH_E10value_typeET2_T3_PNSI_ISN_E10value_typeET4_jRbjT5_ST_jjP12ihipStream_tbEUlT_E_NS1_11comp_targetILNS1_3genE9ELNS1_11target_archE1100ELNS1_3gpuE3ELNS1_3repE0EEENS1_30default_config_static_selectorELNS0_4arch9wavefront6targetE0EEEvSH_.private_seg_size, 0
	.set _ZN7rocprim17ROCPRIM_400000_NS6detail17trampoline_kernelINS0_14default_configENS1_36segmented_radix_sort_config_selectorIllEEZNS1_25segmented_radix_sort_implIS3_Lb1EPKlPlS8_S9_N2at6native12_GLOBAL__N_18offset_tEEE10hipError_tPvRmT1_PNSt15iterator_traitsISH_E10value_typeET2_T3_PNSI_ISN_E10value_typeET4_jRbjT5_ST_jjP12ihipStream_tbEUlT_E_NS1_11comp_targetILNS1_3genE9ELNS1_11target_archE1100ELNS1_3gpuE3ELNS1_3repE0EEENS1_30default_config_static_selectorELNS0_4arch9wavefront6targetE0EEEvSH_.uses_vcc, 0
	.set _ZN7rocprim17ROCPRIM_400000_NS6detail17trampoline_kernelINS0_14default_configENS1_36segmented_radix_sort_config_selectorIllEEZNS1_25segmented_radix_sort_implIS3_Lb1EPKlPlS8_S9_N2at6native12_GLOBAL__N_18offset_tEEE10hipError_tPvRmT1_PNSt15iterator_traitsISH_E10value_typeET2_T3_PNSI_ISN_E10value_typeET4_jRbjT5_ST_jjP12ihipStream_tbEUlT_E_NS1_11comp_targetILNS1_3genE9ELNS1_11target_archE1100ELNS1_3gpuE3ELNS1_3repE0EEENS1_30default_config_static_selectorELNS0_4arch9wavefront6targetE0EEEvSH_.uses_flat_scratch, 0
	.set _ZN7rocprim17ROCPRIM_400000_NS6detail17trampoline_kernelINS0_14default_configENS1_36segmented_radix_sort_config_selectorIllEEZNS1_25segmented_radix_sort_implIS3_Lb1EPKlPlS8_S9_N2at6native12_GLOBAL__N_18offset_tEEE10hipError_tPvRmT1_PNSt15iterator_traitsISH_E10value_typeET2_T3_PNSI_ISN_E10value_typeET4_jRbjT5_ST_jjP12ihipStream_tbEUlT_E_NS1_11comp_targetILNS1_3genE9ELNS1_11target_archE1100ELNS1_3gpuE3ELNS1_3repE0EEENS1_30default_config_static_selectorELNS0_4arch9wavefront6targetE0EEEvSH_.has_dyn_sized_stack, 0
	.set _ZN7rocprim17ROCPRIM_400000_NS6detail17trampoline_kernelINS0_14default_configENS1_36segmented_radix_sort_config_selectorIllEEZNS1_25segmented_radix_sort_implIS3_Lb1EPKlPlS8_S9_N2at6native12_GLOBAL__N_18offset_tEEE10hipError_tPvRmT1_PNSt15iterator_traitsISH_E10value_typeET2_T3_PNSI_ISN_E10value_typeET4_jRbjT5_ST_jjP12ihipStream_tbEUlT_E_NS1_11comp_targetILNS1_3genE9ELNS1_11target_archE1100ELNS1_3gpuE3ELNS1_3repE0EEENS1_30default_config_static_selectorELNS0_4arch9wavefront6targetE0EEEvSH_.has_recursion, 0
	.set _ZN7rocprim17ROCPRIM_400000_NS6detail17trampoline_kernelINS0_14default_configENS1_36segmented_radix_sort_config_selectorIllEEZNS1_25segmented_radix_sort_implIS3_Lb1EPKlPlS8_S9_N2at6native12_GLOBAL__N_18offset_tEEE10hipError_tPvRmT1_PNSt15iterator_traitsISH_E10value_typeET2_T3_PNSI_ISN_E10value_typeET4_jRbjT5_ST_jjP12ihipStream_tbEUlT_E_NS1_11comp_targetILNS1_3genE9ELNS1_11target_archE1100ELNS1_3gpuE3ELNS1_3repE0EEENS1_30default_config_static_selectorELNS0_4arch9wavefront6targetE0EEEvSH_.has_indirect_call, 0
	.section	.AMDGPU.csdata,"",@progbits
; Kernel info:
; codeLenInByte = 0
; TotalNumSgprs: 0
; NumVgprs: 0
; ScratchSize: 0
; MemoryBound: 0
; FloatMode: 240
; IeeeMode: 1
; LDSByteSize: 0 bytes/workgroup (compile time only)
; SGPRBlocks: 0
; VGPRBlocks: 0
; NumSGPRsForWavesPerEU: 1
; NumVGPRsForWavesPerEU: 1
; NamedBarCnt: 0
; Occupancy: 16
; WaveLimiterHint : 0
; COMPUTE_PGM_RSRC2:SCRATCH_EN: 0
; COMPUTE_PGM_RSRC2:USER_SGPR: 2
; COMPUTE_PGM_RSRC2:TRAP_HANDLER: 0
; COMPUTE_PGM_RSRC2:TGID_X_EN: 1
; COMPUTE_PGM_RSRC2:TGID_Y_EN: 0
; COMPUTE_PGM_RSRC2:TGID_Z_EN: 0
; COMPUTE_PGM_RSRC2:TIDIG_COMP_CNT: 0
	.section	.text._ZN7rocprim17ROCPRIM_400000_NS6detail17trampoline_kernelINS0_14default_configENS1_36segmented_radix_sort_config_selectorIllEEZNS1_25segmented_radix_sort_implIS3_Lb1EPKlPlS8_S9_N2at6native12_GLOBAL__N_18offset_tEEE10hipError_tPvRmT1_PNSt15iterator_traitsISH_E10value_typeET2_T3_PNSI_ISN_E10value_typeET4_jRbjT5_ST_jjP12ihipStream_tbEUlT_E_NS1_11comp_targetILNS1_3genE8ELNS1_11target_archE1030ELNS1_3gpuE2ELNS1_3repE0EEENS1_30default_config_static_selectorELNS0_4arch9wavefront6targetE0EEEvSH_,"axG",@progbits,_ZN7rocprim17ROCPRIM_400000_NS6detail17trampoline_kernelINS0_14default_configENS1_36segmented_radix_sort_config_selectorIllEEZNS1_25segmented_radix_sort_implIS3_Lb1EPKlPlS8_S9_N2at6native12_GLOBAL__N_18offset_tEEE10hipError_tPvRmT1_PNSt15iterator_traitsISH_E10value_typeET2_T3_PNSI_ISN_E10value_typeET4_jRbjT5_ST_jjP12ihipStream_tbEUlT_E_NS1_11comp_targetILNS1_3genE8ELNS1_11target_archE1030ELNS1_3gpuE2ELNS1_3repE0EEENS1_30default_config_static_selectorELNS0_4arch9wavefront6targetE0EEEvSH_,comdat
	.globl	_ZN7rocprim17ROCPRIM_400000_NS6detail17trampoline_kernelINS0_14default_configENS1_36segmented_radix_sort_config_selectorIllEEZNS1_25segmented_radix_sort_implIS3_Lb1EPKlPlS8_S9_N2at6native12_GLOBAL__N_18offset_tEEE10hipError_tPvRmT1_PNSt15iterator_traitsISH_E10value_typeET2_T3_PNSI_ISN_E10value_typeET4_jRbjT5_ST_jjP12ihipStream_tbEUlT_E_NS1_11comp_targetILNS1_3genE8ELNS1_11target_archE1030ELNS1_3gpuE2ELNS1_3repE0EEENS1_30default_config_static_selectorELNS0_4arch9wavefront6targetE0EEEvSH_ ; -- Begin function _ZN7rocprim17ROCPRIM_400000_NS6detail17trampoline_kernelINS0_14default_configENS1_36segmented_radix_sort_config_selectorIllEEZNS1_25segmented_radix_sort_implIS3_Lb1EPKlPlS8_S9_N2at6native12_GLOBAL__N_18offset_tEEE10hipError_tPvRmT1_PNSt15iterator_traitsISH_E10value_typeET2_T3_PNSI_ISN_E10value_typeET4_jRbjT5_ST_jjP12ihipStream_tbEUlT_E_NS1_11comp_targetILNS1_3genE8ELNS1_11target_archE1030ELNS1_3gpuE2ELNS1_3repE0EEENS1_30default_config_static_selectorELNS0_4arch9wavefront6targetE0EEEvSH_
	.p2align	8
	.type	_ZN7rocprim17ROCPRIM_400000_NS6detail17trampoline_kernelINS0_14default_configENS1_36segmented_radix_sort_config_selectorIllEEZNS1_25segmented_radix_sort_implIS3_Lb1EPKlPlS8_S9_N2at6native12_GLOBAL__N_18offset_tEEE10hipError_tPvRmT1_PNSt15iterator_traitsISH_E10value_typeET2_T3_PNSI_ISN_E10value_typeET4_jRbjT5_ST_jjP12ihipStream_tbEUlT_E_NS1_11comp_targetILNS1_3genE8ELNS1_11target_archE1030ELNS1_3gpuE2ELNS1_3repE0EEENS1_30default_config_static_selectorELNS0_4arch9wavefront6targetE0EEEvSH_,@function
_ZN7rocprim17ROCPRIM_400000_NS6detail17trampoline_kernelINS0_14default_configENS1_36segmented_radix_sort_config_selectorIllEEZNS1_25segmented_radix_sort_implIS3_Lb1EPKlPlS8_S9_N2at6native12_GLOBAL__N_18offset_tEEE10hipError_tPvRmT1_PNSt15iterator_traitsISH_E10value_typeET2_T3_PNSI_ISN_E10value_typeET4_jRbjT5_ST_jjP12ihipStream_tbEUlT_E_NS1_11comp_targetILNS1_3genE8ELNS1_11target_archE1030ELNS1_3gpuE2ELNS1_3repE0EEENS1_30default_config_static_selectorELNS0_4arch9wavefront6targetE0EEEvSH_: ; @_ZN7rocprim17ROCPRIM_400000_NS6detail17trampoline_kernelINS0_14default_configENS1_36segmented_radix_sort_config_selectorIllEEZNS1_25segmented_radix_sort_implIS3_Lb1EPKlPlS8_S9_N2at6native12_GLOBAL__N_18offset_tEEE10hipError_tPvRmT1_PNSt15iterator_traitsISH_E10value_typeET2_T3_PNSI_ISN_E10value_typeET4_jRbjT5_ST_jjP12ihipStream_tbEUlT_E_NS1_11comp_targetILNS1_3genE8ELNS1_11target_archE1030ELNS1_3gpuE2ELNS1_3repE0EEENS1_30default_config_static_selectorELNS0_4arch9wavefront6targetE0EEEvSH_
; %bb.0:
	.section	.rodata,"a",@progbits
	.p2align	6, 0x0
	.amdhsa_kernel _ZN7rocprim17ROCPRIM_400000_NS6detail17trampoline_kernelINS0_14default_configENS1_36segmented_radix_sort_config_selectorIllEEZNS1_25segmented_radix_sort_implIS3_Lb1EPKlPlS8_S9_N2at6native12_GLOBAL__N_18offset_tEEE10hipError_tPvRmT1_PNSt15iterator_traitsISH_E10value_typeET2_T3_PNSI_ISN_E10value_typeET4_jRbjT5_ST_jjP12ihipStream_tbEUlT_E_NS1_11comp_targetILNS1_3genE8ELNS1_11target_archE1030ELNS1_3gpuE2ELNS1_3repE0EEENS1_30default_config_static_selectorELNS0_4arch9wavefront6targetE0EEEvSH_
		.amdhsa_group_segment_fixed_size 0
		.amdhsa_private_segment_fixed_size 0
		.amdhsa_kernarg_size 96
		.amdhsa_user_sgpr_count 2
		.amdhsa_user_sgpr_dispatch_ptr 0
		.amdhsa_user_sgpr_queue_ptr 0
		.amdhsa_user_sgpr_kernarg_segment_ptr 1
		.amdhsa_user_sgpr_dispatch_id 0
		.amdhsa_user_sgpr_kernarg_preload_length 0
		.amdhsa_user_sgpr_kernarg_preload_offset 0
		.amdhsa_user_sgpr_private_segment_size 0
		.amdhsa_wavefront_size32 1
		.amdhsa_uses_dynamic_stack 0
		.amdhsa_enable_private_segment 0
		.amdhsa_system_sgpr_workgroup_id_x 1
		.amdhsa_system_sgpr_workgroup_id_y 0
		.amdhsa_system_sgpr_workgroup_id_z 0
		.amdhsa_system_sgpr_workgroup_info 0
		.amdhsa_system_vgpr_workitem_id 0
		.amdhsa_next_free_vgpr 1
		.amdhsa_next_free_sgpr 1
		.amdhsa_named_barrier_count 0
		.amdhsa_reserve_vcc 0
		.amdhsa_float_round_mode_32 0
		.amdhsa_float_round_mode_16_64 0
		.amdhsa_float_denorm_mode_32 3
		.amdhsa_float_denorm_mode_16_64 3
		.amdhsa_fp16_overflow 0
		.amdhsa_memory_ordered 1
		.amdhsa_forward_progress 1
		.amdhsa_inst_pref_size 0
		.amdhsa_round_robin_scheduling 0
		.amdhsa_exception_fp_ieee_invalid_op 0
		.amdhsa_exception_fp_denorm_src 0
		.amdhsa_exception_fp_ieee_div_zero 0
		.amdhsa_exception_fp_ieee_overflow 0
		.amdhsa_exception_fp_ieee_underflow 0
		.amdhsa_exception_fp_ieee_inexact 0
		.amdhsa_exception_int_div_zero 0
	.end_amdhsa_kernel
	.section	.text._ZN7rocprim17ROCPRIM_400000_NS6detail17trampoline_kernelINS0_14default_configENS1_36segmented_radix_sort_config_selectorIllEEZNS1_25segmented_radix_sort_implIS3_Lb1EPKlPlS8_S9_N2at6native12_GLOBAL__N_18offset_tEEE10hipError_tPvRmT1_PNSt15iterator_traitsISH_E10value_typeET2_T3_PNSI_ISN_E10value_typeET4_jRbjT5_ST_jjP12ihipStream_tbEUlT_E_NS1_11comp_targetILNS1_3genE8ELNS1_11target_archE1030ELNS1_3gpuE2ELNS1_3repE0EEENS1_30default_config_static_selectorELNS0_4arch9wavefront6targetE0EEEvSH_,"axG",@progbits,_ZN7rocprim17ROCPRIM_400000_NS6detail17trampoline_kernelINS0_14default_configENS1_36segmented_radix_sort_config_selectorIllEEZNS1_25segmented_radix_sort_implIS3_Lb1EPKlPlS8_S9_N2at6native12_GLOBAL__N_18offset_tEEE10hipError_tPvRmT1_PNSt15iterator_traitsISH_E10value_typeET2_T3_PNSI_ISN_E10value_typeET4_jRbjT5_ST_jjP12ihipStream_tbEUlT_E_NS1_11comp_targetILNS1_3genE8ELNS1_11target_archE1030ELNS1_3gpuE2ELNS1_3repE0EEENS1_30default_config_static_selectorELNS0_4arch9wavefront6targetE0EEEvSH_,comdat
.Lfunc_end709:
	.size	_ZN7rocprim17ROCPRIM_400000_NS6detail17trampoline_kernelINS0_14default_configENS1_36segmented_radix_sort_config_selectorIllEEZNS1_25segmented_radix_sort_implIS3_Lb1EPKlPlS8_S9_N2at6native12_GLOBAL__N_18offset_tEEE10hipError_tPvRmT1_PNSt15iterator_traitsISH_E10value_typeET2_T3_PNSI_ISN_E10value_typeET4_jRbjT5_ST_jjP12ihipStream_tbEUlT_E_NS1_11comp_targetILNS1_3genE8ELNS1_11target_archE1030ELNS1_3gpuE2ELNS1_3repE0EEENS1_30default_config_static_selectorELNS0_4arch9wavefront6targetE0EEEvSH_, .Lfunc_end709-_ZN7rocprim17ROCPRIM_400000_NS6detail17trampoline_kernelINS0_14default_configENS1_36segmented_radix_sort_config_selectorIllEEZNS1_25segmented_radix_sort_implIS3_Lb1EPKlPlS8_S9_N2at6native12_GLOBAL__N_18offset_tEEE10hipError_tPvRmT1_PNSt15iterator_traitsISH_E10value_typeET2_T3_PNSI_ISN_E10value_typeET4_jRbjT5_ST_jjP12ihipStream_tbEUlT_E_NS1_11comp_targetILNS1_3genE8ELNS1_11target_archE1030ELNS1_3gpuE2ELNS1_3repE0EEENS1_30default_config_static_selectorELNS0_4arch9wavefront6targetE0EEEvSH_
                                        ; -- End function
	.set _ZN7rocprim17ROCPRIM_400000_NS6detail17trampoline_kernelINS0_14default_configENS1_36segmented_radix_sort_config_selectorIllEEZNS1_25segmented_radix_sort_implIS3_Lb1EPKlPlS8_S9_N2at6native12_GLOBAL__N_18offset_tEEE10hipError_tPvRmT1_PNSt15iterator_traitsISH_E10value_typeET2_T3_PNSI_ISN_E10value_typeET4_jRbjT5_ST_jjP12ihipStream_tbEUlT_E_NS1_11comp_targetILNS1_3genE8ELNS1_11target_archE1030ELNS1_3gpuE2ELNS1_3repE0EEENS1_30default_config_static_selectorELNS0_4arch9wavefront6targetE0EEEvSH_.num_vgpr, 0
	.set _ZN7rocprim17ROCPRIM_400000_NS6detail17trampoline_kernelINS0_14default_configENS1_36segmented_radix_sort_config_selectorIllEEZNS1_25segmented_radix_sort_implIS3_Lb1EPKlPlS8_S9_N2at6native12_GLOBAL__N_18offset_tEEE10hipError_tPvRmT1_PNSt15iterator_traitsISH_E10value_typeET2_T3_PNSI_ISN_E10value_typeET4_jRbjT5_ST_jjP12ihipStream_tbEUlT_E_NS1_11comp_targetILNS1_3genE8ELNS1_11target_archE1030ELNS1_3gpuE2ELNS1_3repE0EEENS1_30default_config_static_selectorELNS0_4arch9wavefront6targetE0EEEvSH_.num_agpr, 0
	.set _ZN7rocprim17ROCPRIM_400000_NS6detail17trampoline_kernelINS0_14default_configENS1_36segmented_radix_sort_config_selectorIllEEZNS1_25segmented_radix_sort_implIS3_Lb1EPKlPlS8_S9_N2at6native12_GLOBAL__N_18offset_tEEE10hipError_tPvRmT1_PNSt15iterator_traitsISH_E10value_typeET2_T3_PNSI_ISN_E10value_typeET4_jRbjT5_ST_jjP12ihipStream_tbEUlT_E_NS1_11comp_targetILNS1_3genE8ELNS1_11target_archE1030ELNS1_3gpuE2ELNS1_3repE0EEENS1_30default_config_static_selectorELNS0_4arch9wavefront6targetE0EEEvSH_.numbered_sgpr, 0
	.set _ZN7rocprim17ROCPRIM_400000_NS6detail17trampoline_kernelINS0_14default_configENS1_36segmented_radix_sort_config_selectorIllEEZNS1_25segmented_radix_sort_implIS3_Lb1EPKlPlS8_S9_N2at6native12_GLOBAL__N_18offset_tEEE10hipError_tPvRmT1_PNSt15iterator_traitsISH_E10value_typeET2_T3_PNSI_ISN_E10value_typeET4_jRbjT5_ST_jjP12ihipStream_tbEUlT_E_NS1_11comp_targetILNS1_3genE8ELNS1_11target_archE1030ELNS1_3gpuE2ELNS1_3repE0EEENS1_30default_config_static_selectorELNS0_4arch9wavefront6targetE0EEEvSH_.num_named_barrier, 0
	.set _ZN7rocprim17ROCPRIM_400000_NS6detail17trampoline_kernelINS0_14default_configENS1_36segmented_radix_sort_config_selectorIllEEZNS1_25segmented_radix_sort_implIS3_Lb1EPKlPlS8_S9_N2at6native12_GLOBAL__N_18offset_tEEE10hipError_tPvRmT1_PNSt15iterator_traitsISH_E10value_typeET2_T3_PNSI_ISN_E10value_typeET4_jRbjT5_ST_jjP12ihipStream_tbEUlT_E_NS1_11comp_targetILNS1_3genE8ELNS1_11target_archE1030ELNS1_3gpuE2ELNS1_3repE0EEENS1_30default_config_static_selectorELNS0_4arch9wavefront6targetE0EEEvSH_.private_seg_size, 0
	.set _ZN7rocprim17ROCPRIM_400000_NS6detail17trampoline_kernelINS0_14default_configENS1_36segmented_radix_sort_config_selectorIllEEZNS1_25segmented_radix_sort_implIS3_Lb1EPKlPlS8_S9_N2at6native12_GLOBAL__N_18offset_tEEE10hipError_tPvRmT1_PNSt15iterator_traitsISH_E10value_typeET2_T3_PNSI_ISN_E10value_typeET4_jRbjT5_ST_jjP12ihipStream_tbEUlT_E_NS1_11comp_targetILNS1_3genE8ELNS1_11target_archE1030ELNS1_3gpuE2ELNS1_3repE0EEENS1_30default_config_static_selectorELNS0_4arch9wavefront6targetE0EEEvSH_.uses_vcc, 0
	.set _ZN7rocprim17ROCPRIM_400000_NS6detail17trampoline_kernelINS0_14default_configENS1_36segmented_radix_sort_config_selectorIllEEZNS1_25segmented_radix_sort_implIS3_Lb1EPKlPlS8_S9_N2at6native12_GLOBAL__N_18offset_tEEE10hipError_tPvRmT1_PNSt15iterator_traitsISH_E10value_typeET2_T3_PNSI_ISN_E10value_typeET4_jRbjT5_ST_jjP12ihipStream_tbEUlT_E_NS1_11comp_targetILNS1_3genE8ELNS1_11target_archE1030ELNS1_3gpuE2ELNS1_3repE0EEENS1_30default_config_static_selectorELNS0_4arch9wavefront6targetE0EEEvSH_.uses_flat_scratch, 0
	.set _ZN7rocprim17ROCPRIM_400000_NS6detail17trampoline_kernelINS0_14default_configENS1_36segmented_radix_sort_config_selectorIllEEZNS1_25segmented_radix_sort_implIS3_Lb1EPKlPlS8_S9_N2at6native12_GLOBAL__N_18offset_tEEE10hipError_tPvRmT1_PNSt15iterator_traitsISH_E10value_typeET2_T3_PNSI_ISN_E10value_typeET4_jRbjT5_ST_jjP12ihipStream_tbEUlT_E_NS1_11comp_targetILNS1_3genE8ELNS1_11target_archE1030ELNS1_3gpuE2ELNS1_3repE0EEENS1_30default_config_static_selectorELNS0_4arch9wavefront6targetE0EEEvSH_.has_dyn_sized_stack, 0
	.set _ZN7rocprim17ROCPRIM_400000_NS6detail17trampoline_kernelINS0_14default_configENS1_36segmented_radix_sort_config_selectorIllEEZNS1_25segmented_radix_sort_implIS3_Lb1EPKlPlS8_S9_N2at6native12_GLOBAL__N_18offset_tEEE10hipError_tPvRmT1_PNSt15iterator_traitsISH_E10value_typeET2_T3_PNSI_ISN_E10value_typeET4_jRbjT5_ST_jjP12ihipStream_tbEUlT_E_NS1_11comp_targetILNS1_3genE8ELNS1_11target_archE1030ELNS1_3gpuE2ELNS1_3repE0EEENS1_30default_config_static_selectorELNS0_4arch9wavefront6targetE0EEEvSH_.has_recursion, 0
	.set _ZN7rocprim17ROCPRIM_400000_NS6detail17trampoline_kernelINS0_14default_configENS1_36segmented_radix_sort_config_selectorIllEEZNS1_25segmented_radix_sort_implIS3_Lb1EPKlPlS8_S9_N2at6native12_GLOBAL__N_18offset_tEEE10hipError_tPvRmT1_PNSt15iterator_traitsISH_E10value_typeET2_T3_PNSI_ISN_E10value_typeET4_jRbjT5_ST_jjP12ihipStream_tbEUlT_E_NS1_11comp_targetILNS1_3genE8ELNS1_11target_archE1030ELNS1_3gpuE2ELNS1_3repE0EEENS1_30default_config_static_selectorELNS0_4arch9wavefront6targetE0EEEvSH_.has_indirect_call, 0
	.section	.AMDGPU.csdata,"",@progbits
; Kernel info:
; codeLenInByte = 0
; TotalNumSgprs: 0
; NumVgprs: 0
; ScratchSize: 0
; MemoryBound: 0
; FloatMode: 240
; IeeeMode: 1
; LDSByteSize: 0 bytes/workgroup (compile time only)
; SGPRBlocks: 0
; VGPRBlocks: 0
; NumSGPRsForWavesPerEU: 1
; NumVGPRsForWavesPerEU: 1
; NamedBarCnt: 0
; Occupancy: 16
; WaveLimiterHint : 0
; COMPUTE_PGM_RSRC2:SCRATCH_EN: 0
; COMPUTE_PGM_RSRC2:USER_SGPR: 2
; COMPUTE_PGM_RSRC2:TRAP_HANDLER: 0
; COMPUTE_PGM_RSRC2:TGID_X_EN: 1
; COMPUTE_PGM_RSRC2:TGID_Y_EN: 0
; COMPUTE_PGM_RSRC2:TGID_Z_EN: 0
; COMPUTE_PGM_RSRC2:TIDIG_COMP_CNT: 0
	.text
	.p2align	2                               ; -- Begin function _ZN7rocprim17ROCPRIM_400000_NS6detail26segmented_warp_sort_helperINS1_20WarpSortHelperConfigILj16ELj8ELj256EEEllLi256ELb1EvE4sortIPKlPlS8_S9_EEvT_T0_T1_T2_jjjjRNS5_12storage_typeE
	.type	_ZN7rocprim17ROCPRIM_400000_NS6detail26segmented_warp_sort_helperINS1_20WarpSortHelperConfigILj16ELj8ELj256EEEllLi256ELb1EvE4sortIPKlPlS8_S9_EEvT_T0_T1_T2_jjjjRNS5_12storage_typeE,@function
_ZN7rocprim17ROCPRIM_400000_NS6detail26segmented_warp_sort_helperINS1_20WarpSortHelperConfigILj16ELj8ELj256EEEllLi256ELb1EvE4sortIPKlPlS8_S9_EEvT_T0_T1_T2_jjjjRNS5_12storage_typeE: ; @_ZN7rocprim17ROCPRIM_400000_NS6detail26segmented_warp_sort_helperINS1_20WarpSortHelperConfigILj16ELj8ELj256EEEllLi256ELb1EvE4sortIPKlPlS8_S9_EEvT_T0_T1_T2_jjjjRNS5_12storage_typeE
; %bb.0:
	s_wait_loadcnt_dscnt 0x0
	s_wait_kmcnt 0x0
	v_mov_b32_e32 v12, v9
	v_mbcnt_lo_u32_b32 v9, -1, 0
	v_mov_b64_e32 v[18:19], 0x8000000000000000
	s_delay_alu instid0(VALU_DEP_2) | instskip(SKIP_1) | instid1(VALU_DEP_2)
	v_dual_lshlrev_b32 v70, 3, v9 :: v_dual_sub_nc_u32 v20, v12, v8
	v_mov_b64_e32 v[12:13], 0x8000000000000000
	v_and_b32_e32 v71, 0x78, v70
	v_mov_b32_e32 v9, 0
	s_delay_alu instid0(VALU_DEP_2) | instskip(NEXT) | instid1(VALU_DEP_2)
	v_cmp_lt_u32_e32 vcc_lo, v71, v20
	v_lshl_add_u64 v[14:15], v[8:9], 3, v[0:1]
	v_dual_mov_b32 v1, v9 :: v_dual_lshlrev_b32 v0, 3, v71
	s_delay_alu instid0(VALU_DEP_1)
	v_add_nc_u64_e32 v[16:17], v[14:15], v[0:1]
	s_and_saveexec_b32 s0, vcc_lo
	s_cbranch_execz .LBB710_2
; %bb.1:
	flat_load_b64 v[12:13], v[16:17]
.LBB710_2:
	s_wait_xcnt 0x0
	s_or_b32 exec_lo, exec_lo, s0
	v_or_b32_e32 v1, 1, v71
	s_delay_alu instid0(VALU_DEP_1)
	v_cmp_lt_u32_e64 s0, v1, v20
	s_and_saveexec_b32 s1, s0
	s_cbranch_execz .LBB710_4
; %bb.3:
	flat_load_b64 v[18:19], v[16:17] offset:8
.LBB710_4:
	s_wait_xcnt 0x0
	s_or_b32 exec_lo, exec_lo, s1
	v_or_b32_e32 v1, 2, v71
	v_mov_b64_e32 v[36:37], 0x8000000000000000
	v_mov_b64_e32 v[22:23], 0x8000000000000000
	s_delay_alu instid0(VALU_DEP_3)
	v_cmp_lt_u32_e64 s1, v1, v20
	s_and_saveexec_b32 s2, s1
	s_cbranch_execz .LBB710_6
; %bb.5:
	flat_load_b64 v[22:23], v[16:17] offset:16
.LBB710_6:
	s_wait_xcnt 0x0
	s_or_b32 exec_lo, exec_lo, s2
	v_or_b32_e32 v1, 3, v71
	s_delay_alu instid0(VALU_DEP_1)
	v_cmp_lt_u32_e64 s2, v1, v20
	s_and_saveexec_b32 s3, s2
	s_cbranch_execz .LBB710_8
; %bb.7:
	flat_load_b64 v[36:37], v[16:17] offset:24
.LBB710_8:
	s_wait_xcnt 0x0
	s_or_b32 exec_lo, exec_lo, s3
	v_or_b32_e32 v1, 4, v71
	v_mov_b64_e32 v[24:25], 0x8000000000000000
	v_mov_b64_e32 v[34:35], 0x8000000000000000
	s_delay_alu instid0(VALU_DEP_3)
	v_cmp_lt_u32_e64 s3, v1, v20
	s_and_saveexec_b32 s4, s3
	s_cbranch_execz .LBB710_10
; %bb.9:
	flat_load_b64 v[34:35], v[16:17] offset:32
.LBB710_10:
	;; [unrolled: 22-line block ×3, first 2 shown]
	s_wait_xcnt 0x0
	s_or_b32 exec_lo, exec_lo, s6
	v_or_b32_e32 v1, 7, v71
	s_delay_alu instid0(VALU_DEP_1)
	v_cmp_lt_u32_e64 s6, v1, v20
	s_and_saveexec_b32 s7, s6
	s_cbranch_execz .LBB710_16
; %bb.15:
	flat_load_b64 v[14:15], v[16:17] offset:56
.LBB710_16:
	s_wait_xcnt 0x0
	s_or_b32 exec_lo, exec_lo, s7
	v_lshl_add_u64 v[4:5], v[8:9], 3, v[4:5]
	v_mov_b32_e32 v1, 0
	; wave barrier
	s_delay_alu instid0(VALU_DEP_1)
	v_add_nc_u64_e32 v[52:53], v[4:5], v[0:1]
                                        ; implicit-def: $vgpr4_vgpr5
	s_and_saveexec_b32 s7, vcc_lo
	s_cbranch_execnz .LBB710_243
; %bb.17:
	s_or_b32 exec_lo, exec_lo, s7
	s_and_saveexec_b32 s7, s0
                                        ; implicit-def: $vgpr16_vgpr17
	s_cbranch_execnz .LBB710_244
.LBB710_18:
	s_or_b32 exec_lo, exec_lo, s7
                                        ; implicit-def: $vgpr20_vgpr21
	s_and_saveexec_b32 s7, s1
	s_cbranch_execnz .LBB710_245
.LBB710_19:
	s_or_b32 exec_lo, exec_lo, s7
	s_and_saveexec_b32 s7, s2
                                        ; implicit-def: $vgpr26_vgpr27
	s_cbranch_execnz .LBB710_246
.LBB710_20:
	s_or_b32 exec_lo, exec_lo, s7
                                        ; implicit-def: $vgpr32_vgpr33
	s_and_saveexec_b32 s7, s3
	s_cbranch_execnz .LBB710_247
.LBB710_21:
	s_or_b32 exec_lo, exec_lo, s7
	s_and_saveexec_b32 s7, s4
                                        ; implicit-def: $vgpr38_vgpr39
	s_cbranch_execnz .LBB710_248
.LBB710_22:
	s_or_b32 exec_lo, exec_lo, s7
                                        ; implicit-def: $vgpr28_vgpr29
	s_and_saveexec_b32 s7, s5
	s_cbranch_execnz .LBB710_249
.LBB710_23:
	s_or_b32 exec_lo, exec_lo, s7
	s_and_saveexec_b32 s7, s6
                                        ; implicit-def: $vgpr50_vgpr51
	s_cbranch_execz .LBB710_25
.LBB710_24:
	flat_load_b64 v[50:51], v[52:53] offset:56
.LBB710_25:
	s_wait_xcnt 0x0
	s_or_b32 exec_lo, exec_lo, s7
	v_cmp_ne_u32_e64 s7, 0, v10
	v_cmp_ne_u32_e64 s10, 64, v11
	v_bfe_u32 v30, v31, 10, 10
	v_bfe_u32 v52, v31, 20, 10
	v_and_b32_e32 v1, 0x3ff, v31
	s_mov_b32 s11, 0
	s_or_b32 s7, s7, s10
	s_getreg_b32 s19, hwreg(HW_REG_IB_STS2, 6, 4)
	; wave barrier
	s_and_saveexec_b32 s10, s7
	s_delay_alu instid0(SALU_CYCLE_1)
	s_xor_b32 s20, exec_lo, s10
	s_cbranch_execz .LBB710_125
; %bb.26:
	s_load_b64 s[12:13], s[8:9], 0x0
	s_bfe_u32 s10, ttmp6, 0x4000c
	s_bfe_u32 s15, ttmp6, 0x40010
	s_and_b32 s14, ttmp7, 0xffff
	s_add_co_i32 s10, s10, 1
	s_add_co_i32 s15, s15, 1
	s_and_b32 s7, ttmp6, 15
	s_bfe_u32 s16, ttmp6, 0x40004
	s_mul_i32 s10, ttmp9, s10
	s_mul_i32 s15, s14, s15
	s_add_co_i32 s7, s7, s10
	s_add_co_i32 s16, s16, s15
	s_cmp_eq_u32 s19, 0
	s_cselect_b32 s7, ttmp9, s7
	s_cselect_b32 s14, s14, s16
	s_wait_kmcnt 0x0
	s_cmp_lt_u32 s7, s12
	s_cselect_b32 s10, 12, 18
	s_cmp_lt_u32 s14, s13
	s_mov_b32 s13, s11
	s_cselect_b32 s12, 14, 20
	s_add_nc_u64 s[10:11], s[8:9], s[10:11]
	s_add_nc_u64 s[12:13], s[8:9], s[12:13]
	s_clause 0x1
	s_load_u16 s10, s[10:11], 0x0
	s_nop 0
	s_load_u16 s7, s[12:13], 0x0
	s_wait_kmcnt 0x0
	v_mad_u32_u24 v30, v52, s7, v30
	v_lshlrev_b64_e64 v[52:53], v10, -1
	s_delay_alu instid0(VALU_DEP_2) | instskip(SKIP_2) | instid1(VALU_DEP_1)
	v_mul_lo_u32 v54, v30, s10
	v_lshlrev_b64_e64 v[30:31], v11, -1
	s_mov_b32 s10, exec_lo
	v_xor_b32_e32 v10, v30, v52
	s_delay_alu instid0(VALU_DEP_3) | instskip(NEXT) | instid1(VALU_DEP_3)
	v_add_lshl_u32 v11, v54, v1, 3
	v_xor_b32_e32 v1, v31, v53
	s_delay_alu instid0(VALU_DEP_2)
	v_cmpx_gt_u32_e32 0x800, v11
	s_cbranch_execz .LBB710_84
; %bb.27:
	s_wait_loadcnt_dscnt 0x0
	s_delay_alu instid0(VALU_DEP_2) | instskip(SKIP_3) | instid1(VALU_DEP_1)
	v_and_b32_e32 v31, v19, v1
	v_and_b32_e32 v30, v18, v10
	;; [unrolled: 1-line block ×4, first 2 shown]
	v_cmp_gt_u64_e64 s7, v[30:31], v[52:53]
	v_mov_b64_e32 v[30:31], v[18:19]
	v_mov_b64_e32 v[52:53], v[16:17]
	s_and_saveexec_b32 s11, s7
; %bb.28:
	v_mov_b64_e32 v[30:31], v[12:13]
	v_mov_b64_e32 v[12:13], v[18:19]
	;; [unrolled: 1-line block ×4, first 2 shown]
; %bb.29:
	s_or_b32 exec_lo, exec_lo, s11
	v_mov_b64_e32 v[66:67], v[36:37]
	v_mov_b64_e32 v[54:55], v[26:27]
	v_and_b32_e32 v17, v37, v1
	v_and_b32_e32 v16, v36, v10
	;; [unrolled: 1-line block ×4, first 2 shown]
	s_mov_b32 s11, exec_lo
	s_delay_alu instid0(VALU_DEP_1)
	v_cmpx_gt_u64_e64 v[16:17], v[18:19]
; %bb.30:
	v_mov_b64_e32 v[66:67], v[22:23]
	v_mov_b64_e32 v[22:23], v[36:37]
	;; [unrolled: 1-line block ×4, first 2 shown]
; %bb.31:
	s_or_b32 exec_lo, exec_lo, s11
	v_and_b32_e32 v17, v25, v1
	v_and_b32_e32 v16, v24, v10
	;; [unrolled: 1-line block ×4, first 2 shown]
	v_mov_b64_e32 v[64:65], v[34:35]
	s_delay_alu instid0(VALU_DEP_2)
	v_cmp_gt_u64_e64 s7, v[16:17], v[18:19]
	v_mov_b64_e32 v[18:19], v[38:39]
	s_and_saveexec_b32 s11, s7
; %bb.32:
	v_mov_b64_e32 v[18:19], v[32:33]
	v_mov_b64_e32 v[32:33], v[38:39]
	;; [unrolled: 1-line block ×4, first 2 shown]
; %bb.33:
	s_or_b32 exec_lo, exec_lo, s11
	v_and_b32_e32 v17, v15, v1
	v_and_b32_e32 v16, v14, v10
	;; [unrolled: 1-line block ×4, first 2 shown]
	v_mov_b64_e32 v[34:35], v[48:49]
	s_delay_alu instid0(VALU_DEP_2)
	v_cmp_gt_u64_e64 s7, v[16:17], v[26:27]
	v_mov_b64_e32 v[16:17], v[50:51]
	s_and_saveexec_b32 s11, s7
; %bb.34:
	v_mov_b64_e32 v[16:17], v[28:29]
	v_mov_b64_e32 v[28:29], v[50:51]
	;; [unrolled: 1-line block ×4, first 2 shown]
; %bb.35:
	s_or_b32 exec_lo, exec_lo, s11
	v_and_b32_e32 v27, v23, v1
	v_and_b32_e32 v26, v22, v10
	;; [unrolled: 1-line block ×4, first 2 shown]
	s_delay_alu instid0(VALU_DEP_1) | instskip(SKIP_3) | instid1(SALU_CYCLE_1)
	v_cmp_gt_u64_e64 s7, v[26:27], v[36:37]
	v_mov_b64_e32 v[26:27], v[22:23]
	v_mov_b64_e32 v[36:37], v[20:21]
	s_and_saveexec_b32 s11, s7
	s_xor_b32 s7, exec_lo, s11
; %bb.36:
	v_mov_b64_e32 v[26:27], v[30:31]
	v_mov_b64_e32 v[30:31], v[22:23]
	v_mov_b64_e32 v[36:37], v[52:53]
	v_mov_b64_e32 v[52:53], v[20:21]
; %bb.37:
	s_or_b32 exec_lo, exec_lo, s7
	v_mov_b64_e32 v[68:69], v[66:67]
	v_mov_b64_e32 v[38:39], v[32:33]
	v_and_b32_e32 v21, v65, v1
	v_and_b32_e32 v20, v64, v10
	;; [unrolled: 1-line block ×4, first 2 shown]
	s_mov_b32 s11, exec_lo
	s_delay_alu instid0(VALU_DEP_1)
	v_cmpx_gt_u64_e64 v[20:21], v[22:23]
; %bb.38:
	v_mov_b64_e32 v[68:69], v[64:65]
	v_mov_b64_e32 v[38:39], v[54:55]
	;; [unrolled: 1-line block ×4, first 2 shown]
; %bb.39:
	s_or_b32 exec_lo, exec_lo, s11
	v_and_b32_e32 v21, v35, v1
	v_and_b32_e32 v20, v34, v10
	;; [unrolled: 1-line block ×4, first 2 shown]
	v_mov_b64_e32 v[32:33], v[24:25]
	s_delay_alu instid0(VALU_DEP_2)
	v_cmp_gt_u64_e64 s7, v[20:21], v[22:23]
	v_mov_b64_e32 v[20:21], v[28:29]
	s_and_saveexec_b32 s11, s7
; %bb.40:
	v_mov_b64_e32 v[20:21], v[18:19]
	v_mov_b64_e32 v[18:19], v[28:29]
	;; [unrolled: 1-line block ×4, first 2 shown]
; %bb.41:
	s_or_b32 exec_lo, exec_lo, s11
	v_and_b32_e32 v23, v31, v1
	v_and_b32_e32 v22, v30, v10
	;; [unrolled: 1-line block ×4, first 2 shown]
	v_mov_b64_e32 v[48:49], v[52:53]
	s_delay_alu instid0(VALU_DEP_2)
	v_cmp_gt_u64_e64 s7, v[22:23], v[24:25]
	v_mov_b64_e32 v[22:23], v[30:31]
	s_and_saveexec_b32 s11, s7
; %bb.42:
	v_mov_b64_e32 v[22:23], v[12:13]
	v_mov_b64_e32 v[12:13], v[30:31]
	;; [unrolled: 1-line block ×4, first 2 shown]
; %bb.43:
	s_or_b32 exec_lo, exec_lo, s11
	v_mov_b64_e32 v[30:31], v[68:69]
	v_mov_b64_e32 v[50:51], v[54:55]
	v_and_b32_e32 v25, v69, v1
	v_and_b32_e32 v24, v68, v10
	;; [unrolled: 1-line block ×4, first 2 shown]
	s_mov_b32 s11, exec_lo
	s_delay_alu instid0(VALU_DEP_1)
	v_cmpx_gt_u64_e64 v[24:25], v[28:29]
; %bb.44:
	v_mov_b64_e32 v[30:31], v[26:27]
	v_mov_b64_e32 v[26:27], v[68:69]
	v_mov_b64_e32 v[50:51], v[36:37]
	v_mov_b64_e32 v[36:37], v[54:55]
; %bb.45:
	s_or_b32 exec_lo, exec_lo, s11
	v_and_b32_e32 v25, v33, v1
	v_and_b32_e32 v24, v32, v10
	v_and_b32_e32 v29, v65, v1
	v_and_b32_e32 v28, v64, v10
	v_mov_b64_e32 v[66:67], v[64:65]
	s_delay_alu instid0(VALU_DEP_2)
	v_cmp_gt_u64_e64 s7, v[24:25], v[28:29]
	v_mov_b64_e32 v[24:25], v[18:19]
	s_and_saveexec_b32 s11, s7
; %bb.46:
	v_mov_b64_e32 v[24:25], v[38:39]
	v_mov_b64_e32 v[38:39], v[18:19]
	v_mov_b64_e32 v[66:67], v[32:33]
	v_mov_b64_e32 v[32:33], v[64:65]
; %bb.47:
	s_or_b32 exec_lo, exec_lo, s11
	v_and_b32_e32 v19, v15, v1
	v_and_b32_e32 v18, v14, v10
	v_and_b32_e32 v29, v35, v1
	v_and_b32_e32 v28, v34, v10
	v_mov_b64_e32 v[52:53], v[34:35]
	s_delay_alu instid0(VALU_DEP_2)
	v_cmp_gt_u64_e64 s7, v[18:19], v[28:29]
	v_mov_b64_e32 v[18:19], v[16:17]
	s_and_saveexec_b32 s11, s7
; %bb.48:
	v_mov_b64_e32 v[18:19], v[20:21]
	v_mov_b64_e32 v[20:21], v[16:17]
	v_mov_b64_e32 v[52:53], v[14:15]
	v_mov_b64_e32 v[14:15], v[34:35]
; %bb.49:
	s_or_b32 exec_lo, exec_lo, s11
	v_and_b32_e32 v17, v27, v1
	v_and_b32_e32 v16, v26, v10
	v_and_b32_e32 v29, v23, v1
	v_and_b32_e32 v28, v22, v10
	v_mov_b64_e32 v[34:35], v[36:37]
	s_delay_alu instid0(VALU_DEP_2)
	v_cmp_gt_u64_e64 s7, v[16:17], v[28:29]
	v_mov_b64_e32 v[16:17], v[26:27]
	s_and_saveexec_b32 s11, s7
; %bb.50:
	v_mov_b64_e32 v[16:17], v[22:23]
	v_mov_b64_e32 v[22:23], v[26:27]
	v_mov_b64_e32 v[34:35], v[48:49]
	v_mov_b64_e32 v[48:49], v[36:37]
; %bb.51:
	s_or_b32 exec_lo, exec_lo, s11
	v_and_b32_e32 v27, v67, v1
	v_and_b32_e32 v26, v66, v10
	v_and_b32_e32 v29, v31, v1
	v_and_b32_e32 v28, v30, v10
	v_mov_b64_e32 v[64:65], v[30:31]
	s_delay_alu instid0(VALU_DEP_2)
	v_cmp_gt_u64_e64 s7, v[26:27], v[28:29]
	v_mov_b64_e32 v[28:29], v[38:39]
	s_and_saveexec_b32 s11, s7
; %bb.52:
	v_mov_b64_e32 v[64:65], v[66:67]
	v_mov_b64_e32 v[28:29], v[50:51]
	v_mov_b64_e32 v[50:51], v[38:39]
	v_mov_b64_e32 v[66:67], v[30:31]
; %bb.53:
	s_or_b32 exec_lo, exec_lo, s11
	v_and_b32_e32 v27, v53, v1
	v_and_b32_e32 v26, v52, v10
	v_and_b32_e32 v31, v33, v1
	v_and_b32_e32 v30, v32, v10
	v_mov_b64_e32 v[36:37], v[32:33]
	s_delay_alu instid0(VALU_DEP_2)
	v_cmp_gt_u64_e64 s7, v[26:27], v[30:31]
	v_mov_b64_e32 v[26:27], v[20:21]
	s_and_saveexec_b32 s11, s7
; %bb.54:
	v_mov_b64_e32 v[26:27], v[24:25]
	v_mov_b64_e32 v[24:25], v[20:21]
	v_mov_b64_e32 v[36:37], v[52:53]
	v_mov_b64_e32 v[52:53], v[32:33]
; %bb.55:
	s_or_b32 exec_lo, exec_lo, s11
	v_and_b32_e32 v21, v23, v1
	v_and_b32_e32 v20, v22, v10
	v_and_b32_e32 v31, v13, v1
	v_and_b32_e32 v30, v12, v10
	v_mov_b64_e32 v[54:55], v[48:49]
	s_delay_alu instid0(VALU_DEP_2)
	v_cmp_gt_u64_e64 s7, v[20:21], v[30:31]
	v_mov_b64_e32 v[30:31], v[22:23]
	s_and_saveexec_b32 s11, s7
; %bb.56:
	v_mov_b64_e32 v[30:31], v[12:13]
	v_mov_b64_e32 v[12:13], v[22:23]
	;; [unrolled: 1-line block ×4, first 2 shown]
; %bb.57:
	s_or_b32 exec_lo, exec_lo, s11
	v_mov_b64_e32 v[68:69], v[64:65]
	v_mov_b64_e32 v[48:49], v[50:51]
	v_and_b32_e32 v21, v65, v1
	v_and_b32_e32 v20, v64, v10
	;; [unrolled: 1-line block ×4, first 2 shown]
	s_mov_b32 s11, exec_lo
	s_delay_alu instid0(VALU_DEP_1)
	v_cmpx_gt_u64_e64 v[20:21], v[22:23]
; %bb.58:
	v_mov_b64_e32 v[68:69], v[16:17]
	v_mov_b64_e32 v[16:17], v[64:65]
	;; [unrolled: 1-line block ×4, first 2 shown]
; %bb.59:
	s_or_b32 exec_lo, exec_lo, s11
	v_and_b32_e32 v21, v37, v1
	v_and_b32_e32 v20, v36, v10
	;; [unrolled: 1-line block ×4, first 2 shown]
	v_mov_b64_e32 v[50:51], v[66:67]
	s_delay_alu instid0(VALU_DEP_2)
	v_cmp_gt_u64_e64 s7, v[20:21], v[22:23]
	v_mov_b64_e32 v[22:23], v[24:25]
	s_and_saveexec_b32 s11, s7
; %bb.60:
	v_mov_b64_e32 v[22:23], v[28:29]
	v_mov_b64_e32 v[28:29], v[24:25]
	;; [unrolled: 1-line block ×4, first 2 shown]
; %bb.61:
	s_or_b32 exec_lo, exec_lo, s11
	v_and_b32_e32 v21, v15, v1
	v_and_b32_e32 v20, v14, v10
	;; [unrolled: 1-line block ×4, first 2 shown]
	v_mov_b64_e32 v[64:65], v[52:53]
	s_delay_alu instid0(VALU_DEP_2)
	v_cmp_gt_u64_e64 s7, v[20:21], v[24:25]
	v_mov_b64_e32 v[20:21], v[18:19]
	s_and_saveexec_b32 s11, s7
; %bb.62:
	v_mov_b64_e32 v[20:21], v[26:27]
	v_mov_b64_e32 v[26:27], v[18:19]
	v_mov_b64_e32 v[64:65], v[14:15]
	v_mov_b64_e32 v[14:15], v[52:53]
; %bb.63:
	s_or_b32 exec_lo, exec_lo, s11
	v_mov_b64_e32 v[32:33], v[16:17]
	v_mov_b64_e32 v[52:53], v[34:35]
	v_and_b32_e32 v19, v17, v1
	v_and_b32_e32 v18, v16, v10
	v_and_b32_e32 v25, v31, v1
	v_and_b32_e32 v24, v30, v10
	s_mov_b32 s11, exec_lo
	s_delay_alu instid0(VALU_DEP_1)
	v_cmpx_gt_u64_e64 v[18:19], v[24:25]
; %bb.64:
	v_mov_b64_e32 v[32:33], v[30:31]
	v_mov_b64_e32 v[30:31], v[16:17]
	v_mov_b64_e32 v[52:53], v[54:55]
	v_mov_b64_e32 v[54:55], v[34:35]
; %bb.65:
	s_or_b32 exec_lo, exec_lo, s11
	v_mov_b64_e32 v[34:35], v[68:69]
	v_mov_b64_e32 v[38:39], v[28:29]
	v_and_b32_e32 v17, v51, v1
	v_and_b32_e32 v16, v50, v10
	v_and_b32_e32 v19, v69, v1
	v_and_b32_e32 v18, v68, v10
	s_mov_b32 s11, exec_lo
	s_delay_alu instid0(VALU_DEP_1)
	v_cmpx_gt_u64_e64 v[16:17], v[18:19]
	;; [unrolled: 16-line block ×3, first 2 shown]
; %bb.68:
	v_mov_b64_e32 v[28:29], v[22:23]
	v_mov_b64_e32 v[22:23], v[26:27]
	;; [unrolled: 1-line block ×4, first 2 shown]
; %bb.69:
	s_or_b32 exec_lo, exec_lo, s11
	v_and_b32_e32 v17, v31, v1
	v_and_b32_e32 v16, v30, v10
	;; [unrolled: 1-line block ×4, first 2 shown]
	s_delay_alu instid0(VALU_DEP_1)
	v_cmp_gt_u64_e64 s7, v[16:17], v[18:19]
	v_mov_b64_e32 v[18:19], v[30:31]
	v_mov_b64_e32 v[16:17], v[54:55]
	s_and_saveexec_b32 s11, s7
; %bb.70:
	v_mov_b64_e32 v[18:19], v[12:13]
	v_mov_b64_e32 v[12:13], v[30:31]
	;; [unrolled: 1-line block ×4, first 2 shown]
; %bb.71:
	s_or_b32 exec_lo, exec_lo, s11
	v_and_b32_e32 v27, v35, v1
	v_and_b32_e32 v26, v34, v10
	;; [unrolled: 1-line block ×4, first 2 shown]
	s_delay_alu instid0(VALU_DEP_1)
	v_cmp_gt_u64_e64 s7, v[26:27], v[30:31]
	v_mov_b64_e32 v[30:31], v[34:35]
	v_mov_b64_e32 v[26:27], v[48:49]
	s_and_saveexec_b32 s11, s7
; %bb.72:
	v_mov_b64_e32 v[30:31], v[32:33]
	v_mov_b64_e32 v[32:33], v[34:35]
	;; [unrolled: 1-line block ×4, first 2 shown]
; %bb.73:
	s_or_b32 exec_lo, exec_lo, s11
	v_and_b32_e32 v35, v25, v1
	v_and_b32_e32 v34, v24, v10
	;; [unrolled: 1-line block ×4, first 2 shown]
	v_mov_b64_e32 v[54:55], v[22:23]
	s_delay_alu instid0(VALU_DEP_2)
	v_cmp_gt_u64_e64 s7, v[34:35], v[36:37]
	v_mov_b64_e32 v[34:35], v[50:51]
	s_and_saveexec_b32 s11, s7
; %bb.74:
	v_mov_b64_e32 v[54:55], v[38:39]
	v_mov_b64_e32 v[38:39], v[22:23]
	;; [unrolled: 1-line block ×4, first 2 shown]
; %bb.75:
	s_or_b32 exec_lo, exec_lo, s11
	v_mov_b64_e32 v[50:51], v[20:21]
	v_mov_b64_e32 v[66:67], v[64:65]
	v_and_b32_e32 v23, v15, v1
	v_and_b32_e32 v22, v14, v10
	v_and_b32_e32 v37, v65, v1
	v_and_b32_e32 v36, v64, v10
	s_mov_b32 s11, exec_lo
	s_delay_alu instid0(VALU_DEP_1)
	v_cmpx_gt_u64_e64 v[22:23], v[36:37]
; %bb.76:
	v_mov_b64_e32 v[50:51], v[28:29]
	v_mov_b64_e32 v[28:29], v[20:21]
	;; [unrolled: 1-line block ×4, first 2 shown]
; %bb.77:
	s_or_b32 exec_lo, exec_lo, s11
	v_and_b32_e32 v21, v33, v1
	v_and_b32_e32 v20, v32, v10
	;; [unrolled: 1-line block ×4, first 2 shown]
	s_delay_alu instid0(VALU_DEP_1)
	v_cmp_gt_u64_e64 s7, v[20:21], v[22:23]
	v_mov_b64_e32 v[22:23], v[32:33]
	v_mov_b64_e32 v[20:21], v[52:53]
	s_and_saveexec_b32 s11, s7
; %bb.78:
	v_mov_b64_e32 v[22:23], v[18:19]
	v_mov_b64_e32 v[18:19], v[32:33]
	;; [unrolled: 1-line block ×4, first 2 shown]
; %bb.79:
	s_or_b32 exec_lo, exec_lo, s11
	v_and_b32_e32 v33, v35, v1
	v_and_b32_e32 v32, v34, v10
	;; [unrolled: 1-line block ×4, first 2 shown]
	s_delay_alu instid0(VALU_DEP_1)
	v_cmp_gt_u64_e64 s7, v[32:33], v[36:37]
	v_mov_b64_e32 v[36:37], v[30:31]
	v_mov_b64_e32 v[32:33], v[38:39]
	s_and_saveexec_b32 s11, s7
; %bb.80:
	v_mov_b64_e32 v[36:37], v[34:35]
	v_mov_b64_e32 v[32:33], v[26:27]
	v_mov_b64_e32 v[26:27], v[38:39]
	v_mov_b64_e32 v[34:35], v[30:31]
; %bb.81:
	s_or_b32 exec_lo, exec_lo, s11
	v_and_b32_e32 v31, v67, v1
	v_and_b32_e32 v30, v66, v10
	;; [unrolled: 1-line block ×4, first 2 shown]
	v_mov_b64_e32 v[48:49], v[66:67]
	s_delay_alu instid0(VALU_DEP_2)
	v_cmp_gt_u64_e64 s7, v[30:31], v[38:39]
	v_mov_b64_e32 v[38:39], v[54:55]
	s_and_saveexec_b32 s11, s7
; %bb.82:
	v_mov_b64_e32 v[48:49], v[24:25]
	v_mov_b64_e32 v[24:25], v[66:67]
	;; [unrolled: 1-line block ×4, first 2 shown]
; %bb.83:
	s_or_b32 exec_lo, exec_lo, s11
.LBB710_84:
	s_delay_alu instid0(SALU_CYCLE_1) | instskip(SKIP_4) | instid1(VALU_DEP_3)
	s_or_b32 exec_lo, exec_lo, s10
	v_and_b32_e32 v11, 0xffffff00, v11
	v_or_b32_e32 v30, 8, v70
	v_and_b32_e32 v68, 0xf0, v70
	s_mov_b32 s10, exec_lo
	v_sub_nc_u32_e64 v31, 0x800, v11 clamp
	v_lshlrev_b32_e32 v11, 3, v11
	s_delay_alu instid0(VALU_DEP_2) | instskip(NEXT) | instid1(VALU_DEP_2)
	v_min_u32_e32 v64, v31, v30
	v_lshl_or_b32 v30, v70, 3, v11
	s_wait_loadcnt_dscnt 0x0
	ds_store_2addr_b64 v30, v[12:13], v[18:19] offset1:1
	ds_store_2addr_b64 v30, v[22:23], v[36:37] offset0:2 offset1:3
	v_add_min_u32_e64 v65, v64, 8, v31
	v_dual_sub_nc_u32 v67, v64, v68 :: v_dual_bitop2_b32 v52, 8, v70 bitop3:0x40
	v_add_nc_u32_e32 v53, 0x4010, v30
	v_add_nc_u32_e32 v54, 0x4020, v30
	s_delay_alu instid0(VALU_DEP_4) | instskip(NEXT) | instid1(VALU_DEP_4)
	v_sub_nc_u32_e32 v55, v65, v64
	v_min_u32_e32 v69, v31, v52
	v_add_nc_u32_e32 v52, 0x4000, v30
	ds_store_2addr_b64 v52, v[4:5], v[16:17] offset1:1
	ds_store_2addr_b64 v53, v[20:21], v[26:27] offset1:1
	v_sub_nc_u32_e64 v66, v69, v55 clamp
	v_min_u32_e32 v80, v69, v67
	v_add_nc_u32_e32 v55, 0x4030, v30
	v_lshl_or_b32 v67, v68, 3, v11
	ds_store_2addr_b64 v30, v[34:35], v[24:25] offset0:4 offset1:5
	ds_store_2addr_b64 v30, v[48:49], v[14:15] offset0:6 offset1:7
	ds_store_2addr_b64 v54, v[32:33], v[38:39] offset1:1
	ds_store_2addr_b64 v55, v[28:29], v[50:51] offset1:1
	; wave barrier
	v_cmpx_lt_u32_e64 v66, v80
	s_cbranch_execz .LBB710_88
; %bb.85:
	v_dual_lshlrev_b32 v81, 3, v64 :: v_dual_lshlrev_b32 v82, 3, v69
	s_mov_b32 s11, 0
	s_delay_alu instid0(VALU_DEP_1)
	v_add3_u32 v81, v11, v81, v82
.LBB710_86:                             ; =>This Inner Loop Header: Depth=1
	v_add_nc_u32_e32 v82, v80, v66
	s_delay_alu instid0(VALU_DEP_1) | instskip(NEXT) | instid1(VALU_DEP_1)
	v_lshrrev_b32_e32 v86, 1, v82
	v_not_b32_e32 v82, v86
	v_lshl_add_u32 v83, v86, 3, v67
	s_delay_alu instid0(VALU_DEP_2)
	v_lshl_add_u32 v84, v82, 3, v81
	ds_load_b64 v[82:83], v83
	ds_load_b64 v[84:85], v84
	s_wait_dscnt 0x1
	v_and_b32_e32 v83, v83, v1
	v_and_b32_e32 v82, v82, v10
	s_wait_dscnt 0x0
	v_and_b32_e32 v85, v85, v1
	v_and_b32_e32 v84, v84, v10
	s_delay_alu instid0(VALU_DEP_1) | instskip(NEXT) | instid1(VALU_DEP_1)
	v_cmp_gt_u64_e64 s7, v[84:85], v[82:83]
	v_dual_add_nc_u32 v82, 1, v86 :: v_dual_cndmask_b32 v80, v80, v86, s7
	s_delay_alu instid0(VALU_DEP_1) | instskip(NEXT) | instid1(VALU_DEP_1)
	v_cndmask_b32_e64 v66, v82, v66, s7
	v_cmp_ge_u32_e64 s7, v66, v80
	s_or_b32 s11, s7, s11
	s_delay_alu instid0(SALU_CYCLE_1)
	s_and_not1_b32 exec_lo, exec_lo, s11
	s_cbranch_execnz .LBB710_86
; %bb.87:
	s_or_b32 exec_lo, exec_lo, s11
.LBB710_88:
	s_delay_alu instid0(SALU_CYCLE_1) | instskip(SKIP_1) | instid1(VALU_DEP_1)
	s_or_b32 exec_lo, exec_lo, s10
	v_dual_add_nc_u32 v69, v64, v69 :: v_dual_add_nc_u32 v68, v66, v68
	v_sub_nc_u32_e32 v69, v69, v66
	s_delay_alu instid0(VALU_DEP_2) | instskip(NEXT) | instid1(VALU_DEP_2)
	v_cmp_le_u32_e64 s7, v68, v64
	v_cmp_le_u32_e64 s10, v69, v65
	s_or_b32 s7, s7, s10
	s_delay_alu instid0(SALU_CYCLE_1)
	s_and_saveexec_b32 s12, s7
	s_cbranch_execz .LBB710_94
; %bb.89:
	v_cmp_lt_u32_e64 s7, v68, v64
                                        ; implicit-def: $vgpr14_vgpr15
	s_and_saveexec_b32 s10, s7
; %bb.90:
	v_lshl_add_u32 v4, v66, 3, v67
	ds_load_b64 v[14:15], v4
; %bb.91:
	s_or_b32 exec_lo, exec_lo, s10
	v_cmp_ge_u32_e64 s10, v69, v65
	s_mov_b32 s13, exec_lo
                                        ; implicit-def: $vgpr16_vgpr17
	v_cmpx_lt_u32_e64 v69, v65
; %bb.92:
	v_lshl_add_u32 v4, v69, 3, v11
	ds_load_b64 v[16:17], v4
; %bb.93:
	s_or_b32 exec_lo, exec_lo, s13
	s_wait_dscnt 0x0
	v_and_b32_e32 v5, v17, v1
	v_and_b32_e32 v4, v16, v10
	;; [unrolled: 1-line block ×4, first 2 shown]
	s_delay_alu instid0(VALU_DEP_1) | instskip(SKIP_1) | instid1(SALU_CYCLE_1)
	v_cmp_le_u64_e64 s11, v[4:5], v[12:13]
	s_and_b32 s7, s7, s11
	s_or_b32 s7, s10, s7
	s_delay_alu instid0(SALU_CYCLE_1) | instskip(SKIP_1) | instid1(VALU_DEP_2)
	v_cndmask_b32_e64 v18, v69, v68, s7
	v_cndmask_b32_e64 v19, v65, v64, s7
	v_dual_cndmask_b32 v13, v17, v15, s7 :: v_dual_add_nc_u32 v20, 1, v18
	v_lshl_add_u32 v4, v18, 3, v11
	s_delay_alu instid0(VALU_DEP_2)
	v_add_min_u32_e64 v18, v19, -1, v20
	ds_load_b64 v[4:5], v4 offset:16384
	v_lshl_add_u32 v18, v18, 3, v11
	ds_load_b64 v[18:19], v18
	s_wait_dscnt 0x0
	v_dual_cndmask_b32 v12, v16, v14, s7 :: v_dual_cndmask_b32 v22, v18, v16, s7
	v_cndmask_b32_e64 v21, v19, v17, s7
	v_dual_cndmask_b32 v23, v15, v19, s7 :: v_dual_cndmask_b32 v24, v14, v18, s7
	v_cndmask_b32_e64 v25, v20, v69, s7
	s_delay_alu instid0(VALU_DEP_3) | instskip(SKIP_1) | instid1(VALU_DEP_4)
	v_dual_cndmask_b32 v20, v68, v20, s7 :: v_dual_bitop2_b32 v15, v21, v1 bitop3:0x40
	v_and_b32_e32 v14, v22, v10
	v_and_b32_e32 v17, v23, v1
	;; [unrolled: 1-line block ×3, first 2 shown]
	s_delay_alu instid0(VALU_DEP_4) | instskip(SKIP_1) | instid1(VALU_DEP_3)
	v_cmp_lt_u32_e64 s10, v20, v64
	v_cmp_ge_u32_e64 s7, v25, v65
	v_cmp_le_u64_e64 s11, v[14:15], v[16:17]
	s_and_b32 s10, s10, s11
	s_delay_alu instid0(SALU_CYCLE_1) | instskip(NEXT) | instid1(SALU_CYCLE_1)
	s_or_b32 s7, s7, s10
	v_cndmask_b32_e64 v14, v25, v20, s7
	v_cndmask_b32_e64 v15, v65, v64, s7
	v_dual_cndmask_b32 v18, v22, v24, s7 :: v_dual_cndmask_b32 v19, v21, v23, s7
	s_delay_alu instid0(VALU_DEP_3) | instskip(SKIP_1) | instid1(VALU_DEP_2)
	v_add_nc_u32_e32 v26, 1, v14
	v_lshl_add_u32 v16, v14, 3, v11
	v_add_min_u32_e64 v14, v15, -1, v26
	ds_load_b64 v[16:17], v16 offset:16384
	v_dual_cndmask_b32 v25, v26, v25, s7 :: v_dual_cndmask_b32 v26, v20, v26, s7
	v_lshl_add_u32 v14, v14, 3, v11
	s_delay_alu instid0(VALU_DEP_2)
	v_cmp_lt_u32_e64 s10, v26, v64
	ds_load_b64 v[14:15], v14
	s_wait_dscnt 0x0
	v_dual_cndmask_b32 v27, v15, v21, s7 :: v_dual_cndmask_b32 v28, v14, v22, s7
	v_dual_cndmask_b32 v29, v23, v15, s7 :: v_dual_cndmask_b32 v24, v24, v14, s7
	v_cmp_ge_u32_e64 s7, v25, v65
	s_delay_alu instid0(VALU_DEP_3) | instskip(NEXT) | instid1(VALU_DEP_4)
	v_and_b32_e32 v15, v27, v1
	v_and_b32_e32 v14, v28, v10
	s_delay_alu instid0(VALU_DEP_4) | instskip(SKIP_1) | instid1(VALU_DEP_1)
	v_and_b32_e32 v21, v29, v1
	v_and_b32_e32 v20, v24, v10
	v_cmp_le_u64_e64 s11, v[14:15], v[20:21]
	s_and_b32 s10, s10, s11
	s_delay_alu instid0(SALU_CYCLE_1) | instskip(NEXT) | instid1(SALU_CYCLE_1)
	s_or_b32 s7, s7, s10
	v_cndmask_b32_e64 v14, v25, v26, s7
	v_dual_cndmask_b32 v15, v65, v64, s7 :: v_dual_cndmask_b32 v23, v27, v29, s7
	s_delay_alu instid0(VALU_DEP_2) | instskip(SKIP_1) | instid1(VALU_DEP_2)
	v_dual_cndmask_b32 v22, v28, v24, s7 :: v_dual_add_nc_u32 v32, 1, v14
	v_lshl_add_u32 v20, v14, 3, v11
	v_add_min_u32_e64 v14, v15, -1, v32
	ds_load_b64 v[20:21], v20 offset:16384
	v_lshl_add_u32 v14, v14, 3, v11
	ds_load_b64 v[14:15], v14
	s_wait_dscnt 0x0
	v_dual_cndmask_b32 v33, v15, v27, s7 :: v_dual_cndmask_b32 v28, v14, v28, s7
	v_dual_cndmask_b32 v29, v29, v15, s7 :: v_dual_cndmask_b32 v34, v24, v14, s7
	;; [unrolled: 1-line block ×3, first 2 shown]
	s_delay_alu instid0(VALU_DEP_3) | instskip(NEXT) | instid1(VALU_DEP_3)
	v_and_b32_e32 v14, v28, v10
	v_and_b32_e32 v25, v29, v1
	s_delay_alu instid0(VALU_DEP_4) | instskip(SKIP_3) | instid1(VALU_DEP_3)
	v_and_b32_e32 v24, v34, v10
	v_and_b32_e32 v15, v33, v1
	v_cmp_lt_u32_e64 s10, v32, v64
	v_cmp_ge_u32_e64 s7, v35, v65
	v_cmp_le_u64_e64 s11, v[14:15], v[24:25]
	s_and_b32 s10, s10, s11
	s_delay_alu instid0(SALU_CYCLE_1) | instskip(NEXT) | instid1(SALU_CYCLE_1)
	s_or_b32 s7, s7, s10
	v_cndmask_b32_e64 v14, v35, v32, s7
	v_cndmask_b32_e64 v15, v65, v64, s7
	v_dual_cndmask_b32 v37, v33, v29, s7 :: v_dual_cndmask_b32 v36, v28, v34, s7
	s_delay_alu instid0(VALU_DEP_3) | instskip(SKIP_2) | instid1(VALU_DEP_1)
	v_lshl_add_u32 v24, v14, 3, v11
	ds_load_b64 v[26:27], v24 offset:16384
	v_add_nc_u32_e32 v24, 1, v14
	v_add_min_u32_e64 v14, v15, -1, v24
	s_delay_alu instid0(VALU_DEP_1) | instskip(SKIP_4) | instid1(VALU_DEP_2)
	v_lshl_add_u32 v14, v14, 3, v11
	ds_load_b64 v[14:15], v14
	s_wait_dscnt 0x0
	v_dual_cndmask_b32 v38, v15, v33, s7 :: v_dual_cndmask_b32 v28, v14, v28, s7
	v_dual_cndmask_b32 v29, v29, v15, s7 :: v_dual_cndmask_b32 v39, v34, v14, s7
	v_dual_cndmask_b32 v48, v24, v35, s7 :: v_dual_bitop2_b32 v15, v38, v1 bitop3:0x40
	s_delay_alu instid0(VALU_DEP_2) | instskip(NEXT) | instid1(VALU_DEP_4)
	v_dual_cndmask_b32 v49, v32, v24, s7 :: v_dual_bitop2_b32 v25, v29, v1 bitop3:0x40
	v_and_b32_e32 v14, v28, v10
	s_delay_alu instid0(VALU_DEP_4) | instskip(NEXT) | instid1(VALU_DEP_4)
	v_and_b32_e32 v24, v39, v10
	v_cmp_ge_u32_e64 s7, v48, v65
	s_delay_alu instid0(VALU_DEP_4) | instskip(NEXT) | instid1(VALU_DEP_3)
	v_cmp_lt_u32_e64 s10, v49, v64
	v_cmp_le_u64_e64 s11, v[14:15], v[24:25]
	s_and_b32 s10, s10, s11
	s_delay_alu instid0(SALU_CYCLE_1) | instskip(NEXT) | instid1(SALU_CYCLE_1)
	s_or_b32 s7, s7, s10
	v_dual_cndmask_b32 v14, v48, v49, s7 :: v_dual_cndmask_b32 v15, v65, v64, s7
	v_dual_cndmask_b32 v35, v38, v29, s7 :: v_dual_cndmask_b32 v34, v28, v39, s7
	s_delay_alu instid0(VALU_DEP_2) | instskip(SKIP_2) | instid1(VALU_DEP_1)
	v_lshl_add_u32 v24, v14, 3, v11
	ds_load_b64 v[32:33], v24 offset:16384
	v_add_nc_u32_e32 v24, 1, v14
	v_add_min_u32_e64 v14, v15, -1, v24
	s_delay_alu instid0(VALU_DEP_1)
	v_lshl_add_u32 v14, v14, 3, v11
	ds_load_b64 v[14:15], v14
	s_wait_dscnt 0x0
	v_dual_cndmask_b32 v50, v15, v38, s7 :: v_dual_cndmask_b32 v29, v29, v15, s7
	v_dual_cndmask_b32 v28, v14, v28, s7 :: v_dual_cndmask_b32 v51, v39, v14, s7
	v_cndmask_b32_e64 v48, v24, v48, s7
	s_delay_alu instid0(VALU_DEP_3) | instskip(NEXT) | instid1(VALU_DEP_3)
	v_dual_cndmask_b32 v49, v49, v24, s7 :: v_dual_bitop2_b32 v15, v50, v1 bitop3:0x40
	v_and_b32_e32 v14, v28, v10
	v_and_b32_e32 v25, v29, v1
	;; [unrolled: 1-line block ×3, first 2 shown]
	s_delay_alu instid0(VALU_DEP_4) | instskip(SKIP_1) | instid1(VALU_DEP_3)
	v_cmp_lt_u32_e64 s10, v49, v64
	v_cmp_ge_u32_e64 s7, v48, v65
	v_cmp_le_u64_e64 s11, v[14:15], v[24:25]
	s_and_b32 s10, s10, s11
	s_delay_alu instid0(SALU_CYCLE_1) | instskip(NEXT) | instid1(SALU_CYCLE_1)
	s_or_b32 s7, s7, s10
	v_dual_cndmask_b32 v14, v48, v49, s7 :: v_dual_cndmask_b32 v15, v65, v64, s7
	v_dual_cndmask_b32 v25, v50, v29, s7 :: v_dual_cndmask_b32 v24, v28, v51, s7
	s_delay_alu instid0(VALU_DEP_2) | instskip(SKIP_1) | instid1(VALU_DEP_2)
	v_add_nc_u32_e32 v66, 1, v14
	v_lshl_add_u32 v38, v14, 3, v11
	v_add_min_u32_e64 v14, v15, -1, v66
	ds_load_b64 v[38:39], v38 offset:16384
	v_dual_cndmask_b32 v69, v66, v48, s7 :: v_dual_cndmask_b32 v66, v49, v66, s7
	v_lshl_add_u32 v14, v14, 3, v11
	s_delay_alu instid0(VALU_DEP_2)
	v_cmp_lt_u32_e64 s10, v66, v64
	ds_load_b64 v[14:15], v14
	s_wait_dscnt 0x0
	v_dual_cndmask_b32 v50, v15, v50, s7 :: v_dual_cndmask_b32 v67, v14, v28, s7
	v_dual_cndmask_b32 v68, v29, v15, s7 :: v_dual_cndmask_b32 v51, v51, v14, s7
	v_cmp_ge_u32_e64 s7, v69, v65
	s_delay_alu instid0(VALU_DEP_3) | instskip(NEXT) | instid1(VALU_DEP_4)
	v_and_b32_e32 v15, v50, v1
	v_and_b32_e32 v14, v67, v10
	s_delay_alu instid0(VALU_DEP_4) | instskip(SKIP_1) | instid1(VALU_DEP_1)
	v_and_b32_e32 v29, v68, v1
	v_and_b32_e32 v28, v51, v10
	v_cmp_le_u64_e64 s11, v[14:15], v[28:29]
	s_and_b32 s10, s10, s11
	s_delay_alu instid0(SALU_CYCLE_1) | instskip(NEXT) | instid1(SALU_CYCLE_1)
	s_or_b32 s7, s7, s10
	v_cndmask_b32_e64 v14, v69, v66, s7
	v_dual_cndmask_b32 v15, v65, v64, s7 :: v_dual_cndmask_b32 v48, v67, v51, s7
	s_delay_alu instid0(VALU_DEP_2) | instskip(SKIP_1) | instid1(VALU_DEP_2)
	v_dual_cndmask_b32 v49, v50, v68, s7 :: v_dual_add_nc_u32 v80, 1, v14
	v_lshl_add_u32 v28, v14, 3, v11
	v_add_min_u32_e64 v14, v15, -1, v80
	ds_load_b64 v[28:29], v28 offset:16384
	v_cndmask_b32_e64 v69, v80, v69, s7
	v_lshl_add_u32 v14, v14, 3, v11
	ds_load_b64 v[14:15], v14
	s_wait_dscnt 0x0
	v_dual_cndmask_b32 v81, v15, v50, s7 :: v_dual_cndmask_b32 v68, v68, v15, s7
	v_dual_cndmask_b32 v67, v14, v67, s7 :: v_dual_cndmask_b32 v82, v51, v14, s7
	s_delay_alu instid0(VALU_DEP_2) | instskip(NEXT) | instid1(VALU_DEP_3)
	v_dual_cndmask_b32 v66, v66, v80, s7 :: v_dual_bitop2_b32 v15, v81, v1 bitop3:0x40
	v_and_b32_e32 v51, v68, v1
	s_delay_alu instid0(VALU_DEP_3) | instskip(NEXT) | instid1(VALU_DEP_4)
	v_and_b32_e32 v14, v67, v10
	v_and_b32_e32 v50, v82, v10
	s_delay_alu instid0(VALU_DEP_4) | instskip(SKIP_1) | instid1(VALU_DEP_3)
	v_cmp_lt_u32_e64 s10, v66, v64
	v_cmp_ge_u32_e64 s7, v69, v65
	v_cmp_le_u64_e64 s11, v[14:15], v[50:51]
	s_and_b32 s10, s10, s11
	s_delay_alu instid0(SALU_CYCLE_1) | instskip(NEXT) | instid1(SALU_CYCLE_1)
	s_or_b32 s7, s7, s10
	v_cndmask_b32_e64 v50, v69, v66, s7
	v_dual_cndmask_b32 v15, v81, v68, s7 :: v_dual_cndmask_b32 v14, v67, v82, s7
	s_delay_alu instid0(VALU_DEP_2)
	v_lshl_add_u32 v50, v50, 3, v11
	ds_load_b64 v[50:51], v50 offset:16384
.LBB710_94:
	s_or_b32 exec_lo, exec_lo, s12
	v_and_b32_e32 v68, 0xe0, v70
	s_mov_b32 s10, exec_lo
	; wave barrier
	ds_store_2addr_b64 v30, v[12:13], v[18:19] offset1:1
	ds_store_2addr_b64 v30, v[22:23], v[36:37] offset0:2 offset1:3
	v_or_b32_e32 v64, 16, v68
	ds_store_2addr_b64 v52, v[4:5], v[16:17] offset1:1
	ds_store_2addr_b64 v53, v[20:21], v[26:27] offset1:1
	ds_store_2addr_b64 v30, v[34:35], v[24:25] offset0:4 offset1:5
	ds_store_2addr_b64 v30, v[48:49], v[14:15] offset0:6 offset1:7
	ds_store_2addr_b64 v54, v[32:33], v[38:39] offset1:1
	s_wait_dscnt 0x7
	ds_store_2addr_b64 v55, v[28:29], v[50:51] offset1:1
	; wave barrier
	v_min_u32_e32 v64, v31, v64
	s_delay_alu instid0(VALU_DEP_1) | instskip(NEXT) | instid1(VALU_DEP_1)
	v_add_min_u32_e64 v65, v64, 16, v31
	v_dual_sub_nc_u32 v67, v65, v64 :: v_dual_bitop2_b32 v66, 24, v70 bitop3:0x40
	s_delay_alu instid0(VALU_DEP_1) | instskip(SKIP_1) | instid1(VALU_DEP_1)
	v_min_u32_e32 v69, v31, v66
	v_sub_nc_u32_e32 v66, v64, v68
	v_min_u32_e32 v80, v69, v66
	s_delay_alu instid0(VALU_DEP_4) | instskip(SKIP_1) | instid1(VALU_DEP_2)
	v_sub_nc_u32_e64 v66, v69, v67 clamp
	v_lshl_add_u32 v67, v68, 3, v11
	v_cmpx_lt_u32_e64 v66, v80
	s_cbranch_execz .LBB710_98
; %bb.95:
	v_dual_lshlrev_b32 v81, 3, v64 :: v_dual_lshlrev_b32 v82, 3, v69
	s_mov_b32 s11, 0
	s_delay_alu instid0(VALU_DEP_1)
	v_add3_u32 v81, v11, v81, v82
.LBB710_96:                             ; =>This Inner Loop Header: Depth=1
	v_add_nc_u32_e32 v82, v80, v66
	s_delay_alu instid0(VALU_DEP_1) | instskip(NEXT) | instid1(VALU_DEP_1)
	v_lshrrev_b32_e32 v86, 1, v82
	v_not_b32_e32 v82, v86
	v_lshl_add_u32 v83, v86, 3, v67
	s_delay_alu instid0(VALU_DEP_2)
	v_lshl_add_u32 v84, v82, 3, v81
	ds_load_b64 v[82:83], v83
	ds_load_b64 v[84:85], v84
	s_wait_dscnt 0x1
	v_and_b32_e32 v83, v83, v1
	v_and_b32_e32 v82, v82, v10
	s_wait_dscnt 0x0
	v_and_b32_e32 v85, v85, v1
	v_and_b32_e32 v84, v84, v10
	s_delay_alu instid0(VALU_DEP_1) | instskip(NEXT) | instid1(VALU_DEP_1)
	v_cmp_gt_u64_e64 s7, v[84:85], v[82:83]
	v_dual_add_nc_u32 v82, 1, v86 :: v_dual_cndmask_b32 v80, v80, v86, s7
	s_delay_alu instid0(VALU_DEP_1) | instskip(NEXT) | instid1(VALU_DEP_1)
	v_cndmask_b32_e64 v66, v82, v66, s7
	v_cmp_ge_u32_e64 s7, v66, v80
	s_or_b32 s11, s7, s11
	s_delay_alu instid0(SALU_CYCLE_1)
	s_and_not1_b32 exec_lo, exec_lo, s11
	s_cbranch_execnz .LBB710_96
; %bb.97:
	s_or_b32 exec_lo, exec_lo, s11
.LBB710_98:
	s_delay_alu instid0(SALU_CYCLE_1) | instskip(SKIP_1) | instid1(VALU_DEP_1)
	s_or_b32 exec_lo, exec_lo, s10
	v_dual_add_nc_u32 v69, v64, v69 :: v_dual_add_nc_u32 v68, v66, v68
	v_sub_nc_u32_e32 v69, v69, v66
	s_delay_alu instid0(VALU_DEP_2) | instskip(NEXT) | instid1(VALU_DEP_2)
	v_cmp_le_u32_e64 s7, v68, v64
	v_cmp_le_u32_e64 s10, v69, v65
	s_or_b32 s7, s7, s10
	s_delay_alu instid0(SALU_CYCLE_1)
	s_and_saveexec_b32 s12, s7
	s_cbranch_execz .LBB710_104
; %bb.99:
	v_cmp_lt_u32_e64 s7, v68, v64
                                        ; implicit-def: $vgpr14_vgpr15
	s_and_saveexec_b32 s10, s7
; %bb.100:
	v_lshl_add_u32 v4, v66, 3, v67
	ds_load_b64 v[14:15], v4
; %bb.101:
	s_or_b32 exec_lo, exec_lo, s10
	v_cmp_ge_u32_e64 s10, v69, v65
	s_mov_b32 s13, exec_lo
                                        ; implicit-def: $vgpr16_vgpr17
	v_cmpx_lt_u32_e64 v69, v65
; %bb.102:
	v_lshl_add_u32 v4, v69, 3, v11
	ds_load_b64 v[16:17], v4
; %bb.103:
	s_or_b32 exec_lo, exec_lo, s13
	s_wait_dscnt 0x0
	v_and_b32_e32 v5, v17, v1
	v_and_b32_e32 v4, v16, v10
	;; [unrolled: 1-line block ×4, first 2 shown]
	s_delay_alu instid0(VALU_DEP_1) | instskip(SKIP_1) | instid1(SALU_CYCLE_1)
	v_cmp_le_u64_e64 s11, v[4:5], v[12:13]
	s_and_b32 s7, s7, s11
	s_or_b32 s7, s10, s7
	s_delay_alu instid0(SALU_CYCLE_1) | instskip(SKIP_1) | instid1(VALU_DEP_2)
	v_cndmask_b32_e64 v18, v69, v68, s7
	v_cndmask_b32_e64 v19, v65, v64, s7
	v_dual_cndmask_b32 v13, v17, v15, s7 :: v_dual_add_nc_u32 v20, 1, v18
	v_lshl_add_u32 v4, v18, 3, v11
	s_delay_alu instid0(VALU_DEP_2)
	v_add_min_u32_e64 v18, v19, -1, v20
	ds_load_b64 v[4:5], v4 offset:16384
	v_lshl_add_u32 v18, v18, 3, v11
	ds_load_b64 v[18:19], v18
	s_wait_dscnt 0x0
	v_dual_cndmask_b32 v12, v16, v14, s7 :: v_dual_cndmask_b32 v22, v18, v16, s7
	v_cndmask_b32_e64 v21, v19, v17, s7
	v_dual_cndmask_b32 v23, v15, v19, s7 :: v_dual_cndmask_b32 v24, v14, v18, s7
	v_cndmask_b32_e64 v25, v20, v69, s7
	s_delay_alu instid0(VALU_DEP_3) | instskip(SKIP_1) | instid1(VALU_DEP_4)
	v_dual_cndmask_b32 v20, v68, v20, s7 :: v_dual_bitop2_b32 v15, v21, v1 bitop3:0x40
	v_and_b32_e32 v14, v22, v10
	v_and_b32_e32 v17, v23, v1
	;; [unrolled: 1-line block ×3, first 2 shown]
	s_delay_alu instid0(VALU_DEP_4) | instskip(SKIP_1) | instid1(VALU_DEP_3)
	v_cmp_lt_u32_e64 s10, v20, v64
	v_cmp_ge_u32_e64 s7, v25, v65
	v_cmp_le_u64_e64 s11, v[14:15], v[16:17]
	s_and_b32 s10, s10, s11
	s_delay_alu instid0(SALU_CYCLE_1) | instskip(NEXT) | instid1(SALU_CYCLE_1)
	s_or_b32 s7, s7, s10
	v_cndmask_b32_e64 v14, v25, v20, s7
	v_cndmask_b32_e64 v15, v65, v64, s7
	v_dual_cndmask_b32 v18, v22, v24, s7 :: v_dual_cndmask_b32 v19, v21, v23, s7
	s_delay_alu instid0(VALU_DEP_3) | instskip(SKIP_1) | instid1(VALU_DEP_2)
	v_add_nc_u32_e32 v26, 1, v14
	v_lshl_add_u32 v16, v14, 3, v11
	v_add_min_u32_e64 v14, v15, -1, v26
	ds_load_b64 v[16:17], v16 offset:16384
	v_dual_cndmask_b32 v25, v26, v25, s7 :: v_dual_cndmask_b32 v26, v20, v26, s7
	v_lshl_add_u32 v14, v14, 3, v11
	s_delay_alu instid0(VALU_DEP_2)
	v_cmp_lt_u32_e64 s10, v26, v64
	ds_load_b64 v[14:15], v14
	s_wait_dscnt 0x0
	v_dual_cndmask_b32 v27, v15, v21, s7 :: v_dual_cndmask_b32 v28, v14, v22, s7
	v_dual_cndmask_b32 v29, v23, v15, s7 :: v_dual_cndmask_b32 v24, v24, v14, s7
	v_cmp_ge_u32_e64 s7, v25, v65
	s_delay_alu instid0(VALU_DEP_3) | instskip(NEXT) | instid1(VALU_DEP_4)
	v_and_b32_e32 v15, v27, v1
	v_and_b32_e32 v14, v28, v10
	s_delay_alu instid0(VALU_DEP_4) | instskip(SKIP_1) | instid1(VALU_DEP_1)
	v_and_b32_e32 v21, v29, v1
	v_and_b32_e32 v20, v24, v10
	v_cmp_le_u64_e64 s11, v[14:15], v[20:21]
	s_and_b32 s10, s10, s11
	s_delay_alu instid0(SALU_CYCLE_1) | instskip(NEXT) | instid1(SALU_CYCLE_1)
	s_or_b32 s7, s7, s10
	v_cndmask_b32_e64 v14, v25, v26, s7
	v_dual_cndmask_b32 v15, v65, v64, s7 :: v_dual_cndmask_b32 v23, v27, v29, s7
	s_delay_alu instid0(VALU_DEP_2) | instskip(SKIP_1) | instid1(VALU_DEP_2)
	v_dual_cndmask_b32 v22, v28, v24, s7 :: v_dual_add_nc_u32 v32, 1, v14
	v_lshl_add_u32 v20, v14, 3, v11
	v_add_min_u32_e64 v14, v15, -1, v32
	ds_load_b64 v[20:21], v20 offset:16384
	v_lshl_add_u32 v14, v14, 3, v11
	ds_load_b64 v[14:15], v14
	s_wait_dscnt 0x0
	v_dual_cndmask_b32 v33, v15, v27, s7 :: v_dual_cndmask_b32 v28, v14, v28, s7
	v_dual_cndmask_b32 v29, v29, v15, s7 :: v_dual_cndmask_b32 v34, v24, v14, s7
	;; [unrolled: 1-line block ×3, first 2 shown]
	s_delay_alu instid0(VALU_DEP_3) | instskip(NEXT) | instid1(VALU_DEP_3)
	v_and_b32_e32 v14, v28, v10
	v_and_b32_e32 v25, v29, v1
	s_delay_alu instid0(VALU_DEP_4) | instskip(SKIP_3) | instid1(VALU_DEP_3)
	v_and_b32_e32 v24, v34, v10
	v_and_b32_e32 v15, v33, v1
	v_cmp_lt_u32_e64 s10, v32, v64
	v_cmp_ge_u32_e64 s7, v35, v65
	v_cmp_le_u64_e64 s11, v[14:15], v[24:25]
	s_and_b32 s10, s10, s11
	s_delay_alu instid0(SALU_CYCLE_1) | instskip(NEXT) | instid1(SALU_CYCLE_1)
	s_or_b32 s7, s7, s10
	v_cndmask_b32_e64 v14, v35, v32, s7
	v_cndmask_b32_e64 v15, v65, v64, s7
	v_dual_cndmask_b32 v37, v33, v29, s7 :: v_dual_cndmask_b32 v36, v28, v34, s7
	s_delay_alu instid0(VALU_DEP_3) | instskip(SKIP_2) | instid1(VALU_DEP_1)
	v_lshl_add_u32 v24, v14, 3, v11
	ds_load_b64 v[26:27], v24 offset:16384
	v_add_nc_u32_e32 v24, 1, v14
	v_add_min_u32_e64 v14, v15, -1, v24
	s_delay_alu instid0(VALU_DEP_1) | instskip(SKIP_4) | instid1(VALU_DEP_2)
	v_lshl_add_u32 v14, v14, 3, v11
	ds_load_b64 v[14:15], v14
	s_wait_dscnt 0x0
	v_dual_cndmask_b32 v38, v15, v33, s7 :: v_dual_cndmask_b32 v28, v14, v28, s7
	v_dual_cndmask_b32 v29, v29, v15, s7 :: v_dual_cndmask_b32 v39, v34, v14, s7
	v_dual_cndmask_b32 v48, v24, v35, s7 :: v_dual_bitop2_b32 v15, v38, v1 bitop3:0x40
	s_delay_alu instid0(VALU_DEP_2) | instskip(NEXT) | instid1(VALU_DEP_4)
	v_dual_cndmask_b32 v49, v32, v24, s7 :: v_dual_bitop2_b32 v25, v29, v1 bitop3:0x40
	v_and_b32_e32 v14, v28, v10
	s_delay_alu instid0(VALU_DEP_4) | instskip(NEXT) | instid1(VALU_DEP_4)
	v_and_b32_e32 v24, v39, v10
	v_cmp_ge_u32_e64 s7, v48, v65
	s_delay_alu instid0(VALU_DEP_4) | instskip(NEXT) | instid1(VALU_DEP_3)
	v_cmp_lt_u32_e64 s10, v49, v64
	v_cmp_le_u64_e64 s11, v[14:15], v[24:25]
	s_and_b32 s10, s10, s11
	s_delay_alu instid0(SALU_CYCLE_1) | instskip(NEXT) | instid1(SALU_CYCLE_1)
	s_or_b32 s7, s7, s10
	v_dual_cndmask_b32 v14, v48, v49, s7 :: v_dual_cndmask_b32 v15, v65, v64, s7
	v_dual_cndmask_b32 v35, v38, v29, s7 :: v_dual_cndmask_b32 v34, v28, v39, s7
	s_delay_alu instid0(VALU_DEP_2) | instskip(SKIP_2) | instid1(VALU_DEP_1)
	v_lshl_add_u32 v24, v14, 3, v11
	ds_load_b64 v[32:33], v24 offset:16384
	v_add_nc_u32_e32 v24, 1, v14
	v_add_min_u32_e64 v14, v15, -1, v24
	s_delay_alu instid0(VALU_DEP_1)
	v_lshl_add_u32 v14, v14, 3, v11
	ds_load_b64 v[14:15], v14
	s_wait_dscnt 0x0
	v_dual_cndmask_b32 v50, v15, v38, s7 :: v_dual_cndmask_b32 v29, v29, v15, s7
	v_dual_cndmask_b32 v28, v14, v28, s7 :: v_dual_cndmask_b32 v51, v39, v14, s7
	v_cndmask_b32_e64 v48, v24, v48, s7
	s_delay_alu instid0(VALU_DEP_3) | instskip(NEXT) | instid1(VALU_DEP_3)
	v_dual_cndmask_b32 v49, v49, v24, s7 :: v_dual_bitop2_b32 v15, v50, v1 bitop3:0x40
	v_and_b32_e32 v14, v28, v10
	v_and_b32_e32 v25, v29, v1
	;; [unrolled: 1-line block ×3, first 2 shown]
	s_delay_alu instid0(VALU_DEP_4) | instskip(SKIP_1) | instid1(VALU_DEP_3)
	v_cmp_lt_u32_e64 s10, v49, v64
	v_cmp_ge_u32_e64 s7, v48, v65
	v_cmp_le_u64_e64 s11, v[14:15], v[24:25]
	s_and_b32 s10, s10, s11
	s_delay_alu instid0(SALU_CYCLE_1) | instskip(NEXT) | instid1(SALU_CYCLE_1)
	s_or_b32 s7, s7, s10
	v_dual_cndmask_b32 v14, v48, v49, s7 :: v_dual_cndmask_b32 v15, v65, v64, s7
	v_dual_cndmask_b32 v25, v50, v29, s7 :: v_dual_cndmask_b32 v24, v28, v51, s7
	s_delay_alu instid0(VALU_DEP_2) | instskip(SKIP_1) | instid1(VALU_DEP_2)
	v_add_nc_u32_e32 v66, 1, v14
	v_lshl_add_u32 v38, v14, 3, v11
	v_add_min_u32_e64 v14, v15, -1, v66
	ds_load_b64 v[38:39], v38 offset:16384
	v_dual_cndmask_b32 v69, v66, v48, s7 :: v_dual_cndmask_b32 v66, v49, v66, s7
	v_lshl_add_u32 v14, v14, 3, v11
	s_delay_alu instid0(VALU_DEP_2)
	v_cmp_lt_u32_e64 s10, v66, v64
	ds_load_b64 v[14:15], v14
	s_wait_dscnt 0x0
	v_dual_cndmask_b32 v50, v15, v50, s7 :: v_dual_cndmask_b32 v67, v14, v28, s7
	v_dual_cndmask_b32 v68, v29, v15, s7 :: v_dual_cndmask_b32 v51, v51, v14, s7
	v_cmp_ge_u32_e64 s7, v69, v65
	s_delay_alu instid0(VALU_DEP_3) | instskip(NEXT) | instid1(VALU_DEP_4)
	v_and_b32_e32 v15, v50, v1
	v_and_b32_e32 v14, v67, v10
	s_delay_alu instid0(VALU_DEP_4) | instskip(SKIP_1) | instid1(VALU_DEP_1)
	v_and_b32_e32 v29, v68, v1
	v_and_b32_e32 v28, v51, v10
	v_cmp_le_u64_e64 s11, v[14:15], v[28:29]
	s_and_b32 s10, s10, s11
	s_delay_alu instid0(SALU_CYCLE_1) | instskip(NEXT) | instid1(SALU_CYCLE_1)
	s_or_b32 s7, s7, s10
	v_cndmask_b32_e64 v14, v69, v66, s7
	v_dual_cndmask_b32 v15, v65, v64, s7 :: v_dual_cndmask_b32 v48, v67, v51, s7
	s_delay_alu instid0(VALU_DEP_2) | instskip(SKIP_1) | instid1(VALU_DEP_2)
	v_dual_cndmask_b32 v49, v50, v68, s7 :: v_dual_add_nc_u32 v80, 1, v14
	v_lshl_add_u32 v28, v14, 3, v11
	v_add_min_u32_e64 v14, v15, -1, v80
	ds_load_b64 v[28:29], v28 offset:16384
	v_cndmask_b32_e64 v69, v80, v69, s7
	v_lshl_add_u32 v14, v14, 3, v11
	ds_load_b64 v[14:15], v14
	s_wait_dscnt 0x0
	v_dual_cndmask_b32 v81, v15, v50, s7 :: v_dual_cndmask_b32 v68, v68, v15, s7
	v_dual_cndmask_b32 v67, v14, v67, s7 :: v_dual_cndmask_b32 v82, v51, v14, s7
	s_delay_alu instid0(VALU_DEP_2) | instskip(NEXT) | instid1(VALU_DEP_3)
	v_dual_cndmask_b32 v66, v66, v80, s7 :: v_dual_bitop2_b32 v15, v81, v1 bitop3:0x40
	v_and_b32_e32 v51, v68, v1
	s_delay_alu instid0(VALU_DEP_3) | instskip(NEXT) | instid1(VALU_DEP_4)
	v_and_b32_e32 v14, v67, v10
	v_and_b32_e32 v50, v82, v10
	s_delay_alu instid0(VALU_DEP_4) | instskip(SKIP_1) | instid1(VALU_DEP_3)
	v_cmp_lt_u32_e64 s10, v66, v64
	v_cmp_ge_u32_e64 s7, v69, v65
	v_cmp_le_u64_e64 s11, v[14:15], v[50:51]
	s_and_b32 s10, s10, s11
	s_delay_alu instid0(SALU_CYCLE_1) | instskip(NEXT) | instid1(SALU_CYCLE_1)
	s_or_b32 s7, s7, s10
	v_cndmask_b32_e64 v50, v69, v66, s7
	v_dual_cndmask_b32 v15, v81, v68, s7 :: v_dual_cndmask_b32 v14, v67, v82, s7
	s_delay_alu instid0(VALU_DEP_2)
	v_lshl_add_u32 v50, v50, 3, v11
	ds_load_b64 v[50:51], v50 offset:16384
.LBB710_104:
	s_or_b32 exec_lo, exec_lo, s12
	v_and_b32_e32 v68, 0xc0, v70
	s_mov_b32 s10, exec_lo
	; wave barrier
	ds_store_2addr_b64 v30, v[12:13], v[18:19] offset1:1
	ds_store_2addr_b64 v30, v[22:23], v[36:37] offset0:2 offset1:3
	v_or_b32_e32 v64, 32, v68
	ds_store_2addr_b64 v52, v[4:5], v[16:17] offset1:1
	ds_store_2addr_b64 v53, v[20:21], v[26:27] offset1:1
	ds_store_2addr_b64 v30, v[34:35], v[24:25] offset0:4 offset1:5
	ds_store_2addr_b64 v30, v[48:49], v[14:15] offset0:6 offset1:7
	ds_store_2addr_b64 v54, v[32:33], v[38:39] offset1:1
	s_wait_dscnt 0x7
	ds_store_2addr_b64 v55, v[28:29], v[50:51] offset1:1
	; wave barrier
	v_min_u32_e32 v64, v31, v64
	s_delay_alu instid0(VALU_DEP_1) | instskip(NEXT) | instid1(VALU_DEP_1)
	v_add_min_u32_e64 v65, v64, 32, v31
	v_dual_sub_nc_u32 v67, v65, v64 :: v_dual_bitop2_b32 v66, 56, v70 bitop3:0x40
	s_delay_alu instid0(VALU_DEP_1) | instskip(SKIP_1) | instid1(VALU_DEP_1)
	v_min_u32_e32 v69, v31, v66
	v_sub_nc_u32_e32 v66, v64, v68
	v_min_u32_e32 v80, v69, v66
	s_delay_alu instid0(VALU_DEP_4) | instskip(SKIP_1) | instid1(VALU_DEP_2)
	v_sub_nc_u32_e64 v66, v69, v67 clamp
	v_lshl_add_u32 v67, v68, 3, v11
	v_cmpx_lt_u32_e64 v66, v80
	s_cbranch_execz .LBB710_108
; %bb.105:
	v_dual_lshlrev_b32 v81, 3, v64 :: v_dual_lshlrev_b32 v82, 3, v69
	s_mov_b32 s11, 0
	s_delay_alu instid0(VALU_DEP_1)
	v_add3_u32 v81, v11, v81, v82
.LBB710_106:                            ; =>This Inner Loop Header: Depth=1
	v_add_nc_u32_e32 v82, v80, v66
	s_delay_alu instid0(VALU_DEP_1) | instskip(NEXT) | instid1(VALU_DEP_1)
	v_lshrrev_b32_e32 v86, 1, v82
	v_not_b32_e32 v82, v86
	v_lshl_add_u32 v83, v86, 3, v67
	s_delay_alu instid0(VALU_DEP_2)
	v_lshl_add_u32 v84, v82, 3, v81
	ds_load_b64 v[82:83], v83
	ds_load_b64 v[84:85], v84
	s_wait_dscnt 0x1
	v_and_b32_e32 v83, v83, v1
	v_and_b32_e32 v82, v82, v10
	s_wait_dscnt 0x0
	v_and_b32_e32 v85, v85, v1
	v_and_b32_e32 v84, v84, v10
	s_delay_alu instid0(VALU_DEP_1) | instskip(NEXT) | instid1(VALU_DEP_1)
	v_cmp_gt_u64_e64 s7, v[84:85], v[82:83]
	v_dual_add_nc_u32 v82, 1, v86 :: v_dual_cndmask_b32 v80, v80, v86, s7
	s_delay_alu instid0(VALU_DEP_1) | instskip(NEXT) | instid1(VALU_DEP_1)
	v_cndmask_b32_e64 v66, v82, v66, s7
	v_cmp_ge_u32_e64 s7, v66, v80
	s_or_b32 s11, s7, s11
	s_delay_alu instid0(SALU_CYCLE_1)
	s_and_not1_b32 exec_lo, exec_lo, s11
	s_cbranch_execnz .LBB710_106
; %bb.107:
	s_or_b32 exec_lo, exec_lo, s11
.LBB710_108:
	s_delay_alu instid0(SALU_CYCLE_1) | instskip(SKIP_1) | instid1(VALU_DEP_1)
	s_or_b32 exec_lo, exec_lo, s10
	v_dual_add_nc_u32 v69, v64, v69 :: v_dual_add_nc_u32 v68, v66, v68
	v_sub_nc_u32_e32 v69, v69, v66
	s_delay_alu instid0(VALU_DEP_2) | instskip(NEXT) | instid1(VALU_DEP_2)
	v_cmp_le_u32_e64 s7, v68, v64
	v_cmp_le_u32_e64 s10, v69, v65
	s_or_b32 s7, s7, s10
	s_delay_alu instid0(SALU_CYCLE_1)
	s_and_saveexec_b32 s12, s7
	s_cbranch_execz .LBB710_114
; %bb.109:
	v_cmp_lt_u32_e64 s7, v68, v64
                                        ; implicit-def: $vgpr14_vgpr15
	s_and_saveexec_b32 s10, s7
; %bb.110:
	v_lshl_add_u32 v4, v66, 3, v67
	ds_load_b64 v[14:15], v4
; %bb.111:
	s_or_b32 exec_lo, exec_lo, s10
	v_cmp_ge_u32_e64 s10, v69, v65
	s_mov_b32 s13, exec_lo
                                        ; implicit-def: $vgpr16_vgpr17
	v_cmpx_lt_u32_e64 v69, v65
; %bb.112:
	v_lshl_add_u32 v4, v69, 3, v11
	ds_load_b64 v[16:17], v4
; %bb.113:
	s_or_b32 exec_lo, exec_lo, s13
	s_wait_dscnt 0x0
	v_and_b32_e32 v5, v17, v1
	v_and_b32_e32 v4, v16, v10
	;; [unrolled: 1-line block ×4, first 2 shown]
	s_delay_alu instid0(VALU_DEP_1) | instskip(SKIP_1) | instid1(SALU_CYCLE_1)
	v_cmp_le_u64_e64 s11, v[4:5], v[12:13]
	s_and_b32 s7, s7, s11
	s_or_b32 s7, s10, s7
	s_delay_alu instid0(SALU_CYCLE_1) | instskip(SKIP_1) | instid1(VALU_DEP_2)
	v_cndmask_b32_e64 v18, v69, v68, s7
	v_cndmask_b32_e64 v19, v65, v64, s7
	v_dual_cndmask_b32 v13, v17, v15, s7 :: v_dual_add_nc_u32 v20, 1, v18
	v_lshl_add_u32 v4, v18, 3, v11
	s_delay_alu instid0(VALU_DEP_2)
	v_add_min_u32_e64 v18, v19, -1, v20
	ds_load_b64 v[4:5], v4 offset:16384
	v_lshl_add_u32 v18, v18, 3, v11
	ds_load_b64 v[18:19], v18
	s_wait_dscnt 0x0
	v_dual_cndmask_b32 v12, v16, v14, s7 :: v_dual_cndmask_b32 v22, v18, v16, s7
	v_cndmask_b32_e64 v21, v19, v17, s7
	v_dual_cndmask_b32 v23, v15, v19, s7 :: v_dual_cndmask_b32 v24, v14, v18, s7
	v_cndmask_b32_e64 v25, v20, v69, s7
	s_delay_alu instid0(VALU_DEP_3) | instskip(SKIP_1) | instid1(VALU_DEP_4)
	v_dual_cndmask_b32 v20, v68, v20, s7 :: v_dual_bitop2_b32 v15, v21, v1 bitop3:0x40
	v_and_b32_e32 v14, v22, v10
	v_and_b32_e32 v17, v23, v1
	;; [unrolled: 1-line block ×3, first 2 shown]
	s_delay_alu instid0(VALU_DEP_4) | instskip(SKIP_1) | instid1(VALU_DEP_3)
	v_cmp_lt_u32_e64 s10, v20, v64
	v_cmp_ge_u32_e64 s7, v25, v65
	v_cmp_le_u64_e64 s11, v[14:15], v[16:17]
	s_and_b32 s10, s10, s11
	s_delay_alu instid0(SALU_CYCLE_1) | instskip(NEXT) | instid1(SALU_CYCLE_1)
	s_or_b32 s7, s7, s10
	v_cndmask_b32_e64 v14, v25, v20, s7
	v_cndmask_b32_e64 v15, v65, v64, s7
	v_dual_cndmask_b32 v18, v22, v24, s7 :: v_dual_cndmask_b32 v19, v21, v23, s7
	s_delay_alu instid0(VALU_DEP_3) | instskip(SKIP_1) | instid1(VALU_DEP_2)
	v_add_nc_u32_e32 v26, 1, v14
	v_lshl_add_u32 v16, v14, 3, v11
	v_add_min_u32_e64 v14, v15, -1, v26
	ds_load_b64 v[16:17], v16 offset:16384
	v_dual_cndmask_b32 v25, v26, v25, s7 :: v_dual_cndmask_b32 v26, v20, v26, s7
	v_lshl_add_u32 v14, v14, 3, v11
	s_delay_alu instid0(VALU_DEP_2)
	v_cmp_lt_u32_e64 s10, v26, v64
	ds_load_b64 v[14:15], v14
	s_wait_dscnt 0x0
	v_dual_cndmask_b32 v27, v15, v21, s7 :: v_dual_cndmask_b32 v28, v14, v22, s7
	v_dual_cndmask_b32 v29, v23, v15, s7 :: v_dual_cndmask_b32 v24, v24, v14, s7
	v_cmp_ge_u32_e64 s7, v25, v65
	s_delay_alu instid0(VALU_DEP_3) | instskip(NEXT) | instid1(VALU_DEP_4)
	v_and_b32_e32 v15, v27, v1
	v_and_b32_e32 v14, v28, v10
	s_delay_alu instid0(VALU_DEP_4) | instskip(SKIP_1) | instid1(VALU_DEP_1)
	v_and_b32_e32 v21, v29, v1
	v_and_b32_e32 v20, v24, v10
	v_cmp_le_u64_e64 s11, v[14:15], v[20:21]
	s_and_b32 s10, s10, s11
	s_delay_alu instid0(SALU_CYCLE_1) | instskip(NEXT) | instid1(SALU_CYCLE_1)
	s_or_b32 s7, s7, s10
	v_cndmask_b32_e64 v14, v25, v26, s7
	v_dual_cndmask_b32 v15, v65, v64, s7 :: v_dual_cndmask_b32 v23, v27, v29, s7
	s_delay_alu instid0(VALU_DEP_2) | instskip(SKIP_1) | instid1(VALU_DEP_2)
	v_dual_cndmask_b32 v22, v28, v24, s7 :: v_dual_add_nc_u32 v32, 1, v14
	v_lshl_add_u32 v20, v14, 3, v11
	v_add_min_u32_e64 v14, v15, -1, v32
	ds_load_b64 v[20:21], v20 offset:16384
	v_lshl_add_u32 v14, v14, 3, v11
	ds_load_b64 v[14:15], v14
	s_wait_dscnt 0x0
	v_dual_cndmask_b32 v33, v15, v27, s7 :: v_dual_cndmask_b32 v28, v14, v28, s7
	v_dual_cndmask_b32 v29, v29, v15, s7 :: v_dual_cndmask_b32 v34, v24, v14, s7
	v_dual_cndmask_b32 v35, v32, v25, s7 :: v_dual_cndmask_b32 v32, v26, v32, s7
	s_delay_alu instid0(VALU_DEP_3) | instskip(NEXT) | instid1(VALU_DEP_3)
	v_and_b32_e32 v14, v28, v10
	v_and_b32_e32 v25, v29, v1
	s_delay_alu instid0(VALU_DEP_4) | instskip(SKIP_3) | instid1(VALU_DEP_3)
	v_and_b32_e32 v24, v34, v10
	v_and_b32_e32 v15, v33, v1
	v_cmp_lt_u32_e64 s10, v32, v64
	v_cmp_ge_u32_e64 s7, v35, v65
	v_cmp_le_u64_e64 s11, v[14:15], v[24:25]
	s_and_b32 s10, s10, s11
	s_delay_alu instid0(SALU_CYCLE_1) | instskip(NEXT) | instid1(SALU_CYCLE_1)
	s_or_b32 s7, s7, s10
	v_cndmask_b32_e64 v14, v35, v32, s7
	v_cndmask_b32_e64 v15, v65, v64, s7
	v_dual_cndmask_b32 v37, v33, v29, s7 :: v_dual_cndmask_b32 v36, v28, v34, s7
	s_delay_alu instid0(VALU_DEP_3) | instskip(SKIP_2) | instid1(VALU_DEP_1)
	v_lshl_add_u32 v24, v14, 3, v11
	ds_load_b64 v[26:27], v24 offset:16384
	v_add_nc_u32_e32 v24, 1, v14
	v_add_min_u32_e64 v14, v15, -1, v24
	s_delay_alu instid0(VALU_DEP_1) | instskip(SKIP_4) | instid1(VALU_DEP_2)
	v_lshl_add_u32 v14, v14, 3, v11
	ds_load_b64 v[14:15], v14
	s_wait_dscnt 0x0
	v_dual_cndmask_b32 v38, v15, v33, s7 :: v_dual_cndmask_b32 v28, v14, v28, s7
	v_dual_cndmask_b32 v29, v29, v15, s7 :: v_dual_cndmask_b32 v39, v34, v14, s7
	v_dual_cndmask_b32 v48, v24, v35, s7 :: v_dual_bitop2_b32 v15, v38, v1 bitop3:0x40
	s_delay_alu instid0(VALU_DEP_2) | instskip(NEXT) | instid1(VALU_DEP_4)
	v_dual_cndmask_b32 v49, v32, v24, s7 :: v_dual_bitop2_b32 v25, v29, v1 bitop3:0x40
	v_and_b32_e32 v14, v28, v10
	s_delay_alu instid0(VALU_DEP_4) | instskip(NEXT) | instid1(VALU_DEP_4)
	v_and_b32_e32 v24, v39, v10
	v_cmp_ge_u32_e64 s7, v48, v65
	s_delay_alu instid0(VALU_DEP_4) | instskip(NEXT) | instid1(VALU_DEP_3)
	v_cmp_lt_u32_e64 s10, v49, v64
	v_cmp_le_u64_e64 s11, v[14:15], v[24:25]
	s_and_b32 s10, s10, s11
	s_delay_alu instid0(SALU_CYCLE_1) | instskip(NEXT) | instid1(SALU_CYCLE_1)
	s_or_b32 s7, s7, s10
	v_dual_cndmask_b32 v14, v48, v49, s7 :: v_dual_cndmask_b32 v15, v65, v64, s7
	v_dual_cndmask_b32 v35, v38, v29, s7 :: v_dual_cndmask_b32 v34, v28, v39, s7
	s_delay_alu instid0(VALU_DEP_2) | instskip(SKIP_2) | instid1(VALU_DEP_1)
	v_lshl_add_u32 v24, v14, 3, v11
	ds_load_b64 v[32:33], v24 offset:16384
	v_add_nc_u32_e32 v24, 1, v14
	v_add_min_u32_e64 v14, v15, -1, v24
	s_delay_alu instid0(VALU_DEP_1)
	v_lshl_add_u32 v14, v14, 3, v11
	ds_load_b64 v[14:15], v14
	s_wait_dscnt 0x0
	v_dual_cndmask_b32 v50, v15, v38, s7 :: v_dual_cndmask_b32 v29, v29, v15, s7
	v_dual_cndmask_b32 v28, v14, v28, s7 :: v_dual_cndmask_b32 v51, v39, v14, s7
	v_cndmask_b32_e64 v48, v24, v48, s7
	s_delay_alu instid0(VALU_DEP_3) | instskip(NEXT) | instid1(VALU_DEP_3)
	v_dual_cndmask_b32 v49, v49, v24, s7 :: v_dual_bitop2_b32 v15, v50, v1 bitop3:0x40
	v_and_b32_e32 v14, v28, v10
	v_and_b32_e32 v25, v29, v1
	;; [unrolled: 1-line block ×3, first 2 shown]
	s_delay_alu instid0(VALU_DEP_4) | instskip(SKIP_1) | instid1(VALU_DEP_3)
	v_cmp_lt_u32_e64 s10, v49, v64
	v_cmp_ge_u32_e64 s7, v48, v65
	v_cmp_le_u64_e64 s11, v[14:15], v[24:25]
	s_and_b32 s10, s10, s11
	s_delay_alu instid0(SALU_CYCLE_1) | instskip(NEXT) | instid1(SALU_CYCLE_1)
	s_or_b32 s7, s7, s10
	v_dual_cndmask_b32 v14, v48, v49, s7 :: v_dual_cndmask_b32 v15, v65, v64, s7
	v_dual_cndmask_b32 v25, v50, v29, s7 :: v_dual_cndmask_b32 v24, v28, v51, s7
	s_delay_alu instid0(VALU_DEP_2) | instskip(SKIP_1) | instid1(VALU_DEP_2)
	v_add_nc_u32_e32 v66, 1, v14
	v_lshl_add_u32 v38, v14, 3, v11
	v_add_min_u32_e64 v14, v15, -1, v66
	ds_load_b64 v[38:39], v38 offset:16384
	v_dual_cndmask_b32 v69, v66, v48, s7 :: v_dual_cndmask_b32 v66, v49, v66, s7
	v_lshl_add_u32 v14, v14, 3, v11
	s_delay_alu instid0(VALU_DEP_2)
	v_cmp_lt_u32_e64 s10, v66, v64
	ds_load_b64 v[14:15], v14
	s_wait_dscnt 0x0
	v_dual_cndmask_b32 v50, v15, v50, s7 :: v_dual_cndmask_b32 v67, v14, v28, s7
	v_dual_cndmask_b32 v68, v29, v15, s7 :: v_dual_cndmask_b32 v51, v51, v14, s7
	v_cmp_ge_u32_e64 s7, v69, v65
	s_delay_alu instid0(VALU_DEP_3) | instskip(NEXT) | instid1(VALU_DEP_4)
	v_and_b32_e32 v15, v50, v1
	v_and_b32_e32 v14, v67, v10
	s_delay_alu instid0(VALU_DEP_4) | instskip(SKIP_1) | instid1(VALU_DEP_1)
	v_and_b32_e32 v29, v68, v1
	v_and_b32_e32 v28, v51, v10
	v_cmp_le_u64_e64 s11, v[14:15], v[28:29]
	s_and_b32 s10, s10, s11
	s_delay_alu instid0(SALU_CYCLE_1) | instskip(NEXT) | instid1(SALU_CYCLE_1)
	s_or_b32 s7, s7, s10
	v_cndmask_b32_e64 v14, v69, v66, s7
	v_dual_cndmask_b32 v15, v65, v64, s7 :: v_dual_cndmask_b32 v48, v67, v51, s7
	s_delay_alu instid0(VALU_DEP_2) | instskip(SKIP_1) | instid1(VALU_DEP_2)
	v_dual_cndmask_b32 v49, v50, v68, s7 :: v_dual_add_nc_u32 v80, 1, v14
	v_lshl_add_u32 v28, v14, 3, v11
	v_add_min_u32_e64 v14, v15, -1, v80
	ds_load_b64 v[28:29], v28 offset:16384
	v_cndmask_b32_e64 v69, v80, v69, s7
	v_lshl_add_u32 v14, v14, 3, v11
	ds_load_b64 v[14:15], v14
	s_wait_dscnt 0x0
	v_dual_cndmask_b32 v81, v15, v50, s7 :: v_dual_cndmask_b32 v68, v68, v15, s7
	v_dual_cndmask_b32 v67, v14, v67, s7 :: v_dual_cndmask_b32 v82, v51, v14, s7
	s_delay_alu instid0(VALU_DEP_2) | instskip(NEXT) | instid1(VALU_DEP_3)
	v_dual_cndmask_b32 v66, v66, v80, s7 :: v_dual_bitop2_b32 v15, v81, v1 bitop3:0x40
	v_and_b32_e32 v51, v68, v1
	s_delay_alu instid0(VALU_DEP_3) | instskip(NEXT) | instid1(VALU_DEP_4)
	v_and_b32_e32 v14, v67, v10
	v_and_b32_e32 v50, v82, v10
	s_delay_alu instid0(VALU_DEP_4) | instskip(SKIP_1) | instid1(VALU_DEP_3)
	v_cmp_lt_u32_e64 s10, v66, v64
	v_cmp_ge_u32_e64 s7, v69, v65
	v_cmp_le_u64_e64 s11, v[14:15], v[50:51]
	s_and_b32 s10, s10, s11
	s_delay_alu instid0(SALU_CYCLE_1) | instskip(NEXT) | instid1(SALU_CYCLE_1)
	s_or_b32 s7, s7, s10
	v_cndmask_b32_e64 v50, v69, v66, s7
	v_dual_cndmask_b32 v15, v81, v68, s7 :: v_dual_cndmask_b32 v14, v67, v82, s7
	s_delay_alu instid0(VALU_DEP_2)
	v_lshl_add_u32 v50, v50, 3, v11
	ds_load_b64 v[50:51], v50 offset:16384
.LBB710_114:
	s_or_b32 exec_lo, exec_lo, s12
	v_and_b32_e32 v66, 0x80, v70
	v_min_u32_e32 v67, v31, v71
	; wave barrier
	ds_store_2addr_b64 v30, v[12:13], v[18:19] offset1:1
	ds_store_2addr_b64 v30, v[22:23], v[36:37] offset0:2 offset1:3
	v_or_b32_e32 v64, 64, v66
	ds_store_2addr_b64 v52, v[4:5], v[16:17] offset1:1
	ds_store_2addr_b64 v53, v[20:21], v[26:27] offset1:1
	ds_store_2addr_b64 v30, v[34:35], v[24:25] offset0:4 offset1:5
	ds_store_2addr_b64 v30, v[48:49], v[14:15] offset0:6 offset1:7
	v_lshl_add_u32 v30, v66, 3, v11
	s_mov_b32 s10, exec_lo
	ds_store_2addr_b64 v54, v[32:33], v[38:39] offset1:1
	s_wait_dscnt 0x7
	ds_store_2addr_b64 v55, v[28:29], v[50:51] offset1:1
	v_min_u32_e32 v65, v31, v64
	; wave barrier
	s_delay_alu instid0(VALU_DEP_1) | instskip(NEXT) | instid1(VALU_DEP_1)
	v_add_min_u32_e64 v64, v65, 64, v31
	v_dual_sub_nc_u32 v31, v65, v66 :: v_dual_sub_nc_u32 v69, v64, v65
	s_delay_alu instid0(VALU_DEP_1) | instskip(NEXT) | instid1(VALU_DEP_2)
	v_min_u32_e32 v68, v67, v31
	v_sub_nc_u32_e64 v31, v67, v69 clamp
	s_delay_alu instid0(VALU_DEP_1)
	v_cmpx_lt_u32_e64 v31, v68
	s_cbranch_execz .LBB710_118
; %bb.115:
	v_dual_lshlrev_b32 v52, 3, v65 :: v_dual_lshlrev_b32 v53, 3, v67
	s_mov_b32 s11, 0
	s_delay_alu instid0(VALU_DEP_1)
	v_add3_u32 v52, v11, v52, v53
.LBB710_116:                            ; =>This Inner Loop Header: Depth=1
	v_add_nc_u32_e32 v53, v68, v31
	s_delay_alu instid0(VALU_DEP_1) | instskip(NEXT) | instid1(VALU_DEP_1)
	v_lshrrev_b32_e32 v53, 1, v53
	v_not_b32_e32 v54, v53
	v_lshl_add_u32 v55, v53, 3, v30
	s_delay_alu instid0(VALU_DEP_2)
	v_lshl_add_u32 v69, v54, 3, v52
	ds_load_b64 v[54:55], v55
	ds_load_b64 v[70:71], v69
	s_wait_dscnt 0x1
	v_and_b32_e32 v55, v55, v1
	v_and_b32_e32 v54, v54, v10
	s_wait_dscnt 0x0
	v_and_b32_e32 v71, v71, v1
	v_and_b32_e32 v70, v70, v10
	s_delay_alu instid0(VALU_DEP_1) | instskip(NEXT) | instid1(VALU_DEP_1)
	v_cmp_gt_u64_e64 s7, v[70:71], v[54:55]
	v_dual_add_nc_u32 v54, 1, v53 :: v_dual_cndmask_b32 v68, v68, v53, s7
	s_delay_alu instid0(VALU_DEP_1) | instskip(NEXT) | instid1(VALU_DEP_1)
	v_cndmask_b32_e64 v31, v54, v31, s7
	v_cmp_ge_u32_e64 s7, v31, v68
	s_or_b32 s11, s7, s11
	s_delay_alu instid0(SALU_CYCLE_1)
	s_and_not1_b32 exec_lo, exec_lo, s11
	s_cbranch_execnz .LBB710_116
; %bb.117:
	s_or_b32 exec_lo, exec_lo, s11
.LBB710_118:
	s_delay_alu instid0(SALU_CYCLE_1) | instskip(SKIP_1) | instid1(VALU_DEP_1)
	s_or_b32 exec_lo, exec_lo, s10
	v_dual_add_nc_u32 v53, v65, v67 :: v_dual_add_nc_u32 v52, v31, v66
	v_sub_nc_u32_e32 v53, v53, v31
	s_delay_alu instid0(VALU_DEP_2) | instskip(NEXT) | instid1(VALU_DEP_2)
	v_cmp_le_u32_e64 s7, v52, v65
	v_cmp_le_u32_e64 s10, v53, v64
	s_or_b32 s7, s7, s10
	s_delay_alu instid0(SALU_CYCLE_1)
	s_and_saveexec_b32 s21, s7
	s_cbranch_execz .LBB710_124
; %bb.119:
	v_cmp_lt_u32_e64 s7, v52, v65
                                        ; implicit-def: $vgpr12_vgpr13
	s_and_saveexec_b32 s10, s7
; %bb.120:
	v_lshl_add_u32 v4, v31, 3, v30
	ds_load_b64 v[12:13], v4
; %bb.121:
	s_or_b32 exec_lo, exec_lo, s10
	v_cmp_ge_u32_e64 s10, v53, v64
	s_mov_b32 s12, exec_lo
                                        ; implicit-def: $vgpr14_vgpr15
	v_cmpx_lt_u32_e64 v53, v64
; %bb.122:
	v_lshl_add_u32 v4, v53, 3, v11
	ds_load_b64 v[14:15], v4
; %bb.123:
	s_or_b32 exec_lo, exec_lo, s12
	s_wait_dscnt 0x0
	v_and_b32_e32 v5, v15, v1
	v_and_b32_e32 v4, v14, v10
	;; [unrolled: 1-line block ×4, first 2 shown]
	s_delay_alu instid0(VALU_DEP_1) | instskip(SKIP_1) | instid1(SALU_CYCLE_1)
	v_cmp_le_u64_e64 s11, v[4:5], v[16:17]
	s_and_b32 s7, s7, s11
	s_or_b32 s7, s10, s7
	s_delay_alu instid0(SALU_CYCLE_1) | instskip(NEXT) | instid1(VALU_DEP_1)
	v_dual_cndmask_b32 v18, v53, v52, s7 :: v_dual_cndmask_b32 v4, v64, v65, s7
	v_add_nc_u32_e32 v19, 1, v18
	s_delay_alu instid0(VALU_DEP_1) | instskip(SKIP_1) | instid1(VALU_DEP_2)
	v_add_min_u32_e64 v4, v4, -1, v19
	v_dual_cndmask_b32 v20, v52, v19, s7 :: v_dual_cndmask_b32 v19, v19, v53, s7
	v_lshl_add_u32 v4, v4, 3, v11
	s_delay_alu instid0(VALU_DEP_2) | instskip(NEXT) | instid1(VALU_DEP_3)
	v_cmp_lt_u32_e64 s11, v20, v65
	v_cmp_ge_u32_e64 s12, v19, v64
	ds_load_b64 v[4:5], v4
	s_wait_dscnt 0x0
	v_dual_cndmask_b32 v22, v5, v15, s7 :: v_dual_cndmask_b32 v23, v4, v14, s7
	v_cndmask_b32_e64 v24, v13, v5, s7
	v_cndmask_b32_e64 v13, v15, v13, s7
	s_delay_alu instid0(VALU_DEP_3) | instskip(NEXT) | instid1(VALU_DEP_4)
	v_dual_cndmask_b32 v25, v12, v4, s7 :: v_dual_bitop2_b32 v5, v22, v1 bitop3:0x40
	v_and_b32_e32 v4, v23, v10
	s_delay_alu instid0(VALU_DEP_4) | instskip(NEXT) | instid1(VALU_DEP_3)
	v_dual_cndmask_b32 v12, v14, v12, s7 :: v_dual_bitop2_b32 v17, v24, v1 bitop3:0x40
	v_and_b32_e32 v16, v25, v10
	s_delay_alu instid0(VALU_DEP_1) | instskip(SKIP_1) | instid1(SALU_CYCLE_1)
	v_cmp_le_u64_e64 s10, v[4:5], v[16:17]
	s_and_b32 s10, s11, s10
	s_or_b32 s10, s12, s10
	s_delay_alu instid0(SALU_CYCLE_1) | instskip(NEXT) | instid1(VALU_DEP_1)
	v_dual_cndmask_b32 v21, v19, v20, s10 :: v_dual_cndmask_b32 v4, v64, v65, s10
	v_add_nc_u32_e32 v26, 1, v21
	s_delay_alu instid0(VALU_DEP_1) | instskip(NEXT) | instid1(VALU_DEP_1)
	v_add_min_u32_e64 v4, v4, -1, v26
	v_lshl_add_u32 v4, v4, 3, v11
	ds_load_b64 v[4:5], v4
	s_wait_dscnt 0x0
	v_dual_cndmask_b32 v30, v5, v22, s10 :: v_dual_cndmask_b32 v31, v4, v23, s10
	v_dual_cndmask_b32 v34, v24, v5, s10 :: v_dual_cndmask_b32 v35, v25, v4, s10
	s_delay_alu instid0(VALU_DEP_2) | instskip(NEXT) | instid1(VALU_DEP_3)
	v_dual_cndmask_b32 v20, v20, v26, s10 :: v_dual_bitop2_b32 v5, v30, v1 bitop3:0x40
	v_dual_cndmask_b32 v19, v26, v19, s10 :: v_dual_bitop2_b32 v4, v31, v10 bitop3:0x40
	s_delay_alu instid0(VALU_DEP_3) | instskip(NEXT) | instid1(VALU_DEP_4)
	v_and_b32_e32 v17, v34, v1
	v_and_b32_e32 v16, v35, v10
	s_delay_alu instid0(VALU_DEP_4) | instskip(NEXT) | instid1(VALU_DEP_4)
	v_cmp_lt_u32_e64 s12, v20, v65
	v_cmp_ge_u32_e64 s13, v19, v64
	s_delay_alu instid0(VALU_DEP_3) | instskip(SKIP_1) | instid1(SALU_CYCLE_1)
	v_cmp_le_u64_e64 s11, v[4:5], v[16:17]
	s_and_b32 s11, s12, s11
	s_or_b32 s11, s13, s11
	s_delay_alu instid0(SALU_CYCLE_1) | instskip(NEXT) | instid1(VALU_DEP_1)
	v_dual_cndmask_b32 v26, v19, v20, s11 :: v_dual_cndmask_b32 v4, v64, v65, s11
	v_add_nc_u32_e32 v27, 1, v26
	s_delay_alu instid0(VALU_DEP_1) | instskip(NEXT) | instid1(VALU_DEP_1)
	v_add_min_u32_e64 v4, v4, -1, v27
	v_lshl_add_u32 v4, v4, 3, v11
	ds_load_b64 v[4:5], v4
	s_wait_dscnt 0x0
	v_dual_cndmask_b32 v36, v5, v30, s11 :: v_dual_cndmask_b32 v37, v34, v5, s11
	v_dual_cndmask_b32 v48, v4, v31, s11 :: v_dual_cndmask_b32 v49, v35, v4, s11
	v_cndmask_b32_e64 v20, v20, v27, s11
	s_delay_alu instid0(VALU_DEP_3) | instskip(NEXT) | instid1(VALU_DEP_4)
	v_and_b32_e32 v5, v36, v1
	v_and_b32_e32 v17, v37, v1
	s_delay_alu instid0(VALU_DEP_4) | instskip(SKIP_2) | instid1(VALU_DEP_3)
	v_dual_cndmask_b32 v19, v27, v19, s11 :: v_dual_bitop2_b32 v4, v48, v10 bitop3:0x40
	v_and_b32_e32 v16, v49, v10
	v_cmp_lt_u32_e64 s13, v20, v65
	v_cmp_ge_u32_e64 s14, v19, v64
	s_delay_alu instid0(VALU_DEP_3) | instskip(SKIP_1) | instid1(SALU_CYCLE_1)
	v_cmp_le_u64_e64 s12, v[4:5], v[16:17]
	s_and_b32 s12, s13, s12
	s_or_b32 s12, s14, s12
	s_delay_alu instid0(SALU_CYCLE_1) | instskip(NEXT) | instid1(VALU_DEP_1)
	v_dual_cndmask_b32 v27, v19, v20, s12 :: v_dual_cndmask_b32 v4, v64, v65, s12
	v_add_nc_u32_e32 v28, 1, v27
	s_delay_alu instid0(VALU_DEP_1) | instskip(SKIP_2) | instid1(VALU_DEP_3)
	v_add_min_u32_e64 v4, v4, -1, v28
	v_cndmask_b32_e64 v20, v20, v28, s12
	v_cndmask_b32_e64 v19, v28, v19, s12
	v_lshl_add_u32 v4, v4, 3, v11
	s_delay_alu instid0(VALU_DEP_3) | instskip(NEXT) | instid1(VALU_DEP_3)
	v_cmp_lt_u32_e64 s14, v20, v65
	v_cmp_ge_u32_e64 s15, v19, v64
	ds_load_b64 v[4:5], v4
	s_wait_dscnt 0x0
	v_dual_cndmask_b32 v53, v4, v48, s12 :: v_dual_cndmask_b32 v54, v37, v5, s12
	s_delay_alu instid0(VALU_DEP_1) | instskip(NEXT) | instid1(VALU_DEP_1)
	v_dual_cndmask_b32 v52, v5, v36, s12 :: v_dual_bitop2_b32 v17, v54, v1 bitop3:0x40
	v_dual_cndmask_b32 v55, v49, v4, s12 :: v_dual_bitop2_b32 v5, v52, v1 bitop3:0x40
	s_delay_alu instid0(VALU_DEP_3) | instskip(NEXT) | instid1(VALU_DEP_2)
	v_and_b32_e32 v4, v53, v10
	v_and_b32_e32 v16, v55, v10
	s_delay_alu instid0(VALU_DEP_1) | instskip(SKIP_1) | instid1(SALU_CYCLE_1)
	v_cmp_le_u64_e64 s13, v[4:5], v[16:17]
	s_and_b32 s13, s14, s13
	s_or_b32 s13, s15, s13
	s_delay_alu instid0(SALU_CYCLE_1) | instskip(NEXT) | instid1(VALU_DEP_1)
	v_dual_cndmask_b32 v37, v36, v37, s12 :: v_dual_cndmask_b32 v28, v19, v20, s13
	v_dual_cndmask_b32 v4, v64, v65, s13 :: v_dual_add_nc_u32 v29, 1, v28
	s_delay_alu instid0(VALU_DEP_1) | instskip(NEXT) | instid1(VALU_DEP_1)
	v_add_min_u32_e64 v4, v4, -1, v29
	v_lshl_add_u32 v4, v4, 3, v11
	ds_load_b64 v[4:5], v4
	s_wait_dscnt 0x0
	v_dual_cndmask_b32 v66, v5, v52, s13 :: v_dual_cndmask_b32 v68, v54, v5, s13
	v_dual_cndmask_b32 v67, v4, v53, s13 :: v_dual_cndmask_b32 v69, v55, v4, s13
	v_cndmask_b32_e64 v20, v20, v29, s13
	s_delay_alu instid0(VALU_DEP_3) | instskip(NEXT) | instid1(VALU_DEP_4)
	v_and_b32_e32 v5, v66, v1
	v_dual_cndmask_b32 v19, v29, v19, s13 :: v_dual_bitop2_b32 v17, v68, v1 bitop3:0x40
	s_delay_alu instid0(VALU_DEP_4) | instskip(SKIP_2) | instid1(VALU_DEP_4)
	v_and_b32_e32 v4, v67, v10
	v_and_b32_e32 v16, v69, v10
	v_cmp_lt_u32_e64 s15, v20, v65
	v_cmp_ge_u32_e64 s16, v19, v64
	s_delay_alu instid0(VALU_DEP_3) | instskip(SKIP_1) | instid1(SALU_CYCLE_1)
	v_cmp_le_u64_e64 s14, v[4:5], v[16:17]
	s_and_b32 s14, s15, s14
	s_or_b32 s14, s16, s14
	s_delay_alu instid0(SALU_CYCLE_1) | instskip(SKIP_1) | instid1(VALU_DEP_2)
	v_dual_cndmask_b32 v36, v48, v49, s12 :: v_dual_cndmask_b32 v29, v19, v20, s14
	v_cndmask_b32_e64 v4, v64, v65, s14
	v_add_nc_u32_e32 v32, 1, v29
	s_delay_alu instid0(VALU_DEP_1) | instskip(NEXT) | instid1(VALU_DEP_1)
	v_add_min_u32_e64 v4, v4, -1, v32
	v_lshl_add_u32 v4, v4, 3, v11
	ds_load_b64 v[4:5], v4
	s_wait_dscnt 0x0
	v_dual_cndmask_b32 v70, v5, v66, s14 :: v_dual_cndmask_b32 v71, v4, v67, s14
	v_dual_cndmask_b32 v80, v68, v5, s14 :: v_dual_cndmask_b32 v81, v69, v4, s14
	s_delay_alu instid0(VALU_DEP_2) | instskip(NEXT) | instid1(VALU_DEP_3)
	v_dual_cndmask_b32 v20, v20, v32, s14 :: v_dual_bitop2_b32 v5, v70, v1 bitop3:0x40
	v_dual_cndmask_b32 v19, v32, v19, s14 :: v_dual_bitop2_b32 v4, v71, v10 bitop3:0x40
	s_delay_alu instid0(VALU_DEP_3) | instskip(NEXT) | instid1(VALU_DEP_4)
	v_and_b32_e32 v17, v80, v1
	v_and_b32_e32 v16, v81, v10
	s_delay_alu instid0(VALU_DEP_4) | instskip(NEXT) | instid1(VALU_DEP_4)
	v_cmp_lt_u32_e64 s16, v20, v65
	v_cmp_ge_u32_e64 s17, v19, v64
	s_delay_alu instid0(VALU_DEP_3) | instskip(SKIP_1) | instid1(SALU_CYCLE_1)
	v_cmp_le_u64_e64 s15, v[4:5], v[16:17]
	s_and_b32 s15, s16, s15
	s_or_b32 s15, s17, s15
	s_delay_alu instid0(SALU_CYCLE_1) | instskip(SKIP_1) | instid1(VALU_DEP_2)
	v_dual_cndmask_b32 v32, v19, v20, s15 :: v_dual_cndmask_b32 v4, v64, v65, s15
	v_dual_cndmask_b32 v49, v70, v80, s15 :: v_dual_cndmask_b32 v48, v71, v81, s15
	v_add_nc_u32_e32 v33, 1, v32
	s_delay_alu instid0(VALU_DEP_1) | instskip(NEXT) | instid1(VALU_DEP_1)
	v_add_min_u32_e64 v4, v4, -1, v33
	v_lshl_add_u32 v4, v4, 3, v11
	ds_load_b64 v[4:5], v4
	s_wait_dscnt 0x0
	v_dual_cndmask_b32 v82, v5, v70, s15 :: v_dual_cndmask_b32 v83, v4, v71, s15
	v_dual_cndmask_b32 v85, v81, v4, s15 :: v_dual_cndmask_b32 v84, v80, v5, s15
	s_delay_alu instid0(VALU_DEP_2) | instskip(NEXT) | instid1(VALU_DEP_3)
	v_dual_cndmask_b32 v19, v33, v19, s15 :: v_dual_bitop2_b32 v5, v82, v1 bitop3:0x40
	v_and_b32_e32 v4, v83, v10
	s_delay_alu instid0(VALU_DEP_3) | instskip(NEXT) | instid1(VALU_DEP_4)
	v_dual_cndmask_b32 v10, v20, v33, s15 :: v_dual_bitop2_b32 v16, v85, v10 bitop3:0x40
	v_and_b32_e32 v17, v84, v1
	s_delay_alu instid0(VALU_DEP_4)
	v_cmp_ge_u32_e64 s18, v19, v64
	v_lshl_add_u32 v1, v18, 3, v11
	v_lshl_add_u32 v18, v21, 3, v11
	v_cmp_lt_u32_e64 s17, v10, v65
	v_cmp_le_u64_e64 s16, v[4:5], v[16:17]
	v_lshl_add_u32 v20, v26, 3, v11
	ds_load_b64 v[4:5], v1 offset:16384
	v_lshl_add_u32 v1, v27, 3, v11
	ds_load_b64 v[16:17], v18 offset:16384
	ds_load_b64 v[20:21], v20 offset:16384
	v_lshl_add_u32 v18, v28, 3, v11
	s_and_b32 s16, s17, s16
	ds_load_b64 v[26:27], v1 offset:16384
	s_or_b32 s16, s18, s16
	v_lshl_add_u32 v28, v32, 3, v11
	v_cndmask_b32_e64 v10, v19, v10, s16
	v_lshl_add_u32 v19, v29, 3, v11
	ds_load_b64 v[32:33], v18 offset:16384
	ds_load_b64 v[38:39], v19 offset:16384
	;; [unrolled: 1-line block ×3, first 2 shown]
	v_lshl_add_u32 v1, v10, 3, v11
	v_dual_cndmask_b32 v19, v22, v24, s10 :: v_dual_cndmask_b32 v18, v23, v25, s10
	v_dual_cndmask_b32 v23, v30, v34, s11 :: v_dual_cndmask_b32 v22, v31, v35, s11
	ds_load_b64 v[50:51], v1 offset:16384
	v_dual_cndmask_b32 v35, v52, v54, s13 :: v_dual_cndmask_b32 v24, v67, v69, s14
	v_dual_cndmask_b32 v34, v53, v55, s13 :: v_dual_cndmask_b32 v25, v66, v68, s14
	;; [unrolled: 1-line block ×3, first 2 shown]
.LBB710_124:
	s_or_b32 exec_lo, exec_lo, s21
	; wave barrier
	s_wait_storecnt_dscnt 0x0
	s_barrier_signal -1
	s_barrier_wait -1
                                        ; implicit-def: $vgpr70
                                        ; implicit-def: $vgpr71
                                        ; implicit-def: $vgpr30
                                        ; implicit-def: $vgpr52
                                        ; implicit-def: $vgpr1
.LBB710_125:
	s_and_not1_saveexec_b32 s17, s20
	s_cbranch_execz .LBB710_225
; %bb.126:
	s_load_b64 s[10:11], s[8:9], 0x0
	s_bfe_u32 s12, ttmp6, 0x4000c
	s_bfe_u32 s14, ttmp6, 0x40010
	s_and_b32 s13, ttmp7, 0xffff
	s_add_co_i32 s12, s12, 1
	s_add_co_i32 s14, s14, 1
	s_and_b32 s7, ttmp6, 15
	s_bfe_u32 s15, ttmp6, 0x40004
	s_mul_i32 s12, ttmp9, s12
	s_mul_i32 s14, s13, s14
	s_add_co_i32 s7, s7, s12
	s_add_co_i32 s15, s15, s14
	s_cmp_eq_u32 s19, 0
	s_cselect_b32 s7, ttmp9, s7
	s_cselect_b32 s12, s13, s15
	s_wait_kmcnt 0x0
	s_cmp_lt_u32 s7, s10
	s_cselect_b32 s10, 12, 18
	s_cmp_lt_u32 s12, s11
	s_mov_b32 s11, 0
	s_cselect_b32 s12, 14, 20
	s_mov_b32 s13, s11
	s_delay_alu instid0(SALU_CYCLE_1)
	s_add_nc_u64 s[12:13], s[8:9], s[12:13]
	s_add_nc_u64 s[8:9], s[8:9], s[10:11]
	s_clause 0x1
	s_load_u16 s7, s[12:13], 0x0
	s_nop 0
	s_load_u16 s8, s[8:9], 0x0
	s_wait_kmcnt 0x0
	v_mad_u32_u24 v10, v52, s7, v30
	s_delay_alu instid0(VALU_DEP_1) | instskip(SKIP_1) | instid1(VALU_DEP_1)
	v_mul_lo_u32 v10, v10, s8
	s_mov_b32 s8, exec_lo
	v_add_lshl_u32 v1, v10, v1, 3
	s_delay_alu instid0(VALU_DEP_1)
	v_cmpx_gt_u32_e32 0x800, v1
	s_cbranch_execz .LBB710_184
; %bb.127:
	s_wait_loadcnt_dscnt 0x0
	v_mov_b64_e32 v[10:11], v[18:19]
	v_mov_b64_e32 v[30:31], v[16:17]
	s_mov_b32 s9, exec_lo
	v_cmpx_gt_i64_e64 v[18:19], v[12:13]
; %bb.128:
	v_mov_b64_e32 v[10:11], v[12:13]
	v_mov_b64_e32 v[12:13], v[18:19]
	v_mov_b64_e32 v[30:31], v[4:5]
	v_mov_b64_e32 v[4:5], v[16:17]
; %bb.129:
	s_or_b32 exec_lo, exec_lo, s9
	v_mov_b64_e32 v[64:65], v[36:37]
	v_mov_b64_e32 v[52:53], v[26:27]
	s_mov_b32 s9, exec_lo
	v_cmpx_gt_i64_e64 v[36:37], v[22:23]
; %bb.130:
	v_mov_b64_e32 v[64:65], v[22:23]
	v_mov_b64_e32 v[22:23], v[36:37]
	v_mov_b64_e32 v[52:53], v[20:21]
	v_mov_b64_e32 v[20:21], v[26:27]
; %bb.131:
	s_or_b32 exec_lo, exec_lo, s9
	;; [unrolled: 11-line block ×4, first 2 shown]
	v_cmp_gt_i64_e64 s7, v[22:23], v[10:11]
	v_mov_b64_e32 v[26:27], v[22:23]
	v_mov_b64_e32 v[36:37], v[20:21]
	s_and_saveexec_b32 s9, s7
	s_delay_alu instid0(SALU_CYCLE_1)
	s_xor_b32 s7, exec_lo, s9
; %bb.136:
	v_mov_b64_e32 v[26:27], v[10:11]
	v_mov_b64_e32 v[10:11], v[22:23]
	v_mov_b64_e32 v[36:37], v[30:31]
	v_mov_b64_e32 v[30:31], v[20:21]
; %bb.137:
	s_or_b32 exec_lo, exec_lo, s7
	v_mov_b64_e32 v[50:51], v[64:65]
	v_mov_b64_e32 v[38:39], v[32:33]
	s_mov_b32 s9, exec_lo
	v_cmpx_gt_i64_e64 v[54:55], v[64:65]
; %bb.138:
	v_mov_b64_e32 v[50:51], v[54:55]
	v_mov_b64_e32 v[38:39], v[52:53]
	v_mov_b64_e32 v[52:53], v[32:33]
	v_mov_b64_e32 v[54:55], v[64:65]
; %bb.139:
	s_or_b32 exec_lo, exec_lo, s9
	v_mov_b64_e32 v[20:21], v[28:29]
	v_mov_b64_e32 v[32:33], v[24:25]
	s_mov_b32 s9, exec_lo
	v_cmpx_gt_i64_e64 v[34:35], v[24:25]
	;; [unrolled: 11-line block ×23, first 2 shown]
; %bb.182:
	v_mov_b64_e32 v[48:49], v[24:25]
	v_mov_b64_e32 v[24:25], v[54:55]
	;; [unrolled: 1-line block ×4, first 2 shown]
; %bb.183:
	s_or_b32 exec_lo, exec_lo, s9
.LBB710_184:
	s_delay_alu instid0(SALU_CYCLE_1) | instskip(SKIP_3) | instid1(VALU_DEP_2)
	s_or_b32 exec_lo, exec_lo, s8
	v_and_b32_e32 v1, 0xffffff00, v1
	v_or_b32_e32 v10, 8, v70
	s_mov_b32 s8, exec_lo
	v_sub_nc_u32_e64 v31, 0x800, v1 clamp
	v_lshlrev_b32_e32 v1, 3, v1
	s_delay_alu instid0(VALU_DEP_2) | instskip(SKIP_1) | instid1(VALU_DEP_3)
	v_min_u32_e32 v64, v31, v10
	v_and_b32_e32 v10, 0xf0, v70
	v_lshl_or_b32 v30, v70, 3, v1
	s_wait_loadcnt_dscnt 0x0
	ds_store_2addr_b64 v30, v[12:13], v[18:19] offset1:1
	ds_store_2addr_b64 v30, v[22:23], v[36:37] offset0:2 offset1:3
	v_add_min_u32_e64 v65, v64, 8, v31
	v_and_b32_e32 v11, 8, v70
	v_sub_nc_u32_e32 v67, v64, v10
	v_add_nc_u32_e32 v52, 0x4000, v30
	v_add_nc_u32_e32 v53, 0x4010, v30
	v_sub_nc_u32_e32 v55, v65, v64
	v_min_u32_e32 v11, v31, v11
	v_add_nc_u32_e32 v54, 0x4020, v30
	ds_store_2addr_b64 v52, v[4:5], v[16:17] offset1:1
	ds_store_2addr_b64 v53, v[20:21], v[26:27] offset1:1
	ds_store_2addr_b64 v30, v[34:35], v[24:25] offset0:4 offset1:5
	ds_store_2addr_b64 v30, v[48:49], v[14:15] offset0:6 offset1:7
	v_sub_nc_u32_e64 v66, v11, v55 clamp
	v_min_u32_e32 v68, v11, v67
	v_add_nc_u32_e32 v55, 0x4030, v30
	v_lshl_or_b32 v67, v10, 3, v1
	ds_store_2addr_b64 v54, v[32:33], v[38:39] offset1:1
	ds_store_2addr_b64 v55, v[28:29], v[50:51] offset1:1
	; wave barrier
	v_cmpx_lt_u32_e64 v66, v68
	s_cbranch_execz .LBB710_188
; %bb.185:
	v_dual_lshlrev_b32 v69, 3, v64 :: v_dual_lshlrev_b32 v80, 3, v11
	s_mov_b32 s9, 0
	s_delay_alu instid0(VALU_DEP_1)
	v_add3_u32 v69, v1, v69, v80
.LBB710_186:                            ; =>This Inner Loop Header: Depth=1
	v_add_nc_u32_e32 v80, v68, v66
	s_delay_alu instid0(VALU_DEP_1) | instskip(NEXT) | instid1(VALU_DEP_1)
	v_lshrrev_b32_e32 v84, 1, v80
	v_not_b32_e32 v80, v84
	v_lshl_add_u32 v81, v84, 3, v67
	s_delay_alu instid0(VALU_DEP_2)
	v_lshl_add_u32 v82, v80, 3, v69
	ds_load_b64 v[80:81], v81
	ds_load_b64 v[82:83], v82
	s_wait_dscnt 0x0
	v_cmp_gt_i64_e64 s7, v[82:83], v[80:81]
	v_add_nc_u32_e32 v80, 1, v84
	s_delay_alu instid0(VALU_DEP_1) | instskip(SKIP_1) | instid1(VALU_DEP_1)
	v_cndmask_b32_e64 v66, v80, v66, s7
	v_cndmask_b32_e64 v68, v68, v84, s7
	v_cmp_ge_u32_e64 s7, v66, v68
	s_or_b32 s9, s7, s9
	s_delay_alu instid0(SALU_CYCLE_1)
	s_and_not1_b32 exec_lo, exec_lo, s9
	s_cbranch_execnz .LBB710_186
; %bb.187:
	s_or_b32 exec_lo, exec_lo, s9
.LBB710_188:
	s_delay_alu instid0(SALU_CYCLE_1) | instskip(SKIP_1) | instid1(VALU_DEP_1)
	s_or_b32 exec_lo, exec_lo, s8
	v_dual_add_nc_u32 v11, v64, v11 :: v_dual_add_nc_u32 v68, v66, v10
	v_sub_nc_u32_e32 v69, v11, v66
	s_delay_alu instid0(VALU_DEP_2) | instskip(NEXT) | instid1(VALU_DEP_2)
	v_cmp_le_u32_e64 s7, v68, v64
	v_cmp_le_u32_e64 s8, v69, v65
	s_or_b32 s7, s7, s8
	s_delay_alu instid0(SALU_CYCLE_1)
	s_and_saveexec_b32 s18, s7
	s_cbranch_execz .LBB710_194
; %bb.189:
	v_cmp_lt_u32_e64 s7, v68, v64
                                        ; implicit-def: $vgpr10_vgpr11
	s_and_saveexec_b32 s8, s7
; %bb.190:
	v_lshl_add_u32 v4, v66, 3, v67
	ds_load_b64 v[10:11], v4
; %bb.191:
	s_or_b32 exec_lo, exec_lo, s8
	v_cmp_ge_u32_e64 s8, v69, v65
	s_mov_b32 s10, exec_lo
                                        ; implicit-def: $vgpr12_vgpr13
	v_cmpx_lt_u32_e64 v69, v65
; %bb.192:
	v_lshl_add_u32 v4, v69, 3, v1
	ds_load_b64 v[12:13], v4
; %bb.193:
	s_or_b32 exec_lo, exec_lo, s10
	s_wait_dscnt 0x0
	v_cmp_le_i64_e64 s9, v[12:13], v[10:11]
	s_and_b32 s7, s7, s9
	s_delay_alu instid0(SALU_CYCLE_1) | instskip(NEXT) | instid1(SALU_CYCLE_1)
	s_or_b32 s7, s8, s7
	v_cndmask_b32_e64 v16, v69, v68, s7
	s_delay_alu instid0(VALU_DEP_1) | instskip(NEXT) | instid1(VALU_DEP_1)
	v_add_nc_u32_e32 v17, 1, v16
	v_dual_cndmask_b32 v4, v65, v64, s7 :: v_dual_cndmask_b32 v20, v68, v17, s7
	s_delay_alu instid0(VALU_DEP_1) | instskip(NEXT) | instid1(VALU_DEP_2)
	v_add_min_u32_e64 v4, v4, -1, v17
	v_cmp_lt_u32_e64 s9, v20, v64
	s_delay_alu instid0(VALU_DEP_2)
	v_lshl_add_u32 v4, v4, 3, v1
	ds_load_b64 v[4:5], v4
	s_wait_dscnt 0x0
	v_dual_cndmask_b32 v15, v5, v13, s7 :: v_dual_cndmask_b32 v14, v4, v12, s7
	v_cndmask_b32_e64 v17, v17, v69, s7
	v_dual_cndmask_b32 v19, v11, v5, s7 :: v_dual_cndmask_b32 v18, v10, v4, s7
	v_cndmask_b32_e64 v12, v12, v10, s7
	s_delay_alu instid0(VALU_DEP_3) | instskip(NEXT) | instid1(VALU_DEP_3)
	v_cmp_ge_u32_e64 s10, v17, v65
	v_cmp_le_i64_e64 s8, v[14:15], v[18:19]
	s_and_b32 s8, s9, s8
	s_delay_alu instid0(SALU_CYCLE_1) | instskip(NEXT) | instid1(SALU_CYCLE_1)
	s_or_b32 s8, s10, s8
	v_cndmask_b32_e64 v21, v17, v20, s8
	s_delay_alu instid0(VALU_DEP_1) | instskip(SKIP_1) | instid1(VALU_DEP_2)
	v_dual_cndmask_b32 v4, v65, v64, s8 :: v_dual_add_nc_u32 v26, 1, v21
	v_cndmask_b32_e64 v13, v13, v11, s7
	v_add_min_u32_e64 v4, v4, -1, v26
	v_dual_cndmask_b32 v20, v20, v26, s8 :: v_dual_cndmask_b32 v17, v26, v17, s8
	s_delay_alu instid0(VALU_DEP_2) | instskip(NEXT) | instid1(VALU_DEP_2)
	v_lshl_add_u32 v4, v4, 3, v1
	v_cmp_lt_u32_e64 s10, v20, v64
	s_delay_alu instid0(VALU_DEP_3)
	v_cmp_ge_u32_e64 s11, v17, v65
	ds_load_b64 v[4:5], v4
	s_wait_dscnt 0x0
	v_dual_cndmask_b32 v23, v5, v15, s8 :: v_dual_cndmask_b32 v24, v18, v4, s8
	v_dual_cndmask_b32 v22, v4, v14, s8 :: v_dual_cndmask_b32 v25, v19, v5, s8
	;; [unrolled: 1-line block ×3, first 2 shown]
	s_delay_alu instid0(VALU_DEP_2) | instskip(SKIP_1) | instid1(SALU_CYCLE_1)
	v_cmp_le_i64_e64 s9, v[22:23], v[24:25]
	s_and_b32 s9, s10, s9
	s_or_b32 s9, s11, s9
	s_delay_alu instid0(SALU_CYCLE_1) | instskip(NEXT) | instid1(VALU_DEP_1)
	v_cndmask_b32_e64 v26, v17, v20, s9
	v_dual_cndmask_b32 v4, v65, v64, s9 :: v_dual_add_nc_u32 v27, 1, v26
	s_delay_alu instid0(VALU_DEP_1) | instskip(SKIP_1) | instid1(VALU_DEP_2)
	v_add_min_u32_e64 v4, v4, -1, v27
	v_dual_cndmask_b32 v20, v20, v27, s9 :: v_dual_cndmask_b32 v17, v27, v17, s9
	v_lshl_add_u32 v4, v4, 3, v1
	s_delay_alu instid0(VALU_DEP_2) | instskip(NEXT) | instid1(VALU_DEP_3)
	v_cmp_lt_u32_e64 s11, v20, v64
	v_cmp_ge_u32_e64 s12, v17, v65
	ds_load_b64 v[4:5], v4
	s_wait_dscnt 0x0
	v_dual_cndmask_b32 v35, v5, v23, s9 :: v_dual_cndmask_b32 v36, v24, v4, s9
	v_dual_cndmask_b32 v34, v4, v22, s9 :: v_dual_cndmask_b32 v37, v25, v5, s9
	;; [unrolled: 1-line block ×3, first 2 shown]
	s_delay_alu instid0(VALU_DEP_2) | instskip(SKIP_1) | instid1(SALU_CYCLE_1)
	v_cmp_le_i64_e64 s10, v[34:35], v[36:37]
	s_and_b32 s10, s11, s10
	s_or_b32 s10, s12, s10
	s_delay_alu instid0(SALU_CYCLE_1) | instskip(SKIP_1) | instid1(VALU_DEP_1)
	v_cndmask_b32_e64 v4, v65, v64, s10
	v_cndmask_b32_e64 v27, v17, v20, s10
	v_add_nc_u32_e32 v28, 1, v27
	s_delay_alu instid0(VALU_DEP_1) | instskip(NEXT) | instid1(VALU_DEP_1)
	v_add_min_u32_e64 v4, v4, -1, v28
	v_lshl_add_u32 v4, v4, 3, v1
	ds_load_b64 v[4:5], v4
	s_wait_dscnt 0x0
	v_dual_cndmask_b32 v49, v5, v35, s10 :: v_dual_cndmask_b32 v66, v36, v4, s10
	v_dual_cndmask_b32 v48, v4, v34, s10 :: v_dual_cndmask_b32 v67, v37, v5, s10
	v_cndmask_b32_e64 v20, v20, v28, s10
	v_cndmask_b32_e64 v17, v28, v17, s10
	v_dual_cndmask_b32 v37, v35, v37, s10 :: v_dual_cndmask_b32 v36, v34, v36, s10
	s_delay_alu instid0(VALU_DEP_4) | instskip(NEXT) | instid1(VALU_DEP_4)
	v_cmp_le_i64_e64 s11, v[48:49], v[66:67]
	v_cmp_lt_u32_e64 s12, v20, v64
	s_delay_alu instid0(VALU_DEP_4) | instskip(SKIP_1) | instid1(SALU_CYCLE_1)
	v_cmp_ge_u32_e64 s13, v17, v65
	s_and_b32 s11, s12, s11
	s_or_b32 s11, s13, s11
	s_delay_alu instid0(SALU_CYCLE_1) | instskip(SKIP_2) | instid1(VALU_DEP_2)
	v_cndmask_b32_e64 v4, v65, v64, s11
	v_cndmask_b32_e64 v28, v17, v20, s11
	v_dual_cndmask_b32 v35, v49, v67, s11 :: v_dual_cndmask_b32 v34, v48, v66, s11
	v_add_nc_u32_e32 v29, 1, v28
	s_delay_alu instid0(VALU_DEP_1) | instskip(SKIP_1) | instid1(VALU_DEP_2)
	v_add_min_u32_e64 v4, v4, -1, v29
	v_cndmask_b32_e64 v20, v20, v29, s11
	v_lshl_add_u32 v4, v4, 3, v1
	s_delay_alu instid0(VALU_DEP_2)
	v_cmp_lt_u32_e64 s13, v20, v64
	ds_load_b64 v[4:5], v4
	s_wait_dscnt 0x0
	v_dual_cndmask_b32 v69, v5, v49, s11 :: v_dual_cndmask_b32 v68, v4, v48, s11
	v_dual_cndmask_b32 v81, v67, v5, s11 :: v_dual_cndmask_b32 v80, v66, v4, s11
	v_cndmask_b32_e64 v17, v29, v17, s11
	v_lshl_add_u32 v28, v28, 3, v1
	s_delay_alu instid0(VALU_DEP_3) | instskip(NEXT) | instid1(VALU_DEP_3)
	v_cmp_le_i64_e64 s12, v[68:69], v[80:81]
	v_cmp_ge_u32_e64 s14, v17, v65
	s_and_b32 s12, s13, s12
	s_delay_alu instid0(SALU_CYCLE_1) | instskip(NEXT) | instid1(SALU_CYCLE_1)
	s_or_b32 s12, s14, s12
	v_cndmask_b32_e64 v29, v17, v20, s12
	v_cndmask_b32_e64 v4, v65, v64, s12
	v_dual_cndmask_b32 v25, v69, v81, s12 :: v_dual_cndmask_b32 v24, v68, v80, s12
	s_delay_alu instid0(VALU_DEP_3) | instskip(NEXT) | instid1(VALU_DEP_1)
	v_add_nc_u32_e32 v32, 1, v29
	v_add_min_u32_e64 v4, v4, -1, v32
	v_cndmask_b32_e64 v20, v20, v32, s12
	s_delay_alu instid0(VALU_DEP_2) | instskip(NEXT) | instid1(VALU_DEP_2)
	v_lshl_add_u32 v4, v4, 3, v1
	v_cmp_lt_u32_e64 s14, v20, v64
	ds_load_b64 v[4:5], v4
	s_wait_dscnt 0x0
	v_dual_cndmask_b32 v83, v5, v69, s12 :: v_dual_cndmask_b32 v84, v80, v4, s12
	v_dual_cndmask_b32 v82, v4, v68, s12 :: v_dual_cndmask_b32 v85, v81, v5, s12
	v_cndmask_b32_e64 v17, v32, v17, s12
	v_lshl_add_u32 v29, v29, 3, v1
	s_delay_alu instid0(VALU_DEP_3) | instskip(NEXT) | instid1(VALU_DEP_3)
	v_cmp_le_i64_e64 s13, v[82:83], v[84:85]
	v_cmp_ge_u32_e64 s15, v17, v65
	s_and_b32 s13, s14, s13
	s_delay_alu instid0(SALU_CYCLE_1) | instskip(NEXT) | instid1(SALU_CYCLE_1)
	s_or_b32 s13, s15, s13
	v_dual_cndmask_b32 v32, v17, v20, s13 :: v_dual_cndmask_b32 v49, v83, v85, s13
	v_cndmask_b32_e64 v48, v82, v84, s13
	s_delay_alu instid0(VALU_DEP_2) | instskip(NEXT) | instid1(VALU_DEP_1)
	v_add_nc_u32_e32 v33, 1, v32
	v_dual_cndmask_b32 v4, v65, v64, s13 :: v_dual_cndmask_b32 v38, v20, v33, s13
	s_delay_alu instid0(VALU_DEP_1) | instskip(SKIP_2) | instid1(VALU_DEP_4)
	v_add_min_u32_e64 v4, v4, -1, v33
	v_lshl_add_u32 v20, v26, 3, v1
	v_lshl_add_u32 v26, v27, 3, v1
	v_cmp_lt_u32_e64 s15, v38, v64
	s_delay_alu instid0(VALU_DEP_4)
	v_lshl_add_u32 v4, v4, 3, v1
	ds_load_b64 v[4:5], v4
	s_wait_dscnt 0x0
	v_dual_cndmask_b32 v87, v5, v83, s13 :: v_dual_cndmask_b32 v86, v4, v82, s13
	v_dual_cndmask_b32 v97, v85, v5, s13 :: v_dual_cndmask_b32 v96, v84, v4, s13
	v_cndmask_b32_e64 v33, v33, v17, s13
	v_lshl_add_u32 v4, v16, 3, v1
	v_lshl_add_u32 v16, v21, 3, v1
	;; [unrolled: 1-line block ×3, first 2 shown]
	v_cmp_le_i64_e64 s14, v[86:87], v[96:97]
	v_cmp_ge_u32_e64 s16, v33, v65
	ds_load_b64 v[4:5], v4 offset:16384
	ds_load_b64 v[16:17], v16 offset:16384
	;; [unrolled: 1-line block ×4, first 2 shown]
	s_and_b32 s14, s15, s14
	s_delay_alu instid0(SALU_CYCLE_1) | instskip(NEXT) | instid1(SALU_CYCLE_1)
	s_or_b32 s14, s16, s14
	v_dual_cndmask_b32 v33, v33, v38, s14 :: v_dual_cndmask_b32 v15, v87, v97, s14
	v_cndmask_b32_e64 v14, v86, v96, s14
	s_delay_alu instid0(VALU_DEP_2)
	v_lshl_add_u32 v51, v33, 3, v1
	ds_load_b64 v[32:33], v28 offset:16384
	ds_load_b64 v[38:39], v29 offset:16384
	;; [unrolled: 1-line block ×4, first 2 shown]
.LBB710_194:
	s_or_b32 exec_lo, exec_lo, s18
	v_and_b32_e32 v10, 0xe0, v70
	s_mov_b32 s8, exec_lo
	; wave barrier
	ds_store_2addr_b64 v30, v[12:13], v[18:19] offset1:1
	ds_store_2addr_b64 v30, v[22:23], v[36:37] offset0:2 offset1:3
	v_or_b32_e32 v11, 16, v10
	s_wait_dscnt 0x8
	ds_store_2addr_b64 v52, v[4:5], v[16:17] offset1:1
	s_wait_dscnt 0x7
	ds_store_2addr_b64 v53, v[20:21], v[26:27] offset1:1
	ds_store_2addr_b64 v30, v[34:35], v[24:25] offset0:4 offset1:5
	ds_store_2addr_b64 v30, v[48:49], v[14:15] offset0:6 offset1:7
	s_wait_dscnt 0x8
	ds_store_2addr_b64 v54, v[32:33], v[38:39] offset1:1
	s_wait_dscnt 0x7
	ds_store_2addr_b64 v55, v[28:29], v[50:51] offset1:1
	; wave barrier
	v_min_u32_e32 v64, v31, v11
	s_delay_alu instid0(VALU_DEP_1) | instskip(SKIP_1) | instid1(VALU_DEP_2)
	v_add_min_u32_e64 v65, v64, 16, v31
	v_and_b32_e32 v11, 24, v70
	v_dual_sub_nc_u32 v66, v64, v10 :: v_dual_sub_nc_u32 v67, v65, v64
	s_delay_alu instid0(VALU_DEP_2) | instskip(NEXT) | instid1(VALU_DEP_1)
	v_min_u32_e32 v11, v31, v11
	v_min_u32_e32 v68, v11, v66
	s_delay_alu instid0(VALU_DEP_3) | instskip(SKIP_1) | instid1(VALU_DEP_2)
	v_sub_nc_u32_e64 v66, v11, v67 clamp
	v_lshl_add_u32 v67, v10, 3, v1
	v_cmpx_lt_u32_e64 v66, v68
	s_cbranch_execz .LBB710_198
; %bb.195:
	v_dual_lshlrev_b32 v69, 3, v64 :: v_dual_lshlrev_b32 v80, 3, v11
	s_mov_b32 s9, 0
	s_delay_alu instid0(VALU_DEP_1)
	v_add3_u32 v69, v1, v69, v80
.LBB710_196:                            ; =>This Inner Loop Header: Depth=1
	v_add_nc_u32_e32 v80, v68, v66
	s_delay_alu instid0(VALU_DEP_1) | instskip(NEXT) | instid1(VALU_DEP_1)
	v_lshrrev_b32_e32 v84, 1, v80
	v_not_b32_e32 v80, v84
	v_lshl_add_u32 v81, v84, 3, v67
	s_delay_alu instid0(VALU_DEP_2)
	v_lshl_add_u32 v82, v80, 3, v69
	ds_load_b64 v[80:81], v81
	ds_load_b64 v[82:83], v82
	s_wait_dscnt 0x0
	v_cmp_gt_i64_e64 s7, v[82:83], v[80:81]
	v_add_nc_u32_e32 v80, 1, v84
	s_delay_alu instid0(VALU_DEP_1) | instskip(SKIP_1) | instid1(VALU_DEP_1)
	v_cndmask_b32_e64 v66, v80, v66, s7
	v_cndmask_b32_e64 v68, v68, v84, s7
	v_cmp_ge_u32_e64 s7, v66, v68
	s_or_b32 s9, s7, s9
	s_delay_alu instid0(SALU_CYCLE_1)
	s_and_not1_b32 exec_lo, exec_lo, s9
	s_cbranch_execnz .LBB710_196
; %bb.197:
	s_or_b32 exec_lo, exec_lo, s9
.LBB710_198:
	s_delay_alu instid0(SALU_CYCLE_1) | instskip(SKIP_1) | instid1(VALU_DEP_1)
	s_or_b32 exec_lo, exec_lo, s8
	v_dual_add_nc_u32 v11, v64, v11 :: v_dual_add_nc_u32 v68, v66, v10
	v_sub_nc_u32_e32 v69, v11, v66
	s_delay_alu instid0(VALU_DEP_2) | instskip(NEXT) | instid1(VALU_DEP_2)
	v_cmp_le_u32_e64 s7, v68, v64
	v_cmp_le_u32_e64 s8, v69, v65
	s_or_b32 s7, s7, s8
	s_delay_alu instid0(SALU_CYCLE_1)
	s_and_saveexec_b32 s18, s7
	s_cbranch_execz .LBB710_204
; %bb.199:
	v_cmp_lt_u32_e64 s7, v68, v64
                                        ; implicit-def: $vgpr10_vgpr11
	s_and_saveexec_b32 s8, s7
; %bb.200:
	v_lshl_add_u32 v4, v66, 3, v67
	ds_load_b64 v[10:11], v4
; %bb.201:
	s_or_b32 exec_lo, exec_lo, s8
	v_cmp_ge_u32_e64 s8, v69, v65
	s_mov_b32 s10, exec_lo
                                        ; implicit-def: $vgpr12_vgpr13
	v_cmpx_lt_u32_e64 v69, v65
; %bb.202:
	v_lshl_add_u32 v4, v69, 3, v1
	ds_load_b64 v[12:13], v4
; %bb.203:
	s_or_b32 exec_lo, exec_lo, s10
	s_wait_dscnt 0x0
	v_cmp_le_i64_e64 s9, v[12:13], v[10:11]
	s_and_b32 s7, s7, s9
	s_delay_alu instid0(SALU_CYCLE_1) | instskip(NEXT) | instid1(SALU_CYCLE_1)
	s_or_b32 s7, s8, s7
	v_cndmask_b32_e64 v16, v69, v68, s7
	s_delay_alu instid0(VALU_DEP_1) | instskip(NEXT) | instid1(VALU_DEP_1)
	v_add_nc_u32_e32 v17, 1, v16
	v_dual_cndmask_b32 v4, v65, v64, s7 :: v_dual_cndmask_b32 v20, v68, v17, s7
	s_delay_alu instid0(VALU_DEP_1) | instskip(NEXT) | instid1(VALU_DEP_2)
	v_add_min_u32_e64 v4, v4, -1, v17
	v_cmp_lt_u32_e64 s9, v20, v64
	s_delay_alu instid0(VALU_DEP_2)
	v_lshl_add_u32 v4, v4, 3, v1
	ds_load_b64 v[4:5], v4
	s_wait_dscnt 0x0
	v_dual_cndmask_b32 v15, v5, v13, s7 :: v_dual_cndmask_b32 v14, v4, v12, s7
	v_cndmask_b32_e64 v17, v17, v69, s7
	v_dual_cndmask_b32 v19, v11, v5, s7 :: v_dual_cndmask_b32 v18, v10, v4, s7
	v_cndmask_b32_e64 v12, v12, v10, s7
	s_delay_alu instid0(VALU_DEP_3) | instskip(NEXT) | instid1(VALU_DEP_3)
	v_cmp_ge_u32_e64 s10, v17, v65
	v_cmp_le_i64_e64 s8, v[14:15], v[18:19]
	s_and_b32 s8, s9, s8
	s_delay_alu instid0(SALU_CYCLE_1) | instskip(NEXT) | instid1(SALU_CYCLE_1)
	s_or_b32 s8, s10, s8
	v_cndmask_b32_e64 v21, v17, v20, s8
	s_delay_alu instid0(VALU_DEP_1) | instskip(SKIP_1) | instid1(VALU_DEP_2)
	v_dual_cndmask_b32 v4, v65, v64, s8 :: v_dual_add_nc_u32 v26, 1, v21
	v_cndmask_b32_e64 v13, v13, v11, s7
	v_add_min_u32_e64 v4, v4, -1, v26
	v_dual_cndmask_b32 v20, v20, v26, s8 :: v_dual_cndmask_b32 v17, v26, v17, s8
	s_delay_alu instid0(VALU_DEP_2) | instskip(NEXT) | instid1(VALU_DEP_2)
	v_lshl_add_u32 v4, v4, 3, v1
	v_cmp_lt_u32_e64 s10, v20, v64
	s_delay_alu instid0(VALU_DEP_3)
	v_cmp_ge_u32_e64 s11, v17, v65
	ds_load_b64 v[4:5], v4
	s_wait_dscnt 0x0
	v_dual_cndmask_b32 v23, v5, v15, s8 :: v_dual_cndmask_b32 v24, v18, v4, s8
	v_dual_cndmask_b32 v22, v4, v14, s8 :: v_dual_cndmask_b32 v25, v19, v5, s8
	;; [unrolled: 1-line block ×3, first 2 shown]
	s_delay_alu instid0(VALU_DEP_2) | instskip(SKIP_1) | instid1(SALU_CYCLE_1)
	v_cmp_le_i64_e64 s9, v[22:23], v[24:25]
	s_and_b32 s9, s10, s9
	s_or_b32 s9, s11, s9
	s_delay_alu instid0(SALU_CYCLE_1) | instskip(NEXT) | instid1(VALU_DEP_1)
	v_cndmask_b32_e64 v26, v17, v20, s9
	v_dual_cndmask_b32 v4, v65, v64, s9 :: v_dual_add_nc_u32 v27, 1, v26
	s_delay_alu instid0(VALU_DEP_1) | instskip(SKIP_1) | instid1(VALU_DEP_2)
	v_add_min_u32_e64 v4, v4, -1, v27
	v_dual_cndmask_b32 v20, v20, v27, s9 :: v_dual_cndmask_b32 v17, v27, v17, s9
	v_lshl_add_u32 v4, v4, 3, v1
	s_delay_alu instid0(VALU_DEP_2) | instskip(NEXT) | instid1(VALU_DEP_3)
	v_cmp_lt_u32_e64 s11, v20, v64
	v_cmp_ge_u32_e64 s12, v17, v65
	ds_load_b64 v[4:5], v4
	s_wait_dscnt 0x0
	v_dual_cndmask_b32 v35, v5, v23, s9 :: v_dual_cndmask_b32 v36, v24, v4, s9
	v_dual_cndmask_b32 v34, v4, v22, s9 :: v_dual_cndmask_b32 v37, v25, v5, s9
	;; [unrolled: 1-line block ×3, first 2 shown]
	s_delay_alu instid0(VALU_DEP_2) | instskip(SKIP_1) | instid1(SALU_CYCLE_1)
	v_cmp_le_i64_e64 s10, v[34:35], v[36:37]
	s_and_b32 s10, s11, s10
	s_or_b32 s10, s12, s10
	s_delay_alu instid0(SALU_CYCLE_1) | instskip(SKIP_1) | instid1(VALU_DEP_1)
	v_cndmask_b32_e64 v4, v65, v64, s10
	v_cndmask_b32_e64 v27, v17, v20, s10
	v_add_nc_u32_e32 v28, 1, v27
	s_delay_alu instid0(VALU_DEP_1) | instskip(NEXT) | instid1(VALU_DEP_1)
	v_add_min_u32_e64 v4, v4, -1, v28
	v_lshl_add_u32 v4, v4, 3, v1
	ds_load_b64 v[4:5], v4
	s_wait_dscnt 0x0
	v_dual_cndmask_b32 v49, v5, v35, s10 :: v_dual_cndmask_b32 v66, v36, v4, s10
	v_dual_cndmask_b32 v48, v4, v34, s10 :: v_dual_cndmask_b32 v67, v37, v5, s10
	v_cndmask_b32_e64 v20, v20, v28, s10
	v_cndmask_b32_e64 v17, v28, v17, s10
	v_dual_cndmask_b32 v37, v35, v37, s10 :: v_dual_cndmask_b32 v36, v34, v36, s10
	s_delay_alu instid0(VALU_DEP_4) | instskip(NEXT) | instid1(VALU_DEP_4)
	v_cmp_le_i64_e64 s11, v[48:49], v[66:67]
	v_cmp_lt_u32_e64 s12, v20, v64
	s_delay_alu instid0(VALU_DEP_4) | instskip(SKIP_1) | instid1(SALU_CYCLE_1)
	v_cmp_ge_u32_e64 s13, v17, v65
	s_and_b32 s11, s12, s11
	s_or_b32 s11, s13, s11
	s_delay_alu instid0(SALU_CYCLE_1) | instskip(SKIP_2) | instid1(VALU_DEP_2)
	v_cndmask_b32_e64 v4, v65, v64, s11
	v_cndmask_b32_e64 v28, v17, v20, s11
	v_dual_cndmask_b32 v35, v49, v67, s11 :: v_dual_cndmask_b32 v34, v48, v66, s11
	v_add_nc_u32_e32 v29, 1, v28
	s_delay_alu instid0(VALU_DEP_1) | instskip(SKIP_1) | instid1(VALU_DEP_2)
	v_add_min_u32_e64 v4, v4, -1, v29
	v_cndmask_b32_e64 v20, v20, v29, s11
	v_lshl_add_u32 v4, v4, 3, v1
	s_delay_alu instid0(VALU_DEP_2)
	v_cmp_lt_u32_e64 s13, v20, v64
	ds_load_b64 v[4:5], v4
	s_wait_dscnt 0x0
	v_dual_cndmask_b32 v69, v5, v49, s11 :: v_dual_cndmask_b32 v68, v4, v48, s11
	v_dual_cndmask_b32 v81, v67, v5, s11 :: v_dual_cndmask_b32 v80, v66, v4, s11
	v_cndmask_b32_e64 v17, v29, v17, s11
	v_lshl_add_u32 v28, v28, 3, v1
	s_delay_alu instid0(VALU_DEP_3) | instskip(NEXT) | instid1(VALU_DEP_3)
	v_cmp_le_i64_e64 s12, v[68:69], v[80:81]
	v_cmp_ge_u32_e64 s14, v17, v65
	s_and_b32 s12, s13, s12
	s_delay_alu instid0(SALU_CYCLE_1) | instskip(NEXT) | instid1(SALU_CYCLE_1)
	s_or_b32 s12, s14, s12
	v_cndmask_b32_e64 v29, v17, v20, s12
	v_cndmask_b32_e64 v4, v65, v64, s12
	v_dual_cndmask_b32 v25, v69, v81, s12 :: v_dual_cndmask_b32 v24, v68, v80, s12
	s_delay_alu instid0(VALU_DEP_3) | instskip(NEXT) | instid1(VALU_DEP_1)
	v_add_nc_u32_e32 v32, 1, v29
	v_add_min_u32_e64 v4, v4, -1, v32
	v_cndmask_b32_e64 v20, v20, v32, s12
	s_delay_alu instid0(VALU_DEP_2) | instskip(NEXT) | instid1(VALU_DEP_2)
	v_lshl_add_u32 v4, v4, 3, v1
	v_cmp_lt_u32_e64 s14, v20, v64
	ds_load_b64 v[4:5], v4
	s_wait_dscnt 0x0
	v_dual_cndmask_b32 v83, v5, v69, s12 :: v_dual_cndmask_b32 v84, v80, v4, s12
	v_dual_cndmask_b32 v82, v4, v68, s12 :: v_dual_cndmask_b32 v85, v81, v5, s12
	v_cndmask_b32_e64 v17, v32, v17, s12
	v_lshl_add_u32 v29, v29, 3, v1
	s_delay_alu instid0(VALU_DEP_3) | instskip(NEXT) | instid1(VALU_DEP_3)
	v_cmp_le_i64_e64 s13, v[82:83], v[84:85]
	v_cmp_ge_u32_e64 s15, v17, v65
	s_and_b32 s13, s14, s13
	s_delay_alu instid0(SALU_CYCLE_1) | instskip(NEXT) | instid1(SALU_CYCLE_1)
	s_or_b32 s13, s15, s13
	v_dual_cndmask_b32 v32, v17, v20, s13 :: v_dual_cndmask_b32 v49, v83, v85, s13
	v_cndmask_b32_e64 v48, v82, v84, s13
	s_delay_alu instid0(VALU_DEP_2) | instskip(NEXT) | instid1(VALU_DEP_1)
	v_add_nc_u32_e32 v33, 1, v32
	v_dual_cndmask_b32 v4, v65, v64, s13 :: v_dual_cndmask_b32 v38, v20, v33, s13
	s_delay_alu instid0(VALU_DEP_1) | instskip(SKIP_2) | instid1(VALU_DEP_4)
	v_add_min_u32_e64 v4, v4, -1, v33
	v_lshl_add_u32 v20, v26, 3, v1
	v_lshl_add_u32 v26, v27, 3, v1
	v_cmp_lt_u32_e64 s15, v38, v64
	s_delay_alu instid0(VALU_DEP_4)
	v_lshl_add_u32 v4, v4, 3, v1
	ds_load_b64 v[4:5], v4
	s_wait_dscnt 0x0
	v_dual_cndmask_b32 v87, v5, v83, s13 :: v_dual_cndmask_b32 v86, v4, v82, s13
	v_dual_cndmask_b32 v97, v85, v5, s13 :: v_dual_cndmask_b32 v96, v84, v4, s13
	v_cndmask_b32_e64 v33, v33, v17, s13
	v_lshl_add_u32 v4, v16, 3, v1
	v_lshl_add_u32 v16, v21, 3, v1
	;; [unrolled: 1-line block ×3, first 2 shown]
	v_cmp_le_i64_e64 s14, v[86:87], v[96:97]
	v_cmp_ge_u32_e64 s16, v33, v65
	ds_load_b64 v[4:5], v4 offset:16384
	ds_load_b64 v[16:17], v16 offset:16384
	;; [unrolled: 1-line block ×4, first 2 shown]
	s_and_b32 s14, s15, s14
	s_delay_alu instid0(SALU_CYCLE_1) | instskip(NEXT) | instid1(SALU_CYCLE_1)
	s_or_b32 s14, s16, s14
	v_dual_cndmask_b32 v33, v33, v38, s14 :: v_dual_cndmask_b32 v15, v87, v97, s14
	v_cndmask_b32_e64 v14, v86, v96, s14
	s_delay_alu instid0(VALU_DEP_2)
	v_lshl_add_u32 v51, v33, 3, v1
	ds_load_b64 v[32:33], v28 offset:16384
	ds_load_b64 v[38:39], v29 offset:16384
	;; [unrolled: 1-line block ×4, first 2 shown]
.LBB710_204:
	s_or_b32 exec_lo, exec_lo, s18
	v_and_b32_e32 v10, 0xc0, v70
	s_mov_b32 s8, exec_lo
	; wave barrier
	ds_store_2addr_b64 v30, v[12:13], v[18:19] offset1:1
	ds_store_2addr_b64 v30, v[22:23], v[36:37] offset0:2 offset1:3
	v_or_b32_e32 v11, 32, v10
	s_wait_dscnt 0x8
	ds_store_2addr_b64 v52, v[4:5], v[16:17] offset1:1
	s_wait_dscnt 0x7
	ds_store_2addr_b64 v53, v[20:21], v[26:27] offset1:1
	ds_store_2addr_b64 v30, v[34:35], v[24:25] offset0:4 offset1:5
	ds_store_2addr_b64 v30, v[48:49], v[14:15] offset0:6 offset1:7
	s_wait_dscnt 0x8
	ds_store_2addr_b64 v54, v[32:33], v[38:39] offset1:1
	s_wait_dscnt 0x7
	ds_store_2addr_b64 v55, v[28:29], v[50:51] offset1:1
	; wave barrier
	v_min_u32_e32 v64, v31, v11
	s_delay_alu instid0(VALU_DEP_1) | instskip(SKIP_1) | instid1(VALU_DEP_2)
	v_add_min_u32_e64 v65, v64, 32, v31
	v_and_b32_e32 v11, 56, v70
	v_dual_sub_nc_u32 v66, v64, v10 :: v_dual_sub_nc_u32 v67, v65, v64
	s_delay_alu instid0(VALU_DEP_2) | instskip(NEXT) | instid1(VALU_DEP_1)
	v_min_u32_e32 v11, v31, v11
	v_min_u32_e32 v68, v11, v66
	s_delay_alu instid0(VALU_DEP_3) | instskip(SKIP_1) | instid1(VALU_DEP_2)
	v_sub_nc_u32_e64 v66, v11, v67 clamp
	v_lshl_add_u32 v67, v10, 3, v1
	v_cmpx_lt_u32_e64 v66, v68
	s_cbranch_execz .LBB710_208
; %bb.205:
	v_dual_lshlrev_b32 v69, 3, v64 :: v_dual_lshlrev_b32 v80, 3, v11
	s_mov_b32 s9, 0
	s_delay_alu instid0(VALU_DEP_1)
	v_add3_u32 v69, v1, v69, v80
.LBB710_206:                            ; =>This Inner Loop Header: Depth=1
	v_add_nc_u32_e32 v80, v68, v66
	s_delay_alu instid0(VALU_DEP_1) | instskip(NEXT) | instid1(VALU_DEP_1)
	v_lshrrev_b32_e32 v84, 1, v80
	v_not_b32_e32 v80, v84
	v_lshl_add_u32 v81, v84, 3, v67
	s_delay_alu instid0(VALU_DEP_2)
	v_lshl_add_u32 v82, v80, 3, v69
	ds_load_b64 v[80:81], v81
	ds_load_b64 v[82:83], v82
	s_wait_dscnt 0x0
	v_cmp_gt_i64_e64 s7, v[82:83], v[80:81]
	v_add_nc_u32_e32 v80, 1, v84
	s_delay_alu instid0(VALU_DEP_1) | instskip(SKIP_1) | instid1(VALU_DEP_1)
	v_cndmask_b32_e64 v66, v80, v66, s7
	v_cndmask_b32_e64 v68, v68, v84, s7
	v_cmp_ge_u32_e64 s7, v66, v68
	s_or_b32 s9, s7, s9
	s_delay_alu instid0(SALU_CYCLE_1)
	s_and_not1_b32 exec_lo, exec_lo, s9
	s_cbranch_execnz .LBB710_206
; %bb.207:
	s_or_b32 exec_lo, exec_lo, s9
.LBB710_208:
	s_delay_alu instid0(SALU_CYCLE_1) | instskip(SKIP_1) | instid1(VALU_DEP_1)
	s_or_b32 exec_lo, exec_lo, s8
	v_dual_add_nc_u32 v11, v64, v11 :: v_dual_add_nc_u32 v68, v66, v10
	v_sub_nc_u32_e32 v69, v11, v66
	s_delay_alu instid0(VALU_DEP_2) | instskip(NEXT) | instid1(VALU_DEP_2)
	v_cmp_le_u32_e64 s7, v68, v64
	v_cmp_le_u32_e64 s8, v69, v65
	s_or_b32 s7, s7, s8
	s_delay_alu instid0(SALU_CYCLE_1)
	s_and_saveexec_b32 s18, s7
	s_cbranch_execz .LBB710_214
; %bb.209:
	v_cmp_lt_u32_e64 s7, v68, v64
                                        ; implicit-def: $vgpr10_vgpr11
	s_and_saveexec_b32 s8, s7
; %bb.210:
	v_lshl_add_u32 v4, v66, 3, v67
	ds_load_b64 v[10:11], v4
; %bb.211:
	s_or_b32 exec_lo, exec_lo, s8
	v_cmp_ge_u32_e64 s8, v69, v65
	s_mov_b32 s10, exec_lo
                                        ; implicit-def: $vgpr12_vgpr13
	v_cmpx_lt_u32_e64 v69, v65
; %bb.212:
	v_lshl_add_u32 v4, v69, 3, v1
	ds_load_b64 v[12:13], v4
; %bb.213:
	s_or_b32 exec_lo, exec_lo, s10
	s_wait_dscnt 0x0
	v_cmp_le_i64_e64 s9, v[12:13], v[10:11]
	s_and_b32 s7, s7, s9
	s_delay_alu instid0(SALU_CYCLE_1) | instskip(NEXT) | instid1(SALU_CYCLE_1)
	s_or_b32 s7, s8, s7
	v_cndmask_b32_e64 v16, v69, v68, s7
	s_delay_alu instid0(VALU_DEP_1) | instskip(NEXT) | instid1(VALU_DEP_1)
	v_add_nc_u32_e32 v17, 1, v16
	v_dual_cndmask_b32 v4, v65, v64, s7 :: v_dual_cndmask_b32 v20, v68, v17, s7
	s_delay_alu instid0(VALU_DEP_1) | instskip(NEXT) | instid1(VALU_DEP_2)
	v_add_min_u32_e64 v4, v4, -1, v17
	v_cmp_lt_u32_e64 s9, v20, v64
	s_delay_alu instid0(VALU_DEP_2)
	v_lshl_add_u32 v4, v4, 3, v1
	ds_load_b64 v[4:5], v4
	s_wait_dscnt 0x0
	v_dual_cndmask_b32 v15, v5, v13, s7 :: v_dual_cndmask_b32 v14, v4, v12, s7
	v_cndmask_b32_e64 v17, v17, v69, s7
	v_dual_cndmask_b32 v19, v11, v5, s7 :: v_dual_cndmask_b32 v18, v10, v4, s7
	v_cndmask_b32_e64 v12, v12, v10, s7
	s_delay_alu instid0(VALU_DEP_3) | instskip(NEXT) | instid1(VALU_DEP_3)
	v_cmp_ge_u32_e64 s10, v17, v65
	v_cmp_le_i64_e64 s8, v[14:15], v[18:19]
	s_and_b32 s8, s9, s8
	s_delay_alu instid0(SALU_CYCLE_1) | instskip(NEXT) | instid1(SALU_CYCLE_1)
	s_or_b32 s8, s10, s8
	v_cndmask_b32_e64 v21, v17, v20, s8
	s_delay_alu instid0(VALU_DEP_1) | instskip(SKIP_1) | instid1(VALU_DEP_2)
	v_dual_cndmask_b32 v4, v65, v64, s8 :: v_dual_add_nc_u32 v26, 1, v21
	v_cndmask_b32_e64 v13, v13, v11, s7
	v_add_min_u32_e64 v4, v4, -1, v26
	v_dual_cndmask_b32 v20, v20, v26, s8 :: v_dual_cndmask_b32 v17, v26, v17, s8
	s_delay_alu instid0(VALU_DEP_2) | instskip(NEXT) | instid1(VALU_DEP_2)
	v_lshl_add_u32 v4, v4, 3, v1
	v_cmp_lt_u32_e64 s10, v20, v64
	s_delay_alu instid0(VALU_DEP_3)
	v_cmp_ge_u32_e64 s11, v17, v65
	ds_load_b64 v[4:5], v4
	s_wait_dscnt 0x0
	v_dual_cndmask_b32 v23, v5, v15, s8 :: v_dual_cndmask_b32 v24, v18, v4, s8
	v_dual_cndmask_b32 v22, v4, v14, s8 :: v_dual_cndmask_b32 v25, v19, v5, s8
	;; [unrolled: 1-line block ×3, first 2 shown]
	s_delay_alu instid0(VALU_DEP_2) | instskip(SKIP_1) | instid1(SALU_CYCLE_1)
	v_cmp_le_i64_e64 s9, v[22:23], v[24:25]
	s_and_b32 s9, s10, s9
	s_or_b32 s9, s11, s9
	s_delay_alu instid0(SALU_CYCLE_1) | instskip(NEXT) | instid1(VALU_DEP_1)
	v_cndmask_b32_e64 v26, v17, v20, s9
	v_dual_cndmask_b32 v4, v65, v64, s9 :: v_dual_add_nc_u32 v27, 1, v26
	s_delay_alu instid0(VALU_DEP_1) | instskip(SKIP_1) | instid1(VALU_DEP_2)
	v_add_min_u32_e64 v4, v4, -1, v27
	v_dual_cndmask_b32 v20, v20, v27, s9 :: v_dual_cndmask_b32 v17, v27, v17, s9
	v_lshl_add_u32 v4, v4, 3, v1
	s_delay_alu instid0(VALU_DEP_2) | instskip(NEXT) | instid1(VALU_DEP_3)
	v_cmp_lt_u32_e64 s11, v20, v64
	v_cmp_ge_u32_e64 s12, v17, v65
	ds_load_b64 v[4:5], v4
	s_wait_dscnt 0x0
	v_dual_cndmask_b32 v35, v5, v23, s9 :: v_dual_cndmask_b32 v36, v24, v4, s9
	v_dual_cndmask_b32 v34, v4, v22, s9 :: v_dual_cndmask_b32 v37, v25, v5, s9
	;; [unrolled: 1-line block ×3, first 2 shown]
	s_delay_alu instid0(VALU_DEP_2) | instskip(SKIP_1) | instid1(SALU_CYCLE_1)
	v_cmp_le_i64_e64 s10, v[34:35], v[36:37]
	s_and_b32 s10, s11, s10
	s_or_b32 s10, s12, s10
	s_delay_alu instid0(SALU_CYCLE_1) | instskip(SKIP_1) | instid1(VALU_DEP_1)
	v_cndmask_b32_e64 v4, v65, v64, s10
	v_cndmask_b32_e64 v27, v17, v20, s10
	v_add_nc_u32_e32 v28, 1, v27
	s_delay_alu instid0(VALU_DEP_1) | instskip(NEXT) | instid1(VALU_DEP_1)
	v_add_min_u32_e64 v4, v4, -1, v28
	v_lshl_add_u32 v4, v4, 3, v1
	ds_load_b64 v[4:5], v4
	s_wait_dscnt 0x0
	v_dual_cndmask_b32 v49, v5, v35, s10 :: v_dual_cndmask_b32 v66, v36, v4, s10
	v_dual_cndmask_b32 v48, v4, v34, s10 :: v_dual_cndmask_b32 v67, v37, v5, s10
	v_cndmask_b32_e64 v20, v20, v28, s10
	v_cndmask_b32_e64 v17, v28, v17, s10
	v_dual_cndmask_b32 v37, v35, v37, s10 :: v_dual_cndmask_b32 v36, v34, v36, s10
	s_delay_alu instid0(VALU_DEP_4) | instskip(NEXT) | instid1(VALU_DEP_4)
	v_cmp_le_i64_e64 s11, v[48:49], v[66:67]
	v_cmp_lt_u32_e64 s12, v20, v64
	s_delay_alu instid0(VALU_DEP_4) | instskip(SKIP_1) | instid1(SALU_CYCLE_1)
	v_cmp_ge_u32_e64 s13, v17, v65
	s_and_b32 s11, s12, s11
	s_or_b32 s11, s13, s11
	s_delay_alu instid0(SALU_CYCLE_1) | instskip(SKIP_2) | instid1(VALU_DEP_2)
	v_cndmask_b32_e64 v4, v65, v64, s11
	v_cndmask_b32_e64 v28, v17, v20, s11
	v_dual_cndmask_b32 v35, v49, v67, s11 :: v_dual_cndmask_b32 v34, v48, v66, s11
	v_add_nc_u32_e32 v29, 1, v28
	s_delay_alu instid0(VALU_DEP_1) | instskip(SKIP_1) | instid1(VALU_DEP_2)
	v_add_min_u32_e64 v4, v4, -1, v29
	v_cndmask_b32_e64 v20, v20, v29, s11
	v_lshl_add_u32 v4, v4, 3, v1
	s_delay_alu instid0(VALU_DEP_2)
	v_cmp_lt_u32_e64 s13, v20, v64
	ds_load_b64 v[4:5], v4
	s_wait_dscnt 0x0
	v_dual_cndmask_b32 v69, v5, v49, s11 :: v_dual_cndmask_b32 v68, v4, v48, s11
	v_dual_cndmask_b32 v81, v67, v5, s11 :: v_dual_cndmask_b32 v80, v66, v4, s11
	v_cndmask_b32_e64 v17, v29, v17, s11
	v_lshl_add_u32 v28, v28, 3, v1
	s_delay_alu instid0(VALU_DEP_3) | instskip(NEXT) | instid1(VALU_DEP_3)
	v_cmp_le_i64_e64 s12, v[68:69], v[80:81]
	v_cmp_ge_u32_e64 s14, v17, v65
	s_and_b32 s12, s13, s12
	s_delay_alu instid0(SALU_CYCLE_1) | instskip(NEXT) | instid1(SALU_CYCLE_1)
	s_or_b32 s12, s14, s12
	v_cndmask_b32_e64 v29, v17, v20, s12
	v_cndmask_b32_e64 v4, v65, v64, s12
	v_dual_cndmask_b32 v25, v69, v81, s12 :: v_dual_cndmask_b32 v24, v68, v80, s12
	s_delay_alu instid0(VALU_DEP_3) | instskip(NEXT) | instid1(VALU_DEP_1)
	v_add_nc_u32_e32 v32, 1, v29
	v_add_min_u32_e64 v4, v4, -1, v32
	v_cndmask_b32_e64 v20, v20, v32, s12
	s_delay_alu instid0(VALU_DEP_2) | instskip(NEXT) | instid1(VALU_DEP_2)
	v_lshl_add_u32 v4, v4, 3, v1
	v_cmp_lt_u32_e64 s14, v20, v64
	ds_load_b64 v[4:5], v4
	s_wait_dscnt 0x0
	v_dual_cndmask_b32 v83, v5, v69, s12 :: v_dual_cndmask_b32 v84, v80, v4, s12
	v_dual_cndmask_b32 v82, v4, v68, s12 :: v_dual_cndmask_b32 v85, v81, v5, s12
	v_cndmask_b32_e64 v17, v32, v17, s12
	v_lshl_add_u32 v29, v29, 3, v1
	s_delay_alu instid0(VALU_DEP_3) | instskip(NEXT) | instid1(VALU_DEP_3)
	v_cmp_le_i64_e64 s13, v[82:83], v[84:85]
	v_cmp_ge_u32_e64 s15, v17, v65
	s_and_b32 s13, s14, s13
	s_delay_alu instid0(SALU_CYCLE_1) | instskip(NEXT) | instid1(SALU_CYCLE_1)
	s_or_b32 s13, s15, s13
	v_dual_cndmask_b32 v32, v17, v20, s13 :: v_dual_cndmask_b32 v49, v83, v85, s13
	v_cndmask_b32_e64 v48, v82, v84, s13
	s_delay_alu instid0(VALU_DEP_2) | instskip(NEXT) | instid1(VALU_DEP_1)
	v_add_nc_u32_e32 v33, 1, v32
	v_dual_cndmask_b32 v4, v65, v64, s13 :: v_dual_cndmask_b32 v38, v20, v33, s13
	s_delay_alu instid0(VALU_DEP_1) | instskip(SKIP_2) | instid1(VALU_DEP_4)
	v_add_min_u32_e64 v4, v4, -1, v33
	v_lshl_add_u32 v20, v26, 3, v1
	v_lshl_add_u32 v26, v27, 3, v1
	v_cmp_lt_u32_e64 s15, v38, v64
	s_delay_alu instid0(VALU_DEP_4)
	v_lshl_add_u32 v4, v4, 3, v1
	ds_load_b64 v[4:5], v4
	s_wait_dscnt 0x0
	v_dual_cndmask_b32 v87, v5, v83, s13 :: v_dual_cndmask_b32 v86, v4, v82, s13
	v_dual_cndmask_b32 v97, v85, v5, s13 :: v_dual_cndmask_b32 v96, v84, v4, s13
	v_cndmask_b32_e64 v33, v33, v17, s13
	v_lshl_add_u32 v4, v16, 3, v1
	v_lshl_add_u32 v16, v21, 3, v1
	;; [unrolled: 1-line block ×3, first 2 shown]
	v_cmp_le_i64_e64 s14, v[86:87], v[96:97]
	v_cmp_ge_u32_e64 s16, v33, v65
	ds_load_b64 v[4:5], v4 offset:16384
	ds_load_b64 v[16:17], v16 offset:16384
	ds_load_b64 v[20:21], v20 offset:16384
	ds_load_b64 v[26:27], v26 offset:16384
	s_and_b32 s14, s15, s14
	s_delay_alu instid0(SALU_CYCLE_1) | instskip(NEXT) | instid1(SALU_CYCLE_1)
	s_or_b32 s14, s16, s14
	v_dual_cndmask_b32 v33, v33, v38, s14 :: v_dual_cndmask_b32 v15, v87, v97, s14
	v_cndmask_b32_e64 v14, v86, v96, s14
	s_delay_alu instid0(VALU_DEP_2)
	v_lshl_add_u32 v51, v33, 3, v1
	ds_load_b64 v[32:33], v28 offset:16384
	ds_load_b64 v[38:39], v29 offset:16384
	;; [unrolled: 1-line block ×4, first 2 shown]
.LBB710_214:
	s_or_b32 exec_lo, exec_lo, s18
	v_and_b32_e32 v10, 0x80, v70
	; wave barrier
	ds_store_2addr_b64 v30, v[12:13], v[18:19] offset1:1
	ds_store_2addr_b64 v30, v[22:23], v[36:37] offset0:2 offset1:3
	s_wait_dscnt 0x8
	ds_store_2addr_b64 v52, v[4:5], v[16:17] offset1:1
	s_wait_dscnt 0x7
	ds_store_2addr_b64 v53, v[20:21], v[26:27] offset1:1
	ds_store_2addr_b64 v30, v[34:35], v[24:25] offset0:4 offset1:5
	ds_store_2addr_b64 v30, v[48:49], v[14:15] offset0:6 offset1:7
	v_or_b32_e32 v11, 64, v10
	v_lshl_add_u32 v30, v10, 3, v1
	s_mov_b32 s8, exec_lo
	s_wait_dscnt 0x8
	ds_store_2addr_b64 v54, v[32:33], v[38:39] offset1:1
	s_wait_dscnt 0x7
	ds_store_2addr_b64 v55, v[28:29], v[50:51] offset1:1
	v_min_u32_e32 v65, v31, v11
	v_min_u32_e32 v11, v31, v71
	; wave barrier
	s_delay_alu instid0(VALU_DEP_2) | instskip(NEXT) | instid1(VALU_DEP_1)
	v_add_min_u32_e64 v64, v65, 64, v31
	v_dual_sub_nc_u32 v31, v65, v10 :: v_dual_sub_nc_u32 v67, v64, v65
	s_delay_alu instid0(VALU_DEP_1) | instskip(NEXT) | instid1(VALU_DEP_2)
	v_min_u32_e32 v66, v11, v31
	v_sub_nc_u32_e64 v31, v11, v67 clamp
	s_delay_alu instid0(VALU_DEP_1)
	v_cmpx_lt_u32_e64 v31, v66
	s_cbranch_execz .LBB710_218
; %bb.215:
	v_dual_lshlrev_b32 v52, 3, v65 :: v_dual_lshlrev_b32 v53, 3, v11
	s_mov_b32 s9, 0
	s_delay_alu instid0(VALU_DEP_1)
	v_add3_u32 v52, v1, v52, v53
.LBB710_216:                            ; =>This Inner Loop Header: Depth=1
	v_add_nc_u32_e32 v53, v66, v31
	s_delay_alu instid0(VALU_DEP_1) | instskip(NEXT) | instid1(VALU_DEP_1)
	v_lshrrev_b32_e32 v53, 1, v53
	v_not_b32_e32 v54, v53
	v_lshl_add_u32 v55, v53, 3, v30
	s_delay_alu instid0(VALU_DEP_2)
	v_lshl_add_u32 v67, v54, 3, v52
	ds_load_b64 v[54:55], v55
	ds_load_b64 v[68:69], v67
	s_wait_dscnt 0x0
	v_cmp_gt_i64_e64 s7, v[68:69], v[54:55]
	v_add_nc_u32_e32 v54, 1, v53
	s_delay_alu instid0(VALU_DEP_1) | instskip(SKIP_1) | instid1(VALU_DEP_1)
	v_cndmask_b32_e64 v31, v54, v31, s7
	v_cndmask_b32_e64 v66, v66, v53, s7
	v_cmp_ge_u32_e64 s7, v31, v66
	s_or_b32 s9, s7, s9
	s_delay_alu instid0(SALU_CYCLE_1)
	s_and_not1_b32 exec_lo, exec_lo, s9
	s_cbranch_execnz .LBB710_216
; %bb.217:
	s_or_b32 exec_lo, exec_lo, s9
.LBB710_218:
	s_delay_alu instid0(SALU_CYCLE_1) | instskip(SKIP_1) | instid1(VALU_DEP_1)
	s_or_b32 exec_lo, exec_lo, s8
	v_dual_add_nc_u32 v11, v65, v11 :: v_dual_add_nc_u32 v52, v31, v10
	v_sub_nc_u32_e32 v53, v11, v31
	s_delay_alu instid0(VALU_DEP_2) | instskip(NEXT) | instid1(VALU_DEP_2)
	v_cmp_le_u32_e64 s7, v52, v65
	v_cmp_le_u32_e64 s8, v53, v64
	s_or_b32 s7, s7, s8
	s_delay_alu instid0(SALU_CYCLE_1)
	s_and_saveexec_b32 s18, s7
	s_cbranch_execz .LBB710_224
; %bb.219:
	v_cmp_lt_u32_e64 s7, v52, v65
                                        ; implicit-def: $vgpr10_vgpr11
	s_and_saveexec_b32 s8, s7
; %bb.220:
	v_lshl_add_u32 v4, v31, 3, v30
	ds_load_b64 v[10:11], v4
; %bb.221:
	s_or_b32 exec_lo, exec_lo, s8
	v_cmp_ge_u32_e64 s8, v53, v64
	s_mov_b32 s10, exec_lo
                                        ; implicit-def: $vgpr12_vgpr13
	v_cmpx_lt_u32_e64 v53, v64
; %bb.222:
	v_lshl_add_u32 v4, v53, 3, v1
	ds_load_b64 v[12:13], v4
; %bb.223:
	s_or_b32 exec_lo, exec_lo, s10
	s_wait_dscnt 0x0
	v_cmp_le_i64_e64 s9, v[12:13], v[10:11]
	s_and_b32 s7, s7, s9
	s_delay_alu instid0(SALU_CYCLE_1) | instskip(NEXT) | instid1(SALU_CYCLE_1)
	s_or_b32 s7, s8, s7
	v_dual_cndmask_b32 v16, v53, v52, s7 :: v_dual_cndmask_b32 v4, v64, v65, s7
	s_delay_alu instid0(VALU_DEP_1) | instskip(NEXT) | instid1(VALU_DEP_1)
	v_add_nc_u32_e32 v17, 1, v16
	v_add_min_u32_e64 v4, v4, -1, v17
	s_delay_alu instid0(VALU_DEP_1)
	v_lshl_add_u32 v4, v4, 3, v1
	ds_load_b64 v[4:5], v4
	s_wait_dscnt 0x0
	v_dual_cndmask_b32 v15, v5, v13, s7 :: v_dual_cndmask_b32 v14, v4, v12, s7
	v_dual_cndmask_b32 v19, v11, v5, s7 :: v_dual_cndmask_b32 v18, v10, v4, s7
	v_cndmask_b32_e64 v20, v52, v17, s7
	v_cndmask_b32_e64 v17, v17, v53, s7
	v_dual_cndmask_b32 v13, v13, v11, s7 :: v_dual_cndmask_b32 v12, v12, v10, s7
	s_delay_alu instid0(VALU_DEP_4) | instskip(NEXT) | instid1(VALU_DEP_4)
	v_cmp_le_i64_e64 s8, v[14:15], v[18:19]
	v_cmp_lt_u32_e64 s9, v20, v65
	s_delay_alu instid0(VALU_DEP_4) | instskip(SKIP_1) | instid1(SALU_CYCLE_1)
	v_cmp_ge_u32_e64 s10, v17, v64
	s_and_b32 s8, s9, s8
	s_or_b32 s8, s10, s8
	s_delay_alu instid0(SALU_CYCLE_1) | instskip(NEXT) | instid1(VALU_DEP_1)
	v_dual_cndmask_b32 v21, v17, v20, s8 :: v_dual_cndmask_b32 v4, v64, v65, s8
	v_add_nc_u32_e32 v26, 1, v21
	s_delay_alu instid0(VALU_DEP_1) | instskip(NEXT) | instid1(VALU_DEP_1)
	v_add_min_u32_e64 v4, v4, -1, v26
	v_lshl_add_u32 v4, v4, 3, v1
	ds_load_b64 v[4:5], v4
	s_wait_dscnt 0x0
	v_dual_cndmask_b32 v23, v5, v15, s8 :: v_dual_cndmask_b32 v22, v4, v14, s8
	v_dual_cndmask_b32 v25, v19, v5, s8 :: v_dual_cndmask_b32 v24, v18, v4, s8
	;; [unrolled: 1-line block ×4, first 2 shown]
	s_delay_alu instid0(VALU_DEP_3) | instskip(NEXT) | instid1(VALU_DEP_3)
	v_cmp_le_i64_e64 s9, v[22:23], v[24:25]
	v_cmp_lt_u32_e64 s10, v20, v65
	s_delay_alu instid0(VALU_DEP_4) | instskip(SKIP_1) | instid1(SALU_CYCLE_1)
	v_cmp_ge_u32_e64 s11, v17, v64
	s_and_b32 s9, s10, s9
	s_or_b32 s9, s11, s9
	s_delay_alu instid0(SALU_CYCLE_1) | instskip(NEXT) | instid1(VALU_DEP_1)
	v_dual_cndmask_b32 v26, v17, v20, s9 :: v_dual_cndmask_b32 v4, v64, v65, s9
	v_add_nc_u32_e32 v27, 1, v26
	s_delay_alu instid0(VALU_DEP_1) | instskip(NEXT) | instid1(VALU_DEP_1)
	v_add_min_u32_e64 v4, v4, -1, v27
	v_lshl_add_u32 v4, v4, 3, v1
	ds_load_b64 v[4:5], v4
	s_wait_dscnt 0x0
	v_dual_cndmask_b32 v31, v5, v23, s9 :: v_dual_cndmask_b32 v30, v4, v22, s9
	v_dual_cndmask_b32 v35, v25, v5, s9 :: v_dual_cndmask_b32 v34, v24, v4, s9
	;; [unrolled: 1-line block ×4, first 2 shown]
	s_delay_alu instid0(VALU_DEP_3) | instskip(NEXT) | instid1(VALU_DEP_3)
	v_cmp_le_i64_e64 s10, v[30:31], v[34:35]
	v_cmp_ge_u32_e64 s12, v17, v64
	s_delay_alu instid0(VALU_DEP_4) | instskip(SKIP_1) | instid1(SALU_CYCLE_1)
	v_cmp_lt_u32_e64 s11, v20, v65
	s_and_b32 s10, s11, s10
	s_or_b32 s10, s12, s10
	s_delay_alu instid0(SALU_CYCLE_1) | instskip(SKIP_1) | instid1(VALU_DEP_2)
	v_dual_cndmask_b32 v27, v17, v20, s10 :: v_dual_cndmask_b32 v4, v64, v65, s10
	v_cndmask_b32_e64 v37, v31, v35, s10
	v_add_nc_u32_e32 v28, 1, v27
	s_delay_alu instid0(VALU_DEP_1) | instskip(SKIP_2) | instid1(VALU_DEP_3)
	v_add_min_u32_e64 v4, v4, -1, v28
	v_cndmask_b32_e64 v20, v20, v28, s10
	v_cndmask_b32_e64 v17, v28, v17, s10
	v_lshl_add_u32 v4, v4, 3, v1
	s_delay_alu instid0(VALU_DEP_3) | instskip(NEXT) | instid1(VALU_DEP_3)
	v_cmp_lt_u32_e64 s12, v20, v65
	v_cmp_ge_u32_e64 s13, v17, v64
	ds_load_b64 v[4:5], v4
	s_wait_dscnt 0x0
	v_dual_cndmask_b32 v49, v5, v31, s10 :: v_dual_cndmask_b32 v48, v4, v30, s10
	v_dual_cndmask_b32 v53, v35, v5, s10 :: v_dual_cndmask_b32 v52, v34, v4, s10
	s_delay_alu instid0(VALU_DEP_1) | instskip(SKIP_1) | instid1(SALU_CYCLE_1)
	v_cmp_le_i64_e64 s11, v[48:49], v[52:53]
	s_and_b32 s11, s12, s11
	s_or_b32 s11, s13, s11
	s_delay_alu instid0(SALU_CYCLE_1) | instskip(NEXT) | instid1(VALU_DEP_1)
	v_dual_cndmask_b32 v28, v17, v20, s11 :: v_dual_cndmask_b32 v4, v64, v65, s11
	v_dual_cndmask_b32 v35, v49, v53, s11 :: v_dual_add_nc_u32 v29, 1, v28
	v_lshl_add_u32 v28, v28, 3, v1
	s_delay_alu instid0(VALU_DEP_2) | instskip(SKIP_1) | instid1(VALU_DEP_2)
	v_add_min_u32_e64 v4, v4, -1, v29
	v_cndmask_b32_e64 v20, v20, v29, s11
	v_lshl_add_u32 v4, v4, 3, v1
	s_delay_alu instid0(VALU_DEP_2)
	v_cmp_lt_u32_e64 s13, v20, v65
	ds_load_b64 v[4:5], v4
	s_wait_dscnt 0x0
	v_dual_cndmask_b32 v55, v5, v49, s11 :: v_dual_cndmask_b32 v54, v4, v48, s11
	v_dual_cndmask_b32 v67, v53, v5, s11 :: v_dual_cndmask_b32 v66, v52, v4, s11
	v_cndmask_b32_e64 v17, v29, v17, s11
	s_delay_alu instid0(VALU_DEP_2) | instskip(NEXT) | instid1(VALU_DEP_2)
	v_cmp_le_i64_e64 s12, v[54:55], v[66:67]
	v_cmp_ge_u32_e64 s14, v17, v64
	s_and_b32 s12, s13, s12
	s_delay_alu instid0(SALU_CYCLE_1) | instskip(NEXT) | instid1(SALU_CYCLE_1)
	s_or_b32 s12, s14, s12
	v_dual_cndmask_b32 v29, v17, v20, s12 :: v_dual_cndmask_b32 v4, v64, v65, s12
	v_dual_cndmask_b32 v25, v55, v67, s12 :: v_dual_cndmask_b32 v24, v54, v66, s12
	s_delay_alu instid0(VALU_DEP_2) | instskip(SKIP_1) | instid1(VALU_DEP_2)
	v_add_nc_u32_e32 v32, 1, v29
	v_lshl_add_u32 v29, v29, 3, v1
	v_add_min_u32_e64 v4, v4, -1, v32
	v_cndmask_b32_e64 v20, v20, v32, s12
	s_delay_alu instid0(VALU_DEP_2) | instskip(NEXT) | instid1(VALU_DEP_2)
	v_lshl_add_u32 v4, v4, 3, v1
	v_cmp_lt_u32_e64 s14, v20, v65
	ds_load_b64 v[4:5], v4
	s_wait_dscnt 0x0
	v_dual_cndmask_b32 v69, v5, v55, s12 :: v_dual_cndmask_b32 v68, v4, v54, s12
	v_dual_cndmask_b32 v71, v67, v5, s12 :: v_dual_cndmask_b32 v70, v66, v4, s12
	v_cndmask_b32_e64 v17, v32, v17, s12
	s_delay_alu instid0(VALU_DEP_2) | instskip(NEXT) | instid1(VALU_DEP_2)
	v_cmp_le_i64_e64 s13, v[68:69], v[70:71]
	v_cmp_ge_u32_e64 s15, v17, v64
	s_and_b32 s13, s14, s13
	s_delay_alu instid0(SALU_CYCLE_1) | instskip(NEXT) | instid1(SALU_CYCLE_1)
	s_or_b32 s13, s15, s13
	v_dual_cndmask_b32 v32, v17, v20, s13 :: v_dual_cndmask_b32 v4, v64, v65, s13
	s_delay_alu instid0(VALU_DEP_1) | instskip(NEXT) | instid1(VALU_DEP_1)
	v_dual_cndmask_b32 v49, v69, v71, s13 :: v_dual_add_nc_u32 v33, 1, v32
	v_add_min_u32_e64 v4, v4, -1, v33
	v_cndmask_b32_e64 v36, v20, v33, s13
	v_lshl_add_u32 v20, v26, 3, v1
	v_lshl_add_u32 v26, v27, 3, v1
	s_delay_alu instid0(VALU_DEP_4) | instskip(NEXT) | instid1(VALU_DEP_4)
	v_lshl_add_u32 v4, v4, 3, v1
	v_cmp_lt_u32_e64 s15, v36, v65
	ds_load_b64 v[4:5], v4
	s_wait_dscnt 0x0
	v_dual_cndmask_b32 v81, v5, v69, s13 :: v_dual_cndmask_b32 v80, v4, v68, s13
	v_dual_cndmask_b32 v82, v70, v4, s13 :: v_dual_cndmask_b32 v33, v33, v17, s13
	v_cndmask_b32_e64 v83, v71, v5, s13
	v_lshl_add_u32 v4, v16, 3, v1
	v_lshl_add_u32 v16, v21, 3, v1
	s_delay_alu instid0(VALU_DEP_4) | instskip(NEXT) | instid1(VALU_DEP_4)
	v_cmp_ge_u32_e64 s16, v33, v64
	v_cmp_le_i64_e64 s14, v[80:81], v[82:83]
	ds_load_b64 v[4:5], v4 offset:16384
	ds_load_b64 v[16:17], v16 offset:16384
	;; [unrolled: 1-line block ×4, first 2 shown]
	s_and_b32 s14, s15, s14
	s_delay_alu instid0(SALU_CYCLE_1) | instskip(NEXT) | instid1(SALU_CYCLE_1)
	s_or_b32 s14, s16, s14
	v_cndmask_b32_e64 v33, v33, v36, s14
	v_lshl_add_u32 v36, v32, 3, v1
	v_dual_cndmask_b32 v15, v81, v83, s14 :: v_dual_cndmask_b32 v14, v80, v82, s14
	s_delay_alu instid0(VALU_DEP_3)
	v_lshl_add_u32 v1, v33, 3, v1
	ds_load_b64 v[32:33], v28 offset:16384
	ds_load_b64 v[38:39], v29 offset:16384
	;; [unrolled: 1-line block ×3, first 2 shown]
	v_dual_cndmask_b32 v36, v30, v34, s10 :: v_dual_cndmask_b32 v34, v48, v52, s11
	v_cndmask_b32_e64 v48, v68, v70, s13
	ds_load_b64 v[50:51], v1 offset:16384
.LBB710_224:
	s_or_b32 exec_lo, exec_lo, s18
	; wave barrier
	s_wait_storecnt_dscnt 0x0
	s_barrier_signal -1
	s_barrier_wait -1
.LBB710_225:
	s_or_b32 exec_lo, exec_lo, s17
	v_lshl_add_u64 v[2:3], v[8:9], 3, v[2:3]
	v_mov_b32_e32 v1, 0
	s_wait_storecnt 0x0
	; wave barrier
	s_wait_loadcnt_dscnt 0x0
	s_delay_alu instid0(VALU_DEP_1)
	v_add_nc_u64_e32 v[2:3], v[2:3], v[0:1]
	s_and_saveexec_b32 s7, vcc_lo
	s_cbranch_execnz .LBB710_250
; %bb.226:
	s_or_b32 exec_lo, exec_lo, s7
	s_and_saveexec_b32 s7, s0
	s_cbranch_execnz .LBB710_251
.LBB710_227:
	s_or_b32 exec_lo, exec_lo, s7
	s_and_saveexec_b32 s7, s1
	s_cbranch_execnz .LBB710_252
.LBB710_228:
	s_or_b32 exec_lo, exec_lo, s7
	s_and_saveexec_b32 s7, s2
	s_cbranch_execnz .LBB710_253
.LBB710_229:
	s_or_b32 exec_lo, exec_lo, s7
	s_and_saveexec_b32 s7, s3
	s_cbranch_execnz .LBB710_254
.LBB710_230:
	s_or_b32 exec_lo, exec_lo, s7
	s_and_saveexec_b32 s7, s4
	s_cbranch_execnz .LBB710_255
.LBB710_231:
	s_or_b32 exec_lo, exec_lo, s7
	s_and_saveexec_b32 s7, s5
	s_cbranch_execnz .LBB710_256
.LBB710_232:
	s_or_b32 exec_lo, exec_lo, s7
	s_and_saveexec_b32 s7, s6
	s_cbranch_execz .LBB710_234
.LBB710_233:
	flat_store_b64 v[2:3], v[14:15] offset:56
.LBB710_234:
	s_wait_xcnt 0x0
	s_or_b32 exec_lo, exec_lo, s7
	v_lshl_add_u64 v[2:3], v[8:9], 3, v[6:7]
	v_mov_b32_e32 v1, 0
	; wave barrier
	s_delay_alu instid0(VALU_DEP_1)
	v_add_nc_u64_e32 v[0:1], v[2:3], v[0:1]
	s_and_saveexec_b32 s7, vcc_lo
	s_cbranch_execnz .LBB710_257
; %bb.235:
	s_or_b32 exec_lo, exec_lo, s7
	s_and_saveexec_b32 s7, s0
	s_cbranch_execnz .LBB710_258
.LBB710_236:
	s_or_b32 exec_lo, exec_lo, s7
	s_and_saveexec_b32 s0, s1
	s_cbranch_execnz .LBB710_259
.LBB710_237:
	s_or_b32 exec_lo, exec_lo, s0
	s_and_saveexec_b32 s0, s2
	s_cbranch_execnz .LBB710_260
.LBB710_238:
	s_or_b32 exec_lo, exec_lo, s0
	s_and_saveexec_b32 s0, s3
	s_cbranch_execnz .LBB710_261
.LBB710_239:
	s_or_b32 exec_lo, exec_lo, s0
	s_and_saveexec_b32 s0, s4
	s_cbranch_execnz .LBB710_262
.LBB710_240:
	s_or_b32 exec_lo, exec_lo, s0
	s_and_saveexec_b32 s0, s5
	s_cbranch_execnz .LBB710_263
.LBB710_241:
	s_or_b32 exec_lo, exec_lo, s0
	s_and_saveexec_b32 s0, s6
	s_cbranch_execnz .LBB710_264
.LBB710_242:
	s_or_b32 exec_lo, exec_lo, s0
	s_wait_dscnt 0x0
	s_set_pc_i64 s[30:31]
.LBB710_243:
	flat_load_b64 v[4:5], v[52:53]
	s_wait_xcnt 0x0
	s_or_b32 exec_lo, exec_lo, s7
	s_and_saveexec_b32 s7, s0
                                        ; implicit-def: $vgpr16_vgpr17
	s_cbranch_execz .LBB710_18
.LBB710_244:
	flat_load_b64 v[16:17], v[52:53] offset:8
	s_wait_xcnt 0x0
	s_or_b32 exec_lo, exec_lo, s7
                                        ; implicit-def: $vgpr20_vgpr21
	s_and_saveexec_b32 s7, s1
	s_cbranch_execz .LBB710_19
.LBB710_245:
	flat_load_b64 v[20:21], v[52:53] offset:16
	s_wait_xcnt 0x0
	s_or_b32 exec_lo, exec_lo, s7
	s_and_saveexec_b32 s7, s2
                                        ; implicit-def: $vgpr26_vgpr27
	s_cbranch_execz .LBB710_20
.LBB710_246:
	flat_load_b64 v[26:27], v[52:53] offset:24
	s_wait_xcnt 0x0
	s_or_b32 exec_lo, exec_lo, s7
                                        ; implicit-def: $vgpr32_vgpr33
	s_and_saveexec_b32 s7, s3
	s_cbranch_execz .LBB710_21
.LBB710_247:
	flat_load_b64 v[32:33], v[52:53] offset:32
	s_wait_xcnt 0x0
	s_or_b32 exec_lo, exec_lo, s7
	s_and_saveexec_b32 s7, s4
                                        ; implicit-def: $vgpr38_vgpr39
	s_cbranch_execz .LBB710_22
.LBB710_248:
	flat_load_b64 v[38:39], v[52:53] offset:40
	s_wait_xcnt 0x0
	s_or_b32 exec_lo, exec_lo, s7
                                        ; implicit-def: $vgpr28_vgpr29
	s_and_saveexec_b32 s7, s5
	s_cbranch_execz .LBB710_23
.LBB710_249:
	flat_load_b64 v[28:29], v[52:53] offset:48
	s_wait_xcnt 0x0
	s_or_b32 exec_lo, exec_lo, s7
	s_and_saveexec_b32 s7, s6
                                        ; implicit-def: $vgpr50_vgpr51
	s_cbranch_execnz .LBB710_24
	s_branch .LBB710_25
.LBB710_250:
	flat_store_b64 v[2:3], v[12:13]
	s_wait_xcnt 0x0
	s_or_b32 exec_lo, exec_lo, s7
	s_and_saveexec_b32 s7, s0
	s_cbranch_execz .LBB710_227
.LBB710_251:
	flat_store_b64 v[2:3], v[18:19] offset:8
	s_wait_xcnt 0x0
	s_or_b32 exec_lo, exec_lo, s7
	s_and_saveexec_b32 s7, s1
	s_cbranch_execz .LBB710_228
.LBB710_252:
	flat_store_b64 v[2:3], v[22:23] offset:16
	s_wait_xcnt 0x0
	s_or_b32 exec_lo, exec_lo, s7
	s_and_saveexec_b32 s7, s2
	s_cbranch_execz .LBB710_229
.LBB710_253:
	flat_store_b64 v[2:3], v[36:37] offset:24
	s_wait_xcnt 0x0
	s_or_b32 exec_lo, exec_lo, s7
	s_and_saveexec_b32 s7, s3
	s_cbranch_execz .LBB710_230
.LBB710_254:
	flat_store_b64 v[2:3], v[34:35] offset:32
	s_wait_xcnt 0x0
	s_or_b32 exec_lo, exec_lo, s7
	s_and_saveexec_b32 s7, s4
	s_cbranch_execz .LBB710_231
.LBB710_255:
	flat_store_b64 v[2:3], v[24:25] offset:40
	s_wait_xcnt 0x0
	s_or_b32 exec_lo, exec_lo, s7
	s_and_saveexec_b32 s7, s5
	s_cbranch_execz .LBB710_232
.LBB710_256:
	flat_store_b64 v[2:3], v[48:49] offset:48
	s_wait_xcnt 0x0
	s_or_b32 exec_lo, exec_lo, s7
	s_and_saveexec_b32 s7, s6
	s_cbranch_execnz .LBB710_233
	s_branch .LBB710_234
.LBB710_257:
	flat_store_b64 v[0:1], v[4:5]
	s_wait_xcnt 0x0
	s_or_b32 exec_lo, exec_lo, s7
	s_and_saveexec_b32 s7, s0
	s_cbranch_execz .LBB710_236
.LBB710_258:
	flat_store_b64 v[0:1], v[16:17] offset:8
	s_wait_xcnt 0x0
	s_or_b32 exec_lo, exec_lo, s7
	s_and_saveexec_b32 s0, s1
	s_cbranch_execz .LBB710_237
.LBB710_259:
	flat_store_b64 v[0:1], v[20:21] offset:16
	s_wait_xcnt 0x0
	s_or_b32 exec_lo, exec_lo, s0
	s_and_saveexec_b32 s0, s2
	s_cbranch_execz .LBB710_238
.LBB710_260:
	flat_store_b64 v[0:1], v[26:27] offset:24
	s_wait_xcnt 0x0
	s_or_b32 exec_lo, exec_lo, s0
	s_and_saveexec_b32 s0, s3
	s_cbranch_execz .LBB710_239
.LBB710_261:
	flat_store_b64 v[0:1], v[32:33] offset:32
	s_wait_xcnt 0x0
	s_or_b32 exec_lo, exec_lo, s0
	s_and_saveexec_b32 s0, s4
	s_cbranch_execz .LBB710_240
.LBB710_262:
	flat_store_b64 v[0:1], v[38:39] offset:40
	s_wait_xcnt 0x0
	s_or_b32 exec_lo, exec_lo, s0
	s_and_saveexec_b32 s0, s5
	s_cbranch_execz .LBB710_241
.LBB710_263:
	flat_store_b64 v[0:1], v[28:29] offset:48
	s_wait_xcnt 0x0
	s_or_b32 exec_lo, exec_lo, s0
	s_and_saveexec_b32 s0, s6
	s_cbranch_execz .LBB710_242
.LBB710_264:
	flat_store_b64 v[0:1], v[50:51] offset:56
	s_wait_xcnt 0x0
	s_or_b32 exec_lo, exec_lo, s0
	s_wait_dscnt 0x0
	s_set_pc_i64 s[30:31]
.Lfunc_end710:
	.size	_ZN7rocprim17ROCPRIM_400000_NS6detail26segmented_warp_sort_helperINS1_20WarpSortHelperConfigILj16ELj8ELj256EEEllLi256ELb1EvE4sortIPKlPlS8_S9_EEvT_T0_T1_T2_jjjjRNS5_12storage_typeE, .Lfunc_end710-_ZN7rocprim17ROCPRIM_400000_NS6detail26segmented_warp_sort_helperINS1_20WarpSortHelperConfigILj16ELj8ELj256EEEllLi256ELb1EvE4sortIPKlPlS8_S9_EEvT_T0_T1_T2_jjjjRNS5_12storage_typeE
                                        ; -- End function
	.set .L_ZN7rocprim17ROCPRIM_400000_NS6detail26segmented_warp_sort_helperINS1_20WarpSortHelperConfigILj16ELj8ELj256EEEllLi256ELb1EvE4sortIPKlPlS8_S9_EEvT_T0_T1_T2_jjjjRNS5_12storage_typeE.num_vgpr, 98
	.set .L_ZN7rocprim17ROCPRIM_400000_NS6detail26segmented_warp_sort_helperINS1_20WarpSortHelperConfigILj16ELj8ELj256EEEllLi256ELb1EvE4sortIPKlPlS8_S9_EEvT_T0_T1_T2_jjjjRNS5_12storage_typeE.num_agpr, 0
	.set .L_ZN7rocprim17ROCPRIM_400000_NS6detail26segmented_warp_sort_helperINS1_20WarpSortHelperConfigILj16ELj8ELj256EEEllLi256ELb1EvE4sortIPKlPlS8_S9_EEvT_T0_T1_T2_jjjjRNS5_12storage_typeE.numbered_sgpr, 32
	.set .L_ZN7rocprim17ROCPRIM_400000_NS6detail26segmented_warp_sort_helperINS1_20WarpSortHelperConfigILj16ELj8ELj256EEEllLi256ELb1EvE4sortIPKlPlS8_S9_EEvT_T0_T1_T2_jjjjRNS5_12storage_typeE.num_named_barrier, 0
	.set .L_ZN7rocprim17ROCPRIM_400000_NS6detail26segmented_warp_sort_helperINS1_20WarpSortHelperConfigILj16ELj8ELj256EEEllLi256ELb1EvE4sortIPKlPlS8_S9_EEvT_T0_T1_T2_jjjjRNS5_12storage_typeE.private_seg_size, 0
	.set .L_ZN7rocprim17ROCPRIM_400000_NS6detail26segmented_warp_sort_helperINS1_20WarpSortHelperConfigILj16ELj8ELj256EEEllLi256ELb1EvE4sortIPKlPlS8_S9_EEvT_T0_T1_T2_jjjjRNS5_12storage_typeE.uses_vcc, 1
	.set .L_ZN7rocprim17ROCPRIM_400000_NS6detail26segmented_warp_sort_helperINS1_20WarpSortHelperConfigILj16ELj8ELj256EEEllLi256ELb1EvE4sortIPKlPlS8_S9_EEvT_T0_T1_T2_jjjjRNS5_12storage_typeE.uses_flat_scratch, 0
	.set .L_ZN7rocprim17ROCPRIM_400000_NS6detail26segmented_warp_sort_helperINS1_20WarpSortHelperConfigILj16ELj8ELj256EEEllLi256ELb1EvE4sortIPKlPlS8_S9_EEvT_T0_T1_T2_jjjjRNS5_12storage_typeE.has_dyn_sized_stack, 0
	.set .L_ZN7rocprim17ROCPRIM_400000_NS6detail26segmented_warp_sort_helperINS1_20WarpSortHelperConfigILj16ELj8ELj256EEEllLi256ELb1EvE4sortIPKlPlS8_S9_EEvT_T0_T1_T2_jjjjRNS5_12storage_typeE.has_recursion, 0
	.set .L_ZN7rocprim17ROCPRIM_400000_NS6detail26segmented_warp_sort_helperINS1_20WarpSortHelperConfigILj16ELj8ELj256EEEllLi256ELb1EvE4sortIPKlPlS8_S9_EEvT_T0_T1_T2_jjjjRNS5_12storage_typeE.has_indirect_call, 0
	.section	.AMDGPU.csdata,"",@progbits
; Function info:
; codeLenInByte = 18872
; TotalNumSgprs: 34
; NumVgprs: 98
; ScratchSize: 0
; MemoryBound: 0
	.section	.text._ZN7rocprim17ROCPRIM_400000_NS6detail17trampoline_kernelINS0_14default_configENS1_36segmented_radix_sort_config_selectorIllEEZNS1_25segmented_radix_sort_implIS3_Lb1EPKlPlS8_S9_N2at6native12_GLOBAL__N_18offset_tEEE10hipError_tPvRmT1_PNSt15iterator_traitsISH_E10value_typeET2_T3_PNSI_ISN_E10value_typeET4_jRbjT5_ST_jjP12ihipStream_tbEUlT_E0_NS1_11comp_targetILNS1_3genE0ELNS1_11target_archE4294967295ELNS1_3gpuE0ELNS1_3repE0EEENS1_60segmented_radix_sort_warp_sort_medium_config_static_selectorELNS0_4arch9wavefront6targetE0EEEvSH_,"axG",@progbits,_ZN7rocprim17ROCPRIM_400000_NS6detail17trampoline_kernelINS0_14default_configENS1_36segmented_radix_sort_config_selectorIllEEZNS1_25segmented_radix_sort_implIS3_Lb1EPKlPlS8_S9_N2at6native12_GLOBAL__N_18offset_tEEE10hipError_tPvRmT1_PNSt15iterator_traitsISH_E10value_typeET2_T3_PNSI_ISN_E10value_typeET4_jRbjT5_ST_jjP12ihipStream_tbEUlT_E0_NS1_11comp_targetILNS1_3genE0ELNS1_11target_archE4294967295ELNS1_3gpuE0ELNS1_3repE0EEENS1_60segmented_radix_sort_warp_sort_medium_config_static_selectorELNS0_4arch9wavefront6targetE0EEEvSH_,comdat
	.globl	_ZN7rocprim17ROCPRIM_400000_NS6detail17trampoline_kernelINS0_14default_configENS1_36segmented_radix_sort_config_selectorIllEEZNS1_25segmented_radix_sort_implIS3_Lb1EPKlPlS8_S9_N2at6native12_GLOBAL__N_18offset_tEEE10hipError_tPvRmT1_PNSt15iterator_traitsISH_E10value_typeET2_T3_PNSI_ISN_E10value_typeET4_jRbjT5_ST_jjP12ihipStream_tbEUlT_E0_NS1_11comp_targetILNS1_3genE0ELNS1_11target_archE4294967295ELNS1_3gpuE0ELNS1_3repE0EEENS1_60segmented_radix_sort_warp_sort_medium_config_static_selectorELNS0_4arch9wavefront6targetE0EEEvSH_ ; -- Begin function _ZN7rocprim17ROCPRIM_400000_NS6detail17trampoline_kernelINS0_14default_configENS1_36segmented_radix_sort_config_selectorIllEEZNS1_25segmented_radix_sort_implIS3_Lb1EPKlPlS8_S9_N2at6native12_GLOBAL__N_18offset_tEEE10hipError_tPvRmT1_PNSt15iterator_traitsISH_E10value_typeET2_T3_PNSI_ISN_E10value_typeET4_jRbjT5_ST_jjP12ihipStream_tbEUlT_E0_NS1_11comp_targetILNS1_3genE0ELNS1_11target_archE4294967295ELNS1_3gpuE0ELNS1_3repE0EEENS1_60segmented_radix_sort_warp_sort_medium_config_static_selectorELNS0_4arch9wavefront6targetE0EEEvSH_
	.p2align	8
	.type	_ZN7rocprim17ROCPRIM_400000_NS6detail17trampoline_kernelINS0_14default_configENS1_36segmented_radix_sort_config_selectorIllEEZNS1_25segmented_radix_sort_implIS3_Lb1EPKlPlS8_S9_N2at6native12_GLOBAL__N_18offset_tEEE10hipError_tPvRmT1_PNSt15iterator_traitsISH_E10value_typeET2_T3_PNSI_ISN_E10value_typeET4_jRbjT5_ST_jjP12ihipStream_tbEUlT_E0_NS1_11comp_targetILNS1_3genE0ELNS1_11target_archE4294967295ELNS1_3gpuE0ELNS1_3repE0EEENS1_60segmented_radix_sort_warp_sort_medium_config_static_selectorELNS0_4arch9wavefront6targetE0EEEvSH_,@function
_ZN7rocprim17ROCPRIM_400000_NS6detail17trampoline_kernelINS0_14default_configENS1_36segmented_radix_sort_config_selectorIllEEZNS1_25segmented_radix_sort_implIS3_Lb1EPKlPlS8_S9_N2at6native12_GLOBAL__N_18offset_tEEE10hipError_tPvRmT1_PNSt15iterator_traitsISH_E10value_typeET2_T3_PNSI_ISN_E10value_typeET4_jRbjT5_ST_jjP12ihipStream_tbEUlT_E0_NS1_11comp_targetILNS1_3genE0ELNS1_11target_archE4294967295ELNS1_3gpuE0ELNS1_3repE0EEENS1_60segmented_radix_sort_warp_sort_medium_config_static_selectorELNS0_4arch9wavefront6targetE0EEEvSH_: ; @_ZN7rocprim17ROCPRIM_400000_NS6detail17trampoline_kernelINS0_14default_configENS1_36segmented_radix_sort_config_selectorIllEEZNS1_25segmented_radix_sort_implIS3_Lb1EPKlPlS8_S9_N2at6native12_GLOBAL__N_18offset_tEEE10hipError_tPvRmT1_PNSt15iterator_traitsISH_E10value_typeET2_T3_PNSI_ISN_E10value_typeET4_jRbjT5_ST_jjP12ihipStream_tbEUlT_E0_NS1_11comp_targetILNS1_3genE0ELNS1_11target_archE4294967295ELNS1_3gpuE0ELNS1_3repE0EEENS1_60segmented_radix_sort_warp_sort_medium_config_static_selectorELNS0_4arch9wavefront6targetE0EEEvSH_
; %bb.0:
	s_load_b32 s4, s[2:3], 0x64
	v_bfe_u32 v1, v0, 10, 10
	v_bfe_u32 v2, v0, 20, 10
	v_and_b32_e32 v3, 0x3ff, v0
	s_and_b32 s6, ttmp6, 15
	s_getreg_b32 s7, hwreg(HW_REG_IB_STS2, 6, 4)
	s_mov_b32 s32, 0
	s_wait_kmcnt 0x0
	s_lshr_b32 s5, s4, 16
	s_and_b32 s4, s4, 0xffff
	v_mad_u32_u24 v1, v2, s5, v1
	s_bfe_u32 s5, ttmp6, 0x4000c
	s_delay_alu instid0(SALU_CYCLE_1) | instskip(NEXT) | instid1(SALU_CYCLE_1)
	s_add_co_i32 s5, s5, 1
	s_mul_i32 s5, ttmp9, s5
	s_delay_alu instid0(VALU_DEP_1) | instskip(SKIP_4) | instid1(VALU_DEP_1)
	v_mad_u32 v1, v1, s4, v3
	s_load_b32 s4, s[2:3], 0x34
	s_add_co_i32 s6, s6, s5
	s_cmp_eq_u32 s7, 0
	s_cselect_b32 s5, ttmp9, s6
	v_lshrrev_b32_e32 v1, 4, v1
	s_delay_alu instid0(VALU_DEP_1) | instskip(SKIP_1) | instid1(VALU_DEP_1)
	v_lshl_add_u32 v1, s5, 4, v1
	s_wait_kmcnt 0x0
	v_cmp_gt_u32_e32 vcc_lo, s4, v1
	s_and_saveexec_b32 s4, vcc_lo
	s_cbranch_execz .LBB711_6
; %bb.1:
	s_clause 0x1
	s_load_b64 s[8:9], s[2:3], 0x38
	s_load_b128 s[4:7], s[2:3], 0x40
	s_wait_kmcnt 0x0
	global_load_b32 v1, v1, s[8:9] scale_offset
	s_wait_loadcnt 0x0
	v_dual_add_nc_u32 v2, s5, v1 :: v_dual_add_nc_u32 v1, s7, v1
	s_delay_alu instid0(VALU_DEP_1) | instskip(NEXT) | instid1(VALU_DEP_2)
	v_mul_lo_u32 v8, v2, s4
	v_mul_lo_u32 v40, v1, s6
	s_delay_alu instid0(VALU_DEP_1)
	v_cmp_gt_u32_e32 vcc_lo, v40, v8
	s_and_b32 exec_lo, exec_lo, vcc_lo
	s_cbranch_execz .LBB711_6
; %bb.2:
	s_clause 0x3
	s_load_b32 s4, s[2:3], 0x30
	s_load_b128 s[24:27], s[2:3], 0x20
	s_load_b256 s[36:43], s[2:3], 0x0
	s_load_b64 s[28:29], s[2:3], 0x50
	s_add_nc_u64 s[22:23], s[2:3], 0x58
	s_get_pc_i64 s[34:35]
	s_add_nc_u64 s[34:35], s[34:35], _ZN7rocprim17ROCPRIM_400000_NS6detail26segmented_warp_sort_helperINS1_20WarpSortHelperConfigILj16ELj8ELj256EEEllLi256ELb1EvE4sortIPKlPlS8_S9_EEvT_T0_T1_T2_jjjjRNS5_12storage_typeE@rel64+4
	s_wait_kmcnt 0x0
	s_bitcmp0_b32 s4, 0
	s_mov_b32 s4, -1
	s_cbranch_scc0 .LBB711_4
; %bb.3:
	v_dual_mov_b32 v31, v0 :: v_dual_mov_b32 v41, v0
	v_dual_mov_b32 v0, s36 :: v_dual_mov_b32 v1, s37
	;; [unrolled: 1-line block ×6, first 2 shown]
	v_mov_b32_e32 v11, s29
	s_mov_b64 s[6:7], s[0:1]
	s_mov_b64 s[8:9], s[22:23]
	;; [unrolled: 1-line block ×3, first 2 shown]
	s_swap_pc_i64 s[30:31], s[34:35]
	v_mov_b32_e32 v0, v41
	s_mov_b64 s[0:1], s[24:25]
	s_mov_b32 s4, 0
.LBB711_4:
	s_delay_alu instid0(SALU_CYCLE_1)
	s_and_not1_b32 vcc_lo, exec_lo, s4
	s_cbranch_vccnz .LBB711_6
; %bb.5:
	v_dual_mov_b32 v31, v0 :: v_dual_mov_b32 v0, s36
	v_dual_mov_b32 v1, s37 :: v_dual_mov_b32 v2, s40
	;; [unrolled: 1-line block ×6, first 2 shown]
	s_mov_b64 s[6:7], s[0:1]
	s_mov_b64 s[8:9], s[22:23]
	s_swap_pc_i64 s[30:31], s[34:35]
.LBB711_6:
	s_endpgm
	.section	.rodata,"a",@progbits
	.p2align	6, 0x0
	.amdhsa_kernel _ZN7rocprim17ROCPRIM_400000_NS6detail17trampoline_kernelINS0_14default_configENS1_36segmented_radix_sort_config_selectorIllEEZNS1_25segmented_radix_sort_implIS3_Lb1EPKlPlS8_S9_N2at6native12_GLOBAL__N_18offset_tEEE10hipError_tPvRmT1_PNSt15iterator_traitsISH_E10value_typeET2_T3_PNSI_ISN_E10value_typeET4_jRbjT5_ST_jjP12ihipStream_tbEUlT_E0_NS1_11comp_targetILNS1_3genE0ELNS1_11target_archE4294967295ELNS1_3gpuE0ELNS1_3repE0EEENS1_60segmented_radix_sort_warp_sort_medium_config_static_selectorELNS0_4arch9wavefront6targetE0EEEvSH_
		.amdhsa_group_segment_fixed_size 32768
		.amdhsa_private_segment_fixed_size 0
		.amdhsa_kernarg_size 344
		.amdhsa_user_sgpr_count 4
		.amdhsa_user_sgpr_dispatch_ptr 0
		.amdhsa_user_sgpr_queue_ptr 1
		.amdhsa_user_sgpr_kernarg_segment_ptr 1
		.amdhsa_user_sgpr_dispatch_id 0
		.amdhsa_user_sgpr_kernarg_preload_length 0
		.amdhsa_user_sgpr_kernarg_preload_offset 0
		.amdhsa_user_sgpr_private_segment_size 0
		.amdhsa_wavefront_size32 1
		.amdhsa_uses_dynamic_stack 0
		.amdhsa_enable_private_segment 0
		.amdhsa_system_sgpr_workgroup_id_x 1
		.amdhsa_system_sgpr_workgroup_id_y 1
		.amdhsa_system_sgpr_workgroup_id_z 0
		.amdhsa_system_sgpr_workgroup_info 0
		.amdhsa_system_vgpr_workitem_id 2
		.amdhsa_next_free_vgpr 98
		.amdhsa_next_free_sgpr 44
		.amdhsa_named_barrier_count 0
		.amdhsa_reserve_vcc 1
		.amdhsa_float_round_mode_32 0
		.amdhsa_float_round_mode_16_64 0
		.amdhsa_float_denorm_mode_32 3
		.amdhsa_float_denorm_mode_16_64 3
		.amdhsa_fp16_overflow 0
		.amdhsa_memory_ordered 1
		.amdhsa_forward_progress 1
		.amdhsa_inst_pref_size 4
		.amdhsa_round_robin_scheduling 0
		.amdhsa_exception_fp_ieee_invalid_op 0
		.amdhsa_exception_fp_denorm_src 0
		.amdhsa_exception_fp_ieee_div_zero 0
		.amdhsa_exception_fp_ieee_overflow 0
		.amdhsa_exception_fp_ieee_underflow 0
		.amdhsa_exception_fp_ieee_inexact 0
		.amdhsa_exception_int_div_zero 0
	.end_amdhsa_kernel
	.section	.text._ZN7rocprim17ROCPRIM_400000_NS6detail17trampoline_kernelINS0_14default_configENS1_36segmented_radix_sort_config_selectorIllEEZNS1_25segmented_radix_sort_implIS3_Lb1EPKlPlS8_S9_N2at6native12_GLOBAL__N_18offset_tEEE10hipError_tPvRmT1_PNSt15iterator_traitsISH_E10value_typeET2_T3_PNSI_ISN_E10value_typeET4_jRbjT5_ST_jjP12ihipStream_tbEUlT_E0_NS1_11comp_targetILNS1_3genE0ELNS1_11target_archE4294967295ELNS1_3gpuE0ELNS1_3repE0EEENS1_60segmented_radix_sort_warp_sort_medium_config_static_selectorELNS0_4arch9wavefront6targetE0EEEvSH_,"axG",@progbits,_ZN7rocprim17ROCPRIM_400000_NS6detail17trampoline_kernelINS0_14default_configENS1_36segmented_radix_sort_config_selectorIllEEZNS1_25segmented_radix_sort_implIS3_Lb1EPKlPlS8_S9_N2at6native12_GLOBAL__N_18offset_tEEE10hipError_tPvRmT1_PNSt15iterator_traitsISH_E10value_typeET2_T3_PNSI_ISN_E10value_typeET4_jRbjT5_ST_jjP12ihipStream_tbEUlT_E0_NS1_11comp_targetILNS1_3genE0ELNS1_11target_archE4294967295ELNS1_3gpuE0ELNS1_3repE0EEENS1_60segmented_radix_sort_warp_sort_medium_config_static_selectorELNS0_4arch9wavefront6targetE0EEEvSH_,comdat
.Lfunc_end711:
	.size	_ZN7rocprim17ROCPRIM_400000_NS6detail17trampoline_kernelINS0_14default_configENS1_36segmented_radix_sort_config_selectorIllEEZNS1_25segmented_radix_sort_implIS3_Lb1EPKlPlS8_S9_N2at6native12_GLOBAL__N_18offset_tEEE10hipError_tPvRmT1_PNSt15iterator_traitsISH_E10value_typeET2_T3_PNSI_ISN_E10value_typeET4_jRbjT5_ST_jjP12ihipStream_tbEUlT_E0_NS1_11comp_targetILNS1_3genE0ELNS1_11target_archE4294967295ELNS1_3gpuE0ELNS1_3repE0EEENS1_60segmented_radix_sort_warp_sort_medium_config_static_selectorELNS0_4arch9wavefront6targetE0EEEvSH_, .Lfunc_end711-_ZN7rocprim17ROCPRIM_400000_NS6detail17trampoline_kernelINS0_14default_configENS1_36segmented_radix_sort_config_selectorIllEEZNS1_25segmented_radix_sort_implIS3_Lb1EPKlPlS8_S9_N2at6native12_GLOBAL__N_18offset_tEEE10hipError_tPvRmT1_PNSt15iterator_traitsISH_E10value_typeET2_T3_PNSI_ISN_E10value_typeET4_jRbjT5_ST_jjP12ihipStream_tbEUlT_E0_NS1_11comp_targetILNS1_3genE0ELNS1_11target_archE4294967295ELNS1_3gpuE0ELNS1_3repE0EEENS1_60segmented_radix_sort_warp_sort_medium_config_static_selectorELNS0_4arch9wavefront6targetE0EEEvSH_
                                        ; -- End function
	.set _ZN7rocprim17ROCPRIM_400000_NS6detail17trampoline_kernelINS0_14default_configENS1_36segmented_radix_sort_config_selectorIllEEZNS1_25segmented_radix_sort_implIS3_Lb1EPKlPlS8_S9_N2at6native12_GLOBAL__N_18offset_tEEE10hipError_tPvRmT1_PNSt15iterator_traitsISH_E10value_typeET2_T3_PNSI_ISN_E10value_typeET4_jRbjT5_ST_jjP12ihipStream_tbEUlT_E0_NS1_11comp_targetILNS1_3genE0ELNS1_11target_archE4294967295ELNS1_3gpuE0ELNS1_3repE0EEENS1_60segmented_radix_sort_warp_sort_medium_config_static_selectorELNS0_4arch9wavefront6targetE0EEEvSH_.num_vgpr, max(42, .L_ZN7rocprim17ROCPRIM_400000_NS6detail26segmented_warp_sort_helperINS1_20WarpSortHelperConfigILj16ELj8ELj256EEEllLi256ELb1EvE4sortIPKlPlS8_S9_EEvT_T0_T1_T2_jjjjRNS5_12storage_typeE.num_vgpr)
	.set _ZN7rocprim17ROCPRIM_400000_NS6detail17trampoline_kernelINS0_14default_configENS1_36segmented_radix_sort_config_selectorIllEEZNS1_25segmented_radix_sort_implIS3_Lb1EPKlPlS8_S9_N2at6native12_GLOBAL__N_18offset_tEEE10hipError_tPvRmT1_PNSt15iterator_traitsISH_E10value_typeET2_T3_PNSI_ISN_E10value_typeET4_jRbjT5_ST_jjP12ihipStream_tbEUlT_E0_NS1_11comp_targetILNS1_3genE0ELNS1_11target_archE4294967295ELNS1_3gpuE0ELNS1_3repE0EEENS1_60segmented_radix_sort_warp_sort_medium_config_static_selectorELNS0_4arch9wavefront6targetE0EEEvSH_.num_agpr, max(0, .L_ZN7rocprim17ROCPRIM_400000_NS6detail26segmented_warp_sort_helperINS1_20WarpSortHelperConfigILj16ELj8ELj256EEEllLi256ELb1EvE4sortIPKlPlS8_S9_EEvT_T0_T1_T2_jjjjRNS5_12storage_typeE.num_agpr)
	.set _ZN7rocprim17ROCPRIM_400000_NS6detail17trampoline_kernelINS0_14default_configENS1_36segmented_radix_sort_config_selectorIllEEZNS1_25segmented_radix_sort_implIS3_Lb1EPKlPlS8_S9_N2at6native12_GLOBAL__N_18offset_tEEE10hipError_tPvRmT1_PNSt15iterator_traitsISH_E10value_typeET2_T3_PNSI_ISN_E10value_typeET4_jRbjT5_ST_jjP12ihipStream_tbEUlT_E0_NS1_11comp_targetILNS1_3genE0ELNS1_11target_archE4294967295ELNS1_3gpuE0ELNS1_3repE0EEENS1_60segmented_radix_sort_warp_sort_medium_config_static_selectorELNS0_4arch9wavefront6targetE0EEEvSH_.numbered_sgpr, max(44, .L_ZN7rocprim17ROCPRIM_400000_NS6detail26segmented_warp_sort_helperINS1_20WarpSortHelperConfigILj16ELj8ELj256EEEllLi256ELb1EvE4sortIPKlPlS8_S9_EEvT_T0_T1_T2_jjjjRNS5_12storage_typeE.numbered_sgpr)
	.set _ZN7rocprim17ROCPRIM_400000_NS6detail17trampoline_kernelINS0_14default_configENS1_36segmented_radix_sort_config_selectorIllEEZNS1_25segmented_radix_sort_implIS3_Lb1EPKlPlS8_S9_N2at6native12_GLOBAL__N_18offset_tEEE10hipError_tPvRmT1_PNSt15iterator_traitsISH_E10value_typeET2_T3_PNSI_ISN_E10value_typeET4_jRbjT5_ST_jjP12ihipStream_tbEUlT_E0_NS1_11comp_targetILNS1_3genE0ELNS1_11target_archE4294967295ELNS1_3gpuE0ELNS1_3repE0EEENS1_60segmented_radix_sort_warp_sort_medium_config_static_selectorELNS0_4arch9wavefront6targetE0EEEvSH_.num_named_barrier, max(0, .L_ZN7rocprim17ROCPRIM_400000_NS6detail26segmented_warp_sort_helperINS1_20WarpSortHelperConfigILj16ELj8ELj256EEEllLi256ELb1EvE4sortIPKlPlS8_S9_EEvT_T0_T1_T2_jjjjRNS5_12storage_typeE.num_named_barrier)
	.set _ZN7rocprim17ROCPRIM_400000_NS6detail17trampoline_kernelINS0_14default_configENS1_36segmented_radix_sort_config_selectorIllEEZNS1_25segmented_radix_sort_implIS3_Lb1EPKlPlS8_S9_N2at6native12_GLOBAL__N_18offset_tEEE10hipError_tPvRmT1_PNSt15iterator_traitsISH_E10value_typeET2_T3_PNSI_ISN_E10value_typeET4_jRbjT5_ST_jjP12ihipStream_tbEUlT_E0_NS1_11comp_targetILNS1_3genE0ELNS1_11target_archE4294967295ELNS1_3gpuE0ELNS1_3repE0EEENS1_60segmented_radix_sort_warp_sort_medium_config_static_selectorELNS0_4arch9wavefront6targetE0EEEvSH_.private_seg_size, 0+max(.L_ZN7rocprim17ROCPRIM_400000_NS6detail26segmented_warp_sort_helperINS1_20WarpSortHelperConfigILj16ELj8ELj256EEEllLi256ELb1EvE4sortIPKlPlS8_S9_EEvT_T0_T1_T2_jjjjRNS5_12storage_typeE.private_seg_size)
	.set _ZN7rocprim17ROCPRIM_400000_NS6detail17trampoline_kernelINS0_14default_configENS1_36segmented_radix_sort_config_selectorIllEEZNS1_25segmented_radix_sort_implIS3_Lb1EPKlPlS8_S9_N2at6native12_GLOBAL__N_18offset_tEEE10hipError_tPvRmT1_PNSt15iterator_traitsISH_E10value_typeET2_T3_PNSI_ISN_E10value_typeET4_jRbjT5_ST_jjP12ihipStream_tbEUlT_E0_NS1_11comp_targetILNS1_3genE0ELNS1_11target_archE4294967295ELNS1_3gpuE0ELNS1_3repE0EEENS1_60segmented_radix_sort_warp_sort_medium_config_static_selectorELNS0_4arch9wavefront6targetE0EEEvSH_.uses_vcc, or(1, .L_ZN7rocprim17ROCPRIM_400000_NS6detail26segmented_warp_sort_helperINS1_20WarpSortHelperConfigILj16ELj8ELj256EEEllLi256ELb1EvE4sortIPKlPlS8_S9_EEvT_T0_T1_T2_jjjjRNS5_12storage_typeE.uses_vcc)
	.set _ZN7rocprim17ROCPRIM_400000_NS6detail17trampoline_kernelINS0_14default_configENS1_36segmented_radix_sort_config_selectorIllEEZNS1_25segmented_radix_sort_implIS3_Lb1EPKlPlS8_S9_N2at6native12_GLOBAL__N_18offset_tEEE10hipError_tPvRmT1_PNSt15iterator_traitsISH_E10value_typeET2_T3_PNSI_ISN_E10value_typeET4_jRbjT5_ST_jjP12ihipStream_tbEUlT_E0_NS1_11comp_targetILNS1_3genE0ELNS1_11target_archE4294967295ELNS1_3gpuE0ELNS1_3repE0EEENS1_60segmented_radix_sort_warp_sort_medium_config_static_selectorELNS0_4arch9wavefront6targetE0EEEvSH_.uses_flat_scratch, or(0, .L_ZN7rocprim17ROCPRIM_400000_NS6detail26segmented_warp_sort_helperINS1_20WarpSortHelperConfigILj16ELj8ELj256EEEllLi256ELb1EvE4sortIPKlPlS8_S9_EEvT_T0_T1_T2_jjjjRNS5_12storage_typeE.uses_flat_scratch)
	.set _ZN7rocprim17ROCPRIM_400000_NS6detail17trampoline_kernelINS0_14default_configENS1_36segmented_radix_sort_config_selectorIllEEZNS1_25segmented_radix_sort_implIS3_Lb1EPKlPlS8_S9_N2at6native12_GLOBAL__N_18offset_tEEE10hipError_tPvRmT1_PNSt15iterator_traitsISH_E10value_typeET2_T3_PNSI_ISN_E10value_typeET4_jRbjT5_ST_jjP12ihipStream_tbEUlT_E0_NS1_11comp_targetILNS1_3genE0ELNS1_11target_archE4294967295ELNS1_3gpuE0ELNS1_3repE0EEENS1_60segmented_radix_sort_warp_sort_medium_config_static_selectorELNS0_4arch9wavefront6targetE0EEEvSH_.has_dyn_sized_stack, or(0, .L_ZN7rocprim17ROCPRIM_400000_NS6detail26segmented_warp_sort_helperINS1_20WarpSortHelperConfigILj16ELj8ELj256EEEllLi256ELb1EvE4sortIPKlPlS8_S9_EEvT_T0_T1_T2_jjjjRNS5_12storage_typeE.has_dyn_sized_stack)
	.set _ZN7rocprim17ROCPRIM_400000_NS6detail17trampoline_kernelINS0_14default_configENS1_36segmented_radix_sort_config_selectorIllEEZNS1_25segmented_radix_sort_implIS3_Lb1EPKlPlS8_S9_N2at6native12_GLOBAL__N_18offset_tEEE10hipError_tPvRmT1_PNSt15iterator_traitsISH_E10value_typeET2_T3_PNSI_ISN_E10value_typeET4_jRbjT5_ST_jjP12ihipStream_tbEUlT_E0_NS1_11comp_targetILNS1_3genE0ELNS1_11target_archE4294967295ELNS1_3gpuE0ELNS1_3repE0EEENS1_60segmented_radix_sort_warp_sort_medium_config_static_selectorELNS0_4arch9wavefront6targetE0EEEvSH_.has_recursion, or(0, .L_ZN7rocprim17ROCPRIM_400000_NS6detail26segmented_warp_sort_helperINS1_20WarpSortHelperConfigILj16ELj8ELj256EEEllLi256ELb1EvE4sortIPKlPlS8_S9_EEvT_T0_T1_T2_jjjjRNS5_12storage_typeE.has_recursion)
	.set _ZN7rocprim17ROCPRIM_400000_NS6detail17trampoline_kernelINS0_14default_configENS1_36segmented_radix_sort_config_selectorIllEEZNS1_25segmented_radix_sort_implIS3_Lb1EPKlPlS8_S9_N2at6native12_GLOBAL__N_18offset_tEEE10hipError_tPvRmT1_PNSt15iterator_traitsISH_E10value_typeET2_T3_PNSI_ISN_E10value_typeET4_jRbjT5_ST_jjP12ihipStream_tbEUlT_E0_NS1_11comp_targetILNS1_3genE0ELNS1_11target_archE4294967295ELNS1_3gpuE0ELNS1_3repE0EEENS1_60segmented_radix_sort_warp_sort_medium_config_static_selectorELNS0_4arch9wavefront6targetE0EEEvSH_.has_indirect_call, or(0, .L_ZN7rocprim17ROCPRIM_400000_NS6detail26segmented_warp_sort_helperINS1_20WarpSortHelperConfigILj16ELj8ELj256EEEllLi256ELb1EvE4sortIPKlPlS8_S9_EEvT_T0_T1_T2_jjjjRNS5_12storage_typeE.has_indirect_call)
	.section	.AMDGPU.csdata,"",@progbits
; Kernel info:
; codeLenInByte = 480
; TotalNumSgprs: 46
; NumVgprs: 98
; ScratchSize: 0
; MemoryBound: 0
; FloatMode: 240
; IeeeMode: 1
; LDSByteSize: 32768 bytes/workgroup (compile time only)
; SGPRBlocks: 0
; VGPRBlocks: 6
; NumSGPRsForWavesPerEU: 46
; NumVGPRsForWavesPerEU: 98
; NamedBarCnt: 0
; Occupancy: 9
; WaveLimiterHint : 0
; COMPUTE_PGM_RSRC2:SCRATCH_EN: 0
; COMPUTE_PGM_RSRC2:USER_SGPR: 4
; COMPUTE_PGM_RSRC2:TRAP_HANDLER: 0
; COMPUTE_PGM_RSRC2:TGID_X_EN: 1
; COMPUTE_PGM_RSRC2:TGID_Y_EN: 1
; COMPUTE_PGM_RSRC2:TGID_Z_EN: 0
; COMPUTE_PGM_RSRC2:TIDIG_COMP_CNT: 2
	.section	.text._ZN7rocprim17ROCPRIM_400000_NS6detail17trampoline_kernelINS0_14default_configENS1_36segmented_radix_sort_config_selectorIllEEZNS1_25segmented_radix_sort_implIS3_Lb1EPKlPlS8_S9_N2at6native12_GLOBAL__N_18offset_tEEE10hipError_tPvRmT1_PNSt15iterator_traitsISH_E10value_typeET2_T3_PNSI_ISN_E10value_typeET4_jRbjT5_ST_jjP12ihipStream_tbEUlT_E0_NS1_11comp_targetILNS1_3genE5ELNS1_11target_archE942ELNS1_3gpuE9ELNS1_3repE0EEENS1_60segmented_radix_sort_warp_sort_medium_config_static_selectorELNS0_4arch9wavefront6targetE0EEEvSH_,"axG",@progbits,_ZN7rocprim17ROCPRIM_400000_NS6detail17trampoline_kernelINS0_14default_configENS1_36segmented_radix_sort_config_selectorIllEEZNS1_25segmented_radix_sort_implIS3_Lb1EPKlPlS8_S9_N2at6native12_GLOBAL__N_18offset_tEEE10hipError_tPvRmT1_PNSt15iterator_traitsISH_E10value_typeET2_T3_PNSI_ISN_E10value_typeET4_jRbjT5_ST_jjP12ihipStream_tbEUlT_E0_NS1_11comp_targetILNS1_3genE5ELNS1_11target_archE942ELNS1_3gpuE9ELNS1_3repE0EEENS1_60segmented_radix_sort_warp_sort_medium_config_static_selectorELNS0_4arch9wavefront6targetE0EEEvSH_,comdat
	.globl	_ZN7rocprim17ROCPRIM_400000_NS6detail17trampoline_kernelINS0_14default_configENS1_36segmented_radix_sort_config_selectorIllEEZNS1_25segmented_radix_sort_implIS3_Lb1EPKlPlS8_S9_N2at6native12_GLOBAL__N_18offset_tEEE10hipError_tPvRmT1_PNSt15iterator_traitsISH_E10value_typeET2_T3_PNSI_ISN_E10value_typeET4_jRbjT5_ST_jjP12ihipStream_tbEUlT_E0_NS1_11comp_targetILNS1_3genE5ELNS1_11target_archE942ELNS1_3gpuE9ELNS1_3repE0EEENS1_60segmented_radix_sort_warp_sort_medium_config_static_selectorELNS0_4arch9wavefront6targetE0EEEvSH_ ; -- Begin function _ZN7rocprim17ROCPRIM_400000_NS6detail17trampoline_kernelINS0_14default_configENS1_36segmented_radix_sort_config_selectorIllEEZNS1_25segmented_radix_sort_implIS3_Lb1EPKlPlS8_S9_N2at6native12_GLOBAL__N_18offset_tEEE10hipError_tPvRmT1_PNSt15iterator_traitsISH_E10value_typeET2_T3_PNSI_ISN_E10value_typeET4_jRbjT5_ST_jjP12ihipStream_tbEUlT_E0_NS1_11comp_targetILNS1_3genE5ELNS1_11target_archE942ELNS1_3gpuE9ELNS1_3repE0EEENS1_60segmented_radix_sort_warp_sort_medium_config_static_selectorELNS0_4arch9wavefront6targetE0EEEvSH_
	.p2align	8
	.type	_ZN7rocprim17ROCPRIM_400000_NS6detail17trampoline_kernelINS0_14default_configENS1_36segmented_radix_sort_config_selectorIllEEZNS1_25segmented_radix_sort_implIS3_Lb1EPKlPlS8_S9_N2at6native12_GLOBAL__N_18offset_tEEE10hipError_tPvRmT1_PNSt15iterator_traitsISH_E10value_typeET2_T3_PNSI_ISN_E10value_typeET4_jRbjT5_ST_jjP12ihipStream_tbEUlT_E0_NS1_11comp_targetILNS1_3genE5ELNS1_11target_archE942ELNS1_3gpuE9ELNS1_3repE0EEENS1_60segmented_radix_sort_warp_sort_medium_config_static_selectorELNS0_4arch9wavefront6targetE0EEEvSH_,@function
_ZN7rocprim17ROCPRIM_400000_NS6detail17trampoline_kernelINS0_14default_configENS1_36segmented_radix_sort_config_selectorIllEEZNS1_25segmented_radix_sort_implIS3_Lb1EPKlPlS8_S9_N2at6native12_GLOBAL__N_18offset_tEEE10hipError_tPvRmT1_PNSt15iterator_traitsISH_E10value_typeET2_T3_PNSI_ISN_E10value_typeET4_jRbjT5_ST_jjP12ihipStream_tbEUlT_E0_NS1_11comp_targetILNS1_3genE5ELNS1_11target_archE942ELNS1_3gpuE9ELNS1_3repE0EEENS1_60segmented_radix_sort_warp_sort_medium_config_static_selectorELNS0_4arch9wavefront6targetE0EEEvSH_: ; @_ZN7rocprim17ROCPRIM_400000_NS6detail17trampoline_kernelINS0_14default_configENS1_36segmented_radix_sort_config_selectorIllEEZNS1_25segmented_radix_sort_implIS3_Lb1EPKlPlS8_S9_N2at6native12_GLOBAL__N_18offset_tEEE10hipError_tPvRmT1_PNSt15iterator_traitsISH_E10value_typeET2_T3_PNSI_ISN_E10value_typeET4_jRbjT5_ST_jjP12ihipStream_tbEUlT_E0_NS1_11comp_targetILNS1_3genE5ELNS1_11target_archE942ELNS1_3gpuE9ELNS1_3repE0EEENS1_60segmented_radix_sort_warp_sort_medium_config_static_selectorELNS0_4arch9wavefront6targetE0EEEvSH_
; %bb.0:
	.section	.rodata,"a",@progbits
	.p2align	6, 0x0
	.amdhsa_kernel _ZN7rocprim17ROCPRIM_400000_NS6detail17trampoline_kernelINS0_14default_configENS1_36segmented_radix_sort_config_selectorIllEEZNS1_25segmented_radix_sort_implIS3_Lb1EPKlPlS8_S9_N2at6native12_GLOBAL__N_18offset_tEEE10hipError_tPvRmT1_PNSt15iterator_traitsISH_E10value_typeET2_T3_PNSI_ISN_E10value_typeET4_jRbjT5_ST_jjP12ihipStream_tbEUlT_E0_NS1_11comp_targetILNS1_3genE5ELNS1_11target_archE942ELNS1_3gpuE9ELNS1_3repE0EEENS1_60segmented_radix_sort_warp_sort_medium_config_static_selectorELNS0_4arch9wavefront6targetE0EEEvSH_
		.amdhsa_group_segment_fixed_size 0
		.amdhsa_private_segment_fixed_size 0
		.amdhsa_kernarg_size 88
		.amdhsa_user_sgpr_count 2
		.amdhsa_user_sgpr_dispatch_ptr 0
		.amdhsa_user_sgpr_queue_ptr 0
		.amdhsa_user_sgpr_kernarg_segment_ptr 1
		.amdhsa_user_sgpr_dispatch_id 0
		.amdhsa_user_sgpr_kernarg_preload_length 0
		.amdhsa_user_sgpr_kernarg_preload_offset 0
		.amdhsa_user_sgpr_private_segment_size 0
		.amdhsa_wavefront_size32 1
		.amdhsa_uses_dynamic_stack 0
		.amdhsa_enable_private_segment 0
		.amdhsa_system_sgpr_workgroup_id_x 1
		.amdhsa_system_sgpr_workgroup_id_y 0
		.amdhsa_system_sgpr_workgroup_id_z 0
		.amdhsa_system_sgpr_workgroup_info 0
		.amdhsa_system_vgpr_workitem_id 0
		.amdhsa_next_free_vgpr 1
		.amdhsa_next_free_sgpr 1
		.amdhsa_named_barrier_count 0
		.amdhsa_reserve_vcc 0
		.amdhsa_float_round_mode_32 0
		.amdhsa_float_round_mode_16_64 0
		.amdhsa_float_denorm_mode_32 3
		.amdhsa_float_denorm_mode_16_64 3
		.amdhsa_fp16_overflow 0
		.amdhsa_memory_ordered 1
		.amdhsa_forward_progress 1
		.amdhsa_inst_pref_size 0
		.amdhsa_round_robin_scheduling 0
		.amdhsa_exception_fp_ieee_invalid_op 0
		.amdhsa_exception_fp_denorm_src 0
		.amdhsa_exception_fp_ieee_div_zero 0
		.amdhsa_exception_fp_ieee_overflow 0
		.amdhsa_exception_fp_ieee_underflow 0
		.amdhsa_exception_fp_ieee_inexact 0
		.amdhsa_exception_int_div_zero 0
	.end_amdhsa_kernel
	.section	.text._ZN7rocprim17ROCPRIM_400000_NS6detail17trampoline_kernelINS0_14default_configENS1_36segmented_radix_sort_config_selectorIllEEZNS1_25segmented_radix_sort_implIS3_Lb1EPKlPlS8_S9_N2at6native12_GLOBAL__N_18offset_tEEE10hipError_tPvRmT1_PNSt15iterator_traitsISH_E10value_typeET2_T3_PNSI_ISN_E10value_typeET4_jRbjT5_ST_jjP12ihipStream_tbEUlT_E0_NS1_11comp_targetILNS1_3genE5ELNS1_11target_archE942ELNS1_3gpuE9ELNS1_3repE0EEENS1_60segmented_radix_sort_warp_sort_medium_config_static_selectorELNS0_4arch9wavefront6targetE0EEEvSH_,"axG",@progbits,_ZN7rocprim17ROCPRIM_400000_NS6detail17trampoline_kernelINS0_14default_configENS1_36segmented_radix_sort_config_selectorIllEEZNS1_25segmented_radix_sort_implIS3_Lb1EPKlPlS8_S9_N2at6native12_GLOBAL__N_18offset_tEEE10hipError_tPvRmT1_PNSt15iterator_traitsISH_E10value_typeET2_T3_PNSI_ISN_E10value_typeET4_jRbjT5_ST_jjP12ihipStream_tbEUlT_E0_NS1_11comp_targetILNS1_3genE5ELNS1_11target_archE942ELNS1_3gpuE9ELNS1_3repE0EEENS1_60segmented_radix_sort_warp_sort_medium_config_static_selectorELNS0_4arch9wavefront6targetE0EEEvSH_,comdat
.Lfunc_end712:
	.size	_ZN7rocprim17ROCPRIM_400000_NS6detail17trampoline_kernelINS0_14default_configENS1_36segmented_radix_sort_config_selectorIllEEZNS1_25segmented_radix_sort_implIS3_Lb1EPKlPlS8_S9_N2at6native12_GLOBAL__N_18offset_tEEE10hipError_tPvRmT1_PNSt15iterator_traitsISH_E10value_typeET2_T3_PNSI_ISN_E10value_typeET4_jRbjT5_ST_jjP12ihipStream_tbEUlT_E0_NS1_11comp_targetILNS1_3genE5ELNS1_11target_archE942ELNS1_3gpuE9ELNS1_3repE0EEENS1_60segmented_radix_sort_warp_sort_medium_config_static_selectorELNS0_4arch9wavefront6targetE0EEEvSH_, .Lfunc_end712-_ZN7rocprim17ROCPRIM_400000_NS6detail17trampoline_kernelINS0_14default_configENS1_36segmented_radix_sort_config_selectorIllEEZNS1_25segmented_radix_sort_implIS3_Lb1EPKlPlS8_S9_N2at6native12_GLOBAL__N_18offset_tEEE10hipError_tPvRmT1_PNSt15iterator_traitsISH_E10value_typeET2_T3_PNSI_ISN_E10value_typeET4_jRbjT5_ST_jjP12ihipStream_tbEUlT_E0_NS1_11comp_targetILNS1_3genE5ELNS1_11target_archE942ELNS1_3gpuE9ELNS1_3repE0EEENS1_60segmented_radix_sort_warp_sort_medium_config_static_selectorELNS0_4arch9wavefront6targetE0EEEvSH_
                                        ; -- End function
	.set _ZN7rocprim17ROCPRIM_400000_NS6detail17trampoline_kernelINS0_14default_configENS1_36segmented_radix_sort_config_selectorIllEEZNS1_25segmented_radix_sort_implIS3_Lb1EPKlPlS8_S9_N2at6native12_GLOBAL__N_18offset_tEEE10hipError_tPvRmT1_PNSt15iterator_traitsISH_E10value_typeET2_T3_PNSI_ISN_E10value_typeET4_jRbjT5_ST_jjP12ihipStream_tbEUlT_E0_NS1_11comp_targetILNS1_3genE5ELNS1_11target_archE942ELNS1_3gpuE9ELNS1_3repE0EEENS1_60segmented_radix_sort_warp_sort_medium_config_static_selectorELNS0_4arch9wavefront6targetE0EEEvSH_.num_vgpr, 0
	.set _ZN7rocprim17ROCPRIM_400000_NS6detail17trampoline_kernelINS0_14default_configENS1_36segmented_radix_sort_config_selectorIllEEZNS1_25segmented_radix_sort_implIS3_Lb1EPKlPlS8_S9_N2at6native12_GLOBAL__N_18offset_tEEE10hipError_tPvRmT1_PNSt15iterator_traitsISH_E10value_typeET2_T3_PNSI_ISN_E10value_typeET4_jRbjT5_ST_jjP12ihipStream_tbEUlT_E0_NS1_11comp_targetILNS1_3genE5ELNS1_11target_archE942ELNS1_3gpuE9ELNS1_3repE0EEENS1_60segmented_radix_sort_warp_sort_medium_config_static_selectorELNS0_4arch9wavefront6targetE0EEEvSH_.num_agpr, 0
	.set _ZN7rocprim17ROCPRIM_400000_NS6detail17trampoline_kernelINS0_14default_configENS1_36segmented_radix_sort_config_selectorIllEEZNS1_25segmented_radix_sort_implIS3_Lb1EPKlPlS8_S9_N2at6native12_GLOBAL__N_18offset_tEEE10hipError_tPvRmT1_PNSt15iterator_traitsISH_E10value_typeET2_T3_PNSI_ISN_E10value_typeET4_jRbjT5_ST_jjP12ihipStream_tbEUlT_E0_NS1_11comp_targetILNS1_3genE5ELNS1_11target_archE942ELNS1_3gpuE9ELNS1_3repE0EEENS1_60segmented_radix_sort_warp_sort_medium_config_static_selectorELNS0_4arch9wavefront6targetE0EEEvSH_.numbered_sgpr, 0
	.set _ZN7rocprim17ROCPRIM_400000_NS6detail17trampoline_kernelINS0_14default_configENS1_36segmented_radix_sort_config_selectorIllEEZNS1_25segmented_radix_sort_implIS3_Lb1EPKlPlS8_S9_N2at6native12_GLOBAL__N_18offset_tEEE10hipError_tPvRmT1_PNSt15iterator_traitsISH_E10value_typeET2_T3_PNSI_ISN_E10value_typeET4_jRbjT5_ST_jjP12ihipStream_tbEUlT_E0_NS1_11comp_targetILNS1_3genE5ELNS1_11target_archE942ELNS1_3gpuE9ELNS1_3repE0EEENS1_60segmented_radix_sort_warp_sort_medium_config_static_selectorELNS0_4arch9wavefront6targetE0EEEvSH_.num_named_barrier, 0
	.set _ZN7rocprim17ROCPRIM_400000_NS6detail17trampoline_kernelINS0_14default_configENS1_36segmented_radix_sort_config_selectorIllEEZNS1_25segmented_radix_sort_implIS3_Lb1EPKlPlS8_S9_N2at6native12_GLOBAL__N_18offset_tEEE10hipError_tPvRmT1_PNSt15iterator_traitsISH_E10value_typeET2_T3_PNSI_ISN_E10value_typeET4_jRbjT5_ST_jjP12ihipStream_tbEUlT_E0_NS1_11comp_targetILNS1_3genE5ELNS1_11target_archE942ELNS1_3gpuE9ELNS1_3repE0EEENS1_60segmented_radix_sort_warp_sort_medium_config_static_selectorELNS0_4arch9wavefront6targetE0EEEvSH_.private_seg_size, 0
	.set _ZN7rocprim17ROCPRIM_400000_NS6detail17trampoline_kernelINS0_14default_configENS1_36segmented_radix_sort_config_selectorIllEEZNS1_25segmented_radix_sort_implIS3_Lb1EPKlPlS8_S9_N2at6native12_GLOBAL__N_18offset_tEEE10hipError_tPvRmT1_PNSt15iterator_traitsISH_E10value_typeET2_T3_PNSI_ISN_E10value_typeET4_jRbjT5_ST_jjP12ihipStream_tbEUlT_E0_NS1_11comp_targetILNS1_3genE5ELNS1_11target_archE942ELNS1_3gpuE9ELNS1_3repE0EEENS1_60segmented_radix_sort_warp_sort_medium_config_static_selectorELNS0_4arch9wavefront6targetE0EEEvSH_.uses_vcc, 0
	.set _ZN7rocprim17ROCPRIM_400000_NS6detail17trampoline_kernelINS0_14default_configENS1_36segmented_radix_sort_config_selectorIllEEZNS1_25segmented_radix_sort_implIS3_Lb1EPKlPlS8_S9_N2at6native12_GLOBAL__N_18offset_tEEE10hipError_tPvRmT1_PNSt15iterator_traitsISH_E10value_typeET2_T3_PNSI_ISN_E10value_typeET4_jRbjT5_ST_jjP12ihipStream_tbEUlT_E0_NS1_11comp_targetILNS1_3genE5ELNS1_11target_archE942ELNS1_3gpuE9ELNS1_3repE0EEENS1_60segmented_radix_sort_warp_sort_medium_config_static_selectorELNS0_4arch9wavefront6targetE0EEEvSH_.uses_flat_scratch, 0
	.set _ZN7rocprim17ROCPRIM_400000_NS6detail17trampoline_kernelINS0_14default_configENS1_36segmented_radix_sort_config_selectorIllEEZNS1_25segmented_radix_sort_implIS3_Lb1EPKlPlS8_S9_N2at6native12_GLOBAL__N_18offset_tEEE10hipError_tPvRmT1_PNSt15iterator_traitsISH_E10value_typeET2_T3_PNSI_ISN_E10value_typeET4_jRbjT5_ST_jjP12ihipStream_tbEUlT_E0_NS1_11comp_targetILNS1_3genE5ELNS1_11target_archE942ELNS1_3gpuE9ELNS1_3repE0EEENS1_60segmented_radix_sort_warp_sort_medium_config_static_selectorELNS0_4arch9wavefront6targetE0EEEvSH_.has_dyn_sized_stack, 0
	.set _ZN7rocprim17ROCPRIM_400000_NS6detail17trampoline_kernelINS0_14default_configENS1_36segmented_radix_sort_config_selectorIllEEZNS1_25segmented_radix_sort_implIS3_Lb1EPKlPlS8_S9_N2at6native12_GLOBAL__N_18offset_tEEE10hipError_tPvRmT1_PNSt15iterator_traitsISH_E10value_typeET2_T3_PNSI_ISN_E10value_typeET4_jRbjT5_ST_jjP12ihipStream_tbEUlT_E0_NS1_11comp_targetILNS1_3genE5ELNS1_11target_archE942ELNS1_3gpuE9ELNS1_3repE0EEENS1_60segmented_radix_sort_warp_sort_medium_config_static_selectorELNS0_4arch9wavefront6targetE0EEEvSH_.has_recursion, 0
	.set _ZN7rocprim17ROCPRIM_400000_NS6detail17trampoline_kernelINS0_14default_configENS1_36segmented_radix_sort_config_selectorIllEEZNS1_25segmented_radix_sort_implIS3_Lb1EPKlPlS8_S9_N2at6native12_GLOBAL__N_18offset_tEEE10hipError_tPvRmT1_PNSt15iterator_traitsISH_E10value_typeET2_T3_PNSI_ISN_E10value_typeET4_jRbjT5_ST_jjP12ihipStream_tbEUlT_E0_NS1_11comp_targetILNS1_3genE5ELNS1_11target_archE942ELNS1_3gpuE9ELNS1_3repE0EEENS1_60segmented_radix_sort_warp_sort_medium_config_static_selectorELNS0_4arch9wavefront6targetE0EEEvSH_.has_indirect_call, 0
	.section	.AMDGPU.csdata,"",@progbits
; Kernel info:
; codeLenInByte = 0
; TotalNumSgprs: 0
; NumVgprs: 0
; ScratchSize: 0
; MemoryBound: 0
; FloatMode: 240
; IeeeMode: 1
; LDSByteSize: 0 bytes/workgroup (compile time only)
; SGPRBlocks: 0
; VGPRBlocks: 0
; NumSGPRsForWavesPerEU: 1
; NumVGPRsForWavesPerEU: 1
; NamedBarCnt: 0
; Occupancy: 16
; WaveLimiterHint : 0
; COMPUTE_PGM_RSRC2:SCRATCH_EN: 0
; COMPUTE_PGM_RSRC2:USER_SGPR: 2
; COMPUTE_PGM_RSRC2:TRAP_HANDLER: 0
; COMPUTE_PGM_RSRC2:TGID_X_EN: 1
; COMPUTE_PGM_RSRC2:TGID_Y_EN: 0
; COMPUTE_PGM_RSRC2:TGID_Z_EN: 0
; COMPUTE_PGM_RSRC2:TIDIG_COMP_CNT: 0
	.section	.text._ZN7rocprim17ROCPRIM_400000_NS6detail17trampoline_kernelINS0_14default_configENS1_36segmented_radix_sort_config_selectorIllEEZNS1_25segmented_radix_sort_implIS3_Lb1EPKlPlS8_S9_N2at6native12_GLOBAL__N_18offset_tEEE10hipError_tPvRmT1_PNSt15iterator_traitsISH_E10value_typeET2_T3_PNSI_ISN_E10value_typeET4_jRbjT5_ST_jjP12ihipStream_tbEUlT_E0_NS1_11comp_targetILNS1_3genE4ELNS1_11target_archE910ELNS1_3gpuE8ELNS1_3repE0EEENS1_60segmented_radix_sort_warp_sort_medium_config_static_selectorELNS0_4arch9wavefront6targetE0EEEvSH_,"axG",@progbits,_ZN7rocprim17ROCPRIM_400000_NS6detail17trampoline_kernelINS0_14default_configENS1_36segmented_radix_sort_config_selectorIllEEZNS1_25segmented_radix_sort_implIS3_Lb1EPKlPlS8_S9_N2at6native12_GLOBAL__N_18offset_tEEE10hipError_tPvRmT1_PNSt15iterator_traitsISH_E10value_typeET2_T3_PNSI_ISN_E10value_typeET4_jRbjT5_ST_jjP12ihipStream_tbEUlT_E0_NS1_11comp_targetILNS1_3genE4ELNS1_11target_archE910ELNS1_3gpuE8ELNS1_3repE0EEENS1_60segmented_radix_sort_warp_sort_medium_config_static_selectorELNS0_4arch9wavefront6targetE0EEEvSH_,comdat
	.globl	_ZN7rocprim17ROCPRIM_400000_NS6detail17trampoline_kernelINS0_14default_configENS1_36segmented_radix_sort_config_selectorIllEEZNS1_25segmented_radix_sort_implIS3_Lb1EPKlPlS8_S9_N2at6native12_GLOBAL__N_18offset_tEEE10hipError_tPvRmT1_PNSt15iterator_traitsISH_E10value_typeET2_T3_PNSI_ISN_E10value_typeET4_jRbjT5_ST_jjP12ihipStream_tbEUlT_E0_NS1_11comp_targetILNS1_3genE4ELNS1_11target_archE910ELNS1_3gpuE8ELNS1_3repE0EEENS1_60segmented_radix_sort_warp_sort_medium_config_static_selectorELNS0_4arch9wavefront6targetE0EEEvSH_ ; -- Begin function _ZN7rocprim17ROCPRIM_400000_NS6detail17trampoline_kernelINS0_14default_configENS1_36segmented_radix_sort_config_selectorIllEEZNS1_25segmented_radix_sort_implIS3_Lb1EPKlPlS8_S9_N2at6native12_GLOBAL__N_18offset_tEEE10hipError_tPvRmT1_PNSt15iterator_traitsISH_E10value_typeET2_T3_PNSI_ISN_E10value_typeET4_jRbjT5_ST_jjP12ihipStream_tbEUlT_E0_NS1_11comp_targetILNS1_3genE4ELNS1_11target_archE910ELNS1_3gpuE8ELNS1_3repE0EEENS1_60segmented_radix_sort_warp_sort_medium_config_static_selectorELNS0_4arch9wavefront6targetE0EEEvSH_
	.p2align	8
	.type	_ZN7rocprim17ROCPRIM_400000_NS6detail17trampoline_kernelINS0_14default_configENS1_36segmented_radix_sort_config_selectorIllEEZNS1_25segmented_radix_sort_implIS3_Lb1EPKlPlS8_S9_N2at6native12_GLOBAL__N_18offset_tEEE10hipError_tPvRmT1_PNSt15iterator_traitsISH_E10value_typeET2_T3_PNSI_ISN_E10value_typeET4_jRbjT5_ST_jjP12ihipStream_tbEUlT_E0_NS1_11comp_targetILNS1_3genE4ELNS1_11target_archE910ELNS1_3gpuE8ELNS1_3repE0EEENS1_60segmented_radix_sort_warp_sort_medium_config_static_selectorELNS0_4arch9wavefront6targetE0EEEvSH_,@function
_ZN7rocprim17ROCPRIM_400000_NS6detail17trampoline_kernelINS0_14default_configENS1_36segmented_radix_sort_config_selectorIllEEZNS1_25segmented_radix_sort_implIS3_Lb1EPKlPlS8_S9_N2at6native12_GLOBAL__N_18offset_tEEE10hipError_tPvRmT1_PNSt15iterator_traitsISH_E10value_typeET2_T3_PNSI_ISN_E10value_typeET4_jRbjT5_ST_jjP12ihipStream_tbEUlT_E0_NS1_11comp_targetILNS1_3genE4ELNS1_11target_archE910ELNS1_3gpuE8ELNS1_3repE0EEENS1_60segmented_radix_sort_warp_sort_medium_config_static_selectorELNS0_4arch9wavefront6targetE0EEEvSH_: ; @_ZN7rocprim17ROCPRIM_400000_NS6detail17trampoline_kernelINS0_14default_configENS1_36segmented_radix_sort_config_selectorIllEEZNS1_25segmented_radix_sort_implIS3_Lb1EPKlPlS8_S9_N2at6native12_GLOBAL__N_18offset_tEEE10hipError_tPvRmT1_PNSt15iterator_traitsISH_E10value_typeET2_T3_PNSI_ISN_E10value_typeET4_jRbjT5_ST_jjP12ihipStream_tbEUlT_E0_NS1_11comp_targetILNS1_3genE4ELNS1_11target_archE910ELNS1_3gpuE8ELNS1_3repE0EEENS1_60segmented_radix_sort_warp_sort_medium_config_static_selectorELNS0_4arch9wavefront6targetE0EEEvSH_
; %bb.0:
	.section	.rodata,"a",@progbits
	.p2align	6, 0x0
	.amdhsa_kernel _ZN7rocprim17ROCPRIM_400000_NS6detail17trampoline_kernelINS0_14default_configENS1_36segmented_radix_sort_config_selectorIllEEZNS1_25segmented_radix_sort_implIS3_Lb1EPKlPlS8_S9_N2at6native12_GLOBAL__N_18offset_tEEE10hipError_tPvRmT1_PNSt15iterator_traitsISH_E10value_typeET2_T3_PNSI_ISN_E10value_typeET4_jRbjT5_ST_jjP12ihipStream_tbEUlT_E0_NS1_11comp_targetILNS1_3genE4ELNS1_11target_archE910ELNS1_3gpuE8ELNS1_3repE0EEENS1_60segmented_radix_sort_warp_sort_medium_config_static_selectorELNS0_4arch9wavefront6targetE0EEEvSH_
		.amdhsa_group_segment_fixed_size 0
		.amdhsa_private_segment_fixed_size 0
		.amdhsa_kernarg_size 88
		.amdhsa_user_sgpr_count 2
		.amdhsa_user_sgpr_dispatch_ptr 0
		.amdhsa_user_sgpr_queue_ptr 0
		.amdhsa_user_sgpr_kernarg_segment_ptr 1
		.amdhsa_user_sgpr_dispatch_id 0
		.amdhsa_user_sgpr_kernarg_preload_length 0
		.amdhsa_user_sgpr_kernarg_preload_offset 0
		.amdhsa_user_sgpr_private_segment_size 0
		.amdhsa_wavefront_size32 1
		.amdhsa_uses_dynamic_stack 0
		.amdhsa_enable_private_segment 0
		.amdhsa_system_sgpr_workgroup_id_x 1
		.amdhsa_system_sgpr_workgroup_id_y 0
		.amdhsa_system_sgpr_workgroup_id_z 0
		.amdhsa_system_sgpr_workgroup_info 0
		.amdhsa_system_vgpr_workitem_id 0
		.amdhsa_next_free_vgpr 1
		.amdhsa_next_free_sgpr 1
		.amdhsa_named_barrier_count 0
		.amdhsa_reserve_vcc 0
		.amdhsa_float_round_mode_32 0
		.amdhsa_float_round_mode_16_64 0
		.amdhsa_float_denorm_mode_32 3
		.amdhsa_float_denorm_mode_16_64 3
		.amdhsa_fp16_overflow 0
		.amdhsa_memory_ordered 1
		.amdhsa_forward_progress 1
		.amdhsa_inst_pref_size 0
		.amdhsa_round_robin_scheduling 0
		.amdhsa_exception_fp_ieee_invalid_op 0
		.amdhsa_exception_fp_denorm_src 0
		.amdhsa_exception_fp_ieee_div_zero 0
		.amdhsa_exception_fp_ieee_overflow 0
		.amdhsa_exception_fp_ieee_underflow 0
		.amdhsa_exception_fp_ieee_inexact 0
		.amdhsa_exception_int_div_zero 0
	.end_amdhsa_kernel
	.section	.text._ZN7rocprim17ROCPRIM_400000_NS6detail17trampoline_kernelINS0_14default_configENS1_36segmented_radix_sort_config_selectorIllEEZNS1_25segmented_radix_sort_implIS3_Lb1EPKlPlS8_S9_N2at6native12_GLOBAL__N_18offset_tEEE10hipError_tPvRmT1_PNSt15iterator_traitsISH_E10value_typeET2_T3_PNSI_ISN_E10value_typeET4_jRbjT5_ST_jjP12ihipStream_tbEUlT_E0_NS1_11comp_targetILNS1_3genE4ELNS1_11target_archE910ELNS1_3gpuE8ELNS1_3repE0EEENS1_60segmented_radix_sort_warp_sort_medium_config_static_selectorELNS0_4arch9wavefront6targetE0EEEvSH_,"axG",@progbits,_ZN7rocprim17ROCPRIM_400000_NS6detail17trampoline_kernelINS0_14default_configENS1_36segmented_radix_sort_config_selectorIllEEZNS1_25segmented_radix_sort_implIS3_Lb1EPKlPlS8_S9_N2at6native12_GLOBAL__N_18offset_tEEE10hipError_tPvRmT1_PNSt15iterator_traitsISH_E10value_typeET2_T3_PNSI_ISN_E10value_typeET4_jRbjT5_ST_jjP12ihipStream_tbEUlT_E0_NS1_11comp_targetILNS1_3genE4ELNS1_11target_archE910ELNS1_3gpuE8ELNS1_3repE0EEENS1_60segmented_radix_sort_warp_sort_medium_config_static_selectorELNS0_4arch9wavefront6targetE0EEEvSH_,comdat
.Lfunc_end713:
	.size	_ZN7rocprim17ROCPRIM_400000_NS6detail17trampoline_kernelINS0_14default_configENS1_36segmented_radix_sort_config_selectorIllEEZNS1_25segmented_radix_sort_implIS3_Lb1EPKlPlS8_S9_N2at6native12_GLOBAL__N_18offset_tEEE10hipError_tPvRmT1_PNSt15iterator_traitsISH_E10value_typeET2_T3_PNSI_ISN_E10value_typeET4_jRbjT5_ST_jjP12ihipStream_tbEUlT_E0_NS1_11comp_targetILNS1_3genE4ELNS1_11target_archE910ELNS1_3gpuE8ELNS1_3repE0EEENS1_60segmented_radix_sort_warp_sort_medium_config_static_selectorELNS0_4arch9wavefront6targetE0EEEvSH_, .Lfunc_end713-_ZN7rocprim17ROCPRIM_400000_NS6detail17trampoline_kernelINS0_14default_configENS1_36segmented_radix_sort_config_selectorIllEEZNS1_25segmented_radix_sort_implIS3_Lb1EPKlPlS8_S9_N2at6native12_GLOBAL__N_18offset_tEEE10hipError_tPvRmT1_PNSt15iterator_traitsISH_E10value_typeET2_T3_PNSI_ISN_E10value_typeET4_jRbjT5_ST_jjP12ihipStream_tbEUlT_E0_NS1_11comp_targetILNS1_3genE4ELNS1_11target_archE910ELNS1_3gpuE8ELNS1_3repE0EEENS1_60segmented_radix_sort_warp_sort_medium_config_static_selectorELNS0_4arch9wavefront6targetE0EEEvSH_
                                        ; -- End function
	.set _ZN7rocprim17ROCPRIM_400000_NS6detail17trampoline_kernelINS0_14default_configENS1_36segmented_radix_sort_config_selectorIllEEZNS1_25segmented_radix_sort_implIS3_Lb1EPKlPlS8_S9_N2at6native12_GLOBAL__N_18offset_tEEE10hipError_tPvRmT1_PNSt15iterator_traitsISH_E10value_typeET2_T3_PNSI_ISN_E10value_typeET4_jRbjT5_ST_jjP12ihipStream_tbEUlT_E0_NS1_11comp_targetILNS1_3genE4ELNS1_11target_archE910ELNS1_3gpuE8ELNS1_3repE0EEENS1_60segmented_radix_sort_warp_sort_medium_config_static_selectorELNS0_4arch9wavefront6targetE0EEEvSH_.num_vgpr, 0
	.set _ZN7rocprim17ROCPRIM_400000_NS6detail17trampoline_kernelINS0_14default_configENS1_36segmented_radix_sort_config_selectorIllEEZNS1_25segmented_radix_sort_implIS3_Lb1EPKlPlS8_S9_N2at6native12_GLOBAL__N_18offset_tEEE10hipError_tPvRmT1_PNSt15iterator_traitsISH_E10value_typeET2_T3_PNSI_ISN_E10value_typeET4_jRbjT5_ST_jjP12ihipStream_tbEUlT_E0_NS1_11comp_targetILNS1_3genE4ELNS1_11target_archE910ELNS1_3gpuE8ELNS1_3repE0EEENS1_60segmented_radix_sort_warp_sort_medium_config_static_selectorELNS0_4arch9wavefront6targetE0EEEvSH_.num_agpr, 0
	.set _ZN7rocprim17ROCPRIM_400000_NS6detail17trampoline_kernelINS0_14default_configENS1_36segmented_radix_sort_config_selectorIllEEZNS1_25segmented_radix_sort_implIS3_Lb1EPKlPlS8_S9_N2at6native12_GLOBAL__N_18offset_tEEE10hipError_tPvRmT1_PNSt15iterator_traitsISH_E10value_typeET2_T3_PNSI_ISN_E10value_typeET4_jRbjT5_ST_jjP12ihipStream_tbEUlT_E0_NS1_11comp_targetILNS1_3genE4ELNS1_11target_archE910ELNS1_3gpuE8ELNS1_3repE0EEENS1_60segmented_radix_sort_warp_sort_medium_config_static_selectorELNS0_4arch9wavefront6targetE0EEEvSH_.numbered_sgpr, 0
	.set _ZN7rocprim17ROCPRIM_400000_NS6detail17trampoline_kernelINS0_14default_configENS1_36segmented_radix_sort_config_selectorIllEEZNS1_25segmented_radix_sort_implIS3_Lb1EPKlPlS8_S9_N2at6native12_GLOBAL__N_18offset_tEEE10hipError_tPvRmT1_PNSt15iterator_traitsISH_E10value_typeET2_T3_PNSI_ISN_E10value_typeET4_jRbjT5_ST_jjP12ihipStream_tbEUlT_E0_NS1_11comp_targetILNS1_3genE4ELNS1_11target_archE910ELNS1_3gpuE8ELNS1_3repE0EEENS1_60segmented_radix_sort_warp_sort_medium_config_static_selectorELNS0_4arch9wavefront6targetE0EEEvSH_.num_named_barrier, 0
	.set _ZN7rocprim17ROCPRIM_400000_NS6detail17trampoline_kernelINS0_14default_configENS1_36segmented_radix_sort_config_selectorIllEEZNS1_25segmented_radix_sort_implIS3_Lb1EPKlPlS8_S9_N2at6native12_GLOBAL__N_18offset_tEEE10hipError_tPvRmT1_PNSt15iterator_traitsISH_E10value_typeET2_T3_PNSI_ISN_E10value_typeET4_jRbjT5_ST_jjP12ihipStream_tbEUlT_E0_NS1_11comp_targetILNS1_3genE4ELNS1_11target_archE910ELNS1_3gpuE8ELNS1_3repE0EEENS1_60segmented_radix_sort_warp_sort_medium_config_static_selectorELNS0_4arch9wavefront6targetE0EEEvSH_.private_seg_size, 0
	.set _ZN7rocprim17ROCPRIM_400000_NS6detail17trampoline_kernelINS0_14default_configENS1_36segmented_radix_sort_config_selectorIllEEZNS1_25segmented_radix_sort_implIS3_Lb1EPKlPlS8_S9_N2at6native12_GLOBAL__N_18offset_tEEE10hipError_tPvRmT1_PNSt15iterator_traitsISH_E10value_typeET2_T3_PNSI_ISN_E10value_typeET4_jRbjT5_ST_jjP12ihipStream_tbEUlT_E0_NS1_11comp_targetILNS1_3genE4ELNS1_11target_archE910ELNS1_3gpuE8ELNS1_3repE0EEENS1_60segmented_radix_sort_warp_sort_medium_config_static_selectorELNS0_4arch9wavefront6targetE0EEEvSH_.uses_vcc, 0
	.set _ZN7rocprim17ROCPRIM_400000_NS6detail17trampoline_kernelINS0_14default_configENS1_36segmented_radix_sort_config_selectorIllEEZNS1_25segmented_radix_sort_implIS3_Lb1EPKlPlS8_S9_N2at6native12_GLOBAL__N_18offset_tEEE10hipError_tPvRmT1_PNSt15iterator_traitsISH_E10value_typeET2_T3_PNSI_ISN_E10value_typeET4_jRbjT5_ST_jjP12ihipStream_tbEUlT_E0_NS1_11comp_targetILNS1_3genE4ELNS1_11target_archE910ELNS1_3gpuE8ELNS1_3repE0EEENS1_60segmented_radix_sort_warp_sort_medium_config_static_selectorELNS0_4arch9wavefront6targetE0EEEvSH_.uses_flat_scratch, 0
	.set _ZN7rocprim17ROCPRIM_400000_NS6detail17trampoline_kernelINS0_14default_configENS1_36segmented_radix_sort_config_selectorIllEEZNS1_25segmented_radix_sort_implIS3_Lb1EPKlPlS8_S9_N2at6native12_GLOBAL__N_18offset_tEEE10hipError_tPvRmT1_PNSt15iterator_traitsISH_E10value_typeET2_T3_PNSI_ISN_E10value_typeET4_jRbjT5_ST_jjP12ihipStream_tbEUlT_E0_NS1_11comp_targetILNS1_3genE4ELNS1_11target_archE910ELNS1_3gpuE8ELNS1_3repE0EEENS1_60segmented_radix_sort_warp_sort_medium_config_static_selectorELNS0_4arch9wavefront6targetE0EEEvSH_.has_dyn_sized_stack, 0
	.set _ZN7rocprim17ROCPRIM_400000_NS6detail17trampoline_kernelINS0_14default_configENS1_36segmented_radix_sort_config_selectorIllEEZNS1_25segmented_radix_sort_implIS3_Lb1EPKlPlS8_S9_N2at6native12_GLOBAL__N_18offset_tEEE10hipError_tPvRmT1_PNSt15iterator_traitsISH_E10value_typeET2_T3_PNSI_ISN_E10value_typeET4_jRbjT5_ST_jjP12ihipStream_tbEUlT_E0_NS1_11comp_targetILNS1_3genE4ELNS1_11target_archE910ELNS1_3gpuE8ELNS1_3repE0EEENS1_60segmented_radix_sort_warp_sort_medium_config_static_selectorELNS0_4arch9wavefront6targetE0EEEvSH_.has_recursion, 0
	.set _ZN7rocprim17ROCPRIM_400000_NS6detail17trampoline_kernelINS0_14default_configENS1_36segmented_radix_sort_config_selectorIllEEZNS1_25segmented_radix_sort_implIS3_Lb1EPKlPlS8_S9_N2at6native12_GLOBAL__N_18offset_tEEE10hipError_tPvRmT1_PNSt15iterator_traitsISH_E10value_typeET2_T3_PNSI_ISN_E10value_typeET4_jRbjT5_ST_jjP12ihipStream_tbEUlT_E0_NS1_11comp_targetILNS1_3genE4ELNS1_11target_archE910ELNS1_3gpuE8ELNS1_3repE0EEENS1_60segmented_radix_sort_warp_sort_medium_config_static_selectorELNS0_4arch9wavefront6targetE0EEEvSH_.has_indirect_call, 0
	.section	.AMDGPU.csdata,"",@progbits
; Kernel info:
; codeLenInByte = 0
; TotalNumSgprs: 0
; NumVgprs: 0
; ScratchSize: 0
; MemoryBound: 0
; FloatMode: 240
; IeeeMode: 1
; LDSByteSize: 0 bytes/workgroup (compile time only)
; SGPRBlocks: 0
; VGPRBlocks: 0
; NumSGPRsForWavesPerEU: 1
; NumVGPRsForWavesPerEU: 1
; NamedBarCnt: 0
; Occupancy: 16
; WaveLimiterHint : 0
; COMPUTE_PGM_RSRC2:SCRATCH_EN: 0
; COMPUTE_PGM_RSRC2:USER_SGPR: 2
; COMPUTE_PGM_RSRC2:TRAP_HANDLER: 0
; COMPUTE_PGM_RSRC2:TGID_X_EN: 1
; COMPUTE_PGM_RSRC2:TGID_Y_EN: 0
; COMPUTE_PGM_RSRC2:TGID_Z_EN: 0
; COMPUTE_PGM_RSRC2:TIDIG_COMP_CNT: 0
	.section	.text._ZN7rocprim17ROCPRIM_400000_NS6detail17trampoline_kernelINS0_14default_configENS1_36segmented_radix_sort_config_selectorIllEEZNS1_25segmented_radix_sort_implIS3_Lb1EPKlPlS8_S9_N2at6native12_GLOBAL__N_18offset_tEEE10hipError_tPvRmT1_PNSt15iterator_traitsISH_E10value_typeET2_T3_PNSI_ISN_E10value_typeET4_jRbjT5_ST_jjP12ihipStream_tbEUlT_E0_NS1_11comp_targetILNS1_3genE3ELNS1_11target_archE908ELNS1_3gpuE7ELNS1_3repE0EEENS1_60segmented_radix_sort_warp_sort_medium_config_static_selectorELNS0_4arch9wavefront6targetE0EEEvSH_,"axG",@progbits,_ZN7rocprim17ROCPRIM_400000_NS6detail17trampoline_kernelINS0_14default_configENS1_36segmented_radix_sort_config_selectorIllEEZNS1_25segmented_radix_sort_implIS3_Lb1EPKlPlS8_S9_N2at6native12_GLOBAL__N_18offset_tEEE10hipError_tPvRmT1_PNSt15iterator_traitsISH_E10value_typeET2_T3_PNSI_ISN_E10value_typeET4_jRbjT5_ST_jjP12ihipStream_tbEUlT_E0_NS1_11comp_targetILNS1_3genE3ELNS1_11target_archE908ELNS1_3gpuE7ELNS1_3repE0EEENS1_60segmented_radix_sort_warp_sort_medium_config_static_selectorELNS0_4arch9wavefront6targetE0EEEvSH_,comdat
	.globl	_ZN7rocprim17ROCPRIM_400000_NS6detail17trampoline_kernelINS0_14default_configENS1_36segmented_radix_sort_config_selectorIllEEZNS1_25segmented_radix_sort_implIS3_Lb1EPKlPlS8_S9_N2at6native12_GLOBAL__N_18offset_tEEE10hipError_tPvRmT1_PNSt15iterator_traitsISH_E10value_typeET2_T3_PNSI_ISN_E10value_typeET4_jRbjT5_ST_jjP12ihipStream_tbEUlT_E0_NS1_11comp_targetILNS1_3genE3ELNS1_11target_archE908ELNS1_3gpuE7ELNS1_3repE0EEENS1_60segmented_radix_sort_warp_sort_medium_config_static_selectorELNS0_4arch9wavefront6targetE0EEEvSH_ ; -- Begin function _ZN7rocprim17ROCPRIM_400000_NS6detail17trampoline_kernelINS0_14default_configENS1_36segmented_radix_sort_config_selectorIllEEZNS1_25segmented_radix_sort_implIS3_Lb1EPKlPlS8_S9_N2at6native12_GLOBAL__N_18offset_tEEE10hipError_tPvRmT1_PNSt15iterator_traitsISH_E10value_typeET2_T3_PNSI_ISN_E10value_typeET4_jRbjT5_ST_jjP12ihipStream_tbEUlT_E0_NS1_11comp_targetILNS1_3genE3ELNS1_11target_archE908ELNS1_3gpuE7ELNS1_3repE0EEENS1_60segmented_radix_sort_warp_sort_medium_config_static_selectorELNS0_4arch9wavefront6targetE0EEEvSH_
	.p2align	8
	.type	_ZN7rocprim17ROCPRIM_400000_NS6detail17trampoline_kernelINS0_14default_configENS1_36segmented_radix_sort_config_selectorIllEEZNS1_25segmented_radix_sort_implIS3_Lb1EPKlPlS8_S9_N2at6native12_GLOBAL__N_18offset_tEEE10hipError_tPvRmT1_PNSt15iterator_traitsISH_E10value_typeET2_T3_PNSI_ISN_E10value_typeET4_jRbjT5_ST_jjP12ihipStream_tbEUlT_E0_NS1_11comp_targetILNS1_3genE3ELNS1_11target_archE908ELNS1_3gpuE7ELNS1_3repE0EEENS1_60segmented_radix_sort_warp_sort_medium_config_static_selectorELNS0_4arch9wavefront6targetE0EEEvSH_,@function
_ZN7rocprim17ROCPRIM_400000_NS6detail17trampoline_kernelINS0_14default_configENS1_36segmented_radix_sort_config_selectorIllEEZNS1_25segmented_radix_sort_implIS3_Lb1EPKlPlS8_S9_N2at6native12_GLOBAL__N_18offset_tEEE10hipError_tPvRmT1_PNSt15iterator_traitsISH_E10value_typeET2_T3_PNSI_ISN_E10value_typeET4_jRbjT5_ST_jjP12ihipStream_tbEUlT_E0_NS1_11comp_targetILNS1_3genE3ELNS1_11target_archE908ELNS1_3gpuE7ELNS1_3repE0EEENS1_60segmented_radix_sort_warp_sort_medium_config_static_selectorELNS0_4arch9wavefront6targetE0EEEvSH_: ; @_ZN7rocprim17ROCPRIM_400000_NS6detail17trampoline_kernelINS0_14default_configENS1_36segmented_radix_sort_config_selectorIllEEZNS1_25segmented_radix_sort_implIS3_Lb1EPKlPlS8_S9_N2at6native12_GLOBAL__N_18offset_tEEE10hipError_tPvRmT1_PNSt15iterator_traitsISH_E10value_typeET2_T3_PNSI_ISN_E10value_typeET4_jRbjT5_ST_jjP12ihipStream_tbEUlT_E0_NS1_11comp_targetILNS1_3genE3ELNS1_11target_archE908ELNS1_3gpuE7ELNS1_3repE0EEENS1_60segmented_radix_sort_warp_sort_medium_config_static_selectorELNS0_4arch9wavefront6targetE0EEEvSH_
; %bb.0:
	.section	.rodata,"a",@progbits
	.p2align	6, 0x0
	.amdhsa_kernel _ZN7rocprim17ROCPRIM_400000_NS6detail17trampoline_kernelINS0_14default_configENS1_36segmented_radix_sort_config_selectorIllEEZNS1_25segmented_radix_sort_implIS3_Lb1EPKlPlS8_S9_N2at6native12_GLOBAL__N_18offset_tEEE10hipError_tPvRmT1_PNSt15iterator_traitsISH_E10value_typeET2_T3_PNSI_ISN_E10value_typeET4_jRbjT5_ST_jjP12ihipStream_tbEUlT_E0_NS1_11comp_targetILNS1_3genE3ELNS1_11target_archE908ELNS1_3gpuE7ELNS1_3repE0EEENS1_60segmented_radix_sort_warp_sort_medium_config_static_selectorELNS0_4arch9wavefront6targetE0EEEvSH_
		.amdhsa_group_segment_fixed_size 0
		.amdhsa_private_segment_fixed_size 0
		.amdhsa_kernarg_size 88
		.amdhsa_user_sgpr_count 2
		.amdhsa_user_sgpr_dispatch_ptr 0
		.amdhsa_user_sgpr_queue_ptr 0
		.amdhsa_user_sgpr_kernarg_segment_ptr 1
		.amdhsa_user_sgpr_dispatch_id 0
		.amdhsa_user_sgpr_kernarg_preload_length 0
		.amdhsa_user_sgpr_kernarg_preload_offset 0
		.amdhsa_user_sgpr_private_segment_size 0
		.amdhsa_wavefront_size32 1
		.amdhsa_uses_dynamic_stack 0
		.amdhsa_enable_private_segment 0
		.amdhsa_system_sgpr_workgroup_id_x 1
		.amdhsa_system_sgpr_workgroup_id_y 0
		.amdhsa_system_sgpr_workgroup_id_z 0
		.amdhsa_system_sgpr_workgroup_info 0
		.amdhsa_system_vgpr_workitem_id 0
		.amdhsa_next_free_vgpr 1
		.amdhsa_next_free_sgpr 1
		.amdhsa_named_barrier_count 0
		.amdhsa_reserve_vcc 0
		.amdhsa_float_round_mode_32 0
		.amdhsa_float_round_mode_16_64 0
		.amdhsa_float_denorm_mode_32 3
		.amdhsa_float_denorm_mode_16_64 3
		.amdhsa_fp16_overflow 0
		.amdhsa_memory_ordered 1
		.amdhsa_forward_progress 1
		.amdhsa_inst_pref_size 0
		.amdhsa_round_robin_scheduling 0
		.amdhsa_exception_fp_ieee_invalid_op 0
		.amdhsa_exception_fp_denorm_src 0
		.amdhsa_exception_fp_ieee_div_zero 0
		.amdhsa_exception_fp_ieee_overflow 0
		.amdhsa_exception_fp_ieee_underflow 0
		.amdhsa_exception_fp_ieee_inexact 0
		.amdhsa_exception_int_div_zero 0
	.end_amdhsa_kernel
	.section	.text._ZN7rocprim17ROCPRIM_400000_NS6detail17trampoline_kernelINS0_14default_configENS1_36segmented_radix_sort_config_selectorIllEEZNS1_25segmented_radix_sort_implIS3_Lb1EPKlPlS8_S9_N2at6native12_GLOBAL__N_18offset_tEEE10hipError_tPvRmT1_PNSt15iterator_traitsISH_E10value_typeET2_T3_PNSI_ISN_E10value_typeET4_jRbjT5_ST_jjP12ihipStream_tbEUlT_E0_NS1_11comp_targetILNS1_3genE3ELNS1_11target_archE908ELNS1_3gpuE7ELNS1_3repE0EEENS1_60segmented_radix_sort_warp_sort_medium_config_static_selectorELNS0_4arch9wavefront6targetE0EEEvSH_,"axG",@progbits,_ZN7rocprim17ROCPRIM_400000_NS6detail17trampoline_kernelINS0_14default_configENS1_36segmented_radix_sort_config_selectorIllEEZNS1_25segmented_radix_sort_implIS3_Lb1EPKlPlS8_S9_N2at6native12_GLOBAL__N_18offset_tEEE10hipError_tPvRmT1_PNSt15iterator_traitsISH_E10value_typeET2_T3_PNSI_ISN_E10value_typeET4_jRbjT5_ST_jjP12ihipStream_tbEUlT_E0_NS1_11comp_targetILNS1_3genE3ELNS1_11target_archE908ELNS1_3gpuE7ELNS1_3repE0EEENS1_60segmented_radix_sort_warp_sort_medium_config_static_selectorELNS0_4arch9wavefront6targetE0EEEvSH_,comdat
.Lfunc_end714:
	.size	_ZN7rocprim17ROCPRIM_400000_NS6detail17trampoline_kernelINS0_14default_configENS1_36segmented_radix_sort_config_selectorIllEEZNS1_25segmented_radix_sort_implIS3_Lb1EPKlPlS8_S9_N2at6native12_GLOBAL__N_18offset_tEEE10hipError_tPvRmT1_PNSt15iterator_traitsISH_E10value_typeET2_T3_PNSI_ISN_E10value_typeET4_jRbjT5_ST_jjP12ihipStream_tbEUlT_E0_NS1_11comp_targetILNS1_3genE3ELNS1_11target_archE908ELNS1_3gpuE7ELNS1_3repE0EEENS1_60segmented_radix_sort_warp_sort_medium_config_static_selectorELNS0_4arch9wavefront6targetE0EEEvSH_, .Lfunc_end714-_ZN7rocprim17ROCPRIM_400000_NS6detail17trampoline_kernelINS0_14default_configENS1_36segmented_radix_sort_config_selectorIllEEZNS1_25segmented_radix_sort_implIS3_Lb1EPKlPlS8_S9_N2at6native12_GLOBAL__N_18offset_tEEE10hipError_tPvRmT1_PNSt15iterator_traitsISH_E10value_typeET2_T3_PNSI_ISN_E10value_typeET4_jRbjT5_ST_jjP12ihipStream_tbEUlT_E0_NS1_11comp_targetILNS1_3genE3ELNS1_11target_archE908ELNS1_3gpuE7ELNS1_3repE0EEENS1_60segmented_radix_sort_warp_sort_medium_config_static_selectorELNS0_4arch9wavefront6targetE0EEEvSH_
                                        ; -- End function
	.set _ZN7rocprim17ROCPRIM_400000_NS6detail17trampoline_kernelINS0_14default_configENS1_36segmented_radix_sort_config_selectorIllEEZNS1_25segmented_radix_sort_implIS3_Lb1EPKlPlS8_S9_N2at6native12_GLOBAL__N_18offset_tEEE10hipError_tPvRmT1_PNSt15iterator_traitsISH_E10value_typeET2_T3_PNSI_ISN_E10value_typeET4_jRbjT5_ST_jjP12ihipStream_tbEUlT_E0_NS1_11comp_targetILNS1_3genE3ELNS1_11target_archE908ELNS1_3gpuE7ELNS1_3repE0EEENS1_60segmented_radix_sort_warp_sort_medium_config_static_selectorELNS0_4arch9wavefront6targetE0EEEvSH_.num_vgpr, 0
	.set _ZN7rocprim17ROCPRIM_400000_NS6detail17trampoline_kernelINS0_14default_configENS1_36segmented_radix_sort_config_selectorIllEEZNS1_25segmented_radix_sort_implIS3_Lb1EPKlPlS8_S9_N2at6native12_GLOBAL__N_18offset_tEEE10hipError_tPvRmT1_PNSt15iterator_traitsISH_E10value_typeET2_T3_PNSI_ISN_E10value_typeET4_jRbjT5_ST_jjP12ihipStream_tbEUlT_E0_NS1_11comp_targetILNS1_3genE3ELNS1_11target_archE908ELNS1_3gpuE7ELNS1_3repE0EEENS1_60segmented_radix_sort_warp_sort_medium_config_static_selectorELNS0_4arch9wavefront6targetE0EEEvSH_.num_agpr, 0
	.set _ZN7rocprim17ROCPRIM_400000_NS6detail17trampoline_kernelINS0_14default_configENS1_36segmented_radix_sort_config_selectorIllEEZNS1_25segmented_radix_sort_implIS3_Lb1EPKlPlS8_S9_N2at6native12_GLOBAL__N_18offset_tEEE10hipError_tPvRmT1_PNSt15iterator_traitsISH_E10value_typeET2_T3_PNSI_ISN_E10value_typeET4_jRbjT5_ST_jjP12ihipStream_tbEUlT_E0_NS1_11comp_targetILNS1_3genE3ELNS1_11target_archE908ELNS1_3gpuE7ELNS1_3repE0EEENS1_60segmented_radix_sort_warp_sort_medium_config_static_selectorELNS0_4arch9wavefront6targetE0EEEvSH_.numbered_sgpr, 0
	.set _ZN7rocprim17ROCPRIM_400000_NS6detail17trampoline_kernelINS0_14default_configENS1_36segmented_radix_sort_config_selectorIllEEZNS1_25segmented_radix_sort_implIS3_Lb1EPKlPlS8_S9_N2at6native12_GLOBAL__N_18offset_tEEE10hipError_tPvRmT1_PNSt15iterator_traitsISH_E10value_typeET2_T3_PNSI_ISN_E10value_typeET4_jRbjT5_ST_jjP12ihipStream_tbEUlT_E0_NS1_11comp_targetILNS1_3genE3ELNS1_11target_archE908ELNS1_3gpuE7ELNS1_3repE0EEENS1_60segmented_radix_sort_warp_sort_medium_config_static_selectorELNS0_4arch9wavefront6targetE0EEEvSH_.num_named_barrier, 0
	.set _ZN7rocprim17ROCPRIM_400000_NS6detail17trampoline_kernelINS0_14default_configENS1_36segmented_radix_sort_config_selectorIllEEZNS1_25segmented_radix_sort_implIS3_Lb1EPKlPlS8_S9_N2at6native12_GLOBAL__N_18offset_tEEE10hipError_tPvRmT1_PNSt15iterator_traitsISH_E10value_typeET2_T3_PNSI_ISN_E10value_typeET4_jRbjT5_ST_jjP12ihipStream_tbEUlT_E0_NS1_11comp_targetILNS1_3genE3ELNS1_11target_archE908ELNS1_3gpuE7ELNS1_3repE0EEENS1_60segmented_radix_sort_warp_sort_medium_config_static_selectorELNS0_4arch9wavefront6targetE0EEEvSH_.private_seg_size, 0
	.set _ZN7rocprim17ROCPRIM_400000_NS6detail17trampoline_kernelINS0_14default_configENS1_36segmented_radix_sort_config_selectorIllEEZNS1_25segmented_radix_sort_implIS3_Lb1EPKlPlS8_S9_N2at6native12_GLOBAL__N_18offset_tEEE10hipError_tPvRmT1_PNSt15iterator_traitsISH_E10value_typeET2_T3_PNSI_ISN_E10value_typeET4_jRbjT5_ST_jjP12ihipStream_tbEUlT_E0_NS1_11comp_targetILNS1_3genE3ELNS1_11target_archE908ELNS1_3gpuE7ELNS1_3repE0EEENS1_60segmented_radix_sort_warp_sort_medium_config_static_selectorELNS0_4arch9wavefront6targetE0EEEvSH_.uses_vcc, 0
	.set _ZN7rocprim17ROCPRIM_400000_NS6detail17trampoline_kernelINS0_14default_configENS1_36segmented_radix_sort_config_selectorIllEEZNS1_25segmented_radix_sort_implIS3_Lb1EPKlPlS8_S9_N2at6native12_GLOBAL__N_18offset_tEEE10hipError_tPvRmT1_PNSt15iterator_traitsISH_E10value_typeET2_T3_PNSI_ISN_E10value_typeET4_jRbjT5_ST_jjP12ihipStream_tbEUlT_E0_NS1_11comp_targetILNS1_3genE3ELNS1_11target_archE908ELNS1_3gpuE7ELNS1_3repE0EEENS1_60segmented_radix_sort_warp_sort_medium_config_static_selectorELNS0_4arch9wavefront6targetE0EEEvSH_.uses_flat_scratch, 0
	.set _ZN7rocprim17ROCPRIM_400000_NS6detail17trampoline_kernelINS0_14default_configENS1_36segmented_radix_sort_config_selectorIllEEZNS1_25segmented_radix_sort_implIS3_Lb1EPKlPlS8_S9_N2at6native12_GLOBAL__N_18offset_tEEE10hipError_tPvRmT1_PNSt15iterator_traitsISH_E10value_typeET2_T3_PNSI_ISN_E10value_typeET4_jRbjT5_ST_jjP12ihipStream_tbEUlT_E0_NS1_11comp_targetILNS1_3genE3ELNS1_11target_archE908ELNS1_3gpuE7ELNS1_3repE0EEENS1_60segmented_radix_sort_warp_sort_medium_config_static_selectorELNS0_4arch9wavefront6targetE0EEEvSH_.has_dyn_sized_stack, 0
	.set _ZN7rocprim17ROCPRIM_400000_NS6detail17trampoline_kernelINS0_14default_configENS1_36segmented_radix_sort_config_selectorIllEEZNS1_25segmented_radix_sort_implIS3_Lb1EPKlPlS8_S9_N2at6native12_GLOBAL__N_18offset_tEEE10hipError_tPvRmT1_PNSt15iterator_traitsISH_E10value_typeET2_T3_PNSI_ISN_E10value_typeET4_jRbjT5_ST_jjP12ihipStream_tbEUlT_E0_NS1_11comp_targetILNS1_3genE3ELNS1_11target_archE908ELNS1_3gpuE7ELNS1_3repE0EEENS1_60segmented_radix_sort_warp_sort_medium_config_static_selectorELNS0_4arch9wavefront6targetE0EEEvSH_.has_recursion, 0
	.set _ZN7rocprim17ROCPRIM_400000_NS6detail17trampoline_kernelINS0_14default_configENS1_36segmented_radix_sort_config_selectorIllEEZNS1_25segmented_radix_sort_implIS3_Lb1EPKlPlS8_S9_N2at6native12_GLOBAL__N_18offset_tEEE10hipError_tPvRmT1_PNSt15iterator_traitsISH_E10value_typeET2_T3_PNSI_ISN_E10value_typeET4_jRbjT5_ST_jjP12ihipStream_tbEUlT_E0_NS1_11comp_targetILNS1_3genE3ELNS1_11target_archE908ELNS1_3gpuE7ELNS1_3repE0EEENS1_60segmented_radix_sort_warp_sort_medium_config_static_selectorELNS0_4arch9wavefront6targetE0EEEvSH_.has_indirect_call, 0
	.section	.AMDGPU.csdata,"",@progbits
; Kernel info:
; codeLenInByte = 0
; TotalNumSgprs: 0
; NumVgprs: 0
; ScratchSize: 0
; MemoryBound: 0
; FloatMode: 240
; IeeeMode: 1
; LDSByteSize: 0 bytes/workgroup (compile time only)
; SGPRBlocks: 0
; VGPRBlocks: 0
; NumSGPRsForWavesPerEU: 1
; NumVGPRsForWavesPerEU: 1
; NamedBarCnt: 0
; Occupancy: 16
; WaveLimiterHint : 0
; COMPUTE_PGM_RSRC2:SCRATCH_EN: 0
; COMPUTE_PGM_RSRC2:USER_SGPR: 2
; COMPUTE_PGM_RSRC2:TRAP_HANDLER: 0
; COMPUTE_PGM_RSRC2:TGID_X_EN: 1
; COMPUTE_PGM_RSRC2:TGID_Y_EN: 0
; COMPUTE_PGM_RSRC2:TGID_Z_EN: 0
; COMPUTE_PGM_RSRC2:TIDIG_COMP_CNT: 0
	.section	.text._ZN7rocprim17ROCPRIM_400000_NS6detail17trampoline_kernelINS0_14default_configENS1_36segmented_radix_sort_config_selectorIllEEZNS1_25segmented_radix_sort_implIS3_Lb1EPKlPlS8_S9_N2at6native12_GLOBAL__N_18offset_tEEE10hipError_tPvRmT1_PNSt15iterator_traitsISH_E10value_typeET2_T3_PNSI_ISN_E10value_typeET4_jRbjT5_ST_jjP12ihipStream_tbEUlT_E0_NS1_11comp_targetILNS1_3genE2ELNS1_11target_archE906ELNS1_3gpuE6ELNS1_3repE0EEENS1_60segmented_radix_sort_warp_sort_medium_config_static_selectorELNS0_4arch9wavefront6targetE0EEEvSH_,"axG",@progbits,_ZN7rocprim17ROCPRIM_400000_NS6detail17trampoline_kernelINS0_14default_configENS1_36segmented_radix_sort_config_selectorIllEEZNS1_25segmented_radix_sort_implIS3_Lb1EPKlPlS8_S9_N2at6native12_GLOBAL__N_18offset_tEEE10hipError_tPvRmT1_PNSt15iterator_traitsISH_E10value_typeET2_T3_PNSI_ISN_E10value_typeET4_jRbjT5_ST_jjP12ihipStream_tbEUlT_E0_NS1_11comp_targetILNS1_3genE2ELNS1_11target_archE906ELNS1_3gpuE6ELNS1_3repE0EEENS1_60segmented_radix_sort_warp_sort_medium_config_static_selectorELNS0_4arch9wavefront6targetE0EEEvSH_,comdat
	.globl	_ZN7rocprim17ROCPRIM_400000_NS6detail17trampoline_kernelINS0_14default_configENS1_36segmented_radix_sort_config_selectorIllEEZNS1_25segmented_radix_sort_implIS3_Lb1EPKlPlS8_S9_N2at6native12_GLOBAL__N_18offset_tEEE10hipError_tPvRmT1_PNSt15iterator_traitsISH_E10value_typeET2_T3_PNSI_ISN_E10value_typeET4_jRbjT5_ST_jjP12ihipStream_tbEUlT_E0_NS1_11comp_targetILNS1_3genE2ELNS1_11target_archE906ELNS1_3gpuE6ELNS1_3repE0EEENS1_60segmented_radix_sort_warp_sort_medium_config_static_selectorELNS0_4arch9wavefront6targetE0EEEvSH_ ; -- Begin function _ZN7rocprim17ROCPRIM_400000_NS6detail17trampoline_kernelINS0_14default_configENS1_36segmented_radix_sort_config_selectorIllEEZNS1_25segmented_radix_sort_implIS3_Lb1EPKlPlS8_S9_N2at6native12_GLOBAL__N_18offset_tEEE10hipError_tPvRmT1_PNSt15iterator_traitsISH_E10value_typeET2_T3_PNSI_ISN_E10value_typeET4_jRbjT5_ST_jjP12ihipStream_tbEUlT_E0_NS1_11comp_targetILNS1_3genE2ELNS1_11target_archE906ELNS1_3gpuE6ELNS1_3repE0EEENS1_60segmented_radix_sort_warp_sort_medium_config_static_selectorELNS0_4arch9wavefront6targetE0EEEvSH_
	.p2align	8
	.type	_ZN7rocprim17ROCPRIM_400000_NS6detail17trampoline_kernelINS0_14default_configENS1_36segmented_radix_sort_config_selectorIllEEZNS1_25segmented_radix_sort_implIS3_Lb1EPKlPlS8_S9_N2at6native12_GLOBAL__N_18offset_tEEE10hipError_tPvRmT1_PNSt15iterator_traitsISH_E10value_typeET2_T3_PNSI_ISN_E10value_typeET4_jRbjT5_ST_jjP12ihipStream_tbEUlT_E0_NS1_11comp_targetILNS1_3genE2ELNS1_11target_archE906ELNS1_3gpuE6ELNS1_3repE0EEENS1_60segmented_radix_sort_warp_sort_medium_config_static_selectorELNS0_4arch9wavefront6targetE0EEEvSH_,@function
_ZN7rocprim17ROCPRIM_400000_NS6detail17trampoline_kernelINS0_14default_configENS1_36segmented_radix_sort_config_selectorIllEEZNS1_25segmented_radix_sort_implIS3_Lb1EPKlPlS8_S9_N2at6native12_GLOBAL__N_18offset_tEEE10hipError_tPvRmT1_PNSt15iterator_traitsISH_E10value_typeET2_T3_PNSI_ISN_E10value_typeET4_jRbjT5_ST_jjP12ihipStream_tbEUlT_E0_NS1_11comp_targetILNS1_3genE2ELNS1_11target_archE906ELNS1_3gpuE6ELNS1_3repE0EEENS1_60segmented_radix_sort_warp_sort_medium_config_static_selectorELNS0_4arch9wavefront6targetE0EEEvSH_: ; @_ZN7rocprim17ROCPRIM_400000_NS6detail17trampoline_kernelINS0_14default_configENS1_36segmented_radix_sort_config_selectorIllEEZNS1_25segmented_radix_sort_implIS3_Lb1EPKlPlS8_S9_N2at6native12_GLOBAL__N_18offset_tEEE10hipError_tPvRmT1_PNSt15iterator_traitsISH_E10value_typeET2_T3_PNSI_ISN_E10value_typeET4_jRbjT5_ST_jjP12ihipStream_tbEUlT_E0_NS1_11comp_targetILNS1_3genE2ELNS1_11target_archE906ELNS1_3gpuE6ELNS1_3repE0EEENS1_60segmented_radix_sort_warp_sort_medium_config_static_selectorELNS0_4arch9wavefront6targetE0EEEvSH_
; %bb.0:
	.section	.rodata,"a",@progbits
	.p2align	6, 0x0
	.amdhsa_kernel _ZN7rocprim17ROCPRIM_400000_NS6detail17trampoline_kernelINS0_14default_configENS1_36segmented_radix_sort_config_selectorIllEEZNS1_25segmented_radix_sort_implIS3_Lb1EPKlPlS8_S9_N2at6native12_GLOBAL__N_18offset_tEEE10hipError_tPvRmT1_PNSt15iterator_traitsISH_E10value_typeET2_T3_PNSI_ISN_E10value_typeET4_jRbjT5_ST_jjP12ihipStream_tbEUlT_E0_NS1_11comp_targetILNS1_3genE2ELNS1_11target_archE906ELNS1_3gpuE6ELNS1_3repE0EEENS1_60segmented_radix_sort_warp_sort_medium_config_static_selectorELNS0_4arch9wavefront6targetE0EEEvSH_
		.amdhsa_group_segment_fixed_size 0
		.amdhsa_private_segment_fixed_size 0
		.amdhsa_kernarg_size 88
		.amdhsa_user_sgpr_count 2
		.amdhsa_user_sgpr_dispatch_ptr 0
		.amdhsa_user_sgpr_queue_ptr 0
		.amdhsa_user_sgpr_kernarg_segment_ptr 1
		.amdhsa_user_sgpr_dispatch_id 0
		.amdhsa_user_sgpr_kernarg_preload_length 0
		.amdhsa_user_sgpr_kernarg_preload_offset 0
		.amdhsa_user_sgpr_private_segment_size 0
		.amdhsa_wavefront_size32 1
		.amdhsa_uses_dynamic_stack 0
		.amdhsa_enable_private_segment 0
		.amdhsa_system_sgpr_workgroup_id_x 1
		.amdhsa_system_sgpr_workgroup_id_y 0
		.amdhsa_system_sgpr_workgroup_id_z 0
		.amdhsa_system_sgpr_workgroup_info 0
		.amdhsa_system_vgpr_workitem_id 0
		.amdhsa_next_free_vgpr 1
		.amdhsa_next_free_sgpr 1
		.amdhsa_named_barrier_count 0
		.amdhsa_reserve_vcc 0
		.amdhsa_float_round_mode_32 0
		.amdhsa_float_round_mode_16_64 0
		.amdhsa_float_denorm_mode_32 3
		.amdhsa_float_denorm_mode_16_64 3
		.amdhsa_fp16_overflow 0
		.amdhsa_memory_ordered 1
		.amdhsa_forward_progress 1
		.amdhsa_inst_pref_size 0
		.amdhsa_round_robin_scheduling 0
		.amdhsa_exception_fp_ieee_invalid_op 0
		.amdhsa_exception_fp_denorm_src 0
		.amdhsa_exception_fp_ieee_div_zero 0
		.amdhsa_exception_fp_ieee_overflow 0
		.amdhsa_exception_fp_ieee_underflow 0
		.amdhsa_exception_fp_ieee_inexact 0
		.amdhsa_exception_int_div_zero 0
	.end_amdhsa_kernel
	.section	.text._ZN7rocprim17ROCPRIM_400000_NS6detail17trampoline_kernelINS0_14default_configENS1_36segmented_radix_sort_config_selectorIllEEZNS1_25segmented_radix_sort_implIS3_Lb1EPKlPlS8_S9_N2at6native12_GLOBAL__N_18offset_tEEE10hipError_tPvRmT1_PNSt15iterator_traitsISH_E10value_typeET2_T3_PNSI_ISN_E10value_typeET4_jRbjT5_ST_jjP12ihipStream_tbEUlT_E0_NS1_11comp_targetILNS1_3genE2ELNS1_11target_archE906ELNS1_3gpuE6ELNS1_3repE0EEENS1_60segmented_radix_sort_warp_sort_medium_config_static_selectorELNS0_4arch9wavefront6targetE0EEEvSH_,"axG",@progbits,_ZN7rocprim17ROCPRIM_400000_NS6detail17trampoline_kernelINS0_14default_configENS1_36segmented_radix_sort_config_selectorIllEEZNS1_25segmented_radix_sort_implIS3_Lb1EPKlPlS8_S9_N2at6native12_GLOBAL__N_18offset_tEEE10hipError_tPvRmT1_PNSt15iterator_traitsISH_E10value_typeET2_T3_PNSI_ISN_E10value_typeET4_jRbjT5_ST_jjP12ihipStream_tbEUlT_E0_NS1_11comp_targetILNS1_3genE2ELNS1_11target_archE906ELNS1_3gpuE6ELNS1_3repE0EEENS1_60segmented_radix_sort_warp_sort_medium_config_static_selectorELNS0_4arch9wavefront6targetE0EEEvSH_,comdat
.Lfunc_end715:
	.size	_ZN7rocprim17ROCPRIM_400000_NS6detail17trampoline_kernelINS0_14default_configENS1_36segmented_radix_sort_config_selectorIllEEZNS1_25segmented_radix_sort_implIS3_Lb1EPKlPlS8_S9_N2at6native12_GLOBAL__N_18offset_tEEE10hipError_tPvRmT1_PNSt15iterator_traitsISH_E10value_typeET2_T3_PNSI_ISN_E10value_typeET4_jRbjT5_ST_jjP12ihipStream_tbEUlT_E0_NS1_11comp_targetILNS1_3genE2ELNS1_11target_archE906ELNS1_3gpuE6ELNS1_3repE0EEENS1_60segmented_radix_sort_warp_sort_medium_config_static_selectorELNS0_4arch9wavefront6targetE0EEEvSH_, .Lfunc_end715-_ZN7rocprim17ROCPRIM_400000_NS6detail17trampoline_kernelINS0_14default_configENS1_36segmented_radix_sort_config_selectorIllEEZNS1_25segmented_radix_sort_implIS3_Lb1EPKlPlS8_S9_N2at6native12_GLOBAL__N_18offset_tEEE10hipError_tPvRmT1_PNSt15iterator_traitsISH_E10value_typeET2_T3_PNSI_ISN_E10value_typeET4_jRbjT5_ST_jjP12ihipStream_tbEUlT_E0_NS1_11comp_targetILNS1_3genE2ELNS1_11target_archE906ELNS1_3gpuE6ELNS1_3repE0EEENS1_60segmented_radix_sort_warp_sort_medium_config_static_selectorELNS0_4arch9wavefront6targetE0EEEvSH_
                                        ; -- End function
	.set _ZN7rocprim17ROCPRIM_400000_NS6detail17trampoline_kernelINS0_14default_configENS1_36segmented_radix_sort_config_selectorIllEEZNS1_25segmented_radix_sort_implIS3_Lb1EPKlPlS8_S9_N2at6native12_GLOBAL__N_18offset_tEEE10hipError_tPvRmT1_PNSt15iterator_traitsISH_E10value_typeET2_T3_PNSI_ISN_E10value_typeET4_jRbjT5_ST_jjP12ihipStream_tbEUlT_E0_NS1_11comp_targetILNS1_3genE2ELNS1_11target_archE906ELNS1_3gpuE6ELNS1_3repE0EEENS1_60segmented_radix_sort_warp_sort_medium_config_static_selectorELNS0_4arch9wavefront6targetE0EEEvSH_.num_vgpr, 0
	.set _ZN7rocprim17ROCPRIM_400000_NS6detail17trampoline_kernelINS0_14default_configENS1_36segmented_radix_sort_config_selectorIllEEZNS1_25segmented_radix_sort_implIS3_Lb1EPKlPlS8_S9_N2at6native12_GLOBAL__N_18offset_tEEE10hipError_tPvRmT1_PNSt15iterator_traitsISH_E10value_typeET2_T3_PNSI_ISN_E10value_typeET4_jRbjT5_ST_jjP12ihipStream_tbEUlT_E0_NS1_11comp_targetILNS1_3genE2ELNS1_11target_archE906ELNS1_3gpuE6ELNS1_3repE0EEENS1_60segmented_radix_sort_warp_sort_medium_config_static_selectorELNS0_4arch9wavefront6targetE0EEEvSH_.num_agpr, 0
	.set _ZN7rocprim17ROCPRIM_400000_NS6detail17trampoline_kernelINS0_14default_configENS1_36segmented_radix_sort_config_selectorIllEEZNS1_25segmented_radix_sort_implIS3_Lb1EPKlPlS8_S9_N2at6native12_GLOBAL__N_18offset_tEEE10hipError_tPvRmT1_PNSt15iterator_traitsISH_E10value_typeET2_T3_PNSI_ISN_E10value_typeET4_jRbjT5_ST_jjP12ihipStream_tbEUlT_E0_NS1_11comp_targetILNS1_3genE2ELNS1_11target_archE906ELNS1_3gpuE6ELNS1_3repE0EEENS1_60segmented_radix_sort_warp_sort_medium_config_static_selectorELNS0_4arch9wavefront6targetE0EEEvSH_.numbered_sgpr, 0
	.set _ZN7rocprim17ROCPRIM_400000_NS6detail17trampoline_kernelINS0_14default_configENS1_36segmented_radix_sort_config_selectorIllEEZNS1_25segmented_radix_sort_implIS3_Lb1EPKlPlS8_S9_N2at6native12_GLOBAL__N_18offset_tEEE10hipError_tPvRmT1_PNSt15iterator_traitsISH_E10value_typeET2_T3_PNSI_ISN_E10value_typeET4_jRbjT5_ST_jjP12ihipStream_tbEUlT_E0_NS1_11comp_targetILNS1_3genE2ELNS1_11target_archE906ELNS1_3gpuE6ELNS1_3repE0EEENS1_60segmented_radix_sort_warp_sort_medium_config_static_selectorELNS0_4arch9wavefront6targetE0EEEvSH_.num_named_barrier, 0
	.set _ZN7rocprim17ROCPRIM_400000_NS6detail17trampoline_kernelINS0_14default_configENS1_36segmented_radix_sort_config_selectorIllEEZNS1_25segmented_radix_sort_implIS3_Lb1EPKlPlS8_S9_N2at6native12_GLOBAL__N_18offset_tEEE10hipError_tPvRmT1_PNSt15iterator_traitsISH_E10value_typeET2_T3_PNSI_ISN_E10value_typeET4_jRbjT5_ST_jjP12ihipStream_tbEUlT_E0_NS1_11comp_targetILNS1_3genE2ELNS1_11target_archE906ELNS1_3gpuE6ELNS1_3repE0EEENS1_60segmented_radix_sort_warp_sort_medium_config_static_selectorELNS0_4arch9wavefront6targetE0EEEvSH_.private_seg_size, 0
	.set _ZN7rocprim17ROCPRIM_400000_NS6detail17trampoline_kernelINS0_14default_configENS1_36segmented_radix_sort_config_selectorIllEEZNS1_25segmented_radix_sort_implIS3_Lb1EPKlPlS8_S9_N2at6native12_GLOBAL__N_18offset_tEEE10hipError_tPvRmT1_PNSt15iterator_traitsISH_E10value_typeET2_T3_PNSI_ISN_E10value_typeET4_jRbjT5_ST_jjP12ihipStream_tbEUlT_E0_NS1_11comp_targetILNS1_3genE2ELNS1_11target_archE906ELNS1_3gpuE6ELNS1_3repE0EEENS1_60segmented_radix_sort_warp_sort_medium_config_static_selectorELNS0_4arch9wavefront6targetE0EEEvSH_.uses_vcc, 0
	.set _ZN7rocprim17ROCPRIM_400000_NS6detail17trampoline_kernelINS0_14default_configENS1_36segmented_radix_sort_config_selectorIllEEZNS1_25segmented_radix_sort_implIS3_Lb1EPKlPlS8_S9_N2at6native12_GLOBAL__N_18offset_tEEE10hipError_tPvRmT1_PNSt15iterator_traitsISH_E10value_typeET2_T3_PNSI_ISN_E10value_typeET4_jRbjT5_ST_jjP12ihipStream_tbEUlT_E0_NS1_11comp_targetILNS1_3genE2ELNS1_11target_archE906ELNS1_3gpuE6ELNS1_3repE0EEENS1_60segmented_radix_sort_warp_sort_medium_config_static_selectorELNS0_4arch9wavefront6targetE0EEEvSH_.uses_flat_scratch, 0
	.set _ZN7rocprim17ROCPRIM_400000_NS6detail17trampoline_kernelINS0_14default_configENS1_36segmented_radix_sort_config_selectorIllEEZNS1_25segmented_radix_sort_implIS3_Lb1EPKlPlS8_S9_N2at6native12_GLOBAL__N_18offset_tEEE10hipError_tPvRmT1_PNSt15iterator_traitsISH_E10value_typeET2_T3_PNSI_ISN_E10value_typeET4_jRbjT5_ST_jjP12ihipStream_tbEUlT_E0_NS1_11comp_targetILNS1_3genE2ELNS1_11target_archE906ELNS1_3gpuE6ELNS1_3repE0EEENS1_60segmented_radix_sort_warp_sort_medium_config_static_selectorELNS0_4arch9wavefront6targetE0EEEvSH_.has_dyn_sized_stack, 0
	.set _ZN7rocprim17ROCPRIM_400000_NS6detail17trampoline_kernelINS0_14default_configENS1_36segmented_radix_sort_config_selectorIllEEZNS1_25segmented_radix_sort_implIS3_Lb1EPKlPlS8_S9_N2at6native12_GLOBAL__N_18offset_tEEE10hipError_tPvRmT1_PNSt15iterator_traitsISH_E10value_typeET2_T3_PNSI_ISN_E10value_typeET4_jRbjT5_ST_jjP12ihipStream_tbEUlT_E0_NS1_11comp_targetILNS1_3genE2ELNS1_11target_archE906ELNS1_3gpuE6ELNS1_3repE0EEENS1_60segmented_radix_sort_warp_sort_medium_config_static_selectorELNS0_4arch9wavefront6targetE0EEEvSH_.has_recursion, 0
	.set _ZN7rocprim17ROCPRIM_400000_NS6detail17trampoline_kernelINS0_14default_configENS1_36segmented_radix_sort_config_selectorIllEEZNS1_25segmented_radix_sort_implIS3_Lb1EPKlPlS8_S9_N2at6native12_GLOBAL__N_18offset_tEEE10hipError_tPvRmT1_PNSt15iterator_traitsISH_E10value_typeET2_T3_PNSI_ISN_E10value_typeET4_jRbjT5_ST_jjP12ihipStream_tbEUlT_E0_NS1_11comp_targetILNS1_3genE2ELNS1_11target_archE906ELNS1_3gpuE6ELNS1_3repE0EEENS1_60segmented_radix_sort_warp_sort_medium_config_static_selectorELNS0_4arch9wavefront6targetE0EEEvSH_.has_indirect_call, 0
	.section	.AMDGPU.csdata,"",@progbits
; Kernel info:
; codeLenInByte = 0
; TotalNumSgprs: 0
; NumVgprs: 0
; ScratchSize: 0
; MemoryBound: 0
; FloatMode: 240
; IeeeMode: 1
; LDSByteSize: 0 bytes/workgroup (compile time only)
; SGPRBlocks: 0
; VGPRBlocks: 0
; NumSGPRsForWavesPerEU: 1
; NumVGPRsForWavesPerEU: 1
; NamedBarCnt: 0
; Occupancy: 16
; WaveLimiterHint : 0
; COMPUTE_PGM_RSRC2:SCRATCH_EN: 0
; COMPUTE_PGM_RSRC2:USER_SGPR: 2
; COMPUTE_PGM_RSRC2:TRAP_HANDLER: 0
; COMPUTE_PGM_RSRC2:TGID_X_EN: 1
; COMPUTE_PGM_RSRC2:TGID_Y_EN: 0
; COMPUTE_PGM_RSRC2:TGID_Z_EN: 0
; COMPUTE_PGM_RSRC2:TIDIG_COMP_CNT: 0
	.section	.text._ZN7rocprim17ROCPRIM_400000_NS6detail17trampoline_kernelINS0_14default_configENS1_36segmented_radix_sort_config_selectorIllEEZNS1_25segmented_radix_sort_implIS3_Lb1EPKlPlS8_S9_N2at6native12_GLOBAL__N_18offset_tEEE10hipError_tPvRmT1_PNSt15iterator_traitsISH_E10value_typeET2_T3_PNSI_ISN_E10value_typeET4_jRbjT5_ST_jjP12ihipStream_tbEUlT_E0_NS1_11comp_targetILNS1_3genE10ELNS1_11target_archE1201ELNS1_3gpuE5ELNS1_3repE0EEENS1_60segmented_radix_sort_warp_sort_medium_config_static_selectorELNS0_4arch9wavefront6targetE0EEEvSH_,"axG",@progbits,_ZN7rocprim17ROCPRIM_400000_NS6detail17trampoline_kernelINS0_14default_configENS1_36segmented_radix_sort_config_selectorIllEEZNS1_25segmented_radix_sort_implIS3_Lb1EPKlPlS8_S9_N2at6native12_GLOBAL__N_18offset_tEEE10hipError_tPvRmT1_PNSt15iterator_traitsISH_E10value_typeET2_T3_PNSI_ISN_E10value_typeET4_jRbjT5_ST_jjP12ihipStream_tbEUlT_E0_NS1_11comp_targetILNS1_3genE10ELNS1_11target_archE1201ELNS1_3gpuE5ELNS1_3repE0EEENS1_60segmented_radix_sort_warp_sort_medium_config_static_selectorELNS0_4arch9wavefront6targetE0EEEvSH_,comdat
	.globl	_ZN7rocprim17ROCPRIM_400000_NS6detail17trampoline_kernelINS0_14default_configENS1_36segmented_radix_sort_config_selectorIllEEZNS1_25segmented_radix_sort_implIS3_Lb1EPKlPlS8_S9_N2at6native12_GLOBAL__N_18offset_tEEE10hipError_tPvRmT1_PNSt15iterator_traitsISH_E10value_typeET2_T3_PNSI_ISN_E10value_typeET4_jRbjT5_ST_jjP12ihipStream_tbEUlT_E0_NS1_11comp_targetILNS1_3genE10ELNS1_11target_archE1201ELNS1_3gpuE5ELNS1_3repE0EEENS1_60segmented_radix_sort_warp_sort_medium_config_static_selectorELNS0_4arch9wavefront6targetE0EEEvSH_ ; -- Begin function _ZN7rocprim17ROCPRIM_400000_NS6detail17trampoline_kernelINS0_14default_configENS1_36segmented_radix_sort_config_selectorIllEEZNS1_25segmented_radix_sort_implIS3_Lb1EPKlPlS8_S9_N2at6native12_GLOBAL__N_18offset_tEEE10hipError_tPvRmT1_PNSt15iterator_traitsISH_E10value_typeET2_T3_PNSI_ISN_E10value_typeET4_jRbjT5_ST_jjP12ihipStream_tbEUlT_E0_NS1_11comp_targetILNS1_3genE10ELNS1_11target_archE1201ELNS1_3gpuE5ELNS1_3repE0EEENS1_60segmented_radix_sort_warp_sort_medium_config_static_selectorELNS0_4arch9wavefront6targetE0EEEvSH_
	.p2align	8
	.type	_ZN7rocprim17ROCPRIM_400000_NS6detail17trampoline_kernelINS0_14default_configENS1_36segmented_radix_sort_config_selectorIllEEZNS1_25segmented_radix_sort_implIS3_Lb1EPKlPlS8_S9_N2at6native12_GLOBAL__N_18offset_tEEE10hipError_tPvRmT1_PNSt15iterator_traitsISH_E10value_typeET2_T3_PNSI_ISN_E10value_typeET4_jRbjT5_ST_jjP12ihipStream_tbEUlT_E0_NS1_11comp_targetILNS1_3genE10ELNS1_11target_archE1201ELNS1_3gpuE5ELNS1_3repE0EEENS1_60segmented_radix_sort_warp_sort_medium_config_static_selectorELNS0_4arch9wavefront6targetE0EEEvSH_,@function
_ZN7rocprim17ROCPRIM_400000_NS6detail17trampoline_kernelINS0_14default_configENS1_36segmented_radix_sort_config_selectorIllEEZNS1_25segmented_radix_sort_implIS3_Lb1EPKlPlS8_S9_N2at6native12_GLOBAL__N_18offset_tEEE10hipError_tPvRmT1_PNSt15iterator_traitsISH_E10value_typeET2_T3_PNSI_ISN_E10value_typeET4_jRbjT5_ST_jjP12ihipStream_tbEUlT_E0_NS1_11comp_targetILNS1_3genE10ELNS1_11target_archE1201ELNS1_3gpuE5ELNS1_3repE0EEENS1_60segmented_radix_sort_warp_sort_medium_config_static_selectorELNS0_4arch9wavefront6targetE0EEEvSH_: ; @_ZN7rocprim17ROCPRIM_400000_NS6detail17trampoline_kernelINS0_14default_configENS1_36segmented_radix_sort_config_selectorIllEEZNS1_25segmented_radix_sort_implIS3_Lb1EPKlPlS8_S9_N2at6native12_GLOBAL__N_18offset_tEEE10hipError_tPvRmT1_PNSt15iterator_traitsISH_E10value_typeET2_T3_PNSI_ISN_E10value_typeET4_jRbjT5_ST_jjP12ihipStream_tbEUlT_E0_NS1_11comp_targetILNS1_3genE10ELNS1_11target_archE1201ELNS1_3gpuE5ELNS1_3repE0EEENS1_60segmented_radix_sort_warp_sort_medium_config_static_selectorELNS0_4arch9wavefront6targetE0EEEvSH_
; %bb.0:
	.section	.rodata,"a",@progbits
	.p2align	6, 0x0
	.amdhsa_kernel _ZN7rocprim17ROCPRIM_400000_NS6detail17trampoline_kernelINS0_14default_configENS1_36segmented_radix_sort_config_selectorIllEEZNS1_25segmented_radix_sort_implIS3_Lb1EPKlPlS8_S9_N2at6native12_GLOBAL__N_18offset_tEEE10hipError_tPvRmT1_PNSt15iterator_traitsISH_E10value_typeET2_T3_PNSI_ISN_E10value_typeET4_jRbjT5_ST_jjP12ihipStream_tbEUlT_E0_NS1_11comp_targetILNS1_3genE10ELNS1_11target_archE1201ELNS1_3gpuE5ELNS1_3repE0EEENS1_60segmented_radix_sort_warp_sort_medium_config_static_selectorELNS0_4arch9wavefront6targetE0EEEvSH_
		.amdhsa_group_segment_fixed_size 0
		.amdhsa_private_segment_fixed_size 0
		.amdhsa_kernarg_size 88
		.amdhsa_user_sgpr_count 2
		.amdhsa_user_sgpr_dispatch_ptr 0
		.amdhsa_user_sgpr_queue_ptr 0
		.amdhsa_user_sgpr_kernarg_segment_ptr 1
		.amdhsa_user_sgpr_dispatch_id 0
		.amdhsa_user_sgpr_kernarg_preload_length 0
		.amdhsa_user_sgpr_kernarg_preload_offset 0
		.amdhsa_user_sgpr_private_segment_size 0
		.amdhsa_wavefront_size32 1
		.amdhsa_uses_dynamic_stack 0
		.amdhsa_enable_private_segment 0
		.amdhsa_system_sgpr_workgroup_id_x 1
		.amdhsa_system_sgpr_workgroup_id_y 0
		.amdhsa_system_sgpr_workgroup_id_z 0
		.amdhsa_system_sgpr_workgroup_info 0
		.amdhsa_system_vgpr_workitem_id 0
		.amdhsa_next_free_vgpr 1
		.amdhsa_next_free_sgpr 1
		.amdhsa_named_barrier_count 0
		.amdhsa_reserve_vcc 0
		.amdhsa_float_round_mode_32 0
		.amdhsa_float_round_mode_16_64 0
		.amdhsa_float_denorm_mode_32 3
		.amdhsa_float_denorm_mode_16_64 3
		.amdhsa_fp16_overflow 0
		.amdhsa_memory_ordered 1
		.amdhsa_forward_progress 1
		.amdhsa_inst_pref_size 0
		.amdhsa_round_robin_scheduling 0
		.amdhsa_exception_fp_ieee_invalid_op 0
		.amdhsa_exception_fp_denorm_src 0
		.amdhsa_exception_fp_ieee_div_zero 0
		.amdhsa_exception_fp_ieee_overflow 0
		.amdhsa_exception_fp_ieee_underflow 0
		.amdhsa_exception_fp_ieee_inexact 0
		.amdhsa_exception_int_div_zero 0
	.end_amdhsa_kernel
	.section	.text._ZN7rocprim17ROCPRIM_400000_NS6detail17trampoline_kernelINS0_14default_configENS1_36segmented_radix_sort_config_selectorIllEEZNS1_25segmented_radix_sort_implIS3_Lb1EPKlPlS8_S9_N2at6native12_GLOBAL__N_18offset_tEEE10hipError_tPvRmT1_PNSt15iterator_traitsISH_E10value_typeET2_T3_PNSI_ISN_E10value_typeET4_jRbjT5_ST_jjP12ihipStream_tbEUlT_E0_NS1_11comp_targetILNS1_3genE10ELNS1_11target_archE1201ELNS1_3gpuE5ELNS1_3repE0EEENS1_60segmented_radix_sort_warp_sort_medium_config_static_selectorELNS0_4arch9wavefront6targetE0EEEvSH_,"axG",@progbits,_ZN7rocprim17ROCPRIM_400000_NS6detail17trampoline_kernelINS0_14default_configENS1_36segmented_radix_sort_config_selectorIllEEZNS1_25segmented_radix_sort_implIS3_Lb1EPKlPlS8_S9_N2at6native12_GLOBAL__N_18offset_tEEE10hipError_tPvRmT1_PNSt15iterator_traitsISH_E10value_typeET2_T3_PNSI_ISN_E10value_typeET4_jRbjT5_ST_jjP12ihipStream_tbEUlT_E0_NS1_11comp_targetILNS1_3genE10ELNS1_11target_archE1201ELNS1_3gpuE5ELNS1_3repE0EEENS1_60segmented_radix_sort_warp_sort_medium_config_static_selectorELNS0_4arch9wavefront6targetE0EEEvSH_,comdat
.Lfunc_end716:
	.size	_ZN7rocprim17ROCPRIM_400000_NS6detail17trampoline_kernelINS0_14default_configENS1_36segmented_radix_sort_config_selectorIllEEZNS1_25segmented_radix_sort_implIS3_Lb1EPKlPlS8_S9_N2at6native12_GLOBAL__N_18offset_tEEE10hipError_tPvRmT1_PNSt15iterator_traitsISH_E10value_typeET2_T3_PNSI_ISN_E10value_typeET4_jRbjT5_ST_jjP12ihipStream_tbEUlT_E0_NS1_11comp_targetILNS1_3genE10ELNS1_11target_archE1201ELNS1_3gpuE5ELNS1_3repE0EEENS1_60segmented_radix_sort_warp_sort_medium_config_static_selectorELNS0_4arch9wavefront6targetE0EEEvSH_, .Lfunc_end716-_ZN7rocprim17ROCPRIM_400000_NS6detail17trampoline_kernelINS0_14default_configENS1_36segmented_radix_sort_config_selectorIllEEZNS1_25segmented_radix_sort_implIS3_Lb1EPKlPlS8_S9_N2at6native12_GLOBAL__N_18offset_tEEE10hipError_tPvRmT1_PNSt15iterator_traitsISH_E10value_typeET2_T3_PNSI_ISN_E10value_typeET4_jRbjT5_ST_jjP12ihipStream_tbEUlT_E0_NS1_11comp_targetILNS1_3genE10ELNS1_11target_archE1201ELNS1_3gpuE5ELNS1_3repE0EEENS1_60segmented_radix_sort_warp_sort_medium_config_static_selectorELNS0_4arch9wavefront6targetE0EEEvSH_
                                        ; -- End function
	.set _ZN7rocprim17ROCPRIM_400000_NS6detail17trampoline_kernelINS0_14default_configENS1_36segmented_radix_sort_config_selectorIllEEZNS1_25segmented_radix_sort_implIS3_Lb1EPKlPlS8_S9_N2at6native12_GLOBAL__N_18offset_tEEE10hipError_tPvRmT1_PNSt15iterator_traitsISH_E10value_typeET2_T3_PNSI_ISN_E10value_typeET4_jRbjT5_ST_jjP12ihipStream_tbEUlT_E0_NS1_11comp_targetILNS1_3genE10ELNS1_11target_archE1201ELNS1_3gpuE5ELNS1_3repE0EEENS1_60segmented_radix_sort_warp_sort_medium_config_static_selectorELNS0_4arch9wavefront6targetE0EEEvSH_.num_vgpr, 0
	.set _ZN7rocprim17ROCPRIM_400000_NS6detail17trampoline_kernelINS0_14default_configENS1_36segmented_radix_sort_config_selectorIllEEZNS1_25segmented_radix_sort_implIS3_Lb1EPKlPlS8_S9_N2at6native12_GLOBAL__N_18offset_tEEE10hipError_tPvRmT1_PNSt15iterator_traitsISH_E10value_typeET2_T3_PNSI_ISN_E10value_typeET4_jRbjT5_ST_jjP12ihipStream_tbEUlT_E0_NS1_11comp_targetILNS1_3genE10ELNS1_11target_archE1201ELNS1_3gpuE5ELNS1_3repE0EEENS1_60segmented_radix_sort_warp_sort_medium_config_static_selectorELNS0_4arch9wavefront6targetE0EEEvSH_.num_agpr, 0
	.set _ZN7rocprim17ROCPRIM_400000_NS6detail17trampoline_kernelINS0_14default_configENS1_36segmented_radix_sort_config_selectorIllEEZNS1_25segmented_radix_sort_implIS3_Lb1EPKlPlS8_S9_N2at6native12_GLOBAL__N_18offset_tEEE10hipError_tPvRmT1_PNSt15iterator_traitsISH_E10value_typeET2_T3_PNSI_ISN_E10value_typeET4_jRbjT5_ST_jjP12ihipStream_tbEUlT_E0_NS1_11comp_targetILNS1_3genE10ELNS1_11target_archE1201ELNS1_3gpuE5ELNS1_3repE0EEENS1_60segmented_radix_sort_warp_sort_medium_config_static_selectorELNS0_4arch9wavefront6targetE0EEEvSH_.numbered_sgpr, 0
	.set _ZN7rocprim17ROCPRIM_400000_NS6detail17trampoline_kernelINS0_14default_configENS1_36segmented_radix_sort_config_selectorIllEEZNS1_25segmented_radix_sort_implIS3_Lb1EPKlPlS8_S9_N2at6native12_GLOBAL__N_18offset_tEEE10hipError_tPvRmT1_PNSt15iterator_traitsISH_E10value_typeET2_T3_PNSI_ISN_E10value_typeET4_jRbjT5_ST_jjP12ihipStream_tbEUlT_E0_NS1_11comp_targetILNS1_3genE10ELNS1_11target_archE1201ELNS1_3gpuE5ELNS1_3repE0EEENS1_60segmented_radix_sort_warp_sort_medium_config_static_selectorELNS0_4arch9wavefront6targetE0EEEvSH_.num_named_barrier, 0
	.set _ZN7rocprim17ROCPRIM_400000_NS6detail17trampoline_kernelINS0_14default_configENS1_36segmented_radix_sort_config_selectorIllEEZNS1_25segmented_radix_sort_implIS3_Lb1EPKlPlS8_S9_N2at6native12_GLOBAL__N_18offset_tEEE10hipError_tPvRmT1_PNSt15iterator_traitsISH_E10value_typeET2_T3_PNSI_ISN_E10value_typeET4_jRbjT5_ST_jjP12ihipStream_tbEUlT_E0_NS1_11comp_targetILNS1_3genE10ELNS1_11target_archE1201ELNS1_3gpuE5ELNS1_3repE0EEENS1_60segmented_radix_sort_warp_sort_medium_config_static_selectorELNS0_4arch9wavefront6targetE0EEEvSH_.private_seg_size, 0
	.set _ZN7rocprim17ROCPRIM_400000_NS6detail17trampoline_kernelINS0_14default_configENS1_36segmented_radix_sort_config_selectorIllEEZNS1_25segmented_radix_sort_implIS3_Lb1EPKlPlS8_S9_N2at6native12_GLOBAL__N_18offset_tEEE10hipError_tPvRmT1_PNSt15iterator_traitsISH_E10value_typeET2_T3_PNSI_ISN_E10value_typeET4_jRbjT5_ST_jjP12ihipStream_tbEUlT_E0_NS1_11comp_targetILNS1_3genE10ELNS1_11target_archE1201ELNS1_3gpuE5ELNS1_3repE0EEENS1_60segmented_radix_sort_warp_sort_medium_config_static_selectorELNS0_4arch9wavefront6targetE0EEEvSH_.uses_vcc, 0
	.set _ZN7rocprim17ROCPRIM_400000_NS6detail17trampoline_kernelINS0_14default_configENS1_36segmented_radix_sort_config_selectorIllEEZNS1_25segmented_radix_sort_implIS3_Lb1EPKlPlS8_S9_N2at6native12_GLOBAL__N_18offset_tEEE10hipError_tPvRmT1_PNSt15iterator_traitsISH_E10value_typeET2_T3_PNSI_ISN_E10value_typeET4_jRbjT5_ST_jjP12ihipStream_tbEUlT_E0_NS1_11comp_targetILNS1_3genE10ELNS1_11target_archE1201ELNS1_3gpuE5ELNS1_3repE0EEENS1_60segmented_radix_sort_warp_sort_medium_config_static_selectorELNS0_4arch9wavefront6targetE0EEEvSH_.uses_flat_scratch, 0
	.set _ZN7rocprim17ROCPRIM_400000_NS6detail17trampoline_kernelINS0_14default_configENS1_36segmented_radix_sort_config_selectorIllEEZNS1_25segmented_radix_sort_implIS3_Lb1EPKlPlS8_S9_N2at6native12_GLOBAL__N_18offset_tEEE10hipError_tPvRmT1_PNSt15iterator_traitsISH_E10value_typeET2_T3_PNSI_ISN_E10value_typeET4_jRbjT5_ST_jjP12ihipStream_tbEUlT_E0_NS1_11comp_targetILNS1_3genE10ELNS1_11target_archE1201ELNS1_3gpuE5ELNS1_3repE0EEENS1_60segmented_radix_sort_warp_sort_medium_config_static_selectorELNS0_4arch9wavefront6targetE0EEEvSH_.has_dyn_sized_stack, 0
	.set _ZN7rocprim17ROCPRIM_400000_NS6detail17trampoline_kernelINS0_14default_configENS1_36segmented_radix_sort_config_selectorIllEEZNS1_25segmented_radix_sort_implIS3_Lb1EPKlPlS8_S9_N2at6native12_GLOBAL__N_18offset_tEEE10hipError_tPvRmT1_PNSt15iterator_traitsISH_E10value_typeET2_T3_PNSI_ISN_E10value_typeET4_jRbjT5_ST_jjP12ihipStream_tbEUlT_E0_NS1_11comp_targetILNS1_3genE10ELNS1_11target_archE1201ELNS1_3gpuE5ELNS1_3repE0EEENS1_60segmented_radix_sort_warp_sort_medium_config_static_selectorELNS0_4arch9wavefront6targetE0EEEvSH_.has_recursion, 0
	.set _ZN7rocprim17ROCPRIM_400000_NS6detail17trampoline_kernelINS0_14default_configENS1_36segmented_radix_sort_config_selectorIllEEZNS1_25segmented_radix_sort_implIS3_Lb1EPKlPlS8_S9_N2at6native12_GLOBAL__N_18offset_tEEE10hipError_tPvRmT1_PNSt15iterator_traitsISH_E10value_typeET2_T3_PNSI_ISN_E10value_typeET4_jRbjT5_ST_jjP12ihipStream_tbEUlT_E0_NS1_11comp_targetILNS1_3genE10ELNS1_11target_archE1201ELNS1_3gpuE5ELNS1_3repE0EEENS1_60segmented_radix_sort_warp_sort_medium_config_static_selectorELNS0_4arch9wavefront6targetE0EEEvSH_.has_indirect_call, 0
	.section	.AMDGPU.csdata,"",@progbits
; Kernel info:
; codeLenInByte = 0
; TotalNumSgprs: 0
; NumVgprs: 0
; ScratchSize: 0
; MemoryBound: 0
; FloatMode: 240
; IeeeMode: 1
; LDSByteSize: 0 bytes/workgroup (compile time only)
; SGPRBlocks: 0
; VGPRBlocks: 0
; NumSGPRsForWavesPerEU: 1
; NumVGPRsForWavesPerEU: 1
; NamedBarCnt: 0
; Occupancy: 16
; WaveLimiterHint : 0
; COMPUTE_PGM_RSRC2:SCRATCH_EN: 0
; COMPUTE_PGM_RSRC2:USER_SGPR: 2
; COMPUTE_PGM_RSRC2:TRAP_HANDLER: 0
; COMPUTE_PGM_RSRC2:TGID_X_EN: 1
; COMPUTE_PGM_RSRC2:TGID_Y_EN: 0
; COMPUTE_PGM_RSRC2:TGID_Z_EN: 0
; COMPUTE_PGM_RSRC2:TIDIG_COMP_CNT: 0
	.section	.text._ZN7rocprim17ROCPRIM_400000_NS6detail17trampoline_kernelINS0_14default_configENS1_36segmented_radix_sort_config_selectorIllEEZNS1_25segmented_radix_sort_implIS3_Lb1EPKlPlS8_S9_N2at6native12_GLOBAL__N_18offset_tEEE10hipError_tPvRmT1_PNSt15iterator_traitsISH_E10value_typeET2_T3_PNSI_ISN_E10value_typeET4_jRbjT5_ST_jjP12ihipStream_tbEUlT_E0_NS1_11comp_targetILNS1_3genE10ELNS1_11target_archE1200ELNS1_3gpuE4ELNS1_3repE0EEENS1_60segmented_radix_sort_warp_sort_medium_config_static_selectorELNS0_4arch9wavefront6targetE0EEEvSH_,"axG",@progbits,_ZN7rocprim17ROCPRIM_400000_NS6detail17trampoline_kernelINS0_14default_configENS1_36segmented_radix_sort_config_selectorIllEEZNS1_25segmented_radix_sort_implIS3_Lb1EPKlPlS8_S9_N2at6native12_GLOBAL__N_18offset_tEEE10hipError_tPvRmT1_PNSt15iterator_traitsISH_E10value_typeET2_T3_PNSI_ISN_E10value_typeET4_jRbjT5_ST_jjP12ihipStream_tbEUlT_E0_NS1_11comp_targetILNS1_3genE10ELNS1_11target_archE1200ELNS1_3gpuE4ELNS1_3repE0EEENS1_60segmented_radix_sort_warp_sort_medium_config_static_selectorELNS0_4arch9wavefront6targetE0EEEvSH_,comdat
	.globl	_ZN7rocprim17ROCPRIM_400000_NS6detail17trampoline_kernelINS0_14default_configENS1_36segmented_radix_sort_config_selectorIllEEZNS1_25segmented_radix_sort_implIS3_Lb1EPKlPlS8_S9_N2at6native12_GLOBAL__N_18offset_tEEE10hipError_tPvRmT1_PNSt15iterator_traitsISH_E10value_typeET2_T3_PNSI_ISN_E10value_typeET4_jRbjT5_ST_jjP12ihipStream_tbEUlT_E0_NS1_11comp_targetILNS1_3genE10ELNS1_11target_archE1200ELNS1_3gpuE4ELNS1_3repE0EEENS1_60segmented_radix_sort_warp_sort_medium_config_static_selectorELNS0_4arch9wavefront6targetE0EEEvSH_ ; -- Begin function _ZN7rocprim17ROCPRIM_400000_NS6detail17trampoline_kernelINS0_14default_configENS1_36segmented_radix_sort_config_selectorIllEEZNS1_25segmented_radix_sort_implIS3_Lb1EPKlPlS8_S9_N2at6native12_GLOBAL__N_18offset_tEEE10hipError_tPvRmT1_PNSt15iterator_traitsISH_E10value_typeET2_T3_PNSI_ISN_E10value_typeET4_jRbjT5_ST_jjP12ihipStream_tbEUlT_E0_NS1_11comp_targetILNS1_3genE10ELNS1_11target_archE1200ELNS1_3gpuE4ELNS1_3repE0EEENS1_60segmented_radix_sort_warp_sort_medium_config_static_selectorELNS0_4arch9wavefront6targetE0EEEvSH_
	.p2align	8
	.type	_ZN7rocprim17ROCPRIM_400000_NS6detail17trampoline_kernelINS0_14default_configENS1_36segmented_radix_sort_config_selectorIllEEZNS1_25segmented_radix_sort_implIS3_Lb1EPKlPlS8_S9_N2at6native12_GLOBAL__N_18offset_tEEE10hipError_tPvRmT1_PNSt15iterator_traitsISH_E10value_typeET2_T3_PNSI_ISN_E10value_typeET4_jRbjT5_ST_jjP12ihipStream_tbEUlT_E0_NS1_11comp_targetILNS1_3genE10ELNS1_11target_archE1200ELNS1_3gpuE4ELNS1_3repE0EEENS1_60segmented_radix_sort_warp_sort_medium_config_static_selectorELNS0_4arch9wavefront6targetE0EEEvSH_,@function
_ZN7rocprim17ROCPRIM_400000_NS6detail17trampoline_kernelINS0_14default_configENS1_36segmented_radix_sort_config_selectorIllEEZNS1_25segmented_radix_sort_implIS3_Lb1EPKlPlS8_S9_N2at6native12_GLOBAL__N_18offset_tEEE10hipError_tPvRmT1_PNSt15iterator_traitsISH_E10value_typeET2_T3_PNSI_ISN_E10value_typeET4_jRbjT5_ST_jjP12ihipStream_tbEUlT_E0_NS1_11comp_targetILNS1_3genE10ELNS1_11target_archE1200ELNS1_3gpuE4ELNS1_3repE0EEENS1_60segmented_radix_sort_warp_sort_medium_config_static_selectorELNS0_4arch9wavefront6targetE0EEEvSH_: ; @_ZN7rocprim17ROCPRIM_400000_NS6detail17trampoline_kernelINS0_14default_configENS1_36segmented_radix_sort_config_selectorIllEEZNS1_25segmented_radix_sort_implIS3_Lb1EPKlPlS8_S9_N2at6native12_GLOBAL__N_18offset_tEEE10hipError_tPvRmT1_PNSt15iterator_traitsISH_E10value_typeET2_T3_PNSI_ISN_E10value_typeET4_jRbjT5_ST_jjP12ihipStream_tbEUlT_E0_NS1_11comp_targetILNS1_3genE10ELNS1_11target_archE1200ELNS1_3gpuE4ELNS1_3repE0EEENS1_60segmented_radix_sort_warp_sort_medium_config_static_selectorELNS0_4arch9wavefront6targetE0EEEvSH_
; %bb.0:
	.section	.rodata,"a",@progbits
	.p2align	6, 0x0
	.amdhsa_kernel _ZN7rocprim17ROCPRIM_400000_NS6detail17trampoline_kernelINS0_14default_configENS1_36segmented_radix_sort_config_selectorIllEEZNS1_25segmented_radix_sort_implIS3_Lb1EPKlPlS8_S9_N2at6native12_GLOBAL__N_18offset_tEEE10hipError_tPvRmT1_PNSt15iterator_traitsISH_E10value_typeET2_T3_PNSI_ISN_E10value_typeET4_jRbjT5_ST_jjP12ihipStream_tbEUlT_E0_NS1_11comp_targetILNS1_3genE10ELNS1_11target_archE1200ELNS1_3gpuE4ELNS1_3repE0EEENS1_60segmented_radix_sort_warp_sort_medium_config_static_selectorELNS0_4arch9wavefront6targetE0EEEvSH_
		.amdhsa_group_segment_fixed_size 0
		.amdhsa_private_segment_fixed_size 0
		.amdhsa_kernarg_size 88
		.amdhsa_user_sgpr_count 2
		.amdhsa_user_sgpr_dispatch_ptr 0
		.amdhsa_user_sgpr_queue_ptr 0
		.amdhsa_user_sgpr_kernarg_segment_ptr 1
		.amdhsa_user_sgpr_dispatch_id 0
		.amdhsa_user_sgpr_kernarg_preload_length 0
		.amdhsa_user_sgpr_kernarg_preload_offset 0
		.amdhsa_user_sgpr_private_segment_size 0
		.amdhsa_wavefront_size32 1
		.amdhsa_uses_dynamic_stack 0
		.amdhsa_enable_private_segment 0
		.amdhsa_system_sgpr_workgroup_id_x 1
		.amdhsa_system_sgpr_workgroup_id_y 0
		.amdhsa_system_sgpr_workgroup_id_z 0
		.amdhsa_system_sgpr_workgroup_info 0
		.amdhsa_system_vgpr_workitem_id 0
		.amdhsa_next_free_vgpr 1
		.amdhsa_next_free_sgpr 1
		.amdhsa_named_barrier_count 0
		.amdhsa_reserve_vcc 0
		.amdhsa_float_round_mode_32 0
		.amdhsa_float_round_mode_16_64 0
		.amdhsa_float_denorm_mode_32 3
		.amdhsa_float_denorm_mode_16_64 3
		.amdhsa_fp16_overflow 0
		.amdhsa_memory_ordered 1
		.amdhsa_forward_progress 1
		.amdhsa_inst_pref_size 0
		.amdhsa_round_robin_scheduling 0
		.amdhsa_exception_fp_ieee_invalid_op 0
		.amdhsa_exception_fp_denorm_src 0
		.amdhsa_exception_fp_ieee_div_zero 0
		.amdhsa_exception_fp_ieee_overflow 0
		.amdhsa_exception_fp_ieee_underflow 0
		.amdhsa_exception_fp_ieee_inexact 0
		.amdhsa_exception_int_div_zero 0
	.end_amdhsa_kernel
	.section	.text._ZN7rocprim17ROCPRIM_400000_NS6detail17trampoline_kernelINS0_14default_configENS1_36segmented_radix_sort_config_selectorIllEEZNS1_25segmented_radix_sort_implIS3_Lb1EPKlPlS8_S9_N2at6native12_GLOBAL__N_18offset_tEEE10hipError_tPvRmT1_PNSt15iterator_traitsISH_E10value_typeET2_T3_PNSI_ISN_E10value_typeET4_jRbjT5_ST_jjP12ihipStream_tbEUlT_E0_NS1_11comp_targetILNS1_3genE10ELNS1_11target_archE1200ELNS1_3gpuE4ELNS1_3repE0EEENS1_60segmented_radix_sort_warp_sort_medium_config_static_selectorELNS0_4arch9wavefront6targetE0EEEvSH_,"axG",@progbits,_ZN7rocprim17ROCPRIM_400000_NS6detail17trampoline_kernelINS0_14default_configENS1_36segmented_radix_sort_config_selectorIllEEZNS1_25segmented_radix_sort_implIS3_Lb1EPKlPlS8_S9_N2at6native12_GLOBAL__N_18offset_tEEE10hipError_tPvRmT1_PNSt15iterator_traitsISH_E10value_typeET2_T3_PNSI_ISN_E10value_typeET4_jRbjT5_ST_jjP12ihipStream_tbEUlT_E0_NS1_11comp_targetILNS1_3genE10ELNS1_11target_archE1200ELNS1_3gpuE4ELNS1_3repE0EEENS1_60segmented_radix_sort_warp_sort_medium_config_static_selectorELNS0_4arch9wavefront6targetE0EEEvSH_,comdat
.Lfunc_end717:
	.size	_ZN7rocprim17ROCPRIM_400000_NS6detail17trampoline_kernelINS0_14default_configENS1_36segmented_radix_sort_config_selectorIllEEZNS1_25segmented_radix_sort_implIS3_Lb1EPKlPlS8_S9_N2at6native12_GLOBAL__N_18offset_tEEE10hipError_tPvRmT1_PNSt15iterator_traitsISH_E10value_typeET2_T3_PNSI_ISN_E10value_typeET4_jRbjT5_ST_jjP12ihipStream_tbEUlT_E0_NS1_11comp_targetILNS1_3genE10ELNS1_11target_archE1200ELNS1_3gpuE4ELNS1_3repE0EEENS1_60segmented_radix_sort_warp_sort_medium_config_static_selectorELNS0_4arch9wavefront6targetE0EEEvSH_, .Lfunc_end717-_ZN7rocprim17ROCPRIM_400000_NS6detail17trampoline_kernelINS0_14default_configENS1_36segmented_radix_sort_config_selectorIllEEZNS1_25segmented_radix_sort_implIS3_Lb1EPKlPlS8_S9_N2at6native12_GLOBAL__N_18offset_tEEE10hipError_tPvRmT1_PNSt15iterator_traitsISH_E10value_typeET2_T3_PNSI_ISN_E10value_typeET4_jRbjT5_ST_jjP12ihipStream_tbEUlT_E0_NS1_11comp_targetILNS1_3genE10ELNS1_11target_archE1200ELNS1_3gpuE4ELNS1_3repE0EEENS1_60segmented_radix_sort_warp_sort_medium_config_static_selectorELNS0_4arch9wavefront6targetE0EEEvSH_
                                        ; -- End function
	.set _ZN7rocprim17ROCPRIM_400000_NS6detail17trampoline_kernelINS0_14default_configENS1_36segmented_radix_sort_config_selectorIllEEZNS1_25segmented_radix_sort_implIS3_Lb1EPKlPlS8_S9_N2at6native12_GLOBAL__N_18offset_tEEE10hipError_tPvRmT1_PNSt15iterator_traitsISH_E10value_typeET2_T3_PNSI_ISN_E10value_typeET4_jRbjT5_ST_jjP12ihipStream_tbEUlT_E0_NS1_11comp_targetILNS1_3genE10ELNS1_11target_archE1200ELNS1_3gpuE4ELNS1_3repE0EEENS1_60segmented_radix_sort_warp_sort_medium_config_static_selectorELNS0_4arch9wavefront6targetE0EEEvSH_.num_vgpr, 0
	.set _ZN7rocprim17ROCPRIM_400000_NS6detail17trampoline_kernelINS0_14default_configENS1_36segmented_radix_sort_config_selectorIllEEZNS1_25segmented_radix_sort_implIS3_Lb1EPKlPlS8_S9_N2at6native12_GLOBAL__N_18offset_tEEE10hipError_tPvRmT1_PNSt15iterator_traitsISH_E10value_typeET2_T3_PNSI_ISN_E10value_typeET4_jRbjT5_ST_jjP12ihipStream_tbEUlT_E0_NS1_11comp_targetILNS1_3genE10ELNS1_11target_archE1200ELNS1_3gpuE4ELNS1_3repE0EEENS1_60segmented_radix_sort_warp_sort_medium_config_static_selectorELNS0_4arch9wavefront6targetE0EEEvSH_.num_agpr, 0
	.set _ZN7rocprim17ROCPRIM_400000_NS6detail17trampoline_kernelINS0_14default_configENS1_36segmented_radix_sort_config_selectorIllEEZNS1_25segmented_radix_sort_implIS3_Lb1EPKlPlS8_S9_N2at6native12_GLOBAL__N_18offset_tEEE10hipError_tPvRmT1_PNSt15iterator_traitsISH_E10value_typeET2_T3_PNSI_ISN_E10value_typeET4_jRbjT5_ST_jjP12ihipStream_tbEUlT_E0_NS1_11comp_targetILNS1_3genE10ELNS1_11target_archE1200ELNS1_3gpuE4ELNS1_3repE0EEENS1_60segmented_radix_sort_warp_sort_medium_config_static_selectorELNS0_4arch9wavefront6targetE0EEEvSH_.numbered_sgpr, 0
	.set _ZN7rocprim17ROCPRIM_400000_NS6detail17trampoline_kernelINS0_14default_configENS1_36segmented_radix_sort_config_selectorIllEEZNS1_25segmented_radix_sort_implIS3_Lb1EPKlPlS8_S9_N2at6native12_GLOBAL__N_18offset_tEEE10hipError_tPvRmT1_PNSt15iterator_traitsISH_E10value_typeET2_T3_PNSI_ISN_E10value_typeET4_jRbjT5_ST_jjP12ihipStream_tbEUlT_E0_NS1_11comp_targetILNS1_3genE10ELNS1_11target_archE1200ELNS1_3gpuE4ELNS1_3repE0EEENS1_60segmented_radix_sort_warp_sort_medium_config_static_selectorELNS0_4arch9wavefront6targetE0EEEvSH_.num_named_barrier, 0
	.set _ZN7rocprim17ROCPRIM_400000_NS6detail17trampoline_kernelINS0_14default_configENS1_36segmented_radix_sort_config_selectorIllEEZNS1_25segmented_radix_sort_implIS3_Lb1EPKlPlS8_S9_N2at6native12_GLOBAL__N_18offset_tEEE10hipError_tPvRmT1_PNSt15iterator_traitsISH_E10value_typeET2_T3_PNSI_ISN_E10value_typeET4_jRbjT5_ST_jjP12ihipStream_tbEUlT_E0_NS1_11comp_targetILNS1_3genE10ELNS1_11target_archE1200ELNS1_3gpuE4ELNS1_3repE0EEENS1_60segmented_radix_sort_warp_sort_medium_config_static_selectorELNS0_4arch9wavefront6targetE0EEEvSH_.private_seg_size, 0
	.set _ZN7rocprim17ROCPRIM_400000_NS6detail17trampoline_kernelINS0_14default_configENS1_36segmented_radix_sort_config_selectorIllEEZNS1_25segmented_radix_sort_implIS3_Lb1EPKlPlS8_S9_N2at6native12_GLOBAL__N_18offset_tEEE10hipError_tPvRmT1_PNSt15iterator_traitsISH_E10value_typeET2_T3_PNSI_ISN_E10value_typeET4_jRbjT5_ST_jjP12ihipStream_tbEUlT_E0_NS1_11comp_targetILNS1_3genE10ELNS1_11target_archE1200ELNS1_3gpuE4ELNS1_3repE0EEENS1_60segmented_radix_sort_warp_sort_medium_config_static_selectorELNS0_4arch9wavefront6targetE0EEEvSH_.uses_vcc, 0
	.set _ZN7rocprim17ROCPRIM_400000_NS6detail17trampoline_kernelINS0_14default_configENS1_36segmented_radix_sort_config_selectorIllEEZNS1_25segmented_radix_sort_implIS3_Lb1EPKlPlS8_S9_N2at6native12_GLOBAL__N_18offset_tEEE10hipError_tPvRmT1_PNSt15iterator_traitsISH_E10value_typeET2_T3_PNSI_ISN_E10value_typeET4_jRbjT5_ST_jjP12ihipStream_tbEUlT_E0_NS1_11comp_targetILNS1_3genE10ELNS1_11target_archE1200ELNS1_3gpuE4ELNS1_3repE0EEENS1_60segmented_radix_sort_warp_sort_medium_config_static_selectorELNS0_4arch9wavefront6targetE0EEEvSH_.uses_flat_scratch, 0
	.set _ZN7rocprim17ROCPRIM_400000_NS6detail17trampoline_kernelINS0_14default_configENS1_36segmented_radix_sort_config_selectorIllEEZNS1_25segmented_radix_sort_implIS3_Lb1EPKlPlS8_S9_N2at6native12_GLOBAL__N_18offset_tEEE10hipError_tPvRmT1_PNSt15iterator_traitsISH_E10value_typeET2_T3_PNSI_ISN_E10value_typeET4_jRbjT5_ST_jjP12ihipStream_tbEUlT_E0_NS1_11comp_targetILNS1_3genE10ELNS1_11target_archE1200ELNS1_3gpuE4ELNS1_3repE0EEENS1_60segmented_radix_sort_warp_sort_medium_config_static_selectorELNS0_4arch9wavefront6targetE0EEEvSH_.has_dyn_sized_stack, 0
	.set _ZN7rocprim17ROCPRIM_400000_NS6detail17trampoline_kernelINS0_14default_configENS1_36segmented_radix_sort_config_selectorIllEEZNS1_25segmented_radix_sort_implIS3_Lb1EPKlPlS8_S9_N2at6native12_GLOBAL__N_18offset_tEEE10hipError_tPvRmT1_PNSt15iterator_traitsISH_E10value_typeET2_T3_PNSI_ISN_E10value_typeET4_jRbjT5_ST_jjP12ihipStream_tbEUlT_E0_NS1_11comp_targetILNS1_3genE10ELNS1_11target_archE1200ELNS1_3gpuE4ELNS1_3repE0EEENS1_60segmented_radix_sort_warp_sort_medium_config_static_selectorELNS0_4arch9wavefront6targetE0EEEvSH_.has_recursion, 0
	.set _ZN7rocprim17ROCPRIM_400000_NS6detail17trampoline_kernelINS0_14default_configENS1_36segmented_radix_sort_config_selectorIllEEZNS1_25segmented_radix_sort_implIS3_Lb1EPKlPlS8_S9_N2at6native12_GLOBAL__N_18offset_tEEE10hipError_tPvRmT1_PNSt15iterator_traitsISH_E10value_typeET2_T3_PNSI_ISN_E10value_typeET4_jRbjT5_ST_jjP12ihipStream_tbEUlT_E0_NS1_11comp_targetILNS1_3genE10ELNS1_11target_archE1200ELNS1_3gpuE4ELNS1_3repE0EEENS1_60segmented_radix_sort_warp_sort_medium_config_static_selectorELNS0_4arch9wavefront6targetE0EEEvSH_.has_indirect_call, 0
	.section	.AMDGPU.csdata,"",@progbits
; Kernel info:
; codeLenInByte = 0
; TotalNumSgprs: 0
; NumVgprs: 0
; ScratchSize: 0
; MemoryBound: 0
; FloatMode: 240
; IeeeMode: 1
; LDSByteSize: 0 bytes/workgroup (compile time only)
; SGPRBlocks: 0
; VGPRBlocks: 0
; NumSGPRsForWavesPerEU: 1
; NumVGPRsForWavesPerEU: 1
; NamedBarCnt: 0
; Occupancy: 16
; WaveLimiterHint : 0
; COMPUTE_PGM_RSRC2:SCRATCH_EN: 0
; COMPUTE_PGM_RSRC2:USER_SGPR: 2
; COMPUTE_PGM_RSRC2:TRAP_HANDLER: 0
; COMPUTE_PGM_RSRC2:TGID_X_EN: 1
; COMPUTE_PGM_RSRC2:TGID_Y_EN: 0
; COMPUTE_PGM_RSRC2:TGID_Z_EN: 0
; COMPUTE_PGM_RSRC2:TIDIG_COMP_CNT: 0
	.section	.text._ZN7rocprim17ROCPRIM_400000_NS6detail17trampoline_kernelINS0_14default_configENS1_36segmented_radix_sort_config_selectorIllEEZNS1_25segmented_radix_sort_implIS3_Lb1EPKlPlS8_S9_N2at6native12_GLOBAL__N_18offset_tEEE10hipError_tPvRmT1_PNSt15iterator_traitsISH_E10value_typeET2_T3_PNSI_ISN_E10value_typeET4_jRbjT5_ST_jjP12ihipStream_tbEUlT_E0_NS1_11comp_targetILNS1_3genE9ELNS1_11target_archE1100ELNS1_3gpuE3ELNS1_3repE0EEENS1_60segmented_radix_sort_warp_sort_medium_config_static_selectorELNS0_4arch9wavefront6targetE0EEEvSH_,"axG",@progbits,_ZN7rocprim17ROCPRIM_400000_NS6detail17trampoline_kernelINS0_14default_configENS1_36segmented_radix_sort_config_selectorIllEEZNS1_25segmented_radix_sort_implIS3_Lb1EPKlPlS8_S9_N2at6native12_GLOBAL__N_18offset_tEEE10hipError_tPvRmT1_PNSt15iterator_traitsISH_E10value_typeET2_T3_PNSI_ISN_E10value_typeET4_jRbjT5_ST_jjP12ihipStream_tbEUlT_E0_NS1_11comp_targetILNS1_3genE9ELNS1_11target_archE1100ELNS1_3gpuE3ELNS1_3repE0EEENS1_60segmented_radix_sort_warp_sort_medium_config_static_selectorELNS0_4arch9wavefront6targetE0EEEvSH_,comdat
	.globl	_ZN7rocprim17ROCPRIM_400000_NS6detail17trampoline_kernelINS0_14default_configENS1_36segmented_radix_sort_config_selectorIllEEZNS1_25segmented_radix_sort_implIS3_Lb1EPKlPlS8_S9_N2at6native12_GLOBAL__N_18offset_tEEE10hipError_tPvRmT1_PNSt15iterator_traitsISH_E10value_typeET2_T3_PNSI_ISN_E10value_typeET4_jRbjT5_ST_jjP12ihipStream_tbEUlT_E0_NS1_11comp_targetILNS1_3genE9ELNS1_11target_archE1100ELNS1_3gpuE3ELNS1_3repE0EEENS1_60segmented_radix_sort_warp_sort_medium_config_static_selectorELNS0_4arch9wavefront6targetE0EEEvSH_ ; -- Begin function _ZN7rocprim17ROCPRIM_400000_NS6detail17trampoline_kernelINS0_14default_configENS1_36segmented_radix_sort_config_selectorIllEEZNS1_25segmented_radix_sort_implIS3_Lb1EPKlPlS8_S9_N2at6native12_GLOBAL__N_18offset_tEEE10hipError_tPvRmT1_PNSt15iterator_traitsISH_E10value_typeET2_T3_PNSI_ISN_E10value_typeET4_jRbjT5_ST_jjP12ihipStream_tbEUlT_E0_NS1_11comp_targetILNS1_3genE9ELNS1_11target_archE1100ELNS1_3gpuE3ELNS1_3repE0EEENS1_60segmented_radix_sort_warp_sort_medium_config_static_selectorELNS0_4arch9wavefront6targetE0EEEvSH_
	.p2align	8
	.type	_ZN7rocprim17ROCPRIM_400000_NS6detail17trampoline_kernelINS0_14default_configENS1_36segmented_radix_sort_config_selectorIllEEZNS1_25segmented_radix_sort_implIS3_Lb1EPKlPlS8_S9_N2at6native12_GLOBAL__N_18offset_tEEE10hipError_tPvRmT1_PNSt15iterator_traitsISH_E10value_typeET2_T3_PNSI_ISN_E10value_typeET4_jRbjT5_ST_jjP12ihipStream_tbEUlT_E0_NS1_11comp_targetILNS1_3genE9ELNS1_11target_archE1100ELNS1_3gpuE3ELNS1_3repE0EEENS1_60segmented_radix_sort_warp_sort_medium_config_static_selectorELNS0_4arch9wavefront6targetE0EEEvSH_,@function
_ZN7rocprim17ROCPRIM_400000_NS6detail17trampoline_kernelINS0_14default_configENS1_36segmented_radix_sort_config_selectorIllEEZNS1_25segmented_radix_sort_implIS3_Lb1EPKlPlS8_S9_N2at6native12_GLOBAL__N_18offset_tEEE10hipError_tPvRmT1_PNSt15iterator_traitsISH_E10value_typeET2_T3_PNSI_ISN_E10value_typeET4_jRbjT5_ST_jjP12ihipStream_tbEUlT_E0_NS1_11comp_targetILNS1_3genE9ELNS1_11target_archE1100ELNS1_3gpuE3ELNS1_3repE0EEENS1_60segmented_radix_sort_warp_sort_medium_config_static_selectorELNS0_4arch9wavefront6targetE0EEEvSH_: ; @_ZN7rocprim17ROCPRIM_400000_NS6detail17trampoline_kernelINS0_14default_configENS1_36segmented_radix_sort_config_selectorIllEEZNS1_25segmented_radix_sort_implIS3_Lb1EPKlPlS8_S9_N2at6native12_GLOBAL__N_18offset_tEEE10hipError_tPvRmT1_PNSt15iterator_traitsISH_E10value_typeET2_T3_PNSI_ISN_E10value_typeET4_jRbjT5_ST_jjP12ihipStream_tbEUlT_E0_NS1_11comp_targetILNS1_3genE9ELNS1_11target_archE1100ELNS1_3gpuE3ELNS1_3repE0EEENS1_60segmented_radix_sort_warp_sort_medium_config_static_selectorELNS0_4arch9wavefront6targetE0EEEvSH_
; %bb.0:
	.section	.rodata,"a",@progbits
	.p2align	6, 0x0
	.amdhsa_kernel _ZN7rocprim17ROCPRIM_400000_NS6detail17trampoline_kernelINS0_14default_configENS1_36segmented_radix_sort_config_selectorIllEEZNS1_25segmented_radix_sort_implIS3_Lb1EPKlPlS8_S9_N2at6native12_GLOBAL__N_18offset_tEEE10hipError_tPvRmT1_PNSt15iterator_traitsISH_E10value_typeET2_T3_PNSI_ISN_E10value_typeET4_jRbjT5_ST_jjP12ihipStream_tbEUlT_E0_NS1_11comp_targetILNS1_3genE9ELNS1_11target_archE1100ELNS1_3gpuE3ELNS1_3repE0EEENS1_60segmented_radix_sort_warp_sort_medium_config_static_selectorELNS0_4arch9wavefront6targetE0EEEvSH_
		.amdhsa_group_segment_fixed_size 0
		.amdhsa_private_segment_fixed_size 0
		.amdhsa_kernarg_size 88
		.amdhsa_user_sgpr_count 2
		.amdhsa_user_sgpr_dispatch_ptr 0
		.amdhsa_user_sgpr_queue_ptr 0
		.amdhsa_user_sgpr_kernarg_segment_ptr 1
		.amdhsa_user_sgpr_dispatch_id 0
		.amdhsa_user_sgpr_kernarg_preload_length 0
		.amdhsa_user_sgpr_kernarg_preload_offset 0
		.amdhsa_user_sgpr_private_segment_size 0
		.amdhsa_wavefront_size32 1
		.amdhsa_uses_dynamic_stack 0
		.amdhsa_enable_private_segment 0
		.amdhsa_system_sgpr_workgroup_id_x 1
		.amdhsa_system_sgpr_workgroup_id_y 0
		.amdhsa_system_sgpr_workgroup_id_z 0
		.amdhsa_system_sgpr_workgroup_info 0
		.amdhsa_system_vgpr_workitem_id 0
		.amdhsa_next_free_vgpr 1
		.amdhsa_next_free_sgpr 1
		.amdhsa_named_barrier_count 0
		.amdhsa_reserve_vcc 0
		.amdhsa_float_round_mode_32 0
		.amdhsa_float_round_mode_16_64 0
		.amdhsa_float_denorm_mode_32 3
		.amdhsa_float_denorm_mode_16_64 3
		.amdhsa_fp16_overflow 0
		.amdhsa_memory_ordered 1
		.amdhsa_forward_progress 1
		.amdhsa_inst_pref_size 0
		.amdhsa_round_robin_scheduling 0
		.amdhsa_exception_fp_ieee_invalid_op 0
		.amdhsa_exception_fp_denorm_src 0
		.amdhsa_exception_fp_ieee_div_zero 0
		.amdhsa_exception_fp_ieee_overflow 0
		.amdhsa_exception_fp_ieee_underflow 0
		.amdhsa_exception_fp_ieee_inexact 0
		.amdhsa_exception_int_div_zero 0
	.end_amdhsa_kernel
	.section	.text._ZN7rocprim17ROCPRIM_400000_NS6detail17trampoline_kernelINS0_14default_configENS1_36segmented_radix_sort_config_selectorIllEEZNS1_25segmented_radix_sort_implIS3_Lb1EPKlPlS8_S9_N2at6native12_GLOBAL__N_18offset_tEEE10hipError_tPvRmT1_PNSt15iterator_traitsISH_E10value_typeET2_T3_PNSI_ISN_E10value_typeET4_jRbjT5_ST_jjP12ihipStream_tbEUlT_E0_NS1_11comp_targetILNS1_3genE9ELNS1_11target_archE1100ELNS1_3gpuE3ELNS1_3repE0EEENS1_60segmented_radix_sort_warp_sort_medium_config_static_selectorELNS0_4arch9wavefront6targetE0EEEvSH_,"axG",@progbits,_ZN7rocprim17ROCPRIM_400000_NS6detail17trampoline_kernelINS0_14default_configENS1_36segmented_radix_sort_config_selectorIllEEZNS1_25segmented_radix_sort_implIS3_Lb1EPKlPlS8_S9_N2at6native12_GLOBAL__N_18offset_tEEE10hipError_tPvRmT1_PNSt15iterator_traitsISH_E10value_typeET2_T3_PNSI_ISN_E10value_typeET4_jRbjT5_ST_jjP12ihipStream_tbEUlT_E0_NS1_11comp_targetILNS1_3genE9ELNS1_11target_archE1100ELNS1_3gpuE3ELNS1_3repE0EEENS1_60segmented_radix_sort_warp_sort_medium_config_static_selectorELNS0_4arch9wavefront6targetE0EEEvSH_,comdat
.Lfunc_end718:
	.size	_ZN7rocprim17ROCPRIM_400000_NS6detail17trampoline_kernelINS0_14default_configENS1_36segmented_radix_sort_config_selectorIllEEZNS1_25segmented_radix_sort_implIS3_Lb1EPKlPlS8_S9_N2at6native12_GLOBAL__N_18offset_tEEE10hipError_tPvRmT1_PNSt15iterator_traitsISH_E10value_typeET2_T3_PNSI_ISN_E10value_typeET4_jRbjT5_ST_jjP12ihipStream_tbEUlT_E0_NS1_11comp_targetILNS1_3genE9ELNS1_11target_archE1100ELNS1_3gpuE3ELNS1_3repE0EEENS1_60segmented_radix_sort_warp_sort_medium_config_static_selectorELNS0_4arch9wavefront6targetE0EEEvSH_, .Lfunc_end718-_ZN7rocprim17ROCPRIM_400000_NS6detail17trampoline_kernelINS0_14default_configENS1_36segmented_radix_sort_config_selectorIllEEZNS1_25segmented_radix_sort_implIS3_Lb1EPKlPlS8_S9_N2at6native12_GLOBAL__N_18offset_tEEE10hipError_tPvRmT1_PNSt15iterator_traitsISH_E10value_typeET2_T3_PNSI_ISN_E10value_typeET4_jRbjT5_ST_jjP12ihipStream_tbEUlT_E0_NS1_11comp_targetILNS1_3genE9ELNS1_11target_archE1100ELNS1_3gpuE3ELNS1_3repE0EEENS1_60segmented_radix_sort_warp_sort_medium_config_static_selectorELNS0_4arch9wavefront6targetE0EEEvSH_
                                        ; -- End function
	.set _ZN7rocprim17ROCPRIM_400000_NS6detail17trampoline_kernelINS0_14default_configENS1_36segmented_radix_sort_config_selectorIllEEZNS1_25segmented_radix_sort_implIS3_Lb1EPKlPlS8_S9_N2at6native12_GLOBAL__N_18offset_tEEE10hipError_tPvRmT1_PNSt15iterator_traitsISH_E10value_typeET2_T3_PNSI_ISN_E10value_typeET4_jRbjT5_ST_jjP12ihipStream_tbEUlT_E0_NS1_11comp_targetILNS1_3genE9ELNS1_11target_archE1100ELNS1_3gpuE3ELNS1_3repE0EEENS1_60segmented_radix_sort_warp_sort_medium_config_static_selectorELNS0_4arch9wavefront6targetE0EEEvSH_.num_vgpr, 0
	.set _ZN7rocprim17ROCPRIM_400000_NS6detail17trampoline_kernelINS0_14default_configENS1_36segmented_radix_sort_config_selectorIllEEZNS1_25segmented_radix_sort_implIS3_Lb1EPKlPlS8_S9_N2at6native12_GLOBAL__N_18offset_tEEE10hipError_tPvRmT1_PNSt15iterator_traitsISH_E10value_typeET2_T3_PNSI_ISN_E10value_typeET4_jRbjT5_ST_jjP12ihipStream_tbEUlT_E0_NS1_11comp_targetILNS1_3genE9ELNS1_11target_archE1100ELNS1_3gpuE3ELNS1_3repE0EEENS1_60segmented_radix_sort_warp_sort_medium_config_static_selectorELNS0_4arch9wavefront6targetE0EEEvSH_.num_agpr, 0
	.set _ZN7rocprim17ROCPRIM_400000_NS6detail17trampoline_kernelINS0_14default_configENS1_36segmented_radix_sort_config_selectorIllEEZNS1_25segmented_radix_sort_implIS3_Lb1EPKlPlS8_S9_N2at6native12_GLOBAL__N_18offset_tEEE10hipError_tPvRmT1_PNSt15iterator_traitsISH_E10value_typeET2_T3_PNSI_ISN_E10value_typeET4_jRbjT5_ST_jjP12ihipStream_tbEUlT_E0_NS1_11comp_targetILNS1_3genE9ELNS1_11target_archE1100ELNS1_3gpuE3ELNS1_3repE0EEENS1_60segmented_radix_sort_warp_sort_medium_config_static_selectorELNS0_4arch9wavefront6targetE0EEEvSH_.numbered_sgpr, 0
	.set _ZN7rocprim17ROCPRIM_400000_NS6detail17trampoline_kernelINS0_14default_configENS1_36segmented_radix_sort_config_selectorIllEEZNS1_25segmented_radix_sort_implIS3_Lb1EPKlPlS8_S9_N2at6native12_GLOBAL__N_18offset_tEEE10hipError_tPvRmT1_PNSt15iterator_traitsISH_E10value_typeET2_T3_PNSI_ISN_E10value_typeET4_jRbjT5_ST_jjP12ihipStream_tbEUlT_E0_NS1_11comp_targetILNS1_3genE9ELNS1_11target_archE1100ELNS1_3gpuE3ELNS1_3repE0EEENS1_60segmented_radix_sort_warp_sort_medium_config_static_selectorELNS0_4arch9wavefront6targetE0EEEvSH_.num_named_barrier, 0
	.set _ZN7rocprim17ROCPRIM_400000_NS6detail17trampoline_kernelINS0_14default_configENS1_36segmented_radix_sort_config_selectorIllEEZNS1_25segmented_radix_sort_implIS3_Lb1EPKlPlS8_S9_N2at6native12_GLOBAL__N_18offset_tEEE10hipError_tPvRmT1_PNSt15iterator_traitsISH_E10value_typeET2_T3_PNSI_ISN_E10value_typeET4_jRbjT5_ST_jjP12ihipStream_tbEUlT_E0_NS1_11comp_targetILNS1_3genE9ELNS1_11target_archE1100ELNS1_3gpuE3ELNS1_3repE0EEENS1_60segmented_radix_sort_warp_sort_medium_config_static_selectorELNS0_4arch9wavefront6targetE0EEEvSH_.private_seg_size, 0
	.set _ZN7rocprim17ROCPRIM_400000_NS6detail17trampoline_kernelINS0_14default_configENS1_36segmented_radix_sort_config_selectorIllEEZNS1_25segmented_radix_sort_implIS3_Lb1EPKlPlS8_S9_N2at6native12_GLOBAL__N_18offset_tEEE10hipError_tPvRmT1_PNSt15iterator_traitsISH_E10value_typeET2_T3_PNSI_ISN_E10value_typeET4_jRbjT5_ST_jjP12ihipStream_tbEUlT_E0_NS1_11comp_targetILNS1_3genE9ELNS1_11target_archE1100ELNS1_3gpuE3ELNS1_3repE0EEENS1_60segmented_radix_sort_warp_sort_medium_config_static_selectorELNS0_4arch9wavefront6targetE0EEEvSH_.uses_vcc, 0
	.set _ZN7rocprim17ROCPRIM_400000_NS6detail17trampoline_kernelINS0_14default_configENS1_36segmented_radix_sort_config_selectorIllEEZNS1_25segmented_radix_sort_implIS3_Lb1EPKlPlS8_S9_N2at6native12_GLOBAL__N_18offset_tEEE10hipError_tPvRmT1_PNSt15iterator_traitsISH_E10value_typeET2_T3_PNSI_ISN_E10value_typeET4_jRbjT5_ST_jjP12ihipStream_tbEUlT_E0_NS1_11comp_targetILNS1_3genE9ELNS1_11target_archE1100ELNS1_3gpuE3ELNS1_3repE0EEENS1_60segmented_radix_sort_warp_sort_medium_config_static_selectorELNS0_4arch9wavefront6targetE0EEEvSH_.uses_flat_scratch, 0
	.set _ZN7rocprim17ROCPRIM_400000_NS6detail17trampoline_kernelINS0_14default_configENS1_36segmented_radix_sort_config_selectorIllEEZNS1_25segmented_radix_sort_implIS3_Lb1EPKlPlS8_S9_N2at6native12_GLOBAL__N_18offset_tEEE10hipError_tPvRmT1_PNSt15iterator_traitsISH_E10value_typeET2_T3_PNSI_ISN_E10value_typeET4_jRbjT5_ST_jjP12ihipStream_tbEUlT_E0_NS1_11comp_targetILNS1_3genE9ELNS1_11target_archE1100ELNS1_3gpuE3ELNS1_3repE0EEENS1_60segmented_radix_sort_warp_sort_medium_config_static_selectorELNS0_4arch9wavefront6targetE0EEEvSH_.has_dyn_sized_stack, 0
	.set _ZN7rocprim17ROCPRIM_400000_NS6detail17trampoline_kernelINS0_14default_configENS1_36segmented_radix_sort_config_selectorIllEEZNS1_25segmented_radix_sort_implIS3_Lb1EPKlPlS8_S9_N2at6native12_GLOBAL__N_18offset_tEEE10hipError_tPvRmT1_PNSt15iterator_traitsISH_E10value_typeET2_T3_PNSI_ISN_E10value_typeET4_jRbjT5_ST_jjP12ihipStream_tbEUlT_E0_NS1_11comp_targetILNS1_3genE9ELNS1_11target_archE1100ELNS1_3gpuE3ELNS1_3repE0EEENS1_60segmented_radix_sort_warp_sort_medium_config_static_selectorELNS0_4arch9wavefront6targetE0EEEvSH_.has_recursion, 0
	.set _ZN7rocprim17ROCPRIM_400000_NS6detail17trampoline_kernelINS0_14default_configENS1_36segmented_radix_sort_config_selectorIllEEZNS1_25segmented_radix_sort_implIS3_Lb1EPKlPlS8_S9_N2at6native12_GLOBAL__N_18offset_tEEE10hipError_tPvRmT1_PNSt15iterator_traitsISH_E10value_typeET2_T3_PNSI_ISN_E10value_typeET4_jRbjT5_ST_jjP12ihipStream_tbEUlT_E0_NS1_11comp_targetILNS1_3genE9ELNS1_11target_archE1100ELNS1_3gpuE3ELNS1_3repE0EEENS1_60segmented_radix_sort_warp_sort_medium_config_static_selectorELNS0_4arch9wavefront6targetE0EEEvSH_.has_indirect_call, 0
	.section	.AMDGPU.csdata,"",@progbits
; Kernel info:
; codeLenInByte = 0
; TotalNumSgprs: 0
; NumVgprs: 0
; ScratchSize: 0
; MemoryBound: 0
; FloatMode: 240
; IeeeMode: 1
; LDSByteSize: 0 bytes/workgroup (compile time only)
; SGPRBlocks: 0
; VGPRBlocks: 0
; NumSGPRsForWavesPerEU: 1
; NumVGPRsForWavesPerEU: 1
; NamedBarCnt: 0
; Occupancy: 16
; WaveLimiterHint : 0
; COMPUTE_PGM_RSRC2:SCRATCH_EN: 0
; COMPUTE_PGM_RSRC2:USER_SGPR: 2
; COMPUTE_PGM_RSRC2:TRAP_HANDLER: 0
; COMPUTE_PGM_RSRC2:TGID_X_EN: 1
; COMPUTE_PGM_RSRC2:TGID_Y_EN: 0
; COMPUTE_PGM_RSRC2:TGID_Z_EN: 0
; COMPUTE_PGM_RSRC2:TIDIG_COMP_CNT: 0
	.section	.text._ZN7rocprim17ROCPRIM_400000_NS6detail17trampoline_kernelINS0_14default_configENS1_36segmented_radix_sort_config_selectorIllEEZNS1_25segmented_radix_sort_implIS3_Lb1EPKlPlS8_S9_N2at6native12_GLOBAL__N_18offset_tEEE10hipError_tPvRmT1_PNSt15iterator_traitsISH_E10value_typeET2_T3_PNSI_ISN_E10value_typeET4_jRbjT5_ST_jjP12ihipStream_tbEUlT_E0_NS1_11comp_targetILNS1_3genE8ELNS1_11target_archE1030ELNS1_3gpuE2ELNS1_3repE0EEENS1_60segmented_radix_sort_warp_sort_medium_config_static_selectorELNS0_4arch9wavefront6targetE0EEEvSH_,"axG",@progbits,_ZN7rocprim17ROCPRIM_400000_NS6detail17trampoline_kernelINS0_14default_configENS1_36segmented_radix_sort_config_selectorIllEEZNS1_25segmented_radix_sort_implIS3_Lb1EPKlPlS8_S9_N2at6native12_GLOBAL__N_18offset_tEEE10hipError_tPvRmT1_PNSt15iterator_traitsISH_E10value_typeET2_T3_PNSI_ISN_E10value_typeET4_jRbjT5_ST_jjP12ihipStream_tbEUlT_E0_NS1_11comp_targetILNS1_3genE8ELNS1_11target_archE1030ELNS1_3gpuE2ELNS1_3repE0EEENS1_60segmented_radix_sort_warp_sort_medium_config_static_selectorELNS0_4arch9wavefront6targetE0EEEvSH_,comdat
	.globl	_ZN7rocprim17ROCPRIM_400000_NS6detail17trampoline_kernelINS0_14default_configENS1_36segmented_radix_sort_config_selectorIllEEZNS1_25segmented_radix_sort_implIS3_Lb1EPKlPlS8_S9_N2at6native12_GLOBAL__N_18offset_tEEE10hipError_tPvRmT1_PNSt15iterator_traitsISH_E10value_typeET2_T3_PNSI_ISN_E10value_typeET4_jRbjT5_ST_jjP12ihipStream_tbEUlT_E0_NS1_11comp_targetILNS1_3genE8ELNS1_11target_archE1030ELNS1_3gpuE2ELNS1_3repE0EEENS1_60segmented_radix_sort_warp_sort_medium_config_static_selectorELNS0_4arch9wavefront6targetE0EEEvSH_ ; -- Begin function _ZN7rocprim17ROCPRIM_400000_NS6detail17trampoline_kernelINS0_14default_configENS1_36segmented_radix_sort_config_selectorIllEEZNS1_25segmented_radix_sort_implIS3_Lb1EPKlPlS8_S9_N2at6native12_GLOBAL__N_18offset_tEEE10hipError_tPvRmT1_PNSt15iterator_traitsISH_E10value_typeET2_T3_PNSI_ISN_E10value_typeET4_jRbjT5_ST_jjP12ihipStream_tbEUlT_E0_NS1_11comp_targetILNS1_3genE8ELNS1_11target_archE1030ELNS1_3gpuE2ELNS1_3repE0EEENS1_60segmented_radix_sort_warp_sort_medium_config_static_selectorELNS0_4arch9wavefront6targetE0EEEvSH_
	.p2align	8
	.type	_ZN7rocprim17ROCPRIM_400000_NS6detail17trampoline_kernelINS0_14default_configENS1_36segmented_radix_sort_config_selectorIllEEZNS1_25segmented_radix_sort_implIS3_Lb1EPKlPlS8_S9_N2at6native12_GLOBAL__N_18offset_tEEE10hipError_tPvRmT1_PNSt15iterator_traitsISH_E10value_typeET2_T3_PNSI_ISN_E10value_typeET4_jRbjT5_ST_jjP12ihipStream_tbEUlT_E0_NS1_11comp_targetILNS1_3genE8ELNS1_11target_archE1030ELNS1_3gpuE2ELNS1_3repE0EEENS1_60segmented_radix_sort_warp_sort_medium_config_static_selectorELNS0_4arch9wavefront6targetE0EEEvSH_,@function
_ZN7rocprim17ROCPRIM_400000_NS6detail17trampoline_kernelINS0_14default_configENS1_36segmented_radix_sort_config_selectorIllEEZNS1_25segmented_radix_sort_implIS3_Lb1EPKlPlS8_S9_N2at6native12_GLOBAL__N_18offset_tEEE10hipError_tPvRmT1_PNSt15iterator_traitsISH_E10value_typeET2_T3_PNSI_ISN_E10value_typeET4_jRbjT5_ST_jjP12ihipStream_tbEUlT_E0_NS1_11comp_targetILNS1_3genE8ELNS1_11target_archE1030ELNS1_3gpuE2ELNS1_3repE0EEENS1_60segmented_radix_sort_warp_sort_medium_config_static_selectorELNS0_4arch9wavefront6targetE0EEEvSH_: ; @_ZN7rocprim17ROCPRIM_400000_NS6detail17trampoline_kernelINS0_14default_configENS1_36segmented_radix_sort_config_selectorIllEEZNS1_25segmented_radix_sort_implIS3_Lb1EPKlPlS8_S9_N2at6native12_GLOBAL__N_18offset_tEEE10hipError_tPvRmT1_PNSt15iterator_traitsISH_E10value_typeET2_T3_PNSI_ISN_E10value_typeET4_jRbjT5_ST_jjP12ihipStream_tbEUlT_E0_NS1_11comp_targetILNS1_3genE8ELNS1_11target_archE1030ELNS1_3gpuE2ELNS1_3repE0EEENS1_60segmented_radix_sort_warp_sort_medium_config_static_selectorELNS0_4arch9wavefront6targetE0EEEvSH_
; %bb.0:
	.section	.rodata,"a",@progbits
	.p2align	6, 0x0
	.amdhsa_kernel _ZN7rocprim17ROCPRIM_400000_NS6detail17trampoline_kernelINS0_14default_configENS1_36segmented_radix_sort_config_selectorIllEEZNS1_25segmented_radix_sort_implIS3_Lb1EPKlPlS8_S9_N2at6native12_GLOBAL__N_18offset_tEEE10hipError_tPvRmT1_PNSt15iterator_traitsISH_E10value_typeET2_T3_PNSI_ISN_E10value_typeET4_jRbjT5_ST_jjP12ihipStream_tbEUlT_E0_NS1_11comp_targetILNS1_3genE8ELNS1_11target_archE1030ELNS1_3gpuE2ELNS1_3repE0EEENS1_60segmented_radix_sort_warp_sort_medium_config_static_selectorELNS0_4arch9wavefront6targetE0EEEvSH_
		.amdhsa_group_segment_fixed_size 0
		.amdhsa_private_segment_fixed_size 0
		.amdhsa_kernarg_size 88
		.amdhsa_user_sgpr_count 2
		.amdhsa_user_sgpr_dispatch_ptr 0
		.amdhsa_user_sgpr_queue_ptr 0
		.amdhsa_user_sgpr_kernarg_segment_ptr 1
		.amdhsa_user_sgpr_dispatch_id 0
		.amdhsa_user_sgpr_kernarg_preload_length 0
		.amdhsa_user_sgpr_kernarg_preload_offset 0
		.amdhsa_user_sgpr_private_segment_size 0
		.amdhsa_wavefront_size32 1
		.amdhsa_uses_dynamic_stack 0
		.amdhsa_enable_private_segment 0
		.amdhsa_system_sgpr_workgroup_id_x 1
		.amdhsa_system_sgpr_workgroup_id_y 0
		.amdhsa_system_sgpr_workgroup_id_z 0
		.amdhsa_system_sgpr_workgroup_info 0
		.amdhsa_system_vgpr_workitem_id 0
		.amdhsa_next_free_vgpr 1
		.amdhsa_next_free_sgpr 1
		.amdhsa_named_barrier_count 0
		.amdhsa_reserve_vcc 0
		.amdhsa_float_round_mode_32 0
		.amdhsa_float_round_mode_16_64 0
		.amdhsa_float_denorm_mode_32 3
		.amdhsa_float_denorm_mode_16_64 3
		.amdhsa_fp16_overflow 0
		.amdhsa_memory_ordered 1
		.amdhsa_forward_progress 1
		.amdhsa_inst_pref_size 0
		.amdhsa_round_robin_scheduling 0
		.amdhsa_exception_fp_ieee_invalid_op 0
		.amdhsa_exception_fp_denorm_src 0
		.amdhsa_exception_fp_ieee_div_zero 0
		.amdhsa_exception_fp_ieee_overflow 0
		.amdhsa_exception_fp_ieee_underflow 0
		.amdhsa_exception_fp_ieee_inexact 0
		.amdhsa_exception_int_div_zero 0
	.end_amdhsa_kernel
	.section	.text._ZN7rocprim17ROCPRIM_400000_NS6detail17trampoline_kernelINS0_14default_configENS1_36segmented_radix_sort_config_selectorIllEEZNS1_25segmented_radix_sort_implIS3_Lb1EPKlPlS8_S9_N2at6native12_GLOBAL__N_18offset_tEEE10hipError_tPvRmT1_PNSt15iterator_traitsISH_E10value_typeET2_T3_PNSI_ISN_E10value_typeET4_jRbjT5_ST_jjP12ihipStream_tbEUlT_E0_NS1_11comp_targetILNS1_3genE8ELNS1_11target_archE1030ELNS1_3gpuE2ELNS1_3repE0EEENS1_60segmented_radix_sort_warp_sort_medium_config_static_selectorELNS0_4arch9wavefront6targetE0EEEvSH_,"axG",@progbits,_ZN7rocprim17ROCPRIM_400000_NS6detail17trampoline_kernelINS0_14default_configENS1_36segmented_radix_sort_config_selectorIllEEZNS1_25segmented_radix_sort_implIS3_Lb1EPKlPlS8_S9_N2at6native12_GLOBAL__N_18offset_tEEE10hipError_tPvRmT1_PNSt15iterator_traitsISH_E10value_typeET2_T3_PNSI_ISN_E10value_typeET4_jRbjT5_ST_jjP12ihipStream_tbEUlT_E0_NS1_11comp_targetILNS1_3genE8ELNS1_11target_archE1030ELNS1_3gpuE2ELNS1_3repE0EEENS1_60segmented_radix_sort_warp_sort_medium_config_static_selectorELNS0_4arch9wavefront6targetE0EEEvSH_,comdat
.Lfunc_end719:
	.size	_ZN7rocprim17ROCPRIM_400000_NS6detail17trampoline_kernelINS0_14default_configENS1_36segmented_radix_sort_config_selectorIllEEZNS1_25segmented_radix_sort_implIS3_Lb1EPKlPlS8_S9_N2at6native12_GLOBAL__N_18offset_tEEE10hipError_tPvRmT1_PNSt15iterator_traitsISH_E10value_typeET2_T3_PNSI_ISN_E10value_typeET4_jRbjT5_ST_jjP12ihipStream_tbEUlT_E0_NS1_11comp_targetILNS1_3genE8ELNS1_11target_archE1030ELNS1_3gpuE2ELNS1_3repE0EEENS1_60segmented_radix_sort_warp_sort_medium_config_static_selectorELNS0_4arch9wavefront6targetE0EEEvSH_, .Lfunc_end719-_ZN7rocprim17ROCPRIM_400000_NS6detail17trampoline_kernelINS0_14default_configENS1_36segmented_radix_sort_config_selectorIllEEZNS1_25segmented_radix_sort_implIS3_Lb1EPKlPlS8_S9_N2at6native12_GLOBAL__N_18offset_tEEE10hipError_tPvRmT1_PNSt15iterator_traitsISH_E10value_typeET2_T3_PNSI_ISN_E10value_typeET4_jRbjT5_ST_jjP12ihipStream_tbEUlT_E0_NS1_11comp_targetILNS1_3genE8ELNS1_11target_archE1030ELNS1_3gpuE2ELNS1_3repE0EEENS1_60segmented_radix_sort_warp_sort_medium_config_static_selectorELNS0_4arch9wavefront6targetE0EEEvSH_
                                        ; -- End function
	.set _ZN7rocprim17ROCPRIM_400000_NS6detail17trampoline_kernelINS0_14default_configENS1_36segmented_radix_sort_config_selectorIllEEZNS1_25segmented_radix_sort_implIS3_Lb1EPKlPlS8_S9_N2at6native12_GLOBAL__N_18offset_tEEE10hipError_tPvRmT1_PNSt15iterator_traitsISH_E10value_typeET2_T3_PNSI_ISN_E10value_typeET4_jRbjT5_ST_jjP12ihipStream_tbEUlT_E0_NS1_11comp_targetILNS1_3genE8ELNS1_11target_archE1030ELNS1_3gpuE2ELNS1_3repE0EEENS1_60segmented_radix_sort_warp_sort_medium_config_static_selectorELNS0_4arch9wavefront6targetE0EEEvSH_.num_vgpr, 0
	.set _ZN7rocprim17ROCPRIM_400000_NS6detail17trampoline_kernelINS0_14default_configENS1_36segmented_radix_sort_config_selectorIllEEZNS1_25segmented_radix_sort_implIS3_Lb1EPKlPlS8_S9_N2at6native12_GLOBAL__N_18offset_tEEE10hipError_tPvRmT1_PNSt15iterator_traitsISH_E10value_typeET2_T3_PNSI_ISN_E10value_typeET4_jRbjT5_ST_jjP12ihipStream_tbEUlT_E0_NS1_11comp_targetILNS1_3genE8ELNS1_11target_archE1030ELNS1_3gpuE2ELNS1_3repE0EEENS1_60segmented_radix_sort_warp_sort_medium_config_static_selectorELNS0_4arch9wavefront6targetE0EEEvSH_.num_agpr, 0
	.set _ZN7rocprim17ROCPRIM_400000_NS6detail17trampoline_kernelINS0_14default_configENS1_36segmented_radix_sort_config_selectorIllEEZNS1_25segmented_radix_sort_implIS3_Lb1EPKlPlS8_S9_N2at6native12_GLOBAL__N_18offset_tEEE10hipError_tPvRmT1_PNSt15iterator_traitsISH_E10value_typeET2_T3_PNSI_ISN_E10value_typeET4_jRbjT5_ST_jjP12ihipStream_tbEUlT_E0_NS1_11comp_targetILNS1_3genE8ELNS1_11target_archE1030ELNS1_3gpuE2ELNS1_3repE0EEENS1_60segmented_radix_sort_warp_sort_medium_config_static_selectorELNS0_4arch9wavefront6targetE0EEEvSH_.numbered_sgpr, 0
	.set _ZN7rocprim17ROCPRIM_400000_NS6detail17trampoline_kernelINS0_14default_configENS1_36segmented_radix_sort_config_selectorIllEEZNS1_25segmented_radix_sort_implIS3_Lb1EPKlPlS8_S9_N2at6native12_GLOBAL__N_18offset_tEEE10hipError_tPvRmT1_PNSt15iterator_traitsISH_E10value_typeET2_T3_PNSI_ISN_E10value_typeET4_jRbjT5_ST_jjP12ihipStream_tbEUlT_E0_NS1_11comp_targetILNS1_3genE8ELNS1_11target_archE1030ELNS1_3gpuE2ELNS1_3repE0EEENS1_60segmented_radix_sort_warp_sort_medium_config_static_selectorELNS0_4arch9wavefront6targetE0EEEvSH_.num_named_barrier, 0
	.set _ZN7rocprim17ROCPRIM_400000_NS6detail17trampoline_kernelINS0_14default_configENS1_36segmented_radix_sort_config_selectorIllEEZNS1_25segmented_radix_sort_implIS3_Lb1EPKlPlS8_S9_N2at6native12_GLOBAL__N_18offset_tEEE10hipError_tPvRmT1_PNSt15iterator_traitsISH_E10value_typeET2_T3_PNSI_ISN_E10value_typeET4_jRbjT5_ST_jjP12ihipStream_tbEUlT_E0_NS1_11comp_targetILNS1_3genE8ELNS1_11target_archE1030ELNS1_3gpuE2ELNS1_3repE0EEENS1_60segmented_radix_sort_warp_sort_medium_config_static_selectorELNS0_4arch9wavefront6targetE0EEEvSH_.private_seg_size, 0
	.set _ZN7rocprim17ROCPRIM_400000_NS6detail17trampoline_kernelINS0_14default_configENS1_36segmented_radix_sort_config_selectorIllEEZNS1_25segmented_radix_sort_implIS3_Lb1EPKlPlS8_S9_N2at6native12_GLOBAL__N_18offset_tEEE10hipError_tPvRmT1_PNSt15iterator_traitsISH_E10value_typeET2_T3_PNSI_ISN_E10value_typeET4_jRbjT5_ST_jjP12ihipStream_tbEUlT_E0_NS1_11comp_targetILNS1_3genE8ELNS1_11target_archE1030ELNS1_3gpuE2ELNS1_3repE0EEENS1_60segmented_radix_sort_warp_sort_medium_config_static_selectorELNS0_4arch9wavefront6targetE0EEEvSH_.uses_vcc, 0
	.set _ZN7rocprim17ROCPRIM_400000_NS6detail17trampoline_kernelINS0_14default_configENS1_36segmented_radix_sort_config_selectorIllEEZNS1_25segmented_radix_sort_implIS3_Lb1EPKlPlS8_S9_N2at6native12_GLOBAL__N_18offset_tEEE10hipError_tPvRmT1_PNSt15iterator_traitsISH_E10value_typeET2_T3_PNSI_ISN_E10value_typeET4_jRbjT5_ST_jjP12ihipStream_tbEUlT_E0_NS1_11comp_targetILNS1_3genE8ELNS1_11target_archE1030ELNS1_3gpuE2ELNS1_3repE0EEENS1_60segmented_radix_sort_warp_sort_medium_config_static_selectorELNS0_4arch9wavefront6targetE0EEEvSH_.uses_flat_scratch, 0
	.set _ZN7rocprim17ROCPRIM_400000_NS6detail17trampoline_kernelINS0_14default_configENS1_36segmented_radix_sort_config_selectorIllEEZNS1_25segmented_radix_sort_implIS3_Lb1EPKlPlS8_S9_N2at6native12_GLOBAL__N_18offset_tEEE10hipError_tPvRmT1_PNSt15iterator_traitsISH_E10value_typeET2_T3_PNSI_ISN_E10value_typeET4_jRbjT5_ST_jjP12ihipStream_tbEUlT_E0_NS1_11comp_targetILNS1_3genE8ELNS1_11target_archE1030ELNS1_3gpuE2ELNS1_3repE0EEENS1_60segmented_radix_sort_warp_sort_medium_config_static_selectorELNS0_4arch9wavefront6targetE0EEEvSH_.has_dyn_sized_stack, 0
	.set _ZN7rocprim17ROCPRIM_400000_NS6detail17trampoline_kernelINS0_14default_configENS1_36segmented_radix_sort_config_selectorIllEEZNS1_25segmented_radix_sort_implIS3_Lb1EPKlPlS8_S9_N2at6native12_GLOBAL__N_18offset_tEEE10hipError_tPvRmT1_PNSt15iterator_traitsISH_E10value_typeET2_T3_PNSI_ISN_E10value_typeET4_jRbjT5_ST_jjP12ihipStream_tbEUlT_E0_NS1_11comp_targetILNS1_3genE8ELNS1_11target_archE1030ELNS1_3gpuE2ELNS1_3repE0EEENS1_60segmented_radix_sort_warp_sort_medium_config_static_selectorELNS0_4arch9wavefront6targetE0EEEvSH_.has_recursion, 0
	.set _ZN7rocprim17ROCPRIM_400000_NS6detail17trampoline_kernelINS0_14default_configENS1_36segmented_radix_sort_config_selectorIllEEZNS1_25segmented_radix_sort_implIS3_Lb1EPKlPlS8_S9_N2at6native12_GLOBAL__N_18offset_tEEE10hipError_tPvRmT1_PNSt15iterator_traitsISH_E10value_typeET2_T3_PNSI_ISN_E10value_typeET4_jRbjT5_ST_jjP12ihipStream_tbEUlT_E0_NS1_11comp_targetILNS1_3genE8ELNS1_11target_archE1030ELNS1_3gpuE2ELNS1_3repE0EEENS1_60segmented_radix_sort_warp_sort_medium_config_static_selectorELNS0_4arch9wavefront6targetE0EEEvSH_.has_indirect_call, 0
	.section	.AMDGPU.csdata,"",@progbits
; Kernel info:
; codeLenInByte = 0
; TotalNumSgprs: 0
; NumVgprs: 0
; ScratchSize: 0
; MemoryBound: 0
; FloatMode: 240
; IeeeMode: 1
; LDSByteSize: 0 bytes/workgroup (compile time only)
; SGPRBlocks: 0
; VGPRBlocks: 0
; NumSGPRsForWavesPerEU: 1
; NumVGPRsForWavesPerEU: 1
; NamedBarCnt: 0
; Occupancy: 16
; WaveLimiterHint : 0
; COMPUTE_PGM_RSRC2:SCRATCH_EN: 0
; COMPUTE_PGM_RSRC2:USER_SGPR: 2
; COMPUTE_PGM_RSRC2:TRAP_HANDLER: 0
; COMPUTE_PGM_RSRC2:TGID_X_EN: 1
; COMPUTE_PGM_RSRC2:TGID_Y_EN: 0
; COMPUTE_PGM_RSRC2:TGID_Z_EN: 0
; COMPUTE_PGM_RSRC2:TIDIG_COMP_CNT: 0
	.text
	.p2align	2                               ; -- Begin function _ZN7rocprim17ROCPRIM_400000_NS6detail26segmented_warp_sort_helperINS1_20WarpSortHelperConfigILj8ELj4ELj256EEEllLi256ELb1EvE4sortIPKlPlS8_S9_EEvT_T0_T1_T2_jjjjRNS5_12storage_typeE
	.type	_ZN7rocprim17ROCPRIM_400000_NS6detail26segmented_warp_sort_helperINS1_20WarpSortHelperConfigILj8ELj4ELj256EEEllLi256ELb1EvE4sortIPKlPlS8_S9_EEvT_T0_T1_T2_jjjjRNS5_12storage_typeE,@function
_ZN7rocprim17ROCPRIM_400000_NS6detail26segmented_warp_sort_helperINS1_20WarpSortHelperConfigILj8ELj4ELj256EEEllLi256ELb1EvE4sortIPKlPlS8_S9_EEvT_T0_T1_T2_jjjjRNS5_12storage_typeE: ; @_ZN7rocprim17ROCPRIM_400000_NS6detail26segmented_warp_sort_helperINS1_20WarpSortHelperConfigILj8ELj4ELj256EEEllLi256ELb1EvE4sortIPKlPlS8_S9_EEvT_T0_T1_T2_jjjjRNS5_12storage_typeE
; %bb.0:
	s_wait_loadcnt_dscnt 0x0
	s_wait_kmcnt 0x0
	v_mov_b32_e32 v14, v9
	v_mbcnt_lo_u32_b32 v9, -1, 0
	s_mov_b32 s0, 0
	s_delay_alu instid0(VALU_DEP_1) | instskip(NEXT) | instid1(VALU_DEP_3)
	v_dual_mov_b32 v9, 0 :: v_dual_lshlrev_b32 v52, 2, v9
	v_sub_nc_u32_e32 v26, v14, v8
	v_mov_b64_e32 v[14:15], 0x8000000000000000
	s_delay_alu instid0(VALU_DEP_3) | instskip(NEXT) | instid1(VALU_DEP_4)
	v_and_b32_e32 v53, 28, v52
	v_lshl_add_u64 v[16:17], v[8:9], 3, v[0:1]
	s_delay_alu instid0(VALU_DEP_2) | instskip(SKIP_1) | instid1(VALU_DEP_2)
	v_dual_mov_b32 v1, v9 :: v_dual_lshlrev_b32 v0, 3, v53
	v_cmp_lt_u32_e32 vcc_lo, v53, v26
	v_add_nc_u64_e32 v[24:25], v[16:17], v[0:1]
	v_mov_b64_e32 v[16:17], 0x8000000000000000
	s_and_saveexec_b32 s1, vcc_lo
	s_cbranch_execz .LBB720_2
; %bb.1:
	flat_load_b64 v[14:15], v[24:25]
.LBB720_2:
	s_wait_xcnt 0x0
	s_or_b32 exec_lo, exec_lo, s1
	v_dual_mov_b32 v36, s0 :: v_dual_bitop2_b32 v1, 1, v53 bitop3:0x54
	s_brev_b32 s1, 1
	s_delay_alu instid0(SALU_CYCLE_1)
	v_dual_mov_b32 v18, s0 :: v_dual_mov_b32 v19, s1
	v_dual_mov_b32 v37, s1 :: v_dual_mov_b32 v38, s0
	v_mov_b32_e32 v39, s1
	v_cmp_lt_u32_e64 s0, v1, v26
	s_and_saveexec_b32 s2, s0
	s_cbranch_execz .LBB720_4
; %bb.3:
	flat_load_b64 v[18:19], v[24:25] offset:8
	s_mov_b32 s3, 0
	s_delay_alu instid0(SALU_CYCLE_1)
	v_dual_mov_b32 v37, s1 :: v_dual_mov_b32 v36, s3
	v_dual_mov_b32 v38, s3 :: v_dual_mov_b32 v39, s1
	s_wait_loadcnt_dscnt 0x0
	v_mov_b64_e32 v[16:17], v[18:19]
.LBB720_4:
	s_wait_xcnt 0x0
	s_or_b32 exec_lo, exec_lo, s2
	v_or_b32_e32 v1, 2, v53
	v_mov_b64_e32 v[20:21], 0x8000000000000000
	v_mov_b64_e32 v[22:23], 0x8000000000000000
	s_delay_alu instid0(VALU_DEP_3)
	v_cmp_lt_u32_e64 s1, v1, v26
	s_and_saveexec_b32 s2, s1
	s_cbranch_execz .LBB720_6
; %bb.5:
	flat_load_b64 v[36:37], v[24:25] offset:16
	s_mov_b32 s3, 0
	s_brev_b32 s4, 1
	s_delay_alu instid0(SALU_CYCLE_1)
	v_dual_mov_b32 v38, s3 :: v_dual_mov_b32 v39, s4
	s_wait_loadcnt_dscnt 0x0
	v_mov_b64_e32 v[22:23], v[36:37]
.LBB720_6:
	s_wait_xcnt 0x0
	s_or_b32 exec_lo, exec_lo, s2
	v_or_b32_e32 v1, 3, v53
	s_delay_alu instid0(VALU_DEP_1)
	v_cmp_lt_u32_e64 s2, v1, v26
	s_and_saveexec_b32 s3, s2
	s_cbranch_execz .LBB720_8
; %bb.7:
	flat_load_b64 v[38:39], v[24:25] offset:24
	s_wait_loadcnt_dscnt 0x0
	v_mov_b64_e32 v[20:21], v[38:39]
.LBB720_8:
	s_wait_xcnt 0x0
	s_or_b32 exec_lo, exec_lo, s3
	v_lshl_add_u64 v[4:5], v[8:9], 3, v[4:5]
	v_mov_b32_e32 v1, 0
	; wave barrier
	s_delay_alu instid0(VALU_DEP_1)
	v_add_nc_u64_e32 v[24:25], v[4:5], v[0:1]
                                        ; implicit-def: $vgpr4_vgpr5
	s_and_saveexec_b32 s3, vcc_lo
	s_cbranch_execnz .LBB720_107
; %bb.9:
	s_or_b32 exec_lo, exec_lo, s3
                                        ; implicit-def: $vgpr34_vgpr35
	s_and_saveexec_b32 s3, s0
	s_cbranch_execnz .LBB720_108
.LBB720_10:
	s_or_b32 exec_lo, exec_lo, s3
                                        ; implicit-def: $vgpr28_vgpr29
	s_and_saveexec_b32 s3, s1
	s_cbranch_execnz .LBB720_109
.LBB720_11:
	s_or_b32 exec_lo, exec_lo, s3
                                        ; implicit-def: $vgpr32_vgpr33
	s_and_saveexec_b32 s3, s2
	s_cbranch_execz .LBB720_13
.LBB720_12:
	flat_load_b64 v[32:33], v[24:25] offset:24
.LBB720_13:
	s_wait_xcnt 0x0
	s_or_b32 exec_lo, exec_lo, s3
	v_cmp_ne_u32_e64 s3, 0, v10
	v_cmp_ne_u32_e64 s4, 64, v11
	v_bfe_u32 v24, v31, 10, 10
	v_bfe_u32 v25, v31, 20, 10
	v_and_b32_e32 v1, 0x3ff, v31
	s_mov_b32 s5, 0
	s_or_b32 s3, s3, s4
	s_getreg_b32 s11, hwreg(HW_REG_IB_STS2, 6, 4)
	; wave barrier
	s_and_saveexec_b32 s4, s3
	s_delay_alu instid0(SALU_CYCLE_1)
	s_xor_b32 s12, exec_lo, s4
	s_cbranch_execz .LBB720_55
; %bb.14:
	s_load_b64 s[6:7], s[8:9], 0x0
	s_bfe_u32 s4, ttmp6, 0x4000c
	s_bfe_u32 s13, ttmp6, 0x40010
	s_and_b32 s10, ttmp7, 0xffff
	s_add_co_i32 s4, s4, 1
	s_add_co_i32 s13, s13, 1
	s_and_b32 s3, ttmp6, 15
	s_bfe_u32 s14, ttmp6, 0x40004
	s_mul_i32 s4, ttmp9, s4
	s_mul_i32 s13, s10, s13
	s_add_co_i32 s3, s3, s4
	s_add_co_i32 s14, s14, s13
	s_cmp_eq_u32 s11, 0
	v_lshlrev_b64_e64 v[26:27], v10, -1
	s_cselect_b32 s3, ttmp9, s3
	s_cselect_b32 s10, s10, s14
	s_wait_kmcnt 0x0
	s_cmp_lt_u32 s3, s6
	s_cselect_b32 s4, 12, 18
	s_cmp_lt_u32 s10, s7
	s_mov_b32 s7, s5
	s_cselect_b32 s6, 14, 20
	s_add_nc_u64 s[4:5], s[8:9], s[4:5]
	s_add_nc_u64 s[6:7], s[8:9], s[6:7]
	s_clause 0x1
	s_load_u16 s4, s[4:5], 0x0
	s_nop 0
	s_load_u16 s3, s[6:7], 0x0
	s_wait_xcnt 0x0
	s_mov_b32 s6, exec_lo
	s_wait_kmcnt 0x0
	v_mad_u32_u24 v24, v25, s3, v24
	s_delay_alu instid0(VALU_DEP_1) | instskip(SKIP_1) | instid1(VALU_DEP_1)
	v_mul_lo_u32 v30, v24, s4
	v_lshlrev_b64_e64 v[24:25], v11, -1
	v_xor_b32_e32 v10, v24, v26
	s_delay_alu instid0(VALU_DEP_3) | instskip(NEXT) | instid1(VALU_DEP_3)
	v_add_lshl_u32 v11, v30, v1, 2
	v_xor_b32_e32 v1, v25, v27
	s_delay_alu instid0(VALU_DEP_2)
	v_cmpx_gt_u32_e32 0x400, v11
	s_cbranch_execz .LBB720_24
; %bb.15:
	s_delay_alu instid0(VALU_DEP_2)
	v_and_b32_e32 v17, v17, v1
	v_and_b32_e32 v16, v16, v10
	s_wait_loadcnt_dscnt 0x0
	v_and_b32_e32 v21, v15, v1
	v_and_b32_e32 v20, v14, v10
	v_mov_b64_e32 v[30:31], v[28:29]
	v_mov_b64_e32 v[26:27], v[36:37]
	s_mov_b32 s5, exec_lo
	s_delay_alu instid0(VALU_DEP_3) | instskip(SKIP_3) | instid1(VALU_DEP_4)
	v_cmp_gt_u64_e64 s3, v[16:17], v[20:21]
	v_and_b32_e32 v21, v39, v1
	v_and_b32_e32 v20, v38, v10
	;; [unrolled: 1-line block ×3, first 2 shown]
	v_dual_cndmask_b32 v25, v19, v15, s3 :: v_dual_bitop2_b32 v16, v36, v10 bitop3:0x40
	v_dual_cndmask_b32 v24, v18, v14, s3 :: v_dual_cndmask_b32 v23, v15, v19, s3
	v_cndmask_b32_e64 v22, v14, v18, s3
	s_delay_alu instid0(VALU_DEP_3)
	v_cmpx_gt_u64_e64 v[20:21], v[16:17]
	s_cbranch_execz .LBB720_17
; %bb.16:
	v_mov_b64_e32 v[14:15], v[36:37]
	v_mov_b64_e32 v[30:31], v[32:33]
	;; [unrolled: 1-line block ×7, first 2 shown]
.LBB720_17:
	s_or_b32 exec_lo, exec_lo, s5
	s_delay_alu instid0(VALU_DEP_1) | instskip(SKIP_1) | instid1(VALU_DEP_3)
	v_dual_mov_b32 v29, v39 :: v_dual_bitop2_b32 v49, v25, v1 bitop3:0x40
	v_dual_cndmask_b32 v50, v34, v4, s3 :: v_dual_bitop2_b32 v48, v24, v10 bitop3:0x40
	v_dual_cndmask_b32 v51, v35, v5, s3 :: v_dual_mov_b32 v28, v38
	s_delay_alu instid0(VALU_DEP_2)
	v_cmp_gt_u64_e64 s4, v[16:17], v[48:49]
	v_mov_b64_e32 v[14:15], v[22:23]
	v_mov_b64_e32 v[16:17], v[24:25]
	;; [unrolled: 1-line block ×5, first 2 shown]
	s_and_saveexec_b32 s5, s4
	s_delay_alu instid0(SALU_CYCLE_1)
	s_xor_b32 s4, exec_lo, s5
	s_cbranch_execz .LBB720_19
; %bb.18:
	v_mov_b64_e32 v[14:15], v[22:23]
	s_delay_alu instid0(VALU_DEP_2)
	v_mov_b64_e32 v[18:19], v[26:27]
	v_mov_b64_e32 v[16:17], v[24:25]
	;; [unrolled: 1-line block ×3, first 2 shown]
	v_dual_mov_b32 v18, v24 :: v_dual_mov_b32 v19, v25
	v_mov_b64_e32 v[26:27], v[30:31]
	v_mov_b64_e32 v[30:31], v[50:51]
	;; [unrolled: 1-line block ×3, first 2 shown]
	v_dual_mov_b32 v16, v36 :: v_dual_bitop2_b32 v49, v37, v1 bitop3:0x40
	v_dual_mov_b32 v17, v37 :: v_dual_bitop2_b32 v48, v36, v10 bitop3:0x40
	v_dual_mov_b32 v20, v38 :: v_dual_mov_b32 v21, v39
.LBB720_19:
	s_or_b32 exec_lo, exec_lo, s4
	v_and_b32_e32 v23, v23, v1
	v_and_b32_e32 v22, v22, v10
	v_mov_b64_e32 v[36:37], v[30:31]
	v_and_b32_e32 v29, v19, v1
	v_and_b32_e32 v28, v18, v10
	s_mov_b32 s7, exec_lo
	v_cmp_gt_u64_e64 s4, v[48:49], v[22:23]
	v_mov_b64_e32 v[22:23], v[18:19]
	v_and_b32_e32 v39, v21, v1
	s_delay_alu instid0(VALU_DEP_3) | instskip(SKIP_2) | instid1(VALU_DEP_3)
	v_dual_cndmask_b32 v17, v17, v15, s4 :: v_dual_bitop2_b32 v38, v20, v10 bitop3:0x40
	v_dual_cndmask_b32 v16, v16, v14, s4 :: v_dual_cndmask_b32 v15, v15, v25, s4
	v_cndmask_b32_e64 v14, v14, v24, s4
	v_cmpx_gt_u64_e64 v[38:39], v[28:29]
	s_cbranch_execz .LBB720_21
; %bb.20:
	v_mov_b64_e32 v[24:25], v[18:19]
	v_mov_b64_e32 v[36:37], v[32:33]
	;; [unrolled: 1-line block ×7, first 2 shown]
.LBB720_21:
	s_or_b32 exec_lo, exec_lo, s7
	v_dual_cndmask_b32 v30, v5, v35, s3 :: v_dual_cndmask_b32 v31, v4, v34, s3
	v_and_b32_e32 v25, v17, v1
	s_delay_alu instid0(VALU_DEP_2) | instskip(NEXT) | instid1(VALU_DEP_3)
	v_dual_cndmask_b32 v5, v30, v27, s4 :: v_dual_bitop2_b32 v24, v16, v10 bitop3:0x40
	v_dual_cndmask_b32 v34, v26, v31, s4 :: v_dual_cndmask_b32 v4, v31, v26, s4
	s_delay_alu instid0(VALU_DEP_2)
	v_cmp_gt_u64_e64 s3, v[28:29], v[24:25]
	v_mov_b64_e32 v[28:29], v[36:37]
	v_cndmask_b32_e64 v35, v27, v30, s4
	s_and_saveexec_b32 s4, s3
; %bb.22:
	v_mov_b64_e32 v[22:23], v[16:17]
	v_mov_b64_e32 v[16:17], v[18:19]
	s_delay_alu instid0(VALU_DEP_3)
	v_mov_b64_e32 v[28:29], v[34:35]
	v_mov_b64_e32 v[34:35], v[36:37]
; %bb.23:
	s_or_b32 exec_lo, exec_lo, s4
.LBB720_24:
	s_delay_alu instid0(SALU_CYCLE_1) | instskip(SKIP_4) | instid1(VALU_DEP_3)
	s_or_b32 exec_lo, exec_lo, s6
	v_and_b32_e32 v18, 0xffffff80, v11
	v_dual_mov_b32 v19, 0 :: v_dual_bitop2_b32 v24, 4, v52 bitop3:0x54
	v_and_b32_e32 v50, 0x78, v52
	s_mov_b32 s4, exec_lo
	v_sub_nc_u32_e64 v11, 0x400, v18 clamp
	s_delay_alu instid0(VALU_DEP_3) | instskip(NEXT) | instid1(VALU_DEP_2)
	v_lshl_add_u64 v[12:13], v[18:19], 3, v[12:13]
	v_min_u32_e32 v48, v11, v24
	v_and_b32_e32 v18, 4, v52
	s_delay_alu instid0(VALU_DEP_3) | instskip(NEXT) | instid1(VALU_DEP_3)
	v_lshl_add_u32 v26, v52, 3, v12
	v_add_min_u32_e64 v49, v48, 4, v11
	v_sub_nc_u32_e32 v24, v48, v50
	s_delay_alu instid0(VALU_DEP_4) | instskip(NEXT) | instid1(VALU_DEP_4)
	v_min_u32_e32 v51, v11, v18
	v_add_nc_u32_e32 v25, 0x2000, v26
	s_wait_loadcnt_dscnt 0x0
	ds_store_b64 v26, v[4:5] offset:8192
	ds_store_2addr_b64 v26, v[14:15], v[16:17] offset1:1
	ds_store_2addr_b64 v25, v[34:35], v[28:29] offset0:1 offset1:2
	ds_store_2addr_b64 v26, v[22:23], v[20:21] offset0:2 offset1:3
	ds_store_b64 v26, v[32:33] offset:8216
	v_sub_nc_u32_e32 v18, v49, v48
	v_min_u32_e32 v27, v51, v24
	; wave barrier
	s_delay_alu instid0(VALU_DEP_2) | instskip(NEXT) | instid1(VALU_DEP_1)
	v_sub_nc_u32_e64 v54, v51, v18 clamp
	v_cmpx_lt_u32_e64 v54, v27
	s_cbranch_execz .LBB720_28
; %bb.25:
	v_lshlrev_b32_e32 v18, 3, v50
	s_mov_b32 s5, 0
	s_delay_alu instid0(VALU_DEP_1) | instskip(SKIP_1) | instid1(VALU_DEP_1)
	v_add_nc_u64_e32 v[24:25], v[12:13], v[18:19]
	v_lshlrev_b32_e32 v18, 3, v48
	v_add_nc_u64_e32 v[18:19], v[12:13], v[18:19]
.LBB720_26:                             ; =>This Inner Loop Header: Depth=1
	v_add_nc_u32_e32 v19, v27, v54
	s_delay_alu instid0(VALU_DEP_1) | instskip(NEXT) | instid1(VALU_DEP_1)
	v_lshrrev_b32_e32 v19, 1, v19
	v_xad_u32 v25, v19, -1, v51
	v_lshl_add_u32 v30, v19, 3, v24
	s_delay_alu instid0(VALU_DEP_2)
	v_lshl_add_u32 v25, v25, 3, v18
	ds_load_b64 v[30:31], v30
	ds_load_b64 v[36:37], v25
	s_wait_dscnt 0x1
	v_and_b32_e32 v31, v31, v1
	v_dual_add_nc_u32 v25, 1, v19 :: v_dual_bitop2_b32 v30, v30, v10 bitop3:0x40
	s_wait_dscnt 0x0
	v_and_b32_e32 v37, v37, v1
	v_and_b32_e32 v36, v36, v10
	s_delay_alu instid0(VALU_DEP_1) | instskip(NEXT) | instid1(VALU_DEP_1)
	v_cmp_gt_u64_e64 s3, v[36:37], v[30:31]
	v_dual_cndmask_b32 v27, v27, v19, s3 :: v_dual_cndmask_b32 v54, v25, v54, s3
	s_delay_alu instid0(VALU_DEP_1) | instskip(SKIP_1) | instid1(SALU_CYCLE_1)
	v_cmp_ge_u32_e64 s3, v54, v27
	s_or_b32 s5, s3, s5
	s_and_not1_b32 exec_lo, exec_lo, s5
	s_cbranch_execnz .LBB720_26
; %bb.27:
	s_or_b32 exec_lo, exec_lo, s5
.LBB720_28:
	s_delay_alu instid0(SALU_CYCLE_1) | instskip(SKIP_4) | instid1(VALU_DEP_4)
	s_or_b32 exec_lo, exec_lo, s4
	v_dual_add_nc_u32 v27, 24, v26 :: v_dual_add_nc_u32 v19, v48, v51
	v_add_nc_u32_e32 v18, v54, v50
	v_add_nc_u32_e32 v39, 0x2000, v26
	v_dual_add_nc_u32 v31, 8, v26 :: v_dual_add_nc_u32 v37, 16, v26
	v_sub_nc_u32_e32 v19, v19, v54
	s_delay_alu instid0(VALU_DEP_4)
	v_cmp_le_u32_e64 s3, v18, v48
	v_add_nc_u32_e32 v36, 0x2008, v26
	v_add_nc_u32_e32 v38, 0x2010, v26
	;; [unrolled: 1-line block ×3, first 2 shown]
	v_cmp_le_u32_e64 s4, v19, v49
	s_or_b32 s3, s3, s4
	s_delay_alu instid0(SALU_CYCLE_1)
	s_and_saveexec_b32 s13, s3
	s_cbranch_execz .LBB720_34
; %bb.29:
	v_cmp_lt_u32_e64 s3, v18, v48
                                        ; implicit-def: $vgpr14_vgpr15
	s_and_saveexec_b32 s4, s3
; %bb.30:
	v_lshl_add_u32 v4, v18, 3, v12
	ds_load_b64 v[14:15], v4
; %bb.31:
	s_or_b32 exec_lo, exec_lo, s4
	v_cmp_ge_u32_e64 s4, v19, v49
	s_mov_b32 s6, exec_lo
                                        ; implicit-def: $vgpr16_vgpr17
	v_cmpx_lt_u32_e64 v19, v49
; %bb.32:
	v_lshl_add_u32 v4, v19, 3, v12
	ds_load_b64 v[16:17], v4
; %bb.33:
	s_or_b32 exec_lo, exec_lo, s6
	s_wait_dscnt 0x0
	v_and_b32_e32 v5, v17, v1
	v_and_b32_e32 v4, v16, v10
	v_and_b32_e32 v21, v15, v1
	v_and_b32_e32 v20, v14, v10
	s_delay_alu instid0(VALU_DEP_1) | instskip(SKIP_1) | instid1(SALU_CYCLE_1)
	v_cmp_le_u64_e64 s5, v[4:5], v[20:21]
	s_and_b32 s3, s3, s5
	s_or_b32 s3, s4, s3
	s_delay_alu instid0(SALU_CYCLE_1) | instskip(NEXT) | instid1(VALU_DEP_1)
	v_dual_cndmask_b32 v22, v19, v18, s3 :: v_dual_cndmask_b32 v4, v49, v48, s3
	v_add_nc_u32_e32 v23, 1, v22
	s_delay_alu instid0(VALU_DEP_1) | instskip(NEXT) | instid1(VALU_DEP_1)
	v_add_min_u32_e64 v4, v4, -1, v23
	v_lshl_add_u32 v4, v4, 3, v12
	ds_load_b64 v[4:5], v4
	s_wait_dscnt 0x0
	v_dual_cndmask_b32 v24, v5, v17, s3 :: v_dual_cndmask_b32 v25, v4, v16, s3
	v_dual_cndmask_b32 v50, v15, v5, s3 :: v_dual_cndmask_b32 v51, v14, v4, s3
	s_delay_alu instid0(VALU_DEP_2) | instskip(NEXT) | instid1(VALU_DEP_3)
	v_dual_cndmask_b32 v28, v18, v23, s3 :: v_dual_bitop2_b32 v5, v24, v1 bitop3:0x40
	v_and_b32_e32 v4, v25, v10
	s_delay_alu instid0(VALU_DEP_3) | instskip(NEXT) | instid1(VALU_DEP_4)
	v_dual_cndmask_b32 v23, v23, v19, s3 :: v_dual_bitop2_b32 v21, v50, v1 bitop3:0x40
	v_and_b32_e32 v20, v51, v10
	s_delay_alu instid0(VALU_DEP_4) | instskip(SKIP_1) | instid1(VALU_DEP_4)
	v_cmp_lt_u32_e64 s5, v28, v48
	v_cndmask_b32_e64 v14, v16, v14, s3
	v_cmp_ge_u32_e64 s6, v23, v49
	s_delay_alu instid0(VALU_DEP_4) | instskip(SKIP_1) | instid1(SALU_CYCLE_1)
	v_cmp_le_u64_e64 s4, v[4:5], v[20:21]
	s_and_b32 s4, s5, s4
	s_or_b32 s4, s6, s4
	s_delay_alu instid0(SALU_CYCLE_1) | instskip(SKIP_2) | instid1(VALU_DEP_2)
	v_dual_cndmask_b32 v15, v17, v15, s3 :: v_dual_cndmask_b32 v17, v24, v50, s4
	v_cndmask_b32_e64 v20, v23, v28, s4
	v_cndmask_b32_e64 v4, v49, v48, s4
	v_add_nc_u32_e32 v21, 1, v20
	s_delay_alu instid0(VALU_DEP_1) | instskip(NEXT) | instid1(VALU_DEP_1)
	v_add_min_u32_e64 v4, v4, -1, v21
	v_lshl_add_u32 v4, v4, 3, v12
	ds_load_b64 v[4:5], v4
	s_wait_dscnt 0x0
	v_dual_cndmask_b32 v55, v4, v25, s4 :: v_dual_cndmask_b32 v54, v5, v24, s4
	v_dual_cndmask_b32 v64, v50, v5, s4 :: v_dual_cndmask_b32 v65, v51, v4, s4
	s_delay_alu instid0(VALU_DEP_2) | instskip(NEXT) | instid1(VALU_DEP_3)
	v_dual_cndmask_b32 v28, v28, v21, s4 :: v_dual_bitop2_b32 v4, v55, v10 bitop3:0x40
	v_and_b32_e32 v5, v54, v1
	s_delay_alu instid0(VALU_DEP_3) | instskip(NEXT) | instid1(VALU_DEP_4)
	v_dual_cndmask_b32 v21, v21, v23, s4 :: v_dual_bitop2_b32 v19, v64, v1 bitop3:0x40
	v_and_b32_e32 v18, v65, v10
	s_delay_alu instid0(VALU_DEP_4) | instskip(NEXT) | instid1(VALU_DEP_3)
	v_cmp_lt_u32_e64 s6, v28, v48
	v_cmp_ge_u32_e64 s7, v21, v49
	s_delay_alu instid0(VALU_DEP_3) | instskip(SKIP_1) | instid1(SALU_CYCLE_1)
	v_cmp_le_u64_e64 s5, v[4:5], v[18:19]
	s_and_b32 s5, s6, s5
	s_or_b32 s5, s7, s5
	v_cndmask_b32_e64 v16, v25, v51, s4
	v_cndmask_b32_e64 v23, v21, v28, s5
	s_delay_alu instid0(VALU_DEP_1) | instskip(NEXT) | instid1(VALU_DEP_1)
	v_dual_cndmask_b32 v4, v49, v48, s5 :: v_dual_add_nc_u32 v29, 1, v23
	v_add_min_u32_e64 v4, v4, -1, v29
	v_cndmask_b32_e64 v21, v29, v21, s5
	v_cndmask_b32_e64 v28, v28, v29, s5
	s_delay_alu instid0(VALU_DEP_3) | instskip(NEXT) | instid1(VALU_DEP_3)
	v_lshl_add_u32 v4, v4, 3, v12
	v_cmp_ge_u32_e64 s10, v21, v49
	s_delay_alu instid0(VALU_DEP_3) | instskip(SKIP_4) | instid1(VALU_DEP_2)
	v_cmp_lt_u32_e64 s7, v28, v48
	ds_load_b64 v[4:5], v4
	s_wait_dscnt 0x0
	v_dual_cndmask_b32 v66, v5, v54, s5 :: v_dual_cndmask_b32 v68, v64, v5, s5
	v_dual_cndmask_b32 v67, v4, v55, s5 :: v_dual_cndmask_b32 v69, v65, v4, s5
	v_and_b32_e32 v5, v66, v1
	s_delay_alu instid0(VALU_DEP_3) | instskip(NEXT) | instid1(VALU_DEP_3)
	v_and_b32_e32 v19, v68, v1
	v_and_b32_e32 v4, v67, v10
	s_delay_alu instid0(VALU_DEP_4) | instskip(NEXT) | instid1(VALU_DEP_1)
	v_and_b32_e32 v18, v69, v10
	v_cmp_le_u64_e64 s6, v[4:5], v[18:19]
	v_lshl_add_u32 v5, v22, 3, v12
	v_lshl_add_u32 v18, v20, 3, v12
	;; [unrolled: 1-line block ×3, first 2 shown]
	v_dual_cndmask_b32 v23, v54, v64, s5 :: v_dual_cndmask_b32 v22, v55, v65, s5
	s_and_b32 s6, s7, s6
	s_delay_alu instid0(SALU_CYCLE_1) | instskip(NEXT) | instid1(SALU_CYCLE_1)
	s_or_b32 s6, s10, s6
	v_cndmask_b32_e64 v4, v21, v28, s6
	v_cndmask_b32_e64 v21, v66, v68, s6
	s_delay_alu instid0(VALU_DEP_2)
	v_lshl_add_u32 v20, v4, 3, v12
	ds_load_b64 v[4:5], v5 offset:8192
	ds_load_b64 v[34:35], v18 offset:8192
	;; [unrolled: 1-line block ×4, first 2 shown]
	v_cndmask_b32_e64 v20, v67, v69, s6
.LBB720_34:
	s_or_b32 exec_lo, exec_lo, s13
	v_and_b32_e32 v50, 0x70, v52
	s_mov_b32 s4, exec_lo
	; wave barrier
	ds_store_b64 v26, v[14:15]
	s_wait_dscnt 0x4
	ds_store_b64 v39, v[4:5]
	v_or_b32_e32 v18, 8, v50
	ds_store_b64 v31, v[16:17]
	s_wait_dscnt 0x5
	ds_store_b64 v36, v[34:35]
	ds_store_b64 v37, v[22:23]
	s_wait_dscnt 0x6
	ds_store_b64 v38, v[28:29]
	;; [unrolled: 3-line block ×3, first 2 shown]
	; wave barrier
	v_min_u32_e32 v48, v11, v18
	v_and_b32_e32 v18, 12, v52
	s_delay_alu instid0(VALU_DEP_2) | instskip(NEXT) | instid1(VALU_DEP_2)
	v_add_min_u32_e64 v49, v48, 8, v11
	v_min_u32_e32 v51, v11, v18
	s_delay_alu instid0(VALU_DEP_2) | instskip(NEXT) | instid1(VALU_DEP_1)
	v_dual_sub_nc_u32 v19, v48, v50 :: v_dual_sub_nc_u32 v18, v49, v48
	v_min_u32_e32 v55, v51, v19
	s_delay_alu instid0(VALU_DEP_2) | instskip(NEXT) | instid1(VALU_DEP_1)
	v_sub_nc_u32_e64 v54, v51, v18 clamp
	v_cmpx_lt_u32_e64 v54, v55
	s_cbranch_execz .LBB720_38
; %bb.35:
	v_dual_mov_b32 v25, 0 :: v_dual_lshlrev_b32 v24, 3, v50
	s_mov_b32 s5, 0
	s_delay_alu instid0(VALU_DEP_1) | instskip(SKIP_1) | instid1(VALU_DEP_1)
	v_add_nc_u64_e32 v[18:19], v[12:13], v[24:25]
	v_lshlrev_b32_e32 v24, 3, v48
	v_add_nc_u64_e32 v[24:25], v[12:13], v[24:25]
.LBB720_36:                             ; =>This Inner Loop Header: Depth=1
	v_add_nc_u32_e32 v19, v55, v54
	s_delay_alu instid0(VALU_DEP_1) | instskip(NEXT) | instid1(VALU_DEP_1)
	v_lshrrev_b32_e32 v19, 1, v19
	v_xad_u32 v25, v19, -1, v51
	v_lshl_add_u32 v64, v19, 3, v18
	s_delay_alu instid0(VALU_DEP_2)
	v_lshl_add_u32 v25, v25, 3, v24
	ds_load_b64 v[64:65], v64
	ds_load_b64 v[66:67], v25
	s_wait_dscnt 0x1
	v_and_b32_e32 v65, v65, v1
	v_and_b32_e32 v64, v64, v10
	s_wait_dscnt 0x0
	v_dual_add_nc_u32 v25, 1, v19 :: v_dual_bitop2_b32 v67, v67, v1 bitop3:0x40
	v_and_b32_e32 v66, v66, v10
	s_delay_alu instid0(VALU_DEP_1) | instskip(NEXT) | instid1(VALU_DEP_1)
	v_cmp_gt_u64_e64 s3, v[66:67], v[64:65]
	v_dual_cndmask_b32 v55, v55, v19, s3 :: v_dual_cndmask_b32 v54, v25, v54, s3
	s_delay_alu instid0(VALU_DEP_1) | instskip(SKIP_1) | instid1(SALU_CYCLE_1)
	v_cmp_ge_u32_e64 s3, v54, v55
	s_or_b32 s5, s3, s5
	s_and_not1_b32 exec_lo, exec_lo, s5
	s_cbranch_execnz .LBB720_36
; %bb.37:
	s_or_b32 exec_lo, exec_lo, s5
.LBB720_38:
	s_delay_alu instid0(SALU_CYCLE_1) | instskip(SKIP_1) | instid1(VALU_DEP_1)
	s_or_b32 exec_lo, exec_lo, s4
	v_dual_add_nc_u32 v19, v48, v51 :: v_dual_add_nc_u32 v18, v54, v50
	v_sub_nc_u32_e32 v19, v19, v54
	s_delay_alu instid0(VALU_DEP_2) | instskip(NEXT) | instid1(VALU_DEP_2)
	v_cmp_le_u32_e64 s3, v18, v48
	v_cmp_le_u32_e64 s4, v19, v49
	s_or_b32 s3, s3, s4
	s_delay_alu instid0(SALU_CYCLE_1)
	s_and_saveexec_b32 s13, s3
	s_cbranch_execz .LBB720_44
; %bb.39:
	v_cmp_lt_u32_e64 s3, v18, v48
                                        ; implicit-def: $vgpr14_vgpr15
	s_and_saveexec_b32 s4, s3
; %bb.40:
	v_lshl_add_u32 v4, v18, 3, v12
	ds_load_b64 v[14:15], v4
; %bb.41:
	s_or_b32 exec_lo, exec_lo, s4
	v_cmp_ge_u32_e64 s4, v19, v49
	s_mov_b32 s6, exec_lo
                                        ; implicit-def: $vgpr16_vgpr17
	v_cmpx_lt_u32_e64 v19, v49
; %bb.42:
	v_lshl_add_u32 v4, v19, 3, v12
	ds_load_b64 v[16:17], v4
; %bb.43:
	s_or_b32 exec_lo, exec_lo, s6
	s_wait_dscnt 0x0
	v_and_b32_e32 v5, v17, v1
	v_and_b32_e32 v4, v16, v10
	;; [unrolled: 1-line block ×4, first 2 shown]
	s_delay_alu instid0(VALU_DEP_1) | instskip(SKIP_1) | instid1(SALU_CYCLE_1)
	v_cmp_le_u64_e64 s5, v[4:5], v[20:21]
	s_and_b32 s3, s3, s5
	s_or_b32 s3, s4, s3
	s_delay_alu instid0(SALU_CYCLE_1) | instskip(NEXT) | instid1(VALU_DEP_1)
	v_dual_cndmask_b32 v22, v19, v18, s3 :: v_dual_cndmask_b32 v4, v49, v48, s3
	v_add_nc_u32_e32 v23, 1, v22
	s_delay_alu instid0(VALU_DEP_1) | instskip(NEXT) | instid1(VALU_DEP_1)
	v_add_min_u32_e64 v4, v4, -1, v23
	v_lshl_add_u32 v4, v4, 3, v12
	ds_load_b64 v[4:5], v4
	s_wait_dscnt 0x0
	v_dual_cndmask_b32 v24, v5, v17, s3 :: v_dual_cndmask_b32 v25, v4, v16, s3
	v_dual_cndmask_b32 v50, v15, v5, s3 :: v_dual_cndmask_b32 v51, v14, v4, s3
	s_delay_alu instid0(VALU_DEP_2) | instskip(NEXT) | instid1(VALU_DEP_3)
	v_dual_cndmask_b32 v28, v18, v23, s3 :: v_dual_bitop2_b32 v5, v24, v1 bitop3:0x40
	v_and_b32_e32 v4, v25, v10
	s_delay_alu instid0(VALU_DEP_3) | instskip(NEXT) | instid1(VALU_DEP_4)
	v_dual_cndmask_b32 v23, v23, v19, s3 :: v_dual_bitop2_b32 v21, v50, v1 bitop3:0x40
	v_and_b32_e32 v20, v51, v10
	s_delay_alu instid0(VALU_DEP_4) | instskip(SKIP_1) | instid1(VALU_DEP_4)
	v_cmp_lt_u32_e64 s5, v28, v48
	v_cndmask_b32_e64 v14, v16, v14, s3
	v_cmp_ge_u32_e64 s6, v23, v49
	s_delay_alu instid0(VALU_DEP_4) | instskip(SKIP_1) | instid1(SALU_CYCLE_1)
	v_cmp_le_u64_e64 s4, v[4:5], v[20:21]
	s_and_b32 s4, s5, s4
	s_or_b32 s4, s6, s4
	s_delay_alu instid0(SALU_CYCLE_1) | instskip(SKIP_2) | instid1(VALU_DEP_2)
	v_dual_cndmask_b32 v15, v17, v15, s3 :: v_dual_cndmask_b32 v17, v24, v50, s4
	v_cndmask_b32_e64 v20, v23, v28, s4
	v_cndmask_b32_e64 v4, v49, v48, s4
	v_add_nc_u32_e32 v21, 1, v20
	s_delay_alu instid0(VALU_DEP_1) | instskip(NEXT) | instid1(VALU_DEP_1)
	v_add_min_u32_e64 v4, v4, -1, v21
	v_lshl_add_u32 v4, v4, 3, v12
	ds_load_b64 v[4:5], v4
	s_wait_dscnt 0x0
	v_dual_cndmask_b32 v55, v4, v25, s4 :: v_dual_cndmask_b32 v54, v5, v24, s4
	v_dual_cndmask_b32 v64, v50, v5, s4 :: v_dual_cndmask_b32 v65, v51, v4, s4
	s_delay_alu instid0(VALU_DEP_2) | instskip(NEXT) | instid1(VALU_DEP_3)
	v_dual_cndmask_b32 v28, v28, v21, s4 :: v_dual_bitop2_b32 v4, v55, v10 bitop3:0x40
	v_and_b32_e32 v5, v54, v1
	s_delay_alu instid0(VALU_DEP_3) | instskip(NEXT) | instid1(VALU_DEP_4)
	v_dual_cndmask_b32 v21, v21, v23, s4 :: v_dual_bitop2_b32 v19, v64, v1 bitop3:0x40
	v_and_b32_e32 v18, v65, v10
	s_delay_alu instid0(VALU_DEP_4) | instskip(NEXT) | instid1(VALU_DEP_3)
	v_cmp_lt_u32_e64 s6, v28, v48
	v_cmp_ge_u32_e64 s7, v21, v49
	s_delay_alu instid0(VALU_DEP_3) | instskip(SKIP_1) | instid1(SALU_CYCLE_1)
	v_cmp_le_u64_e64 s5, v[4:5], v[18:19]
	s_and_b32 s5, s6, s5
	s_or_b32 s5, s7, s5
	v_cndmask_b32_e64 v16, v25, v51, s4
	v_cndmask_b32_e64 v23, v21, v28, s5
	s_delay_alu instid0(VALU_DEP_1) | instskip(NEXT) | instid1(VALU_DEP_1)
	v_dual_cndmask_b32 v4, v49, v48, s5 :: v_dual_add_nc_u32 v29, 1, v23
	v_add_min_u32_e64 v4, v4, -1, v29
	v_cndmask_b32_e64 v21, v29, v21, s5
	v_cndmask_b32_e64 v28, v28, v29, s5
	s_delay_alu instid0(VALU_DEP_3) | instskip(NEXT) | instid1(VALU_DEP_3)
	v_lshl_add_u32 v4, v4, 3, v12
	v_cmp_ge_u32_e64 s10, v21, v49
	s_delay_alu instid0(VALU_DEP_3) | instskip(SKIP_4) | instid1(VALU_DEP_2)
	v_cmp_lt_u32_e64 s7, v28, v48
	ds_load_b64 v[4:5], v4
	s_wait_dscnt 0x0
	v_dual_cndmask_b32 v66, v5, v54, s5 :: v_dual_cndmask_b32 v68, v64, v5, s5
	v_dual_cndmask_b32 v67, v4, v55, s5 :: v_dual_cndmask_b32 v69, v65, v4, s5
	v_and_b32_e32 v5, v66, v1
	s_delay_alu instid0(VALU_DEP_3) | instskip(NEXT) | instid1(VALU_DEP_3)
	v_and_b32_e32 v19, v68, v1
	v_and_b32_e32 v4, v67, v10
	s_delay_alu instid0(VALU_DEP_4) | instskip(NEXT) | instid1(VALU_DEP_1)
	v_and_b32_e32 v18, v69, v10
	v_cmp_le_u64_e64 s6, v[4:5], v[18:19]
	v_lshl_add_u32 v5, v22, 3, v12
	v_lshl_add_u32 v18, v20, 3, v12
	v_lshl_add_u32 v19, v23, 3, v12
	v_dual_cndmask_b32 v23, v54, v64, s5 :: v_dual_cndmask_b32 v22, v55, v65, s5
	s_and_b32 s6, s7, s6
	s_delay_alu instid0(SALU_CYCLE_1) | instskip(NEXT) | instid1(SALU_CYCLE_1)
	s_or_b32 s6, s10, s6
	v_cndmask_b32_e64 v4, v21, v28, s6
	v_cndmask_b32_e64 v21, v66, v68, s6
	s_delay_alu instid0(VALU_DEP_2)
	v_lshl_add_u32 v20, v4, 3, v12
	ds_load_b64 v[4:5], v5 offset:8192
	ds_load_b64 v[34:35], v18 offset:8192
	ds_load_b64 v[28:29], v19 offset:8192
	ds_load_b64 v[32:33], v20 offset:8192
	v_cndmask_b32_e64 v20, v67, v69, s6
.LBB720_44:
	s_or_b32 exec_lo, exec_lo, s13
	v_and_b32_e32 v50, 0x60, v52
	; wave barrier
	ds_store_b64 v26, v[14:15]
	s_wait_dscnt 0x4
	ds_store_b64 v39, v[4:5]
	s_mov_b32 s4, exec_lo
	v_or_b32_e32 v18, 16, v50
	ds_store_b64 v31, v[16:17]
	s_wait_dscnt 0x5
	ds_store_b64 v36, v[34:35]
	ds_store_b64 v37, v[22:23]
	s_wait_dscnt 0x6
	ds_store_b64 v38, v[28:29]
	;; [unrolled: 3-line block ×3, first 2 shown]
	; wave barrier
	v_min_u32_e32 v48, v11, v18
	s_delay_alu instid0(VALU_DEP_1) | instskip(SKIP_1) | instid1(VALU_DEP_2)
	v_add_min_u32_e64 v49, v48, 16, v11
	v_min_u32_e32 v11, v11, v53
	v_dual_sub_nc_u32 v19, v48, v50 :: v_dual_sub_nc_u32 v18, v49, v48
	s_delay_alu instid0(VALU_DEP_1) | instskip(NEXT) | instid1(VALU_DEP_2)
	v_min_u32_e32 v39, v11, v19
	v_sub_nc_u32_e64 v26, v11, v18 clamp
	s_delay_alu instid0(VALU_DEP_1)
	v_cmpx_lt_u32_e64 v26, v39
	s_cbranch_execz .LBB720_48
; %bb.45:
	v_dual_mov_b32 v25, 0 :: v_dual_lshlrev_b32 v24, 3, v50
	s_mov_b32 s5, 0
	s_delay_alu instid0(VALU_DEP_1) | instskip(SKIP_1) | instid1(VALU_DEP_1)
	v_add_nc_u64_e32 v[18:19], v[12:13], v[24:25]
	v_lshlrev_b32_e32 v24, 3, v48
	v_add_nc_u64_e32 v[24:25], v[12:13], v[24:25]
.LBB720_46:                             ; =>This Inner Loop Header: Depth=1
	v_add_nc_u32_e32 v13, v39, v26
	s_delay_alu instid0(VALU_DEP_1) | instskip(NEXT) | instid1(VALU_DEP_1)
	v_lshrrev_b32_e32 v13, 1, v13
	v_xad_u32 v19, v13, -1, v11
	v_lshl_add_u32 v25, v13, 3, v18
	s_delay_alu instid0(VALU_DEP_2)
	v_lshl_add_u32 v19, v19, 3, v24
	ds_load_b64 v[30:31], v25
	ds_load_b64 v[36:37], v19
	s_wait_dscnt 0x1
	v_and_b32_e32 v31, v31, v1
	v_and_b32_e32 v30, v30, v10
	s_wait_dscnt 0x0
	v_and_b32_e32 v37, v37, v1
	v_dual_add_nc_u32 v19, 1, v13 :: v_dual_bitop2_b32 v36, v36, v10 bitop3:0x40
	s_delay_alu instid0(VALU_DEP_1) | instskip(NEXT) | instid1(VALU_DEP_1)
	v_cmp_gt_u64_e64 s3, v[36:37], v[30:31]
	v_cndmask_b32_e64 v39, v39, v13, s3
	s_delay_alu instid0(VALU_DEP_3) | instskip(NEXT) | instid1(VALU_DEP_1)
	v_cndmask_b32_e64 v26, v19, v26, s3
	v_cmp_ge_u32_e64 s3, v26, v39
	s_or_b32 s5, s3, s5
	s_delay_alu instid0(SALU_CYCLE_1)
	s_and_not1_b32 exec_lo, exec_lo, s5
	s_cbranch_execnz .LBB720_46
; %bb.47:
	s_or_b32 exec_lo, exec_lo, s5
.LBB720_48:
	s_delay_alu instid0(SALU_CYCLE_1) | instskip(SKIP_1) | instid1(VALU_DEP_1)
	s_or_b32 exec_lo, exec_lo, s4
	v_dual_add_nc_u32 v13, v48, v11 :: v_dual_add_nc_u32 v11, v26, v50
	v_sub_nc_u32_e32 v13, v13, v26
	s_delay_alu instid0(VALU_DEP_2) | instskip(NEXT) | instid1(VALU_DEP_2)
	v_cmp_le_u32_e64 s3, v11, v48
	v_cmp_le_u32_e64 s4, v13, v49
	s_or_b32 s3, s3, s4
	s_delay_alu instid0(SALU_CYCLE_1)
	s_and_saveexec_b32 s13, s3
	s_cbranch_execz .LBB720_54
; %bb.49:
	v_cmp_lt_u32_e64 s3, v11, v48
                                        ; implicit-def: $vgpr14_vgpr15
	s_and_saveexec_b32 s4, s3
; %bb.50:
	v_lshl_add_u32 v4, v11, 3, v12
	ds_load_b64 v[14:15], v4
; %bb.51:
	s_or_b32 exec_lo, exec_lo, s4
	v_cmp_ge_u32_e64 s4, v13, v49
	s_mov_b32 s6, exec_lo
                                        ; implicit-def: $vgpr16_vgpr17
	v_cmpx_lt_u32_e64 v13, v49
; %bb.52:
	v_lshl_add_u32 v4, v13, 3, v12
	ds_load_b64 v[16:17], v4
; %bb.53:
	s_or_b32 exec_lo, exec_lo, s6
	s_wait_dscnt 0x0
	v_and_b32_e32 v5, v17, v1
	v_and_b32_e32 v4, v16, v10
	;; [unrolled: 1-line block ×4, first 2 shown]
	s_delay_alu instid0(VALU_DEP_1) | instskip(SKIP_1) | instid1(SALU_CYCLE_1)
	v_cmp_le_u64_e64 s5, v[4:5], v[18:19]
	s_and_b32 s3, s3, s5
	s_or_b32 s3, s4, s3
	s_delay_alu instid0(SALU_CYCLE_1) | instskip(SKIP_1) | instid1(VALU_DEP_2)
	v_cndmask_b32_e64 v20, v13, v11, s3
	v_cndmask_b32_e64 v4, v49, v48, s3
	v_add_nc_u32_e32 v21, 1, v20
	s_delay_alu instid0(VALU_DEP_1) | instskip(SKIP_1) | instid1(VALU_DEP_2)
	v_add_min_u32_e64 v4, v4, -1, v21
	v_cndmask_b32_e64 v11, v11, v21, s3
	v_lshl_add_u32 v4, v4, 3, v12
	s_delay_alu instid0(VALU_DEP_2)
	v_cmp_lt_u32_e64 s5, v11, v48
	ds_load_b64 v[4:5], v4
	s_wait_dscnt 0x0
	v_dual_cndmask_b32 v22, v5, v17, s3 :: v_dual_cndmask_b32 v23, v4, v16, s3
	v_dual_cndmask_b32 v24, v15, v5, s3 :: v_dual_cndmask_b32 v25, v14, v4, s3
	v_cndmask_b32_e64 v13, v21, v13, s3
	s_delay_alu instid0(VALU_DEP_3) | instskip(NEXT) | instid1(VALU_DEP_4)
	v_and_b32_e32 v5, v22, v1
	v_and_b32_e32 v4, v23, v10
	s_delay_alu instid0(VALU_DEP_4) | instskip(SKIP_3) | instid1(VALU_DEP_3)
	v_and_b32_e32 v19, v24, v1
	v_and_b32_e32 v18, v25, v10
	v_cmp_ge_u32_e64 s6, v13, v49
	v_dual_cndmask_b32 v14, v16, v14, s3 :: v_dual_cndmask_b32 v15, v17, v15, s3
	v_cmp_le_u64_e64 s4, v[4:5], v[18:19]
	s_and_b32 s4, s5, s4
	s_delay_alu instid0(SALU_CYCLE_1) | instskip(NEXT) | instid1(SALU_CYCLE_1)
	s_or_b32 s4, s6, s4
	v_cndmask_b32_e64 v21, v13, v11, s4
	v_cndmask_b32_e64 v4, v49, v48, s4
	v_dual_cndmask_b32 v17, v22, v24, s4 :: v_dual_cndmask_b32 v16, v23, v25, s4
	s_delay_alu instid0(VALU_DEP_3) | instskip(NEXT) | instid1(VALU_DEP_1)
	v_add_nc_u32_e32 v26, 1, v21
	v_add_min_u32_e64 v4, v4, -1, v26
	s_delay_alu instid0(VALU_DEP_1)
	v_lshl_add_u32 v4, v4, 3, v12
	ds_load_b64 v[4:5], v4
	s_wait_dscnt 0x0
	v_dual_cndmask_b32 v27, v5, v22, s4 :: v_dual_cndmask_b32 v30, v4, v23, s4
	v_dual_cndmask_b32 v31, v24, v5, s4 :: v_dual_cndmask_b32 v36, v25, v4, s4
	;; [unrolled: 1-line block ×3, first 2 shown]
	s_delay_alu instid0(VALU_DEP_3) | instskip(NEXT) | instid1(VALU_DEP_4)
	v_and_b32_e32 v5, v27, v1
	v_and_b32_e32 v4, v30, v10
	s_delay_alu instid0(VALU_DEP_4) | instskip(SKIP_3) | instid1(VALU_DEP_3)
	v_and_b32_e32 v19, v31, v1
	v_and_b32_e32 v18, v36, v10
	v_cmp_lt_u32_e64 s6, v28, v48
	v_cmp_ge_u32_e64 s7, v13, v49
	v_cmp_le_u64_e64 s5, v[4:5], v[18:19]
	s_and_b32 s5, s6, s5
	s_delay_alu instid0(SALU_CYCLE_1) | instskip(NEXT) | instid1(SALU_CYCLE_1)
	s_or_b32 s5, s7, s5
	v_cndmask_b32_e64 v18, v13, v28, s5
	v_dual_cndmask_b32 v4, v49, v48, s5 :: v_dual_cndmask_b32 v23, v27, v31, s5
	s_delay_alu instid0(VALU_DEP_2) | instskip(NEXT) | instid1(VALU_DEP_1)
	v_dual_cndmask_b32 v22, v30, v36, s5 :: v_dual_add_nc_u32 v19, 1, v18
	v_add_min_u32_e64 v4, v4, -1, v19
	s_delay_alu instid0(VALU_DEP_1)
	v_lshl_add_u32 v4, v4, 3, v12
	ds_load_b64 v[4:5], v4
	s_wait_dscnt 0x0
	v_dual_cndmask_b32 v26, v5, v27, s5 :: v_dual_cndmask_b32 v37, v4, v30, s5
	v_dual_cndmask_b32 v38, v31, v5, s5 :: v_dual_cndmask_b32 v39, v36, v4, s5
	v_cndmask_b32_e64 v13, v19, v13, s5
	s_delay_alu instid0(VALU_DEP_3) | instskip(NEXT) | instid1(VALU_DEP_4)
	v_and_b32_e32 v5, v26, v1
	v_and_b32_e32 v4, v37, v10
	s_delay_alu instid0(VALU_DEP_4) | instskip(SKIP_2) | instid1(VALU_DEP_2)
	v_and_b32_e32 v11, v38, v1
	v_dual_cndmask_b32 v1, v28, v19, s5 :: v_dual_bitop2_b32 v10, v39, v10 bitop3:0x40
	v_cmp_ge_u32_e64 s10, v13, v49
	v_cmp_le_u64_e64 s6, v[4:5], v[10:11]
	s_delay_alu instid0(VALU_DEP_3) | instskip(SKIP_4) | instid1(SALU_CYCLE_1)
	v_cmp_lt_u32_e64 s7, v1, v48
	v_lshl_add_u32 v4, v20, 3, v12
	v_lshl_add_u32 v10, v21, 3, v12
	;; [unrolled: 1-line block ×3, first 2 shown]
	s_and_b32 s6, s7, s6
	s_or_b32 s6, s10, s6
	s_delay_alu instid0(SALU_CYCLE_1) | instskip(SKIP_1) | instid1(VALU_DEP_2)
	v_dual_cndmask_b32 v1, v13, v1, s6 :: v_dual_cndmask_b32 v21, v26, v38, s6
	v_cndmask_b32_e64 v20, v37, v39, s6
	v_lshl_add_u32 v1, v1, 3, v12
	ds_load_b64 v[4:5], v4 offset:8192
	ds_load_b64 v[34:35], v10 offset:8192
	ds_load_b64 v[28:29], v11 offset:8192
	ds_load_b64 v[32:33], v1 offset:8192
.LBB720_54:
	s_or_b32 exec_lo, exec_lo, s13
	; wave barrier
	s_wait_storecnt_dscnt 0x0
	s_barrier_signal -1
	s_barrier_wait -1
                                        ; implicit-def: $vgpr52
                                        ; implicit-def: $vgpr53
                                        ; implicit-def: $vgpr12_vgpr13
                                        ; implicit-def: $vgpr24
                                        ; implicit-def: $vgpr25
                                        ; implicit-def: $vgpr1
                                        ; implicit-def: $vgpr38_vgpr39
                                        ; implicit-def: $vgpr36_vgpr37
                                        ; implicit-def: $vgpr18_vgpr19
.LBB720_55:
	s_and_not1_saveexec_b32 s10, s12
	s_cbranch_execz .LBB720_97
; %bb.56:
	s_load_b64 s[4:5], s[8:9], 0x0
	s_bfe_u32 s6, ttmp6, 0x4000c
	s_bfe_u32 s12, ttmp6, 0x40010
	s_and_b32 s7, ttmp7, 0xffff
	s_add_co_i32 s6, s6, 1
	s_add_co_i32 s12, s12, 1
	s_and_b32 s3, ttmp6, 15
	s_bfe_u32 s13, ttmp6, 0x40004
	s_mul_i32 s6, ttmp9, s6
	s_mul_i32 s12, s7, s12
	s_add_co_i32 s3, s3, s6
	s_add_co_i32 s13, s13, s12
	s_cmp_eq_u32 s11, 0
	s_cselect_b32 s3, ttmp9, s3
	s_cselect_b32 s6, s7, s13
	s_wait_kmcnt 0x0
	s_cmp_lt_u32 s3, s4
	s_cselect_b32 s4, 12, 18
	s_cmp_lt_u32 s6, s5
	s_mov_b32 s5, 0
	s_cselect_b32 s6, 14, 20
	s_mov_b32 s7, s5
	s_add_nc_u64 s[4:5], s[8:9], s[4:5]
	s_add_nc_u64 s[6:7], s[8:9], s[6:7]
	s_clause 0x1
	s_load_u16 s4, s[4:5], 0x0
	s_nop 0
	s_load_u16 s3, s[6:7], 0x0
	s_wait_xcnt 0x0
	s_mov_b32 s6, exec_lo
	s_wait_kmcnt 0x0
	v_mad_u32_u24 v10, v25, s3, v24
	s_delay_alu instid0(VALU_DEP_1) | instskip(NEXT) | instid1(VALU_DEP_1)
	v_mul_lo_u32 v10, v10, s4
	v_add_lshl_u32 v1, v10, v1, 2
	s_delay_alu instid0(VALU_DEP_1)
	v_cmpx_gt_u32_e32 0x400, v1
	s_cbranch_execz .LBB720_66
; %bb.57:
	s_wait_loadcnt_dscnt 0x0
	v_cmp_gt_i64_e64 s3, v[16:17], v[14:15]
	v_mov_b64_e32 v[10:11], v[28:29]
	v_mov_b64_e32 v[26:27], v[36:37]
	s_mov_b32 s5, exec_lo
	v_dual_cndmask_b32 v25, v19, v15, s3 :: v_dual_cndmask_b32 v24, v18, v14, s3
	v_dual_cndmask_b32 v23, v15, v19, s3 :: v_dual_cndmask_b32 v22, v14, v18, s3
	v_cmpx_gt_i64_e64 v[38:39], v[36:37]
	s_cbranch_execz .LBB720_59
; %bb.58:
	v_mov_b64_e32 v[14:15], v[36:37]
	v_mov_b64_e32 v[10:11], v[32:33]
	;; [unrolled: 1-line block ×6, first 2 shown]
.LBB720_59:
	s_or_b32 exec_lo, exec_lo, s5
	s_delay_alu instid0(VALU_DEP_1) | instskip(NEXT) | instid1(VALU_DEP_2)
	v_dual_cndmask_b32 v31, v35, v5, s3 :: v_dual_mov_b32 v28, v38
	v_dual_mov_b32 v29, v39 :: v_dual_cndmask_b32 v30, v34, v4, s3
	v_mov_b64_e32 v[14:15], v[22:23]
	v_cmp_gt_i64_e64 s4, v[36:37], v[24:25]
	v_mov_b64_e32 v[16:17], v[24:25]
	v_mov_b64_e32 v[18:19], v[26:27]
	;; [unrolled: 1-line block ×4, first 2 shown]
	s_and_saveexec_b32 s5, s4
	s_delay_alu instid0(SALU_CYCLE_1)
	s_xor_b32 s4, exec_lo, s5
	s_cbranch_execz .LBB720_61
; %bb.60:
	v_mov_b64_e32 v[14:15], v[22:23]
	s_delay_alu instid0(VALU_DEP_2)
	v_mov_b64_e32 v[18:19], v[26:27]
	v_mov_b64_e32 v[16:17], v[24:25]
	v_mov_b64_e32 v[20:21], v[28:29]
	v_dual_mov_b32 v18, v24 :: v_dual_mov_b32 v19, v25
	v_mov_b64_e32 v[26:27], v[10:11]
	v_mov_b64_e32 v[10:11], v[30:31]
	;; [unrolled: 1-line block ×3, first 2 shown]
	v_dual_mov_b32 v16, v36 :: v_dual_mov_b32 v17, v37
	v_dual_mov_b32 v20, v38 :: v_dual_mov_b32 v21, v39
.LBB720_61:
	s_or_b32 exec_lo, exec_lo, s4
	s_delay_alu instid0(VALU_DEP_3)
	v_cmp_gt_i64_e64 s4, v[24:25], v[22:23]
	v_mov_b64_e32 v[30:31], v[10:11]
	v_mov_b64_e32 v[22:23], v[18:19]
	s_mov_b32 s7, exec_lo
	v_dual_cndmask_b32 v17, v17, v15, s4 :: v_dual_cndmask_b32 v16, v16, v14, s4
	v_dual_cndmask_b32 v15, v15, v25, s4 :: v_dual_cndmask_b32 v14, v14, v24, s4
	v_cmpx_gt_i64_e64 v[20:21], v[18:19]
	s_cbranch_execz .LBB720_63
; %bb.62:
	v_mov_b64_e32 v[24:25], v[18:19]
	v_mov_b64_e32 v[30:31], v[32:33]
	;; [unrolled: 1-line block ×6, first 2 shown]
.LBB720_63:
	s_or_b32 exec_lo, exec_lo, s7
	v_dual_cndmask_b32 v10, v5, v35, s3 :: v_dual_cndmask_b32 v11, v4, v34, s3
	v_mov_b64_e32 v[28:29], v[30:31]
	s_delay_alu instid0(VALU_DEP_2)
	v_dual_cndmask_b32 v5, v10, v27, s4 :: v_dual_cndmask_b32 v4, v11, v26, s4
	v_dual_cndmask_b32 v35, v27, v10, s4 :: v_dual_cndmask_b32 v34, v26, v11, s4
	s_mov_b32 s4, exec_lo
	v_cmpx_gt_i64_e64 v[18:19], v[16:17]
; %bb.64:
	v_mov_b64_e32 v[22:23], v[16:17]
	v_mov_b64_e32 v[16:17], v[18:19]
	;; [unrolled: 1-line block ×4, first 2 shown]
; %bb.65:
	s_or_b32 exec_lo, exec_lo, s4
.LBB720_66:
	s_delay_alu instid0(SALU_CYCLE_1) | instskip(SKIP_4) | instid1(VALU_DEP_3)
	s_or_b32 exec_lo, exec_lo, s6
	v_and_b32_e32 v18, 0xffffff80, v1
	v_dual_mov_b32 v19, 0 :: v_dual_bitop2_b32 v10, 4, v52 bitop3:0x54
	v_and_b32_e32 v48, 0x78, v52
	s_mov_b32 s4, exec_lo
	v_sub_nc_u32_e64 v1, 0x400, v18 clamp
	s_delay_alu instid0(VALU_DEP_1) | instskip(SKIP_2) | instid1(VALU_DEP_3)
	v_min_u32_e32 v38, v1, v10
	v_lshl_add_u64 v[10:11], v[18:19], 3, v[12:13]
	v_and_b32_e32 v12, 4, v52
	v_add_min_u32_e64 v39, v38, 4, v1
	s_delay_alu instid0(VALU_DEP_3) | instskip(NEXT) | instid1(VALU_DEP_3)
	v_lshl_add_u32 v24, v52, 3, v10
	v_min_u32_e32 v49, v1, v12
	s_delay_alu instid0(VALU_DEP_3) | instskip(NEXT) | instid1(VALU_DEP_3)
	v_dual_sub_nc_u32 v13, v38, v48 :: v_dual_sub_nc_u32 v12, v39, v38
	v_add_nc_u32_e32 v18, 0x2000, v24
	s_wait_loadcnt_dscnt 0x0
	ds_store_b64 v24, v[4:5] offset:8192
	ds_store_2addr_b64 v24, v[14:15], v[16:17] offset1:1
	ds_store_2addr_b64 v18, v[34:35], v[28:29] offset0:1 offset1:2
	ds_store_2addr_b64 v24, v[22:23], v[20:21] offset0:2 offset1:3
	ds_store_b64 v24, v[32:33] offset:8216
	v_sub_nc_u32_e64 v50, v49, v12 clamp
	v_min_u32_e32 v25, v49, v13
	; wave barrier
	s_delay_alu instid0(VALU_DEP_1)
	v_cmpx_lt_u32_e64 v50, v25
	s_cbranch_execz .LBB720_70
; %bb.67:
	v_lshlrev_b32_e32 v18, 3, v48
	s_mov_b32 s5, 0
	s_delay_alu instid0(VALU_DEP_1) | instskip(SKIP_1) | instid1(VALU_DEP_1)
	v_add_nc_u64_e32 v[12:13], v[10:11], v[18:19]
	v_lshlrev_b32_e32 v18, 3, v38
	v_add_nc_u64_e32 v[18:19], v[10:11], v[18:19]
.LBB720_68:                             ; =>This Inner Loop Header: Depth=1
	v_add_nc_u32_e32 v13, v25, v50
	s_delay_alu instid0(VALU_DEP_1) | instskip(NEXT) | instid1(VALU_DEP_1)
	v_lshrrev_b32_e32 v13, 1, v13
	v_xad_u32 v19, v13, -1, v49
	v_lshl_add_u32 v26, v13, 3, v12
	s_delay_alu instid0(VALU_DEP_2) | instskip(SKIP_4) | instid1(VALU_DEP_1)
	v_lshl_add_u32 v19, v19, 3, v18
	ds_load_b64 v[26:27], v26
	ds_load_b64 v[30:31], v19
	s_wait_dscnt 0x0
	v_cmp_gt_i64_e64 s3, v[30:31], v[26:27]
	v_dual_add_nc_u32 v19, 1, v13 :: v_dual_cndmask_b32 v25, v25, v13, s3
	s_delay_alu instid0(VALU_DEP_1) | instskip(NEXT) | instid1(VALU_DEP_1)
	v_cndmask_b32_e64 v50, v19, v50, s3
	v_cmp_ge_u32_e64 s3, v50, v25
	s_or_b32 s5, s3, s5
	s_delay_alu instid0(SALU_CYCLE_1)
	s_and_not1_b32 exec_lo, exec_lo, s5
	s_cbranch_execnz .LBB720_68
; %bb.69:
	s_or_b32 exec_lo, exec_lo, s5
.LBB720_70:
	s_delay_alu instid0(SALU_CYCLE_1) | instskip(SKIP_4) | instid1(VALU_DEP_4)
	s_or_b32 exec_lo, exec_lo, s4
	v_dual_add_nc_u32 v25, 24, v24 :: v_dual_add_nc_u32 v12, v38, v49
	v_add_nc_u32_e32 v18, v50, v48
	v_add_nc_u32_e32 v37, 0x2000, v24
	v_dual_add_nc_u32 v27, 8, v24 :: v_dual_add_nc_u32 v31, 16, v24
	v_sub_nc_u32_e32 v19, v12, v50
	s_delay_alu instid0(VALU_DEP_4)
	v_cmp_le_u32_e64 s3, v18, v38
	v_add_nc_u32_e32 v30, 0x2008, v24
	v_add_nc_u32_e32 v36, 0x2010, v24
	;; [unrolled: 1-line block ×3, first 2 shown]
	v_cmp_le_u32_e64 s4, v19, v39
	s_or_b32 s3, s3, s4
	s_delay_alu instid0(SALU_CYCLE_1)
	s_and_saveexec_b32 s9, s3
	s_cbranch_execz .LBB720_76
; %bb.71:
	v_cmp_lt_u32_e64 s3, v18, v38
                                        ; implicit-def: $vgpr12_vgpr13
	s_and_saveexec_b32 s4, s3
; %bb.72:
	v_lshl_add_u32 v4, v18, 3, v10
	ds_load_b64 v[12:13], v4
; %bb.73:
	s_or_b32 exec_lo, exec_lo, s4
	v_cmp_ge_u32_e64 s4, v19, v39
	s_mov_b32 s6, exec_lo
                                        ; implicit-def: $vgpr14_vgpr15
	v_cmpx_lt_u32_e64 v19, v39
; %bb.74:
	v_lshl_add_u32 v4, v19, 3, v10
	ds_load_b64 v[14:15], v4
; %bb.75:
	s_or_b32 exec_lo, exec_lo, s6
	s_wait_dscnt 0x0
	v_cmp_le_i64_e64 s5, v[14:15], v[12:13]
	s_and_b32 s3, s3, s5
	s_delay_alu instid0(SALU_CYCLE_1) | instskip(NEXT) | instid1(SALU_CYCLE_1)
	s_or_b32 s3, s4, s3
	v_cndmask_b32_e64 v28, v19, v18, s3
	s_delay_alu instid0(VALU_DEP_1) | instskip(NEXT) | instid1(VALU_DEP_1)
	v_dual_cndmask_b32 v4, v39, v38, s3 :: v_dual_add_nc_u32 v22, 1, v28
	v_add_min_u32_e64 v4, v4, -1, v22
	v_cndmask_b32_e64 v32, v22, v19, s3
	v_cndmask_b32_e64 v29, v18, v22, s3
	s_delay_alu instid0(VALU_DEP_3) | instskip(NEXT) | instid1(VALU_DEP_3)
	v_lshl_add_u32 v4, v4, 3, v10
	v_cmp_ge_u32_e64 s6, v32, v39
	s_delay_alu instid0(VALU_DEP_3)
	v_cmp_lt_u32_e64 s5, v29, v38
	ds_load_b64 v[4:5], v4
	s_wait_dscnt 0x0
	v_dual_cndmask_b32 v17, v5, v15, s3 :: v_dual_cndmask_b32 v16, v4, v14, s3
	v_dual_cndmask_b32 v21, v13, v5, s3 :: v_dual_cndmask_b32 v20, v12, v4, s3
	v_cndmask_b32_e64 v15, v15, v13, s3
	s_delay_alu instid0(VALU_DEP_2) | instskip(SKIP_1) | instid1(SALU_CYCLE_1)
	v_cmp_le_i64_e64 s4, v[16:17], v[20:21]
	s_and_b32 s4, s5, s4
	s_or_b32 s4, s6, s4
	s_delay_alu instid0(SALU_CYCLE_1) | instskip(NEXT) | instid1(VALU_DEP_1)
	v_dual_cndmask_b32 v4, v39, v38, s4 :: v_dual_cndmask_b32 v33, v32, v29, s4
	v_add_nc_u32_e32 v34, 1, v33
	s_delay_alu instid0(VALU_DEP_1) | instskip(NEXT) | instid1(VALU_DEP_1)
	v_add_min_u32_e64 v4, v4, -1, v34
	v_lshl_add_u32 v4, v4, 3, v10
	ds_load_b64 v[4:5], v4
	s_wait_dscnt 0x0
	v_dual_cndmask_b32 v19, v5, v17, s4 :: v_dual_cndmask_b32 v22, v20, v4, s4
	v_dual_cndmask_b32 v18, v4, v16, s4 :: v_dual_cndmask_b32 v23, v21, v5, s4
	v_dual_cndmask_b32 v32, v34, v32, s4 :: v_dual_cndmask_b32 v29, v29, v34, s4
	v_cndmask_b32_e64 v17, v17, v21, s4
	s_delay_alu instid0(VALU_DEP_3) | instskip(NEXT) | instid1(VALU_DEP_3)
	v_cmp_le_i64_e64 s5, v[18:19], v[22:23]
	v_cmp_ge_u32_e64 s7, v32, v39
	s_delay_alu instid0(VALU_DEP_4) | instskip(SKIP_1) | instid1(SALU_CYCLE_1)
	v_cmp_lt_u32_e64 s6, v29, v38
	s_and_b32 s5, s6, s5
	s_or_b32 s5, s7, s5
	s_delay_alu instid0(SALU_CYCLE_1) | instskip(SKIP_1) | instid1(VALU_DEP_2)
	v_dual_cndmask_b32 v14, v14, v12, s3 :: v_dual_cndmask_b32 v34, v32, v29, s5
	v_dual_cndmask_b32 v4, v39, v38, s5 :: v_dual_cndmask_b32 v16, v16, v20, s4
	v_add_nc_u32_e32 v35, 1, v34
	s_delay_alu instid0(VALU_DEP_1) | instskip(NEXT) | instid1(VALU_DEP_1)
	v_add_min_u32_e64 v4, v4, -1, v35
	v_lshl_add_u32 v4, v4, 3, v10
	ds_load_b64 v[4:5], v4
	s_wait_dscnt 0x0
	v_dual_cndmask_b32 v49, v5, v19, s5 :: v_dual_cndmask_b32 v48, v4, v18, s5
	v_dual_cndmask_b32 v51, v23, v5, s5 :: v_dual_cndmask_b32 v50, v22, v4, s5
	v_dual_cndmask_b32 v4, v29, v35, s5 :: v_dual_cndmask_b32 v5, v35, v32, s5
	v_lshl_add_u32 v29, v34, 3, v10
	v_cndmask_b32_e64 v23, v19, v23, s5
	s_delay_alu instid0(VALU_DEP_4) | instskip(NEXT) | instid1(VALU_DEP_4)
	v_cmp_le_i64_e64 s6, v[48:49], v[50:51]
	v_cmp_lt_u32_e64 s7, v4, v38
	v_cmp_ge_u32_e64 s8, v5, v39
	v_cndmask_b32_e64 v22, v18, v22, s5
	s_and_b32 s6, s7, s6
	s_delay_alu instid0(SALU_CYCLE_1) | instskip(NEXT) | instid1(SALU_CYCLE_1)
	s_or_b32 s6, s8, s6
	v_cndmask_b32_e64 v4, v5, v4, s6
	v_lshl_add_u32 v5, v28, 3, v10
	v_lshl_add_u32 v28, v33, 3, v10
	v_dual_cndmask_b32 v21, v49, v51, s6 :: v_dual_cndmask_b32 v20, v48, v50, s6
	s_delay_alu instid0(VALU_DEP_4)
	v_lshl_add_u32 v32, v4, 3, v10
	ds_load_b64 v[4:5], v5 offset:8192
	ds_load_b64 v[34:35], v28 offset:8192
	;; [unrolled: 1-line block ×4, first 2 shown]
.LBB720_76:
	s_or_b32 exec_lo, exec_lo, s9
	v_and_b32_e32 v48, 0x70, v52
	s_mov_b32 s4, exec_lo
	; wave barrier
	ds_store_b64 v24, v[14:15]
	s_wait_dscnt 0x4
	ds_store_b64 v37, v[4:5]
	v_or_b32_e32 v12, 8, v48
	ds_store_b64 v27, v[16:17]
	s_wait_dscnt 0x5
	ds_store_b64 v30, v[34:35]
	ds_store_b64 v31, v[22:23]
	s_wait_dscnt 0x6
	ds_store_b64 v36, v[28:29]
	;; [unrolled: 3-line block ×3, first 2 shown]
	; wave barrier
	v_min_u32_e32 v38, v1, v12
	v_and_b32_e32 v12, 12, v52
	s_delay_alu instid0(VALU_DEP_2) | instskip(NEXT) | instid1(VALU_DEP_2)
	v_add_min_u32_e64 v39, v38, 8, v1
	v_min_u32_e32 v49, v1, v12
	s_delay_alu instid0(VALU_DEP_2) | instskip(NEXT) | instid1(VALU_DEP_1)
	v_dual_sub_nc_u32 v13, v38, v48 :: v_dual_sub_nc_u32 v12, v39, v38
	v_min_u32_e32 v51, v49, v13
	s_delay_alu instid0(VALU_DEP_2) | instskip(NEXT) | instid1(VALU_DEP_1)
	v_sub_nc_u32_e64 v50, v49, v12 clamp
	v_cmpx_lt_u32_e64 v50, v51
	s_cbranch_execz .LBB720_80
; %bb.77:
	v_dual_mov_b32 v19, 0 :: v_dual_lshlrev_b32 v18, 3, v48
	s_mov_b32 s5, 0
	s_delay_alu instid0(VALU_DEP_1) | instskip(SKIP_1) | instid1(VALU_DEP_1)
	v_add_nc_u64_e32 v[12:13], v[10:11], v[18:19]
	v_lshlrev_b32_e32 v18, 3, v38
	v_add_nc_u64_e32 v[18:19], v[10:11], v[18:19]
.LBB720_78:                             ; =>This Inner Loop Header: Depth=1
	v_add_nc_u32_e32 v13, v51, v50
	s_delay_alu instid0(VALU_DEP_1) | instskip(NEXT) | instid1(VALU_DEP_1)
	v_lshrrev_b32_e32 v13, 1, v13
	v_xad_u32 v19, v13, -1, v49
	v_lshl_add_u32 v54, v13, 3, v12
	s_delay_alu instid0(VALU_DEP_2)
	v_lshl_add_u32 v19, v19, 3, v18
	ds_load_b64 v[54:55], v54
	ds_load_b64 v[64:65], v19
	s_wait_dscnt 0x0
	v_cmp_gt_i64_e64 s3, v[64:65], v[54:55]
	v_add_nc_u32_e32 v19, 1, v13
	s_delay_alu instid0(VALU_DEP_1) | instskip(SKIP_1) | instid1(VALU_DEP_1)
	v_cndmask_b32_e64 v50, v19, v50, s3
	v_cndmask_b32_e64 v51, v51, v13, s3
	v_cmp_ge_u32_e64 s3, v50, v51
	s_or_b32 s5, s3, s5
	s_delay_alu instid0(SALU_CYCLE_1)
	s_and_not1_b32 exec_lo, exec_lo, s5
	s_cbranch_execnz .LBB720_78
; %bb.79:
	s_or_b32 exec_lo, exec_lo, s5
.LBB720_80:
	s_delay_alu instid0(SALU_CYCLE_1) | instskip(SKIP_1) | instid1(VALU_DEP_1)
	s_or_b32 exec_lo, exec_lo, s4
	v_add_nc_u32_e32 v12, v38, v49
	v_dual_add_nc_u32 v18, v50, v48 :: v_dual_sub_nc_u32 v19, v12, v50
	s_delay_alu instid0(VALU_DEP_1) | instskip(NEXT) | instid1(VALU_DEP_2)
	v_cmp_le_u32_e64 s3, v18, v38
	v_cmp_le_u32_e64 s4, v19, v39
	s_or_b32 s3, s3, s4
	s_delay_alu instid0(SALU_CYCLE_1)
	s_and_saveexec_b32 s9, s3
	s_cbranch_execz .LBB720_86
; %bb.81:
	v_cmp_lt_u32_e64 s3, v18, v38
                                        ; implicit-def: $vgpr12_vgpr13
	s_and_saveexec_b32 s4, s3
; %bb.82:
	v_lshl_add_u32 v4, v18, 3, v10
	ds_load_b64 v[12:13], v4
; %bb.83:
	s_or_b32 exec_lo, exec_lo, s4
	v_cmp_ge_u32_e64 s4, v19, v39
	s_mov_b32 s6, exec_lo
                                        ; implicit-def: $vgpr14_vgpr15
	v_cmpx_lt_u32_e64 v19, v39
; %bb.84:
	v_lshl_add_u32 v4, v19, 3, v10
	ds_load_b64 v[14:15], v4
; %bb.85:
	s_or_b32 exec_lo, exec_lo, s6
	s_wait_dscnt 0x0
	v_cmp_le_i64_e64 s5, v[14:15], v[12:13]
	s_and_b32 s3, s3, s5
	s_delay_alu instid0(SALU_CYCLE_1) | instskip(NEXT) | instid1(SALU_CYCLE_1)
	s_or_b32 s3, s4, s3
	v_cndmask_b32_e64 v28, v19, v18, s3
	s_delay_alu instid0(VALU_DEP_1) | instskip(NEXT) | instid1(VALU_DEP_1)
	v_dual_cndmask_b32 v4, v39, v38, s3 :: v_dual_add_nc_u32 v22, 1, v28
	v_add_min_u32_e64 v4, v4, -1, v22
	v_cndmask_b32_e64 v32, v22, v19, s3
	v_cndmask_b32_e64 v29, v18, v22, s3
	s_delay_alu instid0(VALU_DEP_3) | instskip(NEXT) | instid1(VALU_DEP_3)
	v_lshl_add_u32 v4, v4, 3, v10
	v_cmp_ge_u32_e64 s6, v32, v39
	s_delay_alu instid0(VALU_DEP_3)
	v_cmp_lt_u32_e64 s5, v29, v38
	ds_load_b64 v[4:5], v4
	s_wait_dscnt 0x0
	v_dual_cndmask_b32 v17, v5, v15, s3 :: v_dual_cndmask_b32 v16, v4, v14, s3
	v_dual_cndmask_b32 v21, v13, v5, s3 :: v_dual_cndmask_b32 v20, v12, v4, s3
	v_cndmask_b32_e64 v15, v15, v13, s3
	s_delay_alu instid0(VALU_DEP_2) | instskip(SKIP_1) | instid1(SALU_CYCLE_1)
	v_cmp_le_i64_e64 s4, v[16:17], v[20:21]
	s_and_b32 s4, s5, s4
	s_or_b32 s4, s6, s4
	s_delay_alu instid0(SALU_CYCLE_1) | instskip(NEXT) | instid1(VALU_DEP_1)
	v_dual_cndmask_b32 v4, v39, v38, s4 :: v_dual_cndmask_b32 v33, v32, v29, s4
	v_add_nc_u32_e32 v34, 1, v33
	s_delay_alu instid0(VALU_DEP_1) | instskip(NEXT) | instid1(VALU_DEP_1)
	v_add_min_u32_e64 v4, v4, -1, v34
	v_lshl_add_u32 v4, v4, 3, v10
	ds_load_b64 v[4:5], v4
	s_wait_dscnt 0x0
	v_dual_cndmask_b32 v19, v5, v17, s4 :: v_dual_cndmask_b32 v22, v20, v4, s4
	v_dual_cndmask_b32 v18, v4, v16, s4 :: v_dual_cndmask_b32 v23, v21, v5, s4
	;; [unrolled: 1-line block ×3, first 2 shown]
	v_cndmask_b32_e64 v17, v17, v21, s4
	s_delay_alu instid0(VALU_DEP_3) | instskip(NEXT) | instid1(VALU_DEP_3)
	v_cmp_le_i64_e64 s5, v[18:19], v[22:23]
	v_cmp_ge_u32_e64 s7, v32, v39
	s_delay_alu instid0(VALU_DEP_4) | instskip(SKIP_1) | instid1(SALU_CYCLE_1)
	v_cmp_lt_u32_e64 s6, v29, v38
	s_and_b32 s5, s6, s5
	s_or_b32 s5, s7, s5
	s_delay_alu instid0(SALU_CYCLE_1) | instskip(SKIP_1) | instid1(VALU_DEP_2)
	v_dual_cndmask_b32 v14, v14, v12, s3 :: v_dual_cndmask_b32 v34, v32, v29, s5
	v_dual_cndmask_b32 v4, v39, v38, s5 :: v_dual_cndmask_b32 v16, v16, v20, s4
	v_add_nc_u32_e32 v35, 1, v34
	s_delay_alu instid0(VALU_DEP_1) | instskip(NEXT) | instid1(VALU_DEP_1)
	v_add_min_u32_e64 v4, v4, -1, v35
	v_lshl_add_u32 v4, v4, 3, v10
	ds_load_b64 v[4:5], v4
	s_wait_dscnt 0x0
	v_dual_cndmask_b32 v49, v5, v19, s5 :: v_dual_cndmask_b32 v48, v4, v18, s5
	v_dual_cndmask_b32 v51, v23, v5, s5 :: v_dual_cndmask_b32 v50, v22, v4, s5
	;; [unrolled: 1-line block ×3, first 2 shown]
	v_lshl_add_u32 v29, v34, 3, v10
	v_cndmask_b32_e64 v23, v19, v23, s5
	s_delay_alu instid0(VALU_DEP_4) | instskip(NEXT) | instid1(VALU_DEP_4)
	v_cmp_le_i64_e64 s6, v[48:49], v[50:51]
	v_cmp_lt_u32_e64 s7, v4, v38
	v_cmp_ge_u32_e64 s8, v5, v39
	v_cndmask_b32_e64 v22, v18, v22, s5
	s_and_b32 s6, s7, s6
	s_delay_alu instid0(SALU_CYCLE_1) | instskip(NEXT) | instid1(SALU_CYCLE_1)
	s_or_b32 s6, s8, s6
	v_cndmask_b32_e64 v4, v5, v4, s6
	v_lshl_add_u32 v5, v28, 3, v10
	v_lshl_add_u32 v28, v33, 3, v10
	v_dual_cndmask_b32 v21, v49, v51, s6 :: v_dual_cndmask_b32 v20, v48, v50, s6
	s_delay_alu instid0(VALU_DEP_4)
	v_lshl_add_u32 v32, v4, 3, v10
	ds_load_b64 v[4:5], v5 offset:8192
	ds_load_b64 v[34:35], v28 offset:8192
	ds_load_b64 v[28:29], v29 offset:8192
	ds_load_b64 v[32:33], v32 offset:8192
.LBB720_86:
	s_or_b32 exec_lo, exec_lo, s9
	v_and_b32_e32 v48, 0x60, v52
	; wave barrier
	ds_store_b64 v24, v[14:15]
	s_wait_dscnt 0x4
	ds_store_b64 v37, v[4:5]
	s_mov_b32 s4, exec_lo
	v_or_b32_e32 v12, 16, v48
	ds_store_b64 v27, v[16:17]
	s_wait_dscnt 0x5
	ds_store_b64 v30, v[34:35]
	ds_store_b64 v31, v[22:23]
	s_wait_dscnt 0x6
	ds_store_b64 v36, v[28:29]
	;; [unrolled: 3-line block ×3, first 2 shown]
	; wave barrier
	v_min_u32_e32 v38, v1, v12
	s_delay_alu instid0(VALU_DEP_1) | instskip(SKIP_1) | instid1(VALU_DEP_2)
	v_add_min_u32_e64 v39, v38, 16, v1
	v_min_u32_e32 v1, v1, v53
	v_dual_sub_nc_u32 v13, v38, v48 :: v_dual_sub_nc_u32 v12, v39, v38
	s_delay_alu instid0(VALU_DEP_1) | instskip(NEXT) | instid1(VALU_DEP_2)
	v_min_u32_e32 v37, v1, v13
	v_sub_nc_u32_e64 v24, v1, v12 clamp
	s_delay_alu instid0(VALU_DEP_1)
	v_cmpx_lt_u32_e64 v24, v37
	s_cbranch_execz .LBB720_90
; %bb.87:
	v_dual_mov_b32 v19, 0 :: v_dual_lshlrev_b32 v18, 3, v48
	s_mov_b32 s5, 0
	s_delay_alu instid0(VALU_DEP_1) | instskip(SKIP_1) | instid1(VALU_DEP_1)
	v_add_nc_u64_e32 v[12:13], v[10:11], v[18:19]
	v_lshlrev_b32_e32 v18, 3, v38
	v_add_nc_u64_e32 v[18:19], v[10:11], v[18:19]
.LBB720_88:                             ; =>This Inner Loop Header: Depth=1
	v_add_nc_u32_e32 v11, v37, v24
	s_delay_alu instid0(VALU_DEP_1) | instskip(NEXT) | instid1(VALU_DEP_1)
	v_lshrrev_b32_e32 v11, 1, v11
	v_xad_u32 v13, v11, -1, v1
	v_lshl_add_u32 v19, v11, 3, v12
	s_delay_alu instid0(VALU_DEP_2)
	v_lshl_add_u32 v13, v13, 3, v18
	ds_load_b64 v[26:27], v19
	ds_load_b64 v[30:31], v13
	s_wait_dscnt 0x0
	v_cmp_gt_i64_e64 s3, v[30:31], v[26:27]
	v_add_nc_u32_e32 v13, 1, v11
	s_delay_alu instid0(VALU_DEP_1) | instskip(SKIP_1) | instid1(VALU_DEP_1)
	v_cndmask_b32_e64 v24, v13, v24, s3
	v_cndmask_b32_e64 v37, v37, v11, s3
	v_cmp_ge_u32_e64 s3, v24, v37
	s_or_b32 s5, s3, s5
	s_delay_alu instid0(SALU_CYCLE_1)
	s_and_not1_b32 exec_lo, exec_lo, s5
	s_cbranch_execnz .LBB720_88
; %bb.89:
	s_or_b32 exec_lo, exec_lo, s5
.LBB720_90:
	s_delay_alu instid0(SALU_CYCLE_1) | instskip(SKIP_1) | instid1(VALU_DEP_1)
	s_or_b32 exec_lo, exec_lo, s4
	v_dual_add_nc_u32 v11, v38, v1 :: v_dual_add_nc_u32 v1, v24, v48
	v_sub_nc_u32_e32 v11, v11, v24
	s_delay_alu instid0(VALU_DEP_2) | instskip(NEXT) | instid1(VALU_DEP_2)
	v_cmp_le_u32_e64 s3, v1, v38
	v_cmp_le_u32_e64 s4, v11, v39
	s_or_b32 s3, s3, s4
	s_delay_alu instid0(SALU_CYCLE_1)
	s_and_saveexec_b32 s9, s3
	s_cbranch_execz .LBB720_96
; %bb.91:
	v_cmp_lt_u32_e64 s3, v1, v38
                                        ; implicit-def: $vgpr12_vgpr13
	s_and_saveexec_b32 s4, s3
; %bb.92:
	v_lshl_add_u32 v4, v1, 3, v10
	ds_load_b64 v[12:13], v4
; %bb.93:
	s_or_b32 exec_lo, exec_lo, s4
	v_cmp_ge_u32_e64 s4, v11, v39
	s_mov_b32 s6, exec_lo
                                        ; implicit-def: $vgpr14_vgpr15
	v_cmpx_lt_u32_e64 v11, v39
; %bb.94:
	v_lshl_add_u32 v4, v11, 3, v10
	ds_load_b64 v[14:15], v4
; %bb.95:
	s_or_b32 exec_lo, exec_lo, s6
	s_wait_dscnt 0x0
	v_cmp_le_i64_e64 s5, v[14:15], v[12:13]
	s_and_b32 s3, s3, s5
	s_delay_alu instid0(SALU_CYCLE_1) | instskip(NEXT) | instid1(SALU_CYCLE_1)
	s_or_b32 s3, s4, s3
	v_cndmask_b32_e64 v28, v11, v1, s3
	s_delay_alu instid0(VALU_DEP_1) | instskip(NEXT) | instid1(VALU_DEP_1)
	v_dual_cndmask_b32 v4, v39, v38, s3 :: v_dual_add_nc_u32 v20, 1, v28
	v_add_min_u32_e64 v4, v4, -1, v20
	v_dual_cndmask_b32 v1, v1, v20, s3 :: v_dual_cndmask_b32 v11, v20, v11, s3
	s_delay_alu instid0(VALU_DEP_2) | instskip(NEXT) | instid1(VALU_DEP_2)
	v_lshl_add_u32 v4, v4, 3, v10
	v_cmp_lt_u32_e64 s5, v1, v38
	s_delay_alu instid0(VALU_DEP_3)
	v_cmp_ge_u32_e64 s6, v11, v39
	ds_load_b64 v[4:5], v4
	s_wait_dscnt 0x0
	v_dual_cndmask_b32 v17, v5, v15, s3 :: v_dual_cndmask_b32 v16, v4, v14, s3
	v_dual_cndmask_b32 v19, v13, v5, s3 :: v_dual_cndmask_b32 v18, v12, v4, s3
	v_cndmask_b32_e64 v14, v14, v12, s3
	s_delay_alu instid0(VALU_DEP_2) | instskip(SKIP_1) | instid1(SALU_CYCLE_1)
	v_cmp_le_i64_e64 s4, v[16:17], v[18:19]
	s_and_b32 s4, s5, s4
	s_or_b32 s4, s6, s4
	s_delay_alu instid0(SALU_CYCLE_1) | instskip(SKIP_2) | instid1(VALU_DEP_3)
	v_cndmask_b32_e64 v29, v11, v1, s4
	v_cndmask_b32_e64 v4, v39, v38, s4
	;; [unrolled: 1-line block ×3, first 2 shown]
	v_add_nc_u32_e32 v24, 1, v29
	s_delay_alu instid0(VALU_DEP_1) | instskip(SKIP_1) | instid1(VALU_DEP_2)
	v_add_min_u32_e64 v4, v4, -1, v24
	v_dual_cndmask_b32 v1, v1, v24, s4 :: v_dual_cndmask_b32 v11, v24, v11, s4
	v_lshl_add_u32 v4, v4, 3, v10
	s_delay_alu instid0(VALU_DEP_2) | instskip(NEXT) | instid1(VALU_DEP_3)
	v_cmp_lt_u32_e64 s6, v1, v38
	v_cmp_ge_u32_e64 s7, v11, v39
	ds_load_b64 v[4:5], v4
	s_wait_dscnt 0x0
	v_dual_cndmask_b32 v21, v5, v17, s4 :: v_dual_cndmask_b32 v20, v4, v16, s4
	v_dual_cndmask_b32 v23, v19, v5, s4 :: v_dual_cndmask_b32 v22, v18, v4, s4
	;; [unrolled: 1-line block ×3, first 2 shown]
	s_delay_alu instid0(VALU_DEP_2) | instskip(SKIP_1) | instid1(SALU_CYCLE_1)
	v_cmp_le_i64_e64 s5, v[20:21], v[22:23]
	s_and_b32 s5, s6, s5
	s_or_b32 s5, s7, s5
	s_delay_alu instid0(SALU_CYCLE_1) | instskip(SKIP_1) | instid1(VALU_DEP_2)
	v_cndmask_b32_e64 v30, v11, v1, s5
	v_cndmask_b32_e64 v4, v39, v38, s5
	v_add_nc_u32_e32 v31, 1, v30
	s_delay_alu instid0(VALU_DEP_1) | instskip(NEXT) | instid1(VALU_DEP_1)
	v_add_min_u32_e64 v4, v4, -1, v31
	v_lshl_add_u32 v4, v4, 3, v10
	ds_load_b64 v[4:5], v4
	s_wait_dscnt 0x0
	v_dual_cndmask_b32 v25, v5, v21, s5 :: v_dual_cndmask_b32 v24, v4, v20, s5
	v_dual_cndmask_b32 v27, v23, v5, s5 :: v_dual_cndmask_b32 v26, v22, v4, s5
	v_cndmask_b32_e64 v1, v1, v31, s5
	v_cndmask_b32_e64 v4, v31, v11, s5
	v_lshl_add_u32 v11, v29, 3, v10
	v_dual_cndmask_b32 v23, v21, v23, s5 :: v_dual_cndmask_b32 v22, v20, v22, s5
	v_cmp_le_i64_e64 s6, v[24:25], v[26:27]
	v_cmp_lt_u32_e64 s7, v1, v38
	v_cmp_ge_u32_e64 s8, v4, v39
	s_and_b32 s6, s7, s6
	s_delay_alu instid0(SALU_CYCLE_1) | instskip(NEXT) | instid1(SALU_CYCLE_1)
	s_or_b32 s6, s8, s6
	v_cndmask_b32_e64 v1, v4, v1, s6
	v_lshl_add_u32 v4, v28, 3, v10
	v_lshl_add_u32 v28, v30, 3, v10
	v_dual_cndmask_b32 v21, v25, v27, s6 :: v_dual_cndmask_b32 v20, v24, v26, s6
	s_delay_alu instid0(VALU_DEP_4)
	v_lshl_add_u32 v1, v1, 3, v10
	ds_load_b64 v[4:5], v4 offset:8192
	ds_load_b64 v[34:35], v11 offset:8192
	;; [unrolled: 1-line block ×4, first 2 shown]
.LBB720_96:
	s_or_b32 exec_lo, exec_lo, s9
	; wave barrier
	s_wait_storecnt_dscnt 0x0
	s_barrier_signal -1
	s_barrier_wait -1
.LBB720_97:
	s_or_b32 exec_lo, exec_lo, s10
	v_lshl_add_u64 v[2:3], v[8:9], 3, v[2:3]
	v_mov_b32_e32 v1, 0
	s_wait_storecnt 0x0
	; wave barrier
	s_wait_loadcnt_dscnt 0x0
	s_delay_alu instid0(VALU_DEP_1)
	v_add_nc_u64_e32 v[2:3], v[2:3], v[0:1]
	s_and_saveexec_b32 s3, vcc_lo
	s_cbranch_execnz .LBB720_110
; %bb.98:
	s_or_b32 exec_lo, exec_lo, s3
	s_and_saveexec_b32 s3, s0
	s_cbranch_execnz .LBB720_111
.LBB720_99:
	s_or_b32 exec_lo, exec_lo, s3
	s_and_saveexec_b32 s3, s1
	s_cbranch_execnz .LBB720_112
.LBB720_100:
	s_or_b32 exec_lo, exec_lo, s3
	s_and_saveexec_b32 s3, s2
	s_cbranch_execz .LBB720_102
.LBB720_101:
	flat_store_b64 v[2:3], v[20:21] offset:24
.LBB720_102:
	s_wait_xcnt 0x0
	s_or_b32 exec_lo, exec_lo, s3
	v_lshl_add_u64 v[2:3], v[8:9], 3, v[6:7]
	v_mov_b32_e32 v1, 0
	; wave barrier
	s_delay_alu instid0(VALU_DEP_1)
	v_add_nc_u64_e32 v[0:1], v[2:3], v[0:1]
	s_and_saveexec_b32 s3, vcc_lo
	s_cbranch_execnz .LBB720_113
; %bb.103:
	s_or_b32 exec_lo, exec_lo, s3
	s_and_saveexec_b32 s3, s0
	s_cbranch_execnz .LBB720_114
.LBB720_104:
	s_or_b32 exec_lo, exec_lo, s3
	s_and_saveexec_b32 s0, s1
	s_cbranch_execnz .LBB720_115
.LBB720_105:
	s_or_b32 exec_lo, exec_lo, s0
	s_and_saveexec_b32 s0, s2
	s_cbranch_execnz .LBB720_116
.LBB720_106:
	s_or_b32 exec_lo, exec_lo, s0
	s_wait_dscnt 0x0
	s_set_pc_i64 s[30:31]
.LBB720_107:
	flat_load_b64 v[4:5], v[24:25]
	s_wait_xcnt 0x0
	s_or_b32 exec_lo, exec_lo, s3
                                        ; implicit-def: $vgpr34_vgpr35
	s_and_saveexec_b32 s3, s0
	s_cbranch_execz .LBB720_10
.LBB720_108:
	flat_load_b64 v[34:35], v[24:25] offset:8
	s_wait_xcnt 0x0
	s_or_b32 exec_lo, exec_lo, s3
                                        ; implicit-def: $vgpr28_vgpr29
	s_and_saveexec_b32 s3, s1
	s_cbranch_execz .LBB720_11
.LBB720_109:
	flat_load_b64 v[28:29], v[24:25] offset:16
	s_wait_xcnt 0x0
	s_or_b32 exec_lo, exec_lo, s3
                                        ; implicit-def: $vgpr32_vgpr33
	s_and_saveexec_b32 s3, s2
	s_cbranch_execnz .LBB720_12
	s_branch .LBB720_13
.LBB720_110:
	flat_store_b64 v[2:3], v[14:15]
	s_wait_xcnt 0x0
	s_or_b32 exec_lo, exec_lo, s3
	s_and_saveexec_b32 s3, s0
	s_cbranch_execz .LBB720_99
.LBB720_111:
	flat_store_b64 v[2:3], v[16:17] offset:8
	s_wait_xcnt 0x0
	s_or_b32 exec_lo, exec_lo, s3
	s_and_saveexec_b32 s3, s1
	s_cbranch_execz .LBB720_100
.LBB720_112:
	flat_store_b64 v[2:3], v[22:23] offset:16
	s_wait_xcnt 0x0
	s_or_b32 exec_lo, exec_lo, s3
	s_and_saveexec_b32 s3, s2
	s_cbranch_execnz .LBB720_101
	s_branch .LBB720_102
.LBB720_113:
	flat_store_b64 v[0:1], v[4:5]
	s_wait_xcnt 0x0
	s_or_b32 exec_lo, exec_lo, s3
	s_and_saveexec_b32 s3, s0
	s_cbranch_execz .LBB720_104
.LBB720_114:
	flat_store_b64 v[0:1], v[34:35] offset:8
	s_wait_xcnt 0x0
	s_or_b32 exec_lo, exec_lo, s3
	s_and_saveexec_b32 s0, s1
	s_cbranch_execz .LBB720_105
.LBB720_115:
	flat_store_b64 v[0:1], v[28:29] offset:16
	s_wait_xcnt 0x0
	s_or_b32 exec_lo, exec_lo, s0
	s_and_saveexec_b32 s0, s2
	s_cbranch_execz .LBB720_106
.LBB720_116:
	flat_store_b64 v[0:1], v[32:33] offset:24
	s_wait_xcnt 0x0
	s_or_b32 exec_lo, exec_lo, s0
	s_wait_dscnt 0x0
	s_set_pc_i64 s[30:31]
.Lfunc_end720:
	.size	_ZN7rocprim17ROCPRIM_400000_NS6detail26segmented_warp_sort_helperINS1_20WarpSortHelperConfigILj8ELj4ELj256EEEllLi256ELb1EvE4sortIPKlPlS8_S9_EEvT_T0_T1_T2_jjjjRNS5_12storage_typeE, .Lfunc_end720-_ZN7rocprim17ROCPRIM_400000_NS6detail26segmented_warp_sort_helperINS1_20WarpSortHelperConfigILj8ELj4ELj256EEEllLi256ELb1EvE4sortIPKlPlS8_S9_EEvT_T0_T1_T2_jjjjRNS5_12storage_typeE
                                        ; -- End function
	.set .L_ZN7rocprim17ROCPRIM_400000_NS6detail26segmented_warp_sort_helperINS1_20WarpSortHelperConfigILj8ELj4ELj256EEEllLi256ELb1EvE4sortIPKlPlS8_S9_EEvT_T0_T1_T2_jjjjRNS5_12storage_typeE.num_vgpr, 70
	.set .L_ZN7rocprim17ROCPRIM_400000_NS6detail26segmented_warp_sort_helperINS1_20WarpSortHelperConfigILj8ELj4ELj256EEEllLi256ELb1EvE4sortIPKlPlS8_S9_EEvT_T0_T1_T2_jjjjRNS5_12storage_typeE.num_agpr, 0
	.set .L_ZN7rocprim17ROCPRIM_400000_NS6detail26segmented_warp_sort_helperINS1_20WarpSortHelperConfigILj8ELj4ELj256EEEllLi256ELb1EvE4sortIPKlPlS8_S9_EEvT_T0_T1_T2_jjjjRNS5_12storage_typeE.numbered_sgpr, 32
	.set .L_ZN7rocprim17ROCPRIM_400000_NS6detail26segmented_warp_sort_helperINS1_20WarpSortHelperConfigILj8ELj4ELj256EEEllLi256ELb1EvE4sortIPKlPlS8_S9_EEvT_T0_T1_T2_jjjjRNS5_12storage_typeE.num_named_barrier, 0
	.set .L_ZN7rocprim17ROCPRIM_400000_NS6detail26segmented_warp_sort_helperINS1_20WarpSortHelperConfigILj8ELj4ELj256EEEllLi256ELb1EvE4sortIPKlPlS8_S9_EEvT_T0_T1_T2_jjjjRNS5_12storage_typeE.private_seg_size, 0
	.set .L_ZN7rocprim17ROCPRIM_400000_NS6detail26segmented_warp_sort_helperINS1_20WarpSortHelperConfigILj8ELj4ELj256EEEllLi256ELb1EvE4sortIPKlPlS8_S9_EEvT_T0_T1_T2_jjjjRNS5_12storage_typeE.uses_vcc, 1
	.set .L_ZN7rocprim17ROCPRIM_400000_NS6detail26segmented_warp_sort_helperINS1_20WarpSortHelperConfigILj8ELj4ELj256EEEllLi256ELb1EvE4sortIPKlPlS8_S9_EEvT_T0_T1_T2_jjjjRNS5_12storage_typeE.uses_flat_scratch, 0
	.set .L_ZN7rocprim17ROCPRIM_400000_NS6detail26segmented_warp_sort_helperINS1_20WarpSortHelperConfigILj8ELj4ELj256EEEllLi256ELb1EvE4sortIPKlPlS8_S9_EEvT_T0_T1_T2_jjjjRNS5_12storage_typeE.has_dyn_sized_stack, 0
	.set .L_ZN7rocprim17ROCPRIM_400000_NS6detail26segmented_warp_sort_helperINS1_20WarpSortHelperConfigILj8ELj4ELj256EEEllLi256ELb1EvE4sortIPKlPlS8_S9_EEvT_T0_T1_T2_jjjjRNS5_12storage_typeE.has_recursion, 0
	.set .L_ZN7rocprim17ROCPRIM_400000_NS6detail26segmented_warp_sort_helperINS1_20WarpSortHelperConfigILj8ELj4ELj256EEEllLi256ELb1EvE4sortIPKlPlS8_S9_EEvT_T0_T1_T2_jjjjRNS5_12storage_typeE.has_indirect_call, 0
	.section	.AMDGPU.csdata,"",@progbits
; Function info:
; codeLenInByte = 8808
; TotalNumSgprs: 34
; NumVgprs: 70
; ScratchSize: 0
; MemoryBound: 1
	.section	.text._ZN7rocprim17ROCPRIM_400000_NS6detail17trampoline_kernelINS0_14default_configENS1_36segmented_radix_sort_config_selectorIllEEZNS1_25segmented_radix_sort_implIS3_Lb1EPKlPlS8_S9_N2at6native12_GLOBAL__N_18offset_tEEE10hipError_tPvRmT1_PNSt15iterator_traitsISH_E10value_typeET2_T3_PNSI_ISN_E10value_typeET4_jRbjT5_ST_jjP12ihipStream_tbEUlT_E1_NS1_11comp_targetILNS1_3genE0ELNS1_11target_archE4294967295ELNS1_3gpuE0ELNS1_3repE0EEENS1_59segmented_radix_sort_warp_sort_small_config_static_selectorELNS0_4arch9wavefront6targetE0EEEvSH_,"axG",@progbits,_ZN7rocprim17ROCPRIM_400000_NS6detail17trampoline_kernelINS0_14default_configENS1_36segmented_radix_sort_config_selectorIllEEZNS1_25segmented_radix_sort_implIS3_Lb1EPKlPlS8_S9_N2at6native12_GLOBAL__N_18offset_tEEE10hipError_tPvRmT1_PNSt15iterator_traitsISH_E10value_typeET2_T3_PNSI_ISN_E10value_typeET4_jRbjT5_ST_jjP12ihipStream_tbEUlT_E1_NS1_11comp_targetILNS1_3genE0ELNS1_11target_archE4294967295ELNS1_3gpuE0ELNS1_3repE0EEENS1_59segmented_radix_sort_warp_sort_small_config_static_selectorELNS0_4arch9wavefront6targetE0EEEvSH_,comdat
	.globl	_ZN7rocprim17ROCPRIM_400000_NS6detail17trampoline_kernelINS0_14default_configENS1_36segmented_radix_sort_config_selectorIllEEZNS1_25segmented_radix_sort_implIS3_Lb1EPKlPlS8_S9_N2at6native12_GLOBAL__N_18offset_tEEE10hipError_tPvRmT1_PNSt15iterator_traitsISH_E10value_typeET2_T3_PNSI_ISN_E10value_typeET4_jRbjT5_ST_jjP12ihipStream_tbEUlT_E1_NS1_11comp_targetILNS1_3genE0ELNS1_11target_archE4294967295ELNS1_3gpuE0ELNS1_3repE0EEENS1_59segmented_radix_sort_warp_sort_small_config_static_selectorELNS0_4arch9wavefront6targetE0EEEvSH_ ; -- Begin function _ZN7rocprim17ROCPRIM_400000_NS6detail17trampoline_kernelINS0_14default_configENS1_36segmented_radix_sort_config_selectorIllEEZNS1_25segmented_radix_sort_implIS3_Lb1EPKlPlS8_S9_N2at6native12_GLOBAL__N_18offset_tEEE10hipError_tPvRmT1_PNSt15iterator_traitsISH_E10value_typeET2_T3_PNSI_ISN_E10value_typeET4_jRbjT5_ST_jjP12ihipStream_tbEUlT_E1_NS1_11comp_targetILNS1_3genE0ELNS1_11target_archE4294967295ELNS1_3gpuE0ELNS1_3repE0EEENS1_59segmented_radix_sort_warp_sort_small_config_static_selectorELNS0_4arch9wavefront6targetE0EEEvSH_
	.p2align	8
	.type	_ZN7rocprim17ROCPRIM_400000_NS6detail17trampoline_kernelINS0_14default_configENS1_36segmented_radix_sort_config_selectorIllEEZNS1_25segmented_radix_sort_implIS3_Lb1EPKlPlS8_S9_N2at6native12_GLOBAL__N_18offset_tEEE10hipError_tPvRmT1_PNSt15iterator_traitsISH_E10value_typeET2_T3_PNSI_ISN_E10value_typeET4_jRbjT5_ST_jjP12ihipStream_tbEUlT_E1_NS1_11comp_targetILNS1_3genE0ELNS1_11target_archE4294967295ELNS1_3gpuE0ELNS1_3repE0EEENS1_59segmented_radix_sort_warp_sort_small_config_static_selectorELNS0_4arch9wavefront6targetE0EEEvSH_,@function
_ZN7rocprim17ROCPRIM_400000_NS6detail17trampoline_kernelINS0_14default_configENS1_36segmented_radix_sort_config_selectorIllEEZNS1_25segmented_radix_sort_implIS3_Lb1EPKlPlS8_S9_N2at6native12_GLOBAL__N_18offset_tEEE10hipError_tPvRmT1_PNSt15iterator_traitsISH_E10value_typeET2_T3_PNSI_ISN_E10value_typeET4_jRbjT5_ST_jjP12ihipStream_tbEUlT_E1_NS1_11comp_targetILNS1_3genE0ELNS1_11target_archE4294967295ELNS1_3gpuE0ELNS1_3repE0EEENS1_59segmented_radix_sort_warp_sort_small_config_static_selectorELNS0_4arch9wavefront6targetE0EEEvSH_: ; @_ZN7rocprim17ROCPRIM_400000_NS6detail17trampoline_kernelINS0_14default_configENS1_36segmented_radix_sort_config_selectorIllEEZNS1_25segmented_radix_sort_implIS3_Lb1EPKlPlS8_S9_N2at6native12_GLOBAL__N_18offset_tEEE10hipError_tPvRmT1_PNSt15iterator_traitsISH_E10value_typeET2_T3_PNSI_ISN_E10value_typeET4_jRbjT5_ST_jjP12ihipStream_tbEUlT_E1_NS1_11comp_targetILNS1_3genE0ELNS1_11target_archE4294967295ELNS1_3gpuE0ELNS1_3repE0EEENS1_59segmented_radix_sort_warp_sort_small_config_static_selectorELNS0_4arch9wavefront6targetE0EEEvSH_
; %bb.0:
	s_load_b32 s4, s[2:3], 0x64
	v_bfe_u32 v1, v0, 10, 10
	v_bfe_u32 v2, v0, 20, 10
	v_and_b32_e32 v3, 0x3ff, v0
	s_and_b32 s6, ttmp6, 15
	s_getreg_b32 s7, hwreg(HW_REG_IB_STS2, 6, 4)
	s_mov_b32 s32, 0
	s_wait_kmcnt 0x0
	s_lshr_b32 s5, s4, 16
	s_and_b32 s4, s4, 0xffff
	v_mad_u32_u24 v1, v2, s5, v1
	s_bfe_u32 s5, ttmp6, 0x4000c
	s_delay_alu instid0(SALU_CYCLE_1) | instskip(NEXT) | instid1(SALU_CYCLE_1)
	s_add_co_i32 s5, s5, 1
	s_mul_i32 s5, ttmp9, s5
	s_delay_alu instid0(VALU_DEP_1) | instskip(SKIP_4) | instid1(VALU_DEP_1)
	v_mad_u32 v1, v1, s4, v3
	s_load_b32 s4, s[2:3], 0x34
	s_add_co_i32 s6, s6, s5
	s_cmp_eq_u32 s7, 0
	s_cselect_b32 s5, ttmp9, s6
	v_lshrrev_b32_e32 v1, 3, v1
	s_delay_alu instid0(VALU_DEP_1) | instskip(SKIP_1) | instid1(VALU_DEP_1)
	v_lshl_add_u32 v2, s5, 5, v1
	s_wait_kmcnt 0x0
	v_cmp_gt_u32_e32 vcc_lo, s4, v2
	s_and_saveexec_b32 s4, vcc_lo
	s_cbranch_execz .LBB721_6
; %bb.1:
	s_clause 0x1
	s_load_b64 s[8:9], s[2:3], 0x38
	s_load_b128 s[4:7], s[2:3], 0x40
	v_mov_b32_e32 v3, 0
	s_delay_alu instid0(VALU_DEP_1) | instskip(SKIP_1) | instid1(VALU_DEP_1)
	v_lshlrev_b64_e32 v[2:3], 2, v[2:3]
	s_wait_kmcnt 0x0
	v_sub_nc_u64_e32 v[2:3], s[8:9], v[2:3]
	global_load_b32 v1, v[2:3], off offset:-4
	s_wait_loadcnt 0x0
	v_dual_add_nc_u32 v2, s5, v1 :: v_dual_add_nc_u32 v1, s7, v1
	s_delay_alu instid0(VALU_DEP_1) | instskip(NEXT) | instid1(VALU_DEP_2)
	v_mul_lo_u32 v8, v2, s4
	v_mul_lo_u32 v40, v1, s6
	s_delay_alu instid0(VALU_DEP_1)
	v_cmp_gt_u32_e32 vcc_lo, v40, v8
	s_and_b32 exec_lo, exec_lo, vcc_lo
	s_cbranch_execz .LBB721_6
; %bb.2:
	s_clause 0x3
	s_load_b32 s4, s[2:3], 0x30
	s_load_b128 s[36:39], s[2:3], 0x20
	s_load_b256 s[20:27], s[2:3], 0x0
	s_load_b64 s[18:19], s[2:3], 0x50
	s_add_nc_u64 s[16:17], s[2:3], 0x58
	s_get_pc_i64 s[28:29]
	s_add_nc_u64 s[28:29], s[28:29], _ZN7rocprim17ROCPRIM_400000_NS6detail26segmented_warp_sort_helperINS1_20WarpSortHelperConfigILj8ELj4ELj256EEEllLi256ELb1EvE4sortIPKlPlS8_S9_EEvT_T0_T1_T2_jjjjRNS5_12storage_typeE@rel64+4
	s_wait_kmcnt 0x0
	s_bitcmp0_b32 s4, 0
	s_mov_b32 s4, -1
	s_cbranch_scc0 .LBB721_4
; %bb.3:
	s_mov_b64 s[2:3], src_shared_base
	v_dual_mov_b32 v31, v0 :: v_dual_mov_b32 v41, v0
	v_dual_mov_b32 v0, s20 :: v_dual_mov_b32 v1, s21
	;; [unrolled: 1-line block ×7, first 2 shown]
	v_mov_b32_e32 v13, s3
	s_mov_b64 s[6:7], s[0:1]
	s_mov_b64 s[8:9], s[16:17]
	;; [unrolled: 1-line block ×3, first 2 shown]
	s_swap_pc_i64 s[30:31], s[28:29]
	v_mov_b32_e32 v0, v41
	s_mov_b64 s[0:1], s[22:23]
	s_mov_b32 s4, 0
.LBB721_4:
	s_delay_alu instid0(SALU_CYCLE_1)
	s_and_not1_b32 vcc_lo, exec_lo, s4
	s_cbranch_vccnz .LBB721_6
; %bb.5:
	s_mov_b64 s[2:3], src_shared_base
	v_dual_mov_b32 v31, v0 :: v_dual_mov_b32 v0, s20
	v_dual_mov_b32 v1, s21 :: v_dual_mov_b32 v2, s24
	;; [unrolled: 1-line block ×7, first 2 shown]
	s_mov_b64 s[6:7], s[0:1]
	s_mov_b64 s[8:9], s[16:17]
	s_swap_pc_i64 s[30:31], s[28:29]
.LBB721_6:
	s_endpgm
	.section	.rodata,"a",@progbits
	.p2align	6, 0x0
	.amdhsa_kernel _ZN7rocprim17ROCPRIM_400000_NS6detail17trampoline_kernelINS0_14default_configENS1_36segmented_radix_sort_config_selectorIllEEZNS1_25segmented_radix_sort_implIS3_Lb1EPKlPlS8_S9_N2at6native12_GLOBAL__N_18offset_tEEE10hipError_tPvRmT1_PNSt15iterator_traitsISH_E10value_typeET2_T3_PNSI_ISN_E10value_typeET4_jRbjT5_ST_jjP12ihipStream_tbEUlT_E1_NS1_11comp_targetILNS1_3genE0ELNS1_11target_archE4294967295ELNS1_3gpuE0ELNS1_3repE0EEENS1_59segmented_radix_sort_warp_sort_small_config_static_selectorELNS0_4arch9wavefront6targetE0EEEvSH_
		.amdhsa_group_segment_fixed_size 16384
		.amdhsa_private_segment_fixed_size 0
		.amdhsa_kernarg_size 344
		.amdhsa_user_sgpr_count 4
		.amdhsa_user_sgpr_dispatch_ptr 0
		.amdhsa_user_sgpr_queue_ptr 1
		.amdhsa_user_sgpr_kernarg_segment_ptr 1
		.amdhsa_user_sgpr_dispatch_id 0
		.amdhsa_user_sgpr_kernarg_preload_length 0
		.amdhsa_user_sgpr_kernarg_preload_offset 0
		.amdhsa_user_sgpr_private_segment_size 0
		.amdhsa_wavefront_size32 1
		.amdhsa_uses_dynamic_stack 0
		.amdhsa_enable_private_segment 0
		.amdhsa_system_sgpr_workgroup_id_x 1
		.amdhsa_system_sgpr_workgroup_id_y 1
		.amdhsa_system_sgpr_workgroup_id_z 0
		.amdhsa_system_sgpr_workgroup_info 0
		.amdhsa_system_vgpr_workitem_id 2
		.amdhsa_next_free_vgpr 70
		.amdhsa_next_free_sgpr 40
		.amdhsa_named_barrier_count 0
		.amdhsa_reserve_vcc 1
		.amdhsa_float_round_mode_32 0
		.amdhsa_float_round_mode_16_64 0
		.amdhsa_float_denorm_mode_32 3
		.amdhsa_float_denorm_mode_16_64 3
		.amdhsa_fp16_overflow 0
		.amdhsa_memory_ordered 1
		.amdhsa_forward_progress 1
		.amdhsa_inst_pref_size 5
		.amdhsa_round_robin_scheduling 0
		.amdhsa_exception_fp_ieee_invalid_op 0
		.amdhsa_exception_fp_denorm_src 0
		.amdhsa_exception_fp_ieee_div_zero 0
		.amdhsa_exception_fp_ieee_overflow 0
		.amdhsa_exception_fp_ieee_underflow 0
		.amdhsa_exception_fp_ieee_inexact 0
		.amdhsa_exception_int_div_zero 0
	.end_amdhsa_kernel
	.section	.text._ZN7rocprim17ROCPRIM_400000_NS6detail17trampoline_kernelINS0_14default_configENS1_36segmented_radix_sort_config_selectorIllEEZNS1_25segmented_radix_sort_implIS3_Lb1EPKlPlS8_S9_N2at6native12_GLOBAL__N_18offset_tEEE10hipError_tPvRmT1_PNSt15iterator_traitsISH_E10value_typeET2_T3_PNSI_ISN_E10value_typeET4_jRbjT5_ST_jjP12ihipStream_tbEUlT_E1_NS1_11comp_targetILNS1_3genE0ELNS1_11target_archE4294967295ELNS1_3gpuE0ELNS1_3repE0EEENS1_59segmented_radix_sort_warp_sort_small_config_static_selectorELNS0_4arch9wavefront6targetE0EEEvSH_,"axG",@progbits,_ZN7rocprim17ROCPRIM_400000_NS6detail17trampoline_kernelINS0_14default_configENS1_36segmented_radix_sort_config_selectorIllEEZNS1_25segmented_radix_sort_implIS3_Lb1EPKlPlS8_S9_N2at6native12_GLOBAL__N_18offset_tEEE10hipError_tPvRmT1_PNSt15iterator_traitsISH_E10value_typeET2_T3_PNSI_ISN_E10value_typeET4_jRbjT5_ST_jjP12ihipStream_tbEUlT_E1_NS1_11comp_targetILNS1_3genE0ELNS1_11target_archE4294967295ELNS1_3gpuE0ELNS1_3repE0EEENS1_59segmented_radix_sort_warp_sort_small_config_static_selectorELNS0_4arch9wavefront6targetE0EEEvSH_,comdat
.Lfunc_end721:
	.size	_ZN7rocprim17ROCPRIM_400000_NS6detail17trampoline_kernelINS0_14default_configENS1_36segmented_radix_sort_config_selectorIllEEZNS1_25segmented_radix_sort_implIS3_Lb1EPKlPlS8_S9_N2at6native12_GLOBAL__N_18offset_tEEE10hipError_tPvRmT1_PNSt15iterator_traitsISH_E10value_typeET2_T3_PNSI_ISN_E10value_typeET4_jRbjT5_ST_jjP12ihipStream_tbEUlT_E1_NS1_11comp_targetILNS1_3genE0ELNS1_11target_archE4294967295ELNS1_3gpuE0ELNS1_3repE0EEENS1_59segmented_radix_sort_warp_sort_small_config_static_selectorELNS0_4arch9wavefront6targetE0EEEvSH_, .Lfunc_end721-_ZN7rocprim17ROCPRIM_400000_NS6detail17trampoline_kernelINS0_14default_configENS1_36segmented_radix_sort_config_selectorIllEEZNS1_25segmented_radix_sort_implIS3_Lb1EPKlPlS8_S9_N2at6native12_GLOBAL__N_18offset_tEEE10hipError_tPvRmT1_PNSt15iterator_traitsISH_E10value_typeET2_T3_PNSI_ISN_E10value_typeET4_jRbjT5_ST_jjP12ihipStream_tbEUlT_E1_NS1_11comp_targetILNS1_3genE0ELNS1_11target_archE4294967295ELNS1_3gpuE0ELNS1_3repE0EEENS1_59segmented_radix_sort_warp_sort_small_config_static_selectorELNS0_4arch9wavefront6targetE0EEEvSH_
                                        ; -- End function
	.set _ZN7rocprim17ROCPRIM_400000_NS6detail17trampoline_kernelINS0_14default_configENS1_36segmented_radix_sort_config_selectorIllEEZNS1_25segmented_radix_sort_implIS3_Lb1EPKlPlS8_S9_N2at6native12_GLOBAL__N_18offset_tEEE10hipError_tPvRmT1_PNSt15iterator_traitsISH_E10value_typeET2_T3_PNSI_ISN_E10value_typeET4_jRbjT5_ST_jjP12ihipStream_tbEUlT_E1_NS1_11comp_targetILNS1_3genE0ELNS1_11target_archE4294967295ELNS1_3gpuE0ELNS1_3repE0EEENS1_59segmented_radix_sort_warp_sort_small_config_static_selectorELNS0_4arch9wavefront6targetE0EEEvSH_.num_vgpr, max(42, .L_ZN7rocprim17ROCPRIM_400000_NS6detail26segmented_warp_sort_helperINS1_20WarpSortHelperConfigILj8ELj4ELj256EEEllLi256ELb1EvE4sortIPKlPlS8_S9_EEvT_T0_T1_T2_jjjjRNS5_12storage_typeE.num_vgpr)
	.set _ZN7rocprim17ROCPRIM_400000_NS6detail17trampoline_kernelINS0_14default_configENS1_36segmented_radix_sort_config_selectorIllEEZNS1_25segmented_radix_sort_implIS3_Lb1EPKlPlS8_S9_N2at6native12_GLOBAL__N_18offset_tEEE10hipError_tPvRmT1_PNSt15iterator_traitsISH_E10value_typeET2_T3_PNSI_ISN_E10value_typeET4_jRbjT5_ST_jjP12ihipStream_tbEUlT_E1_NS1_11comp_targetILNS1_3genE0ELNS1_11target_archE4294967295ELNS1_3gpuE0ELNS1_3repE0EEENS1_59segmented_radix_sort_warp_sort_small_config_static_selectorELNS0_4arch9wavefront6targetE0EEEvSH_.num_agpr, max(0, .L_ZN7rocprim17ROCPRIM_400000_NS6detail26segmented_warp_sort_helperINS1_20WarpSortHelperConfigILj8ELj4ELj256EEEllLi256ELb1EvE4sortIPKlPlS8_S9_EEvT_T0_T1_T2_jjjjRNS5_12storage_typeE.num_agpr)
	.set _ZN7rocprim17ROCPRIM_400000_NS6detail17trampoline_kernelINS0_14default_configENS1_36segmented_radix_sort_config_selectorIllEEZNS1_25segmented_radix_sort_implIS3_Lb1EPKlPlS8_S9_N2at6native12_GLOBAL__N_18offset_tEEE10hipError_tPvRmT1_PNSt15iterator_traitsISH_E10value_typeET2_T3_PNSI_ISN_E10value_typeET4_jRbjT5_ST_jjP12ihipStream_tbEUlT_E1_NS1_11comp_targetILNS1_3genE0ELNS1_11target_archE4294967295ELNS1_3gpuE0ELNS1_3repE0EEENS1_59segmented_radix_sort_warp_sort_small_config_static_selectorELNS0_4arch9wavefront6targetE0EEEvSH_.numbered_sgpr, max(40, .L_ZN7rocprim17ROCPRIM_400000_NS6detail26segmented_warp_sort_helperINS1_20WarpSortHelperConfigILj8ELj4ELj256EEEllLi256ELb1EvE4sortIPKlPlS8_S9_EEvT_T0_T1_T2_jjjjRNS5_12storage_typeE.numbered_sgpr)
	.set _ZN7rocprim17ROCPRIM_400000_NS6detail17trampoline_kernelINS0_14default_configENS1_36segmented_radix_sort_config_selectorIllEEZNS1_25segmented_radix_sort_implIS3_Lb1EPKlPlS8_S9_N2at6native12_GLOBAL__N_18offset_tEEE10hipError_tPvRmT1_PNSt15iterator_traitsISH_E10value_typeET2_T3_PNSI_ISN_E10value_typeET4_jRbjT5_ST_jjP12ihipStream_tbEUlT_E1_NS1_11comp_targetILNS1_3genE0ELNS1_11target_archE4294967295ELNS1_3gpuE0ELNS1_3repE0EEENS1_59segmented_radix_sort_warp_sort_small_config_static_selectorELNS0_4arch9wavefront6targetE0EEEvSH_.num_named_barrier, max(0, .L_ZN7rocprim17ROCPRIM_400000_NS6detail26segmented_warp_sort_helperINS1_20WarpSortHelperConfigILj8ELj4ELj256EEEllLi256ELb1EvE4sortIPKlPlS8_S9_EEvT_T0_T1_T2_jjjjRNS5_12storage_typeE.num_named_barrier)
	.set _ZN7rocprim17ROCPRIM_400000_NS6detail17trampoline_kernelINS0_14default_configENS1_36segmented_radix_sort_config_selectorIllEEZNS1_25segmented_radix_sort_implIS3_Lb1EPKlPlS8_S9_N2at6native12_GLOBAL__N_18offset_tEEE10hipError_tPvRmT1_PNSt15iterator_traitsISH_E10value_typeET2_T3_PNSI_ISN_E10value_typeET4_jRbjT5_ST_jjP12ihipStream_tbEUlT_E1_NS1_11comp_targetILNS1_3genE0ELNS1_11target_archE4294967295ELNS1_3gpuE0ELNS1_3repE0EEENS1_59segmented_radix_sort_warp_sort_small_config_static_selectorELNS0_4arch9wavefront6targetE0EEEvSH_.private_seg_size, 0+max(.L_ZN7rocprim17ROCPRIM_400000_NS6detail26segmented_warp_sort_helperINS1_20WarpSortHelperConfigILj8ELj4ELj256EEEllLi256ELb1EvE4sortIPKlPlS8_S9_EEvT_T0_T1_T2_jjjjRNS5_12storage_typeE.private_seg_size)
	.set _ZN7rocprim17ROCPRIM_400000_NS6detail17trampoline_kernelINS0_14default_configENS1_36segmented_radix_sort_config_selectorIllEEZNS1_25segmented_radix_sort_implIS3_Lb1EPKlPlS8_S9_N2at6native12_GLOBAL__N_18offset_tEEE10hipError_tPvRmT1_PNSt15iterator_traitsISH_E10value_typeET2_T3_PNSI_ISN_E10value_typeET4_jRbjT5_ST_jjP12ihipStream_tbEUlT_E1_NS1_11comp_targetILNS1_3genE0ELNS1_11target_archE4294967295ELNS1_3gpuE0ELNS1_3repE0EEENS1_59segmented_radix_sort_warp_sort_small_config_static_selectorELNS0_4arch9wavefront6targetE0EEEvSH_.uses_vcc, or(1, .L_ZN7rocprim17ROCPRIM_400000_NS6detail26segmented_warp_sort_helperINS1_20WarpSortHelperConfigILj8ELj4ELj256EEEllLi256ELb1EvE4sortIPKlPlS8_S9_EEvT_T0_T1_T2_jjjjRNS5_12storage_typeE.uses_vcc)
	.set _ZN7rocprim17ROCPRIM_400000_NS6detail17trampoline_kernelINS0_14default_configENS1_36segmented_radix_sort_config_selectorIllEEZNS1_25segmented_radix_sort_implIS3_Lb1EPKlPlS8_S9_N2at6native12_GLOBAL__N_18offset_tEEE10hipError_tPvRmT1_PNSt15iterator_traitsISH_E10value_typeET2_T3_PNSI_ISN_E10value_typeET4_jRbjT5_ST_jjP12ihipStream_tbEUlT_E1_NS1_11comp_targetILNS1_3genE0ELNS1_11target_archE4294967295ELNS1_3gpuE0ELNS1_3repE0EEENS1_59segmented_radix_sort_warp_sort_small_config_static_selectorELNS0_4arch9wavefront6targetE0EEEvSH_.uses_flat_scratch, or(0, .L_ZN7rocprim17ROCPRIM_400000_NS6detail26segmented_warp_sort_helperINS1_20WarpSortHelperConfigILj8ELj4ELj256EEEllLi256ELb1EvE4sortIPKlPlS8_S9_EEvT_T0_T1_T2_jjjjRNS5_12storage_typeE.uses_flat_scratch)
	.set _ZN7rocprim17ROCPRIM_400000_NS6detail17trampoline_kernelINS0_14default_configENS1_36segmented_radix_sort_config_selectorIllEEZNS1_25segmented_radix_sort_implIS3_Lb1EPKlPlS8_S9_N2at6native12_GLOBAL__N_18offset_tEEE10hipError_tPvRmT1_PNSt15iterator_traitsISH_E10value_typeET2_T3_PNSI_ISN_E10value_typeET4_jRbjT5_ST_jjP12ihipStream_tbEUlT_E1_NS1_11comp_targetILNS1_3genE0ELNS1_11target_archE4294967295ELNS1_3gpuE0ELNS1_3repE0EEENS1_59segmented_radix_sort_warp_sort_small_config_static_selectorELNS0_4arch9wavefront6targetE0EEEvSH_.has_dyn_sized_stack, or(0, .L_ZN7rocprim17ROCPRIM_400000_NS6detail26segmented_warp_sort_helperINS1_20WarpSortHelperConfigILj8ELj4ELj256EEEllLi256ELb1EvE4sortIPKlPlS8_S9_EEvT_T0_T1_T2_jjjjRNS5_12storage_typeE.has_dyn_sized_stack)
	.set _ZN7rocprim17ROCPRIM_400000_NS6detail17trampoline_kernelINS0_14default_configENS1_36segmented_radix_sort_config_selectorIllEEZNS1_25segmented_radix_sort_implIS3_Lb1EPKlPlS8_S9_N2at6native12_GLOBAL__N_18offset_tEEE10hipError_tPvRmT1_PNSt15iterator_traitsISH_E10value_typeET2_T3_PNSI_ISN_E10value_typeET4_jRbjT5_ST_jjP12ihipStream_tbEUlT_E1_NS1_11comp_targetILNS1_3genE0ELNS1_11target_archE4294967295ELNS1_3gpuE0ELNS1_3repE0EEENS1_59segmented_radix_sort_warp_sort_small_config_static_selectorELNS0_4arch9wavefront6targetE0EEEvSH_.has_recursion, or(0, .L_ZN7rocprim17ROCPRIM_400000_NS6detail26segmented_warp_sort_helperINS1_20WarpSortHelperConfigILj8ELj4ELj256EEEllLi256ELb1EvE4sortIPKlPlS8_S9_EEvT_T0_T1_T2_jjjjRNS5_12storage_typeE.has_recursion)
	.set _ZN7rocprim17ROCPRIM_400000_NS6detail17trampoline_kernelINS0_14default_configENS1_36segmented_radix_sort_config_selectorIllEEZNS1_25segmented_radix_sort_implIS3_Lb1EPKlPlS8_S9_N2at6native12_GLOBAL__N_18offset_tEEE10hipError_tPvRmT1_PNSt15iterator_traitsISH_E10value_typeET2_T3_PNSI_ISN_E10value_typeET4_jRbjT5_ST_jjP12ihipStream_tbEUlT_E1_NS1_11comp_targetILNS1_3genE0ELNS1_11target_archE4294967295ELNS1_3gpuE0ELNS1_3repE0EEENS1_59segmented_radix_sort_warp_sort_small_config_static_selectorELNS0_4arch9wavefront6targetE0EEEvSH_.has_indirect_call, or(0, .L_ZN7rocprim17ROCPRIM_400000_NS6detail26segmented_warp_sort_helperINS1_20WarpSortHelperConfigILj8ELj4ELj256EEEllLi256ELb1EvE4sortIPKlPlS8_S9_EEvT_T0_T1_T2_jjjjRNS5_12storage_typeE.has_indirect_call)
	.section	.AMDGPU.csdata,"",@progbits
; Kernel info:
; codeLenInByte = 520
; TotalNumSgprs: 42
; NumVgprs: 70
; ScratchSize: 0
; MemoryBound: 0
; FloatMode: 240
; IeeeMode: 1
; LDSByteSize: 16384 bytes/workgroup (compile time only)
; SGPRBlocks: 0
; VGPRBlocks: 4
; NumSGPRsForWavesPerEU: 42
; NumVGPRsForWavesPerEU: 70
; NamedBarCnt: 0
; Occupancy: 12
; WaveLimiterHint : 0
; COMPUTE_PGM_RSRC2:SCRATCH_EN: 0
; COMPUTE_PGM_RSRC2:USER_SGPR: 4
; COMPUTE_PGM_RSRC2:TRAP_HANDLER: 0
; COMPUTE_PGM_RSRC2:TGID_X_EN: 1
; COMPUTE_PGM_RSRC2:TGID_Y_EN: 1
; COMPUTE_PGM_RSRC2:TGID_Z_EN: 0
; COMPUTE_PGM_RSRC2:TIDIG_COMP_CNT: 2
	.section	.text._ZN7rocprim17ROCPRIM_400000_NS6detail17trampoline_kernelINS0_14default_configENS1_36segmented_radix_sort_config_selectorIllEEZNS1_25segmented_radix_sort_implIS3_Lb1EPKlPlS8_S9_N2at6native12_GLOBAL__N_18offset_tEEE10hipError_tPvRmT1_PNSt15iterator_traitsISH_E10value_typeET2_T3_PNSI_ISN_E10value_typeET4_jRbjT5_ST_jjP12ihipStream_tbEUlT_E1_NS1_11comp_targetILNS1_3genE5ELNS1_11target_archE942ELNS1_3gpuE9ELNS1_3repE0EEENS1_59segmented_radix_sort_warp_sort_small_config_static_selectorELNS0_4arch9wavefront6targetE0EEEvSH_,"axG",@progbits,_ZN7rocprim17ROCPRIM_400000_NS6detail17trampoline_kernelINS0_14default_configENS1_36segmented_radix_sort_config_selectorIllEEZNS1_25segmented_radix_sort_implIS3_Lb1EPKlPlS8_S9_N2at6native12_GLOBAL__N_18offset_tEEE10hipError_tPvRmT1_PNSt15iterator_traitsISH_E10value_typeET2_T3_PNSI_ISN_E10value_typeET4_jRbjT5_ST_jjP12ihipStream_tbEUlT_E1_NS1_11comp_targetILNS1_3genE5ELNS1_11target_archE942ELNS1_3gpuE9ELNS1_3repE0EEENS1_59segmented_radix_sort_warp_sort_small_config_static_selectorELNS0_4arch9wavefront6targetE0EEEvSH_,comdat
	.globl	_ZN7rocprim17ROCPRIM_400000_NS6detail17trampoline_kernelINS0_14default_configENS1_36segmented_radix_sort_config_selectorIllEEZNS1_25segmented_radix_sort_implIS3_Lb1EPKlPlS8_S9_N2at6native12_GLOBAL__N_18offset_tEEE10hipError_tPvRmT1_PNSt15iterator_traitsISH_E10value_typeET2_T3_PNSI_ISN_E10value_typeET4_jRbjT5_ST_jjP12ihipStream_tbEUlT_E1_NS1_11comp_targetILNS1_3genE5ELNS1_11target_archE942ELNS1_3gpuE9ELNS1_3repE0EEENS1_59segmented_radix_sort_warp_sort_small_config_static_selectorELNS0_4arch9wavefront6targetE0EEEvSH_ ; -- Begin function _ZN7rocprim17ROCPRIM_400000_NS6detail17trampoline_kernelINS0_14default_configENS1_36segmented_radix_sort_config_selectorIllEEZNS1_25segmented_radix_sort_implIS3_Lb1EPKlPlS8_S9_N2at6native12_GLOBAL__N_18offset_tEEE10hipError_tPvRmT1_PNSt15iterator_traitsISH_E10value_typeET2_T3_PNSI_ISN_E10value_typeET4_jRbjT5_ST_jjP12ihipStream_tbEUlT_E1_NS1_11comp_targetILNS1_3genE5ELNS1_11target_archE942ELNS1_3gpuE9ELNS1_3repE0EEENS1_59segmented_radix_sort_warp_sort_small_config_static_selectorELNS0_4arch9wavefront6targetE0EEEvSH_
	.p2align	8
	.type	_ZN7rocprim17ROCPRIM_400000_NS6detail17trampoline_kernelINS0_14default_configENS1_36segmented_radix_sort_config_selectorIllEEZNS1_25segmented_radix_sort_implIS3_Lb1EPKlPlS8_S9_N2at6native12_GLOBAL__N_18offset_tEEE10hipError_tPvRmT1_PNSt15iterator_traitsISH_E10value_typeET2_T3_PNSI_ISN_E10value_typeET4_jRbjT5_ST_jjP12ihipStream_tbEUlT_E1_NS1_11comp_targetILNS1_3genE5ELNS1_11target_archE942ELNS1_3gpuE9ELNS1_3repE0EEENS1_59segmented_radix_sort_warp_sort_small_config_static_selectorELNS0_4arch9wavefront6targetE0EEEvSH_,@function
_ZN7rocprim17ROCPRIM_400000_NS6detail17trampoline_kernelINS0_14default_configENS1_36segmented_radix_sort_config_selectorIllEEZNS1_25segmented_radix_sort_implIS3_Lb1EPKlPlS8_S9_N2at6native12_GLOBAL__N_18offset_tEEE10hipError_tPvRmT1_PNSt15iterator_traitsISH_E10value_typeET2_T3_PNSI_ISN_E10value_typeET4_jRbjT5_ST_jjP12ihipStream_tbEUlT_E1_NS1_11comp_targetILNS1_3genE5ELNS1_11target_archE942ELNS1_3gpuE9ELNS1_3repE0EEENS1_59segmented_radix_sort_warp_sort_small_config_static_selectorELNS0_4arch9wavefront6targetE0EEEvSH_: ; @_ZN7rocprim17ROCPRIM_400000_NS6detail17trampoline_kernelINS0_14default_configENS1_36segmented_radix_sort_config_selectorIllEEZNS1_25segmented_radix_sort_implIS3_Lb1EPKlPlS8_S9_N2at6native12_GLOBAL__N_18offset_tEEE10hipError_tPvRmT1_PNSt15iterator_traitsISH_E10value_typeET2_T3_PNSI_ISN_E10value_typeET4_jRbjT5_ST_jjP12ihipStream_tbEUlT_E1_NS1_11comp_targetILNS1_3genE5ELNS1_11target_archE942ELNS1_3gpuE9ELNS1_3repE0EEENS1_59segmented_radix_sort_warp_sort_small_config_static_selectorELNS0_4arch9wavefront6targetE0EEEvSH_
; %bb.0:
	.section	.rodata,"a",@progbits
	.p2align	6, 0x0
	.amdhsa_kernel _ZN7rocprim17ROCPRIM_400000_NS6detail17trampoline_kernelINS0_14default_configENS1_36segmented_radix_sort_config_selectorIllEEZNS1_25segmented_radix_sort_implIS3_Lb1EPKlPlS8_S9_N2at6native12_GLOBAL__N_18offset_tEEE10hipError_tPvRmT1_PNSt15iterator_traitsISH_E10value_typeET2_T3_PNSI_ISN_E10value_typeET4_jRbjT5_ST_jjP12ihipStream_tbEUlT_E1_NS1_11comp_targetILNS1_3genE5ELNS1_11target_archE942ELNS1_3gpuE9ELNS1_3repE0EEENS1_59segmented_radix_sort_warp_sort_small_config_static_selectorELNS0_4arch9wavefront6targetE0EEEvSH_
		.amdhsa_group_segment_fixed_size 0
		.amdhsa_private_segment_fixed_size 0
		.amdhsa_kernarg_size 88
		.amdhsa_user_sgpr_count 2
		.amdhsa_user_sgpr_dispatch_ptr 0
		.amdhsa_user_sgpr_queue_ptr 0
		.amdhsa_user_sgpr_kernarg_segment_ptr 1
		.amdhsa_user_sgpr_dispatch_id 0
		.amdhsa_user_sgpr_kernarg_preload_length 0
		.amdhsa_user_sgpr_kernarg_preload_offset 0
		.amdhsa_user_sgpr_private_segment_size 0
		.amdhsa_wavefront_size32 1
		.amdhsa_uses_dynamic_stack 0
		.amdhsa_enable_private_segment 0
		.amdhsa_system_sgpr_workgroup_id_x 1
		.amdhsa_system_sgpr_workgroup_id_y 0
		.amdhsa_system_sgpr_workgroup_id_z 0
		.amdhsa_system_sgpr_workgroup_info 0
		.amdhsa_system_vgpr_workitem_id 0
		.amdhsa_next_free_vgpr 1
		.amdhsa_next_free_sgpr 1
		.amdhsa_named_barrier_count 0
		.amdhsa_reserve_vcc 0
		.amdhsa_float_round_mode_32 0
		.amdhsa_float_round_mode_16_64 0
		.amdhsa_float_denorm_mode_32 3
		.amdhsa_float_denorm_mode_16_64 3
		.amdhsa_fp16_overflow 0
		.amdhsa_memory_ordered 1
		.amdhsa_forward_progress 1
		.amdhsa_inst_pref_size 0
		.amdhsa_round_robin_scheduling 0
		.amdhsa_exception_fp_ieee_invalid_op 0
		.amdhsa_exception_fp_denorm_src 0
		.amdhsa_exception_fp_ieee_div_zero 0
		.amdhsa_exception_fp_ieee_overflow 0
		.amdhsa_exception_fp_ieee_underflow 0
		.amdhsa_exception_fp_ieee_inexact 0
		.amdhsa_exception_int_div_zero 0
	.end_amdhsa_kernel
	.section	.text._ZN7rocprim17ROCPRIM_400000_NS6detail17trampoline_kernelINS0_14default_configENS1_36segmented_radix_sort_config_selectorIllEEZNS1_25segmented_radix_sort_implIS3_Lb1EPKlPlS8_S9_N2at6native12_GLOBAL__N_18offset_tEEE10hipError_tPvRmT1_PNSt15iterator_traitsISH_E10value_typeET2_T3_PNSI_ISN_E10value_typeET4_jRbjT5_ST_jjP12ihipStream_tbEUlT_E1_NS1_11comp_targetILNS1_3genE5ELNS1_11target_archE942ELNS1_3gpuE9ELNS1_3repE0EEENS1_59segmented_radix_sort_warp_sort_small_config_static_selectorELNS0_4arch9wavefront6targetE0EEEvSH_,"axG",@progbits,_ZN7rocprim17ROCPRIM_400000_NS6detail17trampoline_kernelINS0_14default_configENS1_36segmented_radix_sort_config_selectorIllEEZNS1_25segmented_radix_sort_implIS3_Lb1EPKlPlS8_S9_N2at6native12_GLOBAL__N_18offset_tEEE10hipError_tPvRmT1_PNSt15iterator_traitsISH_E10value_typeET2_T3_PNSI_ISN_E10value_typeET4_jRbjT5_ST_jjP12ihipStream_tbEUlT_E1_NS1_11comp_targetILNS1_3genE5ELNS1_11target_archE942ELNS1_3gpuE9ELNS1_3repE0EEENS1_59segmented_radix_sort_warp_sort_small_config_static_selectorELNS0_4arch9wavefront6targetE0EEEvSH_,comdat
.Lfunc_end722:
	.size	_ZN7rocprim17ROCPRIM_400000_NS6detail17trampoline_kernelINS0_14default_configENS1_36segmented_radix_sort_config_selectorIllEEZNS1_25segmented_radix_sort_implIS3_Lb1EPKlPlS8_S9_N2at6native12_GLOBAL__N_18offset_tEEE10hipError_tPvRmT1_PNSt15iterator_traitsISH_E10value_typeET2_T3_PNSI_ISN_E10value_typeET4_jRbjT5_ST_jjP12ihipStream_tbEUlT_E1_NS1_11comp_targetILNS1_3genE5ELNS1_11target_archE942ELNS1_3gpuE9ELNS1_3repE0EEENS1_59segmented_radix_sort_warp_sort_small_config_static_selectorELNS0_4arch9wavefront6targetE0EEEvSH_, .Lfunc_end722-_ZN7rocprim17ROCPRIM_400000_NS6detail17trampoline_kernelINS0_14default_configENS1_36segmented_radix_sort_config_selectorIllEEZNS1_25segmented_radix_sort_implIS3_Lb1EPKlPlS8_S9_N2at6native12_GLOBAL__N_18offset_tEEE10hipError_tPvRmT1_PNSt15iterator_traitsISH_E10value_typeET2_T3_PNSI_ISN_E10value_typeET4_jRbjT5_ST_jjP12ihipStream_tbEUlT_E1_NS1_11comp_targetILNS1_3genE5ELNS1_11target_archE942ELNS1_3gpuE9ELNS1_3repE0EEENS1_59segmented_radix_sort_warp_sort_small_config_static_selectorELNS0_4arch9wavefront6targetE0EEEvSH_
                                        ; -- End function
	.set _ZN7rocprim17ROCPRIM_400000_NS6detail17trampoline_kernelINS0_14default_configENS1_36segmented_radix_sort_config_selectorIllEEZNS1_25segmented_radix_sort_implIS3_Lb1EPKlPlS8_S9_N2at6native12_GLOBAL__N_18offset_tEEE10hipError_tPvRmT1_PNSt15iterator_traitsISH_E10value_typeET2_T3_PNSI_ISN_E10value_typeET4_jRbjT5_ST_jjP12ihipStream_tbEUlT_E1_NS1_11comp_targetILNS1_3genE5ELNS1_11target_archE942ELNS1_3gpuE9ELNS1_3repE0EEENS1_59segmented_radix_sort_warp_sort_small_config_static_selectorELNS0_4arch9wavefront6targetE0EEEvSH_.num_vgpr, 0
	.set _ZN7rocprim17ROCPRIM_400000_NS6detail17trampoline_kernelINS0_14default_configENS1_36segmented_radix_sort_config_selectorIllEEZNS1_25segmented_radix_sort_implIS3_Lb1EPKlPlS8_S9_N2at6native12_GLOBAL__N_18offset_tEEE10hipError_tPvRmT1_PNSt15iterator_traitsISH_E10value_typeET2_T3_PNSI_ISN_E10value_typeET4_jRbjT5_ST_jjP12ihipStream_tbEUlT_E1_NS1_11comp_targetILNS1_3genE5ELNS1_11target_archE942ELNS1_3gpuE9ELNS1_3repE0EEENS1_59segmented_radix_sort_warp_sort_small_config_static_selectorELNS0_4arch9wavefront6targetE0EEEvSH_.num_agpr, 0
	.set _ZN7rocprim17ROCPRIM_400000_NS6detail17trampoline_kernelINS0_14default_configENS1_36segmented_radix_sort_config_selectorIllEEZNS1_25segmented_radix_sort_implIS3_Lb1EPKlPlS8_S9_N2at6native12_GLOBAL__N_18offset_tEEE10hipError_tPvRmT1_PNSt15iterator_traitsISH_E10value_typeET2_T3_PNSI_ISN_E10value_typeET4_jRbjT5_ST_jjP12ihipStream_tbEUlT_E1_NS1_11comp_targetILNS1_3genE5ELNS1_11target_archE942ELNS1_3gpuE9ELNS1_3repE0EEENS1_59segmented_radix_sort_warp_sort_small_config_static_selectorELNS0_4arch9wavefront6targetE0EEEvSH_.numbered_sgpr, 0
	.set _ZN7rocprim17ROCPRIM_400000_NS6detail17trampoline_kernelINS0_14default_configENS1_36segmented_radix_sort_config_selectorIllEEZNS1_25segmented_radix_sort_implIS3_Lb1EPKlPlS8_S9_N2at6native12_GLOBAL__N_18offset_tEEE10hipError_tPvRmT1_PNSt15iterator_traitsISH_E10value_typeET2_T3_PNSI_ISN_E10value_typeET4_jRbjT5_ST_jjP12ihipStream_tbEUlT_E1_NS1_11comp_targetILNS1_3genE5ELNS1_11target_archE942ELNS1_3gpuE9ELNS1_3repE0EEENS1_59segmented_radix_sort_warp_sort_small_config_static_selectorELNS0_4arch9wavefront6targetE0EEEvSH_.num_named_barrier, 0
	.set _ZN7rocprim17ROCPRIM_400000_NS6detail17trampoline_kernelINS0_14default_configENS1_36segmented_radix_sort_config_selectorIllEEZNS1_25segmented_radix_sort_implIS3_Lb1EPKlPlS8_S9_N2at6native12_GLOBAL__N_18offset_tEEE10hipError_tPvRmT1_PNSt15iterator_traitsISH_E10value_typeET2_T3_PNSI_ISN_E10value_typeET4_jRbjT5_ST_jjP12ihipStream_tbEUlT_E1_NS1_11comp_targetILNS1_3genE5ELNS1_11target_archE942ELNS1_3gpuE9ELNS1_3repE0EEENS1_59segmented_radix_sort_warp_sort_small_config_static_selectorELNS0_4arch9wavefront6targetE0EEEvSH_.private_seg_size, 0
	.set _ZN7rocprim17ROCPRIM_400000_NS6detail17trampoline_kernelINS0_14default_configENS1_36segmented_radix_sort_config_selectorIllEEZNS1_25segmented_radix_sort_implIS3_Lb1EPKlPlS8_S9_N2at6native12_GLOBAL__N_18offset_tEEE10hipError_tPvRmT1_PNSt15iterator_traitsISH_E10value_typeET2_T3_PNSI_ISN_E10value_typeET4_jRbjT5_ST_jjP12ihipStream_tbEUlT_E1_NS1_11comp_targetILNS1_3genE5ELNS1_11target_archE942ELNS1_3gpuE9ELNS1_3repE0EEENS1_59segmented_radix_sort_warp_sort_small_config_static_selectorELNS0_4arch9wavefront6targetE0EEEvSH_.uses_vcc, 0
	.set _ZN7rocprim17ROCPRIM_400000_NS6detail17trampoline_kernelINS0_14default_configENS1_36segmented_radix_sort_config_selectorIllEEZNS1_25segmented_radix_sort_implIS3_Lb1EPKlPlS8_S9_N2at6native12_GLOBAL__N_18offset_tEEE10hipError_tPvRmT1_PNSt15iterator_traitsISH_E10value_typeET2_T3_PNSI_ISN_E10value_typeET4_jRbjT5_ST_jjP12ihipStream_tbEUlT_E1_NS1_11comp_targetILNS1_3genE5ELNS1_11target_archE942ELNS1_3gpuE9ELNS1_3repE0EEENS1_59segmented_radix_sort_warp_sort_small_config_static_selectorELNS0_4arch9wavefront6targetE0EEEvSH_.uses_flat_scratch, 0
	.set _ZN7rocprim17ROCPRIM_400000_NS6detail17trampoline_kernelINS0_14default_configENS1_36segmented_radix_sort_config_selectorIllEEZNS1_25segmented_radix_sort_implIS3_Lb1EPKlPlS8_S9_N2at6native12_GLOBAL__N_18offset_tEEE10hipError_tPvRmT1_PNSt15iterator_traitsISH_E10value_typeET2_T3_PNSI_ISN_E10value_typeET4_jRbjT5_ST_jjP12ihipStream_tbEUlT_E1_NS1_11comp_targetILNS1_3genE5ELNS1_11target_archE942ELNS1_3gpuE9ELNS1_3repE0EEENS1_59segmented_radix_sort_warp_sort_small_config_static_selectorELNS0_4arch9wavefront6targetE0EEEvSH_.has_dyn_sized_stack, 0
	.set _ZN7rocprim17ROCPRIM_400000_NS6detail17trampoline_kernelINS0_14default_configENS1_36segmented_radix_sort_config_selectorIllEEZNS1_25segmented_radix_sort_implIS3_Lb1EPKlPlS8_S9_N2at6native12_GLOBAL__N_18offset_tEEE10hipError_tPvRmT1_PNSt15iterator_traitsISH_E10value_typeET2_T3_PNSI_ISN_E10value_typeET4_jRbjT5_ST_jjP12ihipStream_tbEUlT_E1_NS1_11comp_targetILNS1_3genE5ELNS1_11target_archE942ELNS1_3gpuE9ELNS1_3repE0EEENS1_59segmented_radix_sort_warp_sort_small_config_static_selectorELNS0_4arch9wavefront6targetE0EEEvSH_.has_recursion, 0
	.set _ZN7rocprim17ROCPRIM_400000_NS6detail17trampoline_kernelINS0_14default_configENS1_36segmented_radix_sort_config_selectorIllEEZNS1_25segmented_radix_sort_implIS3_Lb1EPKlPlS8_S9_N2at6native12_GLOBAL__N_18offset_tEEE10hipError_tPvRmT1_PNSt15iterator_traitsISH_E10value_typeET2_T3_PNSI_ISN_E10value_typeET4_jRbjT5_ST_jjP12ihipStream_tbEUlT_E1_NS1_11comp_targetILNS1_3genE5ELNS1_11target_archE942ELNS1_3gpuE9ELNS1_3repE0EEENS1_59segmented_radix_sort_warp_sort_small_config_static_selectorELNS0_4arch9wavefront6targetE0EEEvSH_.has_indirect_call, 0
	.section	.AMDGPU.csdata,"",@progbits
; Kernel info:
; codeLenInByte = 0
; TotalNumSgprs: 0
; NumVgprs: 0
; ScratchSize: 0
; MemoryBound: 0
; FloatMode: 240
; IeeeMode: 1
; LDSByteSize: 0 bytes/workgroup (compile time only)
; SGPRBlocks: 0
; VGPRBlocks: 0
; NumSGPRsForWavesPerEU: 1
; NumVGPRsForWavesPerEU: 1
; NamedBarCnt: 0
; Occupancy: 16
; WaveLimiterHint : 0
; COMPUTE_PGM_RSRC2:SCRATCH_EN: 0
; COMPUTE_PGM_RSRC2:USER_SGPR: 2
; COMPUTE_PGM_RSRC2:TRAP_HANDLER: 0
; COMPUTE_PGM_RSRC2:TGID_X_EN: 1
; COMPUTE_PGM_RSRC2:TGID_Y_EN: 0
; COMPUTE_PGM_RSRC2:TGID_Z_EN: 0
; COMPUTE_PGM_RSRC2:TIDIG_COMP_CNT: 0
	.section	.text._ZN7rocprim17ROCPRIM_400000_NS6detail17trampoline_kernelINS0_14default_configENS1_36segmented_radix_sort_config_selectorIllEEZNS1_25segmented_radix_sort_implIS3_Lb1EPKlPlS8_S9_N2at6native12_GLOBAL__N_18offset_tEEE10hipError_tPvRmT1_PNSt15iterator_traitsISH_E10value_typeET2_T3_PNSI_ISN_E10value_typeET4_jRbjT5_ST_jjP12ihipStream_tbEUlT_E1_NS1_11comp_targetILNS1_3genE4ELNS1_11target_archE910ELNS1_3gpuE8ELNS1_3repE0EEENS1_59segmented_radix_sort_warp_sort_small_config_static_selectorELNS0_4arch9wavefront6targetE0EEEvSH_,"axG",@progbits,_ZN7rocprim17ROCPRIM_400000_NS6detail17trampoline_kernelINS0_14default_configENS1_36segmented_radix_sort_config_selectorIllEEZNS1_25segmented_radix_sort_implIS3_Lb1EPKlPlS8_S9_N2at6native12_GLOBAL__N_18offset_tEEE10hipError_tPvRmT1_PNSt15iterator_traitsISH_E10value_typeET2_T3_PNSI_ISN_E10value_typeET4_jRbjT5_ST_jjP12ihipStream_tbEUlT_E1_NS1_11comp_targetILNS1_3genE4ELNS1_11target_archE910ELNS1_3gpuE8ELNS1_3repE0EEENS1_59segmented_radix_sort_warp_sort_small_config_static_selectorELNS0_4arch9wavefront6targetE0EEEvSH_,comdat
	.globl	_ZN7rocprim17ROCPRIM_400000_NS6detail17trampoline_kernelINS0_14default_configENS1_36segmented_radix_sort_config_selectorIllEEZNS1_25segmented_radix_sort_implIS3_Lb1EPKlPlS8_S9_N2at6native12_GLOBAL__N_18offset_tEEE10hipError_tPvRmT1_PNSt15iterator_traitsISH_E10value_typeET2_T3_PNSI_ISN_E10value_typeET4_jRbjT5_ST_jjP12ihipStream_tbEUlT_E1_NS1_11comp_targetILNS1_3genE4ELNS1_11target_archE910ELNS1_3gpuE8ELNS1_3repE0EEENS1_59segmented_radix_sort_warp_sort_small_config_static_selectorELNS0_4arch9wavefront6targetE0EEEvSH_ ; -- Begin function _ZN7rocprim17ROCPRIM_400000_NS6detail17trampoline_kernelINS0_14default_configENS1_36segmented_radix_sort_config_selectorIllEEZNS1_25segmented_radix_sort_implIS3_Lb1EPKlPlS8_S9_N2at6native12_GLOBAL__N_18offset_tEEE10hipError_tPvRmT1_PNSt15iterator_traitsISH_E10value_typeET2_T3_PNSI_ISN_E10value_typeET4_jRbjT5_ST_jjP12ihipStream_tbEUlT_E1_NS1_11comp_targetILNS1_3genE4ELNS1_11target_archE910ELNS1_3gpuE8ELNS1_3repE0EEENS1_59segmented_radix_sort_warp_sort_small_config_static_selectorELNS0_4arch9wavefront6targetE0EEEvSH_
	.p2align	8
	.type	_ZN7rocprim17ROCPRIM_400000_NS6detail17trampoline_kernelINS0_14default_configENS1_36segmented_radix_sort_config_selectorIllEEZNS1_25segmented_radix_sort_implIS3_Lb1EPKlPlS8_S9_N2at6native12_GLOBAL__N_18offset_tEEE10hipError_tPvRmT1_PNSt15iterator_traitsISH_E10value_typeET2_T3_PNSI_ISN_E10value_typeET4_jRbjT5_ST_jjP12ihipStream_tbEUlT_E1_NS1_11comp_targetILNS1_3genE4ELNS1_11target_archE910ELNS1_3gpuE8ELNS1_3repE0EEENS1_59segmented_radix_sort_warp_sort_small_config_static_selectorELNS0_4arch9wavefront6targetE0EEEvSH_,@function
_ZN7rocprim17ROCPRIM_400000_NS6detail17trampoline_kernelINS0_14default_configENS1_36segmented_radix_sort_config_selectorIllEEZNS1_25segmented_radix_sort_implIS3_Lb1EPKlPlS8_S9_N2at6native12_GLOBAL__N_18offset_tEEE10hipError_tPvRmT1_PNSt15iterator_traitsISH_E10value_typeET2_T3_PNSI_ISN_E10value_typeET4_jRbjT5_ST_jjP12ihipStream_tbEUlT_E1_NS1_11comp_targetILNS1_3genE4ELNS1_11target_archE910ELNS1_3gpuE8ELNS1_3repE0EEENS1_59segmented_radix_sort_warp_sort_small_config_static_selectorELNS0_4arch9wavefront6targetE0EEEvSH_: ; @_ZN7rocprim17ROCPRIM_400000_NS6detail17trampoline_kernelINS0_14default_configENS1_36segmented_radix_sort_config_selectorIllEEZNS1_25segmented_radix_sort_implIS3_Lb1EPKlPlS8_S9_N2at6native12_GLOBAL__N_18offset_tEEE10hipError_tPvRmT1_PNSt15iterator_traitsISH_E10value_typeET2_T3_PNSI_ISN_E10value_typeET4_jRbjT5_ST_jjP12ihipStream_tbEUlT_E1_NS1_11comp_targetILNS1_3genE4ELNS1_11target_archE910ELNS1_3gpuE8ELNS1_3repE0EEENS1_59segmented_radix_sort_warp_sort_small_config_static_selectorELNS0_4arch9wavefront6targetE0EEEvSH_
; %bb.0:
	.section	.rodata,"a",@progbits
	.p2align	6, 0x0
	.amdhsa_kernel _ZN7rocprim17ROCPRIM_400000_NS6detail17trampoline_kernelINS0_14default_configENS1_36segmented_radix_sort_config_selectorIllEEZNS1_25segmented_radix_sort_implIS3_Lb1EPKlPlS8_S9_N2at6native12_GLOBAL__N_18offset_tEEE10hipError_tPvRmT1_PNSt15iterator_traitsISH_E10value_typeET2_T3_PNSI_ISN_E10value_typeET4_jRbjT5_ST_jjP12ihipStream_tbEUlT_E1_NS1_11comp_targetILNS1_3genE4ELNS1_11target_archE910ELNS1_3gpuE8ELNS1_3repE0EEENS1_59segmented_radix_sort_warp_sort_small_config_static_selectorELNS0_4arch9wavefront6targetE0EEEvSH_
		.amdhsa_group_segment_fixed_size 0
		.amdhsa_private_segment_fixed_size 0
		.amdhsa_kernarg_size 88
		.amdhsa_user_sgpr_count 2
		.amdhsa_user_sgpr_dispatch_ptr 0
		.amdhsa_user_sgpr_queue_ptr 0
		.amdhsa_user_sgpr_kernarg_segment_ptr 1
		.amdhsa_user_sgpr_dispatch_id 0
		.amdhsa_user_sgpr_kernarg_preload_length 0
		.amdhsa_user_sgpr_kernarg_preload_offset 0
		.amdhsa_user_sgpr_private_segment_size 0
		.amdhsa_wavefront_size32 1
		.amdhsa_uses_dynamic_stack 0
		.amdhsa_enable_private_segment 0
		.amdhsa_system_sgpr_workgroup_id_x 1
		.amdhsa_system_sgpr_workgroup_id_y 0
		.amdhsa_system_sgpr_workgroup_id_z 0
		.amdhsa_system_sgpr_workgroup_info 0
		.amdhsa_system_vgpr_workitem_id 0
		.amdhsa_next_free_vgpr 1
		.amdhsa_next_free_sgpr 1
		.amdhsa_named_barrier_count 0
		.amdhsa_reserve_vcc 0
		.amdhsa_float_round_mode_32 0
		.amdhsa_float_round_mode_16_64 0
		.amdhsa_float_denorm_mode_32 3
		.amdhsa_float_denorm_mode_16_64 3
		.amdhsa_fp16_overflow 0
		.amdhsa_memory_ordered 1
		.amdhsa_forward_progress 1
		.amdhsa_inst_pref_size 0
		.amdhsa_round_robin_scheduling 0
		.amdhsa_exception_fp_ieee_invalid_op 0
		.amdhsa_exception_fp_denorm_src 0
		.amdhsa_exception_fp_ieee_div_zero 0
		.amdhsa_exception_fp_ieee_overflow 0
		.amdhsa_exception_fp_ieee_underflow 0
		.amdhsa_exception_fp_ieee_inexact 0
		.amdhsa_exception_int_div_zero 0
	.end_amdhsa_kernel
	.section	.text._ZN7rocprim17ROCPRIM_400000_NS6detail17trampoline_kernelINS0_14default_configENS1_36segmented_radix_sort_config_selectorIllEEZNS1_25segmented_radix_sort_implIS3_Lb1EPKlPlS8_S9_N2at6native12_GLOBAL__N_18offset_tEEE10hipError_tPvRmT1_PNSt15iterator_traitsISH_E10value_typeET2_T3_PNSI_ISN_E10value_typeET4_jRbjT5_ST_jjP12ihipStream_tbEUlT_E1_NS1_11comp_targetILNS1_3genE4ELNS1_11target_archE910ELNS1_3gpuE8ELNS1_3repE0EEENS1_59segmented_radix_sort_warp_sort_small_config_static_selectorELNS0_4arch9wavefront6targetE0EEEvSH_,"axG",@progbits,_ZN7rocprim17ROCPRIM_400000_NS6detail17trampoline_kernelINS0_14default_configENS1_36segmented_radix_sort_config_selectorIllEEZNS1_25segmented_radix_sort_implIS3_Lb1EPKlPlS8_S9_N2at6native12_GLOBAL__N_18offset_tEEE10hipError_tPvRmT1_PNSt15iterator_traitsISH_E10value_typeET2_T3_PNSI_ISN_E10value_typeET4_jRbjT5_ST_jjP12ihipStream_tbEUlT_E1_NS1_11comp_targetILNS1_3genE4ELNS1_11target_archE910ELNS1_3gpuE8ELNS1_3repE0EEENS1_59segmented_radix_sort_warp_sort_small_config_static_selectorELNS0_4arch9wavefront6targetE0EEEvSH_,comdat
.Lfunc_end723:
	.size	_ZN7rocprim17ROCPRIM_400000_NS6detail17trampoline_kernelINS0_14default_configENS1_36segmented_radix_sort_config_selectorIllEEZNS1_25segmented_radix_sort_implIS3_Lb1EPKlPlS8_S9_N2at6native12_GLOBAL__N_18offset_tEEE10hipError_tPvRmT1_PNSt15iterator_traitsISH_E10value_typeET2_T3_PNSI_ISN_E10value_typeET4_jRbjT5_ST_jjP12ihipStream_tbEUlT_E1_NS1_11comp_targetILNS1_3genE4ELNS1_11target_archE910ELNS1_3gpuE8ELNS1_3repE0EEENS1_59segmented_radix_sort_warp_sort_small_config_static_selectorELNS0_4arch9wavefront6targetE0EEEvSH_, .Lfunc_end723-_ZN7rocprim17ROCPRIM_400000_NS6detail17trampoline_kernelINS0_14default_configENS1_36segmented_radix_sort_config_selectorIllEEZNS1_25segmented_radix_sort_implIS3_Lb1EPKlPlS8_S9_N2at6native12_GLOBAL__N_18offset_tEEE10hipError_tPvRmT1_PNSt15iterator_traitsISH_E10value_typeET2_T3_PNSI_ISN_E10value_typeET4_jRbjT5_ST_jjP12ihipStream_tbEUlT_E1_NS1_11comp_targetILNS1_3genE4ELNS1_11target_archE910ELNS1_3gpuE8ELNS1_3repE0EEENS1_59segmented_radix_sort_warp_sort_small_config_static_selectorELNS0_4arch9wavefront6targetE0EEEvSH_
                                        ; -- End function
	.set _ZN7rocprim17ROCPRIM_400000_NS6detail17trampoline_kernelINS0_14default_configENS1_36segmented_radix_sort_config_selectorIllEEZNS1_25segmented_radix_sort_implIS3_Lb1EPKlPlS8_S9_N2at6native12_GLOBAL__N_18offset_tEEE10hipError_tPvRmT1_PNSt15iterator_traitsISH_E10value_typeET2_T3_PNSI_ISN_E10value_typeET4_jRbjT5_ST_jjP12ihipStream_tbEUlT_E1_NS1_11comp_targetILNS1_3genE4ELNS1_11target_archE910ELNS1_3gpuE8ELNS1_3repE0EEENS1_59segmented_radix_sort_warp_sort_small_config_static_selectorELNS0_4arch9wavefront6targetE0EEEvSH_.num_vgpr, 0
	.set _ZN7rocprim17ROCPRIM_400000_NS6detail17trampoline_kernelINS0_14default_configENS1_36segmented_radix_sort_config_selectorIllEEZNS1_25segmented_radix_sort_implIS3_Lb1EPKlPlS8_S9_N2at6native12_GLOBAL__N_18offset_tEEE10hipError_tPvRmT1_PNSt15iterator_traitsISH_E10value_typeET2_T3_PNSI_ISN_E10value_typeET4_jRbjT5_ST_jjP12ihipStream_tbEUlT_E1_NS1_11comp_targetILNS1_3genE4ELNS1_11target_archE910ELNS1_3gpuE8ELNS1_3repE0EEENS1_59segmented_radix_sort_warp_sort_small_config_static_selectorELNS0_4arch9wavefront6targetE0EEEvSH_.num_agpr, 0
	.set _ZN7rocprim17ROCPRIM_400000_NS6detail17trampoline_kernelINS0_14default_configENS1_36segmented_radix_sort_config_selectorIllEEZNS1_25segmented_radix_sort_implIS3_Lb1EPKlPlS8_S9_N2at6native12_GLOBAL__N_18offset_tEEE10hipError_tPvRmT1_PNSt15iterator_traitsISH_E10value_typeET2_T3_PNSI_ISN_E10value_typeET4_jRbjT5_ST_jjP12ihipStream_tbEUlT_E1_NS1_11comp_targetILNS1_3genE4ELNS1_11target_archE910ELNS1_3gpuE8ELNS1_3repE0EEENS1_59segmented_radix_sort_warp_sort_small_config_static_selectorELNS0_4arch9wavefront6targetE0EEEvSH_.numbered_sgpr, 0
	.set _ZN7rocprim17ROCPRIM_400000_NS6detail17trampoline_kernelINS0_14default_configENS1_36segmented_radix_sort_config_selectorIllEEZNS1_25segmented_radix_sort_implIS3_Lb1EPKlPlS8_S9_N2at6native12_GLOBAL__N_18offset_tEEE10hipError_tPvRmT1_PNSt15iterator_traitsISH_E10value_typeET2_T3_PNSI_ISN_E10value_typeET4_jRbjT5_ST_jjP12ihipStream_tbEUlT_E1_NS1_11comp_targetILNS1_3genE4ELNS1_11target_archE910ELNS1_3gpuE8ELNS1_3repE0EEENS1_59segmented_radix_sort_warp_sort_small_config_static_selectorELNS0_4arch9wavefront6targetE0EEEvSH_.num_named_barrier, 0
	.set _ZN7rocprim17ROCPRIM_400000_NS6detail17trampoline_kernelINS0_14default_configENS1_36segmented_radix_sort_config_selectorIllEEZNS1_25segmented_radix_sort_implIS3_Lb1EPKlPlS8_S9_N2at6native12_GLOBAL__N_18offset_tEEE10hipError_tPvRmT1_PNSt15iterator_traitsISH_E10value_typeET2_T3_PNSI_ISN_E10value_typeET4_jRbjT5_ST_jjP12ihipStream_tbEUlT_E1_NS1_11comp_targetILNS1_3genE4ELNS1_11target_archE910ELNS1_3gpuE8ELNS1_3repE0EEENS1_59segmented_radix_sort_warp_sort_small_config_static_selectorELNS0_4arch9wavefront6targetE0EEEvSH_.private_seg_size, 0
	.set _ZN7rocprim17ROCPRIM_400000_NS6detail17trampoline_kernelINS0_14default_configENS1_36segmented_radix_sort_config_selectorIllEEZNS1_25segmented_radix_sort_implIS3_Lb1EPKlPlS8_S9_N2at6native12_GLOBAL__N_18offset_tEEE10hipError_tPvRmT1_PNSt15iterator_traitsISH_E10value_typeET2_T3_PNSI_ISN_E10value_typeET4_jRbjT5_ST_jjP12ihipStream_tbEUlT_E1_NS1_11comp_targetILNS1_3genE4ELNS1_11target_archE910ELNS1_3gpuE8ELNS1_3repE0EEENS1_59segmented_radix_sort_warp_sort_small_config_static_selectorELNS0_4arch9wavefront6targetE0EEEvSH_.uses_vcc, 0
	.set _ZN7rocprim17ROCPRIM_400000_NS6detail17trampoline_kernelINS0_14default_configENS1_36segmented_radix_sort_config_selectorIllEEZNS1_25segmented_radix_sort_implIS3_Lb1EPKlPlS8_S9_N2at6native12_GLOBAL__N_18offset_tEEE10hipError_tPvRmT1_PNSt15iterator_traitsISH_E10value_typeET2_T3_PNSI_ISN_E10value_typeET4_jRbjT5_ST_jjP12ihipStream_tbEUlT_E1_NS1_11comp_targetILNS1_3genE4ELNS1_11target_archE910ELNS1_3gpuE8ELNS1_3repE0EEENS1_59segmented_radix_sort_warp_sort_small_config_static_selectorELNS0_4arch9wavefront6targetE0EEEvSH_.uses_flat_scratch, 0
	.set _ZN7rocprim17ROCPRIM_400000_NS6detail17trampoline_kernelINS0_14default_configENS1_36segmented_radix_sort_config_selectorIllEEZNS1_25segmented_radix_sort_implIS3_Lb1EPKlPlS8_S9_N2at6native12_GLOBAL__N_18offset_tEEE10hipError_tPvRmT1_PNSt15iterator_traitsISH_E10value_typeET2_T3_PNSI_ISN_E10value_typeET4_jRbjT5_ST_jjP12ihipStream_tbEUlT_E1_NS1_11comp_targetILNS1_3genE4ELNS1_11target_archE910ELNS1_3gpuE8ELNS1_3repE0EEENS1_59segmented_radix_sort_warp_sort_small_config_static_selectorELNS0_4arch9wavefront6targetE0EEEvSH_.has_dyn_sized_stack, 0
	.set _ZN7rocprim17ROCPRIM_400000_NS6detail17trampoline_kernelINS0_14default_configENS1_36segmented_radix_sort_config_selectorIllEEZNS1_25segmented_radix_sort_implIS3_Lb1EPKlPlS8_S9_N2at6native12_GLOBAL__N_18offset_tEEE10hipError_tPvRmT1_PNSt15iterator_traitsISH_E10value_typeET2_T3_PNSI_ISN_E10value_typeET4_jRbjT5_ST_jjP12ihipStream_tbEUlT_E1_NS1_11comp_targetILNS1_3genE4ELNS1_11target_archE910ELNS1_3gpuE8ELNS1_3repE0EEENS1_59segmented_radix_sort_warp_sort_small_config_static_selectorELNS0_4arch9wavefront6targetE0EEEvSH_.has_recursion, 0
	.set _ZN7rocprim17ROCPRIM_400000_NS6detail17trampoline_kernelINS0_14default_configENS1_36segmented_radix_sort_config_selectorIllEEZNS1_25segmented_radix_sort_implIS3_Lb1EPKlPlS8_S9_N2at6native12_GLOBAL__N_18offset_tEEE10hipError_tPvRmT1_PNSt15iterator_traitsISH_E10value_typeET2_T3_PNSI_ISN_E10value_typeET4_jRbjT5_ST_jjP12ihipStream_tbEUlT_E1_NS1_11comp_targetILNS1_3genE4ELNS1_11target_archE910ELNS1_3gpuE8ELNS1_3repE0EEENS1_59segmented_radix_sort_warp_sort_small_config_static_selectorELNS0_4arch9wavefront6targetE0EEEvSH_.has_indirect_call, 0
	.section	.AMDGPU.csdata,"",@progbits
; Kernel info:
; codeLenInByte = 0
; TotalNumSgprs: 0
; NumVgprs: 0
; ScratchSize: 0
; MemoryBound: 0
; FloatMode: 240
; IeeeMode: 1
; LDSByteSize: 0 bytes/workgroup (compile time only)
; SGPRBlocks: 0
; VGPRBlocks: 0
; NumSGPRsForWavesPerEU: 1
; NumVGPRsForWavesPerEU: 1
; NamedBarCnt: 0
; Occupancy: 16
; WaveLimiterHint : 0
; COMPUTE_PGM_RSRC2:SCRATCH_EN: 0
; COMPUTE_PGM_RSRC2:USER_SGPR: 2
; COMPUTE_PGM_RSRC2:TRAP_HANDLER: 0
; COMPUTE_PGM_RSRC2:TGID_X_EN: 1
; COMPUTE_PGM_RSRC2:TGID_Y_EN: 0
; COMPUTE_PGM_RSRC2:TGID_Z_EN: 0
; COMPUTE_PGM_RSRC2:TIDIG_COMP_CNT: 0
	.section	.text._ZN7rocprim17ROCPRIM_400000_NS6detail17trampoline_kernelINS0_14default_configENS1_36segmented_radix_sort_config_selectorIllEEZNS1_25segmented_radix_sort_implIS3_Lb1EPKlPlS8_S9_N2at6native12_GLOBAL__N_18offset_tEEE10hipError_tPvRmT1_PNSt15iterator_traitsISH_E10value_typeET2_T3_PNSI_ISN_E10value_typeET4_jRbjT5_ST_jjP12ihipStream_tbEUlT_E1_NS1_11comp_targetILNS1_3genE3ELNS1_11target_archE908ELNS1_3gpuE7ELNS1_3repE0EEENS1_59segmented_radix_sort_warp_sort_small_config_static_selectorELNS0_4arch9wavefront6targetE0EEEvSH_,"axG",@progbits,_ZN7rocprim17ROCPRIM_400000_NS6detail17trampoline_kernelINS0_14default_configENS1_36segmented_radix_sort_config_selectorIllEEZNS1_25segmented_radix_sort_implIS3_Lb1EPKlPlS8_S9_N2at6native12_GLOBAL__N_18offset_tEEE10hipError_tPvRmT1_PNSt15iterator_traitsISH_E10value_typeET2_T3_PNSI_ISN_E10value_typeET4_jRbjT5_ST_jjP12ihipStream_tbEUlT_E1_NS1_11comp_targetILNS1_3genE3ELNS1_11target_archE908ELNS1_3gpuE7ELNS1_3repE0EEENS1_59segmented_radix_sort_warp_sort_small_config_static_selectorELNS0_4arch9wavefront6targetE0EEEvSH_,comdat
	.globl	_ZN7rocprim17ROCPRIM_400000_NS6detail17trampoline_kernelINS0_14default_configENS1_36segmented_radix_sort_config_selectorIllEEZNS1_25segmented_radix_sort_implIS3_Lb1EPKlPlS8_S9_N2at6native12_GLOBAL__N_18offset_tEEE10hipError_tPvRmT1_PNSt15iterator_traitsISH_E10value_typeET2_T3_PNSI_ISN_E10value_typeET4_jRbjT5_ST_jjP12ihipStream_tbEUlT_E1_NS1_11comp_targetILNS1_3genE3ELNS1_11target_archE908ELNS1_3gpuE7ELNS1_3repE0EEENS1_59segmented_radix_sort_warp_sort_small_config_static_selectorELNS0_4arch9wavefront6targetE0EEEvSH_ ; -- Begin function _ZN7rocprim17ROCPRIM_400000_NS6detail17trampoline_kernelINS0_14default_configENS1_36segmented_radix_sort_config_selectorIllEEZNS1_25segmented_radix_sort_implIS3_Lb1EPKlPlS8_S9_N2at6native12_GLOBAL__N_18offset_tEEE10hipError_tPvRmT1_PNSt15iterator_traitsISH_E10value_typeET2_T3_PNSI_ISN_E10value_typeET4_jRbjT5_ST_jjP12ihipStream_tbEUlT_E1_NS1_11comp_targetILNS1_3genE3ELNS1_11target_archE908ELNS1_3gpuE7ELNS1_3repE0EEENS1_59segmented_radix_sort_warp_sort_small_config_static_selectorELNS0_4arch9wavefront6targetE0EEEvSH_
	.p2align	8
	.type	_ZN7rocprim17ROCPRIM_400000_NS6detail17trampoline_kernelINS0_14default_configENS1_36segmented_radix_sort_config_selectorIllEEZNS1_25segmented_radix_sort_implIS3_Lb1EPKlPlS8_S9_N2at6native12_GLOBAL__N_18offset_tEEE10hipError_tPvRmT1_PNSt15iterator_traitsISH_E10value_typeET2_T3_PNSI_ISN_E10value_typeET4_jRbjT5_ST_jjP12ihipStream_tbEUlT_E1_NS1_11comp_targetILNS1_3genE3ELNS1_11target_archE908ELNS1_3gpuE7ELNS1_3repE0EEENS1_59segmented_radix_sort_warp_sort_small_config_static_selectorELNS0_4arch9wavefront6targetE0EEEvSH_,@function
_ZN7rocprim17ROCPRIM_400000_NS6detail17trampoline_kernelINS0_14default_configENS1_36segmented_radix_sort_config_selectorIllEEZNS1_25segmented_radix_sort_implIS3_Lb1EPKlPlS8_S9_N2at6native12_GLOBAL__N_18offset_tEEE10hipError_tPvRmT1_PNSt15iterator_traitsISH_E10value_typeET2_T3_PNSI_ISN_E10value_typeET4_jRbjT5_ST_jjP12ihipStream_tbEUlT_E1_NS1_11comp_targetILNS1_3genE3ELNS1_11target_archE908ELNS1_3gpuE7ELNS1_3repE0EEENS1_59segmented_radix_sort_warp_sort_small_config_static_selectorELNS0_4arch9wavefront6targetE0EEEvSH_: ; @_ZN7rocprim17ROCPRIM_400000_NS6detail17trampoline_kernelINS0_14default_configENS1_36segmented_radix_sort_config_selectorIllEEZNS1_25segmented_radix_sort_implIS3_Lb1EPKlPlS8_S9_N2at6native12_GLOBAL__N_18offset_tEEE10hipError_tPvRmT1_PNSt15iterator_traitsISH_E10value_typeET2_T3_PNSI_ISN_E10value_typeET4_jRbjT5_ST_jjP12ihipStream_tbEUlT_E1_NS1_11comp_targetILNS1_3genE3ELNS1_11target_archE908ELNS1_3gpuE7ELNS1_3repE0EEENS1_59segmented_radix_sort_warp_sort_small_config_static_selectorELNS0_4arch9wavefront6targetE0EEEvSH_
; %bb.0:
	.section	.rodata,"a",@progbits
	.p2align	6, 0x0
	.amdhsa_kernel _ZN7rocprim17ROCPRIM_400000_NS6detail17trampoline_kernelINS0_14default_configENS1_36segmented_radix_sort_config_selectorIllEEZNS1_25segmented_radix_sort_implIS3_Lb1EPKlPlS8_S9_N2at6native12_GLOBAL__N_18offset_tEEE10hipError_tPvRmT1_PNSt15iterator_traitsISH_E10value_typeET2_T3_PNSI_ISN_E10value_typeET4_jRbjT5_ST_jjP12ihipStream_tbEUlT_E1_NS1_11comp_targetILNS1_3genE3ELNS1_11target_archE908ELNS1_3gpuE7ELNS1_3repE0EEENS1_59segmented_radix_sort_warp_sort_small_config_static_selectorELNS0_4arch9wavefront6targetE0EEEvSH_
		.amdhsa_group_segment_fixed_size 0
		.amdhsa_private_segment_fixed_size 0
		.amdhsa_kernarg_size 88
		.amdhsa_user_sgpr_count 2
		.amdhsa_user_sgpr_dispatch_ptr 0
		.amdhsa_user_sgpr_queue_ptr 0
		.amdhsa_user_sgpr_kernarg_segment_ptr 1
		.amdhsa_user_sgpr_dispatch_id 0
		.amdhsa_user_sgpr_kernarg_preload_length 0
		.amdhsa_user_sgpr_kernarg_preload_offset 0
		.amdhsa_user_sgpr_private_segment_size 0
		.amdhsa_wavefront_size32 1
		.amdhsa_uses_dynamic_stack 0
		.amdhsa_enable_private_segment 0
		.amdhsa_system_sgpr_workgroup_id_x 1
		.amdhsa_system_sgpr_workgroup_id_y 0
		.amdhsa_system_sgpr_workgroup_id_z 0
		.amdhsa_system_sgpr_workgroup_info 0
		.amdhsa_system_vgpr_workitem_id 0
		.amdhsa_next_free_vgpr 1
		.amdhsa_next_free_sgpr 1
		.amdhsa_named_barrier_count 0
		.amdhsa_reserve_vcc 0
		.amdhsa_float_round_mode_32 0
		.amdhsa_float_round_mode_16_64 0
		.amdhsa_float_denorm_mode_32 3
		.amdhsa_float_denorm_mode_16_64 3
		.amdhsa_fp16_overflow 0
		.amdhsa_memory_ordered 1
		.amdhsa_forward_progress 1
		.amdhsa_inst_pref_size 0
		.amdhsa_round_robin_scheduling 0
		.amdhsa_exception_fp_ieee_invalid_op 0
		.amdhsa_exception_fp_denorm_src 0
		.amdhsa_exception_fp_ieee_div_zero 0
		.amdhsa_exception_fp_ieee_overflow 0
		.amdhsa_exception_fp_ieee_underflow 0
		.amdhsa_exception_fp_ieee_inexact 0
		.amdhsa_exception_int_div_zero 0
	.end_amdhsa_kernel
	.section	.text._ZN7rocprim17ROCPRIM_400000_NS6detail17trampoline_kernelINS0_14default_configENS1_36segmented_radix_sort_config_selectorIllEEZNS1_25segmented_radix_sort_implIS3_Lb1EPKlPlS8_S9_N2at6native12_GLOBAL__N_18offset_tEEE10hipError_tPvRmT1_PNSt15iterator_traitsISH_E10value_typeET2_T3_PNSI_ISN_E10value_typeET4_jRbjT5_ST_jjP12ihipStream_tbEUlT_E1_NS1_11comp_targetILNS1_3genE3ELNS1_11target_archE908ELNS1_3gpuE7ELNS1_3repE0EEENS1_59segmented_radix_sort_warp_sort_small_config_static_selectorELNS0_4arch9wavefront6targetE0EEEvSH_,"axG",@progbits,_ZN7rocprim17ROCPRIM_400000_NS6detail17trampoline_kernelINS0_14default_configENS1_36segmented_radix_sort_config_selectorIllEEZNS1_25segmented_radix_sort_implIS3_Lb1EPKlPlS8_S9_N2at6native12_GLOBAL__N_18offset_tEEE10hipError_tPvRmT1_PNSt15iterator_traitsISH_E10value_typeET2_T3_PNSI_ISN_E10value_typeET4_jRbjT5_ST_jjP12ihipStream_tbEUlT_E1_NS1_11comp_targetILNS1_3genE3ELNS1_11target_archE908ELNS1_3gpuE7ELNS1_3repE0EEENS1_59segmented_radix_sort_warp_sort_small_config_static_selectorELNS0_4arch9wavefront6targetE0EEEvSH_,comdat
.Lfunc_end724:
	.size	_ZN7rocprim17ROCPRIM_400000_NS6detail17trampoline_kernelINS0_14default_configENS1_36segmented_radix_sort_config_selectorIllEEZNS1_25segmented_radix_sort_implIS3_Lb1EPKlPlS8_S9_N2at6native12_GLOBAL__N_18offset_tEEE10hipError_tPvRmT1_PNSt15iterator_traitsISH_E10value_typeET2_T3_PNSI_ISN_E10value_typeET4_jRbjT5_ST_jjP12ihipStream_tbEUlT_E1_NS1_11comp_targetILNS1_3genE3ELNS1_11target_archE908ELNS1_3gpuE7ELNS1_3repE0EEENS1_59segmented_radix_sort_warp_sort_small_config_static_selectorELNS0_4arch9wavefront6targetE0EEEvSH_, .Lfunc_end724-_ZN7rocprim17ROCPRIM_400000_NS6detail17trampoline_kernelINS0_14default_configENS1_36segmented_radix_sort_config_selectorIllEEZNS1_25segmented_radix_sort_implIS3_Lb1EPKlPlS8_S9_N2at6native12_GLOBAL__N_18offset_tEEE10hipError_tPvRmT1_PNSt15iterator_traitsISH_E10value_typeET2_T3_PNSI_ISN_E10value_typeET4_jRbjT5_ST_jjP12ihipStream_tbEUlT_E1_NS1_11comp_targetILNS1_3genE3ELNS1_11target_archE908ELNS1_3gpuE7ELNS1_3repE0EEENS1_59segmented_radix_sort_warp_sort_small_config_static_selectorELNS0_4arch9wavefront6targetE0EEEvSH_
                                        ; -- End function
	.set _ZN7rocprim17ROCPRIM_400000_NS6detail17trampoline_kernelINS0_14default_configENS1_36segmented_radix_sort_config_selectorIllEEZNS1_25segmented_radix_sort_implIS3_Lb1EPKlPlS8_S9_N2at6native12_GLOBAL__N_18offset_tEEE10hipError_tPvRmT1_PNSt15iterator_traitsISH_E10value_typeET2_T3_PNSI_ISN_E10value_typeET4_jRbjT5_ST_jjP12ihipStream_tbEUlT_E1_NS1_11comp_targetILNS1_3genE3ELNS1_11target_archE908ELNS1_3gpuE7ELNS1_3repE0EEENS1_59segmented_radix_sort_warp_sort_small_config_static_selectorELNS0_4arch9wavefront6targetE0EEEvSH_.num_vgpr, 0
	.set _ZN7rocprim17ROCPRIM_400000_NS6detail17trampoline_kernelINS0_14default_configENS1_36segmented_radix_sort_config_selectorIllEEZNS1_25segmented_radix_sort_implIS3_Lb1EPKlPlS8_S9_N2at6native12_GLOBAL__N_18offset_tEEE10hipError_tPvRmT1_PNSt15iterator_traitsISH_E10value_typeET2_T3_PNSI_ISN_E10value_typeET4_jRbjT5_ST_jjP12ihipStream_tbEUlT_E1_NS1_11comp_targetILNS1_3genE3ELNS1_11target_archE908ELNS1_3gpuE7ELNS1_3repE0EEENS1_59segmented_radix_sort_warp_sort_small_config_static_selectorELNS0_4arch9wavefront6targetE0EEEvSH_.num_agpr, 0
	.set _ZN7rocprim17ROCPRIM_400000_NS6detail17trampoline_kernelINS0_14default_configENS1_36segmented_radix_sort_config_selectorIllEEZNS1_25segmented_radix_sort_implIS3_Lb1EPKlPlS8_S9_N2at6native12_GLOBAL__N_18offset_tEEE10hipError_tPvRmT1_PNSt15iterator_traitsISH_E10value_typeET2_T3_PNSI_ISN_E10value_typeET4_jRbjT5_ST_jjP12ihipStream_tbEUlT_E1_NS1_11comp_targetILNS1_3genE3ELNS1_11target_archE908ELNS1_3gpuE7ELNS1_3repE0EEENS1_59segmented_radix_sort_warp_sort_small_config_static_selectorELNS0_4arch9wavefront6targetE0EEEvSH_.numbered_sgpr, 0
	.set _ZN7rocprim17ROCPRIM_400000_NS6detail17trampoline_kernelINS0_14default_configENS1_36segmented_radix_sort_config_selectorIllEEZNS1_25segmented_radix_sort_implIS3_Lb1EPKlPlS8_S9_N2at6native12_GLOBAL__N_18offset_tEEE10hipError_tPvRmT1_PNSt15iterator_traitsISH_E10value_typeET2_T3_PNSI_ISN_E10value_typeET4_jRbjT5_ST_jjP12ihipStream_tbEUlT_E1_NS1_11comp_targetILNS1_3genE3ELNS1_11target_archE908ELNS1_3gpuE7ELNS1_3repE0EEENS1_59segmented_radix_sort_warp_sort_small_config_static_selectorELNS0_4arch9wavefront6targetE0EEEvSH_.num_named_barrier, 0
	.set _ZN7rocprim17ROCPRIM_400000_NS6detail17trampoline_kernelINS0_14default_configENS1_36segmented_radix_sort_config_selectorIllEEZNS1_25segmented_radix_sort_implIS3_Lb1EPKlPlS8_S9_N2at6native12_GLOBAL__N_18offset_tEEE10hipError_tPvRmT1_PNSt15iterator_traitsISH_E10value_typeET2_T3_PNSI_ISN_E10value_typeET4_jRbjT5_ST_jjP12ihipStream_tbEUlT_E1_NS1_11comp_targetILNS1_3genE3ELNS1_11target_archE908ELNS1_3gpuE7ELNS1_3repE0EEENS1_59segmented_radix_sort_warp_sort_small_config_static_selectorELNS0_4arch9wavefront6targetE0EEEvSH_.private_seg_size, 0
	.set _ZN7rocprim17ROCPRIM_400000_NS6detail17trampoline_kernelINS0_14default_configENS1_36segmented_radix_sort_config_selectorIllEEZNS1_25segmented_radix_sort_implIS3_Lb1EPKlPlS8_S9_N2at6native12_GLOBAL__N_18offset_tEEE10hipError_tPvRmT1_PNSt15iterator_traitsISH_E10value_typeET2_T3_PNSI_ISN_E10value_typeET4_jRbjT5_ST_jjP12ihipStream_tbEUlT_E1_NS1_11comp_targetILNS1_3genE3ELNS1_11target_archE908ELNS1_3gpuE7ELNS1_3repE0EEENS1_59segmented_radix_sort_warp_sort_small_config_static_selectorELNS0_4arch9wavefront6targetE0EEEvSH_.uses_vcc, 0
	.set _ZN7rocprim17ROCPRIM_400000_NS6detail17trampoline_kernelINS0_14default_configENS1_36segmented_radix_sort_config_selectorIllEEZNS1_25segmented_radix_sort_implIS3_Lb1EPKlPlS8_S9_N2at6native12_GLOBAL__N_18offset_tEEE10hipError_tPvRmT1_PNSt15iterator_traitsISH_E10value_typeET2_T3_PNSI_ISN_E10value_typeET4_jRbjT5_ST_jjP12ihipStream_tbEUlT_E1_NS1_11comp_targetILNS1_3genE3ELNS1_11target_archE908ELNS1_3gpuE7ELNS1_3repE0EEENS1_59segmented_radix_sort_warp_sort_small_config_static_selectorELNS0_4arch9wavefront6targetE0EEEvSH_.uses_flat_scratch, 0
	.set _ZN7rocprim17ROCPRIM_400000_NS6detail17trampoline_kernelINS0_14default_configENS1_36segmented_radix_sort_config_selectorIllEEZNS1_25segmented_radix_sort_implIS3_Lb1EPKlPlS8_S9_N2at6native12_GLOBAL__N_18offset_tEEE10hipError_tPvRmT1_PNSt15iterator_traitsISH_E10value_typeET2_T3_PNSI_ISN_E10value_typeET4_jRbjT5_ST_jjP12ihipStream_tbEUlT_E1_NS1_11comp_targetILNS1_3genE3ELNS1_11target_archE908ELNS1_3gpuE7ELNS1_3repE0EEENS1_59segmented_radix_sort_warp_sort_small_config_static_selectorELNS0_4arch9wavefront6targetE0EEEvSH_.has_dyn_sized_stack, 0
	.set _ZN7rocprim17ROCPRIM_400000_NS6detail17trampoline_kernelINS0_14default_configENS1_36segmented_radix_sort_config_selectorIllEEZNS1_25segmented_radix_sort_implIS3_Lb1EPKlPlS8_S9_N2at6native12_GLOBAL__N_18offset_tEEE10hipError_tPvRmT1_PNSt15iterator_traitsISH_E10value_typeET2_T3_PNSI_ISN_E10value_typeET4_jRbjT5_ST_jjP12ihipStream_tbEUlT_E1_NS1_11comp_targetILNS1_3genE3ELNS1_11target_archE908ELNS1_3gpuE7ELNS1_3repE0EEENS1_59segmented_radix_sort_warp_sort_small_config_static_selectorELNS0_4arch9wavefront6targetE0EEEvSH_.has_recursion, 0
	.set _ZN7rocprim17ROCPRIM_400000_NS6detail17trampoline_kernelINS0_14default_configENS1_36segmented_radix_sort_config_selectorIllEEZNS1_25segmented_radix_sort_implIS3_Lb1EPKlPlS8_S9_N2at6native12_GLOBAL__N_18offset_tEEE10hipError_tPvRmT1_PNSt15iterator_traitsISH_E10value_typeET2_T3_PNSI_ISN_E10value_typeET4_jRbjT5_ST_jjP12ihipStream_tbEUlT_E1_NS1_11comp_targetILNS1_3genE3ELNS1_11target_archE908ELNS1_3gpuE7ELNS1_3repE0EEENS1_59segmented_radix_sort_warp_sort_small_config_static_selectorELNS0_4arch9wavefront6targetE0EEEvSH_.has_indirect_call, 0
	.section	.AMDGPU.csdata,"",@progbits
; Kernel info:
; codeLenInByte = 0
; TotalNumSgprs: 0
; NumVgprs: 0
; ScratchSize: 0
; MemoryBound: 0
; FloatMode: 240
; IeeeMode: 1
; LDSByteSize: 0 bytes/workgroup (compile time only)
; SGPRBlocks: 0
; VGPRBlocks: 0
; NumSGPRsForWavesPerEU: 1
; NumVGPRsForWavesPerEU: 1
; NamedBarCnt: 0
; Occupancy: 16
; WaveLimiterHint : 0
; COMPUTE_PGM_RSRC2:SCRATCH_EN: 0
; COMPUTE_PGM_RSRC2:USER_SGPR: 2
; COMPUTE_PGM_RSRC2:TRAP_HANDLER: 0
; COMPUTE_PGM_RSRC2:TGID_X_EN: 1
; COMPUTE_PGM_RSRC2:TGID_Y_EN: 0
; COMPUTE_PGM_RSRC2:TGID_Z_EN: 0
; COMPUTE_PGM_RSRC2:TIDIG_COMP_CNT: 0
	.section	.text._ZN7rocprim17ROCPRIM_400000_NS6detail17trampoline_kernelINS0_14default_configENS1_36segmented_radix_sort_config_selectorIllEEZNS1_25segmented_radix_sort_implIS3_Lb1EPKlPlS8_S9_N2at6native12_GLOBAL__N_18offset_tEEE10hipError_tPvRmT1_PNSt15iterator_traitsISH_E10value_typeET2_T3_PNSI_ISN_E10value_typeET4_jRbjT5_ST_jjP12ihipStream_tbEUlT_E1_NS1_11comp_targetILNS1_3genE2ELNS1_11target_archE906ELNS1_3gpuE6ELNS1_3repE0EEENS1_59segmented_radix_sort_warp_sort_small_config_static_selectorELNS0_4arch9wavefront6targetE0EEEvSH_,"axG",@progbits,_ZN7rocprim17ROCPRIM_400000_NS6detail17trampoline_kernelINS0_14default_configENS1_36segmented_radix_sort_config_selectorIllEEZNS1_25segmented_radix_sort_implIS3_Lb1EPKlPlS8_S9_N2at6native12_GLOBAL__N_18offset_tEEE10hipError_tPvRmT1_PNSt15iterator_traitsISH_E10value_typeET2_T3_PNSI_ISN_E10value_typeET4_jRbjT5_ST_jjP12ihipStream_tbEUlT_E1_NS1_11comp_targetILNS1_3genE2ELNS1_11target_archE906ELNS1_3gpuE6ELNS1_3repE0EEENS1_59segmented_radix_sort_warp_sort_small_config_static_selectorELNS0_4arch9wavefront6targetE0EEEvSH_,comdat
	.globl	_ZN7rocprim17ROCPRIM_400000_NS6detail17trampoline_kernelINS0_14default_configENS1_36segmented_radix_sort_config_selectorIllEEZNS1_25segmented_radix_sort_implIS3_Lb1EPKlPlS8_S9_N2at6native12_GLOBAL__N_18offset_tEEE10hipError_tPvRmT1_PNSt15iterator_traitsISH_E10value_typeET2_T3_PNSI_ISN_E10value_typeET4_jRbjT5_ST_jjP12ihipStream_tbEUlT_E1_NS1_11comp_targetILNS1_3genE2ELNS1_11target_archE906ELNS1_3gpuE6ELNS1_3repE0EEENS1_59segmented_radix_sort_warp_sort_small_config_static_selectorELNS0_4arch9wavefront6targetE0EEEvSH_ ; -- Begin function _ZN7rocprim17ROCPRIM_400000_NS6detail17trampoline_kernelINS0_14default_configENS1_36segmented_radix_sort_config_selectorIllEEZNS1_25segmented_radix_sort_implIS3_Lb1EPKlPlS8_S9_N2at6native12_GLOBAL__N_18offset_tEEE10hipError_tPvRmT1_PNSt15iterator_traitsISH_E10value_typeET2_T3_PNSI_ISN_E10value_typeET4_jRbjT5_ST_jjP12ihipStream_tbEUlT_E1_NS1_11comp_targetILNS1_3genE2ELNS1_11target_archE906ELNS1_3gpuE6ELNS1_3repE0EEENS1_59segmented_radix_sort_warp_sort_small_config_static_selectorELNS0_4arch9wavefront6targetE0EEEvSH_
	.p2align	8
	.type	_ZN7rocprim17ROCPRIM_400000_NS6detail17trampoline_kernelINS0_14default_configENS1_36segmented_radix_sort_config_selectorIllEEZNS1_25segmented_radix_sort_implIS3_Lb1EPKlPlS8_S9_N2at6native12_GLOBAL__N_18offset_tEEE10hipError_tPvRmT1_PNSt15iterator_traitsISH_E10value_typeET2_T3_PNSI_ISN_E10value_typeET4_jRbjT5_ST_jjP12ihipStream_tbEUlT_E1_NS1_11comp_targetILNS1_3genE2ELNS1_11target_archE906ELNS1_3gpuE6ELNS1_3repE0EEENS1_59segmented_radix_sort_warp_sort_small_config_static_selectorELNS0_4arch9wavefront6targetE0EEEvSH_,@function
_ZN7rocprim17ROCPRIM_400000_NS6detail17trampoline_kernelINS0_14default_configENS1_36segmented_radix_sort_config_selectorIllEEZNS1_25segmented_radix_sort_implIS3_Lb1EPKlPlS8_S9_N2at6native12_GLOBAL__N_18offset_tEEE10hipError_tPvRmT1_PNSt15iterator_traitsISH_E10value_typeET2_T3_PNSI_ISN_E10value_typeET4_jRbjT5_ST_jjP12ihipStream_tbEUlT_E1_NS1_11comp_targetILNS1_3genE2ELNS1_11target_archE906ELNS1_3gpuE6ELNS1_3repE0EEENS1_59segmented_radix_sort_warp_sort_small_config_static_selectorELNS0_4arch9wavefront6targetE0EEEvSH_: ; @_ZN7rocprim17ROCPRIM_400000_NS6detail17trampoline_kernelINS0_14default_configENS1_36segmented_radix_sort_config_selectorIllEEZNS1_25segmented_radix_sort_implIS3_Lb1EPKlPlS8_S9_N2at6native12_GLOBAL__N_18offset_tEEE10hipError_tPvRmT1_PNSt15iterator_traitsISH_E10value_typeET2_T3_PNSI_ISN_E10value_typeET4_jRbjT5_ST_jjP12ihipStream_tbEUlT_E1_NS1_11comp_targetILNS1_3genE2ELNS1_11target_archE906ELNS1_3gpuE6ELNS1_3repE0EEENS1_59segmented_radix_sort_warp_sort_small_config_static_selectorELNS0_4arch9wavefront6targetE0EEEvSH_
; %bb.0:
	.section	.rodata,"a",@progbits
	.p2align	6, 0x0
	.amdhsa_kernel _ZN7rocprim17ROCPRIM_400000_NS6detail17trampoline_kernelINS0_14default_configENS1_36segmented_radix_sort_config_selectorIllEEZNS1_25segmented_radix_sort_implIS3_Lb1EPKlPlS8_S9_N2at6native12_GLOBAL__N_18offset_tEEE10hipError_tPvRmT1_PNSt15iterator_traitsISH_E10value_typeET2_T3_PNSI_ISN_E10value_typeET4_jRbjT5_ST_jjP12ihipStream_tbEUlT_E1_NS1_11comp_targetILNS1_3genE2ELNS1_11target_archE906ELNS1_3gpuE6ELNS1_3repE0EEENS1_59segmented_radix_sort_warp_sort_small_config_static_selectorELNS0_4arch9wavefront6targetE0EEEvSH_
		.amdhsa_group_segment_fixed_size 0
		.amdhsa_private_segment_fixed_size 0
		.amdhsa_kernarg_size 88
		.amdhsa_user_sgpr_count 2
		.amdhsa_user_sgpr_dispatch_ptr 0
		.amdhsa_user_sgpr_queue_ptr 0
		.amdhsa_user_sgpr_kernarg_segment_ptr 1
		.amdhsa_user_sgpr_dispatch_id 0
		.amdhsa_user_sgpr_kernarg_preload_length 0
		.amdhsa_user_sgpr_kernarg_preload_offset 0
		.amdhsa_user_sgpr_private_segment_size 0
		.amdhsa_wavefront_size32 1
		.amdhsa_uses_dynamic_stack 0
		.amdhsa_enable_private_segment 0
		.amdhsa_system_sgpr_workgroup_id_x 1
		.amdhsa_system_sgpr_workgroup_id_y 0
		.amdhsa_system_sgpr_workgroup_id_z 0
		.amdhsa_system_sgpr_workgroup_info 0
		.amdhsa_system_vgpr_workitem_id 0
		.amdhsa_next_free_vgpr 1
		.amdhsa_next_free_sgpr 1
		.amdhsa_named_barrier_count 0
		.amdhsa_reserve_vcc 0
		.amdhsa_float_round_mode_32 0
		.amdhsa_float_round_mode_16_64 0
		.amdhsa_float_denorm_mode_32 3
		.amdhsa_float_denorm_mode_16_64 3
		.amdhsa_fp16_overflow 0
		.amdhsa_memory_ordered 1
		.amdhsa_forward_progress 1
		.amdhsa_inst_pref_size 0
		.amdhsa_round_robin_scheduling 0
		.amdhsa_exception_fp_ieee_invalid_op 0
		.amdhsa_exception_fp_denorm_src 0
		.amdhsa_exception_fp_ieee_div_zero 0
		.amdhsa_exception_fp_ieee_overflow 0
		.amdhsa_exception_fp_ieee_underflow 0
		.amdhsa_exception_fp_ieee_inexact 0
		.amdhsa_exception_int_div_zero 0
	.end_amdhsa_kernel
	.section	.text._ZN7rocprim17ROCPRIM_400000_NS6detail17trampoline_kernelINS0_14default_configENS1_36segmented_radix_sort_config_selectorIllEEZNS1_25segmented_radix_sort_implIS3_Lb1EPKlPlS8_S9_N2at6native12_GLOBAL__N_18offset_tEEE10hipError_tPvRmT1_PNSt15iterator_traitsISH_E10value_typeET2_T3_PNSI_ISN_E10value_typeET4_jRbjT5_ST_jjP12ihipStream_tbEUlT_E1_NS1_11comp_targetILNS1_3genE2ELNS1_11target_archE906ELNS1_3gpuE6ELNS1_3repE0EEENS1_59segmented_radix_sort_warp_sort_small_config_static_selectorELNS0_4arch9wavefront6targetE0EEEvSH_,"axG",@progbits,_ZN7rocprim17ROCPRIM_400000_NS6detail17trampoline_kernelINS0_14default_configENS1_36segmented_radix_sort_config_selectorIllEEZNS1_25segmented_radix_sort_implIS3_Lb1EPKlPlS8_S9_N2at6native12_GLOBAL__N_18offset_tEEE10hipError_tPvRmT1_PNSt15iterator_traitsISH_E10value_typeET2_T3_PNSI_ISN_E10value_typeET4_jRbjT5_ST_jjP12ihipStream_tbEUlT_E1_NS1_11comp_targetILNS1_3genE2ELNS1_11target_archE906ELNS1_3gpuE6ELNS1_3repE0EEENS1_59segmented_radix_sort_warp_sort_small_config_static_selectorELNS0_4arch9wavefront6targetE0EEEvSH_,comdat
.Lfunc_end725:
	.size	_ZN7rocprim17ROCPRIM_400000_NS6detail17trampoline_kernelINS0_14default_configENS1_36segmented_radix_sort_config_selectorIllEEZNS1_25segmented_radix_sort_implIS3_Lb1EPKlPlS8_S9_N2at6native12_GLOBAL__N_18offset_tEEE10hipError_tPvRmT1_PNSt15iterator_traitsISH_E10value_typeET2_T3_PNSI_ISN_E10value_typeET4_jRbjT5_ST_jjP12ihipStream_tbEUlT_E1_NS1_11comp_targetILNS1_3genE2ELNS1_11target_archE906ELNS1_3gpuE6ELNS1_3repE0EEENS1_59segmented_radix_sort_warp_sort_small_config_static_selectorELNS0_4arch9wavefront6targetE0EEEvSH_, .Lfunc_end725-_ZN7rocprim17ROCPRIM_400000_NS6detail17trampoline_kernelINS0_14default_configENS1_36segmented_radix_sort_config_selectorIllEEZNS1_25segmented_radix_sort_implIS3_Lb1EPKlPlS8_S9_N2at6native12_GLOBAL__N_18offset_tEEE10hipError_tPvRmT1_PNSt15iterator_traitsISH_E10value_typeET2_T3_PNSI_ISN_E10value_typeET4_jRbjT5_ST_jjP12ihipStream_tbEUlT_E1_NS1_11comp_targetILNS1_3genE2ELNS1_11target_archE906ELNS1_3gpuE6ELNS1_3repE0EEENS1_59segmented_radix_sort_warp_sort_small_config_static_selectorELNS0_4arch9wavefront6targetE0EEEvSH_
                                        ; -- End function
	.set _ZN7rocprim17ROCPRIM_400000_NS6detail17trampoline_kernelINS0_14default_configENS1_36segmented_radix_sort_config_selectorIllEEZNS1_25segmented_radix_sort_implIS3_Lb1EPKlPlS8_S9_N2at6native12_GLOBAL__N_18offset_tEEE10hipError_tPvRmT1_PNSt15iterator_traitsISH_E10value_typeET2_T3_PNSI_ISN_E10value_typeET4_jRbjT5_ST_jjP12ihipStream_tbEUlT_E1_NS1_11comp_targetILNS1_3genE2ELNS1_11target_archE906ELNS1_3gpuE6ELNS1_3repE0EEENS1_59segmented_radix_sort_warp_sort_small_config_static_selectorELNS0_4arch9wavefront6targetE0EEEvSH_.num_vgpr, 0
	.set _ZN7rocprim17ROCPRIM_400000_NS6detail17trampoline_kernelINS0_14default_configENS1_36segmented_radix_sort_config_selectorIllEEZNS1_25segmented_radix_sort_implIS3_Lb1EPKlPlS8_S9_N2at6native12_GLOBAL__N_18offset_tEEE10hipError_tPvRmT1_PNSt15iterator_traitsISH_E10value_typeET2_T3_PNSI_ISN_E10value_typeET4_jRbjT5_ST_jjP12ihipStream_tbEUlT_E1_NS1_11comp_targetILNS1_3genE2ELNS1_11target_archE906ELNS1_3gpuE6ELNS1_3repE0EEENS1_59segmented_radix_sort_warp_sort_small_config_static_selectorELNS0_4arch9wavefront6targetE0EEEvSH_.num_agpr, 0
	.set _ZN7rocprim17ROCPRIM_400000_NS6detail17trampoline_kernelINS0_14default_configENS1_36segmented_radix_sort_config_selectorIllEEZNS1_25segmented_radix_sort_implIS3_Lb1EPKlPlS8_S9_N2at6native12_GLOBAL__N_18offset_tEEE10hipError_tPvRmT1_PNSt15iterator_traitsISH_E10value_typeET2_T3_PNSI_ISN_E10value_typeET4_jRbjT5_ST_jjP12ihipStream_tbEUlT_E1_NS1_11comp_targetILNS1_3genE2ELNS1_11target_archE906ELNS1_3gpuE6ELNS1_3repE0EEENS1_59segmented_radix_sort_warp_sort_small_config_static_selectorELNS0_4arch9wavefront6targetE0EEEvSH_.numbered_sgpr, 0
	.set _ZN7rocprim17ROCPRIM_400000_NS6detail17trampoline_kernelINS0_14default_configENS1_36segmented_radix_sort_config_selectorIllEEZNS1_25segmented_radix_sort_implIS3_Lb1EPKlPlS8_S9_N2at6native12_GLOBAL__N_18offset_tEEE10hipError_tPvRmT1_PNSt15iterator_traitsISH_E10value_typeET2_T3_PNSI_ISN_E10value_typeET4_jRbjT5_ST_jjP12ihipStream_tbEUlT_E1_NS1_11comp_targetILNS1_3genE2ELNS1_11target_archE906ELNS1_3gpuE6ELNS1_3repE0EEENS1_59segmented_radix_sort_warp_sort_small_config_static_selectorELNS0_4arch9wavefront6targetE0EEEvSH_.num_named_barrier, 0
	.set _ZN7rocprim17ROCPRIM_400000_NS6detail17trampoline_kernelINS0_14default_configENS1_36segmented_radix_sort_config_selectorIllEEZNS1_25segmented_radix_sort_implIS3_Lb1EPKlPlS8_S9_N2at6native12_GLOBAL__N_18offset_tEEE10hipError_tPvRmT1_PNSt15iterator_traitsISH_E10value_typeET2_T3_PNSI_ISN_E10value_typeET4_jRbjT5_ST_jjP12ihipStream_tbEUlT_E1_NS1_11comp_targetILNS1_3genE2ELNS1_11target_archE906ELNS1_3gpuE6ELNS1_3repE0EEENS1_59segmented_radix_sort_warp_sort_small_config_static_selectorELNS0_4arch9wavefront6targetE0EEEvSH_.private_seg_size, 0
	.set _ZN7rocprim17ROCPRIM_400000_NS6detail17trampoline_kernelINS0_14default_configENS1_36segmented_radix_sort_config_selectorIllEEZNS1_25segmented_radix_sort_implIS3_Lb1EPKlPlS8_S9_N2at6native12_GLOBAL__N_18offset_tEEE10hipError_tPvRmT1_PNSt15iterator_traitsISH_E10value_typeET2_T3_PNSI_ISN_E10value_typeET4_jRbjT5_ST_jjP12ihipStream_tbEUlT_E1_NS1_11comp_targetILNS1_3genE2ELNS1_11target_archE906ELNS1_3gpuE6ELNS1_3repE0EEENS1_59segmented_radix_sort_warp_sort_small_config_static_selectorELNS0_4arch9wavefront6targetE0EEEvSH_.uses_vcc, 0
	.set _ZN7rocprim17ROCPRIM_400000_NS6detail17trampoline_kernelINS0_14default_configENS1_36segmented_radix_sort_config_selectorIllEEZNS1_25segmented_radix_sort_implIS3_Lb1EPKlPlS8_S9_N2at6native12_GLOBAL__N_18offset_tEEE10hipError_tPvRmT1_PNSt15iterator_traitsISH_E10value_typeET2_T3_PNSI_ISN_E10value_typeET4_jRbjT5_ST_jjP12ihipStream_tbEUlT_E1_NS1_11comp_targetILNS1_3genE2ELNS1_11target_archE906ELNS1_3gpuE6ELNS1_3repE0EEENS1_59segmented_radix_sort_warp_sort_small_config_static_selectorELNS0_4arch9wavefront6targetE0EEEvSH_.uses_flat_scratch, 0
	.set _ZN7rocprim17ROCPRIM_400000_NS6detail17trampoline_kernelINS0_14default_configENS1_36segmented_radix_sort_config_selectorIllEEZNS1_25segmented_radix_sort_implIS3_Lb1EPKlPlS8_S9_N2at6native12_GLOBAL__N_18offset_tEEE10hipError_tPvRmT1_PNSt15iterator_traitsISH_E10value_typeET2_T3_PNSI_ISN_E10value_typeET4_jRbjT5_ST_jjP12ihipStream_tbEUlT_E1_NS1_11comp_targetILNS1_3genE2ELNS1_11target_archE906ELNS1_3gpuE6ELNS1_3repE0EEENS1_59segmented_radix_sort_warp_sort_small_config_static_selectorELNS0_4arch9wavefront6targetE0EEEvSH_.has_dyn_sized_stack, 0
	.set _ZN7rocprim17ROCPRIM_400000_NS6detail17trampoline_kernelINS0_14default_configENS1_36segmented_radix_sort_config_selectorIllEEZNS1_25segmented_radix_sort_implIS3_Lb1EPKlPlS8_S9_N2at6native12_GLOBAL__N_18offset_tEEE10hipError_tPvRmT1_PNSt15iterator_traitsISH_E10value_typeET2_T3_PNSI_ISN_E10value_typeET4_jRbjT5_ST_jjP12ihipStream_tbEUlT_E1_NS1_11comp_targetILNS1_3genE2ELNS1_11target_archE906ELNS1_3gpuE6ELNS1_3repE0EEENS1_59segmented_radix_sort_warp_sort_small_config_static_selectorELNS0_4arch9wavefront6targetE0EEEvSH_.has_recursion, 0
	.set _ZN7rocprim17ROCPRIM_400000_NS6detail17trampoline_kernelINS0_14default_configENS1_36segmented_radix_sort_config_selectorIllEEZNS1_25segmented_radix_sort_implIS3_Lb1EPKlPlS8_S9_N2at6native12_GLOBAL__N_18offset_tEEE10hipError_tPvRmT1_PNSt15iterator_traitsISH_E10value_typeET2_T3_PNSI_ISN_E10value_typeET4_jRbjT5_ST_jjP12ihipStream_tbEUlT_E1_NS1_11comp_targetILNS1_3genE2ELNS1_11target_archE906ELNS1_3gpuE6ELNS1_3repE0EEENS1_59segmented_radix_sort_warp_sort_small_config_static_selectorELNS0_4arch9wavefront6targetE0EEEvSH_.has_indirect_call, 0
	.section	.AMDGPU.csdata,"",@progbits
; Kernel info:
; codeLenInByte = 0
; TotalNumSgprs: 0
; NumVgprs: 0
; ScratchSize: 0
; MemoryBound: 0
; FloatMode: 240
; IeeeMode: 1
; LDSByteSize: 0 bytes/workgroup (compile time only)
; SGPRBlocks: 0
; VGPRBlocks: 0
; NumSGPRsForWavesPerEU: 1
; NumVGPRsForWavesPerEU: 1
; NamedBarCnt: 0
; Occupancy: 16
; WaveLimiterHint : 0
; COMPUTE_PGM_RSRC2:SCRATCH_EN: 0
; COMPUTE_PGM_RSRC2:USER_SGPR: 2
; COMPUTE_PGM_RSRC2:TRAP_HANDLER: 0
; COMPUTE_PGM_RSRC2:TGID_X_EN: 1
; COMPUTE_PGM_RSRC2:TGID_Y_EN: 0
; COMPUTE_PGM_RSRC2:TGID_Z_EN: 0
; COMPUTE_PGM_RSRC2:TIDIG_COMP_CNT: 0
	.section	.text._ZN7rocprim17ROCPRIM_400000_NS6detail17trampoline_kernelINS0_14default_configENS1_36segmented_radix_sort_config_selectorIllEEZNS1_25segmented_radix_sort_implIS3_Lb1EPKlPlS8_S9_N2at6native12_GLOBAL__N_18offset_tEEE10hipError_tPvRmT1_PNSt15iterator_traitsISH_E10value_typeET2_T3_PNSI_ISN_E10value_typeET4_jRbjT5_ST_jjP12ihipStream_tbEUlT_E1_NS1_11comp_targetILNS1_3genE10ELNS1_11target_archE1201ELNS1_3gpuE5ELNS1_3repE0EEENS1_59segmented_radix_sort_warp_sort_small_config_static_selectorELNS0_4arch9wavefront6targetE0EEEvSH_,"axG",@progbits,_ZN7rocprim17ROCPRIM_400000_NS6detail17trampoline_kernelINS0_14default_configENS1_36segmented_radix_sort_config_selectorIllEEZNS1_25segmented_radix_sort_implIS3_Lb1EPKlPlS8_S9_N2at6native12_GLOBAL__N_18offset_tEEE10hipError_tPvRmT1_PNSt15iterator_traitsISH_E10value_typeET2_T3_PNSI_ISN_E10value_typeET4_jRbjT5_ST_jjP12ihipStream_tbEUlT_E1_NS1_11comp_targetILNS1_3genE10ELNS1_11target_archE1201ELNS1_3gpuE5ELNS1_3repE0EEENS1_59segmented_radix_sort_warp_sort_small_config_static_selectorELNS0_4arch9wavefront6targetE0EEEvSH_,comdat
	.globl	_ZN7rocprim17ROCPRIM_400000_NS6detail17trampoline_kernelINS0_14default_configENS1_36segmented_radix_sort_config_selectorIllEEZNS1_25segmented_radix_sort_implIS3_Lb1EPKlPlS8_S9_N2at6native12_GLOBAL__N_18offset_tEEE10hipError_tPvRmT1_PNSt15iterator_traitsISH_E10value_typeET2_T3_PNSI_ISN_E10value_typeET4_jRbjT5_ST_jjP12ihipStream_tbEUlT_E1_NS1_11comp_targetILNS1_3genE10ELNS1_11target_archE1201ELNS1_3gpuE5ELNS1_3repE0EEENS1_59segmented_radix_sort_warp_sort_small_config_static_selectorELNS0_4arch9wavefront6targetE0EEEvSH_ ; -- Begin function _ZN7rocprim17ROCPRIM_400000_NS6detail17trampoline_kernelINS0_14default_configENS1_36segmented_radix_sort_config_selectorIllEEZNS1_25segmented_radix_sort_implIS3_Lb1EPKlPlS8_S9_N2at6native12_GLOBAL__N_18offset_tEEE10hipError_tPvRmT1_PNSt15iterator_traitsISH_E10value_typeET2_T3_PNSI_ISN_E10value_typeET4_jRbjT5_ST_jjP12ihipStream_tbEUlT_E1_NS1_11comp_targetILNS1_3genE10ELNS1_11target_archE1201ELNS1_3gpuE5ELNS1_3repE0EEENS1_59segmented_radix_sort_warp_sort_small_config_static_selectorELNS0_4arch9wavefront6targetE0EEEvSH_
	.p2align	8
	.type	_ZN7rocprim17ROCPRIM_400000_NS6detail17trampoline_kernelINS0_14default_configENS1_36segmented_radix_sort_config_selectorIllEEZNS1_25segmented_radix_sort_implIS3_Lb1EPKlPlS8_S9_N2at6native12_GLOBAL__N_18offset_tEEE10hipError_tPvRmT1_PNSt15iterator_traitsISH_E10value_typeET2_T3_PNSI_ISN_E10value_typeET4_jRbjT5_ST_jjP12ihipStream_tbEUlT_E1_NS1_11comp_targetILNS1_3genE10ELNS1_11target_archE1201ELNS1_3gpuE5ELNS1_3repE0EEENS1_59segmented_radix_sort_warp_sort_small_config_static_selectorELNS0_4arch9wavefront6targetE0EEEvSH_,@function
_ZN7rocprim17ROCPRIM_400000_NS6detail17trampoline_kernelINS0_14default_configENS1_36segmented_radix_sort_config_selectorIllEEZNS1_25segmented_radix_sort_implIS3_Lb1EPKlPlS8_S9_N2at6native12_GLOBAL__N_18offset_tEEE10hipError_tPvRmT1_PNSt15iterator_traitsISH_E10value_typeET2_T3_PNSI_ISN_E10value_typeET4_jRbjT5_ST_jjP12ihipStream_tbEUlT_E1_NS1_11comp_targetILNS1_3genE10ELNS1_11target_archE1201ELNS1_3gpuE5ELNS1_3repE0EEENS1_59segmented_radix_sort_warp_sort_small_config_static_selectorELNS0_4arch9wavefront6targetE0EEEvSH_: ; @_ZN7rocprim17ROCPRIM_400000_NS6detail17trampoline_kernelINS0_14default_configENS1_36segmented_radix_sort_config_selectorIllEEZNS1_25segmented_radix_sort_implIS3_Lb1EPKlPlS8_S9_N2at6native12_GLOBAL__N_18offset_tEEE10hipError_tPvRmT1_PNSt15iterator_traitsISH_E10value_typeET2_T3_PNSI_ISN_E10value_typeET4_jRbjT5_ST_jjP12ihipStream_tbEUlT_E1_NS1_11comp_targetILNS1_3genE10ELNS1_11target_archE1201ELNS1_3gpuE5ELNS1_3repE0EEENS1_59segmented_radix_sort_warp_sort_small_config_static_selectorELNS0_4arch9wavefront6targetE0EEEvSH_
; %bb.0:
	.section	.rodata,"a",@progbits
	.p2align	6, 0x0
	.amdhsa_kernel _ZN7rocprim17ROCPRIM_400000_NS6detail17trampoline_kernelINS0_14default_configENS1_36segmented_radix_sort_config_selectorIllEEZNS1_25segmented_radix_sort_implIS3_Lb1EPKlPlS8_S9_N2at6native12_GLOBAL__N_18offset_tEEE10hipError_tPvRmT1_PNSt15iterator_traitsISH_E10value_typeET2_T3_PNSI_ISN_E10value_typeET4_jRbjT5_ST_jjP12ihipStream_tbEUlT_E1_NS1_11comp_targetILNS1_3genE10ELNS1_11target_archE1201ELNS1_3gpuE5ELNS1_3repE0EEENS1_59segmented_radix_sort_warp_sort_small_config_static_selectorELNS0_4arch9wavefront6targetE0EEEvSH_
		.amdhsa_group_segment_fixed_size 0
		.amdhsa_private_segment_fixed_size 0
		.amdhsa_kernarg_size 88
		.amdhsa_user_sgpr_count 2
		.amdhsa_user_sgpr_dispatch_ptr 0
		.amdhsa_user_sgpr_queue_ptr 0
		.amdhsa_user_sgpr_kernarg_segment_ptr 1
		.amdhsa_user_sgpr_dispatch_id 0
		.amdhsa_user_sgpr_kernarg_preload_length 0
		.amdhsa_user_sgpr_kernarg_preload_offset 0
		.amdhsa_user_sgpr_private_segment_size 0
		.amdhsa_wavefront_size32 1
		.amdhsa_uses_dynamic_stack 0
		.amdhsa_enable_private_segment 0
		.amdhsa_system_sgpr_workgroup_id_x 1
		.amdhsa_system_sgpr_workgroup_id_y 0
		.amdhsa_system_sgpr_workgroup_id_z 0
		.amdhsa_system_sgpr_workgroup_info 0
		.amdhsa_system_vgpr_workitem_id 0
		.amdhsa_next_free_vgpr 1
		.amdhsa_next_free_sgpr 1
		.amdhsa_named_barrier_count 0
		.amdhsa_reserve_vcc 0
		.amdhsa_float_round_mode_32 0
		.amdhsa_float_round_mode_16_64 0
		.amdhsa_float_denorm_mode_32 3
		.amdhsa_float_denorm_mode_16_64 3
		.amdhsa_fp16_overflow 0
		.amdhsa_memory_ordered 1
		.amdhsa_forward_progress 1
		.amdhsa_inst_pref_size 0
		.amdhsa_round_robin_scheduling 0
		.amdhsa_exception_fp_ieee_invalid_op 0
		.amdhsa_exception_fp_denorm_src 0
		.amdhsa_exception_fp_ieee_div_zero 0
		.amdhsa_exception_fp_ieee_overflow 0
		.amdhsa_exception_fp_ieee_underflow 0
		.amdhsa_exception_fp_ieee_inexact 0
		.amdhsa_exception_int_div_zero 0
	.end_amdhsa_kernel
	.section	.text._ZN7rocprim17ROCPRIM_400000_NS6detail17trampoline_kernelINS0_14default_configENS1_36segmented_radix_sort_config_selectorIllEEZNS1_25segmented_radix_sort_implIS3_Lb1EPKlPlS8_S9_N2at6native12_GLOBAL__N_18offset_tEEE10hipError_tPvRmT1_PNSt15iterator_traitsISH_E10value_typeET2_T3_PNSI_ISN_E10value_typeET4_jRbjT5_ST_jjP12ihipStream_tbEUlT_E1_NS1_11comp_targetILNS1_3genE10ELNS1_11target_archE1201ELNS1_3gpuE5ELNS1_3repE0EEENS1_59segmented_radix_sort_warp_sort_small_config_static_selectorELNS0_4arch9wavefront6targetE0EEEvSH_,"axG",@progbits,_ZN7rocprim17ROCPRIM_400000_NS6detail17trampoline_kernelINS0_14default_configENS1_36segmented_radix_sort_config_selectorIllEEZNS1_25segmented_radix_sort_implIS3_Lb1EPKlPlS8_S9_N2at6native12_GLOBAL__N_18offset_tEEE10hipError_tPvRmT1_PNSt15iterator_traitsISH_E10value_typeET2_T3_PNSI_ISN_E10value_typeET4_jRbjT5_ST_jjP12ihipStream_tbEUlT_E1_NS1_11comp_targetILNS1_3genE10ELNS1_11target_archE1201ELNS1_3gpuE5ELNS1_3repE0EEENS1_59segmented_radix_sort_warp_sort_small_config_static_selectorELNS0_4arch9wavefront6targetE0EEEvSH_,comdat
.Lfunc_end726:
	.size	_ZN7rocprim17ROCPRIM_400000_NS6detail17trampoline_kernelINS0_14default_configENS1_36segmented_radix_sort_config_selectorIllEEZNS1_25segmented_radix_sort_implIS3_Lb1EPKlPlS8_S9_N2at6native12_GLOBAL__N_18offset_tEEE10hipError_tPvRmT1_PNSt15iterator_traitsISH_E10value_typeET2_T3_PNSI_ISN_E10value_typeET4_jRbjT5_ST_jjP12ihipStream_tbEUlT_E1_NS1_11comp_targetILNS1_3genE10ELNS1_11target_archE1201ELNS1_3gpuE5ELNS1_3repE0EEENS1_59segmented_radix_sort_warp_sort_small_config_static_selectorELNS0_4arch9wavefront6targetE0EEEvSH_, .Lfunc_end726-_ZN7rocprim17ROCPRIM_400000_NS6detail17trampoline_kernelINS0_14default_configENS1_36segmented_radix_sort_config_selectorIllEEZNS1_25segmented_radix_sort_implIS3_Lb1EPKlPlS8_S9_N2at6native12_GLOBAL__N_18offset_tEEE10hipError_tPvRmT1_PNSt15iterator_traitsISH_E10value_typeET2_T3_PNSI_ISN_E10value_typeET4_jRbjT5_ST_jjP12ihipStream_tbEUlT_E1_NS1_11comp_targetILNS1_3genE10ELNS1_11target_archE1201ELNS1_3gpuE5ELNS1_3repE0EEENS1_59segmented_radix_sort_warp_sort_small_config_static_selectorELNS0_4arch9wavefront6targetE0EEEvSH_
                                        ; -- End function
	.set _ZN7rocprim17ROCPRIM_400000_NS6detail17trampoline_kernelINS0_14default_configENS1_36segmented_radix_sort_config_selectorIllEEZNS1_25segmented_radix_sort_implIS3_Lb1EPKlPlS8_S9_N2at6native12_GLOBAL__N_18offset_tEEE10hipError_tPvRmT1_PNSt15iterator_traitsISH_E10value_typeET2_T3_PNSI_ISN_E10value_typeET4_jRbjT5_ST_jjP12ihipStream_tbEUlT_E1_NS1_11comp_targetILNS1_3genE10ELNS1_11target_archE1201ELNS1_3gpuE5ELNS1_3repE0EEENS1_59segmented_radix_sort_warp_sort_small_config_static_selectorELNS0_4arch9wavefront6targetE0EEEvSH_.num_vgpr, 0
	.set _ZN7rocprim17ROCPRIM_400000_NS6detail17trampoline_kernelINS0_14default_configENS1_36segmented_radix_sort_config_selectorIllEEZNS1_25segmented_radix_sort_implIS3_Lb1EPKlPlS8_S9_N2at6native12_GLOBAL__N_18offset_tEEE10hipError_tPvRmT1_PNSt15iterator_traitsISH_E10value_typeET2_T3_PNSI_ISN_E10value_typeET4_jRbjT5_ST_jjP12ihipStream_tbEUlT_E1_NS1_11comp_targetILNS1_3genE10ELNS1_11target_archE1201ELNS1_3gpuE5ELNS1_3repE0EEENS1_59segmented_radix_sort_warp_sort_small_config_static_selectorELNS0_4arch9wavefront6targetE0EEEvSH_.num_agpr, 0
	.set _ZN7rocprim17ROCPRIM_400000_NS6detail17trampoline_kernelINS0_14default_configENS1_36segmented_radix_sort_config_selectorIllEEZNS1_25segmented_radix_sort_implIS3_Lb1EPKlPlS8_S9_N2at6native12_GLOBAL__N_18offset_tEEE10hipError_tPvRmT1_PNSt15iterator_traitsISH_E10value_typeET2_T3_PNSI_ISN_E10value_typeET4_jRbjT5_ST_jjP12ihipStream_tbEUlT_E1_NS1_11comp_targetILNS1_3genE10ELNS1_11target_archE1201ELNS1_3gpuE5ELNS1_3repE0EEENS1_59segmented_radix_sort_warp_sort_small_config_static_selectorELNS0_4arch9wavefront6targetE0EEEvSH_.numbered_sgpr, 0
	.set _ZN7rocprim17ROCPRIM_400000_NS6detail17trampoline_kernelINS0_14default_configENS1_36segmented_radix_sort_config_selectorIllEEZNS1_25segmented_radix_sort_implIS3_Lb1EPKlPlS8_S9_N2at6native12_GLOBAL__N_18offset_tEEE10hipError_tPvRmT1_PNSt15iterator_traitsISH_E10value_typeET2_T3_PNSI_ISN_E10value_typeET4_jRbjT5_ST_jjP12ihipStream_tbEUlT_E1_NS1_11comp_targetILNS1_3genE10ELNS1_11target_archE1201ELNS1_3gpuE5ELNS1_3repE0EEENS1_59segmented_radix_sort_warp_sort_small_config_static_selectorELNS0_4arch9wavefront6targetE0EEEvSH_.num_named_barrier, 0
	.set _ZN7rocprim17ROCPRIM_400000_NS6detail17trampoline_kernelINS0_14default_configENS1_36segmented_radix_sort_config_selectorIllEEZNS1_25segmented_radix_sort_implIS3_Lb1EPKlPlS8_S9_N2at6native12_GLOBAL__N_18offset_tEEE10hipError_tPvRmT1_PNSt15iterator_traitsISH_E10value_typeET2_T3_PNSI_ISN_E10value_typeET4_jRbjT5_ST_jjP12ihipStream_tbEUlT_E1_NS1_11comp_targetILNS1_3genE10ELNS1_11target_archE1201ELNS1_3gpuE5ELNS1_3repE0EEENS1_59segmented_radix_sort_warp_sort_small_config_static_selectorELNS0_4arch9wavefront6targetE0EEEvSH_.private_seg_size, 0
	.set _ZN7rocprim17ROCPRIM_400000_NS6detail17trampoline_kernelINS0_14default_configENS1_36segmented_radix_sort_config_selectorIllEEZNS1_25segmented_radix_sort_implIS3_Lb1EPKlPlS8_S9_N2at6native12_GLOBAL__N_18offset_tEEE10hipError_tPvRmT1_PNSt15iterator_traitsISH_E10value_typeET2_T3_PNSI_ISN_E10value_typeET4_jRbjT5_ST_jjP12ihipStream_tbEUlT_E1_NS1_11comp_targetILNS1_3genE10ELNS1_11target_archE1201ELNS1_3gpuE5ELNS1_3repE0EEENS1_59segmented_radix_sort_warp_sort_small_config_static_selectorELNS0_4arch9wavefront6targetE0EEEvSH_.uses_vcc, 0
	.set _ZN7rocprim17ROCPRIM_400000_NS6detail17trampoline_kernelINS0_14default_configENS1_36segmented_radix_sort_config_selectorIllEEZNS1_25segmented_radix_sort_implIS3_Lb1EPKlPlS8_S9_N2at6native12_GLOBAL__N_18offset_tEEE10hipError_tPvRmT1_PNSt15iterator_traitsISH_E10value_typeET2_T3_PNSI_ISN_E10value_typeET4_jRbjT5_ST_jjP12ihipStream_tbEUlT_E1_NS1_11comp_targetILNS1_3genE10ELNS1_11target_archE1201ELNS1_3gpuE5ELNS1_3repE0EEENS1_59segmented_radix_sort_warp_sort_small_config_static_selectorELNS0_4arch9wavefront6targetE0EEEvSH_.uses_flat_scratch, 0
	.set _ZN7rocprim17ROCPRIM_400000_NS6detail17trampoline_kernelINS0_14default_configENS1_36segmented_radix_sort_config_selectorIllEEZNS1_25segmented_radix_sort_implIS3_Lb1EPKlPlS8_S9_N2at6native12_GLOBAL__N_18offset_tEEE10hipError_tPvRmT1_PNSt15iterator_traitsISH_E10value_typeET2_T3_PNSI_ISN_E10value_typeET4_jRbjT5_ST_jjP12ihipStream_tbEUlT_E1_NS1_11comp_targetILNS1_3genE10ELNS1_11target_archE1201ELNS1_3gpuE5ELNS1_3repE0EEENS1_59segmented_radix_sort_warp_sort_small_config_static_selectorELNS0_4arch9wavefront6targetE0EEEvSH_.has_dyn_sized_stack, 0
	.set _ZN7rocprim17ROCPRIM_400000_NS6detail17trampoline_kernelINS0_14default_configENS1_36segmented_radix_sort_config_selectorIllEEZNS1_25segmented_radix_sort_implIS3_Lb1EPKlPlS8_S9_N2at6native12_GLOBAL__N_18offset_tEEE10hipError_tPvRmT1_PNSt15iterator_traitsISH_E10value_typeET2_T3_PNSI_ISN_E10value_typeET4_jRbjT5_ST_jjP12ihipStream_tbEUlT_E1_NS1_11comp_targetILNS1_3genE10ELNS1_11target_archE1201ELNS1_3gpuE5ELNS1_3repE0EEENS1_59segmented_radix_sort_warp_sort_small_config_static_selectorELNS0_4arch9wavefront6targetE0EEEvSH_.has_recursion, 0
	.set _ZN7rocprim17ROCPRIM_400000_NS6detail17trampoline_kernelINS0_14default_configENS1_36segmented_radix_sort_config_selectorIllEEZNS1_25segmented_radix_sort_implIS3_Lb1EPKlPlS8_S9_N2at6native12_GLOBAL__N_18offset_tEEE10hipError_tPvRmT1_PNSt15iterator_traitsISH_E10value_typeET2_T3_PNSI_ISN_E10value_typeET4_jRbjT5_ST_jjP12ihipStream_tbEUlT_E1_NS1_11comp_targetILNS1_3genE10ELNS1_11target_archE1201ELNS1_3gpuE5ELNS1_3repE0EEENS1_59segmented_radix_sort_warp_sort_small_config_static_selectorELNS0_4arch9wavefront6targetE0EEEvSH_.has_indirect_call, 0
	.section	.AMDGPU.csdata,"",@progbits
; Kernel info:
; codeLenInByte = 0
; TotalNumSgprs: 0
; NumVgprs: 0
; ScratchSize: 0
; MemoryBound: 0
; FloatMode: 240
; IeeeMode: 1
; LDSByteSize: 0 bytes/workgroup (compile time only)
; SGPRBlocks: 0
; VGPRBlocks: 0
; NumSGPRsForWavesPerEU: 1
; NumVGPRsForWavesPerEU: 1
; NamedBarCnt: 0
; Occupancy: 16
; WaveLimiterHint : 0
; COMPUTE_PGM_RSRC2:SCRATCH_EN: 0
; COMPUTE_PGM_RSRC2:USER_SGPR: 2
; COMPUTE_PGM_RSRC2:TRAP_HANDLER: 0
; COMPUTE_PGM_RSRC2:TGID_X_EN: 1
; COMPUTE_PGM_RSRC2:TGID_Y_EN: 0
; COMPUTE_PGM_RSRC2:TGID_Z_EN: 0
; COMPUTE_PGM_RSRC2:TIDIG_COMP_CNT: 0
	.section	.text._ZN7rocprim17ROCPRIM_400000_NS6detail17trampoline_kernelINS0_14default_configENS1_36segmented_radix_sort_config_selectorIllEEZNS1_25segmented_radix_sort_implIS3_Lb1EPKlPlS8_S9_N2at6native12_GLOBAL__N_18offset_tEEE10hipError_tPvRmT1_PNSt15iterator_traitsISH_E10value_typeET2_T3_PNSI_ISN_E10value_typeET4_jRbjT5_ST_jjP12ihipStream_tbEUlT_E1_NS1_11comp_targetILNS1_3genE10ELNS1_11target_archE1200ELNS1_3gpuE4ELNS1_3repE0EEENS1_59segmented_radix_sort_warp_sort_small_config_static_selectorELNS0_4arch9wavefront6targetE0EEEvSH_,"axG",@progbits,_ZN7rocprim17ROCPRIM_400000_NS6detail17trampoline_kernelINS0_14default_configENS1_36segmented_radix_sort_config_selectorIllEEZNS1_25segmented_radix_sort_implIS3_Lb1EPKlPlS8_S9_N2at6native12_GLOBAL__N_18offset_tEEE10hipError_tPvRmT1_PNSt15iterator_traitsISH_E10value_typeET2_T3_PNSI_ISN_E10value_typeET4_jRbjT5_ST_jjP12ihipStream_tbEUlT_E1_NS1_11comp_targetILNS1_3genE10ELNS1_11target_archE1200ELNS1_3gpuE4ELNS1_3repE0EEENS1_59segmented_radix_sort_warp_sort_small_config_static_selectorELNS0_4arch9wavefront6targetE0EEEvSH_,comdat
	.globl	_ZN7rocprim17ROCPRIM_400000_NS6detail17trampoline_kernelINS0_14default_configENS1_36segmented_radix_sort_config_selectorIllEEZNS1_25segmented_radix_sort_implIS3_Lb1EPKlPlS8_S9_N2at6native12_GLOBAL__N_18offset_tEEE10hipError_tPvRmT1_PNSt15iterator_traitsISH_E10value_typeET2_T3_PNSI_ISN_E10value_typeET4_jRbjT5_ST_jjP12ihipStream_tbEUlT_E1_NS1_11comp_targetILNS1_3genE10ELNS1_11target_archE1200ELNS1_3gpuE4ELNS1_3repE0EEENS1_59segmented_radix_sort_warp_sort_small_config_static_selectorELNS0_4arch9wavefront6targetE0EEEvSH_ ; -- Begin function _ZN7rocprim17ROCPRIM_400000_NS6detail17trampoline_kernelINS0_14default_configENS1_36segmented_radix_sort_config_selectorIllEEZNS1_25segmented_radix_sort_implIS3_Lb1EPKlPlS8_S9_N2at6native12_GLOBAL__N_18offset_tEEE10hipError_tPvRmT1_PNSt15iterator_traitsISH_E10value_typeET2_T3_PNSI_ISN_E10value_typeET4_jRbjT5_ST_jjP12ihipStream_tbEUlT_E1_NS1_11comp_targetILNS1_3genE10ELNS1_11target_archE1200ELNS1_3gpuE4ELNS1_3repE0EEENS1_59segmented_radix_sort_warp_sort_small_config_static_selectorELNS0_4arch9wavefront6targetE0EEEvSH_
	.p2align	8
	.type	_ZN7rocprim17ROCPRIM_400000_NS6detail17trampoline_kernelINS0_14default_configENS1_36segmented_radix_sort_config_selectorIllEEZNS1_25segmented_radix_sort_implIS3_Lb1EPKlPlS8_S9_N2at6native12_GLOBAL__N_18offset_tEEE10hipError_tPvRmT1_PNSt15iterator_traitsISH_E10value_typeET2_T3_PNSI_ISN_E10value_typeET4_jRbjT5_ST_jjP12ihipStream_tbEUlT_E1_NS1_11comp_targetILNS1_3genE10ELNS1_11target_archE1200ELNS1_3gpuE4ELNS1_3repE0EEENS1_59segmented_radix_sort_warp_sort_small_config_static_selectorELNS0_4arch9wavefront6targetE0EEEvSH_,@function
_ZN7rocprim17ROCPRIM_400000_NS6detail17trampoline_kernelINS0_14default_configENS1_36segmented_radix_sort_config_selectorIllEEZNS1_25segmented_radix_sort_implIS3_Lb1EPKlPlS8_S9_N2at6native12_GLOBAL__N_18offset_tEEE10hipError_tPvRmT1_PNSt15iterator_traitsISH_E10value_typeET2_T3_PNSI_ISN_E10value_typeET4_jRbjT5_ST_jjP12ihipStream_tbEUlT_E1_NS1_11comp_targetILNS1_3genE10ELNS1_11target_archE1200ELNS1_3gpuE4ELNS1_3repE0EEENS1_59segmented_radix_sort_warp_sort_small_config_static_selectorELNS0_4arch9wavefront6targetE0EEEvSH_: ; @_ZN7rocprim17ROCPRIM_400000_NS6detail17trampoline_kernelINS0_14default_configENS1_36segmented_radix_sort_config_selectorIllEEZNS1_25segmented_radix_sort_implIS3_Lb1EPKlPlS8_S9_N2at6native12_GLOBAL__N_18offset_tEEE10hipError_tPvRmT1_PNSt15iterator_traitsISH_E10value_typeET2_T3_PNSI_ISN_E10value_typeET4_jRbjT5_ST_jjP12ihipStream_tbEUlT_E1_NS1_11comp_targetILNS1_3genE10ELNS1_11target_archE1200ELNS1_3gpuE4ELNS1_3repE0EEENS1_59segmented_radix_sort_warp_sort_small_config_static_selectorELNS0_4arch9wavefront6targetE0EEEvSH_
; %bb.0:
	.section	.rodata,"a",@progbits
	.p2align	6, 0x0
	.amdhsa_kernel _ZN7rocprim17ROCPRIM_400000_NS6detail17trampoline_kernelINS0_14default_configENS1_36segmented_radix_sort_config_selectorIllEEZNS1_25segmented_radix_sort_implIS3_Lb1EPKlPlS8_S9_N2at6native12_GLOBAL__N_18offset_tEEE10hipError_tPvRmT1_PNSt15iterator_traitsISH_E10value_typeET2_T3_PNSI_ISN_E10value_typeET4_jRbjT5_ST_jjP12ihipStream_tbEUlT_E1_NS1_11comp_targetILNS1_3genE10ELNS1_11target_archE1200ELNS1_3gpuE4ELNS1_3repE0EEENS1_59segmented_radix_sort_warp_sort_small_config_static_selectorELNS0_4arch9wavefront6targetE0EEEvSH_
		.amdhsa_group_segment_fixed_size 0
		.amdhsa_private_segment_fixed_size 0
		.amdhsa_kernarg_size 88
		.amdhsa_user_sgpr_count 2
		.amdhsa_user_sgpr_dispatch_ptr 0
		.amdhsa_user_sgpr_queue_ptr 0
		.amdhsa_user_sgpr_kernarg_segment_ptr 1
		.amdhsa_user_sgpr_dispatch_id 0
		.amdhsa_user_sgpr_kernarg_preload_length 0
		.amdhsa_user_sgpr_kernarg_preload_offset 0
		.amdhsa_user_sgpr_private_segment_size 0
		.amdhsa_wavefront_size32 1
		.amdhsa_uses_dynamic_stack 0
		.amdhsa_enable_private_segment 0
		.amdhsa_system_sgpr_workgroup_id_x 1
		.amdhsa_system_sgpr_workgroup_id_y 0
		.amdhsa_system_sgpr_workgroup_id_z 0
		.amdhsa_system_sgpr_workgroup_info 0
		.amdhsa_system_vgpr_workitem_id 0
		.amdhsa_next_free_vgpr 1
		.amdhsa_next_free_sgpr 1
		.amdhsa_named_barrier_count 0
		.amdhsa_reserve_vcc 0
		.amdhsa_float_round_mode_32 0
		.amdhsa_float_round_mode_16_64 0
		.amdhsa_float_denorm_mode_32 3
		.amdhsa_float_denorm_mode_16_64 3
		.amdhsa_fp16_overflow 0
		.amdhsa_memory_ordered 1
		.amdhsa_forward_progress 1
		.amdhsa_inst_pref_size 0
		.amdhsa_round_robin_scheduling 0
		.amdhsa_exception_fp_ieee_invalid_op 0
		.amdhsa_exception_fp_denorm_src 0
		.amdhsa_exception_fp_ieee_div_zero 0
		.amdhsa_exception_fp_ieee_overflow 0
		.amdhsa_exception_fp_ieee_underflow 0
		.amdhsa_exception_fp_ieee_inexact 0
		.amdhsa_exception_int_div_zero 0
	.end_amdhsa_kernel
	.section	.text._ZN7rocprim17ROCPRIM_400000_NS6detail17trampoline_kernelINS0_14default_configENS1_36segmented_radix_sort_config_selectorIllEEZNS1_25segmented_radix_sort_implIS3_Lb1EPKlPlS8_S9_N2at6native12_GLOBAL__N_18offset_tEEE10hipError_tPvRmT1_PNSt15iterator_traitsISH_E10value_typeET2_T3_PNSI_ISN_E10value_typeET4_jRbjT5_ST_jjP12ihipStream_tbEUlT_E1_NS1_11comp_targetILNS1_3genE10ELNS1_11target_archE1200ELNS1_3gpuE4ELNS1_3repE0EEENS1_59segmented_radix_sort_warp_sort_small_config_static_selectorELNS0_4arch9wavefront6targetE0EEEvSH_,"axG",@progbits,_ZN7rocprim17ROCPRIM_400000_NS6detail17trampoline_kernelINS0_14default_configENS1_36segmented_radix_sort_config_selectorIllEEZNS1_25segmented_radix_sort_implIS3_Lb1EPKlPlS8_S9_N2at6native12_GLOBAL__N_18offset_tEEE10hipError_tPvRmT1_PNSt15iterator_traitsISH_E10value_typeET2_T3_PNSI_ISN_E10value_typeET4_jRbjT5_ST_jjP12ihipStream_tbEUlT_E1_NS1_11comp_targetILNS1_3genE10ELNS1_11target_archE1200ELNS1_3gpuE4ELNS1_3repE0EEENS1_59segmented_radix_sort_warp_sort_small_config_static_selectorELNS0_4arch9wavefront6targetE0EEEvSH_,comdat
.Lfunc_end727:
	.size	_ZN7rocprim17ROCPRIM_400000_NS6detail17trampoline_kernelINS0_14default_configENS1_36segmented_radix_sort_config_selectorIllEEZNS1_25segmented_radix_sort_implIS3_Lb1EPKlPlS8_S9_N2at6native12_GLOBAL__N_18offset_tEEE10hipError_tPvRmT1_PNSt15iterator_traitsISH_E10value_typeET2_T3_PNSI_ISN_E10value_typeET4_jRbjT5_ST_jjP12ihipStream_tbEUlT_E1_NS1_11comp_targetILNS1_3genE10ELNS1_11target_archE1200ELNS1_3gpuE4ELNS1_3repE0EEENS1_59segmented_radix_sort_warp_sort_small_config_static_selectorELNS0_4arch9wavefront6targetE0EEEvSH_, .Lfunc_end727-_ZN7rocprim17ROCPRIM_400000_NS6detail17trampoline_kernelINS0_14default_configENS1_36segmented_radix_sort_config_selectorIllEEZNS1_25segmented_radix_sort_implIS3_Lb1EPKlPlS8_S9_N2at6native12_GLOBAL__N_18offset_tEEE10hipError_tPvRmT1_PNSt15iterator_traitsISH_E10value_typeET2_T3_PNSI_ISN_E10value_typeET4_jRbjT5_ST_jjP12ihipStream_tbEUlT_E1_NS1_11comp_targetILNS1_3genE10ELNS1_11target_archE1200ELNS1_3gpuE4ELNS1_3repE0EEENS1_59segmented_radix_sort_warp_sort_small_config_static_selectorELNS0_4arch9wavefront6targetE0EEEvSH_
                                        ; -- End function
	.set _ZN7rocprim17ROCPRIM_400000_NS6detail17trampoline_kernelINS0_14default_configENS1_36segmented_radix_sort_config_selectorIllEEZNS1_25segmented_radix_sort_implIS3_Lb1EPKlPlS8_S9_N2at6native12_GLOBAL__N_18offset_tEEE10hipError_tPvRmT1_PNSt15iterator_traitsISH_E10value_typeET2_T3_PNSI_ISN_E10value_typeET4_jRbjT5_ST_jjP12ihipStream_tbEUlT_E1_NS1_11comp_targetILNS1_3genE10ELNS1_11target_archE1200ELNS1_3gpuE4ELNS1_3repE0EEENS1_59segmented_radix_sort_warp_sort_small_config_static_selectorELNS0_4arch9wavefront6targetE0EEEvSH_.num_vgpr, 0
	.set _ZN7rocprim17ROCPRIM_400000_NS6detail17trampoline_kernelINS0_14default_configENS1_36segmented_radix_sort_config_selectorIllEEZNS1_25segmented_radix_sort_implIS3_Lb1EPKlPlS8_S9_N2at6native12_GLOBAL__N_18offset_tEEE10hipError_tPvRmT1_PNSt15iterator_traitsISH_E10value_typeET2_T3_PNSI_ISN_E10value_typeET4_jRbjT5_ST_jjP12ihipStream_tbEUlT_E1_NS1_11comp_targetILNS1_3genE10ELNS1_11target_archE1200ELNS1_3gpuE4ELNS1_3repE0EEENS1_59segmented_radix_sort_warp_sort_small_config_static_selectorELNS0_4arch9wavefront6targetE0EEEvSH_.num_agpr, 0
	.set _ZN7rocprim17ROCPRIM_400000_NS6detail17trampoline_kernelINS0_14default_configENS1_36segmented_radix_sort_config_selectorIllEEZNS1_25segmented_radix_sort_implIS3_Lb1EPKlPlS8_S9_N2at6native12_GLOBAL__N_18offset_tEEE10hipError_tPvRmT1_PNSt15iterator_traitsISH_E10value_typeET2_T3_PNSI_ISN_E10value_typeET4_jRbjT5_ST_jjP12ihipStream_tbEUlT_E1_NS1_11comp_targetILNS1_3genE10ELNS1_11target_archE1200ELNS1_3gpuE4ELNS1_3repE0EEENS1_59segmented_radix_sort_warp_sort_small_config_static_selectorELNS0_4arch9wavefront6targetE0EEEvSH_.numbered_sgpr, 0
	.set _ZN7rocprim17ROCPRIM_400000_NS6detail17trampoline_kernelINS0_14default_configENS1_36segmented_radix_sort_config_selectorIllEEZNS1_25segmented_radix_sort_implIS3_Lb1EPKlPlS8_S9_N2at6native12_GLOBAL__N_18offset_tEEE10hipError_tPvRmT1_PNSt15iterator_traitsISH_E10value_typeET2_T3_PNSI_ISN_E10value_typeET4_jRbjT5_ST_jjP12ihipStream_tbEUlT_E1_NS1_11comp_targetILNS1_3genE10ELNS1_11target_archE1200ELNS1_3gpuE4ELNS1_3repE0EEENS1_59segmented_radix_sort_warp_sort_small_config_static_selectorELNS0_4arch9wavefront6targetE0EEEvSH_.num_named_barrier, 0
	.set _ZN7rocprim17ROCPRIM_400000_NS6detail17trampoline_kernelINS0_14default_configENS1_36segmented_radix_sort_config_selectorIllEEZNS1_25segmented_radix_sort_implIS3_Lb1EPKlPlS8_S9_N2at6native12_GLOBAL__N_18offset_tEEE10hipError_tPvRmT1_PNSt15iterator_traitsISH_E10value_typeET2_T3_PNSI_ISN_E10value_typeET4_jRbjT5_ST_jjP12ihipStream_tbEUlT_E1_NS1_11comp_targetILNS1_3genE10ELNS1_11target_archE1200ELNS1_3gpuE4ELNS1_3repE0EEENS1_59segmented_radix_sort_warp_sort_small_config_static_selectorELNS0_4arch9wavefront6targetE0EEEvSH_.private_seg_size, 0
	.set _ZN7rocprim17ROCPRIM_400000_NS6detail17trampoline_kernelINS0_14default_configENS1_36segmented_radix_sort_config_selectorIllEEZNS1_25segmented_radix_sort_implIS3_Lb1EPKlPlS8_S9_N2at6native12_GLOBAL__N_18offset_tEEE10hipError_tPvRmT1_PNSt15iterator_traitsISH_E10value_typeET2_T3_PNSI_ISN_E10value_typeET4_jRbjT5_ST_jjP12ihipStream_tbEUlT_E1_NS1_11comp_targetILNS1_3genE10ELNS1_11target_archE1200ELNS1_3gpuE4ELNS1_3repE0EEENS1_59segmented_radix_sort_warp_sort_small_config_static_selectorELNS0_4arch9wavefront6targetE0EEEvSH_.uses_vcc, 0
	.set _ZN7rocprim17ROCPRIM_400000_NS6detail17trampoline_kernelINS0_14default_configENS1_36segmented_radix_sort_config_selectorIllEEZNS1_25segmented_radix_sort_implIS3_Lb1EPKlPlS8_S9_N2at6native12_GLOBAL__N_18offset_tEEE10hipError_tPvRmT1_PNSt15iterator_traitsISH_E10value_typeET2_T3_PNSI_ISN_E10value_typeET4_jRbjT5_ST_jjP12ihipStream_tbEUlT_E1_NS1_11comp_targetILNS1_3genE10ELNS1_11target_archE1200ELNS1_3gpuE4ELNS1_3repE0EEENS1_59segmented_radix_sort_warp_sort_small_config_static_selectorELNS0_4arch9wavefront6targetE0EEEvSH_.uses_flat_scratch, 0
	.set _ZN7rocprim17ROCPRIM_400000_NS6detail17trampoline_kernelINS0_14default_configENS1_36segmented_radix_sort_config_selectorIllEEZNS1_25segmented_radix_sort_implIS3_Lb1EPKlPlS8_S9_N2at6native12_GLOBAL__N_18offset_tEEE10hipError_tPvRmT1_PNSt15iterator_traitsISH_E10value_typeET2_T3_PNSI_ISN_E10value_typeET4_jRbjT5_ST_jjP12ihipStream_tbEUlT_E1_NS1_11comp_targetILNS1_3genE10ELNS1_11target_archE1200ELNS1_3gpuE4ELNS1_3repE0EEENS1_59segmented_radix_sort_warp_sort_small_config_static_selectorELNS0_4arch9wavefront6targetE0EEEvSH_.has_dyn_sized_stack, 0
	.set _ZN7rocprim17ROCPRIM_400000_NS6detail17trampoline_kernelINS0_14default_configENS1_36segmented_radix_sort_config_selectorIllEEZNS1_25segmented_radix_sort_implIS3_Lb1EPKlPlS8_S9_N2at6native12_GLOBAL__N_18offset_tEEE10hipError_tPvRmT1_PNSt15iterator_traitsISH_E10value_typeET2_T3_PNSI_ISN_E10value_typeET4_jRbjT5_ST_jjP12ihipStream_tbEUlT_E1_NS1_11comp_targetILNS1_3genE10ELNS1_11target_archE1200ELNS1_3gpuE4ELNS1_3repE0EEENS1_59segmented_radix_sort_warp_sort_small_config_static_selectorELNS0_4arch9wavefront6targetE0EEEvSH_.has_recursion, 0
	.set _ZN7rocprim17ROCPRIM_400000_NS6detail17trampoline_kernelINS0_14default_configENS1_36segmented_radix_sort_config_selectorIllEEZNS1_25segmented_radix_sort_implIS3_Lb1EPKlPlS8_S9_N2at6native12_GLOBAL__N_18offset_tEEE10hipError_tPvRmT1_PNSt15iterator_traitsISH_E10value_typeET2_T3_PNSI_ISN_E10value_typeET4_jRbjT5_ST_jjP12ihipStream_tbEUlT_E1_NS1_11comp_targetILNS1_3genE10ELNS1_11target_archE1200ELNS1_3gpuE4ELNS1_3repE0EEENS1_59segmented_radix_sort_warp_sort_small_config_static_selectorELNS0_4arch9wavefront6targetE0EEEvSH_.has_indirect_call, 0
	.section	.AMDGPU.csdata,"",@progbits
; Kernel info:
; codeLenInByte = 0
; TotalNumSgprs: 0
; NumVgprs: 0
; ScratchSize: 0
; MemoryBound: 0
; FloatMode: 240
; IeeeMode: 1
; LDSByteSize: 0 bytes/workgroup (compile time only)
; SGPRBlocks: 0
; VGPRBlocks: 0
; NumSGPRsForWavesPerEU: 1
; NumVGPRsForWavesPerEU: 1
; NamedBarCnt: 0
; Occupancy: 16
; WaveLimiterHint : 0
; COMPUTE_PGM_RSRC2:SCRATCH_EN: 0
; COMPUTE_PGM_RSRC2:USER_SGPR: 2
; COMPUTE_PGM_RSRC2:TRAP_HANDLER: 0
; COMPUTE_PGM_RSRC2:TGID_X_EN: 1
; COMPUTE_PGM_RSRC2:TGID_Y_EN: 0
; COMPUTE_PGM_RSRC2:TGID_Z_EN: 0
; COMPUTE_PGM_RSRC2:TIDIG_COMP_CNT: 0
	.section	.text._ZN7rocprim17ROCPRIM_400000_NS6detail17trampoline_kernelINS0_14default_configENS1_36segmented_radix_sort_config_selectorIllEEZNS1_25segmented_radix_sort_implIS3_Lb1EPKlPlS8_S9_N2at6native12_GLOBAL__N_18offset_tEEE10hipError_tPvRmT1_PNSt15iterator_traitsISH_E10value_typeET2_T3_PNSI_ISN_E10value_typeET4_jRbjT5_ST_jjP12ihipStream_tbEUlT_E1_NS1_11comp_targetILNS1_3genE9ELNS1_11target_archE1100ELNS1_3gpuE3ELNS1_3repE0EEENS1_59segmented_radix_sort_warp_sort_small_config_static_selectorELNS0_4arch9wavefront6targetE0EEEvSH_,"axG",@progbits,_ZN7rocprim17ROCPRIM_400000_NS6detail17trampoline_kernelINS0_14default_configENS1_36segmented_radix_sort_config_selectorIllEEZNS1_25segmented_radix_sort_implIS3_Lb1EPKlPlS8_S9_N2at6native12_GLOBAL__N_18offset_tEEE10hipError_tPvRmT1_PNSt15iterator_traitsISH_E10value_typeET2_T3_PNSI_ISN_E10value_typeET4_jRbjT5_ST_jjP12ihipStream_tbEUlT_E1_NS1_11comp_targetILNS1_3genE9ELNS1_11target_archE1100ELNS1_3gpuE3ELNS1_3repE0EEENS1_59segmented_radix_sort_warp_sort_small_config_static_selectorELNS0_4arch9wavefront6targetE0EEEvSH_,comdat
	.globl	_ZN7rocprim17ROCPRIM_400000_NS6detail17trampoline_kernelINS0_14default_configENS1_36segmented_radix_sort_config_selectorIllEEZNS1_25segmented_radix_sort_implIS3_Lb1EPKlPlS8_S9_N2at6native12_GLOBAL__N_18offset_tEEE10hipError_tPvRmT1_PNSt15iterator_traitsISH_E10value_typeET2_T3_PNSI_ISN_E10value_typeET4_jRbjT5_ST_jjP12ihipStream_tbEUlT_E1_NS1_11comp_targetILNS1_3genE9ELNS1_11target_archE1100ELNS1_3gpuE3ELNS1_3repE0EEENS1_59segmented_radix_sort_warp_sort_small_config_static_selectorELNS0_4arch9wavefront6targetE0EEEvSH_ ; -- Begin function _ZN7rocprim17ROCPRIM_400000_NS6detail17trampoline_kernelINS0_14default_configENS1_36segmented_radix_sort_config_selectorIllEEZNS1_25segmented_radix_sort_implIS3_Lb1EPKlPlS8_S9_N2at6native12_GLOBAL__N_18offset_tEEE10hipError_tPvRmT1_PNSt15iterator_traitsISH_E10value_typeET2_T3_PNSI_ISN_E10value_typeET4_jRbjT5_ST_jjP12ihipStream_tbEUlT_E1_NS1_11comp_targetILNS1_3genE9ELNS1_11target_archE1100ELNS1_3gpuE3ELNS1_3repE0EEENS1_59segmented_radix_sort_warp_sort_small_config_static_selectorELNS0_4arch9wavefront6targetE0EEEvSH_
	.p2align	8
	.type	_ZN7rocprim17ROCPRIM_400000_NS6detail17trampoline_kernelINS0_14default_configENS1_36segmented_radix_sort_config_selectorIllEEZNS1_25segmented_radix_sort_implIS3_Lb1EPKlPlS8_S9_N2at6native12_GLOBAL__N_18offset_tEEE10hipError_tPvRmT1_PNSt15iterator_traitsISH_E10value_typeET2_T3_PNSI_ISN_E10value_typeET4_jRbjT5_ST_jjP12ihipStream_tbEUlT_E1_NS1_11comp_targetILNS1_3genE9ELNS1_11target_archE1100ELNS1_3gpuE3ELNS1_3repE0EEENS1_59segmented_radix_sort_warp_sort_small_config_static_selectorELNS0_4arch9wavefront6targetE0EEEvSH_,@function
_ZN7rocprim17ROCPRIM_400000_NS6detail17trampoline_kernelINS0_14default_configENS1_36segmented_radix_sort_config_selectorIllEEZNS1_25segmented_radix_sort_implIS3_Lb1EPKlPlS8_S9_N2at6native12_GLOBAL__N_18offset_tEEE10hipError_tPvRmT1_PNSt15iterator_traitsISH_E10value_typeET2_T3_PNSI_ISN_E10value_typeET4_jRbjT5_ST_jjP12ihipStream_tbEUlT_E1_NS1_11comp_targetILNS1_3genE9ELNS1_11target_archE1100ELNS1_3gpuE3ELNS1_3repE0EEENS1_59segmented_radix_sort_warp_sort_small_config_static_selectorELNS0_4arch9wavefront6targetE0EEEvSH_: ; @_ZN7rocprim17ROCPRIM_400000_NS6detail17trampoline_kernelINS0_14default_configENS1_36segmented_radix_sort_config_selectorIllEEZNS1_25segmented_radix_sort_implIS3_Lb1EPKlPlS8_S9_N2at6native12_GLOBAL__N_18offset_tEEE10hipError_tPvRmT1_PNSt15iterator_traitsISH_E10value_typeET2_T3_PNSI_ISN_E10value_typeET4_jRbjT5_ST_jjP12ihipStream_tbEUlT_E1_NS1_11comp_targetILNS1_3genE9ELNS1_11target_archE1100ELNS1_3gpuE3ELNS1_3repE0EEENS1_59segmented_radix_sort_warp_sort_small_config_static_selectorELNS0_4arch9wavefront6targetE0EEEvSH_
; %bb.0:
	.section	.rodata,"a",@progbits
	.p2align	6, 0x0
	.amdhsa_kernel _ZN7rocprim17ROCPRIM_400000_NS6detail17trampoline_kernelINS0_14default_configENS1_36segmented_radix_sort_config_selectorIllEEZNS1_25segmented_radix_sort_implIS3_Lb1EPKlPlS8_S9_N2at6native12_GLOBAL__N_18offset_tEEE10hipError_tPvRmT1_PNSt15iterator_traitsISH_E10value_typeET2_T3_PNSI_ISN_E10value_typeET4_jRbjT5_ST_jjP12ihipStream_tbEUlT_E1_NS1_11comp_targetILNS1_3genE9ELNS1_11target_archE1100ELNS1_3gpuE3ELNS1_3repE0EEENS1_59segmented_radix_sort_warp_sort_small_config_static_selectorELNS0_4arch9wavefront6targetE0EEEvSH_
		.amdhsa_group_segment_fixed_size 0
		.amdhsa_private_segment_fixed_size 0
		.amdhsa_kernarg_size 88
		.amdhsa_user_sgpr_count 2
		.amdhsa_user_sgpr_dispatch_ptr 0
		.amdhsa_user_sgpr_queue_ptr 0
		.amdhsa_user_sgpr_kernarg_segment_ptr 1
		.amdhsa_user_sgpr_dispatch_id 0
		.amdhsa_user_sgpr_kernarg_preload_length 0
		.amdhsa_user_sgpr_kernarg_preload_offset 0
		.amdhsa_user_sgpr_private_segment_size 0
		.amdhsa_wavefront_size32 1
		.amdhsa_uses_dynamic_stack 0
		.amdhsa_enable_private_segment 0
		.amdhsa_system_sgpr_workgroup_id_x 1
		.amdhsa_system_sgpr_workgroup_id_y 0
		.amdhsa_system_sgpr_workgroup_id_z 0
		.amdhsa_system_sgpr_workgroup_info 0
		.amdhsa_system_vgpr_workitem_id 0
		.amdhsa_next_free_vgpr 1
		.amdhsa_next_free_sgpr 1
		.amdhsa_named_barrier_count 0
		.amdhsa_reserve_vcc 0
		.amdhsa_float_round_mode_32 0
		.amdhsa_float_round_mode_16_64 0
		.amdhsa_float_denorm_mode_32 3
		.amdhsa_float_denorm_mode_16_64 3
		.amdhsa_fp16_overflow 0
		.amdhsa_memory_ordered 1
		.amdhsa_forward_progress 1
		.amdhsa_inst_pref_size 0
		.amdhsa_round_robin_scheduling 0
		.amdhsa_exception_fp_ieee_invalid_op 0
		.amdhsa_exception_fp_denorm_src 0
		.amdhsa_exception_fp_ieee_div_zero 0
		.amdhsa_exception_fp_ieee_overflow 0
		.amdhsa_exception_fp_ieee_underflow 0
		.amdhsa_exception_fp_ieee_inexact 0
		.amdhsa_exception_int_div_zero 0
	.end_amdhsa_kernel
	.section	.text._ZN7rocprim17ROCPRIM_400000_NS6detail17trampoline_kernelINS0_14default_configENS1_36segmented_radix_sort_config_selectorIllEEZNS1_25segmented_radix_sort_implIS3_Lb1EPKlPlS8_S9_N2at6native12_GLOBAL__N_18offset_tEEE10hipError_tPvRmT1_PNSt15iterator_traitsISH_E10value_typeET2_T3_PNSI_ISN_E10value_typeET4_jRbjT5_ST_jjP12ihipStream_tbEUlT_E1_NS1_11comp_targetILNS1_3genE9ELNS1_11target_archE1100ELNS1_3gpuE3ELNS1_3repE0EEENS1_59segmented_radix_sort_warp_sort_small_config_static_selectorELNS0_4arch9wavefront6targetE0EEEvSH_,"axG",@progbits,_ZN7rocprim17ROCPRIM_400000_NS6detail17trampoline_kernelINS0_14default_configENS1_36segmented_radix_sort_config_selectorIllEEZNS1_25segmented_radix_sort_implIS3_Lb1EPKlPlS8_S9_N2at6native12_GLOBAL__N_18offset_tEEE10hipError_tPvRmT1_PNSt15iterator_traitsISH_E10value_typeET2_T3_PNSI_ISN_E10value_typeET4_jRbjT5_ST_jjP12ihipStream_tbEUlT_E1_NS1_11comp_targetILNS1_3genE9ELNS1_11target_archE1100ELNS1_3gpuE3ELNS1_3repE0EEENS1_59segmented_radix_sort_warp_sort_small_config_static_selectorELNS0_4arch9wavefront6targetE0EEEvSH_,comdat
.Lfunc_end728:
	.size	_ZN7rocprim17ROCPRIM_400000_NS6detail17trampoline_kernelINS0_14default_configENS1_36segmented_radix_sort_config_selectorIllEEZNS1_25segmented_radix_sort_implIS3_Lb1EPKlPlS8_S9_N2at6native12_GLOBAL__N_18offset_tEEE10hipError_tPvRmT1_PNSt15iterator_traitsISH_E10value_typeET2_T3_PNSI_ISN_E10value_typeET4_jRbjT5_ST_jjP12ihipStream_tbEUlT_E1_NS1_11comp_targetILNS1_3genE9ELNS1_11target_archE1100ELNS1_3gpuE3ELNS1_3repE0EEENS1_59segmented_radix_sort_warp_sort_small_config_static_selectorELNS0_4arch9wavefront6targetE0EEEvSH_, .Lfunc_end728-_ZN7rocprim17ROCPRIM_400000_NS6detail17trampoline_kernelINS0_14default_configENS1_36segmented_radix_sort_config_selectorIllEEZNS1_25segmented_radix_sort_implIS3_Lb1EPKlPlS8_S9_N2at6native12_GLOBAL__N_18offset_tEEE10hipError_tPvRmT1_PNSt15iterator_traitsISH_E10value_typeET2_T3_PNSI_ISN_E10value_typeET4_jRbjT5_ST_jjP12ihipStream_tbEUlT_E1_NS1_11comp_targetILNS1_3genE9ELNS1_11target_archE1100ELNS1_3gpuE3ELNS1_3repE0EEENS1_59segmented_radix_sort_warp_sort_small_config_static_selectorELNS0_4arch9wavefront6targetE0EEEvSH_
                                        ; -- End function
	.set _ZN7rocprim17ROCPRIM_400000_NS6detail17trampoline_kernelINS0_14default_configENS1_36segmented_radix_sort_config_selectorIllEEZNS1_25segmented_radix_sort_implIS3_Lb1EPKlPlS8_S9_N2at6native12_GLOBAL__N_18offset_tEEE10hipError_tPvRmT1_PNSt15iterator_traitsISH_E10value_typeET2_T3_PNSI_ISN_E10value_typeET4_jRbjT5_ST_jjP12ihipStream_tbEUlT_E1_NS1_11comp_targetILNS1_3genE9ELNS1_11target_archE1100ELNS1_3gpuE3ELNS1_3repE0EEENS1_59segmented_radix_sort_warp_sort_small_config_static_selectorELNS0_4arch9wavefront6targetE0EEEvSH_.num_vgpr, 0
	.set _ZN7rocprim17ROCPRIM_400000_NS6detail17trampoline_kernelINS0_14default_configENS1_36segmented_radix_sort_config_selectorIllEEZNS1_25segmented_radix_sort_implIS3_Lb1EPKlPlS8_S9_N2at6native12_GLOBAL__N_18offset_tEEE10hipError_tPvRmT1_PNSt15iterator_traitsISH_E10value_typeET2_T3_PNSI_ISN_E10value_typeET4_jRbjT5_ST_jjP12ihipStream_tbEUlT_E1_NS1_11comp_targetILNS1_3genE9ELNS1_11target_archE1100ELNS1_3gpuE3ELNS1_3repE0EEENS1_59segmented_radix_sort_warp_sort_small_config_static_selectorELNS0_4arch9wavefront6targetE0EEEvSH_.num_agpr, 0
	.set _ZN7rocprim17ROCPRIM_400000_NS6detail17trampoline_kernelINS0_14default_configENS1_36segmented_radix_sort_config_selectorIllEEZNS1_25segmented_radix_sort_implIS3_Lb1EPKlPlS8_S9_N2at6native12_GLOBAL__N_18offset_tEEE10hipError_tPvRmT1_PNSt15iterator_traitsISH_E10value_typeET2_T3_PNSI_ISN_E10value_typeET4_jRbjT5_ST_jjP12ihipStream_tbEUlT_E1_NS1_11comp_targetILNS1_3genE9ELNS1_11target_archE1100ELNS1_3gpuE3ELNS1_3repE0EEENS1_59segmented_radix_sort_warp_sort_small_config_static_selectorELNS0_4arch9wavefront6targetE0EEEvSH_.numbered_sgpr, 0
	.set _ZN7rocprim17ROCPRIM_400000_NS6detail17trampoline_kernelINS0_14default_configENS1_36segmented_radix_sort_config_selectorIllEEZNS1_25segmented_radix_sort_implIS3_Lb1EPKlPlS8_S9_N2at6native12_GLOBAL__N_18offset_tEEE10hipError_tPvRmT1_PNSt15iterator_traitsISH_E10value_typeET2_T3_PNSI_ISN_E10value_typeET4_jRbjT5_ST_jjP12ihipStream_tbEUlT_E1_NS1_11comp_targetILNS1_3genE9ELNS1_11target_archE1100ELNS1_3gpuE3ELNS1_3repE0EEENS1_59segmented_radix_sort_warp_sort_small_config_static_selectorELNS0_4arch9wavefront6targetE0EEEvSH_.num_named_barrier, 0
	.set _ZN7rocprim17ROCPRIM_400000_NS6detail17trampoline_kernelINS0_14default_configENS1_36segmented_radix_sort_config_selectorIllEEZNS1_25segmented_radix_sort_implIS3_Lb1EPKlPlS8_S9_N2at6native12_GLOBAL__N_18offset_tEEE10hipError_tPvRmT1_PNSt15iterator_traitsISH_E10value_typeET2_T3_PNSI_ISN_E10value_typeET4_jRbjT5_ST_jjP12ihipStream_tbEUlT_E1_NS1_11comp_targetILNS1_3genE9ELNS1_11target_archE1100ELNS1_3gpuE3ELNS1_3repE0EEENS1_59segmented_radix_sort_warp_sort_small_config_static_selectorELNS0_4arch9wavefront6targetE0EEEvSH_.private_seg_size, 0
	.set _ZN7rocprim17ROCPRIM_400000_NS6detail17trampoline_kernelINS0_14default_configENS1_36segmented_radix_sort_config_selectorIllEEZNS1_25segmented_radix_sort_implIS3_Lb1EPKlPlS8_S9_N2at6native12_GLOBAL__N_18offset_tEEE10hipError_tPvRmT1_PNSt15iterator_traitsISH_E10value_typeET2_T3_PNSI_ISN_E10value_typeET4_jRbjT5_ST_jjP12ihipStream_tbEUlT_E1_NS1_11comp_targetILNS1_3genE9ELNS1_11target_archE1100ELNS1_3gpuE3ELNS1_3repE0EEENS1_59segmented_radix_sort_warp_sort_small_config_static_selectorELNS0_4arch9wavefront6targetE0EEEvSH_.uses_vcc, 0
	.set _ZN7rocprim17ROCPRIM_400000_NS6detail17trampoline_kernelINS0_14default_configENS1_36segmented_radix_sort_config_selectorIllEEZNS1_25segmented_radix_sort_implIS3_Lb1EPKlPlS8_S9_N2at6native12_GLOBAL__N_18offset_tEEE10hipError_tPvRmT1_PNSt15iterator_traitsISH_E10value_typeET2_T3_PNSI_ISN_E10value_typeET4_jRbjT5_ST_jjP12ihipStream_tbEUlT_E1_NS1_11comp_targetILNS1_3genE9ELNS1_11target_archE1100ELNS1_3gpuE3ELNS1_3repE0EEENS1_59segmented_radix_sort_warp_sort_small_config_static_selectorELNS0_4arch9wavefront6targetE0EEEvSH_.uses_flat_scratch, 0
	.set _ZN7rocprim17ROCPRIM_400000_NS6detail17trampoline_kernelINS0_14default_configENS1_36segmented_radix_sort_config_selectorIllEEZNS1_25segmented_radix_sort_implIS3_Lb1EPKlPlS8_S9_N2at6native12_GLOBAL__N_18offset_tEEE10hipError_tPvRmT1_PNSt15iterator_traitsISH_E10value_typeET2_T3_PNSI_ISN_E10value_typeET4_jRbjT5_ST_jjP12ihipStream_tbEUlT_E1_NS1_11comp_targetILNS1_3genE9ELNS1_11target_archE1100ELNS1_3gpuE3ELNS1_3repE0EEENS1_59segmented_radix_sort_warp_sort_small_config_static_selectorELNS0_4arch9wavefront6targetE0EEEvSH_.has_dyn_sized_stack, 0
	.set _ZN7rocprim17ROCPRIM_400000_NS6detail17trampoline_kernelINS0_14default_configENS1_36segmented_radix_sort_config_selectorIllEEZNS1_25segmented_radix_sort_implIS3_Lb1EPKlPlS8_S9_N2at6native12_GLOBAL__N_18offset_tEEE10hipError_tPvRmT1_PNSt15iterator_traitsISH_E10value_typeET2_T3_PNSI_ISN_E10value_typeET4_jRbjT5_ST_jjP12ihipStream_tbEUlT_E1_NS1_11comp_targetILNS1_3genE9ELNS1_11target_archE1100ELNS1_3gpuE3ELNS1_3repE0EEENS1_59segmented_radix_sort_warp_sort_small_config_static_selectorELNS0_4arch9wavefront6targetE0EEEvSH_.has_recursion, 0
	.set _ZN7rocprim17ROCPRIM_400000_NS6detail17trampoline_kernelINS0_14default_configENS1_36segmented_radix_sort_config_selectorIllEEZNS1_25segmented_radix_sort_implIS3_Lb1EPKlPlS8_S9_N2at6native12_GLOBAL__N_18offset_tEEE10hipError_tPvRmT1_PNSt15iterator_traitsISH_E10value_typeET2_T3_PNSI_ISN_E10value_typeET4_jRbjT5_ST_jjP12ihipStream_tbEUlT_E1_NS1_11comp_targetILNS1_3genE9ELNS1_11target_archE1100ELNS1_3gpuE3ELNS1_3repE0EEENS1_59segmented_radix_sort_warp_sort_small_config_static_selectorELNS0_4arch9wavefront6targetE0EEEvSH_.has_indirect_call, 0
	.section	.AMDGPU.csdata,"",@progbits
; Kernel info:
; codeLenInByte = 0
; TotalNumSgprs: 0
; NumVgprs: 0
; ScratchSize: 0
; MemoryBound: 0
; FloatMode: 240
; IeeeMode: 1
; LDSByteSize: 0 bytes/workgroup (compile time only)
; SGPRBlocks: 0
; VGPRBlocks: 0
; NumSGPRsForWavesPerEU: 1
; NumVGPRsForWavesPerEU: 1
; NamedBarCnt: 0
; Occupancy: 16
; WaveLimiterHint : 0
; COMPUTE_PGM_RSRC2:SCRATCH_EN: 0
; COMPUTE_PGM_RSRC2:USER_SGPR: 2
; COMPUTE_PGM_RSRC2:TRAP_HANDLER: 0
; COMPUTE_PGM_RSRC2:TGID_X_EN: 1
; COMPUTE_PGM_RSRC2:TGID_Y_EN: 0
; COMPUTE_PGM_RSRC2:TGID_Z_EN: 0
; COMPUTE_PGM_RSRC2:TIDIG_COMP_CNT: 0
	.section	.text._ZN7rocprim17ROCPRIM_400000_NS6detail17trampoline_kernelINS0_14default_configENS1_36segmented_radix_sort_config_selectorIllEEZNS1_25segmented_radix_sort_implIS3_Lb1EPKlPlS8_S9_N2at6native12_GLOBAL__N_18offset_tEEE10hipError_tPvRmT1_PNSt15iterator_traitsISH_E10value_typeET2_T3_PNSI_ISN_E10value_typeET4_jRbjT5_ST_jjP12ihipStream_tbEUlT_E1_NS1_11comp_targetILNS1_3genE8ELNS1_11target_archE1030ELNS1_3gpuE2ELNS1_3repE0EEENS1_59segmented_radix_sort_warp_sort_small_config_static_selectorELNS0_4arch9wavefront6targetE0EEEvSH_,"axG",@progbits,_ZN7rocprim17ROCPRIM_400000_NS6detail17trampoline_kernelINS0_14default_configENS1_36segmented_radix_sort_config_selectorIllEEZNS1_25segmented_radix_sort_implIS3_Lb1EPKlPlS8_S9_N2at6native12_GLOBAL__N_18offset_tEEE10hipError_tPvRmT1_PNSt15iterator_traitsISH_E10value_typeET2_T3_PNSI_ISN_E10value_typeET4_jRbjT5_ST_jjP12ihipStream_tbEUlT_E1_NS1_11comp_targetILNS1_3genE8ELNS1_11target_archE1030ELNS1_3gpuE2ELNS1_3repE0EEENS1_59segmented_radix_sort_warp_sort_small_config_static_selectorELNS0_4arch9wavefront6targetE0EEEvSH_,comdat
	.globl	_ZN7rocprim17ROCPRIM_400000_NS6detail17trampoline_kernelINS0_14default_configENS1_36segmented_radix_sort_config_selectorIllEEZNS1_25segmented_radix_sort_implIS3_Lb1EPKlPlS8_S9_N2at6native12_GLOBAL__N_18offset_tEEE10hipError_tPvRmT1_PNSt15iterator_traitsISH_E10value_typeET2_T3_PNSI_ISN_E10value_typeET4_jRbjT5_ST_jjP12ihipStream_tbEUlT_E1_NS1_11comp_targetILNS1_3genE8ELNS1_11target_archE1030ELNS1_3gpuE2ELNS1_3repE0EEENS1_59segmented_radix_sort_warp_sort_small_config_static_selectorELNS0_4arch9wavefront6targetE0EEEvSH_ ; -- Begin function _ZN7rocprim17ROCPRIM_400000_NS6detail17trampoline_kernelINS0_14default_configENS1_36segmented_radix_sort_config_selectorIllEEZNS1_25segmented_radix_sort_implIS3_Lb1EPKlPlS8_S9_N2at6native12_GLOBAL__N_18offset_tEEE10hipError_tPvRmT1_PNSt15iterator_traitsISH_E10value_typeET2_T3_PNSI_ISN_E10value_typeET4_jRbjT5_ST_jjP12ihipStream_tbEUlT_E1_NS1_11comp_targetILNS1_3genE8ELNS1_11target_archE1030ELNS1_3gpuE2ELNS1_3repE0EEENS1_59segmented_radix_sort_warp_sort_small_config_static_selectorELNS0_4arch9wavefront6targetE0EEEvSH_
	.p2align	8
	.type	_ZN7rocprim17ROCPRIM_400000_NS6detail17trampoline_kernelINS0_14default_configENS1_36segmented_radix_sort_config_selectorIllEEZNS1_25segmented_radix_sort_implIS3_Lb1EPKlPlS8_S9_N2at6native12_GLOBAL__N_18offset_tEEE10hipError_tPvRmT1_PNSt15iterator_traitsISH_E10value_typeET2_T3_PNSI_ISN_E10value_typeET4_jRbjT5_ST_jjP12ihipStream_tbEUlT_E1_NS1_11comp_targetILNS1_3genE8ELNS1_11target_archE1030ELNS1_3gpuE2ELNS1_3repE0EEENS1_59segmented_radix_sort_warp_sort_small_config_static_selectorELNS0_4arch9wavefront6targetE0EEEvSH_,@function
_ZN7rocprim17ROCPRIM_400000_NS6detail17trampoline_kernelINS0_14default_configENS1_36segmented_radix_sort_config_selectorIllEEZNS1_25segmented_radix_sort_implIS3_Lb1EPKlPlS8_S9_N2at6native12_GLOBAL__N_18offset_tEEE10hipError_tPvRmT1_PNSt15iterator_traitsISH_E10value_typeET2_T3_PNSI_ISN_E10value_typeET4_jRbjT5_ST_jjP12ihipStream_tbEUlT_E1_NS1_11comp_targetILNS1_3genE8ELNS1_11target_archE1030ELNS1_3gpuE2ELNS1_3repE0EEENS1_59segmented_radix_sort_warp_sort_small_config_static_selectorELNS0_4arch9wavefront6targetE0EEEvSH_: ; @_ZN7rocprim17ROCPRIM_400000_NS6detail17trampoline_kernelINS0_14default_configENS1_36segmented_radix_sort_config_selectorIllEEZNS1_25segmented_radix_sort_implIS3_Lb1EPKlPlS8_S9_N2at6native12_GLOBAL__N_18offset_tEEE10hipError_tPvRmT1_PNSt15iterator_traitsISH_E10value_typeET2_T3_PNSI_ISN_E10value_typeET4_jRbjT5_ST_jjP12ihipStream_tbEUlT_E1_NS1_11comp_targetILNS1_3genE8ELNS1_11target_archE1030ELNS1_3gpuE2ELNS1_3repE0EEENS1_59segmented_radix_sort_warp_sort_small_config_static_selectorELNS0_4arch9wavefront6targetE0EEEvSH_
; %bb.0:
	.section	.rodata,"a",@progbits
	.p2align	6, 0x0
	.amdhsa_kernel _ZN7rocprim17ROCPRIM_400000_NS6detail17trampoline_kernelINS0_14default_configENS1_36segmented_radix_sort_config_selectorIllEEZNS1_25segmented_radix_sort_implIS3_Lb1EPKlPlS8_S9_N2at6native12_GLOBAL__N_18offset_tEEE10hipError_tPvRmT1_PNSt15iterator_traitsISH_E10value_typeET2_T3_PNSI_ISN_E10value_typeET4_jRbjT5_ST_jjP12ihipStream_tbEUlT_E1_NS1_11comp_targetILNS1_3genE8ELNS1_11target_archE1030ELNS1_3gpuE2ELNS1_3repE0EEENS1_59segmented_radix_sort_warp_sort_small_config_static_selectorELNS0_4arch9wavefront6targetE0EEEvSH_
		.amdhsa_group_segment_fixed_size 0
		.amdhsa_private_segment_fixed_size 0
		.amdhsa_kernarg_size 88
		.amdhsa_user_sgpr_count 2
		.amdhsa_user_sgpr_dispatch_ptr 0
		.amdhsa_user_sgpr_queue_ptr 0
		.amdhsa_user_sgpr_kernarg_segment_ptr 1
		.amdhsa_user_sgpr_dispatch_id 0
		.amdhsa_user_sgpr_kernarg_preload_length 0
		.amdhsa_user_sgpr_kernarg_preload_offset 0
		.amdhsa_user_sgpr_private_segment_size 0
		.amdhsa_wavefront_size32 1
		.amdhsa_uses_dynamic_stack 0
		.amdhsa_enable_private_segment 0
		.amdhsa_system_sgpr_workgroup_id_x 1
		.amdhsa_system_sgpr_workgroup_id_y 0
		.amdhsa_system_sgpr_workgroup_id_z 0
		.amdhsa_system_sgpr_workgroup_info 0
		.amdhsa_system_vgpr_workitem_id 0
		.amdhsa_next_free_vgpr 1
		.amdhsa_next_free_sgpr 1
		.amdhsa_named_barrier_count 0
		.amdhsa_reserve_vcc 0
		.amdhsa_float_round_mode_32 0
		.amdhsa_float_round_mode_16_64 0
		.amdhsa_float_denorm_mode_32 3
		.amdhsa_float_denorm_mode_16_64 3
		.amdhsa_fp16_overflow 0
		.amdhsa_memory_ordered 1
		.amdhsa_forward_progress 1
		.amdhsa_inst_pref_size 0
		.amdhsa_round_robin_scheduling 0
		.amdhsa_exception_fp_ieee_invalid_op 0
		.amdhsa_exception_fp_denorm_src 0
		.amdhsa_exception_fp_ieee_div_zero 0
		.amdhsa_exception_fp_ieee_overflow 0
		.amdhsa_exception_fp_ieee_underflow 0
		.amdhsa_exception_fp_ieee_inexact 0
		.amdhsa_exception_int_div_zero 0
	.end_amdhsa_kernel
	.section	.text._ZN7rocprim17ROCPRIM_400000_NS6detail17trampoline_kernelINS0_14default_configENS1_36segmented_radix_sort_config_selectorIllEEZNS1_25segmented_radix_sort_implIS3_Lb1EPKlPlS8_S9_N2at6native12_GLOBAL__N_18offset_tEEE10hipError_tPvRmT1_PNSt15iterator_traitsISH_E10value_typeET2_T3_PNSI_ISN_E10value_typeET4_jRbjT5_ST_jjP12ihipStream_tbEUlT_E1_NS1_11comp_targetILNS1_3genE8ELNS1_11target_archE1030ELNS1_3gpuE2ELNS1_3repE0EEENS1_59segmented_radix_sort_warp_sort_small_config_static_selectorELNS0_4arch9wavefront6targetE0EEEvSH_,"axG",@progbits,_ZN7rocprim17ROCPRIM_400000_NS6detail17trampoline_kernelINS0_14default_configENS1_36segmented_radix_sort_config_selectorIllEEZNS1_25segmented_radix_sort_implIS3_Lb1EPKlPlS8_S9_N2at6native12_GLOBAL__N_18offset_tEEE10hipError_tPvRmT1_PNSt15iterator_traitsISH_E10value_typeET2_T3_PNSI_ISN_E10value_typeET4_jRbjT5_ST_jjP12ihipStream_tbEUlT_E1_NS1_11comp_targetILNS1_3genE8ELNS1_11target_archE1030ELNS1_3gpuE2ELNS1_3repE0EEENS1_59segmented_radix_sort_warp_sort_small_config_static_selectorELNS0_4arch9wavefront6targetE0EEEvSH_,comdat
.Lfunc_end729:
	.size	_ZN7rocprim17ROCPRIM_400000_NS6detail17trampoline_kernelINS0_14default_configENS1_36segmented_radix_sort_config_selectorIllEEZNS1_25segmented_radix_sort_implIS3_Lb1EPKlPlS8_S9_N2at6native12_GLOBAL__N_18offset_tEEE10hipError_tPvRmT1_PNSt15iterator_traitsISH_E10value_typeET2_T3_PNSI_ISN_E10value_typeET4_jRbjT5_ST_jjP12ihipStream_tbEUlT_E1_NS1_11comp_targetILNS1_3genE8ELNS1_11target_archE1030ELNS1_3gpuE2ELNS1_3repE0EEENS1_59segmented_radix_sort_warp_sort_small_config_static_selectorELNS0_4arch9wavefront6targetE0EEEvSH_, .Lfunc_end729-_ZN7rocprim17ROCPRIM_400000_NS6detail17trampoline_kernelINS0_14default_configENS1_36segmented_radix_sort_config_selectorIllEEZNS1_25segmented_radix_sort_implIS3_Lb1EPKlPlS8_S9_N2at6native12_GLOBAL__N_18offset_tEEE10hipError_tPvRmT1_PNSt15iterator_traitsISH_E10value_typeET2_T3_PNSI_ISN_E10value_typeET4_jRbjT5_ST_jjP12ihipStream_tbEUlT_E1_NS1_11comp_targetILNS1_3genE8ELNS1_11target_archE1030ELNS1_3gpuE2ELNS1_3repE0EEENS1_59segmented_radix_sort_warp_sort_small_config_static_selectorELNS0_4arch9wavefront6targetE0EEEvSH_
                                        ; -- End function
	.set _ZN7rocprim17ROCPRIM_400000_NS6detail17trampoline_kernelINS0_14default_configENS1_36segmented_radix_sort_config_selectorIllEEZNS1_25segmented_radix_sort_implIS3_Lb1EPKlPlS8_S9_N2at6native12_GLOBAL__N_18offset_tEEE10hipError_tPvRmT1_PNSt15iterator_traitsISH_E10value_typeET2_T3_PNSI_ISN_E10value_typeET4_jRbjT5_ST_jjP12ihipStream_tbEUlT_E1_NS1_11comp_targetILNS1_3genE8ELNS1_11target_archE1030ELNS1_3gpuE2ELNS1_3repE0EEENS1_59segmented_radix_sort_warp_sort_small_config_static_selectorELNS0_4arch9wavefront6targetE0EEEvSH_.num_vgpr, 0
	.set _ZN7rocprim17ROCPRIM_400000_NS6detail17trampoline_kernelINS0_14default_configENS1_36segmented_radix_sort_config_selectorIllEEZNS1_25segmented_radix_sort_implIS3_Lb1EPKlPlS8_S9_N2at6native12_GLOBAL__N_18offset_tEEE10hipError_tPvRmT1_PNSt15iterator_traitsISH_E10value_typeET2_T3_PNSI_ISN_E10value_typeET4_jRbjT5_ST_jjP12ihipStream_tbEUlT_E1_NS1_11comp_targetILNS1_3genE8ELNS1_11target_archE1030ELNS1_3gpuE2ELNS1_3repE0EEENS1_59segmented_radix_sort_warp_sort_small_config_static_selectorELNS0_4arch9wavefront6targetE0EEEvSH_.num_agpr, 0
	.set _ZN7rocprim17ROCPRIM_400000_NS6detail17trampoline_kernelINS0_14default_configENS1_36segmented_radix_sort_config_selectorIllEEZNS1_25segmented_radix_sort_implIS3_Lb1EPKlPlS8_S9_N2at6native12_GLOBAL__N_18offset_tEEE10hipError_tPvRmT1_PNSt15iterator_traitsISH_E10value_typeET2_T3_PNSI_ISN_E10value_typeET4_jRbjT5_ST_jjP12ihipStream_tbEUlT_E1_NS1_11comp_targetILNS1_3genE8ELNS1_11target_archE1030ELNS1_3gpuE2ELNS1_3repE0EEENS1_59segmented_radix_sort_warp_sort_small_config_static_selectorELNS0_4arch9wavefront6targetE0EEEvSH_.numbered_sgpr, 0
	.set _ZN7rocprim17ROCPRIM_400000_NS6detail17trampoline_kernelINS0_14default_configENS1_36segmented_radix_sort_config_selectorIllEEZNS1_25segmented_radix_sort_implIS3_Lb1EPKlPlS8_S9_N2at6native12_GLOBAL__N_18offset_tEEE10hipError_tPvRmT1_PNSt15iterator_traitsISH_E10value_typeET2_T3_PNSI_ISN_E10value_typeET4_jRbjT5_ST_jjP12ihipStream_tbEUlT_E1_NS1_11comp_targetILNS1_3genE8ELNS1_11target_archE1030ELNS1_3gpuE2ELNS1_3repE0EEENS1_59segmented_radix_sort_warp_sort_small_config_static_selectorELNS0_4arch9wavefront6targetE0EEEvSH_.num_named_barrier, 0
	.set _ZN7rocprim17ROCPRIM_400000_NS6detail17trampoline_kernelINS0_14default_configENS1_36segmented_radix_sort_config_selectorIllEEZNS1_25segmented_radix_sort_implIS3_Lb1EPKlPlS8_S9_N2at6native12_GLOBAL__N_18offset_tEEE10hipError_tPvRmT1_PNSt15iterator_traitsISH_E10value_typeET2_T3_PNSI_ISN_E10value_typeET4_jRbjT5_ST_jjP12ihipStream_tbEUlT_E1_NS1_11comp_targetILNS1_3genE8ELNS1_11target_archE1030ELNS1_3gpuE2ELNS1_3repE0EEENS1_59segmented_radix_sort_warp_sort_small_config_static_selectorELNS0_4arch9wavefront6targetE0EEEvSH_.private_seg_size, 0
	.set _ZN7rocprim17ROCPRIM_400000_NS6detail17trampoline_kernelINS0_14default_configENS1_36segmented_radix_sort_config_selectorIllEEZNS1_25segmented_radix_sort_implIS3_Lb1EPKlPlS8_S9_N2at6native12_GLOBAL__N_18offset_tEEE10hipError_tPvRmT1_PNSt15iterator_traitsISH_E10value_typeET2_T3_PNSI_ISN_E10value_typeET4_jRbjT5_ST_jjP12ihipStream_tbEUlT_E1_NS1_11comp_targetILNS1_3genE8ELNS1_11target_archE1030ELNS1_3gpuE2ELNS1_3repE0EEENS1_59segmented_radix_sort_warp_sort_small_config_static_selectorELNS0_4arch9wavefront6targetE0EEEvSH_.uses_vcc, 0
	.set _ZN7rocprim17ROCPRIM_400000_NS6detail17trampoline_kernelINS0_14default_configENS1_36segmented_radix_sort_config_selectorIllEEZNS1_25segmented_radix_sort_implIS3_Lb1EPKlPlS8_S9_N2at6native12_GLOBAL__N_18offset_tEEE10hipError_tPvRmT1_PNSt15iterator_traitsISH_E10value_typeET2_T3_PNSI_ISN_E10value_typeET4_jRbjT5_ST_jjP12ihipStream_tbEUlT_E1_NS1_11comp_targetILNS1_3genE8ELNS1_11target_archE1030ELNS1_3gpuE2ELNS1_3repE0EEENS1_59segmented_radix_sort_warp_sort_small_config_static_selectorELNS0_4arch9wavefront6targetE0EEEvSH_.uses_flat_scratch, 0
	.set _ZN7rocprim17ROCPRIM_400000_NS6detail17trampoline_kernelINS0_14default_configENS1_36segmented_radix_sort_config_selectorIllEEZNS1_25segmented_radix_sort_implIS3_Lb1EPKlPlS8_S9_N2at6native12_GLOBAL__N_18offset_tEEE10hipError_tPvRmT1_PNSt15iterator_traitsISH_E10value_typeET2_T3_PNSI_ISN_E10value_typeET4_jRbjT5_ST_jjP12ihipStream_tbEUlT_E1_NS1_11comp_targetILNS1_3genE8ELNS1_11target_archE1030ELNS1_3gpuE2ELNS1_3repE0EEENS1_59segmented_radix_sort_warp_sort_small_config_static_selectorELNS0_4arch9wavefront6targetE0EEEvSH_.has_dyn_sized_stack, 0
	.set _ZN7rocprim17ROCPRIM_400000_NS6detail17trampoline_kernelINS0_14default_configENS1_36segmented_radix_sort_config_selectorIllEEZNS1_25segmented_radix_sort_implIS3_Lb1EPKlPlS8_S9_N2at6native12_GLOBAL__N_18offset_tEEE10hipError_tPvRmT1_PNSt15iterator_traitsISH_E10value_typeET2_T3_PNSI_ISN_E10value_typeET4_jRbjT5_ST_jjP12ihipStream_tbEUlT_E1_NS1_11comp_targetILNS1_3genE8ELNS1_11target_archE1030ELNS1_3gpuE2ELNS1_3repE0EEENS1_59segmented_radix_sort_warp_sort_small_config_static_selectorELNS0_4arch9wavefront6targetE0EEEvSH_.has_recursion, 0
	.set _ZN7rocprim17ROCPRIM_400000_NS6detail17trampoline_kernelINS0_14default_configENS1_36segmented_radix_sort_config_selectorIllEEZNS1_25segmented_radix_sort_implIS3_Lb1EPKlPlS8_S9_N2at6native12_GLOBAL__N_18offset_tEEE10hipError_tPvRmT1_PNSt15iterator_traitsISH_E10value_typeET2_T3_PNSI_ISN_E10value_typeET4_jRbjT5_ST_jjP12ihipStream_tbEUlT_E1_NS1_11comp_targetILNS1_3genE8ELNS1_11target_archE1030ELNS1_3gpuE2ELNS1_3repE0EEENS1_59segmented_radix_sort_warp_sort_small_config_static_selectorELNS0_4arch9wavefront6targetE0EEEvSH_.has_indirect_call, 0
	.section	.AMDGPU.csdata,"",@progbits
; Kernel info:
; codeLenInByte = 0
; TotalNumSgprs: 0
; NumVgprs: 0
; ScratchSize: 0
; MemoryBound: 0
; FloatMode: 240
; IeeeMode: 1
; LDSByteSize: 0 bytes/workgroup (compile time only)
; SGPRBlocks: 0
; VGPRBlocks: 0
; NumSGPRsForWavesPerEU: 1
; NumVGPRsForWavesPerEU: 1
; NamedBarCnt: 0
; Occupancy: 16
; WaveLimiterHint : 0
; COMPUTE_PGM_RSRC2:SCRATCH_EN: 0
; COMPUTE_PGM_RSRC2:USER_SGPR: 2
; COMPUTE_PGM_RSRC2:TRAP_HANDLER: 0
; COMPUTE_PGM_RSRC2:TGID_X_EN: 1
; COMPUTE_PGM_RSRC2:TGID_Y_EN: 0
; COMPUTE_PGM_RSRC2:TGID_Z_EN: 0
; COMPUTE_PGM_RSRC2:TIDIG_COMP_CNT: 0
	.section	.text._ZN7rocprim17ROCPRIM_400000_NS6detail17trampoline_kernelINS0_14default_configENS1_36segmented_radix_sort_config_selectorIllEEZNS1_25segmented_radix_sort_implIS3_Lb1EPKlPlS8_S9_N2at6native12_GLOBAL__N_18offset_tEEE10hipError_tPvRmT1_PNSt15iterator_traitsISH_E10value_typeET2_T3_PNSI_ISN_E10value_typeET4_jRbjT5_ST_jjP12ihipStream_tbEUlT_E2_NS1_11comp_targetILNS1_3genE0ELNS1_11target_archE4294967295ELNS1_3gpuE0ELNS1_3repE0EEENS1_30default_config_static_selectorELNS0_4arch9wavefront6targetE0EEEvSH_,"axG",@progbits,_ZN7rocprim17ROCPRIM_400000_NS6detail17trampoline_kernelINS0_14default_configENS1_36segmented_radix_sort_config_selectorIllEEZNS1_25segmented_radix_sort_implIS3_Lb1EPKlPlS8_S9_N2at6native12_GLOBAL__N_18offset_tEEE10hipError_tPvRmT1_PNSt15iterator_traitsISH_E10value_typeET2_T3_PNSI_ISN_E10value_typeET4_jRbjT5_ST_jjP12ihipStream_tbEUlT_E2_NS1_11comp_targetILNS1_3genE0ELNS1_11target_archE4294967295ELNS1_3gpuE0ELNS1_3repE0EEENS1_30default_config_static_selectorELNS0_4arch9wavefront6targetE0EEEvSH_,comdat
	.globl	_ZN7rocprim17ROCPRIM_400000_NS6detail17trampoline_kernelINS0_14default_configENS1_36segmented_radix_sort_config_selectorIllEEZNS1_25segmented_radix_sort_implIS3_Lb1EPKlPlS8_S9_N2at6native12_GLOBAL__N_18offset_tEEE10hipError_tPvRmT1_PNSt15iterator_traitsISH_E10value_typeET2_T3_PNSI_ISN_E10value_typeET4_jRbjT5_ST_jjP12ihipStream_tbEUlT_E2_NS1_11comp_targetILNS1_3genE0ELNS1_11target_archE4294967295ELNS1_3gpuE0ELNS1_3repE0EEENS1_30default_config_static_selectorELNS0_4arch9wavefront6targetE0EEEvSH_ ; -- Begin function _ZN7rocprim17ROCPRIM_400000_NS6detail17trampoline_kernelINS0_14default_configENS1_36segmented_radix_sort_config_selectorIllEEZNS1_25segmented_radix_sort_implIS3_Lb1EPKlPlS8_S9_N2at6native12_GLOBAL__N_18offset_tEEE10hipError_tPvRmT1_PNSt15iterator_traitsISH_E10value_typeET2_T3_PNSI_ISN_E10value_typeET4_jRbjT5_ST_jjP12ihipStream_tbEUlT_E2_NS1_11comp_targetILNS1_3genE0ELNS1_11target_archE4294967295ELNS1_3gpuE0ELNS1_3repE0EEENS1_30default_config_static_selectorELNS0_4arch9wavefront6targetE0EEEvSH_
	.p2align	8
	.type	_ZN7rocprim17ROCPRIM_400000_NS6detail17trampoline_kernelINS0_14default_configENS1_36segmented_radix_sort_config_selectorIllEEZNS1_25segmented_radix_sort_implIS3_Lb1EPKlPlS8_S9_N2at6native12_GLOBAL__N_18offset_tEEE10hipError_tPvRmT1_PNSt15iterator_traitsISH_E10value_typeET2_T3_PNSI_ISN_E10value_typeET4_jRbjT5_ST_jjP12ihipStream_tbEUlT_E2_NS1_11comp_targetILNS1_3genE0ELNS1_11target_archE4294967295ELNS1_3gpuE0ELNS1_3repE0EEENS1_30default_config_static_selectorELNS0_4arch9wavefront6targetE0EEEvSH_,@function
_ZN7rocprim17ROCPRIM_400000_NS6detail17trampoline_kernelINS0_14default_configENS1_36segmented_radix_sort_config_selectorIllEEZNS1_25segmented_radix_sort_implIS3_Lb1EPKlPlS8_S9_N2at6native12_GLOBAL__N_18offset_tEEE10hipError_tPvRmT1_PNSt15iterator_traitsISH_E10value_typeET2_T3_PNSI_ISN_E10value_typeET4_jRbjT5_ST_jjP12ihipStream_tbEUlT_E2_NS1_11comp_targetILNS1_3genE0ELNS1_11target_archE4294967295ELNS1_3gpuE0ELNS1_3repE0EEENS1_30default_config_static_selectorELNS0_4arch9wavefront6targetE0EEEvSH_: ; @_ZN7rocprim17ROCPRIM_400000_NS6detail17trampoline_kernelINS0_14default_configENS1_36segmented_radix_sort_config_selectorIllEEZNS1_25segmented_radix_sort_implIS3_Lb1EPKlPlS8_S9_N2at6native12_GLOBAL__N_18offset_tEEE10hipError_tPvRmT1_PNSt15iterator_traitsISH_E10value_typeET2_T3_PNSI_ISN_E10value_typeET4_jRbjT5_ST_jjP12ihipStream_tbEUlT_E2_NS1_11comp_targetILNS1_3genE0ELNS1_11target_archE4294967295ELNS1_3gpuE0ELNS1_3repE0EEENS1_30default_config_static_selectorELNS0_4arch9wavefront6targetE0EEEvSH_
; %bb.0:
	s_load_b128 s[4:7], s[2:3], 0x34
	s_bfe_u32 s8, ttmp6, 0x4000c
	s_and_b32 s9, ttmp6, 15
	s_add_co_i32 s8, s8, 1
	s_getreg_b32 s25, hwreg(HW_REG_IB_STS2, 6, 4)
	s_mul_i32 s8, ttmp9, s8
	s_mov_b32 s32, 0
	s_add_co_i32 s9, s9, s8
	s_cmp_eq_u32 s25, 0
	s_cselect_b32 s33, ttmp9, s9
	s_wait_kmcnt 0x0
	s_add_co_i32 s51, s7, s33
	s_add_co_i32 s52, s5, s33
	s_mul_i32 s51, s51, s6
	s_mul_i32 s52, s52, s4
	s_delay_alu instid0(SALU_CYCLE_1)
	s_cmp_le_u32 s51, s52
	s_cbranch_scc1 .LBB730_1190
; %bb.1:
	s_clause 0x3
	s_load_b32 s4, s[2:3], 0x30
	s_load_b128 s[44:47], s[2:3], 0x20
	s_load_b96 s[48:50], s[2:3], 0x44
	s_load_b256 s[36:43], s[2:3], 0x0
	s_wait_kmcnt 0x0
	s_bitcmp1_b32 s4, 0
	s_mov_b32 s4, -1
	s_cselect_b32 s53, -1, 0
	s_sub_co_i32 s54, s51, s52
	s_delay_alu instid0(SALU_CYCLE_1)
	s_cmp_lt_u32 s54, 0x1001
	s_cbranch_scc0 .LBB730_15
; %bb.2:
	s_cmp_lt_u32 s54, 33
	s_cbranch_scc0 .LBB730_9
; %bb.3:
	s_load_b32 s4, s[2:3], 0x5c
	v_bfe_u32 v1, v0, 10, 10
	v_bfe_u32 v2, v0, 20, 10
	s_mov_b32 s15, exec_lo
	s_wait_kmcnt 0x0
	s_lshr_b32 s5, s4, 16
	s_and_b32 s4, s4, 0xffff
	v_mad_u32_u24 v1, v2, s5, v1
	v_and_b32_e32 v2, 0x3ff, v0
	s_delay_alu instid0(VALU_DEP_1) | instskip(NEXT) | instid1(VALU_DEP_1)
	v_mad_u32 v1, v1, s4, v2
	v_cmpx_gt_u32_e32 8, v1
	s_cbranch_execz .LBB730_8
; %bb.4:
	v_cndmask_b32_e64 v1, 0, 1, s53
	s_and_b32 s4, s48, 1
	s_get_pc_i64 s[16:17]
	s_add_nc_u64 s[16:17], s[16:17], _ZN7rocprim17ROCPRIM_400000_NS6detail26segmented_warp_sort_helperINS1_20WarpSortHelperConfigILj8ELj4ELj256EEEllLi256ELb1EvE4sortIPKlPlS8_S9_EEvT_T0_T1_T2_jjjjRNS5_12storage_typeE@rel64+4
	s_delay_alu instid0(VALU_DEP_1)
	v_cmp_ne_u32_e32 vcc_lo, s4, v1
	s_mov_b32 s4, -1
	s_cbranch_vccnz .LBB730_6
; %bb.5:
	s_mov_b64 s[4:5], src_shared_base
	v_dual_mov_b32 v31, v0 :: v_dual_mov_b32 v40, v0
	v_dual_mov_b32 v0, s36 :: v_dual_mov_b32 v1, s37
	;; [unrolled: 1-line block ×8, first 2 shown]
	s_add_nc_u64 s[8:9], s[2:3], 0x50
	s_mov_b64 s[6:7], s[0:1]
	s_mov_b64 s[18:19], s[2:3]
	;; [unrolled: 1-line block ×3, first 2 shown]
	s_swap_pc_i64 s[30:31], s[16:17]
	v_mov_b32_e32 v0, v40
	s_mov_b64 s[0:1], s[20:21]
	s_mov_b64 s[2:3], s[18:19]
	s_mov_b32 s4, 0
.LBB730_6:
	s_delay_alu instid0(SALU_CYCLE_1)
	s_and_not1_b32 vcc_lo, exec_lo, s4
	s_cbranch_vccnz .LBB730_8
; %bb.7:
	s_mov_b64 s[4:5], src_shared_base
	v_dual_mov_b32 v31, v0 :: v_dual_mov_b32 v40, v0
	v_dual_mov_b32 v0, s36 :: v_dual_mov_b32 v1, s37
	;; [unrolled: 1-line block ×8, first 2 shown]
	s_add_nc_u64 s[8:9], s[2:3], 0x50
	s_mov_b64 s[6:7], s[0:1]
	s_mov_b64 s[18:19], s[2:3]
	s_mov_b64 s[20:21], s[0:1]
	s_swap_pc_i64 s[30:31], s[16:17]
	v_mov_b32_e32 v0, v40
	s_mov_b64 s[0:1], s[20:21]
	s_mov_b64 s[2:3], s[18:19]
.LBB730_8:
	s_or_b32 exec_lo, exec_lo, s15
	s_mov_b32 s4, 0
.LBB730_9:
	s_delay_alu instid0(SALU_CYCLE_1)
	s_and_not1_b32 vcc_lo, exec_lo, s4
	s_cbranch_vccnz .LBB730_14
; %bb.10:
	v_cndmask_b32_e64 v1, 0, 1, s53
	s_and_b32 s4, s48, 1
	s_get_pc_i64 s[26:27]
	s_add_nc_u64 s[26:27], s[26:27], _ZN7rocprim17ROCPRIM_400000_NS6detail40segmented_radix_sort_single_block_helperIllLj256ELj16ELb1EE4sortIPKlPlS6_S7_EEbT_T0_T1_T2_jjjjRNS3_12storage_typeE@rel64+4
	s_delay_alu instid0(VALU_DEP_1)
	v_cmp_ne_u32_e32 vcc_lo, s4, v1
	s_mov_b32 s4, -1
	s_cbranch_vccnz .LBB730_12
; %bb.11:
	s_mov_b64 s[4:5], src_shared_base
	v_dual_mov_b32 v31, v0 :: v_dual_mov_b32 v40, v0
	v_dual_mov_b32 v0, s36 :: v_dual_mov_b32 v1, s37
	;; [unrolled: 1-line block ×8, first 2 shown]
	s_add_nc_u64 s[8:9], s[2:3], 0x50
	s_mov_b64 s[6:7], s[0:1]
	s_mov_b64 s[28:29], s[2:3]
	;; [unrolled: 1-line block ×3, first 2 shown]
	s_swap_pc_i64 s[30:31], s[26:27]
	v_mov_b32_e32 v0, v40
	s_mov_b64 s[0:1], s[34:35]
	s_mov_b64 s[2:3], s[28:29]
	s_mov_b32 s4, 0
.LBB730_12:
	s_delay_alu instid0(SALU_CYCLE_1)
	s_and_not1_b32 vcc_lo, exec_lo, s4
	s_cbranch_vccnz .LBB730_14
; %bb.13:
	s_mov_b64 s[4:5], src_shared_base
	v_dual_mov_b32 v31, v0 :: v_dual_mov_b32 v40, v0
	v_dual_mov_b32 v0, s36 :: v_dual_mov_b32 v1, s37
	;; [unrolled: 1-line block ×8, first 2 shown]
	s_add_nc_u64 s[8:9], s[2:3], 0x50
	s_mov_b64 s[6:7], s[0:1]
	s_mov_b64 s[28:29], s[2:3]
	s_swap_pc_i64 s[30:31], s[26:27]
	v_mov_b32_e32 v0, v40
	s_mov_b64 s[2:3], s[28:29]
.LBB730_14:
	s_mov_b32 s4, 0
.LBB730_15:
	s_delay_alu instid0(SALU_CYCLE_1)
	s_and_not1_b32 vcc_lo, exec_lo, s4
	s_cbranch_vccnz .LBB730_1190
; %bb.16:
	s_cmp_ge_u32 s49, s50
	s_cbranch_scc1 .LBB730_1190
; %bb.17:
	v_and_b32_e32 v2, 0x3ff, v0
	v_dual_mov_b32 v5, 0 :: v_dual_bitop2_b32 v1, 3, v0 bitop3:0x40
	v_lshrrev_b32_e32 v8, 3, v0
	v_mbcnt_lo_u32_b32 v124, -1, 0
	s_delay_alu instid0(VALU_DEP_4) | instskip(NEXT) | instid1(VALU_DEP_4)
	v_dual_lshlrev_b32 v3, 2, v2 :: v_dual_lshlrev_b32 v4, 3, v2
	v_dual_lshlrev_b32 v113, 2, v1 :: v_dual_bitop2_b32 v1, 31, v2 bitop3:0x54
	s_delay_alu instid0(VALU_DEP_4) | instskip(NEXT) | instid1(VALU_DEP_3)
	v_dual_lshlrev_b32 v8, 4, v2 :: v_dual_bitop2_b32 v114, 28, v8 bitop3:0x40
	v_mad_u32_u24 v115, v2, 12, v3
	v_mov_b32_e32 v21, v5
	s_delay_alu instid0(VALU_DEP_4)
	v_cmp_eq_u32_e64 s1, v2, v1
	v_lshlrev_b32_e32 v1, 5, v2
	v_and_b32_e32 v22, 0xe00, v8
	v_mad_u32_u24 v120, v2, 20, v115
	v_add_nc_u32_e32 v118, 0x83fc, v114
	s_bfe_u32 s6, ttmp6, 0x40010
	v_add_nc_u64_e32 v[6:7], s[40:41], v[4:5]
	s_delay_alu instid0(VALU_DEP_3)
	v_dual_lshlrev_b32 v20, 3, v22 :: v_dual_sub_nc_u32 v122, v120, v1
	v_or_b32_e32 v129, v124, v22
	s_add_co_i32 s6, s6, 1
	v_bfe_u32 v119, v0, 20, 10
	s_mul_i32 s6, ttmp7, s6
	s_bfe_u32 s7, ttmp6, 0x40004
	v_bfe_u32 v121, v0, 10, 10
	v_add_nc_u64_e32 v[0:1], s[46:47], v[20:21]
	v_add_nc_u64_e32 v[8:9], s[40:41], v[20:21]
	v_add_nc_u64_e32 v[10:11], s[38:39], v[4:5]
	v_add_nc_u64_e32 v[12:13], s[44:45], v[20:21]
	v_add_nc_u64_e32 v[14:15], s[38:39], v[20:21]
	v_add_nc_u64_e32 v[16:17], s[36:37], v[4:5]
	v_add_nc_u64_e32 v[18:19], s[42:43], v[20:21]
	v_add_nc_u64_e32 v[20:21], s[36:37], v[20:21]
	v_or_b32_e32 v98, 0x100, v2
	v_or_b32_e32 v99, 0x200, v2
	;; [unrolled: 1-line block ×15, first 2 shown]
	v_cmp_gt_u32_e64 s0, 0x100, v2
	v_or_b32_e32 v116, 0x8400, v114
	v_cmp_gt_u32_e64 s4, 8, v2
	v_add_nc_u32_e32 v117, 0x8400, v3
	v_cmp_lt_u32_e64 s5, 31, v2
	s_add_nc_u64 s[34:35], s[2:3], 0x50
	s_add_co_i32 s7, s7, s6
	v_cmp_eq_u32_e64 s2, 0, v2
	v_cmp_ne_u32_e64 s3, 0xff, v2
	v_dual_add_nc_u32 v123, v122, v3 :: v_dual_mov_b32 v125, 1
	v_dual_lshlrev_b32 v4, 3, v124 :: v_dual_bitop2_b32 v126, 15, v124 bitop3:0x40
	v_bfe_i32 v127, v124, 4, 1
	v_and_b32_e32 v128, 16, v124
	v_and_b32_e32 v130, 7, v124
	v_sub_co_u32 v131, s6, v124, 1
	v_or_b32_e32 v132, 32, v129
	v_or_b32_e32 v133, 64, v129
	;; [unrolled: 1-line block ×15, first 2 shown]
	s_cmp_eq_u32 s25, 0
	s_mov_b32 s31, 0
	s_cselect_b32 s42, ttmp7, s7
	s_mov_b32 s43, s49
	s_mov_b32 s48, s49
	s_branch .LBB730_20
.LBB730_18:                             ;   in Loop: Header=BB730_20 Depth=1
	s_wait_dscnt 0x0
	s_barrier_signal -1
	s_barrier_wait -1
.LBB730_19:                             ;   in Loop: Header=BB730_20 Depth=1
	s_add_co_i32 s48, s48, 8
	s_delay_alu instid0(SALU_CYCLE_1)
	s_cmp_ge_u32 s48, s50
	s_cbranch_scc1 .LBB730_1190
.LBB730_20:                             ; =>This Loop Header: Depth=1
                                        ;     Child Loop BB730_24 Depth 2
                                        ;     Child Loop BB730_104 Depth 2
	;; [unrolled: 1-line block ×8, first 2 shown]
	s_sub_co_i32 s7, s50, s48
	s_xor_b32 s53, s53, -1
	s_min_u32 s55, s7, 8
	s_cmp_lg_u32 s48, s49
	s_mov_b32 s7, -1
	ds_store_2addr_stride64_b32 v3, v5, v5 offset1:4
	ds_store_2addr_stride64_b32 v3, v5, v5 offset0:8 offset1:12
	s_wait_storecnt_dscnt 0x0
	s_cbranch_scc0 .LBB730_606
; %bb.21:                               ;   in Loop: Header=BB730_20 Depth=1
	s_lshl_b32 s7, -1, s55
	s_and_b32 vcc_lo, exec_lo, s53
	s_not_b32 s56, s7
	s_mov_b32 s7, -1
	s_cbranch_vccz .LBB730_313
; %bb.22:                               ;   in Loop: Header=BB730_20 Depth=1
	s_mov_b32 s7, s54
	s_mov_b32 s30, s52
	s_barrier_signal -1
	s_barrier_wait -1
                                        ; implicit-def: $vgpr22_vgpr23
                                        ; implicit-def: $vgpr24_vgpr25
                                        ; implicit-def: $vgpr26_vgpr27
                                        ; implicit-def: $vgpr28_vgpr29
                                        ; implicit-def: $vgpr30_vgpr31
                                        ; implicit-def: $vgpr32_vgpr33
                                        ; implicit-def: $vgpr34_vgpr35
                                        ; implicit-def: $vgpr36_vgpr37
                                        ; implicit-def: $vgpr38_vgpr39
                                        ; implicit-def: $vgpr40_vgpr41
                                        ; implicit-def: $vgpr42_vgpr43
                                        ; implicit-def: $vgpr44_vgpr45
                                        ; implicit-def: $vgpr46_vgpr47
                                        ; implicit-def: $vgpr48_vgpr49
                                        ; implicit-def: $vgpr50_vgpr51
                                        ; implicit-def: $vgpr52_vgpr53
	s_branch .LBB730_24
.LBB730_23:                             ;   in Loop: Header=BB730_24 Depth=2
	s_or_b32 exec_lo, exec_lo, s8
	s_addk_co_i32 s7, 0xf000
	s_cmp_ge_u32 s10, s51
	s_mov_b32 s30, s10
	s_cbranch_scc1 .LBB730_92
.LBB730_24:                             ;   Parent Loop BB730_20 Depth=1
                                        ; =>  This Inner Loop Header: Depth=2
	s_add_co_i32 s10, s30, 0x1000
	s_mov_b32 s8, -1
	s_cmp_gt_u32 s10, s51
                                        ; implicit-def: $vgpr54_vgpr55
                                        ; implicit-def: $vgpr56_vgpr57
                                        ; implicit-def: $vgpr58_vgpr59
                                        ; implicit-def: $vgpr60_vgpr61
                                        ; implicit-def: $vgpr62_vgpr63
                                        ; implicit-def: $vgpr64_vgpr65
                                        ; implicit-def: $vgpr66_vgpr67
                                        ; implicit-def: $vgpr68_vgpr69
                                        ; implicit-def: $vgpr70_vgpr71
                                        ; implicit-def: $vgpr72_vgpr73
                                        ; implicit-def: $vgpr74_vgpr75
                                        ; implicit-def: $vgpr76_vgpr77
                                        ; implicit-def: $vgpr78_vgpr79
                                        ; implicit-def: $vgpr80_vgpr81
                                        ; implicit-def: $vgpr82_vgpr83
                                        ; implicit-def: $vgpr84_vgpr85
	s_cbranch_scc1 .LBB730_26
; %bb.25:                               ;   in Loop: Header=BB730_24 Depth=2
	v_lshl_add_u64 v[84:85], s[30:31], 3, v[6:7]
	s_mov_b32 s8, 0
	s_clause 0xf
	global_load_b64 v[54:55], v[84:85], off
	global_load_b64 v[56:57], v[84:85], off offset:2048
	global_load_b64 v[58:59], v[84:85], off offset:4096
	;; [unrolled: 1-line block ×15, first 2 shown]
.LBB730_26:                             ;   in Loop: Header=BB730_24 Depth=2
	s_and_not1_b32 vcc_lo, exec_lo, s8
	s_movk_i32 s8, 0x1000
	s_cbranch_vccnz .LBB730_45
; %bb.27:                               ;   in Loop: Header=BB730_24 Depth=2
	s_lshl_b64 s[8:9], s[30:31], 3
	s_mov_b32 s11, exec_lo
	s_add_nc_u64 s[8:9], s[40:41], s[8:9]
	s_wait_xcnt 0x0
	v_cmpx_gt_u32_e64 s7, v2
	s_cbranch_execnz .LBB730_77
; %bb.28:                               ;   in Loop: Header=BB730_24 Depth=2
	s_or_b32 exec_lo, exec_lo, s11
	s_delay_alu instid0(SALU_CYCLE_1)
	s_mov_b32 s11, exec_lo
	v_cmpx_gt_u32_e64 s7, v98
	s_cbranch_execnz .LBB730_78
.LBB730_29:                             ;   in Loop: Header=BB730_24 Depth=2
	s_or_b32 exec_lo, exec_lo, s11
	s_delay_alu instid0(SALU_CYCLE_1)
	s_mov_b32 s11, exec_lo
	v_cmpx_gt_u32_e64 s7, v99
	s_cbranch_execnz .LBB730_79
.LBB730_30:                             ;   in Loop: Header=BB730_24 Depth=2
	s_or_b32 exec_lo, exec_lo, s11
	s_delay_alu instid0(SALU_CYCLE_1)
	s_mov_b32 s11, exec_lo
	v_cmpx_gt_u32_e64 s7, v100
	s_cbranch_execnz .LBB730_80
.LBB730_31:                             ;   in Loop: Header=BB730_24 Depth=2
	s_or_b32 exec_lo, exec_lo, s11
	s_delay_alu instid0(SALU_CYCLE_1)
	s_mov_b32 s11, exec_lo
	v_cmpx_gt_u32_e64 s7, v101
	s_cbranch_execnz .LBB730_81
.LBB730_32:                             ;   in Loop: Header=BB730_24 Depth=2
	s_or_b32 exec_lo, exec_lo, s11
	s_delay_alu instid0(SALU_CYCLE_1)
	s_mov_b32 s11, exec_lo
	v_cmpx_gt_u32_e64 s7, v102
	s_cbranch_execnz .LBB730_82
.LBB730_33:                             ;   in Loop: Header=BB730_24 Depth=2
	s_or_b32 exec_lo, exec_lo, s11
	s_delay_alu instid0(SALU_CYCLE_1)
	s_mov_b32 s11, exec_lo
	v_cmpx_gt_u32_e64 s7, v103
	s_cbranch_execnz .LBB730_83
.LBB730_34:                             ;   in Loop: Header=BB730_24 Depth=2
	s_or_b32 exec_lo, exec_lo, s11
	s_delay_alu instid0(SALU_CYCLE_1)
	s_mov_b32 s11, exec_lo
	v_cmpx_gt_u32_e64 s7, v104
	s_cbranch_execnz .LBB730_84
.LBB730_35:                             ;   in Loop: Header=BB730_24 Depth=2
	s_or_b32 exec_lo, exec_lo, s11
	s_delay_alu instid0(SALU_CYCLE_1)
	s_mov_b32 s11, exec_lo
	v_cmpx_gt_u32_e64 s7, v105
	s_cbranch_execnz .LBB730_85
.LBB730_36:                             ;   in Loop: Header=BB730_24 Depth=2
	s_or_b32 exec_lo, exec_lo, s11
	s_delay_alu instid0(SALU_CYCLE_1)
	s_mov_b32 s11, exec_lo
	v_cmpx_gt_u32_e64 s7, v106
	s_cbranch_execnz .LBB730_86
.LBB730_37:                             ;   in Loop: Header=BB730_24 Depth=2
	s_or_b32 exec_lo, exec_lo, s11
	s_delay_alu instid0(SALU_CYCLE_1)
	s_mov_b32 s11, exec_lo
	v_cmpx_gt_u32_e64 s7, v107
	s_cbranch_execnz .LBB730_87
.LBB730_38:                             ;   in Loop: Header=BB730_24 Depth=2
	s_or_b32 exec_lo, exec_lo, s11
	s_delay_alu instid0(SALU_CYCLE_1)
	s_mov_b32 s11, exec_lo
	v_cmpx_gt_u32_e64 s7, v108
	s_cbranch_execnz .LBB730_88
.LBB730_39:                             ;   in Loop: Header=BB730_24 Depth=2
	s_or_b32 exec_lo, exec_lo, s11
	s_delay_alu instid0(SALU_CYCLE_1)
	s_mov_b32 s11, exec_lo
	v_cmpx_gt_u32_e64 s7, v109
	s_cbranch_execnz .LBB730_89
.LBB730_40:                             ;   in Loop: Header=BB730_24 Depth=2
	s_or_b32 exec_lo, exec_lo, s11
	s_delay_alu instid0(SALU_CYCLE_1)
	s_mov_b32 s11, exec_lo
	v_cmpx_gt_u32_e64 s7, v110
	s_cbranch_execnz .LBB730_90
.LBB730_41:                             ;   in Loop: Header=BB730_24 Depth=2
	s_or_b32 exec_lo, exec_lo, s11
	s_delay_alu instid0(SALU_CYCLE_1)
	s_mov_b32 s11, exec_lo
	v_cmpx_gt_u32_e64 s7, v111
	s_cbranch_execnz .LBB730_91
.LBB730_42:                             ;   in Loop: Header=BB730_24 Depth=2
	s_or_b32 exec_lo, exec_lo, s11
	s_delay_alu instid0(SALU_CYCLE_1)
	s_mov_b32 s11, exec_lo
	v_cmpx_gt_u32_e64 s7, v112
	s_cbranch_execz .LBB730_44
.LBB730_43:                             ;   in Loop: Header=BB730_24 Depth=2
	global_load_b64 v[22:23], v2, s[8:9] offset:30720 scale_offset
.LBB730_44:                             ;   in Loop: Header=BB730_24 Depth=2
	s_wait_xcnt 0x0
	s_or_b32 exec_lo, exec_lo, s11
	s_wait_loadcnt 0x0
	v_mov_b64_e32 v[54:55], v[52:53]
	v_mov_b64_e32 v[56:57], v[50:51]
	v_mov_b64_e32 v[58:59], v[48:49]
	v_mov_b64_e32 v[60:61], v[46:47]
	v_mov_b64_e32 v[62:63], v[44:45]
	v_mov_b64_e32 v[64:65], v[42:43]
	v_mov_b64_e32 v[66:67], v[40:41]
	v_mov_b64_e32 v[68:69], v[38:39]
	v_mov_b64_e32 v[70:71], v[36:37]
	v_mov_b64_e32 v[72:73], v[34:35]
	v_mov_b64_e32 v[74:75], v[32:33]
	v_mov_b64_e32 v[76:77], v[30:31]
	v_mov_b64_e32 v[78:79], v[28:29]
	v_mov_b64_e32 v[80:81], v[26:27]
	v_mov_b64_e32 v[82:83], v[24:25]
	v_mov_b64_e32 v[84:85], v[22:23]
	s_mov_b32 s8, s7
.LBB730_45:                             ;   in Loop: Header=BB730_24 Depth=2
	s_wait_loadcnt 0x0
	s_delay_alu instid0(VALU_DEP_1) | instskip(NEXT) | instid1(VALU_DEP_3)
	v_mov_b64_e32 v[22:23], v[84:85]
	v_mov_b64_e32 v[24:25], v[82:83]
	;; [unrolled: 1-line block ×16, first 2 shown]
	s_mov_b32 s9, exec_lo
	s_wait_xcnt 0x0
	v_cmpx_gt_u32_e64 s8, v2
	s_cbranch_execnz .LBB730_61
; %bb.46:                               ;   in Loop: Header=BB730_24 Depth=2
	s_or_b32 exec_lo, exec_lo, s9
	s_delay_alu instid0(SALU_CYCLE_1)
	s_mov_b32 s9, exec_lo
	v_cmpx_gt_u32_e64 s8, v98
	s_cbranch_execnz .LBB730_62
.LBB730_47:                             ;   in Loop: Header=BB730_24 Depth=2
	s_or_b32 exec_lo, exec_lo, s9
	s_delay_alu instid0(SALU_CYCLE_1)
	s_mov_b32 s9, exec_lo
	v_cmpx_gt_u32_e64 s8, v99
	s_cbranch_execnz .LBB730_63
.LBB730_48:                             ;   in Loop: Header=BB730_24 Depth=2
	s_or_b32 exec_lo, exec_lo, s9
	s_delay_alu instid0(SALU_CYCLE_1)
	s_mov_b32 s9, exec_lo
	v_cmpx_gt_u32_e64 s8, v100
	s_cbranch_execnz .LBB730_64
.LBB730_49:                             ;   in Loop: Header=BB730_24 Depth=2
	s_or_b32 exec_lo, exec_lo, s9
	s_delay_alu instid0(SALU_CYCLE_1)
	s_mov_b32 s9, exec_lo
	v_cmpx_gt_u32_e64 s8, v101
	s_cbranch_execnz .LBB730_65
.LBB730_50:                             ;   in Loop: Header=BB730_24 Depth=2
	s_or_b32 exec_lo, exec_lo, s9
	s_delay_alu instid0(SALU_CYCLE_1)
	s_mov_b32 s9, exec_lo
	v_cmpx_gt_u32_e64 s8, v102
	s_cbranch_execnz .LBB730_66
.LBB730_51:                             ;   in Loop: Header=BB730_24 Depth=2
	s_or_b32 exec_lo, exec_lo, s9
	s_delay_alu instid0(SALU_CYCLE_1)
	s_mov_b32 s9, exec_lo
	v_cmpx_gt_u32_e64 s8, v103
	s_cbranch_execnz .LBB730_67
.LBB730_52:                             ;   in Loop: Header=BB730_24 Depth=2
	s_or_b32 exec_lo, exec_lo, s9
	s_delay_alu instid0(SALU_CYCLE_1)
	s_mov_b32 s9, exec_lo
	v_cmpx_gt_u32_e64 s8, v104
	s_cbranch_execnz .LBB730_68
.LBB730_53:                             ;   in Loop: Header=BB730_24 Depth=2
	s_or_b32 exec_lo, exec_lo, s9
	s_delay_alu instid0(SALU_CYCLE_1)
	s_mov_b32 s9, exec_lo
	v_cmpx_gt_u32_e64 s8, v105
	s_cbranch_execnz .LBB730_69
.LBB730_54:                             ;   in Loop: Header=BB730_24 Depth=2
	s_or_b32 exec_lo, exec_lo, s9
	s_delay_alu instid0(SALU_CYCLE_1)
	s_mov_b32 s9, exec_lo
	v_cmpx_gt_u32_e64 s8, v106
	s_cbranch_execnz .LBB730_70
.LBB730_55:                             ;   in Loop: Header=BB730_24 Depth=2
	s_or_b32 exec_lo, exec_lo, s9
	s_delay_alu instid0(SALU_CYCLE_1)
	s_mov_b32 s9, exec_lo
	v_cmpx_gt_u32_e64 s8, v107
	s_cbranch_execnz .LBB730_71
.LBB730_56:                             ;   in Loop: Header=BB730_24 Depth=2
	s_or_b32 exec_lo, exec_lo, s9
	s_delay_alu instid0(SALU_CYCLE_1)
	s_mov_b32 s9, exec_lo
	v_cmpx_gt_u32_e64 s8, v108
	s_cbranch_execnz .LBB730_72
.LBB730_57:                             ;   in Loop: Header=BB730_24 Depth=2
	s_or_b32 exec_lo, exec_lo, s9
	s_delay_alu instid0(SALU_CYCLE_1)
	s_mov_b32 s9, exec_lo
	v_cmpx_gt_u32_e64 s8, v109
	s_cbranch_execnz .LBB730_73
.LBB730_58:                             ;   in Loop: Header=BB730_24 Depth=2
	s_or_b32 exec_lo, exec_lo, s9
	s_delay_alu instid0(SALU_CYCLE_1)
	s_mov_b32 s9, exec_lo
	v_cmpx_gt_u32_e64 s8, v110
	s_cbranch_execnz .LBB730_74
.LBB730_59:                             ;   in Loop: Header=BB730_24 Depth=2
	s_or_b32 exec_lo, exec_lo, s9
	s_delay_alu instid0(SALU_CYCLE_1)
	s_mov_b32 s9, exec_lo
	v_cmpx_gt_u32_e64 s8, v111
	s_cbranch_execnz .LBB730_75
.LBB730_60:                             ;   in Loop: Header=BB730_24 Depth=2
	s_or_b32 exec_lo, exec_lo, s9
	v_cmp_gt_u32_e32 vcc_lo, s8, v112
	s_and_saveexec_b32 s8, vcc_lo
	s_cbranch_execz .LBB730_23
	s_branch .LBB730_76
.LBB730_61:                             ;   in Loop: Header=BB730_24 Depth=2
	s_delay_alu instid0(VALU_DEP_2) | instskip(NEXT) | instid1(VALU_DEP_3)
	v_xor_b32_e32 v55, 0x7fffffff, v53
	v_not_b32_e32 v54, v52
	s_delay_alu instid0(VALU_DEP_1) | instskip(NEXT) | instid1(VALU_DEP_1)
	v_lshrrev_b64 v[54:55], s48, v[54:55]
	v_and_b32_e32 v54, s56, v54
	s_delay_alu instid0(VALU_DEP_1) | instskip(SKIP_2) | instid1(SALU_CYCLE_1)
	v_lshl_or_b32 v54, v54, 4, v113
	ds_add_u32 v54, v125
	s_or_b32 exec_lo, exec_lo, s9
	s_mov_b32 s9, exec_lo
	v_cmpx_gt_u32_e64 s8, v98
	s_cbranch_execz .LBB730_47
.LBB730_62:                             ;   in Loop: Header=BB730_24 Depth=2
	v_xor_b32_e32 v55, 0x7fffffff, v51
	v_not_b32_e32 v54, v50
	s_delay_alu instid0(VALU_DEP_1) | instskip(NEXT) | instid1(VALU_DEP_1)
	v_lshrrev_b64 v[54:55], s48, v[54:55]
	v_and_b32_e32 v54, s56, v54
	s_delay_alu instid0(VALU_DEP_1) | instskip(SKIP_2) | instid1(SALU_CYCLE_1)
	v_lshl_or_b32 v54, v54, 4, v113
	ds_add_u32 v54, v125
	s_or_b32 exec_lo, exec_lo, s9
	s_mov_b32 s9, exec_lo
	v_cmpx_gt_u32_e64 s8, v99
	s_cbranch_execz .LBB730_48
.LBB730_63:                             ;   in Loop: Header=BB730_24 Depth=2
	v_xor_b32_e32 v55, 0x7fffffff, v49
	v_not_b32_e32 v54, v48
	s_delay_alu instid0(VALU_DEP_1) | instskip(NEXT) | instid1(VALU_DEP_1)
	v_lshrrev_b64 v[54:55], s48, v[54:55]
	v_and_b32_e32 v54, s56, v54
	s_delay_alu instid0(VALU_DEP_1) | instskip(SKIP_2) | instid1(SALU_CYCLE_1)
	v_lshl_or_b32 v54, v54, 4, v113
	ds_add_u32 v54, v125
	s_or_b32 exec_lo, exec_lo, s9
	s_mov_b32 s9, exec_lo
	v_cmpx_gt_u32_e64 s8, v100
	s_cbranch_execz .LBB730_49
.LBB730_64:                             ;   in Loop: Header=BB730_24 Depth=2
	v_xor_b32_e32 v55, 0x7fffffff, v47
	v_not_b32_e32 v54, v46
	s_delay_alu instid0(VALU_DEP_1) | instskip(NEXT) | instid1(VALU_DEP_1)
	v_lshrrev_b64 v[54:55], s48, v[54:55]
	v_and_b32_e32 v54, s56, v54
	s_delay_alu instid0(VALU_DEP_1) | instskip(SKIP_2) | instid1(SALU_CYCLE_1)
	v_lshl_or_b32 v54, v54, 4, v113
	ds_add_u32 v54, v125
	s_or_b32 exec_lo, exec_lo, s9
	s_mov_b32 s9, exec_lo
	v_cmpx_gt_u32_e64 s8, v101
	s_cbranch_execz .LBB730_50
.LBB730_65:                             ;   in Loop: Header=BB730_24 Depth=2
	v_xor_b32_e32 v55, 0x7fffffff, v45
	v_not_b32_e32 v54, v44
	s_delay_alu instid0(VALU_DEP_1) | instskip(NEXT) | instid1(VALU_DEP_1)
	v_lshrrev_b64 v[54:55], s48, v[54:55]
	v_and_b32_e32 v54, s56, v54
	s_delay_alu instid0(VALU_DEP_1) | instskip(SKIP_2) | instid1(SALU_CYCLE_1)
	v_lshl_or_b32 v54, v54, 4, v113
	ds_add_u32 v54, v125
	s_or_b32 exec_lo, exec_lo, s9
	s_mov_b32 s9, exec_lo
	v_cmpx_gt_u32_e64 s8, v102
	s_cbranch_execz .LBB730_51
.LBB730_66:                             ;   in Loop: Header=BB730_24 Depth=2
	v_xor_b32_e32 v55, 0x7fffffff, v43
	v_not_b32_e32 v54, v42
	s_delay_alu instid0(VALU_DEP_1) | instskip(NEXT) | instid1(VALU_DEP_1)
	v_lshrrev_b64 v[54:55], s48, v[54:55]
	v_and_b32_e32 v54, s56, v54
	s_delay_alu instid0(VALU_DEP_1) | instskip(SKIP_2) | instid1(SALU_CYCLE_1)
	v_lshl_or_b32 v54, v54, 4, v113
	ds_add_u32 v54, v125
	s_or_b32 exec_lo, exec_lo, s9
	s_mov_b32 s9, exec_lo
	v_cmpx_gt_u32_e64 s8, v103
	s_cbranch_execz .LBB730_52
.LBB730_67:                             ;   in Loop: Header=BB730_24 Depth=2
	v_xor_b32_e32 v55, 0x7fffffff, v41
	v_not_b32_e32 v54, v40
	s_delay_alu instid0(VALU_DEP_1) | instskip(NEXT) | instid1(VALU_DEP_1)
	v_lshrrev_b64 v[54:55], s48, v[54:55]
	v_and_b32_e32 v54, s56, v54
	s_delay_alu instid0(VALU_DEP_1) | instskip(SKIP_2) | instid1(SALU_CYCLE_1)
	v_lshl_or_b32 v54, v54, 4, v113
	ds_add_u32 v54, v125
	s_or_b32 exec_lo, exec_lo, s9
	s_mov_b32 s9, exec_lo
	v_cmpx_gt_u32_e64 s8, v104
	s_cbranch_execz .LBB730_53
.LBB730_68:                             ;   in Loop: Header=BB730_24 Depth=2
	v_xor_b32_e32 v55, 0x7fffffff, v39
	v_not_b32_e32 v54, v38
	s_delay_alu instid0(VALU_DEP_1) | instskip(NEXT) | instid1(VALU_DEP_1)
	v_lshrrev_b64 v[54:55], s48, v[54:55]
	v_and_b32_e32 v54, s56, v54
	s_delay_alu instid0(VALU_DEP_1) | instskip(SKIP_2) | instid1(SALU_CYCLE_1)
	v_lshl_or_b32 v54, v54, 4, v113
	ds_add_u32 v54, v125
	s_or_b32 exec_lo, exec_lo, s9
	s_mov_b32 s9, exec_lo
	v_cmpx_gt_u32_e64 s8, v105
	s_cbranch_execz .LBB730_54
.LBB730_69:                             ;   in Loop: Header=BB730_24 Depth=2
	v_xor_b32_e32 v55, 0x7fffffff, v37
	v_not_b32_e32 v54, v36
	s_delay_alu instid0(VALU_DEP_1) | instskip(NEXT) | instid1(VALU_DEP_1)
	v_lshrrev_b64 v[54:55], s48, v[54:55]
	v_and_b32_e32 v54, s56, v54
	s_delay_alu instid0(VALU_DEP_1) | instskip(SKIP_2) | instid1(SALU_CYCLE_1)
	v_lshl_or_b32 v54, v54, 4, v113
	ds_add_u32 v54, v125
	s_or_b32 exec_lo, exec_lo, s9
	s_mov_b32 s9, exec_lo
	v_cmpx_gt_u32_e64 s8, v106
	s_cbranch_execz .LBB730_55
.LBB730_70:                             ;   in Loop: Header=BB730_24 Depth=2
	v_xor_b32_e32 v55, 0x7fffffff, v35
	v_not_b32_e32 v54, v34
	s_delay_alu instid0(VALU_DEP_1) | instskip(NEXT) | instid1(VALU_DEP_1)
	v_lshrrev_b64 v[54:55], s48, v[54:55]
	v_and_b32_e32 v54, s56, v54
	s_delay_alu instid0(VALU_DEP_1) | instskip(SKIP_2) | instid1(SALU_CYCLE_1)
	v_lshl_or_b32 v54, v54, 4, v113
	ds_add_u32 v54, v125
	s_or_b32 exec_lo, exec_lo, s9
	s_mov_b32 s9, exec_lo
	v_cmpx_gt_u32_e64 s8, v107
	s_cbranch_execz .LBB730_56
.LBB730_71:                             ;   in Loop: Header=BB730_24 Depth=2
	v_xor_b32_e32 v55, 0x7fffffff, v33
	v_not_b32_e32 v54, v32
	s_delay_alu instid0(VALU_DEP_1) | instskip(NEXT) | instid1(VALU_DEP_1)
	v_lshrrev_b64 v[54:55], s48, v[54:55]
	v_and_b32_e32 v54, s56, v54
	s_delay_alu instid0(VALU_DEP_1) | instskip(SKIP_2) | instid1(SALU_CYCLE_1)
	v_lshl_or_b32 v54, v54, 4, v113
	ds_add_u32 v54, v125
	s_or_b32 exec_lo, exec_lo, s9
	s_mov_b32 s9, exec_lo
	v_cmpx_gt_u32_e64 s8, v108
	s_cbranch_execz .LBB730_57
.LBB730_72:                             ;   in Loop: Header=BB730_24 Depth=2
	v_xor_b32_e32 v55, 0x7fffffff, v31
	v_not_b32_e32 v54, v30
	s_delay_alu instid0(VALU_DEP_1) | instskip(NEXT) | instid1(VALU_DEP_1)
	v_lshrrev_b64 v[54:55], s48, v[54:55]
	v_and_b32_e32 v54, s56, v54
	s_delay_alu instid0(VALU_DEP_1) | instskip(SKIP_2) | instid1(SALU_CYCLE_1)
	v_lshl_or_b32 v54, v54, 4, v113
	ds_add_u32 v54, v125
	s_or_b32 exec_lo, exec_lo, s9
	s_mov_b32 s9, exec_lo
	v_cmpx_gt_u32_e64 s8, v109
	s_cbranch_execz .LBB730_58
.LBB730_73:                             ;   in Loop: Header=BB730_24 Depth=2
	v_xor_b32_e32 v55, 0x7fffffff, v29
	v_not_b32_e32 v54, v28
	s_delay_alu instid0(VALU_DEP_1) | instskip(NEXT) | instid1(VALU_DEP_1)
	v_lshrrev_b64 v[54:55], s48, v[54:55]
	v_and_b32_e32 v54, s56, v54
	s_delay_alu instid0(VALU_DEP_1) | instskip(SKIP_2) | instid1(SALU_CYCLE_1)
	v_lshl_or_b32 v54, v54, 4, v113
	ds_add_u32 v54, v125
	s_or_b32 exec_lo, exec_lo, s9
	s_mov_b32 s9, exec_lo
	v_cmpx_gt_u32_e64 s8, v110
	s_cbranch_execz .LBB730_59
.LBB730_74:                             ;   in Loop: Header=BB730_24 Depth=2
	v_xor_b32_e32 v55, 0x7fffffff, v27
	v_not_b32_e32 v54, v26
	s_delay_alu instid0(VALU_DEP_1) | instskip(NEXT) | instid1(VALU_DEP_1)
	v_lshrrev_b64 v[54:55], s48, v[54:55]
	v_and_b32_e32 v54, s56, v54
	s_delay_alu instid0(VALU_DEP_1) | instskip(SKIP_2) | instid1(SALU_CYCLE_1)
	v_lshl_or_b32 v54, v54, 4, v113
	ds_add_u32 v54, v125
	s_or_b32 exec_lo, exec_lo, s9
	s_mov_b32 s9, exec_lo
	v_cmpx_gt_u32_e64 s8, v111
	s_cbranch_execz .LBB730_60
.LBB730_75:                             ;   in Loop: Header=BB730_24 Depth=2
	v_xor_b32_e32 v55, 0x7fffffff, v25
	v_not_b32_e32 v54, v24
	s_delay_alu instid0(VALU_DEP_1) | instskip(NEXT) | instid1(VALU_DEP_1)
	v_lshrrev_b64 v[54:55], s48, v[54:55]
	v_and_b32_e32 v54, s56, v54
	s_delay_alu instid0(VALU_DEP_1)
	v_lshl_or_b32 v54, v54, 4, v113
	ds_add_u32 v54, v125
	s_or_b32 exec_lo, exec_lo, s9
	v_cmp_gt_u32_e32 vcc_lo, s8, v112
	s_and_saveexec_b32 s8, vcc_lo
	s_cbranch_execz .LBB730_23
.LBB730_76:                             ;   in Loop: Header=BB730_24 Depth=2
	v_xor_b32_e32 v55, 0x7fffffff, v23
	v_not_b32_e32 v54, v22
	s_delay_alu instid0(VALU_DEP_1) | instskip(NEXT) | instid1(VALU_DEP_1)
	v_lshrrev_b64 v[54:55], s48, v[54:55]
	v_and_b32_e32 v54, s56, v54
	s_delay_alu instid0(VALU_DEP_1)
	v_lshl_or_b32 v54, v54, 4, v113
	ds_add_u32 v54, v125
	s_branch .LBB730_23
.LBB730_77:                             ;   in Loop: Header=BB730_24 Depth=2
	global_load_b64 v[52:53], v2, s[8:9] scale_offset
	s_wait_xcnt 0x0
	s_or_b32 exec_lo, exec_lo, s11
	s_delay_alu instid0(SALU_CYCLE_1)
	s_mov_b32 s11, exec_lo
	v_cmpx_gt_u32_e64 s7, v98
	s_cbranch_execz .LBB730_29
.LBB730_78:                             ;   in Loop: Header=BB730_24 Depth=2
	global_load_b64 v[50:51], v2, s[8:9] offset:2048 scale_offset
	s_wait_xcnt 0x0
	s_or_b32 exec_lo, exec_lo, s11
	s_delay_alu instid0(SALU_CYCLE_1)
	s_mov_b32 s11, exec_lo
	v_cmpx_gt_u32_e64 s7, v99
	s_cbranch_execz .LBB730_30
.LBB730_79:                             ;   in Loop: Header=BB730_24 Depth=2
	global_load_b64 v[48:49], v2, s[8:9] offset:4096 scale_offset
	s_wait_xcnt 0x0
	s_or_b32 exec_lo, exec_lo, s11
	s_delay_alu instid0(SALU_CYCLE_1)
	s_mov_b32 s11, exec_lo
	v_cmpx_gt_u32_e64 s7, v100
	s_cbranch_execz .LBB730_31
.LBB730_80:                             ;   in Loop: Header=BB730_24 Depth=2
	global_load_b64 v[46:47], v2, s[8:9] offset:6144 scale_offset
	s_wait_xcnt 0x0
	s_or_b32 exec_lo, exec_lo, s11
	s_delay_alu instid0(SALU_CYCLE_1)
	s_mov_b32 s11, exec_lo
	v_cmpx_gt_u32_e64 s7, v101
	s_cbranch_execz .LBB730_32
.LBB730_81:                             ;   in Loop: Header=BB730_24 Depth=2
	global_load_b64 v[44:45], v2, s[8:9] offset:8192 scale_offset
	s_wait_xcnt 0x0
	s_or_b32 exec_lo, exec_lo, s11
	s_delay_alu instid0(SALU_CYCLE_1)
	s_mov_b32 s11, exec_lo
	v_cmpx_gt_u32_e64 s7, v102
	s_cbranch_execz .LBB730_33
.LBB730_82:                             ;   in Loop: Header=BB730_24 Depth=2
	global_load_b64 v[42:43], v2, s[8:9] offset:10240 scale_offset
	s_wait_xcnt 0x0
	s_or_b32 exec_lo, exec_lo, s11
	s_delay_alu instid0(SALU_CYCLE_1)
	s_mov_b32 s11, exec_lo
	v_cmpx_gt_u32_e64 s7, v103
	s_cbranch_execz .LBB730_34
.LBB730_83:                             ;   in Loop: Header=BB730_24 Depth=2
	global_load_b64 v[40:41], v2, s[8:9] offset:12288 scale_offset
	s_wait_xcnt 0x0
	s_or_b32 exec_lo, exec_lo, s11
	s_delay_alu instid0(SALU_CYCLE_1)
	s_mov_b32 s11, exec_lo
	v_cmpx_gt_u32_e64 s7, v104
	s_cbranch_execz .LBB730_35
.LBB730_84:                             ;   in Loop: Header=BB730_24 Depth=2
	global_load_b64 v[38:39], v2, s[8:9] offset:14336 scale_offset
	s_wait_xcnt 0x0
	s_or_b32 exec_lo, exec_lo, s11
	s_delay_alu instid0(SALU_CYCLE_1)
	s_mov_b32 s11, exec_lo
	v_cmpx_gt_u32_e64 s7, v105
	s_cbranch_execz .LBB730_36
.LBB730_85:                             ;   in Loop: Header=BB730_24 Depth=2
	global_load_b64 v[36:37], v2, s[8:9] offset:16384 scale_offset
	s_wait_xcnt 0x0
	s_or_b32 exec_lo, exec_lo, s11
	s_delay_alu instid0(SALU_CYCLE_1)
	s_mov_b32 s11, exec_lo
	v_cmpx_gt_u32_e64 s7, v106
	s_cbranch_execz .LBB730_37
.LBB730_86:                             ;   in Loop: Header=BB730_24 Depth=2
	global_load_b64 v[34:35], v2, s[8:9] offset:18432 scale_offset
	s_wait_xcnt 0x0
	s_or_b32 exec_lo, exec_lo, s11
	s_delay_alu instid0(SALU_CYCLE_1)
	s_mov_b32 s11, exec_lo
	v_cmpx_gt_u32_e64 s7, v107
	s_cbranch_execz .LBB730_38
.LBB730_87:                             ;   in Loop: Header=BB730_24 Depth=2
	global_load_b64 v[32:33], v2, s[8:9] offset:20480 scale_offset
	s_wait_xcnt 0x0
	s_or_b32 exec_lo, exec_lo, s11
	s_delay_alu instid0(SALU_CYCLE_1)
	s_mov_b32 s11, exec_lo
	v_cmpx_gt_u32_e64 s7, v108
	s_cbranch_execz .LBB730_39
.LBB730_88:                             ;   in Loop: Header=BB730_24 Depth=2
	global_load_b64 v[30:31], v2, s[8:9] offset:22528 scale_offset
	s_wait_xcnt 0x0
	s_or_b32 exec_lo, exec_lo, s11
	s_delay_alu instid0(SALU_CYCLE_1)
	s_mov_b32 s11, exec_lo
	v_cmpx_gt_u32_e64 s7, v109
	s_cbranch_execz .LBB730_40
.LBB730_89:                             ;   in Loop: Header=BB730_24 Depth=2
	global_load_b64 v[28:29], v2, s[8:9] offset:24576 scale_offset
	s_wait_xcnt 0x0
	s_or_b32 exec_lo, exec_lo, s11
	s_delay_alu instid0(SALU_CYCLE_1)
	s_mov_b32 s11, exec_lo
	v_cmpx_gt_u32_e64 s7, v110
	s_cbranch_execz .LBB730_41
.LBB730_90:                             ;   in Loop: Header=BB730_24 Depth=2
	global_load_b64 v[26:27], v2, s[8:9] offset:26624 scale_offset
	s_wait_xcnt 0x0
	s_or_b32 exec_lo, exec_lo, s11
	s_delay_alu instid0(SALU_CYCLE_1)
	s_mov_b32 s11, exec_lo
	v_cmpx_gt_u32_e64 s7, v111
	s_cbranch_execz .LBB730_42
.LBB730_91:                             ;   in Loop: Header=BB730_24 Depth=2
	global_load_b64 v[24:25], v2, s[8:9] offset:28672 scale_offset
	s_wait_xcnt 0x0
	s_or_b32 exec_lo, exec_lo, s11
	s_delay_alu instid0(SALU_CYCLE_1)
	s_mov_b32 s11, exec_lo
	v_cmpx_gt_u32_e64 s7, v112
	s_cbranch_execnz .LBB730_43
	s_branch .LBB730_44
.LBB730_92:                             ;   in Loop: Header=BB730_20 Depth=1
	v_mov_b32_e32 v22, 0
	s_wait_dscnt 0x0
	s_barrier_signal -1
	s_barrier_wait -1
	s_and_saveexec_b32 s7, s0
	s_cbranch_execz .LBB730_94
; %bb.93:                               ;   in Loop: Header=BB730_20 Depth=1
	ds_load_2addr_b64 v[22:25], v115 offset1:1
	s_wait_dscnt 0x0
	v_add_nc_u32_e32 v22, v23, v22
	s_delay_alu instid0(VALU_DEP_1)
	v_add3_u32 v22, v22, v24, v25
.LBB730_94:                             ;   in Loop: Header=BB730_20 Depth=1
	s_or_b32 exec_lo, exec_lo, s7
	s_delay_alu instid0(VALU_DEP_1)
	v_mov_b32_dpp v23, v22 row_shr:1 row_mask:0xf bank_mask:0xf
	v_cmp_eq_u32_e64 s7, 0, v126
	v_cmp_lt_u32_e64 s8, 1, v126
	v_cmp_lt_u32_e64 s9, 3, v126
	;; [unrolled: 1-line block ×3, first 2 shown]
	v_cmp_eq_u32_e64 s11, 0, v128
	v_cndmask_b32_e64 v23, v23, 0, s7
	s_delay_alu instid0(VALU_DEP_1) | instskip(NEXT) | instid1(VALU_DEP_1)
	v_add_nc_u32_e32 v22, v23, v22
	v_mov_b32_dpp v23, v22 row_shr:2 row_mask:0xf bank_mask:0xf
	s_delay_alu instid0(VALU_DEP_1) | instskip(NEXT) | instid1(VALU_DEP_1)
	v_cndmask_b32_e64 v23, 0, v23, s8
	v_add_nc_u32_e32 v22, v22, v23
	s_delay_alu instid0(VALU_DEP_1) | instskip(NEXT) | instid1(VALU_DEP_1)
	v_mov_b32_dpp v23, v22 row_shr:4 row_mask:0xf bank_mask:0xf
	v_cndmask_b32_e64 v23, 0, v23, s9
	s_delay_alu instid0(VALU_DEP_1) | instskip(NEXT) | instid1(VALU_DEP_1)
	v_add_nc_u32_e32 v22, v22, v23
	v_mov_b32_dpp v23, v22 row_shr:8 row_mask:0xf bank_mask:0xf
	s_delay_alu instid0(VALU_DEP_1) | instskip(NEXT) | instid1(VALU_DEP_1)
	v_cndmask_b32_e64 v23, 0, v23, s10
	v_add_nc_u32_e32 v22, v22, v23
	ds_swizzle_b32 v23, v22 offset:swizzle(BROADCAST,32,15)
	s_wait_dscnt 0x0
	v_and_b32_e32 v23, v127, v23
	s_delay_alu instid0(VALU_DEP_1)
	v_add_nc_u32_e32 v22, v22, v23
	s_and_saveexec_b32 s12, s1
; %bb.95:                               ;   in Loop: Header=BB730_20 Depth=1
	ds_store_b32 v116, v22
; %bb.96:                               ;   in Loop: Header=BB730_20 Depth=1
	s_or_b32 exec_lo, exec_lo, s12
	s_wait_dscnt 0x0
	s_barrier_signal -1
	s_barrier_wait -1
	s_and_saveexec_b32 s12, s4
	s_cbranch_execz .LBB730_98
; %bb.97:                               ;   in Loop: Header=BB730_20 Depth=1
	ds_load_b32 v23, v117
	v_cmp_ne_u32_e32 vcc_lo, 0, v130
	s_wait_dscnt 0x0
	v_mov_b32_dpp v24, v23 row_shr:1 row_mask:0xf bank_mask:0xf
	s_delay_alu instid0(VALU_DEP_1) | instskip(SKIP_1) | instid1(VALU_DEP_2)
	v_cndmask_b32_e32 v24, 0, v24, vcc_lo
	v_cmp_lt_u32_e32 vcc_lo, 1, v130
	v_add_nc_u32_e32 v23, v24, v23
	s_delay_alu instid0(VALU_DEP_1) | instskip(NEXT) | instid1(VALU_DEP_1)
	v_mov_b32_dpp v24, v23 row_shr:2 row_mask:0xf bank_mask:0xf
	v_cndmask_b32_e32 v24, 0, v24, vcc_lo
	v_cmp_lt_u32_e32 vcc_lo, 3, v130
	s_delay_alu instid0(VALU_DEP_2) | instskip(NEXT) | instid1(VALU_DEP_1)
	v_add_nc_u32_e32 v23, v23, v24
	v_mov_b32_dpp v24, v23 row_shr:4 row_mask:0xf bank_mask:0xf
	s_delay_alu instid0(VALU_DEP_1) | instskip(NEXT) | instid1(VALU_DEP_1)
	v_cndmask_b32_e32 v24, 0, v24, vcc_lo
	v_add_nc_u32_e32 v23, v23, v24
	ds_store_b32 v117, v23
.LBB730_98:                             ;   in Loop: Header=BB730_20 Depth=1
	s_or_b32 exec_lo, exec_lo, s12
	v_mov_b32_e32 v23, 0
	s_wait_dscnt 0x0
	s_barrier_signal -1
	s_barrier_wait -1
	s_and_saveexec_b32 s12, s5
; %bb.99:                               ;   in Loop: Header=BB730_20 Depth=1
	ds_load_b32 v23, v118
; %bb.100:                              ;   in Loop: Header=BB730_20 Depth=1
	s_or_b32 exec_lo, exec_lo, s12
	v_cmp_gt_i32_e32 vcc_lo, 0, v131
	s_wait_dscnt 0x0
	s_barrier_signal -1
	s_barrier_wait -1
	v_cndmask_b32_e32 v24, v131, v124, vcc_lo
	s_delay_alu instid0(VALU_DEP_1)
	v_dual_add_nc_u32 v22, v23, v22 :: v_dual_lshlrev_b32 v147, 2, v24
	ds_bpermute_b32 v22, v147, v22
	s_and_saveexec_b32 s12, s0
	s_cbranch_execz .LBB730_102
; %bb.101:                              ;   in Loop: Header=BB730_20 Depth=1
	s_wait_dscnt 0x0
	v_cndmask_b32_e64 v22, v22, v23, s6
	s_delay_alu instid0(VALU_DEP_1)
	v_add_nc_u32_e32 v22, s52, v22
	ds_store_b32 v3, v22
.LBB730_102:                            ;   in Loop: Header=BB730_20 Depth=1
	s_or_b32 exec_lo, exec_lo, s12
	s_clause 0x1
	s_load_b32 s12, s[34:35], 0x4
	s_load_b32 s14, s[34:35], 0xc
	v_add_nc_u64_e32 v[24:25], v[8:9], v[4:5]
	s_mov_b32 s57, s54
                                        ; implicit-def: $vgpr28_vgpr29
                                        ; implicit-def: $vgpr30_vgpr31
                                        ; implicit-def: $vgpr32_vgpr33
                                        ; implicit-def: $vgpr34_vgpr35
                                        ; implicit-def: $vgpr36_vgpr37
                                        ; implicit-def: $vgpr38_vgpr39
                                        ; implicit-def: $vgpr40_vgpr41
                                        ; implicit-def: $vgpr42_vgpr43
                                        ; implicit-def: $vgpr44_vgpr45
                                        ; implicit-def: $vgpr46_vgpr47
                                        ; implicit-def: $vgpr48_vgpr49
                                        ; implicit-def: $vgpr50_vgpr51
                                        ; implicit-def: $vgpr52_vgpr53
                                        ; implicit-def: $vgpr54_vgpr55
                                        ; implicit-def: $vgpr56_vgpr57
                                        ; implicit-def: $vgpr149
                                        ; implicit-def: $vgpr150
                                        ; implicit-def: $vgpr151
                                        ; implicit-def: $vgpr152
                                        ; implicit-def: $vgpr153
                                        ; implicit-def: $vgpr154
                                        ; implicit-def: $vgpr155
                                        ; implicit-def: $vgpr156
                                        ; implicit-def: $vgpr157
                                        ; implicit-def: $vgpr158
                                        ; implicit-def: $vgpr159
                                        ; implicit-def: $vgpr160
                                        ; implicit-def: $vgpr161
                                        ; implicit-def: $vgpr162
                                        ; implicit-def: $vgpr163
                                        ; implicit-def: $vgpr164
	s_wait_kmcnt 0x0
	s_cmp_lt_u32 s42, s12
	s_cselect_b32 s30, 14, 20
	s_delay_alu instid0(SALU_CYCLE_1)
	s_add_nc_u64 s[12:13], s[34:35], s[30:31]
	s_mov_b32 s30, s52
	s_load_u16 s12, s[12:13], 0x0
	s_wait_xcnt 0x0
	v_cmp_lt_u32_e64 s13, 1, v130
	s_wait_dscnt 0x0
	s_wait_kmcnt 0x0
	v_mad_u32_u24 v22, v119, s12, v121
	s_and_b32 s12, s14, 0xffff
	v_cmp_lt_u32_e64 s14, 3, v130
	s_delay_alu instid0(VALU_DEP_2) | instskip(SKIP_1) | instid1(VALU_DEP_2)
	v_mad_u32 v22, v22, s12, v2
	v_cmp_eq_u32_e64 s12, 0, v130
	v_lshrrev_b32_e32 v26, 3, v22
	v_add_nc_u64_e32 v[22:23], v[0:1], v[4:5]
	s_delay_alu instid0(VALU_DEP_2)
	v_and_b32_e32 v148, 0x1ffffffc, v26
                                        ; implicit-def: $vgpr26_vgpr27
	s_branch .LBB730_104
.LBB730_103:                            ;   in Loop: Header=BB730_104 Depth=2
	s_or_b32 exec_lo, exec_lo, s15
	s_addk_co_i32 s57, 0xf000
	s_cmp_lt_u32 s58, s51
	s_mov_b32 s30, s58
	s_cbranch_scc0 .LBB730_312
.LBB730_104:                            ;   Parent Loop BB730_20 Depth=1
                                        ; =>  This Inner Loop Header: Depth=2
	s_add_co_i32 s58, s30, 0x1000
	s_delay_alu instid0(SALU_CYCLE_1)
	s_cmp_gt_u32 s58, s51
	s_cbranch_scc1 .LBB730_106
; %bb.105:                              ;   in Loop: Header=BB730_104 Depth=2
	v_lshl_add_u64 v[58:59], s[30:31], 3, v[24:25]
	s_mov_b32 s15, -1
	s_clause 0xe
	global_load_b64 v[60:61], v[58:59], off
	global_load_b64 v[62:63], v[58:59], off offset:256
	global_load_b64 v[64:65], v[58:59], off offset:512
	;; [unrolled: 1-line block ×14, first 2 shown]
	s_movk_i32 s16, 0x1000
	s_cbranch_execz .LBB730_107
	s_branch .LBB730_138
.LBB730_106:                            ;   in Loop: Header=BB730_104 Depth=2
	s_mov_b32 s15, 0
                                        ; implicit-def: $vgpr60_vgpr61
                                        ; implicit-def: $vgpr62_vgpr63
                                        ; implicit-def: $vgpr64_vgpr65
                                        ; implicit-def: $vgpr70_vgpr71
                                        ; implicit-def: $vgpr74_vgpr75
                                        ; implicit-def: $vgpr78_vgpr79
                                        ; implicit-def: $vgpr82_vgpr83
                                        ; implicit-def: $vgpr86_vgpr87
                                        ; implicit-def: $vgpr88_vgpr89
                                        ; implicit-def: $vgpr84_vgpr85
                                        ; implicit-def: $vgpr80_vgpr81
                                        ; implicit-def: $vgpr76_vgpr77
                                        ; implicit-def: $vgpr72_vgpr73
                                        ; implicit-def: $vgpr68_vgpr69
                                        ; implicit-def: $vgpr66_vgpr67
	s_movk_i32 s16, 0x1000
.LBB730_107:                            ;   in Loop: Header=BB730_104 Depth=2
	s_wait_loadcnt 0xd
	v_mov_b64_e32 v[62:63], 0x8000000000000000
	v_mov_b64_e32 v[60:61], 0x8000000000000000
	s_wait_xcnt 0x0
	v_lshl_add_u64 v[58:59], s[30:31], 3, v[24:25]
	s_mov_b32 s15, exec_lo
	v_cmpx_gt_u32_e64 s57, v129
	s_cbranch_execz .LBB730_109
; %bb.108:                              ;   in Loop: Header=BB730_104 Depth=2
	global_load_b64 v[60:61], v[58:59], off
.LBB730_109:                            ;   in Loop: Header=BB730_104 Depth=2
	s_wait_xcnt 0x0
	s_or_b32 exec_lo, exec_lo, s15
	s_delay_alu instid0(SALU_CYCLE_1)
	s_mov_b32 s15, exec_lo
	v_cmpx_gt_u32_e64 s57, v132
	s_cbranch_execz .LBB730_111
; %bb.110:                              ;   in Loop: Header=BB730_104 Depth=2
	global_load_b64 v[62:63], v[58:59], off offset:256
.LBB730_111:                            ;   in Loop: Header=BB730_104 Depth=2
	s_wait_xcnt 0x0
	s_or_b32 exec_lo, exec_lo, s15
	s_wait_loadcnt 0xb
	v_mov_b64_e32 v[70:71], 0x8000000000000000
	v_mov_b64_e32 v[64:65], 0x8000000000000000
	s_mov_b32 s15, exec_lo
	v_cmpx_gt_u32_e64 s57, v133
	s_cbranch_execz .LBB730_113
; %bb.112:                              ;   in Loop: Header=BB730_104 Depth=2
	global_load_b64 v[64:65], v[58:59], off offset:512
.LBB730_113:                            ;   in Loop: Header=BB730_104 Depth=2
	s_wait_xcnt 0x0
	s_or_b32 exec_lo, exec_lo, s15
	s_delay_alu instid0(SALU_CYCLE_1)
	s_mov_b32 s15, exec_lo
	v_cmpx_gt_u32_e64 s57, v134
	s_cbranch_execz .LBB730_115
; %bb.114:                              ;   in Loop: Header=BB730_104 Depth=2
	global_load_b64 v[70:71], v[58:59], off offset:768
.LBB730_115:                            ;   in Loop: Header=BB730_104 Depth=2
	s_wait_xcnt 0x0
	s_or_b32 exec_lo, exec_lo, s15
	s_wait_loadcnt 0x9
	v_mov_b64_e32 v[78:79], 0x8000000000000000
	v_mov_b64_e32 v[74:75], 0x8000000000000000
	s_mov_b32 s15, exec_lo
	v_cmpx_gt_u32_e64 s57, v135
	s_cbranch_execz .LBB730_117
; %bb.116:                              ;   in Loop: Header=BB730_104 Depth=2
	global_load_b64 v[74:75], v[58:59], off offset:1024
.LBB730_117:                            ;   in Loop: Header=BB730_104 Depth=2
	;; [unrolled: 20-line block ×6, first 2 shown]
	s_wait_xcnt 0x0
	s_or_b32 exec_lo, exec_lo, s15
	s_delay_alu instid0(SALU_CYCLE_1)
	s_mov_b32 s15, exec_lo
	v_cmpx_gt_u32_e64 s57, v144
	s_cbranch_execz .LBB730_135
; %bb.134:                              ;   in Loop: Header=BB730_104 Depth=2
	global_load_b64 v[68:69], v[58:59], off offset:3328
.LBB730_135:                            ;   in Loop: Header=BB730_104 Depth=2
	s_wait_xcnt 0x0
	s_or_b32 exec_lo, exec_lo, s15
	s_wait_loadcnt 0x0
	v_mov_b64_e32 v[66:67], 0x8000000000000000
	s_mov_b32 s15, exec_lo
	v_cmpx_gt_u32_e64 s57, v145
	s_cbranch_execz .LBB730_137
; %bb.136:                              ;   in Loop: Header=BB730_104 Depth=2
	global_load_b64 v[66:67], v[58:59], off offset:3584
.LBB730_137:                            ;   in Loop: Header=BB730_104 Depth=2
	s_wait_xcnt 0x0
	s_or_b32 exec_lo, exec_lo, s15
	v_cmp_gt_u32_e64 s15, s57, v146
	s_sub_co_i32 s16, s51, s30
.LBB730_138:                            ;   in Loop: Header=BB730_104 Depth=2
	s_wait_xcnt 0x0
	v_mov_b64_e32 v[58:59], -1
	v_mov_b32_e32 v165, s57
	s_and_saveexec_b32 s17, s15
	s_cbranch_execz .LBB730_140
; %bb.139:                              ;   in Loop: Header=BB730_104 Depth=2
	v_lshl_add_u64 v[58:59], s[30:31], 3, v[24:25]
	v_mov_b32_e32 v165, s16
	global_load_b64 v[58:59], v[58:59], off offset:3840
	s_wait_loadcnt 0x0
	s_wait_xcnt 0x0
	v_xor_b32_e32 v59, 0x7fffffff, v59
	v_not_b32_e32 v58, v58
.LBB730_140:                            ;   in Loop: Header=BB730_104 Depth=2
	s_or_b32 exec_lo, exec_lo, s17
	s_wait_loadcnt 0xe
	v_xor_b32_e32 v61, 0x7fffffff, v61
	v_not_b32_e32 v60, v60
	v_add_nc_u32_e32 v168, 0x420, v120
	v_add_nc_u32_e32 v169, 0x428, v120
	;; [unrolled: 1-line block ×3, first 2 shown]
	s_delay_alu instid0(VALU_DEP_4) | instskip(NEXT) | instid1(VALU_DEP_1)
	v_lshrrev_b64 v[90:91], s48, v[60:61]
	v_bitop3_b32 v91, v90, 1, s56 bitop3:0x80
	v_and_b32_e32 v92, s56, v90
	s_delay_alu instid0(VALU_DEP_2) | instskip(NEXT) | instid1(VALU_DEP_1)
	v_add_co_u32 v90, s15, v91, -1
	v_cndmask_b32_e64 v91, 0, 1, s15
	s_delay_alu instid0(VALU_DEP_3) | instskip(NEXT) | instid1(VALU_DEP_2)
	v_lshlrev_b32_e32 v93, 30, v92
	v_cmp_ne_u32_e32 vcc_lo, 0, v91
	s_delay_alu instid0(VALU_DEP_2) | instskip(NEXT) | instid1(VALU_DEP_1)
	v_not_b32_e32 v91, v93
	v_dual_ashrrev_i32 v91, 31, v91 :: v_dual_bitop2_b32 v90, vcc_lo, v90 bitop3:0x14
	v_dual_lshlrev_b32 v94, 29, v92 :: v_dual_lshlrev_b32 v95, 28, v92
	v_dual_lshlrev_b32 v96, 27, v92 :: v_dual_lshlrev_b32 v97, 26, v92
	v_lshlrev_b32_e32 v166, 25, v92
	v_cmp_gt_i32_e64 s15, 0, v93
	s_delay_alu instid0(VALU_DEP_4)
	v_cmp_gt_i32_e64 s16, 0, v94
	v_not_b32_e32 v93, v94
	v_not_b32_e32 v94, v95
	v_lshlrev_b32_e32 v167, 24, v92
	v_cmp_gt_i32_e64 s17, 0, v95
	v_cmp_gt_i32_e64 s18, 0, v96
	v_not_b32_e32 v95, v96
	v_cmp_gt_i32_e64 s19, 0, v97
	v_not_b32_e32 v96, v97
	v_not_b32_e32 v97, v166
	v_dual_ashrrev_i32 v93, 31, v93 :: v_dual_ashrrev_i32 v94, 31, v94
	v_xor_b32_e32 v91, s15, v91
	s_delay_alu instid0(VALU_DEP_4) | instskip(NEXT) | instid1(VALU_DEP_3)
	v_dual_ashrrev_i32 v95, 31, v95 :: v_dual_ashrrev_i32 v96, 31, v96
	v_dual_ashrrev_i32 v97, 31, v97 :: v_dual_bitop2_b32 v94, s17, v94 bitop3:0x14
	s_delay_alu instid0(VALU_DEP_3)
	v_bitop3_b32 v90, v90, v91, exec_lo bitop3:0x80
	v_not_b32_e32 v91, v167
	v_xor_b32_e32 v93, s16, v93
	v_xor_b32_e32 v95, s18, v95
	;; [unrolled: 1-line block ×3, first 2 shown]
	v_cmp_gt_i32_e32 vcc_lo, 0, v166
	v_cmp_gt_i32_e64 s15, 0, v167
	v_ashrrev_i32_e32 v91, 31, v91
	v_bitop3_b32 v90, v90, v94, v93 bitop3:0x80
	v_add_nc_u32_e32 v167, 0x438, v120
	v_xor_b32_e32 v93, vcc_lo, v97
	s_delay_alu instid0(VALU_DEP_4) | instskip(NEXT) | instid1(VALU_DEP_4)
	v_xor_b32_e32 v91, s15, v91
	v_bitop3_b32 v90, v90, v96, v95 bitop3:0x80
	ds_store_2addr_b32 v167, v5, v5 offset1:1
	ds_store_2addr_b32 v168, v5, v5 offset1:1
	;; [unrolled: 1-line block ×4, first 2 shown]
	ds_store_b32 v120, v5 offset:1088
	s_wait_loadcnt_dscnt 0x0
	s_barrier_signal -1
	v_bitop3_b32 v90, v90, v91, v93 bitop3:0x80
	v_mul_u32_u24_e32 v91, 36, v92
	s_barrier_wait -1
	s_delay_alu instid0(VALU_DEP_2) | instskip(SKIP_1) | instid1(VALU_DEP_3)
	v_mbcnt_lo_u32_b32 v166, v90, 0
	v_cmp_ne_u32_e64 s15, 0, v90
	v_add_nc_u32_e32 v171, v148, v91
	; wave barrier
	s_delay_alu instid0(VALU_DEP_3) | instskip(SKIP_1) | instid1(SALU_CYCLE_1)
	v_cmp_eq_u32_e32 vcc_lo, 0, v166
	s_and_b32 s16, s15, vcc_lo
	s_and_saveexec_b32 s15, s16
; %bb.141:                              ;   in Loop: Header=BB730_104 Depth=2
	v_bcnt_u32_b32 v90, v90, 0
	ds_store_b32 v171, v90 offset:1056
; %bb.142:                              ;   in Loop: Header=BB730_104 Depth=2
	s_or_b32 exec_lo, exec_lo, s15
	v_xor_b32_e32 v63, 0x7fffffff, v63
	v_not_b32_e32 v62, v62
	; wave barrier
	s_delay_alu instid0(VALU_DEP_1) | instskip(NEXT) | instid1(VALU_DEP_1)
	v_lshrrev_b64 v[90:91], s48, v[62:63]
	v_bitop3_b32 v91, v90, 1, s56 bitop3:0x80
	v_and_b32_e32 v92, s56, v90
	s_delay_alu instid0(VALU_DEP_2) | instskip(NEXT) | instid1(VALU_DEP_1)
	v_add_co_u32 v90, s15, v91, -1
	v_cndmask_b32_e64 v91, 0, 1, s15
	s_delay_alu instid0(VALU_DEP_3) | instskip(NEXT) | instid1(VALU_DEP_2)
	v_lshlrev_b32_e32 v93, 30, v92
	v_cmp_ne_u32_e32 vcc_lo, 0, v91
	s_delay_alu instid0(VALU_DEP_2) | instskip(NEXT) | instid1(VALU_DEP_1)
	v_not_b32_e32 v91, v93
	v_dual_ashrrev_i32 v91, 31, v91 :: v_dual_bitop2_b32 v90, vcc_lo, v90 bitop3:0x14
	v_dual_lshlrev_b32 v94, 29, v92 :: v_dual_lshlrev_b32 v95, 28, v92
	v_dual_lshlrev_b32 v96, 27, v92 :: v_dual_lshlrev_b32 v97, 26, v92
	v_lshlrev_b32_e32 v172, 25, v92
	v_cmp_gt_i32_e64 s15, 0, v93
	s_delay_alu instid0(VALU_DEP_4)
	v_cmp_gt_i32_e64 s16, 0, v94
	v_not_b32_e32 v93, v94
	v_not_b32_e32 v94, v95
	v_lshlrev_b32_e32 v173, 24, v92
	v_cmp_gt_i32_e64 s17, 0, v95
	v_cmp_gt_i32_e64 s18, 0, v96
	v_not_b32_e32 v95, v96
	v_not_b32_e32 v96, v97
	v_dual_ashrrev_i32 v93, 31, v93 :: v_dual_ashrrev_i32 v94, 31, v94
	v_xor_b32_e32 v91, s15, v91
	v_cmp_gt_i32_e64 s19, 0, v97
	v_not_b32_e32 v97, v172
	s_delay_alu instid0(VALU_DEP_4) | instskip(SKIP_1) | instid1(VALU_DEP_3)
	v_dual_ashrrev_i32 v95, 31, v95 :: v_dual_bitop2_b32 v93, s16, v93 bitop3:0x14
	v_dual_ashrrev_i32 v96, 31, v96 :: v_dual_bitop2_b32 v94, s17, v94 bitop3:0x14
	v_ashrrev_i32_e32 v97, 31, v97
	v_bitop3_b32 v90, v90, v91, exec_lo bitop3:0x80
	v_not_b32_e32 v91, v173
	v_cmp_gt_i32_e64 s20, 0, v172
	v_xor_b32_e32 v95, s18, v95
	v_xor_b32_e32 v96, s19, v96
	v_bitop3_b32 v90, v90, v94, v93 bitop3:0x80
	v_cmp_gt_i32_e32 vcc_lo, 0, v173
	v_ashrrev_i32_e32 v91, 31, v91
	v_mad_u32_u24 v93, v92, 36, v148
	v_xor_b32_e32 v94, s20, v97
	v_bitop3_b32 v90, v90, v96, v95 bitop3:0x80
	s_delay_alu instid0(VALU_DEP_4) | instskip(SKIP_3) | instid1(VALU_DEP_2)
	v_xor_b32_e32 v91, vcc_lo, v91
	ds_load_b32 v172, v93 offset:1056
	; wave barrier
	v_bitop3_b32 v90, v90, v91, v94 bitop3:0x80
	v_mul_u32_u24_e32 v91, 36, v92
	v_mbcnt_lo_u32_b32 v173, v90, 0
	v_cmp_ne_u32_e64 s15, 0, v90
	s_delay_alu instid0(VALU_DEP_3) | instskip(NEXT) | instid1(VALU_DEP_3)
	v_add_nc_u32_e32 v174, v148, v91
	v_cmp_eq_u32_e32 vcc_lo, 0, v173
	s_and_b32 s16, s15, vcc_lo
	s_delay_alu instid0(SALU_CYCLE_1)
	s_and_saveexec_b32 s15, s16
	s_cbranch_execz .LBB730_144
; %bb.143:                              ;   in Loop: Header=BB730_104 Depth=2
	s_wait_dscnt 0x0
	v_bcnt_u32_b32 v90, v90, v172
	ds_store_b32 v174, v90 offset:1056
.LBB730_144:                            ;   in Loop: Header=BB730_104 Depth=2
	s_or_b32 exec_lo, exec_lo, s15
	v_xor_b32_e32 v65, 0x7fffffff, v65
	v_not_b32_e32 v64, v64
	; wave barrier
	s_delay_alu instid0(VALU_DEP_1) | instskip(NEXT) | instid1(VALU_DEP_1)
	v_lshrrev_b64 v[90:91], s48, v[64:65]
	v_bitop3_b32 v91, v90, 1, s56 bitop3:0x80
	v_and_b32_e32 v92, s56, v90
	s_delay_alu instid0(VALU_DEP_2) | instskip(NEXT) | instid1(VALU_DEP_1)
	v_add_co_u32 v90, s15, v91, -1
	v_cndmask_b32_e64 v91, 0, 1, s15
	s_delay_alu instid0(VALU_DEP_3) | instskip(NEXT) | instid1(VALU_DEP_2)
	v_lshlrev_b32_e32 v93, 30, v92
	v_cmp_ne_u32_e32 vcc_lo, 0, v91
	s_delay_alu instid0(VALU_DEP_2) | instskip(NEXT) | instid1(VALU_DEP_1)
	v_not_b32_e32 v91, v93
	v_dual_ashrrev_i32 v91, 31, v91 :: v_dual_bitop2_b32 v90, vcc_lo, v90 bitop3:0x14
	v_dual_lshlrev_b32 v94, 29, v92 :: v_dual_lshlrev_b32 v95, 28, v92
	v_dual_lshlrev_b32 v96, 27, v92 :: v_dual_lshlrev_b32 v97, 26, v92
	v_lshlrev_b32_e32 v175, 25, v92
	v_cmp_gt_i32_e64 s15, 0, v93
	s_delay_alu instid0(VALU_DEP_4)
	v_cmp_gt_i32_e64 s16, 0, v94
	v_not_b32_e32 v93, v94
	v_not_b32_e32 v94, v95
	v_lshlrev_b32_e32 v176, 24, v92
	v_cmp_gt_i32_e64 s17, 0, v95
	v_cmp_gt_i32_e64 s18, 0, v96
	v_not_b32_e32 v95, v96
	v_not_b32_e32 v96, v97
	v_dual_ashrrev_i32 v93, 31, v93 :: v_dual_ashrrev_i32 v94, 31, v94
	v_xor_b32_e32 v91, s15, v91
	v_cmp_gt_i32_e64 s19, 0, v97
	v_not_b32_e32 v97, v175
	s_delay_alu instid0(VALU_DEP_4) | instskip(SKIP_1) | instid1(VALU_DEP_3)
	v_dual_ashrrev_i32 v95, 31, v95 :: v_dual_bitop2_b32 v93, s16, v93 bitop3:0x14
	v_dual_ashrrev_i32 v96, 31, v96 :: v_dual_bitop2_b32 v94, s17, v94 bitop3:0x14
	v_ashrrev_i32_e32 v97, 31, v97
	v_bitop3_b32 v90, v90, v91, exec_lo bitop3:0x80
	v_not_b32_e32 v91, v176
	v_cmp_gt_i32_e64 s20, 0, v175
	v_xor_b32_e32 v95, s18, v95
	v_xor_b32_e32 v96, s19, v96
	v_bitop3_b32 v90, v90, v94, v93 bitop3:0x80
	v_cmp_gt_i32_e32 vcc_lo, 0, v176
	v_ashrrev_i32_e32 v91, 31, v91
	v_mad_u32_u24 v93, v92, 36, v148
	v_xor_b32_e32 v94, s20, v97
	v_bitop3_b32 v90, v90, v96, v95 bitop3:0x80
	s_delay_alu instid0(VALU_DEP_4) | instskip(SKIP_3) | instid1(VALU_DEP_2)
	v_xor_b32_e32 v91, vcc_lo, v91
	ds_load_b32 v175, v93 offset:1056
	; wave barrier
	v_bitop3_b32 v90, v90, v91, v94 bitop3:0x80
	v_mul_u32_u24_e32 v91, 36, v92
	v_mbcnt_lo_u32_b32 v176, v90, 0
	v_cmp_ne_u32_e64 s15, 0, v90
	s_delay_alu instid0(VALU_DEP_3) | instskip(NEXT) | instid1(VALU_DEP_3)
	v_add_nc_u32_e32 v177, v148, v91
	v_cmp_eq_u32_e32 vcc_lo, 0, v176
	s_and_b32 s16, s15, vcc_lo
	s_delay_alu instid0(SALU_CYCLE_1)
	s_and_saveexec_b32 s15, s16
	s_cbranch_execz .LBB730_146
; %bb.145:                              ;   in Loop: Header=BB730_104 Depth=2
	s_wait_dscnt 0x0
	v_bcnt_u32_b32 v90, v90, v175
	ds_store_b32 v177, v90 offset:1056
.LBB730_146:                            ;   in Loop: Header=BB730_104 Depth=2
	s_or_b32 exec_lo, exec_lo, s15
	v_xor_b32_e32 v71, 0x7fffffff, v71
	v_not_b32_e32 v70, v70
	; wave barrier
	s_delay_alu instid0(VALU_DEP_1) | instskip(NEXT) | instid1(VALU_DEP_1)
	v_lshrrev_b64 v[90:91], s48, v[70:71]
	v_bitop3_b32 v91, v90, 1, s56 bitop3:0x80
	v_and_b32_e32 v92, s56, v90
	s_delay_alu instid0(VALU_DEP_2) | instskip(NEXT) | instid1(VALU_DEP_1)
	v_add_co_u32 v90, s15, v91, -1
	v_cndmask_b32_e64 v91, 0, 1, s15
	s_delay_alu instid0(VALU_DEP_3) | instskip(NEXT) | instid1(VALU_DEP_2)
	v_lshlrev_b32_e32 v93, 30, v92
	v_cmp_ne_u32_e32 vcc_lo, 0, v91
	s_delay_alu instid0(VALU_DEP_2) | instskip(NEXT) | instid1(VALU_DEP_1)
	v_not_b32_e32 v91, v93
	v_dual_ashrrev_i32 v91, 31, v91 :: v_dual_bitop2_b32 v90, vcc_lo, v90 bitop3:0x14
	v_dual_lshlrev_b32 v94, 29, v92 :: v_dual_lshlrev_b32 v95, 28, v92
	v_dual_lshlrev_b32 v96, 27, v92 :: v_dual_lshlrev_b32 v97, 26, v92
	v_lshlrev_b32_e32 v178, 25, v92
	v_cmp_gt_i32_e64 s15, 0, v93
	s_delay_alu instid0(VALU_DEP_4)
	v_cmp_gt_i32_e64 s16, 0, v94
	v_not_b32_e32 v93, v94
	v_not_b32_e32 v94, v95
	v_lshlrev_b32_e32 v179, 24, v92
	v_cmp_gt_i32_e64 s17, 0, v95
	v_cmp_gt_i32_e64 s18, 0, v96
	v_not_b32_e32 v95, v96
	v_not_b32_e32 v96, v97
	v_dual_ashrrev_i32 v93, 31, v93 :: v_dual_ashrrev_i32 v94, 31, v94
	v_xor_b32_e32 v91, s15, v91
	v_cmp_gt_i32_e64 s19, 0, v97
	v_not_b32_e32 v97, v178
	s_delay_alu instid0(VALU_DEP_4) | instskip(SKIP_1) | instid1(VALU_DEP_3)
	v_dual_ashrrev_i32 v95, 31, v95 :: v_dual_bitop2_b32 v93, s16, v93 bitop3:0x14
	v_dual_ashrrev_i32 v96, 31, v96 :: v_dual_bitop2_b32 v94, s17, v94 bitop3:0x14
	v_ashrrev_i32_e32 v97, 31, v97
	v_bitop3_b32 v90, v90, v91, exec_lo bitop3:0x80
	v_not_b32_e32 v91, v179
	v_cmp_gt_i32_e64 s20, 0, v178
	v_xor_b32_e32 v95, s18, v95
	v_xor_b32_e32 v96, s19, v96
	v_bitop3_b32 v90, v90, v94, v93 bitop3:0x80
	v_cmp_gt_i32_e32 vcc_lo, 0, v179
	v_ashrrev_i32_e32 v91, 31, v91
	v_mad_u32_u24 v93, v92, 36, v148
	v_xor_b32_e32 v94, s20, v97
	v_bitop3_b32 v90, v90, v96, v95 bitop3:0x80
	s_delay_alu instid0(VALU_DEP_4) | instskip(SKIP_3) | instid1(VALU_DEP_2)
	v_xor_b32_e32 v91, vcc_lo, v91
	ds_load_b32 v178, v93 offset:1056
	; wave barrier
	v_bitop3_b32 v90, v90, v91, v94 bitop3:0x80
	v_mul_u32_u24_e32 v91, 36, v92
	v_mbcnt_lo_u32_b32 v179, v90, 0
	v_cmp_ne_u32_e64 s15, 0, v90
	s_delay_alu instid0(VALU_DEP_3) | instskip(NEXT) | instid1(VALU_DEP_3)
	v_add_nc_u32_e32 v180, v148, v91
	v_cmp_eq_u32_e32 vcc_lo, 0, v179
	s_and_b32 s16, s15, vcc_lo
	s_delay_alu instid0(SALU_CYCLE_1)
	s_and_saveexec_b32 s15, s16
	s_cbranch_execz .LBB730_148
; %bb.147:                              ;   in Loop: Header=BB730_104 Depth=2
	s_wait_dscnt 0x0
	v_bcnt_u32_b32 v90, v90, v178
	ds_store_b32 v180, v90 offset:1056
.LBB730_148:                            ;   in Loop: Header=BB730_104 Depth=2
	s_or_b32 exec_lo, exec_lo, s15
	v_xor_b32_e32 v75, 0x7fffffff, v75
	v_not_b32_e32 v74, v74
	; wave barrier
	s_delay_alu instid0(VALU_DEP_1) | instskip(NEXT) | instid1(VALU_DEP_1)
	v_lshrrev_b64 v[90:91], s48, v[74:75]
	v_bitop3_b32 v91, v90, 1, s56 bitop3:0x80
	v_and_b32_e32 v92, s56, v90
	s_delay_alu instid0(VALU_DEP_2) | instskip(NEXT) | instid1(VALU_DEP_1)
	v_add_co_u32 v90, s15, v91, -1
	v_cndmask_b32_e64 v91, 0, 1, s15
	s_delay_alu instid0(VALU_DEP_3) | instskip(NEXT) | instid1(VALU_DEP_2)
	v_lshlrev_b32_e32 v93, 30, v92
	v_cmp_ne_u32_e32 vcc_lo, 0, v91
	s_delay_alu instid0(VALU_DEP_2) | instskip(NEXT) | instid1(VALU_DEP_1)
	v_not_b32_e32 v91, v93
	v_dual_ashrrev_i32 v91, 31, v91 :: v_dual_bitop2_b32 v90, vcc_lo, v90 bitop3:0x14
	v_dual_lshlrev_b32 v94, 29, v92 :: v_dual_lshlrev_b32 v95, 28, v92
	v_dual_lshlrev_b32 v96, 27, v92 :: v_dual_lshlrev_b32 v97, 26, v92
	v_lshlrev_b32_e32 v181, 25, v92
	v_cmp_gt_i32_e64 s15, 0, v93
	s_delay_alu instid0(VALU_DEP_4)
	v_cmp_gt_i32_e64 s16, 0, v94
	v_not_b32_e32 v93, v94
	v_not_b32_e32 v94, v95
	v_lshlrev_b32_e32 v182, 24, v92
	v_cmp_gt_i32_e64 s17, 0, v95
	v_cmp_gt_i32_e64 s18, 0, v96
	v_not_b32_e32 v95, v96
	v_not_b32_e32 v96, v97
	v_dual_ashrrev_i32 v93, 31, v93 :: v_dual_ashrrev_i32 v94, 31, v94
	v_xor_b32_e32 v91, s15, v91
	v_cmp_gt_i32_e64 s19, 0, v97
	v_not_b32_e32 v97, v181
	s_delay_alu instid0(VALU_DEP_4) | instskip(SKIP_1) | instid1(VALU_DEP_3)
	v_dual_ashrrev_i32 v95, 31, v95 :: v_dual_bitop2_b32 v93, s16, v93 bitop3:0x14
	v_dual_ashrrev_i32 v96, 31, v96 :: v_dual_bitop2_b32 v94, s17, v94 bitop3:0x14
	v_ashrrev_i32_e32 v97, 31, v97
	v_bitop3_b32 v90, v90, v91, exec_lo bitop3:0x80
	v_not_b32_e32 v91, v182
	v_cmp_gt_i32_e64 s20, 0, v181
	v_xor_b32_e32 v95, s18, v95
	v_xor_b32_e32 v96, s19, v96
	v_bitop3_b32 v90, v90, v94, v93 bitop3:0x80
	v_cmp_gt_i32_e32 vcc_lo, 0, v182
	v_ashrrev_i32_e32 v91, 31, v91
	v_mad_u32_u24 v93, v92, 36, v148
	v_xor_b32_e32 v94, s20, v97
	v_bitop3_b32 v90, v90, v96, v95 bitop3:0x80
	s_delay_alu instid0(VALU_DEP_4) | instskip(SKIP_3) | instid1(VALU_DEP_2)
	v_xor_b32_e32 v91, vcc_lo, v91
	ds_load_b32 v181, v93 offset:1056
	; wave barrier
	v_bitop3_b32 v90, v90, v91, v94 bitop3:0x80
	v_mul_u32_u24_e32 v91, 36, v92
	v_mbcnt_lo_u32_b32 v182, v90, 0
	v_cmp_ne_u32_e64 s15, 0, v90
	s_delay_alu instid0(VALU_DEP_3) | instskip(NEXT) | instid1(VALU_DEP_3)
	v_add_nc_u32_e32 v183, v148, v91
	v_cmp_eq_u32_e32 vcc_lo, 0, v182
	s_and_b32 s16, s15, vcc_lo
	s_delay_alu instid0(SALU_CYCLE_1)
	s_and_saveexec_b32 s15, s16
	s_cbranch_execz .LBB730_150
; %bb.149:                              ;   in Loop: Header=BB730_104 Depth=2
	s_wait_dscnt 0x0
	v_bcnt_u32_b32 v90, v90, v181
	ds_store_b32 v183, v90 offset:1056
.LBB730_150:                            ;   in Loop: Header=BB730_104 Depth=2
	s_or_b32 exec_lo, exec_lo, s15
	v_xor_b32_e32 v79, 0x7fffffff, v79
	v_not_b32_e32 v78, v78
	; wave barrier
	s_delay_alu instid0(VALU_DEP_1) | instskip(NEXT) | instid1(VALU_DEP_1)
	v_lshrrev_b64 v[90:91], s48, v[78:79]
	v_bitop3_b32 v91, v90, 1, s56 bitop3:0x80
	v_and_b32_e32 v92, s56, v90
	s_delay_alu instid0(VALU_DEP_2) | instskip(NEXT) | instid1(VALU_DEP_1)
	v_add_co_u32 v90, s15, v91, -1
	v_cndmask_b32_e64 v91, 0, 1, s15
	s_delay_alu instid0(VALU_DEP_3) | instskip(NEXT) | instid1(VALU_DEP_2)
	v_lshlrev_b32_e32 v93, 30, v92
	v_cmp_ne_u32_e32 vcc_lo, 0, v91
	s_delay_alu instid0(VALU_DEP_2) | instskip(NEXT) | instid1(VALU_DEP_1)
	v_not_b32_e32 v91, v93
	v_dual_ashrrev_i32 v91, 31, v91 :: v_dual_bitop2_b32 v90, vcc_lo, v90 bitop3:0x14
	v_dual_lshlrev_b32 v94, 29, v92 :: v_dual_lshlrev_b32 v95, 28, v92
	v_dual_lshlrev_b32 v96, 27, v92 :: v_dual_lshlrev_b32 v97, 26, v92
	v_lshlrev_b32_e32 v184, 25, v92
	v_cmp_gt_i32_e64 s15, 0, v93
	s_delay_alu instid0(VALU_DEP_4)
	v_cmp_gt_i32_e64 s16, 0, v94
	v_not_b32_e32 v93, v94
	v_not_b32_e32 v94, v95
	v_lshlrev_b32_e32 v185, 24, v92
	v_cmp_gt_i32_e64 s17, 0, v95
	v_cmp_gt_i32_e64 s18, 0, v96
	v_not_b32_e32 v95, v96
	v_not_b32_e32 v96, v97
	v_dual_ashrrev_i32 v93, 31, v93 :: v_dual_ashrrev_i32 v94, 31, v94
	v_xor_b32_e32 v91, s15, v91
	v_cmp_gt_i32_e64 s19, 0, v97
	v_not_b32_e32 v97, v184
	s_delay_alu instid0(VALU_DEP_4) | instskip(SKIP_1) | instid1(VALU_DEP_3)
	v_dual_ashrrev_i32 v95, 31, v95 :: v_dual_bitop2_b32 v93, s16, v93 bitop3:0x14
	v_dual_ashrrev_i32 v96, 31, v96 :: v_dual_bitop2_b32 v94, s17, v94 bitop3:0x14
	v_ashrrev_i32_e32 v97, 31, v97
	v_bitop3_b32 v90, v90, v91, exec_lo bitop3:0x80
	v_not_b32_e32 v91, v185
	v_cmp_gt_i32_e64 s20, 0, v184
	v_xor_b32_e32 v95, s18, v95
	v_xor_b32_e32 v96, s19, v96
	v_bitop3_b32 v90, v90, v94, v93 bitop3:0x80
	v_cmp_gt_i32_e32 vcc_lo, 0, v185
	v_ashrrev_i32_e32 v91, 31, v91
	v_mad_u32_u24 v93, v92, 36, v148
	v_xor_b32_e32 v94, s20, v97
	v_bitop3_b32 v90, v90, v96, v95 bitop3:0x80
	s_delay_alu instid0(VALU_DEP_4) | instskip(SKIP_3) | instid1(VALU_DEP_2)
	v_xor_b32_e32 v91, vcc_lo, v91
	ds_load_b32 v184, v93 offset:1056
	; wave barrier
	v_bitop3_b32 v90, v90, v91, v94 bitop3:0x80
	v_mul_u32_u24_e32 v91, 36, v92
	v_mbcnt_lo_u32_b32 v185, v90, 0
	v_cmp_ne_u32_e64 s15, 0, v90
	s_delay_alu instid0(VALU_DEP_3) | instskip(NEXT) | instid1(VALU_DEP_3)
	v_add_nc_u32_e32 v186, v148, v91
	v_cmp_eq_u32_e32 vcc_lo, 0, v185
	s_and_b32 s16, s15, vcc_lo
	s_delay_alu instid0(SALU_CYCLE_1)
	s_and_saveexec_b32 s15, s16
	s_cbranch_execz .LBB730_152
; %bb.151:                              ;   in Loop: Header=BB730_104 Depth=2
	s_wait_dscnt 0x0
	v_bcnt_u32_b32 v90, v90, v184
	ds_store_b32 v186, v90 offset:1056
.LBB730_152:                            ;   in Loop: Header=BB730_104 Depth=2
	s_or_b32 exec_lo, exec_lo, s15
	v_xor_b32_e32 v83, 0x7fffffff, v83
	v_not_b32_e32 v82, v82
	; wave barrier
	s_delay_alu instid0(VALU_DEP_1) | instskip(NEXT) | instid1(VALU_DEP_1)
	v_lshrrev_b64 v[90:91], s48, v[82:83]
	v_bitop3_b32 v91, v90, 1, s56 bitop3:0x80
	v_and_b32_e32 v92, s56, v90
	s_delay_alu instid0(VALU_DEP_2) | instskip(NEXT) | instid1(VALU_DEP_1)
	v_add_co_u32 v90, s15, v91, -1
	v_cndmask_b32_e64 v91, 0, 1, s15
	s_delay_alu instid0(VALU_DEP_3) | instskip(NEXT) | instid1(VALU_DEP_2)
	v_lshlrev_b32_e32 v93, 30, v92
	v_cmp_ne_u32_e32 vcc_lo, 0, v91
	s_delay_alu instid0(VALU_DEP_2) | instskip(NEXT) | instid1(VALU_DEP_1)
	v_not_b32_e32 v91, v93
	v_dual_ashrrev_i32 v91, 31, v91 :: v_dual_bitop2_b32 v90, vcc_lo, v90 bitop3:0x14
	v_dual_lshlrev_b32 v94, 29, v92 :: v_dual_lshlrev_b32 v95, 28, v92
	v_dual_lshlrev_b32 v96, 27, v92 :: v_dual_lshlrev_b32 v97, 26, v92
	v_lshlrev_b32_e32 v187, 25, v92
	v_cmp_gt_i32_e64 s15, 0, v93
	s_delay_alu instid0(VALU_DEP_4)
	v_cmp_gt_i32_e64 s16, 0, v94
	v_not_b32_e32 v93, v94
	v_not_b32_e32 v94, v95
	v_lshlrev_b32_e32 v188, 24, v92
	v_cmp_gt_i32_e64 s17, 0, v95
	v_cmp_gt_i32_e64 s18, 0, v96
	v_not_b32_e32 v95, v96
	v_not_b32_e32 v96, v97
	v_dual_ashrrev_i32 v93, 31, v93 :: v_dual_ashrrev_i32 v94, 31, v94
	v_xor_b32_e32 v91, s15, v91
	v_cmp_gt_i32_e64 s19, 0, v97
	v_not_b32_e32 v97, v187
	s_delay_alu instid0(VALU_DEP_4) | instskip(SKIP_1) | instid1(VALU_DEP_3)
	v_dual_ashrrev_i32 v95, 31, v95 :: v_dual_bitop2_b32 v93, s16, v93 bitop3:0x14
	v_dual_ashrrev_i32 v96, 31, v96 :: v_dual_bitop2_b32 v94, s17, v94 bitop3:0x14
	v_ashrrev_i32_e32 v97, 31, v97
	v_bitop3_b32 v90, v90, v91, exec_lo bitop3:0x80
	v_not_b32_e32 v91, v188
	v_cmp_gt_i32_e64 s20, 0, v187
	v_xor_b32_e32 v95, s18, v95
	v_xor_b32_e32 v96, s19, v96
	v_bitop3_b32 v90, v90, v94, v93 bitop3:0x80
	v_cmp_gt_i32_e32 vcc_lo, 0, v188
	v_ashrrev_i32_e32 v91, 31, v91
	v_mad_u32_u24 v93, v92, 36, v148
	v_xor_b32_e32 v94, s20, v97
	v_bitop3_b32 v90, v90, v96, v95 bitop3:0x80
	s_delay_alu instid0(VALU_DEP_4) | instskip(SKIP_3) | instid1(VALU_DEP_2)
	v_xor_b32_e32 v91, vcc_lo, v91
	ds_load_b32 v187, v93 offset:1056
	; wave barrier
	v_bitop3_b32 v90, v90, v91, v94 bitop3:0x80
	v_mul_u32_u24_e32 v91, 36, v92
	v_mbcnt_lo_u32_b32 v188, v90, 0
	v_cmp_ne_u32_e64 s15, 0, v90
	s_delay_alu instid0(VALU_DEP_3) | instskip(NEXT) | instid1(VALU_DEP_3)
	v_add_nc_u32_e32 v189, v148, v91
	v_cmp_eq_u32_e32 vcc_lo, 0, v188
	s_and_b32 s16, s15, vcc_lo
	s_delay_alu instid0(SALU_CYCLE_1)
	s_and_saveexec_b32 s15, s16
	s_cbranch_execz .LBB730_154
; %bb.153:                              ;   in Loop: Header=BB730_104 Depth=2
	s_wait_dscnt 0x0
	v_bcnt_u32_b32 v90, v90, v187
	ds_store_b32 v189, v90 offset:1056
.LBB730_154:                            ;   in Loop: Header=BB730_104 Depth=2
	s_or_b32 exec_lo, exec_lo, s15
	v_xor_b32_e32 v87, 0x7fffffff, v87
	v_not_b32_e32 v86, v86
	; wave barrier
	s_delay_alu instid0(VALU_DEP_1) | instskip(NEXT) | instid1(VALU_DEP_1)
	v_lshrrev_b64 v[90:91], s48, v[86:87]
	v_bitop3_b32 v91, v90, 1, s56 bitop3:0x80
	v_and_b32_e32 v92, s56, v90
	s_delay_alu instid0(VALU_DEP_2) | instskip(NEXT) | instid1(VALU_DEP_1)
	v_add_co_u32 v90, s15, v91, -1
	v_cndmask_b32_e64 v91, 0, 1, s15
	s_delay_alu instid0(VALU_DEP_3) | instskip(NEXT) | instid1(VALU_DEP_2)
	v_lshlrev_b32_e32 v93, 30, v92
	v_cmp_ne_u32_e32 vcc_lo, 0, v91
	s_delay_alu instid0(VALU_DEP_2) | instskip(NEXT) | instid1(VALU_DEP_1)
	v_not_b32_e32 v91, v93
	v_dual_ashrrev_i32 v91, 31, v91 :: v_dual_bitop2_b32 v90, vcc_lo, v90 bitop3:0x14
	v_dual_lshlrev_b32 v94, 29, v92 :: v_dual_lshlrev_b32 v95, 28, v92
	v_dual_lshlrev_b32 v96, 27, v92 :: v_dual_lshlrev_b32 v97, 26, v92
	v_lshlrev_b32_e32 v190, 25, v92
	v_cmp_gt_i32_e64 s15, 0, v93
	s_delay_alu instid0(VALU_DEP_4)
	v_cmp_gt_i32_e64 s16, 0, v94
	v_not_b32_e32 v93, v94
	v_not_b32_e32 v94, v95
	v_lshlrev_b32_e32 v191, 24, v92
	v_cmp_gt_i32_e64 s17, 0, v95
	v_cmp_gt_i32_e64 s18, 0, v96
	v_not_b32_e32 v95, v96
	v_not_b32_e32 v96, v97
	v_dual_ashrrev_i32 v93, 31, v93 :: v_dual_ashrrev_i32 v94, 31, v94
	v_xor_b32_e32 v91, s15, v91
	v_cmp_gt_i32_e64 s19, 0, v97
	v_not_b32_e32 v97, v190
	s_delay_alu instid0(VALU_DEP_4) | instskip(SKIP_1) | instid1(VALU_DEP_3)
	v_dual_ashrrev_i32 v95, 31, v95 :: v_dual_bitop2_b32 v93, s16, v93 bitop3:0x14
	v_dual_ashrrev_i32 v96, 31, v96 :: v_dual_bitop2_b32 v94, s17, v94 bitop3:0x14
	v_ashrrev_i32_e32 v97, 31, v97
	v_bitop3_b32 v90, v90, v91, exec_lo bitop3:0x80
	v_not_b32_e32 v91, v191
	v_cmp_gt_i32_e64 s20, 0, v190
	v_xor_b32_e32 v95, s18, v95
	v_xor_b32_e32 v96, s19, v96
	v_bitop3_b32 v90, v90, v94, v93 bitop3:0x80
	v_cmp_gt_i32_e32 vcc_lo, 0, v191
	v_ashrrev_i32_e32 v91, 31, v91
	v_mad_u32_u24 v93, v92, 36, v148
	v_xor_b32_e32 v94, s20, v97
	v_bitop3_b32 v90, v90, v96, v95 bitop3:0x80
	s_delay_alu instid0(VALU_DEP_4) | instskip(SKIP_3) | instid1(VALU_DEP_2)
	v_xor_b32_e32 v91, vcc_lo, v91
	ds_load_b32 v190, v93 offset:1056
	; wave barrier
	v_bitop3_b32 v90, v90, v91, v94 bitop3:0x80
	v_mul_u32_u24_e32 v91, 36, v92
	v_mbcnt_lo_u32_b32 v191, v90, 0
	v_cmp_ne_u32_e64 s15, 0, v90
	s_delay_alu instid0(VALU_DEP_3) | instskip(NEXT) | instid1(VALU_DEP_3)
	v_add_nc_u32_e32 v192, v148, v91
	v_cmp_eq_u32_e32 vcc_lo, 0, v191
	s_and_b32 s16, s15, vcc_lo
	s_delay_alu instid0(SALU_CYCLE_1)
	s_and_saveexec_b32 s15, s16
	s_cbranch_execz .LBB730_156
; %bb.155:                              ;   in Loop: Header=BB730_104 Depth=2
	s_wait_dscnt 0x0
	v_bcnt_u32_b32 v90, v90, v190
	ds_store_b32 v192, v90 offset:1056
.LBB730_156:                            ;   in Loop: Header=BB730_104 Depth=2
	s_or_b32 exec_lo, exec_lo, s15
	v_xor_b32_e32 v89, 0x7fffffff, v89
	v_not_b32_e32 v88, v88
	; wave barrier
	s_delay_alu instid0(VALU_DEP_1) | instskip(NEXT) | instid1(VALU_DEP_1)
	v_lshrrev_b64 v[90:91], s48, v[88:89]
	v_bitop3_b32 v91, v90, 1, s56 bitop3:0x80
	v_and_b32_e32 v92, s56, v90
	s_delay_alu instid0(VALU_DEP_2) | instskip(NEXT) | instid1(VALU_DEP_1)
	v_add_co_u32 v90, s15, v91, -1
	v_cndmask_b32_e64 v91, 0, 1, s15
	s_delay_alu instid0(VALU_DEP_3) | instskip(NEXT) | instid1(VALU_DEP_2)
	v_lshlrev_b32_e32 v93, 30, v92
	v_cmp_ne_u32_e32 vcc_lo, 0, v91
	s_delay_alu instid0(VALU_DEP_2) | instskip(NEXT) | instid1(VALU_DEP_1)
	v_not_b32_e32 v91, v93
	v_dual_ashrrev_i32 v91, 31, v91 :: v_dual_bitop2_b32 v90, vcc_lo, v90 bitop3:0x14
	v_dual_lshlrev_b32 v94, 29, v92 :: v_dual_lshlrev_b32 v95, 28, v92
	v_dual_lshlrev_b32 v96, 27, v92 :: v_dual_lshlrev_b32 v97, 26, v92
	v_lshlrev_b32_e32 v193, 25, v92
	v_cmp_gt_i32_e64 s15, 0, v93
	s_delay_alu instid0(VALU_DEP_4)
	v_cmp_gt_i32_e64 s16, 0, v94
	v_not_b32_e32 v93, v94
	v_not_b32_e32 v94, v95
	v_lshlrev_b32_e32 v194, 24, v92
	v_cmp_gt_i32_e64 s17, 0, v95
	v_cmp_gt_i32_e64 s18, 0, v96
	v_not_b32_e32 v95, v96
	v_not_b32_e32 v96, v97
	v_dual_ashrrev_i32 v93, 31, v93 :: v_dual_ashrrev_i32 v94, 31, v94
	v_xor_b32_e32 v91, s15, v91
	v_cmp_gt_i32_e64 s19, 0, v97
	v_not_b32_e32 v97, v193
	s_delay_alu instid0(VALU_DEP_4) | instskip(SKIP_1) | instid1(VALU_DEP_3)
	v_dual_ashrrev_i32 v95, 31, v95 :: v_dual_bitop2_b32 v93, s16, v93 bitop3:0x14
	v_dual_ashrrev_i32 v96, 31, v96 :: v_dual_bitop2_b32 v94, s17, v94 bitop3:0x14
	v_ashrrev_i32_e32 v97, 31, v97
	v_bitop3_b32 v90, v90, v91, exec_lo bitop3:0x80
	v_not_b32_e32 v91, v194
	v_cmp_gt_i32_e64 s20, 0, v193
	v_xor_b32_e32 v95, s18, v95
	v_xor_b32_e32 v96, s19, v96
	v_bitop3_b32 v90, v90, v94, v93 bitop3:0x80
	v_cmp_gt_i32_e32 vcc_lo, 0, v194
	v_ashrrev_i32_e32 v91, 31, v91
	v_mad_u32_u24 v93, v92, 36, v148
	v_xor_b32_e32 v94, s20, v97
	v_bitop3_b32 v90, v90, v96, v95 bitop3:0x80
	s_delay_alu instid0(VALU_DEP_4) | instskip(SKIP_3) | instid1(VALU_DEP_2)
	v_xor_b32_e32 v91, vcc_lo, v91
	ds_load_b32 v193, v93 offset:1056
	; wave barrier
	v_bitop3_b32 v90, v90, v91, v94 bitop3:0x80
	v_mul_u32_u24_e32 v91, 36, v92
	v_mbcnt_lo_u32_b32 v194, v90, 0
	v_cmp_ne_u32_e64 s15, 0, v90
	s_delay_alu instid0(VALU_DEP_3) | instskip(NEXT) | instid1(VALU_DEP_3)
	v_add_nc_u32_e32 v195, v148, v91
	v_cmp_eq_u32_e32 vcc_lo, 0, v194
	s_and_b32 s16, s15, vcc_lo
	s_delay_alu instid0(SALU_CYCLE_1)
	s_and_saveexec_b32 s15, s16
	s_cbranch_execz .LBB730_158
; %bb.157:                              ;   in Loop: Header=BB730_104 Depth=2
	s_wait_dscnt 0x0
	v_bcnt_u32_b32 v90, v90, v193
	ds_store_b32 v195, v90 offset:1056
.LBB730_158:                            ;   in Loop: Header=BB730_104 Depth=2
	s_or_b32 exec_lo, exec_lo, s15
	v_xor_b32_e32 v85, 0x7fffffff, v85
	v_not_b32_e32 v84, v84
	; wave barrier
	s_delay_alu instid0(VALU_DEP_1) | instskip(NEXT) | instid1(VALU_DEP_1)
	v_lshrrev_b64 v[90:91], s48, v[84:85]
	v_bitop3_b32 v91, v90, 1, s56 bitop3:0x80
	v_and_b32_e32 v92, s56, v90
	s_delay_alu instid0(VALU_DEP_2) | instskip(NEXT) | instid1(VALU_DEP_1)
	v_add_co_u32 v90, s15, v91, -1
	v_cndmask_b32_e64 v91, 0, 1, s15
	s_delay_alu instid0(VALU_DEP_3) | instskip(NEXT) | instid1(VALU_DEP_2)
	v_lshlrev_b32_e32 v93, 30, v92
	v_cmp_ne_u32_e32 vcc_lo, 0, v91
	s_delay_alu instid0(VALU_DEP_2) | instskip(NEXT) | instid1(VALU_DEP_1)
	v_not_b32_e32 v91, v93
	v_dual_ashrrev_i32 v91, 31, v91 :: v_dual_bitop2_b32 v90, vcc_lo, v90 bitop3:0x14
	v_dual_lshlrev_b32 v94, 29, v92 :: v_dual_lshlrev_b32 v95, 28, v92
	v_dual_lshlrev_b32 v96, 27, v92 :: v_dual_lshlrev_b32 v97, 26, v92
	v_lshlrev_b32_e32 v196, 25, v92
	v_cmp_gt_i32_e64 s15, 0, v93
	s_delay_alu instid0(VALU_DEP_4)
	v_cmp_gt_i32_e64 s16, 0, v94
	v_not_b32_e32 v93, v94
	v_not_b32_e32 v94, v95
	v_lshlrev_b32_e32 v197, 24, v92
	v_cmp_gt_i32_e64 s17, 0, v95
	v_cmp_gt_i32_e64 s18, 0, v96
	v_not_b32_e32 v95, v96
	v_not_b32_e32 v96, v97
	v_dual_ashrrev_i32 v93, 31, v93 :: v_dual_ashrrev_i32 v94, 31, v94
	v_xor_b32_e32 v91, s15, v91
	v_cmp_gt_i32_e64 s19, 0, v97
	v_not_b32_e32 v97, v196
	s_delay_alu instid0(VALU_DEP_4) | instskip(SKIP_1) | instid1(VALU_DEP_3)
	v_dual_ashrrev_i32 v95, 31, v95 :: v_dual_bitop2_b32 v93, s16, v93 bitop3:0x14
	v_dual_ashrrev_i32 v96, 31, v96 :: v_dual_bitop2_b32 v94, s17, v94 bitop3:0x14
	v_ashrrev_i32_e32 v97, 31, v97
	v_bitop3_b32 v90, v90, v91, exec_lo bitop3:0x80
	v_not_b32_e32 v91, v197
	v_cmp_gt_i32_e64 s20, 0, v196
	v_xor_b32_e32 v95, s18, v95
	v_xor_b32_e32 v96, s19, v96
	v_bitop3_b32 v90, v90, v94, v93 bitop3:0x80
	v_cmp_gt_i32_e32 vcc_lo, 0, v197
	v_ashrrev_i32_e32 v91, 31, v91
	v_mad_u32_u24 v93, v92, 36, v148
	v_xor_b32_e32 v94, s20, v97
	v_bitop3_b32 v90, v90, v96, v95 bitop3:0x80
	s_delay_alu instid0(VALU_DEP_4) | instskip(SKIP_3) | instid1(VALU_DEP_2)
	v_xor_b32_e32 v91, vcc_lo, v91
	ds_load_b32 v196, v93 offset:1056
	; wave barrier
	v_bitop3_b32 v90, v90, v91, v94 bitop3:0x80
	v_mul_u32_u24_e32 v91, 36, v92
	v_mbcnt_lo_u32_b32 v197, v90, 0
	v_cmp_ne_u32_e64 s15, 0, v90
	s_delay_alu instid0(VALU_DEP_3) | instskip(NEXT) | instid1(VALU_DEP_3)
	v_add_nc_u32_e32 v198, v148, v91
	v_cmp_eq_u32_e32 vcc_lo, 0, v197
	s_and_b32 s16, s15, vcc_lo
	s_delay_alu instid0(SALU_CYCLE_1)
	s_and_saveexec_b32 s15, s16
	s_cbranch_execz .LBB730_160
; %bb.159:                              ;   in Loop: Header=BB730_104 Depth=2
	s_wait_dscnt 0x0
	v_bcnt_u32_b32 v90, v90, v196
	ds_store_b32 v198, v90 offset:1056
.LBB730_160:                            ;   in Loop: Header=BB730_104 Depth=2
	s_or_b32 exec_lo, exec_lo, s15
	v_xor_b32_e32 v81, 0x7fffffff, v81
	v_not_b32_e32 v80, v80
	; wave barrier
	s_delay_alu instid0(VALU_DEP_1) | instskip(NEXT) | instid1(VALU_DEP_1)
	v_lshrrev_b64 v[90:91], s48, v[80:81]
	v_bitop3_b32 v91, v90, 1, s56 bitop3:0x80
	v_and_b32_e32 v92, s56, v90
	s_delay_alu instid0(VALU_DEP_2) | instskip(NEXT) | instid1(VALU_DEP_1)
	v_add_co_u32 v90, s15, v91, -1
	v_cndmask_b32_e64 v91, 0, 1, s15
	s_delay_alu instid0(VALU_DEP_3) | instskip(NEXT) | instid1(VALU_DEP_2)
	v_lshlrev_b32_e32 v93, 30, v92
	v_cmp_ne_u32_e32 vcc_lo, 0, v91
	s_delay_alu instid0(VALU_DEP_2) | instskip(NEXT) | instid1(VALU_DEP_1)
	v_not_b32_e32 v91, v93
	v_dual_ashrrev_i32 v91, 31, v91 :: v_dual_bitop2_b32 v90, vcc_lo, v90 bitop3:0x14
	v_dual_lshlrev_b32 v94, 29, v92 :: v_dual_lshlrev_b32 v95, 28, v92
	v_dual_lshlrev_b32 v96, 27, v92 :: v_dual_lshlrev_b32 v97, 26, v92
	v_lshlrev_b32_e32 v199, 25, v92
	v_cmp_gt_i32_e64 s15, 0, v93
	s_delay_alu instid0(VALU_DEP_4)
	v_cmp_gt_i32_e64 s16, 0, v94
	v_not_b32_e32 v93, v94
	v_not_b32_e32 v94, v95
	v_lshlrev_b32_e32 v200, 24, v92
	v_cmp_gt_i32_e64 s17, 0, v95
	v_cmp_gt_i32_e64 s18, 0, v96
	v_not_b32_e32 v95, v96
	v_not_b32_e32 v96, v97
	v_dual_ashrrev_i32 v93, 31, v93 :: v_dual_ashrrev_i32 v94, 31, v94
	v_xor_b32_e32 v91, s15, v91
	v_cmp_gt_i32_e64 s19, 0, v97
	v_not_b32_e32 v97, v199
	s_delay_alu instid0(VALU_DEP_4) | instskip(SKIP_1) | instid1(VALU_DEP_3)
	v_dual_ashrrev_i32 v95, 31, v95 :: v_dual_bitop2_b32 v93, s16, v93 bitop3:0x14
	v_dual_ashrrev_i32 v96, 31, v96 :: v_dual_bitop2_b32 v94, s17, v94 bitop3:0x14
	v_ashrrev_i32_e32 v97, 31, v97
	v_bitop3_b32 v90, v90, v91, exec_lo bitop3:0x80
	v_not_b32_e32 v91, v200
	v_cmp_gt_i32_e64 s20, 0, v199
	v_xor_b32_e32 v95, s18, v95
	v_xor_b32_e32 v96, s19, v96
	v_bitop3_b32 v90, v90, v94, v93 bitop3:0x80
	v_cmp_gt_i32_e32 vcc_lo, 0, v200
	v_ashrrev_i32_e32 v91, 31, v91
	v_mad_u32_u24 v93, v92, 36, v148
	v_xor_b32_e32 v94, s20, v97
	v_bitop3_b32 v90, v90, v96, v95 bitop3:0x80
	s_delay_alu instid0(VALU_DEP_4) | instskip(SKIP_3) | instid1(VALU_DEP_2)
	v_xor_b32_e32 v91, vcc_lo, v91
	ds_load_b32 v199, v93 offset:1056
	; wave barrier
	v_bitop3_b32 v90, v90, v91, v94 bitop3:0x80
	v_mul_u32_u24_e32 v91, 36, v92
	v_mbcnt_lo_u32_b32 v200, v90, 0
	v_cmp_ne_u32_e64 s15, 0, v90
	s_delay_alu instid0(VALU_DEP_3) | instskip(NEXT) | instid1(VALU_DEP_3)
	v_add_nc_u32_e32 v202, v148, v91
	v_cmp_eq_u32_e32 vcc_lo, 0, v200
	s_and_b32 s16, s15, vcc_lo
	s_delay_alu instid0(SALU_CYCLE_1)
	s_and_saveexec_b32 s15, s16
	s_cbranch_execz .LBB730_162
; %bb.161:                              ;   in Loop: Header=BB730_104 Depth=2
	s_wait_dscnt 0x0
	v_bcnt_u32_b32 v90, v90, v199
	ds_store_b32 v202, v90 offset:1056
.LBB730_162:                            ;   in Loop: Header=BB730_104 Depth=2
	s_or_b32 exec_lo, exec_lo, s15
	v_xor_b32_e32 v77, 0x7fffffff, v77
	v_not_b32_e32 v76, v76
	; wave barrier
	s_delay_alu instid0(VALU_DEP_1) | instskip(NEXT) | instid1(VALU_DEP_1)
	v_lshrrev_b64 v[90:91], s48, v[76:77]
	v_bitop3_b32 v91, v90, 1, s56 bitop3:0x80
	v_and_b32_e32 v92, s56, v90
	s_delay_alu instid0(VALU_DEP_2) | instskip(NEXT) | instid1(VALU_DEP_1)
	v_add_co_u32 v90, s15, v91, -1
	v_cndmask_b32_e64 v91, 0, 1, s15
	s_delay_alu instid0(VALU_DEP_3) | instskip(NEXT) | instid1(VALU_DEP_2)
	v_lshlrev_b32_e32 v93, 30, v92
	v_cmp_ne_u32_e32 vcc_lo, 0, v91
	s_delay_alu instid0(VALU_DEP_2) | instskip(NEXT) | instid1(VALU_DEP_1)
	v_not_b32_e32 v91, v93
	v_dual_ashrrev_i32 v91, 31, v91 :: v_dual_bitop2_b32 v90, vcc_lo, v90 bitop3:0x14
	v_dual_lshlrev_b32 v94, 29, v92 :: v_dual_lshlrev_b32 v95, 28, v92
	v_dual_lshlrev_b32 v96, 27, v92 :: v_dual_lshlrev_b32 v97, 26, v92
	v_lshlrev_b32_e32 v201, 25, v92
	v_cmp_gt_i32_e64 s15, 0, v93
	s_delay_alu instid0(VALU_DEP_4)
	v_cmp_gt_i32_e64 s16, 0, v94
	v_not_b32_e32 v93, v94
	v_not_b32_e32 v94, v95
	v_lshlrev_b32_e32 v203, 24, v92
	v_cmp_gt_i32_e64 s17, 0, v95
	v_cmp_gt_i32_e64 s18, 0, v96
	v_not_b32_e32 v95, v96
	v_not_b32_e32 v96, v97
	v_dual_ashrrev_i32 v93, 31, v93 :: v_dual_ashrrev_i32 v94, 31, v94
	v_xor_b32_e32 v91, s15, v91
	v_cmp_gt_i32_e64 s19, 0, v97
	v_not_b32_e32 v97, v201
	s_delay_alu instid0(VALU_DEP_4) | instskip(SKIP_1) | instid1(VALU_DEP_3)
	v_dual_ashrrev_i32 v95, 31, v95 :: v_dual_bitop2_b32 v93, s16, v93 bitop3:0x14
	v_dual_ashrrev_i32 v96, 31, v96 :: v_dual_bitop2_b32 v94, s17, v94 bitop3:0x14
	v_ashrrev_i32_e32 v97, 31, v97
	v_bitop3_b32 v90, v90, v91, exec_lo bitop3:0x80
	v_not_b32_e32 v91, v203
	v_cmp_gt_i32_e64 s20, 0, v201
	v_xor_b32_e32 v95, s18, v95
	v_xor_b32_e32 v96, s19, v96
	v_bitop3_b32 v90, v90, v94, v93 bitop3:0x80
	v_cmp_gt_i32_e32 vcc_lo, 0, v203
	v_ashrrev_i32_e32 v91, 31, v91
	v_mad_u32_u24 v93, v92, 36, v148
	v_xor_b32_e32 v94, s20, v97
	v_bitop3_b32 v90, v90, v96, v95 bitop3:0x80
	s_delay_alu instid0(VALU_DEP_4) | instskip(SKIP_3) | instid1(VALU_DEP_2)
	v_xor_b32_e32 v91, vcc_lo, v91
	ds_load_b32 v201, v93 offset:1056
	; wave barrier
	v_bitop3_b32 v90, v90, v91, v94 bitop3:0x80
	v_mul_u32_u24_e32 v91, 36, v92
	v_mbcnt_lo_u32_b32 v203, v90, 0
	v_cmp_ne_u32_e64 s15, 0, v90
	s_delay_alu instid0(VALU_DEP_3) | instskip(NEXT) | instid1(VALU_DEP_3)
	v_add_nc_u32_e32 v205, v148, v91
	v_cmp_eq_u32_e32 vcc_lo, 0, v203
	s_and_b32 s16, s15, vcc_lo
	s_delay_alu instid0(SALU_CYCLE_1)
	s_and_saveexec_b32 s15, s16
	s_cbranch_execz .LBB730_164
; %bb.163:                              ;   in Loop: Header=BB730_104 Depth=2
	s_wait_dscnt 0x0
	v_bcnt_u32_b32 v90, v90, v201
	ds_store_b32 v205, v90 offset:1056
.LBB730_164:                            ;   in Loop: Header=BB730_104 Depth=2
	s_or_b32 exec_lo, exec_lo, s15
	v_xor_b32_e32 v73, 0x7fffffff, v73
	v_not_b32_e32 v72, v72
	; wave barrier
	s_delay_alu instid0(VALU_DEP_1) | instskip(NEXT) | instid1(VALU_DEP_1)
	v_lshrrev_b64 v[90:91], s48, v[72:73]
	v_bitop3_b32 v91, v90, 1, s56 bitop3:0x80
	v_and_b32_e32 v92, s56, v90
	s_delay_alu instid0(VALU_DEP_2) | instskip(NEXT) | instid1(VALU_DEP_1)
	v_add_co_u32 v90, s15, v91, -1
	v_cndmask_b32_e64 v91, 0, 1, s15
	s_delay_alu instid0(VALU_DEP_3) | instskip(NEXT) | instid1(VALU_DEP_2)
	v_lshlrev_b32_e32 v93, 30, v92
	v_cmp_ne_u32_e32 vcc_lo, 0, v91
	s_delay_alu instid0(VALU_DEP_2) | instskip(NEXT) | instid1(VALU_DEP_1)
	v_not_b32_e32 v91, v93
	v_dual_ashrrev_i32 v91, 31, v91 :: v_dual_bitop2_b32 v90, vcc_lo, v90 bitop3:0x14
	v_dual_lshlrev_b32 v94, 29, v92 :: v_dual_lshlrev_b32 v95, 28, v92
	v_dual_lshlrev_b32 v96, 27, v92 :: v_dual_lshlrev_b32 v97, 26, v92
	v_lshlrev_b32_e32 v204, 25, v92
	v_cmp_gt_i32_e64 s15, 0, v93
	s_delay_alu instid0(VALU_DEP_4)
	v_cmp_gt_i32_e64 s16, 0, v94
	v_not_b32_e32 v93, v94
	v_not_b32_e32 v94, v95
	v_lshlrev_b32_e32 v206, 24, v92
	v_cmp_gt_i32_e64 s17, 0, v95
	v_cmp_gt_i32_e64 s18, 0, v96
	v_not_b32_e32 v95, v96
	v_not_b32_e32 v96, v97
	v_dual_ashrrev_i32 v93, 31, v93 :: v_dual_ashrrev_i32 v94, 31, v94
	v_xor_b32_e32 v91, s15, v91
	v_cmp_gt_i32_e64 s19, 0, v97
	v_not_b32_e32 v97, v204
	s_delay_alu instid0(VALU_DEP_4) | instskip(SKIP_1) | instid1(VALU_DEP_3)
	v_dual_ashrrev_i32 v95, 31, v95 :: v_dual_bitop2_b32 v93, s16, v93 bitop3:0x14
	v_dual_ashrrev_i32 v96, 31, v96 :: v_dual_bitop2_b32 v94, s17, v94 bitop3:0x14
	v_ashrrev_i32_e32 v97, 31, v97
	v_bitop3_b32 v90, v90, v91, exec_lo bitop3:0x80
	v_not_b32_e32 v91, v206
	v_cmp_gt_i32_e64 s20, 0, v204
	v_xor_b32_e32 v95, s18, v95
	v_xor_b32_e32 v96, s19, v96
	v_bitop3_b32 v90, v90, v94, v93 bitop3:0x80
	v_cmp_gt_i32_e32 vcc_lo, 0, v206
	v_ashrrev_i32_e32 v91, 31, v91
	v_mad_u32_u24 v93, v92, 36, v148
	v_xor_b32_e32 v94, s20, v97
	v_bitop3_b32 v90, v90, v96, v95 bitop3:0x80
	s_delay_alu instid0(VALU_DEP_4) | instskip(SKIP_3) | instid1(VALU_DEP_2)
	v_xor_b32_e32 v91, vcc_lo, v91
	ds_load_b32 v204, v93 offset:1056
	; wave barrier
	v_bitop3_b32 v90, v90, v91, v94 bitop3:0x80
	v_mul_u32_u24_e32 v91, 36, v92
	v_mbcnt_lo_u32_b32 v206, v90, 0
	v_cmp_ne_u32_e64 s15, 0, v90
	s_delay_alu instid0(VALU_DEP_3) | instskip(NEXT) | instid1(VALU_DEP_3)
	v_add_nc_u32_e32 v209, v148, v91
	v_cmp_eq_u32_e32 vcc_lo, 0, v206
	s_and_b32 s16, s15, vcc_lo
	s_delay_alu instid0(SALU_CYCLE_1)
	s_and_saveexec_b32 s15, s16
	s_cbranch_execz .LBB730_166
; %bb.165:                              ;   in Loop: Header=BB730_104 Depth=2
	s_wait_dscnt 0x0
	v_bcnt_u32_b32 v90, v90, v204
	ds_store_b32 v209, v90 offset:1056
.LBB730_166:                            ;   in Loop: Header=BB730_104 Depth=2
	s_or_b32 exec_lo, exec_lo, s15
	v_xor_b32_e32 v69, 0x7fffffff, v69
	v_not_b32_e32 v68, v68
	; wave barrier
	s_delay_alu instid0(VALU_DEP_1) | instskip(NEXT) | instid1(VALU_DEP_1)
	v_lshrrev_b64 v[90:91], s48, v[68:69]
	v_bitop3_b32 v91, v90, 1, s56 bitop3:0x80
	v_and_b32_e32 v92, s56, v90
	s_delay_alu instid0(VALU_DEP_2) | instskip(NEXT) | instid1(VALU_DEP_1)
	v_add_co_u32 v90, s15, v91, -1
	v_cndmask_b32_e64 v91, 0, 1, s15
	s_delay_alu instid0(VALU_DEP_3) | instskip(NEXT) | instid1(VALU_DEP_2)
	v_lshlrev_b32_e32 v93, 30, v92
	v_cmp_ne_u32_e32 vcc_lo, 0, v91
	s_delay_alu instid0(VALU_DEP_2) | instskip(NEXT) | instid1(VALU_DEP_1)
	v_not_b32_e32 v91, v93
	v_dual_ashrrev_i32 v91, 31, v91 :: v_dual_bitop2_b32 v90, vcc_lo, v90 bitop3:0x14
	v_dual_lshlrev_b32 v94, 29, v92 :: v_dual_lshlrev_b32 v95, 28, v92
	v_dual_lshlrev_b32 v96, 27, v92 :: v_dual_lshlrev_b32 v97, 26, v92
	v_lshlrev_b32_e32 v207, 25, v92
	v_cmp_gt_i32_e64 s15, 0, v93
	s_delay_alu instid0(VALU_DEP_4)
	v_cmp_gt_i32_e64 s16, 0, v94
	v_not_b32_e32 v93, v94
	v_not_b32_e32 v94, v95
	v_lshlrev_b32_e32 v208, 24, v92
	v_cmp_gt_i32_e64 s17, 0, v95
	v_cmp_gt_i32_e64 s18, 0, v96
	v_not_b32_e32 v95, v96
	v_not_b32_e32 v96, v97
	v_dual_ashrrev_i32 v93, 31, v93 :: v_dual_ashrrev_i32 v94, 31, v94
	v_xor_b32_e32 v91, s15, v91
	v_cmp_gt_i32_e64 s19, 0, v97
	v_not_b32_e32 v97, v207
	s_delay_alu instid0(VALU_DEP_4) | instskip(SKIP_1) | instid1(VALU_DEP_3)
	v_dual_ashrrev_i32 v95, 31, v95 :: v_dual_bitop2_b32 v93, s16, v93 bitop3:0x14
	v_dual_ashrrev_i32 v96, 31, v96 :: v_dual_bitop2_b32 v94, s17, v94 bitop3:0x14
	v_ashrrev_i32_e32 v97, 31, v97
	v_bitop3_b32 v90, v90, v91, exec_lo bitop3:0x80
	v_not_b32_e32 v91, v208
	v_cmp_gt_i32_e64 s20, 0, v207
	v_xor_b32_e32 v95, s18, v95
	v_xor_b32_e32 v96, s19, v96
	v_bitop3_b32 v90, v90, v94, v93 bitop3:0x80
	v_cmp_gt_i32_e32 vcc_lo, 0, v208
	v_ashrrev_i32_e32 v91, 31, v91
	v_mad_u32_u24 v93, v92, 36, v148
	v_xor_b32_e32 v94, s20, v97
	v_bitop3_b32 v90, v90, v96, v95 bitop3:0x80
	s_delay_alu instid0(VALU_DEP_4) | instskip(SKIP_3) | instid1(VALU_DEP_2)
	v_xor_b32_e32 v91, vcc_lo, v91
	ds_load_b32 v207, v93 offset:1056
	; wave barrier
	v_bitop3_b32 v90, v90, v91, v94 bitop3:0x80
	v_mul_u32_u24_e32 v91, 36, v92
	v_mbcnt_lo_u32_b32 v208, v90, 0
	v_cmp_ne_u32_e64 s15, 0, v90
	s_delay_alu instid0(VALU_DEP_3) | instskip(NEXT) | instid1(VALU_DEP_3)
	v_add_nc_u32_e32 v212, v148, v91
	v_cmp_eq_u32_e32 vcc_lo, 0, v208
	s_and_b32 s16, s15, vcc_lo
	s_delay_alu instid0(SALU_CYCLE_1)
	s_and_saveexec_b32 s15, s16
	s_cbranch_execz .LBB730_168
; %bb.167:                              ;   in Loop: Header=BB730_104 Depth=2
	s_wait_dscnt 0x0
	v_bcnt_u32_b32 v90, v90, v207
	ds_store_b32 v212, v90 offset:1056
.LBB730_168:                            ;   in Loop: Header=BB730_104 Depth=2
	s_or_b32 exec_lo, exec_lo, s15
	v_xor_b32_e32 v67, 0x7fffffff, v67
	v_not_b32_e32 v66, v66
	; wave barrier
	s_delay_alu instid0(VALU_DEP_1) | instskip(NEXT) | instid1(VALU_DEP_1)
	v_lshrrev_b64 v[90:91], s48, v[66:67]
	v_bitop3_b32 v91, v90, 1, s56 bitop3:0x80
	v_and_b32_e32 v92, s56, v90
	s_delay_alu instid0(VALU_DEP_2) | instskip(NEXT) | instid1(VALU_DEP_1)
	v_add_co_u32 v90, s15, v91, -1
	v_cndmask_b32_e64 v91, 0, 1, s15
	s_delay_alu instid0(VALU_DEP_3) | instskip(NEXT) | instid1(VALU_DEP_2)
	v_lshlrev_b32_e32 v93, 30, v92
	v_cmp_ne_u32_e32 vcc_lo, 0, v91
	s_delay_alu instid0(VALU_DEP_2) | instskip(NEXT) | instid1(VALU_DEP_1)
	v_not_b32_e32 v91, v93
	v_dual_ashrrev_i32 v91, 31, v91 :: v_dual_bitop2_b32 v90, vcc_lo, v90 bitop3:0x14
	v_dual_lshlrev_b32 v94, 29, v92 :: v_dual_lshlrev_b32 v95, 28, v92
	v_dual_lshlrev_b32 v96, 27, v92 :: v_dual_lshlrev_b32 v97, 26, v92
	v_lshlrev_b32_e32 v210, 25, v92
	v_cmp_gt_i32_e64 s15, 0, v93
	s_delay_alu instid0(VALU_DEP_4)
	v_cmp_gt_i32_e64 s16, 0, v94
	v_not_b32_e32 v93, v94
	v_not_b32_e32 v94, v95
	v_lshlrev_b32_e32 v211, 24, v92
	v_cmp_gt_i32_e64 s17, 0, v95
	v_cmp_gt_i32_e64 s18, 0, v96
	v_not_b32_e32 v95, v96
	v_not_b32_e32 v96, v97
	v_dual_ashrrev_i32 v93, 31, v93 :: v_dual_ashrrev_i32 v94, 31, v94
	v_xor_b32_e32 v91, s15, v91
	v_cmp_gt_i32_e64 s19, 0, v97
	v_not_b32_e32 v97, v210
	s_delay_alu instid0(VALU_DEP_4) | instskip(SKIP_1) | instid1(VALU_DEP_3)
	v_dual_ashrrev_i32 v95, 31, v95 :: v_dual_bitop2_b32 v93, s16, v93 bitop3:0x14
	v_dual_ashrrev_i32 v96, 31, v96 :: v_dual_bitop2_b32 v94, s17, v94 bitop3:0x14
	v_ashrrev_i32_e32 v97, 31, v97
	v_bitop3_b32 v90, v90, v91, exec_lo bitop3:0x80
	v_not_b32_e32 v91, v211
	v_cmp_gt_i32_e64 s20, 0, v210
	v_xor_b32_e32 v95, s18, v95
	v_xor_b32_e32 v96, s19, v96
	v_bitop3_b32 v90, v90, v94, v93 bitop3:0x80
	v_cmp_gt_i32_e32 vcc_lo, 0, v211
	v_ashrrev_i32_e32 v91, 31, v91
	v_mad_u32_u24 v93, v92, 36, v148
	v_xor_b32_e32 v94, s20, v97
	v_bitop3_b32 v90, v90, v96, v95 bitop3:0x80
	s_delay_alu instid0(VALU_DEP_4) | instskip(SKIP_3) | instid1(VALU_DEP_2)
	v_xor_b32_e32 v91, vcc_lo, v91
	ds_load_b32 v210, v93 offset:1056
	; wave barrier
	v_bitop3_b32 v90, v90, v91, v94 bitop3:0x80
	v_mul_u32_u24_e32 v91, 36, v92
	v_mbcnt_lo_u32_b32 v211, v90, 0
	v_cmp_ne_u32_e64 s15, 0, v90
	s_delay_alu instid0(VALU_DEP_3) | instskip(NEXT) | instid1(VALU_DEP_3)
	v_add_nc_u32_e32 v215, v148, v91
	v_cmp_eq_u32_e32 vcc_lo, 0, v211
	s_and_b32 s16, s15, vcc_lo
	s_delay_alu instid0(SALU_CYCLE_1)
	s_and_saveexec_b32 s15, s16
	s_cbranch_execz .LBB730_170
; %bb.169:                              ;   in Loop: Header=BB730_104 Depth=2
	s_wait_dscnt 0x0
	v_bcnt_u32_b32 v90, v90, v210
	ds_store_b32 v215, v90 offset:1056
.LBB730_170:                            ;   in Loop: Header=BB730_104 Depth=2
	s_or_b32 exec_lo, exec_lo, s15
	v_lshrrev_b64 v[90:91], s48, v[58:59]
	; wave barrier
	s_delay_alu instid0(VALU_DEP_1) | instskip(SKIP_1) | instid1(VALU_DEP_2)
	v_bitop3_b32 v91, v90, 1, s56 bitop3:0x80
	v_and_b32_e32 v92, s56, v90
	v_add_co_u32 v90, s15, v91, -1
	s_delay_alu instid0(VALU_DEP_1) | instskip(NEXT) | instid1(VALU_DEP_3)
	v_cndmask_b32_e64 v91, 0, 1, s15
	v_lshlrev_b32_e32 v93, 30, v92
	s_delay_alu instid0(VALU_DEP_2) | instskip(NEXT) | instid1(VALU_DEP_2)
	v_cmp_ne_u32_e32 vcc_lo, 0, v91
	v_not_b32_e32 v91, v93
	s_delay_alu instid0(VALU_DEP_1) | instskip(SKIP_4) | instid1(VALU_DEP_4)
	v_dual_ashrrev_i32 v91, 31, v91 :: v_dual_bitop2_b32 v90, vcc_lo, v90 bitop3:0x14
	v_dual_lshlrev_b32 v94, 29, v92 :: v_dual_lshlrev_b32 v95, 28, v92
	v_dual_lshlrev_b32 v96, 27, v92 :: v_dual_lshlrev_b32 v97, 26, v92
	v_lshlrev_b32_e32 v213, 25, v92
	v_cmp_gt_i32_e64 s15, 0, v93
	v_cmp_gt_i32_e64 s16, 0, v94
	v_not_b32_e32 v93, v94
	v_not_b32_e32 v94, v95
	v_lshlrev_b32_e32 v214, 24, v92
	v_cmp_gt_i32_e64 s17, 0, v95
	v_cmp_gt_i32_e64 s18, 0, v96
	v_not_b32_e32 v95, v96
	v_dual_ashrrev_i32 v93, 31, v93 :: v_dual_ashrrev_i32 v94, 31, v94
	v_xor_b32_e32 v91, s15, v91
	v_not_b32_e32 v96, v97
	v_cmp_gt_i32_e64 s19, 0, v97
	s_delay_alu instid0(VALU_DEP_4)
	v_dual_ashrrev_i32 v95, 31, v95 :: v_dual_bitop2_b32 v93, s16, v93 bitop3:0x14
	v_xor_b32_e32 v94, s17, v94
	v_bitop3_b32 v90, v90, v91, exec_lo bitop3:0x80
	v_ashrrev_i32_e32 v91, 31, v96
	v_not_b32_e32 v96, v213
	v_not_b32_e32 v97, v214
	v_xor_b32_e32 v95, s18, v95
	v_bitop3_b32 v90, v90, v94, v93 bitop3:0x80
	v_xor_b32_e32 v91, s19, v91
	v_cmp_gt_i32_e32 vcc_lo, 0, v213
	v_ashrrev_i32_e32 v93, 31, v96
	v_cmp_gt_i32_e64 s15, 0, v214
	v_ashrrev_i32_e32 v94, 31, v97
	v_mad_u32_u24 v96, v92, 36, v148
	v_bitop3_b32 v90, v90, v91, v95 bitop3:0x80
	v_xor_b32_e32 v91, vcc_lo, v93
	s_delay_alu instid0(VALU_DEP_4) | instskip(SKIP_3) | instid1(VALU_DEP_2)
	v_xor_b32_e32 v93, s15, v94
	ds_load_b32 v213, v96 offset:1056
	; wave barrier
	v_bitop3_b32 v90, v90, v93, v91 bitop3:0x80
	v_mul_u32_u24_e32 v91, 36, v92
	v_mbcnt_lo_u32_b32 v214, v90, 0
	v_cmp_ne_u32_e64 s15, 0, v90
	s_delay_alu instid0(VALU_DEP_3) | instskip(NEXT) | instid1(VALU_DEP_3)
	v_add_nc_u32_e32 v216, v148, v91
	v_cmp_eq_u32_e32 vcc_lo, 0, v214
	s_and_b32 s16, s15, vcc_lo
	s_delay_alu instid0(SALU_CYCLE_1)
	s_and_saveexec_b32 s15, s16
	s_cbranch_execz .LBB730_172
; %bb.171:                              ;   in Loop: Header=BB730_104 Depth=2
	s_wait_dscnt 0x0
	v_bcnt_u32_b32 v90, v90, v213
	ds_store_b32 v216, v90 offset:1056
.LBB730_172:                            ;   in Loop: Header=BB730_104 Depth=2
	s_or_b32 exec_lo, exec_lo, s15
	; wave barrier
	s_wait_dscnt 0x0
	s_barrier_signal -1
	s_barrier_wait -1
	ds_load_2addr_b32 v[96:97], v168 offset1:1
	ds_load_2addr_b32 v[94:95], v169 offset1:1
	;; [unrolled: 1-line block ×4, first 2 shown]
	ds_load_b32 v217, v120 offset:1088
	s_wait_dscnt 0x3
	v_add3_u32 v218, v97, v96, v94
	s_wait_dscnt 0x2
	s_delay_alu instid0(VALU_DEP_1) | instskip(SKIP_1) | instid1(VALU_DEP_1)
	v_add3_u32 v218, v218, v95, v92
	s_wait_dscnt 0x1
	v_add3_u32 v218, v218, v93, v90
	s_wait_dscnt 0x0
	s_delay_alu instid0(VALU_DEP_1) | instskip(NEXT) | instid1(VALU_DEP_1)
	v_add3_u32 v217, v218, v91, v217
	v_mov_b32_dpp v218, v217 row_shr:1 row_mask:0xf bank_mask:0xf
	s_delay_alu instid0(VALU_DEP_1) | instskip(NEXT) | instid1(VALU_DEP_1)
	v_cndmask_b32_e64 v218, v218, 0, s7
	v_add_nc_u32_e32 v217, v218, v217
	s_delay_alu instid0(VALU_DEP_1) | instskip(NEXT) | instid1(VALU_DEP_1)
	v_mov_b32_dpp v218, v217 row_shr:2 row_mask:0xf bank_mask:0xf
	v_cndmask_b32_e64 v218, 0, v218, s8
	s_delay_alu instid0(VALU_DEP_1) | instskip(NEXT) | instid1(VALU_DEP_1)
	v_add_nc_u32_e32 v217, v217, v218
	v_mov_b32_dpp v218, v217 row_shr:4 row_mask:0xf bank_mask:0xf
	s_delay_alu instid0(VALU_DEP_1) | instskip(NEXT) | instid1(VALU_DEP_1)
	v_cndmask_b32_e64 v218, 0, v218, s9
	v_add_nc_u32_e32 v217, v217, v218
	s_delay_alu instid0(VALU_DEP_1) | instskip(NEXT) | instid1(VALU_DEP_1)
	v_mov_b32_dpp v218, v217 row_shr:8 row_mask:0xf bank_mask:0xf
	v_cndmask_b32_e64 v218, 0, v218, s10
	s_delay_alu instid0(VALU_DEP_1) | instskip(SKIP_3) | instid1(VALU_DEP_1)
	v_add_nc_u32_e32 v217, v217, v218
	ds_swizzle_b32 v218, v217 offset:swizzle(BROADCAST,32,15)
	s_wait_dscnt 0x0
	v_cndmask_b32_e64 v218, v218, 0, s11
	v_add_nc_u32_e32 v217, v217, v218
	s_and_saveexec_b32 s15, s1
; %bb.173:                              ;   in Loop: Header=BB730_104 Depth=2
	ds_store_b32 v114, v217 offset:1024
; %bb.174:                              ;   in Loop: Header=BB730_104 Depth=2
	s_or_b32 exec_lo, exec_lo, s15
	s_wait_dscnt 0x0
	s_barrier_signal -1
	s_barrier_wait -1
	s_and_saveexec_b32 s15, s4
	s_cbranch_execz .LBB730_176
; %bb.175:                              ;   in Loop: Header=BB730_104 Depth=2
	ds_load_b32 v218, v122 offset:1024
	s_wait_dscnt 0x0
	v_mov_b32_dpp v219, v218 row_shr:1 row_mask:0xf bank_mask:0xf
	s_delay_alu instid0(VALU_DEP_1) | instskip(NEXT) | instid1(VALU_DEP_1)
	v_cndmask_b32_e64 v219, v219, 0, s12
	v_add_nc_u32_e32 v218, v219, v218
	s_delay_alu instid0(VALU_DEP_1) | instskip(NEXT) | instid1(VALU_DEP_1)
	v_mov_b32_dpp v219, v218 row_shr:2 row_mask:0xf bank_mask:0xf
	v_cndmask_b32_e64 v219, 0, v219, s13
	s_delay_alu instid0(VALU_DEP_1) | instskip(NEXT) | instid1(VALU_DEP_1)
	v_add_nc_u32_e32 v218, v218, v219
	v_mov_b32_dpp v219, v218 row_shr:4 row_mask:0xf bank_mask:0xf
	s_delay_alu instid0(VALU_DEP_1) | instskip(NEXT) | instid1(VALU_DEP_1)
	v_cndmask_b32_e64 v219, 0, v219, s14
	v_add_nc_u32_e32 v218, v218, v219
	ds_store_b32 v122, v218 offset:1024
.LBB730_176:                            ;   in Loop: Header=BB730_104 Depth=2
	s_or_b32 exec_lo, exec_lo, s15
	v_mov_b32_e32 v218, 0
	s_wait_dscnt 0x0
	s_barrier_signal -1
	s_barrier_wait -1
	s_and_saveexec_b32 s15, s5
; %bb.177:                              ;   in Loop: Header=BB730_104 Depth=2
	ds_load_b32 v218, v114 offset:1020
; %bb.178:                              ;   in Loop: Header=BB730_104 Depth=2
	s_or_b32 exec_lo, exec_lo, s15
	s_wait_dscnt 0x0
	v_add_nc_u32_e32 v217, v218, v217
	ds_bpermute_b32 v217, v147, v217
	s_wait_dscnt 0x0
	v_cndmask_b32_e64 v217, v217, v218, s6
	s_delay_alu instid0(VALU_DEP_1) | instskip(NEXT) | instid1(VALU_DEP_1)
	v_cndmask_b32_e64 v217, v217, 0, s2
	v_add_nc_u32_e32 v96, v217, v96
	s_delay_alu instid0(VALU_DEP_1) | instskip(NEXT) | instid1(VALU_DEP_1)
	v_add_nc_u32_e32 v97, v96, v97
	v_add_nc_u32_e32 v94, v97, v94
	s_delay_alu instid0(VALU_DEP_1) | instskip(NEXT) | instid1(VALU_DEP_1)
	v_add_nc_u32_e32 v95, v94, v95
	;; [unrolled: 3-line block ×3, first 2 shown]
	v_add_nc_u32_e32 v90, v93, v90
	s_delay_alu instid0(VALU_DEP_1)
	v_add_nc_u32_e32 v91, v90, v91
	ds_store_2addr_b32 v167, v93, v90 offset1:1
	ds_store_2addr_b32 v168, v217, v96 offset1:1
	;; [unrolled: 1-line block ×4, first 2 shown]
	ds_store_b32 v120, v91 offset:1088
	s_wait_dscnt 0x0
	s_barrier_signal -1
	s_barrier_wait -1
	ds_load_b32 v91, v171 offset:1056
	ds_load_b32 v218, v174 offset:1056
	;; [unrolled: 1-line block ×17, first 2 shown]
	v_mov_b32_e32 v90, 0x1000
	s_and_saveexec_b32 s15, s3
; %bb.179:                              ;   in Loop: Header=BB730_104 Depth=2
	ds_load_b32 v90, v120 offset:1092
; %bb.180:                              ;   in Loop: Header=BB730_104 Depth=2
	s_or_b32 exec_lo, exec_lo, s15
	s_wait_dscnt 0x0
	s_barrier_signal -1
	s_barrier_wait -1
	s_and_saveexec_b32 s15, s0
	s_cbranch_execz .LBB730_182
; %bb.181:                              ;   in Loop: Header=BB730_104 Depth=2
	ds_load_b32 v183, v3
	s_wait_dscnt 0x0
	v_sub_nc_u32_e32 v180, v183, v180
	ds_store_b32 v3, v180
.LBB730_182:                            ;   in Loop: Header=BB730_104 Depth=2
	s_or_b32 exec_lo, exec_lo, s15
	v_dual_lshlrev_b32 v166, 3, v166 :: v_dual_lshlrev_b32 v173, 3, v173
	v_dual_lshlrev_b32 v172, 3, v172 :: v_dual_lshlrev_b32 v180, 3, v218
	v_lshlrev_b32_e32 v176, 3, v176
	s_delay_alu instid0(VALU_DEP_3)
	v_lshl_add_u32 v91, v91, 3, v166
	v_dual_lshlrev_b32 v166, 3, v175 :: v_dual_lshlrev_b32 v175, 3, v217
	v_dual_lshlrev_b32 v179, 3, v179 :: v_dual_lshlrev_b32 v178, 3, v178
	;; [unrolled: 1-line block ×5, first 2 shown]
	v_lshlrev_b32_e32 v185, 3, v92
	ds_store_b64 v91, v[60:61] offset:1024
	v_add3_u32 v60, v173, v172, v180
	v_add3_u32 v61, v176, v166, v175
	;; [unrolled: 1-line block ×5, first 2 shown]
	ds_store_b64 v60, v[62:63] offset:1024
	ds_store_b64 v61, v[64:65] offset:1024
	;; [unrolled: 1-line block ×5, first 2 shown]
	v_dual_lshlrev_b32 v62, 3, v188 :: v_dual_lshlrev_b32 v65, 3, v191
	v_dual_lshlrev_b32 v63, 3, v187 :: v_dual_lshlrev_b32 v64, 3, v177
	;; [unrolled: 1-line block ×7, first 2 shown]
	v_lshlrev_b32_e32 v169, 3, v169
	v_add3_u32 v62, v62, v63, v64
	v_add3_u32 v63, v65, v70, v71
	;; [unrolled: 1-line block ×4, first 2 shown]
	v_lshlrev_b32_e32 v71, 3, v203
	v_add3_u32 v70, v171, v172, v169
	ds_store_b64 v62, v[82:83] offset:1024
	ds_store_b64 v63, v[86:87] offset:1024
	;; [unrolled: 1-line block ×5, first 2 shown]
	v_dual_lshlrev_b32 v74, 3, v201 :: v_dual_lshlrev_b32 v75, 3, v168
	v_dual_lshlrev_b32 v78, 3, v206 :: v_dual_lshlrev_b32 v79, 3, v204
	;; [unrolled: 1-line block ×7, first 2 shown]
	v_add3_u32 v71, v71, v74, v75
	v_add3_u32 v74, v78, v79, v80
	;; [unrolled: 1-line block ×5, first 2 shown]
	v_cmp_lt_u32_e32 vcc_lo, v2, v165
	ds_store_b64 v71, v[76:77] offset:1024
	ds_store_b64 v74, v[72:73] offset:1024
	;; [unrolled: 1-line block ×5, first 2 shown]
	s_wait_dscnt 0x0
	s_barrier_signal -1
	s_barrier_wait -1
	s_and_saveexec_b32 s15, vcc_lo
	s_cbranch_execnz .LBB730_251
; %bb.183:                              ;   in Loop: Header=BB730_104 Depth=2
	s_or_b32 exec_lo, exec_lo, s15
	v_cmp_lt_u32_e64 s15, v98, v165
	s_and_saveexec_b32 s16, s15
	s_cbranch_execnz .LBB730_252
.LBB730_184:                            ;   in Loop: Header=BB730_104 Depth=2
	s_or_b32 exec_lo, exec_lo, s16
	v_cmp_lt_u32_e64 s16, v99, v165
	s_and_saveexec_b32 s17, s16
	s_cbranch_execnz .LBB730_253
.LBB730_185:                            ;   in Loop: Header=BB730_104 Depth=2
	s_or_b32 exec_lo, exec_lo, s17
	v_cmp_lt_u32_e64 s17, v100, v165
	s_and_saveexec_b32 s18, s17
	s_cbranch_execnz .LBB730_254
.LBB730_186:                            ;   in Loop: Header=BB730_104 Depth=2
	s_or_b32 exec_lo, exec_lo, s18
	v_cmp_lt_u32_e64 s18, v101, v165
	s_and_saveexec_b32 s19, s18
	s_cbranch_execnz .LBB730_255
.LBB730_187:                            ;   in Loop: Header=BB730_104 Depth=2
	s_or_b32 exec_lo, exec_lo, s19
	v_cmp_lt_u32_e64 s19, v102, v165
	s_and_saveexec_b32 s20, s19
	s_cbranch_execnz .LBB730_256
.LBB730_188:                            ;   in Loop: Header=BB730_104 Depth=2
	s_or_b32 exec_lo, exec_lo, s20
	v_cmp_lt_u32_e64 s20, v103, v165
	s_and_saveexec_b32 s21, s20
	s_cbranch_execnz .LBB730_257
.LBB730_189:                            ;   in Loop: Header=BB730_104 Depth=2
	s_or_b32 exec_lo, exec_lo, s21
	v_cmp_lt_u32_e64 s21, v104, v165
	s_and_saveexec_b32 s22, s21
	s_cbranch_execnz .LBB730_258
.LBB730_190:                            ;   in Loop: Header=BB730_104 Depth=2
	s_or_b32 exec_lo, exec_lo, s22
	v_cmp_lt_u32_e64 s22, v105, v165
	s_and_saveexec_b32 s23, s22
	s_cbranch_execnz .LBB730_259
.LBB730_191:                            ;   in Loop: Header=BB730_104 Depth=2
	s_or_b32 exec_lo, exec_lo, s23
	v_cmp_lt_u32_e64 s23, v106, v165
	s_and_saveexec_b32 s24, s23
	s_cbranch_execnz .LBB730_260
.LBB730_192:                            ;   in Loop: Header=BB730_104 Depth=2
	s_or_b32 exec_lo, exec_lo, s24
	v_cmp_lt_u32_e64 s24, v107, v165
	s_and_saveexec_b32 s25, s24
	s_cbranch_execnz .LBB730_261
.LBB730_193:                            ;   in Loop: Header=BB730_104 Depth=2
	s_or_b32 exec_lo, exec_lo, s25
	v_cmp_lt_u32_e64 s25, v108, v165
	s_and_saveexec_b32 s26, s25
	s_cbranch_execnz .LBB730_262
.LBB730_194:                            ;   in Loop: Header=BB730_104 Depth=2
	s_or_b32 exec_lo, exec_lo, s26
	v_cmp_lt_u32_e64 s26, v109, v165
	s_and_saveexec_b32 s27, s26
	s_cbranch_execnz .LBB730_263
.LBB730_195:                            ;   in Loop: Header=BB730_104 Depth=2
	s_or_b32 exec_lo, exec_lo, s27
	v_cmp_lt_u32_e64 s27, v110, v165
	s_and_saveexec_b32 s28, s27
	s_cbranch_execnz .LBB730_264
.LBB730_196:                            ;   in Loop: Header=BB730_104 Depth=2
	s_or_b32 exec_lo, exec_lo, s28
	v_cmp_lt_u32_e64 s28, v111, v165
	s_and_saveexec_b32 s29, s28
	s_cbranch_execnz .LBB730_265
.LBB730_197:                            ;   in Loop: Header=BB730_104 Depth=2
	s_or_b32 exec_lo, exec_lo, s29
	v_cmp_lt_u32_e64 s29, v112, v165
	s_and_saveexec_b32 s59, s29
	s_cbranch_execz .LBB730_199
.LBB730_198:                            ;   in Loop: Header=BB730_104 Depth=2
	ds_load_b64 v[58:59], v123 offset:31744
	s_wait_dscnt 0x0
	v_lshrrev_b64 v[66:67], s48, v[58:59]
	v_xor_b32_e32 v59, 0x7fffffff, v59
	v_not_b32_e32 v58, v58
	s_delay_alu instid0(VALU_DEP_3) | instskip(NEXT) | instid1(VALU_DEP_1)
	v_and_b32_e32 v66, s56, v66
	v_lshlrev_b32_e32 v66, 2, v66
	ds_load_b32 v66, v66
	s_wait_dscnt 0x0
	v_add_nc_u32_e32 v66, v66, v112
	global_store_b64 v66, v[58:59], s[38:39] scale_offset
.LBB730_199:                            ;   in Loop: Header=BB730_104 Depth=2
	s_wait_xcnt 0x0
	s_or_b32 exec_lo, exec_lo, s59
	v_lshl_add_u64 v[58:59], s[30:31], 3, v[22:23]
	v_cmp_lt_u32_e64 s30, v129, v165
	s_and_saveexec_b32 s59, s30
	s_delay_alu instid0(SALU_CYCLE_1)
	s_xor_b32 s30, exec_lo, s59
	s_cbranch_execnz .LBB730_266
; %bb.200:                              ;   in Loop: Header=BB730_104 Depth=2
	s_or_b32 exec_lo, exec_lo, s30
	s_delay_alu instid0(SALU_CYCLE_1)
	s_mov_b32 s59, exec_lo
	v_cmpx_lt_u32_e64 v132, v165
	s_cbranch_execnz .LBB730_267
.LBB730_201:                            ;   in Loop: Header=BB730_104 Depth=2
	s_or_b32 exec_lo, exec_lo, s59
	s_delay_alu instid0(SALU_CYCLE_1)
	s_mov_b32 s59, exec_lo
	v_cmpx_lt_u32_e64 v133, v165
	s_cbranch_execnz .LBB730_268
.LBB730_202:                            ;   in Loop: Header=BB730_104 Depth=2
	s_or_b32 exec_lo, exec_lo, s59
	s_delay_alu instid0(SALU_CYCLE_1)
	s_mov_b32 s59, exec_lo
	v_cmpx_lt_u32_e64 v134, v165
	s_cbranch_execnz .LBB730_269
.LBB730_203:                            ;   in Loop: Header=BB730_104 Depth=2
	s_or_b32 exec_lo, exec_lo, s59
	s_delay_alu instid0(SALU_CYCLE_1)
	s_mov_b32 s59, exec_lo
	v_cmpx_lt_u32_e64 v135, v165
	s_cbranch_execnz .LBB730_270
.LBB730_204:                            ;   in Loop: Header=BB730_104 Depth=2
	s_or_b32 exec_lo, exec_lo, s59
	s_delay_alu instid0(SALU_CYCLE_1)
	s_mov_b32 s59, exec_lo
	v_cmpx_lt_u32_e64 v136, v165
	s_cbranch_execnz .LBB730_271
.LBB730_205:                            ;   in Loop: Header=BB730_104 Depth=2
	s_or_b32 exec_lo, exec_lo, s59
	s_delay_alu instid0(SALU_CYCLE_1)
	s_mov_b32 s59, exec_lo
	v_cmpx_lt_u32_e64 v137, v165
	s_cbranch_execnz .LBB730_272
.LBB730_206:                            ;   in Loop: Header=BB730_104 Depth=2
	s_or_b32 exec_lo, exec_lo, s59
	s_delay_alu instid0(SALU_CYCLE_1)
	s_mov_b32 s59, exec_lo
	v_cmpx_lt_u32_e64 v138, v165
	s_cbranch_execnz .LBB730_273
.LBB730_207:                            ;   in Loop: Header=BB730_104 Depth=2
	s_or_b32 exec_lo, exec_lo, s59
	s_delay_alu instid0(SALU_CYCLE_1)
	s_mov_b32 s59, exec_lo
	v_cmpx_lt_u32_e64 v139, v165
	s_cbranch_execnz .LBB730_274
.LBB730_208:                            ;   in Loop: Header=BB730_104 Depth=2
	s_or_b32 exec_lo, exec_lo, s59
	s_delay_alu instid0(SALU_CYCLE_1)
	s_mov_b32 s59, exec_lo
	v_cmpx_lt_u32_e64 v140, v165
	s_cbranch_execnz .LBB730_275
.LBB730_209:                            ;   in Loop: Header=BB730_104 Depth=2
	s_or_b32 exec_lo, exec_lo, s59
	s_delay_alu instid0(SALU_CYCLE_1)
	s_mov_b32 s59, exec_lo
	v_cmpx_lt_u32_e64 v141, v165
	s_cbranch_execnz .LBB730_276
.LBB730_210:                            ;   in Loop: Header=BB730_104 Depth=2
	s_or_b32 exec_lo, exec_lo, s59
	s_delay_alu instid0(SALU_CYCLE_1)
	s_mov_b32 s59, exec_lo
	v_cmpx_lt_u32_e64 v142, v165
	s_cbranch_execnz .LBB730_277
.LBB730_211:                            ;   in Loop: Header=BB730_104 Depth=2
	s_or_b32 exec_lo, exec_lo, s59
	s_delay_alu instid0(SALU_CYCLE_1)
	s_mov_b32 s59, exec_lo
	v_cmpx_lt_u32_e64 v143, v165
	s_cbranch_execnz .LBB730_278
.LBB730_212:                            ;   in Loop: Header=BB730_104 Depth=2
	s_or_b32 exec_lo, exec_lo, s59
	s_delay_alu instid0(SALU_CYCLE_1)
	s_mov_b32 s59, exec_lo
	v_cmpx_lt_u32_e64 v144, v165
	s_cbranch_execnz .LBB730_279
.LBB730_213:                            ;   in Loop: Header=BB730_104 Depth=2
	s_or_b32 exec_lo, exec_lo, s59
	s_delay_alu instid0(SALU_CYCLE_1)
	s_mov_b32 s59, exec_lo
	v_cmpx_lt_u32_e64 v145, v165
	s_cbranch_execnz .LBB730_280
.LBB730_214:                            ;   in Loop: Header=BB730_104 Depth=2
	s_or_b32 exec_lo, exec_lo, s59
	s_delay_alu instid0(SALU_CYCLE_1)
	s_mov_b32 s59, exec_lo
	v_cmpx_lt_u32_e64 v146, v165
	s_cbranch_execnz .LBB730_281
.LBB730_215:                            ;   in Loop: Header=BB730_104 Depth=2
	s_or_b32 exec_lo, exec_lo, s59
	s_and_saveexec_b32 s30, vcc_lo
	s_cbranch_execnz .LBB730_282
.LBB730_216:                            ;   in Loop: Header=BB730_104 Depth=2
	s_or_b32 exec_lo, exec_lo, s30
	s_and_saveexec_b32 s30, s15
	s_cbranch_execnz .LBB730_283
.LBB730_217:                            ;   in Loop: Header=BB730_104 Depth=2
	s_or_b32 exec_lo, exec_lo, s30
	s_and_saveexec_b32 s30, s16
	s_cbranch_execnz .LBB730_284
.LBB730_218:                            ;   in Loop: Header=BB730_104 Depth=2
	s_or_b32 exec_lo, exec_lo, s30
	s_and_saveexec_b32 s30, s17
	s_cbranch_execnz .LBB730_285
.LBB730_219:                            ;   in Loop: Header=BB730_104 Depth=2
	s_or_b32 exec_lo, exec_lo, s30
	s_and_saveexec_b32 s30, s18
	s_cbranch_execnz .LBB730_286
.LBB730_220:                            ;   in Loop: Header=BB730_104 Depth=2
	s_or_b32 exec_lo, exec_lo, s30
	s_and_saveexec_b32 s30, s19
	s_cbranch_execnz .LBB730_287
.LBB730_221:                            ;   in Loop: Header=BB730_104 Depth=2
	s_or_b32 exec_lo, exec_lo, s30
	s_and_saveexec_b32 s30, s20
	s_cbranch_execnz .LBB730_288
.LBB730_222:                            ;   in Loop: Header=BB730_104 Depth=2
	s_or_b32 exec_lo, exec_lo, s30
	s_and_saveexec_b32 s30, s21
	s_cbranch_execnz .LBB730_289
.LBB730_223:                            ;   in Loop: Header=BB730_104 Depth=2
	s_or_b32 exec_lo, exec_lo, s30
	s_and_saveexec_b32 s30, s22
	s_cbranch_execnz .LBB730_290
.LBB730_224:                            ;   in Loop: Header=BB730_104 Depth=2
	s_or_b32 exec_lo, exec_lo, s30
	s_and_saveexec_b32 s30, s23
	s_cbranch_execnz .LBB730_291
.LBB730_225:                            ;   in Loop: Header=BB730_104 Depth=2
	s_or_b32 exec_lo, exec_lo, s30
	s_and_saveexec_b32 s30, s24
	s_cbranch_execnz .LBB730_292
.LBB730_226:                            ;   in Loop: Header=BB730_104 Depth=2
	s_or_b32 exec_lo, exec_lo, s30
	s_and_saveexec_b32 s30, s25
	s_cbranch_execnz .LBB730_293
.LBB730_227:                            ;   in Loop: Header=BB730_104 Depth=2
	s_or_b32 exec_lo, exec_lo, s30
	s_and_saveexec_b32 s30, s26
	s_cbranch_execnz .LBB730_294
.LBB730_228:                            ;   in Loop: Header=BB730_104 Depth=2
	s_or_b32 exec_lo, exec_lo, s30
	s_and_saveexec_b32 s30, s27
	s_cbranch_execnz .LBB730_295
.LBB730_229:                            ;   in Loop: Header=BB730_104 Depth=2
	s_or_b32 exec_lo, exec_lo, s30
	s_and_saveexec_b32 s30, s28
	s_cbranch_execnz .LBB730_296
.LBB730_230:                            ;   in Loop: Header=BB730_104 Depth=2
	s_or_b32 exec_lo, exec_lo, s30
	s_and_saveexec_b32 s30, s29
	s_cbranch_execz .LBB730_232
.LBB730_231:                            ;   in Loop: Header=BB730_104 Depth=2
	ds_load_b64 v[58:59], v123 offset:31744
	s_wait_dscnt 0x0
	v_lshrrev_b64 v[58:59], s48, v[58:59]
	s_delay_alu instid0(VALU_DEP_1)
	v_and_b32_e32 v149, s56, v58
.LBB730_232:                            ;   in Loop: Header=BB730_104 Depth=2
	s_or_b32 exec_lo, exec_lo, s30
	s_wait_loadcnt 0x0
	s_wait_storecnt 0x0
	s_barrier_signal -1
	s_barrier_wait -1
	ds_store_b64 v91, v[56:57] offset:1024
	ds_store_b64 v60, v[54:55] offset:1024
	;; [unrolled: 1-line block ×16, first 2 shown]
	s_wait_dscnt 0x0
	s_barrier_signal -1
	s_barrier_wait -1
	s_and_saveexec_b32 s30, vcc_lo
	s_cbranch_execnz .LBB730_297
; %bb.233:                              ;   in Loop: Header=BB730_104 Depth=2
	s_or_b32 exec_lo, exec_lo, s30
	s_and_saveexec_b32 s30, s15
	s_cbranch_execnz .LBB730_298
.LBB730_234:                            ;   in Loop: Header=BB730_104 Depth=2
	s_or_b32 exec_lo, exec_lo, s30
	s_and_saveexec_b32 s15, s16
	s_cbranch_execnz .LBB730_299
.LBB730_235:                            ;   in Loop: Header=BB730_104 Depth=2
	s_or_b32 exec_lo, exec_lo, s15
	s_and_saveexec_b32 s15, s17
	s_cbranch_execnz .LBB730_300
.LBB730_236:                            ;   in Loop: Header=BB730_104 Depth=2
	s_or_b32 exec_lo, exec_lo, s15
	s_and_saveexec_b32 s15, s18
	s_cbranch_execnz .LBB730_301
.LBB730_237:                            ;   in Loop: Header=BB730_104 Depth=2
	s_or_b32 exec_lo, exec_lo, s15
	s_and_saveexec_b32 s15, s19
	s_cbranch_execnz .LBB730_302
.LBB730_238:                            ;   in Loop: Header=BB730_104 Depth=2
	s_or_b32 exec_lo, exec_lo, s15
	s_and_saveexec_b32 s15, s20
	s_cbranch_execnz .LBB730_303
.LBB730_239:                            ;   in Loop: Header=BB730_104 Depth=2
	s_or_b32 exec_lo, exec_lo, s15
	s_and_saveexec_b32 s15, s21
	s_cbranch_execnz .LBB730_304
.LBB730_240:                            ;   in Loop: Header=BB730_104 Depth=2
	s_or_b32 exec_lo, exec_lo, s15
	s_and_saveexec_b32 s15, s22
	s_cbranch_execnz .LBB730_305
.LBB730_241:                            ;   in Loop: Header=BB730_104 Depth=2
	s_or_b32 exec_lo, exec_lo, s15
	s_and_saveexec_b32 s15, s23
	s_cbranch_execnz .LBB730_306
.LBB730_242:                            ;   in Loop: Header=BB730_104 Depth=2
	s_or_b32 exec_lo, exec_lo, s15
	s_and_saveexec_b32 s15, s24
	s_cbranch_execnz .LBB730_307
.LBB730_243:                            ;   in Loop: Header=BB730_104 Depth=2
	s_or_b32 exec_lo, exec_lo, s15
	s_and_saveexec_b32 s15, s25
	s_cbranch_execnz .LBB730_308
.LBB730_244:                            ;   in Loop: Header=BB730_104 Depth=2
	s_or_b32 exec_lo, exec_lo, s15
	s_and_saveexec_b32 s15, s26
	s_cbranch_execnz .LBB730_309
.LBB730_245:                            ;   in Loop: Header=BB730_104 Depth=2
	s_or_b32 exec_lo, exec_lo, s15
	s_and_saveexec_b32 s15, s27
	s_cbranch_execnz .LBB730_310
.LBB730_246:                            ;   in Loop: Header=BB730_104 Depth=2
	s_or_b32 exec_lo, exec_lo, s15
	s_and_saveexec_b32 s15, s28
	s_cbranch_execnz .LBB730_311
.LBB730_247:                            ;   in Loop: Header=BB730_104 Depth=2
	s_or_b32 exec_lo, exec_lo, s15
	s_and_saveexec_b32 s15, s29
	s_cbranch_execz .LBB730_249
.LBB730_248:                            ;   in Loop: Header=BB730_104 Depth=2
	v_lshlrev_b32_e32 v58, 2, v149
	ds_load_b32 v60, v58
	ds_load_b64 v[58:59], v123 offset:31744
	s_wait_dscnt 0x1
	v_add_nc_u32_e32 v60, v60, v112
	s_wait_dscnt 0x0
	global_store_b64 v60, v[58:59], s[44:45] scale_offset
.LBB730_249:                            ;   in Loop: Header=BB730_104 Depth=2
	s_wait_xcnt 0x0
	s_or_b32 exec_lo, exec_lo, s15
	s_wait_storecnt 0x0
	s_barrier_signal -1
	s_barrier_wait -1
	s_and_saveexec_b32 s15, s0
	s_cbranch_execz .LBB730_103
; %bb.250:                              ;   in Loop: Header=BB730_104 Depth=2
	ds_load_b32 v58, v3
	s_wait_dscnt 0x0
	v_add_nc_u32_e32 v58, v58, v90
	ds_store_b32 v3, v58
	s_branch .LBB730_103
.LBB730_251:                            ;   in Loop: Header=BB730_104 Depth=2
	ds_load_b64 v[58:59], v123 offset:1024
	s_wait_dscnt 0x0
	v_lshrrev_b64 v[66:67], s48, v[58:59]
	v_xor_b32_e32 v59, 0x7fffffff, v59
	v_not_b32_e32 v58, v58
	s_delay_alu instid0(VALU_DEP_3) | instskip(NEXT) | instid1(VALU_DEP_1)
	v_and_b32_e32 v66, s56, v66
	v_lshlrev_b32_e32 v66, 2, v66
	ds_load_b32 v66, v66
	s_wait_dscnt 0x0
	v_add_nc_u32_e32 v66, v66, v2
	global_store_b64 v66, v[58:59], s[38:39] scale_offset
	s_wait_xcnt 0x0
	s_or_b32 exec_lo, exec_lo, s15
	v_cmp_lt_u32_e64 s15, v98, v165
	s_and_saveexec_b32 s16, s15
	s_cbranch_execz .LBB730_184
.LBB730_252:                            ;   in Loop: Header=BB730_104 Depth=2
	ds_load_b64 v[58:59], v123 offset:3072
	s_wait_dscnt 0x0
	v_lshrrev_b64 v[66:67], s48, v[58:59]
	v_xor_b32_e32 v59, 0x7fffffff, v59
	v_not_b32_e32 v58, v58
	s_delay_alu instid0(VALU_DEP_3) | instskip(NEXT) | instid1(VALU_DEP_1)
	v_and_b32_e32 v66, s56, v66
	v_lshlrev_b32_e32 v66, 2, v66
	ds_load_b32 v66, v66
	s_wait_dscnt 0x0
	v_add_nc_u32_e32 v66, v66, v98
	global_store_b64 v66, v[58:59], s[38:39] scale_offset
	s_wait_xcnt 0x0
	s_or_b32 exec_lo, exec_lo, s16
	v_cmp_lt_u32_e64 s16, v99, v165
	s_and_saveexec_b32 s17, s16
	s_cbranch_execz .LBB730_185
.LBB730_253:                            ;   in Loop: Header=BB730_104 Depth=2
	ds_load_b64 v[58:59], v123 offset:5120
	s_wait_dscnt 0x0
	v_lshrrev_b64 v[66:67], s48, v[58:59]
	v_xor_b32_e32 v59, 0x7fffffff, v59
	v_not_b32_e32 v58, v58
	s_delay_alu instid0(VALU_DEP_3) | instskip(NEXT) | instid1(VALU_DEP_1)
	v_and_b32_e32 v66, s56, v66
	v_lshlrev_b32_e32 v66, 2, v66
	ds_load_b32 v66, v66
	s_wait_dscnt 0x0
	v_add_nc_u32_e32 v66, v66, v99
	global_store_b64 v66, v[58:59], s[38:39] scale_offset
	s_wait_xcnt 0x0
	s_or_b32 exec_lo, exec_lo, s17
	v_cmp_lt_u32_e64 s17, v100, v165
	s_and_saveexec_b32 s18, s17
	s_cbranch_execz .LBB730_186
.LBB730_254:                            ;   in Loop: Header=BB730_104 Depth=2
	ds_load_b64 v[58:59], v123 offset:7168
	s_wait_dscnt 0x0
	v_lshrrev_b64 v[66:67], s48, v[58:59]
	v_xor_b32_e32 v59, 0x7fffffff, v59
	v_not_b32_e32 v58, v58
	s_delay_alu instid0(VALU_DEP_3) | instskip(NEXT) | instid1(VALU_DEP_1)
	v_and_b32_e32 v66, s56, v66
	v_lshlrev_b32_e32 v66, 2, v66
	ds_load_b32 v66, v66
	s_wait_dscnt 0x0
	v_add_nc_u32_e32 v66, v66, v100
	global_store_b64 v66, v[58:59], s[38:39] scale_offset
	s_wait_xcnt 0x0
	s_or_b32 exec_lo, exec_lo, s18
	v_cmp_lt_u32_e64 s18, v101, v165
	s_and_saveexec_b32 s19, s18
	s_cbranch_execz .LBB730_187
.LBB730_255:                            ;   in Loop: Header=BB730_104 Depth=2
	ds_load_b64 v[58:59], v123 offset:9216
	s_wait_dscnt 0x0
	v_lshrrev_b64 v[66:67], s48, v[58:59]
	v_xor_b32_e32 v59, 0x7fffffff, v59
	v_not_b32_e32 v58, v58
	s_delay_alu instid0(VALU_DEP_3) | instskip(NEXT) | instid1(VALU_DEP_1)
	v_and_b32_e32 v66, s56, v66
	v_lshlrev_b32_e32 v66, 2, v66
	ds_load_b32 v66, v66
	s_wait_dscnt 0x0
	v_add_nc_u32_e32 v66, v66, v101
	global_store_b64 v66, v[58:59], s[38:39] scale_offset
	s_wait_xcnt 0x0
	s_or_b32 exec_lo, exec_lo, s19
	v_cmp_lt_u32_e64 s19, v102, v165
	s_and_saveexec_b32 s20, s19
	s_cbranch_execz .LBB730_188
.LBB730_256:                            ;   in Loop: Header=BB730_104 Depth=2
	ds_load_b64 v[58:59], v123 offset:11264
	s_wait_dscnt 0x0
	v_lshrrev_b64 v[66:67], s48, v[58:59]
	v_xor_b32_e32 v59, 0x7fffffff, v59
	v_not_b32_e32 v58, v58
	s_delay_alu instid0(VALU_DEP_3) | instskip(NEXT) | instid1(VALU_DEP_1)
	v_and_b32_e32 v66, s56, v66
	v_lshlrev_b32_e32 v66, 2, v66
	ds_load_b32 v66, v66
	s_wait_dscnt 0x0
	v_add_nc_u32_e32 v66, v66, v102
	global_store_b64 v66, v[58:59], s[38:39] scale_offset
	s_wait_xcnt 0x0
	s_or_b32 exec_lo, exec_lo, s20
	v_cmp_lt_u32_e64 s20, v103, v165
	s_and_saveexec_b32 s21, s20
	s_cbranch_execz .LBB730_189
.LBB730_257:                            ;   in Loop: Header=BB730_104 Depth=2
	ds_load_b64 v[58:59], v123 offset:13312
	s_wait_dscnt 0x0
	v_lshrrev_b64 v[66:67], s48, v[58:59]
	v_xor_b32_e32 v59, 0x7fffffff, v59
	v_not_b32_e32 v58, v58
	s_delay_alu instid0(VALU_DEP_3) | instskip(NEXT) | instid1(VALU_DEP_1)
	v_and_b32_e32 v66, s56, v66
	v_lshlrev_b32_e32 v66, 2, v66
	ds_load_b32 v66, v66
	s_wait_dscnt 0x0
	v_add_nc_u32_e32 v66, v66, v103
	global_store_b64 v66, v[58:59], s[38:39] scale_offset
	s_wait_xcnt 0x0
	s_or_b32 exec_lo, exec_lo, s21
	v_cmp_lt_u32_e64 s21, v104, v165
	s_and_saveexec_b32 s22, s21
	s_cbranch_execz .LBB730_190
.LBB730_258:                            ;   in Loop: Header=BB730_104 Depth=2
	ds_load_b64 v[58:59], v123 offset:15360
	s_wait_dscnt 0x0
	v_lshrrev_b64 v[66:67], s48, v[58:59]
	v_xor_b32_e32 v59, 0x7fffffff, v59
	v_not_b32_e32 v58, v58
	s_delay_alu instid0(VALU_DEP_3) | instskip(NEXT) | instid1(VALU_DEP_1)
	v_and_b32_e32 v66, s56, v66
	v_lshlrev_b32_e32 v66, 2, v66
	ds_load_b32 v66, v66
	s_wait_dscnt 0x0
	v_add_nc_u32_e32 v66, v66, v104
	global_store_b64 v66, v[58:59], s[38:39] scale_offset
	s_wait_xcnt 0x0
	s_or_b32 exec_lo, exec_lo, s22
	v_cmp_lt_u32_e64 s22, v105, v165
	s_and_saveexec_b32 s23, s22
	s_cbranch_execz .LBB730_191
.LBB730_259:                            ;   in Loop: Header=BB730_104 Depth=2
	ds_load_b64 v[58:59], v123 offset:17408
	s_wait_dscnt 0x0
	v_lshrrev_b64 v[66:67], s48, v[58:59]
	v_xor_b32_e32 v59, 0x7fffffff, v59
	v_not_b32_e32 v58, v58
	s_delay_alu instid0(VALU_DEP_3) | instskip(NEXT) | instid1(VALU_DEP_1)
	v_and_b32_e32 v66, s56, v66
	v_lshlrev_b32_e32 v66, 2, v66
	ds_load_b32 v66, v66
	s_wait_dscnt 0x0
	v_add_nc_u32_e32 v66, v66, v105
	global_store_b64 v66, v[58:59], s[38:39] scale_offset
	s_wait_xcnt 0x0
	s_or_b32 exec_lo, exec_lo, s23
	v_cmp_lt_u32_e64 s23, v106, v165
	s_and_saveexec_b32 s24, s23
	s_cbranch_execz .LBB730_192
.LBB730_260:                            ;   in Loop: Header=BB730_104 Depth=2
	ds_load_b64 v[58:59], v123 offset:19456
	s_wait_dscnt 0x0
	v_lshrrev_b64 v[66:67], s48, v[58:59]
	v_xor_b32_e32 v59, 0x7fffffff, v59
	v_not_b32_e32 v58, v58
	s_delay_alu instid0(VALU_DEP_3) | instskip(NEXT) | instid1(VALU_DEP_1)
	v_and_b32_e32 v66, s56, v66
	v_lshlrev_b32_e32 v66, 2, v66
	ds_load_b32 v66, v66
	s_wait_dscnt 0x0
	v_add_nc_u32_e32 v66, v66, v106
	global_store_b64 v66, v[58:59], s[38:39] scale_offset
	s_wait_xcnt 0x0
	s_or_b32 exec_lo, exec_lo, s24
	v_cmp_lt_u32_e64 s24, v107, v165
	s_and_saveexec_b32 s25, s24
	s_cbranch_execz .LBB730_193
.LBB730_261:                            ;   in Loop: Header=BB730_104 Depth=2
	ds_load_b64 v[58:59], v123 offset:21504
	s_wait_dscnt 0x0
	v_lshrrev_b64 v[66:67], s48, v[58:59]
	v_xor_b32_e32 v59, 0x7fffffff, v59
	v_not_b32_e32 v58, v58
	s_delay_alu instid0(VALU_DEP_3) | instskip(NEXT) | instid1(VALU_DEP_1)
	v_and_b32_e32 v66, s56, v66
	v_lshlrev_b32_e32 v66, 2, v66
	ds_load_b32 v66, v66
	s_wait_dscnt 0x0
	v_add_nc_u32_e32 v66, v66, v107
	global_store_b64 v66, v[58:59], s[38:39] scale_offset
	s_wait_xcnt 0x0
	s_or_b32 exec_lo, exec_lo, s25
	v_cmp_lt_u32_e64 s25, v108, v165
	s_and_saveexec_b32 s26, s25
	s_cbranch_execz .LBB730_194
.LBB730_262:                            ;   in Loop: Header=BB730_104 Depth=2
	ds_load_b64 v[58:59], v123 offset:23552
	s_wait_dscnt 0x0
	v_lshrrev_b64 v[66:67], s48, v[58:59]
	v_xor_b32_e32 v59, 0x7fffffff, v59
	v_not_b32_e32 v58, v58
	s_delay_alu instid0(VALU_DEP_3) | instskip(NEXT) | instid1(VALU_DEP_1)
	v_and_b32_e32 v66, s56, v66
	v_lshlrev_b32_e32 v66, 2, v66
	ds_load_b32 v66, v66
	s_wait_dscnt 0x0
	v_add_nc_u32_e32 v66, v66, v108
	global_store_b64 v66, v[58:59], s[38:39] scale_offset
	s_wait_xcnt 0x0
	s_or_b32 exec_lo, exec_lo, s26
	v_cmp_lt_u32_e64 s26, v109, v165
	s_and_saveexec_b32 s27, s26
	s_cbranch_execz .LBB730_195
.LBB730_263:                            ;   in Loop: Header=BB730_104 Depth=2
	ds_load_b64 v[58:59], v123 offset:25600
	s_wait_dscnt 0x0
	v_lshrrev_b64 v[66:67], s48, v[58:59]
	v_xor_b32_e32 v59, 0x7fffffff, v59
	v_not_b32_e32 v58, v58
	s_delay_alu instid0(VALU_DEP_3) | instskip(NEXT) | instid1(VALU_DEP_1)
	v_and_b32_e32 v66, s56, v66
	v_lshlrev_b32_e32 v66, 2, v66
	ds_load_b32 v66, v66
	s_wait_dscnt 0x0
	v_add_nc_u32_e32 v66, v66, v109
	global_store_b64 v66, v[58:59], s[38:39] scale_offset
	s_wait_xcnt 0x0
	s_or_b32 exec_lo, exec_lo, s27
	v_cmp_lt_u32_e64 s27, v110, v165
	s_and_saveexec_b32 s28, s27
	s_cbranch_execz .LBB730_196
.LBB730_264:                            ;   in Loop: Header=BB730_104 Depth=2
	ds_load_b64 v[58:59], v123 offset:27648
	s_wait_dscnt 0x0
	v_lshrrev_b64 v[66:67], s48, v[58:59]
	v_xor_b32_e32 v59, 0x7fffffff, v59
	v_not_b32_e32 v58, v58
	s_delay_alu instid0(VALU_DEP_3) | instskip(NEXT) | instid1(VALU_DEP_1)
	v_and_b32_e32 v66, s56, v66
	v_lshlrev_b32_e32 v66, 2, v66
	ds_load_b32 v66, v66
	s_wait_dscnt 0x0
	v_add_nc_u32_e32 v66, v66, v110
	global_store_b64 v66, v[58:59], s[38:39] scale_offset
	s_wait_xcnt 0x0
	s_or_b32 exec_lo, exec_lo, s28
	v_cmp_lt_u32_e64 s28, v111, v165
	s_and_saveexec_b32 s29, s28
	s_cbranch_execz .LBB730_197
.LBB730_265:                            ;   in Loop: Header=BB730_104 Depth=2
	ds_load_b64 v[58:59], v123 offset:29696
	s_wait_dscnt 0x0
	v_lshrrev_b64 v[66:67], s48, v[58:59]
	v_xor_b32_e32 v59, 0x7fffffff, v59
	v_not_b32_e32 v58, v58
	s_delay_alu instid0(VALU_DEP_3) | instskip(NEXT) | instid1(VALU_DEP_1)
	v_and_b32_e32 v66, s56, v66
	v_lshlrev_b32_e32 v66, 2, v66
	ds_load_b32 v66, v66
	s_wait_dscnt 0x0
	v_add_nc_u32_e32 v66, v66, v111
	global_store_b64 v66, v[58:59], s[38:39] scale_offset
	s_wait_xcnt 0x0
	s_or_b32 exec_lo, exec_lo, s29
	v_cmp_lt_u32_e64 s29, v112, v165
	s_and_saveexec_b32 s59, s29
	s_cbranch_execnz .LBB730_198
	s_branch .LBB730_199
.LBB730_266:                            ;   in Loop: Header=BB730_104 Depth=2
	global_load_b64 v[56:57], v[58:59], off
	s_wait_xcnt 0x0
	s_or_b32 exec_lo, exec_lo, s30
	s_delay_alu instid0(SALU_CYCLE_1)
	s_mov_b32 s59, exec_lo
	v_cmpx_lt_u32_e64 v132, v165
	s_cbranch_execz .LBB730_201
.LBB730_267:                            ;   in Loop: Header=BB730_104 Depth=2
	global_load_b64 v[54:55], v[58:59], off offset:256
	s_wait_xcnt 0x0
	s_or_b32 exec_lo, exec_lo, s59
	s_delay_alu instid0(SALU_CYCLE_1)
	s_mov_b32 s59, exec_lo
	v_cmpx_lt_u32_e64 v133, v165
	s_cbranch_execz .LBB730_202
.LBB730_268:                            ;   in Loop: Header=BB730_104 Depth=2
	global_load_b64 v[52:53], v[58:59], off offset:512
	s_wait_xcnt 0x0
	s_or_b32 exec_lo, exec_lo, s59
	s_delay_alu instid0(SALU_CYCLE_1)
	s_mov_b32 s59, exec_lo
	v_cmpx_lt_u32_e64 v134, v165
	s_cbranch_execz .LBB730_203
.LBB730_269:                            ;   in Loop: Header=BB730_104 Depth=2
	global_load_b64 v[50:51], v[58:59], off offset:768
	s_wait_xcnt 0x0
	s_or_b32 exec_lo, exec_lo, s59
	s_delay_alu instid0(SALU_CYCLE_1)
	s_mov_b32 s59, exec_lo
	v_cmpx_lt_u32_e64 v135, v165
	s_cbranch_execz .LBB730_204
.LBB730_270:                            ;   in Loop: Header=BB730_104 Depth=2
	global_load_b64 v[48:49], v[58:59], off offset:1024
	s_wait_xcnt 0x0
	s_or_b32 exec_lo, exec_lo, s59
	s_delay_alu instid0(SALU_CYCLE_1)
	s_mov_b32 s59, exec_lo
	v_cmpx_lt_u32_e64 v136, v165
	s_cbranch_execz .LBB730_205
.LBB730_271:                            ;   in Loop: Header=BB730_104 Depth=2
	global_load_b64 v[46:47], v[58:59], off offset:1280
	s_wait_xcnt 0x0
	s_or_b32 exec_lo, exec_lo, s59
	s_delay_alu instid0(SALU_CYCLE_1)
	s_mov_b32 s59, exec_lo
	v_cmpx_lt_u32_e64 v137, v165
	s_cbranch_execz .LBB730_206
.LBB730_272:                            ;   in Loop: Header=BB730_104 Depth=2
	global_load_b64 v[44:45], v[58:59], off offset:1536
	s_wait_xcnt 0x0
	s_or_b32 exec_lo, exec_lo, s59
	s_delay_alu instid0(SALU_CYCLE_1)
	s_mov_b32 s59, exec_lo
	v_cmpx_lt_u32_e64 v138, v165
	s_cbranch_execz .LBB730_207
.LBB730_273:                            ;   in Loop: Header=BB730_104 Depth=2
	global_load_b64 v[42:43], v[58:59], off offset:1792
	s_wait_xcnt 0x0
	s_or_b32 exec_lo, exec_lo, s59
	s_delay_alu instid0(SALU_CYCLE_1)
	s_mov_b32 s59, exec_lo
	v_cmpx_lt_u32_e64 v139, v165
	s_cbranch_execz .LBB730_208
.LBB730_274:                            ;   in Loop: Header=BB730_104 Depth=2
	global_load_b64 v[40:41], v[58:59], off offset:2048
	s_wait_xcnt 0x0
	s_or_b32 exec_lo, exec_lo, s59
	s_delay_alu instid0(SALU_CYCLE_1)
	s_mov_b32 s59, exec_lo
	v_cmpx_lt_u32_e64 v140, v165
	s_cbranch_execz .LBB730_209
.LBB730_275:                            ;   in Loop: Header=BB730_104 Depth=2
	global_load_b64 v[38:39], v[58:59], off offset:2304
	s_wait_xcnt 0x0
	s_or_b32 exec_lo, exec_lo, s59
	s_delay_alu instid0(SALU_CYCLE_1)
	s_mov_b32 s59, exec_lo
	v_cmpx_lt_u32_e64 v141, v165
	s_cbranch_execz .LBB730_210
.LBB730_276:                            ;   in Loop: Header=BB730_104 Depth=2
	global_load_b64 v[36:37], v[58:59], off offset:2560
	s_wait_xcnt 0x0
	s_or_b32 exec_lo, exec_lo, s59
	s_delay_alu instid0(SALU_CYCLE_1)
	s_mov_b32 s59, exec_lo
	v_cmpx_lt_u32_e64 v142, v165
	s_cbranch_execz .LBB730_211
.LBB730_277:                            ;   in Loop: Header=BB730_104 Depth=2
	global_load_b64 v[34:35], v[58:59], off offset:2816
	s_wait_xcnt 0x0
	s_or_b32 exec_lo, exec_lo, s59
	s_delay_alu instid0(SALU_CYCLE_1)
	s_mov_b32 s59, exec_lo
	v_cmpx_lt_u32_e64 v143, v165
	s_cbranch_execz .LBB730_212
.LBB730_278:                            ;   in Loop: Header=BB730_104 Depth=2
	global_load_b64 v[32:33], v[58:59], off offset:3072
	s_wait_xcnt 0x0
	s_or_b32 exec_lo, exec_lo, s59
	s_delay_alu instid0(SALU_CYCLE_1)
	s_mov_b32 s59, exec_lo
	v_cmpx_lt_u32_e64 v144, v165
	s_cbranch_execz .LBB730_213
.LBB730_279:                            ;   in Loop: Header=BB730_104 Depth=2
	global_load_b64 v[30:31], v[58:59], off offset:3328
	s_wait_xcnt 0x0
	s_or_b32 exec_lo, exec_lo, s59
	s_delay_alu instid0(SALU_CYCLE_1)
	s_mov_b32 s59, exec_lo
	v_cmpx_lt_u32_e64 v145, v165
	s_cbranch_execz .LBB730_214
.LBB730_280:                            ;   in Loop: Header=BB730_104 Depth=2
	global_load_b64 v[28:29], v[58:59], off offset:3584
	s_wait_xcnt 0x0
	s_or_b32 exec_lo, exec_lo, s59
	s_delay_alu instid0(SALU_CYCLE_1)
	s_mov_b32 s59, exec_lo
	v_cmpx_lt_u32_e64 v146, v165
	s_cbranch_execz .LBB730_215
.LBB730_281:                            ;   in Loop: Header=BB730_104 Depth=2
	global_load_b64 v[26:27], v[58:59], off offset:3840
	s_wait_xcnt 0x0
	s_or_b32 exec_lo, exec_lo, s59
	s_and_saveexec_b32 s30, vcc_lo
	s_cbranch_execz .LBB730_216
.LBB730_282:                            ;   in Loop: Header=BB730_104 Depth=2
	ds_load_b64 v[58:59], v123 offset:1024
	s_wait_dscnt 0x0
	v_lshrrev_b64 v[58:59], s48, v[58:59]
	s_delay_alu instid0(VALU_DEP_1)
	v_and_b32_e32 v164, s56, v58
	s_or_b32 exec_lo, exec_lo, s30
	s_and_saveexec_b32 s30, s15
	s_cbranch_execz .LBB730_217
.LBB730_283:                            ;   in Loop: Header=BB730_104 Depth=2
	ds_load_b64 v[58:59], v123 offset:3072
	s_wait_dscnt 0x0
	v_lshrrev_b64 v[58:59], s48, v[58:59]
	s_delay_alu instid0(VALU_DEP_1)
	v_and_b32_e32 v163, s56, v58
	s_or_b32 exec_lo, exec_lo, s30
	s_and_saveexec_b32 s30, s16
	s_cbranch_execz .LBB730_218
.LBB730_284:                            ;   in Loop: Header=BB730_104 Depth=2
	ds_load_b64 v[58:59], v123 offset:5120
	s_wait_dscnt 0x0
	v_lshrrev_b64 v[58:59], s48, v[58:59]
	s_delay_alu instid0(VALU_DEP_1)
	v_and_b32_e32 v162, s56, v58
	s_or_b32 exec_lo, exec_lo, s30
	s_and_saveexec_b32 s30, s17
	s_cbranch_execz .LBB730_219
.LBB730_285:                            ;   in Loop: Header=BB730_104 Depth=2
	ds_load_b64 v[58:59], v123 offset:7168
	s_wait_dscnt 0x0
	v_lshrrev_b64 v[58:59], s48, v[58:59]
	s_delay_alu instid0(VALU_DEP_1)
	v_and_b32_e32 v161, s56, v58
	s_or_b32 exec_lo, exec_lo, s30
	s_and_saveexec_b32 s30, s18
	s_cbranch_execz .LBB730_220
.LBB730_286:                            ;   in Loop: Header=BB730_104 Depth=2
	ds_load_b64 v[58:59], v123 offset:9216
	s_wait_dscnt 0x0
	v_lshrrev_b64 v[58:59], s48, v[58:59]
	s_delay_alu instid0(VALU_DEP_1)
	v_and_b32_e32 v160, s56, v58
	s_or_b32 exec_lo, exec_lo, s30
	s_and_saveexec_b32 s30, s19
	s_cbranch_execz .LBB730_221
.LBB730_287:                            ;   in Loop: Header=BB730_104 Depth=2
	ds_load_b64 v[58:59], v123 offset:11264
	s_wait_dscnt 0x0
	v_lshrrev_b64 v[58:59], s48, v[58:59]
	s_delay_alu instid0(VALU_DEP_1)
	v_and_b32_e32 v159, s56, v58
	s_or_b32 exec_lo, exec_lo, s30
	s_and_saveexec_b32 s30, s20
	s_cbranch_execz .LBB730_222
.LBB730_288:                            ;   in Loop: Header=BB730_104 Depth=2
	ds_load_b64 v[58:59], v123 offset:13312
	s_wait_dscnt 0x0
	v_lshrrev_b64 v[58:59], s48, v[58:59]
	s_delay_alu instid0(VALU_DEP_1)
	v_and_b32_e32 v158, s56, v58
	s_or_b32 exec_lo, exec_lo, s30
	s_and_saveexec_b32 s30, s21
	s_cbranch_execz .LBB730_223
.LBB730_289:                            ;   in Loop: Header=BB730_104 Depth=2
	ds_load_b64 v[58:59], v123 offset:15360
	s_wait_dscnt 0x0
	v_lshrrev_b64 v[58:59], s48, v[58:59]
	s_delay_alu instid0(VALU_DEP_1)
	v_and_b32_e32 v157, s56, v58
	s_or_b32 exec_lo, exec_lo, s30
	s_and_saveexec_b32 s30, s22
	s_cbranch_execz .LBB730_224
.LBB730_290:                            ;   in Loop: Header=BB730_104 Depth=2
	ds_load_b64 v[58:59], v123 offset:17408
	s_wait_dscnt 0x0
	v_lshrrev_b64 v[58:59], s48, v[58:59]
	s_delay_alu instid0(VALU_DEP_1)
	v_and_b32_e32 v156, s56, v58
	s_or_b32 exec_lo, exec_lo, s30
	s_and_saveexec_b32 s30, s23
	s_cbranch_execz .LBB730_225
.LBB730_291:                            ;   in Loop: Header=BB730_104 Depth=2
	ds_load_b64 v[58:59], v123 offset:19456
	s_wait_dscnt 0x0
	v_lshrrev_b64 v[58:59], s48, v[58:59]
	s_delay_alu instid0(VALU_DEP_1)
	v_and_b32_e32 v155, s56, v58
	s_or_b32 exec_lo, exec_lo, s30
	s_and_saveexec_b32 s30, s24
	s_cbranch_execz .LBB730_226
.LBB730_292:                            ;   in Loop: Header=BB730_104 Depth=2
	ds_load_b64 v[58:59], v123 offset:21504
	s_wait_dscnt 0x0
	v_lshrrev_b64 v[58:59], s48, v[58:59]
	s_delay_alu instid0(VALU_DEP_1)
	v_and_b32_e32 v154, s56, v58
	s_or_b32 exec_lo, exec_lo, s30
	s_and_saveexec_b32 s30, s25
	s_cbranch_execz .LBB730_227
.LBB730_293:                            ;   in Loop: Header=BB730_104 Depth=2
	ds_load_b64 v[58:59], v123 offset:23552
	s_wait_dscnt 0x0
	v_lshrrev_b64 v[58:59], s48, v[58:59]
	s_delay_alu instid0(VALU_DEP_1)
	v_and_b32_e32 v153, s56, v58
	s_or_b32 exec_lo, exec_lo, s30
	s_and_saveexec_b32 s30, s26
	s_cbranch_execz .LBB730_228
.LBB730_294:                            ;   in Loop: Header=BB730_104 Depth=2
	ds_load_b64 v[58:59], v123 offset:25600
	s_wait_dscnt 0x0
	v_lshrrev_b64 v[58:59], s48, v[58:59]
	s_delay_alu instid0(VALU_DEP_1)
	v_and_b32_e32 v152, s56, v58
	s_or_b32 exec_lo, exec_lo, s30
	s_and_saveexec_b32 s30, s27
	s_cbranch_execz .LBB730_229
.LBB730_295:                            ;   in Loop: Header=BB730_104 Depth=2
	ds_load_b64 v[58:59], v123 offset:27648
	s_wait_dscnt 0x0
	v_lshrrev_b64 v[58:59], s48, v[58:59]
	s_delay_alu instid0(VALU_DEP_1)
	v_and_b32_e32 v151, s56, v58
	s_or_b32 exec_lo, exec_lo, s30
	s_and_saveexec_b32 s30, s28
	s_cbranch_execz .LBB730_230
.LBB730_296:                            ;   in Loop: Header=BB730_104 Depth=2
	ds_load_b64 v[58:59], v123 offset:29696
	s_wait_dscnt 0x0
	v_lshrrev_b64 v[58:59], s48, v[58:59]
	s_delay_alu instid0(VALU_DEP_1)
	v_and_b32_e32 v150, s56, v58
	s_or_b32 exec_lo, exec_lo, s30
	s_and_saveexec_b32 s30, s29
	s_cbranch_execnz .LBB730_231
	s_branch .LBB730_232
.LBB730_297:                            ;   in Loop: Header=BB730_104 Depth=2
	v_lshlrev_b32_e32 v58, 2, v164
	ds_load_b32 v60, v58
	ds_load_b64 v[58:59], v123 offset:1024
	s_wait_dscnt 0x1
	v_add_nc_u32_e32 v60, v60, v2
	s_wait_dscnt 0x0
	global_store_b64 v60, v[58:59], s[44:45] scale_offset
	s_wait_xcnt 0x0
	s_or_b32 exec_lo, exec_lo, s30
	s_and_saveexec_b32 s30, s15
	s_cbranch_execz .LBB730_234
.LBB730_298:                            ;   in Loop: Header=BB730_104 Depth=2
	v_lshlrev_b32_e32 v58, 2, v163
	ds_load_b32 v60, v58
	ds_load_b64 v[58:59], v123 offset:3072
	s_wait_dscnt 0x1
	v_add_nc_u32_e32 v60, v60, v98
	s_wait_dscnt 0x0
	global_store_b64 v60, v[58:59], s[44:45] scale_offset
	s_wait_xcnt 0x0
	s_or_b32 exec_lo, exec_lo, s30
	s_and_saveexec_b32 s15, s16
	s_cbranch_execz .LBB730_235
.LBB730_299:                            ;   in Loop: Header=BB730_104 Depth=2
	v_lshlrev_b32_e32 v58, 2, v162
	ds_load_b32 v60, v58
	ds_load_b64 v[58:59], v123 offset:5120
	s_wait_dscnt 0x1
	v_add_nc_u32_e32 v60, v60, v99
	s_wait_dscnt 0x0
	global_store_b64 v60, v[58:59], s[44:45] scale_offset
	s_wait_xcnt 0x0
	s_or_b32 exec_lo, exec_lo, s15
	s_and_saveexec_b32 s15, s17
	s_cbranch_execz .LBB730_236
.LBB730_300:                            ;   in Loop: Header=BB730_104 Depth=2
	v_lshlrev_b32_e32 v58, 2, v161
	ds_load_b32 v60, v58
	ds_load_b64 v[58:59], v123 offset:7168
	s_wait_dscnt 0x1
	v_add_nc_u32_e32 v60, v60, v100
	s_wait_dscnt 0x0
	global_store_b64 v60, v[58:59], s[44:45] scale_offset
	s_wait_xcnt 0x0
	s_or_b32 exec_lo, exec_lo, s15
	s_and_saveexec_b32 s15, s18
	s_cbranch_execz .LBB730_237
.LBB730_301:                            ;   in Loop: Header=BB730_104 Depth=2
	v_lshlrev_b32_e32 v58, 2, v160
	ds_load_b32 v60, v58
	ds_load_b64 v[58:59], v123 offset:9216
	s_wait_dscnt 0x1
	v_add_nc_u32_e32 v60, v60, v101
	s_wait_dscnt 0x0
	global_store_b64 v60, v[58:59], s[44:45] scale_offset
	s_wait_xcnt 0x0
	s_or_b32 exec_lo, exec_lo, s15
	s_and_saveexec_b32 s15, s19
	s_cbranch_execz .LBB730_238
.LBB730_302:                            ;   in Loop: Header=BB730_104 Depth=2
	v_lshlrev_b32_e32 v58, 2, v159
	ds_load_b32 v60, v58
	ds_load_b64 v[58:59], v123 offset:11264
	s_wait_dscnt 0x1
	v_add_nc_u32_e32 v60, v60, v102
	s_wait_dscnt 0x0
	global_store_b64 v60, v[58:59], s[44:45] scale_offset
	s_wait_xcnt 0x0
	s_or_b32 exec_lo, exec_lo, s15
	s_and_saveexec_b32 s15, s20
	s_cbranch_execz .LBB730_239
.LBB730_303:                            ;   in Loop: Header=BB730_104 Depth=2
	v_lshlrev_b32_e32 v58, 2, v158
	ds_load_b32 v60, v58
	ds_load_b64 v[58:59], v123 offset:13312
	s_wait_dscnt 0x1
	v_add_nc_u32_e32 v60, v60, v103
	s_wait_dscnt 0x0
	global_store_b64 v60, v[58:59], s[44:45] scale_offset
	s_wait_xcnt 0x0
	s_or_b32 exec_lo, exec_lo, s15
	s_and_saveexec_b32 s15, s21
	s_cbranch_execz .LBB730_240
.LBB730_304:                            ;   in Loop: Header=BB730_104 Depth=2
	v_lshlrev_b32_e32 v58, 2, v157
	ds_load_b32 v60, v58
	ds_load_b64 v[58:59], v123 offset:15360
	s_wait_dscnt 0x1
	v_add_nc_u32_e32 v60, v60, v104
	s_wait_dscnt 0x0
	global_store_b64 v60, v[58:59], s[44:45] scale_offset
	s_wait_xcnt 0x0
	s_or_b32 exec_lo, exec_lo, s15
	s_and_saveexec_b32 s15, s22
	s_cbranch_execz .LBB730_241
.LBB730_305:                            ;   in Loop: Header=BB730_104 Depth=2
	v_lshlrev_b32_e32 v58, 2, v156
	ds_load_b32 v60, v58
	ds_load_b64 v[58:59], v123 offset:17408
	s_wait_dscnt 0x1
	v_add_nc_u32_e32 v60, v60, v105
	s_wait_dscnt 0x0
	global_store_b64 v60, v[58:59], s[44:45] scale_offset
	s_wait_xcnt 0x0
	s_or_b32 exec_lo, exec_lo, s15
	s_and_saveexec_b32 s15, s23
	s_cbranch_execz .LBB730_242
.LBB730_306:                            ;   in Loop: Header=BB730_104 Depth=2
	v_lshlrev_b32_e32 v58, 2, v155
	ds_load_b32 v60, v58
	ds_load_b64 v[58:59], v123 offset:19456
	s_wait_dscnt 0x1
	v_add_nc_u32_e32 v60, v60, v106
	s_wait_dscnt 0x0
	global_store_b64 v60, v[58:59], s[44:45] scale_offset
	s_wait_xcnt 0x0
	s_or_b32 exec_lo, exec_lo, s15
	s_and_saveexec_b32 s15, s24
	s_cbranch_execz .LBB730_243
.LBB730_307:                            ;   in Loop: Header=BB730_104 Depth=2
	v_lshlrev_b32_e32 v58, 2, v154
	ds_load_b32 v60, v58
	ds_load_b64 v[58:59], v123 offset:21504
	s_wait_dscnt 0x1
	v_add_nc_u32_e32 v60, v60, v107
	s_wait_dscnt 0x0
	global_store_b64 v60, v[58:59], s[44:45] scale_offset
	s_wait_xcnt 0x0
	s_or_b32 exec_lo, exec_lo, s15
	s_and_saveexec_b32 s15, s25
	s_cbranch_execz .LBB730_244
.LBB730_308:                            ;   in Loop: Header=BB730_104 Depth=2
	v_lshlrev_b32_e32 v58, 2, v153
	ds_load_b32 v60, v58
	ds_load_b64 v[58:59], v123 offset:23552
	s_wait_dscnt 0x1
	v_add_nc_u32_e32 v60, v60, v108
	s_wait_dscnt 0x0
	global_store_b64 v60, v[58:59], s[44:45] scale_offset
	s_wait_xcnt 0x0
	s_or_b32 exec_lo, exec_lo, s15
	s_and_saveexec_b32 s15, s26
	s_cbranch_execz .LBB730_245
.LBB730_309:                            ;   in Loop: Header=BB730_104 Depth=2
	v_lshlrev_b32_e32 v58, 2, v152
	ds_load_b32 v60, v58
	ds_load_b64 v[58:59], v123 offset:25600
	s_wait_dscnt 0x1
	v_add_nc_u32_e32 v60, v60, v109
	s_wait_dscnt 0x0
	global_store_b64 v60, v[58:59], s[44:45] scale_offset
	s_wait_xcnt 0x0
	s_or_b32 exec_lo, exec_lo, s15
	s_and_saveexec_b32 s15, s27
	s_cbranch_execz .LBB730_246
.LBB730_310:                            ;   in Loop: Header=BB730_104 Depth=2
	v_lshlrev_b32_e32 v58, 2, v151
	ds_load_b32 v60, v58
	ds_load_b64 v[58:59], v123 offset:27648
	s_wait_dscnt 0x1
	v_add_nc_u32_e32 v60, v60, v110
	s_wait_dscnt 0x0
	global_store_b64 v60, v[58:59], s[44:45] scale_offset
	s_wait_xcnt 0x0
	s_or_b32 exec_lo, exec_lo, s15
	s_and_saveexec_b32 s15, s28
	s_cbranch_execz .LBB730_247
.LBB730_311:                            ;   in Loop: Header=BB730_104 Depth=2
	v_lshlrev_b32_e32 v58, 2, v150
	ds_load_b32 v60, v58
	ds_load_b64 v[58:59], v123 offset:29696
	s_wait_dscnt 0x1
	v_add_nc_u32_e32 v60, v60, v111
	s_wait_dscnt 0x0
	global_store_b64 v60, v[58:59], s[44:45] scale_offset
	s_wait_xcnt 0x0
	s_or_b32 exec_lo, exec_lo, s15
	s_and_saveexec_b32 s15, s29
	s_cbranch_execnz .LBB730_248
	s_branch .LBB730_249
.LBB730_312:                            ;   in Loop: Header=BB730_20 Depth=1
	s_wait_dscnt 0x0
	s_barrier_signal -1
	s_mov_b32 s7, 0
	s_barrier_wait -1
.LBB730_313:                            ;   in Loop: Header=BB730_20 Depth=1
	s_and_b32 vcc_lo, exec_lo, s7
	s_cbranch_vccz .LBB730_605
; %bb.314:                              ;   in Loop: Header=BB730_20 Depth=1
	s_mov_b32 s7, s54
	s_mov_b32 s30, s52
	s_barrier_signal -1
	s_barrier_wait -1
                                        ; implicit-def: $vgpr22_vgpr23
                                        ; implicit-def: $vgpr24_vgpr25
                                        ; implicit-def: $vgpr26_vgpr27
                                        ; implicit-def: $vgpr28_vgpr29
                                        ; implicit-def: $vgpr30_vgpr31
                                        ; implicit-def: $vgpr32_vgpr33
                                        ; implicit-def: $vgpr34_vgpr35
                                        ; implicit-def: $vgpr36_vgpr37
                                        ; implicit-def: $vgpr38_vgpr39
                                        ; implicit-def: $vgpr40_vgpr41
                                        ; implicit-def: $vgpr42_vgpr43
                                        ; implicit-def: $vgpr44_vgpr45
                                        ; implicit-def: $vgpr46_vgpr47
                                        ; implicit-def: $vgpr48_vgpr49
                                        ; implicit-def: $vgpr50_vgpr51
                                        ; implicit-def: $vgpr52_vgpr53
	s_branch .LBB730_316
.LBB730_315:                            ;   in Loop: Header=BB730_316 Depth=2
	s_or_b32 exec_lo, exec_lo, s8
	s_addk_co_i32 s7, 0xf000
	s_cmp_ge_u32 s10, s51
	s_mov_b32 s30, s10
	s_cbranch_scc1 .LBB730_384
.LBB730_316:                            ;   Parent Loop BB730_20 Depth=1
                                        ; =>  This Inner Loop Header: Depth=2
	s_add_co_i32 s10, s30, 0x1000
	s_mov_b32 s8, -1
	s_cmp_gt_u32 s10, s51
                                        ; implicit-def: $vgpr54_vgpr55
                                        ; implicit-def: $vgpr56_vgpr57
                                        ; implicit-def: $vgpr58_vgpr59
                                        ; implicit-def: $vgpr60_vgpr61
                                        ; implicit-def: $vgpr62_vgpr63
                                        ; implicit-def: $vgpr64_vgpr65
                                        ; implicit-def: $vgpr66_vgpr67
                                        ; implicit-def: $vgpr68_vgpr69
                                        ; implicit-def: $vgpr70_vgpr71
                                        ; implicit-def: $vgpr72_vgpr73
                                        ; implicit-def: $vgpr74_vgpr75
                                        ; implicit-def: $vgpr76_vgpr77
                                        ; implicit-def: $vgpr78_vgpr79
                                        ; implicit-def: $vgpr80_vgpr81
                                        ; implicit-def: $vgpr82_vgpr83
                                        ; implicit-def: $vgpr84_vgpr85
	s_cbranch_scc1 .LBB730_318
; %bb.317:                              ;   in Loop: Header=BB730_316 Depth=2
	v_lshl_add_u64 v[84:85], s[30:31], 3, v[10:11]
	s_mov_b32 s8, 0
	s_clause 0xf
	global_load_b64 v[54:55], v[84:85], off
	global_load_b64 v[56:57], v[84:85], off offset:2048
	global_load_b64 v[58:59], v[84:85], off offset:4096
	;; [unrolled: 1-line block ×15, first 2 shown]
.LBB730_318:                            ;   in Loop: Header=BB730_316 Depth=2
	s_and_not1_b32 vcc_lo, exec_lo, s8
	s_movk_i32 s8, 0x1000
	s_cbranch_vccnz .LBB730_337
; %bb.319:                              ;   in Loop: Header=BB730_316 Depth=2
	s_lshl_b64 s[8:9], s[30:31], 3
	s_mov_b32 s11, exec_lo
	s_add_nc_u64 s[8:9], s[38:39], s[8:9]
	s_wait_xcnt 0x0
	v_cmpx_gt_u32_e64 s7, v2
	s_cbranch_execnz .LBB730_369
; %bb.320:                              ;   in Loop: Header=BB730_316 Depth=2
	s_or_b32 exec_lo, exec_lo, s11
	s_delay_alu instid0(SALU_CYCLE_1)
	s_mov_b32 s11, exec_lo
	v_cmpx_gt_u32_e64 s7, v98
	s_cbranch_execnz .LBB730_370
.LBB730_321:                            ;   in Loop: Header=BB730_316 Depth=2
	s_or_b32 exec_lo, exec_lo, s11
	s_delay_alu instid0(SALU_CYCLE_1)
	s_mov_b32 s11, exec_lo
	v_cmpx_gt_u32_e64 s7, v99
	s_cbranch_execnz .LBB730_371
.LBB730_322:                            ;   in Loop: Header=BB730_316 Depth=2
	s_or_b32 exec_lo, exec_lo, s11
	s_delay_alu instid0(SALU_CYCLE_1)
	s_mov_b32 s11, exec_lo
	v_cmpx_gt_u32_e64 s7, v100
	s_cbranch_execnz .LBB730_372
.LBB730_323:                            ;   in Loop: Header=BB730_316 Depth=2
	s_or_b32 exec_lo, exec_lo, s11
	s_delay_alu instid0(SALU_CYCLE_1)
	s_mov_b32 s11, exec_lo
	v_cmpx_gt_u32_e64 s7, v101
	s_cbranch_execnz .LBB730_373
.LBB730_324:                            ;   in Loop: Header=BB730_316 Depth=2
	s_or_b32 exec_lo, exec_lo, s11
	s_delay_alu instid0(SALU_CYCLE_1)
	s_mov_b32 s11, exec_lo
	v_cmpx_gt_u32_e64 s7, v102
	s_cbranch_execnz .LBB730_374
.LBB730_325:                            ;   in Loop: Header=BB730_316 Depth=2
	s_or_b32 exec_lo, exec_lo, s11
	s_delay_alu instid0(SALU_CYCLE_1)
	s_mov_b32 s11, exec_lo
	v_cmpx_gt_u32_e64 s7, v103
	s_cbranch_execnz .LBB730_375
.LBB730_326:                            ;   in Loop: Header=BB730_316 Depth=2
	s_or_b32 exec_lo, exec_lo, s11
	s_delay_alu instid0(SALU_CYCLE_1)
	s_mov_b32 s11, exec_lo
	v_cmpx_gt_u32_e64 s7, v104
	s_cbranch_execnz .LBB730_376
.LBB730_327:                            ;   in Loop: Header=BB730_316 Depth=2
	s_or_b32 exec_lo, exec_lo, s11
	s_delay_alu instid0(SALU_CYCLE_1)
	s_mov_b32 s11, exec_lo
	v_cmpx_gt_u32_e64 s7, v105
	s_cbranch_execnz .LBB730_377
.LBB730_328:                            ;   in Loop: Header=BB730_316 Depth=2
	s_or_b32 exec_lo, exec_lo, s11
	s_delay_alu instid0(SALU_CYCLE_1)
	s_mov_b32 s11, exec_lo
	v_cmpx_gt_u32_e64 s7, v106
	s_cbranch_execnz .LBB730_378
.LBB730_329:                            ;   in Loop: Header=BB730_316 Depth=2
	s_or_b32 exec_lo, exec_lo, s11
	s_delay_alu instid0(SALU_CYCLE_1)
	s_mov_b32 s11, exec_lo
	v_cmpx_gt_u32_e64 s7, v107
	s_cbranch_execnz .LBB730_379
.LBB730_330:                            ;   in Loop: Header=BB730_316 Depth=2
	s_or_b32 exec_lo, exec_lo, s11
	s_delay_alu instid0(SALU_CYCLE_1)
	s_mov_b32 s11, exec_lo
	v_cmpx_gt_u32_e64 s7, v108
	s_cbranch_execnz .LBB730_380
.LBB730_331:                            ;   in Loop: Header=BB730_316 Depth=2
	s_or_b32 exec_lo, exec_lo, s11
	s_delay_alu instid0(SALU_CYCLE_1)
	s_mov_b32 s11, exec_lo
	v_cmpx_gt_u32_e64 s7, v109
	s_cbranch_execnz .LBB730_381
.LBB730_332:                            ;   in Loop: Header=BB730_316 Depth=2
	s_or_b32 exec_lo, exec_lo, s11
	s_delay_alu instid0(SALU_CYCLE_1)
	s_mov_b32 s11, exec_lo
	v_cmpx_gt_u32_e64 s7, v110
	s_cbranch_execnz .LBB730_382
.LBB730_333:                            ;   in Loop: Header=BB730_316 Depth=2
	s_or_b32 exec_lo, exec_lo, s11
	s_delay_alu instid0(SALU_CYCLE_1)
	s_mov_b32 s11, exec_lo
	v_cmpx_gt_u32_e64 s7, v111
	s_cbranch_execnz .LBB730_383
.LBB730_334:                            ;   in Loop: Header=BB730_316 Depth=2
	s_or_b32 exec_lo, exec_lo, s11
	s_delay_alu instid0(SALU_CYCLE_1)
	s_mov_b32 s11, exec_lo
	v_cmpx_gt_u32_e64 s7, v112
	s_cbranch_execz .LBB730_336
.LBB730_335:                            ;   in Loop: Header=BB730_316 Depth=2
	global_load_b64 v[22:23], v2, s[8:9] offset:30720 scale_offset
.LBB730_336:                            ;   in Loop: Header=BB730_316 Depth=2
	s_wait_xcnt 0x0
	s_or_b32 exec_lo, exec_lo, s11
	s_wait_loadcnt 0x0
	v_mov_b64_e32 v[54:55], v[52:53]
	v_mov_b64_e32 v[56:57], v[50:51]
	;; [unrolled: 1-line block ×16, first 2 shown]
	s_mov_b32 s8, s7
.LBB730_337:                            ;   in Loop: Header=BB730_316 Depth=2
	s_wait_loadcnt 0x0
	s_delay_alu instid0(VALU_DEP_1) | instskip(NEXT) | instid1(VALU_DEP_3)
	v_mov_b64_e32 v[22:23], v[84:85]
	v_mov_b64_e32 v[24:25], v[82:83]
	;; [unrolled: 1-line block ×16, first 2 shown]
	s_mov_b32 s9, exec_lo
	s_wait_xcnt 0x0
	v_cmpx_gt_u32_e64 s8, v2
	s_cbranch_execnz .LBB730_353
; %bb.338:                              ;   in Loop: Header=BB730_316 Depth=2
	s_or_b32 exec_lo, exec_lo, s9
	s_delay_alu instid0(SALU_CYCLE_1)
	s_mov_b32 s9, exec_lo
	v_cmpx_gt_u32_e64 s8, v98
	s_cbranch_execnz .LBB730_354
.LBB730_339:                            ;   in Loop: Header=BB730_316 Depth=2
	s_or_b32 exec_lo, exec_lo, s9
	s_delay_alu instid0(SALU_CYCLE_1)
	s_mov_b32 s9, exec_lo
	v_cmpx_gt_u32_e64 s8, v99
	s_cbranch_execnz .LBB730_355
.LBB730_340:                            ;   in Loop: Header=BB730_316 Depth=2
	s_or_b32 exec_lo, exec_lo, s9
	s_delay_alu instid0(SALU_CYCLE_1)
	s_mov_b32 s9, exec_lo
	v_cmpx_gt_u32_e64 s8, v100
	s_cbranch_execnz .LBB730_356
.LBB730_341:                            ;   in Loop: Header=BB730_316 Depth=2
	s_or_b32 exec_lo, exec_lo, s9
	s_delay_alu instid0(SALU_CYCLE_1)
	s_mov_b32 s9, exec_lo
	v_cmpx_gt_u32_e64 s8, v101
	s_cbranch_execnz .LBB730_357
.LBB730_342:                            ;   in Loop: Header=BB730_316 Depth=2
	s_or_b32 exec_lo, exec_lo, s9
	s_delay_alu instid0(SALU_CYCLE_1)
	s_mov_b32 s9, exec_lo
	v_cmpx_gt_u32_e64 s8, v102
	s_cbranch_execnz .LBB730_358
.LBB730_343:                            ;   in Loop: Header=BB730_316 Depth=2
	s_or_b32 exec_lo, exec_lo, s9
	s_delay_alu instid0(SALU_CYCLE_1)
	s_mov_b32 s9, exec_lo
	v_cmpx_gt_u32_e64 s8, v103
	s_cbranch_execnz .LBB730_359
.LBB730_344:                            ;   in Loop: Header=BB730_316 Depth=2
	s_or_b32 exec_lo, exec_lo, s9
	s_delay_alu instid0(SALU_CYCLE_1)
	s_mov_b32 s9, exec_lo
	v_cmpx_gt_u32_e64 s8, v104
	s_cbranch_execnz .LBB730_360
.LBB730_345:                            ;   in Loop: Header=BB730_316 Depth=2
	s_or_b32 exec_lo, exec_lo, s9
	s_delay_alu instid0(SALU_CYCLE_1)
	s_mov_b32 s9, exec_lo
	v_cmpx_gt_u32_e64 s8, v105
	s_cbranch_execnz .LBB730_361
.LBB730_346:                            ;   in Loop: Header=BB730_316 Depth=2
	s_or_b32 exec_lo, exec_lo, s9
	s_delay_alu instid0(SALU_CYCLE_1)
	s_mov_b32 s9, exec_lo
	v_cmpx_gt_u32_e64 s8, v106
	s_cbranch_execnz .LBB730_362
.LBB730_347:                            ;   in Loop: Header=BB730_316 Depth=2
	s_or_b32 exec_lo, exec_lo, s9
	s_delay_alu instid0(SALU_CYCLE_1)
	s_mov_b32 s9, exec_lo
	v_cmpx_gt_u32_e64 s8, v107
	s_cbranch_execnz .LBB730_363
.LBB730_348:                            ;   in Loop: Header=BB730_316 Depth=2
	s_or_b32 exec_lo, exec_lo, s9
	s_delay_alu instid0(SALU_CYCLE_1)
	s_mov_b32 s9, exec_lo
	v_cmpx_gt_u32_e64 s8, v108
	s_cbranch_execnz .LBB730_364
.LBB730_349:                            ;   in Loop: Header=BB730_316 Depth=2
	s_or_b32 exec_lo, exec_lo, s9
	s_delay_alu instid0(SALU_CYCLE_1)
	s_mov_b32 s9, exec_lo
	v_cmpx_gt_u32_e64 s8, v109
	s_cbranch_execnz .LBB730_365
.LBB730_350:                            ;   in Loop: Header=BB730_316 Depth=2
	s_or_b32 exec_lo, exec_lo, s9
	s_delay_alu instid0(SALU_CYCLE_1)
	s_mov_b32 s9, exec_lo
	v_cmpx_gt_u32_e64 s8, v110
	s_cbranch_execnz .LBB730_366
.LBB730_351:                            ;   in Loop: Header=BB730_316 Depth=2
	s_or_b32 exec_lo, exec_lo, s9
	s_delay_alu instid0(SALU_CYCLE_1)
	s_mov_b32 s9, exec_lo
	v_cmpx_gt_u32_e64 s8, v111
	s_cbranch_execnz .LBB730_367
.LBB730_352:                            ;   in Loop: Header=BB730_316 Depth=2
	s_or_b32 exec_lo, exec_lo, s9
	v_cmp_gt_u32_e32 vcc_lo, s8, v112
	s_and_saveexec_b32 s8, vcc_lo
	s_cbranch_execz .LBB730_315
	s_branch .LBB730_368
.LBB730_353:                            ;   in Loop: Header=BB730_316 Depth=2
	s_delay_alu instid0(VALU_DEP_2) | instskip(NEXT) | instid1(VALU_DEP_3)
	v_xor_b32_e32 v55, 0x7fffffff, v53
	v_not_b32_e32 v54, v52
	s_delay_alu instid0(VALU_DEP_1) | instskip(NEXT) | instid1(VALU_DEP_1)
	v_lshrrev_b64 v[54:55], s48, v[54:55]
	v_and_b32_e32 v54, s56, v54
	s_delay_alu instid0(VALU_DEP_1) | instskip(SKIP_2) | instid1(SALU_CYCLE_1)
	v_lshl_or_b32 v54, v54, 4, v113
	ds_add_u32 v54, v125
	s_or_b32 exec_lo, exec_lo, s9
	s_mov_b32 s9, exec_lo
	v_cmpx_gt_u32_e64 s8, v98
	s_cbranch_execz .LBB730_339
.LBB730_354:                            ;   in Loop: Header=BB730_316 Depth=2
	v_xor_b32_e32 v55, 0x7fffffff, v51
	v_not_b32_e32 v54, v50
	s_delay_alu instid0(VALU_DEP_1) | instskip(NEXT) | instid1(VALU_DEP_1)
	v_lshrrev_b64 v[54:55], s48, v[54:55]
	v_and_b32_e32 v54, s56, v54
	s_delay_alu instid0(VALU_DEP_1) | instskip(SKIP_2) | instid1(SALU_CYCLE_1)
	v_lshl_or_b32 v54, v54, 4, v113
	ds_add_u32 v54, v125
	s_or_b32 exec_lo, exec_lo, s9
	s_mov_b32 s9, exec_lo
	v_cmpx_gt_u32_e64 s8, v99
	s_cbranch_execz .LBB730_340
.LBB730_355:                            ;   in Loop: Header=BB730_316 Depth=2
	v_xor_b32_e32 v55, 0x7fffffff, v49
	v_not_b32_e32 v54, v48
	s_delay_alu instid0(VALU_DEP_1) | instskip(NEXT) | instid1(VALU_DEP_1)
	v_lshrrev_b64 v[54:55], s48, v[54:55]
	v_and_b32_e32 v54, s56, v54
	s_delay_alu instid0(VALU_DEP_1) | instskip(SKIP_2) | instid1(SALU_CYCLE_1)
	v_lshl_or_b32 v54, v54, 4, v113
	ds_add_u32 v54, v125
	s_or_b32 exec_lo, exec_lo, s9
	s_mov_b32 s9, exec_lo
	v_cmpx_gt_u32_e64 s8, v100
	s_cbranch_execz .LBB730_341
.LBB730_356:                            ;   in Loop: Header=BB730_316 Depth=2
	v_xor_b32_e32 v55, 0x7fffffff, v47
	v_not_b32_e32 v54, v46
	s_delay_alu instid0(VALU_DEP_1) | instskip(NEXT) | instid1(VALU_DEP_1)
	v_lshrrev_b64 v[54:55], s48, v[54:55]
	v_and_b32_e32 v54, s56, v54
	s_delay_alu instid0(VALU_DEP_1) | instskip(SKIP_2) | instid1(SALU_CYCLE_1)
	v_lshl_or_b32 v54, v54, 4, v113
	ds_add_u32 v54, v125
	s_or_b32 exec_lo, exec_lo, s9
	s_mov_b32 s9, exec_lo
	v_cmpx_gt_u32_e64 s8, v101
	s_cbranch_execz .LBB730_342
.LBB730_357:                            ;   in Loop: Header=BB730_316 Depth=2
	v_xor_b32_e32 v55, 0x7fffffff, v45
	v_not_b32_e32 v54, v44
	s_delay_alu instid0(VALU_DEP_1) | instskip(NEXT) | instid1(VALU_DEP_1)
	v_lshrrev_b64 v[54:55], s48, v[54:55]
	v_and_b32_e32 v54, s56, v54
	s_delay_alu instid0(VALU_DEP_1) | instskip(SKIP_2) | instid1(SALU_CYCLE_1)
	v_lshl_or_b32 v54, v54, 4, v113
	ds_add_u32 v54, v125
	s_or_b32 exec_lo, exec_lo, s9
	s_mov_b32 s9, exec_lo
	v_cmpx_gt_u32_e64 s8, v102
	s_cbranch_execz .LBB730_343
.LBB730_358:                            ;   in Loop: Header=BB730_316 Depth=2
	v_xor_b32_e32 v55, 0x7fffffff, v43
	v_not_b32_e32 v54, v42
	s_delay_alu instid0(VALU_DEP_1) | instskip(NEXT) | instid1(VALU_DEP_1)
	v_lshrrev_b64 v[54:55], s48, v[54:55]
	v_and_b32_e32 v54, s56, v54
	s_delay_alu instid0(VALU_DEP_1) | instskip(SKIP_2) | instid1(SALU_CYCLE_1)
	v_lshl_or_b32 v54, v54, 4, v113
	ds_add_u32 v54, v125
	s_or_b32 exec_lo, exec_lo, s9
	s_mov_b32 s9, exec_lo
	v_cmpx_gt_u32_e64 s8, v103
	s_cbranch_execz .LBB730_344
.LBB730_359:                            ;   in Loop: Header=BB730_316 Depth=2
	v_xor_b32_e32 v55, 0x7fffffff, v41
	v_not_b32_e32 v54, v40
	s_delay_alu instid0(VALU_DEP_1) | instskip(NEXT) | instid1(VALU_DEP_1)
	v_lshrrev_b64 v[54:55], s48, v[54:55]
	v_and_b32_e32 v54, s56, v54
	s_delay_alu instid0(VALU_DEP_1) | instskip(SKIP_2) | instid1(SALU_CYCLE_1)
	v_lshl_or_b32 v54, v54, 4, v113
	ds_add_u32 v54, v125
	s_or_b32 exec_lo, exec_lo, s9
	s_mov_b32 s9, exec_lo
	v_cmpx_gt_u32_e64 s8, v104
	s_cbranch_execz .LBB730_345
.LBB730_360:                            ;   in Loop: Header=BB730_316 Depth=2
	v_xor_b32_e32 v55, 0x7fffffff, v39
	v_not_b32_e32 v54, v38
	s_delay_alu instid0(VALU_DEP_1) | instskip(NEXT) | instid1(VALU_DEP_1)
	v_lshrrev_b64 v[54:55], s48, v[54:55]
	v_and_b32_e32 v54, s56, v54
	s_delay_alu instid0(VALU_DEP_1) | instskip(SKIP_2) | instid1(SALU_CYCLE_1)
	v_lshl_or_b32 v54, v54, 4, v113
	ds_add_u32 v54, v125
	s_or_b32 exec_lo, exec_lo, s9
	s_mov_b32 s9, exec_lo
	v_cmpx_gt_u32_e64 s8, v105
	s_cbranch_execz .LBB730_346
.LBB730_361:                            ;   in Loop: Header=BB730_316 Depth=2
	v_xor_b32_e32 v55, 0x7fffffff, v37
	v_not_b32_e32 v54, v36
	s_delay_alu instid0(VALU_DEP_1) | instskip(NEXT) | instid1(VALU_DEP_1)
	v_lshrrev_b64 v[54:55], s48, v[54:55]
	v_and_b32_e32 v54, s56, v54
	s_delay_alu instid0(VALU_DEP_1) | instskip(SKIP_2) | instid1(SALU_CYCLE_1)
	v_lshl_or_b32 v54, v54, 4, v113
	ds_add_u32 v54, v125
	s_or_b32 exec_lo, exec_lo, s9
	s_mov_b32 s9, exec_lo
	v_cmpx_gt_u32_e64 s8, v106
	s_cbranch_execz .LBB730_347
.LBB730_362:                            ;   in Loop: Header=BB730_316 Depth=2
	v_xor_b32_e32 v55, 0x7fffffff, v35
	v_not_b32_e32 v54, v34
	s_delay_alu instid0(VALU_DEP_1) | instskip(NEXT) | instid1(VALU_DEP_1)
	v_lshrrev_b64 v[54:55], s48, v[54:55]
	v_and_b32_e32 v54, s56, v54
	s_delay_alu instid0(VALU_DEP_1) | instskip(SKIP_2) | instid1(SALU_CYCLE_1)
	v_lshl_or_b32 v54, v54, 4, v113
	ds_add_u32 v54, v125
	s_or_b32 exec_lo, exec_lo, s9
	s_mov_b32 s9, exec_lo
	v_cmpx_gt_u32_e64 s8, v107
	s_cbranch_execz .LBB730_348
.LBB730_363:                            ;   in Loop: Header=BB730_316 Depth=2
	v_xor_b32_e32 v55, 0x7fffffff, v33
	v_not_b32_e32 v54, v32
	s_delay_alu instid0(VALU_DEP_1) | instskip(NEXT) | instid1(VALU_DEP_1)
	v_lshrrev_b64 v[54:55], s48, v[54:55]
	v_and_b32_e32 v54, s56, v54
	s_delay_alu instid0(VALU_DEP_1) | instskip(SKIP_2) | instid1(SALU_CYCLE_1)
	v_lshl_or_b32 v54, v54, 4, v113
	ds_add_u32 v54, v125
	s_or_b32 exec_lo, exec_lo, s9
	s_mov_b32 s9, exec_lo
	v_cmpx_gt_u32_e64 s8, v108
	s_cbranch_execz .LBB730_349
.LBB730_364:                            ;   in Loop: Header=BB730_316 Depth=2
	v_xor_b32_e32 v55, 0x7fffffff, v31
	v_not_b32_e32 v54, v30
	s_delay_alu instid0(VALU_DEP_1) | instskip(NEXT) | instid1(VALU_DEP_1)
	v_lshrrev_b64 v[54:55], s48, v[54:55]
	v_and_b32_e32 v54, s56, v54
	s_delay_alu instid0(VALU_DEP_1) | instskip(SKIP_2) | instid1(SALU_CYCLE_1)
	v_lshl_or_b32 v54, v54, 4, v113
	ds_add_u32 v54, v125
	s_or_b32 exec_lo, exec_lo, s9
	s_mov_b32 s9, exec_lo
	v_cmpx_gt_u32_e64 s8, v109
	s_cbranch_execz .LBB730_350
.LBB730_365:                            ;   in Loop: Header=BB730_316 Depth=2
	v_xor_b32_e32 v55, 0x7fffffff, v29
	v_not_b32_e32 v54, v28
	s_delay_alu instid0(VALU_DEP_1) | instskip(NEXT) | instid1(VALU_DEP_1)
	v_lshrrev_b64 v[54:55], s48, v[54:55]
	v_and_b32_e32 v54, s56, v54
	s_delay_alu instid0(VALU_DEP_1) | instskip(SKIP_2) | instid1(SALU_CYCLE_1)
	v_lshl_or_b32 v54, v54, 4, v113
	ds_add_u32 v54, v125
	s_or_b32 exec_lo, exec_lo, s9
	s_mov_b32 s9, exec_lo
	v_cmpx_gt_u32_e64 s8, v110
	s_cbranch_execz .LBB730_351
.LBB730_366:                            ;   in Loop: Header=BB730_316 Depth=2
	v_xor_b32_e32 v55, 0x7fffffff, v27
	v_not_b32_e32 v54, v26
	s_delay_alu instid0(VALU_DEP_1) | instskip(NEXT) | instid1(VALU_DEP_1)
	v_lshrrev_b64 v[54:55], s48, v[54:55]
	v_and_b32_e32 v54, s56, v54
	s_delay_alu instid0(VALU_DEP_1) | instskip(SKIP_2) | instid1(SALU_CYCLE_1)
	v_lshl_or_b32 v54, v54, 4, v113
	ds_add_u32 v54, v125
	s_or_b32 exec_lo, exec_lo, s9
	s_mov_b32 s9, exec_lo
	v_cmpx_gt_u32_e64 s8, v111
	s_cbranch_execz .LBB730_352
.LBB730_367:                            ;   in Loop: Header=BB730_316 Depth=2
	v_xor_b32_e32 v55, 0x7fffffff, v25
	v_not_b32_e32 v54, v24
	s_delay_alu instid0(VALU_DEP_1) | instskip(NEXT) | instid1(VALU_DEP_1)
	v_lshrrev_b64 v[54:55], s48, v[54:55]
	v_and_b32_e32 v54, s56, v54
	s_delay_alu instid0(VALU_DEP_1)
	v_lshl_or_b32 v54, v54, 4, v113
	ds_add_u32 v54, v125
	s_or_b32 exec_lo, exec_lo, s9
	v_cmp_gt_u32_e32 vcc_lo, s8, v112
	s_and_saveexec_b32 s8, vcc_lo
	s_cbranch_execz .LBB730_315
.LBB730_368:                            ;   in Loop: Header=BB730_316 Depth=2
	v_xor_b32_e32 v55, 0x7fffffff, v23
	v_not_b32_e32 v54, v22
	s_delay_alu instid0(VALU_DEP_1) | instskip(NEXT) | instid1(VALU_DEP_1)
	v_lshrrev_b64 v[54:55], s48, v[54:55]
	v_and_b32_e32 v54, s56, v54
	s_delay_alu instid0(VALU_DEP_1)
	v_lshl_or_b32 v54, v54, 4, v113
	ds_add_u32 v54, v125
	s_branch .LBB730_315
.LBB730_369:                            ;   in Loop: Header=BB730_316 Depth=2
	global_load_b64 v[52:53], v2, s[8:9] scale_offset
	s_wait_xcnt 0x0
	s_or_b32 exec_lo, exec_lo, s11
	s_delay_alu instid0(SALU_CYCLE_1)
	s_mov_b32 s11, exec_lo
	v_cmpx_gt_u32_e64 s7, v98
	s_cbranch_execz .LBB730_321
.LBB730_370:                            ;   in Loop: Header=BB730_316 Depth=2
	global_load_b64 v[50:51], v2, s[8:9] offset:2048 scale_offset
	s_wait_xcnt 0x0
	s_or_b32 exec_lo, exec_lo, s11
	s_delay_alu instid0(SALU_CYCLE_1)
	s_mov_b32 s11, exec_lo
	v_cmpx_gt_u32_e64 s7, v99
	s_cbranch_execz .LBB730_322
.LBB730_371:                            ;   in Loop: Header=BB730_316 Depth=2
	global_load_b64 v[48:49], v2, s[8:9] offset:4096 scale_offset
	s_wait_xcnt 0x0
	s_or_b32 exec_lo, exec_lo, s11
	s_delay_alu instid0(SALU_CYCLE_1)
	s_mov_b32 s11, exec_lo
	v_cmpx_gt_u32_e64 s7, v100
	s_cbranch_execz .LBB730_323
.LBB730_372:                            ;   in Loop: Header=BB730_316 Depth=2
	global_load_b64 v[46:47], v2, s[8:9] offset:6144 scale_offset
	s_wait_xcnt 0x0
	s_or_b32 exec_lo, exec_lo, s11
	s_delay_alu instid0(SALU_CYCLE_1)
	s_mov_b32 s11, exec_lo
	v_cmpx_gt_u32_e64 s7, v101
	s_cbranch_execz .LBB730_324
.LBB730_373:                            ;   in Loop: Header=BB730_316 Depth=2
	global_load_b64 v[44:45], v2, s[8:9] offset:8192 scale_offset
	s_wait_xcnt 0x0
	s_or_b32 exec_lo, exec_lo, s11
	s_delay_alu instid0(SALU_CYCLE_1)
	s_mov_b32 s11, exec_lo
	v_cmpx_gt_u32_e64 s7, v102
	s_cbranch_execz .LBB730_325
.LBB730_374:                            ;   in Loop: Header=BB730_316 Depth=2
	global_load_b64 v[42:43], v2, s[8:9] offset:10240 scale_offset
	s_wait_xcnt 0x0
	s_or_b32 exec_lo, exec_lo, s11
	s_delay_alu instid0(SALU_CYCLE_1)
	s_mov_b32 s11, exec_lo
	v_cmpx_gt_u32_e64 s7, v103
	s_cbranch_execz .LBB730_326
.LBB730_375:                            ;   in Loop: Header=BB730_316 Depth=2
	global_load_b64 v[40:41], v2, s[8:9] offset:12288 scale_offset
	s_wait_xcnt 0x0
	s_or_b32 exec_lo, exec_lo, s11
	s_delay_alu instid0(SALU_CYCLE_1)
	s_mov_b32 s11, exec_lo
	v_cmpx_gt_u32_e64 s7, v104
	s_cbranch_execz .LBB730_327
.LBB730_376:                            ;   in Loop: Header=BB730_316 Depth=2
	global_load_b64 v[38:39], v2, s[8:9] offset:14336 scale_offset
	s_wait_xcnt 0x0
	s_or_b32 exec_lo, exec_lo, s11
	s_delay_alu instid0(SALU_CYCLE_1)
	s_mov_b32 s11, exec_lo
	v_cmpx_gt_u32_e64 s7, v105
	s_cbranch_execz .LBB730_328
.LBB730_377:                            ;   in Loop: Header=BB730_316 Depth=2
	global_load_b64 v[36:37], v2, s[8:9] offset:16384 scale_offset
	s_wait_xcnt 0x0
	s_or_b32 exec_lo, exec_lo, s11
	s_delay_alu instid0(SALU_CYCLE_1)
	s_mov_b32 s11, exec_lo
	v_cmpx_gt_u32_e64 s7, v106
	s_cbranch_execz .LBB730_329
.LBB730_378:                            ;   in Loop: Header=BB730_316 Depth=2
	global_load_b64 v[34:35], v2, s[8:9] offset:18432 scale_offset
	s_wait_xcnt 0x0
	s_or_b32 exec_lo, exec_lo, s11
	s_delay_alu instid0(SALU_CYCLE_1)
	s_mov_b32 s11, exec_lo
	v_cmpx_gt_u32_e64 s7, v107
	s_cbranch_execz .LBB730_330
.LBB730_379:                            ;   in Loop: Header=BB730_316 Depth=2
	global_load_b64 v[32:33], v2, s[8:9] offset:20480 scale_offset
	s_wait_xcnt 0x0
	s_or_b32 exec_lo, exec_lo, s11
	s_delay_alu instid0(SALU_CYCLE_1)
	s_mov_b32 s11, exec_lo
	v_cmpx_gt_u32_e64 s7, v108
	s_cbranch_execz .LBB730_331
.LBB730_380:                            ;   in Loop: Header=BB730_316 Depth=2
	global_load_b64 v[30:31], v2, s[8:9] offset:22528 scale_offset
	s_wait_xcnt 0x0
	s_or_b32 exec_lo, exec_lo, s11
	s_delay_alu instid0(SALU_CYCLE_1)
	s_mov_b32 s11, exec_lo
	v_cmpx_gt_u32_e64 s7, v109
	s_cbranch_execz .LBB730_332
.LBB730_381:                            ;   in Loop: Header=BB730_316 Depth=2
	global_load_b64 v[28:29], v2, s[8:9] offset:24576 scale_offset
	s_wait_xcnt 0x0
	s_or_b32 exec_lo, exec_lo, s11
	s_delay_alu instid0(SALU_CYCLE_1)
	s_mov_b32 s11, exec_lo
	v_cmpx_gt_u32_e64 s7, v110
	s_cbranch_execz .LBB730_333
.LBB730_382:                            ;   in Loop: Header=BB730_316 Depth=2
	global_load_b64 v[26:27], v2, s[8:9] offset:26624 scale_offset
	s_wait_xcnt 0x0
	s_or_b32 exec_lo, exec_lo, s11
	s_delay_alu instid0(SALU_CYCLE_1)
	s_mov_b32 s11, exec_lo
	v_cmpx_gt_u32_e64 s7, v111
	s_cbranch_execz .LBB730_334
.LBB730_383:                            ;   in Loop: Header=BB730_316 Depth=2
	global_load_b64 v[24:25], v2, s[8:9] offset:28672 scale_offset
	s_wait_xcnt 0x0
	s_or_b32 exec_lo, exec_lo, s11
	s_delay_alu instid0(SALU_CYCLE_1)
	s_mov_b32 s11, exec_lo
	v_cmpx_gt_u32_e64 s7, v112
	s_cbranch_execnz .LBB730_335
	s_branch .LBB730_336
.LBB730_384:                            ;   in Loop: Header=BB730_20 Depth=1
	v_mov_b32_e32 v22, 0
	s_wait_dscnt 0x0
	s_barrier_signal -1
	s_barrier_wait -1
	s_and_saveexec_b32 s7, s0
	s_cbranch_execz .LBB730_386
; %bb.385:                              ;   in Loop: Header=BB730_20 Depth=1
	ds_load_2addr_b64 v[22:25], v115 offset1:1
	s_wait_dscnt 0x0
	v_add_nc_u32_e32 v22, v23, v22
	s_delay_alu instid0(VALU_DEP_1)
	v_add3_u32 v22, v22, v24, v25
.LBB730_386:                            ;   in Loop: Header=BB730_20 Depth=1
	s_or_b32 exec_lo, exec_lo, s7
	s_delay_alu instid0(VALU_DEP_1)
	v_mov_b32_dpp v23, v22 row_shr:1 row_mask:0xf bank_mask:0xf
	v_cmp_eq_u32_e64 s7, 0, v126
	v_cmp_lt_u32_e64 s8, 1, v126
	v_cmp_lt_u32_e64 s9, 3, v126
	;; [unrolled: 1-line block ×3, first 2 shown]
	v_cmp_eq_u32_e64 s11, 0, v128
	v_cndmask_b32_e64 v23, v23, 0, s7
	s_delay_alu instid0(VALU_DEP_1) | instskip(NEXT) | instid1(VALU_DEP_1)
	v_add_nc_u32_e32 v22, v23, v22
	v_mov_b32_dpp v23, v22 row_shr:2 row_mask:0xf bank_mask:0xf
	s_delay_alu instid0(VALU_DEP_1) | instskip(NEXT) | instid1(VALU_DEP_1)
	v_cndmask_b32_e64 v23, 0, v23, s8
	v_add_nc_u32_e32 v22, v22, v23
	s_delay_alu instid0(VALU_DEP_1) | instskip(NEXT) | instid1(VALU_DEP_1)
	v_mov_b32_dpp v23, v22 row_shr:4 row_mask:0xf bank_mask:0xf
	v_cndmask_b32_e64 v23, 0, v23, s9
	s_delay_alu instid0(VALU_DEP_1) | instskip(NEXT) | instid1(VALU_DEP_1)
	v_add_nc_u32_e32 v22, v22, v23
	v_mov_b32_dpp v23, v22 row_shr:8 row_mask:0xf bank_mask:0xf
	s_delay_alu instid0(VALU_DEP_1) | instskip(NEXT) | instid1(VALU_DEP_1)
	v_cndmask_b32_e64 v23, 0, v23, s10
	v_add_nc_u32_e32 v22, v22, v23
	ds_swizzle_b32 v23, v22 offset:swizzle(BROADCAST,32,15)
	s_wait_dscnt 0x0
	v_and_b32_e32 v23, v127, v23
	s_delay_alu instid0(VALU_DEP_1)
	v_add_nc_u32_e32 v22, v22, v23
	s_and_saveexec_b32 s12, s1
; %bb.387:                              ;   in Loop: Header=BB730_20 Depth=1
	ds_store_b32 v116, v22
; %bb.388:                              ;   in Loop: Header=BB730_20 Depth=1
	s_or_b32 exec_lo, exec_lo, s12
	s_wait_dscnt 0x0
	s_barrier_signal -1
	s_barrier_wait -1
	s_and_saveexec_b32 s12, s4
	s_cbranch_execz .LBB730_390
; %bb.389:                              ;   in Loop: Header=BB730_20 Depth=1
	ds_load_b32 v23, v117
	v_cmp_ne_u32_e32 vcc_lo, 0, v130
	s_wait_dscnt 0x0
	v_mov_b32_dpp v24, v23 row_shr:1 row_mask:0xf bank_mask:0xf
	s_delay_alu instid0(VALU_DEP_1) | instskip(SKIP_1) | instid1(VALU_DEP_2)
	v_cndmask_b32_e32 v24, 0, v24, vcc_lo
	v_cmp_lt_u32_e32 vcc_lo, 1, v130
	v_add_nc_u32_e32 v23, v24, v23
	s_delay_alu instid0(VALU_DEP_1) | instskip(NEXT) | instid1(VALU_DEP_1)
	v_mov_b32_dpp v24, v23 row_shr:2 row_mask:0xf bank_mask:0xf
	v_cndmask_b32_e32 v24, 0, v24, vcc_lo
	v_cmp_lt_u32_e32 vcc_lo, 3, v130
	s_delay_alu instid0(VALU_DEP_2) | instskip(NEXT) | instid1(VALU_DEP_1)
	v_add_nc_u32_e32 v23, v23, v24
	v_mov_b32_dpp v24, v23 row_shr:4 row_mask:0xf bank_mask:0xf
	s_delay_alu instid0(VALU_DEP_1) | instskip(NEXT) | instid1(VALU_DEP_1)
	v_cndmask_b32_e32 v24, 0, v24, vcc_lo
	v_add_nc_u32_e32 v23, v23, v24
	ds_store_b32 v117, v23
.LBB730_390:                            ;   in Loop: Header=BB730_20 Depth=1
	s_or_b32 exec_lo, exec_lo, s12
	v_mov_b32_e32 v23, 0
	s_wait_dscnt 0x0
	s_barrier_signal -1
	s_barrier_wait -1
	s_and_saveexec_b32 s12, s5
; %bb.391:                              ;   in Loop: Header=BB730_20 Depth=1
	ds_load_b32 v23, v118
; %bb.392:                              ;   in Loop: Header=BB730_20 Depth=1
	s_or_b32 exec_lo, exec_lo, s12
	v_cmp_gt_i32_e32 vcc_lo, 0, v131
	s_wait_dscnt 0x0
	s_barrier_signal -1
	s_barrier_wait -1
	v_cndmask_b32_e32 v24, v131, v124, vcc_lo
	s_delay_alu instid0(VALU_DEP_1)
	v_dual_add_nc_u32 v22, v23, v22 :: v_dual_lshlrev_b32 v147, 2, v24
	ds_bpermute_b32 v22, v147, v22
	s_and_saveexec_b32 s12, s0
	s_cbranch_execz .LBB730_394
; %bb.393:                              ;   in Loop: Header=BB730_20 Depth=1
	s_wait_dscnt 0x0
	v_cndmask_b32_e64 v22, v22, v23, s6
	s_delay_alu instid0(VALU_DEP_1)
	v_add_nc_u32_e32 v22, s52, v22
	ds_store_b32 v3, v22
.LBB730_394:                            ;   in Loop: Header=BB730_20 Depth=1
	s_or_b32 exec_lo, exec_lo, s12
	s_load_b64 s[12:13], s[34:35], 0x0
	v_add_nc_u64_e32 v[24:25], v[14:15], v[4:5]
	s_mov_b32 s57, s54
                                        ; implicit-def: $vgpr28_vgpr29
                                        ; implicit-def: $vgpr30_vgpr31
                                        ; implicit-def: $vgpr32_vgpr33
                                        ; implicit-def: $vgpr34_vgpr35
                                        ; implicit-def: $vgpr36_vgpr37
                                        ; implicit-def: $vgpr38_vgpr39
                                        ; implicit-def: $vgpr40_vgpr41
                                        ; implicit-def: $vgpr42_vgpr43
                                        ; implicit-def: $vgpr44_vgpr45
                                        ; implicit-def: $vgpr46_vgpr47
                                        ; implicit-def: $vgpr48_vgpr49
                                        ; implicit-def: $vgpr50_vgpr51
                                        ; implicit-def: $vgpr52_vgpr53
                                        ; implicit-def: $vgpr54_vgpr55
                                        ; implicit-def: $vgpr56_vgpr57
                                        ; implicit-def: $vgpr149
                                        ; implicit-def: $vgpr150
                                        ; implicit-def: $vgpr151
                                        ; implicit-def: $vgpr152
                                        ; implicit-def: $vgpr153
                                        ; implicit-def: $vgpr154
                                        ; implicit-def: $vgpr155
                                        ; implicit-def: $vgpr156
                                        ; implicit-def: $vgpr157
                                        ; implicit-def: $vgpr158
                                        ; implicit-def: $vgpr159
                                        ; implicit-def: $vgpr160
                                        ; implicit-def: $vgpr161
                                        ; implicit-def: $vgpr162
                                        ; implicit-def: $vgpr163
                                        ; implicit-def: $vgpr164
	s_wait_kmcnt 0x0
	s_cmp_lt_u32 s33, s12
	s_cselect_b32 s30, 12, 18
	s_cmp_lt_u32 s42, s13
	s_mov_b32 s13, s31
	s_cselect_b32 s12, 14, 20
	s_delay_alu instid0(SALU_CYCLE_1)
	s_add_nc_u64 s[12:13], s[34:35], s[12:13]
	s_load_u16 s14, s[12:13], 0x0
	s_wait_xcnt 0x0
	s_add_nc_u64 s[12:13], s[34:35], s[30:31]
	s_mov_b32 s30, s52
	s_load_u16 s12, s[12:13], 0x0
	s_wait_xcnt 0x0
	v_cmp_lt_u32_e64 s13, 1, v130
	s_wait_dscnt 0x0
	s_wait_kmcnt 0x0
	v_mad_u32_u24 v22, v119, s14, v121
	v_cmp_lt_u32_e64 s14, 3, v130
	s_delay_alu instid0(VALU_DEP_2) | instskip(SKIP_1) | instid1(VALU_DEP_2)
	v_mad_u32 v22, v22, s12, v2
	v_cmp_eq_u32_e64 s12, 0, v130
	v_lshrrev_b32_e32 v26, 3, v22
	v_add_nc_u64_e32 v[22:23], v[12:13], v[4:5]
	s_delay_alu instid0(VALU_DEP_2)
	v_and_b32_e32 v148, 0x1ffffffc, v26
                                        ; implicit-def: $vgpr26_vgpr27
	s_branch .LBB730_396
.LBB730_395:                            ;   in Loop: Header=BB730_396 Depth=2
	s_or_b32 exec_lo, exec_lo, s15
	s_addk_co_i32 s57, 0xf000
	s_cmp_lt_u32 s58, s51
	s_mov_b32 s30, s58
	s_cbranch_scc0 .LBB730_604
.LBB730_396:                            ;   Parent Loop BB730_20 Depth=1
                                        ; =>  This Inner Loop Header: Depth=2
	s_add_co_i32 s58, s30, 0x1000
	s_delay_alu instid0(SALU_CYCLE_1)
	s_cmp_gt_u32 s58, s51
	s_cbranch_scc1 .LBB730_398
; %bb.397:                              ;   in Loop: Header=BB730_396 Depth=2
	v_lshl_add_u64 v[58:59], s[30:31], 3, v[24:25]
	s_mov_b32 s15, -1
	s_clause 0xe
	global_load_b64 v[60:61], v[58:59], off
	global_load_b64 v[62:63], v[58:59], off offset:256
	global_load_b64 v[64:65], v[58:59], off offset:512
	;; [unrolled: 1-line block ×14, first 2 shown]
	s_movk_i32 s16, 0x1000
	s_cbranch_execz .LBB730_399
	s_branch .LBB730_430
.LBB730_398:                            ;   in Loop: Header=BB730_396 Depth=2
	s_mov_b32 s15, 0
                                        ; implicit-def: $vgpr60_vgpr61
                                        ; implicit-def: $vgpr62_vgpr63
                                        ; implicit-def: $vgpr64_vgpr65
                                        ; implicit-def: $vgpr70_vgpr71
                                        ; implicit-def: $vgpr74_vgpr75
                                        ; implicit-def: $vgpr78_vgpr79
                                        ; implicit-def: $vgpr82_vgpr83
                                        ; implicit-def: $vgpr86_vgpr87
                                        ; implicit-def: $vgpr88_vgpr89
                                        ; implicit-def: $vgpr84_vgpr85
                                        ; implicit-def: $vgpr80_vgpr81
                                        ; implicit-def: $vgpr76_vgpr77
                                        ; implicit-def: $vgpr72_vgpr73
                                        ; implicit-def: $vgpr68_vgpr69
                                        ; implicit-def: $vgpr66_vgpr67
	s_movk_i32 s16, 0x1000
.LBB730_399:                            ;   in Loop: Header=BB730_396 Depth=2
	s_wait_loadcnt 0xd
	v_mov_b64_e32 v[62:63], 0x8000000000000000
	v_mov_b64_e32 v[60:61], 0x8000000000000000
	s_wait_xcnt 0x0
	v_lshl_add_u64 v[58:59], s[30:31], 3, v[24:25]
	s_mov_b32 s15, exec_lo
	v_cmpx_gt_u32_e64 s57, v129
	s_cbranch_execz .LBB730_401
; %bb.400:                              ;   in Loop: Header=BB730_396 Depth=2
	global_load_b64 v[60:61], v[58:59], off
.LBB730_401:                            ;   in Loop: Header=BB730_396 Depth=2
	s_wait_xcnt 0x0
	s_or_b32 exec_lo, exec_lo, s15
	s_delay_alu instid0(SALU_CYCLE_1)
	s_mov_b32 s15, exec_lo
	v_cmpx_gt_u32_e64 s57, v132
	s_cbranch_execz .LBB730_403
; %bb.402:                              ;   in Loop: Header=BB730_396 Depth=2
	global_load_b64 v[62:63], v[58:59], off offset:256
.LBB730_403:                            ;   in Loop: Header=BB730_396 Depth=2
	s_wait_xcnt 0x0
	s_or_b32 exec_lo, exec_lo, s15
	s_wait_loadcnt 0xb
	v_mov_b64_e32 v[70:71], 0x8000000000000000
	v_mov_b64_e32 v[64:65], 0x8000000000000000
	s_mov_b32 s15, exec_lo
	v_cmpx_gt_u32_e64 s57, v133
	s_cbranch_execz .LBB730_405
; %bb.404:                              ;   in Loop: Header=BB730_396 Depth=2
	global_load_b64 v[64:65], v[58:59], off offset:512
.LBB730_405:                            ;   in Loop: Header=BB730_396 Depth=2
	s_wait_xcnt 0x0
	s_or_b32 exec_lo, exec_lo, s15
	s_delay_alu instid0(SALU_CYCLE_1)
	s_mov_b32 s15, exec_lo
	v_cmpx_gt_u32_e64 s57, v134
	s_cbranch_execz .LBB730_407
; %bb.406:                              ;   in Loop: Header=BB730_396 Depth=2
	global_load_b64 v[70:71], v[58:59], off offset:768
.LBB730_407:                            ;   in Loop: Header=BB730_396 Depth=2
	s_wait_xcnt 0x0
	s_or_b32 exec_lo, exec_lo, s15
	s_wait_loadcnt 0x9
	v_mov_b64_e32 v[78:79], 0x8000000000000000
	v_mov_b64_e32 v[74:75], 0x8000000000000000
	s_mov_b32 s15, exec_lo
	v_cmpx_gt_u32_e64 s57, v135
	s_cbranch_execz .LBB730_409
; %bb.408:                              ;   in Loop: Header=BB730_396 Depth=2
	global_load_b64 v[74:75], v[58:59], off offset:1024
.LBB730_409:                            ;   in Loop: Header=BB730_396 Depth=2
	s_wait_xcnt 0x0
	s_or_b32 exec_lo, exec_lo, s15
	s_delay_alu instid0(SALU_CYCLE_1)
	s_mov_b32 s15, exec_lo
	v_cmpx_gt_u32_e64 s57, v136
	s_cbranch_execz .LBB730_411
; %bb.410:                              ;   in Loop: Header=BB730_396 Depth=2
	global_load_b64 v[78:79], v[58:59], off offset:1280
.LBB730_411:                            ;   in Loop: Header=BB730_396 Depth=2
	s_wait_xcnt 0x0
	s_or_b32 exec_lo, exec_lo, s15
	s_wait_loadcnt 0x7
	v_mov_b64_e32 v[86:87], 0x8000000000000000
	v_mov_b64_e32 v[82:83], 0x8000000000000000
	s_mov_b32 s15, exec_lo
	v_cmpx_gt_u32_e64 s57, v137
	s_cbranch_execz .LBB730_413
; %bb.412:                              ;   in Loop: Header=BB730_396 Depth=2
	global_load_b64 v[82:83], v[58:59], off offset:1536
.LBB730_413:                            ;   in Loop: Header=BB730_396 Depth=2
	s_wait_xcnt 0x0
	s_or_b32 exec_lo, exec_lo, s15
	s_delay_alu instid0(SALU_CYCLE_1)
	s_mov_b32 s15, exec_lo
	v_cmpx_gt_u32_e64 s57, v138
	s_cbranch_execz .LBB730_415
; %bb.414:                              ;   in Loop: Header=BB730_396 Depth=2
	global_load_b64 v[86:87], v[58:59], off offset:1792
.LBB730_415:                            ;   in Loop: Header=BB730_396 Depth=2
	s_wait_xcnt 0x0
	s_or_b32 exec_lo, exec_lo, s15
	s_wait_loadcnt 0x5
	v_mov_b64_e32 v[84:85], 0x8000000000000000
	v_mov_b64_e32 v[88:89], 0x8000000000000000
	s_mov_b32 s15, exec_lo
	v_cmpx_gt_u32_e64 s57, v139
	s_cbranch_execz .LBB730_417
; %bb.416:                              ;   in Loop: Header=BB730_396 Depth=2
	global_load_b64 v[88:89], v[58:59], off offset:2048
.LBB730_417:                            ;   in Loop: Header=BB730_396 Depth=2
	s_wait_xcnt 0x0
	s_or_b32 exec_lo, exec_lo, s15
	s_delay_alu instid0(SALU_CYCLE_1)
	s_mov_b32 s15, exec_lo
	v_cmpx_gt_u32_e64 s57, v140
	s_cbranch_execz .LBB730_419
; %bb.418:                              ;   in Loop: Header=BB730_396 Depth=2
	global_load_b64 v[84:85], v[58:59], off offset:2304
.LBB730_419:                            ;   in Loop: Header=BB730_396 Depth=2
	s_wait_xcnt 0x0
	s_or_b32 exec_lo, exec_lo, s15
	s_wait_loadcnt 0x3
	v_mov_b64_e32 v[76:77], 0x8000000000000000
	v_mov_b64_e32 v[80:81], 0x8000000000000000
	s_mov_b32 s15, exec_lo
	v_cmpx_gt_u32_e64 s57, v141
	s_cbranch_execz .LBB730_421
; %bb.420:                              ;   in Loop: Header=BB730_396 Depth=2
	global_load_b64 v[80:81], v[58:59], off offset:2560
.LBB730_421:                            ;   in Loop: Header=BB730_396 Depth=2
	s_wait_xcnt 0x0
	s_or_b32 exec_lo, exec_lo, s15
	s_delay_alu instid0(SALU_CYCLE_1)
	s_mov_b32 s15, exec_lo
	v_cmpx_gt_u32_e64 s57, v142
	s_cbranch_execz .LBB730_423
; %bb.422:                              ;   in Loop: Header=BB730_396 Depth=2
	global_load_b64 v[76:77], v[58:59], off offset:2816
.LBB730_423:                            ;   in Loop: Header=BB730_396 Depth=2
	s_wait_xcnt 0x0
	s_or_b32 exec_lo, exec_lo, s15
	s_wait_loadcnt 0x1
	v_mov_b64_e32 v[68:69], 0x8000000000000000
	v_mov_b64_e32 v[72:73], 0x8000000000000000
	s_mov_b32 s15, exec_lo
	v_cmpx_gt_u32_e64 s57, v143
	s_cbranch_execz .LBB730_425
; %bb.424:                              ;   in Loop: Header=BB730_396 Depth=2
	global_load_b64 v[72:73], v[58:59], off offset:3072
.LBB730_425:                            ;   in Loop: Header=BB730_396 Depth=2
	s_wait_xcnt 0x0
	s_or_b32 exec_lo, exec_lo, s15
	s_delay_alu instid0(SALU_CYCLE_1)
	s_mov_b32 s15, exec_lo
	v_cmpx_gt_u32_e64 s57, v144
	s_cbranch_execz .LBB730_427
; %bb.426:                              ;   in Loop: Header=BB730_396 Depth=2
	global_load_b64 v[68:69], v[58:59], off offset:3328
.LBB730_427:                            ;   in Loop: Header=BB730_396 Depth=2
	s_wait_xcnt 0x0
	s_or_b32 exec_lo, exec_lo, s15
	s_wait_loadcnt 0x0
	v_mov_b64_e32 v[66:67], 0x8000000000000000
	s_mov_b32 s15, exec_lo
	v_cmpx_gt_u32_e64 s57, v145
	s_cbranch_execz .LBB730_429
; %bb.428:                              ;   in Loop: Header=BB730_396 Depth=2
	global_load_b64 v[66:67], v[58:59], off offset:3584
.LBB730_429:                            ;   in Loop: Header=BB730_396 Depth=2
	s_wait_xcnt 0x0
	s_or_b32 exec_lo, exec_lo, s15
	v_cmp_gt_u32_e64 s15, s57, v146
	s_sub_co_i32 s16, s51, s30
.LBB730_430:                            ;   in Loop: Header=BB730_396 Depth=2
	s_wait_xcnt 0x0
	v_mov_b64_e32 v[58:59], -1
	v_mov_b32_e32 v165, s57
	s_and_saveexec_b32 s17, s15
	s_cbranch_execz .LBB730_432
; %bb.431:                              ;   in Loop: Header=BB730_396 Depth=2
	v_lshl_add_u64 v[58:59], s[30:31], 3, v[24:25]
	v_mov_b32_e32 v165, s16
	global_load_b64 v[58:59], v[58:59], off offset:3840
	s_wait_loadcnt 0x0
	s_wait_xcnt 0x0
	v_xor_b32_e32 v59, 0x7fffffff, v59
	v_not_b32_e32 v58, v58
.LBB730_432:                            ;   in Loop: Header=BB730_396 Depth=2
	s_or_b32 exec_lo, exec_lo, s17
	s_wait_loadcnt 0xe
	v_xor_b32_e32 v61, 0x7fffffff, v61
	v_not_b32_e32 v60, v60
	v_add_nc_u32_e32 v168, 0x420, v120
	v_add_nc_u32_e32 v169, 0x428, v120
	;; [unrolled: 1-line block ×3, first 2 shown]
	s_delay_alu instid0(VALU_DEP_4) | instskip(NEXT) | instid1(VALU_DEP_1)
	v_lshrrev_b64 v[90:91], s48, v[60:61]
	v_bitop3_b32 v91, v90, 1, s56 bitop3:0x80
	v_and_b32_e32 v92, s56, v90
	s_delay_alu instid0(VALU_DEP_2) | instskip(NEXT) | instid1(VALU_DEP_1)
	v_add_co_u32 v90, s15, v91, -1
	v_cndmask_b32_e64 v91, 0, 1, s15
	s_delay_alu instid0(VALU_DEP_3) | instskip(NEXT) | instid1(VALU_DEP_2)
	v_lshlrev_b32_e32 v93, 30, v92
	v_cmp_ne_u32_e32 vcc_lo, 0, v91
	s_delay_alu instid0(VALU_DEP_2) | instskip(NEXT) | instid1(VALU_DEP_1)
	v_not_b32_e32 v91, v93
	v_dual_ashrrev_i32 v91, 31, v91 :: v_dual_bitop2_b32 v90, vcc_lo, v90 bitop3:0x14
	v_dual_lshlrev_b32 v94, 29, v92 :: v_dual_lshlrev_b32 v95, 28, v92
	v_dual_lshlrev_b32 v96, 27, v92 :: v_dual_lshlrev_b32 v97, 26, v92
	v_lshlrev_b32_e32 v166, 25, v92
	v_cmp_gt_i32_e64 s15, 0, v93
	s_delay_alu instid0(VALU_DEP_4)
	v_cmp_gt_i32_e64 s16, 0, v94
	v_not_b32_e32 v93, v94
	v_not_b32_e32 v94, v95
	v_lshlrev_b32_e32 v167, 24, v92
	v_cmp_gt_i32_e64 s17, 0, v95
	v_cmp_gt_i32_e64 s18, 0, v96
	v_not_b32_e32 v95, v96
	v_cmp_gt_i32_e64 s19, 0, v97
	v_not_b32_e32 v96, v97
	v_not_b32_e32 v97, v166
	v_dual_ashrrev_i32 v93, 31, v93 :: v_dual_ashrrev_i32 v94, 31, v94
	v_xor_b32_e32 v91, s15, v91
	s_delay_alu instid0(VALU_DEP_4) | instskip(NEXT) | instid1(VALU_DEP_3)
	v_dual_ashrrev_i32 v95, 31, v95 :: v_dual_ashrrev_i32 v96, 31, v96
	v_dual_ashrrev_i32 v97, 31, v97 :: v_dual_bitop2_b32 v94, s17, v94 bitop3:0x14
	s_delay_alu instid0(VALU_DEP_3)
	v_bitop3_b32 v90, v90, v91, exec_lo bitop3:0x80
	v_not_b32_e32 v91, v167
	v_xor_b32_e32 v93, s16, v93
	v_xor_b32_e32 v95, s18, v95
	;; [unrolled: 1-line block ×3, first 2 shown]
	v_cmp_gt_i32_e32 vcc_lo, 0, v166
	v_cmp_gt_i32_e64 s15, 0, v167
	v_ashrrev_i32_e32 v91, 31, v91
	v_bitop3_b32 v90, v90, v94, v93 bitop3:0x80
	v_add_nc_u32_e32 v167, 0x438, v120
	v_xor_b32_e32 v93, vcc_lo, v97
	s_delay_alu instid0(VALU_DEP_4) | instskip(NEXT) | instid1(VALU_DEP_4)
	v_xor_b32_e32 v91, s15, v91
	v_bitop3_b32 v90, v90, v96, v95 bitop3:0x80
	ds_store_2addr_b32 v167, v5, v5 offset1:1
	ds_store_2addr_b32 v168, v5, v5 offset1:1
	;; [unrolled: 1-line block ×4, first 2 shown]
	ds_store_b32 v120, v5 offset:1088
	s_wait_loadcnt_dscnt 0x0
	s_barrier_signal -1
	v_bitop3_b32 v90, v90, v91, v93 bitop3:0x80
	v_mul_u32_u24_e32 v91, 36, v92
	s_barrier_wait -1
	s_delay_alu instid0(VALU_DEP_2) | instskip(SKIP_1) | instid1(VALU_DEP_3)
	v_mbcnt_lo_u32_b32 v166, v90, 0
	v_cmp_ne_u32_e64 s15, 0, v90
	v_add_nc_u32_e32 v171, v148, v91
	; wave barrier
	s_delay_alu instid0(VALU_DEP_3) | instskip(SKIP_1) | instid1(SALU_CYCLE_1)
	v_cmp_eq_u32_e32 vcc_lo, 0, v166
	s_and_b32 s16, s15, vcc_lo
	s_and_saveexec_b32 s15, s16
; %bb.433:                              ;   in Loop: Header=BB730_396 Depth=2
	v_bcnt_u32_b32 v90, v90, 0
	ds_store_b32 v171, v90 offset:1056
; %bb.434:                              ;   in Loop: Header=BB730_396 Depth=2
	s_or_b32 exec_lo, exec_lo, s15
	v_xor_b32_e32 v63, 0x7fffffff, v63
	v_not_b32_e32 v62, v62
	; wave barrier
	s_delay_alu instid0(VALU_DEP_1) | instskip(NEXT) | instid1(VALU_DEP_1)
	v_lshrrev_b64 v[90:91], s48, v[62:63]
	v_bitop3_b32 v91, v90, 1, s56 bitop3:0x80
	v_and_b32_e32 v92, s56, v90
	s_delay_alu instid0(VALU_DEP_2) | instskip(NEXT) | instid1(VALU_DEP_1)
	v_add_co_u32 v90, s15, v91, -1
	v_cndmask_b32_e64 v91, 0, 1, s15
	s_delay_alu instid0(VALU_DEP_3) | instskip(NEXT) | instid1(VALU_DEP_2)
	v_lshlrev_b32_e32 v93, 30, v92
	v_cmp_ne_u32_e32 vcc_lo, 0, v91
	s_delay_alu instid0(VALU_DEP_2) | instskip(NEXT) | instid1(VALU_DEP_1)
	v_not_b32_e32 v91, v93
	v_dual_ashrrev_i32 v91, 31, v91 :: v_dual_bitop2_b32 v90, vcc_lo, v90 bitop3:0x14
	v_dual_lshlrev_b32 v94, 29, v92 :: v_dual_lshlrev_b32 v95, 28, v92
	v_dual_lshlrev_b32 v96, 27, v92 :: v_dual_lshlrev_b32 v97, 26, v92
	v_lshlrev_b32_e32 v172, 25, v92
	v_cmp_gt_i32_e64 s15, 0, v93
	s_delay_alu instid0(VALU_DEP_4)
	v_cmp_gt_i32_e64 s16, 0, v94
	v_not_b32_e32 v93, v94
	v_not_b32_e32 v94, v95
	v_lshlrev_b32_e32 v173, 24, v92
	v_cmp_gt_i32_e64 s17, 0, v95
	v_cmp_gt_i32_e64 s18, 0, v96
	v_not_b32_e32 v95, v96
	v_not_b32_e32 v96, v97
	v_dual_ashrrev_i32 v93, 31, v93 :: v_dual_ashrrev_i32 v94, 31, v94
	v_xor_b32_e32 v91, s15, v91
	v_cmp_gt_i32_e64 s19, 0, v97
	v_not_b32_e32 v97, v172
	s_delay_alu instid0(VALU_DEP_4) | instskip(SKIP_1) | instid1(VALU_DEP_3)
	v_dual_ashrrev_i32 v95, 31, v95 :: v_dual_bitop2_b32 v93, s16, v93 bitop3:0x14
	v_dual_ashrrev_i32 v96, 31, v96 :: v_dual_bitop2_b32 v94, s17, v94 bitop3:0x14
	v_ashrrev_i32_e32 v97, 31, v97
	v_bitop3_b32 v90, v90, v91, exec_lo bitop3:0x80
	v_not_b32_e32 v91, v173
	v_cmp_gt_i32_e64 s20, 0, v172
	v_xor_b32_e32 v95, s18, v95
	v_xor_b32_e32 v96, s19, v96
	v_bitop3_b32 v90, v90, v94, v93 bitop3:0x80
	v_cmp_gt_i32_e32 vcc_lo, 0, v173
	v_ashrrev_i32_e32 v91, 31, v91
	v_mad_u32_u24 v93, v92, 36, v148
	v_xor_b32_e32 v94, s20, v97
	v_bitop3_b32 v90, v90, v96, v95 bitop3:0x80
	s_delay_alu instid0(VALU_DEP_4) | instskip(SKIP_3) | instid1(VALU_DEP_2)
	v_xor_b32_e32 v91, vcc_lo, v91
	ds_load_b32 v172, v93 offset:1056
	; wave barrier
	v_bitop3_b32 v90, v90, v91, v94 bitop3:0x80
	v_mul_u32_u24_e32 v91, 36, v92
	v_mbcnt_lo_u32_b32 v173, v90, 0
	v_cmp_ne_u32_e64 s15, 0, v90
	s_delay_alu instid0(VALU_DEP_3) | instskip(NEXT) | instid1(VALU_DEP_3)
	v_add_nc_u32_e32 v174, v148, v91
	v_cmp_eq_u32_e32 vcc_lo, 0, v173
	s_and_b32 s16, s15, vcc_lo
	s_delay_alu instid0(SALU_CYCLE_1)
	s_and_saveexec_b32 s15, s16
	s_cbranch_execz .LBB730_436
; %bb.435:                              ;   in Loop: Header=BB730_396 Depth=2
	s_wait_dscnt 0x0
	v_bcnt_u32_b32 v90, v90, v172
	ds_store_b32 v174, v90 offset:1056
.LBB730_436:                            ;   in Loop: Header=BB730_396 Depth=2
	s_or_b32 exec_lo, exec_lo, s15
	v_xor_b32_e32 v65, 0x7fffffff, v65
	v_not_b32_e32 v64, v64
	; wave barrier
	s_delay_alu instid0(VALU_DEP_1) | instskip(NEXT) | instid1(VALU_DEP_1)
	v_lshrrev_b64 v[90:91], s48, v[64:65]
	v_bitop3_b32 v91, v90, 1, s56 bitop3:0x80
	v_and_b32_e32 v92, s56, v90
	s_delay_alu instid0(VALU_DEP_2) | instskip(NEXT) | instid1(VALU_DEP_1)
	v_add_co_u32 v90, s15, v91, -1
	v_cndmask_b32_e64 v91, 0, 1, s15
	s_delay_alu instid0(VALU_DEP_3) | instskip(NEXT) | instid1(VALU_DEP_2)
	v_lshlrev_b32_e32 v93, 30, v92
	v_cmp_ne_u32_e32 vcc_lo, 0, v91
	s_delay_alu instid0(VALU_DEP_2) | instskip(NEXT) | instid1(VALU_DEP_1)
	v_not_b32_e32 v91, v93
	v_dual_ashrrev_i32 v91, 31, v91 :: v_dual_bitop2_b32 v90, vcc_lo, v90 bitop3:0x14
	v_dual_lshlrev_b32 v94, 29, v92 :: v_dual_lshlrev_b32 v95, 28, v92
	v_dual_lshlrev_b32 v96, 27, v92 :: v_dual_lshlrev_b32 v97, 26, v92
	v_lshlrev_b32_e32 v175, 25, v92
	v_cmp_gt_i32_e64 s15, 0, v93
	s_delay_alu instid0(VALU_DEP_4)
	v_cmp_gt_i32_e64 s16, 0, v94
	v_not_b32_e32 v93, v94
	v_not_b32_e32 v94, v95
	v_lshlrev_b32_e32 v176, 24, v92
	v_cmp_gt_i32_e64 s17, 0, v95
	v_cmp_gt_i32_e64 s18, 0, v96
	v_not_b32_e32 v95, v96
	v_not_b32_e32 v96, v97
	v_dual_ashrrev_i32 v93, 31, v93 :: v_dual_ashrrev_i32 v94, 31, v94
	v_xor_b32_e32 v91, s15, v91
	v_cmp_gt_i32_e64 s19, 0, v97
	v_not_b32_e32 v97, v175
	s_delay_alu instid0(VALU_DEP_4) | instskip(SKIP_1) | instid1(VALU_DEP_3)
	v_dual_ashrrev_i32 v95, 31, v95 :: v_dual_bitop2_b32 v93, s16, v93 bitop3:0x14
	v_dual_ashrrev_i32 v96, 31, v96 :: v_dual_bitop2_b32 v94, s17, v94 bitop3:0x14
	v_ashrrev_i32_e32 v97, 31, v97
	v_bitop3_b32 v90, v90, v91, exec_lo bitop3:0x80
	v_not_b32_e32 v91, v176
	v_cmp_gt_i32_e64 s20, 0, v175
	v_xor_b32_e32 v95, s18, v95
	v_xor_b32_e32 v96, s19, v96
	v_bitop3_b32 v90, v90, v94, v93 bitop3:0x80
	v_cmp_gt_i32_e32 vcc_lo, 0, v176
	v_ashrrev_i32_e32 v91, 31, v91
	v_mad_u32_u24 v93, v92, 36, v148
	v_xor_b32_e32 v94, s20, v97
	v_bitop3_b32 v90, v90, v96, v95 bitop3:0x80
	s_delay_alu instid0(VALU_DEP_4) | instskip(SKIP_3) | instid1(VALU_DEP_2)
	v_xor_b32_e32 v91, vcc_lo, v91
	ds_load_b32 v175, v93 offset:1056
	; wave barrier
	v_bitop3_b32 v90, v90, v91, v94 bitop3:0x80
	v_mul_u32_u24_e32 v91, 36, v92
	v_mbcnt_lo_u32_b32 v176, v90, 0
	v_cmp_ne_u32_e64 s15, 0, v90
	s_delay_alu instid0(VALU_DEP_3) | instskip(NEXT) | instid1(VALU_DEP_3)
	v_add_nc_u32_e32 v177, v148, v91
	v_cmp_eq_u32_e32 vcc_lo, 0, v176
	s_and_b32 s16, s15, vcc_lo
	s_delay_alu instid0(SALU_CYCLE_1)
	s_and_saveexec_b32 s15, s16
	s_cbranch_execz .LBB730_438
; %bb.437:                              ;   in Loop: Header=BB730_396 Depth=2
	s_wait_dscnt 0x0
	v_bcnt_u32_b32 v90, v90, v175
	ds_store_b32 v177, v90 offset:1056
.LBB730_438:                            ;   in Loop: Header=BB730_396 Depth=2
	s_or_b32 exec_lo, exec_lo, s15
	v_xor_b32_e32 v71, 0x7fffffff, v71
	v_not_b32_e32 v70, v70
	; wave barrier
	s_delay_alu instid0(VALU_DEP_1) | instskip(NEXT) | instid1(VALU_DEP_1)
	v_lshrrev_b64 v[90:91], s48, v[70:71]
	v_bitop3_b32 v91, v90, 1, s56 bitop3:0x80
	v_and_b32_e32 v92, s56, v90
	s_delay_alu instid0(VALU_DEP_2) | instskip(NEXT) | instid1(VALU_DEP_1)
	v_add_co_u32 v90, s15, v91, -1
	v_cndmask_b32_e64 v91, 0, 1, s15
	s_delay_alu instid0(VALU_DEP_3) | instskip(NEXT) | instid1(VALU_DEP_2)
	v_lshlrev_b32_e32 v93, 30, v92
	v_cmp_ne_u32_e32 vcc_lo, 0, v91
	s_delay_alu instid0(VALU_DEP_2) | instskip(NEXT) | instid1(VALU_DEP_1)
	v_not_b32_e32 v91, v93
	v_dual_ashrrev_i32 v91, 31, v91 :: v_dual_bitop2_b32 v90, vcc_lo, v90 bitop3:0x14
	v_dual_lshlrev_b32 v94, 29, v92 :: v_dual_lshlrev_b32 v95, 28, v92
	v_dual_lshlrev_b32 v96, 27, v92 :: v_dual_lshlrev_b32 v97, 26, v92
	v_lshlrev_b32_e32 v178, 25, v92
	v_cmp_gt_i32_e64 s15, 0, v93
	s_delay_alu instid0(VALU_DEP_4)
	v_cmp_gt_i32_e64 s16, 0, v94
	v_not_b32_e32 v93, v94
	v_not_b32_e32 v94, v95
	v_lshlrev_b32_e32 v179, 24, v92
	v_cmp_gt_i32_e64 s17, 0, v95
	v_cmp_gt_i32_e64 s18, 0, v96
	v_not_b32_e32 v95, v96
	v_not_b32_e32 v96, v97
	v_dual_ashrrev_i32 v93, 31, v93 :: v_dual_ashrrev_i32 v94, 31, v94
	v_xor_b32_e32 v91, s15, v91
	v_cmp_gt_i32_e64 s19, 0, v97
	v_not_b32_e32 v97, v178
	s_delay_alu instid0(VALU_DEP_4) | instskip(SKIP_1) | instid1(VALU_DEP_3)
	v_dual_ashrrev_i32 v95, 31, v95 :: v_dual_bitop2_b32 v93, s16, v93 bitop3:0x14
	v_dual_ashrrev_i32 v96, 31, v96 :: v_dual_bitop2_b32 v94, s17, v94 bitop3:0x14
	v_ashrrev_i32_e32 v97, 31, v97
	v_bitop3_b32 v90, v90, v91, exec_lo bitop3:0x80
	v_not_b32_e32 v91, v179
	v_cmp_gt_i32_e64 s20, 0, v178
	v_xor_b32_e32 v95, s18, v95
	v_xor_b32_e32 v96, s19, v96
	v_bitop3_b32 v90, v90, v94, v93 bitop3:0x80
	v_cmp_gt_i32_e32 vcc_lo, 0, v179
	v_ashrrev_i32_e32 v91, 31, v91
	v_mad_u32_u24 v93, v92, 36, v148
	v_xor_b32_e32 v94, s20, v97
	v_bitop3_b32 v90, v90, v96, v95 bitop3:0x80
	s_delay_alu instid0(VALU_DEP_4) | instskip(SKIP_3) | instid1(VALU_DEP_2)
	v_xor_b32_e32 v91, vcc_lo, v91
	ds_load_b32 v178, v93 offset:1056
	; wave barrier
	v_bitop3_b32 v90, v90, v91, v94 bitop3:0x80
	v_mul_u32_u24_e32 v91, 36, v92
	v_mbcnt_lo_u32_b32 v179, v90, 0
	v_cmp_ne_u32_e64 s15, 0, v90
	s_delay_alu instid0(VALU_DEP_3) | instskip(NEXT) | instid1(VALU_DEP_3)
	v_add_nc_u32_e32 v180, v148, v91
	v_cmp_eq_u32_e32 vcc_lo, 0, v179
	s_and_b32 s16, s15, vcc_lo
	s_delay_alu instid0(SALU_CYCLE_1)
	s_and_saveexec_b32 s15, s16
	s_cbranch_execz .LBB730_440
; %bb.439:                              ;   in Loop: Header=BB730_396 Depth=2
	s_wait_dscnt 0x0
	v_bcnt_u32_b32 v90, v90, v178
	ds_store_b32 v180, v90 offset:1056
.LBB730_440:                            ;   in Loop: Header=BB730_396 Depth=2
	s_or_b32 exec_lo, exec_lo, s15
	v_xor_b32_e32 v75, 0x7fffffff, v75
	v_not_b32_e32 v74, v74
	; wave barrier
	s_delay_alu instid0(VALU_DEP_1) | instskip(NEXT) | instid1(VALU_DEP_1)
	v_lshrrev_b64 v[90:91], s48, v[74:75]
	v_bitop3_b32 v91, v90, 1, s56 bitop3:0x80
	v_and_b32_e32 v92, s56, v90
	s_delay_alu instid0(VALU_DEP_2) | instskip(NEXT) | instid1(VALU_DEP_1)
	v_add_co_u32 v90, s15, v91, -1
	v_cndmask_b32_e64 v91, 0, 1, s15
	s_delay_alu instid0(VALU_DEP_3) | instskip(NEXT) | instid1(VALU_DEP_2)
	v_lshlrev_b32_e32 v93, 30, v92
	v_cmp_ne_u32_e32 vcc_lo, 0, v91
	s_delay_alu instid0(VALU_DEP_2) | instskip(NEXT) | instid1(VALU_DEP_1)
	v_not_b32_e32 v91, v93
	v_dual_ashrrev_i32 v91, 31, v91 :: v_dual_bitop2_b32 v90, vcc_lo, v90 bitop3:0x14
	v_dual_lshlrev_b32 v94, 29, v92 :: v_dual_lshlrev_b32 v95, 28, v92
	v_dual_lshlrev_b32 v96, 27, v92 :: v_dual_lshlrev_b32 v97, 26, v92
	v_lshlrev_b32_e32 v181, 25, v92
	v_cmp_gt_i32_e64 s15, 0, v93
	s_delay_alu instid0(VALU_DEP_4)
	v_cmp_gt_i32_e64 s16, 0, v94
	v_not_b32_e32 v93, v94
	v_not_b32_e32 v94, v95
	v_lshlrev_b32_e32 v182, 24, v92
	v_cmp_gt_i32_e64 s17, 0, v95
	v_cmp_gt_i32_e64 s18, 0, v96
	v_not_b32_e32 v95, v96
	v_not_b32_e32 v96, v97
	v_dual_ashrrev_i32 v93, 31, v93 :: v_dual_ashrrev_i32 v94, 31, v94
	v_xor_b32_e32 v91, s15, v91
	v_cmp_gt_i32_e64 s19, 0, v97
	v_not_b32_e32 v97, v181
	s_delay_alu instid0(VALU_DEP_4) | instskip(SKIP_1) | instid1(VALU_DEP_3)
	v_dual_ashrrev_i32 v95, 31, v95 :: v_dual_bitop2_b32 v93, s16, v93 bitop3:0x14
	v_dual_ashrrev_i32 v96, 31, v96 :: v_dual_bitop2_b32 v94, s17, v94 bitop3:0x14
	v_ashrrev_i32_e32 v97, 31, v97
	v_bitop3_b32 v90, v90, v91, exec_lo bitop3:0x80
	v_not_b32_e32 v91, v182
	v_cmp_gt_i32_e64 s20, 0, v181
	v_xor_b32_e32 v95, s18, v95
	v_xor_b32_e32 v96, s19, v96
	v_bitop3_b32 v90, v90, v94, v93 bitop3:0x80
	v_cmp_gt_i32_e32 vcc_lo, 0, v182
	v_ashrrev_i32_e32 v91, 31, v91
	v_mad_u32_u24 v93, v92, 36, v148
	v_xor_b32_e32 v94, s20, v97
	v_bitop3_b32 v90, v90, v96, v95 bitop3:0x80
	s_delay_alu instid0(VALU_DEP_4) | instskip(SKIP_3) | instid1(VALU_DEP_2)
	v_xor_b32_e32 v91, vcc_lo, v91
	ds_load_b32 v181, v93 offset:1056
	; wave barrier
	v_bitop3_b32 v90, v90, v91, v94 bitop3:0x80
	v_mul_u32_u24_e32 v91, 36, v92
	v_mbcnt_lo_u32_b32 v182, v90, 0
	v_cmp_ne_u32_e64 s15, 0, v90
	s_delay_alu instid0(VALU_DEP_3) | instskip(NEXT) | instid1(VALU_DEP_3)
	v_add_nc_u32_e32 v183, v148, v91
	v_cmp_eq_u32_e32 vcc_lo, 0, v182
	s_and_b32 s16, s15, vcc_lo
	s_delay_alu instid0(SALU_CYCLE_1)
	s_and_saveexec_b32 s15, s16
	s_cbranch_execz .LBB730_442
; %bb.441:                              ;   in Loop: Header=BB730_396 Depth=2
	s_wait_dscnt 0x0
	v_bcnt_u32_b32 v90, v90, v181
	ds_store_b32 v183, v90 offset:1056
.LBB730_442:                            ;   in Loop: Header=BB730_396 Depth=2
	s_or_b32 exec_lo, exec_lo, s15
	v_xor_b32_e32 v79, 0x7fffffff, v79
	v_not_b32_e32 v78, v78
	; wave barrier
	s_delay_alu instid0(VALU_DEP_1) | instskip(NEXT) | instid1(VALU_DEP_1)
	v_lshrrev_b64 v[90:91], s48, v[78:79]
	v_bitop3_b32 v91, v90, 1, s56 bitop3:0x80
	v_and_b32_e32 v92, s56, v90
	s_delay_alu instid0(VALU_DEP_2) | instskip(NEXT) | instid1(VALU_DEP_1)
	v_add_co_u32 v90, s15, v91, -1
	v_cndmask_b32_e64 v91, 0, 1, s15
	s_delay_alu instid0(VALU_DEP_3) | instskip(NEXT) | instid1(VALU_DEP_2)
	v_lshlrev_b32_e32 v93, 30, v92
	v_cmp_ne_u32_e32 vcc_lo, 0, v91
	s_delay_alu instid0(VALU_DEP_2) | instskip(NEXT) | instid1(VALU_DEP_1)
	v_not_b32_e32 v91, v93
	v_dual_ashrrev_i32 v91, 31, v91 :: v_dual_bitop2_b32 v90, vcc_lo, v90 bitop3:0x14
	v_dual_lshlrev_b32 v94, 29, v92 :: v_dual_lshlrev_b32 v95, 28, v92
	v_dual_lshlrev_b32 v96, 27, v92 :: v_dual_lshlrev_b32 v97, 26, v92
	v_lshlrev_b32_e32 v184, 25, v92
	v_cmp_gt_i32_e64 s15, 0, v93
	s_delay_alu instid0(VALU_DEP_4)
	v_cmp_gt_i32_e64 s16, 0, v94
	v_not_b32_e32 v93, v94
	v_not_b32_e32 v94, v95
	v_lshlrev_b32_e32 v185, 24, v92
	v_cmp_gt_i32_e64 s17, 0, v95
	v_cmp_gt_i32_e64 s18, 0, v96
	v_not_b32_e32 v95, v96
	v_not_b32_e32 v96, v97
	v_dual_ashrrev_i32 v93, 31, v93 :: v_dual_ashrrev_i32 v94, 31, v94
	v_xor_b32_e32 v91, s15, v91
	v_cmp_gt_i32_e64 s19, 0, v97
	v_not_b32_e32 v97, v184
	s_delay_alu instid0(VALU_DEP_4) | instskip(SKIP_1) | instid1(VALU_DEP_3)
	v_dual_ashrrev_i32 v95, 31, v95 :: v_dual_bitop2_b32 v93, s16, v93 bitop3:0x14
	v_dual_ashrrev_i32 v96, 31, v96 :: v_dual_bitop2_b32 v94, s17, v94 bitop3:0x14
	v_ashrrev_i32_e32 v97, 31, v97
	v_bitop3_b32 v90, v90, v91, exec_lo bitop3:0x80
	v_not_b32_e32 v91, v185
	v_cmp_gt_i32_e64 s20, 0, v184
	v_xor_b32_e32 v95, s18, v95
	v_xor_b32_e32 v96, s19, v96
	v_bitop3_b32 v90, v90, v94, v93 bitop3:0x80
	v_cmp_gt_i32_e32 vcc_lo, 0, v185
	v_ashrrev_i32_e32 v91, 31, v91
	v_mad_u32_u24 v93, v92, 36, v148
	v_xor_b32_e32 v94, s20, v97
	v_bitop3_b32 v90, v90, v96, v95 bitop3:0x80
	s_delay_alu instid0(VALU_DEP_4) | instskip(SKIP_3) | instid1(VALU_DEP_2)
	v_xor_b32_e32 v91, vcc_lo, v91
	ds_load_b32 v184, v93 offset:1056
	; wave barrier
	v_bitop3_b32 v90, v90, v91, v94 bitop3:0x80
	v_mul_u32_u24_e32 v91, 36, v92
	v_mbcnt_lo_u32_b32 v185, v90, 0
	v_cmp_ne_u32_e64 s15, 0, v90
	s_delay_alu instid0(VALU_DEP_3) | instskip(NEXT) | instid1(VALU_DEP_3)
	v_add_nc_u32_e32 v186, v148, v91
	v_cmp_eq_u32_e32 vcc_lo, 0, v185
	s_and_b32 s16, s15, vcc_lo
	s_delay_alu instid0(SALU_CYCLE_1)
	s_and_saveexec_b32 s15, s16
	s_cbranch_execz .LBB730_444
; %bb.443:                              ;   in Loop: Header=BB730_396 Depth=2
	s_wait_dscnt 0x0
	v_bcnt_u32_b32 v90, v90, v184
	ds_store_b32 v186, v90 offset:1056
.LBB730_444:                            ;   in Loop: Header=BB730_396 Depth=2
	s_or_b32 exec_lo, exec_lo, s15
	v_xor_b32_e32 v83, 0x7fffffff, v83
	v_not_b32_e32 v82, v82
	; wave barrier
	s_delay_alu instid0(VALU_DEP_1) | instskip(NEXT) | instid1(VALU_DEP_1)
	v_lshrrev_b64 v[90:91], s48, v[82:83]
	v_bitop3_b32 v91, v90, 1, s56 bitop3:0x80
	v_and_b32_e32 v92, s56, v90
	s_delay_alu instid0(VALU_DEP_2) | instskip(NEXT) | instid1(VALU_DEP_1)
	v_add_co_u32 v90, s15, v91, -1
	v_cndmask_b32_e64 v91, 0, 1, s15
	s_delay_alu instid0(VALU_DEP_3) | instskip(NEXT) | instid1(VALU_DEP_2)
	v_lshlrev_b32_e32 v93, 30, v92
	v_cmp_ne_u32_e32 vcc_lo, 0, v91
	s_delay_alu instid0(VALU_DEP_2) | instskip(NEXT) | instid1(VALU_DEP_1)
	v_not_b32_e32 v91, v93
	v_dual_ashrrev_i32 v91, 31, v91 :: v_dual_bitop2_b32 v90, vcc_lo, v90 bitop3:0x14
	v_dual_lshlrev_b32 v94, 29, v92 :: v_dual_lshlrev_b32 v95, 28, v92
	v_dual_lshlrev_b32 v96, 27, v92 :: v_dual_lshlrev_b32 v97, 26, v92
	v_lshlrev_b32_e32 v187, 25, v92
	v_cmp_gt_i32_e64 s15, 0, v93
	s_delay_alu instid0(VALU_DEP_4)
	v_cmp_gt_i32_e64 s16, 0, v94
	v_not_b32_e32 v93, v94
	v_not_b32_e32 v94, v95
	v_lshlrev_b32_e32 v188, 24, v92
	v_cmp_gt_i32_e64 s17, 0, v95
	v_cmp_gt_i32_e64 s18, 0, v96
	v_not_b32_e32 v95, v96
	v_not_b32_e32 v96, v97
	v_dual_ashrrev_i32 v93, 31, v93 :: v_dual_ashrrev_i32 v94, 31, v94
	v_xor_b32_e32 v91, s15, v91
	v_cmp_gt_i32_e64 s19, 0, v97
	v_not_b32_e32 v97, v187
	s_delay_alu instid0(VALU_DEP_4) | instskip(SKIP_1) | instid1(VALU_DEP_3)
	v_dual_ashrrev_i32 v95, 31, v95 :: v_dual_bitop2_b32 v93, s16, v93 bitop3:0x14
	v_dual_ashrrev_i32 v96, 31, v96 :: v_dual_bitop2_b32 v94, s17, v94 bitop3:0x14
	v_ashrrev_i32_e32 v97, 31, v97
	v_bitop3_b32 v90, v90, v91, exec_lo bitop3:0x80
	v_not_b32_e32 v91, v188
	v_cmp_gt_i32_e64 s20, 0, v187
	v_xor_b32_e32 v95, s18, v95
	v_xor_b32_e32 v96, s19, v96
	v_bitop3_b32 v90, v90, v94, v93 bitop3:0x80
	v_cmp_gt_i32_e32 vcc_lo, 0, v188
	v_ashrrev_i32_e32 v91, 31, v91
	v_mad_u32_u24 v93, v92, 36, v148
	v_xor_b32_e32 v94, s20, v97
	v_bitop3_b32 v90, v90, v96, v95 bitop3:0x80
	s_delay_alu instid0(VALU_DEP_4) | instskip(SKIP_3) | instid1(VALU_DEP_2)
	v_xor_b32_e32 v91, vcc_lo, v91
	ds_load_b32 v187, v93 offset:1056
	; wave barrier
	v_bitop3_b32 v90, v90, v91, v94 bitop3:0x80
	v_mul_u32_u24_e32 v91, 36, v92
	v_mbcnt_lo_u32_b32 v188, v90, 0
	v_cmp_ne_u32_e64 s15, 0, v90
	s_delay_alu instid0(VALU_DEP_3) | instskip(NEXT) | instid1(VALU_DEP_3)
	v_add_nc_u32_e32 v189, v148, v91
	v_cmp_eq_u32_e32 vcc_lo, 0, v188
	s_and_b32 s16, s15, vcc_lo
	s_delay_alu instid0(SALU_CYCLE_1)
	s_and_saveexec_b32 s15, s16
	s_cbranch_execz .LBB730_446
; %bb.445:                              ;   in Loop: Header=BB730_396 Depth=2
	s_wait_dscnt 0x0
	v_bcnt_u32_b32 v90, v90, v187
	ds_store_b32 v189, v90 offset:1056
.LBB730_446:                            ;   in Loop: Header=BB730_396 Depth=2
	s_or_b32 exec_lo, exec_lo, s15
	v_xor_b32_e32 v87, 0x7fffffff, v87
	v_not_b32_e32 v86, v86
	; wave barrier
	s_delay_alu instid0(VALU_DEP_1) | instskip(NEXT) | instid1(VALU_DEP_1)
	v_lshrrev_b64 v[90:91], s48, v[86:87]
	v_bitop3_b32 v91, v90, 1, s56 bitop3:0x80
	v_and_b32_e32 v92, s56, v90
	s_delay_alu instid0(VALU_DEP_2) | instskip(NEXT) | instid1(VALU_DEP_1)
	v_add_co_u32 v90, s15, v91, -1
	v_cndmask_b32_e64 v91, 0, 1, s15
	s_delay_alu instid0(VALU_DEP_3) | instskip(NEXT) | instid1(VALU_DEP_2)
	v_lshlrev_b32_e32 v93, 30, v92
	v_cmp_ne_u32_e32 vcc_lo, 0, v91
	s_delay_alu instid0(VALU_DEP_2) | instskip(NEXT) | instid1(VALU_DEP_1)
	v_not_b32_e32 v91, v93
	v_dual_ashrrev_i32 v91, 31, v91 :: v_dual_bitop2_b32 v90, vcc_lo, v90 bitop3:0x14
	v_dual_lshlrev_b32 v94, 29, v92 :: v_dual_lshlrev_b32 v95, 28, v92
	v_dual_lshlrev_b32 v96, 27, v92 :: v_dual_lshlrev_b32 v97, 26, v92
	v_lshlrev_b32_e32 v190, 25, v92
	v_cmp_gt_i32_e64 s15, 0, v93
	s_delay_alu instid0(VALU_DEP_4)
	v_cmp_gt_i32_e64 s16, 0, v94
	v_not_b32_e32 v93, v94
	v_not_b32_e32 v94, v95
	v_lshlrev_b32_e32 v191, 24, v92
	v_cmp_gt_i32_e64 s17, 0, v95
	v_cmp_gt_i32_e64 s18, 0, v96
	v_not_b32_e32 v95, v96
	v_not_b32_e32 v96, v97
	v_dual_ashrrev_i32 v93, 31, v93 :: v_dual_ashrrev_i32 v94, 31, v94
	v_xor_b32_e32 v91, s15, v91
	v_cmp_gt_i32_e64 s19, 0, v97
	v_not_b32_e32 v97, v190
	s_delay_alu instid0(VALU_DEP_4) | instskip(SKIP_1) | instid1(VALU_DEP_3)
	v_dual_ashrrev_i32 v95, 31, v95 :: v_dual_bitop2_b32 v93, s16, v93 bitop3:0x14
	v_dual_ashrrev_i32 v96, 31, v96 :: v_dual_bitop2_b32 v94, s17, v94 bitop3:0x14
	v_ashrrev_i32_e32 v97, 31, v97
	v_bitop3_b32 v90, v90, v91, exec_lo bitop3:0x80
	v_not_b32_e32 v91, v191
	v_cmp_gt_i32_e64 s20, 0, v190
	v_xor_b32_e32 v95, s18, v95
	v_xor_b32_e32 v96, s19, v96
	v_bitop3_b32 v90, v90, v94, v93 bitop3:0x80
	v_cmp_gt_i32_e32 vcc_lo, 0, v191
	v_ashrrev_i32_e32 v91, 31, v91
	v_mad_u32_u24 v93, v92, 36, v148
	v_xor_b32_e32 v94, s20, v97
	v_bitop3_b32 v90, v90, v96, v95 bitop3:0x80
	s_delay_alu instid0(VALU_DEP_4) | instskip(SKIP_3) | instid1(VALU_DEP_2)
	v_xor_b32_e32 v91, vcc_lo, v91
	ds_load_b32 v190, v93 offset:1056
	; wave barrier
	v_bitop3_b32 v90, v90, v91, v94 bitop3:0x80
	v_mul_u32_u24_e32 v91, 36, v92
	v_mbcnt_lo_u32_b32 v191, v90, 0
	v_cmp_ne_u32_e64 s15, 0, v90
	s_delay_alu instid0(VALU_DEP_3) | instskip(NEXT) | instid1(VALU_DEP_3)
	v_add_nc_u32_e32 v192, v148, v91
	v_cmp_eq_u32_e32 vcc_lo, 0, v191
	s_and_b32 s16, s15, vcc_lo
	s_delay_alu instid0(SALU_CYCLE_1)
	s_and_saveexec_b32 s15, s16
	s_cbranch_execz .LBB730_448
; %bb.447:                              ;   in Loop: Header=BB730_396 Depth=2
	s_wait_dscnt 0x0
	v_bcnt_u32_b32 v90, v90, v190
	ds_store_b32 v192, v90 offset:1056
.LBB730_448:                            ;   in Loop: Header=BB730_396 Depth=2
	s_or_b32 exec_lo, exec_lo, s15
	v_xor_b32_e32 v89, 0x7fffffff, v89
	v_not_b32_e32 v88, v88
	; wave barrier
	s_delay_alu instid0(VALU_DEP_1) | instskip(NEXT) | instid1(VALU_DEP_1)
	v_lshrrev_b64 v[90:91], s48, v[88:89]
	v_bitop3_b32 v91, v90, 1, s56 bitop3:0x80
	v_and_b32_e32 v92, s56, v90
	s_delay_alu instid0(VALU_DEP_2) | instskip(NEXT) | instid1(VALU_DEP_1)
	v_add_co_u32 v90, s15, v91, -1
	v_cndmask_b32_e64 v91, 0, 1, s15
	s_delay_alu instid0(VALU_DEP_3) | instskip(NEXT) | instid1(VALU_DEP_2)
	v_lshlrev_b32_e32 v93, 30, v92
	v_cmp_ne_u32_e32 vcc_lo, 0, v91
	s_delay_alu instid0(VALU_DEP_2) | instskip(NEXT) | instid1(VALU_DEP_1)
	v_not_b32_e32 v91, v93
	v_dual_ashrrev_i32 v91, 31, v91 :: v_dual_bitop2_b32 v90, vcc_lo, v90 bitop3:0x14
	v_dual_lshlrev_b32 v94, 29, v92 :: v_dual_lshlrev_b32 v95, 28, v92
	v_dual_lshlrev_b32 v96, 27, v92 :: v_dual_lshlrev_b32 v97, 26, v92
	v_lshlrev_b32_e32 v193, 25, v92
	v_cmp_gt_i32_e64 s15, 0, v93
	s_delay_alu instid0(VALU_DEP_4)
	v_cmp_gt_i32_e64 s16, 0, v94
	v_not_b32_e32 v93, v94
	v_not_b32_e32 v94, v95
	v_lshlrev_b32_e32 v194, 24, v92
	v_cmp_gt_i32_e64 s17, 0, v95
	v_cmp_gt_i32_e64 s18, 0, v96
	v_not_b32_e32 v95, v96
	v_not_b32_e32 v96, v97
	v_dual_ashrrev_i32 v93, 31, v93 :: v_dual_ashrrev_i32 v94, 31, v94
	v_xor_b32_e32 v91, s15, v91
	v_cmp_gt_i32_e64 s19, 0, v97
	v_not_b32_e32 v97, v193
	s_delay_alu instid0(VALU_DEP_4) | instskip(SKIP_1) | instid1(VALU_DEP_3)
	v_dual_ashrrev_i32 v95, 31, v95 :: v_dual_bitop2_b32 v93, s16, v93 bitop3:0x14
	v_dual_ashrrev_i32 v96, 31, v96 :: v_dual_bitop2_b32 v94, s17, v94 bitop3:0x14
	v_ashrrev_i32_e32 v97, 31, v97
	v_bitop3_b32 v90, v90, v91, exec_lo bitop3:0x80
	v_not_b32_e32 v91, v194
	v_cmp_gt_i32_e64 s20, 0, v193
	v_xor_b32_e32 v95, s18, v95
	v_xor_b32_e32 v96, s19, v96
	v_bitop3_b32 v90, v90, v94, v93 bitop3:0x80
	v_cmp_gt_i32_e32 vcc_lo, 0, v194
	v_ashrrev_i32_e32 v91, 31, v91
	v_mad_u32_u24 v93, v92, 36, v148
	v_xor_b32_e32 v94, s20, v97
	v_bitop3_b32 v90, v90, v96, v95 bitop3:0x80
	s_delay_alu instid0(VALU_DEP_4) | instskip(SKIP_3) | instid1(VALU_DEP_2)
	v_xor_b32_e32 v91, vcc_lo, v91
	ds_load_b32 v193, v93 offset:1056
	; wave barrier
	v_bitop3_b32 v90, v90, v91, v94 bitop3:0x80
	v_mul_u32_u24_e32 v91, 36, v92
	v_mbcnt_lo_u32_b32 v194, v90, 0
	v_cmp_ne_u32_e64 s15, 0, v90
	s_delay_alu instid0(VALU_DEP_3) | instskip(NEXT) | instid1(VALU_DEP_3)
	v_add_nc_u32_e32 v195, v148, v91
	v_cmp_eq_u32_e32 vcc_lo, 0, v194
	s_and_b32 s16, s15, vcc_lo
	s_delay_alu instid0(SALU_CYCLE_1)
	s_and_saveexec_b32 s15, s16
	s_cbranch_execz .LBB730_450
; %bb.449:                              ;   in Loop: Header=BB730_396 Depth=2
	s_wait_dscnt 0x0
	v_bcnt_u32_b32 v90, v90, v193
	ds_store_b32 v195, v90 offset:1056
.LBB730_450:                            ;   in Loop: Header=BB730_396 Depth=2
	s_or_b32 exec_lo, exec_lo, s15
	v_xor_b32_e32 v85, 0x7fffffff, v85
	v_not_b32_e32 v84, v84
	; wave barrier
	s_delay_alu instid0(VALU_DEP_1) | instskip(NEXT) | instid1(VALU_DEP_1)
	v_lshrrev_b64 v[90:91], s48, v[84:85]
	v_bitop3_b32 v91, v90, 1, s56 bitop3:0x80
	v_and_b32_e32 v92, s56, v90
	s_delay_alu instid0(VALU_DEP_2) | instskip(NEXT) | instid1(VALU_DEP_1)
	v_add_co_u32 v90, s15, v91, -1
	v_cndmask_b32_e64 v91, 0, 1, s15
	s_delay_alu instid0(VALU_DEP_3) | instskip(NEXT) | instid1(VALU_DEP_2)
	v_lshlrev_b32_e32 v93, 30, v92
	v_cmp_ne_u32_e32 vcc_lo, 0, v91
	s_delay_alu instid0(VALU_DEP_2) | instskip(NEXT) | instid1(VALU_DEP_1)
	v_not_b32_e32 v91, v93
	v_dual_ashrrev_i32 v91, 31, v91 :: v_dual_bitop2_b32 v90, vcc_lo, v90 bitop3:0x14
	v_dual_lshlrev_b32 v94, 29, v92 :: v_dual_lshlrev_b32 v95, 28, v92
	v_dual_lshlrev_b32 v96, 27, v92 :: v_dual_lshlrev_b32 v97, 26, v92
	v_lshlrev_b32_e32 v196, 25, v92
	v_cmp_gt_i32_e64 s15, 0, v93
	s_delay_alu instid0(VALU_DEP_4)
	v_cmp_gt_i32_e64 s16, 0, v94
	v_not_b32_e32 v93, v94
	v_not_b32_e32 v94, v95
	v_lshlrev_b32_e32 v197, 24, v92
	v_cmp_gt_i32_e64 s17, 0, v95
	v_cmp_gt_i32_e64 s18, 0, v96
	v_not_b32_e32 v95, v96
	v_not_b32_e32 v96, v97
	v_dual_ashrrev_i32 v93, 31, v93 :: v_dual_ashrrev_i32 v94, 31, v94
	v_xor_b32_e32 v91, s15, v91
	v_cmp_gt_i32_e64 s19, 0, v97
	v_not_b32_e32 v97, v196
	s_delay_alu instid0(VALU_DEP_4) | instskip(SKIP_1) | instid1(VALU_DEP_3)
	v_dual_ashrrev_i32 v95, 31, v95 :: v_dual_bitop2_b32 v93, s16, v93 bitop3:0x14
	v_dual_ashrrev_i32 v96, 31, v96 :: v_dual_bitop2_b32 v94, s17, v94 bitop3:0x14
	v_ashrrev_i32_e32 v97, 31, v97
	v_bitop3_b32 v90, v90, v91, exec_lo bitop3:0x80
	v_not_b32_e32 v91, v197
	v_cmp_gt_i32_e64 s20, 0, v196
	v_xor_b32_e32 v95, s18, v95
	v_xor_b32_e32 v96, s19, v96
	v_bitop3_b32 v90, v90, v94, v93 bitop3:0x80
	v_cmp_gt_i32_e32 vcc_lo, 0, v197
	v_ashrrev_i32_e32 v91, 31, v91
	v_mad_u32_u24 v93, v92, 36, v148
	v_xor_b32_e32 v94, s20, v97
	v_bitop3_b32 v90, v90, v96, v95 bitop3:0x80
	s_delay_alu instid0(VALU_DEP_4) | instskip(SKIP_3) | instid1(VALU_DEP_2)
	v_xor_b32_e32 v91, vcc_lo, v91
	ds_load_b32 v196, v93 offset:1056
	; wave barrier
	v_bitop3_b32 v90, v90, v91, v94 bitop3:0x80
	v_mul_u32_u24_e32 v91, 36, v92
	v_mbcnt_lo_u32_b32 v197, v90, 0
	v_cmp_ne_u32_e64 s15, 0, v90
	s_delay_alu instid0(VALU_DEP_3) | instskip(NEXT) | instid1(VALU_DEP_3)
	v_add_nc_u32_e32 v198, v148, v91
	v_cmp_eq_u32_e32 vcc_lo, 0, v197
	s_and_b32 s16, s15, vcc_lo
	s_delay_alu instid0(SALU_CYCLE_1)
	s_and_saveexec_b32 s15, s16
	s_cbranch_execz .LBB730_452
; %bb.451:                              ;   in Loop: Header=BB730_396 Depth=2
	s_wait_dscnt 0x0
	v_bcnt_u32_b32 v90, v90, v196
	ds_store_b32 v198, v90 offset:1056
.LBB730_452:                            ;   in Loop: Header=BB730_396 Depth=2
	s_or_b32 exec_lo, exec_lo, s15
	v_xor_b32_e32 v81, 0x7fffffff, v81
	v_not_b32_e32 v80, v80
	; wave barrier
	s_delay_alu instid0(VALU_DEP_1) | instskip(NEXT) | instid1(VALU_DEP_1)
	v_lshrrev_b64 v[90:91], s48, v[80:81]
	v_bitop3_b32 v91, v90, 1, s56 bitop3:0x80
	v_and_b32_e32 v92, s56, v90
	s_delay_alu instid0(VALU_DEP_2) | instskip(NEXT) | instid1(VALU_DEP_1)
	v_add_co_u32 v90, s15, v91, -1
	v_cndmask_b32_e64 v91, 0, 1, s15
	s_delay_alu instid0(VALU_DEP_3) | instskip(NEXT) | instid1(VALU_DEP_2)
	v_lshlrev_b32_e32 v93, 30, v92
	v_cmp_ne_u32_e32 vcc_lo, 0, v91
	s_delay_alu instid0(VALU_DEP_2) | instskip(NEXT) | instid1(VALU_DEP_1)
	v_not_b32_e32 v91, v93
	v_dual_ashrrev_i32 v91, 31, v91 :: v_dual_bitop2_b32 v90, vcc_lo, v90 bitop3:0x14
	v_dual_lshlrev_b32 v94, 29, v92 :: v_dual_lshlrev_b32 v95, 28, v92
	v_dual_lshlrev_b32 v96, 27, v92 :: v_dual_lshlrev_b32 v97, 26, v92
	v_lshlrev_b32_e32 v199, 25, v92
	v_cmp_gt_i32_e64 s15, 0, v93
	s_delay_alu instid0(VALU_DEP_4)
	v_cmp_gt_i32_e64 s16, 0, v94
	v_not_b32_e32 v93, v94
	v_not_b32_e32 v94, v95
	v_lshlrev_b32_e32 v200, 24, v92
	v_cmp_gt_i32_e64 s17, 0, v95
	v_cmp_gt_i32_e64 s18, 0, v96
	v_not_b32_e32 v95, v96
	v_not_b32_e32 v96, v97
	v_dual_ashrrev_i32 v93, 31, v93 :: v_dual_ashrrev_i32 v94, 31, v94
	v_xor_b32_e32 v91, s15, v91
	v_cmp_gt_i32_e64 s19, 0, v97
	v_not_b32_e32 v97, v199
	s_delay_alu instid0(VALU_DEP_4) | instskip(SKIP_1) | instid1(VALU_DEP_3)
	v_dual_ashrrev_i32 v95, 31, v95 :: v_dual_bitop2_b32 v93, s16, v93 bitop3:0x14
	v_dual_ashrrev_i32 v96, 31, v96 :: v_dual_bitop2_b32 v94, s17, v94 bitop3:0x14
	v_ashrrev_i32_e32 v97, 31, v97
	v_bitop3_b32 v90, v90, v91, exec_lo bitop3:0x80
	v_not_b32_e32 v91, v200
	v_cmp_gt_i32_e64 s20, 0, v199
	v_xor_b32_e32 v95, s18, v95
	v_xor_b32_e32 v96, s19, v96
	v_bitop3_b32 v90, v90, v94, v93 bitop3:0x80
	v_cmp_gt_i32_e32 vcc_lo, 0, v200
	v_ashrrev_i32_e32 v91, 31, v91
	v_mad_u32_u24 v93, v92, 36, v148
	v_xor_b32_e32 v94, s20, v97
	v_bitop3_b32 v90, v90, v96, v95 bitop3:0x80
	s_delay_alu instid0(VALU_DEP_4) | instskip(SKIP_3) | instid1(VALU_DEP_2)
	v_xor_b32_e32 v91, vcc_lo, v91
	ds_load_b32 v199, v93 offset:1056
	; wave barrier
	v_bitop3_b32 v90, v90, v91, v94 bitop3:0x80
	v_mul_u32_u24_e32 v91, 36, v92
	v_mbcnt_lo_u32_b32 v200, v90, 0
	v_cmp_ne_u32_e64 s15, 0, v90
	s_delay_alu instid0(VALU_DEP_3) | instskip(NEXT) | instid1(VALU_DEP_3)
	v_add_nc_u32_e32 v202, v148, v91
	v_cmp_eq_u32_e32 vcc_lo, 0, v200
	s_and_b32 s16, s15, vcc_lo
	s_delay_alu instid0(SALU_CYCLE_1)
	s_and_saveexec_b32 s15, s16
	s_cbranch_execz .LBB730_454
; %bb.453:                              ;   in Loop: Header=BB730_396 Depth=2
	s_wait_dscnt 0x0
	v_bcnt_u32_b32 v90, v90, v199
	ds_store_b32 v202, v90 offset:1056
.LBB730_454:                            ;   in Loop: Header=BB730_396 Depth=2
	s_or_b32 exec_lo, exec_lo, s15
	v_xor_b32_e32 v77, 0x7fffffff, v77
	v_not_b32_e32 v76, v76
	; wave barrier
	s_delay_alu instid0(VALU_DEP_1) | instskip(NEXT) | instid1(VALU_DEP_1)
	v_lshrrev_b64 v[90:91], s48, v[76:77]
	v_bitop3_b32 v91, v90, 1, s56 bitop3:0x80
	v_and_b32_e32 v92, s56, v90
	s_delay_alu instid0(VALU_DEP_2) | instskip(NEXT) | instid1(VALU_DEP_1)
	v_add_co_u32 v90, s15, v91, -1
	v_cndmask_b32_e64 v91, 0, 1, s15
	s_delay_alu instid0(VALU_DEP_3) | instskip(NEXT) | instid1(VALU_DEP_2)
	v_lshlrev_b32_e32 v93, 30, v92
	v_cmp_ne_u32_e32 vcc_lo, 0, v91
	s_delay_alu instid0(VALU_DEP_2) | instskip(NEXT) | instid1(VALU_DEP_1)
	v_not_b32_e32 v91, v93
	v_dual_ashrrev_i32 v91, 31, v91 :: v_dual_bitop2_b32 v90, vcc_lo, v90 bitop3:0x14
	v_dual_lshlrev_b32 v94, 29, v92 :: v_dual_lshlrev_b32 v95, 28, v92
	v_dual_lshlrev_b32 v96, 27, v92 :: v_dual_lshlrev_b32 v97, 26, v92
	v_lshlrev_b32_e32 v201, 25, v92
	v_cmp_gt_i32_e64 s15, 0, v93
	s_delay_alu instid0(VALU_DEP_4)
	v_cmp_gt_i32_e64 s16, 0, v94
	v_not_b32_e32 v93, v94
	v_not_b32_e32 v94, v95
	v_lshlrev_b32_e32 v203, 24, v92
	v_cmp_gt_i32_e64 s17, 0, v95
	v_cmp_gt_i32_e64 s18, 0, v96
	v_not_b32_e32 v95, v96
	v_not_b32_e32 v96, v97
	v_dual_ashrrev_i32 v93, 31, v93 :: v_dual_ashrrev_i32 v94, 31, v94
	v_xor_b32_e32 v91, s15, v91
	v_cmp_gt_i32_e64 s19, 0, v97
	v_not_b32_e32 v97, v201
	s_delay_alu instid0(VALU_DEP_4) | instskip(SKIP_1) | instid1(VALU_DEP_3)
	v_dual_ashrrev_i32 v95, 31, v95 :: v_dual_bitop2_b32 v93, s16, v93 bitop3:0x14
	v_dual_ashrrev_i32 v96, 31, v96 :: v_dual_bitop2_b32 v94, s17, v94 bitop3:0x14
	v_ashrrev_i32_e32 v97, 31, v97
	v_bitop3_b32 v90, v90, v91, exec_lo bitop3:0x80
	v_not_b32_e32 v91, v203
	v_cmp_gt_i32_e64 s20, 0, v201
	v_xor_b32_e32 v95, s18, v95
	v_xor_b32_e32 v96, s19, v96
	v_bitop3_b32 v90, v90, v94, v93 bitop3:0x80
	v_cmp_gt_i32_e32 vcc_lo, 0, v203
	v_ashrrev_i32_e32 v91, 31, v91
	v_mad_u32_u24 v93, v92, 36, v148
	v_xor_b32_e32 v94, s20, v97
	v_bitop3_b32 v90, v90, v96, v95 bitop3:0x80
	s_delay_alu instid0(VALU_DEP_4) | instskip(SKIP_3) | instid1(VALU_DEP_2)
	v_xor_b32_e32 v91, vcc_lo, v91
	ds_load_b32 v201, v93 offset:1056
	; wave barrier
	v_bitop3_b32 v90, v90, v91, v94 bitop3:0x80
	v_mul_u32_u24_e32 v91, 36, v92
	v_mbcnt_lo_u32_b32 v203, v90, 0
	v_cmp_ne_u32_e64 s15, 0, v90
	s_delay_alu instid0(VALU_DEP_3) | instskip(NEXT) | instid1(VALU_DEP_3)
	v_add_nc_u32_e32 v205, v148, v91
	v_cmp_eq_u32_e32 vcc_lo, 0, v203
	s_and_b32 s16, s15, vcc_lo
	s_delay_alu instid0(SALU_CYCLE_1)
	s_and_saveexec_b32 s15, s16
	s_cbranch_execz .LBB730_456
; %bb.455:                              ;   in Loop: Header=BB730_396 Depth=2
	s_wait_dscnt 0x0
	v_bcnt_u32_b32 v90, v90, v201
	ds_store_b32 v205, v90 offset:1056
.LBB730_456:                            ;   in Loop: Header=BB730_396 Depth=2
	s_or_b32 exec_lo, exec_lo, s15
	v_xor_b32_e32 v73, 0x7fffffff, v73
	v_not_b32_e32 v72, v72
	; wave barrier
	s_delay_alu instid0(VALU_DEP_1) | instskip(NEXT) | instid1(VALU_DEP_1)
	v_lshrrev_b64 v[90:91], s48, v[72:73]
	v_bitop3_b32 v91, v90, 1, s56 bitop3:0x80
	v_and_b32_e32 v92, s56, v90
	s_delay_alu instid0(VALU_DEP_2) | instskip(NEXT) | instid1(VALU_DEP_1)
	v_add_co_u32 v90, s15, v91, -1
	v_cndmask_b32_e64 v91, 0, 1, s15
	s_delay_alu instid0(VALU_DEP_3) | instskip(NEXT) | instid1(VALU_DEP_2)
	v_lshlrev_b32_e32 v93, 30, v92
	v_cmp_ne_u32_e32 vcc_lo, 0, v91
	s_delay_alu instid0(VALU_DEP_2) | instskip(NEXT) | instid1(VALU_DEP_1)
	v_not_b32_e32 v91, v93
	v_dual_ashrrev_i32 v91, 31, v91 :: v_dual_bitop2_b32 v90, vcc_lo, v90 bitop3:0x14
	v_dual_lshlrev_b32 v94, 29, v92 :: v_dual_lshlrev_b32 v95, 28, v92
	v_dual_lshlrev_b32 v96, 27, v92 :: v_dual_lshlrev_b32 v97, 26, v92
	v_lshlrev_b32_e32 v204, 25, v92
	v_cmp_gt_i32_e64 s15, 0, v93
	s_delay_alu instid0(VALU_DEP_4)
	v_cmp_gt_i32_e64 s16, 0, v94
	v_not_b32_e32 v93, v94
	v_not_b32_e32 v94, v95
	v_lshlrev_b32_e32 v206, 24, v92
	v_cmp_gt_i32_e64 s17, 0, v95
	v_cmp_gt_i32_e64 s18, 0, v96
	v_not_b32_e32 v95, v96
	v_not_b32_e32 v96, v97
	v_dual_ashrrev_i32 v93, 31, v93 :: v_dual_ashrrev_i32 v94, 31, v94
	v_xor_b32_e32 v91, s15, v91
	v_cmp_gt_i32_e64 s19, 0, v97
	v_not_b32_e32 v97, v204
	s_delay_alu instid0(VALU_DEP_4) | instskip(SKIP_1) | instid1(VALU_DEP_3)
	v_dual_ashrrev_i32 v95, 31, v95 :: v_dual_bitop2_b32 v93, s16, v93 bitop3:0x14
	v_dual_ashrrev_i32 v96, 31, v96 :: v_dual_bitop2_b32 v94, s17, v94 bitop3:0x14
	v_ashrrev_i32_e32 v97, 31, v97
	v_bitop3_b32 v90, v90, v91, exec_lo bitop3:0x80
	v_not_b32_e32 v91, v206
	v_cmp_gt_i32_e64 s20, 0, v204
	v_xor_b32_e32 v95, s18, v95
	v_xor_b32_e32 v96, s19, v96
	v_bitop3_b32 v90, v90, v94, v93 bitop3:0x80
	v_cmp_gt_i32_e32 vcc_lo, 0, v206
	v_ashrrev_i32_e32 v91, 31, v91
	v_mad_u32_u24 v93, v92, 36, v148
	v_xor_b32_e32 v94, s20, v97
	v_bitop3_b32 v90, v90, v96, v95 bitop3:0x80
	s_delay_alu instid0(VALU_DEP_4) | instskip(SKIP_3) | instid1(VALU_DEP_2)
	v_xor_b32_e32 v91, vcc_lo, v91
	ds_load_b32 v204, v93 offset:1056
	; wave barrier
	v_bitop3_b32 v90, v90, v91, v94 bitop3:0x80
	v_mul_u32_u24_e32 v91, 36, v92
	v_mbcnt_lo_u32_b32 v206, v90, 0
	v_cmp_ne_u32_e64 s15, 0, v90
	s_delay_alu instid0(VALU_DEP_3) | instskip(NEXT) | instid1(VALU_DEP_3)
	v_add_nc_u32_e32 v209, v148, v91
	v_cmp_eq_u32_e32 vcc_lo, 0, v206
	s_and_b32 s16, s15, vcc_lo
	s_delay_alu instid0(SALU_CYCLE_1)
	s_and_saveexec_b32 s15, s16
	s_cbranch_execz .LBB730_458
; %bb.457:                              ;   in Loop: Header=BB730_396 Depth=2
	s_wait_dscnt 0x0
	v_bcnt_u32_b32 v90, v90, v204
	ds_store_b32 v209, v90 offset:1056
.LBB730_458:                            ;   in Loop: Header=BB730_396 Depth=2
	s_or_b32 exec_lo, exec_lo, s15
	v_xor_b32_e32 v69, 0x7fffffff, v69
	v_not_b32_e32 v68, v68
	; wave barrier
	s_delay_alu instid0(VALU_DEP_1) | instskip(NEXT) | instid1(VALU_DEP_1)
	v_lshrrev_b64 v[90:91], s48, v[68:69]
	v_bitop3_b32 v91, v90, 1, s56 bitop3:0x80
	v_and_b32_e32 v92, s56, v90
	s_delay_alu instid0(VALU_DEP_2) | instskip(NEXT) | instid1(VALU_DEP_1)
	v_add_co_u32 v90, s15, v91, -1
	v_cndmask_b32_e64 v91, 0, 1, s15
	s_delay_alu instid0(VALU_DEP_3) | instskip(NEXT) | instid1(VALU_DEP_2)
	v_lshlrev_b32_e32 v93, 30, v92
	v_cmp_ne_u32_e32 vcc_lo, 0, v91
	s_delay_alu instid0(VALU_DEP_2) | instskip(NEXT) | instid1(VALU_DEP_1)
	v_not_b32_e32 v91, v93
	v_dual_ashrrev_i32 v91, 31, v91 :: v_dual_bitop2_b32 v90, vcc_lo, v90 bitop3:0x14
	v_dual_lshlrev_b32 v94, 29, v92 :: v_dual_lshlrev_b32 v95, 28, v92
	v_dual_lshlrev_b32 v96, 27, v92 :: v_dual_lshlrev_b32 v97, 26, v92
	v_lshlrev_b32_e32 v207, 25, v92
	v_cmp_gt_i32_e64 s15, 0, v93
	s_delay_alu instid0(VALU_DEP_4)
	v_cmp_gt_i32_e64 s16, 0, v94
	v_not_b32_e32 v93, v94
	v_not_b32_e32 v94, v95
	v_lshlrev_b32_e32 v208, 24, v92
	v_cmp_gt_i32_e64 s17, 0, v95
	v_cmp_gt_i32_e64 s18, 0, v96
	v_not_b32_e32 v95, v96
	v_not_b32_e32 v96, v97
	v_dual_ashrrev_i32 v93, 31, v93 :: v_dual_ashrrev_i32 v94, 31, v94
	v_xor_b32_e32 v91, s15, v91
	v_cmp_gt_i32_e64 s19, 0, v97
	v_not_b32_e32 v97, v207
	s_delay_alu instid0(VALU_DEP_4) | instskip(SKIP_1) | instid1(VALU_DEP_3)
	v_dual_ashrrev_i32 v95, 31, v95 :: v_dual_bitop2_b32 v93, s16, v93 bitop3:0x14
	v_dual_ashrrev_i32 v96, 31, v96 :: v_dual_bitop2_b32 v94, s17, v94 bitop3:0x14
	v_ashrrev_i32_e32 v97, 31, v97
	v_bitop3_b32 v90, v90, v91, exec_lo bitop3:0x80
	v_not_b32_e32 v91, v208
	v_cmp_gt_i32_e64 s20, 0, v207
	v_xor_b32_e32 v95, s18, v95
	v_xor_b32_e32 v96, s19, v96
	v_bitop3_b32 v90, v90, v94, v93 bitop3:0x80
	v_cmp_gt_i32_e32 vcc_lo, 0, v208
	v_ashrrev_i32_e32 v91, 31, v91
	v_mad_u32_u24 v93, v92, 36, v148
	v_xor_b32_e32 v94, s20, v97
	v_bitop3_b32 v90, v90, v96, v95 bitop3:0x80
	s_delay_alu instid0(VALU_DEP_4) | instskip(SKIP_3) | instid1(VALU_DEP_2)
	v_xor_b32_e32 v91, vcc_lo, v91
	ds_load_b32 v207, v93 offset:1056
	; wave barrier
	v_bitop3_b32 v90, v90, v91, v94 bitop3:0x80
	v_mul_u32_u24_e32 v91, 36, v92
	v_mbcnt_lo_u32_b32 v208, v90, 0
	v_cmp_ne_u32_e64 s15, 0, v90
	s_delay_alu instid0(VALU_DEP_3) | instskip(NEXT) | instid1(VALU_DEP_3)
	v_add_nc_u32_e32 v212, v148, v91
	v_cmp_eq_u32_e32 vcc_lo, 0, v208
	s_and_b32 s16, s15, vcc_lo
	s_delay_alu instid0(SALU_CYCLE_1)
	s_and_saveexec_b32 s15, s16
	s_cbranch_execz .LBB730_460
; %bb.459:                              ;   in Loop: Header=BB730_396 Depth=2
	s_wait_dscnt 0x0
	v_bcnt_u32_b32 v90, v90, v207
	ds_store_b32 v212, v90 offset:1056
.LBB730_460:                            ;   in Loop: Header=BB730_396 Depth=2
	s_or_b32 exec_lo, exec_lo, s15
	v_xor_b32_e32 v67, 0x7fffffff, v67
	v_not_b32_e32 v66, v66
	; wave barrier
	s_delay_alu instid0(VALU_DEP_1) | instskip(NEXT) | instid1(VALU_DEP_1)
	v_lshrrev_b64 v[90:91], s48, v[66:67]
	v_bitop3_b32 v91, v90, 1, s56 bitop3:0x80
	v_and_b32_e32 v92, s56, v90
	s_delay_alu instid0(VALU_DEP_2) | instskip(NEXT) | instid1(VALU_DEP_1)
	v_add_co_u32 v90, s15, v91, -1
	v_cndmask_b32_e64 v91, 0, 1, s15
	s_delay_alu instid0(VALU_DEP_3) | instskip(NEXT) | instid1(VALU_DEP_2)
	v_lshlrev_b32_e32 v93, 30, v92
	v_cmp_ne_u32_e32 vcc_lo, 0, v91
	s_delay_alu instid0(VALU_DEP_2) | instskip(NEXT) | instid1(VALU_DEP_1)
	v_not_b32_e32 v91, v93
	v_dual_ashrrev_i32 v91, 31, v91 :: v_dual_bitop2_b32 v90, vcc_lo, v90 bitop3:0x14
	v_dual_lshlrev_b32 v94, 29, v92 :: v_dual_lshlrev_b32 v95, 28, v92
	v_dual_lshlrev_b32 v96, 27, v92 :: v_dual_lshlrev_b32 v97, 26, v92
	v_lshlrev_b32_e32 v210, 25, v92
	v_cmp_gt_i32_e64 s15, 0, v93
	s_delay_alu instid0(VALU_DEP_4)
	v_cmp_gt_i32_e64 s16, 0, v94
	v_not_b32_e32 v93, v94
	v_not_b32_e32 v94, v95
	v_lshlrev_b32_e32 v211, 24, v92
	v_cmp_gt_i32_e64 s17, 0, v95
	v_cmp_gt_i32_e64 s18, 0, v96
	v_not_b32_e32 v95, v96
	v_not_b32_e32 v96, v97
	v_dual_ashrrev_i32 v93, 31, v93 :: v_dual_ashrrev_i32 v94, 31, v94
	v_xor_b32_e32 v91, s15, v91
	v_cmp_gt_i32_e64 s19, 0, v97
	v_not_b32_e32 v97, v210
	s_delay_alu instid0(VALU_DEP_4) | instskip(SKIP_1) | instid1(VALU_DEP_3)
	v_dual_ashrrev_i32 v95, 31, v95 :: v_dual_bitop2_b32 v93, s16, v93 bitop3:0x14
	v_dual_ashrrev_i32 v96, 31, v96 :: v_dual_bitop2_b32 v94, s17, v94 bitop3:0x14
	v_ashrrev_i32_e32 v97, 31, v97
	v_bitop3_b32 v90, v90, v91, exec_lo bitop3:0x80
	v_not_b32_e32 v91, v211
	v_cmp_gt_i32_e64 s20, 0, v210
	v_xor_b32_e32 v95, s18, v95
	v_xor_b32_e32 v96, s19, v96
	v_bitop3_b32 v90, v90, v94, v93 bitop3:0x80
	v_cmp_gt_i32_e32 vcc_lo, 0, v211
	v_ashrrev_i32_e32 v91, 31, v91
	v_mad_u32_u24 v93, v92, 36, v148
	v_xor_b32_e32 v94, s20, v97
	v_bitop3_b32 v90, v90, v96, v95 bitop3:0x80
	s_delay_alu instid0(VALU_DEP_4) | instskip(SKIP_3) | instid1(VALU_DEP_2)
	v_xor_b32_e32 v91, vcc_lo, v91
	ds_load_b32 v210, v93 offset:1056
	; wave barrier
	v_bitop3_b32 v90, v90, v91, v94 bitop3:0x80
	v_mul_u32_u24_e32 v91, 36, v92
	v_mbcnt_lo_u32_b32 v211, v90, 0
	v_cmp_ne_u32_e64 s15, 0, v90
	s_delay_alu instid0(VALU_DEP_3) | instskip(NEXT) | instid1(VALU_DEP_3)
	v_add_nc_u32_e32 v215, v148, v91
	v_cmp_eq_u32_e32 vcc_lo, 0, v211
	s_and_b32 s16, s15, vcc_lo
	s_delay_alu instid0(SALU_CYCLE_1)
	s_and_saveexec_b32 s15, s16
	s_cbranch_execz .LBB730_462
; %bb.461:                              ;   in Loop: Header=BB730_396 Depth=2
	s_wait_dscnt 0x0
	v_bcnt_u32_b32 v90, v90, v210
	ds_store_b32 v215, v90 offset:1056
.LBB730_462:                            ;   in Loop: Header=BB730_396 Depth=2
	s_or_b32 exec_lo, exec_lo, s15
	v_lshrrev_b64 v[90:91], s48, v[58:59]
	; wave barrier
	s_delay_alu instid0(VALU_DEP_1) | instskip(SKIP_1) | instid1(VALU_DEP_2)
	v_bitop3_b32 v91, v90, 1, s56 bitop3:0x80
	v_and_b32_e32 v92, s56, v90
	v_add_co_u32 v90, s15, v91, -1
	s_delay_alu instid0(VALU_DEP_1) | instskip(NEXT) | instid1(VALU_DEP_3)
	v_cndmask_b32_e64 v91, 0, 1, s15
	v_lshlrev_b32_e32 v93, 30, v92
	s_delay_alu instid0(VALU_DEP_2) | instskip(NEXT) | instid1(VALU_DEP_2)
	v_cmp_ne_u32_e32 vcc_lo, 0, v91
	v_not_b32_e32 v91, v93
	s_delay_alu instid0(VALU_DEP_1) | instskip(SKIP_4) | instid1(VALU_DEP_4)
	v_dual_ashrrev_i32 v91, 31, v91 :: v_dual_bitop2_b32 v90, vcc_lo, v90 bitop3:0x14
	v_dual_lshlrev_b32 v94, 29, v92 :: v_dual_lshlrev_b32 v95, 28, v92
	v_dual_lshlrev_b32 v96, 27, v92 :: v_dual_lshlrev_b32 v97, 26, v92
	v_lshlrev_b32_e32 v213, 25, v92
	v_cmp_gt_i32_e64 s15, 0, v93
	v_cmp_gt_i32_e64 s16, 0, v94
	v_not_b32_e32 v93, v94
	v_not_b32_e32 v94, v95
	v_lshlrev_b32_e32 v214, 24, v92
	v_cmp_gt_i32_e64 s17, 0, v95
	v_cmp_gt_i32_e64 s18, 0, v96
	v_not_b32_e32 v95, v96
	v_dual_ashrrev_i32 v93, 31, v93 :: v_dual_ashrrev_i32 v94, 31, v94
	v_xor_b32_e32 v91, s15, v91
	v_not_b32_e32 v96, v97
	v_cmp_gt_i32_e64 s19, 0, v97
	s_delay_alu instid0(VALU_DEP_4)
	v_dual_ashrrev_i32 v95, 31, v95 :: v_dual_bitop2_b32 v93, s16, v93 bitop3:0x14
	v_xor_b32_e32 v94, s17, v94
	v_bitop3_b32 v90, v90, v91, exec_lo bitop3:0x80
	v_ashrrev_i32_e32 v91, 31, v96
	v_not_b32_e32 v96, v213
	v_not_b32_e32 v97, v214
	v_xor_b32_e32 v95, s18, v95
	v_bitop3_b32 v90, v90, v94, v93 bitop3:0x80
	v_xor_b32_e32 v91, s19, v91
	v_cmp_gt_i32_e32 vcc_lo, 0, v213
	v_ashrrev_i32_e32 v93, 31, v96
	v_cmp_gt_i32_e64 s15, 0, v214
	v_ashrrev_i32_e32 v94, 31, v97
	v_mad_u32_u24 v96, v92, 36, v148
	v_bitop3_b32 v90, v90, v91, v95 bitop3:0x80
	v_xor_b32_e32 v91, vcc_lo, v93
	s_delay_alu instid0(VALU_DEP_4) | instskip(SKIP_3) | instid1(VALU_DEP_2)
	v_xor_b32_e32 v93, s15, v94
	ds_load_b32 v213, v96 offset:1056
	; wave barrier
	v_bitop3_b32 v90, v90, v93, v91 bitop3:0x80
	v_mul_u32_u24_e32 v91, 36, v92
	v_mbcnt_lo_u32_b32 v214, v90, 0
	v_cmp_ne_u32_e64 s15, 0, v90
	s_delay_alu instid0(VALU_DEP_3) | instskip(NEXT) | instid1(VALU_DEP_3)
	v_add_nc_u32_e32 v216, v148, v91
	v_cmp_eq_u32_e32 vcc_lo, 0, v214
	s_and_b32 s16, s15, vcc_lo
	s_delay_alu instid0(SALU_CYCLE_1)
	s_and_saveexec_b32 s15, s16
	s_cbranch_execz .LBB730_464
; %bb.463:                              ;   in Loop: Header=BB730_396 Depth=2
	s_wait_dscnt 0x0
	v_bcnt_u32_b32 v90, v90, v213
	ds_store_b32 v216, v90 offset:1056
.LBB730_464:                            ;   in Loop: Header=BB730_396 Depth=2
	s_or_b32 exec_lo, exec_lo, s15
	; wave barrier
	s_wait_dscnt 0x0
	s_barrier_signal -1
	s_barrier_wait -1
	ds_load_2addr_b32 v[96:97], v168 offset1:1
	ds_load_2addr_b32 v[94:95], v169 offset1:1
	;; [unrolled: 1-line block ×4, first 2 shown]
	ds_load_b32 v217, v120 offset:1088
	s_wait_dscnt 0x3
	v_add3_u32 v218, v97, v96, v94
	s_wait_dscnt 0x2
	s_delay_alu instid0(VALU_DEP_1) | instskip(SKIP_1) | instid1(VALU_DEP_1)
	v_add3_u32 v218, v218, v95, v92
	s_wait_dscnt 0x1
	v_add3_u32 v218, v218, v93, v90
	s_wait_dscnt 0x0
	s_delay_alu instid0(VALU_DEP_1) | instskip(NEXT) | instid1(VALU_DEP_1)
	v_add3_u32 v217, v218, v91, v217
	v_mov_b32_dpp v218, v217 row_shr:1 row_mask:0xf bank_mask:0xf
	s_delay_alu instid0(VALU_DEP_1) | instskip(NEXT) | instid1(VALU_DEP_1)
	v_cndmask_b32_e64 v218, v218, 0, s7
	v_add_nc_u32_e32 v217, v218, v217
	s_delay_alu instid0(VALU_DEP_1) | instskip(NEXT) | instid1(VALU_DEP_1)
	v_mov_b32_dpp v218, v217 row_shr:2 row_mask:0xf bank_mask:0xf
	v_cndmask_b32_e64 v218, 0, v218, s8
	s_delay_alu instid0(VALU_DEP_1) | instskip(NEXT) | instid1(VALU_DEP_1)
	v_add_nc_u32_e32 v217, v217, v218
	v_mov_b32_dpp v218, v217 row_shr:4 row_mask:0xf bank_mask:0xf
	s_delay_alu instid0(VALU_DEP_1) | instskip(NEXT) | instid1(VALU_DEP_1)
	v_cndmask_b32_e64 v218, 0, v218, s9
	v_add_nc_u32_e32 v217, v217, v218
	s_delay_alu instid0(VALU_DEP_1) | instskip(NEXT) | instid1(VALU_DEP_1)
	v_mov_b32_dpp v218, v217 row_shr:8 row_mask:0xf bank_mask:0xf
	v_cndmask_b32_e64 v218, 0, v218, s10
	s_delay_alu instid0(VALU_DEP_1) | instskip(SKIP_3) | instid1(VALU_DEP_1)
	v_add_nc_u32_e32 v217, v217, v218
	ds_swizzle_b32 v218, v217 offset:swizzle(BROADCAST,32,15)
	s_wait_dscnt 0x0
	v_cndmask_b32_e64 v218, v218, 0, s11
	v_add_nc_u32_e32 v217, v217, v218
	s_and_saveexec_b32 s15, s1
; %bb.465:                              ;   in Loop: Header=BB730_396 Depth=2
	ds_store_b32 v114, v217 offset:1024
; %bb.466:                              ;   in Loop: Header=BB730_396 Depth=2
	s_or_b32 exec_lo, exec_lo, s15
	s_wait_dscnt 0x0
	s_barrier_signal -1
	s_barrier_wait -1
	s_and_saveexec_b32 s15, s4
	s_cbranch_execz .LBB730_468
; %bb.467:                              ;   in Loop: Header=BB730_396 Depth=2
	ds_load_b32 v218, v122 offset:1024
	s_wait_dscnt 0x0
	v_mov_b32_dpp v219, v218 row_shr:1 row_mask:0xf bank_mask:0xf
	s_delay_alu instid0(VALU_DEP_1) | instskip(NEXT) | instid1(VALU_DEP_1)
	v_cndmask_b32_e64 v219, v219, 0, s12
	v_add_nc_u32_e32 v218, v219, v218
	s_delay_alu instid0(VALU_DEP_1) | instskip(NEXT) | instid1(VALU_DEP_1)
	v_mov_b32_dpp v219, v218 row_shr:2 row_mask:0xf bank_mask:0xf
	v_cndmask_b32_e64 v219, 0, v219, s13
	s_delay_alu instid0(VALU_DEP_1) | instskip(NEXT) | instid1(VALU_DEP_1)
	v_add_nc_u32_e32 v218, v218, v219
	v_mov_b32_dpp v219, v218 row_shr:4 row_mask:0xf bank_mask:0xf
	s_delay_alu instid0(VALU_DEP_1) | instskip(NEXT) | instid1(VALU_DEP_1)
	v_cndmask_b32_e64 v219, 0, v219, s14
	v_add_nc_u32_e32 v218, v218, v219
	ds_store_b32 v122, v218 offset:1024
.LBB730_468:                            ;   in Loop: Header=BB730_396 Depth=2
	s_or_b32 exec_lo, exec_lo, s15
	v_mov_b32_e32 v218, 0
	s_wait_dscnt 0x0
	s_barrier_signal -1
	s_barrier_wait -1
	s_and_saveexec_b32 s15, s5
; %bb.469:                              ;   in Loop: Header=BB730_396 Depth=2
	ds_load_b32 v218, v114 offset:1020
; %bb.470:                              ;   in Loop: Header=BB730_396 Depth=2
	s_or_b32 exec_lo, exec_lo, s15
	s_wait_dscnt 0x0
	v_add_nc_u32_e32 v217, v218, v217
	ds_bpermute_b32 v217, v147, v217
	s_wait_dscnt 0x0
	v_cndmask_b32_e64 v217, v217, v218, s6
	s_delay_alu instid0(VALU_DEP_1) | instskip(NEXT) | instid1(VALU_DEP_1)
	v_cndmask_b32_e64 v217, v217, 0, s2
	v_add_nc_u32_e32 v96, v217, v96
	s_delay_alu instid0(VALU_DEP_1) | instskip(NEXT) | instid1(VALU_DEP_1)
	v_add_nc_u32_e32 v97, v96, v97
	v_add_nc_u32_e32 v94, v97, v94
	s_delay_alu instid0(VALU_DEP_1) | instskip(NEXT) | instid1(VALU_DEP_1)
	v_add_nc_u32_e32 v95, v94, v95
	;; [unrolled: 3-line block ×3, first 2 shown]
	v_add_nc_u32_e32 v90, v93, v90
	s_delay_alu instid0(VALU_DEP_1)
	v_add_nc_u32_e32 v91, v90, v91
	ds_store_2addr_b32 v167, v93, v90 offset1:1
	ds_store_2addr_b32 v168, v217, v96 offset1:1
	;; [unrolled: 1-line block ×4, first 2 shown]
	ds_store_b32 v120, v91 offset:1088
	s_wait_dscnt 0x0
	s_barrier_signal -1
	s_barrier_wait -1
	ds_load_b32 v91, v171 offset:1056
	ds_load_b32 v218, v174 offset:1056
	;; [unrolled: 1-line block ×17, first 2 shown]
	v_mov_b32_e32 v90, 0x1000
	s_and_saveexec_b32 s15, s3
; %bb.471:                              ;   in Loop: Header=BB730_396 Depth=2
	ds_load_b32 v90, v120 offset:1092
; %bb.472:                              ;   in Loop: Header=BB730_396 Depth=2
	s_or_b32 exec_lo, exec_lo, s15
	s_wait_dscnt 0x0
	s_barrier_signal -1
	s_barrier_wait -1
	s_and_saveexec_b32 s15, s0
	s_cbranch_execz .LBB730_474
; %bb.473:                              ;   in Loop: Header=BB730_396 Depth=2
	ds_load_b32 v183, v3
	s_wait_dscnt 0x0
	v_sub_nc_u32_e32 v180, v183, v180
	ds_store_b32 v3, v180
.LBB730_474:                            ;   in Loop: Header=BB730_396 Depth=2
	s_or_b32 exec_lo, exec_lo, s15
	v_dual_lshlrev_b32 v166, 3, v166 :: v_dual_lshlrev_b32 v173, 3, v173
	v_dual_lshlrev_b32 v172, 3, v172 :: v_dual_lshlrev_b32 v180, 3, v218
	v_lshlrev_b32_e32 v176, 3, v176
	s_delay_alu instid0(VALU_DEP_3)
	v_lshl_add_u32 v91, v91, 3, v166
	v_dual_lshlrev_b32 v166, 3, v175 :: v_dual_lshlrev_b32 v175, 3, v217
	v_dual_lshlrev_b32 v179, 3, v179 :: v_dual_lshlrev_b32 v178, 3, v178
	;; [unrolled: 1-line block ×5, first 2 shown]
	v_lshlrev_b32_e32 v185, 3, v92
	ds_store_b64 v91, v[60:61] offset:1024
	v_add3_u32 v60, v173, v172, v180
	v_add3_u32 v61, v176, v166, v175
	;; [unrolled: 1-line block ×5, first 2 shown]
	ds_store_b64 v60, v[62:63] offset:1024
	ds_store_b64 v61, v[64:65] offset:1024
	;; [unrolled: 1-line block ×5, first 2 shown]
	v_dual_lshlrev_b32 v62, 3, v188 :: v_dual_lshlrev_b32 v65, 3, v191
	v_dual_lshlrev_b32 v63, 3, v187 :: v_dual_lshlrev_b32 v64, 3, v177
	;; [unrolled: 1-line block ×7, first 2 shown]
	v_lshlrev_b32_e32 v169, 3, v169
	v_add3_u32 v62, v62, v63, v64
	v_add3_u32 v63, v65, v70, v71
	;; [unrolled: 1-line block ×4, first 2 shown]
	v_lshlrev_b32_e32 v71, 3, v203
	v_add3_u32 v70, v171, v172, v169
	ds_store_b64 v62, v[82:83] offset:1024
	ds_store_b64 v63, v[86:87] offset:1024
	;; [unrolled: 1-line block ×5, first 2 shown]
	v_dual_lshlrev_b32 v74, 3, v201 :: v_dual_lshlrev_b32 v75, 3, v168
	v_dual_lshlrev_b32 v78, 3, v206 :: v_dual_lshlrev_b32 v79, 3, v204
	v_dual_lshlrev_b32 v80, 3, v167 :: v_dual_lshlrev_b32 v81, 3, v208
	v_dual_lshlrev_b32 v82, 3, v207 :: v_dual_lshlrev_b32 v83, 3, v97
	v_dual_lshlrev_b32 v84, 3, v211 :: v_dual_lshlrev_b32 v85, 3, v210
	v_dual_lshlrev_b32 v86, 3, v96 :: v_dual_lshlrev_b32 v87, 3, v214
	v_dual_lshlrev_b32 v88, 3, v213 :: v_dual_lshlrev_b32 v89, 3, v95
	v_add3_u32 v71, v71, v74, v75
	v_add3_u32 v74, v78, v79, v80
	;; [unrolled: 1-line block ×5, first 2 shown]
	v_cmp_lt_u32_e32 vcc_lo, v2, v165
	ds_store_b64 v71, v[76:77] offset:1024
	ds_store_b64 v74, v[72:73] offset:1024
	;; [unrolled: 1-line block ×5, first 2 shown]
	s_wait_dscnt 0x0
	s_barrier_signal -1
	s_barrier_wait -1
	s_and_saveexec_b32 s15, vcc_lo
	s_cbranch_execnz .LBB730_543
; %bb.475:                              ;   in Loop: Header=BB730_396 Depth=2
	s_or_b32 exec_lo, exec_lo, s15
	v_cmp_lt_u32_e64 s15, v98, v165
	s_and_saveexec_b32 s16, s15
	s_cbranch_execnz .LBB730_544
.LBB730_476:                            ;   in Loop: Header=BB730_396 Depth=2
	s_or_b32 exec_lo, exec_lo, s16
	v_cmp_lt_u32_e64 s16, v99, v165
	s_and_saveexec_b32 s17, s16
	s_cbranch_execnz .LBB730_545
.LBB730_477:                            ;   in Loop: Header=BB730_396 Depth=2
	s_or_b32 exec_lo, exec_lo, s17
	v_cmp_lt_u32_e64 s17, v100, v165
	s_and_saveexec_b32 s18, s17
	s_cbranch_execnz .LBB730_546
.LBB730_478:                            ;   in Loop: Header=BB730_396 Depth=2
	s_or_b32 exec_lo, exec_lo, s18
	v_cmp_lt_u32_e64 s18, v101, v165
	s_and_saveexec_b32 s19, s18
	s_cbranch_execnz .LBB730_547
.LBB730_479:                            ;   in Loop: Header=BB730_396 Depth=2
	s_or_b32 exec_lo, exec_lo, s19
	v_cmp_lt_u32_e64 s19, v102, v165
	s_and_saveexec_b32 s20, s19
	s_cbranch_execnz .LBB730_548
.LBB730_480:                            ;   in Loop: Header=BB730_396 Depth=2
	s_or_b32 exec_lo, exec_lo, s20
	v_cmp_lt_u32_e64 s20, v103, v165
	s_and_saveexec_b32 s21, s20
	s_cbranch_execnz .LBB730_549
.LBB730_481:                            ;   in Loop: Header=BB730_396 Depth=2
	s_or_b32 exec_lo, exec_lo, s21
	v_cmp_lt_u32_e64 s21, v104, v165
	s_and_saveexec_b32 s22, s21
	s_cbranch_execnz .LBB730_550
.LBB730_482:                            ;   in Loop: Header=BB730_396 Depth=2
	s_or_b32 exec_lo, exec_lo, s22
	v_cmp_lt_u32_e64 s22, v105, v165
	s_and_saveexec_b32 s23, s22
	s_cbranch_execnz .LBB730_551
.LBB730_483:                            ;   in Loop: Header=BB730_396 Depth=2
	s_or_b32 exec_lo, exec_lo, s23
	v_cmp_lt_u32_e64 s23, v106, v165
	s_and_saveexec_b32 s24, s23
	s_cbranch_execnz .LBB730_552
.LBB730_484:                            ;   in Loop: Header=BB730_396 Depth=2
	s_or_b32 exec_lo, exec_lo, s24
	v_cmp_lt_u32_e64 s24, v107, v165
	s_and_saveexec_b32 s25, s24
	s_cbranch_execnz .LBB730_553
.LBB730_485:                            ;   in Loop: Header=BB730_396 Depth=2
	s_or_b32 exec_lo, exec_lo, s25
	v_cmp_lt_u32_e64 s25, v108, v165
	s_and_saveexec_b32 s26, s25
	s_cbranch_execnz .LBB730_554
.LBB730_486:                            ;   in Loop: Header=BB730_396 Depth=2
	s_or_b32 exec_lo, exec_lo, s26
	v_cmp_lt_u32_e64 s26, v109, v165
	s_and_saveexec_b32 s27, s26
	s_cbranch_execnz .LBB730_555
.LBB730_487:                            ;   in Loop: Header=BB730_396 Depth=2
	s_or_b32 exec_lo, exec_lo, s27
	v_cmp_lt_u32_e64 s27, v110, v165
	s_and_saveexec_b32 s28, s27
	s_cbranch_execnz .LBB730_556
.LBB730_488:                            ;   in Loop: Header=BB730_396 Depth=2
	s_or_b32 exec_lo, exec_lo, s28
	v_cmp_lt_u32_e64 s28, v111, v165
	s_and_saveexec_b32 s29, s28
	s_cbranch_execnz .LBB730_557
.LBB730_489:                            ;   in Loop: Header=BB730_396 Depth=2
	s_or_b32 exec_lo, exec_lo, s29
	v_cmp_lt_u32_e64 s29, v112, v165
	s_and_saveexec_b32 s59, s29
	s_cbranch_execz .LBB730_491
.LBB730_490:                            ;   in Loop: Header=BB730_396 Depth=2
	ds_load_b64 v[58:59], v123 offset:31744
	s_wait_dscnt 0x0
	v_lshrrev_b64 v[66:67], s48, v[58:59]
	v_xor_b32_e32 v59, 0x7fffffff, v59
	v_not_b32_e32 v58, v58
	s_delay_alu instid0(VALU_DEP_3) | instskip(NEXT) | instid1(VALU_DEP_1)
	v_and_b32_e32 v66, s56, v66
	v_lshlrev_b32_e32 v66, 2, v66
	ds_load_b32 v66, v66
	s_wait_dscnt 0x0
	v_add_nc_u32_e32 v66, v66, v112
	global_store_b64 v66, v[58:59], s[40:41] scale_offset
.LBB730_491:                            ;   in Loop: Header=BB730_396 Depth=2
	s_wait_xcnt 0x0
	s_or_b32 exec_lo, exec_lo, s59
	v_lshl_add_u64 v[58:59], s[30:31], 3, v[22:23]
	v_cmp_lt_u32_e64 s30, v129, v165
	s_and_saveexec_b32 s59, s30
	s_delay_alu instid0(SALU_CYCLE_1)
	s_xor_b32 s30, exec_lo, s59
	s_cbranch_execnz .LBB730_558
; %bb.492:                              ;   in Loop: Header=BB730_396 Depth=2
	s_or_b32 exec_lo, exec_lo, s30
	s_delay_alu instid0(SALU_CYCLE_1)
	s_mov_b32 s59, exec_lo
	v_cmpx_lt_u32_e64 v132, v165
	s_cbranch_execnz .LBB730_559
.LBB730_493:                            ;   in Loop: Header=BB730_396 Depth=2
	s_or_b32 exec_lo, exec_lo, s59
	s_delay_alu instid0(SALU_CYCLE_1)
	s_mov_b32 s59, exec_lo
	v_cmpx_lt_u32_e64 v133, v165
	s_cbranch_execnz .LBB730_560
.LBB730_494:                            ;   in Loop: Header=BB730_396 Depth=2
	s_or_b32 exec_lo, exec_lo, s59
	s_delay_alu instid0(SALU_CYCLE_1)
	s_mov_b32 s59, exec_lo
	v_cmpx_lt_u32_e64 v134, v165
	s_cbranch_execnz .LBB730_561
.LBB730_495:                            ;   in Loop: Header=BB730_396 Depth=2
	s_or_b32 exec_lo, exec_lo, s59
	s_delay_alu instid0(SALU_CYCLE_1)
	s_mov_b32 s59, exec_lo
	v_cmpx_lt_u32_e64 v135, v165
	s_cbranch_execnz .LBB730_562
.LBB730_496:                            ;   in Loop: Header=BB730_396 Depth=2
	s_or_b32 exec_lo, exec_lo, s59
	s_delay_alu instid0(SALU_CYCLE_1)
	s_mov_b32 s59, exec_lo
	v_cmpx_lt_u32_e64 v136, v165
	s_cbranch_execnz .LBB730_563
.LBB730_497:                            ;   in Loop: Header=BB730_396 Depth=2
	s_or_b32 exec_lo, exec_lo, s59
	s_delay_alu instid0(SALU_CYCLE_1)
	s_mov_b32 s59, exec_lo
	v_cmpx_lt_u32_e64 v137, v165
	s_cbranch_execnz .LBB730_564
.LBB730_498:                            ;   in Loop: Header=BB730_396 Depth=2
	s_or_b32 exec_lo, exec_lo, s59
	s_delay_alu instid0(SALU_CYCLE_1)
	s_mov_b32 s59, exec_lo
	v_cmpx_lt_u32_e64 v138, v165
	s_cbranch_execnz .LBB730_565
.LBB730_499:                            ;   in Loop: Header=BB730_396 Depth=2
	s_or_b32 exec_lo, exec_lo, s59
	s_delay_alu instid0(SALU_CYCLE_1)
	s_mov_b32 s59, exec_lo
	v_cmpx_lt_u32_e64 v139, v165
	s_cbranch_execnz .LBB730_566
.LBB730_500:                            ;   in Loop: Header=BB730_396 Depth=2
	s_or_b32 exec_lo, exec_lo, s59
	s_delay_alu instid0(SALU_CYCLE_1)
	s_mov_b32 s59, exec_lo
	v_cmpx_lt_u32_e64 v140, v165
	s_cbranch_execnz .LBB730_567
.LBB730_501:                            ;   in Loop: Header=BB730_396 Depth=2
	s_or_b32 exec_lo, exec_lo, s59
	s_delay_alu instid0(SALU_CYCLE_1)
	s_mov_b32 s59, exec_lo
	v_cmpx_lt_u32_e64 v141, v165
	s_cbranch_execnz .LBB730_568
.LBB730_502:                            ;   in Loop: Header=BB730_396 Depth=2
	s_or_b32 exec_lo, exec_lo, s59
	s_delay_alu instid0(SALU_CYCLE_1)
	s_mov_b32 s59, exec_lo
	v_cmpx_lt_u32_e64 v142, v165
	s_cbranch_execnz .LBB730_569
.LBB730_503:                            ;   in Loop: Header=BB730_396 Depth=2
	s_or_b32 exec_lo, exec_lo, s59
	s_delay_alu instid0(SALU_CYCLE_1)
	s_mov_b32 s59, exec_lo
	v_cmpx_lt_u32_e64 v143, v165
	s_cbranch_execnz .LBB730_570
.LBB730_504:                            ;   in Loop: Header=BB730_396 Depth=2
	s_or_b32 exec_lo, exec_lo, s59
	s_delay_alu instid0(SALU_CYCLE_1)
	s_mov_b32 s59, exec_lo
	v_cmpx_lt_u32_e64 v144, v165
	s_cbranch_execnz .LBB730_571
.LBB730_505:                            ;   in Loop: Header=BB730_396 Depth=2
	s_or_b32 exec_lo, exec_lo, s59
	s_delay_alu instid0(SALU_CYCLE_1)
	s_mov_b32 s59, exec_lo
	v_cmpx_lt_u32_e64 v145, v165
	s_cbranch_execnz .LBB730_572
.LBB730_506:                            ;   in Loop: Header=BB730_396 Depth=2
	s_or_b32 exec_lo, exec_lo, s59
	s_delay_alu instid0(SALU_CYCLE_1)
	s_mov_b32 s59, exec_lo
	v_cmpx_lt_u32_e64 v146, v165
	s_cbranch_execnz .LBB730_573
.LBB730_507:                            ;   in Loop: Header=BB730_396 Depth=2
	s_or_b32 exec_lo, exec_lo, s59
	s_and_saveexec_b32 s30, vcc_lo
	s_cbranch_execnz .LBB730_574
.LBB730_508:                            ;   in Loop: Header=BB730_396 Depth=2
	s_or_b32 exec_lo, exec_lo, s30
	s_and_saveexec_b32 s30, s15
	s_cbranch_execnz .LBB730_575
.LBB730_509:                            ;   in Loop: Header=BB730_396 Depth=2
	s_or_b32 exec_lo, exec_lo, s30
	s_and_saveexec_b32 s30, s16
	s_cbranch_execnz .LBB730_576
.LBB730_510:                            ;   in Loop: Header=BB730_396 Depth=2
	s_or_b32 exec_lo, exec_lo, s30
	s_and_saveexec_b32 s30, s17
	s_cbranch_execnz .LBB730_577
.LBB730_511:                            ;   in Loop: Header=BB730_396 Depth=2
	s_or_b32 exec_lo, exec_lo, s30
	s_and_saveexec_b32 s30, s18
	s_cbranch_execnz .LBB730_578
.LBB730_512:                            ;   in Loop: Header=BB730_396 Depth=2
	s_or_b32 exec_lo, exec_lo, s30
	s_and_saveexec_b32 s30, s19
	s_cbranch_execnz .LBB730_579
.LBB730_513:                            ;   in Loop: Header=BB730_396 Depth=2
	s_or_b32 exec_lo, exec_lo, s30
	s_and_saveexec_b32 s30, s20
	s_cbranch_execnz .LBB730_580
.LBB730_514:                            ;   in Loop: Header=BB730_396 Depth=2
	s_or_b32 exec_lo, exec_lo, s30
	s_and_saveexec_b32 s30, s21
	s_cbranch_execnz .LBB730_581
.LBB730_515:                            ;   in Loop: Header=BB730_396 Depth=2
	s_or_b32 exec_lo, exec_lo, s30
	s_and_saveexec_b32 s30, s22
	s_cbranch_execnz .LBB730_582
.LBB730_516:                            ;   in Loop: Header=BB730_396 Depth=2
	s_or_b32 exec_lo, exec_lo, s30
	s_and_saveexec_b32 s30, s23
	s_cbranch_execnz .LBB730_583
.LBB730_517:                            ;   in Loop: Header=BB730_396 Depth=2
	s_or_b32 exec_lo, exec_lo, s30
	s_and_saveexec_b32 s30, s24
	s_cbranch_execnz .LBB730_584
.LBB730_518:                            ;   in Loop: Header=BB730_396 Depth=2
	s_or_b32 exec_lo, exec_lo, s30
	s_and_saveexec_b32 s30, s25
	s_cbranch_execnz .LBB730_585
.LBB730_519:                            ;   in Loop: Header=BB730_396 Depth=2
	s_or_b32 exec_lo, exec_lo, s30
	s_and_saveexec_b32 s30, s26
	s_cbranch_execnz .LBB730_586
.LBB730_520:                            ;   in Loop: Header=BB730_396 Depth=2
	s_or_b32 exec_lo, exec_lo, s30
	s_and_saveexec_b32 s30, s27
	s_cbranch_execnz .LBB730_587
.LBB730_521:                            ;   in Loop: Header=BB730_396 Depth=2
	s_or_b32 exec_lo, exec_lo, s30
	s_and_saveexec_b32 s30, s28
	s_cbranch_execnz .LBB730_588
.LBB730_522:                            ;   in Loop: Header=BB730_396 Depth=2
	s_or_b32 exec_lo, exec_lo, s30
	s_and_saveexec_b32 s30, s29
	s_cbranch_execz .LBB730_524
.LBB730_523:                            ;   in Loop: Header=BB730_396 Depth=2
	ds_load_b64 v[58:59], v123 offset:31744
	s_wait_dscnt 0x0
	v_lshrrev_b64 v[58:59], s48, v[58:59]
	s_delay_alu instid0(VALU_DEP_1)
	v_and_b32_e32 v149, s56, v58
.LBB730_524:                            ;   in Loop: Header=BB730_396 Depth=2
	s_or_b32 exec_lo, exec_lo, s30
	s_wait_loadcnt 0x0
	s_wait_storecnt 0x0
	s_barrier_signal -1
	s_barrier_wait -1
	ds_store_b64 v91, v[56:57] offset:1024
	ds_store_b64 v60, v[54:55] offset:1024
	;; [unrolled: 1-line block ×16, first 2 shown]
	s_wait_dscnt 0x0
	s_barrier_signal -1
	s_barrier_wait -1
	s_and_saveexec_b32 s30, vcc_lo
	s_cbranch_execnz .LBB730_589
; %bb.525:                              ;   in Loop: Header=BB730_396 Depth=2
	s_or_b32 exec_lo, exec_lo, s30
	s_and_saveexec_b32 s30, s15
	s_cbranch_execnz .LBB730_590
.LBB730_526:                            ;   in Loop: Header=BB730_396 Depth=2
	s_or_b32 exec_lo, exec_lo, s30
	s_and_saveexec_b32 s15, s16
	s_cbranch_execnz .LBB730_591
.LBB730_527:                            ;   in Loop: Header=BB730_396 Depth=2
	s_or_b32 exec_lo, exec_lo, s15
	s_and_saveexec_b32 s15, s17
	s_cbranch_execnz .LBB730_592
.LBB730_528:                            ;   in Loop: Header=BB730_396 Depth=2
	s_or_b32 exec_lo, exec_lo, s15
	s_and_saveexec_b32 s15, s18
	s_cbranch_execnz .LBB730_593
.LBB730_529:                            ;   in Loop: Header=BB730_396 Depth=2
	s_or_b32 exec_lo, exec_lo, s15
	s_and_saveexec_b32 s15, s19
	s_cbranch_execnz .LBB730_594
.LBB730_530:                            ;   in Loop: Header=BB730_396 Depth=2
	s_or_b32 exec_lo, exec_lo, s15
	s_and_saveexec_b32 s15, s20
	s_cbranch_execnz .LBB730_595
.LBB730_531:                            ;   in Loop: Header=BB730_396 Depth=2
	s_or_b32 exec_lo, exec_lo, s15
	s_and_saveexec_b32 s15, s21
	s_cbranch_execnz .LBB730_596
.LBB730_532:                            ;   in Loop: Header=BB730_396 Depth=2
	s_or_b32 exec_lo, exec_lo, s15
	s_and_saveexec_b32 s15, s22
	s_cbranch_execnz .LBB730_597
.LBB730_533:                            ;   in Loop: Header=BB730_396 Depth=2
	s_or_b32 exec_lo, exec_lo, s15
	s_and_saveexec_b32 s15, s23
	s_cbranch_execnz .LBB730_598
.LBB730_534:                            ;   in Loop: Header=BB730_396 Depth=2
	s_or_b32 exec_lo, exec_lo, s15
	s_and_saveexec_b32 s15, s24
	s_cbranch_execnz .LBB730_599
.LBB730_535:                            ;   in Loop: Header=BB730_396 Depth=2
	s_or_b32 exec_lo, exec_lo, s15
	s_and_saveexec_b32 s15, s25
	s_cbranch_execnz .LBB730_600
.LBB730_536:                            ;   in Loop: Header=BB730_396 Depth=2
	s_or_b32 exec_lo, exec_lo, s15
	s_and_saveexec_b32 s15, s26
	s_cbranch_execnz .LBB730_601
.LBB730_537:                            ;   in Loop: Header=BB730_396 Depth=2
	s_or_b32 exec_lo, exec_lo, s15
	s_and_saveexec_b32 s15, s27
	s_cbranch_execnz .LBB730_602
.LBB730_538:                            ;   in Loop: Header=BB730_396 Depth=2
	s_or_b32 exec_lo, exec_lo, s15
	s_and_saveexec_b32 s15, s28
	s_cbranch_execnz .LBB730_603
.LBB730_539:                            ;   in Loop: Header=BB730_396 Depth=2
	s_or_b32 exec_lo, exec_lo, s15
	s_and_saveexec_b32 s15, s29
	s_cbranch_execz .LBB730_541
.LBB730_540:                            ;   in Loop: Header=BB730_396 Depth=2
	v_lshlrev_b32_e32 v58, 2, v149
	ds_load_b32 v60, v58
	ds_load_b64 v[58:59], v123 offset:31744
	s_wait_dscnt 0x1
	v_add_nc_u32_e32 v60, v60, v112
	s_wait_dscnt 0x0
	global_store_b64 v60, v[58:59], s[46:47] scale_offset
.LBB730_541:                            ;   in Loop: Header=BB730_396 Depth=2
	s_wait_xcnt 0x0
	s_or_b32 exec_lo, exec_lo, s15
	s_wait_storecnt 0x0
	s_barrier_signal -1
	s_barrier_wait -1
	s_and_saveexec_b32 s15, s0
	s_cbranch_execz .LBB730_395
; %bb.542:                              ;   in Loop: Header=BB730_396 Depth=2
	ds_load_b32 v58, v3
	s_wait_dscnt 0x0
	v_add_nc_u32_e32 v58, v58, v90
	ds_store_b32 v3, v58
	s_branch .LBB730_395
.LBB730_543:                            ;   in Loop: Header=BB730_396 Depth=2
	ds_load_b64 v[58:59], v123 offset:1024
	s_wait_dscnt 0x0
	v_lshrrev_b64 v[66:67], s48, v[58:59]
	v_xor_b32_e32 v59, 0x7fffffff, v59
	v_not_b32_e32 v58, v58
	s_delay_alu instid0(VALU_DEP_3) | instskip(NEXT) | instid1(VALU_DEP_1)
	v_and_b32_e32 v66, s56, v66
	v_lshlrev_b32_e32 v66, 2, v66
	ds_load_b32 v66, v66
	s_wait_dscnt 0x0
	v_add_nc_u32_e32 v66, v66, v2
	global_store_b64 v66, v[58:59], s[40:41] scale_offset
	s_wait_xcnt 0x0
	s_or_b32 exec_lo, exec_lo, s15
	v_cmp_lt_u32_e64 s15, v98, v165
	s_and_saveexec_b32 s16, s15
	s_cbranch_execz .LBB730_476
.LBB730_544:                            ;   in Loop: Header=BB730_396 Depth=2
	ds_load_b64 v[58:59], v123 offset:3072
	s_wait_dscnt 0x0
	v_lshrrev_b64 v[66:67], s48, v[58:59]
	v_xor_b32_e32 v59, 0x7fffffff, v59
	v_not_b32_e32 v58, v58
	s_delay_alu instid0(VALU_DEP_3) | instskip(NEXT) | instid1(VALU_DEP_1)
	v_and_b32_e32 v66, s56, v66
	v_lshlrev_b32_e32 v66, 2, v66
	ds_load_b32 v66, v66
	s_wait_dscnt 0x0
	v_add_nc_u32_e32 v66, v66, v98
	global_store_b64 v66, v[58:59], s[40:41] scale_offset
	s_wait_xcnt 0x0
	s_or_b32 exec_lo, exec_lo, s16
	v_cmp_lt_u32_e64 s16, v99, v165
	s_and_saveexec_b32 s17, s16
	s_cbranch_execz .LBB730_477
.LBB730_545:                            ;   in Loop: Header=BB730_396 Depth=2
	ds_load_b64 v[58:59], v123 offset:5120
	s_wait_dscnt 0x0
	v_lshrrev_b64 v[66:67], s48, v[58:59]
	v_xor_b32_e32 v59, 0x7fffffff, v59
	v_not_b32_e32 v58, v58
	s_delay_alu instid0(VALU_DEP_3) | instskip(NEXT) | instid1(VALU_DEP_1)
	v_and_b32_e32 v66, s56, v66
	v_lshlrev_b32_e32 v66, 2, v66
	ds_load_b32 v66, v66
	s_wait_dscnt 0x0
	v_add_nc_u32_e32 v66, v66, v99
	global_store_b64 v66, v[58:59], s[40:41] scale_offset
	s_wait_xcnt 0x0
	s_or_b32 exec_lo, exec_lo, s17
	v_cmp_lt_u32_e64 s17, v100, v165
	s_and_saveexec_b32 s18, s17
	s_cbranch_execz .LBB730_478
.LBB730_546:                            ;   in Loop: Header=BB730_396 Depth=2
	ds_load_b64 v[58:59], v123 offset:7168
	s_wait_dscnt 0x0
	v_lshrrev_b64 v[66:67], s48, v[58:59]
	v_xor_b32_e32 v59, 0x7fffffff, v59
	v_not_b32_e32 v58, v58
	s_delay_alu instid0(VALU_DEP_3) | instskip(NEXT) | instid1(VALU_DEP_1)
	v_and_b32_e32 v66, s56, v66
	v_lshlrev_b32_e32 v66, 2, v66
	ds_load_b32 v66, v66
	s_wait_dscnt 0x0
	v_add_nc_u32_e32 v66, v66, v100
	global_store_b64 v66, v[58:59], s[40:41] scale_offset
	s_wait_xcnt 0x0
	s_or_b32 exec_lo, exec_lo, s18
	v_cmp_lt_u32_e64 s18, v101, v165
	s_and_saveexec_b32 s19, s18
	s_cbranch_execz .LBB730_479
.LBB730_547:                            ;   in Loop: Header=BB730_396 Depth=2
	ds_load_b64 v[58:59], v123 offset:9216
	s_wait_dscnt 0x0
	v_lshrrev_b64 v[66:67], s48, v[58:59]
	v_xor_b32_e32 v59, 0x7fffffff, v59
	v_not_b32_e32 v58, v58
	s_delay_alu instid0(VALU_DEP_3) | instskip(NEXT) | instid1(VALU_DEP_1)
	v_and_b32_e32 v66, s56, v66
	v_lshlrev_b32_e32 v66, 2, v66
	ds_load_b32 v66, v66
	s_wait_dscnt 0x0
	v_add_nc_u32_e32 v66, v66, v101
	global_store_b64 v66, v[58:59], s[40:41] scale_offset
	s_wait_xcnt 0x0
	s_or_b32 exec_lo, exec_lo, s19
	v_cmp_lt_u32_e64 s19, v102, v165
	s_and_saveexec_b32 s20, s19
	s_cbranch_execz .LBB730_480
.LBB730_548:                            ;   in Loop: Header=BB730_396 Depth=2
	ds_load_b64 v[58:59], v123 offset:11264
	s_wait_dscnt 0x0
	v_lshrrev_b64 v[66:67], s48, v[58:59]
	v_xor_b32_e32 v59, 0x7fffffff, v59
	v_not_b32_e32 v58, v58
	s_delay_alu instid0(VALU_DEP_3) | instskip(NEXT) | instid1(VALU_DEP_1)
	v_and_b32_e32 v66, s56, v66
	v_lshlrev_b32_e32 v66, 2, v66
	ds_load_b32 v66, v66
	s_wait_dscnt 0x0
	v_add_nc_u32_e32 v66, v66, v102
	global_store_b64 v66, v[58:59], s[40:41] scale_offset
	s_wait_xcnt 0x0
	s_or_b32 exec_lo, exec_lo, s20
	v_cmp_lt_u32_e64 s20, v103, v165
	s_and_saveexec_b32 s21, s20
	s_cbranch_execz .LBB730_481
.LBB730_549:                            ;   in Loop: Header=BB730_396 Depth=2
	ds_load_b64 v[58:59], v123 offset:13312
	s_wait_dscnt 0x0
	v_lshrrev_b64 v[66:67], s48, v[58:59]
	v_xor_b32_e32 v59, 0x7fffffff, v59
	v_not_b32_e32 v58, v58
	s_delay_alu instid0(VALU_DEP_3) | instskip(NEXT) | instid1(VALU_DEP_1)
	v_and_b32_e32 v66, s56, v66
	v_lshlrev_b32_e32 v66, 2, v66
	ds_load_b32 v66, v66
	s_wait_dscnt 0x0
	v_add_nc_u32_e32 v66, v66, v103
	global_store_b64 v66, v[58:59], s[40:41] scale_offset
	s_wait_xcnt 0x0
	s_or_b32 exec_lo, exec_lo, s21
	v_cmp_lt_u32_e64 s21, v104, v165
	s_and_saveexec_b32 s22, s21
	s_cbranch_execz .LBB730_482
.LBB730_550:                            ;   in Loop: Header=BB730_396 Depth=2
	ds_load_b64 v[58:59], v123 offset:15360
	s_wait_dscnt 0x0
	v_lshrrev_b64 v[66:67], s48, v[58:59]
	v_xor_b32_e32 v59, 0x7fffffff, v59
	v_not_b32_e32 v58, v58
	s_delay_alu instid0(VALU_DEP_3) | instskip(NEXT) | instid1(VALU_DEP_1)
	v_and_b32_e32 v66, s56, v66
	v_lshlrev_b32_e32 v66, 2, v66
	ds_load_b32 v66, v66
	s_wait_dscnt 0x0
	v_add_nc_u32_e32 v66, v66, v104
	global_store_b64 v66, v[58:59], s[40:41] scale_offset
	s_wait_xcnt 0x0
	s_or_b32 exec_lo, exec_lo, s22
	v_cmp_lt_u32_e64 s22, v105, v165
	s_and_saveexec_b32 s23, s22
	s_cbranch_execz .LBB730_483
.LBB730_551:                            ;   in Loop: Header=BB730_396 Depth=2
	ds_load_b64 v[58:59], v123 offset:17408
	s_wait_dscnt 0x0
	v_lshrrev_b64 v[66:67], s48, v[58:59]
	v_xor_b32_e32 v59, 0x7fffffff, v59
	v_not_b32_e32 v58, v58
	s_delay_alu instid0(VALU_DEP_3) | instskip(NEXT) | instid1(VALU_DEP_1)
	v_and_b32_e32 v66, s56, v66
	v_lshlrev_b32_e32 v66, 2, v66
	ds_load_b32 v66, v66
	s_wait_dscnt 0x0
	v_add_nc_u32_e32 v66, v66, v105
	global_store_b64 v66, v[58:59], s[40:41] scale_offset
	s_wait_xcnt 0x0
	s_or_b32 exec_lo, exec_lo, s23
	v_cmp_lt_u32_e64 s23, v106, v165
	s_and_saveexec_b32 s24, s23
	s_cbranch_execz .LBB730_484
.LBB730_552:                            ;   in Loop: Header=BB730_396 Depth=2
	ds_load_b64 v[58:59], v123 offset:19456
	s_wait_dscnt 0x0
	v_lshrrev_b64 v[66:67], s48, v[58:59]
	v_xor_b32_e32 v59, 0x7fffffff, v59
	v_not_b32_e32 v58, v58
	s_delay_alu instid0(VALU_DEP_3) | instskip(NEXT) | instid1(VALU_DEP_1)
	v_and_b32_e32 v66, s56, v66
	v_lshlrev_b32_e32 v66, 2, v66
	ds_load_b32 v66, v66
	s_wait_dscnt 0x0
	v_add_nc_u32_e32 v66, v66, v106
	global_store_b64 v66, v[58:59], s[40:41] scale_offset
	s_wait_xcnt 0x0
	s_or_b32 exec_lo, exec_lo, s24
	v_cmp_lt_u32_e64 s24, v107, v165
	s_and_saveexec_b32 s25, s24
	s_cbranch_execz .LBB730_485
.LBB730_553:                            ;   in Loop: Header=BB730_396 Depth=2
	ds_load_b64 v[58:59], v123 offset:21504
	s_wait_dscnt 0x0
	v_lshrrev_b64 v[66:67], s48, v[58:59]
	v_xor_b32_e32 v59, 0x7fffffff, v59
	v_not_b32_e32 v58, v58
	s_delay_alu instid0(VALU_DEP_3) | instskip(NEXT) | instid1(VALU_DEP_1)
	v_and_b32_e32 v66, s56, v66
	v_lshlrev_b32_e32 v66, 2, v66
	ds_load_b32 v66, v66
	s_wait_dscnt 0x0
	v_add_nc_u32_e32 v66, v66, v107
	global_store_b64 v66, v[58:59], s[40:41] scale_offset
	s_wait_xcnt 0x0
	s_or_b32 exec_lo, exec_lo, s25
	v_cmp_lt_u32_e64 s25, v108, v165
	s_and_saveexec_b32 s26, s25
	s_cbranch_execz .LBB730_486
.LBB730_554:                            ;   in Loop: Header=BB730_396 Depth=2
	ds_load_b64 v[58:59], v123 offset:23552
	s_wait_dscnt 0x0
	v_lshrrev_b64 v[66:67], s48, v[58:59]
	v_xor_b32_e32 v59, 0x7fffffff, v59
	v_not_b32_e32 v58, v58
	s_delay_alu instid0(VALU_DEP_3) | instskip(NEXT) | instid1(VALU_DEP_1)
	v_and_b32_e32 v66, s56, v66
	v_lshlrev_b32_e32 v66, 2, v66
	ds_load_b32 v66, v66
	s_wait_dscnt 0x0
	v_add_nc_u32_e32 v66, v66, v108
	global_store_b64 v66, v[58:59], s[40:41] scale_offset
	s_wait_xcnt 0x0
	s_or_b32 exec_lo, exec_lo, s26
	v_cmp_lt_u32_e64 s26, v109, v165
	s_and_saveexec_b32 s27, s26
	s_cbranch_execz .LBB730_487
.LBB730_555:                            ;   in Loop: Header=BB730_396 Depth=2
	ds_load_b64 v[58:59], v123 offset:25600
	s_wait_dscnt 0x0
	v_lshrrev_b64 v[66:67], s48, v[58:59]
	v_xor_b32_e32 v59, 0x7fffffff, v59
	v_not_b32_e32 v58, v58
	s_delay_alu instid0(VALU_DEP_3) | instskip(NEXT) | instid1(VALU_DEP_1)
	v_and_b32_e32 v66, s56, v66
	v_lshlrev_b32_e32 v66, 2, v66
	ds_load_b32 v66, v66
	s_wait_dscnt 0x0
	v_add_nc_u32_e32 v66, v66, v109
	global_store_b64 v66, v[58:59], s[40:41] scale_offset
	s_wait_xcnt 0x0
	s_or_b32 exec_lo, exec_lo, s27
	v_cmp_lt_u32_e64 s27, v110, v165
	s_and_saveexec_b32 s28, s27
	s_cbranch_execz .LBB730_488
.LBB730_556:                            ;   in Loop: Header=BB730_396 Depth=2
	ds_load_b64 v[58:59], v123 offset:27648
	s_wait_dscnt 0x0
	v_lshrrev_b64 v[66:67], s48, v[58:59]
	v_xor_b32_e32 v59, 0x7fffffff, v59
	v_not_b32_e32 v58, v58
	s_delay_alu instid0(VALU_DEP_3) | instskip(NEXT) | instid1(VALU_DEP_1)
	v_and_b32_e32 v66, s56, v66
	v_lshlrev_b32_e32 v66, 2, v66
	ds_load_b32 v66, v66
	s_wait_dscnt 0x0
	v_add_nc_u32_e32 v66, v66, v110
	global_store_b64 v66, v[58:59], s[40:41] scale_offset
	s_wait_xcnt 0x0
	s_or_b32 exec_lo, exec_lo, s28
	v_cmp_lt_u32_e64 s28, v111, v165
	s_and_saveexec_b32 s29, s28
	s_cbranch_execz .LBB730_489
.LBB730_557:                            ;   in Loop: Header=BB730_396 Depth=2
	ds_load_b64 v[58:59], v123 offset:29696
	s_wait_dscnt 0x0
	v_lshrrev_b64 v[66:67], s48, v[58:59]
	v_xor_b32_e32 v59, 0x7fffffff, v59
	v_not_b32_e32 v58, v58
	s_delay_alu instid0(VALU_DEP_3) | instskip(NEXT) | instid1(VALU_DEP_1)
	v_and_b32_e32 v66, s56, v66
	v_lshlrev_b32_e32 v66, 2, v66
	ds_load_b32 v66, v66
	s_wait_dscnt 0x0
	v_add_nc_u32_e32 v66, v66, v111
	global_store_b64 v66, v[58:59], s[40:41] scale_offset
	s_wait_xcnt 0x0
	s_or_b32 exec_lo, exec_lo, s29
	v_cmp_lt_u32_e64 s29, v112, v165
	s_and_saveexec_b32 s59, s29
	s_cbranch_execnz .LBB730_490
	s_branch .LBB730_491
.LBB730_558:                            ;   in Loop: Header=BB730_396 Depth=2
	global_load_b64 v[56:57], v[58:59], off
	s_wait_xcnt 0x0
	s_or_b32 exec_lo, exec_lo, s30
	s_delay_alu instid0(SALU_CYCLE_1)
	s_mov_b32 s59, exec_lo
	v_cmpx_lt_u32_e64 v132, v165
	s_cbranch_execz .LBB730_493
.LBB730_559:                            ;   in Loop: Header=BB730_396 Depth=2
	global_load_b64 v[54:55], v[58:59], off offset:256
	s_wait_xcnt 0x0
	s_or_b32 exec_lo, exec_lo, s59
	s_delay_alu instid0(SALU_CYCLE_1)
	s_mov_b32 s59, exec_lo
	v_cmpx_lt_u32_e64 v133, v165
	s_cbranch_execz .LBB730_494
.LBB730_560:                            ;   in Loop: Header=BB730_396 Depth=2
	global_load_b64 v[52:53], v[58:59], off offset:512
	s_wait_xcnt 0x0
	s_or_b32 exec_lo, exec_lo, s59
	s_delay_alu instid0(SALU_CYCLE_1)
	s_mov_b32 s59, exec_lo
	v_cmpx_lt_u32_e64 v134, v165
	s_cbranch_execz .LBB730_495
.LBB730_561:                            ;   in Loop: Header=BB730_396 Depth=2
	global_load_b64 v[50:51], v[58:59], off offset:768
	s_wait_xcnt 0x0
	s_or_b32 exec_lo, exec_lo, s59
	s_delay_alu instid0(SALU_CYCLE_1)
	s_mov_b32 s59, exec_lo
	v_cmpx_lt_u32_e64 v135, v165
	s_cbranch_execz .LBB730_496
.LBB730_562:                            ;   in Loop: Header=BB730_396 Depth=2
	global_load_b64 v[48:49], v[58:59], off offset:1024
	s_wait_xcnt 0x0
	s_or_b32 exec_lo, exec_lo, s59
	s_delay_alu instid0(SALU_CYCLE_1)
	s_mov_b32 s59, exec_lo
	v_cmpx_lt_u32_e64 v136, v165
	s_cbranch_execz .LBB730_497
.LBB730_563:                            ;   in Loop: Header=BB730_396 Depth=2
	global_load_b64 v[46:47], v[58:59], off offset:1280
	s_wait_xcnt 0x0
	s_or_b32 exec_lo, exec_lo, s59
	s_delay_alu instid0(SALU_CYCLE_1)
	s_mov_b32 s59, exec_lo
	v_cmpx_lt_u32_e64 v137, v165
	s_cbranch_execz .LBB730_498
.LBB730_564:                            ;   in Loop: Header=BB730_396 Depth=2
	global_load_b64 v[44:45], v[58:59], off offset:1536
	s_wait_xcnt 0x0
	s_or_b32 exec_lo, exec_lo, s59
	s_delay_alu instid0(SALU_CYCLE_1)
	s_mov_b32 s59, exec_lo
	v_cmpx_lt_u32_e64 v138, v165
	s_cbranch_execz .LBB730_499
.LBB730_565:                            ;   in Loop: Header=BB730_396 Depth=2
	global_load_b64 v[42:43], v[58:59], off offset:1792
	s_wait_xcnt 0x0
	s_or_b32 exec_lo, exec_lo, s59
	s_delay_alu instid0(SALU_CYCLE_1)
	s_mov_b32 s59, exec_lo
	v_cmpx_lt_u32_e64 v139, v165
	s_cbranch_execz .LBB730_500
.LBB730_566:                            ;   in Loop: Header=BB730_396 Depth=2
	global_load_b64 v[40:41], v[58:59], off offset:2048
	s_wait_xcnt 0x0
	s_or_b32 exec_lo, exec_lo, s59
	s_delay_alu instid0(SALU_CYCLE_1)
	s_mov_b32 s59, exec_lo
	v_cmpx_lt_u32_e64 v140, v165
	s_cbranch_execz .LBB730_501
.LBB730_567:                            ;   in Loop: Header=BB730_396 Depth=2
	global_load_b64 v[38:39], v[58:59], off offset:2304
	s_wait_xcnt 0x0
	s_or_b32 exec_lo, exec_lo, s59
	s_delay_alu instid0(SALU_CYCLE_1)
	s_mov_b32 s59, exec_lo
	v_cmpx_lt_u32_e64 v141, v165
	s_cbranch_execz .LBB730_502
.LBB730_568:                            ;   in Loop: Header=BB730_396 Depth=2
	global_load_b64 v[36:37], v[58:59], off offset:2560
	s_wait_xcnt 0x0
	s_or_b32 exec_lo, exec_lo, s59
	s_delay_alu instid0(SALU_CYCLE_1)
	s_mov_b32 s59, exec_lo
	v_cmpx_lt_u32_e64 v142, v165
	s_cbranch_execz .LBB730_503
.LBB730_569:                            ;   in Loop: Header=BB730_396 Depth=2
	global_load_b64 v[34:35], v[58:59], off offset:2816
	s_wait_xcnt 0x0
	s_or_b32 exec_lo, exec_lo, s59
	s_delay_alu instid0(SALU_CYCLE_1)
	s_mov_b32 s59, exec_lo
	v_cmpx_lt_u32_e64 v143, v165
	s_cbranch_execz .LBB730_504
.LBB730_570:                            ;   in Loop: Header=BB730_396 Depth=2
	global_load_b64 v[32:33], v[58:59], off offset:3072
	s_wait_xcnt 0x0
	s_or_b32 exec_lo, exec_lo, s59
	s_delay_alu instid0(SALU_CYCLE_1)
	s_mov_b32 s59, exec_lo
	v_cmpx_lt_u32_e64 v144, v165
	s_cbranch_execz .LBB730_505
.LBB730_571:                            ;   in Loop: Header=BB730_396 Depth=2
	global_load_b64 v[30:31], v[58:59], off offset:3328
	s_wait_xcnt 0x0
	s_or_b32 exec_lo, exec_lo, s59
	s_delay_alu instid0(SALU_CYCLE_1)
	s_mov_b32 s59, exec_lo
	v_cmpx_lt_u32_e64 v145, v165
	s_cbranch_execz .LBB730_506
.LBB730_572:                            ;   in Loop: Header=BB730_396 Depth=2
	global_load_b64 v[28:29], v[58:59], off offset:3584
	s_wait_xcnt 0x0
	s_or_b32 exec_lo, exec_lo, s59
	s_delay_alu instid0(SALU_CYCLE_1)
	s_mov_b32 s59, exec_lo
	v_cmpx_lt_u32_e64 v146, v165
	s_cbranch_execz .LBB730_507
.LBB730_573:                            ;   in Loop: Header=BB730_396 Depth=2
	global_load_b64 v[26:27], v[58:59], off offset:3840
	s_wait_xcnt 0x0
	s_or_b32 exec_lo, exec_lo, s59
	s_and_saveexec_b32 s30, vcc_lo
	s_cbranch_execz .LBB730_508
.LBB730_574:                            ;   in Loop: Header=BB730_396 Depth=2
	ds_load_b64 v[58:59], v123 offset:1024
	s_wait_dscnt 0x0
	v_lshrrev_b64 v[58:59], s48, v[58:59]
	s_delay_alu instid0(VALU_DEP_1)
	v_and_b32_e32 v164, s56, v58
	s_or_b32 exec_lo, exec_lo, s30
	s_and_saveexec_b32 s30, s15
	s_cbranch_execz .LBB730_509
.LBB730_575:                            ;   in Loop: Header=BB730_396 Depth=2
	ds_load_b64 v[58:59], v123 offset:3072
	s_wait_dscnt 0x0
	v_lshrrev_b64 v[58:59], s48, v[58:59]
	s_delay_alu instid0(VALU_DEP_1)
	v_and_b32_e32 v163, s56, v58
	s_or_b32 exec_lo, exec_lo, s30
	s_and_saveexec_b32 s30, s16
	s_cbranch_execz .LBB730_510
.LBB730_576:                            ;   in Loop: Header=BB730_396 Depth=2
	ds_load_b64 v[58:59], v123 offset:5120
	s_wait_dscnt 0x0
	v_lshrrev_b64 v[58:59], s48, v[58:59]
	s_delay_alu instid0(VALU_DEP_1)
	v_and_b32_e32 v162, s56, v58
	s_or_b32 exec_lo, exec_lo, s30
	s_and_saveexec_b32 s30, s17
	s_cbranch_execz .LBB730_511
.LBB730_577:                            ;   in Loop: Header=BB730_396 Depth=2
	ds_load_b64 v[58:59], v123 offset:7168
	s_wait_dscnt 0x0
	v_lshrrev_b64 v[58:59], s48, v[58:59]
	s_delay_alu instid0(VALU_DEP_1)
	v_and_b32_e32 v161, s56, v58
	s_or_b32 exec_lo, exec_lo, s30
	s_and_saveexec_b32 s30, s18
	s_cbranch_execz .LBB730_512
.LBB730_578:                            ;   in Loop: Header=BB730_396 Depth=2
	ds_load_b64 v[58:59], v123 offset:9216
	s_wait_dscnt 0x0
	v_lshrrev_b64 v[58:59], s48, v[58:59]
	s_delay_alu instid0(VALU_DEP_1)
	v_and_b32_e32 v160, s56, v58
	s_or_b32 exec_lo, exec_lo, s30
	s_and_saveexec_b32 s30, s19
	s_cbranch_execz .LBB730_513
.LBB730_579:                            ;   in Loop: Header=BB730_396 Depth=2
	ds_load_b64 v[58:59], v123 offset:11264
	s_wait_dscnt 0x0
	v_lshrrev_b64 v[58:59], s48, v[58:59]
	s_delay_alu instid0(VALU_DEP_1)
	v_and_b32_e32 v159, s56, v58
	s_or_b32 exec_lo, exec_lo, s30
	s_and_saveexec_b32 s30, s20
	s_cbranch_execz .LBB730_514
.LBB730_580:                            ;   in Loop: Header=BB730_396 Depth=2
	ds_load_b64 v[58:59], v123 offset:13312
	s_wait_dscnt 0x0
	v_lshrrev_b64 v[58:59], s48, v[58:59]
	s_delay_alu instid0(VALU_DEP_1)
	v_and_b32_e32 v158, s56, v58
	s_or_b32 exec_lo, exec_lo, s30
	s_and_saveexec_b32 s30, s21
	s_cbranch_execz .LBB730_515
.LBB730_581:                            ;   in Loop: Header=BB730_396 Depth=2
	ds_load_b64 v[58:59], v123 offset:15360
	s_wait_dscnt 0x0
	v_lshrrev_b64 v[58:59], s48, v[58:59]
	s_delay_alu instid0(VALU_DEP_1)
	v_and_b32_e32 v157, s56, v58
	s_or_b32 exec_lo, exec_lo, s30
	s_and_saveexec_b32 s30, s22
	s_cbranch_execz .LBB730_516
.LBB730_582:                            ;   in Loop: Header=BB730_396 Depth=2
	ds_load_b64 v[58:59], v123 offset:17408
	s_wait_dscnt 0x0
	v_lshrrev_b64 v[58:59], s48, v[58:59]
	s_delay_alu instid0(VALU_DEP_1)
	v_and_b32_e32 v156, s56, v58
	s_or_b32 exec_lo, exec_lo, s30
	s_and_saveexec_b32 s30, s23
	s_cbranch_execz .LBB730_517
.LBB730_583:                            ;   in Loop: Header=BB730_396 Depth=2
	ds_load_b64 v[58:59], v123 offset:19456
	s_wait_dscnt 0x0
	v_lshrrev_b64 v[58:59], s48, v[58:59]
	s_delay_alu instid0(VALU_DEP_1)
	v_and_b32_e32 v155, s56, v58
	s_or_b32 exec_lo, exec_lo, s30
	s_and_saveexec_b32 s30, s24
	s_cbranch_execz .LBB730_518
.LBB730_584:                            ;   in Loop: Header=BB730_396 Depth=2
	ds_load_b64 v[58:59], v123 offset:21504
	s_wait_dscnt 0x0
	v_lshrrev_b64 v[58:59], s48, v[58:59]
	s_delay_alu instid0(VALU_DEP_1)
	v_and_b32_e32 v154, s56, v58
	s_or_b32 exec_lo, exec_lo, s30
	s_and_saveexec_b32 s30, s25
	s_cbranch_execz .LBB730_519
.LBB730_585:                            ;   in Loop: Header=BB730_396 Depth=2
	ds_load_b64 v[58:59], v123 offset:23552
	s_wait_dscnt 0x0
	v_lshrrev_b64 v[58:59], s48, v[58:59]
	s_delay_alu instid0(VALU_DEP_1)
	v_and_b32_e32 v153, s56, v58
	s_or_b32 exec_lo, exec_lo, s30
	s_and_saveexec_b32 s30, s26
	s_cbranch_execz .LBB730_520
.LBB730_586:                            ;   in Loop: Header=BB730_396 Depth=2
	ds_load_b64 v[58:59], v123 offset:25600
	s_wait_dscnt 0x0
	v_lshrrev_b64 v[58:59], s48, v[58:59]
	s_delay_alu instid0(VALU_DEP_1)
	v_and_b32_e32 v152, s56, v58
	s_or_b32 exec_lo, exec_lo, s30
	s_and_saveexec_b32 s30, s27
	s_cbranch_execz .LBB730_521
.LBB730_587:                            ;   in Loop: Header=BB730_396 Depth=2
	ds_load_b64 v[58:59], v123 offset:27648
	s_wait_dscnt 0x0
	v_lshrrev_b64 v[58:59], s48, v[58:59]
	s_delay_alu instid0(VALU_DEP_1)
	v_and_b32_e32 v151, s56, v58
	s_or_b32 exec_lo, exec_lo, s30
	s_and_saveexec_b32 s30, s28
	s_cbranch_execz .LBB730_522
.LBB730_588:                            ;   in Loop: Header=BB730_396 Depth=2
	ds_load_b64 v[58:59], v123 offset:29696
	s_wait_dscnt 0x0
	v_lshrrev_b64 v[58:59], s48, v[58:59]
	s_delay_alu instid0(VALU_DEP_1)
	v_and_b32_e32 v150, s56, v58
	s_or_b32 exec_lo, exec_lo, s30
	s_and_saveexec_b32 s30, s29
	s_cbranch_execnz .LBB730_523
	s_branch .LBB730_524
.LBB730_589:                            ;   in Loop: Header=BB730_396 Depth=2
	v_lshlrev_b32_e32 v58, 2, v164
	ds_load_b32 v60, v58
	ds_load_b64 v[58:59], v123 offset:1024
	s_wait_dscnt 0x1
	v_add_nc_u32_e32 v60, v60, v2
	s_wait_dscnt 0x0
	global_store_b64 v60, v[58:59], s[46:47] scale_offset
	s_wait_xcnt 0x0
	s_or_b32 exec_lo, exec_lo, s30
	s_and_saveexec_b32 s30, s15
	s_cbranch_execz .LBB730_526
.LBB730_590:                            ;   in Loop: Header=BB730_396 Depth=2
	v_lshlrev_b32_e32 v58, 2, v163
	ds_load_b32 v60, v58
	ds_load_b64 v[58:59], v123 offset:3072
	s_wait_dscnt 0x1
	v_add_nc_u32_e32 v60, v60, v98
	s_wait_dscnt 0x0
	global_store_b64 v60, v[58:59], s[46:47] scale_offset
	s_wait_xcnt 0x0
	s_or_b32 exec_lo, exec_lo, s30
	s_and_saveexec_b32 s15, s16
	s_cbranch_execz .LBB730_527
.LBB730_591:                            ;   in Loop: Header=BB730_396 Depth=2
	v_lshlrev_b32_e32 v58, 2, v162
	ds_load_b32 v60, v58
	ds_load_b64 v[58:59], v123 offset:5120
	s_wait_dscnt 0x1
	v_add_nc_u32_e32 v60, v60, v99
	s_wait_dscnt 0x0
	global_store_b64 v60, v[58:59], s[46:47] scale_offset
	s_wait_xcnt 0x0
	s_or_b32 exec_lo, exec_lo, s15
	s_and_saveexec_b32 s15, s17
	s_cbranch_execz .LBB730_528
.LBB730_592:                            ;   in Loop: Header=BB730_396 Depth=2
	v_lshlrev_b32_e32 v58, 2, v161
	ds_load_b32 v60, v58
	ds_load_b64 v[58:59], v123 offset:7168
	s_wait_dscnt 0x1
	v_add_nc_u32_e32 v60, v60, v100
	s_wait_dscnt 0x0
	global_store_b64 v60, v[58:59], s[46:47] scale_offset
	s_wait_xcnt 0x0
	s_or_b32 exec_lo, exec_lo, s15
	s_and_saveexec_b32 s15, s18
	s_cbranch_execz .LBB730_529
.LBB730_593:                            ;   in Loop: Header=BB730_396 Depth=2
	v_lshlrev_b32_e32 v58, 2, v160
	ds_load_b32 v60, v58
	ds_load_b64 v[58:59], v123 offset:9216
	s_wait_dscnt 0x1
	v_add_nc_u32_e32 v60, v60, v101
	s_wait_dscnt 0x0
	global_store_b64 v60, v[58:59], s[46:47] scale_offset
	s_wait_xcnt 0x0
	s_or_b32 exec_lo, exec_lo, s15
	s_and_saveexec_b32 s15, s19
	s_cbranch_execz .LBB730_530
.LBB730_594:                            ;   in Loop: Header=BB730_396 Depth=2
	v_lshlrev_b32_e32 v58, 2, v159
	ds_load_b32 v60, v58
	ds_load_b64 v[58:59], v123 offset:11264
	s_wait_dscnt 0x1
	v_add_nc_u32_e32 v60, v60, v102
	s_wait_dscnt 0x0
	global_store_b64 v60, v[58:59], s[46:47] scale_offset
	s_wait_xcnt 0x0
	s_or_b32 exec_lo, exec_lo, s15
	s_and_saveexec_b32 s15, s20
	s_cbranch_execz .LBB730_531
.LBB730_595:                            ;   in Loop: Header=BB730_396 Depth=2
	v_lshlrev_b32_e32 v58, 2, v158
	ds_load_b32 v60, v58
	ds_load_b64 v[58:59], v123 offset:13312
	s_wait_dscnt 0x1
	v_add_nc_u32_e32 v60, v60, v103
	s_wait_dscnt 0x0
	global_store_b64 v60, v[58:59], s[46:47] scale_offset
	s_wait_xcnt 0x0
	s_or_b32 exec_lo, exec_lo, s15
	s_and_saveexec_b32 s15, s21
	s_cbranch_execz .LBB730_532
.LBB730_596:                            ;   in Loop: Header=BB730_396 Depth=2
	v_lshlrev_b32_e32 v58, 2, v157
	ds_load_b32 v60, v58
	ds_load_b64 v[58:59], v123 offset:15360
	s_wait_dscnt 0x1
	v_add_nc_u32_e32 v60, v60, v104
	s_wait_dscnt 0x0
	global_store_b64 v60, v[58:59], s[46:47] scale_offset
	s_wait_xcnt 0x0
	s_or_b32 exec_lo, exec_lo, s15
	s_and_saveexec_b32 s15, s22
	s_cbranch_execz .LBB730_533
.LBB730_597:                            ;   in Loop: Header=BB730_396 Depth=2
	v_lshlrev_b32_e32 v58, 2, v156
	ds_load_b32 v60, v58
	ds_load_b64 v[58:59], v123 offset:17408
	s_wait_dscnt 0x1
	v_add_nc_u32_e32 v60, v60, v105
	s_wait_dscnt 0x0
	global_store_b64 v60, v[58:59], s[46:47] scale_offset
	s_wait_xcnt 0x0
	s_or_b32 exec_lo, exec_lo, s15
	s_and_saveexec_b32 s15, s23
	s_cbranch_execz .LBB730_534
.LBB730_598:                            ;   in Loop: Header=BB730_396 Depth=2
	v_lshlrev_b32_e32 v58, 2, v155
	ds_load_b32 v60, v58
	ds_load_b64 v[58:59], v123 offset:19456
	s_wait_dscnt 0x1
	v_add_nc_u32_e32 v60, v60, v106
	s_wait_dscnt 0x0
	global_store_b64 v60, v[58:59], s[46:47] scale_offset
	s_wait_xcnt 0x0
	s_or_b32 exec_lo, exec_lo, s15
	s_and_saveexec_b32 s15, s24
	s_cbranch_execz .LBB730_535
.LBB730_599:                            ;   in Loop: Header=BB730_396 Depth=2
	v_lshlrev_b32_e32 v58, 2, v154
	ds_load_b32 v60, v58
	ds_load_b64 v[58:59], v123 offset:21504
	s_wait_dscnt 0x1
	v_add_nc_u32_e32 v60, v60, v107
	s_wait_dscnt 0x0
	global_store_b64 v60, v[58:59], s[46:47] scale_offset
	s_wait_xcnt 0x0
	s_or_b32 exec_lo, exec_lo, s15
	s_and_saveexec_b32 s15, s25
	s_cbranch_execz .LBB730_536
.LBB730_600:                            ;   in Loop: Header=BB730_396 Depth=2
	v_lshlrev_b32_e32 v58, 2, v153
	ds_load_b32 v60, v58
	ds_load_b64 v[58:59], v123 offset:23552
	s_wait_dscnt 0x1
	v_add_nc_u32_e32 v60, v60, v108
	s_wait_dscnt 0x0
	global_store_b64 v60, v[58:59], s[46:47] scale_offset
	s_wait_xcnt 0x0
	s_or_b32 exec_lo, exec_lo, s15
	s_and_saveexec_b32 s15, s26
	s_cbranch_execz .LBB730_537
.LBB730_601:                            ;   in Loop: Header=BB730_396 Depth=2
	v_lshlrev_b32_e32 v58, 2, v152
	ds_load_b32 v60, v58
	ds_load_b64 v[58:59], v123 offset:25600
	s_wait_dscnt 0x1
	v_add_nc_u32_e32 v60, v60, v109
	s_wait_dscnt 0x0
	global_store_b64 v60, v[58:59], s[46:47] scale_offset
	s_wait_xcnt 0x0
	s_or_b32 exec_lo, exec_lo, s15
	s_and_saveexec_b32 s15, s27
	s_cbranch_execz .LBB730_538
.LBB730_602:                            ;   in Loop: Header=BB730_396 Depth=2
	v_lshlrev_b32_e32 v58, 2, v151
	ds_load_b32 v60, v58
	ds_load_b64 v[58:59], v123 offset:27648
	s_wait_dscnt 0x1
	v_add_nc_u32_e32 v60, v60, v110
	s_wait_dscnt 0x0
	global_store_b64 v60, v[58:59], s[46:47] scale_offset
	s_wait_xcnt 0x0
	s_or_b32 exec_lo, exec_lo, s15
	s_and_saveexec_b32 s15, s28
	s_cbranch_execz .LBB730_539
.LBB730_603:                            ;   in Loop: Header=BB730_396 Depth=2
	v_lshlrev_b32_e32 v58, 2, v150
	ds_load_b32 v60, v58
	ds_load_b64 v[58:59], v123 offset:29696
	s_wait_dscnt 0x1
	v_add_nc_u32_e32 v60, v60, v111
	s_wait_dscnt 0x0
	global_store_b64 v60, v[58:59], s[46:47] scale_offset
	s_wait_xcnt 0x0
	s_or_b32 exec_lo, exec_lo, s15
	s_and_saveexec_b32 s15, s29
	s_cbranch_execnz .LBB730_540
	s_branch .LBB730_541
.LBB730_604:                            ;   in Loop: Header=BB730_20 Depth=1
	s_wait_dscnt 0x0
	s_barrier_signal -1
	s_barrier_wait -1
.LBB730_605:                            ;   in Loop: Header=BB730_20 Depth=1
	s_mov_b32 s7, 0
.LBB730_606:                            ;   in Loop: Header=BB730_20 Depth=1
	s_delay_alu instid0(SALU_CYCLE_1)
	s_and_not1_b32 vcc_lo, exec_lo, s7
	s_cbranch_vccnz .LBB730_19
; %bb.607:                              ;   in Loop: Header=BB730_20 Depth=1
	s_lshl_b32 s7, -1, s55
	s_and_b32 vcc_lo, exec_lo, s53
	s_not_b32 s55, s7
	s_mov_b32 s7, -1
	s_cbranch_vccz .LBB730_899
; %bb.608:                              ;   in Loop: Header=BB730_20 Depth=1
	s_mov_b32 s7, s54
	s_mov_b32 s30, s52
	s_barrier_signal -1
	s_barrier_wait -1
                                        ; implicit-def: $vgpr22_vgpr23
                                        ; implicit-def: $vgpr24_vgpr25
                                        ; implicit-def: $vgpr26_vgpr27
                                        ; implicit-def: $vgpr28_vgpr29
                                        ; implicit-def: $vgpr30_vgpr31
                                        ; implicit-def: $vgpr32_vgpr33
                                        ; implicit-def: $vgpr34_vgpr35
                                        ; implicit-def: $vgpr36_vgpr37
                                        ; implicit-def: $vgpr38_vgpr39
                                        ; implicit-def: $vgpr40_vgpr41
                                        ; implicit-def: $vgpr42_vgpr43
                                        ; implicit-def: $vgpr44_vgpr45
                                        ; implicit-def: $vgpr46_vgpr47
                                        ; implicit-def: $vgpr48_vgpr49
                                        ; implicit-def: $vgpr50_vgpr51
                                        ; implicit-def: $vgpr52_vgpr53
	s_branch .LBB730_610
.LBB730_609:                            ;   in Loop: Header=BB730_610 Depth=2
	s_or_b32 exec_lo, exec_lo, s8
	s_addk_co_i32 s7, 0xf000
	s_cmp_ge_u32 s10, s51
	s_mov_b32 s30, s10
	s_cbranch_scc1 .LBB730_678
.LBB730_610:                            ;   Parent Loop BB730_20 Depth=1
                                        ; =>  This Inner Loop Header: Depth=2
	s_add_co_i32 s10, s30, 0x1000
	s_mov_b32 s8, -1
	s_cmp_gt_u32 s10, s51
                                        ; implicit-def: $vgpr54_vgpr55
                                        ; implicit-def: $vgpr56_vgpr57
                                        ; implicit-def: $vgpr58_vgpr59
                                        ; implicit-def: $vgpr60_vgpr61
                                        ; implicit-def: $vgpr62_vgpr63
                                        ; implicit-def: $vgpr64_vgpr65
                                        ; implicit-def: $vgpr66_vgpr67
                                        ; implicit-def: $vgpr68_vgpr69
                                        ; implicit-def: $vgpr70_vgpr71
                                        ; implicit-def: $vgpr72_vgpr73
                                        ; implicit-def: $vgpr74_vgpr75
                                        ; implicit-def: $vgpr76_vgpr77
                                        ; implicit-def: $vgpr78_vgpr79
                                        ; implicit-def: $vgpr80_vgpr81
                                        ; implicit-def: $vgpr82_vgpr83
                                        ; implicit-def: $vgpr84_vgpr85
	s_cbranch_scc1 .LBB730_612
; %bb.611:                              ;   in Loop: Header=BB730_610 Depth=2
	v_lshl_add_u64 v[84:85], s[30:31], 3, v[16:17]
	s_mov_b32 s8, 0
	s_clause 0xf
	global_load_b64 v[54:55], v[84:85], off
	global_load_b64 v[56:57], v[84:85], off offset:2048
	global_load_b64 v[58:59], v[84:85], off offset:4096
	;; [unrolled: 1-line block ×15, first 2 shown]
.LBB730_612:                            ;   in Loop: Header=BB730_610 Depth=2
	s_and_not1_b32 vcc_lo, exec_lo, s8
	s_movk_i32 s8, 0x1000
	s_cbranch_vccnz .LBB730_631
; %bb.613:                              ;   in Loop: Header=BB730_610 Depth=2
	s_lshl_b64 s[8:9], s[30:31], 3
	s_mov_b32 s11, exec_lo
	s_add_nc_u64 s[8:9], s[36:37], s[8:9]
	s_wait_xcnt 0x0
	v_cmpx_gt_u32_e64 s7, v2
	s_cbranch_execnz .LBB730_663
; %bb.614:                              ;   in Loop: Header=BB730_610 Depth=2
	s_or_b32 exec_lo, exec_lo, s11
	s_delay_alu instid0(SALU_CYCLE_1)
	s_mov_b32 s11, exec_lo
	v_cmpx_gt_u32_e64 s7, v98
	s_cbranch_execnz .LBB730_664
.LBB730_615:                            ;   in Loop: Header=BB730_610 Depth=2
	s_or_b32 exec_lo, exec_lo, s11
	s_delay_alu instid0(SALU_CYCLE_1)
	s_mov_b32 s11, exec_lo
	v_cmpx_gt_u32_e64 s7, v99
	s_cbranch_execnz .LBB730_665
.LBB730_616:                            ;   in Loop: Header=BB730_610 Depth=2
	s_or_b32 exec_lo, exec_lo, s11
	s_delay_alu instid0(SALU_CYCLE_1)
	s_mov_b32 s11, exec_lo
	v_cmpx_gt_u32_e64 s7, v100
	s_cbranch_execnz .LBB730_666
.LBB730_617:                            ;   in Loop: Header=BB730_610 Depth=2
	s_or_b32 exec_lo, exec_lo, s11
	s_delay_alu instid0(SALU_CYCLE_1)
	s_mov_b32 s11, exec_lo
	v_cmpx_gt_u32_e64 s7, v101
	s_cbranch_execnz .LBB730_667
.LBB730_618:                            ;   in Loop: Header=BB730_610 Depth=2
	s_or_b32 exec_lo, exec_lo, s11
	s_delay_alu instid0(SALU_CYCLE_1)
	s_mov_b32 s11, exec_lo
	v_cmpx_gt_u32_e64 s7, v102
	s_cbranch_execnz .LBB730_668
.LBB730_619:                            ;   in Loop: Header=BB730_610 Depth=2
	s_or_b32 exec_lo, exec_lo, s11
	s_delay_alu instid0(SALU_CYCLE_1)
	s_mov_b32 s11, exec_lo
	v_cmpx_gt_u32_e64 s7, v103
	s_cbranch_execnz .LBB730_669
.LBB730_620:                            ;   in Loop: Header=BB730_610 Depth=2
	s_or_b32 exec_lo, exec_lo, s11
	s_delay_alu instid0(SALU_CYCLE_1)
	s_mov_b32 s11, exec_lo
	v_cmpx_gt_u32_e64 s7, v104
	s_cbranch_execnz .LBB730_670
.LBB730_621:                            ;   in Loop: Header=BB730_610 Depth=2
	s_or_b32 exec_lo, exec_lo, s11
	s_delay_alu instid0(SALU_CYCLE_1)
	s_mov_b32 s11, exec_lo
	v_cmpx_gt_u32_e64 s7, v105
	s_cbranch_execnz .LBB730_671
.LBB730_622:                            ;   in Loop: Header=BB730_610 Depth=2
	s_or_b32 exec_lo, exec_lo, s11
	s_delay_alu instid0(SALU_CYCLE_1)
	s_mov_b32 s11, exec_lo
	v_cmpx_gt_u32_e64 s7, v106
	s_cbranch_execnz .LBB730_672
.LBB730_623:                            ;   in Loop: Header=BB730_610 Depth=2
	s_or_b32 exec_lo, exec_lo, s11
	s_delay_alu instid0(SALU_CYCLE_1)
	s_mov_b32 s11, exec_lo
	v_cmpx_gt_u32_e64 s7, v107
	s_cbranch_execnz .LBB730_673
.LBB730_624:                            ;   in Loop: Header=BB730_610 Depth=2
	s_or_b32 exec_lo, exec_lo, s11
	s_delay_alu instid0(SALU_CYCLE_1)
	s_mov_b32 s11, exec_lo
	v_cmpx_gt_u32_e64 s7, v108
	s_cbranch_execnz .LBB730_674
.LBB730_625:                            ;   in Loop: Header=BB730_610 Depth=2
	s_or_b32 exec_lo, exec_lo, s11
	s_delay_alu instid0(SALU_CYCLE_1)
	s_mov_b32 s11, exec_lo
	v_cmpx_gt_u32_e64 s7, v109
	s_cbranch_execnz .LBB730_675
.LBB730_626:                            ;   in Loop: Header=BB730_610 Depth=2
	s_or_b32 exec_lo, exec_lo, s11
	s_delay_alu instid0(SALU_CYCLE_1)
	s_mov_b32 s11, exec_lo
	v_cmpx_gt_u32_e64 s7, v110
	s_cbranch_execnz .LBB730_676
.LBB730_627:                            ;   in Loop: Header=BB730_610 Depth=2
	s_or_b32 exec_lo, exec_lo, s11
	s_delay_alu instid0(SALU_CYCLE_1)
	s_mov_b32 s11, exec_lo
	v_cmpx_gt_u32_e64 s7, v111
	s_cbranch_execnz .LBB730_677
.LBB730_628:                            ;   in Loop: Header=BB730_610 Depth=2
	s_or_b32 exec_lo, exec_lo, s11
	s_delay_alu instid0(SALU_CYCLE_1)
	s_mov_b32 s11, exec_lo
	v_cmpx_gt_u32_e64 s7, v112
	s_cbranch_execz .LBB730_630
.LBB730_629:                            ;   in Loop: Header=BB730_610 Depth=2
	global_load_b64 v[22:23], v2, s[8:9] offset:30720 scale_offset
.LBB730_630:                            ;   in Loop: Header=BB730_610 Depth=2
	s_wait_xcnt 0x0
	s_or_b32 exec_lo, exec_lo, s11
	s_wait_loadcnt 0x0
	v_mov_b64_e32 v[54:55], v[52:53]
	v_mov_b64_e32 v[56:57], v[50:51]
	;; [unrolled: 1-line block ×16, first 2 shown]
	s_mov_b32 s8, s7
.LBB730_631:                            ;   in Loop: Header=BB730_610 Depth=2
	s_wait_loadcnt 0x0
	s_delay_alu instid0(VALU_DEP_1) | instskip(NEXT) | instid1(VALU_DEP_3)
	v_mov_b64_e32 v[22:23], v[84:85]
	v_mov_b64_e32 v[24:25], v[82:83]
	;; [unrolled: 1-line block ×16, first 2 shown]
	s_mov_b32 s9, exec_lo
	s_wait_xcnt 0x0
	v_cmpx_gt_u32_e64 s8, v2
	s_cbranch_execnz .LBB730_647
; %bb.632:                              ;   in Loop: Header=BB730_610 Depth=2
	s_or_b32 exec_lo, exec_lo, s9
	s_delay_alu instid0(SALU_CYCLE_1)
	s_mov_b32 s9, exec_lo
	v_cmpx_gt_u32_e64 s8, v98
	s_cbranch_execnz .LBB730_648
.LBB730_633:                            ;   in Loop: Header=BB730_610 Depth=2
	s_or_b32 exec_lo, exec_lo, s9
	s_delay_alu instid0(SALU_CYCLE_1)
	s_mov_b32 s9, exec_lo
	v_cmpx_gt_u32_e64 s8, v99
	s_cbranch_execnz .LBB730_649
.LBB730_634:                            ;   in Loop: Header=BB730_610 Depth=2
	s_or_b32 exec_lo, exec_lo, s9
	s_delay_alu instid0(SALU_CYCLE_1)
	s_mov_b32 s9, exec_lo
	v_cmpx_gt_u32_e64 s8, v100
	s_cbranch_execnz .LBB730_650
.LBB730_635:                            ;   in Loop: Header=BB730_610 Depth=2
	s_or_b32 exec_lo, exec_lo, s9
	s_delay_alu instid0(SALU_CYCLE_1)
	s_mov_b32 s9, exec_lo
	v_cmpx_gt_u32_e64 s8, v101
	s_cbranch_execnz .LBB730_651
.LBB730_636:                            ;   in Loop: Header=BB730_610 Depth=2
	s_or_b32 exec_lo, exec_lo, s9
	s_delay_alu instid0(SALU_CYCLE_1)
	s_mov_b32 s9, exec_lo
	v_cmpx_gt_u32_e64 s8, v102
	s_cbranch_execnz .LBB730_652
.LBB730_637:                            ;   in Loop: Header=BB730_610 Depth=2
	s_or_b32 exec_lo, exec_lo, s9
	s_delay_alu instid0(SALU_CYCLE_1)
	s_mov_b32 s9, exec_lo
	v_cmpx_gt_u32_e64 s8, v103
	s_cbranch_execnz .LBB730_653
.LBB730_638:                            ;   in Loop: Header=BB730_610 Depth=2
	s_or_b32 exec_lo, exec_lo, s9
	s_delay_alu instid0(SALU_CYCLE_1)
	s_mov_b32 s9, exec_lo
	v_cmpx_gt_u32_e64 s8, v104
	s_cbranch_execnz .LBB730_654
.LBB730_639:                            ;   in Loop: Header=BB730_610 Depth=2
	s_or_b32 exec_lo, exec_lo, s9
	s_delay_alu instid0(SALU_CYCLE_1)
	s_mov_b32 s9, exec_lo
	v_cmpx_gt_u32_e64 s8, v105
	s_cbranch_execnz .LBB730_655
.LBB730_640:                            ;   in Loop: Header=BB730_610 Depth=2
	s_or_b32 exec_lo, exec_lo, s9
	s_delay_alu instid0(SALU_CYCLE_1)
	s_mov_b32 s9, exec_lo
	v_cmpx_gt_u32_e64 s8, v106
	s_cbranch_execnz .LBB730_656
.LBB730_641:                            ;   in Loop: Header=BB730_610 Depth=2
	s_or_b32 exec_lo, exec_lo, s9
	s_delay_alu instid0(SALU_CYCLE_1)
	s_mov_b32 s9, exec_lo
	v_cmpx_gt_u32_e64 s8, v107
	s_cbranch_execnz .LBB730_657
.LBB730_642:                            ;   in Loop: Header=BB730_610 Depth=2
	s_or_b32 exec_lo, exec_lo, s9
	s_delay_alu instid0(SALU_CYCLE_1)
	s_mov_b32 s9, exec_lo
	v_cmpx_gt_u32_e64 s8, v108
	s_cbranch_execnz .LBB730_658
.LBB730_643:                            ;   in Loop: Header=BB730_610 Depth=2
	s_or_b32 exec_lo, exec_lo, s9
	s_delay_alu instid0(SALU_CYCLE_1)
	s_mov_b32 s9, exec_lo
	v_cmpx_gt_u32_e64 s8, v109
	s_cbranch_execnz .LBB730_659
.LBB730_644:                            ;   in Loop: Header=BB730_610 Depth=2
	s_or_b32 exec_lo, exec_lo, s9
	s_delay_alu instid0(SALU_CYCLE_1)
	s_mov_b32 s9, exec_lo
	v_cmpx_gt_u32_e64 s8, v110
	s_cbranch_execnz .LBB730_660
.LBB730_645:                            ;   in Loop: Header=BB730_610 Depth=2
	s_or_b32 exec_lo, exec_lo, s9
	s_delay_alu instid0(SALU_CYCLE_1)
	s_mov_b32 s9, exec_lo
	v_cmpx_gt_u32_e64 s8, v111
	s_cbranch_execnz .LBB730_661
.LBB730_646:                            ;   in Loop: Header=BB730_610 Depth=2
	s_or_b32 exec_lo, exec_lo, s9
	v_cmp_gt_u32_e32 vcc_lo, s8, v112
	s_and_saveexec_b32 s8, vcc_lo
	s_cbranch_execz .LBB730_609
	s_branch .LBB730_662
.LBB730_647:                            ;   in Loop: Header=BB730_610 Depth=2
	s_delay_alu instid0(VALU_DEP_2) | instskip(NEXT) | instid1(VALU_DEP_3)
	v_xor_b32_e32 v55, 0x7fffffff, v53
	v_not_b32_e32 v54, v52
	s_delay_alu instid0(VALU_DEP_1) | instskip(NEXT) | instid1(VALU_DEP_1)
	v_lshrrev_b64 v[54:55], s43, v[54:55]
	v_and_b32_e32 v54, s55, v54
	s_delay_alu instid0(VALU_DEP_1) | instskip(SKIP_2) | instid1(SALU_CYCLE_1)
	v_lshl_or_b32 v54, v54, 4, v113
	ds_add_u32 v54, v125
	s_or_b32 exec_lo, exec_lo, s9
	s_mov_b32 s9, exec_lo
	v_cmpx_gt_u32_e64 s8, v98
	s_cbranch_execz .LBB730_633
.LBB730_648:                            ;   in Loop: Header=BB730_610 Depth=2
	v_xor_b32_e32 v55, 0x7fffffff, v51
	v_not_b32_e32 v54, v50
	s_delay_alu instid0(VALU_DEP_1) | instskip(NEXT) | instid1(VALU_DEP_1)
	v_lshrrev_b64 v[54:55], s43, v[54:55]
	v_and_b32_e32 v54, s55, v54
	s_delay_alu instid0(VALU_DEP_1) | instskip(SKIP_2) | instid1(SALU_CYCLE_1)
	v_lshl_or_b32 v54, v54, 4, v113
	ds_add_u32 v54, v125
	s_or_b32 exec_lo, exec_lo, s9
	s_mov_b32 s9, exec_lo
	v_cmpx_gt_u32_e64 s8, v99
	s_cbranch_execz .LBB730_634
.LBB730_649:                            ;   in Loop: Header=BB730_610 Depth=2
	v_xor_b32_e32 v55, 0x7fffffff, v49
	v_not_b32_e32 v54, v48
	s_delay_alu instid0(VALU_DEP_1) | instskip(NEXT) | instid1(VALU_DEP_1)
	v_lshrrev_b64 v[54:55], s43, v[54:55]
	v_and_b32_e32 v54, s55, v54
	s_delay_alu instid0(VALU_DEP_1) | instskip(SKIP_2) | instid1(SALU_CYCLE_1)
	v_lshl_or_b32 v54, v54, 4, v113
	ds_add_u32 v54, v125
	s_or_b32 exec_lo, exec_lo, s9
	s_mov_b32 s9, exec_lo
	v_cmpx_gt_u32_e64 s8, v100
	s_cbranch_execz .LBB730_635
.LBB730_650:                            ;   in Loop: Header=BB730_610 Depth=2
	v_xor_b32_e32 v55, 0x7fffffff, v47
	v_not_b32_e32 v54, v46
	s_delay_alu instid0(VALU_DEP_1) | instskip(NEXT) | instid1(VALU_DEP_1)
	v_lshrrev_b64 v[54:55], s43, v[54:55]
	v_and_b32_e32 v54, s55, v54
	s_delay_alu instid0(VALU_DEP_1) | instskip(SKIP_2) | instid1(SALU_CYCLE_1)
	v_lshl_or_b32 v54, v54, 4, v113
	ds_add_u32 v54, v125
	s_or_b32 exec_lo, exec_lo, s9
	s_mov_b32 s9, exec_lo
	v_cmpx_gt_u32_e64 s8, v101
	s_cbranch_execz .LBB730_636
.LBB730_651:                            ;   in Loop: Header=BB730_610 Depth=2
	v_xor_b32_e32 v55, 0x7fffffff, v45
	v_not_b32_e32 v54, v44
	s_delay_alu instid0(VALU_DEP_1) | instskip(NEXT) | instid1(VALU_DEP_1)
	v_lshrrev_b64 v[54:55], s43, v[54:55]
	v_and_b32_e32 v54, s55, v54
	s_delay_alu instid0(VALU_DEP_1) | instskip(SKIP_2) | instid1(SALU_CYCLE_1)
	v_lshl_or_b32 v54, v54, 4, v113
	ds_add_u32 v54, v125
	s_or_b32 exec_lo, exec_lo, s9
	s_mov_b32 s9, exec_lo
	v_cmpx_gt_u32_e64 s8, v102
	s_cbranch_execz .LBB730_637
.LBB730_652:                            ;   in Loop: Header=BB730_610 Depth=2
	v_xor_b32_e32 v55, 0x7fffffff, v43
	v_not_b32_e32 v54, v42
	s_delay_alu instid0(VALU_DEP_1) | instskip(NEXT) | instid1(VALU_DEP_1)
	v_lshrrev_b64 v[54:55], s43, v[54:55]
	v_and_b32_e32 v54, s55, v54
	s_delay_alu instid0(VALU_DEP_1) | instskip(SKIP_2) | instid1(SALU_CYCLE_1)
	v_lshl_or_b32 v54, v54, 4, v113
	ds_add_u32 v54, v125
	s_or_b32 exec_lo, exec_lo, s9
	s_mov_b32 s9, exec_lo
	v_cmpx_gt_u32_e64 s8, v103
	s_cbranch_execz .LBB730_638
.LBB730_653:                            ;   in Loop: Header=BB730_610 Depth=2
	v_xor_b32_e32 v55, 0x7fffffff, v41
	v_not_b32_e32 v54, v40
	s_delay_alu instid0(VALU_DEP_1) | instskip(NEXT) | instid1(VALU_DEP_1)
	v_lshrrev_b64 v[54:55], s43, v[54:55]
	v_and_b32_e32 v54, s55, v54
	s_delay_alu instid0(VALU_DEP_1) | instskip(SKIP_2) | instid1(SALU_CYCLE_1)
	v_lshl_or_b32 v54, v54, 4, v113
	ds_add_u32 v54, v125
	s_or_b32 exec_lo, exec_lo, s9
	s_mov_b32 s9, exec_lo
	v_cmpx_gt_u32_e64 s8, v104
	s_cbranch_execz .LBB730_639
.LBB730_654:                            ;   in Loop: Header=BB730_610 Depth=2
	v_xor_b32_e32 v55, 0x7fffffff, v39
	v_not_b32_e32 v54, v38
	s_delay_alu instid0(VALU_DEP_1) | instskip(NEXT) | instid1(VALU_DEP_1)
	v_lshrrev_b64 v[54:55], s43, v[54:55]
	v_and_b32_e32 v54, s55, v54
	s_delay_alu instid0(VALU_DEP_1) | instskip(SKIP_2) | instid1(SALU_CYCLE_1)
	v_lshl_or_b32 v54, v54, 4, v113
	ds_add_u32 v54, v125
	s_or_b32 exec_lo, exec_lo, s9
	s_mov_b32 s9, exec_lo
	v_cmpx_gt_u32_e64 s8, v105
	s_cbranch_execz .LBB730_640
.LBB730_655:                            ;   in Loop: Header=BB730_610 Depth=2
	v_xor_b32_e32 v55, 0x7fffffff, v37
	v_not_b32_e32 v54, v36
	s_delay_alu instid0(VALU_DEP_1) | instskip(NEXT) | instid1(VALU_DEP_1)
	v_lshrrev_b64 v[54:55], s43, v[54:55]
	v_and_b32_e32 v54, s55, v54
	s_delay_alu instid0(VALU_DEP_1) | instskip(SKIP_2) | instid1(SALU_CYCLE_1)
	v_lshl_or_b32 v54, v54, 4, v113
	ds_add_u32 v54, v125
	s_or_b32 exec_lo, exec_lo, s9
	s_mov_b32 s9, exec_lo
	v_cmpx_gt_u32_e64 s8, v106
	s_cbranch_execz .LBB730_641
.LBB730_656:                            ;   in Loop: Header=BB730_610 Depth=2
	v_xor_b32_e32 v55, 0x7fffffff, v35
	v_not_b32_e32 v54, v34
	s_delay_alu instid0(VALU_DEP_1) | instskip(NEXT) | instid1(VALU_DEP_1)
	v_lshrrev_b64 v[54:55], s43, v[54:55]
	v_and_b32_e32 v54, s55, v54
	s_delay_alu instid0(VALU_DEP_1) | instskip(SKIP_2) | instid1(SALU_CYCLE_1)
	v_lshl_or_b32 v54, v54, 4, v113
	ds_add_u32 v54, v125
	s_or_b32 exec_lo, exec_lo, s9
	s_mov_b32 s9, exec_lo
	v_cmpx_gt_u32_e64 s8, v107
	s_cbranch_execz .LBB730_642
.LBB730_657:                            ;   in Loop: Header=BB730_610 Depth=2
	v_xor_b32_e32 v55, 0x7fffffff, v33
	v_not_b32_e32 v54, v32
	s_delay_alu instid0(VALU_DEP_1) | instskip(NEXT) | instid1(VALU_DEP_1)
	v_lshrrev_b64 v[54:55], s43, v[54:55]
	v_and_b32_e32 v54, s55, v54
	s_delay_alu instid0(VALU_DEP_1) | instskip(SKIP_2) | instid1(SALU_CYCLE_1)
	v_lshl_or_b32 v54, v54, 4, v113
	ds_add_u32 v54, v125
	s_or_b32 exec_lo, exec_lo, s9
	s_mov_b32 s9, exec_lo
	v_cmpx_gt_u32_e64 s8, v108
	s_cbranch_execz .LBB730_643
.LBB730_658:                            ;   in Loop: Header=BB730_610 Depth=2
	v_xor_b32_e32 v55, 0x7fffffff, v31
	v_not_b32_e32 v54, v30
	s_delay_alu instid0(VALU_DEP_1) | instskip(NEXT) | instid1(VALU_DEP_1)
	v_lshrrev_b64 v[54:55], s43, v[54:55]
	v_and_b32_e32 v54, s55, v54
	s_delay_alu instid0(VALU_DEP_1) | instskip(SKIP_2) | instid1(SALU_CYCLE_1)
	v_lshl_or_b32 v54, v54, 4, v113
	ds_add_u32 v54, v125
	s_or_b32 exec_lo, exec_lo, s9
	s_mov_b32 s9, exec_lo
	v_cmpx_gt_u32_e64 s8, v109
	s_cbranch_execz .LBB730_644
.LBB730_659:                            ;   in Loop: Header=BB730_610 Depth=2
	v_xor_b32_e32 v55, 0x7fffffff, v29
	v_not_b32_e32 v54, v28
	s_delay_alu instid0(VALU_DEP_1) | instskip(NEXT) | instid1(VALU_DEP_1)
	v_lshrrev_b64 v[54:55], s43, v[54:55]
	v_and_b32_e32 v54, s55, v54
	s_delay_alu instid0(VALU_DEP_1) | instskip(SKIP_2) | instid1(SALU_CYCLE_1)
	v_lshl_or_b32 v54, v54, 4, v113
	ds_add_u32 v54, v125
	s_or_b32 exec_lo, exec_lo, s9
	s_mov_b32 s9, exec_lo
	v_cmpx_gt_u32_e64 s8, v110
	s_cbranch_execz .LBB730_645
.LBB730_660:                            ;   in Loop: Header=BB730_610 Depth=2
	v_xor_b32_e32 v55, 0x7fffffff, v27
	v_not_b32_e32 v54, v26
	s_delay_alu instid0(VALU_DEP_1) | instskip(NEXT) | instid1(VALU_DEP_1)
	v_lshrrev_b64 v[54:55], s43, v[54:55]
	v_and_b32_e32 v54, s55, v54
	s_delay_alu instid0(VALU_DEP_1) | instskip(SKIP_2) | instid1(SALU_CYCLE_1)
	v_lshl_or_b32 v54, v54, 4, v113
	ds_add_u32 v54, v125
	s_or_b32 exec_lo, exec_lo, s9
	s_mov_b32 s9, exec_lo
	v_cmpx_gt_u32_e64 s8, v111
	s_cbranch_execz .LBB730_646
.LBB730_661:                            ;   in Loop: Header=BB730_610 Depth=2
	v_xor_b32_e32 v55, 0x7fffffff, v25
	v_not_b32_e32 v54, v24
	s_delay_alu instid0(VALU_DEP_1) | instskip(NEXT) | instid1(VALU_DEP_1)
	v_lshrrev_b64 v[54:55], s43, v[54:55]
	v_and_b32_e32 v54, s55, v54
	s_delay_alu instid0(VALU_DEP_1)
	v_lshl_or_b32 v54, v54, 4, v113
	ds_add_u32 v54, v125
	s_or_b32 exec_lo, exec_lo, s9
	v_cmp_gt_u32_e32 vcc_lo, s8, v112
	s_and_saveexec_b32 s8, vcc_lo
	s_cbranch_execz .LBB730_609
.LBB730_662:                            ;   in Loop: Header=BB730_610 Depth=2
	v_xor_b32_e32 v55, 0x7fffffff, v23
	v_not_b32_e32 v54, v22
	s_delay_alu instid0(VALU_DEP_1) | instskip(NEXT) | instid1(VALU_DEP_1)
	v_lshrrev_b64 v[54:55], s43, v[54:55]
	v_and_b32_e32 v54, s55, v54
	s_delay_alu instid0(VALU_DEP_1)
	v_lshl_or_b32 v54, v54, 4, v113
	ds_add_u32 v54, v125
	s_branch .LBB730_609
.LBB730_663:                            ;   in Loop: Header=BB730_610 Depth=2
	global_load_b64 v[52:53], v2, s[8:9] scale_offset
	s_wait_xcnt 0x0
	s_or_b32 exec_lo, exec_lo, s11
	s_delay_alu instid0(SALU_CYCLE_1)
	s_mov_b32 s11, exec_lo
	v_cmpx_gt_u32_e64 s7, v98
	s_cbranch_execz .LBB730_615
.LBB730_664:                            ;   in Loop: Header=BB730_610 Depth=2
	global_load_b64 v[50:51], v2, s[8:9] offset:2048 scale_offset
	s_wait_xcnt 0x0
	s_or_b32 exec_lo, exec_lo, s11
	s_delay_alu instid0(SALU_CYCLE_1)
	s_mov_b32 s11, exec_lo
	v_cmpx_gt_u32_e64 s7, v99
	s_cbranch_execz .LBB730_616
.LBB730_665:                            ;   in Loop: Header=BB730_610 Depth=2
	global_load_b64 v[48:49], v2, s[8:9] offset:4096 scale_offset
	s_wait_xcnt 0x0
	s_or_b32 exec_lo, exec_lo, s11
	s_delay_alu instid0(SALU_CYCLE_1)
	s_mov_b32 s11, exec_lo
	v_cmpx_gt_u32_e64 s7, v100
	s_cbranch_execz .LBB730_617
.LBB730_666:                            ;   in Loop: Header=BB730_610 Depth=2
	global_load_b64 v[46:47], v2, s[8:9] offset:6144 scale_offset
	s_wait_xcnt 0x0
	s_or_b32 exec_lo, exec_lo, s11
	s_delay_alu instid0(SALU_CYCLE_1)
	s_mov_b32 s11, exec_lo
	v_cmpx_gt_u32_e64 s7, v101
	s_cbranch_execz .LBB730_618
.LBB730_667:                            ;   in Loop: Header=BB730_610 Depth=2
	global_load_b64 v[44:45], v2, s[8:9] offset:8192 scale_offset
	s_wait_xcnt 0x0
	s_or_b32 exec_lo, exec_lo, s11
	s_delay_alu instid0(SALU_CYCLE_1)
	s_mov_b32 s11, exec_lo
	v_cmpx_gt_u32_e64 s7, v102
	s_cbranch_execz .LBB730_619
.LBB730_668:                            ;   in Loop: Header=BB730_610 Depth=2
	global_load_b64 v[42:43], v2, s[8:9] offset:10240 scale_offset
	s_wait_xcnt 0x0
	s_or_b32 exec_lo, exec_lo, s11
	s_delay_alu instid0(SALU_CYCLE_1)
	s_mov_b32 s11, exec_lo
	v_cmpx_gt_u32_e64 s7, v103
	s_cbranch_execz .LBB730_620
.LBB730_669:                            ;   in Loop: Header=BB730_610 Depth=2
	global_load_b64 v[40:41], v2, s[8:9] offset:12288 scale_offset
	s_wait_xcnt 0x0
	s_or_b32 exec_lo, exec_lo, s11
	s_delay_alu instid0(SALU_CYCLE_1)
	s_mov_b32 s11, exec_lo
	v_cmpx_gt_u32_e64 s7, v104
	s_cbranch_execz .LBB730_621
.LBB730_670:                            ;   in Loop: Header=BB730_610 Depth=2
	global_load_b64 v[38:39], v2, s[8:9] offset:14336 scale_offset
	s_wait_xcnt 0x0
	s_or_b32 exec_lo, exec_lo, s11
	s_delay_alu instid0(SALU_CYCLE_1)
	s_mov_b32 s11, exec_lo
	v_cmpx_gt_u32_e64 s7, v105
	s_cbranch_execz .LBB730_622
.LBB730_671:                            ;   in Loop: Header=BB730_610 Depth=2
	global_load_b64 v[36:37], v2, s[8:9] offset:16384 scale_offset
	s_wait_xcnt 0x0
	s_or_b32 exec_lo, exec_lo, s11
	s_delay_alu instid0(SALU_CYCLE_1)
	s_mov_b32 s11, exec_lo
	v_cmpx_gt_u32_e64 s7, v106
	s_cbranch_execz .LBB730_623
.LBB730_672:                            ;   in Loop: Header=BB730_610 Depth=2
	global_load_b64 v[34:35], v2, s[8:9] offset:18432 scale_offset
	s_wait_xcnt 0x0
	s_or_b32 exec_lo, exec_lo, s11
	s_delay_alu instid0(SALU_CYCLE_1)
	s_mov_b32 s11, exec_lo
	v_cmpx_gt_u32_e64 s7, v107
	s_cbranch_execz .LBB730_624
.LBB730_673:                            ;   in Loop: Header=BB730_610 Depth=2
	global_load_b64 v[32:33], v2, s[8:9] offset:20480 scale_offset
	s_wait_xcnt 0x0
	s_or_b32 exec_lo, exec_lo, s11
	s_delay_alu instid0(SALU_CYCLE_1)
	s_mov_b32 s11, exec_lo
	v_cmpx_gt_u32_e64 s7, v108
	s_cbranch_execz .LBB730_625
.LBB730_674:                            ;   in Loop: Header=BB730_610 Depth=2
	global_load_b64 v[30:31], v2, s[8:9] offset:22528 scale_offset
	s_wait_xcnt 0x0
	s_or_b32 exec_lo, exec_lo, s11
	s_delay_alu instid0(SALU_CYCLE_1)
	s_mov_b32 s11, exec_lo
	v_cmpx_gt_u32_e64 s7, v109
	s_cbranch_execz .LBB730_626
.LBB730_675:                            ;   in Loop: Header=BB730_610 Depth=2
	global_load_b64 v[28:29], v2, s[8:9] offset:24576 scale_offset
	s_wait_xcnt 0x0
	s_or_b32 exec_lo, exec_lo, s11
	s_delay_alu instid0(SALU_CYCLE_1)
	s_mov_b32 s11, exec_lo
	v_cmpx_gt_u32_e64 s7, v110
	s_cbranch_execz .LBB730_627
.LBB730_676:                            ;   in Loop: Header=BB730_610 Depth=2
	global_load_b64 v[26:27], v2, s[8:9] offset:26624 scale_offset
	s_wait_xcnt 0x0
	s_or_b32 exec_lo, exec_lo, s11
	s_delay_alu instid0(SALU_CYCLE_1)
	s_mov_b32 s11, exec_lo
	v_cmpx_gt_u32_e64 s7, v111
	s_cbranch_execz .LBB730_628
.LBB730_677:                            ;   in Loop: Header=BB730_610 Depth=2
	global_load_b64 v[24:25], v2, s[8:9] offset:28672 scale_offset
	s_wait_xcnt 0x0
	s_or_b32 exec_lo, exec_lo, s11
	s_delay_alu instid0(SALU_CYCLE_1)
	s_mov_b32 s11, exec_lo
	v_cmpx_gt_u32_e64 s7, v112
	s_cbranch_execnz .LBB730_629
	s_branch .LBB730_630
.LBB730_678:                            ;   in Loop: Header=BB730_20 Depth=1
	v_mov_b32_e32 v22, 0
	s_wait_dscnt 0x0
	s_barrier_signal -1
	s_barrier_wait -1
	s_and_saveexec_b32 s7, s0
	s_cbranch_execz .LBB730_680
; %bb.679:                              ;   in Loop: Header=BB730_20 Depth=1
	ds_load_2addr_b64 v[22:25], v115 offset1:1
	s_wait_dscnt 0x0
	v_add_nc_u32_e32 v22, v23, v22
	s_delay_alu instid0(VALU_DEP_1)
	v_add3_u32 v22, v22, v24, v25
.LBB730_680:                            ;   in Loop: Header=BB730_20 Depth=1
	s_or_b32 exec_lo, exec_lo, s7
	s_delay_alu instid0(VALU_DEP_1)
	v_mov_b32_dpp v23, v22 row_shr:1 row_mask:0xf bank_mask:0xf
	v_cmp_eq_u32_e64 s7, 0, v126
	v_cmp_lt_u32_e64 s8, 1, v126
	v_cmp_lt_u32_e64 s9, 3, v126
	;; [unrolled: 1-line block ×3, first 2 shown]
	v_cmp_eq_u32_e64 s11, 0, v128
	v_cndmask_b32_e64 v23, v23, 0, s7
	s_delay_alu instid0(VALU_DEP_1) | instskip(NEXT) | instid1(VALU_DEP_1)
	v_add_nc_u32_e32 v22, v23, v22
	v_mov_b32_dpp v23, v22 row_shr:2 row_mask:0xf bank_mask:0xf
	s_delay_alu instid0(VALU_DEP_1) | instskip(NEXT) | instid1(VALU_DEP_1)
	v_cndmask_b32_e64 v23, 0, v23, s8
	v_add_nc_u32_e32 v22, v22, v23
	s_delay_alu instid0(VALU_DEP_1) | instskip(NEXT) | instid1(VALU_DEP_1)
	v_mov_b32_dpp v23, v22 row_shr:4 row_mask:0xf bank_mask:0xf
	v_cndmask_b32_e64 v23, 0, v23, s9
	s_delay_alu instid0(VALU_DEP_1) | instskip(NEXT) | instid1(VALU_DEP_1)
	v_add_nc_u32_e32 v22, v22, v23
	v_mov_b32_dpp v23, v22 row_shr:8 row_mask:0xf bank_mask:0xf
	s_delay_alu instid0(VALU_DEP_1) | instskip(NEXT) | instid1(VALU_DEP_1)
	v_cndmask_b32_e64 v23, 0, v23, s10
	v_add_nc_u32_e32 v22, v22, v23
	ds_swizzle_b32 v23, v22 offset:swizzle(BROADCAST,32,15)
	s_wait_dscnt 0x0
	v_and_b32_e32 v23, v127, v23
	s_delay_alu instid0(VALU_DEP_1)
	v_add_nc_u32_e32 v22, v22, v23
	s_and_saveexec_b32 s12, s1
; %bb.681:                              ;   in Loop: Header=BB730_20 Depth=1
	ds_store_b32 v116, v22
; %bb.682:                              ;   in Loop: Header=BB730_20 Depth=1
	s_or_b32 exec_lo, exec_lo, s12
	s_wait_dscnt 0x0
	s_barrier_signal -1
	s_barrier_wait -1
	s_and_saveexec_b32 s12, s4
	s_cbranch_execz .LBB730_684
; %bb.683:                              ;   in Loop: Header=BB730_20 Depth=1
	ds_load_b32 v23, v117
	v_cmp_ne_u32_e32 vcc_lo, 0, v130
	s_wait_dscnt 0x0
	v_mov_b32_dpp v24, v23 row_shr:1 row_mask:0xf bank_mask:0xf
	s_delay_alu instid0(VALU_DEP_1) | instskip(SKIP_1) | instid1(VALU_DEP_2)
	v_cndmask_b32_e32 v24, 0, v24, vcc_lo
	v_cmp_lt_u32_e32 vcc_lo, 1, v130
	v_add_nc_u32_e32 v23, v24, v23
	s_delay_alu instid0(VALU_DEP_1) | instskip(NEXT) | instid1(VALU_DEP_1)
	v_mov_b32_dpp v24, v23 row_shr:2 row_mask:0xf bank_mask:0xf
	v_cndmask_b32_e32 v24, 0, v24, vcc_lo
	v_cmp_lt_u32_e32 vcc_lo, 3, v130
	s_delay_alu instid0(VALU_DEP_2) | instskip(NEXT) | instid1(VALU_DEP_1)
	v_add_nc_u32_e32 v23, v23, v24
	v_mov_b32_dpp v24, v23 row_shr:4 row_mask:0xf bank_mask:0xf
	s_delay_alu instid0(VALU_DEP_1) | instskip(NEXT) | instid1(VALU_DEP_1)
	v_cndmask_b32_e32 v24, 0, v24, vcc_lo
	v_add_nc_u32_e32 v23, v23, v24
	ds_store_b32 v117, v23
.LBB730_684:                            ;   in Loop: Header=BB730_20 Depth=1
	s_or_b32 exec_lo, exec_lo, s12
	v_mov_b32_e32 v23, 0
	s_wait_dscnt 0x0
	s_barrier_signal -1
	s_barrier_wait -1
	s_and_saveexec_b32 s12, s5
; %bb.685:                              ;   in Loop: Header=BB730_20 Depth=1
	ds_load_b32 v23, v118
; %bb.686:                              ;   in Loop: Header=BB730_20 Depth=1
	s_or_b32 exec_lo, exec_lo, s12
	v_cmp_gt_i32_e32 vcc_lo, 0, v131
	s_wait_dscnt 0x0
	s_barrier_signal -1
	s_barrier_wait -1
	v_cndmask_b32_e32 v24, v131, v124, vcc_lo
	s_delay_alu instid0(VALU_DEP_1)
	v_dual_add_nc_u32 v22, v23, v22 :: v_dual_lshlrev_b32 v147, 2, v24
	ds_bpermute_b32 v22, v147, v22
	s_and_saveexec_b32 s12, s0
	s_cbranch_execz .LBB730_688
; %bb.687:                              ;   in Loop: Header=BB730_20 Depth=1
	s_wait_dscnt 0x0
	v_cndmask_b32_e64 v22, v22, v23, s6
	s_delay_alu instid0(VALU_DEP_1)
	v_add_nc_u32_e32 v22, s52, v22
	ds_store_b32 v3, v22
.LBB730_688:                            ;   in Loop: Header=BB730_20 Depth=1
	s_or_b32 exec_lo, exec_lo, s12
	s_load_b64 s[12:13], s[34:35], 0x0
	v_add_nc_u64_e32 v[24:25], v[20:21], v[4:5]
	s_mov_b32 s56, s54
                                        ; implicit-def: $vgpr28_vgpr29
                                        ; implicit-def: $vgpr30_vgpr31
                                        ; implicit-def: $vgpr32_vgpr33
                                        ; implicit-def: $vgpr34_vgpr35
                                        ; implicit-def: $vgpr36_vgpr37
                                        ; implicit-def: $vgpr38_vgpr39
                                        ; implicit-def: $vgpr40_vgpr41
                                        ; implicit-def: $vgpr42_vgpr43
                                        ; implicit-def: $vgpr44_vgpr45
                                        ; implicit-def: $vgpr46_vgpr47
                                        ; implicit-def: $vgpr48_vgpr49
                                        ; implicit-def: $vgpr50_vgpr51
                                        ; implicit-def: $vgpr52_vgpr53
                                        ; implicit-def: $vgpr54_vgpr55
                                        ; implicit-def: $vgpr56_vgpr57
                                        ; implicit-def: $vgpr149
                                        ; implicit-def: $vgpr150
                                        ; implicit-def: $vgpr151
                                        ; implicit-def: $vgpr152
                                        ; implicit-def: $vgpr153
                                        ; implicit-def: $vgpr154
                                        ; implicit-def: $vgpr155
                                        ; implicit-def: $vgpr156
                                        ; implicit-def: $vgpr157
                                        ; implicit-def: $vgpr158
                                        ; implicit-def: $vgpr159
                                        ; implicit-def: $vgpr160
                                        ; implicit-def: $vgpr161
                                        ; implicit-def: $vgpr162
                                        ; implicit-def: $vgpr163
                                        ; implicit-def: $vgpr164
	s_wait_kmcnt 0x0
	s_cmp_lt_u32 s33, s12
	s_cselect_b32 s30, 12, 18
	s_cmp_lt_u32 s42, s13
	s_mov_b32 s13, s31
	s_cselect_b32 s12, 14, 20
	s_delay_alu instid0(SALU_CYCLE_1)
	s_add_nc_u64 s[12:13], s[34:35], s[12:13]
	s_load_u16 s14, s[12:13], 0x0
	s_wait_xcnt 0x0
	s_add_nc_u64 s[12:13], s[34:35], s[30:31]
	s_mov_b32 s30, s52
	s_load_u16 s12, s[12:13], 0x0
	s_wait_xcnt 0x0
	v_cmp_lt_u32_e64 s13, 1, v130
	s_wait_dscnt 0x0
	s_wait_kmcnt 0x0
	v_mad_u32_u24 v22, v119, s14, v121
	v_cmp_lt_u32_e64 s14, 3, v130
	s_delay_alu instid0(VALU_DEP_2) | instskip(SKIP_1) | instid1(VALU_DEP_2)
	v_mad_u32 v22, v22, s12, v2
	v_cmp_eq_u32_e64 s12, 0, v130
	v_lshrrev_b32_e32 v26, 3, v22
	v_add_nc_u64_e32 v[22:23], v[18:19], v[4:5]
	s_delay_alu instid0(VALU_DEP_2)
	v_and_b32_e32 v148, 0x1ffffffc, v26
                                        ; implicit-def: $vgpr26_vgpr27
	s_branch .LBB730_690
.LBB730_689:                            ;   in Loop: Header=BB730_690 Depth=2
	s_or_b32 exec_lo, exec_lo, s15
	s_addk_co_i32 s56, 0xf000
	s_cmp_lt_u32 s57, s51
	s_mov_b32 s30, s57
	s_cbranch_scc0 .LBB730_898
.LBB730_690:                            ;   Parent Loop BB730_20 Depth=1
                                        ; =>  This Inner Loop Header: Depth=2
	s_add_co_i32 s57, s30, 0x1000
	s_delay_alu instid0(SALU_CYCLE_1)
	s_cmp_gt_u32 s57, s51
	s_cbranch_scc1 .LBB730_692
; %bb.691:                              ;   in Loop: Header=BB730_690 Depth=2
	v_lshl_add_u64 v[58:59], s[30:31], 3, v[24:25]
	s_mov_b32 s15, -1
	s_clause 0xe
	global_load_b64 v[60:61], v[58:59], off
	global_load_b64 v[62:63], v[58:59], off offset:256
	global_load_b64 v[64:65], v[58:59], off offset:512
	;; [unrolled: 1-line block ×14, first 2 shown]
	s_movk_i32 s16, 0x1000
	s_cbranch_execz .LBB730_693
	s_branch .LBB730_724
.LBB730_692:                            ;   in Loop: Header=BB730_690 Depth=2
	s_mov_b32 s15, 0
                                        ; implicit-def: $vgpr60_vgpr61
                                        ; implicit-def: $vgpr62_vgpr63
                                        ; implicit-def: $vgpr64_vgpr65
                                        ; implicit-def: $vgpr70_vgpr71
                                        ; implicit-def: $vgpr74_vgpr75
                                        ; implicit-def: $vgpr78_vgpr79
                                        ; implicit-def: $vgpr82_vgpr83
                                        ; implicit-def: $vgpr86_vgpr87
                                        ; implicit-def: $vgpr88_vgpr89
                                        ; implicit-def: $vgpr84_vgpr85
                                        ; implicit-def: $vgpr80_vgpr81
                                        ; implicit-def: $vgpr76_vgpr77
                                        ; implicit-def: $vgpr72_vgpr73
                                        ; implicit-def: $vgpr68_vgpr69
                                        ; implicit-def: $vgpr66_vgpr67
	s_movk_i32 s16, 0x1000
.LBB730_693:                            ;   in Loop: Header=BB730_690 Depth=2
	s_wait_loadcnt 0xd
	v_mov_b64_e32 v[62:63], 0x8000000000000000
	v_mov_b64_e32 v[60:61], 0x8000000000000000
	s_wait_xcnt 0x0
	v_lshl_add_u64 v[58:59], s[30:31], 3, v[24:25]
	s_mov_b32 s15, exec_lo
	v_cmpx_gt_u32_e64 s56, v129
	s_cbranch_execz .LBB730_695
; %bb.694:                              ;   in Loop: Header=BB730_690 Depth=2
	global_load_b64 v[60:61], v[58:59], off
.LBB730_695:                            ;   in Loop: Header=BB730_690 Depth=2
	s_wait_xcnt 0x0
	s_or_b32 exec_lo, exec_lo, s15
	s_delay_alu instid0(SALU_CYCLE_1)
	s_mov_b32 s15, exec_lo
	v_cmpx_gt_u32_e64 s56, v132
	s_cbranch_execz .LBB730_697
; %bb.696:                              ;   in Loop: Header=BB730_690 Depth=2
	global_load_b64 v[62:63], v[58:59], off offset:256
.LBB730_697:                            ;   in Loop: Header=BB730_690 Depth=2
	s_wait_xcnt 0x0
	s_or_b32 exec_lo, exec_lo, s15
	s_wait_loadcnt 0xb
	v_mov_b64_e32 v[70:71], 0x8000000000000000
	v_mov_b64_e32 v[64:65], 0x8000000000000000
	s_mov_b32 s15, exec_lo
	v_cmpx_gt_u32_e64 s56, v133
	s_cbranch_execz .LBB730_699
; %bb.698:                              ;   in Loop: Header=BB730_690 Depth=2
	global_load_b64 v[64:65], v[58:59], off offset:512
.LBB730_699:                            ;   in Loop: Header=BB730_690 Depth=2
	s_wait_xcnt 0x0
	s_or_b32 exec_lo, exec_lo, s15
	s_delay_alu instid0(SALU_CYCLE_1)
	s_mov_b32 s15, exec_lo
	v_cmpx_gt_u32_e64 s56, v134
	s_cbranch_execz .LBB730_701
; %bb.700:                              ;   in Loop: Header=BB730_690 Depth=2
	global_load_b64 v[70:71], v[58:59], off offset:768
.LBB730_701:                            ;   in Loop: Header=BB730_690 Depth=2
	s_wait_xcnt 0x0
	s_or_b32 exec_lo, exec_lo, s15
	s_wait_loadcnt 0x9
	v_mov_b64_e32 v[78:79], 0x8000000000000000
	v_mov_b64_e32 v[74:75], 0x8000000000000000
	s_mov_b32 s15, exec_lo
	v_cmpx_gt_u32_e64 s56, v135
	s_cbranch_execz .LBB730_703
; %bb.702:                              ;   in Loop: Header=BB730_690 Depth=2
	global_load_b64 v[74:75], v[58:59], off offset:1024
.LBB730_703:                            ;   in Loop: Header=BB730_690 Depth=2
	;; [unrolled: 20-line block ×6, first 2 shown]
	s_wait_xcnt 0x0
	s_or_b32 exec_lo, exec_lo, s15
	s_delay_alu instid0(SALU_CYCLE_1)
	s_mov_b32 s15, exec_lo
	v_cmpx_gt_u32_e64 s56, v144
	s_cbranch_execz .LBB730_721
; %bb.720:                              ;   in Loop: Header=BB730_690 Depth=2
	global_load_b64 v[68:69], v[58:59], off offset:3328
.LBB730_721:                            ;   in Loop: Header=BB730_690 Depth=2
	s_wait_xcnt 0x0
	s_or_b32 exec_lo, exec_lo, s15
	s_wait_loadcnt 0x0
	v_mov_b64_e32 v[66:67], 0x8000000000000000
	s_mov_b32 s15, exec_lo
	v_cmpx_gt_u32_e64 s56, v145
	s_cbranch_execz .LBB730_723
; %bb.722:                              ;   in Loop: Header=BB730_690 Depth=2
	global_load_b64 v[66:67], v[58:59], off offset:3584
.LBB730_723:                            ;   in Loop: Header=BB730_690 Depth=2
	s_wait_xcnt 0x0
	s_or_b32 exec_lo, exec_lo, s15
	v_cmp_gt_u32_e64 s15, s56, v146
	s_sub_co_i32 s16, s51, s30
.LBB730_724:                            ;   in Loop: Header=BB730_690 Depth=2
	s_wait_xcnt 0x0
	v_mov_b64_e32 v[58:59], -1
	v_mov_b32_e32 v165, s56
	s_and_saveexec_b32 s17, s15
	s_cbranch_execz .LBB730_726
; %bb.725:                              ;   in Loop: Header=BB730_690 Depth=2
	v_lshl_add_u64 v[58:59], s[30:31], 3, v[24:25]
	v_mov_b32_e32 v165, s16
	global_load_b64 v[58:59], v[58:59], off offset:3840
	s_wait_loadcnt 0x0
	s_wait_xcnt 0x0
	v_xor_b32_e32 v59, 0x7fffffff, v59
	v_not_b32_e32 v58, v58
.LBB730_726:                            ;   in Loop: Header=BB730_690 Depth=2
	s_or_b32 exec_lo, exec_lo, s17
	s_wait_loadcnt 0xe
	v_xor_b32_e32 v61, 0x7fffffff, v61
	v_not_b32_e32 v60, v60
	v_add_nc_u32_e32 v168, 0x420, v120
	v_add_nc_u32_e32 v169, 0x428, v120
	;; [unrolled: 1-line block ×3, first 2 shown]
	s_delay_alu instid0(VALU_DEP_4) | instskip(NEXT) | instid1(VALU_DEP_1)
	v_lshrrev_b64 v[90:91], s43, v[60:61]
	v_bitop3_b32 v91, v90, 1, s55 bitop3:0x80
	v_and_b32_e32 v92, s55, v90
	s_delay_alu instid0(VALU_DEP_2) | instskip(NEXT) | instid1(VALU_DEP_1)
	v_add_co_u32 v90, s15, v91, -1
	v_cndmask_b32_e64 v91, 0, 1, s15
	s_delay_alu instid0(VALU_DEP_3) | instskip(NEXT) | instid1(VALU_DEP_2)
	v_lshlrev_b32_e32 v93, 30, v92
	v_cmp_ne_u32_e32 vcc_lo, 0, v91
	s_delay_alu instid0(VALU_DEP_2) | instskip(NEXT) | instid1(VALU_DEP_1)
	v_not_b32_e32 v91, v93
	v_dual_ashrrev_i32 v91, 31, v91 :: v_dual_bitop2_b32 v90, vcc_lo, v90 bitop3:0x14
	v_dual_lshlrev_b32 v94, 29, v92 :: v_dual_lshlrev_b32 v95, 28, v92
	v_dual_lshlrev_b32 v96, 27, v92 :: v_dual_lshlrev_b32 v97, 26, v92
	v_lshlrev_b32_e32 v166, 25, v92
	v_cmp_gt_i32_e64 s15, 0, v93
	s_delay_alu instid0(VALU_DEP_4)
	v_cmp_gt_i32_e64 s16, 0, v94
	v_not_b32_e32 v93, v94
	v_not_b32_e32 v94, v95
	v_lshlrev_b32_e32 v167, 24, v92
	v_cmp_gt_i32_e64 s17, 0, v95
	v_cmp_gt_i32_e64 s18, 0, v96
	v_not_b32_e32 v95, v96
	v_cmp_gt_i32_e64 s19, 0, v97
	v_not_b32_e32 v96, v97
	v_not_b32_e32 v97, v166
	v_dual_ashrrev_i32 v93, 31, v93 :: v_dual_ashrrev_i32 v94, 31, v94
	v_xor_b32_e32 v91, s15, v91
	s_delay_alu instid0(VALU_DEP_4) | instskip(NEXT) | instid1(VALU_DEP_3)
	v_dual_ashrrev_i32 v95, 31, v95 :: v_dual_ashrrev_i32 v96, 31, v96
	v_dual_ashrrev_i32 v97, 31, v97 :: v_dual_bitop2_b32 v94, s17, v94 bitop3:0x14
	s_delay_alu instid0(VALU_DEP_3)
	v_bitop3_b32 v90, v90, v91, exec_lo bitop3:0x80
	v_not_b32_e32 v91, v167
	v_xor_b32_e32 v93, s16, v93
	v_xor_b32_e32 v95, s18, v95
	v_xor_b32_e32 v96, s19, v96
	v_cmp_gt_i32_e32 vcc_lo, 0, v166
	v_cmp_gt_i32_e64 s15, 0, v167
	v_ashrrev_i32_e32 v91, 31, v91
	v_bitop3_b32 v90, v90, v94, v93 bitop3:0x80
	v_add_nc_u32_e32 v167, 0x438, v120
	v_xor_b32_e32 v93, vcc_lo, v97
	s_delay_alu instid0(VALU_DEP_4) | instskip(NEXT) | instid1(VALU_DEP_4)
	v_xor_b32_e32 v91, s15, v91
	v_bitop3_b32 v90, v90, v96, v95 bitop3:0x80
	ds_store_2addr_b32 v167, v5, v5 offset1:1
	ds_store_2addr_b32 v168, v5, v5 offset1:1
	;; [unrolled: 1-line block ×4, first 2 shown]
	ds_store_b32 v120, v5 offset:1088
	s_wait_loadcnt_dscnt 0x0
	s_barrier_signal -1
	v_bitop3_b32 v90, v90, v91, v93 bitop3:0x80
	v_mul_u32_u24_e32 v91, 36, v92
	s_barrier_wait -1
	s_delay_alu instid0(VALU_DEP_2) | instskip(SKIP_1) | instid1(VALU_DEP_3)
	v_mbcnt_lo_u32_b32 v166, v90, 0
	v_cmp_ne_u32_e64 s15, 0, v90
	v_add_nc_u32_e32 v171, v148, v91
	; wave barrier
	s_delay_alu instid0(VALU_DEP_3) | instskip(SKIP_1) | instid1(SALU_CYCLE_1)
	v_cmp_eq_u32_e32 vcc_lo, 0, v166
	s_and_b32 s16, s15, vcc_lo
	s_and_saveexec_b32 s15, s16
; %bb.727:                              ;   in Loop: Header=BB730_690 Depth=2
	v_bcnt_u32_b32 v90, v90, 0
	ds_store_b32 v171, v90 offset:1056
; %bb.728:                              ;   in Loop: Header=BB730_690 Depth=2
	s_or_b32 exec_lo, exec_lo, s15
	v_xor_b32_e32 v63, 0x7fffffff, v63
	v_not_b32_e32 v62, v62
	; wave barrier
	s_delay_alu instid0(VALU_DEP_1) | instskip(NEXT) | instid1(VALU_DEP_1)
	v_lshrrev_b64 v[90:91], s43, v[62:63]
	v_bitop3_b32 v91, v90, 1, s55 bitop3:0x80
	v_and_b32_e32 v92, s55, v90
	s_delay_alu instid0(VALU_DEP_2) | instskip(NEXT) | instid1(VALU_DEP_1)
	v_add_co_u32 v90, s15, v91, -1
	v_cndmask_b32_e64 v91, 0, 1, s15
	s_delay_alu instid0(VALU_DEP_3) | instskip(NEXT) | instid1(VALU_DEP_2)
	v_lshlrev_b32_e32 v93, 30, v92
	v_cmp_ne_u32_e32 vcc_lo, 0, v91
	s_delay_alu instid0(VALU_DEP_2) | instskip(NEXT) | instid1(VALU_DEP_1)
	v_not_b32_e32 v91, v93
	v_dual_ashrrev_i32 v91, 31, v91 :: v_dual_bitop2_b32 v90, vcc_lo, v90 bitop3:0x14
	v_dual_lshlrev_b32 v94, 29, v92 :: v_dual_lshlrev_b32 v95, 28, v92
	v_dual_lshlrev_b32 v96, 27, v92 :: v_dual_lshlrev_b32 v97, 26, v92
	v_lshlrev_b32_e32 v172, 25, v92
	v_cmp_gt_i32_e64 s15, 0, v93
	s_delay_alu instid0(VALU_DEP_4)
	v_cmp_gt_i32_e64 s16, 0, v94
	v_not_b32_e32 v93, v94
	v_not_b32_e32 v94, v95
	v_lshlrev_b32_e32 v173, 24, v92
	v_cmp_gt_i32_e64 s17, 0, v95
	v_cmp_gt_i32_e64 s18, 0, v96
	v_not_b32_e32 v95, v96
	v_not_b32_e32 v96, v97
	v_dual_ashrrev_i32 v93, 31, v93 :: v_dual_ashrrev_i32 v94, 31, v94
	v_xor_b32_e32 v91, s15, v91
	v_cmp_gt_i32_e64 s19, 0, v97
	v_not_b32_e32 v97, v172
	s_delay_alu instid0(VALU_DEP_4) | instskip(SKIP_1) | instid1(VALU_DEP_3)
	v_dual_ashrrev_i32 v95, 31, v95 :: v_dual_bitop2_b32 v93, s16, v93 bitop3:0x14
	v_dual_ashrrev_i32 v96, 31, v96 :: v_dual_bitop2_b32 v94, s17, v94 bitop3:0x14
	v_ashrrev_i32_e32 v97, 31, v97
	v_bitop3_b32 v90, v90, v91, exec_lo bitop3:0x80
	v_not_b32_e32 v91, v173
	v_cmp_gt_i32_e64 s20, 0, v172
	v_xor_b32_e32 v95, s18, v95
	v_xor_b32_e32 v96, s19, v96
	v_bitop3_b32 v90, v90, v94, v93 bitop3:0x80
	v_cmp_gt_i32_e32 vcc_lo, 0, v173
	v_ashrrev_i32_e32 v91, 31, v91
	v_mad_u32_u24 v93, v92, 36, v148
	v_xor_b32_e32 v94, s20, v97
	v_bitop3_b32 v90, v90, v96, v95 bitop3:0x80
	s_delay_alu instid0(VALU_DEP_4) | instskip(SKIP_3) | instid1(VALU_DEP_2)
	v_xor_b32_e32 v91, vcc_lo, v91
	ds_load_b32 v172, v93 offset:1056
	; wave barrier
	v_bitop3_b32 v90, v90, v91, v94 bitop3:0x80
	v_mul_u32_u24_e32 v91, 36, v92
	v_mbcnt_lo_u32_b32 v173, v90, 0
	v_cmp_ne_u32_e64 s15, 0, v90
	s_delay_alu instid0(VALU_DEP_3) | instskip(NEXT) | instid1(VALU_DEP_3)
	v_add_nc_u32_e32 v174, v148, v91
	v_cmp_eq_u32_e32 vcc_lo, 0, v173
	s_and_b32 s16, s15, vcc_lo
	s_delay_alu instid0(SALU_CYCLE_1)
	s_and_saveexec_b32 s15, s16
	s_cbranch_execz .LBB730_730
; %bb.729:                              ;   in Loop: Header=BB730_690 Depth=2
	s_wait_dscnt 0x0
	v_bcnt_u32_b32 v90, v90, v172
	ds_store_b32 v174, v90 offset:1056
.LBB730_730:                            ;   in Loop: Header=BB730_690 Depth=2
	s_or_b32 exec_lo, exec_lo, s15
	v_xor_b32_e32 v65, 0x7fffffff, v65
	v_not_b32_e32 v64, v64
	; wave barrier
	s_delay_alu instid0(VALU_DEP_1) | instskip(NEXT) | instid1(VALU_DEP_1)
	v_lshrrev_b64 v[90:91], s43, v[64:65]
	v_bitop3_b32 v91, v90, 1, s55 bitop3:0x80
	v_and_b32_e32 v92, s55, v90
	s_delay_alu instid0(VALU_DEP_2) | instskip(NEXT) | instid1(VALU_DEP_1)
	v_add_co_u32 v90, s15, v91, -1
	v_cndmask_b32_e64 v91, 0, 1, s15
	s_delay_alu instid0(VALU_DEP_3) | instskip(NEXT) | instid1(VALU_DEP_2)
	v_lshlrev_b32_e32 v93, 30, v92
	v_cmp_ne_u32_e32 vcc_lo, 0, v91
	s_delay_alu instid0(VALU_DEP_2) | instskip(NEXT) | instid1(VALU_DEP_1)
	v_not_b32_e32 v91, v93
	v_dual_ashrrev_i32 v91, 31, v91 :: v_dual_bitop2_b32 v90, vcc_lo, v90 bitop3:0x14
	v_dual_lshlrev_b32 v94, 29, v92 :: v_dual_lshlrev_b32 v95, 28, v92
	v_dual_lshlrev_b32 v96, 27, v92 :: v_dual_lshlrev_b32 v97, 26, v92
	v_lshlrev_b32_e32 v175, 25, v92
	v_cmp_gt_i32_e64 s15, 0, v93
	s_delay_alu instid0(VALU_DEP_4)
	v_cmp_gt_i32_e64 s16, 0, v94
	v_not_b32_e32 v93, v94
	v_not_b32_e32 v94, v95
	v_lshlrev_b32_e32 v176, 24, v92
	v_cmp_gt_i32_e64 s17, 0, v95
	v_cmp_gt_i32_e64 s18, 0, v96
	v_not_b32_e32 v95, v96
	v_not_b32_e32 v96, v97
	v_dual_ashrrev_i32 v93, 31, v93 :: v_dual_ashrrev_i32 v94, 31, v94
	v_xor_b32_e32 v91, s15, v91
	v_cmp_gt_i32_e64 s19, 0, v97
	v_not_b32_e32 v97, v175
	s_delay_alu instid0(VALU_DEP_4) | instskip(SKIP_1) | instid1(VALU_DEP_3)
	v_dual_ashrrev_i32 v95, 31, v95 :: v_dual_bitop2_b32 v93, s16, v93 bitop3:0x14
	v_dual_ashrrev_i32 v96, 31, v96 :: v_dual_bitop2_b32 v94, s17, v94 bitop3:0x14
	v_ashrrev_i32_e32 v97, 31, v97
	v_bitop3_b32 v90, v90, v91, exec_lo bitop3:0x80
	v_not_b32_e32 v91, v176
	v_cmp_gt_i32_e64 s20, 0, v175
	v_xor_b32_e32 v95, s18, v95
	v_xor_b32_e32 v96, s19, v96
	v_bitop3_b32 v90, v90, v94, v93 bitop3:0x80
	v_cmp_gt_i32_e32 vcc_lo, 0, v176
	v_ashrrev_i32_e32 v91, 31, v91
	v_mad_u32_u24 v93, v92, 36, v148
	v_xor_b32_e32 v94, s20, v97
	v_bitop3_b32 v90, v90, v96, v95 bitop3:0x80
	s_delay_alu instid0(VALU_DEP_4) | instskip(SKIP_3) | instid1(VALU_DEP_2)
	v_xor_b32_e32 v91, vcc_lo, v91
	ds_load_b32 v175, v93 offset:1056
	; wave barrier
	v_bitop3_b32 v90, v90, v91, v94 bitop3:0x80
	v_mul_u32_u24_e32 v91, 36, v92
	v_mbcnt_lo_u32_b32 v176, v90, 0
	v_cmp_ne_u32_e64 s15, 0, v90
	s_delay_alu instid0(VALU_DEP_3) | instskip(NEXT) | instid1(VALU_DEP_3)
	v_add_nc_u32_e32 v177, v148, v91
	v_cmp_eq_u32_e32 vcc_lo, 0, v176
	s_and_b32 s16, s15, vcc_lo
	s_delay_alu instid0(SALU_CYCLE_1)
	s_and_saveexec_b32 s15, s16
	s_cbranch_execz .LBB730_732
; %bb.731:                              ;   in Loop: Header=BB730_690 Depth=2
	s_wait_dscnt 0x0
	v_bcnt_u32_b32 v90, v90, v175
	ds_store_b32 v177, v90 offset:1056
.LBB730_732:                            ;   in Loop: Header=BB730_690 Depth=2
	s_or_b32 exec_lo, exec_lo, s15
	v_xor_b32_e32 v71, 0x7fffffff, v71
	v_not_b32_e32 v70, v70
	; wave barrier
	s_delay_alu instid0(VALU_DEP_1) | instskip(NEXT) | instid1(VALU_DEP_1)
	v_lshrrev_b64 v[90:91], s43, v[70:71]
	v_bitop3_b32 v91, v90, 1, s55 bitop3:0x80
	v_and_b32_e32 v92, s55, v90
	s_delay_alu instid0(VALU_DEP_2) | instskip(NEXT) | instid1(VALU_DEP_1)
	v_add_co_u32 v90, s15, v91, -1
	v_cndmask_b32_e64 v91, 0, 1, s15
	s_delay_alu instid0(VALU_DEP_3) | instskip(NEXT) | instid1(VALU_DEP_2)
	v_lshlrev_b32_e32 v93, 30, v92
	v_cmp_ne_u32_e32 vcc_lo, 0, v91
	s_delay_alu instid0(VALU_DEP_2) | instskip(NEXT) | instid1(VALU_DEP_1)
	v_not_b32_e32 v91, v93
	v_dual_ashrrev_i32 v91, 31, v91 :: v_dual_bitop2_b32 v90, vcc_lo, v90 bitop3:0x14
	v_dual_lshlrev_b32 v94, 29, v92 :: v_dual_lshlrev_b32 v95, 28, v92
	v_dual_lshlrev_b32 v96, 27, v92 :: v_dual_lshlrev_b32 v97, 26, v92
	v_lshlrev_b32_e32 v178, 25, v92
	v_cmp_gt_i32_e64 s15, 0, v93
	s_delay_alu instid0(VALU_DEP_4)
	v_cmp_gt_i32_e64 s16, 0, v94
	v_not_b32_e32 v93, v94
	v_not_b32_e32 v94, v95
	v_lshlrev_b32_e32 v179, 24, v92
	v_cmp_gt_i32_e64 s17, 0, v95
	v_cmp_gt_i32_e64 s18, 0, v96
	v_not_b32_e32 v95, v96
	v_not_b32_e32 v96, v97
	v_dual_ashrrev_i32 v93, 31, v93 :: v_dual_ashrrev_i32 v94, 31, v94
	v_xor_b32_e32 v91, s15, v91
	v_cmp_gt_i32_e64 s19, 0, v97
	v_not_b32_e32 v97, v178
	s_delay_alu instid0(VALU_DEP_4) | instskip(SKIP_1) | instid1(VALU_DEP_3)
	v_dual_ashrrev_i32 v95, 31, v95 :: v_dual_bitop2_b32 v93, s16, v93 bitop3:0x14
	v_dual_ashrrev_i32 v96, 31, v96 :: v_dual_bitop2_b32 v94, s17, v94 bitop3:0x14
	v_ashrrev_i32_e32 v97, 31, v97
	v_bitop3_b32 v90, v90, v91, exec_lo bitop3:0x80
	v_not_b32_e32 v91, v179
	v_cmp_gt_i32_e64 s20, 0, v178
	v_xor_b32_e32 v95, s18, v95
	v_xor_b32_e32 v96, s19, v96
	v_bitop3_b32 v90, v90, v94, v93 bitop3:0x80
	v_cmp_gt_i32_e32 vcc_lo, 0, v179
	v_ashrrev_i32_e32 v91, 31, v91
	v_mad_u32_u24 v93, v92, 36, v148
	v_xor_b32_e32 v94, s20, v97
	v_bitop3_b32 v90, v90, v96, v95 bitop3:0x80
	s_delay_alu instid0(VALU_DEP_4) | instskip(SKIP_3) | instid1(VALU_DEP_2)
	v_xor_b32_e32 v91, vcc_lo, v91
	ds_load_b32 v178, v93 offset:1056
	; wave barrier
	v_bitop3_b32 v90, v90, v91, v94 bitop3:0x80
	v_mul_u32_u24_e32 v91, 36, v92
	v_mbcnt_lo_u32_b32 v179, v90, 0
	v_cmp_ne_u32_e64 s15, 0, v90
	s_delay_alu instid0(VALU_DEP_3) | instskip(NEXT) | instid1(VALU_DEP_3)
	v_add_nc_u32_e32 v180, v148, v91
	v_cmp_eq_u32_e32 vcc_lo, 0, v179
	s_and_b32 s16, s15, vcc_lo
	s_delay_alu instid0(SALU_CYCLE_1)
	s_and_saveexec_b32 s15, s16
	s_cbranch_execz .LBB730_734
; %bb.733:                              ;   in Loop: Header=BB730_690 Depth=2
	s_wait_dscnt 0x0
	v_bcnt_u32_b32 v90, v90, v178
	ds_store_b32 v180, v90 offset:1056
.LBB730_734:                            ;   in Loop: Header=BB730_690 Depth=2
	s_or_b32 exec_lo, exec_lo, s15
	v_xor_b32_e32 v75, 0x7fffffff, v75
	v_not_b32_e32 v74, v74
	; wave barrier
	s_delay_alu instid0(VALU_DEP_1) | instskip(NEXT) | instid1(VALU_DEP_1)
	v_lshrrev_b64 v[90:91], s43, v[74:75]
	v_bitop3_b32 v91, v90, 1, s55 bitop3:0x80
	v_and_b32_e32 v92, s55, v90
	s_delay_alu instid0(VALU_DEP_2) | instskip(NEXT) | instid1(VALU_DEP_1)
	v_add_co_u32 v90, s15, v91, -1
	v_cndmask_b32_e64 v91, 0, 1, s15
	s_delay_alu instid0(VALU_DEP_3) | instskip(NEXT) | instid1(VALU_DEP_2)
	v_lshlrev_b32_e32 v93, 30, v92
	v_cmp_ne_u32_e32 vcc_lo, 0, v91
	s_delay_alu instid0(VALU_DEP_2) | instskip(NEXT) | instid1(VALU_DEP_1)
	v_not_b32_e32 v91, v93
	v_dual_ashrrev_i32 v91, 31, v91 :: v_dual_bitop2_b32 v90, vcc_lo, v90 bitop3:0x14
	v_dual_lshlrev_b32 v94, 29, v92 :: v_dual_lshlrev_b32 v95, 28, v92
	v_dual_lshlrev_b32 v96, 27, v92 :: v_dual_lshlrev_b32 v97, 26, v92
	v_lshlrev_b32_e32 v181, 25, v92
	v_cmp_gt_i32_e64 s15, 0, v93
	s_delay_alu instid0(VALU_DEP_4)
	v_cmp_gt_i32_e64 s16, 0, v94
	v_not_b32_e32 v93, v94
	v_not_b32_e32 v94, v95
	v_lshlrev_b32_e32 v182, 24, v92
	v_cmp_gt_i32_e64 s17, 0, v95
	v_cmp_gt_i32_e64 s18, 0, v96
	v_not_b32_e32 v95, v96
	v_not_b32_e32 v96, v97
	v_dual_ashrrev_i32 v93, 31, v93 :: v_dual_ashrrev_i32 v94, 31, v94
	v_xor_b32_e32 v91, s15, v91
	v_cmp_gt_i32_e64 s19, 0, v97
	v_not_b32_e32 v97, v181
	s_delay_alu instid0(VALU_DEP_4) | instskip(SKIP_1) | instid1(VALU_DEP_3)
	v_dual_ashrrev_i32 v95, 31, v95 :: v_dual_bitop2_b32 v93, s16, v93 bitop3:0x14
	v_dual_ashrrev_i32 v96, 31, v96 :: v_dual_bitop2_b32 v94, s17, v94 bitop3:0x14
	v_ashrrev_i32_e32 v97, 31, v97
	v_bitop3_b32 v90, v90, v91, exec_lo bitop3:0x80
	v_not_b32_e32 v91, v182
	v_cmp_gt_i32_e64 s20, 0, v181
	v_xor_b32_e32 v95, s18, v95
	v_xor_b32_e32 v96, s19, v96
	v_bitop3_b32 v90, v90, v94, v93 bitop3:0x80
	v_cmp_gt_i32_e32 vcc_lo, 0, v182
	v_ashrrev_i32_e32 v91, 31, v91
	v_mad_u32_u24 v93, v92, 36, v148
	v_xor_b32_e32 v94, s20, v97
	v_bitop3_b32 v90, v90, v96, v95 bitop3:0x80
	s_delay_alu instid0(VALU_DEP_4) | instskip(SKIP_3) | instid1(VALU_DEP_2)
	v_xor_b32_e32 v91, vcc_lo, v91
	ds_load_b32 v181, v93 offset:1056
	; wave barrier
	v_bitop3_b32 v90, v90, v91, v94 bitop3:0x80
	v_mul_u32_u24_e32 v91, 36, v92
	v_mbcnt_lo_u32_b32 v182, v90, 0
	v_cmp_ne_u32_e64 s15, 0, v90
	s_delay_alu instid0(VALU_DEP_3) | instskip(NEXT) | instid1(VALU_DEP_3)
	v_add_nc_u32_e32 v183, v148, v91
	v_cmp_eq_u32_e32 vcc_lo, 0, v182
	s_and_b32 s16, s15, vcc_lo
	s_delay_alu instid0(SALU_CYCLE_1)
	s_and_saveexec_b32 s15, s16
	s_cbranch_execz .LBB730_736
; %bb.735:                              ;   in Loop: Header=BB730_690 Depth=2
	s_wait_dscnt 0x0
	v_bcnt_u32_b32 v90, v90, v181
	ds_store_b32 v183, v90 offset:1056
.LBB730_736:                            ;   in Loop: Header=BB730_690 Depth=2
	s_or_b32 exec_lo, exec_lo, s15
	v_xor_b32_e32 v79, 0x7fffffff, v79
	v_not_b32_e32 v78, v78
	; wave barrier
	s_delay_alu instid0(VALU_DEP_1) | instskip(NEXT) | instid1(VALU_DEP_1)
	v_lshrrev_b64 v[90:91], s43, v[78:79]
	v_bitop3_b32 v91, v90, 1, s55 bitop3:0x80
	v_and_b32_e32 v92, s55, v90
	s_delay_alu instid0(VALU_DEP_2) | instskip(NEXT) | instid1(VALU_DEP_1)
	v_add_co_u32 v90, s15, v91, -1
	v_cndmask_b32_e64 v91, 0, 1, s15
	s_delay_alu instid0(VALU_DEP_3) | instskip(NEXT) | instid1(VALU_DEP_2)
	v_lshlrev_b32_e32 v93, 30, v92
	v_cmp_ne_u32_e32 vcc_lo, 0, v91
	s_delay_alu instid0(VALU_DEP_2) | instskip(NEXT) | instid1(VALU_DEP_1)
	v_not_b32_e32 v91, v93
	v_dual_ashrrev_i32 v91, 31, v91 :: v_dual_bitop2_b32 v90, vcc_lo, v90 bitop3:0x14
	v_dual_lshlrev_b32 v94, 29, v92 :: v_dual_lshlrev_b32 v95, 28, v92
	v_dual_lshlrev_b32 v96, 27, v92 :: v_dual_lshlrev_b32 v97, 26, v92
	v_lshlrev_b32_e32 v184, 25, v92
	v_cmp_gt_i32_e64 s15, 0, v93
	s_delay_alu instid0(VALU_DEP_4)
	v_cmp_gt_i32_e64 s16, 0, v94
	v_not_b32_e32 v93, v94
	v_not_b32_e32 v94, v95
	v_lshlrev_b32_e32 v185, 24, v92
	v_cmp_gt_i32_e64 s17, 0, v95
	v_cmp_gt_i32_e64 s18, 0, v96
	v_not_b32_e32 v95, v96
	v_not_b32_e32 v96, v97
	v_dual_ashrrev_i32 v93, 31, v93 :: v_dual_ashrrev_i32 v94, 31, v94
	v_xor_b32_e32 v91, s15, v91
	v_cmp_gt_i32_e64 s19, 0, v97
	v_not_b32_e32 v97, v184
	s_delay_alu instid0(VALU_DEP_4) | instskip(SKIP_1) | instid1(VALU_DEP_3)
	v_dual_ashrrev_i32 v95, 31, v95 :: v_dual_bitop2_b32 v93, s16, v93 bitop3:0x14
	v_dual_ashrrev_i32 v96, 31, v96 :: v_dual_bitop2_b32 v94, s17, v94 bitop3:0x14
	v_ashrrev_i32_e32 v97, 31, v97
	v_bitop3_b32 v90, v90, v91, exec_lo bitop3:0x80
	v_not_b32_e32 v91, v185
	v_cmp_gt_i32_e64 s20, 0, v184
	v_xor_b32_e32 v95, s18, v95
	v_xor_b32_e32 v96, s19, v96
	v_bitop3_b32 v90, v90, v94, v93 bitop3:0x80
	v_cmp_gt_i32_e32 vcc_lo, 0, v185
	v_ashrrev_i32_e32 v91, 31, v91
	v_mad_u32_u24 v93, v92, 36, v148
	v_xor_b32_e32 v94, s20, v97
	v_bitop3_b32 v90, v90, v96, v95 bitop3:0x80
	s_delay_alu instid0(VALU_DEP_4) | instskip(SKIP_3) | instid1(VALU_DEP_2)
	v_xor_b32_e32 v91, vcc_lo, v91
	ds_load_b32 v184, v93 offset:1056
	; wave barrier
	v_bitop3_b32 v90, v90, v91, v94 bitop3:0x80
	v_mul_u32_u24_e32 v91, 36, v92
	v_mbcnt_lo_u32_b32 v185, v90, 0
	v_cmp_ne_u32_e64 s15, 0, v90
	s_delay_alu instid0(VALU_DEP_3) | instskip(NEXT) | instid1(VALU_DEP_3)
	v_add_nc_u32_e32 v186, v148, v91
	v_cmp_eq_u32_e32 vcc_lo, 0, v185
	s_and_b32 s16, s15, vcc_lo
	s_delay_alu instid0(SALU_CYCLE_1)
	s_and_saveexec_b32 s15, s16
	s_cbranch_execz .LBB730_738
; %bb.737:                              ;   in Loop: Header=BB730_690 Depth=2
	s_wait_dscnt 0x0
	v_bcnt_u32_b32 v90, v90, v184
	ds_store_b32 v186, v90 offset:1056
.LBB730_738:                            ;   in Loop: Header=BB730_690 Depth=2
	s_or_b32 exec_lo, exec_lo, s15
	v_xor_b32_e32 v83, 0x7fffffff, v83
	v_not_b32_e32 v82, v82
	; wave barrier
	s_delay_alu instid0(VALU_DEP_1) | instskip(NEXT) | instid1(VALU_DEP_1)
	v_lshrrev_b64 v[90:91], s43, v[82:83]
	v_bitop3_b32 v91, v90, 1, s55 bitop3:0x80
	v_and_b32_e32 v92, s55, v90
	s_delay_alu instid0(VALU_DEP_2) | instskip(NEXT) | instid1(VALU_DEP_1)
	v_add_co_u32 v90, s15, v91, -1
	v_cndmask_b32_e64 v91, 0, 1, s15
	s_delay_alu instid0(VALU_DEP_3) | instskip(NEXT) | instid1(VALU_DEP_2)
	v_lshlrev_b32_e32 v93, 30, v92
	v_cmp_ne_u32_e32 vcc_lo, 0, v91
	s_delay_alu instid0(VALU_DEP_2) | instskip(NEXT) | instid1(VALU_DEP_1)
	v_not_b32_e32 v91, v93
	v_dual_ashrrev_i32 v91, 31, v91 :: v_dual_bitop2_b32 v90, vcc_lo, v90 bitop3:0x14
	v_dual_lshlrev_b32 v94, 29, v92 :: v_dual_lshlrev_b32 v95, 28, v92
	v_dual_lshlrev_b32 v96, 27, v92 :: v_dual_lshlrev_b32 v97, 26, v92
	v_lshlrev_b32_e32 v187, 25, v92
	v_cmp_gt_i32_e64 s15, 0, v93
	s_delay_alu instid0(VALU_DEP_4)
	v_cmp_gt_i32_e64 s16, 0, v94
	v_not_b32_e32 v93, v94
	v_not_b32_e32 v94, v95
	v_lshlrev_b32_e32 v188, 24, v92
	v_cmp_gt_i32_e64 s17, 0, v95
	v_cmp_gt_i32_e64 s18, 0, v96
	v_not_b32_e32 v95, v96
	v_not_b32_e32 v96, v97
	v_dual_ashrrev_i32 v93, 31, v93 :: v_dual_ashrrev_i32 v94, 31, v94
	v_xor_b32_e32 v91, s15, v91
	v_cmp_gt_i32_e64 s19, 0, v97
	v_not_b32_e32 v97, v187
	s_delay_alu instid0(VALU_DEP_4) | instskip(SKIP_1) | instid1(VALU_DEP_3)
	v_dual_ashrrev_i32 v95, 31, v95 :: v_dual_bitop2_b32 v93, s16, v93 bitop3:0x14
	v_dual_ashrrev_i32 v96, 31, v96 :: v_dual_bitop2_b32 v94, s17, v94 bitop3:0x14
	v_ashrrev_i32_e32 v97, 31, v97
	v_bitop3_b32 v90, v90, v91, exec_lo bitop3:0x80
	v_not_b32_e32 v91, v188
	v_cmp_gt_i32_e64 s20, 0, v187
	v_xor_b32_e32 v95, s18, v95
	v_xor_b32_e32 v96, s19, v96
	v_bitop3_b32 v90, v90, v94, v93 bitop3:0x80
	v_cmp_gt_i32_e32 vcc_lo, 0, v188
	v_ashrrev_i32_e32 v91, 31, v91
	v_mad_u32_u24 v93, v92, 36, v148
	v_xor_b32_e32 v94, s20, v97
	v_bitop3_b32 v90, v90, v96, v95 bitop3:0x80
	s_delay_alu instid0(VALU_DEP_4) | instskip(SKIP_3) | instid1(VALU_DEP_2)
	v_xor_b32_e32 v91, vcc_lo, v91
	ds_load_b32 v187, v93 offset:1056
	; wave barrier
	v_bitop3_b32 v90, v90, v91, v94 bitop3:0x80
	v_mul_u32_u24_e32 v91, 36, v92
	v_mbcnt_lo_u32_b32 v188, v90, 0
	v_cmp_ne_u32_e64 s15, 0, v90
	s_delay_alu instid0(VALU_DEP_3) | instskip(NEXT) | instid1(VALU_DEP_3)
	v_add_nc_u32_e32 v189, v148, v91
	v_cmp_eq_u32_e32 vcc_lo, 0, v188
	s_and_b32 s16, s15, vcc_lo
	s_delay_alu instid0(SALU_CYCLE_1)
	s_and_saveexec_b32 s15, s16
	s_cbranch_execz .LBB730_740
; %bb.739:                              ;   in Loop: Header=BB730_690 Depth=2
	s_wait_dscnt 0x0
	v_bcnt_u32_b32 v90, v90, v187
	ds_store_b32 v189, v90 offset:1056
.LBB730_740:                            ;   in Loop: Header=BB730_690 Depth=2
	s_or_b32 exec_lo, exec_lo, s15
	v_xor_b32_e32 v87, 0x7fffffff, v87
	v_not_b32_e32 v86, v86
	; wave barrier
	s_delay_alu instid0(VALU_DEP_1) | instskip(NEXT) | instid1(VALU_DEP_1)
	v_lshrrev_b64 v[90:91], s43, v[86:87]
	v_bitop3_b32 v91, v90, 1, s55 bitop3:0x80
	v_and_b32_e32 v92, s55, v90
	s_delay_alu instid0(VALU_DEP_2) | instskip(NEXT) | instid1(VALU_DEP_1)
	v_add_co_u32 v90, s15, v91, -1
	v_cndmask_b32_e64 v91, 0, 1, s15
	s_delay_alu instid0(VALU_DEP_3) | instskip(NEXT) | instid1(VALU_DEP_2)
	v_lshlrev_b32_e32 v93, 30, v92
	v_cmp_ne_u32_e32 vcc_lo, 0, v91
	s_delay_alu instid0(VALU_DEP_2) | instskip(NEXT) | instid1(VALU_DEP_1)
	v_not_b32_e32 v91, v93
	v_dual_ashrrev_i32 v91, 31, v91 :: v_dual_bitop2_b32 v90, vcc_lo, v90 bitop3:0x14
	v_dual_lshlrev_b32 v94, 29, v92 :: v_dual_lshlrev_b32 v95, 28, v92
	v_dual_lshlrev_b32 v96, 27, v92 :: v_dual_lshlrev_b32 v97, 26, v92
	v_lshlrev_b32_e32 v190, 25, v92
	v_cmp_gt_i32_e64 s15, 0, v93
	s_delay_alu instid0(VALU_DEP_4)
	v_cmp_gt_i32_e64 s16, 0, v94
	v_not_b32_e32 v93, v94
	v_not_b32_e32 v94, v95
	v_lshlrev_b32_e32 v191, 24, v92
	v_cmp_gt_i32_e64 s17, 0, v95
	v_cmp_gt_i32_e64 s18, 0, v96
	v_not_b32_e32 v95, v96
	v_not_b32_e32 v96, v97
	v_dual_ashrrev_i32 v93, 31, v93 :: v_dual_ashrrev_i32 v94, 31, v94
	v_xor_b32_e32 v91, s15, v91
	v_cmp_gt_i32_e64 s19, 0, v97
	v_not_b32_e32 v97, v190
	s_delay_alu instid0(VALU_DEP_4) | instskip(SKIP_1) | instid1(VALU_DEP_3)
	v_dual_ashrrev_i32 v95, 31, v95 :: v_dual_bitop2_b32 v93, s16, v93 bitop3:0x14
	v_dual_ashrrev_i32 v96, 31, v96 :: v_dual_bitop2_b32 v94, s17, v94 bitop3:0x14
	v_ashrrev_i32_e32 v97, 31, v97
	v_bitop3_b32 v90, v90, v91, exec_lo bitop3:0x80
	v_not_b32_e32 v91, v191
	v_cmp_gt_i32_e64 s20, 0, v190
	v_xor_b32_e32 v95, s18, v95
	v_xor_b32_e32 v96, s19, v96
	v_bitop3_b32 v90, v90, v94, v93 bitop3:0x80
	v_cmp_gt_i32_e32 vcc_lo, 0, v191
	v_ashrrev_i32_e32 v91, 31, v91
	v_mad_u32_u24 v93, v92, 36, v148
	v_xor_b32_e32 v94, s20, v97
	v_bitop3_b32 v90, v90, v96, v95 bitop3:0x80
	s_delay_alu instid0(VALU_DEP_4) | instskip(SKIP_3) | instid1(VALU_DEP_2)
	v_xor_b32_e32 v91, vcc_lo, v91
	ds_load_b32 v190, v93 offset:1056
	; wave barrier
	v_bitop3_b32 v90, v90, v91, v94 bitop3:0x80
	v_mul_u32_u24_e32 v91, 36, v92
	v_mbcnt_lo_u32_b32 v191, v90, 0
	v_cmp_ne_u32_e64 s15, 0, v90
	s_delay_alu instid0(VALU_DEP_3) | instskip(NEXT) | instid1(VALU_DEP_3)
	v_add_nc_u32_e32 v192, v148, v91
	v_cmp_eq_u32_e32 vcc_lo, 0, v191
	s_and_b32 s16, s15, vcc_lo
	s_delay_alu instid0(SALU_CYCLE_1)
	s_and_saveexec_b32 s15, s16
	s_cbranch_execz .LBB730_742
; %bb.741:                              ;   in Loop: Header=BB730_690 Depth=2
	s_wait_dscnt 0x0
	v_bcnt_u32_b32 v90, v90, v190
	ds_store_b32 v192, v90 offset:1056
.LBB730_742:                            ;   in Loop: Header=BB730_690 Depth=2
	s_or_b32 exec_lo, exec_lo, s15
	v_xor_b32_e32 v89, 0x7fffffff, v89
	v_not_b32_e32 v88, v88
	; wave barrier
	s_delay_alu instid0(VALU_DEP_1) | instskip(NEXT) | instid1(VALU_DEP_1)
	v_lshrrev_b64 v[90:91], s43, v[88:89]
	v_bitop3_b32 v91, v90, 1, s55 bitop3:0x80
	v_and_b32_e32 v92, s55, v90
	s_delay_alu instid0(VALU_DEP_2) | instskip(NEXT) | instid1(VALU_DEP_1)
	v_add_co_u32 v90, s15, v91, -1
	v_cndmask_b32_e64 v91, 0, 1, s15
	s_delay_alu instid0(VALU_DEP_3) | instskip(NEXT) | instid1(VALU_DEP_2)
	v_lshlrev_b32_e32 v93, 30, v92
	v_cmp_ne_u32_e32 vcc_lo, 0, v91
	s_delay_alu instid0(VALU_DEP_2) | instskip(NEXT) | instid1(VALU_DEP_1)
	v_not_b32_e32 v91, v93
	v_dual_ashrrev_i32 v91, 31, v91 :: v_dual_bitop2_b32 v90, vcc_lo, v90 bitop3:0x14
	v_dual_lshlrev_b32 v94, 29, v92 :: v_dual_lshlrev_b32 v95, 28, v92
	v_dual_lshlrev_b32 v96, 27, v92 :: v_dual_lshlrev_b32 v97, 26, v92
	v_lshlrev_b32_e32 v193, 25, v92
	v_cmp_gt_i32_e64 s15, 0, v93
	s_delay_alu instid0(VALU_DEP_4)
	v_cmp_gt_i32_e64 s16, 0, v94
	v_not_b32_e32 v93, v94
	v_not_b32_e32 v94, v95
	v_lshlrev_b32_e32 v194, 24, v92
	v_cmp_gt_i32_e64 s17, 0, v95
	v_cmp_gt_i32_e64 s18, 0, v96
	v_not_b32_e32 v95, v96
	v_not_b32_e32 v96, v97
	v_dual_ashrrev_i32 v93, 31, v93 :: v_dual_ashrrev_i32 v94, 31, v94
	v_xor_b32_e32 v91, s15, v91
	v_cmp_gt_i32_e64 s19, 0, v97
	v_not_b32_e32 v97, v193
	s_delay_alu instid0(VALU_DEP_4) | instskip(SKIP_1) | instid1(VALU_DEP_3)
	v_dual_ashrrev_i32 v95, 31, v95 :: v_dual_bitop2_b32 v93, s16, v93 bitop3:0x14
	v_dual_ashrrev_i32 v96, 31, v96 :: v_dual_bitop2_b32 v94, s17, v94 bitop3:0x14
	v_ashrrev_i32_e32 v97, 31, v97
	v_bitop3_b32 v90, v90, v91, exec_lo bitop3:0x80
	v_not_b32_e32 v91, v194
	v_cmp_gt_i32_e64 s20, 0, v193
	v_xor_b32_e32 v95, s18, v95
	v_xor_b32_e32 v96, s19, v96
	v_bitop3_b32 v90, v90, v94, v93 bitop3:0x80
	v_cmp_gt_i32_e32 vcc_lo, 0, v194
	v_ashrrev_i32_e32 v91, 31, v91
	v_mad_u32_u24 v93, v92, 36, v148
	v_xor_b32_e32 v94, s20, v97
	v_bitop3_b32 v90, v90, v96, v95 bitop3:0x80
	s_delay_alu instid0(VALU_DEP_4) | instskip(SKIP_3) | instid1(VALU_DEP_2)
	v_xor_b32_e32 v91, vcc_lo, v91
	ds_load_b32 v193, v93 offset:1056
	; wave barrier
	v_bitop3_b32 v90, v90, v91, v94 bitop3:0x80
	v_mul_u32_u24_e32 v91, 36, v92
	v_mbcnt_lo_u32_b32 v194, v90, 0
	v_cmp_ne_u32_e64 s15, 0, v90
	s_delay_alu instid0(VALU_DEP_3) | instskip(NEXT) | instid1(VALU_DEP_3)
	v_add_nc_u32_e32 v195, v148, v91
	v_cmp_eq_u32_e32 vcc_lo, 0, v194
	s_and_b32 s16, s15, vcc_lo
	s_delay_alu instid0(SALU_CYCLE_1)
	s_and_saveexec_b32 s15, s16
	s_cbranch_execz .LBB730_744
; %bb.743:                              ;   in Loop: Header=BB730_690 Depth=2
	s_wait_dscnt 0x0
	v_bcnt_u32_b32 v90, v90, v193
	ds_store_b32 v195, v90 offset:1056
.LBB730_744:                            ;   in Loop: Header=BB730_690 Depth=2
	s_or_b32 exec_lo, exec_lo, s15
	v_xor_b32_e32 v85, 0x7fffffff, v85
	v_not_b32_e32 v84, v84
	; wave barrier
	s_delay_alu instid0(VALU_DEP_1) | instskip(NEXT) | instid1(VALU_DEP_1)
	v_lshrrev_b64 v[90:91], s43, v[84:85]
	v_bitop3_b32 v91, v90, 1, s55 bitop3:0x80
	v_and_b32_e32 v92, s55, v90
	s_delay_alu instid0(VALU_DEP_2) | instskip(NEXT) | instid1(VALU_DEP_1)
	v_add_co_u32 v90, s15, v91, -1
	v_cndmask_b32_e64 v91, 0, 1, s15
	s_delay_alu instid0(VALU_DEP_3) | instskip(NEXT) | instid1(VALU_DEP_2)
	v_lshlrev_b32_e32 v93, 30, v92
	v_cmp_ne_u32_e32 vcc_lo, 0, v91
	s_delay_alu instid0(VALU_DEP_2) | instskip(NEXT) | instid1(VALU_DEP_1)
	v_not_b32_e32 v91, v93
	v_dual_ashrrev_i32 v91, 31, v91 :: v_dual_bitop2_b32 v90, vcc_lo, v90 bitop3:0x14
	v_dual_lshlrev_b32 v94, 29, v92 :: v_dual_lshlrev_b32 v95, 28, v92
	v_dual_lshlrev_b32 v96, 27, v92 :: v_dual_lshlrev_b32 v97, 26, v92
	v_lshlrev_b32_e32 v196, 25, v92
	v_cmp_gt_i32_e64 s15, 0, v93
	s_delay_alu instid0(VALU_DEP_4)
	v_cmp_gt_i32_e64 s16, 0, v94
	v_not_b32_e32 v93, v94
	v_not_b32_e32 v94, v95
	v_lshlrev_b32_e32 v197, 24, v92
	v_cmp_gt_i32_e64 s17, 0, v95
	v_cmp_gt_i32_e64 s18, 0, v96
	v_not_b32_e32 v95, v96
	v_not_b32_e32 v96, v97
	v_dual_ashrrev_i32 v93, 31, v93 :: v_dual_ashrrev_i32 v94, 31, v94
	v_xor_b32_e32 v91, s15, v91
	v_cmp_gt_i32_e64 s19, 0, v97
	v_not_b32_e32 v97, v196
	s_delay_alu instid0(VALU_DEP_4) | instskip(SKIP_1) | instid1(VALU_DEP_3)
	v_dual_ashrrev_i32 v95, 31, v95 :: v_dual_bitop2_b32 v93, s16, v93 bitop3:0x14
	v_dual_ashrrev_i32 v96, 31, v96 :: v_dual_bitop2_b32 v94, s17, v94 bitop3:0x14
	v_ashrrev_i32_e32 v97, 31, v97
	v_bitop3_b32 v90, v90, v91, exec_lo bitop3:0x80
	v_not_b32_e32 v91, v197
	v_cmp_gt_i32_e64 s20, 0, v196
	v_xor_b32_e32 v95, s18, v95
	v_xor_b32_e32 v96, s19, v96
	v_bitop3_b32 v90, v90, v94, v93 bitop3:0x80
	v_cmp_gt_i32_e32 vcc_lo, 0, v197
	v_ashrrev_i32_e32 v91, 31, v91
	v_mad_u32_u24 v93, v92, 36, v148
	v_xor_b32_e32 v94, s20, v97
	v_bitop3_b32 v90, v90, v96, v95 bitop3:0x80
	s_delay_alu instid0(VALU_DEP_4) | instskip(SKIP_3) | instid1(VALU_DEP_2)
	v_xor_b32_e32 v91, vcc_lo, v91
	ds_load_b32 v196, v93 offset:1056
	; wave barrier
	v_bitop3_b32 v90, v90, v91, v94 bitop3:0x80
	v_mul_u32_u24_e32 v91, 36, v92
	v_mbcnt_lo_u32_b32 v197, v90, 0
	v_cmp_ne_u32_e64 s15, 0, v90
	s_delay_alu instid0(VALU_DEP_3) | instskip(NEXT) | instid1(VALU_DEP_3)
	v_add_nc_u32_e32 v198, v148, v91
	v_cmp_eq_u32_e32 vcc_lo, 0, v197
	s_and_b32 s16, s15, vcc_lo
	s_delay_alu instid0(SALU_CYCLE_1)
	s_and_saveexec_b32 s15, s16
	s_cbranch_execz .LBB730_746
; %bb.745:                              ;   in Loop: Header=BB730_690 Depth=2
	s_wait_dscnt 0x0
	v_bcnt_u32_b32 v90, v90, v196
	ds_store_b32 v198, v90 offset:1056
.LBB730_746:                            ;   in Loop: Header=BB730_690 Depth=2
	s_or_b32 exec_lo, exec_lo, s15
	v_xor_b32_e32 v81, 0x7fffffff, v81
	v_not_b32_e32 v80, v80
	; wave barrier
	s_delay_alu instid0(VALU_DEP_1) | instskip(NEXT) | instid1(VALU_DEP_1)
	v_lshrrev_b64 v[90:91], s43, v[80:81]
	v_bitop3_b32 v91, v90, 1, s55 bitop3:0x80
	v_and_b32_e32 v92, s55, v90
	s_delay_alu instid0(VALU_DEP_2) | instskip(NEXT) | instid1(VALU_DEP_1)
	v_add_co_u32 v90, s15, v91, -1
	v_cndmask_b32_e64 v91, 0, 1, s15
	s_delay_alu instid0(VALU_DEP_3) | instskip(NEXT) | instid1(VALU_DEP_2)
	v_lshlrev_b32_e32 v93, 30, v92
	v_cmp_ne_u32_e32 vcc_lo, 0, v91
	s_delay_alu instid0(VALU_DEP_2) | instskip(NEXT) | instid1(VALU_DEP_1)
	v_not_b32_e32 v91, v93
	v_dual_ashrrev_i32 v91, 31, v91 :: v_dual_bitop2_b32 v90, vcc_lo, v90 bitop3:0x14
	v_dual_lshlrev_b32 v94, 29, v92 :: v_dual_lshlrev_b32 v95, 28, v92
	v_dual_lshlrev_b32 v96, 27, v92 :: v_dual_lshlrev_b32 v97, 26, v92
	v_lshlrev_b32_e32 v199, 25, v92
	v_cmp_gt_i32_e64 s15, 0, v93
	s_delay_alu instid0(VALU_DEP_4)
	v_cmp_gt_i32_e64 s16, 0, v94
	v_not_b32_e32 v93, v94
	v_not_b32_e32 v94, v95
	v_lshlrev_b32_e32 v200, 24, v92
	v_cmp_gt_i32_e64 s17, 0, v95
	v_cmp_gt_i32_e64 s18, 0, v96
	v_not_b32_e32 v95, v96
	v_not_b32_e32 v96, v97
	v_dual_ashrrev_i32 v93, 31, v93 :: v_dual_ashrrev_i32 v94, 31, v94
	v_xor_b32_e32 v91, s15, v91
	v_cmp_gt_i32_e64 s19, 0, v97
	v_not_b32_e32 v97, v199
	s_delay_alu instid0(VALU_DEP_4) | instskip(SKIP_1) | instid1(VALU_DEP_3)
	v_dual_ashrrev_i32 v95, 31, v95 :: v_dual_bitop2_b32 v93, s16, v93 bitop3:0x14
	v_dual_ashrrev_i32 v96, 31, v96 :: v_dual_bitop2_b32 v94, s17, v94 bitop3:0x14
	v_ashrrev_i32_e32 v97, 31, v97
	v_bitop3_b32 v90, v90, v91, exec_lo bitop3:0x80
	v_not_b32_e32 v91, v200
	v_cmp_gt_i32_e64 s20, 0, v199
	v_xor_b32_e32 v95, s18, v95
	v_xor_b32_e32 v96, s19, v96
	v_bitop3_b32 v90, v90, v94, v93 bitop3:0x80
	v_cmp_gt_i32_e32 vcc_lo, 0, v200
	v_ashrrev_i32_e32 v91, 31, v91
	v_mad_u32_u24 v93, v92, 36, v148
	v_xor_b32_e32 v94, s20, v97
	v_bitop3_b32 v90, v90, v96, v95 bitop3:0x80
	s_delay_alu instid0(VALU_DEP_4) | instskip(SKIP_3) | instid1(VALU_DEP_2)
	v_xor_b32_e32 v91, vcc_lo, v91
	ds_load_b32 v199, v93 offset:1056
	; wave barrier
	v_bitop3_b32 v90, v90, v91, v94 bitop3:0x80
	v_mul_u32_u24_e32 v91, 36, v92
	v_mbcnt_lo_u32_b32 v200, v90, 0
	v_cmp_ne_u32_e64 s15, 0, v90
	s_delay_alu instid0(VALU_DEP_3) | instskip(NEXT) | instid1(VALU_DEP_3)
	v_add_nc_u32_e32 v202, v148, v91
	v_cmp_eq_u32_e32 vcc_lo, 0, v200
	s_and_b32 s16, s15, vcc_lo
	s_delay_alu instid0(SALU_CYCLE_1)
	s_and_saveexec_b32 s15, s16
	s_cbranch_execz .LBB730_748
; %bb.747:                              ;   in Loop: Header=BB730_690 Depth=2
	s_wait_dscnt 0x0
	v_bcnt_u32_b32 v90, v90, v199
	ds_store_b32 v202, v90 offset:1056
.LBB730_748:                            ;   in Loop: Header=BB730_690 Depth=2
	s_or_b32 exec_lo, exec_lo, s15
	v_xor_b32_e32 v77, 0x7fffffff, v77
	v_not_b32_e32 v76, v76
	; wave barrier
	s_delay_alu instid0(VALU_DEP_1) | instskip(NEXT) | instid1(VALU_DEP_1)
	v_lshrrev_b64 v[90:91], s43, v[76:77]
	v_bitop3_b32 v91, v90, 1, s55 bitop3:0x80
	v_and_b32_e32 v92, s55, v90
	s_delay_alu instid0(VALU_DEP_2) | instskip(NEXT) | instid1(VALU_DEP_1)
	v_add_co_u32 v90, s15, v91, -1
	v_cndmask_b32_e64 v91, 0, 1, s15
	s_delay_alu instid0(VALU_DEP_3) | instskip(NEXT) | instid1(VALU_DEP_2)
	v_lshlrev_b32_e32 v93, 30, v92
	v_cmp_ne_u32_e32 vcc_lo, 0, v91
	s_delay_alu instid0(VALU_DEP_2) | instskip(NEXT) | instid1(VALU_DEP_1)
	v_not_b32_e32 v91, v93
	v_dual_ashrrev_i32 v91, 31, v91 :: v_dual_bitop2_b32 v90, vcc_lo, v90 bitop3:0x14
	v_dual_lshlrev_b32 v94, 29, v92 :: v_dual_lshlrev_b32 v95, 28, v92
	v_dual_lshlrev_b32 v96, 27, v92 :: v_dual_lshlrev_b32 v97, 26, v92
	v_lshlrev_b32_e32 v201, 25, v92
	v_cmp_gt_i32_e64 s15, 0, v93
	s_delay_alu instid0(VALU_DEP_4)
	v_cmp_gt_i32_e64 s16, 0, v94
	v_not_b32_e32 v93, v94
	v_not_b32_e32 v94, v95
	v_lshlrev_b32_e32 v203, 24, v92
	v_cmp_gt_i32_e64 s17, 0, v95
	v_cmp_gt_i32_e64 s18, 0, v96
	v_not_b32_e32 v95, v96
	v_not_b32_e32 v96, v97
	v_dual_ashrrev_i32 v93, 31, v93 :: v_dual_ashrrev_i32 v94, 31, v94
	v_xor_b32_e32 v91, s15, v91
	v_cmp_gt_i32_e64 s19, 0, v97
	v_not_b32_e32 v97, v201
	s_delay_alu instid0(VALU_DEP_4) | instskip(SKIP_1) | instid1(VALU_DEP_3)
	v_dual_ashrrev_i32 v95, 31, v95 :: v_dual_bitop2_b32 v93, s16, v93 bitop3:0x14
	v_dual_ashrrev_i32 v96, 31, v96 :: v_dual_bitop2_b32 v94, s17, v94 bitop3:0x14
	v_ashrrev_i32_e32 v97, 31, v97
	v_bitop3_b32 v90, v90, v91, exec_lo bitop3:0x80
	v_not_b32_e32 v91, v203
	v_cmp_gt_i32_e64 s20, 0, v201
	v_xor_b32_e32 v95, s18, v95
	v_xor_b32_e32 v96, s19, v96
	v_bitop3_b32 v90, v90, v94, v93 bitop3:0x80
	v_cmp_gt_i32_e32 vcc_lo, 0, v203
	v_ashrrev_i32_e32 v91, 31, v91
	v_mad_u32_u24 v93, v92, 36, v148
	v_xor_b32_e32 v94, s20, v97
	v_bitop3_b32 v90, v90, v96, v95 bitop3:0x80
	s_delay_alu instid0(VALU_DEP_4) | instskip(SKIP_3) | instid1(VALU_DEP_2)
	v_xor_b32_e32 v91, vcc_lo, v91
	ds_load_b32 v201, v93 offset:1056
	; wave barrier
	v_bitop3_b32 v90, v90, v91, v94 bitop3:0x80
	v_mul_u32_u24_e32 v91, 36, v92
	v_mbcnt_lo_u32_b32 v203, v90, 0
	v_cmp_ne_u32_e64 s15, 0, v90
	s_delay_alu instid0(VALU_DEP_3) | instskip(NEXT) | instid1(VALU_DEP_3)
	v_add_nc_u32_e32 v205, v148, v91
	v_cmp_eq_u32_e32 vcc_lo, 0, v203
	s_and_b32 s16, s15, vcc_lo
	s_delay_alu instid0(SALU_CYCLE_1)
	s_and_saveexec_b32 s15, s16
	s_cbranch_execz .LBB730_750
; %bb.749:                              ;   in Loop: Header=BB730_690 Depth=2
	s_wait_dscnt 0x0
	v_bcnt_u32_b32 v90, v90, v201
	ds_store_b32 v205, v90 offset:1056
.LBB730_750:                            ;   in Loop: Header=BB730_690 Depth=2
	s_or_b32 exec_lo, exec_lo, s15
	v_xor_b32_e32 v73, 0x7fffffff, v73
	v_not_b32_e32 v72, v72
	; wave barrier
	s_delay_alu instid0(VALU_DEP_1) | instskip(NEXT) | instid1(VALU_DEP_1)
	v_lshrrev_b64 v[90:91], s43, v[72:73]
	v_bitop3_b32 v91, v90, 1, s55 bitop3:0x80
	v_and_b32_e32 v92, s55, v90
	s_delay_alu instid0(VALU_DEP_2) | instskip(NEXT) | instid1(VALU_DEP_1)
	v_add_co_u32 v90, s15, v91, -1
	v_cndmask_b32_e64 v91, 0, 1, s15
	s_delay_alu instid0(VALU_DEP_3) | instskip(NEXT) | instid1(VALU_DEP_2)
	v_lshlrev_b32_e32 v93, 30, v92
	v_cmp_ne_u32_e32 vcc_lo, 0, v91
	s_delay_alu instid0(VALU_DEP_2) | instskip(NEXT) | instid1(VALU_DEP_1)
	v_not_b32_e32 v91, v93
	v_dual_ashrrev_i32 v91, 31, v91 :: v_dual_bitop2_b32 v90, vcc_lo, v90 bitop3:0x14
	v_dual_lshlrev_b32 v94, 29, v92 :: v_dual_lshlrev_b32 v95, 28, v92
	v_dual_lshlrev_b32 v96, 27, v92 :: v_dual_lshlrev_b32 v97, 26, v92
	v_lshlrev_b32_e32 v204, 25, v92
	v_cmp_gt_i32_e64 s15, 0, v93
	s_delay_alu instid0(VALU_DEP_4)
	v_cmp_gt_i32_e64 s16, 0, v94
	v_not_b32_e32 v93, v94
	v_not_b32_e32 v94, v95
	v_lshlrev_b32_e32 v206, 24, v92
	v_cmp_gt_i32_e64 s17, 0, v95
	v_cmp_gt_i32_e64 s18, 0, v96
	v_not_b32_e32 v95, v96
	v_not_b32_e32 v96, v97
	v_dual_ashrrev_i32 v93, 31, v93 :: v_dual_ashrrev_i32 v94, 31, v94
	v_xor_b32_e32 v91, s15, v91
	v_cmp_gt_i32_e64 s19, 0, v97
	v_not_b32_e32 v97, v204
	s_delay_alu instid0(VALU_DEP_4) | instskip(SKIP_1) | instid1(VALU_DEP_3)
	v_dual_ashrrev_i32 v95, 31, v95 :: v_dual_bitop2_b32 v93, s16, v93 bitop3:0x14
	v_dual_ashrrev_i32 v96, 31, v96 :: v_dual_bitop2_b32 v94, s17, v94 bitop3:0x14
	v_ashrrev_i32_e32 v97, 31, v97
	v_bitop3_b32 v90, v90, v91, exec_lo bitop3:0x80
	v_not_b32_e32 v91, v206
	v_cmp_gt_i32_e64 s20, 0, v204
	v_xor_b32_e32 v95, s18, v95
	v_xor_b32_e32 v96, s19, v96
	v_bitop3_b32 v90, v90, v94, v93 bitop3:0x80
	v_cmp_gt_i32_e32 vcc_lo, 0, v206
	v_ashrrev_i32_e32 v91, 31, v91
	v_mad_u32_u24 v93, v92, 36, v148
	v_xor_b32_e32 v94, s20, v97
	v_bitop3_b32 v90, v90, v96, v95 bitop3:0x80
	s_delay_alu instid0(VALU_DEP_4) | instskip(SKIP_3) | instid1(VALU_DEP_2)
	v_xor_b32_e32 v91, vcc_lo, v91
	ds_load_b32 v204, v93 offset:1056
	; wave barrier
	v_bitop3_b32 v90, v90, v91, v94 bitop3:0x80
	v_mul_u32_u24_e32 v91, 36, v92
	v_mbcnt_lo_u32_b32 v206, v90, 0
	v_cmp_ne_u32_e64 s15, 0, v90
	s_delay_alu instid0(VALU_DEP_3) | instskip(NEXT) | instid1(VALU_DEP_3)
	v_add_nc_u32_e32 v209, v148, v91
	v_cmp_eq_u32_e32 vcc_lo, 0, v206
	s_and_b32 s16, s15, vcc_lo
	s_delay_alu instid0(SALU_CYCLE_1)
	s_and_saveexec_b32 s15, s16
	s_cbranch_execz .LBB730_752
; %bb.751:                              ;   in Loop: Header=BB730_690 Depth=2
	s_wait_dscnt 0x0
	v_bcnt_u32_b32 v90, v90, v204
	ds_store_b32 v209, v90 offset:1056
.LBB730_752:                            ;   in Loop: Header=BB730_690 Depth=2
	s_or_b32 exec_lo, exec_lo, s15
	v_xor_b32_e32 v69, 0x7fffffff, v69
	v_not_b32_e32 v68, v68
	; wave barrier
	s_delay_alu instid0(VALU_DEP_1) | instskip(NEXT) | instid1(VALU_DEP_1)
	v_lshrrev_b64 v[90:91], s43, v[68:69]
	v_bitop3_b32 v91, v90, 1, s55 bitop3:0x80
	v_and_b32_e32 v92, s55, v90
	s_delay_alu instid0(VALU_DEP_2) | instskip(NEXT) | instid1(VALU_DEP_1)
	v_add_co_u32 v90, s15, v91, -1
	v_cndmask_b32_e64 v91, 0, 1, s15
	s_delay_alu instid0(VALU_DEP_3) | instskip(NEXT) | instid1(VALU_DEP_2)
	v_lshlrev_b32_e32 v93, 30, v92
	v_cmp_ne_u32_e32 vcc_lo, 0, v91
	s_delay_alu instid0(VALU_DEP_2) | instskip(NEXT) | instid1(VALU_DEP_1)
	v_not_b32_e32 v91, v93
	v_dual_ashrrev_i32 v91, 31, v91 :: v_dual_bitop2_b32 v90, vcc_lo, v90 bitop3:0x14
	v_dual_lshlrev_b32 v94, 29, v92 :: v_dual_lshlrev_b32 v95, 28, v92
	v_dual_lshlrev_b32 v96, 27, v92 :: v_dual_lshlrev_b32 v97, 26, v92
	v_lshlrev_b32_e32 v207, 25, v92
	v_cmp_gt_i32_e64 s15, 0, v93
	s_delay_alu instid0(VALU_DEP_4)
	v_cmp_gt_i32_e64 s16, 0, v94
	v_not_b32_e32 v93, v94
	v_not_b32_e32 v94, v95
	v_lshlrev_b32_e32 v208, 24, v92
	v_cmp_gt_i32_e64 s17, 0, v95
	v_cmp_gt_i32_e64 s18, 0, v96
	v_not_b32_e32 v95, v96
	v_not_b32_e32 v96, v97
	v_dual_ashrrev_i32 v93, 31, v93 :: v_dual_ashrrev_i32 v94, 31, v94
	v_xor_b32_e32 v91, s15, v91
	v_cmp_gt_i32_e64 s19, 0, v97
	v_not_b32_e32 v97, v207
	s_delay_alu instid0(VALU_DEP_4) | instskip(SKIP_1) | instid1(VALU_DEP_3)
	v_dual_ashrrev_i32 v95, 31, v95 :: v_dual_bitop2_b32 v93, s16, v93 bitop3:0x14
	v_dual_ashrrev_i32 v96, 31, v96 :: v_dual_bitop2_b32 v94, s17, v94 bitop3:0x14
	v_ashrrev_i32_e32 v97, 31, v97
	v_bitop3_b32 v90, v90, v91, exec_lo bitop3:0x80
	v_not_b32_e32 v91, v208
	v_cmp_gt_i32_e64 s20, 0, v207
	v_xor_b32_e32 v95, s18, v95
	v_xor_b32_e32 v96, s19, v96
	v_bitop3_b32 v90, v90, v94, v93 bitop3:0x80
	v_cmp_gt_i32_e32 vcc_lo, 0, v208
	v_ashrrev_i32_e32 v91, 31, v91
	v_mad_u32_u24 v93, v92, 36, v148
	v_xor_b32_e32 v94, s20, v97
	v_bitop3_b32 v90, v90, v96, v95 bitop3:0x80
	s_delay_alu instid0(VALU_DEP_4) | instskip(SKIP_3) | instid1(VALU_DEP_2)
	v_xor_b32_e32 v91, vcc_lo, v91
	ds_load_b32 v207, v93 offset:1056
	; wave barrier
	v_bitop3_b32 v90, v90, v91, v94 bitop3:0x80
	v_mul_u32_u24_e32 v91, 36, v92
	v_mbcnt_lo_u32_b32 v208, v90, 0
	v_cmp_ne_u32_e64 s15, 0, v90
	s_delay_alu instid0(VALU_DEP_3) | instskip(NEXT) | instid1(VALU_DEP_3)
	v_add_nc_u32_e32 v212, v148, v91
	v_cmp_eq_u32_e32 vcc_lo, 0, v208
	s_and_b32 s16, s15, vcc_lo
	s_delay_alu instid0(SALU_CYCLE_1)
	s_and_saveexec_b32 s15, s16
	s_cbranch_execz .LBB730_754
; %bb.753:                              ;   in Loop: Header=BB730_690 Depth=2
	s_wait_dscnt 0x0
	v_bcnt_u32_b32 v90, v90, v207
	ds_store_b32 v212, v90 offset:1056
.LBB730_754:                            ;   in Loop: Header=BB730_690 Depth=2
	s_or_b32 exec_lo, exec_lo, s15
	v_xor_b32_e32 v67, 0x7fffffff, v67
	v_not_b32_e32 v66, v66
	; wave barrier
	s_delay_alu instid0(VALU_DEP_1) | instskip(NEXT) | instid1(VALU_DEP_1)
	v_lshrrev_b64 v[90:91], s43, v[66:67]
	v_bitop3_b32 v91, v90, 1, s55 bitop3:0x80
	v_and_b32_e32 v92, s55, v90
	s_delay_alu instid0(VALU_DEP_2) | instskip(NEXT) | instid1(VALU_DEP_1)
	v_add_co_u32 v90, s15, v91, -1
	v_cndmask_b32_e64 v91, 0, 1, s15
	s_delay_alu instid0(VALU_DEP_3) | instskip(NEXT) | instid1(VALU_DEP_2)
	v_lshlrev_b32_e32 v93, 30, v92
	v_cmp_ne_u32_e32 vcc_lo, 0, v91
	s_delay_alu instid0(VALU_DEP_2) | instskip(NEXT) | instid1(VALU_DEP_1)
	v_not_b32_e32 v91, v93
	v_dual_ashrrev_i32 v91, 31, v91 :: v_dual_bitop2_b32 v90, vcc_lo, v90 bitop3:0x14
	v_dual_lshlrev_b32 v94, 29, v92 :: v_dual_lshlrev_b32 v95, 28, v92
	v_dual_lshlrev_b32 v96, 27, v92 :: v_dual_lshlrev_b32 v97, 26, v92
	v_lshlrev_b32_e32 v210, 25, v92
	v_cmp_gt_i32_e64 s15, 0, v93
	s_delay_alu instid0(VALU_DEP_4)
	v_cmp_gt_i32_e64 s16, 0, v94
	v_not_b32_e32 v93, v94
	v_not_b32_e32 v94, v95
	v_lshlrev_b32_e32 v211, 24, v92
	v_cmp_gt_i32_e64 s17, 0, v95
	v_cmp_gt_i32_e64 s18, 0, v96
	v_not_b32_e32 v95, v96
	v_not_b32_e32 v96, v97
	v_dual_ashrrev_i32 v93, 31, v93 :: v_dual_ashrrev_i32 v94, 31, v94
	v_xor_b32_e32 v91, s15, v91
	v_cmp_gt_i32_e64 s19, 0, v97
	v_not_b32_e32 v97, v210
	s_delay_alu instid0(VALU_DEP_4) | instskip(SKIP_1) | instid1(VALU_DEP_3)
	v_dual_ashrrev_i32 v95, 31, v95 :: v_dual_bitop2_b32 v93, s16, v93 bitop3:0x14
	v_dual_ashrrev_i32 v96, 31, v96 :: v_dual_bitop2_b32 v94, s17, v94 bitop3:0x14
	v_ashrrev_i32_e32 v97, 31, v97
	v_bitop3_b32 v90, v90, v91, exec_lo bitop3:0x80
	v_not_b32_e32 v91, v211
	v_cmp_gt_i32_e64 s20, 0, v210
	v_xor_b32_e32 v95, s18, v95
	v_xor_b32_e32 v96, s19, v96
	v_bitop3_b32 v90, v90, v94, v93 bitop3:0x80
	v_cmp_gt_i32_e32 vcc_lo, 0, v211
	v_ashrrev_i32_e32 v91, 31, v91
	v_mad_u32_u24 v93, v92, 36, v148
	v_xor_b32_e32 v94, s20, v97
	v_bitop3_b32 v90, v90, v96, v95 bitop3:0x80
	s_delay_alu instid0(VALU_DEP_4) | instskip(SKIP_3) | instid1(VALU_DEP_2)
	v_xor_b32_e32 v91, vcc_lo, v91
	ds_load_b32 v210, v93 offset:1056
	; wave barrier
	v_bitop3_b32 v90, v90, v91, v94 bitop3:0x80
	v_mul_u32_u24_e32 v91, 36, v92
	v_mbcnt_lo_u32_b32 v211, v90, 0
	v_cmp_ne_u32_e64 s15, 0, v90
	s_delay_alu instid0(VALU_DEP_3) | instskip(NEXT) | instid1(VALU_DEP_3)
	v_add_nc_u32_e32 v215, v148, v91
	v_cmp_eq_u32_e32 vcc_lo, 0, v211
	s_and_b32 s16, s15, vcc_lo
	s_delay_alu instid0(SALU_CYCLE_1)
	s_and_saveexec_b32 s15, s16
	s_cbranch_execz .LBB730_756
; %bb.755:                              ;   in Loop: Header=BB730_690 Depth=2
	s_wait_dscnt 0x0
	v_bcnt_u32_b32 v90, v90, v210
	ds_store_b32 v215, v90 offset:1056
.LBB730_756:                            ;   in Loop: Header=BB730_690 Depth=2
	s_or_b32 exec_lo, exec_lo, s15
	v_lshrrev_b64 v[90:91], s43, v[58:59]
	; wave barrier
	s_delay_alu instid0(VALU_DEP_1) | instskip(SKIP_1) | instid1(VALU_DEP_2)
	v_bitop3_b32 v91, v90, 1, s55 bitop3:0x80
	v_and_b32_e32 v92, s55, v90
	v_add_co_u32 v90, s15, v91, -1
	s_delay_alu instid0(VALU_DEP_1) | instskip(NEXT) | instid1(VALU_DEP_3)
	v_cndmask_b32_e64 v91, 0, 1, s15
	v_lshlrev_b32_e32 v93, 30, v92
	s_delay_alu instid0(VALU_DEP_2) | instskip(NEXT) | instid1(VALU_DEP_2)
	v_cmp_ne_u32_e32 vcc_lo, 0, v91
	v_not_b32_e32 v91, v93
	s_delay_alu instid0(VALU_DEP_1) | instskip(SKIP_4) | instid1(VALU_DEP_4)
	v_dual_ashrrev_i32 v91, 31, v91 :: v_dual_bitop2_b32 v90, vcc_lo, v90 bitop3:0x14
	v_dual_lshlrev_b32 v94, 29, v92 :: v_dual_lshlrev_b32 v95, 28, v92
	v_dual_lshlrev_b32 v96, 27, v92 :: v_dual_lshlrev_b32 v97, 26, v92
	v_lshlrev_b32_e32 v213, 25, v92
	v_cmp_gt_i32_e64 s15, 0, v93
	v_cmp_gt_i32_e64 s16, 0, v94
	v_not_b32_e32 v93, v94
	v_not_b32_e32 v94, v95
	v_lshlrev_b32_e32 v214, 24, v92
	v_cmp_gt_i32_e64 s17, 0, v95
	v_cmp_gt_i32_e64 s18, 0, v96
	v_not_b32_e32 v95, v96
	v_dual_ashrrev_i32 v93, 31, v93 :: v_dual_ashrrev_i32 v94, 31, v94
	v_xor_b32_e32 v91, s15, v91
	v_not_b32_e32 v96, v97
	v_cmp_gt_i32_e64 s19, 0, v97
	s_delay_alu instid0(VALU_DEP_4)
	v_dual_ashrrev_i32 v95, 31, v95 :: v_dual_bitop2_b32 v93, s16, v93 bitop3:0x14
	v_xor_b32_e32 v94, s17, v94
	v_bitop3_b32 v90, v90, v91, exec_lo bitop3:0x80
	v_ashrrev_i32_e32 v91, 31, v96
	v_not_b32_e32 v96, v213
	v_not_b32_e32 v97, v214
	v_xor_b32_e32 v95, s18, v95
	v_bitop3_b32 v90, v90, v94, v93 bitop3:0x80
	v_xor_b32_e32 v91, s19, v91
	v_cmp_gt_i32_e32 vcc_lo, 0, v213
	v_ashrrev_i32_e32 v93, 31, v96
	v_cmp_gt_i32_e64 s15, 0, v214
	v_ashrrev_i32_e32 v94, 31, v97
	v_mad_u32_u24 v96, v92, 36, v148
	v_bitop3_b32 v90, v90, v91, v95 bitop3:0x80
	v_xor_b32_e32 v91, vcc_lo, v93
	s_delay_alu instid0(VALU_DEP_4) | instskip(SKIP_3) | instid1(VALU_DEP_2)
	v_xor_b32_e32 v93, s15, v94
	ds_load_b32 v213, v96 offset:1056
	; wave barrier
	v_bitop3_b32 v90, v90, v93, v91 bitop3:0x80
	v_mul_u32_u24_e32 v91, 36, v92
	v_mbcnt_lo_u32_b32 v214, v90, 0
	v_cmp_ne_u32_e64 s15, 0, v90
	s_delay_alu instid0(VALU_DEP_3) | instskip(NEXT) | instid1(VALU_DEP_3)
	v_add_nc_u32_e32 v216, v148, v91
	v_cmp_eq_u32_e32 vcc_lo, 0, v214
	s_and_b32 s16, s15, vcc_lo
	s_delay_alu instid0(SALU_CYCLE_1)
	s_and_saveexec_b32 s15, s16
	s_cbranch_execz .LBB730_758
; %bb.757:                              ;   in Loop: Header=BB730_690 Depth=2
	s_wait_dscnt 0x0
	v_bcnt_u32_b32 v90, v90, v213
	ds_store_b32 v216, v90 offset:1056
.LBB730_758:                            ;   in Loop: Header=BB730_690 Depth=2
	s_or_b32 exec_lo, exec_lo, s15
	; wave barrier
	s_wait_dscnt 0x0
	s_barrier_signal -1
	s_barrier_wait -1
	ds_load_2addr_b32 v[96:97], v168 offset1:1
	ds_load_2addr_b32 v[94:95], v169 offset1:1
	;; [unrolled: 1-line block ×4, first 2 shown]
	ds_load_b32 v217, v120 offset:1088
	s_wait_dscnt 0x3
	v_add3_u32 v218, v97, v96, v94
	s_wait_dscnt 0x2
	s_delay_alu instid0(VALU_DEP_1) | instskip(SKIP_1) | instid1(VALU_DEP_1)
	v_add3_u32 v218, v218, v95, v92
	s_wait_dscnt 0x1
	v_add3_u32 v218, v218, v93, v90
	s_wait_dscnt 0x0
	s_delay_alu instid0(VALU_DEP_1) | instskip(NEXT) | instid1(VALU_DEP_1)
	v_add3_u32 v217, v218, v91, v217
	v_mov_b32_dpp v218, v217 row_shr:1 row_mask:0xf bank_mask:0xf
	s_delay_alu instid0(VALU_DEP_1) | instskip(NEXT) | instid1(VALU_DEP_1)
	v_cndmask_b32_e64 v218, v218, 0, s7
	v_add_nc_u32_e32 v217, v218, v217
	s_delay_alu instid0(VALU_DEP_1) | instskip(NEXT) | instid1(VALU_DEP_1)
	v_mov_b32_dpp v218, v217 row_shr:2 row_mask:0xf bank_mask:0xf
	v_cndmask_b32_e64 v218, 0, v218, s8
	s_delay_alu instid0(VALU_DEP_1) | instskip(NEXT) | instid1(VALU_DEP_1)
	v_add_nc_u32_e32 v217, v217, v218
	v_mov_b32_dpp v218, v217 row_shr:4 row_mask:0xf bank_mask:0xf
	s_delay_alu instid0(VALU_DEP_1) | instskip(NEXT) | instid1(VALU_DEP_1)
	v_cndmask_b32_e64 v218, 0, v218, s9
	v_add_nc_u32_e32 v217, v217, v218
	s_delay_alu instid0(VALU_DEP_1) | instskip(NEXT) | instid1(VALU_DEP_1)
	v_mov_b32_dpp v218, v217 row_shr:8 row_mask:0xf bank_mask:0xf
	v_cndmask_b32_e64 v218, 0, v218, s10
	s_delay_alu instid0(VALU_DEP_1) | instskip(SKIP_3) | instid1(VALU_DEP_1)
	v_add_nc_u32_e32 v217, v217, v218
	ds_swizzle_b32 v218, v217 offset:swizzle(BROADCAST,32,15)
	s_wait_dscnt 0x0
	v_cndmask_b32_e64 v218, v218, 0, s11
	v_add_nc_u32_e32 v217, v217, v218
	s_and_saveexec_b32 s15, s1
; %bb.759:                              ;   in Loop: Header=BB730_690 Depth=2
	ds_store_b32 v114, v217 offset:1024
; %bb.760:                              ;   in Loop: Header=BB730_690 Depth=2
	s_or_b32 exec_lo, exec_lo, s15
	s_wait_dscnt 0x0
	s_barrier_signal -1
	s_barrier_wait -1
	s_and_saveexec_b32 s15, s4
	s_cbranch_execz .LBB730_762
; %bb.761:                              ;   in Loop: Header=BB730_690 Depth=2
	ds_load_b32 v218, v122 offset:1024
	s_wait_dscnt 0x0
	v_mov_b32_dpp v219, v218 row_shr:1 row_mask:0xf bank_mask:0xf
	s_delay_alu instid0(VALU_DEP_1) | instskip(NEXT) | instid1(VALU_DEP_1)
	v_cndmask_b32_e64 v219, v219, 0, s12
	v_add_nc_u32_e32 v218, v219, v218
	s_delay_alu instid0(VALU_DEP_1) | instskip(NEXT) | instid1(VALU_DEP_1)
	v_mov_b32_dpp v219, v218 row_shr:2 row_mask:0xf bank_mask:0xf
	v_cndmask_b32_e64 v219, 0, v219, s13
	s_delay_alu instid0(VALU_DEP_1) | instskip(NEXT) | instid1(VALU_DEP_1)
	v_add_nc_u32_e32 v218, v218, v219
	v_mov_b32_dpp v219, v218 row_shr:4 row_mask:0xf bank_mask:0xf
	s_delay_alu instid0(VALU_DEP_1) | instskip(NEXT) | instid1(VALU_DEP_1)
	v_cndmask_b32_e64 v219, 0, v219, s14
	v_add_nc_u32_e32 v218, v218, v219
	ds_store_b32 v122, v218 offset:1024
.LBB730_762:                            ;   in Loop: Header=BB730_690 Depth=2
	s_or_b32 exec_lo, exec_lo, s15
	v_mov_b32_e32 v218, 0
	s_wait_dscnt 0x0
	s_barrier_signal -1
	s_barrier_wait -1
	s_and_saveexec_b32 s15, s5
; %bb.763:                              ;   in Loop: Header=BB730_690 Depth=2
	ds_load_b32 v218, v114 offset:1020
; %bb.764:                              ;   in Loop: Header=BB730_690 Depth=2
	s_or_b32 exec_lo, exec_lo, s15
	s_wait_dscnt 0x0
	v_add_nc_u32_e32 v217, v218, v217
	ds_bpermute_b32 v217, v147, v217
	s_wait_dscnt 0x0
	v_cndmask_b32_e64 v217, v217, v218, s6
	s_delay_alu instid0(VALU_DEP_1) | instskip(NEXT) | instid1(VALU_DEP_1)
	v_cndmask_b32_e64 v217, v217, 0, s2
	v_add_nc_u32_e32 v96, v217, v96
	s_delay_alu instid0(VALU_DEP_1) | instskip(NEXT) | instid1(VALU_DEP_1)
	v_add_nc_u32_e32 v97, v96, v97
	v_add_nc_u32_e32 v94, v97, v94
	s_delay_alu instid0(VALU_DEP_1) | instskip(NEXT) | instid1(VALU_DEP_1)
	v_add_nc_u32_e32 v95, v94, v95
	;; [unrolled: 3-line block ×3, first 2 shown]
	v_add_nc_u32_e32 v90, v93, v90
	s_delay_alu instid0(VALU_DEP_1)
	v_add_nc_u32_e32 v91, v90, v91
	ds_store_2addr_b32 v167, v93, v90 offset1:1
	ds_store_2addr_b32 v168, v217, v96 offset1:1
	;; [unrolled: 1-line block ×4, first 2 shown]
	ds_store_b32 v120, v91 offset:1088
	s_wait_dscnt 0x0
	s_barrier_signal -1
	s_barrier_wait -1
	ds_load_b32 v91, v171 offset:1056
	ds_load_b32 v218, v174 offset:1056
	;; [unrolled: 1-line block ×17, first 2 shown]
	v_mov_b32_e32 v90, 0x1000
	s_and_saveexec_b32 s15, s3
; %bb.765:                              ;   in Loop: Header=BB730_690 Depth=2
	ds_load_b32 v90, v120 offset:1092
; %bb.766:                              ;   in Loop: Header=BB730_690 Depth=2
	s_or_b32 exec_lo, exec_lo, s15
	s_wait_dscnt 0x0
	s_barrier_signal -1
	s_barrier_wait -1
	s_and_saveexec_b32 s15, s0
	s_cbranch_execz .LBB730_768
; %bb.767:                              ;   in Loop: Header=BB730_690 Depth=2
	ds_load_b32 v183, v3
	s_wait_dscnt 0x0
	v_sub_nc_u32_e32 v180, v183, v180
	ds_store_b32 v3, v180
.LBB730_768:                            ;   in Loop: Header=BB730_690 Depth=2
	s_or_b32 exec_lo, exec_lo, s15
	v_dual_lshlrev_b32 v166, 3, v166 :: v_dual_lshlrev_b32 v173, 3, v173
	v_dual_lshlrev_b32 v172, 3, v172 :: v_dual_lshlrev_b32 v180, 3, v218
	v_lshlrev_b32_e32 v176, 3, v176
	s_delay_alu instid0(VALU_DEP_3)
	v_lshl_add_u32 v91, v91, 3, v166
	v_dual_lshlrev_b32 v166, 3, v175 :: v_dual_lshlrev_b32 v175, 3, v217
	v_dual_lshlrev_b32 v179, 3, v179 :: v_dual_lshlrev_b32 v178, 3, v178
	v_dual_lshlrev_b32 v181, 3, v181 :: v_dual_lshlrev_b32 v94, 3, v94
	v_dual_lshlrev_b32 v93, 3, v93 :: v_dual_lshlrev_b32 v182, 3, v182
	v_dual_lshlrev_b32 v183, 3, v185 :: v_dual_lshlrev_b32 v184, 3, v184
	v_lshlrev_b32_e32 v185, 3, v92
	ds_store_b64 v91, v[60:61] offset:1024
	v_add3_u32 v60, v173, v172, v180
	v_add3_u32 v61, v176, v166, v175
	v_add3_u32 v92, v179, v178, v94
	v_add3_u32 v93, v182, v181, v93
	v_add3_u32 v94, v183, v184, v185
	ds_store_b64 v60, v[62:63] offset:1024
	ds_store_b64 v61, v[64:65] offset:1024
	;; [unrolled: 1-line block ×5, first 2 shown]
	v_dual_lshlrev_b32 v62, 3, v188 :: v_dual_lshlrev_b32 v65, 3, v191
	v_dual_lshlrev_b32 v63, 3, v187 :: v_dual_lshlrev_b32 v64, 3, v177
	;; [unrolled: 1-line block ×7, first 2 shown]
	v_lshlrev_b32_e32 v169, 3, v169
	v_add3_u32 v62, v62, v63, v64
	v_add3_u32 v63, v65, v70, v71
	;; [unrolled: 1-line block ×4, first 2 shown]
	v_lshlrev_b32_e32 v71, 3, v203
	v_add3_u32 v70, v171, v172, v169
	ds_store_b64 v62, v[82:83] offset:1024
	ds_store_b64 v63, v[86:87] offset:1024
	;; [unrolled: 1-line block ×5, first 2 shown]
	v_dual_lshlrev_b32 v74, 3, v201 :: v_dual_lshlrev_b32 v75, 3, v168
	v_dual_lshlrev_b32 v78, 3, v206 :: v_dual_lshlrev_b32 v79, 3, v204
	;; [unrolled: 1-line block ×7, first 2 shown]
	v_add3_u32 v71, v71, v74, v75
	v_add3_u32 v74, v78, v79, v80
	;; [unrolled: 1-line block ×5, first 2 shown]
	v_cmp_lt_u32_e32 vcc_lo, v2, v165
	ds_store_b64 v71, v[76:77] offset:1024
	ds_store_b64 v74, v[72:73] offset:1024
	;; [unrolled: 1-line block ×5, first 2 shown]
	s_wait_dscnt 0x0
	s_barrier_signal -1
	s_barrier_wait -1
	s_and_saveexec_b32 s15, vcc_lo
	s_cbranch_execnz .LBB730_837
; %bb.769:                              ;   in Loop: Header=BB730_690 Depth=2
	s_or_b32 exec_lo, exec_lo, s15
	v_cmp_lt_u32_e64 s15, v98, v165
	s_and_saveexec_b32 s16, s15
	s_cbranch_execnz .LBB730_838
.LBB730_770:                            ;   in Loop: Header=BB730_690 Depth=2
	s_or_b32 exec_lo, exec_lo, s16
	v_cmp_lt_u32_e64 s16, v99, v165
	s_and_saveexec_b32 s17, s16
	s_cbranch_execnz .LBB730_839
.LBB730_771:                            ;   in Loop: Header=BB730_690 Depth=2
	s_or_b32 exec_lo, exec_lo, s17
	v_cmp_lt_u32_e64 s17, v100, v165
	s_and_saveexec_b32 s18, s17
	s_cbranch_execnz .LBB730_840
.LBB730_772:                            ;   in Loop: Header=BB730_690 Depth=2
	s_or_b32 exec_lo, exec_lo, s18
	v_cmp_lt_u32_e64 s18, v101, v165
	s_and_saveexec_b32 s19, s18
	s_cbranch_execnz .LBB730_841
.LBB730_773:                            ;   in Loop: Header=BB730_690 Depth=2
	s_or_b32 exec_lo, exec_lo, s19
	v_cmp_lt_u32_e64 s19, v102, v165
	s_and_saveexec_b32 s20, s19
	s_cbranch_execnz .LBB730_842
.LBB730_774:                            ;   in Loop: Header=BB730_690 Depth=2
	s_or_b32 exec_lo, exec_lo, s20
	v_cmp_lt_u32_e64 s20, v103, v165
	s_and_saveexec_b32 s21, s20
	s_cbranch_execnz .LBB730_843
.LBB730_775:                            ;   in Loop: Header=BB730_690 Depth=2
	s_or_b32 exec_lo, exec_lo, s21
	v_cmp_lt_u32_e64 s21, v104, v165
	s_and_saveexec_b32 s22, s21
	s_cbranch_execnz .LBB730_844
.LBB730_776:                            ;   in Loop: Header=BB730_690 Depth=2
	s_or_b32 exec_lo, exec_lo, s22
	v_cmp_lt_u32_e64 s22, v105, v165
	s_and_saveexec_b32 s23, s22
	s_cbranch_execnz .LBB730_845
.LBB730_777:                            ;   in Loop: Header=BB730_690 Depth=2
	s_or_b32 exec_lo, exec_lo, s23
	v_cmp_lt_u32_e64 s23, v106, v165
	s_and_saveexec_b32 s24, s23
	s_cbranch_execnz .LBB730_846
.LBB730_778:                            ;   in Loop: Header=BB730_690 Depth=2
	s_or_b32 exec_lo, exec_lo, s24
	v_cmp_lt_u32_e64 s24, v107, v165
	s_and_saveexec_b32 s25, s24
	s_cbranch_execnz .LBB730_847
.LBB730_779:                            ;   in Loop: Header=BB730_690 Depth=2
	s_or_b32 exec_lo, exec_lo, s25
	v_cmp_lt_u32_e64 s25, v108, v165
	s_and_saveexec_b32 s26, s25
	s_cbranch_execnz .LBB730_848
.LBB730_780:                            ;   in Loop: Header=BB730_690 Depth=2
	s_or_b32 exec_lo, exec_lo, s26
	v_cmp_lt_u32_e64 s26, v109, v165
	s_and_saveexec_b32 s27, s26
	s_cbranch_execnz .LBB730_849
.LBB730_781:                            ;   in Loop: Header=BB730_690 Depth=2
	s_or_b32 exec_lo, exec_lo, s27
	v_cmp_lt_u32_e64 s27, v110, v165
	s_and_saveexec_b32 s28, s27
	s_cbranch_execnz .LBB730_850
.LBB730_782:                            ;   in Loop: Header=BB730_690 Depth=2
	s_or_b32 exec_lo, exec_lo, s28
	v_cmp_lt_u32_e64 s28, v111, v165
	s_and_saveexec_b32 s29, s28
	s_cbranch_execnz .LBB730_851
.LBB730_783:                            ;   in Loop: Header=BB730_690 Depth=2
	s_or_b32 exec_lo, exec_lo, s29
	v_cmp_lt_u32_e64 s29, v112, v165
	s_and_saveexec_b32 s58, s29
	s_cbranch_execz .LBB730_785
.LBB730_784:                            ;   in Loop: Header=BB730_690 Depth=2
	ds_load_b64 v[58:59], v123 offset:31744
	s_wait_dscnt 0x0
	v_lshrrev_b64 v[66:67], s43, v[58:59]
	v_xor_b32_e32 v59, 0x7fffffff, v59
	v_not_b32_e32 v58, v58
	s_delay_alu instid0(VALU_DEP_3) | instskip(NEXT) | instid1(VALU_DEP_1)
	v_and_b32_e32 v66, s55, v66
	v_lshlrev_b32_e32 v66, 2, v66
	ds_load_b32 v66, v66
	s_wait_dscnt 0x0
	v_add_nc_u32_e32 v66, v66, v112
	global_store_b64 v66, v[58:59], s[38:39] scale_offset
.LBB730_785:                            ;   in Loop: Header=BB730_690 Depth=2
	s_wait_xcnt 0x0
	s_or_b32 exec_lo, exec_lo, s58
	v_lshl_add_u64 v[58:59], s[30:31], 3, v[22:23]
	v_cmp_lt_u32_e64 s30, v129, v165
	s_and_saveexec_b32 s58, s30
	s_delay_alu instid0(SALU_CYCLE_1)
	s_xor_b32 s30, exec_lo, s58
	s_cbranch_execnz .LBB730_852
; %bb.786:                              ;   in Loop: Header=BB730_690 Depth=2
	s_or_b32 exec_lo, exec_lo, s30
	s_delay_alu instid0(SALU_CYCLE_1)
	s_mov_b32 s58, exec_lo
	v_cmpx_lt_u32_e64 v132, v165
	s_cbranch_execnz .LBB730_853
.LBB730_787:                            ;   in Loop: Header=BB730_690 Depth=2
	s_or_b32 exec_lo, exec_lo, s58
	s_delay_alu instid0(SALU_CYCLE_1)
	s_mov_b32 s58, exec_lo
	v_cmpx_lt_u32_e64 v133, v165
	s_cbranch_execnz .LBB730_854
.LBB730_788:                            ;   in Loop: Header=BB730_690 Depth=2
	s_or_b32 exec_lo, exec_lo, s58
	s_delay_alu instid0(SALU_CYCLE_1)
	s_mov_b32 s58, exec_lo
	v_cmpx_lt_u32_e64 v134, v165
	s_cbranch_execnz .LBB730_855
.LBB730_789:                            ;   in Loop: Header=BB730_690 Depth=2
	s_or_b32 exec_lo, exec_lo, s58
	s_delay_alu instid0(SALU_CYCLE_1)
	s_mov_b32 s58, exec_lo
	v_cmpx_lt_u32_e64 v135, v165
	s_cbranch_execnz .LBB730_856
.LBB730_790:                            ;   in Loop: Header=BB730_690 Depth=2
	s_or_b32 exec_lo, exec_lo, s58
	s_delay_alu instid0(SALU_CYCLE_1)
	s_mov_b32 s58, exec_lo
	v_cmpx_lt_u32_e64 v136, v165
	s_cbranch_execnz .LBB730_857
.LBB730_791:                            ;   in Loop: Header=BB730_690 Depth=2
	s_or_b32 exec_lo, exec_lo, s58
	s_delay_alu instid0(SALU_CYCLE_1)
	s_mov_b32 s58, exec_lo
	v_cmpx_lt_u32_e64 v137, v165
	s_cbranch_execnz .LBB730_858
.LBB730_792:                            ;   in Loop: Header=BB730_690 Depth=2
	s_or_b32 exec_lo, exec_lo, s58
	s_delay_alu instid0(SALU_CYCLE_1)
	s_mov_b32 s58, exec_lo
	v_cmpx_lt_u32_e64 v138, v165
	s_cbranch_execnz .LBB730_859
.LBB730_793:                            ;   in Loop: Header=BB730_690 Depth=2
	s_or_b32 exec_lo, exec_lo, s58
	s_delay_alu instid0(SALU_CYCLE_1)
	s_mov_b32 s58, exec_lo
	v_cmpx_lt_u32_e64 v139, v165
	s_cbranch_execnz .LBB730_860
.LBB730_794:                            ;   in Loop: Header=BB730_690 Depth=2
	s_or_b32 exec_lo, exec_lo, s58
	s_delay_alu instid0(SALU_CYCLE_1)
	s_mov_b32 s58, exec_lo
	v_cmpx_lt_u32_e64 v140, v165
	s_cbranch_execnz .LBB730_861
.LBB730_795:                            ;   in Loop: Header=BB730_690 Depth=2
	s_or_b32 exec_lo, exec_lo, s58
	s_delay_alu instid0(SALU_CYCLE_1)
	s_mov_b32 s58, exec_lo
	v_cmpx_lt_u32_e64 v141, v165
	s_cbranch_execnz .LBB730_862
.LBB730_796:                            ;   in Loop: Header=BB730_690 Depth=2
	s_or_b32 exec_lo, exec_lo, s58
	s_delay_alu instid0(SALU_CYCLE_1)
	s_mov_b32 s58, exec_lo
	v_cmpx_lt_u32_e64 v142, v165
	s_cbranch_execnz .LBB730_863
.LBB730_797:                            ;   in Loop: Header=BB730_690 Depth=2
	s_or_b32 exec_lo, exec_lo, s58
	s_delay_alu instid0(SALU_CYCLE_1)
	s_mov_b32 s58, exec_lo
	v_cmpx_lt_u32_e64 v143, v165
	s_cbranch_execnz .LBB730_864
.LBB730_798:                            ;   in Loop: Header=BB730_690 Depth=2
	s_or_b32 exec_lo, exec_lo, s58
	s_delay_alu instid0(SALU_CYCLE_1)
	s_mov_b32 s58, exec_lo
	v_cmpx_lt_u32_e64 v144, v165
	s_cbranch_execnz .LBB730_865
.LBB730_799:                            ;   in Loop: Header=BB730_690 Depth=2
	s_or_b32 exec_lo, exec_lo, s58
	s_delay_alu instid0(SALU_CYCLE_1)
	s_mov_b32 s58, exec_lo
	v_cmpx_lt_u32_e64 v145, v165
	s_cbranch_execnz .LBB730_866
.LBB730_800:                            ;   in Loop: Header=BB730_690 Depth=2
	s_or_b32 exec_lo, exec_lo, s58
	s_delay_alu instid0(SALU_CYCLE_1)
	s_mov_b32 s58, exec_lo
	v_cmpx_lt_u32_e64 v146, v165
	s_cbranch_execnz .LBB730_867
.LBB730_801:                            ;   in Loop: Header=BB730_690 Depth=2
	s_or_b32 exec_lo, exec_lo, s58
	s_and_saveexec_b32 s30, vcc_lo
	s_cbranch_execnz .LBB730_868
.LBB730_802:                            ;   in Loop: Header=BB730_690 Depth=2
	s_or_b32 exec_lo, exec_lo, s30
	s_and_saveexec_b32 s30, s15
	s_cbranch_execnz .LBB730_869
.LBB730_803:                            ;   in Loop: Header=BB730_690 Depth=2
	s_or_b32 exec_lo, exec_lo, s30
	s_and_saveexec_b32 s30, s16
	s_cbranch_execnz .LBB730_870
.LBB730_804:                            ;   in Loop: Header=BB730_690 Depth=2
	s_or_b32 exec_lo, exec_lo, s30
	s_and_saveexec_b32 s30, s17
	s_cbranch_execnz .LBB730_871
.LBB730_805:                            ;   in Loop: Header=BB730_690 Depth=2
	s_or_b32 exec_lo, exec_lo, s30
	s_and_saveexec_b32 s30, s18
	s_cbranch_execnz .LBB730_872
.LBB730_806:                            ;   in Loop: Header=BB730_690 Depth=2
	s_or_b32 exec_lo, exec_lo, s30
	s_and_saveexec_b32 s30, s19
	s_cbranch_execnz .LBB730_873
.LBB730_807:                            ;   in Loop: Header=BB730_690 Depth=2
	s_or_b32 exec_lo, exec_lo, s30
	s_and_saveexec_b32 s30, s20
	s_cbranch_execnz .LBB730_874
.LBB730_808:                            ;   in Loop: Header=BB730_690 Depth=2
	s_or_b32 exec_lo, exec_lo, s30
	s_and_saveexec_b32 s30, s21
	s_cbranch_execnz .LBB730_875
.LBB730_809:                            ;   in Loop: Header=BB730_690 Depth=2
	s_or_b32 exec_lo, exec_lo, s30
	s_and_saveexec_b32 s30, s22
	s_cbranch_execnz .LBB730_876
.LBB730_810:                            ;   in Loop: Header=BB730_690 Depth=2
	s_or_b32 exec_lo, exec_lo, s30
	s_and_saveexec_b32 s30, s23
	s_cbranch_execnz .LBB730_877
.LBB730_811:                            ;   in Loop: Header=BB730_690 Depth=2
	s_or_b32 exec_lo, exec_lo, s30
	s_and_saveexec_b32 s30, s24
	s_cbranch_execnz .LBB730_878
.LBB730_812:                            ;   in Loop: Header=BB730_690 Depth=2
	s_or_b32 exec_lo, exec_lo, s30
	s_and_saveexec_b32 s30, s25
	s_cbranch_execnz .LBB730_879
.LBB730_813:                            ;   in Loop: Header=BB730_690 Depth=2
	s_or_b32 exec_lo, exec_lo, s30
	s_and_saveexec_b32 s30, s26
	s_cbranch_execnz .LBB730_880
.LBB730_814:                            ;   in Loop: Header=BB730_690 Depth=2
	s_or_b32 exec_lo, exec_lo, s30
	s_and_saveexec_b32 s30, s27
	s_cbranch_execnz .LBB730_881
.LBB730_815:                            ;   in Loop: Header=BB730_690 Depth=2
	s_or_b32 exec_lo, exec_lo, s30
	s_and_saveexec_b32 s30, s28
	s_cbranch_execnz .LBB730_882
.LBB730_816:                            ;   in Loop: Header=BB730_690 Depth=2
	s_or_b32 exec_lo, exec_lo, s30
	s_and_saveexec_b32 s30, s29
	s_cbranch_execz .LBB730_818
.LBB730_817:                            ;   in Loop: Header=BB730_690 Depth=2
	ds_load_b64 v[58:59], v123 offset:31744
	s_wait_dscnt 0x0
	v_lshrrev_b64 v[58:59], s43, v[58:59]
	s_delay_alu instid0(VALU_DEP_1)
	v_and_b32_e32 v149, s55, v58
.LBB730_818:                            ;   in Loop: Header=BB730_690 Depth=2
	s_or_b32 exec_lo, exec_lo, s30
	s_wait_loadcnt 0x0
	s_wait_storecnt 0x0
	s_barrier_signal -1
	s_barrier_wait -1
	ds_store_b64 v91, v[56:57] offset:1024
	ds_store_b64 v60, v[54:55] offset:1024
	ds_store_b64 v61, v[52:53] offset:1024
	ds_store_b64 v92, v[50:51] offset:1024
	ds_store_b64 v93, v[48:49] offset:1024
	ds_store_b64 v94, v[46:47] offset:1024
	ds_store_b64 v62, v[44:45] offset:1024
	ds_store_b64 v63, v[42:43] offset:1024
	ds_store_b64 v64, v[40:41] offset:1024
	ds_store_b64 v65, v[38:39] offset:1024
	ds_store_b64 v70, v[36:37] offset:1024
	ds_store_b64 v71, v[34:35] offset:1024
	ds_store_b64 v74, v[32:33] offset:1024
	ds_store_b64 v75, v[30:31] offset:1024
	ds_store_b64 v78, v[28:29] offset:1024
	ds_store_b64 v79, v[26:27] offset:1024
	s_wait_dscnt 0x0
	s_barrier_signal -1
	s_barrier_wait -1
	s_and_saveexec_b32 s30, vcc_lo
	s_cbranch_execnz .LBB730_883
; %bb.819:                              ;   in Loop: Header=BB730_690 Depth=2
	s_or_b32 exec_lo, exec_lo, s30
	s_and_saveexec_b32 s30, s15
	s_cbranch_execnz .LBB730_884
.LBB730_820:                            ;   in Loop: Header=BB730_690 Depth=2
	s_or_b32 exec_lo, exec_lo, s30
	s_and_saveexec_b32 s15, s16
	s_cbranch_execnz .LBB730_885
.LBB730_821:                            ;   in Loop: Header=BB730_690 Depth=2
	s_or_b32 exec_lo, exec_lo, s15
	s_and_saveexec_b32 s15, s17
	s_cbranch_execnz .LBB730_886
.LBB730_822:                            ;   in Loop: Header=BB730_690 Depth=2
	s_or_b32 exec_lo, exec_lo, s15
	s_and_saveexec_b32 s15, s18
	s_cbranch_execnz .LBB730_887
.LBB730_823:                            ;   in Loop: Header=BB730_690 Depth=2
	s_or_b32 exec_lo, exec_lo, s15
	s_and_saveexec_b32 s15, s19
	s_cbranch_execnz .LBB730_888
.LBB730_824:                            ;   in Loop: Header=BB730_690 Depth=2
	s_or_b32 exec_lo, exec_lo, s15
	s_and_saveexec_b32 s15, s20
	s_cbranch_execnz .LBB730_889
.LBB730_825:                            ;   in Loop: Header=BB730_690 Depth=2
	s_or_b32 exec_lo, exec_lo, s15
	s_and_saveexec_b32 s15, s21
	s_cbranch_execnz .LBB730_890
.LBB730_826:                            ;   in Loop: Header=BB730_690 Depth=2
	s_or_b32 exec_lo, exec_lo, s15
	s_and_saveexec_b32 s15, s22
	s_cbranch_execnz .LBB730_891
.LBB730_827:                            ;   in Loop: Header=BB730_690 Depth=2
	s_or_b32 exec_lo, exec_lo, s15
	s_and_saveexec_b32 s15, s23
	s_cbranch_execnz .LBB730_892
.LBB730_828:                            ;   in Loop: Header=BB730_690 Depth=2
	s_or_b32 exec_lo, exec_lo, s15
	s_and_saveexec_b32 s15, s24
	s_cbranch_execnz .LBB730_893
.LBB730_829:                            ;   in Loop: Header=BB730_690 Depth=2
	s_or_b32 exec_lo, exec_lo, s15
	s_and_saveexec_b32 s15, s25
	s_cbranch_execnz .LBB730_894
.LBB730_830:                            ;   in Loop: Header=BB730_690 Depth=2
	s_or_b32 exec_lo, exec_lo, s15
	s_and_saveexec_b32 s15, s26
	s_cbranch_execnz .LBB730_895
.LBB730_831:                            ;   in Loop: Header=BB730_690 Depth=2
	s_or_b32 exec_lo, exec_lo, s15
	s_and_saveexec_b32 s15, s27
	s_cbranch_execnz .LBB730_896
.LBB730_832:                            ;   in Loop: Header=BB730_690 Depth=2
	s_or_b32 exec_lo, exec_lo, s15
	s_and_saveexec_b32 s15, s28
	s_cbranch_execnz .LBB730_897
.LBB730_833:                            ;   in Loop: Header=BB730_690 Depth=2
	s_or_b32 exec_lo, exec_lo, s15
	s_and_saveexec_b32 s15, s29
	s_cbranch_execz .LBB730_835
.LBB730_834:                            ;   in Loop: Header=BB730_690 Depth=2
	v_lshlrev_b32_e32 v58, 2, v149
	ds_load_b32 v60, v58
	ds_load_b64 v[58:59], v123 offset:31744
	s_wait_dscnt 0x1
	v_add_nc_u32_e32 v60, v60, v112
	s_wait_dscnt 0x0
	global_store_b64 v60, v[58:59], s[44:45] scale_offset
.LBB730_835:                            ;   in Loop: Header=BB730_690 Depth=2
	s_wait_xcnt 0x0
	s_or_b32 exec_lo, exec_lo, s15
	s_wait_storecnt 0x0
	s_barrier_signal -1
	s_barrier_wait -1
	s_and_saveexec_b32 s15, s0
	s_cbranch_execz .LBB730_689
; %bb.836:                              ;   in Loop: Header=BB730_690 Depth=2
	ds_load_b32 v58, v3
	s_wait_dscnt 0x0
	v_add_nc_u32_e32 v58, v58, v90
	ds_store_b32 v3, v58
	s_branch .LBB730_689
.LBB730_837:                            ;   in Loop: Header=BB730_690 Depth=2
	ds_load_b64 v[58:59], v123 offset:1024
	s_wait_dscnt 0x0
	v_lshrrev_b64 v[66:67], s43, v[58:59]
	v_xor_b32_e32 v59, 0x7fffffff, v59
	v_not_b32_e32 v58, v58
	s_delay_alu instid0(VALU_DEP_3) | instskip(NEXT) | instid1(VALU_DEP_1)
	v_and_b32_e32 v66, s55, v66
	v_lshlrev_b32_e32 v66, 2, v66
	ds_load_b32 v66, v66
	s_wait_dscnt 0x0
	v_add_nc_u32_e32 v66, v66, v2
	global_store_b64 v66, v[58:59], s[38:39] scale_offset
	s_wait_xcnt 0x0
	s_or_b32 exec_lo, exec_lo, s15
	v_cmp_lt_u32_e64 s15, v98, v165
	s_and_saveexec_b32 s16, s15
	s_cbranch_execz .LBB730_770
.LBB730_838:                            ;   in Loop: Header=BB730_690 Depth=2
	ds_load_b64 v[58:59], v123 offset:3072
	s_wait_dscnt 0x0
	v_lshrrev_b64 v[66:67], s43, v[58:59]
	v_xor_b32_e32 v59, 0x7fffffff, v59
	v_not_b32_e32 v58, v58
	s_delay_alu instid0(VALU_DEP_3) | instskip(NEXT) | instid1(VALU_DEP_1)
	v_and_b32_e32 v66, s55, v66
	v_lshlrev_b32_e32 v66, 2, v66
	ds_load_b32 v66, v66
	s_wait_dscnt 0x0
	v_add_nc_u32_e32 v66, v66, v98
	global_store_b64 v66, v[58:59], s[38:39] scale_offset
	s_wait_xcnt 0x0
	s_or_b32 exec_lo, exec_lo, s16
	v_cmp_lt_u32_e64 s16, v99, v165
	s_and_saveexec_b32 s17, s16
	s_cbranch_execz .LBB730_771
.LBB730_839:                            ;   in Loop: Header=BB730_690 Depth=2
	ds_load_b64 v[58:59], v123 offset:5120
	s_wait_dscnt 0x0
	v_lshrrev_b64 v[66:67], s43, v[58:59]
	v_xor_b32_e32 v59, 0x7fffffff, v59
	v_not_b32_e32 v58, v58
	s_delay_alu instid0(VALU_DEP_3) | instskip(NEXT) | instid1(VALU_DEP_1)
	v_and_b32_e32 v66, s55, v66
	v_lshlrev_b32_e32 v66, 2, v66
	ds_load_b32 v66, v66
	s_wait_dscnt 0x0
	v_add_nc_u32_e32 v66, v66, v99
	global_store_b64 v66, v[58:59], s[38:39] scale_offset
	s_wait_xcnt 0x0
	s_or_b32 exec_lo, exec_lo, s17
	v_cmp_lt_u32_e64 s17, v100, v165
	s_and_saveexec_b32 s18, s17
	s_cbranch_execz .LBB730_772
.LBB730_840:                            ;   in Loop: Header=BB730_690 Depth=2
	ds_load_b64 v[58:59], v123 offset:7168
	s_wait_dscnt 0x0
	v_lshrrev_b64 v[66:67], s43, v[58:59]
	v_xor_b32_e32 v59, 0x7fffffff, v59
	v_not_b32_e32 v58, v58
	s_delay_alu instid0(VALU_DEP_3) | instskip(NEXT) | instid1(VALU_DEP_1)
	v_and_b32_e32 v66, s55, v66
	v_lshlrev_b32_e32 v66, 2, v66
	ds_load_b32 v66, v66
	s_wait_dscnt 0x0
	v_add_nc_u32_e32 v66, v66, v100
	global_store_b64 v66, v[58:59], s[38:39] scale_offset
	s_wait_xcnt 0x0
	s_or_b32 exec_lo, exec_lo, s18
	v_cmp_lt_u32_e64 s18, v101, v165
	s_and_saveexec_b32 s19, s18
	s_cbranch_execz .LBB730_773
.LBB730_841:                            ;   in Loop: Header=BB730_690 Depth=2
	ds_load_b64 v[58:59], v123 offset:9216
	s_wait_dscnt 0x0
	v_lshrrev_b64 v[66:67], s43, v[58:59]
	v_xor_b32_e32 v59, 0x7fffffff, v59
	v_not_b32_e32 v58, v58
	s_delay_alu instid0(VALU_DEP_3) | instskip(NEXT) | instid1(VALU_DEP_1)
	v_and_b32_e32 v66, s55, v66
	v_lshlrev_b32_e32 v66, 2, v66
	ds_load_b32 v66, v66
	s_wait_dscnt 0x0
	v_add_nc_u32_e32 v66, v66, v101
	global_store_b64 v66, v[58:59], s[38:39] scale_offset
	s_wait_xcnt 0x0
	s_or_b32 exec_lo, exec_lo, s19
	v_cmp_lt_u32_e64 s19, v102, v165
	s_and_saveexec_b32 s20, s19
	s_cbranch_execz .LBB730_774
.LBB730_842:                            ;   in Loop: Header=BB730_690 Depth=2
	ds_load_b64 v[58:59], v123 offset:11264
	s_wait_dscnt 0x0
	v_lshrrev_b64 v[66:67], s43, v[58:59]
	v_xor_b32_e32 v59, 0x7fffffff, v59
	v_not_b32_e32 v58, v58
	s_delay_alu instid0(VALU_DEP_3) | instskip(NEXT) | instid1(VALU_DEP_1)
	v_and_b32_e32 v66, s55, v66
	v_lshlrev_b32_e32 v66, 2, v66
	ds_load_b32 v66, v66
	s_wait_dscnt 0x0
	v_add_nc_u32_e32 v66, v66, v102
	global_store_b64 v66, v[58:59], s[38:39] scale_offset
	s_wait_xcnt 0x0
	s_or_b32 exec_lo, exec_lo, s20
	v_cmp_lt_u32_e64 s20, v103, v165
	s_and_saveexec_b32 s21, s20
	s_cbranch_execz .LBB730_775
.LBB730_843:                            ;   in Loop: Header=BB730_690 Depth=2
	ds_load_b64 v[58:59], v123 offset:13312
	s_wait_dscnt 0x0
	v_lshrrev_b64 v[66:67], s43, v[58:59]
	v_xor_b32_e32 v59, 0x7fffffff, v59
	v_not_b32_e32 v58, v58
	s_delay_alu instid0(VALU_DEP_3) | instskip(NEXT) | instid1(VALU_DEP_1)
	v_and_b32_e32 v66, s55, v66
	v_lshlrev_b32_e32 v66, 2, v66
	ds_load_b32 v66, v66
	s_wait_dscnt 0x0
	v_add_nc_u32_e32 v66, v66, v103
	global_store_b64 v66, v[58:59], s[38:39] scale_offset
	s_wait_xcnt 0x0
	s_or_b32 exec_lo, exec_lo, s21
	v_cmp_lt_u32_e64 s21, v104, v165
	s_and_saveexec_b32 s22, s21
	s_cbranch_execz .LBB730_776
.LBB730_844:                            ;   in Loop: Header=BB730_690 Depth=2
	ds_load_b64 v[58:59], v123 offset:15360
	s_wait_dscnt 0x0
	v_lshrrev_b64 v[66:67], s43, v[58:59]
	v_xor_b32_e32 v59, 0x7fffffff, v59
	v_not_b32_e32 v58, v58
	s_delay_alu instid0(VALU_DEP_3) | instskip(NEXT) | instid1(VALU_DEP_1)
	v_and_b32_e32 v66, s55, v66
	v_lshlrev_b32_e32 v66, 2, v66
	ds_load_b32 v66, v66
	s_wait_dscnt 0x0
	v_add_nc_u32_e32 v66, v66, v104
	global_store_b64 v66, v[58:59], s[38:39] scale_offset
	s_wait_xcnt 0x0
	s_or_b32 exec_lo, exec_lo, s22
	v_cmp_lt_u32_e64 s22, v105, v165
	s_and_saveexec_b32 s23, s22
	s_cbranch_execz .LBB730_777
.LBB730_845:                            ;   in Loop: Header=BB730_690 Depth=2
	ds_load_b64 v[58:59], v123 offset:17408
	s_wait_dscnt 0x0
	v_lshrrev_b64 v[66:67], s43, v[58:59]
	v_xor_b32_e32 v59, 0x7fffffff, v59
	v_not_b32_e32 v58, v58
	s_delay_alu instid0(VALU_DEP_3) | instskip(NEXT) | instid1(VALU_DEP_1)
	v_and_b32_e32 v66, s55, v66
	v_lshlrev_b32_e32 v66, 2, v66
	ds_load_b32 v66, v66
	s_wait_dscnt 0x0
	v_add_nc_u32_e32 v66, v66, v105
	global_store_b64 v66, v[58:59], s[38:39] scale_offset
	s_wait_xcnt 0x0
	s_or_b32 exec_lo, exec_lo, s23
	v_cmp_lt_u32_e64 s23, v106, v165
	s_and_saveexec_b32 s24, s23
	s_cbranch_execz .LBB730_778
.LBB730_846:                            ;   in Loop: Header=BB730_690 Depth=2
	ds_load_b64 v[58:59], v123 offset:19456
	s_wait_dscnt 0x0
	v_lshrrev_b64 v[66:67], s43, v[58:59]
	v_xor_b32_e32 v59, 0x7fffffff, v59
	v_not_b32_e32 v58, v58
	s_delay_alu instid0(VALU_DEP_3) | instskip(NEXT) | instid1(VALU_DEP_1)
	v_and_b32_e32 v66, s55, v66
	v_lshlrev_b32_e32 v66, 2, v66
	ds_load_b32 v66, v66
	s_wait_dscnt 0x0
	v_add_nc_u32_e32 v66, v66, v106
	global_store_b64 v66, v[58:59], s[38:39] scale_offset
	s_wait_xcnt 0x0
	s_or_b32 exec_lo, exec_lo, s24
	v_cmp_lt_u32_e64 s24, v107, v165
	s_and_saveexec_b32 s25, s24
	s_cbranch_execz .LBB730_779
.LBB730_847:                            ;   in Loop: Header=BB730_690 Depth=2
	ds_load_b64 v[58:59], v123 offset:21504
	s_wait_dscnt 0x0
	v_lshrrev_b64 v[66:67], s43, v[58:59]
	v_xor_b32_e32 v59, 0x7fffffff, v59
	v_not_b32_e32 v58, v58
	s_delay_alu instid0(VALU_DEP_3) | instskip(NEXT) | instid1(VALU_DEP_1)
	v_and_b32_e32 v66, s55, v66
	v_lshlrev_b32_e32 v66, 2, v66
	ds_load_b32 v66, v66
	s_wait_dscnt 0x0
	v_add_nc_u32_e32 v66, v66, v107
	global_store_b64 v66, v[58:59], s[38:39] scale_offset
	s_wait_xcnt 0x0
	s_or_b32 exec_lo, exec_lo, s25
	v_cmp_lt_u32_e64 s25, v108, v165
	s_and_saveexec_b32 s26, s25
	s_cbranch_execz .LBB730_780
.LBB730_848:                            ;   in Loop: Header=BB730_690 Depth=2
	ds_load_b64 v[58:59], v123 offset:23552
	s_wait_dscnt 0x0
	v_lshrrev_b64 v[66:67], s43, v[58:59]
	v_xor_b32_e32 v59, 0x7fffffff, v59
	v_not_b32_e32 v58, v58
	s_delay_alu instid0(VALU_DEP_3) | instskip(NEXT) | instid1(VALU_DEP_1)
	v_and_b32_e32 v66, s55, v66
	v_lshlrev_b32_e32 v66, 2, v66
	ds_load_b32 v66, v66
	s_wait_dscnt 0x0
	v_add_nc_u32_e32 v66, v66, v108
	global_store_b64 v66, v[58:59], s[38:39] scale_offset
	s_wait_xcnt 0x0
	s_or_b32 exec_lo, exec_lo, s26
	v_cmp_lt_u32_e64 s26, v109, v165
	s_and_saveexec_b32 s27, s26
	s_cbranch_execz .LBB730_781
.LBB730_849:                            ;   in Loop: Header=BB730_690 Depth=2
	ds_load_b64 v[58:59], v123 offset:25600
	s_wait_dscnt 0x0
	v_lshrrev_b64 v[66:67], s43, v[58:59]
	v_xor_b32_e32 v59, 0x7fffffff, v59
	v_not_b32_e32 v58, v58
	s_delay_alu instid0(VALU_DEP_3) | instskip(NEXT) | instid1(VALU_DEP_1)
	v_and_b32_e32 v66, s55, v66
	v_lshlrev_b32_e32 v66, 2, v66
	ds_load_b32 v66, v66
	s_wait_dscnt 0x0
	v_add_nc_u32_e32 v66, v66, v109
	global_store_b64 v66, v[58:59], s[38:39] scale_offset
	s_wait_xcnt 0x0
	s_or_b32 exec_lo, exec_lo, s27
	v_cmp_lt_u32_e64 s27, v110, v165
	s_and_saveexec_b32 s28, s27
	s_cbranch_execz .LBB730_782
.LBB730_850:                            ;   in Loop: Header=BB730_690 Depth=2
	ds_load_b64 v[58:59], v123 offset:27648
	s_wait_dscnt 0x0
	v_lshrrev_b64 v[66:67], s43, v[58:59]
	v_xor_b32_e32 v59, 0x7fffffff, v59
	v_not_b32_e32 v58, v58
	s_delay_alu instid0(VALU_DEP_3) | instskip(NEXT) | instid1(VALU_DEP_1)
	v_and_b32_e32 v66, s55, v66
	v_lshlrev_b32_e32 v66, 2, v66
	ds_load_b32 v66, v66
	s_wait_dscnt 0x0
	v_add_nc_u32_e32 v66, v66, v110
	global_store_b64 v66, v[58:59], s[38:39] scale_offset
	s_wait_xcnt 0x0
	s_or_b32 exec_lo, exec_lo, s28
	v_cmp_lt_u32_e64 s28, v111, v165
	s_and_saveexec_b32 s29, s28
	s_cbranch_execz .LBB730_783
.LBB730_851:                            ;   in Loop: Header=BB730_690 Depth=2
	ds_load_b64 v[58:59], v123 offset:29696
	s_wait_dscnt 0x0
	v_lshrrev_b64 v[66:67], s43, v[58:59]
	v_xor_b32_e32 v59, 0x7fffffff, v59
	v_not_b32_e32 v58, v58
	s_delay_alu instid0(VALU_DEP_3) | instskip(NEXT) | instid1(VALU_DEP_1)
	v_and_b32_e32 v66, s55, v66
	v_lshlrev_b32_e32 v66, 2, v66
	ds_load_b32 v66, v66
	s_wait_dscnt 0x0
	v_add_nc_u32_e32 v66, v66, v111
	global_store_b64 v66, v[58:59], s[38:39] scale_offset
	s_wait_xcnt 0x0
	s_or_b32 exec_lo, exec_lo, s29
	v_cmp_lt_u32_e64 s29, v112, v165
	s_and_saveexec_b32 s58, s29
	s_cbranch_execnz .LBB730_784
	s_branch .LBB730_785
.LBB730_852:                            ;   in Loop: Header=BB730_690 Depth=2
	global_load_b64 v[56:57], v[58:59], off
	s_wait_xcnt 0x0
	s_or_b32 exec_lo, exec_lo, s30
	s_delay_alu instid0(SALU_CYCLE_1)
	s_mov_b32 s58, exec_lo
	v_cmpx_lt_u32_e64 v132, v165
	s_cbranch_execz .LBB730_787
.LBB730_853:                            ;   in Loop: Header=BB730_690 Depth=2
	global_load_b64 v[54:55], v[58:59], off offset:256
	s_wait_xcnt 0x0
	s_or_b32 exec_lo, exec_lo, s58
	s_delay_alu instid0(SALU_CYCLE_1)
	s_mov_b32 s58, exec_lo
	v_cmpx_lt_u32_e64 v133, v165
	s_cbranch_execz .LBB730_788
.LBB730_854:                            ;   in Loop: Header=BB730_690 Depth=2
	global_load_b64 v[52:53], v[58:59], off offset:512
	s_wait_xcnt 0x0
	s_or_b32 exec_lo, exec_lo, s58
	s_delay_alu instid0(SALU_CYCLE_1)
	s_mov_b32 s58, exec_lo
	v_cmpx_lt_u32_e64 v134, v165
	s_cbranch_execz .LBB730_789
.LBB730_855:                            ;   in Loop: Header=BB730_690 Depth=2
	global_load_b64 v[50:51], v[58:59], off offset:768
	s_wait_xcnt 0x0
	s_or_b32 exec_lo, exec_lo, s58
	s_delay_alu instid0(SALU_CYCLE_1)
	s_mov_b32 s58, exec_lo
	v_cmpx_lt_u32_e64 v135, v165
	s_cbranch_execz .LBB730_790
.LBB730_856:                            ;   in Loop: Header=BB730_690 Depth=2
	global_load_b64 v[48:49], v[58:59], off offset:1024
	s_wait_xcnt 0x0
	s_or_b32 exec_lo, exec_lo, s58
	s_delay_alu instid0(SALU_CYCLE_1)
	s_mov_b32 s58, exec_lo
	v_cmpx_lt_u32_e64 v136, v165
	s_cbranch_execz .LBB730_791
.LBB730_857:                            ;   in Loop: Header=BB730_690 Depth=2
	global_load_b64 v[46:47], v[58:59], off offset:1280
	s_wait_xcnt 0x0
	s_or_b32 exec_lo, exec_lo, s58
	s_delay_alu instid0(SALU_CYCLE_1)
	s_mov_b32 s58, exec_lo
	v_cmpx_lt_u32_e64 v137, v165
	s_cbranch_execz .LBB730_792
.LBB730_858:                            ;   in Loop: Header=BB730_690 Depth=2
	global_load_b64 v[44:45], v[58:59], off offset:1536
	s_wait_xcnt 0x0
	s_or_b32 exec_lo, exec_lo, s58
	s_delay_alu instid0(SALU_CYCLE_1)
	s_mov_b32 s58, exec_lo
	v_cmpx_lt_u32_e64 v138, v165
	s_cbranch_execz .LBB730_793
.LBB730_859:                            ;   in Loop: Header=BB730_690 Depth=2
	global_load_b64 v[42:43], v[58:59], off offset:1792
	s_wait_xcnt 0x0
	s_or_b32 exec_lo, exec_lo, s58
	s_delay_alu instid0(SALU_CYCLE_1)
	s_mov_b32 s58, exec_lo
	v_cmpx_lt_u32_e64 v139, v165
	s_cbranch_execz .LBB730_794
.LBB730_860:                            ;   in Loop: Header=BB730_690 Depth=2
	global_load_b64 v[40:41], v[58:59], off offset:2048
	s_wait_xcnt 0x0
	s_or_b32 exec_lo, exec_lo, s58
	s_delay_alu instid0(SALU_CYCLE_1)
	s_mov_b32 s58, exec_lo
	v_cmpx_lt_u32_e64 v140, v165
	s_cbranch_execz .LBB730_795
.LBB730_861:                            ;   in Loop: Header=BB730_690 Depth=2
	global_load_b64 v[38:39], v[58:59], off offset:2304
	s_wait_xcnt 0x0
	s_or_b32 exec_lo, exec_lo, s58
	s_delay_alu instid0(SALU_CYCLE_1)
	s_mov_b32 s58, exec_lo
	v_cmpx_lt_u32_e64 v141, v165
	s_cbranch_execz .LBB730_796
.LBB730_862:                            ;   in Loop: Header=BB730_690 Depth=2
	global_load_b64 v[36:37], v[58:59], off offset:2560
	s_wait_xcnt 0x0
	s_or_b32 exec_lo, exec_lo, s58
	s_delay_alu instid0(SALU_CYCLE_1)
	s_mov_b32 s58, exec_lo
	v_cmpx_lt_u32_e64 v142, v165
	s_cbranch_execz .LBB730_797
.LBB730_863:                            ;   in Loop: Header=BB730_690 Depth=2
	global_load_b64 v[34:35], v[58:59], off offset:2816
	s_wait_xcnt 0x0
	s_or_b32 exec_lo, exec_lo, s58
	s_delay_alu instid0(SALU_CYCLE_1)
	s_mov_b32 s58, exec_lo
	v_cmpx_lt_u32_e64 v143, v165
	s_cbranch_execz .LBB730_798
.LBB730_864:                            ;   in Loop: Header=BB730_690 Depth=2
	global_load_b64 v[32:33], v[58:59], off offset:3072
	s_wait_xcnt 0x0
	s_or_b32 exec_lo, exec_lo, s58
	s_delay_alu instid0(SALU_CYCLE_1)
	s_mov_b32 s58, exec_lo
	v_cmpx_lt_u32_e64 v144, v165
	s_cbranch_execz .LBB730_799
.LBB730_865:                            ;   in Loop: Header=BB730_690 Depth=2
	global_load_b64 v[30:31], v[58:59], off offset:3328
	s_wait_xcnt 0x0
	s_or_b32 exec_lo, exec_lo, s58
	s_delay_alu instid0(SALU_CYCLE_1)
	s_mov_b32 s58, exec_lo
	v_cmpx_lt_u32_e64 v145, v165
	s_cbranch_execz .LBB730_800
.LBB730_866:                            ;   in Loop: Header=BB730_690 Depth=2
	global_load_b64 v[28:29], v[58:59], off offset:3584
	s_wait_xcnt 0x0
	s_or_b32 exec_lo, exec_lo, s58
	s_delay_alu instid0(SALU_CYCLE_1)
	s_mov_b32 s58, exec_lo
	v_cmpx_lt_u32_e64 v146, v165
	s_cbranch_execz .LBB730_801
.LBB730_867:                            ;   in Loop: Header=BB730_690 Depth=2
	global_load_b64 v[26:27], v[58:59], off offset:3840
	s_wait_xcnt 0x0
	s_or_b32 exec_lo, exec_lo, s58
	s_and_saveexec_b32 s30, vcc_lo
	s_cbranch_execz .LBB730_802
.LBB730_868:                            ;   in Loop: Header=BB730_690 Depth=2
	ds_load_b64 v[58:59], v123 offset:1024
	s_wait_dscnt 0x0
	v_lshrrev_b64 v[58:59], s43, v[58:59]
	s_delay_alu instid0(VALU_DEP_1)
	v_and_b32_e32 v164, s55, v58
	s_or_b32 exec_lo, exec_lo, s30
	s_and_saveexec_b32 s30, s15
	s_cbranch_execz .LBB730_803
.LBB730_869:                            ;   in Loop: Header=BB730_690 Depth=2
	ds_load_b64 v[58:59], v123 offset:3072
	s_wait_dscnt 0x0
	v_lshrrev_b64 v[58:59], s43, v[58:59]
	s_delay_alu instid0(VALU_DEP_1)
	v_and_b32_e32 v163, s55, v58
	s_or_b32 exec_lo, exec_lo, s30
	s_and_saveexec_b32 s30, s16
	s_cbranch_execz .LBB730_804
.LBB730_870:                            ;   in Loop: Header=BB730_690 Depth=2
	ds_load_b64 v[58:59], v123 offset:5120
	s_wait_dscnt 0x0
	v_lshrrev_b64 v[58:59], s43, v[58:59]
	s_delay_alu instid0(VALU_DEP_1)
	v_and_b32_e32 v162, s55, v58
	s_or_b32 exec_lo, exec_lo, s30
	s_and_saveexec_b32 s30, s17
	s_cbranch_execz .LBB730_805
.LBB730_871:                            ;   in Loop: Header=BB730_690 Depth=2
	ds_load_b64 v[58:59], v123 offset:7168
	s_wait_dscnt 0x0
	v_lshrrev_b64 v[58:59], s43, v[58:59]
	s_delay_alu instid0(VALU_DEP_1)
	v_and_b32_e32 v161, s55, v58
	s_or_b32 exec_lo, exec_lo, s30
	s_and_saveexec_b32 s30, s18
	s_cbranch_execz .LBB730_806
.LBB730_872:                            ;   in Loop: Header=BB730_690 Depth=2
	ds_load_b64 v[58:59], v123 offset:9216
	s_wait_dscnt 0x0
	v_lshrrev_b64 v[58:59], s43, v[58:59]
	s_delay_alu instid0(VALU_DEP_1)
	v_and_b32_e32 v160, s55, v58
	s_or_b32 exec_lo, exec_lo, s30
	s_and_saveexec_b32 s30, s19
	s_cbranch_execz .LBB730_807
.LBB730_873:                            ;   in Loop: Header=BB730_690 Depth=2
	ds_load_b64 v[58:59], v123 offset:11264
	s_wait_dscnt 0x0
	v_lshrrev_b64 v[58:59], s43, v[58:59]
	s_delay_alu instid0(VALU_DEP_1)
	v_and_b32_e32 v159, s55, v58
	s_or_b32 exec_lo, exec_lo, s30
	s_and_saveexec_b32 s30, s20
	s_cbranch_execz .LBB730_808
.LBB730_874:                            ;   in Loop: Header=BB730_690 Depth=2
	ds_load_b64 v[58:59], v123 offset:13312
	s_wait_dscnt 0x0
	v_lshrrev_b64 v[58:59], s43, v[58:59]
	s_delay_alu instid0(VALU_DEP_1)
	v_and_b32_e32 v158, s55, v58
	s_or_b32 exec_lo, exec_lo, s30
	s_and_saveexec_b32 s30, s21
	s_cbranch_execz .LBB730_809
.LBB730_875:                            ;   in Loop: Header=BB730_690 Depth=2
	ds_load_b64 v[58:59], v123 offset:15360
	s_wait_dscnt 0x0
	v_lshrrev_b64 v[58:59], s43, v[58:59]
	s_delay_alu instid0(VALU_DEP_1)
	v_and_b32_e32 v157, s55, v58
	s_or_b32 exec_lo, exec_lo, s30
	s_and_saveexec_b32 s30, s22
	s_cbranch_execz .LBB730_810
.LBB730_876:                            ;   in Loop: Header=BB730_690 Depth=2
	ds_load_b64 v[58:59], v123 offset:17408
	s_wait_dscnt 0x0
	v_lshrrev_b64 v[58:59], s43, v[58:59]
	s_delay_alu instid0(VALU_DEP_1)
	v_and_b32_e32 v156, s55, v58
	s_or_b32 exec_lo, exec_lo, s30
	s_and_saveexec_b32 s30, s23
	s_cbranch_execz .LBB730_811
.LBB730_877:                            ;   in Loop: Header=BB730_690 Depth=2
	ds_load_b64 v[58:59], v123 offset:19456
	s_wait_dscnt 0x0
	v_lshrrev_b64 v[58:59], s43, v[58:59]
	s_delay_alu instid0(VALU_DEP_1)
	v_and_b32_e32 v155, s55, v58
	s_or_b32 exec_lo, exec_lo, s30
	s_and_saveexec_b32 s30, s24
	s_cbranch_execz .LBB730_812
.LBB730_878:                            ;   in Loop: Header=BB730_690 Depth=2
	ds_load_b64 v[58:59], v123 offset:21504
	s_wait_dscnt 0x0
	v_lshrrev_b64 v[58:59], s43, v[58:59]
	s_delay_alu instid0(VALU_DEP_1)
	v_and_b32_e32 v154, s55, v58
	s_or_b32 exec_lo, exec_lo, s30
	s_and_saveexec_b32 s30, s25
	s_cbranch_execz .LBB730_813
.LBB730_879:                            ;   in Loop: Header=BB730_690 Depth=2
	ds_load_b64 v[58:59], v123 offset:23552
	s_wait_dscnt 0x0
	v_lshrrev_b64 v[58:59], s43, v[58:59]
	s_delay_alu instid0(VALU_DEP_1)
	v_and_b32_e32 v153, s55, v58
	s_or_b32 exec_lo, exec_lo, s30
	s_and_saveexec_b32 s30, s26
	s_cbranch_execz .LBB730_814
.LBB730_880:                            ;   in Loop: Header=BB730_690 Depth=2
	ds_load_b64 v[58:59], v123 offset:25600
	s_wait_dscnt 0x0
	v_lshrrev_b64 v[58:59], s43, v[58:59]
	s_delay_alu instid0(VALU_DEP_1)
	v_and_b32_e32 v152, s55, v58
	s_or_b32 exec_lo, exec_lo, s30
	s_and_saveexec_b32 s30, s27
	s_cbranch_execz .LBB730_815
.LBB730_881:                            ;   in Loop: Header=BB730_690 Depth=2
	ds_load_b64 v[58:59], v123 offset:27648
	s_wait_dscnt 0x0
	v_lshrrev_b64 v[58:59], s43, v[58:59]
	s_delay_alu instid0(VALU_DEP_1)
	v_and_b32_e32 v151, s55, v58
	s_or_b32 exec_lo, exec_lo, s30
	s_and_saveexec_b32 s30, s28
	s_cbranch_execz .LBB730_816
.LBB730_882:                            ;   in Loop: Header=BB730_690 Depth=2
	ds_load_b64 v[58:59], v123 offset:29696
	s_wait_dscnt 0x0
	v_lshrrev_b64 v[58:59], s43, v[58:59]
	s_delay_alu instid0(VALU_DEP_1)
	v_and_b32_e32 v150, s55, v58
	s_or_b32 exec_lo, exec_lo, s30
	s_and_saveexec_b32 s30, s29
	s_cbranch_execnz .LBB730_817
	s_branch .LBB730_818
.LBB730_883:                            ;   in Loop: Header=BB730_690 Depth=2
	v_lshlrev_b32_e32 v58, 2, v164
	ds_load_b32 v60, v58
	ds_load_b64 v[58:59], v123 offset:1024
	s_wait_dscnt 0x1
	v_add_nc_u32_e32 v60, v60, v2
	s_wait_dscnt 0x0
	global_store_b64 v60, v[58:59], s[44:45] scale_offset
	s_wait_xcnt 0x0
	s_or_b32 exec_lo, exec_lo, s30
	s_and_saveexec_b32 s30, s15
	s_cbranch_execz .LBB730_820
.LBB730_884:                            ;   in Loop: Header=BB730_690 Depth=2
	v_lshlrev_b32_e32 v58, 2, v163
	ds_load_b32 v60, v58
	ds_load_b64 v[58:59], v123 offset:3072
	s_wait_dscnt 0x1
	v_add_nc_u32_e32 v60, v60, v98
	s_wait_dscnt 0x0
	global_store_b64 v60, v[58:59], s[44:45] scale_offset
	s_wait_xcnt 0x0
	s_or_b32 exec_lo, exec_lo, s30
	s_and_saveexec_b32 s15, s16
	s_cbranch_execz .LBB730_821
.LBB730_885:                            ;   in Loop: Header=BB730_690 Depth=2
	v_lshlrev_b32_e32 v58, 2, v162
	ds_load_b32 v60, v58
	ds_load_b64 v[58:59], v123 offset:5120
	s_wait_dscnt 0x1
	v_add_nc_u32_e32 v60, v60, v99
	s_wait_dscnt 0x0
	global_store_b64 v60, v[58:59], s[44:45] scale_offset
	s_wait_xcnt 0x0
	s_or_b32 exec_lo, exec_lo, s15
	s_and_saveexec_b32 s15, s17
	s_cbranch_execz .LBB730_822
.LBB730_886:                            ;   in Loop: Header=BB730_690 Depth=2
	v_lshlrev_b32_e32 v58, 2, v161
	ds_load_b32 v60, v58
	ds_load_b64 v[58:59], v123 offset:7168
	s_wait_dscnt 0x1
	v_add_nc_u32_e32 v60, v60, v100
	s_wait_dscnt 0x0
	global_store_b64 v60, v[58:59], s[44:45] scale_offset
	s_wait_xcnt 0x0
	s_or_b32 exec_lo, exec_lo, s15
	s_and_saveexec_b32 s15, s18
	s_cbranch_execz .LBB730_823
.LBB730_887:                            ;   in Loop: Header=BB730_690 Depth=2
	v_lshlrev_b32_e32 v58, 2, v160
	ds_load_b32 v60, v58
	ds_load_b64 v[58:59], v123 offset:9216
	s_wait_dscnt 0x1
	v_add_nc_u32_e32 v60, v60, v101
	s_wait_dscnt 0x0
	global_store_b64 v60, v[58:59], s[44:45] scale_offset
	s_wait_xcnt 0x0
	s_or_b32 exec_lo, exec_lo, s15
	s_and_saveexec_b32 s15, s19
	s_cbranch_execz .LBB730_824
.LBB730_888:                            ;   in Loop: Header=BB730_690 Depth=2
	v_lshlrev_b32_e32 v58, 2, v159
	ds_load_b32 v60, v58
	ds_load_b64 v[58:59], v123 offset:11264
	s_wait_dscnt 0x1
	v_add_nc_u32_e32 v60, v60, v102
	s_wait_dscnt 0x0
	global_store_b64 v60, v[58:59], s[44:45] scale_offset
	s_wait_xcnt 0x0
	s_or_b32 exec_lo, exec_lo, s15
	s_and_saveexec_b32 s15, s20
	s_cbranch_execz .LBB730_825
.LBB730_889:                            ;   in Loop: Header=BB730_690 Depth=2
	v_lshlrev_b32_e32 v58, 2, v158
	ds_load_b32 v60, v58
	ds_load_b64 v[58:59], v123 offset:13312
	s_wait_dscnt 0x1
	v_add_nc_u32_e32 v60, v60, v103
	s_wait_dscnt 0x0
	global_store_b64 v60, v[58:59], s[44:45] scale_offset
	s_wait_xcnt 0x0
	s_or_b32 exec_lo, exec_lo, s15
	s_and_saveexec_b32 s15, s21
	s_cbranch_execz .LBB730_826
.LBB730_890:                            ;   in Loop: Header=BB730_690 Depth=2
	v_lshlrev_b32_e32 v58, 2, v157
	ds_load_b32 v60, v58
	ds_load_b64 v[58:59], v123 offset:15360
	s_wait_dscnt 0x1
	v_add_nc_u32_e32 v60, v60, v104
	s_wait_dscnt 0x0
	global_store_b64 v60, v[58:59], s[44:45] scale_offset
	s_wait_xcnt 0x0
	s_or_b32 exec_lo, exec_lo, s15
	s_and_saveexec_b32 s15, s22
	s_cbranch_execz .LBB730_827
.LBB730_891:                            ;   in Loop: Header=BB730_690 Depth=2
	v_lshlrev_b32_e32 v58, 2, v156
	ds_load_b32 v60, v58
	ds_load_b64 v[58:59], v123 offset:17408
	s_wait_dscnt 0x1
	v_add_nc_u32_e32 v60, v60, v105
	s_wait_dscnt 0x0
	global_store_b64 v60, v[58:59], s[44:45] scale_offset
	s_wait_xcnt 0x0
	s_or_b32 exec_lo, exec_lo, s15
	s_and_saveexec_b32 s15, s23
	s_cbranch_execz .LBB730_828
.LBB730_892:                            ;   in Loop: Header=BB730_690 Depth=2
	v_lshlrev_b32_e32 v58, 2, v155
	ds_load_b32 v60, v58
	ds_load_b64 v[58:59], v123 offset:19456
	s_wait_dscnt 0x1
	v_add_nc_u32_e32 v60, v60, v106
	s_wait_dscnt 0x0
	global_store_b64 v60, v[58:59], s[44:45] scale_offset
	s_wait_xcnt 0x0
	s_or_b32 exec_lo, exec_lo, s15
	s_and_saveexec_b32 s15, s24
	s_cbranch_execz .LBB730_829
.LBB730_893:                            ;   in Loop: Header=BB730_690 Depth=2
	v_lshlrev_b32_e32 v58, 2, v154
	ds_load_b32 v60, v58
	ds_load_b64 v[58:59], v123 offset:21504
	s_wait_dscnt 0x1
	v_add_nc_u32_e32 v60, v60, v107
	s_wait_dscnt 0x0
	global_store_b64 v60, v[58:59], s[44:45] scale_offset
	s_wait_xcnt 0x0
	s_or_b32 exec_lo, exec_lo, s15
	s_and_saveexec_b32 s15, s25
	s_cbranch_execz .LBB730_830
.LBB730_894:                            ;   in Loop: Header=BB730_690 Depth=2
	v_lshlrev_b32_e32 v58, 2, v153
	ds_load_b32 v60, v58
	ds_load_b64 v[58:59], v123 offset:23552
	s_wait_dscnt 0x1
	v_add_nc_u32_e32 v60, v60, v108
	s_wait_dscnt 0x0
	global_store_b64 v60, v[58:59], s[44:45] scale_offset
	s_wait_xcnt 0x0
	s_or_b32 exec_lo, exec_lo, s15
	s_and_saveexec_b32 s15, s26
	s_cbranch_execz .LBB730_831
.LBB730_895:                            ;   in Loop: Header=BB730_690 Depth=2
	v_lshlrev_b32_e32 v58, 2, v152
	ds_load_b32 v60, v58
	ds_load_b64 v[58:59], v123 offset:25600
	s_wait_dscnt 0x1
	v_add_nc_u32_e32 v60, v60, v109
	s_wait_dscnt 0x0
	global_store_b64 v60, v[58:59], s[44:45] scale_offset
	s_wait_xcnt 0x0
	s_or_b32 exec_lo, exec_lo, s15
	s_and_saveexec_b32 s15, s27
	s_cbranch_execz .LBB730_832
.LBB730_896:                            ;   in Loop: Header=BB730_690 Depth=2
	v_lshlrev_b32_e32 v58, 2, v151
	ds_load_b32 v60, v58
	ds_load_b64 v[58:59], v123 offset:27648
	s_wait_dscnt 0x1
	v_add_nc_u32_e32 v60, v60, v110
	s_wait_dscnt 0x0
	global_store_b64 v60, v[58:59], s[44:45] scale_offset
	s_wait_xcnt 0x0
	s_or_b32 exec_lo, exec_lo, s15
	s_and_saveexec_b32 s15, s28
	s_cbranch_execz .LBB730_833
.LBB730_897:                            ;   in Loop: Header=BB730_690 Depth=2
	v_lshlrev_b32_e32 v58, 2, v150
	ds_load_b32 v60, v58
	ds_load_b64 v[58:59], v123 offset:29696
	s_wait_dscnt 0x1
	v_add_nc_u32_e32 v60, v60, v111
	s_wait_dscnt 0x0
	global_store_b64 v60, v[58:59], s[44:45] scale_offset
	s_wait_xcnt 0x0
	s_or_b32 exec_lo, exec_lo, s15
	s_and_saveexec_b32 s15, s29
	s_cbranch_execnz .LBB730_834
	s_branch .LBB730_835
.LBB730_898:                            ;   in Loop: Header=BB730_20 Depth=1
	s_wait_dscnt 0x0
	s_barrier_signal -1
	s_mov_b32 s7, 0
	s_barrier_wait -1
.LBB730_899:                            ;   in Loop: Header=BB730_20 Depth=1
	s_and_b32 vcc_lo, exec_lo, s7
	s_cbranch_vccz .LBB730_19
; %bb.900:                              ;   in Loop: Header=BB730_20 Depth=1
	s_mov_b32 s7, s54
	s_mov_b32 s30, s52
	s_barrier_signal -1
	s_barrier_wait -1
                                        ; implicit-def: $vgpr22_vgpr23
                                        ; implicit-def: $vgpr24_vgpr25
                                        ; implicit-def: $vgpr26_vgpr27
                                        ; implicit-def: $vgpr28_vgpr29
                                        ; implicit-def: $vgpr30_vgpr31
                                        ; implicit-def: $vgpr32_vgpr33
                                        ; implicit-def: $vgpr34_vgpr35
                                        ; implicit-def: $vgpr36_vgpr37
                                        ; implicit-def: $vgpr38_vgpr39
                                        ; implicit-def: $vgpr40_vgpr41
                                        ; implicit-def: $vgpr42_vgpr43
                                        ; implicit-def: $vgpr44_vgpr45
                                        ; implicit-def: $vgpr46_vgpr47
                                        ; implicit-def: $vgpr48_vgpr49
                                        ; implicit-def: $vgpr50_vgpr51
                                        ; implicit-def: $vgpr52_vgpr53
	s_branch .LBB730_902
.LBB730_901:                            ;   in Loop: Header=BB730_902 Depth=2
	s_or_b32 exec_lo, exec_lo, s8
	s_addk_co_i32 s7, 0xf000
	s_cmp_ge_u32 s10, s51
	s_mov_b32 s30, s10
	s_cbranch_scc1 .LBB730_970
.LBB730_902:                            ;   Parent Loop BB730_20 Depth=1
                                        ; =>  This Inner Loop Header: Depth=2
	s_add_co_i32 s10, s30, 0x1000
	s_mov_b32 s8, -1
	s_cmp_gt_u32 s10, s51
                                        ; implicit-def: $vgpr54_vgpr55
                                        ; implicit-def: $vgpr56_vgpr57
                                        ; implicit-def: $vgpr58_vgpr59
                                        ; implicit-def: $vgpr60_vgpr61
                                        ; implicit-def: $vgpr62_vgpr63
                                        ; implicit-def: $vgpr64_vgpr65
                                        ; implicit-def: $vgpr66_vgpr67
                                        ; implicit-def: $vgpr68_vgpr69
                                        ; implicit-def: $vgpr70_vgpr71
                                        ; implicit-def: $vgpr72_vgpr73
                                        ; implicit-def: $vgpr74_vgpr75
                                        ; implicit-def: $vgpr76_vgpr77
                                        ; implicit-def: $vgpr78_vgpr79
                                        ; implicit-def: $vgpr80_vgpr81
                                        ; implicit-def: $vgpr82_vgpr83
                                        ; implicit-def: $vgpr84_vgpr85
	s_cbranch_scc1 .LBB730_904
; %bb.903:                              ;   in Loop: Header=BB730_902 Depth=2
	v_lshl_add_u64 v[84:85], s[30:31], 3, v[16:17]
	s_mov_b32 s8, 0
	s_clause 0xf
	global_load_b64 v[54:55], v[84:85], off
	global_load_b64 v[56:57], v[84:85], off offset:2048
	global_load_b64 v[58:59], v[84:85], off offset:4096
	;; [unrolled: 1-line block ×15, first 2 shown]
.LBB730_904:                            ;   in Loop: Header=BB730_902 Depth=2
	s_and_not1_b32 vcc_lo, exec_lo, s8
	s_movk_i32 s8, 0x1000
	s_cbranch_vccnz .LBB730_923
; %bb.905:                              ;   in Loop: Header=BB730_902 Depth=2
	s_lshl_b64 s[8:9], s[30:31], 3
	s_mov_b32 s11, exec_lo
	s_add_nc_u64 s[8:9], s[36:37], s[8:9]
	s_wait_xcnt 0x0
	v_cmpx_gt_u32_e64 s7, v2
	s_cbranch_execnz .LBB730_955
; %bb.906:                              ;   in Loop: Header=BB730_902 Depth=2
	s_or_b32 exec_lo, exec_lo, s11
	s_delay_alu instid0(SALU_CYCLE_1)
	s_mov_b32 s11, exec_lo
	v_cmpx_gt_u32_e64 s7, v98
	s_cbranch_execnz .LBB730_956
.LBB730_907:                            ;   in Loop: Header=BB730_902 Depth=2
	s_or_b32 exec_lo, exec_lo, s11
	s_delay_alu instid0(SALU_CYCLE_1)
	s_mov_b32 s11, exec_lo
	v_cmpx_gt_u32_e64 s7, v99
	s_cbranch_execnz .LBB730_957
.LBB730_908:                            ;   in Loop: Header=BB730_902 Depth=2
	s_or_b32 exec_lo, exec_lo, s11
	s_delay_alu instid0(SALU_CYCLE_1)
	s_mov_b32 s11, exec_lo
	v_cmpx_gt_u32_e64 s7, v100
	s_cbranch_execnz .LBB730_958
.LBB730_909:                            ;   in Loop: Header=BB730_902 Depth=2
	s_or_b32 exec_lo, exec_lo, s11
	s_delay_alu instid0(SALU_CYCLE_1)
	s_mov_b32 s11, exec_lo
	v_cmpx_gt_u32_e64 s7, v101
	s_cbranch_execnz .LBB730_959
.LBB730_910:                            ;   in Loop: Header=BB730_902 Depth=2
	s_or_b32 exec_lo, exec_lo, s11
	s_delay_alu instid0(SALU_CYCLE_1)
	s_mov_b32 s11, exec_lo
	v_cmpx_gt_u32_e64 s7, v102
	s_cbranch_execnz .LBB730_960
.LBB730_911:                            ;   in Loop: Header=BB730_902 Depth=2
	s_or_b32 exec_lo, exec_lo, s11
	s_delay_alu instid0(SALU_CYCLE_1)
	s_mov_b32 s11, exec_lo
	v_cmpx_gt_u32_e64 s7, v103
	s_cbranch_execnz .LBB730_961
.LBB730_912:                            ;   in Loop: Header=BB730_902 Depth=2
	s_or_b32 exec_lo, exec_lo, s11
	s_delay_alu instid0(SALU_CYCLE_1)
	s_mov_b32 s11, exec_lo
	v_cmpx_gt_u32_e64 s7, v104
	s_cbranch_execnz .LBB730_962
.LBB730_913:                            ;   in Loop: Header=BB730_902 Depth=2
	s_or_b32 exec_lo, exec_lo, s11
	s_delay_alu instid0(SALU_CYCLE_1)
	s_mov_b32 s11, exec_lo
	v_cmpx_gt_u32_e64 s7, v105
	s_cbranch_execnz .LBB730_963
.LBB730_914:                            ;   in Loop: Header=BB730_902 Depth=2
	s_or_b32 exec_lo, exec_lo, s11
	s_delay_alu instid0(SALU_CYCLE_1)
	s_mov_b32 s11, exec_lo
	v_cmpx_gt_u32_e64 s7, v106
	s_cbranch_execnz .LBB730_964
.LBB730_915:                            ;   in Loop: Header=BB730_902 Depth=2
	s_or_b32 exec_lo, exec_lo, s11
	s_delay_alu instid0(SALU_CYCLE_1)
	s_mov_b32 s11, exec_lo
	v_cmpx_gt_u32_e64 s7, v107
	s_cbranch_execnz .LBB730_965
.LBB730_916:                            ;   in Loop: Header=BB730_902 Depth=2
	s_or_b32 exec_lo, exec_lo, s11
	s_delay_alu instid0(SALU_CYCLE_1)
	s_mov_b32 s11, exec_lo
	v_cmpx_gt_u32_e64 s7, v108
	s_cbranch_execnz .LBB730_966
.LBB730_917:                            ;   in Loop: Header=BB730_902 Depth=2
	s_or_b32 exec_lo, exec_lo, s11
	s_delay_alu instid0(SALU_CYCLE_1)
	s_mov_b32 s11, exec_lo
	v_cmpx_gt_u32_e64 s7, v109
	s_cbranch_execnz .LBB730_967
.LBB730_918:                            ;   in Loop: Header=BB730_902 Depth=2
	s_or_b32 exec_lo, exec_lo, s11
	s_delay_alu instid0(SALU_CYCLE_1)
	s_mov_b32 s11, exec_lo
	v_cmpx_gt_u32_e64 s7, v110
	s_cbranch_execnz .LBB730_968
.LBB730_919:                            ;   in Loop: Header=BB730_902 Depth=2
	s_or_b32 exec_lo, exec_lo, s11
	s_delay_alu instid0(SALU_CYCLE_1)
	s_mov_b32 s11, exec_lo
	v_cmpx_gt_u32_e64 s7, v111
	s_cbranch_execnz .LBB730_969
.LBB730_920:                            ;   in Loop: Header=BB730_902 Depth=2
	s_or_b32 exec_lo, exec_lo, s11
	s_delay_alu instid0(SALU_CYCLE_1)
	s_mov_b32 s11, exec_lo
	v_cmpx_gt_u32_e64 s7, v112
	s_cbranch_execz .LBB730_922
.LBB730_921:                            ;   in Loop: Header=BB730_902 Depth=2
	global_load_b64 v[22:23], v2, s[8:9] offset:30720 scale_offset
.LBB730_922:                            ;   in Loop: Header=BB730_902 Depth=2
	s_wait_xcnt 0x0
	s_or_b32 exec_lo, exec_lo, s11
	s_wait_loadcnt 0x0
	v_mov_b64_e32 v[54:55], v[52:53]
	v_mov_b64_e32 v[56:57], v[50:51]
	v_mov_b64_e32 v[58:59], v[48:49]
	v_mov_b64_e32 v[60:61], v[46:47]
	v_mov_b64_e32 v[62:63], v[44:45]
	v_mov_b64_e32 v[64:65], v[42:43]
	v_mov_b64_e32 v[66:67], v[40:41]
	v_mov_b64_e32 v[68:69], v[38:39]
	v_mov_b64_e32 v[70:71], v[36:37]
	v_mov_b64_e32 v[72:73], v[34:35]
	v_mov_b64_e32 v[74:75], v[32:33]
	v_mov_b64_e32 v[76:77], v[30:31]
	v_mov_b64_e32 v[78:79], v[28:29]
	v_mov_b64_e32 v[80:81], v[26:27]
	v_mov_b64_e32 v[82:83], v[24:25]
	v_mov_b64_e32 v[84:85], v[22:23]
	s_mov_b32 s8, s7
.LBB730_923:                            ;   in Loop: Header=BB730_902 Depth=2
	s_wait_loadcnt 0x0
	s_delay_alu instid0(VALU_DEP_1) | instskip(NEXT) | instid1(VALU_DEP_3)
	v_mov_b64_e32 v[22:23], v[84:85]
	v_mov_b64_e32 v[24:25], v[82:83]
	;; [unrolled: 1-line block ×16, first 2 shown]
	s_mov_b32 s9, exec_lo
	s_wait_xcnt 0x0
	v_cmpx_gt_u32_e64 s8, v2
	s_cbranch_execnz .LBB730_939
; %bb.924:                              ;   in Loop: Header=BB730_902 Depth=2
	s_or_b32 exec_lo, exec_lo, s9
	s_delay_alu instid0(SALU_CYCLE_1)
	s_mov_b32 s9, exec_lo
	v_cmpx_gt_u32_e64 s8, v98
	s_cbranch_execnz .LBB730_940
.LBB730_925:                            ;   in Loop: Header=BB730_902 Depth=2
	s_or_b32 exec_lo, exec_lo, s9
	s_delay_alu instid0(SALU_CYCLE_1)
	s_mov_b32 s9, exec_lo
	v_cmpx_gt_u32_e64 s8, v99
	s_cbranch_execnz .LBB730_941
.LBB730_926:                            ;   in Loop: Header=BB730_902 Depth=2
	s_or_b32 exec_lo, exec_lo, s9
	s_delay_alu instid0(SALU_CYCLE_1)
	s_mov_b32 s9, exec_lo
	v_cmpx_gt_u32_e64 s8, v100
	s_cbranch_execnz .LBB730_942
.LBB730_927:                            ;   in Loop: Header=BB730_902 Depth=2
	s_or_b32 exec_lo, exec_lo, s9
	s_delay_alu instid0(SALU_CYCLE_1)
	s_mov_b32 s9, exec_lo
	v_cmpx_gt_u32_e64 s8, v101
	s_cbranch_execnz .LBB730_943
.LBB730_928:                            ;   in Loop: Header=BB730_902 Depth=2
	s_or_b32 exec_lo, exec_lo, s9
	s_delay_alu instid0(SALU_CYCLE_1)
	s_mov_b32 s9, exec_lo
	v_cmpx_gt_u32_e64 s8, v102
	s_cbranch_execnz .LBB730_944
.LBB730_929:                            ;   in Loop: Header=BB730_902 Depth=2
	s_or_b32 exec_lo, exec_lo, s9
	s_delay_alu instid0(SALU_CYCLE_1)
	s_mov_b32 s9, exec_lo
	v_cmpx_gt_u32_e64 s8, v103
	s_cbranch_execnz .LBB730_945
.LBB730_930:                            ;   in Loop: Header=BB730_902 Depth=2
	s_or_b32 exec_lo, exec_lo, s9
	s_delay_alu instid0(SALU_CYCLE_1)
	s_mov_b32 s9, exec_lo
	v_cmpx_gt_u32_e64 s8, v104
	s_cbranch_execnz .LBB730_946
.LBB730_931:                            ;   in Loop: Header=BB730_902 Depth=2
	s_or_b32 exec_lo, exec_lo, s9
	s_delay_alu instid0(SALU_CYCLE_1)
	s_mov_b32 s9, exec_lo
	v_cmpx_gt_u32_e64 s8, v105
	s_cbranch_execnz .LBB730_947
.LBB730_932:                            ;   in Loop: Header=BB730_902 Depth=2
	s_or_b32 exec_lo, exec_lo, s9
	s_delay_alu instid0(SALU_CYCLE_1)
	s_mov_b32 s9, exec_lo
	v_cmpx_gt_u32_e64 s8, v106
	s_cbranch_execnz .LBB730_948
.LBB730_933:                            ;   in Loop: Header=BB730_902 Depth=2
	s_or_b32 exec_lo, exec_lo, s9
	s_delay_alu instid0(SALU_CYCLE_1)
	s_mov_b32 s9, exec_lo
	v_cmpx_gt_u32_e64 s8, v107
	s_cbranch_execnz .LBB730_949
.LBB730_934:                            ;   in Loop: Header=BB730_902 Depth=2
	s_or_b32 exec_lo, exec_lo, s9
	s_delay_alu instid0(SALU_CYCLE_1)
	s_mov_b32 s9, exec_lo
	v_cmpx_gt_u32_e64 s8, v108
	s_cbranch_execnz .LBB730_950
.LBB730_935:                            ;   in Loop: Header=BB730_902 Depth=2
	s_or_b32 exec_lo, exec_lo, s9
	s_delay_alu instid0(SALU_CYCLE_1)
	s_mov_b32 s9, exec_lo
	v_cmpx_gt_u32_e64 s8, v109
	s_cbranch_execnz .LBB730_951
.LBB730_936:                            ;   in Loop: Header=BB730_902 Depth=2
	s_or_b32 exec_lo, exec_lo, s9
	s_delay_alu instid0(SALU_CYCLE_1)
	s_mov_b32 s9, exec_lo
	v_cmpx_gt_u32_e64 s8, v110
	s_cbranch_execnz .LBB730_952
.LBB730_937:                            ;   in Loop: Header=BB730_902 Depth=2
	s_or_b32 exec_lo, exec_lo, s9
	s_delay_alu instid0(SALU_CYCLE_1)
	s_mov_b32 s9, exec_lo
	v_cmpx_gt_u32_e64 s8, v111
	s_cbranch_execnz .LBB730_953
.LBB730_938:                            ;   in Loop: Header=BB730_902 Depth=2
	s_or_b32 exec_lo, exec_lo, s9
	v_cmp_gt_u32_e32 vcc_lo, s8, v112
	s_and_saveexec_b32 s8, vcc_lo
	s_cbranch_execz .LBB730_901
	s_branch .LBB730_954
.LBB730_939:                            ;   in Loop: Header=BB730_902 Depth=2
	s_delay_alu instid0(VALU_DEP_2) | instskip(NEXT) | instid1(VALU_DEP_3)
	v_xor_b32_e32 v55, 0x7fffffff, v53
	v_not_b32_e32 v54, v52
	s_delay_alu instid0(VALU_DEP_1) | instskip(NEXT) | instid1(VALU_DEP_1)
	v_lshrrev_b64 v[54:55], s43, v[54:55]
	v_and_b32_e32 v54, s55, v54
	s_delay_alu instid0(VALU_DEP_1) | instskip(SKIP_2) | instid1(SALU_CYCLE_1)
	v_lshl_or_b32 v54, v54, 4, v113
	ds_add_u32 v54, v125
	s_or_b32 exec_lo, exec_lo, s9
	s_mov_b32 s9, exec_lo
	v_cmpx_gt_u32_e64 s8, v98
	s_cbranch_execz .LBB730_925
.LBB730_940:                            ;   in Loop: Header=BB730_902 Depth=2
	v_xor_b32_e32 v55, 0x7fffffff, v51
	v_not_b32_e32 v54, v50
	s_delay_alu instid0(VALU_DEP_1) | instskip(NEXT) | instid1(VALU_DEP_1)
	v_lshrrev_b64 v[54:55], s43, v[54:55]
	v_and_b32_e32 v54, s55, v54
	s_delay_alu instid0(VALU_DEP_1) | instskip(SKIP_2) | instid1(SALU_CYCLE_1)
	v_lshl_or_b32 v54, v54, 4, v113
	ds_add_u32 v54, v125
	s_or_b32 exec_lo, exec_lo, s9
	s_mov_b32 s9, exec_lo
	v_cmpx_gt_u32_e64 s8, v99
	s_cbranch_execz .LBB730_926
.LBB730_941:                            ;   in Loop: Header=BB730_902 Depth=2
	v_xor_b32_e32 v55, 0x7fffffff, v49
	v_not_b32_e32 v54, v48
	s_delay_alu instid0(VALU_DEP_1) | instskip(NEXT) | instid1(VALU_DEP_1)
	v_lshrrev_b64 v[54:55], s43, v[54:55]
	v_and_b32_e32 v54, s55, v54
	s_delay_alu instid0(VALU_DEP_1) | instskip(SKIP_2) | instid1(SALU_CYCLE_1)
	v_lshl_or_b32 v54, v54, 4, v113
	ds_add_u32 v54, v125
	s_or_b32 exec_lo, exec_lo, s9
	s_mov_b32 s9, exec_lo
	v_cmpx_gt_u32_e64 s8, v100
	s_cbranch_execz .LBB730_927
.LBB730_942:                            ;   in Loop: Header=BB730_902 Depth=2
	v_xor_b32_e32 v55, 0x7fffffff, v47
	v_not_b32_e32 v54, v46
	s_delay_alu instid0(VALU_DEP_1) | instskip(NEXT) | instid1(VALU_DEP_1)
	v_lshrrev_b64 v[54:55], s43, v[54:55]
	v_and_b32_e32 v54, s55, v54
	s_delay_alu instid0(VALU_DEP_1) | instskip(SKIP_2) | instid1(SALU_CYCLE_1)
	v_lshl_or_b32 v54, v54, 4, v113
	ds_add_u32 v54, v125
	s_or_b32 exec_lo, exec_lo, s9
	s_mov_b32 s9, exec_lo
	v_cmpx_gt_u32_e64 s8, v101
	s_cbranch_execz .LBB730_928
.LBB730_943:                            ;   in Loop: Header=BB730_902 Depth=2
	v_xor_b32_e32 v55, 0x7fffffff, v45
	v_not_b32_e32 v54, v44
	s_delay_alu instid0(VALU_DEP_1) | instskip(NEXT) | instid1(VALU_DEP_1)
	v_lshrrev_b64 v[54:55], s43, v[54:55]
	v_and_b32_e32 v54, s55, v54
	s_delay_alu instid0(VALU_DEP_1) | instskip(SKIP_2) | instid1(SALU_CYCLE_1)
	v_lshl_or_b32 v54, v54, 4, v113
	ds_add_u32 v54, v125
	s_or_b32 exec_lo, exec_lo, s9
	s_mov_b32 s9, exec_lo
	v_cmpx_gt_u32_e64 s8, v102
	s_cbranch_execz .LBB730_929
.LBB730_944:                            ;   in Loop: Header=BB730_902 Depth=2
	v_xor_b32_e32 v55, 0x7fffffff, v43
	v_not_b32_e32 v54, v42
	s_delay_alu instid0(VALU_DEP_1) | instskip(NEXT) | instid1(VALU_DEP_1)
	v_lshrrev_b64 v[54:55], s43, v[54:55]
	v_and_b32_e32 v54, s55, v54
	s_delay_alu instid0(VALU_DEP_1) | instskip(SKIP_2) | instid1(SALU_CYCLE_1)
	v_lshl_or_b32 v54, v54, 4, v113
	ds_add_u32 v54, v125
	s_or_b32 exec_lo, exec_lo, s9
	s_mov_b32 s9, exec_lo
	v_cmpx_gt_u32_e64 s8, v103
	s_cbranch_execz .LBB730_930
.LBB730_945:                            ;   in Loop: Header=BB730_902 Depth=2
	v_xor_b32_e32 v55, 0x7fffffff, v41
	v_not_b32_e32 v54, v40
	s_delay_alu instid0(VALU_DEP_1) | instskip(NEXT) | instid1(VALU_DEP_1)
	v_lshrrev_b64 v[54:55], s43, v[54:55]
	v_and_b32_e32 v54, s55, v54
	s_delay_alu instid0(VALU_DEP_1) | instskip(SKIP_2) | instid1(SALU_CYCLE_1)
	v_lshl_or_b32 v54, v54, 4, v113
	ds_add_u32 v54, v125
	s_or_b32 exec_lo, exec_lo, s9
	s_mov_b32 s9, exec_lo
	v_cmpx_gt_u32_e64 s8, v104
	s_cbranch_execz .LBB730_931
.LBB730_946:                            ;   in Loop: Header=BB730_902 Depth=2
	v_xor_b32_e32 v55, 0x7fffffff, v39
	v_not_b32_e32 v54, v38
	s_delay_alu instid0(VALU_DEP_1) | instskip(NEXT) | instid1(VALU_DEP_1)
	v_lshrrev_b64 v[54:55], s43, v[54:55]
	v_and_b32_e32 v54, s55, v54
	s_delay_alu instid0(VALU_DEP_1) | instskip(SKIP_2) | instid1(SALU_CYCLE_1)
	v_lshl_or_b32 v54, v54, 4, v113
	ds_add_u32 v54, v125
	s_or_b32 exec_lo, exec_lo, s9
	s_mov_b32 s9, exec_lo
	v_cmpx_gt_u32_e64 s8, v105
	s_cbranch_execz .LBB730_932
.LBB730_947:                            ;   in Loop: Header=BB730_902 Depth=2
	v_xor_b32_e32 v55, 0x7fffffff, v37
	v_not_b32_e32 v54, v36
	s_delay_alu instid0(VALU_DEP_1) | instskip(NEXT) | instid1(VALU_DEP_1)
	v_lshrrev_b64 v[54:55], s43, v[54:55]
	v_and_b32_e32 v54, s55, v54
	s_delay_alu instid0(VALU_DEP_1) | instskip(SKIP_2) | instid1(SALU_CYCLE_1)
	v_lshl_or_b32 v54, v54, 4, v113
	ds_add_u32 v54, v125
	s_or_b32 exec_lo, exec_lo, s9
	s_mov_b32 s9, exec_lo
	v_cmpx_gt_u32_e64 s8, v106
	s_cbranch_execz .LBB730_933
.LBB730_948:                            ;   in Loop: Header=BB730_902 Depth=2
	v_xor_b32_e32 v55, 0x7fffffff, v35
	v_not_b32_e32 v54, v34
	s_delay_alu instid0(VALU_DEP_1) | instskip(NEXT) | instid1(VALU_DEP_1)
	v_lshrrev_b64 v[54:55], s43, v[54:55]
	v_and_b32_e32 v54, s55, v54
	s_delay_alu instid0(VALU_DEP_1) | instskip(SKIP_2) | instid1(SALU_CYCLE_1)
	v_lshl_or_b32 v54, v54, 4, v113
	ds_add_u32 v54, v125
	s_or_b32 exec_lo, exec_lo, s9
	s_mov_b32 s9, exec_lo
	v_cmpx_gt_u32_e64 s8, v107
	s_cbranch_execz .LBB730_934
.LBB730_949:                            ;   in Loop: Header=BB730_902 Depth=2
	v_xor_b32_e32 v55, 0x7fffffff, v33
	v_not_b32_e32 v54, v32
	s_delay_alu instid0(VALU_DEP_1) | instskip(NEXT) | instid1(VALU_DEP_1)
	v_lshrrev_b64 v[54:55], s43, v[54:55]
	v_and_b32_e32 v54, s55, v54
	s_delay_alu instid0(VALU_DEP_1) | instskip(SKIP_2) | instid1(SALU_CYCLE_1)
	v_lshl_or_b32 v54, v54, 4, v113
	ds_add_u32 v54, v125
	s_or_b32 exec_lo, exec_lo, s9
	s_mov_b32 s9, exec_lo
	v_cmpx_gt_u32_e64 s8, v108
	s_cbranch_execz .LBB730_935
.LBB730_950:                            ;   in Loop: Header=BB730_902 Depth=2
	v_xor_b32_e32 v55, 0x7fffffff, v31
	v_not_b32_e32 v54, v30
	s_delay_alu instid0(VALU_DEP_1) | instskip(NEXT) | instid1(VALU_DEP_1)
	v_lshrrev_b64 v[54:55], s43, v[54:55]
	v_and_b32_e32 v54, s55, v54
	s_delay_alu instid0(VALU_DEP_1) | instskip(SKIP_2) | instid1(SALU_CYCLE_1)
	v_lshl_or_b32 v54, v54, 4, v113
	ds_add_u32 v54, v125
	s_or_b32 exec_lo, exec_lo, s9
	s_mov_b32 s9, exec_lo
	v_cmpx_gt_u32_e64 s8, v109
	s_cbranch_execz .LBB730_936
.LBB730_951:                            ;   in Loop: Header=BB730_902 Depth=2
	v_xor_b32_e32 v55, 0x7fffffff, v29
	v_not_b32_e32 v54, v28
	s_delay_alu instid0(VALU_DEP_1) | instskip(NEXT) | instid1(VALU_DEP_1)
	v_lshrrev_b64 v[54:55], s43, v[54:55]
	v_and_b32_e32 v54, s55, v54
	s_delay_alu instid0(VALU_DEP_1) | instskip(SKIP_2) | instid1(SALU_CYCLE_1)
	v_lshl_or_b32 v54, v54, 4, v113
	ds_add_u32 v54, v125
	s_or_b32 exec_lo, exec_lo, s9
	s_mov_b32 s9, exec_lo
	v_cmpx_gt_u32_e64 s8, v110
	s_cbranch_execz .LBB730_937
.LBB730_952:                            ;   in Loop: Header=BB730_902 Depth=2
	v_xor_b32_e32 v55, 0x7fffffff, v27
	v_not_b32_e32 v54, v26
	s_delay_alu instid0(VALU_DEP_1) | instskip(NEXT) | instid1(VALU_DEP_1)
	v_lshrrev_b64 v[54:55], s43, v[54:55]
	v_and_b32_e32 v54, s55, v54
	s_delay_alu instid0(VALU_DEP_1) | instskip(SKIP_2) | instid1(SALU_CYCLE_1)
	v_lshl_or_b32 v54, v54, 4, v113
	ds_add_u32 v54, v125
	s_or_b32 exec_lo, exec_lo, s9
	s_mov_b32 s9, exec_lo
	v_cmpx_gt_u32_e64 s8, v111
	s_cbranch_execz .LBB730_938
.LBB730_953:                            ;   in Loop: Header=BB730_902 Depth=2
	v_xor_b32_e32 v55, 0x7fffffff, v25
	v_not_b32_e32 v54, v24
	s_delay_alu instid0(VALU_DEP_1) | instskip(NEXT) | instid1(VALU_DEP_1)
	v_lshrrev_b64 v[54:55], s43, v[54:55]
	v_and_b32_e32 v54, s55, v54
	s_delay_alu instid0(VALU_DEP_1)
	v_lshl_or_b32 v54, v54, 4, v113
	ds_add_u32 v54, v125
	s_or_b32 exec_lo, exec_lo, s9
	v_cmp_gt_u32_e32 vcc_lo, s8, v112
	s_and_saveexec_b32 s8, vcc_lo
	s_cbranch_execz .LBB730_901
.LBB730_954:                            ;   in Loop: Header=BB730_902 Depth=2
	v_xor_b32_e32 v55, 0x7fffffff, v23
	v_not_b32_e32 v54, v22
	s_delay_alu instid0(VALU_DEP_1) | instskip(NEXT) | instid1(VALU_DEP_1)
	v_lshrrev_b64 v[54:55], s43, v[54:55]
	v_and_b32_e32 v54, s55, v54
	s_delay_alu instid0(VALU_DEP_1)
	v_lshl_or_b32 v54, v54, 4, v113
	ds_add_u32 v54, v125
	s_branch .LBB730_901
.LBB730_955:                            ;   in Loop: Header=BB730_902 Depth=2
	global_load_b64 v[52:53], v2, s[8:9] scale_offset
	s_wait_xcnt 0x0
	s_or_b32 exec_lo, exec_lo, s11
	s_delay_alu instid0(SALU_CYCLE_1)
	s_mov_b32 s11, exec_lo
	v_cmpx_gt_u32_e64 s7, v98
	s_cbranch_execz .LBB730_907
.LBB730_956:                            ;   in Loop: Header=BB730_902 Depth=2
	global_load_b64 v[50:51], v2, s[8:9] offset:2048 scale_offset
	s_wait_xcnt 0x0
	s_or_b32 exec_lo, exec_lo, s11
	s_delay_alu instid0(SALU_CYCLE_1)
	s_mov_b32 s11, exec_lo
	v_cmpx_gt_u32_e64 s7, v99
	s_cbranch_execz .LBB730_908
.LBB730_957:                            ;   in Loop: Header=BB730_902 Depth=2
	global_load_b64 v[48:49], v2, s[8:9] offset:4096 scale_offset
	s_wait_xcnt 0x0
	s_or_b32 exec_lo, exec_lo, s11
	s_delay_alu instid0(SALU_CYCLE_1)
	s_mov_b32 s11, exec_lo
	v_cmpx_gt_u32_e64 s7, v100
	s_cbranch_execz .LBB730_909
.LBB730_958:                            ;   in Loop: Header=BB730_902 Depth=2
	global_load_b64 v[46:47], v2, s[8:9] offset:6144 scale_offset
	s_wait_xcnt 0x0
	s_or_b32 exec_lo, exec_lo, s11
	s_delay_alu instid0(SALU_CYCLE_1)
	s_mov_b32 s11, exec_lo
	v_cmpx_gt_u32_e64 s7, v101
	s_cbranch_execz .LBB730_910
.LBB730_959:                            ;   in Loop: Header=BB730_902 Depth=2
	global_load_b64 v[44:45], v2, s[8:9] offset:8192 scale_offset
	s_wait_xcnt 0x0
	s_or_b32 exec_lo, exec_lo, s11
	s_delay_alu instid0(SALU_CYCLE_1)
	s_mov_b32 s11, exec_lo
	v_cmpx_gt_u32_e64 s7, v102
	s_cbranch_execz .LBB730_911
.LBB730_960:                            ;   in Loop: Header=BB730_902 Depth=2
	global_load_b64 v[42:43], v2, s[8:9] offset:10240 scale_offset
	s_wait_xcnt 0x0
	s_or_b32 exec_lo, exec_lo, s11
	s_delay_alu instid0(SALU_CYCLE_1)
	s_mov_b32 s11, exec_lo
	v_cmpx_gt_u32_e64 s7, v103
	s_cbranch_execz .LBB730_912
.LBB730_961:                            ;   in Loop: Header=BB730_902 Depth=2
	global_load_b64 v[40:41], v2, s[8:9] offset:12288 scale_offset
	s_wait_xcnt 0x0
	s_or_b32 exec_lo, exec_lo, s11
	s_delay_alu instid0(SALU_CYCLE_1)
	s_mov_b32 s11, exec_lo
	v_cmpx_gt_u32_e64 s7, v104
	s_cbranch_execz .LBB730_913
.LBB730_962:                            ;   in Loop: Header=BB730_902 Depth=2
	global_load_b64 v[38:39], v2, s[8:9] offset:14336 scale_offset
	s_wait_xcnt 0x0
	s_or_b32 exec_lo, exec_lo, s11
	s_delay_alu instid0(SALU_CYCLE_1)
	s_mov_b32 s11, exec_lo
	v_cmpx_gt_u32_e64 s7, v105
	s_cbranch_execz .LBB730_914
.LBB730_963:                            ;   in Loop: Header=BB730_902 Depth=2
	global_load_b64 v[36:37], v2, s[8:9] offset:16384 scale_offset
	s_wait_xcnt 0x0
	s_or_b32 exec_lo, exec_lo, s11
	s_delay_alu instid0(SALU_CYCLE_1)
	s_mov_b32 s11, exec_lo
	v_cmpx_gt_u32_e64 s7, v106
	s_cbranch_execz .LBB730_915
.LBB730_964:                            ;   in Loop: Header=BB730_902 Depth=2
	global_load_b64 v[34:35], v2, s[8:9] offset:18432 scale_offset
	s_wait_xcnt 0x0
	s_or_b32 exec_lo, exec_lo, s11
	s_delay_alu instid0(SALU_CYCLE_1)
	s_mov_b32 s11, exec_lo
	v_cmpx_gt_u32_e64 s7, v107
	s_cbranch_execz .LBB730_916
.LBB730_965:                            ;   in Loop: Header=BB730_902 Depth=2
	global_load_b64 v[32:33], v2, s[8:9] offset:20480 scale_offset
	s_wait_xcnt 0x0
	s_or_b32 exec_lo, exec_lo, s11
	s_delay_alu instid0(SALU_CYCLE_1)
	s_mov_b32 s11, exec_lo
	v_cmpx_gt_u32_e64 s7, v108
	s_cbranch_execz .LBB730_917
.LBB730_966:                            ;   in Loop: Header=BB730_902 Depth=2
	global_load_b64 v[30:31], v2, s[8:9] offset:22528 scale_offset
	s_wait_xcnt 0x0
	s_or_b32 exec_lo, exec_lo, s11
	s_delay_alu instid0(SALU_CYCLE_1)
	s_mov_b32 s11, exec_lo
	v_cmpx_gt_u32_e64 s7, v109
	s_cbranch_execz .LBB730_918
.LBB730_967:                            ;   in Loop: Header=BB730_902 Depth=2
	global_load_b64 v[28:29], v2, s[8:9] offset:24576 scale_offset
	s_wait_xcnt 0x0
	s_or_b32 exec_lo, exec_lo, s11
	s_delay_alu instid0(SALU_CYCLE_1)
	s_mov_b32 s11, exec_lo
	v_cmpx_gt_u32_e64 s7, v110
	s_cbranch_execz .LBB730_919
.LBB730_968:                            ;   in Loop: Header=BB730_902 Depth=2
	global_load_b64 v[26:27], v2, s[8:9] offset:26624 scale_offset
	s_wait_xcnt 0x0
	s_or_b32 exec_lo, exec_lo, s11
	s_delay_alu instid0(SALU_CYCLE_1)
	s_mov_b32 s11, exec_lo
	v_cmpx_gt_u32_e64 s7, v111
	s_cbranch_execz .LBB730_920
.LBB730_969:                            ;   in Loop: Header=BB730_902 Depth=2
	global_load_b64 v[24:25], v2, s[8:9] offset:28672 scale_offset
	s_wait_xcnt 0x0
	s_or_b32 exec_lo, exec_lo, s11
	s_delay_alu instid0(SALU_CYCLE_1)
	s_mov_b32 s11, exec_lo
	v_cmpx_gt_u32_e64 s7, v112
	s_cbranch_execnz .LBB730_921
	s_branch .LBB730_922
.LBB730_970:                            ;   in Loop: Header=BB730_20 Depth=1
	v_mov_b32_e32 v22, 0
	s_wait_dscnt 0x0
	s_barrier_signal -1
	s_barrier_wait -1
	s_and_saveexec_b32 s7, s0
	s_cbranch_execz .LBB730_972
; %bb.971:                              ;   in Loop: Header=BB730_20 Depth=1
	ds_load_2addr_b64 v[22:25], v115 offset1:1
	s_wait_dscnt 0x0
	v_add_nc_u32_e32 v22, v23, v22
	s_delay_alu instid0(VALU_DEP_1)
	v_add3_u32 v22, v22, v24, v25
.LBB730_972:                            ;   in Loop: Header=BB730_20 Depth=1
	s_or_b32 exec_lo, exec_lo, s7
	s_delay_alu instid0(VALU_DEP_1)
	v_mov_b32_dpp v23, v22 row_shr:1 row_mask:0xf bank_mask:0xf
	v_cmp_eq_u32_e64 s7, 0, v126
	v_cmp_lt_u32_e64 s8, 1, v126
	v_cmp_lt_u32_e64 s9, 3, v126
	;; [unrolled: 1-line block ×3, first 2 shown]
	v_cmp_eq_u32_e64 s11, 0, v128
	v_cndmask_b32_e64 v23, v23, 0, s7
	s_delay_alu instid0(VALU_DEP_1) | instskip(NEXT) | instid1(VALU_DEP_1)
	v_add_nc_u32_e32 v22, v23, v22
	v_mov_b32_dpp v23, v22 row_shr:2 row_mask:0xf bank_mask:0xf
	s_delay_alu instid0(VALU_DEP_1) | instskip(NEXT) | instid1(VALU_DEP_1)
	v_cndmask_b32_e64 v23, 0, v23, s8
	v_add_nc_u32_e32 v22, v22, v23
	s_delay_alu instid0(VALU_DEP_1) | instskip(NEXT) | instid1(VALU_DEP_1)
	v_mov_b32_dpp v23, v22 row_shr:4 row_mask:0xf bank_mask:0xf
	v_cndmask_b32_e64 v23, 0, v23, s9
	s_delay_alu instid0(VALU_DEP_1) | instskip(NEXT) | instid1(VALU_DEP_1)
	v_add_nc_u32_e32 v22, v22, v23
	v_mov_b32_dpp v23, v22 row_shr:8 row_mask:0xf bank_mask:0xf
	s_delay_alu instid0(VALU_DEP_1) | instskip(NEXT) | instid1(VALU_DEP_1)
	v_cndmask_b32_e64 v23, 0, v23, s10
	v_add_nc_u32_e32 v22, v22, v23
	ds_swizzle_b32 v23, v22 offset:swizzle(BROADCAST,32,15)
	s_wait_dscnt 0x0
	v_and_b32_e32 v23, v127, v23
	s_delay_alu instid0(VALU_DEP_1)
	v_add_nc_u32_e32 v22, v22, v23
	s_and_saveexec_b32 s12, s1
; %bb.973:                              ;   in Loop: Header=BB730_20 Depth=1
	ds_store_b32 v116, v22
; %bb.974:                              ;   in Loop: Header=BB730_20 Depth=1
	s_or_b32 exec_lo, exec_lo, s12
	s_wait_dscnt 0x0
	s_barrier_signal -1
	s_barrier_wait -1
	s_and_saveexec_b32 s12, s4
	s_cbranch_execz .LBB730_976
; %bb.975:                              ;   in Loop: Header=BB730_20 Depth=1
	ds_load_b32 v23, v117
	v_cmp_ne_u32_e32 vcc_lo, 0, v130
	s_wait_dscnt 0x0
	v_mov_b32_dpp v24, v23 row_shr:1 row_mask:0xf bank_mask:0xf
	s_delay_alu instid0(VALU_DEP_1) | instskip(SKIP_1) | instid1(VALU_DEP_2)
	v_cndmask_b32_e32 v24, 0, v24, vcc_lo
	v_cmp_lt_u32_e32 vcc_lo, 1, v130
	v_add_nc_u32_e32 v23, v24, v23
	s_delay_alu instid0(VALU_DEP_1) | instskip(NEXT) | instid1(VALU_DEP_1)
	v_mov_b32_dpp v24, v23 row_shr:2 row_mask:0xf bank_mask:0xf
	v_cndmask_b32_e32 v24, 0, v24, vcc_lo
	v_cmp_lt_u32_e32 vcc_lo, 3, v130
	s_delay_alu instid0(VALU_DEP_2) | instskip(NEXT) | instid1(VALU_DEP_1)
	v_add_nc_u32_e32 v23, v23, v24
	v_mov_b32_dpp v24, v23 row_shr:4 row_mask:0xf bank_mask:0xf
	s_delay_alu instid0(VALU_DEP_1) | instskip(NEXT) | instid1(VALU_DEP_1)
	v_cndmask_b32_e32 v24, 0, v24, vcc_lo
	v_add_nc_u32_e32 v23, v23, v24
	ds_store_b32 v117, v23
.LBB730_976:                            ;   in Loop: Header=BB730_20 Depth=1
	s_or_b32 exec_lo, exec_lo, s12
	v_mov_b32_e32 v23, 0
	s_wait_dscnt 0x0
	s_barrier_signal -1
	s_barrier_wait -1
	s_and_saveexec_b32 s12, s5
; %bb.977:                              ;   in Loop: Header=BB730_20 Depth=1
	ds_load_b32 v23, v118
; %bb.978:                              ;   in Loop: Header=BB730_20 Depth=1
	s_or_b32 exec_lo, exec_lo, s12
	v_cmp_gt_i32_e32 vcc_lo, 0, v131
	s_wait_dscnt 0x0
	s_barrier_signal -1
	s_barrier_wait -1
	v_cndmask_b32_e32 v24, v131, v124, vcc_lo
	s_delay_alu instid0(VALU_DEP_1)
	v_dual_add_nc_u32 v22, v23, v22 :: v_dual_lshlrev_b32 v147, 2, v24
	ds_bpermute_b32 v22, v147, v22
	s_and_saveexec_b32 s12, s0
	s_cbranch_execz .LBB730_980
; %bb.979:                              ;   in Loop: Header=BB730_20 Depth=1
	s_wait_dscnt 0x0
	v_cndmask_b32_e64 v22, v22, v23, s6
	s_delay_alu instid0(VALU_DEP_1)
	v_add_nc_u32_e32 v22, s52, v22
	ds_store_b32 v3, v22
.LBB730_980:                            ;   in Loop: Header=BB730_20 Depth=1
	s_or_b32 exec_lo, exec_lo, s12
	s_load_b64 s[12:13], s[34:35], 0x0
	v_add_nc_u64_e32 v[24:25], v[20:21], v[4:5]
	s_mov_b32 s56, s54
                                        ; implicit-def: $vgpr28_vgpr29
                                        ; implicit-def: $vgpr30_vgpr31
                                        ; implicit-def: $vgpr32_vgpr33
                                        ; implicit-def: $vgpr34_vgpr35
                                        ; implicit-def: $vgpr36_vgpr37
                                        ; implicit-def: $vgpr38_vgpr39
                                        ; implicit-def: $vgpr40_vgpr41
                                        ; implicit-def: $vgpr42_vgpr43
                                        ; implicit-def: $vgpr44_vgpr45
                                        ; implicit-def: $vgpr46_vgpr47
                                        ; implicit-def: $vgpr48_vgpr49
                                        ; implicit-def: $vgpr50_vgpr51
                                        ; implicit-def: $vgpr52_vgpr53
                                        ; implicit-def: $vgpr54_vgpr55
                                        ; implicit-def: $vgpr56_vgpr57
                                        ; implicit-def: $vgpr149
                                        ; implicit-def: $vgpr150
                                        ; implicit-def: $vgpr151
                                        ; implicit-def: $vgpr152
                                        ; implicit-def: $vgpr153
                                        ; implicit-def: $vgpr154
                                        ; implicit-def: $vgpr155
                                        ; implicit-def: $vgpr156
                                        ; implicit-def: $vgpr157
                                        ; implicit-def: $vgpr158
                                        ; implicit-def: $vgpr159
                                        ; implicit-def: $vgpr160
                                        ; implicit-def: $vgpr161
                                        ; implicit-def: $vgpr162
                                        ; implicit-def: $vgpr163
                                        ; implicit-def: $vgpr164
	s_wait_kmcnt 0x0
	s_cmp_lt_u32 s33, s12
	s_cselect_b32 s30, 12, 18
	s_cmp_lt_u32 s42, s13
	s_mov_b32 s13, s31
	s_cselect_b32 s12, 14, 20
	s_delay_alu instid0(SALU_CYCLE_1)
	s_add_nc_u64 s[12:13], s[34:35], s[12:13]
	s_load_u16 s14, s[12:13], 0x0
	s_wait_xcnt 0x0
	s_add_nc_u64 s[12:13], s[34:35], s[30:31]
	s_mov_b32 s30, s52
	s_load_u16 s12, s[12:13], 0x0
	s_wait_xcnt 0x0
	v_cmp_lt_u32_e64 s13, 1, v130
	s_wait_dscnt 0x0
	s_wait_kmcnt 0x0
	v_mad_u32_u24 v22, v119, s14, v121
	v_cmp_lt_u32_e64 s14, 3, v130
	s_delay_alu instid0(VALU_DEP_2) | instskip(SKIP_1) | instid1(VALU_DEP_2)
	v_mad_u32 v22, v22, s12, v2
	v_cmp_eq_u32_e64 s12, 0, v130
	v_lshrrev_b32_e32 v26, 3, v22
	v_add_nc_u64_e32 v[22:23], v[18:19], v[4:5]
	s_delay_alu instid0(VALU_DEP_2)
	v_and_b32_e32 v148, 0x1ffffffc, v26
                                        ; implicit-def: $vgpr26_vgpr27
	s_branch .LBB730_982
.LBB730_981:                            ;   in Loop: Header=BB730_982 Depth=2
	s_or_b32 exec_lo, exec_lo, s15
	s_addk_co_i32 s56, 0xf000
	s_cmp_lt_u32 s57, s51
	s_mov_b32 s30, s57
	s_cbranch_scc0 .LBB730_18
.LBB730_982:                            ;   Parent Loop BB730_20 Depth=1
                                        ; =>  This Inner Loop Header: Depth=2
	s_add_co_i32 s57, s30, 0x1000
	s_delay_alu instid0(SALU_CYCLE_1)
	s_cmp_gt_u32 s57, s51
	s_cbranch_scc1 .LBB730_984
; %bb.983:                              ;   in Loop: Header=BB730_982 Depth=2
	v_lshl_add_u64 v[58:59], s[30:31], 3, v[24:25]
	s_mov_b32 s15, -1
	s_clause 0xe
	global_load_b64 v[60:61], v[58:59], off
	global_load_b64 v[62:63], v[58:59], off offset:256
	global_load_b64 v[64:65], v[58:59], off offset:512
	;; [unrolled: 1-line block ×14, first 2 shown]
	s_movk_i32 s16, 0x1000
	s_cbranch_execz .LBB730_985
	s_branch .LBB730_1016
.LBB730_984:                            ;   in Loop: Header=BB730_982 Depth=2
	s_mov_b32 s15, 0
                                        ; implicit-def: $vgpr60_vgpr61
                                        ; implicit-def: $vgpr62_vgpr63
                                        ; implicit-def: $vgpr64_vgpr65
                                        ; implicit-def: $vgpr70_vgpr71
                                        ; implicit-def: $vgpr74_vgpr75
                                        ; implicit-def: $vgpr78_vgpr79
                                        ; implicit-def: $vgpr82_vgpr83
                                        ; implicit-def: $vgpr86_vgpr87
                                        ; implicit-def: $vgpr88_vgpr89
                                        ; implicit-def: $vgpr84_vgpr85
                                        ; implicit-def: $vgpr80_vgpr81
                                        ; implicit-def: $vgpr76_vgpr77
                                        ; implicit-def: $vgpr72_vgpr73
                                        ; implicit-def: $vgpr68_vgpr69
                                        ; implicit-def: $vgpr66_vgpr67
	s_movk_i32 s16, 0x1000
.LBB730_985:                            ;   in Loop: Header=BB730_982 Depth=2
	s_wait_loadcnt 0xd
	v_mov_b64_e32 v[62:63], 0x8000000000000000
	v_mov_b64_e32 v[60:61], 0x8000000000000000
	s_wait_xcnt 0x0
	v_lshl_add_u64 v[58:59], s[30:31], 3, v[24:25]
	s_mov_b32 s15, exec_lo
	v_cmpx_gt_u32_e64 s56, v129
	s_cbranch_execz .LBB730_987
; %bb.986:                              ;   in Loop: Header=BB730_982 Depth=2
	global_load_b64 v[60:61], v[58:59], off
.LBB730_987:                            ;   in Loop: Header=BB730_982 Depth=2
	s_wait_xcnt 0x0
	s_or_b32 exec_lo, exec_lo, s15
	s_delay_alu instid0(SALU_CYCLE_1)
	s_mov_b32 s15, exec_lo
	v_cmpx_gt_u32_e64 s56, v132
	s_cbranch_execz .LBB730_989
; %bb.988:                              ;   in Loop: Header=BB730_982 Depth=2
	global_load_b64 v[62:63], v[58:59], off offset:256
.LBB730_989:                            ;   in Loop: Header=BB730_982 Depth=2
	s_wait_xcnt 0x0
	s_or_b32 exec_lo, exec_lo, s15
	s_wait_loadcnt 0xb
	v_mov_b64_e32 v[70:71], 0x8000000000000000
	v_mov_b64_e32 v[64:65], 0x8000000000000000
	s_mov_b32 s15, exec_lo
	v_cmpx_gt_u32_e64 s56, v133
	s_cbranch_execz .LBB730_991
; %bb.990:                              ;   in Loop: Header=BB730_982 Depth=2
	global_load_b64 v[64:65], v[58:59], off offset:512
.LBB730_991:                            ;   in Loop: Header=BB730_982 Depth=2
	s_wait_xcnt 0x0
	s_or_b32 exec_lo, exec_lo, s15
	s_delay_alu instid0(SALU_CYCLE_1)
	s_mov_b32 s15, exec_lo
	v_cmpx_gt_u32_e64 s56, v134
	s_cbranch_execz .LBB730_993
; %bb.992:                              ;   in Loop: Header=BB730_982 Depth=2
	global_load_b64 v[70:71], v[58:59], off offset:768
.LBB730_993:                            ;   in Loop: Header=BB730_982 Depth=2
	s_wait_xcnt 0x0
	s_or_b32 exec_lo, exec_lo, s15
	s_wait_loadcnt 0x9
	v_mov_b64_e32 v[78:79], 0x8000000000000000
	v_mov_b64_e32 v[74:75], 0x8000000000000000
	s_mov_b32 s15, exec_lo
	v_cmpx_gt_u32_e64 s56, v135
	s_cbranch_execz .LBB730_995
; %bb.994:                              ;   in Loop: Header=BB730_982 Depth=2
	global_load_b64 v[74:75], v[58:59], off offset:1024
.LBB730_995:                            ;   in Loop: Header=BB730_982 Depth=2
	;; [unrolled: 20-line block ×3, first 2 shown]
	s_wait_xcnt 0x0
	s_or_b32 exec_lo, exec_lo, s15
	s_delay_alu instid0(SALU_CYCLE_1)
	s_mov_b32 s15, exec_lo
	v_cmpx_gt_u32_e64 s56, v138
	s_cbranch_execz .LBB730_1001
; %bb.1000:                             ;   in Loop: Header=BB730_982 Depth=2
	global_load_b64 v[86:87], v[58:59], off offset:1792
.LBB730_1001:                           ;   in Loop: Header=BB730_982 Depth=2
	s_wait_xcnt 0x0
	s_or_b32 exec_lo, exec_lo, s15
	s_wait_loadcnt 0x5
	v_mov_b64_e32 v[84:85], 0x8000000000000000
	v_mov_b64_e32 v[88:89], 0x8000000000000000
	s_mov_b32 s15, exec_lo
	v_cmpx_gt_u32_e64 s56, v139
	s_cbranch_execz .LBB730_1003
; %bb.1002:                             ;   in Loop: Header=BB730_982 Depth=2
	global_load_b64 v[88:89], v[58:59], off offset:2048
.LBB730_1003:                           ;   in Loop: Header=BB730_982 Depth=2
	s_wait_xcnt 0x0
	s_or_b32 exec_lo, exec_lo, s15
	s_delay_alu instid0(SALU_CYCLE_1)
	s_mov_b32 s15, exec_lo
	v_cmpx_gt_u32_e64 s56, v140
	s_cbranch_execz .LBB730_1005
; %bb.1004:                             ;   in Loop: Header=BB730_982 Depth=2
	global_load_b64 v[84:85], v[58:59], off offset:2304
.LBB730_1005:                           ;   in Loop: Header=BB730_982 Depth=2
	s_wait_xcnt 0x0
	s_or_b32 exec_lo, exec_lo, s15
	s_wait_loadcnt 0x3
	v_mov_b64_e32 v[76:77], 0x8000000000000000
	v_mov_b64_e32 v[80:81], 0x8000000000000000
	s_mov_b32 s15, exec_lo
	v_cmpx_gt_u32_e64 s56, v141
	s_cbranch_execz .LBB730_1007
; %bb.1006:                             ;   in Loop: Header=BB730_982 Depth=2
	global_load_b64 v[80:81], v[58:59], off offset:2560
.LBB730_1007:                           ;   in Loop: Header=BB730_982 Depth=2
	;; [unrolled: 20-line block ×3, first 2 shown]
	s_wait_xcnt 0x0
	s_or_b32 exec_lo, exec_lo, s15
	s_delay_alu instid0(SALU_CYCLE_1)
	s_mov_b32 s15, exec_lo
	v_cmpx_gt_u32_e64 s56, v144
	s_cbranch_execz .LBB730_1013
; %bb.1012:                             ;   in Loop: Header=BB730_982 Depth=2
	global_load_b64 v[68:69], v[58:59], off offset:3328
.LBB730_1013:                           ;   in Loop: Header=BB730_982 Depth=2
	s_wait_xcnt 0x0
	s_or_b32 exec_lo, exec_lo, s15
	s_wait_loadcnt 0x0
	v_mov_b64_e32 v[66:67], 0x8000000000000000
	s_mov_b32 s15, exec_lo
	v_cmpx_gt_u32_e64 s56, v145
	s_cbranch_execz .LBB730_1015
; %bb.1014:                             ;   in Loop: Header=BB730_982 Depth=2
	global_load_b64 v[66:67], v[58:59], off offset:3584
.LBB730_1015:                           ;   in Loop: Header=BB730_982 Depth=2
	s_wait_xcnt 0x0
	s_or_b32 exec_lo, exec_lo, s15
	v_cmp_gt_u32_e64 s15, s56, v146
	s_sub_co_i32 s16, s51, s30
.LBB730_1016:                           ;   in Loop: Header=BB730_982 Depth=2
	s_wait_xcnt 0x0
	v_mov_b64_e32 v[58:59], -1
	v_mov_b32_e32 v165, s56
	s_and_saveexec_b32 s17, s15
	s_cbranch_execz .LBB730_1018
; %bb.1017:                             ;   in Loop: Header=BB730_982 Depth=2
	v_lshl_add_u64 v[58:59], s[30:31], 3, v[24:25]
	v_mov_b32_e32 v165, s16
	global_load_b64 v[58:59], v[58:59], off offset:3840
	s_wait_loadcnt 0x0
	s_wait_xcnt 0x0
	v_xor_b32_e32 v59, 0x7fffffff, v59
	v_not_b32_e32 v58, v58
.LBB730_1018:                           ;   in Loop: Header=BB730_982 Depth=2
	s_or_b32 exec_lo, exec_lo, s17
	s_wait_loadcnt 0xe
	v_xor_b32_e32 v61, 0x7fffffff, v61
	v_not_b32_e32 v60, v60
	v_add_nc_u32_e32 v168, 0x420, v120
	v_add_nc_u32_e32 v169, 0x428, v120
	;; [unrolled: 1-line block ×3, first 2 shown]
	s_delay_alu instid0(VALU_DEP_4) | instskip(NEXT) | instid1(VALU_DEP_1)
	v_lshrrev_b64 v[90:91], s43, v[60:61]
	v_bitop3_b32 v91, v90, 1, s55 bitop3:0x80
	v_and_b32_e32 v92, s55, v90
	s_delay_alu instid0(VALU_DEP_2) | instskip(NEXT) | instid1(VALU_DEP_1)
	v_add_co_u32 v90, s15, v91, -1
	v_cndmask_b32_e64 v91, 0, 1, s15
	s_delay_alu instid0(VALU_DEP_3) | instskip(NEXT) | instid1(VALU_DEP_2)
	v_lshlrev_b32_e32 v93, 30, v92
	v_cmp_ne_u32_e32 vcc_lo, 0, v91
	s_delay_alu instid0(VALU_DEP_2) | instskip(NEXT) | instid1(VALU_DEP_1)
	v_not_b32_e32 v91, v93
	v_dual_ashrrev_i32 v91, 31, v91 :: v_dual_bitop2_b32 v90, vcc_lo, v90 bitop3:0x14
	v_dual_lshlrev_b32 v94, 29, v92 :: v_dual_lshlrev_b32 v95, 28, v92
	v_dual_lshlrev_b32 v96, 27, v92 :: v_dual_lshlrev_b32 v97, 26, v92
	v_lshlrev_b32_e32 v166, 25, v92
	v_cmp_gt_i32_e64 s15, 0, v93
	s_delay_alu instid0(VALU_DEP_4)
	v_cmp_gt_i32_e64 s16, 0, v94
	v_not_b32_e32 v93, v94
	v_not_b32_e32 v94, v95
	v_lshlrev_b32_e32 v167, 24, v92
	v_cmp_gt_i32_e64 s17, 0, v95
	v_cmp_gt_i32_e64 s18, 0, v96
	v_not_b32_e32 v95, v96
	v_cmp_gt_i32_e64 s19, 0, v97
	v_not_b32_e32 v96, v97
	v_not_b32_e32 v97, v166
	v_dual_ashrrev_i32 v93, 31, v93 :: v_dual_ashrrev_i32 v94, 31, v94
	v_xor_b32_e32 v91, s15, v91
	s_delay_alu instid0(VALU_DEP_4) | instskip(NEXT) | instid1(VALU_DEP_3)
	v_dual_ashrrev_i32 v95, 31, v95 :: v_dual_ashrrev_i32 v96, 31, v96
	v_dual_ashrrev_i32 v97, 31, v97 :: v_dual_bitop2_b32 v94, s17, v94 bitop3:0x14
	s_delay_alu instid0(VALU_DEP_3)
	v_bitop3_b32 v90, v90, v91, exec_lo bitop3:0x80
	v_not_b32_e32 v91, v167
	v_xor_b32_e32 v93, s16, v93
	v_xor_b32_e32 v95, s18, v95
	v_xor_b32_e32 v96, s19, v96
	v_cmp_gt_i32_e32 vcc_lo, 0, v166
	v_cmp_gt_i32_e64 s15, 0, v167
	v_ashrrev_i32_e32 v91, 31, v91
	v_bitop3_b32 v90, v90, v94, v93 bitop3:0x80
	v_add_nc_u32_e32 v167, 0x438, v120
	v_xor_b32_e32 v93, vcc_lo, v97
	s_delay_alu instid0(VALU_DEP_4) | instskip(NEXT) | instid1(VALU_DEP_4)
	v_xor_b32_e32 v91, s15, v91
	v_bitop3_b32 v90, v90, v96, v95 bitop3:0x80
	ds_store_2addr_b32 v167, v5, v5 offset1:1
	ds_store_2addr_b32 v168, v5, v5 offset1:1
	;; [unrolled: 1-line block ×4, first 2 shown]
	ds_store_b32 v120, v5 offset:1088
	s_wait_loadcnt_dscnt 0x0
	s_barrier_signal -1
	v_bitop3_b32 v90, v90, v91, v93 bitop3:0x80
	v_mul_u32_u24_e32 v91, 36, v92
	s_barrier_wait -1
	s_delay_alu instid0(VALU_DEP_2) | instskip(SKIP_1) | instid1(VALU_DEP_3)
	v_mbcnt_lo_u32_b32 v166, v90, 0
	v_cmp_ne_u32_e64 s15, 0, v90
	v_add_nc_u32_e32 v171, v148, v91
	; wave barrier
	s_delay_alu instid0(VALU_DEP_3) | instskip(SKIP_1) | instid1(SALU_CYCLE_1)
	v_cmp_eq_u32_e32 vcc_lo, 0, v166
	s_and_b32 s16, s15, vcc_lo
	s_and_saveexec_b32 s15, s16
; %bb.1019:                             ;   in Loop: Header=BB730_982 Depth=2
	v_bcnt_u32_b32 v90, v90, 0
	ds_store_b32 v171, v90 offset:1056
; %bb.1020:                             ;   in Loop: Header=BB730_982 Depth=2
	s_or_b32 exec_lo, exec_lo, s15
	v_xor_b32_e32 v63, 0x7fffffff, v63
	v_not_b32_e32 v62, v62
	; wave barrier
	s_delay_alu instid0(VALU_DEP_1) | instskip(NEXT) | instid1(VALU_DEP_1)
	v_lshrrev_b64 v[90:91], s43, v[62:63]
	v_bitop3_b32 v91, v90, 1, s55 bitop3:0x80
	v_and_b32_e32 v92, s55, v90
	s_delay_alu instid0(VALU_DEP_2) | instskip(NEXT) | instid1(VALU_DEP_1)
	v_add_co_u32 v90, s15, v91, -1
	v_cndmask_b32_e64 v91, 0, 1, s15
	s_delay_alu instid0(VALU_DEP_3) | instskip(NEXT) | instid1(VALU_DEP_2)
	v_lshlrev_b32_e32 v93, 30, v92
	v_cmp_ne_u32_e32 vcc_lo, 0, v91
	s_delay_alu instid0(VALU_DEP_2) | instskip(NEXT) | instid1(VALU_DEP_1)
	v_not_b32_e32 v91, v93
	v_dual_ashrrev_i32 v91, 31, v91 :: v_dual_bitop2_b32 v90, vcc_lo, v90 bitop3:0x14
	v_dual_lshlrev_b32 v94, 29, v92 :: v_dual_lshlrev_b32 v95, 28, v92
	v_dual_lshlrev_b32 v96, 27, v92 :: v_dual_lshlrev_b32 v97, 26, v92
	v_lshlrev_b32_e32 v172, 25, v92
	v_cmp_gt_i32_e64 s15, 0, v93
	s_delay_alu instid0(VALU_DEP_4)
	v_cmp_gt_i32_e64 s16, 0, v94
	v_not_b32_e32 v93, v94
	v_not_b32_e32 v94, v95
	v_lshlrev_b32_e32 v173, 24, v92
	v_cmp_gt_i32_e64 s17, 0, v95
	v_cmp_gt_i32_e64 s18, 0, v96
	v_not_b32_e32 v95, v96
	v_not_b32_e32 v96, v97
	v_dual_ashrrev_i32 v93, 31, v93 :: v_dual_ashrrev_i32 v94, 31, v94
	v_xor_b32_e32 v91, s15, v91
	v_cmp_gt_i32_e64 s19, 0, v97
	v_not_b32_e32 v97, v172
	s_delay_alu instid0(VALU_DEP_4) | instskip(SKIP_1) | instid1(VALU_DEP_3)
	v_dual_ashrrev_i32 v95, 31, v95 :: v_dual_bitop2_b32 v93, s16, v93 bitop3:0x14
	v_dual_ashrrev_i32 v96, 31, v96 :: v_dual_bitop2_b32 v94, s17, v94 bitop3:0x14
	v_ashrrev_i32_e32 v97, 31, v97
	v_bitop3_b32 v90, v90, v91, exec_lo bitop3:0x80
	v_not_b32_e32 v91, v173
	v_cmp_gt_i32_e64 s20, 0, v172
	v_xor_b32_e32 v95, s18, v95
	v_xor_b32_e32 v96, s19, v96
	v_bitop3_b32 v90, v90, v94, v93 bitop3:0x80
	v_cmp_gt_i32_e32 vcc_lo, 0, v173
	v_ashrrev_i32_e32 v91, 31, v91
	v_mad_u32_u24 v93, v92, 36, v148
	v_xor_b32_e32 v94, s20, v97
	v_bitop3_b32 v90, v90, v96, v95 bitop3:0x80
	s_delay_alu instid0(VALU_DEP_4) | instskip(SKIP_3) | instid1(VALU_DEP_2)
	v_xor_b32_e32 v91, vcc_lo, v91
	ds_load_b32 v172, v93 offset:1056
	; wave barrier
	v_bitop3_b32 v90, v90, v91, v94 bitop3:0x80
	v_mul_u32_u24_e32 v91, 36, v92
	v_mbcnt_lo_u32_b32 v173, v90, 0
	v_cmp_ne_u32_e64 s15, 0, v90
	s_delay_alu instid0(VALU_DEP_3) | instskip(NEXT) | instid1(VALU_DEP_3)
	v_add_nc_u32_e32 v174, v148, v91
	v_cmp_eq_u32_e32 vcc_lo, 0, v173
	s_and_b32 s16, s15, vcc_lo
	s_delay_alu instid0(SALU_CYCLE_1)
	s_and_saveexec_b32 s15, s16
	s_cbranch_execz .LBB730_1022
; %bb.1021:                             ;   in Loop: Header=BB730_982 Depth=2
	s_wait_dscnt 0x0
	v_bcnt_u32_b32 v90, v90, v172
	ds_store_b32 v174, v90 offset:1056
.LBB730_1022:                           ;   in Loop: Header=BB730_982 Depth=2
	s_or_b32 exec_lo, exec_lo, s15
	v_xor_b32_e32 v65, 0x7fffffff, v65
	v_not_b32_e32 v64, v64
	; wave barrier
	s_delay_alu instid0(VALU_DEP_1) | instskip(NEXT) | instid1(VALU_DEP_1)
	v_lshrrev_b64 v[90:91], s43, v[64:65]
	v_bitop3_b32 v91, v90, 1, s55 bitop3:0x80
	v_and_b32_e32 v92, s55, v90
	s_delay_alu instid0(VALU_DEP_2) | instskip(NEXT) | instid1(VALU_DEP_1)
	v_add_co_u32 v90, s15, v91, -1
	v_cndmask_b32_e64 v91, 0, 1, s15
	s_delay_alu instid0(VALU_DEP_3) | instskip(NEXT) | instid1(VALU_DEP_2)
	v_lshlrev_b32_e32 v93, 30, v92
	v_cmp_ne_u32_e32 vcc_lo, 0, v91
	s_delay_alu instid0(VALU_DEP_2) | instskip(NEXT) | instid1(VALU_DEP_1)
	v_not_b32_e32 v91, v93
	v_dual_ashrrev_i32 v91, 31, v91 :: v_dual_bitop2_b32 v90, vcc_lo, v90 bitop3:0x14
	v_dual_lshlrev_b32 v94, 29, v92 :: v_dual_lshlrev_b32 v95, 28, v92
	v_dual_lshlrev_b32 v96, 27, v92 :: v_dual_lshlrev_b32 v97, 26, v92
	v_lshlrev_b32_e32 v175, 25, v92
	v_cmp_gt_i32_e64 s15, 0, v93
	s_delay_alu instid0(VALU_DEP_4)
	v_cmp_gt_i32_e64 s16, 0, v94
	v_not_b32_e32 v93, v94
	v_not_b32_e32 v94, v95
	v_lshlrev_b32_e32 v176, 24, v92
	v_cmp_gt_i32_e64 s17, 0, v95
	v_cmp_gt_i32_e64 s18, 0, v96
	v_not_b32_e32 v95, v96
	v_not_b32_e32 v96, v97
	v_dual_ashrrev_i32 v93, 31, v93 :: v_dual_ashrrev_i32 v94, 31, v94
	v_xor_b32_e32 v91, s15, v91
	v_cmp_gt_i32_e64 s19, 0, v97
	v_not_b32_e32 v97, v175
	s_delay_alu instid0(VALU_DEP_4) | instskip(SKIP_1) | instid1(VALU_DEP_3)
	v_dual_ashrrev_i32 v95, 31, v95 :: v_dual_bitop2_b32 v93, s16, v93 bitop3:0x14
	v_dual_ashrrev_i32 v96, 31, v96 :: v_dual_bitop2_b32 v94, s17, v94 bitop3:0x14
	v_ashrrev_i32_e32 v97, 31, v97
	v_bitop3_b32 v90, v90, v91, exec_lo bitop3:0x80
	v_not_b32_e32 v91, v176
	v_cmp_gt_i32_e64 s20, 0, v175
	v_xor_b32_e32 v95, s18, v95
	v_xor_b32_e32 v96, s19, v96
	v_bitop3_b32 v90, v90, v94, v93 bitop3:0x80
	v_cmp_gt_i32_e32 vcc_lo, 0, v176
	v_ashrrev_i32_e32 v91, 31, v91
	v_mad_u32_u24 v93, v92, 36, v148
	v_xor_b32_e32 v94, s20, v97
	v_bitop3_b32 v90, v90, v96, v95 bitop3:0x80
	s_delay_alu instid0(VALU_DEP_4) | instskip(SKIP_3) | instid1(VALU_DEP_2)
	v_xor_b32_e32 v91, vcc_lo, v91
	ds_load_b32 v175, v93 offset:1056
	; wave barrier
	v_bitop3_b32 v90, v90, v91, v94 bitop3:0x80
	v_mul_u32_u24_e32 v91, 36, v92
	v_mbcnt_lo_u32_b32 v176, v90, 0
	v_cmp_ne_u32_e64 s15, 0, v90
	s_delay_alu instid0(VALU_DEP_3) | instskip(NEXT) | instid1(VALU_DEP_3)
	v_add_nc_u32_e32 v177, v148, v91
	v_cmp_eq_u32_e32 vcc_lo, 0, v176
	s_and_b32 s16, s15, vcc_lo
	s_delay_alu instid0(SALU_CYCLE_1)
	s_and_saveexec_b32 s15, s16
	s_cbranch_execz .LBB730_1024
; %bb.1023:                             ;   in Loop: Header=BB730_982 Depth=2
	s_wait_dscnt 0x0
	v_bcnt_u32_b32 v90, v90, v175
	ds_store_b32 v177, v90 offset:1056
.LBB730_1024:                           ;   in Loop: Header=BB730_982 Depth=2
	s_or_b32 exec_lo, exec_lo, s15
	v_xor_b32_e32 v71, 0x7fffffff, v71
	v_not_b32_e32 v70, v70
	; wave barrier
	s_delay_alu instid0(VALU_DEP_1) | instskip(NEXT) | instid1(VALU_DEP_1)
	v_lshrrev_b64 v[90:91], s43, v[70:71]
	v_bitop3_b32 v91, v90, 1, s55 bitop3:0x80
	v_and_b32_e32 v92, s55, v90
	s_delay_alu instid0(VALU_DEP_2) | instskip(NEXT) | instid1(VALU_DEP_1)
	v_add_co_u32 v90, s15, v91, -1
	v_cndmask_b32_e64 v91, 0, 1, s15
	s_delay_alu instid0(VALU_DEP_3) | instskip(NEXT) | instid1(VALU_DEP_2)
	v_lshlrev_b32_e32 v93, 30, v92
	v_cmp_ne_u32_e32 vcc_lo, 0, v91
	s_delay_alu instid0(VALU_DEP_2) | instskip(NEXT) | instid1(VALU_DEP_1)
	v_not_b32_e32 v91, v93
	v_dual_ashrrev_i32 v91, 31, v91 :: v_dual_bitop2_b32 v90, vcc_lo, v90 bitop3:0x14
	v_dual_lshlrev_b32 v94, 29, v92 :: v_dual_lshlrev_b32 v95, 28, v92
	v_dual_lshlrev_b32 v96, 27, v92 :: v_dual_lshlrev_b32 v97, 26, v92
	v_lshlrev_b32_e32 v178, 25, v92
	v_cmp_gt_i32_e64 s15, 0, v93
	s_delay_alu instid0(VALU_DEP_4)
	v_cmp_gt_i32_e64 s16, 0, v94
	v_not_b32_e32 v93, v94
	v_not_b32_e32 v94, v95
	v_lshlrev_b32_e32 v179, 24, v92
	v_cmp_gt_i32_e64 s17, 0, v95
	v_cmp_gt_i32_e64 s18, 0, v96
	v_not_b32_e32 v95, v96
	v_not_b32_e32 v96, v97
	v_dual_ashrrev_i32 v93, 31, v93 :: v_dual_ashrrev_i32 v94, 31, v94
	v_xor_b32_e32 v91, s15, v91
	v_cmp_gt_i32_e64 s19, 0, v97
	v_not_b32_e32 v97, v178
	s_delay_alu instid0(VALU_DEP_4) | instskip(SKIP_1) | instid1(VALU_DEP_3)
	v_dual_ashrrev_i32 v95, 31, v95 :: v_dual_bitop2_b32 v93, s16, v93 bitop3:0x14
	v_dual_ashrrev_i32 v96, 31, v96 :: v_dual_bitop2_b32 v94, s17, v94 bitop3:0x14
	v_ashrrev_i32_e32 v97, 31, v97
	v_bitop3_b32 v90, v90, v91, exec_lo bitop3:0x80
	v_not_b32_e32 v91, v179
	v_cmp_gt_i32_e64 s20, 0, v178
	v_xor_b32_e32 v95, s18, v95
	v_xor_b32_e32 v96, s19, v96
	v_bitop3_b32 v90, v90, v94, v93 bitop3:0x80
	v_cmp_gt_i32_e32 vcc_lo, 0, v179
	v_ashrrev_i32_e32 v91, 31, v91
	v_mad_u32_u24 v93, v92, 36, v148
	v_xor_b32_e32 v94, s20, v97
	v_bitop3_b32 v90, v90, v96, v95 bitop3:0x80
	s_delay_alu instid0(VALU_DEP_4) | instskip(SKIP_3) | instid1(VALU_DEP_2)
	v_xor_b32_e32 v91, vcc_lo, v91
	ds_load_b32 v178, v93 offset:1056
	; wave barrier
	v_bitop3_b32 v90, v90, v91, v94 bitop3:0x80
	v_mul_u32_u24_e32 v91, 36, v92
	v_mbcnt_lo_u32_b32 v179, v90, 0
	v_cmp_ne_u32_e64 s15, 0, v90
	s_delay_alu instid0(VALU_DEP_3) | instskip(NEXT) | instid1(VALU_DEP_3)
	v_add_nc_u32_e32 v180, v148, v91
	v_cmp_eq_u32_e32 vcc_lo, 0, v179
	s_and_b32 s16, s15, vcc_lo
	s_delay_alu instid0(SALU_CYCLE_1)
	s_and_saveexec_b32 s15, s16
	s_cbranch_execz .LBB730_1026
; %bb.1025:                             ;   in Loop: Header=BB730_982 Depth=2
	s_wait_dscnt 0x0
	v_bcnt_u32_b32 v90, v90, v178
	ds_store_b32 v180, v90 offset:1056
.LBB730_1026:                           ;   in Loop: Header=BB730_982 Depth=2
	s_or_b32 exec_lo, exec_lo, s15
	v_xor_b32_e32 v75, 0x7fffffff, v75
	v_not_b32_e32 v74, v74
	; wave barrier
	s_delay_alu instid0(VALU_DEP_1) | instskip(NEXT) | instid1(VALU_DEP_1)
	v_lshrrev_b64 v[90:91], s43, v[74:75]
	v_bitop3_b32 v91, v90, 1, s55 bitop3:0x80
	v_and_b32_e32 v92, s55, v90
	s_delay_alu instid0(VALU_DEP_2) | instskip(NEXT) | instid1(VALU_DEP_1)
	v_add_co_u32 v90, s15, v91, -1
	v_cndmask_b32_e64 v91, 0, 1, s15
	s_delay_alu instid0(VALU_DEP_3) | instskip(NEXT) | instid1(VALU_DEP_2)
	v_lshlrev_b32_e32 v93, 30, v92
	v_cmp_ne_u32_e32 vcc_lo, 0, v91
	s_delay_alu instid0(VALU_DEP_2) | instskip(NEXT) | instid1(VALU_DEP_1)
	v_not_b32_e32 v91, v93
	v_dual_ashrrev_i32 v91, 31, v91 :: v_dual_bitop2_b32 v90, vcc_lo, v90 bitop3:0x14
	v_dual_lshlrev_b32 v94, 29, v92 :: v_dual_lshlrev_b32 v95, 28, v92
	v_dual_lshlrev_b32 v96, 27, v92 :: v_dual_lshlrev_b32 v97, 26, v92
	v_lshlrev_b32_e32 v181, 25, v92
	v_cmp_gt_i32_e64 s15, 0, v93
	s_delay_alu instid0(VALU_DEP_4)
	v_cmp_gt_i32_e64 s16, 0, v94
	v_not_b32_e32 v93, v94
	v_not_b32_e32 v94, v95
	v_lshlrev_b32_e32 v182, 24, v92
	v_cmp_gt_i32_e64 s17, 0, v95
	v_cmp_gt_i32_e64 s18, 0, v96
	v_not_b32_e32 v95, v96
	v_not_b32_e32 v96, v97
	v_dual_ashrrev_i32 v93, 31, v93 :: v_dual_ashrrev_i32 v94, 31, v94
	v_xor_b32_e32 v91, s15, v91
	v_cmp_gt_i32_e64 s19, 0, v97
	v_not_b32_e32 v97, v181
	s_delay_alu instid0(VALU_DEP_4) | instskip(SKIP_1) | instid1(VALU_DEP_3)
	v_dual_ashrrev_i32 v95, 31, v95 :: v_dual_bitop2_b32 v93, s16, v93 bitop3:0x14
	v_dual_ashrrev_i32 v96, 31, v96 :: v_dual_bitop2_b32 v94, s17, v94 bitop3:0x14
	v_ashrrev_i32_e32 v97, 31, v97
	v_bitop3_b32 v90, v90, v91, exec_lo bitop3:0x80
	v_not_b32_e32 v91, v182
	v_cmp_gt_i32_e64 s20, 0, v181
	v_xor_b32_e32 v95, s18, v95
	v_xor_b32_e32 v96, s19, v96
	v_bitop3_b32 v90, v90, v94, v93 bitop3:0x80
	v_cmp_gt_i32_e32 vcc_lo, 0, v182
	v_ashrrev_i32_e32 v91, 31, v91
	v_mad_u32_u24 v93, v92, 36, v148
	v_xor_b32_e32 v94, s20, v97
	v_bitop3_b32 v90, v90, v96, v95 bitop3:0x80
	s_delay_alu instid0(VALU_DEP_4) | instskip(SKIP_3) | instid1(VALU_DEP_2)
	v_xor_b32_e32 v91, vcc_lo, v91
	ds_load_b32 v181, v93 offset:1056
	; wave barrier
	v_bitop3_b32 v90, v90, v91, v94 bitop3:0x80
	v_mul_u32_u24_e32 v91, 36, v92
	v_mbcnt_lo_u32_b32 v182, v90, 0
	v_cmp_ne_u32_e64 s15, 0, v90
	s_delay_alu instid0(VALU_DEP_3) | instskip(NEXT) | instid1(VALU_DEP_3)
	v_add_nc_u32_e32 v183, v148, v91
	v_cmp_eq_u32_e32 vcc_lo, 0, v182
	s_and_b32 s16, s15, vcc_lo
	s_delay_alu instid0(SALU_CYCLE_1)
	s_and_saveexec_b32 s15, s16
	s_cbranch_execz .LBB730_1028
; %bb.1027:                             ;   in Loop: Header=BB730_982 Depth=2
	s_wait_dscnt 0x0
	v_bcnt_u32_b32 v90, v90, v181
	ds_store_b32 v183, v90 offset:1056
.LBB730_1028:                           ;   in Loop: Header=BB730_982 Depth=2
	s_or_b32 exec_lo, exec_lo, s15
	v_xor_b32_e32 v79, 0x7fffffff, v79
	v_not_b32_e32 v78, v78
	; wave barrier
	s_delay_alu instid0(VALU_DEP_1) | instskip(NEXT) | instid1(VALU_DEP_1)
	v_lshrrev_b64 v[90:91], s43, v[78:79]
	v_bitop3_b32 v91, v90, 1, s55 bitop3:0x80
	v_and_b32_e32 v92, s55, v90
	s_delay_alu instid0(VALU_DEP_2) | instskip(NEXT) | instid1(VALU_DEP_1)
	v_add_co_u32 v90, s15, v91, -1
	v_cndmask_b32_e64 v91, 0, 1, s15
	s_delay_alu instid0(VALU_DEP_3) | instskip(NEXT) | instid1(VALU_DEP_2)
	v_lshlrev_b32_e32 v93, 30, v92
	v_cmp_ne_u32_e32 vcc_lo, 0, v91
	s_delay_alu instid0(VALU_DEP_2) | instskip(NEXT) | instid1(VALU_DEP_1)
	v_not_b32_e32 v91, v93
	v_dual_ashrrev_i32 v91, 31, v91 :: v_dual_bitop2_b32 v90, vcc_lo, v90 bitop3:0x14
	v_dual_lshlrev_b32 v94, 29, v92 :: v_dual_lshlrev_b32 v95, 28, v92
	v_dual_lshlrev_b32 v96, 27, v92 :: v_dual_lshlrev_b32 v97, 26, v92
	v_lshlrev_b32_e32 v184, 25, v92
	v_cmp_gt_i32_e64 s15, 0, v93
	s_delay_alu instid0(VALU_DEP_4)
	v_cmp_gt_i32_e64 s16, 0, v94
	v_not_b32_e32 v93, v94
	v_not_b32_e32 v94, v95
	v_lshlrev_b32_e32 v185, 24, v92
	v_cmp_gt_i32_e64 s17, 0, v95
	v_cmp_gt_i32_e64 s18, 0, v96
	v_not_b32_e32 v95, v96
	v_not_b32_e32 v96, v97
	v_dual_ashrrev_i32 v93, 31, v93 :: v_dual_ashrrev_i32 v94, 31, v94
	v_xor_b32_e32 v91, s15, v91
	v_cmp_gt_i32_e64 s19, 0, v97
	v_not_b32_e32 v97, v184
	s_delay_alu instid0(VALU_DEP_4) | instskip(SKIP_1) | instid1(VALU_DEP_3)
	v_dual_ashrrev_i32 v95, 31, v95 :: v_dual_bitop2_b32 v93, s16, v93 bitop3:0x14
	v_dual_ashrrev_i32 v96, 31, v96 :: v_dual_bitop2_b32 v94, s17, v94 bitop3:0x14
	v_ashrrev_i32_e32 v97, 31, v97
	v_bitop3_b32 v90, v90, v91, exec_lo bitop3:0x80
	v_not_b32_e32 v91, v185
	v_cmp_gt_i32_e64 s20, 0, v184
	v_xor_b32_e32 v95, s18, v95
	v_xor_b32_e32 v96, s19, v96
	v_bitop3_b32 v90, v90, v94, v93 bitop3:0x80
	v_cmp_gt_i32_e32 vcc_lo, 0, v185
	v_ashrrev_i32_e32 v91, 31, v91
	v_mad_u32_u24 v93, v92, 36, v148
	v_xor_b32_e32 v94, s20, v97
	v_bitop3_b32 v90, v90, v96, v95 bitop3:0x80
	s_delay_alu instid0(VALU_DEP_4) | instskip(SKIP_3) | instid1(VALU_DEP_2)
	v_xor_b32_e32 v91, vcc_lo, v91
	ds_load_b32 v184, v93 offset:1056
	; wave barrier
	v_bitop3_b32 v90, v90, v91, v94 bitop3:0x80
	v_mul_u32_u24_e32 v91, 36, v92
	v_mbcnt_lo_u32_b32 v185, v90, 0
	v_cmp_ne_u32_e64 s15, 0, v90
	s_delay_alu instid0(VALU_DEP_3) | instskip(NEXT) | instid1(VALU_DEP_3)
	v_add_nc_u32_e32 v186, v148, v91
	v_cmp_eq_u32_e32 vcc_lo, 0, v185
	s_and_b32 s16, s15, vcc_lo
	s_delay_alu instid0(SALU_CYCLE_1)
	s_and_saveexec_b32 s15, s16
	s_cbranch_execz .LBB730_1030
; %bb.1029:                             ;   in Loop: Header=BB730_982 Depth=2
	s_wait_dscnt 0x0
	v_bcnt_u32_b32 v90, v90, v184
	ds_store_b32 v186, v90 offset:1056
.LBB730_1030:                           ;   in Loop: Header=BB730_982 Depth=2
	s_or_b32 exec_lo, exec_lo, s15
	v_xor_b32_e32 v83, 0x7fffffff, v83
	v_not_b32_e32 v82, v82
	; wave barrier
	s_delay_alu instid0(VALU_DEP_1) | instskip(NEXT) | instid1(VALU_DEP_1)
	v_lshrrev_b64 v[90:91], s43, v[82:83]
	v_bitop3_b32 v91, v90, 1, s55 bitop3:0x80
	v_and_b32_e32 v92, s55, v90
	s_delay_alu instid0(VALU_DEP_2) | instskip(NEXT) | instid1(VALU_DEP_1)
	v_add_co_u32 v90, s15, v91, -1
	v_cndmask_b32_e64 v91, 0, 1, s15
	s_delay_alu instid0(VALU_DEP_3) | instskip(NEXT) | instid1(VALU_DEP_2)
	v_lshlrev_b32_e32 v93, 30, v92
	v_cmp_ne_u32_e32 vcc_lo, 0, v91
	s_delay_alu instid0(VALU_DEP_2) | instskip(NEXT) | instid1(VALU_DEP_1)
	v_not_b32_e32 v91, v93
	v_dual_ashrrev_i32 v91, 31, v91 :: v_dual_bitop2_b32 v90, vcc_lo, v90 bitop3:0x14
	v_dual_lshlrev_b32 v94, 29, v92 :: v_dual_lshlrev_b32 v95, 28, v92
	v_dual_lshlrev_b32 v96, 27, v92 :: v_dual_lshlrev_b32 v97, 26, v92
	v_lshlrev_b32_e32 v187, 25, v92
	v_cmp_gt_i32_e64 s15, 0, v93
	s_delay_alu instid0(VALU_DEP_4)
	v_cmp_gt_i32_e64 s16, 0, v94
	v_not_b32_e32 v93, v94
	v_not_b32_e32 v94, v95
	v_lshlrev_b32_e32 v188, 24, v92
	v_cmp_gt_i32_e64 s17, 0, v95
	v_cmp_gt_i32_e64 s18, 0, v96
	v_not_b32_e32 v95, v96
	v_not_b32_e32 v96, v97
	v_dual_ashrrev_i32 v93, 31, v93 :: v_dual_ashrrev_i32 v94, 31, v94
	v_xor_b32_e32 v91, s15, v91
	v_cmp_gt_i32_e64 s19, 0, v97
	v_not_b32_e32 v97, v187
	s_delay_alu instid0(VALU_DEP_4) | instskip(SKIP_1) | instid1(VALU_DEP_3)
	v_dual_ashrrev_i32 v95, 31, v95 :: v_dual_bitop2_b32 v93, s16, v93 bitop3:0x14
	v_dual_ashrrev_i32 v96, 31, v96 :: v_dual_bitop2_b32 v94, s17, v94 bitop3:0x14
	v_ashrrev_i32_e32 v97, 31, v97
	v_bitop3_b32 v90, v90, v91, exec_lo bitop3:0x80
	v_not_b32_e32 v91, v188
	v_cmp_gt_i32_e64 s20, 0, v187
	v_xor_b32_e32 v95, s18, v95
	v_xor_b32_e32 v96, s19, v96
	v_bitop3_b32 v90, v90, v94, v93 bitop3:0x80
	v_cmp_gt_i32_e32 vcc_lo, 0, v188
	v_ashrrev_i32_e32 v91, 31, v91
	v_mad_u32_u24 v93, v92, 36, v148
	v_xor_b32_e32 v94, s20, v97
	v_bitop3_b32 v90, v90, v96, v95 bitop3:0x80
	s_delay_alu instid0(VALU_DEP_4) | instskip(SKIP_3) | instid1(VALU_DEP_2)
	v_xor_b32_e32 v91, vcc_lo, v91
	ds_load_b32 v187, v93 offset:1056
	; wave barrier
	v_bitop3_b32 v90, v90, v91, v94 bitop3:0x80
	v_mul_u32_u24_e32 v91, 36, v92
	v_mbcnt_lo_u32_b32 v188, v90, 0
	v_cmp_ne_u32_e64 s15, 0, v90
	s_delay_alu instid0(VALU_DEP_3) | instskip(NEXT) | instid1(VALU_DEP_3)
	v_add_nc_u32_e32 v189, v148, v91
	v_cmp_eq_u32_e32 vcc_lo, 0, v188
	s_and_b32 s16, s15, vcc_lo
	s_delay_alu instid0(SALU_CYCLE_1)
	s_and_saveexec_b32 s15, s16
	s_cbranch_execz .LBB730_1032
; %bb.1031:                             ;   in Loop: Header=BB730_982 Depth=2
	s_wait_dscnt 0x0
	v_bcnt_u32_b32 v90, v90, v187
	ds_store_b32 v189, v90 offset:1056
.LBB730_1032:                           ;   in Loop: Header=BB730_982 Depth=2
	s_or_b32 exec_lo, exec_lo, s15
	v_xor_b32_e32 v87, 0x7fffffff, v87
	v_not_b32_e32 v86, v86
	; wave barrier
	s_delay_alu instid0(VALU_DEP_1) | instskip(NEXT) | instid1(VALU_DEP_1)
	v_lshrrev_b64 v[90:91], s43, v[86:87]
	v_bitop3_b32 v91, v90, 1, s55 bitop3:0x80
	v_and_b32_e32 v92, s55, v90
	s_delay_alu instid0(VALU_DEP_2) | instskip(NEXT) | instid1(VALU_DEP_1)
	v_add_co_u32 v90, s15, v91, -1
	v_cndmask_b32_e64 v91, 0, 1, s15
	s_delay_alu instid0(VALU_DEP_3) | instskip(NEXT) | instid1(VALU_DEP_2)
	v_lshlrev_b32_e32 v93, 30, v92
	v_cmp_ne_u32_e32 vcc_lo, 0, v91
	s_delay_alu instid0(VALU_DEP_2) | instskip(NEXT) | instid1(VALU_DEP_1)
	v_not_b32_e32 v91, v93
	v_dual_ashrrev_i32 v91, 31, v91 :: v_dual_bitop2_b32 v90, vcc_lo, v90 bitop3:0x14
	v_dual_lshlrev_b32 v94, 29, v92 :: v_dual_lshlrev_b32 v95, 28, v92
	v_dual_lshlrev_b32 v96, 27, v92 :: v_dual_lshlrev_b32 v97, 26, v92
	v_lshlrev_b32_e32 v190, 25, v92
	v_cmp_gt_i32_e64 s15, 0, v93
	s_delay_alu instid0(VALU_DEP_4)
	v_cmp_gt_i32_e64 s16, 0, v94
	v_not_b32_e32 v93, v94
	v_not_b32_e32 v94, v95
	v_lshlrev_b32_e32 v191, 24, v92
	v_cmp_gt_i32_e64 s17, 0, v95
	v_cmp_gt_i32_e64 s18, 0, v96
	v_not_b32_e32 v95, v96
	v_not_b32_e32 v96, v97
	v_dual_ashrrev_i32 v93, 31, v93 :: v_dual_ashrrev_i32 v94, 31, v94
	v_xor_b32_e32 v91, s15, v91
	v_cmp_gt_i32_e64 s19, 0, v97
	v_not_b32_e32 v97, v190
	s_delay_alu instid0(VALU_DEP_4) | instskip(SKIP_1) | instid1(VALU_DEP_3)
	v_dual_ashrrev_i32 v95, 31, v95 :: v_dual_bitop2_b32 v93, s16, v93 bitop3:0x14
	v_dual_ashrrev_i32 v96, 31, v96 :: v_dual_bitop2_b32 v94, s17, v94 bitop3:0x14
	v_ashrrev_i32_e32 v97, 31, v97
	v_bitop3_b32 v90, v90, v91, exec_lo bitop3:0x80
	v_not_b32_e32 v91, v191
	v_cmp_gt_i32_e64 s20, 0, v190
	v_xor_b32_e32 v95, s18, v95
	v_xor_b32_e32 v96, s19, v96
	v_bitop3_b32 v90, v90, v94, v93 bitop3:0x80
	v_cmp_gt_i32_e32 vcc_lo, 0, v191
	v_ashrrev_i32_e32 v91, 31, v91
	v_mad_u32_u24 v93, v92, 36, v148
	v_xor_b32_e32 v94, s20, v97
	v_bitop3_b32 v90, v90, v96, v95 bitop3:0x80
	s_delay_alu instid0(VALU_DEP_4) | instskip(SKIP_3) | instid1(VALU_DEP_2)
	v_xor_b32_e32 v91, vcc_lo, v91
	ds_load_b32 v190, v93 offset:1056
	; wave barrier
	v_bitop3_b32 v90, v90, v91, v94 bitop3:0x80
	v_mul_u32_u24_e32 v91, 36, v92
	v_mbcnt_lo_u32_b32 v191, v90, 0
	v_cmp_ne_u32_e64 s15, 0, v90
	s_delay_alu instid0(VALU_DEP_3) | instskip(NEXT) | instid1(VALU_DEP_3)
	v_add_nc_u32_e32 v192, v148, v91
	v_cmp_eq_u32_e32 vcc_lo, 0, v191
	s_and_b32 s16, s15, vcc_lo
	s_delay_alu instid0(SALU_CYCLE_1)
	s_and_saveexec_b32 s15, s16
	s_cbranch_execz .LBB730_1034
; %bb.1033:                             ;   in Loop: Header=BB730_982 Depth=2
	s_wait_dscnt 0x0
	v_bcnt_u32_b32 v90, v90, v190
	ds_store_b32 v192, v90 offset:1056
.LBB730_1034:                           ;   in Loop: Header=BB730_982 Depth=2
	s_or_b32 exec_lo, exec_lo, s15
	v_xor_b32_e32 v89, 0x7fffffff, v89
	v_not_b32_e32 v88, v88
	; wave barrier
	s_delay_alu instid0(VALU_DEP_1) | instskip(NEXT) | instid1(VALU_DEP_1)
	v_lshrrev_b64 v[90:91], s43, v[88:89]
	v_bitop3_b32 v91, v90, 1, s55 bitop3:0x80
	v_and_b32_e32 v92, s55, v90
	s_delay_alu instid0(VALU_DEP_2) | instskip(NEXT) | instid1(VALU_DEP_2)
	v_add_co_u32 v90, s15, v91, -1
	v_lshlrev_b32_e32 v91, 30, v92
	v_cndmask_b32_e64 v194, 0, 1, s15
	s_delay_alu instid0(VALU_DEP_2) | instskip(SKIP_1) | instid1(VALU_DEP_3)
	v_cmp_gt_i32_e32 vcc_lo, 0, v91
	v_not_b32_e32 v91, v91
	v_cmp_ne_u32_e64 s20, 0, v194
	s_delay_alu instid0(VALU_DEP_2) | instskip(SKIP_2) | instid1(VALU_DEP_3)
	v_dual_ashrrev_i32 v91, 31, v91 :: v_dual_lshlrev_b32 v93, 29, v92
	v_dual_lshlrev_b32 v94, 28, v92 :: v_dual_lshlrev_b32 v95, 27, v92
	v_dual_lshlrev_b32 v96, 26, v92 :: v_dual_lshlrev_b32 v97, 25, v92
	v_cmp_gt_i32_e64 s15, 0, v93
	v_not_b32_e32 v93, v93
	s_delay_alu instid0(VALU_DEP_4)
	v_cmp_gt_i32_e64 s16, 0, v94
	v_not_b32_e32 v94, v94
	v_lshlrev_b32_e32 v193, 24, v92
	v_cmp_gt_i32_e64 s17, 0, v95
	v_not_b32_e32 v95, v95
	v_cmp_gt_i32_e64 s18, 0, v96
	v_not_b32_e32 v96, v96
	v_dual_ashrrev_i32 v93, 31, v93 :: v_dual_ashrrev_i32 v94, 31, v94
	v_xor_b32_e32 v91, vcc_lo, v91
	v_dual_ashrrev_i32 v95, 31, v95 :: v_dual_bitop2_b32 v90, s20, v90 bitop3:0x14
	v_cmp_gt_i32_e64 s19, 0, v97
	v_not_b32_e32 v97, v97
	v_dual_ashrrev_i32 v96, 31, v96 :: v_dual_bitop2_b32 v93, s15, v93 bitop3:0x14
	v_xor_b32_e32 v94, s16, v94
	v_bitop3_b32 v90, v90, v91, exec_lo bitop3:0x80
	v_not_b32_e32 v91, v193
	v_dual_ashrrev_i32 v97, 31, v97 :: v_dual_bitop2_b32 v95, s17, v95 bitop3:0x14
	v_xor_b32_e32 v96, s18, v96
	s_delay_alu instid0(VALU_DEP_4)
	v_bitop3_b32 v90, v90, v94, v93 bitop3:0x80
	v_cmp_gt_i32_e32 vcc_lo, 0, v193
	v_ashrrev_i32_e32 v91, 31, v91
	v_mad_u32_u24 v93, v92, 36, v148
	v_xor_b32_e32 v94, s19, v97
	v_bitop3_b32 v90, v90, v96, v95 bitop3:0x80
	s_delay_alu instid0(VALU_DEP_4) | instskip(SKIP_3) | instid1(VALU_DEP_2)
	v_xor_b32_e32 v91, vcc_lo, v91
	ds_load_b32 v193, v93 offset:1056
	; wave barrier
	v_bitop3_b32 v90, v90, v91, v94 bitop3:0x80
	v_mul_u32_u24_e32 v91, 36, v92
	v_mbcnt_lo_u32_b32 v194, v90, 0
	v_cmp_ne_u32_e64 s15, 0, v90
	s_delay_alu instid0(VALU_DEP_3) | instskip(NEXT) | instid1(VALU_DEP_3)
	v_add_nc_u32_e32 v195, v148, v91
	v_cmp_eq_u32_e32 vcc_lo, 0, v194
	s_and_b32 s16, s15, vcc_lo
	s_delay_alu instid0(SALU_CYCLE_1)
	s_and_saveexec_b32 s15, s16
	s_cbranch_execz .LBB730_1036
; %bb.1035:                             ;   in Loop: Header=BB730_982 Depth=2
	s_wait_dscnt 0x0
	v_bcnt_u32_b32 v90, v90, v193
	ds_store_b32 v195, v90 offset:1056
.LBB730_1036:                           ;   in Loop: Header=BB730_982 Depth=2
	s_or_b32 exec_lo, exec_lo, s15
	v_xor_b32_e32 v85, 0x7fffffff, v85
	v_not_b32_e32 v84, v84
	; wave barrier
	s_delay_alu instid0(VALU_DEP_1) | instskip(NEXT) | instid1(VALU_DEP_1)
	v_lshrrev_b64 v[90:91], s43, v[84:85]
	v_bitop3_b32 v91, v90, 1, s55 bitop3:0x80
	v_and_b32_e32 v92, s55, v90
	s_delay_alu instid0(VALU_DEP_2) | instskip(NEXT) | instid1(VALU_DEP_1)
	v_add_co_u32 v90, s15, v91, -1
	v_cndmask_b32_e64 v91, 0, 1, s15
	s_delay_alu instid0(VALU_DEP_3) | instskip(NEXT) | instid1(VALU_DEP_2)
	v_lshlrev_b32_e32 v93, 30, v92
	v_cmp_ne_u32_e32 vcc_lo, 0, v91
	s_delay_alu instid0(VALU_DEP_2) | instskip(NEXT) | instid1(VALU_DEP_1)
	v_not_b32_e32 v91, v93
	v_dual_ashrrev_i32 v91, 31, v91 :: v_dual_bitop2_b32 v90, vcc_lo, v90 bitop3:0x14
	v_dual_lshlrev_b32 v94, 29, v92 :: v_dual_lshlrev_b32 v95, 28, v92
	v_dual_lshlrev_b32 v96, 27, v92 :: v_dual_lshlrev_b32 v97, 26, v92
	v_lshlrev_b32_e32 v196, 25, v92
	v_cmp_gt_i32_e64 s15, 0, v93
	s_delay_alu instid0(VALU_DEP_4)
	v_cmp_gt_i32_e64 s16, 0, v94
	v_not_b32_e32 v93, v94
	v_not_b32_e32 v94, v95
	v_lshlrev_b32_e32 v197, 24, v92
	v_cmp_gt_i32_e64 s17, 0, v95
	v_cmp_gt_i32_e64 s18, 0, v96
	v_not_b32_e32 v95, v96
	v_not_b32_e32 v96, v97
	v_dual_ashrrev_i32 v93, 31, v93 :: v_dual_ashrrev_i32 v94, 31, v94
	v_xor_b32_e32 v91, s15, v91
	v_cmp_gt_i32_e64 s19, 0, v97
	v_not_b32_e32 v97, v196
	s_delay_alu instid0(VALU_DEP_4) | instskip(SKIP_1) | instid1(VALU_DEP_3)
	v_dual_ashrrev_i32 v95, 31, v95 :: v_dual_bitop2_b32 v93, s16, v93 bitop3:0x14
	v_dual_ashrrev_i32 v96, 31, v96 :: v_dual_bitop2_b32 v94, s17, v94 bitop3:0x14
	v_ashrrev_i32_e32 v97, 31, v97
	v_bitop3_b32 v90, v90, v91, exec_lo bitop3:0x80
	v_not_b32_e32 v91, v197
	v_cmp_gt_i32_e64 s20, 0, v196
	v_xor_b32_e32 v95, s18, v95
	v_xor_b32_e32 v96, s19, v96
	v_bitop3_b32 v90, v90, v94, v93 bitop3:0x80
	v_cmp_gt_i32_e32 vcc_lo, 0, v197
	v_ashrrev_i32_e32 v91, 31, v91
	v_mad_u32_u24 v93, v92, 36, v148
	v_xor_b32_e32 v94, s20, v97
	v_bitop3_b32 v90, v90, v96, v95 bitop3:0x80
	s_delay_alu instid0(VALU_DEP_4) | instskip(SKIP_3) | instid1(VALU_DEP_2)
	v_xor_b32_e32 v91, vcc_lo, v91
	ds_load_b32 v196, v93 offset:1056
	; wave barrier
	v_bitop3_b32 v90, v90, v91, v94 bitop3:0x80
	v_mul_u32_u24_e32 v91, 36, v92
	v_mbcnt_lo_u32_b32 v197, v90, 0
	v_cmp_ne_u32_e64 s15, 0, v90
	s_delay_alu instid0(VALU_DEP_3) | instskip(NEXT) | instid1(VALU_DEP_3)
	v_add_nc_u32_e32 v198, v148, v91
	v_cmp_eq_u32_e32 vcc_lo, 0, v197
	s_and_b32 s16, s15, vcc_lo
	s_delay_alu instid0(SALU_CYCLE_1)
	s_and_saveexec_b32 s15, s16
	s_cbranch_execz .LBB730_1038
; %bb.1037:                             ;   in Loop: Header=BB730_982 Depth=2
	s_wait_dscnt 0x0
	v_bcnt_u32_b32 v90, v90, v196
	ds_store_b32 v198, v90 offset:1056
.LBB730_1038:                           ;   in Loop: Header=BB730_982 Depth=2
	s_or_b32 exec_lo, exec_lo, s15
	v_xor_b32_e32 v81, 0x7fffffff, v81
	v_not_b32_e32 v80, v80
	; wave barrier
	s_delay_alu instid0(VALU_DEP_1) | instskip(NEXT) | instid1(VALU_DEP_1)
	v_lshrrev_b64 v[90:91], s43, v[80:81]
	v_bitop3_b32 v91, v90, 1, s55 bitop3:0x80
	v_and_b32_e32 v92, s55, v90
	s_delay_alu instid0(VALU_DEP_2) | instskip(NEXT) | instid1(VALU_DEP_1)
	v_add_co_u32 v90, s15, v91, -1
	v_cndmask_b32_e64 v91, 0, 1, s15
	s_delay_alu instid0(VALU_DEP_3) | instskip(NEXT) | instid1(VALU_DEP_2)
	v_lshlrev_b32_e32 v93, 30, v92
	v_cmp_ne_u32_e32 vcc_lo, 0, v91
	s_delay_alu instid0(VALU_DEP_2) | instskip(NEXT) | instid1(VALU_DEP_1)
	v_not_b32_e32 v91, v93
	v_dual_ashrrev_i32 v91, 31, v91 :: v_dual_bitop2_b32 v90, vcc_lo, v90 bitop3:0x14
	v_dual_lshlrev_b32 v94, 29, v92 :: v_dual_lshlrev_b32 v95, 28, v92
	v_dual_lshlrev_b32 v96, 27, v92 :: v_dual_lshlrev_b32 v97, 26, v92
	v_lshlrev_b32_e32 v199, 25, v92
	v_cmp_gt_i32_e64 s15, 0, v93
	s_delay_alu instid0(VALU_DEP_4)
	v_cmp_gt_i32_e64 s16, 0, v94
	v_not_b32_e32 v93, v94
	v_not_b32_e32 v94, v95
	v_lshlrev_b32_e32 v200, 24, v92
	v_cmp_gt_i32_e64 s17, 0, v95
	v_cmp_gt_i32_e64 s18, 0, v96
	v_not_b32_e32 v95, v96
	v_not_b32_e32 v96, v97
	v_dual_ashrrev_i32 v93, 31, v93 :: v_dual_ashrrev_i32 v94, 31, v94
	v_xor_b32_e32 v91, s15, v91
	v_cmp_gt_i32_e64 s19, 0, v97
	v_not_b32_e32 v97, v199
	s_delay_alu instid0(VALU_DEP_4) | instskip(SKIP_1) | instid1(VALU_DEP_3)
	v_dual_ashrrev_i32 v95, 31, v95 :: v_dual_bitop2_b32 v93, s16, v93 bitop3:0x14
	v_dual_ashrrev_i32 v96, 31, v96 :: v_dual_bitop2_b32 v94, s17, v94 bitop3:0x14
	v_ashrrev_i32_e32 v97, 31, v97
	v_bitop3_b32 v90, v90, v91, exec_lo bitop3:0x80
	v_not_b32_e32 v91, v200
	v_cmp_gt_i32_e64 s20, 0, v199
	v_xor_b32_e32 v95, s18, v95
	v_xor_b32_e32 v96, s19, v96
	v_bitop3_b32 v90, v90, v94, v93 bitop3:0x80
	v_cmp_gt_i32_e32 vcc_lo, 0, v200
	v_ashrrev_i32_e32 v91, 31, v91
	v_mad_u32_u24 v93, v92, 36, v148
	v_xor_b32_e32 v94, s20, v97
	v_bitop3_b32 v90, v90, v96, v95 bitop3:0x80
	s_delay_alu instid0(VALU_DEP_4) | instskip(SKIP_3) | instid1(VALU_DEP_2)
	v_xor_b32_e32 v91, vcc_lo, v91
	ds_load_b32 v199, v93 offset:1056
	; wave barrier
	v_bitop3_b32 v90, v90, v91, v94 bitop3:0x80
	v_mul_u32_u24_e32 v91, 36, v92
	v_mbcnt_lo_u32_b32 v200, v90, 0
	v_cmp_ne_u32_e64 s15, 0, v90
	s_delay_alu instid0(VALU_DEP_3) | instskip(NEXT) | instid1(VALU_DEP_3)
	v_add_nc_u32_e32 v202, v148, v91
	v_cmp_eq_u32_e32 vcc_lo, 0, v200
	s_and_b32 s16, s15, vcc_lo
	s_delay_alu instid0(SALU_CYCLE_1)
	s_and_saveexec_b32 s15, s16
	s_cbranch_execz .LBB730_1040
; %bb.1039:                             ;   in Loop: Header=BB730_982 Depth=2
	s_wait_dscnt 0x0
	v_bcnt_u32_b32 v90, v90, v199
	ds_store_b32 v202, v90 offset:1056
.LBB730_1040:                           ;   in Loop: Header=BB730_982 Depth=2
	s_or_b32 exec_lo, exec_lo, s15
	v_xor_b32_e32 v77, 0x7fffffff, v77
	v_not_b32_e32 v76, v76
	; wave barrier
	s_delay_alu instid0(VALU_DEP_1) | instskip(NEXT) | instid1(VALU_DEP_1)
	v_lshrrev_b64 v[90:91], s43, v[76:77]
	v_bitop3_b32 v91, v90, 1, s55 bitop3:0x80
	v_and_b32_e32 v92, s55, v90
	s_delay_alu instid0(VALU_DEP_2) | instskip(NEXT) | instid1(VALU_DEP_1)
	v_add_co_u32 v90, s15, v91, -1
	v_cndmask_b32_e64 v91, 0, 1, s15
	s_delay_alu instid0(VALU_DEP_3) | instskip(NEXT) | instid1(VALU_DEP_2)
	v_lshlrev_b32_e32 v93, 30, v92
	v_cmp_ne_u32_e32 vcc_lo, 0, v91
	s_delay_alu instid0(VALU_DEP_2) | instskip(NEXT) | instid1(VALU_DEP_1)
	v_not_b32_e32 v91, v93
	v_dual_ashrrev_i32 v91, 31, v91 :: v_dual_bitop2_b32 v90, vcc_lo, v90 bitop3:0x14
	v_dual_lshlrev_b32 v94, 29, v92 :: v_dual_lshlrev_b32 v95, 28, v92
	v_dual_lshlrev_b32 v96, 27, v92 :: v_dual_lshlrev_b32 v97, 26, v92
	v_lshlrev_b32_e32 v201, 25, v92
	v_cmp_gt_i32_e64 s15, 0, v93
	s_delay_alu instid0(VALU_DEP_4)
	v_cmp_gt_i32_e64 s16, 0, v94
	v_not_b32_e32 v93, v94
	v_not_b32_e32 v94, v95
	v_lshlrev_b32_e32 v203, 24, v92
	v_cmp_gt_i32_e64 s17, 0, v95
	v_cmp_gt_i32_e64 s18, 0, v96
	v_not_b32_e32 v95, v96
	v_not_b32_e32 v96, v97
	v_dual_ashrrev_i32 v93, 31, v93 :: v_dual_ashrrev_i32 v94, 31, v94
	v_xor_b32_e32 v91, s15, v91
	v_cmp_gt_i32_e64 s19, 0, v97
	v_not_b32_e32 v97, v201
	s_delay_alu instid0(VALU_DEP_4) | instskip(SKIP_1) | instid1(VALU_DEP_3)
	v_dual_ashrrev_i32 v95, 31, v95 :: v_dual_bitop2_b32 v93, s16, v93 bitop3:0x14
	v_dual_ashrrev_i32 v96, 31, v96 :: v_dual_bitop2_b32 v94, s17, v94 bitop3:0x14
	v_ashrrev_i32_e32 v97, 31, v97
	v_bitop3_b32 v90, v90, v91, exec_lo bitop3:0x80
	v_not_b32_e32 v91, v203
	v_cmp_gt_i32_e64 s20, 0, v201
	v_xor_b32_e32 v95, s18, v95
	v_xor_b32_e32 v96, s19, v96
	v_bitop3_b32 v90, v90, v94, v93 bitop3:0x80
	v_cmp_gt_i32_e32 vcc_lo, 0, v203
	v_ashrrev_i32_e32 v91, 31, v91
	v_mad_u32_u24 v93, v92, 36, v148
	v_xor_b32_e32 v94, s20, v97
	v_bitop3_b32 v90, v90, v96, v95 bitop3:0x80
	s_delay_alu instid0(VALU_DEP_4) | instskip(SKIP_3) | instid1(VALU_DEP_2)
	v_xor_b32_e32 v91, vcc_lo, v91
	ds_load_b32 v201, v93 offset:1056
	; wave barrier
	v_bitop3_b32 v90, v90, v91, v94 bitop3:0x80
	v_mul_u32_u24_e32 v91, 36, v92
	v_mbcnt_lo_u32_b32 v203, v90, 0
	v_cmp_ne_u32_e64 s15, 0, v90
	s_delay_alu instid0(VALU_DEP_3) | instskip(NEXT) | instid1(VALU_DEP_3)
	v_add_nc_u32_e32 v205, v148, v91
	v_cmp_eq_u32_e32 vcc_lo, 0, v203
	s_and_b32 s16, s15, vcc_lo
	s_delay_alu instid0(SALU_CYCLE_1)
	s_and_saveexec_b32 s15, s16
	s_cbranch_execz .LBB730_1042
; %bb.1041:                             ;   in Loop: Header=BB730_982 Depth=2
	s_wait_dscnt 0x0
	v_bcnt_u32_b32 v90, v90, v201
	ds_store_b32 v205, v90 offset:1056
.LBB730_1042:                           ;   in Loop: Header=BB730_982 Depth=2
	s_or_b32 exec_lo, exec_lo, s15
	v_xor_b32_e32 v73, 0x7fffffff, v73
	v_not_b32_e32 v72, v72
	; wave barrier
	s_delay_alu instid0(VALU_DEP_1) | instskip(NEXT) | instid1(VALU_DEP_1)
	v_lshrrev_b64 v[90:91], s43, v[72:73]
	v_bitop3_b32 v91, v90, 1, s55 bitop3:0x80
	v_and_b32_e32 v92, s55, v90
	s_delay_alu instid0(VALU_DEP_2) | instskip(NEXT) | instid1(VALU_DEP_1)
	v_add_co_u32 v90, s15, v91, -1
	v_cndmask_b32_e64 v91, 0, 1, s15
	s_delay_alu instid0(VALU_DEP_3) | instskip(NEXT) | instid1(VALU_DEP_2)
	v_lshlrev_b32_e32 v93, 30, v92
	v_cmp_ne_u32_e32 vcc_lo, 0, v91
	s_delay_alu instid0(VALU_DEP_2) | instskip(NEXT) | instid1(VALU_DEP_1)
	v_not_b32_e32 v91, v93
	v_dual_ashrrev_i32 v91, 31, v91 :: v_dual_bitop2_b32 v90, vcc_lo, v90 bitop3:0x14
	v_dual_lshlrev_b32 v94, 29, v92 :: v_dual_lshlrev_b32 v95, 28, v92
	v_dual_lshlrev_b32 v96, 27, v92 :: v_dual_lshlrev_b32 v97, 26, v92
	v_lshlrev_b32_e32 v204, 25, v92
	v_cmp_gt_i32_e64 s15, 0, v93
	s_delay_alu instid0(VALU_DEP_4)
	v_cmp_gt_i32_e64 s16, 0, v94
	v_not_b32_e32 v93, v94
	v_not_b32_e32 v94, v95
	v_lshlrev_b32_e32 v206, 24, v92
	v_cmp_gt_i32_e64 s17, 0, v95
	v_cmp_gt_i32_e64 s18, 0, v96
	v_not_b32_e32 v95, v96
	v_not_b32_e32 v96, v97
	v_dual_ashrrev_i32 v93, 31, v93 :: v_dual_ashrrev_i32 v94, 31, v94
	v_xor_b32_e32 v91, s15, v91
	v_cmp_gt_i32_e64 s19, 0, v97
	v_not_b32_e32 v97, v204
	s_delay_alu instid0(VALU_DEP_4) | instskip(SKIP_1) | instid1(VALU_DEP_3)
	v_dual_ashrrev_i32 v95, 31, v95 :: v_dual_bitop2_b32 v93, s16, v93 bitop3:0x14
	v_dual_ashrrev_i32 v96, 31, v96 :: v_dual_bitop2_b32 v94, s17, v94 bitop3:0x14
	v_ashrrev_i32_e32 v97, 31, v97
	v_bitop3_b32 v90, v90, v91, exec_lo bitop3:0x80
	v_not_b32_e32 v91, v206
	v_cmp_gt_i32_e64 s20, 0, v204
	v_xor_b32_e32 v95, s18, v95
	v_xor_b32_e32 v96, s19, v96
	v_bitop3_b32 v90, v90, v94, v93 bitop3:0x80
	v_cmp_gt_i32_e32 vcc_lo, 0, v206
	v_ashrrev_i32_e32 v91, 31, v91
	v_mad_u32_u24 v93, v92, 36, v148
	v_xor_b32_e32 v94, s20, v97
	v_bitop3_b32 v90, v90, v96, v95 bitop3:0x80
	s_delay_alu instid0(VALU_DEP_4) | instskip(SKIP_3) | instid1(VALU_DEP_2)
	v_xor_b32_e32 v91, vcc_lo, v91
	ds_load_b32 v204, v93 offset:1056
	; wave barrier
	v_bitop3_b32 v90, v90, v91, v94 bitop3:0x80
	v_mul_u32_u24_e32 v91, 36, v92
	v_mbcnt_lo_u32_b32 v206, v90, 0
	v_cmp_ne_u32_e64 s15, 0, v90
	s_delay_alu instid0(VALU_DEP_3) | instskip(NEXT) | instid1(VALU_DEP_3)
	v_add_nc_u32_e32 v209, v148, v91
	v_cmp_eq_u32_e32 vcc_lo, 0, v206
	s_and_b32 s16, s15, vcc_lo
	s_delay_alu instid0(SALU_CYCLE_1)
	s_and_saveexec_b32 s15, s16
	s_cbranch_execz .LBB730_1044
; %bb.1043:                             ;   in Loop: Header=BB730_982 Depth=2
	s_wait_dscnt 0x0
	v_bcnt_u32_b32 v90, v90, v204
	ds_store_b32 v209, v90 offset:1056
.LBB730_1044:                           ;   in Loop: Header=BB730_982 Depth=2
	s_or_b32 exec_lo, exec_lo, s15
	v_xor_b32_e32 v69, 0x7fffffff, v69
	v_not_b32_e32 v68, v68
	; wave barrier
	s_delay_alu instid0(VALU_DEP_1) | instskip(NEXT) | instid1(VALU_DEP_1)
	v_lshrrev_b64 v[90:91], s43, v[68:69]
	v_bitop3_b32 v91, v90, 1, s55 bitop3:0x80
	v_and_b32_e32 v92, s55, v90
	s_delay_alu instid0(VALU_DEP_2) | instskip(NEXT) | instid1(VALU_DEP_1)
	v_add_co_u32 v90, s15, v91, -1
	v_cndmask_b32_e64 v91, 0, 1, s15
	s_delay_alu instid0(VALU_DEP_3) | instskip(NEXT) | instid1(VALU_DEP_2)
	v_lshlrev_b32_e32 v93, 30, v92
	v_cmp_ne_u32_e32 vcc_lo, 0, v91
	s_delay_alu instid0(VALU_DEP_2) | instskip(NEXT) | instid1(VALU_DEP_1)
	v_not_b32_e32 v91, v93
	v_dual_ashrrev_i32 v91, 31, v91 :: v_dual_bitop2_b32 v90, vcc_lo, v90 bitop3:0x14
	v_dual_lshlrev_b32 v94, 29, v92 :: v_dual_lshlrev_b32 v95, 28, v92
	v_dual_lshlrev_b32 v96, 27, v92 :: v_dual_lshlrev_b32 v97, 26, v92
	v_lshlrev_b32_e32 v207, 25, v92
	v_cmp_gt_i32_e64 s15, 0, v93
	s_delay_alu instid0(VALU_DEP_4)
	v_cmp_gt_i32_e64 s16, 0, v94
	v_not_b32_e32 v93, v94
	v_not_b32_e32 v94, v95
	v_lshlrev_b32_e32 v208, 24, v92
	v_cmp_gt_i32_e64 s17, 0, v95
	v_cmp_gt_i32_e64 s18, 0, v96
	v_not_b32_e32 v95, v96
	v_not_b32_e32 v96, v97
	v_dual_ashrrev_i32 v93, 31, v93 :: v_dual_ashrrev_i32 v94, 31, v94
	v_xor_b32_e32 v91, s15, v91
	v_cmp_gt_i32_e64 s19, 0, v97
	v_not_b32_e32 v97, v207
	s_delay_alu instid0(VALU_DEP_4) | instskip(SKIP_1) | instid1(VALU_DEP_3)
	v_dual_ashrrev_i32 v95, 31, v95 :: v_dual_bitop2_b32 v93, s16, v93 bitop3:0x14
	v_dual_ashrrev_i32 v96, 31, v96 :: v_dual_bitop2_b32 v94, s17, v94 bitop3:0x14
	v_ashrrev_i32_e32 v97, 31, v97
	v_bitop3_b32 v90, v90, v91, exec_lo bitop3:0x80
	v_not_b32_e32 v91, v208
	v_cmp_gt_i32_e64 s20, 0, v207
	v_xor_b32_e32 v95, s18, v95
	v_xor_b32_e32 v96, s19, v96
	v_bitop3_b32 v90, v90, v94, v93 bitop3:0x80
	v_cmp_gt_i32_e32 vcc_lo, 0, v208
	v_ashrrev_i32_e32 v91, 31, v91
	v_mad_u32_u24 v93, v92, 36, v148
	v_xor_b32_e32 v94, s20, v97
	v_bitop3_b32 v90, v90, v96, v95 bitop3:0x80
	s_delay_alu instid0(VALU_DEP_4) | instskip(SKIP_3) | instid1(VALU_DEP_2)
	v_xor_b32_e32 v91, vcc_lo, v91
	ds_load_b32 v207, v93 offset:1056
	; wave barrier
	v_bitop3_b32 v90, v90, v91, v94 bitop3:0x80
	v_mul_u32_u24_e32 v91, 36, v92
	v_mbcnt_lo_u32_b32 v208, v90, 0
	v_cmp_ne_u32_e64 s15, 0, v90
	s_delay_alu instid0(VALU_DEP_3) | instskip(NEXT) | instid1(VALU_DEP_3)
	v_add_nc_u32_e32 v212, v148, v91
	v_cmp_eq_u32_e32 vcc_lo, 0, v208
	s_and_b32 s16, s15, vcc_lo
	s_delay_alu instid0(SALU_CYCLE_1)
	s_and_saveexec_b32 s15, s16
	s_cbranch_execz .LBB730_1046
; %bb.1045:                             ;   in Loop: Header=BB730_982 Depth=2
	s_wait_dscnt 0x0
	v_bcnt_u32_b32 v90, v90, v207
	ds_store_b32 v212, v90 offset:1056
.LBB730_1046:                           ;   in Loop: Header=BB730_982 Depth=2
	s_or_b32 exec_lo, exec_lo, s15
	v_xor_b32_e32 v67, 0x7fffffff, v67
	v_not_b32_e32 v66, v66
	; wave barrier
	s_delay_alu instid0(VALU_DEP_1) | instskip(NEXT) | instid1(VALU_DEP_1)
	v_lshrrev_b64 v[90:91], s43, v[66:67]
	v_bitop3_b32 v91, v90, 1, s55 bitop3:0x80
	v_and_b32_e32 v92, s55, v90
	s_delay_alu instid0(VALU_DEP_2) | instskip(NEXT) | instid1(VALU_DEP_1)
	v_add_co_u32 v90, s15, v91, -1
	v_cndmask_b32_e64 v91, 0, 1, s15
	s_delay_alu instid0(VALU_DEP_3) | instskip(NEXT) | instid1(VALU_DEP_2)
	v_lshlrev_b32_e32 v93, 30, v92
	v_cmp_ne_u32_e32 vcc_lo, 0, v91
	s_delay_alu instid0(VALU_DEP_2) | instskip(NEXT) | instid1(VALU_DEP_1)
	v_not_b32_e32 v91, v93
	v_dual_ashrrev_i32 v91, 31, v91 :: v_dual_bitop2_b32 v90, vcc_lo, v90 bitop3:0x14
	v_dual_lshlrev_b32 v94, 29, v92 :: v_dual_lshlrev_b32 v95, 28, v92
	v_dual_lshlrev_b32 v96, 27, v92 :: v_dual_lshlrev_b32 v97, 26, v92
	v_lshlrev_b32_e32 v210, 25, v92
	v_cmp_gt_i32_e64 s15, 0, v93
	s_delay_alu instid0(VALU_DEP_4)
	v_cmp_gt_i32_e64 s16, 0, v94
	v_not_b32_e32 v93, v94
	v_not_b32_e32 v94, v95
	v_lshlrev_b32_e32 v211, 24, v92
	v_cmp_gt_i32_e64 s17, 0, v95
	v_cmp_gt_i32_e64 s18, 0, v96
	v_not_b32_e32 v95, v96
	v_not_b32_e32 v96, v97
	v_dual_ashrrev_i32 v93, 31, v93 :: v_dual_ashrrev_i32 v94, 31, v94
	v_xor_b32_e32 v91, s15, v91
	v_cmp_gt_i32_e64 s19, 0, v97
	v_not_b32_e32 v97, v210
	s_delay_alu instid0(VALU_DEP_4) | instskip(SKIP_1) | instid1(VALU_DEP_3)
	v_dual_ashrrev_i32 v95, 31, v95 :: v_dual_bitop2_b32 v93, s16, v93 bitop3:0x14
	v_dual_ashrrev_i32 v96, 31, v96 :: v_dual_bitop2_b32 v94, s17, v94 bitop3:0x14
	v_ashrrev_i32_e32 v97, 31, v97
	v_bitop3_b32 v90, v90, v91, exec_lo bitop3:0x80
	v_not_b32_e32 v91, v211
	v_cmp_gt_i32_e64 s20, 0, v210
	v_xor_b32_e32 v95, s18, v95
	v_xor_b32_e32 v96, s19, v96
	v_bitop3_b32 v90, v90, v94, v93 bitop3:0x80
	v_cmp_gt_i32_e32 vcc_lo, 0, v211
	v_ashrrev_i32_e32 v91, 31, v91
	v_mad_u32_u24 v93, v92, 36, v148
	v_xor_b32_e32 v94, s20, v97
	v_bitop3_b32 v90, v90, v96, v95 bitop3:0x80
	s_delay_alu instid0(VALU_DEP_4) | instskip(SKIP_3) | instid1(VALU_DEP_2)
	v_xor_b32_e32 v91, vcc_lo, v91
	ds_load_b32 v210, v93 offset:1056
	; wave barrier
	v_bitop3_b32 v90, v90, v91, v94 bitop3:0x80
	v_mul_u32_u24_e32 v91, 36, v92
	v_mbcnt_lo_u32_b32 v211, v90, 0
	v_cmp_ne_u32_e64 s15, 0, v90
	s_delay_alu instid0(VALU_DEP_3) | instskip(NEXT) | instid1(VALU_DEP_3)
	v_add_nc_u32_e32 v215, v148, v91
	v_cmp_eq_u32_e32 vcc_lo, 0, v211
	s_and_b32 s16, s15, vcc_lo
	s_delay_alu instid0(SALU_CYCLE_1)
	s_and_saveexec_b32 s15, s16
	s_cbranch_execz .LBB730_1048
; %bb.1047:                             ;   in Loop: Header=BB730_982 Depth=2
	s_wait_dscnt 0x0
	v_bcnt_u32_b32 v90, v90, v210
	ds_store_b32 v215, v90 offset:1056
.LBB730_1048:                           ;   in Loop: Header=BB730_982 Depth=2
	s_or_b32 exec_lo, exec_lo, s15
	v_lshrrev_b64 v[90:91], s43, v[58:59]
	; wave barrier
	s_delay_alu instid0(VALU_DEP_1) | instskip(SKIP_1) | instid1(VALU_DEP_2)
	v_bitop3_b32 v91, v90, 1, s55 bitop3:0x80
	v_and_b32_e32 v92, s55, v90
	v_add_co_u32 v90, s15, v91, -1
	s_delay_alu instid0(VALU_DEP_1) | instskip(NEXT) | instid1(VALU_DEP_3)
	v_cndmask_b32_e64 v91, 0, 1, s15
	v_lshlrev_b32_e32 v93, 30, v92
	s_delay_alu instid0(VALU_DEP_2) | instskip(NEXT) | instid1(VALU_DEP_2)
	v_cmp_ne_u32_e32 vcc_lo, 0, v91
	v_not_b32_e32 v91, v93
	s_delay_alu instid0(VALU_DEP_1) | instskip(SKIP_4) | instid1(VALU_DEP_4)
	v_dual_ashrrev_i32 v91, 31, v91 :: v_dual_bitop2_b32 v90, vcc_lo, v90 bitop3:0x14
	v_dual_lshlrev_b32 v94, 29, v92 :: v_dual_lshlrev_b32 v95, 28, v92
	v_dual_lshlrev_b32 v96, 27, v92 :: v_dual_lshlrev_b32 v97, 26, v92
	v_lshlrev_b32_e32 v213, 25, v92
	v_cmp_gt_i32_e64 s15, 0, v93
	v_cmp_gt_i32_e64 s16, 0, v94
	v_not_b32_e32 v93, v94
	v_not_b32_e32 v94, v95
	v_lshlrev_b32_e32 v214, 24, v92
	v_cmp_gt_i32_e64 s17, 0, v95
	v_cmp_gt_i32_e64 s18, 0, v96
	v_not_b32_e32 v95, v96
	v_dual_ashrrev_i32 v93, 31, v93 :: v_dual_ashrrev_i32 v94, 31, v94
	v_xor_b32_e32 v91, s15, v91
	v_not_b32_e32 v96, v97
	v_cmp_gt_i32_e64 s19, 0, v97
	s_delay_alu instid0(VALU_DEP_4)
	v_dual_ashrrev_i32 v95, 31, v95 :: v_dual_bitop2_b32 v93, s16, v93 bitop3:0x14
	v_xor_b32_e32 v94, s17, v94
	v_bitop3_b32 v90, v90, v91, exec_lo bitop3:0x80
	v_ashrrev_i32_e32 v91, 31, v96
	v_not_b32_e32 v96, v213
	v_not_b32_e32 v97, v214
	v_xor_b32_e32 v95, s18, v95
	v_bitop3_b32 v90, v90, v94, v93 bitop3:0x80
	v_xor_b32_e32 v91, s19, v91
	v_cmp_gt_i32_e32 vcc_lo, 0, v213
	v_ashrrev_i32_e32 v93, 31, v96
	v_cmp_gt_i32_e64 s15, 0, v214
	v_ashrrev_i32_e32 v94, 31, v97
	v_mad_u32_u24 v96, v92, 36, v148
	v_bitop3_b32 v90, v90, v91, v95 bitop3:0x80
	v_xor_b32_e32 v91, vcc_lo, v93
	s_delay_alu instid0(VALU_DEP_4) | instskip(SKIP_3) | instid1(VALU_DEP_2)
	v_xor_b32_e32 v93, s15, v94
	ds_load_b32 v213, v96 offset:1056
	; wave barrier
	v_bitop3_b32 v90, v90, v93, v91 bitop3:0x80
	v_mul_u32_u24_e32 v91, 36, v92
	v_mbcnt_lo_u32_b32 v214, v90, 0
	v_cmp_ne_u32_e64 s15, 0, v90
	s_delay_alu instid0(VALU_DEP_3) | instskip(NEXT) | instid1(VALU_DEP_3)
	v_add_nc_u32_e32 v216, v148, v91
	v_cmp_eq_u32_e32 vcc_lo, 0, v214
	s_and_b32 s16, s15, vcc_lo
	s_delay_alu instid0(SALU_CYCLE_1)
	s_and_saveexec_b32 s15, s16
	s_cbranch_execz .LBB730_1050
; %bb.1049:                             ;   in Loop: Header=BB730_982 Depth=2
	s_wait_dscnt 0x0
	v_bcnt_u32_b32 v90, v90, v213
	ds_store_b32 v216, v90 offset:1056
.LBB730_1050:                           ;   in Loop: Header=BB730_982 Depth=2
	s_or_b32 exec_lo, exec_lo, s15
	; wave barrier
	s_wait_dscnt 0x0
	s_barrier_signal -1
	s_barrier_wait -1
	ds_load_2addr_b32 v[96:97], v168 offset1:1
	ds_load_2addr_b32 v[94:95], v169 offset1:1
	;; [unrolled: 1-line block ×4, first 2 shown]
	ds_load_b32 v217, v120 offset:1088
	s_wait_dscnt 0x3
	v_add3_u32 v218, v97, v96, v94
	s_wait_dscnt 0x2
	s_delay_alu instid0(VALU_DEP_1) | instskip(SKIP_1) | instid1(VALU_DEP_1)
	v_add3_u32 v218, v218, v95, v92
	s_wait_dscnt 0x1
	v_add3_u32 v218, v218, v93, v90
	s_wait_dscnt 0x0
	s_delay_alu instid0(VALU_DEP_1) | instskip(NEXT) | instid1(VALU_DEP_1)
	v_add3_u32 v217, v218, v91, v217
	v_mov_b32_dpp v218, v217 row_shr:1 row_mask:0xf bank_mask:0xf
	s_delay_alu instid0(VALU_DEP_1) | instskip(NEXT) | instid1(VALU_DEP_1)
	v_cndmask_b32_e64 v218, v218, 0, s7
	v_add_nc_u32_e32 v217, v218, v217
	s_delay_alu instid0(VALU_DEP_1) | instskip(NEXT) | instid1(VALU_DEP_1)
	v_mov_b32_dpp v218, v217 row_shr:2 row_mask:0xf bank_mask:0xf
	v_cndmask_b32_e64 v218, 0, v218, s8
	s_delay_alu instid0(VALU_DEP_1) | instskip(NEXT) | instid1(VALU_DEP_1)
	v_add_nc_u32_e32 v217, v217, v218
	v_mov_b32_dpp v218, v217 row_shr:4 row_mask:0xf bank_mask:0xf
	s_delay_alu instid0(VALU_DEP_1) | instskip(NEXT) | instid1(VALU_DEP_1)
	v_cndmask_b32_e64 v218, 0, v218, s9
	v_add_nc_u32_e32 v217, v217, v218
	s_delay_alu instid0(VALU_DEP_1) | instskip(NEXT) | instid1(VALU_DEP_1)
	v_mov_b32_dpp v218, v217 row_shr:8 row_mask:0xf bank_mask:0xf
	v_cndmask_b32_e64 v218, 0, v218, s10
	s_delay_alu instid0(VALU_DEP_1) | instskip(SKIP_3) | instid1(VALU_DEP_1)
	v_add_nc_u32_e32 v217, v217, v218
	ds_swizzle_b32 v218, v217 offset:swizzle(BROADCAST,32,15)
	s_wait_dscnt 0x0
	v_cndmask_b32_e64 v218, v218, 0, s11
	v_add_nc_u32_e32 v217, v217, v218
	s_and_saveexec_b32 s15, s1
; %bb.1051:                             ;   in Loop: Header=BB730_982 Depth=2
	ds_store_b32 v114, v217 offset:1024
; %bb.1052:                             ;   in Loop: Header=BB730_982 Depth=2
	s_or_b32 exec_lo, exec_lo, s15
	s_wait_dscnt 0x0
	s_barrier_signal -1
	s_barrier_wait -1
	s_and_saveexec_b32 s15, s4
	s_cbranch_execz .LBB730_1054
; %bb.1053:                             ;   in Loop: Header=BB730_982 Depth=2
	ds_load_b32 v218, v122 offset:1024
	s_wait_dscnt 0x0
	v_mov_b32_dpp v219, v218 row_shr:1 row_mask:0xf bank_mask:0xf
	s_delay_alu instid0(VALU_DEP_1) | instskip(NEXT) | instid1(VALU_DEP_1)
	v_cndmask_b32_e64 v219, v219, 0, s12
	v_add_nc_u32_e32 v218, v219, v218
	s_delay_alu instid0(VALU_DEP_1) | instskip(NEXT) | instid1(VALU_DEP_1)
	v_mov_b32_dpp v219, v218 row_shr:2 row_mask:0xf bank_mask:0xf
	v_cndmask_b32_e64 v219, 0, v219, s13
	s_delay_alu instid0(VALU_DEP_1) | instskip(NEXT) | instid1(VALU_DEP_1)
	v_add_nc_u32_e32 v218, v218, v219
	v_mov_b32_dpp v219, v218 row_shr:4 row_mask:0xf bank_mask:0xf
	s_delay_alu instid0(VALU_DEP_1) | instskip(NEXT) | instid1(VALU_DEP_1)
	v_cndmask_b32_e64 v219, 0, v219, s14
	v_add_nc_u32_e32 v218, v218, v219
	ds_store_b32 v122, v218 offset:1024
.LBB730_1054:                           ;   in Loop: Header=BB730_982 Depth=2
	s_or_b32 exec_lo, exec_lo, s15
	v_mov_b32_e32 v218, 0
	s_wait_dscnt 0x0
	s_barrier_signal -1
	s_barrier_wait -1
	s_and_saveexec_b32 s15, s5
; %bb.1055:                             ;   in Loop: Header=BB730_982 Depth=2
	ds_load_b32 v218, v114 offset:1020
; %bb.1056:                             ;   in Loop: Header=BB730_982 Depth=2
	s_or_b32 exec_lo, exec_lo, s15
	s_wait_dscnt 0x0
	v_add_nc_u32_e32 v217, v218, v217
	ds_bpermute_b32 v217, v147, v217
	s_wait_dscnt 0x0
	v_cndmask_b32_e64 v217, v217, v218, s6
	s_delay_alu instid0(VALU_DEP_1) | instskip(NEXT) | instid1(VALU_DEP_1)
	v_cndmask_b32_e64 v217, v217, 0, s2
	v_add_nc_u32_e32 v96, v217, v96
	s_delay_alu instid0(VALU_DEP_1) | instskip(NEXT) | instid1(VALU_DEP_1)
	v_add_nc_u32_e32 v97, v96, v97
	v_add_nc_u32_e32 v94, v97, v94
	s_delay_alu instid0(VALU_DEP_1) | instskip(NEXT) | instid1(VALU_DEP_1)
	v_add_nc_u32_e32 v95, v94, v95
	;; [unrolled: 3-line block ×3, first 2 shown]
	v_add_nc_u32_e32 v90, v93, v90
	s_delay_alu instid0(VALU_DEP_1)
	v_add_nc_u32_e32 v91, v90, v91
	ds_store_2addr_b32 v167, v93, v90 offset1:1
	ds_store_2addr_b32 v168, v217, v96 offset1:1
	;; [unrolled: 1-line block ×4, first 2 shown]
	ds_store_b32 v120, v91 offset:1088
	s_wait_dscnt 0x0
	s_barrier_signal -1
	s_barrier_wait -1
	ds_load_b32 v91, v171 offset:1056
	ds_load_b32 v218, v174 offset:1056
	;; [unrolled: 1-line block ×17, first 2 shown]
	v_mov_b32_e32 v90, 0x1000
	s_and_saveexec_b32 s15, s3
; %bb.1057:                             ;   in Loop: Header=BB730_982 Depth=2
	ds_load_b32 v90, v120 offset:1092
; %bb.1058:                             ;   in Loop: Header=BB730_982 Depth=2
	s_or_b32 exec_lo, exec_lo, s15
	s_wait_dscnt 0x0
	s_barrier_signal -1
	s_barrier_wait -1
	s_and_saveexec_b32 s15, s0
	s_cbranch_execz .LBB730_1060
; %bb.1059:                             ;   in Loop: Header=BB730_982 Depth=2
	ds_load_b32 v183, v3
	s_wait_dscnt 0x0
	v_sub_nc_u32_e32 v180, v183, v180
	ds_store_b32 v3, v180
.LBB730_1060:                           ;   in Loop: Header=BB730_982 Depth=2
	s_or_b32 exec_lo, exec_lo, s15
	v_dual_lshlrev_b32 v166, 3, v166 :: v_dual_lshlrev_b32 v173, 3, v173
	v_dual_lshlrev_b32 v172, 3, v172 :: v_dual_lshlrev_b32 v180, 3, v218
	v_lshlrev_b32_e32 v176, 3, v176
	s_delay_alu instid0(VALU_DEP_3)
	v_lshl_add_u32 v91, v91, 3, v166
	v_dual_lshlrev_b32 v166, 3, v175 :: v_dual_lshlrev_b32 v175, 3, v217
	v_dual_lshlrev_b32 v179, 3, v179 :: v_dual_lshlrev_b32 v178, 3, v178
	;; [unrolled: 1-line block ×5, first 2 shown]
	v_lshlrev_b32_e32 v185, 3, v92
	ds_store_b64 v91, v[60:61] offset:1024
	v_add3_u32 v60, v173, v172, v180
	v_add3_u32 v61, v176, v166, v175
	v_add3_u32 v92, v179, v178, v94
	v_add3_u32 v93, v182, v181, v93
	v_add3_u32 v94, v183, v184, v185
	ds_store_b64 v60, v[62:63] offset:1024
	ds_store_b64 v61, v[64:65] offset:1024
	;; [unrolled: 1-line block ×5, first 2 shown]
	v_dual_lshlrev_b32 v62, 3, v188 :: v_dual_lshlrev_b32 v65, 3, v191
	v_dual_lshlrev_b32 v63, 3, v187 :: v_dual_lshlrev_b32 v64, 3, v177
	;; [unrolled: 1-line block ×7, first 2 shown]
	v_lshlrev_b32_e32 v169, 3, v169
	v_add3_u32 v62, v62, v63, v64
	v_add3_u32 v63, v65, v70, v71
	;; [unrolled: 1-line block ×4, first 2 shown]
	v_lshlrev_b32_e32 v71, 3, v203
	v_add3_u32 v70, v171, v172, v169
	ds_store_b64 v62, v[82:83] offset:1024
	ds_store_b64 v63, v[86:87] offset:1024
	;; [unrolled: 1-line block ×5, first 2 shown]
	v_dual_lshlrev_b32 v74, 3, v201 :: v_dual_lshlrev_b32 v75, 3, v168
	v_dual_lshlrev_b32 v78, 3, v206 :: v_dual_lshlrev_b32 v79, 3, v204
	;; [unrolled: 1-line block ×7, first 2 shown]
	v_add3_u32 v71, v71, v74, v75
	v_add3_u32 v74, v78, v79, v80
	;; [unrolled: 1-line block ×5, first 2 shown]
	v_cmp_lt_u32_e32 vcc_lo, v2, v165
	ds_store_b64 v71, v[76:77] offset:1024
	ds_store_b64 v74, v[72:73] offset:1024
	;; [unrolled: 1-line block ×5, first 2 shown]
	s_wait_dscnt 0x0
	s_barrier_signal -1
	s_barrier_wait -1
	s_and_saveexec_b32 s15, vcc_lo
	s_cbranch_execnz .LBB730_1129
; %bb.1061:                             ;   in Loop: Header=BB730_982 Depth=2
	s_or_b32 exec_lo, exec_lo, s15
	v_cmp_lt_u32_e64 s15, v98, v165
	s_and_saveexec_b32 s16, s15
	s_cbranch_execnz .LBB730_1130
.LBB730_1062:                           ;   in Loop: Header=BB730_982 Depth=2
	s_or_b32 exec_lo, exec_lo, s16
	v_cmp_lt_u32_e64 s16, v99, v165
	s_and_saveexec_b32 s17, s16
	s_cbranch_execnz .LBB730_1131
.LBB730_1063:                           ;   in Loop: Header=BB730_982 Depth=2
	s_or_b32 exec_lo, exec_lo, s17
	v_cmp_lt_u32_e64 s17, v100, v165
	s_and_saveexec_b32 s18, s17
	s_cbranch_execnz .LBB730_1132
.LBB730_1064:                           ;   in Loop: Header=BB730_982 Depth=2
	s_or_b32 exec_lo, exec_lo, s18
	v_cmp_lt_u32_e64 s18, v101, v165
	s_and_saveexec_b32 s19, s18
	s_cbranch_execnz .LBB730_1133
.LBB730_1065:                           ;   in Loop: Header=BB730_982 Depth=2
	s_or_b32 exec_lo, exec_lo, s19
	v_cmp_lt_u32_e64 s19, v102, v165
	s_and_saveexec_b32 s20, s19
	s_cbranch_execnz .LBB730_1134
.LBB730_1066:                           ;   in Loop: Header=BB730_982 Depth=2
	s_or_b32 exec_lo, exec_lo, s20
	v_cmp_lt_u32_e64 s20, v103, v165
	s_and_saveexec_b32 s21, s20
	s_cbranch_execnz .LBB730_1135
.LBB730_1067:                           ;   in Loop: Header=BB730_982 Depth=2
	s_or_b32 exec_lo, exec_lo, s21
	v_cmp_lt_u32_e64 s21, v104, v165
	s_and_saveexec_b32 s22, s21
	s_cbranch_execnz .LBB730_1136
.LBB730_1068:                           ;   in Loop: Header=BB730_982 Depth=2
	s_or_b32 exec_lo, exec_lo, s22
	v_cmp_lt_u32_e64 s22, v105, v165
	s_and_saveexec_b32 s23, s22
	s_cbranch_execnz .LBB730_1137
.LBB730_1069:                           ;   in Loop: Header=BB730_982 Depth=2
	s_or_b32 exec_lo, exec_lo, s23
	v_cmp_lt_u32_e64 s23, v106, v165
	s_and_saveexec_b32 s24, s23
	s_cbranch_execnz .LBB730_1138
.LBB730_1070:                           ;   in Loop: Header=BB730_982 Depth=2
	s_or_b32 exec_lo, exec_lo, s24
	v_cmp_lt_u32_e64 s24, v107, v165
	s_and_saveexec_b32 s25, s24
	s_cbranch_execnz .LBB730_1139
.LBB730_1071:                           ;   in Loop: Header=BB730_982 Depth=2
	s_or_b32 exec_lo, exec_lo, s25
	v_cmp_lt_u32_e64 s25, v108, v165
	s_and_saveexec_b32 s26, s25
	s_cbranch_execnz .LBB730_1140
.LBB730_1072:                           ;   in Loop: Header=BB730_982 Depth=2
	s_or_b32 exec_lo, exec_lo, s26
	v_cmp_lt_u32_e64 s26, v109, v165
	s_and_saveexec_b32 s27, s26
	s_cbranch_execnz .LBB730_1141
.LBB730_1073:                           ;   in Loop: Header=BB730_982 Depth=2
	s_or_b32 exec_lo, exec_lo, s27
	v_cmp_lt_u32_e64 s27, v110, v165
	s_and_saveexec_b32 s28, s27
	s_cbranch_execnz .LBB730_1142
.LBB730_1074:                           ;   in Loop: Header=BB730_982 Depth=2
	s_or_b32 exec_lo, exec_lo, s28
	v_cmp_lt_u32_e64 s28, v111, v165
	s_and_saveexec_b32 s29, s28
	s_cbranch_execnz .LBB730_1143
.LBB730_1075:                           ;   in Loop: Header=BB730_982 Depth=2
	s_or_b32 exec_lo, exec_lo, s29
	v_cmp_lt_u32_e64 s29, v112, v165
	s_and_saveexec_b32 s58, s29
	s_cbranch_execz .LBB730_1077
.LBB730_1076:                           ;   in Loop: Header=BB730_982 Depth=2
	ds_load_b64 v[58:59], v123 offset:31744
	s_wait_dscnt 0x0
	v_lshrrev_b64 v[66:67], s43, v[58:59]
	v_xor_b32_e32 v59, 0x7fffffff, v59
	v_not_b32_e32 v58, v58
	s_delay_alu instid0(VALU_DEP_3) | instskip(NEXT) | instid1(VALU_DEP_1)
	v_and_b32_e32 v66, s55, v66
	v_lshlrev_b32_e32 v66, 2, v66
	ds_load_b32 v66, v66
	s_wait_dscnt 0x0
	v_add_nc_u32_e32 v66, v66, v112
	global_store_b64 v66, v[58:59], s[40:41] scale_offset
.LBB730_1077:                           ;   in Loop: Header=BB730_982 Depth=2
	s_wait_xcnt 0x0
	s_or_b32 exec_lo, exec_lo, s58
	v_lshl_add_u64 v[58:59], s[30:31], 3, v[22:23]
	v_cmp_lt_u32_e64 s30, v129, v165
	s_and_saveexec_b32 s58, s30
	s_delay_alu instid0(SALU_CYCLE_1)
	s_xor_b32 s30, exec_lo, s58
	s_cbranch_execnz .LBB730_1144
; %bb.1078:                             ;   in Loop: Header=BB730_982 Depth=2
	s_or_b32 exec_lo, exec_lo, s30
	s_delay_alu instid0(SALU_CYCLE_1)
	s_mov_b32 s58, exec_lo
	v_cmpx_lt_u32_e64 v132, v165
	s_cbranch_execnz .LBB730_1145
.LBB730_1079:                           ;   in Loop: Header=BB730_982 Depth=2
	s_or_b32 exec_lo, exec_lo, s58
	s_delay_alu instid0(SALU_CYCLE_1)
	s_mov_b32 s58, exec_lo
	v_cmpx_lt_u32_e64 v133, v165
	s_cbranch_execnz .LBB730_1146
.LBB730_1080:                           ;   in Loop: Header=BB730_982 Depth=2
	s_or_b32 exec_lo, exec_lo, s58
	s_delay_alu instid0(SALU_CYCLE_1)
	s_mov_b32 s58, exec_lo
	v_cmpx_lt_u32_e64 v134, v165
	s_cbranch_execnz .LBB730_1147
.LBB730_1081:                           ;   in Loop: Header=BB730_982 Depth=2
	s_or_b32 exec_lo, exec_lo, s58
	s_delay_alu instid0(SALU_CYCLE_1)
	s_mov_b32 s58, exec_lo
	v_cmpx_lt_u32_e64 v135, v165
	s_cbranch_execnz .LBB730_1148
.LBB730_1082:                           ;   in Loop: Header=BB730_982 Depth=2
	s_or_b32 exec_lo, exec_lo, s58
	s_delay_alu instid0(SALU_CYCLE_1)
	s_mov_b32 s58, exec_lo
	v_cmpx_lt_u32_e64 v136, v165
	s_cbranch_execnz .LBB730_1149
.LBB730_1083:                           ;   in Loop: Header=BB730_982 Depth=2
	s_or_b32 exec_lo, exec_lo, s58
	s_delay_alu instid0(SALU_CYCLE_1)
	s_mov_b32 s58, exec_lo
	v_cmpx_lt_u32_e64 v137, v165
	s_cbranch_execnz .LBB730_1150
.LBB730_1084:                           ;   in Loop: Header=BB730_982 Depth=2
	s_or_b32 exec_lo, exec_lo, s58
	s_delay_alu instid0(SALU_CYCLE_1)
	s_mov_b32 s58, exec_lo
	v_cmpx_lt_u32_e64 v138, v165
	s_cbranch_execnz .LBB730_1151
.LBB730_1085:                           ;   in Loop: Header=BB730_982 Depth=2
	s_or_b32 exec_lo, exec_lo, s58
	s_delay_alu instid0(SALU_CYCLE_1)
	s_mov_b32 s58, exec_lo
	v_cmpx_lt_u32_e64 v139, v165
	s_cbranch_execnz .LBB730_1152
.LBB730_1086:                           ;   in Loop: Header=BB730_982 Depth=2
	s_or_b32 exec_lo, exec_lo, s58
	s_delay_alu instid0(SALU_CYCLE_1)
	s_mov_b32 s58, exec_lo
	v_cmpx_lt_u32_e64 v140, v165
	s_cbranch_execnz .LBB730_1153
.LBB730_1087:                           ;   in Loop: Header=BB730_982 Depth=2
	s_or_b32 exec_lo, exec_lo, s58
	s_delay_alu instid0(SALU_CYCLE_1)
	s_mov_b32 s58, exec_lo
	v_cmpx_lt_u32_e64 v141, v165
	s_cbranch_execnz .LBB730_1154
.LBB730_1088:                           ;   in Loop: Header=BB730_982 Depth=2
	s_or_b32 exec_lo, exec_lo, s58
	s_delay_alu instid0(SALU_CYCLE_1)
	s_mov_b32 s58, exec_lo
	v_cmpx_lt_u32_e64 v142, v165
	s_cbranch_execnz .LBB730_1155
.LBB730_1089:                           ;   in Loop: Header=BB730_982 Depth=2
	s_or_b32 exec_lo, exec_lo, s58
	s_delay_alu instid0(SALU_CYCLE_1)
	s_mov_b32 s58, exec_lo
	v_cmpx_lt_u32_e64 v143, v165
	s_cbranch_execnz .LBB730_1156
.LBB730_1090:                           ;   in Loop: Header=BB730_982 Depth=2
	s_or_b32 exec_lo, exec_lo, s58
	s_delay_alu instid0(SALU_CYCLE_1)
	s_mov_b32 s58, exec_lo
	v_cmpx_lt_u32_e64 v144, v165
	s_cbranch_execnz .LBB730_1157
.LBB730_1091:                           ;   in Loop: Header=BB730_982 Depth=2
	s_or_b32 exec_lo, exec_lo, s58
	s_delay_alu instid0(SALU_CYCLE_1)
	s_mov_b32 s58, exec_lo
	v_cmpx_lt_u32_e64 v145, v165
	s_cbranch_execnz .LBB730_1158
.LBB730_1092:                           ;   in Loop: Header=BB730_982 Depth=2
	s_or_b32 exec_lo, exec_lo, s58
	s_delay_alu instid0(SALU_CYCLE_1)
	s_mov_b32 s58, exec_lo
	v_cmpx_lt_u32_e64 v146, v165
	s_cbranch_execnz .LBB730_1159
.LBB730_1093:                           ;   in Loop: Header=BB730_982 Depth=2
	s_or_b32 exec_lo, exec_lo, s58
	s_and_saveexec_b32 s30, vcc_lo
	s_cbranch_execnz .LBB730_1160
.LBB730_1094:                           ;   in Loop: Header=BB730_982 Depth=2
	s_or_b32 exec_lo, exec_lo, s30
	s_and_saveexec_b32 s30, s15
	s_cbranch_execnz .LBB730_1161
.LBB730_1095:                           ;   in Loop: Header=BB730_982 Depth=2
	s_or_b32 exec_lo, exec_lo, s30
	s_and_saveexec_b32 s30, s16
	s_cbranch_execnz .LBB730_1162
.LBB730_1096:                           ;   in Loop: Header=BB730_982 Depth=2
	s_or_b32 exec_lo, exec_lo, s30
	s_and_saveexec_b32 s30, s17
	s_cbranch_execnz .LBB730_1163
.LBB730_1097:                           ;   in Loop: Header=BB730_982 Depth=2
	s_or_b32 exec_lo, exec_lo, s30
	s_and_saveexec_b32 s30, s18
	s_cbranch_execnz .LBB730_1164
.LBB730_1098:                           ;   in Loop: Header=BB730_982 Depth=2
	s_or_b32 exec_lo, exec_lo, s30
	s_and_saveexec_b32 s30, s19
	s_cbranch_execnz .LBB730_1165
.LBB730_1099:                           ;   in Loop: Header=BB730_982 Depth=2
	s_or_b32 exec_lo, exec_lo, s30
	s_and_saveexec_b32 s30, s20
	s_cbranch_execnz .LBB730_1166
.LBB730_1100:                           ;   in Loop: Header=BB730_982 Depth=2
	s_or_b32 exec_lo, exec_lo, s30
	s_and_saveexec_b32 s30, s21
	s_cbranch_execnz .LBB730_1167
.LBB730_1101:                           ;   in Loop: Header=BB730_982 Depth=2
	s_or_b32 exec_lo, exec_lo, s30
	s_and_saveexec_b32 s30, s22
	s_cbranch_execnz .LBB730_1168
.LBB730_1102:                           ;   in Loop: Header=BB730_982 Depth=2
	s_or_b32 exec_lo, exec_lo, s30
	s_and_saveexec_b32 s30, s23
	s_cbranch_execnz .LBB730_1169
.LBB730_1103:                           ;   in Loop: Header=BB730_982 Depth=2
	s_or_b32 exec_lo, exec_lo, s30
	s_and_saveexec_b32 s30, s24
	s_cbranch_execnz .LBB730_1170
.LBB730_1104:                           ;   in Loop: Header=BB730_982 Depth=2
	s_or_b32 exec_lo, exec_lo, s30
	s_and_saveexec_b32 s30, s25
	s_cbranch_execnz .LBB730_1171
.LBB730_1105:                           ;   in Loop: Header=BB730_982 Depth=2
	s_or_b32 exec_lo, exec_lo, s30
	s_and_saveexec_b32 s30, s26
	s_cbranch_execnz .LBB730_1172
.LBB730_1106:                           ;   in Loop: Header=BB730_982 Depth=2
	s_or_b32 exec_lo, exec_lo, s30
	s_and_saveexec_b32 s30, s27
	s_cbranch_execnz .LBB730_1173
.LBB730_1107:                           ;   in Loop: Header=BB730_982 Depth=2
	s_or_b32 exec_lo, exec_lo, s30
	s_and_saveexec_b32 s30, s28
	s_cbranch_execnz .LBB730_1174
.LBB730_1108:                           ;   in Loop: Header=BB730_982 Depth=2
	s_or_b32 exec_lo, exec_lo, s30
	s_and_saveexec_b32 s30, s29
	s_cbranch_execz .LBB730_1110
.LBB730_1109:                           ;   in Loop: Header=BB730_982 Depth=2
	ds_load_b64 v[58:59], v123 offset:31744
	s_wait_dscnt 0x0
	v_lshrrev_b64 v[58:59], s43, v[58:59]
	s_delay_alu instid0(VALU_DEP_1)
	v_and_b32_e32 v149, s55, v58
.LBB730_1110:                           ;   in Loop: Header=BB730_982 Depth=2
	s_or_b32 exec_lo, exec_lo, s30
	s_wait_loadcnt 0x0
	s_wait_storecnt 0x0
	s_barrier_signal -1
	s_barrier_wait -1
	ds_store_b64 v91, v[56:57] offset:1024
	ds_store_b64 v60, v[54:55] offset:1024
	;; [unrolled: 1-line block ×16, first 2 shown]
	s_wait_dscnt 0x0
	s_barrier_signal -1
	s_barrier_wait -1
	s_and_saveexec_b32 s30, vcc_lo
	s_cbranch_execnz .LBB730_1175
; %bb.1111:                             ;   in Loop: Header=BB730_982 Depth=2
	s_or_b32 exec_lo, exec_lo, s30
	s_and_saveexec_b32 s30, s15
	s_cbranch_execnz .LBB730_1176
.LBB730_1112:                           ;   in Loop: Header=BB730_982 Depth=2
	s_or_b32 exec_lo, exec_lo, s30
	s_and_saveexec_b32 s15, s16
	s_cbranch_execnz .LBB730_1177
.LBB730_1113:                           ;   in Loop: Header=BB730_982 Depth=2
	s_or_b32 exec_lo, exec_lo, s15
	s_and_saveexec_b32 s15, s17
	s_cbranch_execnz .LBB730_1178
.LBB730_1114:                           ;   in Loop: Header=BB730_982 Depth=2
	s_or_b32 exec_lo, exec_lo, s15
	s_and_saveexec_b32 s15, s18
	s_cbranch_execnz .LBB730_1179
.LBB730_1115:                           ;   in Loop: Header=BB730_982 Depth=2
	s_or_b32 exec_lo, exec_lo, s15
	s_and_saveexec_b32 s15, s19
	s_cbranch_execnz .LBB730_1180
.LBB730_1116:                           ;   in Loop: Header=BB730_982 Depth=2
	s_or_b32 exec_lo, exec_lo, s15
	s_and_saveexec_b32 s15, s20
	s_cbranch_execnz .LBB730_1181
.LBB730_1117:                           ;   in Loop: Header=BB730_982 Depth=2
	s_or_b32 exec_lo, exec_lo, s15
	s_and_saveexec_b32 s15, s21
	s_cbranch_execnz .LBB730_1182
.LBB730_1118:                           ;   in Loop: Header=BB730_982 Depth=2
	s_or_b32 exec_lo, exec_lo, s15
	s_and_saveexec_b32 s15, s22
	s_cbranch_execnz .LBB730_1183
.LBB730_1119:                           ;   in Loop: Header=BB730_982 Depth=2
	s_or_b32 exec_lo, exec_lo, s15
	s_and_saveexec_b32 s15, s23
	s_cbranch_execnz .LBB730_1184
.LBB730_1120:                           ;   in Loop: Header=BB730_982 Depth=2
	s_or_b32 exec_lo, exec_lo, s15
	s_and_saveexec_b32 s15, s24
	s_cbranch_execnz .LBB730_1185
.LBB730_1121:                           ;   in Loop: Header=BB730_982 Depth=2
	s_or_b32 exec_lo, exec_lo, s15
	s_and_saveexec_b32 s15, s25
	s_cbranch_execnz .LBB730_1186
.LBB730_1122:                           ;   in Loop: Header=BB730_982 Depth=2
	s_or_b32 exec_lo, exec_lo, s15
	s_and_saveexec_b32 s15, s26
	s_cbranch_execnz .LBB730_1187
.LBB730_1123:                           ;   in Loop: Header=BB730_982 Depth=2
	s_or_b32 exec_lo, exec_lo, s15
	s_and_saveexec_b32 s15, s27
	s_cbranch_execnz .LBB730_1188
.LBB730_1124:                           ;   in Loop: Header=BB730_982 Depth=2
	s_or_b32 exec_lo, exec_lo, s15
	s_and_saveexec_b32 s15, s28
	s_cbranch_execnz .LBB730_1189
.LBB730_1125:                           ;   in Loop: Header=BB730_982 Depth=2
	s_or_b32 exec_lo, exec_lo, s15
	s_and_saveexec_b32 s15, s29
	s_cbranch_execz .LBB730_1127
.LBB730_1126:                           ;   in Loop: Header=BB730_982 Depth=2
	v_lshlrev_b32_e32 v58, 2, v149
	ds_load_b32 v60, v58
	ds_load_b64 v[58:59], v123 offset:31744
	s_wait_dscnt 0x1
	v_add_nc_u32_e32 v60, v60, v112
	s_wait_dscnt 0x0
	global_store_b64 v60, v[58:59], s[46:47] scale_offset
.LBB730_1127:                           ;   in Loop: Header=BB730_982 Depth=2
	s_wait_xcnt 0x0
	s_or_b32 exec_lo, exec_lo, s15
	s_wait_storecnt 0x0
	s_barrier_signal -1
	s_barrier_wait -1
	s_and_saveexec_b32 s15, s0
	s_cbranch_execz .LBB730_981
; %bb.1128:                             ;   in Loop: Header=BB730_982 Depth=2
	ds_load_b32 v58, v3
	s_wait_dscnt 0x0
	v_add_nc_u32_e32 v58, v58, v90
	ds_store_b32 v3, v58
	s_branch .LBB730_981
.LBB730_1129:                           ;   in Loop: Header=BB730_982 Depth=2
	ds_load_b64 v[58:59], v123 offset:1024
	s_wait_dscnt 0x0
	v_lshrrev_b64 v[66:67], s43, v[58:59]
	v_xor_b32_e32 v59, 0x7fffffff, v59
	v_not_b32_e32 v58, v58
	s_delay_alu instid0(VALU_DEP_3) | instskip(NEXT) | instid1(VALU_DEP_1)
	v_and_b32_e32 v66, s55, v66
	v_lshlrev_b32_e32 v66, 2, v66
	ds_load_b32 v66, v66
	s_wait_dscnt 0x0
	v_add_nc_u32_e32 v66, v66, v2
	global_store_b64 v66, v[58:59], s[40:41] scale_offset
	s_wait_xcnt 0x0
	s_or_b32 exec_lo, exec_lo, s15
	v_cmp_lt_u32_e64 s15, v98, v165
	s_and_saveexec_b32 s16, s15
	s_cbranch_execz .LBB730_1062
.LBB730_1130:                           ;   in Loop: Header=BB730_982 Depth=2
	ds_load_b64 v[58:59], v123 offset:3072
	s_wait_dscnt 0x0
	v_lshrrev_b64 v[66:67], s43, v[58:59]
	v_xor_b32_e32 v59, 0x7fffffff, v59
	v_not_b32_e32 v58, v58
	s_delay_alu instid0(VALU_DEP_3) | instskip(NEXT) | instid1(VALU_DEP_1)
	v_and_b32_e32 v66, s55, v66
	v_lshlrev_b32_e32 v66, 2, v66
	ds_load_b32 v66, v66
	s_wait_dscnt 0x0
	v_add_nc_u32_e32 v66, v66, v98
	global_store_b64 v66, v[58:59], s[40:41] scale_offset
	s_wait_xcnt 0x0
	s_or_b32 exec_lo, exec_lo, s16
	v_cmp_lt_u32_e64 s16, v99, v165
	s_and_saveexec_b32 s17, s16
	s_cbranch_execz .LBB730_1063
.LBB730_1131:                           ;   in Loop: Header=BB730_982 Depth=2
	ds_load_b64 v[58:59], v123 offset:5120
	s_wait_dscnt 0x0
	v_lshrrev_b64 v[66:67], s43, v[58:59]
	v_xor_b32_e32 v59, 0x7fffffff, v59
	v_not_b32_e32 v58, v58
	s_delay_alu instid0(VALU_DEP_3) | instskip(NEXT) | instid1(VALU_DEP_1)
	v_and_b32_e32 v66, s55, v66
	v_lshlrev_b32_e32 v66, 2, v66
	ds_load_b32 v66, v66
	s_wait_dscnt 0x0
	v_add_nc_u32_e32 v66, v66, v99
	global_store_b64 v66, v[58:59], s[40:41] scale_offset
	s_wait_xcnt 0x0
	s_or_b32 exec_lo, exec_lo, s17
	v_cmp_lt_u32_e64 s17, v100, v165
	s_and_saveexec_b32 s18, s17
	s_cbranch_execz .LBB730_1064
.LBB730_1132:                           ;   in Loop: Header=BB730_982 Depth=2
	ds_load_b64 v[58:59], v123 offset:7168
	s_wait_dscnt 0x0
	v_lshrrev_b64 v[66:67], s43, v[58:59]
	v_xor_b32_e32 v59, 0x7fffffff, v59
	v_not_b32_e32 v58, v58
	s_delay_alu instid0(VALU_DEP_3) | instskip(NEXT) | instid1(VALU_DEP_1)
	v_and_b32_e32 v66, s55, v66
	v_lshlrev_b32_e32 v66, 2, v66
	ds_load_b32 v66, v66
	s_wait_dscnt 0x0
	v_add_nc_u32_e32 v66, v66, v100
	global_store_b64 v66, v[58:59], s[40:41] scale_offset
	s_wait_xcnt 0x0
	s_or_b32 exec_lo, exec_lo, s18
	v_cmp_lt_u32_e64 s18, v101, v165
	s_and_saveexec_b32 s19, s18
	s_cbranch_execz .LBB730_1065
.LBB730_1133:                           ;   in Loop: Header=BB730_982 Depth=2
	ds_load_b64 v[58:59], v123 offset:9216
	s_wait_dscnt 0x0
	v_lshrrev_b64 v[66:67], s43, v[58:59]
	v_xor_b32_e32 v59, 0x7fffffff, v59
	v_not_b32_e32 v58, v58
	s_delay_alu instid0(VALU_DEP_3) | instskip(NEXT) | instid1(VALU_DEP_1)
	v_and_b32_e32 v66, s55, v66
	v_lshlrev_b32_e32 v66, 2, v66
	ds_load_b32 v66, v66
	s_wait_dscnt 0x0
	v_add_nc_u32_e32 v66, v66, v101
	global_store_b64 v66, v[58:59], s[40:41] scale_offset
	s_wait_xcnt 0x0
	s_or_b32 exec_lo, exec_lo, s19
	v_cmp_lt_u32_e64 s19, v102, v165
	s_and_saveexec_b32 s20, s19
	s_cbranch_execz .LBB730_1066
.LBB730_1134:                           ;   in Loop: Header=BB730_982 Depth=2
	ds_load_b64 v[58:59], v123 offset:11264
	s_wait_dscnt 0x0
	v_lshrrev_b64 v[66:67], s43, v[58:59]
	v_xor_b32_e32 v59, 0x7fffffff, v59
	v_not_b32_e32 v58, v58
	s_delay_alu instid0(VALU_DEP_3) | instskip(NEXT) | instid1(VALU_DEP_1)
	v_and_b32_e32 v66, s55, v66
	v_lshlrev_b32_e32 v66, 2, v66
	ds_load_b32 v66, v66
	s_wait_dscnt 0x0
	v_add_nc_u32_e32 v66, v66, v102
	global_store_b64 v66, v[58:59], s[40:41] scale_offset
	s_wait_xcnt 0x0
	s_or_b32 exec_lo, exec_lo, s20
	v_cmp_lt_u32_e64 s20, v103, v165
	s_and_saveexec_b32 s21, s20
	s_cbranch_execz .LBB730_1067
.LBB730_1135:                           ;   in Loop: Header=BB730_982 Depth=2
	ds_load_b64 v[58:59], v123 offset:13312
	s_wait_dscnt 0x0
	v_lshrrev_b64 v[66:67], s43, v[58:59]
	v_xor_b32_e32 v59, 0x7fffffff, v59
	v_not_b32_e32 v58, v58
	s_delay_alu instid0(VALU_DEP_3) | instskip(NEXT) | instid1(VALU_DEP_1)
	v_and_b32_e32 v66, s55, v66
	v_lshlrev_b32_e32 v66, 2, v66
	ds_load_b32 v66, v66
	s_wait_dscnt 0x0
	v_add_nc_u32_e32 v66, v66, v103
	global_store_b64 v66, v[58:59], s[40:41] scale_offset
	s_wait_xcnt 0x0
	s_or_b32 exec_lo, exec_lo, s21
	v_cmp_lt_u32_e64 s21, v104, v165
	s_and_saveexec_b32 s22, s21
	s_cbranch_execz .LBB730_1068
.LBB730_1136:                           ;   in Loop: Header=BB730_982 Depth=2
	ds_load_b64 v[58:59], v123 offset:15360
	s_wait_dscnt 0x0
	v_lshrrev_b64 v[66:67], s43, v[58:59]
	v_xor_b32_e32 v59, 0x7fffffff, v59
	v_not_b32_e32 v58, v58
	s_delay_alu instid0(VALU_DEP_3) | instskip(NEXT) | instid1(VALU_DEP_1)
	v_and_b32_e32 v66, s55, v66
	v_lshlrev_b32_e32 v66, 2, v66
	ds_load_b32 v66, v66
	s_wait_dscnt 0x0
	v_add_nc_u32_e32 v66, v66, v104
	global_store_b64 v66, v[58:59], s[40:41] scale_offset
	s_wait_xcnt 0x0
	s_or_b32 exec_lo, exec_lo, s22
	v_cmp_lt_u32_e64 s22, v105, v165
	s_and_saveexec_b32 s23, s22
	s_cbranch_execz .LBB730_1069
.LBB730_1137:                           ;   in Loop: Header=BB730_982 Depth=2
	ds_load_b64 v[58:59], v123 offset:17408
	s_wait_dscnt 0x0
	v_lshrrev_b64 v[66:67], s43, v[58:59]
	v_xor_b32_e32 v59, 0x7fffffff, v59
	v_not_b32_e32 v58, v58
	s_delay_alu instid0(VALU_DEP_3) | instskip(NEXT) | instid1(VALU_DEP_1)
	v_and_b32_e32 v66, s55, v66
	v_lshlrev_b32_e32 v66, 2, v66
	ds_load_b32 v66, v66
	s_wait_dscnt 0x0
	v_add_nc_u32_e32 v66, v66, v105
	global_store_b64 v66, v[58:59], s[40:41] scale_offset
	s_wait_xcnt 0x0
	s_or_b32 exec_lo, exec_lo, s23
	v_cmp_lt_u32_e64 s23, v106, v165
	s_and_saveexec_b32 s24, s23
	s_cbranch_execz .LBB730_1070
.LBB730_1138:                           ;   in Loop: Header=BB730_982 Depth=2
	ds_load_b64 v[58:59], v123 offset:19456
	s_wait_dscnt 0x0
	v_lshrrev_b64 v[66:67], s43, v[58:59]
	v_xor_b32_e32 v59, 0x7fffffff, v59
	v_not_b32_e32 v58, v58
	s_delay_alu instid0(VALU_DEP_3) | instskip(NEXT) | instid1(VALU_DEP_1)
	v_and_b32_e32 v66, s55, v66
	v_lshlrev_b32_e32 v66, 2, v66
	ds_load_b32 v66, v66
	s_wait_dscnt 0x0
	v_add_nc_u32_e32 v66, v66, v106
	global_store_b64 v66, v[58:59], s[40:41] scale_offset
	s_wait_xcnt 0x0
	s_or_b32 exec_lo, exec_lo, s24
	v_cmp_lt_u32_e64 s24, v107, v165
	s_and_saveexec_b32 s25, s24
	s_cbranch_execz .LBB730_1071
.LBB730_1139:                           ;   in Loop: Header=BB730_982 Depth=2
	ds_load_b64 v[58:59], v123 offset:21504
	s_wait_dscnt 0x0
	v_lshrrev_b64 v[66:67], s43, v[58:59]
	v_xor_b32_e32 v59, 0x7fffffff, v59
	v_not_b32_e32 v58, v58
	s_delay_alu instid0(VALU_DEP_3) | instskip(NEXT) | instid1(VALU_DEP_1)
	v_and_b32_e32 v66, s55, v66
	v_lshlrev_b32_e32 v66, 2, v66
	ds_load_b32 v66, v66
	s_wait_dscnt 0x0
	v_add_nc_u32_e32 v66, v66, v107
	global_store_b64 v66, v[58:59], s[40:41] scale_offset
	s_wait_xcnt 0x0
	s_or_b32 exec_lo, exec_lo, s25
	v_cmp_lt_u32_e64 s25, v108, v165
	s_and_saveexec_b32 s26, s25
	s_cbranch_execz .LBB730_1072
.LBB730_1140:                           ;   in Loop: Header=BB730_982 Depth=2
	ds_load_b64 v[58:59], v123 offset:23552
	s_wait_dscnt 0x0
	v_lshrrev_b64 v[66:67], s43, v[58:59]
	v_xor_b32_e32 v59, 0x7fffffff, v59
	v_not_b32_e32 v58, v58
	s_delay_alu instid0(VALU_DEP_3) | instskip(NEXT) | instid1(VALU_DEP_1)
	v_and_b32_e32 v66, s55, v66
	v_lshlrev_b32_e32 v66, 2, v66
	ds_load_b32 v66, v66
	s_wait_dscnt 0x0
	v_add_nc_u32_e32 v66, v66, v108
	global_store_b64 v66, v[58:59], s[40:41] scale_offset
	s_wait_xcnt 0x0
	s_or_b32 exec_lo, exec_lo, s26
	v_cmp_lt_u32_e64 s26, v109, v165
	s_and_saveexec_b32 s27, s26
	s_cbranch_execz .LBB730_1073
.LBB730_1141:                           ;   in Loop: Header=BB730_982 Depth=2
	ds_load_b64 v[58:59], v123 offset:25600
	s_wait_dscnt 0x0
	v_lshrrev_b64 v[66:67], s43, v[58:59]
	v_xor_b32_e32 v59, 0x7fffffff, v59
	v_not_b32_e32 v58, v58
	s_delay_alu instid0(VALU_DEP_3) | instskip(NEXT) | instid1(VALU_DEP_1)
	v_and_b32_e32 v66, s55, v66
	v_lshlrev_b32_e32 v66, 2, v66
	ds_load_b32 v66, v66
	s_wait_dscnt 0x0
	v_add_nc_u32_e32 v66, v66, v109
	global_store_b64 v66, v[58:59], s[40:41] scale_offset
	s_wait_xcnt 0x0
	s_or_b32 exec_lo, exec_lo, s27
	v_cmp_lt_u32_e64 s27, v110, v165
	s_and_saveexec_b32 s28, s27
	s_cbranch_execz .LBB730_1074
.LBB730_1142:                           ;   in Loop: Header=BB730_982 Depth=2
	ds_load_b64 v[58:59], v123 offset:27648
	s_wait_dscnt 0x0
	v_lshrrev_b64 v[66:67], s43, v[58:59]
	v_xor_b32_e32 v59, 0x7fffffff, v59
	v_not_b32_e32 v58, v58
	s_delay_alu instid0(VALU_DEP_3) | instskip(NEXT) | instid1(VALU_DEP_1)
	v_and_b32_e32 v66, s55, v66
	v_lshlrev_b32_e32 v66, 2, v66
	ds_load_b32 v66, v66
	s_wait_dscnt 0x0
	v_add_nc_u32_e32 v66, v66, v110
	global_store_b64 v66, v[58:59], s[40:41] scale_offset
	s_wait_xcnt 0x0
	s_or_b32 exec_lo, exec_lo, s28
	v_cmp_lt_u32_e64 s28, v111, v165
	s_and_saveexec_b32 s29, s28
	s_cbranch_execz .LBB730_1075
.LBB730_1143:                           ;   in Loop: Header=BB730_982 Depth=2
	ds_load_b64 v[58:59], v123 offset:29696
	s_wait_dscnt 0x0
	v_lshrrev_b64 v[66:67], s43, v[58:59]
	v_xor_b32_e32 v59, 0x7fffffff, v59
	v_not_b32_e32 v58, v58
	s_delay_alu instid0(VALU_DEP_3) | instskip(NEXT) | instid1(VALU_DEP_1)
	v_and_b32_e32 v66, s55, v66
	v_lshlrev_b32_e32 v66, 2, v66
	ds_load_b32 v66, v66
	s_wait_dscnt 0x0
	v_add_nc_u32_e32 v66, v66, v111
	global_store_b64 v66, v[58:59], s[40:41] scale_offset
	s_wait_xcnt 0x0
	s_or_b32 exec_lo, exec_lo, s29
	v_cmp_lt_u32_e64 s29, v112, v165
	s_and_saveexec_b32 s58, s29
	s_cbranch_execnz .LBB730_1076
	s_branch .LBB730_1077
.LBB730_1144:                           ;   in Loop: Header=BB730_982 Depth=2
	global_load_b64 v[56:57], v[58:59], off
	s_wait_xcnt 0x0
	s_or_b32 exec_lo, exec_lo, s30
	s_delay_alu instid0(SALU_CYCLE_1)
	s_mov_b32 s58, exec_lo
	v_cmpx_lt_u32_e64 v132, v165
	s_cbranch_execz .LBB730_1079
.LBB730_1145:                           ;   in Loop: Header=BB730_982 Depth=2
	global_load_b64 v[54:55], v[58:59], off offset:256
	s_wait_xcnt 0x0
	s_or_b32 exec_lo, exec_lo, s58
	s_delay_alu instid0(SALU_CYCLE_1)
	s_mov_b32 s58, exec_lo
	v_cmpx_lt_u32_e64 v133, v165
	s_cbranch_execz .LBB730_1080
.LBB730_1146:                           ;   in Loop: Header=BB730_982 Depth=2
	global_load_b64 v[52:53], v[58:59], off offset:512
	s_wait_xcnt 0x0
	s_or_b32 exec_lo, exec_lo, s58
	s_delay_alu instid0(SALU_CYCLE_1)
	s_mov_b32 s58, exec_lo
	v_cmpx_lt_u32_e64 v134, v165
	s_cbranch_execz .LBB730_1081
.LBB730_1147:                           ;   in Loop: Header=BB730_982 Depth=2
	global_load_b64 v[50:51], v[58:59], off offset:768
	s_wait_xcnt 0x0
	s_or_b32 exec_lo, exec_lo, s58
	s_delay_alu instid0(SALU_CYCLE_1)
	s_mov_b32 s58, exec_lo
	v_cmpx_lt_u32_e64 v135, v165
	s_cbranch_execz .LBB730_1082
.LBB730_1148:                           ;   in Loop: Header=BB730_982 Depth=2
	global_load_b64 v[48:49], v[58:59], off offset:1024
	s_wait_xcnt 0x0
	s_or_b32 exec_lo, exec_lo, s58
	s_delay_alu instid0(SALU_CYCLE_1)
	s_mov_b32 s58, exec_lo
	v_cmpx_lt_u32_e64 v136, v165
	s_cbranch_execz .LBB730_1083
.LBB730_1149:                           ;   in Loop: Header=BB730_982 Depth=2
	global_load_b64 v[46:47], v[58:59], off offset:1280
	s_wait_xcnt 0x0
	s_or_b32 exec_lo, exec_lo, s58
	s_delay_alu instid0(SALU_CYCLE_1)
	s_mov_b32 s58, exec_lo
	v_cmpx_lt_u32_e64 v137, v165
	s_cbranch_execz .LBB730_1084
.LBB730_1150:                           ;   in Loop: Header=BB730_982 Depth=2
	global_load_b64 v[44:45], v[58:59], off offset:1536
	s_wait_xcnt 0x0
	s_or_b32 exec_lo, exec_lo, s58
	s_delay_alu instid0(SALU_CYCLE_1)
	s_mov_b32 s58, exec_lo
	v_cmpx_lt_u32_e64 v138, v165
	s_cbranch_execz .LBB730_1085
.LBB730_1151:                           ;   in Loop: Header=BB730_982 Depth=2
	global_load_b64 v[42:43], v[58:59], off offset:1792
	s_wait_xcnt 0x0
	s_or_b32 exec_lo, exec_lo, s58
	s_delay_alu instid0(SALU_CYCLE_1)
	s_mov_b32 s58, exec_lo
	v_cmpx_lt_u32_e64 v139, v165
	s_cbranch_execz .LBB730_1086
.LBB730_1152:                           ;   in Loop: Header=BB730_982 Depth=2
	global_load_b64 v[40:41], v[58:59], off offset:2048
	s_wait_xcnt 0x0
	s_or_b32 exec_lo, exec_lo, s58
	s_delay_alu instid0(SALU_CYCLE_1)
	s_mov_b32 s58, exec_lo
	v_cmpx_lt_u32_e64 v140, v165
	s_cbranch_execz .LBB730_1087
.LBB730_1153:                           ;   in Loop: Header=BB730_982 Depth=2
	global_load_b64 v[38:39], v[58:59], off offset:2304
	s_wait_xcnt 0x0
	s_or_b32 exec_lo, exec_lo, s58
	s_delay_alu instid0(SALU_CYCLE_1)
	s_mov_b32 s58, exec_lo
	v_cmpx_lt_u32_e64 v141, v165
	s_cbranch_execz .LBB730_1088
.LBB730_1154:                           ;   in Loop: Header=BB730_982 Depth=2
	global_load_b64 v[36:37], v[58:59], off offset:2560
	s_wait_xcnt 0x0
	s_or_b32 exec_lo, exec_lo, s58
	s_delay_alu instid0(SALU_CYCLE_1)
	s_mov_b32 s58, exec_lo
	v_cmpx_lt_u32_e64 v142, v165
	s_cbranch_execz .LBB730_1089
.LBB730_1155:                           ;   in Loop: Header=BB730_982 Depth=2
	global_load_b64 v[34:35], v[58:59], off offset:2816
	s_wait_xcnt 0x0
	s_or_b32 exec_lo, exec_lo, s58
	s_delay_alu instid0(SALU_CYCLE_1)
	s_mov_b32 s58, exec_lo
	v_cmpx_lt_u32_e64 v143, v165
	s_cbranch_execz .LBB730_1090
.LBB730_1156:                           ;   in Loop: Header=BB730_982 Depth=2
	global_load_b64 v[32:33], v[58:59], off offset:3072
	s_wait_xcnt 0x0
	s_or_b32 exec_lo, exec_lo, s58
	s_delay_alu instid0(SALU_CYCLE_1)
	s_mov_b32 s58, exec_lo
	v_cmpx_lt_u32_e64 v144, v165
	s_cbranch_execz .LBB730_1091
.LBB730_1157:                           ;   in Loop: Header=BB730_982 Depth=2
	global_load_b64 v[30:31], v[58:59], off offset:3328
	s_wait_xcnt 0x0
	s_or_b32 exec_lo, exec_lo, s58
	s_delay_alu instid0(SALU_CYCLE_1)
	s_mov_b32 s58, exec_lo
	v_cmpx_lt_u32_e64 v145, v165
	s_cbranch_execz .LBB730_1092
.LBB730_1158:                           ;   in Loop: Header=BB730_982 Depth=2
	global_load_b64 v[28:29], v[58:59], off offset:3584
	s_wait_xcnt 0x0
	s_or_b32 exec_lo, exec_lo, s58
	s_delay_alu instid0(SALU_CYCLE_1)
	s_mov_b32 s58, exec_lo
	v_cmpx_lt_u32_e64 v146, v165
	s_cbranch_execz .LBB730_1093
.LBB730_1159:                           ;   in Loop: Header=BB730_982 Depth=2
	global_load_b64 v[26:27], v[58:59], off offset:3840
	s_wait_xcnt 0x0
	s_or_b32 exec_lo, exec_lo, s58
	s_and_saveexec_b32 s30, vcc_lo
	s_cbranch_execz .LBB730_1094
.LBB730_1160:                           ;   in Loop: Header=BB730_982 Depth=2
	ds_load_b64 v[58:59], v123 offset:1024
	s_wait_dscnt 0x0
	v_lshrrev_b64 v[58:59], s43, v[58:59]
	s_delay_alu instid0(VALU_DEP_1)
	v_and_b32_e32 v164, s55, v58
	s_or_b32 exec_lo, exec_lo, s30
	s_and_saveexec_b32 s30, s15
	s_cbranch_execz .LBB730_1095
.LBB730_1161:                           ;   in Loop: Header=BB730_982 Depth=2
	ds_load_b64 v[58:59], v123 offset:3072
	s_wait_dscnt 0x0
	v_lshrrev_b64 v[58:59], s43, v[58:59]
	s_delay_alu instid0(VALU_DEP_1)
	v_and_b32_e32 v163, s55, v58
	s_or_b32 exec_lo, exec_lo, s30
	s_and_saveexec_b32 s30, s16
	s_cbranch_execz .LBB730_1096
.LBB730_1162:                           ;   in Loop: Header=BB730_982 Depth=2
	ds_load_b64 v[58:59], v123 offset:5120
	s_wait_dscnt 0x0
	v_lshrrev_b64 v[58:59], s43, v[58:59]
	s_delay_alu instid0(VALU_DEP_1)
	v_and_b32_e32 v162, s55, v58
	s_or_b32 exec_lo, exec_lo, s30
	s_and_saveexec_b32 s30, s17
	s_cbranch_execz .LBB730_1097
.LBB730_1163:                           ;   in Loop: Header=BB730_982 Depth=2
	ds_load_b64 v[58:59], v123 offset:7168
	s_wait_dscnt 0x0
	v_lshrrev_b64 v[58:59], s43, v[58:59]
	s_delay_alu instid0(VALU_DEP_1)
	v_and_b32_e32 v161, s55, v58
	s_or_b32 exec_lo, exec_lo, s30
	s_and_saveexec_b32 s30, s18
	s_cbranch_execz .LBB730_1098
.LBB730_1164:                           ;   in Loop: Header=BB730_982 Depth=2
	ds_load_b64 v[58:59], v123 offset:9216
	s_wait_dscnt 0x0
	v_lshrrev_b64 v[58:59], s43, v[58:59]
	s_delay_alu instid0(VALU_DEP_1)
	v_and_b32_e32 v160, s55, v58
	s_or_b32 exec_lo, exec_lo, s30
	s_and_saveexec_b32 s30, s19
	s_cbranch_execz .LBB730_1099
.LBB730_1165:                           ;   in Loop: Header=BB730_982 Depth=2
	ds_load_b64 v[58:59], v123 offset:11264
	s_wait_dscnt 0x0
	v_lshrrev_b64 v[58:59], s43, v[58:59]
	s_delay_alu instid0(VALU_DEP_1)
	v_and_b32_e32 v159, s55, v58
	s_or_b32 exec_lo, exec_lo, s30
	s_and_saveexec_b32 s30, s20
	s_cbranch_execz .LBB730_1100
.LBB730_1166:                           ;   in Loop: Header=BB730_982 Depth=2
	ds_load_b64 v[58:59], v123 offset:13312
	s_wait_dscnt 0x0
	v_lshrrev_b64 v[58:59], s43, v[58:59]
	s_delay_alu instid0(VALU_DEP_1)
	v_and_b32_e32 v158, s55, v58
	s_or_b32 exec_lo, exec_lo, s30
	s_and_saveexec_b32 s30, s21
	s_cbranch_execz .LBB730_1101
.LBB730_1167:                           ;   in Loop: Header=BB730_982 Depth=2
	ds_load_b64 v[58:59], v123 offset:15360
	s_wait_dscnt 0x0
	v_lshrrev_b64 v[58:59], s43, v[58:59]
	s_delay_alu instid0(VALU_DEP_1)
	v_and_b32_e32 v157, s55, v58
	s_or_b32 exec_lo, exec_lo, s30
	s_and_saveexec_b32 s30, s22
	s_cbranch_execz .LBB730_1102
.LBB730_1168:                           ;   in Loop: Header=BB730_982 Depth=2
	ds_load_b64 v[58:59], v123 offset:17408
	s_wait_dscnt 0x0
	v_lshrrev_b64 v[58:59], s43, v[58:59]
	s_delay_alu instid0(VALU_DEP_1)
	v_and_b32_e32 v156, s55, v58
	s_or_b32 exec_lo, exec_lo, s30
	s_and_saveexec_b32 s30, s23
	s_cbranch_execz .LBB730_1103
.LBB730_1169:                           ;   in Loop: Header=BB730_982 Depth=2
	ds_load_b64 v[58:59], v123 offset:19456
	s_wait_dscnt 0x0
	v_lshrrev_b64 v[58:59], s43, v[58:59]
	s_delay_alu instid0(VALU_DEP_1)
	v_and_b32_e32 v155, s55, v58
	s_or_b32 exec_lo, exec_lo, s30
	s_and_saveexec_b32 s30, s24
	s_cbranch_execz .LBB730_1104
.LBB730_1170:                           ;   in Loop: Header=BB730_982 Depth=2
	ds_load_b64 v[58:59], v123 offset:21504
	s_wait_dscnt 0x0
	v_lshrrev_b64 v[58:59], s43, v[58:59]
	s_delay_alu instid0(VALU_DEP_1)
	v_and_b32_e32 v154, s55, v58
	s_or_b32 exec_lo, exec_lo, s30
	s_and_saveexec_b32 s30, s25
	s_cbranch_execz .LBB730_1105
.LBB730_1171:                           ;   in Loop: Header=BB730_982 Depth=2
	ds_load_b64 v[58:59], v123 offset:23552
	s_wait_dscnt 0x0
	v_lshrrev_b64 v[58:59], s43, v[58:59]
	s_delay_alu instid0(VALU_DEP_1)
	v_and_b32_e32 v153, s55, v58
	s_or_b32 exec_lo, exec_lo, s30
	s_and_saveexec_b32 s30, s26
	s_cbranch_execz .LBB730_1106
.LBB730_1172:                           ;   in Loop: Header=BB730_982 Depth=2
	ds_load_b64 v[58:59], v123 offset:25600
	s_wait_dscnt 0x0
	v_lshrrev_b64 v[58:59], s43, v[58:59]
	s_delay_alu instid0(VALU_DEP_1)
	v_and_b32_e32 v152, s55, v58
	s_or_b32 exec_lo, exec_lo, s30
	s_and_saveexec_b32 s30, s27
	s_cbranch_execz .LBB730_1107
.LBB730_1173:                           ;   in Loop: Header=BB730_982 Depth=2
	ds_load_b64 v[58:59], v123 offset:27648
	s_wait_dscnt 0x0
	v_lshrrev_b64 v[58:59], s43, v[58:59]
	s_delay_alu instid0(VALU_DEP_1)
	v_and_b32_e32 v151, s55, v58
	s_or_b32 exec_lo, exec_lo, s30
	s_and_saveexec_b32 s30, s28
	s_cbranch_execz .LBB730_1108
.LBB730_1174:                           ;   in Loop: Header=BB730_982 Depth=2
	ds_load_b64 v[58:59], v123 offset:29696
	s_wait_dscnt 0x0
	v_lshrrev_b64 v[58:59], s43, v[58:59]
	s_delay_alu instid0(VALU_DEP_1)
	v_and_b32_e32 v150, s55, v58
	s_or_b32 exec_lo, exec_lo, s30
	s_and_saveexec_b32 s30, s29
	s_cbranch_execnz .LBB730_1109
	s_branch .LBB730_1110
.LBB730_1175:                           ;   in Loop: Header=BB730_982 Depth=2
	v_lshlrev_b32_e32 v58, 2, v164
	ds_load_b32 v60, v58
	ds_load_b64 v[58:59], v123 offset:1024
	s_wait_dscnt 0x1
	v_add_nc_u32_e32 v60, v60, v2
	s_wait_dscnt 0x0
	global_store_b64 v60, v[58:59], s[46:47] scale_offset
	s_wait_xcnt 0x0
	s_or_b32 exec_lo, exec_lo, s30
	s_and_saveexec_b32 s30, s15
	s_cbranch_execz .LBB730_1112
.LBB730_1176:                           ;   in Loop: Header=BB730_982 Depth=2
	v_lshlrev_b32_e32 v58, 2, v163
	ds_load_b32 v60, v58
	ds_load_b64 v[58:59], v123 offset:3072
	s_wait_dscnt 0x1
	v_add_nc_u32_e32 v60, v60, v98
	s_wait_dscnt 0x0
	global_store_b64 v60, v[58:59], s[46:47] scale_offset
	s_wait_xcnt 0x0
	s_or_b32 exec_lo, exec_lo, s30
	s_and_saveexec_b32 s15, s16
	s_cbranch_execz .LBB730_1113
.LBB730_1177:                           ;   in Loop: Header=BB730_982 Depth=2
	v_lshlrev_b32_e32 v58, 2, v162
	ds_load_b32 v60, v58
	ds_load_b64 v[58:59], v123 offset:5120
	s_wait_dscnt 0x1
	v_add_nc_u32_e32 v60, v60, v99
	s_wait_dscnt 0x0
	global_store_b64 v60, v[58:59], s[46:47] scale_offset
	s_wait_xcnt 0x0
	s_or_b32 exec_lo, exec_lo, s15
	s_and_saveexec_b32 s15, s17
	s_cbranch_execz .LBB730_1114
.LBB730_1178:                           ;   in Loop: Header=BB730_982 Depth=2
	v_lshlrev_b32_e32 v58, 2, v161
	ds_load_b32 v60, v58
	ds_load_b64 v[58:59], v123 offset:7168
	s_wait_dscnt 0x1
	v_add_nc_u32_e32 v60, v60, v100
	s_wait_dscnt 0x0
	global_store_b64 v60, v[58:59], s[46:47] scale_offset
	s_wait_xcnt 0x0
	s_or_b32 exec_lo, exec_lo, s15
	s_and_saveexec_b32 s15, s18
	s_cbranch_execz .LBB730_1115
.LBB730_1179:                           ;   in Loop: Header=BB730_982 Depth=2
	v_lshlrev_b32_e32 v58, 2, v160
	ds_load_b32 v60, v58
	ds_load_b64 v[58:59], v123 offset:9216
	s_wait_dscnt 0x1
	v_add_nc_u32_e32 v60, v60, v101
	s_wait_dscnt 0x0
	global_store_b64 v60, v[58:59], s[46:47] scale_offset
	s_wait_xcnt 0x0
	s_or_b32 exec_lo, exec_lo, s15
	s_and_saveexec_b32 s15, s19
	s_cbranch_execz .LBB730_1116
.LBB730_1180:                           ;   in Loop: Header=BB730_982 Depth=2
	v_lshlrev_b32_e32 v58, 2, v159
	ds_load_b32 v60, v58
	ds_load_b64 v[58:59], v123 offset:11264
	s_wait_dscnt 0x1
	v_add_nc_u32_e32 v60, v60, v102
	s_wait_dscnt 0x0
	global_store_b64 v60, v[58:59], s[46:47] scale_offset
	s_wait_xcnt 0x0
	s_or_b32 exec_lo, exec_lo, s15
	s_and_saveexec_b32 s15, s20
	s_cbranch_execz .LBB730_1117
.LBB730_1181:                           ;   in Loop: Header=BB730_982 Depth=2
	v_lshlrev_b32_e32 v58, 2, v158
	ds_load_b32 v60, v58
	ds_load_b64 v[58:59], v123 offset:13312
	s_wait_dscnt 0x1
	v_add_nc_u32_e32 v60, v60, v103
	s_wait_dscnt 0x0
	global_store_b64 v60, v[58:59], s[46:47] scale_offset
	s_wait_xcnt 0x0
	s_or_b32 exec_lo, exec_lo, s15
	s_and_saveexec_b32 s15, s21
	s_cbranch_execz .LBB730_1118
.LBB730_1182:                           ;   in Loop: Header=BB730_982 Depth=2
	v_lshlrev_b32_e32 v58, 2, v157
	ds_load_b32 v60, v58
	ds_load_b64 v[58:59], v123 offset:15360
	s_wait_dscnt 0x1
	v_add_nc_u32_e32 v60, v60, v104
	s_wait_dscnt 0x0
	global_store_b64 v60, v[58:59], s[46:47] scale_offset
	s_wait_xcnt 0x0
	s_or_b32 exec_lo, exec_lo, s15
	s_and_saveexec_b32 s15, s22
	s_cbranch_execz .LBB730_1119
.LBB730_1183:                           ;   in Loop: Header=BB730_982 Depth=2
	v_lshlrev_b32_e32 v58, 2, v156
	ds_load_b32 v60, v58
	ds_load_b64 v[58:59], v123 offset:17408
	s_wait_dscnt 0x1
	v_add_nc_u32_e32 v60, v60, v105
	s_wait_dscnt 0x0
	global_store_b64 v60, v[58:59], s[46:47] scale_offset
	s_wait_xcnt 0x0
	s_or_b32 exec_lo, exec_lo, s15
	s_and_saveexec_b32 s15, s23
	s_cbranch_execz .LBB730_1120
.LBB730_1184:                           ;   in Loop: Header=BB730_982 Depth=2
	v_lshlrev_b32_e32 v58, 2, v155
	ds_load_b32 v60, v58
	ds_load_b64 v[58:59], v123 offset:19456
	s_wait_dscnt 0x1
	v_add_nc_u32_e32 v60, v60, v106
	s_wait_dscnt 0x0
	global_store_b64 v60, v[58:59], s[46:47] scale_offset
	s_wait_xcnt 0x0
	s_or_b32 exec_lo, exec_lo, s15
	s_and_saveexec_b32 s15, s24
	s_cbranch_execz .LBB730_1121
.LBB730_1185:                           ;   in Loop: Header=BB730_982 Depth=2
	v_lshlrev_b32_e32 v58, 2, v154
	ds_load_b32 v60, v58
	ds_load_b64 v[58:59], v123 offset:21504
	s_wait_dscnt 0x1
	v_add_nc_u32_e32 v60, v60, v107
	s_wait_dscnt 0x0
	global_store_b64 v60, v[58:59], s[46:47] scale_offset
	s_wait_xcnt 0x0
	s_or_b32 exec_lo, exec_lo, s15
	s_and_saveexec_b32 s15, s25
	s_cbranch_execz .LBB730_1122
.LBB730_1186:                           ;   in Loop: Header=BB730_982 Depth=2
	v_lshlrev_b32_e32 v58, 2, v153
	ds_load_b32 v60, v58
	ds_load_b64 v[58:59], v123 offset:23552
	s_wait_dscnt 0x1
	v_add_nc_u32_e32 v60, v60, v108
	s_wait_dscnt 0x0
	global_store_b64 v60, v[58:59], s[46:47] scale_offset
	s_wait_xcnt 0x0
	s_or_b32 exec_lo, exec_lo, s15
	s_and_saveexec_b32 s15, s26
	s_cbranch_execz .LBB730_1123
.LBB730_1187:                           ;   in Loop: Header=BB730_982 Depth=2
	v_lshlrev_b32_e32 v58, 2, v152
	ds_load_b32 v60, v58
	ds_load_b64 v[58:59], v123 offset:25600
	s_wait_dscnt 0x1
	v_add_nc_u32_e32 v60, v60, v109
	s_wait_dscnt 0x0
	global_store_b64 v60, v[58:59], s[46:47] scale_offset
	s_wait_xcnt 0x0
	s_or_b32 exec_lo, exec_lo, s15
	s_and_saveexec_b32 s15, s27
	s_cbranch_execz .LBB730_1124
.LBB730_1188:                           ;   in Loop: Header=BB730_982 Depth=2
	v_lshlrev_b32_e32 v58, 2, v151
	ds_load_b32 v60, v58
	ds_load_b64 v[58:59], v123 offset:27648
	s_wait_dscnt 0x1
	v_add_nc_u32_e32 v60, v60, v110
	s_wait_dscnt 0x0
	global_store_b64 v60, v[58:59], s[46:47] scale_offset
	s_wait_xcnt 0x0
	s_or_b32 exec_lo, exec_lo, s15
	s_and_saveexec_b32 s15, s28
	s_cbranch_execz .LBB730_1125
.LBB730_1189:                           ;   in Loop: Header=BB730_982 Depth=2
	v_lshlrev_b32_e32 v58, 2, v150
	ds_load_b32 v60, v58
	ds_load_b64 v[58:59], v123 offset:29696
	s_wait_dscnt 0x1
	v_add_nc_u32_e32 v60, v60, v111
	s_wait_dscnt 0x0
	global_store_b64 v60, v[58:59], s[46:47] scale_offset
	s_wait_xcnt 0x0
	s_or_b32 exec_lo, exec_lo, s15
	s_and_saveexec_b32 s15, s29
	s_cbranch_execnz .LBB730_1126
	s_branch .LBB730_1127
.LBB730_1190:
	s_endpgm
	.section	.rodata,"a",@progbits
	.p2align	6, 0x0
	.amdhsa_kernel _ZN7rocprim17ROCPRIM_400000_NS6detail17trampoline_kernelINS0_14default_configENS1_36segmented_radix_sort_config_selectorIllEEZNS1_25segmented_radix_sort_implIS3_Lb1EPKlPlS8_S9_N2at6native12_GLOBAL__N_18offset_tEEE10hipError_tPvRmT1_PNSt15iterator_traitsISH_E10value_typeET2_T3_PNSI_ISN_E10value_typeET4_jRbjT5_ST_jjP12ihipStream_tbEUlT_E2_NS1_11comp_targetILNS1_3genE0ELNS1_11target_archE4294967295ELNS1_3gpuE0ELNS1_3repE0EEENS1_30default_config_static_selectorELNS0_4arch9wavefront6targetE0EEEvSH_
		.amdhsa_group_segment_fixed_size 33824
		.amdhsa_private_segment_fixed_size 0
		.amdhsa_kernarg_size 336
		.amdhsa_user_sgpr_count 4
		.amdhsa_user_sgpr_dispatch_ptr 0
		.amdhsa_user_sgpr_queue_ptr 1
		.amdhsa_user_sgpr_kernarg_segment_ptr 1
		.amdhsa_user_sgpr_dispatch_id 0
		.amdhsa_user_sgpr_kernarg_preload_length 0
		.amdhsa_user_sgpr_kernarg_preload_offset 0
		.amdhsa_user_sgpr_private_segment_size 0
		.amdhsa_wavefront_size32 1
		.amdhsa_uses_dynamic_stack 0
		.amdhsa_enable_private_segment 0
		.amdhsa_system_sgpr_workgroup_id_x 1
		.amdhsa_system_sgpr_workgroup_id_y 1
		.amdhsa_system_sgpr_workgroup_id_z 0
		.amdhsa_system_sgpr_workgroup_info 0
		.amdhsa_system_vgpr_workitem_id 2
		.amdhsa_next_free_vgpr 319
		.amdhsa_next_free_sgpr 60
		.amdhsa_named_barrier_count 0
		.amdhsa_reserve_vcc 1
		.amdhsa_float_round_mode_32 0
		.amdhsa_float_round_mode_16_64 0
		.amdhsa_float_denorm_mode_32 3
		.amdhsa_float_denorm_mode_16_64 3
		.amdhsa_fp16_overflow 0
		.amdhsa_memory_ordered 1
		.amdhsa_forward_progress 1
		.amdhsa_inst_pref_size 255
		.amdhsa_round_robin_scheduling 0
		.amdhsa_exception_fp_ieee_invalid_op 0
		.amdhsa_exception_fp_denorm_src 0
		.amdhsa_exception_fp_ieee_div_zero 0
		.amdhsa_exception_fp_ieee_overflow 0
		.amdhsa_exception_fp_ieee_underflow 0
		.amdhsa_exception_fp_ieee_inexact 0
		.amdhsa_exception_int_div_zero 0
	.end_amdhsa_kernel
	.section	.text._ZN7rocprim17ROCPRIM_400000_NS6detail17trampoline_kernelINS0_14default_configENS1_36segmented_radix_sort_config_selectorIllEEZNS1_25segmented_radix_sort_implIS3_Lb1EPKlPlS8_S9_N2at6native12_GLOBAL__N_18offset_tEEE10hipError_tPvRmT1_PNSt15iterator_traitsISH_E10value_typeET2_T3_PNSI_ISN_E10value_typeET4_jRbjT5_ST_jjP12ihipStream_tbEUlT_E2_NS1_11comp_targetILNS1_3genE0ELNS1_11target_archE4294967295ELNS1_3gpuE0ELNS1_3repE0EEENS1_30default_config_static_selectorELNS0_4arch9wavefront6targetE0EEEvSH_,"axG",@progbits,_ZN7rocprim17ROCPRIM_400000_NS6detail17trampoline_kernelINS0_14default_configENS1_36segmented_radix_sort_config_selectorIllEEZNS1_25segmented_radix_sort_implIS3_Lb1EPKlPlS8_S9_N2at6native12_GLOBAL__N_18offset_tEEE10hipError_tPvRmT1_PNSt15iterator_traitsISH_E10value_typeET2_T3_PNSI_ISN_E10value_typeET4_jRbjT5_ST_jjP12ihipStream_tbEUlT_E2_NS1_11comp_targetILNS1_3genE0ELNS1_11target_archE4294967295ELNS1_3gpuE0ELNS1_3repE0EEENS1_30default_config_static_selectorELNS0_4arch9wavefront6targetE0EEEvSH_,comdat
.Lfunc_end730:
	.size	_ZN7rocprim17ROCPRIM_400000_NS6detail17trampoline_kernelINS0_14default_configENS1_36segmented_radix_sort_config_selectorIllEEZNS1_25segmented_radix_sort_implIS3_Lb1EPKlPlS8_S9_N2at6native12_GLOBAL__N_18offset_tEEE10hipError_tPvRmT1_PNSt15iterator_traitsISH_E10value_typeET2_T3_PNSI_ISN_E10value_typeET4_jRbjT5_ST_jjP12ihipStream_tbEUlT_E2_NS1_11comp_targetILNS1_3genE0ELNS1_11target_archE4294967295ELNS1_3gpuE0ELNS1_3repE0EEENS1_30default_config_static_selectorELNS0_4arch9wavefront6targetE0EEEvSH_, .Lfunc_end730-_ZN7rocprim17ROCPRIM_400000_NS6detail17trampoline_kernelINS0_14default_configENS1_36segmented_radix_sort_config_selectorIllEEZNS1_25segmented_radix_sort_implIS3_Lb1EPKlPlS8_S9_N2at6native12_GLOBAL__N_18offset_tEEE10hipError_tPvRmT1_PNSt15iterator_traitsISH_E10value_typeET2_T3_PNSI_ISN_E10value_typeET4_jRbjT5_ST_jjP12ihipStream_tbEUlT_E2_NS1_11comp_targetILNS1_3genE0ELNS1_11target_archE4294967295ELNS1_3gpuE0ELNS1_3repE0EEENS1_30default_config_static_selectorELNS0_4arch9wavefront6targetE0EEEvSH_
                                        ; -- End function
	.set _ZN7rocprim17ROCPRIM_400000_NS6detail17trampoline_kernelINS0_14default_configENS1_36segmented_radix_sort_config_selectorIllEEZNS1_25segmented_radix_sort_implIS3_Lb1EPKlPlS8_S9_N2at6native12_GLOBAL__N_18offset_tEEE10hipError_tPvRmT1_PNSt15iterator_traitsISH_E10value_typeET2_T3_PNSI_ISN_E10value_typeET4_jRbjT5_ST_jjP12ihipStream_tbEUlT_E2_NS1_11comp_targetILNS1_3genE0ELNS1_11target_archE4294967295ELNS1_3gpuE0ELNS1_3repE0EEENS1_30default_config_static_selectorELNS0_4arch9wavefront6targetE0EEEvSH_.num_vgpr, max(220, .L_ZN7rocprim17ROCPRIM_400000_NS6detail26segmented_warp_sort_helperINS1_20WarpSortHelperConfigILj8ELj4ELj256EEEllLi256ELb1EvE4sortIPKlPlS8_S9_EEvT_T0_T1_T2_jjjjRNS5_12storage_typeE.num_vgpr, .L_ZN7rocprim17ROCPRIM_400000_NS6detail40segmented_radix_sort_single_block_helperIllLj256ELj16ELb1EE4sortIPKlPlS6_S7_EEbT_T0_T1_T2_jjjjRNS3_12storage_typeE.num_vgpr)
	.set _ZN7rocprim17ROCPRIM_400000_NS6detail17trampoline_kernelINS0_14default_configENS1_36segmented_radix_sort_config_selectorIllEEZNS1_25segmented_radix_sort_implIS3_Lb1EPKlPlS8_S9_N2at6native12_GLOBAL__N_18offset_tEEE10hipError_tPvRmT1_PNSt15iterator_traitsISH_E10value_typeET2_T3_PNSI_ISN_E10value_typeET4_jRbjT5_ST_jjP12ihipStream_tbEUlT_E2_NS1_11comp_targetILNS1_3genE0ELNS1_11target_archE4294967295ELNS1_3gpuE0ELNS1_3repE0EEENS1_30default_config_static_selectorELNS0_4arch9wavefront6targetE0EEEvSH_.num_agpr, max(0, .L_ZN7rocprim17ROCPRIM_400000_NS6detail26segmented_warp_sort_helperINS1_20WarpSortHelperConfigILj8ELj4ELj256EEEllLi256ELb1EvE4sortIPKlPlS8_S9_EEvT_T0_T1_T2_jjjjRNS5_12storage_typeE.num_agpr, .L_ZN7rocprim17ROCPRIM_400000_NS6detail40segmented_radix_sort_single_block_helperIllLj256ELj16ELb1EE4sortIPKlPlS6_S7_EEbT_T0_T1_T2_jjjjRNS3_12storage_typeE.num_agpr)
	.set _ZN7rocprim17ROCPRIM_400000_NS6detail17trampoline_kernelINS0_14default_configENS1_36segmented_radix_sort_config_selectorIllEEZNS1_25segmented_radix_sort_implIS3_Lb1EPKlPlS8_S9_N2at6native12_GLOBAL__N_18offset_tEEE10hipError_tPvRmT1_PNSt15iterator_traitsISH_E10value_typeET2_T3_PNSI_ISN_E10value_typeET4_jRbjT5_ST_jjP12ihipStream_tbEUlT_E2_NS1_11comp_targetILNS1_3genE0ELNS1_11target_archE4294967295ELNS1_3gpuE0ELNS1_3repE0EEENS1_30default_config_static_selectorELNS0_4arch9wavefront6targetE0EEEvSH_.numbered_sgpr, max(60, .L_ZN7rocprim17ROCPRIM_400000_NS6detail26segmented_warp_sort_helperINS1_20WarpSortHelperConfigILj8ELj4ELj256EEEllLi256ELb1EvE4sortIPKlPlS8_S9_EEvT_T0_T1_T2_jjjjRNS5_12storage_typeE.numbered_sgpr, .L_ZN7rocprim17ROCPRIM_400000_NS6detail40segmented_radix_sort_single_block_helperIllLj256ELj16ELb1EE4sortIPKlPlS6_S7_EEbT_T0_T1_T2_jjjjRNS3_12storage_typeE.numbered_sgpr)
	.set _ZN7rocprim17ROCPRIM_400000_NS6detail17trampoline_kernelINS0_14default_configENS1_36segmented_radix_sort_config_selectorIllEEZNS1_25segmented_radix_sort_implIS3_Lb1EPKlPlS8_S9_N2at6native12_GLOBAL__N_18offset_tEEE10hipError_tPvRmT1_PNSt15iterator_traitsISH_E10value_typeET2_T3_PNSI_ISN_E10value_typeET4_jRbjT5_ST_jjP12ihipStream_tbEUlT_E2_NS1_11comp_targetILNS1_3genE0ELNS1_11target_archE4294967295ELNS1_3gpuE0ELNS1_3repE0EEENS1_30default_config_static_selectorELNS0_4arch9wavefront6targetE0EEEvSH_.num_named_barrier, max(0, .L_ZN7rocprim17ROCPRIM_400000_NS6detail26segmented_warp_sort_helperINS1_20WarpSortHelperConfigILj8ELj4ELj256EEEllLi256ELb1EvE4sortIPKlPlS8_S9_EEvT_T0_T1_T2_jjjjRNS5_12storage_typeE.num_named_barrier, .L_ZN7rocprim17ROCPRIM_400000_NS6detail40segmented_radix_sort_single_block_helperIllLj256ELj16ELb1EE4sortIPKlPlS6_S7_EEbT_T0_T1_T2_jjjjRNS3_12storage_typeE.num_named_barrier)
	.set _ZN7rocprim17ROCPRIM_400000_NS6detail17trampoline_kernelINS0_14default_configENS1_36segmented_radix_sort_config_selectorIllEEZNS1_25segmented_radix_sort_implIS3_Lb1EPKlPlS8_S9_N2at6native12_GLOBAL__N_18offset_tEEE10hipError_tPvRmT1_PNSt15iterator_traitsISH_E10value_typeET2_T3_PNSI_ISN_E10value_typeET4_jRbjT5_ST_jjP12ihipStream_tbEUlT_E2_NS1_11comp_targetILNS1_3genE0ELNS1_11target_archE4294967295ELNS1_3gpuE0ELNS1_3repE0EEENS1_30default_config_static_selectorELNS0_4arch9wavefront6targetE0EEEvSH_.private_seg_size, 0+max(.L_ZN7rocprim17ROCPRIM_400000_NS6detail26segmented_warp_sort_helperINS1_20WarpSortHelperConfigILj8ELj4ELj256EEEllLi256ELb1EvE4sortIPKlPlS8_S9_EEvT_T0_T1_T2_jjjjRNS5_12storage_typeE.private_seg_size, .L_ZN7rocprim17ROCPRIM_400000_NS6detail40segmented_radix_sort_single_block_helperIllLj256ELj16ELb1EE4sortIPKlPlS6_S7_EEbT_T0_T1_T2_jjjjRNS3_12storage_typeE.private_seg_size)
	.set _ZN7rocprim17ROCPRIM_400000_NS6detail17trampoline_kernelINS0_14default_configENS1_36segmented_radix_sort_config_selectorIllEEZNS1_25segmented_radix_sort_implIS3_Lb1EPKlPlS8_S9_N2at6native12_GLOBAL__N_18offset_tEEE10hipError_tPvRmT1_PNSt15iterator_traitsISH_E10value_typeET2_T3_PNSI_ISN_E10value_typeET4_jRbjT5_ST_jjP12ihipStream_tbEUlT_E2_NS1_11comp_targetILNS1_3genE0ELNS1_11target_archE4294967295ELNS1_3gpuE0ELNS1_3repE0EEENS1_30default_config_static_selectorELNS0_4arch9wavefront6targetE0EEEvSH_.uses_vcc, or(1, .L_ZN7rocprim17ROCPRIM_400000_NS6detail26segmented_warp_sort_helperINS1_20WarpSortHelperConfigILj8ELj4ELj256EEEllLi256ELb1EvE4sortIPKlPlS8_S9_EEvT_T0_T1_T2_jjjjRNS5_12storage_typeE.uses_vcc, .L_ZN7rocprim17ROCPRIM_400000_NS6detail40segmented_radix_sort_single_block_helperIllLj256ELj16ELb1EE4sortIPKlPlS6_S7_EEbT_T0_T1_T2_jjjjRNS3_12storage_typeE.uses_vcc)
	.set _ZN7rocprim17ROCPRIM_400000_NS6detail17trampoline_kernelINS0_14default_configENS1_36segmented_radix_sort_config_selectorIllEEZNS1_25segmented_radix_sort_implIS3_Lb1EPKlPlS8_S9_N2at6native12_GLOBAL__N_18offset_tEEE10hipError_tPvRmT1_PNSt15iterator_traitsISH_E10value_typeET2_T3_PNSI_ISN_E10value_typeET4_jRbjT5_ST_jjP12ihipStream_tbEUlT_E2_NS1_11comp_targetILNS1_3genE0ELNS1_11target_archE4294967295ELNS1_3gpuE0ELNS1_3repE0EEENS1_30default_config_static_selectorELNS0_4arch9wavefront6targetE0EEEvSH_.uses_flat_scratch, or(0, .L_ZN7rocprim17ROCPRIM_400000_NS6detail26segmented_warp_sort_helperINS1_20WarpSortHelperConfigILj8ELj4ELj256EEEllLi256ELb1EvE4sortIPKlPlS8_S9_EEvT_T0_T1_T2_jjjjRNS5_12storage_typeE.uses_flat_scratch, .L_ZN7rocprim17ROCPRIM_400000_NS6detail40segmented_radix_sort_single_block_helperIllLj256ELj16ELb1EE4sortIPKlPlS6_S7_EEbT_T0_T1_T2_jjjjRNS3_12storage_typeE.uses_flat_scratch)
	.set _ZN7rocprim17ROCPRIM_400000_NS6detail17trampoline_kernelINS0_14default_configENS1_36segmented_radix_sort_config_selectorIllEEZNS1_25segmented_radix_sort_implIS3_Lb1EPKlPlS8_S9_N2at6native12_GLOBAL__N_18offset_tEEE10hipError_tPvRmT1_PNSt15iterator_traitsISH_E10value_typeET2_T3_PNSI_ISN_E10value_typeET4_jRbjT5_ST_jjP12ihipStream_tbEUlT_E2_NS1_11comp_targetILNS1_3genE0ELNS1_11target_archE4294967295ELNS1_3gpuE0ELNS1_3repE0EEENS1_30default_config_static_selectorELNS0_4arch9wavefront6targetE0EEEvSH_.has_dyn_sized_stack, or(0, .L_ZN7rocprim17ROCPRIM_400000_NS6detail26segmented_warp_sort_helperINS1_20WarpSortHelperConfigILj8ELj4ELj256EEEllLi256ELb1EvE4sortIPKlPlS8_S9_EEvT_T0_T1_T2_jjjjRNS5_12storage_typeE.has_dyn_sized_stack, .L_ZN7rocprim17ROCPRIM_400000_NS6detail40segmented_radix_sort_single_block_helperIllLj256ELj16ELb1EE4sortIPKlPlS6_S7_EEbT_T0_T1_T2_jjjjRNS3_12storage_typeE.has_dyn_sized_stack)
	.set _ZN7rocprim17ROCPRIM_400000_NS6detail17trampoline_kernelINS0_14default_configENS1_36segmented_radix_sort_config_selectorIllEEZNS1_25segmented_radix_sort_implIS3_Lb1EPKlPlS8_S9_N2at6native12_GLOBAL__N_18offset_tEEE10hipError_tPvRmT1_PNSt15iterator_traitsISH_E10value_typeET2_T3_PNSI_ISN_E10value_typeET4_jRbjT5_ST_jjP12ihipStream_tbEUlT_E2_NS1_11comp_targetILNS1_3genE0ELNS1_11target_archE4294967295ELNS1_3gpuE0ELNS1_3repE0EEENS1_30default_config_static_selectorELNS0_4arch9wavefront6targetE0EEEvSH_.has_recursion, or(0, .L_ZN7rocprim17ROCPRIM_400000_NS6detail26segmented_warp_sort_helperINS1_20WarpSortHelperConfigILj8ELj4ELj256EEEllLi256ELb1EvE4sortIPKlPlS8_S9_EEvT_T0_T1_T2_jjjjRNS5_12storage_typeE.has_recursion, .L_ZN7rocprim17ROCPRIM_400000_NS6detail40segmented_radix_sort_single_block_helperIllLj256ELj16ELb1EE4sortIPKlPlS6_S7_EEbT_T0_T1_T2_jjjjRNS3_12storage_typeE.has_recursion)
	.set _ZN7rocprim17ROCPRIM_400000_NS6detail17trampoline_kernelINS0_14default_configENS1_36segmented_radix_sort_config_selectorIllEEZNS1_25segmented_radix_sort_implIS3_Lb1EPKlPlS8_S9_N2at6native12_GLOBAL__N_18offset_tEEE10hipError_tPvRmT1_PNSt15iterator_traitsISH_E10value_typeET2_T3_PNSI_ISN_E10value_typeET4_jRbjT5_ST_jjP12ihipStream_tbEUlT_E2_NS1_11comp_targetILNS1_3genE0ELNS1_11target_archE4294967295ELNS1_3gpuE0ELNS1_3repE0EEENS1_30default_config_static_selectorELNS0_4arch9wavefront6targetE0EEEvSH_.has_indirect_call, or(0, .L_ZN7rocprim17ROCPRIM_400000_NS6detail26segmented_warp_sort_helperINS1_20WarpSortHelperConfigILj8ELj4ELj256EEEllLi256ELb1EvE4sortIPKlPlS8_S9_EEvT_T0_T1_T2_jjjjRNS5_12storage_typeE.has_indirect_call, .L_ZN7rocprim17ROCPRIM_400000_NS6detail40segmented_radix_sort_single_block_helperIllLj256ELj16ELb1EE4sortIPKlPlS6_S7_EEbT_T0_T1_T2_jjjjRNS3_12storage_typeE.has_indirect_call)
	.section	.AMDGPU.csdata,"",@progbits
; Kernel info:
; codeLenInByte = 70756
; TotalNumSgprs: 62
; NumVgprs: 319
; ScratchSize: 0
; MemoryBound: 0
; FloatMode: 240
; IeeeMode: 1
; LDSByteSize: 33824 bytes/workgroup (compile time only)
; SGPRBlocks: 0
; VGPRBlocks: 19
; NumSGPRsForWavesPerEU: 62
; NumVGPRsForWavesPerEU: 319
; NamedBarCnt: 0
; Occupancy: 3
; WaveLimiterHint : 1
; COMPUTE_PGM_RSRC2:SCRATCH_EN: 0
; COMPUTE_PGM_RSRC2:USER_SGPR: 4
; COMPUTE_PGM_RSRC2:TRAP_HANDLER: 0
; COMPUTE_PGM_RSRC2:TGID_X_EN: 1
; COMPUTE_PGM_RSRC2:TGID_Y_EN: 1
; COMPUTE_PGM_RSRC2:TGID_Z_EN: 0
; COMPUTE_PGM_RSRC2:TIDIG_COMP_CNT: 2
	.section	.text._ZN7rocprim17ROCPRIM_400000_NS6detail17trampoline_kernelINS0_14default_configENS1_36segmented_radix_sort_config_selectorIllEEZNS1_25segmented_radix_sort_implIS3_Lb1EPKlPlS8_S9_N2at6native12_GLOBAL__N_18offset_tEEE10hipError_tPvRmT1_PNSt15iterator_traitsISH_E10value_typeET2_T3_PNSI_ISN_E10value_typeET4_jRbjT5_ST_jjP12ihipStream_tbEUlT_E2_NS1_11comp_targetILNS1_3genE5ELNS1_11target_archE942ELNS1_3gpuE9ELNS1_3repE0EEENS1_30default_config_static_selectorELNS0_4arch9wavefront6targetE0EEEvSH_,"axG",@progbits,_ZN7rocprim17ROCPRIM_400000_NS6detail17trampoline_kernelINS0_14default_configENS1_36segmented_radix_sort_config_selectorIllEEZNS1_25segmented_radix_sort_implIS3_Lb1EPKlPlS8_S9_N2at6native12_GLOBAL__N_18offset_tEEE10hipError_tPvRmT1_PNSt15iterator_traitsISH_E10value_typeET2_T3_PNSI_ISN_E10value_typeET4_jRbjT5_ST_jjP12ihipStream_tbEUlT_E2_NS1_11comp_targetILNS1_3genE5ELNS1_11target_archE942ELNS1_3gpuE9ELNS1_3repE0EEENS1_30default_config_static_selectorELNS0_4arch9wavefront6targetE0EEEvSH_,comdat
	.globl	_ZN7rocprim17ROCPRIM_400000_NS6detail17trampoline_kernelINS0_14default_configENS1_36segmented_radix_sort_config_selectorIllEEZNS1_25segmented_radix_sort_implIS3_Lb1EPKlPlS8_S9_N2at6native12_GLOBAL__N_18offset_tEEE10hipError_tPvRmT1_PNSt15iterator_traitsISH_E10value_typeET2_T3_PNSI_ISN_E10value_typeET4_jRbjT5_ST_jjP12ihipStream_tbEUlT_E2_NS1_11comp_targetILNS1_3genE5ELNS1_11target_archE942ELNS1_3gpuE9ELNS1_3repE0EEENS1_30default_config_static_selectorELNS0_4arch9wavefront6targetE0EEEvSH_ ; -- Begin function _ZN7rocprim17ROCPRIM_400000_NS6detail17trampoline_kernelINS0_14default_configENS1_36segmented_radix_sort_config_selectorIllEEZNS1_25segmented_radix_sort_implIS3_Lb1EPKlPlS8_S9_N2at6native12_GLOBAL__N_18offset_tEEE10hipError_tPvRmT1_PNSt15iterator_traitsISH_E10value_typeET2_T3_PNSI_ISN_E10value_typeET4_jRbjT5_ST_jjP12ihipStream_tbEUlT_E2_NS1_11comp_targetILNS1_3genE5ELNS1_11target_archE942ELNS1_3gpuE9ELNS1_3repE0EEENS1_30default_config_static_selectorELNS0_4arch9wavefront6targetE0EEEvSH_
	.p2align	8
	.type	_ZN7rocprim17ROCPRIM_400000_NS6detail17trampoline_kernelINS0_14default_configENS1_36segmented_radix_sort_config_selectorIllEEZNS1_25segmented_radix_sort_implIS3_Lb1EPKlPlS8_S9_N2at6native12_GLOBAL__N_18offset_tEEE10hipError_tPvRmT1_PNSt15iterator_traitsISH_E10value_typeET2_T3_PNSI_ISN_E10value_typeET4_jRbjT5_ST_jjP12ihipStream_tbEUlT_E2_NS1_11comp_targetILNS1_3genE5ELNS1_11target_archE942ELNS1_3gpuE9ELNS1_3repE0EEENS1_30default_config_static_selectorELNS0_4arch9wavefront6targetE0EEEvSH_,@function
_ZN7rocprim17ROCPRIM_400000_NS6detail17trampoline_kernelINS0_14default_configENS1_36segmented_radix_sort_config_selectorIllEEZNS1_25segmented_radix_sort_implIS3_Lb1EPKlPlS8_S9_N2at6native12_GLOBAL__N_18offset_tEEE10hipError_tPvRmT1_PNSt15iterator_traitsISH_E10value_typeET2_T3_PNSI_ISN_E10value_typeET4_jRbjT5_ST_jjP12ihipStream_tbEUlT_E2_NS1_11comp_targetILNS1_3genE5ELNS1_11target_archE942ELNS1_3gpuE9ELNS1_3repE0EEENS1_30default_config_static_selectorELNS0_4arch9wavefront6targetE0EEEvSH_: ; @_ZN7rocprim17ROCPRIM_400000_NS6detail17trampoline_kernelINS0_14default_configENS1_36segmented_radix_sort_config_selectorIllEEZNS1_25segmented_radix_sort_implIS3_Lb1EPKlPlS8_S9_N2at6native12_GLOBAL__N_18offset_tEEE10hipError_tPvRmT1_PNSt15iterator_traitsISH_E10value_typeET2_T3_PNSI_ISN_E10value_typeET4_jRbjT5_ST_jjP12ihipStream_tbEUlT_E2_NS1_11comp_targetILNS1_3genE5ELNS1_11target_archE942ELNS1_3gpuE9ELNS1_3repE0EEENS1_30default_config_static_selectorELNS0_4arch9wavefront6targetE0EEEvSH_
; %bb.0:
	.section	.rodata,"a",@progbits
	.p2align	6, 0x0
	.amdhsa_kernel _ZN7rocprim17ROCPRIM_400000_NS6detail17trampoline_kernelINS0_14default_configENS1_36segmented_radix_sort_config_selectorIllEEZNS1_25segmented_radix_sort_implIS3_Lb1EPKlPlS8_S9_N2at6native12_GLOBAL__N_18offset_tEEE10hipError_tPvRmT1_PNSt15iterator_traitsISH_E10value_typeET2_T3_PNSI_ISN_E10value_typeET4_jRbjT5_ST_jjP12ihipStream_tbEUlT_E2_NS1_11comp_targetILNS1_3genE5ELNS1_11target_archE942ELNS1_3gpuE9ELNS1_3repE0EEENS1_30default_config_static_selectorELNS0_4arch9wavefront6targetE0EEEvSH_
		.amdhsa_group_segment_fixed_size 0
		.amdhsa_private_segment_fixed_size 0
		.amdhsa_kernarg_size 80
		.amdhsa_user_sgpr_count 2
		.amdhsa_user_sgpr_dispatch_ptr 0
		.amdhsa_user_sgpr_queue_ptr 0
		.amdhsa_user_sgpr_kernarg_segment_ptr 1
		.amdhsa_user_sgpr_dispatch_id 0
		.amdhsa_user_sgpr_kernarg_preload_length 0
		.amdhsa_user_sgpr_kernarg_preload_offset 0
		.amdhsa_user_sgpr_private_segment_size 0
		.amdhsa_wavefront_size32 1
		.amdhsa_uses_dynamic_stack 0
		.amdhsa_enable_private_segment 0
		.amdhsa_system_sgpr_workgroup_id_x 1
		.amdhsa_system_sgpr_workgroup_id_y 0
		.amdhsa_system_sgpr_workgroup_id_z 0
		.amdhsa_system_sgpr_workgroup_info 0
		.amdhsa_system_vgpr_workitem_id 0
		.amdhsa_next_free_vgpr 1
		.amdhsa_next_free_sgpr 1
		.amdhsa_named_barrier_count 0
		.amdhsa_reserve_vcc 0
		.amdhsa_float_round_mode_32 0
		.amdhsa_float_round_mode_16_64 0
		.amdhsa_float_denorm_mode_32 3
		.amdhsa_float_denorm_mode_16_64 3
		.amdhsa_fp16_overflow 0
		.amdhsa_memory_ordered 1
		.amdhsa_forward_progress 1
		.amdhsa_inst_pref_size 0
		.amdhsa_round_robin_scheduling 0
		.amdhsa_exception_fp_ieee_invalid_op 0
		.amdhsa_exception_fp_denorm_src 0
		.amdhsa_exception_fp_ieee_div_zero 0
		.amdhsa_exception_fp_ieee_overflow 0
		.amdhsa_exception_fp_ieee_underflow 0
		.amdhsa_exception_fp_ieee_inexact 0
		.amdhsa_exception_int_div_zero 0
	.end_amdhsa_kernel
	.section	.text._ZN7rocprim17ROCPRIM_400000_NS6detail17trampoline_kernelINS0_14default_configENS1_36segmented_radix_sort_config_selectorIllEEZNS1_25segmented_radix_sort_implIS3_Lb1EPKlPlS8_S9_N2at6native12_GLOBAL__N_18offset_tEEE10hipError_tPvRmT1_PNSt15iterator_traitsISH_E10value_typeET2_T3_PNSI_ISN_E10value_typeET4_jRbjT5_ST_jjP12ihipStream_tbEUlT_E2_NS1_11comp_targetILNS1_3genE5ELNS1_11target_archE942ELNS1_3gpuE9ELNS1_3repE0EEENS1_30default_config_static_selectorELNS0_4arch9wavefront6targetE0EEEvSH_,"axG",@progbits,_ZN7rocprim17ROCPRIM_400000_NS6detail17trampoline_kernelINS0_14default_configENS1_36segmented_radix_sort_config_selectorIllEEZNS1_25segmented_radix_sort_implIS3_Lb1EPKlPlS8_S9_N2at6native12_GLOBAL__N_18offset_tEEE10hipError_tPvRmT1_PNSt15iterator_traitsISH_E10value_typeET2_T3_PNSI_ISN_E10value_typeET4_jRbjT5_ST_jjP12ihipStream_tbEUlT_E2_NS1_11comp_targetILNS1_3genE5ELNS1_11target_archE942ELNS1_3gpuE9ELNS1_3repE0EEENS1_30default_config_static_selectorELNS0_4arch9wavefront6targetE0EEEvSH_,comdat
.Lfunc_end731:
	.size	_ZN7rocprim17ROCPRIM_400000_NS6detail17trampoline_kernelINS0_14default_configENS1_36segmented_radix_sort_config_selectorIllEEZNS1_25segmented_radix_sort_implIS3_Lb1EPKlPlS8_S9_N2at6native12_GLOBAL__N_18offset_tEEE10hipError_tPvRmT1_PNSt15iterator_traitsISH_E10value_typeET2_T3_PNSI_ISN_E10value_typeET4_jRbjT5_ST_jjP12ihipStream_tbEUlT_E2_NS1_11comp_targetILNS1_3genE5ELNS1_11target_archE942ELNS1_3gpuE9ELNS1_3repE0EEENS1_30default_config_static_selectorELNS0_4arch9wavefront6targetE0EEEvSH_, .Lfunc_end731-_ZN7rocprim17ROCPRIM_400000_NS6detail17trampoline_kernelINS0_14default_configENS1_36segmented_radix_sort_config_selectorIllEEZNS1_25segmented_radix_sort_implIS3_Lb1EPKlPlS8_S9_N2at6native12_GLOBAL__N_18offset_tEEE10hipError_tPvRmT1_PNSt15iterator_traitsISH_E10value_typeET2_T3_PNSI_ISN_E10value_typeET4_jRbjT5_ST_jjP12ihipStream_tbEUlT_E2_NS1_11comp_targetILNS1_3genE5ELNS1_11target_archE942ELNS1_3gpuE9ELNS1_3repE0EEENS1_30default_config_static_selectorELNS0_4arch9wavefront6targetE0EEEvSH_
                                        ; -- End function
	.set _ZN7rocprim17ROCPRIM_400000_NS6detail17trampoline_kernelINS0_14default_configENS1_36segmented_radix_sort_config_selectorIllEEZNS1_25segmented_radix_sort_implIS3_Lb1EPKlPlS8_S9_N2at6native12_GLOBAL__N_18offset_tEEE10hipError_tPvRmT1_PNSt15iterator_traitsISH_E10value_typeET2_T3_PNSI_ISN_E10value_typeET4_jRbjT5_ST_jjP12ihipStream_tbEUlT_E2_NS1_11comp_targetILNS1_3genE5ELNS1_11target_archE942ELNS1_3gpuE9ELNS1_3repE0EEENS1_30default_config_static_selectorELNS0_4arch9wavefront6targetE0EEEvSH_.num_vgpr, 0
	.set _ZN7rocprim17ROCPRIM_400000_NS6detail17trampoline_kernelINS0_14default_configENS1_36segmented_radix_sort_config_selectorIllEEZNS1_25segmented_radix_sort_implIS3_Lb1EPKlPlS8_S9_N2at6native12_GLOBAL__N_18offset_tEEE10hipError_tPvRmT1_PNSt15iterator_traitsISH_E10value_typeET2_T3_PNSI_ISN_E10value_typeET4_jRbjT5_ST_jjP12ihipStream_tbEUlT_E2_NS1_11comp_targetILNS1_3genE5ELNS1_11target_archE942ELNS1_3gpuE9ELNS1_3repE0EEENS1_30default_config_static_selectorELNS0_4arch9wavefront6targetE0EEEvSH_.num_agpr, 0
	.set _ZN7rocprim17ROCPRIM_400000_NS6detail17trampoline_kernelINS0_14default_configENS1_36segmented_radix_sort_config_selectorIllEEZNS1_25segmented_radix_sort_implIS3_Lb1EPKlPlS8_S9_N2at6native12_GLOBAL__N_18offset_tEEE10hipError_tPvRmT1_PNSt15iterator_traitsISH_E10value_typeET2_T3_PNSI_ISN_E10value_typeET4_jRbjT5_ST_jjP12ihipStream_tbEUlT_E2_NS1_11comp_targetILNS1_3genE5ELNS1_11target_archE942ELNS1_3gpuE9ELNS1_3repE0EEENS1_30default_config_static_selectorELNS0_4arch9wavefront6targetE0EEEvSH_.numbered_sgpr, 0
	.set _ZN7rocprim17ROCPRIM_400000_NS6detail17trampoline_kernelINS0_14default_configENS1_36segmented_radix_sort_config_selectorIllEEZNS1_25segmented_radix_sort_implIS3_Lb1EPKlPlS8_S9_N2at6native12_GLOBAL__N_18offset_tEEE10hipError_tPvRmT1_PNSt15iterator_traitsISH_E10value_typeET2_T3_PNSI_ISN_E10value_typeET4_jRbjT5_ST_jjP12ihipStream_tbEUlT_E2_NS1_11comp_targetILNS1_3genE5ELNS1_11target_archE942ELNS1_3gpuE9ELNS1_3repE0EEENS1_30default_config_static_selectorELNS0_4arch9wavefront6targetE0EEEvSH_.num_named_barrier, 0
	.set _ZN7rocprim17ROCPRIM_400000_NS6detail17trampoline_kernelINS0_14default_configENS1_36segmented_radix_sort_config_selectorIllEEZNS1_25segmented_radix_sort_implIS3_Lb1EPKlPlS8_S9_N2at6native12_GLOBAL__N_18offset_tEEE10hipError_tPvRmT1_PNSt15iterator_traitsISH_E10value_typeET2_T3_PNSI_ISN_E10value_typeET4_jRbjT5_ST_jjP12ihipStream_tbEUlT_E2_NS1_11comp_targetILNS1_3genE5ELNS1_11target_archE942ELNS1_3gpuE9ELNS1_3repE0EEENS1_30default_config_static_selectorELNS0_4arch9wavefront6targetE0EEEvSH_.private_seg_size, 0
	.set _ZN7rocprim17ROCPRIM_400000_NS6detail17trampoline_kernelINS0_14default_configENS1_36segmented_radix_sort_config_selectorIllEEZNS1_25segmented_radix_sort_implIS3_Lb1EPKlPlS8_S9_N2at6native12_GLOBAL__N_18offset_tEEE10hipError_tPvRmT1_PNSt15iterator_traitsISH_E10value_typeET2_T3_PNSI_ISN_E10value_typeET4_jRbjT5_ST_jjP12ihipStream_tbEUlT_E2_NS1_11comp_targetILNS1_3genE5ELNS1_11target_archE942ELNS1_3gpuE9ELNS1_3repE0EEENS1_30default_config_static_selectorELNS0_4arch9wavefront6targetE0EEEvSH_.uses_vcc, 0
	.set _ZN7rocprim17ROCPRIM_400000_NS6detail17trampoline_kernelINS0_14default_configENS1_36segmented_radix_sort_config_selectorIllEEZNS1_25segmented_radix_sort_implIS3_Lb1EPKlPlS8_S9_N2at6native12_GLOBAL__N_18offset_tEEE10hipError_tPvRmT1_PNSt15iterator_traitsISH_E10value_typeET2_T3_PNSI_ISN_E10value_typeET4_jRbjT5_ST_jjP12ihipStream_tbEUlT_E2_NS1_11comp_targetILNS1_3genE5ELNS1_11target_archE942ELNS1_3gpuE9ELNS1_3repE0EEENS1_30default_config_static_selectorELNS0_4arch9wavefront6targetE0EEEvSH_.uses_flat_scratch, 0
	.set _ZN7rocprim17ROCPRIM_400000_NS6detail17trampoline_kernelINS0_14default_configENS1_36segmented_radix_sort_config_selectorIllEEZNS1_25segmented_radix_sort_implIS3_Lb1EPKlPlS8_S9_N2at6native12_GLOBAL__N_18offset_tEEE10hipError_tPvRmT1_PNSt15iterator_traitsISH_E10value_typeET2_T3_PNSI_ISN_E10value_typeET4_jRbjT5_ST_jjP12ihipStream_tbEUlT_E2_NS1_11comp_targetILNS1_3genE5ELNS1_11target_archE942ELNS1_3gpuE9ELNS1_3repE0EEENS1_30default_config_static_selectorELNS0_4arch9wavefront6targetE0EEEvSH_.has_dyn_sized_stack, 0
	.set _ZN7rocprim17ROCPRIM_400000_NS6detail17trampoline_kernelINS0_14default_configENS1_36segmented_radix_sort_config_selectorIllEEZNS1_25segmented_radix_sort_implIS3_Lb1EPKlPlS8_S9_N2at6native12_GLOBAL__N_18offset_tEEE10hipError_tPvRmT1_PNSt15iterator_traitsISH_E10value_typeET2_T3_PNSI_ISN_E10value_typeET4_jRbjT5_ST_jjP12ihipStream_tbEUlT_E2_NS1_11comp_targetILNS1_3genE5ELNS1_11target_archE942ELNS1_3gpuE9ELNS1_3repE0EEENS1_30default_config_static_selectorELNS0_4arch9wavefront6targetE0EEEvSH_.has_recursion, 0
	.set _ZN7rocprim17ROCPRIM_400000_NS6detail17trampoline_kernelINS0_14default_configENS1_36segmented_radix_sort_config_selectorIllEEZNS1_25segmented_radix_sort_implIS3_Lb1EPKlPlS8_S9_N2at6native12_GLOBAL__N_18offset_tEEE10hipError_tPvRmT1_PNSt15iterator_traitsISH_E10value_typeET2_T3_PNSI_ISN_E10value_typeET4_jRbjT5_ST_jjP12ihipStream_tbEUlT_E2_NS1_11comp_targetILNS1_3genE5ELNS1_11target_archE942ELNS1_3gpuE9ELNS1_3repE0EEENS1_30default_config_static_selectorELNS0_4arch9wavefront6targetE0EEEvSH_.has_indirect_call, 0
	.section	.AMDGPU.csdata,"",@progbits
; Kernel info:
; codeLenInByte = 0
; TotalNumSgprs: 0
; NumVgprs: 0
; ScratchSize: 0
; MemoryBound: 0
; FloatMode: 240
; IeeeMode: 1
; LDSByteSize: 0 bytes/workgroup (compile time only)
; SGPRBlocks: 0
; VGPRBlocks: 0
; NumSGPRsForWavesPerEU: 1
; NumVGPRsForWavesPerEU: 1
; NamedBarCnt: 0
; Occupancy: 16
; WaveLimiterHint : 0
; COMPUTE_PGM_RSRC2:SCRATCH_EN: 0
; COMPUTE_PGM_RSRC2:USER_SGPR: 2
; COMPUTE_PGM_RSRC2:TRAP_HANDLER: 0
; COMPUTE_PGM_RSRC2:TGID_X_EN: 1
; COMPUTE_PGM_RSRC2:TGID_Y_EN: 0
; COMPUTE_PGM_RSRC2:TGID_Z_EN: 0
; COMPUTE_PGM_RSRC2:TIDIG_COMP_CNT: 0
	.section	.text._ZN7rocprim17ROCPRIM_400000_NS6detail17trampoline_kernelINS0_14default_configENS1_36segmented_radix_sort_config_selectorIllEEZNS1_25segmented_radix_sort_implIS3_Lb1EPKlPlS8_S9_N2at6native12_GLOBAL__N_18offset_tEEE10hipError_tPvRmT1_PNSt15iterator_traitsISH_E10value_typeET2_T3_PNSI_ISN_E10value_typeET4_jRbjT5_ST_jjP12ihipStream_tbEUlT_E2_NS1_11comp_targetILNS1_3genE4ELNS1_11target_archE910ELNS1_3gpuE8ELNS1_3repE0EEENS1_30default_config_static_selectorELNS0_4arch9wavefront6targetE0EEEvSH_,"axG",@progbits,_ZN7rocprim17ROCPRIM_400000_NS6detail17trampoline_kernelINS0_14default_configENS1_36segmented_radix_sort_config_selectorIllEEZNS1_25segmented_radix_sort_implIS3_Lb1EPKlPlS8_S9_N2at6native12_GLOBAL__N_18offset_tEEE10hipError_tPvRmT1_PNSt15iterator_traitsISH_E10value_typeET2_T3_PNSI_ISN_E10value_typeET4_jRbjT5_ST_jjP12ihipStream_tbEUlT_E2_NS1_11comp_targetILNS1_3genE4ELNS1_11target_archE910ELNS1_3gpuE8ELNS1_3repE0EEENS1_30default_config_static_selectorELNS0_4arch9wavefront6targetE0EEEvSH_,comdat
	.globl	_ZN7rocprim17ROCPRIM_400000_NS6detail17trampoline_kernelINS0_14default_configENS1_36segmented_radix_sort_config_selectorIllEEZNS1_25segmented_radix_sort_implIS3_Lb1EPKlPlS8_S9_N2at6native12_GLOBAL__N_18offset_tEEE10hipError_tPvRmT1_PNSt15iterator_traitsISH_E10value_typeET2_T3_PNSI_ISN_E10value_typeET4_jRbjT5_ST_jjP12ihipStream_tbEUlT_E2_NS1_11comp_targetILNS1_3genE4ELNS1_11target_archE910ELNS1_3gpuE8ELNS1_3repE0EEENS1_30default_config_static_selectorELNS0_4arch9wavefront6targetE0EEEvSH_ ; -- Begin function _ZN7rocprim17ROCPRIM_400000_NS6detail17trampoline_kernelINS0_14default_configENS1_36segmented_radix_sort_config_selectorIllEEZNS1_25segmented_radix_sort_implIS3_Lb1EPKlPlS8_S9_N2at6native12_GLOBAL__N_18offset_tEEE10hipError_tPvRmT1_PNSt15iterator_traitsISH_E10value_typeET2_T3_PNSI_ISN_E10value_typeET4_jRbjT5_ST_jjP12ihipStream_tbEUlT_E2_NS1_11comp_targetILNS1_3genE4ELNS1_11target_archE910ELNS1_3gpuE8ELNS1_3repE0EEENS1_30default_config_static_selectorELNS0_4arch9wavefront6targetE0EEEvSH_
	.p2align	8
	.type	_ZN7rocprim17ROCPRIM_400000_NS6detail17trampoline_kernelINS0_14default_configENS1_36segmented_radix_sort_config_selectorIllEEZNS1_25segmented_radix_sort_implIS3_Lb1EPKlPlS8_S9_N2at6native12_GLOBAL__N_18offset_tEEE10hipError_tPvRmT1_PNSt15iterator_traitsISH_E10value_typeET2_T3_PNSI_ISN_E10value_typeET4_jRbjT5_ST_jjP12ihipStream_tbEUlT_E2_NS1_11comp_targetILNS1_3genE4ELNS1_11target_archE910ELNS1_3gpuE8ELNS1_3repE0EEENS1_30default_config_static_selectorELNS0_4arch9wavefront6targetE0EEEvSH_,@function
_ZN7rocprim17ROCPRIM_400000_NS6detail17trampoline_kernelINS0_14default_configENS1_36segmented_radix_sort_config_selectorIllEEZNS1_25segmented_radix_sort_implIS3_Lb1EPKlPlS8_S9_N2at6native12_GLOBAL__N_18offset_tEEE10hipError_tPvRmT1_PNSt15iterator_traitsISH_E10value_typeET2_T3_PNSI_ISN_E10value_typeET4_jRbjT5_ST_jjP12ihipStream_tbEUlT_E2_NS1_11comp_targetILNS1_3genE4ELNS1_11target_archE910ELNS1_3gpuE8ELNS1_3repE0EEENS1_30default_config_static_selectorELNS0_4arch9wavefront6targetE0EEEvSH_: ; @_ZN7rocprim17ROCPRIM_400000_NS6detail17trampoline_kernelINS0_14default_configENS1_36segmented_radix_sort_config_selectorIllEEZNS1_25segmented_radix_sort_implIS3_Lb1EPKlPlS8_S9_N2at6native12_GLOBAL__N_18offset_tEEE10hipError_tPvRmT1_PNSt15iterator_traitsISH_E10value_typeET2_T3_PNSI_ISN_E10value_typeET4_jRbjT5_ST_jjP12ihipStream_tbEUlT_E2_NS1_11comp_targetILNS1_3genE4ELNS1_11target_archE910ELNS1_3gpuE8ELNS1_3repE0EEENS1_30default_config_static_selectorELNS0_4arch9wavefront6targetE0EEEvSH_
; %bb.0:
	.section	.rodata,"a",@progbits
	.p2align	6, 0x0
	.amdhsa_kernel _ZN7rocprim17ROCPRIM_400000_NS6detail17trampoline_kernelINS0_14default_configENS1_36segmented_radix_sort_config_selectorIllEEZNS1_25segmented_radix_sort_implIS3_Lb1EPKlPlS8_S9_N2at6native12_GLOBAL__N_18offset_tEEE10hipError_tPvRmT1_PNSt15iterator_traitsISH_E10value_typeET2_T3_PNSI_ISN_E10value_typeET4_jRbjT5_ST_jjP12ihipStream_tbEUlT_E2_NS1_11comp_targetILNS1_3genE4ELNS1_11target_archE910ELNS1_3gpuE8ELNS1_3repE0EEENS1_30default_config_static_selectorELNS0_4arch9wavefront6targetE0EEEvSH_
		.amdhsa_group_segment_fixed_size 0
		.amdhsa_private_segment_fixed_size 0
		.amdhsa_kernarg_size 80
		.amdhsa_user_sgpr_count 2
		.amdhsa_user_sgpr_dispatch_ptr 0
		.amdhsa_user_sgpr_queue_ptr 0
		.amdhsa_user_sgpr_kernarg_segment_ptr 1
		.amdhsa_user_sgpr_dispatch_id 0
		.amdhsa_user_sgpr_kernarg_preload_length 0
		.amdhsa_user_sgpr_kernarg_preload_offset 0
		.amdhsa_user_sgpr_private_segment_size 0
		.amdhsa_wavefront_size32 1
		.amdhsa_uses_dynamic_stack 0
		.amdhsa_enable_private_segment 0
		.amdhsa_system_sgpr_workgroup_id_x 1
		.amdhsa_system_sgpr_workgroup_id_y 0
		.amdhsa_system_sgpr_workgroup_id_z 0
		.amdhsa_system_sgpr_workgroup_info 0
		.amdhsa_system_vgpr_workitem_id 0
		.amdhsa_next_free_vgpr 1
		.amdhsa_next_free_sgpr 1
		.amdhsa_named_barrier_count 0
		.amdhsa_reserve_vcc 0
		.amdhsa_float_round_mode_32 0
		.amdhsa_float_round_mode_16_64 0
		.amdhsa_float_denorm_mode_32 3
		.amdhsa_float_denorm_mode_16_64 3
		.amdhsa_fp16_overflow 0
		.amdhsa_memory_ordered 1
		.amdhsa_forward_progress 1
		.amdhsa_inst_pref_size 0
		.amdhsa_round_robin_scheduling 0
		.amdhsa_exception_fp_ieee_invalid_op 0
		.amdhsa_exception_fp_denorm_src 0
		.amdhsa_exception_fp_ieee_div_zero 0
		.amdhsa_exception_fp_ieee_overflow 0
		.amdhsa_exception_fp_ieee_underflow 0
		.amdhsa_exception_fp_ieee_inexact 0
		.amdhsa_exception_int_div_zero 0
	.end_amdhsa_kernel
	.section	.text._ZN7rocprim17ROCPRIM_400000_NS6detail17trampoline_kernelINS0_14default_configENS1_36segmented_radix_sort_config_selectorIllEEZNS1_25segmented_radix_sort_implIS3_Lb1EPKlPlS8_S9_N2at6native12_GLOBAL__N_18offset_tEEE10hipError_tPvRmT1_PNSt15iterator_traitsISH_E10value_typeET2_T3_PNSI_ISN_E10value_typeET4_jRbjT5_ST_jjP12ihipStream_tbEUlT_E2_NS1_11comp_targetILNS1_3genE4ELNS1_11target_archE910ELNS1_3gpuE8ELNS1_3repE0EEENS1_30default_config_static_selectorELNS0_4arch9wavefront6targetE0EEEvSH_,"axG",@progbits,_ZN7rocprim17ROCPRIM_400000_NS6detail17trampoline_kernelINS0_14default_configENS1_36segmented_radix_sort_config_selectorIllEEZNS1_25segmented_radix_sort_implIS3_Lb1EPKlPlS8_S9_N2at6native12_GLOBAL__N_18offset_tEEE10hipError_tPvRmT1_PNSt15iterator_traitsISH_E10value_typeET2_T3_PNSI_ISN_E10value_typeET4_jRbjT5_ST_jjP12ihipStream_tbEUlT_E2_NS1_11comp_targetILNS1_3genE4ELNS1_11target_archE910ELNS1_3gpuE8ELNS1_3repE0EEENS1_30default_config_static_selectorELNS0_4arch9wavefront6targetE0EEEvSH_,comdat
.Lfunc_end732:
	.size	_ZN7rocprim17ROCPRIM_400000_NS6detail17trampoline_kernelINS0_14default_configENS1_36segmented_radix_sort_config_selectorIllEEZNS1_25segmented_radix_sort_implIS3_Lb1EPKlPlS8_S9_N2at6native12_GLOBAL__N_18offset_tEEE10hipError_tPvRmT1_PNSt15iterator_traitsISH_E10value_typeET2_T3_PNSI_ISN_E10value_typeET4_jRbjT5_ST_jjP12ihipStream_tbEUlT_E2_NS1_11comp_targetILNS1_3genE4ELNS1_11target_archE910ELNS1_3gpuE8ELNS1_3repE0EEENS1_30default_config_static_selectorELNS0_4arch9wavefront6targetE0EEEvSH_, .Lfunc_end732-_ZN7rocprim17ROCPRIM_400000_NS6detail17trampoline_kernelINS0_14default_configENS1_36segmented_radix_sort_config_selectorIllEEZNS1_25segmented_radix_sort_implIS3_Lb1EPKlPlS8_S9_N2at6native12_GLOBAL__N_18offset_tEEE10hipError_tPvRmT1_PNSt15iterator_traitsISH_E10value_typeET2_T3_PNSI_ISN_E10value_typeET4_jRbjT5_ST_jjP12ihipStream_tbEUlT_E2_NS1_11comp_targetILNS1_3genE4ELNS1_11target_archE910ELNS1_3gpuE8ELNS1_3repE0EEENS1_30default_config_static_selectorELNS0_4arch9wavefront6targetE0EEEvSH_
                                        ; -- End function
	.set _ZN7rocprim17ROCPRIM_400000_NS6detail17trampoline_kernelINS0_14default_configENS1_36segmented_radix_sort_config_selectorIllEEZNS1_25segmented_radix_sort_implIS3_Lb1EPKlPlS8_S9_N2at6native12_GLOBAL__N_18offset_tEEE10hipError_tPvRmT1_PNSt15iterator_traitsISH_E10value_typeET2_T3_PNSI_ISN_E10value_typeET4_jRbjT5_ST_jjP12ihipStream_tbEUlT_E2_NS1_11comp_targetILNS1_3genE4ELNS1_11target_archE910ELNS1_3gpuE8ELNS1_3repE0EEENS1_30default_config_static_selectorELNS0_4arch9wavefront6targetE0EEEvSH_.num_vgpr, 0
	.set _ZN7rocprim17ROCPRIM_400000_NS6detail17trampoline_kernelINS0_14default_configENS1_36segmented_radix_sort_config_selectorIllEEZNS1_25segmented_radix_sort_implIS3_Lb1EPKlPlS8_S9_N2at6native12_GLOBAL__N_18offset_tEEE10hipError_tPvRmT1_PNSt15iterator_traitsISH_E10value_typeET2_T3_PNSI_ISN_E10value_typeET4_jRbjT5_ST_jjP12ihipStream_tbEUlT_E2_NS1_11comp_targetILNS1_3genE4ELNS1_11target_archE910ELNS1_3gpuE8ELNS1_3repE0EEENS1_30default_config_static_selectorELNS0_4arch9wavefront6targetE0EEEvSH_.num_agpr, 0
	.set _ZN7rocprim17ROCPRIM_400000_NS6detail17trampoline_kernelINS0_14default_configENS1_36segmented_radix_sort_config_selectorIllEEZNS1_25segmented_radix_sort_implIS3_Lb1EPKlPlS8_S9_N2at6native12_GLOBAL__N_18offset_tEEE10hipError_tPvRmT1_PNSt15iterator_traitsISH_E10value_typeET2_T3_PNSI_ISN_E10value_typeET4_jRbjT5_ST_jjP12ihipStream_tbEUlT_E2_NS1_11comp_targetILNS1_3genE4ELNS1_11target_archE910ELNS1_3gpuE8ELNS1_3repE0EEENS1_30default_config_static_selectorELNS0_4arch9wavefront6targetE0EEEvSH_.numbered_sgpr, 0
	.set _ZN7rocprim17ROCPRIM_400000_NS6detail17trampoline_kernelINS0_14default_configENS1_36segmented_radix_sort_config_selectorIllEEZNS1_25segmented_radix_sort_implIS3_Lb1EPKlPlS8_S9_N2at6native12_GLOBAL__N_18offset_tEEE10hipError_tPvRmT1_PNSt15iterator_traitsISH_E10value_typeET2_T3_PNSI_ISN_E10value_typeET4_jRbjT5_ST_jjP12ihipStream_tbEUlT_E2_NS1_11comp_targetILNS1_3genE4ELNS1_11target_archE910ELNS1_3gpuE8ELNS1_3repE0EEENS1_30default_config_static_selectorELNS0_4arch9wavefront6targetE0EEEvSH_.num_named_barrier, 0
	.set _ZN7rocprim17ROCPRIM_400000_NS6detail17trampoline_kernelINS0_14default_configENS1_36segmented_radix_sort_config_selectorIllEEZNS1_25segmented_radix_sort_implIS3_Lb1EPKlPlS8_S9_N2at6native12_GLOBAL__N_18offset_tEEE10hipError_tPvRmT1_PNSt15iterator_traitsISH_E10value_typeET2_T3_PNSI_ISN_E10value_typeET4_jRbjT5_ST_jjP12ihipStream_tbEUlT_E2_NS1_11comp_targetILNS1_3genE4ELNS1_11target_archE910ELNS1_3gpuE8ELNS1_3repE0EEENS1_30default_config_static_selectorELNS0_4arch9wavefront6targetE0EEEvSH_.private_seg_size, 0
	.set _ZN7rocprim17ROCPRIM_400000_NS6detail17trampoline_kernelINS0_14default_configENS1_36segmented_radix_sort_config_selectorIllEEZNS1_25segmented_radix_sort_implIS3_Lb1EPKlPlS8_S9_N2at6native12_GLOBAL__N_18offset_tEEE10hipError_tPvRmT1_PNSt15iterator_traitsISH_E10value_typeET2_T3_PNSI_ISN_E10value_typeET4_jRbjT5_ST_jjP12ihipStream_tbEUlT_E2_NS1_11comp_targetILNS1_3genE4ELNS1_11target_archE910ELNS1_3gpuE8ELNS1_3repE0EEENS1_30default_config_static_selectorELNS0_4arch9wavefront6targetE0EEEvSH_.uses_vcc, 0
	.set _ZN7rocprim17ROCPRIM_400000_NS6detail17trampoline_kernelINS0_14default_configENS1_36segmented_radix_sort_config_selectorIllEEZNS1_25segmented_radix_sort_implIS3_Lb1EPKlPlS8_S9_N2at6native12_GLOBAL__N_18offset_tEEE10hipError_tPvRmT1_PNSt15iterator_traitsISH_E10value_typeET2_T3_PNSI_ISN_E10value_typeET4_jRbjT5_ST_jjP12ihipStream_tbEUlT_E2_NS1_11comp_targetILNS1_3genE4ELNS1_11target_archE910ELNS1_3gpuE8ELNS1_3repE0EEENS1_30default_config_static_selectorELNS0_4arch9wavefront6targetE0EEEvSH_.uses_flat_scratch, 0
	.set _ZN7rocprim17ROCPRIM_400000_NS6detail17trampoline_kernelINS0_14default_configENS1_36segmented_radix_sort_config_selectorIllEEZNS1_25segmented_radix_sort_implIS3_Lb1EPKlPlS8_S9_N2at6native12_GLOBAL__N_18offset_tEEE10hipError_tPvRmT1_PNSt15iterator_traitsISH_E10value_typeET2_T3_PNSI_ISN_E10value_typeET4_jRbjT5_ST_jjP12ihipStream_tbEUlT_E2_NS1_11comp_targetILNS1_3genE4ELNS1_11target_archE910ELNS1_3gpuE8ELNS1_3repE0EEENS1_30default_config_static_selectorELNS0_4arch9wavefront6targetE0EEEvSH_.has_dyn_sized_stack, 0
	.set _ZN7rocprim17ROCPRIM_400000_NS6detail17trampoline_kernelINS0_14default_configENS1_36segmented_radix_sort_config_selectorIllEEZNS1_25segmented_radix_sort_implIS3_Lb1EPKlPlS8_S9_N2at6native12_GLOBAL__N_18offset_tEEE10hipError_tPvRmT1_PNSt15iterator_traitsISH_E10value_typeET2_T3_PNSI_ISN_E10value_typeET4_jRbjT5_ST_jjP12ihipStream_tbEUlT_E2_NS1_11comp_targetILNS1_3genE4ELNS1_11target_archE910ELNS1_3gpuE8ELNS1_3repE0EEENS1_30default_config_static_selectorELNS0_4arch9wavefront6targetE0EEEvSH_.has_recursion, 0
	.set _ZN7rocprim17ROCPRIM_400000_NS6detail17trampoline_kernelINS0_14default_configENS1_36segmented_radix_sort_config_selectorIllEEZNS1_25segmented_radix_sort_implIS3_Lb1EPKlPlS8_S9_N2at6native12_GLOBAL__N_18offset_tEEE10hipError_tPvRmT1_PNSt15iterator_traitsISH_E10value_typeET2_T3_PNSI_ISN_E10value_typeET4_jRbjT5_ST_jjP12ihipStream_tbEUlT_E2_NS1_11comp_targetILNS1_3genE4ELNS1_11target_archE910ELNS1_3gpuE8ELNS1_3repE0EEENS1_30default_config_static_selectorELNS0_4arch9wavefront6targetE0EEEvSH_.has_indirect_call, 0
	.section	.AMDGPU.csdata,"",@progbits
; Kernel info:
; codeLenInByte = 0
; TotalNumSgprs: 0
; NumVgprs: 0
; ScratchSize: 0
; MemoryBound: 0
; FloatMode: 240
; IeeeMode: 1
; LDSByteSize: 0 bytes/workgroup (compile time only)
; SGPRBlocks: 0
; VGPRBlocks: 0
; NumSGPRsForWavesPerEU: 1
; NumVGPRsForWavesPerEU: 1
; NamedBarCnt: 0
; Occupancy: 16
; WaveLimiterHint : 0
; COMPUTE_PGM_RSRC2:SCRATCH_EN: 0
; COMPUTE_PGM_RSRC2:USER_SGPR: 2
; COMPUTE_PGM_RSRC2:TRAP_HANDLER: 0
; COMPUTE_PGM_RSRC2:TGID_X_EN: 1
; COMPUTE_PGM_RSRC2:TGID_Y_EN: 0
; COMPUTE_PGM_RSRC2:TGID_Z_EN: 0
; COMPUTE_PGM_RSRC2:TIDIG_COMP_CNT: 0
	.section	.text._ZN7rocprim17ROCPRIM_400000_NS6detail17trampoline_kernelINS0_14default_configENS1_36segmented_radix_sort_config_selectorIllEEZNS1_25segmented_radix_sort_implIS3_Lb1EPKlPlS8_S9_N2at6native12_GLOBAL__N_18offset_tEEE10hipError_tPvRmT1_PNSt15iterator_traitsISH_E10value_typeET2_T3_PNSI_ISN_E10value_typeET4_jRbjT5_ST_jjP12ihipStream_tbEUlT_E2_NS1_11comp_targetILNS1_3genE3ELNS1_11target_archE908ELNS1_3gpuE7ELNS1_3repE0EEENS1_30default_config_static_selectorELNS0_4arch9wavefront6targetE0EEEvSH_,"axG",@progbits,_ZN7rocprim17ROCPRIM_400000_NS6detail17trampoline_kernelINS0_14default_configENS1_36segmented_radix_sort_config_selectorIllEEZNS1_25segmented_radix_sort_implIS3_Lb1EPKlPlS8_S9_N2at6native12_GLOBAL__N_18offset_tEEE10hipError_tPvRmT1_PNSt15iterator_traitsISH_E10value_typeET2_T3_PNSI_ISN_E10value_typeET4_jRbjT5_ST_jjP12ihipStream_tbEUlT_E2_NS1_11comp_targetILNS1_3genE3ELNS1_11target_archE908ELNS1_3gpuE7ELNS1_3repE0EEENS1_30default_config_static_selectorELNS0_4arch9wavefront6targetE0EEEvSH_,comdat
	.globl	_ZN7rocprim17ROCPRIM_400000_NS6detail17trampoline_kernelINS0_14default_configENS1_36segmented_radix_sort_config_selectorIllEEZNS1_25segmented_radix_sort_implIS3_Lb1EPKlPlS8_S9_N2at6native12_GLOBAL__N_18offset_tEEE10hipError_tPvRmT1_PNSt15iterator_traitsISH_E10value_typeET2_T3_PNSI_ISN_E10value_typeET4_jRbjT5_ST_jjP12ihipStream_tbEUlT_E2_NS1_11comp_targetILNS1_3genE3ELNS1_11target_archE908ELNS1_3gpuE7ELNS1_3repE0EEENS1_30default_config_static_selectorELNS0_4arch9wavefront6targetE0EEEvSH_ ; -- Begin function _ZN7rocprim17ROCPRIM_400000_NS6detail17trampoline_kernelINS0_14default_configENS1_36segmented_radix_sort_config_selectorIllEEZNS1_25segmented_radix_sort_implIS3_Lb1EPKlPlS8_S9_N2at6native12_GLOBAL__N_18offset_tEEE10hipError_tPvRmT1_PNSt15iterator_traitsISH_E10value_typeET2_T3_PNSI_ISN_E10value_typeET4_jRbjT5_ST_jjP12ihipStream_tbEUlT_E2_NS1_11comp_targetILNS1_3genE3ELNS1_11target_archE908ELNS1_3gpuE7ELNS1_3repE0EEENS1_30default_config_static_selectorELNS0_4arch9wavefront6targetE0EEEvSH_
	.p2align	8
	.type	_ZN7rocprim17ROCPRIM_400000_NS6detail17trampoline_kernelINS0_14default_configENS1_36segmented_radix_sort_config_selectorIllEEZNS1_25segmented_radix_sort_implIS3_Lb1EPKlPlS8_S9_N2at6native12_GLOBAL__N_18offset_tEEE10hipError_tPvRmT1_PNSt15iterator_traitsISH_E10value_typeET2_T3_PNSI_ISN_E10value_typeET4_jRbjT5_ST_jjP12ihipStream_tbEUlT_E2_NS1_11comp_targetILNS1_3genE3ELNS1_11target_archE908ELNS1_3gpuE7ELNS1_3repE0EEENS1_30default_config_static_selectorELNS0_4arch9wavefront6targetE0EEEvSH_,@function
_ZN7rocprim17ROCPRIM_400000_NS6detail17trampoline_kernelINS0_14default_configENS1_36segmented_radix_sort_config_selectorIllEEZNS1_25segmented_radix_sort_implIS3_Lb1EPKlPlS8_S9_N2at6native12_GLOBAL__N_18offset_tEEE10hipError_tPvRmT1_PNSt15iterator_traitsISH_E10value_typeET2_T3_PNSI_ISN_E10value_typeET4_jRbjT5_ST_jjP12ihipStream_tbEUlT_E2_NS1_11comp_targetILNS1_3genE3ELNS1_11target_archE908ELNS1_3gpuE7ELNS1_3repE0EEENS1_30default_config_static_selectorELNS0_4arch9wavefront6targetE0EEEvSH_: ; @_ZN7rocprim17ROCPRIM_400000_NS6detail17trampoline_kernelINS0_14default_configENS1_36segmented_radix_sort_config_selectorIllEEZNS1_25segmented_radix_sort_implIS3_Lb1EPKlPlS8_S9_N2at6native12_GLOBAL__N_18offset_tEEE10hipError_tPvRmT1_PNSt15iterator_traitsISH_E10value_typeET2_T3_PNSI_ISN_E10value_typeET4_jRbjT5_ST_jjP12ihipStream_tbEUlT_E2_NS1_11comp_targetILNS1_3genE3ELNS1_11target_archE908ELNS1_3gpuE7ELNS1_3repE0EEENS1_30default_config_static_selectorELNS0_4arch9wavefront6targetE0EEEvSH_
; %bb.0:
	.section	.rodata,"a",@progbits
	.p2align	6, 0x0
	.amdhsa_kernel _ZN7rocprim17ROCPRIM_400000_NS6detail17trampoline_kernelINS0_14default_configENS1_36segmented_radix_sort_config_selectorIllEEZNS1_25segmented_radix_sort_implIS3_Lb1EPKlPlS8_S9_N2at6native12_GLOBAL__N_18offset_tEEE10hipError_tPvRmT1_PNSt15iterator_traitsISH_E10value_typeET2_T3_PNSI_ISN_E10value_typeET4_jRbjT5_ST_jjP12ihipStream_tbEUlT_E2_NS1_11comp_targetILNS1_3genE3ELNS1_11target_archE908ELNS1_3gpuE7ELNS1_3repE0EEENS1_30default_config_static_selectorELNS0_4arch9wavefront6targetE0EEEvSH_
		.amdhsa_group_segment_fixed_size 0
		.amdhsa_private_segment_fixed_size 0
		.amdhsa_kernarg_size 80
		.amdhsa_user_sgpr_count 2
		.amdhsa_user_sgpr_dispatch_ptr 0
		.amdhsa_user_sgpr_queue_ptr 0
		.amdhsa_user_sgpr_kernarg_segment_ptr 1
		.amdhsa_user_sgpr_dispatch_id 0
		.amdhsa_user_sgpr_kernarg_preload_length 0
		.amdhsa_user_sgpr_kernarg_preload_offset 0
		.amdhsa_user_sgpr_private_segment_size 0
		.amdhsa_wavefront_size32 1
		.amdhsa_uses_dynamic_stack 0
		.amdhsa_enable_private_segment 0
		.amdhsa_system_sgpr_workgroup_id_x 1
		.amdhsa_system_sgpr_workgroup_id_y 0
		.amdhsa_system_sgpr_workgroup_id_z 0
		.amdhsa_system_sgpr_workgroup_info 0
		.amdhsa_system_vgpr_workitem_id 0
		.amdhsa_next_free_vgpr 1
		.amdhsa_next_free_sgpr 1
		.amdhsa_named_barrier_count 0
		.amdhsa_reserve_vcc 0
		.amdhsa_float_round_mode_32 0
		.amdhsa_float_round_mode_16_64 0
		.amdhsa_float_denorm_mode_32 3
		.amdhsa_float_denorm_mode_16_64 3
		.amdhsa_fp16_overflow 0
		.amdhsa_memory_ordered 1
		.amdhsa_forward_progress 1
		.amdhsa_inst_pref_size 0
		.amdhsa_round_robin_scheduling 0
		.amdhsa_exception_fp_ieee_invalid_op 0
		.amdhsa_exception_fp_denorm_src 0
		.amdhsa_exception_fp_ieee_div_zero 0
		.amdhsa_exception_fp_ieee_overflow 0
		.amdhsa_exception_fp_ieee_underflow 0
		.amdhsa_exception_fp_ieee_inexact 0
		.amdhsa_exception_int_div_zero 0
	.end_amdhsa_kernel
	.section	.text._ZN7rocprim17ROCPRIM_400000_NS6detail17trampoline_kernelINS0_14default_configENS1_36segmented_radix_sort_config_selectorIllEEZNS1_25segmented_radix_sort_implIS3_Lb1EPKlPlS8_S9_N2at6native12_GLOBAL__N_18offset_tEEE10hipError_tPvRmT1_PNSt15iterator_traitsISH_E10value_typeET2_T3_PNSI_ISN_E10value_typeET4_jRbjT5_ST_jjP12ihipStream_tbEUlT_E2_NS1_11comp_targetILNS1_3genE3ELNS1_11target_archE908ELNS1_3gpuE7ELNS1_3repE0EEENS1_30default_config_static_selectorELNS0_4arch9wavefront6targetE0EEEvSH_,"axG",@progbits,_ZN7rocprim17ROCPRIM_400000_NS6detail17trampoline_kernelINS0_14default_configENS1_36segmented_radix_sort_config_selectorIllEEZNS1_25segmented_radix_sort_implIS3_Lb1EPKlPlS8_S9_N2at6native12_GLOBAL__N_18offset_tEEE10hipError_tPvRmT1_PNSt15iterator_traitsISH_E10value_typeET2_T3_PNSI_ISN_E10value_typeET4_jRbjT5_ST_jjP12ihipStream_tbEUlT_E2_NS1_11comp_targetILNS1_3genE3ELNS1_11target_archE908ELNS1_3gpuE7ELNS1_3repE0EEENS1_30default_config_static_selectorELNS0_4arch9wavefront6targetE0EEEvSH_,comdat
.Lfunc_end733:
	.size	_ZN7rocprim17ROCPRIM_400000_NS6detail17trampoline_kernelINS0_14default_configENS1_36segmented_radix_sort_config_selectorIllEEZNS1_25segmented_radix_sort_implIS3_Lb1EPKlPlS8_S9_N2at6native12_GLOBAL__N_18offset_tEEE10hipError_tPvRmT1_PNSt15iterator_traitsISH_E10value_typeET2_T3_PNSI_ISN_E10value_typeET4_jRbjT5_ST_jjP12ihipStream_tbEUlT_E2_NS1_11comp_targetILNS1_3genE3ELNS1_11target_archE908ELNS1_3gpuE7ELNS1_3repE0EEENS1_30default_config_static_selectorELNS0_4arch9wavefront6targetE0EEEvSH_, .Lfunc_end733-_ZN7rocprim17ROCPRIM_400000_NS6detail17trampoline_kernelINS0_14default_configENS1_36segmented_radix_sort_config_selectorIllEEZNS1_25segmented_radix_sort_implIS3_Lb1EPKlPlS8_S9_N2at6native12_GLOBAL__N_18offset_tEEE10hipError_tPvRmT1_PNSt15iterator_traitsISH_E10value_typeET2_T3_PNSI_ISN_E10value_typeET4_jRbjT5_ST_jjP12ihipStream_tbEUlT_E2_NS1_11comp_targetILNS1_3genE3ELNS1_11target_archE908ELNS1_3gpuE7ELNS1_3repE0EEENS1_30default_config_static_selectorELNS0_4arch9wavefront6targetE0EEEvSH_
                                        ; -- End function
	.set _ZN7rocprim17ROCPRIM_400000_NS6detail17trampoline_kernelINS0_14default_configENS1_36segmented_radix_sort_config_selectorIllEEZNS1_25segmented_radix_sort_implIS3_Lb1EPKlPlS8_S9_N2at6native12_GLOBAL__N_18offset_tEEE10hipError_tPvRmT1_PNSt15iterator_traitsISH_E10value_typeET2_T3_PNSI_ISN_E10value_typeET4_jRbjT5_ST_jjP12ihipStream_tbEUlT_E2_NS1_11comp_targetILNS1_3genE3ELNS1_11target_archE908ELNS1_3gpuE7ELNS1_3repE0EEENS1_30default_config_static_selectorELNS0_4arch9wavefront6targetE0EEEvSH_.num_vgpr, 0
	.set _ZN7rocprim17ROCPRIM_400000_NS6detail17trampoline_kernelINS0_14default_configENS1_36segmented_radix_sort_config_selectorIllEEZNS1_25segmented_radix_sort_implIS3_Lb1EPKlPlS8_S9_N2at6native12_GLOBAL__N_18offset_tEEE10hipError_tPvRmT1_PNSt15iterator_traitsISH_E10value_typeET2_T3_PNSI_ISN_E10value_typeET4_jRbjT5_ST_jjP12ihipStream_tbEUlT_E2_NS1_11comp_targetILNS1_3genE3ELNS1_11target_archE908ELNS1_3gpuE7ELNS1_3repE0EEENS1_30default_config_static_selectorELNS0_4arch9wavefront6targetE0EEEvSH_.num_agpr, 0
	.set _ZN7rocprim17ROCPRIM_400000_NS6detail17trampoline_kernelINS0_14default_configENS1_36segmented_radix_sort_config_selectorIllEEZNS1_25segmented_radix_sort_implIS3_Lb1EPKlPlS8_S9_N2at6native12_GLOBAL__N_18offset_tEEE10hipError_tPvRmT1_PNSt15iterator_traitsISH_E10value_typeET2_T3_PNSI_ISN_E10value_typeET4_jRbjT5_ST_jjP12ihipStream_tbEUlT_E2_NS1_11comp_targetILNS1_3genE3ELNS1_11target_archE908ELNS1_3gpuE7ELNS1_3repE0EEENS1_30default_config_static_selectorELNS0_4arch9wavefront6targetE0EEEvSH_.numbered_sgpr, 0
	.set _ZN7rocprim17ROCPRIM_400000_NS6detail17trampoline_kernelINS0_14default_configENS1_36segmented_radix_sort_config_selectorIllEEZNS1_25segmented_radix_sort_implIS3_Lb1EPKlPlS8_S9_N2at6native12_GLOBAL__N_18offset_tEEE10hipError_tPvRmT1_PNSt15iterator_traitsISH_E10value_typeET2_T3_PNSI_ISN_E10value_typeET4_jRbjT5_ST_jjP12ihipStream_tbEUlT_E2_NS1_11comp_targetILNS1_3genE3ELNS1_11target_archE908ELNS1_3gpuE7ELNS1_3repE0EEENS1_30default_config_static_selectorELNS0_4arch9wavefront6targetE0EEEvSH_.num_named_barrier, 0
	.set _ZN7rocprim17ROCPRIM_400000_NS6detail17trampoline_kernelINS0_14default_configENS1_36segmented_radix_sort_config_selectorIllEEZNS1_25segmented_radix_sort_implIS3_Lb1EPKlPlS8_S9_N2at6native12_GLOBAL__N_18offset_tEEE10hipError_tPvRmT1_PNSt15iterator_traitsISH_E10value_typeET2_T3_PNSI_ISN_E10value_typeET4_jRbjT5_ST_jjP12ihipStream_tbEUlT_E2_NS1_11comp_targetILNS1_3genE3ELNS1_11target_archE908ELNS1_3gpuE7ELNS1_3repE0EEENS1_30default_config_static_selectorELNS0_4arch9wavefront6targetE0EEEvSH_.private_seg_size, 0
	.set _ZN7rocprim17ROCPRIM_400000_NS6detail17trampoline_kernelINS0_14default_configENS1_36segmented_radix_sort_config_selectorIllEEZNS1_25segmented_radix_sort_implIS3_Lb1EPKlPlS8_S9_N2at6native12_GLOBAL__N_18offset_tEEE10hipError_tPvRmT1_PNSt15iterator_traitsISH_E10value_typeET2_T3_PNSI_ISN_E10value_typeET4_jRbjT5_ST_jjP12ihipStream_tbEUlT_E2_NS1_11comp_targetILNS1_3genE3ELNS1_11target_archE908ELNS1_3gpuE7ELNS1_3repE0EEENS1_30default_config_static_selectorELNS0_4arch9wavefront6targetE0EEEvSH_.uses_vcc, 0
	.set _ZN7rocprim17ROCPRIM_400000_NS6detail17trampoline_kernelINS0_14default_configENS1_36segmented_radix_sort_config_selectorIllEEZNS1_25segmented_radix_sort_implIS3_Lb1EPKlPlS8_S9_N2at6native12_GLOBAL__N_18offset_tEEE10hipError_tPvRmT1_PNSt15iterator_traitsISH_E10value_typeET2_T3_PNSI_ISN_E10value_typeET4_jRbjT5_ST_jjP12ihipStream_tbEUlT_E2_NS1_11comp_targetILNS1_3genE3ELNS1_11target_archE908ELNS1_3gpuE7ELNS1_3repE0EEENS1_30default_config_static_selectorELNS0_4arch9wavefront6targetE0EEEvSH_.uses_flat_scratch, 0
	.set _ZN7rocprim17ROCPRIM_400000_NS6detail17trampoline_kernelINS0_14default_configENS1_36segmented_radix_sort_config_selectorIllEEZNS1_25segmented_radix_sort_implIS3_Lb1EPKlPlS8_S9_N2at6native12_GLOBAL__N_18offset_tEEE10hipError_tPvRmT1_PNSt15iterator_traitsISH_E10value_typeET2_T3_PNSI_ISN_E10value_typeET4_jRbjT5_ST_jjP12ihipStream_tbEUlT_E2_NS1_11comp_targetILNS1_3genE3ELNS1_11target_archE908ELNS1_3gpuE7ELNS1_3repE0EEENS1_30default_config_static_selectorELNS0_4arch9wavefront6targetE0EEEvSH_.has_dyn_sized_stack, 0
	.set _ZN7rocprim17ROCPRIM_400000_NS6detail17trampoline_kernelINS0_14default_configENS1_36segmented_radix_sort_config_selectorIllEEZNS1_25segmented_radix_sort_implIS3_Lb1EPKlPlS8_S9_N2at6native12_GLOBAL__N_18offset_tEEE10hipError_tPvRmT1_PNSt15iterator_traitsISH_E10value_typeET2_T3_PNSI_ISN_E10value_typeET4_jRbjT5_ST_jjP12ihipStream_tbEUlT_E2_NS1_11comp_targetILNS1_3genE3ELNS1_11target_archE908ELNS1_3gpuE7ELNS1_3repE0EEENS1_30default_config_static_selectorELNS0_4arch9wavefront6targetE0EEEvSH_.has_recursion, 0
	.set _ZN7rocprim17ROCPRIM_400000_NS6detail17trampoline_kernelINS0_14default_configENS1_36segmented_radix_sort_config_selectorIllEEZNS1_25segmented_radix_sort_implIS3_Lb1EPKlPlS8_S9_N2at6native12_GLOBAL__N_18offset_tEEE10hipError_tPvRmT1_PNSt15iterator_traitsISH_E10value_typeET2_T3_PNSI_ISN_E10value_typeET4_jRbjT5_ST_jjP12ihipStream_tbEUlT_E2_NS1_11comp_targetILNS1_3genE3ELNS1_11target_archE908ELNS1_3gpuE7ELNS1_3repE0EEENS1_30default_config_static_selectorELNS0_4arch9wavefront6targetE0EEEvSH_.has_indirect_call, 0
	.section	.AMDGPU.csdata,"",@progbits
; Kernel info:
; codeLenInByte = 0
; TotalNumSgprs: 0
; NumVgprs: 0
; ScratchSize: 0
; MemoryBound: 0
; FloatMode: 240
; IeeeMode: 1
; LDSByteSize: 0 bytes/workgroup (compile time only)
; SGPRBlocks: 0
; VGPRBlocks: 0
; NumSGPRsForWavesPerEU: 1
; NumVGPRsForWavesPerEU: 1
; NamedBarCnt: 0
; Occupancy: 16
; WaveLimiterHint : 0
; COMPUTE_PGM_RSRC2:SCRATCH_EN: 0
; COMPUTE_PGM_RSRC2:USER_SGPR: 2
; COMPUTE_PGM_RSRC2:TRAP_HANDLER: 0
; COMPUTE_PGM_RSRC2:TGID_X_EN: 1
; COMPUTE_PGM_RSRC2:TGID_Y_EN: 0
; COMPUTE_PGM_RSRC2:TGID_Z_EN: 0
; COMPUTE_PGM_RSRC2:TIDIG_COMP_CNT: 0
	.section	.text._ZN7rocprim17ROCPRIM_400000_NS6detail17trampoline_kernelINS0_14default_configENS1_36segmented_radix_sort_config_selectorIllEEZNS1_25segmented_radix_sort_implIS3_Lb1EPKlPlS8_S9_N2at6native12_GLOBAL__N_18offset_tEEE10hipError_tPvRmT1_PNSt15iterator_traitsISH_E10value_typeET2_T3_PNSI_ISN_E10value_typeET4_jRbjT5_ST_jjP12ihipStream_tbEUlT_E2_NS1_11comp_targetILNS1_3genE2ELNS1_11target_archE906ELNS1_3gpuE6ELNS1_3repE0EEENS1_30default_config_static_selectorELNS0_4arch9wavefront6targetE0EEEvSH_,"axG",@progbits,_ZN7rocprim17ROCPRIM_400000_NS6detail17trampoline_kernelINS0_14default_configENS1_36segmented_radix_sort_config_selectorIllEEZNS1_25segmented_radix_sort_implIS3_Lb1EPKlPlS8_S9_N2at6native12_GLOBAL__N_18offset_tEEE10hipError_tPvRmT1_PNSt15iterator_traitsISH_E10value_typeET2_T3_PNSI_ISN_E10value_typeET4_jRbjT5_ST_jjP12ihipStream_tbEUlT_E2_NS1_11comp_targetILNS1_3genE2ELNS1_11target_archE906ELNS1_3gpuE6ELNS1_3repE0EEENS1_30default_config_static_selectorELNS0_4arch9wavefront6targetE0EEEvSH_,comdat
	.globl	_ZN7rocprim17ROCPRIM_400000_NS6detail17trampoline_kernelINS0_14default_configENS1_36segmented_radix_sort_config_selectorIllEEZNS1_25segmented_radix_sort_implIS3_Lb1EPKlPlS8_S9_N2at6native12_GLOBAL__N_18offset_tEEE10hipError_tPvRmT1_PNSt15iterator_traitsISH_E10value_typeET2_T3_PNSI_ISN_E10value_typeET4_jRbjT5_ST_jjP12ihipStream_tbEUlT_E2_NS1_11comp_targetILNS1_3genE2ELNS1_11target_archE906ELNS1_3gpuE6ELNS1_3repE0EEENS1_30default_config_static_selectorELNS0_4arch9wavefront6targetE0EEEvSH_ ; -- Begin function _ZN7rocprim17ROCPRIM_400000_NS6detail17trampoline_kernelINS0_14default_configENS1_36segmented_radix_sort_config_selectorIllEEZNS1_25segmented_radix_sort_implIS3_Lb1EPKlPlS8_S9_N2at6native12_GLOBAL__N_18offset_tEEE10hipError_tPvRmT1_PNSt15iterator_traitsISH_E10value_typeET2_T3_PNSI_ISN_E10value_typeET4_jRbjT5_ST_jjP12ihipStream_tbEUlT_E2_NS1_11comp_targetILNS1_3genE2ELNS1_11target_archE906ELNS1_3gpuE6ELNS1_3repE0EEENS1_30default_config_static_selectorELNS0_4arch9wavefront6targetE0EEEvSH_
	.p2align	8
	.type	_ZN7rocprim17ROCPRIM_400000_NS6detail17trampoline_kernelINS0_14default_configENS1_36segmented_radix_sort_config_selectorIllEEZNS1_25segmented_radix_sort_implIS3_Lb1EPKlPlS8_S9_N2at6native12_GLOBAL__N_18offset_tEEE10hipError_tPvRmT1_PNSt15iterator_traitsISH_E10value_typeET2_T3_PNSI_ISN_E10value_typeET4_jRbjT5_ST_jjP12ihipStream_tbEUlT_E2_NS1_11comp_targetILNS1_3genE2ELNS1_11target_archE906ELNS1_3gpuE6ELNS1_3repE0EEENS1_30default_config_static_selectorELNS0_4arch9wavefront6targetE0EEEvSH_,@function
_ZN7rocprim17ROCPRIM_400000_NS6detail17trampoline_kernelINS0_14default_configENS1_36segmented_radix_sort_config_selectorIllEEZNS1_25segmented_radix_sort_implIS3_Lb1EPKlPlS8_S9_N2at6native12_GLOBAL__N_18offset_tEEE10hipError_tPvRmT1_PNSt15iterator_traitsISH_E10value_typeET2_T3_PNSI_ISN_E10value_typeET4_jRbjT5_ST_jjP12ihipStream_tbEUlT_E2_NS1_11comp_targetILNS1_3genE2ELNS1_11target_archE906ELNS1_3gpuE6ELNS1_3repE0EEENS1_30default_config_static_selectorELNS0_4arch9wavefront6targetE0EEEvSH_: ; @_ZN7rocprim17ROCPRIM_400000_NS6detail17trampoline_kernelINS0_14default_configENS1_36segmented_radix_sort_config_selectorIllEEZNS1_25segmented_radix_sort_implIS3_Lb1EPKlPlS8_S9_N2at6native12_GLOBAL__N_18offset_tEEE10hipError_tPvRmT1_PNSt15iterator_traitsISH_E10value_typeET2_T3_PNSI_ISN_E10value_typeET4_jRbjT5_ST_jjP12ihipStream_tbEUlT_E2_NS1_11comp_targetILNS1_3genE2ELNS1_11target_archE906ELNS1_3gpuE6ELNS1_3repE0EEENS1_30default_config_static_selectorELNS0_4arch9wavefront6targetE0EEEvSH_
; %bb.0:
	.section	.rodata,"a",@progbits
	.p2align	6, 0x0
	.amdhsa_kernel _ZN7rocprim17ROCPRIM_400000_NS6detail17trampoline_kernelINS0_14default_configENS1_36segmented_radix_sort_config_selectorIllEEZNS1_25segmented_radix_sort_implIS3_Lb1EPKlPlS8_S9_N2at6native12_GLOBAL__N_18offset_tEEE10hipError_tPvRmT1_PNSt15iterator_traitsISH_E10value_typeET2_T3_PNSI_ISN_E10value_typeET4_jRbjT5_ST_jjP12ihipStream_tbEUlT_E2_NS1_11comp_targetILNS1_3genE2ELNS1_11target_archE906ELNS1_3gpuE6ELNS1_3repE0EEENS1_30default_config_static_selectorELNS0_4arch9wavefront6targetE0EEEvSH_
		.amdhsa_group_segment_fixed_size 0
		.amdhsa_private_segment_fixed_size 0
		.amdhsa_kernarg_size 80
		.amdhsa_user_sgpr_count 2
		.amdhsa_user_sgpr_dispatch_ptr 0
		.amdhsa_user_sgpr_queue_ptr 0
		.amdhsa_user_sgpr_kernarg_segment_ptr 1
		.amdhsa_user_sgpr_dispatch_id 0
		.amdhsa_user_sgpr_kernarg_preload_length 0
		.amdhsa_user_sgpr_kernarg_preload_offset 0
		.amdhsa_user_sgpr_private_segment_size 0
		.amdhsa_wavefront_size32 1
		.amdhsa_uses_dynamic_stack 0
		.amdhsa_enable_private_segment 0
		.amdhsa_system_sgpr_workgroup_id_x 1
		.amdhsa_system_sgpr_workgroup_id_y 0
		.amdhsa_system_sgpr_workgroup_id_z 0
		.amdhsa_system_sgpr_workgroup_info 0
		.amdhsa_system_vgpr_workitem_id 0
		.amdhsa_next_free_vgpr 1
		.amdhsa_next_free_sgpr 1
		.amdhsa_named_barrier_count 0
		.amdhsa_reserve_vcc 0
		.amdhsa_float_round_mode_32 0
		.amdhsa_float_round_mode_16_64 0
		.amdhsa_float_denorm_mode_32 3
		.amdhsa_float_denorm_mode_16_64 3
		.amdhsa_fp16_overflow 0
		.amdhsa_memory_ordered 1
		.amdhsa_forward_progress 1
		.amdhsa_inst_pref_size 0
		.amdhsa_round_robin_scheduling 0
		.amdhsa_exception_fp_ieee_invalid_op 0
		.amdhsa_exception_fp_denorm_src 0
		.amdhsa_exception_fp_ieee_div_zero 0
		.amdhsa_exception_fp_ieee_overflow 0
		.amdhsa_exception_fp_ieee_underflow 0
		.amdhsa_exception_fp_ieee_inexact 0
		.amdhsa_exception_int_div_zero 0
	.end_amdhsa_kernel
	.section	.text._ZN7rocprim17ROCPRIM_400000_NS6detail17trampoline_kernelINS0_14default_configENS1_36segmented_radix_sort_config_selectorIllEEZNS1_25segmented_radix_sort_implIS3_Lb1EPKlPlS8_S9_N2at6native12_GLOBAL__N_18offset_tEEE10hipError_tPvRmT1_PNSt15iterator_traitsISH_E10value_typeET2_T3_PNSI_ISN_E10value_typeET4_jRbjT5_ST_jjP12ihipStream_tbEUlT_E2_NS1_11comp_targetILNS1_3genE2ELNS1_11target_archE906ELNS1_3gpuE6ELNS1_3repE0EEENS1_30default_config_static_selectorELNS0_4arch9wavefront6targetE0EEEvSH_,"axG",@progbits,_ZN7rocprim17ROCPRIM_400000_NS6detail17trampoline_kernelINS0_14default_configENS1_36segmented_radix_sort_config_selectorIllEEZNS1_25segmented_radix_sort_implIS3_Lb1EPKlPlS8_S9_N2at6native12_GLOBAL__N_18offset_tEEE10hipError_tPvRmT1_PNSt15iterator_traitsISH_E10value_typeET2_T3_PNSI_ISN_E10value_typeET4_jRbjT5_ST_jjP12ihipStream_tbEUlT_E2_NS1_11comp_targetILNS1_3genE2ELNS1_11target_archE906ELNS1_3gpuE6ELNS1_3repE0EEENS1_30default_config_static_selectorELNS0_4arch9wavefront6targetE0EEEvSH_,comdat
.Lfunc_end734:
	.size	_ZN7rocprim17ROCPRIM_400000_NS6detail17trampoline_kernelINS0_14default_configENS1_36segmented_radix_sort_config_selectorIllEEZNS1_25segmented_radix_sort_implIS3_Lb1EPKlPlS8_S9_N2at6native12_GLOBAL__N_18offset_tEEE10hipError_tPvRmT1_PNSt15iterator_traitsISH_E10value_typeET2_T3_PNSI_ISN_E10value_typeET4_jRbjT5_ST_jjP12ihipStream_tbEUlT_E2_NS1_11comp_targetILNS1_3genE2ELNS1_11target_archE906ELNS1_3gpuE6ELNS1_3repE0EEENS1_30default_config_static_selectorELNS0_4arch9wavefront6targetE0EEEvSH_, .Lfunc_end734-_ZN7rocprim17ROCPRIM_400000_NS6detail17trampoline_kernelINS0_14default_configENS1_36segmented_radix_sort_config_selectorIllEEZNS1_25segmented_radix_sort_implIS3_Lb1EPKlPlS8_S9_N2at6native12_GLOBAL__N_18offset_tEEE10hipError_tPvRmT1_PNSt15iterator_traitsISH_E10value_typeET2_T3_PNSI_ISN_E10value_typeET4_jRbjT5_ST_jjP12ihipStream_tbEUlT_E2_NS1_11comp_targetILNS1_3genE2ELNS1_11target_archE906ELNS1_3gpuE6ELNS1_3repE0EEENS1_30default_config_static_selectorELNS0_4arch9wavefront6targetE0EEEvSH_
                                        ; -- End function
	.set _ZN7rocprim17ROCPRIM_400000_NS6detail17trampoline_kernelINS0_14default_configENS1_36segmented_radix_sort_config_selectorIllEEZNS1_25segmented_radix_sort_implIS3_Lb1EPKlPlS8_S9_N2at6native12_GLOBAL__N_18offset_tEEE10hipError_tPvRmT1_PNSt15iterator_traitsISH_E10value_typeET2_T3_PNSI_ISN_E10value_typeET4_jRbjT5_ST_jjP12ihipStream_tbEUlT_E2_NS1_11comp_targetILNS1_3genE2ELNS1_11target_archE906ELNS1_3gpuE6ELNS1_3repE0EEENS1_30default_config_static_selectorELNS0_4arch9wavefront6targetE0EEEvSH_.num_vgpr, 0
	.set _ZN7rocprim17ROCPRIM_400000_NS6detail17trampoline_kernelINS0_14default_configENS1_36segmented_radix_sort_config_selectorIllEEZNS1_25segmented_radix_sort_implIS3_Lb1EPKlPlS8_S9_N2at6native12_GLOBAL__N_18offset_tEEE10hipError_tPvRmT1_PNSt15iterator_traitsISH_E10value_typeET2_T3_PNSI_ISN_E10value_typeET4_jRbjT5_ST_jjP12ihipStream_tbEUlT_E2_NS1_11comp_targetILNS1_3genE2ELNS1_11target_archE906ELNS1_3gpuE6ELNS1_3repE0EEENS1_30default_config_static_selectorELNS0_4arch9wavefront6targetE0EEEvSH_.num_agpr, 0
	.set _ZN7rocprim17ROCPRIM_400000_NS6detail17trampoline_kernelINS0_14default_configENS1_36segmented_radix_sort_config_selectorIllEEZNS1_25segmented_radix_sort_implIS3_Lb1EPKlPlS8_S9_N2at6native12_GLOBAL__N_18offset_tEEE10hipError_tPvRmT1_PNSt15iterator_traitsISH_E10value_typeET2_T3_PNSI_ISN_E10value_typeET4_jRbjT5_ST_jjP12ihipStream_tbEUlT_E2_NS1_11comp_targetILNS1_3genE2ELNS1_11target_archE906ELNS1_3gpuE6ELNS1_3repE0EEENS1_30default_config_static_selectorELNS0_4arch9wavefront6targetE0EEEvSH_.numbered_sgpr, 0
	.set _ZN7rocprim17ROCPRIM_400000_NS6detail17trampoline_kernelINS0_14default_configENS1_36segmented_radix_sort_config_selectorIllEEZNS1_25segmented_radix_sort_implIS3_Lb1EPKlPlS8_S9_N2at6native12_GLOBAL__N_18offset_tEEE10hipError_tPvRmT1_PNSt15iterator_traitsISH_E10value_typeET2_T3_PNSI_ISN_E10value_typeET4_jRbjT5_ST_jjP12ihipStream_tbEUlT_E2_NS1_11comp_targetILNS1_3genE2ELNS1_11target_archE906ELNS1_3gpuE6ELNS1_3repE0EEENS1_30default_config_static_selectorELNS0_4arch9wavefront6targetE0EEEvSH_.num_named_barrier, 0
	.set _ZN7rocprim17ROCPRIM_400000_NS6detail17trampoline_kernelINS0_14default_configENS1_36segmented_radix_sort_config_selectorIllEEZNS1_25segmented_radix_sort_implIS3_Lb1EPKlPlS8_S9_N2at6native12_GLOBAL__N_18offset_tEEE10hipError_tPvRmT1_PNSt15iterator_traitsISH_E10value_typeET2_T3_PNSI_ISN_E10value_typeET4_jRbjT5_ST_jjP12ihipStream_tbEUlT_E2_NS1_11comp_targetILNS1_3genE2ELNS1_11target_archE906ELNS1_3gpuE6ELNS1_3repE0EEENS1_30default_config_static_selectorELNS0_4arch9wavefront6targetE0EEEvSH_.private_seg_size, 0
	.set _ZN7rocprim17ROCPRIM_400000_NS6detail17trampoline_kernelINS0_14default_configENS1_36segmented_radix_sort_config_selectorIllEEZNS1_25segmented_radix_sort_implIS3_Lb1EPKlPlS8_S9_N2at6native12_GLOBAL__N_18offset_tEEE10hipError_tPvRmT1_PNSt15iterator_traitsISH_E10value_typeET2_T3_PNSI_ISN_E10value_typeET4_jRbjT5_ST_jjP12ihipStream_tbEUlT_E2_NS1_11comp_targetILNS1_3genE2ELNS1_11target_archE906ELNS1_3gpuE6ELNS1_3repE0EEENS1_30default_config_static_selectorELNS0_4arch9wavefront6targetE0EEEvSH_.uses_vcc, 0
	.set _ZN7rocprim17ROCPRIM_400000_NS6detail17trampoline_kernelINS0_14default_configENS1_36segmented_radix_sort_config_selectorIllEEZNS1_25segmented_radix_sort_implIS3_Lb1EPKlPlS8_S9_N2at6native12_GLOBAL__N_18offset_tEEE10hipError_tPvRmT1_PNSt15iterator_traitsISH_E10value_typeET2_T3_PNSI_ISN_E10value_typeET4_jRbjT5_ST_jjP12ihipStream_tbEUlT_E2_NS1_11comp_targetILNS1_3genE2ELNS1_11target_archE906ELNS1_3gpuE6ELNS1_3repE0EEENS1_30default_config_static_selectorELNS0_4arch9wavefront6targetE0EEEvSH_.uses_flat_scratch, 0
	.set _ZN7rocprim17ROCPRIM_400000_NS6detail17trampoline_kernelINS0_14default_configENS1_36segmented_radix_sort_config_selectorIllEEZNS1_25segmented_radix_sort_implIS3_Lb1EPKlPlS8_S9_N2at6native12_GLOBAL__N_18offset_tEEE10hipError_tPvRmT1_PNSt15iterator_traitsISH_E10value_typeET2_T3_PNSI_ISN_E10value_typeET4_jRbjT5_ST_jjP12ihipStream_tbEUlT_E2_NS1_11comp_targetILNS1_3genE2ELNS1_11target_archE906ELNS1_3gpuE6ELNS1_3repE0EEENS1_30default_config_static_selectorELNS0_4arch9wavefront6targetE0EEEvSH_.has_dyn_sized_stack, 0
	.set _ZN7rocprim17ROCPRIM_400000_NS6detail17trampoline_kernelINS0_14default_configENS1_36segmented_radix_sort_config_selectorIllEEZNS1_25segmented_radix_sort_implIS3_Lb1EPKlPlS8_S9_N2at6native12_GLOBAL__N_18offset_tEEE10hipError_tPvRmT1_PNSt15iterator_traitsISH_E10value_typeET2_T3_PNSI_ISN_E10value_typeET4_jRbjT5_ST_jjP12ihipStream_tbEUlT_E2_NS1_11comp_targetILNS1_3genE2ELNS1_11target_archE906ELNS1_3gpuE6ELNS1_3repE0EEENS1_30default_config_static_selectorELNS0_4arch9wavefront6targetE0EEEvSH_.has_recursion, 0
	.set _ZN7rocprim17ROCPRIM_400000_NS6detail17trampoline_kernelINS0_14default_configENS1_36segmented_radix_sort_config_selectorIllEEZNS1_25segmented_radix_sort_implIS3_Lb1EPKlPlS8_S9_N2at6native12_GLOBAL__N_18offset_tEEE10hipError_tPvRmT1_PNSt15iterator_traitsISH_E10value_typeET2_T3_PNSI_ISN_E10value_typeET4_jRbjT5_ST_jjP12ihipStream_tbEUlT_E2_NS1_11comp_targetILNS1_3genE2ELNS1_11target_archE906ELNS1_3gpuE6ELNS1_3repE0EEENS1_30default_config_static_selectorELNS0_4arch9wavefront6targetE0EEEvSH_.has_indirect_call, 0
	.section	.AMDGPU.csdata,"",@progbits
; Kernel info:
; codeLenInByte = 0
; TotalNumSgprs: 0
; NumVgprs: 0
; ScratchSize: 0
; MemoryBound: 0
; FloatMode: 240
; IeeeMode: 1
; LDSByteSize: 0 bytes/workgroup (compile time only)
; SGPRBlocks: 0
; VGPRBlocks: 0
; NumSGPRsForWavesPerEU: 1
; NumVGPRsForWavesPerEU: 1
; NamedBarCnt: 0
; Occupancy: 16
; WaveLimiterHint : 0
; COMPUTE_PGM_RSRC2:SCRATCH_EN: 0
; COMPUTE_PGM_RSRC2:USER_SGPR: 2
; COMPUTE_PGM_RSRC2:TRAP_HANDLER: 0
; COMPUTE_PGM_RSRC2:TGID_X_EN: 1
; COMPUTE_PGM_RSRC2:TGID_Y_EN: 0
; COMPUTE_PGM_RSRC2:TGID_Z_EN: 0
; COMPUTE_PGM_RSRC2:TIDIG_COMP_CNT: 0
	.section	.text._ZN7rocprim17ROCPRIM_400000_NS6detail17trampoline_kernelINS0_14default_configENS1_36segmented_radix_sort_config_selectorIllEEZNS1_25segmented_radix_sort_implIS3_Lb1EPKlPlS8_S9_N2at6native12_GLOBAL__N_18offset_tEEE10hipError_tPvRmT1_PNSt15iterator_traitsISH_E10value_typeET2_T3_PNSI_ISN_E10value_typeET4_jRbjT5_ST_jjP12ihipStream_tbEUlT_E2_NS1_11comp_targetILNS1_3genE10ELNS1_11target_archE1201ELNS1_3gpuE5ELNS1_3repE0EEENS1_30default_config_static_selectorELNS0_4arch9wavefront6targetE0EEEvSH_,"axG",@progbits,_ZN7rocprim17ROCPRIM_400000_NS6detail17trampoline_kernelINS0_14default_configENS1_36segmented_radix_sort_config_selectorIllEEZNS1_25segmented_radix_sort_implIS3_Lb1EPKlPlS8_S9_N2at6native12_GLOBAL__N_18offset_tEEE10hipError_tPvRmT1_PNSt15iterator_traitsISH_E10value_typeET2_T3_PNSI_ISN_E10value_typeET4_jRbjT5_ST_jjP12ihipStream_tbEUlT_E2_NS1_11comp_targetILNS1_3genE10ELNS1_11target_archE1201ELNS1_3gpuE5ELNS1_3repE0EEENS1_30default_config_static_selectorELNS0_4arch9wavefront6targetE0EEEvSH_,comdat
	.globl	_ZN7rocprim17ROCPRIM_400000_NS6detail17trampoline_kernelINS0_14default_configENS1_36segmented_radix_sort_config_selectorIllEEZNS1_25segmented_radix_sort_implIS3_Lb1EPKlPlS8_S9_N2at6native12_GLOBAL__N_18offset_tEEE10hipError_tPvRmT1_PNSt15iterator_traitsISH_E10value_typeET2_T3_PNSI_ISN_E10value_typeET4_jRbjT5_ST_jjP12ihipStream_tbEUlT_E2_NS1_11comp_targetILNS1_3genE10ELNS1_11target_archE1201ELNS1_3gpuE5ELNS1_3repE0EEENS1_30default_config_static_selectorELNS0_4arch9wavefront6targetE0EEEvSH_ ; -- Begin function _ZN7rocprim17ROCPRIM_400000_NS6detail17trampoline_kernelINS0_14default_configENS1_36segmented_radix_sort_config_selectorIllEEZNS1_25segmented_radix_sort_implIS3_Lb1EPKlPlS8_S9_N2at6native12_GLOBAL__N_18offset_tEEE10hipError_tPvRmT1_PNSt15iterator_traitsISH_E10value_typeET2_T3_PNSI_ISN_E10value_typeET4_jRbjT5_ST_jjP12ihipStream_tbEUlT_E2_NS1_11comp_targetILNS1_3genE10ELNS1_11target_archE1201ELNS1_3gpuE5ELNS1_3repE0EEENS1_30default_config_static_selectorELNS0_4arch9wavefront6targetE0EEEvSH_
	.p2align	8
	.type	_ZN7rocprim17ROCPRIM_400000_NS6detail17trampoline_kernelINS0_14default_configENS1_36segmented_radix_sort_config_selectorIllEEZNS1_25segmented_radix_sort_implIS3_Lb1EPKlPlS8_S9_N2at6native12_GLOBAL__N_18offset_tEEE10hipError_tPvRmT1_PNSt15iterator_traitsISH_E10value_typeET2_T3_PNSI_ISN_E10value_typeET4_jRbjT5_ST_jjP12ihipStream_tbEUlT_E2_NS1_11comp_targetILNS1_3genE10ELNS1_11target_archE1201ELNS1_3gpuE5ELNS1_3repE0EEENS1_30default_config_static_selectorELNS0_4arch9wavefront6targetE0EEEvSH_,@function
_ZN7rocprim17ROCPRIM_400000_NS6detail17trampoline_kernelINS0_14default_configENS1_36segmented_radix_sort_config_selectorIllEEZNS1_25segmented_radix_sort_implIS3_Lb1EPKlPlS8_S9_N2at6native12_GLOBAL__N_18offset_tEEE10hipError_tPvRmT1_PNSt15iterator_traitsISH_E10value_typeET2_T3_PNSI_ISN_E10value_typeET4_jRbjT5_ST_jjP12ihipStream_tbEUlT_E2_NS1_11comp_targetILNS1_3genE10ELNS1_11target_archE1201ELNS1_3gpuE5ELNS1_3repE0EEENS1_30default_config_static_selectorELNS0_4arch9wavefront6targetE0EEEvSH_: ; @_ZN7rocprim17ROCPRIM_400000_NS6detail17trampoline_kernelINS0_14default_configENS1_36segmented_radix_sort_config_selectorIllEEZNS1_25segmented_radix_sort_implIS3_Lb1EPKlPlS8_S9_N2at6native12_GLOBAL__N_18offset_tEEE10hipError_tPvRmT1_PNSt15iterator_traitsISH_E10value_typeET2_T3_PNSI_ISN_E10value_typeET4_jRbjT5_ST_jjP12ihipStream_tbEUlT_E2_NS1_11comp_targetILNS1_3genE10ELNS1_11target_archE1201ELNS1_3gpuE5ELNS1_3repE0EEENS1_30default_config_static_selectorELNS0_4arch9wavefront6targetE0EEEvSH_
; %bb.0:
	.section	.rodata,"a",@progbits
	.p2align	6, 0x0
	.amdhsa_kernel _ZN7rocprim17ROCPRIM_400000_NS6detail17trampoline_kernelINS0_14default_configENS1_36segmented_radix_sort_config_selectorIllEEZNS1_25segmented_radix_sort_implIS3_Lb1EPKlPlS8_S9_N2at6native12_GLOBAL__N_18offset_tEEE10hipError_tPvRmT1_PNSt15iterator_traitsISH_E10value_typeET2_T3_PNSI_ISN_E10value_typeET4_jRbjT5_ST_jjP12ihipStream_tbEUlT_E2_NS1_11comp_targetILNS1_3genE10ELNS1_11target_archE1201ELNS1_3gpuE5ELNS1_3repE0EEENS1_30default_config_static_selectorELNS0_4arch9wavefront6targetE0EEEvSH_
		.amdhsa_group_segment_fixed_size 0
		.amdhsa_private_segment_fixed_size 0
		.amdhsa_kernarg_size 80
		.amdhsa_user_sgpr_count 2
		.amdhsa_user_sgpr_dispatch_ptr 0
		.amdhsa_user_sgpr_queue_ptr 0
		.amdhsa_user_sgpr_kernarg_segment_ptr 1
		.amdhsa_user_sgpr_dispatch_id 0
		.amdhsa_user_sgpr_kernarg_preload_length 0
		.amdhsa_user_sgpr_kernarg_preload_offset 0
		.amdhsa_user_sgpr_private_segment_size 0
		.amdhsa_wavefront_size32 1
		.amdhsa_uses_dynamic_stack 0
		.amdhsa_enable_private_segment 0
		.amdhsa_system_sgpr_workgroup_id_x 1
		.amdhsa_system_sgpr_workgroup_id_y 0
		.amdhsa_system_sgpr_workgroup_id_z 0
		.amdhsa_system_sgpr_workgroup_info 0
		.amdhsa_system_vgpr_workitem_id 0
		.amdhsa_next_free_vgpr 1
		.amdhsa_next_free_sgpr 1
		.amdhsa_named_barrier_count 0
		.amdhsa_reserve_vcc 0
		.amdhsa_float_round_mode_32 0
		.amdhsa_float_round_mode_16_64 0
		.amdhsa_float_denorm_mode_32 3
		.amdhsa_float_denorm_mode_16_64 3
		.amdhsa_fp16_overflow 0
		.amdhsa_memory_ordered 1
		.amdhsa_forward_progress 1
		.amdhsa_inst_pref_size 0
		.amdhsa_round_robin_scheduling 0
		.amdhsa_exception_fp_ieee_invalid_op 0
		.amdhsa_exception_fp_denorm_src 0
		.amdhsa_exception_fp_ieee_div_zero 0
		.amdhsa_exception_fp_ieee_overflow 0
		.amdhsa_exception_fp_ieee_underflow 0
		.amdhsa_exception_fp_ieee_inexact 0
		.amdhsa_exception_int_div_zero 0
	.end_amdhsa_kernel
	.section	.text._ZN7rocprim17ROCPRIM_400000_NS6detail17trampoline_kernelINS0_14default_configENS1_36segmented_radix_sort_config_selectorIllEEZNS1_25segmented_radix_sort_implIS3_Lb1EPKlPlS8_S9_N2at6native12_GLOBAL__N_18offset_tEEE10hipError_tPvRmT1_PNSt15iterator_traitsISH_E10value_typeET2_T3_PNSI_ISN_E10value_typeET4_jRbjT5_ST_jjP12ihipStream_tbEUlT_E2_NS1_11comp_targetILNS1_3genE10ELNS1_11target_archE1201ELNS1_3gpuE5ELNS1_3repE0EEENS1_30default_config_static_selectorELNS0_4arch9wavefront6targetE0EEEvSH_,"axG",@progbits,_ZN7rocprim17ROCPRIM_400000_NS6detail17trampoline_kernelINS0_14default_configENS1_36segmented_radix_sort_config_selectorIllEEZNS1_25segmented_radix_sort_implIS3_Lb1EPKlPlS8_S9_N2at6native12_GLOBAL__N_18offset_tEEE10hipError_tPvRmT1_PNSt15iterator_traitsISH_E10value_typeET2_T3_PNSI_ISN_E10value_typeET4_jRbjT5_ST_jjP12ihipStream_tbEUlT_E2_NS1_11comp_targetILNS1_3genE10ELNS1_11target_archE1201ELNS1_3gpuE5ELNS1_3repE0EEENS1_30default_config_static_selectorELNS0_4arch9wavefront6targetE0EEEvSH_,comdat
.Lfunc_end735:
	.size	_ZN7rocprim17ROCPRIM_400000_NS6detail17trampoline_kernelINS0_14default_configENS1_36segmented_radix_sort_config_selectorIllEEZNS1_25segmented_radix_sort_implIS3_Lb1EPKlPlS8_S9_N2at6native12_GLOBAL__N_18offset_tEEE10hipError_tPvRmT1_PNSt15iterator_traitsISH_E10value_typeET2_T3_PNSI_ISN_E10value_typeET4_jRbjT5_ST_jjP12ihipStream_tbEUlT_E2_NS1_11comp_targetILNS1_3genE10ELNS1_11target_archE1201ELNS1_3gpuE5ELNS1_3repE0EEENS1_30default_config_static_selectorELNS0_4arch9wavefront6targetE0EEEvSH_, .Lfunc_end735-_ZN7rocprim17ROCPRIM_400000_NS6detail17trampoline_kernelINS0_14default_configENS1_36segmented_radix_sort_config_selectorIllEEZNS1_25segmented_radix_sort_implIS3_Lb1EPKlPlS8_S9_N2at6native12_GLOBAL__N_18offset_tEEE10hipError_tPvRmT1_PNSt15iterator_traitsISH_E10value_typeET2_T3_PNSI_ISN_E10value_typeET4_jRbjT5_ST_jjP12ihipStream_tbEUlT_E2_NS1_11comp_targetILNS1_3genE10ELNS1_11target_archE1201ELNS1_3gpuE5ELNS1_3repE0EEENS1_30default_config_static_selectorELNS0_4arch9wavefront6targetE0EEEvSH_
                                        ; -- End function
	.set _ZN7rocprim17ROCPRIM_400000_NS6detail17trampoline_kernelINS0_14default_configENS1_36segmented_radix_sort_config_selectorIllEEZNS1_25segmented_radix_sort_implIS3_Lb1EPKlPlS8_S9_N2at6native12_GLOBAL__N_18offset_tEEE10hipError_tPvRmT1_PNSt15iterator_traitsISH_E10value_typeET2_T3_PNSI_ISN_E10value_typeET4_jRbjT5_ST_jjP12ihipStream_tbEUlT_E2_NS1_11comp_targetILNS1_3genE10ELNS1_11target_archE1201ELNS1_3gpuE5ELNS1_3repE0EEENS1_30default_config_static_selectorELNS0_4arch9wavefront6targetE0EEEvSH_.num_vgpr, 0
	.set _ZN7rocprim17ROCPRIM_400000_NS6detail17trampoline_kernelINS0_14default_configENS1_36segmented_radix_sort_config_selectorIllEEZNS1_25segmented_radix_sort_implIS3_Lb1EPKlPlS8_S9_N2at6native12_GLOBAL__N_18offset_tEEE10hipError_tPvRmT1_PNSt15iterator_traitsISH_E10value_typeET2_T3_PNSI_ISN_E10value_typeET4_jRbjT5_ST_jjP12ihipStream_tbEUlT_E2_NS1_11comp_targetILNS1_3genE10ELNS1_11target_archE1201ELNS1_3gpuE5ELNS1_3repE0EEENS1_30default_config_static_selectorELNS0_4arch9wavefront6targetE0EEEvSH_.num_agpr, 0
	.set _ZN7rocprim17ROCPRIM_400000_NS6detail17trampoline_kernelINS0_14default_configENS1_36segmented_radix_sort_config_selectorIllEEZNS1_25segmented_radix_sort_implIS3_Lb1EPKlPlS8_S9_N2at6native12_GLOBAL__N_18offset_tEEE10hipError_tPvRmT1_PNSt15iterator_traitsISH_E10value_typeET2_T3_PNSI_ISN_E10value_typeET4_jRbjT5_ST_jjP12ihipStream_tbEUlT_E2_NS1_11comp_targetILNS1_3genE10ELNS1_11target_archE1201ELNS1_3gpuE5ELNS1_3repE0EEENS1_30default_config_static_selectorELNS0_4arch9wavefront6targetE0EEEvSH_.numbered_sgpr, 0
	.set _ZN7rocprim17ROCPRIM_400000_NS6detail17trampoline_kernelINS0_14default_configENS1_36segmented_radix_sort_config_selectorIllEEZNS1_25segmented_radix_sort_implIS3_Lb1EPKlPlS8_S9_N2at6native12_GLOBAL__N_18offset_tEEE10hipError_tPvRmT1_PNSt15iterator_traitsISH_E10value_typeET2_T3_PNSI_ISN_E10value_typeET4_jRbjT5_ST_jjP12ihipStream_tbEUlT_E2_NS1_11comp_targetILNS1_3genE10ELNS1_11target_archE1201ELNS1_3gpuE5ELNS1_3repE0EEENS1_30default_config_static_selectorELNS0_4arch9wavefront6targetE0EEEvSH_.num_named_barrier, 0
	.set _ZN7rocprim17ROCPRIM_400000_NS6detail17trampoline_kernelINS0_14default_configENS1_36segmented_radix_sort_config_selectorIllEEZNS1_25segmented_radix_sort_implIS3_Lb1EPKlPlS8_S9_N2at6native12_GLOBAL__N_18offset_tEEE10hipError_tPvRmT1_PNSt15iterator_traitsISH_E10value_typeET2_T3_PNSI_ISN_E10value_typeET4_jRbjT5_ST_jjP12ihipStream_tbEUlT_E2_NS1_11comp_targetILNS1_3genE10ELNS1_11target_archE1201ELNS1_3gpuE5ELNS1_3repE0EEENS1_30default_config_static_selectorELNS0_4arch9wavefront6targetE0EEEvSH_.private_seg_size, 0
	.set _ZN7rocprim17ROCPRIM_400000_NS6detail17trampoline_kernelINS0_14default_configENS1_36segmented_radix_sort_config_selectorIllEEZNS1_25segmented_radix_sort_implIS3_Lb1EPKlPlS8_S9_N2at6native12_GLOBAL__N_18offset_tEEE10hipError_tPvRmT1_PNSt15iterator_traitsISH_E10value_typeET2_T3_PNSI_ISN_E10value_typeET4_jRbjT5_ST_jjP12ihipStream_tbEUlT_E2_NS1_11comp_targetILNS1_3genE10ELNS1_11target_archE1201ELNS1_3gpuE5ELNS1_3repE0EEENS1_30default_config_static_selectorELNS0_4arch9wavefront6targetE0EEEvSH_.uses_vcc, 0
	.set _ZN7rocprim17ROCPRIM_400000_NS6detail17trampoline_kernelINS0_14default_configENS1_36segmented_radix_sort_config_selectorIllEEZNS1_25segmented_radix_sort_implIS3_Lb1EPKlPlS8_S9_N2at6native12_GLOBAL__N_18offset_tEEE10hipError_tPvRmT1_PNSt15iterator_traitsISH_E10value_typeET2_T3_PNSI_ISN_E10value_typeET4_jRbjT5_ST_jjP12ihipStream_tbEUlT_E2_NS1_11comp_targetILNS1_3genE10ELNS1_11target_archE1201ELNS1_3gpuE5ELNS1_3repE0EEENS1_30default_config_static_selectorELNS0_4arch9wavefront6targetE0EEEvSH_.uses_flat_scratch, 0
	.set _ZN7rocprim17ROCPRIM_400000_NS6detail17trampoline_kernelINS0_14default_configENS1_36segmented_radix_sort_config_selectorIllEEZNS1_25segmented_radix_sort_implIS3_Lb1EPKlPlS8_S9_N2at6native12_GLOBAL__N_18offset_tEEE10hipError_tPvRmT1_PNSt15iterator_traitsISH_E10value_typeET2_T3_PNSI_ISN_E10value_typeET4_jRbjT5_ST_jjP12ihipStream_tbEUlT_E2_NS1_11comp_targetILNS1_3genE10ELNS1_11target_archE1201ELNS1_3gpuE5ELNS1_3repE0EEENS1_30default_config_static_selectorELNS0_4arch9wavefront6targetE0EEEvSH_.has_dyn_sized_stack, 0
	.set _ZN7rocprim17ROCPRIM_400000_NS6detail17trampoline_kernelINS0_14default_configENS1_36segmented_radix_sort_config_selectorIllEEZNS1_25segmented_radix_sort_implIS3_Lb1EPKlPlS8_S9_N2at6native12_GLOBAL__N_18offset_tEEE10hipError_tPvRmT1_PNSt15iterator_traitsISH_E10value_typeET2_T3_PNSI_ISN_E10value_typeET4_jRbjT5_ST_jjP12ihipStream_tbEUlT_E2_NS1_11comp_targetILNS1_3genE10ELNS1_11target_archE1201ELNS1_3gpuE5ELNS1_3repE0EEENS1_30default_config_static_selectorELNS0_4arch9wavefront6targetE0EEEvSH_.has_recursion, 0
	.set _ZN7rocprim17ROCPRIM_400000_NS6detail17trampoline_kernelINS0_14default_configENS1_36segmented_radix_sort_config_selectorIllEEZNS1_25segmented_radix_sort_implIS3_Lb1EPKlPlS8_S9_N2at6native12_GLOBAL__N_18offset_tEEE10hipError_tPvRmT1_PNSt15iterator_traitsISH_E10value_typeET2_T3_PNSI_ISN_E10value_typeET4_jRbjT5_ST_jjP12ihipStream_tbEUlT_E2_NS1_11comp_targetILNS1_3genE10ELNS1_11target_archE1201ELNS1_3gpuE5ELNS1_3repE0EEENS1_30default_config_static_selectorELNS0_4arch9wavefront6targetE0EEEvSH_.has_indirect_call, 0
	.section	.AMDGPU.csdata,"",@progbits
; Kernel info:
; codeLenInByte = 0
; TotalNumSgprs: 0
; NumVgprs: 0
; ScratchSize: 0
; MemoryBound: 0
; FloatMode: 240
; IeeeMode: 1
; LDSByteSize: 0 bytes/workgroup (compile time only)
; SGPRBlocks: 0
; VGPRBlocks: 0
; NumSGPRsForWavesPerEU: 1
; NumVGPRsForWavesPerEU: 1
; NamedBarCnt: 0
; Occupancy: 16
; WaveLimiterHint : 0
; COMPUTE_PGM_RSRC2:SCRATCH_EN: 0
; COMPUTE_PGM_RSRC2:USER_SGPR: 2
; COMPUTE_PGM_RSRC2:TRAP_HANDLER: 0
; COMPUTE_PGM_RSRC2:TGID_X_EN: 1
; COMPUTE_PGM_RSRC2:TGID_Y_EN: 0
; COMPUTE_PGM_RSRC2:TGID_Z_EN: 0
; COMPUTE_PGM_RSRC2:TIDIG_COMP_CNT: 0
	.section	.text._ZN7rocprim17ROCPRIM_400000_NS6detail17trampoline_kernelINS0_14default_configENS1_36segmented_radix_sort_config_selectorIllEEZNS1_25segmented_radix_sort_implIS3_Lb1EPKlPlS8_S9_N2at6native12_GLOBAL__N_18offset_tEEE10hipError_tPvRmT1_PNSt15iterator_traitsISH_E10value_typeET2_T3_PNSI_ISN_E10value_typeET4_jRbjT5_ST_jjP12ihipStream_tbEUlT_E2_NS1_11comp_targetILNS1_3genE10ELNS1_11target_archE1200ELNS1_3gpuE4ELNS1_3repE0EEENS1_30default_config_static_selectorELNS0_4arch9wavefront6targetE0EEEvSH_,"axG",@progbits,_ZN7rocprim17ROCPRIM_400000_NS6detail17trampoline_kernelINS0_14default_configENS1_36segmented_radix_sort_config_selectorIllEEZNS1_25segmented_radix_sort_implIS3_Lb1EPKlPlS8_S9_N2at6native12_GLOBAL__N_18offset_tEEE10hipError_tPvRmT1_PNSt15iterator_traitsISH_E10value_typeET2_T3_PNSI_ISN_E10value_typeET4_jRbjT5_ST_jjP12ihipStream_tbEUlT_E2_NS1_11comp_targetILNS1_3genE10ELNS1_11target_archE1200ELNS1_3gpuE4ELNS1_3repE0EEENS1_30default_config_static_selectorELNS0_4arch9wavefront6targetE0EEEvSH_,comdat
	.globl	_ZN7rocprim17ROCPRIM_400000_NS6detail17trampoline_kernelINS0_14default_configENS1_36segmented_radix_sort_config_selectorIllEEZNS1_25segmented_radix_sort_implIS3_Lb1EPKlPlS8_S9_N2at6native12_GLOBAL__N_18offset_tEEE10hipError_tPvRmT1_PNSt15iterator_traitsISH_E10value_typeET2_T3_PNSI_ISN_E10value_typeET4_jRbjT5_ST_jjP12ihipStream_tbEUlT_E2_NS1_11comp_targetILNS1_3genE10ELNS1_11target_archE1200ELNS1_3gpuE4ELNS1_3repE0EEENS1_30default_config_static_selectorELNS0_4arch9wavefront6targetE0EEEvSH_ ; -- Begin function _ZN7rocprim17ROCPRIM_400000_NS6detail17trampoline_kernelINS0_14default_configENS1_36segmented_radix_sort_config_selectorIllEEZNS1_25segmented_radix_sort_implIS3_Lb1EPKlPlS8_S9_N2at6native12_GLOBAL__N_18offset_tEEE10hipError_tPvRmT1_PNSt15iterator_traitsISH_E10value_typeET2_T3_PNSI_ISN_E10value_typeET4_jRbjT5_ST_jjP12ihipStream_tbEUlT_E2_NS1_11comp_targetILNS1_3genE10ELNS1_11target_archE1200ELNS1_3gpuE4ELNS1_3repE0EEENS1_30default_config_static_selectorELNS0_4arch9wavefront6targetE0EEEvSH_
	.p2align	8
	.type	_ZN7rocprim17ROCPRIM_400000_NS6detail17trampoline_kernelINS0_14default_configENS1_36segmented_radix_sort_config_selectorIllEEZNS1_25segmented_radix_sort_implIS3_Lb1EPKlPlS8_S9_N2at6native12_GLOBAL__N_18offset_tEEE10hipError_tPvRmT1_PNSt15iterator_traitsISH_E10value_typeET2_T3_PNSI_ISN_E10value_typeET4_jRbjT5_ST_jjP12ihipStream_tbEUlT_E2_NS1_11comp_targetILNS1_3genE10ELNS1_11target_archE1200ELNS1_3gpuE4ELNS1_3repE0EEENS1_30default_config_static_selectorELNS0_4arch9wavefront6targetE0EEEvSH_,@function
_ZN7rocprim17ROCPRIM_400000_NS6detail17trampoline_kernelINS0_14default_configENS1_36segmented_radix_sort_config_selectorIllEEZNS1_25segmented_radix_sort_implIS3_Lb1EPKlPlS8_S9_N2at6native12_GLOBAL__N_18offset_tEEE10hipError_tPvRmT1_PNSt15iterator_traitsISH_E10value_typeET2_T3_PNSI_ISN_E10value_typeET4_jRbjT5_ST_jjP12ihipStream_tbEUlT_E2_NS1_11comp_targetILNS1_3genE10ELNS1_11target_archE1200ELNS1_3gpuE4ELNS1_3repE0EEENS1_30default_config_static_selectorELNS0_4arch9wavefront6targetE0EEEvSH_: ; @_ZN7rocprim17ROCPRIM_400000_NS6detail17trampoline_kernelINS0_14default_configENS1_36segmented_radix_sort_config_selectorIllEEZNS1_25segmented_radix_sort_implIS3_Lb1EPKlPlS8_S9_N2at6native12_GLOBAL__N_18offset_tEEE10hipError_tPvRmT1_PNSt15iterator_traitsISH_E10value_typeET2_T3_PNSI_ISN_E10value_typeET4_jRbjT5_ST_jjP12ihipStream_tbEUlT_E2_NS1_11comp_targetILNS1_3genE10ELNS1_11target_archE1200ELNS1_3gpuE4ELNS1_3repE0EEENS1_30default_config_static_selectorELNS0_4arch9wavefront6targetE0EEEvSH_
; %bb.0:
	.section	.rodata,"a",@progbits
	.p2align	6, 0x0
	.amdhsa_kernel _ZN7rocprim17ROCPRIM_400000_NS6detail17trampoline_kernelINS0_14default_configENS1_36segmented_radix_sort_config_selectorIllEEZNS1_25segmented_radix_sort_implIS3_Lb1EPKlPlS8_S9_N2at6native12_GLOBAL__N_18offset_tEEE10hipError_tPvRmT1_PNSt15iterator_traitsISH_E10value_typeET2_T3_PNSI_ISN_E10value_typeET4_jRbjT5_ST_jjP12ihipStream_tbEUlT_E2_NS1_11comp_targetILNS1_3genE10ELNS1_11target_archE1200ELNS1_3gpuE4ELNS1_3repE0EEENS1_30default_config_static_selectorELNS0_4arch9wavefront6targetE0EEEvSH_
		.amdhsa_group_segment_fixed_size 0
		.amdhsa_private_segment_fixed_size 0
		.amdhsa_kernarg_size 80
		.amdhsa_user_sgpr_count 2
		.amdhsa_user_sgpr_dispatch_ptr 0
		.amdhsa_user_sgpr_queue_ptr 0
		.amdhsa_user_sgpr_kernarg_segment_ptr 1
		.amdhsa_user_sgpr_dispatch_id 0
		.amdhsa_user_sgpr_kernarg_preload_length 0
		.amdhsa_user_sgpr_kernarg_preload_offset 0
		.amdhsa_user_sgpr_private_segment_size 0
		.amdhsa_wavefront_size32 1
		.amdhsa_uses_dynamic_stack 0
		.amdhsa_enable_private_segment 0
		.amdhsa_system_sgpr_workgroup_id_x 1
		.amdhsa_system_sgpr_workgroup_id_y 0
		.amdhsa_system_sgpr_workgroup_id_z 0
		.amdhsa_system_sgpr_workgroup_info 0
		.amdhsa_system_vgpr_workitem_id 0
		.amdhsa_next_free_vgpr 1
		.amdhsa_next_free_sgpr 1
		.amdhsa_named_barrier_count 0
		.amdhsa_reserve_vcc 0
		.amdhsa_float_round_mode_32 0
		.amdhsa_float_round_mode_16_64 0
		.amdhsa_float_denorm_mode_32 3
		.amdhsa_float_denorm_mode_16_64 3
		.amdhsa_fp16_overflow 0
		.amdhsa_memory_ordered 1
		.amdhsa_forward_progress 1
		.amdhsa_inst_pref_size 0
		.amdhsa_round_robin_scheduling 0
		.amdhsa_exception_fp_ieee_invalid_op 0
		.amdhsa_exception_fp_denorm_src 0
		.amdhsa_exception_fp_ieee_div_zero 0
		.amdhsa_exception_fp_ieee_overflow 0
		.amdhsa_exception_fp_ieee_underflow 0
		.amdhsa_exception_fp_ieee_inexact 0
		.amdhsa_exception_int_div_zero 0
	.end_amdhsa_kernel
	.section	.text._ZN7rocprim17ROCPRIM_400000_NS6detail17trampoline_kernelINS0_14default_configENS1_36segmented_radix_sort_config_selectorIllEEZNS1_25segmented_radix_sort_implIS3_Lb1EPKlPlS8_S9_N2at6native12_GLOBAL__N_18offset_tEEE10hipError_tPvRmT1_PNSt15iterator_traitsISH_E10value_typeET2_T3_PNSI_ISN_E10value_typeET4_jRbjT5_ST_jjP12ihipStream_tbEUlT_E2_NS1_11comp_targetILNS1_3genE10ELNS1_11target_archE1200ELNS1_3gpuE4ELNS1_3repE0EEENS1_30default_config_static_selectorELNS0_4arch9wavefront6targetE0EEEvSH_,"axG",@progbits,_ZN7rocprim17ROCPRIM_400000_NS6detail17trampoline_kernelINS0_14default_configENS1_36segmented_radix_sort_config_selectorIllEEZNS1_25segmented_radix_sort_implIS3_Lb1EPKlPlS8_S9_N2at6native12_GLOBAL__N_18offset_tEEE10hipError_tPvRmT1_PNSt15iterator_traitsISH_E10value_typeET2_T3_PNSI_ISN_E10value_typeET4_jRbjT5_ST_jjP12ihipStream_tbEUlT_E2_NS1_11comp_targetILNS1_3genE10ELNS1_11target_archE1200ELNS1_3gpuE4ELNS1_3repE0EEENS1_30default_config_static_selectorELNS0_4arch9wavefront6targetE0EEEvSH_,comdat
.Lfunc_end736:
	.size	_ZN7rocprim17ROCPRIM_400000_NS6detail17trampoline_kernelINS0_14default_configENS1_36segmented_radix_sort_config_selectorIllEEZNS1_25segmented_radix_sort_implIS3_Lb1EPKlPlS8_S9_N2at6native12_GLOBAL__N_18offset_tEEE10hipError_tPvRmT1_PNSt15iterator_traitsISH_E10value_typeET2_T3_PNSI_ISN_E10value_typeET4_jRbjT5_ST_jjP12ihipStream_tbEUlT_E2_NS1_11comp_targetILNS1_3genE10ELNS1_11target_archE1200ELNS1_3gpuE4ELNS1_3repE0EEENS1_30default_config_static_selectorELNS0_4arch9wavefront6targetE0EEEvSH_, .Lfunc_end736-_ZN7rocprim17ROCPRIM_400000_NS6detail17trampoline_kernelINS0_14default_configENS1_36segmented_radix_sort_config_selectorIllEEZNS1_25segmented_radix_sort_implIS3_Lb1EPKlPlS8_S9_N2at6native12_GLOBAL__N_18offset_tEEE10hipError_tPvRmT1_PNSt15iterator_traitsISH_E10value_typeET2_T3_PNSI_ISN_E10value_typeET4_jRbjT5_ST_jjP12ihipStream_tbEUlT_E2_NS1_11comp_targetILNS1_3genE10ELNS1_11target_archE1200ELNS1_3gpuE4ELNS1_3repE0EEENS1_30default_config_static_selectorELNS0_4arch9wavefront6targetE0EEEvSH_
                                        ; -- End function
	.set _ZN7rocprim17ROCPRIM_400000_NS6detail17trampoline_kernelINS0_14default_configENS1_36segmented_radix_sort_config_selectorIllEEZNS1_25segmented_radix_sort_implIS3_Lb1EPKlPlS8_S9_N2at6native12_GLOBAL__N_18offset_tEEE10hipError_tPvRmT1_PNSt15iterator_traitsISH_E10value_typeET2_T3_PNSI_ISN_E10value_typeET4_jRbjT5_ST_jjP12ihipStream_tbEUlT_E2_NS1_11comp_targetILNS1_3genE10ELNS1_11target_archE1200ELNS1_3gpuE4ELNS1_3repE0EEENS1_30default_config_static_selectorELNS0_4arch9wavefront6targetE0EEEvSH_.num_vgpr, 0
	.set _ZN7rocprim17ROCPRIM_400000_NS6detail17trampoline_kernelINS0_14default_configENS1_36segmented_radix_sort_config_selectorIllEEZNS1_25segmented_radix_sort_implIS3_Lb1EPKlPlS8_S9_N2at6native12_GLOBAL__N_18offset_tEEE10hipError_tPvRmT1_PNSt15iterator_traitsISH_E10value_typeET2_T3_PNSI_ISN_E10value_typeET4_jRbjT5_ST_jjP12ihipStream_tbEUlT_E2_NS1_11comp_targetILNS1_3genE10ELNS1_11target_archE1200ELNS1_3gpuE4ELNS1_3repE0EEENS1_30default_config_static_selectorELNS0_4arch9wavefront6targetE0EEEvSH_.num_agpr, 0
	.set _ZN7rocprim17ROCPRIM_400000_NS6detail17trampoline_kernelINS0_14default_configENS1_36segmented_radix_sort_config_selectorIllEEZNS1_25segmented_radix_sort_implIS3_Lb1EPKlPlS8_S9_N2at6native12_GLOBAL__N_18offset_tEEE10hipError_tPvRmT1_PNSt15iterator_traitsISH_E10value_typeET2_T3_PNSI_ISN_E10value_typeET4_jRbjT5_ST_jjP12ihipStream_tbEUlT_E2_NS1_11comp_targetILNS1_3genE10ELNS1_11target_archE1200ELNS1_3gpuE4ELNS1_3repE0EEENS1_30default_config_static_selectorELNS0_4arch9wavefront6targetE0EEEvSH_.numbered_sgpr, 0
	.set _ZN7rocprim17ROCPRIM_400000_NS6detail17trampoline_kernelINS0_14default_configENS1_36segmented_radix_sort_config_selectorIllEEZNS1_25segmented_radix_sort_implIS3_Lb1EPKlPlS8_S9_N2at6native12_GLOBAL__N_18offset_tEEE10hipError_tPvRmT1_PNSt15iterator_traitsISH_E10value_typeET2_T3_PNSI_ISN_E10value_typeET4_jRbjT5_ST_jjP12ihipStream_tbEUlT_E2_NS1_11comp_targetILNS1_3genE10ELNS1_11target_archE1200ELNS1_3gpuE4ELNS1_3repE0EEENS1_30default_config_static_selectorELNS0_4arch9wavefront6targetE0EEEvSH_.num_named_barrier, 0
	.set _ZN7rocprim17ROCPRIM_400000_NS6detail17trampoline_kernelINS0_14default_configENS1_36segmented_radix_sort_config_selectorIllEEZNS1_25segmented_radix_sort_implIS3_Lb1EPKlPlS8_S9_N2at6native12_GLOBAL__N_18offset_tEEE10hipError_tPvRmT1_PNSt15iterator_traitsISH_E10value_typeET2_T3_PNSI_ISN_E10value_typeET4_jRbjT5_ST_jjP12ihipStream_tbEUlT_E2_NS1_11comp_targetILNS1_3genE10ELNS1_11target_archE1200ELNS1_3gpuE4ELNS1_3repE0EEENS1_30default_config_static_selectorELNS0_4arch9wavefront6targetE0EEEvSH_.private_seg_size, 0
	.set _ZN7rocprim17ROCPRIM_400000_NS6detail17trampoline_kernelINS0_14default_configENS1_36segmented_radix_sort_config_selectorIllEEZNS1_25segmented_radix_sort_implIS3_Lb1EPKlPlS8_S9_N2at6native12_GLOBAL__N_18offset_tEEE10hipError_tPvRmT1_PNSt15iterator_traitsISH_E10value_typeET2_T3_PNSI_ISN_E10value_typeET4_jRbjT5_ST_jjP12ihipStream_tbEUlT_E2_NS1_11comp_targetILNS1_3genE10ELNS1_11target_archE1200ELNS1_3gpuE4ELNS1_3repE0EEENS1_30default_config_static_selectorELNS0_4arch9wavefront6targetE0EEEvSH_.uses_vcc, 0
	.set _ZN7rocprim17ROCPRIM_400000_NS6detail17trampoline_kernelINS0_14default_configENS1_36segmented_radix_sort_config_selectorIllEEZNS1_25segmented_radix_sort_implIS3_Lb1EPKlPlS8_S9_N2at6native12_GLOBAL__N_18offset_tEEE10hipError_tPvRmT1_PNSt15iterator_traitsISH_E10value_typeET2_T3_PNSI_ISN_E10value_typeET4_jRbjT5_ST_jjP12ihipStream_tbEUlT_E2_NS1_11comp_targetILNS1_3genE10ELNS1_11target_archE1200ELNS1_3gpuE4ELNS1_3repE0EEENS1_30default_config_static_selectorELNS0_4arch9wavefront6targetE0EEEvSH_.uses_flat_scratch, 0
	.set _ZN7rocprim17ROCPRIM_400000_NS6detail17trampoline_kernelINS0_14default_configENS1_36segmented_radix_sort_config_selectorIllEEZNS1_25segmented_radix_sort_implIS3_Lb1EPKlPlS8_S9_N2at6native12_GLOBAL__N_18offset_tEEE10hipError_tPvRmT1_PNSt15iterator_traitsISH_E10value_typeET2_T3_PNSI_ISN_E10value_typeET4_jRbjT5_ST_jjP12ihipStream_tbEUlT_E2_NS1_11comp_targetILNS1_3genE10ELNS1_11target_archE1200ELNS1_3gpuE4ELNS1_3repE0EEENS1_30default_config_static_selectorELNS0_4arch9wavefront6targetE0EEEvSH_.has_dyn_sized_stack, 0
	.set _ZN7rocprim17ROCPRIM_400000_NS6detail17trampoline_kernelINS0_14default_configENS1_36segmented_radix_sort_config_selectorIllEEZNS1_25segmented_radix_sort_implIS3_Lb1EPKlPlS8_S9_N2at6native12_GLOBAL__N_18offset_tEEE10hipError_tPvRmT1_PNSt15iterator_traitsISH_E10value_typeET2_T3_PNSI_ISN_E10value_typeET4_jRbjT5_ST_jjP12ihipStream_tbEUlT_E2_NS1_11comp_targetILNS1_3genE10ELNS1_11target_archE1200ELNS1_3gpuE4ELNS1_3repE0EEENS1_30default_config_static_selectorELNS0_4arch9wavefront6targetE0EEEvSH_.has_recursion, 0
	.set _ZN7rocprim17ROCPRIM_400000_NS6detail17trampoline_kernelINS0_14default_configENS1_36segmented_radix_sort_config_selectorIllEEZNS1_25segmented_radix_sort_implIS3_Lb1EPKlPlS8_S9_N2at6native12_GLOBAL__N_18offset_tEEE10hipError_tPvRmT1_PNSt15iterator_traitsISH_E10value_typeET2_T3_PNSI_ISN_E10value_typeET4_jRbjT5_ST_jjP12ihipStream_tbEUlT_E2_NS1_11comp_targetILNS1_3genE10ELNS1_11target_archE1200ELNS1_3gpuE4ELNS1_3repE0EEENS1_30default_config_static_selectorELNS0_4arch9wavefront6targetE0EEEvSH_.has_indirect_call, 0
	.section	.AMDGPU.csdata,"",@progbits
; Kernel info:
; codeLenInByte = 0
; TotalNumSgprs: 0
; NumVgprs: 0
; ScratchSize: 0
; MemoryBound: 0
; FloatMode: 240
; IeeeMode: 1
; LDSByteSize: 0 bytes/workgroup (compile time only)
; SGPRBlocks: 0
; VGPRBlocks: 0
; NumSGPRsForWavesPerEU: 1
; NumVGPRsForWavesPerEU: 1
; NamedBarCnt: 0
; Occupancy: 16
; WaveLimiterHint : 0
; COMPUTE_PGM_RSRC2:SCRATCH_EN: 0
; COMPUTE_PGM_RSRC2:USER_SGPR: 2
; COMPUTE_PGM_RSRC2:TRAP_HANDLER: 0
; COMPUTE_PGM_RSRC2:TGID_X_EN: 1
; COMPUTE_PGM_RSRC2:TGID_Y_EN: 0
; COMPUTE_PGM_RSRC2:TGID_Z_EN: 0
; COMPUTE_PGM_RSRC2:TIDIG_COMP_CNT: 0
	.section	.text._ZN7rocprim17ROCPRIM_400000_NS6detail17trampoline_kernelINS0_14default_configENS1_36segmented_radix_sort_config_selectorIllEEZNS1_25segmented_radix_sort_implIS3_Lb1EPKlPlS8_S9_N2at6native12_GLOBAL__N_18offset_tEEE10hipError_tPvRmT1_PNSt15iterator_traitsISH_E10value_typeET2_T3_PNSI_ISN_E10value_typeET4_jRbjT5_ST_jjP12ihipStream_tbEUlT_E2_NS1_11comp_targetILNS1_3genE9ELNS1_11target_archE1100ELNS1_3gpuE3ELNS1_3repE0EEENS1_30default_config_static_selectorELNS0_4arch9wavefront6targetE0EEEvSH_,"axG",@progbits,_ZN7rocprim17ROCPRIM_400000_NS6detail17trampoline_kernelINS0_14default_configENS1_36segmented_radix_sort_config_selectorIllEEZNS1_25segmented_radix_sort_implIS3_Lb1EPKlPlS8_S9_N2at6native12_GLOBAL__N_18offset_tEEE10hipError_tPvRmT1_PNSt15iterator_traitsISH_E10value_typeET2_T3_PNSI_ISN_E10value_typeET4_jRbjT5_ST_jjP12ihipStream_tbEUlT_E2_NS1_11comp_targetILNS1_3genE9ELNS1_11target_archE1100ELNS1_3gpuE3ELNS1_3repE0EEENS1_30default_config_static_selectorELNS0_4arch9wavefront6targetE0EEEvSH_,comdat
	.globl	_ZN7rocprim17ROCPRIM_400000_NS6detail17trampoline_kernelINS0_14default_configENS1_36segmented_radix_sort_config_selectorIllEEZNS1_25segmented_radix_sort_implIS3_Lb1EPKlPlS8_S9_N2at6native12_GLOBAL__N_18offset_tEEE10hipError_tPvRmT1_PNSt15iterator_traitsISH_E10value_typeET2_T3_PNSI_ISN_E10value_typeET4_jRbjT5_ST_jjP12ihipStream_tbEUlT_E2_NS1_11comp_targetILNS1_3genE9ELNS1_11target_archE1100ELNS1_3gpuE3ELNS1_3repE0EEENS1_30default_config_static_selectorELNS0_4arch9wavefront6targetE0EEEvSH_ ; -- Begin function _ZN7rocprim17ROCPRIM_400000_NS6detail17trampoline_kernelINS0_14default_configENS1_36segmented_radix_sort_config_selectorIllEEZNS1_25segmented_radix_sort_implIS3_Lb1EPKlPlS8_S9_N2at6native12_GLOBAL__N_18offset_tEEE10hipError_tPvRmT1_PNSt15iterator_traitsISH_E10value_typeET2_T3_PNSI_ISN_E10value_typeET4_jRbjT5_ST_jjP12ihipStream_tbEUlT_E2_NS1_11comp_targetILNS1_3genE9ELNS1_11target_archE1100ELNS1_3gpuE3ELNS1_3repE0EEENS1_30default_config_static_selectorELNS0_4arch9wavefront6targetE0EEEvSH_
	.p2align	8
	.type	_ZN7rocprim17ROCPRIM_400000_NS6detail17trampoline_kernelINS0_14default_configENS1_36segmented_radix_sort_config_selectorIllEEZNS1_25segmented_radix_sort_implIS3_Lb1EPKlPlS8_S9_N2at6native12_GLOBAL__N_18offset_tEEE10hipError_tPvRmT1_PNSt15iterator_traitsISH_E10value_typeET2_T3_PNSI_ISN_E10value_typeET4_jRbjT5_ST_jjP12ihipStream_tbEUlT_E2_NS1_11comp_targetILNS1_3genE9ELNS1_11target_archE1100ELNS1_3gpuE3ELNS1_3repE0EEENS1_30default_config_static_selectorELNS0_4arch9wavefront6targetE0EEEvSH_,@function
_ZN7rocprim17ROCPRIM_400000_NS6detail17trampoline_kernelINS0_14default_configENS1_36segmented_radix_sort_config_selectorIllEEZNS1_25segmented_radix_sort_implIS3_Lb1EPKlPlS8_S9_N2at6native12_GLOBAL__N_18offset_tEEE10hipError_tPvRmT1_PNSt15iterator_traitsISH_E10value_typeET2_T3_PNSI_ISN_E10value_typeET4_jRbjT5_ST_jjP12ihipStream_tbEUlT_E2_NS1_11comp_targetILNS1_3genE9ELNS1_11target_archE1100ELNS1_3gpuE3ELNS1_3repE0EEENS1_30default_config_static_selectorELNS0_4arch9wavefront6targetE0EEEvSH_: ; @_ZN7rocprim17ROCPRIM_400000_NS6detail17trampoline_kernelINS0_14default_configENS1_36segmented_radix_sort_config_selectorIllEEZNS1_25segmented_radix_sort_implIS3_Lb1EPKlPlS8_S9_N2at6native12_GLOBAL__N_18offset_tEEE10hipError_tPvRmT1_PNSt15iterator_traitsISH_E10value_typeET2_T3_PNSI_ISN_E10value_typeET4_jRbjT5_ST_jjP12ihipStream_tbEUlT_E2_NS1_11comp_targetILNS1_3genE9ELNS1_11target_archE1100ELNS1_3gpuE3ELNS1_3repE0EEENS1_30default_config_static_selectorELNS0_4arch9wavefront6targetE0EEEvSH_
; %bb.0:
	.section	.rodata,"a",@progbits
	.p2align	6, 0x0
	.amdhsa_kernel _ZN7rocprim17ROCPRIM_400000_NS6detail17trampoline_kernelINS0_14default_configENS1_36segmented_radix_sort_config_selectorIllEEZNS1_25segmented_radix_sort_implIS3_Lb1EPKlPlS8_S9_N2at6native12_GLOBAL__N_18offset_tEEE10hipError_tPvRmT1_PNSt15iterator_traitsISH_E10value_typeET2_T3_PNSI_ISN_E10value_typeET4_jRbjT5_ST_jjP12ihipStream_tbEUlT_E2_NS1_11comp_targetILNS1_3genE9ELNS1_11target_archE1100ELNS1_3gpuE3ELNS1_3repE0EEENS1_30default_config_static_selectorELNS0_4arch9wavefront6targetE0EEEvSH_
		.amdhsa_group_segment_fixed_size 0
		.amdhsa_private_segment_fixed_size 0
		.amdhsa_kernarg_size 80
		.amdhsa_user_sgpr_count 2
		.amdhsa_user_sgpr_dispatch_ptr 0
		.amdhsa_user_sgpr_queue_ptr 0
		.amdhsa_user_sgpr_kernarg_segment_ptr 1
		.amdhsa_user_sgpr_dispatch_id 0
		.amdhsa_user_sgpr_kernarg_preload_length 0
		.amdhsa_user_sgpr_kernarg_preload_offset 0
		.amdhsa_user_sgpr_private_segment_size 0
		.amdhsa_wavefront_size32 1
		.amdhsa_uses_dynamic_stack 0
		.amdhsa_enable_private_segment 0
		.amdhsa_system_sgpr_workgroup_id_x 1
		.amdhsa_system_sgpr_workgroup_id_y 0
		.amdhsa_system_sgpr_workgroup_id_z 0
		.amdhsa_system_sgpr_workgroup_info 0
		.amdhsa_system_vgpr_workitem_id 0
		.amdhsa_next_free_vgpr 1
		.amdhsa_next_free_sgpr 1
		.amdhsa_named_barrier_count 0
		.amdhsa_reserve_vcc 0
		.amdhsa_float_round_mode_32 0
		.amdhsa_float_round_mode_16_64 0
		.amdhsa_float_denorm_mode_32 3
		.amdhsa_float_denorm_mode_16_64 3
		.amdhsa_fp16_overflow 0
		.amdhsa_memory_ordered 1
		.amdhsa_forward_progress 1
		.amdhsa_inst_pref_size 0
		.amdhsa_round_robin_scheduling 0
		.amdhsa_exception_fp_ieee_invalid_op 0
		.amdhsa_exception_fp_denorm_src 0
		.amdhsa_exception_fp_ieee_div_zero 0
		.amdhsa_exception_fp_ieee_overflow 0
		.amdhsa_exception_fp_ieee_underflow 0
		.amdhsa_exception_fp_ieee_inexact 0
		.amdhsa_exception_int_div_zero 0
	.end_amdhsa_kernel
	.section	.text._ZN7rocprim17ROCPRIM_400000_NS6detail17trampoline_kernelINS0_14default_configENS1_36segmented_radix_sort_config_selectorIllEEZNS1_25segmented_radix_sort_implIS3_Lb1EPKlPlS8_S9_N2at6native12_GLOBAL__N_18offset_tEEE10hipError_tPvRmT1_PNSt15iterator_traitsISH_E10value_typeET2_T3_PNSI_ISN_E10value_typeET4_jRbjT5_ST_jjP12ihipStream_tbEUlT_E2_NS1_11comp_targetILNS1_3genE9ELNS1_11target_archE1100ELNS1_3gpuE3ELNS1_3repE0EEENS1_30default_config_static_selectorELNS0_4arch9wavefront6targetE0EEEvSH_,"axG",@progbits,_ZN7rocprim17ROCPRIM_400000_NS6detail17trampoline_kernelINS0_14default_configENS1_36segmented_radix_sort_config_selectorIllEEZNS1_25segmented_radix_sort_implIS3_Lb1EPKlPlS8_S9_N2at6native12_GLOBAL__N_18offset_tEEE10hipError_tPvRmT1_PNSt15iterator_traitsISH_E10value_typeET2_T3_PNSI_ISN_E10value_typeET4_jRbjT5_ST_jjP12ihipStream_tbEUlT_E2_NS1_11comp_targetILNS1_3genE9ELNS1_11target_archE1100ELNS1_3gpuE3ELNS1_3repE0EEENS1_30default_config_static_selectorELNS0_4arch9wavefront6targetE0EEEvSH_,comdat
.Lfunc_end737:
	.size	_ZN7rocprim17ROCPRIM_400000_NS6detail17trampoline_kernelINS0_14default_configENS1_36segmented_radix_sort_config_selectorIllEEZNS1_25segmented_radix_sort_implIS3_Lb1EPKlPlS8_S9_N2at6native12_GLOBAL__N_18offset_tEEE10hipError_tPvRmT1_PNSt15iterator_traitsISH_E10value_typeET2_T3_PNSI_ISN_E10value_typeET4_jRbjT5_ST_jjP12ihipStream_tbEUlT_E2_NS1_11comp_targetILNS1_3genE9ELNS1_11target_archE1100ELNS1_3gpuE3ELNS1_3repE0EEENS1_30default_config_static_selectorELNS0_4arch9wavefront6targetE0EEEvSH_, .Lfunc_end737-_ZN7rocprim17ROCPRIM_400000_NS6detail17trampoline_kernelINS0_14default_configENS1_36segmented_radix_sort_config_selectorIllEEZNS1_25segmented_radix_sort_implIS3_Lb1EPKlPlS8_S9_N2at6native12_GLOBAL__N_18offset_tEEE10hipError_tPvRmT1_PNSt15iterator_traitsISH_E10value_typeET2_T3_PNSI_ISN_E10value_typeET4_jRbjT5_ST_jjP12ihipStream_tbEUlT_E2_NS1_11comp_targetILNS1_3genE9ELNS1_11target_archE1100ELNS1_3gpuE3ELNS1_3repE0EEENS1_30default_config_static_selectorELNS0_4arch9wavefront6targetE0EEEvSH_
                                        ; -- End function
	.set _ZN7rocprim17ROCPRIM_400000_NS6detail17trampoline_kernelINS0_14default_configENS1_36segmented_radix_sort_config_selectorIllEEZNS1_25segmented_radix_sort_implIS3_Lb1EPKlPlS8_S9_N2at6native12_GLOBAL__N_18offset_tEEE10hipError_tPvRmT1_PNSt15iterator_traitsISH_E10value_typeET2_T3_PNSI_ISN_E10value_typeET4_jRbjT5_ST_jjP12ihipStream_tbEUlT_E2_NS1_11comp_targetILNS1_3genE9ELNS1_11target_archE1100ELNS1_3gpuE3ELNS1_3repE0EEENS1_30default_config_static_selectorELNS0_4arch9wavefront6targetE0EEEvSH_.num_vgpr, 0
	.set _ZN7rocprim17ROCPRIM_400000_NS6detail17trampoline_kernelINS0_14default_configENS1_36segmented_radix_sort_config_selectorIllEEZNS1_25segmented_radix_sort_implIS3_Lb1EPKlPlS8_S9_N2at6native12_GLOBAL__N_18offset_tEEE10hipError_tPvRmT1_PNSt15iterator_traitsISH_E10value_typeET2_T3_PNSI_ISN_E10value_typeET4_jRbjT5_ST_jjP12ihipStream_tbEUlT_E2_NS1_11comp_targetILNS1_3genE9ELNS1_11target_archE1100ELNS1_3gpuE3ELNS1_3repE0EEENS1_30default_config_static_selectorELNS0_4arch9wavefront6targetE0EEEvSH_.num_agpr, 0
	.set _ZN7rocprim17ROCPRIM_400000_NS6detail17trampoline_kernelINS0_14default_configENS1_36segmented_radix_sort_config_selectorIllEEZNS1_25segmented_radix_sort_implIS3_Lb1EPKlPlS8_S9_N2at6native12_GLOBAL__N_18offset_tEEE10hipError_tPvRmT1_PNSt15iterator_traitsISH_E10value_typeET2_T3_PNSI_ISN_E10value_typeET4_jRbjT5_ST_jjP12ihipStream_tbEUlT_E2_NS1_11comp_targetILNS1_3genE9ELNS1_11target_archE1100ELNS1_3gpuE3ELNS1_3repE0EEENS1_30default_config_static_selectorELNS0_4arch9wavefront6targetE0EEEvSH_.numbered_sgpr, 0
	.set _ZN7rocprim17ROCPRIM_400000_NS6detail17trampoline_kernelINS0_14default_configENS1_36segmented_radix_sort_config_selectorIllEEZNS1_25segmented_radix_sort_implIS3_Lb1EPKlPlS8_S9_N2at6native12_GLOBAL__N_18offset_tEEE10hipError_tPvRmT1_PNSt15iterator_traitsISH_E10value_typeET2_T3_PNSI_ISN_E10value_typeET4_jRbjT5_ST_jjP12ihipStream_tbEUlT_E2_NS1_11comp_targetILNS1_3genE9ELNS1_11target_archE1100ELNS1_3gpuE3ELNS1_3repE0EEENS1_30default_config_static_selectorELNS0_4arch9wavefront6targetE0EEEvSH_.num_named_barrier, 0
	.set _ZN7rocprim17ROCPRIM_400000_NS6detail17trampoline_kernelINS0_14default_configENS1_36segmented_radix_sort_config_selectorIllEEZNS1_25segmented_radix_sort_implIS3_Lb1EPKlPlS8_S9_N2at6native12_GLOBAL__N_18offset_tEEE10hipError_tPvRmT1_PNSt15iterator_traitsISH_E10value_typeET2_T3_PNSI_ISN_E10value_typeET4_jRbjT5_ST_jjP12ihipStream_tbEUlT_E2_NS1_11comp_targetILNS1_3genE9ELNS1_11target_archE1100ELNS1_3gpuE3ELNS1_3repE0EEENS1_30default_config_static_selectorELNS0_4arch9wavefront6targetE0EEEvSH_.private_seg_size, 0
	.set _ZN7rocprim17ROCPRIM_400000_NS6detail17trampoline_kernelINS0_14default_configENS1_36segmented_radix_sort_config_selectorIllEEZNS1_25segmented_radix_sort_implIS3_Lb1EPKlPlS8_S9_N2at6native12_GLOBAL__N_18offset_tEEE10hipError_tPvRmT1_PNSt15iterator_traitsISH_E10value_typeET2_T3_PNSI_ISN_E10value_typeET4_jRbjT5_ST_jjP12ihipStream_tbEUlT_E2_NS1_11comp_targetILNS1_3genE9ELNS1_11target_archE1100ELNS1_3gpuE3ELNS1_3repE0EEENS1_30default_config_static_selectorELNS0_4arch9wavefront6targetE0EEEvSH_.uses_vcc, 0
	.set _ZN7rocprim17ROCPRIM_400000_NS6detail17trampoline_kernelINS0_14default_configENS1_36segmented_radix_sort_config_selectorIllEEZNS1_25segmented_radix_sort_implIS3_Lb1EPKlPlS8_S9_N2at6native12_GLOBAL__N_18offset_tEEE10hipError_tPvRmT1_PNSt15iterator_traitsISH_E10value_typeET2_T3_PNSI_ISN_E10value_typeET4_jRbjT5_ST_jjP12ihipStream_tbEUlT_E2_NS1_11comp_targetILNS1_3genE9ELNS1_11target_archE1100ELNS1_3gpuE3ELNS1_3repE0EEENS1_30default_config_static_selectorELNS0_4arch9wavefront6targetE0EEEvSH_.uses_flat_scratch, 0
	.set _ZN7rocprim17ROCPRIM_400000_NS6detail17trampoline_kernelINS0_14default_configENS1_36segmented_radix_sort_config_selectorIllEEZNS1_25segmented_radix_sort_implIS3_Lb1EPKlPlS8_S9_N2at6native12_GLOBAL__N_18offset_tEEE10hipError_tPvRmT1_PNSt15iterator_traitsISH_E10value_typeET2_T3_PNSI_ISN_E10value_typeET4_jRbjT5_ST_jjP12ihipStream_tbEUlT_E2_NS1_11comp_targetILNS1_3genE9ELNS1_11target_archE1100ELNS1_3gpuE3ELNS1_3repE0EEENS1_30default_config_static_selectorELNS0_4arch9wavefront6targetE0EEEvSH_.has_dyn_sized_stack, 0
	.set _ZN7rocprim17ROCPRIM_400000_NS6detail17trampoline_kernelINS0_14default_configENS1_36segmented_radix_sort_config_selectorIllEEZNS1_25segmented_radix_sort_implIS3_Lb1EPKlPlS8_S9_N2at6native12_GLOBAL__N_18offset_tEEE10hipError_tPvRmT1_PNSt15iterator_traitsISH_E10value_typeET2_T3_PNSI_ISN_E10value_typeET4_jRbjT5_ST_jjP12ihipStream_tbEUlT_E2_NS1_11comp_targetILNS1_3genE9ELNS1_11target_archE1100ELNS1_3gpuE3ELNS1_3repE0EEENS1_30default_config_static_selectorELNS0_4arch9wavefront6targetE0EEEvSH_.has_recursion, 0
	.set _ZN7rocprim17ROCPRIM_400000_NS6detail17trampoline_kernelINS0_14default_configENS1_36segmented_radix_sort_config_selectorIllEEZNS1_25segmented_radix_sort_implIS3_Lb1EPKlPlS8_S9_N2at6native12_GLOBAL__N_18offset_tEEE10hipError_tPvRmT1_PNSt15iterator_traitsISH_E10value_typeET2_T3_PNSI_ISN_E10value_typeET4_jRbjT5_ST_jjP12ihipStream_tbEUlT_E2_NS1_11comp_targetILNS1_3genE9ELNS1_11target_archE1100ELNS1_3gpuE3ELNS1_3repE0EEENS1_30default_config_static_selectorELNS0_4arch9wavefront6targetE0EEEvSH_.has_indirect_call, 0
	.section	.AMDGPU.csdata,"",@progbits
; Kernel info:
; codeLenInByte = 0
; TotalNumSgprs: 0
; NumVgprs: 0
; ScratchSize: 0
; MemoryBound: 0
; FloatMode: 240
; IeeeMode: 1
; LDSByteSize: 0 bytes/workgroup (compile time only)
; SGPRBlocks: 0
; VGPRBlocks: 0
; NumSGPRsForWavesPerEU: 1
; NumVGPRsForWavesPerEU: 1
; NamedBarCnt: 0
; Occupancy: 16
; WaveLimiterHint : 0
; COMPUTE_PGM_RSRC2:SCRATCH_EN: 0
; COMPUTE_PGM_RSRC2:USER_SGPR: 2
; COMPUTE_PGM_RSRC2:TRAP_HANDLER: 0
; COMPUTE_PGM_RSRC2:TGID_X_EN: 1
; COMPUTE_PGM_RSRC2:TGID_Y_EN: 0
; COMPUTE_PGM_RSRC2:TGID_Z_EN: 0
; COMPUTE_PGM_RSRC2:TIDIG_COMP_CNT: 0
	.section	.text._ZN7rocprim17ROCPRIM_400000_NS6detail17trampoline_kernelINS0_14default_configENS1_36segmented_radix_sort_config_selectorIllEEZNS1_25segmented_radix_sort_implIS3_Lb1EPKlPlS8_S9_N2at6native12_GLOBAL__N_18offset_tEEE10hipError_tPvRmT1_PNSt15iterator_traitsISH_E10value_typeET2_T3_PNSI_ISN_E10value_typeET4_jRbjT5_ST_jjP12ihipStream_tbEUlT_E2_NS1_11comp_targetILNS1_3genE8ELNS1_11target_archE1030ELNS1_3gpuE2ELNS1_3repE0EEENS1_30default_config_static_selectorELNS0_4arch9wavefront6targetE0EEEvSH_,"axG",@progbits,_ZN7rocprim17ROCPRIM_400000_NS6detail17trampoline_kernelINS0_14default_configENS1_36segmented_radix_sort_config_selectorIllEEZNS1_25segmented_radix_sort_implIS3_Lb1EPKlPlS8_S9_N2at6native12_GLOBAL__N_18offset_tEEE10hipError_tPvRmT1_PNSt15iterator_traitsISH_E10value_typeET2_T3_PNSI_ISN_E10value_typeET4_jRbjT5_ST_jjP12ihipStream_tbEUlT_E2_NS1_11comp_targetILNS1_3genE8ELNS1_11target_archE1030ELNS1_3gpuE2ELNS1_3repE0EEENS1_30default_config_static_selectorELNS0_4arch9wavefront6targetE0EEEvSH_,comdat
	.globl	_ZN7rocprim17ROCPRIM_400000_NS6detail17trampoline_kernelINS0_14default_configENS1_36segmented_radix_sort_config_selectorIllEEZNS1_25segmented_radix_sort_implIS3_Lb1EPKlPlS8_S9_N2at6native12_GLOBAL__N_18offset_tEEE10hipError_tPvRmT1_PNSt15iterator_traitsISH_E10value_typeET2_T3_PNSI_ISN_E10value_typeET4_jRbjT5_ST_jjP12ihipStream_tbEUlT_E2_NS1_11comp_targetILNS1_3genE8ELNS1_11target_archE1030ELNS1_3gpuE2ELNS1_3repE0EEENS1_30default_config_static_selectorELNS0_4arch9wavefront6targetE0EEEvSH_ ; -- Begin function _ZN7rocprim17ROCPRIM_400000_NS6detail17trampoline_kernelINS0_14default_configENS1_36segmented_radix_sort_config_selectorIllEEZNS1_25segmented_radix_sort_implIS3_Lb1EPKlPlS8_S9_N2at6native12_GLOBAL__N_18offset_tEEE10hipError_tPvRmT1_PNSt15iterator_traitsISH_E10value_typeET2_T3_PNSI_ISN_E10value_typeET4_jRbjT5_ST_jjP12ihipStream_tbEUlT_E2_NS1_11comp_targetILNS1_3genE8ELNS1_11target_archE1030ELNS1_3gpuE2ELNS1_3repE0EEENS1_30default_config_static_selectorELNS0_4arch9wavefront6targetE0EEEvSH_
	.p2align	8
	.type	_ZN7rocprim17ROCPRIM_400000_NS6detail17trampoline_kernelINS0_14default_configENS1_36segmented_radix_sort_config_selectorIllEEZNS1_25segmented_radix_sort_implIS3_Lb1EPKlPlS8_S9_N2at6native12_GLOBAL__N_18offset_tEEE10hipError_tPvRmT1_PNSt15iterator_traitsISH_E10value_typeET2_T3_PNSI_ISN_E10value_typeET4_jRbjT5_ST_jjP12ihipStream_tbEUlT_E2_NS1_11comp_targetILNS1_3genE8ELNS1_11target_archE1030ELNS1_3gpuE2ELNS1_3repE0EEENS1_30default_config_static_selectorELNS0_4arch9wavefront6targetE0EEEvSH_,@function
_ZN7rocprim17ROCPRIM_400000_NS6detail17trampoline_kernelINS0_14default_configENS1_36segmented_radix_sort_config_selectorIllEEZNS1_25segmented_radix_sort_implIS3_Lb1EPKlPlS8_S9_N2at6native12_GLOBAL__N_18offset_tEEE10hipError_tPvRmT1_PNSt15iterator_traitsISH_E10value_typeET2_T3_PNSI_ISN_E10value_typeET4_jRbjT5_ST_jjP12ihipStream_tbEUlT_E2_NS1_11comp_targetILNS1_3genE8ELNS1_11target_archE1030ELNS1_3gpuE2ELNS1_3repE0EEENS1_30default_config_static_selectorELNS0_4arch9wavefront6targetE0EEEvSH_: ; @_ZN7rocprim17ROCPRIM_400000_NS6detail17trampoline_kernelINS0_14default_configENS1_36segmented_radix_sort_config_selectorIllEEZNS1_25segmented_radix_sort_implIS3_Lb1EPKlPlS8_S9_N2at6native12_GLOBAL__N_18offset_tEEE10hipError_tPvRmT1_PNSt15iterator_traitsISH_E10value_typeET2_T3_PNSI_ISN_E10value_typeET4_jRbjT5_ST_jjP12ihipStream_tbEUlT_E2_NS1_11comp_targetILNS1_3genE8ELNS1_11target_archE1030ELNS1_3gpuE2ELNS1_3repE0EEENS1_30default_config_static_selectorELNS0_4arch9wavefront6targetE0EEEvSH_
; %bb.0:
	.section	.rodata,"a",@progbits
	.p2align	6, 0x0
	.amdhsa_kernel _ZN7rocprim17ROCPRIM_400000_NS6detail17trampoline_kernelINS0_14default_configENS1_36segmented_radix_sort_config_selectorIllEEZNS1_25segmented_radix_sort_implIS3_Lb1EPKlPlS8_S9_N2at6native12_GLOBAL__N_18offset_tEEE10hipError_tPvRmT1_PNSt15iterator_traitsISH_E10value_typeET2_T3_PNSI_ISN_E10value_typeET4_jRbjT5_ST_jjP12ihipStream_tbEUlT_E2_NS1_11comp_targetILNS1_3genE8ELNS1_11target_archE1030ELNS1_3gpuE2ELNS1_3repE0EEENS1_30default_config_static_selectorELNS0_4arch9wavefront6targetE0EEEvSH_
		.amdhsa_group_segment_fixed_size 0
		.amdhsa_private_segment_fixed_size 0
		.amdhsa_kernarg_size 80
		.amdhsa_user_sgpr_count 2
		.amdhsa_user_sgpr_dispatch_ptr 0
		.amdhsa_user_sgpr_queue_ptr 0
		.amdhsa_user_sgpr_kernarg_segment_ptr 1
		.amdhsa_user_sgpr_dispatch_id 0
		.amdhsa_user_sgpr_kernarg_preload_length 0
		.amdhsa_user_sgpr_kernarg_preload_offset 0
		.amdhsa_user_sgpr_private_segment_size 0
		.amdhsa_wavefront_size32 1
		.amdhsa_uses_dynamic_stack 0
		.amdhsa_enable_private_segment 0
		.amdhsa_system_sgpr_workgroup_id_x 1
		.amdhsa_system_sgpr_workgroup_id_y 0
		.amdhsa_system_sgpr_workgroup_id_z 0
		.amdhsa_system_sgpr_workgroup_info 0
		.amdhsa_system_vgpr_workitem_id 0
		.amdhsa_next_free_vgpr 1
		.amdhsa_next_free_sgpr 1
		.amdhsa_named_barrier_count 0
		.amdhsa_reserve_vcc 0
		.amdhsa_float_round_mode_32 0
		.amdhsa_float_round_mode_16_64 0
		.amdhsa_float_denorm_mode_32 3
		.amdhsa_float_denorm_mode_16_64 3
		.amdhsa_fp16_overflow 0
		.amdhsa_memory_ordered 1
		.amdhsa_forward_progress 1
		.amdhsa_inst_pref_size 0
		.amdhsa_round_robin_scheduling 0
		.amdhsa_exception_fp_ieee_invalid_op 0
		.amdhsa_exception_fp_denorm_src 0
		.amdhsa_exception_fp_ieee_div_zero 0
		.amdhsa_exception_fp_ieee_overflow 0
		.amdhsa_exception_fp_ieee_underflow 0
		.amdhsa_exception_fp_ieee_inexact 0
		.amdhsa_exception_int_div_zero 0
	.end_amdhsa_kernel
	.section	.text._ZN7rocprim17ROCPRIM_400000_NS6detail17trampoline_kernelINS0_14default_configENS1_36segmented_radix_sort_config_selectorIllEEZNS1_25segmented_radix_sort_implIS3_Lb1EPKlPlS8_S9_N2at6native12_GLOBAL__N_18offset_tEEE10hipError_tPvRmT1_PNSt15iterator_traitsISH_E10value_typeET2_T3_PNSI_ISN_E10value_typeET4_jRbjT5_ST_jjP12ihipStream_tbEUlT_E2_NS1_11comp_targetILNS1_3genE8ELNS1_11target_archE1030ELNS1_3gpuE2ELNS1_3repE0EEENS1_30default_config_static_selectorELNS0_4arch9wavefront6targetE0EEEvSH_,"axG",@progbits,_ZN7rocprim17ROCPRIM_400000_NS6detail17trampoline_kernelINS0_14default_configENS1_36segmented_radix_sort_config_selectorIllEEZNS1_25segmented_radix_sort_implIS3_Lb1EPKlPlS8_S9_N2at6native12_GLOBAL__N_18offset_tEEE10hipError_tPvRmT1_PNSt15iterator_traitsISH_E10value_typeET2_T3_PNSI_ISN_E10value_typeET4_jRbjT5_ST_jjP12ihipStream_tbEUlT_E2_NS1_11comp_targetILNS1_3genE8ELNS1_11target_archE1030ELNS1_3gpuE2ELNS1_3repE0EEENS1_30default_config_static_selectorELNS0_4arch9wavefront6targetE0EEEvSH_,comdat
.Lfunc_end738:
	.size	_ZN7rocprim17ROCPRIM_400000_NS6detail17trampoline_kernelINS0_14default_configENS1_36segmented_radix_sort_config_selectorIllEEZNS1_25segmented_radix_sort_implIS3_Lb1EPKlPlS8_S9_N2at6native12_GLOBAL__N_18offset_tEEE10hipError_tPvRmT1_PNSt15iterator_traitsISH_E10value_typeET2_T3_PNSI_ISN_E10value_typeET4_jRbjT5_ST_jjP12ihipStream_tbEUlT_E2_NS1_11comp_targetILNS1_3genE8ELNS1_11target_archE1030ELNS1_3gpuE2ELNS1_3repE0EEENS1_30default_config_static_selectorELNS0_4arch9wavefront6targetE0EEEvSH_, .Lfunc_end738-_ZN7rocprim17ROCPRIM_400000_NS6detail17trampoline_kernelINS0_14default_configENS1_36segmented_radix_sort_config_selectorIllEEZNS1_25segmented_radix_sort_implIS3_Lb1EPKlPlS8_S9_N2at6native12_GLOBAL__N_18offset_tEEE10hipError_tPvRmT1_PNSt15iterator_traitsISH_E10value_typeET2_T3_PNSI_ISN_E10value_typeET4_jRbjT5_ST_jjP12ihipStream_tbEUlT_E2_NS1_11comp_targetILNS1_3genE8ELNS1_11target_archE1030ELNS1_3gpuE2ELNS1_3repE0EEENS1_30default_config_static_selectorELNS0_4arch9wavefront6targetE0EEEvSH_
                                        ; -- End function
	.set _ZN7rocprim17ROCPRIM_400000_NS6detail17trampoline_kernelINS0_14default_configENS1_36segmented_radix_sort_config_selectorIllEEZNS1_25segmented_radix_sort_implIS3_Lb1EPKlPlS8_S9_N2at6native12_GLOBAL__N_18offset_tEEE10hipError_tPvRmT1_PNSt15iterator_traitsISH_E10value_typeET2_T3_PNSI_ISN_E10value_typeET4_jRbjT5_ST_jjP12ihipStream_tbEUlT_E2_NS1_11comp_targetILNS1_3genE8ELNS1_11target_archE1030ELNS1_3gpuE2ELNS1_3repE0EEENS1_30default_config_static_selectorELNS0_4arch9wavefront6targetE0EEEvSH_.num_vgpr, 0
	.set _ZN7rocprim17ROCPRIM_400000_NS6detail17trampoline_kernelINS0_14default_configENS1_36segmented_radix_sort_config_selectorIllEEZNS1_25segmented_radix_sort_implIS3_Lb1EPKlPlS8_S9_N2at6native12_GLOBAL__N_18offset_tEEE10hipError_tPvRmT1_PNSt15iterator_traitsISH_E10value_typeET2_T3_PNSI_ISN_E10value_typeET4_jRbjT5_ST_jjP12ihipStream_tbEUlT_E2_NS1_11comp_targetILNS1_3genE8ELNS1_11target_archE1030ELNS1_3gpuE2ELNS1_3repE0EEENS1_30default_config_static_selectorELNS0_4arch9wavefront6targetE0EEEvSH_.num_agpr, 0
	.set _ZN7rocprim17ROCPRIM_400000_NS6detail17trampoline_kernelINS0_14default_configENS1_36segmented_radix_sort_config_selectorIllEEZNS1_25segmented_radix_sort_implIS3_Lb1EPKlPlS8_S9_N2at6native12_GLOBAL__N_18offset_tEEE10hipError_tPvRmT1_PNSt15iterator_traitsISH_E10value_typeET2_T3_PNSI_ISN_E10value_typeET4_jRbjT5_ST_jjP12ihipStream_tbEUlT_E2_NS1_11comp_targetILNS1_3genE8ELNS1_11target_archE1030ELNS1_3gpuE2ELNS1_3repE0EEENS1_30default_config_static_selectorELNS0_4arch9wavefront6targetE0EEEvSH_.numbered_sgpr, 0
	.set _ZN7rocprim17ROCPRIM_400000_NS6detail17trampoline_kernelINS0_14default_configENS1_36segmented_radix_sort_config_selectorIllEEZNS1_25segmented_radix_sort_implIS3_Lb1EPKlPlS8_S9_N2at6native12_GLOBAL__N_18offset_tEEE10hipError_tPvRmT1_PNSt15iterator_traitsISH_E10value_typeET2_T3_PNSI_ISN_E10value_typeET4_jRbjT5_ST_jjP12ihipStream_tbEUlT_E2_NS1_11comp_targetILNS1_3genE8ELNS1_11target_archE1030ELNS1_3gpuE2ELNS1_3repE0EEENS1_30default_config_static_selectorELNS0_4arch9wavefront6targetE0EEEvSH_.num_named_barrier, 0
	.set _ZN7rocprim17ROCPRIM_400000_NS6detail17trampoline_kernelINS0_14default_configENS1_36segmented_radix_sort_config_selectorIllEEZNS1_25segmented_radix_sort_implIS3_Lb1EPKlPlS8_S9_N2at6native12_GLOBAL__N_18offset_tEEE10hipError_tPvRmT1_PNSt15iterator_traitsISH_E10value_typeET2_T3_PNSI_ISN_E10value_typeET4_jRbjT5_ST_jjP12ihipStream_tbEUlT_E2_NS1_11comp_targetILNS1_3genE8ELNS1_11target_archE1030ELNS1_3gpuE2ELNS1_3repE0EEENS1_30default_config_static_selectorELNS0_4arch9wavefront6targetE0EEEvSH_.private_seg_size, 0
	.set _ZN7rocprim17ROCPRIM_400000_NS6detail17trampoline_kernelINS0_14default_configENS1_36segmented_radix_sort_config_selectorIllEEZNS1_25segmented_radix_sort_implIS3_Lb1EPKlPlS8_S9_N2at6native12_GLOBAL__N_18offset_tEEE10hipError_tPvRmT1_PNSt15iterator_traitsISH_E10value_typeET2_T3_PNSI_ISN_E10value_typeET4_jRbjT5_ST_jjP12ihipStream_tbEUlT_E2_NS1_11comp_targetILNS1_3genE8ELNS1_11target_archE1030ELNS1_3gpuE2ELNS1_3repE0EEENS1_30default_config_static_selectorELNS0_4arch9wavefront6targetE0EEEvSH_.uses_vcc, 0
	.set _ZN7rocprim17ROCPRIM_400000_NS6detail17trampoline_kernelINS0_14default_configENS1_36segmented_radix_sort_config_selectorIllEEZNS1_25segmented_radix_sort_implIS3_Lb1EPKlPlS8_S9_N2at6native12_GLOBAL__N_18offset_tEEE10hipError_tPvRmT1_PNSt15iterator_traitsISH_E10value_typeET2_T3_PNSI_ISN_E10value_typeET4_jRbjT5_ST_jjP12ihipStream_tbEUlT_E2_NS1_11comp_targetILNS1_3genE8ELNS1_11target_archE1030ELNS1_3gpuE2ELNS1_3repE0EEENS1_30default_config_static_selectorELNS0_4arch9wavefront6targetE0EEEvSH_.uses_flat_scratch, 0
	.set _ZN7rocprim17ROCPRIM_400000_NS6detail17trampoline_kernelINS0_14default_configENS1_36segmented_radix_sort_config_selectorIllEEZNS1_25segmented_radix_sort_implIS3_Lb1EPKlPlS8_S9_N2at6native12_GLOBAL__N_18offset_tEEE10hipError_tPvRmT1_PNSt15iterator_traitsISH_E10value_typeET2_T3_PNSI_ISN_E10value_typeET4_jRbjT5_ST_jjP12ihipStream_tbEUlT_E2_NS1_11comp_targetILNS1_3genE8ELNS1_11target_archE1030ELNS1_3gpuE2ELNS1_3repE0EEENS1_30default_config_static_selectorELNS0_4arch9wavefront6targetE0EEEvSH_.has_dyn_sized_stack, 0
	.set _ZN7rocprim17ROCPRIM_400000_NS6detail17trampoline_kernelINS0_14default_configENS1_36segmented_radix_sort_config_selectorIllEEZNS1_25segmented_radix_sort_implIS3_Lb1EPKlPlS8_S9_N2at6native12_GLOBAL__N_18offset_tEEE10hipError_tPvRmT1_PNSt15iterator_traitsISH_E10value_typeET2_T3_PNSI_ISN_E10value_typeET4_jRbjT5_ST_jjP12ihipStream_tbEUlT_E2_NS1_11comp_targetILNS1_3genE8ELNS1_11target_archE1030ELNS1_3gpuE2ELNS1_3repE0EEENS1_30default_config_static_selectorELNS0_4arch9wavefront6targetE0EEEvSH_.has_recursion, 0
	.set _ZN7rocprim17ROCPRIM_400000_NS6detail17trampoline_kernelINS0_14default_configENS1_36segmented_radix_sort_config_selectorIllEEZNS1_25segmented_radix_sort_implIS3_Lb1EPKlPlS8_S9_N2at6native12_GLOBAL__N_18offset_tEEE10hipError_tPvRmT1_PNSt15iterator_traitsISH_E10value_typeET2_T3_PNSI_ISN_E10value_typeET4_jRbjT5_ST_jjP12ihipStream_tbEUlT_E2_NS1_11comp_targetILNS1_3genE8ELNS1_11target_archE1030ELNS1_3gpuE2ELNS1_3repE0EEENS1_30default_config_static_selectorELNS0_4arch9wavefront6targetE0EEEvSH_.has_indirect_call, 0
	.section	.AMDGPU.csdata,"",@progbits
; Kernel info:
; codeLenInByte = 0
; TotalNumSgprs: 0
; NumVgprs: 0
; ScratchSize: 0
; MemoryBound: 0
; FloatMode: 240
; IeeeMode: 1
; LDSByteSize: 0 bytes/workgroup (compile time only)
; SGPRBlocks: 0
; VGPRBlocks: 0
; NumSGPRsForWavesPerEU: 1
; NumVGPRsForWavesPerEU: 1
; NamedBarCnt: 0
; Occupancy: 16
; WaveLimiterHint : 0
; COMPUTE_PGM_RSRC2:SCRATCH_EN: 0
; COMPUTE_PGM_RSRC2:USER_SGPR: 2
; COMPUTE_PGM_RSRC2:TRAP_HANDLER: 0
; COMPUTE_PGM_RSRC2:TGID_X_EN: 1
; COMPUTE_PGM_RSRC2:TGID_Y_EN: 0
; COMPUTE_PGM_RSRC2:TGID_Z_EN: 0
; COMPUTE_PGM_RSRC2:TIDIG_COMP_CNT: 0
	.section	.text._ZN7rocprim17ROCPRIM_400000_NS6detail17trampoline_kernelINS0_13select_configILj256ELj13ELNS0_17block_load_methodE3ELS4_3ELS4_3ELNS0_20block_scan_algorithmE0ELj4294967295EEENS1_25partition_config_selectorILNS1_17partition_subalgoE4EjNS0_10empty_typeEbEEZZNS1_14partition_implILS8_4ELb0ES6_15HIP_vector_typeIjLj2EENS0_17counting_iteratorIjlEEPS9_SG_NS0_5tupleIJPjSI_NS0_16reverse_iteratorISI_EEEEENSH_IJSG_SG_SG_EEES9_SI_JZNS1_25segmented_radix_sort_implINS0_14default_configELb0EPKlPlSQ_SR_N2at6native12_GLOBAL__N_18offset_tEEE10hipError_tPvRmT1_PNSt15iterator_traitsISZ_E10value_typeET2_T3_PNS10_IS15_E10value_typeET4_jRbjT5_S1B_jjP12ihipStream_tbEUljE_ZNSN_ISO_Lb0ESQ_SR_SQ_SR_SV_EESW_SX_SY_SZ_S13_S14_S15_S18_S19_jS1A_jS1B_S1B_jjS1D_bEUljE0_EEESW_SX_SY_S15_S19_S1B_T6_T7_T9_mT8_S1D_bDpT10_ENKUlT_T0_E_clISt17integral_constantIbLb0EES1R_EEDaS1M_S1N_EUlS1M_E_NS1_11comp_targetILNS1_3genE0ELNS1_11target_archE4294967295ELNS1_3gpuE0ELNS1_3repE0EEENS1_30default_config_static_selectorELNS0_4arch9wavefront6targetE0EEEvSZ_,"axG",@progbits,_ZN7rocprim17ROCPRIM_400000_NS6detail17trampoline_kernelINS0_13select_configILj256ELj13ELNS0_17block_load_methodE3ELS4_3ELS4_3ELNS0_20block_scan_algorithmE0ELj4294967295EEENS1_25partition_config_selectorILNS1_17partition_subalgoE4EjNS0_10empty_typeEbEEZZNS1_14partition_implILS8_4ELb0ES6_15HIP_vector_typeIjLj2EENS0_17counting_iteratorIjlEEPS9_SG_NS0_5tupleIJPjSI_NS0_16reverse_iteratorISI_EEEEENSH_IJSG_SG_SG_EEES9_SI_JZNS1_25segmented_radix_sort_implINS0_14default_configELb0EPKlPlSQ_SR_N2at6native12_GLOBAL__N_18offset_tEEE10hipError_tPvRmT1_PNSt15iterator_traitsISZ_E10value_typeET2_T3_PNS10_IS15_E10value_typeET4_jRbjT5_S1B_jjP12ihipStream_tbEUljE_ZNSN_ISO_Lb0ESQ_SR_SQ_SR_SV_EESW_SX_SY_SZ_S13_S14_S15_S18_S19_jS1A_jS1B_S1B_jjS1D_bEUljE0_EEESW_SX_SY_S15_S19_S1B_T6_T7_T9_mT8_S1D_bDpT10_ENKUlT_T0_E_clISt17integral_constantIbLb0EES1R_EEDaS1M_S1N_EUlS1M_E_NS1_11comp_targetILNS1_3genE0ELNS1_11target_archE4294967295ELNS1_3gpuE0ELNS1_3repE0EEENS1_30default_config_static_selectorELNS0_4arch9wavefront6targetE0EEEvSZ_,comdat
	.globl	_ZN7rocprim17ROCPRIM_400000_NS6detail17trampoline_kernelINS0_13select_configILj256ELj13ELNS0_17block_load_methodE3ELS4_3ELS4_3ELNS0_20block_scan_algorithmE0ELj4294967295EEENS1_25partition_config_selectorILNS1_17partition_subalgoE4EjNS0_10empty_typeEbEEZZNS1_14partition_implILS8_4ELb0ES6_15HIP_vector_typeIjLj2EENS0_17counting_iteratorIjlEEPS9_SG_NS0_5tupleIJPjSI_NS0_16reverse_iteratorISI_EEEEENSH_IJSG_SG_SG_EEES9_SI_JZNS1_25segmented_radix_sort_implINS0_14default_configELb0EPKlPlSQ_SR_N2at6native12_GLOBAL__N_18offset_tEEE10hipError_tPvRmT1_PNSt15iterator_traitsISZ_E10value_typeET2_T3_PNS10_IS15_E10value_typeET4_jRbjT5_S1B_jjP12ihipStream_tbEUljE_ZNSN_ISO_Lb0ESQ_SR_SQ_SR_SV_EESW_SX_SY_SZ_S13_S14_S15_S18_S19_jS1A_jS1B_S1B_jjS1D_bEUljE0_EEESW_SX_SY_S15_S19_S1B_T6_T7_T9_mT8_S1D_bDpT10_ENKUlT_T0_E_clISt17integral_constantIbLb0EES1R_EEDaS1M_S1N_EUlS1M_E_NS1_11comp_targetILNS1_3genE0ELNS1_11target_archE4294967295ELNS1_3gpuE0ELNS1_3repE0EEENS1_30default_config_static_selectorELNS0_4arch9wavefront6targetE0EEEvSZ_ ; -- Begin function _ZN7rocprim17ROCPRIM_400000_NS6detail17trampoline_kernelINS0_13select_configILj256ELj13ELNS0_17block_load_methodE3ELS4_3ELS4_3ELNS0_20block_scan_algorithmE0ELj4294967295EEENS1_25partition_config_selectorILNS1_17partition_subalgoE4EjNS0_10empty_typeEbEEZZNS1_14partition_implILS8_4ELb0ES6_15HIP_vector_typeIjLj2EENS0_17counting_iteratorIjlEEPS9_SG_NS0_5tupleIJPjSI_NS0_16reverse_iteratorISI_EEEEENSH_IJSG_SG_SG_EEES9_SI_JZNS1_25segmented_radix_sort_implINS0_14default_configELb0EPKlPlSQ_SR_N2at6native12_GLOBAL__N_18offset_tEEE10hipError_tPvRmT1_PNSt15iterator_traitsISZ_E10value_typeET2_T3_PNS10_IS15_E10value_typeET4_jRbjT5_S1B_jjP12ihipStream_tbEUljE_ZNSN_ISO_Lb0ESQ_SR_SQ_SR_SV_EESW_SX_SY_SZ_S13_S14_S15_S18_S19_jS1A_jS1B_S1B_jjS1D_bEUljE0_EEESW_SX_SY_S15_S19_S1B_T6_T7_T9_mT8_S1D_bDpT10_ENKUlT_T0_E_clISt17integral_constantIbLb0EES1R_EEDaS1M_S1N_EUlS1M_E_NS1_11comp_targetILNS1_3genE0ELNS1_11target_archE4294967295ELNS1_3gpuE0ELNS1_3repE0EEENS1_30default_config_static_selectorELNS0_4arch9wavefront6targetE0EEEvSZ_
	.p2align	8
	.type	_ZN7rocprim17ROCPRIM_400000_NS6detail17trampoline_kernelINS0_13select_configILj256ELj13ELNS0_17block_load_methodE3ELS4_3ELS4_3ELNS0_20block_scan_algorithmE0ELj4294967295EEENS1_25partition_config_selectorILNS1_17partition_subalgoE4EjNS0_10empty_typeEbEEZZNS1_14partition_implILS8_4ELb0ES6_15HIP_vector_typeIjLj2EENS0_17counting_iteratorIjlEEPS9_SG_NS0_5tupleIJPjSI_NS0_16reverse_iteratorISI_EEEEENSH_IJSG_SG_SG_EEES9_SI_JZNS1_25segmented_radix_sort_implINS0_14default_configELb0EPKlPlSQ_SR_N2at6native12_GLOBAL__N_18offset_tEEE10hipError_tPvRmT1_PNSt15iterator_traitsISZ_E10value_typeET2_T3_PNS10_IS15_E10value_typeET4_jRbjT5_S1B_jjP12ihipStream_tbEUljE_ZNSN_ISO_Lb0ESQ_SR_SQ_SR_SV_EESW_SX_SY_SZ_S13_S14_S15_S18_S19_jS1A_jS1B_S1B_jjS1D_bEUljE0_EEESW_SX_SY_S15_S19_S1B_T6_T7_T9_mT8_S1D_bDpT10_ENKUlT_T0_E_clISt17integral_constantIbLb0EES1R_EEDaS1M_S1N_EUlS1M_E_NS1_11comp_targetILNS1_3genE0ELNS1_11target_archE4294967295ELNS1_3gpuE0ELNS1_3repE0EEENS1_30default_config_static_selectorELNS0_4arch9wavefront6targetE0EEEvSZ_,@function
_ZN7rocprim17ROCPRIM_400000_NS6detail17trampoline_kernelINS0_13select_configILj256ELj13ELNS0_17block_load_methodE3ELS4_3ELS4_3ELNS0_20block_scan_algorithmE0ELj4294967295EEENS1_25partition_config_selectorILNS1_17partition_subalgoE4EjNS0_10empty_typeEbEEZZNS1_14partition_implILS8_4ELb0ES6_15HIP_vector_typeIjLj2EENS0_17counting_iteratorIjlEEPS9_SG_NS0_5tupleIJPjSI_NS0_16reverse_iteratorISI_EEEEENSH_IJSG_SG_SG_EEES9_SI_JZNS1_25segmented_radix_sort_implINS0_14default_configELb0EPKlPlSQ_SR_N2at6native12_GLOBAL__N_18offset_tEEE10hipError_tPvRmT1_PNSt15iterator_traitsISZ_E10value_typeET2_T3_PNS10_IS15_E10value_typeET4_jRbjT5_S1B_jjP12ihipStream_tbEUljE_ZNSN_ISO_Lb0ESQ_SR_SQ_SR_SV_EESW_SX_SY_SZ_S13_S14_S15_S18_S19_jS1A_jS1B_S1B_jjS1D_bEUljE0_EEESW_SX_SY_S15_S19_S1B_T6_T7_T9_mT8_S1D_bDpT10_ENKUlT_T0_E_clISt17integral_constantIbLb0EES1R_EEDaS1M_S1N_EUlS1M_E_NS1_11comp_targetILNS1_3genE0ELNS1_11target_archE4294967295ELNS1_3gpuE0ELNS1_3repE0EEENS1_30default_config_static_selectorELNS0_4arch9wavefront6targetE0EEEvSZ_: ; @_ZN7rocprim17ROCPRIM_400000_NS6detail17trampoline_kernelINS0_13select_configILj256ELj13ELNS0_17block_load_methodE3ELS4_3ELS4_3ELNS0_20block_scan_algorithmE0ELj4294967295EEENS1_25partition_config_selectorILNS1_17partition_subalgoE4EjNS0_10empty_typeEbEEZZNS1_14partition_implILS8_4ELb0ES6_15HIP_vector_typeIjLj2EENS0_17counting_iteratorIjlEEPS9_SG_NS0_5tupleIJPjSI_NS0_16reverse_iteratorISI_EEEEENSH_IJSG_SG_SG_EEES9_SI_JZNS1_25segmented_radix_sort_implINS0_14default_configELb0EPKlPlSQ_SR_N2at6native12_GLOBAL__N_18offset_tEEE10hipError_tPvRmT1_PNSt15iterator_traitsISZ_E10value_typeET2_T3_PNS10_IS15_E10value_typeET4_jRbjT5_S1B_jjP12ihipStream_tbEUljE_ZNSN_ISO_Lb0ESQ_SR_SQ_SR_SV_EESW_SX_SY_SZ_S13_S14_S15_S18_S19_jS1A_jS1B_S1B_jjS1D_bEUljE0_EEESW_SX_SY_S15_S19_S1B_T6_T7_T9_mT8_S1D_bDpT10_ENKUlT_T0_E_clISt17integral_constantIbLb0EES1R_EEDaS1M_S1N_EUlS1M_E_NS1_11comp_targetILNS1_3genE0ELNS1_11target_archE4294967295ELNS1_3gpuE0ELNS1_3repE0EEENS1_30default_config_static_selectorELNS0_4arch9wavefront6targetE0EEEvSZ_
; %bb.0:
	s_clause 0x4
	s_load_b128 s[24:27], s[0:1], 0x58
	s_load_b32 s4, s[0:1], 0x80
	s_load_b64 s[34:35], s[0:1], 0x10
	s_load_b64 s[2:3], s[0:1], 0x68
	s_load_b32 s8, s[0:1], 0x8
	s_bfe_u32 s5, ttmp6, 0x4000c
	s_and_b32 s6, ttmp6, 15
	s_add_co_i32 s5, s5, 1
	s_getreg_b32 s7, hwreg(HW_REG_IB_STS2, 6, 4)
	s_mul_i32 s5, ttmp9, s5
	s_load_b64 s[42:43], s[0:1], 0xa8
	s_add_co_i32 s6, s6, s5
	s_cmp_eq_u32 s7, 0
	s_load_b256 s[16:23], s[0:1], 0x88
	s_cselect_b32 s33, ttmp9, s6
	s_mov_b32 s5, 0
	s_mul_i32 s40, s33, 0xd00
	s_wait_kmcnt 0x0
	s_add_co_i32 s9, s4, -1
	s_mulk_i32 s4, 0xd00
	s_load_b128 s[28:31], s[26:27], 0x0
	s_cmp_eq_u32 s33, s9
	s_add_nc_u64 s[6:7], s[34:35], s[4:5]
	s_cselect_b32 s15, -1, 0
	s_cmp_lg_u32 s33, s9
	v_cmp_gt_u64_e64 s3, s[2:3], s[6:7]
	s_cselect_b32 s5, -1, 0
	s_add_co_i32 s6, s8, s40
	s_delay_alu instid0(SALU_CYCLE_1) | instskip(NEXT) | instid1(SALU_CYCLE_1)
	s_add_co_i32 s6, s6, s34
	v_add_nc_u32_e32 v1, s6, v0
	s_or_b32 s3, s5, s3
	s_mov_b32 s5, -1
	s_and_b32 vcc_lo, exec_lo, s3
	s_delay_alu instid0(VALU_DEP_1)
	v_add_nc_u32_e32 v2, 0x100, v1
	v_add_nc_u32_e32 v3, 0x200, v1
	;; [unrolled: 1-line block ×12, first 2 shown]
	s_cbranch_vccz .LBB739_2
; %bb.1:
	v_lshlrev_b32_e32 v14, 2, v0
	s_mov_b32 s5, 0
	ds_store_2addr_stride64_b32 v14, v1, v2 offset1:4
	ds_store_2addr_stride64_b32 v14, v3, v4 offset0:8 offset1:12
	ds_store_2addr_stride64_b32 v14, v5, v6 offset0:16 offset1:20
	;; [unrolled: 1-line block ×5, first 2 shown]
	ds_store_b32 v14, v13 offset:12288
	s_wait_dscnt 0x0
	s_barrier_signal -1
	s_barrier_wait -1
.LBB739_2:
	s_and_not1_b32 vcc_lo, exec_lo, s5
	s_add_co_i32 s4, s4, s34
	s_cbranch_vccnz .LBB739_4
; %bb.3:
	v_lshlrev_b32_e32 v14, 2, v0
	ds_store_2addr_stride64_b32 v14, v1, v2 offset1:4
	ds_store_2addr_stride64_b32 v14, v3, v4 offset0:8 offset1:12
	ds_store_2addr_stride64_b32 v14, v5, v6 offset0:16 offset1:20
	;; [unrolled: 1-line block ×5, first 2 shown]
	ds_store_b32 v14, v13 offset:12288
	s_wait_dscnt 0x0
	s_barrier_signal -1
	s_barrier_wait -1
.LBB739_4:
	v_mul_u32_u24_e32 v30, 13, v0
	s_load_b128 s[36:39], s[0:1], 0x28
	s_wait_xcnt 0x0
	s_load_b64 s[26:27], s[0:1], 0x38
	v_cndmask_b32_e64 v29, 0, 1, s3
	s_sub_co_i32 s41, s2, s4
	v_lshlrev_b32_e32 v1, 2, v30
	s_and_not1_b32 vcc_lo, exec_lo, s3
	ds_load_b32 v28, v1 offset:48
	ds_load_2addr_b32 v[10:11], v1 offset0:10 offset1:11
	ds_load_2addr_b32 v[12:13], v1 offset0:8 offset1:9
	;; [unrolled: 1-line block ×4, first 2 shown]
	ds_load_2addr_b32 v[20:21], v1 offset1:1
	ds_load_2addr_b32 v[18:19], v1 offset0:2 offset1:3
	s_wait_dscnt 0x0
	s_barrier_signal -1
	s_barrier_wait -1
	s_cbranch_vccnz .LBB739_32
; %bb.5:
	v_dual_add_nc_u32 v1, s17, v20 :: v_dual_add_nc_u32 v2, s19, v20
	s_mov_b32 s45, 0
	s_mov_b32 s44, 0
	s_mov_b32 s3, exec_lo
	s_delay_alu instid0(VALU_DEP_1) | instskip(SKIP_1) | instid1(VALU_DEP_1)
	v_mul_lo_u32 v1, v1, s16
	v_mul_lo_u32 v2, v2, s18
	v_sub_nc_u32_e32 v1, v1, v2
	s_delay_alu instid0(VALU_DEP_1)
	v_cmp_lt_u32_e32 vcc_lo, s20, v1
	v_cmpx_ge_u32_e64 s20, v1
	s_cbranch_execz .LBB739_7
; %bb.6:
	v_dual_add_nc_u32 v1, s22, v20 :: v_dual_add_nc_u32 v2, s42, v20
	s_delay_alu instid0(VALU_DEP_1) | instskip(NEXT) | instid1(VALU_DEP_2)
	v_mul_lo_u32 v1, v1, s21
	v_mul_lo_u32 v2, v2, s23
	s_delay_alu instid0(VALU_DEP_1) | instskip(NEXT) | instid1(VALU_DEP_1)
	v_sub_nc_u32_e32 v1, v1, v2
	v_cmp_lt_u32_e64 s2, s43, v1
	s_and_b32 s44, s2, exec_lo
.LBB739_7:
	s_or_b32 exec_lo, exec_lo, s3
	v_dual_add_nc_u32 v1, s17, v21 :: v_dual_add_nc_u32 v2, s19, v21
	s_mov_b32 s4, exec_lo
	s_delay_alu instid0(VALU_DEP_1) | instskip(NEXT) | instid1(VALU_DEP_2)
	v_mul_lo_u32 v1, v1, s16
	v_mul_lo_u32 v2, v2, s18
	s_delay_alu instid0(VALU_DEP_1) | instskip(NEXT) | instid1(VALU_DEP_1)
	v_sub_nc_u32_e32 v1, v1, v2
	v_cmp_lt_u32_e64 s2, s20, v1
	v_cmpx_ge_u32_e64 s20, v1
	s_cbranch_execz .LBB739_9
; %bb.8:
	v_dual_add_nc_u32 v1, s22, v21 :: v_dual_add_nc_u32 v2, s42, v21
	s_delay_alu instid0(VALU_DEP_1) | instskip(NEXT) | instid1(VALU_DEP_2)
	v_mul_lo_u32 v1, v1, s21
	v_mul_lo_u32 v2, v2, s23
	s_delay_alu instid0(VALU_DEP_1) | instskip(NEXT) | instid1(VALU_DEP_1)
	v_sub_nc_u32_e32 v1, v1, v2
	v_cmp_lt_u32_e64 s3, s43, v1
	s_and_b32 s45, s3, exec_lo
.LBB739_9:
	s_or_b32 exec_lo, exec_lo, s4
	v_dual_add_nc_u32 v1, s17, v18 :: v_dual_add_nc_u32 v2, s19, v18
	s_mov_b32 s47, 0
	s_mov_b32 s46, 0
	s_mov_b32 s5, exec_lo
	s_delay_alu instid0(VALU_DEP_1) | instskip(SKIP_1) | instid1(VALU_DEP_1)
	v_mul_lo_u32 v1, v1, s16
	v_mul_lo_u32 v2, v2, s18
	v_sub_nc_u32_e32 v1, v1, v2
	s_delay_alu instid0(VALU_DEP_1)
	v_cmp_lt_u32_e64 s3, s20, v1
	v_cmpx_ge_u32_e64 s20, v1
	s_cbranch_execz .LBB739_11
; %bb.10:
	v_dual_add_nc_u32 v1, s22, v18 :: v_dual_add_nc_u32 v2, s42, v18
	s_delay_alu instid0(VALU_DEP_1) | instskip(NEXT) | instid1(VALU_DEP_2)
	v_mul_lo_u32 v1, v1, s21
	v_mul_lo_u32 v2, v2, s23
	s_delay_alu instid0(VALU_DEP_1) | instskip(NEXT) | instid1(VALU_DEP_1)
	v_sub_nc_u32_e32 v1, v1, v2
	v_cmp_lt_u32_e64 s4, s43, v1
	s_and_b32 s46, s4, exec_lo
.LBB739_11:
	s_or_b32 exec_lo, exec_lo, s5
	v_dual_add_nc_u32 v1, s17, v19 :: v_dual_add_nc_u32 v2, s19, v19
	s_mov_b32 s6, exec_lo
	s_delay_alu instid0(VALU_DEP_1) | instskip(NEXT) | instid1(VALU_DEP_2)
	v_mul_lo_u32 v1, v1, s16
	v_mul_lo_u32 v2, v2, s18
	s_delay_alu instid0(VALU_DEP_1) | instskip(NEXT) | instid1(VALU_DEP_1)
	v_sub_nc_u32_e32 v1, v1, v2
	v_cmp_lt_u32_e64 s4, s20, v1
	v_cmpx_ge_u32_e64 s20, v1
	s_cbranch_execz .LBB739_13
; %bb.12:
	v_dual_add_nc_u32 v1, s22, v19 :: v_dual_add_nc_u32 v2, s42, v19
	s_delay_alu instid0(VALU_DEP_1) | instskip(NEXT) | instid1(VALU_DEP_2)
	v_mul_lo_u32 v1, v1, s21
	v_mul_lo_u32 v2, v2, s23
	s_delay_alu instid0(VALU_DEP_1) | instskip(NEXT) | instid1(VALU_DEP_1)
	v_sub_nc_u32_e32 v1, v1, v2
	v_cmp_lt_u32_e64 s5, s43, v1
	s_and_b32 s47, s5, exec_lo
.LBB739_13:
	s_or_b32 exec_lo, exec_lo, s6
	v_dual_add_nc_u32 v1, s17, v16 :: v_dual_add_nc_u32 v2, s19, v16
	s_mov_b32 s49, 0
	s_mov_b32 s48, 0
	s_mov_b32 s7, exec_lo
	s_delay_alu instid0(VALU_DEP_1) | instskip(SKIP_1) | instid1(VALU_DEP_1)
	v_mul_lo_u32 v1, v1, s16
	v_mul_lo_u32 v2, v2, s18
	v_sub_nc_u32_e32 v1, v1, v2
	s_delay_alu instid0(VALU_DEP_1)
	v_cmp_lt_u32_e64 s5, s20, v1
	;; [unrolled: 44-line block ×6, first 2 shown]
	v_cmpx_ge_u32_e64 s20, v1
	s_cbranch_execz .LBB739_31
; %bb.30:
	v_dual_add_nc_u32 v1, s22, v28 :: v_dual_add_nc_u32 v2, s42, v28
	s_delay_alu instid0(VALU_DEP_1) | instskip(NEXT) | instid1(VALU_DEP_2)
	v_mul_lo_u32 v1, v1, s21
	v_mul_lo_u32 v2, v2, s23
	s_delay_alu instid0(VALU_DEP_1) | instskip(NEXT) | instid1(VALU_DEP_1)
	v_sub_nc_u32_e32 v1, v1, v2
	v_cmp_lt_u32_e64 s14, s43, v1
	s_and_b32 s57, s14, exec_lo
.LBB739_31:
	s_or_b32 exec_lo, exec_lo, s58
	v_cndmask_b32_e64 v2, 0, 1, s2
	v_cndmask_b32_e64 v4, 0, 1, s4
	v_cndmask_b32_e64 v1, 0, 1, vcc_lo
	v_cndmask_b32_e64 v3, 0, 1, s3
	v_cndmask_b32_e64 v6, 0, 1, s6
	v_lshlrev_b16 v2, 8, v2
	v_lshlrev_b16 v4, 8, v4
	v_cndmask_b32_e64 v8, 0, 1, s8
	v_cndmask_b32_e64 v22, 0, 1, s10
	;; [unrolled: 1-line block ×3, first 2 shown]
	v_or_b32_e32 v1, v1, v2
	v_or_b32_e32 v2, v3, v4
	v_cndmask_b32_e64 v4, 0, 1, s46
	v_cndmask_b32_e64 v5, 0, 1, s5
	;; [unrolled: 1-line block ×4, first 2 shown]
	v_lshlrev_b32_e32 v2, 16, v2
	v_and_b32_e32 v1, 0xffff, v1
	v_cndmask_b32_e64 v33, 0, 1, s50
	v_cndmask_b32_e64 v36, 0, 1, s48
	;; [unrolled: 1-line block ×4, first 2 shown]
	v_or_b32_e32 v31, v1, v2
	v_lshlrev_b16 v1, 8, v6
	v_lshlrev_b16 v2, 8, v8
	;; [unrolled: 1-line block ×5, first 2 shown]
	v_cndmask_b32_e64 v7, 0, 1, s7
	v_cndmask_b32_e64 v24, 0, 1, s56
	;; [unrolled: 1-line block ×6, first 2 shown]
	v_lshlrev_b16 v22, 8, v39
	v_or_b32_e32 v4, v37, v4
	v_or_b32_e32 v1, v5, v1
	;; [unrolled: 1-line block ×4, first 2 shown]
	v_lshlrev_b16 v8, 8, v36
	v_lshlrev_b16 v9, 8, v33
	v_cndmask_b32_e64 v26, 0, 1, s54
	v_cndmask_b32_e64 v32, 0, 1, s51
	v_lshlrev_b16 v23, 8, v24
	v_or_b32_e32 v3, v3, v8
	v_or_b32_e32 v8, v35, v9
	;; [unrolled: 1-line block ×4, first 2 shown]
	v_lshlrev_b16 v22, 8, v27
	v_and_b32_e32 v5, 0xffff, v5
	v_lshlrev_b32_e32 v4, 16, v4
	v_and_b32_e32 v1, 0xffff, v1
	v_and_b32_e32 v7, 0xffff, v7
	v_or_b32_e32 v9, v32, v22
	v_or_b32_e32 v22, v26, v23
	v_and_b32_e32 v3, 0xffff, v3
	v_dual_lshlrev_b32 v8, 16, v8 :: v_dual_lshlrev_b32 v2, 16, v2
	s_delay_alu instid0(VALU_DEP_4) | instskip(NEXT) | instid1(VALU_DEP_4)
	v_and_b32_e32 v9, 0xffff, v9
	v_lshlrev_b32_e32 v22, 16, v22
	v_lshlrev_b32_e32 v6, 16, v6
	v_cndmask_b32_e64 v34, 0, 1, s55
	v_cndmask_b32_e64 v38, 0, 1, s57
	v_or_b32_e32 v33, v1, v2
	v_or_b32_e32 v37, v7, v4
	;; [unrolled: 1-line block ×5, first 2 shown]
	s_load_b64 s[4:5], s[0:1], 0x78
	s_and_b32 vcc_lo, exec_lo, s52
	s_add_co_i32 s6, s41, 0xd00
	s_cbranch_vccnz .LBB739_33
	s_branch .LBB739_110
.LBB739_32:
                                        ; implicit-def: $vgpr38
                                        ; implicit-def: $vgpr34
                                        ; implicit-def: $vgpr35
                                        ; implicit-def: $vgpr32
                                        ; implicit-def: $vgpr37
                                        ; implicit-def: $vgpr36
                                        ; implicit-def: $vgpr33
                                        ; implicit-def: $vgpr31
	s_load_b64 s[4:5], s[0:1], 0x78
	s_add_co_i32 s6, s41, 0xd00
	s_cbranch_execz .LBB739_110
.LBB739_33:
	v_dual_mov_b32 v2, 0 :: v_dual_mov_b32 v1, 0
	s_wait_xcnt 0x0
	s_mov_b32 s1, exec_lo
	v_cmpx_gt_u32_e64 s6, v30
	s_cbranch_execz .LBB739_37
; %bb.34:
	v_dual_add_nc_u32 v1, s17, v20 :: v_dual_add_nc_u32 v2, s19, v20
	s_mov_b32 s3, 0
	s_mov_b32 s2, exec_lo
	s_delay_alu instid0(VALU_DEP_1) | instskip(NEXT) | instid1(VALU_DEP_2)
	v_mul_lo_u32 v1, v1, s16
	v_mul_lo_u32 v2, v2, s18
	s_delay_alu instid0(VALU_DEP_1) | instskip(NEXT) | instid1(VALU_DEP_1)
	v_sub_nc_u32_e32 v1, v1, v2
	v_cmp_lt_u32_e32 vcc_lo, s20, v1
	v_cmpx_ge_u32_e64 s20, v1
	s_cbranch_execz .LBB739_36
; %bb.35:
	v_dual_add_nc_u32 v1, s22, v20 :: v_dual_add_nc_u32 v2, s42, v20
	s_delay_alu instid0(VALU_DEP_1) | instskip(NEXT) | instid1(VALU_DEP_2)
	v_mul_lo_u32 v1, v1, s21
	v_mul_lo_u32 v2, v2, s23
	s_delay_alu instid0(VALU_DEP_1) | instskip(NEXT) | instid1(VALU_DEP_1)
	v_sub_nc_u32_e32 v1, v1, v2
	v_cmp_lt_u32_e64 s0, s43, v1
	s_and_b32 s3, s0, exec_lo
.LBB739_36:
	s_or_b32 exec_lo, exec_lo, s2
	v_cndmask_b32_e64 v2, 0, 1, s3
	v_cndmask_b32_e64 v1, 0, 1, vcc_lo
.LBB739_37:
	s_or_b32 exec_lo, exec_lo, s1
	s_delay_alu instid0(VALU_DEP_2) | instskip(SKIP_2) | instid1(VALU_DEP_3)
	v_lshlrev_b16 v2, 8, v2
	v_add_nc_u32_e32 v3, 1, v30
	v_lshlrev_b16 v9, 8, 0
                                        ; implicit-def: $vgpr5
                                        ; implicit-def: $vgpr7
                                        ; implicit-def: $vgpr4
                                        ; implicit-def: $vgpr8
	v_and_b32_e32 v6, 0xffff, v2
	s_delay_alu instid0(VALU_DEP_3) | instskip(NEXT) | instid1(VALU_DEP_2)
	v_cmp_le_u32_e32 vcc_lo, s6, v3
                                        ; implicit-def: $vgpr3
                                        ; implicit-def: $vgpr2
	v_lshrrev_b32_e32 v22, 8, v6
	s_and_saveexec_b32 s0, vcc_lo
	s_delay_alu instid0(SALU_CYCLE_1)
	s_xor_b32 s0, exec_lo, s0
	s_cbranch_execz .LBB739_39
; %bb.38:
	s_delay_alu instid0(VALU_DEP_1) | instskip(SKIP_3) | instid1(VALU_DEP_4)
	v_lshlrev_b16 v2, 8, v22
	v_bitop3_b16 v3, 0, v9, 0xff bitop3:0xec
	v_and_b32_e32 v8, 0xff, v1
                                        ; implicit-def: $vgpr1
                                        ; implicit-def: $vgpr9
                                        ; implicit-def: $vgpr22
	v_mov_b32_e32 v5, 0
	v_bitop3_b16 v6, v6, v2, 0xff bitop3:0xec
	v_mov_b32_e32 v2, 0
	v_and_b32_e32 v4, 0xffff, v3
	v_and_b32_e32 v3, 0xffff, v3
	s_delay_alu instid0(VALU_DEP_4)
	v_and_b32_e32 v7, 0xffff, v6
                                        ; implicit-def: $vgpr6
.LBB739_39:
	s_and_not1_saveexec_b32 s1, s0
	s_cbranch_execz .LBB739_43
; %bb.40:
	v_dual_add_nc_u32 v2, s17, v21 :: v_dual_add_nc_u32 v3, s19, v21
	s_mov_b32 s2, 0
	s_mov_b32 s3, exec_lo
	s_delay_alu instid0(VALU_DEP_1) | instskip(NEXT) | instid1(VALU_DEP_2)
	v_mul_lo_u32 v2, v2, s16
	v_mul_lo_u32 v3, v3, s18
	s_delay_alu instid0(VALU_DEP_1) | instskip(NEXT) | instid1(VALU_DEP_1)
	v_sub_nc_u32_e32 v2, v2, v3
	v_cmp_lt_u32_e32 vcc_lo, s20, v2
	v_cmpx_ge_u32_e64 s20, v2
	s_cbranch_execz .LBB739_42
; %bb.41:
	v_dual_add_nc_u32 v2, s22, v21 :: v_dual_add_nc_u32 v3, s42, v21
	s_delay_alu instid0(VALU_DEP_1) | instskip(NEXT) | instid1(VALU_DEP_2)
	v_mul_lo_u32 v2, v2, s21
	v_mul_lo_u32 v3, v3, s23
	s_delay_alu instid0(VALU_DEP_1) | instskip(NEXT) | instid1(VALU_DEP_1)
	v_sub_nc_u32_e32 v2, v2, v3
	v_cmp_lt_u32_e64 s0, s43, v2
	s_and_b32 s2, s0, exec_lo
.LBB739_42:
	s_or_b32 exec_lo, exec_lo, s3
	v_cndmask_b32_e64 v2, 0, 1, vcc_lo
	v_lshlrev_b16 v3, 8, v22
	v_cndmask_b32_e64 v7, 0, 1, s2
	v_mov_b32_e32 v5, 0
	s_delay_alu instid0(VALU_DEP_4) | instskip(NEXT) | instid1(VALU_DEP_4)
	v_lshlrev_b16 v2, 8, v2
	v_bitop3_b16 v3, v6, v3, 0xff bitop3:0xec
	v_bitop3_b16 v6, 0, v9, 0xff bitop3:0xec
	s_delay_alu instid0(VALU_DEP_3) | instskip(NEXT) | instid1(VALU_DEP_3)
	v_bitop3_b16 v1, v1, v2, 0xff bitop3:0xec
	v_and_b32_e32 v3, 0xffff, v3
	v_mov_b32_e32 v2, 0
	s_delay_alu instid0(VALU_DEP_4) | instskip(NEXT) | instid1(VALU_DEP_4)
	v_and_b32_e32 v4, 0xffff, v6
	v_and_b32_e32 v8, 0xffff, v1
	s_delay_alu instid0(VALU_DEP_4)
	v_lshl_or_b32 v7, v7, 16, v3
	v_and_b32_e32 v3, 0xffff, v6
.LBB739_43:
	s_or_b32 exec_lo, exec_lo, s1
	s_delay_alu instid0(VALU_DEP_3) | instskip(NEXT) | instid1(VALU_DEP_1)
	v_dual_add_nc_u32 v1, 2, v30 :: v_dual_lshrrev_b32 v9, 8, v8
                                        ; implicit-def: $vgpr6
	v_cmp_le_u32_e32 vcc_lo, s6, v1
                                        ; implicit-def: $vgpr1
	s_and_saveexec_b32 s0, vcc_lo
	s_delay_alu instid0(SALU_CYCLE_1)
	s_xor_b32 s0, exec_lo, s0
	s_cbranch_execz .LBB739_45
; %bb.44:
	v_lshlrev_b16 v1, 8, v9
	v_and_b32_e32 v9, 0xff0000, v7
	v_perm_b32 v4, v4, v4, 0x3060504
	s_delay_alu instid0(VALU_DEP_3) | instskip(NEXT) | instid1(VALU_DEP_1)
	v_bitop3_b16 v1, v8, v1, 0xff bitop3:0xec
	v_and_b32_e32 v1, 0xffff, v1
	s_delay_alu instid0(VALU_DEP_1)
	v_and_or_b32 v6, 0xff000000, v8, v1
	v_perm_b32 v1, v7, v9, 0x3020504
                                        ; implicit-def: $vgpr9
                                        ; implicit-def: $vgpr8
                                        ; implicit-def: $vgpr7
.LBB739_45:
	s_and_not1_saveexec_b32 s1, s0
	s_cbranch_execz .LBB739_49
; %bb.46:
	v_dual_add_nc_u32 v1, s17, v18 :: v_dual_add_nc_u32 v6, s19, v18
	s_mov_b32 s2, 0
	s_mov_b32 s3, exec_lo
	s_delay_alu instid0(VALU_DEP_1) | instskip(NEXT) | instid1(VALU_DEP_2)
	v_mul_lo_u32 v1, v1, s16
	v_mul_lo_u32 v6, v6, s18
	s_delay_alu instid0(VALU_DEP_1) | instskip(NEXT) | instid1(VALU_DEP_1)
	v_sub_nc_u32_e32 v1, v1, v6
	v_cmp_lt_u32_e32 vcc_lo, s20, v1
	v_cmpx_ge_u32_e64 s20, v1
	s_cbranch_execz .LBB739_48
; %bb.47:
	v_dual_add_nc_u32 v1, s22, v18 :: v_dual_add_nc_u32 v6, s42, v18
	s_delay_alu instid0(VALU_DEP_1) | instskip(NEXT) | instid1(VALU_DEP_2)
	v_mul_lo_u32 v1, v1, s21
	v_mul_lo_u32 v6, v6, s23
	s_delay_alu instid0(VALU_DEP_1) | instskip(NEXT) | instid1(VALU_DEP_1)
	v_sub_nc_u32_e32 v1, v1, v6
	v_cmp_lt_u32_e64 s0, s43, v1
	s_and_b32 s2, s0, exec_lo
.LBB739_48:
	s_or_b32 exec_lo, exec_lo, s3
	v_dual_lshrrev_b32 v1, 24, v8 :: v_dual_lshrrev_b32 v23, 8, v7
	v_cndmask_b32_e64 v6, 0, 1, s2
	v_cndmask_b32_e64 v22, 0, 1, vcc_lo
	v_lshlrev_b16 v9, 8, v9
	s_delay_alu instid0(VALU_DEP_4)
	v_lshlrev_b16 v1, 8, v1
	v_lshrrev_b32_e32 v24, 16, v7
	v_lshlrev_b16 v6, 8, v6
	v_lshlrev_b16 v23, 8, v23
	v_bitop3_b16 v8, v8, v9, 0xff bitop3:0xec
	v_or_b32_e32 v1, v22, v1
	s_delay_alu instid0(VALU_DEP_4) | instskip(NEXT) | instid1(VALU_DEP_4)
	v_bitop3_b16 v6, v24, v6, 0xff bitop3:0xec
	v_bitop3_b16 v7, v7, v23, 0xff bitop3:0xec
	s_delay_alu instid0(VALU_DEP_4) | instskip(NEXT) | instid1(VALU_DEP_3)
	v_and_b32_e32 v8, 0xffff, v8
	v_dual_lshlrev_b32 v1, 16, v1 :: v_dual_lshlrev_b32 v9, 16, v6
	s_delay_alu instid0(VALU_DEP_3) | instskip(NEXT) | instid1(VALU_DEP_2)
	v_and_b32_e32 v7, 0xffff, v7
	v_or_b32_e32 v6, v8, v1
	s_delay_alu instid0(VALU_DEP_2)
	v_or_b32_e32 v1, v7, v9
.LBB739_49:
	s_or_b32 exec_lo, exec_lo, s1
	v_dual_add_nc_u32 v8, 3, v30 :: v_dual_lshrrev_b32 v9, 24, v5
	v_lshrrev_b32_e32 v7, 16, v5
                                        ; implicit-def: $vgpr31
	s_delay_alu instid0(VALU_DEP_2) | instskip(SKIP_2) | instid1(SALU_CYCLE_1)
	v_cmp_le_u32_e32 vcc_lo, s6, v8
	v_lshrrev_b32_e32 v8, 8, v5
                                        ; implicit-def: $vgpr5
	s_and_saveexec_b32 s0, vcc_lo
	s_xor_b32 s0, exec_lo, s0
	s_cbranch_execz .LBB739_51
; %bb.50:
	v_lshlrev_b16 v5, 8, v9
	v_lshlrev_b16 v8, 8, v8
	v_perm_b32 v4, v4, v4, 0x3060504
	v_perm_b32 v3, v3, v3, 0x3060504
                                        ; implicit-def: $vgpr9
	s_delay_alu instid0(VALU_DEP_4) | instskip(SKIP_2) | instid1(VALU_DEP_3)
	v_bitop3_b16 v5, v7, v5, 0xff bitop3:0xec
	v_and_b32_e32 v7, 0xff0000, v6
	v_and_b32_e32 v8, 0xffff, v8
	v_lshlrev_b32_e32 v5, 16, v5
	s_delay_alu instid0(VALU_DEP_3) | instskip(NEXT) | instid1(VALU_DEP_2)
	v_perm_b32 v31, v6, v7, 0x3020504
                                        ; implicit-def: $vgpr6
                                        ; implicit-def: $vgpr7
	v_or_b32_e32 v5, v8, v5
                                        ; implicit-def: $vgpr8
.LBB739_51:
	s_and_not1_saveexec_b32 s1, s0
	s_cbranch_execz .LBB739_55
; %bb.52:
	v_dual_add_nc_u32 v5, s17, v19 :: v_dual_add_nc_u32 v22, s19, v19
	s_mov_b32 s2, 0
	s_mov_b32 s3, exec_lo
	s_delay_alu instid0(VALU_DEP_1) | instskip(NEXT) | instid1(VALU_DEP_2)
	v_mul_lo_u32 v5, v5, s16
	v_mul_lo_u32 v22, v22, s18
	s_delay_alu instid0(VALU_DEP_1) | instskip(NEXT) | instid1(VALU_DEP_1)
	v_sub_nc_u32_e32 v5, v5, v22
	v_cmp_lt_u32_e32 vcc_lo, s20, v5
	v_cmpx_ge_u32_e64 s20, v5
	s_cbranch_execz .LBB739_54
; %bb.53:
	v_dual_add_nc_u32 v5, s22, v19 :: v_dual_add_nc_u32 v22, s42, v19
	s_delay_alu instid0(VALU_DEP_1) | instskip(NEXT) | instid1(VALU_DEP_2)
	v_mul_lo_u32 v5, v5, s21
	v_mul_lo_u32 v22, v22, s23
	s_delay_alu instid0(VALU_DEP_1) | instskip(NEXT) | instid1(VALU_DEP_1)
	v_sub_nc_u32_e32 v5, v5, v22
	v_cmp_lt_u32_e64 s0, s43, v5
	s_and_b32 s2, s0, exec_lo
.LBB739_54:
	s_or_b32 exec_lo, exec_lo, s3
	v_cndmask_b32_e64 v5, 0, 1, vcc_lo
	v_dual_lshrrev_b32 v22, 8, v6 :: v_dual_lshrrev_b32 v24, 16, v6
	v_cndmask_b32_e64 v23, 0, 1, s2
	v_lshlrev_b16 v9, 8, v9
	s_delay_alu instid0(VALU_DEP_4) | instskip(NEXT) | instid1(VALU_DEP_4)
	v_lshlrev_b16 v5, 8, v5
	v_lshlrev_b16 v22, 8, v22
	;; [unrolled: 1-line block ×3, first 2 shown]
	s_delay_alu instid0(VALU_DEP_4) | instskip(NEXT) | instid1(VALU_DEP_4)
	v_bitop3_b16 v7, v7, v9, 0xff bitop3:0xec
	v_bitop3_b16 v5, v24, v5, 0xff bitop3:0xec
	s_delay_alu instid0(VALU_DEP_4) | instskip(NEXT) | instid1(VALU_DEP_3)
	v_bitop3_b16 v6, v6, v22, 0xff bitop3:0xec
	v_dual_lshlrev_b32 v7, 16, v7 :: v_dual_bitop2_b32 v8, v23, v8 bitop3:0x54
	s_delay_alu instid0(VALU_DEP_3) | instskip(NEXT) | instid1(VALU_DEP_3)
	v_lshlrev_b32_e32 v5, 16, v5
	v_and_b32_e32 v6, 0xffff, v6
	s_delay_alu instid0(VALU_DEP_3) | instskip(NEXT) | instid1(VALU_DEP_2)
	v_and_b32_e32 v8, 0xffff, v8
	v_or_b32_e32 v31, v6, v5
	s_delay_alu instid0(VALU_DEP_2)
	v_or_b32_e32 v5, v8, v7
.LBB739_55:
	s_or_b32 exec_lo, exec_lo, s1
	v_dual_add_nc_u32 v6, 4, v30 :: v_dual_lshrrev_b32 v22, 8, v4
	v_dual_lshrrev_b32 v7, 16, v4 :: v_dual_lshrrev_b32 v23, 24, v4
	s_delay_alu instid0(VALU_DEP_3) | instskip(NEXT) | instid1(VALU_DEP_3)
	v_dual_lshrrev_b32 v9, 24, v5 :: v_dual_lshrrev_b32 v8, 16, v5
	v_cmp_le_u32_e32 vcc_lo, s6, v6
                                        ; implicit-def: $vgpr4
                                        ; implicit-def: $vgpr6
	s_and_saveexec_b32 s0, vcc_lo
	s_delay_alu instid0(SALU_CYCLE_1)
	s_xor_b32 s0, exec_lo, s0
	s_cbranch_execz .LBB739_57
; %bb.56:
	v_lshlrev_b16 v4, 8, v23
	v_lshlrev_b16 v6, 8, v22
	;; [unrolled: 1-line block ×3, first 2 shown]
	v_perm_b32 v3, v3, v3, 0x3060504
                                        ; implicit-def: $vgpr22
                                        ; implicit-def: $vgpr23
	s_delay_alu instid0(VALU_DEP_4) | instskip(NEXT) | instid1(VALU_DEP_4)
	v_bitop3_b16 v4, v7, v4, 0xff bitop3:0xec
	v_and_b32_e32 v6, 0xffff, v6
	s_delay_alu instid0(VALU_DEP_4) | instskip(NEXT) | instid1(VALU_DEP_3)
	v_bitop3_b16 v7, v8, v9, 0xff bitop3:0xec
                                        ; implicit-def: $vgpr9
	v_lshlrev_b32_e32 v8, 16, v4
	s_delay_alu instid0(VALU_DEP_2) | instskip(NEXT) | instid1(VALU_DEP_2)
	v_perm_b32 v4, v7, v5, 0x5040c00
                                        ; implicit-def: $vgpr5
                                        ; implicit-def: $vgpr7
	v_or_b32_e32 v6, v6, v8
                                        ; implicit-def: $vgpr8
.LBB739_57:
	s_and_not1_saveexec_b32 s1, s0
	s_cbranch_execz .LBB739_61
; %bb.58:
	v_dual_add_nc_u32 v4, s17, v16 :: v_dual_add_nc_u32 v6, s19, v16
	s_mov_b32 s2, 0
	s_mov_b32 s3, exec_lo
	s_delay_alu instid0(VALU_DEP_1) | instskip(NEXT) | instid1(VALU_DEP_2)
	v_mul_lo_u32 v4, v4, s16
	v_mul_lo_u32 v6, v6, s18
	s_delay_alu instid0(VALU_DEP_1) | instskip(NEXT) | instid1(VALU_DEP_1)
	v_sub_nc_u32_e32 v4, v4, v6
	v_cmp_lt_u32_e32 vcc_lo, s20, v4
	v_cmpx_ge_u32_e64 s20, v4
	s_cbranch_execz .LBB739_60
; %bb.59:
	v_dual_add_nc_u32 v4, s22, v16 :: v_dual_add_nc_u32 v6, s42, v16
	s_delay_alu instid0(VALU_DEP_1) | instskip(NEXT) | instid1(VALU_DEP_2)
	v_mul_lo_u32 v4, v4, s21
	v_mul_lo_u32 v6, v6, s23
	s_delay_alu instid0(VALU_DEP_1) | instskip(NEXT) | instid1(VALU_DEP_1)
	v_sub_nc_u32_e32 v4, v4, v6
	v_cmp_lt_u32_e64 s0, s43, v4
	s_and_b32 s2, s0, exec_lo
.LBB739_60:
	s_or_b32 exec_lo, exec_lo, s3
	v_cndmask_b32_e64 v4, 0, 1, s2
	v_cndmask_b32_e64 v6, 0, 1, vcc_lo
	v_lshlrev_b16 v23, 8, v23
	v_lshlrev_b16 v22, 8, v22
	;; [unrolled: 1-line block ×4, first 2 shown]
	s_delay_alu instid0(VALU_DEP_4) | instskip(NEXT) | instid1(VALU_DEP_4)
	v_bitop3_b16 v7, v7, v23, 0xff bitop3:0xec
	v_or_b32_e32 v6, v6, v22
	s_delay_alu instid0(VALU_DEP_4) | instskip(NEXT) | instid1(VALU_DEP_4)
	v_bitop3_b16 v8, v8, v9, 0xff bitop3:0xec
	v_bitop3_b16 v4, v5, v4, 0xff bitop3:0xec
	s_delay_alu instid0(VALU_DEP_4) | instskip(NEXT) | instid1(VALU_DEP_4)
	v_lshlrev_b32_e32 v5, 16, v7
	v_and_b32_e32 v6, 0xffff, v6
	s_delay_alu instid0(VALU_DEP_4) | instskip(NEXT) | instid1(VALU_DEP_4)
	v_lshlrev_b32_e32 v7, 16, v8
	v_and_b32_e32 v4, 0xffff, v4
	s_delay_alu instid0(VALU_DEP_3) | instskip(NEXT) | instid1(VALU_DEP_2)
	v_or_b32_e32 v6, v6, v5
	v_or_b32_e32 v4, v4, v7
.LBB739_61:
	s_or_b32 exec_lo, exec_lo, s1
	s_delay_alu instid0(VALU_DEP_1) | instskip(NEXT) | instid1(VALU_DEP_2)
	v_dual_add_nc_u32 v5, 5, v30 :: v_dual_lshrrev_b32 v22, 8, v4
	v_dual_lshrrev_b32 v8, 16, v6 :: v_dual_lshrrev_b32 v9, 24, v6
                                        ; implicit-def: $vgpr7
	s_delay_alu instid0(VALU_DEP_2) | instskip(SKIP_1) | instid1(SALU_CYCLE_1)
	v_cmp_le_u32_e32 vcc_lo, s6, v5
                                        ; implicit-def: $vgpr5
	s_and_saveexec_b32 s0, vcc_lo
	s_xor_b32 s0, exec_lo, s0
	s_cbranch_execz .LBB739_63
; %bb.62:
	v_lshlrev_b16 v5, 8, v22
	v_lshlrev_b16 v7, 8, v9
	v_perm_b32 v3, v3, v3, 0x3060504
                                        ; implicit-def: $vgpr9
                                        ; implicit-def: $vgpr22
	s_delay_alu instid0(VALU_DEP_3) | instskip(NEXT) | instid1(VALU_DEP_3)
	v_bitop3_b16 v5, v4, v5, 0xff bitop3:0xec
	v_bitop3_b16 v7, v8, v7, 0xff bitop3:0xec
                                        ; implicit-def: $vgpr8
	s_delay_alu instid0(VALU_DEP_2) | instskip(NEXT) | instid1(VALU_DEP_2)
	v_and_b32_e32 v5, 0xffff, v5
	v_perm_b32 v7, v7, v6, 0x5040c00
                                        ; implicit-def: $vgpr6
	s_delay_alu instid0(VALU_DEP_2)
	v_and_or_b32 v5, 0xff000000, v4, v5
                                        ; implicit-def: $vgpr4
.LBB739_63:
	s_and_not1_saveexec_b32 s1, s0
	s_cbranch_execz .LBB739_67
; %bb.64:
	v_dual_add_nc_u32 v5, s17, v17 :: v_dual_add_nc_u32 v7, s19, v17
	s_mov_b32 s2, 0
	s_mov_b32 s3, exec_lo
	s_delay_alu instid0(VALU_DEP_1) | instskip(NEXT) | instid1(VALU_DEP_2)
	v_mul_lo_u32 v5, v5, s16
	v_mul_lo_u32 v7, v7, s18
	s_delay_alu instid0(VALU_DEP_1) | instskip(NEXT) | instid1(VALU_DEP_1)
	v_sub_nc_u32_e32 v5, v5, v7
	v_cmp_lt_u32_e32 vcc_lo, s20, v5
	v_cmpx_ge_u32_e64 s20, v5
	s_cbranch_execz .LBB739_66
; %bb.65:
	v_dual_add_nc_u32 v5, s22, v17 :: v_dual_add_nc_u32 v7, s42, v17
	s_delay_alu instid0(VALU_DEP_1) | instskip(NEXT) | instid1(VALU_DEP_2)
	v_mul_lo_u32 v5, v5, s21
	v_mul_lo_u32 v7, v7, s23
	s_delay_alu instid0(VALU_DEP_1) | instskip(NEXT) | instid1(VALU_DEP_1)
	v_sub_nc_u32_e32 v5, v5, v7
	v_cmp_lt_u32_e64 s0, s43, v5
	s_and_b32 s2, s0, exec_lo
.LBB739_66:
	s_or_b32 exec_lo, exec_lo, s3
	v_cndmask_b32_e64 v5, 0, 1, vcc_lo
	v_lshrrev_b32_e32 v7, 24, v4
	v_cndmask_b32_e64 v23, 0, 1, s2
	v_lshlrev_b16 v9, 8, v9
	v_lshlrev_b16 v22, 8, v22
	;; [unrolled: 1-line block ×4, first 2 shown]
	s_delay_alu instid0(VALU_DEP_4) | instskip(NEXT) | instid1(VALU_DEP_4)
	v_bitop3_b16 v8, v8, v9, 0xff bitop3:0xec
	v_bitop3_b16 v4, v4, v22, 0xff bitop3:0xec
	s_delay_alu instid0(VALU_DEP_4) | instskip(NEXT) | instid1(VALU_DEP_3)
	v_bitop3_b16 v5, v6, v5, 0xff bitop3:0xec
	v_dual_lshlrev_b32 v7, 16, v8 :: v_dual_bitop2_b32 v6, v23, v7 bitop3:0x54
	s_delay_alu instid0(VALU_DEP_3) | instskip(NEXT) | instid1(VALU_DEP_3)
	v_and_b32_e32 v4, 0xffff, v4
	v_and_b32_e32 v5, 0xffff, v5
	s_delay_alu instid0(VALU_DEP_1) | instskip(NEXT) | instid1(VALU_DEP_1)
	v_dual_lshlrev_b32 v6, 16, v6 :: v_dual_bitop2_b32 v7, v5, v7 bitop3:0x54
	v_or_b32_e32 v5, v4, v6
.LBB739_67:
	s_or_b32 exec_lo, exec_lo, s1
	s_delay_alu instid0(VALU_DEP_2) | instskip(NEXT) | instid1(VALU_DEP_1)
	v_dual_add_nc_u32 v4, 6, v30 :: v_dual_lshrrev_b32 v6, 8, v7
                                        ; implicit-def: $vgpr32
	v_cmp_le_u32_e32 vcc_lo, s6, v4
                                        ; implicit-def: $vgpr4
	s_and_saveexec_b32 s0, vcc_lo
	s_delay_alu instid0(SALU_CYCLE_1)
	s_xor_b32 s0, exec_lo, s0
	s_cbranch_execz .LBB739_69
; %bb.68:
	v_lshlrev_b16 v4, 8, v6
	v_and_b32_e32 v6, 0xff0000, v5
	v_perm_b32 v3, v3, v3, 0x3060504
	s_delay_alu instid0(VALU_DEP_3) | instskip(NEXT) | instid1(VALU_DEP_3)
	v_bitop3_b16 v4, v7, v4, 0xff bitop3:0xec
	v_perm_b32 v32, v5, v6, 0x3020504
                                        ; implicit-def: $vgpr6
                                        ; implicit-def: $vgpr5
	s_delay_alu instid0(VALU_DEP_2) | instskip(NEXT) | instid1(VALU_DEP_1)
	v_and_b32_e32 v4, 0xffff, v4
	v_and_or_b32 v4, 0xff000000, v7, v4
                                        ; implicit-def: $vgpr7
.LBB739_69:
	s_and_not1_saveexec_b32 s1, s0
	s_cbranch_execz .LBB739_73
; %bb.70:
	v_dual_add_nc_u32 v4, s17, v14 :: v_dual_add_nc_u32 v8, s19, v14
	s_mov_b32 s2, 0
	s_mov_b32 s3, exec_lo
	s_delay_alu instid0(VALU_DEP_1) | instskip(NEXT) | instid1(VALU_DEP_2)
	v_mul_lo_u32 v4, v4, s16
	v_mul_lo_u32 v8, v8, s18
	s_delay_alu instid0(VALU_DEP_1) | instskip(NEXT) | instid1(VALU_DEP_1)
	v_sub_nc_u32_e32 v4, v4, v8
	v_cmp_lt_u32_e32 vcc_lo, s20, v4
	v_cmpx_ge_u32_e64 s20, v4
	s_cbranch_execz .LBB739_72
; %bb.71:
	v_dual_add_nc_u32 v4, s22, v14 :: v_dual_add_nc_u32 v8, s42, v14
	s_delay_alu instid0(VALU_DEP_1) | instskip(NEXT) | instid1(VALU_DEP_2)
	v_mul_lo_u32 v4, v4, s21
	v_mul_lo_u32 v8, v8, s23
	s_delay_alu instid0(VALU_DEP_1) | instskip(NEXT) | instid1(VALU_DEP_1)
	v_sub_nc_u32_e32 v4, v4, v8
	v_cmp_lt_u32_e64 s0, s43, v4
	s_and_b32 s2, s0, exec_lo
.LBB739_72:
	s_or_b32 exec_lo, exec_lo, s3
	v_dual_lshrrev_b32 v4, 24, v7 :: v_dual_lshrrev_b32 v22, 8, v5
	v_cndmask_b32_e64 v8, 0, 1, s2
	v_cndmask_b32_e64 v9, 0, 1, vcc_lo
	v_lshlrev_b16 v6, 8, v6
	s_delay_alu instid0(VALU_DEP_4)
	v_lshlrev_b16 v4, 8, v4
	v_lshrrev_b32_e32 v23, 16, v5
	v_lshlrev_b16 v8, 8, v8
	v_lshlrev_b16 v22, 8, v22
	v_bitop3_b16 v6, v7, v6, 0xff bitop3:0xec
	v_or_b32_e32 v4, v9, v4
	s_delay_alu instid0(VALU_DEP_4) | instskip(NEXT) | instid1(VALU_DEP_4)
	v_bitop3_b16 v7, v23, v8, 0xff bitop3:0xec
	v_bitop3_b16 v5, v5, v22, 0xff bitop3:0xec
	s_delay_alu instid0(VALU_DEP_4) | instskip(NEXT) | instid1(VALU_DEP_3)
	v_and_b32_e32 v6, 0xffff, v6
	v_dual_lshlrev_b32 v4, 16, v4 :: v_dual_lshlrev_b32 v7, 16, v7
	s_delay_alu instid0(VALU_DEP_3) | instskip(NEXT) | instid1(VALU_DEP_2)
	v_and_b32_e32 v5, 0xffff, v5
	v_or_b32_e32 v4, v6, v4
	s_delay_alu instid0(VALU_DEP_2)
	v_or_b32_e32 v32, v5, v7
.LBB739_73:
	s_or_b32 exec_lo, exec_lo, s1
	v_dual_add_nc_u32 v7, 7, v30 :: v_dual_lshrrev_b32 v5, 8, v3
	v_lshrrev_b32_e32 v6, 16, v3
                                        ; implicit-def: $vgpr33
	s_delay_alu instid0(VALU_DEP_2) | instskip(SKIP_2) | instid1(SALU_CYCLE_1)
	v_cmp_le_u32_e32 vcc_lo, s6, v7
	v_lshrrev_b32_e32 v7, 24, v3
                                        ; implicit-def: $vgpr3
	s_and_saveexec_b32 s0, vcc_lo
	s_xor_b32 s0, exec_lo, s0
	s_cbranch_execz .LBB739_75
; %bb.74:
	s_delay_alu instid0(VALU_DEP_1) | instskip(SKIP_1) | instid1(VALU_DEP_2)
	v_lshlrev_b16 v3, 8, v7
	v_lshlrev_b16 v5, 8, v5
                                        ; implicit-def: $vgpr7
	v_bitop3_b16 v3, v6, v3, 0xff bitop3:0xec
	v_and_b32_e32 v6, 0xff0000, v4
	s_delay_alu instid0(VALU_DEP_3) | instskip(NEXT) | instid1(VALU_DEP_3)
	v_and_b32_e32 v5, 0xffff, v5
	v_lshlrev_b32_e32 v3, 16, v3
	s_delay_alu instid0(VALU_DEP_3) | instskip(NEXT) | instid1(VALU_DEP_2)
	v_perm_b32 v33, v4, v6, 0x3020504
                                        ; implicit-def: $vgpr4
                                        ; implicit-def: $vgpr6
	v_or_b32_e32 v3, v5, v3
                                        ; implicit-def: $vgpr5
.LBB739_75:
	s_and_not1_saveexec_b32 s1, s0
	s_cbranch_execz .LBB739_79
; %bb.76:
	v_dual_add_nc_u32 v3, s17, v15 :: v_dual_add_nc_u32 v8, s19, v15
	s_mov_b32 s2, 0
	s_mov_b32 s3, exec_lo
	s_delay_alu instid0(VALU_DEP_1) | instskip(NEXT) | instid1(VALU_DEP_2)
	v_mul_lo_u32 v3, v3, s16
	v_mul_lo_u32 v8, v8, s18
	s_delay_alu instid0(VALU_DEP_1) | instskip(NEXT) | instid1(VALU_DEP_1)
	v_sub_nc_u32_e32 v3, v3, v8
	v_cmp_lt_u32_e32 vcc_lo, s20, v3
	v_cmpx_ge_u32_e64 s20, v3
	s_cbranch_execz .LBB739_78
; %bb.77:
	v_dual_add_nc_u32 v3, s22, v15 :: v_dual_add_nc_u32 v8, s42, v15
	s_delay_alu instid0(VALU_DEP_1) | instskip(NEXT) | instid1(VALU_DEP_2)
	v_mul_lo_u32 v3, v3, s21
	v_mul_lo_u32 v8, v8, s23
	s_delay_alu instid0(VALU_DEP_1) | instskip(NEXT) | instid1(VALU_DEP_1)
	v_sub_nc_u32_e32 v3, v3, v8
	v_cmp_lt_u32_e64 s0, s43, v3
	s_and_b32 s2, s0, exec_lo
.LBB739_78:
	s_or_b32 exec_lo, exec_lo, s3
	v_cndmask_b32_e64 v3, 0, 1, vcc_lo
	v_dual_lshrrev_b32 v8, 8, v4 :: v_dual_lshrrev_b32 v22, 16, v4
	v_cndmask_b32_e64 v9, 0, 1, s2
	v_lshlrev_b16 v7, 8, v7
	s_delay_alu instid0(VALU_DEP_4) | instskip(NEXT) | instid1(VALU_DEP_4)
	v_lshlrev_b16 v3, 8, v3
	v_lshlrev_b16 v8, 8, v8
	;; [unrolled: 1-line block ×3, first 2 shown]
	s_delay_alu instid0(VALU_DEP_4) | instskip(NEXT) | instid1(VALU_DEP_4)
	v_bitop3_b16 v6, v6, v7, 0xff bitop3:0xec
	v_bitop3_b16 v3, v22, v3, 0xff bitop3:0xec
	s_delay_alu instid0(VALU_DEP_4) | instskip(NEXT) | instid1(VALU_DEP_3)
	v_bitop3_b16 v4, v4, v8, 0xff bitop3:0xec
	v_dual_lshlrev_b32 v6, 16, v6 :: v_dual_bitop2_b32 v5, v9, v5 bitop3:0x54
	s_delay_alu instid0(VALU_DEP_3) | instskip(NEXT) | instid1(VALU_DEP_3)
	v_lshlrev_b32_e32 v3, 16, v3
	v_and_b32_e32 v4, 0xffff, v4
	s_delay_alu instid0(VALU_DEP_3) | instskip(NEXT) | instid1(VALU_DEP_2)
	v_and_b32_e32 v5, 0xffff, v5
	v_or_b32_e32 v33, v4, v3
	s_delay_alu instid0(VALU_DEP_2)
	v_or_b32_e32 v3, v5, v6
.LBB739_79:
	s_or_b32 exec_lo, exec_lo, s1
	s_delay_alu instid0(VALU_DEP_1) | instskip(SKIP_2) | instid1(VALU_DEP_3)
	v_dual_add_nc_u32 v4, 8, v30 :: v_dual_lshrrev_b32 v5, 16, v3
	v_dual_lshrrev_b32 v6, 24, v3 :: v_dual_lshrrev_b32 v9, 24, v2
	v_dual_lshrrev_b32 v7, 16, v2 :: v_dual_lshrrev_b32 v8, 8, v2
	v_cmp_le_u32_e32 vcc_lo, s6, v4
                                        ; implicit-def: $vgpr2
                                        ; implicit-def: $vgpr4
	s_and_saveexec_b32 s0, vcc_lo
	s_delay_alu instid0(SALU_CYCLE_1)
	s_xor_b32 s0, exec_lo, s0
	s_cbranch_execz .LBB739_81
; %bb.80:
	v_lshlrev_b16 v2, 8, v9
	v_lshlrev_b16 v4, 8, v8
	;; [unrolled: 1-line block ×3, first 2 shown]
	v_perm_b32 v1, v1, v1, 0x3060504
                                        ; implicit-def: $vgpr9
                                        ; implicit-def: $vgpr8
	s_delay_alu instid0(VALU_DEP_4) | instskip(NEXT) | instid1(VALU_DEP_4)
	v_bitop3_b16 v2, v7, v2, 0xff bitop3:0xec
	v_and_b32_e32 v4, 0xffff, v4
	s_delay_alu instid0(VALU_DEP_4) | instskip(NEXT) | instid1(VALU_DEP_3)
	v_bitop3_b16 v5, v5, v6, 0xff bitop3:0xec
                                        ; implicit-def: $vgpr6
                                        ; implicit-def: $vgpr7
	v_lshlrev_b32_e32 v2, 16, v2
	s_delay_alu instid0(VALU_DEP_1) | instskip(NEXT) | instid1(VALU_DEP_3)
	v_or_b32_e32 v4, v4, v2
	v_perm_b32 v2, v5, v3, 0x5040c00
                                        ; implicit-def: $vgpr3
                                        ; implicit-def: $vgpr5
.LBB739_81:
	s_and_not1_saveexec_b32 s1, s0
	s_cbranch_execz .LBB739_85
; %bb.82:
	v_dual_add_nc_u32 v2, s17, v12 :: v_dual_add_nc_u32 v4, s19, v12
	s_mov_b32 s2, 0
	s_mov_b32 s3, exec_lo
	s_delay_alu instid0(VALU_DEP_1) | instskip(NEXT) | instid1(VALU_DEP_2)
	v_mul_lo_u32 v2, v2, s16
	v_mul_lo_u32 v4, v4, s18
	s_delay_alu instid0(VALU_DEP_1) | instskip(NEXT) | instid1(VALU_DEP_1)
	v_sub_nc_u32_e32 v2, v2, v4
	v_cmp_lt_u32_e32 vcc_lo, s20, v2
	v_cmpx_ge_u32_e64 s20, v2
	s_cbranch_execz .LBB739_84
; %bb.83:
	v_dual_add_nc_u32 v2, s22, v12 :: v_dual_add_nc_u32 v4, s42, v12
	s_delay_alu instid0(VALU_DEP_1) | instskip(NEXT) | instid1(VALU_DEP_2)
	v_mul_lo_u32 v2, v2, s21
	v_mul_lo_u32 v4, v4, s23
	s_delay_alu instid0(VALU_DEP_1) | instskip(NEXT) | instid1(VALU_DEP_1)
	v_sub_nc_u32_e32 v2, v2, v4
	v_cmp_lt_u32_e64 s0, s43, v2
	s_and_b32 s2, s0, exec_lo
.LBB739_84:
	s_or_b32 exec_lo, exec_lo, s3
	v_cndmask_b32_e64 v2, 0, 1, s2
	v_cndmask_b32_e64 v4, 0, 1, vcc_lo
	v_lshlrev_b16 v9, 8, v9
	v_lshlrev_b16 v8, 8, v8
	;; [unrolled: 1-line block ×4, first 2 shown]
	s_delay_alu instid0(VALU_DEP_4) | instskip(NEXT) | instid1(VALU_DEP_4)
	v_bitop3_b16 v7, v7, v9, 0xff bitop3:0xec
	v_or_b32_e32 v4, v4, v8
	s_delay_alu instid0(VALU_DEP_4) | instskip(NEXT) | instid1(VALU_DEP_4)
	v_bitop3_b16 v5, v5, v6, 0xff bitop3:0xec
	v_bitop3_b16 v2, v3, v2, 0xff bitop3:0xec
	s_delay_alu instid0(VALU_DEP_4) | instskip(NEXT) | instid1(VALU_DEP_4)
	v_lshlrev_b32_e32 v3, 16, v7
	v_and_b32_e32 v4, 0xffff, v4
	s_delay_alu instid0(VALU_DEP_4) | instskip(NEXT) | instid1(VALU_DEP_4)
	v_lshlrev_b32_e32 v5, 16, v5
	v_and_b32_e32 v2, 0xffff, v2
	s_delay_alu instid0(VALU_DEP_3) | instskip(NEXT) | instid1(VALU_DEP_2)
	v_or_b32_e32 v4, v4, v3
	v_or_b32_e32 v2, v2, v5
.LBB739_85:
	s_or_b32 exec_lo, exec_lo, s1
	s_delay_alu instid0(VALU_DEP_2) | instskip(NEXT) | instid1(VALU_DEP_2)
	v_dual_add_nc_u32 v3, 9, v30 :: v_dual_lshrrev_b32 v8, 24, v4
	v_dual_lshrrev_b32 v7, 8, v2 :: v_dual_lshrrev_b32 v6, 16, v4
                                        ; implicit-def: $vgpr5
	s_delay_alu instid0(VALU_DEP_2) | instskip(SKIP_1) | instid1(SALU_CYCLE_1)
	v_cmp_le_u32_e32 vcc_lo, s6, v3
                                        ; implicit-def: $vgpr3
	s_and_saveexec_b32 s0, vcc_lo
	s_xor_b32 s0, exec_lo, s0
	s_cbranch_execz .LBB739_87
; %bb.86:
	v_lshlrev_b16 v3, 8, v7
	v_lshlrev_b16 v5, 8, v8
	v_perm_b32 v1, v1, v1, 0x3060504
                                        ; implicit-def: $vgpr7
                                        ; implicit-def: $vgpr8
	s_delay_alu instid0(VALU_DEP_3) | instskip(NEXT) | instid1(VALU_DEP_3)
	v_bitop3_b16 v3, v2, v3, 0xff bitop3:0xec
	v_bitop3_b16 v5, v6, v5, 0xff bitop3:0xec
                                        ; implicit-def: $vgpr6
	s_delay_alu instid0(VALU_DEP_2) | instskip(NEXT) | instid1(VALU_DEP_2)
	v_and_b32_e32 v3, 0xffff, v3
	v_perm_b32 v5, v5, v4, 0x5040c00
                                        ; implicit-def: $vgpr4
	s_delay_alu instid0(VALU_DEP_2)
	v_and_or_b32 v3, 0xff000000, v2, v3
                                        ; implicit-def: $vgpr2
.LBB739_87:
	s_and_not1_saveexec_b32 s1, s0
	s_cbranch_execz .LBB739_91
; %bb.88:
	v_dual_add_nc_u32 v3, s17, v13 :: v_dual_add_nc_u32 v5, s19, v13
	s_mov_b32 s2, 0
	s_mov_b32 s3, exec_lo
	s_delay_alu instid0(VALU_DEP_1) | instskip(NEXT) | instid1(VALU_DEP_2)
	v_mul_lo_u32 v3, v3, s16
	v_mul_lo_u32 v5, v5, s18
	s_delay_alu instid0(VALU_DEP_1) | instskip(NEXT) | instid1(VALU_DEP_1)
	v_sub_nc_u32_e32 v3, v3, v5
	v_cmp_lt_u32_e32 vcc_lo, s20, v3
	v_cmpx_ge_u32_e64 s20, v3
	s_cbranch_execz .LBB739_90
; %bb.89:
	v_dual_add_nc_u32 v3, s22, v13 :: v_dual_add_nc_u32 v5, s42, v13
	s_delay_alu instid0(VALU_DEP_1) | instskip(NEXT) | instid1(VALU_DEP_2)
	v_mul_lo_u32 v3, v3, s21
	v_mul_lo_u32 v5, v5, s23
	s_delay_alu instid0(VALU_DEP_1) | instskip(NEXT) | instid1(VALU_DEP_1)
	v_sub_nc_u32_e32 v3, v3, v5
	v_cmp_lt_u32_e64 s0, s43, v3
	s_and_b32 s2, s0, exec_lo
.LBB739_90:
	s_or_b32 exec_lo, exec_lo, s3
	v_cndmask_b32_e64 v3, 0, 1, vcc_lo
	v_lshrrev_b32_e32 v5, 24, v2
	v_cndmask_b32_e64 v9, 0, 1, s2
	v_lshlrev_b16 v8, 8, v8
	v_lshlrev_b16 v7, 8, v7
	;; [unrolled: 1-line block ×4, first 2 shown]
	s_delay_alu instid0(VALU_DEP_4) | instskip(NEXT) | instid1(VALU_DEP_4)
	v_bitop3_b16 v6, v6, v8, 0xff bitop3:0xec
	v_bitop3_b16 v2, v2, v7, 0xff bitop3:0xec
	s_delay_alu instid0(VALU_DEP_4) | instskip(NEXT) | instid1(VALU_DEP_3)
	v_bitop3_b16 v3, v4, v3, 0xff bitop3:0xec
	v_dual_lshlrev_b32 v5, 16, v6 :: v_dual_bitop2_b32 v4, v9, v5 bitop3:0x54
	s_delay_alu instid0(VALU_DEP_3) | instskip(NEXT) | instid1(VALU_DEP_3)
	v_and_b32_e32 v2, 0xffff, v2
	v_and_b32_e32 v3, 0xffff, v3
	s_delay_alu instid0(VALU_DEP_1) | instskip(NEXT) | instid1(VALU_DEP_1)
	v_dual_lshlrev_b32 v4, 16, v4 :: v_dual_bitop2_b32 v5, v3, v5 bitop3:0x54
	v_or_b32_e32 v3, v2, v4
.LBB739_91:
	s_or_b32 exec_lo, exec_lo, s1
	s_delay_alu instid0(VALU_DEP_2) | instskip(NEXT) | instid1(VALU_DEP_1)
	v_dual_add_nc_u32 v2, 10, v30 :: v_dual_lshrrev_b32 v4, 8, v5
                                        ; implicit-def: $vgpr35
	v_cmp_le_u32_e32 vcc_lo, s6, v2
                                        ; implicit-def: $vgpr2
	s_and_saveexec_b32 s0, vcc_lo
	s_delay_alu instid0(SALU_CYCLE_1)
	s_xor_b32 s0, exec_lo, s0
	s_cbranch_execz .LBB739_93
; %bb.92:
	v_lshlrev_b16 v2, 8, v4
	v_and_b32_e32 v4, 0xff0000, v3
	v_perm_b32 v1, v1, v1, 0x3060504
	s_delay_alu instid0(VALU_DEP_3) | instskip(NEXT) | instid1(VALU_DEP_3)
	v_bitop3_b16 v2, v5, v2, 0xff bitop3:0xec
	v_perm_b32 v35, v3, v4, 0x3020504
                                        ; implicit-def: $vgpr4
                                        ; implicit-def: $vgpr3
	s_delay_alu instid0(VALU_DEP_2) | instskip(NEXT) | instid1(VALU_DEP_1)
	v_and_b32_e32 v2, 0xffff, v2
	v_and_or_b32 v2, 0xff000000, v5, v2
                                        ; implicit-def: $vgpr5
.LBB739_93:
	s_and_not1_saveexec_b32 s1, s0
	s_cbranch_execz .LBB739_97
; %bb.94:
	v_dual_add_nc_u32 v2, s17, v10 :: v_dual_add_nc_u32 v6, s19, v10
	s_mov_b32 s2, 0
	s_mov_b32 s3, exec_lo
	s_delay_alu instid0(VALU_DEP_1) | instskip(NEXT) | instid1(VALU_DEP_2)
	v_mul_lo_u32 v2, v2, s16
	v_mul_lo_u32 v6, v6, s18
	s_delay_alu instid0(VALU_DEP_1) | instskip(NEXT) | instid1(VALU_DEP_1)
	v_sub_nc_u32_e32 v2, v2, v6
	v_cmp_lt_u32_e32 vcc_lo, s20, v2
	v_cmpx_ge_u32_e64 s20, v2
	s_cbranch_execz .LBB739_96
; %bb.95:
	v_dual_add_nc_u32 v2, s22, v10 :: v_dual_add_nc_u32 v6, s42, v10
	s_delay_alu instid0(VALU_DEP_1) | instskip(NEXT) | instid1(VALU_DEP_2)
	v_mul_lo_u32 v2, v2, s21
	v_mul_lo_u32 v6, v6, s23
	s_delay_alu instid0(VALU_DEP_1) | instskip(NEXT) | instid1(VALU_DEP_1)
	v_sub_nc_u32_e32 v2, v2, v6
	v_cmp_lt_u32_e64 s0, s43, v2
	s_and_b32 s2, s0, exec_lo
.LBB739_96:
	s_or_b32 exec_lo, exec_lo, s3
	v_dual_lshrrev_b32 v2, 24, v5 :: v_dual_lshrrev_b32 v8, 8, v3
	v_cndmask_b32_e64 v6, 0, 1, s2
	v_cndmask_b32_e64 v7, 0, 1, vcc_lo
	v_lshlrev_b16 v4, 8, v4
	s_delay_alu instid0(VALU_DEP_4)
	v_lshlrev_b16 v2, 8, v2
	v_lshrrev_b32_e32 v9, 16, v3
	v_lshlrev_b16 v6, 8, v6
	v_lshlrev_b16 v8, 8, v8
	v_bitop3_b16 v4, v5, v4, 0xff bitop3:0xec
	v_or_b32_e32 v2, v7, v2
	s_delay_alu instid0(VALU_DEP_4) | instskip(NEXT) | instid1(VALU_DEP_4)
	v_bitop3_b16 v5, v9, v6, 0xff bitop3:0xec
	v_bitop3_b16 v3, v3, v8, 0xff bitop3:0xec
	s_delay_alu instid0(VALU_DEP_4) | instskip(NEXT) | instid1(VALU_DEP_3)
	v_and_b32_e32 v4, 0xffff, v4
	v_dual_lshlrev_b32 v2, 16, v2 :: v_dual_lshlrev_b32 v5, 16, v5
	s_delay_alu instid0(VALU_DEP_3) | instskip(NEXT) | instid1(VALU_DEP_2)
	v_and_b32_e32 v3, 0xffff, v3
	v_or_b32_e32 v2, v4, v2
	s_delay_alu instid0(VALU_DEP_2)
	v_or_b32_e32 v35, v3, v5
.LBB739_97:
	s_or_b32 exec_lo, exec_lo, s1
	v_dual_mov_b32 v34, 0 :: v_dual_add_nc_u32 v3, 11, v30
	s_mov_b32 s0, exec_lo
                                        ; implicit-def: $vgpr36
	s_delay_alu instid0(VALU_DEP_1)
	v_cmpx_le_u32_e64 s6, v3
	s_xor_b32 s0, exec_lo, s0
; %bb.98:
	v_and_b32_e32 v3, 0xff0000, v2
	v_perm_b32 v1, v1, v1, 0x3060504
	s_delay_alu instid0(VALU_DEP_2)
	v_perm_b32 v36, v2, v3, 0x3020504
                                        ; implicit-def: $vgpr2
; %bb.99:
	s_and_not1_saveexec_b32 s1, s0
	s_cbranch_execz .LBB739_103
; %bb.100:
	v_dual_add_nc_u32 v3, s17, v11 :: v_dual_add_nc_u32 v4, s19, v11
	s_mov_b32 s2, 0
	s_mov_b32 s3, exec_lo
	s_delay_alu instid0(VALU_DEP_1) | instskip(NEXT) | instid1(VALU_DEP_2)
	v_mul_lo_u32 v3, v3, s16
	v_mul_lo_u32 v4, v4, s18
	s_delay_alu instid0(VALU_DEP_1) | instskip(NEXT) | instid1(VALU_DEP_1)
	v_sub_nc_u32_e32 v3, v3, v4
	v_cmp_lt_u32_e32 vcc_lo, s20, v3
	v_cmpx_ge_u32_e64 s20, v3
	s_cbranch_execz .LBB739_102
; %bb.101:
	v_dual_add_nc_u32 v3, s22, v11 :: v_dual_add_nc_u32 v4, s42, v11
	s_delay_alu instid0(VALU_DEP_1) | instskip(NEXT) | instid1(VALU_DEP_2)
	v_mul_lo_u32 v3, v3, s21
	v_mul_lo_u32 v4, v4, s23
	s_delay_alu instid0(VALU_DEP_1) | instskip(NEXT) | instid1(VALU_DEP_1)
	v_sub_nc_u32_e32 v3, v3, v4
	v_cmp_lt_u32_e64 s0, s43, v3
	s_and_b32 s2, s0, exec_lo
.LBB739_102:
	s_or_b32 exec_lo, exec_lo, s3
	v_cndmask_b32_e64 v3, 0, 1, vcc_lo
	v_dual_lshrrev_b32 v4, 8, v2 :: v_dual_lshrrev_b32 v5, 16, v2
	v_cndmask_b32_e64 v34, 0, 1, s2
	s_delay_alu instid0(VALU_DEP_3) | instskip(NEXT) | instid1(VALU_DEP_3)
	v_lshlrev_b16 v3, 8, v3
	v_lshlrev_b16 v4, 8, v4
	s_delay_alu instid0(VALU_DEP_2) | instskip(NEXT) | instid1(VALU_DEP_2)
	v_bitop3_b16 v3, v5, v3, 0xff bitop3:0xec
	v_bitop3_b16 v2, v2, v4, 0xff bitop3:0xec
	s_delay_alu instid0(VALU_DEP_2) | instskip(NEXT) | instid1(VALU_DEP_2)
	v_lshlrev_b32_e32 v3, 16, v3
	v_and_b32_e32 v2, 0xffff, v2
	s_delay_alu instid0(VALU_DEP_1)
	v_or_b32_e32 v36, v2, v3
.LBB739_103:
	s_or_b32 exec_lo, exec_lo, s1
	v_dual_add_nc_u32 v4, 12, v30 :: v_dual_lshrrev_b32 v2, 8, v1
	v_dual_lshrrev_b32 v3, 16, v1 :: v_dual_lshrrev_b32 v1, 24, v1
	s_mov_b32 s0, exec_lo
                                        ; implicit-def: $vgpr37
	s_delay_alu instid0(VALU_DEP_2)
	v_cmpx_le_u32_e64 s6, v4
	s_xor_b32 s0, exec_lo, s0
; %bb.104:
	s_delay_alu instid0(VALU_DEP_2) | instskip(SKIP_1) | instid1(VALU_DEP_2)
	v_lshlrev_b16 v1, 8, v1
	v_lshlrev_b16 v2, 8, v2
	v_bitop3_b16 v1, v3, v1, 0xff bitop3:0xec
	s_delay_alu instid0(VALU_DEP_2) | instskip(NEXT) | instid1(VALU_DEP_2)
	v_and_b32_e32 v2, 0xffff, v2
                                        ; implicit-def: $vgpr3
	v_lshlrev_b32_e32 v1, 16, v1
	s_delay_alu instid0(VALU_DEP_1)
	v_or_b32_e32 v37, v2, v1
                                        ; implicit-def: $vgpr1
                                        ; implicit-def: $vgpr2
; %bb.105:
	s_or_saveexec_b32 s1, s0
	v_mov_b32_e32 v38, 0
	s_xor_b32 exec_lo, exec_lo, s1
	s_cbranch_execz .LBB739_109
; %bb.106:
	v_dual_add_nc_u32 v4, s19, v28 :: v_dual_add_nc_u32 v5, s17, v28
	s_mov_b32 s2, 0
	s_mov_b32 s3, exec_lo
	s_delay_alu instid0(VALU_DEP_1) | instskip(NEXT) | instid1(VALU_DEP_2)
	v_mul_lo_u32 v4, v4, s18
	v_mul_lo_u32 v5, v5, s16
	s_delay_alu instid0(VALU_DEP_1) | instskip(NEXT) | instid1(VALU_DEP_1)
	v_sub_nc_u32_e32 v4, v5, v4
	v_cmp_lt_u32_e32 vcc_lo, s20, v4
	v_cmpx_ge_u32_e64 s20, v4
	s_cbranch_execz .LBB739_108
; %bb.107:
	v_dual_add_nc_u32 v4, s42, v28 :: v_dual_add_nc_u32 v5, s22, v28
	s_delay_alu instid0(VALU_DEP_1) | instskip(NEXT) | instid1(VALU_DEP_2)
	v_mul_lo_u32 v4, v4, s23
	v_mul_lo_u32 v5, v5, s21
	s_delay_alu instid0(VALU_DEP_1) | instskip(NEXT) | instid1(VALU_DEP_1)
	v_sub_nc_u32_e32 v4, v5, v4
	v_cmp_lt_u32_e64 s0, s43, v4
	s_and_b32 s2, s0, exec_lo
.LBB739_108:
	s_or_b32 exec_lo, exec_lo, s3
	v_cndmask_b32_e64 v4, 0, 1, vcc_lo
	v_lshlrev_b16 v1, 8, v1
	v_lshlrev_b16 v2, 8, v2
	v_cndmask_b32_e64 v38, 0, 1, s2
	s_delay_alu instid0(VALU_DEP_3) | instskip(NEXT) | instid1(VALU_DEP_1)
	v_bitop3_b16 v1, v3, v1, 0xff bitop3:0xec
	v_dual_lshlrev_b32 v1, 16, v1 :: v_dual_bitop2_b32 v2, v4, v2 bitop3:0x54
	s_delay_alu instid0(VALU_DEP_1) | instskip(NEXT) | instid1(VALU_DEP_1)
	v_and_b32_e32 v2, 0xffff, v2
	v_or_b32_e32 v37, v2, v1
.LBB739_109:
	s_or_b32 exec_lo, exec_lo, s1
.LBB739_110:
	v_and_b32_e32 v61, 0xff, v31
	s_delay_alu instid0(VALU_DEP_2)
	v_bfe_u32 v62, v37, 8, 8
	v_bfe_u32 v59, v31, 8, 8
	v_bfe_u32 v60, v37, 16, 8
	v_bfe_u32 v58, v31, 16, 8
	v_dual_lshrrev_b32 v44, 24, v37 :: v_dual_lshrrev_b32 v43, 24, v31
	v_and_b32_e32 v57, 0xff, v32
	v_and_b32_e32 v55, 0xff, v33
	v_bfe_u32 v56, v32, 8, 8
	v_add3_u32 v1, v59, v61, v58
	v_add3_u32 v2, v60, v62, v44
	v_bfe_u32 v53, v33, 8, 8
	v_bfe_u32 v54, v32, 16, 8
	;; [unrolled: 1-line block ×3, first 2 shown]
	v_dual_lshrrev_b32 v42, 24, v32 :: v_dual_lshrrev_b32 v41, 24, v33
	v_add3_u32 v1, v1, v43, v55
	v_add3_u32 v2, v2, v57, v56
	v_and_b32_e32 v52, 0xff, v35
	v_and_b32_e32 v48, 0xff, v36
	v_bfe_u32 v50, v35, 8, 8
	v_add3_u32 v1, v1, v53, v51
	v_add3_u32 v2, v2, v54, v42
	v_bfe_u32 v47, v36, 8, 8
	v_bfe_u32 v49, v35, 16, 8
	;; [unrolled: 1-line block ×3, first 2 shown]
	v_dual_lshrrev_b32 v40, 24, v35 :: v_dual_lshrrev_b32 v39, 24, v36
	v_add3_u32 v1, v1, v41, v48
	v_add3_u32 v2, v2, v52, v50
	v_mbcnt_lo_u32_b32 v63, -1, 0
	v_and_b32_e32 v45, 0xff, v34
	v_and_b32_e32 v3, 0xff, v37
	v_and_b32_e32 v4, 0xff, v38
	v_add3_u32 v1, v1, v47, v46
	v_add3_u32 v2, v2, v49, v40
	v_dual_lshrrev_b32 v64, 5, v0 :: v_dual_bitop2_b32 v65, 15, v63 bitop3:0x40
	v_and_b32_e32 v67, 16, v63
	s_delay_alu instid0(VALU_DEP_4) | instskip(NEXT) | instid1(VALU_DEP_4)
	v_add3_u32 v68, v1, v39, v3
	v_add3_u32 v69, v2, v45, v4
	s_wait_xcnt 0x0
	v_cmp_eq_u32_e64 s1, 0, v65
	v_cmp_lt_u32_e64 s0, 1, v65
	v_cmp_lt_u32_e64 s2, 3, v65
	v_or_b32_e32 v66, 31, v0
	s_cmp_lg_u32 s33, 0
	s_mov_b32 s3, -1
	v_cmp_lt_u32_e32 vcc_lo, 7, v65
	s_cbranch_scc0 .LBB739_131
; %bb.111:
	v_mov_b32_dpp v1, v69 row_shr:1 row_mask:0xf bank_mask:0xf
	v_mov_b32_dpp v2, v68 row_shr:1 row_mask:0xf bank_mask:0xf
	s_mov_b32 s3, exec_lo
	s_delay_alu instid0(VALU_DEP_1) | instskip(NEXT) | instid1(VALU_DEP_1)
	v_dual_add_nc_u32 v1, v1, v69 :: v_dual_add_nc_u32 v2, v2, v68
	v_dual_cndmask_b32 v1, v1, v69, s1 :: v_dual_cndmask_b32 v2, v2, v68, s1
	s_delay_alu instid0(VALU_DEP_1) | instskip(NEXT) | instid1(VALU_DEP_2)
	v_mov_b32_dpp v3, v1 row_shr:2 row_mask:0xf bank_mask:0xf
	v_mov_b32_dpp v4, v2 row_shr:2 row_mask:0xf bank_mask:0xf
	s_delay_alu instid0(VALU_DEP_1) | instskip(NEXT) | instid1(VALU_DEP_1)
	v_dual_add_nc_u32 v3, v1, v3 :: v_dual_add_nc_u32 v4, v2, v4
	v_dual_cndmask_b32 v1, v1, v3, s0 :: v_dual_cndmask_b32 v2, v2, v4, s0
	s_delay_alu instid0(VALU_DEP_1) | instskip(NEXT) | instid1(VALU_DEP_2)
	v_mov_b32_dpp v3, v1 row_shr:4 row_mask:0xf bank_mask:0xf
	v_mov_b32_dpp v4, v2 row_shr:4 row_mask:0xf bank_mask:0xf
	;; [unrolled: 6-line block ×3, first 2 shown]
	s_delay_alu instid0(VALU_DEP_1) | instskip(NEXT) | instid1(VALU_DEP_1)
	v_dual_add_nc_u32 v3, v1, v3 :: v_dual_add_nc_u32 v4, v2, v4
	v_dual_cndmask_b32 v1, v1, v3 :: v_dual_cndmask_b32 v2, v2, v4
	v_cmp_eq_u32_e32 vcc_lo, 0, v67
	ds_swizzle_b32 v3, v1 offset:swizzle(BROADCAST,32,15)
	ds_swizzle_b32 v4, v2 offset:swizzle(BROADCAST,32,15)
	s_wait_dscnt 0x0
	v_dual_add_nc_u32 v3, v1, v3 :: v_dual_add_nc_u32 v4, v2, v4
	v_cmpx_eq_u32_e64 v0, v66
; %bb.112:
	s_delay_alu instid0(VALU_DEP_2) | instskip(NEXT) | instid1(VALU_DEP_3)
	v_dual_lshlrev_b32 v5, 3, v64 :: v_dual_cndmask_b32 v7, v3, v1, vcc_lo
	v_cndmask_b32_e32 v6, v4, v2, vcc_lo
	ds_store_b64 v5, v[6:7]
; %bb.113:
	s_or_b32 exec_lo, exec_lo, s3
	s_delay_alu instid0(SALU_CYCLE_1)
	s_mov_b32 s3, exec_lo
	s_wait_dscnt 0x0
	s_barrier_signal -1
	s_barrier_wait -1
	v_cmpx_gt_u32_e32 8, v0
	s_cbranch_execz .LBB739_115
; %bb.114:
	v_dual_lshlrev_b32 v5, 3, v0 :: v_dual_bitop2_b32 v22, 7, v63 bitop3:0x40
	ds_load_b64 v[6:7], v5
	v_cmp_eq_u32_e64 s2, 0, v22
	s_wait_dscnt 0x0
	v_mov_b32_dpp v8, v6 row_shr:1 row_mask:0xf bank_mask:0xf
	v_mov_b32_dpp v9, v7 row_shr:1 row_mask:0xf bank_mask:0xf
	s_delay_alu instid0(VALU_DEP_1) | instskip(NEXT) | instid1(VALU_DEP_1)
	v_dual_add_nc_u32 v8, v8, v6 :: v_dual_add_nc_u32 v9, v9, v7
	v_dual_cndmask_b32 v6, v8, v6, s2 :: v_dual_cndmask_b32 v7, v9, v7, s2
	v_cmp_lt_u32_e64 s2, 1, v22
	s_delay_alu instid0(VALU_DEP_2) | instskip(NEXT) | instid1(VALU_DEP_3)
	v_mov_b32_dpp v8, v6 row_shr:2 row_mask:0xf bank_mask:0xf
	v_mov_b32_dpp v9, v7 row_shr:2 row_mask:0xf bank_mask:0xf
	s_delay_alu instid0(VALU_DEP_1) | instskip(NEXT) | instid1(VALU_DEP_1)
	v_dual_add_nc_u32 v8, v6, v8 :: v_dual_add_nc_u32 v9, v7, v9
	v_dual_cndmask_b32 v6, v6, v8, s2 :: v_dual_cndmask_b32 v7, v7, v9, s2
	v_cmp_lt_u32_e64 s2, 3, v22
	s_delay_alu instid0(VALU_DEP_2) | instskip(NEXT) | instid1(VALU_DEP_3)
	v_mov_b32_dpp v8, v6 row_shr:4 row_mask:0xf bank_mask:0xf
	v_mov_b32_dpp v9, v7 row_shr:4 row_mask:0xf bank_mask:0xf
	s_delay_alu instid0(VALU_DEP_1) | instskip(NEXT) | instid1(VALU_DEP_1)
	v_dual_cndmask_b32 v8, 0, v8, s2 :: v_dual_cndmask_b32 v9, 0, v9, s2
	v_dual_add_nc_u32 v6, v8, v6 :: v_dual_add_nc_u32 v7, v9, v7
	ds_store_b64 v5, v[6:7]
.LBB739_115:
	s_or_b32 exec_lo, exec_lo, s3
	v_dual_cndmask_b32 v1, v3, v1 :: v_dual_cndmask_b32 v2, v4, v2
	s_mov_b32 s3, exec_lo
	v_cmp_gt_u32_e32 vcc_lo, 32, v0
	s_wait_dscnt 0x0
	s_barrier_signal -1
	s_barrier_wait -1
                                        ; implicit-def: $vgpr22
	v_cmpx_lt_u32_e32 31, v0
	s_cbranch_execz .LBB739_117
; %bb.116:
	v_lshl_add_u32 v3, v64, 3, -8
	ds_load_b64 v[22:23], v3
	s_wait_dscnt 0x0
	v_dual_add_nc_u32 v1, v23, v1 :: v_dual_add_nc_u32 v2, v22, v2
.LBB739_117:
	s_or_b32 exec_lo, exec_lo, s3
	v_sub_co_u32 v3, s2, v63, 1
	s_delay_alu instid0(VALU_DEP_1) | instskip(NEXT) | instid1(VALU_DEP_1)
	v_cmp_gt_i32_e64 s3, 0, v3
	v_cndmask_b32_e64 v3, v3, v63, s3
	s_delay_alu instid0(VALU_DEP_1)
	v_lshlrev_b32_e32 v3, 2, v3
	ds_bpermute_b32 v70, v3, v2
	ds_bpermute_b32 v1, v3, v1
	s_and_saveexec_b32 s3, vcc_lo
	s_cbranch_execz .LBB739_136
; %bb.118:
	v_mov_b32_e32 v5, 0
	ds_load_b64 v[2:3], v5 offset:56
	s_and_saveexec_b32 s7, s2
	s_cbranch_execz .LBB739_120
; %bb.119:
	s_add_co_i32 s8, s33, 32
	s_mov_b32 s9, 0
	v_mov_b32_e32 v4, 1
	s_lshl_b64 s[8:9], s[8:9], 4
	s_wait_kmcnt 0x0
	s_add_nc_u64 s[8:9], s[4:5], s[8:9]
	s_delay_alu instid0(SALU_CYCLE_1)
	v_mov_b64_e32 v[6:7], s[8:9]
	s_wait_dscnt 0x0
	;;#ASMSTART
	global_store_b128 v[6:7], v[2:5] off scope:SCOPE_DEV	
s_wait_storecnt 0x0
	;;#ASMEND
.LBB739_120:
	s_or_b32 exec_lo, exec_lo, s7
	v_xad_u32 v24, v63, -1, s33
	s_mov_b32 s8, 0
	s_mov_b32 s7, exec_lo
	s_delay_alu instid0(VALU_DEP_1) | instskip(SKIP_1) | instid1(VALU_DEP_1)
	v_add_nc_u32_e32 v4, 32, v24
	s_wait_kmcnt 0x0
	v_lshl_add_u64 v[4:5], v[4:5], 4, s[4:5]
	;;#ASMSTART
	global_load_b128 v[6:9], v[4:5] off scope:SCOPE_DEV	
s_wait_loadcnt 0x0
	;;#ASMEND
	v_and_b32_e32 v9, 0xff, v8
	s_delay_alu instid0(VALU_DEP_1)
	v_cmpx_eq_u16_e32 0, v9
	s_cbranch_execz .LBB739_123
.LBB739_121:                            ; =>This Inner Loop Header: Depth=1
	;;#ASMSTART
	global_load_b128 v[6:9], v[4:5] off scope:SCOPE_DEV	
s_wait_loadcnt 0x0
	;;#ASMEND
	v_and_b32_e32 v9, 0xff, v8
	s_delay_alu instid0(VALU_DEP_1) | instskip(SKIP_1) | instid1(SALU_CYCLE_1)
	v_cmp_ne_u16_e32 vcc_lo, 0, v9
	s_or_b32 s8, vcc_lo, s8
	s_and_not1_b32 exec_lo, exec_lo, s8
	s_cbranch_execnz .LBB739_121
; %bb.122:
	s_or_b32 exec_lo, exec_lo, s8
.LBB739_123:
	s_delay_alu instid0(SALU_CYCLE_1)
	s_or_b32 exec_lo, exec_lo, s7
	v_cmp_ne_u32_e32 vcc_lo, 31, v63
	v_lshlrev_b32_e64 v72, v63, -1
	v_lshl_or_b32 v79, v63, 2, 64
	v_dual_add_nc_u32 v76, 4, v63 :: v_dual_add_nc_u32 v80, 16, v63
	v_add_co_ci_u32_e64 v4, null, 0, v63, vcc_lo
	s_delay_alu instid0(VALU_DEP_1)
	v_lshlrev_b32_e32 v71, 2, v4
	v_and_b32_e32 v4, 0xff, v8
	ds_bpermute_b32 v5, v71, v7
	v_cmp_eq_u16_e32 vcc_lo, 2, v4
	s_wait_dscnt 0x0
	v_add_nc_u32_e32 v5, v5, v7
	ds_bpermute_b32 v4, v71, v6
	v_and_b32_e32 v9, vcc_lo, v72
	v_cmp_gt_u32_e32 vcc_lo, 30, v63
	v_cndmask_b32_e64 v25, 0, 2, vcc_lo
	s_delay_alu instid0(VALU_DEP_1) | instskip(SKIP_3) | instid1(VALU_DEP_1)
	v_add_lshl_u32 v73, v25, v63, 2
	s_wait_dscnt 0x0
	v_add_nc_u32_e32 v4, v4, v6
	v_or_b32_e32 v9, 0x80000000, v9
	v_ctz_i32_b32_e32 v9, v9
	s_delay_alu instid0(VALU_DEP_1) | instskip(NEXT) | instid1(VALU_DEP_4)
	v_cmp_lt_u32_e32 vcc_lo, v63, v9
	v_dual_cndmask_b32 v5, v7, v5 :: v_dual_cndmask_b32 v4, v6, v4
	v_cmp_gt_u32_e32 vcc_lo, 28, v63
	ds_bpermute_b32 v6, v73, v5
	ds_bpermute_b32 v7, v73, v4
	v_add_nc_u32_e32 v74, 2, v63
	v_cndmask_b32_e64 v25, 0, 4, vcc_lo
	s_delay_alu instid0(VALU_DEP_1) | instskip(SKIP_4) | instid1(VALU_DEP_2)
	v_add_lshl_u32 v75, v25, v63, 2
	s_wait_dscnt 0x1
	v_add_nc_u32_e32 v6, v5, v6
	v_cmp_gt_u32_e32 vcc_lo, v74, v9
	s_wait_dscnt 0x0
	v_dual_add_nc_u32 v7, v4, v7 :: v_dual_cndmask_b32 v5, v6, v5, vcc_lo
	s_delay_alu instid0(VALU_DEP_1)
	v_cndmask_b32_e32 v4, v7, v4, vcc_lo
	v_cmp_gt_u32_e32 vcc_lo, 24, v63
	ds_bpermute_b32 v6, v75, v5
	ds_bpermute_b32 v7, v75, v4
	v_cndmask_b32_e64 v25, 0, 8, vcc_lo
	v_cmp_gt_u32_e32 vcc_lo, v76, v9
	s_delay_alu instid0(VALU_DEP_2) | instskip(SKIP_3) | instid1(VALU_DEP_1)
	v_add_lshl_u32 v77, v25, v63, 2
	s_wait_dscnt 0x1
	v_dual_mov_b32 v25, 0 :: v_dual_add_nc_u32 v6, v5, v6
	s_wait_dscnt 0x0
	v_dual_add_nc_u32 v7, v4, v7 :: v_dual_cndmask_b32 v5, v6, v5, vcc_lo
	s_delay_alu instid0(VALU_DEP_1) | instskip(SKIP_4) | instid1(VALU_DEP_1)
	v_cndmask_b32_e32 v4, v7, v4, vcc_lo
	ds_bpermute_b32 v6, v77, v5
	ds_bpermute_b32 v7, v77, v4
	s_wait_dscnt 0x1
	v_dual_add_nc_u32 v78, 8, v63 :: v_dual_add_nc_u32 v6, v5, v6
	v_cmp_gt_u32_e32 vcc_lo, v78, v9
	s_wait_dscnt 0x0
	s_delay_alu instid0(VALU_DEP_2) | instskip(NEXT) | instid1(VALU_DEP_1)
	v_dual_add_nc_u32 v7, v4, v7 :: v_dual_cndmask_b32 v5, v6, v5, vcc_lo
	v_cndmask_b32_e32 v4, v7, v4, vcc_lo
	v_cmp_le_u32_e32 vcc_lo, v80, v9
	ds_bpermute_b32 v7, v79, v5
	ds_bpermute_b32 v6, v79, v4
	s_wait_dscnt 0x0
	v_dual_cndmask_b32 v7, 0, v7 :: v_dual_cndmask_b32 v6, 0, v6
	s_delay_alu instid0(VALU_DEP_1)
	v_dual_add_nc_u32 v7, v7, v5 :: v_dual_add_nc_u32 v6, v6, v4
	s_branch .LBB739_127
.LBB739_124:                            ;   in Loop: Header=BB739_127 Depth=1
	s_or_b32 exec_lo, exec_lo, s8
.LBB739_125:                            ;   in Loop: Header=BB739_127 Depth=1
	s_delay_alu instid0(SALU_CYCLE_1)
	s_or_b32 exec_lo, exec_lo, s7
	ds_bpermute_b32 v9, v71, v6
	ds_bpermute_b32 v26, v71, v7
	v_and_b32_e32 v27, 0xff, v8
	v_subrev_nc_u32_e32 v24, 32, v24
	s_mov_b32 s7, 0
	s_delay_alu instid0(VALU_DEP_2) | instskip(SKIP_1) | instid1(VALU_DEP_1)
	v_cmp_eq_u16_e32 vcc_lo, 2, v27
	v_and_or_b32 v27, vcc_lo, v72, 0x80000000
	v_ctz_i32_b32_e32 v27, v27
	s_wait_dscnt 0x0
	v_dual_add_nc_u32 v9, v9, v6 :: v_dual_add_nc_u32 v26, v26, v7
	s_delay_alu instid0(VALU_DEP_2) | instskip(NEXT) | instid1(VALU_DEP_2)
	v_cmp_lt_u32_e32 vcc_lo, v63, v27
	v_dual_cndmask_b32 v7, v7, v26 :: v_dual_cndmask_b32 v6, v6, v9
	v_cmp_gt_u32_e32 vcc_lo, v74, v27
	ds_bpermute_b32 v26, v73, v7
	ds_bpermute_b32 v9, v73, v6
	s_wait_dscnt 0x0
	v_dual_add_nc_u32 v26, v7, v26 :: v_dual_add_nc_u32 v9, v6, v9
	s_delay_alu instid0(VALU_DEP_1)
	v_dual_cndmask_b32 v7, v26, v7 :: v_dual_cndmask_b32 v6, v9, v6
	v_cmp_gt_u32_e32 vcc_lo, v76, v27
	ds_bpermute_b32 v26, v75, v7
	ds_bpermute_b32 v9, v75, v6
	s_wait_dscnt 0x0
	v_dual_add_nc_u32 v26, v7, v26 :: v_dual_add_nc_u32 v9, v6, v9
	s_delay_alu instid0(VALU_DEP_1)
	;; [unrolled: 7-line block ×3, first 2 shown]
	v_dual_cndmask_b32 v7, v26, v7 :: v_dual_cndmask_b32 v6, v9, v6
	v_cmp_le_u32_e32 vcc_lo, v80, v27
	ds_bpermute_b32 v26, v79, v7
	ds_bpermute_b32 v9, v79, v6
	s_wait_dscnt 0x0
	v_dual_cndmask_b32 v26, 0, v26 :: v_dual_cndmask_b32 v9, 0, v9
	s_delay_alu instid0(VALU_DEP_1) | instskip(NEXT) | instid1(VALU_DEP_2)
	v_add3_u32 v7, v7, v5, v26
	v_add3_u32 v6, v6, v4, v9
.LBB739_126:                            ;   in Loop: Header=BB739_127 Depth=1
	s_and_b32 vcc_lo, exec_lo, s7
	s_cbranch_vccnz .LBB739_132
.LBB739_127:                            ; =>This Loop Header: Depth=1
                                        ;     Child Loop BB739_130 Depth 2
	v_and_b32_e32 v4, 0xff, v8
	s_mov_b32 s7, -1
                                        ; implicit-def: $vgpr8
	s_delay_alu instid0(VALU_DEP_1)
	v_cmp_ne_u16_e32 vcc_lo, 2, v4
	v_mov_b64_e32 v[4:5], v[6:7]
                                        ; implicit-def: $vgpr6_vgpr7
	s_cmp_lg_u32 vcc_lo, exec_lo
	s_cbranch_scc1 .LBB739_126
; %bb.128:                              ;   in Loop: Header=BB739_127 Depth=1
	v_lshl_add_u64 v[26:27], v[24:25], 4, s[4:5]
	;;#ASMSTART
	global_load_b128 v[6:9], v[26:27] off scope:SCOPE_DEV	
s_wait_loadcnt 0x0
	;;#ASMEND
	v_and_b32_e32 v9, 0xff, v8
	s_mov_b32 s7, exec_lo
	s_delay_alu instid0(VALU_DEP_1)
	v_cmpx_eq_u16_e32 0, v9
	s_cbranch_execz .LBB739_125
; %bb.129:                              ;   in Loop: Header=BB739_127 Depth=1
	s_mov_b32 s8, 0
.LBB739_130:                            ;   Parent Loop BB739_127 Depth=1
                                        ; =>  This Inner Loop Header: Depth=2
	;;#ASMSTART
	global_load_b128 v[6:9], v[26:27] off scope:SCOPE_DEV	
s_wait_loadcnt 0x0
	;;#ASMEND
	v_and_b32_e32 v9, 0xff, v8
	s_delay_alu instid0(VALU_DEP_1) | instskip(SKIP_1) | instid1(SALU_CYCLE_1)
	v_cmp_ne_u16_e32 vcc_lo, 0, v9
	s_or_b32 s8, vcc_lo, s8
	s_and_not1_b32 exec_lo, exec_lo, s8
	s_cbranch_execnz .LBB739_130
	s_branch .LBB739_124
.LBB739_131:
                                        ; implicit-def: $vgpr1
                                        ; implicit-def: $vgpr4
                                        ; implicit-def: $vgpr6
                                        ; implicit-def: $vgpr8
                                        ; implicit-def: $vgpr22
	s_and_b32 vcc_lo, exec_lo, s3
	s_cbranch_vccnz .LBB739_137
	s_branch .LBB739_146
.LBB739_132:
	s_and_saveexec_b32 s7, s2
	s_cbranch_execz .LBB739_134
; %bb.133:
	s_add_co_i32 s8, s33, 32
	s_mov_b32 s9, 0
	v_dual_mov_b32 v8, 2 :: v_dual_mov_b32 v9, 0
	s_lshl_b64 s[8:9], s[8:9], 4
	v_dual_add_nc_u32 v7, v5, v3 :: v_dual_add_nc_u32 v6, v4, v2
	s_add_nc_u64 s[8:9], s[4:5], s[8:9]
	s_delay_alu instid0(SALU_CYCLE_1)
	v_mov_b64_e32 v[24:25], s[8:9]
	;;#ASMSTART
	global_store_b128 v[24:25], v[6:9] off scope:SCOPE_DEV	
s_wait_storecnt 0x0
	;;#ASMEND
	ds_store_b128 v9, v[2:5] offset:13312
.LBB739_134:
	s_or_b32 exec_lo, exec_lo, s7
	v_cmp_eq_u32_e32 vcc_lo, 0, v0
	s_and_b32 exec_lo, exec_lo, vcc_lo
; %bb.135:
	v_mov_b32_e32 v2, 0
	ds_store_b64 v2, v[4:5] offset:56
.LBB739_136:
	s_or_b32 exec_lo, exec_lo, s3
	s_wait_dscnt 0x0
	v_dual_mov_b32 v2, 0 :: v_dual_cndmask_b32 v1, v1, v23, s2
	s_barrier_signal -1
	s_barrier_wait -1
	ds_load_b64 v[8:9], v2 offset:56
	s_wait_dscnt 0x0
	s_barrier_signal -1
	s_barrier_wait -1
	ds_load_b128 v[2:5], v2 offset:13312
	v_cndmask_b32_e64 v6, v70, v22, s2
	v_cmp_eq_u32_e32 vcc_lo, 0, v0
	s_delay_alu instid0(VALU_DEP_2) | instskip(SKIP_2) | instid1(VALU_DEP_2)
	v_dual_add_nc_u32 v1, v9, v1 :: v_dual_add_nc_u32 v7, v8, v6
	s_wait_dscnt 0x0
	v_mov_b32_e32 v6, v5
	v_dual_cndmask_b32 v1, v1, v9 :: v_dual_cndmask_b32 v22, v7, v8
	v_mov_b32_e32 v8, v3
	s_branch .LBB739_146
.LBB739_137:
	v_mov_b32_dpp v1, v68 row_shr:1 row_mask:0xf bank_mask:0xf
	v_mov_b32_dpp v2, v69 row_shr:1 row_mask:0xf bank_mask:0xf
	v_cmp_lt_u32_e32 vcc_lo, 3, v65
	s_delay_alu instid0(VALU_DEP_2) | instskip(NEXT) | instid1(VALU_DEP_1)
	v_dual_add_nc_u32 v1, v1, v68 :: v_dual_add_nc_u32 v2, v2, v69
	v_dual_cndmask_b32 v1, v1, v68, s1 :: v_dual_cndmask_b32 v2, v2, v69, s1
	s_mov_b32 s1, exec_lo
	s_delay_alu instid0(VALU_DEP_1) | instskip(NEXT) | instid1(VALU_DEP_2)
	v_mov_b32_dpp v3, v1 row_shr:2 row_mask:0xf bank_mask:0xf
	v_mov_b32_dpp v4, v2 row_shr:2 row_mask:0xf bank_mask:0xf
	s_delay_alu instid0(VALU_DEP_1) | instskip(NEXT) | instid1(VALU_DEP_1)
	v_dual_add_nc_u32 v3, v1, v3 :: v_dual_add_nc_u32 v4, v2, v4
	v_dual_cndmask_b32 v1, v1, v3, s0 :: v_dual_cndmask_b32 v2, v2, v4, s0
	s_delay_alu instid0(VALU_DEP_1) | instskip(NEXT) | instid1(VALU_DEP_2)
	v_mov_b32_dpp v3, v1 row_shr:4 row_mask:0xf bank_mask:0xf
	v_mov_b32_dpp v4, v2 row_shr:4 row_mask:0xf bank_mask:0xf
	s_delay_alu instid0(VALU_DEP_1) | instskip(NEXT) | instid1(VALU_DEP_1)
	v_dual_add_nc_u32 v3, v1, v3 :: v_dual_add_nc_u32 v4, v2, v4
	v_dual_cndmask_b32 v3, v1, v3 :: v_dual_cndmask_b32 v2, v2, v4
	v_cmp_lt_u32_e32 vcc_lo, 7, v65
	s_delay_alu instid0(VALU_DEP_2) | instskip(NEXT) | instid1(VALU_DEP_3)
	v_mov_b32_dpp v1, v3 row_shr:8 row_mask:0xf bank_mask:0xf
	v_mov_b32_dpp v4, v2 row_shr:8 row_mask:0xf bank_mask:0xf
	s_delay_alu instid0(VALU_DEP_1) | instskip(NEXT) | instid1(VALU_DEP_1)
	v_dual_add_nc_u32 v5, v3, v1 :: v_dual_add_nc_u32 v1, v2, v4
	v_cndmask_b32_e32 v1, v2, v1, vcc_lo
	s_delay_alu instid0(VALU_DEP_2)
	v_cndmask_b32_e32 v2, v3, v5, vcc_lo
	v_cmp_eq_u32_e32 vcc_lo, 0, v67
	ds_swizzle_b32 v4, v2 offset:swizzle(BROADCAST,32,15)
	s_wait_dscnt 0x0
	v_add_nc_u32_e32 v4, v2, v4
	ds_swizzle_b32 v3, v1 offset:swizzle(BROADCAST,32,15)
	s_wait_dscnt 0x0
	v_add_nc_u32_e32 v3, v1, v3
	v_cmpx_eq_u32_e64 v0, v66
; %bb.138:
	s_delay_alu instid0(VALU_DEP_2)
	v_dual_cndmask_b32 v6, v4, v2 :: v_dual_cndmask_b32 v7, v3, v1
	v_lshlrev_b32_e32 v5, 3, v64
	ds_store_b64 v5, v[6:7]
; %bb.139:
	s_or_b32 exec_lo, exec_lo, s1
	s_delay_alu instid0(SALU_CYCLE_1)
	s_mov_b32 s1, exec_lo
	s_wait_dscnt 0x0
	s_barrier_signal -1
	s_barrier_wait -1
	v_cmpx_gt_u32_e32 8, v0
	s_cbranch_execz .LBB739_141
; %bb.140:
	v_dual_lshlrev_b32 v5, 3, v0 :: v_dual_bitop2_b32 v22, 7, v63 bitop3:0x40
	ds_load_b64 v[6:7], v5
	v_cmp_eq_u32_e64 s0, 0, v22
	s_wait_dscnt 0x0
	v_mov_b32_dpp v8, v6 row_shr:1 row_mask:0xf bank_mask:0xf
	v_mov_b32_dpp v9, v7 row_shr:1 row_mask:0xf bank_mask:0xf
	s_delay_alu instid0(VALU_DEP_1) | instskip(NEXT) | instid1(VALU_DEP_1)
	v_dual_add_nc_u32 v8, v8, v6 :: v_dual_add_nc_u32 v9, v9, v7
	v_dual_cndmask_b32 v6, v8, v6, s0 :: v_dual_cndmask_b32 v7, v9, v7, s0
	v_cmp_lt_u32_e64 s0, 1, v22
	s_delay_alu instid0(VALU_DEP_2) | instskip(NEXT) | instid1(VALU_DEP_3)
	v_mov_b32_dpp v8, v6 row_shr:2 row_mask:0xf bank_mask:0xf
	v_mov_b32_dpp v9, v7 row_shr:2 row_mask:0xf bank_mask:0xf
	s_delay_alu instid0(VALU_DEP_1) | instskip(NEXT) | instid1(VALU_DEP_1)
	v_dual_add_nc_u32 v8, v6, v8 :: v_dual_add_nc_u32 v9, v7, v9
	v_dual_cndmask_b32 v6, v6, v8, s0 :: v_dual_cndmask_b32 v7, v7, v9, s0
	v_cmp_lt_u32_e64 s0, 3, v22
	s_delay_alu instid0(VALU_DEP_2) | instskip(NEXT) | instid1(VALU_DEP_3)
	v_mov_b32_dpp v8, v6 row_shr:4 row_mask:0xf bank_mask:0xf
	v_mov_b32_dpp v9, v7 row_shr:4 row_mask:0xf bank_mask:0xf
	s_delay_alu instid0(VALU_DEP_1) | instskip(NEXT) | instid1(VALU_DEP_1)
	v_dual_cndmask_b32 v8, 0, v8, s0 :: v_dual_cndmask_b32 v9, 0, v9, s0
	v_dual_add_nc_u32 v6, v8, v6 :: v_dual_add_nc_u32 v7, v9, v7
	ds_store_b64 v5, v[6:7]
.LBB739_141:
	s_or_b32 exec_lo, exec_lo, s1
	v_dual_mov_b32 v5, 0 :: v_dual_mov_b32 v6, 0
	v_mov_b32_e32 v7, 0
	s_mov_b32 s1, exec_lo
	s_wait_dscnt 0x0
	s_barrier_signal -1
	s_barrier_wait -1
	v_cmpx_lt_u32_e32 31, v0
; %bb.142:
	v_lshl_add_u32 v6, v64, 3, -8
	ds_load_b64 v[6:7], v6
; %bb.143:
	s_or_b32 exec_lo, exec_lo, s1
	v_sub_co_u32 v8, s0, v63, 1
	v_dual_cndmask_b32 v2, v4, v2 :: v_dual_cndmask_b32 v1, v3, v1
	v_cmp_eq_u32_e32 vcc_lo, 0, v0
	s_delay_alu instid0(VALU_DEP_3) | instskip(SKIP_1) | instid1(VALU_DEP_1)
	v_cmp_gt_i32_e64 s1, 0, v8
	s_wait_dscnt 0x0
	v_dual_add_nc_u32 v2, v6, v2 :: v_dual_cndmask_b32 v4, v8, v63, s1
	s_delay_alu instid0(VALU_DEP_1)
	v_dual_lshlrev_b32 v3, 2, v4 :: v_dual_add_nc_u32 v4, v7, v1
	ds_bpermute_b32 v1, v3, v2
	ds_bpermute_b32 v8, v3, v4
	ds_load_b64 v[2:3], v5 offset:56
	s_and_saveexec_b32 s1, vcc_lo
	s_cbranch_execz .LBB739_145
; %bb.144:
	s_wait_kmcnt 0x0
	s_add_nc_u64 s[2:3], s[4:5], 0x200
	v_dual_mov_b32 v4, 2 :: v_dual_mov_b32 v5, 0
	v_mov_b64_e32 v[22:23], s[2:3]
	s_wait_dscnt 0x0
	;;#ASMSTART
	global_store_b128 v[22:23], v[2:5] off scope:SCOPE_DEV	
s_wait_storecnt 0x0
	;;#ASMEND
.LBB739_145:
	s_or_b32 exec_lo, exec_lo, s1
	s_wait_dscnt 0x1
	v_dual_cndmask_b32 v5, v8, v7, s0 :: v_dual_cndmask_b32 v7, v1, v6, s0
	v_dual_mov_b32 v6, 0 :: v_dual_mov_b32 v4, 0
	s_wait_dscnt 0x0
	v_mov_b32_e32 v8, v3
	s_delay_alu instid0(VALU_DEP_3)
	v_cndmask_b32_e64 v1, v5, 0, vcc_lo
	v_cndmask_b32_e64 v22, v7, 0, vcc_lo
	s_barrier_signal -1
	s_barrier_wait -1
.LBB739_146:
	s_delay_alu instid0(VALU_DEP_1) | instskip(SKIP_1) | instid1(VALU_DEP_2)
	v_dual_add_nc_u32 v62, v1, v62 :: v_dual_add_nc_u32 v70, v22, v61
	v_dual_mov_b32 v5, 0 :: v_dual_lshrrev_b32 v68, 16, v37
	v_dual_lshrrev_b32 v3, 8, v37 :: v_dual_add_nc_u32 v71, v62, v60
	s_delay_alu instid0(VALU_DEP_3) | instskip(SKIP_1) | instid1(VALU_DEP_3)
	v_dual_add_nc_u32 v59, v70, v59 :: v_dual_lshlrev_b32 v60, 1, v2
	v_dual_sub_nc_u32 v72, v22, v4 :: v_dual_sub_nc_u32 v1, v1, v6
	v_dual_add_nc_u32 v73, v71, v44 :: v_dual_bitop2_b32 v74, 1, v31 bitop3:0x40
	s_delay_alu instid0(VALU_DEP_3) | instskip(NEXT) | instid1(VALU_DEP_3)
	v_dual_add_nc_u32 v58, v59, v58 :: v_dual_bitop2_b32 v75, 1, v3 bitop3:0x40
	v_dual_add_nc_u32 v1, v1, v2 :: v_dual_sub_nc_u32 v70, v70, v4
	s_delay_alu instid0(VALU_DEP_2)
	v_dual_add_nc_u32 v57, v73, v57 :: v_dual_add_nc_u32 v76, v58, v43
	v_mov_b32_e32 v61, v5
	s_wait_kmcnt 0x0
	v_add_nc_u64_e32 v[22:23], s[28:29], v[4:5]
	v_dual_mov_b32 v3, v5 :: v_dual_mov_b32 v7, v5
	v_dual_add_nc_u32 v55, v76, v55 :: v_dual_add_nc_u32 v56, v57, v56
	v_cmp_eq_u32_e32 vcc_lo, 1, v75
	v_dual_lshrrev_b32 v69, 8, v31 :: v_dual_lshrrev_b32 v67, 16, v31
	s_delay_alu instid0(VALU_DEP_3) | instskip(NEXT) | instid1(VALU_DEP_4)
	v_dual_add_nc_u32 v53, v55, v53 :: v_dual_mov_b32 v9, v5
	v_add_nc_u32_e32 v54, v56, v54
	v_add3_u32 v5, v60, v8, v30
	s_delay_alu instid0(VALU_DEP_3) | instskip(NEXT) | instid1(VALU_DEP_3)
	v_dual_sub_nc_u32 v62, v62, v6 :: v_dual_add_nc_u32 v51, v53, v51
	v_dual_add_nc_u32 v78, v72, v1 :: v_dual_add_nc_u32 v77, v54, v42
	s_delay_alu instid0(VALU_DEP_2) | instskip(NEXT) | instid1(VALU_DEP_2)
	v_dual_sub_nc_u32 v59, v59, v4 :: v_dual_add_nc_u32 v62, v62, v2
	v_dual_add_nc_u32 v79, v51, v41 :: v_dual_sub_nc_u32 v78, v5, v78
	s_delay_alu instid0(VALU_DEP_3) | instskip(SKIP_1) | instid1(VALU_DEP_3)
	v_add_nc_u32_e32 v52, v77, v52
	v_dual_sub_nc_u32 v73, v73, v6 :: v_dual_sub_nc_u32 v58, v58, v4
	v_add_nc_u32_e32 v48, v79, v48
	s_delay_alu instid0(VALU_DEP_4) | instskip(SKIP_2) | instid1(VALU_DEP_4)
	v_dual_sub_nc_u32 v71, v71, v6 :: v_dual_cndmask_b32 v1, v78, v1, vcc_lo
	v_cmp_eq_u32_e32 vcc_lo, 1, v74
	v_add_nc_u32_e32 v50, v52, v50
	v_dual_add_nc_u32 v80, v62, v70 :: v_dual_add_nc_u32 v47, v48, v47
	v_dual_lshrrev_b32 v66, 8, v32 :: v_dual_lshrrev_b32 v65, 16, v32
	v_dual_cndmask_b32 v1, v1, v72, vcc_lo :: v_dual_add_nc_u32 v71, v71, v2
	s_delay_alu instid0(VALU_DEP_3) | instskip(NEXT) | instid1(VALU_DEP_4)
	v_dual_add_nc_u32 v49, v50, v49 :: v_dual_add_nc_u32 v46, v47, v46
	v_sub_nc_u32_e32 v74, v5, v80
	s_delay_alu instid0(VALU_DEP_3) | instskip(NEXT) | instid1(VALU_DEP_3)
	v_dual_add_nc_u32 v75, v71, v59 :: v_dual_bitop2_b32 v68, 1, v68 bitop3:0x40
	v_dual_add_nc_u32 v72, v49, v40 :: v_dual_bitop2_b32 v69, 1, v69 bitop3:0x40
	s_delay_alu instid0(VALU_DEP_3) | instskip(NEXT) | instid1(VALU_DEP_3)
	v_add_nc_u32_e32 v74, 1, v74
	v_cmp_eq_u32_e32 vcc_lo, 1, v68
	s_delay_alu instid0(VALU_DEP_3) | instskip(SKIP_1) | instid1(VALU_DEP_4)
	v_dual_sub_nc_u32 v75, v5, v75 :: v_dual_add_nc_u32 v45, v72, v45
	v_dual_add_nc_u32 v68, v73, v2 :: v_dual_bitop2_b32 v44, 1, v44 bitop3:0x40
	v_cndmask_b32_e32 v62, v74, v62, vcc_lo
	v_cmp_eq_u32_e32 vcc_lo, 1, v69
	s_delay_alu instid0(VALU_DEP_3)
	v_dual_add_nc_u32 v73, 2, v75 :: v_dual_add_nc_u32 v69, v58, v68
	v_dual_lshlrev_b32 v1, 2, v1 :: v_dual_bitop2_b32 v67, 1, v67 bitop3:0x40
	v_add_nc_u32_e32 v78, v46, v39
	v_cndmask_b32_e32 v62, v62, v70, vcc_lo
	v_cmp_eq_u32_e32 vcc_lo, 1, v44
	v_dual_sub_nc_u32 v57, v57, v6 :: v_dual_bitop2_b32 v43, 1, v43 bitop3:0x40
	ds_store_b32 v1, v20
	v_dual_lshlrev_b32 v20, 2, v62 :: v_dual_cndmask_b32 v44, v73, v71, vcc_lo
	v_cmp_eq_u32_e32 vcc_lo, 1, v67
	v_sub_nc_u32_e32 v1, v5, v69
	v_dual_lshrrev_b32 v63, 16, v33 :: v_dual_lshrrev_b32 v64, 8, v33
	ds_store_b32 v20, v21
	v_dual_cndmask_b32 v44, v44, v59, vcc_lo :: v_dual_bitop2_b32 v32, 1, v32 bitop3:0x40
	v_dual_add_nc_u32 v1, 3, v1 :: v_dual_add_nc_u32 v57, v57, v2
	v_dual_sub_nc_u32 v54, v54, v6 :: v_dual_lshrrev_b32 v25, 16, v35
	v_lshrrev_b32_e32 v27, 8, v35
	s_delay_alu instid0(VALU_DEP_4)
	v_cmp_eq_u32_e32 vcc_lo, 1, v32
	v_sub_nc_u32_e32 v56, v56, v6
	v_sub_nc_u32_e32 v32, v76, v4
	v_dual_lshrrev_b32 v26, 8, v36 :: v_dual_lshrrev_b32 v24, 16, v36
	v_cndmask_b32_e32 v1, v1, v68, vcc_lo
	v_cmp_eq_u32_e32 vcc_lo, 1, v43
	v_dual_sub_nc_u32 v55, v55, v4 :: v_dual_add_nc_u32 v56, v56, v2
	v_dual_add_nc_u32 v43, v32, v57 :: v_dual_lshlrev_b32 v21, 2, v44
	s_delay_alu instid0(VALU_DEP_4) | instskip(NEXT) | instid1(VALU_DEP_2)
	v_dual_cndmask_b32 v1, v1, v58, vcc_lo :: v_dual_bitop2_b32 v58, 1, v65 bitop3:0x40
	v_dual_add_nc_u32 v20, v55, v56 :: v_dual_sub_nc_u32 v43, v5, v43
	s_delay_alu instid0(VALU_DEP_2) | instskip(NEXT) | instid1(VALU_DEP_2)
	v_dual_lshlrev_b32 v1, 2, v1 :: v_dual_bitop2_b32 v44, 1, v66 bitop3:0x40
	v_dual_sub_nc_u32 v20, v5, v20 :: v_dual_bitop2_b32 v33, 1, v33 bitop3:0x40
	s_delay_alu instid0(VALU_DEP_3) | instskip(NEXT) | instid1(VALU_DEP_3)
	v_add_nc_u32_e32 v43, 4, v43
	v_cmp_eq_u32_e32 vcc_lo, 1, v44
	v_dual_sub_nc_u32 v53, v53, v4 :: v_dual_add_nc_u32 v54, v54, v2
	s_delay_alu instid0(VALU_DEP_4)
	v_add_nc_u32_e32 v20, 5, v20
	ds_store_b32 v21, v18
	v_cndmask_b32_e32 v43, v43, v57, vcc_lo
	v_cmp_eq_u32_e32 vcc_lo, 1, v58
	v_and_b32_e32 v44, 1, v64
	ds_store_b32 v1, v19
	v_and_b32_e32 v21, 1, v63
	v_sub_nc_u64_e32 v[30:31], s[30:31], v[2:3]
	v_dual_cndmask_b32 v20, v20, v56, vcc_lo :: v_dual_add_nc_u32 v56, v53, v54
	v_cmp_eq_u32_e32 vcc_lo, 1, v33
	v_sub_nc_u32_e32 v33, v52, v6
	s_mov_b32 s41, 0
	s_delay_alu instid0(VALU_DEP_3)
	v_dual_sub_nc_u32 v18, v5, v56 :: v_dual_bitop2_b32 v27, 1, v27 bitop3:0x40
	v_cndmask_b32_e32 v32, v43, v32, vcc_lo
	v_cmp_eq_u32_e32 vcc_lo, 1, v44
	v_add_nc_u64_e32 v[30:31], v[30:31], v[6:7]
	s_add_nc_u64 s[0:1], s[34:35], s[40:41]
	v_dual_add_nc_u32 v18, 6, v18 :: v_dual_cndmask_b32 v20, v20, v55, vcc_lo
	v_dual_lshlrev_b32 v1, 2, v32 :: v_dual_sub_nc_u32 v32, v77, v6
	s_delay_alu instid0(VALU_DEP_2)
	v_dual_lshlrev_b32 v19, 2, v20 :: v_dual_bitop2_b32 v20, 1, v42 bitop3:0x40
	v_sub_nc_u32_e32 v42, v79, v4
	ds_store_b32 v1, v16
	ds_store_b32 v19, v17
	v_cmp_eq_u32_e32 vcc_lo, 1, v20
	v_dual_sub_nc_u32 v20, v51, v4 :: v_dual_add_nc_u32 v32, v32, v2
	v_dual_add_nc_u32 v33, v33, v2 :: v_dual_bitop2_b32 v19, 1, v35 bitop3:0x40
	v_cndmask_b32_e32 v18, v18, v54, vcc_lo
	v_cmp_eq_u32_e32 vcc_lo, 1, v21
	s_delay_alu instid0(VALU_DEP_4) | instskip(NEXT) | instid1(VALU_DEP_3)
	v_add_nc_u32_e32 v21, v20, v32
	v_dual_cndmask_b32 v18, v18, v53 :: v_dual_sub_nc_u32 v35, v48, v4
	v_add_nc_u32_e32 v1, v42, v33
	s_delay_alu instid0(VALU_DEP_3) | instskip(SKIP_1) | instid1(VALU_DEP_4)
	v_dual_sub_nc_u32 v17, v5, v21 :: v_dual_sub_nc_u32 v21, v50, v6
	v_cmp_eq_u32_e32 vcc_lo, 1, v19
	v_dual_lshlrev_b32 v16, 2, v18 :: v_dual_bitop2_b32 v18, 1, v41 bitop3:0x40
	s_delay_alu instid0(VALU_DEP_4) | instskip(NEXT) | instid1(VALU_DEP_4)
	v_sub_nc_u32_e32 v1, v5, v1
	v_dual_add_nc_u32 v17, 7, v17 :: v_dual_add_nc_u32 v21, v21, v2
	ds_store_b32 v16, v14
	v_dual_add_nc_u32 v1, 8, v1 :: v_dual_cndmask_b32 v17, v17, v32, vcc_lo
	v_cmp_eq_u32_e32 vcc_lo, 1, v27
	v_dual_add_nc_u32 v27, v35, v21 :: v_dual_bitop2_b32 v19, 1, v36 bitop3:0x40
	s_delay_alu instid0(VALU_DEP_3) | instskip(SKIP_1) | instid1(VALU_DEP_3)
	v_cndmask_b32_e32 v1, v1, v33, vcc_lo
	v_cmp_eq_u32_e32 vcc_lo, 1, v18
	v_dual_sub_nc_u32 v14, v5, v27 :: v_dual_bitop2_b32 v18, 1, v25 bitop3:0x40
	v_cndmask_b32_e32 v17, v17, v20, vcc_lo
	v_cmp_eq_u32_e32 vcc_lo, 1, v19
	v_dual_sub_nc_u32 v19, v47, v4 :: v_dual_cndmask_b32 v1, v1, v42, vcc_lo
	s_delay_alu instid0(VALU_DEP_4) | instskip(NEXT) | instid1(VALU_DEP_2)
	v_cmp_eq_u32_e32 vcc_lo, 1, v18
	v_lshlrev_b32_e32 v1, 2, v1
	v_dual_lshlrev_b32 v16, 2, v17 :: v_dual_sub_nc_u32 v17, v49, v6
	ds_store_b32 v16, v15
	v_add_nc_u32_e32 v17, v17, v2
	v_add_nc_u32_e32 v14, 9, v14
	ds_store_b32 v1, v12
	v_dual_sub_nc_u32 v16, v45, v6 :: v_dual_add_nc_u32 v15, v19, v17
	v_dual_cndmask_b32 v14, v14, v21, vcc_lo :: v_dual_bitop2_b32 v20, 1, v26 bitop3:0x40
	v_sub_nc_u32_e32 v12, v72, v6
	s_delay_alu instid0(VALU_DEP_3) | instskip(NEXT) | instid1(VALU_DEP_3)
	v_add_nc_u32_e32 v16, v16, v2
	v_cmp_eq_u32_e32 vcc_lo, 1, v20
	v_sub_nc_u32_e32 v20, v78, v4
	v_cndmask_b32_e32 v1, v14, v35, vcc_lo
	v_dual_sub_nc_u32 v14, v5, v15 :: v_dual_bitop2_b32 v15, 1, v40 bitop3:0x40
	v_dual_sub_nc_u32 v18, v46, v4 :: v_dual_add_nc_u32 v12, v12, v2
	s_delay_alu instid0(VALU_DEP_2) | instskip(NEXT) | instid1(VALU_DEP_3)
	v_dual_add_nc_u32 v14, 10, v14 :: v_dual_bitop2_b32 v4, 1, v24 bitop3:0x40
	v_cmp_eq_u32_e32 vcc_lo, 1, v15
	v_add_nc_u32_e32 v15, v20, v16
	s_delay_alu instid0(VALU_DEP_4) | instskip(NEXT) | instid1(VALU_DEP_4)
	v_dual_add_nc_u32 v21, v18, v12 :: v_dual_lshlrev_b32 v1, 2, v1
	v_cndmask_b32_e32 v14, v14, v17, vcc_lo
	v_cmp_eq_u32_e32 vcc_lo, 1, v4
	s_delay_alu instid0(VALU_DEP_3) | instskip(SKIP_4) | instid1(VALU_DEP_3)
	v_dual_sub_nc_u32 v17, v5, v21 :: v_dual_sub_nc_u32 v4, v5, v15
	ds_store_b32 v1, v13
	v_dual_cndmask_b32 v14, v14, v19, vcc_lo :: v_dual_bitop2_b32 v19, 1, v34 bitop3:0x40
	v_dual_add_nc_u32 v17, 11, v17 :: v_dual_bitop2_b32 v15, 1, v39 bitop3:0x40
	v_dual_add_nc_u32 v24, 12, v4 :: v_dual_bitop2_b32 v21, 1, v38 bitop3:0x40
	v_cmp_eq_u32_e32 vcc_lo, 1, v19
	v_add_nc_u64_e32 v[4:5], v[8:9], v[60:61]
	s_delay_alu instid0(VALU_DEP_4) | instskip(SKIP_2) | instid1(VALU_DEP_4)
	v_dual_lshlrev_b32 v14, 2, v14 :: v_dual_cndmask_b32 v12, v17, v12, vcc_lo
	v_and_b32_e32 v17, 1, v37
	v_cmp_eq_u32_e32 vcc_lo, 1, v21
	v_add_nc_u64_e32 v[4:5], v[4:5], v[30:31]
	ds_store_b32 v14, v10
	v_cndmask_b32_e32 v16, v24, v16, vcc_lo
	v_cmp_eq_u32_e32 vcc_lo, 1, v15
	v_add_nc_u64_e32 v[4:5], v[4:5], v[22:23]
	v_cndmask_b32_e32 v12, v12, v18, vcc_lo
	v_cmp_eq_u32_e32 vcc_lo, 1, v17
	v_cndmask_b32_e32 v15, v16, v20, vcc_lo
	v_cmp_ne_u32_e32 vcc_lo, 1, v29
	s_delay_alu instid0(VALU_DEP_2)
	v_dual_lshlrev_b32 v10, 2, v15 :: v_dual_lshlrev_b32 v1, 2, v12
	v_lshlrev_b64_e32 v[12:13], 2, v[30:31]
	v_lshlrev_b64_e32 v[14:15], 2, v[22:23]
	s_and_b32 vcc_lo, exec_lo, vcc_lo
	ds_store_b32 v1, v11
	ds_store_b32 v10, v28
	v_sub_nc_u64_e32 v[10:11], s[0:1], v[4:5]
	v_add_nc_u64_e32 v[4:5], s[38:39], v[12:13]
	v_add_nc_u64_e32 v[12:13], s[36:37], v[14:15]
	v_add_nc_u32_e32 v14, v2, v8
	s_mov_b32 s0, -1
	s_wait_dscnt 0x0
	s_barrier_signal -1
	s_barrier_wait -1
	s_cbranch_vccz .LBB739_150
; %bb.147:
	s_and_b32 vcc_lo, exec_lo, s0
	s_cbranch_vccnz .LBB739_255
.LBB739_148:
	v_cmp_eq_u32_e32 vcc_lo, 0, v0
	s_and_b32 s0, vcc_lo, s15
	s_delay_alu instid0(SALU_CYCLE_1)
	s_and_saveexec_b32 s1, s0
	s_cbranch_execnz .LBB739_373
.LBB739_149:
	s_sendmsg sendmsg(MSG_DEALLOC_VGPRS)
	s_endpgm
.LBB739_150:
	s_mov_b32 s0, exec_lo
	v_cmpx_ge_u32_e64 v0, v2
	s_xor_b32 s0, exec_lo, s0
	s_cbranch_execz .LBB739_156
; %bb.151:
	v_mov_b32_e32 v1, 0
	s_mov_b32 s1, exec_lo
	v_cmpx_ge_u32_e64 v0, v14
	s_xor_b32 s1, exec_lo, s1
	s_cbranch_execz .LBB739_153
; %bb.152:
	v_lshlrev_b32_e32 v15, 2, v0
	v_add_nc_u64_e32 v[16:17], v[10:11], v[0:1]
	ds_load_b32 v1, v15
	v_lshlrev_b64_e32 v[16:17], 2, v[16:17]
	s_delay_alu instid0(VALU_DEP_1)
	v_sub_nc_u64_e32 v[16:17], s[26:27], v[16:17]
	s_wait_dscnt 0x0
	global_store_b32 v[16:17], v1, off offset:-4
.LBB739_153:
	s_wait_xcnt 0x0
	s_and_not1_saveexec_b32 s1, s1
	s_cbranch_execz .LBB739_155
; %bb.154:
	v_lshlrev_b32_e32 v1, 2, v0
	v_readfirstlane_b32 s2, v4
	v_readfirstlane_b32 s3, v5
	ds_load_b32 v1, v1
	s_wait_dscnt 0x0
	global_store_b32 v0, v1, s[2:3] scale_offset
.LBB739_155:
	s_wait_xcnt 0x0
	s_or_b32 exec_lo, exec_lo, s1
.LBB739_156:
	s_and_not1_saveexec_b32 s0, s0
	s_cbranch_execz .LBB739_158
; %bb.157:
	v_lshlrev_b32_e32 v1, 2, v0
	v_readfirstlane_b32 s2, v12
	v_readfirstlane_b32 s3, v13
	ds_load_b32 v1, v1
	s_wait_dscnt 0x0
	global_store_b32 v0, v1, s[2:3] scale_offset
.LBB739_158:
	s_wait_xcnt 0x0
	s_or_b32 exec_lo, exec_lo, s0
	v_or_b32_e32 v1, 0x100, v0
	s_mov_b32 s0, exec_lo
	s_delay_alu instid0(VALU_DEP_1)
	v_cmpx_ge_u32_e64 v1, v2
	s_xor_b32 s0, exec_lo, s0
	s_cbranch_execz .LBB739_164
; %bb.159:
	s_mov_b32 s1, exec_lo
	v_cmpx_ge_u32_e64 v1, v14
	s_xor_b32 s1, exec_lo, s1
	s_cbranch_execz .LBB739_161
; %bb.160:
	v_dual_mov_b32 v1, 0 :: v_dual_lshlrev_b32 v15, 2, v0
	s_delay_alu instid0(VALU_DEP_1) | instskip(SKIP_2) | instid1(VALU_DEP_1)
	v_add_nc_u64_e32 v[16:17], v[10:11], v[0:1]
	ds_load_b32 v1, v15 offset:1024
	v_lshlrev_b64_e32 v[16:17], 2, v[16:17]
	v_sub_nc_u64_e32 v[16:17], s[26:27], v[16:17]
	s_wait_dscnt 0x0
	global_store_b32 v[16:17], v1, off offset:-1028
.LBB739_161:
	s_wait_xcnt 0x0
	s_and_not1_saveexec_b32 s1, s1
	s_cbranch_execz .LBB739_163
; %bb.162:
	v_lshlrev_b32_e32 v1, 2, v0
	v_readfirstlane_b32 s2, v4
	v_readfirstlane_b32 s3, v5
	ds_load_b32 v1, v1 offset:1024
	s_wait_dscnt 0x0
	global_store_b32 v0, v1, s[2:3] offset:1024 scale_offset
.LBB739_163:
	s_wait_xcnt 0x0
	s_or_b32 exec_lo, exec_lo, s1
.LBB739_164:
	s_and_not1_saveexec_b32 s0, s0
	s_cbranch_execz .LBB739_166
; %bb.165:
	v_lshlrev_b32_e32 v1, 2, v0
	v_readfirstlane_b32 s2, v12
	v_readfirstlane_b32 s3, v13
	ds_load_b32 v1, v1 offset:1024
	s_wait_dscnt 0x0
	global_store_b32 v0, v1, s[2:3] offset:1024 scale_offset
.LBB739_166:
	s_wait_xcnt 0x0
	s_or_b32 exec_lo, exec_lo, s0
	v_or_b32_e32 v1, 0x200, v0
	s_mov_b32 s0, exec_lo
	s_delay_alu instid0(VALU_DEP_1)
	v_cmpx_ge_u32_e64 v1, v2
	s_xor_b32 s0, exec_lo, s0
	s_cbranch_execz .LBB739_172
; %bb.167:
	s_mov_b32 s1, exec_lo
	v_cmpx_ge_u32_e64 v1, v14
	s_xor_b32 s1, exec_lo, s1
	s_cbranch_execz .LBB739_169
; %bb.168:
	v_dual_mov_b32 v1, 0 :: v_dual_lshlrev_b32 v15, 2, v0
	s_delay_alu instid0(VALU_DEP_1) | instskip(SKIP_2) | instid1(VALU_DEP_1)
	v_add_nc_u64_e32 v[16:17], v[10:11], v[0:1]
	ds_load_b32 v1, v15 offset:2048
	v_lshlrev_b64_e32 v[16:17], 2, v[16:17]
	v_sub_nc_u64_e32 v[16:17], s[26:27], v[16:17]
	s_wait_dscnt 0x0
	global_store_b32 v[16:17], v1, off offset:-2052
.LBB739_169:
	s_wait_xcnt 0x0
	s_and_not1_saveexec_b32 s1, s1
	s_cbranch_execz .LBB739_171
; %bb.170:
	v_lshlrev_b32_e32 v1, 2, v0
	v_readfirstlane_b32 s2, v4
	v_readfirstlane_b32 s3, v5
	ds_load_b32 v1, v1 offset:2048
	s_wait_dscnt 0x0
	global_store_b32 v0, v1, s[2:3] offset:2048 scale_offset
.LBB739_171:
	s_wait_xcnt 0x0
	s_or_b32 exec_lo, exec_lo, s1
.LBB739_172:
	s_and_not1_saveexec_b32 s0, s0
	s_cbranch_execz .LBB739_174
; %bb.173:
	v_lshlrev_b32_e32 v1, 2, v0
	v_readfirstlane_b32 s2, v12
	v_readfirstlane_b32 s3, v13
	ds_load_b32 v1, v1 offset:2048
	s_wait_dscnt 0x0
	global_store_b32 v0, v1, s[2:3] offset:2048 scale_offset
.LBB739_174:
	s_wait_xcnt 0x0
	s_or_b32 exec_lo, exec_lo, s0
	v_or_b32_e32 v1, 0x300, v0
	s_mov_b32 s0, exec_lo
	s_delay_alu instid0(VALU_DEP_1)
	v_cmpx_ge_u32_e64 v1, v2
	s_xor_b32 s0, exec_lo, s0
	s_cbranch_execz .LBB739_180
; %bb.175:
	s_mov_b32 s1, exec_lo
	v_cmpx_ge_u32_e64 v1, v14
	s_xor_b32 s1, exec_lo, s1
	s_cbranch_execz .LBB739_177
; %bb.176:
	v_dual_mov_b32 v1, 0 :: v_dual_lshlrev_b32 v15, 2, v0
	s_delay_alu instid0(VALU_DEP_1) | instskip(SKIP_2) | instid1(VALU_DEP_1)
	v_add_nc_u64_e32 v[16:17], v[10:11], v[0:1]
	ds_load_b32 v1, v15 offset:3072
	v_lshlrev_b64_e32 v[16:17], 2, v[16:17]
	v_sub_nc_u64_e32 v[16:17], s[26:27], v[16:17]
	s_wait_dscnt 0x0
	global_store_b32 v[16:17], v1, off offset:-3076
.LBB739_177:
	s_wait_xcnt 0x0
	s_and_not1_saveexec_b32 s1, s1
	s_cbranch_execz .LBB739_179
; %bb.178:
	v_lshlrev_b32_e32 v1, 2, v0
	v_readfirstlane_b32 s2, v4
	v_readfirstlane_b32 s3, v5
	ds_load_b32 v1, v1 offset:3072
	s_wait_dscnt 0x0
	global_store_b32 v0, v1, s[2:3] offset:3072 scale_offset
.LBB739_179:
	s_wait_xcnt 0x0
	s_or_b32 exec_lo, exec_lo, s1
.LBB739_180:
	s_and_not1_saveexec_b32 s0, s0
	s_cbranch_execz .LBB739_182
; %bb.181:
	v_lshlrev_b32_e32 v1, 2, v0
	v_readfirstlane_b32 s2, v12
	v_readfirstlane_b32 s3, v13
	ds_load_b32 v1, v1 offset:3072
	s_wait_dscnt 0x0
	global_store_b32 v0, v1, s[2:3] offset:3072 scale_offset
.LBB739_182:
	s_wait_xcnt 0x0
	s_or_b32 exec_lo, exec_lo, s0
	v_or_b32_e32 v1, 0x400, v0
	s_mov_b32 s0, exec_lo
	s_delay_alu instid0(VALU_DEP_1)
	v_cmpx_ge_u32_e64 v1, v2
	s_xor_b32 s0, exec_lo, s0
	s_cbranch_execz .LBB739_188
; %bb.183:
	s_mov_b32 s1, exec_lo
	v_cmpx_ge_u32_e64 v1, v14
	s_xor_b32 s1, exec_lo, s1
	s_cbranch_execz .LBB739_185
; %bb.184:
	v_dual_mov_b32 v1, 0 :: v_dual_lshlrev_b32 v15, 2, v0
	s_delay_alu instid0(VALU_DEP_1) | instskip(SKIP_2) | instid1(VALU_DEP_1)
	v_add_nc_u64_e32 v[16:17], v[10:11], v[0:1]
	ds_load_b32 v1, v15 offset:4096
	v_lshlrev_b64_e32 v[16:17], 2, v[16:17]
	v_sub_nc_u64_e32 v[16:17], s[26:27], v[16:17]
	s_wait_dscnt 0x0
	global_store_b32 v[16:17], v1, off offset:-4100
.LBB739_185:
	s_wait_xcnt 0x0
	s_and_not1_saveexec_b32 s1, s1
	s_cbranch_execz .LBB739_187
; %bb.186:
	v_lshlrev_b32_e32 v1, 2, v0
	v_readfirstlane_b32 s2, v4
	v_readfirstlane_b32 s3, v5
	ds_load_b32 v1, v1 offset:4096
	s_wait_dscnt 0x0
	global_store_b32 v0, v1, s[2:3] offset:4096 scale_offset
.LBB739_187:
	s_wait_xcnt 0x0
	s_or_b32 exec_lo, exec_lo, s1
.LBB739_188:
	s_and_not1_saveexec_b32 s0, s0
	s_cbranch_execz .LBB739_190
; %bb.189:
	v_lshlrev_b32_e32 v1, 2, v0
	v_readfirstlane_b32 s2, v12
	v_readfirstlane_b32 s3, v13
	ds_load_b32 v1, v1 offset:4096
	s_wait_dscnt 0x0
	global_store_b32 v0, v1, s[2:3] offset:4096 scale_offset
.LBB739_190:
	s_wait_xcnt 0x0
	s_or_b32 exec_lo, exec_lo, s0
	v_or_b32_e32 v1, 0x500, v0
	s_mov_b32 s0, exec_lo
	s_delay_alu instid0(VALU_DEP_1)
	v_cmpx_ge_u32_e64 v1, v2
	s_xor_b32 s0, exec_lo, s0
	s_cbranch_execz .LBB739_196
; %bb.191:
	s_mov_b32 s1, exec_lo
	v_cmpx_ge_u32_e64 v1, v14
	s_xor_b32 s1, exec_lo, s1
	s_cbranch_execz .LBB739_193
; %bb.192:
	v_dual_mov_b32 v1, 0 :: v_dual_lshlrev_b32 v15, 2, v0
	s_delay_alu instid0(VALU_DEP_1) | instskip(SKIP_2) | instid1(VALU_DEP_1)
	v_add_nc_u64_e32 v[16:17], v[10:11], v[0:1]
	ds_load_b32 v1, v15 offset:5120
	v_lshlrev_b64_e32 v[16:17], 2, v[16:17]
	v_sub_nc_u64_e32 v[16:17], s[26:27], v[16:17]
	s_wait_dscnt 0x0
	global_store_b32 v[16:17], v1, off offset:-5124
.LBB739_193:
	s_wait_xcnt 0x0
	s_and_not1_saveexec_b32 s1, s1
	s_cbranch_execz .LBB739_195
; %bb.194:
	v_lshlrev_b32_e32 v1, 2, v0
	v_readfirstlane_b32 s2, v4
	v_readfirstlane_b32 s3, v5
	ds_load_b32 v1, v1 offset:5120
	s_wait_dscnt 0x0
	global_store_b32 v0, v1, s[2:3] offset:5120 scale_offset
.LBB739_195:
	s_wait_xcnt 0x0
	s_or_b32 exec_lo, exec_lo, s1
.LBB739_196:
	s_and_not1_saveexec_b32 s0, s0
	s_cbranch_execz .LBB739_198
; %bb.197:
	v_lshlrev_b32_e32 v1, 2, v0
	v_readfirstlane_b32 s2, v12
	v_readfirstlane_b32 s3, v13
	ds_load_b32 v1, v1 offset:5120
	s_wait_dscnt 0x0
	global_store_b32 v0, v1, s[2:3] offset:5120 scale_offset
.LBB739_198:
	s_wait_xcnt 0x0
	s_or_b32 exec_lo, exec_lo, s0
	v_or_b32_e32 v1, 0x600, v0
	s_mov_b32 s0, exec_lo
	s_delay_alu instid0(VALU_DEP_1)
	v_cmpx_ge_u32_e64 v1, v2
	s_xor_b32 s0, exec_lo, s0
	s_cbranch_execz .LBB739_204
; %bb.199:
	s_mov_b32 s1, exec_lo
	v_cmpx_ge_u32_e64 v1, v14
	s_xor_b32 s1, exec_lo, s1
	s_cbranch_execz .LBB739_201
; %bb.200:
	v_dual_mov_b32 v1, 0 :: v_dual_lshlrev_b32 v15, 2, v0
	s_delay_alu instid0(VALU_DEP_1) | instskip(SKIP_2) | instid1(VALU_DEP_1)
	v_add_nc_u64_e32 v[16:17], v[10:11], v[0:1]
	ds_load_b32 v1, v15 offset:6144
	v_lshlrev_b64_e32 v[16:17], 2, v[16:17]
	v_sub_nc_u64_e32 v[16:17], s[26:27], v[16:17]
	s_wait_dscnt 0x0
	global_store_b32 v[16:17], v1, off offset:-6148
.LBB739_201:
	s_wait_xcnt 0x0
	s_and_not1_saveexec_b32 s1, s1
	s_cbranch_execz .LBB739_203
; %bb.202:
	v_lshlrev_b32_e32 v1, 2, v0
	v_readfirstlane_b32 s2, v4
	v_readfirstlane_b32 s3, v5
	ds_load_b32 v1, v1 offset:6144
	s_wait_dscnt 0x0
	global_store_b32 v0, v1, s[2:3] offset:6144 scale_offset
.LBB739_203:
	s_wait_xcnt 0x0
	s_or_b32 exec_lo, exec_lo, s1
.LBB739_204:
	s_and_not1_saveexec_b32 s0, s0
	s_cbranch_execz .LBB739_206
; %bb.205:
	v_lshlrev_b32_e32 v1, 2, v0
	v_readfirstlane_b32 s2, v12
	v_readfirstlane_b32 s3, v13
	ds_load_b32 v1, v1 offset:6144
	s_wait_dscnt 0x0
	global_store_b32 v0, v1, s[2:3] offset:6144 scale_offset
.LBB739_206:
	s_wait_xcnt 0x0
	s_or_b32 exec_lo, exec_lo, s0
	v_or_b32_e32 v1, 0x700, v0
	s_mov_b32 s0, exec_lo
	s_delay_alu instid0(VALU_DEP_1)
	v_cmpx_ge_u32_e64 v1, v2
	s_xor_b32 s0, exec_lo, s0
	s_cbranch_execz .LBB739_212
; %bb.207:
	s_mov_b32 s1, exec_lo
	v_cmpx_ge_u32_e64 v1, v14
	s_xor_b32 s1, exec_lo, s1
	s_cbranch_execz .LBB739_209
; %bb.208:
	v_dual_mov_b32 v1, 0 :: v_dual_lshlrev_b32 v15, 2, v0
	s_delay_alu instid0(VALU_DEP_1) | instskip(SKIP_2) | instid1(VALU_DEP_1)
	v_add_nc_u64_e32 v[16:17], v[10:11], v[0:1]
	ds_load_b32 v1, v15 offset:7168
	v_lshlrev_b64_e32 v[16:17], 2, v[16:17]
	v_sub_nc_u64_e32 v[16:17], s[26:27], v[16:17]
	s_wait_dscnt 0x0
	global_store_b32 v[16:17], v1, off offset:-7172
.LBB739_209:
	s_wait_xcnt 0x0
	s_and_not1_saveexec_b32 s1, s1
	s_cbranch_execz .LBB739_211
; %bb.210:
	v_lshlrev_b32_e32 v1, 2, v0
	v_readfirstlane_b32 s2, v4
	v_readfirstlane_b32 s3, v5
	ds_load_b32 v1, v1 offset:7168
	s_wait_dscnt 0x0
	global_store_b32 v0, v1, s[2:3] offset:7168 scale_offset
.LBB739_211:
	s_wait_xcnt 0x0
	s_or_b32 exec_lo, exec_lo, s1
.LBB739_212:
	s_and_not1_saveexec_b32 s0, s0
	s_cbranch_execz .LBB739_214
; %bb.213:
	v_lshlrev_b32_e32 v1, 2, v0
	v_readfirstlane_b32 s2, v12
	v_readfirstlane_b32 s3, v13
	ds_load_b32 v1, v1 offset:7168
	s_wait_dscnt 0x0
	global_store_b32 v0, v1, s[2:3] offset:7168 scale_offset
.LBB739_214:
	s_wait_xcnt 0x0
	s_or_b32 exec_lo, exec_lo, s0
	v_or_b32_e32 v1, 0x800, v0
	s_mov_b32 s0, exec_lo
	s_delay_alu instid0(VALU_DEP_1)
	v_cmpx_ge_u32_e64 v1, v2
	s_xor_b32 s0, exec_lo, s0
	s_cbranch_execz .LBB739_220
; %bb.215:
	s_mov_b32 s1, exec_lo
	v_cmpx_ge_u32_e64 v1, v14
	s_xor_b32 s1, exec_lo, s1
	s_cbranch_execz .LBB739_217
; %bb.216:
	v_dual_mov_b32 v1, 0 :: v_dual_lshlrev_b32 v15, 2, v0
	s_delay_alu instid0(VALU_DEP_1) | instskip(SKIP_2) | instid1(VALU_DEP_1)
	v_add_nc_u64_e32 v[16:17], v[10:11], v[0:1]
	ds_load_b32 v1, v15 offset:8192
	v_lshlrev_b64_e32 v[16:17], 2, v[16:17]
	v_sub_nc_u64_e32 v[16:17], s[26:27], v[16:17]
	s_wait_dscnt 0x0
	global_store_b32 v[16:17], v1, off offset:-8196
.LBB739_217:
	s_wait_xcnt 0x0
	s_and_not1_saveexec_b32 s1, s1
	s_cbranch_execz .LBB739_219
; %bb.218:
	v_lshlrev_b32_e32 v1, 2, v0
	v_readfirstlane_b32 s2, v4
	v_readfirstlane_b32 s3, v5
	ds_load_b32 v1, v1 offset:8192
	s_wait_dscnt 0x0
	global_store_b32 v0, v1, s[2:3] offset:8192 scale_offset
.LBB739_219:
	s_wait_xcnt 0x0
	s_or_b32 exec_lo, exec_lo, s1
.LBB739_220:
	s_and_not1_saveexec_b32 s0, s0
	s_cbranch_execz .LBB739_222
; %bb.221:
	v_lshlrev_b32_e32 v1, 2, v0
	v_readfirstlane_b32 s2, v12
	v_readfirstlane_b32 s3, v13
	ds_load_b32 v1, v1 offset:8192
	s_wait_dscnt 0x0
	global_store_b32 v0, v1, s[2:3] offset:8192 scale_offset
.LBB739_222:
	s_wait_xcnt 0x0
	s_or_b32 exec_lo, exec_lo, s0
	v_or_b32_e32 v1, 0x900, v0
	s_mov_b32 s0, exec_lo
	s_delay_alu instid0(VALU_DEP_1)
	v_cmpx_ge_u32_e64 v1, v2
	s_xor_b32 s0, exec_lo, s0
	s_cbranch_execz .LBB739_228
; %bb.223:
	s_mov_b32 s1, exec_lo
	v_cmpx_ge_u32_e64 v1, v14
	s_xor_b32 s1, exec_lo, s1
	s_cbranch_execz .LBB739_225
; %bb.224:
	v_dual_mov_b32 v1, 0 :: v_dual_lshlrev_b32 v15, 2, v0
	s_delay_alu instid0(VALU_DEP_1) | instskip(SKIP_2) | instid1(VALU_DEP_1)
	v_add_nc_u64_e32 v[16:17], v[10:11], v[0:1]
	ds_load_b32 v1, v15 offset:9216
	v_lshlrev_b64_e32 v[16:17], 2, v[16:17]
	v_sub_nc_u64_e32 v[16:17], s[26:27], v[16:17]
	s_wait_dscnt 0x0
	global_store_b32 v[16:17], v1, off offset:-9220
.LBB739_225:
	s_wait_xcnt 0x0
	s_and_not1_saveexec_b32 s1, s1
	s_cbranch_execz .LBB739_227
; %bb.226:
	v_lshlrev_b32_e32 v1, 2, v0
	v_readfirstlane_b32 s2, v4
	v_readfirstlane_b32 s3, v5
	ds_load_b32 v1, v1 offset:9216
	s_wait_dscnt 0x0
	global_store_b32 v0, v1, s[2:3] offset:9216 scale_offset
.LBB739_227:
	s_wait_xcnt 0x0
	s_or_b32 exec_lo, exec_lo, s1
.LBB739_228:
	s_and_not1_saveexec_b32 s0, s0
	s_cbranch_execz .LBB739_230
; %bb.229:
	v_lshlrev_b32_e32 v1, 2, v0
	v_readfirstlane_b32 s2, v12
	v_readfirstlane_b32 s3, v13
	ds_load_b32 v1, v1 offset:9216
	s_wait_dscnt 0x0
	global_store_b32 v0, v1, s[2:3] offset:9216 scale_offset
.LBB739_230:
	s_wait_xcnt 0x0
	s_or_b32 exec_lo, exec_lo, s0
	v_or_b32_e32 v1, 0xa00, v0
	s_mov_b32 s0, exec_lo
	s_delay_alu instid0(VALU_DEP_1)
	v_cmpx_ge_u32_e64 v1, v2
	s_xor_b32 s0, exec_lo, s0
	s_cbranch_execz .LBB739_236
; %bb.231:
	s_mov_b32 s1, exec_lo
	v_cmpx_ge_u32_e64 v1, v14
	s_xor_b32 s1, exec_lo, s1
	s_cbranch_execz .LBB739_233
; %bb.232:
	v_dual_mov_b32 v1, 0 :: v_dual_lshlrev_b32 v15, 2, v0
	s_delay_alu instid0(VALU_DEP_1) | instskip(SKIP_2) | instid1(VALU_DEP_1)
	v_add_nc_u64_e32 v[16:17], v[10:11], v[0:1]
	ds_load_b32 v1, v15 offset:10240
	v_lshlrev_b64_e32 v[16:17], 2, v[16:17]
	v_sub_nc_u64_e32 v[16:17], s[26:27], v[16:17]
	s_wait_dscnt 0x0
	global_store_b32 v[16:17], v1, off offset:-10244
.LBB739_233:
	s_wait_xcnt 0x0
	s_and_not1_saveexec_b32 s1, s1
	s_cbranch_execz .LBB739_235
; %bb.234:
	v_lshlrev_b32_e32 v1, 2, v0
	v_readfirstlane_b32 s2, v4
	v_readfirstlane_b32 s3, v5
	ds_load_b32 v1, v1 offset:10240
	s_wait_dscnt 0x0
	global_store_b32 v0, v1, s[2:3] offset:10240 scale_offset
.LBB739_235:
	s_wait_xcnt 0x0
	s_or_b32 exec_lo, exec_lo, s1
.LBB739_236:
	s_and_not1_saveexec_b32 s0, s0
	s_cbranch_execz .LBB739_238
; %bb.237:
	v_lshlrev_b32_e32 v1, 2, v0
	v_readfirstlane_b32 s2, v12
	v_readfirstlane_b32 s3, v13
	ds_load_b32 v1, v1 offset:10240
	s_wait_dscnt 0x0
	global_store_b32 v0, v1, s[2:3] offset:10240 scale_offset
.LBB739_238:
	s_wait_xcnt 0x0
	s_or_b32 exec_lo, exec_lo, s0
	v_or_b32_e32 v1, 0xb00, v0
	s_mov_b32 s0, exec_lo
	s_delay_alu instid0(VALU_DEP_1)
	v_cmpx_ge_u32_e64 v1, v2
	s_xor_b32 s0, exec_lo, s0
	s_cbranch_execz .LBB739_244
; %bb.239:
	s_mov_b32 s1, exec_lo
	v_cmpx_ge_u32_e64 v1, v14
	s_xor_b32 s1, exec_lo, s1
	s_cbranch_execz .LBB739_241
; %bb.240:
	v_dual_mov_b32 v1, 0 :: v_dual_lshlrev_b32 v15, 2, v0
	s_delay_alu instid0(VALU_DEP_1) | instskip(SKIP_2) | instid1(VALU_DEP_1)
	v_add_nc_u64_e32 v[16:17], v[10:11], v[0:1]
	ds_load_b32 v1, v15 offset:11264
	v_lshlrev_b64_e32 v[16:17], 2, v[16:17]
	v_sub_nc_u64_e32 v[16:17], s[26:27], v[16:17]
	s_wait_dscnt 0x0
	global_store_b32 v[16:17], v1, off offset:-11268
.LBB739_241:
	s_wait_xcnt 0x0
	s_and_not1_saveexec_b32 s1, s1
	s_cbranch_execz .LBB739_243
; %bb.242:
	v_lshlrev_b32_e32 v1, 2, v0
	v_readfirstlane_b32 s2, v4
	v_readfirstlane_b32 s3, v5
	ds_load_b32 v1, v1 offset:11264
	s_wait_dscnt 0x0
	global_store_b32 v0, v1, s[2:3] offset:11264 scale_offset
.LBB739_243:
	s_wait_xcnt 0x0
	s_or_b32 exec_lo, exec_lo, s1
.LBB739_244:
	s_and_not1_saveexec_b32 s0, s0
	s_cbranch_execz .LBB739_246
; %bb.245:
	v_lshlrev_b32_e32 v1, 2, v0
	v_readfirstlane_b32 s2, v12
	v_readfirstlane_b32 s3, v13
	ds_load_b32 v1, v1 offset:11264
	s_wait_dscnt 0x0
	global_store_b32 v0, v1, s[2:3] offset:11264 scale_offset
.LBB739_246:
	s_wait_xcnt 0x0
	s_or_b32 exec_lo, exec_lo, s0
	v_or_b32_e32 v1, 0xc00, v0
	s_mov_b32 s0, exec_lo
	s_delay_alu instid0(VALU_DEP_1)
	v_cmpx_ge_u32_e64 v1, v2
	s_xor_b32 s0, exec_lo, s0
	s_cbranch_execz .LBB739_252
; %bb.247:
	s_mov_b32 s1, exec_lo
	v_cmpx_ge_u32_e64 v1, v14
	s_xor_b32 s1, exec_lo, s1
	s_cbranch_execz .LBB739_249
; %bb.248:
	v_dual_mov_b32 v1, 0 :: v_dual_lshlrev_b32 v15, 2, v0
	s_delay_alu instid0(VALU_DEP_1) | instskip(SKIP_2) | instid1(VALU_DEP_1)
	v_add_nc_u64_e32 v[16:17], v[10:11], v[0:1]
	ds_load_b32 v1, v15 offset:12288
	v_lshlrev_b64_e32 v[16:17], 2, v[16:17]
	v_sub_nc_u64_e32 v[16:17], s[26:27], v[16:17]
	s_wait_dscnt 0x0
	global_store_b32 v[16:17], v1, off offset:-12292
.LBB739_249:
	s_wait_xcnt 0x0
	s_and_not1_saveexec_b32 s1, s1
	s_cbranch_execz .LBB739_251
; %bb.250:
	v_lshlrev_b32_e32 v1, 2, v0
	v_readfirstlane_b32 s2, v4
	v_readfirstlane_b32 s3, v5
	ds_load_b32 v1, v1 offset:12288
	s_wait_dscnt 0x0
	global_store_b32 v0, v1, s[2:3] offset:12288 scale_offset
.LBB739_251:
	s_wait_xcnt 0x0
	s_or_b32 exec_lo, exec_lo, s1
.LBB739_252:
	s_and_not1_saveexec_b32 s0, s0
	s_cbranch_execz .LBB739_254
; %bb.253:
	v_lshlrev_b32_e32 v1, 2, v0
	v_readfirstlane_b32 s2, v12
	v_readfirstlane_b32 s3, v13
	ds_load_b32 v1, v1 offset:12288
	s_wait_dscnt 0x0
	global_store_b32 v0, v1, s[2:3] offset:12288 scale_offset
.LBB739_254:
	s_wait_xcnt 0x0
	s_or_b32 exec_lo, exec_lo, s0
	s_branch .LBB739_148
.LBB739_255:
	s_mov_b32 s0, exec_lo
	v_cmpx_gt_u32_e64 s6, v0
	s_cbranch_execz .LBB739_264
; %bb.256:
	s_mov_b32 s1, exec_lo
	v_cmpx_ge_u32_e64 v0, v2
	s_xor_b32 s1, exec_lo, s1
	s_cbranch_execz .LBB739_262
; %bb.257:
	v_mov_b32_e32 v1, 0
	s_mov_b32 s2, exec_lo
	v_cmpx_ge_u32_e64 v0, v14
	s_xor_b32 s2, exec_lo, s2
	s_cbranch_execz .LBB739_259
; %bb.258:
	v_lshlrev_b32_e32 v15, 2, v0
	v_add_nc_u64_e32 v[16:17], v[10:11], v[0:1]
	ds_load_b32 v1, v15
	v_lshlrev_b64_e32 v[16:17], 2, v[16:17]
	s_delay_alu instid0(VALU_DEP_1)
	v_sub_nc_u64_e32 v[16:17], s[26:27], v[16:17]
	s_wait_dscnt 0x0
	global_store_b32 v[16:17], v1, off offset:-4
.LBB739_259:
	s_wait_xcnt 0x0
	s_and_not1_saveexec_b32 s2, s2
	s_cbranch_execz .LBB739_261
; %bb.260:
	v_lshlrev_b32_e32 v1, 2, v0
	v_readfirstlane_b32 s4, v4
	v_readfirstlane_b32 s5, v5
	ds_load_b32 v1, v1
	s_wait_dscnt 0x0
	global_store_b32 v0, v1, s[4:5] scale_offset
.LBB739_261:
	s_wait_xcnt 0x0
	s_or_b32 exec_lo, exec_lo, s2
.LBB739_262:
	s_and_not1_saveexec_b32 s1, s1
	s_cbranch_execz .LBB739_264
; %bb.263:
	v_lshlrev_b32_e32 v1, 2, v0
	v_readfirstlane_b32 s2, v12
	v_readfirstlane_b32 s3, v13
	ds_load_b32 v1, v1
	s_wait_dscnt 0x0
	global_store_b32 v0, v1, s[2:3] scale_offset
.LBB739_264:
	s_wait_xcnt 0x0
	s_or_b32 exec_lo, exec_lo, s0
	v_or_b32_e32 v1, 0x100, v0
	s_mov_b32 s0, exec_lo
	s_delay_alu instid0(VALU_DEP_1)
	v_cmpx_gt_u32_e64 s6, v1
	s_cbranch_execz .LBB739_273
; %bb.265:
	s_mov_b32 s1, exec_lo
	v_cmpx_ge_u32_e64 v1, v2
	s_xor_b32 s1, exec_lo, s1
	s_cbranch_execz .LBB739_271
; %bb.266:
	s_mov_b32 s2, exec_lo
	v_cmpx_ge_u32_e64 v1, v14
	s_xor_b32 s2, exec_lo, s2
	s_cbranch_execz .LBB739_268
; %bb.267:
	v_dual_mov_b32 v1, 0 :: v_dual_lshlrev_b32 v15, 2, v0
	s_delay_alu instid0(VALU_DEP_1) | instskip(SKIP_2) | instid1(VALU_DEP_1)
	v_add_nc_u64_e32 v[16:17], v[10:11], v[0:1]
	ds_load_b32 v1, v15 offset:1024
	v_lshlrev_b64_e32 v[16:17], 2, v[16:17]
	v_sub_nc_u64_e32 v[16:17], s[26:27], v[16:17]
	s_wait_dscnt 0x0
	global_store_b32 v[16:17], v1, off offset:-1028
.LBB739_268:
	s_wait_xcnt 0x0
	s_and_not1_saveexec_b32 s2, s2
	s_cbranch_execz .LBB739_270
; %bb.269:
	v_lshlrev_b32_e32 v1, 2, v0
	v_readfirstlane_b32 s4, v4
	v_readfirstlane_b32 s5, v5
	ds_load_b32 v1, v1 offset:1024
	s_wait_dscnt 0x0
	global_store_b32 v0, v1, s[4:5] offset:1024 scale_offset
.LBB739_270:
	s_wait_xcnt 0x0
	s_or_b32 exec_lo, exec_lo, s2
.LBB739_271:
	s_and_not1_saveexec_b32 s1, s1
	s_cbranch_execz .LBB739_273
; %bb.272:
	v_lshlrev_b32_e32 v1, 2, v0
	v_readfirstlane_b32 s2, v12
	v_readfirstlane_b32 s3, v13
	ds_load_b32 v1, v1 offset:1024
	s_wait_dscnt 0x0
	global_store_b32 v0, v1, s[2:3] offset:1024 scale_offset
.LBB739_273:
	s_wait_xcnt 0x0
	s_or_b32 exec_lo, exec_lo, s0
	v_or_b32_e32 v1, 0x200, v0
	s_mov_b32 s0, exec_lo
	s_delay_alu instid0(VALU_DEP_1)
	v_cmpx_gt_u32_e64 s6, v1
	s_cbranch_execz .LBB739_282
; %bb.274:
	s_mov_b32 s1, exec_lo
	v_cmpx_ge_u32_e64 v1, v2
	s_xor_b32 s1, exec_lo, s1
	s_cbranch_execz .LBB739_280
; %bb.275:
	s_mov_b32 s2, exec_lo
	v_cmpx_ge_u32_e64 v1, v14
	s_xor_b32 s2, exec_lo, s2
	s_cbranch_execz .LBB739_277
; %bb.276:
	v_dual_mov_b32 v1, 0 :: v_dual_lshlrev_b32 v15, 2, v0
	s_delay_alu instid0(VALU_DEP_1) | instskip(SKIP_2) | instid1(VALU_DEP_1)
	v_add_nc_u64_e32 v[16:17], v[10:11], v[0:1]
	ds_load_b32 v1, v15 offset:2048
	v_lshlrev_b64_e32 v[16:17], 2, v[16:17]
	v_sub_nc_u64_e32 v[16:17], s[26:27], v[16:17]
	s_wait_dscnt 0x0
	global_store_b32 v[16:17], v1, off offset:-2052
.LBB739_277:
	s_wait_xcnt 0x0
	s_and_not1_saveexec_b32 s2, s2
	s_cbranch_execz .LBB739_279
; %bb.278:
	v_lshlrev_b32_e32 v1, 2, v0
	v_readfirstlane_b32 s4, v4
	v_readfirstlane_b32 s5, v5
	ds_load_b32 v1, v1 offset:2048
	s_wait_dscnt 0x0
	global_store_b32 v0, v1, s[4:5] offset:2048 scale_offset
.LBB739_279:
	s_wait_xcnt 0x0
	s_or_b32 exec_lo, exec_lo, s2
.LBB739_280:
	s_and_not1_saveexec_b32 s1, s1
	s_cbranch_execz .LBB739_282
; %bb.281:
	v_lshlrev_b32_e32 v1, 2, v0
	v_readfirstlane_b32 s2, v12
	v_readfirstlane_b32 s3, v13
	ds_load_b32 v1, v1 offset:2048
	s_wait_dscnt 0x0
	global_store_b32 v0, v1, s[2:3] offset:2048 scale_offset
.LBB739_282:
	s_wait_xcnt 0x0
	s_or_b32 exec_lo, exec_lo, s0
	v_or_b32_e32 v1, 0x300, v0
	s_mov_b32 s0, exec_lo
	s_delay_alu instid0(VALU_DEP_1)
	v_cmpx_gt_u32_e64 s6, v1
	s_cbranch_execz .LBB739_291
; %bb.283:
	s_mov_b32 s1, exec_lo
	v_cmpx_ge_u32_e64 v1, v2
	s_xor_b32 s1, exec_lo, s1
	s_cbranch_execz .LBB739_289
; %bb.284:
	s_mov_b32 s2, exec_lo
	v_cmpx_ge_u32_e64 v1, v14
	s_xor_b32 s2, exec_lo, s2
	s_cbranch_execz .LBB739_286
; %bb.285:
	v_dual_mov_b32 v1, 0 :: v_dual_lshlrev_b32 v15, 2, v0
	s_delay_alu instid0(VALU_DEP_1) | instskip(SKIP_2) | instid1(VALU_DEP_1)
	v_add_nc_u64_e32 v[16:17], v[10:11], v[0:1]
	ds_load_b32 v1, v15 offset:3072
	v_lshlrev_b64_e32 v[16:17], 2, v[16:17]
	v_sub_nc_u64_e32 v[16:17], s[26:27], v[16:17]
	s_wait_dscnt 0x0
	global_store_b32 v[16:17], v1, off offset:-3076
.LBB739_286:
	s_wait_xcnt 0x0
	s_and_not1_saveexec_b32 s2, s2
	s_cbranch_execz .LBB739_288
; %bb.287:
	v_lshlrev_b32_e32 v1, 2, v0
	v_readfirstlane_b32 s4, v4
	v_readfirstlane_b32 s5, v5
	ds_load_b32 v1, v1 offset:3072
	s_wait_dscnt 0x0
	global_store_b32 v0, v1, s[4:5] offset:3072 scale_offset
.LBB739_288:
	s_wait_xcnt 0x0
	s_or_b32 exec_lo, exec_lo, s2
.LBB739_289:
	s_and_not1_saveexec_b32 s1, s1
	s_cbranch_execz .LBB739_291
; %bb.290:
	v_lshlrev_b32_e32 v1, 2, v0
	v_readfirstlane_b32 s2, v12
	v_readfirstlane_b32 s3, v13
	ds_load_b32 v1, v1 offset:3072
	s_wait_dscnt 0x0
	global_store_b32 v0, v1, s[2:3] offset:3072 scale_offset
.LBB739_291:
	s_wait_xcnt 0x0
	s_or_b32 exec_lo, exec_lo, s0
	v_or_b32_e32 v1, 0x400, v0
	s_mov_b32 s0, exec_lo
	s_delay_alu instid0(VALU_DEP_1)
	v_cmpx_gt_u32_e64 s6, v1
	s_cbranch_execz .LBB739_300
; %bb.292:
	s_mov_b32 s1, exec_lo
	v_cmpx_ge_u32_e64 v1, v2
	s_xor_b32 s1, exec_lo, s1
	s_cbranch_execz .LBB739_298
; %bb.293:
	s_mov_b32 s2, exec_lo
	v_cmpx_ge_u32_e64 v1, v14
	s_xor_b32 s2, exec_lo, s2
	s_cbranch_execz .LBB739_295
; %bb.294:
	v_dual_mov_b32 v1, 0 :: v_dual_lshlrev_b32 v15, 2, v0
	s_delay_alu instid0(VALU_DEP_1) | instskip(SKIP_2) | instid1(VALU_DEP_1)
	v_add_nc_u64_e32 v[16:17], v[10:11], v[0:1]
	ds_load_b32 v1, v15 offset:4096
	v_lshlrev_b64_e32 v[16:17], 2, v[16:17]
	v_sub_nc_u64_e32 v[16:17], s[26:27], v[16:17]
	s_wait_dscnt 0x0
	global_store_b32 v[16:17], v1, off offset:-4100
.LBB739_295:
	s_wait_xcnt 0x0
	s_and_not1_saveexec_b32 s2, s2
	s_cbranch_execz .LBB739_297
; %bb.296:
	v_lshlrev_b32_e32 v1, 2, v0
	v_readfirstlane_b32 s4, v4
	v_readfirstlane_b32 s5, v5
	ds_load_b32 v1, v1 offset:4096
	s_wait_dscnt 0x0
	global_store_b32 v0, v1, s[4:5] offset:4096 scale_offset
.LBB739_297:
	s_wait_xcnt 0x0
	s_or_b32 exec_lo, exec_lo, s2
.LBB739_298:
	s_and_not1_saveexec_b32 s1, s1
	s_cbranch_execz .LBB739_300
; %bb.299:
	v_lshlrev_b32_e32 v1, 2, v0
	v_readfirstlane_b32 s2, v12
	v_readfirstlane_b32 s3, v13
	ds_load_b32 v1, v1 offset:4096
	s_wait_dscnt 0x0
	global_store_b32 v0, v1, s[2:3] offset:4096 scale_offset
.LBB739_300:
	s_wait_xcnt 0x0
	s_or_b32 exec_lo, exec_lo, s0
	v_or_b32_e32 v1, 0x500, v0
	s_mov_b32 s0, exec_lo
	s_delay_alu instid0(VALU_DEP_1)
	v_cmpx_gt_u32_e64 s6, v1
	s_cbranch_execz .LBB739_309
; %bb.301:
	s_mov_b32 s1, exec_lo
	v_cmpx_ge_u32_e64 v1, v2
	s_xor_b32 s1, exec_lo, s1
	s_cbranch_execz .LBB739_307
; %bb.302:
	s_mov_b32 s2, exec_lo
	v_cmpx_ge_u32_e64 v1, v14
	s_xor_b32 s2, exec_lo, s2
	s_cbranch_execz .LBB739_304
; %bb.303:
	v_dual_mov_b32 v1, 0 :: v_dual_lshlrev_b32 v15, 2, v0
	s_delay_alu instid0(VALU_DEP_1) | instskip(SKIP_2) | instid1(VALU_DEP_1)
	v_add_nc_u64_e32 v[16:17], v[10:11], v[0:1]
	ds_load_b32 v1, v15 offset:5120
	v_lshlrev_b64_e32 v[16:17], 2, v[16:17]
	v_sub_nc_u64_e32 v[16:17], s[26:27], v[16:17]
	s_wait_dscnt 0x0
	global_store_b32 v[16:17], v1, off offset:-5124
.LBB739_304:
	s_wait_xcnt 0x0
	s_and_not1_saveexec_b32 s2, s2
	s_cbranch_execz .LBB739_306
; %bb.305:
	v_lshlrev_b32_e32 v1, 2, v0
	v_readfirstlane_b32 s4, v4
	v_readfirstlane_b32 s5, v5
	ds_load_b32 v1, v1 offset:5120
	s_wait_dscnt 0x0
	global_store_b32 v0, v1, s[4:5] offset:5120 scale_offset
.LBB739_306:
	s_wait_xcnt 0x0
	s_or_b32 exec_lo, exec_lo, s2
.LBB739_307:
	s_and_not1_saveexec_b32 s1, s1
	s_cbranch_execz .LBB739_309
; %bb.308:
	v_lshlrev_b32_e32 v1, 2, v0
	v_readfirstlane_b32 s2, v12
	v_readfirstlane_b32 s3, v13
	ds_load_b32 v1, v1 offset:5120
	s_wait_dscnt 0x0
	global_store_b32 v0, v1, s[2:3] offset:5120 scale_offset
.LBB739_309:
	s_wait_xcnt 0x0
	s_or_b32 exec_lo, exec_lo, s0
	v_or_b32_e32 v1, 0x600, v0
	s_mov_b32 s0, exec_lo
	s_delay_alu instid0(VALU_DEP_1)
	v_cmpx_gt_u32_e64 s6, v1
	s_cbranch_execz .LBB739_318
; %bb.310:
	s_mov_b32 s1, exec_lo
	v_cmpx_ge_u32_e64 v1, v2
	s_xor_b32 s1, exec_lo, s1
	s_cbranch_execz .LBB739_316
; %bb.311:
	s_mov_b32 s2, exec_lo
	v_cmpx_ge_u32_e64 v1, v14
	s_xor_b32 s2, exec_lo, s2
	s_cbranch_execz .LBB739_313
; %bb.312:
	v_dual_mov_b32 v1, 0 :: v_dual_lshlrev_b32 v15, 2, v0
	s_delay_alu instid0(VALU_DEP_1) | instskip(SKIP_2) | instid1(VALU_DEP_1)
	v_add_nc_u64_e32 v[16:17], v[10:11], v[0:1]
	ds_load_b32 v1, v15 offset:6144
	v_lshlrev_b64_e32 v[16:17], 2, v[16:17]
	v_sub_nc_u64_e32 v[16:17], s[26:27], v[16:17]
	s_wait_dscnt 0x0
	global_store_b32 v[16:17], v1, off offset:-6148
.LBB739_313:
	s_wait_xcnt 0x0
	s_and_not1_saveexec_b32 s2, s2
	s_cbranch_execz .LBB739_315
; %bb.314:
	v_lshlrev_b32_e32 v1, 2, v0
	v_readfirstlane_b32 s4, v4
	v_readfirstlane_b32 s5, v5
	ds_load_b32 v1, v1 offset:6144
	s_wait_dscnt 0x0
	global_store_b32 v0, v1, s[4:5] offset:6144 scale_offset
.LBB739_315:
	s_wait_xcnt 0x0
	s_or_b32 exec_lo, exec_lo, s2
.LBB739_316:
	s_and_not1_saveexec_b32 s1, s1
	s_cbranch_execz .LBB739_318
; %bb.317:
	v_lshlrev_b32_e32 v1, 2, v0
	v_readfirstlane_b32 s2, v12
	v_readfirstlane_b32 s3, v13
	ds_load_b32 v1, v1 offset:6144
	s_wait_dscnt 0x0
	global_store_b32 v0, v1, s[2:3] offset:6144 scale_offset
.LBB739_318:
	s_wait_xcnt 0x0
	s_or_b32 exec_lo, exec_lo, s0
	v_or_b32_e32 v1, 0x700, v0
	s_mov_b32 s0, exec_lo
	s_delay_alu instid0(VALU_DEP_1)
	v_cmpx_gt_u32_e64 s6, v1
	s_cbranch_execz .LBB739_327
; %bb.319:
	s_mov_b32 s1, exec_lo
	v_cmpx_ge_u32_e64 v1, v2
	s_xor_b32 s1, exec_lo, s1
	s_cbranch_execz .LBB739_325
; %bb.320:
	s_mov_b32 s2, exec_lo
	v_cmpx_ge_u32_e64 v1, v14
	s_xor_b32 s2, exec_lo, s2
	s_cbranch_execz .LBB739_322
; %bb.321:
	v_dual_mov_b32 v1, 0 :: v_dual_lshlrev_b32 v15, 2, v0
	s_delay_alu instid0(VALU_DEP_1) | instskip(SKIP_2) | instid1(VALU_DEP_1)
	v_add_nc_u64_e32 v[16:17], v[10:11], v[0:1]
	ds_load_b32 v1, v15 offset:7168
	v_lshlrev_b64_e32 v[16:17], 2, v[16:17]
	v_sub_nc_u64_e32 v[16:17], s[26:27], v[16:17]
	s_wait_dscnt 0x0
	global_store_b32 v[16:17], v1, off offset:-7172
.LBB739_322:
	s_wait_xcnt 0x0
	s_and_not1_saveexec_b32 s2, s2
	s_cbranch_execz .LBB739_324
; %bb.323:
	v_lshlrev_b32_e32 v1, 2, v0
	v_readfirstlane_b32 s4, v4
	v_readfirstlane_b32 s5, v5
	ds_load_b32 v1, v1 offset:7168
	s_wait_dscnt 0x0
	global_store_b32 v0, v1, s[4:5] offset:7168 scale_offset
.LBB739_324:
	s_wait_xcnt 0x0
	s_or_b32 exec_lo, exec_lo, s2
.LBB739_325:
	s_and_not1_saveexec_b32 s1, s1
	s_cbranch_execz .LBB739_327
; %bb.326:
	v_lshlrev_b32_e32 v1, 2, v0
	v_readfirstlane_b32 s2, v12
	v_readfirstlane_b32 s3, v13
	ds_load_b32 v1, v1 offset:7168
	s_wait_dscnt 0x0
	global_store_b32 v0, v1, s[2:3] offset:7168 scale_offset
.LBB739_327:
	s_wait_xcnt 0x0
	s_or_b32 exec_lo, exec_lo, s0
	v_or_b32_e32 v1, 0x800, v0
	s_mov_b32 s0, exec_lo
	s_delay_alu instid0(VALU_DEP_1)
	v_cmpx_gt_u32_e64 s6, v1
	s_cbranch_execz .LBB739_336
; %bb.328:
	s_mov_b32 s1, exec_lo
	v_cmpx_ge_u32_e64 v1, v2
	s_xor_b32 s1, exec_lo, s1
	s_cbranch_execz .LBB739_334
; %bb.329:
	s_mov_b32 s2, exec_lo
	v_cmpx_ge_u32_e64 v1, v14
	s_xor_b32 s2, exec_lo, s2
	s_cbranch_execz .LBB739_331
; %bb.330:
	v_dual_mov_b32 v1, 0 :: v_dual_lshlrev_b32 v15, 2, v0
	s_delay_alu instid0(VALU_DEP_1) | instskip(SKIP_2) | instid1(VALU_DEP_1)
	v_add_nc_u64_e32 v[16:17], v[10:11], v[0:1]
	ds_load_b32 v1, v15 offset:8192
	v_lshlrev_b64_e32 v[16:17], 2, v[16:17]
	v_sub_nc_u64_e32 v[16:17], s[26:27], v[16:17]
	s_wait_dscnt 0x0
	global_store_b32 v[16:17], v1, off offset:-8196
.LBB739_331:
	s_wait_xcnt 0x0
	s_and_not1_saveexec_b32 s2, s2
	s_cbranch_execz .LBB739_333
; %bb.332:
	v_lshlrev_b32_e32 v1, 2, v0
	v_readfirstlane_b32 s4, v4
	v_readfirstlane_b32 s5, v5
	ds_load_b32 v1, v1 offset:8192
	s_wait_dscnt 0x0
	global_store_b32 v0, v1, s[4:5] offset:8192 scale_offset
.LBB739_333:
	s_wait_xcnt 0x0
	s_or_b32 exec_lo, exec_lo, s2
.LBB739_334:
	s_and_not1_saveexec_b32 s1, s1
	s_cbranch_execz .LBB739_336
; %bb.335:
	v_lshlrev_b32_e32 v1, 2, v0
	v_readfirstlane_b32 s2, v12
	v_readfirstlane_b32 s3, v13
	ds_load_b32 v1, v1 offset:8192
	s_wait_dscnt 0x0
	global_store_b32 v0, v1, s[2:3] offset:8192 scale_offset
.LBB739_336:
	s_wait_xcnt 0x0
	s_or_b32 exec_lo, exec_lo, s0
	v_or_b32_e32 v1, 0x900, v0
	s_mov_b32 s0, exec_lo
	s_delay_alu instid0(VALU_DEP_1)
	v_cmpx_gt_u32_e64 s6, v1
	s_cbranch_execz .LBB739_345
; %bb.337:
	s_mov_b32 s1, exec_lo
	v_cmpx_ge_u32_e64 v1, v2
	s_xor_b32 s1, exec_lo, s1
	s_cbranch_execz .LBB739_343
; %bb.338:
	s_mov_b32 s2, exec_lo
	v_cmpx_ge_u32_e64 v1, v14
	s_xor_b32 s2, exec_lo, s2
	s_cbranch_execz .LBB739_340
; %bb.339:
	v_dual_mov_b32 v1, 0 :: v_dual_lshlrev_b32 v15, 2, v0
	s_delay_alu instid0(VALU_DEP_1) | instskip(SKIP_2) | instid1(VALU_DEP_1)
	v_add_nc_u64_e32 v[16:17], v[10:11], v[0:1]
	ds_load_b32 v1, v15 offset:9216
	v_lshlrev_b64_e32 v[16:17], 2, v[16:17]
	v_sub_nc_u64_e32 v[16:17], s[26:27], v[16:17]
	s_wait_dscnt 0x0
	global_store_b32 v[16:17], v1, off offset:-9220
.LBB739_340:
	s_wait_xcnt 0x0
	s_and_not1_saveexec_b32 s2, s2
	s_cbranch_execz .LBB739_342
; %bb.341:
	v_lshlrev_b32_e32 v1, 2, v0
	v_readfirstlane_b32 s4, v4
	v_readfirstlane_b32 s5, v5
	ds_load_b32 v1, v1 offset:9216
	s_wait_dscnt 0x0
	global_store_b32 v0, v1, s[4:5] offset:9216 scale_offset
.LBB739_342:
	s_wait_xcnt 0x0
	s_or_b32 exec_lo, exec_lo, s2
.LBB739_343:
	s_and_not1_saveexec_b32 s1, s1
	s_cbranch_execz .LBB739_345
; %bb.344:
	v_lshlrev_b32_e32 v1, 2, v0
	v_readfirstlane_b32 s2, v12
	v_readfirstlane_b32 s3, v13
	ds_load_b32 v1, v1 offset:9216
	s_wait_dscnt 0x0
	global_store_b32 v0, v1, s[2:3] offset:9216 scale_offset
.LBB739_345:
	s_wait_xcnt 0x0
	s_or_b32 exec_lo, exec_lo, s0
	v_or_b32_e32 v1, 0xa00, v0
	s_mov_b32 s0, exec_lo
	s_delay_alu instid0(VALU_DEP_1)
	v_cmpx_gt_u32_e64 s6, v1
	s_cbranch_execz .LBB739_354
; %bb.346:
	s_mov_b32 s1, exec_lo
	v_cmpx_ge_u32_e64 v1, v2
	s_xor_b32 s1, exec_lo, s1
	s_cbranch_execz .LBB739_352
; %bb.347:
	s_mov_b32 s2, exec_lo
	v_cmpx_ge_u32_e64 v1, v14
	s_xor_b32 s2, exec_lo, s2
	s_cbranch_execz .LBB739_349
; %bb.348:
	v_dual_mov_b32 v1, 0 :: v_dual_lshlrev_b32 v15, 2, v0
	s_delay_alu instid0(VALU_DEP_1) | instskip(SKIP_2) | instid1(VALU_DEP_1)
	v_add_nc_u64_e32 v[16:17], v[10:11], v[0:1]
	ds_load_b32 v1, v15 offset:10240
	v_lshlrev_b64_e32 v[16:17], 2, v[16:17]
	v_sub_nc_u64_e32 v[16:17], s[26:27], v[16:17]
	s_wait_dscnt 0x0
	global_store_b32 v[16:17], v1, off offset:-10244
.LBB739_349:
	s_wait_xcnt 0x0
	s_and_not1_saveexec_b32 s2, s2
	s_cbranch_execz .LBB739_351
; %bb.350:
	v_lshlrev_b32_e32 v1, 2, v0
	v_readfirstlane_b32 s4, v4
	v_readfirstlane_b32 s5, v5
	ds_load_b32 v1, v1 offset:10240
	s_wait_dscnt 0x0
	global_store_b32 v0, v1, s[4:5] offset:10240 scale_offset
.LBB739_351:
	s_wait_xcnt 0x0
	s_or_b32 exec_lo, exec_lo, s2
.LBB739_352:
	s_and_not1_saveexec_b32 s1, s1
	s_cbranch_execz .LBB739_354
; %bb.353:
	v_lshlrev_b32_e32 v1, 2, v0
	v_readfirstlane_b32 s2, v12
	v_readfirstlane_b32 s3, v13
	ds_load_b32 v1, v1 offset:10240
	s_wait_dscnt 0x0
	global_store_b32 v0, v1, s[2:3] offset:10240 scale_offset
.LBB739_354:
	s_wait_xcnt 0x0
	s_or_b32 exec_lo, exec_lo, s0
	v_or_b32_e32 v1, 0xb00, v0
	s_mov_b32 s0, exec_lo
	s_delay_alu instid0(VALU_DEP_1)
	v_cmpx_gt_u32_e64 s6, v1
	s_cbranch_execz .LBB739_363
; %bb.355:
	s_mov_b32 s1, exec_lo
	v_cmpx_ge_u32_e64 v1, v2
	s_xor_b32 s1, exec_lo, s1
	s_cbranch_execz .LBB739_361
; %bb.356:
	s_mov_b32 s2, exec_lo
	v_cmpx_ge_u32_e64 v1, v14
	s_xor_b32 s2, exec_lo, s2
	s_cbranch_execz .LBB739_358
; %bb.357:
	v_dual_mov_b32 v1, 0 :: v_dual_lshlrev_b32 v15, 2, v0
	s_delay_alu instid0(VALU_DEP_1) | instskip(SKIP_2) | instid1(VALU_DEP_1)
	v_add_nc_u64_e32 v[16:17], v[10:11], v[0:1]
	ds_load_b32 v1, v15 offset:11264
	v_lshlrev_b64_e32 v[16:17], 2, v[16:17]
	v_sub_nc_u64_e32 v[16:17], s[26:27], v[16:17]
	s_wait_dscnt 0x0
	global_store_b32 v[16:17], v1, off offset:-11268
.LBB739_358:
	s_wait_xcnt 0x0
	s_and_not1_saveexec_b32 s2, s2
	s_cbranch_execz .LBB739_360
; %bb.359:
	v_lshlrev_b32_e32 v1, 2, v0
	v_readfirstlane_b32 s4, v4
	v_readfirstlane_b32 s5, v5
	ds_load_b32 v1, v1 offset:11264
	s_wait_dscnt 0x0
	global_store_b32 v0, v1, s[4:5] offset:11264 scale_offset
.LBB739_360:
	s_wait_xcnt 0x0
	s_or_b32 exec_lo, exec_lo, s2
.LBB739_361:
	s_and_not1_saveexec_b32 s1, s1
	s_cbranch_execz .LBB739_363
; %bb.362:
	v_lshlrev_b32_e32 v1, 2, v0
	v_readfirstlane_b32 s2, v12
	v_readfirstlane_b32 s3, v13
	ds_load_b32 v1, v1 offset:11264
	s_wait_dscnt 0x0
	global_store_b32 v0, v1, s[2:3] offset:11264 scale_offset
.LBB739_363:
	s_wait_xcnt 0x0
	s_or_b32 exec_lo, exec_lo, s0
	v_or_b32_e32 v1, 0xc00, v0
	s_mov_b32 s0, exec_lo
	s_delay_alu instid0(VALU_DEP_1)
	v_cmpx_gt_u32_e64 s6, v1
	s_cbranch_execz .LBB739_372
; %bb.364:
	s_mov_b32 s1, exec_lo
	v_cmpx_ge_u32_e64 v1, v2
	s_xor_b32 s1, exec_lo, s1
	s_cbranch_execz .LBB739_370
; %bb.365:
	s_mov_b32 s2, exec_lo
	v_cmpx_ge_u32_e64 v1, v14
	s_xor_b32 s2, exec_lo, s2
	s_cbranch_execz .LBB739_367
; %bb.366:
	v_dual_mov_b32 v1, 0 :: v_dual_lshlrev_b32 v12, 2, v0
	s_delay_alu instid0(VALU_DEP_1) | instskip(SKIP_2) | instid1(VALU_DEP_1)
	v_add_nc_u64_e32 v[4:5], v[10:11], v[0:1]
	ds_load_b32 v1, v12 offset:12288
	v_lshlrev_b64_e32 v[4:5], 2, v[4:5]
	v_sub_nc_u64_e32 v[4:5], s[26:27], v[4:5]
	s_wait_dscnt 0x0
	global_store_b32 v[4:5], v1, off offset:-12292
                                        ; implicit-def: $vgpr4_vgpr5
.LBB739_367:
	s_wait_xcnt 0x0
	s_and_not1_saveexec_b32 s2, s2
	s_cbranch_execz .LBB739_369
; %bb.368:
	v_lshlrev_b32_e32 v1, 2, v0
	v_readfirstlane_b32 s4, v4
	v_readfirstlane_b32 s5, v5
	ds_load_b32 v1, v1 offset:12288
	s_wait_dscnt 0x0
	global_store_b32 v0, v1, s[4:5] offset:12288 scale_offset
.LBB739_369:
	s_wait_xcnt 0x0
	s_or_b32 exec_lo, exec_lo, s2
                                        ; implicit-def: $vgpr12_vgpr13
.LBB739_370:
	s_and_not1_saveexec_b32 s1, s1
	s_cbranch_execz .LBB739_372
; %bb.371:
	v_lshlrev_b32_e32 v1, 2, v0
	v_readfirstlane_b32 s2, v12
	v_readfirstlane_b32 s3, v13
	ds_load_b32 v1, v1 offset:12288
	s_wait_dscnt 0x0
	global_store_b32 v0, v1, s[2:3] offset:12288 scale_offset
.LBB739_372:
	s_wait_xcnt 0x0
	s_or_b32 exec_lo, exec_lo, s0
	v_cmp_eq_u32_e32 vcc_lo, 0, v0
	s_and_b32 s0, vcc_lo, s15
	s_delay_alu instid0(SALU_CYCLE_1)
	s_and_saveexec_b32 s1, s0
	s_cbranch_execz .LBB739_149
.LBB739_373:
	v_add_nc_u64_e32 v[0:1], s[30:31], v[8:9]
	v_add_nc_u64_e32 v[2:3], v[22:23], v[2:3]
	s_delay_alu instid0(VALU_DEP_2)
	v_add_nc_u64_e32 v[4:5], v[0:1], v[6:7]
	v_mov_b32_e32 v0, 0
	global_store_b128 v0, v[2:5], s[24:25]
	s_sendmsg sendmsg(MSG_DEALLOC_VGPRS)
	s_endpgm
	.section	.rodata,"a",@progbits
	.p2align	6, 0x0
	.amdhsa_kernel _ZN7rocprim17ROCPRIM_400000_NS6detail17trampoline_kernelINS0_13select_configILj256ELj13ELNS0_17block_load_methodE3ELS4_3ELS4_3ELNS0_20block_scan_algorithmE0ELj4294967295EEENS1_25partition_config_selectorILNS1_17partition_subalgoE4EjNS0_10empty_typeEbEEZZNS1_14partition_implILS8_4ELb0ES6_15HIP_vector_typeIjLj2EENS0_17counting_iteratorIjlEEPS9_SG_NS0_5tupleIJPjSI_NS0_16reverse_iteratorISI_EEEEENSH_IJSG_SG_SG_EEES9_SI_JZNS1_25segmented_radix_sort_implINS0_14default_configELb0EPKlPlSQ_SR_N2at6native12_GLOBAL__N_18offset_tEEE10hipError_tPvRmT1_PNSt15iterator_traitsISZ_E10value_typeET2_T3_PNS10_IS15_E10value_typeET4_jRbjT5_S1B_jjP12ihipStream_tbEUljE_ZNSN_ISO_Lb0ESQ_SR_SQ_SR_SV_EESW_SX_SY_SZ_S13_S14_S15_S18_S19_jS1A_jS1B_S1B_jjS1D_bEUljE0_EEESW_SX_SY_S15_S19_S1B_T6_T7_T9_mT8_S1D_bDpT10_ENKUlT_T0_E_clISt17integral_constantIbLb0EES1R_EEDaS1M_S1N_EUlS1M_E_NS1_11comp_targetILNS1_3genE0ELNS1_11target_archE4294967295ELNS1_3gpuE0ELNS1_3repE0EEENS1_30default_config_static_selectorELNS0_4arch9wavefront6targetE0EEEvSZ_
		.amdhsa_group_segment_fixed_size 13328
		.amdhsa_private_segment_fixed_size 0
		.amdhsa_kernarg_size 176
		.amdhsa_user_sgpr_count 2
		.amdhsa_user_sgpr_dispatch_ptr 0
		.amdhsa_user_sgpr_queue_ptr 0
		.amdhsa_user_sgpr_kernarg_segment_ptr 1
		.amdhsa_user_sgpr_dispatch_id 0
		.amdhsa_user_sgpr_kernarg_preload_length 0
		.amdhsa_user_sgpr_kernarg_preload_offset 0
		.amdhsa_user_sgpr_private_segment_size 0
		.amdhsa_wavefront_size32 1
		.amdhsa_uses_dynamic_stack 0
		.amdhsa_enable_private_segment 0
		.amdhsa_system_sgpr_workgroup_id_x 1
		.amdhsa_system_sgpr_workgroup_id_y 0
		.amdhsa_system_sgpr_workgroup_id_z 0
		.amdhsa_system_sgpr_workgroup_info 0
		.amdhsa_system_vgpr_workitem_id 0
		.amdhsa_next_free_vgpr 81
		.amdhsa_next_free_sgpr 59
		.amdhsa_named_barrier_count 0
		.amdhsa_reserve_vcc 1
		.amdhsa_float_round_mode_32 0
		.amdhsa_float_round_mode_16_64 0
		.amdhsa_float_denorm_mode_32 3
		.amdhsa_float_denorm_mode_16_64 3
		.amdhsa_fp16_overflow 0
		.amdhsa_memory_ordered 1
		.amdhsa_forward_progress 1
		.amdhsa_inst_pref_size 139
		.amdhsa_round_robin_scheduling 0
		.amdhsa_exception_fp_ieee_invalid_op 0
		.amdhsa_exception_fp_denorm_src 0
		.amdhsa_exception_fp_ieee_div_zero 0
		.amdhsa_exception_fp_ieee_overflow 0
		.amdhsa_exception_fp_ieee_underflow 0
		.amdhsa_exception_fp_ieee_inexact 0
		.amdhsa_exception_int_div_zero 0
	.end_amdhsa_kernel
	.section	.text._ZN7rocprim17ROCPRIM_400000_NS6detail17trampoline_kernelINS0_13select_configILj256ELj13ELNS0_17block_load_methodE3ELS4_3ELS4_3ELNS0_20block_scan_algorithmE0ELj4294967295EEENS1_25partition_config_selectorILNS1_17partition_subalgoE4EjNS0_10empty_typeEbEEZZNS1_14partition_implILS8_4ELb0ES6_15HIP_vector_typeIjLj2EENS0_17counting_iteratorIjlEEPS9_SG_NS0_5tupleIJPjSI_NS0_16reverse_iteratorISI_EEEEENSH_IJSG_SG_SG_EEES9_SI_JZNS1_25segmented_radix_sort_implINS0_14default_configELb0EPKlPlSQ_SR_N2at6native12_GLOBAL__N_18offset_tEEE10hipError_tPvRmT1_PNSt15iterator_traitsISZ_E10value_typeET2_T3_PNS10_IS15_E10value_typeET4_jRbjT5_S1B_jjP12ihipStream_tbEUljE_ZNSN_ISO_Lb0ESQ_SR_SQ_SR_SV_EESW_SX_SY_SZ_S13_S14_S15_S18_S19_jS1A_jS1B_S1B_jjS1D_bEUljE0_EEESW_SX_SY_S15_S19_S1B_T6_T7_T9_mT8_S1D_bDpT10_ENKUlT_T0_E_clISt17integral_constantIbLb0EES1R_EEDaS1M_S1N_EUlS1M_E_NS1_11comp_targetILNS1_3genE0ELNS1_11target_archE4294967295ELNS1_3gpuE0ELNS1_3repE0EEENS1_30default_config_static_selectorELNS0_4arch9wavefront6targetE0EEEvSZ_,"axG",@progbits,_ZN7rocprim17ROCPRIM_400000_NS6detail17trampoline_kernelINS0_13select_configILj256ELj13ELNS0_17block_load_methodE3ELS4_3ELS4_3ELNS0_20block_scan_algorithmE0ELj4294967295EEENS1_25partition_config_selectorILNS1_17partition_subalgoE4EjNS0_10empty_typeEbEEZZNS1_14partition_implILS8_4ELb0ES6_15HIP_vector_typeIjLj2EENS0_17counting_iteratorIjlEEPS9_SG_NS0_5tupleIJPjSI_NS0_16reverse_iteratorISI_EEEEENSH_IJSG_SG_SG_EEES9_SI_JZNS1_25segmented_radix_sort_implINS0_14default_configELb0EPKlPlSQ_SR_N2at6native12_GLOBAL__N_18offset_tEEE10hipError_tPvRmT1_PNSt15iterator_traitsISZ_E10value_typeET2_T3_PNS10_IS15_E10value_typeET4_jRbjT5_S1B_jjP12ihipStream_tbEUljE_ZNSN_ISO_Lb0ESQ_SR_SQ_SR_SV_EESW_SX_SY_SZ_S13_S14_S15_S18_S19_jS1A_jS1B_S1B_jjS1D_bEUljE0_EEESW_SX_SY_S15_S19_S1B_T6_T7_T9_mT8_S1D_bDpT10_ENKUlT_T0_E_clISt17integral_constantIbLb0EES1R_EEDaS1M_S1N_EUlS1M_E_NS1_11comp_targetILNS1_3genE0ELNS1_11target_archE4294967295ELNS1_3gpuE0ELNS1_3repE0EEENS1_30default_config_static_selectorELNS0_4arch9wavefront6targetE0EEEvSZ_,comdat
.Lfunc_end739:
	.size	_ZN7rocprim17ROCPRIM_400000_NS6detail17trampoline_kernelINS0_13select_configILj256ELj13ELNS0_17block_load_methodE3ELS4_3ELS4_3ELNS0_20block_scan_algorithmE0ELj4294967295EEENS1_25partition_config_selectorILNS1_17partition_subalgoE4EjNS0_10empty_typeEbEEZZNS1_14partition_implILS8_4ELb0ES6_15HIP_vector_typeIjLj2EENS0_17counting_iteratorIjlEEPS9_SG_NS0_5tupleIJPjSI_NS0_16reverse_iteratorISI_EEEEENSH_IJSG_SG_SG_EEES9_SI_JZNS1_25segmented_radix_sort_implINS0_14default_configELb0EPKlPlSQ_SR_N2at6native12_GLOBAL__N_18offset_tEEE10hipError_tPvRmT1_PNSt15iterator_traitsISZ_E10value_typeET2_T3_PNS10_IS15_E10value_typeET4_jRbjT5_S1B_jjP12ihipStream_tbEUljE_ZNSN_ISO_Lb0ESQ_SR_SQ_SR_SV_EESW_SX_SY_SZ_S13_S14_S15_S18_S19_jS1A_jS1B_S1B_jjS1D_bEUljE0_EEESW_SX_SY_S15_S19_S1B_T6_T7_T9_mT8_S1D_bDpT10_ENKUlT_T0_E_clISt17integral_constantIbLb0EES1R_EEDaS1M_S1N_EUlS1M_E_NS1_11comp_targetILNS1_3genE0ELNS1_11target_archE4294967295ELNS1_3gpuE0ELNS1_3repE0EEENS1_30default_config_static_selectorELNS0_4arch9wavefront6targetE0EEEvSZ_, .Lfunc_end739-_ZN7rocprim17ROCPRIM_400000_NS6detail17trampoline_kernelINS0_13select_configILj256ELj13ELNS0_17block_load_methodE3ELS4_3ELS4_3ELNS0_20block_scan_algorithmE0ELj4294967295EEENS1_25partition_config_selectorILNS1_17partition_subalgoE4EjNS0_10empty_typeEbEEZZNS1_14partition_implILS8_4ELb0ES6_15HIP_vector_typeIjLj2EENS0_17counting_iteratorIjlEEPS9_SG_NS0_5tupleIJPjSI_NS0_16reverse_iteratorISI_EEEEENSH_IJSG_SG_SG_EEES9_SI_JZNS1_25segmented_radix_sort_implINS0_14default_configELb0EPKlPlSQ_SR_N2at6native12_GLOBAL__N_18offset_tEEE10hipError_tPvRmT1_PNSt15iterator_traitsISZ_E10value_typeET2_T3_PNS10_IS15_E10value_typeET4_jRbjT5_S1B_jjP12ihipStream_tbEUljE_ZNSN_ISO_Lb0ESQ_SR_SQ_SR_SV_EESW_SX_SY_SZ_S13_S14_S15_S18_S19_jS1A_jS1B_S1B_jjS1D_bEUljE0_EEESW_SX_SY_S15_S19_S1B_T6_T7_T9_mT8_S1D_bDpT10_ENKUlT_T0_E_clISt17integral_constantIbLb0EES1R_EEDaS1M_S1N_EUlS1M_E_NS1_11comp_targetILNS1_3genE0ELNS1_11target_archE4294967295ELNS1_3gpuE0ELNS1_3repE0EEENS1_30default_config_static_selectorELNS0_4arch9wavefront6targetE0EEEvSZ_
                                        ; -- End function
	.set _ZN7rocprim17ROCPRIM_400000_NS6detail17trampoline_kernelINS0_13select_configILj256ELj13ELNS0_17block_load_methodE3ELS4_3ELS4_3ELNS0_20block_scan_algorithmE0ELj4294967295EEENS1_25partition_config_selectorILNS1_17partition_subalgoE4EjNS0_10empty_typeEbEEZZNS1_14partition_implILS8_4ELb0ES6_15HIP_vector_typeIjLj2EENS0_17counting_iteratorIjlEEPS9_SG_NS0_5tupleIJPjSI_NS0_16reverse_iteratorISI_EEEEENSH_IJSG_SG_SG_EEES9_SI_JZNS1_25segmented_radix_sort_implINS0_14default_configELb0EPKlPlSQ_SR_N2at6native12_GLOBAL__N_18offset_tEEE10hipError_tPvRmT1_PNSt15iterator_traitsISZ_E10value_typeET2_T3_PNS10_IS15_E10value_typeET4_jRbjT5_S1B_jjP12ihipStream_tbEUljE_ZNSN_ISO_Lb0ESQ_SR_SQ_SR_SV_EESW_SX_SY_SZ_S13_S14_S15_S18_S19_jS1A_jS1B_S1B_jjS1D_bEUljE0_EEESW_SX_SY_S15_S19_S1B_T6_T7_T9_mT8_S1D_bDpT10_ENKUlT_T0_E_clISt17integral_constantIbLb0EES1R_EEDaS1M_S1N_EUlS1M_E_NS1_11comp_targetILNS1_3genE0ELNS1_11target_archE4294967295ELNS1_3gpuE0ELNS1_3repE0EEENS1_30default_config_static_selectorELNS0_4arch9wavefront6targetE0EEEvSZ_.num_vgpr, 81
	.set _ZN7rocprim17ROCPRIM_400000_NS6detail17trampoline_kernelINS0_13select_configILj256ELj13ELNS0_17block_load_methodE3ELS4_3ELS4_3ELNS0_20block_scan_algorithmE0ELj4294967295EEENS1_25partition_config_selectorILNS1_17partition_subalgoE4EjNS0_10empty_typeEbEEZZNS1_14partition_implILS8_4ELb0ES6_15HIP_vector_typeIjLj2EENS0_17counting_iteratorIjlEEPS9_SG_NS0_5tupleIJPjSI_NS0_16reverse_iteratorISI_EEEEENSH_IJSG_SG_SG_EEES9_SI_JZNS1_25segmented_radix_sort_implINS0_14default_configELb0EPKlPlSQ_SR_N2at6native12_GLOBAL__N_18offset_tEEE10hipError_tPvRmT1_PNSt15iterator_traitsISZ_E10value_typeET2_T3_PNS10_IS15_E10value_typeET4_jRbjT5_S1B_jjP12ihipStream_tbEUljE_ZNSN_ISO_Lb0ESQ_SR_SQ_SR_SV_EESW_SX_SY_SZ_S13_S14_S15_S18_S19_jS1A_jS1B_S1B_jjS1D_bEUljE0_EEESW_SX_SY_S15_S19_S1B_T6_T7_T9_mT8_S1D_bDpT10_ENKUlT_T0_E_clISt17integral_constantIbLb0EES1R_EEDaS1M_S1N_EUlS1M_E_NS1_11comp_targetILNS1_3genE0ELNS1_11target_archE4294967295ELNS1_3gpuE0ELNS1_3repE0EEENS1_30default_config_static_selectorELNS0_4arch9wavefront6targetE0EEEvSZ_.num_agpr, 0
	.set _ZN7rocprim17ROCPRIM_400000_NS6detail17trampoline_kernelINS0_13select_configILj256ELj13ELNS0_17block_load_methodE3ELS4_3ELS4_3ELNS0_20block_scan_algorithmE0ELj4294967295EEENS1_25partition_config_selectorILNS1_17partition_subalgoE4EjNS0_10empty_typeEbEEZZNS1_14partition_implILS8_4ELb0ES6_15HIP_vector_typeIjLj2EENS0_17counting_iteratorIjlEEPS9_SG_NS0_5tupleIJPjSI_NS0_16reverse_iteratorISI_EEEEENSH_IJSG_SG_SG_EEES9_SI_JZNS1_25segmented_radix_sort_implINS0_14default_configELb0EPKlPlSQ_SR_N2at6native12_GLOBAL__N_18offset_tEEE10hipError_tPvRmT1_PNSt15iterator_traitsISZ_E10value_typeET2_T3_PNS10_IS15_E10value_typeET4_jRbjT5_S1B_jjP12ihipStream_tbEUljE_ZNSN_ISO_Lb0ESQ_SR_SQ_SR_SV_EESW_SX_SY_SZ_S13_S14_S15_S18_S19_jS1A_jS1B_S1B_jjS1D_bEUljE0_EEESW_SX_SY_S15_S19_S1B_T6_T7_T9_mT8_S1D_bDpT10_ENKUlT_T0_E_clISt17integral_constantIbLb0EES1R_EEDaS1M_S1N_EUlS1M_E_NS1_11comp_targetILNS1_3genE0ELNS1_11target_archE4294967295ELNS1_3gpuE0ELNS1_3repE0EEENS1_30default_config_static_selectorELNS0_4arch9wavefront6targetE0EEEvSZ_.numbered_sgpr, 59
	.set _ZN7rocprim17ROCPRIM_400000_NS6detail17trampoline_kernelINS0_13select_configILj256ELj13ELNS0_17block_load_methodE3ELS4_3ELS4_3ELNS0_20block_scan_algorithmE0ELj4294967295EEENS1_25partition_config_selectorILNS1_17partition_subalgoE4EjNS0_10empty_typeEbEEZZNS1_14partition_implILS8_4ELb0ES6_15HIP_vector_typeIjLj2EENS0_17counting_iteratorIjlEEPS9_SG_NS0_5tupleIJPjSI_NS0_16reverse_iteratorISI_EEEEENSH_IJSG_SG_SG_EEES9_SI_JZNS1_25segmented_radix_sort_implINS0_14default_configELb0EPKlPlSQ_SR_N2at6native12_GLOBAL__N_18offset_tEEE10hipError_tPvRmT1_PNSt15iterator_traitsISZ_E10value_typeET2_T3_PNS10_IS15_E10value_typeET4_jRbjT5_S1B_jjP12ihipStream_tbEUljE_ZNSN_ISO_Lb0ESQ_SR_SQ_SR_SV_EESW_SX_SY_SZ_S13_S14_S15_S18_S19_jS1A_jS1B_S1B_jjS1D_bEUljE0_EEESW_SX_SY_S15_S19_S1B_T6_T7_T9_mT8_S1D_bDpT10_ENKUlT_T0_E_clISt17integral_constantIbLb0EES1R_EEDaS1M_S1N_EUlS1M_E_NS1_11comp_targetILNS1_3genE0ELNS1_11target_archE4294967295ELNS1_3gpuE0ELNS1_3repE0EEENS1_30default_config_static_selectorELNS0_4arch9wavefront6targetE0EEEvSZ_.num_named_barrier, 0
	.set _ZN7rocprim17ROCPRIM_400000_NS6detail17trampoline_kernelINS0_13select_configILj256ELj13ELNS0_17block_load_methodE3ELS4_3ELS4_3ELNS0_20block_scan_algorithmE0ELj4294967295EEENS1_25partition_config_selectorILNS1_17partition_subalgoE4EjNS0_10empty_typeEbEEZZNS1_14partition_implILS8_4ELb0ES6_15HIP_vector_typeIjLj2EENS0_17counting_iteratorIjlEEPS9_SG_NS0_5tupleIJPjSI_NS0_16reverse_iteratorISI_EEEEENSH_IJSG_SG_SG_EEES9_SI_JZNS1_25segmented_radix_sort_implINS0_14default_configELb0EPKlPlSQ_SR_N2at6native12_GLOBAL__N_18offset_tEEE10hipError_tPvRmT1_PNSt15iterator_traitsISZ_E10value_typeET2_T3_PNS10_IS15_E10value_typeET4_jRbjT5_S1B_jjP12ihipStream_tbEUljE_ZNSN_ISO_Lb0ESQ_SR_SQ_SR_SV_EESW_SX_SY_SZ_S13_S14_S15_S18_S19_jS1A_jS1B_S1B_jjS1D_bEUljE0_EEESW_SX_SY_S15_S19_S1B_T6_T7_T9_mT8_S1D_bDpT10_ENKUlT_T0_E_clISt17integral_constantIbLb0EES1R_EEDaS1M_S1N_EUlS1M_E_NS1_11comp_targetILNS1_3genE0ELNS1_11target_archE4294967295ELNS1_3gpuE0ELNS1_3repE0EEENS1_30default_config_static_selectorELNS0_4arch9wavefront6targetE0EEEvSZ_.private_seg_size, 0
	.set _ZN7rocprim17ROCPRIM_400000_NS6detail17trampoline_kernelINS0_13select_configILj256ELj13ELNS0_17block_load_methodE3ELS4_3ELS4_3ELNS0_20block_scan_algorithmE0ELj4294967295EEENS1_25partition_config_selectorILNS1_17partition_subalgoE4EjNS0_10empty_typeEbEEZZNS1_14partition_implILS8_4ELb0ES6_15HIP_vector_typeIjLj2EENS0_17counting_iteratorIjlEEPS9_SG_NS0_5tupleIJPjSI_NS0_16reverse_iteratorISI_EEEEENSH_IJSG_SG_SG_EEES9_SI_JZNS1_25segmented_radix_sort_implINS0_14default_configELb0EPKlPlSQ_SR_N2at6native12_GLOBAL__N_18offset_tEEE10hipError_tPvRmT1_PNSt15iterator_traitsISZ_E10value_typeET2_T3_PNS10_IS15_E10value_typeET4_jRbjT5_S1B_jjP12ihipStream_tbEUljE_ZNSN_ISO_Lb0ESQ_SR_SQ_SR_SV_EESW_SX_SY_SZ_S13_S14_S15_S18_S19_jS1A_jS1B_S1B_jjS1D_bEUljE0_EEESW_SX_SY_S15_S19_S1B_T6_T7_T9_mT8_S1D_bDpT10_ENKUlT_T0_E_clISt17integral_constantIbLb0EES1R_EEDaS1M_S1N_EUlS1M_E_NS1_11comp_targetILNS1_3genE0ELNS1_11target_archE4294967295ELNS1_3gpuE0ELNS1_3repE0EEENS1_30default_config_static_selectorELNS0_4arch9wavefront6targetE0EEEvSZ_.uses_vcc, 1
	.set _ZN7rocprim17ROCPRIM_400000_NS6detail17trampoline_kernelINS0_13select_configILj256ELj13ELNS0_17block_load_methodE3ELS4_3ELS4_3ELNS0_20block_scan_algorithmE0ELj4294967295EEENS1_25partition_config_selectorILNS1_17partition_subalgoE4EjNS0_10empty_typeEbEEZZNS1_14partition_implILS8_4ELb0ES6_15HIP_vector_typeIjLj2EENS0_17counting_iteratorIjlEEPS9_SG_NS0_5tupleIJPjSI_NS0_16reverse_iteratorISI_EEEEENSH_IJSG_SG_SG_EEES9_SI_JZNS1_25segmented_radix_sort_implINS0_14default_configELb0EPKlPlSQ_SR_N2at6native12_GLOBAL__N_18offset_tEEE10hipError_tPvRmT1_PNSt15iterator_traitsISZ_E10value_typeET2_T3_PNS10_IS15_E10value_typeET4_jRbjT5_S1B_jjP12ihipStream_tbEUljE_ZNSN_ISO_Lb0ESQ_SR_SQ_SR_SV_EESW_SX_SY_SZ_S13_S14_S15_S18_S19_jS1A_jS1B_S1B_jjS1D_bEUljE0_EEESW_SX_SY_S15_S19_S1B_T6_T7_T9_mT8_S1D_bDpT10_ENKUlT_T0_E_clISt17integral_constantIbLb0EES1R_EEDaS1M_S1N_EUlS1M_E_NS1_11comp_targetILNS1_3genE0ELNS1_11target_archE4294967295ELNS1_3gpuE0ELNS1_3repE0EEENS1_30default_config_static_selectorELNS0_4arch9wavefront6targetE0EEEvSZ_.uses_flat_scratch, 0
	.set _ZN7rocprim17ROCPRIM_400000_NS6detail17trampoline_kernelINS0_13select_configILj256ELj13ELNS0_17block_load_methodE3ELS4_3ELS4_3ELNS0_20block_scan_algorithmE0ELj4294967295EEENS1_25partition_config_selectorILNS1_17partition_subalgoE4EjNS0_10empty_typeEbEEZZNS1_14partition_implILS8_4ELb0ES6_15HIP_vector_typeIjLj2EENS0_17counting_iteratorIjlEEPS9_SG_NS0_5tupleIJPjSI_NS0_16reverse_iteratorISI_EEEEENSH_IJSG_SG_SG_EEES9_SI_JZNS1_25segmented_radix_sort_implINS0_14default_configELb0EPKlPlSQ_SR_N2at6native12_GLOBAL__N_18offset_tEEE10hipError_tPvRmT1_PNSt15iterator_traitsISZ_E10value_typeET2_T3_PNS10_IS15_E10value_typeET4_jRbjT5_S1B_jjP12ihipStream_tbEUljE_ZNSN_ISO_Lb0ESQ_SR_SQ_SR_SV_EESW_SX_SY_SZ_S13_S14_S15_S18_S19_jS1A_jS1B_S1B_jjS1D_bEUljE0_EEESW_SX_SY_S15_S19_S1B_T6_T7_T9_mT8_S1D_bDpT10_ENKUlT_T0_E_clISt17integral_constantIbLb0EES1R_EEDaS1M_S1N_EUlS1M_E_NS1_11comp_targetILNS1_3genE0ELNS1_11target_archE4294967295ELNS1_3gpuE0ELNS1_3repE0EEENS1_30default_config_static_selectorELNS0_4arch9wavefront6targetE0EEEvSZ_.has_dyn_sized_stack, 0
	.set _ZN7rocprim17ROCPRIM_400000_NS6detail17trampoline_kernelINS0_13select_configILj256ELj13ELNS0_17block_load_methodE3ELS4_3ELS4_3ELNS0_20block_scan_algorithmE0ELj4294967295EEENS1_25partition_config_selectorILNS1_17partition_subalgoE4EjNS0_10empty_typeEbEEZZNS1_14partition_implILS8_4ELb0ES6_15HIP_vector_typeIjLj2EENS0_17counting_iteratorIjlEEPS9_SG_NS0_5tupleIJPjSI_NS0_16reverse_iteratorISI_EEEEENSH_IJSG_SG_SG_EEES9_SI_JZNS1_25segmented_radix_sort_implINS0_14default_configELb0EPKlPlSQ_SR_N2at6native12_GLOBAL__N_18offset_tEEE10hipError_tPvRmT1_PNSt15iterator_traitsISZ_E10value_typeET2_T3_PNS10_IS15_E10value_typeET4_jRbjT5_S1B_jjP12ihipStream_tbEUljE_ZNSN_ISO_Lb0ESQ_SR_SQ_SR_SV_EESW_SX_SY_SZ_S13_S14_S15_S18_S19_jS1A_jS1B_S1B_jjS1D_bEUljE0_EEESW_SX_SY_S15_S19_S1B_T6_T7_T9_mT8_S1D_bDpT10_ENKUlT_T0_E_clISt17integral_constantIbLb0EES1R_EEDaS1M_S1N_EUlS1M_E_NS1_11comp_targetILNS1_3genE0ELNS1_11target_archE4294967295ELNS1_3gpuE0ELNS1_3repE0EEENS1_30default_config_static_selectorELNS0_4arch9wavefront6targetE0EEEvSZ_.has_recursion, 0
	.set _ZN7rocprim17ROCPRIM_400000_NS6detail17trampoline_kernelINS0_13select_configILj256ELj13ELNS0_17block_load_methodE3ELS4_3ELS4_3ELNS0_20block_scan_algorithmE0ELj4294967295EEENS1_25partition_config_selectorILNS1_17partition_subalgoE4EjNS0_10empty_typeEbEEZZNS1_14partition_implILS8_4ELb0ES6_15HIP_vector_typeIjLj2EENS0_17counting_iteratorIjlEEPS9_SG_NS0_5tupleIJPjSI_NS0_16reverse_iteratorISI_EEEEENSH_IJSG_SG_SG_EEES9_SI_JZNS1_25segmented_radix_sort_implINS0_14default_configELb0EPKlPlSQ_SR_N2at6native12_GLOBAL__N_18offset_tEEE10hipError_tPvRmT1_PNSt15iterator_traitsISZ_E10value_typeET2_T3_PNS10_IS15_E10value_typeET4_jRbjT5_S1B_jjP12ihipStream_tbEUljE_ZNSN_ISO_Lb0ESQ_SR_SQ_SR_SV_EESW_SX_SY_SZ_S13_S14_S15_S18_S19_jS1A_jS1B_S1B_jjS1D_bEUljE0_EEESW_SX_SY_S15_S19_S1B_T6_T7_T9_mT8_S1D_bDpT10_ENKUlT_T0_E_clISt17integral_constantIbLb0EES1R_EEDaS1M_S1N_EUlS1M_E_NS1_11comp_targetILNS1_3genE0ELNS1_11target_archE4294967295ELNS1_3gpuE0ELNS1_3repE0EEENS1_30default_config_static_selectorELNS0_4arch9wavefront6targetE0EEEvSZ_.has_indirect_call, 0
	.section	.AMDGPU.csdata,"",@progbits
; Kernel info:
; codeLenInByte = 17784
; TotalNumSgprs: 61
; NumVgprs: 81
; ScratchSize: 0
; MemoryBound: 0
; FloatMode: 240
; IeeeMode: 1
; LDSByteSize: 13328 bytes/workgroup (compile time only)
; SGPRBlocks: 0
; VGPRBlocks: 5
; NumSGPRsForWavesPerEU: 61
; NumVGPRsForWavesPerEU: 81
; NamedBarCnt: 0
; Occupancy: 10
; WaveLimiterHint : 1
; COMPUTE_PGM_RSRC2:SCRATCH_EN: 0
; COMPUTE_PGM_RSRC2:USER_SGPR: 2
; COMPUTE_PGM_RSRC2:TRAP_HANDLER: 0
; COMPUTE_PGM_RSRC2:TGID_X_EN: 1
; COMPUTE_PGM_RSRC2:TGID_Y_EN: 0
; COMPUTE_PGM_RSRC2:TGID_Z_EN: 0
; COMPUTE_PGM_RSRC2:TIDIG_COMP_CNT: 0
	.section	.text._ZN7rocprim17ROCPRIM_400000_NS6detail17trampoline_kernelINS0_13select_configILj256ELj13ELNS0_17block_load_methodE3ELS4_3ELS4_3ELNS0_20block_scan_algorithmE0ELj4294967295EEENS1_25partition_config_selectorILNS1_17partition_subalgoE4EjNS0_10empty_typeEbEEZZNS1_14partition_implILS8_4ELb0ES6_15HIP_vector_typeIjLj2EENS0_17counting_iteratorIjlEEPS9_SG_NS0_5tupleIJPjSI_NS0_16reverse_iteratorISI_EEEEENSH_IJSG_SG_SG_EEES9_SI_JZNS1_25segmented_radix_sort_implINS0_14default_configELb0EPKlPlSQ_SR_N2at6native12_GLOBAL__N_18offset_tEEE10hipError_tPvRmT1_PNSt15iterator_traitsISZ_E10value_typeET2_T3_PNS10_IS15_E10value_typeET4_jRbjT5_S1B_jjP12ihipStream_tbEUljE_ZNSN_ISO_Lb0ESQ_SR_SQ_SR_SV_EESW_SX_SY_SZ_S13_S14_S15_S18_S19_jS1A_jS1B_S1B_jjS1D_bEUljE0_EEESW_SX_SY_S15_S19_S1B_T6_T7_T9_mT8_S1D_bDpT10_ENKUlT_T0_E_clISt17integral_constantIbLb0EES1R_EEDaS1M_S1N_EUlS1M_E_NS1_11comp_targetILNS1_3genE5ELNS1_11target_archE942ELNS1_3gpuE9ELNS1_3repE0EEENS1_30default_config_static_selectorELNS0_4arch9wavefront6targetE0EEEvSZ_,"axG",@progbits,_ZN7rocprim17ROCPRIM_400000_NS6detail17trampoline_kernelINS0_13select_configILj256ELj13ELNS0_17block_load_methodE3ELS4_3ELS4_3ELNS0_20block_scan_algorithmE0ELj4294967295EEENS1_25partition_config_selectorILNS1_17partition_subalgoE4EjNS0_10empty_typeEbEEZZNS1_14partition_implILS8_4ELb0ES6_15HIP_vector_typeIjLj2EENS0_17counting_iteratorIjlEEPS9_SG_NS0_5tupleIJPjSI_NS0_16reverse_iteratorISI_EEEEENSH_IJSG_SG_SG_EEES9_SI_JZNS1_25segmented_radix_sort_implINS0_14default_configELb0EPKlPlSQ_SR_N2at6native12_GLOBAL__N_18offset_tEEE10hipError_tPvRmT1_PNSt15iterator_traitsISZ_E10value_typeET2_T3_PNS10_IS15_E10value_typeET4_jRbjT5_S1B_jjP12ihipStream_tbEUljE_ZNSN_ISO_Lb0ESQ_SR_SQ_SR_SV_EESW_SX_SY_SZ_S13_S14_S15_S18_S19_jS1A_jS1B_S1B_jjS1D_bEUljE0_EEESW_SX_SY_S15_S19_S1B_T6_T7_T9_mT8_S1D_bDpT10_ENKUlT_T0_E_clISt17integral_constantIbLb0EES1R_EEDaS1M_S1N_EUlS1M_E_NS1_11comp_targetILNS1_3genE5ELNS1_11target_archE942ELNS1_3gpuE9ELNS1_3repE0EEENS1_30default_config_static_selectorELNS0_4arch9wavefront6targetE0EEEvSZ_,comdat
	.globl	_ZN7rocprim17ROCPRIM_400000_NS6detail17trampoline_kernelINS0_13select_configILj256ELj13ELNS0_17block_load_methodE3ELS4_3ELS4_3ELNS0_20block_scan_algorithmE0ELj4294967295EEENS1_25partition_config_selectorILNS1_17partition_subalgoE4EjNS0_10empty_typeEbEEZZNS1_14partition_implILS8_4ELb0ES6_15HIP_vector_typeIjLj2EENS0_17counting_iteratorIjlEEPS9_SG_NS0_5tupleIJPjSI_NS0_16reverse_iteratorISI_EEEEENSH_IJSG_SG_SG_EEES9_SI_JZNS1_25segmented_radix_sort_implINS0_14default_configELb0EPKlPlSQ_SR_N2at6native12_GLOBAL__N_18offset_tEEE10hipError_tPvRmT1_PNSt15iterator_traitsISZ_E10value_typeET2_T3_PNS10_IS15_E10value_typeET4_jRbjT5_S1B_jjP12ihipStream_tbEUljE_ZNSN_ISO_Lb0ESQ_SR_SQ_SR_SV_EESW_SX_SY_SZ_S13_S14_S15_S18_S19_jS1A_jS1B_S1B_jjS1D_bEUljE0_EEESW_SX_SY_S15_S19_S1B_T6_T7_T9_mT8_S1D_bDpT10_ENKUlT_T0_E_clISt17integral_constantIbLb0EES1R_EEDaS1M_S1N_EUlS1M_E_NS1_11comp_targetILNS1_3genE5ELNS1_11target_archE942ELNS1_3gpuE9ELNS1_3repE0EEENS1_30default_config_static_selectorELNS0_4arch9wavefront6targetE0EEEvSZ_ ; -- Begin function _ZN7rocprim17ROCPRIM_400000_NS6detail17trampoline_kernelINS0_13select_configILj256ELj13ELNS0_17block_load_methodE3ELS4_3ELS4_3ELNS0_20block_scan_algorithmE0ELj4294967295EEENS1_25partition_config_selectorILNS1_17partition_subalgoE4EjNS0_10empty_typeEbEEZZNS1_14partition_implILS8_4ELb0ES6_15HIP_vector_typeIjLj2EENS0_17counting_iteratorIjlEEPS9_SG_NS0_5tupleIJPjSI_NS0_16reverse_iteratorISI_EEEEENSH_IJSG_SG_SG_EEES9_SI_JZNS1_25segmented_radix_sort_implINS0_14default_configELb0EPKlPlSQ_SR_N2at6native12_GLOBAL__N_18offset_tEEE10hipError_tPvRmT1_PNSt15iterator_traitsISZ_E10value_typeET2_T3_PNS10_IS15_E10value_typeET4_jRbjT5_S1B_jjP12ihipStream_tbEUljE_ZNSN_ISO_Lb0ESQ_SR_SQ_SR_SV_EESW_SX_SY_SZ_S13_S14_S15_S18_S19_jS1A_jS1B_S1B_jjS1D_bEUljE0_EEESW_SX_SY_S15_S19_S1B_T6_T7_T9_mT8_S1D_bDpT10_ENKUlT_T0_E_clISt17integral_constantIbLb0EES1R_EEDaS1M_S1N_EUlS1M_E_NS1_11comp_targetILNS1_3genE5ELNS1_11target_archE942ELNS1_3gpuE9ELNS1_3repE0EEENS1_30default_config_static_selectorELNS0_4arch9wavefront6targetE0EEEvSZ_
	.p2align	8
	.type	_ZN7rocprim17ROCPRIM_400000_NS6detail17trampoline_kernelINS0_13select_configILj256ELj13ELNS0_17block_load_methodE3ELS4_3ELS4_3ELNS0_20block_scan_algorithmE0ELj4294967295EEENS1_25partition_config_selectorILNS1_17partition_subalgoE4EjNS0_10empty_typeEbEEZZNS1_14partition_implILS8_4ELb0ES6_15HIP_vector_typeIjLj2EENS0_17counting_iteratorIjlEEPS9_SG_NS0_5tupleIJPjSI_NS0_16reverse_iteratorISI_EEEEENSH_IJSG_SG_SG_EEES9_SI_JZNS1_25segmented_radix_sort_implINS0_14default_configELb0EPKlPlSQ_SR_N2at6native12_GLOBAL__N_18offset_tEEE10hipError_tPvRmT1_PNSt15iterator_traitsISZ_E10value_typeET2_T3_PNS10_IS15_E10value_typeET4_jRbjT5_S1B_jjP12ihipStream_tbEUljE_ZNSN_ISO_Lb0ESQ_SR_SQ_SR_SV_EESW_SX_SY_SZ_S13_S14_S15_S18_S19_jS1A_jS1B_S1B_jjS1D_bEUljE0_EEESW_SX_SY_S15_S19_S1B_T6_T7_T9_mT8_S1D_bDpT10_ENKUlT_T0_E_clISt17integral_constantIbLb0EES1R_EEDaS1M_S1N_EUlS1M_E_NS1_11comp_targetILNS1_3genE5ELNS1_11target_archE942ELNS1_3gpuE9ELNS1_3repE0EEENS1_30default_config_static_selectorELNS0_4arch9wavefront6targetE0EEEvSZ_,@function
_ZN7rocprim17ROCPRIM_400000_NS6detail17trampoline_kernelINS0_13select_configILj256ELj13ELNS0_17block_load_methodE3ELS4_3ELS4_3ELNS0_20block_scan_algorithmE0ELj4294967295EEENS1_25partition_config_selectorILNS1_17partition_subalgoE4EjNS0_10empty_typeEbEEZZNS1_14partition_implILS8_4ELb0ES6_15HIP_vector_typeIjLj2EENS0_17counting_iteratorIjlEEPS9_SG_NS0_5tupleIJPjSI_NS0_16reverse_iteratorISI_EEEEENSH_IJSG_SG_SG_EEES9_SI_JZNS1_25segmented_radix_sort_implINS0_14default_configELb0EPKlPlSQ_SR_N2at6native12_GLOBAL__N_18offset_tEEE10hipError_tPvRmT1_PNSt15iterator_traitsISZ_E10value_typeET2_T3_PNS10_IS15_E10value_typeET4_jRbjT5_S1B_jjP12ihipStream_tbEUljE_ZNSN_ISO_Lb0ESQ_SR_SQ_SR_SV_EESW_SX_SY_SZ_S13_S14_S15_S18_S19_jS1A_jS1B_S1B_jjS1D_bEUljE0_EEESW_SX_SY_S15_S19_S1B_T6_T7_T9_mT8_S1D_bDpT10_ENKUlT_T0_E_clISt17integral_constantIbLb0EES1R_EEDaS1M_S1N_EUlS1M_E_NS1_11comp_targetILNS1_3genE5ELNS1_11target_archE942ELNS1_3gpuE9ELNS1_3repE0EEENS1_30default_config_static_selectorELNS0_4arch9wavefront6targetE0EEEvSZ_: ; @_ZN7rocprim17ROCPRIM_400000_NS6detail17trampoline_kernelINS0_13select_configILj256ELj13ELNS0_17block_load_methodE3ELS4_3ELS4_3ELNS0_20block_scan_algorithmE0ELj4294967295EEENS1_25partition_config_selectorILNS1_17partition_subalgoE4EjNS0_10empty_typeEbEEZZNS1_14partition_implILS8_4ELb0ES6_15HIP_vector_typeIjLj2EENS0_17counting_iteratorIjlEEPS9_SG_NS0_5tupleIJPjSI_NS0_16reverse_iteratorISI_EEEEENSH_IJSG_SG_SG_EEES9_SI_JZNS1_25segmented_radix_sort_implINS0_14default_configELb0EPKlPlSQ_SR_N2at6native12_GLOBAL__N_18offset_tEEE10hipError_tPvRmT1_PNSt15iterator_traitsISZ_E10value_typeET2_T3_PNS10_IS15_E10value_typeET4_jRbjT5_S1B_jjP12ihipStream_tbEUljE_ZNSN_ISO_Lb0ESQ_SR_SQ_SR_SV_EESW_SX_SY_SZ_S13_S14_S15_S18_S19_jS1A_jS1B_S1B_jjS1D_bEUljE0_EEESW_SX_SY_S15_S19_S1B_T6_T7_T9_mT8_S1D_bDpT10_ENKUlT_T0_E_clISt17integral_constantIbLb0EES1R_EEDaS1M_S1N_EUlS1M_E_NS1_11comp_targetILNS1_3genE5ELNS1_11target_archE942ELNS1_3gpuE9ELNS1_3repE0EEENS1_30default_config_static_selectorELNS0_4arch9wavefront6targetE0EEEvSZ_
; %bb.0:
	.section	.rodata,"a",@progbits
	.p2align	6, 0x0
	.amdhsa_kernel _ZN7rocprim17ROCPRIM_400000_NS6detail17trampoline_kernelINS0_13select_configILj256ELj13ELNS0_17block_load_methodE3ELS4_3ELS4_3ELNS0_20block_scan_algorithmE0ELj4294967295EEENS1_25partition_config_selectorILNS1_17partition_subalgoE4EjNS0_10empty_typeEbEEZZNS1_14partition_implILS8_4ELb0ES6_15HIP_vector_typeIjLj2EENS0_17counting_iteratorIjlEEPS9_SG_NS0_5tupleIJPjSI_NS0_16reverse_iteratorISI_EEEEENSH_IJSG_SG_SG_EEES9_SI_JZNS1_25segmented_radix_sort_implINS0_14default_configELb0EPKlPlSQ_SR_N2at6native12_GLOBAL__N_18offset_tEEE10hipError_tPvRmT1_PNSt15iterator_traitsISZ_E10value_typeET2_T3_PNS10_IS15_E10value_typeET4_jRbjT5_S1B_jjP12ihipStream_tbEUljE_ZNSN_ISO_Lb0ESQ_SR_SQ_SR_SV_EESW_SX_SY_SZ_S13_S14_S15_S18_S19_jS1A_jS1B_S1B_jjS1D_bEUljE0_EEESW_SX_SY_S15_S19_S1B_T6_T7_T9_mT8_S1D_bDpT10_ENKUlT_T0_E_clISt17integral_constantIbLb0EES1R_EEDaS1M_S1N_EUlS1M_E_NS1_11comp_targetILNS1_3genE5ELNS1_11target_archE942ELNS1_3gpuE9ELNS1_3repE0EEENS1_30default_config_static_selectorELNS0_4arch9wavefront6targetE0EEEvSZ_
		.amdhsa_group_segment_fixed_size 0
		.amdhsa_private_segment_fixed_size 0
		.amdhsa_kernarg_size 176
		.amdhsa_user_sgpr_count 2
		.amdhsa_user_sgpr_dispatch_ptr 0
		.amdhsa_user_sgpr_queue_ptr 0
		.amdhsa_user_sgpr_kernarg_segment_ptr 1
		.amdhsa_user_sgpr_dispatch_id 0
		.amdhsa_user_sgpr_kernarg_preload_length 0
		.amdhsa_user_sgpr_kernarg_preload_offset 0
		.amdhsa_user_sgpr_private_segment_size 0
		.amdhsa_wavefront_size32 1
		.amdhsa_uses_dynamic_stack 0
		.amdhsa_enable_private_segment 0
		.amdhsa_system_sgpr_workgroup_id_x 1
		.amdhsa_system_sgpr_workgroup_id_y 0
		.amdhsa_system_sgpr_workgroup_id_z 0
		.amdhsa_system_sgpr_workgroup_info 0
		.amdhsa_system_vgpr_workitem_id 0
		.amdhsa_next_free_vgpr 1
		.amdhsa_next_free_sgpr 1
		.amdhsa_named_barrier_count 0
		.amdhsa_reserve_vcc 0
		.amdhsa_float_round_mode_32 0
		.amdhsa_float_round_mode_16_64 0
		.amdhsa_float_denorm_mode_32 3
		.amdhsa_float_denorm_mode_16_64 3
		.amdhsa_fp16_overflow 0
		.amdhsa_memory_ordered 1
		.amdhsa_forward_progress 1
		.amdhsa_inst_pref_size 0
		.amdhsa_round_robin_scheduling 0
		.amdhsa_exception_fp_ieee_invalid_op 0
		.amdhsa_exception_fp_denorm_src 0
		.amdhsa_exception_fp_ieee_div_zero 0
		.amdhsa_exception_fp_ieee_overflow 0
		.amdhsa_exception_fp_ieee_underflow 0
		.amdhsa_exception_fp_ieee_inexact 0
		.amdhsa_exception_int_div_zero 0
	.end_amdhsa_kernel
	.section	.text._ZN7rocprim17ROCPRIM_400000_NS6detail17trampoline_kernelINS0_13select_configILj256ELj13ELNS0_17block_load_methodE3ELS4_3ELS4_3ELNS0_20block_scan_algorithmE0ELj4294967295EEENS1_25partition_config_selectorILNS1_17partition_subalgoE4EjNS0_10empty_typeEbEEZZNS1_14partition_implILS8_4ELb0ES6_15HIP_vector_typeIjLj2EENS0_17counting_iteratorIjlEEPS9_SG_NS0_5tupleIJPjSI_NS0_16reverse_iteratorISI_EEEEENSH_IJSG_SG_SG_EEES9_SI_JZNS1_25segmented_radix_sort_implINS0_14default_configELb0EPKlPlSQ_SR_N2at6native12_GLOBAL__N_18offset_tEEE10hipError_tPvRmT1_PNSt15iterator_traitsISZ_E10value_typeET2_T3_PNS10_IS15_E10value_typeET4_jRbjT5_S1B_jjP12ihipStream_tbEUljE_ZNSN_ISO_Lb0ESQ_SR_SQ_SR_SV_EESW_SX_SY_SZ_S13_S14_S15_S18_S19_jS1A_jS1B_S1B_jjS1D_bEUljE0_EEESW_SX_SY_S15_S19_S1B_T6_T7_T9_mT8_S1D_bDpT10_ENKUlT_T0_E_clISt17integral_constantIbLb0EES1R_EEDaS1M_S1N_EUlS1M_E_NS1_11comp_targetILNS1_3genE5ELNS1_11target_archE942ELNS1_3gpuE9ELNS1_3repE0EEENS1_30default_config_static_selectorELNS0_4arch9wavefront6targetE0EEEvSZ_,"axG",@progbits,_ZN7rocprim17ROCPRIM_400000_NS6detail17trampoline_kernelINS0_13select_configILj256ELj13ELNS0_17block_load_methodE3ELS4_3ELS4_3ELNS0_20block_scan_algorithmE0ELj4294967295EEENS1_25partition_config_selectorILNS1_17partition_subalgoE4EjNS0_10empty_typeEbEEZZNS1_14partition_implILS8_4ELb0ES6_15HIP_vector_typeIjLj2EENS0_17counting_iteratorIjlEEPS9_SG_NS0_5tupleIJPjSI_NS0_16reverse_iteratorISI_EEEEENSH_IJSG_SG_SG_EEES9_SI_JZNS1_25segmented_radix_sort_implINS0_14default_configELb0EPKlPlSQ_SR_N2at6native12_GLOBAL__N_18offset_tEEE10hipError_tPvRmT1_PNSt15iterator_traitsISZ_E10value_typeET2_T3_PNS10_IS15_E10value_typeET4_jRbjT5_S1B_jjP12ihipStream_tbEUljE_ZNSN_ISO_Lb0ESQ_SR_SQ_SR_SV_EESW_SX_SY_SZ_S13_S14_S15_S18_S19_jS1A_jS1B_S1B_jjS1D_bEUljE0_EEESW_SX_SY_S15_S19_S1B_T6_T7_T9_mT8_S1D_bDpT10_ENKUlT_T0_E_clISt17integral_constantIbLb0EES1R_EEDaS1M_S1N_EUlS1M_E_NS1_11comp_targetILNS1_3genE5ELNS1_11target_archE942ELNS1_3gpuE9ELNS1_3repE0EEENS1_30default_config_static_selectorELNS0_4arch9wavefront6targetE0EEEvSZ_,comdat
.Lfunc_end740:
	.size	_ZN7rocprim17ROCPRIM_400000_NS6detail17trampoline_kernelINS0_13select_configILj256ELj13ELNS0_17block_load_methodE3ELS4_3ELS4_3ELNS0_20block_scan_algorithmE0ELj4294967295EEENS1_25partition_config_selectorILNS1_17partition_subalgoE4EjNS0_10empty_typeEbEEZZNS1_14partition_implILS8_4ELb0ES6_15HIP_vector_typeIjLj2EENS0_17counting_iteratorIjlEEPS9_SG_NS0_5tupleIJPjSI_NS0_16reverse_iteratorISI_EEEEENSH_IJSG_SG_SG_EEES9_SI_JZNS1_25segmented_radix_sort_implINS0_14default_configELb0EPKlPlSQ_SR_N2at6native12_GLOBAL__N_18offset_tEEE10hipError_tPvRmT1_PNSt15iterator_traitsISZ_E10value_typeET2_T3_PNS10_IS15_E10value_typeET4_jRbjT5_S1B_jjP12ihipStream_tbEUljE_ZNSN_ISO_Lb0ESQ_SR_SQ_SR_SV_EESW_SX_SY_SZ_S13_S14_S15_S18_S19_jS1A_jS1B_S1B_jjS1D_bEUljE0_EEESW_SX_SY_S15_S19_S1B_T6_T7_T9_mT8_S1D_bDpT10_ENKUlT_T0_E_clISt17integral_constantIbLb0EES1R_EEDaS1M_S1N_EUlS1M_E_NS1_11comp_targetILNS1_3genE5ELNS1_11target_archE942ELNS1_3gpuE9ELNS1_3repE0EEENS1_30default_config_static_selectorELNS0_4arch9wavefront6targetE0EEEvSZ_, .Lfunc_end740-_ZN7rocprim17ROCPRIM_400000_NS6detail17trampoline_kernelINS0_13select_configILj256ELj13ELNS0_17block_load_methodE3ELS4_3ELS4_3ELNS0_20block_scan_algorithmE0ELj4294967295EEENS1_25partition_config_selectorILNS1_17partition_subalgoE4EjNS0_10empty_typeEbEEZZNS1_14partition_implILS8_4ELb0ES6_15HIP_vector_typeIjLj2EENS0_17counting_iteratorIjlEEPS9_SG_NS0_5tupleIJPjSI_NS0_16reverse_iteratorISI_EEEEENSH_IJSG_SG_SG_EEES9_SI_JZNS1_25segmented_radix_sort_implINS0_14default_configELb0EPKlPlSQ_SR_N2at6native12_GLOBAL__N_18offset_tEEE10hipError_tPvRmT1_PNSt15iterator_traitsISZ_E10value_typeET2_T3_PNS10_IS15_E10value_typeET4_jRbjT5_S1B_jjP12ihipStream_tbEUljE_ZNSN_ISO_Lb0ESQ_SR_SQ_SR_SV_EESW_SX_SY_SZ_S13_S14_S15_S18_S19_jS1A_jS1B_S1B_jjS1D_bEUljE0_EEESW_SX_SY_S15_S19_S1B_T6_T7_T9_mT8_S1D_bDpT10_ENKUlT_T0_E_clISt17integral_constantIbLb0EES1R_EEDaS1M_S1N_EUlS1M_E_NS1_11comp_targetILNS1_3genE5ELNS1_11target_archE942ELNS1_3gpuE9ELNS1_3repE0EEENS1_30default_config_static_selectorELNS0_4arch9wavefront6targetE0EEEvSZ_
                                        ; -- End function
	.set _ZN7rocprim17ROCPRIM_400000_NS6detail17trampoline_kernelINS0_13select_configILj256ELj13ELNS0_17block_load_methodE3ELS4_3ELS4_3ELNS0_20block_scan_algorithmE0ELj4294967295EEENS1_25partition_config_selectorILNS1_17partition_subalgoE4EjNS0_10empty_typeEbEEZZNS1_14partition_implILS8_4ELb0ES6_15HIP_vector_typeIjLj2EENS0_17counting_iteratorIjlEEPS9_SG_NS0_5tupleIJPjSI_NS0_16reverse_iteratorISI_EEEEENSH_IJSG_SG_SG_EEES9_SI_JZNS1_25segmented_radix_sort_implINS0_14default_configELb0EPKlPlSQ_SR_N2at6native12_GLOBAL__N_18offset_tEEE10hipError_tPvRmT1_PNSt15iterator_traitsISZ_E10value_typeET2_T3_PNS10_IS15_E10value_typeET4_jRbjT5_S1B_jjP12ihipStream_tbEUljE_ZNSN_ISO_Lb0ESQ_SR_SQ_SR_SV_EESW_SX_SY_SZ_S13_S14_S15_S18_S19_jS1A_jS1B_S1B_jjS1D_bEUljE0_EEESW_SX_SY_S15_S19_S1B_T6_T7_T9_mT8_S1D_bDpT10_ENKUlT_T0_E_clISt17integral_constantIbLb0EES1R_EEDaS1M_S1N_EUlS1M_E_NS1_11comp_targetILNS1_3genE5ELNS1_11target_archE942ELNS1_3gpuE9ELNS1_3repE0EEENS1_30default_config_static_selectorELNS0_4arch9wavefront6targetE0EEEvSZ_.num_vgpr, 0
	.set _ZN7rocprim17ROCPRIM_400000_NS6detail17trampoline_kernelINS0_13select_configILj256ELj13ELNS0_17block_load_methodE3ELS4_3ELS4_3ELNS0_20block_scan_algorithmE0ELj4294967295EEENS1_25partition_config_selectorILNS1_17partition_subalgoE4EjNS0_10empty_typeEbEEZZNS1_14partition_implILS8_4ELb0ES6_15HIP_vector_typeIjLj2EENS0_17counting_iteratorIjlEEPS9_SG_NS0_5tupleIJPjSI_NS0_16reverse_iteratorISI_EEEEENSH_IJSG_SG_SG_EEES9_SI_JZNS1_25segmented_radix_sort_implINS0_14default_configELb0EPKlPlSQ_SR_N2at6native12_GLOBAL__N_18offset_tEEE10hipError_tPvRmT1_PNSt15iterator_traitsISZ_E10value_typeET2_T3_PNS10_IS15_E10value_typeET4_jRbjT5_S1B_jjP12ihipStream_tbEUljE_ZNSN_ISO_Lb0ESQ_SR_SQ_SR_SV_EESW_SX_SY_SZ_S13_S14_S15_S18_S19_jS1A_jS1B_S1B_jjS1D_bEUljE0_EEESW_SX_SY_S15_S19_S1B_T6_T7_T9_mT8_S1D_bDpT10_ENKUlT_T0_E_clISt17integral_constantIbLb0EES1R_EEDaS1M_S1N_EUlS1M_E_NS1_11comp_targetILNS1_3genE5ELNS1_11target_archE942ELNS1_3gpuE9ELNS1_3repE0EEENS1_30default_config_static_selectorELNS0_4arch9wavefront6targetE0EEEvSZ_.num_agpr, 0
	.set _ZN7rocprim17ROCPRIM_400000_NS6detail17trampoline_kernelINS0_13select_configILj256ELj13ELNS0_17block_load_methodE3ELS4_3ELS4_3ELNS0_20block_scan_algorithmE0ELj4294967295EEENS1_25partition_config_selectorILNS1_17partition_subalgoE4EjNS0_10empty_typeEbEEZZNS1_14partition_implILS8_4ELb0ES6_15HIP_vector_typeIjLj2EENS0_17counting_iteratorIjlEEPS9_SG_NS0_5tupleIJPjSI_NS0_16reverse_iteratorISI_EEEEENSH_IJSG_SG_SG_EEES9_SI_JZNS1_25segmented_radix_sort_implINS0_14default_configELb0EPKlPlSQ_SR_N2at6native12_GLOBAL__N_18offset_tEEE10hipError_tPvRmT1_PNSt15iterator_traitsISZ_E10value_typeET2_T3_PNS10_IS15_E10value_typeET4_jRbjT5_S1B_jjP12ihipStream_tbEUljE_ZNSN_ISO_Lb0ESQ_SR_SQ_SR_SV_EESW_SX_SY_SZ_S13_S14_S15_S18_S19_jS1A_jS1B_S1B_jjS1D_bEUljE0_EEESW_SX_SY_S15_S19_S1B_T6_T7_T9_mT8_S1D_bDpT10_ENKUlT_T0_E_clISt17integral_constantIbLb0EES1R_EEDaS1M_S1N_EUlS1M_E_NS1_11comp_targetILNS1_3genE5ELNS1_11target_archE942ELNS1_3gpuE9ELNS1_3repE0EEENS1_30default_config_static_selectorELNS0_4arch9wavefront6targetE0EEEvSZ_.numbered_sgpr, 0
	.set _ZN7rocprim17ROCPRIM_400000_NS6detail17trampoline_kernelINS0_13select_configILj256ELj13ELNS0_17block_load_methodE3ELS4_3ELS4_3ELNS0_20block_scan_algorithmE0ELj4294967295EEENS1_25partition_config_selectorILNS1_17partition_subalgoE4EjNS0_10empty_typeEbEEZZNS1_14partition_implILS8_4ELb0ES6_15HIP_vector_typeIjLj2EENS0_17counting_iteratorIjlEEPS9_SG_NS0_5tupleIJPjSI_NS0_16reverse_iteratorISI_EEEEENSH_IJSG_SG_SG_EEES9_SI_JZNS1_25segmented_radix_sort_implINS0_14default_configELb0EPKlPlSQ_SR_N2at6native12_GLOBAL__N_18offset_tEEE10hipError_tPvRmT1_PNSt15iterator_traitsISZ_E10value_typeET2_T3_PNS10_IS15_E10value_typeET4_jRbjT5_S1B_jjP12ihipStream_tbEUljE_ZNSN_ISO_Lb0ESQ_SR_SQ_SR_SV_EESW_SX_SY_SZ_S13_S14_S15_S18_S19_jS1A_jS1B_S1B_jjS1D_bEUljE0_EEESW_SX_SY_S15_S19_S1B_T6_T7_T9_mT8_S1D_bDpT10_ENKUlT_T0_E_clISt17integral_constantIbLb0EES1R_EEDaS1M_S1N_EUlS1M_E_NS1_11comp_targetILNS1_3genE5ELNS1_11target_archE942ELNS1_3gpuE9ELNS1_3repE0EEENS1_30default_config_static_selectorELNS0_4arch9wavefront6targetE0EEEvSZ_.num_named_barrier, 0
	.set _ZN7rocprim17ROCPRIM_400000_NS6detail17trampoline_kernelINS0_13select_configILj256ELj13ELNS0_17block_load_methodE3ELS4_3ELS4_3ELNS0_20block_scan_algorithmE0ELj4294967295EEENS1_25partition_config_selectorILNS1_17partition_subalgoE4EjNS0_10empty_typeEbEEZZNS1_14partition_implILS8_4ELb0ES6_15HIP_vector_typeIjLj2EENS0_17counting_iteratorIjlEEPS9_SG_NS0_5tupleIJPjSI_NS0_16reverse_iteratorISI_EEEEENSH_IJSG_SG_SG_EEES9_SI_JZNS1_25segmented_radix_sort_implINS0_14default_configELb0EPKlPlSQ_SR_N2at6native12_GLOBAL__N_18offset_tEEE10hipError_tPvRmT1_PNSt15iterator_traitsISZ_E10value_typeET2_T3_PNS10_IS15_E10value_typeET4_jRbjT5_S1B_jjP12ihipStream_tbEUljE_ZNSN_ISO_Lb0ESQ_SR_SQ_SR_SV_EESW_SX_SY_SZ_S13_S14_S15_S18_S19_jS1A_jS1B_S1B_jjS1D_bEUljE0_EEESW_SX_SY_S15_S19_S1B_T6_T7_T9_mT8_S1D_bDpT10_ENKUlT_T0_E_clISt17integral_constantIbLb0EES1R_EEDaS1M_S1N_EUlS1M_E_NS1_11comp_targetILNS1_3genE5ELNS1_11target_archE942ELNS1_3gpuE9ELNS1_3repE0EEENS1_30default_config_static_selectorELNS0_4arch9wavefront6targetE0EEEvSZ_.private_seg_size, 0
	.set _ZN7rocprim17ROCPRIM_400000_NS6detail17trampoline_kernelINS0_13select_configILj256ELj13ELNS0_17block_load_methodE3ELS4_3ELS4_3ELNS0_20block_scan_algorithmE0ELj4294967295EEENS1_25partition_config_selectorILNS1_17partition_subalgoE4EjNS0_10empty_typeEbEEZZNS1_14partition_implILS8_4ELb0ES6_15HIP_vector_typeIjLj2EENS0_17counting_iteratorIjlEEPS9_SG_NS0_5tupleIJPjSI_NS0_16reverse_iteratorISI_EEEEENSH_IJSG_SG_SG_EEES9_SI_JZNS1_25segmented_radix_sort_implINS0_14default_configELb0EPKlPlSQ_SR_N2at6native12_GLOBAL__N_18offset_tEEE10hipError_tPvRmT1_PNSt15iterator_traitsISZ_E10value_typeET2_T3_PNS10_IS15_E10value_typeET4_jRbjT5_S1B_jjP12ihipStream_tbEUljE_ZNSN_ISO_Lb0ESQ_SR_SQ_SR_SV_EESW_SX_SY_SZ_S13_S14_S15_S18_S19_jS1A_jS1B_S1B_jjS1D_bEUljE0_EEESW_SX_SY_S15_S19_S1B_T6_T7_T9_mT8_S1D_bDpT10_ENKUlT_T0_E_clISt17integral_constantIbLb0EES1R_EEDaS1M_S1N_EUlS1M_E_NS1_11comp_targetILNS1_3genE5ELNS1_11target_archE942ELNS1_3gpuE9ELNS1_3repE0EEENS1_30default_config_static_selectorELNS0_4arch9wavefront6targetE0EEEvSZ_.uses_vcc, 0
	.set _ZN7rocprim17ROCPRIM_400000_NS6detail17trampoline_kernelINS0_13select_configILj256ELj13ELNS0_17block_load_methodE3ELS4_3ELS4_3ELNS0_20block_scan_algorithmE0ELj4294967295EEENS1_25partition_config_selectorILNS1_17partition_subalgoE4EjNS0_10empty_typeEbEEZZNS1_14partition_implILS8_4ELb0ES6_15HIP_vector_typeIjLj2EENS0_17counting_iteratorIjlEEPS9_SG_NS0_5tupleIJPjSI_NS0_16reverse_iteratorISI_EEEEENSH_IJSG_SG_SG_EEES9_SI_JZNS1_25segmented_radix_sort_implINS0_14default_configELb0EPKlPlSQ_SR_N2at6native12_GLOBAL__N_18offset_tEEE10hipError_tPvRmT1_PNSt15iterator_traitsISZ_E10value_typeET2_T3_PNS10_IS15_E10value_typeET4_jRbjT5_S1B_jjP12ihipStream_tbEUljE_ZNSN_ISO_Lb0ESQ_SR_SQ_SR_SV_EESW_SX_SY_SZ_S13_S14_S15_S18_S19_jS1A_jS1B_S1B_jjS1D_bEUljE0_EEESW_SX_SY_S15_S19_S1B_T6_T7_T9_mT8_S1D_bDpT10_ENKUlT_T0_E_clISt17integral_constantIbLb0EES1R_EEDaS1M_S1N_EUlS1M_E_NS1_11comp_targetILNS1_3genE5ELNS1_11target_archE942ELNS1_3gpuE9ELNS1_3repE0EEENS1_30default_config_static_selectorELNS0_4arch9wavefront6targetE0EEEvSZ_.uses_flat_scratch, 0
	.set _ZN7rocprim17ROCPRIM_400000_NS6detail17trampoline_kernelINS0_13select_configILj256ELj13ELNS0_17block_load_methodE3ELS4_3ELS4_3ELNS0_20block_scan_algorithmE0ELj4294967295EEENS1_25partition_config_selectorILNS1_17partition_subalgoE4EjNS0_10empty_typeEbEEZZNS1_14partition_implILS8_4ELb0ES6_15HIP_vector_typeIjLj2EENS0_17counting_iteratorIjlEEPS9_SG_NS0_5tupleIJPjSI_NS0_16reverse_iteratorISI_EEEEENSH_IJSG_SG_SG_EEES9_SI_JZNS1_25segmented_radix_sort_implINS0_14default_configELb0EPKlPlSQ_SR_N2at6native12_GLOBAL__N_18offset_tEEE10hipError_tPvRmT1_PNSt15iterator_traitsISZ_E10value_typeET2_T3_PNS10_IS15_E10value_typeET4_jRbjT5_S1B_jjP12ihipStream_tbEUljE_ZNSN_ISO_Lb0ESQ_SR_SQ_SR_SV_EESW_SX_SY_SZ_S13_S14_S15_S18_S19_jS1A_jS1B_S1B_jjS1D_bEUljE0_EEESW_SX_SY_S15_S19_S1B_T6_T7_T9_mT8_S1D_bDpT10_ENKUlT_T0_E_clISt17integral_constantIbLb0EES1R_EEDaS1M_S1N_EUlS1M_E_NS1_11comp_targetILNS1_3genE5ELNS1_11target_archE942ELNS1_3gpuE9ELNS1_3repE0EEENS1_30default_config_static_selectorELNS0_4arch9wavefront6targetE0EEEvSZ_.has_dyn_sized_stack, 0
	.set _ZN7rocprim17ROCPRIM_400000_NS6detail17trampoline_kernelINS0_13select_configILj256ELj13ELNS0_17block_load_methodE3ELS4_3ELS4_3ELNS0_20block_scan_algorithmE0ELj4294967295EEENS1_25partition_config_selectorILNS1_17partition_subalgoE4EjNS0_10empty_typeEbEEZZNS1_14partition_implILS8_4ELb0ES6_15HIP_vector_typeIjLj2EENS0_17counting_iteratorIjlEEPS9_SG_NS0_5tupleIJPjSI_NS0_16reverse_iteratorISI_EEEEENSH_IJSG_SG_SG_EEES9_SI_JZNS1_25segmented_radix_sort_implINS0_14default_configELb0EPKlPlSQ_SR_N2at6native12_GLOBAL__N_18offset_tEEE10hipError_tPvRmT1_PNSt15iterator_traitsISZ_E10value_typeET2_T3_PNS10_IS15_E10value_typeET4_jRbjT5_S1B_jjP12ihipStream_tbEUljE_ZNSN_ISO_Lb0ESQ_SR_SQ_SR_SV_EESW_SX_SY_SZ_S13_S14_S15_S18_S19_jS1A_jS1B_S1B_jjS1D_bEUljE0_EEESW_SX_SY_S15_S19_S1B_T6_T7_T9_mT8_S1D_bDpT10_ENKUlT_T0_E_clISt17integral_constantIbLb0EES1R_EEDaS1M_S1N_EUlS1M_E_NS1_11comp_targetILNS1_3genE5ELNS1_11target_archE942ELNS1_3gpuE9ELNS1_3repE0EEENS1_30default_config_static_selectorELNS0_4arch9wavefront6targetE0EEEvSZ_.has_recursion, 0
	.set _ZN7rocprim17ROCPRIM_400000_NS6detail17trampoline_kernelINS0_13select_configILj256ELj13ELNS0_17block_load_methodE3ELS4_3ELS4_3ELNS0_20block_scan_algorithmE0ELj4294967295EEENS1_25partition_config_selectorILNS1_17partition_subalgoE4EjNS0_10empty_typeEbEEZZNS1_14partition_implILS8_4ELb0ES6_15HIP_vector_typeIjLj2EENS0_17counting_iteratorIjlEEPS9_SG_NS0_5tupleIJPjSI_NS0_16reverse_iteratorISI_EEEEENSH_IJSG_SG_SG_EEES9_SI_JZNS1_25segmented_radix_sort_implINS0_14default_configELb0EPKlPlSQ_SR_N2at6native12_GLOBAL__N_18offset_tEEE10hipError_tPvRmT1_PNSt15iterator_traitsISZ_E10value_typeET2_T3_PNS10_IS15_E10value_typeET4_jRbjT5_S1B_jjP12ihipStream_tbEUljE_ZNSN_ISO_Lb0ESQ_SR_SQ_SR_SV_EESW_SX_SY_SZ_S13_S14_S15_S18_S19_jS1A_jS1B_S1B_jjS1D_bEUljE0_EEESW_SX_SY_S15_S19_S1B_T6_T7_T9_mT8_S1D_bDpT10_ENKUlT_T0_E_clISt17integral_constantIbLb0EES1R_EEDaS1M_S1N_EUlS1M_E_NS1_11comp_targetILNS1_3genE5ELNS1_11target_archE942ELNS1_3gpuE9ELNS1_3repE0EEENS1_30default_config_static_selectorELNS0_4arch9wavefront6targetE0EEEvSZ_.has_indirect_call, 0
	.section	.AMDGPU.csdata,"",@progbits
; Kernel info:
; codeLenInByte = 0
; TotalNumSgprs: 0
; NumVgprs: 0
; ScratchSize: 0
; MemoryBound: 0
; FloatMode: 240
; IeeeMode: 1
; LDSByteSize: 0 bytes/workgroup (compile time only)
; SGPRBlocks: 0
; VGPRBlocks: 0
; NumSGPRsForWavesPerEU: 1
; NumVGPRsForWavesPerEU: 1
; NamedBarCnt: 0
; Occupancy: 16
; WaveLimiterHint : 0
; COMPUTE_PGM_RSRC2:SCRATCH_EN: 0
; COMPUTE_PGM_RSRC2:USER_SGPR: 2
; COMPUTE_PGM_RSRC2:TRAP_HANDLER: 0
; COMPUTE_PGM_RSRC2:TGID_X_EN: 1
; COMPUTE_PGM_RSRC2:TGID_Y_EN: 0
; COMPUTE_PGM_RSRC2:TGID_Z_EN: 0
; COMPUTE_PGM_RSRC2:TIDIG_COMP_CNT: 0
	.section	.text._ZN7rocprim17ROCPRIM_400000_NS6detail17trampoline_kernelINS0_13select_configILj256ELj13ELNS0_17block_load_methodE3ELS4_3ELS4_3ELNS0_20block_scan_algorithmE0ELj4294967295EEENS1_25partition_config_selectorILNS1_17partition_subalgoE4EjNS0_10empty_typeEbEEZZNS1_14partition_implILS8_4ELb0ES6_15HIP_vector_typeIjLj2EENS0_17counting_iteratorIjlEEPS9_SG_NS0_5tupleIJPjSI_NS0_16reverse_iteratorISI_EEEEENSH_IJSG_SG_SG_EEES9_SI_JZNS1_25segmented_radix_sort_implINS0_14default_configELb0EPKlPlSQ_SR_N2at6native12_GLOBAL__N_18offset_tEEE10hipError_tPvRmT1_PNSt15iterator_traitsISZ_E10value_typeET2_T3_PNS10_IS15_E10value_typeET4_jRbjT5_S1B_jjP12ihipStream_tbEUljE_ZNSN_ISO_Lb0ESQ_SR_SQ_SR_SV_EESW_SX_SY_SZ_S13_S14_S15_S18_S19_jS1A_jS1B_S1B_jjS1D_bEUljE0_EEESW_SX_SY_S15_S19_S1B_T6_T7_T9_mT8_S1D_bDpT10_ENKUlT_T0_E_clISt17integral_constantIbLb0EES1R_EEDaS1M_S1N_EUlS1M_E_NS1_11comp_targetILNS1_3genE4ELNS1_11target_archE910ELNS1_3gpuE8ELNS1_3repE0EEENS1_30default_config_static_selectorELNS0_4arch9wavefront6targetE0EEEvSZ_,"axG",@progbits,_ZN7rocprim17ROCPRIM_400000_NS6detail17trampoline_kernelINS0_13select_configILj256ELj13ELNS0_17block_load_methodE3ELS4_3ELS4_3ELNS0_20block_scan_algorithmE0ELj4294967295EEENS1_25partition_config_selectorILNS1_17partition_subalgoE4EjNS0_10empty_typeEbEEZZNS1_14partition_implILS8_4ELb0ES6_15HIP_vector_typeIjLj2EENS0_17counting_iteratorIjlEEPS9_SG_NS0_5tupleIJPjSI_NS0_16reverse_iteratorISI_EEEEENSH_IJSG_SG_SG_EEES9_SI_JZNS1_25segmented_radix_sort_implINS0_14default_configELb0EPKlPlSQ_SR_N2at6native12_GLOBAL__N_18offset_tEEE10hipError_tPvRmT1_PNSt15iterator_traitsISZ_E10value_typeET2_T3_PNS10_IS15_E10value_typeET4_jRbjT5_S1B_jjP12ihipStream_tbEUljE_ZNSN_ISO_Lb0ESQ_SR_SQ_SR_SV_EESW_SX_SY_SZ_S13_S14_S15_S18_S19_jS1A_jS1B_S1B_jjS1D_bEUljE0_EEESW_SX_SY_S15_S19_S1B_T6_T7_T9_mT8_S1D_bDpT10_ENKUlT_T0_E_clISt17integral_constantIbLb0EES1R_EEDaS1M_S1N_EUlS1M_E_NS1_11comp_targetILNS1_3genE4ELNS1_11target_archE910ELNS1_3gpuE8ELNS1_3repE0EEENS1_30default_config_static_selectorELNS0_4arch9wavefront6targetE0EEEvSZ_,comdat
	.globl	_ZN7rocprim17ROCPRIM_400000_NS6detail17trampoline_kernelINS0_13select_configILj256ELj13ELNS0_17block_load_methodE3ELS4_3ELS4_3ELNS0_20block_scan_algorithmE0ELj4294967295EEENS1_25partition_config_selectorILNS1_17partition_subalgoE4EjNS0_10empty_typeEbEEZZNS1_14partition_implILS8_4ELb0ES6_15HIP_vector_typeIjLj2EENS0_17counting_iteratorIjlEEPS9_SG_NS0_5tupleIJPjSI_NS0_16reverse_iteratorISI_EEEEENSH_IJSG_SG_SG_EEES9_SI_JZNS1_25segmented_radix_sort_implINS0_14default_configELb0EPKlPlSQ_SR_N2at6native12_GLOBAL__N_18offset_tEEE10hipError_tPvRmT1_PNSt15iterator_traitsISZ_E10value_typeET2_T3_PNS10_IS15_E10value_typeET4_jRbjT5_S1B_jjP12ihipStream_tbEUljE_ZNSN_ISO_Lb0ESQ_SR_SQ_SR_SV_EESW_SX_SY_SZ_S13_S14_S15_S18_S19_jS1A_jS1B_S1B_jjS1D_bEUljE0_EEESW_SX_SY_S15_S19_S1B_T6_T7_T9_mT8_S1D_bDpT10_ENKUlT_T0_E_clISt17integral_constantIbLb0EES1R_EEDaS1M_S1N_EUlS1M_E_NS1_11comp_targetILNS1_3genE4ELNS1_11target_archE910ELNS1_3gpuE8ELNS1_3repE0EEENS1_30default_config_static_selectorELNS0_4arch9wavefront6targetE0EEEvSZ_ ; -- Begin function _ZN7rocprim17ROCPRIM_400000_NS6detail17trampoline_kernelINS0_13select_configILj256ELj13ELNS0_17block_load_methodE3ELS4_3ELS4_3ELNS0_20block_scan_algorithmE0ELj4294967295EEENS1_25partition_config_selectorILNS1_17partition_subalgoE4EjNS0_10empty_typeEbEEZZNS1_14partition_implILS8_4ELb0ES6_15HIP_vector_typeIjLj2EENS0_17counting_iteratorIjlEEPS9_SG_NS0_5tupleIJPjSI_NS0_16reverse_iteratorISI_EEEEENSH_IJSG_SG_SG_EEES9_SI_JZNS1_25segmented_radix_sort_implINS0_14default_configELb0EPKlPlSQ_SR_N2at6native12_GLOBAL__N_18offset_tEEE10hipError_tPvRmT1_PNSt15iterator_traitsISZ_E10value_typeET2_T3_PNS10_IS15_E10value_typeET4_jRbjT5_S1B_jjP12ihipStream_tbEUljE_ZNSN_ISO_Lb0ESQ_SR_SQ_SR_SV_EESW_SX_SY_SZ_S13_S14_S15_S18_S19_jS1A_jS1B_S1B_jjS1D_bEUljE0_EEESW_SX_SY_S15_S19_S1B_T6_T7_T9_mT8_S1D_bDpT10_ENKUlT_T0_E_clISt17integral_constantIbLb0EES1R_EEDaS1M_S1N_EUlS1M_E_NS1_11comp_targetILNS1_3genE4ELNS1_11target_archE910ELNS1_3gpuE8ELNS1_3repE0EEENS1_30default_config_static_selectorELNS0_4arch9wavefront6targetE0EEEvSZ_
	.p2align	8
	.type	_ZN7rocprim17ROCPRIM_400000_NS6detail17trampoline_kernelINS0_13select_configILj256ELj13ELNS0_17block_load_methodE3ELS4_3ELS4_3ELNS0_20block_scan_algorithmE0ELj4294967295EEENS1_25partition_config_selectorILNS1_17partition_subalgoE4EjNS0_10empty_typeEbEEZZNS1_14partition_implILS8_4ELb0ES6_15HIP_vector_typeIjLj2EENS0_17counting_iteratorIjlEEPS9_SG_NS0_5tupleIJPjSI_NS0_16reverse_iteratorISI_EEEEENSH_IJSG_SG_SG_EEES9_SI_JZNS1_25segmented_radix_sort_implINS0_14default_configELb0EPKlPlSQ_SR_N2at6native12_GLOBAL__N_18offset_tEEE10hipError_tPvRmT1_PNSt15iterator_traitsISZ_E10value_typeET2_T3_PNS10_IS15_E10value_typeET4_jRbjT5_S1B_jjP12ihipStream_tbEUljE_ZNSN_ISO_Lb0ESQ_SR_SQ_SR_SV_EESW_SX_SY_SZ_S13_S14_S15_S18_S19_jS1A_jS1B_S1B_jjS1D_bEUljE0_EEESW_SX_SY_S15_S19_S1B_T6_T7_T9_mT8_S1D_bDpT10_ENKUlT_T0_E_clISt17integral_constantIbLb0EES1R_EEDaS1M_S1N_EUlS1M_E_NS1_11comp_targetILNS1_3genE4ELNS1_11target_archE910ELNS1_3gpuE8ELNS1_3repE0EEENS1_30default_config_static_selectorELNS0_4arch9wavefront6targetE0EEEvSZ_,@function
_ZN7rocprim17ROCPRIM_400000_NS6detail17trampoline_kernelINS0_13select_configILj256ELj13ELNS0_17block_load_methodE3ELS4_3ELS4_3ELNS0_20block_scan_algorithmE0ELj4294967295EEENS1_25partition_config_selectorILNS1_17partition_subalgoE4EjNS0_10empty_typeEbEEZZNS1_14partition_implILS8_4ELb0ES6_15HIP_vector_typeIjLj2EENS0_17counting_iteratorIjlEEPS9_SG_NS0_5tupleIJPjSI_NS0_16reverse_iteratorISI_EEEEENSH_IJSG_SG_SG_EEES9_SI_JZNS1_25segmented_radix_sort_implINS0_14default_configELb0EPKlPlSQ_SR_N2at6native12_GLOBAL__N_18offset_tEEE10hipError_tPvRmT1_PNSt15iterator_traitsISZ_E10value_typeET2_T3_PNS10_IS15_E10value_typeET4_jRbjT5_S1B_jjP12ihipStream_tbEUljE_ZNSN_ISO_Lb0ESQ_SR_SQ_SR_SV_EESW_SX_SY_SZ_S13_S14_S15_S18_S19_jS1A_jS1B_S1B_jjS1D_bEUljE0_EEESW_SX_SY_S15_S19_S1B_T6_T7_T9_mT8_S1D_bDpT10_ENKUlT_T0_E_clISt17integral_constantIbLb0EES1R_EEDaS1M_S1N_EUlS1M_E_NS1_11comp_targetILNS1_3genE4ELNS1_11target_archE910ELNS1_3gpuE8ELNS1_3repE0EEENS1_30default_config_static_selectorELNS0_4arch9wavefront6targetE0EEEvSZ_: ; @_ZN7rocprim17ROCPRIM_400000_NS6detail17trampoline_kernelINS0_13select_configILj256ELj13ELNS0_17block_load_methodE3ELS4_3ELS4_3ELNS0_20block_scan_algorithmE0ELj4294967295EEENS1_25partition_config_selectorILNS1_17partition_subalgoE4EjNS0_10empty_typeEbEEZZNS1_14partition_implILS8_4ELb0ES6_15HIP_vector_typeIjLj2EENS0_17counting_iteratorIjlEEPS9_SG_NS0_5tupleIJPjSI_NS0_16reverse_iteratorISI_EEEEENSH_IJSG_SG_SG_EEES9_SI_JZNS1_25segmented_radix_sort_implINS0_14default_configELb0EPKlPlSQ_SR_N2at6native12_GLOBAL__N_18offset_tEEE10hipError_tPvRmT1_PNSt15iterator_traitsISZ_E10value_typeET2_T3_PNS10_IS15_E10value_typeET4_jRbjT5_S1B_jjP12ihipStream_tbEUljE_ZNSN_ISO_Lb0ESQ_SR_SQ_SR_SV_EESW_SX_SY_SZ_S13_S14_S15_S18_S19_jS1A_jS1B_S1B_jjS1D_bEUljE0_EEESW_SX_SY_S15_S19_S1B_T6_T7_T9_mT8_S1D_bDpT10_ENKUlT_T0_E_clISt17integral_constantIbLb0EES1R_EEDaS1M_S1N_EUlS1M_E_NS1_11comp_targetILNS1_3genE4ELNS1_11target_archE910ELNS1_3gpuE8ELNS1_3repE0EEENS1_30default_config_static_selectorELNS0_4arch9wavefront6targetE0EEEvSZ_
; %bb.0:
	.section	.rodata,"a",@progbits
	.p2align	6, 0x0
	.amdhsa_kernel _ZN7rocprim17ROCPRIM_400000_NS6detail17trampoline_kernelINS0_13select_configILj256ELj13ELNS0_17block_load_methodE3ELS4_3ELS4_3ELNS0_20block_scan_algorithmE0ELj4294967295EEENS1_25partition_config_selectorILNS1_17partition_subalgoE4EjNS0_10empty_typeEbEEZZNS1_14partition_implILS8_4ELb0ES6_15HIP_vector_typeIjLj2EENS0_17counting_iteratorIjlEEPS9_SG_NS0_5tupleIJPjSI_NS0_16reverse_iteratorISI_EEEEENSH_IJSG_SG_SG_EEES9_SI_JZNS1_25segmented_radix_sort_implINS0_14default_configELb0EPKlPlSQ_SR_N2at6native12_GLOBAL__N_18offset_tEEE10hipError_tPvRmT1_PNSt15iterator_traitsISZ_E10value_typeET2_T3_PNS10_IS15_E10value_typeET4_jRbjT5_S1B_jjP12ihipStream_tbEUljE_ZNSN_ISO_Lb0ESQ_SR_SQ_SR_SV_EESW_SX_SY_SZ_S13_S14_S15_S18_S19_jS1A_jS1B_S1B_jjS1D_bEUljE0_EEESW_SX_SY_S15_S19_S1B_T6_T7_T9_mT8_S1D_bDpT10_ENKUlT_T0_E_clISt17integral_constantIbLb0EES1R_EEDaS1M_S1N_EUlS1M_E_NS1_11comp_targetILNS1_3genE4ELNS1_11target_archE910ELNS1_3gpuE8ELNS1_3repE0EEENS1_30default_config_static_selectorELNS0_4arch9wavefront6targetE0EEEvSZ_
		.amdhsa_group_segment_fixed_size 0
		.amdhsa_private_segment_fixed_size 0
		.amdhsa_kernarg_size 176
		.amdhsa_user_sgpr_count 2
		.amdhsa_user_sgpr_dispatch_ptr 0
		.amdhsa_user_sgpr_queue_ptr 0
		.amdhsa_user_sgpr_kernarg_segment_ptr 1
		.amdhsa_user_sgpr_dispatch_id 0
		.amdhsa_user_sgpr_kernarg_preload_length 0
		.amdhsa_user_sgpr_kernarg_preload_offset 0
		.amdhsa_user_sgpr_private_segment_size 0
		.amdhsa_wavefront_size32 1
		.amdhsa_uses_dynamic_stack 0
		.amdhsa_enable_private_segment 0
		.amdhsa_system_sgpr_workgroup_id_x 1
		.amdhsa_system_sgpr_workgroup_id_y 0
		.amdhsa_system_sgpr_workgroup_id_z 0
		.amdhsa_system_sgpr_workgroup_info 0
		.amdhsa_system_vgpr_workitem_id 0
		.amdhsa_next_free_vgpr 1
		.amdhsa_next_free_sgpr 1
		.amdhsa_named_barrier_count 0
		.amdhsa_reserve_vcc 0
		.amdhsa_float_round_mode_32 0
		.amdhsa_float_round_mode_16_64 0
		.amdhsa_float_denorm_mode_32 3
		.amdhsa_float_denorm_mode_16_64 3
		.amdhsa_fp16_overflow 0
		.amdhsa_memory_ordered 1
		.amdhsa_forward_progress 1
		.amdhsa_inst_pref_size 0
		.amdhsa_round_robin_scheduling 0
		.amdhsa_exception_fp_ieee_invalid_op 0
		.amdhsa_exception_fp_denorm_src 0
		.amdhsa_exception_fp_ieee_div_zero 0
		.amdhsa_exception_fp_ieee_overflow 0
		.amdhsa_exception_fp_ieee_underflow 0
		.amdhsa_exception_fp_ieee_inexact 0
		.amdhsa_exception_int_div_zero 0
	.end_amdhsa_kernel
	.section	.text._ZN7rocprim17ROCPRIM_400000_NS6detail17trampoline_kernelINS0_13select_configILj256ELj13ELNS0_17block_load_methodE3ELS4_3ELS4_3ELNS0_20block_scan_algorithmE0ELj4294967295EEENS1_25partition_config_selectorILNS1_17partition_subalgoE4EjNS0_10empty_typeEbEEZZNS1_14partition_implILS8_4ELb0ES6_15HIP_vector_typeIjLj2EENS0_17counting_iteratorIjlEEPS9_SG_NS0_5tupleIJPjSI_NS0_16reverse_iteratorISI_EEEEENSH_IJSG_SG_SG_EEES9_SI_JZNS1_25segmented_radix_sort_implINS0_14default_configELb0EPKlPlSQ_SR_N2at6native12_GLOBAL__N_18offset_tEEE10hipError_tPvRmT1_PNSt15iterator_traitsISZ_E10value_typeET2_T3_PNS10_IS15_E10value_typeET4_jRbjT5_S1B_jjP12ihipStream_tbEUljE_ZNSN_ISO_Lb0ESQ_SR_SQ_SR_SV_EESW_SX_SY_SZ_S13_S14_S15_S18_S19_jS1A_jS1B_S1B_jjS1D_bEUljE0_EEESW_SX_SY_S15_S19_S1B_T6_T7_T9_mT8_S1D_bDpT10_ENKUlT_T0_E_clISt17integral_constantIbLb0EES1R_EEDaS1M_S1N_EUlS1M_E_NS1_11comp_targetILNS1_3genE4ELNS1_11target_archE910ELNS1_3gpuE8ELNS1_3repE0EEENS1_30default_config_static_selectorELNS0_4arch9wavefront6targetE0EEEvSZ_,"axG",@progbits,_ZN7rocprim17ROCPRIM_400000_NS6detail17trampoline_kernelINS0_13select_configILj256ELj13ELNS0_17block_load_methodE3ELS4_3ELS4_3ELNS0_20block_scan_algorithmE0ELj4294967295EEENS1_25partition_config_selectorILNS1_17partition_subalgoE4EjNS0_10empty_typeEbEEZZNS1_14partition_implILS8_4ELb0ES6_15HIP_vector_typeIjLj2EENS0_17counting_iteratorIjlEEPS9_SG_NS0_5tupleIJPjSI_NS0_16reverse_iteratorISI_EEEEENSH_IJSG_SG_SG_EEES9_SI_JZNS1_25segmented_radix_sort_implINS0_14default_configELb0EPKlPlSQ_SR_N2at6native12_GLOBAL__N_18offset_tEEE10hipError_tPvRmT1_PNSt15iterator_traitsISZ_E10value_typeET2_T3_PNS10_IS15_E10value_typeET4_jRbjT5_S1B_jjP12ihipStream_tbEUljE_ZNSN_ISO_Lb0ESQ_SR_SQ_SR_SV_EESW_SX_SY_SZ_S13_S14_S15_S18_S19_jS1A_jS1B_S1B_jjS1D_bEUljE0_EEESW_SX_SY_S15_S19_S1B_T6_T7_T9_mT8_S1D_bDpT10_ENKUlT_T0_E_clISt17integral_constantIbLb0EES1R_EEDaS1M_S1N_EUlS1M_E_NS1_11comp_targetILNS1_3genE4ELNS1_11target_archE910ELNS1_3gpuE8ELNS1_3repE0EEENS1_30default_config_static_selectorELNS0_4arch9wavefront6targetE0EEEvSZ_,comdat
.Lfunc_end741:
	.size	_ZN7rocprim17ROCPRIM_400000_NS6detail17trampoline_kernelINS0_13select_configILj256ELj13ELNS0_17block_load_methodE3ELS4_3ELS4_3ELNS0_20block_scan_algorithmE0ELj4294967295EEENS1_25partition_config_selectorILNS1_17partition_subalgoE4EjNS0_10empty_typeEbEEZZNS1_14partition_implILS8_4ELb0ES6_15HIP_vector_typeIjLj2EENS0_17counting_iteratorIjlEEPS9_SG_NS0_5tupleIJPjSI_NS0_16reverse_iteratorISI_EEEEENSH_IJSG_SG_SG_EEES9_SI_JZNS1_25segmented_radix_sort_implINS0_14default_configELb0EPKlPlSQ_SR_N2at6native12_GLOBAL__N_18offset_tEEE10hipError_tPvRmT1_PNSt15iterator_traitsISZ_E10value_typeET2_T3_PNS10_IS15_E10value_typeET4_jRbjT5_S1B_jjP12ihipStream_tbEUljE_ZNSN_ISO_Lb0ESQ_SR_SQ_SR_SV_EESW_SX_SY_SZ_S13_S14_S15_S18_S19_jS1A_jS1B_S1B_jjS1D_bEUljE0_EEESW_SX_SY_S15_S19_S1B_T6_T7_T9_mT8_S1D_bDpT10_ENKUlT_T0_E_clISt17integral_constantIbLb0EES1R_EEDaS1M_S1N_EUlS1M_E_NS1_11comp_targetILNS1_3genE4ELNS1_11target_archE910ELNS1_3gpuE8ELNS1_3repE0EEENS1_30default_config_static_selectorELNS0_4arch9wavefront6targetE0EEEvSZ_, .Lfunc_end741-_ZN7rocprim17ROCPRIM_400000_NS6detail17trampoline_kernelINS0_13select_configILj256ELj13ELNS0_17block_load_methodE3ELS4_3ELS4_3ELNS0_20block_scan_algorithmE0ELj4294967295EEENS1_25partition_config_selectorILNS1_17partition_subalgoE4EjNS0_10empty_typeEbEEZZNS1_14partition_implILS8_4ELb0ES6_15HIP_vector_typeIjLj2EENS0_17counting_iteratorIjlEEPS9_SG_NS0_5tupleIJPjSI_NS0_16reverse_iteratorISI_EEEEENSH_IJSG_SG_SG_EEES9_SI_JZNS1_25segmented_radix_sort_implINS0_14default_configELb0EPKlPlSQ_SR_N2at6native12_GLOBAL__N_18offset_tEEE10hipError_tPvRmT1_PNSt15iterator_traitsISZ_E10value_typeET2_T3_PNS10_IS15_E10value_typeET4_jRbjT5_S1B_jjP12ihipStream_tbEUljE_ZNSN_ISO_Lb0ESQ_SR_SQ_SR_SV_EESW_SX_SY_SZ_S13_S14_S15_S18_S19_jS1A_jS1B_S1B_jjS1D_bEUljE0_EEESW_SX_SY_S15_S19_S1B_T6_T7_T9_mT8_S1D_bDpT10_ENKUlT_T0_E_clISt17integral_constantIbLb0EES1R_EEDaS1M_S1N_EUlS1M_E_NS1_11comp_targetILNS1_3genE4ELNS1_11target_archE910ELNS1_3gpuE8ELNS1_3repE0EEENS1_30default_config_static_selectorELNS0_4arch9wavefront6targetE0EEEvSZ_
                                        ; -- End function
	.set _ZN7rocprim17ROCPRIM_400000_NS6detail17trampoline_kernelINS0_13select_configILj256ELj13ELNS0_17block_load_methodE3ELS4_3ELS4_3ELNS0_20block_scan_algorithmE0ELj4294967295EEENS1_25partition_config_selectorILNS1_17partition_subalgoE4EjNS0_10empty_typeEbEEZZNS1_14partition_implILS8_4ELb0ES6_15HIP_vector_typeIjLj2EENS0_17counting_iteratorIjlEEPS9_SG_NS0_5tupleIJPjSI_NS0_16reverse_iteratorISI_EEEEENSH_IJSG_SG_SG_EEES9_SI_JZNS1_25segmented_radix_sort_implINS0_14default_configELb0EPKlPlSQ_SR_N2at6native12_GLOBAL__N_18offset_tEEE10hipError_tPvRmT1_PNSt15iterator_traitsISZ_E10value_typeET2_T3_PNS10_IS15_E10value_typeET4_jRbjT5_S1B_jjP12ihipStream_tbEUljE_ZNSN_ISO_Lb0ESQ_SR_SQ_SR_SV_EESW_SX_SY_SZ_S13_S14_S15_S18_S19_jS1A_jS1B_S1B_jjS1D_bEUljE0_EEESW_SX_SY_S15_S19_S1B_T6_T7_T9_mT8_S1D_bDpT10_ENKUlT_T0_E_clISt17integral_constantIbLb0EES1R_EEDaS1M_S1N_EUlS1M_E_NS1_11comp_targetILNS1_3genE4ELNS1_11target_archE910ELNS1_3gpuE8ELNS1_3repE0EEENS1_30default_config_static_selectorELNS0_4arch9wavefront6targetE0EEEvSZ_.num_vgpr, 0
	.set _ZN7rocprim17ROCPRIM_400000_NS6detail17trampoline_kernelINS0_13select_configILj256ELj13ELNS0_17block_load_methodE3ELS4_3ELS4_3ELNS0_20block_scan_algorithmE0ELj4294967295EEENS1_25partition_config_selectorILNS1_17partition_subalgoE4EjNS0_10empty_typeEbEEZZNS1_14partition_implILS8_4ELb0ES6_15HIP_vector_typeIjLj2EENS0_17counting_iteratorIjlEEPS9_SG_NS0_5tupleIJPjSI_NS0_16reverse_iteratorISI_EEEEENSH_IJSG_SG_SG_EEES9_SI_JZNS1_25segmented_radix_sort_implINS0_14default_configELb0EPKlPlSQ_SR_N2at6native12_GLOBAL__N_18offset_tEEE10hipError_tPvRmT1_PNSt15iterator_traitsISZ_E10value_typeET2_T3_PNS10_IS15_E10value_typeET4_jRbjT5_S1B_jjP12ihipStream_tbEUljE_ZNSN_ISO_Lb0ESQ_SR_SQ_SR_SV_EESW_SX_SY_SZ_S13_S14_S15_S18_S19_jS1A_jS1B_S1B_jjS1D_bEUljE0_EEESW_SX_SY_S15_S19_S1B_T6_T7_T9_mT8_S1D_bDpT10_ENKUlT_T0_E_clISt17integral_constantIbLb0EES1R_EEDaS1M_S1N_EUlS1M_E_NS1_11comp_targetILNS1_3genE4ELNS1_11target_archE910ELNS1_3gpuE8ELNS1_3repE0EEENS1_30default_config_static_selectorELNS0_4arch9wavefront6targetE0EEEvSZ_.num_agpr, 0
	.set _ZN7rocprim17ROCPRIM_400000_NS6detail17trampoline_kernelINS0_13select_configILj256ELj13ELNS0_17block_load_methodE3ELS4_3ELS4_3ELNS0_20block_scan_algorithmE0ELj4294967295EEENS1_25partition_config_selectorILNS1_17partition_subalgoE4EjNS0_10empty_typeEbEEZZNS1_14partition_implILS8_4ELb0ES6_15HIP_vector_typeIjLj2EENS0_17counting_iteratorIjlEEPS9_SG_NS0_5tupleIJPjSI_NS0_16reverse_iteratorISI_EEEEENSH_IJSG_SG_SG_EEES9_SI_JZNS1_25segmented_radix_sort_implINS0_14default_configELb0EPKlPlSQ_SR_N2at6native12_GLOBAL__N_18offset_tEEE10hipError_tPvRmT1_PNSt15iterator_traitsISZ_E10value_typeET2_T3_PNS10_IS15_E10value_typeET4_jRbjT5_S1B_jjP12ihipStream_tbEUljE_ZNSN_ISO_Lb0ESQ_SR_SQ_SR_SV_EESW_SX_SY_SZ_S13_S14_S15_S18_S19_jS1A_jS1B_S1B_jjS1D_bEUljE0_EEESW_SX_SY_S15_S19_S1B_T6_T7_T9_mT8_S1D_bDpT10_ENKUlT_T0_E_clISt17integral_constantIbLb0EES1R_EEDaS1M_S1N_EUlS1M_E_NS1_11comp_targetILNS1_3genE4ELNS1_11target_archE910ELNS1_3gpuE8ELNS1_3repE0EEENS1_30default_config_static_selectorELNS0_4arch9wavefront6targetE0EEEvSZ_.numbered_sgpr, 0
	.set _ZN7rocprim17ROCPRIM_400000_NS6detail17trampoline_kernelINS0_13select_configILj256ELj13ELNS0_17block_load_methodE3ELS4_3ELS4_3ELNS0_20block_scan_algorithmE0ELj4294967295EEENS1_25partition_config_selectorILNS1_17partition_subalgoE4EjNS0_10empty_typeEbEEZZNS1_14partition_implILS8_4ELb0ES6_15HIP_vector_typeIjLj2EENS0_17counting_iteratorIjlEEPS9_SG_NS0_5tupleIJPjSI_NS0_16reverse_iteratorISI_EEEEENSH_IJSG_SG_SG_EEES9_SI_JZNS1_25segmented_radix_sort_implINS0_14default_configELb0EPKlPlSQ_SR_N2at6native12_GLOBAL__N_18offset_tEEE10hipError_tPvRmT1_PNSt15iterator_traitsISZ_E10value_typeET2_T3_PNS10_IS15_E10value_typeET4_jRbjT5_S1B_jjP12ihipStream_tbEUljE_ZNSN_ISO_Lb0ESQ_SR_SQ_SR_SV_EESW_SX_SY_SZ_S13_S14_S15_S18_S19_jS1A_jS1B_S1B_jjS1D_bEUljE0_EEESW_SX_SY_S15_S19_S1B_T6_T7_T9_mT8_S1D_bDpT10_ENKUlT_T0_E_clISt17integral_constantIbLb0EES1R_EEDaS1M_S1N_EUlS1M_E_NS1_11comp_targetILNS1_3genE4ELNS1_11target_archE910ELNS1_3gpuE8ELNS1_3repE0EEENS1_30default_config_static_selectorELNS0_4arch9wavefront6targetE0EEEvSZ_.num_named_barrier, 0
	.set _ZN7rocprim17ROCPRIM_400000_NS6detail17trampoline_kernelINS0_13select_configILj256ELj13ELNS0_17block_load_methodE3ELS4_3ELS4_3ELNS0_20block_scan_algorithmE0ELj4294967295EEENS1_25partition_config_selectorILNS1_17partition_subalgoE4EjNS0_10empty_typeEbEEZZNS1_14partition_implILS8_4ELb0ES6_15HIP_vector_typeIjLj2EENS0_17counting_iteratorIjlEEPS9_SG_NS0_5tupleIJPjSI_NS0_16reverse_iteratorISI_EEEEENSH_IJSG_SG_SG_EEES9_SI_JZNS1_25segmented_radix_sort_implINS0_14default_configELb0EPKlPlSQ_SR_N2at6native12_GLOBAL__N_18offset_tEEE10hipError_tPvRmT1_PNSt15iterator_traitsISZ_E10value_typeET2_T3_PNS10_IS15_E10value_typeET4_jRbjT5_S1B_jjP12ihipStream_tbEUljE_ZNSN_ISO_Lb0ESQ_SR_SQ_SR_SV_EESW_SX_SY_SZ_S13_S14_S15_S18_S19_jS1A_jS1B_S1B_jjS1D_bEUljE0_EEESW_SX_SY_S15_S19_S1B_T6_T7_T9_mT8_S1D_bDpT10_ENKUlT_T0_E_clISt17integral_constantIbLb0EES1R_EEDaS1M_S1N_EUlS1M_E_NS1_11comp_targetILNS1_3genE4ELNS1_11target_archE910ELNS1_3gpuE8ELNS1_3repE0EEENS1_30default_config_static_selectorELNS0_4arch9wavefront6targetE0EEEvSZ_.private_seg_size, 0
	.set _ZN7rocprim17ROCPRIM_400000_NS6detail17trampoline_kernelINS0_13select_configILj256ELj13ELNS0_17block_load_methodE3ELS4_3ELS4_3ELNS0_20block_scan_algorithmE0ELj4294967295EEENS1_25partition_config_selectorILNS1_17partition_subalgoE4EjNS0_10empty_typeEbEEZZNS1_14partition_implILS8_4ELb0ES6_15HIP_vector_typeIjLj2EENS0_17counting_iteratorIjlEEPS9_SG_NS0_5tupleIJPjSI_NS0_16reverse_iteratorISI_EEEEENSH_IJSG_SG_SG_EEES9_SI_JZNS1_25segmented_radix_sort_implINS0_14default_configELb0EPKlPlSQ_SR_N2at6native12_GLOBAL__N_18offset_tEEE10hipError_tPvRmT1_PNSt15iterator_traitsISZ_E10value_typeET2_T3_PNS10_IS15_E10value_typeET4_jRbjT5_S1B_jjP12ihipStream_tbEUljE_ZNSN_ISO_Lb0ESQ_SR_SQ_SR_SV_EESW_SX_SY_SZ_S13_S14_S15_S18_S19_jS1A_jS1B_S1B_jjS1D_bEUljE0_EEESW_SX_SY_S15_S19_S1B_T6_T7_T9_mT8_S1D_bDpT10_ENKUlT_T0_E_clISt17integral_constantIbLb0EES1R_EEDaS1M_S1N_EUlS1M_E_NS1_11comp_targetILNS1_3genE4ELNS1_11target_archE910ELNS1_3gpuE8ELNS1_3repE0EEENS1_30default_config_static_selectorELNS0_4arch9wavefront6targetE0EEEvSZ_.uses_vcc, 0
	.set _ZN7rocprim17ROCPRIM_400000_NS6detail17trampoline_kernelINS0_13select_configILj256ELj13ELNS0_17block_load_methodE3ELS4_3ELS4_3ELNS0_20block_scan_algorithmE0ELj4294967295EEENS1_25partition_config_selectorILNS1_17partition_subalgoE4EjNS0_10empty_typeEbEEZZNS1_14partition_implILS8_4ELb0ES6_15HIP_vector_typeIjLj2EENS0_17counting_iteratorIjlEEPS9_SG_NS0_5tupleIJPjSI_NS0_16reverse_iteratorISI_EEEEENSH_IJSG_SG_SG_EEES9_SI_JZNS1_25segmented_radix_sort_implINS0_14default_configELb0EPKlPlSQ_SR_N2at6native12_GLOBAL__N_18offset_tEEE10hipError_tPvRmT1_PNSt15iterator_traitsISZ_E10value_typeET2_T3_PNS10_IS15_E10value_typeET4_jRbjT5_S1B_jjP12ihipStream_tbEUljE_ZNSN_ISO_Lb0ESQ_SR_SQ_SR_SV_EESW_SX_SY_SZ_S13_S14_S15_S18_S19_jS1A_jS1B_S1B_jjS1D_bEUljE0_EEESW_SX_SY_S15_S19_S1B_T6_T7_T9_mT8_S1D_bDpT10_ENKUlT_T0_E_clISt17integral_constantIbLb0EES1R_EEDaS1M_S1N_EUlS1M_E_NS1_11comp_targetILNS1_3genE4ELNS1_11target_archE910ELNS1_3gpuE8ELNS1_3repE0EEENS1_30default_config_static_selectorELNS0_4arch9wavefront6targetE0EEEvSZ_.uses_flat_scratch, 0
	.set _ZN7rocprim17ROCPRIM_400000_NS6detail17trampoline_kernelINS0_13select_configILj256ELj13ELNS0_17block_load_methodE3ELS4_3ELS4_3ELNS0_20block_scan_algorithmE0ELj4294967295EEENS1_25partition_config_selectorILNS1_17partition_subalgoE4EjNS0_10empty_typeEbEEZZNS1_14partition_implILS8_4ELb0ES6_15HIP_vector_typeIjLj2EENS0_17counting_iteratorIjlEEPS9_SG_NS0_5tupleIJPjSI_NS0_16reverse_iteratorISI_EEEEENSH_IJSG_SG_SG_EEES9_SI_JZNS1_25segmented_radix_sort_implINS0_14default_configELb0EPKlPlSQ_SR_N2at6native12_GLOBAL__N_18offset_tEEE10hipError_tPvRmT1_PNSt15iterator_traitsISZ_E10value_typeET2_T3_PNS10_IS15_E10value_typeET4_jRbjT5_S1B_jjP12ihipStream_tbEUljE_ZNSN_ISO_Lb0ESQ_SR_SQ_SR_SV_EESW_SX_SY_SZ_S13_S14_S15_S18_S19_jS1A_jS1B_S1B_jjS1D_bEUljE0_EEESW_SX_SY_S15_S19_S1B_T6_T7_T9_mT8_S1D_bDpT10_ENKUlT_T0_E_clISt17integral_constantIbLb0EES1R_EEDaS1M_S1N_EUlS1M_E_NS1_11comp_targetILNS1_3genE4ELNS1_11target_archE910ELNS1_3gpuE8ELNS1_3repE0EEENS1_30default_config_static_selectorELNS0_4arch9wavefront6targetE0EEEvSZ_.has_dyn_sized_stack, 0
	.set _ZN7rocprim17ROCPRIM_400000_NS6detail17trampoline_kernelINS0_13select_configILj256ELj13ELNS0_17block_load_methodE3ELS4_3ELS4_3ELNS0_20block_scan_algorithmE0ELj4294967295EEENS1_25partition_config_selectorILNS1_17partition_subalgoE4EjNS0_10empty_typeEbEEZZNS1_14partition_implILS8_4ELb0ES6_15HIP_vector_typeIjLj2EENS0_17counting_iteratorIjlEEPS9_SG_NS0_5tupleIJPjSI_NS0_16reverse_iteratorISI_EEEEENSH_IJSG_SG_SG_EEES9_SI_JZNS1_25segmented_radix_sort_implINS0_14default_configELb0EPKlPlSQ_SR_N2at6native12_GLOBAL__N_18offset_tEEE10hipError_tPvRmT1_PNSt15iterator_traitsISZ_E10value_typeET2_T3_PNS10_IS15_E10value_typeET4_jRbjT5_S1B_jjP12ihipStream_tbEUljE_ZNSN_ISO_Lb0ESQ_SR_SQ_SR_SV_EESW_SX_SY_SZ_S13_S14_S15_S18_S19_jS1A_jS1B_S1B_jjS1D_bEUljE0_EEESW_SX_SY_S15_S19_S1B_T6_T7_T9_mT8_S1D_bDpT10_ENKUlT_T0_E_clISt17integral_constantIbLb0EES1R_EEDaS1M_S1N_EUlS1M_E_NS1_11comp_targetILNS1_3genE4ELNS1_11target_archE910ELNS1_3gpuE8ELNS1_3repE0EEENS1_30default_config_static_selectorELNS0_4arch9wavefront6targetE0EEEvSZ_.has_recursion, 0
	.set _ZN7rocprim17ROCPRIM_400000_NS6detail17trampoline_kernelINS0_13select_configILj256ELj13ELNS0_17block_load_methodE3ELS4_3ELS4_3ELNS0_20block_scan_algorithmE0ELj4294967295EEENS1_25partition_config_selectorILNS1_17partition_subalgoE4EjNS0_10empty_typeEbEEZZNS1_14partition_implILS8_4ELb0ES6_15HIP_vector_typeIjLj2EENS0_17counting_iteratorIjlEEPS9_SG_NS0_5tupleIJPjSI_NS0_16reverse_iteratorISI_EEEEENSH_IJSG_SG_SG_EEES9_SI_JZNS1_25segmented_radix_sort_implINS0_14default_configELb0EPKlPlSQ_SR_N2at6native12_GLOBAL__N_18offset_tEEE10hipError_tPvRmT1_PNSt15iterator_traitsISZ_E10value_typeET2_T3_PNS10_IS15_E10value_typeET4_jRbjT5_S1B_jjP12ihipStream_tbEUljE_ZNSN_ISO_Lb0ESQ_SR_SQ_SR_SV_EESW_SX_SY_SZ_S13_S14_S15_S18_S19_jS1A_jS1B_S1B_jjS1D_bEUljE0_EEESW_SX_SY_S15_S19_S1B_T6_T7_T9_mT8_S1D_bDpT10_ENKUlT_T0_E_clISt17integral_constantIbLb0EES1R_EEDaS1M_S1N_EUlS1M_E_NS1_11comp_targetILNS1_3genE4ELNS1_11target_archE910ELNS1_3gpuE8ELNS1_3repE0EEENS1_30default_config_static_selectorELNS0_4arch9wavefront6targetE0EEEvSZ_.has_indirect_call, 0
	.section	.AMDGPU.csdata,"",@progbits
; Kernel info:
; codeLenInByte = 0
; TotalNumSgprs: 0
; NumVgprs: 0
; ScratchSize: 0
; MemoryBound: 0
; FloatMode: 240
; IeeeMode: 1
; LDSByteSize: 0 bytes/workgroup (compile time only)
; SGPRBlocks: 0
; VGPRBlocks: 0
; NumSGPRsForWavesPerEU: 1
; NumVGPRsForWavesPerEU: 1
; NamedBarCnt: 0
; Occupancy: 16
; WaveLimiterHint : 0
; COMPUTE_PGM_RSRC2:SCRATCH_EN: 0
; COMPUTE_PGM_RSRC2:USER_SGPR: 2
; COMPUTE_PGM_RSRC2:TRAP_HANDLER: 0
; COMPUTE_PGM_RSRC2:TGID_X_EN: 1
; COMPUTE_PGM_RSRC2:TGID_Y_EN: 0
; COMPUTE_PGM_RSRC2:TGID_Z_EN: 0
; COMPUTE_PGM_RSRC2:TIDIG_COMP_CNT: 0
	.section	.text._ZN7rocprim17ROCPRIM_400000_NS6detail17trampoline_kernelINS0_13select_configILj256ELj13ELNS0_17block_load_methodE3ELS4_3ELS4_3ELNS0_20block_scan_algorithmE0ELj4294967295EEENS1_25partition_config_selectorILNS1_17partition_subalgoE4EjNS0_10empty_typeEbEEZZNS1_14partition_implILS8_4ELb0ES6_15HIP_vector_typeIjLj2EENS0_17counting_iteratorIjlEEPS9_SG_NS0_5tupleIJPjSI_NS0_16reverse_iteratorISI_EEEEENSH_IJSG_SG_SG_EEES9_SI_JZNS1_25segmented_radix_sort_implINS0_14default_configELb0EPKlPlSQ_SR_N2at6native12_GLOBAL__N_18offset_tEEE10hipError_tPvRmT1_PNSt15iterator_traitsISZ_E10value_typeET2_T3_PNS10_IS15_E10value_typeET4_jRbjT5_S1B_jjP12ihipStream_tbEUljE_ZNSN_ISO_Lb0ESQ_SR_SQ_SR_SV_EESW_SX_SY_SZ_S13_S14_S15_S18_S19_jS1A_jS1B_S1B_jjS1D_bEUljE0_EEESW_SX_SY_S15_S19_S1B_T6_T7_T9_mT8_S1D_bDpT10_ENKUlT_T0_E_clISt17integral_constantIbLb0EES1R_EEDaS1M_S1N_EUlS1M_E_NS1_11comp_targetILNS1_3genE3ELNS1_11target_archE908ELNS1_3gpuE7ELNS1_3repE0EEENS1_30default_config_static_selectorELNS0_4arch9wavefront6targetE0EEEvSZ_,"axG",@progbits,_ZN7rocprim17ROCPRIM_400000_NS6detail17trampoline_kernelINS0_13select_configILj256ELj13ELNS0_17block_load_methodE3ELS4_3ELS4_3ELNS0_20block_scan_algorithmE0ELj4294967295EEENS1_25partition_config_selectorILNS1_17partition_subalgoE4EjNS0_10empty_typeEbEEZZNS1_14partition_implILS8_4ELb0ES6_15HIP_vector_typeIjLj2EENS0_17counting_iteratorIjlEEPS9_SG_NS0_5tupleIJPjSI_NS0_16reverse_iteratorISI_EEEEENSH_IJSG_SG_SG_EEES9_SI_JZNS1_25segmented_radix_sort_implINS0_14default_configELb0EPKlPlSQ_SR_N2at6native12_GLOBAL__N_18offset_tEEE10hipError_tPvRmT1_PNSt15iterator_traitsISZ_E10value_typeET2_T3_PNS10_IS15_E10value_typeET4_jRbjT5_S1B_jjP12ihipStream_tbEUljE_ZNSN_ISO_Lb0ESQ_SR_SQ_SR_SV_EESW_SX_SY_SZ_S13_S14_S15_S18_S19_jS1A_jS1B_S1B_jjS1D_bEUljE0_EEESW_SX_SY_S15_S19_S1B_T6_T7_T9_mT8_S1D_bDpT10_ENKUlT_T0_E_clISt17integral_constantIbLb0EES1R_EEDaS1M_S1N_EUlS1M_E_NS1_11comp_targetILNS1_3genE3ELNS1_11target_archE908ELNS1_3gpuE7ELNS1_3repE0EEENS1_30default_config_static_selectorELNS0_4arch9wavefront6targetE0EEEvSZ_,comdat
	.globl	_ZN7rocprim17ROCPRIM_400000_NS6detail17trampoline_kernelINS0_13select_configILj256ELj13ELNS0_17block_load_methodE3ELS4_3ELS4_3ELNS0_20block_scan_algorithmE0ELj4294967295EEENS1_25partition_config_selectorILNS1_17partition_subalgoE4EjNS0_10empty_typeEbEEZZNS1_14partition_implILS8_4ELb0ES6_15HIP_vector_typeIjLj2EENS0_17counting_iteratorIjlEEPS9_SG_NS0_5tupleIJPjSI_NS0_16reverse_iteratorISI_EEEEENSH_IJSG_SG_SG_EEES9_SI_JZNS1_25segmented_radix_sort_implINS0_14default_configELb0EPKlPlSQ_SR_N2at6native12_GLOBAL__N_18offset_tEEE10hipError_tPvRmT1_PNSt15iterator_traitsISZ_E10value_typeET2_T3_PNS10_IS15_E10value_typeET4_jRbjT5_S1B_jjP12ihipStream_tbEUljE_ZNSN_ISO_Lb0ESQ_SR_SQ_SR_SV_EESW_SX_SY_SZ_S13_S14_S15_S18_S19_jS1A_jS1B_S1B_jjS1D_bEUljE0_EEESW_SX_SY_S15_S19_S1B_T6_T7_T9_mT8_S1D_bDpT10_ENKUlT_T0_E_clISt17integral_constantIbLb0EES1R_EEDaS1M_S1N_EUlS1M_E_NS1_11comp_targetILNS1_3genE3ELNS1_11target_archE908ELNS1_3gpuE7ELNS1_3repE0EEENS1_30default_config_static_selectorELNS0_4arch9wavefront6targetE0EEEvSZ_ ; -- Begin function _ZN7rocprim17ROCPRIM_400000_NS6detail17trampoline_kernelINS0_13select_configILj256ELj13ELNS0_17block_load_methodE3ELS4_3ELS4_3ELNS0_20block_scan_algorithmE0ELj4294967295EEENS1_25partition_config_selectorILNS1_17partition_subalgoE4EjNS0_10empty_typeEbEEZZNS1_14partition_implILS8_4ELb0ES6_15HIP_vector_typeIjLj2EENS0_17counting_iteratorIjlEEPS9_SG_NS0_5tupleIJPjSI_NS0_16reverse_iteratorISI_EEEEENSH_IJSG_SG_SG_EEES9_SI_JZNS1_25segmented_radix_sort_implINS0_14default_configELb0EPKlPlSQ_SR_N2at6native12_GLOBAL__N_18offset_tEEE10hipError_tPvRmT1_PNSt15iterator_traitsISZ_E10value_typeET2_T3_PNS10_IS15_E10value_typeET4_jRbjT5_S1B_jjP12ihipStream_tbEUljE_ZNSN_ISO_Lb0ESQ_SR_SQ_SR_SV_EESW_SX_SY_SZ_S13_S14_S15_S18_S19_jS1A_jS1B_S1B_jjS1D_bEUljE0_EEESW_SX_SY_S15_S19_S1B_T6_T7_T9_mT8_S1D_bDpT10_ENKUlT_T0_E_clISt17integral_constantIbLb0EES1R_EEDaS1M_S1N_EUlS1M_E_NS1_11comp_targetILNS1_3genE3ELNS1_11target_archE908ELNS1_3gpuE7ELNS1_3repE0EEENS1_30default_config_static_selectorELNS0_4arch9wavefront6targetE0EEEvSZ_
	.p2align	8
	.type	_ZN7rocprim17ROCPRIM_400000_NS6detail17trampoline_kernelINS0_13select_configILj256ELj13ELNS0_17block_load_methodE3ELS4_3ELS4_3ELNS0_20block_scan_algorithmE0ELj4294967295EEENS1_25partition_config_selectorILNS1_17partition_subalgoE4EjNS0_10empty_typeEbEEZZNS1_14partition_implILS8_4ELb0ES6_15HIP_vector_typeIjLj2EENS0_17counting_iteratorIjlEEPS9_SG_NS0_5tupleIJPjSI_NS0_16reverse_iteratorISI_EEEEENSH_IJSG_SG_SG_EEES9_SI_JZNS1_25segmented_radix_sort_implINS0_14default_configELb0EPKlPlSQ_SR_N2at6native12_GLOBAL__N_18offset_tEEE10hipError_tPvRmT1_PNSt15iterator_traitsISZ_E10value_typeET2_T3_PNS10_IS15_E10value_typeET4_jRbjT5_S1B_jjP12ihipStream_tbEUljE_ZNSN_ISO_Lb0ESQ_SR_SQ_SR_SV_EESW_SX_SY_SZ_S13_S14_S15_S18_S19_jS1A_jS1B_S1B_jjS1D_bEUljE0_EEESW_SX_SY_S15_S19_S1B_T6_T7_T9_mT8_S1D_bDpT10_ENKUlT_T0_E_clISt17integral_constantIbLb0EES1R_EEDaS1M_S1N_EUlS1M_E_NS1_11comp_targetILNS1_3genE3ELNS1_11target_archE908ELNS1_3gpuE7ELNS1_3repE0EEENS1_30default_config_static_selectorELNS0_4arch9wavefront6targetE0EEEvSZ_,@function
_ZN7rocprim17ROCPRIM_400000_NS6detail17trampoline_kernelINS0_13select_configILj256ELj13ELNS0_17block_load_methodE3ELS4_3ELS4_3ELNS0_20block_scan_algorithmE0ELj4294967295EEENS1_25partition_config_selectorILNS1_17partition_subalgoE4EjNS0_10empty_typeEbEEZZNS1_14partition_implILS8_4ELb0ES6_15HIP_vector_typeIjLj2EENS0_17counting_iteratorIjlEEPS9_SG_NS0_5tupleIJPjSI_NS0_16reverse_iteratorISI_EEEEENSH_IJSG_SG_SG_EEES9_SI_JZNS1_25segmented_radix_sort_implINS0_14default_configELb0EPKlPlSQ_SR_N2at6native12_GLOBAL__N_18offset_tEEE10hipError_tPvRmT1_PNSt15iterator_traitsISZ_E10value_typeET2_T3_PNS10_IS15_E10value_typeET4_jRbjT5_S1B_jjP12ihipStream_tbEUljE_ZNSN_ISO_Lb0ESQ_SR_SQ_SR_SV_EESW_SX_SY_SZ_S13_S14_S15_S18_S19_jS1A_jS1B_S1B_jjS1D_bEUljE0_EEESW_SX_SY_S15_S19_S1B_T6_T7_T9_mT8_S1D_bDpT10_ENKUlT_T0_E_clISt17integral_constantIbLb0EES1R_EEDaS1M_S1N_EUlS1M_E_NS1_11comp_targetILNS1_3genE3ELNS1_11target_archE908ELNS1_3gpuE7ELNS1_3repE0EEENS1_30default_config_static_selectorELNS0_4arch9wavefront6targetE0EEEvSZ_: ; @_ZN7rocprim17ROCPRIM_400000_NS6detail17trampoline_kernelINS0_13select_configILj256ELj13ELNS0_17block_load_methodE3ELS4_3ELS4_3ELNS0_20block_scan_algorithmE0ELj4294967295EEENS1_25partition_config_selectorILNS1_17partition_subalgoE4EjNS0_10empty_typeEbEEZZNS1_14partition_implILS8_4ELb0ES6_15HIP_vector_typeIjLj2EENS0_17counting_iteratorIjlEEPS9_SG_NS0_5tupleIJPjSI_NS0_16reverse_iteratorISI_EEEEENSH_IJSG_SG_SG_EEES9_SI_JZNS1_25segmented_radix_sort_implINS0_14default_configELb0EPKlPlSQ_SR_N2at6native12_GLOBAL__N_18offset_tEEE10hipError_tPvRmT1_PNSt15iterator_traitsISZ_E10value_typeET2_T3_PNS10_IS15_E10value_typeET4_jRbjT5_S1B_jjP12ihipStream_tbEUljE_ZNSN_ISO_Lb0ESQ_SR_SQ_SR_SV_EESW_SX_SY_SZ_S13_S14_S15_S18_S19_jS1A_jS1B_S1B_jjS1D_bEUljE0_EEESW_SX_SY_S15_S19_S1B_T6_T7_T9_mT8_S1D_bDpT10_ENKUlT_T0_E_clISt17integral_constantIbLb0EES1R_EEDaS1M_S1N_EUlS1M_E_NS1_11comp_targetILNS1_3genE3ELNS1_11target_archE908ELNS1_3gpuE7ELNS1_3repE0EEENS1_30default_config_static_selectorELNS0_4arch9wavefront6targetE0EEEvSZ_
; %bb.0:
	.section	.rodata,"a",@progbits
	.p2align	6, 0x0
	.amdhsa_kernel _ZN7rocprim17ROCPRIM_400000_NS6detail17trampoline_kernelINS0_13select_configILj256ELj13ELNS0_17block_load_methodE3ELS4_3ELS4_3ELNS0_20block_scan_algorithmE0ELj4294967295EEENS1_25partition_config_selectorILNS1_17partition_subalgoE4EjNS0_10empty_typeEbEEZZNS1_14partition_implILS8_4ELb0ES6_15HIP_vector_typeIjLj2EENS0_17counting_iteratorIjlEEPS9_SG_NS0_5tupleIJPjSI_NS0_16reverse_iteratorISI_EEEEENSH_IJSG_SG_SG_EEES9_SI_JZNS1_25segmented_radix_sort_implINS0_14default_configELb0EPKlPlSQ_SR_N2at6native12_GLOBAL__N_18offset_tEEE10hipError_tPvRmT1_PNSt15iterator_traitsISZ_E10value_typeET2_T3_PNS10_IS15_E10value_typeET4_jRbjT5_S1B_jjP12ihipStream_tbEUljE_ZNSN_ISO_Lb0ESQ_SR_SQ_SR_SV_EESW_SX_SY_SZ_S13_S14_S15_S18_S19_jS1A_jS1B_S1B_jjS1D_bEUljE0_EEESW_SX_SY_S15_S19_S1B_T6_T7_T9_mT8_S1D_bDpT10_ENKUlT_T0_E_clISt17integral_constantIbLb0EES1R_EEDaS1M_S1N_EUlS1M_E_NS1_11comp_targetILNS1_3genE3ELNS1_11target_archE908ELNS1_3gpuE7ELNS1_3repE0EEENS1_30default_config_static_selectorELNS0_4arch9wavefront6targetE0EEEvSZ_
		.amdhsa_group_segment_fixed_size 0
		.amdhsa_private_segment_fixed_size 0
		.amdhsa_kernarg_size 176
		.amdhsa_user_sgpr_count 2
		.amdhsa_user_sgpr_dispatch_ptr 0
		.amdhsa_user_sgpr_queue_ptr 0
		.amdhsa_user_sgpr_kernarg_segment_ptr 1
		.amdhsa_user_sgpr_dispatch_id 0
		.amdhsa_user_sgpr_kernarg_preload_length 0
		.amdhsa_user_sgpr_kernarg_preload_offset 0
		.amdhsa_user_sgpr_private_segment_size 0
		.amdhsa_wavefront_size32 1
		.amdhsa_uses_dynamic_stack 0
		.amdhsa_enable_private_segment 0
		.amdhsa_system_sgpr_workgroup_id_x 1
		.amdhsa_system_sgpr_workgroup_id_y 0
		.amdhsa_system_sgpr_workgroup_id_z 0
		.amdhsa_system_sgpr_workgroup_info 0
		.amdhsa_system_vgpr_workitem_id 0
		.amdhsa_next_free_vgpr 1
		.amdhsa_next_free_sgpr 1
		.amdhsa_named_barrier_count 0
		.amdhsa_reserve_vcc 0
		.amdhsa_float_round_mode_32 0
		.amdhsa_float_round_mode_16_64 0
		.amdhsa_float_denorm_mode_32 3
		.amdhsa_float_denorm_mode_16_64 3
		.amdhsa_fp16_overflow 0
		.amdhsa_memory_ordered 1
		.amdhsa_forward_progress 1
		.amdhsa_inst_pref_size 0
		.amdhsa_round_robin_scheduling 0
		.amdhsa_exception_fp_ieee_invalid_op 0
		.amdhsa_exception_fp_denorm_src 0
		.amdhsa_exception_fp_ieee_div_zero 0
		.amdhsa_exception_fp_ieee_overflow 0
		.amdhsa_exception_fp_ieee_underflow 0
		.amdhsa_exception_fp_ieee_inexact 0
		.amdhsa_exception_int_div_zero 0
	.end_amdhsa_kernel
	.section	.text._ZN7rocprim17ROCPRIM_400000_NS6detail17trampoline_kernelINS0_13select_configILj256ELj13ELNS0_17block_load_methodE3ELS4_3ELS4_3ELNS0_20block_scan_algorithmE0ELj4294967295EEENS1_25partition_config_selectorILNS1_17partition_subalgoE4EjNS0_10empty_typeEbEEZZNS1_14partition_implILS8_4ELb0ES6_15HIP_vector_typeIjLj2EENS0_17counting_iteratorIjlEEPS9_SG_NS0_5tupleIJPjSI_NS0_16reverse_iteratorISI_EEEEENSH_IJSG_SG_SG_EEES9_SI_JZNS1_25segmented_radix_sort_implINS0_14default_configELb0EPKlPlSQ_SR_N2at6native12_GLOBAL__N_18offset_tEEE10hipError_tPvRmT1_PNSt15iterator_traitsISZ_E10value_typeET2_T3_PNS10_IS15_E10value_typeET4_jRbjT5_S1B_jjP12ihipStream_tbEUljE_ZNSN_ISO_Lb0ESQ_SR_SQ_SR_SV_EESW_SX_SY_SZ_S13_S14_S15_S18_S19_jS1A_jS1B_S1B_jjS1D_bEUljE0_EEESW_SX_SY_S15_S19_S1B_T6_T7_T9_mT8_S1D_bDpT10_ENKUlT_T0_E_clISt17integral_constantIbLb0EES1R_EEDaS1M_S1N_EUlS1M_E_NS1_11comp_targetILNS1_3genE3ELNS1_11target_archE908ELNS1_3gpuE7ELNS1_3repE0EEENS1_30default_config_static_selectorELNS0_4arch9wavefront6targetE0EEEvSZ_,"axG",@progbits,_ZN7rocprim17ROCPRIM_400000_NS6detail17trampoline_kernelINS0_13select_configILj256ELj13ELNS0_17block_load_methodE3ELS4_3ELS4_3ELNS0_20block_scan_algorithmE0ELj4294967295EEENS1_25partition_config_selectorILNS1_17partition_subalgoE4EjNS0_10empty_typeEbEEZZNS1_14partition_implILS8_4ELb0ES6_15HIP_vector_typeIjLj2EENS0_17counting_iteratorIjlEEPS9_SG_NS0_5tupleIJPjSI_NS0_16reverse_iteratorISI_EEEEENSH_IJSG_SG_SG_EEES9_SI_JZNS1_25segmented_radix_sort_implINS0_14default_configELb0EPKlPlSQ_SR_N2at6native12_GLOBAL__N_18offset_tEEE10hipError_tPvRmT1_PNSt15iterator_traitsISZ_E10value_typeET2_T3_PNS10_IS15_E10value_typeET4_jRbjT5_S1B_jjP12ihipStream_tbEUljE_ZNSN_ISO_Lb0ESQ_SR_SQ_SR_SV_EESW_SX_SY_SZ_S13_S14_S15_S18_S19_jS1A_jS1B_S1B_jjS1D_bEUljE0_EEESW_SX_SY_S15_S19_S1B_T6_T7_T9_mT8_S1D_bDpT10_ENKUlT_T0_E_clISt17integral_constantIbLb0EES1R_EEDaS1M_S1N_EUlS1M_E_NS1_11comp_targetILNS1_3genE3ELNS1_11target_archE908ELNS1_3gpuE7ELNS1_3repE0EEENS1_30default_config_static_selectorELNS0_4arch9wavefront6targetE0EEEvSZ_,comdat
.Lfunc_end742:
	.size	_ZN7rocprim17ROCPRIM_400000_NS6detail17trampoline_kernelINS0_13select_configILj256ELj13ELNS0_17block_load_methodE3ELS4_3ELS4_3ELNS0_20block_scan_algorithmE0ELj4294967295EEENS1_25partition_config_selectorILNS1_17partition_subalgoE4EjNS0_10empty_typeEbEEZZNS1_14partition_implILS8_4ELb0ES6_15HIP_vector_typeIjLj2EENS0_17counting_iteratorIjlEEPS9_SG_NS0_5tupleIJPjSI_NS0_16reverse_iteratorISI_EEEEENSH_IJSG_SG_SG_EEES9_SI_JZNS1_25segmented_radix_sort_implINS0_14default_configELb0EPKlPlSQ_SR_N2at6native12_GLOBAL__N_18offset_tEEE10hipError_tPvRmT1_PNSt15iterator_traitsISZ_E10value_typeET2_T3_PNS10_IS15_E10value_typeET4_jRbjT5_S1B_jjP12ihipStream_tbEUljE_ZNSN_ISO_Lb0ESQ_SR_SQ_SR_SV_EESW_SX_SY_SZ_S13_S14_S15_S18_S19_jS1A_jS1B_S1B_jjS1D_bEUljE0_EEESW_SX_SY_S15_S19_S1B_T6_T7_T9_mT8_S1D_bDpT10_ENKUlT_T0_E_clISt17integral_constantIbLb0EES1R_EEDaS1M_S1N_EUlS1M_E_NS1_11comp_targetILNS1_3genE3ELNS1_11target_archE908ELNS1_3gpuE7ELNS1_3repE0EEENS1_30default_config_static_selectorELNS0_4arch9wavefront6targetE0EEEvSZ_, .Lfunc_end742-_ZN7rocprim17ROCPRIM_400000_NS6detail17trampoline_kernelINS0_13select_configILj256ELj13ELNS0_17block_load_methodE3ELS4_3ELS4_3ELNS0_20block_scan_algorithmE0ELj4294967295EEENS1_25partition_config_selectorILNS1_17partition_subalgoE4EjNS0_10empty_typeEbEEZZNS1_14partition_implILS8_4ELb0ES6_15HIP_vector_typeIjLj2EENS0_17counting_iteratorIjlEEPS9_SG_NS0_5tupleIJPjSI_NS0_16reverse_iteratorISI_EEEEENSH_IJSG_SG_SG_EEES9_SI_JZNS1_25segmented_radix_sort_implINS0_14default_configELb0EPKlPlSQ_SR_N2at6native12_GLOBAL__N_18offset_tEEE10hipError_tPvRmT1_PNSt15iterator_traitsISZ_E10value_typeET2_T3_PNS10_IS15_E10value_typeET4_jRbjT5_S1B_jjP12ihipStream_tbEUljE_ZNSN_ISO_Lb0ESQ_SR_SQ_SR_SV_EESW_SX_SY_SZ_S13_S14_S15_S18_S19_jS1A_jS1B_S1B_jjS1D_bEUljE0_EEESW_SX_SY_S15_S19_S1B_T6_T7_T9_mT8_S1D_bDpT10_ENKUlT_T0_E_clISt17integral_constantIbLb0EES1R_EEDaS1M_S1N_EUlS1M_E_NS1_11comp_targetILNS1_3genE3ELNS1_11target_archE908ELNS1_3gpuE7ELNS1_3repE0EEENS1_30default_config_static_selectorELNS0_4arch9wavefront6targetE0EEEvSZ_
                                        ; -- End function
	.set _ZN7rocprim17ROCPRIM_400000_NS6detail17trampoline_kernelINS0_13select_configILj256ELj13ELNS0_17block_load_methodE3ELS4_3ELS4_3ELNS0_20block_scan_algorithmE0ELj4294967295EEENS1_25partition_config_selectorILNS1_17partition_subalgoE4EjNS0_10empty_typeEbEEZZNS1_14partition_implILS8_4ELb0ES6_15HIP_vector_typeIjLj2EENS0_17counting_iteratorIjlEEPS9_SG_NS0_5tupleIJPjSI_NS0_16reverse_iteratorISI_EEEEENSH_IJSG_SG_SG_EEES9_SI_JZNS1_25segmented_radix_sort_implINS0_14default_configELb0EPKlPlSQ_SR_N2at6native12_GLOBAL__N_18offset_tEEE10hipError_tPvRmT1_PNSt15iterator_traitsISZ_E10value_typeET2_T3_PNS10_IS15_E10value_typeET4_jRbjT5_S1B_jjP12ihipStream_tbEUljE_ZNSN_ISO_Lb0ESQ_SR_SQ_SR_SV_EESW_SX_SY_SZ_S13_S14_S15_S18_S19_jS1A_jS1B_S1B_jjS1D_bEUljE0_EEESW_SX_SY_S15_S19_S1B_T6_T7_T9_mT8_S1D_bDpT10_ENKUlT_T0_E_clISt17integral_constantIbLb0EES1R_EEDaS1M_S1N_EUlS1M_E_NS1_11comp_targetILNS1_3genE3ELNS1_11target_archE908ELNS1_3gpuE7ELNS1_3repE0EEENS1_30default_config_static_selectorELNS0_4arch9wavefront6targetE0EEEvSZ_.num_vgpr, 0
	.set _ZN7rocprim17ROCPRIM_400000_NS6detail17trampoline_kernelINS0_13select_configILj256ELj13ELNS0_17block_load_methodE3ELS4_3ELS4_3ELNS0_20block_scan_algorithmE0ELj4294967295EEENS1_25partition_config_selectorILNS1_17partition_subalgoE4EjNS0_10empty_typeEbEEZZNS1_14partition_implILS8_4ELb0ES6_15HIP_vector_typeIjLj2EENS0_17counting_iteratorIjlEEPS9_SG_NS0_5tupleIJPjSI_NS0_16reverse_iteratorISI_EEEEENSH_IJSG_SG_SG_EEES9_SI_JZNS1_25segmented_radix_sort_implINS0_14default_configELb0EPKlPlSQ_SR_N2at6native12_GLOBAL__N_18offset_tEEE10hipError_tPvRmT1_PNSt15iterator_traitsISZ_E10value_typeET2_T3_PNS10_IS15_E10value_typeET4_jRbjT5_S1B_jjP12ihipStream_tbEUljE_ZNSN_ISO_Lb0ESQ_SR_SQ_SR_SV_EESW_SX_SY_SZ_S13_S14_S15_S18_S19_jS1A_jS1B_S1B_jjS1D_bEUljE0_EEESW_SX_SY_S15_S19_S1B_T6_T7_T9_mT8_S1D_bDpT10_ENKUlT_T0_E_clISt17integral_constantIbLb0EES1R_EEDaS1M_S1N_EUlS1M_E_NS1_11comp_targetILNS1_3genE3ELNS1_11target_archE908ELNS1_3gpuE7ELNS1_3repE0EEENS1_30default_config_static_selectorELNS0_4arch9wavefront6targetE0EEEvSZ_.num_agpr, 0
	.set _ZN7rocprim17ROCPRIM_400000_NS6detail17trampoline_kernelINS0_13select_configILj256ELj13ELNS0_17block_load_methodE3ELS4_3ELS4_3ELNS0_20block_scan_algorithmE0ELj4294967295EEENS1_25partition_config_selectorILNS1_17partition_subalgoE4EjNS0_10empty_typeEbEEZZNS1_14partition_implILS8_4ELb0ES6_15HIP_vector_typeIjLj2EENS0_17counting_iteratorIjlEEPS9_SG_NS0_5tupleIJPjSI_NS0_16reverse_iteratorISI_EEEEENSH_IJSG_SG_SG_EEES9_SI_JZNS1_25segmented_radix_sort_implINS0_14default_configELb0EPKlPlSQ_SR_N2at6native12_GLOBAL__N_18offset_tEEE10hipError_tPvRmT1_PNSt15iterator_traitsISZ_E10value_typeET2_T3_PNS10_IS15_E10value_typeET4_jRbjT5_S1B_jjP12ihipStream_tbEUljE_ZNSN_ISO_Lb0ESQ_SR_SQ_SR_SV_EESW_SX_SY_SZ_S13_S14_S15_S18_S19_jS1A_jS1B_S1B_jjS1D_bEUljE0_EEESW_SX_SY_S15_S19_S1B_T6_T7_T9_mT8_S1D_bDpT10_ENKUlT_T0_E_clISt17integral_constantIbLb0EES1R_EEDaS1M_S1N_EUlS1M_E_NS1_11comp_targetILNS1_3genE3ELNS1_11target_archE908ELNS1_3gpuE7ELNS1_3repE0EEENS1_30default_config_static_selectorELNS0_4arch9wavefront6targetE0EEEvSZ_.numbered_sgpr, 0
	.set _ZN7rocprim17ROCPRIM_400000_NS6detail17trampoline_kernelINS0_13select_configILj256ELj13ELNS0_17block_load_methodE3ELS4_3ELS4_3ELNS0_20block_scan_algorithmE0ELj4294967295EEENS1_25partition_config_selectorILNS1_17partition_subalgoE4EjNS0_10empty_typeEbEEZZNS1_14partition_implILS8_4ELb0ES6_15HIP_vector_typeIjLj2EENS0_17counting_iteratorIjlEEPS9_SG_NS0_5tupleIJPjSI_NS0_16reverse_iteratorISI_EEEEENSH_IJSG_SG_SG_EEES9_SI_JZNS1_25segmented_radix_sort_implINS0_14default_configELb0EPKlPlSQ_SR_N2at6native12_GLOBAL__N_18offset_tEEE10hipError_tPvRmT1_PNSt15iterator_traitsISZ_E10value_typeET2_T3_PNS10_IS15_E10value_typeET4_jRbjT5_S1B_jjP12ihipStream_tbEUljE_ZNSN_ISO_Lb0ESQ_SR_SQ_SR_SV_EESW_SX_SY_SZ_S13_S14_S15_S18_S19_jS1A_jS1B_S1B_jjS1D_bEUljE0_EEESW_SX_SY_S15_S19_S1B_T6_T7_T9_mT8_S1D_bDpT10_ENKUlT_T0_E_clISt17integral_constantIbLb0EES1R_EEDaS1M_S1N_EUlS1M_E_NS1_11comp_targetILNS1_3genE3ELNS1_11target_archE908ELNS1_3gpuE7ELNS1_3repE0EEENS1_30default_config_static_selectorELNS0_4arch9wavefront6targetE0EEEvSZ_.num_named_barrier, 0
	.set _ZN7rocprim17ROCPRIM_400000_NS6detail17trampoline_kernelINS0_13select_configILj256ELj13ELNS0_17block_load_methodE3ELS4_3ELS4_3ELNS0_20block_scan_algorithmE0ELj4294967295EEENS1_25partition_config_selectorILNS1_17partition_subalgoE4EjNS0_10empty_typeEbEEZZNS1_14partition_implILS8_4ELb0ES6_15HIP_vector_typeIjLj2EENS0_17counting_iteratorIjlEEPS9_SG_NS0_5tupleIJPjSI_NS0_16reverse_iteratorISI_EEEEENSH_IJSG_SG_SG_EEES9_SI_JZNS1_25segmented_radix_sort_implINS0_14default_configELb0EPKlPlSQ_SR_N2at6native12_GLOBAL__N_18offset_tEEE10hipError_tPvRmT1_PNSt15iterator_traitsISZ_E10value_typeET2_T3_PNS10_IS15_E10value_typeET4_jRbjT5_S1B_jjP12ihipStream_tbEUljE_ZNSN_ISO_Lb0ESQ_SR_SQ_SR_SV_EESW_SX_SY_SZ_S13_S14_S15_S18_S19_jS1A_jS1B_S1B_jjS1D_bEUljE0_EEESW_SX_SY_S15_S19_S1B_T6_T7_T9_mT8_S1D_bDpT10_ENKUlT_T0_E_clISt17integral_constantIbLb0EES1R_EEDaS1M_S1N_EUlS1M_E_NS1_11comp_targetILNS1_3genE3ELNS1_11target_archE908ELNS1_3gpuE7ELNS1_3repE0EEENS1_30default_config_static_selectorELNS0_4arch9wavefront6targetE0EEEvSZ_.private_seg_size, 0
	.set _ZN7rocprim17ROCPRIM_400000_NS6detail17trampoline_kernelINS0_13select_configILj256ELj13ELNS0_17block_load_methodE3ELS4_3ELS4_3ELNS0_20block_scan_algorithmE0ELj4294967295EEENS1_25partition_config_selectorILNS1_17partition_subalgoE4EjNS0_10empty_typeEbEEZZNS1_14partition_implILS8_4ELb0ES6_15HIP_vector_typeIjLj2EENS0_17counting_iteratorIjlEEPS9_SG_NS0_5tupleIJPjSI_NS0_16reverse_iteratorISI_EEEEENSH_IJSG_SG_SG_EEES9_SI_JZNS1_25segmented_radix_sort_implINS0_14default_configELb0EPKlPlSQ_SR_N2at6native12_GLOBAL__N_18offset_tEEE10hipError_tPvRmT1_PNSt15iterator_traitsISZ_E10value_typeET2_T3_PNS10_IS15_E10value_typeET4_jRbjT5_S1B_jjP12ihipStream_tbEUljE_ZNSN_ISO_Lb0ESQ_SR_SQ_SR_SV_EESW_SX_SY_SZ_S13_S14_S15_S18_S19_jS1A_jS1B_S1B_jjS1D_bEUljE0_EEESW_SX_SY_S15_S19_S1B_T6_T7_T9_mT8_S1D_bDpT10_ENKUlT_T0_E_clISt17integral_constantIbLb0EES1R_EEDaS1M_S1N_EUlS1M_E_NS1_11comp_targetILNS1_3genE3ELNS1_11target_archE908ELNS1_3gpuE7ELNS1_3repE0EEENS1_30default_config_static_selectorELNS0_4arch9wavefront6targetE0EEEvSZ_.uses_vcc, 0
	.set _ZN7rocprim17ROCPRIM_400000_NS6detail17trampoline_kernelINS0_13select_configILj256ELj13ELNS0_17block_load_methodE3ELS4_3ELS4_3ELNS0_20block_scan_algorithmE0ELj4294967295EEENS1_25partition_config_selectorILNS1_17partition_subalgoE4EjNS0_10empty_typeEbEEZZNS1_14partition_implILS8_4ELb0ES6_15HIP_vector_typeIjLj2EENS0_17counting_iteratorIjlEEPS9_SG_NS0_5tupleIJPjSI_NS0_16reverse_iteratorISI_EEEEENSH_IJSG_SG_SG_EEES9_SI_JZNS1_25segmented_radix_sort_implINS0_14default_configELb0EPKlPlSQ_SR_N2at6native12_GLOBAL__N_18offset_tEEE10hipError_tPvRmT1_PNSt15iterator_traitsISZ_E10value_typeET2_T3_PNS10_IS15_E10value_typeET4_jRbjT5_S1B_jjP12ihipStream_tbEUljE_ZNSN_ISO_Lb0ESQ_SR_SQ_SR_SV_EESW_SX_SY_SZ_S13_S14_S15_S18_S19_jS1A_jS1B_S1B_jjS1D_bEUljE0_EEESW_SX_SY_S15_S19_S1B_T6_T7_T9_mT8_S1D_bDpT10_ENKUlT_T0_E_clISt17integral_constantIbLb0EES1R_EEDaS1M_S1N_EUlS1M_E_NS1_11comp_targetILNS1_3genE3ELNS1_11target_archE908ELNS1_3gpuE7ELNS1_3repE0EEENS1_30default_config_static_selectorELNS0_4arch9wavefront6targetE0EEEvSZ_.uses_flat_scratch, 0
	.set _ZN7rocprim17ROCPRIM_400000_NS6detail17trampoline_kernelINS0_13select_configILj256ELj13ELNS0_17block_load_methodE3ELS4_3ELS4_3ELNS0_20block_scan_algorithmE0ELj4294967295EEENS1_25partition_config_selectorILNS1_17partition_subalgoE4EjNS0_10empty_typeEbEEZZNS1_14partition_implILS8_4ELb0ES6_15HIP_vector_typeIjLj2EENS0_17counting_iteratorIjlEEPS9_SG_NS0_5tupleIJPjSI_NS0_16reverse_iteratorISI_EEEEENSH_IJSG_SG_SG_EEES9_SI_JZNS1_25segmented_radix_sort_implINS0_14default_configELb0EPKlPlSQ_SR_N2at6native12_GLOBAL__N_18offset_tEEE10hipError_tPvRmT1_PNSt15iterator_traitsISZ_E10value_typeET2_T3_PNS10_IS15_E10value_typeET4_jRbjT5_S1B_jjP12ihipStream_tbEUljE_ZNSN_ISO_Lb0ESQ_SR_SQ_SR_SV_EESW_SX_SY_SZ_S13_S14_S15_S18_S19_jS1A_jS1B_S1B_jjS1D_bEUljE0_EEESW_SX_SY_S15_S19_S1B_T6_T7_T9_mT8_S1D_bDpT10_ENKUlT_T0_E_clISt17integral_constantIbLb0EES1R_EEDaS1M_S1N_EUlS1M_E_NS1_11comp_targetILNS1_3genE3ELNS1_11target_archE908ELNS1_3gpuE7ELNS1_3repE0EEENS1_30default_config_static_selectorELNS0_4arch9wavefront6targetE0EEEvSZ_.has_dyn_sized_stack, 0
	.set _ZN7rocprim17ROCPRIM_400000_NS6detail17trampoline_kernelINS0_13select_configILj256ELj13ELNS0_17block_load_methodE3ELS4_3ELS4_3ELNS0_20block_scan_algorithmE0ELj4294967295EEENS1_25partition_config_selectorILNS1_17partition_subalgoE4EjNS0_10empty_typeEbEEZZNS1_14partition_implILS8_4ELb0ES6_15HIP_vector_typeIjLj2EENS0_17counting_iteratorIjlEEPS9_SG_NS0_5tupleIJPjSI_NS0_16reverse_iteratorISI_EEEEENSH_IJSG_SG_SG_EEES9_SI_JZNS1_25segmented_radix_sort_implINS0_14default_configELb0EPKlPlSQ_SR_N2at6native12_GLOBAL__N_18offset_tEEE10hipError_tPvRmT1_PNSt15iterator_traitsISZ_E10value_typeET2_T3_PNS10_IS15_E10value_typeET4_jRbjT5_S1B_jjP12ihipStream_tbEUljE_ZNSN_ISO_Lb0ESQ_SR_SQ_SR_SV_EESW_SX_SY_SZ_S13_S14_S15_S18_S19_jS1A_jS1B_S1B_jjS1D_bEUljE0_EEESW_SX_SY_S15_S19_S1B_T6_T7_T9_mT8_S1D_bDpT10_ENKUlT_T0_E_clISt17integral_constantIbLb0EES1R_EEDaS1M_S1N_EUlS1M_E_NS1_11comp_targetILNS1_3genE3ELNS1_11target_archE908ELNS1_3gpuE7ELNS1_3repE0EEENS1_30default_config_static_selectorELNS0_4arch9wavefront6targetE0EEEvSZ_.has_recursion, 0
	.set _ZN7rocprim17ROCPRIM_400000_NS6detail17trampoline_kernelINS0_13select_configILj256ELj13ELNS0_17block_load_methodE3ELS4_3ELS4_3ELNS0_20block_scan_algorithmE0ELj4294967295EEENS1_25partition_config_selectorILNS1_17partition_subalgoE4EjNS0_10empty_typeEbEEZZNS1_14partition_implILS8_4ELb0ES6_15HIP_vector_typeIjLj2EENS0_17counting_iteratorIjlEEPS9_SG_NS0_5tupleIJPjSI_NS0_16reverse_iteratorISI_EEEEENSH_IJSG_SG_SG_EEES9_SI_JZNS1_25segmented_radix_sort_implINS0_14default_configELb0EPKlPlSQ_SR_N2at6native12_GLOBAL__N_18offset_tEEE10hipError_tPvRmT1_PNSt15iterator_traitsISZ_E10value_typeET2_T3_PNS10_IS15_E10value_typeET4_jRbjT5_S1B_jjP12ihipStream_tbEUljE_ZNSN_ISO_Lb0ESQ_SR_SQ_SR_SV_EESW_SX_SY_SZ_S13_S14_S15_S18_S19_jS1A_jS1B_S1B_jjS1D_bEUljE0_EEESW_SX_SY_S15_S19_S1B_T6_T7_T9_mT8_S1D_bDpT10_ENKUlT_T0_E_clISt17integral_constantIbLb0EES1R_EEDaS1M_S1N_EUlS1M_E_NS1_11comp_targetILNS1_3genE3ELNS1_11target_archE908ELNS1_3gpuE7ELNS1_3repE0EEENS1_30default_config_static_selectorELNS0_4arch9wavefront6targetE0EEEvSZ_.has_indirect_call, 0
	.section	.AMDGPU.csdata,"",@progbits
; Kernel info:
; codeLenInByte = 0
; TotalNumSgprs: 0
; NumVgprs: 0
; ScratchSize: 0
; MemoryBound: 0
; FloatMode: 240
; IeeeMode: 1
; LDSByteSize: 0 bytes/workgroup (compile time only)
; SGPRBlocks: 0
; VGPRBlocks: 0
; NumSGPRsForWavesPerEU: 1
; NumVGPRsForWavesPerEU: 1
; NamedBarCnt: 0
; Occupancy: 16
; WaveLimiterHint : 0
; COMPUTE_PGM_RSRC2:SCRATCH_EN: 0
; COMPUTE_PGM_RSRC2:USER_SGPR: 2
; COMPUTE_PGM_RSRC2:TRAP_HANDLER: 0
; COMPUTE_PGM_RSRC2:TGID_X_EN: 1
; COMPUTE_PGM_RSRC2:TGID_Y_EN: 0
; COMPUTE_PGM_RSRC2:TGID_Z_EN: 0
; COMPUTE_PGM_RSRC2:TIDIG_COMP_CNT: 0
	.section	.text._ZN7rocprim17ROCPRIM_400000_NS6detail17trampoline_kernelINS0_13select_configILj256ELj13ELNS0_17block_load_methodE3ELS4_3ELS4_3ELNS0_20block_scan_algorithmE0ELj4294967295EEENS1_25partition_config_selectorILNS1_17partition_subalgoE4EjNS0_10empty_typeEbEEZZNS1_14partition_implILS8_4ELb0ES6_15HIP_vector_typeIjLj2EENS0_17counting_iteratorIjlEEPS9_SG_NS0_5tupleIJPjSI_NS0_16reverse_iteratorISI_EEEEENSH_IJSG_SG_SG_EEES9_SI_JZNS1_25segmented_radix_sort_implINS0_14default_configELb0EPKlPlSQ_SR_N2at6native12_GLOBAL__N_18offset_tEEE10hipError_tPvRmT1_PNSt15iterator_traitsISZ_E10value_typeET2_T3_PNS10_IS15_E10value_typeET4_jRbjT5_S1B_jjP12ihipStream_tbEUljE_ZNSN_ISO_Lb0ESQ_SR_SQ_SR_SV_EESW_SX_SY_SZ_S13_S14_S15_S18_S19_jS1A_jS1B_S1B_jjS1D_bEUljE0_EEESW_SX_SY_S15_S19_S1B_T6_T7_T9_mT8_S1D_bDpT10_ENKUlT_T0_E_clISt17integral_constantIbLb0EES1R_EEDaS1M_S1N_EUlS1M_E_NS1_11comp_targetILNS1_3genE2ELNS1_11target_archE906ELNS1_3gpuE6ELNS1_3repE0EEENS1_30default_config_static_selectorELNS0_4arch9wavefront6targetE0EEEvSZ_,"axG",@progbits,_ZN7rocprim17ROCPRIM_400000_NS6detail17trampoline_kernelINS0_13select_configILj256ELj13ELNS0_17block_load_methodE3ELS4_3ELS4_3ELNS0_20block_scan_algorithmE0ELj4294967295EEENS1_25partition_config_selectorILNS1_17partition_subalgoE4EjNS0_10empty_typeEbEEZZNS1_14partition_implILS8_4ELb0ES6_15HIP_vector_typeIjLj2EENS0_17counting_iteratorIjlEEPS9_SG_NS0_5tupleIJPjSI_NS0_16reverse_iteratorISI_EEEEENSH_IJSG_SG_SG_EEES9_SI_JZNS1_25segmented_radix_sort_implINS0_14default_configELb0EPKlPlSQ_SR_N2at6native12_GLOBAL__N_18offset_tEEE10hipError_tPvRmT1_PNSt15iterator_traitsISZ_E10value_typeET2_T3_PNS10_IS15_E10value_typeET4_jRbjT5_S1B_jjP12ihipStream_tbEUljE_ZNSN_ISO_Lb0ESQ_SR_SQ_SR_SV_EESW_SX_SY_SZ_S13_S14_S15_S18_S19_jS1A_jS1B_S1B_jjS1D_bEUljE0_EEESW_SX_SY_S15_S19_S1B_T6_T7_T9_mT8_S1D_bDpT10_ENKUlT_T0_E_clISt17integral_constantIbLb0EES1R_EEDaS1M_S1N_EUlS1M_E_NS1_11comp_targetILNS1_3genE2ELNS1_11target_archE906ELNS1_3gpuE6ELNS1_3repE0EEENS1_30default_config_static_selectorELNS0_4arch9wavefront6targetE0EEEvSZ_,comdat
	.globl	_ZN7rocprim17ROCPRIM_400000_NS6detail17trampoline_kernelINS0_13select_configILj256ELj13ELNS0_17block_load_methodE3ELS4_3ELS4_3ELNS0_20block_scan_algorithmE0ELj4294967295EEENS1_25partition_config_selectorILNS1_17partition_subalgoE4EjNS0_10empty_typeEbEEZZNS1_14partition_implILS8_4ELb0ES6_15HIP_vector_typeIjLj2EENS0_17counting_iteratorIjlEEPS9_SG_NS0_5tupleIJPjSI_NS0_16reverse_iteratorISI_EEEEENSH_IJSG_SG_SG_EEES9_SI_JZNS1_25segmented_radix_sort_implINS0_14default_configELb0EPKlPlSQ_SR_N2at6native12_GLOBAL__N_18offset_tEEE10hipError_tPvRmT1_PNSt15iterator_traitsISZ_E10value_typeET2_T3_PNS10_IS15_E10value_typeET4_jRbjT5_S1B_jjP12ihipStream_tbEUljE_ZNSN_ISO_Lb0ESQ_SR_SQ_SR_SV_EESW_SX_SY_SZ_S13_S14_S15_S18_S19_jS1A_jS1B_S1B_jjS1D_bEUljE0_EEESW_SX_SY_S15_S19_S1B_T6_T7_T9_mT8_S1D_bDpT10_ENKUlT_T0_E_clISt17integral_constantIbLb0EES1R_EEDaS1M_S1N_EUlS1M_E_NS1_11comp_targetILNS1_3genE2ELNS1_11target_archE906ELNS1_3gpuE6ELNS1_3repE0EEENS1_30default_config_static_selectorELNS0_4arch9wavefront6targetE0EEEvSZ_ ; -- Begin function _ZN7rocprim17ROCPRIM_400000_NS6detail17trampoline_kernelINS0_13select_configILj256ELj13ELNS0_17block_load_methodE3ELS4_3ELS4_3ELNS0_20block_scan_algorithmE0ELj4294967295EEENS1_25partition_config_selectorILNS1_17partition_subalgoE4EjNS0_10empty_typeEbEEZZNS1_14partition_implILS8_4ELb0ES6_15HIP_vector_typeIjLj2EENS0_17counting_iteratorIjlEEPS9_SG_NS0_5tupleIJPjSI_NS0_16reverse_iteratorISI_EEEEENSH_IJSG_SG_SG_EEES9_SI_JZNS1_25segmented_radix_sort_implINS0_14default_configELb0EPKlPlSQ_SR_N2at6native12_GLOBAL__N_18offset_tEEE10hipError_tPvRmT1_PNSt15iterator_traitsISZ_E10value_typeET2_T3_PNS10_IS15_E10value_typeET4_jRbjT5_S1B_jjP12ihipStream_tbEUljE_ZNSN_ISO_Lb0ESQ_SR_SQ_SR_SV_EESW_SX_SY_SZ_S13_S14_S15_S18_S19_jS1A_jS1B_S1B_jjS1D_bEUljE0_EEESW_SX_SY_S15_S19_S1B_T6_T7_T9_mT8_S1D_bDpT10_ENKUlT_T0_E_clISt17integral_constantIbLb0EES1R_EEDaS1M_S1N_EUlS1M_E_NS1_11comp_targetILNS1_3genE2ELNS1_11target_archE906ELNS1_3gpuE6ELNS1_3repE0EEENS1_30default_config_static_selectorELNS0_4arch9wavefront6targetE0EEEvSZ_
	.p2align	8
	.type	_ZN7rocprim17ROCPRIM_400000_NS6detail17trampoline_kernelINS0_13select_configILj256ELj13ELNS0_17block_load_methodE3ELS4_3ELS4_3ELNS0_20block_scan_algorithmE0ELj4294967295EEENS1_25partition_config_selectorILNS1_17partition_subalgoE4EjNS0_10empty_typeEbEEZZNS1_14partition_implILS8_4ELb0ES6_15HIP_vector_typeIjLj2EENS0_17counting_iteratorIjlEEPS9_SG_NS0_5tupleIJPjSI_NS0_16reverse_iteratorISI_EEEEENSH_IJSG_SG_SG_EEES9_SI_JZNS1_25segmented_radix_sort_implINS0_14default_configELb0EPKlPlSQ_SR_N2at6native12_GLOBAL__N_18offset_tEEE10hipError_tPvRmT1_PNSt15iterator_traitsISZ_E10value_typeET2_T3_PNS10_IS15_E10value_typeET4_jRbjT5_S1B_jjP12ihipStream_tbEUljE_ZNSN_ISO_Lb0ESQ_SR_SQ_SR_SV_EESW_SX_SY_SZ_S13_S14_S15_S18_S19_jS1A_jS1B_S1B_jjS1D_bEUljE0_EEESW_SX_SY_S15_S19_S1B_T6_T7_T9_mT8_S1D_bDpT10_ENKUlT_T0_E_clISt17integral_constantIbLb0EES1R_EEDaS1M_S1N_EUlS1M_E_NS1_11comp_targetILNS1_3genE2ELNS1_11target_archE906ELNS1_3gpuE6ELNS1_3repE0EEENS1_30default_config_static_selectorELNS0_4arch9wavefront6targetE0EEEvSZ_,@function
_ZN7rocprim17ROCPRIM_400000_NS6detail17trampoline_kernelINS0_13select_configILj256ELj13ELNS0_17block_load_methodE3ELS4_3ELS4_3ELNS0_20block_scan_algorithmE0ELj4294967295EEENS1_25partition_config_selectorILNS1_17partition_subalgoE4EjNS0_10empty_typeEbEEZZNS1_14partition_implILS8_4ELb0ES6_15HIP_vector_typeIjLj2EENS0_17counting_iteratorIjlEEPS9_SG_NS0_5tupleIJPjSI_NS0_16reverse_iteratorISI_EEEEENSH_IJSG_SG_SG_EEES9_SI_JZNS1_25segmented_radix_sort_implINS0_14default_configELb0EPKlPlSQ_SR_N2at6native12_GLOBAL__N_18offset_tEEE10hipError_tPvRmT1_PNSt15iterator_traitsISZ_E10value_typeET2_T3_PNS10_IS15_E10value_typeET4_jRbjT5_S1B_jjP12ihipStream_tbEUljE_ZNSN_ISO_Lb0ESQ_SR_SQ_SR_SV_EESW_SX_SY_SZ_S13_S14_S15_S18_S19_jS1A_jS1B_S1B_jjS1D_bEUljE0_EEESW_SX_SY_S15_S19_S1B_T6_T7_T9_mT8_S1D_bDpT10_ENKUlT_T0_E_clISt17integral_constantIbLb0EES1R_EEDaS1M_S1N_EUlS1M_E_NS1_11comp_targetILNS1_3genE2ELNS1_11target_archE906ELNS1_3gpuE6ELNS1_3repE0EEENS1_30default_config_static_selectorELNS0_4arch9wavefront6targetE0EEEvSZ_: ; @_ZN7rocprim17ROCPRIM_400000_NS6detail17trampoline_kernelINS0_13select_configILj256ELj13ELNS0_17block_load_methodE3ELS4_3ELS4_3ELNS0_20block_scan_algorithmE0ELj4294967295EEENS1_25partition_config_selectorILNS1_17partition_subalgoE4EjNS0_10empty_typeEbEEZZNS1_14partition_implILS8_4ELb0ES6_15HIP_vector_typeIjLj2EENS0_17counting_iteratorIjlEEPS9_SG_NS0_5tupleIJPjSI_NS0_16reverse_iteratorISI_EEEEENSH_IJSG_SG_SG_EEES9_SI_JZNS1_25segmented_radix_sort_implINS0_14default_configELb0EPKlPlSQ_SR_N2at6native12_GLOBAL__N_18offset_tEEE10hipError_tPvRmT1_PNSt15iterator_traitsISZ_E10value_typeET2_T3_PNS10_IS15_E10value_typeET4_jRbjT5_S1B_jjP12ihipStream_tbEUljE_ZNSN_ISO_Lb0ESQ_SR_SQ_SR_SV_EESW_SX_SY_SZ_S13_S14_S15_S18_S19_jS1A_jS1B_S1B_jjS1D_bEUljE0_EEESW_SX_SY_S15_S19_S1B_T6_T7_T9_mT8_S1D_bDpT10_ENKUlT_T0_E_clISt17integral_constantIbLb0EES1R_EEDaS1M_S1N_EUlS1M_E_NS1_11comp_targetILNS1_3genE2ELNS1_11target_archE906ELNS1_3gpuE6ELNS1_3repE0EEENS1_30default_config_static_selectorELNS0_4arch9wavefront6targetE0EEEvSZ_
; %bb.0:
	.section	.rodata,"a",@progbits
	.p2align	6, 0x0
	.amdhsa_kernel _ZN7rocprim17ROCPRIM_400000_NS6detail17trampoline_kernelINS0_13select_configILj256ELj13ELNS0_17block_load_methodE3ELS4_3ELS4_3ELNS0_20block_scan_algorithmE0ELj4294967295EEENS1_25partition_config_selectorILNS1_17partition_subalgoE4EjNS0_10empty_typeEbEEZZNS1_14partition_implILS8_4ELb0ES6_15HIP_vector_typeIjLj2EENS0_17counting_iteratorIjlEEPS9_SG_NS0_5tupleIJPjSI_NS0_16reverse_iteratorISI_EEEEENSH_IJSG_SG_SG_EEES9_SI_JZNS1_25segmented_radix_sort_implINS0_14default_configELb0EPKlPlSQ_SR_N2at6native12_GLOBAL__N_18offset_tEEE10hipError_tPvRmT1_PNSt15iterator_traitsISZ_E10value_typeET2_T3_PNS10_IS15_E10value_typeET4_jRbjT5_S1B_jjP12ihipStream_tbEUljE_ZNSN_ISO_Lb0ESQ_SR_SQ_SR_SV_EESW_SX_SY_SZ_S13_S14_S15_S18_S19_jS1A_jS1B_S1B_jjS1D_bEUljE0_EEESW_SX_SY_S15_S19_S1B_T6_T7_T9_mT8_S1D_bDpT10_ENKUlT_T0_E_clISt17integral_constantIbLb0EES1R_EEDaS1M_S1N_EUlS1M_E_NS1_11comp_targetILNS1_3genE2ELNS1_11target_archE906ELNS1_3gpuE6ELNS1_3repE0EEENS1_30default_config_static_selectorELNS0_4arch9wavefront6targetE0EEEvSZ_
		.amdhsa_group_segment_fixed_size 0
		.amdhsa_private_segment_fixed_size 0
		.amdhsa_kernarg_size 176
		.amdhsa_user_sgpr_count 2
		.amdhsa_user_sgpr_dispatch_ptr 0
		.amdhsa_user_sgpr_queue_ptr 0
		.amdhsa_user_sgpr_kernarg_segment_ptr 1
		.amdhsa_user_sgpr_dispatch_id 0
		.amdhsa_user_sgpr_kernarg_preload_length 0
		.amdhsa_user_sgpr_kernarg_preload_offset 0
		.amdhsa_user_sgpr_private_segment_size 0
		.amdhsa_wavefront_size32 1
		.amdhsa_uses_dynamic_stack 0
		.amdhsa_enable_private_segment 0
		.amdhsa_system_sgpr_workgroup_id_x 1
		.amdhsa_system_sgpr_workgroup_id_y 0
		.amdhsa_system_sgpr_workgroup_id_z 0
		.amdhsa_system_sgpr_workgroup_info 0
		.amdhsa_system_vgpr_workitem_id 0
		.amdhsa_next_free_vgpr 1
		.amdhsa_next_free_sgpr 1
		.amdhsa_named_barrier_count 0
		.amdhsa_reserve_vcc 0
		.amdhsa_float_round_mode_32 0
		.amdhsa_float_round_mode_16_64 0
		.amdhsa_float_denorm_mode_32 3
		.amdhsa_float_denorm_mode_16_64 3
		.amdhsa_fp16_overflow 0
		.amdhsa_memory_ordered 1
		.amdhsa_forward_progress 1
		.amdhsa_inst_pref_size 0
		.amdhsa_round_robin_scheduling 0
		.amdhsa_exception_fp_ieee_invalid_op 0
		.amdhsa_exception_fp_denorm_src 0
		.amdhsa_exception_fp_ieee_div_zero 0
		.amdhsa_exception_fp_ieee_overflow 0
		.amdhsa_exception_fp_ieee_underflow 0
		.amdhsa_exception_fp_ieee_inexact 0
		.amdhsa_exception_int_div_zero 0
	.end_amdhsa_kernel
	.section	.text._ZN7rocprim17ROCPRIM_400000_NS6detail17trampoline_kernelINS0_13select_configILj256ELj13ELNS0_17block_load_methodE3ELS4_3ELS4_3ELNS0_20block_scan_algorithmE0ELj4294967295EEENS1_25partition_config_selectorILNS1_17partition_subalgoE4EjNS0_10empty_typeEbEEZZNS1_14partition_implILS8_4ELb0ES6_15HIP_vector_typeIjLj2EENS0_17counting_iteratorIjlEEPS9_SG_NS0_5tupleIJPjSI_NS0_16reverse_iteratorISI_EEEEENSH_IJSG_SG_SG_EEES9_SI_JZNS1_25segmented_radix_sort_implINS0_14default_configELb0EPKlPlSQ_SR_N2at6native12_GLOBAL__N_18offset_tEEE10hipError_tPvRmT1_PNSt15iterator_traitsISZ_E10value_typeET2_T3_PNS10_IS15_E10value_typeET4_jRbjT5_S1B_jjP12ihipStream_tbEUljE_ZNSN_ISO_Lb0ESQ_SR_SQ_SR_SV_EESW_SX_SY_SZ_S13_S14_S15_S18_S19_jS1A_jS1B_S1B_jjS1D_bEUljE0_EEESW_SX_SY_S15_S19_S1B_T6_T7_T9_mT8_S1D_bDpT10_ENKUlT_T0_E_clISt17integral_constantIbLb0EES1R_EEDaS1M_S1N_EUlS1M_E_NS1_11comp_targetILNS1_3genE2ELNS1_11target_archE906ELNS1_3gpuE6ELNS1_3repE0EEENS1_30default_config_static_selectorELNS0_4arch9wavefront6targetE0EEEvSZ_,"axG",@progbits,_ZN7rocprim17ROCPRIM_400000_NS6detail17trampoline_kernelINS0_13select_configILj256ELj13ELNS0_17block_load_methodE3ELS4_3ELS4_3ELNS0_20block_scan_algorithmE0ELj4294967295EEENS1_25partition_config_selectorILNS1_17partition_subalgoE4EjNS0_10empty_typeEbEEZZNS1_14partition_implILS8_4ELb0ES6_15HIP_vector_typeIjLj2EENS0_17counting_iteratorIjlEEPS9_SG_NS0_5tupleIJPjSI_NS0_16reverse_iteratorISI_EEEEENSH_IJSG_SG_SG_EEES9_SI_JZNS1_25segmented_radix_sort_implINS0_14default_configELb0EPKlPlSQ_SR_N2at6native12_GLOBAL__N_18offset_tEEE10hipError_tPvRmT1_PNSt15iterator_traitsISZ_E10value_typeET2_T3_PNS10_IS15_E10value_typeET4_jRbjT5_S1B_jjP12ihipStream_tbEUljE_ZNSN_ISO_Lb0ESQ_SR_SQ_SR_SV_EESW_SX_SY_SZ_S13_S14_S15_S18_S19_jS1A_jS1B_S1B_jjS1D_bEUljE0_EEESW_SX_SY_S15_S19_S1B_T6_T7_T9_mT8_S1D_bDpT10_ENKUlT_T0_E_clISt17integral_constantIbLb0EES1R_EEDaS1M_S1N_EUlS1M_E_NS1_11comp_targetILNS1_3genE2ELNS1_11target_archE906ELNS1_3gpuE6ELNS1_3repE0EEENS1_30default_config_static_selectorELNS0_4arch9wavefront6targetE0EEEvSZ_,comdat
.Lfunc_end743:
	.size	_ZN7rocprim17ROCPRIM_400000_NS6detail17trampoline_kernelINS0_13select_configILj256ELj13ELNS0_17block_load_methodE3ELS4_3ELS4_3ELNS0_20block_scan_algorithmE0ELj4294967295EEENS1_25partition_config_selectorILNS1_17partition_subalgoE4EjNS0_10empty_typeEbEEZZNS1_14partition_implILS8_4ELb0ES6_15HIP_vector_typeIjLj2EENS0_17counting_iteratorIjlEEPS9_SG_NS0_5tupleIJPjSI_NS0_16reverse_iteratorISI_EEEEENSH_IJSG_SG_SG_EEES9_SI_JZNS1_25segmented_radix_sort_implINS0_14default_configELb0EPKlPlSQ_SR_N2at6native12_GLOBAL__N_18offset_tEEE10hipError_tPvRmT1_PNSt15iterator_traitsISZ_E10value_typeET2_T3_PNS10_IS15_E10value_typeET4_jRbjT5_S1B_jjP12ihipStream_tbEUljE_ZNSN_ISO_Lb0ESQ_SR_SQ_SR_SV_EESW_SX_SY_SZ_S13_S14_S15_S18_S19_jS1A_jS1B_S1B_jjS1D_bEUljE0_EEESW_SX_SY_S15_S19_S1B_T6_T7_T9_mT8_S1D_bDpT10_ENKUlT_T0_E_clISt17integral_constantIbLb0EES1R_EEDaS1M_S1N_EUlS1M_E_NS1_11comp_targetILNS1_3genE2ELNS1_11target_archE906ELNS1_3gpuE6ELNS1_3repE0EEENS1_30default_config_static_selectorELNS0_4arch9wavefront6targetE0EEEvSZ_, .Lfunc_end743-_ZN7rocprim17ROCPRIM_400000_NS6detail17trampoline_kernelINS0_13select_configILj256ELj13ELNS0_17block_load_methodE3ELS4_3ELS4_3ELNS0_20block_scan_algorithmE0ELj4294967295EEENS1_25partition_config_selectorILNS1_17partition_subalgoE4EjNS0_10empty_typeEbEEZZNS1_14partition_implILS8_4ELb0ES6_15HIP_vector_typeIjLj2EENS0_17counting_iteratorIjlEEPS9_SG_NS0_5tupleIJPjSI_NS0_16reverse_iteratorISI_EEEEENSH_IJSG_SG_SG_EEES9_SI_JZNS1_25segmented_radix_sort_implINS0_14default_configELb0EPKlPlSQ_SR_N2at6native12_GLOBAL__N_18offset_tEEE10hipError_tPvRmT1_PNSt15iterator_traitsISZ_E10value_typeET2_T3_PNS10_IS15_E10value_typeET4_jRbjT5_S1B_jjP12ihipStream_tbEUljE_ZNSN_ISO_Lb0ESQ_SR_SQ_SR_SV_EESW_SX_SY_SZ_S13_S14_S15_S18_S19_jS1A_jS1B_S1B_jjS1D_bEUljE0_EEESW_SX_SY_S15_S19_S1B_T6_T7_T9_mT8_S1D_bDpT10_ENKUlT_T0_E_clISt17integral_constantIbLb0EES1R_EEDaS1M_S1N_EUlS1M_E_NS1_11comp_targetILNS1_3genE2ELNS1_11target_archE906ELNS1_3gpuE6ELNS1_3repE0EEENS1_30default_config_static_selectorELNS0_4arch9wavefront6targetE0EEEvSZ_
                                        ; -- End function
	.set _ZN7rocprim17ROCPRIM_400000_NS6detail17trampoline_kernelINS0_13select_configILj256ELj13ELNS0_17block_load_methodE3ELS4_3ELS4_3ELNS0_20block_scan_algorithmE0ELj4294967295EEENS1_25partition_config_selectorILNS1_17partition_subalgoE4EjNS0_10empty_typeEbEEZZNS1_14partition_implILS8_4ELb0ES6_15HIP_vector_typeIjLj2EENS0_17counting_iteratorIjlEEPS9_SG_NS0_5tupleIJPjSI_NS0_16reverse_iteratorISI_EEEEENSH_IJSG_SG_SG_EEES9_SI_JZNS1_25segmented_radix_sort_implINS0_14default_configELb0EPKlPlSQ_SR_N2at6native12_GLOBAL__N_18offset_tEEE10hipError_tPvRmT1_PNSt15iterator_traitsISZ_E10value_typeET2_T3_PNS10_IS15_E10value_typeET4_jRbjT5_S1B_jjP12ihipStream_tbEUljE_ZNSN_ISO_Lb0ESQ_SR_SQ_SR_SV_EESW_SX_SY_SZ_S13_S14_S15_S18_S19_jS1A_jS1B_S1B_jjS1D_bEUljE0_EEESW_SX_SY_S15_S19_S1B_T6_T7_T9_mT8_S1D_bDpT10_ENKUlT_T0_E_clISt17integral_constantIbLb0EES1R_EEDaS1M_S1N_EUlS1M_E_NS1_11comp_targetILNS1_3genE2ELNS1_11target_archE906ELNS1_3gpuE6ELNS1_3repE0EEENS1_30default_config_static_selectorELNS0_4arch9wavefront6targetE0EEEvSZ_.num_vgpr, 0
	.set _ZN7rocprim17ROCPRIM_400000_NS6detail17trampoline_kernelINS0_13select_configILj256ELj13ELNS0_17block_load_methodE3ELS4_3ELS4_3ELNS0_20block_scan_algorithmE0ELj4294967295EEENS1_25partition_config_selectorILNS1_17partition_subalgoE4EjNS0_10empty_typeEbEEZZNS1_14partition_implILS8_4ELb0ES6_15HIP_vector_typeIjLj2EENS0_17counting_iteratorIjlEEPS9_SG_NS0_5tupleIJPjSI_NS0_16reverse_iteratorISI_EEEEENSH_IJSG_SG_SG_EEES9_SI_JZNS1_25segmented_radix_sort_implINS0_14default_configELb0EPKlPlSQ_SR_N2at6native12_GLOBAL__N_18offset_tEEE10hipError_tPvRmT1_PNSt15iterator_traitsISZ_E10value_typeET2_T3_PNS10_IS15_E10value_typeET4_jRbjT5_S1B_jjP12ihipStream_tbEUljE_ZNSN_ISO_Lb0ESQ_SR_SQ_SR_SV_EESW_SX_SY_SZ_S13_S14_S15_S18_S19_jS1A_jS1B_S1B_jjS1D_bEUljE0_EEESW_SX_SY_S15_S19_S1B_T6_T7_T9_mT8_S1D_bDpT10_ENKUlT_T0_E_clISt17integral_constantIbLb0EES1R_EEDaS1M_S1N_EUlS1M_E_NS1_11comp_targetILNS1_3genE2ELNS1_11target_archE906ELNS1_3gpuE6ELNS1_3repE0EEENS1_30default_config_static_selectorELNS0_4arch9wavefront6targetE0EEEvSZ_.num_agpr, 0
	.set _ZN7rocprim17ROCPRIM_400000_NS6detail17trampoline_kernelINS0_13select_configILj256ELj13ELNS0_17block_load_methodE3ELS4_3ELS4_3ELNS0_20block_scan_algorithmE0ELj4294967295EEENS1_25partition_config_selectorILNS1_17partition_subalgoE4EjNS0_10empty_typeEbEEZZNS1_14partition_implILS8_4ELb0ES6_15HIP_vector_typeIjLj2EENS0_17counting_iteratorIjlEEPS9_SG_NS0_5tupleIJPjSI_NS0_16reverse_iteratorISI_EEEEENSH_IJSG_SG_SG_EEES9_SI_JZNS1_25segmented_radix_sort_implINS0_14default_configELb0EPKlPlSQ_SR_N2at6native12_GLOBAL__N_18offset_tEEE10hipError_tPvRmT1_PNSt15iterator_traitsISZ_E10value_typeET2_T3_PNS10_IS15_E10value_typeET4_jRbjT5_S1B_jjP12ihipStream_tbEUljE_ZNSN_ISO_Lb0ESQ_SR_SQ_SR_SV_EESW_SX_SY_SZ_S13_S14_S15_S18_S19_jS1A_jS1B_S1B_jjS1D_bEUljE0_EEESW_SX_SY_S15_S19_S1B_T6_T7_T9_mT8_S1D_bDpT10_ENKUlT_T0_E_clISt17integral_constantIbLb0EES1R_EEDaS1M_S1N_EUlS1M_E_NS1_11comp_targetILNS1_3genE2ELNS1_11target_archE906ELNS1_3gpuE6ELNS1_3repE0EEENS1_30default_config_static_selectorELNS0_4arch9wavefront6targetE0EEEvSZ_.numbered_sgpr, 0
	.set _ZN7rocprim17ROCPRIM_400000_NS6detail17trampoline_kernelINS0_13select_configILj256ELj13ELNS0_17block_load_methodE3ELS4_3ELS4_3ELNS0_20block_scan_algorithmE0ELj4294967295EEENS1_25partition_config_selectorILNS1_17partition_subalgoE4EjNS0_10empty_typeEbEEZZNS1_14partition_implILS8_4ELb0ES6_15HIP_vector_typeIjLj2EENS0_17counting_iteratorIjlEEPS9_SG_NS0_5tupleIJPjSI_NS0_16reverse_iteratorISI_EEEEENSH_IJSG_SG_SG_EEES9_SI_JZNS1_25segmented_radix_sort_implINS0_14default_configELb0EPKlPlSQ_SR_N2at6native12_GLOBAL__N_18offset_tEEE10hipError_tPvRmT1_PNSt15iterator_traitsISZ_E10value_typeET2_T3_PNS10_IS15_E10value_typeET4_jRbjT5_S1B_jjP12ihipStream_tbEUljE_ZNSN_ISO_Lb0ESQ_SR_SQ_SR_SV_EESW_SX_SY_SZ_S13_S14_S15_S18_S19_jS1A_jS1B_S1B_jjS1D_bEUljE0_EEESW_SX_SY_S15_S19_S1B_T6_T7_T9_mT8_S1D_bDpT10_ENKUlT_T0_E_clISt17integral_constantIbLb0EES1R_EEDaS1M_S1N_EUlS1M_E_NS1_11comp_targetILNS1_3genE2ELNS1_11target_archE906ELNS1_3gpuE6ELNS1_3repE0EEENS1_30default_config_static_selectorELNS0_4arch9wavefront6targetE0EEEvSZ_.num_named_barrier, 0
	.set _ZN7rocprim17ROCPRIM_400000_NS6detail17trampoline_kernelINS0_13select_configILj256ELj13ELNS0_17block_load_methodE3ELS4_3ELS4_3ELNS0_20block_scan_algorithmE0ELj4294967295EEENS1_25partition_config_selectorILNS1_17partition_subalgoE4EjNS0_10empty_typeEbEEZZNS1_14partition_implILS8_4ELb0ES6_15HIP_vector_typeIjLj2EENS0_17counting_iteratorIjlEEPS9_SG_NS0_5tupleIJPjSI_NS0_16reverse_iteratorISI_EEEEENSH_IJSG_SG_SG_EEES9_SI_JZNS1_25segmented_radix_sort_implINS0_14default_configELb0EPKlPlSQ_SR_N2at6native12_GLOBAL__N_18offset_tEEE10hipError_tPvRmT1_PNSt15iterator_traitsISZ_E10value_typeET2_T3_PNS10_IS15_E10value_typeET4_jRbjT5_S1B_jjP12ihipStream_tbEUljE_ZNSN_ISO_Lb0ESQ_SR_SQ_SR_SV_EESW_SX_SY_SZ_S13_S14_S15_S18_S19_jS1A_jS1B_S1B_jjS1D_bEUljE0_EEESW_SX_SY_S15_S19_S1B_T6_T7_T9_mT8_S1D_bDpT10_ENKUlT_T0_E_clISt17integral_constantIbLb0EES1R_EEDaS1M_S1N_EUlS1M_E_NS1_11comp_targetILNS1_3genE2ELNS1_11target_archE906ELNS1_3gpuE6ELNS1_3repE0EEENS1_30default_config_static_selectorELNS0_4arch9wavefront6targetE0EEEvSZ_.private_seg_size, 0
	.set _ZN7rocprim17ROCPRIM_400000_NS6detail17trampoline_kernelINS0_13select_configILj256ELj13ELNS0_17block_load_methodE3ELS4_3ELS4_3ELNS0_20block_scan_algorithmE0ELj4294967295EEENS1_25partition_config_selectorILNS1_17partition_subalgoE4EjNS0_10empty_typeEbEEZZNS1_14partition_implILS8_4ELb0ES6_15HIP_vector_typeIjLj2EENS0_17counting_iteratorIjlEEPS9_SG_NS0_5tupleIJPjSI_NS0_16reverse_iteratorISI_EEEEENSH_IJSG_SG_SG_EEES9_SI_JZNS1_25segmented_radix_sort_implINS0_14default_configELb0EPKlPlSQ_SR_N2at6native12_GLOBAL__N_18offset_tEEE10hipError_tPvRmT1_PNSt15iterator_traitsISZ_E10value_typeET2_T3_PNS10_IS15_E10value_typeET4_jRbjT5_S1B_jjP12ihipStream_tbEUljE_ZNSN_ISO_Lb0ESQ_SR_SQ_SR_SV_EESW_SX_SY_SZ_S13_S14_S15_S18_S19_jS1A_jS1B_S1B_jjS1D_bEUljE0_EEESW_SX_SY_S15_S19_S1B_T6_T7_T9_mT8_S1D_bDpT10_ENKUlT_T0_E_clISt17integral_constantIbLb0EES1R_EEDaS1M_S1N_EUlS1M_E_NS1_11comp_targetILNS1_3genE2ELNS1_11target_archE906ELNS1_3gpuE6ELNS1_3repE0EEENS1_30default_config_static_selectorELNS0_4arch9wavefront6targetE0EEEvSZ_.uses_vcc, 0
	.set _ZN7rocprim17ROCPRIM_400000_NS6detail17trampoline_kernelINS0_13select_configILj256ELj13ELNS0_17block_load_methodE3ELS4_3ELS4_3ELNS0_20block_scan_algorithmE0ELj4294967295EEENS1_25partition_config_selectorILNS1_17partition_subalgoE4EjNS0_10empty_typeEbEEZZNS1_14partition_implILS8_4ELb0ES6_15HIP_vector_typeIjLj2EENS0_17counting_iteratorIjlEEPS9_SG_NS0_5tupleIJPjSI_NS0_16reverse_iteratorISI_EEEEENSH_IJSG_SG_SG_EEES9_SI_JZNS1_25segmented_radix_sort_implINS0_14default_configELb0EPKlPlSQ_SR_N2at6native12_GLOBAL__N_18offset_tEEE10hipError_tPvRmT1_PNSt15iterator_traitsISZ_E10value_typeET2_T3_PNS10_IS15_E10value_typeET4_jRbjT5_S1B_jjP12ihipStream_tbEUljE_ZNSN_ISO_Lb0ESQ_SR_SQ_SR_SV_EESW_SX_SY_SZ_S13_S14_S15_S18_S19_jS1A_jS1B_S1B_jjS1D_bEUljE0_EEESW_SX_SY_S15_S19_S1B_T6_T7_T9_mT8_S1D_bDpT10_ENKUlT_T0_E_clISt17integral_constantIbLb0EES1R_EEDaS1M_S1N_EUlS1M_E_NS1_11comp_targetILNS1_3genE2ELNS1_11target_archE906ELNS1_3gpuE6ELNS1_3repE0EEENS1_30default_config_static_selectorELNS0_4arch9wavefront6targetE0EEEvSZ_.uses_flat_scratch, 0
	.set _ZN7rocprim17ROCPRIM_400000_NS6detail17trampoline_kernelINS0_13select_configILj256ELj13ELNS0_17block_load_methodE3ELS4_3ELS4_3ELNS0_20block_scan_algorithmE0ELj4294967295EEENS1_25partition_config_selectorILNS1_17partition_subalgoE4EjNS0_10empty_typeEbEEZZNS1_14partition_implILS8_4ELb0ES6_15HIP_vector_typeIjLj2EENS0_17counting_iteratorIjlEEPS9_SG_NS0_5tupleIJPjSI_NS0_16reverse_iteratorISI_EEEEENSH_IJSG_SG_SG_EEES9_SI_JZNS1_25segmented_radix_sort_implINS0_14default_configELb0EPKlPlSQ_SR_N2at6native12_GLOBAL__N_18offset_tEEE10hipError_tPvRmT1_PNSt15iterator_traitsISZ_E10value_typeET2_T3_PNS10_IS15_E10value_typeET4_jRbjT5_S1B_jjP12ihipStream_tbEUljE_ZNSN_ISO_Lb0ESQ_SR_SQ_SR_SV_EESW_SX_SY_SZ_S13_S14_S15_S18_S19_jS1A_jS1B_S1B_jjS1D_bEUljE0_EEESW_SX_SY_S15_S19_S1B_T6_T7_T9_mT8_S1D_bDpT10_ENKUlT_T0_E_clISt17integral_constantIbLb0EES1R_EEDaS1M_S1N_EUlS1M_E_NS1_11comp_targetILNS1_3genE2ELNS1_11target_archE906ELNS1_3gpuE6ELNS1_3repE0EEENS1_30default_config_static_selectorELNS0_4arch9wavefront6targetE0EEEvSZ_.has_dyn_sized_stack, 0
	.set _ZN7rocprim17ROCPRIM_400000_NS6detail17trampoline_kernelINS0_13select_configILj256ELj13ELNS0_17block_load_methodE3ELS4_3ELS4_3ELNS0_20block_scan_algorithmE0ELj4294967295EEENS1_25partition_config_selectorILNS1_17partition_subalgoE4EjNS0_10empty_typeEbEEZZNS1_14partition_implILS8_4ELb0ES6_15HIP_vector_typeIjLj2EENS0_17counting_iteratorIjlEEPS9_SG_NS0_5tupleIJPjSI_NS0_16reverse_iteratorISI_EEEEENSH_IJSG_SG_SG_EEES9_SI_JZNS1_25segmented_radix_sort_implINS0_14default_configELb0EPKlPlSQ_SR_N2at6native12_GLOBAL__N_18offset_tEEE10hipError_tPvRmT1_PNSt15iterator_traitsISZ_E10value_typeET2_T3_PNS10_IS15_E10value_typeET4_jRbjT5_S1B_jjP12ihipStream_tbEUljE_ZNSN_ISO_Lb0ESQ_SR_SQ_SR_SV_EESW_SX_SY_SZ_S13_S14_S15_S18_S19_jS1A_jS1B_S1B_jjS1D_bEUljE0_EEESW_SX_SY_S15_S19_S1B_T6_T7_T9_mT8_S1D_bDpT10_ENKUlT_T0_E_clISt17integral_constantIbLb0EES1R_EEDaS1M_S1N_EUlS1M_E_NS1_11comp_targetILNS1_3genE2ELNS1_11target_archE906ELNS1_3gpuE6ELNS1_3repE0EEENS1_30default_config_static_selectorELNS0_4arch9wavefront6targetE0EEEvSZ_.has_recursion, 0
	.set _ZN7rocprim17ROCPRIM_400000_NS6detail17trampoline_kernelINS0_13select_configILj256ELj13ELNS0_17block_load_methodE3ELS4_3ELS4_3ELNS0_20block_scan_algorithmE0ELj4294967295EEENS1_25partition_config_selectorILNS1_17partition_subalgoE4EjNS0_10empty_typeEbEEZZNS1_14partition_implILS8_4ELb0ES6_15HIP_vector_typeIjLj2EENS0_17counting_iteratorIjlEEPS9_SG_NS0_5tupleIJPjSI_NS0_16reverse_iteratorISI_EEEEENSH_IJSG_SG_SG_EEES9_SI_JZNS1_25segmented_radix_sort_implINS0_14default_configELb0EPKlPlSQ_SR_N2at6native12_GLOBAL__N_18offset_tEEE10hipError_tPvRmT1_PNSt15iterator_traitsISZ_E10value_typeET2_T3_PNS10_IS15_E10value_typeET4_jRbjT5_S1B_jjP12ihipStream_tbEUljE_ZNSN_ISO_Lb0ESQ_SR_SQ_SR_SV_EESW_SX_SY_SZ_S13_S14_S15_S18_S19_jS1A_jS1B_S1B_jjS1D_bEUljE0_EEESW_SX_SY_S15_S19_S1B_T6_T7_T9_mT8_S1D_bDpT10_ENKUlT_T0_E_clISt17integral_constantIbLb0EES1R_EEDaS1M_S1N_EUlS1M_E_NS1_11comp_targetILNS1_3genE2ELNS1_11target_archE906ELNS1_3gpuE6ELNS1_3repE0EEENS1_30default_config_static_selectorELNS0_4arch9wavefront6targetE0EEEvSZ_.has_indirect_call, 0
	.section	.AMDGPU.csdata,"",@progbits
; Kernel info:
; codeLenInByte = 0
; TotalNumSgprs: 0
; NumVgprs: 0
; ScratchSize: 0
; MemoryBound: 0
; FloatMode: 240
; IeeeMode: 1
; LDSByteSize: 0 bytes/workgroup (compile time only)
; SGPRBlocks: 0
; VGPRBlocks: 0
; NumSGPRsForWavesPerEU: 1
; NumVGPRsForWavesPerEU: 1
; NamedBarCnt: 0
; Occupancy: 16
; WaveLimiterHint : 0
; COMPUTE_PGM_RSRC2:SCRATCH_EN: 0
; COMPUTE_PGM_RSRC2:USER_SGPR: 2
; COMPUTE_PGM_RSRC2:TRAP_HANDLER: 0
; COMPUTE_PGM_RSRC2:TGID_X_EN: 1
; COMPUTE_PGM_RSRC2:TGID_Y_EN: 0
; COMPUTE_PGM_RSRC2:TGID_Z_EN: 0
; COMPUTE_PGM_RSRC2:TIDIG_COMP_CNT: 0
	.section	.text._ZN7rocprim17ROCPRIM_400000_NS6detail17trampoline_kernelINS0_13select_configILj256ELj13ELNS0_17block_load_methodE3ELS4_3ELS4_3ELNS0_20block_scan_algorithmE0ELj4294967295EEENS1_25partition_config_selectorILNS1_17partition_subalgoE4EjNS0_10empty_typeEbEEZZNS1_14partition_implILS8_4ELb0ES6_15HIP_vector_typeIjLj2EENS0_17counting_iteratorIjlEEPS9_SG_NS0_5tupleIJPjSI_NS0_16reverse_iteratorISI_EEEEENSH_IJSG_SG_SG_EEES9_SI_JZNS1_25segmented_radix_sort_implINS0_14default_configELb0EPKlPlSQ_SR_N2at6native12_GLOBAL__N_18offset_tEEE10hipError_tPvRmT1_PNSt15iterator_traitsISZ_E10value_typeET2_T3_PNS10_IS15_E10value_typeET4_jRbjT5_S1B_jjP12ihipStream_tbEUljE_ZNSN_ISO_Lb0ESQ_SR_SQ_SR_SV_EESW_SX_SY_SZ_S13_S14_S15_S18_S19_jS1A_jS1B_S1B_jjS1D_bEUljE0_EEESW_SX_SY_S15_S19_S1B_T6_T7_T9_mT8_S1D_bDpT10_ENKUlT_T0_E_clISt17integral_constantIbLb0EES1R_EEDaS1M_S1N_EUlS1M_E_NS1_11comp_targetILNS1_3genE10ELNS1_11target_archE1200ELNS1_3gpuE4ELNS1_3repE0EEENS1_30default_config_static_selectorELNS0_4arch9wavefront6targetE0EEEvSZ_,"axG",@progbits,_ZN7rocprim17ROCPRIM_400000_NS6detail17trampoline_kernelINS0_13select_configILj256ELj13ELNS0_17block_load_methodE3ELS4_3ELS4_3ELNS0_20block_scan_algorithmE0ELj4294967295EEENS1_25partition_config_selectorILNS1_17partition_subalgoE4EjNS0_10empty_typeEbEEZZNS1_14partition_implILS8_4ELb0ES6_15HIP_vector_typeIjLj2EENS0_17counting_iteratorIjlEEPS9_SG_NS0_5tupleIJPjSI_NS0_16reverse_iteratorISI_EEEEENSH_IJSG_SG_SG_EEES9_SI_JZNS1_25segmented_radix_sort_implINS0_14default_configELb0EPKlPlSQ_SR_N2at6native12_GLOBAL__N_18offset_tEEE10hipError_tPvRmT1_PNSt15iterator_traitsISZ_E10value_typeET2_T3_PNS10_IS15_E10value_typeET4_jRbjT5_S1B_jjP12ihipStream_tbEUljE_ZNSN_ISO_Lb0ESQ_SR_SQ_SR_SV_EESW_SX_SY_SZ_S13_S14_S15_S18_S19_jS1A_jS1B_S1B_jjS1D_bEUljE0_EEESW_SX_SY_S15_S19_S1B_T6_T7_T9_mT8_S1D_bDpT10_ENKUlT_T0_E_clISt17integral_constantIbLb0EES1R_EEDaS1M_S1N_EUlS1M_E_NS1_11comp_targetILNS1_3genE10ELNS1_11target_archE1200ELNS1_3gpuE4ELNS1_3repE0EEENS1_30default_config_static_selectorELNS0_4arch9wavefront6targetE0EEEvSZ_,comdat
	.globl	_ZN7rocprim17ROCPRIM_400000_NS6detail17trampoline_kernelINS0_13select_configILj256ELj13ELNS0_17block_load_methodE3ELS4_3ELS4_3ELNS0_20block_scan_algorithmE0ELj4294967295EEENS1_25partition_config_selectorILNS1_17partition_subalgoE4EjNS0_10empty_typeEbEEZZNS1_14partition_implILS8_4ELb0ES6_15HIP_vector_typeIjLj2EENS0_17counting_iteratorIjlEEPS9_SG_NS0_5tupleIJPjSI_NS0_16reverse_iteratorISI_EEEEENSH_IJSG_SG_SG_EEES9_SI_JZNS1_25segmented_radix_sort_implINS0_14default_configELb0EPKlPlSQ_SR_N2at6native12_GLOBAL__N_18offset_tEEE10hipError_tPvRmT1_PNSt15iterator_traitsISZ_E10value_typeET2_T3_PNS10_IS15_E10value_typeET4_jRbjT5_S1B_jjP12ihipStream_tbEUljE_ZNSN_ISO_Lb0ESQ_SR_SQ_SR_SV_EESW_SX_SY_SZ_S13_S14_S15_S18_S19_jS1A_jS1B_S1B_jjS1D_bEUljE0_EEESW_SX_SY_S15_S19_S1B_T6_T7_T9_mT8_S1D_bDpT10_ENKUlT_T0_E_clISt17integral_constantIbLb0EES1R_EEDaS1M_S1N_EUlS1M_E_NS1_11comp_targetILNS1_3genE10ELNS1_11target_archE1200ELNS1_3gpuE4ELNS1_3repE0EEENS1_30default_config_static_selectorELNS0_4arch9wavefront6targetE0EEEvSZ_ ; -- Begin function _ZN7rocprim17ROCPRIM_400000_NS6detail17trampoline_kernelINS0_13select_configILj256ELj13ELNS0_17block_load_methodE3ELS4_3ELS4_3ELNS0_20block_scan_algorithmE0ELj4294967295EEENS1_25partition_config_selectorILNS1_17partition_subalgoE4EjNS0_10empty_typeEbEEZZNS1_14partition_implILS8_4ELb0ES6_15HIP_vector_typeIjLj2EENS0_17counting_iteratorIjlEEPS9_SG_NS0_5tupleIJPjSI_NS0_16reverse_iteratorISI_EEEEENSH_IJSG_SG_SG_EEES9_SI_JZNS1_25segmented_radix_sort_implINS0_14default_configELb0EPKlPlSQ_SR_N2at6native12_GLOBAL__N_18offset_tEEE10hipError_tPvRmT1_PNSt15iterator_traitsISZ_E10value_typeET2_T3_PNS10_IS15_E10value_typeET4_jRbjT5_S1B_jjP12ihipStream_tbEUljE_ZNSN_ISO_Lb0ESQ_SR_SQ_SR_SV_EESW_SX_SY_SZ_S13_S14_S15_S18_S19_jS1A_jS1B_S1B_jjS1D_bEUljE0_EEESW_SX_SY_S15_S19_S1B_T6_T7_T9_mT8_S1D_bDpT10_ENKUlT_T0_E_clISt17integral_constantIbLb0EES1R_EEDaS1M_S1N_EUlS1M_E_NS1_11comp_targetILNS1_3genE10ELNS1_11target_archE1200ELNS1_3gpuE4ELNS1_3repE0EEENS1_30default_config_static_selectorELNS0_4arch9wavefront6targetE0EEEvSZ_
	.p2align	8
	.type	_ZN7rocprim17ROCPRIM_400000_NS6detail17trampoline_kernelINS0_13select_configILj256ELj13ELNS0_17block_load_methodE3ELS4_3ELS4_3ELNS0_20block_scan_algorithmE0ELj4294967295EEENS1_25partition_config_selectorILNS1_17partition_subalgoE4EjNS0_10empty_typeEbEEZZNS1_14partition_implILS8_4ELb0ES6_15HIP_vector_typeIjLj2EENS0_17counting_iteratorIjlEEPS9_SG_NS0_5tupleIJPjSI_NS0_16reverse_iteratorISI_EEEEENSH_IJSG_SG_SG_EEES9_SI_JZNS1_25segmented_radix_sort_implINS0_14default_configELb0EPKlPlSQ_SR_N2at6native12_GLOBAL__N_18offset_tEEE10hipError_tPvRmT1_PNSt15iterator_traitsISZ_E10value_typeET2_T3_PNS10_IS15_E10value_typeET4_jRbjT5_S1B_jjP12ihipStream_tbEUljE_ZNSN_ISO_Lb0ESQ_SR_SQ_SR_SV_EESW_SX_SY_SZ_S13_S14_S15_S18_S19_jS1A_jS1B_S1B_jjS1D_bEUljE0_EEESW_SX_SY_S15_S19_S1B_T6_T7_T9_mT8_S1D_bDpT10_ENKUlT_T0_E_clISt17integral_constantIbLb0EES1R_EEDaS1M_S1N_EUlS1M_E_NS1_11comp_targetILNS1_3genE10ELNS1_11target_archE1200ELNS1_3gpuE4ELNS1_3repE0EEENS1_30default_config_static_selectorELNS0_4arch9wavefront6targetE0EEEvSZ_,@function
_ZN7rocprim17ROCPRIM_400000_NS6detail17trampoline_kernelINS0_13select_configILj256ELj13ELNS0_17block_load_methodE3ELS4_3ELS4_3ELNS0_20block_scan_algorithmE0ELj4294967295EEENS1_25partition_config_selectorILNS1_17partition_subalgoE4EjNS0_10empty_typeEbEEZZNS1_14partition_implILS8_4ELb0ES6_15HIP_vector_typeIjLj2EENS0_17counting_iteratorIjlEEPS9_SG_NS0_5tupleIJPjSI_NS0_16reverse_iteratorISI_EEEEENSH_IJSG_SG_SG_EEES9_SI_JZNS1_25segmented_radix_sort_implINS0_14default_configELb0EPKlPlSQ_SR_N2at6native12_GLOBAL__N_18offset_tEEE10hipError_tPvRmT1_PNSt15iterator_traitsISZ_E10value_typeET2_T3_PNS10_IS15_E10value_typeET4_jRbjT5_S1B_jjP12ihipStream_tbEUljE_ZNSN_ISO_Lb0ESQ_SR_SQ_SR_SV_EESW_SX_SY_SZ_S13_S14_S15_S18_S19_jS1A_jS1B_S1B_jjS1D_bEUljE0_EEESW_SX_SY_S15_S19_S1B_T6_T7_T9_mT8_S1D_bDpT10_ENKUlT_T0_E_clISt17integral_constantIbLb0EES1R_EEDaS1M_S1N_EUlS1M_E_NS1_11comp_targetILNS1_3genE10ELNS1_11target_archE1200ELNS1_3gpuE4ELNS1_3repE0EEENS1_30default_config_static_selectorELNS0_4arch9wavefront6targetE0EEEvSZ_: ; @_ZN7rocprim17ROCPRIM_400000_NS6detail17trampoline_kernelINS0_13select_configILj256ELj13ELNS0_17block_load_methodE3ELS4_3ELS4_3ELNS0_20block_scan_algorithmE0ELj4294967295EEENS1_25partition_config_selectorILNS1_17partition_subalgoE4EjNS0_10empty_typeEbEEZZNS1_14partition_implILS8_4ELb0ES6_15HIP_vector_typeIjLj2EENS0_17counting_iteratorIjlEEPS9_SG_NS0_5tupleIJPjSI_NS0_16reverse_iteratorISI_EEEEENSH_IJSG_SG_SG_EEES9_SI_JZNS1_25segmented_radix_sort_implINS0_14default_configELb0EPKlPlSQ_SR_N2at6native12_GLOBAL__N_18offset_tEEE10hipError_tPvRmT1_PNSt15iterator_traitsISZ_E10value_typeET2_T3_PNS10_IS15_E10value_typeET4_jRbjT5_S1B_jjP12ihipStream_tbEUljE_ZNSN_ISO_Lb0ESQ_SR_SQ_SR_SV_EESW_SX_SY_SZ_S13_S14_S15_S18_S19_jS1A_jS1B_S1B_jjS1D_bEUljE0_EEESW_SX_SY_S15_S19_S1B_T6_T7_T9_mT8_S1D_bDpT10_ENKUlT_T0_E_clISt17integral_constantIbLb0EES1R_EEDaS1M_S1N_EUlS1M_E_NS1_11comp_targetILNS1_3genE10ELNS1_11target_archE1200ELNS1_3gpuE4ELNS1_3repE0EEENS1_30default_config_static_selectorELNS0_4arch9wavefront6targetE0EEEvSZ_
; %bb.0:
	.section	.rodata,"a",@progbits
	.p2align	6, 0x0
	.amdhsa_kernel _ZN7rocprim17ROCPRIM_400000_NS6detail17trampoline_kernelINS0_13select_configILj256ELj13ELNS0_17block_load_methodE3ELS4_3ELS4_3ELNS0_20block_scan_algorithmE0ELj4294967295EEENS1_25partition_config_selectorILNS1_17partition_subalgoE4EjNS0_10empty_typeEbEEZZNS1_14partition_implILS8_4ELb0ES6_15HIP_vector_typeIjLj2EENS0_17counting_iteratorIjlEEPS9_SG_NS0_5tupleIJPjSI_NS0_16reverse_iteratorISI_EEEEENSH_IJSG_SG_SG_EEES9_SI_JZNS1_25segmented_radix_sort_implINS0_14default_configELb0EPKlPlSQ_SR_N2at6native12_GLOBAL__N_18offset_tEEE10hipError_tPvRmT1_PNSt15iterator_traitsISZ_E10value_typeET2_T3_PNS10_IS15_E10value_typeET4_jRbjT5_S1B_jjP12ihipStream_tbEUljE_ZNSN_ISO_Lb0ESQ_SR_SQ_SR_SV_EESW_SX_SY_SZ_S13_S14_S15_S18_S19_jS1A_jS1B_S1B_jjS1D_bEUljE0_EEESW_SX_SY_S15_S19_S1B_T6_T7_T9_mT8_S1D_bDpT10_ENKUlT_T0_E_clISt17integral_constantIbLb0EES1R_EEDaS1M_S1N_EUlS1M_E_NS1_11comp_targetILNS1_3genE10ELNS1_11target_archE1200ELNS1_3gpuE4ELNS1_3repE0EEENS1_30default_config_static_selectorELNS0_4arch9wavefront6targetE0EEEvSZ_
		.amdhsa_group_segment_fixed_size 0
		.amdhsa_private_segment_fixed_size 0
		.amdhsa_kernarg_size 176
		.amdhsa_user_sgpr_count 2
		.amdhsa_user_sgpr_dispatch_ptr 0
		.amdhsa_user_sgpr_queue_ptr 0
		.amdhsa_user_sgpr_kernarg_segment_ptr 1
		.amdhsa_user_sgpr_dispatch_id 0
		.amdhsa_user_sgpr_kernarg_preload_length 0
		.amdhsa_user_sgpr_kernarg_preload_offset 0
		.amdhsa_user_sgpr_private_segment_size 0
		.amdhsa_wavefront_size32 1
		.amdhsa_uses_dynamic_stack 0
		.amdhsa_enable_private_segment 0
		.amdhsa_system_sgpr_workgroup_id_x 1
		.amdhsa_system_sgpr_workgroup_id_y 0
		.amdhsa_system_sgpr_workgroup_id_z 0
		.amdhsa_system_sgpr_workgroup_info 0
		.amdhsa_system_vgpr_workitem_id 0
		.amdhsa_next_free_vgpr 1
		.amdhsa_next_free_sgpr 1
		.amdhsa_named_barrier_count 0
		.amdhsa_reserve_vcc 0
		.amdhsa_float_round_mode_32 0
		.amdhsa_float_round_mode_16_64 0
		.amdhsa_float_denorm_mode_32 3
		.amdhsa_float_denorm_mode_16_64 3
		.amdhsa_fp16_overflow 0
		.amdhsa_memory_ordered 1
		.amdhsa_forward_progress 1
		.amdhsa_inst_pref_size 0
		.amdhsa_round_robin_scheduling 0
		.amdhsa_exception_fp_ieee_invalid_op 0
		.amdhsa_exception_fp_denorm_src 0
		.amdhsa_exception_fp_ieee_div_zero 0
		.amdhsa_exception_fp_ieee_overflow 0
		.amdhsa_exception_fp_ieee_underflow 0
		.amdhsa_exception_fp_ieee_inexact 0
		.amdhsa_exception_int_div_zero 0
	.end_amdhsa_kernel
	.section	.text._ZN7rocprim17ROCPRIM_400000_NS6detail17trampoline_kernelINS0_13select_configILj256ELj13ELNS0_17block_load_methodE3ELS4_3ELS4_3ELNS0_20block_scan_algorithmE0ELj4294967295EEENS1_25partition_config_selectorILNS1_17partition_subalgoE4EjNS0_10empty_typeEbEEZZNS1_14partition_implILS8_4ELb0ES6_15HIP_vector_typeIjLj2EENS0_17counting_iteratorIjlEEPS9_SG_NS0_5tupleIJPjSI_NS0_16reverse_iteratorISI_EEEEENSH_IJSG_SG_SG_EEES9_SI_JZNS1_25segmented_radix_sort_implINS0_14default_configELb0EPKlPlSQ_SR_N2at6native12_GLOBAL__N_18offset_tEEE10hipError_tPvRmT1_PNSt15iterator_traitsISZ_E10value_typeET2_T3_PNS10_IS15_E10value_typeET4_jRbjT5_S1B_jjP12ihipStream_tbEUljE_ZNSN_ISO_Lb0ESQ_SR_SQ_SR_SV_EESW_SX_SY_SZ_S13_S14_S15_S18_S19_jS1A_jS1B_S1B_jjS1D_bEUljE0_EEESW_SX_SY_S15_S19_S1B_T6_T7_T9_mT8_S1D_bDpT10_ENKUlT_T0_E_clISt17integral_constantIbLb0EES1R_EEDaS1M_S1N_EUlS1M_E_NS1_11comp_targetILNS1_3genE10ELNS1_11target_archE1200ELNS1_3gpuE4ELNS1_3repE0EEENS1_30default_config_static_selectorELNS0_4arch9wavefront6targetE0EEEvSZ_,"axG",@progbits,_ZN7rocprim17ROCPRIM_400000_NS6detail17trampoline_kernelINS0_13select_configILj256ELj13ELNS0_17block_load_methodE3ELS4_3ELS4_3ELNS0_20block_scan_algorithmE0ELj4294967295EEENS1_25partition_config_selectorILNS1_17partition_subalgoE4EjNS0_10empty_typeEbEEZZNS1_14partition_implILS8_4ELb0ES6_15HIP_vector_typeIjLj2EENS0_17counting_iteratorIjlEEPS9_SG_NS0_5tupleIJPjSI_NS0_16reverse_iteratorISI_EEEEENSH_IJSG_SG_SG_EEES9_SI_JZNS1_25segmented_radix_sort_implINS0_14default_configELb0EPKlPlSQ_SR_N2at6native12_GLOBAL__N_18offset_tEEE10hipError_tPvRmT1_PNSt15iterator_traitsISZ_E10value_typeET2_T3_PNS10_IS15_E10value_typeET4_jRbjT5_S1B_jjP12ihipStream_tbEUljE_ZNSN_ISO_Lb0ESQ_SR_SQ_SR_SV_EESW_SX_SY_SZ_S13_S14_S15_S18_S19_jS1A_jS1B_S1B_jjS1D_bEUljE0_EEESW_SX_SY_S15_S19_S1B_T6_T7_T9_mT8_S1D_bDpT10_ENKUlT_T0_E_clISt17integral_constantIbLb0EES1R_EEDaS1M_S1N_EUlS1M_E_NS1_11comp_targetILNS1_3genE10ELNS1_11target_archE1200ELNS1_3gpuE4ELNS1_3repE0EEENS1_30default_config_static_selectorELNS0_4arch9wavefront6targetE0EEEvSZ_,comdat
.Lfunc_end744:
	.size	_ZN7rocprim17ROCPRIM_400000_NS6detail17trampoline_kernelINS0_13select_configILj256ELj13ELNS0_17block_load_methodE3ELS4_3ELS4_3ELNS0_20block_scan_algorithmE0ELj4294967295EEENS1_25partition_config_selectorILNS1_17partition_subalgoE4EjNS0_10empty_typeEbEEZZNS1_14partition_implILS8_4ELb0ES6_15HIP_vector_typeIjLj2EENS0_17counting_iteratorIjlEEPS9_SG_NS0_5tupleIJPjSI_NS0_16reverse_iteratorISI_EEEEENSH_IJSG_SG_SG_EEES9_SI_JZNS1_25segmented_radix_sort_implINS0_14default_configELb0EPKlPlSQ_SR_N2at6native12_GLOBAL__N_18offset_tEEE10hipError_tPvRmT1_PNSt15iterator_traitsISZ_E10value_typeET2_T3_PNS10_IS15_E10value_typeET4_jRbjT5_S1B_jjP12ihipStream_tbEUljE_ZNSN_ISO_Lb0ESQ_SR_SQ_SR_SV_EESW_SX_SY_SZ_S13_S14_S15_S18_S19_jS1A_jS1B_S1B_jjS1D_bEUljE0_EEESW_SX_SY_S15_S19_S1B_T6_T7_T9_mT8_S1D_bDpT10_ENKUlT_T0_E_clISt17integral_constantIbLb0EES1R_EEDaS1M_S1N_EUlS1M_E_NS1_11comp_targetILNS1_3genE10ELNS1_11target_archE1200ELNS1_3gpuE4ELNS1_3repE0EEENS1_30default_config_static_selectorELNS0_4arch9wavefront6targetE0EEEvSZ_, .Lfunc_end744-_ZN7rocprim17ROCPRIM_400000_NS6detail17trampoline_kernelINS0_13select_configILj256ELj13ELNS0_17block_load_methodE3ELS4_3ELS4_3ELNS0_20block_scan_algorithmE0ELj4294967295EEENS1_25partition_config_selectorILNS1_17partition_subalgoE4EjNS0_10empty_typeEbEEZZNS1_14partition_implILS8_4ELb0ES6_15HIP_vector_typeIjLj2EENS0_17counting_iteratorIjlEEPS9_SG_NS0_5tupleIJPjSI_NS0_16reverse_iteratorISI_EEEEENSH_IJSG_SG_SG_EEES9_SI_JZNS1_25segmented_radix_sort_implINS0_14default_configELb0EPKlPlSQ_SR_N2at6native12_GLOBAL__N_18offset_tEEE10hipError_tPvRmT1_PNSt15iterator_traitsISZ_E10value_typeET2_T3_PNS10_IS15_E10value_typeET4_jRbjT5_S1B_jjP12ihipStream_tbEUljE_ZNSN_ISO_Lb0ESQ_SR_SQ_SR_SV_EESW_SX_SY_SZ_S13_S14_S15_S18_S19_jS1A_jS1B_S1B_jjS1D_bEUljE0_EEESW_SX_SY_S15_S19_S1B_T6_T7_T9_mT8_S1D_bDpT10_ENKUlT_T0_E_clISt17integral_constantIbLb0EES1R_EEDaS1M_S1N_EUlS1M_E_NS1_11comp_targetILNS1_3genE10ELNS1_11target_archE1200ELNS1_3gpuE4ELNS1_3repE0EEENS1_30default_config_static_selectorELNS0_4arch9wavefront6targetE0EEEvSZ_
                                        ; -- End function
	.set _ZN7rocprim17ROCPRIM_400000_NS6detail17trampoline_kernelINS0_13select_configILj256ELj13ELNS0_17block_load_methodE3ELS4_3ELS4_3ELNS0_20block_scan_algorithmE0ELj4294967295EEENS1_25partition_config_selectorILNS1_17partition_subalgoE4EjNS0_10empty_typeEbEEZZNS1_14partition_implILS8_4ELb0ES6_15HIP_vector_typeIjLj2EENS0_17counting_iteratorIjlEEPS9_SG_NS0_5tupleIJPjSI_NS0_16reverse_iteratorISI_EEEEENSH_IJSG_SG_SG_EEES9_SI_JZNS1_25segmented_radix_sort_implINS0_14default_configELb0EPKlPlSQ_SR_N2at6native12_GLOBAL__N_18offset_tEEE10hipError_tPvRmT1_PNSt15iterator_traitsISZ_E10value_typeET2_T3_PNS10_IS15_E10value_typeET4_jRbjT5_S1B_jjP12ihipStream_tbEUljE_ZNSN_ISO_Lb0ESQ_SR_SQ_SR_SV_EESW_SX_SY_SZ_S13_S14_S15_S18_S19_jS1A_jS1B_S1B_jjS1D_bEUljE0_EEESW_SX_SY_S15_S19_S1B_T6_T7_T9_mT8_S1D_bDpT10_ENKUlT_T0_E_clISt17integral_constantIbLb0EES1R_EEDaS1M_S1N_EUlS1M_E_NS1_11comp_targetILNS1_3genE10ELNS1_11target_archE1200ELNS1_3gpuE4ELNS1_3repE0EEENS1_30default_config_static_selectorELNS0_4arch9wavefront6targetE0EEEvSZ_.num_vgpr, 0
	.set _ZN7rocprim17ROCPRIM_400000_NS6detail17trampoline_kernelINS0_13select_configILj256ELj13ELNS0_17block_load_methodE3ELS4_3ELS4_3ELNS0_20block_scan_algorithmE0ELj4294967295EEENS1_25partition_config_selectorILNS1_17partition_subalgoE4EjNS0_10empty_typeEbEEZZNS1_14partition_implILS8_4ELb0ES6_15HIP_vector_typeIjLj2EENS0_17counting_iteratorIjlEEPS9_SG_NS0_5tupleIJPjSI_NS0_16reverse_iteratorISI_EEEEENSH_IJSG_SG_SG_EEES9_SI_JZNS1_25segmented_radix_sort_implINS0_14default_configELb0EPKlPlSQ_SR_N2at6native12_GLOBAL__N_18offset_tEEE10hipError_tPvRmT1_PNSt15iterator_traitsISZ_E10value_typeET2_T3_PNS10_IS15_E10value_typeET4_jRbjT5_S1B_jjP12ihipStream_tbEUljE_ZNSN_ISO_Lb0ESQ_SR_SQ_SR_SV_EESW_SX_SY_SZ_S13_S14_S15_S18_S19_jS1A_jS1B_S1B_jjS1D_bEUljE0_EEESW_SX_SY_S15_S19_S1B_T6_T7_T9_mT8_S1D_bDpT10_ENKUlT_T0_E_clISt17integral_constantIbLb0EES1R_EEDaS1M_S1N_EUlS1M_E_NS1_11comp_targetILNS1_3genE10ELNS1_11target_archE1200ELNS1_3gpuE4ELNS1_3repE0EEENS1_30default_config_static_selectorELNS0_4arch9wavefront6targetE0EEEvSZ_.num_agpr, 0
	.set _ZN7rocprim17ROCPRIM_400000_NS6detail17trampoline_kernelINS0_13select_configILj256ELj13ELNS0_17block_load_methodE3ELS4_3ELS4_3ELNS0_20block_scan_algorithmE0ELj4294967295EEENS1_25partition_config_selectorILNS1_17partition_subalgoE4EjNS0_10empty_typeEbEEZZNS1_14partition_implILS8_4ELb0ES6_15HIP_vector_typeIjLj2EENS0_17counting_iteratorIjlEEPS9_SG_NS0_5tupleIJPjSI_NS0_16reverse_iteratorISI_EEEEENSH_IJSG_SG_SG_EEES9_SI_JZNS1_25segmented_radix_sort_implINS0_14default_configELb0EPKlPlSQ_SR_N2at6native12_GLOBAL__N_18offset_tEEE10hipError_tPvRmT1_PNSt15iterator_traitsISZ_E10value_typeET2_T3_PNS10_IS15_E10value_typeET4_jRbjT5_S1B_jjP12ihipStream_tbEUljE_ZNSN_ISO_Lb0ESQ_SR_SQ_SR_SV_EESW_SX_SY_SZ_S13_S14_S15_S18_S19_jS1A_jS1B_S1B_jjS1D_bEUljE0_EEESW_SX_SY_S15_S19_S1B_T6_T7_T9_mT8_S1D_bDpT10_ENKUlT_T0_E_clISt17integral_constantIbLb0EES1R_EEDaS1M_S1N_EUlS1M_E_NS1_11comp_targetILNS1_3genE10ELNS1_11target_archE1200ELNS1_3gpuE4ELNS1_3repE0EEENS1_30default_config_static_selectorELNS0_4arch9wavefront6targetE0EEEvSZ_.numbered_sgpr, 0
	.set _ZN7rocprim17ROCPRIM_400000_NS6detail17trampoline_kernelINS0_13select_configILj256ELj13ELNS0_17block_load_methodE3ELS4_3ELS4_3ELNS0_20block_scan_algorithmE0ELj4294967295EEENS1_25partition_config_selectorILNS1_17partition_subalgoE4EjNS0_10empty_typeEbEEZZNS1_14partition_implILS8_4ELb0ES6_15HIP_vector_typeIjLj2EENS0_17counting_iteratorIjlEEPS9_SG_NS0_5tupleIJPjSI_NS0_16reverse_iteratorISI_EEEEENSH_IJSG_SG_SG_EEES9_SI_JZNS1_25segmented_radix_sort_implINS0_14default_configELb0EPKlPlSQ_SR_N2at6native12_GLOBAL__N_18offset_tEEE10hipError_tPvRmT1_PNSt15iterator_traitsISZ_E10value_typeET2_T3_PNS10_IS15_E10value_typeET4_jRbjT5_S1B_jjP12ihipStream_tbEUljE_ZNSN_ISO_Lb0ESQ_SR_SQ_SR_SV_EESW_SX_SY_SZ_S13_S14_S15_S18_S19_jS1A_jS1B_S1B_jjS1D_bEUljE0_EEESW_SX_SY_S15_S19_S1B_T6_T7_T9_mT8_S1D_bDpT10_ENKUlT_T0_E_clISt17integral_constantIbLb0EES1R_EEDaS1M_S1N_EUlS1M_E_NS1_11comp_targetILNS1_3genE10ELNS1_11target_archE1200ELNS1_3gpuE4ELNS1_3repE0EEENS1_30default_config_static_selectorELNS0_4arch9wavefront6targetE0EEEvSZ_.num_named_barrier, 0
	.set _ZN7rocprim17ROCPRIM_400000_NS6detail17trampoline_kernelINS0_13select_configILj256ELj13ELNS0_17block_load_methodE3ELS4_3ELS4_3ELNS0_20block_scan_algorithmE0ELj4294967295EEENS1_25partition_config_selectorILNS1_17partition_subalgoE4EjNS0_10empty_typeEbEEZZNS1_14partition_implILS8_4ELb0ES6_15HIP_vector_typeIjLj2EENS0_17counting_iteratorIjlEEPS9_SG_NS0_5tupleIJPjSI_NS0_16reverse_iteratorISI_EEEEENSH_IJSG_SG_SG_EEES9_SI_JZNS1_25segmented_radix_sort_implINS0_14default_configELb0EPKlPlSQ_SR_N2at6native12_GLOBAL__N_18offset_tEEE10hipError_tPvRmT1_PNSt15iterator_traitsISZ_E10value_typeET2_T3_PNS10_IS15_E10value_typeET4_jRbjT5_S1B_jjP12ihipStream_tbEUljE_ZNSN_ISO_Lb0ESQ_SR_SQ_SR_SV_EESW_SX_SY_SZ_S13_S14_S15_S18_S19_jS1A_jS1B_S1B_jjS1D_bEUljE0_EEESW_SX_SY_S15_S19_S1B_T6_T7_T9_mT8_S1D_bDpT10_ENKUlT_T0_E_clISt17integral_constantIbLb0EES1R_EEDaS1M_S1N_EUlS1M_E_NS1_11comp_targetILNS1_3genE10ELNS1_11target_archE1200ELNS1_3gpuE4ELNS1_3repE0EEENS1_30default_config_static_selectorELNS0_4arch9wavefront6targetE0EEEvSZ_.private_seg_size, 0
	.set _ZN7rocprim17ROCPRIM_400000_NS6detail17trampoline_kernelINS0_13select_configILj256ELj13ELNS0_17block_load_methodE3ELS4_3ELS4_3ELNS0_20block_scan_algorithmE0ELj4294967295EEENS1_25partition_config_selectorILNS1_17partition_subalgoE4EjNS0_10empty_typeEbEEZZNS1_14partition_implILS8_4ELb0ES6_15HIP_vector_typeIjLj2EENS0_17counting_iteratorIjlEEPS9_SG_NS0_5tupleIJPjSI_NS0_16reverse_iteratorISI_EEEEENSH_IJSG_SG_SG_EEES9_SI_JZNS1_25segmented_radix_sort_implINS0_14default_configELb0EPKlPlSQ_SR_N2at6native12_GLOBAL__N_18offset_tEEE10hipError_tPvRmT1_PNSt15iterator_traitsISZ_E10value_typeET2_T3_PNS10_IS15_E10value_typeET4_jRbjT5_S1B_jjP12ihipStream_tbEUljE_ZNSN_ISO_Lb0ESQ_SR_SQ_SR_SV_EESW_SX_SY_SZ_S13_S14_S15_S18_S19_jS1A_jS1B_S1B_jjS1D_bEUljE0_EEESW_SX_SY_S15_S19_S1B_T6_T7_T9_mT8_S1D_bDpT10_ENKUlT_T0_E_clISt17integral_constantIbLb0EES1R_EEDaS1M_S1N_EUlS1M_E_NS1_11comp_targetILNS1_3genE10ELNS1_11target_archE1200ELNS1_3gpuE4ELNS1_3repE0EEENS1_30default_config_static_selectorELNS0_4arch9wavefront6targetE0EEEvSZ_.uses_vcc, 0
	.set _ZN7rocprim17ROCPRIM_400000_NS6detail17trampoline_kernelINS0_13select_configILj256ELj13ELNS0_17block_load_methodE3ELS4_3ELS4_3ELNS0_20block_scan_algorithmE0ELj4294967295EEENS1_25partition_config_selectorILNS1_17partition_subalgoE4EjNS0_10empty_typeEbEEZZNS1_14partition_implILS8_4ELb0ES6_15HIP_vector_typeIjLj2EENS0_17counting_iteratorIjlEEPS9_SG_NS0_5tupleIJPjSI_NS0_16reverse_iteratorISI_EEEEENSH_IJSG_SG_SG_EEES9_SI_JZNS1_25segmented_radix_sort_implINS0_14default_configELb0EPKlPlSQ_SR_N2at6native12_GLOBAL__N_18offset_tEEE10hipError_tPvRmT1_PNSt15iterator_traitsISZ_E10value_typeET2_T3_PNS10_IS15_E10value_typeET4_jRbjT5_S1B_jjP12ihipStream_tbEUljE_ZNSN_ISO_Lb0ESQ_SR_SQ_SR_SV_EESW_SX_SY_SZ_S13_S14_S15_S18_S19_jS1A_jS1B_S1B_jjS1D_bEUljE0_EEESW_SX_SY_S15_S19_S1B_T6_T7_T9_mT8_S1D_bDpT10_ENKUlT_T0_E_clISt17integral_constantIbLb0EES1R_EEDaS1M_S1N_EUlS1M_E_NS1_11comp_targetILNS1_3genE10ELNS1_11target_archE1200ELNS1_3gpuE4ELNS1_3repE0EEENS1_30default_config_static_selectorELNS0_4arch9wavefront6targetE0EEEvSZ_.uses_flat_scratch, 0
	.set _ZN7rocprim17ROCPRIM_400000_NS6detail17trampoline_kernelINS0_13select_configILj256ELj13ELNS0_17block_load_methodE3ELS4_3ELS4_3ELNS0_20block_scan_algorithmE0ELj4294967295EEENS1_25partition_config_selectorILNS1_17partition_subalgoE4EjNS0_10empty_typeEbEEZZNS1_14partition_implILS8_4ELb0ES6_15HIP_vector_typeIjLj2EENS0_17counting_iteratorIjlEEPS9_SG_NS0_5tupleIJPjSI_NS0_16reverse_iteratorISI_EEEEENSH_IJSG_SG_SG_EEES9_SI_JZNS1_25segmented_radix_sort_implINS0_14default_configELb0EPKlPlSQ_SR_N2at6native12_GLOBAL__N_18offset_tEEE10hipError_tPvRmT1_PNSt15iterator_traitsISZ_E10value_typeET2_T3_PNS10_IS15_E10value_typeET4_jRbjT5_S1B_jjP12ihipStream_tbEUljE_ZNSN_ISO_Lb0ESQ_SR_SQ_SR_SV_EESW_SX_SY_SZ_S13_S14_S15_S18_S19_jS1A_jS1B_S1B_jjS1D_bEUljE0_EEESW_SX_SY_S15_S19_S1B_T6_T7_T9_mT8_S1D_bDpT10_ENKUlT_T0_E_clISt17integral_constantIbLb0EES1R_EEDaS1M_S1N_EUlS1M_E_NS1_11comp_targetILNS1_3genE10ELNS1_11target_archE1200ELNS1_3gpuE4ELNS1_3repE0EEENS1_30default_config_static_selectorELNS0_4arch9wavefront6targetE0EEEvSZ_.has_dyn_sized_stack, 0
	.set _ZN7rocprim17ROCPRIM_400000_NS6detail17trampoline_kernelINS0_13select_configILj256ELj13ELNS0_17block_load_methodE3ELS4_3ELS4_3ELNS0_20block_scan_algorithmE0ELj4294967295EEENS1_25partition_config_selectorILNS1_17partition_subalgoE4EjNS0_10empty_typeEbEEZZNS1_14partition_implILS8_4ELb0ES6_15HIP_vector_typeIjLj2EENS0_17counting_iteratorIjlEEPS9_SG_NS0_5tupleIJPjSI_NS0_16reverse_iteratorISI_EEEEENSH_IJSG_SG_SG_EEES9_SI_JZNS1_25segmented_radix_sort_implINS0_14default_configELb0EPKlPlSQ_SR_N2at6native12_GLOBAL__N_18offset_tEEE10hipError_tPvRmT1_PNSt15iterator_traitsISZ_E10value_typeET2_T3_PNS10_IS15_E10value_typeET4_jRbjT5_S1B_jjP12ihipStream_tbEUljE_ZNSN_ISO_Lb0ESQ_SR_SQ_SR_SV_EESW_SX_SY_SZ_S13_S14_S15_S18_S19_jS1A_jS1B_S1B_jjS1D_bEUljE0_EEESW_SX_SY_S15_S19_S1B_T6_T7_T9_mT8_S1D_bDpT10_ENKUlT_T0_E_clISt17integral_constantIbLb0EES1R_EEDaS1M_S1N_EUlS1M_E_NS1_11comp_targetILNS1_3genE10ELNS1_11target_archE1200ELNS1_3gpuE4ELNS1_3repE0EEENS1_30default_config_static_selectorELNS0_4arch9wavefront6targetE0EEEvSZ_.has_recursion, 0
	.set _ZN7rocprim17ROCPRIM_400000_NS6detail17trampoline_kernelINS0_13select_configILj256ELj13ELNS0_17block_load_methodE3ELS4_3ELS4_3ELNS0_20block_scan_algorithmE0ELj4294967295EEENS1_25partition_config_selectorILNS1_17partition_subalgoE4EjNS0_10empty_typeEbEEZZNS1_14partition_implILS8_4ELb0ES6_15HIP_vector_typeIjLj2EENS0_17counting_iteratorIjlEEPS9_SG_NS0_5tupleIJPjSI_NS0_16reverse_iteratorISI_EEEEENSH_IJSG_SG_SG_EEES9_SI_JZNS1_25segmented_radix_sort_implINS0_14default_configELb0EPKlPlSQ_SR_N2at6native12_GLOBAL__N_18offset_tEEE10hipError_tPvRmT1_PNSt15iterator_traitsISZ_E10value_typeET2_T3_PNS10_IS15_E10value_typeET4_jRbjT5_S1B_jjP12ihipStream_tbEUljE_ZNSN_ISO_Lb0ESQ_SR_SQ_SR_SV_EESW_SX_SY_SZ_S13_S14_S15_S18_S19_jS1A_jS1B_S1B_jjS1D_bEUljE0_EEESW_SX_SY_S15_S19_S1B_T6_T7_T9_mT8_S1D_bDpT10_ENKUlT_T0_E_clISt17integral_constantIbLb0EES1R_EEDaS1M_S1N_EUlS1M_E_NS1_11comp_targetILNS1_3genE10ELNS1_11target_archE1200ELNS1_3gpuE4ELNS1_3repE0EEENS1_30default_config_static_selectorELNS0_4arch9wavefront6targetE0EEEvSZ_.has_indirect_call, 0
	.section	.AMDGPU.csdata,"",@progbits
; Kernel info:
; codeLenInByte = 0
; TotalNumSgprs: 0
; NumVgprs: 0
; ScratchSize: 0
; MemoryBound: 0
; FloatMode: 240
; IeeeMode: 1
; LDSByteSize: 0 bytes/workgroup (compile time only)
; SGPRBlocks: 0
; VGPRBlocks: 0
; NumSGPRsForWavesPerEU: 1
; NumVGPRsForWavesPerEU: 1
; NamedBarCnt: 0
; Occupancy: 16
; WaveLimiterHint : 0
; COMPUTE_PGM_RSRC2:SCRATCH_EN: 0
; COMPUTE_PGM_RSRC2:USER_SGPR: 2
; COMPUTE_PGM_RSRC2:TRAP_HANDLER: 0
; COMPUTE_PGM_RSRC2:TGID_X_EN: 1
; COMPUTE_PGM_RSRC2:TGID_Y_EN: 0
; COMPUTE_PGM_RSRC2:TGID_Z_EN: 0
; COMPUTE_PGM_RSRC2:TIDIG_COMP_CNT: 0
	.section	.text._ZN7rocprim17ROCPRIM_400000_NS6detail17trampoline_kernelINS0_13select_configILj256ELj13ELNS0_17block_load_methodE3ELS4_3ELS4_3ELNS0_20block_scan_algorithmE0ELj4294967295EEENS1_25partition_config_selectorILNS1_17partition_subalgoE4EjNS0_10empty_typeEbEEZZNS1_14partition_implILS8_4ELb0ES6_15HIP_vector_typeIjLj2EENS0_17counting_iteratorIjlEEPS9_SG_NS0_5tupleIJPjSI_NS0_16reverse_iteratorISI_EEEEENSH_IJSG_SG_SG_EEES9_SI_JZNS1_25segmented_radix_sort_implINS0_14default_configELb0EPKlPlSQ_SR_N2at6native12_GLOBAL__N_18offset_tEEE10hipError_tPvRmT1_PNSt15iterator_traitsISZ_E10value_typeET2_T3_PNS10_IS15_E10value_typeET4_jRbjT5_S1B_jjP12ihipStream_tbEUljE_ZNSN_ISO_Lb0ESQ_SR_SQ_SR_SV_EESW_SX_SY_SZ_S13_S14_S15_S18_S19_jS1A_jS1B_S1B_jjS1D_bEUljE0_EEESW_SX_SY_S15_S19_S1B_T6_T7_T9_mT8_S1D_bDpT10_ENKUlT_T0_E_clISt17integral_constantIbLb0EES1R_EEDaS1M_S1N_EUlS1M_E_NS1_11comp_targetILNS1_3genE9ELNS1_11target_archE1100ELNS1_3gpuE3ELNS1_3repE0EEENS1_30default_config_static_selectorELNS0_4arch9wavefront6targetE0EEEvSZ_,"axG",@progbits,_ZN7rocprim17ROCPRIM_400000_NS6detail17trampoline_kernelINS0_13select_configILj256ELj13ELNS0_17block_load_methodE3ELS4_3ELS4_3ELNS0_20block_scan_algorithmE0ELj4294967295EEENS1_25partition_config_selectorILNS1_17partition_subalgoE4EjNS0_10empty_typeEbEEZZNS1_14partition_implILS8_4ELb0ES6_15HIP_vector_typeIjLj2EENS0_17counting_iteratorIjlEEPS9_SG_NS0_5tupleIJPjSI_NS0_16reverse_iteratorISI_EEEEENSH_IJSG_SG_SG_EEES9_SI_JZNS1_25segmented_radix_sort_implINS0_14default_configELb0EPKlPlSQ_SR_N2at6native12_GLOBAL__N_18offset_tEEE10hipError_tPvRmT1_PNSt15iterator_traitsISZ_E10value_typeET2_T3_PNS10_IS15_E10value_typeET4_jRbjT5_S1B_jjP12ihipStream_tbEUljE_ZNSN_ISO_Lb0ESQ_SR_SQ_SR_SV_EESW_SX_SY_SZ_S13_S14_S15_S18_S19_jS1A_jS1B_S1B_jjS1D_bEUljE0_EEESW_SX_SY_S15_S19_S1B_T6_T7_T9_mT8_S1D_bDpT10_ENKUlT_T0_E_clISt17integral_constantIbLb0EES1R_EEDaS1M_S1N_EUlS1M_E_NS1_11comp_targetILNS1_3genE9ELNS1_11target_archE1100ELNS1_3gpuE3ELNS1_3repE0EEENS1_30default_config_static_selectorELNS0_4arch9wavefront6targetE0EEEvSZ_,comdat
	.globl	_ZN7rocprim17ROCPRIM_400000_NS6detail17trampoline_kernelINS0_13select_configILj256ELj13ELNS0_17block_load_methodE3ELS4_3ELS4_3ELNS0_20block_scan_algorithmE0ELj4294967295EEENS1_25partition_config_selectorILNS1_17partition_subalgoE4EjNS0_10empty_typeEbEEZZNS1_14partition_implILS8_4ELb0ES6_15HIP_vector_typeIjLj2EENS0_17counting_iteratorIjlEEPS9_SG_NS0_5tupleIJPjSI_NS0_16reverse_iteratorISI_EEEEENSH_IJSG_SG_SG_EEES9_SI_JZNS1_25segmented_radix_sort_implINS0_14default_configELb0EPKlPlSQ_SR_N2at6native12_GLOBAL__N_18offset_tEEE10hipError_tPvRmT1_PNSt15iterator_traitsISZ_E10value_typeET2_T3_PNS10_IS15_E10value_typeET4_jRbjT5_S1B_jjP12ihipStream_tbEUljE_ZNSN_ISO_Lb0ESQ_SR_SQ_SR_SV_EESW_SX_SY_SZ_S13_S14_S15_S18_S19_jS1A_jS1B_S1B_jjS1D_bEUljE0_EEESW_SX_SY_S15_S19_S1B_T6_T7_T9_mT8_S1D_bDpT10_ENKUlT_T0_E_clISt17integral_constantIbLb0EES1R_EEDaS1M_S1N_EUlS1M_E_NS1_11comp_targetILNS1_3genE9ELNS1_11target_archE1100ELNS1_3gpuE3ELNS1_3repE0EEENS1_30default_config_static_selectorELNS0_4arch9wavefront6targetE0EEEvSZ_ ; -- Begin function _ZN7rocprim17ROCPRIM_400000_NS6detail17trampoline_kernelINS0_13select_configILj256ELj13ELNS0_17block_load_methodE3ELS4_3ELS4_3ELNS0_20block_scan_algorithmE0ELj4294967295EEENS1_25partition_config_selectorILNS1_17partition_subalgoE4EjNS0_10empty_typeEbEEZZNS1_14partition_implILS8_4ELb0ES6_15HIP_vector_typeIjLj2EENS0_17counting_iteratorIjlEEPS9_SG_NS0_5tupleIJPjSI_NS0_16reverse_iteratorISI_EEEEENSH_IJSG_SG_SG_EEES9_SI_JZNS1_25segmented_radix_sort_implINS0_14default_configELb0EPKlPlSQ_SR_N2at6native12_GLOBAL__N_18offset_tEEE10hipError_tPvRmT1_PNSt15iterator_traitsISZ_E10value_typeET2_T3_PNS10_IS15_E10value_typeET4_jRbjT5_S1B_jjP12ihipStream_tbEUljE_ZNSN_ISO_Lb0ESQ_SR_SQ_SR_SV_EESW_SX_SY_SZ_S13_S14_S15_S18_S19_jS1A_jS1B_S1B_jjS1D_bEUljE0_EEESW_SX_SY_S15_S19_S1B_T6_T7_T9_mT8_S1D_bDpT10_ENKUlT_T0_E_clISt17integral_constantIbLb0EES1R_EEDaS1M_S1N_EUlS1M_E_NS1_11comp_targetILNS1_3genE9ELNS1_11target_archE1100ELNS1_3gpuE3ELNS1_3repE0EEENS1_30default_config_static_selectorELNS0_4arch9wavefront6targetE0EEEvSZ_
	.p2align	8
	.type	_ZN7rocprim17ROCPRIM_400000_NS6detail17trampoline_kernelINS0_13select_configILj256ELj13ELNS0_17block_load_methodE3ELS4_3ELS4_3ELNS0_20block_scan_algorithmE0ELj4294967295EEENS1_25partition_config_selectorILNS1_17partition_subalgoE4EjNS0_10empty_typeEbEEZZNS1_14partition_implILS8_4ELb0ES6_15HIP_vector_typeIjLj2EENS0_17counting_iteratorIjlEEPS9_SG_NS0_5tupleIJPjSI_NS0_16reverse_iteratorISI_EEEEENSH_IJSG_SG_SG_EEES9_SI_JZNS1_25segmented_radix_sort_implINS0_14default_configELb0EPKlPlSQ_SR_N2at6native12_GLOBAL__N_18offset_tEEE10hipError_tPvRmT1_PNSt15iterator_traitsISZ_E10value_typeET2_T3_PNS10_IS15_E10value_typeET4_jRbjT5_S1B_jjP12ihipStream_tbEUljE_ZNSN_ISO_Lb0ESQ_SR_SQ_SR_SV_EESW_SX_SY_SZ_S13_S14_S15_S18_S19_jS1A_jS1B_S1B_jjS1D_bEUljE0_EEESW_SX_SY_S15_S19_S1B_T6_T7_T9_mT8_S1D_bDpT10_ENKUlT_T0_E_clISt17integral_constantIbLb0EES1R_EEDaS1M_S1N_EUlS1M_E_NS1_11comp_targetILNS1_3genE9ELNS1_11target_archE1100ELNS1_3gpuE3ELNS1_3repE0EEENS1_30default_config_static_selectorELNS0_4arch9wavefront6targetE0EEEvSZ_,@function
_ZN7rocprim17ROCPRIM_400000_NS6detail17trampoline_kernelINS0_13select_configILj256ELj13ELNS0_17block_load_methodE3ELS4_3ELS4_3ELNS0_20block_scan_algorithmE0ELj4294967295EEENS1_25partition_config_selectorILNS1_17partition_subalgoE4EjNS0_10empty_typeEbEEZZNS1_14partition_implILS8_4ELb0ES6_15HIP_vector_typeIjLj2EENS0_17counting_iteratorIjlEEPS9_SG_NS0_5tupleIJPjSI_NS0_16reverse_iteratorISI_EEEEENSH_IJSG_SG_SG_EEES9_SI_JZNS1_25segmented_radix_sort_implINS0_14default_configELb0EPKlPlSQ_SR_N2at6native12_GLOBAL__N_18offset_tEEE10hipError_tPvRmT1_PNSt15iterator_traitsISZ_E10value_typeET2_T3_PNS10_IS15_E10value_typeET4_jRbjT5_S1B_jjP12ihipStream_tbEUljE_ZNSN_ISO_Lb0ESQ_SR_SQ_SR_SV_EESW_SX_SY_SZ_S13_S14_S15_S18_S19_jS1A_jS1B_S1B_jjS1D_bEUljE0_EEESW_SX_SY_S15_S19_S1B_T6_T7_T9_mT8_S1D_bDpT10_ENKUlT_T0_E_clISt17integral_constantIbLb0EES1R_EEDaS1M_S1N_EUlS1M_E_NS1_11comp_targetILNS1_3genE9ELNS1_11target_archE1100ELNS1_3gpuE3ELNS1_3repE0EEENS1_30default_config_static_selectorELNS0_4arch9wavefront6targetE0EEEvSZ_: ; @_ZN7rocprim17ROCPRIM_400000_NS6detail17trampoline_kernelINS0_13select_configILj256ELj13ELNS0_17block_load_methodE3ELS4_3ELS4_3ELNS0_20block_scan_algorithmE0ELj4294967295EEENS1_25partition_config_selectorILNS1_17partition_subalgoE4EjNS0_10empty_typeEbEEZZNS1_14partition_implILS8_4ELb0ES6_15HIP_vector_typeIjLj2EENS0_17counting_iteratorIjlEEPS9_SG_NS0_5tupleIJPjSI_NS0_16reverse_iteratorISI_EEEEENSH_IJSG_SG_SG_EEES9_SI_JZNS1_25segmented_radix_sort_implINS0_14default_configELb0EPKlPlSQ_SR_N2at6native12_GLOBAL__N_18offset_tEEE10hipError_tPvRmT1_PNSt15iterator_traitsISZ_E10value_typeET2_T3_PNS10_IS15_E10value_typeET4_jRbjT5_S1B_jjP12ihipStream_tbEUljE_ZNSN_ISO_Lb0ESQ_SR_SQ_SR_SV_EESW_SX_SY_SZ_S13_S14_S15_S18_S19_jS1A_jS1B_S1B_jjS1D_bEUljE0_EEESW_SX_SY_S15_S19_S1B_T6_T7_T9_mT8_S1D_bDpT10_ENKUlT_T0_E_clISt17integral_constantIbLb0EES1R_EEDaS1M_S1N_EUlS1M_E_NS1_11comp_targetILNS1_3genE9ELNS1_11target_archE1100ELNS1_3gpuE3ELNS1_3repE0EEENS1_30default_config_static_selectorELNS0_4arch9wavefront6targetE0EEEvSZ_
; %bb.0:
	.section	.rodata,"a",@progbits
	.p2align	6, 0x0
	.amdhsa_kernel _ZN7rocprim17ROCPRIM_400000_NS6detail17trampoline_kernelINS0_13select_configILj256ELj13ELNS0_17block_load_methodE3ELS4_3ELS4_3ELNS0_20block_scan_algorithmE0ELj4294967295EEENS1_25partition_config_selectorILNS1_17partition_subalgoE4EjNS0_10empty_typeEbEEZZNS1_14partition_implILS8_4ELb0ES6_15HIP_vector_typeIjLj2EENS0_17counting_iteratorIjlEEPS9_SG_NS0_5tupleIJPjSI_NS0_16reverse_iteratorISI_EEEEENSH_IJSG_SG_SG_EEES9_SI_JZNS1_25segmented_radix_sort_implINS0_14default_configELb0EPKlPlSQ_SR_N2at6native12_GLOBAL__N_18offset_tEEE10hipError_tPvRmT1_PNSt15iterator_traitsISZ_E10value_typeET2_T3_PNS10_IS15_E10value_typeET4_jRbjT5_S1B_jjP12ihipStream_tbEUljE_ZNSN_ISO_Lb0ESQ_SR_SQ_SR_SV_EESW_SX_SY_SZ_S13_S14_S15_S18_S19_jS1A_jS1B_S1B_jjS1D_bEUljE0_EEESW_SX_SY_S15_S19_S1B_T6_T7_T9_mT8_S1D_bDpT10_ENKUlT_T0_E_clISt17integral_constantIbLb0EES1R_EEDaS1M_S1N_EUlS1M_E_NS1_11comp_targetILNS1_3genE9ELNS1_11target_archE1100ELNS1_3gpuE3ELNS1_3repE0EEENS1_30default_config_static_selectorELNS0_4arch9wavefront6targetE0EEEvSZ_
		.amdhsa_group_segment_fixed_size 0
		.amdhsa_private_segment_fixed_size 0
		.amdhsa_kernarg_size 176
		.amdhsa_user_sgpr_count 2
		.amdhsa_user_sgpr_dispatch_ptr 0
		.amdhsa_user_sgpr_queue_ptr 0
		.amdhsa_user_sgpr_kernarg_segment_ptr 1
		.amdhsa_user_sgpr_dispatch_id 0
		.amdhsa_user_sgpr_kernarg_preload_length 0
		.amdhsa_user_sgpr_kernarg_preload_offset 0
		.amdhsa_user_sgpr_private_segment_size 0
		.amdhsa_wavefront_size32 1
		.amdhsa_uses_dynamic_stack 0
		.amdhsa_enable_private_segment 0
		.amdhsa_system_sgpr_workgroup_id_x 1
		.amdhsa_system_sgpr_workgroup_id_y 0
		.amdhsa_system_sgpr_workgroup_id_z 0
		.amdhsa_system_sgpr_workgroup_info 0
		.amdhsa_system_vgpr_workitem_id 0
		.amdhsa_next_free_vgpr 1
		.amdhsa_next_free_sgpr 1
		.amdhsa_named_barrier_count 0
		.amdhsa_reserve_vcc 0
		.amdhsa_float_round_mode_32 0
		.amdhsa_float_round_mode_16_64 0
		.amdhsa_float_denorm_mode_32 3
		.amdhsa_float_denorm_mode_16_64 3
		.amdhsa_fp16_overflow 0
		.amdhsa_memory_ordered 1
		.amdhsa_forward_progress 1
		.amdhsa_inst_pref_size 0
		.amdhsa_round_robin_scheduling 0
		.amdhsa_exception_fp_ieee_invalid_op 0
		.amdhsa_exception_fp_denorm_src 0
		.amdhsa_exception_fp_ieee_div_zero 0
		.amdhsa_exception_fp_ieee_overflow 0
		.amdhsa_exception_fp_ieee_underflow 0
		.amdhsa_exception_fp_ieee_inexact 0
		.amdhsa_exception_int_div_zero 0
	.end_amdhsa_kernel
	.section	.text._ZN7rocprim17ROCPRIM_400000_NS6detail17trampoline_kernelINS0_13select_configILj256ELj13ELNS0_17block_load_methodE3ELS4_3ELS4_3ELNS0_20block_scan_algorithmE0ELj4294967295EEENS1_25partition_config_selectorILNS1_17partition_subalgoE4EjNS0_10empty_typeEbEEZZNS1_14partition_implILS8_4ELb0ES6_15HIP_vector_typeIjLj2EENS0_17counting_iteratorIjlEEPS9_SG_NS0_5tupleIJPjSI_NS0_16reverse_iteratorISI_EEEEENSH_IJSG_SG_SG_EEES9_SI_JZNS1_25segmented_radix_sort_implINS0_14default_configELb0EPKlPlSQ_SR_N2at6native12_GLOBAL__N_18offset_tEEE10hipError_tPvRmT1_PNSt15iterator_traitsISZ_E10value_typeET2_T3_PNS10_IS15_E10value_typeET4_jRbjT5_S1B_jjP12ihipStream_tbEUljE_ZNSN_ISO_Lb0ESQ_SR_SQ_SR_SV_EESW_SX_SY_SZ_S13_S14_S15_S18_S19_jS1A_jS1B_S1B_jjS1D_bEUljE0_EEESW_SX_SY_S15_S19_S1B_T6_T7_T9_mT8_S1D_bDpT10_ENKUlT_T0_E_clISt17integral_constantIbLb0EES1R_EEDaS1M_S1N_EUlS1M_E_NS1_11comp_targetILNS1_3genE9ELNS1_11target_archE1100ELNS1_3gpuE3ELNS1_3repE0EEENS1_30default_config_static_selectorELNS0_4arch9wavefront6targetE0EEEvSZ_,"axG",@progbits,_ZN7rocprim17ROCPRIM_400000_NS6detail17trampoline_kernelINS0_13select_configILj256ELj13ELNS0_17block_load_methodE3ELS4_3ELS4_3ELNS0_20block_scan_algorithmE0ELj4294967295EEENS1_25partition_config_selectorILNS1_17partition_subalgoE4EjNS0_10empty_typeEbEEZZNS1_14partition_implILS8_4ELb0ES6_15HIP_vector_typeIjLj2EENS0_17counting_iteratorIjlEEPS9_SG_NS0_5tupleIJPjSI_NS0_16reverse_iteratorISI_EEEEENSH_IJSG_SG_SG_EEES9_SI_JZNS1_25segmented_radix_sort_implINS0_14default_configELb0EPKlPlSQ_SR_N2at6native12_GLOBAL__N_18offset_tEEE10hipError_tPvRmT1_PNSt15iterator_traitsISZ_E10value_typeET2_T3_PNS10_IS15_E10value_typeET4_jRbjT5_S1B_jjP12ihipStream_tbEUljE_ZNSN_ISO_Lb0ESQ_SR_SQ_SR_SV_EESW_SX_SY_SZ_S13_S14_S15_S18_S19_jS1A_jS1B_S1B_jjS1D_bEUljE0_EEESW_SX_SY_S15_S19_S1B_T6_T7_T9_mT8_S1D_bDpT10_ENKUlT_T0_E_clISt17integral_constantIbLb0EES1R_EEDaS1M_S1N_EUlS1M_E_NS1_11comp_targetILNS1_3genE9ELNS1_11target_archE1100ELNS1_3gpuE3ELNS1_3repE0EEENS1_30default_config_static_selectorELNS0_4arch9wavefront6targetE0EEEvSZ_,comdat
.Lfunc_end745:
	.size	_ZN7rocprim17ROCPRIM_400000_NS6detail17trampoline_kernelINS0_13select_configILj256ELj13ELNS0_17block_load_methodE3ELS4_3ELS4_3ELNS0_20block_scan_algorithmE0ELj4294967295EEENS1_25partition_config_selectorILNS1_17partition_subalgoE4EjNS0_10empty_typeEbEEZZNS1_14partition_implILS8_4ELb0ES6_15HIP_vector_typeIjLj2EENS0_17counting_iteratorIjlEEPS9_SG_NS0_5tupleIJPjSI_NS0_16reverse_iteratorISI_EEEEENSH_IJSG_SG_SG_EEES9_SI_JZNS1_25segmented_radix_sort_implINS0_14default_configELb0EPKlPlSQ_SR_N2at6native12_GLOBAL__N_18offset_tEEE10hipError_tPvRmT1_PNSt15iterator_traitsISZ_E10value_typeET2_T3_PNS10_IS15_E10value_typeET4_jRbjT5_S1B_jjP12ihipStream_tbEUljE_ZNSN_ISO_Lb0ESQ_SR_SQ_SR_SV_EESW_SX_SY_SZ_S13_S14_S15_S18_S19_jS1A_jS1B_S1B_jjS1D_bEUljE0_EEESW_SX_SY_S15_S19_S1B_T6_T7_T9_mT8_S1D_bDpT10_ENKUlT_T0_E_clISt17integral_constantIbLb0EES1R_EEDaS1M_S1N_EUlS1M_E_NS1_11comp_targetILNS1_3genE9ELNS1_11target_archE1100ELNS1_3gpuE3ELNS1_3repE0EEENS1_30default_config_static_selectorELNS0_4arch9wavefront6targetE0EEEvSZ_, .Lfunc_end745-_ZN7rocprim17ROCPRIM_400000_NS6detail17trampoline_kernelINS0_13select_configILj256ELj13ELNS0_17block_load_methodE3ELS4_3ELS4_3ELNS0_20block_scan_algorithmE0ELj4294967295EEENS1_25partition_config_selectorILNS1_17partition_subalgoE4EjNS0_10empty_typeEbEEZZNS1_14partition_implILS8_4ELb0ES6_15HIP_vector_typeIjLj2EENS0_17counting_iteratorIjlEEPS9_SG_NS0_5tupleIJPjSI_NS0_16reverse_iteratorISI_EEEEENSH_IJSG_SG_SG_EEES9_SI_JZNS1_25segmented_radix_sort_implINS0_14default_configELb0EPKlPlSQ_SR_N2at6native12_GLOBAL__N_18offset_tEEE10hipError_tPvRmT1_PNSt15iterator_traitsISZ_E10value_typeET2_T3_PNS10_IS15_E10value_typeET4_jRbjT5_S1B_jjP12ihipStream_tbEUljE_ZNSN_ISO_Lb0ESQ_SR_SQ_SR_SV_EESW_SX_SY_SZ_S13_S14_S15_S18_S19_jS1A_jS1B_S1B_jjS1D_bEUljE0_EEESW_SX_SY_S15_S19_S1B_T6_T7_T9_mT8_S1D_bDpT10_ENKUlT_T0_E_clISt17integral_constantIbLb0EES1R_EEDaS1M_S1N_EUlS1M_E_NS1_11comp_targetILNS1_3genE9ELNS1_11target_archE1100ELNS1_3gpuE3ELNS1_3repE0EEENS1_30default_config_static_selectorELNS0_4arch9wavefront6targetE0EEEvSZ_
                                        ; -- End function
	.set _ZN7rocprim17ROCPRIM_400000_NS6detail17trampoline_kernelINS0_13select_configILj256ELj13ELNS0_17block_load_methodE3ELS4_3ELS4_3ELNS0_20block_scan_algorithmE0ELj4294967295EEENS1_25partition_config_selectorILNS1_17partition_subalgoE4EjNS0_10empty_typeEbEEZZNS1_14partition_implILS8_4ELb0ES6_15HIP_vector_typeIjLj2EENS0_17counting_iteratorIjlEEPS9_SG_NS0_5tupleIJPjSI_NS0_16reverse_iteratorISI_EEEEENSH_IJSG_SG_SG_EEES9_SI_JZNS1_25segmented_radix_sort_implINS0_14default_configELb0EPKlPlSQ_SR_N2at6native12_GLOBAL__N_18offset_tEEE10hipError_tPvRmT1_PNSt15iterator_traitsISZ_E10value_typeET2_T3_PNS10_IS15_E10value_typeET4_jRbjT5_S1B_jjP12ihipStream_tbEUljE_ZNSN_ISO_Lb0ESQ_SR_SQ_SR_SV_EESW_SX_SY_SZ_S13_S14_S15_S18_S19_jS1A_jS1B_S1B_jjS1D_bEUljE0_EEESW_SX_SY_S15_S19_S1B_T6_T7_T9_mT8_S1D_bDpT10_ENKUlT_T0_E_clISt17integral_constantIbLb0EES1R_EEDaS1M_S1N_EUlS1M_E_NS1_11comp_targetILNS1_3genE9ELNS1_11target_archE1100ELNS1_3gpuE3ELNS1_3repE0EEENS1_30default_config_static_selectorELNS0_4arch9wavefront6targetE0EEEvSZ_.num_vgpr, 0
	.set _ZN7rocprim17ROCPRIM_400000_NS6detail17trampoline_kernelINS0_13select_configILj256ELj13ELNS0_17block_load_methodE3ELS4_3ELS4_3ELNS0_20block_scan_algorithmE0ELj4294967295EEENS1_25partition_config_selectorILNS1_17partition_subalgoE4EjNS0_10empty_typeEbEEZZNS1_14partition_implILS8_4ELb0ES6_15HIP_vector_typeIjLj2EENS0_17counting_iteratorIjlEEPS9_SG_NS0_5tupleIJPjSI_NS0_16reverse_iteratorISI_EEEEENSH_IJSG_SG_SG_EEES9_SI_JZNS1_25segmented_radix_sort_implINS0_14default_configELb0EPKlPlSQ_SR_N2at6native12_GLOBAL__N_18offset_tEEE10hipError_tPvRmT1_PNSt15iterator_traitsISZ_E10value_typeET2_T3_PNS10_IS15_E10value_typeET4_jRbjT5_S1B_jjP12ihipStream_tbEUljE_ZNSN_ISO_Lb0ESQ_SR_SQ_SR_SV_EESW_SX_SY_SZ_S13_S14_S15_S18_S19_jS1A_jS1B_S1B_jjS1D_bEUljE0_EEESW_SX_SY_S15_S19_S1B_T6_T7_T9_mT8_S1D_bDpT10_ENKUlT_T0_E_clISt17integral_constantIbLb0EES1R_EEDaS1M_S1N_EUlS1M_E_NS1_11comp_targetILNS1_3genE9ELNS1_11target_archE1100ELNS1_3gpuE3ELNS1_3repE0EEENS1_30default_config_static_selectorELNS0_4arch9wavefront6targetE0EEEvSZ_.num_agpr, 0
	.set _ZN7rocprim17ROCPRIM_400000_NS6detail17trampoline_kernelINS0_13select_configILj256ELj13ELNS0_17block_load_methodE3ELS4_3ELS4_3ELNS0_20block_scan_algorithmE0ELj4294967295EEENS1_25partition_config_selectorILNS1_17partition_subalgoE4EjNS0_10empty_typeEbEEZZNS1_14partition_implILS8_4ELb0ES6_15HIP_vector_typeIjLj2EENS0_17counting_iteratorIjlEEPS9_SG_NS0_5tupleIJPjSI_NS0_16reverse_iteratorISI_EEEEENSH_IJSG_SG_SG_EEES9_SI_JZNS1_25segmented_radix_sort_implINS0_14default_configELb0EPKlPlSQ_SR_N2at6native12_GLOBAL__N_18offset_tEEE10hipError_tPvRmT1_PNSt15iterator_traitsISZ_E10value_typeET2_T3_PNS10_IS15_E10value_typeET4_jRbjT5_S1B_jjP12ihipStream_tbEUljE_ZNSN_ISO_Lb0ESQ_SR_SQ_SR_SV_EESW_SX_SY_SZ_S13_S14_S15_S18_S19_jS1A_jS1B_S1B_jjS1D_bEUljE0_EEESW_SX_SY_S15_S19_S1B_T6_T7_T9_mT8_S1D_bDpT10_ENKUlT_T0_E_clISt17integral_constantIbLb0EES1R_EEDaS1M_S1N_EUlS1M_E_NS1_11comp_targetILNS1_3genE9ELNS1_11target_archE1100ELNS1_3gpuE3ELNS1_3repE0EEENS1_30default_config_static_selectorELNS0_4arch9wavefront6targetE0EEEvSZ_.numbered_sgpr, 0
	.set _ZN7rocprim17ROCPRIM_400000_NS6detail17trampoline_kernelINS0_13select_configILj256ELj13ELNS0_17block_load_methodE3ELS4_3ELS4_3ELNS0_20block_scan_algorithmE0ELj4294967295EEENS1_25partition_config_selectorILNS1_17partition_subalgoE4EjNS0_10empty_typeEbEEZZNS1_14partition_implILS8_4ELb0ES6_15HIP_vector_typeIjLj2EENS0_17counting_iteratorIjlEEPS9_SG_NS0_5tupleIJPjSI_NS0_16reverse_iteratorISI_EEEEENSH_IJSG_SG_SG_EEES9_SI_JZNS1_25segmented_radix_sort_implINS0_14default_configELb0EPKlPlSQ_SR_N2at6native12_GLOBAL__N_18offset_tEEE10hipError_tPvRmT1_PNSt15iterator_traitsISZ_E10value_typeET2_T3_PNS10_IS15_E10value_typeET4_jRbjT5_S1B_jjP12ihipStream_tbEUljE_ZNSN_ISO_Lb0ESQ_SR_SQ_SR_SV_EESW_SX_SY_SZ_S13_S14_S15_S18_S19_jS1A_jS1B_S1B_jjS1D_bEUljE0_EEESW_SX_SY_S15_S19_S1B_T6_T7_T9_mT8_S1D_bDpT10_ENKUlT_T0_E_clISt17integral_constantIbLb0EES1R_EEDaS1M_S1N_EUlS1M_E_NS1_11comp_targetILNS1_3genE9ELNS1_11target_archE1100ELNS1_3gpuE3ELNS1_3repE0EEENS1_30default_config_static_selectorELNS0_4arch9wavefront6targetE0EEEvSZ_.num_named_barrier, 0
	.set _ZN7rocprim17ROCPRIM_400000_NS6detail17trampoline_kernelINS0_13select_configILj256ELj13ELNS0_17block_load_methodE3ELS4_3ELS4_3ELNS0_20block_scan_algorithmE0ELj4294967295EEENS1_25partition_config_selectorILNS1_17partition_subalgoE4EjNS0_10empty_typeEbEEZZNS1_14partition_implILS8_4ELb0ES6_15HIP_vector_typeIjLj2EENS0_17counting_iteratorIjlEEPS9_SG_NS0_5tupleIJPjSI_NS0_16reverse_iteratorISI_EEEEENSH_IJSG_SG_SG_EEES9_SI_JZNS1_25segmented_radix_sort_implINS0_14default_configELb0EPKlPlSQ_SR_N2at6native12_GLOBAL__N_18offset_tEEE10hipError_tPvRmT1_PNSt15iterator_traitsISZ_E10value_typeET2_T3_PNS10_IS15_E10value_typeET4_jRbjT5_S1B_jjP12ihipStream_tbEUljE_ZNSN_ISO_Lb0ESQ_SR_SQ_SR_SV_EESW_SX_SY_SZ_S13_S14_S15_S18_S19_jS1A_jS1B_S1B_jjS1D_bEUljE0_EEESW_SX_SY_S15_S19_S1B_T6_T7_T9_mT8_S1D_bDpT10_ENKUlT_T0_E_clISt17integral_constantIbLb0EES1R_EEDaS1M_S1N_EUlS1M_E_NS1_11comp_targetILNS1_3genE9ELNS1_11target_archE1100ELNS1_3gpuE3ELNS1_3repE0EEENS1_30default_config_static_selectorELNS0_4arch9wavefront6targetE0EEEvSZ_.private_seg_size, 0
	.set _ZN7rocprim17ROCPRIM_400000_NS6detail17trampoline_kernelINS0_13select_configILj256ELj13ELNS0_17block_load_methodE3ELS4_3ELS4_3ELNS0_20block_scan_algorithmE0ELj4294967295EEENS1_25partition_config_selectorILNS1_17partition_subalgoE4EjNS0_10empty_typeEbEEZZNS1_14partition_implILS8_4ELb0ES6_15HIP_vector_typeIjLj2EENS0_17counting_iteratorIjlEEPS9_SG_NS0_5tupleIJPjSI_NS0_16reverse_iteratorISI_EEEEENSH_IJSG_SG_SG_EEES9_SI_JZNS1_25segmented_radix_sort_implINS0_14default_configELb0EPKlPlSQ_SR_N2at6native12_GLOBAL__N_18offset_tEEE10hipError_tPvRmT1_PNSt15iterator_traitsISZ_E10value_typeET2_T3_PNS10_IS15_E10value_typeET4_jRbjT5_S1B_jjP12ihipStream_tbEUljE_ZNSN_ISO_Lb0ESQ_SR_SQ_SR_SV_EESW_SX_SY_SZ_S13_S14_S15_S18_S19_jS1A_jS1B_S1B_jjS1D_bEUljE0_EEESW_SX_SY_S15_S19_S1B_T6_T7_T9_mT8_S1D_bDpT10_ENKUlT_T0_E_clISt17integral_constantIbLb0EES1R_EEDaS1M_S1N_EUlS1M_E_NS1_11comp_targetILNS1_3genE9ELNS1_11target_archE1100ELNS1_3gpuE3ELNS1_3repE0EEENS1_30default_config_static_selectorELNS0_4arch9wavefront6targetE0EEEvSZ_.uses_vcc, 0
	.set _ZN7rocprim17ROCPRIM_400000_NS6detail17trampoline_kernelINS0_13select_configILj256ELj13ELNS0_17block_load_methodE3ELS4_3ELS4_3ELNS0_20block_scan_algorithmE0ELj4294967295EEENS1_25partition_config_selectorILNS1_17partition_subalgoE4EjNS0_10empty_typeEbEEZZNS1_14partition_implILS8_4ELb0ES6_15HIP_vector_typeIjLj2EENS0_17counting_iteratorIjlEEPS9_SG_NS0_5tupleIJPjSI_NS0_16reverse_iteratorISI_EEEEENSH_IJSG_SG_SG_EEES9_SI_JZNS1_25segmented_radix_sort_implINS0_14default_configELb0EPKlPlSQ_SR_N2at6native12_GLOBAL__N_18offset_tEEE10hipError_tPvRmT1_PNSt15iterator_traitsISZ_E10value_typeET2_T3_PNS10_IS15_E10value_typeET4_jRbjT5_S1B_jjP12ihipStream_tbEUljE_ZNSN_ISO_Lb0ESQ_SR_SQ_SR_SV_EESW_SX_SY_SZ_S13_S14_S15_S18_S19_jS1A_jS1B_S1B_jjS1D_bEUljE0_EEESW_SX_SY_S15_S19_S1B_T6_T7_T9_mT8_S1D_bDpT10_ENKUlT_T0_E_clISt17integral_constantIbLb0EES1R_EEDaS1M_S1N_EUlS1M_E_NS1_11comp_targetILNS1_3genE9ELNS1_11target_archE1100ELNS1_3gpuE3ELNS1_3repE0EEENS1_30default_config_static_selectorELNS0_4arch9wavefront6targetE0EEEvSZ_.uses_flat_scratch, 0
	.set _ZN7rocprim17ROCPRIM_400000_NS6detail17trampoline_kernelINS0_13select_configILj256ELj13ELNS0_17block_load_methodE3ELS4_3ELS4_3ELNS0_20block_scan_algorithmE0ELj4294967295EEENS1_25partition_config_selectorILNS1_17partition_subalgoE4EjNS0_10empty_typeEbEEZZNS1_14partition_implILS8_4ELb0ES6_15HIP_vector_typeIjLj2EENS0_17counting_iteratorIjlEEPS9_SG_NS0_5tupleIJPjSI_NS0_16reverse_iteratorISI_EEEEENSH_IJSG_SG_SG_EEES9_SI_JZNS1_25segmented_radix_sort_implINS0_14default_configELb0EPKlPlSQ_SR_N2at6native12_GLOBAL__N_18offset_tEEE10hipError_tPvRmT1_PNSt15iterator_traitsISZ_E10value_typeET2_T3_PNS10_IS15_E10value_typeET4_jRbjT5_S1B_jjP12ihipStream_tbEUljE_ZNSN_ISO_Lb0ESQ_SR_SQ_SR_SV_EESW_SX_SY_SZ_S13_S14_S15_S18_S19_jS1A_jS1B_S1B_jjS1D_bEUljE0_EEESW_SX_SY_S15_S19_S1B_T6_T7_T9_mT8_S1D_bDpT10_ENKUlT_T0_E_clISt17integral_constantIbLb0EES1R_EEDaS1M_S1N_EUlS1M_E_NS1_11comp_targetILNS1_3genE9ELNS1_11target_archE1100ELNS1_3gpuE3ELNS1_3repE0EEENS1_30default_config_static_selectorELNS0_4arch9wavefront6targetE0EEEvSZ_.has_dyn_sized_stack, 0
	.set _ZN7rocprim17ROCPRIM_400000_NS6detail17trampoline_kernelINS0_13select_configILj256ELj13ELNS0_17block_load_methodE3ELS4_3ELS4_3ELNS0_20block_scan_algorithmE0ELj4294967295EEENS1_25partition_config_selectorILNS1_17partition_subalgoE4EjNS0_10empty_typeEbEEZZNS1_14partition_implILS8_4ELb0ES6_15HIP_vector_typeIjLj2EENS0_17counting_iteratorIjlEEPS9_SG_NS0_5tupleIJPjSI_NS0_16reverse_iteratorISI_EEEEENSH_IJSG_SG_SG_EEES9_SI_JZNS1_25segmented_radix_sort_implINS0_14default_configELb0EPKlPlSQ_SR_N2at6native12_GLOBAL__N_18offset_tEEE10hipError_tPvRmT1_PNSt15iterator_traitsISZ_E10value_typeET2_T3_PNS10_IS15_E10value_typeET4_jRbjT5_S1B_jjP12ihipStream_tbEUljE_ZNSN_ISO_Lb0ESQ_SR_SQ_SR_SV_EESW_SX_SY_SZ_S13_S14_S15_S18_S19_jS1A_jS1B_S1B_jjS1D_bEUljE0_EEESW_SX_SY_S15_S19_S1B_T6_T7_T9_mT8_S1D_bDpT10_ENKUlT_T0_E_clISt17integral_constantIbLb0EES1R_EEDaS1M_S1N_EUlS1M_E_NS1_11comp_targetILNS1_3genE9ELNS1_11target_archE1100ELNS1_3gpuE3ELNS1_3repE0EEENS1_30default_config_static_selectorELNS0_4arch9wavefront6targetE0EEEvSZ_.has_recursion, 0
	.set _ZN7rocprim17ROCPRIM_400000_NS6detail17trampoline_kernelINS0_13select_configILj256ELj13ELNS0_17block_load_methodE3ELS4_3ELS4_3ELNS0_20block_scan_algorithmE0ELj4294967295EEENS1_25partition_config_selectorILNS1_17partition_subalgoE4EjNS0_10empty_typeEbEEZZNS1_14partition_implILS8_4ELb0ES6_15HIP_vector_typeIjLj2EENS0_17counting_iteratorIjlEEPS9_SG_NS0_5tupleIJPjSI_NS0_16reverse_iteratorISI_EEEEENSH_IJSG_SG_SG_EEES9_SI_JZNS1_25segmented_radix_sort_implINS0_14default_configELb0EPKlPlSQ_SR_N2at6native12_GLOBAL__N_18offset_tEEE10hipError_tPvRmT1_PNSt15iterator_traitsISZ_E10value_typeET2_T3_PNS10_IS15_E10value_typeET4_jRbjT5_S1B_jjP12ihipStream_tbEUljE_ZNSN_ISO_Lb0ESQ_SR_SQ_SR_SV_EESW_SX_SY_SZ_S13_S14_S15_S18_S19_jS1A_jS1B_S1B_jjS1D_bEUljE0_EEESW_SX_SY_S15_S19_S1B_T6_T7_T9_mT8_S1D_bDpT10_ENKUlT_T0_E_clISt17integral_constantIbLb0EES1R_EEDaS1M_S1N_EUlS1M_E_NS1_11comp_targetILNS1_3genE9ELNS1_11target_archE1100ELNS1_3gpuE3ELNS1_3repE0EEENS1_30default_config_static_selectorELNS0_4arch9wavefront6targetE0EEEvSZ_.has_indirect_call, 0
	.section	.AMDGPU.csdata,"",@progbits
; Kernel info:
; codeLenInByte = 0
; TotalNumSgprs: 0
; NumVgprs: 0
; ScratchSize: 0
; MemoryBound: 0
; FloatMode: 240
; IeeeMode: 1
; LDSByteSize: 0 bytes/workgroup (compile time only)
; SGPRBlocks: 0
; VGPRBlocks: 0
; NumSGPRsForWavesPerEU: 1
; NumVGPRsForWavesPerEU: 1
; NamedBarCnt: 0
; Occupancy: 16
; WaveLimiterHint : 0
; COMPUTE_PGM_RSRC2:SCRATCH_EN: 0
; COMPUTE_PGM_RSRC2:USER_SGPR: 2
; COMPUTE_PGM_RSRC2:TRAP_HANDLER: 0
; COMPUTE_PGM_RSRC2:TGID_X_EN: 1
; COMPUTE_PGM_RSRC2:TGID_Y_EN: 0
; COMPUTE_PGM_RSRC2:TGID_Z_EN: 0
; COMPUTE_PGM_RSRC2:TIDIG_COMP_CNT: 0
	.section	.text._ZN7rocprim17ROCPRIM_400000_NS6detail17trampoline_kernelINS0_13select_configILj256ELj13ELNS0_17block_load_methodE3ELS4_3ELS4_3ELNS0_20block_scan_algorithmE0ELj4294967295EEENS1_25partition_config_selectorILNS1_17partition_subalgoE4EjNS0_10empty_typeEbEEZZNS1_14partition_implILS8_4ELb0ES6_15HIP_vector_typeIjLj2EENS0_17counting_iteratorIjlEEPS9_SG_NS0_5tupleIJPjSI_NS0_16reverse_iteratorISI_EEEEENSH_IJSG_SG_SG_EEES9_SI_JZNS1_25segmented_radix_sort_implINS0_14default_configELb0EPKlPlSQ_SR_N2at6native12_GLOBAL__N_18offset_tEEE10hipError_tPvRmT1_PNSt15iterator_traitsISZ_E10value_typeET2_T3_PNS10_IS15_E10value_typeET4_jRbjT5_S1B_jjP12ihipStream_tbEUljE_ZNSN_ISO_Lb0ESQ_SR_SQ_SR_SV_EESW_SX_SY_SZ_S13_S14_S15_S18_S19_jS1A_jS1B_S1B_jjS1D_bEUljE0_EEESW_SX_SY_S15_S19_S1B_T6_T7_T9_mT8_S1D_bDpT10_ENKUlT_T0_E_clISt17integral_constantIbLb0EES1R_EEDaS1M_S1N_EUlS1M_E_NS1_11comp_targetILNS1_3genE8ELNS1_11target_archE1030ELNS1_3gpuE2ELNS1_3repE0EEENS1_30default_config_static_selectorELNS0_4arch9wavefront6targetE0EEEvSZ_,"axG",@progbits,_ZN7rocprim17ROCPRIM_400000_NS6detail17trampoline_kernelINS0_13select_configILj256ELj13ELNS0_17block_load_methodE3ELS4_3ELS4_3ELNS0_20block_scan_algorithmE0ELj4294967295EEENS1_25partition_config_selectorILNS1_17partition_subalgoE4EjNS0_10empty_typeEbEEZZNS1_14partition_implILS8_4ELb0ES6_15HIP_vector_typeIjLj2EENS0_17counting_iteratorIjlEEPS9_SG_NS0_5tupleIJPjSI_NS0_16reverse_iteratorISI_EEEEENSH_IJSG_SG_SG_EEES9_SI_JZNS1_25segmented_radix_sort_implINS0_14default_configELb0EPKlPlSQ_SR_N2at6native12_GLOBAL__N_18offset_tEEE10hipError_tPvRmT1_PNSt15iterator_traitsISZ_E10value_typeET2_T3_PNS10_IS15_E10value_typeET4_jRbjT5_S1B_jjP12ihipStream_tbEUljE_ZNSN_ISO_Lb0ESQ_SR_SQ_SR_SV_EESW_SX_SY_SZ_S13_S14_S15_S18_S19_jS1A_jS1B_S1B_jjS1D_bEUljE0_EEESW_SX_SY_S15_S19_S1B_T6_T7_T9_mT8_S1D_bDpT10_ENKUlT_T0_E_clISt17integral_constantIbLb0EES1R_EEDaS1M_S1N_EUlS1M_E_NS1_11comp_targetILNS1_3genE8ELNS1_11target_archE1030ELNS1_3gpuE2ELNS1_3repE0EEENS1_30default_config_static_selectorELNS0_4arch9wavefront6targetE0EEEvSZ_,comdat
	.globl	_ZN7rocprim17ROCPRIM_400000_NS6detail17trampoline_kernelINS0_13select_configILj256ELj13ELNS0_17block_load_methodE3ELS4_3ELS4_3ELNS0_20block_scan_algorithmE0ELj4294967295EEENS1_25partition_config_selectorILNS1_17partition_subalgoE4EjNS0_10empty_typeEbEEZZNS1_14partition_implILS8_4ELb0ES6_15HIP_vector_typeIjLj2EENS0_17counting_iteratorIjlEEPS9_SG_NS0_5tupleIJPjSI_NS0_16reverse_iteratorISI_EEEEENSH_IJSG_SG_SG_EEES9_SI_JZNS1_25segmented_radix_sort_implINS0_14default_configELb0EPKlPlSQ_SR_N2at6native12_GLOBAL__N_18offset_tEEE10hipError_tPvRmT1_PNSt15iterator_traitsISZ_E10value_typeET2_T3_PNS10_IS15_E10value_typeET4_jRbjT5_S1B_jjP12ihipStream_tbEUljE_ZNSN_ISO_Lb0ESQ_SR_SQ_SR_SV_EESW_SX_SY_SZ_S13_S14_S15_S18_S19_jS1A_jS1B_S1B_jjS1D_bEUljE0_EEESW_SX_SY_S15_S19_S1B_T6_T7_T9_mT8_S1D_bDpT10_ENKUlT_T0_E_clISt17integral_constantIbLb0EES1R_EEDaS1M_S1N_EUlS1M_E_NS1_11comp_targetILNS1_3genE8ELNS1_11target_archE1030ELNS1_3gpuE2ELNS1_3repE0EEENS1_30default_config_static_selectorELNS0_4arch9wavefront6targetE0EEEvSZ_ ; -- Begin function _ZN7rocprim17ROCPRIM_400000_NS6detail17trampoline_kernelINS0_13select_configILj256ELj13ELNS0_17block_load_methodE3ELS4_3ELS4_3ELNS0_20block_scan_algorithmE0ELj4294967295EEENS1_25partition_config_selectorILNS1_17partition_subalgoE4EjNS0_10empty_typeEbEEZZNS1_14partition_implILS8_4ELb0ES6_15HIP_vector_typeIjLj2EENS0_17counting_iteratorIjlEEPS9_SG_NS0_5tupleIJPjSI_NS0_16reverse_iteratorISI_EEEEENSH_IJSG_SG_SG_EEES9_SI_JZNS1_25segmented_radix_sort_implINS0_14default_configELb0EPKlPlSQ_SR_N2at6native12_GLOBAL__N_18offset_tEEE10hipError_tPvRmT1_PNSt15iterator_traitsISZ_E10value_typeET2_T3_PNS10_IS15_E10value_typeET4_jRbjT5_S1B_jjP12ihipStream_tbEUljE_ZNSN_ISO_Lb0ESQ_SR_SQ_SR_SV_EESW_SX_SY_SZ_S13_S14_S15_S18_S19_jS1A_jS1B_S1B_jjS1D_bEUljE0_EEESW_SX_SY_S15_S19_S1B_T6_T7_T9_mT8_S1D_bDpT10_ENKUlT_T0_E_clISt17integral_constantIbLb0EES1R_EEDaS1M_S1N_EUlS1M_E_NS1_11comp_targetILNS1_3genE8ELNS1_11target_archE1030ELNS1_3gpuE2ELNS1_3repE0EEENS1_30default_config_static_selectorELNS0_4arch9wavefront6targetE0EEEvSZ_
	.p2align	8
	.type	_ZN7rocprim17ROCPRIM_400000_NS6detail17trampoline_kernelINS0_13select_configILj256ELj13ELNS0_17block_load_methodE3ELS4_3ELS4_3ELNS0_20block_scan_algorithmE0ELj4294967295EEENS1_25partition_config_selectorILNS1_17partition_subalgoE4EjNS0_10empty_typeEbEEZZNS1_14partition_implILS8_4ELb0ES6_15HIP_vector_typeIjLj2EENS0_17counting_iteratorIjlEEPS9_SG_NS0_5tupleIJPjSI_NS0_16reverse_iteratorISI_EEEEENSH_IJSG_SG_SG_EEES9_SI_JZNS1_25segmented_radix_sort_implINS0_14default_configELb0EPKlPlSQ_SR_N2at6native12_GLOBAL__N_18offset_tEEE10hipError_tPvRmT1_PNSt15iterator_traitsISZ_E10value_typeET2_T3_PNS10_IS15_E10value_typeET4_jRbjT5_S1B_jjP12ihipStream_tbEUljE_ZNSN_ISO_Lb0ESQ_SR_SQ_SR_SV_EESW_SX_SY_SZ_S13_S14_S15_S18_S19_jS1A_jS1B_S1B_jjS1D_bEUljE0_EEESW_SX_SY_S15_S19_S1B_T6_T7_T9_mT8_S1D_bDpT10_ENKUlT_T0_E_clISt17integral_constantIbLb0EES1R_EEDaS1M_S1N_EUlS1M_E_NS1_11comp_targetILNS1_3genE8ELNS1_11target_archE1030ELNS1_3gpuE2ELNS1_3repE0EEENS1_30default_config_static_selectorELNS0_4arch9wavefront6targetE0EEEvSZ_,@function
_ZN7rocprim17ROCPRIM_400000_NS6detail17trampoline_kernelINS0_13select_configILj256ELj13ELNS0_17block_load_methodE3ELS4_3ELS4_3ELNS0_20block_scan_algorithmE0ELj4294967295EEENS1_25partition_config_selectorILNS1_17partition_subalgoE4EjNS0_10empty_typeEbEEZZNS1_14partition_implILS8_4ELb0ES6_15HIP_vector_typeIjLj2EENS0_17counting_iteratorIjlEEPS9_SG_NS0_5tupleIJPjSI_NS0_16reverse_iteratorISI_EEEEENSH_IJSG_SG_SG_EEES9_SI_JZNS1_25segmented_radix_sort_implINS0_14default_configELb0EPKlPlSQ_SR_N2at6native12_GLOBAL__N_18offset_tEEE10hipError_tPvRmT1_PNSt15iterator_traitsISZ_E10value_typeET2_T3_PNS10_IS15_E10value_typeET4_jRbjT5_S1B_jjP12ihipStream_tbEUljE_ZNSN_ISO_Lb0ESQ_SR_SQ_SR_SV_EESW_SX_SY_SZ_S13_S14_S15_S18_S19_jS1A_jS1B_S1B_jjS1D_bEUljE0_EEESW_SX_SY_S15_S19_S1B_T6_T7_T9_mT8_S1D_bDpT10_ENKUlT_T0_E_clISt17integral_constantIbLb0EES1R_EEDaS1M_S1N_EUlS1M_E_NS1_11comp_targetILNS1_3genE8ELNS1_11target_archE1030ELNS1_3gpuE2ELNS1_3repE0EEENS1_30default_config_static_selectorELNS0_4arch9wavefront6targetE0EEEvSZ_: ; @_ZN7rocprim17ROCPRIM_400000_NS6detail17trampoline_kernelINS0_13select_configILj256ELj13ELNS0_17block_load_methodE3ELS4_3ELS4_3ELNS0_20block_scan_algorithmE0ELj4294967295EEENS1_25partition_config_selectorILNS1_17partition_subalgoE4EjNS0_10empty_typeEbEEZZNS1_14partition_implILS8_4ELb0ES6_15HIP_vector_typeIjLj2EENS0_17counting_iteratorIjlEEPS9_SG_NS0_5tupleIJPjSI_NS0_16reverse_iteratorISI_EEEEENSH_IJSG_SG_SG_EEES9_SI_JZNS1_25segmented_radix_sort_implINS0_14default_configELb0EPKlPlSQ_SR_N2at6native12_GLOBAL__N_18offset_tEEE10hipError_tPvRmT1_PNSt15iterator_traitsISZ_E10value_typeET2_T3_PNS10_IS15_E10value_typeET4_jRbjT5_S1B_jjP12ihipStream_tbEUljE_ZNSN_ISO_Lb0ESQ_SR_SQ_SR_SV_EESW_SX_SY_SZ_S13_S14_S15_S18_S19_jS1A_jS1B_S1B_jjS1D_bEUljE0_EEESW_SX_SY_S15_S19_S1B_T6_T7_T9_mT8_S1D_bDpT10_ENKUlT_T0_E_clISt17integral_constantIbLb0EES1R_EEDaS1M_S1N_EUlS1M_E_NS1_11comp_targetILNS1_3genE8ELNS1_11target_archE1030ELNS1_3gpuE2ELNS1_3repE0EEENS1_30default_config_static_selectorELNS0_4arch9wavefront6targetE0EEEvSZ_
; %bb.0:
	.section	.rodata,"a",@progbits
	.p2align	6, 0x0
	.amdhsa_kernel _ZN7rocprim17ROCPRIM_400000_NS6detail17trampoline_kernelINS0_13select_configILj256ELj13ELNS0_17block_load_methodE3ELS4_3ELS4_3ELNS0_20block_scan_algorithmE0ELj4294967295EEENS1_25partition_config_selectorILNS1_17partition_subalgoE4EjNS0_10empty_typeEbEEZZNS1_14partition_implILS8_4ELb0ES6_15HIP_vector_typeIjLj2EENS0_17counting_iteratorIjlEEPS9_SG_NS0_5tupleIJPjSI_NS0_16reverse_iteratorISI_EEEEENSH_IJSG_SG_SG_EEES9_SI_JZNS1_25segmented_radix_sort_implINS0_14default_configELb0EPKlPlSQ_SR_N2at6native12_GLOBAL__N_18offset_tEEE10hipError_tPvRmT1_PNSt15iterator_traitsISZ_E10value_typeET2_T3_PNS10_IS15_E10value_typeET4_jRbjT5_S1B_jjP12ihipStream_tbEUljE_ZNSN_ISO_Lb0ESQ_SR_SQ_SR_SV_EESW_SX_SY_SZ_S13_S14_S15_S18_S19_jS1A_jS1B_S1B_jjS1D_bEUljE0_EEESW_SX_SY_S15_S19_S1B_T6_T7_T9_mT8_S1D_bDpT10_ENKUlT_T0_E_clISt17integral_constantIbLb0EES1R_EEDaS1M_S1N_EUlS1M_E_NS1_11comp_targetILNS1_3genE8ELNS1_11target_archE1030ELNS1_3gpuE2ELNS1_3repE0EEENS1_30default_config_static_selectorELNS0_4arch9wavefront6targetE0EEEvSZ_
		.amdhsa_group_segment_fixed_size 0
		.amdhsa_private_segment_fixed_size 0
		.amdhsa_kernarg_size 176
		.amdhsa_user_sgpr_count 2
		.amdhsa_user_sgpr_dispatch_ptr 0
		.amdhsa_user_sgpr_queue_ptr 0
		.amdhsa_user_sgpr_kernarg_segment_ptr 1
		.amdhsa_user_sgpr_dispatch_id 0
		.amdhsa_user_sgpr_kernarg_preload_length 0
		.amdhsa_user_sgpr_kernarg_preload_offset 0
		.amdhsa_user_sgpr_private_segment_size 0
		.amdhsa_wavefront_size32 1
		.amdhsa_uses_dynamic_stack 0
		.amdhsa_enable_private_segment 0
		.amdhsa_system_sgpr_workgroup_id_x 1
		.amdhsa_system_sgpr_workgroup_id_y 0
		.amdhsa_system_sgpr_workgroup_id_z 0
		.amdhsa_system_sgpr_workgroup_info 0
		.amdhsa_system_vgpr_workitem_id 0
		.amdhsa_next_free_vgpr 1
		.amdhsa_next_free_sgpr 1
		.amdhsa_named_barrier_count 0
		.amdhsa_reserve_vcc 0
		.amdhsa_float_round_mode_32 0
		.amdhsa_float_round_mode_16_64 0
		.amdhsa_float_denorm_mode_32 3
		.amdhsa_float_denorm_mode_16_64 3
		.amdhsa_fp16_overflow 0
		.amdhsa_memory_ordered 1
		.amdhsa_forward_progress 1
		.amdhsa_inst_pref_size 0
		.amdhsa_round_robin_scheduling 0
		.amdhsa_exception_fp_ieee_invalid_op 0
		.amdhsa_exception_fp_denorm_src 0
		.amdhsa_exception_fp_ieee_div_zero 0
		.amdhsa_exception_fp_ieee_overflow 0
		.amdhsa_exception_fp_ieee_underflow 0
		.amdhsa_exception_fp_ieee_inexact 0
		.amdhsa_exception_int_div_zero 0
	.end_amdhsa_kernel
	.section	.text._ZN7rocprim17ROCPRIM_400000_NS6detail17trampoline_kernelINS0_13select_configILj256ELj13ELNS0_17block_load_methodE3ELS4_3ELS4_3ELNS0_20block_scan_algorithmE0ELj4294967295EEENS1_25partition_config_selectorILNS1_17partition_subalgoE4EjNS0_10empty_typeEbEEZZNS1_14partition_implILS8_4ELb0ES6_15HIP_vector_typeIjLj2EENS0_17counting_iteratorIjlEEPS9_SG_NS0_5tupleIJPjSI_NS0_16reverse_iteratorISI_EEEEENSH_IJSG_SG_SG_EEES9_SI_JZNS1_25segmented_radix_sort_implINS0_14default_configELb0EPKlPlSQ_SR_N2at6native12_GLOBAL__N_18offset_tEEE10hipError_tPvRmT1_PNSt15iterator_traitsISZ_E10value_typeET2_T3_PNS10_IS15_E10value_typeET4_jRbjT5_S1B_jjP12ihipStream_tbEUljE_ZNSN_ISO_Lb0ESQ_SR_SQ_SR_SV_EESW_SX_SY_SZ_S13_S14_S15_S18_S19_jS1A_jS1B_S1B_jjS1D_bEUljE0_EEESW_SX_SY_S15_S19_S1B_T6_T7_T9_mT8_S1D_bDpT10_ENKUlT_T0_E_clISt17integral_constantIbLb0EES1R_EEDaS1M_S1N_EUlS1M_E_NS1_11comp_targetILNS1_3genE8ELNS1_11target_archE1030ELNS1_3gpuE2ELNS1_3repE0EEENS1_30default_config_static_selectorELNS0_4arch9wavefront6targetE0EEEvSZ_,"axG",@progbits,_ZN7rocprim17ROCPRIM_400000_NS6detail17trampoline_kernelINS0_13select_configILj256ELj13ELNS0_17block_load_methodE3ELS4_3ELS4_3ELNS0_20block_scan_algorithmE0ELj4294967295EEENS1_25partition_config_selectorILNS1_17partition_subalgoE4EjNS0_10empty_typeEbEEZZNS1_14partition_implILS8_4ELb0ES6_15HIP_vector_typeIjLj2EENS0_17counting_iteratorIjlEEPS9_SG_NS0_5tupleIJPjSI_NS0_16reverse_iteratorISI_EEEEENSH_IJSG_SG_SG_EEES9_SI_JZNS1_25segmented_radix_sort_implINS0_14default_configELb0EPKlPlSQ_SR_N2at6native12_GLOBAL__N_18offset_tEEE10hipError_tPvRmT1_PNSt15iterator_traitsISZ_E10value_typeET2_T3_PNS10_IS15_E10value_typeET4_jRbjT5_S1B_jjP12ihipStream_tbEUljE_ZNSN_ISO_Lb0ESQ_SR_SQ_SR_SV_EESW_SX_SY_SZ_S13_S14_S15_S18_S19_jS1A_jS1B_S1B_jjS1D_bEUljE0_EEESW_SX_SY_S15_S19_S1B_T6_T7_T9_mT8_S1D_bDpT10_ENKUlT_T0_E_clISt17integral_constantIbLb0EES1R_EEDaS1M_S1N_EUlS1M_E_NS1_11comp_targetILNS1_3genE8ELNS1_11target_archE1030ELNS1_3gpuE2ELNS1_3repE0EEENS1_30default_config_static_selectorELNS0_4arch9wavefront6targetE0EEEvSZ_,comdat
.Lfunc_end746:
	.size	_ZN7rocprim17ROCPRIM_400000_NS6detail17trampoline_kernelINS0_13select_configILj256ELj13ELNS0_17block_load_methodE3ELS4_3ELS4_3ELNS0_20block_scan_algorithmE0ELj4294967295EEENS1_25partition_config_selectorILNS1_17partition_subalgoE4EjNS0_10empty_typeEbEEZZNS1_14partition_implILS8_4ELb0ES6_15HIP_vector_typeIjLj2EENS0_17counting_iteratorIjlEEPS9_SG_NS0_5tupleIJPjSI_NS0_16reverse_iteratorISI_EEEEENSH_IJSG_SG_SG_EEES9_SI_JZNS1_25segmented_radix_sort_implINS0_14default_configELb0EPKlPlSQ_SR_N2at6native12_GLOBAL__N_18offset_tEEE10hipError_tPvRmT1_PNSt15iterator_traitsISZ_E10value_typeET2_T3_PNS10_IS15_E10value_typeET4_jRbjT5_S1B_jjP12ihipStream_tbEUljE_ZNSN_ISO_Lb0ESQ_SR_SQ_SR_SV_EESW_SX_SY_SZ_S13_S14_S15_S18_S19_jS1A_jS1B_S1B_jjS1D_bEUljE0_EEESW_SX_SY_S15_S19_S1B_T6_T7_T9_mT8_S1D_bDpT10_ENKUlT_T0_E_clISt17integral_constantIbLb0EES1R_EEDaS1M_S1N_EUlS1M_E_NS1_11comp_targetILNS1_3genE8ELNS1_11target_archE1030ELNS1_3gpuE2ELNS1_3repE0EEENS1_30default_config_static_selectorELNS0_4arch9wavefront6targetE0EEEvSZ_, .Lfunc_end746-_ZN7rocprim17ROCPRIM_400000_NS6detail17trampoline_kernelINS0_13select_configILj256ELj13ELNS0_17block_load_methodE3ELS4_3ELS4_3ELNS0_20block_scan_algorithmE0ELj4294967295EEENS1_25partition_config_selectorILNS1_17partition_subalgoE4EjNS0_10empty_typeEbEEZZNS1_14partition_implILS8_4ELb0ES6_15HIP_vector_typeIjLj2EENS0_17counting_iteratorIjlEEPS9_SG_NS0_5tupleIJPjSI_NS0_16reverse_iteratorISI_EEEEENSH_IJSG_SG_SG_EEES9_SI_JZNS1_25segmented_radix_sort_implINS0_14default_configELb0EPKlPlSQ_SR_N2at6native12_GLOBAL__N_18offset_tEEE10hipError_tPvRmT1_PNSt15iterator_traitsISZ_E10value_typeET2_T3_PNS10_IS15_E10value_typeET4_jRbjT5_S1B_jjP12ihipStream_tbEUljE_ZNSN_ISO_Lb0ESQ_SR_SQ_SR_SV_EESW_SX_SY_SZ_S13_S14_S15_S18_S19_jS1A_jS1B_S1B_jjS1D_bEUljE0_EEESW_SX_SY_S15_S19_S1B_T6_T7_T9_mT8_S1D_bDpT10_ENKUlT_T0_E_clISt17integral_constantIbLb0EES1R_EEDaS1M_S1N_EUlS1M_E_NS1_11comp_targetILNS1_3genE8ELNS1_11target_archE1030ELNS1_3gpuE2ELNS1_3repE0EEENS1_30default_config_static_selectorELNS0_4arch9wavefront6targetE0EEEvSZ_
                                        ; -- End function
	.set _ZN7rocprim17ROCPRIM_400000_NS6detail17trampoline_kernelINS0_13select_configILj256ELj13ELNS0_17block_load_methodE3ELS4_3ELS4_3ELNS0_20block_scan_algorithmE0ELj4294967295EEENS1_25partition_config_selectorILNS1_17partition_subalgoE4EjNS0_10empty_typeEbEEZZNS1_14partition_implILS8_4ELb0ES6_15HIP_vector_typeIjLj2EENS0_17counting_iteratorIjlEEPS9_SG_NS0_5tupleIJPjSI_NS0_16reverse_iteratorISI_EEEEENSH_IJSG_SG_SG_EEES9_SI_JZNS1_25segmented_radix_sort_implINS0_14default_configELb0EPKlPlSQ_SR_N2at6native12_GLOBAL__N_18offset_tEEE10hipError_tPvRmT1_PNSt15iterator_traitsISZ_E10value_typeET2_T3_PNS10_IS15_E10value_typeET4_jRbjT5_S1B_jjP12ihipStream_tbEUljE_ZNSN_ISO_Lb0ESQ_SR_SQ_SR_SV_EESW_SX_SY_SZ_S13_S14_S15_S18_S19_jS1A_jS1B_S1B_jjS1D_bEUljE0_EEESW_SX_SY_S15_S19_S1B_T6_T7_T9_mT8_S1D_bDpT10_ENKUlT_T0_E_clISt17integral_constantIbLb0EES1R_EEDaS1M_S1N_EUlS1M_E_NS1_11comp_targetILNS1_3genE8ELNS1_11target_archE1030ELNS1_3gpuE2ELNS1_3repE0EEENS1_30default_config_static_selectorELNS0_4arch9wavefront6targetE0EEEvSZ_.num_vgpr, 0
	.set _ZN7rocprim17ROCPRIM_400000_NS6detail17trampoline_kernelINS0_13select_configILj256ELj13ELNS0_17block_load_methodE3ELS4_3ELS4_3ELNS0_20block_scan_algorithmE0ELj4294967295EEENS1_25partition_config_selectorILNS1_17partition_subalgoE4EjNS0_10empty_typeEbEEZZNS1_14partition_implILS8_4ELb0ES6_15HIP_vector_typeIjLj2EENS0_17counting_iteratorIjlEEPS9_SG_NS0_5tupleIJPjSI_NS0_16reverse_iteratorISI_EEEEENSH_IJSG_SG_SG_EEES9_SI_JZNS1_25segmented_radix_sort_implINS0_14default_configELb0EPKlPlSQ_SR_N2at6native12_GLOBAL__N_18offset_tEEE10hipError_tPvRmT1_PNSt15iterator_traitsISZ_E10value_typeET2_T3_PNS10_IS15_E10value_typeET4_jRbjT5_S1B_jjP12ihipStream_tbEUljE_ZNSN_ISO_Lb0ESQ_SR_SQ_SR_SV_EESW_SX_SY_SZ_S13_S14_S15_S18_S19_jS1A_jS1B_S1B_jjS1D_bEUljE0_EEESW_SX_SY_S15_S19_S1B_T6_T7_T9_mT8_S1D_bDpT10_ENKUlT_T0_E_clISt17integral_constantIbLb0EES1R_EEDaS1M_S1N_EUlS1M_E_NS1_11comp_targetILNS1_3genE8ELNS1_11target_archE1030ELNS1_3gpuE2ELNS1_3repE0EEENS1_30default_config_static_selectorELNS0_4arch9wavefront6targetE0EEEvSZ_.num_agpr, 0
	.set _ZN7rocprim17ROCPRIM_400000_NS6detail17trampoline_kernelINS0_13select_configILj256ELj13ELNS0_17block_load_methodE3ELS4_3ELS4_3ELNS0_20block_scan_algorithmE0ELj4294967295EEENS1_25partition_config_selectorILNS1_17partition_subalgoE4EjNS0_10empty_typeEbEEZZNS1_14partition_implILS8_4ELb0ES6_15HIP_vector_typeIjLj2EENS0_17counting_iteratorIjlEEPS9_SG_NS0_5tupleIJPjSI_NS0_16reverse_iteratorISI_EEEEENSH_IJSG_SG_SG_EEES9_SI_JZNS1_25segmented_radix_sort_implINS0_14default_configELb0EPKlPlSQ_SR_N2at6native12_GLOBAL__N_18offset_tEEE10hipError_tPvRmT1_PNSt15iterator_traitsISZ_E10value_typeET2_T3_PNS10_IS15_E10value_typeET4_jRbjT5_S1B_jjP12ihipStream_tbEUljE_ZNSN_ISO_Lb0ESQ_SR_SQ_SR_SV_EESW_SX_SY_SZ_S13_S14_S15_S18_S19_jS1A_jS1B_S1B_jjS1D_bEUljE0_EEESW_SX_SY_S15_S19_S1B_T6_T7_T9_mT8_S1D_bDpT10_ENKUlT_T0_E_clISt17integral_constantIbLb0EES1R_EEDaS1M_S1N_EUlS1M_E_NS1_11comp_targetILNS1_3genE8ELNS1_11target_archE1030ELNS1_3gpuE2ELNS1_3repE0EEENS1_30default_config_static_selectorELNS0_4arch9wavefront6targetE0EEEvSZ_.numbered_sgpr, 0
	.set _ZN7rocprim17ROCPRIM_400000_NS6detail17trampoline_kernelINS0_13select_configILj256ELj13ELNS0_17block_load_methodE3ELS4_3ELS4_3ELNS0_20block_scan_algorithmE0ELj4294967295EEENS1_25partition_config_selectorILNS1_17partition_subalgoE4EjNS0_10empty_typeEbEEZZNS1_14partition_implILS8_4ELb0ES6_15HIP_vector_typeIjLj2EENS0_17counting_iteratorIjlEEPS9_SG_NS0_5tupleIJPjSI_NS0_16reverse_iteratorISI_EEEEENSH_IJSG_SG_SG_EEES9_SI_JZNS1_25segmented_radix_sort_implINS0_14default_configELb0EPKlPlSQ_SR_N2at6native12_GLOBAL__N_18offset_tEEE10hipError_tPvRmT1_PNSt15iterator_traitsISZ_E10value_typeET2_T3_PNS10_IS15_E10value_typeET4_jRbjT5_S1B_jjP12ihipStream_tbEUljE_ZNSN_ISO_Lb0ESQ_SR_SQ_SR_SV_EESW_SX_SY_SZ_S13_S14_S15_S18_S19_jS1A_jS1B_S1B_jjS1D_bEUljE0_EEESW_SX_SY_S15_S19_S1B_T6_T7_T9_mT8_S1D_bDpT10_ENKUlT_T0_E_clISt17integral_constantIbLb0EES1R_EEDaS1M_S1N_EUlS1M_E_NS1_11comp_targetILNS1_3genE8ELNS1_11target_archE1030ELNS1_3gpuE2ELNS1_3repE0EEENS1_30default_config_static_selectorELNS0_4arch9wavefront6targetE0EEEvSZ_.num_named_barrier, 0
	.set _ZN7rocprim17ROCPRIM_400000_NS6detail17trampoline_kernelINS0_13select_configILj256ELj13ELNS0_17block_load_methodE3ELS4_3ELS4_3ELNS0_20block_scan_algorithmE0ELj4294967295EEENS1_25partition_config_selectorILNS1_17partition_subalgoE4EjNS0_10empty_typeEbEEZZNS1_14partition_implILS8_4ELb0ES6_15HIP_vector_typeIjLj2EENS0_17counting_iteratorIjlEEPS9_SG_NS0_5tupleIJPjSI_NS0_16reverse_iteratorISI_EEEEENSH_IJSG_SG_SG_EEES9_SI_JZNS1_25segmented_radix_sort_implINS0_14default_configELb0EPKlPlSQ_SR_N2at6native12_GLOBAL__N_18offset_tEEE10hipError_tPvRmT1_PNSt15iterator_traitsISZ_E10value_typeET2_T3_PNS10_IS15_E10value_typeET4_jRbjT5_S1B_jjP12ihipStream_tbEUljE_ZNSN_ISO_Lb0ESQ_SR_SQ_SR_SV_EESW_SX_SY_SZ_S13_S14_S15_S18_S19_jS1A_jS1B_S1B_jjS1D_bEUljE0_EEESW_SX_SY_S15_S19_S1B_T6_T7_T9_mT8_S1D_bDpT10_ENKUlT_T0_E_clISt17integral_constantIbLb0EES1R_EEDaS1M_S1N_EUlS1M_E_NS1_11comp_targetILNS1_3genE8ELNS1_11target_archE1030ELNS1_3gpuE2ELNS1_3repE0EEENS1_30default_config_static_selectorELNS0_4arch9wavefront6targetE0EEEvSZ_.private_seg_size, 0
	.set _ZN7rocprim17ROCPRIM_400000_NS6detail17trampoline_kernelINS0_13select_configILj256ELj13ELNS0_17block_load_methodE3ELS4_3ELS4_3ELNS0_20block_scan_algorithmE0ELj4294967295EEENS1_25partition_config_selectorILNS1_17partition_subalgoE4EjNS0_10empty_typeEbEEZZNS1_14partition_implILS8_4ELb0ES6_15HIP_vector_typeIjLj2EENS0_17counting_iteratorIjlEEPS9_SG_NS0_5tupleIJPjSI_NS0_16reverse_iteratorISI_EEEEENSH_IJSG_SG_SG_EEES9_SI_JZNS1_25segmented_radix_sort_implINS0_14default_configELb0EPKlPlSQ_SR_N2at6native12_GLOBAL__N_18offset_tEEE10hipError_tPvRmT1_PNSt15iterator_traitsISZ_E10value_typeET2_T3_PNS10_IS15_E10value_typeET4_jRbjT5_S1B_jjP12ihipStream_tbEUljE_ZNSN_ISO_Lb0ESQ_SR_SQ_SR_SV_EESW_SX_SY_SZ_S13_S14_S15_S18_S19_jS1A_jS1B_S1B_jjS1D_bEUljE0_EEESW_SX_SY_S15_S19_S1B_T6_T7_T9_mT8_S1D_bDpT10_ENKUlT_T0_E_clISt17integral_constantIbLb0EES1R_EEDaS1M_S1N_EUlS1M_E_NS1_11comp_targetILNS1_3genE8ELNS1_11target_archE1030ELNS1_3gpuE2ELNS1_3repE0EEENS1_30default_config_static_selectorELNS0_4arch9wavefront6targetE0EEEvSZ_.uses_vcc, 0
	.set _ZN7rocprim17ROCPRIM_400000_NS6detail17trampoline_kernelINS0_13select_configILj256ELj13ELNS0_17block_load_methodE3ELS4_3ELS4_3ELNS0_20block_scan_algorithmE0ELj4294967295EEENS1_25partition_config_selectorILNS1_17partition_subalgoE4EjNS0_10empty_typeEbEEZZNS1_14partition_implILS8_4ELb0ES6_15HIP_vector_typeIjLj2EENS0_17counting_iteratorIjlEEPS9_SG_NS0_5tupleIJPjSI_NS0_16reverse_iteratorISI_EEEEENSH_IJSG_SG_SG_EEES9_SI_JZNS1_25segmented_radix_sort_implINS0_14default_configELb0EPKlPlSQ_SR_N2at6native12_GLOBAL__N_18offset_tEEE10hipError_tPvRmT1_PNSt15iterator_traitsISZ_E10value_typeET2_T3_PNS10_IS15_E10value_typeET4_jRbjT5_S1B_jjP12ihipStream_tbEUljE_ZNSN_ISO_Lb0ESQ_SR_SQ_SR_SV_EESW_SX_SY_SZ_S13_S14_S15_S18_S19_jS1A_jS1B_S1B_jjS1D_bEUljE0_EEESW_SX_SY_S15_S19_S1B_T6_T7_T9_mT8_S1D_bDpT10_ENKUlT_T0_E_clISt17integral_constantIbLb0EES1R_EEDaS1M_S1N_EUlS1M_E_NS1_11comp_targetILNS1_3genE8ELNS1_11target_archE1030ELNS1_3gpuE2ELNS1_3repE0EEENS1_30default_config_static_selectorELNS0_4arch9wavefront6targetE0EEEvSZ_.uses_flat_scratch, 0
	.set _ZN7rocprim17ROCPRIM_400000_NS6detail17trampoline_kernelINS0_13select_configILj256ELj13ELNS0_17block_load_methodE3ELS4_3ELS4_3ELNS0_20block_scan_algorithmE0ELj4294967295EEENS1_25partition_config_selectorILNS1_17partition_subalgoE4EjNS0_10empty_typeEbEEZZNS1_14partition_implILS8_4ELb0ES6_15HIP_vector_typeIjLj2EENS0_17counting_iteratorIjlEEPS9_SG_NS0_5tupleIJPjSI_NS0_16reverse_iteratorISI_EEEEENSH_IJSG_SG_SG_EEES9_SI_JZNS1_25segmented_radix_sort_implINS0_14default_configELb0EPKlPlSQ_SR_N2at6native12_GLOBAL__N_18offset_tEEE10hipError_tPvRmT1_PNSt15iterator_traitsISZ_E10value_typeET2_T3_PNS10_IS15_E10value_typeET4_jRbjT5_S1B_jjP12ihipStream_tbEUljE_ZNSN_ISO_Lb0ESQ_SR_SQ_SR_SV_EESW_SX_SY_SZ_S13_S14_S15_S18_S19_jS1A_jS1B_S1B_jjS1D_bEUljE0_EEESW_SX_SY_S15_S19_S1B_T6_T7_T9_mT8_S1D_bDpT10_ENKUlT_T0_E_clISt17integral_constantIbLb0EES1R_EEDaS1M_S1N_EUlS1M_E_NS1_11comp_targetILNS1_3genE8ELNS1_11target_archE1030ELNS1_3gpuE2ELNS1_3repE0EEENS1_30default_config_static_selectorELNS0_4arch9wavefront6targetE0EEEvSZ_.has_dyn_sized_stack, 0
	.set _ZN7rocprim17ROCPRIM_400000_NS6detail17trampoline_kernelINS0_13select_configILj256ELj13ELNS0_17block_load_methodE3ELS4_3ELS4_3ELNS0_20block_scan_algorithmE0ELj4294967295EEENS1_25partition_config_selectorILNS1_17partition_subalgoE4EjNS0_10empty_typeEbEEZZNS1_14partition_implILS8_4ELb0ES6_15HIP_vector_typeIjLj2EENS0_17counting_iteratorIjlEEPS9_SG_NS0_5tupleIJPjSI_NS0_16reverse_iteratorISI_EEEEENSH_IJSG_SG_SG_EEES9_SI_JZNS1_25segmented_radix_sort_implINS0_14default_configELb0EPKlPlSQ_SR_N2at6native12_GLOBAL__N_18offset_tEEE10hipError_tPvRmT1_PNSt15iterator_traitsISZ_E10value_typeET2_T3_PNS10_IS15_E10value_typeET4_jRbjT5_S1B_jjP12ihipStream_tbEUljE_ZNSN_ISO_Lb0ESQ_SR_SQ_SR_SV_EESW_SX_SY_SZ_S13_S14_S15_S18_S19_jS1A_jS1B_S1B_jjS1D_bEUljE0_EEESW_SX_SY_S15_S19_S1B_T6_T7_T9_mT8_S1D_bDpT10_ENKUlT_T0_E_clISt17integral_constantIbLb0EES1R_EEDaS1M_S1N_EUlS1M_E_NS1_11comp_targetILNS1_3genE8ELNS1_11target_archE1030ELNS1_3gpuE2ELNS1_3repE0EEENS1_30default_config_static_selectorELNS0_4arch9wavefront6targetE0EEEvSZ_.has_recursion, 0
	.set _ZN7rocprim17ROCPRIM_400000_NS6detail17trampoline_kernelINS0_13select_configILj256ELj13ELNS0_17block_load_methodE3ELS4_3ELS4_3ELNS0_20block_scan_algorithmE0ELj4294967295EEENS1_25partition_config_selectorILNS1_17partition_subalgoE4EjNS0_10empty_typeEbEEZZNS1_14partition_implILS8_4ELb0ES6_15HIP_vector_typeIjLj2EENS0_17counting_iteratorIjlEEPS9_SG_NS0_5tupleIJPjSI_NS0_16reverse_iteratorISI_EEEEENSH_IJSG_SG_SG_EEES9_SI_JZNS1_25segmented_radix_sort_implINS0_14default_configELb0EPKlPlSQ_SR_N2at6native12_GLOBAL__N_18offset_tEEE10hipError_tPvRmT1_PNSt15iterator_traitsISZ_E10value_typeET2_T3_PNS10_IS15_E10value_typeET4_jRbjT5_S1B_jjP12ihipStream_tbEUljE_ZNSN_ISO_Lb0ESQ_SR_SQ_SR_SV_EESW_SX_SY_SZ_S13_S14_S15_S18_S19_jS1A_jS1B_S1B_jjS1D_bEUljE0_EEESW_SX_SY_S15_S19_S1B_T6_T7_T9_mT8_S1D_bDpT10_ENKUlT_T0_E_clISt17integral_constantIbLb0EES1R_EEDaS1M_S1N_EUlS1M_E_NS1_11comp_targetILNS1_3genE8ELNS1_11target_archE1030ELNS1_3gpuE2ELNS1_3repE0EEENS1_30default_config_static_selectorELNS0_4arch9wavefront6targetE0EEEvSZ_.has_indirect_call, 0
	.section	.AMDGPU.csdata,"",@progbits
; Kernel info:
; codeLenInByte = 0
; TotalNumSgprs: 0
; NumVgprs: 0
; ScratchSize: 0
; MemoryBound: 0
; FloatMode: 240
; IeeeMode: 1
; LDSByteSize: 0 bytes/workgroup (compile time only)
; SGPRBlocks: 0
; VGPRBlocks: 0
; NumSGPRsForWavesPerEU: 1
; NumVGPRsForWavesPerEU: 1
; NamedBarCnt: 0
; Occupancy: 16
; WaveLimiterHint : 0
; COMPUTE_PGM_RSRC2:SCRATCH_EN: 0
; COMPUTE_PGM_RSRC2:USER_SGPR: 2
; COMPUTE_PGM_RSRC2:TRAP_HANDLER: 0
; COMPUTE_PGM_RSRC2:TGID_X_EN: 1
; COMPUTE_PGM_RSRC2:TGID_Y_EN: 0
; COMPUTE_PGM_RSRC2:TGID_Z_EN: 0
; COMPUTE_PGM_RSRC2:TIDIG_COMP_CNT: 0
	.section	.text._ZN7rocprim17ROCPRIM_400000_NS6detail17trampoline_kernelINS0_13select_configILj256ELj13ELNS0_17block_load_methodE3ELS4_3ELS4_3ELNS0_20block_scan_algorithmE0ELj4294967295EEENS1_25partition_config_selectorILNS1_17partition_subalgoE4EjNS0_10empty_typeEbEEZZNS1_14partition_implILS8_4ELb0ES6_15HIP_vector_typeIjLj2EENS0_17counting_iteratorIjlEEPS9_SG_NS0_5tupleIJPjSI_NS0_16reverse_iteratorISI_EEEEENSH_IJSG_SG_SG_EEES9_SI_JZNS1_25segmented_radix_sort_implINS0_14default_configELb0EPKlPlSQ_SR_N2at6native12_GLOBAL__N_18offset_tEEE10hipError_tPvRmT1_PNSt15iterator_traitsISZ_E10value_typeET2_T3_PNS10_IS15_E10value_typeET4_jRbjT5_S1B_jjP12ihipStream_tbEUljE_ZNSN_ISO_Lb0ESQ_SR_SQ_SR_SV_EESW_SX_SY_SZ_S13_S14_S15_S18_S19_jS1A_jS1B_S1B_jjS1D_bEUljE0_EEESW_SX_SY_S15_S19_S1B_T6_T7_T9_mT8_S1D_bDpT10_ENKUlT_T0_E_clISt17integral_constantIbLb1EES1R_EEDaS1M_S1N_EUlS1M_E_NS1_11comp_targetILNS1_3genE0ELNS1_11target_archE4294967295ELNS1_3gpuE0ELNS1_3repE0EEENS1_30default_config_static_selectorELNS0_4arch9wavefront6targetE0EEEvSZ_,"axG",@progbits,_ZN7rocprim17ROCPRIM_400000_NS6detail17trampoline_kernelINS0_13select_configILj256ELj13ELNS0_17block_load_methodE3ELS4_3ELS4_3ELNS0_20block_scan_algorithmE0ELj4294967295EEENS1_25partition_config_selectorILNS1_17partition_subalgoE4EjNS0_10empty_typeEbEEZZNS1_14partition_implILS8_4ELb0ES6_15HIP_vector_typeIjLj2EENS0_17counting_iteratorIjlEEPS9_SG_NS0_5tupleIJPjSI_NS0_16reverse_iteratorISI_EEEEENSH_IJSG_SG_SG_EEES9_SI_JZNS1_25segmented_radix_sort_implINS0_14default_configELb0EPKlPlSQ_SR_N2at6native12_GLOBAL__N_18offset_tEEE10hipError_tPvRmT1_PNSt15iterator_traitsISZ_E10value_typeET2_T3_PNS10_IS15_E10value_typeET4_jRbjT5_S1B_jjP12ihipStream_tbEUljE_ZNSN_ISO_Lb0ESQ_SR_SQ_SR_SV_EESW_SX_SY_SZ_S13_S14_S15_S18_S19_jS1A_jS1B_S1B_jjS1D_bEUljE0_EEESW_SX_SY_S15_S19_S1B_T6_T7_T9_mT8_S1D_bDpT10_ENKUlT_T0_E_clISt17integral_constantIbLb1EES1R_EEDaS1M_S1N_EUlS1M_E_NS1_11comp_targetILNS1_3genE0ELNS1_11target_archE4294967295ELNS1_3gpuE0ELNS1_3repE0EEENS1_30default_config_static_selectorELNS0_4arch9wavefront6targetE0EEEvSZ_,comdat
	.globl	_ZN7rocprim17ROCPRIM_400000_NS6detail17trampoline_kernelINS0_13select_configILj256ELj13ELNS0_17block_load_methodE3ELS4_3ELS4_3ELNS0_20block_scan_algorithmE0ELj4294967295EEENS1_25partition_config_selectorILNS1_17partition_subalgoE4EjNS0_10empty_typeEbEEZZNS1_14partition_implILS8_4ELb0ES6_15HIP_vector_typeIjLj2EENS0_17counting_iteratorIjlEEPS9_SG_NS0_5tupleIJPjSI_NS0_16reverse_iteratorISI_EEEEENSH_IJSG_SG_SG_EEES9_SI_JZNS1_25segmented_radix_sort_implINS0_14default_configELb0EPKlPlSQ_SR_N2at6native12_GLOBAL__N_18offset_tEEE10hipError_tPvRmT1_PNSt15iterator_traitsISZ_E10value_typeET2_T3_PNS10_IS15_E10value_typeET4_jRbjT5_S1B_jjP12ihipStream_tbEUljE_ZNSN_ISO_Lb0ESQ_SR_SQ_SR_SV_EESW_SX_SY_SZ_S13_S14_S15_S18_S19_jS1A_jS1B_S1B_jjS1D_bEUljE0_EEESW_SX_SY_S15_S19_S1B_T6_T7_T9_mT8_S1D_bDpT10_ENKUlT_T0_E_clISt17integral_constantIbLb1EES1R_EEDaS1M_S1N_EUlS1M_E_NS1_11comp_targetILNS1_3genE0ELNS1_11target_archE4294967295ELNS1_3gpuE0ELNS1_3repE0EEENS1_30default_config_static_selectorELNS0_4arch9wavefront6targetE0EEEvSZ_ ; -- Begin function _ZN7rocprim17ROCPRIM_400000_NS6detail17trampoline_kernelINS0_13select_configILj256ELj13ELNS0_17block_load_methodE3ELS4_3ELS4_3ELNS0_20block_scan_algorithmE0ELj4294967295EEENS1_25partition_config_selectorILNS1_17partition_subalgoE4EjNS0_10empty_typeEbEEZZNS1_14partition_implILS8_4ELb0ES6_15HIP_vector_typeIjLj2EENS0_17counting_iteratorIjlEEPS9_SG_NS0_5tupleIJPjSI_NS0_16reverse_iteratorISI_EEEEENSH_IJSG_SG_SG_EEES9_SI_JZNS1_25segmented_radix_sort_implINS0_14default_configELb0EPKlPlSQ_SR_N2at6native12_GLOBAL__N_18offset_tEEE10hipError_tPvRmT1_PNSt15iterator_traitsISZ_E10value_typeET2_T3_PNS10_IS15_E10value_typeET4_jRbjT5_S1B_jjP12ihipStream_tbEUljE_ZNSN_ISO_Lb0ESQ_SR_SQ_SR_SV_EESW_SX_SY_SZ_S13_S14_S15_S18_S19_jS1A_jS1B_S1B_jjS1D_bEUljE0_EEESW_SX_SY_S15_S19_S1B_T6_T7_T9_mT8_S1D_bDpT10_ENKUlT_T0_E_clISt17integral_constantIbLb1EES1R_EEDaS1M_S1N_EUlS1M_E_NS1_11comp_targetILNS1_3genE0ELNS1_11target_archE4294967295ELNS1_3gpuE0ELNS1_3repE0EEENS1_30default_config_static_selectorELNS0_4arch9wavefront6targetE0EEEvSZ_
	.p2align	8
	.type	_ZN7rocprim17ROCPRIM_400000_NS6detail17trampoline_kernelINS0_13select_configILj256ELj13ELNS0_17block_load_methodE3ELS4_3ELS4_3ELNS0_20block_scan_algorithmE0ELj4294967295EEENS1_25partition_config_selectorILNS1_17partition_subalgoE4EjNS0_10empty_typeEbEEZZNS1_14partition_implILS8_4ELb0ES6_15HIP_vector_typeIjLj2EENS0_17counting_iteratorIjlEEPS9_SG_NS0_5tupleIJPjSI_NS0_16reverse_iteratorISI_EEEEENSH_IJSG_SG_SG_EEES9_SI_JZNS1_25segmented_radix_sort_implINS0_14default_configELb0EPKlPlSQ_SR_N2at6native12_GLOBAL__N_18offset_tEEE10hipError_tPvRmT1_PNSt15iterator_traitsISZ_E10value_typeET2_T3_PNS10_IS15_E10value_typeET4_jRbjT5_S1B_jjP12ihipStream_tbEUljE_ZNSN_ISO_Lb0ESQ_SR_SQ_SR_SV_EESW_SX_SY_SZ_S13_S14_S15_S18_S19_jS1A_jS1B_S1B_jjS1D_bEUljE0_EEESW_SX_SY_S15_S19_S1B_T6_T7_T9_mT8_S1D_bDpT10_ENKUlT_T0_E_clISt17integral_constantIbLb1EES1R_EEDaS1M_S1N_EUlS1M_E_NS1_11comp_targetILNS1_3genE0ELNS1_11target_archE4294967295ELNS1_3gpuE0ELNS1_3repE0EEENS1_30default_config_static_selectorELNS0_4arch9wavefront6targetE0EEEvSZ_,@function
_ZN7rocprim17ROCPRIM_400000_NS6detail17trampoline_kernelINS0_13select_configILj256ELj13ELNS0_17block_load_methodE3ELS4_3ELS4_3ELNS0_20block_scan_algorithmE0ELj4294967295EEENS1_25partition_config_selectorILNS1_17partition_subalgoE4EjNS0_10empty_typeEbEEZZNS1_14partition_implILS8_4ELb0ES6_15HIP_vector_typeIjLj2EENS0_17counting_iteratorIjlEEPS9_SG_NS0_5tupleIJPjSI_NS0_16reverse_iteratorISI_EEEEENSH_IJSG_SG_SG_EEES9_SI_JZNS1_25segmented_radix_sort_implINS0_14default_configELb0EPKlPlSQ_SR_N2at6native12_GLOBAL__N_18offset_tEEE10hipError_tPvRmT1_PNSt15iterator_traitsISZ_E10value_typeET2_T3_PNS10_IS15_E10value_typeET4_jRbjT5_S1B_jjP12ihipStream_tbEUljE_ZNSN_ISO_Lb0ESQ_SR_SQ_SR_SV_EESW_SX_SY_SZ_S13_S14_S15_S18_S19_jS1A_jS1B_S1B_jjS1D_bEUljE0_EEESW_SX_SY_S15_S19_S1B_T6_T7_T9_mT8_S1D_bDpT10_ENKUlT_T0_E_clISt17integral_constantIbLb1EES1R_EEDaS1M_S1N_EUlS1M_E_NS1_11comp_targetILNS1_3genE0ELNS1_11target_archE4294967295ELNS1_3gpuE0ELNS1_3repE0EEENS1_30default_config_static_selectorELNS0_4arch9wavefront6targetE0EEEvSZ_: ; @_ZN7rocprim17ROCPRIM_400000_NS6detail17trampoline_kernelINS0_13select_configILj256ELj13ELNS0_17block_load_methodE3ELS4_3ELS4_3ELNS0_20block_scan_algorithmE0ELj4294967295EEENS1_25partition_config_selectorILNS1_17partition_subalgoE4EjNS0_10empty_typeEbEEZZNS1_14partition_implILS8_4ELb0ES6_15HIP_vector_typeIjLj2EENS0_17counting_iteratorIjlEEPS9_SG_NS0_5tupleIJPjSI_NS0_16reverse_iteratorISI_EEEEENSH_IJSG_SG_SG_EEES9_SI_JZNS1_25segmented_radix_sort_implINS0_14default_configELb0EPKlPlSQ_SR_N2at6native12_GLOBAL__N_18offset_tEEE10hipError_tPvRmT1_PNSt15iterator_traitsISZ_E10value_typeET2_T3_PNS10_IS15_E10value_typeET4_jRbjT5_S1B_jjP12ihipStream_tbEUljE_ZNSN_ISO_Lb0ESQ_SR_SQ_SR_SV_EESW_SX_SY_SZ_S13_S14_S15_S18_S19_jS1A_jS1B_S1B_jjS1D_bEUljE0_EEESW_SX_SY_S15_S19_S1B_T6_T7_T9_mT8_S1D_bDpT10_ENKUlT_T0_E_clISt17integral_constantIbLb1EES1R_EEDaS1M_S1N_EUlS1M_E_NS1_11comp_targetILNS1_3genE0ELNS1_11target_archE4294967295ELNS1_3gpuE0ELNS1_3repE0EEENS1_30default_config_static_selectorELNS0_4arch9wavefront6targetE0EEEvSZ_
; %bb.0:
	s_endpgm
	.section	.rodata,"a",@progbits
	.p2align	6, 0x0
	.amdhsa_kernel _ZN7rocprim17ROCPRIM_400000_NS6detail17trampoline_kernelINS0_13select_configILj256ELj13ELNS0_17block_load_methodE3ELS4_3ELS4_3ELNS0_20block_scan_algorithmE0ELj4294967295EEENS1_25partition_config_selectorILNS1_17partition_subalgoE4EjNS0_10empty_typeEbEEZZNS1_14partition_implILS8_4ELb0ES6_15HIP_vector_typeIjLj2EENS0_17counting_iteratorIjlEEPS9_SG_NS0_5tupleIJPjSI_NS0_16reverse_iteratorISI_EEEEENSH_IJSG_SG_SG_EEES9_SI_JZNS1_25segmented_radix_sort_implINS0_14default_configELb0EPKlPlSQ_SR_N2at6native12_GLOBAL__N_18offset_tEEE10hipError_tPvRmT1_PNSt15iterator_traitsISZ_E10value_typeET2_T3_PNS10_IS15_E10value_typeET4_jRbjT5_S1B_jjP12ihipStream_tbEUljE_ZNSN_ISO_Lb0ESQ_SR_SQ_SR_SV_EESW_SX_SY_SZ_S13_S14_S15_S18_S19_jS1A_jS1B_S1B_jjS1D_bEUljE0_EEESW_SX_SY_S15_S19_S1B_T6_T7_T9_mT8_S1D_bDpT10_ENKUlT_T0_E_clISt17integral_constantIbLb1EES1R_EEDaS1M_S1N_EUlS1M_E_NS1_11comp_targetILNS1_3genE0ELNS1_11target_archE4294967295ELNS1_3gpuE0ELNS1_3repE0EEENS1_30default_config_static_selectorELNS0_4arch9wavefront6targetE0EEEvSZ_
		.amdhsa_group_segment_fixed_size 0
		.amdhsa_private_segment_fixed_size 0
		.amdhsa_kernarg_size 184
		.amdhsa_user_sgpr_count 2
		.amdhsa_user_sgpr_dispatch_ptr 0
		.amdhsa_user_sgpr_queue_ptr 0
		.amdhsa_user_sgpr_kernarg_segment_ptr 1
		.amdhsa_user_sgpr_dispatch_id 0
		.amdhsa_user_sgpr_kernarg_preload_length 0
		.amdhsa_user_sgpr_kernarg_preload_offset 0
		.amdhsa_user_sgpr_private_segment_size 0
		.amdhsa_wavefront_size32 1
		.amdhsa_uses_dynamic_stack 0
		.amdhsa_enable_private_segment 0
		.amdhsa_system_sgpr_workgroup_id_x 1
		.amdhsa_system_sgpr_workgroup_id_y 0
		.amdhsa_system_sgpr_workgroup_id_z 0
		.amdhsa_system_sgpr_workgroup_info 0
		.amdhsa_system_vgpr_workitem_id 0
		.amdhsa_next_free_vgpr 1
		.amdhsa_next_free_sgpr 1
		.amdhsa_named_barrier_count 0
		.amdhsa_reserve_vcc 0
		.amdhsa_float_round_mode_32 0
		.amdhsa_float_round_mode_16_64 0
		.amdhsa_float_denorm_mode_32 3
		.amdhsa_float_denorm_mode_16_64 3
		.amdhsa_fp16_overflow 0
		.amdhsa_memory_ordered 1
		.amdhsa_forward_progress 1
		.amdhsa_inst_pref_size 1
		.amdhsa_round_robin_scheduling 0
		.amdhsa_exception_fp_ieee_invalid_op 0
		.amdhsa_exception_fp_denorm_src 0
		.amdhsa_exception_fp_ieee_div_zero 0
		.amdhsa_exception_fp_ieee_overflow 0
		.amdhsa_exception_fp_ieee_underflow 0
		.amdhsa_exception_fp_ieee_inexact 0
		.amdhsa_exception_int_div_zero 0
	.end_amdhsa_kernel
	.section	.text._ZN7rocprim17ROCPRIM_400000_NS6detail17trampoline_kernelINS0_13select_configILj256ELj13ELNS0_17block_load_methodE3ELS4_3ELS4_3ELNS0_20block_scan_algorithmE0ELj4294967295EEENS1_25partition_config_selectorILNS1_17partition_subalgoE4EjNS0_10empty_typeEbEEZZNS1_14partition_implILS8_4ELb0ES6_15HIP_vector_typeIjLj2EENS0_17counting_iteratorIjlEEPS9_SG_NS0_5tupleIJPjSI_NS0_16reverse_iteratorISI_EEEEENSH_IJSG_SG_SG_EEES9_SI_JZNS1_25segmented_radix_sort_implINS0_14default_configELb0EPKlPlSQ_SR_N2at6native12_GLOBAL__N_18offset_tEEE10hipError_tPvRmT1_PNSt15iterator_traitsISZ_E10value_typeET2_T3_PNS10_IS15_E10value_typeET4_jRbjT5_S1B_jjP12ihipStream_tbEUljE_ZNSN_ISO_Lb0ESQ_SR_SQ_SR_SV_EESW_SX_SY_SZ_S13_S14_S15_S18_S19_jS1A_jS1B_S1B_jjS1D_bEUljE0_EEESW_SX_SY_S15_S19_S1B_T6_T7_T9_mT8_S1D_bDpT10_ENKUlT_T0_E_clISt17integral_constantIbLb1EES1R_EEDaS1M_S1N_EUlS1M_E_NS1_11comp_targetILNS1_3genE0ELNS1_11target_archE4294967295ELNS1_3gpuE0ELNS1_3repE0EEENS1_30default_config_static_selectorELNS0_4arch9wavefront6targetE0EEEvSZ_,"axG",@progbits,_ZN7rocprim17ROCPRIM_400000_NS6detail17trampoline_kernelINS0_13select_configILj256ELj13ELNS0_17block_load_methodE3ELS4_3ELS4_3ELNS0_20block_scan_algorithmE0ELj4294967295EEENS1_25partition_config_selectorILNS1_17partition_subalgoE4EjNS0_10empty_typeEbEEZZNS1_14partition_implILS8_4ELb0ES6_15HIP_vector_typeIjLj2EENS0_17counting_iteratorIjlEEPS9_SG_NS0_5tupleIJPjSI_NS0_16reverse_iteratorISI_EEEEENSH_IJSG_SG_SG_EEES9_SI_JZNS1_25segmented_radix_sort_implINS0_14default_configELb0EPKlPlSQ_SR_N2at6native12_GLOBAL__N_18offset_tEEE10hipError_tPvRmT1_PNSt15iterator_traitsISZ_E10value_typeET2_T3_PNS10_IS15_E10value_typeET4_jRbjT5_S1B_jjP12ihipStream_tbEUljE_ZNSN_ISO_Lb0ESQ_SR_SQ_SR_SV_EESW_SX_SY_SZ_S13_S14_S15_S18_S19_jS1A_jS1B_S1B_jjS1D_bEUljE0_EEESW_SX_SY_S15_S19_S1B_T6_T7_T9_mT8_S1D_bDpT10_ENKUlT_T0_E_clISt17integral_constantIbLb1EES1R_EEDaS1M_S1N_EUlS1M_E_NS1_11comp_targetILNS1_3genE0ELNS1_11target_archE4294967295ELNS1_3gpuE0ELNS1_3repE0EEENS1_30default_config_static_selectorELNS0_4arch9wavefront6targetE0EEEvSZ_,comdat
.Lfunc_end747:
	.size	_ZN7rocprim17ROCPRIM_400000_NS6detail17trampoline_kernelINS0_13select_configILj256ELj13ELNS0_17block_load_methodE3ELS4_3ELS4_3ELNS0_20block_scan_algorithmE0ELj4294967295EEENS1_25partition_config_selectorILNS1_17partition_subalgoE4EjNS0_10empty_typeEbEEZZNS1_14partition_implILS8_4ELb0ES6_15HIP_vector_typeIjLj2EENS0_17counting_iteratorIjlEEPS9_SG_NS0_5tupleIJPjSI_NS0_16reverse_iteratorISI_EEEEENSH_IJSG_SG_SG_EEES9_SI_JZNS1_25segmented_radix_sort_implINS0_14default_configELb0EPKlPlSQ_SR_N2at6native12_GLOBAL__N_18offset_tEEE10hipError_tPvRmT1_PNSt15iterator_traitsISZ_E10value_typeET2_T3_PNS10_IS15_E10value_typeET4_jRbjT5_S1B_jjP12ihipStream_tbEUljE_ZNSN_ISO_Lb0ESQ_SR_SQ_SR_SV_EESW_SX_SY_SZ_S13_S14_S15_S18_S19_jS1A_jS1B_S1B_jjS1D_bEUljE0_EEESW_SX_SY_S15_S19_S1B_T6_T7_T9_mT8_S1D_bDpT10_ENKUlT_T0_E_clISt17integral_constantIbLb1EES1R_EEDaS1M_S1N_EUlS1M_E_NS1_11comp_targetILNS1_3genE0ELNS1_11target_archE4294967295ELNS1_3gpuE0ELNS1_3repE0EEENS1_30default_config_static_selectorELNS0_4arch9wavefront6targetE0EEEvSZ_, .Lfunc_end747-_ZN7rocprim17ROCPRIM_400000_NS6detail17trampoline_kernelINS0_13select_configILj256ELj13ELNS0_17block_load_methodE3ELS4_3ELS4_3ELNS0_20block_scan_algorithmE0ELj4294967295EEENS1_25partition_config_selectorILNS1_17partition_subalgoE4EjNS0_10empty_typeEbEEZZNS1_14partition_implILS8_4ELb0ES6_15HIP_vector_typeIjLj2EENS0_17counting_iteratorIjlEEPS9_SG_NS0_5tupleIJPjSI_NS0_16reverse_iteratorISI_EEEEENSH_IJSG_SG_SG_EEES9_SI_JZNS1_25segmented_radix_sort_implINS0_14default_configELb0EPKlPlSQ_SR_N2at6native12_GLOBAL__N_18offset_tEEE10hipError_tPvRmT1_PNSt15iterator_traitsISZ_E10value_typeET2_T3_PNS10_IS15_E10value_typeET4_jRbjT5_S1B_jjP12ihipStream_tbEUljE_ZNSN_ISO_Lb0ESQ_SR_SQ_SR_SV_EESW_SX_SY_SZ_S13_S14_S15_S18_S19_jS1A_jS1B_S1B_jjS1D_bEUljE0_EEESW_SX_SY_S15_S19_S1B_T6_T7_T9_mT8_S1D_bDpT10_ENKUlT_T0_E_clISt17integral_constantIbLb1EES1R_EEDaS1M_S1N_EUlS1M_E_NS1_11comp_targetILNS1_3genE0ELNS1_11target_archE4294967295ELNS1_3gpuE0ELNS1_3repE0EEENS1_30default_config_static_selectorELNS0_4arch9wavefront6targetE0EEEvSZ_
                                        ; -- End function
	.set _ZN7rocprim17ROCPRIM_400000_NS6detail17trampoline_kernelINS0_13select_configILj256ELj13ELNS0_17block_load_methodE3ELS4_3ELS4_3ELNS0_20block_scan_algorithmE0ELj4294967295EEENS1_25partition_config_selectorILNS1_17partition_subalgoE4EjNS0_10empty_typeEbEEZZNS1_14partition_implILS8_4ELb0ES6_15HIP_vector_typeIjLj2EENS0_17counting_iteratorIjlEEPS9_SG_NS0_5tupleIJPjSI_NS0_16reverse_iteratorISI_EEEEENSH_IJSG_SG_SG_EEES9_SI_JZNS1_25segmented_radix_sort_implINS0_14default_configELb0EPKlPlSQ_SR_N2at6native12_GLOBAL__N_18offset_tEEE10hipError_tPvRmT1_PNSt15iterator_traitsISZ_E10value_typeET2_T3_PNS10_IS15_E10value_typeET4_jRbjT5_S1B_jjP12ihipStream_tbEUljE_ZNSN_ISO_Lb0ESQ_SR_SQ_SR_SV_EESW_SX_SY_SZ_S13_S14_S15_S18_S19_jS1A_jS1B_S1B_jjS1D_bEUljE0_EEESW_SX_SY_S15_S19_S1B_T6_T7_T9_mT8_S1D_bDpT10_ENKUlT_T0_E_clISt17integral_constantIbLb1EES1R_EEDaS1M_S1N_EUlS1M_E_NS1_11comp_targetILNS1_3genE0ELNS1_11target_archE4294967295ELNS1_3gpuE0ELNS1_3repE0EEENS1_30default_config_static_selectorELNS0_4arch9wavefront6targetE0EEEvSZ_.num_vgpr, 0
	.set _ZN7rocprim17ROCPRIM_400000_NS6detail17trampoline_kernelINS0_13select_configILj256ELj13ELNS0_17block_load_methodE3ELS4_3ELS4_3ELNS0_20block_scan_algorithmE0ELj4294967295EEENS1_25partition_config_selectorILNS1_17partition_subalgoE4EjNS0_10empty_typeEbEEZZNS1_14partition_implILS8_4ELb0ES6_15HIP_vector_typeIjLj2EENS0_17counting_iteratorIjlEEPS9_SG_NS0_5tupleIJPjSI_NS0_16reverse_iteratorISI_EEEEENSH_IJSG_SG_SG_EEES9_SI_JZNS1_25segmented_radix_sort_implINS0_14default_configELb0EPKlPlSQ_SR_N2at6native12_GLOBAL__N_18offset_tEEE10hipError_tPvRmT1_PNSt15iterator_traitsISZ_E10value_typeET2_T3_PNS10_IS15_E10value_typeET4_jRbjT5_S1B_jjP12ihipStream_tbEUljE_ZNSN_ISO_Lb0ESQ_SR_SQ_SR_SV_EESW_SX_SY_SZ_S13_S14_S15_S18_S19_jS1A_jS1B_S1B_jjS1D_bEUljE0_EEESW_SX_SY_S15_S19_S1B_T6_T7_T9_mT8_S1D_bDpT10_ENKUlT_T0_E_clISt17integral_constantIbLb1EES1R_EEDaS1M_S1N_EUlS1M_E_NS1_11comp_targetILNS1_3genE0ELNS1_11target_archE4294967295ELNS1_3gpuE0ELNS1_3repE0EEENS1_30default_config_static_selectorELNS0_4arch9wavefront6targetE0EEEvSZ_.num_agpr, 0
	.set _ZN7rocprim17ROCPRIM_400000_NS6detail17trampoline_kernelINS0_13select_configILj256ELj13ELNS0_17block_load_methodE3ELS4_3ELS4_3ELNS0_20block_scan_algorithmE0ELj4294967295EEENS1_25partition_config_selectorILNS1_17partition_subalgoE4EjNS0_10empty_typeEbEEZZNS1_14partition_implILS8_4ELb0ES6_15HIP_vector_typeIjLj2EENS0_17counting_iteratorIjlEEPS9_SG_NS0_5tupleIJPjSI_NS0_16reverse_iteratorISI_EEEEENSH_IJSG_SG_SG_EEES9_SI_JZNS1_25segmented_radix_sort_implINS0_14default_configELb0EPKlPlSQ_SR_N2at6native12_GLOBAL__N_18offset_tEEE10hipError_tPvRmT1_PNSt15iterator_traitsISZ_E10value_typeET2_T3_PNS10_IS15_E10value_typeET4_jRbjT5_S1B_jjP12ihipStream_tbEUljE_ZNSN_ISO_Lb0ESQ_SR_SQ_SR_SV_EESW_SX_SY_SZ_S13_S14_S15_S18_S19_jS1A_jS1B_S1B_jjS1D_bEUljE0_EEESW_SX_SY_S15_S19_S1B_T6_T7_T9_mT8_S1D_bDpT10_ENKUlT_T0_E_clISt17integral_constantIbLb1EES1R_EEDaS1M_S1N_EUlS1M_E_NS1_11comp_targetILNS1_3genE0ELNS1_11target_archE4294967295ELNS1_3gpuE0ELNS1_3repE0EEENS1_30default_config_static_selectorELNS0_4arch9wavefront6targetE0EEEvSZ_.numbered_sgpr, 0
	.set _ZN7rocprim17ROCPRIM_400000_NS6detail17trampoline_kernelINS0_13select_configILj256ELj13ELNS0_17block_load_methodE3ELS4_3ELS4_3ELNS0_20block_scan_algorithmE0ELj4294967295EEENS1_25partition_config_selectorILNS1_17partition_subalgoE4EjNS0_10empty_typeEbEEZZNS1_14partition_implILS8_4ELb0ES6_15HIP_vector_typeIjLj2EENS0_17counting_iteratorIjlEEPS9_SG_NS0_5tupleIJPjSI_NS0_16reverse_iteratorISI_EEEEENSH_IJSG_SG_SG_EEES9_SI_JZNS1_25segmented_radix_sort_implINS0_14default_configELb0EPKlPlSQ_SR_N2at6native12_GLOBAL__N_18offset_tEEE10hipError_tPvRmT1_PNSt15iterator_traitsISZ_E10value_typeET2_T3_PNS10_IS15_E10value_typeET4_jRbjT5_S1B_jjP12ihipStream_tbEUljE_ZNSN_ISO_Lb0ESQ_SR_SQ_SR_SV_EESW_SX_SY_SZ_S13_S14_S15_S18_S19_jS1A_jS1B_S1B_jjS1D_bEUljE0_EEESW_SX_SY_S15_S19_S1B_T6_T7_T9_mT8_S1D_bDpT10_ENKUlT_T0_E_clISt17integral_constantIbLb1EES1R_EEDaS1M_S1N_EUlS1M_E_NS1_11comp_targetILNS1_3genE0ELNS1_11target_archE4294967295ELNS1_3gpuE0ELNS1_3repE0EEENS1_30default_config_static_selectorELNS0_4arch9wavefront6targetE0EEEvSZ_.num_named_barrier, 0
	.set _ZN7rocprim17ROCPRIM_400000_NS6detail17trampoline_kernelINS0_13select_configILj256ELj13ELNS0_17block_load_methodE3ELS4_3ELS4_3ELNS0_20block_scan_algorithmE0ELj4294967295EEENS1_25partition_config_selectorILNS1_17partition_subalgoE4EjNS0_10empty_typeEbEEZZNS1_14partition_implILS8_4ELb0ES6_15HIP_vector_typeIjLj2EENS0_17counting_iteratorIjlEEPS9_SG_NS0_5tupleIJPjSI_NS0_16reverse_iteratorISI_EEEEENSH_IJSG_SG_SG_EEES9_SI_JZNS1_25segmented_radix_sort_implINS0_14default_configELb0EPKlPlSQ_SR_N2at6native12_GLOBAL__N_18offset_tEEE10hipError_tPvRmT1_PNSt15iterator_traitsISZ_E10value_typeET2_T3_PNS10_IS15_E10value_typeET4_jRbjT5_S1B_jjP12ihipStream_tbEUljE_ZNSN_ISO_Lb0ESQ_SR_SQ_SR_SV_EESW_SX_SY_SZ_S13_S14_S15_S18_S19_jS1A_jS1B_S1B_jjS1D_bEUljE0_EEESW_SX_SY_S15_S19_S1B_T6_T7_T9_mT8_S1D_bDpT10_ENKUlT_T0_E_clISt17integral_constantIbLb1EES1R_EEDaS1M_S1N_EUlS1M_E_NS1_11comp_targetILNS1_3genE0ELNS1_11target_archE4294967295ELNS1_3gpuE0ELNS1_3repE0EEENS1_30default_config_static_selectorELNS0_4arch9wavefront6targetE0EEEvSZ_.private_seg_size, 0
	.set _ZN7rocprim17ROCPRIM_400000_NS6detail17trampoline_kernelINS0_13select_configILj256ELj13ELNS0_17block_load_methodE3ELS4_3ELS4_3ELNS0_20block_scan_algorithmE0ELj4294967295EEENS1_25partition_config_selectorILNS1_17partition_subalgoE4EjNS0_10empty_typeEbEEZZNS1_14partition_implILS8_4ELb0ES6_15HIP_vector_typeIjLj2EENS0_17counting_iteratorIjlEEPS9_SG_NS0_5tupleIJPjSI_NS0_16reverse_iteratorISI_EEEEENSH_IJSG_SG_SG_EEES9_SI_JZNS1_25segmented_radix_sort_implINS0_14default_configELb0EPKlPlSQ_SR_N2at6native12_GLOBAL__N_18offset_tEEE10hipError_tPvRmT1_PNSt15iterator_traitsISZ_E10value_typeET2_T3_PNS10_IS15_E10value_typeET4_jRbjT5_S1B_jjP12ihipStream_tbEUljE_ZNSN_ISO_Lb0ESQ_SR_SQ_SR_SV_EESW_SX_SY_SZ_S13_S14_S15_S18_S19_jS1A_jS1B_S1B_jjS1D_bEUljE0_EEESW_SX_SY_S15_S19_S1B_T6_T7_T9_mT8_S1D_bDpT10_ENKUlT_T0_E_clISt17integral_constantIbLb1EES1R_EEDaS1M_S1N_EUlS1M_E_NS1_11comp_targetILNS1_3genE0ELNS1_11target_archE4294967295ELNS1_3gpuE0ELNS1_3repE0EEENS1_30default_config_static_selectorELNS0_4arch9wavefront6targetE0EEEvSZ_.uses_vcc, 0
	.set _ZN7rocprim17ROCPRIM_400000_NS6detail17trampoline_kernelINS0_13select_configILj256ELj13ELNS0_17block_load_methodE3ELS4_3ELS4_3ELNS0_20block_scan_algorithmE0ELj4294967295EEENS1_25partition_config_selectorILNS1_17partition_subalgoE4EjNS0_10empty_typeEbEEZZNS1_14partition_implILS8_4ELb0ES6_15HIP_vector_typeIjLj2EENS0_17counting_iteratorIjlEEPS9_SG_NS0_5tupleIJPjSI_NS0_16reverse_iteratorISI_EEEEENSH_IJSG_SG_SG_EEES9_SI_JZNS1_25segmented_radix_sort_implINS0_14default_configELb0EPKlPlSQ_SR_N2at6native12_GLOBAL__N_18offset_tEEE10hipError_tPvRmT1_PNSt15iterator_traitsISZ_E10value_typeET2_T3_PNS10_IS15_E10value_typeET4_jRbjT5_S1B_jjP12ihipStream_tbEUljE_ZNSN_ISO_Lb0ESQ_SR_SQ_SR_SV_EESW_SX_SY_SZ_S13_S14_S15_S18_S19_jS1A_jS1B_S1B_jjS1D_bEUljE0_EEESW_SX_SY_S15_S19_S1B_T6_T7_T9_mT8_S1D_bDpT10_ENKUlT_T0_E_clISt17integral_constantIbLb1EES1R_EEDaS1M_S1N_EUlS1M_E_NS1_11comp_targetILNS1_3genE0ELNS1_11target_archE4294967295ELNS1_3gpuE0ELNS1_3repE0EEENS1_30default_config_static_selectorELNS0_4arch9wavefront6targetE0EEEvSZ_.uses_flat_scratch, 0
	.set _ZN7rocprim17ROCPRIM_400000_NS6detail17trampoline_kernelINS0_13select_configILj256ELj13ELNS0_17block_load_methodE3ELS4_3ELS4_3ELNS0_20block_scan_algorithmE0ELj4294967295EEENS1_25partition_config_selectorILNS1_17partition_subalgoE4EjNS0_10empty_typeEbEEZZNS1_14partition_implILS8_4ELb0ES6_15HIP_vector_typeIjLj2EENS0_17counting_iteratorIjlEEPS9_SG_NS0_5tupleIJPjSI_NS0_16reverse_iteratorISI_EEEEENSH_IJSG_SG_SG_EEES9_SI_JZNS1_25segmented_radix_sort_implINS0_14default_configELb0EPKlPlSQ_SR_N2at6native12_GLOBAL__N_18offset_tEEE10hipError_tPvRmT1_PNSt15iterator_traitsISZ_E10value_typeET2_T3_PNS10_IS15_E10value_typeET4_jRbjT5_S1B_jjP12ihipStream_tbEUljE_ZNSN_ISO_Lb0ESQ_SR_SQ_SR_SV_EESW_SX_SY_SZ_S13_S14_S15_S18_S19_jS1A_jS1B_S1B_jjS1D_bEUljE0_EEESW_SX_SY_S15_S19_S1B_T6_T7_T9_mT8_S1D_bDpT10_ENKUlT_T0_E_clISt17integral_constantIbLb1EES1R_EEDaS1M_S1N_EUlS1M_E_NS1_11comp_targetILNS1_3genE0ELNS1_11target_archE4294967295ELNS1_3gpuE0ELNS1_3repE0EEENS1_30default_config_static_selectorELNS0_4arch9wavefront6targetE0EEEvSZ_.has_dyn_sized_stack, 0
	.set _ZN7rocprim17ROCPRIM_400000_NS6detail17trampoline_kernelINS0_13select_configILj256ELj13ELNS0_17block_load_methodE3ELS4_3ELS4_3ELNS0_20block_scan_algorithmE0ELj4294967295EEENS1_25partition_config_selectorILNS1_17partition_subalgoE4EjNS0_10empty_typeEbEEZZNS1_14partition_implILS8_4ELb0ES6_15HIP_vector_typeIjLj2EENS0_17counting_iteratorIjlEEPS9_SG_NS0_5tupleIJPjSI_NS0_16reverse_iteratorISI_EEEEENSH_IJSG_SG_SG_EEES9_SI_JZNS1_25segmented_radix_sort_implINS0_14default_configELb0EPKlPlSQ_SR_N2at6native12_GLOBAL__N_18offset_tEEE10hipError_tPvRmT1_PNSt15iterator_traitsISZ_E10value_typeET2_T3_PNS10_IS15_E10value_typeET4_jRbjT5_S1B_jjP12ihipStream_tbEUljE_ZNSN_ISO_Lb0ESQ_SR_SQ_SR_SV_EESW_SX_SY_SZ_S13_S14_S15_S18_S19_jS1A_jS1B_S1B_jjS1D_bEUljE0_EEESW_SX_SY_S15_S19_S1B_T6_T7_T9_mT8_S1D_bDpT10_ENKUlT_T0_E_clISt17integral_constantIbLb1EES1R_EEDaS1M_S1N_EUlS1M_E_NS1_11comp_targetILNS1_3genE0ELNS1_11target_archE4294967295ELNS1_3gpuE0ELNS1_3repE0EEENS1_30default_config_static_selectorELNS0_4arch9wavefront6targetE0EEEvSZ_.has_recursion, 0
	.set _ZN7rocprim17ROCPRIM_400000_NS6detail17trampoline_kernelINS0_13select_configILj256ELj13ELNS0_17block_load_methodE3ELS4_3ELS4_3ELNS0_20block_scan_algorithmE0ELj4294967295EEENS1_25partition_config_selectorILNS1_17partition_subalgoE4EjNS0_10empty_typeEbEEZZNS1_14partition_implILS8_4ELb0ES6_15HIP_vector_typeIjLj2EENS0_17counting_iteratorIjlEEPS9_SG_NS0_5tupleIJPjSI_NS0_16reverse_iteratorISI_EEEEENSH_IJSG_SG_SG_EEES9_SI_JZNS1_25segmented_radix_sort_implINS0_14default_configELb0EPKlPlSQ_SR_N2at6native12_GLOBAL__N_18offset_tEEE10hipError_tPvRmT1_PNSt15iterator_traitsISZ_E10value_typeET2_T3_PNS10_IS15_E10value_typeET4_jRbjT5_S1B_jjP12ihipStream_tbEUljE_ZNSN_ISO_Lb0ESQ_SR_SQ_SR_SV_EESW_SX_SY_SZ_S13_S14_S15_S18_S19_jS1A_jS1B_S1B_jjS1D_bEUljE0_EEESW_SX_SY_S15_S19_S1B_T6_T7_T9_mT8_S1D_bDpT10_ENKUlT_T0_E_clISt17integral_constantIbLb1EES1R_EEDaS1M_S1N_EUlS1M_E_NS1_11comp_targetILNS1_3genE0ELNS1_11target_archE4294967295ELNS1_3gpuE0ELNS1_3repE0EEENS1_30default_config_static_selectorELNS0_4arch9wavefront6targetE0EEEvSZ_.has_indirect_call, 0
	.section	.AMDGPU.csdata,"",@progbits
; Kernel info:
; codeLenInByte = 4
; TotalNumSgprs: 0
; NumVgprs: 0
; ScratchSize: 0
; MemoryBound: 0
; FloatMode: 240
; IeeeMode: 1
; LDSByteSize: 0 bytes/workgroup (compile time only)
; SGPRBlocks: 0
; VGPRBlocks: 0
; NumSGPRsForWavesPerEU: 1
; NumVGPRsForWavesPerEU: 1
; NamedBarCnt: 0
; Occupancy: 16
; WaveLimiterHint : 0
; COMPUTE_PGM_RSRC2:SCRATCH_EN: 0
; COMPUTE_PGM_RSRC2:USER_SGPR: 2
; COMPUTE_PGM_RSRC2:TRAP_HANDLER: 0
; COMPUTE_PGM_RSRC2:TGID_X_EN: 1
; COMPUTE_PGM_RSRC2:TGID_Y_EN: 0
; COMPUTE_PGM_RSRC2:TGID_Z_EN: 0
; COMPUTE_PGM_RSRC2:TIDIG_COMP_CNT: 0
	.section	.text._ZN7rocprim17ROCPRIM_400000_NS6detail17trampoline_kernelINS0_13select_configILj256ELj13ELNS0_17block_load_methodE3ELS4_3ELS4_3ELNS0_20block_scan_algorithmE0ELj4294967295EEENS1_25partition_config_selectorILNS1_17partition_subalgoE4EjNS0_10empty_typeEbEEZZNS1_14partition_implILS8_4ELb0ES6_15HIP_vector_typeIjLj2EENS0_17counting_iteratorIjlEEPS9_SG_NS0_5tupleIJPjSI_NS0_16reverse_iteratorISI_EEEEENSH_IJSG_SG_SG_EEES9_SI_JZNS1_25segmented_radix_sort_implINS0_14default_configELb0EPKlPlSQ_SR_N2at6native12_GLOBAL__N_18offset_tEEE10hipError_tPvRmT1_PNSt15iterator_traitsISZ_E10value_typeET2_T3_PNS10_IS15_E10value_typeET4_jRbjT5_S1B_jjP12ihipStream_tbEUljE_ZNSN_ISO_Lb0ESQ_SR_SQ_SR_SV_EESW_SX_SY_SZ_S13_S14_S15_S18_S19_jS1A_jS1B_S1B_jjS1D_bEUljE0_EEESW_SX_SY_S15_S19_S1B_T6_T7_T9_mT8_S1D_bDpT10_ENKUlT_T0_E_clISt17integral_constantIbLb1EES1R_EEDaS1M_S1N_EUlS1M_E_NS1_11comp_targetILNS1_3genE5ELNS1_11target_archE942ELNS1_3gpuE9ELNS1_3repE0EEENS1_30default_config_static_selectorELNS0_4arch9wavefront6targetE0EEEvSZ_,"axG",@progbits,_ZN7rocprim17ROCPRIM_400000_NS6detail17trampoline_kernelINS0_13select_configILj256ELj13ELNS0_17block_load_methodE3ELS4_3ELS4_3ELNS0_20block_scan_algorithmE0ELj4294967295EEENS1_25partition_config_selectorILNS1_17partition_subalgoE4EjNS0_10empty_typeEbEEZZNS1_14partition_implILS8_4ELb0ES6_15HIP_vector_typeIjLj2EENS0_17counting_iteratorIjlEEPS9_SG_NS0_5tupleIJPjSI_NS0_16reverse_iteratorISI_EEEEENSH_IJSG_SG_SG_EEES9_SI_JZNS1_25segmented_radix_sort_implINS0_14default_configELb0EPKlPlSQ_SR_N2at6native12_GLOBAL__N_18offset_tEEE10hipError_tPvRmT1_PNSt15iterator_traitsISZ_E10value_typeET2_T3_PNS10_IS15_E10value_typeET4_jRbjT5_S1B_jjP12ihipStream_tbEUljE_ZNSN_ISO_Lb0ESQ_SR_SQ_SR_SV_EESW_SX_SY_SZ_S13_S14_S15_S18_S19_jS1A_jS1B_S1B_jjS1D_bEUljE0_EEESW_SX_SY_S15_S19_S1B_T6_T7_T9_mT8_S1D_bDpT10_ENKUlT_T0_E_clISt17integral_constantIbLb1EES1R_EEDaS1M_S1N_EUlS1M_E_NS1_11comp_targetILNS1_3genE5ELNS1_11target_archE942ELNS1_3gpuE9ELNS1_3repE0EEENS1_30default_config_static_selectorELNS0_4arch9wavefront6targetE0EEEvSZ_,comdat
	.globl	_ZN7rocprim17ROCPRIM_400000_NS6detail17trampoline_kernelINS0_13select_configILj256ELj13ELNS0_17block_load_methodE3ELS4_3ELS4_3ELNS0_20block_scan_algorithmE0ELj4294967295EEENS1_25partition_config_selectorILNS1_17partition_subalgoE4EjNS0_10empty_typeEbEEZZNS1_14partition_implILS8_4ELb0ES6_15HIP_vector_typeIjLj2EENS0_17counting_iteratorIjlEEPS9_SG_NS0_5tupleIJPjSI_NS0_16reverse_iteratorISI_EEEEENSH_IJSG_SG_SG_EEES9_SI_JZNS1_25segmented_radix_sort_implINS0_14default_configELb0EPKlPlSQ_SR_N2at6native12_GLOBAL__N_18offset_tEEE10hipError_tPvRmT1_PNSt15iterator_traitsISZ_E10value_typeET2_T3_PNS10_IS15_E10value_typeET4_jRbjT5_S1B_jjP12ihipStream_tbEUljE_ZNSN_ISO_Lb0ESQ_SR_SQ_SR_SV_EESW_SX_SY_SZ_S13_S14_S15_S18_S19_jS1A_jS1B_S1B_jjS1D_bEUljE0_EEESW_SX_SY_S15_S19_S1B_T6_T7_T9_mT8_S1D_bDpT10_ENKUlT_T0_E_clISt17integral_constantIbLb1EES1R_EEDaS1M_S1N_EUlS1M_E_NS1_11comp_targetILNS1_3genE5ELNS1_11target_archE942ELNS1_3gpuE9ELNS1_3repE0EEENS1_30default_config_static_selectorELNS0_4arch9wavefront6targetE0EEEvSZ_ ; -- Begin function _ZN7rocprim17ROCPRIM_400000_NS6detail17trampoline_kernelINS0_13select_configILj256ELj13ELNS0_17block_load_methodE3ELS4_3ELS4_3ELNS0_20block_scan_algorithmE0ELj4294967295EEENS1_25partition_config_selectorILNS1_17partition_subalgoE4EjNS0_10empty_typeEbEEZZNS1_14partition_implILS8_4ELb0ES6_15HIP_vector_typeIjLj2EENS0_17counting_iteratorIjlEEPS9_SG_NS0_5tupleIJPjSI_NS0_16reverse_iteratorISI_EEEEENSH_IJSG_SG_SG_EEES9_SI_JZNS1_25segmented_radix_sort_implINS0_14default_configELb0EPKlPlSQ_SR_N2at6native12_GLOBAL__N_18offset_tEEE10hipError_tPvRmT1_PNSt15iterator_traitsISZ_E10value_typeET2_T3_PNS10_IS15_E10value_typeET4_jRbjT5_S1B_jjP12ihipStream_tbEUljE_ZNSN_ISO_Lb0ESQ_SR_SQ_SR_SV_EESW_SX_SY_SZ_S13_S14_S15_S18_S19_jS1A_jS1B_S1B_jjS1D_bEUljE0_EEESW_SX_SY_S15_S19_S1B_T6_T7_T9_mT8_S1D_bDpT10_ENKUlT_T0_E_clISt17integral_constantIbLb1EES1R_EEDaS1M_S1N_EUlS1M_E_NS1_11comp_targetILNS1_3genE5ELNS1_11target_archE942ELNS1_3gpuE9ELNS1_3repE0EEENS1_30default_config_static_selectorELNS0_4arch9wavefront6targetE0EEEvSZ_
	.p2align	8
	.type	_ZN7rocprim17ROCPRIM_400000_NS6detail17trampoline_kernelINS0_13select_configILj256ELj13ELNS0_17block_load_methodE3ELS4_3ELS4_3ELNS0_20block_scan_algorithmE0ELj4294967295EEENS1_25partition_config_selectorILNS1_17partition_subalgoE4EjNS0_10empty_typeEbEEZZNS1_14partition_implILS8_4ELb0ES6_15HIP_vector_typeIjLj2EENS0_17counting_iteratorIjlEEPS9_SG_NS0_5tupleIJPjSI_NS0_16reverse_iteratorISI_EEEEENSH_IJSG_SG_SG_EEES9_SI_JZNS1_25segmented_radix_sort_implINS0_14default_configELb0EPKlPlSQ_SR_N2at6native12_GLOBAL__N_18offset_tEEE10hipError_tPvRmT1_PNSt15iterator_traitsISZ_E10value_typeET2_T3_PNS10_IS15_E10value_typeET4_jRbjT5_S1B_jjP12ihipStream_tbEUljE_ZNSN_ISO_Lb0ESQ_SR_SQ_SR_SV_EESW_SX_SY_SZ_S13_S14_S15_S18_S19_jS1A_jS1B_S1B_jjS1D_bEUljE0_EEESW_SX_SY_S15_S19_S1B_T6_T7_T9_mT8_S1D_bDpT10_ENKUlT_T0_E_clISt17integral_constantIbLb1EES1R_EEDaS1M_S1N_EUlS1M_E_NS1_11comp_targetILNS1_3genE5ELNS1_11target_archE942ELNS1_3gpuE9ELNS1_3repE0EEENS1_30default_config_static_selectorELNS0_4arch9wavefront6targetE0EEEvSZ_,@function
_ZN7rocprim17ROCPRIM_400000_NS6detail17trampoline_kernelINS0_13select_configILj256ELj13ELNS0_17block_load_methodE3ELS4_3ELS4_3ELNS0_20block_scan_algorithmE0ELj4294967295EEENS1_25partition_config_selectorILNS1_17partition_subalgoE4EjNS0_10empty_typeEbEEZZNS1_14partition_implILS8_4ELb0ES6_15HIP_vector_typeIjLj2EENS0_17counting_iteratorIjlEEPS9_SG_NS0_5tupleIJPjSI_NS0_16reverse_iteratorISI_EEEEENSH_IJSG_SG_SG_EEES9_SI_JZNS1_25segmented_radix_sort_implINS0_14default_configELb0EPKlPlSQ_SR_N2at6native12_GLOBAL__N_18offset_tEEE10hipError_tPvRmT1_PNSt15iterator_traitsISZ_E10value_typeET2_T3_PNS10_IS15_E10value_typeET4_jRbjT5_S1B_jjP12ihipStream_tbEUljE_ZNSN_ISO_Lb0ESQ_SR_SQ_SR_SV_EESW_SX_SY_SZ_S13_S14_S15_S18_S19_jS1A_jS1B_S1B_jjS1D_bEUljE0_EEESW_SX_SY_S15_S19_S1B_T6_T7_T9_mT8_S1D_bDpT10_ENKUlT_T0_E_clISt17integral_constantIbLb1EES1R_EEDaS1M_S1N_EUlS1M_E_NS1_11comp_targetILNS1_3genE5ELNS1_11target_archE942ELNS1_3gpuE9ELNS1_3repE0EEENS1_30default_config_static_selectorELNS0_4arch9wavefront6targetE0EEEvSZ_: ; @_ZN7rocprim17ROCPRIM_400000_NS6detail17trampoline_kernelINS0_13select_configILj256ELj13ELNS0_17block_load_methodE3ELS4_3ELS4_3ELNS0_20block_scan_algorithmE0ELj4294967295EEENS1_25partition_config_selectorILNS1_17partition_subalgoE4EjNS0_10empty_typeEbEEZZNS1_14partition_implILS8_4ELb0ES6_15HIP_vector_typeIjLj2EENS0_17counting_iteratorIjlEEPS9_SG_NS0_5tupleIJPjSI_NS0_16reverse_iteratorISI_EEEEENSH_IJSG_SG_SG_EEES9_SI_JZNS1_25segmented_radix_sort_implINS0_14default_configELb0EPKlPlSQ_SR_N2at6native12_GLOBAL__N_18offset_tEEE10hipError_tPvRmT1_PNSt15iterator_traitsISZ_E10value_typeET2_T3_PNS10_IS15_E10value_typeET4_jRbjT5_S1B_jjP12ihipStream_tbEUljE_ZNSN_ISO_Lb0ESQ_SR_SQ_SR_SV_EESW_SX_SY_SZ_S13_S14_S15_S18_S19_jS1A_jS1B_S1B_jjS1D_bEUljE0_EEESW_SX_SY_S15_S19_S1B_T6_T7_T9_mT8_S1D_bDpT10_ENKUlT_T0_E_clISt17integral_constantIbLb1EES1R_EEDaS1M_S1N_EUlS1M_E_NS1_11comp_targetILNS1_3genE5ELNS1_11target_archE942ELNS1_3gpuE9ELNS1_3repE0EEENS1_30default_config_static_selectorELNS0_4arch9wavefront6targetE0EEEvSZ_
; %bb.0:
	.section	.rodata,"a",@progbits
	.p2align	6, 0x0
	.amdhsa_kernel _ZN7rocprim17ROCPRIM_400000_NS6detail17trampoline_kernelINS0_13select_configILj256ELj13ELNS0_17block_load_methodE3ELS4_3ELS4_3ELNS0_20block_scan_algorithmE0ELj4294967295EEENS1_25partition_config_selectorILNS1_17partition_subalgoE4EjNS0_10empty_typeEbEEZZNS1_14partition_implILS8_4ELb0ES6_15HIP_vector_typeIjLj2EENS0_17counting_iteratorIjlEEPS9_SG_NS0_5tupleIJPjSI_NS0_16reverse_iteratorISI_EEEEENSH_IJSG_SG_SG_EEES9_SI_JZNS1_25segmented_radix_sort_implINS0_14default_configELb0EPKlPlSQ_SR_N2at6native12_GLOBAL__N_18offset_tEEE10hipError_tPvRmT1_PNSt15iterator_traitsISZ_E10value_typeET2_T3_PNS10_IS15_E10value_typeET4_jRbjT5_S1B_jjP12ihipStream_tbEUljE_ZNSN_ISO_Lb0ESQ_SR_SQ_SR_SV_EESW_SX_SY_SZ_S13_S14_S15_S18_S19_jS1A_jS1B_S1B_jjS1D_bEUljE0_EEESW_SX_SY_S15_S19_S1B_T6_T7_T9_mT8_S1D_bDpT10_ENKUlT_T0_E_clISt17integral_constantIbLb1EES1R_EEDaS1M_S1N_EUlS1M_E_NS1_11comp_targetILNS1_3genE5ELNS1_11target_archE942ELNS1_3gpuE9ELNS1_3repE0EEENS1_30default_config_static_selectorELNS0_4arch9wavefront6targetE0EEEvSZ_
		.amdhsa_group_segment_fixed_size 0
		.amdhsa_private_segment_fixed_size 0
		.amdhsa_kernarg_size 184
		.amdhsa_user_sgpr_count 2
		.amdhsa_user_sgpr_dispatch_ptr 0
		.amdhsa_user_sgpr_queue_ptr 0
		.amdhsa_user_sgpr_kernarg_segment_ptr 1
		.amdhsa_user_sgpr_dispatch_id 0
		.amdhsa_user_sgpr_kernarg_preload_length 0
		.amdhsa_user_sgpr_kernarg_preload_offset 0
		.amdhsa_user_sgpr_private_segment_size 0
		.amdhsa_wavefront_size32 1
		.amdhsa_uses_dynamic_stack 0
		.amdhsa_enable_private_segment 0
		.amdhsa_system_sgpr_workgroup_id_x 1
		.amdhsa_system_sgpr_workgroup_id_y 0
		.amdhsa_system_sgpr_workgroup_id_z 0
		.amdhsa_system_sgpr_workgroup_info 0
		.amdhsa_system_vgpr_workitem_id 0
		.amdhsa_next_free_vgpr 1
		.amdhsa_next_free_sgpr 1
		.amdhsa_named_barrier_count 0
		.amdhsa_reserve_vcc 0
		.amdhsa_float_round_mode_32 0
		.amdhsa_float_round_mode_16_64 0
		.amdhsa_float_denorm_mode_32 3
		.amdhsa_float_denorm_mode_16_64 3
		.amdhsa_fp16_overflow 0
		.amdhsa_memory_ordered 1
		.amdhsa_forward_progress 1
		.amdhsa_inst_pref_size 0
		.amdhsa_round_robin_scheduling 0
		.amdhsa_exception_fp_ieee_invalid_op 0
		.amdhsa_exception_fp_denorm_src 0
		.amdhsa_exception_fp_ieee_div_zero 0
		.amdhsa_exception_fp_ieee_overflow 0
		.amdhsa_exception_fp_ieee_underflow 0
		.amdhsa_exception_fp_ieee_inexact 0
		.amdhsa_exception_int_div_zero 0
	.end_amdhsa_kernel
	.section	.text._ZN7rocprim17ROCPRIM_400000_NS6detail17trampoline_kernelINS0_13select_configILj256ELj13ELNS0_17block_load_methodE3ELS4_3ELS4_3ELNS0_20block_scan_algorithmE0ELj4294967295EEENS1_25partition_config_selectorILNS1_17partition_subalgoE4EjNS0_10empty_typeEbEEZZNS1_14partition_implILS8_4ELb0ES6_15HIP_vector_typeIjLj2EENS0_17counting_iteratorIjlEEPS9_SG_NS0_5tupleIJPjSI_NS0_16reverse_iteratorISI_EEEEENSH_IJSG_SG_SG_EEES9_SI_JZNS1_25segmented_radix_sort_implINS0_14default_configELb0EPKlPlSQ_SR_N2at6native12_GLOBAL__N_18offset_tEEE10hipError_tPvRmT1_PNSt15iterator_traitsISZ_E10value_typeET2_T3_PNS10_IS15_E10value_typeET4_jRbjT5_S1B_jjP12ihipStream_tbEUljE_ZNSN_ISO_Lb0ESQ_SR_SQ_SR_SV_EESW_SX_SY_SZ_S13_S14_S15_S18_S19_jS1A_jS1B_S1B_jjS1D_bEUljE0_EEESW_SX_SY_S15_S19_S1B_T6_T7_T9_mT8_S1D_bDpT10_ENKUlT_T0_E_clISt17integral_constantIbLb1EES1R_EEDaS1M_S1N_EUlS1M_E_NS1_11comp_targetILNS1_3genE5ELNS1_11target_archE942ELNS1_3gpuE9ELNS1_3repE0EEENS1_30default_config_static_selectorELNS0_4arch9wavefront6targetE0EEEvSZ_,"axG",@progbits,_ZN7rocprim17ROCPRIM_400000_NS6detail17trampoline_kernelINS0_13select_configILj256ELj13ELNS0_17block_load_methodE3ELS4_3ELS4_3ELNS0_20block_scan_algorithmE0ELj4294967295EEENS1_25partition_config_selectorILNS1_17partition_subalgoE4EjNS0_10empty_typeEbEEZZNS1_14partition_implILS8_4ELb0ES6_15HIP_vector_typeIjLj2EENS0_17counting_iteratorIjlEEPS9_SG_NS0_5tupleIJPjSI_NS0_16reverse_iteratorISI_EEEEENSH_IJSG_SG_SG_EEES9_SI_JZNS1_25segmented_radix_sort_implINS0_14default_configELb0EPKlPlSQ_SR_N2at6native12_GLOBAL__N_18offset_tEEE10hipError_tPvRmT1_PNSt15iterator_traitsISZ_E10value_typeET2_T3_PNS10_IS15_E10value_typeET4_jRbjT5_S1B_jjP12ihipStream_tbEUljE_ZNSN_ISO_Lb0ESQ_SR_SQ_SR_SV_EESW_SX_SY_SZ_S13_S14_S15_S18_S19_jS1A_jS1B_S1B_jjS1D_bEUljE0_EEESW_SX_SY_S15_S19_S1B_T6_T7_T9_mT8_S1D_bDpT10_ENKUlT_T0_E_clISt17integral_constantIbLb1EES1R_EEDaS1M_S1N_EUlS1M_E_NS1_11comp_targetILNS1_3genE5ELNS1_11target_archE942ELNS1_3gpuE9ELNS1_3repE0EEENS1_30default_config_static_selectorELNS0_4arch9wavefront6targetE0EEEvSZ_,comdat
.Lfunc_end748:
	.size	_ZN7rocprim17ROCPRIM_400000_NS6detail17trampoline_kernelINS0_13select_configILj256ELj13ELNS0_17block_load_methodE3ELS4_3ELS4_3ELNS0_20block_scan_algorithmE0ELj4294967295EEENS1_25partition_config_selectorILNS1_17partition_subalgoE4EjNS0_10empty_typeEbEEZZNS1_14partition_implILS8_4ELb0ES6_15HIP_vector_typeIjLj2EENS0_17counting_iteratorIjlEEPS9_SG_NS0_5tupleIJPjSI_NS0_16reverse_iteratorISI_EEEEENSH_IJSG_SG_SG_EEES9_SI_JZNS1_25segmented_radix_sort_implINS0_14default_configELb0EPKlPlSQ_SR_N2at6native12_GLOBAL__N_18offset_tEEE10hipError_tPvRmT1_PNSt15iterator_traitsISZ_E10value_typeET2_T3_PNS10_IS15_E10value_typeET4_jRbjT5_S1B_jjP12ihipStream_tbEUljE_ZNSN_ISO_Lb0ESQ_SR_SQ_SR_SV_EESW_SX_SY_SZ_S13_S14_S15_S18_S19_jS1A_jS1B_S1B_jjS1D_bEUljE0_EEESW_SX_SY_S15_S19_S1B_T6_T7_T9_mT8_S1D_bDpT10_ENKUlT_T0_E_clISt17integral_constantIbLb1EES1R_EEDaS1M_S1N_EUlS1M_E_NS1_11comp_targetILNS1_3genE5ELNS1_11target_archE942ELNS1_3gpuE9ELNS1_3repE0EEENS1_30default_config_static_selectorELNS0_4arch9wavefront6targetE0EEEvSZ_, .Lfunc_end748-_ZN7rocprim17ROCPRIM_400000_NS6detail17trampoline_kernelINS0_13select_configILj256ELj13ELNS0_17block_load_methodE3ELS4_3ELS4_3ELNS0_20block_scan_algorithmE0ELj4294967295EEENS1_25partition_config_selectorILNS1_17partition_subalgoE4EjNS0_10empty_typeEbEEZZNS1_14partition_implILS8_4ELb0ES6_15HIP_vector_typeIjLj2EENS0_17counting_iteratorIjlEEPS9_SG_NS0_5tupleIJPjSI_NS0_16reverse_iteratorISI_EEEEENSH_IJSG_SG_SG_EEES9_SI_JZNS1_25segmented_radix_sort_implINS0_14default_configELb0EPKlPlSQ_SR_N2at6native12_GLOBAL__N_18offset_tEEE10hipError_tPvRmT1_PNSt15iterator_traitsISZ_E10value_typeET2_T3_PNS10_IS15_E10value_typeET4_jRbjT5_S1B_jjP12ihipStream_tbEUljE_ZNSN_ISO_Lb0ESQ_SR_SQ_SR_SV_EESW_SX_SY_SZ_S13_S14_S15_S18_S19_jS1A_jS1B_S1B_jjS1D_bEUljE0_EEESW_SX_SY_S15_S19_S1B_T6_T7_T9_mT8_S1D_bDpT10_ENKUlT_T0_E_clISt17integral_constantIbLb1EES1R_EEDaS1M_S1N_EUlS1M_E_NS1_11comp_targetILNS1_3genE5ELNS1_11target_archE942ELNS1_3gpuE9ELNS1_3repE0EEENS1_30default_config_static_selectorELNS0_4arch9wavefront6targetE0EEEvSZ_
                                        ; -- End function
	.set _ZN7rocprim17ROCPRIM_400000_NS6detail17trampoline_kernelINS0_13select_configILj256ELj13ELNS0_17block_load_methodE3ELS4_3ELS4_3ELNS0_20block_scan_algorithmE0ELj4294967295EEENS1_25partition_config_selectorILNS1_17partition_subalgoE4EjNS0_10empty_typeEbEEZZNS1_14partition_implILS8_4ELb0ES6_15HIP_vector_typeIjLj2EENS0_17counting_iteratorIjlEEPS9_SG_NS0_5tupleIJPjSI_NS0_16reverse_iteratorISI_EEEEENSH_IJSG_SG_SG_EEES9_SI_JZNS1_25segmented_radix_sort_implINS0_14default_configELb0EPKlPlSQ_SR_N2at6native12_GLOBAL__N_18offset_tEEE10hipError_tPvRmT1_PNSt15iterator_traitsISZ_E10value_typeET2_T3_PNS10_IS15_E10value_typeET4_jRbjT5_S1B_jjP12ihipStream_tbEUljE_ZNSN_ISO_Lb0ESQ_SR_SQ_SR_SV_EESW_SX_SY_SZ_S13_S14_S15_S18_S19_jS1A_jS1B_S1B_jjS1D_bEUljE0_EEESW_SX_SY_S15_S19_S1B_T6_T7_T9_mT8_S1D_bDpT10_ENKUlT_T0_E_clISt17integral_constantIbLb1EES1R_EEDaS1M_S1N_EUlS1M_E_NS1_11comp_targetILNS1_3genE5ELNS1_11target_archE942ELNS1_3gpuE9ELNS1_3repE0EEENS1_30default_config_static_selectorELNS0_4arch9wavefront6targetE0EEEvSZ_.num_vgpr, 0
	.set _ZN7rocprim17ROCPRIM_400000_NS6detail17trampoline_kernelINS0_13select_configILj256ELj13ELNS0_17block_load_methodE3ELS4_3ELS4_3ELNS0_20block_scan_algorithmE0ELj4294967295EEENS1_25partition_config_selectorILNS1_17partition_subalgoE4EjNS0_10empty_typeEbEEZZNS1_14partition_implILS8_4ELb0ES6_15HIP_vector_typeIjLj2EENS0_17counting_iteratorIjlEEPS9_SG_NS0_5tupleIJPjSI_NS0_16reverse_iteratorISI_EEEEENSH_IJSG_SG_SG_EEES9_SI_JZNS1_25segmented_radix_sort_implINS0_14default_configELb0EPKlPlSQ_SR_N2at6native12_GLOBAL__N_18offset_tEEE10hipError_tPvRmT1_PNSt15iterator_traitsISZ_E10value_typeET2_T3_PNS10_IS15_E10value_typeET4_jRbjT5_S1B_jjP12ihipStream_tbEUljE_ZNSN_ISO_Lb0ESQ_SR_SQ_SR_SV_EESW_SX_SY_SZ_S13_S14_S15_S18_S19_jS1A_jS1B_S1B_jjS1D_bEUljE0_EEESW_SX_SY_S15_S19_S1B_T6_T7_T9_mT8_S1D_bDpT10_ENKUlT_T0_E_clISt17integral_constantIbLb1EES1R_EEDaS1M_S1N_EUlS1M_E_NS1_11comp_targetILNS1_3genE5ELNS1_11target_archE942ELNS1_3gpuE9ELNS1_3repE0EEENS1_30default_config_static_selectorELNS0_4arch9wavefront6targetE0EEEvSZ_.num_agpr, 0
	.set _ZN7rocprim17ROCPRIM_400000_NS6detail17trampoline_kernelINS0_13select_configILj256ELj13ELNS0_17block_load_methodE3ELS4_3ELS4_3ELNS0_20block_scan_algorithmE0ELj4294967295EEENS1_25partition_config_selectorILNS1_17partition_subalgoE4EjNS0_10empty_typeEbEEZZNS1_14partition_implILS8_4ELb0ES6_15HIP_vector_typeIjLj2EENS0_17counting_iteratorIjlEEPS9_SG_NS0_5tupleIJPjSI_NS0_16reverse_iteratorISI_EEEEENSH_IJSG_SG_SG_EEES9_SI_JZNS1_25segmented_radix_sort_implINS0_14default_configELb0EPKlPlSQ_SR_N2at6native12_GLOBAL__N_18offset_tEEE10hipError_tPvRmT1_PNSt15iterator_traitsISZ_E10value_typeET2_T3_PNS10_IS15_E10value_typeET4_jRbjT5_S1B_jjP12ihipStream_tbEUljE_ZNSN_ISO_Lb0ESQ_SR_SQ_SR_SV_EESW_SX_SY_SZ_S13_S14_S15_S18_S19_jS1A_jS1B_S1B_jjS1D_bEUljE0_EEESW_SX_SY_S15_S19_S1B_T6_T7_T9_mT8_S1D_bDpT10_ENKUlT_T0_E_clISt17integral_constantIbLb1EES1R_EEDaS1M_S1N_EUlS1M_E_NS1_11comp_targetILNS1_3genE5ELNS1_11target_archE942ELNS1_3gpuE9ELNS1_3repE0EEENS1_30default_config_static_selectorELNS0_4arch9wavefront6targetE0EEEvSZ_.numbered_sgpr, 0
	.set _ZN7rocprim17ROCPRIM_400000_NS6detail17trampoline_kernelINS0_13select_configILj256ELj13ELNS0_17block_load_methodE3ELS4_3ELS4_3ELNS0_20block_scan_algorithmE0ELj4294967295EEENS1_25partition_config_selectorILNS1_17partition_subalgoE4EjNS0_10empty_typeEbEEZZNS1_14partition_implILS8_4ELb0ES6_15HIP_vector_typeIjLj2EENS0_17counting_iteratorIjlEEPS9_SG_NS0_5tupleIJPjSI_NS0_16reverse_iteratorISI_EEEEENSH_IJSG_SG_SG_EEES9_SI_JZNS1_25segmented_radix_sort_implINS0_14default_configELb0EPKlPlSQ_SR_N2at6native12_GLOBAL__N_18offset_tEEE10hipError_tPvRmT1_PNSt15iterator_traitsISZ_E10value_typeET2_T3_PNS10_IS15_E10value_typeET4_jRbjT5_S1B_jjP12ihipStream_tbEUljE_ZNSN_ISO_Lb0ESQ_SR_SQ_SR_SV_EESW_SX_SY_SZ_S13_S14_S15_S18_S19_jS1A_jS1B_S1B_jjS1D_bEUljE0_EEESW_SX_SY_S15_S19_S1B_T6_T7_T9_mT8_S1D_bDpT10_ENKUlT_T0_E_clISt17integral_constantIbLb1EES1R_EEDaS1M_S1N_EUlS1M_E_NS1_11comp_targetILNS1_3genE5ELNS1_11target_archE942ELNS1_3gpuE9ELNS1_3repE0EEENS1_30default_config_static_selectorELNS0_4arch9wavefront6targetE0EEEvSZ_.num_named_barrier, 0
	.set _ZN7rocprim17ROCPRIM_400000_NS6detail17trampoline_kernelINS0_13select_configILj256ELj13ELNS0_17block_load_methodE3ELS4_3ELS4_3ELNS0_20block_scan_algorithmE0ELj4294967295EEENS1_25partition_config_selectorILNS1_17partition_subalgoE4EjNS0_10empty_typeEbEEZZNS1_14partition_implILS8_4ELb0ES6_15HIP_vector_typeIjLj2EENS0_17counting_iteratorIjlEEPS9_SG_NS0_5tupleIJPjSI_NS0_16reverse_iteratorISI_EEEEENSH_IJSG_SG_SG_EEES9_SI_JZNS1_25segmented_radix_sort_implINS0_14default_configELb0EPKlPlSQ_SR_N2at6native12_GLOBAL__N_18offset_tEEE10hipError_tPvRmT1_PNSt15iterator_traitsISZ_E10value_typeET2_T3_PNS10_IS15_E10value_typeET4_jRbjT5_S1B_jjP12ihipStream_tbEUljE_ZNSN_ISO_Lb0ESQ_SR_SQ_SR_SV_EESW_SX_SY_SZ_S13_S14_S15_S18_S19_jS1A_jS1B_S1B_jjS1D_bEUljE0_EEESW_SX_SY_S15_S19_S1B_T6_T7_T9_mT8_S1D_bDpT10_ENKUlT_T0_E_clISt17integral_constantIbLb1EES1R_EEDaS1M_S1N_EUlS1M_E_NS1_11comp_targetILNS1_3genE5ELNS1_11target_archE942ELNS1_3gpuE9ELNS1_3repE0EEENS1_30default_config_static_selectorELNS0_4arch9wavefront6targetE0EEEvSZ_.private_seg_size, 0
	.set _ZN7rocprim17ROCPRIM_400000_NS6detail17trampoline_kernelINS0_13select_configILj256ELj13ELNS0_17block_load_methodE3ELS4_3ELS4_3ELNS0_20block_scan_algorithmE0ELj4294967295EEENS1_25partition_config_selectorILNS1_17partition_subalgoE4EjNS0_10empty_typeEbEEZZNS1_14partition_implILS8_4ELb0ES6_15HIP_vector_typeIjLj2EENS0_17counting_iteratorIjlEEPS9_SG_NS0_5tupleIJPjSI_NS0_16reverse_iteratorISI_EEEEENSH_IJSG_SG_SG_EEES9_SI_JZNS1_25segmented_radix_sort_implINS0_14default_configELb0EPKlPlSQ_SR_N2at6native12_GLOBAL__N_18offset_tEEE10hipError_tPvRmT1_PNSt15iterator_traitsISZ_E10value_typeET2_T3_PNS10_IS15_E10value_typeET4_jRbjT5_S1B_jjP12ihipStream_tbEUljE_ZNSN_ISO_Lb0ESQ_SR_SQ_SR_SV_EESW_SX_SY_SZ_S13_S14_S15_S18_S19_jS1A_jS1B_S1B_jjS1D_bEUljE0_EEESW_SX_SY_S15_S19_S1B_T6_T7_T9_mT8_S1D_bDpT10_ENKUlT_T0_E_clISt17integral_constantIbLb1EES1R_EEDaS1M_S1N_EUlS1M_E_NS1_11comp_targetILNS1_3genE5ELNS1_11target_archE942ELNS1_3gpuE9ELNS1_3repE0EEENS1_30default_config_static_selectorELNS0_4arch9wavefront6targetE0EEEvSZ_.uses_vcc, 0
	.set _ZN7rocprim17ROCPRIM_400000_NS6detail17trampoline_kernelINS0_13select_configILj256ELj13ELNS0_17block_load_methodE3ELS4_3ELS4_3ELNS0_20block_scan_algorithmE0ELj4294967295EEENS1_25partition_config_selectorILNS1_17partition_subalgoE4EjNS0_10empty_typeEbEEZZNS1_14partition_implILS8_4ELb0ES6_15HIP_vector_typeIjLj2EENS0_17counting_iteratorIjlEEPS9_SG_NS0_5tupleIJPjSI_NS0_16reverse_iteratorISI_EEEEENSH_IJSG_SG_SG_EEES9_SI_JZNS1_25segmented_radix_sort_implINS0_14default_configELb0EPKlPlSQ_SR_N2at6native12_GLOBAL__N_18offset_tEEE10hipError_tPvRmT1_PNSt15iterator_traitsISZ_E10value_typeET2_T3_PNS10_IS15_E10value_typeET4_jRbjT5_S1B_jjP12ihipStream_tbEUljE_ZNSN_ISO_Lb0ESQ_SR_SQ_SR_SV_EESW_SX_SY_SZ_S13_S14_S15_S18_S19_jS1A_jS1B_S1B_jjS1D_bEUljE0_EEESW_SX_SY_S15_S19_S1B_T6_T7_T9_mT8_S1D_bDpT10_ENKUlT_T0_E_clISt17integral_constantIbLb1EES1R_EEDaS1M_S1N_EUlS1M_E_NS1_11comp_targetILNS1_3genE5ELNS1_11target_archE942ELNS1_3gpuE9ELNS1_3repE0EEENS1_30default_config_static_selectorELNS0_4arch9wavefront6targetE0EEEvSZ_.uses_flat_scratch, 0
	.set _ZN7rocprim17ROCPRIM_400000_NS6detail17trampoline_kernelINS0_13select_configILj256ELj13ELNS0_17block_load_methodE3ELS4_3ELS4_3ELNS0_20block_scan_algorithmE0ELj4294967295EEENS1_25partition_config_selectorILNS1_17partition_subalgoE4EjNS0_10empty_typeEbEEZZNS1_14partition_implILS8_4ELb0ES6_15HIP_vector_typeIjLj2EENS0_17counting_iteratorIjlEEPS9_SG_NS0_5tupleIJPjSI_NS0_16reverse_iteratorISI_EEEEENSH_IJSG_SG_SG_EEES9_SI_JZNS1_25segmented_radix_sort_implINS0_14default_configELb0EPKlPlSQ_SR_N2at6native12_GLOBAL__N_18offset_tEEE10hipError_tPvRmT1_PNSt15iterator_traitsISZ_E10value_typeET2_T3_PNS10_IS15_E10value_typeET4_jRbjT5_S1B_jjP12ihipStream_tbEUljE_ZNSN_ISO_Lb0ESQ_SR_SQ_SR_SV_EESW_SX_SY_SZ_S13_S14_S15_S18_S19_jS1A_jS1B_S1B_jjS1D_bEUljE0_EEESW_SX_SY_S15_S19_S1B_T6_T7_T9_mT8_S1D_bDpT10_ENKUlT_T0_E_clISt17integral_constantIbLb1EES1R_EEDaS1M_S1N_EUlS1M_E_NS1_11comp_targetILNS1_3genE5ELNS1_11target_archE942ELNS1_3gpuE9ELNS1_3repE0EEENS1_30default_config_static_selectorELNS0_4arch9wavefront6targetE0EEEvSZ_.has_dyn_sized_stack, 0
	.set _ZN7rocprim17ROCPRIM_400000_NS6detail17trampoline_kernelINS0_13select_configILj256ELj13ELNS0_17block_load_methodE3ELS4_3ELS4_3ELNS0_20block_scan_algorithmE0ELj4294967295EEENS1_25partition_config_selectorILNS1_17partition_subalgoE4EjNS0_10empty_typeEbEEZZNS1_14partition_implILS8_4ELb0ES6_15HIP_vector_typeIjLj2EENS0_17counting_iteratorIjlEEPS9_SG_NS0_5tupleIJPjSI_NS0_16reverse_iteratorISI_EEEEENSH_IJSG_SG_SG_EEES9_SI_JZNS1_25segmented_radix_sort_implINS0_14default_configELb0EPKlPlSQ_SR_N2at6native12_GLOBAL__N_18offset_tEEE10hipError_tPvRmT1_PNSt15iterator_traitsISZ_E10value_typeET2_T3_PNS10_IS15_E10value_typeET4_jRbjT5_S1B_jjP12ihipStream_tbEUljE_ZNSN_ISO_Lb0ESQ_SR_SQ_SR_SV_EESW_SX_SY_SZ_S13_S14_S15_S18_S19_jS1A_jS1B_S1B_jjS1D_bEUljE0_EEESW_SX_SY_S15_S19_S1B_T6_T7_T9_mT8_S1D_bDpT10_ENKUlT_T0_E_clISt17integral_constantIbLb1EES1R_EEDaS1M_S1N_EUlS1M_E_NS1_11comp_targetILNS1_3genE5ELNS1_11target_archE942ELNS1_3gpuE9ELNS1_3repE0EEENS1_30default_config_static_selectorELNS0_4arch9wavefront6targetE0EEEvSZ_.has_recursion, 0
	.set _ZN7rocprim17ROCPRIM_400000_NS6detail17trampoline_kernelINS0_13select_configILj256ELj13ELNS0_17block_load_methodE3ELS4_3ELS4_3ELNS0_20block_scan_algorithmE0ELj4294967295EEENS1_25partition_config_selectorILNS1_17partition_subalgoE4EjNS0_10empty_typeEbEEZZNS1_14partition_implILS8_4ELb0ES6_15HIP_vector_typeIjLj2EENS0_17counting_iteratorIjlEEPS9_SG_NS0_5tupleIJPjSI_NS0_16reverse_iteratorISI_EEEEENSH_IJSG_SG_SG_EEES9_SI_JZNS1_25segmented_radix_sort_implINS0_14default_configELb0EPKlPlSQ_SR_N2at6native12_GLOBAL__N_18offset_tEEE10hipError_tPvRmT1_PNSt15iterator_traitsISZ_E10value_typeET2_T3_PNS10_IS15_E10value_typeET4_jRbjT5_S1B_jjP12ihipStream_tbEUljE_ZNSN_ISO_Lb0ESQ_SR_SQ_SR_SV_EESW_SX_SY_SZ_S13_S14_S15_S18_S19_jS1A_jS1B_S1B_jjS1D_bEUljE0_EEESW_SX_SY_S15_S19_S1B_T6_T7_T9_mT8_S1D_bDpT10_ENKUlT_T0_E_clISt17integral_constantIbLb1EES1R_EEDaS1M_S1N_EUlS1M_E_NS1_11comp_targetILNS1_3genE5ELNS1_11target_archE942ELNS1_3gpuE9ELNS1_3repE0EEENS1_30default_config_static_selectorELNS0_4arch9wavefront6targetE0EEEvSZ_.has_indirect_call, 0
	.section	.AMDGPU.csdata,"",@progbits
; Kernel info:
; codeLenInByte = 0
; TotalNumSgprs: 0
; NumVgprs: 0
; ScratchSize: 0
; MemoryBound: 0
; FloatMode: 240
; IeeeMode: 1
; LDSByteSize: 0 bytes/workgroup (compile time only)
; SGPRBlocks: 0
; VGPRBlocks: 0
; NumSGPRsForWavesPerEU: 1
; NumVGPRsForWavesPerEU: 1
; NamedBarCnt: 0
; Occupancy: 16
; WaveLimiterHint : 0
; COMPUTE_PGM_RSRC2:SCRATCH_EN: 0
; COMPUTE_PGM_RSRC2:USER_SGPR: 2
; COMPUTE_PGM_RSRC2:TRAP_HANDLER: 0
; COMPUTE_PGM_RSRC2:TGID_X_EN: 1
; COMPUTE_PGM_RSRC2:TGID_Y_EN: 0
; COMPUTE_PGM_RSRC2:TGID_Z_EN: 0
; COMPUTE_PGM_RSRC2:TIDIG_COMP_CNT: 0
	.section	.text._ZN7rocprim17ROCPRIM_400000_NS6detail17trampoline_kernelINS0_13select_configILj256ELj13ELNS0_17block_load_methodE3ELS4_3ELS4_3ELNS0_20block_scan_algorithmE0ELj4294967295EEENS1_25partition_config_selectorILNS1_17partition_subalgoE4EjNS0_10empty_typeEbEEZZNS1_14partition_implILS8_4ELb0ES6_15HIP_vector_typeIjLj2EENS0_17counting_iteratorIjlEEPS9_SG_NS0_5tupleIJPjSI_NS0_16reverse_iteratorISI_EEEEENSH_IJSG_SG_SG_EEES9_SI_JZNS1_25segmented_radix_sort_implINS0_14default_configELb0EPKlPlSQ_SR_N2at6native12_GLOBAL__N_18offset_tEEE10hipError_tPvRmT1_PNSt15iterator_traitsISZ_E10value_typeET2_T3_PNS10_IS15_E10value_typeET4_jRbjT5_S1B_jjP12ihipStream_tbEUljE_ZNSN_ISO_Lb0ESQ_SR_SQ_SR_SV_EESW_SX_SY_SZ_S13_S14_S15_S18_S19_jS1A_jS1B_S1B_jjS1D_bEUljE0_EEESW_SX_SY_S15_S19_S1B_T6_T7_T9_mT8_S1D_bDpT10_ENKUlT_T0_E_clISt17integral_constantIbLb1EES1R_EEDaS1M_S1N_EUlS1M_E_NS1_11comp_targetILNS1_3genE4ELNS1_11target_archE910ELNS1_3gpuE8ELNS1_3repE0EEENS1_30default_config_static_selectorELNS0_4arch9wavefront6targetE0EEEvSZ_,"axG",@progbits,_ZN7rocprim17ROCPRIM_400000_NS6detail17trampoline_kernelINS0_13select_configILj256ELj13ELNS0_17block_load_methodE3ELS4_3ELS4_3ELNS0_20block_scan_algorithmE0ELj4294967295EEENS1_25partition_config_selectorILNS1_17partition_subalgoE4EjNS0_10empty_typeEbEEZZNS1_14partition_implILS8_4ELb0ES6_15HIP_vector_typeIjLj2EENS0_17counting_iteratorIjlEEPS9_SG_NS0_5tupleIJPjSI_NS0_16reverse_iteratorISI_EEEEENSH_IJSG_SG_SG_EEES9_SI_JZNS1_25segmented_radix_sort_implINS0_14default_configELb0EPKlPlSQ_SR_N2at6native12_GLOBAL__N_18offset_tEEE10hipError_tPvRmT1_PNSt15iterator_traitsISZ_E10value_typeET2_T3_PNS10_IS15_E10value_typeET4_jRbjT5_S1B_jjP12ihipStream_tbEUljE_ZNSN_ISO_Lb0ESQ_SR_SQ_SR_SV_EESW_SX_SY_SZ_S13_S14_S15_S18_S19_jS1A_jS1B_S1B_jjS1D_bEUljE0_EEESW_SX_SY_S15_S19_S1B_T6_T7_T9_mT8_S1D_bDpT10_ENKUlT_T0_E_clISt17integral_constantIbLb1EES1R_EEDaS1M_S1N_EUlS1M_E_NS1_11comp_targetILNS1_3genE4ELNS1_11target_archE910ELNS1_3gpuE8ELNS1_3repE0EEENS1_30default_config_static_selectorELNS0_4arch9wavefront6targetE0EEEvSZ_,comdat
	.globl	_ZN7rocprim17ROCPRIM_400000_NS6detail17trampoline_kernelINS0_13select_configILj256ELj13ELNS0_17block_load_methodE3ELS4_3ELS4_3ELNS0_20block_scan_algorithmE0ELj4294967295EEENS1_25partition_config_selectorILNS1_17partition_subalgoE4EjNS0_10empty_typeEbEEZZNS1_14partition_implILS8_4ELb0ES6_15HIP_vector_typeIjLj2EENS0_17counting_iteratorIjlEEPS9_SG_NS0_5tupleIJPjSI_NS0_16reverse_iteratorISI_EEEEENSH_IJSG_SG_SG_EEES9_SI_JZNS1_25segmented_radix_sort_implINS0_14default_configELb0EPKlPlSQ_SR_N2at6native12_GLOBAL__N_18offset_tEEE10hipError_tPvRmT1_PNSt15iterator_traitsISZ_E10value_typeET2_T3_PNS10_IS15_E10value_typeET4_jRbjT5_S1B_jjP12ihipStream_tbEUljE_ZNSN_ISO_Lb0ESQ_SR_SQ_SR_SV_EESW_SX_SY_SZ_S13_S14_S15_S18_S19_jS1A_jS1B_S1B_jjS1D_bEUljE0_EEESW_SX_SY_S15_S19_S1B_T6_T7_T9_mT8_S1D_bDpT10_ENKUlT_T0_E_clISt17integral_constantIbLb1EES1R_EEDaS1M_S1N_EUlS1M_E_NS1_11comp_targetILNS1_3genE4ELNS1_11target_archE910ELNS1_3gpuE8ELNS1_3repE0EEENS1_30default_config_static_selectorELNS0_4arch9wavefront6targetE0EEEvSZ_ ; -- Begin function _ZN7rocprim17ROCPRIM_400000_NS6detail17trampoline_kernelINS0_13select_configILj256ELj13ELNS0_17block_load_methodE3ELS4_3ELS4_3ELNS0_20block_scan_algorithmE0ELj4294967295EEENS1_25partition_config_selectorILNS1_17partition_subalgoE4EjNS0_10empty_typeEbEEZZNS1_14partition_implILS8_4ELb0ES6_15HIP_vector_typeIjLj2EENS0_17counting_iteratorIjlEEPS9_SG_NS0_5tupleIJPjSI_NS0_16reverse_iteratorISI_EEEEENSH_IJSG_SG_SG_EEES9_SI_JZNS1_25segmented_radix_sort_implINS0_14default_configELb0EPKlPlSQ_SR_N2at6native12_GLOBAL__N_18offset_tEEE10hipError_tPvRmT1_PNSt15iterator_traitsISZ_E10value_typeET2_T3_PNS10_IS15_E10value_typeET4_jRbjT5_S1B_jjP12ihipStream_tbEUljE_ZNSN_ISO_Lb0ESQ_SR_SQ_SR_SV_EESW_SX_SY_SZ_S13_S14_S15_S18_S19_jS1A_jS1B_S1B_jjS1D_bEUljE0_EEESW_SX_SY_S15_S19_S1B_T6_T7_T9_mT8_S1D_bDpT10_ENKUlT_T0_E_clISt17integral_constantIbLb1EES1R_EEDaS1M_S1N_EUlS1M_E_NS1_11comp_targetILNS1_3genE4ELNS1_11target_archE910ELNS1_3gpuE8ELNS1_3repE0EEENS1_30default_config_static_selectorELNS0_4arch9wavefront6targetE0EEEvSZ_
	.p2align	8
	.type	_ZN7rocprim17ROCPRIM_400000_NS6detail17trampoline_kernelINS0_13select_configILj256ELj13ELNS0_17block_load_methodE3ELS4_3ELS4_3ELNS0_20block_scan_algorithmE0ELj4294967295EEENS1_25partition_config_selectorILNS1_17partition_subalgoE4EjNS0_10empty_typeEbEEZZNS1_14partition_implILS8_4ELb0ES6_15HIP_vector_typeIjLj2EENS0_17counting_iteratorIjlEEPS9_SG_NS0_5tupleIJPjSI_NS0_16reverse_iteratorISI_EEEEENSH_IJSG_SG_SG_EEES9_SI_JZNS1_25segmented_radix_sort_implINS0_14default_configELb0EPKlPlSQ_SR_N2at6native12_GLOBAL__N_18offset_tEEE10hipError_tPvRmT1_PNSt15iterator_traitsISZ_E10value_typeET2_T3_PNS10_IS15_E10value_typeET4_jRbjT5_S1B_jjP12ihipStream_tbEUljE_ZNSN_ISO_Lb0ESQ_SR_SQ_SR_SV_EESW_SX_SY_SZ_S13_S14_S15_S18_S19_jS1A_jS1B_S1B_jjS1D_bEUljE0_EEESW_SX_SY_S15_S19_S1B_T6_T7_T9_mT8_S1D_bDpT10_ENKUlT_T0_E_clISt17integral_constantIbLb1EES1R_EEDaS1M_S1N_EUlS1M_E_NS1_11comp_targetILNS1_3genE4ELNS1_11target_archE910ELNS1_3gpuE8ELNS1_3repE0EEENS1_30default_config_static_selectorELNS0_4arch9wavefront6targetE0EEEvSZ_,@function
_ZN7rocprim17ROCPRIM_400000_NS6detail17trampoline_kernelINS0_13select_configILj256ELj13ELNS0_17block_load_methodE3ELS4_3ELS4_3ELNS0_20block_scan_algorithmE0ELj4294967295EEENS1_25partition_config_selectorILNS1_17partition_subalgoE4EjNS0_10empty_typeEbEEZZNS1_14partition_implILS8_4ELb0ES6_15HIP_vector_typeIjLj2EENS0_17counting_iteratorIjlEEPS9_SG_NS0_5tupleIJPjSI_NS0_16reverse_iteratorISI_EEEEENSH_IJSG_SG_SG_EEES9_SI_JZNS1_25segmented_radix_sort_implINS0_14default_configELb0EPKlPlSQ_SR_N2at6native12_GLOBAL__N_18offset_tEEE10hipError_tPvRmT1_PNSt15iterator_traitsISZ_E10value_typeET2_T3_PNS10_IS15_E10value_typeET4_jRbjT5_S1B_jjP12ihipStream_tbEUljE_ZNSN_ISO_Lb0ESQ_SR_SQ_SR_SV_EESW_SX_SY_SZ_S13_S14_S15_S18_S19_jS1A_jS1B_S1B_jjS1D_bEUljE0_EEESW_SX_SY_S15_S19_S1B_T6_T7_T9_mT8_S1D_bDpT10_ENKUlT_T0_E_clISt17integral_constantIbLb1EES1R_EEDaS1M_S1N_EUlS1M_E_NS1_11comp_targetILNS1_3genE4ELNS1_11target_archE910ELNS1_3gpuE8ELNS1_3repE0EEENS1_30default_config_static_selectorELNS0_4arch9wavefront6targetE0EEEvSZ_: ; @_ZN7rocprim17ROCPRIM_400000_NS6detail17trampoline_kernelINS0_13select_configILj256ELj13ELNS0_17block_load_methodE3ELS4_3ELS4_3ELNS0_20block_scan_algorithmE0ELj4294967295EEENS1_25partition_config_selectorILNS1_17partition_subalgoE4EjNS0_10empty_typeEbEEZZNS1_14partition_implILS8_4ELb0ES6_15HIP_vector_typeIjLj2EENS0_17counting_iteratorIjlEEPS9_SG_NS0_5tupleIJPjSI_NS0_16reverse_iteratorISI_EEEEENSH_IJSG_SG_SG_EEES9_SI_JZNS1_25segmented_radix_sort_implINS0_14default_configELb0EPKlPlSQ_SR_N2at6native12_GLOBAL__N_18offset_tEEE10hipError_tPvRmT1_PNSt15iterator_traitsISZ_E10value_typeET2_T3_PNS10_IS15_E10value_typeET4_jRbjT5_S1B_jjP12ihipStream_tbEUljE_ZNSN_ISO_Lb0ESQ_SR_SQ_SR_SV_EESW_SX_SY_SZ_S13_S14_S15_S18_S19_jS1A_jS1B_S1B_jjS1D_bEUljE0_EEESW_SX_SY_S15_S19_S1B_T6_T7_T9_mT8_S1D_bDpT10_ENKUlT_T0_E_clISt17integral_constantIbLb1EES1R_EEDaS1M_S1N_EUlS1M_E_NS1_11comp_targetILNS1_3genE4ELNS1_11target_archE910ELNS1_3gpuE8ELNS1_3repE0EEENS1_30default_config_static_selectorELNS0_4arch9wavefront6targetE0EEEvSZ_
; %bb.0:
	.section	.rodata,"a",@progbits
	.p2align	6, 0x0
	.amdhsa_kernel _ZN7rocprim17ROCPRIM_400000_NS6detail17trampoline_kernelINS0_13select_configILj256ELj13ELNS0_17block_load_methodE3ELS4_3ELS4_3ELNS0_20block_scan_algorithmE0ELj4294967295EEENS1_25partition_config_selectorILNS1_17partition_subalgoE4EjNS0_10empty_typeEbEEZZNS1_14partition_implILS8_4ELb0ES6_15HIP_vector_typeIjLj2EENS0_17counting_iteratorIjlEEPS9_SG_NS0_5tupleIJPjSI_NS0_16reverse_iteratorISI_EEEEENSH_IJSG_SG_SG_EEES9_SI_JZNS1_25segmented_radix_sort_implINS0_14default_configELb0EPKlPlSQ_SR_N2at6native12_GLOBAL__N_18offset_tEEE10hipError_tPvRmT1_PNSt15iterator_traitsISZ_E10value_typeET2_T3_PNS10_IS15_E10value_typeET4_jRbjT5_S1B_jjP12ihipStream_tbEUljE_ZNSN_ISO_Lb0ESQ_SR_SQ_SR_SV_EESW_SX_SY_SZ_S13_S14_S15_S18_S19_jS1A_jS1B_S1B_jjS1D_bEUljE0_EEESW_SX_SY_S15_S19_S1B_T6_T7_T9_mT8_S1D_bDpT10_ENKUlT_T0_E_clISt17integral_constantIbLb1EES1R_EEDaS1M_S1N_EUlS1M_E_NS1_11comp_targetILNS1_3genE4ELNS1_11target_archE910ELNS1_3gpuE8ELNS1_3repE0EEENS1_30default_config_static_selectorELNS0_4arch9wavefront6targetE0EEEvSZ_
		.amdhsa_group_segment_fixed_size 0
		.amdhsa_private_segment_fixed_size 0
		.amdhsa_kernarg_size 184
		.amdhsa_user_sgpr_count 2
		.amdhsa_user_sgpr_dispatch_ptr 0
		.amdhsa_user_sgpr_queue_ptr 0
		.amdhsa_user_sgpr_kernarg_segment_ptr 1
		.amdhsa_user_sgpr_dispatch_id 0
		.amdhsa_user_sgpr_kernarg_preload_length 0
		.amdhsa_user_sgpr_kernarg_preload_offset 0
		.amdhsa_user_sgpr_private_segment_size 0
		.amdhsa_wavefront_size32 1
		.amdhsa_uses_dynamic_stack 0
		.amdhsa_enable_private_segment 0
		.amdhsa_system_sgpr_workgroup_id_x 1
		.amdhsa_system_sgpr_workgroup_id_y 0
		.amdhsa_system_sgpr_workgroup_id_z 0
		.amdhsa_system_sgpr_workgroup_info 0
		.amdhsa_system_vgpr_workitem_id 0
		.amdhsa_next_free_vgpr 1
		.amdhsa_next_free_sgpr 1
		.amdhsa_named_barrier_count 0
		.amdhsa_reserve_vcc 0
		.amdhsa_float_round_mode_32 0
		.amdhsa_float_round_mode_16_64 0
		.amdhsa_float_denorm_mode_32 3
		.amdhsa_float_denorm_mode_16_64 3
		.amdhsa_fp16_overflow 0
		.amdhsa_memory_ordered 1
		.amdhsa_forward_progress 1
		.amdhsa_inst_pref_size 0
		.amdhsa_round_robin_scheduling 0
		.amdhsa_exception_fp_ieee_invalid_op 0
		.amdhsa_exception_fp_denorm_src 0
		.amdhsa_exception_fp_ieee_div_zero 0
		.amdhsa_exception_fp_ieee_overflow 0
		.amdhsa_exception_fp_ieee_underflow 0
		.amdhsa_exception_fp_ieee_inexact 0
		.amdhsa_exception_int_div_zero 0
	.end_amdhsa_kernel
	.section	.text._ZN7rocprim17ROCPRIM_400000_NS6detail17trampoline_kernelINS0_13select_configILj256ELj13ELNS0_17block_load_methodE3ELS4_3ELS4_3ELNS0_20block_scan_algorithmE0ELj4294967295EEENS1_25partition_config_selectorILNS1_17partition_subalgoE4EjNS0_10empty_typeEbEEZZNS1_14partition_implILS8_4ELb0ES6_15HIP_vector_typeIjLj2EENS0_17counting_iteratorIjlEEPS9_SG_NS0_5tupleIJPjSI_NS0_16reverse_iteratorISI_EEEEENSH_IJSG_SG_SG_EEES9_SI_JZNS1_25segmented_radix_sort_implINS0_14default_configELb0EPKlPlSQ_SR_N2at6native12_GLOBAL__N_18offset_tEEE10hipError_tPvRmT1_PNSt15iterator_traitsISZ_E10value_typeET2_T3_PNS10_IS15_E10value_typeET4_jRbjT5_S1B_jjP12ihipStream_tbEUljE_ZNSN_ISO_Lb0ESQ_SR_SQ_SR_SV_EESW_SX_SY_SZ_S13_S14_S15_S18_S19_jS1A_jS1B_S1B_jjS1D_bEUljE0_EEESW_SX_SY_S15_S19_S1B_T6_T7_T9_mT8_S1D_bDpT10_ENKUlT_T0_E_clISt17integral_constantIbLb1EES1R_EEDaS1M_S1N_EUlS1M_E_NS1_11comp_targetILNS1_3genE4ELNS1_11target_archE910ELNS1_3gpuE8ELNS1_3repE0EEENS1_30default_config_static_selectorELNS0_4arch9wavefront6targetE0EEEvSZ_,"axG",@progbits,_ZN7rocprim17ROCPRIM_400000_NS6detail17trampoline_kernelINS0_13select_configILj256ELj13ELNS0_17block_load_methodE3ELS4_3ELS4_3ELNS0_20block_scan_algorithmE0ELj4294967295EEENS1_25partition_config_selectorILNS1_17partition_subalgoE4EjNS0_10empty_typeEbEEZZNS1_14partition_implILS8_4ELb0ES6_15HIP_vector_typeIjLj2EENS0_17counting_iteratorIjlEEPS9_SG_NS0_5tupleIJPjSI_NS0_16reverse_iteratorISI_EEEEENSH_IJSG_SG_SG_EEES9_SI_JZNS1_25segmented_radix_sort_implINS0_14default_configELb0EPKlPlSQ_SR_N2at6native12_GLOBAL__N_18offset_tEEE10hipError_tPvRmT1_PNSt15iterator_traitsISZ_E10value_typeET2_T3_PNS10_IS15_E10value_typeET4_jRbjT5_S1B_jjP12ihipStream_tbEUljE_ZNSN_ISO_Lb0ESQ_SR_SQ_SR_SV_EESW_SX_SY_SZ_S13_S14_S15_S18_S19_jS1A_jS1B_S1B_jjS1D_bEUljE0_EEESW_SX_SY_S15_S19_S1B_T6_T7_T9_mT8_S1D_bDpT10_ENKUlT_T0_E_clISt17integral_constantIbLb1EES1R_EEDaS1M_S1N_EUlS1M_E_NS1_11comp_targetILNS1_3genE4ELNS1_11target_archE910ELNS1_3gpuE8ELNS1_3repE0EEENS1_30default_config_static_selectorELNS0_4arch9wavefront6targetE0EEEvSZ_,comdat
.Lfunc_end749:
	.size	_ZN7rocprim17ROCPRIM_400000_NS6detail17trampoline_kernelINS0_13select_configILj256ELj13ELNS0_17block_load_methodE3ELS4_3ELS4_3ELNS0_20block_scan_algorithmE0ELj4294967295EEENS1_25partition_config_selectorILNS1_17partition_subalgoE4EjNS0_10empty_typeEbEEZZNS1_14partition_implILS8_4ELb0ES6_15HIP_vector_typeIjLj2EENS0_17counting_iteratorIjlEEPS9_SG_NS0_5tupleIJPjSI_NS0_16reverse_iteratorISI_EEEEENSH_IJSG_SG_SG_EEES9_SI_JZNS1_25segmented_radix_sort_implINS0_14default_configELb0EPKlPlSQ_SR_N2at6native12_GLOBAL__N_18offset_tEEE10hipError_tPvRmT1_PNSt15iterator_traitsISZ_E10value_typeET2_T3_PNS10_IS15_E10value_typeET4_jRbjT5_S1B_jjP12ihipStream_tbEUljE_ZNSN_ISO_Lb0ESQ_SR_SQ_SR_SV_EESW_SX_SY_SZ_S13_S14_S15_S18_S19_jS1A_jS1B_S1B_jjS1D_bEUljE0_EEESW_SX_SY_S15_S19_S1B_T6_T7_T9_mT8_S1D_bDpT10_ENKUlT_T0_E_clISt17integral_constantIbLb1EES1R_EEDaS1M_S1N_EUlS1M_E_NS1_11comp_targetILNS1_3genE4ELNS1_11target_archE910ELNS1_3gpuE8ELNS1_3repE0EEENS1_30default_config_static_selectorELNS0_4arch9wavefront6targetE0EEEvSZ_, .Lfunc_end749-_ZN7rocprim17ROCPRIM_400000_NS6detail17trampoline_kernelINS0_13select_configILj256ELj13ELNS0_17block_load_methodE3ELS4_3ELS4_3ELNS0_20block_scan_algorithmE0ELj4294967295EEENS1_25partition_config_selectorILNS1_17partition_subalgoE4EjNS0_10empty_typeEbEEZZNS1_14partition_implILS8_4ELb0ES6_15HIP_vector_typeIjLj2EENS0_17counting_iteratorIjlEEPS9_SG_NS0_5tupleIJPjSI_NS0_16reverse_iteratorISI_EEEEENSH_IJSG_SG_SG_EEES9_SI_JZNS1_25segmented_radix_sort_implINS0_14default_configELb0EPKlPlSQ_SR_N2at6native12_GLOBAL__N_18offset_tEEE10hipError_tPvRmT1_PNSt15iterator_traitsISZ_E10value_typeET2_T3_PNS10_IS15_E10value_typeET4_jRbjT5_S1B_jjP12ihipStream_tbEUljE_ZNSN_ISO_Lb0ESQ_SR_SQ_SR_SV_EESW_SX_SY_SZ_S13_S14_S15_S18_S19_jS1A_jS1B_S1B_jjS1D_bEUljE0_EEESW_SX_SY_S15_S19_S1B_T6_T7_T9_mT8_S1D_bDpT10_ENKUlT_T0_E_clISt17integral_constantIbLb1EES1R_EEDaS1M_S1N_EUlS1M_E_NS1_11comp_targetILNS1_3genE4ELNS1_11target_archE910ELNS1_3gpuE8ELNS1_3repE0EEENS1_30default_config_static_selectorELNS0_4arch9wavefront6targetE0EEEvSZ_
                                        ; -- End function
	.set _ZN7rocprim17ROCPRIM_400000_NS6detail17trampoline_kernelINS0_13select_configILj256ELj13ELNS0_17block_load_methodE3ELS4_3ELS4_3ELNS0_20block_scan_algorithmE0ELj4294967295EEENS1_25partition_config_selectorILNS1_17partition_subalgoE4EjNS0_10empty_typeEbEEZZNS1_14partition_implILS8_4ELb0ES6_15HIP_vector_typeIjLj2EENS0_17counting_iteratorIjlEEPS9_SG_NS0_5tupleIJPjSI_NS0_16reverse_iteratorISI_EEEEENSH_IJSG_SG_SG_EEES9_SI_JZNS1_25segmented_radix_sort_implINS0_14default_configELb0EPKlPlSQ_SR_N2at6native12_GLOBAL__N_18offset_tEEE10hipError_tPvRmT1_PNSt15iterator_traitsISZ_E10value_typeET2_T3_PNS10_IS15_E10value_typeET4_jRbjT5_S1B_jjP12ihipStream_tbEUljE_ZNSN_ISO_Lb0ESQ_SR_SQ_SR_SV_EESW_SX_SY_SZ_S13_S14_S15_S18_S19_jS1A_jS1B_S1B_jjS1D_bEUljE0_EEESW_SX_SY_S15_S19_S1B_T6_T7_T9_mT8_S1D_bDpT10_ENKUlT_T0_E_clISt17integral_constantIbLb1EES1R_EEDaS1M_S1N_EUlS1M_E_NS1_11comp_targetILNS1_3genE4ELNS1_11target_archE910ELNS1_3gpuE8ELNS1_3repE0EEENS1_30default_config_static_selectorELNS0_4arch9wavefront6targetE0EEEvSZ_.num_vgpr, 0
	.set _ZN7rocprim17ROCPRIM_400000_NS6detail17trampoline_kernelINS0_13select_configILj256ELj13ELNS0_17block_load_methodE3ELS4_3ELS4_3ELNS0_20block_scan_algorithmE0ELj4294967295EEENS1_25partition_config_selectorILNS1_17partition_subalgoE4EjNS0_10empty_typeEbEEZZNS1_14partition_implILS8_4ELb0ES6_15HIP_vector_typeIjLj2EENS0_17counting_iteratorIjlEEPS9_SG_NS0_5tupleIJPjSI_NS0_16reverse_iteratorISI_EEEEENSH_IJSG_SG_SG_EEES9_SI_JZNS1_25segmented_radix_sort_implINS0_14default_configELb0EPKlPlSQ_SR_N2at6native12_GLOBAL__N_18offset_tEEE10hipError_tPvRmT1_PNSt15iterator_traitsISZ_E10value_typeET2_T3_PNS10_IS15_E10value_typeET4_jRbjT5_S1B_jjP12ihipStream_tbEUljE_ZNSN_ISO_Lb0ESQ_SR_SQ_SR_SV_EESW_SX_SY_SZ_S13_S14_S15_S18_S19_jS1A_jS1B_S1B_jjS1D_bEUljE0_EEESW_SX_SY_S15_S19_S1B_T6_T7_T9_mT8_S1D_bDpT10_ENKUlT_T0_E_clISt17integral_constantIbLb1EES1R_EEDaS1M_S1N_EUlS1M_E_NS1_11comp_targetILNS1_3genE4ELNS1_11target_archE910ELNS1_3gpuE8ELNS1_3repE0EEENS1_30default_config_static_selectorELNS0_4arch9wavefront6targetE0EEEvSZ_.num_agpr, 0
	.set _ZN7rocprim17ROCPRIM_400000_NS6detail17trampoline_kernelINS0_13select_configILj256ELj13ELNS0_17block_load_methodE3ELS4_3ELS4_3ELNS0_20block_scan_algorithmE0ELj4294967295EEENS1_25partition_config_selectorILNS1_17partition_subalgoE4EjNS0_10empty_typeEbEEZZNS1_14partition_implILS8_4ELb0ES6_15HIP_vector_typeIjLj2EENS0_17counting_iteratorIjlEEPS9_SG_NS0_5tupleIJPjSI_NS0_16reverse_iteratorISI_EEEEENSH_IJSG_SG_SG_EEES9_SI_JZNS1_25segmented_radix_sort_implINS0_14default_configELb0EPKlPlSQ_SR_N2at6native12_GLOBAL__N_18offset_tEEE10hipError_tPvRmT1_PNSt15iterator_traitsISZ_E10value_typeET2_T3_PNS10_IS15_E10value_typeET4_jRbjT5_S1B_jjP12ihipStream_tbEUljE_ZNSN_ISO_Lb0ESQ_SR_SQ_SR_SV_EESW_SX_SY_SZ_S13_S14_S15_S18_S19_jS1A_jS1B_S1B_jjS1D_bEUljE0_EEESW_SX_SY_S15_S19_S1B_T6_T7_T9_mT8_S1D_bDpT10_ENKUlT_T0_E_clISt17integral_constantIbLb1EES1R_EEDaS1M_S1N_EUlS1M_E_NS1_11comp_targetILNS1_3genE4ELNS1_11target_archE910ELNS1_3gpuE8ELNS1_3repE0EEENS1_30default_config_static_selectorELNS0_4arch9wavefront6targetE0EEEvSZ_.numbered_sgpr, 0
	.set _ZN7rocprim17ROCPRIM_400000_NS6detail17trampoline_kernelINS0_13select_configILj256ELj13ELNS0_17block_load_methodE3ELS4_3ELS4_3ELNS0_20block_scan_algorithmE0ELj4294967295EEENS1_25partition_config_selectorILNS1_17partition_subalgoE4EjNS0_10empty_typeEbEEZZNS1_14partition_implILS8_4ELb0ES6_15HIP_vector_typeIjLj2EENS0_17counting_iteratorIjlEEPS9_SG_NS0_5tupleIJPjSI_NS0_16reverse_iteratorISI_EEEEENSH_IJSG_SG_SG_EEES9_SI_JZNS1_25segmented_radix_sort_implINS0_14default_configELb0EPKlPlSQ_SR_N2at6native12_GLOBAL__N_18offset_tEEE10hipError_tPvRmT1_PNSt15iterator_traitsISZ_E10value_typeET2_T3_PNS10_IS15_E10value_typeET4_jRbjT5_S1B_jjP12ihipStream_tbEUljE_ZNSN_ISO_Lb0ESQ_SR_SQ_SR_SV_EESW_SX_SY_SZ_S13_S14_S15_S18_S19_jS1A_jS1B_S1B_jjS1D_bEUljE0_EEESW_SX_SY_S15_S19_S1B_T6_T7_T9_mT8_S1D_bDpT10_ENKUlT_T0_E_clISt17integral_constantIbLb1EES1R_EEDaS1M_S1N_EUlS1M_E_NS1_11comp_targetILNS1_3genE4ELNS1_11target_archE910ELNS1_3gpuE8ELNS1_3repE0EEENS1_30default_config_static_selectorELNS0_4arch9wavefront6targetE0EEEvSZ_.num_named_barrier, 0
	.set _ZN7rocprim17ROCPRIM_400000_NS6detail17trampoline_kernelINS0_13select_configILj256ELj13ELNS0_17block_load_methodE3ELS4_3ELS4_3ELNS0_20block_scan_algorithmE0ELj4294967295EEENS1_25partition_config_selectorILNS1_17partition_subalgoE4EjNS0_10empty_typeEbEEZZNS1_14partition_implILS8_4ELb0ES6_15HIP_vector_typeIjLj2EENS0_17counting_iteratorIjlEEPS9_SG_NS0_5tupleIJPjSI_NS0_16reverse_iteratorISI_EEEEENSH_IJSG_SG_SG_EEES9_SI_JZNS1_25segmented_radix_sort_implINS0_14default_configELb0EPKlPlSQ_SR_N2at6native12_GLOBAL__N_18offset_tEEE10hipError_tPvRmT1_PNSt15iterator_traitsISZ_E10value_typeET2_T3_PNS10_IS15_E10value_typeET4_jRbjT5_S1B_jjP12ihipStream_tbEUljE_ZNSN_ISO_Lb0ESQ_SR_SQ_SR_SV_EESW_SX_SY_SZ_S13_S14_S15_S18_S19_jS1A_jS1B_S1B_jjS1D_bEUljE0_EEESW_SX_SY_S15_S19_S1B_T6_T7_T9_mT8_S1D_bDpT10_ENKUlT_T0_E_clISt17integral_constantIbLb1EES1R_EEDaS1M_S1N_EUlS1M_E_NS1_11comp_targetILNS1_3genE4ELNS1_11target_archE910ELNS1_3gpuE8ELNS1_3repE0EEENS1_30default_config_static_selectorELNS0_4arch9wavefront6targetE0EEEvSZ_.private_seg_size, 0
	.set _ZN7rocprim17ROCPRIM_400000_NS6detail17trampoline_kernelINS0_13select_configILj256ELj13ELNS0_17block_load_methodE3ELS4_3ELS4_3ELNS0_20block_scan_algorithmE0ELj4294967295EEENS1_25partition_config_selectorILNS1_17partition_subalgoE4EjNS0_10empty_typeEbEEZZNS1_14partition_implILS8_4ELb0ES6_15HIP_vector_typeIjLj2EENS0_17counting_iteratorIjlEEPS9_SG_NS0_5tupleIJPjSI_NS0_16reverse_iteratorISI_EEEEENSH_IJSG_SG_SG_EEES9_SI_JZNS1_25segmented_radix_sort_implINS0_14default_configELb0EPKlPlSQ_SR_N2at6native12_GLOBAL__N_18offset_tEEE10hipError_tPvRmT1_PNSt15iterator_traitsISZ_E10value_typeET2_T3_PNS10_IS15_E10value_typeET4_jRbjT5_S1B_jjP12ihipStream_tbEUljE_ZNSN_ISO_Lb0ESQ_SR_SQ_SR_SV_EESW_SX_SY_SZ_S13_S14_S15_S18_S19_jS1A_jS1B_S1B_jjS1D_bEUljE0_EEESW_SX_SY_S15_S19_S1B_T6_T7_T9_mT8_S1D_bDpT10_ENKUlT_T0_E_clISt17integral_constantIbLb1EES1R_EEDaS1M_S1N_EUlS1M_E_NS1_11comp_targetILNS1_3genE4ELNS1_11target_archE910ELNS1_3gpuE8ELNS1_3repE0EEENS1_30default_config_static_selectorELNS0_4arch9wavefront6targetE0EEEvSZ_.uses_vcc, 0
	.set _ZN7rocprim17ROCPRIM_400000_NS6detail17trampoline_kernelINS0_13select_configILj256ELj13ELNS0_17block_load_methodE3ELS4_3ELS4_3ELNS0_20block_scan_algorithmE0ELj4294967295EEENS1_25partition_config_selectorILNS1_17partition_subalgoE4EjNS0_10empty_typeEbEEZZNS1_14partition_implILS8_4ELb0ES6_15HIP_vector_typeIjLj2EENS0_17counting_iteratorIjlEEPS9_SG_NS0_5tupleIJPjSI_NS0_16reverse_iteratorISI_EEEEENSH_IJSG_SG_SG_EEES9_SI_JZNS1_25segmented_radix_sort_implINS0_14default_configELb0EPKlPlSQ_SR_N2at6native12_GLOBAL__N_18offset_tEEE10hipError_tPvRmT1_PNSt15iterator_traitsISZ_E10value_typeET2_T3_PNS10_IS15_E10value_typeET4_jRbjT5_S1B_jjP12ihipStream_tbEUljE_ZNSN_ISO_Lb0ESQ_SR_SQ_SR_SV_EESW_SX_SY_SZ_S13_S14_S15_S18_S19_jS1A_jS1B_S1B_jjS1D_bEUljE0_EEESW_SX_SY_S15_S19_S1B_T6_T7_T9_mT8_S1D_bDpT10_ENKUlT_T0_E_clISt17integral_constantIbLb1EES1R_EEDaS1M_S1N_EUlS1M_E_NS1_11comp_targetILNS1_3genE4ELNS1_11target_archE910ELNS1_3gpuE8ELNS1_3repE0EEENS1_30default_config_static_selectorELNS0_4arch9wavefront6targetE0EEEvSZ_.uses_flat_scratch, 0
	.set _ZN7rocprim17ROCPRIM_400000_NS6detail17trampoline_kernelINS0_13select_configILj256ELj13ELNS0_17block_load_methodE3ELS4_3ELS4_3ELNS0_20block_scan_algorithmE0ELj4294967295EEENS1_25partition_config_selectorILNS1_17partition_subalgoE4EjNS0_10empty_typeEbEEZZNS1_14partition_implILS8_4ELb0ES6_15HIP_vector_typeIjLj2EENS0_17counting_iteratorIjlEEPS9_SG_NS0_5tupleIJPjSI_NS0_16reverse_iteratorISI_EEEEENSH_IJSG_SG_SG_EEES9_SI_JZNS1_25segmented_radix_sort_implINS0_14default_configELb0EPKlPlSQ_SR_N2at6native12_GLOBAL__N_18offset_tEEE10hipError_tPvRmT1_PNSt15iterator_traitsISZ_E10value_typeET2_T3_PNS10_IS15_E10value_typeET4_jRbjT5_S1B_jjP12ihipStream_tbEUljE_ZNSN_ISO_Lb0ESQ_SR_SQ_SR_SV_EESW_SX_SY_SZ_S13_S14_S15_S18_S19_jS1A_jS1B_S1B_jjS1D_bEUljE0_EEESW_SX_SY_S15_S19_S1B_T6_T7_T9_mT8_S1D_bDpT10_ENKUlT_T0_E_clISt17integral_constantIbLb1EES1R_EEDaS1M_S1N_EUlS1M_E_NS1_11comp_targetILNS1_3genE4ELNS1_11target_archE910ELNS1_3gpuE8ELNS1_3repE0EEENS1_30default_config_static_selectorELNS0_4arch9wavefront6targetE0EEEvSZ_.has_dyn_sized_stack, 0
	.set _ZN7rocprim17ROCPRIM_400000_NS6detail17trampoline_kernelINS0_13select_configILj256ELj13ELNS0_17block_load_methodE3ELS4_3ELS4_3ELNS0_20block_scan_algorithmE0ELj4294967295EEENS1_25partition_config_selectorILNS1_17partition_subalgoE4EjNS0_10empty_typeEbEEZZNS1_14partition_implILS8_4ELb0ES6_15HIP_vector_typeIjLj2EENS0_17counting_iteratorIjlEEPS9_SG_NS0_5tupleIJPjSI_NS0_16reverse_iteratorISI_EEEEENSH_IJSG_SG_SG_EEES9_SI_JZNS1_25segmented_radix_sort_implINS0_14default_configELb0EPKlPlSQ_SR_N2at6native12_GLOBAL__N_18offset_tEEE10hipError_tPvRmT1_PNSt15iterator_traitsISZ_E10value_typeET2_T3_PNS10_IS15_E10value_typeET4_jRbjT5_S1B_jjP12ihipStream_tbEUljE_ZNSN_ISO_Lb0ESQ_SR_SQ_SR_SV_EESW_SX_SY_SZ_S13_S14_S15_S18_S19_jS1A_jS1B_S1B_jjS1D_bEUljE0_EEESW_SX_SY_S15_S19_S1B_T6_T7_T9_mT8_S1D_bDpT10_ENKUlT_T0_E_clISt17integral_constantIbLb1EES1R_EEDaS1M_S1N_EUlS1M_E_NS1_11comp_targetILNS1_3genE4ELNS1_11target_archE910ELNS1_3gpuE8ELNS1_3repE0EEENS1_30default_config_static_selectorELNS0_4arch9wavefront6targetE0EEEvSZ_.has_recursion, 0
	.set _ZN7rocprim17ROCPRIM_400000_NS6detail17trampoline_kernelINS0_13select_configILj256ELj13ELNS0_17block_load_methodE3ELS4_3ELS4_3ELNS0_20block_scan_algorithmE0ELj4294967295EEENS1_25partition_config_selectorILNS1_17partition_subalgoE4EjNS0_10empty_typeEbEEZZNS1_14partition_implILS8_4ELb0ES6_15HIP_vector_typeIjLj2EENS0_17counting_iteratorIjlEEPS9_SG_NS0_5tupleIJPjSI_NS0_16reverse_iteratorISI_EEEEENSH_IJSG_SG_SG_EEES9_SI_JZNS1_25segmented_radix_sort_implINS0_14default_configELb0EPKlPlSQ_SR_N2at6native12_GLOBAL__N_18offset_tEEE10hipError_tPvRmT1_PNSt15iterator_traitsISZ_E10value_typeET2_T3_PNS10_IS15_E10value_typeET4_jRbjT5_S1B_jjP12ihipStream_tbEUljE_ZNSN_ISO_Lb0ESQ_SR_SQ_SR_SV_EESW_SX_SY_SZ_S13_S14_S15_S18_S19_jS1A_jS1B_S1B_jjS1D_bEUljE0_EEESW_SX_SY_S15_S19_S1B_T6_T7_T9_mT8_S1D_bDpT10_ENKUlT_T0_E_clISt17integral_constantIbLb1EES1R_EEDaS1M_S1N_EUlS1M_E_NS1_11comp_targetILNS1_3genE4ELNS1_11target_archE910ELNS1_3gpuE8ELNS1_3repE0EEENS1_30default_config_static_selectorELNS0_4arch9wavefront6targetE0EEEvSZ_.has_indirect_call, 0
	.section	.AMDGPU.csdata,"",@progbits
; Kernel info:
; codeLenInByte = 0
; TotalNumSgprs: 0
; NumVgprs: 0
; ScratchSize: 0
; MemoryBound: 0
; FloatMode: 240
; IeeeMode: 1
; LDSByteSize: 0 bytes/workgroup (compile time only)
; SGPRBlocks: 0
; VGPRBlocks: 0
; NumSGPRsForWavesPerEU: 1
; NumVGPRsForWavesPerEU: 1
; NamedBarCnt: 0
; Occupancy: 16
; WaveLimiterHint : 0
; COMPUTE_PGM_RSRC2:SCRATCH_EN: 0
; COMPUTE_PGM_RSRC2:USER_SGPR: 2
; COMPUTE_PGM_RSRC2:TRAP_HANDLER: 0
; COMPUTE_PGM_RSRC2:TGID_X_EN: 1
; COMPUTE_PGM_RSRC2:TGID_Y_EN: 0
; COMPUTE_PGM_RSRC2:TGID_Z_EN: 0
; COMPUTE_PGM_RSRC2:TIDIG_COMP_CNT: 0
	.section	.text._ZN7rocprim17ROCPRIM_400000_NS6detail17trampoline_kernelINS0_13select_configILj256ELj13ELNS0_17block_load_methodE3ELS4_3ELS4_3ELNS0_20block_scan_algorithmE0ELj4294967295EEENS1_25partition_config_selectorILNS1_17partition_subalgoE4EjNS0_10empty_typeEbEEZZNS1_14partition_implILS8_4ELb0ES6_15HIP_vector_typeIjLj2EENS0_17counting_iteratorIjlEEPS9_SG_NS0_5tupleIJPjSI_NS0_16reverse_iteratorISI_EEEEENSH_IJSG_SG_SG_EEES9_SI_JZNS1_25segmented_radix_sort_implINS0_14default_configELb0EPKlPlSQ_SR_N2at6native12_GLOBAL__N_18offset_tEEE10hipError_tPvRmT1_PNSt15iterator_traitsISZ_E10value_typeET2_T3_PNS10_IS15_E10value_typeET4_jRbjT5_S1B_jjP12ihipStream_tbEUljE_ZNSN_ISO_Lb0ESQ_SR_SQ_SR_SV_EESW_SX_SY_SZ_S13_S14_S15_S18_S19_jS1A_jS1B_S1B_jjS1D_bEUljE0_EEESW_SX_SY_S15_S19_S1B_T6_T7_T9_mT8_S1D_bDpT10_ENKUlT_T0_E_clISt17integral_constantIbLb1EES1R_EEDaS1M_S1N_EUlS1M_E_NS1_11comp_targetILNS1_3genE3ELNS1_11target_archE908ELNS1_3gpuE7ELNS1_3repE0EEENS1_30default_config_static_selectorELNS0_4arch9wavefront6targetE0EEEvSZ_,"axG",@progbits,_ZN7rocprim17ROCPRIM_400000_NS6detail17trampoline_kernelINS0_13select_configILj256ELj13ELNS0_17block_load_methodE3ELS4_3ELS4_3ELNS0_20block_scan_algorithmE0ELj4294967295EEENS1_25partition_config_selectorILNS1_17partition_subalgoE4EjNS0_10empty_typeEbEEZZNS1_14partition_implILS8_4ELb0ES6_15HIP_vector_typeIjLj2EENS0_17counting_iteratorIjlEEPS9_SG_NS0_5tupleIJPjSI_NS0_16reverse_iteratorISI_EEEEENSH_IJSG_SG_SG_EEES9_SI_JZNS1_25segmented_radix_sort_implINS0_14default_configELb0EPKlPlSQ_SR_N2at6native12_GLOBAL__N_18offset_tEEE10hipError_tPvRmT1_PNSt15iterator_traitsISZ_E10value_typeET2_T3_PNS10_IS15_E10value_typeET4_jRbjT5_S1B_jjP12ihipStream_tbEUljE_ZNSN_ISO_Lb0ESQ_SR_SQ_SR_SV_EESW_SX_SY_SZ_S13_S14_S15_S18_S19_jS1A_jS1B_S1B_jjS1D_bEUljE0_EEESW_SX_SY_S15_S19_S1B_T6_T7_T9_mT8_S1D_bDpT10_ENKUlT_T0_E_clISt17integral_constantIbLb1EES1R_EEDaS1M_S1N_EUlS1M_E_NS1_11comp_targetILNS1_3genE3ELNS1_11target_archE908ELNS1_3gpuE7ELNS1_3repE0EEENS1_30default_config_static_selectorELNS0_4arch9wavefront6targetE0EEEvSZ_,comdat
	.globl	_ZN7rocprim17ROCPRIM_400000_NS6detail17trampoline_kernelINS0_13select_configILj256ELj13ELNS0_17block_load_methodE3ELS4_3ELS4_3ELNS0_20block_scan_algorithmE0ELj4294967295EEENS1_25partition_config_selectorILNS1_17partition_subalgoE4EjNS0_10empty_typeEbEEZZNS1_14partition_implILS8_4ELb0ES6_15HIP_vector_typeIjLj2EENS0_17counting_iteratorIjlEEPS9_SG_NS0_5tupleIJPjSI_NS0_16reverse_iteratorISI_EEEEENSH_IJSG_SG_SG_EEES9_SI_JZNS1_25segmented_radix_sort_implINS0_14default_configELb0EPKlPlSQ_SR_N2at6native12_GLOBAL__N_18offset_tEEE10hipError_tPvRmT1_PNSt15iterator_traitsISZ_E10value_typeET2_T3_PNS10_IS15_E10value_typeET4_jRbjT5_S1B_jjP12ihipStream_tbEUljE_ZNSN_ISO_Lb0ESQ_SR_SQ_SR_SV_EESW_SX_SY_SZ_S13_S14_S15_S18_S19_jS1A_jS1B_S1B_jjS1D_bEUljE0_EEESW_SX_SY_S15_S19_S1B_T6_T7_T9_mT8_S1D_bDpT10_ENKUlT_T0_E_clISt17integral_constantIbLb1EES1R_EEDaS1M_S1N_EUlS1M_E_NS1_11comp_targetILNS1_3genE3ELNS1_11target_archE908ELNS1_3gpuE7ELNS1_3repE0EEENS1_30default_config_static_selectorELNS0_4arch9wavefront6targetE0EEEvSZ_ ; -- Begin function _ZN7rocprim17ROCPRIM_400000_NS6detail17trampoline_kernelINS0_13select_configILj256ELj13ELNS0_17block_load_methodE3ELS4_3ELS4_3ELNS0_20block_scan_algorithmE0ELj4294967295EEENS1_25partition_config_selectorILNS1_17partition_subalgoE4EjNS0_10empty_typeEbEEZZNS1_14partition_implILS8_4ELb0ES6_15HIP_vector_typeIjLj2EENS0_17counting_iteratorIjlEEPS9_SG_NS0_5tupleIJPjSI_NS0_16reverse_iteratorISI_EEEEENSH_IJSG_SG_SG_EEES9_SI_JZNS1_25segmented_radix_sort_implINS0_14default_configELb0EPKlPlSQ_SR_N2at6native12_GLOBAL__N_18offset_tEEE10hipError_tPvRmT1_PNSt15iterator_traitsISZ_E10value_typeET2_T3_PNS10_IS15_E10value_typeET4_jRbjT5_S1B_jjP12ihipStream_tbEUljE_ZNSN_ISO_Lb0ESQ_SR_SQ_SR_SV_EESW_SX_SY_SZ_S13_S14_S15_S18_S19_jS1A_jS1B_S1B_jjS1D_bEUljE0_EEESW_SX_SY_S15_S19_S1B_T6_T7_T9_mT8_S1D_bDpT10_ENKUlT_T0_E_clISt17integral_constantIbLb1EES1R_EEDaS1M_S1N_EUlS1M_E_NS1_11comp_targetILNS1_3genE3ELNS1_11target_archE908ELNS1_3gpuE7ELNS1_3repE0EEENS1_30default_config_static_selectorELNS0_4arch9wavefront6targetE0EEEvSZ_
	.p2align	8
	.type	_ZN7rocprim17ROCPRIM_400000_NS6detail17trampoline_kernelINS0_13select_configILj256ELj13ELNS0_17block_load_methodE3ELS4_3ELS4_3ELNS0_20block_scan_algorithmE0ELj4294967295EEENS1_25partition_config_selectorILNS1_17partition_subalgoE4EjNS0_10empty_typeEbEEZZNS1_14partition_implILS8_4ELb0ES6_15HIP_vector_typeIjLj2EENS0_17counting_iteratorIjlEEPS9_SG_NS0_5tupleIJPjSI_NS0_16reverse_iteratorISI_EEEEENSH_IJSG_SG_SG_EEES9_SI_JZNS1_25segmented_radix_sort_implINS0_14default_configELb0EPKlPlSQ_SR_N2at6native12_GLOBAL__N_18offset_tEEE10hipError_tPvRmT1_PNSt15iterator_traitsISZ_E10value_typeET2_T3_PNS10_IS15_E10value_typeET4_jRbjT5_S1B_jjP12ihipStream_tbEUljE_ZNSN_ISO_Lb0ESQ_SR_SQ_SR_SV_EESW_SX_SY_SZ_S13_S14_S15_S18_S19_jS1A_jS1B_S1B_jjS1D_bEUljE0_EEESW_SX_SY_S15_S19_S1B_T6_T7_T9_mT8_S1D_bDpT10_ENKUlT_T0_E_clISt17integral_constantIbLb1EES1R_EEDaS1M_S1N_EUlS1M_E_NS1_11comp_targetILNS1_3genE3ELNS1_11target_archE908ELNS1_3gpuE7ELNS1_3repE0EEENS1_30default_config_static_selectorELNS0_4arch9wavefront6targetE0EEEvSZ_,@function
_ZN7rocprim17ROCPRIM_400000_NS6detail17trampoline_kernelINS0_13select_configILj256ELj13ELNS0_17block_load_methodE3ELS4_3ELS4_3ELNS0_20block_scan_algorithmE0ELj4294967295EEENS1_25partition_config_selectorILNS1_17partition_subalgoE4EjNS0_10empty_typeEbEEZZNS1_14partition_implILS8_4ELb0ES6_15HIP_vector_typeIjLj2EENS0_17counting_iteratorIjlEEPS9_SG_NS0_5tupleIJPjSI_NS0_16reverse_iteratorISI_EEEEENSH_IJSG_SG_SG_EEES9_SI_JZNS1_25segmented_radix_sort_implINS0_14default_configELb0EPKlPlSQ_SR_N2at6native12_GLOBAL__N_18offset_tEEE10hipError_tPvRmT1_PNSt15iterator_traitsISZ_E10value_typeET2_T3_PNS10_IS15_E10value_typeET4_jRbjT5_S1B_jjP12ihipStream_tbEUljE_ZNSN_ISO_Lb0ESQ_SR_SQ_SR_SV_EESW_SX_SY_SZ_S13_S14_S15_S18_S19_jS1A_jS1B_S1B_jjS1D_bEUljE0_EEESW_SX_SY_S15_S19_S1B_T6_T7_T9_mT8_S1D_bDpT10_ENKUlT_T0_E_clISt17integral_constantIbLb1EES1R_EEDaS1M_S1N_EUlS1M_E_NS1_11comp_targetILNS1_3genE3ELNS1_11target_archE908ELNS1_3gpuE7ELNS1_3repE0EEENS1_30default_config_static_selectorELNS0_4arch9wavefront6targetE0EEEvSZ_: ; @_ZN7rocprim17ROCPRIM_400000_NS6detail17trampoline_kernelINS0_13select_configILj256ELj13ELNS0_17block_load_methodE3ELS4_3ELS4_3ELNS0_20block_scan_algorithmE0ELj4294967295EEENS1_25partition_config_selectorILNS1_17partition_subalgoE4EjNS0_10empty_typeEbEEZZNS1_14partition_implILS8_4ELb0ES6_15HIP_vector_typeIjLj2EENS0_17counting_iteratorIjlEEPS9_SG_NS0_5tupleIJPjSI_NS0_16reverse_iteratorISI_EEEEENSH_IJSG_SG_SG_EEES9_SI_JZNS1_25segmented_radix_sort_implINS0_14default_configELb0EPKlPlSQ_SR_N2at6native12_GLOBAL__N_18offset_tEEE10hipError_tPvRmT1_PNSt15iterator_traitsISZ_E10value_typeET2_T3_PNS10_IS15_E10value_typeET4_jRbjT5_S1B_jjP12ihipStream_tbEUljE_ZNSN_ISO_Lb0ESQ_SR_SQ_SR_SV_EESW_SX_SY_SZ_S13_S14_S15_S18_S19_jS1A_jS1B_S1B_jjS1D_bEUljE0_EEESW_SX_SY_S15_S19_S1B_T6_T7_T9_mT8_S1D_bDpT10_ENKUlT_T0_E_clISt17integral_constantIbLb1EES1R_EEDaS1M_S1N_EUlS1M_E_NS1_11comp_targetILNS1_3genE3ELNS1_11target_archE908ELNS1_3gpuE7ELNS1_3repE0EEENS1_30default_config_static_selectorELNS0_4arch9wavefront6targetE0EEEvSZ_
; %bb.0:
	.section	.rodata,"a",@progbits
	.p2align	6, 0x0
	.amdhsa_kernel _ZN7rocprim17ROCPRIM_400000_NS6detail17trampoline_kernelINS0_13select_configILj256ELj13ELNS0_17block_load_methodE3ELS4_3ELS4_3ELNS0_20block_scan_algorithmE0ELj4294967295EEENS1_25partition_config_selectorILNS1_17partition_subalgoE4EjNS0_10empty_typeEbEEZZNS1_14partition_implILS8_4ELb0ES6_15HIP_vector_typeIjLj2EENS0_17counting_iteratorIjlEEPS9_SG_NS0_5tupleIJPjSI_NS0_16reverse_iteratorISI_EEEEENSH_IJSG_SG_SG_EEES9_SI_JZNS1_25segmented_radix_sort_implINS0_14default_configELb0EPKlPlSQ_SR_N2at6native12_GLOBAL__N_18offset_tEEE10hipError_tPvRmT1_PNSt15iterator_traitsISZ_E10value_typeET2_T3_PNS10_IS15_E10value_typeET4_jRbjT5_S1B_jjP12ihipStream_tbEUljE_ZNSN_ISO_Lb0ESQ_SR_SQ_SR_SV_EESW_SX_SY_SZ_S13_S14_S15_S18_S19_jS1A_jS1B_S1B_jjS1D_bEUljE0_EEESW_SX_SY_S15_S19_S1B_T6_T7_T9_mT8_S1D_bDpT10_ENKUlT_T0_E_clISt17integral_constantIbLb1EES1R_EEDaS1M_S1N_EUlS1M_E_NS1_11comp_targetILNS1_3genE3ELNS1_11target_archE908ELNS1_3gpuE7ELNS1_3repE0EEENS1_30default_config_static_selectorELNS0_4arch9wavefront6targetE0EEEvSZ_
		.amdhsa_group_segment_fixed_size 0
		.amdhsa_private_segment_fixed_size 0
		.amdhsa_kernarg_size 184
		.amdhsa_user_sgpr_count 2
		.amdhsa_user_sgpr_dispatch_ptr 0
		.amdhsa_user_sgpr_queue_ptr 0
		.amdhsa_user_sgpr_kernarg_segment_ptr 1
		.amdhsa_user_sgpr_dispatch_id 0
		.amdhsa_user_sgpr_kernarg_preload_length 0
		.amdhsa_user_sgpr_kernarg_preload_offset 0
		.amdhsa_user_sgpr_private_segment_size 0
		.amdhsa_wavefront_size32 1
		.amdhsa_uses_dynamic_stack 0
		.amdhsa_enable_private_segment 0
		.amdhsa_system_sgpr_workgroup_id_x 1
		.amdhsa_system_sgpr_workgroup_id_y 0
		.amdhsa_system_sgpr_workgroup_id_z 0
		.amdhsa_system_sgpr_workgroup_info 0
		.amdhsa_system_vgpr_workitem_id 0
		.amdhsa_next_free_vgpr 1
		.amdhsa_next_free_sgpr 1
		.amdhsa_named_barrier_count 0
		.amdhsa_reserve_vcc 0
		.amdhsa_float_round_mode_32 0
		.amdhsa_float_round_mode_16_64 0
		.amdhsa_float_denorm_mode_32 3
		.amdhsa_float_denorm_mode_16_64 3
		.amdhsa_fp16_overflow 0
		.amdhsa_memory_ordered 1
		.amdhsa_forward_progress 1
		.amdhsa_inst_pref_size 0
		.amdhsa_round_robin_scheduling 0
		.amdhsa_exception_fp_ieee_invalid_op 0
		.amdhsa_exception_fp_denorm_src 0
		.amdhsa_exception_fp_ieee_div_zero 0
		.amdhsa_exception_fp_ieee_overflow 0
		.amdhsa_exception_fp_ieee_underflow 0
		.amdhsa_exception_fp_ieee_inexact 0
		.amdhsa_exception_int_div_zero 0
	.end_amdhsa_kernel
	.section	.text._ZN7rocprim17ROCPRIM_400000_NS6detail17trampoline_kernelINS0_13select_configILj256ELj13ELNS0_17block_load_methodE3ELS4_3ELS4_3ELNS0_20block_scan_algorithmE0ELj4294967295EEENS1_25partition_config_selectorILNS1_17partition_subalgoE4EjNS0_10empty_typeEbEEZZNS1_14partition_implILS8_4ELb0ES6_15HIP_vector_typeIjLj2EENS0_17counting_iteratorIjlEEPS9_SG_NS0_5tupleIJPjSI_NS0_16reverse_iteratorISI_EEEEENSH_IJSG_SG_SG_EEES9_SI_JZNS1_25segmented_radix_sort_implINS0_14default_configELb0EPKlPlSQ_SR_N2at6native12_GLOBAL__N_18offset_tEEE10hipError_tPvRmT1_PNSt15iterator_traitsISZ_E10value_typeET2_T3_PNS10_IS15_E10value_typeET4_jRbjT5_S1B_jjP12ihipStream_tbEUljE_ZNSN_ISO_Lb0ESQ_SR_SQ_SR_SV_EESW_SX_SY_SZ_S13_S14_S15_S18_S19_jS1A_jS1B_S1B_jjS1D_bEUljE0_EEESW_SX_SY_S15_S19_S1B_T6_T7_T9_mT8_S1D_bDpT10_ENKUlT_T0_E_clISt17integral_constantIbLb1EES1R_EEDaS1M_S1N_EUlS1M_E_NS1_11comp_targetILNS1_3genE3ELNS1_11target_archE908ELNS1_3gpuE7ELNS1_3repE0EEENS1_30default_config_static_selectorELNS0_4arch9wavefront6targetE0EEEvSZ_,"axG",@progbits,_ZN7rocprim17ROCPRIM_400000_NS6detail17trampoline_kernelINS0_13select_configILj256ELj13ELNS0_17block_load_methodE3ELS4_3ELS4_3ELNS0_20block_scan_algorithmE0ELj4294967295EEENS1_25partition_config_selectorILNS1_17partition_subalgoE4EjNS0_10empty_typeEbEEZZNS1_14partition_implILS8_4ELb0ES6_15HIP_vector_typeIjLj2EENS0_17counting_iteratorIjlEEPS9_SG_NS0_5tupleIJPjSI_NS0_16reverse_iteratorISI_EEEEENSH_IJSG_SG_SG_EEES9_SI_JZNS1_25segmented_radix_sort_implINS0_14default_configELb0EPKlPlSQ_SR_N2at6native12_GLOBAL__N_18offset_tEEE10hipError_tPvRmT1_PNSt15iterator_traitsISZ_E10value_typeET2_T3_PNS10_IS15_E10value_typeET4_jRbjT5_S1B_jjP12ihipStream_tbEUljE_ZNSN_ISO_Lb0ESQ_SR_SQ_SR_SV_EESW_SX_SY_SZ_S13_S14_S15_S18_S19_jS1A_jS1B_S1B_jjS1D_bEUljE0_EEESW_SX_SY_S15_S19_S1B_T6_T7_T9_mT8_S1D_bDpT10_ENKUlT_T0_E_clISt17integral_constantIbLb1EES1R_EEDaS1M_S1N_EUlS1M_E_NS1_11comp_targetILNS1_3genE3ELNS1_11target_archE908ELNS1_3gpuE7ELNS1_3repE0EEENS1_30default_config_static_selectorELNS0_4arch9wavefront6targetE0EEEvSZ_,comdat
.Lfunc_end750:
	.size	_ZN7rocprim17ROCPRIM_400000_NS6detail17trampoline_kernelINS0_13select_configILj256ELj13ELNS0_17block_load_methodE3ELS4_3ELS4_3ELNS0_20block_scan_algorithmE0ELj4294967295EEENS1_25partition_config_selectorILNS1_17partition_subalgoE4EjNS0_10empty_typeEbEEZZNS1_14partition_implILS8_4ELb0ES6_15HIP_vector_typeIjLj2EENS0_17counting_iteratorIjlEEPS9_SG_NS0_5tupleIJPjSI_NS0_16reverse_iteratorISI_EEEEENSH_IJSG_SG_SG_EEES9_SI_JZNS1_25segmented_radix_sort_implINS0_14default_configELb0EPKlPlSQ_SR_N2at6native12_GLOBAL__N_18offset_tEEE10hipError_tPvRmT1_PNSt15iterator_traitsISZ_E10value_typeET2_T3_PNS10_IS15_E10value_typeET4_jRbjT5_S1B_jjP12ihipStream_tbEUljE_ZNSN_ISO_Lb0ESQ_SR_SQ_SR_SV_EESW_SX_SY_SZ_S13_S14_S15_S18_S19_jS1A_jS1B_S1B_jjS1D_bEUljE0_EEESW_SX_SY_S15_S19_S1B_T6_T7_T9_mT8_S1D_bDpT10_ENKUlT_T0_E_clISt17integral_constantIbLb1EES1R_EEDaS1M_S1N_EUlS1M_E_NS1_11comp_targetILNS1_3genE3ELNS1_11target_archE908ELNS1_3gpuE7ELNS1_3repE0EEENS1_30default_config_static_selectorELNS0_4arch9wavefront6targetE0EEEvSZ_, .Lfunc_end750-_ZN7rocprim17ROCPRIM_400000_NS6detail17trampoline_kernelINS0_13select_configILj256ELj13ELNS0_17block_load_methodE3ELS4_3ELS4_3ELNS0_20block_scan_algorithmE0ELj4294967295EEENS1_25partition_config_selectorILNS1_17partition_subalgoE4EjNS0_10empty_typeEbEEZZNS1_14partition_implILS8_4ELb0ES6_15HIP_vector_typeIjLj2EENS0_17counting_iteratorIjlEEPS9_SG_NS0_5tupleIJPjSI_NS0_16reverse_iteratorISI_EEEEENSH_IJSG_SG_SG_EEES9_SI_JZNS1_25segmented_radix_sort_implINS0_14default_configELb0EPKlPlSQ_SR_N2at6native12_GLOBAL__N_18offset_tEEE10hipError_tPvRmT1_PNSt15iterator_traitsISZ_E10value_typeET2_T3_PNS10_IS15_E10value_typeET4_jRbjT5_S1B_jjP12ihipStream_tbEUljE_ZNSN_ISO_Lb0ESQ_SR_SQ_SR_SV_EESW_SX_SY_SZ_S13_S14_S15_S18_S19_jS1A_jS1B_S1B_jjS1D_bEUljE0_EEESW_SX_SY_S15_S19_S1B_T6_T7_T9_mT8_S1D_bDpT10_ENKUlT_T0_E_clISt17integral_constantIbLb1EES1R_EEDaS1M_S1N_EUlS1M_E_NS1_11comp_targetILNS1_3genE3ELNS1_11target_archE908ELNS1_3gpuE7ELNS1_3repE0EEENS1_30default_config_static_selectorELNS0_4arch9wavefront6targetE0EEEvSZ_
                                        ; -- End function
	.set _ZN7rocprim17ROCPRIM_400000_NS6detail17trampoline_kernelINS0_13select_configILj256ELj13ELNS0_17block_load_methodE3ELS4_3ELS4_3ELNS0_20block_scan_algorithmE0ELj4294967295EEENS1_25partition_config_selectorILNS1_17partition_subalgoE4EjNS0_10empty_typeEbEEZZNS1_14partition_implILS8_4ELb0ES6_15HIP_vector_typeIjLj2EENS0_17counting_iteratorIjlEEPS9_SG_NS0_5tupleIJPjSI_NS0_16reverse_iteratorISI_EEEEENSH_IJSG_SG_SG_EEES9_SI_JZNS1_25segmented_radix_sort_implINS0_14default_configELb0EPKlPlSQ_SR_N2at6native12_GLOBAL__N_18offset_tEEE10hipError_tPvRmT1_PNSt15iterator_traitsISZ_E10value_typeET2_T3_PNS10_IS15_E10value_typeET4_jRbjT5_S1B_jjP12ihipStream_tbEUljE_ZNSN_ISO_Lb0ESQ_SR_SQ_SR_SV_EESW_SX_SY_SZ_S13_S14_S15_S18_S19_jS1A_jS1B_S1B_jjS1D_bEUljE0_EEESW_SX_SY_S15_S19_S1B_T6_T7_T9_mT8_S1D_bDpT10_ENKUlT_T0_E_clISt17integral_constantIbLb1EES1R_EEDaS1M_S1N_EUlS1M_E_NS1_11comp_targetILNS1_3genE3ELNS1_11target_archE908ELNS1_3gpuE7ELNS1_3repE0EEENS1_30default_config_static_selectorELNS0_4arch9wavefront6targetE0EEEvSZ_.num_vgpr, 0
	.set _ZN7rocprim17ROCPRIM_400000_NS6detail17trampoline_kernelINS0_13select_configILj256ELj13ELNS0_17block_load_methodE3ELS4_3ELS4_3ELNS0_20block_scan_algorithmE0ELj4294967295EEENS1_25partition_config_selectorILNS1_17partition_subalgoE4EjNS0_10empty_typeEbEEZZNS1_14partition_implILS8_4ELb0ES6_15HIP_vector_typeIjLj2EENS0_17counting_iteratorIjlEEPS9_SG_NS0_5tupleIJPjSI_NS0_16reverse_iteratorISI_EEEEENSH_IJSG_SG_SG_EEES9_SI_JZNS1_25segmented_radix_sort_implINS0_14default_configELb0EPKlPlSQ_SR_N2at6native12_GLOBAL__N_18offset_tEEE10hipError_tPvRmT1_PNSt15iterator_traitsISZ_E10value_typeET2_T3_PNS10_IS15_E10value_typeET4_jRbjT5_S1B_jjP12ihipStream_tbEUljE_ZNSN_ISO_Lb0ESQ_SR_SQ_SR_SV_EESW_SX_SY_SZ_S13_S14_S15_S18_S19_jS1A_jS1B_S1B_jjS1D_bEUljE0_EEESW_SX_SY_S15_S19_S1B_T6_T7_T9_mT8_S1D_bDpT10_ENKUlT_T0_E_clISt17integral_constantIbLb1EES1R_EEDaS1M_S1N_EUlS1M_E_NS1_11comp_targetILNS1_3genE3ELNS1_11target_archE908ELNS1_3gpuE7ELNS1_3repE0EEENS1_30default_config_static_selectorELNS0_4arch9wavefront6targetE0EEEvSZ_.num_agpr, 0
	.set _ZN7rocprim17ROCPRIM_400000_NS6detail17trampoline_kernelINS0_13select_configILj256ELj13ELNS0_17block_load_methodE3ELS4_3ELS4_3ELNS0_20block_scan_algorithmE0ELj4294967295EEENS1_25partition_config_selectorILNS1_17partition_subalgoE4EjNS0_10empty_typeEbEEZZNS1_14partition_implILS8_4ELb0ES6_15HIP_vector_typeIjLj2EENS0_17counting_iteratorIjlEEPS9_SG_NS0_5tupleIJPjSI_NS0_16reverse_iteratorISI_EEEEENSH_IJSG_SG_SG_EEES9_SI_JZNS1_25segmented_radix_sort_implINS0_14default_configELb0EPKlPlSQ_SR_N2at6native12_GLOBAL__N_18offset_tEEE10hipError_tPvRmT1_PNSt15iterator_traitsISZ_E10value_typeET2_T3_PNS10_IS15_E10value_typeET4_jRbjT5_S1B_jjP12ihipStream_tbEUljE_ZNSN_ISO_Lb0ESQ_SR_SQ_SR_SV_EESW_SX_SY_SZ_S13_S14_S15_S18_S19_jS1A_jS1B_S1B_jjS1D_bEUljE0_EEESW_SX_SY_S15_S19_S1B_T6_T7_T9_mT8_S1D_bDpT10_ENKUlT_T0_E_clISt17integral_constantIbLb1EES1R_EEDaS1M_S1N_EUlS1M_E_NS1_11comp_targetILNS1_3genE3ELNS1_11target_archE908ELNS1_3gpuE7ELNS1_3repE0EEENS1_30default_config_static_selectorELNS0_4arch9wavefront6targetE0EEEvSZ_.numbered_sgpr, 0
	.set _ZN7rocprim17ROCPRIM_400000_NS6detail17trampoline_kernelINS0_13select_configILj256ELj13ELNS0_17block_load_methodE3ELS4_3ELS4_3ELNS0_20block_scan_algorithmE0ELj4294967295EEENS1_25partition_config_selectorILNS1_17partition_subalgoE4EjNS0_10empty_typeEbEEZZNS1_14partition_implILS8_4ELb0ES6_15HIP_vector_typeIjLj2EENS0_17counting_iteratorIjlEEPS9_SG_NS0_5tupleIJPjSI_NS0_16reverse_iteratorISI_EEEEENSH_IJSG_SG_SG_EEES9_SI_JZNS1_25segmented_radix_sort_implINS0_14default_configELb0EPKlPlSQ_SR_N2at6native12_GLOBAL__N_18offset_tEEE10hipError_tPvRmT1_PNSt15iterator_traitsISZ_E10value_typeET2_T3_PNS10_IS15_E10value_typeET4_jRbjT5_S1B_jjP12ihipStream_tbEUljE_ZNSN_ISO_Lb0ESQ_SR_SQ_SR_SV_EESW_SX_SY_SZ_S13_S14_S15_S18_S19_jS1A_jS1B_S1B_jjS1D_bEUljE0_EEESW_SX_SY_S15_S19_S1B_T6_T7_T9_mT8_S1D_bDpT10_ENKUlT_T0_E_clISt17integral_constantIbLb1EES1R_EEDaS1M_S1N_EUlS1M_E_NS1_11comp_targetILNS1_3genE3ELNS1_11target_archE908ELNS1_3gpuE7ELNS1_3repE0EEENS1_30default_config_static_selectorELNS0_4arch9wavefront6targetE0EEEvSZ_.num_named_barrier, 0
	.set _ZN7rocprim17ROCPRIM_400000_NS6detail17trampoline_kernelINS0_13select_configILj256ELj13ELNS0_17block_load_methodE3ELS4_3ELS4_3ELNS0_20block_scan_algorithmE0ELj4294967295EEENS1_25partition_config_selectorILNS1_17partition_subalgoE4EjNS0_10empty_typeEbEEZZNS1_14partition_implILS8_4ELb0ES6_15HIP_vector_typeIjLj2EENS0_17counting_iteratorIjlEEPS9_SG_NS0_5tupleIJPjSI_NS0_16reverse_iteratorISI_EEEEENSH_IJSG_SG_SG_EEES9_SI_JZNS1_25segmented_radix_sort_implINS0_14default_configELb0EPKlPlSQ_SR_N2at6native12_GLOBAL__N_18offset_tEEE10hipError_tPvRmT1_PNSt15iterator_traitsISZ_E10value_typeET2_T3_PNS10_IS15_E10value_typeET4_jRbjT5_S1B_jjP12ihipStream_tbEUljE_ZNSN_ISO_Lb0ESQ_SR_SQ_SR_SV_EESW_SX_SY_SZ_S13_S14_S15_S18_S19_jS1A_jS1B_S1B_jjS1D_bEUljE0_EEESW_SX_SY_S15_S19_S1B_T6_T7_T9_mT8_S1D_bDpT10_ENKUlT_T0_E_clISt17integral_constantIbLb1EES1R_EEDaS1M_S1N_EUlS1M_E_NS1_11comp_targetILNS1_3genE3ELNS1_11target_archE908ELNS1_3gpuE7ELNS1_3repE0EEENS1_30default_config_static_selectorELNS0_4arch9wavefront6targetE0EEEvSZ_.private_seg_size, 0
	.set _ZN7rocprim17ROCPRIM_400000_NS6detail17trampoline_kernelINS0_13select_configILj256ELj13ELNS0_17block_load_methodE3ELS4_3ELS4_3ELNS0_20block_scan_algorithmE0ELj4294967295EEENS1_25partition_config_selectorILNS1_17partition_subalgoE4EjNS0_10empty_typeEbEEZZNS1_14partition_implILS8_4ELb0ES6_15HIP_vector_typeIjLj2EENS0_17counting_iteratorIjlEEPS9_SG_NS0_5tupleIJPjSI_NS0_16reverse_iteratorISI_EEEEENSH_IJSG_SG_SG_EEES9_SI_JZNS1_25segmented_radix_sort_implINS0_14default_configELb0EPKlPlSQ_SR_N2at6native12_GLOBAL__N_18offset_tEEE10hipError_tPvRmT1_PNSt15iterator_traitsISZ_E10value_typeET2_T3_PNS10_IS15_E10value_typeET4_jRbjT5_S1B_jjP12ihipStream_tbEUljE_ZNSN_ISO_Lb0ESQ_SR_SQ_SR_SV_EESW_SX_SY_SZ_S13_S14_S15_S18_S19_jS1A_jS1B_S1B_jjS1D_bEUljE0_EEESW_SX_SY_S15_S19_S1B_T6_T7_T9_mT8_S1D_bDpT10_ENKUlT_T0_E_clISt17integral_constantIbLb1EES1R_EEDaS1M_S1N_EUlS1M_E_NS1_11comp_targetILNS1_3genE3ELNS1_11target_archE908ELNS1_3gpuE7ELNS1_3repE0EEENS1_30default_config_static_selectorELNS0_4arch9wavefront6targetE0EEEvSZ_.uses_vcc, 0
	.set _ZN7rocprim17ROCPRIM_400000_NS6detail17trampoline_kernelINS0_13select_configILj256ELj13ELNS0_17block_load_methodE3ELS4_3ELS4_3ELNS0_20block_scan_algorithmE0ELj4294967295EEENS1_25partition_config_selectorILNS1_17partition_subalgoE4EjNS0_10empty_typeEbEEZZNS1_14partition_implILS8_4ELb0ES6_15HIP_vector_typeIjLj2EENS0_17counting_iteratorIjlEEPS9_SG_NS0_5tupleIJPjSI_NS0_16reverse_iteratorISI_EEEEENSH_IJSG_SG_SG_EEES9_SI_JZNS1_25segmented_radix_sort_implINS0_14default_configELb0EPKlPlSQ_SR_N2at6native12_GLOBAL__N_18offset_tEEE10hipError_tPvRmT1_PNSt15iterator_traitsISZ_E10value_typeET2_T3_PNS10_IS15_E10value_typeET4_jRbjT5_S1B_jjP12ihipStream_tbEUljE_ZNSN_ISO_Lb0ESQ_SR_SQ_SR_SV_EESW_SX_SY_SZ_S13_S14_S15_S18_S19_jS1A_jS1B_S1B_jjS1D_bEUljE0_EEESW_SX_SY_S15_S19_S1B_T6_T7_T9_mT8_S1D_bDpT10_ENKUlT_T0_E_clISt17integral_constantIbLb1EES1R_EEDaS1M_S1N_EUlS1M_E_NS1_11comp_targetILNS1_3genE3ELNS1_11target_archE908ELNS1_3gpuE7ELNS1_3repE0EEENS1_30default_config_static_selectorELNS0_4arch9wavefront6targetE0EEEvSZ_.uses_flat_scratch, 0
	.set _ZN7rocprim17ROCPRIM_400000_NS6detail17trampoline_kernelINS0_13select_configILj256ELj13ELNS0_17block_load_methodE3ELS4_3ELS4_3ELNS0_20block_scan_algorithmE0ELj4294967295EEENS1_25partition_config_selectorILNS1_17partition_subalgoE4EjNS0_10empty_typeEbEEZZNS1_14partition_implILS8_4ELb0ES6_15HIP_vector_typeIjLj2EENS0_17counting_iteratorIjlEEPS9_SG_NS0_5tupleIJPjSI_NS0_16reverse_iteratorISI_EEEEENSH_IJSG_SG_SG_EEES9_SI_JZNS1_25segmented_radix_sort_implINS0_14default_configELb0EPKlPlSQ_SR_N2at6native12_GLOBAL__N_18offset_tEEE10hipError_tPvRmT1_PNSt15iterator_traitsISZ_E10value_typeET2_T3_PNS10_IS15_E10value_typeET4_jRbjT5_S1B_jjP12ihipStream_tbEUljE_ZNSN_ISO_Lb0ESQ_SR_SQ_SR_SV_EESW_SX_SY_SZ_S13_S14_S15_S18_S19_jS1A_jS1B_S1B_jjS1D_bEUljE0_EEESW_SX_SY_S15_S19_S1B_T6_T7_T9_mT8_S1D_bDpT10_ENKUlT_T0_E_clISt17integral_constantIbLb1EES1R_EEDaS1M_S1N_EUlS1M_E_NS1_11comp_targetILNS1_3genE3ELNS1_11target_archE908ELNS1_3gpuE7ELNS1_3repE0EEENS1_30default_config_static_selectorELNS0_4arch9wavefront6targetE0EEEvSZ_.has_dyn_sized_stack, 0
	.set _ZN7rocprim17ROCPRIM_400000_NS6detail17trampoline_kernelINS0_13select_configILj256ELj13ELNS0_17block_load_methodE3ELS4_3ELS4_3ELNS0_20block_scan_algorithmE0ELj4294967295EEENS1_25partition_config_selectorILNS1_17partition_subalgoE4EjNS0_10empty_typeEbEEZZNS1_14partition_implILS8_4ELb0ES6_15HIP_vector_typeIjLj2EENS0_17counting_iteratorIjlEEPS9_SG_NS0_5tupleIJPjSI_NS0_16reverse_iteratorISI_EEEEENSH_IJSG_SG_SG_EEES9_SI_JZNS1_25segmented_radix_sort_implINS0_14default_configELb0EPKlPlSQ_SR_N2at6native12_GLOBAL__N_18offset_tEEE10hipError_tPvRmT1_PNSt15iterator_traitsISZ_E10value_typeET2_T3_PNS10_IS15_E10value_typeET4_jRbjT5_S1B_jjP12ihipStream_tbEUljE_ZNSN_ISO_Lb0ESQ_SR_SQ_SR_SV_EESW_SX_SY_SZ_S13_S14_S15_S18_S19_jS1A_jS1B_S1B_jjS1D_bEUljE0_EEESW_SX_SY_S15_S19_S1B_T6_T7_T9_mT8_S1D_bDpT10_ENKUlT_T0_E_clISt17integral_constantIbLb1EES1R_EEDaS1M_S1N_EUlS1M_E_NS1_11comp_targetILNS1_3genE3ELNS1_11target_archE908ELNS1_3gpuE7ELNS1_3repE0EEENS1_30default_config_static_selectorELNS0_4arch9wavefront6targetE0EEEvSZ_.has_recursion, 0
	.set _ZN7rocprim17ROCPRIM_400000_NS6detail17trampoline_kernelINS0_13select_configILj256ELj13ELNS0_17block_load_methodE3ELS4_3ELS4_3ELNS0_20block_scan_algorithmE0ELj4294967295EEENS1_25partition_config_selectorILNS1_17partition_subalgoE4EjNS0_10empty_typeEbEEZZNS1_14partition_implILS8_4ELb0ES6_15HIP_vector_typeIjLj2EENS0_17counting_iteratorIjlEEPS9_SG_NS0_5tupleIJPjSI_NS0_16reverse_iteratorISI_EEEEENSH_IJSG_SG_SG_EEES9_SI_JZNS1_25segmented_radix_sort_implINS0_14default_configELb0EPKlPlSQ_SR_N2at6native12_GLOBAL__N_18offset_tEEE10hipError_tPvRmT1_PNSt15iterator_traitsISZ_E10value_typeET2_T3_PNS10_IS15_E10value_typeET4_jRbjT5_S1B_jjP12ihipStream_tbEUljE_ZNSN_ISO_Lb0ESQ_SR_SQ_SR_SV_EESW_SX_SY_SZ_S13_S14_S15_S18_S19_jS1A_jS1B_S1B_jjS1D_bEUljE0_EEESW_SX_SY_S15_S19_S1B_T6_T7_T9_mT8_S1D_bDpT10_ENKUlT_T0_E_clISt17integral_constantIbLb1EES1R_EEDaS1M_S1N_EUlS1M_E_NS1_11comp_targetILNS1_3genE3ELNS1_11target_archE908ELNS1_3gpuE7ELNS1_3repE0EEENS1_30default_config_static_selectorELNS0_4arch9wavefront6targetE0EEEvSZ_.has_indirect_call, 0
	.section	.AMDGPU.csdata,"",@progbits
; Kernel info:
; codeLenInByte = 0
; TotalNumSgprs: 0
; NumVgprs: 0
; ScratchSize: 0
; MemoryBound: 0
; FloatMode: 240
; IeeeMode: 1
; LDSByteSize: 0 bytes/workgroup (compile time only)
; SGPRBlocks: 0
; VGPRBlocks: 0
; NumSGPRsForWavesPerEU: 1
; NumVGPRsForWavesPerEU: 1
; NamedBarCnt: 0
; Occupancy: 16
; WaveLimiterHint : 0
; COMPUTE_PGM_RSRC2:SCRATCH_EN: 0
; COMPUTE_PGM_RSRC2:USER_SGPR: 2
; COMPUTE_PGM_RSRC2:TRAP_HANDLER: 0
; COMPUTE_PGM_RSRC2:TGID_X_EN: 1
; COMPUTE_PGM_RSRC2:TGID_Y_EN: 0
; COMPUTE_PGM_RSRC2:TGID_Z_EN: 0
; COMPUTE_PGM_RSRC2:TIDIG_COMP_CNT: 0
	.section	.text._ZN7rocprim17ROCPRIM_400000_NS6detail17trampoline_kernelINS0_13select_configILj256ELj13ELNS0_17block_load_methodE3ELS4_3ELS4_3ELNS0_20block_scan_algorithmE0ELj4294967295EEENS1_25partition_config_selectorILNS1_17partition_subalgoE4EjNS0_10empty_typeEbEEZZNS1_14partition_implILS8_4ELb0ES6_15HIP_vector_typeIjLj2EENS0_17counting_iteratorIjlEEPS9_SG_NS0_5tupleIJPjSI_NS0_16reverse_iteratorISI_EEEEENSH_IJSG_SG_SG_EEES9_SI_JZNS1_25segmented_radix_sort_implINS0_14default_configELb0EPKlPlSQ_SR_N2at6native12_GLOBAL__N_18offset_tEEE10hipError_tPvRmT1_PNSt15iterator_traitsISZ_E10value_typeET2_T3_PNS10_IS15_E10value_typeET4_jRbjT5_S1B_jjP12ihipStream_tbEUljE_ZNSN_ISO_Lb0ESQ_SR_SQ_SR_SV_EESW_SX_SY_SZ_S13_S14_S15_S18_S19_jS1A_jS1B_S1B_jjS1D_bEUljE0_EEESW_SX_SY_S15_S19_S1B_T6_T7_T9_mT8_S1D_bDpT10_ENKUlT_T0_E_clISt17integral_constantIbLb1EES1R_EEDaS1M_S1N_EUlS1M_E_NS1_11comp_targetILNS1_3genE2ELNS1_11target_archE906ELNS1_3gpuE6ELNS1_3repE0EEENS1_30default_config_static_selectorELNS0_4arch9wavefront6targetE0EEEvSZ_,"axG",@progbits,_ZN7rocprim17ROCPRIM_400000_NS6detail17trampoline_kernelINS0_13select_configILj256ELj13ELNS0_17block_load_methodE3ELS4_3ELS4_3ELNS0_20block_scan_algorithmE0ELj4294967295EEENS1_25partition_config_selectorILNS1_17partition_subalgoE4EjNS0_10empty_typeEbEEZZNS1_14partition_implILS8_4ELb0ES6_15HIP_vector_typeIjLj2EENS0_17counting_iteratorIjlEEPS9_SG_NS0_5tupleIJPjSI_NS0_16reverse_iteratorISI_EEEEENSH_IJSG_SG_SG_EEES9_SI_JZNS1_25segmented_radix_sort_implINS0_14default_configELb0EPKlPlSQ_SR_N2at6native12_GLOBAL__N_18offset_tEEE10hipError_tPvRmT1_PNSt15iterator_traitsISZ_E10value_typeET2_T3_PNS10_IS15_E10value_typeET4_jRbjT5_S1B_jjP12ihipStream_tbEUljE_ZNSN_ISO_Lb0ESQ_SR_SQ_SR_SV_EESW_SX_SY_SZ_S13_S14_S15_S18_S19_jS1A_jS1B_S1B_jjS1D_bEUljE0_EEESW_SX_SY_S15_S19_S1B_T6_T7_T9_mT8_S1D_bDpT10_ENKUlT_T0_E_clISt17integral_constantIbLb1EES1R_EEDaS1M_S1N_EUlS1M_E_NS1_11comp_targetILNS1_3genE2ELNS1_11target_archE906ELNS1_3gpuE6ELNS1_3repE0EEENS1_30default_config_static_selectorELNS0_4arch9wavefront6targetE0EEEvSZ_,comdat
	.globl	_ZN7rocprim17ROCPRIM_400000_NS6detail17trampoline_kernelINS0_13select_configILj256ELj13ELNS0_17block_load_methodE3ELS4_3ELS4_3ELNS0_20block_scan_algorithmE0ELj4294967295EEENS1_25partition_config_selectorILNS1_17partition_subalgoE4EjNS0_10empty_typeEbEEZZNS1_14partition_implILS8_4ELb0ES6_15HIP_vector_typeIjLj2EENS0_17counting_iteratorIjlEEPS9_SG_NS0_5tupleIJPjSI_NS0_16reverse_iteratorISI_EEEEENSH_IJSG_SG_SG_EEES9_SI_JZNS1_25segmented_radix_sort_implINS0_14default_configELb0EPKlPlSQ_SR_N2at6native12_GLOBAL__N_18offset_tEEE10hipError_tPvRmT1_PNSt15iterator_traitsISZ_E10value_typeET2_T3_PNS10_IS15_E10value_typeET4_jRbjT5_S1B_jjP12ihipStream_tbEUljE_ZNSN_ISO_Lb0ESQ_SR_SQ_SR_SV_EESW_SX_SY_SZ_S13_S14_S15_S18_S19_jS1A_jS1B_S1B_jjS1D_bEUljE0_EEESW_SX_SY_S15_S19_S1B_T6_T7_T9_mT8_S1D_bDpT10_ENKUlT_T0_E_clISt17integral_constantIbLb1EES1R_EEDaS1M_S1N_EUlS1M_E_NS1_11comp_targetILNS1_3genE2ELNS1_11target_archE906ELNS1_3gpuE6ELNS1_3repE0EEENS1_30default_config_static_selectorELNS0_4arch9wavefront6targetE0EEEvSZ_ ; -- Begin function _ZN7rocprim17ROCPRIM_400000_NS6detail17trampoline_kernelINS0_13select_configILj256ELj13ELNS0_17block_load_methodE3ELS4_3ELS4_3ELNS0_20block_scan_algorithmE0ELj4294967295EEENS1_25partition_config_selectorILNS1_17partition_subalgoE4EjNS0_10empty_typeEbEEZZNS1_14partition_implILS8_4ELb0ES6_15HIP_vector_typeIjLj2EENS0_17counting_iteratorIjlEEPS9_SG_NS0_5tupleIJPjSI_NS0_16reverse_iteratorISI_EEEEENSH_IJSG_SG_SG_EEES9_SI_JZNS1_25segmented_radix_sort_implINS0_14default_configELb0EPKlPlSQ_SR_N2at6native12_GLOBAL__N_18offset_tEEE10hipError_tPvRmT1_PNSt15iterator_traitsISZ_E10value_typeET2_T3_PNS10_IS15_E10value_typeET4_jRbjT5_S1B_jjP12ihipStream_tbEUljE_ZNSN_ISO_Lb0ESQ_SR_SQ_SR_SV_EESW_SX_SY_SZ_S13_S14_S15_S18_S19_jS1A_jS1B_S1B_jjS1D_bEUljE0_EEESW_SX_SY_S15_S19_S1B_T6_T7_T9_mT8_S1D_bDpT10_ENKUlT_T0_E_clISt17integral_constantIbLb1EES1R_EEDaS1M_S1N_EUlS1M_E_NS1_11comp_targetILNS1_3genE2ELNS1_11target_archE906ELNS1_3gpuE6ELNS1_3repE0EEENS1_30default_config_static_selectorELNS0_4arch9wavefront6targetE0EEEvSZ_
	.p2align	8
	.type	_ZN7rocprim17ROCPRIM_400000_NS6detail17trampoline_kernelINS0_13select_configILj256ELj13ELNS0_17block_load_methodE3ELS4_3ELS4_3ELNS0_20block_scan_algorithmE0ELj4294967295EEENS1_25partition_config_selectorILNS1_17partition_subalgoE4EjNS0_10empty_typeEbEEZZNS1_14partition_implILS8_4ELb0ES6_15HIP_vector_typeIjLj2EENS0_17counting_iteratorIjlEEPS9_SG_NS0_5tupleIJPjSI_NS0_16reverse_iteratorISI_EEEEENSH_IJSG_SG_SG_EEES9_SI_JZNS1_25segmented_radix_sort_implINS0_14default_configELb0EPKlPlSQ_SR_N2at6native12_GLOBAL__N_18offset_tEEE10hipError_tPvRmT1_PNSt15iterator_traitsISZ_E10value_typeET2_T3_PNS10_IS15_E10value_typeET4_jRbjT5_S1B_jjP12ihipStream_tbEUljE_ZNSN_ISO_Lb0ESQ_SR_SQ_SR_SV_EESW_SX_SY_SZ_S13_S14_S15_S18_S19_jS1A_jS1B_S1B_jjS1D_bEUljE0_EEESW_SX_SY_S15_S19_S1B_T6_T7_T9_mT8_S1D_bDpT10_ENKUlT_T0_E_clISt17integral_constantIbLb1EES1R_EEDaS1M_S1N_EUlS1M_E_NS1_11comp_targetILNS1_3genE2ELNS1_11target_archE906ELNS1_3gpuE6ELNS1_3repE0EEENS1_30default_config_static_selectorELNS0_4arch9wavefront6targetE0EEEvSZ_,@function
_ZN7rocprim17ROCPRIM_400000_NS6detail17trampoline_kernelINS0_13select_configILj256ELj13ELNS0_17block_load_methodE3ELS4_3ELS4_3ELNS0_20block_scan_algorithmE0ELj4294967295EEENS1_25partition_config_selectorILNS1_17partition_subalgoE4EjNS0_10empty_typeEbEEZZNS1_14partition_implILS8_4ELb0ES6_15HIP_vector_typeIjLj2EENS0_17counting_iteratorIjlEEPS9_SG_NS0_5tupleIJPjSI_NS0_16reverse_iteratorISI_EEEEENSH_IJSG_SG_SG_EEES9_SI_JZNS1_25segmented_radix_sort_implINS0_14default_configELb0EPKlPlSQ_SR_N2at6native12_GLOBAL__N_18offset_tEEE10hipError_tPvRmT1_PNSt15iterator_traitsISZ_E10value_typeET2_T3_PNS10_IS15_E10value_typeET4_jRbjT5_S1B_jjP12ihipStream_tbEUljE_ZNSN_ISO_Lb0ESQ_SR_SQ_SR_SV_EESW_SX_SY_SZ_S13_S14_S15_S18_S19_jS1A_jS1B_S1B_jjS1D_bEUljE0_EEESW_SX_SY_S15_S19_S1B_T6_T7_T9_mT8_S1D_bDpT10_ENKUlT_T0_E_clISt17integral_constantIbLb1EES1R_EEDaS1M_S1N_EUlS1M_E_NS1_11comp_targetILNS1_3genE2ELNS1_11target_archE906ELNS1_3gpuE6ELNS1_3repE0EEENS1_30default_config_static_selectorELNS0_4arch9wavefront6targetE0EEEvSZ_: ; @_ZN7rocprim17ROCPRIM_400000_NS6detail17trampoline_kernelINS0_13select_configILj256ELj13ELNS0_17block_load_methodE3ELS4_3ELS4_3ELNS0_20block_scan_algorithmE0ELj4294967295EEENS1_25partition_config_selectorILNS1_17partition_subalgoE4EjNS0_10empty_typeEbEEZZNS1_14partition_implILS8_4ELb0ES6_15HIP_vector_typeIjLj2EENS0_17counting_iteratorIjlEEPS9_SG_NS0_5tupleIJPjSI_NS0_16reverse_iteratorISI_EEEEENSH_IJSG_SG_SG_EEES9_SI_JZNS1_25segmented_radix_sort_implINS0_14default_configELb0EPKlPlSQ_SR_N2at6native12_GLOBAL__N_18offset_tEEE10hipError_tPvRmT1_PNSt15iterator_traitsISZ_E10value_typeET2_T3_PNS10_IS15_E10value_typeET4_jRbjT5_S1B_jjP12ihipStream_tbEUljE_ZNSN_ISO_Lb0ESQ_SR_SQ_SR_SV_EESW_SX_SY_SZ_S13_S14_S15_S18_S19_jS1A_jS1B_S1B_jjS1D_bEUljE0_EEESW_SX_SY_S15_S19_S1B_T6_T7_T9_mT8_S1D_bDpT10_ENKUlT_T0_E_clISt17integral_constantIbLb1EES1R_EEDaS1M_S1N_EUlS1M_E_NS1_11comp_targetILNS1_3genE2ELNS1_11target_archE906ELNS1_3gpuE6ELNS1_3repE0EEENS1_30default_config_static_selectorELNS0_4arch9wavefront6targetE0EEEvSZ_
; %bb.0:
	.section	.rodata,"a",@progbits
	.p2align	6, 0x0
	.amdhsa_kernel _ZN7rocprim17ROCPRIM_400000_NS6detail17trampoline_kernelINS0_13select_configILj256ELj13ELNS0_17block_load_methodE3ELS4_3ELS4_3ELNS0_20block_scan_algorithmE0ELj4294967295EEENS1_25partition_config_selectorILNS1_17partition_subalgoE4EjNS0_10empty_typeEbEEZZNS1_14partition_implILS8_4ELb0ES6_15HIP_vector_typeIjLj2EENS0_17counting_iteratorIjlEEPS9_SG_NS0_5tupleIJPjSI_NS0_16reverse_iteratorISI_EEEEENSH_IJSG_SG_SG_EEES9_SI_JZNS1_25segmented_radix_sort_implINS0_14default_configELb0EPKlPlSQ_SR_N2at6native12_GLOBAL__N_18offset_tEEE10hipError_tPvRmT1_PNSt15iterator_traitsISZ_E10value_typeET2_T3_PNS10_IS15_E10value_typeET4_jRbjT5_S1B_jjP12ihipStream_tbEUljE_ZNSN_ISO_Lb0ESQ_SR_SQ_SR_SV_EESW_SX_SY_SZ_S13_S14_S15_S18_S19_jS1A_jS1B_S1B_jjS1D_bEUljE0_EEESW_SX_SY_S15_S19_S1B_T6_T7_T9_mT8_S1D_bDpT10_ENKUlT_T0_E_clISt17integral_constantIbLb1EES1R_EEDaS1M_S1N_EUlS1M_E_NS1_11comp_targetILNS1_3genE2ELNS1_11target_archE906ELNS1_3gpuE6ELNS1_3repE0EEENS1_30default_config_static_selectorELNS0_4arch9wavefront6targetE0EEEvSZ_
		.amdhsa_group_segment_fixed_size 0
		.amdhsa_private_segment_fixed_size 0
		.amdhsa_kernarg_size 184
		.amdhsa_user_sgpr_count 2
		.amdhsa_user_sgpr_dispatch_ptr 0
		.amdhsa_user_sgpr_queue_ptr 0
		.amdhsa_user_sgpr_kernarg_segment_ptr 1
		.amdhsa_user_sgpr_dispatch_id 0
		.amdhsa_user_sgpr_kernarg_preload_length 0
		.amdhsa_user_sgpr_kernarg_preload_offset 0
		.amdhsa_user_sgpr_private_segment_size 0
		.amdhsa_wavefront_size32 1
		.amdhsa_uses_dynamic_stack 0
		.amdhsa_enable_private_segment 0
		.amdhsa_system_sgpr_workgroup_id_x 1
		.amdhsa_system_sgpr_workgroup_id_y 0
		.amdhsa_system_sgpr_workgroup_id_z 0
		.amdhsa_system_sgpr_workgroup_info 0
		.amdhsa_system_vgpr_workitem_id 0
		.amdhsa_next_free_vgpr 1
		.amdhsa_next_free_sgpr 1
		.amdhsa_named_barrier_count 0
		.amdhsa_reserve_vcc 0
		.amdhsa_float_round_mode_32 0
		.amdhsa_float_round_mode_16_64 0
		.amdhsa_float_denorm_mode_32 3
		.amdhsa_float_denorm_mode_16_64 3
		.amdhsa_fp16_overflow 0
		.amdhsa_memory_ordered 1
		.amdhsa_forward_progress 1
		.amdhsa_inst_pref_size 0
		.amdhsa_round_robin_scheduling 0
		.amdhsa_exception_fp_ieee_invalid_op 0
		.amdhsa_exception_fp_denorm_src 0
		.amdhsa_exception_fp_ieee_div_zero 0
		.amdhsa_exception_fp_ieee_overflow 0
		.amdhsa_exception_fp_ieee_underflow 0
		.amdhsa_exception_fp_ieee_inexact 0
		.amdhsa_exception_int_div_zero 0
	.end_amdhsa_kernel
	.section	.text._ZN7rocprim17ROCPRIM_400000_NS6detail17trampoline_kernelINS0_13select_configILj256ELj13ELNS0_17block_load_methodE3ELS4_3ELS4_3ELNS0_20block_scan_algorithmE0ELj4294967295EEENS1_25partition_config_selectorILNS1_17partition_subalgoE4EjNS0_10empty_typeEbEEZZNS1_14partition_implILS8_4ELb0ES6_15HIP_vector_typeIjLj2EENS0_17counting_iteratorIjlEEPS9_SG_NS0_5tupleIJPjSI_NS0_16reverse_iteratorISI_EEEEENSH_IJSG_SG_SG_EEES9_SI_JZNS1_25segmented_radix_sort_implINS0_14default_configELb0EPKlPlSQ_SR_N2at6native12_GLOBAL__N_18offset_tEEE10hipError_tPvRmT1_PNSt15iterator_traitsISZ_E10value_typeET2_T3_PNS10_IS15_E10value_typeET4_jRbjT5_S1B_jjP12ihipStream_tbEUljE_ZNSN_ISO_Lb0ESQ_SR_SQ_SR_SV_EESW_SX_SY_SZ_S13_S14_S15_S18_S19_jS1A_jS1B_S1B_jjS1D_bEUljE0_EEESW_SX_SY_S15_S19_S1B_T6_T7_T9_mT8_S1D_bDpT10_ENKUlT_T0_E_clISt17integral_constantIbLb1EES1R_EEDaS1M_S1N_EUlS1M_E_NS1_11comp_targetILNS1_3genE2ELNS1_11target_archE906ELNS1_3gpuE6ELNS1_3repE0EEENS1_30default_config_static_selectorELNS0_4arch9wavefront6targetE0EEEvSZ_,"axG",@progbits,_ZN7rocprim17ROCPRIM_400000_NS6detail17trampoline_kernelINS0_13select_configILj256ELj13ELNS0_17block_load_methodE3ELS4_3ELS4_3ELNS0_20block_scan_algorithmE0ELj4294967295EEENS1_25partition_config_selectorILNS1_17partition_subalgoE4EjNS0_10empty_typeEbEEZZNS1_14partition_implILS8_4ELb0ES6_15HIP_vector_typeIjLj2EENS0_17counting_iteratorIjlEEPS9_SG_NS0_5tupleIJPjSI_NS0_16reverse_iteratorISI_EEEEENSH_IJSG_SG_SG_EEES9_SI_JZNS1_25segmented_radix_sort_implINS0_14default_configELb0EPKlPlSQ_SR_N2at6native12_GLOBAL__N_18offset_tEEE10hipError_tPvRmT1_PNSt15iterator_traitsISZ_E10value_typeET2_T3_PNS10_IS15_E10value_typeET4_jRbjT5_S1B_jjP12ihipStream_tbEUljE_ZNSN_ISO_Lb0ESQ_SR_SQ_SR_SV_EESW_SX_SY_SZ_S13_S14_S15_S18_S19_jS1A_jS1B_S1B_jjS1D_bEUljE0_EEESW_SX_SY_S15_S19_S1B_T6_T7_T9_mT8_S1D_bDpT10_ENKUlT_T0_E_clISt17integral_constantIbLb1EES1R_EEDaS1M_S1N_EUlS1M_E_NS1_11comp_targetILNS1_3genE2ELNS1_11target_archE906ELNS1_3gpuE6ELNS1_3repE0EEENS1_30default_config_static_selectorELNS0_4arch9wavefront6targetE0EEEvSZ_,comdat
.Lfunc_end751:
	.size	_ZN7rocprim17ROCPRIM_400000_NS6detail17trampoline_kernelINS0_13select_configILj256ELj13ELNS0_17block_load_methodE3ELS4_3ELS4_3ELNS0_20block_scan_algorithmE0ELj4294967295EEENS1_25partition_config_selectorILNS1_17partition_subalgoE4EjNS0_10empty_typeEbEEZZNS1_14partition_implILS8_4ELb0ES6_15HIP_vector_typeIjLj2EENS0_17counting_iteratorIjlEEPS9_SG_NS0_5tupleIJPjSI_NS0_16reverse_iteratorISI_EEEEENSH_IJSG_SG_SG_EEES9_SI_JZNS1_25segmented_radix_sort_implINS0_14default_configELb0EPKlPlSQ_SR_N2at6native12_GLOBAL__N_18offset_tEEE10hipError_tPvRmT1_PNSt15iterator_traitsISZ_E10value_typeET2_T3_PNS10_IS15_E10value_typeET4_jRbjT5_S1B_jjP12ihipStream_tbEUljE_ZNSN_ISO_Lb0ESQ_SR_SQ_SR_SV_EESW_SX_SY_SZ_S13_S14_S15_S18_S19_jS1A_jS1B_S1B_jjS1D_bEUljE0_EEESW_SX_SY_S15_S19_S1B_T6_T7_T9_mT8_S1D_bDpT10_ENKUlT_T0_E_clISt17integral_constantIbLb1EES1R_EEDaS1M_S1N_EUlS1M_E_NS1_11comp_targetILNS1_3genE2ELNS1_11target_archE906ELNS1_3gpuE6ELNS1_3repE0EEENS1_30default_config_static_selectorELNS0_4arch9wavefront6targetE0EEEvSZ_, .Lfunc_end751-_ZN7rocprim17ROCPRIM_400000_NS6detail17trampoline_kernelINS0_13select_configILj256ELj13ELNS0_17block_load_methodE3ELS4_3ELS4_3ELNS0_20block_scan_algorithmE0ELj4294967295EEENS1_25partition_config_selectorILNS1_17partition_subalgoE4EjNS0_10empty_typeEbEEZZNS1_14partition_implILS8_4ELb0ES6_15HIP_vector_typeIjLj2EENS0_17counting_iteratorIjlEEPS9_SG_NS0_5tupleIJPjSI_NS0_16reverse_iteratorISI_EEEEENSH_IJSG_SG_SG_EEES9_SI_JZNS1_25segmented_radix_sort_implINS0_14default_configELb0EPKlPlSQ_SR_N2at6native12_GLOBAL__N_18offset_tEEE10hipError_tPvRmT1_PNSt15iterator_traitsISZ_E10value_typeET2_T3_PNS10_IS15_E10value_typeET4_jRbjT5_S1B_jjP12ihipStream_tbEUljE_ZNSN_ISO_Lb0ESQ_SR_SQ_SR_SV_EESW_SX_SY_SZ_S13_S14_S15_S18_S19_jS1A_jS1B_S1B_jjS1D_bEUljE0_EEESW_SX_SY_S15_S19_S1B_T6_T7_T9_mT8_S1D_bDpT10_ENKUlT_T0_E_clISt17integral_constantIbLb1EES1R_EEDaS1M_S1N_EUlS1M_E_NS1_11comp_targetILNS1_3genE2ELNS1_11target_archE906ELNS1_3gpuE6ELNS1_3repE0EEENS1_30default_config_static_selectorELNS0_4arch9wavefront6targetE0EEEvSZ_
                                        ; -- End function
	.set _ZN7rocprim17ROCPRIM_400000_NS6detail17trampoline_kernelINS0_13select_configILj256ELj13ELNS0_17block_load_methodE3ELS4_3ELS4_3ELNS0_20block_scan_algorithmE0ELj4294967295EEENS1_25partition_config_selectorILNS1_17partition_subalgoE4EjNS0_10empty_typeEbEEZZNS1_14partition_implILS8_4ELb0ES6_15HIP_vector_typeIjLj2EENS0_17counting_iteratorIjlEEPS9_SG_NS0_5tupleIJPjSI_NS0_16reverse_iteratorISI_EEEEENSH_IJSG_SG_SG_EEES9_SI_JZNS1_25segmented_radix_sort_implINS0_14default_configELb0EPKlPlSQ_SR_N2at6native12_GLOBAL__N_18offset_tEEE10hipError_tPvRmT1_PNSt15iterator_traitsISZ_E10value_typeET2_T3_PNS10_IS15_E10value_typeET4_jRbjT5_S1B_jjP12ihipStream_tbEUljE_ZNSN_ISO_Lb0ESQ_SR_SQ_SR_SV_EESW_SX_SY_SZ_S13_S14_S15_S18_S19_jS1A_jS1B_S1B_jjS1D_bEUljE0_EEESW_SX_SY_S15_S19_S1B_T6_T7_T9_mT8_S1D_bDpT10_ENKUlT_T0_E_clISt17integral_constantIbLb1EES1R_EEDaS1M_S1N_EUlS1M_E_NS1_11comp_targetILNS1_3genE2ELNS1_11target_archE906ELNS1_3gpuE6ELNS1_3repE0EEENS1_30default_config_static_selectorELNS0_4arch9wavefront6targetE0EEEvSZ_.num_vgpr, 0
	.set _ZN7rocprim17ROCPRIM_400000_NS6detail17trampoline_kernelINS0_13select_configILj256ELj13ELNS0_17block_load_methodE3ELS4_3ELS4_3ELNS0_20block_scan_algorithmE0ELj4294967295EEENS1_25partition_config_selectorILNS1_17partition_subalgoE4EjNS0_10empty_typeEbEEZZNS1_14partition_implILS8_4ELb0ES6_15HIP_vector_typeIjLj2EENS0_17counting_iteratorIjlEEPS9_SG_NS0_5tupleIJPjSI_NS0_16reverse_iteratorISI_EEEEENSH_IJSG_SG_SG_EEES9_SI_JZNS1_25segmented_radix_sort_implINS0_14default_configELb0EPKlPlSQ_SR_N2at6native12_GLOBAL__N_18offset_tEEE10hipError_tPvRmT1_PNSt15iterator_traitsISZ_E10value_typeET2_T3_PNS10_IS15_E10value_typeET4_jRbjT5_S1B_jjP12ihipStream_tbEUljE_ZNSN_ISO_Lb0ESQ_SR_SQ_SR_SV_EESW_SX_SY_SZ_S13_S14_S15_S18_S19_jS1A_jS1B_S1B_jjS1D_bEUljE0_EEESW_SX_SY_S15_S19_S1B_T6_T7_T9_mT8_S1D_bDpT10_ENKUlT_T0_E_clISt17integral_constantIbLb1EES1R_EEDaS1M_S1N_EUlS1M_E_NS1_11comp_targetILNS1_3genE2ELNS1_11target_archE906ELNS1_3gpuE6ELNS1_3repE0EEENS1_30default_config_static_selectorELNS0_4arch9wavefront6targetE0EEEvSZ_.num_agpr, 0
	.set _ZN7rocprim17ROCPRIM_400000_NS6detail17trampoline_kernelINS0_13select_configILj256ELj13ELNS0_17block_load_methodE3ELS4_3ELS4_3ELNS0_20block_scan_algorithmE0ELj4294967295EEENS1_25partition_config_selectorILNS1_17partition_subalgoE4EjNS0_10empty_typeEbEEZZNS1_14partition_implILS8_4ELb0ES6_15HIP_vector_typeIjLj2EENS0_17counting_iteratorIjlEEPS9_SG_NS0_5tupleIJPjSI_NS0_16reverse_iteratorISI_EEEEENSH_IJSG_SG_SG_EEES9_SI_JZNS1_25segmented_radix_sort_implINS0_14default_configELb0EPKlPlSQ_SR_N2at6native12_GLOBAL__N_18offset_tEEE10hipError_tPvRmT1_PNSt15iterator_traitsISZ_E10value_typeET2_T3_PNS10_IS15_E10value_typeET4_jRbjT5_S1B_jjP12ihipStream_tbEUljE_ZNSN_ISO_Lb0ESQ_SR_SQ_SR_SV_EESW_SX_SY_SZ_S13_S14_S15_S18_S19_jS1A_jS1B_S1B_jjS1D_bEUljE0_EEESW_SX_SY_S15_S19_S1B_T6_T7_T9_mT8_S1D_bDpT10_ENKUlT_T0_E_clISt17integral_constantIbLb1EES1R_EEDaS1M_S1N_EUlS1M_E_NS1_11comp_targetILNS1_3genE2ELNS1_11target_archE906ELNS1_3gpuE6ELNS1_3repE0EEENS1_30default_config_static_selectorELNS0_4arch9wavefront6targetE0EEEvSZ_.numbered_sgpr, 0
	.set _ZN7rocprim17ROCPRIM_400000_NS6detail17trampoline_kernelINS0_13select_configILj256ELj13ELNS0_17block_load_methodE3ELS4_3ELS4_3ELNS0_20block_scan_algorithmE0ELj4294967295EEENS1_25partition_config_selectorILNS1_17partition_subalgoE4EjNS0_10empty_typeEbEEZZNS1_14partition_implILS8_4ELb0ES6_15HIP_vector_typeIjLj2EENS0_17counting_iteratorIjlEEPS9_SG_NS0_5tupleIJPjSI_NS0_16reverse_iteratorISI_EEEEENSH_IJSG_SG_SG_EEES9_SI_JZNS1_25segmented_radix_sort_implINS0_14default_configELb0EPKlPlSQ_SR_N2at6native12_GLOBAL__N_18offset_tEEE10hipError_tPvRmT1_PNSt15iterator_traitsISZ_E10value_typeET2_T3_PNS10_IS15_E10value_typeET4_jRbjT5_S1B_jjP12ihipStream_tbEUljE_ZNSN_ISO_Lb0ESQ_SR_SQ_SR_SV_EESW_SX_SY_SZ_S13_S14_S15_S18_S19_jS1A_jS1B_S1B_jjS1D_bEUljE0_EEESW_SX_SY_S15_S19_S1B_T6_T7_T9_mT8_S1D_bDpT10_ENKUlT_T0_E_clISt17integral_constantIbLb1EES1R_EEDaS1M_S1N_EUlS1M_E_NS1_11comp_targetILNS1_3genE2ELNS1_11target_archE906ELNS1_3gpuE6ELNS1_3repE0EEENS1_30default_config_static_selectorELNS0_4arch9wavefront6targetE0EEEvSZ_.num_named_barrier, 0
	.set _ZN7rocprim17ROCPRIM_400000_NS6detail17trampoline_kernelINS0_13select_configILj256ELj13ELNS0_17block_load_methodE3ELS4_3ELS4_3ELNS0_20block_scan_algorithmE0ELj4294967295EEENS1_25partition_config_selectorILNS1_17partition_subalgoE4EjNS0_10empty_typeEbEEZZNS1_14partition_implILS8_4ELb0ES6_15HIP_vector_typeIjLj2EENS0_17counting_iteratorIjlEEPS9_SG_NS0_5tupleIJPjSI_NS0_16reverse_iteratorISI_EEEEENSH_IJSG_SG_SG_EEES9_SI_JZNS1_25segmented_radix_sort_implINS0_14default_configELb0EPKlPlSQ_SR_N2at6native12_GLOBAL__N_18offset_tEEE10hipError_tPvRmT1_PNSt15iterator_traitsISZ_E10value_typeET2_T3_PNS10_IS15_E10value_typeET4_jRbjT5_S1B_jjP12ihipStream_tbEUljE_ZNSN_ISO_Lb0ESQ_SR_SQ_SR_SV_EESW_SX_SY_SZ_S13_S14_S15_S18_S19_jS1A_jS1B_S1B_jjS1D_bEUljE0_EEESW_SX_SY_S15_S19_S1B_T6_T7_T9_mT8_S1D_bDpT10_ENKUlT_T0_E_clISt17integral_constantIbLb1EES1R_EEDaS1M_S1N_EUlS1M_E_NS1_11comp_targetILNS1_3genE2ELNS1_11target_archE906ELNS1_3gpuE6ELNS1_3repE0EEENS1_30default_config_static_selectorELNS0_4arch9wavefront6targetE0EEEvSZ_.private_seg_size, 0
	.set _ZN7rocprim17ROCPRIM_400000_NS6detail17trampoline_kernelINS0_13select_configILj256ELj13ELNS0_17block_load_methodE3ELS4_3ELS4_3ELNS0_20block_scan_algorithmE0ELj4294967295EEENS1_25partition_config_selectorILNS1_17partition_subalgoE4EjNS0_10empty_typeEbEEZZNS1_14partition_implILS8_4ELb0ES6_15HIP_vector_typeIjLj2EENS0_17counting_iteratorIjlEEPS9_SG_NS0_5tupleIJPjSI_NS0_16reverse_iteratorISI_EEEEENSH_IJSG_SG_SG_EEES9_SI_JZNS1_25segmented_radix_sort_implINS0_14default_configELb0EPKlPlSQ_SR_N2at6native12_GLOBAL__N_18offset_tEEE10hipError_tPvRmT1_PNSt15iterator_traitsISZ_E10value_typeET2_T3_PNS10_IS15_E10value_typeET4_jRbjT5_S1B_jjP12ihipStream_tbEUljE_ZNSN_ISO_Lb0ESQ_SR_SQ_SR_SV_EESW_SX_SY_SZ_S13_S14_S15_S18_S19_jS1A_jS1B_S1B_jjS1D_bEUljE0_EEESW_SX_SY_S15_S19_S1B_T6_T7_T9_mT8_S1D_bDpT10_ENKUlT_T0_E_clISt17integral_constantIbLb1EES1R_EEDaS1M_S1N_EUlS1M_E_NS1_11comp_targetILNS1_3genE2ELNS1_11target_archE906ELNS1_3gpuE6ELNS1_3repE0EEENS1_30default_config_static_selectorELNS0_4arch9wavefront6targetE0EEEvSZ_.uses_vcc, 0
	.set _ZN7rocprim17ROCPRIM_400000_NS6detail17trampoline_kernelINS0_13select_configILj256ELj13ELNS0_17block_load_methodE3ELS4_3ELS4_3ELNS0_20block_scan_algorithmE0ELj4294967295EEENS1_25partition_config_selectorILNS1_17partition_subalgoE4EjNS0_10empty_typeEbEEZZNS1_14partition_implILS8_4ELb0ES6_15HIP_vector_typeIjLj2EENS0_17counting_iteratorIjlEEPS9_SG_NS0_5tupleIJPjSI_NS0_16reverse_iteratorISI_EEEEENSH_IJSG_SG_SG_EEES9_SI_JZNS1_25segmented_radix_sort_implINS0_14default_configELb0EPKlPlSQ_SR_N2at6native12_GLOBAL__N_18offset_tEEE10hipError_tPvRmT1_PNSt15iterator_traitsISZ_E10value_typeET2_T3_PNS10_IS15_E10value_typeET4_jRbjT5_S1B_jjP12ihipStream_tbEUljE_ZNSN_ISO_Lb0ESQ_SR_SQ_SR_SV_EESW_SX_SY_SZ_S13_S14_S15_S18_S19_jS1A_jS1B_S1B_jjS1D_bEUljE0_EEESW_SX_SY_S15_S19_S1B_T6_T7_T9_mT8_S1D_bDpT10_ENKUlT_T0_E_clISt17integral_constantIbLb1EES1R_EEDaS1M_S1N_EUlS1M_E_NS1_11comp_targetILNS1_3genE2ELNS1_11target_archE906ELNS1_3gpuE6ELNS1_3repE0EEENS1_30default_config_static_selectorELNS0_4arch9wavefront6targetE0EEEvSZ_.uses_flat_scratch, 0
	.set _ZN7rocprim17ROCPRIM_400000_NS6detail17trampoline_kernelINS0_13select_configILj256ELj13ELNS0_17block_load_methodE3ELS4_3ELS4_3ELNS0_20block_scan_algorithmE0ELj4294967295EEENS1_25partition_config_selectorILNS1_17partition_subalgoE4EjNS0_10empty_typeEbEEZZNS1_14partition_implILS8_4ELb0ES6_15HIP_vector_typeIjLj2EENS0_17counting_iteratorIjlEEPS9_SG_NS0_5tupleIJPjSI_NS0_16reverse_iteratorISI_EEEEENSH_IJSG_SG_SG_EEES9_SI_JZNS1_25segmented_radix_sort_implINS0_14default_configELb0EPKlPlSQ_SR_N2at6native12_GLOBAL__N_18offset_tEEE10hipError_tPvRmT1_PNSt15iterator_traitsISZ_E10value_typeET2_T3_PNS10_IS15_E10value_typeET4_jRbjT5_S1B_jjP12ihipStream_tbEUljE_ZNSN_ISO_Lb0ESQ_SR_SQ_SR_SV_EESW_SX_SY_SZ_S13_S14_S15_S18_S19_jS1A_jS1B_S1B_jjS1D_bEUljE0_EEESW_SX_SY_S15_S19_S1B_T6_T7_T9_mT8_S1D_bDpT10_ENKUlT_T0_E_clISt17integral_constantIbLb1EES1R_EEDaS1M_S1N_EUlS1M_E_NS1_11comp_targetILNS1_3genE2ELNS1_11target_archE906ELNS1_3gpuE6ELNS1_3repE0EEENS1_30default_config_static_selectorELNS0_4arch9wavefront6targetE0EEEvSZ_.has_dyn_sized_stack, 0
	.set _ZN7rocprim17ROCPRIM_400000_NS6detail17trampoline_kernelINS0_13select_configILj256ELj13ELNS0_17block_load_methodE3ELS4_3ELS4_3ELNS0_20block_scan_algorithmE0ELj4294967295EEENS1_25partition_config_selectorILNS1_17partition_subalgoE4EjNS0_10empty_typeEbEEZZNS1_14partition_implILS8_4ELb0ES6_15HIP_vector_typeIjLj2EENS0_17counting_iteratorIjlEEPS9_SG_NS0_5tupleIJPjSI_NS0_16reverse_iteratorISI_EEEEENSH_IJSG_SG_SG_EEES9_SI_JZNS1_25segmented_radix_sort_implINS0_14default_configELb0EPKlPlSQ_SR_N2at6native12_GLOBAL__N_18offset_tEEE10hipError_tPvRmT1_PNSt15iterator_traitsISZ_E10value_typeET2_T3_PNS10_IS15_E10value_typeET4_jRbjT5_S1B_jjP12ihipStream_tbEUljE_ZNSN_ISO_Lb0ESQ_SR_SQ_SR_SV_EESW_SX_SY_SZ_S13_S14_S15_S18_S19_jS1A_jS1B_S1B_jjS1D_bEUljE0_EEESW_SX_SY_S15_S19_S1B_T6_T7_T9_mT8_S1D_bDpT10_ENKUlT_T0_E_clISt17integral_constantIbLb1EES1R_EEDaS1M_S1N_EUlS1M_E_NS1_11comp_targetILNS1_3genE2ELNS1_11target_archE906ELNS1_3gpuE6ELNS1_3repE0EEENS1_30default_config_static_selectorELNS0_4arch9wavefront6targetE0EEEvSZ_.has_recursion, 0
	.set _ZN7rocprim17ROCPRIM_400000_NS6detail17trampoline_kernelINS0_13select_configILj256ELj13ELNS0_17block_load_methodE3ELS4_3ELS4_3ELNS0_20block_scan_algorithmE0ELj4294967295EEENS1_25partition_config_selectorILNS1_17partition_subalgoE4EjNS0_10empty_typeEbEEZZNS1_14partition_implILS8_4ELb0ES6_15HIP_vector_typeIjLj2EENS0_17counting_iteratorIjlEEPS9_SG_NS0_5tupleIJPjSI_NS0_16reverse_iteratorISI_EEEEENSH_IJSG_SG_SG_EEES9_SI_JZNS1_25segmented_radix_sort_implINS0_14default_configELb0EPKlPlSQ_SR_N2at6native12_GLOBAL__N_18offset_tEEE10hipError_tPvRmT1_PNSt15iterator_traitsISZ_E10value_typeET2_T3_PNS10_IS15_E10value_typeET4_jRbjT5_S1B_jjP12ihipStream_tbEUljE_ZNSN_ISO_Lb0ESQ_SR_SQ_SR_SV_EESW_SX_SY_SZ_S13_S14_S15_S18_S19_jS1A_jS1B_S1B_jjS1D_bEUljE0_EEESW_SX_SY_S15_S19_S1B_T6_T7_T9_mT8_S1D_bDpT10_ENKUlT_T0_E_clISt17integral_constantIbLb1EES1R_EEDaS1M_S1N_EUlS1M_E_NS1_11comp_targetILNS1_3genE2ELNS1_11target_archE906ELNS1_3gpuE6ELNS1_3repE0EEENS1_30default_config_static_selectorELNS0_4arch9wavefront6targetE0EEEvSZ_.has_indirect_call, 0
	.section	.AMDGPU.csdata,"",@progbits
; Kernel info:
; codeLenInByte = 0
; TotalNumSgprs: 0
; NumVgprs: 0
; ScratchSize: 0
; MemoryBound: 0
; FloatMode: 240
; IeeeMode: 1
; LDSByteSize: 0 bytes/workgroup (compile time only)
; SGPRBlocks: 0
; VGPRBlocks: 0
; NumSGPRsForWavesPerEU: 1
; NumVGPRsForWavesPerEU: 1
; NamedBarCnt: 0
; Occupancy: 16
; WaveLimiterHint : 0
; COMPUTE_PGM_RSRC2:SCRATCH_EN: 0
; COMPUTE_PGM_RSRC2:USER_SGPR: 2
; COMPUTE_PGM_RSRC2:TRAP_HANDLER: 0
; COMPUTE_PGM_RSRC2:TGID_X_EN: 1
; COMPUTE_PGM_RSRC2:TGID_Y_EN: 0
; COMPUTE_PGM_RSRC2:TGID_Z_EN: 0
; COMPUTE_PGM_RSRC2:TIDIG_COMP_CNT: 0
	.section	.text._ZN7rocprim17ROCPRIM_400000_NS6detail17trampoline_kernelINS0_13select_configILj256ELj13ELNS0_17block_load_methodE3ELS4_3ELS4_3ELNS0_20block_scan_algorithmE0ELj4294967295EEENS1_25partition_config_selectorILNS1_17partition_subalgoE4EjNS0_10empty_typeEbEEZZNS1_14partition_implILS8_4ELb0ES6_15HIP_vector_typeIjLj2EENS0_17counting_iteratorIjlEEPS9_SG_NS0_5tupleIJPjSI_NS0_16reverse_iteratorISI_EEEEENSH_IJSG_SG_SG_EEES9_SI_JZNS1_25segmented_radix_sort_implINS0_14default_configELb0EPKlPlSQ_SR_N2at6native12_GLOBAL__N_18offset_tEEE10hipError_tPvRmT1_PNSt15iterator_traitsISZ_E10value_typeET2_T3_PNS10_IS15_E10value_typeET4_jRbjT5_S1B_jjP12ihipStream_tbEUljE_ZNSN_ISO_Lb0ESQ_SR_SQ_SR_SV_EESW_SX_SY_SZ_S13_S14_S15_S18_S19_jS1A_jS1B_S1B_jjS1D_bEUljE0_EEESW_SX_SY_S15_S19_S1B_T6_T7_T9_mT8_S1D_bDpT10_ENKUlT_T0_E_clISt17integral_constantIbLb1EES1R_EEDaS1M_S1N_EUlS1M_E_NS1_11comp_targetILNS1_3genE10ELNS1_11target_archE1200ELNS1_3gpuE4ELNS1_3repE0EEENS1_30default_config_static_selectorELNS0_4arch9wavefront6targetE0EEEvSZ_,"axG",@progbits,_ZN7rocprim17ROCPRIM_400000_NS6detail17trampoline_kernelINS0_13select_configILj256ELj13ELNS0_17block_load_methodE3ELS4_3ELS4_3ELNS0_20block_scan_algorithmE0ELj4294967295EEENS1_25partition_config_selectorILNS1_17partition_subalgoE4EjNS0_10empty_typeEbEEZZNS1_14partition_implILS8_4ELb0ES6_15HIP_vector_typeIjLj2EENS0_17counting_iteratorIjlEEPS9_SG_NS0_5tupleIJPjSI_NS0_16reverse_iteratorISI_EEEEENSH_IJSG_SG_SG_EEES9_SI_JZNS1_25segmented_radix_sort_implINS0_14default_configELb0EPKlPlSQ_SR_N2at6native12_GLOBAL__N_18offset_tEEE10hipError_tPvRmT1_PNSt15iterator_traitsISZ_E10value_typeET2_T3_PNS10_IS15_E10value_typeET4_jRbjT5_S1B_jjP12ihipStream_tbEUljE_ZNSN_ISO_Lb0ESQ_SR_SQ_SR_SV_EESW_SX_SY_SZ_S13_S14_S15_S18_S19_jS1A_jS1B_S1B_jjS1D_bEUljE0_EEESW_SX_SY_S15_S19_S1B_T6_T7_T9_mT8_S1D_bDpT10_ENKUlT_T0_E_clISt17integral_constantIbLb1EES1R_EEDaS1M_S1N_EUlS1M_E_NS1_11comp_targetILNS1_3genE10ELNS1_11target_archE1200ELNS1_3gpuE4ELNS1_3repE0EEENS1_30default_config_static_selectorELNS0_4arch9wavefront6targetE0EEEvSZ_,comdat
	.globl	_ZN7rocprim17ROCPRIM_400000_NS6detail17trampoline_kernelINS0_13select_configILj256ELj13ELNS0_17block_load_methodE3ELS4_3ELS4_3ELNS0_20block_scan_algorithmE0ELj4294967295EEENS1_25partition_config_selectorILNS1_17partition_subalgoE4EjNS0_10empty_typeEbEEZZNS1_14partition_implILS8_4ELb0ES6_15HIP_vector_typeIjLj2EENS0_17counting_iteratorIjlEEPS9_SG_NS0_5tupleIJPjSI_NS0_16reverse_iteratorISI_EEEEENSH_IJSG_SG_SG_EEES9_SI_JZNS1_25segmented_radix_sort_implINS0_14default_configELb0EPKlPlSQ_SR_N2at6native12_GLOBAL__N_18offset_tEEE10hipError_tPvRmT1_PNSt15iterator_traitsISZ_E10value_typeET2_T3_PNS10_IS15_E10value_typeET4_jRbjT5_S1B_jjP12ihipStream_tbEUljE_ZNSN_ISO_Lb0ESQ_SR_SQ_SR_SV_EESW_SX_SY_SZ_S13_S14_S15_S18_S19_jS1A_jS1B_S1B_jjS1D_bEUljE0_EEESW_SX_SY_S15_S19_S1B_T6_T7_T9_mT8_S1D_bDpT10_ENKUlT_T0_E_clISt17integral_constantIbLb1EES1R_EEDaS1M_S1N_EUlS1M_E_NS1_11comp_targetILNS1_3genE10ELNS1_11target_archE1200ELNS1_3gpuE4ELNS1_3repE0EEENS1_30default_config_static_selectorELNS0_4arch9wavefront6targetE0EEEvSZ_ ; -- Begin function _ZN7rocprim17ROCPRIM_400000_NS6detail17trampoline_kernelINS0_13select_configILj256ELj13ELNS0_17block_load_methodE3ELS4_3ELS4_3ELNS0_20block_scan_algorithmE0ELj4294967295EEENS1_25partition_config_selectorILNS1_17partition_subalgoE4EjNS0_10empty_typeEbEEZZNS1_14partition_implILS8_4ELb0ES6_15HIP_vector_typeIjLj2EENS0_17counting_iteratorIjlEEPS9_SG_NS0_5tupleIJPjSI_NS0_16reverse_iteratorISI_EEEEENSH_IJSG_SG_SG_EEES9_SI_JZNS1_25segmented_radix_sort_implINS0_14default_configELb0EPKlPlSQ_SR_N2at6native12_GLOBAL__N_18offset_tEEE10hipError_tPvRmT1_PNSt15iterator_traitsISZ_E10value_typeET2_T3_PNS10_IS15_E10value_typeET4_jRbjT5_S1B_jjP12ihipStream_tbEUljE_ZNSN_ISO_Lb0ESQ_SR_SQ_SR_SV_EESW_SX_SY_SZ_S13_S14_S15_S18_S19_jS1A_jS1B_S1B_jjS1D_bEUljE0_EEESW_SX_SY_S15_S19_S1B_T6_T7_T9_mT8_S1D_bDpT10_ENKUlT_T0_E_clISt17integral_constantIbLb1EES1R_EEDaS1M_S1N_EUlS1M_E_NS1_11comp_targetILNS1_3genE10ELNS1_11target_archE1200ELNS1_3gpuE4ELNS1_3repE0EEENS1_30default_config_static_selectorELNS0_4arch9wavefront6targetE0EEEvSZ_
	.p2align	8
	.type	_ZN7rocprim17ROCPRIM_400000_NS6detail17trampoline_kernelINS0_13select_configILj256ELj13ELNS0_17block_load_methodE3ELS4_3ELS4_3ELNS0_20block_scan_algorithmE0ELj4294967295EEENS1_25partition_config_selectorILNS1_17partition_subalgoE4EjNS0_10empty_typeEbEEZZNS1_14partition_implILS8_4ELb0ES6_15HIP_vector_typeIjLj2EENS0_17counting_iteratorIjlEEPS9_SG_NS0_5tupleIJPjSI_NS0_16reverse_iteratorISI_EEEEENSH_IJSG_SG_SG_EEES9_SI_JZNS1_25segmented_radix_sort_implINS0_14default_configELb0EPKlPlSQ_SR_N2at6native12_GLOBAL__N_18offset_tEEE10hipError_tPvRmT1_PNSt15iterator_traitsISZ_E10value_typeET2_T3_PNS10_IS15_E10value_typeET4_jRbjT5_S1B_jjP12ihipStream_tbEUljE_ZNSN_ISO_Lb0ESQ_SR_SQ_SR_SV_EESW_SX_SY_SZ_S13_S14_S15_S18_S19_jS1A_jS1B_S1B_jjS1D_bEUljE0_EEESW_SX_SY_S15_S19_S1B_T6_T7_T9_mT8_S1D_bDpT10_ENKUlT_T0_E_clISt17integral_constantIbLb1EES1R_EEDaS1M_S1N_EUlS1M_E_NS1_11comp_targetILNS1_3genE10ELNS1_11target_archE1200ELNS1_3gpuE4ELNS1_3repE0EEENS1_30default_config_static_selectorELNS0_4arch9wavefront6targetE0EEEvSZ_,@function
_ZN7rocprim17ROCPRIM_400000_NS6detail17trampoline_kernelINS0_13select_configILj256ELj13ELNS0_17block_load_methodE3ELS4_3ELS4_3ELNS0_20block_scan_algorithmE0ELj4294967295EEENS1_25partition_config_selectorILNS1_17partition_subalgoE4EjNS0_10empty_typeEbEEZZNS1_14partition_implILS8_4ELb0ES6_15HIP_vector_typeIjLj2EENS0_17counting_iteratorIjlEEPS9_SG_NS0_5tupleIJPjSI_NS0_16reverse_iteratorISI_EEEEENSH_IJSG_SG_SG_EEES9_SI_JZNS1_25segmented_radix_sort_implINS0_14default_configELb0EPKlPlSQ_SR_N2at6native12_GLOBAL__N_18offset_tEEE10hipError_tPvRmT1_PNSt15iterator_traitsISZ_E10value_typeET2_T3_PNS10_IS15_E10value_typeET4_jRbjT5_S1B_jjP12ihipStream_tbEUljE_ZNSN_ISO_Lb0ESQ_SR_SQ_SR_SV_EESW_SX_SY_SZ_S13_S14_S15_S18_S19_jS1A_jS1B_S1B_jjS1D_bEUljE0_EEESW_SX_SY_S15_S19_S1B_T6_T7_T9_mT8_S1D_bDpT10_ENKUlT_T0_E_clISt17integral_constantIbLb1EES1R_EEDaS1M_S1N_EUlS1M_E_NS1_11comp_targetILNS1_3genE10ELNS1_11target_archE1200ELNS1_3gpuE4ELNS1_3repE0EEENS1_30default_config_static_selectorELNS0_4arch9wavefront6targetE0EEEvSZ_: ; @_ZN7rocprim17ROCPRIM_400000_NS6detail17trampoline_kernelINS0_13select_configILj256ELj13ELNS0_17block_load_methodE3ELS4_3ELS4_3ELNS0_20block_scan_algorithmE0ELj4294967295EEENS1_25partition_config_selectorILNS1_17partition_subalgoE4EjNS0_10empty_typeEbEEZZNS1_14partition_implILS8_4ELb0ES6_15HIP_vector_typeIjLj2EENS0_17counting_iteratorIjlEEPS9_SG_NS0_5tupleIJPjSI_NS0_16reverse_iteratorISI_EEEEENSH_IJSG_SG_SG_EEES9_SI_JZNS1_25segmented_radix_sort_implINS0_14default_configELb0EPKlPlSQ_SR_N2at6native12_GLOBAL__N_18offset_tEEE10hipError_tPvRmT1_PNSt15iterator_traitsISZ_E10value_typeET2_T3_PNS10_IS15_E10value_typeET4_jRbjT5_S1B_jjP12ihipStream_tbEUljE_ZNSN_ISO_Lb0ESQ_SR_SQ_SR_SV_EESW_SX_SY_SZ_S13_S14_S15_S18_S19_jS1A_jS1B_S1B_jjS1D_bEUljE0_EEESW_SX_SY_S15_S19_S1B_T6_T7_T9_mT8_S1D_bDpT10_ENKUlT_T0_E_clISt17integral_constantIbLb1EES1R_EEDaS1M_S1N_EUlS1M_E_NS1_11comp_targetILNS1_3genE10ELNS1_11target_archE1200ELNS1_3gpuE4ELNS1_3repE0EEENS1_30default_config_static_selectorELNS0_4arch9wavefront6targetE0EEEvSZ_
; %bb.0:
	.section	.rodata,"a",@progbits
	.p2align	6, 0x0
	.amdhsa_kernel _ZN7rocprim17ROCPRIM_400000_NS6detail17trampoline_kernelINS0_13select_configILj256ELj13ELNS0_17block_load_methodE3ELS4_3ELS4_3ELNS0_20block_scan_algorithmE0ELj4294967295EEENS1_25partition_config_selectorILNS1_17partition_subalgoE4EjNS0_10empty_typeEbEEZZNS1_14partition_implILS8_4ELb0ES6_15HIP_vector_typeIjLj2EENS0_17counting_iteratorIjlEEPS9_SG_NS0_5tupleIJPjSI_NS0_16reverse_iteratorISI_EEEEENSH_IJSG_SG_SG_EEES9_SI_JZNS1_25segmented_radix_sort_implINS0_14default_configELb0EPKlPlSQ_SR_N2at6native12_GLOBAL__N_18offset_tEEE10hipError_tPvRmT1_PNSt15iterator_traitsISZ_E10value_typeET2_T3_PNS10_IS15_E10value_typeET4_jRbjT5_S1B_jjP12ihipStream_tbEUljE_ZNSN_ISO_Lb0ESQ_SR_SQ_SR_SV_EESW_SX_SY_SZ_S13_S14_S15_S18_S19_jS1A_jS1B_S1B_jjS1D_bEUljE0_EEESW_SX_SY_S15_S19_S1B_T6_T7_T9_mT8_S1D_bDpT10_ENKUlT_T0_E_clISt17integral_constantIbLb1EES1R_EEDaS1M_S1N_EUlS1M_E_NS1_11comp_targetILNS1_3genE10ELNS1_11target_archE1200ELNS1_3gpuE4ELNS1_3repE0EEENS1_30default_config_static_selectorELNS0_4arch9wavefront6targetE0EEEvSZ_
		.amdhsa_group_segment_fixed_size 0
		.amdhsa_private_segment_fixed_size 0
		.amdhsa_kernarg_size 184
		.amdhsa_user_sgpr_count 2
		.amdhsa_user_sgpr_dispatch_ptr 0
		.amdhsa_user_sgpr_queue_ptr 0
		.amdhsa_user_sgpr_kernarg_segment_ptr 1
		.amdhsa_user_sgpr_dispatch_id 0
		.amdhsa_user_sgpr_kernarg_preload_length 0
		.amdhsa_user_sgpr_kernarg_preload_offset 0
		.amdhsa_user_sgpr_private_segment_size 0
		.amdhsa_wavefront_size32 1
		.amdhsa_uses_dynamic_stack 0
		.amdhsa_enable_private_segment 0
		.amdhsa_system_sgpr_workgroup_id_x 1
		.amdhsa_system_sgpr_workgroup_id_y 0
		.amdhsa_system_sgpr_workgroup_id_z 0
		.amdhsa_system_sgpr_workgroup_info 0
		.amdhsa_system_vgpr_workitem_id 0
		.amdhsa_next_free_vgpr 1
		.amdhsa_next_free_sgpr 1
		.amdhsa_named_barrier_count 0
		.amdhsa_reserve_vcc 0
		.amdhsa_float_round_mode_32 0
		.amdhsa_float_round_mode_16_64 0
		.amdhsa_float_denorm_mode_32 3
		.amdhsa_float_denorm_mode_16_64 3
		.amdhsa_fp16_overflow 0
		.amdhsa_memory_ordered 1
		.amdhsa_forward_progress 1
		.amdhsa_inst_pref_size 0
		.amdhsa_round_robin_scheduling 0
		.amdhsa_exception_fp_ieee_invalid_op 0
		.amdhsa_exception_fp_denorm_src 0
		.amdhsa_exception_fp_ieee_div_zero 0
		.amdhsa_exception_fp_ieee_overflow 0
		.amdhsa_exception_fp_ieee_underflow 0
		.amdhsa_exception_fp_ieee_inexact 0
		.amdhsa_exception_int_div_zero 0
	.end_amdhsa_kernel
	.section	.text._ZN7rocprim17ROCPRIM_400000_NS6detail17trampoline_kernelINS0_13select_configILj256ELj13ELNS0_17block_load_methodE3ELS4_3ELS4_3ELNS0_20block_scan_algorithmE0ELj4294967295EEENS1_25partition_config_selectorILNS1_17partition_subalgoE4EjNS0_10empty_typeEbEEZZNS1_14partition_implILS8_4ELb0ES6_15HIP_vector_typeIjLj2EENS0_17counting_iteratorIjlEEPS9_SG_NS0_5tupleIJPjSI_NS0_16reverse_iteratorISI_EEEEENSH_IJSG_SG_SG_EEES9_SI_JZNS1_25segmented_radix_sort_implINS0_14default_configELb0EPKlPlSQ_SR_N2at6native12_GLOBAL__N_18offset_tEEE10hipError_tPvRmT1_PNSt15iterator_traitsISZ_E10value_typeET2_T3_PNS10_IS15_E10value_typeET4_jRbjT5_S1B_jjP12ihipStream_tbEUljE_ZNSN_ISO_Lb0ESQ_SR_SQ_SR_SV_EESW_SX_SY_SZ_S13_S14_S15_S18_S19_jS1A_jS1B_S1B_jjS1D_bEUljE0_EEESW_SX_SY_S15_S19_S1B_T6_T7_T9_mT8_S1D_bDpT10_ENKUlT_T0_E_clISt17integral_constantIbLb1EES1R_EEDaS1M_S1N_EUlS1M_E_NS1_11comp_targetILNS1_3genE10ELNS1_11target_archE1200ELNS1_3gpuE4ELNS1_3repE0EEENS1_30default_config_static_selectorELNS0_4arch9wavefront6targetE0EEEvSZ_,"axG",@progbits,_ZN7rocprim17ROCPRIM_400000_NS6detail17trampoline_kernelINS0_13select_configILj256ELj13ELNS0_17block_load_methodE3ELS4_3ELS4_3ELNS0_20block_scan_algorithmE0ELj4294967295EEENS1_25partition_config_selectorILNS1_17partition_subalgoE4EjNS0_10empty_typeEbEEZZNS1_14partition_implILS8_4ELb0ES6_15HIP_vector_typeIjLj2EENS0_17counting_iteratorIjlEEPS9_SG_NS0_5tupleIJPjSI_NS0_16reverse_iteratorISI_EEEEENSH_IJSG_SG_SG_EEES9_SI_JZNS1_25segmented_radix_sort_implINS0_14default_configELb0EPKlPlSQ_SR_N2at6native12_GLOBAL__N_18offset_tEEE10hipError_tPvRmT1_PNSt15iterator_traitsISZ_E10value_typeET2_T3_PNS10_IS15_E10value_typeET4_jRbjT5_S1B_jjP12ihipStream_tbEUljE_ZNSN_ISO_Lb0ESQ_SR_SQ_SR_SV_EESW_SX_SY_SZ_S13_S14_S15_S18_S19_jS1A_jS1B_S1B_jjS1D_bEUljE0_EEESW_SX_SY_S15_S19_S1B_T6_T7_T9_mT8_S1D_bDpT10_ENKUlT_T0_E_clISt17integral_constantIbLb1EES1R_EEDaS1M_S1N_EUlS1M_E_NS1_11comp_targetILNS1_3genE10ELNS1_11target_archE1200ELNS1_3gpuE4ELNS1_3repE0EEENS1_30default_config_static_selectorELNS0_4arch9wavefront6targetE0EEEvSZ_,comdat
.Lfunc_end752:
	.size	_ZN7rocprim17ROCPRIM_400000_NS6detail17trampoline_kernelINS0_13select_configILj256ELj13ELNS0_17block_load_methodE3ELS4_3ELS4_3ELNS0_20block_scan_algorithmE0ELj4294967295EEENS1_25partition_config_selectorILNS1_17partition_subalgoE4EjNS0_10empty_typeEbEEZZNS1_14partition_implILS8_4ELb0ES6_15HIP_vector_typeIjLj2EENS0_17counting_iteratorIjlEEPS9_SG_NS0_5tupleIJPjSI_NS0_16reverse_iteratorISI_EEEEENSH_IJSG_SG_SG_EEES9_SI_JZNS1_25segmented_radix_sort_implINS0_14default_configELb0EPKlPlSQ_SR_N2at6native12_GLOBAL__N_18offset_tEEE10hipError_tPvRmT1_PNSt15iterator_traitsISZ_E10value_typeET2_T3_PNS10_IS15_E10value_typeET4_jRbjT5_S1B_jjP12ihipStream_tbEUljE_ZNSN_ISO_Lb0ESQ_SR_SQ_SR_SV_EESW_SX_SY_SZ_S13_S14_S15_S18_S19_jS1A_jS1B_S1B_jjS1D_bEUljE0_EEESW_SX_SY_S15_S19_S1B_T6_T7_T9_mT8_S1D_bDpT10_ENKUlT_T0_E_clISt17integral_constantIbLb1EES1R_EEDaS1M_S1N_EUlS1M_E_NS1_11comp_targetILNS1_3genE10ELNS1_11target_archE1200ELNS1_3gpuE4ELNS1_3repE0EEENS1_30default_config_static_selectorELNS0_4arch9wavefront6targetE0EEEvSZ_, .Lfunc_end752-_ZN7rocprim17ROCPRIM_400000_NS6detail17trampoline_kernelINS0_13select_configILj256ELj13ELNS0_17block_load_methodE3ELS4_3ELS4_3ELNS0_20block_scan_algorithmE0ELj4294967295EEENS1_25partition_config_selectorILNS1_17partition_subalgoE4EjNS0_10empty_typeEbEEZZNS1_14partition_implILS8_4ELb0ES6_15HIP_vector_typeIjLj2EENS0_17counting_iteratorIjlEEPS9_SG_NS0_5tupleIJPjSI_NS0_16reverse_iteratorISI_EEEEENSH_IJSG_SG_SG_EEES9_SI_JZNS1_25segmented_radix_sort_implINS0_14default_configELb0EPKlPlSQ_SR_N2at6native12_GLOBAL__N_18offset_tEEE10hipError_tPvRmT1_PNSt15iterator_traitsISZ_E10value_typeET2_T3_PNS10_IS15_E10value_typeET4_jRbjT5_S1B_jjP12ihipStream_tbEUljE_ZNSN_ISO_Lb0ESQ_SR_SQ_SR_SV_EESW_SX_SY_SZ_S13_S14_S15_S18_S19_jS1A_jS1B_S1B_jjS1D_bEUljE0_EEESW_SX_SY_S15_S19_S1B_T6_T7_T9_mT8_S1D_bDpT10_ENKUlT_T0_E_clISt17integral_constantIbLb1EES1R_EEDaS1M_S1N_EUlS1M_E_NS1_11comp_targetILNS1_3genE10ELNS1_11target_archE1200ELNS1_3gpuE4ELNS1_3repE0EEENS1_30default_config_static_selectorELNS0_4arch9wavefront6targetE0EEEvSZ_
                                        ; -- End function
	.set _ZN7rocprim17ROCPRIM_400000_NS6detail17trampoline_kernelINS0_13select_configILj256ELj13ELNS0_17block_load_methodE3ELS4_3ELS4_3ELNS0_20block_scan_algorithmE0ELj4294967295EEENS1_25partition_config_selectorILNS1_17partition_subalgoE4EjNS0_10empty_typeEbEEZZNS1_14partition_implILS8_4ELb0ES6_15HIP_vector_typeIjLj2EENS0_17counting_iteratorIjlEEPS9_SG_NS0_5tupleIJPjSI_NS0_16reverse_iteratorISI_EEEEENSH_IJSG_SG_SG_EEES9_SI_JZNS1_25segmented_radix_sort_implINS0_14default_configELb0EPKlPlSQ_SR_N2at6native12_GLOBAL__N_18offset_tEEE10hipError_tPvRmT1_PNSt15iterator_traitsISZ_E10value_typeET2_T3_PNS10_IS15_E10value_typeET4_jRbjT5_S1B_jjP12ihipStream_tbEUljE_ZNSN_ISO_Lb0ESQ_SR_SQ_SR_SV_EESW_SX_SY_SZ_S13_S14_S15_S18_S19_jS1A_jS1B_S1B_jjS1D_bEUljE0_EEESW_SX_SY_S15_S19_S1B_T6_T7_T9_mT8_S1D_bDpT10_ENKUlT_T0_E_clISt17integral_constantIbLb1EES1R_EEDaS1M_S1N_EUlS1M_E_NS1_11comp_targetILNS1_3genE10ELNS1_11target_archE1200ELNS1_3gpuE4ELNS1_3repE0EEENS1_30default_config_static_selectorELNS0_4arch9wavefront6targetE0EEEvSZ_.num_vgpr, 0
	.set _ZN7rocprim17ROCPRIM_400000_NS6detail17trampoline_kernelINS0_13select_configILj256ELj13ELNS0_17block_load_methodE3ELS4_3ELS4_3ELNS0_20block_scan_algorithmE0ELj4294967295EEENS1_25partition_config_selectorILNS1_17partition_subalgoE4EjNS0_10empty_typeEbEEZZNS1_14partition_implILS8_4ELb0ES6_15HIP_vector_typeIjLj2EENS0_17counting_iteratorIjlEEPS9_SG_NS0_5tupleIJPjSI_NS0_16reverse_iteratorISI_EEEEENSH_IJSG_SG_SG_EEES9_SI_JZNS1_25segmented_radix_sort_implINS0_14default_configELb0EPKlPlSQ_SR_N2at6native12_GLOBAL__N_18offset_tEEE10hipError_tPvRmT1_PNSt15iterator_traitsISZ_E10value_typeET2_T3_PNS10_IS15_E10value_typeET4_jRbjT5_S1B_jjP12ihipStream_tbEUljE_ZNSN_ISO_Lb0ESQ_SR_SQ_SR_SV_EESW_SX_SY_SZ_S13_S14_S15_S18_S19_jS1A_jS1B_S1B_jjS1D_bEUljE0_EEESW_SX_SY_S15_S19_S1B_T6_T7_T9_mT8_S1D_bDpT10_ENKUlT_T0_E_clISt17integral_constantIbLb1EES1R_EEDaS1M_S1N_EUlS1M_E_NS1_11comp_targetILNS1_3genE10ELNS1_11target_archE1200ELNS1_3gpuE4ELNS1_3repE0EEENS1_30default_config_static_selectorELNS0_4arch9wavefront6targetE0EEEvSZ_.num_agpr, 0
	.set _ZN7rocprim17ROCPRIM_400000_NS6detail17trampoline_kernelINS0_13select_configILj256ELj13ELNS0_17block_load_methodE3ELS4_3ELS4_3ELNS0_20block_scan_algorithmE0ELj4294967295EEENS1_25partition_config_selectorILNS1_17partition_subalgoE4EjNS0_10empty_typeEbEEZZNS1_14partition_implILS8_4ELb0ES6_15HIP_vector_typeIjLj2EENS0_17counting_iteratorIjlEEPS9_SG_NS0_5tupleIJPjSI_NS0_16reverse_iteratorISI_EEEEENSH_IJSG_SG_SG_EEES9_SI_JZNS1_25segmented_radix_sort_implINS0_14default_configELb0EPKlPlSQ_SR_N2at6native12_GLOBAL__N_18offset_tEEE10hipError_tPvRmT1_PNSt15iterator_traitsISZ_E10value_typeET2_T3_PNS10_IS15_E10value_typeET4_jRbjT5_S1B_jjP12ihipStream_tbEUljE_ZNSN_ISO_Lb0ESQ_SR_SQ_SR_SV_EESW_SX_SY_SZ_S13_S14_S15_S18_S19_jS1A_jS1B_S1B_jjS1D_bEUljE0_EEESW_SX_SY_S15_S19_S1B_T6_T7_T9_mT8_S1D_bDpT10_ENKUlT_T0_E_clISt17integral_constantIbLb1EES1R_EEDaS1M_S1N_EUlS1M_E_NS1_11comp_targetILNS1_3genE10ELNS1_11target_archE1200ELNS1_3gpuE4ELNS1_3repE0EEENS1_30default_config_static_selectorELNS0_4arch9wavefront6targetE0EEEvSZ_.numbered_sgpr, 0
	.set _ZN7rocprim17ROCPRIM_400000_NS6detail17trampoline_kernelINS0_13select_configILj256ELj13ELNS0_17block_load_methodE3ELS4_3ELS4_3ELNS0_20block_scan_algorithmE0ELj4294967295EEENS1_25partition_config_selectorILNS1_17partition_subalgoE4EjNS0_10empty_typeEbEEZZNS1_14partition_implILS8_4ELb0ES6_15HIP_vector_typeIjLj2EENS0_17counting_iteratorIjlEEPS9_SG_NS0_5tupleIJPjSI_NS0_16reverse_iteratorISI_EEEEENSH_IJSG_SG_SG_EEES9_SI_JZNS1_25segmented_radix_sort_implINS0_14default_configELb0EPKlPlSQ_SR_N2at6native12_GLOBAL__N_18offset_tEEE10hipError_tPvRmT1_PNSt15iterator_traitsISZ_E10value_typeET2_T3_PNS10_IS15_E10value_typeET4_jRbjT5_S1B_jjP12ihipStream_tbEUljE_ZNSN_ISO_Lb0ESQ_SR_SQ_SR_SV_EESW_SX_SY_SZ_S13_S14_S15_S18_S19_jS1A_jS1B_S1B_jjS1D_bEUljE0_EEESW_SX_SY_S15_S19_S1B_T6_T7_T9_mT8_S1D_bDpT10_ENKUlT_T0_E_clISt17integral_constantIbLb1EES1R_EEDaS1M_S1N_EUlS1M_E_NS1_11comp_targetILNS1_3genE10ELNS1_11target_archE1200ELNS1_3gpuE4ELNS1_3repE0EEENS1_30default_config_static_selectorELNS0_4arch9wavefront6targetE0EEEvSZ_.num_named_barrier, 0
	.set _ZN7rocprim17ROCPRIM_400000_NS6detail17trampoline_kernelINS0_13select_configILj256ELj13ELNS0_17block_load_methodE3ELS4_3ELS4_3ELNS0_20block_scan_algorithmE0ELj4294967295EEENS1_25partition_config_selectorILNS1_17partition_subalgoE4EjNS0_10empty_typeEbEEZZNS1_14partition_implILS8_4ELb0ES6_15HIP_vector_typeIjLj2EENS0_17counting_iteratorIjlEEPS9_SG_NS0_5tupleIJPjSI_NS0_16reverse_iteratorISI_EEEEENSH_IJSG_SG_SG_EEES9_SI_JZNS1_25segmented_radix_sort_implINS0_14default_configELb0EPKlPlSQ_SR_N2at6native12_GLOBAL__N_18offset_tEEE10hipError_tPvRmT1_PNSt15iterator_traitsISZ_E10value_typeET2_T3_PNS10_IS15_E10value_typeET4_jRbjT5_S1B_jjP12ihipStream_tbEUljE_ZNSN_ISO_Lb0ESQ_SR_SQ_SR_SV_EESW_SX_SY_SZ_S13_S14_S15_S18_S19_jS1A_jS1B_S1B_jjS1D_bEUljE0_EEESW_SX_SY_S15_S19_S1B_T6_T7_T9_mT8_S1D_bDpT10_ENKUlT_T0_E_clISt17integral_constantIbLb1EES1R_EEDaS1M_S1N_EUlS1M_E_NS1_11comp_targetILNS1_3genE10ELNS1_11target_archE1200ELNS1_3gpuE4ELNS1_3repE0EEENS1_30default_config_static_selectorELNS0_4arch9wavefront6targetE0EEEvSZ_.private_seg_size, 0
	.set _ZN7rocprim17ROCPRIM_400000_NS6detail17trampoline_kernelINS0_13select_configILj256ELj13ELNS0_17block_load_methodE3ELS4_3ELS4_3ELNS0_20block_scan_algorithmE0ELj4294967295EEENS1_25partition_config_selectorILNS1_17partition_subalgoE4EjNS0_10empty_typeEbEEZZNS1_14partition_implILS8_4ELb0ES6_15HIP_vector_typeIjLj2EENS0_17counting_iteratorIjlEEPS9_SG_NS0_5tupleIJPjSI_NS0_16reverse_iteratorISI_EEEEENSH_IJSG_SG_SG_EEES9_SI_JZNS1_25segmented_radix_sort_implINS0_14default_configELb0EPKlPlSQ_SR_N2at6native12_GLOBAL__N_18offset_tEEE10hipError_tPvRmT1_PNSt15iterator_traitsISZ_E10value_typeET2_T3_PNS10_IS15_E10value_typeET4_jRbjT5_S1B_jjP12ihipStream_tbEUljE_ZNSN_ISO_Lb0ESQ_SR_SQ_SR_SV_EESW_SX_SY_SZ_S13_S14_S15_S18_S19_jS1A_jS1B_S1B_jjS1D_bEUljE0_EEESW_SX_SY_S15_S19_S1B_T6_T7_T9_mT8_S1D_bDpT10_ENKUlT_T0_E_clISt17integral_constantIbLb1EES1R_EEDaS1M_S1N_EUlS1M_E_NS1_11comp_targetILNS1_3genE10ELNS1_11target_archE1200ELNS1_3gpuE4ELNS1_3repE0EEENS1_30default_config_static_selectorELNS0_4arch9wavefront6targetE0EEEvSZ_.uses_vcc, 0
	.set _ZN7rocprim17ROCPRIM_400000_NS6detail17trampoline_kernelINS0_13select_configILj256ELj13ELNS0_17block_load_methodE3ELS4_3ELS4_3ELNS0_20block_scan_algorithmE0ELj4294967295EEENS1_25partition_config_selectorILNS1_17partition_subalgoE4EjNS0_10empty_typeEbEEZZNS1_14partition_implILS8_4ELb0ES6_15HIP_vector_typeIjLj2EENS0_17counting_iteratorIjlEEPS9_SG_NS0_5tupleIJPjSI_NS0_16reverse_iteratorISI_EEEEENSH_IJSG_SG_SG_EEES9_SI_JZNS1_25segmented_radix_sort_implINS0_14default_configELb0EPKlPlSQ_SR_N2at6native12_GLOBAL__N_18offset_tEEE10hipError_tPvRmT1_PNSt15iterator_traitsISZ_E10value_typeET2_T3_PNS10_IS15_E10value_typeET4_jRbjT5_S1B_jjP12ihipStream_tbEUljE_ZNSN_ISO_Lb0ESQ_SR_SQ_SR_SV_EESW_SX_SY_SZ_S13_S14_S15_S18_S19_jS1A_jS1B_S1B_jjS1D_bEUljE0_EEESW_SX_SY_S15_S19_S1B_T6_T7_T9_mT8_S1D_bDpT10_ENKUlT_T0_E_clISt17integral_constantIbLb1EES1R_EEDaS1M_S1N_EUlS1M_E_NS1_11comp_targetILNS1_3genE10ELNS1_11target_archE1200ELNS1_3gpuE4ELNS1_3repE0EEENS1_30default_config_static_selectorELNS0_4arch9wavefront6targetE0EEEvSZ_.uses_flat_scratch, 0
	.set _ZN7rocprim17ROCPRIM_400000_NS6detail17trampoline_kernelINS0_13select_configILj256ELj13ELNS0_17block_load_methodE3ELS4_3ELS4_3ELNS0_20block_scan_algorithmE0ELj4294967295EEENS1_25partition_config_selectorILNS1_17partition_subalgoE4EjNS0_10empty_typeEbEEZZNS1_14partition_implILS8_4ELb0ES6_15HIP_vector_typeIjLj2EENS0_17counting_iteratorIjlEEPS9_SG_NS0_5tupleIJPjSI_NS0_16reverse_iteratorISI_EEEEENSH_IJSG_SG_SG_EEES9_SI_JZNS1_25segmented_radix_sort_implINS0_14default_configELb0EPKlPlSQ_SR_N2at6native12_GLOBAL__N_18offset_tEEE10hipError_tPvRmT1_PNSt15iterator_traitsISZ_E10value_typeET2_T3_PNS10_IS15_E10value_typeET4_jRbjT5_S1B_jjP12ihipStream_tbEUljE_ZNSN_ISO_Lb0ESQ_SR_SQ_SR_SV_EESW_SX_SY_SZ_S13_S14_S15_S18_S19_jS1A_jS1B_S1B_jjS1D_bEUljE0_EEESW_SX_SY_S15_S19_S1B_T6_T7_T9_mT8_S1D_bDpT10_ENKUlT_T0_E_clISt17integral_constantIbLb1EES1R_EEDaS1M_S1N_EUlS1M_E_NS1_11comp_targetILNS1_3genE10ELNS1_11target_archE1200ELNS1_3gpuE4ELNS1_3repE0EEENS1_30default_config_static_selectorELNS0_4arch9wavefront6targetE0EEEvSZ_.has_dyn_sized_stack, 0
	.set _ZN7rocprim17ROCPRIM_400000_NS6detail17trampoline_kernelINS0_13select_configILj256ELj13ELNS0_17block_load_methodE3ELS4_3ELS4_3ELNS0_20block_scan_algorithmE0ELj4294967295EEENS1_25partition_config_selectorILNS1_17partition_subalgoE4EjNS0_10empty_typeEbEEZZNS1_14partition_implILS8_4ELb0ES6_15HIP_vector_typeIjLj2EENS0_17counting_iteratorIjlEEPS9_SG_NS0_5tupleIJPjSI_NS0_16reverse_iteratorISI_EEEEENSH_IJSG_SG_SG_EEES9_SI_JZNS1_25segmented_radix_sort_implINS0_14default_configELb0EPKlPlSQ_SR_N2at6native12_GLOBAL__N_18offset_tEEE10hipError_tPvRmT1_PNSt15iterator_traitsISZ_E10value_typeET2_T3_PNS10_IS15_E10value_typeET4_jRbjT5_S1B_jjP12ihipStream_tbEUljE_ZNSN_ISO_Lb0ESQ_SR_SQ_SR_SV_EESW_SX_SY_SZ_S13_S14_S15_S18_S19_jS1A_jS1B_S1B_jjS1D_bEUljE0_EEESW_SX_SY_S15_S19_S1B_T6_T7_T9_mT8_S1D_bDpT10_ENKUlT_T0_E_clISt17integral_constantIbLb1EES1R_EEDaS1M_S1N_EUlS1M_E_NS1_11comp_targetILNS1_3genE10ELNS1_11target_archE1200ELNS1_3gpuE4ELNS1_3repE0EEENS1_30default_config_static_selectorELNS0_4arch9wavefront6targetE0EEEvSZ_.has_recursion, 0
	.set _ZN7rocprim17ROCPRIM_400000_NS6detail17trampoline_kernelINS0_13select_configILj256ELj13ELNS0_17block_load_methodE3ELS4_3ELS4_3ELNS0_20block_scan_algorithmE0ELj4294967295EEENS1_25partition_config_selectorILNS1_17partition_subalgoE4EjNS0_10empty_typeEbEEZZNS1_14partition_implILS8_4ELb0ES6_15HIP_vector_typeIjLj2EENS0_17counting_iteratorIjlEEPS9_SG_NS0_5tupleIJPjSI_NS0_16reverse_iteratorISI_EEEEENSH_IJSG_SG_SG_EEES9_SI_JZNS1_25segmented_radix_sort_implINS0_14default_configELb0EPKlPlSQ_SR_N2at6native12_GLOBAL__N_18offset_tEEE10hipError_tPvRmT1_PNSt15iterator_traitsISZ_E10value_typeET2_T3_PNS10_IS15_E10value_typeET4_jRbjT5_S1B_jjP12ihipStream_tbEUljE_ZNSN_ISO_Lb0ESQ_SR_SQ_SR_SV_EESW_SX_SY_SZ_S13_S14_S15_S18_S19_jS1A_jS1B_S1B_jjS1D_bEUljE0_EEESW_SX_SY_S15_S19_S1B_T6_T7_T9_mT8_S1D_bDpT10_ENKUlT_T0_E_clISt17integral_constantIbLb1EES1R_EEDaS1M_S1N_EUlS1M_E_NS1_11comp_targetILNS1_3genE10ELNS1_11target_archE1200ELNS1_3gpuE4ELNS1_3repE0EEENS1_30default_config_static_selectorELNS0_4arch9wavefront6targetE0EEEvSZ_.has_indirect_call, 0
	.section	.AMDGPU.csdata,"",@progbits
; Kernel info:
; codeLenInByte = 0
; TotalNumSgprs: 0
; NumVgprs: 0
; ScratchSize: 0
; MemoryBound: 0
; FloatMode: 240
; IeeeMode: 1
; LDSByteSize: 0 bytes/workgroup (compile time only)
; SGPRBlocks: 0
; VGPRBlocks: 0
; NumSGPRsForWavesPerEU: 1
; NumVGPRsForWavesPerEU: 1
; NamedBarCnt: 0
; Occupancy: 16
; WaveLimiterHint : 0
; COMPUTE_PGM_RSRC2:SCRATCH_EN: 0
; COMPUTE_PGM_RSRC2:USER_SGPR: 2
; COMPUTE_PGM_RSRC2:TRAP_HANDLER: 0
; COMPUTE_PGM_RSRC2:TGID_X_EN: 1
; COMPUTE_PGM_RSRC2:TGID_Y_EN: 0
; COMPUTE_PGM_RSRC2:TGID_Z_EN: 0
; COMPUTE_PGM_RSRC2:TIDIG_COMP_CNT: 0
	.section	.text._ZN7rocprim17ROCPRIM_400000_NS6detail17trampoline_kernelINS0_13select_configILj256ELj13ELNS0_17block_load_methodE3ELS4_3ELS4_3ELNS0_20block_scan_algorithmE0ELj4294967295EEENS1_25partition_config_selectorILNS1_17partition_subalgoE4EjNS0_10empty_typeEbEEZZNS1_14partition_implILS8_4ELb0ES6_15HIP_vector_typeIjLj2EENS0_17counting_iteratorIjlEEPS9_SG_NS0_5tupleIJPjSI_NS0_16reverse_iteratorISI_EEEEENSH_IJSG_SG_SG_EEES9_SI_JZNS1_25segmented_radix_sort_implINS0_14default_configELb0EPKlPlSQ_SR_N2at6native12_GLOBAL__N_18offset_tEEE10hipError_tPvRmT1_PNSt15iterator_traitsISZ_E10value_typeET2_T3_PNS10_IS15_E10value_typeET4_jRbjT5_S1B_jjP12ihipStream_tbEUljE_ZNSN_ISO_Lb0ESQ_SR_SQ_SR_SV_EESW_SX_SY_SZ_S13_S14_S15_S18_S19_jS1A_jS1B_S1B_jjS1D_bEUljE0_EEESW_SX_SY_S15_S19_S1B_T6_T7_T9_mT8_S1D_bDpT10_ENKUlT_T0_E_clISt17integral_constantIbLb1EES1R_EEDaS1M_S1N_EUlS1M_E_NS1_11comp_targetILNS1_3genE9ELNS1_11target_archE1100ELNS1_3gpuE3ELNS1_3repE0EEENS1_30default_config_static_selectorELNS0_4arch9wavefront6targetE0EEEvSZ_,"axG",@progbits,_ZN7rocprim17ROCPRIM_400000_NS6detail17trampoline_kernelINS0_13select_configILj256ELj13ELNS0_17block_load_methodE3ELS4_3ELS4_3ELNS0_20block_scan_algorithmE0ELj4294967295EEENS1_25partition_config_selectorILNS1_17partition_subalgoE4EjNS0_10empty_typeEbEEZZNS1_14partition_implILS8_4ELb0ES6_15HIP_vector_typeIjLj2EENS0_17counting_iteratorIjlEEPS9_SG_NS0_5tupleIJPjSI_NS0_16reverse_iteratorISI_EEEEENSH_IJSG_SG_SG_EEES9_SI_JZNS1_25segmented_radix_sort_implINS0_14default_configELb0EPKlPlSQ_SR_N2at6native12_GLOBAL__N_18offset_tEEE10hipError_tPvRmT1_PNSt15iterator_traitsISZ_E10value_typeET2_T3_PNS10_IS15_E10value_typeET4_jRbjT5_S1B_jjP12ihipStream_tbEUljE_ZNSN_ISO_Lb0ESQ_SR_SQ_SR_SV_EESW_SX_SY_SZ_S13_S14_S15_S18_S19_jS1A_jS1B_S1B_jjS1D_bEUljE0_EEESW_SX_SY_S15_S19_S1B_T6_T7_T9_mT8_S1D_bDpT10_ENKUlT_T0_E_clISt17integral_constantIbLb1EES1R_EEDaS1M_S1N_EUlS1M_E_NS1_11comp_targetILNS1_3genE9ELNS1_11target_archE1100ELNS1_3gpuE3ELNS1_3repE0EEENS1_30default_config_static_selectorELNS0_4arch9wavefront6targetE0EEEvSZ_,comdat
	.globl	_ZN7rocprim17ROCPRIM_400000_NS6detail17trampoline_kernelINS0_13select_configILj256ELj13ELNS0_17block_load_methodE3ELS4_3ELS4_3ELNS0_20block_scan_algorithmE0ELj4294967295EEENS1_25partition_config_selectorILNS1_17partition_subalgoE4EjNS0_10empty_typeEbEEZZNS1_14partition_implILS8_4ELb0ES6_15HIP_vector_typeIjLj2EENS0_17counting_iteratorIjlEEPS9_SG_NS0_5tupleIJPjSI_NS0_16reverse_iteratorISI_EEEEENSH_IJSG_SG_SG_EEES9_SI_JZNS1_25segmented_radix_sort_implINS0_14default_configELb0EPKlPlSQ_SR_N2at6native12_GLOBAL__N_18offset_tEEE10hipError_tPvRmT1_PNSt15iterator_traitsISZ_E10value_typeET2_T3_PNS10_IS15_E10value_typeET4_jRbjT5_S1B_jjP12ihipStream_tbEUljE_ZNSN_ISO_Lb0ESQ_SR_SQ_SR_SV_EESW_SX_SY_SZ_S13_S14_S15_S18_S19_jS1A_jS1B_S1B_jjS1D_bEUljE0_EEESW_SX_SY_S15_S19_S1B_T6_T7_T9_mT8_S1D_bDpT10_ENKUlT_T0_E_clISt17integral_constantIbLb1EES1R_EEDaS1M_S1N_EUlS1M_E_NS1_11comp_targetILNS1_3genE9ELNS1_11target_archE1100ELNS1_3gpuE3ELNS1_3repE0EEENS1_30default_config_static_selectorELNS0_4arch9wavefront6targetE0EEEvSZ_ ; -- Begin function _ZN7rocprim17ROCPRIM_400000_NS6detail17trampoline_kernelINS0_13select_configILj256ELj13ELNS0_17block_load_methodE3ELS4_3ELS4_3ELNS0_20block_scan_algorithmE0ELj4294967295EEENS1_25partition_config_selectorILNS1_17partition_subalgoE4EjNS0_10empty_typeEbEEZZNS1_14partition_implILS8_4ELb0ES6_15HIP_vector_typeIjLj2EENS0_17counting_iteratorIjlEEPS9_SG_NS0_5tupleIJPjSI_NS0_16reverse_iteratorISI_EEEEENSH_IJSG_SG_SG_EEES9_SI_JZNS1_25segmented_radix_sort_implINS0_14default_configELb0EPKlPlSQ_SR_N2at6native12_GLOBAL__N_18offset_tEEE10hipError_tPvRmT1_PNSt15iterator_traitsISZ_E10value_typeET2_T3_PNS10_IS15_E10value_typeET4_jRbjT5_S1B_jjP12ihipStream_tbEUljE_ZNSN_ISO_Lb0ESQ_SR_SQ_SR_SV_EESW_SX_SY_SZ_S13_S14_S15_S18_S19_jS1A_jS1B_S1B_jjS1D_bEUljE0_EEESW_SX_SY_S15_S19_S1B_T6_T7_T9_mT8_S1D_bDpT10_ENKUlT_T0_E_clISt17integral_constantIbLb1EES1R_EEDaS1M_S1N_EUlS1M_E_NS1_11comp_targetILNS1_3genE9ELNS1_11target_archE1100ELNS1_3gpuE3ELNS1_3repE0EEENS1_30default_config_static_selectorELNS0_4arch9wavefront6targetE0EEEvSZ_
	.p2align	8
	.type	_ZN7rocprim17ROCPRIM_400000_NS6detail17trampoline_kernelINS0_13select_configILj256ELj13ELNS0_17block_load_methodE3ELS4_3ELS4_3ELNS0_20block_scan_algorithmE0ELj4294967295EEENS1_25partition_config_selectorILNS1_17partition_subalgoE4EjNS0_10empty_typeEbEEZZNS1_14partition_implILS8_4ELb0ES6_15HIP_vector_typeIjLj2EENS0_17counting_iteratorIjlEEPS9_SG_NS0_5tupleIJPjSI_NS0_16reverse_iteratorISI_EEEEENSH_IJSG_SG_SG_EEES9_SI_JZNS1_25segmented_radix_sort_implINS0_14default_configELb0EPKlPlSQ_SR_N2at6native12_GLOBAL__N_18offset_tEEE10hipError_tPvRmT1_PNSt15iterator_traitsISZ_E10value_typeET2_T3_PNS10_IS15_E10value_typeET4_jRbjT5_S1B_jjP12ihipStream_tbEUljE_ZNSN_ISO_Lb0ESQ_SR_SQ_SR_SV_EESW_SX_SY_SZ_S13_S14_S15_S18_S19_jS1A_jS1B_S1B_jjS1D_bEUljE0_EEESW_SX_SY_S15_S19_S1B_T6_T7_T9_mT8_S1D_bDpT10_ENKUlT_T0_E_clISt17integral_constantIbLb1EES1R_EEDaS1M_S1N_EUlS1M_E_NS1_11comp_targetILNS1_3genE9ELNS1_11target_archE1100ELNS1_3gpuE3ELNS1_3repE0EEENS1_30default_config_static_selectorELNS0_4arch9wavefront6targetE0EEEvSZ_,@function
_ZN7rocprim17ROCPRIM_400000_NS6detail17trampoline_kernelINS0_13select_configILj256ELj13ELNS0_17block_load_methodE3ELS4_3ELS4_3ELNS0_20block_scan_algorithmE0ELj4294967295EEENS1_25partition_config_selectorILNS1_17partition_subalgoE4EjNS0_10empty_typeEbEEZZNS1_14partition_implILS8_4ELb0ES6_15HIP_vector_typeIjLj2EENS0_17counting_iteratorIjlEEPS9_SG_NS0_5tupleIJPjSI_NS0_16reverse_iteratorISI_EEEEENSH_IJSG_SG_SG_EEES9_SI_JZNS1_25segmented_radix_sort_implINS0_14default_configELb0EPKlPlSQ_SR_N2at6native12_GLOBAL__N_18offset_tEEE10hipError_tPvRmT1_PNSt15iterator_traitsISZ_E10value_typeET2_T3_PNS10_IS15_E10value_typeET4_jRbjT5_S1B_jjP12ihipStream_tbEUljE_ZNSN_ISO_Lb0ESQ_SR_SQ_SR_SV_EESW_SX_SY_SZ_S13_S14_S15_S18_S19_jS1A_jS1B_S1B_jjS1D_bEUljE0_EEESW_SX_SY_S15_S19_S1B_T6_T7_T9_mT8_S1D_bDpT10_ENKUlT_T0_E_clISt17integral_constantIbLb1EES1R_EEDaS1M_S1N_EUlS1M_E_NS1_11comp_targetILNS1_3genE9ELNS1_11target_archE1100ELNS1_3gpuE3ELNS1_3repE0EEENS1_30default_config_static_selectorELNS0_4arch9wavefront6targetE0EEEvSZ_: ; @_ZN7rocprim17ROCPRIM_400000_NS6detail17trampoline_kernelINS0_13select_configILj256ELj13ELNS0_17block_load_methodE3ELS4_3ELS4_3ELNS0_20block_scan_algorithmE0ELj4294967295EEENS1_25partition_config_selectorILNS1_17partition_subalgoE4EjNS0_10empty_typeEbEEZZNS1_14partition_implILS8_4ELb0ES6_15HIP_vector_typeIjLj2EENS0_17counting_iteratorIjlEEPS9_SG_NS0_5tupleIJPjSI_NS0_16reverse_iteratorISI_EEEEENSH_IJSG_SG_SG_EEES9_SI_JZNS1_25segmented_radix_sort_implINS0_14default_configELb0EPKlPlSQ_SR_N2at6native12_GLOBAL__N_18offset_tEEE10hipError_tPvRmT1_PNSt15iterator_traitsISZ_E10value_typeET2_T3_PNS10_IS15_E10value_typeET4_jRbjT5_S1B_jjP12ihipStream_tbEUljE_ZNSN_ISO_Lb0ESQ_SR_SQ_SR_SV_EESW_SX_SY_SZ_S13_S14_S15_S18_S19_jS1A_jS1B_S1B_jjS1D_bEUljE0_EEESW_SX_SY_S15_S19_S1B_T6_T7_T9_mT8_S1D_bDpT10_ENKUlT_T0_E_clISt17integral_constantIbLb1EES1R_EEDaS1M_S1N_EUlS1M_E_NS1_11comp_targetILNS1_3genE9ELNS1_11target_archE1100ELNS1_3gpuE3ELNS1_3repE0EEENS1_30default_config_static_selectorELNS0_4arch9wavefront6targetE0EEEvSZ_
; %bb.0:
	.section	.rodata,"a",@progbits
	.p2align	6, 0x0
	.amdhsa_kernel _ZN7rocprim17ROCPRIM_400000_NS6detail17trampoline_kernelINS0_13select_configILj256ELj13ELNS0_17block_load_methodE3ELS4_3ELS4_3ELNS0_20block_scan_algorithmE0ELj4294967295EEENS1_25partition_config_selectorILNS1_17partition_subalgoE4EjNS0_10empty_typeEbEEZZNS1_14partition_implILS8_4ELb0ES6_15HIP_vector_typeIjLj2EENS0_17counting_iteratorIjlEEPS9_SG_NS0_5tupleIJPjSI_NS0_16reverse_iteratorISI_EEEEENSH_IJSG_SG_SG_EEES9_SI_JZNS1_25segmented_radix_sort_implINS0_14default_configELb0EPKlPlSQ_SR_N2at6native12_GLOBAL__N_18offset_tEEE10hipError_tPvRmT1_PNSt15iterator_traitsISZ_E10value_typeET2_T3_PNS10_IS15_E10value_typeET4_jRbjT5_S1B_jjP12ihipStream_tbEUljE_ZNSN_ISO_Lb0ESQ_SR_SQ_SR_SV_EESW_SX_SY_SZ_S13_S14_S15_S18_S19_jS1A_jS1B_S1B_jjS1D_bEUljE0_EEESW_SX_SY_S15_S19_S1B_T6_T7_T9_mT8_S1D_bDpT10_ENKUlT_T0_E_clISt17integral_constantIbLb1EES1R_EEDaS1M_S1N_EUlS1M_E_NS1_11comp_targetILNS1_3genE9ELNS1_11target_archE1100ELNS1_3gpuE3ELNS1_3repE0EEENS1_30default_config_static_selectorELNS0_4arch9wavefront6targetE0EEEvSZ_
		.amdhsa_group_segment_fixed_size 0
		.amdhsa_private_segment_fixed_size 0
		.amdhsa_kernarg_size 184
		.amdhsa_user_sgpr_count 2
		.amdhsa_user_sgpr_dispatch_ptr 0
		.amdhsa_user_sgpr_queue_ptr 0
		.amdhsa_user_sgpr_kernarg_segment_ptr 1
		.amdhsa_user_sgpr_dispatch_id 0
		.amdhsa_user_sgpr_kernarg_preload_length 0
		.amdhsa_user_sgpr_kernarg_preload_offset 0
		.amdhsa_user_sgpr_private_segment_size 0
		.amdhsa_wavefront_size32 1
		.amdhsa_uses_dynamic_stack 0
		.amdhsa_enable_private_segment 0
		.amdhsa_system_sgpr_workgroup_id_x 1
		.amdhsa_system_sgpr_workgroup_id_y 0
		.amdhsa_system_sgpr_workgroup_id_z 0
		.amdhsa_system_sgpr_workgroup_info 0
		.amdhsa_system_vgpr_workitem_id 0
		.amdhsa_next_free_vgpr 1
		.amdhsa_next_free_sgpr 1
		.amdhsa_named_barrier_count 0
		.amdhsa_reserve_vcc 0
		.amdhsa_float_round_mode_32 0
		.amdhsa_float_round_mode_16_64 0
		.amdhsa_float_denorm_mode_32 3
		.amdhsa_float_denorm_mode_16_64 3
		.amdhsa_fp16_overflow 0
		.amdhsa_memory_ordered 1
		.amdhsa_forward_progress 1
		.amdhsa_inst_pref_size 0
		.amdhsa_round_robin_scheduling 0
		.amdhsa_exception_fp_ieee_invalid_op 0
		.amdhsa_exception_fp_denorm_src 0
		.amdhsa_exception_fp_ieee_div_zero 0
		.amdhsa_exception_fp_ieee_overflow 0
		.amdhsa_exception_fp_ieee_underflow 0
		.amdhsa_exception_fp_ieee_inexact 0
		.amdhsa_exception_int_div_zero 0
	.end_amdhsa_kernel
	.section	.text._ZN7rocprim17ROCPRIM_400000_NS6detail17trampoline_kernelINS0_13select_configILj256ELj13ELNS0_17block_load_methodE3ELS4_3ELS4_3ELNS0_20block_scan_algorithmE0ELj4294967295EEENS1_25partition_config_selectorILNS1_17partition_subalgoE4EjNS0_10empty_typeEbEEZZNS1_14partition_implILS8_4ELb0ES6_15HIP_vector_typeIjLj2EENS0_17counting_iteratorIjlEEPS9_SG_NS0_5tupleIJPjSI_NS0_16reverse_iteratorISI_EEEEENSH_IJSG_SG_SG_EEES9_SI_JZNS1_25segmented_radix_sort_implINS0_14default_configELb0EPKlPlSQ_SR_N2at6native12_GLOBAL__N_18offset_tEEE10hipError_tPvRmT1_PNSt15iterator_traitsISZ_E10value_typeET2_T3_PNS10_IS15_E10value_typeET4_jRbjT5_S1B_jjP12ihipStream_tbEUljE_ZNSN_ISO_Lb0ESQ_SR_SQ_SR_SV_EESW_SX_SY_SZ_S13_S14_S15_S18_S19_jS1A_jS1B_S1B_jjS1D_bEUljE0_EEESW_SX_SY_S15_S19_S1B_T6_T7_T9_mT8_S1D_bDpT10_ENKUlT_T0_E_clISt17integral_constantIbLb1EES1R_EEDaS1M_S1N_EUlS1M_E_NS1_11comp_targetILNS1_3genE9ELNS1_11target_archE1100ELNS1_3gpuE3ELNS1_3repE0EEENS1_30default_config_static_selectorELNS0_4arch9wavefront6targetE0EEEvSZ_,"axG",@progbits,_ZN7rocprim17ROCPRIM_400000_NS6detail17trampoline_kernelINS0_13select_configILj256ELj13ELNS0_17block_load_methodE3ELS4_3ELS4_3ELNS0_20block_scan_algorithmE0ELj4294967295EEENS1_25partition_config_selectorILNS1_17partition_subalgoE4EjNS0_10empty_typeEbEEZZNS1_14partition_implILS8_4ELb0ES6_15HIP_vector_typeIjLj2EENS0_17counting_iteratorIjlEEPS9_SG_NS0_5tupleIJPjSI_NS0_16reverse_iteratorISI_EEEEENSH_IJSG_SG_SG_EEES9_SI_JZNS1_25segmented_radix_sort_implINS0_14default_configELb0EPKlPlSQ_SR_N2at6native12_GLOBAL__N_18offset_tEEE10hipError_tPvRmT1_PNSt15iterator_traitsISZ_E10value_typeET2_T3_PNS10_IS15_E10value_typeET4_jRbjT5_S1B_jjP12ihipStream_tbEUljE_ZNSN_ISO_Lb0ESQ_SR_SQ_SR_SV_EESW_SX_SY_SZ_S13_S14_S15_S18_S19_jS1A_jS1B_S1B_jjS1D_bEUljE0_EEESW_SX_SY_S15_S19_S1B_T6_T7_T9_mT8_S1D_bDpT10_ENKUlT_T0_E_clISt17integral_constantIbLb1EES1R_EEDaS1M_S1N_EUlS1M_E_NS1_11comp_targetILNS1_3genE9ELNS1_11target_archE1100ELNS1_3gpuE3ELNS1_3repE0EEENS1_30default_config_static_selectorELNS0_4arch9wavefront6targetE0EEEvSZ_,comdat
.Lfunc_end753:
	.size	_ZN7rocprim17ROCPRIM_400000_NS6detail17trampoline_kernelINS0_13select_configILj256ELj13ELNS0_17block_load_methodE3ELS4_3ELS4_3ELNS0_20block_scan_algorithmE0ELj4294967295EEENS1_25partition_config_selectorILNS1_17partition_subalgoE4EjNS0_10empty_typeEbEEZZNS1_14partition_implILS8_4ELb0ES6_15HIP_vector_typeIjLj2EENS0_17counting_iteratorIjlEEPS9_SG_NS0_5tupleIJPjSI_NS0_16reverse_iteratorISI_EEEEENSH_IJSG_SG_SG_EEES9_SI_JZNS1_25segmented_radix_sort_implINS0_14default_configELb0EPKlPlSQ_SR_N2at6native12_GLOBAL__N_18offset_tEEE10hipError_tPvRmT1_PNSt15iterator_traitsISZ_E10value_typeET2_T3_PNS10_IS15_E10value_typeET4_jRbjT5_S1B_jjP12ihipStream_tbEUljE_ZNSN_ISO_Lb0ESQ_SR_SQ_SR_SV_EESW_SX_SY_SZ_S13_S14_S15_S18_S19_jS1A_jS1B_S1B_jjS1D_bEUljE0_EEESW_SX_SY_S15_S19_S1B_T6_T7_T9_mT8_S1D_bDpT10_ENKUlT_T0_E_clISt17integral_constantIbLb1EES1R_EEDaS1M_S1N_EUlS1M_E_NS1_11comp_targetILNS1_3genE9ELNS1_11target_archE1100ELNS1_3gpuE3ELNS1_3repE0EEENS1_30default_config_static_selectorELNS0_4arch9wavefront6targetE0EEEvSZ_, .Lfunc_end753-_ZN7rocprim17ROCPRIM_400000_NS6detail17trampoline_kernelINS0_13select_configILj256ELj13ELNS0_17block_load_methodE3ELS4_3ELS4_3ELNS0_20block_scan_algorithmE0ELj4294967295EEENS1_25partition_config_selectorILNS1_17partition_subalgoE4EjNS0_10empty_typeEbEEZZNS1_14partition_implILS8_4ELb0ES6_15HIP_vector_typeIjLj2EENS0_17counting_iteratorIjlEEPS9_SG_NS0_5tupleIJPjSI_NS0_16reverse_iteratorISI_EEEEENSH_IJSG_SG_SG_EEES9_SI_JZNS1_25segmented_radix_sort_implINS0_14default_configELb0EPKlPlSQ_SR_N2at6native12_GLOBAL__N_18offset_tEEE10hipError_tPvRmT1_PNSt15iterator_traitsISZ_E10value_typeET2_T3_PNS10_IS15_E10value_typeET4_jRbjT5_S1B_jjP12ihipStream_tbEUljE_ZNSN_ISO_Lb0ESQ_SR_SQ_SR_SV_EESW_SX_SY_SZ_S13_S14_S15_S18_S19_jS1A_jS1B_S1B_jjS1D_bEUljE0_EEESW_SX_SY_S15_S19_S1B_T6_T7_T9_mT8_S1D_bDpT10_ENKUlT_T0_E_clISt17integral_constantIbLb1EES1R_EEDaS1M_S1N_EUlS1M_E_NS1_11comp_targetILNS1_3genE9ELNS1_11target_archE1100ELNS1_3gpuE3ELNS1_3repE0EEENS1_30default_config_static_selectorELNS0_4arch9wavefront6targetE0EEEvSZ_
                                        ; -- End function
	.set _ZN7rocprim17ROCPRIM_400000_NS6detail17trampoline_kernelINS0_13select_configILj256ELj13ELNS0_17block_load_methodE3ELS4_3ELS4_3ELNS0_20block_scan_algorithmE0ELj4294967295EEENS1_25partition_config_selectorILNS1_17partition_subalgoE4EjNS0_10empty_typeEbEEZZNS1_14partition_implILS8_4ELb0ES6_15HIP_vector_typeIjLj2EENS0_17counting_iteratorIjlEEPS9_SG_NS0_5tupleIJPjSI_NS0_16reverse_iteratorISI_EEEEENSH_IJSG_SG_SG_EEES9_SI_JZNS1_25segmented_radix_sort_implINS0_14default_configELb0EPKlPlSQ_SR_N2at6native12_GLOBAL__N_18offset_tEEE10hipError_tPvRmT1_PNSt15iterator_traitsISZ_E10value_typeET2_T3_PNS10_IS15_E10value_typeET4_jRbjT5_S1B_jjP12ihipStream_tbEUljE_ZNSN_ISO_Lb0ESQ_SR_SQ_SR_SV_EESW_SX_SY_SZ_S13_S14_S15_S18_S19_jS1A_jS1B_S1B_jjS1D_bEUljE0_EEESW_SX_SY_S15_S19_S1B_T6_T7_T9_mT8_S1D_bDpT10_ENKUlT_T0_E_clISt17integral_constantIbLb1EES1R_EEDaS1M_S1N_EUlS1M_E_NS1_11comp_targetILNS1_3genE9ELNS1_11target_archE1100ELNS1_3gpuE3ELNS1_3repE0EEENS1_30default_config_static_selectorELNS0_4arch9wavefront6targetE0EEEvSZ_.num_vgpr, 0
	.set _ZN7rocprim17ROCPRIM_400000_NS6detail17trampoline_kernelINS0_13select_configILj256ELj13ELNS0_17block_load_methodE3ELS4_3ELS4_3ELNS0_20block_scan_algorithmE0ELj4294967295EEENS1_25partition_config_selectorILNS1_17partition_subalgoE4EjNS0_10empty_typeEbEEZZNS1_14partition_implILS8_4ELb0ES6_15HIP_vector_typeIjLj2EENS0_17counting_iteratorIjlEEPS9_SG_NS0_5tupleIJPjSI_NS0_16reverse_iteratorISI_EEEEENSH_IJSG_SG_SG_EEES9_SI_JZNS1_25segmented_radix_sort_implINS0_14default_configELb0EPKlPlSQ_SR_N2at6native12_GLOBAL__N_18offset_tEEE10hipError_tPvRmT1_PNSt15iterator_traitsISZ_E10value_typeET2_T3_PNS10_IS15_E10value_typeET4_jRbjT5_S1B_jjP12ihipStream_tbEUljE_ZNSN_ISO_Lb0ESQ_SR_SQ_SR_SV_EESW_SX_SY_SZ_S13_S14_S15_S18_S19_jS1A_jS1B_S1B_jjS1D_bEUljE0_EEESW_SX_SY_S15_S19_S1B_T6_T7_T9_mT8_S1D_bDpT10_ENKUlT_T0_E_clISt17integral_constantIbLb1EES1R_EEDaS1M_S1N_EUlS1M_E_NS1_11comp_targetILNS1_3genE9ELNS1_11target_archE1100ELNS1_3gpuE3ELNS1_3repE0EEENS1_30default_config_static_selectorELNS0_4arch9wavefront6targetE0EEEvSZ_.num_agpr, 0
	.set _ZN7rocprim17ROCPRIM_400000_NS6detail17trampoline_kernelINS0_13select_configILj256ELj13ELNS0_17block_load_methodE3ELS4_3ELS4_3ELNS0_20block_scan_algorithmE0ELj4294967295EEENS1_25partition_config_selectorILNS1_17partition_subalgoE4EjNS0_10empty_typeEbEEZZNS1_14partition_implILS8_4ELb0ES6_15HIP_vector_typeIjLj2EENS0_17counting_iteratorIjlEEPS9_SG_NS0_5tupleIJPjSI_NS0_16reverse_iteratorISI_EEEEENSH_IJSG_SG_SG_EEES9_SI_JZNS1_25segmented_radix_sort_implINS0_14default_configELb0EPKlPlSQ_SR_N2at6native12_GLOBAL__N_18offset_tEEE10hipError_tPvRmT1_PNSt15iterator_traitsISZ_E10value_typeET2_T3_PNS10_IS15_E10value_typeET4_jRbjT5_S1B_jjP12ihipStream_tbEUljE_ZNSN_ISO_Lb0ESQ_SR_SQ_SR_SV_EESW_SX_SY_SZ_S13_S14_S15_S18_S19_jS1A_jS1B_S1B_jjS1D_bEUljE0_EEESW_SX_SY_S15_S19_S1B_T6_T7_T9_mT8_S1D_bDpT10_ENKUlT_T0_E_clISt17integral_constantIbLb1EES1R_EEDaS1M_S1N_EUlS1M_E_NS1_11comp_targetILNS1_3genE9ELNS1_11target_archE1100ELNS1_3gpuE3ELNS1_3repE0EEENS1_30default_config_static_selectorELNS0_4arch9wavefront6targetE0EEEvSZ_.numbered_sgpr, 0
	.set _ZN7rocprim17ROCPRIM_400000_NS6detail17trampoline_kernelINS0_13select_configILj256ELj13ELNS0_17block_load_methodE3ELS4_3ELS4_3ELNS0_20block_scan_algorithmE0ELj4294967295EEENS1_25partition_config_selectorILNS1_17partition_subalgoE4EjNS0_10empty_typeEbEEZZNS1_14partition_implILS8_4ELb0ES6_15HIP_vector_typeIjLj2EENS0_17counting_iteratorIjlEEPS9_SG_NS0_5tupleIJPjSI_NS0_16reverse_iteratorISI_EEEEENSH_IJSG_SG_SG_EEES9_SI_JZNS1_25segmented_radix_sort_implINS0_14default_configELb0EPKlPlSQ_SR_N2at6native12_GLOBAL__N_18offset_tEEE10hipError_tPvRmT1_PNSt15iterator_traitsISZ_E10value_typeET2_T3_PNS10_IS15_E10value_typeET4_jRbjT5_S1B_jjP12ihipStream_tbEUljE_ZNSN_ISO_Lb0ESQ_SR_SQ_SR_SV_EESW_SX_SY_SZ_S13_S14_S15_S18_S19_jS1A_jS1B_S1B_jjS1D_bEUljE0_EEESW_SX_SY_S15_S19_S1B_T6_T7_T9_mT8_S1D_bDpT10_ENKUlT_T0_E_clISt17integral_constantIbLb1EES1R_EEDaS1M_S1N_EUlS1M_E_NS1_11comp_targetILNS1_3genE9ELNS1_11target_archE1100ELNS1_3gpuE3ELNS1_3repE0EEENS1_30default_config_static_selectorELNS0_4arch9wavefront6targetE0EEEvSZ_.num_named_barrier, 0
	.set _ZN7rocprim17ROCPRIM_400000_NS6detail17trampoline_kernelINS0_13select_configILj256ELj13ELNS0_17block_load_methodE3ELS4_3ELS4_3ELNS0_20block_scan_algorithmE0ELj4294967295EEENS1_25partition_config_selectorILNS1_17partition_subalgoE4EjNS0_10empty_typeEbEEZZNS1_14partition_implILS8_4ELb0ES6_15HIP_vector_typeIjLj2EENS0_17counting_iteratorIjlEEPS9_SG_NS0_5tupleIJPjSI_NS0_16reverse_iteratorISI_EEEEENSH_IJSG_SG_SG_EEES9_SI_JZNS1_25segmented_radix_sort_implINS0_14default_configELb0EPKlPlSQ_SR_N2at6native12_GLOBAL__N_18offset_tEEE10hipError_tPvRmT1_PNSt15iterator_traitsISZ_E10value_typeET2_T3_PNS10_IS15_E10value_typeET4_jRbjT5_S1B_jjP12ihipStream_tbEUljE_ZNSN_ISO_Lb0ESQ_SR_SQ_SR_SV_EESW_SX_SY_SZ_S13_S14_S15_S18_S19_jS1A_jS1B_S1B_jjS1D_bEUljE0_EEESW_SX_SY_S15_S19_S1B_T6_T7_T9_mT8_S1D_bDpT10_ENKUlT_T0_E_clISt17integral_constantIbLb1EES1R_EEDaS1M_S1N_EUlS1M_E_NS1_11comp_targetILNS1_3genE9ELNS1_11target_archE1100ELNS1_3gpuE3ELNS1_3repE0EEENS1_30default_config_static_selectorELNS0_4arch9wavefront6targetE0EEEvSZ_.private_seg_size, 0
	.set _ZN7rocprim17ROCPRIM_400000_NS6detail17trampoline_kernelINS0_13select_configILj256ELj13ELNS0_17block_load_methodE3ELS4_3ELS4_3ELNS0_20block_scan_algorithmE0ELj4294967295EEENS1_25partition_config_selectorILNS1_17partition_subalgoE4EjNS0_10empty_typeEbEEZZNS1_14partition_implILS8_4ELb0ES6_15HIP_vector_typeIjLj2EENS0_17counting_iteratorIjlEEPS9_SG_NS0_5tupleIJPjSI_NS0_16reverse_iteratorISI_EEEEENSH_IJSG_SG_SG_EEES9_SI_JZNS1_25segmented_radix_sort_implINS0_14default_configELb0EPKlPlSQ_SR_N2at6native12_GLOBAL__N_18offset_tEEE10hipError_tPvRmT1_PNSt15iterator_traitsISZ_E10value_typeET2_T3_PNS10_IS15_E10value_typeET4_jRbjT5_S1B_jjP12ihipStream_tbEUljE_ZNSN_ISO_Lb0ESQ_SR_SQ_SR_SV_EESW_SX_SY_SZ_S13_S14_S15_S18_S19_jS1A_jS1B_S1B_jjS1D_bEUljE0_EEESW_SX_SY_S15_S19_S1B_T6_T7_T9_mT8_S1D_bDpT10_ENKUlT_T0_E_clISt17integral_constantIbLb1EES1R_EEDaS1M_S1N_EUlS1M_E_NS1_11comp_targetILNS1_3genE9ELNS1_11target_archE1100ELNS1_3gpuE3ELNS1_3repE0EEENS1_30default_config_static_selectorELNS0_4arch9wavefront6targetE0EEEvSZ_.uses_vcc, 0
	.set _ZN7rocprim17ROCPRIM_400000_NS6detail17trampoline_kernelINS0_13select_configILj256ELj13ELNS0_17block_load_methodE3ELS4_3ELS4_3ELNS0_20block_scan_algorithmE0ELj4294967295EEENS1_25partition_config_selectorILNS1_17partition_subalgoE4EjNS0_10empty_typeEbEEZZNS1_14partition_implILS8_4ELb0ES6_15HIP_vector_typeIjLj2EENS0_17counting_iteratorIjlEEPS9_SG_NS0_5tupleIJPjSI_NS0_16reverse_iteratorISI_EEEEENSH_IJSG_SG_SG_EEES9_SI_JZNS1_25segmented_radix_sort_implINS0_14default_configELb0EPKlPlSQ_SR_N2at6native12_GLOBAL__N_18offset_tEEE10hipError_tPvRmT1_PNSt15iterator_traitsISZ_E10value_typeET2_T3_PNS10_IS15_E10value_typeET4_jRbjT5_S1B_jjP12ihipStream_tbEUljE_ZNSN_ISO_Lb0ESQ_SR_SQ_SR_SV_EESW_SX_SY_SZ_S13_S14_S15_S18_S19_jS1A_jS1B_S1B_jjS1D_bEUljE0_EEESW_SX_SY_S15_S19_S1B_T6_T7_T9_mT8_S1D_bDpT10_ENKUlT_T0_E_clISt17integral_constantIbLb1EES1R_EEDaS1M_S1N_EUlS1M_E_NS1_11comp_targetILNS1_3genE9ELNS1_11target_archE1100ELNS1_3gpuE3ELNS1_3repE0EEENS1_30default_config_static_selectorELNS0_4arch9wavefront6targetE0EEEvSZ_.uses_flat_scratch, 0
	.set _ZN7rocprim17ROCPRIM_400000_NS6detail17trampoline_kernelINS0_13select_configILj256ELj13ELNS0_17block_load_methodE3ELS4_3ELS4_3ELNS0_20block_scan_algorithmE0ELj4294967295EEENS1_25partition_config_selectorILNS1_17partition_subalgoE4EjNS0_10empty_typeEbEEZZNS1_14partition_implILS8_4ELb0ES6_15HIP_vector_typeIjLj2EENS0_17counting_iteratorIjlEEPS9_SG_NS0_5tupleIJPjSI_NS0_16reverse_iteratorISI_EEEEENSH_IJSG_SG_SG_EEES9_SI_JZNS1_25segmented_radix_sort_implINS0_14default_configELb0EPKlPlSQ_SR_N2at6native12_GLOBAL__N_18offset_tEEE10hipError_tPvRmT1_PNSt15iterator_traitsISZ_E10value_typeET2_T3_PNS10_IS15_E10value_typeET4_jRbjT5_S1B_jjP12ihipStream_tbEUljE_ZNSN_ISO_Lb0ESQ_SR_SQ_SR_SV_EESW_SX_SY_SZ_S13_S14_S15_S18_S19_jS1A_jS1B_S1B_jjS1D_bEUljE0_EEESW_SX_SY_S15_S19_S1B_T6_T7_T9_mT8_S1D_bDpT10_ENKUlT_T0_E_clISt17integral_constantIbLb1EES1R_EEDaS1M_S1N_EUlS1M_E_NS1_11comp_targetILNS1_3genE9ELNS1_11target_archE1100ELNS1_3gpuE3ELNS1_3repE0EEENS1_30default_config_static_selectorELNS0_4arch9wavefront6targetE0EEEvSZ_.has_dyn_sized_stack, 0
	.set _ZN7rocprim17ROCPRIM_400000_NS6detail17trampoline_kernelINS0_13select_configILj256ELj13ELNS0_17block_load_methodE3ELS4_3ELS4_3ELNS0_20block_scan_algorithmE0ELj4294967295EEENS1_25partition_config_selectorILNS1_17partition_subalgoE4EjNS0_10empty_typeEbEEZZNS1_14partition_implILS8_4ELb0ES6_15HIP_vector_typeIjLj2EENS0_17counting_iteratorIjlEEPS9_SG_NS0_5tupleIJPjSI_NS0_16reverse_iteratorISI_EEEEENSH_IJSG_SG_SG_EEES9_SI_JZNS1_25segmented_radix_sort_implINS0_14default_configELb0EPKlPlSQ_SR_N2at6native12_GLOBAL__N_18offset_tEEE10hipError_tPvRmT1_PNSt15iterator_traitsISZ_E10value_typeET2_T3_PNS10_IS15_E10value_typeET4_jRbjT5_S1B_jjP12ihipStream_tbEUljE_ZNSN_ISO_Lb0ESQ_SR_SQ_SR_SV_EESW_SX_SY_SZ_S13_S14_S15_S18_S19_jS1A_jS1B_S1B_jjS1D_bEUljE0_EEESW_SX_SY_S15_S19_S1B_T6_T7_T9_mT8_S1D_bDpT10_ENKUlT_T0_E_clISt17integral_constantIbLb1EES1R_EEDaS1M_S1N_EUlS1M_E_NS1_11comp_targetILNS1_3genE9ELNS1_11target_archE1100ELNS1_3gpuE3ELNS1_3repE0EEENS1_30default_config_static_selectorELNS0_4arch9wavefront6targetE0EEEvSZ_.has_recursion, 0
	.set _ZN7rocprim17ROCPRIM_400000_NS6detail17trampoline_kernelINS0_13select_configILj256ELj13ELNS0_17block_load_methodE3ELS4_3ELS4_3ELNS0_20block_scan_algorithmE0ELj4294967295EEENS1_25partition_config_selectorILNS1_17partition_subalgoE4EjNS0_10empty_typeEbEEZZNS1_14partition_implILS8_4ELb0ES6_15HIP_vector_typeIjLj2EENS0_17counting_iteratorIjlEEPS9_SG_NS0_5tupleIJPjSI_NS0_16reverse_iteratorISI_EEEEENSH_IJSG_SG_SG_EEES9_SI_JZNS1_25segmented_radix_sort_implINS0_14default_configELb0EPKlPlSQ_SR_N2at6native12_GLOBAL__N_18offset_tEEE10hipError_tPvRmT1_PNSt15iterator_traitsISZ_E10value_typeET2_T3_PNS10_IS15_E10value_typeET4_jRbjT5_S1B_jjP12ihipStream_tbEUljE_ZNSN_ISO_Lb0ESQ_SR_SQ_SR_SV_EESW_SX_SY_SZ_S13_S14_S15_S18_S19_jS1A_jS1B_S1B_jjS1D_bEUljE0_EEESW_SX_SY_S15_S19_S1B_T6_T7_T9_mT8_S1D_bDpT10_ENKUlT_T0_E_clISt17integral_constantIbLb1EES1R_EEDaS1M_S1N_EUlS1M_E_NS1_11comp_targetILNS1_3genE9ELNS1_11target_archE1100ELNS1_3gpuE3ELNS1_3repE0EEENS1_30default_config_static_selectorELNS0_4arch9wavefront6targetE0EEEvSZ_.has_indirect_call, 0
	.section	.AMDGPU.csdata,"",@progbits
; Kernel info:
; codeLenInByte = 0
; TotalNumSgprs: 0
; NumVgprs: 0
; ScratchSize: 0
; MemoryBound: 0
; FloatMode: 240
; IeeeMode: 1
; LDSByteSize: 0 bytes/workgroup (compile time only)
; SGPRBlocks: 0
; VGPRBlocks: 0
; NumSGPRsForWavesPerEU: 1
; NumVGPRsForWavesPerEU: 1
; NamedBarCnt: 0
; Occupancy: 16
; WaveLimiterHint : 0
; COMPUTE_PGM_RSRC2:SCRATCH_EN: 0
; COMPUTE_PGM_RSRC2:USER_SGPR: 2
; COMPUTE_PGM_RSRC2:TRAP_HANDLER: 0
; COMPUTE_PGM_RSRC2:TGID_X_EN: 1
; COMPUTE_PGM_RSRC2:TGID_Y_EN: 0
; COMPUTE_PGM_RSRC2:TGID_Z_EN: 0
; COMPUTE_PGM_RSRC2:TIDIG_COMP_CNT: 0
	.section	.text._ZN7rocprim17ROCPRIM_400000_NS6detail17trampoline_kernelINS0_13select_configILj256ELj13ELNS0_17block_load_methodE3ELS4_3ELS4_3ELNS0_20block_scan_algorithmE0ELj4294967295EEENS1_25partition_config_selectorILNS1_17partition_subalgoE4EjNS0_10empty_typeEbEEZZNS1_14partition_implILS8_4ELb0ES6_15HIP_vector_typeIjLj2EENS0_17counting_iteratorIjlEEPS9_SG_NS0_5tupleIJPjSI_NS0_16reverse_iteratorISI_EEEEENSH_IJSG_SG_SG_EEES9_SI_JZNS1_25segmented_radix_sort_implINS0_14default_configELb0EPKlPlSQ_SR_N2at6native12_GLOBAL__N_18offset_tEEE10hipError_tPvRmT1_PNSt15iterator_traitsISZ_E10value_typeET2_T3_PNS10_IS15_E10value_typeET4_jRbjT5_S1B_jjP12ihipStream_tbEUljE_ZNSN_ISO_Lb0ESQ_SR_SQ_SR_SV_EESW_SX_SY_SZ_S13_S14_S15_S18_S19_jS1A_jS1B_S1B_jjS1D_bEUljE0_EEESW_SX_SY_S15_S19_S1B_T6_T7_T9_mT8_S1D_bDpT10_ENKUlT_T0_E_clISt17integral_constantIbLb1EES1R_EEDaS1M_S1N_EUlS1M_E_NS1_11comp_targetILNS1_3genE8ELNS1_11target_archE1030ELNS1_3gpuE2ELNS1_3repE0EEENS1_30default_config_static_selectorELNS0_4arch9wavefront6targetE0EEEvSZ_,"axG",@progbits,_ZN7rocprim17ROCPRIM_400000_NS6detail17trampoline_kernelINS0_13select_configILj256ELj13ELNS0_17block_load_methodE3ELS4_3ELS4_3ELNS0_20block_scan_algorithmE0ELj4294967295EEENS1_25partition_config_selectorILNS1_17partition_subalgoE4EjNS0_10empty_typeEbEEZZNS1_14partition_implILS8_4ELb0ES6_15HIP_vector_typeIjLj2EENS0_17counting_iteratorIjlEEPS9_SG_NS0_5tupleIJPjSI_NS0_16reverse_iteratorISI_EEEEENSH_IJSG_SG_SG_EEES9_SI_JZNS1_25segmented_radix_sort_implINS0_14default_configELb0EPKlPlSQ_SR_N2at6native12_GLOBAL__N_18offset_tEEE10hipError_tPvRmT1_PNSt15iterator_traitsISZ_E10value_typeET2_T3_PNS10_IS15_E10value_typeET4_jRbjT5_S1B_jjP12ihipStream_tbEUljE_ZNSN_ISO_Lb0ESQ_SR_SQ_SR_SV_EESW_SX_SY_SZ_S13_S14_S15_S18_S19_jS1A_jS1B_S1B_jjS1D_bEUljE0_EEESW_SX_SY_S15_S19_S1B_T6_T7_T9_mT8_S1D_bDpT10_ENKUlT_T0_E_clISt17integral_constantIbLb1EES1R_EEDaS1M_S1N_EUlS1M_E_NS1_11comp_targetILNS1_3genE8ELNS1_11target_archE1030ELNS1_3gpuE2ELNS1_3repE0EEENS1_30default_config_static_selectorELNS0_4arch9wavefront6targetE0EEEvSZ_,comdat
	.globl	_ZN7rocprim17ROCPRIM_400000_NS6detail17trampoline_kernelINS0_13select_configILj256ELj13ELNS0_17block_load_methodE3ELS4_3ELS4_3ELNS0_20block_scan_algorithmE0ELj4294967295EEENS1_25partition_config_selectorILNS1_17partition_subalgoE4EjNS0_10empty_typeEbEEZZNS1_14partition_implILS8_4ELb0ES6_15HIP_vector_typeIjLj2EENS0_17counting_iteratorIjlEEPS9_SG_NS0_5tupleIJPjSI_NS0_16reverse_iteratorISI_EEEEENSH_IJSG_SG_SG_EEES9_SI_JZNS1_25segmented_radix_sort_implINS0_14default_configELb0EPKlPlSQ_SR_N2at6native12_GLOBAL__N_18offset_tEEE10hipError_tPvRmT1_PNSt15iterator_traitsISZ_E10value_typeET2_T3_PNS10_IS15_E10value_typeET4_jRbjT5_S1B_jjP12ihipStream_tbEUljE_ZNSN_ISO_Lb0ESQ_SR_SQ_SR_SV_EESW_SX_SY_SZ_S13_S14_S15_S18_S19_jS1A_jS1B_S1B_jjS1D_bEUljE0_EEESW_SX_SY_S15_S19_S1B_T6_T7_T9_mT8_S1D_bDpT10_ENKUlT_T0_E_clISt17integral_constantIbLb1EES1R_EEDaS1M_S1N_EUlS1M_E_NS1_11comp_targetILNS1_3genE8ELNS1_11target_archE1030ELNS1_3gpuE2ELNS1_3repE0EEENS1_30default_config_static_selectorELNS0_4arch9wavefront6targetE0EEEvSZ_ ; -- Begin function _ZN7rocprim17ROCPRIM_400000_NS6detail17trampoline_kernelINS0_13select_configILj256ELj13ELNS0_17block_load_methodE3ELS4_3ELS4_3ELNS0_20block_scan_algorithmE0ELj4294967295EEENS1_25partition_config_selectorILNS1_17partition_subalgoE4EjNS0_10empty_typeEbEEZZNS1_14partition_implILS8_4ELb0ES6_15HIP_vector_typeIjLj2EENS0_17counting_iteratorIjlEEPS9_SG_NS0_5tupleIJPjSI_NS0_16reverse_iteratorISI_EEEEENSH_IJSG_SG_SG_EEES9_SI_JZNS1_25segmented_radix_sort_implINS0_14default_configELb0EPKlPlSQ_SR_N2at6native12_GLOBAL__N_18offset_tEEE10hipError_tPvRmT1_PNSt15iterator_traitsISZ_E10value_typeET2_T3_PNS10_IS15_E10value_typeET4_jRbjT5_S1B_jjP12ihipStream_tbEUljE_ZNSN_ISO_Lb0ESQ_SR_SQ_SR_SV_EESW_SX_SY_SZ_S13_S14_S15_S18_S19_jS1A_jS1B_S1B_jjS1D_bEUljE0_EEESW_SX_SY_S15_S19_S1B_T6_T7_T9_mT8_S1D_bDpT10_ENKUlT_T0_E_clISt17integral_constantIbLb1EES1R_EEDaS1M_S1N_EUlS1M_E_NS1_11comp_targetILNS1_3genE8ELNS1_11target_archE1030ELNS1_3gpuE2ELNS1_3repE0EEENS1_30default_config_static_selectorELNS0_4arch9wavefront6targetE0EEEvSZ_
	.p2align	8
	.type	_ZN7rocprim17ROCPRIM_400000_NS6detail17trampoline_kernelINS0_13select_configILj256ELj13ELNS0_17block_load_methodE3ELS4_3ELS4_3ELNS0_20block_scan_algorithmE0ELj4294967295EEENS1_25partition_config_selectorILNS1_17partition_subalgoE4EjNS0_10empty_typeEbEEZZNS1_14partition_implILS8_4ELb0ES6_15HIP_vector_typeIjLj2EENS0_17counting_iteratorIjlEEPS9_SG_NS0_5tupleIJPjSI_NS0_16reverse_iteratorISI_EEEEENSH_IJSG_SG_SG_EEES9_SI_JZNS1_25segmented_radix_sort_implINS0_14default_configELb0EPKlPlSQ_SR_N2at6native12_GLOBAL__N_18offset_tEEE10hipError_tPvRmT1_PNSt15iterator_traitsISZ_E10value_typeET2_T3_PNS10_IS15_E10value_typeET4_jRbjT5_S1B_jjP12ihipStream_tbEUljE_ZNSN_ISO_Lb0ESQ_SR_SQ_SR_SV_EESW_SX_SY_SZ_S13_S14_S15_S18_S19_jS1A_jS1B_S1B_jjS1D_bEUljE0_EEESW_SX_SY_S15_S19_S1B_T6_T7_T9_mT8_S1D_bDpT10_ENKUlT_T0_E_clISt17integral_constantIbLb1EES1R_EEDaS1M_S1N_EUlS1M_E_NS1_11comp_targetILNS1_3genE8ELNS1_11target_archE1030ELNS1_3gpuE2ELNS1_3repE0EEENS1_30default_config_static_selectorELNS0_4arch9wavefront6targetE0EEEvSZ_,@function
_ZN7rocprim17ROCPRIM_400000_NS6detail17trampoline_kernelINS0_13select_configILj256ELj13ELNS0_17block_load_methodE3ELS4_3ELS4_3ELNS0_20block_scan_algorithmE0ELj4294967295EEENS1_25partition_config_selectorILNS1_17partition_subalgoE4EjNS0_10empty_typeEbEEZZNS1_14partition_implILS8_4ELb0ES6_15HIP_vector_typeIjLj2EENS0_17counting_iteratorIjlEEPS9_SG_NS0_5tupleIJPjSI_NS0_16reverse_iteratorISI_EEEEENSH_IJSG_SG_SG_EEES9_SI_JZNS1_25segmented_radix_sort_implINS0_14default_configELb0EPKlPlSQ_SR_N2at6native12_GLOBAL__N_18offset_tEEE10hipError_tPvRmT1_PNSt15iterator_traitsISZ_E10value_typeET2_T3_PNS10_IS15_E10value_typeET4_jRbjT5_S1B_jjP12ihipStream_tbEUljE_ZNSN_ISO_Lb0ESQ_SR_SQ_SR_SV_EESW_SX_SY_SZ_S13_S14_S15_S18_S19_jS1A_jS1B_S1B_jjS1D_bEUljE0_EEESW_SX_SY_S15_S19_S1B_T6_T7_T9_mT8_S1D_bDpT10_ENKUlT_T0_E_clISt17integral_constantIbLb1EES1R_EEDaS1M_S1N_EUlS1M_E_NS1_11comp_targetILNS1_3genE8ELNS1_11target_archE1030ELNS1_3gpuE2ELNS1_3repE0EEENS1_30default_config_static_selectorELNS0_4arch9wavefront6targetE0EEEvSZ_: ; @_ZN7rocprim17ROCPRIM_400000_NS6detail17trampoline_kernelINS0_13select_configILj256ELj13ELNS0_17block_load_methodE3ELS4_3ELS4_3ELNS0_20block_scan_algorithmE0ELj4294967295EEENS1_25partition_config_selectorILNS1_17partition_subalgoE4EjNS0_10empty_typeEbEEZZNS1_14partition_implILS8_4ELb0ES6_15HIP_vector_typeIjLj2EENS0_17counting_iteratorIjlEEPS9_SG_NS0_5tupleIJPjSI_NS0_16reverse_iteratorISI_EEEEENSH_IJSG_SG_SG_EEES9_SI_JZNS1_25segmented_radix_sort_implINS0_14default_configELb0EPKlPlSQ_SR_N2at6native12_GLOBAL__N_18offset_tEEE10hipError_tPvRmT1_PNSt15iterator_traitsISZ_E10value_typeET2_T3_PNS10_IS15_E10value_typeET4_jRbjT5_S1B_jjP12ihipStream_tbEUljE_ZNSN_ISO_Lb0ESQ_SR_SQ_SR_SV_EESW_SX_SY_SZ_S13_S14_S15_S18_S19_jS1A_jS1B_S1B_jjS1D_bEUljE0_EEESW_SX_SY_S15_S19_S1B_T6_T7_T9_mT8_S1D_bDpT10_ENKUlT_T0_E_clISt17integral_constantIbLb1EES1R_EEDaS1M_S1N_EUlS1M_E_NS1_11comp_targetILNS1_3genE8ELNS1_11target_archE1030ELNS1_3gpuE2ELNS1_3repE0EEENS1_30default_config_static_selectorELNS0_4arch9wavefront6targetE0EEEvSZ_
; %bb.0:
	.section	.rodata,"a",@progbits
	.p2align	6, 0x0
	.amdhsa_kernel _ZN7rocprim17ROCPRIM_400000_NS6detail17trampoline_kernelINS0_13select_configILj256ELj13ELNS0_17block_load_methodE3ELS4_3ELS4_3ELNS0_20block_scan_algorithmE0ELj4294967295EEENS1_25partition_config_selectorILNS1_17partition_subalgoE4EjNS0_10empty_typeEbEEZZNS1_14partition_implILS8_4ELb0ES6_15HIP_vector_typeIjLj2EENS0_17counting_iteratorIjlEEPS9_SG_NS0_5tupleIJPjSI_NS0_16reverse_iteratorISI_EEEEENSH_IJSG_SG_SG_EEES9_SI_JZNS1_25segmented_radix_sort_implINS0_14default_configELb0EPKlPlSQ_SR_N2at6native12_GLOBAL__N_18offset_tEEE10hipError_tPvRmT1_PNSt15iterator_traitsISZ_E10value_typeET2_T3_PNS10_IS15_E10value_typeET4_jRbjT5_S1B_jjP12ihipStream_tbEUljE_ZNSN_ISO_Lb0ESQ_SR_SQ_SR_SV_EESW_SX_SY_SZ_S13_S14_S15_S18_S19_jS1A_jS1B_S1B_jjS1D_bEUljE0_EEESW_SX_SY_S15_S19_S1B_T6_T7_T9_mT8_S1D_bDpT10_ENKUlT_T0_E_clISt17integral_constantIbLb1EES1R_EEDaS1M_S1N_EUlS1M_E_NS1_11comp_targetILNS1_3genE8ELNS1_11target_archE1030ELNS1_3gpuE2ELNS1_3repE0EEENS1_30default_config_static_selectorELNS0_4arch9wavefront6targetE0EEEvSZ_
		.amdhsa_group_segment_fixed_size 0
		.amdhsa_private_segment_fixed_size 0
		.amdhsa_kernarg_size 184
		.amdhsa_user_sgpr_count 2
		.amdhsa_user_sgpr_dispatch_ptr 0
		.amdhsa_user_sgpr_queue_ptr 0
		.amdhsa_user_sgpr_kernarg_segment_ptr 1
		.amdhsa_user_sgpr_dispatch_id 0
		.amdhsa_user_sgpr_kernarg_preload_length 0
		.amdhsa_user_sgpr_kernarg_preload_offset 0
		.amdhsa_user_sgpr_private_segment_size 0
		.amdhsa_wavefront_size32 1
		.amdhsa_uses_dynamic_stack 0
		.amdhsa_enable_private_segment 0
		.amdhsa_system_sgpr_workgroup_id_x 1
		.amdhsa_system_sgpr_workgroup_id_y 0
		.amdhsa_system_sgpr_workgroup_id_z 0
		.amdhsa_system_sgpr_workgroup_info 0
		.amdhsa_system_vgpr_workitem_id 0
		.amdhsa_next_free_vgpr 1
		.amdhsa_next_free_sgpr 1
		.amdhsa_named_barrier_count 0
		.amdhsa_reserve_vcc 0
		.amdhsa_float_round_mode_32 0
		.amdhsa_float_round_mode_16_64 0
		.amdhsa_float_denorm_mode_32 3
		.amdhsa_float_denorm_mode_16_64 3
		.amdhsa_fp16_overflow 0
		.amdhsa_memory_ordered 1
		.amdhsa_forward_progress 1
		.amdhsa_inst_pref_size 0
		.amdhsa_round_robin_scheduling 0
		.amdhsa_exception_fp_ieee_invalid_op 0
		.amdhsa_exception_fp_denorm_src 0
		.amdhsa_exception_fp_ieee_div_zero 0
		.amdhsa_exception_fp_ieee_overflow 0
		.amdhsa_exception_fp_ieee_underflow 0
		.amdhsa_exception_fp_ieee_inexact 0
		.amdhsa_exception_int_div_zero 0
	.end_amdhsa_kernel
	.section	.text._ZN7rocprim17ROCPRIM_400000_NS6detail17trampoline_kernelINS0_13select_configILj256ELj13ELNS0_17block_load_methodE3ELS4_3ELS4_3ELNS0_20block_scan_algorithmE0ELj4294967295EEENS1_25partition_config_selectorILNS1_17partition_subalgoE4EjNS0_10empty_typeEbEEZZNS1_14partition_implILS8_4ELb0ES6_15HIP_vector_typeIjLj2EENS0_17counting_iteratorIjlEEPS9_SG_NS0_5tupleIJPjSI_NS0_16reverse_iteratorISI_EEEEENSH_IJSG_SG_SG_EEES9_SI_JZNS1_25segmented_radix_sort_implINS0_14default_configELb0EPKlPlSQ_SR_N2at6native12_GLOBAL__N_18offset_tEEE10hipError_tPvRmT1_PNSt15iterator_traitsISZ_E10value_typeET2_T3_PNS10_IS15_E10value_typeET4_jRbjT5_S1B_jjP12ihipStream_tbEUljE_ZNSN_ISO_Lb0ESQ_SR_SQ_SR_SV_EESW_SX_SY_SZ_S13_S14_S15_S18_S19_jS1A_jS1B_S1B_jjS1D_bEUljE0_EEESW_SX_SY_S15_S19_S1B_T6_T7_T9_mT8_S1D_bDpT10_ENKUlT_T0_E_clISt17integral_constantIbLb1EES1R_EEDaS1M_S1N_EUlS1M_E_NS1_11comp_targetILNS1_3genE8ELNS1_11target_archE1030ELNS1_3gpuE2ELNS1_3repE0EEENS1_30default_config_static_selectorELNS0_4arch9wavefront6targetE0EEEvSZ_,"axG",@progbits,_ZN7rocprim17ROCPRIM_400000_NS6detail17trampoline_kernelINS0_13select_configILj256ELj13ELNS0_17block_load_methodE3ELS4_3ELS4_3ELNS0_20block_scan_algorithmE0ELj4294967295EEENS1_25partition_config_selectorILNS1_17partition_subalgoE4EjNS0_10empty_typeEbEEZZNS1_14partition_implILS8_4ELb0ES6_15HIP_vector_typeIjLj2EENS0_17counting_iteratorIjlEEPS9_SG_NS0_5tupleIJPjSI_NS0_16reverse_iteratorISI_EEEEENSH_IJSG_SG_SG_EEES9_SI_JZNS1_25segmented_radix_sort_implINS0_14default_configELb0EPKlPlSQ_SR_N2at6native12_GLOBAL__N_18offset_tEEE10hipError_tPvRmT1_PNSt15iterator_traitsISZ_E10value_typeET2_T3_PNS10_IS15_E10value_typeET4_jRbjT5_S1B_jjP12ihipStream_tbEUljE_ZNSN_ISO_Lb0ESQ_SR_SQ_SR_SV_EESW_SX_SY_SZ_S13_S14_S15_S18_S19_jS1A_jS1B_S1B_jjS1D_bEUljE0_EEESW_SX_SY_S15_S19_S1B_T6_T7_T9_mT8_S1D_bDpT10_ENKUlT_T0_E_clISt17integral_constantIbLb1EES1R_EEDaS1M_S1N_EUlS1M_E_NS1_11comp_targetILNS1_3genE8ELNS1_11target_archE1030ELNS1_3gpuE2ELNS1_3repE0EEENS1_30default_config_static_selectorELNS0_4arch9wavefront6targetE0EEEvSZ_,comdat
.Lfunc_end754:
	.size	_ZN7rocprim17ROCPRIM_400000_NS6detail17trampoline_kernelINS0_13select_configILj256ELj13ELNS0_17block_load_methodE3ELS4_3ELS4_3ELNS0_20block_scan_algorithmE0ELj4294967295EEENS1_25partition_config_selectorILNS1_17partition_subalgoE4EjNS0_10empty_typeEbEEZZNS1_14partition_implILS8_4ELb0ES6_15HIP_vector_typeIjLj2EENS0_17counting_iteratorIjlEEPS9_SG_NS0_5tupleIJPjSI_NS0_16reverse_iteratorISI_EEEEENSH_IJSG_SG_SG_EEES9_SI_JZNS1_25segmented_radix_sort_implINS0_14default_configELb0EPKlPlSQ_SR_N2at6native12_GLOBAL__N_18offset_tEEE10hipError_tPvRmT1_PNSt15iterator_traitsISZ_E10value_typeET2_T3_PNS10_IS15_E10value_typeET4_jRbjT5_S1B_jjP12ihipStream_tbEUljE_ZNSN_ISO_Lb0ESQ_SR_SQ_SR_SV_EESW_SX_SY_SZ_S13_S14_S15_S18_S19_jS1A_jS1B_S1B_jjS1D_bEUljE0_EEESW_SX_SY_S15_S19_S1B_T6_T7_T9_mT8_S1D_bDpT10_ENKUlT_T0_E_clISt17integral_constantIbLb1EES1R_EEDaS1M_S1N_EUlS1M_E_NS1_11comp_targetILNS1_3genE8ELNS1_11target_archE1030ELNS1_3gpuE2ELNS1_3repE0EEENS1_30default_config_static_selectorELNS0_4arch9wavefront6targetE0EEEvSZ_, .Lfunc_end754-_ZN7rocprim17ROCPRIM_400000_NS6detail17trampoline_kernelINS0_13select_configILj256ELj13ELNS0_17block_load_methodE3ELS4_3ELS4_3ELNS0_20block_scan_algorithmE0ELj4294967295EEENS1_25partition_config_selectorILNS1_17partition_subalgoE4EjNS0_10empty_typeEbEEZZNS1_14partition_implILS8_4ELb0ES6_15HIP_vector_typeIjLj2EENS0_17counting_iteratorIjlEEPS9_SG_NS0_5tupleIJPjSI_NS0_16reverse_iteratorISI_EEEEENSH_IJSG_SG_SG_EEES9_SI_JZNS1_25segmented_radix_sort_implINS0_14default_configELb0EPKlPlSQ_SR_N2at6native12_GLOBAL__N_18offset_tEEE10hipError_tPvRmT1_PNSt15iterator_traitsISZ_E10value_typeET2_T3_PNS10_IS15_E10value_typeET4_jRbjT5_S1B_jjP12ihipStream_tbEUljE_ZNSN_ISO_Lb0ESQ_SR_SQ_SR_SV_EESW_SX_SY_SZ_S13_S14_S15_S18_S19_jS1A_jS1B_S1B_jjS1D_bEUljE0_EEESW_SX_SY_S15_S19_S1B_T6_T7_T9_mT8_S1D_bDpT10_ENKUlT_T0_E_clISt17integral_constantIbLb1EES1R_EEDaS1M_S1N_EUlS1M_E_NS1_11comp_targetILNS1_3genE8ELNS1_11target_archE1030ELNS1_3gpuE2ELNS1_3repE0EEENS1_30default_config_static_selectorELNS0_4arch9wavefront6targetE0EEEvSZ_
                                        ; -- End function
	.set _ZN7rocprim17ROCPRIM_400000_NS6detail17trampoline_kernelINS0_13select_configILj256ELj13ELNS0_17block_load_methodE3ELS4_3ELS4_3ELNS0_20block_scan_algorithmE0ELj4294967295EEENS1_25partition_config_selectorILNS1_17partition_subalgoE4EjNS0_10empty_typeEbEEZZNS1_14partition_implILS8_4ELb0ES6_15HIP_vector_typeIjLj2EENS0_17counting_iteratorIjlEEPS9_SG_NS0_5tupleIJPjSI_NS0_16reverse_iteratorISI_EEEEENSH_IJSG_SG_SG_EEES9_SI_JZNS1_25segmented_radix_sort_implINS0_14default_configELb0EPKlPlSQ_SR_N2at6native12_GLOBAL__N_18offset_tEEE10hipError_tPvRmT1_PNSt15iterator_traitsISZ_E10value_typeET2_T3_PNS10_IS15_E10value_typeET4_jRbjT5_S1B_jjP12ihipStream_tbEUljE_ZNSN_ISO_Lb0ESQ_SR_SQ_SR_SV_EESW_SX_SY_SZ_S13_S14_S15_S18_S19_jS1A_jS1B_S1B_jjS1D_bEUljE0_EEESW_SX_SY_S15_S19_S1B_T6_T7_T9_mT8_S1D_bDpT10_ENKUlT_T0_E_clISt17integral_constantIbLb1EES1R_EEDaS1M_S1N_EUlS1M_E_NS1_11comp_targetILNS1_3genE8ELNS1_11target_archE1030ELNS1_3gpuE2ELNS1_3repE0EEENS1_30default_config_static_selectorELNS0_4arch9wavefront6targetE0EEEvSZ_.num_vgpr, 0
	.set _ZN7rocprim17ROCPRIM_400000_NS6detail17trampoline_kernelINS0_13select_configILj256ELj13ELNS0_17block_load_methodE3ELS4_3ELS4_3ELNS0_20block_scan_algorithmE0ELj4294967295EEENS1_25partition_config_selectorILNS1_17partition_subalgoE4EjNS0_10empty_typeEbEEZZNS1_14partition_implILS8_4ELb0ES6_15HIP_vector_typeIjLj2EENS0_17counting_iteratorIjlEEPS9_SG_NS0_5tupleIJPjSI_NS0_16reverse_iteratorISI_EEEEENSH_IJSG_SG_SG_EEES9_SI_JZNS1_25segmented_radix_sort_implINS0_14default_configELb0EPKlPlSQ_SR_N2at6native12_GLOBAL__N_18offset_tEEE10hipError_tPvRmT1_PNSt15iterator_traitsISZ_E10value_typeET2_T3_PNS10_IS15_E10value_typeET4_jRbjT5_S1B_jjP12ihipStream_tbEUljE_ZNSN_ISO_Lb0ESQ_SR_SQ_SR_SV_EESW_SX_SY_SZ_S13_S14_S15_S18_S19_jS1A_jS1B_S1B_jjS1D_bEUljE0_EEESW_SX_SY_S15_S19_S1B_T6_T7_T9_mT8_S1D_bDpT10_ENKUlT_T0_E_clISt17integral_constantIbLb1EES1R_EEDaS1M_S1N_EUlS1M_E_NS1_11comp_targetILNS1_3genE8ELNS1_11target_archE1030ELNS1_3gpuE2ELNS1_3repE0EEENS1_30default_config_static_selectorELNS0_4arch9wavefront6targetE0EEEvSZ_.num_agpr, 0
	.set _ZN7rocprim17ROCPRIM_400000_NS6detail17trampoline_kernelINS0_13select_configILj256ELj13ELNS0_17block_load_methodE3ELS4_3ELS4_3ELNS0_20block_scan_algorithmE0ELj4294967295EEENS1_25partition_config_selectorILNS1_17partition_subalgoE4EjNS0_10empty_typeEbEEZZNS1_14partition_implILS8_4ELb0ES6_15HIP_vector_typeIjLj2EENS0_17counting_iteratorIjlEEPS9_SG_NS0_5tupleIJPjSI_NS0_16reverse_iteratorISI_EEEEENSH_IJSG_SG_SG_EEES9_SI_JZNS1_25segmented_radix_sort_implINS0_14default_configELb0EPKlPlSQ_SR_N2at6native12_GLOBAL__N_18offset_tEEE10hipError_tPvRmT1_PNSt15iterator_traitsISZ_E10value_typeET2_T3_PNS10_IS15_E10value_typeET4_jRbjT5_S1B_jjP12ihipStream_tbEUljE_ZNSN_ISO_Lb0ESQ_SR_SQ_SR_SV_EESW_SX_SY_SZ_S13_S14_S15_S18_S19_jS1A_jS1B_S1B_jjS1D_bEUljE0_EEESW_SX_SY_S15_S19_S1B_T6_T7_T9_mT8_S1D_bDpT10_ENKUlT_T0_E_clISt17integral_constantIbLb1EES1R_EEDaS1M_S1N_EUlS1M_E_NS1_11comp_targetILNS1_3genE8ELNS1_11target_archE1030ELNS1_3gpuE2ELNS1_3repE0EEENS1_30default_config_static_selectorELNS0_4arch9wavefront6targetE0EEEvSZ_.numbered_sgpr, 0
	.set _ZN7rocprim17ROCPRIM_400000_NS6detail17trampoline_kernelINS0_13select_configILj256ELj13ELNS0_17block_load_methodE3ELS4_3ELS4_3ELNS0_20block_scan_algorithmE0ELj4294967295EEENS1_25partition_config_selectorILNS1_17partition_subalgoE4EjNS0_10empty_typeEbEEZZNS1_14partition_implILS8_4ELb0ES6_15HIP_vector_typeIjLj2EENS0_17counting_iteratorIjlEEPS9_SG_NS0_5tupleIJPjSI_NS0_16reverse_iteratorISI_EEEEENSH_IJSG_SG_SG_EEES9_SI_JZNS1_25segmented_radix_sort_implINS0_14default_configELb0EPKlPlSQ_SR_N2at6native12_GLOBAL__N_18offset_tEEE10hipError_tPvRmT1_PNSt15iterator_traitsISZ_E10value_typeET2_T3_PNS10_IS15_E10value_typeET4_jRbjT5_S1B_jjP12ihipStream_tbEUljE_ZNSN_ISO_Lb0ESQ_SR_SQ_SR_SV_EESW_SX_SY_SZ_S13_S14_S15_S18_S19_jS1A_jS1B_S1B_jjS1D_bEUljE0_EEESW_SX_SY_S15_S19_S1B_T6_T7_T9_mT8_S1D_bDpT10_ENKUlT_T0_E_clISt17integral_constantIbLb1EES1R_EEDaS1M_S1N_EUlS1M_E_NS1_11comp_targetILNS1_3genE8ELNS1_11target_archE1030ELNS1_3gpuE2ELNS1_3repE0EEENS1_30default_config_static_selectorELNS0_4arch9wavefront6targetE0EEEvSZ_.num_named_barrier, 0
	.set _ZN7rocprim17ROCPRIM_400000_NS6detail17trampoline_kernelINS0_13select_configILj256ELj13ELNS0_17block_load_methodE3ELS4_3ELS4_3ELNS0_20block_scan_algorithmE0ELj4294967295EEENS1_25partition_config_selectorILNS1_17partition_subalgoE4EjNS0_10empty_typeEbEEZZNS1_14partition_implILS8_4ELb0ES6_15HIP_vector_typeIjLj2EENS0_17counting_iteratorIjlEEPS9_SG_NS0_5tupleIJPjSI_NS0_16reverse_iteratorISI_EEEEENSH_IJSG_SG_SG_EEES9_SI_JZNS1_25segmented_radix_sort_implINS0_14default_configELb0EPKlPlSQ_SR_N2at6native12_GLOBAL__N_18offset_tEEE10hipError_tPvRmT1_PNSt15iterator_traitsISZ_E10value_typeET2_T3_PNS10_IS15_E10value_typeET4_jRbjT5_S1B_jjP12ihipStream_tbEUljE_ZNSN_ISO_Lb0ESQ_SR_SQ_SR_SV_EESW_SX_SY_SZ_S13_S14_S15_S18_S19_jS1A_jS1B_S1B_jjS1D_bEUljE0_EEESW_SX_SY_S15_S19_S1B_T6_T7_T9_mT8_S1D_bDpT10_ENKUlT_T0_E_clISt17integral_constantIbLb1EES1R_EEDaS1M_S1N_EUlS1M_E_NS1_11comp_targetILNS1_3genE8ELNS1_11target_archE1030ELNS1_3gpuE2ELNS1_3repE0EEENS1_30default_config_static_selectorELNS0_4arch9wavefront6targetE0EEEvSZ_.private_seg_size, 0
	.set _ZN7rocprim17ROCPRIM_400000_NS6detail17trampoline_kernelINS0_13select_configILj256ELj13ELNS0_17block_load_methodE3ELS4_3ELS4_3ELNS0_20block_scan_algorithmE0ELj4294967295EEENS1_25partition_config_selectorILNS1_17partition_subalgoE4EjNS0_10empty_typeEbEEZZNS1_14partition_implILS8_4ELb0ES6_15HIP_vector_typeIjLj2EENS0_17counting_iteratorIjlEEPS9_SG_NS0_5tupleIJPjSI_NS0_16reverse_iteratorISI_EEEEENSH_IJSG_SG_SG_EEES9_SI_JZNS1_25segmented_radix_sort_implINS0_14default_configELb0EPKlPlSQ_SR_N2at6native12_GLOBAL__N_18offset_tEEE10hipError_tPvRmT1_PNSt15iterator_traitsISZ_E10value_typeET2_T3_PNS10_IS15_E10value_typeET4_jRbjT5_S1B_jjP12ihipStream_tbEUljE_ZNSN_ISO_Lb0ESQ_SR_SQ_SR_SV_EESW_SX_SY_SZ_S13_S14_S15_S18_S19_jS1A_jS1B_S1B_jjS1D_bEUljE0_EEESW_SX_SY_S15_S19_S1B_T6_T7_T9_mT8_S1D_bDpT10_ENKUlT_T0_E_clISt17integral_constantIbLb1EES1R_EEDaS1M_S1N_EUlS1M_E_NS1_11comp_targetILNS1_3genE8ELNS1_11target_archE1030ELNS1_3gpuE2ELNS1_3repE0EEENS1_30default_config_static_selectorELNS0_4arch9wavefront6targetE0EEEvSZ_.uses_vcc, 0
	.set _ZN7rocprim17ROCPRIM_400000_NS6detail17trampoline_kernelINS0_13select_configILj256ELj13ELNS0_17block_load_methodE3ELS4_3ELS4_3ELNS0_20block_scan_algorithmE0ELj4294967295EEENS1_25partition_config_selectorILNS1_17partition_subalgoE4EjNS0_10empty_typeEbEEZZNS1_14partition_implILS8_4ELb0ES6_15HIP_vector_typeIjLj2EENS0_17counting_iteratorIjlEEPS9_SG_NS0_5tupleIJPjSI_NS0_16reverse_iteratorISI_EEEEENSH_IJSG_SG_SG_EEES9_SI_JZNS1_25segmented_radix_sort_implINS0_14default_configELb0EPKlPlSQ_SR_N2at6native12_GLOBAL__N_18offset_tEEE10hipError_tPvRmT1_PNSt15iterator_traitsISZ_E10value_typeET2_T3_PNS10_IS15_E10value_typeET4_jRbjT5_S1B_jjP12ihipStream_tbEUljE_ZNSN_ISO_Lb0ESQ_SR_SQ_SR_SV_EESW_SX_SY_SZ_S13_S14_S15_S18_S19_jS1A_jS1B_S1B_jjS1D_bEUljE0_EEESW_SX_SY_S15_S19_S1B_T6_T7_T9_mT8_S1D_bDpT10_ENKUlT_T0_E_clISt17integral_constantIbLb1EES1R_EEDaS1M_S1N_EUlS1M_E_NS1_11comp_targetILNS1_3genE8ELNS1_11target_archE1030ELNS1_3gpuE2ELNS1_3repE0EEENS1_30default_config_static_selectorELNS0_4arch9wavefront6targetE0EEEvSZ_.uses_flat_scratch, 0
	.set _ZN7rocprim17ROCPRIM_400000_NS6detail17trampoline_kernelINS0_13select_configILj256ELj13ELNS0_17block_load_methodE3ELS4_3ELS4_3ELNS0_20block_scan_algorithmE0ELj4294967295EEENS1_25partition_config_selectorILNS1_17partition_subalgoE4EjNS0_10empty_typeEbEEZZNS1_14partition_implILS8_4ELb0ES6_15HIP_vector_typeIjLj2EENS0_17counting_iteratorIjlEEPS9_SG_NS0_5tupleIJPjSI_NS0_16reverse_iteratorISI_EEEEENSH_IJSG_SG_SG_EEES9_SI_JZNS1_25segmented_radix_sort_implINS0_14default_configELb0EPKlPlSQ_SR_N2at6native12_GLOBAL__N_18offset_tEEE10hipError_tPvRmT1_PNSt15iterator_traitsISZ_E10value_typeET2_T3_PNS10_IS15_E10value_typeET4_jRbjT5_S1B_jjP12ihipStream_tbEUljE_ZNSN_ISO_Lb0ESQ_SR_SQ_SR_SV_EESW_SX_SY_SZ_S13_S14_S15_S18_S19_jS1A_jS1B_S1B_jjS1D_bEUljE0_EEESW_SX_SY_S15_S19_S1B_T6_T7_T9_mT8_S1D_bDpT10_ENKUlT_T0_E_clISt17integral_constantIbLb1EES1R_EEDaS1M_S1N_EUlS1M_E_NS1_11comp_targetILNS1_3genE8ELNS1_11target_archE1030ELNS1_3gpuE2ELNS1_3repE0EEENS1_30default_config_static_selectorELNS0_4arch9wavefront6targetE0EEEvSZ_.has_dyn_sized_stack, 0
	.set _ZN7rocprim17ROCPRIM_400000_NS6detail17trampoline_kernelINS0_13select_configILj256ELj13ELNS0_17block_load_methodE3ELS4_3ELS4_3ELNS0_20block_scan_algorithmE0ELj4294967295EEENS1_25partition_config_selectorILNS1_17partition_subalgoE4EjNS0_10empty_typeEbEEZZNS1_14partition_implILS8_4ELb0ES6_15HIP_vector_typeIjLj2EENS0_17counting_iteratorIjlEEPS9_SG_NS0_5tupleIJPjSI_NS0_16reverse_iteratorISI_EEEEENSH_IJSG_SG_SG_EEES9_SI_JZNS1_25segmented_radix_sort_implINS0_14default_configELb0EPKlPlSQ_SR_N2at6native12_GLOBAL__N_18offset_tEEE10hipError_tPvRmT1_PNSt15iterator_traitsISZ_E10value_typeET2_T3_PNS10_IS15_E10value_typeET4_jRbjT5_S1B_jjP12ihipStream_tbEUljE_ZNSN_ISO_Lb0ESQ_SR_SQ_SR_SV_EESW_SX_SY_SZ_S13_S14_S15_S18_S19_jS1A_jS1B_S1B_jjS1D_bEUljE0_EEESW_SX_SY_S15_S19_S1B_T6_T7_T9_mT8_S1D_bDpT10_ENKUlT_T0_E_clISt17integral_constantIbLb1EES1R_EEDaS1M_S1N_EUlS1M_E_NS1_11comp_targetILNS1_3genE8ELNS1_11target_archE1030ELNS1_3gpuE2ELNS1_3repE0EEENS1_30default_config_static_selectorELNS0_4arch9wavefront6targetE0EEEvSZ_.has_recursion, 0
	.set _ZN7rocprim17ROCPRIM_400000_NS6detail17trampoline_kernelINS0_13select_configILj256ELj13ELNS0_17block_load_methodE3ELS4_3ELS4_3ELNS0_20block_scan_algorithmE0ELj4294967295EEENS1_25partition_config_selectorILNS1_17partition_subalgoE4EjNS0_10empty_typeEbEEZZNS1_14partition_implILS8_4ELb0ES6_15HIP_vector_typeIjLj2EENS0_17counting_iteratorIjlEEPS9_SG_NS0_5tupleIJPjSI_NS0_16reverse_iteratorISI_EEEEENSH_IJSG_SG_SG_EEES9_SI_JZNS1_25segmented_radix_sort_implINS0_14default_configELb0EPKlPlSQ_SR_N2at6native12_GLOBAL__N_18offset_tEEE10hipError_tPvRmT1_PNSt15iterator_traitsISZ_E10value_typeET2_T3_PNS10_IS15_E10value_typeET4_jRbjT5_S1B_jjP12ihipStream_tbEUljE_ZNSN_ISO_Lb0ESQ_SR_SQ_SR_SV_EESW_SX_SY_SZ_S13_S14_S15_S18_S19_jS1A_jS1B_S1B_jjS1D_bEUljE0_EEESW_SX_SY_S15_S19_S1B_T6_T7_T9_mT8_S1D_bDpT10_ENKUlT_T0_E_clISt17integral_constantIbLb1EES1R_EEDaS1M_S1N_EUlS1M_E_NS1_11comp_targetILNS1_3genE8ELNS1_11target_archE1030ELNS1_3gpuE2ELNS1_3repE0EEENS1_30default_config_static_selectorELNS0_4arch9wavefront6targetE0EEEvSZ_.has_indirect_call, 0
	.section	.AMDGPU.csdata,"",@progbits
; Kernel info:
; codeLenInByte = 0
; TotalNumSgprs: 0
; NumVgprs: 0
; ScratchSize: 0
; MemoryBound: 0
; FloatMode: 240
; IeeeMode: 1
; LDSByteSize: 0 bytes/workgroup (compile time only)
; SGPRBlocks: 0
; VGPRBlocks: 0
; NumSGPRsForWavesPerEU: 1
; NumVGPRsForWavesPerEU: 1
; NamedBarCnt: 0
; Occupancy: 16
; WaveLimiterHint : 0
; COMPUTE_PGM_RSRC2:SCRATCH_EN: 0
; COMPUTE_PGM_RSRC2:USER_SGPR: 2
; COMPUTE_PGM_RSRC2:TRAP_HANDLER: 0
; COMPUTE_PGM_RSRC2:TGID_X_EN: 1
; COMPUTE_PGM_RSRC2:TGID_Y_EN: 0
; COMPUTE_PGM_RSRC2:TGID_Z_EN: 0
; COMPUTE_PGM_RSRC2:TIDIG_COMP_CNT: 0
	.section	.text._ZN7rocprim17ROCPRIM_400000_NS6detail17trampoline_kernelINS0_13select_configILj256ELj13ELNS0_17block_load_methodE3ELS4_3ELS4_3ELNS0_20block_scan_algorithmE0ELj4294967295EEENS1_25partition_config_selectorILNS1_17partition_subalgoE4EjNS0_10empty_typeEbEEZZNS1_14partition_implILS8_4ELb0ES6_15HIP_vector_typeIjLj2EENS0_17counting_iteratorIjlEEPS9_SG_NS0_5tupleIJPjSI_NS0_16reverse_iteratorISI_EEEEENSH_IJSG_SG_SG_EEES9_SI_JZNS1_25segmented_radix_sort_implINS0_14default_configELb0EPKlPlSQ_SR_N2at6native12_GLOBAL__N_18offset_tEEE10hipError_tPvRmT1_PNSt15iterator_traitsISZ_E10value_typeET2_T3_PNS10_IS15_E10value_typeET4_jRbjT5_S1B_jjP12ihipStream_tbEUljE_ZNSN_ISO_Lb0ESQ_SR_SQ_SR_SV_EESW_SX_SY_SZ_S13_S14_S15_S18_S19_jS1A_jS1B_S1B_jjS1D_bEUljE0_EEESW_SX_SY_S15_S19_S1B_T6_T7_T9_mT8_S1D_bDpT10_ENKUlT_T0_E_clISt17integral_constantIbLb1EES1Q_IbLb0EEEEDaS1M_S1N_EUlS1M_E_NS1_11comp_targetILNS1_3genE0ELNS1_11target_archE4294967295ELNS1_3gpuE0ELNS1_3repE0EEENS1_30default_config_static_selectorELNS0_4arch9wavefront6targetE0EEEvSZ_,"axG",@progbits,_ZN7rocprim17ROCPRIM_400000_NS6detail17trampoline_kernelINS0_13select_configILj256ELj13ELNS0_17block_load_methodE3ELS4_3ELS4_3ELNS0_20block_scan_algorithmE0ELj4294967295EEENS1_25partition_config_selectorILNS1_17partition_subalgoE4EjNS0_10empty_typeEbEEZZNS1_14partition_implILS8_4ELb0ES6_15HIP_vector_typeIjLj2EENS0_17counting_iteratorIjlEEPS9_SG_NS0_5tupleIJPjSI_NS0_16reverse_iteratorISI_EEEEENSH_IJSG_SG_SG_EEES9_SI_JZNS1_25segmented_radix_sort_implINS0_14default_configELb0EPKlPlSQ_SR_N2at6native12_GLOBAL__N_18offset_tEEE10hipError_tPvRmT1_PNSt15iterator_traitsISZ_E10value_typeET2_T3_PNS10_IS15_E10value_typeET4_jRbjT5_S1B_jjP12ihipStream_tbEUljE_ZNSN_ISO_Lb0ESQ_SR_SQ_SR_SV_EESW_SX_SY_SZ_S13_S14_S15_S18_S19_jS1A_jS1B_S1B_jjS1D_bEUljE0_EEESW_SX_SY_S15_S19_S1B_T6_T7_T9_mT8_S1D_bDpT10_ENKUlT_T0_E_clISt17integral_constantIbLb1EES1Q_IbLb0EEEEDaS1M_S1N_EUlS1M_E_NS1_11comp_targetILNS1_3genE0ELNS1_11target_archE4294967295ELNS1_3gpuE0ELNS1_3repE0EEENS1_30default_config_static_selectorELNS0_4arch9wavefront6targetE0EEEvSZ_,comdat
	.globl	_ZN7rocprim17ROCPRIM_400000_NS6detail17trampoline_kernelINS0_13select_configILj256ELj13ELNS0_17block_load_methodE3ELS4_3ELS4_3ELNS0_20block_scan_algorithmE0ELj4294967295EEENS1_25partition_config_selectorILNS1_17partition_subalgoE4EjNS0_10empty_typeEbEEZZNS1_14partition_implILS8_4ELb0ES6_15HIP_vector_typeIjLj2EENS0_17counting_iteratorIjlEEPS9_SG_NS0_5tupleIJPjSI_NS0_16reverse_iteratorISI_EEEEENSH_IJSG_SG_SG_EEES9_SI_JZNS1_25segmented_radix_sort_implINS0_14default_configELb0EPKlPlSQ_SR_N2at6native12_GLOBAL__N_18offset_tEEE10hipError_tPvRmT1_PNSt15iterator_traitsISZ_E10value_typeET2_T3_PNS10_IS15_E10value_typeET4_jRbjT5_S1B_jjP12ihipStream_tbEUljE_ZNSN_ISO_Lb0ESQ_SR_SQ_SR_SV_EESW_SX_SY_SZ_S13_S14_S15_S18_S19_jS1A_jS1B_S1B_jjS1D_bEUljE0_EEESW_SX_SY_S15_S19_S1B_T6_T7_T9_mT8_S1D_bDpT10_ENKUlT_T0_E_clISt17integral_constantIbLb1EES1Q_IbLb0EEEEDaS1M_S1N_EUlS1M_E_NS1_11comp_targetILNS1_3genE0ELNS1_11target_archE4294967295ELNS1_3gpuE0ELNS1_3repE0EEENS1_30default_config_static_selectorELNS0_4arch9wavefront6targetE0EEEvSZ_ ; -- Begin function _ZN7rocprim17ROCPRIM_400000_NS6detail17trampoline_kernelINS0_13select_configILj256ELj13ELNS0_17block_load_methodE3ELS4_3ELS4_3ELNS0_20block_scan_algorithmE0ELj4294967295EEENS1_25partition_config_selectorILNS1_17partition_subalgoE4EjNS0_10empty_typeEbEEZZNS1_14partition_implILS8_4ELb0ES6_15HIP_vector_typeIjLj2EENS0_17counting_iteratorIjlEEPS9_SG_NS0_5tupleIJPjSI_NS0_16reverse_iteratorISI_EEEEENSH_IJSG_SG_SG_EEES9_SI_JZNS1_25segmented_radix_sort_implINS0_14default_configELb0EPKlPlSQ_SR_N2at6native12_GLOBAL__N_18offset_tEEE10hipError_tPvRmT1_PNSt15iterator_traitsISZ_E10value_typeET2_T3_PNS10_IS15_E10value_typeET4_jRbjT5_S1B_jjP12ihipStream_tbEUljE_ZNSN_ISO_Lb0ESQ_SR_SQ_SR_SV_EESW_SX_SY_SZ_S13_S14_S15_S18_S19_jS1A_jS1B_S1B_jjS1D_bEUljE0_EEESW_SX_SY_S15_S19_S1B_T6_T7_T9_mT8_S1D_bDpT10_ENKUlT_T0_E_clISt17integral_constantIbLb1EES1Q_IbLb0EEEEDaS1M_S1N_EUlS1M_E_NS1_11comp_targetILNS1_3genE0ELNS1_11target_archE4294967295ELNS1_3gpuE0ELNS1_3repE0EEENS1_30default_config_static_selectorELNS0_4arch9wavefront6targetE0EEEvSZ_
	.p2align	8
	.type	_ZN7rocprim17ROCPRIM_400000_NS6detail17trampoline_kernelINS0_13select_configILj256ELj13ELNS0_17block_load_methodE3ELS4_3ELS4_3ELNS0_20block_scan_algorithmE0ELj4294967295EEENS1_25partition_config_selectorILNS1_17partition_subalgoE4EjNS0_10empty_typeEbEEZZNS1_14partition_implILS8_4ELb0ES6_15HIP_vector_typeIjLj2EENS0_17counting_iteratorIjlEEPS9_SG_NS0_5tupleIJPjSI_NS0_16reverse_iteratorISI_EEEEENSH_IJSG_SG_SG_EEES9_SI_JZNS1_25segmented_radix_sort_implINS0_14default_configELb0EPKlPlSQ_SR_N2at6native12_GLOBAL__N_18offset_tEEE10hipError_tPvRmT1_PNSt15iterator_traitsISZ_E10value_typeET2_T3_PNS10_IS15_E10value_typeET4_jRbjT5_S1B_jjP12ihipStream_tbEUljE_ZNSN_ISO_Lb0ESQ_SR_SQ_SR_SV_EESW_SX_SY_SZ_S13_S14_S15_S18_S19_jS1A_jS1B_S1B_jjS1D_bEUljE0_EEESW_SX_SY_S15_S19_S1B_T6_T7_T9_mT8_S1D_bDpT10_ENKUlT_T0_E_clISt17integral_constantIbLb1EES1Q_IbLb0EEEEDaS1M_S1N_EUlS1M_E_NS1_11comp_targetILNS1_3genE0ELNS1_11target_archE4294967295ELNS1_3gpuE0ELNS1_3repE0EEENS1_30default_config_static_selectorELNS0_4arch9wavefront6targetE0EEEvSZ_,@function
_ZN7rocprim17ROCPRIM_400000_NS6detail17trampoline_kernelINS0_13select_configILj256ELj13ELNS0_17block_load_methodE3ELS4_3ELS4_3ELNS0_20block_scan_algorithmE0ELj4294967295EEENS1_25partition_config_selectorILNS1_17partition_subalgoE4EjNS0_10empty_typeEbEEZZNS1_14partition_implILS8_4ELb0ES6_15HIP_vector_typeIjLj2EENS0_17counting_iteratorIjlEEPS9_SG_NS0_5tupleIJPjSI_NS0_16reverse_iteratorISI_EEEEENSH_IJSG_SG_SG_EEES9_SI_JZNS1_25segmented_radix_sort_implINS0_14default_configELb0EPKlPlSQ_SR_N2at6native12_GLOBAL__N_18offset_tEEE10hipError_tPvRmT1_PNSt15iterator_traitsISZ_E10value_typeET2_T3_PNS10_IS15_E10value_typeET4_jRbjT5_S1B_jjP12ihipStream_tbEUljE_ZNSN_ISO_Lb0ESQ_SR_SQ_SR_SV_EESW_SX_SY_SZ_S13_S14_S15_S18_S19_jS1A_jS1B_S1B_jjS1D_bEUljE0_EEESW_SX_SY_S15_S19_S1B_T6_T7_T9_mT8_S1D_bDpT10_ENKUlT_T0_E_clISt17integral_constantIbLb1EES1Q_IbLb0EEEEDaS1M_S1N_EUlS1M_E_NS1_11comp_targetILNS1_3genE0ELNS1_11target_archE4294967295ELNS1_3gpuE0ELNS1_3repE0EEENS1_30default_config_static_selectorELNS0_4arch9wavefront6targetE0EEEvSZ_: ; @_ZN7rocprim17ROCPRIM_400000_NS6detail17trampoline_kernelINS0_13select_configILj256ELj13ELNS0_17block_load_methodE3ELS4_3ELS4_3ELNS0_20block_scan_algorithmE0ELj4294967295EEENS1_25partition_config_selectorILNS1_17partition_subalgoE4EjNS0_10empty_typeEbEEZZNS1_14partition_implILS8_4ELb0ES6_15HIP_vector_typeIjLj2EENS0_17counting_iteratorIjlEEPS9_SG_NS0_5tupleIJPjSI_NS0_16reverse_iteratorISI_EEEEENSH_IJSG_SG_SG_EEES9_SI_JZNS1_25segmented_radix_sort_implINS0_14default_configELb0EPKlPlSQ_SR_N2at6native12_GLOBAL__N_18offset_tEEE10hipError_tPvRmT1_PNSt15iterator_traitsISZ_E10value_typeET2_T3_PNS10_IS15_E10value_typeET4_jRbjT5_S1B_jjP12ihipStream_tbEUljE_ZNSN_ISO_Lb0ESQ_SR_SQ_SR_SV_EESW_SX_SY_SZ_S13_S14_S15_S18_S19_jS1A_jS1B_S1B_jjS1D_bEUljE0_EEESW_SX_SY_S15_S19_S1B_T6_T7_T9_mT8_S1D_bDpT10_ENKUlT_T0_E_clISt17integral_constantIbLb1EES1Q_IbLb0EEEEDaS1M_S1N_EUlS1M_E_NS1_11comp_targetILNS1_3genE0ELNS1_11target_archE4294967295ELNS1_3gpuE0ELNS1_3repE0EEENS1_30default_config_static_selectorELNS0_4arch9wavefront6targetE0EEEvSZ_
; %bb.0:
	s_endpgm
	.section	.rodata,"a",@progbits
	.p2align	6, 0x0
	.amdhsa_kernel _ZN7rocprim17ROCPRIM_400000_NS6detail17trampoline_kernelINS0_13select_configILj256ELj13ELNS0_17block_load_methodE3ELS4_3ELS4_3ELNS0_20block_scan_algorithmE0ELj4294967295EEENS1_25partition_config_selectorILNS1_17partition_subalgoE4EjNS0_10empty_typeEbEEZZNS1_14partition_implILS8_4ELb0ES6_15HIP_vector_typeIjLj2EENS0_17counting_iteratorIjlEEPS9_SG_NS0_5tupleIJPjSI_NS0_16reverse_iteratorISI_EEEEENSH_IJSG_SG_SG_EEES9_SI_JZNS1_25segmented_radix_sort_implINS0_14default_configELb0EPKlPlSQ_SR_N2at6native12_GLOBAL__N_18offset_tEEE10hipError_tPvRmT1_PNSt15iterator_traitsISZ_E10value_typeET2_T3_PNS10_IS15_E10value_typeET4_jRbjT5_S1B_jjP12ihipStream_tbEUljE_ZNSN_ISO_Lb0ESQ_SR_SQ_SR_SV_EESW_SX_SY_SZ_S13_S14_S15_S18_S19_jS1A_jS1B_S1B_jjS1D_bEUljE0_EEESW_SX_SY_S15_S19_S1B_T6_T7_T9_mT8_S1D_bDpT10_ENKUlT_T0_E_clISt17integral_constantIbLb1EES1Q_IbLb0EEEEDaS1M_S1N_EUlS1M_E_NS1_11comp_targetILNS1_3genE0ELNS1_11target_archE4294967295ELNS1_3gpuE0ELNS1_3repE0EEENS1_30default_config_static_selectorELNS0_4arch9wavefront6targetE0EEEvSZ_
		.amdhsa_group_segment_fixed_size 0
		.amdhsa_private_segment_fixed_size 0
		.amdhsa_kernarg_size 176
		.amdhsa_user_sgpr_count 2
		.amdhsa_user_sgpr_dispatch_ptr 0
		.amdhsa_user_sgpr_queue_ptr 0
		.amdhsa_user_sgpr_kernarg_segment_ptr 1
		.amdhsa_user_sgpr_dispatch_id 0
		.amdhsa_user_sgpr_kernarg_preload_length 0
		.amdhsa_user_sgpr_kernarg_preload_offset 0
		.amdhsa_user_sgpr_private_segment_size 0
		.amdhsa_wavefront_size32 1
		.amdhsa_uses_dynamic_stack 0
		.amdhsa_enable_private_segment 0
		.amdhsa_system_sgpr_workgroup_id_x 1
		.amdhsa_system_sgpr_workgroup_id_y 0
		.amdhsa_system_sgpr_workgroup_id_z 0
		.amdhsa_system_sgpr_workgroup_info 0
		.amdhsa_system_vgpr_workitem_id 0
		.amdhsa_next_free_vgpr 1
		.amdhsa_next_free_sgpr 1
		.amdhsa_named_barrier_count 0
		.amdhsa_reserve_vcc 0
		.amdhsa_float_round_mode_32 0
		.amdhsa_float_round_mode_16_64 0
		.amdhsa_float_denorm_mode_32 3
		.amdhsa_float_denorm_mode_16_64 3
		.amdhsa_fp16_overflow 0
		.amdhsa_memory_ordered 1
		.amdhsa_forward_progress 1
		.amdhsa_inst_pref_size 1
		.amdhsa_round_robin_scheduling 0
		.amdhsa_exception_fp_ieee_invalid_op 0
		.amdhsa_exception_fp_denorm_src 0
		.amdhsa_exception_fp_ieee_div_zero 0
		.amdhsa_exception_fp_ieee_overflow 0
		.amdhsa_exception_fp_ieee_underflow 0
		.amdhsa_exception_fp_ieee_inexact 0
		.amdhsa_exception_int_div_zero 0
	.end_amdhsa_kernel
	.section	.text._ZN7rocprim17ROCPRIM_400000_NS6detail17trampoline_kernelINS0_13select_configILj256ELj13ELNS0_17block_load_methodE3ELS4_3ELS4_3ELNS0_20block_scan_algorithmE0ELj4294967295EEENS1_25partition_config_selectorILNS1_17partition_subalgoE4EjNS0_10empty_typeEbEEZZNS1_14partition_implILS8_4ELb0ES6_15HIP_vector_typeIjLj2EENS0_17counting_iteratorIjlEEPS9_SG_NS0_5tupleIJPjSI_NS0_16reverse_iteratorISI_EEEEENSH_IJSG_SG_SG_EEES9_SI_JZNS1_25segmented_radix_sort_implINS0_14default_configELb0EPKlPlSQ_SR_N2at6native12_GLOBAL__N_18offset_tEEE10hipError_tPvRmT1_PNSt15iterator_traitsISZ_E10value_typeET2_T3_PNS10_IS15_E10value_typeET4_jRbjT5_S1B_jjP12ihipStream_tbEUljE_ZNSN_ISO_Lb0ESQ_SR_SQ_SR_SV_EESW_SX_SY_SZ_S13_S14_S15_S18_S19_jS1A_jS1B_S1B_jjS1D_bEUljE0_EEESW_SX_SY_S15_S19_S1B_T6_T7_T9_mT8_S1D_bDpT10_ENKUlT_T0_E_clISt17integral_constantIbLb1EES1Q_IbLb0EEEEDaS1M_S1N_EUlS1M_E_NS1_11comp_targetILNS1_3genE0ELNS1_11target_archE4294967295ELNS1_3gpuE0ELNS1_3repE0EEENS1_30default_config_static_selectorELNS0_4arch9wavefront6targetE0EEEvSZ_,"axG",@progbits,_ZN7rocprim17ROCPRIM_400000_NS6detail17trampoline_kernelINS0_13select_configILj256ELj13ELNS0_17block_load_methodE3ELS4_3ELS4_3ELNS0_20block_scan_algorithmE0ELj4294967295EEENS1_25partition_config_selectorILNS1_17partition_subalgoE4EjNS0_10empty_typeEbEEZZNS1_14partition_implILS8_4ELb0ES6_15HIP_vector_typeIjLj2EENS0_17counting_iteratorIjlEEPS9_SG_NS0_5tupleIJPjSI_NS0_16reverse_iteratorISI_EEEEENSH_IJSG_SG_SG_EEES9_SI_JZNS1_25segmented_radix_sort_implINS0_14default_configELb0EPKlPlSQ_SR_N2at6native12_GLOBAL__N_18offset_tEEE10hipError_tPvRmT1_PNSt15iterator_traitsISZ_E10value_typeET2_T3_PNS10_IS15_E10value_typeET4_jRbjT5_S1B_jjP12ihipStream_tbEUljE_ZNSN_ISO_Lb0ESQ_SR_SQ_SR_SV_EESW_SX_SY_SZ_S13_S14_S15_S18_S19_jS1A_jS1B_S1B_jjS1D_bEUljE0_EEESW_SX_SY_S15_S19_S1B_T6_T7_T9_mT8_S1D_bDpT10_ENKUlT_T0_E_clISt17integral_constantIbLb1EES1Q_IbLb0EEEEDaS1M_S1N_EUlS1M_E_NS1_11comp_targetILNS1_3genE0ELNS1_11target_archE4294967295ELNS1_3gpuE0ELNS1_3repE0EEENS1_30default_config_static_selectorELNS0_4arch9wavefront6targetE0EEEvSZ_,comdat
.Lfunc_end755:
	.size	_ZN7rocprim17ROCPRIM_400000_NS6detail17trampoline_kernelINS0_13select_configILj256ELj13ELNS0_17block_load_methodE3ELS4_3ELS4_3ELNS0_20block_scan_algorithmE0ELj4294967295EEENS1_25partition_config_selectorILNS1_17partition_subalgoE4EjNS0_10empty_typeEbEEZZNS1_14partition_implILS8_4ELb0ES6_15HIP_vector_typeIjLj2EENS0_17counting_iteratorIjlEEPS9_SG_NS0_5tupleIJPjSI_NS0_16reverse_iteratorISI_EEEEENSH_IJSG_SG_SG_EEES9_SI_JZNS1_25segmented_radix_sort_implINS0_14default_configELb0EPKlPlSQ_SR_N2at6native12_GLOBAL__N_18offset_tEEE10hipError_tPvRmT1_PNSt15iterator_traitsISZ_E10value_typeET2_T3_PNS10_IS15_E10value_typeET4_jRbjT5_S1B_jjP12ihipStream_tbEUljE_ZNSN_ISO_Lb0ESQ_SR_SQ_SR_SV_EESW_SX_SY_SZ_S13_S14_S15_S18_S19_jS1A_jS1B_S1B_jjS1D_bEUljE0_EEESW_SX_SY_S15_S19_S1B_T6_T7_T9_mT8_S1D_bDpT10_ENKUlT_T0_E_clISt17integral_constantIbLb1EES1Q_IbLb0EEEEDaS1M_S1N_EUlS1M_E_NS1_11comp_targetILNS1_3genE0ELNS1_11target_archE4294967295ELNS1_3gpuE0ELNS1_3repE0EEENS1_30default_config_static_selectorELNS0_4arch9wavefront6targetE0EEEvSZ_, .Lfunc_end755-_ZN7rocprim17ROCPRIM_400000_NS6detail17trampoline_kernelINS0_13select_configILj256ELj13ELNS0_17block_load_methodE3ELS4_3ELS4_3ELNS0_20block_scan_algorithmE0ELj4294967295EEENS1_25partition_config_selectorILNS1_17partition_subalgoE4EjNS0_10empty_typeEbEEZZNS1_14partition_implILS8_4ELb0ES6_15HIP_vector_typeIjLj2EENS0_17counting_iteratorIjlEEPS9_SG_NS0_5tupleIJPjSI_NS0_16reverse_iteratorISI_EEEEENSH_IJSG_SG_SG_EEES9_SI_JZNS1_25segmented_radix_sort_implINS0_14default_configELb0EPKlPlSQ_SR_N2at6native12_GLOBAL__N_18offset_tEEE10hipError_tPvRmT1_PNSt15iterator_traitsISZ_E10value_typeET2_T3_PNS10_IS15_E10value_typeET4_jRbjT5_S1B_jjP12ihipStream_tbEUljE_ZNSN_ISO_Lb0ESQ_SR_SQ_SR_SV_EESW_SX_SY_SZ_S13_S14_S15_S18_S19_jS1A_jS1B_S1B_jjS1D_bEUljE0_EEESW_SX_SY_S15_S19_S1B_T6_T7_T9_mT8_S1D_bDpT10_ENKUlT_T0_E_clISt17integral_constantIbLb1EES1Q_IbLb0EEEEDaS1M_S1N_EUlS1M_E_NS1_11comp_targetILNS1_3genE0ELNS1_11target_archE4294967295ELNS1_3gpuE0ELNS1_3repE0EEENS1_30default_config_static_selectorELNS0_4arch9wavefront6targetE0EEEvSZ_
                                        ; -- End function
	.set _ZN7rocprim17ROCPRIM_400000_NS6detail17trampoline_kernelINS0_13select_configILj256ELj13ELNS0_17block_load_methodE3ELS4_3ELS4_3ELNS0_20block_scan_algorithmE0ELj4294967295EEENS1_25partition_config_selectorILNS1_17partition_subalgoE4EjNS0_10empty_typeEbEEZZNS1_14partition_implILS8_4ELb0ES6_15HIP_vector_typeIjLj2EENS0_17counting_iteratorIjlEEPS9_SG_NS0_5tupleIJPjSI_NS0_16reverse_iteratorISI_EEEEENSH_IJSG_SG_SG_EEES9_SI_JZNS1_25segmented_radix_sort_implINS0_14default_configELb0EPKlPlSQ_SR_N2at6native12_GLOBAL__N_18offset_tEEE10hipError_tPvRmT1_PNSt15iterator_traitsISZ_E10value_typeET2_T3_PNS10_IS15_E10value_typeET4_jRbjT5_S1B_jjP12ihipStream_tbEUljE_ZNSN_ISO_Lb0ESQ_SR_SQ_SR_SV_EESW_SX_SY_SZ_S13_S14_S15_S18_S19_jS1A_jS1B_S1B_jjS1D_bEUljE0_EEESW_SX_SY_S15_S19_S1B_T6_T7_T9_mT8_S1D_bDpT10_ENKUlT_T0_E_clISt17integral_constantIbLb1EES1Q_IbLb0EEEEDaS1M_S1N_EUlS1M_E_NS1_11comp_targetILNS1_3genE0ELNS1_11target_archE4294967295ELNS1_3gpuE0ELNS1_3repE0EEENS1_30default_config_static_selectorELNS0_4arch9wavefront6targetE0EEEvSZ_.num_vgpr, 0
	.set _ZN7rocprim17ROCPRIM_400000_NS6detail17trampoline_kernelINS0_13select_configILj256ELj13ELNS0_17block_load_methodE3ELS4_3ELS4_3ELNS0_20block_scan_algorithmE0ELj4294967295EEENS1_25partition_config_selectorILNS1_17partition_subalgoE4EjNS0_10empty_typeEbEEZZNS1_14partition_implILS8_4ELb0ES6_15HIP_vector_typeIjLj2EENS0_17counting_iteratorIjlEEPS9_SG_NS0_5tupleIJPjSI_NS0_16reverse_iteratorISI_EEEEENSH_IJSG_SG_SG_EEES9_SI_JZNS1_25segmented_radix_sort_implINS0_14default_configELb0EPKlPlSQ_SR_N2at6native12_GLOBAL__N_18offset_tEEE10hipError_tPvRmT1_PNSt15iterator_traitsISZ_E10value_typeET2_T3_PNS10_IS15_E10value_typeET4_jRbjT5_S1B_jjP12ihipStream_tbEUljE_ZNSN_ISO_Lb0ESQ_SR_SQ_SR_SV_EESW_SX_SY_SZ_S13_S14_S15_S18_S19_jS1A_jS1B_S1B_jjS1D_bEUljE0_EEESW_SX_SY_S15_S19_S1B_T6_T7_T9_mT8_S1D_bDpT10_ENKUlT_T0_E_clISt17integral_constantIbLb1EES1Q_IbLb0EEEEDaS1M_S1N_EUlS1M_E_NS1_11comp_targetILNS1_3genE0ELNS1_11target_archE4294967295ELNS1_3gpuE0ELNS1_3repE0EEENS1_30default_config_static_selectorELNS0_4arch9wavefront6targetE0EEEvSZ_.num_agpr, 0
	.set _ZN7rocprim17ROCPRIM_400000_NS6detail17trampoline_kernelINS0_13select_configILj256ELj13ELNS0_17block_load_methodE3ELS4_3ELS4_3ELNS0_20block_scan_algorithmE0ELj4294967295EEENS1_25partition_config_selectorILNS1_17partition_subalgoE4EjNS0_10empty_typeEbEEZZNS1_14partition_implILS8_4ELb0ES6_15HIP_vector_typeIjLj2EENS0_17counting_iteratorIjlEEPS9_SG_NS0_5tupleIJPjSI_NS0_16reverse_iteratorISI_EEEEENSH_IJSG_SG_SG_EEES9_SI_JZNS1_25segmented_radix_sort_implINS0_14default_configELb0EPKlPlSQ_SR_N2at6native12_GLOBAL__N_18offset_tEEE10hipError_tPvRmT1_PNSt15iterator_traitsISZ_E10value_typeET2_T3_PNS10_IS15_E10value_typeET4_jRbjT5_S1B_jjP12ihipStream_tbEUljE_ZNSN_ISO_Lb0ESQ_SR_SQ_SR_SV_EESW_SX_SY_SZ_S13_S14_S15_S18_S19_jS1A_jS1B_S1B_jjS1D_bEUljE0_EEESW_SX_SY_S15_S19_S1B_T6_T7_T9_mT8_S1D_bDpT10_ENKUlT_T0_E_clISt17integral_constantIbLb1EES1Q_IbLb0EEEEDaS1M_S1N_EUlS1M_E_NS1_11comp_targetILNS1_3genE0ELNS1_11target_archE4294967295ELNS1_3gpuE0ELNS1_3repE0EEENS1_30default_config_static_selectorELNS0_4arch9wavefront6targetE0EEEvSZ_.numbered_sgpr, 0
	.set _ZN7rocprim17ROCPRIM_400000_NS6detail17trampoline_kernelINS0_13select_configILj256ELj13ELNS0_17block_load_methodE3ELS4_3ELS4_3ELNS0_20block_scan_algorithmE0ELj4294967295EEENS1_25partition_config_selectorILNS1_17partition_subalgoE4EjNS0_10empty_typeEbEEZZNS1_14partition_implILS8_4ELb0ES6_15HIP_vector_typeIjLj2EENS0_17counting_iteratorIjlEEPS9_SG_NS0_5tupleIJPjSI_NS0_16reverse_iteratorISI_EEEEENSH_IJSG_SG_SG_EEES9_SI_JZNS1_25segmented_radix_sort_implINS0_14default_configELb0EPKlPlSQ_SR_N2at6native12_GLOBAL__N_18offset_tEEE10hipError_tPvRmT1_PNSt15iterator_traitsISZ_E10value_typeET2_T3_PNS10_IS15_E10value_typeET4_jRbjT5_S1B_jjP12ihipStream_tbEUljE_ZNSN_ISO_Lb0ESQ_SR_SQ_SR_SV_EESW_SX_SY_SZ_S13_S14_S15_S18_S19_jS1A_jS1B_S1B_jjS1D_bEUljE0_EEESW_SX_SY_S15_S19_S1B_T6_T7_T9_mT8_S1D_bDpT10_ENKUlT_T0_E_clISt17integral_constantIbLb1EES1Q_IbLb0EEEEDaS1M_S1N_EUlS1M_E_NS1_11comp_targetILNS1_3genE0ELNS1_11target_archE4294967295ELNS1_3gpuE0ELNS1_3repE0EEENS1_30default_config_static_selectorELNS0_4arch9wavefront6targetE0EEEvSZ_.num_named_barrier, 0
	.set _ZN7rocprim17ROCPRIM_400000_NS6detail17trampoline_kernelINS0_13select_configILj256ELj13ELNS0_17block_load_methodE3ELS4_3ELS4_3ELNS0_20block_scan_algorithmE0ELj4294967295EEENS1_25partition_config_selectorILNS1_17partition_subalgoE4EjNS0_10empty_typeEbEEZZNS1_14partition_implILS8_4ELb0ES6_15HIP_vector_typeIjLj2EENS0_17counting_iteratorIjlEEPS9_SG_NS0_5tupleIJPjSI_NS0_16reverse_iteratorISI_EEEEENSH_IJSG_SG_SG_EEES9_SI_JZNS1_25segmented_radix_sort_implINS0_14default_configELb0EPKlPlSQ_SR_N2at6native12_GLOBAL__N_18offset_tEEE10hipError_tPvRmT1_PNSt15iterator_traitsISZ_E10value_typeET2_T3_PNS10_IS15_E10value_typeET4_jRbjT5_S1B_jjP12ihipStream_tbEUljE_ZNSN_ISO_Lb0ESQ_SR_SQ_SR_SV_EESW_SX_SY_SZ_S13_S14_S15_S18_S19_jS1A_jS1B_S1B_jjS1D_bEUljE0_EEESW_SX_SY_S15_S19_S1B_T6_T7_T9_mT8_S1D_bDpT10_ENKUlT_T0_E_clISt17integral_constantIbLb1EES1Q_IbLb0EEEEDaS1M_S1N_EUlS1M_E_NS1_11comp_targetILNS1_3genE0ELNS1_11target_archE4294967295ELNS1_3gpuE0ELNS1_3repE0EEENS1_30default_config_static_selectorELNS0_4arch9wavefront6targetE0EEEvSZ_.private_seg_size, 0
	.set _ZN7rocprim17ROCPRIM_400000_NS6detail17trampoline_kernelINS0_13select_configILj256ELj13ELNS0_17block_load_methodE3ELS4_3ELS4_3ELNS0_20block_scan_algorithmE0ELj4294967295EEENS1_25partition_config_selectorILNS1_17partition_subalgoE4EjNS0_10empty_typeEbEEZZNS1_14partition_implILS8_4ELb0ES6_15HIP_vector_typeIjLj2EENS0_17counting_iteratorIjlEEPS9_SG_NS0_5tupleIJPjSI_NS0_16reverse_iteratorISI_EEEEENSH_IJSG_SG_SG_EEES9_SI_JZNS1_25segmented_radix_sort_implINS0_14default_configELb0EPKlPlSQ_SR_N2at6native12_GLOBAL__N_18offset_tEEE10hipError_tPvRmT1_PNSt15iterator_traitsISZ_E10value_typeET2_T3_PNS10_IS15_E10value_typeET4_jRbjT5_S1B_jjP12ihipStream_tbEUljE_ZNSN_ISO_Lb0ESQ_SR_SQ_SR_SV_EESW_SX_SY_SZ_S13_S14_S15_S18_S19_jS1A_jS1B_S1B_jjS1D_bEUljE0_EEESW_SX_SY_S15_S19_S1B_T6_T7_T9_mT8_S1D_bDpT10_ENKUlT_T0_E_clISt17integral_constantIbLb1EES1Q_IbLb0EEEEDaS1M_S1N_EUlS1M_E_NS1_11comp_targetILNS1_3genE0ELNS1_11target_archE4294967295ELNS1_3gpuE0ELNS1_3repE0EEENS1_30default_config_static_selectorELNS0_4arch9wavefront6targetE0EEEvSZ_.uses_vcc, 0
	.set _ZN7rocprim17ROCPRIM_400000_NS6detail17trampoline_kernelINS0_13select_configILj256ELj13ELNS0_17block_load_methodE3ELS4_3ELS4_3ELNS0_20block_scan_algorithmE0ELj4294967295EEENS1_25partition_config_selectorILNS1_17partition_subalgoE4EjNS0_10empty_typeEbEEZZNS1_14partition_implILS8_4ELb0ES6_15HIP_vector_typeIjLj2EENS0_17counting_iteratorIjlEEPS9_SG_NS0_5tupleIJPjSI_NS0_16reverse_iteratorISI_EEEEENSH_IJSG_SG_SG_EEES9_SI_JZNS1_25segmented_radix_sort_implINS0_14default_configELb0EPKlPlSQ_SR_N2at6native12_GLOBAL__N_18offset_tEEE10hipError_tPvRmT1_PNSt15iterator_traitsISZ_E10value_typeET2_T3_PNS10_IS15_E10value_typeET4_jRbjT5_S1B_jjP12ihipStream_tbEUljE_ZNSN_ISO_Lb0ESQ_SR_SQ_SR_SV_EESW_SX_SY_SZ_S13_S14_S15_S18_S19_jS1A_jS1B_S1B_jjS1D_bEUljE0_EEESW_SX_SY_S15_S19_S1B_T6_T7_T9_mT8_S1D_bDpT10_ENKUlT_T0_E_clISt17integral_constantIbLb1EES1Q_IbLb0EEEEDaS1M_S1N_EUlS1M_E_NS1_11comp_targetILNS1_3genE0ELNS1_11target_archE4294967295ELNS1_3gpuE0ELNS1_3repE0EEENS1_30default_config_static_selectorELNS0_4arch9wavefront6targetE0EEEvSZ_.uses_flat_scratch, 0
	.set _ZN7rocprim17ROCPRIM_400000_NS6detail17trampoline_kernelINS0_13select_configILj256ELj13ELNS0_17block_load_methodE3ELS4_3ELS4_3ELNS0_20block_scan_algorithmE0ELj4294967295EEENS1_25partition_config_selectorILNS1_17partition_subalgoE4EjNS0_10empty_typeEbEEZZNS1_14partition_implILS8_4ELb0ES6_15HIP_vector_typeIjLj2EENS0_17counting_iteratorIjlEEPS9_SG_NS0_5tupleIJPjSI_NS0_16reverse_iteratorISI_EEEEENSH_IJSG_SG_SG_EEES9_SI_JZNS1_25segmented_radix_sort_implINS0_14default_configELb0EPKlPlSQ_SR_N2at6native12_GLOBAL__N_18offset_tEEE10hipError_tPvRmT1_PNSt15iterator_traitsISZ_E10value_typeET2_T3_PNS10_IS15_E10value_typeET4_jRbjT5_S1B_jjP12ihipStream_tbEUljE_ZNSN_ISO_Lb0ESQ_SR_SQ_SR_SV_EESW_SX_SY_SZ_S13_S14_S15_S18_S19_jS1A_jS1B_S1B_jjS1D_bEUljE0_EEESW_SX_SY_S15_S19_S1B_T6_T7_T9_mT8_S1D_bDpT10_ENKUlT_T0_E_clISt17integral_constantIbLb1EES1Q_IbLb0EEEEDaS1M_S1N_EUlS1M_E_NS1_11comp_targetILNS1_3genE0ELNS1_11target_archE4294967295ELNS1_3gpuE0ELNS1_3repE0EEENS1_30default_config_static_selectorELNS0_4arch9wavefront6targetE0EEEvSZ_.has_dyn_sized_stack, 0
	.set _ZN7rocprim17ROCPRIM_400000_NS6detail17trampoline_kernelINS0_13select_configILj256ELj13ELNS0_17block_load_methodE3ELS4_3ELS4_3ELNS0_20block_scan_algorithmE0ELj4294967295EEENS1_25partition_config_selectorILNS1_17partition_subalgoE4EjNS0_10empty_typeEbEEZZNS1_14partition_implILS8_4ELb0ES6_15HIP_vector_typeIjLj2EENS0_17counting_iteratorIjlEEPS9_SG_NS0_5tupleIJPjSI_NS0_16reverse_iteratorISI_EEEEENSH_IJSG_SG_SG_EEES9_SI_JZNS1_25segmented_radix_sort_implINS0_14default_configELb0EPKlPlSQ_SR_N2at6native12_GLOBAL__N_18offset_tEEE10hipError_tPvRmT1_PNSt15iterator_traitsISZ_E10value_typeET2_T3_PNS10_IS15_E10value_typeET4_jRbjT5_S1B_jjP12ihipStream_tbEUljE_ZNSN_ISO_Lb0ESQ_SR_SQ_SR_SV_EESW_SX_SY_SZ_S13_S14_S15_S18_S19_jS1A_jS1B_S1B_jjS1D_bEUljE0_EEESW_SX_SY_S15_S19_S1B_T6_T7_T9_mT8_S1D_bDpT10_ENKUlT_T0_E_clISt17integral_constantIbLb1EES1Q_IbLb0EEEEDaS1M_S1N_EUlS1M_E_NS1_11comp_targetILNS1_3genE0ELNS1_11target_archE4294967295ELNS1_3gpuE0ELNS1_3repE0EEENS1_30default_config_static_selectorELNS0_4arch9wavefront6targetE0EEEvSZ_.has_recursion, 0
	.set _ZN7rocprim17ROCPRIM_400000_NS6detail17trampoline_kernelINS0_13select_configILj256ELj13ELNS0_17block_load_methodE3ELS4_3ELS4_3ELNS0_20block_scan_algorithmE0ELj4294967295EEENS1_25partition_config_selectorILNS1_17partition_subalgoE4EjNS0_10empty_typeEbEEZZNS1_14partition_implILS8_4ELb0ES6_15HIP_vector_typeIjLj2EENS0_17counting_iteratorIjlEEPS9_SG_NS0_5tupleIJPjSI_NS0_16reverse_iteratorISI_EEEEENSH_IJSG_SG_SG_EEES9_SI_JZNS1_25segmented_radix_sort_implINS0_14default_configELb0EPKlPlSQ_SR_N2at6native12_GLOBAL__N_18offset_tEEE10hipError_tPvRmT1_PNSt15iterator_traitsISZ_E10value_typeET2_T3_PNS10_IS15_E10value_typeET4_jRbjT5_S1B_jjP12ihipStream_tbEUljE_ZNSN_ISO_Lb0ESQ_SR_SQ_SR_SV_EESW_SX_SY_SZ_S13_S14_S15_S18_S19_jS1A_jS1B_S1B_jjS1D_bEUljE0_EEESW_SX_SY_S15_S19_S1B_T6_T7_T9_mT8_S1D_bDpT10_ENKUlT_T0_E_clISt17integral_constantIbLb1EES1Q_IbLb0EEEEDaS1M_S1N_EUlS1M_E_NS1_11comp_targetILNS1_3genE0ELNS1_11target_archE4294967295ELNS1_3gpuE0ELNS1_3repE0EEENS1_30default_config_static_selectorELNS0_4arch9wavefront6targetE0EEEvSZ_.has_indirect_call, 0
	.section	.AMDGPU.csdata,"",@progbits
; Kernel info:
; codeLenInByte = 4
; TotalNumSgprs: 0
; NumVgprs: 0
; ScratchSize: 0
; MemoryBound: 0
; FloatMode: 240
; IeeeMode: 1
; LDSByteSize: 0 bytes/workgroup (compile time only)
; SGPRBlocks: 0
; VGPRBlocks: 0
; NumSGPRsForWavesPerEU: 1
; NumVGPRsForWavesPerEU: 1
; NamedBarCnt: 0
; Occupancy: 16
; WaveLimiterHint : 0
; COMPUTE_PGM_RSRC2:SCRATCH_EN: 0
; COMPUTE_PGM_RSRC2:USER_SGPR: 2
; COMPUTE_PGM_RSRC2:TRAP_HANDLER: 0
; COMPUTE_PGM_RSRC2:TGID_X_EN: 1
; COMPUTE_PGM_RSRC2:TGID_Y_EN: 0
; COMPUTE_PGM_RSRC2:TGID_Z_EN: 0
; COMPUTE_PGM_RSRC2:TIDIG_COMP_CNT: 0
	.section	.text._ZN7rocprim17ROCPRIM_400000_NS6detail17trampoline_kernelINS0_13select_configILj256ELj13ELNS0_17block_load_methodE3ELS4_3ELS4_3ELNS0_20block_scan_algorithmE0ELj4294967295EEENS1_25partition_config_selectorILNS1_17partition_subalgoE4EjNS0_10empty_typeEbEEZZNS1_14partition_implILS8_4ELb0ES6_15HIP_vector_typeIjLj2EENS0_17counting_iteratorIjlEEPS9_SG_NS0_5tupleIJPjSI_NS0_16reverse_iteratorISI_EEEEENSH_IJSG_SG_SG_EEES9_SI_JZNS1_25segmented_radix_sort_implINS0_14default_configELb0EPKlPlSQ_SR_N2at6native12_GLOBAL__N_18offset_tEEE10hipError_tPvRmT1_PNSt15iterator_traitsISZ_E10value_typeET2_T3_PNS10_IS15_E10value_typeET4_jRbjT5_S1B_jjP12ihipStream_tbEUljE_ZNSN_ISO_Lb0ESQ_SR_SQ_SR_SV_EESW_SX_SY_SZ_S13_S14_S15_S18_S19_jS1A_jS1B_S1B_jjS1D_bEUljE0_EEESW_SX_SY_S15_S19_S1B_T6_T7_T9_mT8_S1D_bDpT10_ENKUlT_T0_E_clISt17integral_constantIbLb1EES1Q_IbLb0EEEEDaS1M_S1N_EUlS1M_E_NS1_11comp_targetILNS1_3genE5ELNS1_11target_archE942ELNS1_3gpuE9ELNS1_3repE0EEENS1_30default_config_static_selectorELNS0_4arch9wavefront6targetE0EEEvSZ_,"axG",@progbits,_ZN7rocprim17ROCPRIM_400000_NS6detail17trampoline_kernelINS0_13select_configILj256ELj13ELNS0_17block_load_methodE3ELS4_3ELS4_3ELNS0_20block_scan_algorithmE0ELj4294967295EEENS1_25partition_config_selectorILNS1_17partition_subalgoE4EjNS0_10empty_typeEbEEZZNS1_14partition_implILS8_4ELb0ES6_15HIP_vector_typeIjLj2EENS0_17counting_iteratorIjlEEPS9_SG_NS0_5tupleIJPjSI_NS0_16reverse_iteratorISI_EEEEENSH_IJSG_SG_SG_EEES9_SI_JZNS1_25segmented_radix_sort_implINS0_14default_configELb0EPKlPlSQ_SR_N2at6native12_GLOBAL__N_18offset_tEEE10hipError_tPvRmT1_PNSt15iterator_traitsISZ_E10value_typeET2_T3_PNS10_IS15_E10value_typeET4_jRbjT5_S1B_jjP12ihipStream_tbEUljE_ZNSN_ISO_Lb0ESQ_SR_SQ_SR_SV_EESW_SX_SY_SZ_S13_S14_S15_S18_S19_jS1A_jS1B_S1B_jjS1D_bEUljE0_EEESW_SX_SY_S15_S19_S1B_T6_T7_T9_mT8_S1D_bDpT10_ENKUlT_T0_E_clISt17integral_constantIbLb1EES1Q_IbLb0EEEEDaS1M_S1N_EUlS1M_E_NS1_11comp_targetILNS1_3genE5ELNS1_11target_archE942ELNS1_3gpuE9ELNS1_3repE0EEENS1_30default_config_static_selectorELNS0_4arch9wavefront6targetE0EEEvSZ_,comdat
	.globl	_ZN7rocprim17ROCPRIM_400000_NS6detail17trampoline_kernelINS0_13select_configILj256ELj13ELNS0_17block_load_methodE3ELS4_3ELS4_3ELNS0_20block_scan_algorithmE0ELj4294967295EEENS1_25partition_config_selectorILNS1_17partition_subalgoE4EjNS0_10empty_typeEbEEZZNS1_14partition_implILS8_4ELb0ES6_15HIP_vector_typeIjLj2EENS0_17counting_iteratorIjlEEPS9_SG_NS0_5tupleIJPjSI_NS0_16reverse_iteratorISI_EEEEENSH_IJSG_SG_SG_EEES9_SI_JZNS1_25segmented_radix_sort_implINS0_14default_configELb0EPKlPlSQ_SR_N2at6native12_GLOBAL__N_18offset_tEEE10hipError_tPvRmT1_PNSt15iterator_traitsISZ_E10value_typeET2_T3_PNS10_IS15_E10value_typeET4_jRbjT5_S1B_jjP12ihipStream_tbEUljE_ZNSN_ISO_Lb0ESQ_SR_SQ_SR_SV_EESW_SX_SY_SZ_S13_S14_S15_S18_S19_jS1A_jS1B_S1B_jjS1D_bEUljE0_EEESW_SX_SY_S15_S19_S1B_T6_T7_T9_mT8_S1D_bDpT10_ENKUlT_T0_E_clISt17integral_constantIbLb1EES1Q_IbLb0EEEEDaS1M_S1N_EUlS1M_E_NS1_11comp_targetILNS1_3genE5ELNS1_11target_archE942ELNS1_3gpuE9ELNS1_3repE0EEENS1_30default_config_static_selectorELNS0_4arch9wavefront6targetE0EEEvSZ_ ; -- Begin function _ZN7rocprim17ROCPRIM_400000_NS6detail17trampoline_kernelINS0_13select_configILj256ELj13ELNS0_17block_load_methodE3ELS4_3ELS4_3ELNS0_20block_scan_algorithmE0ELj4294967295EEENS1_25partition_config_selectorILNS1_17partition_subalgoE4EjNS0_10empty_typeEbEEZZNS1_14partition_implILS8_4ELb0ES6_15HIP_vector_typeIjLj2EENS0_17counting_iteratorIjlEEPS9_SG_NS0_5tupleIJPjSI_NS0_16reverse_iteratorISI_EEEEENSH_IJSG_SG_SG_EEES9_SI_JZNS1_25segmented_radix_sort_implINS0_14default_configELb0EPKlPlSQ_SR_N2at6native12_GLOBAL__N_18offset_tEEE10hipError_tPvRmT1_PNSt15iterator_traitsISZ_E10value_typeET2_T3_PNS10_IS15_E10value_typeET4_jRbjT5_S1B_jjP12ihipStream_tbEUljE_ZNSN_ISO_Lb0ESQ_SR_SQ_SR_SV_EESW_SX_SY_SZ_S13_S14_S15_S18_S19_jS1A_jS1B_S1B_jjS1D_bEUljE0_EEESW_SX_SY_S15_S19_S1B_T6_T7_T9_mT8_S1D_bDpT10_ENKUlT_T0_E_clISt17integral_constantIbLb1EES1Q_IbLb0EEEEDaS1M_S1N_EUlS1M_E_NS1_11comp_targetILNS1_3genE5ELNS1_11target_archE942ELNS1_3gpuE9ELNS1_3repE0EEENS1_30default_config_static_selectorELNS0_4arch9wavefront6targetE0EEEvSZ_
	.p2align	8
	.type	_ZN7rocprim17ROCPRIM_400000_NS6detail17trampoline_kernelINS0_13select_configILj256ELj13ELNS0_17block_load_methodE3ELS4_3ELS4_3ELNS0_20block_scan_algorithmE0ELj4294967295EEENS1_25partition_config_selectorILNS1_17partition_subalgoE4EjNS0_10empty_typeEbEEZZNS1_14partition_implILS8_4ELb0ES6_15HIP_vector_typeIjLj2EENS0_17counting_iteratorIjlEEPS9_SG_NS0_5tupleIJPjSI_NS0_16reverse_iteratorISI_EEEEENSH_IJSG_SG_SG_EEES9_SI_JZNS1_25segmented_radix_sort_implINS0_14default_configELb0EPKlPlSQ_SR_N2at6native12_GLOBAL__N_18offset_tEEE10hipError_tPvRmT1_PNSt15iterator_traitsISZ_E10value_typeET2_T3_PNS10_IS15_E10value_typeET4_jRbjT5_S1B_jjP12ihipStream_tbEUljE_ZNSN_ISO_Lb0ESQ_SR_SQ_SR_SV_EESW_SX_SY_SZ_S13_S14_S15_S18_S19_jS1A_jS1B_S1B_jjS1D_bEUljE0_EEESW_SX_SY_S15_S19_S1B_T6_T7_T9_mT8_S1D_bDpT10_ENKUlT_T0_E_clISt17integral_constantIbLb1EES1Q_IbLb0EEEEDaS1M_S1N_EUlS1M_E_NS1_11comp_targetILNS1_3genE5ELNS1_11target_archE942ELNS1_3gpuE9ELNS1_3repE0EEENS1_30default_config_static_selectorELNS0_4arch9wavefront6targetE0EEEvSZ_,@function
_ZN7rocprim17ROCPRIM_400000_NS6detail17trampoline_kernelINS0_13select_configILj256ELj13ELNS0_17block_load_methodE3ELS4_3ELS4_3ELNS0_20block_scan_algorithmE0ELj4294967295EEENS1_25partition_config_selectorILNS1_17partition_subalgoE4EjNS0_10empty_typeEbEEZZNS1_14partition_implILS8_4ELb0ES6_15HIP_vector_typeIjLj2EENS0_17counting_iteratorIjlEEPS9_SG_NS0_5tupleIJPjSI_NS0_16reverse_iteratorISI_EEEEENSH_IJSG_SG_SG_EEES9_SI_JZNS1_25segmented_radix_sort_implINS0_14default_configELb0EPKlPlSQ_SR_N2at6native12_GLOBAL__N_18offset_tEEE10hipError_tPvRmT1_PNSt15iterator_traitsISZ_E10value_typeET2_T3_PNS10_IS15_E10value_typeET4_jRbjT5_S1B_jjP12ihipStream_tbEUljE_ZNSN_ISO_Lb0ESQ_SR_SQ_SR_SV_EESW_SX_SY_SZ_S13_S14_S15_S18_S19_jS1A_jS1B_S1B_jjS1D_bEUljE0_EEESW_SX_SY_S15_S19_S1B_T6_T7_T9_mT8_S1D_bDpT10_ENKUlT_T0_E_clISt17integral_constantIbLb1EES1Q_IbLb0EEEEDaS1M_S1N_EUlS1M_E_NS1_11comp_targetILNS1_3genE5ELNS1_11target_archE942ELNS1_3gpuE9ELNS1_3repE0EEENS1_30default_config_static_selectorELNS0_4arch9wavefront6targetE0EEEvSZ_: ; @_ZN7rocprim17ROCPRIM_400000_NS6detail17trampoline_kernelINS0_13select_configILj256ELj13ELNS0_17block_load_methodE3ELS4_3ELS4_3ELNS0_20block_scan_algorithmE0ELj4294967295EEENS1_25partition_config_selectorILNS1_17partition_subalgoE4EjNS0_10empty_typeEbEEZZNS1_14partition_implILS8_4ELb0ES6_15HIP_vector_typeIjLj2EENS0_17counting_iteratorIjlEEPS9_SG_NS0_5tupleIJPjSI_NS0_16reverse_iteratorISI_EEEEENSH_IJSG_SG_SG_EEES9_SI_JZNS1_25segmented_radix_sort_implINS0_14default_configELb0EPKlPlSQ_SR_N2at6native12_GLOBAL__N_18offset_tEEE10hipError_tPvRmT1_PNSt15iterator_traitsISZ_E10value_typeET2_T3_PNS10_IS15_E10value_typeET4_jRbjT5_S1B_jjP12ihipStream_tbEUljE_ZNSN_ISO_Lb0ESQ_SR_SQ_SR_SV_EESW_SX_SY_SZ_S13_S14_S15_S18_S19_jS1A_jS1B_S1B_jjS1D_bEUljE0_EEESW_SX_SY_S15_S19_S1B_T6_T7_T9_mT8_S1D_bDpT10_ENKUlT_T0_E_clISt17integral_constantIbLb1EES1Q_IbLb0EEEEDaS1M_S1N_EUlS1M_E_NS1_11comp_targetILNS1_3genE5ELNS1_11target_archE942ELNS1_3gpuE9ELNS1_3repE0EEENS1_30default_config_static_selectorELNS0_4arch9wavefront6targetE0EEEvSZ_
; %bb.0:
	.section	.rodata,"a",@progbits
	.p2align	6, 0x0
	.amdhsa_kernel _ZN7rocprim17ROCPRIM_400000_NS6detail17trampoline_kernelINS0_13select_configILj256ELj13ELNS0_17block_load_methodE3ELS4_3ELS4_3ELNS0_20block_scan_algorithmE0ELj4294967295EEENS1_25partition_config_selectorILNS1_17partition_subalgoE4EjNS0_10empty_typeEbEEZZNS1_14partition_implILS8_4ELb0ES6_15HIP_vector_typeIjLj2EENS0_17counting_iteratorIjlEEPS9_SG_NS0_5tupleIJPjSI_NS0_16reverse_iteratorISI_EEEEENSH_IJSG_SG_SG_EEES9_SI_JZNS1_25segmented_radix_sort_implINS0_14default_configELb0EPKlPlSQ_SR_N2at6native12_GLOBAL__N_18offset_tEEE10hipError_tPvRmT1_PNSt15iterator_traitsISZ_E10value_typeET2_T3_PNS10_IS15_E10value_typeET4_jRbjT5_S1B_jjP12ihipStream_tbEUljE_ZNSN_ISO_Lb0ESQ_SR_SQ_SR_SV_EESW_SX_SY_SZ_S13_S14_S15_S18_S19_jS1A_jS1B_S1B_jjS1D_bEUljE0_EEESW_SX_SY_S15_S19_S1B_T6_T7_T9_mT8_S1D_bDpT10_ENKUlT_T0_E_clISt17integral_constantIbLb1EES1Q_IbLb0EEEEDaS1M_S1N_EUlS1M_E_NS1_11comp_targetILNS1_3genE5ELNS1_11target_archE942ELNS1_3gpuE9ELNS1_3repE0EEENS1_30default_config_static_selectorELNS0_4arch9wavefront6targetE0EEEvSZ_
		.amdhsa_group_segment_fixed_size 0
		.amdhsa_private_segment_fixed_size 0
		.amdhsa_kernarg_size 176
		.amdhsa_user_sgpr_count 2
		.amdhsa_user_sgpr_dispatch_ptr 0
		.amdhsa_user_sgpr_queue_ptr 0
		.amdhsa_user_sgpr_kernarg_segment_ptr 1
		.amdhsa_user_sgpr_dispatch_id 0
		.amdhsa_user_sgpr_kernarg_preload_length 0
		.amdhsa_user_sgpr_kernarg_preload_offset 0
		.amdhsa_user_sgpr_private_segment_size 0
		.amdhsa_wavefront_size32 1
		.amdhsa_uses_dynamic_stack 0
		.amdhsa_enable_private_segment 0
		.amdhsa_system_sgpr_workgroup_id_x 1
		.amdhsa_system_sgpr_workgroup_id_y 0
		.amdhsa_system_sgpr_workgroup_id_z 0
		.amdhsa_system_sgpr_workgroup_info 0
		.amdhsa_system_vgpr_workitem_id 0
		.amdhsa_next_free_vgpr 1
		.amdhsa_next_free_sgpr 1
		.amdhsa_named_barrier_count 0
		.amdhsa_reserve_vcc 0
		.amdhsa_float_round_mode_32 0
		.amdhsa_float_round_mode_16_64 0
		.amdhsa_float_denorm_mode_32 3
		.amdhsa_float_denorm_mode_16_64 3
		.amdhsa_fp16_overflow 0
		.amdhsa_memory_ordered 1
		.amdhsa_forward_progress 1
		.amdhsa_inst_pref_size 0
		.amdhsa_round_robin_scheduling 0
		.amdhsa_exception_fp_ieee_invalid_op 0
		.amdhsa_exception_fp_denorm_src 0
		.amdhsa_exception_fp_ieee_div_zero 0
		.amdhsa_exception_fp_ieee_overflow 0
		.amdhsa_exception_fp_ieee_underflow 0
		.amdhsa_exception_fp_ieee_inexact 0
		.amdhsa_exception_int_div_zero 0
	.end_amdhsa_kernel
	.section	.text._ZN7rocprim17ROCPRIM_400000_NS6detail17trampoline_kernelINS0_13select_configILj256ELj13ELNS0_17block_load_methodE3ELS4_3ELS4_3ELNS0_20block_scan_algorithmE0ELj4294967295EEENS1_25partition_config_selectorILNS1_17partition_subalgoE4EjNS0_10empty_typeEbEEZZNS1_14partition_implILS8_4ELb0ES6_15HIP_vector_typeIjLj2EENS0_17counting_iteratorIjlEEPS9_SG_NS0_5tupleIJPjSI_NS0_16reverse_iteratorISI_EEEEENSH_IJSG_SG_SG_EEES9_SI_JZNS1_25segmented_radix_sort_implINS0_14default_configELb0EPKlPlSQ_SR_N2at6native12_GLOBAL__N_18offset_tEEE10hipError_tPvRmT1_PNSt15iterator_traitsISZ_E10value_typeET2_T3_PNS10_IS15_E10value_typeET4_jRbjT5_S1B_jjP12ihipStream_tbEUljE_ZNSN_ISO_Lb0ESQ_SR_SQ_SR_SV_EESW_SX_SY_SZ_S13_S14_S15_S18_S19_jS1A_jS1B_S1B_jjS1D_bEUljE0_EEESW_SX_SY_S15_S19_S1B_T6_T7_T9_mT8_S1D_bDpT10_ENKUlT_T0_E_clISt17integral_constantIbLb1EES1Q_IbLb0EEEEDaS1M_S1N_EUlS1M_E_NS1_11comp_targetILNS1_3genE5ELNS1_11target_archE942ELNS1_3gpuE9ELNS1_3repE0EEENS1_30default_config_static_selectorELNS0_4arch9wavefront6targetE0EEEvSZ_,"axG",@progbits,_ZN7rocprim17ROCPRIM_400000_NS6detail17trampoline_kernelINS0_13select_configILj256ELj13ELNS0_17block_load_methodE3ELS4_3ELS4_3ELNS0_20block_scan_algorithmE0ELj4294967295EEENS1_25partition_config_selectorILNS1_17partition_subalgoE4EjNS0_10empty_typeEbEEZZNS1_14partition_implILS8_4ELb0ES6_15HIP_vector_typeIjLj2EENS0_17counting_iteratorIjlEEPS9_SG_NS0_5tupleIJPjSI_NS0_16reverse_iteratorISI_EEEEENSH_IJSG_SG_SG_EEES9_SI_JZNS1_25segmented_radix_sort_implINS0_14default_configELb0EPKlPlSQ_SR_N2at6native12_GLOBAL__N_18offset_tEEE10hipError_tPvRmT1_PNSt15iterator_traitsISZ_E10value_typeET2_T3_PNS10_IS15_E10value_typeET4_jRbjT5_S1B_jjP12ihipStream_tbEUljE_ZNSN_ISO_Lb0ESQ_SR_SQ_SR_SV_EESW_SX_SY_SZ_S13_S14_S15_S18_S19_jS1A_jS1B_S1B_jjS1D_bEUljE0_EEESW_SX_SY_S15_S19_S1B_T6_T7_T9_mT8_S1D_bDpT10_ENKUlT_T0_E_clISt17integral_constantIbLb1EES1Q_IbLb0EEEEDaS1M_S1N_EUlS1M_E_NS1_11comp_targetILNS1_3genE5ELNS1_11target_archE942ELNS1_3gpuE9ELNS1_3repE0EEENS1_30default_config_static_selectorELNS0_4arch9wavefront6targetE0EEEvSZ_,comdat
.Lfunc_end756:
	.size	_ZN7rocprim17ROCPRIM_400000_NS6detail17trampoline_kernelINS0_13select_configILj256ELj13ELNS0_17block_load_methodE3ELS4_3ELS4_3ELNS0_20block_scan_algorithmE0ELj4294967295EEENS1_25partition_config_selectorILNS1_17partition_subalgoE4EjNS0_10empty_typeEbEEZZNS1_14partition_implILS8_4ELb0ES6_15HIP_vector_typeIjLj2EENS0_17counting_iteratorIjlEEPS9_SG_NS0_5tupleIJPjSI_NS0_16reverse_iteratorISI_EEEEENSH_IJSG_SG_SG_EEES9_SI_JZNS1_25segmented_radix_sort_implINS0_14default_configELb0EPKlPlSQ_SR_N2at6native12_GLOBAL__N_18offset_tEEE10hipError_tPvRmT1_PNSt15iterator_traitsISZ_E10value_typeET2_T3_PNS10_IS15_E10value_typeET4_jRbjT5_S1B_jjP12ihipStream_tbEUljE_ZNSN_ISO_Lb0ESQ_SR_SQ_SR_SV_EESW_SX_SY_SZ_S13_S14_S15_S18_S19_jS1A_jS1B_S1B_jjS1D_bEUljE0_EEESW_SX_SY_S15_S19_S1B_T6_T7_T9_mT8_S1D_bDpT10_ENKUlT_T0_E_clISt17integral_constantIbLb1EES1Q_IbLb0EEEEDaS1M_S1N_EUlS1M_E_NS1_11comp_targetILNS1_3genE5ELNS1_11target_archE942ELNS1_3gpuE9ELNS1_3repE0EEENS1_30default_config_static_selectorELNS0_4arch9wavefront6targetE0EEEvSZ_, .Lfunc_end756-_ZN7rocprim17ROCPRIM_400000_NS6detail17trampoline_kernelINS0_13select_configILj256ELj13ELNS0_17block_load_methodE3ELS4_3ELS4_3ELNS0_20block_scan_algorithmE0ELj4294967295EEENS1_25partition_config_selectorILNS1_17partition_subalgoE4EjNS0_10empty_typeEbEEZZNS1_14partition_implILS8_4ELb0ES6_15HIP_vector_typeIjLj2EENS0_17counting_iteratorIjlEEPS9_SG_NS0_5tupleIJPjSI_NS0_16reverse_iteratorISI_EEEEENSH_IJSG_SG_SG_EEES9_SI_JZNS1_25segmented_radix_sort_implINS0_14default_configELb0EPKlPlSQ_SR_N2at6native12_GLOBAL__N_18offset_tEEE10hipError_tPvRmT1_PNSt15iterator_traitsISZ_E10value_typeET2_T3_PNS10_IS15_E10value_typeET4_jRbjT5_S1B_jjP12ihipStream_tbEUljE_ZNSN_ISO_Lb0ESQ_SR_SQ_SR_SV_EESW_SX_SY_SZ_S13_S14_S15_S18_S19_jS1A_jS1B_S1B_jjS1D_bEUljE0_EEESW_SX_SY_S15_S19_S1B_T6_T7_T9_mT8_S1D_bDpT10_ENKUlT_T0_E_clISt17integral_constantIbLb1EES1Q_IbLb0EEEEDaS1M_S1N_EUlS1M_E_NS1_11comp_targetILNS1_3genE5ELNS1_11target_archE942ELNS1_3gpuE9ELNS1_3repE0EEENS1_30default_config_static_selectorELNS0_4arch9wavefront6targetE0EEEvSZ_
                                        ; -- End function
	.set _ZN7rocprim17ROCPRIM_400000_NS6detail17trampoline_kernelINS0_13select_configILj256ELj13ELNS0_17block_load_methodE3ELS4_3ELS4_3ELNS0_20block_scan_algorithmE0ELj4294967295EEENS1_25partition_config_selectorILNS1_17partition_subalgoE4EjNS0_10empty_typeEbEEZZNS1_14partition_implILS8_4ELb0ES6_15HIP_vector_typeIjLj2EENS0_17counting_iteratorIjlEEPS9_SG_NS0_5tupleIJPjSI_NS0_16reverse_iteratorISI_EEEEENSH_IJSG_SG_SG_EEES9_SI_JZNS1_25segmented_radix_sort_implINS0_14default_configELb0EPKlPlSQ_SR_N2at6native12_GLOBAL__N_18offset_tEEE10hipError_tPvRmT1_PNSt15iterator_traitsISZ_E10value_typeET2_T3_PNS10_IS15_E10value_typeET4_jRbjT5_S1B_jjP12ihipStream_tbEUljE_ZNSN_ISO_Lb0ESQ_SR_SQ_SR_SV_EESW_SX_SY_SZ_S13_S14_S15_S18_S19_jS1A_jS1B_S1B_jjS1D_bEUljE0_EEESW_SX_SY_S15_S19_S1B_T6_T7_T9_mT8_S1D_bDpT10_ENKUlT_T0_E_clISt17integral_constantIbLb1EES1Q_IbLb0EEEEDaS1M_S1N_EUlS1M_E_NS1_11comp_targetILNS1_3genE5ELNS1_11target_archE942ELNS1_3gpuE9ELNS1_3repE0EEENS1_30default_config_static_selectorELNS0_4arch9wavefront6targetE0EEEvSZ_.num_vgpr, 0
	.set _ZN7rocprim17ROCPRIM_400000_NS6detail17trampoline_kernelINS0_13select_configILj256ELj13ELNS0_17block_load_methodE3ELS4_3ELS4_3ELNS0_20block_scan_algorithmE0ELj4294967295EEENS1_25partition_config_selectorILNS1_17partition_subalgoE4EjNS0_10empty_typeEbEEZZNS1_14partition_implILS8_4ELb0ES6_15HIP_vector_typeIjLj2EENS0_17counting_iteratorIjlEEPS9_SG_NS0_5tupleIJPjSI_NS0_16reverse_iteratorISI_EEEEENSH_IJSG_SG_SG_EEES9_SI_JZNS1_25segmented_radix_sort_implINS0_14default_configELb0EPKlPlSQ_SR_N2at6native12_GLOBAL__N_18offset_tEEE10hipError_tPvRmT1_PNSt15iterator_traitsISZ_E10value_typeET2_T3_PNS10_IS15_E10value_typeET4_jRbjT5_S1B_jjP12ihipStream_tbEUljE_ZNSN_ISO_Lb0ESQ_SR_SQ_SR_SV_EESW_SX_SY_SZ_S13_S14_S15_S18_S19_jS1A_jS1B_S1B_jjS1D_bEUljE0_EEESW_SX_SY_S15_S19_S1B_T6_T7_T9_mT8_S1D_bDpT10_ENKUlT_T0_E_clISt17integral_constantIbLb1EES1Q_IbLb0EEEEDaS1M_S1N_EUlS1M_E_NS1_11comp_targetILNS1_3genE5ELNS1_11target_archE942ELNS1_3gpuE9ELNS1_3repE0EEENS1_30default_config_static_selectorELNS0_4arch9wavefront6targetE0EEEvSZ_.num_agpr, 0
	.set _ZN7rocprim17ROCPRIM_400000_NS6detail17trampoline_kernelINS0_13select_configILj256ELj13ELNS0_17block_load_methodE3ELS4_3ELS4_3ELNS0_20block_scan_algorithmE0ELj4294967295EEENS1_25partition_config_selectorILNS1_17partition_subalgoE4EjNS0_10empty_typeEbEEZZNS1_14partition_implILS8_4ELb0ES6_15HIP_vector_typeIjLj2EENS0_17counting_iteratorIjlEEPS9_SG_NS0_5tupleIJPjSI_NS0_16reverse_iteratorISI_EEEEENSH_IJSG_SG_SG_EEES9_SI_JZNS1_25segmented_radix_sort_implINS0_14default_configELb0EPKlPlSQ_SR_N2at6native12_GLOBAL__N_18offset_tEEE10hipError_tPvRmT1_PNSt15iterator_traitsISZ_E10value_typeET2_T3_PNS10_IS15_E10value_typeET4_jRbjT5_S1B_jjP12ihipStream_tbEUljE_ZNSN_ISO_Lb0ESQ_SR_SQ_SR_SV_EESW_SX_SY_SZ_S13_S14_S15_S18_S19_jS1A_jS1B_S1B_jjS1D_bEUljE0_EEESW_SX_SY_S15_S19_S1B_T6_T7_T9_mT8_S1D_bDpT10_ENKUlT_T0_E_clISt17integral_constantIbLb1EES1Q_IbLb0EEEEDaS1M_S1N_EUlS1M_E_NS1_11comp_targetILNS1_3genE5ELNS1_11target_archE942ELNS1_3gpuE9ELNS1_3repE0EEENS1_30default_config_static_selectorELNS0_4arch9wavefront6targetE0EEEvSZ_.numbered_sgpr, 0
	.set _ZN7rocprim17ROCPRIM_400000_NS6detail17trampoline_kernelINS0_13select_configILj256ELj13ELNS0_17block_load_methodE3ELS4_3ELS4_3ELNS0_20block_scan_algorithmE0ELj4294967295EEENS1_25partition_config_selectorILNS1_17partition_subalgoE4EjNS0_10empty_typeEbEEZZNS1_14partition_implILS8_4ELb0ES6_15HIP_vector_typeIjLj2EENS0_17counting_iteratorIjlEEPS9_SG_NS0_5tupleIJPjSI_NS0_16reverse_iteratorISI_EEEEENSH_IJSG_SG_SG_EEES9_SI_JZNS1_25segmented_radix_sort_implINS0_14default_configELb0EPKlPlSQ_SR_N2at6native12_GLOBAL__N_18offset_tEEE10hipError_tPvRmT1_PNSt15iterator_traitsISZ_E10value_typeET2_T3_PNS10_IS15_E10value_typeET4_jRbjT5_S1B_jjP12ihipStream_tbEUljE_ZNSN_ISO_Lb0ESQ_SR_SQ_SR_SV_EESW_SX_SY_SZ_S13_S14_S15_S18_S19_jS1A_jS1B_S1B_jjS1D_bEUljE0_EEESW_SX_SY_S15_S19_S1B_T6_T7_T9_mT8_S1D_bDpT10_ENKUlT_T0_E_clISt17integral_constantIbLb1EES1Q_IbLb0EEEEDaS1M_S1N_EUlS1M_E_NS1_11comp_targetILNS1_3genE5ELNS1_11target_archE942ELNS1_3gpuE9ELNS1_3repE0EEENS1_30default_config_static_selectorELNS0_4arch9wavefront6targetE0EEEvSZ_.num_named_barrier, 0
	.set _ZN7rocprim17ROCPRIM_400000_NS6detail17trampoline_kernelINS0_13select_configILj256ELj13ELNS0_17block_load_methodE3ELS4_3ELS4_3ELNS0_20block_scan_algorithmE0ELj4294967295EEENS1_25partition_config_selectorILNS1_17partition_subalgoE4EjNS0_10empty_typeEbEEZZNS1_14partition_implILS8_4ELb0ES6_15HIP_vector_typeIjLj2EENS0_17counting_iteratorIjlEEPS9_SG_NS0_5tupleIJPjSI_NS0_16reverse_iteratorISI_EEEEENSH_IJSG_SG_SG_EEES9_SI_JZNS1_25segmented_radix_sort_implINS0_14default_configELb0EPKlPlSQ_SR_N2at6native12_GLOBAL__N_18offset_tEEE10hipError_tPvRmT1_PNSt15iterator_traitsISZ_E10value_typeET2_T3_PNS10_IS15_E10value_typeET4_jRbjT5_S1B_jjP12ihipStream_tbEUljE_ZNSN_ISO_Lb0ESQ_SR_SQ_SR_SV_EESW_SX_SY_SZ_S13_S14_S15_S18_S19_jS1A_jS1B_S1B_jjS1D_bEUljE0_EEESW_SX_SY_S15_S19_S1B_T6_T7_T9_mT8_S1D_bDpT10_ENKUlT_T0_E_clISt17integral_constantIbLb1EES1Q_IbLb0EEEEDaS1M_S1N_EUlS1M_E_NS1_11comp_targetILNS1_3genE5ELNS1_11target_archE942ELNS1_3gpuE9ELNS1_3repE0EEENS1_30default_config_static_selectorELNS0_4arch9wavefront6targetE0EEEvSZ_.private_seg_size, 0
	.set _ZN7rocprim17ROCPRIM_400000_NS6detail17trampoline_kernelINS0_13select_configILj256ELj13ELNS0_17block_load_methodE3ELS4_3ELS4_3ELNS0_20block_scan_algorithmE0ELj4294967295EEENS1_25partition_config_selectorILNS1_17partition_subalgoE4EjNS0_10empty_typeEbEEZZNS1_14partition_implILS8_4ELb0ES6_15HIP_vector_typeIjLj2EENS0_17counting_iteratorIjlEEPS9_SG_NS0_5tupleIJPjSI_NS0_16reverse_iteratorISI_EEEEENSH_IJSG_SG_SG_EEES9_SI_JZNS1_25segmented_radix_sort_implINS0_14default_configELb0EPKlPlSQ_SR_N2at6native12_GLOBAL__N_18offset_tEEE10hipError_tPvRmT1_PNSt15iterator_traitsISZ_E10value_typeET2_T3_PNS10_IS15_E10value_typeET4_jRbjT5_S1B_jjP12ihipStream_tbEUljE_ZNSN_ISO_Lb0ESQ_SR_SQ_SR_SV_EESW_SX_SY_SZ_S13_S14_S15_S18_S19_jS1A_jS1B_S1B_jjS1D_bEUljE0_EEESW_SX_SY_S15_S19_S1B_T6_T7_T9_mT8_S1D_bDpT10_ENKUlT_T0_E_clISt17integral_constantIbLb1EES1Q_IbLb0EEEEDaS1M_S1N_EUlS1M_E_NS1_11comp_targetILNS1_3genE5ELNS1_11target_archE942ELNS1_3gpuE9ELNS1_3repE0EEENS1_30default_config_static_selectorELNS0_4arch9wavefront6targetE0EEEvSZ_.uses_vcc, 0
	.set _ZN7rocprim17ROCPRIM_400000_NS6detail17trampoline_kernelINS0_13select_configILj256ELj13ELNS0_17block_load_methodE3ELS4_3ELS4_3ELNS0_20block_scan_algorithmE0ELj4294967295EEENS1_25partition_config_selectorILNS1_17partition_subalgoE4EjNS0_10empty_typeEbEEZZNS1_14partition_implILS8_4ELb0ES6_15HIP_vector_typeIjLj2EENS0_17counting_iteratorIjlEEPS9_SG_NS0_5tupleIJPjSI_NS0_16reverse_iteratorISI_EEEEENSH_IJSG_SG_SG_EEES9_SI_JZNS1_25segmented_radix_sort_implINS0_14default_configELb0EPKlPlSQ_SR_N2at6native12_GLOBAL__N_18offset_tEEE10hipError_tPvRmT1_PNSt15iterator_traitsISZ_E10value_typeET2_T3_PNS10_IS15_E10value_typeET4_jRbjT5_S1B_jjP12ihipStream_tbEUljE_ZNSN_ISO_Lb0ESQ_SR_SQ_SR_SV_EESW_SX_SY_SZ_S13_S14_S15_S18_S19_jS1A_jS1B_S1B_jjS1D_bEUljE0_EEESW_SX_SY_S15_S19_S1B_T6_T7_T9_mT8_S1D_bDpT10_ENKUlT_T0_E_clISt17integral_constantIbLb1EES1Q_IbLb0EEEEDaS1M_S1N_EUlS1M_E_NS1_11comp_targetILNS1_3genE5ELNS1_11target_archE942ELNS1_3gpuE9ELNS1_3repE0EEENS1_30default_config_static_selectorELNS0_4arch9wavefront6targetE0EEEvSZ_.uses_flat_scratch, 0
	.set _ZN7rocprim17ROCPRIM_400000_NS6detail17trampoline_kernelINS0_13select_configILj256ELj13ELNS0_17block_load_methodE3ELS4_3ELS4_3ELNS0_20block_scan_algorithmE0ELj4294967295EEENS1_25partition_config_selectorILNS1_17partition_subalgoE4EjNS0_10empty_typeEbEEZZNS1_14partition_implILS8_4ELb0ES6_15HIP_vector_typeIjLj2EENS0_17counting_iteratorIjlEEPS9_SG_NS0_5tupleIJPjSI_NS0_16reverse_iteratorISI_EEEEENSH_IJSG_SG_SG_EEES9_SI_JZNS1_25segmented_radix_sort_implINS0_14default_configELb0EPKlPlSQ_SR_N2at6native12_GLOBAL__N_18offset_tEEE10hipError_tPvRmT1_PNSt15iterator_traitsISZ_E10value_typeET2_T3_PNS10_IS15_E10value_typeET4_jRbjT5_S1B_jjP12ihipStream_tbEUljE_ZNSN_ISO_Lb0ESQ_SR_SQ_SR_SV_EESW_SX_SY_SZ_S13_S14_S15_S18_S19_jS1A_jS1B_S1B_jjS1D_bEUljE0_EEESW_SX_SY_S15_S19_S1B_T6_T7_T9_mT8_S1D_bDpT10_ENKUlT_T0_E_clISt17integral_constantIbLb1EES1Q_IbLb0EEEEDaS1M_S1N_EUlS1M_E_NS1_11comp_targetILNS1_3genE5ELNS1_11target_archE942ELNS1_3gpuE9ELNS1_3repE0EEENS1_30default_config_static_selectorELNS0_4arch9wavefront6targetE0EEEvSZ_.has_dyn_sized_stack, 0
	.set _ZN7rocprim17ROCPRIM_400000_NS6detail17trampoline_kernelINS0_13select_configILj256ELj13ELNS0_17block_load_methodE3ELS4_3ELS4_3ELNS0_20block_scan_algorithmE0ELj4294967295EEENS1_25partition_config_selectorILNS1_17partition_subalgoE4EjNS0_10empty_typeEbEEZZNS1_14partition_implILS8_4ELb0ES6_15HIP_vector_typeIjLj2EENS0_17counting_iteratorIjlEEPS9_SG_NS0_5tupleIJPjSI_NS0_16reverse_iteratorISI_EEEEENSH_IJSG_SG_SG_EEES9_SI_JZNS1_25segmented_radix_sort_implINS0_14default_configELb0EPKlPlSQ_SR_N2at6native12_GLOBAL__N_18offset_tEEE10hipError_tPvRmT1_PNSt15iterator_traitsISZ_E10value_typeET2_T3_PNS10_IS15_E10value_typeET4_jRbjT5_S1B_jjP12ihipStream_tbEUljE_ZNSN_ISO_Lb0ESQ_SR_SQ_SR_SV_EESW_SX_SY_SZ_S13_S14_S15_S18_S19_jS1A_jS1B_S1B_jjS1D_bEUljE0_EEESW_SX_SY_S15_S19_S1B_T6_T7_T9_mT8_S1D_bDpT10_ENKUlT_T0_E_clISt17integral_constantIbLb1EES1Q_IbLb0EEEEDaS1M_S1N_EUlS1M_E_NS1_11comp_targetILNS1_3genE5ELNS1_11target_archE942ELNS1_3gpuE9ELNS1_3repE0EEENS1_30default_config_static_selectorELNS0_4arch9wavefront6targetE0EEEvSZ_.has_recursion, 0
	.set _ZN7rocprim17ROCPRIM_400000_NS6detail17trampoline_kernelINS0_13select_configILj256ELj13ELNS0_17block_load_methodE3ELS4_3ELS4_3ELNS0_20block_scan_algorithmE0ELj4294967295EEENS1_25partition_config_selectorILNS1_17partition_subalgoE4EjNS0_10empty_typeEbEEZZNS1_14partition_implILS8_4ELb0ES6_15HIP_vector_typeIjLj2EENS0_17counting_iteratorIjlEEPS9_SG_NS0_5tupleIJPjSI_NS0_16reverse_iteratorISI_EEEEENSH_IJSG_SG_SG_EEES9_SI_JZNS1_25segmented_radix_sort_implINS0_14default_configELb0EPKlPlSQ_SR_N2at6native12_GLOBAL__N_18offset_tEEE10hipError_tPvRmT1_PNSt15iterator_traitsISZ_E10value_typeET2_T3_PNS10_IS15_E10value_typeET4_jRbjT5_S1B_jjP12ihipStream_tbEUljE_ZNSN_ISO_Lb0ESQ_SR_SQ_SR_SV_EESW_SX_SY_SZ_S13_S14_S15_S18_S19_jS1A_jS1B_S1B_jjS1D_bEUljE0_EEESW_SX_SY_S15_S19_S1B_T6_T7_T9_mT8_S1D_bDpT10_ENKUlT_T0_E_clISt17integral_constantIbLb1EES1Q_IbLb0EEEEDaS1M_S1N_EUlS1M_E_NS1_11comp_targetILNS1_3genE5ELNS1_11target_archE942ELNS1_3gpuE9ELNS1_3repE0EEENS1_30default_config_static_selectorELNS0_4arch9wavefront6targetE0EEEvSZ_.has_indirect_call, 0
	.section	.AMDGPU.csdata,"",@progbits
; Kernel info:
; codeLenInByte = 0
; TotalNumSgprs: 0
; NumVgprs: 0
; ScratchSize: 0
; MemoryBound: 0
; FloatMode: 240
; IeeeMode: 1
; LDSByteSize: 0 bytes/workgroup (compile time only)
; SGPRBlocks: 0
; VGPRBlocks: 0
; NumSGPRsForWavesPerEU: 1
; NumVGPRsForWavesPerEU: 1
; NamedBarCnt: 0
; Occupancy: 16
; WaveLimiterHint : 0
; COMPUTE_PGM_RSRC2:SCRATCH_EN: 0
; COMPUTE_PGM_RSRC2:USER_SGPR: 2
; COMPUTE_PGM_RSRC2:TRAP_HANDLER: 0
; COMPUTE_PGM_RSRC2:TGID_X_EN: 1
; COMPUTE_PGM_RSRC2:TGID_Y_EN: 0
; COMPUTE_PGM_RSRC2:TGID_Z_EN: 0
; COMPUTE_PGM_RSRC2:TIDIG_COMP_CNT: 0
	.section	.text._ZN7rocprim17ROCPRIM_400000_NS6detail17trampoline_kernelINS0_13select_configILj256ELj13ELNS0_17block_load_methodE3ELS4_3ELS4_3ELNS0_20block_scan_algorithmE0ELj4294967295EEENS1_25partition_config_selectorILNS1_17partition_subalgoE4EjNS0_10empty_typeEbEEZZNS1_14partition_implILS8_4ELb0ES6_15HIP_vector_typeIjLj2EENS0_17counting_iteratorIjlEEPS9_SG_NS0_5tupleIJPjSI_NS0_16reverse_iteratorISI_EEEEENSH_IJSG_SG_SG_EEES9_SI_JZNS1_25segmented_radix_sort_implINS0_14default_configELb0EPKlPlSQ_SR_N2at6native12_GLOBAL__N_18offset_tEEE10hipError_tPvRmT1_PNSt15iterator_traitsISZ_E10value_typeET2_T3_PNS10_IS15_E10value_typeET4_jRbjT5_S1B_jjP12ihipStream_tbEUljE_ZNSN_ISO_Lb0ESQ_SR_SQ_SR_SV_EESW_SX_SY_SZ_S13_S14_S15_S18_S19_jS1A_jS1B_S1B_jjS1D_bEUljE0_EEESW_SX_SY_S15_S19_S1B_T6_T7_T9_mT8_S1D_bDpT10_ENKUlT_T0_E_clISt17integral_constantIbLb1EES1Q_IbLb0EEEEDaS1M_S1N_EUlS1M_E_NS1_11comp_targetILNS1_3genE4ELNS1_11target_archE910ELNS1_3gpuE8ELNS1_3repE0EEENS1_30default_config_static_selectorELNS0_4arch9wavefront6targetE0EEEvSZ_,"axG",@progbits,_ZN7rocprim17ROCPRIM_400000_NS6detail17trampoline_kernelINS0_13select_configILj256ELj13ELNS0_17block_load_methodE3ELS4_3ELS4_3ELNS0_20block_scan_algorithmE0ELj4294967295EEENS1_25partition_config_selectorILNS1_17partition_subalgoE4EjNS0_10empty_typeEbEEZZNS1_14partition_implILS8_4ELb0ES6_15HIP_vector_typeIjLj2EENS0_17counting_iteratorIjlEEPS9_SG_NS0_5tupleIJPjSI_NS0_16reverse_iteratorISI_EEEEENSH_IJSG_SG_SG_EEES9_SI_JZNS1_25segmented_radix_sort_implINS0_14default_configELb0EPKlPlSQ_SR_N2at6native12_GLOBAL__N_18offset_tEEE10hipError_tPvRmT1_PNSt15iterator_traitsISZ_E10value_typeET2_T3_PNS10_IS15_E10value_typeET4_jRbjT5_S1B_jjP12ihipStream_tbEUljE_ZNSN_ISO_Lb0ESQ_SR_SQ_SR_SV_EESW_SX_SY_SZ_S13_S14_S15_S18_S19_jS1A_jS1B_S1B_jjS1D_bEUljE0_EEESW_SX_SY_S15_S19_S1B_T6_T7_T9_mT8_S1D_bDpT10_ENKUlT_T0_E_clISt17integral_constantIbLb1EES1Q_IbLb0EEEEDaS1M_S1N_EUlS1M_E_NS1_11comp_targetILNS1_3genE4ELNS1_11target_archE910ELNS1_3gpuE8ELNS1_3repE0EEENS1_30default_config_static_selectorELNS0_4arch9wavefront6targetE0EEEvSZ_,comdat
	.globl	_ZN7rocprim17ROCPRIM_400000_NS6detail17trampoline_kernelINS0_13select_configILj256ELj13ELNS0_17block_load_methodE3ELS4_3ELS4_3ELNS0_20block_scan_algorithmE0ELj4294967295EEENS1_25partition_config_selectorILNS1_17partition_subalgoE4EjNS0_10empty_typeEbEEZZNS1_14partition_implILS8_4ELb0ES6_15HIP_vector_typeIjLj2EENS0_17counting_iteratorIjlEEPS9_SG_NS0_5tupleIJPjSI_NS0_16reverse_iteratorISI_EEEEENSH_IJSG_SG_SG_EEES9_SI_JZNS1_25segmented_radix_sort_implINS0_14default_configELb0EPKlPlSQ_SR_N2at6native12_GLOBAL__N_18offset_tEEE10hipError_tPvRmT1_PNSt15iterator_traitsISZ_E10value_typeET2_T3_PNS10_IS15_E10value_typeET4_jRbjT5_S1B_jjP12ihipStream_tbEUljE_ZNSN_ISO_Lb0ESQ_SR_SQ_SR_SV_EESW_SX_SY_SZ_S13_S14_S15_S18_S19_jS1A_jS1B_S1B_jjS1D_bEUljE0_EEESW_SX_SY_S15_S19_S1B_T6_T7_T9_mT8_S1D_bDpT10_ENKUlT_T0_E_clISt17integral_constantIbLb1EES1Q_IbLb0EEEEDaS1M_S1N_EUlS1M_E_NS1_11comp_targetILNS1_3genE4ELNS1_11target_archE910ELNS1_3gpuE8ELNS1_3repE0EEENS1_30default_config_static_selectorELNS0_4arch9wavefront6targetE0EEEvSZ_ ; -- Begin function _ZN7rocprim17ROCPRIM_400000_NS6detail17trampoline_kernelINS0_13select_configILj256ELj13ELNS0_17block_load_methodE3ELS4_3ELS4_3ELNS0_20block_scan_algorithmE0ELj4294967295EEENS1_25partition_config_selectorILNS1_17partition_subalgoE4EjNS0_10empty_typeEbEEZZNS1_14partition_implILS8_4ELb0ES6_15HIP_vector_typeIjLj2EENS0_17counting_iteratorIjlEEPS9_SG_NS0_5tupleIJPjSI_NS0_16reverse_iteratorISI_EEEEENSH_IJSG_SG_SG_EEES9_SI_JZNS1_25segmented_radix_sort_implINS0_14default_configELb0EPKlPlSQ_SR_N2at6native12_GLOBAL__N_18offset_tEEE10hipError_tPvRmT1_PNSt15iterator_traitsISZ_E10value_typeET2_T3_PNS10_IS15_E10value_typeET4_jRbjT5_S1B_jjP12ihipStream_tbEUljE_ZNSN_ISO_Lb0ESQ_SR_SQ_SR_SV_EESW_SX_SY_SZ_S13_S14_S15_S18_S19_jS1A_jS1B_S1B_jjS1D_bEUljE0_EEESW_SX_SY_S15_S19_S1B_T6_T7_T9_mT8_S1D_bDpT10_ENKUlT_T0_E_clISt17integral_constantIbLb1EES1Q_IbLb0EEEEDaS1M_S1N_EUlS1M_E_NS1_11comp_targetILNS1_3genE4ELNS1_11target_archE910ELNS1_3gpuE8ELNS1_3repE0EEENS1_30default_config_static_selectorELNS0_4arch9wavefront6targetE0EEEvSZ_
	.p2align	8
	.type	_ZN7rocprim17ROCPRIM_400000_NS6detail17trampoline_kernelINS0_13select_configILj256ELj13ELNS0_17block_load_methodE3ELS4_3ELS4_3ELNS0_20block_scan_algorithmE0ELj4294967295EEENS1_25partition_config_selectorILNS1_17partition_subalgoE4EjNS0_10empty_typeEbEEZZNS1_14partition_implILS8_4ELb0ES6_15HIP_vector_typeIjLj2EENS0_17counting_iteratorIjlEEPS9_SG_NS0_5tupleIJPjSI_NS0_16reverse_iteratorISI_EEEEENSH_IJSG_SG_SG_EEES9_SI_JZNS1_25segmented_radix_sort_implINS0_14default_configELb0EPKlPlSQ_SR_N2at6native12_GLOBAL__N_18offset_tEEE10hipError_tPvRmT1_PNSt15iterator_traitsISZ_E10value_typeET2_T3_PNS10_IS15_E10value_typeET4_jRbjT5_S1B_jjP12ihipStream_tbEUljE_ZNSN_ISO_Lb0ESQ_SR_SQ_SR_SV_EESW_SX_SY_SZ_S13_S14_S15_S18_S19_jS1A_jS1B_S1B_jjS1D_bEUljE0_EEESW_SX_SY_S15_S19_S1B_T6_T7_T9_mT8_S1D_bDpT10_ENKUlT_T0_E_clISt17integral_constantIbLb1EES1Q_IbLb0EEEEDaS1M_S1N_EUlS1M_E_NS1_11comp_targetILNS1_3genE4ELNS1_11target_archE910ELNS1_3gpuE8ELNS1_3repE0EEENS1_30default_config_static_selectorELNS0_4arch9wavefront6targetE0EEEvSZ_,@function
_ZN7rocprim17ROCPRIM_400000_NS6detail17trampoline_kernelINS0_13select_configILj256ELj13ELNS0_17block_load_methodE3ELS4_3ELS4_3ELNS0_20block_scan_algorithmE0ELj4294967295EEENS1_25partition_config_selectorILNS1_17partition_subalgoE4EjNS0_10empty_typeEbEEZZNS1_14partition_implILS8_4ELb0ES6_15HIP_vector_typeIjLj2EENS0_17counting_iteratorIjlEEPS9_SG_NS0_5tupleIJPjSI_NS0_16reverse_iteratorISI_EEEEENSH_IJSG_SG_SG_EEES9_SI_JZNS1_25segmented_radix_sort_implINS0_14default_configELb0EPKlPlSQ_SR_N2at6native12_GLOBAL__N_18offset_tEEE10hipError_tPvRmT1_PNSt15iterator_traitsISZ_E10value_typeET2_T3_PNS10_IS15_E10value_typeET4_jRbjT5_S1B_jjP12ihipStream_tbEUljE_ZNSN_ISO_Lb0ESQ_SR_SQ_SR_SV_EESW_SX_SY_SZ_S13_S14_S15_S18_S19_jS1A_jS1B_S1B_jjS1D_bEUljE0_EEESW_SX_SY_S15_S19_S1B_T6_T7_T9_mT8_S1D_bDpT10_ENKUlT_T0_E_clISt17integral_constantIbLb1EES1Q_IbLb0EEEEDaS1M_S1N_EUlS1M_E_NS1_11comp_targetILNS1_3genE4ELNS1_11target_archE910ELNS1_3gpuE8ELNS1_3repE0EEENS1_30default_config_static_selectorELNS0_4arch9wavefront6targetE0EEEvSZ_: ; @_ZN7rocprim17ROCPRIM_400000_NS6detail17trampoline_kernelINS0_13select_configILj256ELj13ELNS0_17block_load_methodE3ELS4_3ELS4_3ELNS0_20block_scan_algorithmE0ELj4294967295EEENS1_25partition_config_selectorILNS1_17partition_subalgoE4EjNS0_10empty_typeEbEEZZNS1_14partition_implILS8_4ELb0ES6_15HIP_vector_typeIjLj2EENS0_17counting_iteratorIjlEEPS9_SG_NS0_5tupleIJPjSI_NS0_16reverse_iteratorISI_EEEEENSH_IJSG_SG_SG_EEES9_SI_JZNS1_25segmented_radix_sort_implINS0_14default_configELb0EPKlPlSQ_SR_N2at6native12_GLOBAL__N_18offset_tEEE10hipError_tPvRmT1_PNSt15iterator_traitsISZ_E10value_typeET2_T3_PNS10_IS15_E10value_typeET4_jRbjT5_S1B_jjP12ihipStream_tbEUljE_ZNSN_ISO_Lb0ESQ_SR_SQ_SR_SV_EESW_SX_SY_SZ_S13_S14_S15_S18_S19_jS1A_jS1B_S1B_jjS1D_bEUljE0_EEESW_SX_SY_S15_S19_S1B_T6_T7_T9_mT8_S1D_bDpT10_ENKUlT_T0_E_clISt17integral_constantIbLb1EES1Q_IbLb0EEEEDaS1M_S1N_EUlS1M_E_NS1_11comp_targetILNS1_3genE4ELNS1_11target_archE910ELNS1_3gpuE8ELNS1_3repE0EEENS1_30default_config_static_selectorELNS0_4arch9wavefront6targetE0EEEvSZ_
; %bb.0:
	.section	.rodata,"a",@progbits
	.p2align	6, 0x0
	.amdhsa_kernel _ZN7rocprim17ROCPRIM_400000_NS6detail17trampoline_kernelINS0_13select_configILj256ELj13ELNS0_17block_load_methodE3ELS4_3ELS4_3ELNS0_20block_scan_algorithmE0ELj4294967295EEENS1_25partition_config_selectorILNS1_17partition_subalgoE4EjNS0_10empty_typeEbEEZZNS1_14partition_implILS8_4ELb0ES6_15HIP_vector_typeIjLj2EENS0_17counting_iteratorIjlEEPS9_SG_NS0_5tupleIJPjSI_NS0_16reverse_iteratorISI_EEEEENSH_IJSG_SG_SG_EEES9_SI_JZNS1_25segmented_radix_sort_implINS0_14default_configELb0EPKlPlSQ_SR_N2at6native12_GLOBAL__N_18offset_tEEE10hipError_tPvRmT1_PNSt15iterator_traitsISZ_E10value_typeET2_T3_PNS10_IS15_E10value_typeET4_jRbjT5_S1B_jjP12ihipStream_tbEUljE_ZNSN_ISO_Lb0ESQ_SR_SQ_SR_SV_EESW_SX_SY_SZ_S13_S14_S15_S18_S19_jS1A_jS1B_S1B_jjS1D_bEUljE0_EEESW_SX_SY_S15_S19_S1B_T6_T7_T9_mT8_S1D_bDpT10_ENKUlT_T0_E_clISt17integral_constantIbLb1EES1Q_IbLb0EEEEDaS1M_S1N_EUlS1M_E_NS1_11comp_targetILNS1_3genE4ELNS1_11target_archE910ELNS1_3gpuE8ELNS1_3repE0EEENS1_30default_config_static_selectorELNS0_4arch9wavefront6targetE0EEEvSZ_
		.amdhsa_group_segment_fixed_size 0
		.amdhsa_private_segment_fixed_size 0
		.amdhsa_kernarg_size 176
		.amdhsa_user_sgpr_count 2
		.amdhsa_user_sgpr_dispatch_ptr 0
		.amdhsa_user_sgpr_queue_ptr 0
		.amdhsa_user_sgpr_kernarg_segment_ptr 1
		.amdhsa_user_sgpr_dispatch_id 0
		.amdhsa_user_sgpr_kernarg_preload_length 0
		.amdhsa_user_sgpr_kernarg_preload_offset 0
		.amdhsa_user_sgpr_private_segment_size 0
		.amdhsa_wavefront_size32 1
		.amdhsa_uses_dynamic_stack 0
		.amdhsa_enable_private_segment 0
		.amdhsa_system_sgpr_workgroup_id_x 1
		.amdhsa_system_sgpr_workgroup_id_y 0
		.amdhsa_system_sgpr_workgroup_id_z 0
		.amdhsa_system_sgpr_workgroup_info 0
		.amdhsa_system_vgpr_workitem_id 0
		.amdhsa_next_free_vgpr 1
		.amdhsa_next_free_sgpr 1
		.amdhsa_named_barrier_count 0
		.amdhsa_reserve_vcc 0
		.amdhsa_float_round_mode_32 0
		.amdhsa_float_round_mode_16_64 0
		.amdhsa_float_denorm_mode_32 3
		.amdhsa_float_denorm_mode_16_64 3
		.amdhsa_fp16_overflow 0
		.amdhsa_memory_ordered 1
		.amdhsa_forward_progress 1
		.amdhsa_inst_pref_size 0
		.amdhsa_round_robin_scheduling 0
		.amdhsa_exception_fp_ieee_invalid_op 0
		.amdhsa_exception_fp_denorm_src 0
		.amdhsa_exception_fp_ieee_div_zero 0
		.amdhsa_exception_fp_ieee_overflow 0
		.amdhsa_exception_fp_ieee_underflow 0
		.amdhsa_exception_fp_ieee_inexact 0
		.amdhsa_exception_int_div_zero 0
	.end_amdhsa_kernel
	.section	.text._ZN7rocprim17ROCPRIM_400000_NS6detail17trampoline_kernelINS0_13select_configILj256ELj13ELNS0_17block_load_methodE3ELS4_3ELS4_3ELNS0_20block_scan_algorithmE0ELj4294967295EEENS1_25partition_config_selectorILNS1_17partition_subalgoE4EjNS0_10empty_typeEbEEZZNS1_14partition_implILS8_4ELb0ES6_15HIP_vector_typeIjLj2EENS0_17counting_iteratorIjlEEPS9_SG_NS0_5tupleIJPjSI_NS0_16reverse_iteratorISI_EEEEENSH_IJSG_SG_SG_EEES9_SI_JZNS1_25segmented_radix_sort_implINS0_14default_configELb0EPKlPlSQ_SR_N2at6native12_GLOBAL__N_18offset_tEEE10hipError_tPvRmT1_PNSt15iterator_traitsISZ_E10value_typeET2_T3_PNS10_IS15_E10value_typeET4_jRbjT5_S1B_jjP12ihipStream_tbEUljE_ZNSN_ISO_Lb0ESQ_SR_SQ_SR_SV_EESW_SX_SY_SZ_S13_S14_S15_S18_S19_jS1A_jS1B_S1B_jjS1D_bEUljE0_EEESW_SX_SY_S15_S19_S1B_T6_T7_T9_mT8_S1D_bDpT10_ENKUlT_T0_E_clISt17integral_constantIbLb1EES1Q_IbLb0EEEEDaS1M_S1N_EUlS1M_E_NS1_11comp_targetILNS1_3genE4ELNS1_11target_archE910ELNS1_3gpuE8ELNS1_3repE0EEENS1_30default_config_static_selectorELNS0_4arch9wavefront6targetE0EEEvSZ_,"axG",@progbits,_ZN7rocprim17ROCPRIM_400000_NS6detail17trampoline_kernelINS0_13select_configILj256ELj13ELNS0_17block_load_methodE3ELS4_3ELS4_3ELNS0_20block_scan_algorithmE0ELj4294967295EEENS1_25partition_config_selectorILNS1_17partition_subalgoE4EjNS0_10empty_typeEbEEZZNS1_14partition_implILS8_4ELb0ES6_15HIP_vector_typeIjLj2EENS0_17counting_iteratorIjlEEPS9_SG_NS0_5tupleIJPjSI_NS0_16reverse_iteratorISI_EEEEENSH_IJSG_SG_SG_EEES9_SI_JZNS1_25segmented_radix_sort_implINS0_14default_configELb0EPKlPlSQ_SR_N2at6native12_GLOBAL__N_18offset_tEEE10hipError_tPvRmT1_PNSt15iterator_traitsISZ_E10value_typeET2_T3_PNS10_IS15_E10value_typeET4_jRbjT5_S1B_jjP12ihipStream_tbEUljE_ZNSN_ISO_Lb0ESQ_SR_SQ_SR_SV_EESW_SX_SY_SZ_S13_S14_S15_S18_S19_jS1A_jS1B_S1B_jjS1D_bEUljE0_EEESW_SX_SY_S15_S19_S1B_T6_T7_T9_mT8_S1D_bDpT10_ENKUlT_T0_E_clISt17integral_constantIbLb1EES1Q_IbLb0EEEEDaS1M_S1N_EUlS1M_E_NS1_11comp_targetILNS1_3genE4ELNS1_11target_archE910ELNS1_3gpuE8ELNS1_3repE0EEENS1_30default_config_static_selectorELNS0_4arch9wavefront6targetE0EEEvSZ_,comdat
.Lfunc_end757:
	.size	_ZN7rocprim17ROCPRIM_400000_NS6detail17trampoline_kernelINS0_13select_configILj256ELj13ELNS0_17block_load_methodE3ELS4_3ELS4_3ELNS0_20block_scan_algorithmE0ELj4294967295EEENS1_25partition_config_selectorILNS1_17partition_subalgoE4EjNS0_10empty_typeEbEEZZNS1_14partition_implILS8_4ELb0ES6_15HIP_vector_typeIjLj2EENS0_17counting_iteratorIjlEEPS9_SG_NS0_5tupleIJPjSI_NS0_16reverse_iteratorISI_EEEEENSH_IJSG_SG_SG_EEES9_SI_JZNS1_25segmented_radix_sort_implINS0_14default_configELb0EPKlPlSQ_SR_N2at6native12_GLOBAL__N_18offset_tEEE10hipError_tPvRmT1_PNSt15iterator_traitsISZ_E10value_typeET2_T3_PNS10_IS15_E10value_typeET4_jRbjT5_S1B_jjP12ihipStream_tbEUljE_ZNSN_ISO_Lb0ESQ_SR_SQ_SR_SV_EESW_SX_SY_SZ_S13_S14_S15_S18_S19_jS1A_jS1B_S1B_jjS1D_bEUljE0_EEESW_SX_SY_S15_S19_S1B_T6_T7_T9_mT8_S1D_bDpT10_ENKUlT_T0_E_clISt17integral_constantIbLb1EES1Q_IbLb0EEEEDaS1M_S1N_EUlS1M_E_NS1_11comp_targetILNS1_3genE4ELNS1_11target_archE910ELNS1_3gpuE8ELNS1_3repE0EEENS1_30default_config_static_selectorELNS0_4arch9wavefront6targetE0EEEvSZ_, .Lfunc_end757-_ZN7rocprim17ROCPRIM_400000_NS6detail17trampoline_kernelINS0_13select_configILj256ELj13ELNS0_17block_load_methodE3ELS4_3ELS4_3ELNS0_20block_scan_algorithmE0ELj4294967295EEENS1_25partition_config_selectorILNS1_17partition_subalgoE4EjNS0_10empty_typeEbEEZZNS1_14partition_implILS8_4ELb0ES6_15HIP_vector_typeIjLj2EENS0_17counting_iteratorIjlEEPS9_SG_NS0_5tupleIJPjSI_NS0_16reverse_iteratorISI_EEEEENSH_IJSG_SG_SG_EEES9_SI_JZNS1_25segmented_radix_sort_implINS0_14default_configELb0EPKlPlSQ_SR_N2at6native12_GLOBAL__N_18offset_tEEE10hipError_tPvRmT1_PNSt15iterator_traitsISZ_E10value_typeET2_T3_PNS10_IS15_E10value_typeET4_jRbjT5_S1B_jjP12ihipStream_tbEUljE_ZNSN_ISO_Lb0ESQ_SR_SQ_SR_SV_EESW_SX_SY_SZ_S13_S14_S15_S18_S19_jS1A_jS1B_S1B_jjS1D_bEUljE0_EEESW_SX_SY_S15_S19_S1B_T6_T7_T9_mT8_S1D_bDpT10_ENKUlT_T0_E_clISt17integral_constantIbLb1EES1Q_IbLb0EEEEDaS1M_S1N_EUlS1M_E_NS1_11comp_targetILNS1_3genE4ELNS1_11target_archE910ELNS1_3gpuE8ELNS1_3repE0EEENS1_30default_config_static_selectorELNS0_4arch9wavefront6targetE0EEEvSZ_
                                        ; -- End function
	.set _ZN7rocprim17ROCPRIM_400000_NS6detail17trampoline_kernelINS0_13select_configILj256ELj13ELNS0_17block_load_methodE3ELS4_3ELS4_3ELNS0_20block_scan_algorithmE0ELj4294967295EEENS1_25partition_config_selectorILNS1_17partition_subalgoE4EjNS0_10empty_typeEbEEZZNS1_14partition_implILS8_4ELb0ES6_15HIP_vector_typeIjLj2EENS0_17counting_iteratorIjlEEPS9_SG_NS0_5tupleIJPjSI_NS0_16reverse_iteratorISI_EEEEENSH_IJSG_SG_SG_EEES9_SI_JZNS1_25segmented_radix_sort_implINS0_14default_configELb0EPKlPlSQ_SR_N2at6native12_GLOBAL__N_18offset_tEEE10hipError_tPvRmT1_PNSt15iterator_traitsISZ_E10value_typeET2_T3_PNS10_IS15_E10value_typeET4_jRbjT5_S1B_jjP12ihipStream_tbEUljE_ZNSN_ISO_Lb0ESQ_SR_SQ_SR_SV_EESW_SX_SY_SZ_S13_S14_S15_S18_S19_jS1A_jS1B_S1B_jjS1D_bEUljE0_EEESW_SX_SY_S15_S19_S1B_T6_T7_T9_mT8_S1D_bDpT10_ENKUlT_T0_E_clISt17integral_constantIbLb1EES1Q_IbLb0EEEEDaS1M_S1N_EUlS1M_E_NS1_11comp_targetILNS1_3genE4ELNS1_11target_archE910ELNS1_3gpuE8ELNS1_3repE0EEENS1_30default_config_static_selectorELNS0_4arch9wavefront6targetE0EEEvSZ_.num_vgpr, 0
	.set _ZN7rocprim17ROCPRIM_400000_NS6detail17trampoline_kernelINS0_13select_configILj256ELj13ELNS0_17block_load_methodE3ELS4_3ELS4_3ELNS0_20block_scan_algorithmE0ELj4294967295EEENS1_25partition_config_selectorILNS1_17partition_subalgoE4EjNS0_10empty_typeEbEEZZNS1_14partition_implILS8_4ELb0ES6_15HIP_vector_typeIjLj2EENS0_17counting_iteratorIjlEEPS9_SG_NS0_5tupleIJPjSI_NS0_16reverse_iteratorISI_EEEEENSH_IJSG_SG_SG_EEES9_SI_JZNS1_25segmented_radix_sort_implINS0_14default_configELb0EPKlPlSQ_SR_N2at6native12_GLOBAL__N_18offset_tEEE10hipError_tPvRmT1_PNSt15iterator_traitsISZ_E10value_typeET2_T3_PNS10_IS15_E10value_typeET4_jRbjT5_S1B_jjP12ihipStream_tbEUljE_ZNSN_ISO_Lb0ESQ_SR_SQ_SR_SV_EESW_SX_SY_SZ_S13_S14_S15_S18_S19_jS1A_jS1B_S1B_jjS1D_bEUljE0_EEESW_SX_SY_S15_S19_S1B_T6_T7_T9_mT8_S1D_bDpT10_ENKUlT_T0_E_clISt17integral_constantIbLb1EES1Q_IbLb0EEEEDaS1M_S1N_EUlS1M_E_NS1_11comp_targetILNS1_3genE4ELNS1_11target_archE910ELNS1_3gpuE8ELNS1_3repE0EEENS1_30default_config_static_selectorELNS0_4arch9wavefront6targetE0EEEvSZ_.num_agpr, 0
	.set _ZN7rocprim17ROCPRIM_400000_NS6detail17trampoline_kernelINS0_13select_configILj256ELj13ELNS0_17block_load_methodE3ELS4_3ELS4_3ELNS0_20block_scan_algorithmE0ELj4294967295EEENS1_25partition_config_selectorILNS1_17partition_subalgoE4EjNS0_10empty_typeEbEEZZNS1_14partition_implILS8_4ELb0ES6_15HIP_vector_typeIjLj2EENS0_17counting_iteratorIjlEEPS9_SG_NS0_5tupleIJPjSI_NS0_16reverse_iteratorISI_EEEEENSH_IJSG_SG_SG_EEES9_SI_JZNS1_25segmented_radix_sort_implINS0_14default_configELb0EPKlPlSQ_SR_N2at6native12_GLOBAL__N_18offset_tEEE10hipError_tPvRmT1_PNSt15iterator_traitsISZ_E10value_typeET2_T3_PNS10_IS15_E10value_typeET4_jRbjT5_S1B_jjP12ihipStream_tbEUljE_ZNSN_ISO_Lb0ESQ_SR_SQ_SR_SV_EESW_SX_SY_SZ_S13_S14_S15_S18_S19_jS1A_jS1B_S1B_jjS1D_bEUljE0_EEESW_SX_SY_S15_S19_S1B_T6_T7_T9_mT8_S1D_bDpT10_ENKUlT_T0_E_clISt17integral_constantIbLb1EES1Q_IbLb0EEEEDaS1M_S1N_EUlS1M_E_NS1_11comp_targetILNS1_3genE4ELNS1_11target_archE910ELNS1_3gpuE8ELNS1_3repE0EEENS1_30default_config_static_selectorELNS0_4arch9wavefront6targetE0EEEvSZ_.numbered_sgpr, 0
	.set _ZN7rocprim17ROCPRIM_400000_NS6detail17trampoline_kernelINS0_13select_configILj256ELj13ELNS0_17block_load_methodE3ELS4_3ELS4_3ELNS0_20block_scan_algorithmE0ELj4294967295EEENS1_25partition_config_selectorILNS1_17partition_subalgoE4EjNS0_10empty_typeEbEEZZNS1_14partition_implILS8_4ELb0ES6_15HIP_vector_typeIjLj2EENS0_17counting_iteratorIjlEEPS9_SG_NS0_5tupleIJPjSI_NS0_16reverse_iteratorISI_EEEEENSH_IJSG_SG_SG_EEES9_SI_JZNS1_25segmented_radix_sort_implINS0_14default_configELb0EPKlPlSQ_SR_N2at6native12_GLOBAL__N_18offset_tEEE10hipError_tPvRmT1_PNSt15iterator_traitsISZ_E10value_typeET2_T3_PNS10_IS15_E10value_typeET4_jRbjT5_S1B_jjP12ihipStream_tbEUljE_ZNSN_ISO_Lb0ESQ_SR_SQ_SR_SV_EESW_SX_SY_SZ_S13_S14_S15_S18_S19_jS1A_jS1B_S1B_jjS1D_bEUljE0_EEESW_SX_SY_S15_S19_S1B_T6_T7_T9_mT8_S1D_bDpT10_ENKUlT_T0_E_clISt17integral_constantIbLb1EES1Q_IbLb0EEEEDaS1M_S1N_EUlS1M_E_NS1_11comp_targetILNS1_3genE4ELNS1_11target_archE910ELNS1_3gpuE8ELNS1_3repE0EEENS1_30default_config_static_selectorELNS0_4arch9wavefront6targetE0EEEvSZ_.num_named_barrier, 0
	.set _ZN7rocprim17ROCPRIM_400000_NS6detail17trampoline_kernelINS0_13select_configILj256ELj13ELNS0_17block_load_methodE3ELS4_3ELS4_3ELNS0_20block_scan_algorithmE0ELj4294967295EEENS1_25partition_config_selectorILNS1_17partition_subalgoE4EjNS0_10empty_typeEbEEZZNS1_14partition_implILS8_4ELb0ES6_15HIP_vector_typeIjLj2EENS0_17counting_iteratorIjlEEPS9_SG_NS0_5tupleIJPjSI_NS0_16reverse_iteratorISI_EEEEENSH_IJSG_SG_SG_EEES9_SI_JZNS1_25segmented_radix_sort_implINS0_14default_configELb0EPKlPlSQ_SR_N2at6native12_GLOBAL__N_18offset_tEEE10hipError_tPvRmT1_PNSt15iterator_traitsISZ_E10value_typeET2_T3_PNS10_IS15_E10value_typeET4_jRbjT5_S1B_jjP12ihipStream_tbEUljE_ZNSN_ISO_Lb0ESQ_SR_SQ_SR_SV_EESW_SX_SY_SZ_S13_S14_S15_S18_S19_jS1A_jS1B_S1B_jjS1D_bEUljE0_EEESW_SX_SY_S15_S19_S1B_T6_T7_T9_mT8_S1D_bDpT10_ENKUlT_T0_E_clISt17integral_constantIbLb1EES1Q_IbLb0EEEEDaS1M_S1N_EUlS1M_E_NS1_11comp_targetILNS1_3genE4ELNS1_11target_archE910ELNS1_3gpuE8ELNS1_3repE0EEENS1_30default_config_static_selectorELNS0_4arch9wavefront6targetE0EEEvSZ_.private_seg_size, 0
	.set _ZN7rocprim17ROCPRIM_400000_NS6detail17trampoline_kernelINS0_13select_configILj256ELj13ELNS0_17block_load_methodE3ELS4_3ELS4_3ELNS0_20block_scan_algorithmE0ELj4294967295EEENS1_25partition_config_selectorILNS1_17partition_subalgoE4EjNS0_10empty_typeEbEEZZNS1_14partition_implILS8_4ELb0ES6_15HIP_vector_typeIjLj2EENS0_17counting_iteratorIjlEEPS9_SG_NS0_5tupleIJPjSI_NS0_16reverse_iteratorISI_EEEEENSH_IJSG_SG_SG_EEES9_SI_JZNS1_25segmented_radix_sort_implINS0_14default_configELb0EPKlPlSQ_SR_N2at6native12_GLOBAL__N_18offset_tEEE10hipError_tPvRmT1_PNSt15iterator_traitsISZ_E10value_typeET2_T3_PNS10_IS15_E10value_typeET4_jRbjT5_S1B_jjP12ihipStream_tbEUljE_ZNSN_ISO_Lb0ESQ_SR_SQ_SR_SV_EESW_SX_SY_SZ_S13_S14_S15_S18_S19_jS1A_jS1B_S1B_jjS1D_bEUljE0_EEESW_SX_SY_S15_S19_S1B_T6_T7_T9_mT8_S1D_bDpT10_ENKUlT_T0_E_clISt17integral_constantIbLb1EES1Q_IbLb0EEEEDaS1M_S1N_EUlS1M_E_NS1_11comp_targetILNS1_3genE4ELNS1_11target_archE910ELNS1_3gpuE8ELNS1_3repE0EEENS1_30default_config_static_selectorELNS0_4arch9wavefront6targetE0EEEvSZ_.uses_vcc, 0
	.set _ZN7rocprim17ROCPRIM_400000_NS6detail17trampoline_kernelINS0_13select_configILj256ELj13ELNS0_17block_load_methodE3ELS4_3ELS4_3ELNS0_20block_scan_algorithmE0ELj4294967295EEENS1_25partition_config_selectorILNS1_17partition_subalgoE4EjNS0_10empty_typeEbEEZZNS1_14partition_implILS8_4ELb0ES6_15HIP_vector_typeIjLj2EENS0_17counting_iteratorIjlEEPS9_SG_NS0_5tupleIJPjSI_NS0_16reverse_iteratorISI_EEEEENSH_IJSG_SG_SG_EEES9_SI_JZNS1_25segmented_radix_sort_implINS0_14default_configELb0EPKlPlSQ_SR_N2at6native12_GLOBAL__N_18offset_tEEE10hipError_tPvRmT1_PNSt15iterator_traitsISZ_E10value_typeET2_T3_PNS10_IS15_E10value_typeET4_jRbjT5_S1B_jjP12ihipStream_tbEUljE_ZNSN_ISO_Lb0ESQ_SR_SQ_SR_SV_EESW_SX_SY_SZ_S13_S14_S15_S18_S19_jS1A_jS1B_S1B_jjS1D_bEUljE0_EEESW_SX_SY_S15_S19_S1B_T6_T7_T9_mT8_S1D_bDpT10_ENKUlT_T0_E_clISt17integral_constantIbLb1EES1Q_IbLb0EEEEDaS1M_S1N_EUlS1M_E_NS1_11comp_targetILNS1_3genE4ELNS1_11target_archE910ELNS1_3gpuE8ELNS1_3repE0EEENS1_30default_config_static_selectorELNS0_4arch9wavefront6targetE0EEEvSZ_.uses_flat_scratch, 0
	.set _ZN7rocprim17ROCPRIM_400000_NS6detail17trampoline_kernelINS0_13select_configILj256ELj13ELNS0_17block_load_methodE3ELS4_3ELS4_3ELNS0_20block_scan_algorithmE0ELj4294967295EEENS1_25partition_config_selectorILNS1_17partition_subalgoE4EjNS0_10empty_typeEbEEZZNS1_14partition_implILS8_4ELb0ES6_15HIP_vector_typeIjLj2EENS0_17counting_iteratorIjlEEPS9_SG_NS0_5tupleIJPjSI_NS0_16reverse_iteratorISI_EEEEENSH_IJSG_SG_SG_EEES9_SI_JZNS1_25segmented_radix_sort_implINS0_14default_configELb0EPKlPlSQ_SR_N2at6native12_GLOBAL__N_18offset_tEEE10hipError_tPvRmT1_PNSt15iterator_traitsISZ_E10value_typeET2_T3_PNS10_IS15_E10value_typeET4_jRbjT5_S1B_jjP12ihipStream_tbEUljE_ZNSN_ISO_Lb0ESQ_SR_SQ_SR_SV_EESW_SX_SY_SZ_S13_S14_S15_S18_S19_jS1A_jS1B_S1B_jjS1D_bEUljE0_EEESW_SX_SY_S15_S19_S1B_T6_T7_T9_mT8_S1D_bDpT10_ENKUlT_T0_E_clISt17integral_constantIbLb1EES1Q_IbLb0EEEEDaS1M_S1N_EUlS1M_E_NS1_11comp_targetILNS1_3genE4ELNS1_11target_archE910ELNS1_3gpuE8ELNS1_3repE0EEENS1_30default_config_static_selectorELNS0_4arch9wavefront6targetE0EEEvSZ_.has_dyn_sized_stack, 0
	.set _ZN7rocprim17ROCPRIM_400000_NS6detail17trampoline_kernelINS0_13select_configILj256ELj13ELNS0_17block_load_methodE3ELS4_3ELS4_3ELNS0_20block_scan_algorithmE0ELj4294967295EEENS1_25partition_config_selectorILNS1_17partition_subalgoE4EjNS0_10empty_typeEbEEZZNS1_14partition_implILS8_4ELb0ES6_15HIP_vector_typeIjLj2EENS0_17counting_iteratorIjlEEPS9_SG_NS0_5tupleIJPjSI_NS0_16reverse_iteratorISI_EEEEENSH_IJSG_SG_SG_EEES9_SI_JZNS1_25segmented_radix_sort_implINS0_14default_configELb0EPKlPlSQ_SR_N2at6native12_GLOBAL__N_18offset_tEEE10hipError_tPvRmT1_PNSt15iterator_traitsISZ_E10value_typeET2_T3_PNS10_IS15_E10value_typeET4_jRbjT5_S1B_jjP12ihipStream_tbEUljE_ZNSN_ISO_Lb0ESQ_SR_SQ_SR_SV_EESW_SX_SY_SZ_S13_S14_S15_S18_S19_jS1A_jS1B_S1B_jjS1D_bEUljE0_EEESW_SX_SY_S15_S19_S1B_T6_T7_T9_mT8_S1D_bDpT10_ENKUlT_T0_E_clISt17integral_constantIbLb1EES1Q_IbLb0EEEEDaS1M_S1N_EUlS1M_E_NS1_11comp_targetILNS1_3genE4ELNS1_11target_archE910ELNS1_3gpuE8ELNS1_3repE0EEENS1_30default_config_static_selectorELNS0_4arch9wavefront6targetE0EEEvSZ_.has_recursion, 0
	.set _ZN7rocprim17ROCPRIM_400000_NS6detail17trampoline_kernelINS0_13select_configILj256ELj13ELNS0_17block_load_methodE3ELS4_3ELS4_3ELNS0_20block_scan_algorithmE0ELj4294967295EEENS1_25partition_config_selectorILNS1_17partition_subalgoE4EjNS0_10empty_typeEbEEZZNS1_14partition_implILS8_4ELb0ES6_15HIP_vector_typeIjLj2EENS0_17counting_iteratorIjlEEPS9_SG_NS0_5tupleIJPjSI_NS0_16reverse_iteratorISI_EEEEENSH_IJSG_SG_SG_EEES9_SI_JZNS1_25segmented_radix_sort_implINS0_14default_configELb0EPKlPlSQ_SR_N2at6native12_GLOBAL__N_18offset_tEEE10hipError_tPvRmT1_PNSt15iterator_traitsISZ_E10value_typeET2_T3_PNS10_IS15_E10value_typeET4_jRbjT5_S1B_jjP12ihipStream_tbEUljE_ZNSN_ISO_Lb0ESQ_SR_SQ_SR_SV_EESW_SX_SY_SZ_S13_S14_S15_S18_S19_jS1A_jS1B_S1B_jjS1D_bEUljE0_EEESW_SX_SY_S15_S19_S1B_T6_T7_T9_mT8_S1D_bDpT10_ENKUlT_T0_E_clISt17integral_constantIbLb1EES1Q_IbLb0EEEEDaS1M_S1N_EUlS1M_E_NS1_11comp_targetILNS1_3genE4ELNS1_11target_archE910ELNS1_3gpuE8ELNS1_3repE0EEENS1_30default_config_static_selectorELNS0_4arch9wavefront6targetE0EEEvSZ_.has_indirect_call, 0
	.section	.AMDGPU.csdata,"",@progbits
; Kernel info:
; codeLenInByte = 0
; TotalNumSgprs: 0
; NumVgprs: 0
; ScratchSize: 0
; MemoryBound: 0
; FloatMode: 240
; IeeeMode: 1
; LDSByteSize: 0 bytes/workgroup (compile time only)
; SGPRBlocks: 0
; VGPRBlocks: 0
; NumSGPRsForWavesPerEU: 1
; NumVGPRsForWavesPerEU: 1
; NamedBarCnt: 0
; Occupancy: 16
; WaveLimiterHint : 0
; COMPUTE_PGM_RSRC2:SCRATCH_EN: 0
; COMPUTE_PGM_RSRC2:USER_SGPR: 2
; COMPUTE_PGM_RSRC2:TRAP_HANDLER: 0
; COMPUTE_PGM_RSRC2:TGID_X_EN: 1
; COMPUTE_PGM_RSRC2:TGID_Y_EN: 0
; COMPUTE_PGM_RSRC2:TGID_Z_EN: 0
; COMPUTE_PGM_RSRC2:TIDIG_COMP_CNT: 0
	.section	.text._ZN7rocprim17ROCPRIM_400000_NS6detail17trampoline_kernelINS0_13select_configILj256ELj13ELNS0_17block_load_methodE3ELS4_3ELS4_3ELNS0_20block_scan_algorithmE0ELj4294967295EEENS1_25partition_config_selectorILNS1_17partition_subalgoE4EjNS0_10empty_typeEbEEZZNS1_14partition_implILS8_4ELb0ES6_15HIP_vector_typeIjLj2EENS0_17counting_iteratorIjlEEPS9_SG_NS0_5tupleIJPjSI_NS0_16reverse_iteratorISI_EEEEENSH_IJSG_SG_SG_EEES9_SI_JZNS1_25segmented_radix_sort_implINS0_14default_configELb0EPKlPlSQ_SR_N2at6native12_GLOBAL__N_18offset_tEEE10hipError_tPvRmT1_PNSt15iterator_traitsISZ_E10value_typeET2_T3_PNS10_IS15_E10value_typeET4_jRbjT5_S1B_jjP12ihipStream_tbEUljE_ZNSN_ISO_Lb0ESQ_SR_SQ_SR_SV_EESW_SX_SY_SZ_S13_S14_S15_S18_S19_jS1A_jS1B_S1B_jjS1D_bEUljE0_EEESW_SX_SY_S15_S19_S1B_T6_T7_T9_mT8_S1D_bDpT10_ENKUlT_T0_E_clISt17integral_constantIbLb1EES1Q_IbLb0EEEEDaS1M_S1N_EUlS1M_E_NS1_11comp_targetILNS1_3genE3ELNS1_11target_archE908ELNS1_3gpuE7ELNS1_3repE0EEENS1_30default_config_static_selectorELNS0_4arch9wavefront6targetE0EEEvSZ_,"axG",@progbits,_ZN7rocprim17ROCPRIM_400000_NS6detail17trampoline_kernelINS0_13select_configILj256ELj13ELNS0_17block_load_methodE3ELS4_3ELS4_3ELNS0_20block_scan_algorithmE0ELj4294967295EEENS1_25partition_config_selectorILNS1_17partition_subalgoE4EjNS0_10empty_typeEbEEZZNS1_14partition_implILS8_4ELb0ES6_15HIP_vector_typeIjLj2EENS0_17counting_iteratorIjlEEPS9_SG_NS0_5tupleIJPjSI_NS0_16reverse_iteratorISI_EEEEENSH_IJSG_SG_SG_EEES9_SI_JZNS1_25segmented_radix_sort_implINS0_14default_configELb0EPKlPlSQ_SR_N2at6native12_GLOBAL__N_18offset_tEEE10hipError_tPvRmT1_PNSt15iterator_traitsISZ_E10value_typeET2_T3_PNS10_IS15_E10value_typeET4_jRbjT5_S1B_jjP12ihipStream_tbEUljE_ZNSN_ISO_Lb0ESQ_SR_SQ_SR_SV_EESW_SX_SY_SZ_S13_S14_S15_S18_S19_jS1A_jS1B_S1B_jjS1D_bEUljE0_EEESW_SX_SY_S15_S19_S1B_T6_T7_T9_mT8_S1D_bDpT10_ENKUlT_T0_E_clISt17integral_constantIbLb1EES1Q_IbLb0EEEEDaS1M_S1N_EUlS1M_E_NS1_11comp_targetILNS1_3genE3ELNS1_11target_archE908ELNS1_3gpuE7ELNS1_3repE0EEENS1_30default_config_static_selectorELNS0_4arch9wavefront6targetE0EEEvSZ_,comdat
	.globl	_ZN7rocprim17ROCPRIM_400000_NS6detail17trampoline_kernelINS0_13select_configILj256ELj13ELNS0_17block_load_methodE3ELS4_3ELS4_3ELNS0_20block_scan_algorithmE0ELj4294967295EEENS1_25partition_config_selectorILNS1_17partition_subalgoE4EjNS0_10empty_typeEbEEZZNS1_14partition_implILS8_4ELb0ES6_15HIP_vector_typeIjLj2EENS0_17counting_iteratorIjlEEPS9_SG_NS0_5tupleIJPjSI_NS0_16reverse_iteratorISI_EEEEENSH_IJSG_SG_SG_EEES9_SI_JZNS1_25segmented_radix_sort_implINS0_14default_configELb0EPKlPlSQ_SR_N2at6native12_GLOBAL__N_18offset_tEEE10hipError_tPvRmT1_PNSt15iterator_traitsISZ_E10value_typeET2_T3_PNS10_IS15_E10value_typeET4_jRbjT5_S1B_jjP12ihipStream_tbEUljE_ZNSN_ISO_Lb0ESQ_SR_SQ_SR_SV_EESW_SX_SY_SZ_S13_S14_S15_S18_S19_jS1A_jS1B_S1B_jjS1D_bEUljE0_EEESW_SX_SY_S15_S19_S1B_T6_T7_T9_mT8_S1D_bDpT10_ENKUlT_T0_E_clISt17integral_constantIbLb1EES1Q_IbLb0EEEEDaS1M_S1N_EUlS1M_E_NS1_11comp_targetILNS1_3genE3ELNS1_11target_archE908ELNS1_3gpuE7ELNS1_3repE0EEENS1_30default_config_static_selectorELNS0_4arch9wavefront6targetE0EEEvSZ_ ; -- Begin function _ZN7rocprim17ROCPRIM_400000_NS6detail17trampoline_kernelINS0_13select_configILj256ELj13ELNS0_17block_load_methodE3ELS4_3ELS4_3ELNS0_20block_scan_algorithmE0ELj4294967295EEENS1_25partition_config_selectorILNS1_17partition_subalgoE4EjNS0_10empty_typeEbEEZZNS1_14partition_implILS8_4ELb0ES6_15HIP_vector_typeIjLj2EENS0_17counting_iteratorIjlEEPS9_SG_NS0_5tupleIJPjSI_NS0_16reverse_iteratorISI_EEEEENSH_IJSG_SG_SG_EEES9_SI_JZNS1_25segmented_radix_sort_implINS0_14default_configELb0EPKlPlSQ_SR_N2at6native12_GLOBAL__N_18offset_tEEE10hipError_tPvRmT1_PNSt15iterator_traitsISZ_E10value_typeET2_T3_PNS10_IS15_E10value_typeET4_jRbjT5_S1B_jjP12ihipStream_tbEUljE_ZNSN_ISO_Lb0ESQ_SR_SQ_SR_SV_EESW_SX_SY_SZ_S13_S14_S15_S18_S19_jS1A_jS1B_S1B_jjS1D_bEUljE0_EEESW_SX_SY_S15_S19_S1B_T6_T7_T9_mT8_S1D_bDpT10_ENKUlT_T0_E_clISt17integral_constantIbLb1EES1Q_IbLb0EEEEDaS1M_S1N_EUlS1M_E_NS1_11comp_targetILNS1_3genE3ELNS1_11target_archE908ELNS1_3gpuE7ELNS1_3repE0EEENS1_30default_config_static_selectorELNS0_4arch9wavefront6targetE0EEEvSZ_
	.p2align	8
	.type	_ZN7rocprim17ROCPRIM_400000_NS6detail17trampoline_kernelINS0_13select_configILj256ELj13ELNS0_17block_load_methodE3ELS4_3ELS4_3ELNS0_20block_scan_algorithmE0ELj4294967295EEENS1_25partition_config_selectorILNS1_17partition_subalgoE4EjNS0_10empty_typeEbEEZZNS1_14partition_implILS8_4ELb0ES6_15HIP_vector_typeIjLj2EENS0_17counting_iteratorIjlEEPS9_SG_NS0_5tupleIJPjSI_NS0_16reverse_iteratorISI_EEEEENSH_IJSG_SG_SG_EEES9_SI_JZNS1_25segmented_radix_sort_implINS0_14default_configELb0EPKlPlSQ_SR_N2at6native12_GLOBAL__N_18offset_tEEE10hipError_tPvRmT1_PNSt15iterator_traitsISZ_E10value_typeET2_T3_PNS10_IS15_E10value_typeET4_jRbjT5_S1B_jjP12ihipStream_tbEUljE_ZNSN_ISO_Lb0ESQ_SR_SQ_SR_SV_EESW_SX_SY_SZ_S13_S14_S15_S18_S19_jS1A_jS1B_S1B_jjS1D_bEUljE0_EEESW_SX_SY_S15_S19_S1B_T6_T7_T9_mT8_S1D_bDpT10_ENKUlT_T0_E_clISt17integral_constantIbLb1EES1Q_IbLb0EEEEDaS1M_S1N_EUlS1M_E_NS1_11comp_targetILNS1_3genE3ELNS1_11target_archE908ELNS1_3gpuE7ELNS1_3repE0EEENS1_30default_config_static_selectorELNS0_4arch9wavefront6targetE0EEEvSZ_,@function
_ZN7rocprim17ROCPRIM_400000_NS6detail17trampoline_kernelINS0_13select_configILj256ELj13ELNS0_17block_load_methodE3ELS4_3ELS4_3ELNS0_20block_scan_algorithmE0ELj4294967295EEENS1_25partition_config_selectorILNS1_17partition_subalgoE4EjNS0_10empty_typeEbEEZZNS1_14partition_implILS8_4ELb0ES6_15HIP_vector_typeIjLj2EENS0_17counting_iteratorIjlEEPS9_SG_NS0_5tupleIJPjSI_NS0_16reverse_iteratorISI_EEEEENSH_IJSG_SG_SG_EEES9_SI_JZNS1_25segmented_radix_sort_implINS0_14default_configELb0EPKlPlSQ_SR_N2at6native12_GLOBAL__N_18offset_tEEE10hipError_tPvRmT1_PNSt15iterator_traitsISZ_E10value_typeET2_T3_PNS10_IS15_E10value_typeET4_jRbjT5_S1B_jjP12ihipStream_tbEUljE_ZNSN_ISO_Lb0ESQ_SR_SQ_SR_SV_EESW_SX_SY_SZ_S13_S14_S15_S18_S19_jS1A_jS1B_S1B_jjS1D_bEUljE0_EEESW_SX_SY_S15_S19_S1B_T6_T7_T9_mT8_S1D_bDpT10_ENKUlT_T0_E_clISt17integral_constantIbLb1EES1Q_IbLb0EEEEDaS1M_S1N_EUlS1M_E_NS1_11comp_targetILNS1_3genE3ELNS1_11target_archE908ELNS1_3gpuE7ELNS1_3repE0EEENS1_30default_config_static_selectorELNS0_4arch9wavefront6targetE0EEEvSZ_: ; @_ZN7rocprim17ROCPRIM_400000_NS6detail17trampoline_kernelINS0_13select_configILj256ELj13ELNS0_17block_load_methodE3ELS4_3ELS4_3ELNS0_20block_scan_algorithmE0ELj4294967295EEENS1_25partition_config_selectorILNS1_17partition_subalgoE4EjNS0_10empty_typeEbEEZZNS1_14partition_implILS8_4ELb0ES6_15HIP_vector_typeIjLj2EENS0_17counting_iteratorIjlEEPS9_SG_NS0_5tupleIJPjSI_NS0_16reverse_iteratorISI_EEEEENSH_IJSG_SG_SG_EEES9_SI_JZNS1_25segmented_radix_sort_implINS0_14default_configELb0EPKlPlSQ_SR_N2at6native12_GLOBAL__N_18offset_tEEE10hipError_tPvRmT1_PNSt15iterator_traitsISZ_E10value_typeET2_T3_PNS10_IS15_E10value_typeET4_jRbjT5_S1B_jjP12ihipStream_tbEUljE_ZNSN_ISO_Lb0ESQ_SR_SQ_SR_SV_EESW_SX_SY_SZ_S13_S14_S15_S18_S19_jS1A_jS1B_S1B_jjS1D_bEUljE0_EEESW_SX_SY_S15_S19_S1B_T6_T7_T9_mT8_S1D_bDpT10_ENKUlT_T0_E_clISt17integral_constantIbLb1EES1Q_IbLb0EEEEDaS1M_S1N_EUlS1M_E_NS1_11comp_targetILNS1_3genE3ELNS1_11target_archE908ELNS1_3gpuE7ELNS1_3repE0EEENS1_30default_config_static_selectorELNS0_4arch9wavefront6targetE0EEEvSZ_
; %bb.0:
	.section	.rodata,"a",@progbits
	.p2align	6, 0x0
	.amdhsa_kernel _ZN7rocprim17ROCPRIM_400000_NS6detail17trampoline_kernelINS0_13select_configILj256ELj13ELNS0_17block_load_methodE3ELS4_3ELS4_3ELNS0_20block_scan_algorithmE0ELj4294967295EEENS1_25partition_config_selectorILNS1_17partition_subalgoE4EjNS0_10empty_typeEbEEZZNS1_14partition_implILS8_4ELb0ES6_15HIP_vector_typeIjLj2EENS0_17counting_iteratorIjlEEPS9_SG_NS0_5tupleIJPjSI_NS0_16reverse_iteratorISI_EEEEENSH_IJSG_SG_SG_EEES9_SI_JZNS1_25segmented_radix_sort_implINS0_14default_configELb0EPKlPlSQ_SR_N2at6native12_GLOBAL__N_18offset_tEEE10hipError_tPvRmT1_PNSt15iterator_traitsISZ_E10value_typeET2_T3_PNS10_IS15_E10value_typeET4_jRbjT5_S1B_jjP12ihipStream_tbEUljE_ZNSN_ISO_Lb0ESQ_SR_SQ_SR_SV_EESW_SX_SY_SZ_S13_S14_S15_S18_S19_jS1A_jS1B_S1B_jjS1D_bEUljE0_EEESW_SX_SY_S15_S19_S1B_T6_T7_T9_mT8_S1D_bDpT10_ENKUlT_T0_E_clISt17integral_constantIbLb1EES1Q_IbLb0EEEEDaS1M_S1N_EUlS1M_E_NS1_11comp_targetILNS1_3genE3ELNS1_11target_archE908ELNS1_3gpuE7ELNS1_3repE0EEENS1_30default_config_static_selectorELNS0_4arch9wavefront6targetE0EEEvSZ_
		.amdhsa_group_segment_fixed_size 0
		.amdhsa_private_segment_fixed_size 0
		.amdhsa_kernarg_size 176
		.amdhsa_user_sgpr_count 2
		.amdhsa_user_sgpr_dispatch_ptr 0
		.amdhsa_user_sgpr_queue_ptr 0
		.amdhsa_user_sgpr_kernarg_segment_ptr 1
		.amdhsa_user_sgpr_dispatch_id 0
		.amdhsa_user_sgpr_kernarg_preload_length 0
		.amdhsa_user_sgpr_kernarg_preload_offset 0
		.amdhsa_user_sgpr_private_segment_size 0
		.amdhsa_wavefront_size32 1
		.amdhsa_uses_dynamic_stack 0
		.amdhsa_enable_private_segment 0
		.amdhsa_system_sgpr_workgroup_id_x 1
		.amdhsa_system_sgpr_workgroup_id_y 0
		.amdhsa_system_sgpr_workgroup_id_z 0
		.amdhsa_system_sgpr_workgroup_info 0
		.amdhsa_system_vgpr_workitem_id 0
		.amdhsa_next_free_vgpr 1
		.amdhsa_next_free_sgpr 1
		.amdhsa_named_barrier_count 0
		.amdhsa_reserve_vcc 0
		.amdhsa_float_round_mode_32 0
		.amdhsa_float_round_mode_16_64 0
		.amdhsa_float_denorm_mode_32 3
		.amdhsa_float_denorm_mode_16_64 3
		.amdhsa_fp16_overflow 0
		.amdhsa_memory_ordered 1
		.amdhsa_forward_progress 1
		.amdhsa_inst_pref_size 0
		.amdhsa_round_robin_scheduling 0
		.amdhsa_exception_fp_ieee_invalid_op 0
		.amdhsa_exception_fp_denorm_src 0
		.amdhsa_exception_fp_ieee_div_zero 0
		.amdhsa_exception_fp_ieee_overflow 0
		.amdhsa_exception_fp_ieee_underflow 0
		.amdhsa_exception_fp_ieee_inexact 0
		.amdhsa_exception_int_div_zero 0
	.end_amdhsa_kernel
	.section	.text._ZN7rocprim17ROCPRIM_400000_NS6detail17trampoline_kernelINS0_13select_configILj256ELj13ELNS0_17block_load_methodE3ELS4_3ELS4_3ELNS0_20block_scan_algorithmE0ELj4294967295EEENS1_25partition_config_selectorILNS1_17partition_subalgoE4EjNS0_10empty_typeEbEEZZNS1_14partition_implILS8_4ELb0ES6_15HIP_vector_typeIjLj2EENS0_17counting_iteratorIjlEEPS9_SG_NS0_5tupleIJPjSI_NS0_16reverse_iteratorISI_EEEEENSH_IJSG_SG_SG_EEES9_SI_JZNS1_25segmented_radix_sort_implINS0_14default_configELb0EPKlPlSQ_SR_N2at6native12_GLOBAL__N_18offset_tEEE10hipError_tPvRmT1_PNSt15iterator_traitsISZ_E10value_typeET2_T3_PNS10_IS15_E10value_typeET4_jRbjT5_S1B_jjP12ihipStream_tbEUljE_ZNSN_ISO_Lb0ESQ_SR_SQ_SR_SV_EESW_SX_SY_SZ_S13_S14_S15_S18_S19_jS1A_jS1B_S1B_jjS1D_bEUljE0_EEESW_SX_SY_S15_S19_S1B_T6_T7_T9_mT8_S1D_bDpT10_ENKUlT_T0_E_clISt17integral_constantIbLb1EES1Q_IbLb0EEEEDaS1M_S1N_EUlS1M_E_NS1_11comp_targetILNS1_3genE3ELNS1_11target_archE908ELNS1_3gpuE7ELNS1_3repE0EEENS1_30default_config_static_selectorELNS0_4arch9wavefront6targetE0EEEvSZ_,"axG",@progbits,_ZN7rocprim17ROCPRIM_400000_NS6detail17trampoline_kernelINS0_13select_configILj256ELj13ELNS0_17block_load_methodE3ELS4_3ELS4_3ELNS0_20block_scan_algorithmE0ELj4294967295EEENS1_25partition_config_selectorILNS1_17partition_subalgoE4EjNS0_10empty_typeEbEEZZNS1_14partition_implILS8_4ELb0ES6_15HIP_vector_typeIjLj2EENS0_17counting_iteratorIjlEEPS9_SG_NS0_5tupleIJPjSI_NS0_16reverse_iteratorISI_EEEEENSH_IJSG_SG_SG_EEES9_SI_JZNS1_25segmented_radix_sort_implINS0_14default_configELb0EPKlPlSQ_SR_N2at6native12_GLOBAL__N_18offset_tEEE10hipError_tPvRmT1_PNSt15iterator_traitsISZ_E10value_typeET2_T3_PNS10_IS15_E10value_typeET4_jRbjT5_S1B_jjP12ihipStream_tbEUljE_ZNSN_ISO_Lb0ESQ_SR_SQ_SR_SV_EESW_SX_SY_SZ_S13_S14_S15_S18_S19_jS1A_jS1B_S1B_jjS1D_bEUljE0_EEESW_SX_SY_S15_S19_S1B_T6_T7_T9_mT8_S1D_bDpT10_ENKUlT_T0_E_clISt17integral_constantIbLb1EES1Q_IbLb0EEEEDaS1M_S1N_EUlS1M_E_NS1_11comp_targetILNS1_3genE3ELNS1_11target_archE908ELNS1_3gpuE7ELNS1_3repE0EEENS1_30default_config_static_selectorELNS0_4arch9wavefront6targetE0EEEvSZ_,comdat
.Lfunc_end758:
	.size	_ZN7rocprim17ROCPRIM_400000_NS6detail17trampoline_kernelINS0_13select_configILj256ELj13ELNS0_17block_load_methodE3ELS4_3ELS4_3ELNS0_20block_scan_algorithmE0ELj4294967295EEENS1_25partition_config_selectorILNS1_17partition_subalgoE4EjNS0_10empty_typeEbEEZZNS1_14partition_implILS8_4ELb0ES6_15HIP_vector_typeIjLj2EENS0_17counting_iteratorIjlEEPS9_SG_NS0_5tupleIJPjSI_NS0_16reverse_iteratorISI_EEEEENSH_IJSG_SG_SG_EEES9_SI_JZNS1_25segmented_radix_sort_implINS0_14default_configELb0EPKlPlSQ_SR_N2at6native12_GLOBAL__N_18offset_tEEE10hipError_tPvRmT1_PNSt15iterator_traitsISZ_E10value_typeET2_T3_PNS10_IS15_E10value_typeET4_jRbjT5_S1B_jjP12ihipStream_tbEUljE_ZNSN_ISO_Lb0ESQ_SR_SQ_SR_SV_EESW_SX_SY_SZ_S13_S14_S15_S18_S19_jS1A_jS1B_S1B_jjS1D_bEUljE0_EEESW_SX_SY_S15_S19_S1B_T6_T7_T9_mT8_S1D_bDpT10_ENKUlT_T0_E_clISt17integral_constantIbLb1EES1Q_IbLb0EEEEDaS1M_S1N_EUlS1M_E_NS1_11comp_targetILNS1_3genE3ELNS1_11target_archE908ELNS1_3gpuE7ELNS1_3repE0EEENS1_30default_config_static_selectorELNS0_4arch9wavefront6targetE0EEEvSZ_, .Lfunc_end758-_ZN7rocprim17ROCPRIM_400000_NS6detail17trampoline_kernelINS0_13select_configILj256ELj13ELNS0_17block_load_methodE3ELS4_3ELS4_3ELNS0_20block_scan_algorithmE0ELj4294967295EEENS1_25partition_config_selectorILNS1_17partition_subalgoE4EjNS0_10empty_typeEbEEZZNS1_14partition_implILS8_4ELb0ES6_15HIP_vector_typeIjLj2EENS0_17counting_iteratorIjlEEPS9_SG_NS0_5tupleIJPjSI_NS0_16reverse_iteratorISI_EEEEENSH_IJSG_SG_SG_EEES9_SI_JZNS1_25segmented_radix_sort_implINS0_14default_configELb0EPKlPlSQ_SR_N2at6native12_GLOBAL__N_18offset_tEEE10hipError_tPvRmT1_PNSt15iterator_traitsISZ_E10value_typeET2_T3_PNS10_IS15_E10value_typeET4_jRbjT5_S1B_jjP12ihipStream_tbEUljE_ZNSN_ISO_Lb0ESQ_SR_SQ_SR_SV_EESW_SX_SY_SZ_S13_S14_S15_S18_S19_jS1A_jS1B_S1B_jjS1D_bEUljE0_EEESW_SX_SY_S15_S19_S1B_T6_T7_T9_mT8_S1D_bDpT10_ENKUlT_T0_E_clISt17integral_constantIbLb1EES1Q_IbLb0EEEEDaS1M_S1N_EUlS1M_E_NS1_11comp_targetILNS1_3genE3ELNS1_11target_archE908ELNS1_3gpuE7ELNS1_3repE0EEENS1_30default_config_static_selectorELNS0_4arch9wavefront6targetE0EEEvSZ_
                                        ; -- End function
	.set _ZN7rocprim17ROCPRIM_400000_NS6detail17trampoline_kernelINS0_13select_configILj256ELj13ELNS0_17block_load_methodE3ELS4_3ELS4_3ELNS0_20block_scan_algorithmE0ELj4294967295EEENS1_25partition_config_selectorILNS1_17partition_subalgoE4EjNS0_10empty_typeEbEEZZNS1_14partition_implILS8_4ELb0ES6_15HIP_vector_typeIjLj2EENS0_17counting_iteratorIjlEEPS9_SG_NS0_5tupleIJPjSI_NS0_16reverse_iteratorISI_EEEEENSH_IJSG_SG_SG_EEES9_SI_JZNS1_25segmented_radix_sort_implINS0_14default_configELb0EPKlPlSQ_SR_N2at6native12_GLOBAL__N_18offset_tEEE10hipError_tPvRmT1_PNSt15iterator_traitsISZ_E10value_typeET2_T3_PNS10_IS15_E10value_typeET4_jRbjT5_S1B_jjP12ihipStream_tbEUljE_ZNSN_ISO_Lb0ESQ_SR_SQ_SR_SV_EESW_SX_SY_SZ_S13_S14_S15_S18_S19_jS1A_jS1B_S1B_jjS1D_bEUljE0_EEESW_SX_SY_S15_S19_S1B_T6_T7_T9_mT8_S1D_bDpT10_ENKUlT_T0_E_clISt17integral_constantIbLb1EES1Q_IbLb0EEEEDaS1M_S1N_EUlS1M_E_NS1_11comp_targetILNS1_3genE3ELNS1_11target_archE908ELNS1_3gpuE7ELNS1_3repE0EEENS1_30default_config_static_selectorELNS0_4arch9wavefront6targetE0EEEvSZ_.num_vgpr, 0
	.set _ZN7rocprim17ROCPRIM_400000_NS6detail17trampoline_kernelINS0_13select_configILj256ELj13ELNS0_17block_load_methodE3ELS4_3ELS4_3ELNS0_20block_scan_algorithmE0ELj4294967295EEENS1_25partition_config_selectorILNS1_17partition_subalgoE4EjNS0_10empty_typeEbEEZZNS1_14partition_implILS8_4ELb0ES6_15HIP_vector_typeIjLj2EENS0_17counting_iteratorIjlEEPS9_SG_NS0_5tupleIJPjSI_NS0_16reverse_iteratorISI_EEEEENSH_IJSG_SG_SG_EEES9_SI_JZNS1_25segmented_radix_sort_implINS0_14default_configELb0EPKlPlSQ_SR_N2at6native12_GLOBAL__N_18offset_tEEE10hipError_tPvRmT1_PNSt15iterator_traitsISZ_E10value_typeET2_T3_PNS10_IS15_E10value_typeET4_jRbjT5_S1B_jjP12ihipStream_tbEUljE_ZNSN_ISO_Lb0ESQ_SR_SQ_SR_SV_EESW_SX_SY_SZ_S13_S14_S15_S18_S19_jS1A_jS1B_S1B_jjS1D_bEUljE0_EEESW_SX_SY_S15_S19_S1B_T6_T7_T9_mT8_S1D_bDpT10_ENKUlT_T0_E_clISt17integral_constantIbLb1EES1Q_IbLb0EEEEDaS1M_S1N_EUlS1M_E_NS1_11comp_targetILNS1_3genE3ELNS1_11target_archE908ELNS1_3gpuE7ELNS1_3repE0EEENS1_30default_config_static_selectorELNS0_4arch9wavefront6targetE0EEEvSZ_.num_agpr, 0
	.set _ZN7rocprim17ROCPRIM_400000_NS6detail17trampoline_kernelINS0_13select_configILj256ELj13ELNS0_17block_load_methodE3ELS4_3ELS4_3ELNS0_20block_scan_algorithmE0ELj4294967295EEENS1_25partition_config_selectorILNS1_17partition_subalgoE4EjNS0_10empty_typeEbEEZZNS1_14partition_implILS8_4ELb0ES6_15HIP_vector_typeIjLj2EENS0_17counting_iteratorIjlEEPS9_SG_NS0_5tupleIJPjSI_NS0_16reverse_iteratorISI_EEEEENSH_IJSG_SG_SG_EEES9_SI_JZNS1_25segmented_radix_sort_implINS0_14default_configELb0EPKlPlSQ_SR_N2at6native12_GLOBAL__N_18offset_tEEE10hipError_tPvRmT1_PNSt15iterator_traitsISZ_E10value_typeET2_T3_PNS10_IS15_E10value_typeET4_jRbjT5_S1B_jjP12ihipStream_tbEUljE_ZNSN_ISO_Lb0ESQ_SR_SQ_SR_SV_EESW_SX_SY_SZ_S13_S14_S15_S18_S19_jS1A_jS1B_S1B_jjS1D_bEUljE0_EEESW_SX_SY_S15_S19_S1B_T6_T7_T9_mT8_S1D_bDpT10_ENKUlT_T0_E_clISt17integral_constantIbLb1EES1Q_IbLb0EEEEDaS1M_S1N_EUlS1M_E_NS1_11comp_targetILNS1_3genE3ELNS1_11target_archE908ELNS1_3gpuE7ELNS1_3repE0EEENS1_30default_config_static_selectorELNS0_4arch9wavefront6targetE0EEEvSZ_.numbered_sgpr, 0
	.set _ZN7rocprim17ROCPRIM_400000_NS6detail17trampoline_kernelINS0_13select_configILj256ELj13ELNS0_17block_load_methodE3ELS4_3ELS4_3ELNS0_20block_scan_algorithmE0ELj4294967295EEENS1_25partition_config_selectorILNS1_17partition_subalgoE4EjNS0_10empty_typeEbEEZZNS1_14partition_implILS8_4ELb0ES6_15HIP_vector_typeIjLj2EENS0_17counting_iteratorIjlEEPS9_SG_NS0_5tupleIJPjSI_NS0_16reverse_iteratorISI_EEEEENSH_IJSG_SG_SG_EEES9_SI_JZNS1_25segmented_radix_sort_implINS0_14default_configELb0EPKlPlSQ_SR_N2at6native12_GLOBAL__N_18offset_tEEE10hipError_tPvRmT1_PNSt15iterator_traitsISZ_E10value_typeET2_T3_PNS10_IS15_E10value_typeET4_jRbjT5_S1B_jjP12ihipStream_tbEUljE_ZNSN_ISO_Lb0ESQ_SR_SQ_SR_SV_EESW_SX_SY_SZ_S13_S14_S15_S18_S19_jS1A_jS1B_S1B_jjS1D_bEUljE0_EEESW_SX_SY_S15_S19_S1B_T6_T7_T9_mT8_S1D_bDpT10_ENKUlT_T0_E_clISt17integral_constantIbLb1EES1Q_IbLb0EEEEDaS1M_S1N_EUlS1M_E_NS1_11comp_targetILNS1_3genE3ELNS1_11target_archE908ELNS1_3gpuE7ELNS1_3repE0EEENS1_30default_config_static_selectorELNS0_4arch9wavefront6targetE0EEEvSZ_.num_named_barrier, 0
	.set _ZN7rocprim17ROCPRIM_400000_NS6detail17trampoline_kernelINS0_13select_configILj256ELj13ELNS0_17block_load_methodE3ELS4_3ELS4_3ELNS0_20block_scan_algorithmE0ELj4294967295EEENS1_25partition_config_selectorILNS1_17partition_subalgoE4EjNS0_10empty_typeEbEEZZNS1_14partition_implILS8_4ELb0ES6_15HIP_vector_typeIjLj2EENS0_17counting_iteratorIjlEEPS9_SG_NS0_5tupleIJPjSI_NS0_16reverse_iteratorISI_EEEEENSH_IJSG_SG_SG_EEES9_SI_JZNS1_25segmented_radix_sort_implINS0_14default_configELb0EPKlPlSQ_SR_N2at6native12_GLOBAL__N_18offset_tEEE10hipError_tPvRmT1_PNSt15iterator_traitsISZ_E10value_typeET2_T3_PNS10_IS15_E10value_typeET4_jRbjT5_S1B_jjP12ihipStream_tbEUljE_ZNSN_ISO_Lb0ESQ_SR_SQ_SR_SV_EESW_SX_SY_SZ_S13_S14_S15_S18_S19_jS1A_jS1B_S1B_jjS1D_bEUljE0_EEESW_SX_SY_S15_S19_S1B_T6_T7_T9_mT8_S1D_bDpT10_ENKUlT_T0_E_clISt17integral_constantIbLb1EES1Q_IbLb0EEEEDaS1M_S1N_EUlS1M_E_NS1_11comp_targetILNS1_3genE3ELNS1_11target_archE908ELNS1_3gpuE7ELNS1_3repE0EEENS1_30default_config_static_selectorELNS0_4arch9wavefront6targetE0EEEvSZ_.private_seg_size, 0
	.set _ZN7rocprim17ROCPRIM_400000_NS6detail17trampoline_kernelINS0_13select_configILj256ELj13ELNS0_17block_load_methodE3ELS4_3ELS4_3ELNS0_20block_scan_algorithmE0ELj4294967295EEENS1_25partition_config_selectorILNS1_17partition_subalgoE4EjNS0_10empty_typeEbEEZZNS1_14partition_implILS8_4ELb0ES6_15HIP_vector_typeIjLj2EENS0_17counting_iteratorIjlEEPS9_SG_NS0_5tupleIJPjSI_NS0_16reverse_iteratorISI_EEEEENSH_IJSG_SG_SG_EEES9_SI_JZNS1_25segmented_radix_sort_implINS0_14default_configELb0EPKlPlSQ_SR_N2at6native12_GLOBAL__N_18offset_tEEE10hipError_tPvRmT1_PNSt15iterator_traitsISZ_E10value_typeET2_T3_PNS10_IS15_E10value_typeET4_jRbjT5_S1B_jjP12ihipStream_tbEUljE_ZNSN_ISO_Lb0ESQ_SR_SQ_SR_SV_EESW_SX_SY_SZ_S13_S14_S15_S18_S19_jS1A_jS1B_S1B_jjS1D_bEUljE0_EEESW_SX_SY_S15_S19_S1B_T6_T7_T9_mT8_S1D_bDpT10_ENKUlT_T0_E_clISt17integral_constantIbLb1EES1Q_IbLb0EEEEDaS1M_S1N_EUlS1M_E_NS1_11comp_targetILNS1_3genE3ELNS1_11target_archE908ELNS1_3gpuE7ELNS1_3repE0EEENS1_30default_config_static_selectorELNS0_4arch9wavefront6targetE0EEEvSZ_.uses_vcc, 0
	.set _ZN7rocprim17ROCPRIM_400000_NS6detail17trampoline_kernelINS0_13select_configILj256ELj13ELNS0_17block_load_methodE3ELS4_3ELS4_3ELNS0_20block_scan_algorithmE0ELj4294967295EEENS1_25partition_config_selectorILNS1_17partition_subalgoE4EjNS0_10empty_typeEbEEZZNS1_14partition_implILS8_4ELb0ES6_15HIP_vector_typeIjLj2EENS0_17counting_iteratorIjlEEPS9_SG_NS0_5tupleIJPjSI_NS0_16reverse_iteratorISI_EEEEENSH_IJSG_SG_SG_EEES9_SI_JZNS1_25segmented_radix_sort_implINS0_14default_configELb0EPKlPlSQ_SR_N2at6native12_GLOBAL__N_18offset_tEEE10hipError_tPvRmT1_PNSt15iterator_traitsISZ_E10value_typeET2_T3_PNS10_IS15_E10value_typeET4_jRbjT5_S1B_jjP12ihipStream_tbEUljE_ZNSN_ISO_Lb0ESQ_SR_SQ_SR_SV_EESW_SX_SY_SZ_S13_S14_S15_S18_S19_jS1A_jS1B_S1B_jjS1D_bEUljE0_EEESW_SX_SY_S15_S19_S1B_T6_T7_T9_mT8_S1D_bDpT10_ENKUlT_T0_E_clISt17integral_constantIbLb1EES1Q_IbLb0EEEEDaS1M_S1N_EUlS1M_E_NS1_11comp_targetILNS1_3genE3ELNS1_11target_archE908ELNS1_3gpuE7ELNS1_3repE0EEENS1_30default_config_static_selectorELNS0_4arch9wavefront6targetE0EEEvSZ_.uses_flat_scratch, 0
	.set _ZN7rocprim17ROCPRIM_400000_NS6detail17trampoline_kernelINS0_13select_configILj256ELj13ELNS0_17block_load_methodE3ELS4_3ELS4_3ELNS0_20block_scan_algorithmE0ELj4294967295EEENS1_25partition_config_selectorILNS1_17partition_subalgoE4EjNS0_10empty_typeEbEEZZNS1_14partition_implILS8_4ELb0ES6_15HIP_vector_typeIjLj2EENS0_17counting_iteratorIjlEEPS9_SG_NS0_5tupleIJPjSI_NS0_16reverse_iteratorISI_EEEEENSH_IJSG_SG_SG_EEES9_SI_JZNS1_25segmented_radix_sort_implINS0_14default_configELb0EPKlPlSQ_SR_N2at6native12_GLOBAL__N_18offset_tEEE10hipError_tPvRmT1_PNSt15iterator_traitsISZ_E10value_typeET2_T3_PNS10_IS15_E10value_typeET4_jRbjT5_S1B_jjP12ihipStream_tbEUljE_ZNSN_ISO_Lb0ESQ_SR_SQ_SR_SV_EESW_SX_SY_SZ_S13_S14_S15_S18_S19_jS1A_jS1B_S1B_jjS1D_bEUljE0_EEESW_SX_SY_S15_S19_S1B_T6_T7_T9_mT8_S1D_bDpT10_ENKUlT_T0_E_clISt17integral_constantIbLb1EES1Q_IbLb0EEEEDaS1M_S1N_EUlS1M_E_NS1_11comp_targetILNS1_3genE3ELNS1_11target_archE908ELNS1_3gpuE7ELNS1_3repE0EEENS1_30default_config_static_selectorELNS0_4arch9wavefront6targetE0EEEvSZ_.has_dyn_sized_stack, 0
	.set _ZN7rocprim17ROCPRIM_400000_NS6detail17trampoline_kernelINS0_13select_configILj256ELj13ELNS0_17block_load_methodE3ELS4_3ELS4_3ELNS0_20block_scan_algorithmE0ELj4294967295EEENS1_25partition_config_selectorILNS1_17partition_subalgoE4EjNS0_10empty_typeEbEEZZNS1_14partition_implILS8_4ELb0ES6_15HIP_vector_typeIjLj2EENS0_17counting_iteratorIjlEEPS9_SG_NS0_5tupleIJPjSI_NS0_16reverse_iteratorISI_EEEEENSH_IJSG_SG_SG_EEES9_SI_JZNS1_25segmented_radix_sort_implINS0_14default_configELb0EPKlPlSQ_SR_N2at6native12_GLOBAL__N_18offset_tEEE10hipError_tPvRmT1_PNSt15iterator_traitsISZ_E10value_typeET2_T3_PNS10_IS15_E10value_typeET4_jRbjT5_S1B_jjP12ihipStream_tbEUljE_ZNSN_ISO_Lb0ESQ_SR_SQ_SR_SV_EESW_SX_SY_SZ_S13_S14_S15_S18_S19_jS1A_jS1B_S1B_jjS1D_bEUljE0_EEESW_SX_SY_S15_S19_S1B_T6_T7_T9_mT8_S1D_bDpT10_ENKUlT_T0_E_clISt17integral_constantIbLb1EES1Q_IbLb0EEEEDaS1M_S1N_EUlS1M_E_NS1_11comp_targetILNS1_3genE3ELNS1_11target_archE908ELNS1_3gpuE7ELNS1_3repE0EEENS1_30default_config_static_selectorELNS0_4arch9wavefront6targetE0EEEvSZ_.has_recursion, 0
	.set _ZN7rocprim17ROCPRIM_400000_NS6detail17trampoline_kernelINS0_13select_configILj256ELj13ELNS0_17block_load_methodE3ELS4_3ELS4_3ELNS0_20block_scan_algorithmE0ELj4294967295EEENS1_25partition_config_selectorILNS1_17partition_subalgoE4EjNS0_10empty_typeEbEEZZNS1_14partition_implILS8_4ELb0ES6_15HIP_vector_typeIjLj2EENS0_17counting_iteratorIjlEEPS9_SG_NS0_5tupleIJPjSI_NS0_16reverse_iteratorISI_EEEEENSH_IJSG_SG_SG_EEES9_SI_JZNS1_25segmented_radix_sort_implINS0_14default_configELb0EPKlPlSQ_SR_N2at6native12_GLOBAL__N_18offset_tEEE10hipError_tPvRmT1_PNSt15iterator_traitsISZ_E10value_typeET2_T3_PNS10_IS15_E10value_typeET4_jRbjT5_S1B_jjP12ihipStream_tbEUljE_ZNSN_ISO_Lb0ESQ_SR_SQ_SR_SV_EESW_SX_SY_SZ_S13_S14_S15_S18_S19_jS1A_jS1B_S1B_jjS1D_bEUljE0_EEESW_SX_SY_S15_S19_S1B_T6_T7_T9_mT8_S1D_bDpT10_ENKUlT_T0_E_clISt17integral_constantIbLb1EES1Q_IbLb0EEEEDaS1M_S1N_EUlS1M_E_NS1_11comp_targetILNS1_3genE3ELNS1_11target_archE908ELNS1_3gpuE7ELNS1_3repE0EEENS1_30default_config_static_selectorELNS0_4arch9wavefront6targetE0EEEvSZ_.has_indirect_call, 0
	.section	.AMDGPU.csdata,"",@progbits
; Kernel info:
; codeLenInByte = 0
; TotalNumSgprs: 0
; NumVgprs: 0
; ScratchSize: 0
; MemoryBound: 0
; FloatMode: 240
; IeeeMode: 1
; LDSByteSize: 0 bytes/workgroup (compile time only)
; SGPRBlocks: 0
; VGPRBlocks: 0
; NumSGPRsForWavesPerEU: 1
; NumVGPRsForWavesPerEU: 1
; NamedBarCnt: 0
; Occupancy: 16
; WaveLimiterHint : 0
; COMPUTE_PGM_RSRC2:SCRATCH_EN: 0
; COMPUTE_PGM_RSRC2:USER_SGPR: 2
; COMPUTE_PGM_RSRC2:TRAP_HANDLER: 0
; COMPUTE_PGM_RSRC2:TGID_X_EN: 1
; COMPUTE_PGM_RSRC2:TGID_Y_EN: 0
; COMPUTE_PGM_RSRC2:TGID_Z_EN: 0
; COMPUTE_PGM_RSRC2:TIDIG_COMP_CNT: 0
	.section	.text._ZN7rocprim17ROCPRIM_400000_NS6detail17trampoline_kernelINS0_13select_configILj256ELj13ELNS0_17block_load_methodE3ELS4_3ELS4_3ELNS0_20block_scan_algorithmE0ELj4294967295EEENS1_25partition_config_selectorILNS1_17partition_subalgoE4EjNS0_10empty_typeEbEEZZNS1_14partition_implILS8_4ELb0ES6_15HIP_vector_typeIjLj2EENS0_17counting_iteratorIjlEEPS9_SG_NS0_5tupleIJPjSI_NS0_16reverse_iteratorISI_EEEEENSH_IJSG_SG_SG_EEES9_SI_JZNS1_25segmented_radix_sort_implINS0_14default_configELb0EPKlPlSQ_SR_N2at6native12_GLOBAL__N_18offset_tEEE10hipError_tPvRmT1_PNSt15iterator_traitsISZ_E10value_typeET2_T3_PNS10_IS15_E10value_typeET4_jRbjT5_S1B_jjP12ihipStream_tbEUljE_ZNSN_ISO_Lb0ESQ_SR_SQ_SR_SV_EESW_SX_SY_SZ_S13_S14_S15_S18_S19_jS1A_jS1B_S1B_jjS1D_bEUljE0_EEESW_SX_SY_S15_S19_S1B_T6_T7_T9_mT8_S1D_bDpT10_ENKUlT_T0_E_clISt17integral_constantIbLb1EES1Q_IbLb0EEEEDaS1M_S1N_EUlS1M_E_NS1_11comp_targetILNS1_3genE2ELNS1_11target_archE906ELNS1_3gpuE6ELNS1_3repE0EEENS1_30default_config_static_selectorELNS0_4arch9wavefront6targetE0EEEvSZ_,"axG",@progbits,_ZN7rocprim17ROCPRIM_400000_NS6detail17trampoline_kernelINS0_13select_configILj256ELj13ELNS0_17block_load_methodE3ELS4_3ELS4_3ELNS0_20block_scan_algorithmE0ELj4294967295EEENS1_25partition_config_selectorILNS1_17partition_subalgoE4EjNS0_10empty_typeEbEEZZNS1_14partition_implILS8_4ELb0ES6_15HIP_vector_typeIjLj2EENS0_17counting_iteratorIjlEEPS9_SG_NS0_5tupleIJPjSI_NS0_16reverse_iteratorISI_EEEEENSH_IJSG_SG_SG_EEES9_SI_JZNS1_25segmented_radix_sort_implINS0_14default_configELb0EPKlPlSQ_SR_N2at6native12_GLOBAL__N_18offset_tEEE10hipError_tPvRmT1_PNSt15iterator_traitsISZ_E10value_typeET2_T3_PNS10_IS15_E10value_typeET4_jRbjT5_S1B_jjP12ihipStream_tbEUljE_ZNSN_ISO_Lb0ESQ_SR_SQ_SR_SV_EESW_SX_SY_SZ_S13_S14_S15_S18_S19_jS1A_jS1B_S1B_jjS1D_bEUljE0_EEESW_SX_SY_S15_S19_S1B_T6_T7_T9_mT8_S1D_bDpT10_ENKUlT_T0_E_clISt17integral_constantIbLb1EES1Q_IbLb0EEEEDaS1M_S1N_EUlS1M_E_NS1_11comp_targetILNS1_3genE2ELNS1_11target_archE906ELNS1_3gpuE6ELNS1_3repE0EEENS1_30default_config_static_selectorELNS0_4arch9wavefront6targetE0EEEvSZ_,comdat
	.globl	_ZN7rocprim17ROCPRIM_400000_NS6detail17trampoline_kernelINS0_13select_configILj256ELj13ELNS0_17block_load_methodE3ELS4_3ELS4_3ELNS0_20block_scan_algorithmE0ELj4294967295EEENS1_25partition_config_selectorILNS1_17partition_subalgoE4EjNS0_10empty_typeEbEEZZNS1_14partition_implILS8_4ELb0ES6_15HIP_vector_typeIjLj2EENS0_17counting_iteratorIjlEEPS9_SG_NS0_5tupleIJPjSI_NS0_16reverse_iteratorISI_EEEEENSH_IJSG_SG_SG_EEES9_SI_JZNS1_25segmented_radix_sort_implINS0_14default_configELb0EPKlPlSQ_SR_N2at6native12_GLOBAL__N_18offset_tEEE10hipError_tPvRmT1_PNSt15iterator_traitsISZ_E10value_typeET2_T3_PNS10_IS15_E10value_typeET4_jRbjT5_S1B_jjP12ihipStream_tbEUljE_ZNSN_ISO_Lb0ESQ_SR_SQ_SR_SV_EESW_SX_SY_SZ_S13_S14_S15_S18_S19_jS1A_jS1B_S1B_jjS1D_bEUljE0_EEESW_SX_SY_S15_S19_S1B_T6_T7_T9_mT8_S1D_bDpT10_ENKUlT_T0_E_clISt17integral_constantIbLb1EES1Q_IbLb0EEEEDaS1M_S1N_EUlS1M_E_NS1_11comp_targetILNS1_3genE2ELNS1_11target_archE906ELNS1_3gpuE6ELNS1_3repE0EEENS1_30default_config_static_selectorELNS0_4arch9wavefront6targetE0EEEvSZ_ ; -- Begin function _ZN7rocprim17ROCPRIM_400000_NS6detail17trampoline_kernelINS0_13select_configILj256ELj13ELNS0_17block_load_methodE3ELS4_3ELS4_3ELNS0_20block_scan_algorithmE0ELj4294967295EEENS1_25partition_config_selectorILNS1_17partition_subalgoE4EjNS0_10empty_typeEbEEZZNS1_14partition_implILS8_4ELb0ES6_15HIP_vector_typeIjLj2EENS0_17counting_iteratorIjlEEPS9_SG_NS0_5tupleIJPjSI_NS0_16reverse_iteratorISI_EEEEENSH_IJSG_SG_SG_EEES9_SI_JZNS1_25segmented_radix_sort_implINS0_14default_configELb0EPKlPlSQ_SR_N2at6native12_GLOBAL__N_18offset_tEEE10hipError_tPvRmT1_PNSt15iterator_traitsISZ_E10value_typeET2_T3_PNS10_IS15_E10value_typeET4_jRbjT5_S1B_jjP12ihipStream_tbEUljE_ZNSN_ISO_Lb0ESQ_SR_SQ_SR_SV_EESW_SX_SY_SZ_S13_S14_S15_S18_S19_jS1A_jS1B_S1B_jjS1D_bEUljE0_EEESW_SX_SY_S15_S19_S1B_T6_T7_T9_mT8_S1D_bDpT10_ENKUlT_T0_E_clISt17integral_constantIbLb1EES1Q_IbLb0EEEEDaS1M_S1N_EUlS1M_E_NS1_11comp_targetILNS1_3genE2ELNS1_11target_archE906ELNS1_3gpuE6ELNS1_3repE0EEENS1_30default_config_static_selectorELNS0_4arch9wavefront6targetE0EEEvSZ_
	.p2align	8
	.type	_ZN7rocprim17ROCPRIM_400000_NS6detail17trampoline_kernelINS0_13select_configILj256ELj13ELNS0_17block_load_methodE3ELS4_3ELS4_3ELNS0_20block_scan_algorithmE0ELj4294967295EEENS1_25partition_config_selectorILNS1_17partition_subalgoE4EjNS0_10empty_typeEbEEZZNS1_14partition_implILS8_4ELb0ES6_15HIP_vector_typeIjLj2EENS0_17counting_iteratorIjlEEPS9_SG_NS0_5tupleIJPjSI_NS0_16reverse_iteratorISI_EEEEENSH_IJSG_SG_SG_EEES9_SI_JZNS1_25segmented_radix_sort_implINS0_14default_configELb0EPKlPlSQ_SR_N2at6native12_GLOBAL__N_18offset_tEEE10hipError_tPvRmT1_PNSt15iterator_traitsISZ_E10value_typeET2_T3_PNS10_IS15_E10value_typeET4_jRbjT5_S1B_jjP12ihipStream_tbEUljE_ZNSN_ISO_Lb0ESQ_SR_SQ_SR_SV_EESW_SX_SY_SZ_S13_S14_S15_S18_S19_jS1A_jS1B_S1B_jjS1D_bEUljE0_EEESW_SX_SY_S15_S19_S1B_T6_T7_T9_mT8_S1D_bDpT10_ENKUlT_T0_E_clISt17integral_constantIbLb1EES1Q_IbLb0EEEEDaS1M_S1N_EUlS1M_E_NS1_11comp_targetILNS1_3genE2ELNS1_11target_archE906ELNS1_3gpuE6ELNS1_3repE0EEENS1_30default_config_static_selectorELNS0_4arch9wavefront6targetE0EEEvSZ_,@function
_ZN7rocprim17ROCPRIM_400000_NS6detail17trampoline_kernelINS0_13select_configILj256ELj13ELNS0_17block_load_methodE3ELS4_3ELS4_3ELNS0_20block_scan_algorithmE0ELj4294967295EEENS1_25partition_config_selectorILNS1_17partition_subalgoE4EjNS0_10empty_typeEbEEZZNS1_14partition_implILS8_4ELb0ES6_15HIP_vector_typeIjLj2EENS0_17counting_iteratorIjlEEPS9_SG_NS0_5tupleIJPjSI_NS0_16reverse_iteratorISI_EEEEENSH_IJSG_SG_SG_EEES9_SI_JZNS1_25segmented_radix_sort_implINS0_14default_configELb0EPKlPlSQ_SR_N2at6native12_GLOBAL__N_18offset_tEEE10hipError_tPvRmT1_PNSt15iterator_traitsISZ_E10value_typeET2_T3_PNS10_IS15_E10value_typeET4_jRbjT5_S1B_jjP12ihipStream_tbEUljE_ZNSN_ISO_Lb0ESQ_SR_SQ_SR_SV_EESW_SX_SY_SZ_S13_S14_S15_S18_S19_jS1A_jS1B_S1B_jjS1D_bEUljE0_EEESW_SX_SY_S15_S19_S1B_T6_T7_T9_mT8_S1D_bDpT10_ENKUlT_T0_E_clISt17integral_constantIbLb1EES1Q_IbLb0EEEEDaS1M_S1N_EUlS1M_E_NS1_11comp_targetILNS1_3genE2ELNS1_11target_archE906ELNS1_3gpuE6ELNS1_3repE0EEENS1_30default_config_static_selectorELNS0_4arch9wavefront6targetE0EEEvSZ_: ; @_ZN7rocprim17ROCPRIM_400000_NS6detail17trampoline_kernelINS0_13select_configILj256ELj13ELNS0_17block_load_methodE3ELS4_3ELS4_3ELNS0_20block_scan_algorithmE0ELj4294967295EEENS1_25partition_config_selectorILNS1_17partition_subalgoE4EjNS0_10empty_typeEbEEZZNS1_14partition_implILS8_4ELb0ES6_15HIP_vector_typeIjLj2EENS0_17counting_iteratorIjlEEPS9_SG_NS0_5tupleIJPjSI_NS0_16reverse_iteratorISI_EEEEENSH_IJSG_SG_SG_EEES9_SI_JZNS1_25segmented_radix_sort_implINS0_14default_configELb0EPKlPlSQ_SR_N2at6native12_GLOBAL__N_18offset_tEEE10hipError_tPvRmT1_PNSt15iterator_traitsISZ_E10value_typeET2_T3_PNS10_IS15_E10value_typeET4_jRbjT5_S1B_jjP12ihipStream_tbEUljE_ZNSN_ISO_Lb0ESQ_SR_SQ_SR_SV_EESW_SX_SY_SZ_S13_S14_S15_S18_S19_jS1A_jS1B_S1B_jjS1D_bEUljE0_EEESW_SX_SY_S15_S19_S1B_T6_T7_T9_mT8_S1D_bDpT10_ENKUlT_T0_E_clISt17integral_constantIbLb1EES1Q_IbLb0EEEEDaS1M_S1N_EUlS1M_E_NS1_11comp_targetILNS1_3genE2ELNS1_11target_archE906ELNS1_3gpuE6ELNS1_3repE0EEENS1_30default_config_static_selectorELNS0_4arch9wavefront6targetE0EEEvSZ_
; %bb.0:
	.section	.rodata,"a",@progbits
	.p2align	6, 0x0
	.amdhsa_kernel _ZN7rocprim17ROCPRIM_400000_NS6detail17trampoline_kernelINS0_13select_configILj256ELj13ELNS0_17block_load_methodE3ELS4_3ELS4_3ELNS0_20block_scan_algorithmE0ELj4294967295EEENS1_25partition_config_selectorILNS1_17partition_subalgoE4EjNS0_10empty_typeEbEEZZNS1_14partition_implILS8_4ELb0ES6_15HIP_vector_typeIjLj2EENS0_17counting_iteratorIjlEEPS9_SG_NS0_5tupleIJPjSI_NS0_16reverse_iteratorISI_EEEEENSH_IJSG_SG_SG_EEES9_SI_JZNS1_25segmented_radix_sort_implINS0_14default_configELb0EPKlPlSQ_SR_N2at6native12_GLOBAL__N_18offset_tEEE10hipError_tPvRmT1_PNSt15iterator_traitsISZ_E10value_typeET2_T3_PNS10_IS15_E10value_typeET4_jRbjT5_S1B_jjP12ihipStream_tbEUljE_ZNSN_ISO_Lb0ESQ_SR_SQ_SR_SV_EESW_SX_SY_SZ_S13_S14_S15_S18_S19_jS1A_jS1B_S1B_jjS1D_bEUljE0_EEESW_SX_SY_S15_S19_S1B_T6_T7_T9_mT8_S1D_bDpT10_ENKUlT_T0_E_clISt17integral_constantIbLb1EES1Q_IbLb0EEEEDaS1M_S1N_EUlS1M_E_NS1_11comp_targetILNS1_3genE2ELNS1_11target_archE906ELNS1_3gpuE6ELNS1_3repE0EEENS1_30default_config_static_selectorELNS0_4arch9wavefront6targetE0EEEvSZ_
		.amdhsa_group_segment_fixed_size 0
		.amdhsa_private_segment_fixed_size 0
		.amdhsa_kernarg_size 176
		.amdhsa_user_sgpr_count 2
		.amdhsa_user_sgpr_dispatch_ptr 0
		.amdhsa_user_sgpr_queue_ptr 0
		.amdhsa_user_sgpr_kernarg_segment_ptr 1
		.amdhsa_user_sgpr_dispatch_id 0
		.amdhsa_user_sgpr_kernarg_preload_length 0
		.amdhsa_user_sgpr_kernarg_preload_offset 0
		.amdhsa_user_sgpr_private_segment_size 0
		.amdhsa_wavefront_size32 1
		.amdhsa_uses_dynamic_stack 0
		.amdhsa_enable_private_segment 0
		.amdhsa_system_sgpr_workgroup_id_x 1
		.amdhsa_system_sgpr_workgroup_id_y 0
		.amdhsa_system_sgpr_workgroup_id_z 0
		.amdhsa_system_sgpr_workgroup_info 0
		.amdhsa_system_vgpr_workitem_id 0
		.amdhsa_next_free_vgpr 1
		.amdhsa_next_free_sgpr 1
		.amdhsa_named_barrier_count 0
		.amdhsa_reserve_vcc 0
		.amdhsa_float_round_mode_32 0
		.amdhsa_float_round_mode_16_64 0
		.amdhsa_float_denorm_mode_32 3
		.amdhsa_float_denorm_mode_16_64 3
		.amdhsa_fp16_overflow 0
		.amdhsa_memory_ordered 1
		.amdhsa_forward_progress 1
		.amdhsa_inst_pref_size 0
		.amdhsa_round_robin_scheduling 0
		.amdhsa_exception_fp_ieee_invalid_op 0
		.amdhsa_exception_fp_denorm_src 0
		.amdhsa_exception_fp_ieee_div_zero 0
		.amdhsa_exception_fp_ieee_overflow 0
		.amdhsa_exception_fp_ieee_underflow 0
		.amdhsa_exception_fp_ieee_inexact 0
		.amdhsa_exception_int_div_zero 0
	.end_amdhsa_kernel
	.section	.text._ZN7rocprim17ROCPRIM_400000_NS6detail17trampoline_kernelINS0_13select_configILj256ELj13ELNS0_17block_load_methodE3ELS4_3ELS4_3ELNS0_20block_scan_algorithmE0ELj4294967295EEENS1_25partition_config_selectorILNS1_17partition_subalgoE4EjNS0_10empty_typeEbEEZZNS1_14partition_implILS8_4ELb0ES6_15HIP_vector_typeIjLj2EENS0_17counting_iteratorIjlEEPS9_SG_NS0_5tupleIJPjSI_NS0_16reverse_iteratorISI_EEEEENSH_IJSG_SG_SG_EEES9_SI_JZNS1_25segmented_radix_sort_implINS0_14default_configELb0EPKlPlSQ_SR_N2at6native12_GLOBAL__N_18offset_tEEE10hipError_tPvRmT1_PNSt15iterator_traitsISZ_E10value_typeET2_T3_PNS10_IS15_E10value_typeET4_jRbjT5_S1B_jjP12ihipStream_tbEUljE_ZNSN_ISO_Lb0ESQ_SR_SQ_SR_SV_EESW_SX_SY_SZ_S13_S14_S15_S18_S19_jS1A_jS1B_S1B_jjS1D_bEUljE0_EEESW_SX_SY_S15_S19_S1B_T6_T7_T9_mT8_S1D_bDpT10_ENKUlT_T0_E_clISt17integral_constantIbLb1EES1Q_IbLb0EEEEDaS1M_S1N_EUlS1M_E_NS1_11comp_targetILNS1_3genE2ELNS1_11target_archE906ELNS1_3gpuE6ELNS1_3repE0EEENS1_30default_config_static_selectorELNS0_4arch9wavefront6targetE0EEEvSZ_,"axG",@progbits,_ZN7rocprim17ROCPRIM_400000_NS6detail17trampoline_kernelINS0_13select_configILj256ELj13ELNS0_17block_load_methodE3ELS4_3ELS4_3ELNS0_20block_scan_algorithmE0ELj4294967295EEENS1_25partition_config_selectorILNS1_17partition_subalgoE4EjNS0_10empty_typeEbEEZZNS1_14partition_implILS8_4ELb0ES6_15HIP_vector_typeIjLj2EENS0_17counting_iteratorIjlEEPS9_SG_NS0_5tupleIJPjSI_NS0_16reverse_iteratorISI_EEEEENSH_IJSG_SG_SG_EEES9_SI_JZNS1_25segmented_radix_sort_implINS0_14default_configELb0EPKlPlSQ_SR_N2at6native12_GLOBAL__N_18offset_tEEE10hipError_tPvRmT1_PNSt15iterator_traitsISZ_E10value_typeET2_T3_PNS10_IS15_E10value_typeET4_jRbjT5_S1B_jjP12ihipStream_tbEUljE_ZNSN_ISO_Lb0ESQ_SR_SQ_SR_SV_EESW_SX_SY_SZ_S13_S14_S15_S18_S19_jS1A_jS1B_S1B_jjS1D_bEUljE0_EEESW_SX_SY_S15_S19_S1B_T6_T7_T9_mT8_S1D_bDpT10_ENKUlT_T0_E_clISt17integral_constantIbLb1EES1Q_IbLb0EEEEDaS1M_S1N_EUlS1M_E_NS1_11comp_targetILNS1_3genE2ELNS1_11target_archE906ELNS1_3gpuE6ELNS1_3repE0EEENS1_30default_config_static_selectorELNS0_4arch9wavefront6targetE0EEEvSZ_,comdat
.Lfunc_end759:
	.size	_ZN7rocprim17ROCPRIM_400000_NS6detail17trampoline_kernelINS0_13select_configILj256ELj13ELNS0_17block_load_methodE3ELS4_3ELS4_3ELNS0_20block_scan_algorithmE0ELj4294967295EEENS1_25partition_config_selectorILNS1_17partition_subalgoE4EjNS0_10empty_typeEbEEZZNS1_14partition_implILS8_4ELb0ES6_15HIP_vector_typeIjLj2EENS0_17counting_iteratorIjlEEPS9_SG_NS0_5tupleIJPjSI_NS0_16reverse_iteratorISI_EEEEENSH_IJSG_SG_SG_EEES9_SI_JZNS1_25segmented_radix_sort_implINS0_14default_configELb0EPKlPlSQ_SR_N2at6native12_GLOBAL__N_18offset_tEEE10hipError_tPvRmT1_PNSt15iterator_traitsISZ_E10value_typeET2_T3_PNS10_IS15_E10value_typeET4_jRbjT5_S1B_jjP12ihipStream_tbEUljE_ZNSN_ISO_Lb0ESQ_SR_SQ_SR_SV_EESW_SX_SY_SZ_S13_S14_S15_S18_S19_jS1A_jS1B_S1B_jjS1D_bEUljE0_EEESW_SX_SY_S15_S19_S1B_T6_T7_T9_mT8_S1D_bDpT10_ENKUlT_T0_E_clISt17integral_constantIbLb1EES1Q_IbLb0EEEEDaS1M_S1N_EUlS1M_E_NS1_11comp_targetILNS1_3genE2ELNS1_11target_archE906ELNS1_3gpuE6ELNS1_3repE0EEENS1_30default_config_static_selectorELNS0_4arch9wavefront6targetE0EEEvSZ_, .Lfunc_end759-_ZN7rocprim17ROCPRIM_400000_NS6detail17trampoline_kernelINS0_13select_configILj256ELj13ELNS0_17block_load_methodE3ELS4_3ELS4_3ELNS0_20block_scan_algorithmE0ELj4294967295EEENS1_25partition_config_selectorILNS1_17partition_subalgoE4EjNS0_10empty_typeEbEEZZNS1_14partition_implILS8_4ELb0ES6_15HIP_vector_typeIjLj2EENS0_17counting_iteratorIjlEEPS9_SG_NS0_5tupleIJPjSI_NS0_16reverse_iteratorISI_EEEEENSH_IJSG_SG_SG_EEES9_SI_JZNS1_25segmented_radix_sort_implINS0_14default_configELb0EPKlPlSQ_SR_N2at6native12_GLOBAL__N_18offset_tEEE10hipError_tPvRmT1_PNSt15iterator_traitsISZ_E10value_typeET2_T3_PNS10_IS15_E10value_typeET4_jRbjT5_S1B_jjP12ihipStream_tbEUljE_ZNSN_ISO_Lb0ESQ_SR_SQ_SR_SV_EESW_SX_SY_SZ_S13_S14_S15_S18_S19_jS1A_jS1B_S1B_jjS1D_bEUljE0_EEESW_SX_SY_S15_S19_S1B_T6_T7_T9_mT8_S1D_bDpT10_ENKUlT_T0_E_clISt17integral_constantIbLb1EES1Q_IbLb0EEEEDaS1M_S1N_EUlS1M_E_NS1_11comp_targetILNS1_3genE2ELNS1_11target_archE906ELNS1_3gpuE6ELNS1_3repE0EEENS1_30default_config_static_selectorELNS0_4arch9wavefront6targetE0EEEvSZ_
                                        ; -- End function
	.set _ZN7rocprim17ROCPRIM_400000_NS6detail17trampoline_kernelINS0_13select_configILj256ELj13ELNS0_17block_load_methodE3ELS4_3ELS4_3ELNS0_20block_scan_algorithmE0ELj4294967295EEENS1_25partition_config_selectorILNS1_17partition_subalgoE4EjNS0_10empty_typeEbEEZZNS1_14partition_implILS8_4ELb0ES6_15HIP_vector_typeIjLj2EENS0_17counting_iteratorIjlEEPS9_SG_NS0_5tupleIJPjSI_NS0_16reverse_iteratorISI_EEEEENSH_IJSG_SG_SG_EEES9_SI_JZNS1_25segmented_radix_sort_implINS0_14default_configELb0EPKlPlSQ_SR_N2at6native12_GLOBAL__N_18offset_tEEE10hipError_tPvRmT1_PNSt15iterator_traitsISZ_E10value_typeET2_T3_PNS10_IS15_E10value_typeET4_jRbjT5_S1B_jjP12ihipStream_tbEUljE_ZNSN_ISO_Lb0ESQ_SR_SQ_SR_SV_EESW_SX_SY_SZ_S13_S14_S15_S18_S19_jS1A_jS1B_S1B_jjS1D_bEUljE0_EEESW_SX_SY_S15_S19_S1B_T6_T7_T9_mT8_S1D_bDpT10_ENKUlT_T0_E_clISt17integral_constantIbLb1EES1Q_IbLb0EEEEDaS1M_S1N_EUlS1M_E_NS1_11comp_targetILNS1_3genE2ELNS1_11target_archE906ELNS1_3gpuE6ELNS1_3repE0EEENS1_30default_config_static_selectorELNS0_4arch9wavefront6targetE0EEEvSZ_.num_vgpr, 0
	.set _ZN7rocprim17ROCPRIM_400000_NS6detail17trampoline_kernelINS0_13select_configILj256ELj13ELNS0_17block_load_methodE3ELS4_3ELS4_3ELNS0_20block_scan_algorithmE0ELj4294967295EEENS1_25partition_config_selectorILNS1_17partition_subalgoE4EjNS0_10empty_typeEbEEZZNS1_14partition_implILS8_4ELb0ES6_15HIP_vector_typeIjLj2EENS0_17counting_iteratorIjlEEPS9_SG_NS0_5tupleIJPjSI_NS0_16reverse_iteratorISI_EEEEENSH_IJSG_SG_SG_EEES9_SI_JZNS1_25segmented_radix_sort_implINS0_14default_configELb0EPKlPlSQ_SR_N2at6native12_GLOBAL__N_18offset_tEEE10hipError_tPvRmT1_PNSt15iterator_traitsISZ_E10value_typeET2_T3_PNS10_IS15_E10value_typeET4_jRbjT5_S1B_jjP12ihipStream_tbEUljE_ZNSN_ISO_Lb0ESQ_SR_SQ_SR_SV_EESW_SX_SY_SZ_S13_S14_S15_S18_S19_jS1A_jS1B_S1B_jjS1D_bEUljE0_EEESW_SX_SY_S15_S19_S1B_T6_T7_T9_mT8_S1D_bDpT10_ENKUlT_T0_E_clISt17integral_constantIbLb1EES1Q_IbLb0EEEEDaS1M_S1N_EUlS1M_E_NS1_11comp_targetILNS1_3genE2ELNS1_11target_archE906ELNS1_3gpuE6ELNS1_3repE0EEENS1_30default_config_static_selectorELNS0_4arch9wavefront6targetE0EEEvSZ_.num_agpr, 0
	.set _ZN7rocprim17ROCPRIM_400000_NS6detail17trampoline_kernelINS0_13select_configILj256ELj13ELNS0_17block_load_methodE3ELS4_3ELS4_3ELNS0_20block_scan_algorithmE0ELj4294967295EEENS1_25partition_config_selectorILNS1_17partition_subalgoE4EjNS0_10empty_typeEbEEZZNS1_14partition_implILS8_4ELb0ES6_15HIP_vector_typeIjLj2EENS0_17counting_iteratorIjlEEPS9_SG_NS0_5tupleIJPjSI_NS0_16reverse_iteratorISI_EEEEENSH_IJSG_SG_SG_EEES9_SI_JZNS1_25segmented_radix_sort_implINS0_14default_configELb0EPKlPlSQ_SR_N2at6native12_GLOBAL__N_18offset_tEEE10hipError_tPvRmT1_PNSt15iterator_traitsISZ_E10value_typeET2_T3_PNS10_IS15_E10value_typeET4_jRbjT5_S1B_jjP12ihipStream_tbEUljE_ZNSN_ISO_Lb0ESQ_SR_SQ_SR_SV_EESW_SX_SY_SZ_S13_S14_S15_S18_S19_jS1A_jS1B_S1B_jjS1D_bEUljE0_EEESW_SX_SY_S15_S19_S1B_T6_T7_T9_mT8_S1D_bDpT10_ENKUlT_T0_E_clISt17integral_constantIbLb1EES1Q_IbLb0EEEEDaS1M_S1N_EUlS1M_E_NS1_11comp_targetILNS1_3genE2ELNS1_11target_archE906ELNS1_3gpuE6ELNS1_3repE0EEENS1_30default_config_static_selectorELNS0_4arch9wavefront6targetE0EEEvSZ_.numbered_sgpr, 0
	.set _ZN7rocprim17ROCPRIM_400000_NS6detail17trampoline_kernelINS0_13select_configILj256ELj13ELNS0_17block_load_methodE3ELS4_3ELS4_3ELNS0_20block_scan_algorithmE0ELj4294967295EEENS1_25partition_config_selectorILNS1_17partition_subalgoE4EjNS0_10empty_typeEbEEZZNS1_14partition_implILS8_4ELb0ES6_15HIP_vector_typeIjLj2EENS0_17counting_iteratorIjlEEPS9_SG_NS0_5tupleIJPjSI_NS0_16reverse_iteratorISI_EEEEENSH_IJSG_SG_SG_EEES9_SI_JZNS1_25segmented_radix_sort_implINS0_14default_configELb0EPKlPlSQ_SR_N2at6native12_GLOBAL__N_18offset_tEEE10hipError_tPvRmT1_PNSt15iterator_traitsISZ_E10value_typeET2_T3_PNS10_IS15_E10value_typeET4_jRbjT5_S1B_jjP12ihipStream_tbEUljE_ZNSN_ISO_Lb0ESQ_SR_SQ_SR_SV_EESW_SX_SY_SZ_S13_S14_S15_S18_S19_jS1A_jS1B_S1B_jjS1D_bEUljE0_EEESW_SX_SY_S15_S19_S1B_T6_T7_T9_mT8_S1D_bDpT10_ENKUlT_T0_E_clISt17integral_constantIbLb1EES1Q_IbLb0EEEEDaS1M_S1N_EUlS1M_E_NS1_11comp_targetILNS1_3genE2ELNS1_11target_archE906ELNS1_3gpuE6ELNS1_3repE0EEENS1_30default_config_static_selectorELNS0_4arch9wavefront6targetE0EEEvSZ_.num_named_barrier, 0
	.set _ZN7rocprim17ROCPRIM_400000_NS6detail17trampoline_kernelINS0_13select_configILj256ELj13ELNS0_17block_load_methodE3ELS4_3ELS4_3ELNS0_20block_scan_algorithmE0ELj4294967295EEENS1_25partition_config_selectorILNS1_17partition_subalgoE4EjNS0_10empty_typeEbEEZZNS1_14partition_implILS8_4ELb0ES6_15HIP_vector_typeIjLj2EENS0_17counting_iteratorIjlEEPS9_SG_NS0_5tupleIJPjSI_NS0_16reverse_iteratorISI_EEEEENSH_IJSG_SG_SG_EEES9_SI_JZNS1_25segmented_radix_sort_implINS0_14default_configELb0EPKlPlSQ_SR_N2at6native12_GLOBAL__N_18offset_tEEE10hipError_tPvRmT1_PNSt15iterator_traitsISZ_E10value_typeET2_T3_PNS10_IS15_E10value_typeET4_jRbjT5_S1B_jjP12ihipStream_tbEUljE_ZNSN_ISO_Lb0ESQ_SR_SQ_SR_SV_EESW_SX_SY_SZ_S13_S14_S15_S18_S19_jS1A_jS1B_S1B_jjS1D_bEUljE0_EEESW_SX_SY_S15_S19_S1B_T6_T7_T9_mT8_S1D_bDpT10_ENKUlT_T0_E_clISt17integral_constantIbLb1EES1Q_IbLb0EEEEDaS1M_S1N_EUlS1M_E_NS1_11comp_targetILNS1_3genE2ELNS1_11target_archE906ELNS1_3gpuE6ELNS1_3repE0EEENS1_30default_config_static_selectorELNS0_4arch9wavefront6targetE0EEEvSZ_.private_seg_size, 0
	.set _ZN7rocprim17ROCPRIM_400000_NS6detail17trampoline_kernelINS0_13select_configILj256ELj13ELNS0_17block_load_methodE3ELS4_3ELS4_3ELNS0_20block_scan_algorithmE0ELj4294967295EEENS1_25partition_config_selectorILNS1_17partition_subalgoE4EjNS0_10empty_typeEbEEZZNS1_14partition_implILS8_4ELb0ES6_15HIP_vector_typeIjLj2EENS0_17counting_iteratorIjlEEPS9_SG_NS0_5tupleIJPjSI_NS0_16reverse_iteratorISI_EEEEENSH_IJSG_SG_SG_EEES9_SI_JZNS1_25segmented_radix_sort_implINS0_14default_configELb0EPKlPlSQ_SR_N2at6native12_GLOBAL__N_18offset_tEEE10hipError_tPvRmT1_PNSt15iterator_traitsISZ_E10value_typeET2_T3_PNS10_IS15_E10value_typeET4_jRbjT5_S1B_jjP12ihipStream_tbEUljE_ZNSN_ISO_Lb0ESQ_SR_SQ_SR_SV_EESW_SX_SY_SZ_S13_S14_S15_S18_S19_jS1A_jS1B_S1B_jjS1D_bEUljE0_EEESW_SX_SY_S15_S19_S1B_T6_T7_T9_mT8_S1D_bDpT10_ENKUlT_T0_E_clISt17integral_constantIbLb1EES1Q_IbLb0EEEEDaS1M_S1N_EUlS1M_E_NS1_11comp_targetILNS1_3genE2ELNS1_11target_archE906ELNS1_3gpuE6ELNS1_3repE0EEENS1_30default_config_static_selectorELNS0_4arch9wavefront6targetE0EEEvSZ_.uses_vcc, 0
	.set _ZN7rocprim17ROCPRIM_400000_NS6detail17trampoline_kernelINS0_13select_configILj256ELj13ELNS0_17block_load_methodE3ELS4_3ELS4_3ELNS0_20block_scan_algorithmE0ELj4294967295EEENS1_25partition_config_selectorILNS1_17partition_subalgoE4EjNS0_10empty_typeEbEEZZNS1_14partition_implILS8_4ELb0ES6_15HIP_vector_typeIjLj2EENS0_17counting_iteratorIjlEEPS9_SG_NS0_5tupleIJPjSI_NS0_16reverse_iteratorISI_EEEEENSH_IJSG_SG_SG_EEES9_SI_JZNS1_25segmented_radix_sort_implINS0_14default_configELb0EPKlPlSQ_SR_N2at6native12_GLOBAL__N_18offset_tEEE10hipError_tPvRmT1_PNSt15iterator_traitsISZ_E10value_typeET2_T3_PNS10_IS15_E10value_typeET4_jRbjT5_S1B_jjP12ihipStream_tbEUljE_ZNSN_ISO_Lb0ESQ_SR_SQ_SR_SV_EESW_SX_SY_SZ_S13_S14_S15_S18_S19_jS1A_jS1B_S1B_jjS1D_bEUljE0_EEESW_SX_SY_S15_S19_S1B_T6_T7_T9_mT8_S1D_bDpT10_ENKUlT_T0_E_clISt17integral_constantIbLb1EES1Q_IbLb0EEEEDaS1M_S1N_EUlS1M_E_NS1_11comp_targetILNS1_3genE2ELNS1_11target_archE906ELNS1_3gpuE6ELNS1_3repE0EEENS1_30default_config_static_selectorELNS0_4arch9wavefront6targetE0EEEvSZ_.uses_flat_scratch, 0
	.set _ZN7rocprim17ROCPRIM_400000_NS6detail17trampoline_kernelINS0_13select_configILj256ELj13ELNS0_17block_load_methodE3ELS4_3ELS4_3ELNS0_20block_scan_algorithmE0ELj4294967295EEENS1_25partition_config_selectorILNS1_17partition_subalgoE4EjNS0_10empty_typeEbEEZZNS1_14partition_implILS8_4ELb0ES6_15HIP_vector_typeIjLj2EENS0_17counting_iteratorIjlEEPS9_SG_NS0_5tupleIJPjSI_NS0_16reverse_iteratorISI_EEEEENSH_IJSG_SG_SG_EEES9_SI_JZNS1_25segmented_radix_sort_implINS0_14default_configELb0EPKlPlSQ_SR_N2at6native12_GLOBAL__N_18offset_tEEE10hipError_tPvRmT1_PNSt15iterator_traitsISZ_E10value_typeET2_T3_PNS10_IS15_E10value_typeET4_jRbjT5_S1B_jjP12ihipStream_tbEUljE_ZNSN_ISO_Lb0ESQ_SR_SQ_SR_SV_EESW_SX_SY_SZ_S13_S14_S15_S18_S19_jS1A_jS1B_S1B_jjS1D_bEUljE0_EEESW_SX_SY_S15_S19_S1B_T6_T7_T9_mT8_S1D_bDpT10_ENKUlT_T0_E_clISt17integral_constantIbLb1EES1Q_IbLb0EEEEDaS1M_S1N_EUlS1M_E_NS1_11comp_targetILNS1_3genE2ELNS1_11target_archE906ELNS1_3gpuE6ELNS1_3repE0EEENS1_30default_config_static_selectorELNS0_4arch9wavefront6targetE0EEEvSZ_.has_dyn_sized_stack, 0
	.set _ZN7rocprim17ROCPRIM_400000_NS6detail17trampoline_kernelINS0_13select_configILj256ELj13ELNS0_17block_load_methodE3ELS4_3ELS4_3ELNS0_20block_scan_algorithmE0ELj4294967295EEENS1_25partition_config_selectorILNS1_17partition_subalgoE4EjNS0_10empty_typeEbEEZZNS1_14partition_implILS8_4ELb0ES6_15HIP_vector_typeIjLj2EENS0_17counting_iteratorIjlEEPS9_SG_NS0_5tupleIJPjSI_NS0_16reverse_iteratorISI_EEEEENSH_IJSG_SG_SG_EEES9_SI_JZNS1_25segmented_radix_sort_implINS0_14default_configELb0EPKlPlSQ_SR_N2at6native12_GLOBAL__N_18offset_tEEE10hipError_tPvRmT1_PNSt15iterator_traitsISZ_E10value_typeET2_T3_PNS10_IS15_E10value_typeET4_jRbjT5_S1B_jjP12ihipStream_tbEUljE_ZNSN_ISO_Lb0ESQ_SR_SQ_SR_SV_EESW_SX_SY_SZ_S13_S14_S15_S18_S19_jS1A_jS1B_S1B_jjS1D_bEUljE0_EEESW_SX_SY_S15_S19_S1B_T6_T7_T9_mT8_S1D_bDpT10_ENKUlT_T0_E_clISt17integral_constantIbLb1EES1Q_IbLb0EEEEDaS1M_S1N_EUlS1M_E_NS1_11comp_targetILNS1_3genE2ELNS1_11target_archE906ELNS1_3gpuE6ELNS1_3repE0EEENS1_30default_config_static_selectorELNS0_4arch9wavefront6targetE0EEEvSZ_.has_recursion, 0
	.set _ZN7rocprim17ROCPRIM_400000_NS6detail17trampoline_kernelINS0_13select_configILj256ELj13ELNS0_17block_load_methodE3ELS4_3ELS4_3ELNS0_20block_scan_algorithmE0ELj4294967295EEENS1_25partition_config_selectorILNS1_17partition_subalgoE4EjNS0_10empty_typeEbEEZZNS1_14partition_implILS8_4ELb0ES6_15HIP_vector_typeIjLj2EENS0_17counting_iteratorIjlEEPS9_SG_NS0_5tupleIJPjSI_NS0_16reverse_iteratorISI_EEEEENSH_IJSG_SG_SG_EEES9_SI_JZNS1_25segmented_radix_sort_implINS0_14default_configELb0EPKlPlSQ_SR_N2at6native12_GLOBAL__N_18offset_tEEE10hipError_tPvRmT1_PNSt15iterator_traitsISZ_E10value_typeET2_T3_PNS10_IS15_E10value_typeET4_jRbjT5_S1B_jjP12ihipStream_tbEUljE_ZNSN_ISO_Lb0ESQ_SR_SQ_SR_SV_EESW_SX_SY_SZ_S13_S14_S15_S18_S19_jS1A_jS1B_S1B_jjS1D_bEUljE0_EEESW_SX_SY_S15_S19_S1B_T6_T7_T9_mT8_S1D_bDpT10_ENKUlT_T0_E_clISt17integral_constantIbLb1EES1Q_IbLb0EEEEDaS1M_S1N_EUlS1M_E_NS1_11comp_targetILNS1_3genE2ELNS1_11target_archE906ELNS1_3gpuE6ELNS1_3repE0EEENS1_30default_config_static_selectorELNS0_4arch9wavefront6targetE0EEEvSZ_.has_indirect_call, 0
	.section	.AMDGPU.csdata,"",@progbits
; Kernel info:
; codeLenInByte = 0
; TotalNumSgprs: 0
; NumVgprs: 0
; ScratchSize: 0
; MemoryBound: 0
; FloatMode: 240
; IeeeMode: 1
; LDSByteSize: 0 bytes/workgroup (compile time only)
; SGPRBlocks: 0
; VGPRBlocks: 0
; NumSGPRsForWavesPerEU: 1
; NumVGPRsForWavesPerEU: 1
; NamedBarCnt: 0
; Occupancy: 16
; WaveLimiterHint : 0
; COMPUTE_PGM_RSRC2:SCRATCH_EN: 0
; COMPUTE_PGM_RSRC2:USER_SGPR: 2
; COMPUTE_PGM_RSRC2:TRAP_HANDLER: 0
; COMPUTE_PGM_RSRC2:TGID_X_EN: 1
; COMPUTE_PGM_RSRC2:TGID_Y_EN: 0
; COMPUTE_PGM_RSRC2:TGID_Z_EN: 0
; COMPUTE_PGM_RSRC2:TIDIG_COMP_CNT: 0
	.section	.text._ZN7rocprim17ROCPRIM_400000_NS6detail17trampoline_kernelINS0_13select_configILj256ELj13ELNS0_17block_load_methodE3ELS4_3ELS4_3ELNS0_20block_scan_algorithmE0ELj4294967295EEENS1_25partition_config_selectorILNS1_17partition_subalgoE4EjNS0_10empty_typeEbEEZZNS1_14partition_implILS8_4ELb0ES6_15HIP_vector_typeIjLj2EENS0_17counting_iteratorIjlEEPS9_SG_NS0_5tupleIJPjSI_NS0_16reverse_iteratorISI_EEEEENSH_IJSG_SG_SG_EEES9_SI_JZNS1_25segmented_radix_sort_implINS0_14default_configELb0EPKlPlSQ_SR_N2at6native12_GLOBAL__N_18offset_tEEE10hipError_tPvRmT1_PNSt15iterator_traitsISZ_E10value_typeET2_T3_PNS10_IS15_E10value_typeET4_jRbjT5_S1B_jjP12ihipStream_tbEUljE_ZNSN_ISO_Lb0ESQ_SR_SQ_SR_SV_EESW_SX_SY_SZ_S13_S14_S15_S18_S19_jS1A_jS1B_S1B_jjS1D_bEUljE0_EEESW_SX_SY_S15_S19_S1B_T6_T7_T9_mT8_S1D_bDpT10_ENKUlT_T0_E_clISt17integral_constantIbLb1EES1Q_IbLb0EEEEDaS1M_S1N_EUlS1M_E_NS1_11comp_targetILNS1_3genE10ELNS1_11target_archE1200ELNS1_3gpuE4ELNS1_3repE0EEENS1_30default_config_static_selectorELNS0_4arch9wavefront6targetE0EEEvSZ_,"axG",@progbits,_ZN7rocprim17ROCPRIM_400000_NS6detail17trampoline_kernelINS0_13select_configILj256ELj13ELNS0_17block_load_methodE3ELS4_3ELS4_3ELNS0_20block_scan_algorithmE0ELj4294967295EEENS1_25partition_config_selectorILNS1_17partition_subalgoE4EjNS0_10empty_typeEbEEZZNS1_14partition_implILS8_4ELb0ES6_15HIP_vector_typeIjLj2EENS0_17counting_iteratorIjlEEPS9_SG_NS0_5tupleIJPjSI_NS0_16reverse_iteratorISI_EEEEENSH_IJSG_SG_SG_EEES9_SI_JZNS1_25segmented_radix_sort_implINS0_14default_configELb0EPKlPlSQ_SR_N2at6native12_GLOBAL__N_18offset_tEEE10hipError_tPvRmT1_PNSt15iterator_traitsISZ_E10value_typeET2_T3_PNS10_IS15_E10value_typeET4_jRbjT5_S1B_jjP12ihipStream_tbEUljE_ZNSN_ISO_Lb0ESQ_SR_SQ_SR_SV_EESW_SX_SY_SZ_S13_S14_S15_S18_S19_jS1A_jS1B_S1B_jjS1D_bEUljE0_EEESW_SX_SY_S15_S19_S1B_T6_T7_T9_mT8_S1D_bDpT10_ENKUlT_T0_E_clISt17integral_constantIbLb1EES1Q_IbLb0EEEEDaS1M_S1N_EUlS1M_E_NS1_11comp_targetILNS1_3genE10ELNS1_11target_archE1200ELNS1_3gpuE4ELNS1_3repE0EEENS1_30default_config_static_selectorELNS0_4arch9wavefront6targetE0EEEvSZ_,comdat
	.globl	_ZN7rocprim17ROCPRIM_400000_NS6detail17trampoline_kernelINS0_13select_configILj256ELj13ELNS0_17block_load_methodE3ELS4_3ELS4_3ELNS0_20block_scan_algorithmE0ELj4294967295EEENS1_25partition_config_selectorILNS1_17partition_subalgoE4EjNS0_10empty_typeEbEEZZNS1_14partition_implILS8_4ELb0ES6_15HIP_vector_typeIjLj2EENS0_17counting_iteratorIjlEEPS9_SG_NS0_5tupleIJPjSI_NS0_16reverse_iteratorISI_EEEEENSH_IJSG_SG_SG_EEES9_SI_JZNS1_25segmented_radix_sort_implINS0_14default_configELb0EPKlPlSQ_SR_N2at6native12_GLOBAL__N_18offset_tEEE10hipError_tPvRmT1_PNSt15iterator_traitsISZ_E10value_typeET2_T3_PNS10_IS15_E10value_typeET4_jRbjT5_S1B_jjP12ihipStream_tbEUljE_ZNSN_ISO_Lb0ESQ_SR_SQ_SR_SV_EESW_SX_SY_SZ_S13_S14_S15_S18_S19_jS1A_jS1B_S1B_jjS1D_bEUljE0_EEESW_SX_SY_S15_S19_S1B_T6_T7_T9_mT8_S1D_bDpT10_ENKUlT_T0_E_clISt17integral_constantIbLb1EES1Q_IbLb0EEEEDaS1M_S1N_EUlS1M_E_NS1_11comp_targetILNS1_3genE10ELNS1_11target_archE1200ELNS1_3gpuE4ELNS1_3repE0EEENS1_30default_config_static_selectorELNS0_4arch9wavefront6targetE0EEEvSZ_ ; -- Begin function _ZN7rocprim17ROCPRIM_400000_NS6detail17trampoline_kernelINS0_13select_configILj256ELj13ELNS0_17block_load_methodE3ELS4_3ELS4_3ELNS0_20block_scan_algorithmE0ELj4294967295EEENS1_25partition_config_selectorILNS1_17partition_subalgoE4EjNS0_10empty_typeEbEEZZNS1_14partition_implILS8_4ELb0ES6_15HIP_vector_typeIjLj2EENS0_17counting_iteratorIjlEEPS9_SG_NS0_5tupleIJPjSI_NS0_16reverse_iteratorISI_EEEEENSH_IJSG_SG_SG_EEES9_SI_JZNS1_25segmented_radix_sort_implINS0_14default_configELb0EPKlPlSQ_SR_N2at6native12_GLOBAL__N_18offset_tEEE10hipError_tPvRmT1_PNSt15iterator_traitsISZ_E10value_typeET2_T3_PNS10_IS15_E10value_typeET4_jRbjT5_S1B_jjP12ihipStream_tbEUljE_ZNSN_ISO_Lb0ESQ_SR_SQ_SR_SV_EESW_SX_SY_SZ_S13_S14_S15_S18_S19_jS1A_jS1B_S1B_jjS1D_bEUljE0_EEESW_SX_SY_S15_S19_S1B_T6_T7_T9_mT8_S1D_bDpT10_ENKUlT_T0_E_clISt17integral_constantIbLb1EES1Q_IbLb0EEEEDaS1M_S1N_EUlS1M_E_NS1_11comp_targetILNS1_3genE10ELNS1_11target_archE1200ELNS1_3gpuE4ELNS1_3repE0EEENS1_30default_config_static_selectorELNS0_4arch9wavefront6targetE0EEEvSZ_
	.p2align	8
	.type	_ZN7rocprim17ROCPRIM_400000_NS6detail17trampoline_kernelINS0_13select_configILj256ELj13ELNS0_17block_load_methodE3ELS4_3ELS4_3ELNS0_20block_scan_algorithmE0ELj4294967295EEENS1_25partition_config_selectorILNS1_17partition_subalgoE4EjNS0_10empty_typeEbEEZZNS1_14partition_implILS8_4ELb0ES6_15HIP_vector_typeIjLj2EENS0_17counting_iteratorIjlEEPS9_SG_NS0_5tupleIJPjSI_NS0_16reverse_iteratorISI_EEEEENSH_IJSG_SG_SG_EEES9_SI_JZNS1_25segmented_radix_sort_implINS0_14default_configELb0EPKlPlSQ_SR_N2at6native12_GLOBAL__N_18offset_tEEE10hipError_tPvRmT1_PNSt15iterator_traitsISZ_E10value_typeET2_T3_PNS10_IS15_E10value_typeET4_jRbjT5_S1B_jjP12ihipStream_tbEUljE_ZNSN_ISO_Lb0ESQ_SR_SQ_SR_SV_EESW_SX_SY_SZ_S13_S14_S15_S18_S19_jS1A_jS1B_S1B_jjS1D_bEUljE0_EEESW_SX_SY_S15_S19_S1B_T6_T7_T9_mT8_S1D_bDpT10_ENKUlT_T0_E_clISt17integral_constantIbLb1EES1Q_IbLb0EEEEDaS1M_S1N_EUlS1M_E_NS1_11comp_targetILNS1_3genE10ELNS1_11target_archE1200ELNS1_3gpuE4ELNS1_3repE0EEENS1_30default_config_static_selectorELNS0_4arch9wavefront6targetE0EEEvSZ_,@function
_ZN7rocprim17ROCPRIM_400000_NS6detail17trampoline_kernelINS0_13select_configILj256ELj13ELNS0_17block_load_methodE3ELS4_3ELS4_3ELNS0_20block_scan_algorithmE0ELj4294967295EEENS1_25partition_config_selectorILNS1_17partition_subalgoE4EjNS0_10empty_typeEbEEZZNS1_14partition_implILS8_4ELb0ES6_15HIP_vector_typeIjLj2EENS0_17counting_iteratorIjlEEPS9_SG_NS0_5tupleIJPjSI_NS0_16reverse_iteratorISI_EEEEENSH_IJSG_SG_SG_EEES9_SI_JZNS1_25segmented_radix_sort_implINS0_14default_configELb0EPKlPlSQ_SR_N2at6native12_GLOBAL__N_18offset_tEEE10hipError_tPvRmT1_PNSt15iterator_traitsISZ_E10value_typeET2_T3_PNS10_IS15_E10value_typeET4_jRbjT5_S1B_jjP12ihipStream_tbEUljE_ZNSN_ISO_Lb0ESQ_SR_SQ_SR_SV_EESW_SX_SY_SZ_S13_S14_S15_S18_S19_jS1A_jS1B_S1B_jjS1D_bEUljE0_EEESW_SX_SY_S15_S19_S1B_T6_T7_T9_mT8_S1D_bDpT10_ENKUlT_T0_E_clISt17integral_constantIbLb1EES1Q_IbLb0EEEEDaS1M_S1N_EUlS1M_E_NS1_11comp_targetILNS1_3genE10ELNS1_11target_archE1200ELNS1_3gpuE4ELNS1_3repE0EEENS1_30default_config_static_selectorELNS0_4arch9wavefront6targetE0EEEvSZ_: ; @_ZN7rocprim17ROCPRIM_400000_NS6detail17trampoline_kernelINS0_13select_configILj256ELj13ELNS0_17block_load_methodE3ELS4_3ELS4_3ELNS0_20block_scan_algorithmE0ELj4294967295EEENS1_25partition_config_selectorILNS1_17partition_subalgoE4EjNS0_10empty_typeEbEEZZNS1_14partition_implILS8_4ELb0ES6_15HIP_vector_typeIjLj2EENS0_17counting_iteratorIjlEEPS9_SG_NS0_5tupleIJPjSI_NS0_16reverse_iteratorISI_EEEEENSH_IJSG_SG_SG_EEES9_SI_JZNS1_25segmented_radix_sort_implINS0_14default_configELb0EPKlPlSQ_SR_N2at6native12_GLOBAL__N_18offset_tEEE10hipError_tPvRmT1_PNSt15iterator_traitsISZ_E10value_typeET2_T3_PNS10_IS15_E10value_typeET4_jRbjT5_S1B_jjP12ihipStream_tbEUljE_ZNSN_ISO_Lb0ESQ_SR_SQ_SR_SV_EESW_SX_SY_SZ_S13_S14_S15_S18_S19_jS1A_jS1B_S1B_jjS1D_bEUljE0_EEESW_SX_SY_S15_S19_S1B_T6_T7_T9_mT8_S1D_bDpT10_ENKUlT_T0_E_clISt17integral_constantIbLb1EES1Q_IbLb0EEEEDaS1M_S1N_EUlS1M_E_NS1_11comp_targetILNS1_3genE10ELNS1_11target_archE1200ELNS1_3gpuE4ELNS1_3repE0EEENS1_30default_config_static_selectorELNS0_4arch9wavefront6targetE0EEEvSZ_
; %bb.0:
	.section	.rodata,"a",@progbits
	.p2align	6, 0x0
	.amdhsa_kernel _ZN7rocprim17ROCPRIM_400000_NS6detail17trampoline_kernelINS0_13select_configILj256ELj13ELNS0_17block_load_methodE3ELS4_3ELS4_3ELNS0_20block_scan_algorithmE0ELj4294967295EEENS1_25partition_config_selectorILNS1_17partition_subalgoE4EjNS0_10empty_typeEbEEZZNS1_14partition_implILS8_4ELb0ES6_15HIP_vector_typeIjLj2EENS0_17counting_iteratorIjlEEPS9_SG_NS0_5tupleIJPjSI_NS0_16reverse_iteratorISI_EEEEENSH_IJSG_SG_SG_EEES9_SI_JZNS1_25segmented_radix_sort_implINS0_14default_configELb0EPKlPlSQ_SR_N2at6native12_GLOBAL__N_18offset_tEEE10hipError_tPvRmT1_PNSt15iterator_traitsISZ_E10value_typeET2_T3_PNS10_IS15_E10value_typeET4_jRbjT5_S1B_jjP12ihipStream_tbEUljE_ZNSN_ISO_Lb0ESQ_SR_SQ_SR_SV_EESW_SX_SY_SZ_S13_S14_S15_S18_S19_jS1A_jS1B_S1B_jjS1D_bEUljE0_EEESW_SX_SY_S15_S19_S1B_T6_T7_T9_mT8_S1D_bDpT10_ENKUlT_T0_E_clISt17integral_constantIbLb1EES1Q_IbLb0EEEEDaS1M_S1N_EUlS1M_E_NS1_11comp_targetILNS1_3genE10ELNS1_11target_archE1200ELNS1_3gpuE4ELNS1_3repE0EEENS1_30default_config_static_selectorELNS0_4arch9wavefront6targetE0EEEvSZ_
		.amdhsa_group_segment_fixed_size 0
		.amdhsa_private_segment_fixed_size 0
		.amdhsa_kernarg_size 176
		.amdhsa_user_sgpr_count 2
		.amdhsa_user_sgpr_dispatch_ptr 0
		.amdhsa_user_sgpr_queue_ptr 0
		.amdhsa_user_sgpr_kernarg_segment_ptr 1
		.amdhsa_user_sgpr_dispatch_id 0
		.amdhsa_user_sgpr_kernarg_preload_length 0
		.amdhsa_user_sgpr_kernarg_preload_offset 0
		.amdhsa_user_sgpr_private_segment_size 0
		.amdhsa_wavefront_size32 1
		.amdhsa_uses_dynamic_stack 0
		.amdhsa_enable_private_segment 0
		.amdhsa_system_sgpr_workgroup_id_x 1
		.amdhsa_system_sgpr_workgroup_id_y 0
		.amdhsa_system_sgpr_workgroup_id_z 0
		.amdhsa_system_sgpr_workgroup_info 0
		.amdhsa_system_vgpr_workitem_id 0
		.amdhsa_next_free_vgpr 1
		.amdhsa_next_free_sgpr 1
		.amdhsa_named_barrier_count 0
		.amdhsa_reserve_vcc 0
		.amdhsa_float_round_mode_32 0
		.amdhsa_float_round_mode_16_64 0
		.amdhsa_float_denorm_mode_32 3
		.amdhsa_float_denorm_mode_16_64 3
		.amdhsa_fp16_overflow 0
		.amdhsa_memory_ordered 1
		.amdhsa_forward_progress 1
		.amdhsa_inst_pref_size 0
		.amdhsa_round_robin_scheduling 0
		.amdhsa_exception_fp_ieee_invalid_op 0
		.amdhsa_exception_fp_denorm_src 0
		.amdhsa_exception_fp_ieee_div_zero 0
		.amdhsa_exception_fp_ieee_overflow 0
		.amdhsa_exception_fp_ieee_underflow 0
		.amdhsa_exception_fp_ieee_inexact 0
		.amdhsa_exception_int_div_zero 0
	.end_amdhsa_kernel
	.section	.text._ZN7rocprim17ROCPRIM_400000_NS6detail17trampoline_kernelINS0_13select_configILj256ELj13ELNS0_17block_load_methodE3ELS4_3ELS4_3ELNS0_20block_scan_algorithmE0ELj4294967295EEENS1_25partition_config_selectorILNS1_17partition_subalgoE4EjNS0_10empty_typeEbEEZZNS1_14partition_implILS8_4ELb0ES6_15HIP_vector_typeIjLj2EENS0_17counting_iteratorIjlEEPS9_SG_NS0_5tupleIJPjSI_NS0_16reverse_iteratorISI_EEEEENSH_IJSG_SG_SG_EEES9_SI_JZNS1_25segmented_radix_sort_implINS0_14default_configELb0EPKlPlSQ_SR_N2at6native12_GLOBAL__N_18offset_tEEE10hipError_tPvRmT1_PNSt15iterator_traitsISZ_E10value_typeET2_T3_PNS10_IS15_E10value_typeET4_jRbjT5_S1B_jjP12ihipStream_tbEUljE_ZNSN_ISO_Lb0ESQ_SR_SQ_SR_SV_EESW_SX_SY_SZ_S13_S14_S15_S18_S19_jS1A_jS1B_S1B_jjS1D_bEUljE0_EEESW_SX_SY_S15_S19_S1B_T6_T7_T9_mT8_S1D_bDpT10_ENKUlT_T0_E_clISt17integral_constantIbLb1EES1Q_IbLb0EEEEDaS1M_S1N_EUlS1M_E_NS1_11comp_targetILNS1_3genE10ELNS1_11target_archE1200ELNS1_3gpuE4ELNS1_3repE0EEENS1_30default_config_static_selectorELNS0_4arch9wavefront6targetE0EEEvSZ_,"axG",@progbits,_ZN7rocprim17ROCPRIM_400000_NS6detail17trampoline_kernelINS0_13select_configILj256ELj13ELNS0_17block_load_methodE3ELS4_3ELS4_3ELNS0_20block_scan_algorithmE0ELj4294967295EEENS1_25partition_config_selectorILNS1_17partition_subalgoE4EjNS0_10empty_typeEbEEZZNS1_14partition_implILS8_4ELb0ES6_15HIP_vector_typeIjLj2EENS0_17counting_iteratorIjlEEPS9_SG_NS0_5tupleIJPjSI_NS0_16reverse_iteratorISI_EEEEENSH_IJSG_SG_SG_EEES9_SI_JZNS1_25segmented_radix_sort_implINS0_14default_configELb0EPKlPlSQ_SR_N2at6native12_GLOBAL__N_18offset_tEEE10hipError_tPvRmT1_PNSt15iterator_traitsISZ_E10value_typeET2_T3_PNS10_IS15_E10value_typeET4_jRbjT5_S1B_jjP12ihipStream_tbEUljE_ZNSN_ISO_Lb0ESQ_SR_SQ_SR_SV_EESW_SX_SY_SZ_S13_S14_S15_S18_S19_jS1A_jS1B_S1B_jjS1D_bEUljE0_EEESW_SX_SY_S15_S19_S1B_T6_T7_T9_mT8_S1D_bDpT10_ENKUlT_T0_E_clISt17integral_constantIbLb1EES1Q_IbLb0EEEEDaS1M_S1N_EUlS1M_E_NS1_11comp_targetILNS1_3genE10ELNS1_11target_archE1200ELNS1_3gpuE4ELNS1_3repE0EEENS1_30default_config_static_selectorELNS0_4arch9wavefront6targetE0EEEvSZ_,comdat
.Lfunc_end760:
	.size	_ZN7rocprim17ROCPRIM_400000_NS6detail17trampoline_kernelINS0_13select_configILj256ELj13ELNS0_17block_load_methodE3ELS4_3ELS4_3ELNS0_20block_scan_algorithmE0ELj4294967295EEENS1_25partition_config_selectorILNS1_17partition_subalgoE4EjNS0_10empty_typeEbEEZZNS1_14partition_implILS8_4ELb0ES6_15HIP_vector_typeIjLj2EENS0_17counting_iteratorIjlEEPS9_SG_NS0_5tupleIJPjSI_NS0_16reverse_iteratorISI_EEEEENSH_IJSG_SG_SG_EEES9_SI_JZNS1_25segmented_radix_sort_implINS0_14default_configELb0EPKlPlSQ_SR_N2at6native12_GLOBAL__N_18offset_tEEE10hipError_tPvRmT1_PNSt15iterator_traitsISZ_E10value_typeET2_T3_PNS10_IS15_E10value_typeET4_jRbjT5_S1B_jjP12ihipStream_tbEUljE_ZNSN_ISO_Lb0ESQ_SR_SQ_SR_SV_EESW_SX_SY_SZ_S13_S14_S15_S18_S19_jS1A_jS1B_S1B_jjS1D_bEUljE0_EEESW_SX_SY_S15_S19_S1B_T6_T7_T9_mT8_S1D_bDpT10_ENKUlT_T0_E_clISt17integral_constantIbLb1EES1Q_IbLb0EEEEDaS1M_S1N_EUlS1M_E_NS1_11comp_targetILNS1_3genE10ELNS1_11target_archE1200ELNS1_3gpuE4ELNS1_3repE0EEENS1_30default_config_static_selectorELNS0_4arch9wavefront6targetE0EEEvSZ_, .Lfunc_end760-_ZN7rocprim17ROCPRIM_400000_NS6detail17trampoline_kernelINS0_13select_configILj256ELj13ELNS0_17block_load_methodE3ELS4_3ELS4_3ELNS0_20block_scan_algorithmE0ELj4294967295EEENS1_25partition_config_selectorILNS1_17partition_subalgoE4EjNS0_10empty_typeEbEEZZNS1_14partition_implILS8_4ELb0ES6_15HIP_vector_typeIjLj2EENS0_17counting_iteratorIjlEEPS9_SG_NS0_5tupleIJPjSI_NS0_16reverse_iteratorISI_EEEEENSH_IJSG_SG_SG_EEES9_SI_JZNS1_25segmented_radix_sort_implINS0_14default_configELb0EPKlPlSQ_SR_N2at6native12_GLOBAL__N_18offset_tEEE10hipError_tPvRmT1_PNSt15iterator_traitsISZ_E10value_typeET2_T3_PNS10_IS15_E10value_typeET4_jRbjT5_S1B_jjP12ihipStream_tbEUljE_ZNSN_ISO_Lb0ESQ_SR_SQ_SR_SV_EESW_SX_SY_SZ_S13_S14_S15_S18_S19_jS1A_jS1B_S1B_jjS1D_bEUljE0_EEESW_SX_SY_S15_S19_S1B_T6_T7_T9_mT8_S1D_bDpT10_ENKUlT_T0_E_clISt17integral_constantIbLb1EES1Q_IbLb0EEEEDaS1M_S1N_EUlS1M_E_NS1_11comp_targetILNS1_3genE10ELNS1_11target_archE1200ELNS1_3gpuE4ELNS1_3repE0EEENS1_30default_config_static_selectorELNS0_4arch9wavefront6targetE0EEEvSZ_
                                        ; -- End function
	.set _ZN7rocprim17ROCPRIM_400000_NS6detail17trampoline_kernelINS0_13select_configILj256ELj13ELNS0_17block_load_methodE3ELS4_3ELS4_3ELNS0_20block_scan_algorithmE0ELj4294967295EEENS1_25partition_config_selectorILNS1_17partition_subalgoE4EjNS0_10empty_typeEbEEZZNS1_14partition_implILS8_4ELb0ES6_15HIP_vector_typeIjLj2EENS0_17counting_iteratorIjlEEPS9_SG_NS0_5tupleIJPjSI_NS0_16reverse_iteratorISI_EEEEENSH_IJSG_SG_SG_EEES9_SI_JZNS1_25segmented_radix_sort_implINS0_14default_configELb0EPKlPlSQ_SR_N2at6native12_GLOBAL__N_18offset_tEEE10hipError_tPvRmT1_PNSt15iterator_traitsISZ_E10value_typeET2_T3_PNS10_IS15_E10value_typeET4_jRbjT5_S1B_jjP12ihipStream_tbEUljE_ZNSN_ISO_Lb0ESQ_SR_SQ_SR_SV_EESW_SX_SY_SZ_S13_S14_S15_S18_S19_jS1A_jS1B_S1B_jjS1D_bEUljE0_EEESW_SX_SY_S15_S19_S1B_T6_T7_T9_mT8_S1D_bDpT10_ENKUlT_T0_E_clISt17integral_constantIbLb1EES1Q_IbLb0EEEEDaS1M_S1N_EUlS1M_E_NS1_11comp_targetILNS1_3genE10ELNS1_11target_archE1200ELNS1_3gpuE4ELNS1_3repE0EEENS1_30default_config_static_selectorELNS0_4arch9wavefront6targetE0EEEvSZ_.num_vgpr, 0
	.set _ZN7rocprim17ROCPRIM_400000_NS6detail17trampoline_kernelINS0_13select_configILj256ELj13ELNS0_17block_load_methodE3ELS4_3ELS4_3ELNS0_20block_scan_algorithmE0ELj4294967295EEENS1_25partition_config_selectorILNS1_17partition_subalgoE4EjNS0_10empty_typeEbEEZZNS1_14partition_implILS8_4ELb0ES6_15HIP_vector_typeIjLj2EENS0_17counting_iteratorIjlEEPS9_SG_NS0_5tupleIJPjSI_NS0_16reverse_iteratorISI_EEEEENSH_IJSG_SG_SG_EEES9_SI_JZNS1_25segmented_radix_sort_implINS0_14default_configELb0EPKlPlSQ_SR_N2at6native12_GLOBAL__N_18offset_tEEE10hipError_tPvRmT1_PNSt15iterator_traitsISZ_E10value_typeET2_T3_PNS10_IS15_E10value_typeET4_jRbjT5_S1B_jjP12ihipStream_tbEUljE_ZNSN_ISO_Lb0ESQ_SR_SQ_SR_SV_EESW_SX_SY_SZ_S13_S14_S15_S18_S19_jS1A_jS1B_S1B_jjS1D_bEUljE0_EEESW_SX_SY_S15_S19_S1B_T6_T7_T9_mT8_S1D_bDpT10_ENKUlT_T0_E_clISt17integral_constantIbLb1EES1Q_IbLb0EEEEDaS1M_S1N_EUlS1M_E_NS1_11comp_targetILNS1_3genE10ELNS1_11target_archE1200ELNS1_3gpuE4ELNS1_3repE0EEENS1_30default_config_static_selectorELNS0_4arch9wavefront6targetE0EEEvSZ_.num_agpr, 0
	.set _ZN7rocprim17ROCPRIM_400000_NS6detail17trampoline_kernelINS0_13select_configILj256ELj13ELNS0_17block_load_methodE3ELS4_3ELS4_3ELNS0_20block_scan_algorithmE0ELj4294967295EEENS1_25partition_config_selectorILNS1_17partition_subalgoE4EjNS0_10empty_typeEbEEZZNS1_14partition_implILS8_4ELb0ES6_15HIP_vector_typeIjLj2EENS0_17counting_iteratorIjlEEPS9_SG_NS0_5tupleIJPjSI_NS0_16reverse_iteratorISI_EEEEENSH_IJSG_SG_SG_EEES9_SI_JZNS1_25segmented_radix_sort_implINS0_14default_configELb0EPKlPlSQ_SR_N2at6native12_GLOBAL__N_18offset_tEEE10hipError_tPvRmT1_PNSt15iterator_traitsISZ_E10value_typeET2_T3_PNS10_IS15_E10value_typeET4_jRbjT5_S1B_jjP12ihipStream_tbEUljE_ZNSN_ISO_Lb0ESQ_SR_SQ_SR_SV_EESW_SX_SY_SZ_S13_S14_S15_S18_S19_jS1A_jS1B_S1B_jjS1D_bEUljE0_EEESW_SX_SY_S15_S19_S1B_T6_T7_T9_mT8_S1D_bDpT10_ENKUlT_T0_E_clISt17integral_constantIbLb1EES1Q_IbLb0EEEEDaS1M_S1N_EUlS1M_E_NS1_11comp_targetILNS1_3genE10ELNS1_11target_archE1200ELNS1_3gpuE4ELNS1_3repE0EEENS1_30default_config_static_selectorELNS0_4arch9wavefront6targetE0EEEvSZ_.numbered_sgpr, 0
	.set _ZN7rocprim17ROCPRIM_400000_NS6detail17trampoline_kernelINS0_13select_configILj256ELj13ELNS0_17block_load_methodE3ELS4_3ELS4_3ELNS0_20block_scan_algorithmE0ELj4294967295EEENS1_25partition_config_selectorILNS1_17partition_subalgoE4EjNS0_10empty_typeEbEEZZNS1_14partition_implILS8_4ELb0ES6_15HIP_vector_typeIjLj2EENS0_17counting_iteratorIjlEEPS9_SG_NS0_5tupleIJPjSI_NS0_16reverse_iteratorISI_EEEEENSH_IJSG_SG_SG_EEES9_SI_JZNS1_25segmented_radix_sort_implINS0_14default_configELb0EPKlPlSQ_SR_N2at6native12_GLOBAL__N_18offset_tEEE10hipError_tPvRmT1_PNSt15iterator_traitsISZ_E10value_typeET2_T3_PNS10_IS15_E10value_typeET4_jRbjT5_S1B_jjP12ihipStream_tbEUljE_ZNSN_ISO_Lb0ESQ_SR_SQ_SR_SV_EESW_SX_SY_SZ_S13_S14_S15_S18_S19_jS1A_jS1B_S1B_jjS1D_bEUljE0_EEESW_SX_SY_S15_S19_S1B_T6_T7_T9_mT8_S1D_bDpT10_ENKUlT_T0_E_clISt17integral_constantIbLb1EES1Q_IbLb0EEEEDaS1M_S1N_EUlS1M_E_NS1_11comp_targetILNS1_3genE10ELNS1_11target_archE1200ELNS1_3gpuE4ELNS1_3repE0EEENS1_30default_config_static_selectorELNS0_4arch9wavefront6targetE0EEEvSZ_.num_named_barrier, 0
	.set _ZN7rocprim17ROCPRIM_400000_NS6detail17trampoline_kernelINS0_13select_configILj256ELj13ELNS0_17block_load_methodE3ELS4_3ELS4_3ELNS0_20block_scan_algorithmE0ELj4294967295EEENS1_25partition_config_selectorILNS1_17partition_subalgoE4EjNS0_10empty_typeEbEEZZNS1_14partition_implILS8_4ELb0ES6_15HIP_vector_typeIjLj2EENS0_17counting_iteratorIjlEEPS9_SG_NS0_5tupleIJPjSI_NS0_16reverse_iteratorISI_EEEEENSH_IJSG_SG_SG_EEES9_SI_JZNS1_25segmented_radix_sort_implINS0_14default_configELb0EPKlPlSQ_SR_N2at6native12_GLOBAL__N_18offset_tEEE10hipError_tPvRmT1_PNSt15iterator_traitsISZ_E10value_typeET2_T3_PNS10_IS15_E10value_typeET4_jRbjT5_S1B_jjP12ihipStream_tbEUljE_ZNSN_ISO_Lb0ESQ_SR_SQ_SR_SV_EESW_SX_SY_SZ_S13_S14_S15_S18_S19_jS1A_jS1B_S1B_jjS1D_bEUljE0_EEESW_SX_SY_S15_S19_S1B_T6_T7_T9_mT8_S1D_bDpT10_ENKUlT_T0_E_clISt17integral_constantIbLb1EES1Q_IbLb0EEEEDaS1M_S1N_EUlS1M_E_NS1_11comp_targetILNS1_3genE10ELNS1_11target_archE1200ELNS1_3gpuE4ELNS1_3repE0EEENS1_30default_config_static_selectorELNS0_4arch9wavefront6targetE0EEEvSZ_.private_seg_size, 0
	.set _ZN7rocprim17ROCPRIM_400000_NS6detail17trampoline_kernelINS0_13select_configILj256ELj13ELNS0_17block_load_methodE3ELS4_3ELS4_3ELNS0_20block_scan_algorithmE0ELj4294967295EEENS1_25partition_config_selectorILNS1_17partition_subalgoE4EjNS0_10empty_typeEbEEZZNS1_14partition_implILS8_4ELb0ES6_15HIP_vector_typeIjLj2EENS0_17counting_iteratorIjlEEPS9_SG_NS0_5tupleIJPjSI_NS0_16reverse_iteratorISI_EEEEENSH_IJSG_SG_SG_EEES9_SI_JZNS1_25segmented_radix_sort_implINS0_14default_configELb0EPKlPlSQ_SR_N2at6native12_GLOBAL__N_18offset_tEEE10hipError_tPvRmT1_PNSt15iterator_traitsISZ_E10value_typeET2_T3_PNS10_IS15_E10value_typeET4_jRbjT5_S1B_jjP12ihipStream_tbEUljE_ZNSN_ISO_Lb0ESQ_SR_SQ_SR_SV_EESW_SX_SY_SZ_S13_S14_S15_S18_S19_jS1A_jS1B_S1B_jjS1D_bEUljE0_EEESW_SX_SY_S15_S19_S1B_T6_T7_T9_mT8_S1D_bDpT10_ENKUlT_T0_E_clISt17integral_constantIbLb1EES1Q_IbLb0EEEEDaS1M_S1N_EUlS1M_E_NS1_11comp_targetILNS1_3genE10ELNS1_11target_archE1200ELNS1_3gpuE4ELNS1_3repE0EEENS1_30default_config_static_selectorELNS0_4arch9wavefront6targetE0EEEvSZ_.uses_vcc, 0
	.set _ZN7rocprim17ROCPRIM_400000_NS6detail17trampoline_kernelINS0_13select_configILj256ELj13ELNS0_17block_load_methodE3ELS4_3ELS4_3ELNS0_20block_scan_algorithmE0ELj4294967295EEENS1_25partition_config_selectorILNS1_17partition_subalgoE4EjNS0_10empty_typeEbEEZZNS1_14partition_implILS8_4ELb0ES6_15HIP_vector_typeIjLj2EENS0_17counting_iteratorIjlEEPS9_SG_NS0_5tupleIJPjSI_NS0_16reverse_iteratorISI_EEEEENSH_IJSG_SG_SG_EEES9_SI_JZNS1_25segmented_radix_sort_implINS0_14default_configELb0EPKlPlSQ_SR_N2at6native12_GLOBAL__N_18offset_tEEE10hipError_tPvRmT1_PNSt15iterator_traitsISZ_E10value_typeET2_T3_PNS10_IS15_E10value_typeET4_jRbjT5_S1B_jjP12ihipStream_tbEUljE_ZNSN_ISO_Lb0ESQ_SR_SQ_SR_SV_EESW_SX_SY_SZ_S13_S14_S15_S18_S19_jS1A_jS1B_S1B_jjS1D_bEUljE0_EEESW_SX_SY_S15_S19_S1B_T6_T7_T9_mT8_S1D_bDpT10_ENKUlT_T0_E_clISt17integral_constantIbLb1EES1Q_IbLb0EEEEDaS1M_S1N_EUlS1M_E_NS1_11comp_targetILNS1_3genE10ELNS1_11target_archE1200ELNS1_3gpuE4ELNS1_3repE0EEENS1_30default_config_static_selectorELNS0_4arch9wavefront6targetE0EEEvSZ_.uses_flat_scratch, 0
	.set _ZN7rocprim17ROCPRIM_400000_NS6detail17trampoline_kernelINS0_13select_configILj256ELj13ELNS0_17block_load_methodE3ELS4_3ELS4_3ELNS0_20block_scan_algorithmE0ELj4294967295EEENS1_25partition_config_selectorILNS1_17partition_subalgoE4EjNS0_10empty_typeEbEEZZNS1_14partition_implILS8_4ELb0ES6_15HIP_vector_typeIjLj2EENS0_17counting_iteratorIjlEEPS9_SG_NS0_5tupleIJPjSI_NS0_16reverse_iteratorISI_EEEEENSH_IJSG_SG_SG_EEES9_SI_JZNS1_25segmented_radix_sort_implINS0_14default_configELb0EPKlPlSQ_SR_N2at6native12_GLOBAL__N_18offset_tEEE10hipError_tPvRmT1_PNSt15iterator_traitsISZ_E10value_typeET2_T3_PNS10_IS15_E10value_typeET4_jRbjT5_S1B_jjP12ihipStream_tbEUljE_ZNSN_ISO_Lb0ESQ_SR_SQ_SR_SV_EESW_SX_SY_SZ_S13_S14_S15_S18_S19_jS1A_jS1B_S1B_jjS1D_bEUljE0_EEESW_SX_SY_S15_S19_S1B_T6_T7_T9_mT8_S1D_bDpT10_ENKUlT_T0_E_clISt17integral_constantIbLb1EES1Q_IbLb0EEEEDaS1M_S1N_EUlS1M_E_NS1_11comp_targetILNS1_3genE10ELNS1_11target_archE1200ELNS1_3gpuE4ELNS1_3repE0EEENS1_30default_config_static_selectorELNS0_4arch9wavefront6targetE0EEEvSZ_.has_dyn_sized_stack, 0
	.set _ZN7rocprim17ROCPRIM_400000_NS6detail17trampoline_kernelINS0_13select_configILj256ELj13ELNS0_17block_load_methodE3ELS4_3ELS4_3ELNS0_20block_scan_algorithmE0ELj4294967295EEENS1_25partition_config_selectorILNS1_17partition_subalgoE4EjNS0_10empty_typeEbEEZZNS1_14partition_implILS8_4ELb0ES6_15HIP_vector_typeIjLj2EENS0_17counting_iteratorIjlEEPS9_SG_NS0_5tupleIJPjSI_NS0_16reverse_iteratorISI_EEEEENSH_IJSG_SG_SG_EEES9_SI_JZNS1_25segmented_radix_sort_implINS0_14default_configELb0EPKlPlSQ_SR_N2at6native12_GLOBAL__N_18offset_tEEE10hipError_tPvRmT1_PNSt15iterator_traitsISZ_E10value_typeET2_T3_PNS10_IS15_E10value_typeET4_jRbjT5_S1B_jjP12ihipStream_tbEUljE_ZNSN_ISO_Lb0ESQ_SR_SQ_SR_SV_EESW_SX_SY_SZ_S13_S14_S15_S18_S19_jS1A_jS1B_S1B_jjS1D_bEUljE0_EEESW_SX_SY_S15_S19_S1B_T6_T7_T9_mT8_S1D_bDpT10_ENKUlT_T0_E_clISt17integral_constantIbLb1EES1Q_IbLb0EEEEDaS1M_S1N_EUlS1M_E_NS1_11comp_targetILNS1_3genE10ELNS1_11target_archE1200ELNS1_3gpuE4ELNS1_3repE0EEENS1_30default_config_static_selectorELNS0_4arch9wavefront6targetE0EEEvSZ_.has_recursion, 0
	.set _ZN7rocprim17ROCPRIM_400000_NS6detail17trampoline_kernelINS0_13select_configILj256ELj13ELNS0_17block_load_methodE3ELS4_3ELS4_3ELNS0_20block_scan_algorithmE0ELj4294967295EEENS1_25partition_config_selectorILNS1_17partition_subalgoE4EjNS0_10empty_typeEbEEZZNS1_14partition_implILS8_4ELb0ES6_15HIP_vector_typeIjLj2EENS0_17counting_iteratorIjlEEPS9_SG_NS0_5tupleIJPjSI_NS0_16reverse_iteratorISI_EEEEENSH_IJSG_SG_SG_EEES9_SI_JZNS1_25segmented_radix_sort_implINS0_14default_configELb0EPKlPlSQ_SR_N2at6native12_GLOBAL__N_18offset_tEEE10hipError_tPvRmT1_PNSt15iterator_traitsISZ_E10value_typeET2_T3_PNS10_IS15_E10value_typeET4_jRbjT5_S1B_jjP12ihipStream_tbEUljE_ZNSN_ISO_Lb0ESQ_SR_SQ_SR_SV_EESW_SX_SY_SZ_S13_S14_S15_S18_S19_jS1A_jS1B_S1B_jjS1D_bEUljE0_EEESW_SX_SY_S15_S19_S1B_T6_T7_T9_mT8_S1D_bDpT10_ENKUlT_T0_E_clISt17integral_constantIbLb1EES1Q_IbLb0EEEEDaS1M_S1N_EUlS1M_E_NS1_11comp_targetILNS1_3genE10ELNS1_11target_archE1200ELNS1_3gpuE4ELNS1_3repE0EEENS1_30default_config_static_selectorELNS0_4arch9wavefront6targetE0EEEvSZ_.has_indirect_call, 0
	.section	.AMDGPU.csdata,"",@progbits
; Kernel info:
; codeLenInByte = 0
; TotalNumSgprs: 0
; NumVgprs: 0
; ScratchSize: 0
; MemoryBound: 0
; FloatMode: 240
; IeeeMode: 1
; LDSByteSize: 0 bytes/workgroup (compile time only)
; SGPRBlocks: 0
; VGPRBlocks: 0
; NumSGPRsForWavesPerEU: 1
; NumVGPRsForWavesPerEU: 1
; NamedBarCnt: 0
; Occupancy: 16
; WaveLimiterHint : 0
; COMPUTE_PGM_RSRC2:SCRATCH_EN: 0
; COMPUTE_PGM_RSRC2:USER_SGPR: 2
; COMPUTE_PGM_RSRC2:TRAP_HANDLER: 0
; COMPUTE_PGM_RSRC2:TGID_X_EN: 1
; COMPUTE_PGM_RSRC2:TGID_Y_EN: 0
; COMPUTE_PGM_RSRC2:TGID_Z_EN: 0
; COMPUTE_PGM_RSRC2:TIDIG_COMP_CNT: 0
	.section	.text._ZN7rocprim17ROCPRIM_400000_NS6detail17trampoline_kernelINS0_13select_configILj256ELj13ELNS0_17block_load_methodE3ELS4_3ELS4_3ELNS0_20block_scan_algorithmE0ELj4294967295EEENS1_25partition_config_selectorILNS1_17partition_subalgoE4EjNS0_10empty_typeEbEEZZNS1_14partition_implILS8_4ELb0ES6_15HIP_vector_typeIjLj2EENS0_17counting_iteratorIjlEEPS9_SG_NS0_5tupleIJPjSI_NS0_16reverse_iteratorISI_EEEEENSH_IJSG_SG_SG_EEES9_SI_JZNS1_25segmented_radix_sort_implINS0_14default_configELb0EPKlPlSQ_SR_N2at6native12_GLOBAL__N_18offset_tEEE10hipError_tPvRmT1_PNSt15iterator_traitsISZ_E10value_typeET2_T3_PNS10_IS15_E10value_typeET4_jRbjT5_S1B_jjP12ihipStream_tbEUljE_ZNSN_ISO_Lb0ESQ_SR_SQ_SR_SV_EESW_SX_SY_SZ_S13_S14_S15_S18_S19_jS1A_jS1B_S1B_jjS1D_bEUljE0_EEESW_SX_SY_S15_S19_S1B_T6_T7_T9_mT8_S1D_bDpT10_ENKUlT_T0_E_clISt17integral_constantIbLb1EES1Q_IbLb0EEEEDaS1M_S1N_EUlS1M_E_NS1_11comp_targetILNS1_3genE9ELNS1_11target_archE1100ELNS1_3gpuE3ELNS1_3repE0EEENS1_30default_config_static_selectorELNS0_4arch9wavefront6targetE0EEEvSZ_,"axG",@progbits,_ZN7rocprim17ROCPRIM_400000_NS6detail17trampoline_kernelINS0_13select_configILj256ELj13ELNS0_17block_load_methodE3ELS4_3ELS4_3ELNS0_20block_scan_algorithmE0ELj4294967295EEENS1_25partition_config_selectorILNS1_17partition_subalgoE4EjNS0_10empty_typeEbEEZZNS1_14partition_implILS8_4ELb0ES6_15HIP_vector_typeIjLj2EENS0_17counting_iteratorIjlEEPS9_SG_NS0_5tupleIJPjSI_NS0_16reverse_iteratorISI_EEEEENSH_IJSG_SG_SG_EEES9_SI_JZNS1_25segmented_radix_sort_implINS0_14default_configELb0EPKlPlSQ_SR_N2at6native12_GLOBAL__N_18offset_tEEE10hipError_tPvRmT1_PNSt15iterator_traitsISZ_E10value_typeET2_T3_PNS10_IS15_E10value_typeET4_jRbjT5_S1B_jjP12ihipStream_tbEUljE_ZNSN_ISO_Lb0ESQ_SR_SQ_SR_SV_EESW_SX_SY_SZ_S13_S14_S15_S18_S19_jS1A_jS1B_S1B_jjS1D_bEUljE0_EEESW_SX_SY_S15_S19_S1B_T6_T7_T9_mT8_S1D_bDpT10_ENKUlT_T0_E_clISt17integral_constantIbLb1EES1Q_IbLb0EEEEDaS1M_S1N_EUlS1M_E_NS1_11comp_targetILNS1_3genE9ELNS1_11target_archE1100ELNS1_3gpuE3ELNS1_3repE0EEENS1_30default_config_static_selectorELNS0_4arch9wavefront6targetE0EEEvSZ_,comdat
	.globl	_ZN7rocprim17ROCPRIM_400000_NS6detail17trampoline_kernelINS0_13select_configILj256ELj13ELNS0_17block_load_methodE3ELS4_3ELS4_3ELNS0_20block_scan_algorithmE0ELj4294967295EEENS1_25partition_config_selectorILNS1_17partition_subalgoE4EjNS0_10empty_typeEbEEZZNS1_14partition_implILS8_4ELb0ES6_15HIP_vector_typeIjLj2EENS0_17counting_iteratorIjlEEPS9_SG_NS0_5tupleIJPjSI_NS0_16reverse_iteratorISI_EEEEENSH_IJSG_SG_SG_EEES9_SI_JZNS1_25segmented_radix_sort_implINS0_14default_configELb0EPKlPlSQ_SR_N2at6native12_GLOBAL__N_18offset_tEEE10hipError_tPvRmT1_PNSt15iterator_traitsISZ_E10value_typeET2_T3_PNS10_IS15_E10value_typeET4_jRbjT5_S1B_jjP12ihipStream_tbEUljE_ZNSN_ISO_Lb0ESQ_SR_SQ_SR_SV_EESW_SX_SY_SZ_S13_S14_S15_S18_S19_jS1A_jS1B_S1B_jjS1D_bEUljE0_EEESW_SX_SY_S15_S19_S1B_T6_T7_T9_mT8_S1D_bDpT10_ENKUlT_T0_E_clISt17integral_constantIbLb1EES1Q_IbLb0EEEEDaS1M_S1N_EUlS1M_E_NS1_11comp_targetILNS1_3genE9ELNS1_11target_archE1100ELNS1_3gpuE3ELNS1_3repE0EEENS1_30default_config_static_selectorELNS0_4arch9wavefront6targetE0EEEvSZ_ ; -- Begin function _ZN7rocprim17ROCPRIM_400000_NS6detail17trampoline_kernelINS0_13select_configILj256ELj13ELNS0_17block_load_methodE3ELS4_3ELS4_3ELNS0_20block_scan_algorithmE0ELj4294967295EEENS1_25partition_config_selectorILNS1_17partition_subalgoE4EjNS0_10empty_typeEbEEZZNS1_14partition_implILS8_4ELb0ES6_15HIP_vector_typeIjLj2EENS0_17counting_iteratorIjlEEPS9_SG_NS0_5tupleIJPjSI_NS0_16reverse_iteratorISI_EEEEENSH_IJSG_SG_SG_EEES9_SI_JZNS1_25segmented_radix_sort_implINS0_14default_configELb0EPKlPlSQ_SR_N2at6native12_GLOBAL__N_18offset_tEEE10hipError_tPvRmT1_PNSt15iterator_traitsISZ_E10value_typeET2_T3_PNS10_IS15_E10value_typeET4_jRbjT5_S1B_jjP12ihipStream_tbEUljE_ZNSN_ISO_Lb0ESQ_SR_SQ_SR_SV_EESW_SX_SY_SZ_S13_S14_S15_S18_S19_jS1A_jS1B_S1B_jjS1D_bEUljE0_EEESW_SX_SY_S15_S19_S1B_T6_T7_T9_mT8_S1D_bDpT10_ENKUlT_T0_E_clISt17integral_constantIbLb1EES1Q_IbLb0EEEEDaS1M_S1N_EUlS1M_E_NS1_11comp_targetILNS1_3genE9ELNS1_11target_archE1100ELNS1_3gpuE3ELNS1_3repE0EEENS1_30default_config_static_selectorELNS0_4arch9wavefront6targetE0EEEvSZ_
	.p2align	8
	.type	_ZN7rocprim17ROCPRIM_400000_NS6detail17trampoline_kernelINS0_13select_configILj256ELj13ELNS0_17block_load_methodE3ELS4_3ELS4_3ELNS0_20block_scan_algorithmE0ELj4294967295EEENS1_25partition_config_selectorILNS1_17partition_subalgoE4EjNS0_10empty_typeEbEEZZNS1_14partition_implILS8_4ELb0ES6_15HIP_vector_typeIjLj2EENS0_17counting_iteratorIjlEEPS9_SG_NS0_5tupleIJPjSI_NS0_16reverse_iteratorISI_EEEEENSH_IJSG_SG_SG_EEES9_SI_JZNS1_25segmented_radix_sort_implINS0_14default_configELb0EPKlPlSQ_SR_N2at6native12_GLOBAL__N_18offset_tEEE10hipError_tPvRmT1_PNSt15iterator_traitsISZ_E10value_typeET2_T3_PNS10_IS15_E10value_typeET4_jRbjT5_S1B_jjP12ihipStream_tbEUljE_ZNSN_ISO_Lb0ESQ_SR_SQ_SR_SV_EESW_SX_SY_SZ_S13_S14_S15_S18_S19_jS1A_jS1B_S1B_jjS1D_bEUljE0_EEESW_SX_SY_S15_S19_S1B_T6_T7_T9_mT8_S1D_bDpT10_ENKUlT_T0_E_clISt17integral_constantIbLb1EES1Q_IbLb0EEEEDaS1M_S1N_EUlS1M_E_NS1_11comp_targetILNS1_3genE9ELNS1_11target_archE1100ELNS1_3gpuE3ELNS1_3repE0EEENS1_30default_config_static_selectorELNS0_4arch9wavefront6targetE0EEEvSZ_,@function
_ZN7rocprim17ROCPRIM_400000_NS6detail17trampoline_kernelINS0_13select_configILj256ELj13ELNS0_17block_load_methodE3ELS4_3ELS4_3ELNS0_20block_scan_algorithmE0ELj4294967295EEENS1_25partition_config_selectorILNS1_17partition_subalgoE4EjNS0_10empty_typeEbEEZZNS1_14partition_implILS8_4ELb0ES6_15HIP_vector_typeIjLj2EENS0_17counting_iteratorIjlEEPS9_SG_NS0_5tupleIJPjSI_NS0_16reverse_iteratorISI_EEEEENSH_IJSG_SG_SG_EEES9_SI_JZNS1_25segmented_radix_sort_implINS0_14default_configELb0EPKlPlSQ_SR_N2at6native12_GLOBAL__N_18offset_tEEE10hipError_tPvRmT1_PNSt15iterator_traitsISZ_E10value_typeET2_T3_PNS10_IS15_E10value_typeET4_jRbjT5_S1B_jjP12ihipStream_tbEUljE_ZNSN_ISO_Lb0ESQ_SR_SQ_SR_SV_EESW_SX_SY_SZ_S13_S14_S15_S18_S19_jS1A_jS1B_S1B_jjS1D_bEUljE0_EEESW_SX_SY_S15_S19_S1B_T6_T7_T9_mT8_S1D_bDpT10_ENKUlT_T0_E_clISt17integral_constantIbLb1EES1Q_IbLb0EEEEDaS1M_S1N_EUlS1M_E_NS1_11comp_targetILNS1_3genE9ELNS1_11target_archE1100ELNS1_3gpuE3ELNS1_3repE0EEENS1_30default_config_static_selectorELNS0_4arch9wavefront6targetE0EEEvSZ_: ; @_ZN7rocprim17ROCPRIM_400000_NS6detail17trampoline_kernelINS0_13select_configILj256ELj13ELNS0_17block_load_methodE3ELS4_3ELS4_3ELNS0_20block_scan_algorithmE0ELj4294967295EEENS1_25partition_config_selectorILNS1_17partition_subalgoE4EjNS0_10empty_typeEbEEZZNS1_14partition_implILS8_4ELb0ES6_15HIP_vector_typeIjLj2EENS0_17counting_iteratorIjlEEPS9_SG_NS0_5tupleIJPjSI_NS0_16reverse_iteratorISI_EEEEENSH_IJSG_SG_SG_EEES9_SI_JZNS1_25segmented_radix_sort_implINS0_14default_configELb0EPKlPlSQ_SR_N2at6native12_GLOBAL__N_18offset_tEEE10hipError_tPvRmT1_PNSt15iterator_traitsISZ_E10value_typeET2_T3_PNS10_IS15_E10value_typeET4_jRbjT5_S1B_jjP12ihipStream_tbEUljE_ZNSN_ISO_Lb0ESQ_SR_SQ_SR_SV_EESW_SX_SY_SZ_S13_S14_S15_S18_S19_jS1A_jS1B_S1B_jjS1D_bEUljE0_EEESW_SX_SY_S15_S19_S1B_T6_T7_T9_mT8_S1D_bDpT10_ENKUlT_T0_E_clISt17integral_constantIbLb1EES1Q_IbLb0EEEEDaS1M_S1N_EUlS1M_E_NS1_11comp_targetILNS1_3genE9ELNS1_11target_archE1100ELNS1_3gpuE3ELNS1_3repE0EEENS1_30default_config_static_selectorELNS0_4arch9wavefront6targetE0EEEvSZ_
; %bb.0:
	.section	.rodata,"a",@progbits
	.p2align	6, 0x0
	.amdhsa_kernel _ZN7rocprim17ROCPRIM_400000_NS6detail17trampoline_kernelINS0_13select_configILj256ELj13ELNS0_17block_load_methodE3ELS4_3ELS4_3ELNS0_20block_scan_algorithmE0ELj4294967295EEENS1_25partition_config_selectorILNS1_17partition_subalgoE4EjNS0_10empty_typeEbEEZZNS1_14partition_implILS8_4ELb0ES6_15HIP_vector_typeIjLj2EENS0_17counting_iteratorIjlEEPS9_SG_NS0_5tupleIJPjSI_NS0_16reverse_iteratorISI_EEEEENSH_IJSG_SG_SG_EEES9_SI_JZNS1_25segmented_radix_sort_implINS0_14default_configELb0EPKlPlSQ_SR_N2at6native12_GLOBAL__N_18offset_tEEE10hipError_tPvRmT1_PNSt15iterator_traitsISZ_E10value_typeET2_T3_PNS10_IS15_E10value_typeET4_jRbjT5_S1B_jjP12ihipStream_tbEUljE_ZNSN_ISO_Lb0ESQ_SR_SQ_SR_SV_EESW_SX_SY_SZ_S13_S14_S15_S18_S19_jS1A_jS1B_S1B_jjS1D_bEUljE0_EEESW_SX_SY_S15_S19_S1B_T6_T7_T9_mT8_S1D_bDpT10_ENKUlT_T0_E_clISt17integral_constantIbLb1EES1Q_IbLb0EEEEDaS1M_S1N_EUlS1M_E_NS1_11comp_targetILNS1_3genE9ELNS1_11target_archE1100ELNS1_3gpuE3ELNS1_3repE0EEENS1_30default_config_static_selectorELNS0_4arch9wavefront6targetE0EEEvSZ_
		.amdhsa_group_segment_fixed_size 0
		.amdhsa_private_segment_fixed_size 0
		.amdhsa_kernarg_size 176
		.amdhsa_user_sgpr_count 2
		.amdhsa_user_sgpr_dispatch_ptr 0
		.amdhsa_user_sgpr_queue_ptr 0
		.amdhsa_user_sgpr_kernarg_segment_ptr 1
		.amdhsa_user_sgpr_dispatch_id 0
		.amdhsa_user_sgpr_kernarg_preload_length 0
		.amdhsa_user_sgpr_kernarg_preload_offset 0
		.amdhsa_user_sgpr_private_segment_size 0
		.amdhsa_wavefront_size32 1
		.amdhsa_uses_dynamic_stack 0
		.amdhsa_enable_private_segment 0
		.amdhsa_system_sgpr_workgroup_id_x 1
		.amdhsa_system_sgpr_workgroup_id_y 0
		.amdhsa_system_sgpr_workgroup_id_z 0
		.amdhsa_system_sgpr_workgroup_info 0
		.amdhsa_system_vgpr_workitem_id 0
		.amdhsa_next_free_vgpr 1
		.amdhsa_next_free_sgpr 1
		.amdhsa_named_barrier_count 0
		.amdhsa_reserve_vcc 0
		.amdhsa_float_round_mode_32 0
		.amdhsa_float_round_mode_16_64 0
		.amdhsa_float_denorm_mode_32 3
		.amdhsa_float_denorm_mode_16_64 3
		.amdhsa_fp16_overflow 0
		.amdhsa_memory_ordered 1
		.amdhsa_forward_progress 1
		.amdhsa_inst_pref_size 0
		.amdhsa_round_robin_scheduling 0
		.amdhsa_exception_fp_ieee_invalid_op 0
		.amdhsa_exception_fp_denorm_src 0
		.amdhsa_exception_fp_ieee_div_zero 0
		.amdhsa_exception_fp_ieee_overflow 0
		.amdhsa_exception_fp_ieee_underflow 0
		.amdhsa_exception_fp_ieee_inexact 0
		.amdhsa_exception_int_div_zero 0
	.end_amdhsa_kernel
	.section	.text._ZN7rocprim17ROCPRIM_400000_NS6detail17trampoline_kernelINS0_13select_configILj256ELj13ELNS0_17block_load_methodE3ELS4_3ELS4_3ELNS0_20block_scan_algorithmE0ELj4294967295EEENS1_25partition_config_selectorILNS1_17partition_subalgoE4EjNS0_10empty_typeEbEEZZNS1_14partition_implILS8_4ELb0ES6_15HIP_vector_typeIjLj2EENS0_17counting_iteratorIjlEEPS9_SG_NS0_5tupleIJPjSI_NS0_16reverse_iteratorISI_EEEEENSH_IJSG_SG_SG_EEES9_SI_JZNS1_25segmented_radix_sort_implINS0_14default_configELb0EPKlPlSQ_SR_N2at6native12_GLOBAL__N_18offset_tEEE10hipError_tPvRmT1_PNSt15iterator_traitsISZ_E10value_typeET2_T3_PNS10_IS15_E10value_typeET4_jRbjT5_S1B_jjP12ihipStream_tbEUljE_ZNSN_ISO_Lb0ESQ_SR_SQ_SR_SV_EESW_SX_SY_SZ_S13_S14_S15_S18_S19_jS1A_jS1B_S1B_jjS1D_bEUljE0_EEESW_SX_SY_S15_S19_S1B_T6_T7_T9_mT8_S1D_bDpT10_ENKUlT_T0_E_clISt17integral_constantIbLb1EES1Q_IbLb0EEEEDaS1M_S1N_EUlS1M_E_NS1_11comp_targetILNS1_3genE9ELNS1_11target_archE1100ELNS1_3gpuE3ELNS1_3repE0EEENS1_30default_config_static_selectorELNS0_4arch9wavefront6targetE0EEEvSZ_,"axG",@progbits,_ZN7rocprim17ROCPRIM_400000_NS6detail17trampoline_kernelINS0_13select_configILj256ELj13ELNS0_17block_load_methodE3ELS4_3ELS4_3ELNS0_20block_scan_algorithmE0ELj4294967295EEENS1_25partition_config_selectorILNS1_17partition_subalgoE4EjNS0_10empty_typeEbEEZZNS1_14partition_implILS8_4ELb0ES6_15HIP_vector_typeIjLj2EENS0_17counting_iteratorIjlEEPS9_SG_NS0_5tupleIJPjSI_NS0_16reverse_iteratorISI_EEEEENSH_IJSG_SG_SG_EEES9_SI_JZNS1_25segmented_radix_sort_implINS0_14default_configELb0EPKlPlSQ_SR_N2at6native12_GLOBAL__N_18offset_tEEE10hipError_tPvRmT1_PNSt15iterator_traitsISZ_E10value_typeET2_T3_PNS10_IS15_E10value_typeET4_jRbjT5_S1B_jjP12ihipStream_tbEUljE_ZNSN_ISO_Lb0ESQ_SR_SQ_SR_SV_EESW_SX_SY_SZ_S13_S14_S15_S18_S19_jS1A_jS1B_S1B_jjS1D_bEUljE0_EEESW_SX_SY_S15_S19_S1B_T6_T7_T9_mT8_S1D_bDpT10_ENKUlT_T0_E_clISt17integral_constantIbLb1EES1Q_IbLb0EEEEDaS1M_S1N_EUlS1M_E_NS1_11comp_targetILNS1_3genE9ELNS1_11target_archE1100ELNS1_3gpuE3ELNS1_3repE0EEENS1_30default_config_static_selectorELNS0_4arch9wavefront6targetE0EEEvSZ_,comdat
.Lfunc_end761:
	.size	_ZN7rocprim17ROCPRIM_400000_NS6detail17trampoline_kernelINS0_13select_configILj256ELj13ELNS0_17block_load_methodE3ELS4_3ELS4_3ELNS0_20block_scan_algorithmE0ELj4294967295EEENS1_25partition_config_selectorILNS1_17partition_subalgoE4EjNS0_10empty_typeEbEEZZNS1_14partition_implILS8_4ELb0ES6_15HIP_vector_typeIjLj2EENS0_17counting_iteratorIjlEEPS9_SG_NS0_5tupleIJPjSI_NS0_16reverse_iteratorISI_EEEEENSH_IJSG_SG_SG_EEES9_SI_JZNS1_25segmented_radix_sort_implINS0_14default_configELb0EPKlPlSQ_SR_N2at6native12_GLOBAL__N_18offset_tEEE10hipError_tPvRmT1_PNSt15iterator_traitsISZ_E10value_typeET2_T3_PNS10_IS15_E10value_typeET4_jRbjT5_S1B_jjP12ihipStream_tbEUljE_ZNSN_ISO_Lb0ESQ_SR_SQ_SR_SV_EESW_SX_SY_SZ_S13_S14_S15_S18_S19_jS1A_jS1B_S1B_jjS1D_bEUljE0_EEESW_SX_SY_S15_S19_S1B_T6_T7_T9_mT8_S1D_bDpT10_ENKUlT_T0_E_clISt17integral_constantIbLb1EES1Q_IbLb0EEEEDaS1M_S1N_EUlS1M_E_NS1_11comp_targetILNS1_3genE9ELNS1_11target_archE1100ELNS1_3gpuE3ELNS1_3repE0EEENS1_30default_config_static_selectorELNS0_4arch9wavefront6targetE0EEEvSZ_, .Lfunc_end761-_ZN7rocprim17ROCPRIM_400000_NS6detail17trampoline_kernelINS0_13select_configILj256ELj13ELNS0_17block_load_methodE3ELS4_3ELS4_3ELNS0_20block_scan_algorithmE0ELj4294967295EEENS1_25partition_config_selectorILNS1_17partition_subalgoE4EjNS0_10empty_typeEbEEZZNS1_14partition_implILS8_4ELb0ES6_15HIP_vector_typeIjLj2EENS0_17counting_iteratorIjlEEPS9_SG_NS0_5tupleIJPjSI_NS0_16reverse_iteratorISI_EEEEENSH_IJSG_SG_SG_EEES9_SI_JZNS1_25segmented_radix_sort_implINS0_14default_configELb0EPKlPlSQ_SR_N2at6native12_GLOBAL__N_18offset_tEEE10hipError_tPvRmT1_PNSt15iterator_traitsISZ_E10value_typeET2_T3_PNS10_IS15_E10value_typeET4_jRbjT5_S1B_jjP12ihipStream_tbEUljE_ZNSN_ISO_Lb0ESQ_SR_SQ_SR_SV_EESW_SX_SY_SZ_S13_S14_S15_S18_S19_jS1A_jS1B_S1B_jjS1D_bEUljE0_EEESW_SX_SY_S15_S19_S1B_T6_T7_T9_mT8_S1D_bDpT10_ENKUlT_T0_E_clISt17integral_constantIbLb1EES1Q_IbLb0EEEEDaS1M_S1N_EUlS1M_E_NS1_11comp_targetILNS1_3genE9ELNS1_11target_archE1100ELNS1_3gpuE3ELNS1_3repE0EEENS1_30default_config_static_selectorELNS0_4arch9wavefront6targetE0EEEvSZ_
                                        ; -- End function
	.set _ZN7rocprim17ROCPRIM_400000_NS6detail17trampoline_kernelINS0_13select_configILj256ELj13ELNS0_17block_load_methodE3ELS4_3ELS4_3ELNS0_20block_scan_algorithmE0ELj4294967295EEENS1_25partition_config_selectorILNS1_17partition_subalgoE4EjNS0_10empty_typeEbEEZZNS1_14partition_implILS8_4ELb0ES6_15HIP_vector_typeIjLj2EENS0_17counting_iteratorIjlEEPS9_SG_NS0_5tupleIJPjSI_NS0_16reverse_iteratorISI_EEEEENSH_IJSG_SG_SG_EEES9_SI_JZNS1_25segmented_radix_sort_implINS0_14default_configELb0EPKlPlSQ_SR_N2at6native12_GLOBAL__N_18offset_tEEE10hipError_tPvRmT1_PNSt15iterator_traitsISZ_E10value_typeET2_T3_PNS10_IS15_E10value_typeET4_jRbjT5_S1B_jjP12ihipStream_tbEUljE_ZNSN_ISO_Lb0ESQ_SR_SQ_SR_SV_EESW_SX_SY_SZ_S13_S14_S15_S18_S19_jS1A_jS1B_S1B_jjS1D_bEUljE0_EEESW_SX_SY_S15_S19_S1B_T6_T7_T9_mT8_S1D_bDpT10_ENKUlT_T0_E_clISt17integral_constantIbLb1EES1Q_IbLb0EEEEDaS1M_S1N_EUlS1M_E_NS1_11comp_targetILNS1_3genE9ELNS1_11target_archE1100ELNS1_3gpuE3ELNS1_3repE0EEENS1_30default_config_static_selectorELNS0_4arch9wavefront6targetE0EEEvSZ_.num_vgpr, 0
	.set _ZN7rocprim17ROCPRIM_400000_NS6detail17trampoline_kernelINS0_13select_configILj256ELj13ELNS0_17block_load_methodE3ELS4_3ELS4_3ELNS0_20block_scan_algorithmE0ELj4294967295EEENS1_25partition_config_selectorILNS1_17partition_subalgoE4EjNS0_10empty_typeEbEEZZNS1_14partition_implILS8_4ELb0ES6_15HIP_vector_typeIjLj2EENS0_17counting_iteratorIjlEEPS9_SG_NS0_5tupleIJPjSI_NS0_16reverse_iteratorISI_EEEEENSH_IJSG_SG_SG_EEES9_SI_JZNS1_25segmented_radix_sort_implINS0_14default_configELb0EPKlPlSQ_SR_N2at6native12_GLOBAL__N_18offset_tEEE10hipError_tPvRmT1_PNSt15iterator_traitsISZ_E10value_typeET2_T3_PNS10_IS15_E10value_typeET4_jRbjT5_S1B_jjP12ihipStream_tbEUljE_ZNSN_ISO_Lb0ESQ_SR_SQ_SR_SV_EESW_SX_SY_SZ_S13_S14_S15_S18_S19_jS1A_jS1B_S1B_jjS1D_bEUljE0_EEESW_SX_SY_S15_S19_S1B_T6_T7_T9_mT8_S1D_bDpT10_ENKUlT_T0_E_clISt17integral_constantIbLb1EES1Q_IbLb0EEEEDaS1M_S1N_EUlS1M_E_NS1_11comp_targetILNS1_3genE9ELNS1_11target_archE1100ELNS1_3gpuE3ELNS1_3repE0EEENS1_30default_config_static_selectorELNS0_4arch9wavefront6targetE0EEEvSZ_.num_agpr, 0
	.set _ZN7rocprim17ROCPRIM_400000_NS6detail17trampoline_kernelINS0_13select_configILj256ELj13ELNS0_17block_load_methodE3ELS4_3ELS4_3ELNS0_20block_scan_algorithmE0ELj4294967295EEENS1_25partition_config_selectorILNS1_17partition_subalgoE4EjNS0_10empty_typeEbEEZZNS1_14partition_implILS8_4ELb0ES6_15HIP_vector_typeIjLj2EENS0_17counting_iteratorIjlEEPS9_SG_NS0_5tupleIJPjSI_NS0_16reverse_iteratorISI_EEEEENSH_IJSG_SG_SG_EEES9_SI_JZNS1_25segmented_radix_sort_implINS0_14default_configELb0EPKlPlSQ_SR_N2at6native12_GLOBAL__N_18offset_tEEE10hipError_tPvRmT1_PNSt15iterator_traitsISZ_E10value_typeET2_T3_PNS10_IS15_E10value_typeET4_jRbjT5_S1B_jjP12ihipStream_tbEUljE_ZNSN_ISO_Lb0ESQ_SR_SQ_SR_SV_EESW_SX_SY_SZ_S13_S14_S15_S18_S19_jS1A_jS1B_S1B_jjS1D_bEUljE0_EEESW_SX_SY_S15_S19_S1B_T6_T7_T9_mT8_S1D_bDpT10_ENKUlT_T0_E_clISt17integral_constantIbLb1EES1Q_IbLb0EEEEDaS1M_S1N_EUlS1M_E_NS1_11comp_targetILNS1_3genE9ELNS1_11target_archE1100ELNS1_3gpuE3ELNS1_3repE0EEENS1_30default_config_static_selectorELNS0_4arch9wavefront6targetE0EEEvSZ_.numbered_sgpr, 0
	.set _ZN7rocprim17ROCPRIM_400000_NS6detail17trampoline_kernelINS0_13select_configILj256ELj13ELNS0_17block_load_methodE3ELS4_3ELS4_3ELNS0_20block_scan_algorithmE0ELj4294967295EEENS1_25partition_config_selectorILNS1_17partition_subalgoE4EjNS0_10empty_typeEbEEZZNS1_14partition_implILS8_4ELb0ES6_15HIP_vector_typeIjLj2EENS0_17counting_iteratorIjlEEPS9_SG_NS0_5tupleIJPjSI_NS0_16reverse_iteratorISI_EEEEENSH_IJSG_SG_SG_EEES9_SI_JZNS1_25segmented_radix_sort_implINS0_14default_configELb0EPKlPlSQ_SR_N2at6native12_GLOBAL__N_18offset_tEEE10hipError_tPvRmT1_PNSt15iterator_traitsISZ_E10value_typeET2_T3_PNS10_IS15_E10value_typeET4_jRbjT5_S1B_jjP12ihipStream_tbEUljE_ZNSN_ISO_Lb0ESQ_SR_SQ_SR_SV_EESW_SX_SY_SZ_S13_S14_S15_S18_S19_jS1A_jS1B_S1B_jjS1D_bEUljE0_EEESW_SX_SY_S15_S19_S1B_T6_T7_T9_mT8_S1D_bDpT10_ENKUlT_T0_E_clISt17integral_constantIbLb1EES1Q_IbLb0EEEEDaS1M_S1N_EUlS1M_E_NS1_11comp_targetILNS1_3genE9ELNS1_11target_archE1100ELNS1_3gpuE3ELNS1_3repE0EEENS1_30default_config_static_selectorELNS0_4arch9wavefront6targetE0EEEvSZ_.num_named_barrier, 0
	.set _ZN7rocprim17ROCPRIM_400000_NS6detail17trampoline_kernelINS0_13select_configILj256ELj13ELNS0_17block_load_methodE3ELS4_3ELS4_3ELNS0_20block_scan_algorithmE0ELj4294967295EEENS1_25partition_config_selectorILNS1_17partition_subalgoE4EjNS0_10empty_typeEbEEZZNS1_14partition_implILS8_4ELb0ES6_15HIP_vector_typeIjLj2EENS0_17counting_iteratorIjlEEPS9_SG_NS0_5tupleIJPjSI_NS0_16reverse_iteratorISI_EEEEENSH_IJSG_SG_SG_EEES9_SI_JZNS1_25segmented_radix_sort_implINS0_14default_configELb0EPKlPlSQ_SR_N2at6native12_GLOBAL__N_18offset_tEEE10hipError_tPvRmT1_PNSt15iterator_traitsISZ_E10value_typeET2_T3_PNS10_IS15_E10value_typeET4_jRbjT5_S1B_jjP12ihipStream_tbEUljE_ZNSN_ISO_Lb0ESQ_SR_SQ_SR_SV_EESW_SX_SY_SZ_S13_S14_S15_S18_S19_jS1A_jS1B_S1B_jjS1D_bEUljE0_EEESW_SX_SY_S15_S19_S1B_T6_T7_T9_mT8_S1D_bDpT10_ENKUlT_T0_E_clISt17integral_constantIbLb1EES1Q_IbLb0EEEEDaS1M_S1N_EUlS1M_E_NS1_11comp_targetILNS1_3genE9ELNS1_11target_archE1100ELNS1_3gpuE3ELNS1_3repE0EEENS1_30default_config_static_selectorELNS0_4arch9wavefront6targetE0EEEvSZ_.private_seg_size, 0
	.set _ZN7rocprim17ROCPRIM_400000_NS6detail17trampoline_kernelINS0_13select_configILj256ELj13ELNS0_17block_load_methodE3ELS4_3ELS4_3ELNS0_20block_scan_algorithmE0ELj4294967295EEENS1_25partition_config_selectorILNS1_17partition_subalgoE4EjNS0_10empty_typeEbEEZZNS1_14partition_implILS8_4ELb0ES6_15HIP_vector_typeIjLj2EENS0_17counting_iteratorIjlEEPS9_SG_NS0_5tupleIJPjSI_NS0_16reverse_iteratorISI_EEEEENSH_IJSG_SG_SG_EEES9_SI_JZNS1_25segmented_radix_sort_implINS0_14default_configELb0EPKlPlSQ_SR_N2at6native12_GLOBAL__N_18offset_tEEE10hipError_tPvRmT1_PNSt15iterator_traitsISZ_E10value_typeET2_T3_PNS10_IS15_E10value_typeET4_jRbjT5_S1B_jjP12ihipStream_tbEUljE_ZNSN_ISO_Lb0ESQ_SR_SQ_SR_SV_EESW_SX_SY_SZ_S13_S14_S15_S18_S19_jS1A_jS1B_S1B_jjS1D_bEUljE0_EEESW_SX_SY_S15_S19_S1B_T6_T7_T9_mT8_S1D_bDpT10_ENKUlT_T0_E_clISt17integral_constantIbLb1EES1Q_IbLb0EEEEDaS1M_S1N_EUlS1M_E_NS1_11comp_targetILNS1_3genE9ELNS1_11target_archE1100ELNS1_3gpuE3ELNS1_3repE0EEENS1_30default_config_static_selectorELNS0_4arch9wavefront6targetE0EEEvSZ_.uses_vcc, 0
	.set _ZN7rocprim17ROCPRIM_400000_NS6detail17trampoline_kernelINS0_13select_configILj256ELj13ELNS0_17block_load_methodE3ELS4_3ELS4_3ELNS0_20block_scan_algorithmE0ELj4294967295EEENS1_25partition_config_selectorILNS1_17partition_subalgoE4EjNS0_10empty_typeEbEEZZNS1_14partition_implILS8_4ELb0ES6_15HIP_vector_typeIjLj2EENS0_17counting_iteratorIjlEEPS9_SG_NS0_5tupleIJPjSI_NS0_16reverse_iteratorISI_EEEEENSH_IJSG_SG_SG_EEES9_SI_JZNS1_25segmented_radix_sort_implINS0_14default_configELb0EPKlPlSQ_SR_N2at6native12_GLOBAL__N_18offset_tEEE10hipError_tPvRmT1_PNSt15iterator_traitsISZ_E10value_typeET2_T3_PNS10_IS15_E10value_typeET4_jRbjT5_S1B_jjP12ihipStream_tbEUljE_ZNSN_ISO_Lb0ESQ_SR_SQ_SR_SV_EESW_SX_SY_SZ_S13_S14_S15_S18_S19_jS1A_jS1B_S1B_jjS1D_bEUljE0_EEESW_SX_SY_S15_S19_S1B_T6_T7_T9_mT8_S1D_bDpT10_ENKUlT_T0_E_clISt17integral_constantIbLb1EES1Q_IbLb0EEEEDaS1M_S1N_EUlS1M_E_NS1_11comp_targetILNS1_3genE9ELNS1_11target_archE1100ELNS1_3gpuE3ELNS1_3repE0EEENS1_30default_config_static_selectorELNS0_4arch9wavefront6targetE0EEEvSZ_.uses_flat_scratch, 0
	.set _ZN7rocprim17ROCPRIM_400000_NS6detail17trampoline_kernelINS0_13select_configILj256ELj13ELNS0_17block_load_methodE3ELS4_3ELS4_3ELNS0_20block_scan_algorithmE0ELj4294967295EEENS1_25partition_config_selectorILNS1_17partition_subalgoE4EjNS0_10empty_typeEbEEZZNS1_14partition_implILS8_4ELb0ES6_15HIP_vector_typeIjLj2EENS0_17counting_iteratorIjlEEPS9_SG_NS0_5tupleIJPjSI_NS0_16reverse_iteratorISI_EEEEENSH_IJSG_SG_SG_EEES9_SI_JZNS1_25segmented_radix_sort_implINS0_14default_configELb0EPKlPlSQ_SR_N2at6native12_GLOBAL__N_18offset_tEEE10hipError_tPvRmT1_PNSt15iterator_traitsISZ_E10value_typeET2_T3_PNS10_IS15_E10value_typeET4_jRbjT5_S1B_jjP12ihipStream_tbEUljE_ZNSN_ISO_Lb0ESQ_SR_SQ_SR_SV_EESW_SX_SY_SZ_S13_S14_S15_S18_S19_jS1A_jS1B_S1B_jjS1D_bEUljE0_EEESW_SX_SY_S15_S19_S1B_T6_T7_T9_mT8_S1D_bDpT10_ENKUlT_T0_E_clISt17integral_constantIbLb1EES1Q_IbLb0EEEEDaS1M_S1N_EUlS1M_E_NS1_11comp_targetILNS1_3genE9ELNS1_11target_archE1100ELNS1_3gpuE3ELNS1_3repE0EEENS1_30default_config_static_selectorELNS0_4arch9wavefront6targetE0EEEvSZ_.has_dyn_sized_stack, 0
	.set _ZN7rocprim17ROCPRIM_400000_NS6detail17trampoline_kernelINS0_13select_configILj256ELj13ELNS0_17block_load_methodE3ELS4_3ELS4_3ELNS0_20block_scan_algorithmE0ELj4294967295EEENS1_25partition_config_selectorILNS1_17partition_subalgoE4EjNS0_10empty_typeEbEEZZNS1_14partition_implILS8_4ELb0ES6_15HIP_vector_typeIjLj2EENS0_17counting_iteratorIjlEEPS9_SG_NS0_5tupleIJPjSI_NS0_16reverse_iteratorISI_EEEEENSH_IJSG_SG_SG_EEES9_SI_JZNS1_25segmented_radix_sort_implINS0_14default_configELb0EPKlPlSQ_SR_N2at6native12_GLOBAL__N_18offset_tEEE10hipError_tPvRmT1_PNSt15iterator_traitsISZ_E10value_typeET2_T3_PNS10_IS15_E10value_typeET4_jRbjT5_S1B_jjP12ihipStream_tbEUljE_ZNSN_ISO_Lb0ESQ_SR_SQ_SR_SV_EESW_SX_SY_SZ_S13_S14_S15_S18_S19_jS1A_jS1B_S1B_jjS1D_bEUljE0_EEESW_SX_SY_S15_S19_S1B_T6_T7_T9_mT8_S1D_bDpT10_ENKUlT_T0_E_clISt17integral_constantIbLb1EES1Q_IbLb0EEEEDaS1M_S1N_EUlS1M_E_NS1_11comp_targetILNS1_3genE9ELNS1_11target_archE1100ELNS1_3gpuE3ELNS1_3repE0EEENS1_30default_config_static_selectorELNS0_4arch9wavefront6targetE0EEEvSZ_.has_recursion, 0
	.set _ZN7rocprim17ROCPRIM_400000_NS6detail17trampoline_kernelINS0_13select_configILj256ELj13ELNS0_17block_load_methodE3ELS4_3ELS4_3ELNS0_20block_scan_algorithmE0ELj4294967295EEENS1_25partition_config_selectorILNS1_17partition_subalgoE4EjNS0_10empty_typeEbEEZZNS1_14partition_implILS8_4ELb0ES6_15HIP_vector_typeIjLj2EENS0_17counting_iteratorIjlEEPS9_SG_NS0_5tupleIJPjSI_NS0_16reverse_iteratorISI_EEEEENSH_IJSG_SG_SG_EEES9_SI_JZNS1_25segmented_radix_sort_implINS0_14default_configELb0EPKlPlSQ_SR_N2at6native12_GLOBAL__N_18offset_tEEE10hipError_tPvRmT1_PNSt15iterator_traitsISZ_E10value_typeET2_T3_PNS10_IS15_E10value_typeET4_jRbjT5_S1B_jjP12ihipStream_tbEUljE_ZNSN_ISO_Lb0ESQ_SR_SQ_SR_SV_EESW_SX_SY_SZ_S13_S14_S15_S18_S19_jS1A_jS1B_S1B_jjS1D_bEUljE0_EEESW_SX_SY_S15_S19_S1B_T6_T7_T9_mT8_S1D_bDpT10_ENKUlT_T0_E_clISt17integral_constantIbLb1EES1Q_IbLb0EEEEDaS1M_S1N_EUlS1M_E_NS1_11comp_targetILNS1_3genE9ELNS1_11target_archE1100ELNS1_3gpuE3ELNS1_3repE0EEENS1_30default_config_static_selectorELNS0_4arch9wavefront6targetE0EEEvSZ_.has_indirect_call, 0
	.section	.AMDGPU.csdata,"",@progbits
; Kernel info:
; codeLenInByte = 0
; TotalNumSgprs: 0
; NumVgprs: 0
; ScratchSize: 0
; MemoryBound: 0
; FloatMode: 240
; IeeeMode: 1
; LDSByteSize: 0 bytes/workgroup (compile time only)
; SGPRBlocks: 0
; VGPRBlocks: 0
; NumSGPRsForWavesPerEU: 1
; NumVGPRsForWavesPerEU: 1
; NamedBarCnt: 0
; Occupancy: 16
; WaveLimiterHint : 0
; COMPUTE_PGM_RSRC2:SCRATCH_EN: 0
; COMPUTE_PGM_RSRC2:USER_SGPR: 2
; COMPUTE_PGM_RSRC2:TRAP_HANDLER: 0
; COMPUTE_PGM_RSRC2:TGID_X_EN: 1
; COMPUTE_PGM_RSRC2:TGID_Y_EN: 0
; COMPUTE_PGM_RSRC2:TGID_Z_EN: 0
; COMPUTE_PGM_RSRC2:TIDIG_COMP_CNT: 0
	.section	.text._ZN7rocprim17ROCPRIM_400000_NS6detail17trampoline_kernelINS0_13select_configILj256ELj13ELNS0_17block_load_methodE3ELS4_3ELS4_3ELNS0_20block_scan_algorithmE0ELj4294967295EEENS1_25partition_config_selectorILNS1_17partition_subalgoE4EjNS0_10empty_typeEbEEZZNS1_14partition_implILS8_4ELb0ES6_15HIP_vector_typeIjLj2EENS0_17counting_iteratorIjlEEPS9_SG_NS0_5tupleIJPjSI_NS0_16reverse_iteratorISI_EEEEENSH_IJSG_SG_SG_EEES9_SI_JZNS1_25segmented_radix_sort_implINS0_14default_configELb0EPKlPlSQ_SR_N2at6native12_GLOBAL__N_18offset_tEEE10hipError_tPvRmT1_PNSt15iterator_traitsISZ_E10value_typeET2_T3_PNS10_IS15_E10value_typeET4_jRbjT5_S1B_jjP12ihipStream_tbEUljE_ZNSN_ISO_Lb0ESQ_SR_SQ_SR_SV_EESW_SX_SY_SZ_S13_S14_S15_S18_S19_jS1A_jS1B_S1B_jjS1D_bEUljE0_EEESW_SX_SY_S15_S19_S1B_T6_T7_T9_mT8_S1D_bDpT10_ENKUlT_T0_E_clISt17integral_constantIbLb1EES1Q_IbLb0EEEEDaS1M_S1N_EUlS1M_E_NS1_11comp_targetILNS1_3genE8ELNS1_11target_archE1030ELNS1_3gpuE2ELNS1_3repE0EEENS1_30default_config_static_selectorELNS0_4arch9wavefront6targetE0EEEvSZ_,"axG",@progbits,_ZN7rocprim17ROCPRIM_400000_NS6detail17trampoline_kernelINS0_13select_configILj256ELj13ELNS0_17block_load_methodE3ELS4_3ELS4_3ELNS0_20block_scan_algorithmE0ELj4294967295EEENS1_25partition_config_selectorILNS1_17partition_subalgoE4EjNS0_10empty_typeEbEEZZNS1_14partition_implILS8_4ELb0ES6_15HIP_vector_typeIjLj2EENS0_17counting_iteratorIjlEEPS9_SG_NS0_5tupleIJPjSI_NS0_16reverse_iteratorISI_EEEEENSH_IJSG_SG_SG_EEES9_SI_JZNS1_25segmented_radix_sort_implINS0_14default_configELb0EPKlPlSQ_SR_N2at6native12_GLOBAL__N_18offset_tEEE10hipError_tPvRmT1_PNSt15iterator_traitsISZ_E10value_typeET2_T3_PNS10_IS15_E10value_typeET4_jRbjT5_S1B_jjP12ihipStream_tbEUljE_ZNSN_ISO_Lb0ESQ_SR_SQ_SR_SV_EESW_SX_SY_SZ_S13_S14_S15_S18_S19_jS1A_jS1B_S1B_jjS1D_bEUljE0_EEESW_SX_SY_S15_S19_S1B_T6_T7_T9_mT8_S1D_bDpT10_ENKUlT_T0_E_clISt17integral_constantIbLb1EES1Q_IbLb0EEEEDaS1M_S1N_EUlS1M_E_NS1_11comp_targetILNS1_3genE8ELNS1_11target_archE1030ELNS1_3gpuE2ELNS1_3repE0EEENS1_30default_config_static_selectorELNS0_4arch9wavefront6targetE0EEEvSZ_,comdat
	.globl	_ZN7rocprim17ROCPRIM_400000_NS6detail17trampoline_kernelINS0_13select_configILj256ELj13ELNS0_17block_load_methodE3ELS4_3ELS4_3ELNS0_20block_scan_algorithmE0ELj4294967295EEENS1_25partition_config_selectorILNS1_17partition_subalgoE4EjNS0_10empty_typeEbEEZZNS1_14partition_implILS8_4ELb0ES6_15HIP_vector_typeIjLj2EENS0_17counting_iteratorIjlEEPS9_SG_NS0_5tupleIJPjSI_NS0_16reverse_iteratorISI_EEEEENSH_IJSG_SG_SG_EEES9_SI_JZNS1_25segmented_radix_sort_implINS0_14default_configELb0EPKlPlSQ_SR_N2at6native12_GLOBAL__N_18offset_tEEE10hipError_tPvRmT1_PNSt15iterator_traitsISZ_E10value_typeET2_T3_PNS10_IS15_E10value_typeET4_jRbjT5_S1B_jjP12ihipStream_tbEUljE_ZNSN_ISO_Lb0ESQ_SR_SQ_SR_SV_EESW_SX_SY_SZ_S13_S14_S15_S18_S19_jS1A_jS1B_S1B_jjS1D_bEUljE0_EEESW_SX_SY_S15_S19_S1B_T6_T7_T9_mT8_S1D_bDpT10_ENKUlT_T0_E_clISt17integral_constantIbLb1EES1Q_IbLb0EEEEDaS1M_S1N_EUlS1M_E_NS1_11comp_targetILNS1_3genE8ELNS1_11target_archE1030ELNS1_3gpuE2ELNS1_3repE0EEENS1_30default_config_static_selectorELNS0_4arch9wavefront6targetE0EEEvSZ_ ; -- Begin function _ZN7rocprim17ROCPRIM_400000_NS6detail17trampoline_kernelINS0_13select_configILj256ELj13ELNS0_17block_load_methodE3ELS4_3ELS4_3ELNS0_20block_scan_algorithmE0ELj4294967295EEENS1_25partition_config_selectorILNS1_17partition_subalgoE4EjNS0_10empty_typeEbEEZZNS1_14partition_implILS8_4ELb0ES6_15HIP_vector_typeIjLj2EENS0_17counting_iteratorIjlEEPS9_SG_NS0_5tupleIJPjSI_NS0_16reverse_iteratorISI_EEEEENSH_IJSG_SG_SG_EEES9_SI_JZNS1_25segmented_radix_sort_implINS0_14default_configELb0EPKlPlSQ_SR_N2at6native12_GLOBAL__N_18offset_tEEE10hipError_tPvRmT1_PNSt15iterator_traitsISZ_E10value_typeET2_T3_PNS10_IS15_E10value_typeET4_jRbjT5_S1B_jjP12ihipStream_tbEUljE_ZNSN_ISO_Lb0ESQ_SR_SQ_SR_SV_EESW_SX_SY_SZ_S13_S14_S15_S18_S19_jS1A_jS1B_S1B_jjS1D_bEUljE0_EEESW_SX_SY_S15_S19_S1B_T6_T7_T9_mT8_S1D_bDpT10_ENKUlT_T0_E_clISt17integral_constantIbLb1EES1Q_IbLb0EEEEDaS1M_S1N_EUlS1M_E_NS1_11comp_targetILNS1_3genE8ELNS1_11target_archE1030ELNS1_3gpuE2ELNS1_3repE0EEENS1_30default_config_static_selectorELNS0_4arch9wavefront6targetE0EEEvSZ_
	.p2align	8
	.type	_ZN7rocprim17ROCPRIM_400000_NS6detail17trampoline_kernelINS0_13select_configILj256ELj13ELNS0_17block_load_methodE3ELS4_3ELS4_3ELNS0_20block_scan_algorithmE0ELj4294967295EEENS1_25partition_config_selectorILNS1_17partition_subalgoE4EjNS0_10empty_typeEbEEZZNS1_14partition_implILS8_4ELb0ES6_15HIP_vector_typeIjLj2EENS0_17counting_iteratorIjlEEPS9_SG_NS0_5tupleIJPjSI_NS0_16reverse_iteratorISI_EEEEENSH_IJSG_SG_SG_EEES9_SI_JZNS1_25segmented_radix_sort_implINS0_14default_configELb0EPKlPlSQ_SR_N2at6native12_GLOBAL__N_18offset_tEEE10hipError_tPvRmT1_PNSt15iterator_traitsISZ_E10value_typeET2_T3_PNS10_IS15_E10value_typeET4_jRbjT5_S1B_jjP12ihipStream_tbEUljE_ZNSN_ISO_Lb0ESQ_SR_SQ_SR_SV_EESW_SX_SY_SZ_S13_S14_S15_S18_S19_jS1A_jS1B_S1B_jjS1D_bEUljE0_EEESW_SX_SY_S15_S19_S1B_T6_T7_T9_mT8_S1D_bDpT10_ENKUlT_T0_E_clISt17integral_constantIbLb1EES1Q_IbLb0EEEEDaS1M_S1N_EUlS1M_E_NS1_11comp_targetILNS1_3genE8ELNS1_11target_archE1030ELNS1_3gpuE2ELNS1_3repE0EEENS1_30default_config_static_selectorELNS0_4arch9wavefront6targetE0EEEvSZ_,@function
_ZN7rocprim17ROCPRIM_400000_NS6detail17trampoline_kernelINS0_13select_configILj256ELj13ELNS0_17block_load_methodE3ELS4_3ELS4_3ELNS0_20block_scan_algorithmE0ELj4294967295EEENS1_25partition_config_selectorILNS1_17partition_subalgoE4EjNS0_10empty_typeEbEEZZNS1_14partition_implILS8_4ELb0ES6_15HIP_vector_typeIjLj2EENS0_17counting_iteratorIjlEEPS9_SG_NS0_5tupleIJPjSI_NS0_16reverse_iteratorISI_EEEEENSH_IJSG_SG_SG_EEES9_SI_JZNS1_25segmented_radix_sort_implINS0_14default_configELb0EPKlPlSQ_SR_N2at6native12_GLOBAL__N_18offset_tEEE10hipError_tPvRmT1_PNSt15iterator_traitsISZ_E10value_typeET2_T3_PNS10_IS15_E10value_typeET4_jRbjT5_S1B_jjP12ihipStream_tbEUljE_ZNSN_ISO_Lb0ESQ_SR_SQ_SR_SV_EESW_SX_SY_SZ_S13_S14_S15_S18_S19_jS1A_jS1B_S1B_jjS1D_bEUljE0_EEESW_SX_SY_S15_S19_S1B_T6_T7_T9_mT8_S1D_bDpT10_ENKUlT_T0_E_clISt17integral_constantIbLb1EES1Q_IbLb0EEEEDaS1M_S1N_EUlS1M_E_NS1_11comp_targetILNS1_3genE8ELNS1_11target_archE1030ELNS1_3gpuE2ELNS1_3repE0EEENS1_30default_config_static_selectorELNS0_4arch9wavefront6targetE0EEEvSZ_: ; @_ZN7rocprim17ROCPRIM_400000_NS6detail17trampoline_kernelINS0_13select_configILj256ELj13ELNS0_17block_load_methodE3ELS4_3ELS4_3ELNS0_20block_scan_algorithmE0ELj4294967295EEENS1_25partition_config_selectorILNS1_17partition_subalgoE4EjNS0_10empty_typeEbEEZZNS1_14partition_implILS8_4ELb0ES6_15HIP_vector_typeIjLj2EENS0_17counting_iteratorIjlEEPS9_SG_NS0_5tupleIJPjSI_NS0_16reverse_iteratorISI_EEEEENSH_IJSG_SG_SG_EEES9_SI_JZNS1_25segmented_radix_sort_implINS0_14default_configELb0EPKlPlSQ_SR_N2at6native12_GLOBAL__N_18offset_tEEE10hipError_tPvRmT1_PNSt15iterator_traitsISZ_E10value_typeET2_T3_PNS10_IS15_E10value_typeET4_jRbjT5_S1B_jjP12ihipStream_tbEUljE_ZNSN_ISO_Lb0ESQ_SR_SQ_SR_SV_EESW_SX_SY_SZ_S13_S14_S15_S18_S19_jS1A_jS1B_S1B_jjS1D_bEUljE0_EEESW_SX_SY_S15_S19_S1B_T6_T7_T9_mT8_S1D_bDpT10_ENKUlT_T0_E_clISt17integral_constantIbLb1EES1Q_IbLb0EEEEDaS1M_S1N_EUlS1M_E_NS1_11comp_targetILNS1_3genE8ELNS1_11target_archE1030ELNS1_3gpuE2ELNS1_3repE0EEENS1_30default_config_static_selectorELNS0_4arch9wavefront6targetE0EEEvSZ_
; %bb.0:
	.section	.rodata,"a",@progbits
	.p2align	6, 0x0
	.amdhsa_kernel _ZN7rocprim17ROCPRIM_400000_NS6detail17trampoline_kernelINS0_13select_configILj256ELj13ELNS0_17block_load_methodE3ELS4_3ELS4_3ELNS0_20block_scan_algorithmE0ELj4294967295EEENS1_25partition_config_selectorILNS1_17partition_subalgoE4EjNS0_10empty_typeEbEEZZNS1_14partition_implILS8_4ELb0ES6_15HIP_vector_typeIjLj2EENS0_17counting_iteratorIjlEEPS9_SG_NS0_5tupleIJPjSI_NS0_16reverse_iteratorISI_EEEEENSH_IJSG_SG_SG_EEES9_SI_JZNS1_25segmented_radix_sort_implINS0_14default_configELb0EPKlPlSQ_SR_N2at6native12_GLOBAL__N_18offset_tEEE10hipError_tPvRmT1_PNSt15iterator_traitsISZ_E10value_typeET2_T3_PNS10_IS15_E10value_typeET4_jRbjT5_S1B_jjP12ihipStream_tbEUljE_ZNSN_ISO_Lb0ESQ_SR_SQ_SR_SV_EESW_SX_SY_SZ_S13_S14_S15_S18_S19_jS1A_jS1B_S1B_jjS1D_bEUljE0_EEESW_SX_SY_S15_S19_S1B_T6_T7_T9_mT8_S1D_bDpT10_ENKUlT_T0_E_clISt17integral_constantIbLb1EES1Q_IbLb0EEEEDaS1M_S1N_EUlS1M_E_NS1_11comp_targetILNS1_3genE8ELNS1_11target_archE1030ELNS1_3gpuE2ELNS1_3repE0EEENS1_30default_config_static_selectorELNS0_4arch9wavefront6targetE0EEEvSZ_
		.amdhsa_group_segment_fixed_size 0
		.amdhsa_private_segment_fixed_size 0
		.amdhsa_kernarg_size 176
		.amdhsa_user_sgpr_count 2
		.amdhsa_user_sgpr_dispatch_ptr 0
		.amdhsa_user_sgpr_queue_ptr 0
		.amdhsa_user_sgpr_kernarg_segment_ptr 1
		.amdhsa_user_sgpr_dispatch_id 0
		.amdhsa_user_sgpr_kernarg_preload_length 0
		.amdhsa_user_sgpr_kernarg_preload_offset 0
		.amdhsa_user_sgpr_private_segment_size 0
		.amdhsa_wavefront_size32 1
		.amdhsa_uses_dynamic_stack 0
		.amdhsa_enable_private_segment 0
		.amdhsa_system_sgpr_workgroup_id_x 1
		.amdhsa_system_sgpr_workgroup_id_y 0
		.amdhsa_system_sgpr_workgroup_id_z 0
		.amdhsa_system_sgpr_workgroup_info 0
		.amdhsa_system_vgpr_workitem_id 0
		.amdhsa_next_free_vgpr 1
		.amdhsa_next_free_sgpr 1
		.amdhsa_named_barrier_count 0
		.amdhsa_reserve_vcc 0
		.amdhsa_float_round_mode_32 0
		.amdhsa_float_round_mode_16_64 0
		.amdhsa_float_denorm_mode_32 3
		.amdhsa_float_denorm_mode_16_64 3
		.amdhsa_fp16_overflow 0
		.amdhsa_memory_ordered 1
		.amdhsa_forward_progress 1
		.amdhsa_inst_pref_size 0
		.amdhsa_round_robin_scheduling 0
		.amdhsa_exception_fp_ieee_invalid_op 0
		.amdhsa_exception_fp_denorm_src 0
		.amdhsa_exception_fp_ieee_div_zero 0
		.amdhsa_exception_fp_ieee_overflow 0
		.amdhsa_exception_fp_ieee_underflow 0
		.amdhsa_exception_fp_ieee_inexact 0
		.amdhsa_exception_int_div_zero 0
	.end_amdhsa_kernel
	.section	.text._ZN7rocprim17ROCPRIM_400000_NS6detail17trampoline_kernelINS0_13select_configILj256ELj13ELNS0_17block_load_methodE3ELS4_3ELS4_3ELNS0_20block_scan_algorithmE0ELj4294967295EEENS1_25partition_config_selectorILNS1_17partition_subalgoE4EjNS0_10empty_typeEbEEZZNS1_14partition_implILS8_4ELb0ES6_15HIP_vector_typeIjLj2EENS0_17counting_iteratorIjlEEPS9_SG_NS0_5tupleIJPjSI_NS0_16reverse_iteratorISI_EEEEENSH_IJSG_SG_SG_EEES9_SI_JZNS1_25segmented_radix_sort_implINS0_14default_configELb0EPKlPlSQ_SR_N2at6native12_GLOBAL__N_18offset_tEEE10hipError_tPvRmT1_PNSt15iterator_traitsISZ_E10value_typeET2_T3_PNS10_IS15_E10value_typeET4_jRbjT5_S1B_jjP12ihipStream_tbEUljE_ZNSN_ISO_Lb0ESQ_SR_SQ_SR_SV_EESW_SX_SY_SZ_S13_S14_S15_S18_S19_jS1A_jS1B_S1B_jjS1D_bEUljE0_EEESW_SX_SY_S15_S19_S1B_T6_T7_T9_mT8_S1D_bDpT10_ENKUlT_T0_E_clISt17integral_constantIbLb1EES1Q_IbLb0EEEEDaS1M_S1N_EUlS1M_E_NS1_11comp_targetILNS1_3genE8ELNS1_11target_archE1030ELNS1_3gpuE2ELNS1_3repE0EEENS1_30default_config_static_selectorELNS0_4arch9wavefront6targetE0EEEvSZ_,"axG",@progbits,_ZN7rocprim17ROCPRIM_400000_NS6detail17trampoline_kernelINS0_13select_configILj256ELj13ELNS0_17block_load_methodE3ELS4_3ELS4_3ELNS0_20block_scan_algorithmE0ELj4294967295EEENS1_25partition_config_selectorILNS1_17partition_subalgoE4EjNS0_10empty_typeEbEEZZNS1_14partition_implILS8_4ELb0ES6_15HIP_vector_typeIjLj2EENS0_17counting_iteratorIjlEEPS9_SG_NS0_5tupleIJPjSI_NS0_16reverse_iteratorISI_EEEEENSH_IJSG_SG_SG_EEES9_SI_JZNS1_25segmented_radix_sort_implINS0_14default_configELb0EPKlPlSQ_SR_N2at6native12_GLOBAL__N_18offset_tEEE10hipError_tPvRmT1_PNSt15iterator_traitsISZ_E10value_typeET2_T3_PNS10_IS15_E10value_typeET4_jRbjT5_S1B_jjP12ihipStream_tbEUljE_ZNSN_ISO_Lb0ESQ_SR_SQ_SR_SV_EESW_SX_SY_SZ_S13_S14_S15_S18_S19_jS1A_jS1B_S1B_jjS1D_bEUljE0_EEESW_SX_SY_S15_S19_S1B_T6_T7_T9_mT8_S1D_bDpT10_ENKUlT_T0_E_clISt17integral_constantIbLb1EES1Q_IbLb0EEEEDaS1M_S1N_EUlS1M_E_NS1_11comp_targetILNS1_3genE8ELNS1_11target_archE1030ELNS1_3gpuE2ELNS1_3repE0EEENS1_30default_config_static_selectorELNS0_4arch9wavefront6targetE0EEEvSZ_,comdat
.Lfunc_end762:
	.size	_ZN7rocprim17ROCPRIM_400000_NS6detail17trampoline_kernelINS0_13select_configILj256ELj13ELNS0_17block_load_methodE3ELS4_3ELS4_3ELNS0_20block_scan_algorithmE0ELj4294967295EEENS1_25partition_config_selectorILNS1_17partition_subalgoE4EjNS0_10empty_typeEbEEZZNS1_14partition_implILS8_4ELb0ES6_15HIP_vector_typeIjLj2EENS0_17counting_iteratorIjlEEPS9_SG_NS0_5tupleIJPjSI_NS0_16reverse_iteratorISI_EEEEENSH_IJSG_SG_SG_EEES9_SI_JZNS1_25segmented_radix_sort_implINS0_14default_configELb0EPKlPlSQ_SR_N2at6native12_GLOBAL__N_18offset_tEEE10hipError_tPvRmT1_PNSt15iterator_traitsISZ_E10value_typeET2_T3_PNS10_IS15_E10value_typeET4_jRbjT5_S1B_jjP12ihipStream_tbEUljE_ZNSN_ISO_Lb0ESQ_SR_SQ_SR_SV_EESW_SX_SY_SZ_S13_S14_S15_S18_S19_jS1A_jS1B_S1B_jjS1D_bEUljE0_EEESW_SX_SY_S15_S19_S1B_T6_T7_T9_mT8_S1D_bDpT10_ENKUlT_T0_E_clISt17integral_constantIbLb1EES1Q_IbLb0EEEEDaS1M_S1N_EUlS1M_E_NS1_11comp_targetILNS1_3genE8ELNS1_11target_archE1030ELNS1_3gpuE2ELNS1_3repE0EEENS1_30default_config_static_selectorELNS0_4arch9wavefront6targetE0EEEvSZ_, .Lfunc_end762-_ZN7rocprim17ROCPRIM_400000_NS6detail17trampoline_kernelINS0_13select_configILj256ELj13ELNS0_17block_load_methodE3ELS4_3ELS4_3ELNS0_20block_scan_algorithmE0ELj4294967295EEENS1_25partition_config_selectorILNS1_17partition_subalgoE4EjNS0_10empty_typeEbEEZZNS1_14partition_implILS8_4ELb0ES6_15HIP_vector_typeIjLj2EENS0_17counting_iteratorIjlEEPS9_SG_NS0_5tupleIJPjSI_NS0_16reverse_iteratorISI_EEEEENSH_IJSG_SG_SG_EEES9_SI_JZNS1_25segmented_radix_sort_implINS0_14default_configELb0EPKlPlSQ_SR_N2at6native12_GLOBAL__N_18offset_tEEE10hipError_tPvRmT1_PNSt15iterator_traitsISZ_E10value_typeET2_T3_PNS10_IS15_E10value_typeET4_jRbjT5_S1B_jjP12ihipStream_tbEUljE_ZNSN_ISO_Lb0ESQ_SR_SQ_SR_SV_EESW_SX_SY_SZ_S13_S14_S15_S18_S19_jS1A_jS1B_S1B_jjS1D_bEUljE0_EEESW_SX_SY_S15_S19_S1B_T6_T7_T9_mT8_S1D_bDpT10_ENKUlT_T0_E_clISt17integral_constantIbLb1EES1Q_IbLb0EEEEDaS1M_S1N_EUlS1M_E_NS1_11comp_targetILNS1_3genE8ELNS1_11target_archE1030ELNS1_3gpuE2ELNS1_3repE0EEENS1_30default_config_static_selectorELNS0_4arch9wavefront6targetE0EEEvSZ_
                                        ; -- End function
	.set _ZN7rocprim17ROCPRIM_400000_NS6detail17trampoline_kernelINS0_13select_configILj256ELj13ELNS0_17block_load_methodE3ELS4_3ELS4_3ELNS0_20block_scan_algorithmE0ELj4294967295EEENS1_25partition_config_selectorILNS1_17partition_subalgoE4EjNS0_10empty_typeEbEEZZNS1_14partition_implILS8_4ELb0ES6_15HIP_vector_typeIjLj2EENS0_17counting_iteratorIjlEEPS9_SG_NS0_5tupleIJPjSI_NS0_16reverse_iteratorISI_EEEEENSH_IJSG_SG_SG_EEES9_SI_JZNS1_25segmented_radix_sort_implINS0_14default_configELb0EPKlPlSQ_SR_N2at6native12_GLOBAL__N_18offset_tEEE10hipError_tPvRmT1_PNSt15iterator_traitsISZ_E10value_typeET2_T3_PNS10_IS15_E10value_typeET4_jRbjT5_S1B_jjP12ihipStream_tbEUljE_ZNSN_ISO_Lb0ESQ_SR_SQ_SR_SV_EESW_SX_SY_SZ_S13_S14_S15_S18_S19_jS1A_jS1B_S1B_jjS1D_bEUljE0_EEESW_SX_SY_S15_S19_S1B_T6_T7_T9_mT8_S1D_bDpT10_ENKUlT_T0_E_clISt17integral_constantIbLb1EES1Q_IbLb0EEEEDaS1M_S1N_EUlS1M_E_NS1_11comp_targetILNS1_3genE8ELNS1_11target_archE1030ELNS1_3gpuE2ELNS1_3repE0EEENS1_30default_config_static_selectorELNS0_4arch9wavefront6targetE0EEEvSZ_.num_vgpr, 0
	.set _ZN7rocprim17ROCPRIM_400000_NS6detail17trampoline_kernelINS0_13select_configILj256ELj13ELNS0_17block_load_methodE3ELS4_3ELS4_3ELNS0_20block_scan_algorithmE0ELj4294967295EEENS1_25partition_config_selectorILNS1_17partition_subalgoE4EjNS0_10empty_typeEbEEZZNS1_14partition_implILS8_4ELb0ES6_15HIP_vector_typeIjLj2EENS0_17counting_iteratorIjlEEPS9_SG_NS0_5tupleIJPjSI_NS0_16reverse_iteratorISI_EEEEENSH_IJSG_SG_SG_EEES9_SI_JZNS1_25segmented_radix_sort_implINS0_14default_configELb0EPKlPlSQ_SR_N2at6native12_GLOBAL__N_18offset_tEEE10hipError_tPvRmT1_PNSt15iterator_traitsISZ_E10value_typeET2_T3_PNS10_IS15_E10value_typeET4_jRbjT5_S1B_jjP12ihipStream_tbEUljE_ZNSN_ISO_Lb0ESQ_SR_SQ_SR_SV_EESW_SX_SY_SZ_S13_S14_S15_S18_S19_jS1A_jS1B_S1B_jjS1D_bEUljE0_EEESW_SX_SY_S15_S19_S1B_T6_T7_T9_mT8_S1D_bDpT10_ENKUlT_T0_E_clISt17integral_constantIbLb1EES1Q_IbLb0EEEEDaS1M_S1N_EUlS1M_E_NS1_11comp_targetILNS1_3genE8ELNS1_11target_archE1030ELNS1_3gpuE2ELNS1_3repE0EEENS1_30default_config_static_selectorELNS0_4arch9wavefront6targetE0EEEvSZ_.num_agpr, 0
	.set _ZN7rocprim17ROCPRIM_400000_NS6detail17trampoline_kernelINS0_13select_configILj256ELj13ELNS0_17block_load_methodE3ELS4_3ELS4_3ELNS0_20block_scan_algorithmE0ELj4294967295EEENS1_25partition_config_selectorILNS1_17partition_subalgoE4EjNS0_10empty_typeEbEEZZNS1_14partition_implILS8_4ELb0ES6_15HIP_vector_typeIjLj2EENS0_17counting_iteratorIjlEEPS9_SG_NS0_5tupleIJPjSI_NS0_16reverse_iteratorISI_EEEEENSH_IJSG_SG_SG_EEES9_SI_JZNS1_25segmented_radix_sort_implINS0_14default_configELb0EPKlPlSQ_SR_N2at6native12_GLOBAL__N_18offset_tEEE10hipError_tPvRmT1_PNSt15iterator_traitsISZ_E10value_typeET2_T3_PNS10_IS15_E10value_typeET4_jRbjT5_S1B_jjP12ihipStream_tbEUljE_ZNSN_ISO_Lb0ESQ_SR_SQ_SR_SV_EESW_SX_SY_SZ_S13_S14_S15_S18_S19_jS1A_jS1B_S1B_jjS1D_bEUljE0_EEESW_SX_SY_S15_S19_S1B_T6_T7_T9_mT8_S1D_bDpT10_ENKUlT_T0_E_clISt17integral_constantIbLb1EES1Q_IbLb0EEEEDaS1M_S1N_EUlS1M_E_NS1_11comp_targetILNS1_3genE8ELNS1_11target_archE1030ELNS1_3gpuE2ELNS1_3repE0EEENS1_30default_config_static_selectorELNS0_4arch9wavefront6targetE0EEEvSZ_.numbered_sgpr, 0
	.set _ZN7rocprim17ROCPRIM_400000_NS6detail17trampoline_kernelINS0_13select_configILj256ELj13ELNS0_17block_load_methodE3ELS4_3ELS4_3ELNS0_20block_scan_algorithmE0ELj4294967295EEENS1_25partition_config_selectorILNS1_17partition_subalgoE4EjNS0_10empty_typeEbEEZZNS1_14partition_implILS8_4ELb0ES6_15HIP_vector_typeIjLj2EENS0_17counting_iteratorIjlEEPS9_SG_NS0_5tupleIJPjSI_NS0_16reverse_iteratorISI_EEEEENSH_IJSG_SG_SG_EEES9_SI_JZNS1_25segmented_radix_sort_implINS0_14default_configELb0EPKlPlSQ_SR_N2at6native12_GLOBAL__N_18offset_tEEE10hipError_tPvRmT1_PNSt15iterator_traitsISZ_E10value_typeET2_T3_PNS10_IS15_E10value_typeET4_jRbjT5_S1B_jjP12ihipStream_tbEUljE_ZNSN_ISO_Lb0ESQ_SR_SQ_SR_SV_EESW_SX_SY_SZ_S13_S14_S15_S18_S19_jS1A_jS1B_S1B_jjS1D_bEUljE0_EEESW_SX_SY_S15_S19_S1B_T6_T7_T9_mT8_S1D_bDpT10_ENKUlT_T0_E_clISt17integral_constantIbLb1EES1Q_IbLb0EEEEDaS1M_S1N_EUlS1M_E_NS1_11comp_targetILNS1_3genE8ELNS1_11target_archE1030ELNS1_3gpuE2ELNS1_3repE0EEENS1_30default_config_static_selectorELNS0_4arch9wavefront6targetE0EEEvSZ_.num_named_barrier, 0
	.set _ZN7rocprim17ROCPRIM_400000_NS6detail17trampoline_kernelINS0_13select_configILj256ELj13ELNS0_17block_load_methodE3ELS4_3ELS4_3ELNS0_20block_scan_algorithmE0ELj4294967295EEENS1_25partition_config_selectorILNS1_17partition_subalgoE4EjNS0_10empty_typeEbEEZZNS1_14partition_implILS8_4ELb0ES6_15HIP_vector_typeIjLj2EENS0_17counting_iteratorIjlEEPS9_SG_NS0_5tupleIJPjSI_NS0_16reverse_iteratorISI_EEEEENSH_IJSG_SG_SG_EEES9_SI_JZNS1_25segmented_radix_sort_implINS0_14default_configELb0EPKlPlSQ_SR_N2at6native12_GLOBAL__N_18offset_tEEE10hipError_tPvRmT1_PNSt15iterator_traitsISZ_E10value_typeET2_T3_PNS10_IS15_E10value_typeET4_jRbjT5_S1B_jjP12ihipStream_tbEUljE_ZNSN_ISO_Lb0ESQ_SR_SQ_SR_SV_EESW_SX_SY_SZ_S13_S14_S15_S18_S19_jS1A_jS1B_S1B_jjS1D_bEUljE0_EEESW_SX_SY_S15_S19_S1B_T6_T7_T9_mT8_S1D_bDpT10_ENKUlT_T0_E_clISt17integral_constantIbLb1EES1Q_IbLb0EEEEDaS1M_S1N_EUlS1M_E_NS1_11comp_targetILNS1_3genE8ELNS1_11target_archE1030ELNS1_3gpuE2ELNS1_3repE0EEENS1_30default_config_static_selectorELNS0_4arch9wavefront6targetE0EEEvSZ_.private_seg_size, 0
	.set _ZN7rocprim17ROCPRIM_400000_NS6detail17trampoline_kernelINS0_13select_configILj256ELj13ELNS0_17block_load_methodE3ELS4_3ELS4_3ELNS0_20block_scan_algorithmE0ELj4294967295EEENS1_25partition_config_selectorILNS1_17partition_subalgoE4EjNS0_10empty_typeEbEEZZNS1_14partition_implILS8_4ELb0ES6_15HIP_vector_typeIjLj2EENS0_17counting_iteratorIjlEEPS9_SG_NS0_5tupleIJPjSI_NS0_16reverse_iteratorISI_EEEEENSH_IJSG_SG_SG_EEES9_SI_JZNS1_25segmented_radix_sort_implINS0_14default_configELb0EPKlPlSQ_SR_N2at6native12_GLOBAL__N_18offset_tEEE10hipError_tPvRmT1_PNSt15iterator_traitsISZ_E10value_typeET2_T3_PNS10_IS15_E10value_typeET4_jRbjT5_S1B_jjP12ihipStream_tbEUljE_ZNSN_ISO_Lb0ESQ_SR_SQ_SR_SV_EESW_SX_SY_SZ_S13_S14_S15_S18_S19_jS1A_jS1B_S1B_jjS1D_bEUljE0_EEESW_SX_SY_S15_S19_S1B_T6_T7_T9_mT8_S1D_bDpT10_ENKUlT_T0_E_clISt17integral_constantIbLb1EES1Q_IbLb0EEEEDaS1M_S1N_EUlS1M_E_NS1_11comp_targetILNS1_3genE8ELNS1_11target_archE1030ELNS1_3gpuE2ELNS1_3repE0EEENS1_30default_config_static_selectorELNS0_4arch9wavefront6targetE0EEEvSZ_.uses_vcc, 0
	.set _ZN7rocprim17ROCPRIM_400000_NS6detail17trampoline_kernelINS0_13select_configILj256ELj13ELNS0_17block_load_methodE3ELS4_3ELS4_3ELNS0_20block_scan_algorithmE0ELj4294967295EEENS1_25partition_config_selectorILNS1_17partition_subalgoE4EjNS0_10empty_typeEbEEZZNS1_14partition_implILS8_4ELb0ES6_15HIP_vector_typeIjLj2EENS0_17counting_iteratorIjlEEPS9_SG_NS0_5tupleIJPjSI_NS0_16reverse_iteratorISI_EEEEENSH_IJSG_SG_SG_EEES9_SI_JZNS1_25segmented_radix_sort_implINS0_14default_configELb0EPKlPlSQ_SR_N2at6native12_GLOBAL__N_18offset_tEEE10hipError_tPvRmT1_PNSt15iterator_traitsISZ_E10value_typeET2_T3_PNS10_IS15_E10value_typeET4_jRbjT5_S1B_jjP12ihipStream_tbEUljE_ZNSN_ISO_Lb0ESQ_SR_SQ_SR_SV_EESW_SX_SY_SZ_S13_S14_S15_S18_S19_jS1A_jS1B_S1B_jjS1D_bEUljE0_EEESW_SX_SY_S15_S19_S1B_T6_T7_T9_mT8_S1D_bDpT10_ENKUlT_T0_E_clISt17integral_constantIbLb1EES1Q_IbLb0EEEEDaS1M_S1N_EUlS1M_E_NS1_11comp_targetILNS1_3genE8ELNS1_11target_archE1030ELNS1_3gpuE2ELNS1_3repE0EEENS1_30default_config_static_selectorELNS0_4arch9wavefront6targetE0EEEvSZ_.uses_flat_scratch, 0
	.set _ZN7rocprim17ROCPRIM_400000_NS6detail17trampoline_kernelINS0_13select_configILj256ELj13ELNS0_17block_load_methodE3ELS4_3ELS4_3ELNS0_20block_scan_algorithmE0ELj4294967295EEENS1_25partition_config_selectorILNS1_17partition_subalgoE4EjNS0_10empty_typeEbEEZZNS1_14partition_implILS8_4ELb0ES6_15HIP_vector_typeIjLj2EENS0_17counting_iteratorIjlEEPS9_SG_NS0_5tupleIJPjSI_NS0_16reverse_iteratorISI_EEEEENSH_IJSG_SG_SG_EEES9_SI_JZNS1_25segmented_radix_sort_implINS0_14default_configELb0EPKlPlSQ_SR_N2at6native12_GLOBAL__N_18offset_tEEE10hipError_tPvRmT1_PNSt15iterator_traitsISZ_E10value_typeET2_T3_PNS10_IS15_E10value_typeET4_jRbjT5_S1B_jjP12ihipStream_tbEUljE_ZNSN_ISO_Lb0ESQ_SR_SQ_SR_SV_EESW_SX_SY_SZ_S13_S14_S15_S18_S19_jS1A_jS1B_S1B_jjS1D_bEUljE0_EEESW_SX_SY_S15_S19_S1B_T6_T7_T9_mT8_S1D_bDpT10_ENKUlT_T0_E_clISt17integral_constantIbLb1EES1Q_IbLb0EEEEDaS1M_S1N_EUlS1M_E_NS1_11comp_targetILNS1_3genE8ELNS1_11target_archE1030ELNS1_3gpuE2ELNS1_3repE0EEENS1_30default_config_static_selectorELNS0_4arch9wavefront6targetE0EEEvSZ_.has_dyn_sized_stack, 0
	.set _ZN7rocprim17ROCPRIM_400000_NS6detail17trampoline_kernelINS0_13select_configILj256ELj13ELNS0_17block_load_methodE3ELS4_3ELS4_3ELNS0_20block_scan_algorithmE0ELj4294967295EEENS1_25partition_config_selectorILNS1_17partition_subalgoE4EjNS0_10empty_typeEbEEZZNS1_14partition_implILS8_4ELb0ES6_15HIP_vector_typeIjLj2EENS0_17counting_iteratorIjlEEPS9_SG_NS0_5tupleIJPjSI_NS0_16reverse_iteratorISI_EEEEENSH_IJSG_SG_SG_EEES9_SI_JZNS1_25segmented_radix_sort_implINS0_14default_configELb0EPKlPlSQ_SR_N2at6native12_GLOBAL__N_18offset_tEEE10hipError_tPvRmT1_PNSt15iterator_traitsISZ_E10value_typeET2_T3_PNS10_IS15_E10value_typeET4_jRbjT5_S1B_jjP12ihipStream_tbEUljE_ZNSN_ISO_Lb0ESQ_SR_SQ_SR_SV_EESW_SX_SY_SZ_S13_S14_S15_S18_S19_jS1A_jS1B_S1B_jjS1D_bEUljE0_EEESW_SX_SY_S15_S19_S1B_T6_T7_T9_mT8_S1D_bDpT10_ENKUlT_T0_E_clISt17integral_constantIbLb1EES1Q_IbLb0EEEEDaS1M_S1N_EUlS1M_E_NS1_11comp_targetILNS1_3genE8ELNS1_11target_archE1030ELNS1_3gpuE2ELNS1_3repE0EEENS1_30default_config_static_selectorELNS0_4arch9wavefront6targetE0EEEvSZ_.has_recursion, 0
	.set _ZN7rocprim17ROCPRIM_400000_NS6detail17trampoline_kernelINS0_13select_configILj256ELj13ELNS0_17block_load_methodE3ELS4_3ELS4_3ELNS0_20block_scan_algorithmE0ELj4294967295EEENS1_25partition_config_selectorILNS1_17partition_subalgoE4EjNS0_10empty_typeEbEEZZNS1_14partition_implILS8_4ELb0ES6_15HIP_vector_typeIjLj2EENS0_17counting_iteratorIjlEEPS9_SG_NS0_5tupleIJPjSI_NS0_16reverse_iteratorISI_EEEEENSH_IJSG_SG_SG_EEES9_SI_JZNS1_25segmented_radix_sort_implINS0_14default_configELb0EPKlPlSQ_SR_N2at6native12_GLOBAL__N_18offset_tEEE10hipError_tPvRmT1_PNSt15iterator_traitsISZ_E10value_typeET2_T3_PNS10_IS15_E10value_typeET4_jRbjT5_S1B_jjP12ihipStream_tbEUljE_ZNSN_ISO_Lb0ESQ_SR_SQ_SR_SV_EESW_SX_SY_SZ_S13_S14_S15_S18_S19_jS1A_jS1B_S1B_jjS1D_bEUljE0_EEESW_SX_SY_S15_S19_S1B_T6_T7_T9_mT8_S1D_bDpT10_ENKUlT_T0_E_clISt17integral_constantIbLb1EES1Q_IbLb0EEEEDaS1M_S1N_EUlS1M_E_NS1_11comp_targetILNS1_3genE8ELNS1_11target_archE1030ELNS1_3gpuE2ELNS1_3repE0EEENS1_30default_config_static_selectorELNS0_4arch9wavefront6targetE0EEEvSZ_.has_indirect_call, 0
	.section	.AMDGPU.csdata,"",@progbits
; Kernel info:
; codeLenInByte = 0
; TotalNumSgprs: 0
; NumVgprs: 0
; ScratchSize: 0
; MemoryBound: 0
; FloatMode: 240
; IeeeMode: 1
; LDSByteSize: 0 bytes/workgroup (compile time only)
; SGPRBlocks: 0
; VGPRBlocks: 0
; NumSGPRsForWavesPerEU: 1
; NumVGPRsForWavesPerEU: 1
; NamedBarCnt: 0
; Occupancy: 16
; WaveLimiterHint : 0
; COMPUTE_PGM_RSRC2:SCRATCH_EN: 0
; COMPUTE_PGM_RSRC2:USER_SGPR: 2
; COMPUTE_PGM_RSRC2:TRAP_HANDLER: 0
; COMPUTE_PGM_RSRC2:TGID_X_EN: 1
; COMPUTE_PGM_RSRC2:TGID_Y_EN: 0
; COMPUTE_PGM_RSRC2:TGID_Z_EN: 0
; COMPUTE_PGM_RSRC2:TIDIG_COMP_CNT: 0
	.section	.text._ZN7rocprim17ROCPRIM_400000_NS6detail17trampoline_kernelINS0_13select_configILj256ELj13ELNS0_17block_load_methodE3ELS4_3ELS4_3ELNS0_20block_scan_algorithmE0ELj4294967295EEENS1_25partition_config_selectorILNS1_17partition_subalgoE4EjNS0_10empty_typeEbEEZZNS1_14partition_implILS8_4ELb0ES6_15HIP_vector_typeIjLj2EENS0_17counting_iteratorIjlEEPS9_SG_NS0_5tupleIJPjSI_NS0_16reverse_iteratorISI_EEEEENSH_IJSG_SG_SG_EEES9_SI_JZNS1_25segmented_radix_sort_implINS0_14default_configELb0EPKlPlSQ_SR_N2at6native12_GLOBAL__N_18offset_tEEE10hipError_tPvRmT1_PNSt15iterator_traitsISZ_E10value_typeET2_T3_PNS10_IS15_E10value_typeET4_jRbjT5_S1B_jjP12ihipStream_tbEUljE_ZNSN_ISO_Lb0ESQ_SR_SQ_SR_SV_EESW_SX_SY_SZ_S13_S14_S15_S18_S19_jS1A_jS1B_S1B_jjS1D_bEUljE0_EEESW_SX_SY_S15_S19_S1B_T6_T7_T9_mT8_S1D_bDpT10_ENKUlT_T0_E_clISt17integral_constantIbLb0EES1Q_IbLb1EEEEDaS1M_S1N_EUlS1M_E_NS1_11comp_targetILNS1_3genE0ELNS1_11target_archE4294967295ELNS1_3gpuE0ELNS1_3repE0EEENS1_30default_config_static_selectorELNS0_4arch9wavefront6targetE0EEEvSZ_,"axG",@progbits,_ZN7rocprim17ROCPRIM_400000_NS6detail17trampoline_kernelINS0_13select_configILj256ELj13ELNS0_17block_load_methodE3ELS4_3ELS4_3ELNS0_20block_scan_algorithmE0ELj4294967295EEENS1_25partition_config_selectorILNS1_17partition_subalgoE4EjNS0_10empty_typeEbEEZZNS1_14partition_implILS8_4ELb0ES6_15HIP_vector_typeIjLj2EENS0_17counting_iteratorIjlEEPS9_SG_NS0_5tupleIJPjSI_NS0_16reverse_iteratorISI_EEEEENSH_IJSG_SG_SG_EEES9_SI_JZNS1_25segmented_radix_sort_implINS0_14default_configELb0EPKlPlSQ_SR_N2at6native12_GLOBAL__N_18offset_tEEE10hipError_tPvRmT1_PNSt15iterator_traitsISZ_E10value_typeET2_T3_PNS10_IS15_E10value_typeET4_jRbjT5_S1B_jjP12ihipStream_tbEUljE_ZNSN_ISO_Lb0ESQ_SR_SQ_SR_SV_EESW_SX_SY_SZ_S13_S14_S15_S18_S19_jS1A_jS1B_S1B_jjS1D_bEUljE0_EEESW_SX_SY_S15_S19_S1B_T6_T7_T9_mT8_S1D_bDpT10_ENKUlT_T0_E_clISt17integral_constantIbLb0EES1Q_IbLb1EEEEDaS1M_S1N_EUlS1M_E_NS1_11comp_targetILNS1_3genE0ELNS1_11target_archE4294967295ELNS1_3gpuE0ELNS1_3repE0EEENS1_30default_config_static_selectorELNS0_4arch9wavefront6targetE0EEEvSZ_,comdat
	.globl	_ZN7rocprim17ROCPRIM_400000_NS6detail17trampoline_kernelINS0_13select_configILj256ELj13ELNS0_17block_load_methodE3ELS4_3ELS4_3ELNS0_20block_scan_algorithmE0ELj4294967295EEENS1_25partition_config_selectorILNS1_17partition_subalgoE4EjNS0_10empty_typeEbEEZZNS1_14partition_implILS8_4ELb0ES6_15HIP_vector_typeIjLj2EENS0_17counting_iteratorIjlEEPS9_SG_NS0_5tupleIJPjSI_NS0_16reverse_iteratorISI_EEEEENSH_IJSG_SG_SG_EEES9_SI_JZNS1_25segmented_radix_sort_implINS0_14default_configELb0EPKlPlSQ_SR_N2at6native12_GLOBAL__N_18offset_tEEE10hipError_tPvRmT1_PNSt15iterator_traitsISZ_E10value_typeET2_T3_PNS10_IS15_E10value_typeET4_jRbjT5_S1B_jjP12ihipStream_tbEUljE_ZNSN_ISO_Lb0ESQ_SR_SQ_SR_SV_EESW_SX_SY_SZ_S13_S14_S15_S18_S19_jS1A_jS1B_S1B_jjS1D_bEUljE0_EEESW_SX_SY_S15_S19_S1B_T6_T7_T9_mT8_S1D_bDpT10_ENKUlT_T0_E_clISt17integral_constantIbLb0EES1Q_IbLb1EEEEDaS1M_S1N_EUlS1M_E_NS1_11comp_targetILNS1_3genE0ELNS1_11target_archE4294967295ELNS1_3gpuE0ELNS1_3repE0EEENS1_30default_config_static_selectorELNS0_4arch9wavefront6targetE0EEEvSZ_ ; -- Begin function _ZN7rocprim17ROCPRIM_400000_NS6detail17trampoline_kernelINS0_13select_configILj256ELj13ELNS0_17block_load_methodE3ELS4_3ELS4_3ELNS0_20block_scan_algorithmE0ELj4294967295EEENS1_25partition_config_selectorILNS1_17partition_subalgoE4EjNS0_10empty_typeEbEEZZNS1_14partition_implILS8_4ELb0ES6_15HIP_vector_typeIjLj2EENS0_17counting_iteratorIjlEEPS9_SG_NS0_5tupleIJPjSI_NS0_16reverse_iteratorISI_EEEEENSH_IJSG_SG_SG_EEES9_SI_JZNS1_25segmented_radix_sort_implINS0_14default_configELb0EPKlPlSQ_SR_N2at6native12_GLOBAL__N_18offset_tEEE10hipError_tPvRmT1_PNSt15iterator_traitsISZ_E10value_typeET2_T3_PNS10_IS15_E10value_typeET4_jRbjT5_S1B_jjP12ihipStream_tbEUljE_ZNSN_ISO_Lb0ESQ_SR_SQ_SR_SV_EESW_SX_SY_SZ_S13_S14_S15_S18_S19_jS1A_jS1B_S1B_jjS1D_bEUljE0_EEESW_SX_SY_S15_S19_S1B_T6_T7_T9_mT8_S1D_bDpT10_ENKUlT_T0_E_clISt17integral_constantIbLb0EES1Q_IbLb1EEEEDaS1M_S1N_EUlS1M_E_NS1_11comp_targetILNS1_3genE0ELNS1_11target_archE4294967295ELNS1_3gpuE0ELNS1_3repE0EEENS1_30default_config_static_selectorELNS0_4arch9wavefront6targetE0EEEvSZ_
	.p2align	8
	.type	_ZN7rocprim17ROCPRIM_400000_NS6detail17trampoline_kernelINS0_13select_configILj256ELj13ELNS0_17block_load_methodE3ELS4_3ELS4_3ELNS0_20block_scan_algorithmE0ELj4294967295EEENS1_25partition_config_selectorILNS1_17partition_subalgoE4EjNS0_10empty_typeEbEEZZNS1_14partition_implILS8_4ELb0ES6_15HIP_vector_typeIjLj2EENS0_17counting_iteratorIjlEEPS9_SG_NS0_5tupleIJPjSI_NS0_16reverse_iteratorISI_EEEEENSH_IJSG_SG_SG_EEES9_SI_JZNS1_25segmented_radix_sort_implINS0_14default_configELb0EPKlPlSQ_SR_N2at6native12_GLOBAL__N_18offset_tEEE10hipError_tPvRmT1_PNSt15iterator_traitsISZ_E10value_typeET2_T3_PNS10_IS15_E10value_typeET4_jRbjT5_S1B_jjP12ihipStream_tbEUljE_ZNSN_ISO_Lb0ESQ_SR_SQ_SR_SV_EESW_SX_SY_SZ_S13_S14_S15_S18_S19_jS1A_jS1B_S1B_jjS1D_bEUljE0_EEESW_SX_SY_S15_S19_S1B_T6_T7_T9_mT8_S1D_bDpT10_ENKUlT_T0_E_clISt17integral_constantIbLb0EES1Q_IbLb1EEEEDaS1M_S1N_EUlS1M_E_NS1_11comp_targetILNS1_3genE0ELNS1_11target_archE4294967295ELNS1_3gpuE0ELNS1_3repE0EEENS1_30default_config_static_selectorELNS0_4arch9wavefront6targetE0EEEvSZ_,@function
_ZN7rocprim17ROCPRIM_400000_NS6detail17trampoline_kernelINS0_13select_configILj256ELj13ELNS0_17block_load_methodE3ELS4_3ELS4_3ELNS0_20block_scan_algorithmE0ELj4294967295EEENS1_25partition_config_selectorILNS1_17partition_subalgoE4EjNS0_10empty_typeEbEEZZNS1_14partition_implILS8_4ELb0ES6_15HIP_vector_typeIjLj2EENS0_17counting_iteratorIjlEEPS9_SG_NS0_5tupleIJPjSI_NS0_16reverse_iteratorISI_EEEEENSH_IJSG_SG_SG_EEES9_SI_JZNS1_25segmented_radix_sort_implINS0_14default_configELb0EPKlPlSQ_SR_N2at6native12_GLOBAL__N_18offset_tEEE10hipError_tPvRmT1_PNSt15iterator_traitsISZ_E10value_typeET2_T3_PNS10_IS15_E10value_typeET4_jRbjT5_S1B_jjP12ihipStream_tbEUljE_ZNSN_ISO_Lb0ESQ_SR_SQ_SR_SV_EESW_SX_SY_SZ_S13_S14_S15_S18_S19_jS1A_jS1B_S1B_jjS1D_bEUljE0_EEESW_SX_SY_S15_S19_S1B_T6_T7_T9_mT8_S1D_bDpT10_ENKUlT_T0_E_clISt17integral_constantIbLb0EES1Q_IbLb1EEEEDaS1M_S1N_EUlS1M_E_NS1_11comp_targetILNS1_3genE0ELNS1_11target_archE4294967295ELNS1_3gpuE0ELNS1_3repE0EEENS1_30default_config_static_selectorELNS0_4arch9wavefront6targetE0EEEvSZ_: ; @_ZN7rocprim17ROCPRIM_400000_NS6detail17trampoline_kernelINS0_13select_configILj256ELj13ELNS0_17block_load_methodE3ELS4_3ELS4_3ELNS0_20block_scan_algorithmE0ELj4294967295EEENS1_25partition_config_selectorILNS1_17partition_subalgoE4EjNS0_10empty_typeEbEEZZNS1_14partition_implILS8_4ELb0ES6_15HIP_vector_typeIjLj2EENS0_17counting_iteratorIjlEEPS9_SG_NS0_5tupleIJPjSI_NS0_16reverse_iteratorISI_EEEEENSH_IJSG_SG_SG_EEES9_SI_JZNS1_25segmented_radix_sort_implINS0_14default_configELb0EPKlPlSQ_SR_N2at6native12_GLOBAL__N_18offset_tEEE10hipError_tPvRmT1_PNSt15iterator_traitsISZ_E10value_typeET2_T3_PNS10_IS15_E10value_typeET4_jRbjT5_S1B_jjP12ihipStream_tbEUljE_ZNSN_ISO_Lb0ESQ_SR_SQ_SR_SV_EESW_SX_SY_SZ_S13_S14_S15_S18_S19_jS1A_jS1B_S1B_jjS1D_bEUljE0_EEESW_SX_SY_S15_S19_S1B_T6_T7_T9_mT8_S1D_bDpT10_ENKUlT_T0_E_clISt17integral_constantIbLb0EES1Q_IbLb1EEEEDaS1M_S1N_EUlS1M_E_NS1_11comp_targetILNS1_3genE0ELNS1_11target_archE4294967295ELNS1_3gpuE0ELNS1_3repE0EEENS1_30default_config_static_selectorELNS0_4arch9wavefront6targetE0EEEvSZ_
; %bb.0:
	s_clause 0x7
	s_load_b64 s[34:35], s[0:1], 0x10
	s_load_b128 s[28:31], s[0:1], 0x28
	s_load_b64 s[14:15], s[0:1], 0x38
	s_load_b128 s[24:27], s[0:1], 0x58
	s_load_b64 s[4:5], s[0:1], 0x68
	s_load_b64 s[36:37], s[0:1], 0x78
	;; [unrolled: 1-line block ×3, first 2 shown]
	s_load_b256 s[16:23], s[0:1], 0x90
	v_cmp_eq_u32_e64 s2, 0, v0
	s_and_saveexec_b32 s3, s2
	s_cbranch_execz .LBB763_4
; %bb.1:
	s_mov_b32 s7, exec_lo
	s_mov_b32 s6, exec_lo
	v_mbcnt_lo_u32_b32 v1, s7, 0
                                        ; implicit-def: $vgpr2
	s_delay_alu instid0(VALU_DEP_1)
	v_cmpx_eq_u32_e32 0, v1
	s_cbranch_execz .LBB763_3
; %bb.2:
	s_load_b64 s[8:9], s[0:1], 0x88
	s_bcnt1_i32_b32 s7, s7
	s_delay_alu instid0(SALU_CYCLE_1)
	v_dual_mov_b32 v2, 0 :: v_dual_mov_b32 v3, s7
	s_wait_xcnt 0x0
	s_wait_kmcnt 0x0
	global_atomic_add_u32 v2, v2, v3, s[8:9] th:TH_ATOMIC_RETURN scope:SCOPE_DEV
.LBB763_3:
	s_wait_xcnt 0x0
	s_or_b32 exec_lo, exec_lo, s6
	s_wait_loadcnt 0x0
	v_readfirstlane_b32 s6, v2
	s_delay_alu instid0(VALU_DEP_1)
	v_dual_mov_b32 v2, 0 :: v_dual_add_nc_u32 v1, s6, v1
	ds_store_b32 v2, v1
.LBB763_4:
	s_or_b32 exec_lo, exec_lo, s3
	v_mov_b32_e32 v1, 0
	s_clause 0x1
	s_load_b32 s3, s[0:1], 0x8
	s_load_b32 s6, s[0:1], 0x80
	s_wait_dscnt 0x0
	s_barrier_signal -1
	s_barrier_wait -1
	ds_load_b32 v6, v1
	s_wait_dscnt 0x0
	s_barrier_signal -1
	s_barrier_wait -1
	s_wait_kmcnt 0x0
	global_load_b128 v[2:5], v1, s[26:27]
	s_mov_b32 s1, 0
	s_add_co_i32 s3, s3, s34
	s_mul_i32 s0, s6, 0xd00
	s_add_co_i32 s6, s6, -1
	s_add_nc_u64 s[8:9], s[34:35], s[0:1]
	s_delay_alu instid0(SALU_CYCLE_1)
	v_cmp_gt_u64_e64 s1, s[4:5], s[8:9]
	v_mul_lo_u32 v14, 0xd00, v6
	s_wait_xcnt 0x0
	v_readfirstlane_b32 s27, v6
	v_cmp_ne_u32_e32 vcc_lo, s6, v6
	s_cmp_eq_u32 s27, s6
	s_cselect_b32 s26, -1, 0
	s_or_b32 s1, s1, vcc_lo
	v_add3_u32 v1, v14, s3, v0
	s_and_b32 vcc_lo, exec_lo, s1
	s_mov_b32 s3, -1
	s_delay_alu instid0(VALU_DEP_1)
	v_add_nc_u32_e32 v6, 0x100, v1
	v_add_nc_u32_e32 v7, 0x200, v1
	v_add_nc_u32_e32 v8, 0x300, v1
	v_add_nc_u32_e32 v9, 0x400, v1
	v_add_nc_u32_e32 v10, 0x500, v1
	v_add_nc_u32_e32 v11, 0x600, v1
	v_add_nc_u32_e32 v12, 0x700, v1
	v_add_nc_u32_e32 v13, 0x800, v1
	v_add_nc_u32_e32 v15, 0x900, v1
	v_add_nc_u32_e32 v16, 0xa00, v1
	v_add_nc_u32_e32 v17, 0xb00, v1
	v_add_nc_u32_e32 v18, 0xc00, v1
	s_cbranch_vccz .LBB763_6
; %bb.5:
	v_lshlrev_b32_e32 v19, 2, v0
	s_mov_b32 s3, 0
	ds_store_2addr_stride64_b32 v19, v1, v6 offset1:4
	ds_store_2addr_stride64_b32 v19, v7, v8 offset0:8 offset1:12
	ds_store_2addr_stride64_b32 v19, v9, v10 offset0:16 offset1:20
	;; [unrolled: 1-line block ×5, first 2 shown]
	ds_store_b32 v19, v18 offset:12288
	s_wait_loadcnt_dscnt 0x0
	s_barrier_signal -1
	s_barrier_wait -1
.LBB763_6:
	s_and_not1_b32 vcc_lo, exec_lo, s3
	s_add_co_i32 s0, s0, s34
	s_cbranch_vccnz .LBB763_8
; %bb.7:
	v_lshlrev_b32_e32 v19, 2, v0
	ds_store_2addr_stride64_b32 v19, v1, v6 offset1:4
	ds_store_2addr_stride64_b32 v19, v7, v8 offset0:8 offset1:12
	ds_store_2addr_stride64_b32 v19, v9, v10 offset0:16 offset1:20
	;; [unrolled: 1-line block ×5, first 2 shown]
	ds_store_b32 v19, v18 offset:12288
	s_wait_loadcnt_dscnt 0x0
	s_barrier_signal -1
	s_barrier_wait -1
.LBB763_8:
	v_mul_u32_u24_e32 v15, 13, v0
	s_wait_loadcnt 0x0
	v_cndmask_b32_e64 v35, 0, 1, s1
	s_sub_co_i32 s33, s4, s0
	s_and_not1_b32 vcc_lo, exec_lo, s1
	v_lshlrev_b32_e32 v1, 2, v15
	ds_load_b32 v34, v1 offset:48
	ds_load_2addr_b32 v[16:17], v1 offset0:10 offset1:11
	ds_load_2addr_b32 v[18:19], v1 offset0:8 offset1:9
	;; [unrolled: 1-line block ×4, first 2 shown]
	ds_load_2addr_b32 v[26:27], v1 offset1:1
	ds_load_2addr_b32 v[24:25], v1 offset0:2 offset1:3
	s_wait_dscnt 0x0
	s_barrier_signal -1
	s_barrier_wait -1
	s_cbranch_vccnz .LBB763_36
; %bb.9:
	v_dual_add_nc_u32 v1, s17, v26 :: v_dual_add_nc_u32 v6, s19, v26
	s_mov_b32 s41, 0
	s_mov_b32 s40, 0
	s_mov_b32 s1, exec_lo
	s_delay_alu instid0(VALU_DEP_1) | instskip(SKIP_1) | instid1(VALU_DEP_1)
	v_mul_lo_u32 v1, v1, s16
	v_mul_lo_u32 v6, v6, s18
	v_sub_nc_u32_e32 v1, v1, v6
	s_delay_alu instid0(VALU_DEP_1)
	v_cmp_lt_u32_e32 vcc_lo, s20, v1
	v_cmpx_ge_u32_e64 s20, v1
	s_cbranch_execz .LBB763_11
; %bb.10:
	v_dual_add_nc_u32 v1, s22, v26 :: v_dual_add_nc_u32 v6, s38, v26
	s_delay_alu instid0(VALU_DEP_1) | instskip(NEXT) | instid1(VALU_DEP_2)
	v_mul_lo_u32 v1, v1, s21
	v_mul_lo_u32 v6, v6, s23
	s_delay_alu instid0(VALU_DEP_1) | instskip(NEXT) | instid1(VALU_DEP_1)
	v_sub_nc_u32_e32 v1, v1, v6
	v_cmp_lt_u32_e64 s0, s39, v1
	s_and_b32 s40, s0, exec_lo
.LBB763_11:
	s_or_b32 exec_lo, exec_lo, s1
	v_dual_add_nc_u32 v1, s17, v27 :: v_dual_add_nc_u32 v6, s19, v27
	s_mov_b32 s3, exec_lo
	s_delay_alu instid0(VALU_DEP_1) | instskip(NEXT) | instid1(VALU_DEP_2)
	v_mul_lo_u32 v1, v1, s16
	v_mul_lo_u32 v6, v6, s18
	s_delay_alu instid0(VALU_DEP_1) | instskip(NEXT) | instid1(VALU_DEP_1)
	v_sub_nc_u32_e32 v1, v1, v6
	v_cmp_lt_u32_e64 s0, s20, v1
	v_cmpx_ge_u32_e64 s20, v1
	s_cbranch_execz .LBB763_13
; %bb.12:
	v_dual_add_nc_u32 v1, s22, v27 :: v_dual_add_nc_u32 v6, s38, v27
	s_delay_alu instid0(VALU_DEP_1) | instskip(NEXT) | instid1(VALU_DEP_2)
	v_mul_lo_u32 v1, v1, s21
	v_mul_lo_u32 v6, v6, s23
	s_delay_alu instid0(VALU_DEP_1) | instskip(NEXT) | instid1(VALU_DEP_1)
	v_sub_nc_u32_e32 v1, v1, v6
	v_cmp_lt_u32_e64 s1, s39, v1
	s_and_b32 s41, s1, exec_lo
.LBB763_13:
	s_or_b32 exec_lo, exec_lo, s3
	v_dual_add_nc_u32 v1, s17, v24 :: v_dual_add_nc_u32 v6, s19, v24
	s_mov_b32 s43, 0
	s_mov_b32 s42, 0
	s_mov_b32 s4, exec_lo
	s_delay_alu instid0(VALU_DEP_1) | instskip(SKIP_1) | instid1(VALU_DEP_1)
	v_mul_lo_u32 v1, v1, s16
	v_mul_lo_u32 v6, v6, s18
	v_sub_nc_u32_e32 v1, v1, v6
	s_delay_alu instid0(VALU_DEP_1)
	v_cmp_lt_u32_e64 s1, s20, v1
	v_cmpx_ge_u32_e64 s20, v1
	s_cbranch_execz .LBB763_15
; %bb.14:
	v_dual_add_nc_u32 v1, s22, v24 :: v_dual_add_nc_u32 v6, s38, v24
	s_delay_alu instid0(VALU_DEP_1) | instskip(NEXT) | instid1(VALU_DEP_2)
	v_mul_lo_u32 v1, v1, s21
	v_mul_lo_u32 v6, v6, s23
	s_delay_alu instid0(VALU_DEP_1) | instskip(NEXT) | instid1(VALU_DEP_1)
	v_sub_nc_u32_e32 v1, v1, v6
	v_cmp_lt_u32_e64 s3, s39, v1
	s_and_b32 s42, s3, exec_lo
.LBB763_15:
	s_or_b32 exec_lo, exec_lo, s4
	v_dual_add_nc_u32 v1, s17, v25 :: v_dual_add_nc_u32 v6, s19, v25
	s_mov_b32 s5, exec_lo
	s_delay_alu instid0(VALU_DEP_1) | instskip(NEXT) | instid1(VALU_DEP_2)
	v_mul_lo_u32 v1, v1, s16
	v_mul_lo_u32 v6, v6, s18
	s_delay_alu instid0(VALU_DEP_1) | instskip(NEXT) | instid1(VALU_DEP_1)
	v_sub_nc_u32_e32 v1, v1, v6
	v_cmp_lt_u32_e64 s3, s20, v1
	v_cmpx_ge_u32_e64 s20, v1
	s_cbranch_execz .LBB763_17
; %bb.16:
	v_dual_add_nc_u32 v1, s22, v25 :: v_dual_add_nc_u32 v6, s38, v25
	s_delay_alu instid0(VALU_DEP_1) | instskip(NEXT) | instid1(VALU_DEP_2)
	v_mul_lo_u32 v1, v1, s21
	v_mul_lo_u32 v6, v6, s23
	s_delay_alu instid0(VALU_DEP_1) | instskip(NEXT) | instid1(VALU_DEP_1)
	v_sub_nc_u32_e32 v1, v1, v6
	v_cmp_lt_u32_e64 s4, s39, v1
	s_and_b32 s43, s4, exec_lo
.LBB763_17:
	s_or_b32 exec_lo, exec_lo, s5
	v_dual_add_nc_u32 v1, s17, v22 :: v_dual_add_nc_u32 v6, s19, v22
	s_mov_b32 s45, 0
	s_mov_b32 s44, 0
	s_mov_b32 s6, exec_lo
	s_delay_alu instid0(VALU_DEP_1) | instskip(SKIP_1) | instid1(VALU_DEP_1)
	v_mul_lo_u32 v1, v1, s16
	v_mul_lo_u32 v6, v6, s18
	v_sub_nc_u32_e32 v1, v1, v6
	s_delay_alu instid0(VALU_DEP_1)
	v_cmp_lt_u32_e64 s4, s20, v1
	;; [unrolled: 44-line block ×6, first 2 shown]
	v_cmpx_ge_u32_e64 s20, v1
	s_cbranch_execz .LBB763_35
; %bb.34:
	v_dual_add_nc_u32 v1, s22, v34 :: v_dual_add_nc_u32 v6, s38, v34
	s_delay_alu instid0(VALU_DEP_1) | instskip(NEXT) | instid1(VALU_DEP_2)
	v_mul_lo_u32 v1, v1, s21
	v_mul_lo_u32 v6, v6, s23
	s_delay_alu instid0(VALU_DEP_1) | instskip(NEXT) | instid1(VALU_DEP_1)
	v_sub_nc_u32_e32 v1, v1, v6
	v_cmp_lt_u32_e64 s13, s39, v1
	s_and_b32 s53, s13, exec_lo
.LBB763_35:
	s_or_b32 exec_lo, exec_lo, s54
	v_cndmask_b32_e64 v6, 0, 1, s0
	v_cndmask_b32_e64 v8, 0, 1, s3
	v_cndmask_b32_e64 v1, 0, 1, vcc_lo
	v_cndmask_b32_e64 v7, 0, 1, s1
	v_cndmask_b32_e64 v10, 0, 1, s5
	v_lshlrev_b16 v6, 8, v6
	v_lshlrev_b16 v8, 8, v8
	v_cndmask_b32_e64 v12, 0, 1, s7
	v_cndmask_b32_e64 v28, 0, 1, s9
	;; [unrolled: 1-line block ×3, first 2 shown]
	v_or_b32_e32 v1, v1, v6
	v_or_b32_e32 v6, v7, v8
	v_cndmask_b32_e64 v8, 0, 1, s42
	v_cndmask_b32_e64 v9, 0, 1, s4
	;; [unrolled: 1-line block ×4, first 2 shown]
	v_lshlrev_b32_e32 v6, 16, v6
	v_and_b32_e32 v1, 0xffff, v1
	v_cndmask_b32_e64 v38, 0, 1, s46
	v_cndmask_b32_e64 v41, 0, 1, s44
	;; [unrolled: 1-line block ×4, first 2 shown]
	v_or_b32_e32 v36, v1, v6
	v_lshlrev_b16 v1, 8, v10
	v_lshlrev_b16 v6, 8, v12
	;; [unrolled: 1-line block ×5, first 2 shown]
	v_cndmask_b32_e64 v11, 0, 1, s6
	v_cndmask_b32_e64 v30, 0, 1, s52
	;; [unrolled: 1-line block ×6, first 2 shown]
	v_lshlrev_b16 v28, 8, v44
	v_or_b32_e32 v8, v42, v8
	v_or_b32_e32 v1, v9, v1
	;; [unrolled: 1-line block ×4, first 2 shown]
	v_lshlrev_b16 v12, 8, v41
	v_lshlrev_b16 v13, 8, v38
	v_cndmask_b32_e64 v32, 0, 1, s50
	v_cndmask_b32_e64 v37, 0, 1, s47
	v_lshlrev_b16 v29, 8, v30
	v_or_b32_e32 v7, v7, v12
	v_or_b32_e32 v12, v40, v13
	;; [unrolled: 1-line block ×4, first 2 shown]
	v_lshlrev_b16 v28, 8, v33
	v_dual_lshlrev_b32 v10, 16, v10 :: v_dual_lshlrev_b32 v8, 16, v8
	v_and_b32_e32 v1, 0xffff, v1
	s_delay_alu instid0(VALU_DEP_4) | instskip(NEXT) | instid1(VALU_DEP_4)
	v_and_b32_e32 v11, 0xffff, v11
	v_or_b32_e32 v13, v37, v28
	v_or_b32_e32 v28, v32, v29
	v_and_b32_e32 v7, 0xffff, v7
	v_dual_lshlrev_b32 v12, 16, v12 :: v_dual_lshlrev_b32 v6, 16, v6
	s_delay_alu instid0(VALU_DEP_4) | instskip(NEXT) | instid1(VALU_DEP_4)
	v_and_b32_e32 v13, 0xffff, v13
	v_lshlrev_b32_e32 v28, 16, v28
	v_and_b32_e32 v9, 0xffff, v9
	v_cndmask_b32_e64 v39, 0, 1, s51
	v_cndmask_b32_e64 v43, 0, 1, s53
	v_or_b32_e32 v38, v1, v6
	v_or_b32_e32 v42, v11, v8
	;; [unrolled: 1-line block ×5, first 2 shown]
	s_and_b32 vcc_lo, exec_lo, s48
	s_add_co_i32 s5, s33, 0xd00
	s_cbranch_vccnz .LBB763_37
	s_branch .LBB763_114
.LBB763_36:
                                        ; implicit-def: $vgpr43
                                        ; implicit-def: $vgpr39
                                        ; implicit-def: $vgpr40
                                        ; implicit-def: $vgpr37
                                        ; implicit-def: $vgpr42
                                        ; implicit-def: $vgpr41
                                        ; implicit-def: $vgpr38
                                        ; implicit-def: $vgpr36
	s_add_co_i32 s5, s33, 0xd00
	s_cbranch_execz .LBB763_114
.LBB763_37:
	v_dual_mov_b32 v6, 0 :: v_dual_mov_b32 v1, 0
	s_mov_b32 s1, exec_lo
	v_cmpx_gt_u32_e64 s5, v15
	s_cbranch_execz .LBB763_41
; %bb.38:
	v_dual_add_nc_u32 v1, s17, v26 :: v_dual_add_nc_u32 v6, s19, v26
	s_mov_b32 s4, 0
	s_mov_b32 s3, exec_lo
	s_delay_alu instid0(VALU_DEP_1) | instskip(NEXT) | instid1(VALU_DEP_2)
	v_mul_lo_u32 v1, v1, s16
	v_mul_lo_u32 v6, v6, s18
	s_delay_alu instid0(VALU_DEP_1) | instskip(NEXT) | instid1(VALU_DEP_1)
	v_sub_nc_u32_e32 v1, v1, v6
	v_cmp_lt_u32_e32 vcc_lo, s20, v1
	v_cmpx_ge_u32_e64 s20, v1
	s_cbranch_execz .LBB763_40
; %bb.39:
	v_dual_add_nc_u32 v1, s22, v26 :: v_dual_add_nc_u32 v6, s38, v26
	s_delay_alu instid0(VALU_DEP_1) | instskip(NEXT) | instid1(VALU_DEP_2)
	v_mul_lo_u32 v1, v1, s21
	v_mul_lo_u32 v6, v6, s23
	s_delay_alu instid0(VALU_DEP_1) | instskip(NEXT) | instid1(VALU_DEP_1)
	v_sub_nc_u32_e32 v1, v1, v6
	v_cmp_lt_u32_e64 s0, s39, v1
	s_and_b32 s4, s0, exec_lo
.LBB763_40:
	s_or_b32 exec_lo, exec_lo, s3
	v_cndmask_b32_e64 v6, 0, 1, s4
	v_cndmask_b32_e64 v1, 0, 1, vcc_lo
.LBB763_41:
	s_or_b32 exec_lo, exec_lo, s1
	s_delay_alu instid0(VALU_DEP_2) | instskip(SKIP_1) | instid1(VALU_DEP_2)
	v_lshlrev_b16 v6, 8, v6
	v_lshlrev_b16 v13, 8, 0
                                        ; implicit-def: $vgpr9
                                        ; implicit-def: $vgpr11
                                        ; implicit-def: $vgpr8
                                        ; implicit-def: $vgpr12
	v_and_b32_e32 v10, 0xffff, v6
	v_add_nc_u32_e32 v7, 1, v15
                                        ; implicit-def: $vgpr6
	s_delay_alu instid0(VALU_DEP_2) | instskip(NEXT) | instid1(VALU_DEP_2)
	v_lshrrev_b32_e32 v28, 8, v10
	v_cmp_le_u32_e32 vcc_lo, s5, v7
                                        ; implicit-def: $vgpr7
	s_and_saveexec_b32 s0, vcc_lo
	s_delay_alu instid0(SALU_CYCLE_1)
	s_xor_b32 s0, exec_lo, s0
	s_cbranch_execz .LBB763_43
; %bb.42:
	v_lshlrev_b16 v6, 8, v28
	v_bitop3_b16 v7, 0, v13, 0xff bitop3:0xec
	v_and_b32_e32 v12, 0xff, v1
                                        ; implicit-def: $vgpr1
                                        ; implicit-def: $vgpr13
                                        ; implicit-def: $vgpr28
	v_mov_b32_e32 v9, 0
	s_delay_alu instid0(VALU_DEP_4) | instskip(SKIP_3) | instid1(VALU_DEP_4)
	v_bitop3_b16 v10, v10, v6, 0xff bitop3:0xec
	v_mov_b32_e32 v6, 0
	v_and_b32_e32 v8, 0xffff, v7
	v_and_b32_e32 v7, 0xffff, v7
	;; [unrolled: 1-line block ×3, first 2 shown]
                                        ; implicit-def: $vgpr10
.LBB763_43:
	s_and_not1_saveexec_b32 s1, s0
	s_cbranch_execz .LBB763_47
; %bb.44:
	v_dual_add_nc_u32 v6, s17, v27 :: v_dual_add_nc_u32 v7, s19, v27
	s_mov_b32 s3, 0
	s_mov_b32 s4, exec_lo
	s_delay_alu instid0(VALU_DEP_1) | instskip(NEXT) | instid1(VALU_DEP_2)
	v_mul_lo_u32 v6, v6, s16
	v_mul_lo_u32 v7, v7, s18
	s_delay_alu instid0(VALU_DEP_1) | instskip(NEXT) | instid1(VALU_DEP_1)
	v_sub_nc_u32_e32 v6, v6, v7
	v_cmp_lt_u32_e32 vcc_lo, s20, v6
	v_cmpx_ge_u32_e64 s20, v6
	s_cbranch_execz .LBB763_46
; %bb.45:
	v_dual_add_nc_u32 v6, s22, v27 :: v_dual_add_nc_u32 v7, s38, v27
	s_delay_alu instid0(VALU_DEP_1) | instskip(NEXT) | instid1(VALU_DEP_2)
	v_mul_lo_u32 v6, v6, s21
	v_mul_lo_u32 v7, v7, s23
	s_delay_alu instid0(VALU_DEP_1) | instskip(NEXT) | instid1(VALU_DEP_1)
	v_sub_nc_u32_e32 v6, v6, v7
	v_cmp_lt_u32_e64 s0, s39, v6
	s_and_b32 s3, s0, exec_lo
.LBB763_46:
	s_or_b32 exec_lo, exec_lo, s4
	v_cndmask_b32_e64 v6, 0, 1, vcc_lo
	v_lshlrev_b16 v7, 8, v28
	v_cndmask_b32_e64 v11, 0, 1, s3
	v_mov_b32_e32 v9, 0
	s_delay_alu instid0(VALU_DEP_4) | instskip(NEXT) | instid1(VALU_DEP_4)
	v_lshlrev_b16 v6, 8, v6
	v_bitop3_b16 v7, v10, v7, 0xff bitop3:0xec
	v_bitop3_b16 v10, 0, v13, 0xff bitop3:0xec
	s_delay_alu instid0(VALU_DEP_3) | instskip(NEXT) | instid1(VALU_DEP_3)
	v_bitop3_b16 v1, v1, v6, 0xff bitop3:0xec
	v_and_b32_e32 v7, 0xffff, v7
	v_mov_b32_e32 v6, 0
	s_delay_alu instid0(VALU_DEP_4) | instskip(NEXT) | instid1(VALU_DEP_4)
	v_and_b32_e32 v8, 0xffff, v10
	v_and_b32_e32 v12, 0xffff, v1
	s_delay_alu instid0(VALU_DEP_4)
	v_lshl_or_b32 v11, v11, 16, v7
	v_and_b32_e32 v7, 0xffff, v10
.LBB763_47:
	s_or_b32 exec_lo, exec_lo, s1
	s_delay_alu instid0(VALU_DEP_3) | instskip(NEXT) | instid1(VALU_DEP_1)
	v_dual_add_nc_u32 v1, 2, v15 :: v_dual_lshrrev_b32 v13, 8, v12
                                        ; implicit-def: $vgpr10
	v_cmp_le_u32_e32 vcc_lo, s5, v1
                                        ; implicit-def: $vgpr1
	s_and_saveexec_b32 s0, vcc_lo
	s_delay_alu instid0(SALU_CYCLE_1)
	s_xor_b32 s0, exec_lo, s0
	s_cbranch_execz .LBB763_49
; %bb.48:
	v_lshlrev_b16 v1, 8, v13
	v_and_b32_e32 v13, 0xff0000, v11
	v_perm_b32 v8, v8, v8, 0x3060504
	s_delay_alu instid0(VALU_DEP_3) | instskip(NEXT) | instid1(VALU_DEP_1)
	v_bitop3_b16 v1, v12, v1, 0xff bitop3:0xec
	v_and_b32_e32 v1, 0xffff, v1
	s_delay_alu instid0(VALU_DEP_1)
	v_and_or_b32 v10, 0xff000000, v12, v1
	v_perm_b32 v1, v11, v13, 0x3020504
                                        ; implicit-def: $vgpr13
                                        ; implicit-def: $vgpr12
                                        ; implicit-def: $vgpr11
.LBB763_49:
	s_and_not1_saveexec_b32 s1, s0
	s_cbranch_execz .LBB763_53
; %bb.50:
	v_dual_add_nc_u32 v1, s17, v24 :: v_dual_add_nc_u32 v10, s19, v24
	s_mov_b32 s3, 0
	s_mov_b32 s4, exec_lo
	s_delay_alu instid0(VALU_DEP_1) | instskip(NEXT) | instid1(VALU_DEP_2)
	v_mul_lo_u32 v1, v1, s16
	v_mul_lo_u32 v10, v10, s18
	s_delay_alu instid0(VALU_DEP_1) | instskip(NEXT) | instid1(VALU_DEP_1)
	v_sub_nc_u32_e32 v1, v1, v10
	v_cmp_lt_u32_e32 vcc_lo, s20, v1
	v_cmpx_ge_u32_e64 s20, v1
	s_cbranch_execz .LBB763_52
; %bb.51:
	v_dual_add_nc_u32 v1, s22, v24 :: v_dual_add_nc_u32 v10, s38, v24
	s_delay_alu instid0(VALU_DEP_1) | instskip(NEXT) | instid1(VALU_DEP_2)
	v_mul_lo_u32 v1, v1, s21
	v_mul_lo_u32 v10, v10, s23
	s_delay_alu instid0(VALU_DEP_1) | instskip(NEXT) | instid1(VALU_DEP_1)
	v_sub_nc_u32_e32 v1, v1, v10
	v_cmp_lt_u32_e64 s0, s39, v1
	s_and_b32 s3, s0, exec_lo
.LBB763_52:
	s_or_b32 exec_lo, exec_lo, s4
	v_dual_lshrrev_b32 v1, 24, v12 :: v_dual_lshrrev_b32 v29, 8, v11
	v_cndmask_b32_e64 v10, 0, 1, s3
	v_cndmask_b32_e64 v28, 0, 1, vcc_lo
	v_lshlrev_b16 v13, 8, v13
	s_delay_alu instid0(VALU_DEP_4)
	v_lshlrev_b16 v1, 8, v1
	v_lshrrev_b32_e32 v30, 16, v11
	v_lshlrev_b16 v10, 8, v10
	v_lshlrev_b16 v29, 8, v29
	v_bitop3_b16 v12, v12, v13, 0xff bitop3:0xec
	v_or_b32_e32 v1, v28, v1
	s_delay_alu instid0(VALU_DEP_4) | instskip(NEXT) | instid1(VALU_DEP_4)
	v_bitop3_b16 v10, v30, v10, 0xff bitop3:0xec
	v_bitop3_b16 v11, v11, v29, 0xff bitop3:0xec
	s_delay_alu instid0(VALU_DEP_4) | instskip(NEXT) | instid1(VALU_DEP_3)
	v_and_b32_e32 v12, 0xffff, v12
	v_dual_lshlrev_b32 v1, 16, v1 :: v_dual_lshlrev_b32 v13, 16, v10
	s_delay_alu instid0(VALU_DEP_3) | instskip(NEXT) | instid1(VALU_DEP_2)
	v_and_b32_e32 v11, 0xffff, v11
	v_or_b32_e32 v10, v12, v1
	s_delay_alu instid0(VALU_DEP_2)
	v_or_b32_e32 v1, v11, v13
.LBB763_53:
	s_or_b32 exec_lo, exec_lo, s1
	v_dual_add_nc_u32 v12, 3, v15 :: v_dual_lshrrev_b32 v13, 24, v9
	v_lshrrev_b32_e32 v11, 16, v9
                                        ; implicit-def: $vgpr36
	s_delay_alu instid0(VALU_DEP_2) | instskip(SKIP_2) | instid1(SALU_CYCLE_1)
	v_cmp_le_u32_e32 vcc_lo, s5, v12
	v_lshrrev_b32_e32 v12, 8, v9
                                        ; implicit-def: $vgpr9
	s_and_saveexec_b32 s0, vcc_lo
	s_xor_b32 s0, exec_lo, s0
	s_cbranch_execz .LBB763_55
; %bb.54:
	v_lshlrev_b16 v9, 8, v13
	v_lshlrev_b16 v12, 8, v12
	v_perm_b32 v8, v8, v8, 0x3060504
	v_perm_b32 v7, v7, v7, 0x3060504
                                        ; implicit-def: $vgpr13
	s_delay_alu instid0(VALU_DEP_4) | instskip(SKIP_2) | instid1(VALU_DEP_3)
	v_bitop3_b16 v9, v11, v9, 0xff bitop3:0xec
	v_and_b32_e32 v11, 0xff0000, v10
	v_and_b32_e32 v12, 0xffff, v12
	v_lshlrev_b32_e32 v9, 16, v9
	s_delay_alu instid0(VALU_DEP_3) | instskip(NEXT) | instid1(VALU_DEP_2)
	v_perm_b32 v36, v10, v11, 0x3020504
                                        ; implicit-def: $vgpr10
                                        ; implicit-def: $vgpr11
	v_or_b32_e32 v9, v12, v9
                                        ; implicit-def: $vgpr12
.LBB763_55:
	s_and_not1_saveexec_b32 s1, s0
	s_cbranch_execz .LBB763_59
; %bb.56:
	v_dual_add_nc_u32 v9, s17, v25 :: v_dual_add_nc_u32 v28, s19, v25
	s_mov_b32 s3, 0
	s_mov_b32 s4, exec_lo
	s_delay_alu instid0(VALU_DEP_1) | instskip(NEXT) | instid1(VALU_DEP_2)
	v_mul_lo_u32 v9, v9, s16
	v_mul_lo_u32 v28, v28, s18
	s_delay_alu instid0(VALU_DEP_1) | instskip(NEXT) | instid1(VALU_DEP_1)
	v_sub_nc_u32_e32 v9, v9, v28
	v_cmp_lt_u32_e32 vcc_lo, s20, v9
	v_cmpx_ge_u32_e64 s20, v9
	s_cbranch_execz .LBB763_58
; %bb.57:
	v_dual_add_nc_u32 v9, s22, v25 :: v_dual_add_nc_u32 v28, s38, v25
	s_delay_alu instid0(VALU_DEP_1) | instskip(NEXT) | instid1(VALU_DEP_2)
	v_mul_lo_u32 v9, v9, s21
	v_mul_lo_u32 v28, v28, s23
	s_delay_alu instid0(VALU_DEP_1) | instskip(NEXT) | instid1(VALU_DEP_1)
	v_sub_nc_u32_e32 v9, v9, v28
	v_cmp_lt_u32_e64 s0, s39, v9
	s_and_b32 s3, s0, exec_lo
.LBB763_58:
	s_or_b32 exec_lo, exec_lo, s4
	v_cndmask_b32_e64 v9, 0, 1, vcc_lo
	v_dual_lshrrev_b32 v28, 8, v10 :: v_dual_lshrrev_b32 v30, 16, v10
	v_cndmask_b32_e64 v29, 0, 1, s3
	v_lshlrev_b16 v13, 8, v13
	s_delay_alu instid0(VALU_DEP_4) | instskip(NEXT) | instid1(VALU_DEP_4)
	v_lshlrev_b16 v9, 8, v9
	v_lshlrev_b16 v28, 8, v28
	;; [unrolled: 1-line block ×3, first 2 shown]
	s_delay_alu instid0(VALU_DEP_4) | instskip(NEXT) | instid1(VALU_DEP_4)
	v_bitop3_b16 v11, v11, v13, 0xff bitop3:0xec
	v_bitop3_b16 v9, v30, v9, 0xff bitop3:0xec
	s_delay_alu instid0(VALU_DEP_4) | instskip(NEXT) | instid1(VALU_DEP_3)
	v_bitop3_b16 v10, v10, v28, 0xff bitop3:0xec
	v_dual_lshlrev_b32 v11, 16, v11 :: v_dual_bitop2_b32 v12, v29, v12 bitop3:0x54
	s_delay_alu instid0(VALU_DEP_3) | instskip(NEXT) | instid1(VALU_DEP_3)
	v_lshlrev_b32_e32 v9, 16, v9
	v_and_b32_e32 v10, 0xffff, v10
	s_delay_alu instid0(VALU_DEP_3) | instskip(NEXT) | instid1(VALU_DEP_2)
	v_and_b32_e32 v12, 0xffff, v12
	v_or_b32_e32 v36, v10, v9
	s_delay_alu instid0(VALU_DEP_2)
	v_or_b32_e32 v9, v12, v11
.LBB763_59:
	s_or_b32 exec_lo, exec_lo, s1
	v_dual_add_nc_u32 v10, 4, v15 :: v_dual_lshrrev_b32 v28, 8, v8
	v_dual_lshrrev_b32 v11, 16, v8 :: v_dual_lshrrev_b32 v29, 24, v8
	s_delay_alu instid0(VALU_DEP_3) | instskip(NEXT) | instid1(VALU_DEP_3)
	v_dual_lshrrev_b32 v13, 24, v9 :: v_dual_lshrrev_b32 v12, 16, v9
	v_cmp_le_u32_e32 vcc_lo, s5, v10
                                        ; implicit-def: $vgpr8
                                        ; implicit-def: $vgpr10
	s_and_saveexec_b32 s0, vcc_lo
	s_delay_alu instid0(SALU_CYCLE_1)
	s_xor_b32 s0, exec_lo, s0
	s_cbranch_execz .LBB763_61
; %bb.60:
	v_lshlrev_b16 v8, 8, v29
	v_lshlrev_b16 v10, 8, v28
	;; [unrolled: 1-line block ×3, first 2 shown]
	v_perm_b32 v7, v7, v7, 0x3060504
                                        ; implicit-def: $vgpr28
                                        ; implicit-def: $vgpr29
	s_delay_alu instid0(VALU_DEP_4) | instskip(NEXT) | instid1(VALU_DEP_4)
	v_bitop3_b16 v8, v11, v8, 0xff bitop3:0xec
	v_and_b32_e32 v10, 0xffff, v10
	s_delay_alu instid0(VALU_DEP_4) | instskip(NEXT) | instid1(VALU_DEP_3)
	v_bitop3_b16 v11, v12, v13, 0xff bitop3:0xec
                                        ; implicit-def: $vgpr13
	v_lshlrev_b32_e32 v12, 16, v8
	s_delay_alu instid0(VALU_DEP_2) | instskip(NEXT) | instid1(VALU_DEP_2)
	v_perm_b32 v8, v11, v9, 0x5040c00
                                        ; implicit-def: $vgpr9
                                        ; implicit-def: $vgpr11
	v_or_b32_e32 v10, v10, v12
                                        ; implicit-def: $vgpr12
.LBB763_61:
	s_and_not1_saveexec_b32 s1, s0
	s_cbranch_execz .LBB763_65
; %bb.62:
	v_dual_add_nc_u32 v8, s17, v22 :: v_dual_add_nc_u32 v10, s19, v22
	s_mov_b32 s3, 0
	s_mov_b32 s4, exec_lo
	s_delay_alu instid0(VALU_DEP_1) | instskip(NEXT) | instid1(VALU_DEP_2)
	v_mul_lo_u32 v8, v8, s16
	v_mul_lo_u32 v10, v10, s18
	s_delay_alu instid0(VALU_DEP_1) | instskip(NEXT) | instid1(VALU_DEP_1)
	v_sub_nc_u32_e32 v8, v8, v10
	v_cmp_lt_u32_e32 vcc_lo, s20, v8
	v_cmpx_ge_u32_e64 s20, v8
	s_cbranch_execz .LBB763_64
; %bb.63:
	v_dual_add_nc_u32 v8, s22, v22 :: v_dual_add_nc_u32 v10, s38, v22
	s_delay_alu instid0(VALU_DEP_1) | instskip(NEXT) | instid1(VALU_DEP_2)
	v_mul_lo_u32 v8, v8, s21
	v_mul_lo_u32 v10, v10, s23
	s_delay_alu instid0(VALU_DEP_1) | instskip(NEXT) | instid1(VALU_DEP_1)
	v_sub_nc_u32_e32 v8, v8, v10
	v_cmp_lt_u32_e64 s0, s39, v8
	s_and_b32 s3, s0, exec_lo
.LBB763_64:
	s_or_b32 exec_lo, exec_lo, s4
	v_cndmask_b32_e64 v8, 0, 1, s3
	v_cndmask_b32_e64 v10, 0, 1, vcc_lo
	v_lshlrev_b16 v29, 8, v29
	v_lshlrev_b16 v28, 8, v28
	;; [unrolled: 1-line block ×4, first 2 shown]
	s_delay_alu instid0(VALU_DEP_4) | instskip(NEXT) | instid1(VALU_DEP_4)
	v_bitop3_b16 v11, v11, v29, 0xff bitop3:0xec
	v_or_b32_e32 v10, v10, v28
	s_delay_alu instid0(VALU_DEP_4) | instskip(NEXT) | instid1(VALU_DEP_4)
	v_bitop3_b16 v12, v12, v13, 0xff bitop3:0xec
	v_bitop3_b16 v8, v9, v8, 0xff bitop3:0xec
	s_delay_alu instid0(VALU_DEP_4) | instskip(NEXT) | instid1(VALU_DEP_4)
	v_lshlrev_b32_e32 v9, 16, v11
	v_and_b32_e32 v10, 0xffff, v10
	s_delay_alu instid0(VALU_DEP_4) | instskip(NEXT) | instid1(VALU_DEP_4)
	v_lshlrev_b32_e32 v11, 16, v12
	v_and_b32_e32 v8, 0xffff, v8
	s_delay_alu instid0(VALU_DEP_3) | instskip(NEXT) | instid1(VALU_DEP_2)
	v_or_b32_e32 v10, v10, v9
	v_or_b32_e32 v8, v8, v11
.LBB763_65:
	s_or_b32 exec_lo, exec_lo, s1
	s_delay_alu instid0(VALU_DEP_1) | instskip(NEXT) | instid1(VALU_DEP_2)
	v_dual_add_nc_u32 v9, 5, v15 :: v_dual_lshrrev_b32 v12, 16, v10
	v_dual_lshrrev_b32 v13, 24, v10 :: v_dual_lshrrev_b32 v28, 8, v8
                                        ; implicit-def: $vgpr11
	s_delay_alu instid0(VALU_DEP_2) | instskip(SKIP_1) | instid1(SALU_CYCLE_1)
	v_cmp_le_u32_e32 vcc_lo, s5, v9
                                        ; implicit-def: $vgpr9
	s_and_saveexec_b32 s0, vcc_lo
	s_xor_b32 s0, exec_lo, s0
	s_cbranch_execz .LBB763_67
; %bb.66:
	v_lshlrev_b16 v9, 8, v28
	v_lshlrev_b16 v11, 8, v13
	v_perm_b32 v7, v7, v7, 0x3060504
                                        ; implicit-def: $vgpr13
                                        ; implicit-def: $vgpr28
	s_delay_alu instid0(VALU_DEP_3) | instskip(NEXT) | instid1(VALU_DEP_3)
	v_bitop3_b16 v9, v8, v9, 0xff bitop3:0xec
	v_bitop3_b16 v11, v12, v11, 0xff bitop3:0xec
                                        ; implicit-def: $vgpr12
	s_delay_alu instid0(VALU_DEP_2) | instskip(NEXT) | instid1(VALU_DEP_2)
	v_and_b32_e32 v9, 0xffff, v9
	v_perm_b32 v11, v11, v10, 0x5040c00
                                        ; implicit-def: $vgpr10
	s_delay_alu instid0(VALU_DEP_2)
	v_and_or_b32 v9, 0xff000000, v8, v9
                                        ; implicit-def: $vgpr8
.LBB763_67:
	s_and_not1_saveexec_b32 s1, s0
	s_cbranch_execz .LBB763_71
; %bb.68:
	v_dual_add_nc_u32 v9, s17, v23 :: v_dual_add_nc_u32 v11, s19, v23
	s_mov_b32 s3, 0
	s_mov_b32 s4, exec_lo
	s_delay_alu instid0(VALU_DEP_1) | instskip(NEXT) | instid1(VALU_DEP_2)
	v_mul_lo_u32 v9, v9, s16
	v_mul_lo_u32 v11, v11, s18
	s_delay_alu instid0(VALU_DEP_1) | instskip(NEXT) | instid1(VALU_DEP_1)
	v_sub_nc_u32_e32 v9, v9, v11
	v_cmp_lt_u32_e32 vcc_lo, s20, v9
	v_cmpx_ge_u32_e64 s20, v9
	s_cbranch_execz .LBB763_70
; %bb.69:
	v_dual_add_nc_u32 v9, s22, v23 :: v_dual_add_nc_u32 v11, s38, v23
	s_delay_alu instid0(VALU_DEP_1) | instskip(NEXT) | instid1(VALU_DEP_2)
	v_mul_lo_u32 v9, v9, s21
	v_mul_lo_u32 v11, v11, s23
	s_delay_alu instid0(VALU_DEP_1) | instskip(NEXT) | instid1(VALU_DEP_1)
	v_sub_nc_u32_e32 v9, v9, v11
	v_cmp_lt_u32_e64 s0, s39, v9
	s_and_b32 s3, s0, exec_lo
.LBB763_70:
	s_or_b32 exec_lo, exec_lo, s4
	v_cndmask_b32_e64 v9, 0, 1, vcc_lo
	v_lshrrev_b32_e32 v11, 24, v8
	v_cndmask_b32_e64 v29, 0, 1, s3
	v_lshlrev_b16 v13, 8, v13
	v_lshlrev_b16 v28, 8, v28
	;; [unrolled: 1-line block ×4, first 2 shown]
	s_delay_alu instid0(VALU_DEP_4) | instskip(NEXT) | instid1(VALU_DEP_4)
	v_bitop3_b16 v12, v12, v13, 0xff bitop3:0xec
	v_bitop3_b16 v8, v8, v28, 0xff bitop3:0xec
	s_delay_alu instid0(VALU_DEP_4) | instskip(NEXT) | instid1(VALU_DEP_3)
	v_bitop3_b16 v9, v10, v9, 0xff bitop3:0xec
	v_dual_lshlrev_b32 v11, 16, v12 :: v_dual_bitop2_b32 v10, v29, v11 bitop3:0x54
	s_delay_alu instid0(VALU_DEP_3) | instskip(NEXT) | instid1(VALU_DEP_3)
	v_and_b32_e32 v8, 0xffff, v8
	v_and_b32_e32 v9, 0xffff, v9
	s_delay_alu instid0(VALU_DEP_1) | instskip(NEXT) | instid1(VALU_DEP_1)
	v_dual_lshlrev_b32 v10, 16, v10 :: v_dual_bitop2_b32 v11, v9, v11 bitop3:0x54
	v_or_b32_e32 v9, v8, v10
.LBB763_71:
	s_or_b32 exec_lo, exec_lo, s1
	v_add_nc_u32_e32 v8, 6, v15
	s_delay_alu instid0(VALU_DEP_3) | instskip(NEXT) | instid1(VALU_DEP_2)
	v_lshrrev_b32_e32 v10, 8, v11
                                        ; implicit-def: $vgpr37
	v_cmp_le_u32_e32 vcc_lo, s5, v8
                                        ; implicit-def: $vgpr8
	s_and_saveexec_b32 s0, vcc_lo
	s_delay_alu instid0(SALU_CYCLE_1)
	s_xor_b32 s0, exec_lo, s0
	s_cbranch_execz .LBB763_73
; %bb.72:
	v_lshlrev_b16 v8, 8, v10
	v_and_b32_e32 v10, 0xff0000, v9
	v_perm_b32 v7, v7, v7, 0x3060504
	s_delay_alu instid0(VALU_DEP_3) | instskip(NEXT) | instid1(VALU_DEP_3)
	v_bitop3_b16 v8, v11, v8, 0xff bitop3:0xec
	v_perm_b32 v37, v9, v10, 0x3020504
                                        ; implicit-def: $vgpr10
                                        ; implicit-def: $vgpr9
	s_delay_alu instid0(VALU_DEP_2) | instskip(NEXT) | instid1(VALU_DEP_1)
	v_and_b32_e32 v8, 0xffff, v8
	v_and_or_b32 v8, 0xff000000, v11, v8
                                        ; implicit-def: $vgpr11
.LBB763_73:
	s_and_not1_saveexec_b32 s1, s0
	s_cbranch_execz .LBB763_77
; %bb.74:
	v_dual_add_nc_u32 v8, s17, v20 :: v_dual_add_nc_u32 v12, s19, v20
	s_mov_b32 s3, 0
	s_mov_b32 s4, exec_lo
	s_delay_alu instid0(VALU_DEP_1) | instskip(NEXT) | instid1(VALU_DEP_2)
	v_mul_lo_u32 v8, v8, s16
	v_mul_lo_u32 v12, v12, s18
	s_delay_alu instid0(VALU_DEP_1) | instskip(NEXT) | instid1(VALU_DEP_1)
	v_sub_nc_u32_e32 v8, v8, v12
	v_cmp_lt_u32_e32 vcc_lo, s20, v8
	v_cmpx_ge_u32_e64 s20, v8
	s_cbranch_execz .LBB763_76
; %bb.75:
	v_dual_add_nc_u32 v8, s22, v20 :: v_dual_add_nc_u32 v12, s38, v20
	s_delay_alu instid0(VALU_DEP_1) | instskip(NEXT) | instid1(VALU_DEP_2)
	v_mul_lo_u32 v8, v8, s21
	v_mul_lo_u32 v12, v12, s23
	s_delay_alu instid0(VALU_DEP_1) | instskip(NEXT) | instid1(VALU_DEP_1)
	v_sub_nc_u32_e32 v8, v8, v12
	v_cmp_lt_u32_e64 s0, s39, v8
	s_and_b32 s3, s0, exec_lo
.LBB763_76:
	s_or_b32 exec_lo, exec_lo, s4
	v_dual_lshrrev_b32 v8, 24, v11 :: v_dual_lshrrev_b32 v28, 8, v9
	v_cndmask_b32_e64 v12, 0, 1, s3
	v_cndmask_b32_e64 v13, 0, 1, vcc_lo
	v_lshlrev_b16 v10, 8, v10
	s_delay_alu instid0(VALU_DEP_4)
	v_lshlrev_b16 v8, 8, v8
	v_lshrrev_b32_e32 v29, 16, v9
	v_lshlrev_b16 v12, 8, v12
	v_lshlrev_b16 v28, 8, v28
	v_bitop3_b16 v10, v11, v10, 0xff bitop3:0xec
	v_or_b32_e32 v8, v13, v8
	s_delay_alu instid0(VALU_DEP_4) | instskip(NEXT) | instid1(VALU_DEP_4)
	v_bitop3_b16 v11, v29, v12, 0xff bitop3:0xec
	v_bitop3_b16 v9, v9, v28, 0xff bitop3:0xec
	s_delay_alu instid0(VALU_DEP_4) | instskip(NEXT) | instid1(VALU_DEP_3)
	v_and_b32_e32 v10, 0xffff, v10
	v_dual_lshlrev_b32 v8, 16, v8 :: v_dual_lshlrev_b32 v11, 16, v11
	s_delay_alu instid0(VALU_DEP_3) | instskip(NEXT) | instid1(VALU_DEP_2)
	v_and_b32_e32 v9, 0xffff, v9
	v_or_b32_e32 v8, v10, v8
	s_delay_alu instid0(VALU_DEP_2)
	v_or_b32_e32 v37, v9, v11
.LBB763_77:
	s_or_b32 exec_lo, exec_lo, s1
	v_add_nc_u32_e32 v11, 7, v15
	v_dual_lshrrev_b32 v9, 8, v7 :: v_dual_lshrrev_b32 v10, 16, v7
                                        ; implicit-def: $vgpr38
	s_delay_alu instid0(VALU_DEP_2) | instskip(SKIP_2) | instid1(SALU_CYCLE_1)
	v_cmp_le_u32_e32 vcc_lo, s5, v11
	v_lshrrev_b32_e32 v11, 24, v7
                                        ; implicit-def: $vgpr7
	s_and_saveexec_b32 s0, vcc_lo
	s_xor_b32 s0, exec_lo, s0
	s_cbranch_execz .LBB763_79
; %bb.78:
	s_delay_alu instid0(VALU_DEP_1) | instskip(SKIP_1) | instid1(VALU_DEP_2)
	v_lshlrev_b16 v7, 8, v11
	v_lshlrev_b16 v9, 8, v9
                                        ; implicit-def: $vgpr11
	v_bitop3_b16 v7, v10, v7, 0xff bitop3:0xec
	v_and_b32_e32 v10, 0xff0000, v8
	s_delay_alu instid0(VALU_DEP_3) | instskip(NEXT) | instid1(VALU_DEP_3)
	v_and_b32_e32 v9, 0xffff, v9
	v_lshlrev_b32_e32 v7, 16, v7
	s_delay_alu instid0(VALU_DEP_3) | instskip(NEXT) | instid1(VALU_DEP_2)
	v_perm_b32 v38, v8, v10, 0x3020504
                                        ; implicit-def: $vgpr8
                                        ; implicit-def: $vgpr10
	v_or_b32_e32 v7, v9, v7
                                        ; implicit-def: $vgpr9
.LBB763_79:
	s_and_not1_saveexec_b32 s1, s0
	s_cbranch_execz .LBB763_83
; %bb.80:
	v_dual_add_nc_u32 v7, s17, v21 :: v_dual_add_nc_u32 v12, s19, v21
	s_mov_b32 s3, 0
	s_mov_b32 s4, exec_lo
	s_delay_alu instid0(VALU_DEP_1) | instskip(NEXT) | instid1(VALU_DEP_2)
	v_mul_lo_u32 v7, v7, s16
	v_mul_lo_u32 v12, v12, s18
	s_delay_alu instid0(VALU_DEP_1) | instskip(NEXT) | instid1(VALU_DEP_1)
	v_sub_nc_u32_e32 v7, v7, v12
	v_cmp_lt_u32_e32 vcc_lo, s20, v7
	v_cmpx_ge_u32_e64 s20, v7
	s_cbranch_execz .LBB763_82
; %bb.81:
	v_dual_add_nc_u32 v7, s22, v21 :: v_dual_add_nc_u32 v12, s38, v21
	s_delay_alu instid0(VALU_DEP_1) | instskip(NEXT) | instid1(VALU_DEP_2)
	v_mul_lo_u32 v7, v7, s21
	v_mul_lo_u32 v12, v12, s23
	s_delay_alu instid0(VALU_DEP_1) | instskip(NEXT) | instid1(VALU_DEP_1)
	v_sub_nc_u32_e32 v7, v7, v12
	v_cmp_lt_u32_e64 s0, s39, v7
	s_and_b32 s3, s0, exec_lo
.LBB763_82:
	s_or_b32 exec_lo, exec_lo, s4
	v_cndmask_b32_e64 v7, 0, 1, vcc_lo
	v_dual_lshrrev_b32 v12, 8, v8 :: v_dual_lshrrev_b32 v28, 16, v8
	v_cndmask_b32_e64 v13, 0, 1, s3
	v_lshlrev_b16 v11, 8, v11
	s_delay_alu instid0(VALU_DEP_4) | instskip(NEXT) | instid1(VALU_DEP_4)
	v_lshlrev_b16 v7, 8, v7
	v_lshlrev_b16 v12, 8, v12
	;; [unrolled: 1-line block ×3, first 2 shown]
	s_delay_alu instid0(VALU_DEP_4) | instskip(NEXT) | instid1(VALU_DEP_4)
	v_bitop3_b16 v10, v10, v11, 0xff bitop3:0xec
	v_bitop3_b16 v7, v28, v7, 0xff bitop3:0xec
	s_delay_alu instid0(VALU_DEP_4) | instskip(NEXT) | instid1(VALU_DEP_3)
	v_bitop3_b16 v8, v8, v12, 0xff bitop3:0xec
	v_dual_lshlrev_b32 v10, 16, v10 :: v_dual_bitop2_b32 v9, v13, v9 bitop3:0x54
	s_delay_alu instid0(VALU_DEP_3) | instskip(NEXT) | instid1(VALU_DEP_3)
	v_lshlrev_b32_e32 v7, 16, v7
	v_and_b32_e32 v8, 0xffff, v8
	s_delay_alu instid0(VALU_DEP_3) | instskip(NEXT) | instid1(VALU_DEP_2)
	v_and_b32_e32 v9, 0xffff, v9
	v_or_b32_e32 v38, v8, v7
	s_delay_alu instid0(VALU_DEP_2)
	v_or_b32_e32 v7, v9, v10
.LBB763_83:
	s_or_b32 exec_lo, exec_lo, s1
	v_dual_add_nc_u32 v8, 8, v15 :: v_dual_lshrrev_b32 v13, 24, v6
	s_delay_alu instid0(VALU_DEP_2) | instskip(SKIP_1) | instid1(VALU_DEP_3)
	v_dual_lshrrev_b32 v9, 16, v7 :: v_dual_lshrrev_b32 v10, 24, v7
	v_dual_lshrrev_b32 v11, 16, v6 :: v_dual_lshrrev_b32 v12, 8, v6
	v_cmp_le_u32_e32 vcc_lo, s5, v8
                                        ; implicit-def: $vgpr6
                                        ; implicit-def: $vgpr8
	s_and_saveexec_b32 s0, vcc_lo
	s_delay_alu instid0(SALU_CYCLE_1)
	s_xor_b32 s0, exec_lo, s0
	s_cbranch_execz .LBB763_85
; %bb.84:
	v_lshlrev_b16 v6, 8, v13
	v_lshlrev_b16 v8, 8, v12
	;; [unrolled: 1-line block ×3, first 2 shown]
	v_perm_b32 v1, v1, v1, 0x3060504
                                        ; implicit-def: $vgpr13
                                        ; implicit-def: $vgpr12
	s_delay_alu instid0(VALU_DEP_4) | instskip(NEXT) | instid1(VALU_DEP_4)
	v_bitop3_b16 v6, v11, v6, 0xff bitop3:0xec
	v_and_b32_e32 v8, 0xffff, v8
	s_delay_alu instid0(VALU_DEP_4) | instskip(NEXT) | instid1(VALU_DEP_3)
	v_bitop3_b16 v9, v9, v10, 0xff bitop3:0xec
                                        ; implicit-def: $vgpr10
                                        ; implicit-def: $vgpr11
	v_lshlrev_b32_e32 v6, 16, v6
	s_delay_alu instid0(VALU_DEP_1) | instskip(NEXT) | instid1(VALU_DEP_3)
	v_or_b32_e32 v8, v8, v6
	v_perm_b32 v6, v9, v7, 0x5040c00
                                        ; implicit-def: $vgpr7
                                        ; implicit-def: $vgpr9
.LBB763_85:
	s_and_not1_saveexec_b32 s1, s0
	s_cbranch_execz .LBB763_89
; %bb.86:
	v_dual_add_nc_u32 v6, s17, v18 :: v_dual_add_nc_u32 v8, s19, v18
	s_mov_b32 s3, 0
	s_mov_b32 s4, exec_lo
	s_delay_alu instid0(VALU_DEP_1) | instskip(NEXT) | instid1(VALU_DEP_2)
	v_mul_lo_u32 v6, v6, s16
	v_mul_lo_u32 v8, v8, s18
	s_delay_alu instid0(VALU_DEP_1) | instskip(NEXT) | instid1(VALU_DEP_1)
	v_sub_nc_u32_e32 v6, v6, v8
	v_cmp_lt_u32_e32 vcc_lo, s20, v6
	v_cmpx_ge_u32_e64 s20, v6
	s_cbranch_execz .LBB763_88
; %bb.87:
	v_dual_add_nc_u32 v6, s22, v18 :: v_dual_add_nc_u32 v8, s38, v18
	s_delay_alu instid0(VALU_DEP_1) | instskip(NEXT) | instid1(VALU_DEP_2)
	v_mul_lo_u32 v6, v6, s21
	v_mul_lo_u32 v8, v8, s23
	s_delay_alu instid0(VALU_DEP_1) | instskip(NEXT) | instid1(VALU_DEP_1)
	v_sub_nc_u32_e32 v6, v6, v8
	v_cmp_lt_u32_e64 s0, s39, v6
	s_and_b32 s3, s0, exec_lo
.LBB763_88:
	s_or_b32 exec_lo, exec_lo, s4
	v_cndmask_b32_e64 v6, 0, 1, s3
	v_cndmask_b32_e64 v8, 0, 1, vcc_lo
	v_lshlrev_b16 v13, 8, v13
	v_lshlrev_b16 v12, 8, v12
	;; [unrolled: 1-line block ×4, first 2 shown]
	s_delay_alu instid0(VALU_DEP_4) | instskip(NEXT) | instid1(VALU_DEP_4)
	v_bitop3_b16 v11, v11, v13, 0xff bitop3:0xec
	v_or_b32_e32 v8, v8, v12
	s_delay_alu instid0(VALU_DEP_4) | instskip(NEXT) | instid1(VALU_DEP_4)
	v_bitop3_b16 v9, v9, v10, 0xff bitop3:0xec
	v_bitop3_b16 v6, v7, v6, 0xff bitop3:0xec
	s_delay_alu instid0(VALU_DEP_4) | instskip(NEXT) | instid1(VALU_DEP_4)
	v_lshlrev_b32_e32 v7, 16, v11
	v_and_b32_e32 v8, 0xffff, v8
	s_delay_alu instid0(VALU_DEP_4) | instskip(NEXT) | instid1(VALU_DEP_4)
	v_lshlrev_b32_e32 v9, 16, v9
	v_and_b32_e32 v6, 0xffff, v6
	s_delay_alu instid0(VALU_DEP_3) | instskip(NEXT) | instid1(VALU_DEP_2)
	v_or_b32_e32 v8, v8, v7
	v_or_b32_e32 v6, v6, v9
.LBB763_89:
	s_or_b32 exec_lo, exec_lo, s1
	s_delay_alu instid0(VALU_DEP_1) | instskip(NEXT) | instid1(VALU_DEP_3)
	v_dual_add_nc_u32 v7, 9, v15 :: v_dual_lshrrev_b32 v11, 8, v6
	v_dual_lshrrev_b32 v12, 24, v8 :: v_dual_lshrrev_b32 v10, 16, v8
                                        ; implicit-def: $vgpr9
	s_delay_alu instid0(VALU_DEP_2) | instskip(SKIP_1) | instid1(SALU_CYCLE_1)
	v_cmp_le_u32_e32 vcc_lo, s5, v7
                                        ; implicit-def: $vgpr7
	s_and_saveexec_b32 s0, vcc_lo
	s_xor_b32 s0, exec_lo, s0
	s_cbranch_execz .LBB763_91
; %bb.90:
	v_lshlrev_b16 v7, 8, v11
	v_lshlrev_b16 v9, 8, v12
	v_perm_b32 v1, v1, v1, 0x3060504
                                        ; implicit-def: $vgpr11
                                        ; implicit-def: $vgpr12
	s_delay_alu instid0(VALU_DEP_3) | instskip(NEXT) | instid1(VALU_DEP_3)
	v_bitop3_b16 v7, v6, v7, 0xff bitop3:0xec
	v_bitop3_b16 v9, v10, v9, 0xff bitop3:0xec
                                        ; implicit-def: $vgpr10
	s_delay_alu instid0(VALU_DEP_2) | instskip(NEXT) | instid1(VALU_DEP_2)
	v_and_b32_e32 v7, 0xffff, v7
	v_perm_b32 v9, v9, v8, 0x5040c00
                                        ; implicit-def: $vgpr8
	s_delay_alu instid0(VALU_DEP_2)
	v_and_or_b32 v7, 0xff000000, v6, v7
                                        ; implicit-def: $vgpr6
.LBB763_91:
	s_and_not1_saveexec_b32 s1, s0
	s_cbranch_execz .LBB763_95
; %bb.92:
	v_dual_add_nc_u32 v7, s17, v19 :: v_dual_add_nc_u32 v9, s19, v19
	s_mov_b32 s3, 0
	s_mov_b32 s4, exec_lo
	s_delay_alu instid0(VALU_DEP_1) | instskip(NEXT) | instid1(VALU_DEP_2)
	v_mul_lo_u32 v7, v7, s16
	v_mul_lo_u32 v9, v9, s18
	s_delay_alu instid0(VALU_DEP_1) | instskip(NEXT) | instid1(VALU_DEP_1)
	v_sub_nc_u32_e32 v7, v7, v9
	v_cmp_lt_u32_e32 vcc_lo, s20, v7
	v_cmpx_ge_u32_e64 s20, v7
	s_cbranch_execz .LBB763_94
; %bb.93:
	v_dual_add_nc_u32 v7, s22, v19 :: v_dual_add_nc_u32 v9, s38, v19
	s_delay_alu instid0(VALU_DEP_1) | instskip(NEXT) | instid1(VALU_DEP_2)
	v_mul_lo_u32 v7, v7, s21
	v_mul_lo_u32 v9, v9, s23
	s_delay_alu instid0(VALU_DEP_1) | instskip(NEXT) | instid1(VALU_DEP_1)
	v_sub_nc_u32_e32 v7, v7, v9
	v_cmp_lt_u32_e64 s0, s39, v7
	s_and_b32 s3, s0, exec_lo
.LBB763_94:
	s_or_b32 exec_lo, exec_lo, s4
	v_cndmask_b32_e64 v7, 0, 1, vcc_lo
	v_lshrrev_b32_e32 v9, 24, v6
	v_cndmask_b32_e64 v13, 0, 1, s3
	v_lshlrev_b16 v12, 8, v12
	v_lshlrev_b16 v11, 8, v11
	;; [unrolled: 1-line block ×4, first 2 shown]
	s_delay_alu instid0(VALU_DEP_4) | instskip(NEXT) | instid1(VALU_DEP_4)
	v_bitop3_b16 v10, v10, v12, 0xff bitop3:0xec
	v_bitop3_b16 v6, v6, v11, 0xff bitop3:0xec
	s_delay_alu instid0(VALU_DEP_4) | instskip(NEXT) | instid1(VALU_DEP_3)
	v_bitop3_b16 v7, v8, v7, 0xff bitop3:0xec
	v_dual_lshlrev_b32 v9, 16, v10 :: v_dual_bitop2_b32 v8, v13, v9 bitop3:0x54
	s_delay_alu instid0(VALU_DEP_3) | instskip(NEXT) | instid1(VALU_DEP_3)
	v_and_b32_e32 v6, 0xffff, v6
	v_and_b32_e32 v7, 0xffff, v7
	s_delay_alu instid0(VALU_DEP_1) | instskip(NEXT) | instid1(VALU_DEP_1)
	v_dual_lshlrev_b32 v8, 16, v8 :: v_dual_bitop2_b32 v9, v7, v9 bitop3:0x54
	v_or_b32_e32 v7, v6, v8
.LBB763_95:
	s_or_b32 exec_lo, exec_lo, s1
	s_delay_alu instid0(VALU_DEP_2) | instskip(NEXT) | instid1(VALU_DEP_1)
	v_dual_add_nc_u32 v6, 10, v15 :: v_dual_lshrrev_b32 v8, 8, v9
                                        ; implicit-def: $vgpr40
	v_cmp_le_u32_e32 vcc_lo, s5, v6
                                        ; implicit-def: $vgpr6
	s_and_saveexec_b32 s0, vcc_lo
	s_delay_alu instid0(SALU_CYCLE_1)
	s_xor_b32 s0, exec_lo, s0
	s_cbranch_execz .LBB763_97
; %bb.96:
	v_lshlrev_b16 v6, 8, v8
	v_and_b32_e32 v8, 0xff0000, v7
	v_perm_b32 v1, v1, v1, 0x3060504
	s_delay_alu instid0(VALU_DEP_3) | instskip(NEXT) | instid1(VALU_DEP_3)
	v_bitop3_b16 v6, v9, v6, 0xff bitop3:0xec
	v_perm_b32 v40, v7, v8, 0x3020504
                                        ; implicit-def: $vgpr8
                                        ; implicit-def: $vgpr7
	s_delay_alu instid0(VALU_DEP_2) | instskip(NEXT) | instid1(VALU_DEP_1)
	v_and_b32_e32 v6, 0xffff, v6
	v_and_or_b32 v6, 0xff000000, v9, v6
                                        ; implicit-def: $vgpr9
.LBB763_97:
	s_and_not1_saveexec_b32 s1, s0
	s_cbranch_execz .LBB763_101
; %bb.98:
	v_dual_add_nc_u32 v6, s17, v16 :: v_dual_add_nc_u32 v10, s19, v16
	s_mov_b32 s3, 0
	s_mov_b32 s4, exec_lo
	s_delay_alu instid0(VALU_DEP_1) | instskip(NEXT) | instid1(VALU_DEP_2)
	v_mul_lo_u32 v6, v6, s16
	v_mul_lo_u32 v10, v10, s18
	s_delay_alu instid0(VALU_DEP_1) | instskip(NEXT) | instid1(VALU_DEP_1)
	v_sub_nc_u32_e32 v6, v6, v10
	v_cmp_lt_u32_e32 vcc_lo, s20, v6
	v_cmpx_ge_u32_e64 s20, v6
	s_cbranch_execz .LBB763_100
; %bb.99:
	v_dual_add_nc_u32 v6, s22, v16 :: v_dual_add_nc_u32 v10, s38, v16
	s_delay_alu instid0(VALU_DEP_1) | instskip(NEXT) | instid1(VALU_DEP_2)
	v_mul_lo_u32 v6, v6, s21
	v_mul_lo_u32 v10, v10, s23
	s_delay_alu instid0(VALU_DEP_1) | instskip(NEXT) | instid1(VALU_DEP_1)
	v_sub_nc_u32_e32 v6, v6, v10
	v_cmp_lt_u32_e64 s0, s39, v6
	s_and_b32 s3, s0, exec_lo
.LBB763_100:
	s_or_b32 exec_lo, exec_lo, s4
	v_dual_lshrrev_b32 v6, 24, v9 :: v_dual_lshrrev_b32 v12, 8, v7
	v_cndmask_b32_e64 v10, 0, 1, s3
	v_cndmask_b32_e64 v11, 0, 1, vcc_lo
	v_lshlrev_b16 v8, 8, v8
	s_delay_alu instid0(VALU_DEP_4)
	v_lshlrev_b16 v6, 8, v6
	v_lshrrev_b32_e32 v13, 16, v7
	v_lshlrev_b16 v10, 8, v10
	v_lshlrev_b16 v12, 8, v12
	v_bitop3_b16 v8, v9, v8, 0xff bitop3:0xec
	v_or_b32_e32 v6, v11, v6
	s_delay_alu instid0(VALU_DEP_4) | instskip(NEXT) | instid1(VALU_DEP_4)
	v_bitop3_b16 v9, v13, v10, 0xff bitop3:0xec
	v_bitop3_b16 v7, v7, v12, 0xff bitop3:0xec
	s_delay_alu instid0(VALU_DEP_4) | instskip(NEXT) | instid1(VALU_DEP_3)
	v_and_b32_e32 v8, 0xffff, v8
	v_dual_lshlrev_b32 v6, 16, v6 :: v_dual_lshlrev_b32 v9, 16, v9
	s_delay_alu instid0(VALU_DEP_3) | instskip(NEXT) | instid1(VALU_DEP_2)
	v_and_b32_e32 v7, 0xffff, v7
	v_or_b32_e32 v6, v8, v6
	s_delay_alu instid0(VALU_DEP_2)
	v_or_b32_e32 v40, v7, v9
.LBB763_101:
	s_or_b32 exec_lo, exec_lo, s1
	v_dual_add_nc_u32 v7, 11, v15 :: v_dual_mov_b32 v39, 0
	s_mov_b32 s0, exec_lo
                                        ; implicit-def: $vgpr41
	s_delay_alu instid0(VALU_DEP_1)
	v_cmpx_le_u32_e64 s5, v7
	s_xor_b32 s0, exec_lo, s0
; %bb.102:
	v_and_b32_e32 v7, 0xff0000, v6
	v_perm_b32 v1, v1, v1, 0x3060504
	s_delay_alu instid0(VALU_DEP_2)
	v_perm_b32 v41, v6, v7, 0x3020504
                                        ; implicit-def: $vgpr6
; %bb.103:
	s_and_not1_saveexec_b32 s1, s0
	s_cbranch_execz .LBB763_107
; %bb.104:
	v_dual_add_nc_u32 v7, s17, v17 :: v_dual_add_nc_u32 v8, s19, v17
	s_mov_b32 s3, 0
	s_mov_b32 s4, exec_lo
	s_delay_alu instid0(VALU_DEP_1) | instskip(NEXT) | instid1(VALU_DEP_2)
	v_mul_lo_u32 v7, v7, s16
	v_mul_lo_u32 v8, v8, s18
	s_delay_alu instid0(VALU_DEP_1) | instskip(NEXT) | instid1(VALU_DEP_1)
	v_sub_nc_u32_e32 v7, v7, v8
	v_cmp_lt_u32_e32 vcc_lo, s20, v7
	v_cmpx_ge_u32_e64 s20, v7
	s_cbranch_execz .LBB763_106
; %bb.105:
	v_dual_add_nc_u32 v7, s22, v17 :: v_dual_add_nc_u32 v8, s38, v17
	s_delay_alu instid0(VALU_DEP_1) | instskip(NEXT) | instid1(VALU_DEP_2)
	v_mul_lo_u32 v7, v7, s21
	v_mul_lo_u32 v8, v8, s23
	s_delay_alu instid0(VALU_DEP_1) | instskip(NEXT) | instid1(VALU_DEP_1)
	v_sub_nc_u32_e32 v7, v7, v8
	v_cmp_lt_u32_e64 s0, s39, v7
	s_and_b32 s3, s0, exec_lo
.LBB763_106:
	s_or_b32 exec_lo, exec_lo, s4
	v_cndmask_b32_e64 v7, 0, 1, vcc_lo
	v_dual_lshrrev_b32 v8, 8, v6 :: v_dual_lshrrev_b32 v9, 16, v6
	v_cndmask_b32_e64 v39, 0, 1, s3
	s_delay_alu instid0(VALU_DEP_3) | instskip(NEXT) | instid1(VALU_DEP_3)
	v_lshlrev_b16 v7, 8, v7
	v_lshlrev_b16 v8, 8, v8
	s_delay_alu instid0(VALU_DEP_2) | instskip(NEXT) | instid1(VALU_DEP_2)
	v_bitop3_b16 v7, v9, v7, 0xff bitop3:0xec
	v_bitop3_b16 v6, v6, v8, 0xff bitop3:0xec
	s_delay_alu instid0(VALU_DEP_2) | instskip(NEXT) | instid1(VALU_DEP_2)
	v_lshlrev_b32_e32 v7, 16, v7
	v_and_b32_e32 v6, 0xffff, v6
	s_delay_alu instid0(VALU_DEP_1)
	v_or_b32_e32 v41, v6, v7
.LBB763_107:
	s_or_b32 exec_lo, exec_lo, s1
	v_dual_add_nc_u32 v8, 12, v15 :: v_dual_lshrrev_b32 v6, 8, v1
	v_dual_lshrrev_b32 v7, 16, v1 :: v_dual_lshrrev_b32 v1, 24, v1
	s_mov_b32 s0, exec_lo
                                        ; implicit-def: $vgpr42
	s_delay_alu instid0(VALU_DEP_2)
	v_cmpx_le_u32_e64 s5, v8
	s_xor_b32 s0, exec_lo, s0
; %bb.108:
	s_delay_alu instid0(VALU_DEP_2) | instskip(SKIP_1) | instid1(VALU_DEP_2)
	v_lshlrev_b16 v1, 8, v1
	v_lshlrev_b16 v6, 8, v6
	v_bitop3_b16 v1, v7, v1, 0xff bitop3:0xec
	s_delay_alu instid0(VALU_DEP_2) | instskip(NEXT) | instid1(VALU_DEP_2)
	v_and_b32_e32 v6, 0xffff, v6
                                        ; implicit-def: $vgpr7
	v_lshlrev_b32_e32 v1, 16, v1
	s_delay_alu instid0(VALU_DEP_1)
	v_or_b32_e32 v42, v6, v1
                                        ; implicit-def: $vgpr1
                                        ; implicit-def: $vgpr6
; %bb.109:
	s_or_saveexec_b32 s1, s0
	v_mov_b32_e32 v43, 0
	s_xor_b32 exec_lo, exec_lo, s1
	s_cbranch_execz .LBB763_113
; %bb.110:
	v_dual_add_nc_u32 v8, s19, v34 :: v_dual_add_nc_u32 v9, s17, v34
	s_mov_b32 s3, 0
	s_mov_b32 s4, exec_lo
	s_delay_alu instid0(VALU_DEP_1) | instskip(NEXT) | instid1(VALU_DEP_2)
	v_mul_lo_u32 v8, v8, s18
	v_mul_lo_u32 v9, v9, s16
	s_delay_alu instid0(VALU_DEP_1) | instskip(NEXT) | instid1(VALU_DEP_1)
	v_sub_nc_u32_e32 v8, v9, v8
	v_cmp_lt_u32_e32 vcc_lo, s20, v8
	v_cmpx_ge_u32_e64 s20, v8
	s_cbranch_execz .LBB763_112
; %bb.111:
	v_dual_add_nc_u32 v8, s38, v34 :: v_dual_add_nc_u32 v9, s22, v34
	s_delay_alu instid0(VALU_DEP_1) | instskip(NEXT) | instid1(VALU_DEP_2)
	v_mul_lo_u32 v8, v8, s23
	v_mul_lo_u32 v9, v9, s21
	s_delay_alu instid0(VALU_DEP_1) | instskip(NEXT) | instid1(VALU_DEP_1)
	v_sub_nc_u32_e32 v8, v9, v8
	v_cmp_lt_u32_e64 s0, s39, v8
	s_and_b32 s3, s0, exec_lo
.LBB763_112:
	s_or_b32 exec_lo, exec_lo, s4
	v_cndmask_b32_e64 v8, 0, 1, vcc_lo
	v_lshlrev_b16 v1, 8, v1
	v_lshlrev_b16 v6, 8, v6
	v_cndmask_b32_e64 v43, 0, 1, s3
	s_delay_alu instid0(VALU_DEP_3) | instskip(NEXT) | instid1(VALU_DEP_1)
	v_bitop3_b16 v1, v7, v1, 0xff bitop3:0xec
	v_dual_lshlrev_b32 v1, 16, v1 :: v_dual_bitop2_b32 v6, v8, v6 bitop3:0x54
	s_delay_alu instid0(VALU_DEP_1) | instskip(NEXT) | instid1(VALU_DEP_1)
	v_and_b32_e32 v6, 0xffff, v6
	v_or_b32_e32 v42, v6, v1
.LBB763_113:
	s_or_b32 exec_lo, exec_lo, s1
.LBB763_114:
	v_and_b32_e32 v66, 0xff, v36
	s_delay_alu instid0(VALU_DEP_2)
	v_bfe_u32 v67, v42, 8, 8
	v_bfe_u32 v64, v36, 8, 8
	;; [unrolled: 1-line block ×4, first 2 shown]
	v_dual_lshrrev_b32 v49, 24, v42 :: v_dual_lshrrev_b32 v48, 24, v36
	v_and_b32_e32 v62, 0xff, v37
	v_and_b32_e32 v60, 0xff, v38
	v_bfe_u32 v61, v37, 8, 8
	v_add3_u32 v1, v64, v66, v63
	v_add3_u32 v6, v65, v67, v49
	v_bfe_u32 v58, v38, 8, 8
	v_bfe_u32 v59, v37, 16, 8
	;; [unrolled: 1-line block ×3, first 2 shown]
	v_dual_lshrrev_b32 v47, 24, v37 :: v_dual_lshrrev_b32 v46, 24, v38
	v_add3_u32 v1, v1, v48, v60
	v_add3_u32 v6, v6, v62, v61
	v_and_b32_e32 v57, 0xff, v40
	v_and_b32_e32 v53, 0xff, v41
	v_bfe_u32 v55, v40, 8, 8
	v_add3_u32 v1, v1, v58, v56
	v_add3_u32 v6, v6, v59, v47
	v_bfe_u32 v52, v41, 8, 8
	v_bfe_u32 v54, v40, 16, 8
	;; [unrolled: 1-line block ×3, first 2 shown]
	v_dual_lshrrev_b32 v45, 24, v40 :: v_dual_lshrrev_b32 v44, 24, v41
	v_add3_u32 v1, v1, v46, v53
	v_add3_u32 v6, v6, v57, v55
	v_mbcnt_lo_u32_b32 v68, -1, 0
	v_and_b32_e32 v50, 0xff, v39
	v_and_b32_e32 v7, 0xff, v42
	;; [unrolled: 1-line block ×3, first 2 shown]
	v_add3_u32 v1, v1, v52, v51
	v_add3_u32 v6, v6, v54, v45
	v_and_b32_e32 v70, 15, v68
	v_and_b32_e32 v72, 16, v68
	v_dual_lshrrev_b32 v69, 5, v0 :: v_dual_bitop2_b32 v71, 31, v0 bitop3:0x54
	v_add3_u32 v73, v1, v44, v7
	v_add3_u32 v74, v6, v50, v8
	v_cmp_eq_u32_e64 s1, 0, v70
	v_cmp_lt_u32_e64 s0, 1, v70
	v_cmp_lt_u32_e64 s3, 3, v70
	s_cmp_lg_u32 s27, 0
	s_mov_b32 s4, -1
	v_cmp_lt_u32_e32 vcc_lo, 7, v70
	s_cbranch_scc0 .LBB763_135
; %bb.115:
	v_mov_b32_dpp v1, v74 row_shr:1 row_mask:0xf bank_mask:0xf
	v_mov_b32_dpp v6, v73 row_shr:1 row_mask:0xf bank_mask:0xf
	s_mov_b32 s4, exec_lo
	s_delay_alu instid0(VALU_DEP_1) | instskip(NEXT) | instid1(VALU_DEP_1)
	v_dual_add_nc_u32 v1, v1, v74 :: v_dual_add_nc_u32 v6, v6, v73
	v_dual_cndmask_b32 v1, v1, v74, s1 :: v_dual_cndmask_b32 v6, v6, v73, s1
	s_delay_alu instid0(VALU_DEP_1) | instskip(NEXT) | instid1(VALU_DEP_2)
	v_mov_b32_dpp v7, v1 row_shr:2 row_mask:0xf bank_mask:0xf
	v_mov_b32_dpp v8, v6 row_shr:2 row_mask:0xf bank_mask:0xf
	s_delay_alu instid0(VALU_DEP_1) | instskip(NEXT) | instid1(VALU_DEP_1)
	v_dual_add_nc_u32 v7, v1, v7 :: v_dual_add_nc_u32 v8, v6, v8
	v_dual_cndmask_b32 v1, v1, v7, s0 :: v_dual_cndmask_b32 v6, v6, v8, s0
	s_delay_alu instid0(VALU_DEP_1) | instskip(NEXT) | instid1(VALU_DEP_2)
	v_mov_b32_dpp v7, v1 row_shr:4 row_mask:0xf bank_mask:0xf
	v_mov_b32_dpp v8, v6 row_shr:4 row_mask:0xf bank_mask:0xf
	;; [unrolled: 6-line block ×3, first 2 shown]
	s_delay_alu instid0(VALU_DEP_1) | instskip(NEXT) | instid1(VALU_DEP_1)
	v_dual_add_nc_u32 v7, v1, v7 :: v_dual_add_nc_u32 v8, v6, v8
	v_dual_cndmask_b32 v1, v1, v7 :: v_dual_cndmask_b32 v6, v6, v8
	v_cmp_eq_u32_e32 vcc_lo, 0, v72
	ds_swizzle_b32 v7, v1 offset:swizzle(BROADCAST,32,15)
	ds_swizzle_b32 v8, v6 offset:swizzle(BROADCAST,32,15)
	s_wait_dscnt 0x0
	v_dual_add_nc_u32 v7, v1, v7 :: v_dual_add_nc_u32 v8, v6, v8
	v_cmpx_eq_u32_e64 v0, v71
; %bb.116:
	s_delay_alu instid0(VALU_DEP_2) | instskip(NEXT) | instid1(VALU_DEP_3)
	v_dual_cndmask_b32 v10, v8, v6 :: v_dual_lshlrev_b32 v9, 3, v69
	v_cndmask_b32_e32 v11, v7, v1, vcc_lo
	ds_store_b64 v9, v[10:11]
; %bb.117:
	s_or_b32 exec_lo, exec_lo, s4
	s_delay_alu instid0(SALU_CYCLE_1)
	s_mov_b32 s4, exec_lo
	s_wait_dscnt 0x0
	s_barrier_signal -1
	s_barrier_wait -1
	v_cmpx_gt_u32_e32 8, v0
	s_cbranch_execz .LBB763_119
; %bb.118:
	v_lshlrev_b32_e32 v9, 3, v0
	ds_load_b64 v[10:11], v9
	s_wait_dscnt 0x0
	v_mov_b32_dpp v12, v10 row_shr:1 row_mask:0xf bank_mask:0xf
	v_mov_b32_dpp v13, v11 row_shr:1 row_mask:0xf bank_mask:0xf
	s_delay_alu instid0(VALU_DEP_2) | instskip(NEXT) | instid1(VALU_DEP_2)
	v_dual_add_nc_u32 v12, v12, v10 :: v_dual_bitop2_b32 v28, 7, v68 bitop3:0x40
	v_add_nc_u32_e32 v13, v13, v11
	s_delay_alu instid0(VALU_DEP_2) | instskip(NEXT) | instid1(VALU_DEP_1)
	v_cmp_eq_u32_e64 s3, 0, v28
	v_dual_cndmask_b32 v11, v13, v11, s3 :: v_dual_cndmask_b32 v10, v12, v10, s3
	v_cmp_lt_u32_e64 s3, 1, v28
	s_delay_alu instid0(VALU_DEP_2) | instskip(NEXT) | instid1(VALU_DEP_3)
	v_mov_b32_dpp v13, v11 row_shr:2 row_mask:0xf bank_mask:0xf
	v_mov_b32_dpp v12, v10 row_shr:2 row_mask:0xf bank_mask:0xf
	s_delay_alu instid0(VALU_DEP_1) | instskip(NEXT) | instid1(VALU_DEP_1)
	v_dual_add_nc_u32 v13, v11, v13 :: v_dual_add_nc_u32 v12, v10, v12
	v_dual_cndmask_b32 v11, v11, v13, s3 :: v_dual_cndmask_b32 v10, v10, v12, s3
	v_cmp_lt_u32_e64 s3, 3, v28
	s_delay_alu instid0(VALU_DEP_2) | instskip(NEXT) | instid1(VALU_DEP_3)
	v_mov_b32_dpp v13, v11 row_shr:4 row_mask:0xf bank_mask:0xf
	v_mov_b32_dpp v12, v10 row_shr:4 row_mask:0xf bank_mask:0xf
	s_delay_alu instid0(VALU_DEP_1) | instskip(NEXT) | instid1(VALU_DEP_1)
	v_dual_cndmask_b32 v13, 0, v13, s3 :: v_dual_cndmask_b32 v12, 0, v12, s3
	v_dual_add_nc_u32 v11, v13, v11 :: v_dual_add_nc_u32 v10, v12, v10
	ds_store_b64 v9, v[10:11]
.LBB763_119:
	s_or_b32 exec_lo, exec_lo, s4
	v_dual_cndmask_b32 v1, v7, v1 :: v_dual_cndmask_b32 v6, v8, v6
	s_mov_b32 s4, exec_lo
	v_cmp_gt_u32_e32 vcc_lo, 32, v0
	s_wait_dscnt 0x0
	s_barrier_signal -1
	s_barrier_wait -1
                                        ; implicit-def: $vgpr28
	v_cmpx_lt_u32_e32 31, v0
	s_cbranch_execz .LBB763_121
; %bb.120:
	v_lshl_add_u32 v7, v69, 3, -8
	ds_load_b64 v[28:29], v7
	s_wait_dscnt 0x0
	v_dual_add_nc_u32 v1, v29, v1 :: v_dual_add_nc_u32 v6, v28, v6
.LBB763_121:
	s_or_b32 exec_lo, exec_lo, s4
	v_sub_co_u32 v7, s3, v68, 1
	s_delay_alu instid0(VALU_DEP_1) | instskip(NEXT) | instid1(VALU_DEP_1)
	v_cmp_gt_i32_e64 s4, 0, v7
	v_cndmask_b32_e64 v7, v7, v68, s4
	s_delay_alu instid0(VALU_DEP_1)
	v_lshlrev_b32_e32 v7, 2, v7
	ds_bpermute_b32 v75, v7, v6
	ds_bpermute_b32 v1, v7, v1
	s_and_saveexec_b32 s4, vcc_lo
	s_cbranch_execz .LBB763_140
; %bb.122:
	v_mov_b32_e32 v9, 0
	ds_load_b64 v[6:7], v9 offset:56
	s_and_saveexec_b32 s6, s3
	s_cbranch_execz .LBB763_124
; %bb.123:
	s_add_co_i32 s8, s27, 32
	s_mov_b32 s9, 0
	v_mov_b32_e32 v8, 1
	s_lshl_b64 s[8:9], s[8:9], 4
	s_delay_alu instid0(SALU_CYCLE_1) | instskip(NEXT) | instid1(SALU_CYCLE_1)
	s_add_nc_u64 s[8:9], s[36:37], s[8:9]
	v_mov_b64_e32 v[10:11], s[8:9]
	s_wait_dscnt 0x0
	;;#ASMSTART
	global_store_b128 v[10:11], v[6:9] off scope:SCOPE_DEV	
s_wait_storecnt 0x0
	;;#ASMEND
.LBB763_124:
	s_or_b32 exec_lo, exec_lo, s6
	v_xad_u32 v30, v68, -1, s27
	s_mov_b32 s7, 0
	s_mov_b32 s6, exec_lo
	s_delay_alu instid0(VALU_DEP_1) | instskip(NEXT) | instid1(VALU_DEP_1)
	v_add_nc_u32_e32 v8, 32, v30
	v_lshl_add_u64 v[8:9], v[8:9], 4, s[36:37]
	;;#ASMSTART
	global_load_b128 v[10:13], v[8:9] off scope:SCOPE_DEV	
s_wait_loadcnt 0x0
	;;#ASMEND
	v_and_b32_e32 v13, 0xff, v12
	s_delay_alu instid0(VALU_DEP_1)
	v_cmpx_eq_u16_e32 0, v13
	s_cbranch_execz .LBB763_127
.LBB763_125:                            ; =>This Inner Loop Header: Depth=1
	;;#ASMSTART
	global_load_b128 v[10:13], v[8:9] off scope:SCOPE_DEV	
s_wait_loadcnt 0x0
	;;#ASMEND
	v_and_b32_e32 v13, 0xff, v12
	s_delay_alu instid0(VALU_DEP_1) | instskip(SKIP_1) | instid1(SALU_CYCLE_1)
	v_cmp_ne_u16_e32 vcc_lo, 0, v13
	s_or_b32 s7, vcc_lo, s7
	s_and_not1_b32 exec_lo, exec_lo, s7
	s_cbranch_execnz .LBB763_125
; %bb.126:
	s_or_b32 exec_lo, exec_lo, s7
.LBB763_127:
	s_delay_alu instid0(SALU_CYCLE_1) | instskip(SKIP_4) | instid1(VALU_DEP_1)
	s_or_b32 exec_lo, exec_lo, s6
	v_cmp_ne_u32_e32 vcc_lo, 31, v68
	v_lshlrev_b32_e64 v77, v68, -1
	v_lshl_or_b32 v84, v68, 2, 64
	v_add_co_ci_u32_e64 v8, null, 0, v68, vcc_lo
	v_lshlrev_b32_e32 v76, 2, v8
	v_and_b32_e32 v8, 0xff, v12
	s_delay_alu instid0(VALU_DEP_1)
	v_cmp_eq_u16_e32 vcc_lo, 2, v8
	v_and_b32_e32 v13, vcc_lo, v77
	ds_bpermute_b32 v9, v76, v11
	ds_bpermute_b32 v8, v76, v10
	v_cmp_gt_u32_e32 vcc_lo, 30, v68
	v_or_b32_e32 v13, 0x80000000, v13
	v_cndmask_b32_e64 v31, 0, 2, vcc_lo
	s_delay_alu instid0(VALU_DEP_2) | instskip(NEXT) | instid1(VALU_DEP_2)
	v_ctz_i32_b32_e32 v13, v13
	v_add_lshl_u32 v78, v31, v68, 2
	s_delay_alu instid0(VALU_DEP_2) | instskip(SKIP_2) | instid1(VALU_DEP_1)
	v_cmp_lt_u32_e32 vcc_lo, v68, v13
	s_wait_dscnt 0x0
	v_dual_add_nc_u32 v9, v9, v11 :: v_dual_add_nc_u32 v8, v8, v10
	v_dual_cndmask_b32 v9, v11, v9 :: v_dual_cndmask_b32 v8, v10, v8
	v_cmp_gt_u32_e32 vcc_lo, 28, v68
	ds_bpermute_b32 v10, v78, v9
	ds_bpermute_b32 v11, v78, v8
	v_add_nc_u32_e32 v79, 2, v68
	v_cndmask_b32_e64 v31, 0, 4, vcc_lo
	s_delay_alu instid0(VALU_DEP_1) | instskip(SKIP_4) | instid1(VALU_DEP_2)
	v_add_lshl_u32 v80, v31, v68, 2
	s_wait_dscnt 0x1
	v_add_nc_u32_e32 v10, v9, v10
	v_cmp_gt_u32_e32 vcc_lo, v79, v13
	s_wait_dscnt 0x0
	v_dual_add_nc_u32 v11, v8, v11 :: v_dual_cndmask_b32 v9, v10, v9, vcc_lo
	ds_bpermute_b32 v10, v80, v9
	v_cndmask_b32_e32 v8, v11, v8, vcc_lo
	v_cmp_gt_u32_e32 vcc_lo, 24, v68
	v_cndmask_b32_e64 v31, 0, 8, vcc_lo
	s_delay_alu instid0(VALU_DEP_1)
	v_add_lshl_u32 v82, v31, v68, 2
	s_wait_dscnt 0x0
	v_dual_mov_b32 v31, 0 :: v_dual_add_nc_u32 v10, v9, v10
	ds_bpermute_b32 v11, v80, v8
	s_wait_dscnt 0x0
	v_dual_add_nc_u32 v81, 4, v68 :: v_dual_add_nc_u32 v11, v8, v11
	s_delay_alu instid0(VALU_DEP_1) | instskip(NEXT) | instid1(VALU_DEP_2)
	v_cmp_gt_u32_e32 vcc_lo, v81, v13
	v_dual_cndmask_b32 v9, v10, v9 :: v_dual_cndmask_b32 v8, v11, v8
	ds_bpermute_b32 v10, v82, v9
	ds_bpermute_b32 v11, v82, v8
	s_wait_dscnt 0x1
	v_dual_add_nc_u32 v83, 8, v68 :: v_dual_add_nc_u32 v10, v9, v10
	s_delay_alu instid0(VALU_DEP_1) | instskip(SKIP_1) | instid1(VALU_DEP_2)
	v_cmp_gt_u32_e32 vcc_lo, v83, v13
	s_wait_dscnt 0x0
	v_dual_add_nc_u32 v11, v8, v11 :: v_dual_cndmask_b32 v9, v10, v9, vcc_lo
	s_delay_alu instid0(VALU_DEP_1) | instskip(SKIP_3) | instid1(VALU_DEP_1)
	v_cndmask_b32_e32 v8, v11, v8, vcc_lo
	ds_bpermute_b32 v11, v84, v9
	ds_bpermute_b32 v10, v84, v8
	v_add_nc_u32_e32 v85, 16, v68
	v_cmp_le_u32_e32 vcc_lo, v85, v13
	s_wait_dscnt 0x0
	v_dual_cndmask_b32 v11, 0, v11 :: v_dual_cndmask_b32 v10, 0, v10
	s_delay_alu instid0(VALU_DEP_1)
	v_dual_add_nc_u32 v11, v11, v9 :: v_dual_add_nc_u32 v10, v10, v8
	s_branch .LBB763_131
.LBB763_128:                            ;   in Loop: Header=BB763_131 Depth=1
	s_or_b32 exec_lo, exec_lo, s7
.LBB763_129:                            ;   in Loop: Header=BB763_131 Depth=1
	s_delay_alu instid0(SALU_CYCLE_1)
	s_or_b32 exec_lo, exec_lo, s6
	ds_bpermute_b32 v13, v76, v10
	ds_bpermute_b32 v32, v76, v11
	v_and_b32_e32 v33, 0xff, v12
	v_subrev_nc_u32_e32 v30, 32, v30
	s_mov_b32 s6, 0
	s_delay_alu instid0(VALU_DEP_2) | instskip(SKIP_1) | instid1(VALU_DEP_1)
	v_cmp_eq_u16_e32 vcc_lo, 2, v33
	v_and_or_b32 v33, vcc_lo, v77, 0x80000000
	v_ctz_i32_b32_e32 v33, v33
	s_wait_dscnt 0x0
	v_dual_add_nc_u32 v13, v13, v10 :: v_dual_add_nc_u32 v32, v32, v11
	s_delay_alu instid0(VALU_DEP_2) | instskip(NEXT) | instid1(VALU_DEP_2)
	v_cmp_lt_u32_e32 vcc_lo, v68, v33
	v_dual_cndmask_b32 v11, v11, v32 :: v_dual_cndmask_b32 v10, v10, v13
	v_cmp_gt_u32_e32 vcc_lo, v79, v33
	ds_bpermute_b32 v32, v78, v11
	ds_bpermute_b32 v13, v78, v10
	s_wait_dscnt 0x0
	v_dual_add_nc_u32 v32, v11, v32 :: v_dual_add_nc_u32 v13, v10, v13
	s_delay_alu instid0(VALU_DEP_1)
	v_dual_cndmask_b32 v11, v32, v11 :: v_dual_cndmask_b32 v10, v13, v10
	v_cmp_gt_u32_e32 vcc_lo, v81, v33
	ds_bpermute_b32 v32, v80, v11
	ds_bpermute_b32 v13, v80, v10
	s_wait_dscnt 0x0
	v_dual_add_nc_u32 v32, v11, v32 :: v_dual_add_nc_u32 v13, v10, v13
	s_delay_alu instid0(VALU_DEP_1)
	;; [unrolled: 7-line block ×3, first 2 shown]
	v_dual_cndmask_b32 v11, v32, v11 :: v_dual_cndmask_b32 v10, v13, v10
	v_cmp_le_u32_e32 vcc_lo, v85, v33
	ds_bpermute_b32 v32, v84, v11
	ds_bpermute_b32 v13, v84, v10
	s_wait_dscnt 0x0
	v_dual_cndmask_b32 v32, 0, v32 :: v_dual_cndmask_b32 v13, 0, v13
	s_delay_alu instid0(VALU_DEP_1) | instskip(NEXT) | instid1(VALU_DEP_2)
	v_add3_u32 v11, v11, v9, v32
	v_add3_u32 v10, v10, v8, v13
.LBB763_130:                            ;   in Loop: Header=BB763_131 Depth=1
	s_and_b32 vcc_lo, exec_lo, s6
	s_cbranch_vccnz .LBB763_136
.LBB763_131:                            ; =>This Loop Header: Depth=1
                                        ;     Child Loop BB763_134 Depth 2
	v_and_b32_e32 v8, 0xff, v12
	s_mov_b32 s6, -1
                                        ; implicit-def: $vgpr12
	s_delay_alu instid0(VALU_DEP_1)
	v_cmp_ne_u16_e32 vcc_lo, 2, v8
	v_mov_b64_e32 v[8:9], v[10:11]
                                        ; implicit-def: $vgpr10_vgpr11
	s_cmp_lg_u32 vcc_lo, exec_lo
	s_cbranch_scc1 .LBB763_130
; %bb.132:                              ;   in Loop: Header=BB763_131 Depth=1
	v_lshl_add_u64 v[32:33], v[30:31], 4, s[36:37]
	;;#ASMSTART
	global_load_b128 v[10:13], v[32:33] off scope:SCOPE_DEV	
s_wait_loadcnt 0x0
	;;#ASMEND
	v_and_b32_e32 v13, 0xff, v12
	s_mov_b32 s6, exec_lo
	s_delay_alu instid0(VALU_DEP_1)
	v_cmpx_eq_u16_e32 0, v13
	s_cbranch_execz .LBB763_129
; %bb.133:                              ;   in Loop: Header=BB763_131 Depth=1
	s_mov_b32 s7, 0
.LBB763_134:                            ;   Parent Loop BB763_131 Depth=1
                                        ; =>  This Inner Loop Header: Depth=2
	;;#ASMSTART
	global_load_b128 v[10:13], v[32:33] off scope:SCOPE_DEV	
s_wait_loadcnt 0x0
	;;#ASMEND
	v_and_b32_e32 v13, 0xff, v12
	s_delay_alu instid0(VALU_DEP_1) | instskip(SKIP_1) | instid1(SALU_CYCLE_1)
	v_cmp_ne_u16_e32 vcc_lo, 0, v13
	s_or_b32 s7, vcc_lo, s7
	s_and_not1_b32 exec_lo, exec_lo, s7
	s_cbranch_execnz .LBB763_134
	s_branch .LBB763_128
.LBB763_135:
                                        ; implicit-def: $vgpr1
                                        ; implicit-def: $vgpr8
                                        ; implicit-def: $vgpr10
                                        ; implicit-def: $vgpr12
                                        ; implicit-def: $vgpr28
	s_and_b32 vcc_lo, exec_lo, s4
	s_cbranch_vccnz .LBB763_141
	s_branch .LBB763_150
.LBB763_136:
	s_and_saveexec_b32 s6, s3
	s_cbranch_execz .LBB763_138
; %bb.137:
	s_add_co_i32 s8, s27, 32
	s_mov_b32 s9, 0
	v_dual_mov_b32 v12, 2 :: v_dual_mov_b32 v13, 0
	s_lshl_b64 s[8:9], s[8:9], 4
	v_dual_add_nc_u32 v11, v9, v7 :: v_dual_add_nc_u32 v10, v8, v6
	s_add_nc_u64 s[8:9], s[36:37], s[8:9]
	s_delay_alu instid0(SALU_CYCLE_1)
	v_mov_b64_e32 v[30:31], s[8:9]
	;;#ASMSTART
	global_store_b128 v[30:31], v[10:13] off scope:SCOPE_DEV	
s_wait_storecnt 0x0
	;;#ASMEND
	ds_store_b128 v13, v[6:9] offset:13312
.LBB763_138:
	s_or_b32 exec_lo, exec_lo, s6
	s_delay_alu instid0(SALU_CYCLE_1)
	s_and_b32 exec_lo, exec_lo, s2
; %bb.139:
	v_mov_b32_e32 v6, 0
	ds_store_b64 v6, v[8:9] offset:56
.LBB763_140:
	s_or_b32 exec_lo, exec_lo, s4
	s_wait_dscnt 0x0
	v_dual_mov_b32 v6, 0 :: v_dual_cndmask_b32 v1, v1, v29, s3
	s_barrier_signal -1
	s_barrier_wait -1
	ds_load_b64 v[12:13], v6 offset:56
	s_wait_dscnt 0x0
	s_barrier_signal -1
	s_barrier_wait -1
	ds_load_b128 v[6:9], v6 offset:13312
	v_cndmask_b32_e64 v10, v75, v28, s3
	s_delay_alu instid0(VALU_DEP_1) | instskip(SKIP_2) | instid1(VALU_DEP_2)
	v_dual_add_nc_u32 v1, v13, v1 :: v_dual_add_nc_u32 v11, v12, v10
	s_wait_dscnt 0x0
	v_mov_b32_e32 v10, v9
	v_dual_cndmask_b32 v1, v1, v13, s2 :: v_dual_cndmask_b32 v28, v11, v12, s2
	v_mov_b32_e32 v12, v7
	s_branch .LBB763_150
.LBB763_141:
	v_mov_b32_dpp v1, v73 row_shr:1 row_mask:0xf bank_mask:0xf
	v_mov_b32_dpp v6, v74 row_shr:1 row_mask:0xf bank_mask:0xf
	v_cmp_lt_u32_e32 vcc_lo, 3, v70
	s_delay_alu instid0(VALU_DEP_2) | instskip(NEXT) | instid1(VALU_DEP_1)
	v_dual_add_nc_u32 v1, v1, v73 :: v_dual_add_nc_u32 v6, v6, v74
	v_dual_cndmask_b32 v1, v1, v73, s1 :: v_dual_cndmask_b32 v6, v6, v74, s1
	s_mov_b32 s1, exec_lo
	s_delay_alu instid0(VALU_DEP_1) | instskip(NEXT) | instid1(VALU_DEP_2)
	v_mov_b32_dpp v7, v1 row_shr:2 row_mask:0xf bank_mask:0xf
	v_mov_b32_dpp v8, v6 row_shr:2 row_mask:0xf bank_mask:0xf
	s_delay_alu instid0(VALU_DEP_1) | instskip(NEXT) | instid1(VALU_DEP_1)
	v_dual_add_nc_u32 v7, v1, v7 :: v_dual_add_nc_u32 v8, v6, v8
	v_dual_cndmask_b32 v1, v1, v7, s0 :: v_dual_cndmask_b32 v6, v6, v8, s0
	s_delay_alu instid0(VALU_DEP_1) | instskip(NEXT) | instid1(VALU_DEP_2)
	v_mov_b32_dpp v7, v1 row_shr:4 row_mask:0xf bank_mask:0xf
	v_mov_b32_dpp v8, v6 row_shr:4 row_mask:0xf bank_mask:0xf
	s_delay_alu instid0(VALU_DEP_1) | instskip(NEXT) | instid1(VALU_DEP_1)
	v_dual_add_nc_u32 v7, v1, v7 :: v_dual_add_nc_u32 v8, v6, v8
	v_dual_cndmask_b32 v7, v1, v7 :: v_dual_cndmask_b32 v6, v6, v8
	v_cmp_lt_u32_e32 vcc_lo, 7, v70
	s_delay_alu instid0(VALU_DEP_2) | instskip(NEXT) | instid1(VALU_DEP_3)
	v_mov_b32_dpp v1, v7 row_shr:8 row_mask:0xf bank_mask:0xf
	v_mov_b32_dpp v8, v6 row_shr:8 row_mask:0xf bank_mask:0xf
	s_delay_alu instid0(VALU_DEP_1) | instskip(NEXT) | instid1(VALU_DEP_1)
	v_dual_add_nc_u32 v9, v7, v1 :: v_dual_add_nc_u32 v1, v6, v8
	v_cndmask_b32_e32 v1, v6, v1, vcc_lo
	s_delay_alu instid0(VALU_DEP_2)
	v_cndmask_b32_e32 v6, v7, v9, vcc_lo
	v_cmp_eq_u32_e32 vcc_lo, 0, v72
	ds_swizzle_b32 v8, v6 offset:swizzle(BROADCAST,32,15)
	s_wait_dscnt 0x0
	v_add_nc_u32_e32 v8, v6, v8
	ds_swizzle_b32 v7, v1 offset:swizzle(BROADCAST,32,15)
	s_wait_dscnt 0x0
	v_add_nc_u32_e32 v7, v1, v7
	v_cmpx_eq_u32_e64 v0, v71
; %bb.142:
	s_delay_alu instid0(VALU_DEP_2)
	v_dual_cndmask_b32 v10, v8, v6 :: v_dual_cndmask_b32 v11, v7, v1
	v_lshlrev_b32_e32 v9, 3, v69
	ds_store_b64 v9, v[10:11]
; %bb.143:
	s_or_b32 exec_lo, exec_lo, s1
	s_delay_alu instid0(SALU_CYCLE_1)
	s_mov_b32 s1, exec_lo
	s_wait_dscnt 0x0
	s_barrier_signal -1
	s_barrier_wait -1
	v_cmpx_gt_u32_e32 8, v0
	s_cbranch_execz .LBB763_145
; %bb.144:
	v_lshlrev_b32_e32 v9, 3, v0
	ds_load_b64 v[10:11], v9
	s_wait_dscnt 0x0
	v_mov_b32_dpp v12, v10 row_shr:1 row_mask:0xf bank_mask:0xf
	v_mov_b32_dpp v13, v11 row_shr:1 row_mask:0xf bank_mask:0xf
	s_delay_alu instid0(VALU_DEP_2) | instskip(NEXT) | instid1(VALU_DEP_2)
	v_dual_add_nc_u32 v12, v12, v10 :: v_dual_bitop2_b32 v28, 7, v68 bitop3:0x40
	v_add_nc_u32_e32 v13, v13, v11
	s_delay_alu instid0(VALU_DEP_2) | instskip(NEXT) | instid1(VALU_DEP_1)
	v_cmp_eq_u32_e64 s0, 0, v28
	v_dual_cndmask_b32 v11, v13, v11, s0 :: v_dual_cndmask_b32 v10, v12, v10, s0
	v_cmp_lt_u32_e64 s0, 1, v28
	s_delay_alu instid0(VALU_DEP_2) | instskip(NEXT) | instid1(VALU_DEP_3)
	v_mov_b32_dpp v13, v11 row_shr:2 row_mask:0xf bank_mask:0xf
	v_mov_b32_dpp v12, v10 row_shr:2 row_mask:0xf bank_mask:0xf
	s_delay_alu instid0(VALU_DEP_1) | instskip(NEXT) | instid1(VALU_DEP_1)
	v_dual_add_nc_u32 v13, v11, v13 :: v_dual_add_nc_u32 v12, v10, v12
	v_dual_cndmask_b32 v11, v11, v13, s0 :: v_dual_cndmask_b32 v10, v10, v12, s0
	v_cmp_lt_u32_e64 s0, 3, v28
	s_delay_alu instid0(VALU_DEP_2) | instskip(NEXT) | instid1(VALU_DEP_3)
	v_mov_b32_dpp v13, v11 row_shr:4 row_mask:0xf bank_mask:0xf
	v_mov_b32_dpp v12, v10 row_shr:4 row_mask:0xf bank_mask:0xf
	s_delay_alu instid0(VALU_DEP_1) | instskip(NEXT) | instid1(VALU_DEP_1)
	v_dual_cndmask_b32 v13, 0, v13, s0 :: v_dual_cndmask_b32 v12, 0, v12, s0
	v_dual_add_nc_u32 v11, v13, v11 :: v_dual_add_nc_u32 v10, v12, v10
	ds_store_b64 v9, v[10:11]
.LBB763_145:
	s_or_b32 exec_lo, exec_lo, s1
	v_dual_mov_b32 v9, 0 :: v_dual_mov_b32 v10, 0
	v_mov_b32_e32 v11, 0
	s_mov_b32 s1, exec_lo
	s_wait_dscnt 0x0
	s_barrier_signal -1
	s_barrier_wait -1
	v_cmpx_lt_u32_e32 31, v0
; %bb.146:
	v_lshl_add_u32 v10, v69, 3, -8
	ds_load_b64 v[10:11], v10
; %bb.147:
	s_or_b32 exec_lo, exec_lo, s1
	v_sub_co_u32 v12, s0, v68, 1
	v_dual_cndmask_b32 v6, v8, v6 :: v_dual_cndmask_b32 v1, v7, v1
	s_delay_alu instid0(VALU_DEP_2) | instskip(SKIP_1) | instid1(VALU_DEP_1)
	v_cmp_gt_i32_e64 s1, 0, v12
	s_wait_dscnt 0x0
	v_dual_add_nc_u32 v6, v10, v6 :: v_dual_cndmask_b32 v8, v12, v68, s1
	s_delay_alu instid0(VALU_DEP_1)
	v_dual_lshlrev_b32 v7, 2, v8 :: v_dual_add_nc_u32 v8, v11, v1
	ds_bpermute_b32 v1, v7, v6
	ds_bpermute_b32 v12, v7, v8
	ds_load_b64 v[6:7], v9 offset:56
	s_and_saveexec_b32 s1, s2
	s_cbranch_execz .LBB763_149
; %bb.148:
	s_add_nc_u64 s[6:7], s[36:37], 0x200
	v_dual_mov_b32 v8, 2 :: v_dual_mov_b32 v9, 0
	v_mov_b64_e32 v[28:29], s[6:7]
	s_wait_dscnt 0x0
	;;#ASMSTART
	global_store_b128 v[28:29], v[6:9] off scope:SCOPE_DEV	
s_wait_storecnt 0x0
	;;#ASMEND
.LBB763_149:
	s_or_b32 exec_lo, exec_lo, s1
	s_wait_dscnt 0x1
	v_dual_cndmask_b32 v9, v12, v11, s0 :: v_dual_cndmask_b32 v11, v1, v10, s0
	v_dual_mov_b32 v10, 0 :: v_dual_mov_b32 v8, 0
	s_wait_dscnt 0x0
	v_mov_b32_e32 v12, v7
	s_delay_alu instid0(VALU_DEP_3)
	v_cndmask_b32_e64 v1, v9, 0, s2
	v_cndmask_b32_e64 v28, v11, 0, s2
	s_barrier_signal -1
	s_barrier_wait -1
.LBB763_150:
	s_delay_alu instid0(VALU_DEP_1) | instskip(SKIP_2) | instid1(VALU_DEP_3)
	v_dual_add_nc_u32 v74, v1, v67 :: v_dual_add_nc_u32 v75, v28, v66
	v_dual_lshrrev_b32 v72, 16, v42 :: v_dual_lshrrev_b32 v7, 8, v42
	v_dual_lshrrev_b32 v73, 8, v36 :: v_dual_lshrrev_b32 v71, 16, v36
	v_dual_add_nc_u32 v65, v74, v65 :: v_dual_add_nc_u32 v64, v75, v64
	v_dual_mov_b32 v9, 0 :: v_dual_lshlrev_b32 v66, 1, v6
	s_delay_alu instid0(VALU_DEP_2) | instskip(NEXT) | instid1(VALU_DEP_3)
	v_dual_add_nc_u32 v76, v65, v49 :: v_dual_bitop2_b32 v36, 1, v36 bitop3:0x40
	v_add_nc_u32_e32 v63, v64, v63
	v_dual_sub_nc_u32 v28, v28, v8 :: v_dual_sub_nc_u32 v1, v1, v10
	s_delay_alu instid0(VALU_DEP_3) | instskip(NEXT) | instid1(VALU_DEP_3)
	v_dual_add_nc_u32 v62, v76, v62 :: v_dual_bitop2_b32 v77, 1, v7 bitop3:0x40
	v_dual_mov_b32 v7, v9 :: v_dual_add_nc_u32 v78, v63, v48
	v_mov_b32_e32 v11, v9
	s_delay_alu instid0(VALU_DEP_3) | instskip(SKIP_1) | instid1(VALU_DEP_4)
	v_dual_add_nc_u32 v1, v1, v6 :: v_dual_add_nc_u32 v61, v62, v61
	v_add3_u32 v15, v66, v12, v15
	v_add_nc_u32_e32 v60, v78, v60
	s_delay_alu instid0(VALU_DEP_3) | instskip(NEXT) | instid1(VALU_DEP_4)
	v_dual_sub_nc_u32 v74, v74, v10 :: v_dual_add_nc_u32 v81, v28, v1
	v_dual_add_nc_u32 v79, v61, v59 :: v_dual_sub_nc_u32 v75, v75, v8
	s_delay_alu instid0(VALU_DEP_3) | instskip(SKIP_1) | instid1(VALU_DEP_4)
	v_add_nc_u32_e32 v80, v60, v58
	v_cmp_eq_u32_e32 vcc_lo, 1, v77
	v_dual_add_nc_u32 v74, v74, v6 :: v_dual_sub_nc_u32 v64, v64, v8
	s_delay_alu instid0(VALU_DEP_3) | instskip(SKIP_2) | instid1(VALU_DEP_3)
	v_dual_add_nc_u32 v82, v79, v47 :: v_dual_add_nc_u32 v56, v80, v56
	v_dual_sub_nc_u32 v81, v15, v81 :: v_dual_sub_nc_u32 v65, v65, v10
	v_sub_nc_u64_e32 v[58:59], v[4:5], v[6:7]
	v_dual_add_nc_u32 v57, v82, v57 :: v_dual_add_nc_u32 v83, v56, v46
	s_delay_alu instid0(VALU_DEP_3) | instskip(SKIP_1) | instid1(VALU_DEP_3)
	v_dual_cndmask_b32 v1, v81, v1, vcc_lo :: v_dual_add_nc_u32 v81, v74, v75
	v_cmp_eq_u32_e32 vcc_lo, 1, v36
	v_dual_add_nc_u32 v55, v57, v55 :: v_dual_add_nc_u32 v77, v83, v53
	v_and_b32_e32 v72, 1, v72
	v_dual_sub_nc_u32 v63, v63, v8 :: v_dual_bitop2_b32 v49, 1, v49 bitop3:0x40
	s_delay_alu instid0(VALU_DEP_3) | instskip(NEXT) | instid1(VALU_DEP_4)
	v_dual_cndmask_b32 v1, v1, v28 :: v_dual_add_nc_u32 v28, v55, v54
	v_add_nc_u32_e32 v36, v77, v52
	v_add_nc_u32_e32 v54, v65, v6
	v_add_nc_u64_e32 v[52:53], v[58:59], v[10:11]
	s_delay_alu instid0(VALU_DEP_4)
	v_lshlrev_b32_e32 v1, 2, v1
	v_add_nc_u32_e32 v58, v28, v45
	v_dual_add_nc_u32 v51, v36, v51 :: v_dual_sub_nc_u32 v59, v15, v81
	v_add_nc_u32_e32 v65, v54, v64
	ds_store_b32 v1, v26
	v_dual_add_nc_u32 v1, v58, v50 :: v_dual_add_nc_u32 v26, v51, v44
	v_dual_sub_nc_u32 v73, v76, v10 :: v_dual_bitop2_b32 v50, 1, v73 bitop3:0x40
	v_dual_sub_nc_u32 v65, v15, v65 :: v_dual_add_nc_u32 v59, 1, v59
	v_cmp_eq_u32_e32 vcc_lo, 1, v72
	s_delay_alu instid0(VALU_DEP_3) | instskip(NEXT) | instid1(VALU_DEP_3)
	v_dual_add_nc_u32 v73, v73, v6 :: v_dual_bitop2_b32 v71, 1, v71 bitop3:0x40
	v_add_nc_u32_e32 v65, 2, v65
	v_dual_lshrrev_b32 v70, 8, v37 :: v_dual_lshrrev_b32 v69, 16, v37
	v_cndmask_b32_e32 v59, v59, v74, vcc_lo
	v_cmp_eq_u32_e32 vcc_lo, 1, v49
	v_dual_add_nc_u32 v72, v63, v73 :: v_dual_lshrrev_b32 v33, 16, v38
	v_dual_lshrrev_b32 v68, 8, v38 :: v_dual_lshrrev_b32 v31, 16, v40
	v_dual_cndmask_b32 v49, v65, v54 :: v_dual_lshrrev_b32 v32, 8, v40
	v_cmp_eq_u32_e32 vcc_lo, 1, v50
	s_delay_alu instid0(VALU_DEP_4)
	v_dual_sub_nc_u32 v54, v15, v72 :: v_dual_lshrrev_b32 v30, 8, v41
	v_dual_lshrrev_b32 v29, 16, v41 :: v_dual_sub_nc_u32 v1, v1, v10
	v_cndmask_b32_e32 v50, v59, v75, vcc_lo
	v_cmp_eq_u32_e32 vcc_lo, 1, v71
	v_dual_sub_nc_u32 v59, v62, v10 :: v_dual_bitop2_b32 v37, 1, v37 bitop3:0x40
	v_dual_add_nc_u32 v54, 3, v54 :: v_dual_bitop2_b32 v48, 1, v48 bitop3:0x40
	v_cndmask_b32_e32 v49, v49, v64, vcc_lo
	v_dual_sub_nc_u32 v62, v78, v8 :: v_dual_lshlrev_b32 v50, 2, v50
	s_delay_alu instid0(VALU_DEP_4) | instskip(SKIP_1) | instid1(VALU_DEP_4)
	v_add_nc_u32_e32 v59, v59, v6
	v_cmp_eq_u32_e32 vcc_lo, 1, v37
	v_lshlrev_b32_e32 v49, 2, v49
	v_add_nc_u64_e32 v[2:3], v[2:3], v[8:9]
	ds_store_b32 v50, v27
	v_dual_sub_nc_u32 v27, v61, v10 :: v_dual_cndmask_b32 v37, v54, v73, vcc_lo
	v_add_nc_u32_e32 v54, v62, v59
	v_cmp_eq_u32_e32 vcc_lo, 1, v48
	ds_store_b32 v49, v24
	v_dual_sub_nc_u32 v48, v60, v8 :: v_dual_sub_nc_u32 v50, v79, v10
	v_dual_cndmask_b32 v37, v37, v63 :: v_dual_sub_nc_u32 v24, v15, v54
	v_dual_add_nc_u32 v27, v27, v6 :: v_dual_mov_b32 v67, v9
	s_delay_alu instid0(VALU_DEP_2) | instskip(NEXT) | instid1(VALU_DEP_3)
	v_dual_mov_b32 v13, v9 :: v_dual_add_nc_u32 v24, 4, v24
	v_dual_lshlrev_b32 v37, 2, v37 :: v_dual_bitop2_b32 v49, 1, v70 bitop3:0x40
	s_delay_alu instid0(VALU_DEP_3)
	v_add_nc_u32_e32 v54, v48, v27
	s_mov_b32 s0, -1
	v_and_b32_e32 v40, 1, v40
	ds_store_b32 v37, v25
	v_cmp_eq_u32_e32 vcc_lo, 1, v49
	v_dual_sub_nc_u32 v49, v80, v8 :: v_dual_bitop2_b32 v38, 1, v38 bitop3:0x40
	v_dual_add_nc_u32 v50, v50, v6 :: v_dual_bitop2_b32 v37, 1, v69 bitop3:0x40
	v_cndmask_b32_e32 v24, v24, v59, vcc_lo
	s_delay_alu instid0(VALU_DEP_3) | instskip(SKIP_1) | instid1(VALU_DEP_3)
	v_cmp_eq_u32_e32 vcc_lo, 1, v38
	v_and_b32_e32 v32, 1, v32
	v_dual_cndmask_b32 v24, v24, v62, vcc_lo :: v_dual_bitop2_b32 v31, 1, v31 bitop3:0x40
	v_sub_nc_u32_e32 v54, v15, v54
	v_cmp_eq_u32_e32 vcc_lo, 1, v37
	s_delay_alu instid0(VALU_DEP_3) | instskip(NEXT) | instid1(VALU_DEP_3)
	v_dual_sub_nc_u32 v37, v57, v10 :: v_dual_lshlrev_b32 v24, 2, v24
	v_add_nc_u32_e32 v38, 5, v54
	v_dual_add_nc_u32 v25, v49, v50 :: v_dual_bitop2_b32 v54, 1, v68 bitop3:0x40
	ds_store_b32 v24, v22
	v_dual_cndmask_b32 v27, v38, v27, vcc_lo :: v_dual_sub_nc_u32 v25, v15, v25
	v_and_b32_e32 v22, 1, v47
	v_cmp_eq_u32_e32 vcc_lo, 1, v54
	v_dual_sub_nc_u32 v38, v55, v10 :: v_dual_sub_nc_u32 v47, v77, v8
	s_delay_alu instid0(VALU_DEP_4) | instskip(SKIP_3) | instid1(VALU_DEP_3)
	v_dual_cndmask_b32 v25, v27, v48 :: v_dual_add_nc_u32 v24, 6, v25
	v_sub_nc_u32_e32 v27, v82, v10
	v_cmp_eq_u32_e32 vcc_lo, 1, v22
	v_and_b32_e32 v33, 1, v33
	v_dual_lshlrev_b32 v25, 2, v25 :: v_dual_add_nc_u32 v27, v27, v6
	v_cndmask_b32_e32 v22, v24, v50, vcc_lo
	v_sub_nc_u32_e32 v24, v56, v8
	s_delay_alu instid0(VALU_DEP_4)
	v_cmp_eq_u32_e32 vcc_lo, 1, v33
	ds_store_b32 v25, v23
	v_dual_sub_nc_u32 v23, v83, v8 :: v_dual_add_nc_u32 v25, v37, v6
	v_dual_cndmask_b32 v22, v22, v49 :: v_dual_add_nc_u32 v33, v24, v27
	v_and_b32_e32 v37, 1, v46
	v_cmp_eq_u32_e32 vcc_lo, 1, v40
	s_delay_alu instid0(VALU_DEP_4) | instskip(NEXT) | instid1(VALU_DEP_4)
	v_add_nc_u32_e32 v46, v23, v25
	v_dual_sub_nc_u32 v33, v15, v33 :: v_dual_lshlrev_b32 v22, 2, v22
	s_delay_alu instid0(VALU_DEP_1)
	v_dual_sub_nc_u32 v46, v15, v46 :: v_dual_add_nc_u32 v33, 7, v33
	v_add_nc_u32_e32 v38, v38, v6
	ds_store_b32 v22, v20
	v_dual_cndmask_b32 v27, v33, v27, vcc_lo :: v_dual_bitop2_b32 v22, 1, v45 bitop3:0x40
	v_cmp_eq_u32_e32 vcc_lo, 1, v37
	v_add_nc_u32_e32 v33, v47, v38
	s_delay_alu instid0(VALU_DEP_3) | instskip(SKIP_2) | instid1(VALU_DEP_3)
	v_dual_add_nc_u32 v40, 8, v46 :: v_dual_cndmask_b32 v24, v27, v24, vcc_lo
	v_and_b32_e32 v27, 1, v41
	v_cmp_eq_u32_e32 vcc_lo, 1, v32
	v_dual_sub_nc_u32 v33, v15, v33 :: v_dual_lshlrev_b32 v24, 2, v24
	s_delay_alu instid0(VALU_DEP_4) | instskip(NEXT) | instid1(VALU_DEP_4)
	v_cndmask_b32_e32 v25, v40, v25, vcc_lo
	v_cmp_eq_u32_e32 vcc_lo, 1, v27
	s_delay_alu instid0(VALU_DEP_3) | instskip(NEXT) | instid1(VALU_DEP_3)
	v_dual_add_nc_u32 v32, 9, v33 :: v_dual_bitop2_b32 v27, 1, v30 bitop3:0x40
	v_dual_cndmask_b32 v23, v25, v23 :: v_dual_sub_nc_u32 v30, v36, v8
	v_sub_nc_u32_e32 v25, v28, v10
	v_cmp_eq_u32_e32 vcc_lo, 1, v31
	s_delay_alu instid0(VALU_DEP_2)
	v_dual_lshlrev_b32 v23, 2, v23 :: v_dual_add_nc_u32 v25, v25, v6
	v_cndmask_b32_e32 v28, v32, v38, vcc_lo
	v_cmp_eq_u32_e32 vcc_lo, 1, v27
	ds_store_b32 v24, v21
	ds_store_b32 v23, v18
	v_sub_nc_u32_e32 v21, v58, v10
	v_dual_add_nc_u32 v20, v30, v25 :: v_dual_sub_nc_u32 v23, v51, v8
	v_dual_cndmask_b32 v27, v28, v47 :: v_dual_sub_nc_u32 v8, v26, v8
	s_delay_alu instid0(VALU_DEP_2) | instskip(NEXT) | instid1(VALU_DEP_2)
	v_dual_add_nc_u32 v1, v1, v6 :: v_dual_sub_nc_u32 v20, v15, v20
	v_dual_add_nc_u32 v21, v21, v6 :: v_dual_lshlrev_b32 v18, 2, v27
	v_cmp_eq_u32_e32 vcc_lo, 1, v22
	s_delay_alu instid0(VALU_DEP_3) | instskip(SKIP_3) | instid1(VALU_DEP_1)
	v_dual_add_nc_u32 v22, v8, v1 :: v_dual_add_nc_u32 v20, 10, v20
	ds_store_b32 v18, v19
	v_cndmask_b32_e32 v20, v20, v25, vcc_lo
	v_add_nc_u32_e32 v26, v23, v21
	v_dual_sub_nc_u32 v18, v15, v26 :: v_dual_bitop2_b32 v24, 1, v29 bitop3:0x40
	s_delay_alu instid0(VALU_DEP_1) | instskip(SKIP_1) | instid1(VALU_DEP_3)
	v_cmp_eq_u32_e32 vcc_lo, 1, v24
	v_dual_sub_nc_u32 v15, v15, v22 :: v_dual_bitop2_b32 v24, 1, v39 bitop3:0x40
	v_dual_add_nc_u32 v25, 11, v18 :: v_dual_bitop2_b32 v22, 1, v44 bitop3:0x40
	v_cndmask_b32_e32 v20, v20, v30, vcc_lo
	s_delay_alu instid0(VALU_DEP_3) | instskip(SKIP_4) | instid1(VALU_DEP_4)
	v_cmp_eq_u32_e32 vcc_lo, 1, v24
	v_and_b32_e32 v26, 1, v43
	v_dual_add_nc_u32 v15, 12, v15 :: v_dual_bitop2_b32 v24, 1, v42 bitop3:0x40
	v_add_nc_u64_e32 v[18:19], v[12:13], v[66:67]
	v_cndmask_b32_e32 v21, v25, v21, vcc_lo
	v_cmp_eq_u32_e32 vcc_lo, 1, v26
	s_delay_alu instid0(VALU_DEP_4)
	v_dual_cndmask_b32 v1, v15, v1 :: v_dual_lshlrev_b32 v20, 2, v20
	v_cmp_eq_u32_e32 vcc_lo, 1, v22
	v_add_nc_u64_e32 v[18:19], v[18:19], v[52:53]
	v_mov_b32_e32 v15, v9
	ds_store_b32 v20, v16
	v_cndmask_b32_e32 v21, v21, v23, vcc_lo
	v_cmp_eq_u32_e32 vcc_lo, 1, v24
	s_delay_alu instid0(VALU_DEP_2)
	v_dual_cndmask_b32 v1, v1, v8 :: v_dual_lshlrev_b32 v22, 2, v21
	v_add_nc_u64_e32 v[8:9], s[34:35], v[14:15]
	v_add_nc_u64_e32 v[14:15], v[18:19], v[2:3]
	v_lshlrev_b64_e32 v[18:19], 2, v[52:53]
	v_lshlrev_b64_e32 v[20:21], 2, v[2:3]
	v_lshlrev_b32_e32 v1, 2, v1
	v_cmp_ne_u32_e32 vcc_lo, 1, v35
	v_sub_nc_u64_e32 v[14:15], v[8:9], v[14:15]
	v_add_nc_u64_e32 v[8:9], s[30:31], v[18:19]
	v_add_nc_u32_e32 v18, v6, v12
	ds_store_b32 v22, v17
	ds_store_b32 v1, v34
	v_add_nc_u64_e32 v[16:17], s[28:29], v[20:21]
	s_wait_dscnt 0x0
	s_barrier_signal -1
	s_barrier_wait -1
	s_cbranch_vccz .LBB763_154
; %bb.151:
	s_and_b32 vcc_lo, exec_lo, s0
	s_cbranch_vccnz .LBB763_259
.LBB763_152:
	s_and_b32 s0, s2, s26
	s_delay_alu instid0(SALU_CYCLE_1)
	s_and_saveexec_b32 s1, s0
	s_cbranch_execnz .LBB763_377
.LBB763_153:
	s_sendmsg sendmsg(MSG_DEALLOC_VGPRS)
	s_endpgm
.LBB763_154:
	s_mov_b32 s0, exec_lo
	v_cmpx_ge_u32_e64 v0, v6
	s_xor_b32 s0, exec_lo, s0
	s_cbranch_execz .LBB763_160
; %bb.155:
	v_mov_b32_e32 v1, 0
	s_mov_b32 s1, exec_lo
	v_cmpx_ge_u32_e64 v0, v18
	s_xor_b32 s1, exec_lo, s1
	s_cbranch_execz .LBB763_157
; %bb.156:
	v_lshlrev_b32_e32 v19, 2, v0
	v_add_nc_u64_e32 v[20:21], v[14:15], v[0:1]
	ds_load_b32 v1, v19
	v_lshlrev_b64_e32 v[20:21], 2, v[20:21]
	s_delay_alu instid0(VALU_DEP_1)
	v_sub_nc_u64_e32 v[20:21], s[14:15], v[20:21]
	s_wait_dscnt 0x0
	global_store_b32 v[20:21], v1, off offset:-4
.LBB763_157:
	s_wait_xcnt 0x0
	s_and_not1_saveexec_b32 s1, s1
	s_cbranch_execz .LBB763_159
; %bb.158:
	v_lshlrev_b32_e32 v1, 2, v0
	v_readfirstlane_b32 s6, v8
	v_readfirstlane_b32 s7, v9
	ds_load_b32 v1, v1
	s_wait_dscnt 0x0
	global_store_b32 v0, v1, s[6:7] scale_offset
.LBB763_159:
	s_wait_xcnt 0x0
	s_or_b32 exec_lo, exec_lo, s1
.LBB763_160:
	s_and_not1_saveexec_b32 s0, s0
	s_cbranch_execz .LBB763_162
; %bb.161:
	v_lshlrev_b32_e32 v1, 2, v0
	v_readfirstlane_b32 s6, v16
	v_readfirstlane_b32 s7, v17
	ds_load_b32 v1, v1
	s_wait_dscnt 0x0
	global_store_b32 v0, v1, s[6:7] scale_offset
.LBB763_162:
	s_wait_xcnt 0x0
	s_or_b32 exec_lo, exec_lo, s0
	v_or_b32_e32 v1, 0x100, v0
	s_mov_b32 s0, exec_lo
	s_delay_alu instid0(VALU_DEP_1)
	v_cmpx_ge_u32_e64 v1, v6
	s_xor_b32 s0, exec_lo, s0
	s_cbranch_execz .LBB763_168
; %bb.163:
	s_mov_b32 s1, exec_lo
	v_cmpx_ge_u32_e64 v1, v18
	s_xor_b32 s1, exec_lo, s1
	s_cbranch_execz .LBB763_165
; %bb.164:
	v_dual_mov_b32 v1, 0 :: v_dual_lshlrev_b32 v19, 2, v0
	s_delay_alu instid0(VALU_DEP_1) | instskip(SKIP_2) | instid1(VALU_DEP_1)
	v_add_nc_u64_e32 v[20:21], v[14:15], v[0:1]
	ds_load_b32 v1, v19 offset:1024
	v_lshlrev_b64_e32 v[20:21], 2, v[20:21]
	v_sub_nc_u64_e32 v[20:21], s[14:15], v[20:21]
	s_wait_dscnt 0x0
	global_store_b32 v[20:21], v1, off offset:-1028
.LBB763_165:
	s_wait_xcnt 0x0
	s_and_not1_saveexec_b32 s1, s1
	s_cbranch_execz .LBB763_167
; %bb.166:
	v_lshlrev_b32_e32 v1, 2, v0
	v_readfirstlane_b32 s6, v8
	v_readfirstlane_b32 s7, v9
	ds_load_b32 v1, v1 offset:1024
	s_wait_dscnt 0x0
	global_store_b32 v0, v1, s[6:7] offset:1024 scale_offset
.LBB763_167:
	s_wait_xcnt 0x0
	s_or_b32 exec_lo, exec_lo, s1
.LBB763_168:
	s_and_not1_saveexec_b32 s0, s0
	s_cbranch_execz .LBB763_170
; %bb.169:
	v_lshlrev_b32_e32 v1, 2, v0
	v_readfirstlane_b32 s6, v16
	v_readfirstlane_b32 s7, v17
	ds_load_b32 v1, v1 offset:1024
	s_wait_dscnt 0x0
	global_store_b32 v0, v1, s[6:7] offset:1024 scale_offset
.LBB763_170:
	s_wait_xcnt 0x0
	s_or_b32 exec_lo, exec_lo, s0
	v_or_b32_e32 v1, 0x200, v0
	s_mov_b32 s0, exec_lo
	s_delay_alu instid0(VALU_DEP_1)
	v_cmpx_ge_u32_e64 v1, v6
	s_xor_b32 s0, exec_lo, s0
	s_cbranch_execz .LBB763_176
; %bb.171:
	s_mov_b32 s1, exec_lo
	v_cmpx_ge_u32_e64 v1, v18
	s_xor_b32 s1, exec_lo, s1
	s_cbranch_execz .LBB763_173
; %bb.172:
	v_dual_mov_b32 v1, 0 :: v_dual_lshlrev_b32 v19, 2, v0
	s_delay_alu instid0(VALU_DEP_1) | instskip(SKIP_2) | instid1(VALU_DEP_1)
	v_add_nc_u64_e32 v[20:21], v[14:15], v[0:1]
	ds_load_b32 v1, v19 offset:2048
	v_lshlrev_b64_e32 v[20:21], 2, v[20:21]
	v_sub_nc_u64_e32 v[20:21], s[14:15], v[20:21]
	s_wait_dscnt 0x0
	global_store_b32 v[20:21], v1, off offset:-2052
.LBB763_173:
	s_wait_xcnt 0x0
	s_and_not1_saveexec_b32 s1, s1
	s_cbranch_execz .LBB763_175
; %bb.174:
	v_lshlrev_b32_e32 v1, 2, v0
	v_readfirstlane_b32 s6, v8
	v_readfirstlane_b32 s7, v9
	ds_load_b32 v1, v1 offset:2048
	s_wait_dscnt 0x0
	global_store_b32 v0, v1, s[6:7] offset:2048 scale_offset
.LBB763_175:
	s_wait_xcnt 0x0
	s_or_b32 exec_lo, exec_lo, s1
.LBB763_176:
	s_and_not1_saveexec_b32 s0, s0
	s_cbranch_execz .LBB763_178
; %bb.177:
	v_lshlrev_b32_e32 v1, 2, v0
	v_readfirstlane_b32 s6, v16
	v_readfirstlane_b32 s7, v17
	ds_load_b32 v1, v1 offset:2048
	s_wait_dscnt 0x0
	global_store_b32 v0, v1, s[6:7] offset:2048 scale_offset
.LBB763_178:
	;; [unrolled: 47-line block ×12, first 2 shown]
	s_wait_xcnt 0x0
	s_or_b32 exec_lo, exec_lo, s0
	s_branch .LBB763_152
.LBB763_259:
	s_mov_b32 s0, exec_lo
	v_cmpx_gt_u32_e64 s5, v0
	s_cbranch_execz .LBB763_268
; %bb.260:
	s_mov_b32 s1, exec_lo
	v_cmpx_ge_u32_e64 v0, v6
	s_xor_b32 s1, exec_lo, s1
	s_cbranch_execz .LBB763_266
; %bb.261:
	v_mov_b32_e32 v1, 0
	s_mov_b32 s3, exec_lo
	v_cmpx_ge_u32_e64 v0, v18
	s_xor_b32 s3, exec_lo, s3
	s_cbranch_execz .LBB763_263
; %bb.262:
	v_lshlrev_b32_e32 v19, 2, v0
	v_add_nc_u64_e32 v[20:21], v[14:15], v[0:1]
	ds_load_b32 v1, v19
	v_lshlrev_b64_e32 v[20:21], 2, v[20:21]
	s_delay_alu instid0(VALU_DEP_1)
	v_sub_nc_u64_e32 v[20:21], s[14:15], v[20:21]
	s_wait_dscnt 0x0
	global_store_b32 v[20:21], v1, off offset:-4
.LBB763_263:
	s_wait_xcnt 0x0
	s_and_not1_saveexec_b32 s3, s3
	s_cbranch_execz .LBB763_265
; %bb.264:
	v_lshlrev_b32_e32 v1, 2, v0
	v_readfirstlane_b32 s6, v8
	v_readfirstlane_b32 s7, v9
	ds_load_b32 v1, v1
	s_wait_dscnt 0x0
	global_store_b32 v0, v1, s[6:7] scale_offset
.LBB763_265:
	s_wait_xcnt 0x0
	s_or_b32 exec_lo, exec_lo, s3
.LBB763_266:
	s_and_not1_saveexec_b32 s1, s1
	s_cbranch_execz .LBB763_268
; %bb.267:
	v_lshlrev_b32_e32 v1, 2, v0
	v_readfirstlane_b32 s6, v16
	v_readfirstlane_b32 s7, v17
	ds_load_b32 v1, v1
	s_wait_dscnt 0x0
	global_store_b32 v0, v1, s[6:7] scale_offset
.LBB763_268:
	s_wait_xcnt 0x0
	s_or_b32 exec_lo, exec_lo, s0
	v_or_b32_e32 v1, 0x100, v0
	s_mov_b32 s0, exec_lo
	s_delay_alu instid0(VALU_DEP_1)
	v_cmpx_gt_u32_e64 s5, v1
	s_cbranch_execz .LBB763_277
; %bb.269:
	s_mov_b32 s1, exec_lo
	v_cmpx_ge_u32_e64 v1, v6
	s_xor_b32 s1, exec_lo, s1
	s_cbranch_execz .LBB763_275
; %bb.270:
	s_mov_b32 s3, exec_lo
	v_cmpx_ge_u32_e64 v1, v18
	s_xor_b32 s3, exec_lo, s3
	s_cbranch_execz .LBB763_272
; %bb.271:
	v_dual_mov_b32 v1, 0 :: v_dual_lshlrev_b32 v19, 2, v0
	s_delay_alu instid0(VALU_DEP_1) | instskip(SKIP_2) | instid1(VALU_DEP_1)
	v_add_nc_u64_e32 v[20:21], v[14:15], v[0:1]
	ds_load_b32 v1, v19 offset:1024
	v_lshlrev_b64_e32 v[20:21], 2, v[20:21]
	v_sub_nc_u64_e32 v[20:21], s[14:15], v[20:21]
	s_wait_dscnt 0x0
	global_store_b32 v[20:21], v1, off offset:-1028
.LBB763_272:
	s_wait_xcnt 0x0
	s_and_not1_saveexec_b32 s3, s3
	s_cbranch_execz .LBB763_274
; %bb.273:
	v_lshlrev_b32_e32 v1, 2, v0
	v_readfirstlane_b32 s6, v8
	v_readfirstlane_b32 s7, v9
	ds_load_b32 v1, v1 offset:1024
	s_wait_dscnt 0x0
	global_store_b32 v0, v1, s[6:7] offset:1024 scale_offset
.LBB763_274:
	s_wait_xcnt 0x0
	s_or_b32 exec_lo, exec_lo, s3
.LBB763_275:
	s_and_not1_saveexec_b32 s1, s1
	s_cbranch_execz .LBB763_277
; %bb.276:
	v_lshlrev_b32_e32 v1, 2, v0
	v_readfirstlane_b32 s6, v16
	v_readfirstlane_b32 s7, v17
	ds_load_b32 v1, v1 offset:1024
	s_wait_dscnt 0x0
	global_store_b32 v0, v1, s[6:7] offset:1024 scale_offset
.LBB763_277:
	s_wait_xcnt 0x0
	s_or_b32 exec_lo, exec_lo, s0
	v_or_b32_e32 v1, 0x200, v0
	s_mov_b32 s0, exec_lo
	s_delay_alu instid0(VALU_DEP_1)
	v_cmpx_gt_u32_e64 s5, v1
	s_cbranch_execz .LBB763_286
; %bb.278:
	s_mov_b32 s1, exec_lo
	v_cmpx_ge_u32_e64 v1, v6
	s_xor_b32 s1, exec_lo, s1
	s_cbranch_execz .LBB763_284
; %bb.279:
	s_mov_b32 s3, exec_lo
	v_cmpx_ge_u32_e64 v1, v18
	s_xor_b32 s3, exec_lo, s3
	s_cbranch_execz .LBB763_281
; %bb.280:
	v_dual_mov_b32 v1, 0 :: v_dual_lshlrev_b32 v19, 2, v0
	s_delay_alu instid0(VALU_DEP_1) | instskip(SKIP_2) | instid1(VALU_DEP_1)
	v_add_nc_u64_e32 v[20:21], v[14:15], v[0:1]
	ds_load_b32 v1, v19 offset:2048
	v_lshlrev_b64_e32 v[20:21], 2, v[20:21]
	v_sub_nc_u64_e32 v[20:21], s[14:15], v[20:21]
	s_wait_dscnt 0x0
	global_store_b32 v[20:21], v1, off offset:-2052
.LBB763_281:
	s_wait_xcnt 0x0
	s_and_not1_saveexec_b32 s3, s3
	s_cbranch_execz .LBB763_283
; %bb.282:
	v_lshlrev_b32_e32 v1, 2, v0
	v_readfirstlane_b32 s6, v8
	v_readfirstlane_b32 s7, v9
	ds_load_b32 v1, v1 offset:2048
	s_wait_dscnt 0x0
	global_store_b32 v0, v1, s[6:7] offset:2048 scale_offset
.LBB763_283:
	s_wait_xcnt 0x0
	s_or_b32 exec_lo, exec_lo, s3
.LBB763_284:
	s_and_not1_saveexec_b32 s1, s1
	s_cbranch_execz .LBB763_286
; %bb.285:
	v_lshlrev_b32_e32 v1, 2, v0
	v_readfirstlane_b32 s6, v16
	v_readfirstlane_b32 s7, v17
	ds_load_b32 v1, v1 offset:2048
	s_wait_dscnt 0x0
	global_store_b32 v0, v1, s[6:7] offset:2048 scale_offset
.LBB763_286:
	;; [unrolled: 51-line block ×11, first 2 shown]
	s_wait_xcnt 0x0
	s_or_b32 exec_lo, exec_lo, s0
	v_or_b32_e32 v1, 0xc00, v0
	s_mov_b32 s0, exec_lo
	s_delay_alu instid0(VALU_DEP_1)
	v_cmpx_gt_u32_e64 s5, v1
	s_cbranch_execz .LBB763_376
; %bb.368:
	s_mov_b32 s1, exec_lo
	v_cmpx_ge_u32_e64 v1, v6
	s_xor_b32 s1, exec_lo, s1
	s_cbranch_execz .LBB763_374
; %bb.369:
	s_mov_b32 s3, exec_lo
	v_cmpx_ge_u32_e64 v1, v18
	s_xor_b32 s3, exec_lo, s3
	s_cbranch_execz .LBB763_371
; %bb.370:
	v_dual_mov_b32 v1, 0 :: v_dual_lshlrev_b32 v8, 2, v0
	s_delay_alu instid0(VALU_DEP_1) | instskip(SKIP_2) | instid1(VALU_DEP_1)
	v_add_nc_u64_e32 v[0:1], v[14:15], v[0:1]
	ds_load_b32 v8, v8 offset:12288
	v_lshlrev_b64_e32 v[0:1], 2, v[0:1]
	v_sub_nc_u64_e32 v[0:1], s[14:15], v[0:1]
	s_wait_dscnt 0x0
	global_store_b32 v[0:1], v8, off offset:-12292
                                        ; implicit-def: $vgpr0
                                        ; implicit-def: $vgpr8_vgpr9
.LBB763_371:
	s_wait_xcnt 0x0
	s_and_not1_saveexec_b32 s3, s3
	s_cbranch_execz .LBB763_373
; %bb.372:
	v_lshlrev_b32_e32 v1, 2, v0
	v_readfirstlane_b32 s4, v8
	v_readfirstlane_b32 s5, v9
	ds_load_b32 v1, v1 offset:12288
	s_wait_dscnt 0x0
	global_store_b32 v0, v1, s[4:5] offset:12288 scale_offset
.LBB763_373:
	s_wait_xcnt 0x0
	s_or_b32 exec_lo, exec_lo, s3
                                        ; implicit-def: $vgpr0
                                        ; implicit-def: $vgpr16_vgpr17
.LBB763_374:
	s_and_not1_saveexec_b32 s1, s1
	s_cbranch_execz .LBB763_376
; %bb.375:
	v_lshlrev_b32_e32 v1, 2, v0
	v_readfirstlane_b32 s4, v16
	v_readfirstlane_b32 s5, v17
	ds_load_b32 v1, v1 offset:12288
	s_wait_dscnt 0x0
	global_store_b32 v0, v1, s[4:5] offset:12288 scale_offset
.LBB763_376:
	s_wait_xcnt 0x0
	s_or_b32 exec_lo, exec_lo, s0
	s_and_b32 s0, s2, s26
	s_delay_alu instid0(SALU_CYCLE_1)
	s_and_saveexec_b32 s1, s0
	s_cbranch_execz .LBB763_153
.LBB763_377:
	v_add_nc_u64_e32 v[0:1], v[4:5], v[12:13]
	v_add_nc_u64_e32 v[2:3], v[2:3], v[6:7]
	s_delay_alu instid0(VALU_DEP_2)
	v_add_nc_u64_e32 v[4:5], v[0:1], v[10:11]
	v_mov_b32_e32 v0, 0
	global_store_b128 v0, v[2:5], s[24:25]
	s_sendmsg sendmsg(MSG_DEALLOC_VGPRS)
	s_endpgm
	.section	.rodata,"a",@progbits
	.p2align	6, 0x0
	.amdhsa_kernel _ZN7rocprim17ROCPRIM_400000_NS6detail17trampoline_kernelINS0_13select_configILj256ELj13ELNS0_17block_load_methodE3ELS4_3ELS4_3ELNS0_20block_scan_algorithmE0ELj4294967295EEENS1_25partition_config_selectorILNS1_17partition_subalgoE4EjNS0_10empty_typeEbEEZZNS1_14partition_implILS8_4ELb0ES6_15HIP_vector_typeIjLj2EENS0_17counting_iteratorIjlEEPS9_SG_NS0_5tupleIJPjSI_NS0_16reverse_iteratorISI_EEEEENSH_IJSG_SG_SG_EEES9_SI_JZNS1_25segmented_radix_sort_implINS0_14default_configELb0EPKlPlSQ_SR_N2at6native12_GLOBAL__N_18offset_tEEE10hipError_tPvRmT1_PNSt15iterator_traitsISZ_E10value_typeET2_T3_PNS10_IS15_E10value_typeET4_jRbjT5_S1B_jjP12ihipStream_tbEUljE_ZNSN_ISO_Lb0ESQ_SR_SQ_SR_SV_EESW_SX_SY_SZ_S13_S14_S15_S18_S19_jS1A_jS1B_S1B_jjS1D_bEUljE0_EEESW_SX_SY_S15_S19_S1B_T6_T7_T9_mT8_S1D_bDpT10_ENKUlT_T0_E_clISt17integral_constantIbLb0EES1Q_IbLb1EEEEDaS1M_S1N_EUlS1M_E_NS1_11comp_targetILNS1_3genE0ELNS1_11target_archE4294967295ELNS1_3gpuE0ELNS1_3repE0EEENS1_30default_config_static_selectorELNS0_4arch9wavefront6targetE0EEEvSZ_
		.amdhsa_group_segment_fixed_size 13328
		.amdhsa_private_segment_fixed_size 0
		.amdhsa_kernarg_size 184
		.amdhsa_user_sgpr_count 2
		.amdhsa_user_sgpr_dispatch_ptr 0
		.amdhsa_user_sgpr_queue_ptr 0
		.amdhsa_user_sgpr_kernarg_segment_ptr 1
		.amdhsa_user_sgpr_dispatch_id 0
		.amdhsa_user_sgpr_kernarg_preload_length 0
		.amdhsa_user_sgpr_kernarg_preload_offset 0
		.amdhsa_user_sgpr_private_segment_size 0
		.amdhsa_wavefront_size32 1
		.amdhsa_uses_dynamic_stack 0
		.amdhsa_enable_private_segment 0
		.amdhsa_system_sgpr_workgroup_id_x 1
		.amdhsa_system_sgpr_workgroup_id_y 0
		.amdhsa_system_sgpr_workgroup_id_z 0
		.amdhsa_system_sgpr_workgroup_info 0
		.amdhsa_system_vgpr_workitem_id 0
		.amdhsa_next_free_vgpr 86
		.amdhsa_next_free_sgpr 55
		.amdhsa_named_barrier_count 0
		.amdhsa_reserve_vcc 1
		.amdhsa_float_round_mode_32 0
		.amdhsa_float_round_mode_16_64 0
		.amdhsa_float_denorm_mode_32 3
		.amdhsa_float_denorm_mode_16_64 3
		.amdhsa_fp16_overflow 0
		.amdhsa_memory_ordered 1
		.amdhsa_forward_progress 1
		.amdhsa_inst_pref_size 140
		.amdhsa_round_robin_scheduling 0
		.amdhsa_exception_fp_ieee_invalid_op 0
		.amdhsa_exception_fp_denorm_src 0
		.amdhsa_exception_fp_ieee_div_zero 0
		.amdhsa_exception_fp_ieee_overflow 0
		.amdhsa_exception_fp_ieee_underflow 0
		.amdhsa_exception_fp_ieee_inexact 0
		.amdhsa_exception_int_div_zero 0
	.end_amdhsa_kernel
	.section	.text._ZN7rocprim17ROCPRIM_400000_NS6detail17trampoline_kernelINS0_13select_configILj256ELj13ELNS0_17block_load_methodE3ELS4_3ELS4_3ELNS0_20block_scan_algorithmE0ELj4294967295EEENS1_25partition_config_selectorILNS1_17partition_subalgoE4EjNS0_10empty_typeEbEEZZNS1_14partition_implILS8_4ELb0ES6_15HIP_vector_typeIjLj2EENS0_17counting_iteratorIjlEEPS9_SG_NS0_5tupleIJPjSI_NS0_16reverse_iteratorISI_EEEEENSH_IJSG_SG_SG_EEES9_SI_JZNS1_25segmented_radix_sort_implINS0_14default_configELb0EPKlPlSQ_SR_N2at6native12_GLOBAL__N_18offset_tEEE10hipError_tPvRmT1_PNSt15iterator_traitsISZ_E10value_typeET2_T3_PNS10_IS15_E10value_typeET4_jRbjT5_S1B_jjP12ihipStream_tbEUljE_ZNSN_ISO_Lb0ESQ_SR_SQ_SR_SV_EESW_SX_SY_SZ_S13_S14_S15_S18_S19_jS1A_jS1B_S1B_jjS1D_bEUljE0_EEESW_SX_SY_S15_S19_S1B_T6_T7_T9_mT8_S1D_bDpT10_ENKUlT_T0_E_clISt17integral_constantIbLb0EES1Q_IbLb1EEEEDaS1M_S1N_EUlS1M_E_NS1_11comp_targetILNS1_3genE0ELNS1_11target_archE4294967295ELNS1_3gpuE0ELNS1_3repE0EEENS1_30default_config_static_selectorELNS0_4arch9wavefront6targetE0EEEvSZ_,"axG",@progbits,_ZN7rocprim17ROCPRIM_400000_NS6detail17trampoline_kernelINS0_13select_configILj256ELj13ELNS0_17block_load_methodE3ELS4_3ELS4_3ELNS0_20block_scan_algorithmE0ELj4294967295EEENS1_25partition_config_selectorILNS1_17partition_subalgoE4EjNS0_10empty_typeEbEEZZNS1_14partition_implILS8_4ELb0ES6_15HIP_vector_typeIjLj2EENS0_17counting_iteratorIjlEEPS9_SG_NS0_5tupleIJPjSI_NS0_16reverse_iteratorISI_EEEEENSH_IJSG_SG_SG_EEES9_SI_JZNS1_25segmented_radix_sort_implINS0_14default_configELb0EPKlPlSQ_SR_N2at6native12_GLOBAL__N_18offset_tEEE10hipError_tPvRmT1_PNSt15iterator_traitsISZ_E10value_typeET2_T3_PNS10_IS15_E10value_typeET4_jRbjT5_S1B_jjP12ihipStream_tbEUljE_ZNSN_ISO_Lb0ESQ_SR_SQ_SR_SV_EESW_SX_SY_SZ_S13_S14_S15_S18_S19_jS1A_jS1B_S1B_jjS1D_bEUljE0_EEESW_SX_SY_S15_S19_S1B_T6_T7_T9_mT8_S1D_bDpT10_ENKUlT_T0_E_clISt17integral_constantIbLb0EES1Q_IbLb1EEEEDaS1M_S1N_EUlS1M_E_NS1_11comp_targetILNS1_3genE0ELNS1_11target_archE4294967295ELNS1_3gpuE0ELNS1_3repE0EEENS1_30default_config_static_selectorELNS0_4arch9wavefront6targetE0EEEvSZ_,comdat
.Lfunc_end763:
	.size	_ZN7rocprim17ROCPRIM_400000_NS6detail17trampoline_kernelINS0_13select_configILj256ELj13ELNS0_17block_load_methodE3ELS4_3ELS4_3ELNS0_20block_scan_algorithmE0ELj4294967295EEENS1_25partition_config_selectorILNS1_17partition_subalgoE4EjNS0_10empty_typeEbEEZZNS1_14partition_implILS8_4ELb0ES6_15HIP_vector_typeIjLj2EENS0_17counting_iteratorIjlEEPS9_SG_NS0_5tupleIJPjSI_NS0_16reverse_iteratorISI_EEEEENSH_IJSG_SG_SG_EEES9_SI_JZNS1_25segmented_radix_sort_implINS0_14default_configELb0EPKlPlSQ_SR_N2at6native12_GLOBAL__N_18offset_tEEE10hipError_tPvRmT1_PNSt15iterator_traitsISZ_E10value_typeET2_T3_PNS10_IS15_E10value_typeET4_jRbjT5_S1B_jjP12ihipStream_tbEUljE_ZNSN_ISO_Lb0ESQ_SR_SQ_SR_SV_EESW_SX_SY_SZ_S13_S14_S15_S18_S19_jS1A_jS1B_S1B_jjS1D_bEUljE0_EEESW_SX_SY_S15_S19_S1B_T6_T7_T9_mT8_S1D_bDpT10_ENKUlT_T0_E_clISt17integral_constantIbLb0EES1Q_IbLb1EEEEDaS1M_S1N_EUlS1M_E_NS1_11comp_targetILNS1_3genE0ELNS1_11target_archE4294967295ELNS1_3gpuE0ELNS1_3repE0EEENS1_30default_config_static_selectorELNS0_4arch9wavefront6targetE0EEEvSZ_, .Lfunc_end763-_ZN7rocprim17ROCPRIM_400000_NS6detail17trampoline_kernelINS0_13select_configILj256ELj13ELNS0_17block_load_methodE3ELS4_3ELS4_3ELNS0_20block_scan_algorithmE0ELj4294967295EEENS1_25partition_config_selectorILNS1_17partition_subalgoE4EjNS0_10empty_typeEbEEZZNS1_14partition_implILS8_4ELb0ES6_15HIP_vector_typeIjLj2EENS0_17counting_iteratorIjlEEPS9_SG_NS0_5tupleIJPjSI_NS0_16reverse_iteratorISI_EEEEENSH_IJSG_SG_SG_EEES9_SI_JZNS1_25segmented_radix_sort_implINS0_14default_configELb0EPKlPlSQ_SR_N2at6native12_GLOBAL__N_18offset_tEEE10hipError_tPvRmT1_PNSt15iterator_traitsISZ_E10value_typeET2_T3_PNS10_IS15_E10value_typeET4_jRbjT5_S1B_jjP12ihipStream_tbEUljE_ZNSN_ISO_Lb0ESQ_SR_SQ_SR_SV_EESW_SX_SY_SZ_S13_S14_S15_S18_S19_jS1A_jS1B_S1B_jjS1D_bEUljE0_EEESW_SX_SY_S15_S19_S1B_T6_T7_T9_mT8_S1D_bDpT10_ENKUlT_T0_E_clISt17integral_constantIbLb0EES1Q_IbLb1EEEEDaS1M_S1N_EUlS1M_E_NS1_11comp_targetILNS1_3genE0ELNS1_11target_archE4294967295ELNS1_3gpuE0ELNS1_3repE0EEENS1_30default_config_static_selectorELNS0_4arch9wavefront6targetE0EEEvSZ_
                                        ; -- End function
	.set _ZN7rocprim17ROCPRIM_400000_NS6detail17trampoline_kernelINS0_13select_configILj256ELj13ELNS0_17block_load_methodE3ELS4_3ELS4_3ELNS0_20block_scan_algorithmE0ELj4294967295EEENS1_25partition_config_selectorILNS1_17partition_subalgoE4EjNS0_10empty_typeEbEEZZNS1_14partition_implILS8_4ELb0ES6_15HIP_vector_typeIjLj2EENS0_17counting_iteratorIjlEEPS9_SG_NS0_5tupleIJPjSI_NS0_16reverse_iteratorISI_EEEEENSH_IJSG_SG_SG_EEES9_SI_JZNS1_25segmented_radix_sort_implINS0_14default_configELb0EPKlPlSQ_SR_N2at6native12_GLOBAL__N_18offset_tEEE10hipError_tPvRmT1_PNSt15iterator_traitsISZ_E10value_typeET2_T3_PNS10_IS15_E10value_typeET4_jRbjT5_S1B_jjP12ihipStream_tbEUljE_ZNSN_ISO_Lb0ESQ_SR_SQ_SR_SV_EESW_SX_SY_SZ_S13_S14_S15_S18_S19_jS1A_jS1B_S1B_jjS1D_bEUljE0_EEESW_SX_SY_S15_S19_S1B_T6_T7_T9_mT8_S1D_bDpT10_ENKUlT_T0_E_clISt17integral_constantIbLb0EES1Q_IbLb1EEEEDaS1M_S1N_EUlS1M_E_NS1_11comp_targetILNS1_3genE0ELNS1_11target_archE4294967295ELNS1_3gpuE0ELNS1_3repE0EEENS1_30default_config_static_selectorELNS0_4arch9wavefront6targetE0EEEvSZ_.num_vgpr, 86
	.set _ZN7rocprim17ROCPRIM_400000_NS6detail17trampoline_kernelINS0_13select_configILj256ELj13ELNS0_17block_load_methodE3ELS4_3ELS4_3ELNS0_20block_scan_algorithmE0ELj4294967295EEENS1_25partition_config_selectorILNS1_17partition_subalgoE4EjNS0_10empty_typeEbEEZZNS1_14partition_implILS8_4ELb0ES6_15HIP_vector_typeIjLj2EENS0_17counting_iteratorIjlEEPS9_SG_NS0_5tupleIJPjSI_NS0_16reverse_iteratorISI_EEEEENSH_IJSG_SG_SG_EEES9_SI_JZNS1_25segmented_radix_sort_implINS0_14default_configELb0EPKlPlSQ_SR_N2at6native12_GLOBAL__N_18offset_tEEE10hipError_tPvRmT1_PNSt15iterator_traitsISZ_E10value_typeET2_T3_PNS10_IS15_E10value_typeET4_jRbjT5_S1B_jjP12ihipStream_tbEUljE_ZNSN_ISO_Lb0ESQ_SR_SQ_SR_SV_EESW_SX_SY_SZ_S13_S14_S15_S18_S19_jS1A_jS1B_S1B_jjS1D_bEUljE0_EEESW_SX_SY_S15_S19_S1B_T6_T7_T9_mT8_S1D_bDpT10_ENKUlT_T0_E_clISt17integral_constantIbLb0EES1Q_IbLb1EEEEDaS1M_S1N_EUlS1M_E_NS1_11comp_targetILNS1_3genE0ELNS1_11target_archE4294967295ELNS1_3gpuE0ELNS1_3repE0EEENS1_30default_config_static_selectorELNS0_4arch9wavefront6targetE0EEEvSZ_.num_agpr, 0
	.set _ZN7rocprim17ROCPRIM_400000_NS6detail17trampoline_kernelINS0_13select_configILj256ELj13ELNS0_17block_load_methodE3ELS4_3ELS4_3ELNS0_20block_scan_algorithmE0ELj4294967295EEENS1_25partition_config_selectorILNS1_17partition_subalgoE4EjNS0_10empty_typeEbEEZZNS1_14partition_implILS8_4ELb0ES6_15HIP_vector_typeIjLj2EENS0_17counting_iteratorIjlEEPS9_SG_NS0_5tupleIJPjSI_NS0_16reverse_iteratorISI_EEEEENSH_IJSG_SG_SG_EEES9_SI_JZNS1_25segmented_radix_sort_implINS0_14default_configELb0EPKlPlSQ_SR_N2at6native12_GLOBAL__N_18offset_tEEE10hipError_tPvRmT1_PNSt15iterator_traitsISZ_E10value_typeET2_T3_PNS10_IS15_E10value_typeET4_jRbjT5_S1B_jjP12ihipStream_tbEUljE_ZNSN_ISO_Lb0ESQ_SR_SQ_SR_SV_EESW_SX_SY_SZ_S13_S14_S15_S18_S19_jS1A_jS1B_S1B_jjS1D_bEUljE0_EEESW_SX_SY_S15_S19_S1B_T6_T7_T9_mT8_S1D_bDpT10_ENKUlT_T0_E_clISt17integral_constantIbLb0EES1Q_IbLb1EEEEDaS1M_S1N_EUlS1M_E_NS1_11comp_targetILNS1_3genE0ELNS1_11target_archE4294967295ELNS1_3gpuE0ELNS1_3repE0EEENS1_30default_config_static_selectorELNS0_4arch9wavefront6targetE0EEEvSZ_.numbered_sgpr, 55
	.set _ZN7rocprim17ROCPRIM_400000_NS6detail17trampoline_kernelINS0_13select_configILj256ELj13ELNS0_17block_load_methodE3ELS4_3ELS4_3ELNS0_20block_scan_algorithmE0ELj4294967295EEENS1_25partition_config_selectorILNS1_17partition_subalgoE4EjNS0_10empty_typeEbEEZZNS1_14partition_implILS8_4ELb0ES6_15HIP_vector_typeIjLj2EENS0_17counting_iteratorIjlEEPS9_SG_NS0_5tupleIJPjSI_NS0_16reverse_iteratorISI_EEEEENSH_IJSG_SG_SG_EEES9_SI_JZNS1_25segmented_radix_sort_implINS0_14default_configELb0EPKlPlSQ_SR_N2at6native12_GLOBAL__N_18offset_tEEE10hipError_tPvRmT1_PNSt15iterator_traitsISZ_E10value_typeET2_T3_PNS10_IS15_E10value_typeET4_jRbjT5_S1B_jjP12ihipStream_tbEUljE_ZNSN_ISO_Lb0ESQ_SR_SQ_SR_SV_EESW_SX_SY_SZ_S13_S14_S15_S18_S19_jS1A_jS1B_S1B_jjS1D_bEUljE0_EEESW_SX_SY_S15_S19_S1B_T6_T7_T9_mT8_S1D_bDpT10_ENKUlT_T0_E_clISt17integral_constantIbLb0EES1Q_IbLb1EEEEDaS1M_S1N_EUlS1M_E_NS1_11comp_targetILNS1_3genE0ELNS1_11target_archE4294967295ELNS1_3gpuE0ELNS1_3repE0EEENS1_30default_config_static_selectorELNS0_4arch9wavefront6targetE0EEEvSZ_.num_named_barrier, 0
	.set _ZN7rocprim17ROCPRIM_400000_NS6detail17trampoline_kernelINS0_13select_configILj256ELj13ELNS0_17block_load_methodE3ELS4_3ELS4_3ELNS0_20block_scan_algorithmE0ELj4294967295EEENS1_25partition_config_selectorILNS1_17partition_subalgoE4EjNS0_10empty_typeEbEEZZNS1_14partition_implILS8_4ELb0ES6_15HIP_vector_typeIjLj2EENS0_17counting_iteratorIjlEEPS9_SG_NS0_5tupleIJPjSI_NS0_16reverse_iteratorISI_EEEEENSH_IJSG_SG_SG_EEES9_SI_JZNS1_25segmented_radix_sort_implINS0_14default_configELb0EPKlPlSQ_SR_N2at6native12_GLOBAL__N_18offset_tEEE10hipError_tPvRmT1_PNSt15iterator_traitsISZ_E10value_typeET2_T3_PNS10_IS15_E10value_typeET4_jRbjT5_S1B_jjP12ihipStream_tbEUljE_ZNSN_ISO_Lb0ESQ_SR_SQ_SR_SV_EESW_SX_SY_SZ_S13_S14_S15_S18_S19_jS1A_jS1B_S1B_jjS1D_bEUljE0_EEESW_SX_SY_S15_S19_S1B_T6_T7_T9_mT8_S1D_bDpT10_ENKUlT_T0_E_clISt17integral_constantIbLb0EES1Q_IbLb1EEEEDaS1M_S1N_EUlS1M_E_NS1_11comp_targetILNS1_3genE0ELNS1_11target_archE4294967295ELNS1_3gpuE0ELNS1_3repE0EEENS1_30default_config_static_selectorELNS0_4arch9wavefront6targetE0EEEvSZ_.private_seg_size, 0
	.set _ZN7rocprim17ROCPRIM_400000_NS6detail17trampoline_kernelINS0_13select_configILj256ELj13ELNS0_17block_load_methodE3ELS4_3ELS4_3ELNS0_20block_scan_algorithmE0ELj4294967295EEENS1_25partition_config_selectorILNS1_17partition_subalgoE4EjNS0_10empty_typeEbEEZZNS1_14partition_implILS8_4ELb0ES6_15HIP_vector_typeIjLj2EENS0_17counting_iteratorIjlEEPS9_SG_NS0_5tupleIJPjSI_NS0_16reverse_iteratorISI_EEEEENSH_IJSG_SG_SG_EEES9_SI_JZNS1_25segmented_radix_sort_implINS0_14default_configELb0EPKlPlSQ_SR_N2at6native12_GLOBAL__N_18offset_tEEE10hipError_tPvRmT1_PNSt15iterator_traitsISZ_E10value_typeET2_T3_PNS10_IS15_E10value_typeET4_jRbjT5_S1B_jjP12ihipStream_tbEUljE_ZNSN_ISO_Lb0ESQ_SR_SQ_SR_SV_EESW_SX_SY_SZ_S13_S14_S15_S18_S19_jS1A_jS1B_S1B_jjS1D_bEUljE0_EEESW_SX_SY_S15_S19_S1B_T6_T7_T9_mT8_S1D_bDpT10_ENKUlT_T0_E_clISt17integral_constantIbLb0EES1Q_IbLb1EEEEDaS1M_S1N_EUlS1M_E_NS1_11comp_targetILNS1_3genE0ELNS1_11target_archE4294967295ELNS1_3gpuE0ELNS1_3repE0EEENS1_30default_config_static_selectorELNS0_4arch9wavefront6targetE0EEEvSZ_.uses_vcc, 1
	.set _ZN7rocprim17ROCPRIM_400000_NS6detail17trampoline_kernelINS0_13select_configILj256ELj13ELNS0_17block_load_methodE3ELS4_3ELS4_3ELNS0_20block_scan_algorithmE0ELj4294967295EEENS1_25partition_config_selectorILNS1_17partition_subalgoE4EjNS0_10empty_typeEbEEZZNS1_14partition_implILS8_4ELb0ES6_15HIP_vector_typeIjLj2EENS0_17counting_iteratorIjlEEPS9_SG_NS0_5tupleIJPjSI_NS0_16reverse_iteratorISI_EEEEENSH_IJSG_SG_SG_EEES9_SI_JZNS1_25segmented_radix_sort_implINS0_14default_configELb0EPKlPlSQ_SR_N2at6native12_GLOBAL__N_18offset_tEEE10hipError_tPvRmT1_PNSt15iterator_traitsISZ_E10value_typeET2_T3_PNS10_IS15_E10value_typeET4_jRbjT5_S1B_jjP12ihipStream_tbEUljE_ZNSN_ISO_Lb0ESQ_SR_SQ_SR_SV_EESW_SX_SY_SZ_S13_S14_S15_S18_S19_jS1A_jS1B_S1B_jjS1D_bEUljE0_EEESW_SX_SY_S15_S19_S1B_T6_T7_T9_mT8_S1D_bDpT10_ENKUlT_T0_E_clISt17integral_constantIbLb0EES1Q_IbLb1EEEEDaS1M_S1N_EUlS1M_E_NS1_11comp_targetILNS1_3genE0ELNS1_11target_archE4294967295ELNS1_3gpuE0ELNS1_3repE0EEENS1_30default_config_static_selectorELNS0_4arch9wavefront6targetE0EEEvSZ_.uses_flat_scratch, 0
	.set _ZN7rocprim17ROCPRIM_400000_NS6detail17trampoline_kernelINS0_13select_configILj256ELj13ELNS0_17block_load_methodE3ELS4_3ELS4_3ELNS0_20block_scan_algorithmE0ELj4294967295EEENS1_25partition_config_selectorILNS1_17partition_subalgoE4EjNS0_10empty_typeEbEEZZNS1_14partition_implILS8_4ELb0ES6_15HIP_vector_typeIjLj2EENS0_17counting_iteratorIjlEEPS9_SG_NS0_5tupleIJPjSI_NS0_16reverse_iteratorISI_EEEEENSH_IJSG_SG_SG_EEES9_SI_JZNS1_25segmented_radix_sort_implINS0_14default_configELb0EPKlPlSQ_SR_N2at6native12_GLOBAL__N_18offset_tEEE10hipError_tPvRmT1_PNSt15iterator_traitsISZ_E10value_typeET2_T3_PNS10_IS15_E10value_typeET4_jRbjT5_S1B_jjP12ihipStream_tbEUljE_ZNSN_ISO_Lb0ESQ_SR_SQ_SR_SV_EESW_SX_SY_SZ_S13_S14_S15_S18_S19_jS1A_jS1B_S1B_jjS1D_bEUljE0_EEESW_SX_SY_S15_S19_S1B_T6_T7_T9_mT8_S1D_bDpT10_ENKUlT_T0_E_clISt17integral_constantIbLb0EES1Q_IbLb1EEEEDaS1M_S1N_EUlS1M_E_NS1_11comp_targetILNS1_3genE0ELNS1_11target_archE4294967295ELNS1_3gpuE0ELNS1_3repE0EEENS1_30default_config_static_selectorELNS0_4arch9wavefront6targetE0EEEvSZ_.has_dyn_sized_stack, 0
	.set _ZN7rocprim17ROCPRIM_400000_NS6detail17trampoline_kernelINS0_13select_configILj256ELj13ELNS0_17block_load_methodE3ELS4_3ELS4_3ELNS0_20block_scan_algorithmE0ELj4294967295EEENS1_25partition_config_selectorILNS1_17partition_subalgoE4EjNS0_10empty_typeEbEEZZNS1_14partition_implILS8_4ELb0ES6_15HIP_vector_typeIjLj2EENS0_17counting_iteratorIjlEEPS9_SG_NS0_5tupleIJPjSI_NS0_16reverse_iteratorISI_EEEEENSH_IJSG_SG_SG_EEES9_SI_JZNS1_25segmented_radix_sort_implINS0_14default_configELb0EPKlPlSQ_SR_N2at6native12_GLOBAL__N_18offset_tEEE10hipError_tPvRmT1_PNSt15iterator_traitsISZ_E10value_typeET2_T3_PNS10_IS15_E10value_typeET4_jRbjT5_S1B_jjP12ihipStream_tbEUljE_ZNSN_ISO_Lb0ESQ_SR_SQ_SR_SV_EESW_SX_SY_SZ_S13_S14_S15_S18_S19_jS1A_jS1B_S1B_jjS1D_bEUljE0_EEESW_SX_SY_S15_S19_S1B_T6_T7_T9_mT8_S1D_bDpT10_ENKUlT_T0_E_clISt17integral_constantIbLb0EES1Q_IbLb1EEEEDaS1M_S1N_EUlS1M_E_NS1_11comp_targetILNS1_3genE0ELNS1_11target_archE4294967295ELNS1_3gpuE0ELNS1_3repE0EEENS1_30default_config_static_selectorELNS0_4arch9wavefront6targetE0EEEvSZ_.has_recursion, 0
	.set _ZN7rocprim17ROCPRIM_400000_NS6detail17trampoline_kernelINS0_13select_configILj256ELj13ELNS0_17block_load_methodE3ELS4_3ELS4_3ELNS0_20block_scan_algorithmE0ELj4294967295EEENS1_25partition_config_selectorILNS1_17partition_subalgoE4EjNS0_10empty_typeEbEEZZNS1_14partition_implILS8_4ELb0ES6_15HIP_vector_typeIjLj2EENS0_17counting_iteratorIjlEEPS9_SG_NS0_5tupleIJPjSI_NS0_16reverse_iteratorISI_EEEEENSH_IJSG_SG_SG_EEES9_SI_JZNS1_25segmented_radix_sort_implINS0_14default_configELb0EPKlPlSQ_SR_N2at6native12_GLOBAL__N_18offset_tEEE10hipError_tPvRmT1_PNSt15iterator_traitsISZ_E10value_typeET2_T3_PNS10_IS15_E10value_typeET4_jRbjT5_S1B_jjP12ihipStream_tbEUljE_ZNSN_ISO_Lb0ESQ_SR_SQ_SR_SV_EESW_SX_SY_SZ_S13_S14_S15_S18_S19_jS1A_jS1B_S1B_jjS1D_bEUljE0_EEESW_SX_SY_S15_S19_S1B_T6_T7_T9_mT8_S1D_bDpT10_ENKUlT_T0_E_clISt17integral_constantIbLb0EES1Q_IbLb1EEEEDaS1M_S1N_EUlS1M_E_NS1_11comp_targetILNS1_3genE0ELNS1_11target_archE4294967295ELNS1_3gpuE0ELNS1_3repE0EEENS1_30default_config_static_selectorELNS0_4arch9wavefront6targetE0EEEvSZ_.has_indirect_call, 0
	.section	.AMDGPU.csdata,"",@progbits
; Kernel info:
; codeLenInByte = 17828
; TotalNumSgprs: 57
; NumVgprs: 86
; ScratchSize: 0
; MemoryBound: 0
; FloatMode: 240
; IeeeMode: 1
; LDSByteSize: 13328 bytes/workgroup (compile time only)
; SGPRBlocks: 0
; VGPRBlocks: 5
; NumSGPRsForWavesPerEU: 57
; NumVGPRsForWavesPerEU: 86
; NamedBarCnt: 0
; Occupancy: 10
; WaveLimiterHint : 1
; COMPUTE_PGM_RSRC2:SCRATCH_EN: 0
; COMPUTE_PGM_RSRC2:USER_SGPR: 2
; COMPUTE_PGM_RSRC2:TRAP_HANDLER: 0
; COMPUTE_PGM_RSRC2:TGID_X_EN: 1
; COMPUTE_PGM_RSRC2:TGID_Y_EN: 0
; COMPUTE_PGM_RSRC2:TGID_Z_EN: 0
; COMPUTE_PGM_RSRC2:TIDIG_COMP_CNT: 0
	.section	.text._ZN7rocprim17ROCPRIM_400000_NS6detail17trampoline_kernelINS0_13select_configILj256ELj13ELNS0_17block_load_methodE3ELS4_3ELS4_3ELNS0_20block_scan_algorithmE0ELj4294967295EEENS1_25partition_config_selectorILNS1_17partition_subalgoE4EjNS0_10empty_typeEbEEZZNS1_14partition_implILS8_4ELb0ES6_15HIP_vector_typeIjLj2EENS0_17counting_iteratorIjlEEPS9_SG_NS0_5tupleIJPjSI_NS0_16reverse_iteratorISI_EEEEENSH_IJSG_SG_SG_EEES9_SI_JZNS1_25segmented_radix_sort_implINS0_14default_configELb0EPKlPlSQ_SR_N2at6native12_GLOBAL__N_18offset_tEEE10hipError_tPvRmT1_PNSt15iterator_traitsISZ_E10value_typeET2_T3_PNS10_IS15_E10value_typeET4_jRbjT5_S1B_jjP12ihipStream_tbEUljE_ZNSN_ISO_Lb0ESQ_SR_SQ_SR_SV_EESW_SX_SY_SZ_S13_S14_S15_S18_S19_jS1A_jS1B_S1B_jjS1D_bEUljE0_EEESW_SX_SY_S15_S19_S1B_T6_T7_T9_mT8_S1D_bDpT10_ENKUlT_T0_E_clISt17integral_constantIbLb0EES1Q_IbLb1EEEEDaS1M_S1N_EUlS1M_E_NS1_11comp_targetILNS1_3genE5ELNS1_11target_archE942ELNS1_3gpuE9ELNS1_3repE0EEENS1_30default_config_static_selectorELNS0_4arch9wavefront6targetE0EEEvSZ_,"axG",@progbits,_ZN7rocprim17ROCPRIM_400000_NS6detail17trampoline_kernelINS0_13select_configILj256ELj13ELNS0_17block_load_methodE3ELS4_3ELS4_3ELNS0_20block_scan_algorithmE0ELj4294967295EEENS1_25partition_config_selectorILNS1_17partition_subalgoE4EjNS0_10empty_typeEbEEZZNS1_14partition_implILS8_4ELb0ES6_15HIP_vector_typeIjLj2EENS0_17counting_iteratorIjlEEPS9_SG_NS0_5tupleIJPjSI_NS0_16reverse_iteratorISI_EEEEENSH_IJSG_SG_SG_EEES9_SI_JZNS1_25segmented_radix_sort_implINS0_14default_configELb0EPKlPlSQ_SR_N2at6native12_GLOBAL__N_18offset_tEEE10hipError_tPvRmT1_PNSt15iterator_traitsISZ_E10value_typeET2_T3_PNS10_IS15_E10value_typeET4_jRbjT5_S1B_jjP12ihipStream_tbEUljE_ZNSN_ISO_Lb0ESQ_SR_SQ_SR_SV_EESW_SX_SY_SZ_S13_S14_S15_S18_S19_jS1A_jS1B_S1B_jjS1D_bEUljE0_EEESW_SX_SY_S15_S19_S1B_T6_T7_T9_mT8_S1D_bDpT10_ENKUlT_T0_E_clISt17integral_constantIbLb0EES1Q_IbLb1EEEEDaS1M_S1N_EUlS1M_E_NS1_11comp_targetILNS1_3genE5ELNS1_11target_archE942ELNS1_3gpuE9ELNS1_3repE0EEENS1_30default_config_static_selectorELNS0_4arch9wavefront6targetE0EEEvSZ_,comdat
	.globl	_ZN7rocprim17ROCPRIM_400000_NS6detail17trampoline_kernelINS0_13select_configILj256ELj13ELNS0_17block_load_methodE3ELS4_3ELS4_3ELNS0_20block_scan_algorithmE0ELj4294967295EEENS1_25partition_config_selectorILNS1_17partition_subalgoE4EjNS0_10empty_typeEbEEZZNS1_14partition_implILS8_4ELb0ES6_15HIP_vector_typeIjLj2EENS0_17counting_iteratorIjlEEPS9_SG_NS0_5tupleIJPjSI_NS0_16reverse_iteratorISI_EEEEENSH_IJSG_SG_SG_EEES9_SI_JZNS1_25segmented_radix_sort_implINS0_14default_configELb0EPKlPlSQ_SR_N2at6native12_GLOBAL__N_18offset_tEEE10hipError_tPvRmT1_PNSt15iterator_traitsISZ_E10value_typeET2_T3_PNS10_IS15_E10value_typeET4_jRbjT5_S1B_jjP12ihipStream_tbEUljE_ZNSN_ISO_Lb0ESQ_SR_SQ_SR_SV_EESW_SX_SY_SZ_S13_S14_S15_S18_S19_jS1A_jS1B_S1B_jjS1D_bEUljE0_EEESW_SX_SY_S15_S19_S1B_T6_T7_T9_mT8_S1D_bDpT10_ENKUlT_T0_E_clISt17integral_constantIbLb0EES1Q_IbLb1EEEEDaS1M_S1N_EUlS1M_E_NS1_11comp_targetILNS1_3genE5ELNS1_11target_archE942ELNS1_3gpuE9ELNS1_3repE0EEENS1_30default_config_static_selectorELNS0_4arch9wavefront6targetE0EEEvSZ_ ; -- Begin function _ZN7rocprim17ROCPRIM_400000_NS6detail17trampoline_kernelINS0_13select_configILj256ELj13ELNS0_17block_load_methodE3ELS4_3ELS4_3ELNS0_20block_scan_algorithmE0ELj4294967295EEENS1_25partition_config_selectorILNS1_17partition_subalgoE4EjNS0_10empty_typeEbEEZZNS1_14partition_implILS8_4ELb0ES6_15HIP_vector_typeIjLj2EENS0_17counting_iteratorIjlEEPS9_SG_NS0_5tupleIJPjSI_NS0_16reverse_iteratorISI_EEEEENSH_IJSG_SG_SG_EEES9_SI_JZNS1_25segmented_radix_sort_implINS0_14default_configELb0EPKlPlSQ_SR_N2at6native12_GLOBAL__N_18offset_tEEE10hipError_tPvRmT1_PNSt15iterator_traitsISZ_E10value_typeET2_T3_PNS10_IS15_E10value_typeET4_jRbjT5_S1B_jjP12ihipStream_tbEUljE_ZNSN_ISO_Lb0ESQ_SR_SQ_SR_SV_EESW_SX_SY_SZ_S13_S14_S15_S18_S19_jS1A_jS1B_S1B_jjS1D_bEUljE0_EEESW_SX_SY_S15_S19_S1B_T6_T7_T9_mT8_S1D_bDpT10_ENKUlT_T0_E_clISt17integral_constantIbLb0EES1Q_IbLb1EEEEDaS1M_S1N_EUlS1M_E_NS1_11comp_targetILNS1_3genE5ELNS1_11target_archE942ELNS1_3gpuE9ELNS1_3repE0EEENS1_30default_config_static_selectorELNS0_4arch9wavefront6targetE0EEEvSZ_
	.p2align	8
	.type	_ZN7rocprim17ROCPRIM_400000_NS6detail17trampoline_kernelINS0_13select_configILj256ELj13ELNS0_17block_load_methodE3ELS4_3ELS4_3ELNS0_20block_scan_algorithmE0ELj4294967295EEENS1_25partition_config_selectorILNS1_17partition_subalgoE4EjNS0_10empty_typeEbEEZZNS1_14partition_implILS8_4ELb0ES6_15HIP_vector_typeIjLj2EENS0_17counting_iteratorIjlEEPS9_SG_NS0_5tupleIJPjSI_NS0_16reverse_iteratorISI_EEEEENSH_IJSG_SG_SG_EEES9_SI_JZNS1_25segmented_radix_sort_implINS0_14default_configELb0EPKlPlSQ_SR_N2at6native12_GLOBAL__N_18offset_tEEE10hipError_tPvRmT1_PNSt15iterator_traitsISZ_E10value_typeET2_T3_PNS10_IS15_E10value_typeET4_jRbjT5_S1B_jjP12ihipStream_tbEUljE_ZNSN_ISO_Lb0ESQ_SR_SQ_SR_SV_EESW_SX_SY_SZ_S13_S14_S15_S18_S19_jS1A_jS1B_S1B_jjS1D_bEUljE0_EEESW_SX_SY_S15_S19_S1B_T6_T7_T9_mT8_S1D_bDpT10_ENKUlT_T0_E_clISt17integral_constantIbLb0EES1Q_IbLb1EEEEDaS1M_S1N_EUlS1M_E_NS1_11comp_targetILNS1_3genE5ELNS1_11target_archE942ELNS1_3gpuE9ELNS1_3repE0EEENS1_30default_config_static_selectorELNS0_4arch9wavefront6targetE0EEEvSZ_,@function
_ZN7rocprim17ROCPRIM_400000_NS6detail17trampoline_kernelINS0_13select_configILj256ELj13ELNS0_17block_load_methodE3ELS4_3ELS4_3ELNS0_20block_scan_algorithmE0ELj4294967295EEENS1_25partition_config_selectorILNS1_17partition_subalgoE4EjNS0_10empty_typeEbEEZZNS1_14partition_implILS8_4ELb0ES6_15HIP_vector_typeIjLj2EENS0_17counting_iteratorIjlEEPS9_SG_NS0_5tupleIJPjSI_NS0_16reverse_iteratorISI_EEEEENSH_IJSG_SG_SG_EEES9_SI_JZNS1_25segmented_radix_sort_implINS0_14default_configELb0EPKlPlSQ_SR_N2at6native12_GLOBAL__N_18offset_tEEE10hipError_tPvRmT1_PNSt15iterator_traitsISZ_E10value_typeET2_T3_PNS10_IS15_E10value_typeET4_jRbjT5_S1B_jjP12ihipStream_tbEUljE_ZNSN_ISO_Lb0ESQ_SR_SQ_SR_SV_EESW_SX_SY_SZ_S13_S14_S15_S18_S19_jS1A_jS1B_S1B_jjS1D_bEUljE0_EEESW_SX_SY_S15_S19_S1B_T6_T7_T9_mT8_S1D_bDpT10_ENKUlT_T0_E_clISt17integral_constantIbLb0EES1Q_IbLb1EEEEDaS1M_S1N_EUlS1M_E_NS1_11comp_targetILNS1_3genE5ELNS1_11target_archE942ELNS1_3gpuE9ELNS1_3repE0EEENS1_30default_config_static_selectorELNS0_4arch9wavefront6targetE0EEEvSZ_: ; @_ZN7rocprim17ROCPRIM_400000_NS6detail17trampoline_kernelINS0_13select_configILj256ELj13ELNS0_17block_load_methodE3ELS4_3ELS4_3ELNS0_20block_scan_algorithmE0ELj4294967295EEENS1_25partition_config_selectorILNS1_17partition_subalgoE4EjNS0_10empty_typeEbEEZZNS1_14partition_implILS8_4ELb0ES6_15HIP_vector_typeIjLj2EENS0_17counting_iteratorIjlEEPS9_SG_NS0_5tupleIJPjSI_NS0_16reverse_iteratorISI_EEEEENSH_IJSG_SG_SG_EEES9_SI_JZNS1_25segmented_radix_sort_implINS0_14default_configELb0EPKlPlSQ_SR_N2at6native12_GLOBAL__N_18offset_tEEE10hipError_tPvRmT1_PNSt15iterator_traitsISZ_E10value_typeET2_T3_PNS10_IS15_E10value_typeET4_jRbjT5_S1B_jjP12ihipStream_tbEUljE_ZNSN_ISO_Lb0ESQ_SR_SQ_SR_SV_EESW_SX_SY_SZ_S13_S14_S15_S18_S19_jS1A_jS1B_S1B_jjS1D_bEUljE0_EEESW_SX_SY_S15_S19_S1B_T6_T7_T9_mT8_S1D_bDpT10_ENKUlT_T0_E_clISt17integral_constantIbLb0EES1Q_IbLb1EEEEDaS1M_S1N_EUlS1M_E_NS1_11comp_targetILNS1_3genE5ELNS1_11target_archE942ELNS1_3gpuE9ELNS1_3repE0EEENS1_30default_config_static_selectorELNS0_4arch9wavefront6targetE0EEEvSZ_
; %bb.0:
	.section	.rodata,"a",@progbits
	.p2align	6, 0x0
	.amdhsa_kernel _ZN7rocprim17ROCPRIM_400000_NS6detail17trampoline_kernelINS0_13select_configILj256ELj13ELNS0_17block_load_methodE3ELS4_3ELS4_3ELNS0_20block_scan_algorithmE0ELj4294967295EEENS1_25partition_config_selectorILNS1_17partition_subalgoE4EjNS0_10empty_typeEbEEZZNS1_14partition_implILS8_4ELb0ES6_15HIP_vector_typeIjLj2EENS0_17counting_iteratorIjlEEPS9_SG_NS0_5tupleIJPjSI_NS0_16reverse_iteratorISI_EEEEENSH_IJSG_SG_SG_EEES9_SI_JZNS1_25segmented_radix_sort_implINS0_14default_configELb0EPKlPlSQ_SR_N2at6native12_GLOBAL__N_18offset_tEEE10hipError_tPvRmT1_PNSt15iterator_traitsISZ_E10value_typeET2_T3_PNS10_IS15_E10value_typeET4_jRbjT5_S1B_jjP12ihipStream_tbEUljE_ZNSN_ISO_Lb0ESQ_SR_SQ_SR_SV_EESW_SX_SY_SZ_S13_S14_S15_S18_S19_jS1A_jS1B_S1B_jjS1D_bEUljE0_EEESW_SX_SY_S15_S19_S1B_T6_T7_T9_mT8_S1D_bDpT10_ENKUlT_T0_E_clISt17integral_constantIbLb0EES1Q_IbLb1EEEEDaS1M_S1N_EUlS1M_E_NS1_11comp_targetILNS1_3genE5ELNS1_11target_archE942ELNS1_3gpuE9ELNS1_3repE0EEENS1_30default_config_static_selectorELNS0_4arch9wavefront6targetE0EEEvSZ_
		.amdhsa_group_segment_fixed_size 0
		.amdhsa_private_segment_fixed_size 0
		.amdhsa_kernarg_size 184
		.amdhsa_user_sgpr_count 2
		.amdhsa_user_sgpr_dispatch_ptr 0
		.amdhsa_user_sgpr_queue_ptr 0
		.amdhsa_user_sgpr_kernarg_segment_ptr 1
		.amdhsa_user_sgpr_dispatch_id 0
		.amdhsa_user_sgpr_kernarg_preload_length 0
		.amdhsa_user_sgpr_kernarg_preload_offset 0
		.amdhsa_user_sgpr_private_segment_size 0
		.amdhsa_wavefront_size32 1
		.amdhsa_uses_dynamic_stack 0
		.amdhsa_enable_private_segment 0
		.amdhsa_system_sgpr_workgroup_id_x 1
		.amdhsa_system_sgpr_workgroup_id_y 0
		.amdhsa_system_sgpr_workgroup_id_z 0
		.amdhsa_system_sgpr_workgroup_info 0
		.amdhsa_system_vgpr_workitem_id 0
		.amdhsa_next_free_vgpr 1
		.amdhsa_next_free_sgpr 1
		.amdhsa_named_barrier_count 0
		.amdhsa_reserve_vcc 0
		.amdhsa_float_round_mode_32 0
		.amdhsa_float_round_mode_16_64 0
		.amdhsa_float_denorm_mode_32 3
		.amdhsa_float_denorm_mode_16_64 3
		.amdhsa_fp16_overflow 0
		.amdhsa_memory_ordered 1
		.amdhsa_forward_progress 1
		.amdhsa_inst_pref_size 0
		.amdhsa_round_robin_scheduling 0
		.amdhsa_exception_fp_ieee_invalid_op 0
		.amdhsa_exception_fp_denorm_src 0
		.amdhsa_exception_fp_ieee_div_zero 0
		.amdhsa_exception_fp_ieee_overflow 0
		.amdhsa_exception_fp_ieee_underflow 0
		.amdhsa_exception_fp_ieee_inexact 0
		.amdhsa_exception_int_div_zero 0
	.end_amdhsa_kernel
	.section	.text._ZN7rocprim17ROCPRIM_400000_NS6detail17trampoline_kernelINS0_13select_configILj256ELj13ELNS0_17block_load_methodE3ELS4_3ELS4_3ELNS0_20block_scan_algorithmE0ELj4294967295EEENS1_25partition_config_selectorILNS1_17partition_subalgoE4EjNS0_10empty_typeEbEEZZNS1_14partition_implILS8_4ELb0ES6_15HIP_vector_typeIjLj2EENS0_17counting_iteratorIjlEEPS9_SG_NS0_5tupleIJPjSI_NS0_16reverse_iteratorISI_EEEEENSH_IJSG_SG_SG_EEES9_SI_JZNS1_25segmented_radix_sort_implINS0_14default_configELb0EPKlPlSQ_SR_N2at6native12_GLOBAL__N_18offset_tEEE10hipError_tPvRmT1_PNSt15iterator_traitsISZ_E10value_typeET2_T3_PNS10_IS15_E10value_typeET4_jRbjT5_S1B_jjP12ihipStream_tbEUljE_ZNSN_ISO_Lb0ESQ_SR_SQ_SR_SV_EESW_SX_SY_SZ_S13_S14_S15_S18_S19_jS1A_jS1B_S1B_jjS1D_bEUljE0_EEESW_SX_SY_S15_S19_S1B_T6_T7_T9_mT8_S1D_bDpT10_ENKUlT_T0_E_clISt17integral_constantIbLb0EES1Q_IbLb1EEEEDaS1M_S1N_EUlS1M_E_NS1_11comp_targetILNS1_3genE5ELNS1_11target_archE942ELNS1_3gpuE9ELNS1_3repE0EEENS1_30default_config_static_selectorELNS0_4arch9wavefront6targetE0EEEvSZ_,"axG",@progbits,_ZN7rocprim17ROCPRIM_400000_NS6detail17trampoline_kernelINS0_13select_configILj256ELj13ELNS0_17block_load_methodE3ELS4_3ELS4_3ELNS0_20block_scan_algorithmE0ELj4294967295EEENS1_25partition_config_selectorILNS1_17partition_subalgoE4EjNS0_10empty_typeEbEEZZNS1_14partition_implILS8_4ELb0ES6_15HIP_vector_typeIjLj2EENS0_17counting_iteratorIjlEEPS9_SG_NS0_5tupleIJPjSI_NS0_16reverse_iteratorISI_EEEEENSH_IJSG_SG_SG_EEES9_SI_JZNS1_25segmented_radix_sort_implINS0_14default_configELb0EPKlPlSQ_SR_N2at6native12_GLOBAL__N_18offset_tEEE10hipError_tPvRmT1_PNSt15iterator_traitsISZ_E10value_typeET2_T3_PNS10_IS15_E10value_typeET4_jRbjT5_S1B_jjP12ihipStream_tbEUljE_ZNSN_ISO_Lb0ESQ_SR_SQ_SR_SV_EESW_SX_SY_SZ_S13_S14_S15_S18_S19_jS1A_jS1B_S1B_jjS1D_bEUljE0_EEESW_SX_SY_S15_S19_S1B_T6_T7_T9_mT8_S1D_bDpT10_ENKUlT_T0_E_clISt17integral_constantIbLb0EES1Q_IbLb1EEEEDaS1M_S1N_EUlS1M_E_NS1_11comp_targetILNS1_3genE5ELNS1_11target_archE942ELNS1_3gpuE9ELNS1_3repE0EEENS1_30default_config_static_selectorELNS0_4arch9wavefront6targetE0EEEvSZ_,comdat
.Lfunc_end764:
	.size	_ZN7rocprim17ROCPRIM_400000_NS6detail17trampoline_kernelINS0_13select_configILj256ELj13ELNS0_17block_load_methodE3ELS4_3ELS4_3ELNS0_20block_scan_algorithmE0ELj4294967295EEENS1_25partition_config_selectorILNS1_17partition_subalgoE4EjNS0_10empty_typeEbEEZZNS1_14partition_implILS8_4ELb0ES6_15HIP_vector_typeIjLj2EENS0_17counting_iteratorIjlEEPS9_SG_NS0_5tupleIJPjSI_NS0_16reverse_iteratorISI_EEEEENSH_IJSG_SG_SG_EEES9_SI_JZNS1_25segmented_radix_sort_implINS0_14default_configELb0EPKlPlSQ_SR_N2at6native12_GLOBAL__N_18offset_tEEE10hipError_tPvRmT1_PNSt15iterator_traitsISZ_E10value_typeET2_T3_PNS10_IS15_E10value_typeET4_jRbjT5_S1B_jjP12ihipStream_tbEUljE_ZNSN_ISO_Lb0ESQ_SR_SQ_SR_SV_EESW_SX_SY_SZ_S13_S14_S15_S18_S19_jS1A_jS1B_S1B_jjS1D_bEUljE0_EEESW_SX_SY_S15_S19_S1B_T6_T7_T9_mT8_S1D_bDpT10_ENKUlT_T0_E_clISt17integral_constantIbLb0EES1Q_IbLb1EEEEDaS1M_S1N_EUlS1M_E_NS1_11comp_targetILNS1_3genE5ELNS1_11target_archE942ELNS1_3gpuE9ELNS1_3repE0EEENS1_30default_config_static_selectorELNS0_4arch9wavefront6targetE0EEEvSZ_, .Lfunc_end764-_ZN7rocprim17ROCPRIM_400000_NS6detail17trampoline_kernelINS0_13select_configILj256ELj13ELNS0_17block_load_methodE3ELS4_3ELS4_3ELNS0_20block_scan_algorithmE0ELj4294967295EEENS1_25partition_config_selectorILNS1_17partition_subalgoE4EjNS0_10empty_typeEbEEZZNS1_14partition_implILS8_4ELb0ES6_15HIP_vector_typeIjLj2EENS0_17counting_iteratorIjlEEPS9_SG_NS0_5tupleIJPjSI_NS0_16reverse_iteratorISI_EEEEENSH_IJSG_SG_SG_EEES9_SI_JZNS1_25segmented_radix_sort_implINS0_14default_configELb0EPKlPlSQ_SR_N2at6native12_GLOBAL__N_18offset_tEEE10hipError_tPvRmT1_PNSt15iterator_traitsISZ_E10value_typeET2_T3_PNS10_IS15_E10value_typeET4_jRbjT5_S1B_jjP12ihipStream_tbEUljE_ZNSN_ISO_Lb0ESQ_SR_SQ_SR_SV_EESW_SX_SY_SZ_S13_S14_S15_S18_S19_jS1A_jS1B_S1B_jjS1D_bEUljE0_EEESW_SX_SY_S15_S19_S1B_T6_T7_T9_mT8_S1D_bDpT10_ENKUlT_T0_E_clISt17integral_constantIbLb0EES1Q_IbLb1EEEEDaS1M_S1N_EUlS1M_E_NS1_11comp_targetILNS1_3genE5ELNS1_11target_archE942ELNS1_3gpuE9ELNS1_3repE0EEENS1_30default_config_static_selectorELNS0_4arch9wavefront6targetE0EEEvSZ_
                                        ; -- End function
	.set _ZN7rocprim17ROCPRIM_400000_NS6detail17trampoline_kernelINS0_13select_configILj256ELj13ELNS0_17block_load_methodE3ELS4_3ELS4_3ELNS0_20block_scan_algorithmE0ELj4294967295EEENS1_25partition_config_selectorILNS1_17partition_subalgoE4EjNS0_10empty_typeEbEEZZNS1_14partition_implILS8_4ELb0ES6_15HIP_vector_typeIjLj2EENS0_17counting_iteratorIjlEEPS9_SG_NS0_5tupleIJPjSI_NS0_16reverse_iteratorISI_EEEEENSH_IJSG_SG_SG_EEES9_SI_JZNS1_25segmented_radix_sort_implINS0_14default_configELb0EPKlPlSQ_SR_N2at6native12_GLOBAL__N_18offset_tEEE10hipError_tPvRmT1_PNSt15iterator_traitsISZ_E10value_typeET2_T3_PNS10_IS15_E10value_typeET4_jRbjT5_S1B_jjP12ihipStream_tbEUljE_ZNSN_ISO_Lb0ESQ_SR_SQ_SR_SV_EESW_SX_SY_SZ_S13_S14_S15_S18_S19_jS1A_jS1B_S1B_jjS1D_bEUljE0_EEESW_SX_SY_S15_S19_S1B_T6_T7_T9_mT8_S1D_bDpT10_ENKUlT_T0_E_clISt17integral_constantIbLb0EES1Q_IbLb1EEEEDaS1M_S1N_EUlS1M_E_NS1_11comp_targetILNS1_3genE5ELNS1_11target_archE942ELNS1_3gpuE9ELNS1_3repE0EEENS1_30default_config_static_selectorELNS0_4arch9wavefront6targetE0EEEvSZ_.num_vgpr, 0
	.set _ZN7rocprim17ROCPRIM_400000_NS6detail17trampoline_kernelINS0_13select_configILj256ELj13ELNS0_17block_load_methodE3ELS4_3ELS4_3ELNS0_20block_scan_algorithmE0ELj4294967295EEENS1_25partition_config_selectorILNS1_17partition_subalgoE4EjNS0_10empty_typeEbEEZZNS1_14partition_implILS8_4ELb0ES6_15HIP_vector_typeIjLj2EENS0_17counting_iteratorIjlEEPS9_SG_NS0_5tupleIJPjSI_NS0_16reverse_iteratorISI_EEEEENSH_IJSG_SG_SG_EEES9_SI_JZNS1_25segmented_radix_sort_implINS0_14default_configELb0EPKlPlSQ_SR_N2at6native12_GLOBAL__N_18offset_tEEE10hipError_tPvRmT1_PNSt15iterator_traitsISZ_E10value_typeET2_T3_PNS10_IS15_E10value_typeET4_jRbjT5_S1B_jjP12ihipStream_tbEUljE_ZNSN_ISO_Lb0ESQ_SR_SQ_SR_SV_EESW_SX_SY_SZ_S13_S14_S15_S18_S19_jS1A_jS1B_S1B_jjS1D_bEUljE0_EEESW_SX_SY_S15_S19_S1B_T6_T7_T9_mT8_S1D_bDpT10_ENKUlT_T0_E_clISt17integral_constantIbLb0EES1Q_IbLb1EEEEDaS1M_S1N_EUlS1M_E_NS1_11comp_targetILNS1_3genE5ELNS1_11target_archE942ELNS1_3gpuE9ELNS1_3repE0EEENS1_30default_config_static_selectorELNS0_4arch9wavefront6targetE0EEEvSZ_.num_agpr, 0
	.set _ZN7rocprim17ROCPRIM_400000_NS6detail17trampoline_kernelINS0_13select_configILj256ELj13ELNS0_17block_load_methodE3ELS4_3ELS4_3ELNS0_20block_scan_algorithmE0ELj4294967295EEENS1_25partition_config_selectorILNS1_17partition_subalgoE4EjNS0_10empty_typeEbEEZZNS1_14partition_implILS8_4ELb0ES6_15HIP_vector_typeIjLj2EENS0_17counting_iteratorIjlEEPS9_SG_NS0_5tupleIJPjSI_NS0_16reverse_iteratorISI_EEEEENSH_IJSG_SG_SG_EEES9_SI_JZNS1_25segmented_radix_sort_implINS0_14default_configELb0EPKlPlSQ_SR_N2at6native12_GLOBAL__N_18offset_tEEE10hipError_tPvRmT1_PNSt15iterator_traitsISZ_E10value_typeET2_T3_PNS10_IS15_E10value_typeET4_jRbjT5_S1B_jjP12ihipStream_tbEUljE_ZNSN_ISO_Lb0ESQ_SR_SQ_SR_SV_EESW_SX_SY_SZ_S13_S14_S15_S18_S19_jS1A_jS1B_S1B_jjS1D_bEUljE0_EEESW_SX_SY_S15_S19_S1B_T6_T7_T9_mT8_S1D_bDpT10_ENKUlT_T0_E_clISt17integral_constantIbLb0EES1Q_IbLb1EEEEDaS1M_S1N_EUlS1M_E_NS1_11comp_targetILNS1_3genE5ELNS1_11target_archE942ELNS1_3gpuE9ELNS1_3repE0EEENS1_30default_config_static_selectorELNS0_4arch9wavefront6targetE0EEEvSZ_.numbered_sgpr, 0
	.set _ZN7rocprim17ROCPRIM_400000_NS6detail17trampoline_kernelINS0_13select_configILj256ELj13ELNS0_17block_load_methodE3ELS4_3ELS4_3ELNS0_20block_scan_algorithmE0ELj4294967295EEENS1_25partition_config_selectorILNS1_17partition_subalgoE4EjNS0_10empty_typeEbEEZZNS1_14partition_implILS8_4ELb0ES6_15HIP_vector_typeIjLj2EENS0_17counting_iteratorIjlEEPS9_SG_NS0_5tupleIJPjSI_NS0_16reverse_iteratorISI_EEEEENSH_IJSG_SG_SG_EEES9_SI_JZNS1_25segmented_radix_sort_implINS0_14default_configELb0EPKlPlSQ_SR_N2at6native12_GLOBAL__N_18offset_tEEE10hipError_tPvRmT1_PNSt15iterator_traitsISZ_E10value_typeET2_T3_PNS10_IS15_E10value_typeET4_jRbjT5_S1B_jjP12ihipStream_tbEUljE_ZNSN_ISO_Lb0ESQ_SR_SQ_SR_SV_EESW_SX_SY_SZ_S13_S14_S15_S18_S19_jS1A_jS1B_S1B_jjS1D_bEUljE0_EEESW_SX_SY_S15_S19_S1B_T6_T7_T9_mT8_S1D_bDpT10_ENKUlT_T0_E_clISt17integral_constantIbLb0EES1Q_IbLb1EEEEDaS1M_S1N_EUlS1M_E_NS1_11comp_targetILNS1_3genE5ELNS1_11target_archE942ELNS1_3gpuE9ELNS1_3repE0EEENS1_30default_config_static_selectorELNS0_4arch9wavefront6targetE0EEEvSZ_.num_named_barrier, 0
	.set _ZN7rocprim17ROCPRIM_400000_NS6detail17trampoline_kernelINS0_13select_configILj256ELj13ELNS0_17block_load_methodE3ELS4_3ELS4_3ELNS0_20block_scan_algorithmE0ELj4294967295EEENS1_25partition_config_selectorILNS1_17partition_subalgoE4EjNS0_10empty_typeEbEEZZNS1_14partition_implILS8_4ELb0ES6_15HIP_vector_typeIjLj2EENS0_17counting_iteratorIjlEEPS9_SG_NS0_5tupleIJPjSI_NS0_16reverse_iteratorISI_EEEEENSH_IJSG_SG_SG_EEES9_SI_JZNS1_25segmented_radix_sort_implINS0_14default_configELb0EPKlPlSQ_SR_N2at6native12_GLOBAL__N_18offset_tEEE10hipError_tPvRmT1_PNSt15iterator_traitsISZ_E10value_typeET2_T3_PNS10_IS15_E10value_typeET4_jRbjT5_S1B_jjP12ihipStream_tbEUljE_ZNSN_ISO_Lb0ESQ_SR_SQ_SR_SV_EESW_SX_SY_SZ_S13_S14_S15_S18_S19_jS1A_jS1B_S1B_jjS1D_bEUljE0_EEESW_SX_SY_S15_S19_S1B_T6_T7_T9_mT8_S1D_bDpT10_ENKUlT_T0_E_clISt17integral_constantIbLb0EES1Q_IbLb1EEEEDaS1M_S1N_EUlS1M_E_NS1_11comp_targetILNS1_3genE5ELNS1_11target_archE942ELNS1_3gpuE9ELNS1_3repE0EEENS1_30default_config_static_selectorELNS0_4arch9wavefront6targetE0EEEvSZ_.private_seg_size, 0
	.set _ZN7rocprim17ROCPRIM_400000_NS6detail17trampoline_kernelINS0_13select_configILj256ELj13ELNS0_17block_load_methodE3ELS4_3ELS4_3ELNS0_20block_scan_algorithmE0ELj4294967295EEENS1_25partition_config_selectorILNS1_17partition_subalgoE4EjNS0_10empty_typeEbEEZZNS1_14partition_implILS8_4ELb0ES6_15HIP_vector_typeIjLj2EENS0_17counting_iteratorIjlEEPS9_SG_NS0_5tupleIJPjSI_NS0_16reverse_iteratorISI_EEEEENSH_IJSG_SG_SG_EEES9_SI_JZNS1_25segmented_radix_sort_implINS0_14default_configELb0EPKlPlSQ_SR_N2at6native12_GLOBAL__N_18offset_tEEE10hipError_tPvRmT1_PNSt15iterator_traitsISZ_E10value_typeET2_T3_PNS10_IS15_E10value_typeET4_jRbjT5_S1B_jjP12ihipStream_tbEUljE_ZNSN_ISO_Lb0ESQ_SR_SQ_SR_SV_EESW_SX_SY_SZ_S13_S14_S15_S18_S19_jS1A_jS1B_S1B_jjS1D_bEUljE0_EEESW_SX_SY_S15_S19_S1B_T6_T7_T9_mT8_S1D_bDpT10_ENKUlT_T0_E_clISt17integral_constantIbLb0EES1Q_IbLb1EEEEDaS1M_S1N_EUlS1M_E_NS1_11comp_targetILNS1_3genE5ELNS1_11target_archE942ELNS1_3gpuE9ELNS1_3repE0EEENS1_30default_config_static_selectorELNS0_4arch9wavefront6targetE0EEEvSZ_.uses_vcc, 0
	.set _ZN7rocprim17ROCPRIM_400000_NS6detail17trampoline_kernelINS0_13select_configILj256ELj13ELNS0_17block_load_methodE3ELS4_3ELS4_3ELNS0_20block_scan_algorithmE0ELj4294967295EEENS1_25partition_config_selectorILNS1_17partition_subalgoE4EjNS0_10empty_typeEbEEZZNS1_14partition_implILS8_4ELb0ES6_15HIP_vector_typeIjLj2EENS0_17counting_iteratorIjlEEPS9_SG_NS0_5tupleIJPjSI_NS0_16reverse_iteratorISI_EEEEENSH_IJSG_SG_SG_EEES9_SI_JZNS1_25segmented_radix_sort_implINS0_14default_configELb0EPKlPlSQ_SR_N2at6native12_GLOBAL__N_18offset_tEEE10hipError_tPvRmT1_PNSt15iterator_traitsISZ_E10value_typeET2_T3_PNS10_IS15_E10value_typeET4_jRbjT5_S1B_jjP12ihipStream_tbEUljE_ZNSN_ISO_Lb0ESQ_SR_SQ_SR_SV_EESW_SX_SY_SZ_S13_S14_S15_S18_S19_jS1A_jS1B_S1B_jjS1D_bEUljE0_EEESW_SX_SY_S15_S19_S1B_T6_T7_T9_mT8_S1D_bDpT10_ENKUlT_T0_E_clISt17integral_constantIbLb0EES1Q_IbLb1EEEEDaS1M_S1N_EUlS1M_E_NS1_11comp_targetILNS1_3genE5ELNS1_11target_archE942ELNS1_3gpuE9ELNS1_3repE0EEENS1_30default_config_static_selectorELNS0_4arch9wavefront6targetE0EEEvSZ_.uses_flat_scratch, 0
	.set _ZN7rocprim17ROCPRIM_400000_NS6detail17trampoline_kernelINS0_13select_configILj256ELj13ELNS0_17block_load_methodE3ELS4_3ELS4_3ELNS0_20block_scan_algorithmE0ELj4294967295EEENS1_25partition_config_selectorILNS1_17partition_subalgoE4EjNS0_10empty_typeEbEEZZNS1_14partition_implILS8_4ELb0ES6_15HIP_vector_typeIjLj2EENS0_17counting_iteratorIjlEEPS9_SG_NS0_5tupleIJPjSI_NS0_16reverse_iteratorISI_EEEEENSH_IJSG_SG_SG_EEES9_SI_JZNS1_25segmented_radix_sort_implINS0_14default_configELb0EPKlPlSQ_SR_N2at6native12_GLOBAL__N_18offset_tEEE10hipError_tPvRmT1_PNSt15iterator_traitsISZ_E10value_typeET2_T3_PNS10_IS15_E10value_typeET4_jRbjT5_S1B_jjP12ihipStream_tbEUljE_ZNSN_ISO_Lb0ESQ_SR_SQ_SR_SV_EESW_SX_SY_SZ_S13_S14_S15_S18_S19_jS1A_jS1B_S1B_jjS1D_bEUljE0_EEESW_SX_SY_S15_S19_S1B_T6_T7_T9_mT8_S1D_bDpT10_ENKUlT_T0_E_clISt17integral_constantIbLb0EES1Q_IbLb1EEEEDaS1M_S1N_EUlS1M_E_NS1_11comp_targetILNS1_3genE5ELNS1_11target_archE942ELNS1_3gpuE9ELNS1_3repE0EEENS1_30default_config_static_selectorELNS0_4arch9wavefront6targetE0EEEvSZ_.has_dyn_sized_stack, 0
	.set _ZN7rocprim17ROCPRIM_400000_NS6detail17trampoline_kernelINS0_13select_configILj256ELj13ELNS0_17block_load_methodE3ELS4_3ELS4_3ELNS0_20block_scan_algorithmE0ELj4294967295EEENS1_25partition_config_selectorILNS1_17partition_subalgoE4EjNS0_10empty_typeEbEEZZNS1_14partition_implILS8_4ELb0ES6_15HIP_vector_typeIjLj2EENS0_17counting_iteratorIjlEEPS9_SG_NS0_5tupleIJPjSI_NS0_16reverse_iteratorISI_EEEEENSH_IJSG_SG_SG_EEES9_SI_JZNS1_25segmented_radix_sort_implINS0_14default_configELb0EPKlPlSQ_SR_N2at6native12_GLOBAL__N_18offset_tEEE10hipError_tPvRmT1_PNSt15iterator_traitsISZ_E10value_typeET2_T3_PNS10_IS15_E10value_typeET4_jRbjT5_S1B_jjP12ihipStream_tbEUljE_ZNSN_ISO_Lb0ESQ_SR_SQ_SR_SV_EESW_SX_SY_SZ_S13_S14_S15_S18_S19_jS1A_jS1B_S1B_jjS1D_bEUljE0_EEESW_SX_SY_S15_S19_S1B_T6_T7_T9_mT8_S1D_bDpT10_ENKUlT_T0_E_clISt17integral_constantIbLb0EES1Q_IbLb1EEEEDaS1M_S1N_EUlS1M_E_NS1_11comp_targetILNS1_3genE5ELNS1_11target_archE942ELNS1_3gpuE9ELNS1_3repE0EEENS1_30default_config_static_selectorELNS0_4arch9wavefront6targetE0EEEvSZ_.has_recursion, 0
	.set _ZN7rocprim17ROCPRIM_400000_NS6detail17trampoline_kernelINS0_13select_configILj256ELj13ELNS0_17block_load_methodE3ELS4_3ELS4_3ELNS0_20block_scan_algorithmE0ELj4294967295EEENS1_25partition_config_selectorILNS1_17partition_subalgoE4EjNS0_10empty_typeEbEEZZNS1_14partition_implILS8_4ELb0ES6_15HIP_vector_typeIjLj2EENS0_17counting_iteratorIjlEEPS9_SG_NS0_5tupleIJPjSI_NS0_16reverse_iteratorISI_EEEEENSH_IJSG_SG_SG_EEES9_SI_JZNS1_25segmented_radix_sort_implINS0_14default_configELb0EPKlPlSQ_SR_N2at6native12_GLOBAL__N_18offset_tEEE10hipError_tPvRmT1_PNSt15iterator_traitsISZ_E10value_typeET2_T3_PNS10_IS15_E10value_typeET4_jRbjT5_S1B_jjP12ihipStream_tbEUljE_ZNSN_ISO_Lb0ESQ_SR_SQ_SR_SV_EESW_SX_SY_SZ_S13_S14_S15_S18_S19_jS1A_jS1B_S1B_jjS1D_bEUljE0_EEESW_SX_SY_S15_S19_S1B_T6_T7_T9_mT8_S1D_bDpT10_ENKUlT_T0_E_clISt17integral_constantIbLb0EES1Q_IbLb1EEEEDaS1M_S1N_EUlS1M_E_NS1_11comp_targetILNS1_3genE5ELNS1_11target_archE942ELNS1_3gpuE9ELNS1_3repE0EEENS1_30default_config_static_selectorELNS0_4arch9wavefront6targetE0EEEvSZ_.has_indirect_call, 0
	.section	.AMDGPU.csdata,"",@progbits
; Kernel info:
; codeLenInByte = 0
; TotalNumSgprs: 0
; NumVgprs: 0
; ScratchSize: 0
; MemoryBound: 0
; FloatMode: 240
; IeeeMode: 1
; LDSByteSize: 0 bytes/workgroup (compile time only)
; SGPRBlocks: 0
; VGPRBlocks: 0
; NumSGPRsForWavesPerEU: 1
; NumVGPRsForWavesPerEU: 1
; NamedBarCnt: 0
; Occupancy: 16
; WaveLimiterHint : 0
; COMPUTE_PGM_RSRC2:SCRATCH_EN: 0
; COMPUTE_PGM_RSRC2:USER_SGPR: 2
; COMPUTE_PGM_RSRC2:TRAP_HANDLER: 0
; COMPUTE_PGM_RSRC2:TGID_X_EN: 1
; COMPUTE_PGM_RSRC2:TGID_Y_EN: 0
; COMPUTE_PGM_RSRC2:TGID_Z_EN: 0
; COMPUTE_PGM_RSRC2:TIDIG_COMP_CNT: 0
	.section	.text._ZN7rocprim17ROCPRIM_400000_NS6detail17trampoline_kernelINS0_13select_configILj256ELj13ELNS0_17block_load_methodE3ELS4_3ELS4_3ELNS0_20block_scan_algorithmE0ELj4294967295EEENS1_25partition_config_selectorILNS1_17partition_subalgoE4EjNS0_10empty_typeEbEEZZNS1_14partition_implILS8_4ELb0ES6_15HIP_vector_typeIjLj2EENS0_17counting_iteratorIjlEEPS9_SG_NS0_5tupleIJPjSI_NS0_16reverse_iteratorISI_EEEEENSH_IJSG_SG_SG_EEES9_SI_JZNS1_25segmented_radix_sort_implINS0_14default_configELb0EPKlPlSQ_SR_N2at6native12_GLOBAL__N_18offset_tEEE10hipError_tPvRmT1_PNSt15iterator_traitsISZ_E10value_typeET2_T3_PNS10_IS15_E10value_typeET4_jRbjT5_S1B_jjP12ihipStream_tbEUljE_ZNSN_ISO_Lb0ESQ_SR_SQ_SR_SV_EESW_SX_SY_SZ_S13_S14_S15_S18_S19_jS1A_jS1B_S1B_jjS1D_bEUljE0_EEESW_SX_SY_S15_S19_S1B_T6_T7_T9_mT8_S1D_bDpT10_ENKUlT_T0_E_clISt17integral_constantIbLb0EES1Q_IbLb1EEEEDaS1M_S1N_EUlS1M_E_NS1_11comp_targetILNS1_3genE4ELNS1_11target_archE910ELNS1_3gpuE8ELNS1_3repE0EEENS1_30default_config_static_selectorELNS0_4arch9wavefront6targetE0EEEvSZ_,"axG",@progbits,_ZN7rocprim17ROCPRIM_400000_NS6detail17trampoline_kernelINS0_13select_configILj256ELj13ELNS0_17block_load_methodE3ELS4_3ELS4_3ELNS0_20block_scan_algorithmE0ELj4294967295EEENS1_25partition_config_selectorILNS1_17partition_subalgoE4EjNS0_10empty_typeEbEEZZNS1_14partition_implILS8_4ELb0ES6_15HIP_vector_typeIjLj2EENS0_17counting_iteratorIjlEEPS9_SG_NS0_5tupleIJPjSI_NS0_16reverse_iteratorISI_EEEEENSH_IJSG_SG_SG_EEES9_SI_JZNS1_25segmented_radix_sort_implINS0_14default_configELb0EPKlPlSQ_SR_N2at6native12_GLOBAL__N_18offset_tEEE10hipError_tPvRmT1_PNSt15iterator_traitsISZ_E10value_typeET2_T3_PNS10_IS15_E10value_typeET4_jRbjT5_S1B_jjP12ihipStream_tbEUljE_ZNSN_ISO_Lb0ESQ_SR_SQ_SR_SV_EESW_SX_SY_SZ_S13_S14_S15_S18_S19_jS1A_jS1B_S1B_jjS1D_bEUljE0_EEESW_SX_SY_S15_S19_S1B_T6_T7_T9_mT8_S1D_bDpT10_ENKUlT_T0_E_clISt17integral_constantIbLb0EES1Q_IbLb1EEEEDaS1M_S1N_EUlS1M_E_NS1_11comp_targetILNS1_3genE4ELNS1_11target_archE910ELNS1_3gpuE8ELNS1_3repE0EEENS1_30default_config_static_selectorELNS0_4arch9wavefront6targetE0EEEvSZ_,comdat
	.globl	_ZN7rocprim17ROCPRIM_400000_NS6detail17trampoline_kernelINS0_13select_configILj256ELj13ELNS0_17block_load_methodE3ELS4_3ELS4_3ELNS0_20block_scan_algorithmE0ELj4294967295EEENS1_25partition_config_selectorILNS1_17partition_subalgoE4EjNS0_10empty_typeEbEEZZNS1_14partition_implILS8_4ELb0ES6_15HIP_vector_typeIjLj2EENS0_17counting_iteratorIjlEEPS9_SG_NS0_5tupleIJPjSI_NS0_16reverse_iteratorISI_EEEEENSH_IJSG_SG_SG_EEES9_SI_JZNS1_25segmented_radix_sort_implINS0_14default_configELb0EPKlPlSQ_SR_N2at6native12_GLOBAL__N_18offset_tEEE10hipError_tPvRmT1_PNSt15iterator_traitsISZ_E10value_typeET2_T3_PNS10_IS15_E10value_typeET4_jRbjT5_S1B_jjP12ihipStream_tbEUljE_ZNSN_ISO_Lb0ESQ_SR_SQ_SR_SV_EESW_SX_SY_SZ_S13_S14_S15_S18_S19_jS1A_jS1B_S1B_jjS1D_bEUljE0_EEESW_SX_SY_S15_S19_S1B_T6_T7_T9_mT8_S1D_bDpT10_ENKUlT_T0_E_clISt17integral_constantIbLb0EES1Q_IbLb1EEEEDaS1M_S1N_EUlS1M_E_NS1_11comp_targetILNS1_3genE4ELNS1_11target_archE910ELNS1_3gpuE8ELNS1_3repE0EEENS1_30default_config_static_selectorELNS0_4arch9wavefront6targetE0EEEvSZ_ ; -- Begin function _ZN7rocprim17ROCPRIM_400000_NS6detail17trampoline_kernelINS0_13select_configILj256ELj13ELNS0_17block_load_methodE3ELS4_3ELS4_3ELNS0_20block_scan_algorithmE0ELj4294967295EEENS1_25partition_config_selectorILNS1_17partition_subalgoE4EjNS0_10empty_typeEbEEZZNS1_14partition_implILS8_4ELb0ES6_15HIP_vector_typeIjLj2EENS0_17counting_iteratorIjlEEPS9_SG_NS0_5tupleIJPjSI_NS0_16reverse_iteratorISI_EEEEENSH_IJSG_SG_SG_EEES9_SI_JZNS1_25segmented_radix_sort_implINS0_14default_configELb0EPKlPlSQ_SR_N2at6native12_GLOBAL__N_18offset_tEEE10hipError_tPvRmT1_PNSt15iterator_traitsISZ_E10value_typeET2_T3_PNS10_IS15_E10value_typeET4_jRbjT5_S1B_jjP12ihipStream_tbEUljE_ZNSN_ISO_Lb0ESQ_SR_SQ_SR_SV_EESW_SX_SY_SZ_S13_S14_S15_S18_S19_jS1A_jS1B_S1B_jjS1D_bEUljE0_EEESW_SX_SY_S15_S19_S1B_T6_T7_T9_mT8_S1D_bDpT10_ENKUlT_T0_E_clISt17integral_constantIbLb0EES1Q_IbLb1EEEEDaS1M_S1N_EUlS1M_E_NS1_11comp_targetILNS1_3genE4ELNS1_11target_archE910ELNS1_3gpuE8ELNS1_3repE0EEENS1_30default_config_static_selectorELNS0_4arch9wavefront6targetE0EEEvSZ_
	.p2align	8
	.type	_ZN7rocprim17ROCPRIM_400000_NS6detail17trampoline_kernelINS0_13select_configILj256ELj13ELNS0_17block_load_methodE3ELS4_3ELS4_3ELNS0_20block_scan_algorithmE0ELj4294967295EEENS1_25partition_config_selectorILNS1_17partition_subalgoE4EjNS0_10empty_typeEbEEZZNS1_14partition_implILS8_4ELb0ES6_15HIP_vector_typeIjLj2EENS0_17counting_iteratorIjlEEPS9_SG_NS0_5tupleIJPjSI_NS0_16reverse_iteratorISI_EEEEENSH_IJSG_SG_SG_EEES9_SI_JZNS1_25segmented_radix_sort_implINS0_14default_configELb0EPKlPlSQ_SR_N2at6native12_GLOBAL__N_18offset_tEEE10hipError_tPvRmT1_PNSt15iterator_traitsISZ_E10value_typeET2_T3_PNS10_IS15_E10value_typeET4_jRbjT5_S1B_jjP12ihipStream_tbEUljE_ZNSN_ISO_Lb0ESQ_SR_SQ_SR_SV_EESW_SX_SY_SZ_S13_S14_S15_S18_S19_jS1A_jS1B_S1B_jjS1D_bEUljE0_EEESW_SX_SY_S15_S19_S1B_T6_T7_T9_mT8_S1D_bDpT10_ENKUlT_T0_E_clISt17integral_constantIbLb0EES1Q_IbLb1EEEEDaS1M_S1N_EUlS1M_E_NS1_11comp_targetILNS1_3genE4ELNS1_11target_archE910ELNS1_3gpuE8ELNS1_3repE0EEENS1_30default_config_static_selectorELNS0_4arch9wavefront6targetE0EEEvSZ_,@function
_ZN7rocprim17ROCPRIM_400000_NS6detail17trampoline_kernelINS0_13select_configILj256ELj13ELNS0_17block_load_methodE3ELS4_3ELS4_3ELNS0_20block_scan_algorithmE0ELj4294967295EEENS1_25partition_config_selectorILNS1_17partition_subalgoE4EjNS0_10empty_typeEbEEZZNS1_14partition_implILS8_4ELb0ES6_15HIP_vector_typeIjLj2EENS0_17counting_iteratorIjlEEPS9_SG_NS0_5tupleIJPjSI_NS0_16reverse_iteratorISI_EEEEENSH_IJSG_SG_SG_EEES9_SI_JZNS1_25segmented_radix_sort_implINS0_14default_configELb0EPKlPlSQ_SR_N2at6native12_GLOBAL__N_18offset_tEEE10hipError_tPvRmT1_PNSt15iterator_traitsISZ_E10value_typeET2_T3_PNS10_IS15_E10value_typeET4_jRbjT5_S1B_jjP12ihipStream_tbEUljE_ZNSN_ISO_Lb0ESQ_SR_SQ_SR_SV_EESW_SX_SY_SZ_S13_S14_S15_S18_S19_jS1A_jS1B_S1B_jjS1D_bEUljE0_EEESW_SX_SY_S15_S19_S1B_T6_T7_T9_mT8_S1D_bDpT10_ENKUlT_T0_E_clISt17integral_constantIbLb0EES1Q_IbLb1EEEEDaS1M_S1N_EUlS1M_E_NS1_11comp_targetILNS1_3genE4ELNS1_11target_archE910ELNS1_3gpuE8ELNS1_3repE0EEENS1_30default_config_static_selectorELNS0_4arch9wavefront6targetE0EEEvSZ_: ; @_ZN7rocprim17ROCPRIM_400000_NS6detail17trampoline_kernelINS0_13select_configILj256ELj13ELNS0_17block_load_methodE3ELS4_3ELS4_3ELNS0_20block_scan_algorithmE0ELj4294967295EEENS1_25partition_config_selectorILNS1_17partition_subalgoE4EjNS0_10empty_typeEbEEZZNS1_14partition_implILS8_4ELb0ES6_15HIP_vector_typeIjLj2EENS0_17counting_iteratorIjlEEPS9_SG_NS0_5tupleIJPjSI_NS0_16reverse_iteratorISI_EEEEENSH_IJSG_SG_SG_EEES9_SI_JZNS1_25segmented_radix_sort_implINS0_14default_configELb0EPKlPlSQ_SR_N2at6native12_GLOBAL__N_18offset_tEEE10hipError_tPvRmT1_PNSt15iterator_traitsISZ_E10value_typeET2_T3_PNS10_IS15_E10value_typeET4_jRbjT5_S1B_jjP12ihipStream_tbEUljE_ZNSN_ISO_Lb0ESQ_SR_SQ_SR_SV_EESW_SX_SY_SZ_S13_S14_S15_S18_S19_jS1A_jS1B_S1B_jjS1D_bEUljE0_EEESW_SX_SY_S15_S19_S1B_T6_T7_T9_mT8_S1D_bDpT10_ENKUlT_T0_E_clISt17integral_constantIbLb0EES1Q_IbLb1EEEEDaS1M_S1N_EUlS1M_E_NS1_11comp_targetILNS1_3genE4ELNS1_11target_archE910ELNS1_3gpuE8ELNS1_3repE0EEENS1_30default_config_static_selectorELNS0_4arch9wavefront6targetE0EEEvSZ_
; %bb.0:
	.section	.rodata,"a",@progbits
	.p2align	6, 0x0
	.amdhsa_kernel _ZN7rocprim17ROCPRIM_400000_NS6detail17trampoline_kernelINS0_13select_configILj256ELj13ELNS0_17block_load_methodE3ELS4_3ELS4_3ELNS0_20block_scan_algorithmE0ELj4294967295EEENS1_25partition_config_selectorILNS1_17partition_subalgoE4EjNS0_10empty_typeEbEEZZNS1_14partition_implILS8_4ELb0ES6_15HIP_vector_typeIjLj2EENS0_17counting_iteratorIjlEEPS9_SG_NS0_5tupleIJPjSI_NS0_16reverse_iteratorISI_EEEEENSH_IJSG_SG_SG_EEES9_SI_JZNS1_25segmented_radix_sort_implINS0_14default_configELb0EPKlPlSQ_SR_N2at6native12_GLOBAL__N_18offset_tEEE10hipError_tPvRmT1_PNSt15iterator_traitsISZ_E10value_typeET2_T3_PNS10_IS15_E10value_typeET4_jRbjT5_S1B_jjP12ihipStream_tbEUljE_ZNSN_ISO_Lb0ESQ_SR_SQ_SR_SV_EESW_SX_SY_SZ_S13_S14_S15_S18_S19_jS1A_jS1B_S1B_jjS1D_bEUljE0_EEESW_SX_SY_S15_S19_S1B_T6_T7_T9_mT8_S1D_bDpT10_ENKUlT_T0_E_clISt17integral_constantIbLb0EES1Q_IbLb1EEEEDaS1M_S1N_EUlS1M_E_NS1_11comp_targetILNS1_3genE4ELNS1_11target_archE910ELNS1_3gpuE8ELNS1_3repE0EEENS1_30default_config_static_selectorELNS0_4arch9wavefront6targetE0EEEvSZ_
		.amdhsa_group_segment_fixed_size 0
		.amdhsa_private_segment_fixed_size 0
		.amdhsa_kernarg_size 184
		.amdhsa_user_sgpr_count 2
		.amdhsa_user_sgpr_dispatch_ptr 0
		.amdhsa_user_sgpr_queue_ptr 0
		.amdhsa_user_sgpr_kernarg_segment_ptr 1
		.amdhsa_user_sgpr_dispatch_id 0
		.amdhsa_user_sgpr_kernarg_preload_length 0
		.amdhsa_user_sgpr_kernarg_preload_offset 0
		.amdhsa_user_sgpr_private_segment_size 0
		.amdhsa_wavefront_size32 1
		.amdhsa_uses_dynamic_stack 0
		.amdhsa_enable_private_segment 0
		.amdhsa_system_sgpr_workgroup_id_x 1
		.amdhsa_system_sgpr_workgroup_id_y 0
		.amdhsa_system_sgpr_workgroup_id_z 0
		.amdhsa_system_sgpr_workgroup_info 0
		.amdhsa_system_vgpr_workitem_id 0
		.amdhsa_next_free_vgpr 1
		.amdhsa_next_free_sgpr 1
		.amdhsa_named_barrier_count 0
		.amdhsa_reserve_vcc 0
		.amdhsa_float_round_mode_32 0
		.amdhsa_float_round_mode_16_64 0
		.amdhsa_float_denorm_mode_32 3
		.amdhsa_float_denorm_mode_16_64 3
		.amdhsa_fp16_overflow 0
		.amdhsa_memory_ordered 1
		.amdhsa_forward_progress 1
		.amdhsa_inst_pref_size 0
		.amdhsa_round_robin_scheduling 0
		.amdhsa_exception_fp_ieee_invalid_op 0
		.amdhsa_exception_fp_denorm_src 0
		.amdhsa_exception_fp_ieee_div_zero 0
		.amdhsa_exception_fp_ieee_overflow 0
		.amdhsa_exception_fp_ieee_underflow 0
		.amdhsa_exception_fp_ieee_inexact 0
		.amdhsa_exception_int_div_zero 0
	.end_amdhsa_kernel
	.section	.text._ZN7rocprim17ROCPRIM_400000_NS6detail17trampoline_kernelINS0_13select_configILj256ELj13ELNS0_17block_load_methodE3ELS4_3ELS4_3ELNS0_20block_scan_algorithmE0ELj4294967295EEENS1_25partition_config_selectorILNS1_17partition_subalgoE4EjNS0_10empty_typeEbEEZZNS1_14partition_implILS8_4ELb0ES6_15HIP_vector_typeIjLj2EENS0_17counting_iteratorIjlEEPS9_SG_NS0_5tupleIJPjSI_NS0_16reverse_iteratorISI_EEEEENSH_IJSG_SG_SG_EEES9_SI_JZNS1_25segmented_radix_sort_implINS0_14default_configELb0EPKlPlSQ_SR_N2at6native12_GLOBAL__N_18offset_tEEE10hipError_tPvRmT1_PNSt15iterator_traitsISZ_E10value_typeET2_T3_PNS10_IS15_E10value_typeET4_jRbjT5_S1B_jjP12ihipStream_tbEUljE_ZNSN_ISO_Lb0ESQ_SR_SQ_SR_SV_EESW_SX_SY_SZ_S13_S14_S15_S18_S19_jS1A_jS1B_S1B_jjS1D_bEUljE0_EEESW_SX_SY_S15_S19_S1B_T6_T7_T9_mT8_S1D_bDpT10_ENKUlT_T0_E_clISt17integral_constantIbLb0EES1Q_IbLb1EEEEDaS1M_S1N_EUlS1M_E_NS1_11comp_targetILNS1_3genE4ELNS1_11target_archE910ELNS1_3gpuE8ELNS1_3repE0EEENS1_30default_config_static_selectorELNS0_4arch9wavefront6targetE0EEEvSZ_,"axG",@progbits,_ZN7rocprim17ROCPRIM_400000_NS6detail17trampoline_kernelINS0_13select_configILj256ELj13ELNS0_17block_load_methodE3ELS4_3ELS4_3ELNS0_20block_scan_algorithmE0ELj4294967295EEENS1_25partition_config_selectorILNS1_17partition_subalgoE4EjNS0_10empty_typeEbEEZZNS1_14partition_implILS8_4ELb0ES6_15HIP_vector_typeIjLj2EENS0_17counting_iteratorIjlEEPS9_SG_NS0_5tupleIJPjSI_NS0_16reverse_iteratorISI_EEEEENSH_IJSG_SG_SG_EEES9_SI_JZNS1_25segmented_radix_sort_implINS0_14default_configELb0EPKlPlSQ_SR_N2at6native12_GLOBAL__N_18offset_tEEE10hipError_tPvRmT1_PNSt15iterator_traitsISZ_E10value_typeET2_T3_PNS10_IS15_E10value_typeET4_jRbjT5_S1B_jjP12ihipStream_tbEUljE_ZNSN_ISO_Lb0ESQ_SR_SQ_SR_SV_EESW_SX_SY_SZ_S13_S14_S15_S18_S19_jS1A_jS1B_S1B_jjS1D_bEUljE0_EEESW_SX_SY_S15_S19_S1B_T6_T7_T9_mT8_S1D_bDpT10_ENKUlT_T0_E_clISt17integral_constantIbLb0EES1Q_IbLb1EEEEDaS1M_S1N_EUlS1M_E_NS1_11comp_targetILNS1_3genE4ELNS1_11target_archE910ELNS1_3gpuE8ELNS1_3repE0EEENS1_30default_config_static_selectorELNS0_4arch9wavefront6targetE0EEEvSZ_,comdat
.Lfunc_end765:
	.size	_ZN7rocprim17ROCPRIM_400000_NS6detail17trampoline_kernelINS0_13select_configILj256ELj13ELNS0_17block_load_methodE3ELS4_3ELS4_3ELNS0_20block_scan_algorithmE0ELj4294967295EEENS1_25partition_config_selectorILNS1_17partition_subalgoE4EjNS0_10empty_typeEbEEZZNS1_14partition_implILS8_4ELb0ES6_15HIP_vector_typeIjLj2EENS0_17counting_iteratorIjlEEPS9_SG_NS0_5tupleIJPjSI_NS0_16reverse_iteratorISI_EEEEENSH_IJSG_SG_SG_EEES9_SI_JZNS1_25segmented_radix_sort_implINS0_14default_configELb0EPKlPlSQ_SR_N2at6native12_GLOBAL__N_18offset_tEEE10hipError_tPvRmT1_PNSt15iterator_traitsISZ_E10value_typeET2_T3_PNS10_IS15_E10value_typeET4_jRbjT5_S1B_jjP12ihipStream_tbEUljE_ZNSN_ISO_Lb0ESQ_SR_SQ_SR_SV_EESW_SX_SY_SZ_S13_S14_S15_S18_S19_jS1A_jS1B_S1B_jjS1D_bEUljE0_EEESW_SX_SY_S15_S19_S1B_T6_T7_T9_mT8_S1D_bDpT10_ENKUlT_T0_E_clISt17integral_constantIbLb0EES1Q_IbLb1EEEEDaS1M_S1N_EUlS1M_E_NS1_11comp_targetILNS1_3genE4ELNS1_11target_archE910ELNS1_3gpuE8ELNS1_3repE0EEENS1_30default_config_static_selectorELNS0_4arch9wavefront6targetE0EEEvSZ_, .Lfunc_end765-_ZN7rocprim17ROCPRIM_400000_NS6detail17trampoline_kernelINS0_13select_configILj256ELj13ELNS0_17block_load_methodE3ELS4_3ELS4_3ELNS0_20block_scan_algorithmE0ELj4294967295EEENS1_25partition_config_selectorILNS1_17partition_subalgoE4EjNS0_10empty_typeEbEEZZNS1_14partition_implILS8_4ELb0ES6_15HIP_vector_typeIjLj2EENS0_17counting_iteratorIjlEEPS9_SG_NS0_5tupleIJPjSI_NS0_16reverse_iteratorISI_EEEEENSH_IJSG_SG_SG_EEES9_SI_JZNS1_25segmented_radix_sort_implINS0_14default_configELb0EPKlPlSQ_SR_N2at6native12_GLOBAL__N_18offset_tEEE10hipError_tPvRmT1_PNSt15iterator_traitsISZ_E10value_typeET2_T3_PNS10_IS15_E10value_typeET4_jRbjT5_S1B_jjP12ihipStream_tbEUljE_ZNSN_ISO_Lb0ESQ_SR_SQ_SR_SV_EESW_SX_SY_SZ_S13_S14_S15_S18_S19_jS1A_jS1B_S1B_jjS1D_bEUljE0_EEESW_SX_SY_S15_S19_S1B_T6_T7_T9_mT8_S1D_bDpT10_ENKUlT_T0_E_clISt17integral_constantIbLb0EES1Q_IbLb1EEEEDaS1M_S1N_EUlS1M_E_NS1_11comp_targetILNS1_3genE4ELNS1_11target_archE910ELNS1_3gpuE8ELNS1_3repE0EEENS1_30default_config_static_selectorELNS0_4arch9wavefront6targetE0EEEvSZ_
                                        ; -- End function
	.set _ZN7rocprim17ROCPRIM_400000_NS6detail17trampoline_kernelINS0_13select_configILj256ELj13ELNS0_17block_load_methodE3ELS4_3ELS4_3ELNS0_20block_scan_algorithmE0ELj4294967295EEENS1_25partition_config_selectorILNS1_17partition_subalgoE4EjNS0_10empty_typeEbEEZZNS1_14partition_implILS8_4ELb0ES6_15HIP_vector_typeIjLj2EENS0_17counting_iteratorIjlEEPS9_SG_NS0_5tupleIJPjSI_NS0_16reverse_iteratorISI_EEEEENSH_IJSG_SG_SG_EEES9_SI_JZNS1_25segmented_radix_sort_implINS0_14default_configELb0EPKlPlSQ_SR_N2at6native12_GLOBAL__N_18offset_tEEE10hipError_tPvRmT1_PNSt15iterator_traitsISZ_E10value_typeET2_T3_PNS10_IS15_E10value_typeET4_jRbjT5_S1B_jjP12ihipStream_tbEUljE_ZNSN_ISO_Lb0ESQ_SR_SQ_SR_SV_EESW_SX_SY_SZ_S13_S14_S15_S18_S19_jS1A_jS1B_S1B_jjS1D_bEUljE0_EEESW_SX_SY_S15_S19_S1B_T6_T7_T9_mT8_S1D_bDpT10_ENKUlT_T0_E_clISt17integral_constantIbLb0EES1Q_IbLb1EEEEDaS1M_S1N_EUlS1M_E_NS1_11comp_targetILNS1_3genE4ELNS1_11target_archE910ELNS1_3gpuE8ELNS1_3repE0EEENS1_30default_config_static_selectorELNS0_4arch9wavefront6targetE0EEEvSZ_.num_vgpr, 0
	.set _ZN7rocprim17ROCPRIM_400000_NS6detail17trampoline_kernelINS0_13select_configILj256ELj13ELNS0_17block_load_methodE3ELS4_3ELS4_3ELNS0_20block_scan_algorithmE0ELj4294967295EEENS1_25partition_config_selectorILNS1_17partition_subalgoE4EjNS0_10empty_typeEbEEZZNS1_14partition_implILS8_4ELb0ES6_15HIP_vector_typeIjLj2EENS0_17counting_iteratorIjlEEPS9_SG_NS0_5tupleIJPjSI_NS0_16reverse_iteratorISI_EEEEENSH_IJSG_SG_SG_EEES9_SI_JZNS1_25segmented_radix_sort_implINS0_14default_configELb0EPKlPlSQ_SR_N2at6native12_GLOBAL__N_18offset_tEEE10hipError_tPvRmT1_PNSt15iterator_traitsISZ_E10value_typeET2_T3_PNS10_IS15_E10value_typeET4_jRbjT5_S1B_jjP12ihipStream_tbEUljE_ZNSN_ISO_Lb0ESQ_SR_SQ_SR_SV_EESW_SX_SY_SZ_S13_S14_S15_S18_S19_jS1A_jS1B_S1B_jjS1D_bEUljE0_EEESW_SX_SY_S15_S19_S1B_T6_T7_T9_mT8_S1D_bDpT10_ENKUlT_T0_E_clISt17integral_constantIbLb0EES1Q_IbLb1EEEEDaS1M_S1N_EUlS1M_E_NS1_11comp_targetILNS1_3genE4ELNS1_11target_archE910ELNS1_3gpuE8ELNS1_3repE0EEENS1_30default_config_static_selectorELNS0_4arch9wavefront6targetE0EEEvSZ_.num_agpr, 0
	.set _ZN7rocprim17ROCPRIM_400000_NS6detail17trampoline_kernelINS0_13select_configILj256ELj13ELNS0_17block_load_methodE3ELS4_3ELS4_3ELNS0_20block_scan_algorithmE0ELj4294967295EEENS1_25partition_config_selectorILNS1_17partition_subalgoE4EjNS0_10empty_typeEbEEZZNS1_14partition_implILS8_4ELb0ES6_15HIP_vector_typeIjLj2EENS0_17counting_iteratorIjlEEPS9_SG_NS0_5tupleIJPjSI_NS0_16reverse_iteratorISI_EEEEENSH_IJSG_SG_SG_EEES9_SI_JZNS1_25segmented_radix_sort_implINS0_14default_configELb0EPKlPlSQ_SR_N2at6native12_GLOBAL__N_18offset_tEEE10hipError_tPvRmT1_PNSt15iterator_traitsISZ_E10value_typeET2_T3_PNS10_IS15_E10value_typeET4_jRbjT5_S1B_jjP12ihipStream_tbEUljE_ZNSN_ISO_Lb0ESQ_SR_SQ_SR_SV_EESW_SX_SY_SZ_S13_S14_S15_S18_S19_jS1A_jS1B_S1B_jjS1D_bEUljE0_EEESW_SX_SY_S15_S19_S1B_T6_T7_T9_mT8_S1D_bDpT10_ENKUlT_T0_E_clISt17integral_constantIbLb0EES1Q_IbLb1EEEEDaS1M_S1N_EUlS1M_E_NS1_11comp_targetILNS1_3genE4ELNS1_11target_archE910ELNS1_3gpuE8ELNS1_3repE0EEENS1_30default_config_static_selectorELNS0_4arch9wavefront6targetE0EEEvSZ_.numbered_sgpr, 0
	.set _ZN7rocprim17ROCPRIM_400000_NS6detail17trampoline_kernelINS0_13select_configILj256ELj13ELNS0_17block_load_methodE3ELS4_3ELS4_3ELNS0_20block_scan_algorithmE0ELj4294967295EEENS1_25partition_config_selectorILNS1_17partition_subalgoE4EjNS0_10empty_typeEbEEZZNS1_14partition_implILS8_4ELb0ES6_15HIP_vector_typeIjLj2EENS0_17counting_iteratorIjlEEPS9_SG_NS0_5tupleIJPjSI_NS0_16reverse_iteratorISI_EEEEENSH_IJSG_SG_SG_EEES9_SI_JZNS1_25segmented_radix_sort_implINS0_14default_configELb0EPKlPlSQ_SR_N2at6native12_GLOBAL__N_18offset_tEEE10hipError_tPvRmT1_PNSt15iterator_traitsISZ_E10value_typeET2_T3_PNS10_IS15_E10value_typeET4_jRbjT5_S1B_jjP12ihipStream_tbEUljE_ZNSN_ISO_Lb0ESQ_SR_SQ_SR_SV_EESW_SX_SY_SZ_S13_S14_S15_S18_S19_jS1A_jS1B_S1B_jjS1D_bEUljE0_EEESW_SX_SY_S15_S19_S1B_T6_T7_T9_mT8_S1D_bDpT10_ENKUlT_T0_E_clISt17integral_constantIbLb0EES1Q_IbLb1EEEEDaS1M_S1N_EUlS1M_E_NS1_11comp_targetILNS1_3genE4ELNS1_11target_archE910ELNS1_3gpuE8ELNS1_3repE0EEENS1_30default_config_static_selectorELNS0_4arch9wavefront6targetE0EEEvSZ_.num_named_barrier, 0
	.set _ZN7rocprim17ROCPRIM_400000_NS6detail17trampoline_kernelINS0_13select_configILj256ELj13ELNS0_17block_load_methodE3ELS4_3ELS4_3ELNS0_20block_scan_algorithmE0ELj4294967295EEENS1_25partition_config_selectorILNS1_17partition_subalgoE4EjNS0_10empty_typeEbEEZZNS1_14partition_implILS8_4ELb0ES6_15HIP_vector_typeIjLj2EENS0_17counting_iteratorIjlEEPS9_SG_NS0_5tupleIJPjSI_NS0_16reverse_iteratorISI_EEEEENSH_IJSG_SG_SG_EEES9_SI_JZNS1_25segmented_radix_sort_implINS0_14default_configELb0EPKlPlSQ_SR_N2at6native12_GLOBAL__N_18offset_tEEE10hipError_tPvRmT1_PNSt15iterator_traitsISZ_E10value_typeET2_T3_PNS10_IS15_E10value_typeET4_jRbjT5_S1B_jjP12ihipStream_tbEUljE_ZNSN_ISO_Lb0ESQ_SR_SQ_SR_SV_EESW_SX_SY_SZ_S13_S14_S15_S18_S19_jS1A_jS1B_S1B_jjS1D_bEUljE0_EEESW_SX_SY_S15_S19_S1B_T6_T7_T9_mT8_S1D_bDpT10_ENKUlT_T0_E_clISt17integral_constantIbLb0EES1Q_IbLb1EEEEDaS1M_S1N_EUlS1M_E_NS1_11comp_targetILNS1_3genE4ELNS1_11target_archE910ELNS1_3gpuE8ELNS1_3repE0EEENS1_30default_config_static_selectorELNS0_4arch9wavefront6targetE0EEEvSZ_.private_seg_size, 0
	.set _ZN7rocprim17ROCPRIM_400000_NS6detail17trampoline_kernelINS0_13select_configILj256ELj13ELNS0_17block_load_methodE3ELS4_3ELS4_3ELNS0_20block_scan_algorithmE0ELj4294967295EEENS1_25partition_config_selectorILNS1_17partition_subalgoE4EjNS0_10empty_typeEbEEZZNS1_14partition_implILS8_4ELb0ES6_15HIP_vector_typeIjLj2EENS0_17counting_iteratorIjlEEPS9_SG_NS0_5tupleIJPjSI_NS0_16reverse_iteratorISI_EEEEENSH_IJSG_SG_SG_EEES9_SI_JZNS1_25segmented_radix_sort_implINS0_14default_configELb0EPKlPlSQ_SR_N2at6native12_GLOBAL__N_18offset_tEEE10hipError_tPvRmT1_PNSt15iterator_traitsISZ_E10value_typeET2_T3_PNS10_IS15_E10value_typeET4_jRbjT5_S1B_jjP12ihipStream_tbEUljE_ZNSN_ISO_Lb0ESQ_SR_SQ_SR_SV_EESW_SX_SY_SZ_S13_S14_S15_S18_S19_jS1A_jS1B_S1B_jjS1D_bEUljE0_EEESW_SX_SY_S15_S19_S1B_T6_T7_T9_mT8_S1D_bDpT10_ENKUlT_T0_E_clISt17integral_constantIbLb0EES1Q_IbLb1EEEEDaS1M_S1N_EUlS1M_E_NS1_11comp_targetILNS1_3genE4ELNS1_11target_archE910ELNS1_3gpuE8ELNS1_3repE0EEENS1_30default_config_static_selectorELNS0_4arch9wavefront6targetE0EEEvSZ_.uses_vcc, 0
	.set _ZN7rocprim17ROCPRIM_400000_NS6detail17trampoline_kernelINS0_13select_configILj256ELj13ELNS0_17block_load_methodE3ELS4_3ELS4_3ELNS0_20block_scan_algorithmE0ELj4294967295EEENS1_25partition_config_selectorILNS1_17partition_subalgoE4EjNS0_10empty_typeEbEEZZNS1_14partition_implILS8_4ELb0ES6_15HIP_vector_typeIjLj2EENS0_17counting_iteratorIjlEEPS9_SG_NS0_5tupleIJPjSI_NS0_16reverse_iteratorISI_EEEEENSH_IJSG_SG_SG_EEES9_SI_JZNS1_25segmented_radix_sort_implINS0_14default_configELb0EPKlPlSQ_SR_N2at6native12_GLOBAL__N_18offset_tEEE10hipError_tPvRmT1_PNSt15iterator_traitsISZ_E10value_typeET2_T3_PNS10_IS15_E10value_typeET4_jRbjT5_S1B_jjP12ihipStream_tbEUljE_ZNSN_ISO_Lb0ESQ_SR_SQ_SR_SV_EESW_SX_SY_SZ_S13_S14_S15_S18_S19_jS1A_jS1B_S1B_jjS1D_bEUljE0_EEESW_SX_SY_S15_S19_S1B_T6_T7_T9_mT8_S1D_bDpT10_ENKUlT_T0_E_clISt17integral_constantIbLb0EES1Q_IbLb1EEEEDaS1M_S1N_EUlS1M_E_NS1_11comp_targetILNS1_3genE4ELNS1_11target_archE910ELNS1_3gpuE8ELNS1_3repE0EEENS1_30default_config_static_selectorELNS0_4arch9wavefront6targetE0EEEvSZ_.uses_flat_scratch, 0
	.set _ZN7rocprim17ROCPRIM_400000_NS6detail17trampoline_kernelINS0_13select_configILj256ELj13ELNS0_17block_load_methodE3ELS4_3ELS4_3ELNS0_20block_scan_algorithmE0ELj4294967295EEENS1_25partition_config_selectorILNS1_17partition_subalgoE4EjNS0_10empty_typeEbEEZZNS1_14partition_implILS8_4ELb0ES6_15HIP_vector_typeIjLj2EENS0_17counting_iteratorIjlEEPS9_SG_NS0_5tupleIJPjSI_NS0_16reverse_iteratorISI_EEEEENSH_IJSG_SG_SG_EEES9_SI_JZNS1_25segmented_radix_sort_implINS0_14default_configELb0EPKlPlSQ_SR_N2at6native12_GLOBAL__N_18offset_tEEE10hipError_tPvRmT1_PNSt15iterator_traitsISZ_E10value_typeET2_T3_PNS10_IS15_E10value_typeET4_jRbjT5_S1B_jjP12ihipStream_tbEUljE_ZNSN_ISO_Lb0ESQ_SR_SQ_SR_SV_EESW_SX_SY_SZ_S13_S14_S15_S18_S19_jS1A_jS1B_S1B_jjS1D_bEUljE0_EEESW_SX_SY_S15_S19_S1B_T6_T7_T9_mT8_S1D_bDpT10_ENKUlT_T0_E_clISt17integral_constantIbLb0EES1Q_IbLb1EEEEDaS1M_S1N_EUlS1M_E_NS1_11comp_targetILNS1_3genE4ELNS1_11target_archE910ELNS1_3gpuE8ELNS1_3repE0EEENS1_30default_config_static_selectorELNS0_4arch9wavefront6targetE0EEEvSZ_.has_dyn_sized_stack, 0
	.set _ZN7rocprim17ROCPRIM_400000_NS6detail17trampoline_kernelINS0_13select_configILj256ELj13ELNS0_17block_load_methodE3ELS4_3ELS4_3ELNS0_20block_scan_algorithmE0ELj4294967295EEENS1_25partition_config_selectorILNS1_17partition_subalgoE4EjNS0_10empty_typeEbEEZZNS1_14partition_implILS8_4ELb0ES6_15HIP_vector_typeIjLj2EENS0_17counting_iteratorIjlEEPS9_SG_NS0_5tupleIJPjSI_NS0_16reverse_iteratorISI_EEEEENSH_IJSG_SG_SG_EEES9_SI_JZNS1_25segmented_radix_sort_implINS0_14default_configELb0EPKlPlSQ_SR_N2at6native12_GLOBAL__N_18offset_tEEE10hipError_tPvRmT1_PNSt15iterator_traitsISZ_E10value_typeET2_T3_PNS10_IS15_E10value_typeET4_jRbjT5_S1B_jjP12ihipStream_tbEUljE_ZNSN_ISO_Lb0ESQ_SR_SQ_SR_SV_EESW_SX_SY_SZ_S13_S14_S15_S18_S19_jS1A_jS1B_S1B_jjS1D_bEUljE0_EEESW_SX_SY_S15_S19_S1B_T6_T7_T9_mT8_S1D_bDpT10_ENKUlT_T0_E_clISt17integral_constantIbLb0EES1Q_IbLb1EEEEDaS1M_S1N_EUlS1M_E_NS1_11comp_targetILNS1_3genE4ELNS1_11target_archE910ELNS1_3gpuE8ELNS1_3repE0EEENS1_30default_config_static_selectorELNS0_4arch9wavefront6targetE0EEEvSZ_.has_recursion, 0
	.set _ZN7rocprim17ROCPRIM_400000_NS6detail17trampoline_kernelINS0_13select_configILj256ELj13ELNS0_17block_load_methodE3ELS4_3ELS4_3ELNS0_20block_scan_algorithmE0ELj4294967295EEENS1_25partition_config_selectorILNS1_17partition_subalgoE4EjNS0_10empty_typeEbEEZZNS1_14partition_implILS8_4ELb0ES6_15HIP_vector_typeIjLj2EENS0_17counting_iteratorIjlEEPS9_SG_NS0_5tupleIJPjSI_NS0_16reverse_iteratorISI_EEEEENSH_IJSG_SG_SG_EEES9_SI_JZNS1_25segmented_radix_sort_implINS0_14default_configELb0EPKlPlSQ_SR_N2at6native12_GLOBAL__N_18offset_tEEE10hipError_tPvRmT1_PNSt15iterator_traitsISZ_E10value_typeET2_T3_PNS10_IS15_E10value_typeET4_jRbjT5_S1B_jjP12ihipStream_tbEUljE_ZNSN_ISO_Lb0ESQ_SR_SQ_SR_SV_EESW_SX_SY_SZ_S13_S14_S15_S18_S19_jS1A_jS1B_S1B_jjS1D_bEUljE0_EEESW_SX_SY_S15_S19_S1B_T6_T7_T9_mT8_S1D_bDpT10_ENKUlT_T0_E_clISt17integral_constantIbLb0EES1Q_IbLb1EEEEDaS1M_S1N_EUlS1M_E_NS1_11comp_targetILNS1_3genE4ELNS1_11target_archE910ELNS1_3gpuE8ELNS1_3repE0EEENS1_30default_config_static_selectorELNS0_4arch9wavefront6targetE0EEEvSZ_.has_indirect_call, 0
	.section	.AMDGPU.csdata,"",@progbits
; Kernel info:
; codeLenInByte = 0
; TotalNumSgprs: 0
; NumVgprs: 0
; ScratchSize: 0
; MemoryBound: 0
; FloatMode: 240
; IeeeMode: 1
; LDSByteSize: 0 bytes/workgroup (compile time only)
; SGPRBlocks: 0
; VGPRBlocks: 0
; NumSGPRsForWavesPerEU: 1
; NumVGPRsForWavesPerEU: 1
; NamedBarCnt: 0
; Occupancy: 16
; WaveLimiterHint : 0
; COMPUTE_PGM_RSRC2:SCRATCH_EN: 0
; COMPUTE_PGM_RSRC2:USER_SGPR: 2
; COMPUTE_PGM_RSRC2:TRAP_HANDLER: 0
; COMPUTE_PGM_RSRC2:TGID_X_EN: 1
; COMPUTE_PGM_RSRC2:TGID_Y_EN: 0
; COMPUTE_PGM_RSRC2:TGID_Z_EN: 0
; COMPUTE_PGM_RSRC2:TIDIG_COMP_CNT: 0
	.section	.text._ZN7rocprim17ROCPRIM_400000_NS6detail17trampoline_kernelINS0_13select_configILj256ELj13ELNS0_17block_load_methodE3ELS4_3ELS4_3ELNS0_20block_scan_algorithmE0ELj4294967295EEENS1_25partition_config_selectorILNS1_17partition_subalgoE4EjNS0_10empty_typeEbEEZZNS1_14partition_implILS8_4ELb0ES6_15HIP_vector_typeIjLj2EENS0_17counting_iteratorIjlEEPS9_SG_NS0_5tupleIJPjSI_NS0_16reverse_iteratorISI_EEEEENSH_IJSG_SG_SG_EEES9_SI_JZNS1_25segmented_radix_sort_implINS0_14default_configELb0EPKlPlSQ_SR_N2at6native12_GLOBAL__N_18offset_tEEE10hipError_tPvRmT1_PNSt15iterator_traitsISZ_E10value_typeET2_T3_PNS10_IS15_E10value_typeET4_jRbjT5_S1B_jjP12ihipStream_tbEUljE_ZNSN_ISO_Lb0ESQ_SR_SQ_SR_SV_EESW_SX_SY_SZ_S13_S14_S15_S18_S19_jS1A_jS1B_S1B_jjS1D_bEUljE0_EEESW_SX_SY_S15_S19_S1B_T6_T7_T9_mT8_S1D_bDpT10_ENKUlT_T0_E_clISt17integral_constantIbLb0EES1Q_IbLb1EEEEDaS1M_S1N_EUlS1M_E_NS1_11comp_targetILNS1_3genE3ELNS1_11target_archE908ELNS1_3gpuE7ELNS1_3repE0EEENS1_30default_config_static_selectorELNS0_4arch9wavefront6targetE0EEEvSZ_,"axG",@progbits,_ZN7rocprim17ROCPRIM_400000_NS6detail17trampoline_kernelINS0_13select_configILj256ELj13ELNS0_17block_load_methodE3ELS4_3ELS4_3ELNS0_20block_scan_algorithmE0ELj4294967295EEENS1_25partition_config_selectorILNS1_17partition_subalgoE4EjNS0_10empty_typeEbEEZZNS1_14partition_implILS8_4ELb0ES6_15HIP_vector_typeIjLj2EENS0_17counting_iteratorIjlEEPS9_SG_NS0_5tupleIJPjSI_NS0_16reverse_iteratorISI_EEEEENSH_IJSG_SG_SG_EEES9_SI_JZNS1_25segmented_radix_sort_implINS0_14default_configELb0EPKlPlSQ_SR_N2at6native12_GLOBAL__N_18offset_tEEE10hipError_tPvRmT1_PNSt15iterator_traitsISZ_E10value_typeET2_T3_PNS10_IS15_E10value_typeET4_jRbjT5_S1B_jjP12ihipStream_tbEUljE_ZNSN_ISO_Lb0ESQ_SR_SQ_SR_SV_EESW_SX_SY_SZ_S13_S14_S15_S18_S19_jS1A_jS1B_S1B_jjS1D_bEUljE0_EEESW_SX_SY_S15_S19_S1B_T6_T7_T9_mT8_S1D_bDpT10_ENKUlT_T0_E_clISt17integral_constantIbLb0EES1Q_IbLb1EEEEDaS1M_S1N_EUlS1M_E_NS1_11comp_targetILNS1_3genE3ELNS1_11target_archE908ELNS1_3gpuE7ELNS1_3repE0EEENS1_30default_config_static_selectorELNS0_4arch9wavefront6targetE0EEEvSZ_,comdat
	.globl	_ZN7rocprim17ROCPRIM_400000_NS6detail17trampoline_kernelINS0_13select_configILj256ELj13ELNS0_17block_load_methodE3ELS4_3ELS4_3ELNS0_20block_scan_algorithmE0ELj4294967295EEENS1_25partition_config_selectorILNS1_17partition_subalgoE4EjNS0_10empty_typeEbEEZZNS1_14partition_implILS8_4ELb0ES6_15HIP_vector_typeIjLj2EENS0_17counting_iteratorIjlEEPS9_SG_NS0_5tupleIJPjSI_NS0_16reverse_iteratorISI_EEEEENSH_IJSG_SG_SG_EEES9_SI_JZNS1_25segmented_radix_sort_implINS0_14default_configELb0EPKlPlSQ_SR_N2at6native12_GLOBAL__N_18offset_tEEE10hipError_tPvRmT1_PNSt15iterator_traitsISZ_E10value_typeET2_T3_PNS10_IS15_E10value_typeET4_jRbjT5_S1B_jjP12ihipStream_tbEUljE_ZNSN_ISO_Lb0ESQ_SR_SQ_SR_SV_EESW_SX_SY_SZ_S13_S14_S15_S18_S19_jS1A_jS1B_S1B_jjS1D_bEUljE0_EEESW_SX_SY_S15_S19_S1B_T6_T7_T9_mT8_S1D_bDpT10_ENKUlT_T0_E_clISt17integral_constantIbLb0EES1Q_IbLb1EEEEDaS1M_S1N_EUlS1M_E_NS1_11comp_targetILNS1_3genE3ELNS1_11target_archE908ELNS1_3gpuE7ELNS1_3repE0EEENS1_30default_config_static_selectorELNS0_4arch9wavefront6targetE0EEEvSZ_ ; -- Begin function _ZN7rocprim17ROCPRIM_400000_NS6detail17trampoline_kernelINS0_13select_configILj256ELj13ELNS0_17block_load_methodE3ELS4_3ELS4_3ELNS0_20block_scan_algorithmE0ELj4294967295EEENS1_25partition_config_selectorILNS1_17partition_subalgoE4EjNS0_10empty_typeEbEEZZNS1_14partition_implILS8_4ELb0ES6_15HIP_vector_typeIjLj2EENS0_17counting_iteratorIjlEEPS9_SG_NS0_5tupleIJPjSI_NS0_16reverse_iteratorISI_EEEEENSH_IJSG_SG_SG_EEES9_SI_JZNS1_25segmented_radix_sort_implINS0_14default_configELb0EPKlPlSQ_SR_N2at6native12_GLOBAL__N_18offset_tEEE10hipError_tPvRmT1_PNSt15iterator_traitsISZ_E10value_typeET2_T3_PNS10_IS15_E10value_typeET4_jRbjT5_S1B_jjP12ihipStream_tbEUljE_ZNSN_ISO_Lb0ESQ_SR_SQ_SR_SV_EESW_SX_SY_SZ_S13_S14_S15_S18_S19_jS1A_jS1B_S1B_jjS1D_bEUljE0_EEESW_SX_SY_S15_S19_S1B_T6_T7_T9_mT8_S1D_bDpT10_ENKUlT_T0_E_clISt17integral_constantIbLb0EES1Q_IbLb1EEEEDaS1M_S1N_EUlS1M_E_NS1_11comp_targetILNS1_3genE3ELNS1_11target_archE908ELNS1_3gpuE7ELNS1_3repE0EEENS1_30default_config_static_selectorELNS0_4arch9wavefront6targetE0EEEvSZ_
	.p2align	8
	.type	_ZN7rocprim17ROCPRIM_400000_NS6detail17trampoline_kernelINS0_13select_configILj256ELj13ELNS0_17block_load_methodE3ELS4_3ELS4_3ELNS0_20block_scan_algorithmE0ELj4294967295EEENS1_25partition_config_selectorILNS1_17partition_subalgoE4EjNS0_10empty_typeEbEEZZNS1_14partition_implILS8_4ELb0ES6_15HIP_vector_typeIjLj2EENS0_17counting_iteratorIjlEEPS9_SG_NS0_5tupleIJPjSI_NS0_16reverse_iteratorISI_EEEEENSH_IJSG_SG_SG_EEES9_SI_JZNS1_25segmented_radix_sort_implINS0_14default_configELb0EPKlPlSQ_SR_N2at6native12_GLOBAL__N_18offset_tEEE10hipError_tPvRmT1_PNSt15iterator_traitsISZ_E10value_typeET2_T3_PNS10_IS15_E10value_typeET4_jRbjT5_S1B_jjP12ihipStream_tbEUljE_ZNSN_ISO_Lb0ESQ_SR_SQ_SR_SV_EESW_SX_SY_SZ_S13_S14_S15_S18_S19_jS1A_jS1B_S1B_jjS1D_bEUljE0_EEESW_SX_SY_S15_S19_S1B_T6_T7_T9_mT8_S1D_bDpT10_ENKUlT_T0_E_clISt17integral_constantIbLb0EES1Q_IbLb1EEEEDaS1M_S1N_EUlS1M_E_NS1_11comp_targetILNS1_3genE3ELNS1_11target_archE908ELNS1_3gpuE7ELNS1_3repE0EEENS1_30default_config_static_selectorELNS0_4arch9wavefront6targetE0EEEvSZ_,@function
_ZN7rocprim17ROCPRIM_400000_NS6detail17trampoline_kernelINS0_13select_configILj256ELj13ELNS0_17block_load_methodE3ELS4_3ELS4_3ELNS0_20block_scan_algorithmE0ELj4294967295EEENS1_25partition_config_selectorILNS1_17partition_subalgoE4EjNS0_10empty_typeEbEEZZNS1_14partition_implILS8_4ELb0ES6_15HIP_vector_typeIjLj2EENS0_17counting_iteratorIjlEEPS9_SG_NS0_5tupleIJPjSI_NS0_16reverse_iteratorISI_EEEEENSH_IJSG_SG_SG_EEES9_SI_JZNS1_25segmented_radix_sort_implINS0_14default_configELb0EPKlPlSQ_SR_N2at6native12_GLOBAL__N_18offset_tEEE10hipError_tPvRmT1_PNSt15iterator_traitsISZ_E10value_typeET2_T3_PNS10_IS15_E10value_typeET4_jRbjT5_S1B_jjP12ihipStream_tbEUljE_ZNSN_ISO_Lb0ESQ_SR_SQ_SR_SV_EESW_SX_SY_SZ_S13_S14_S15_S18_S19_jS1A_jS1B_S1B_jjS1D_bEUljE0_EEESW_SX_SY_S15_S19_S1B_T6_T7_T9_mT8_S1D_bDpT10_ENKUlT_T0_E_clISt17integral_constantIbLb0EES1Q_IbLb1EEEEDaS1M_S1N_EUlS1M_E_NS1_11comp_targetILNS1_3genE3ELNS1_11target_archE908ELNS1_3gpuE7ELNS1_3repE0EEENS1_30default_config_static_selectorELNS0_4arch9wavefront6targetE0EEEvSZ_: ; @_ZN7rocprim17ROCPRIM_400000_NS6detail17trampoline_kernelINS0_13select_configILj256ELj13ELNS0_17block_load_methodE3ELS4_3ELS4_3ELNS0_20block_scan_algorithmE0ELj4294967295EEENS1_25partition_config_selectorILNS1_17partition_subalgoE4EjNS0_10empty_typeEbEEZZNS1_14partition_implILS8_4ELb0ES6_15HIP_vector_typeIjLj2EENS0_17counting_iteratorIjlEEPS9_SG_NS0_5tupleIJPjSI_NS0_16reverse_iteratorISI_EEEEENSH_IJSG_SG_SG_EEES9_SI_JZNS1_25segmented_radix_sort_implINS0_14default_configELb0EPKlPlSQ_SR_N2at6native12_GLOBAL__N_18offset_tEEE10hipError_tPvRmT1_PNSt15iterator_traitsISZ_E10value_typeET2_T3_PNS10_IS15_E10value_typeET4_jRbjT5_S1B_jjP12ihipStream_tbEUljE_ZNSN_ISO_Lb0ESQ_SR_SQ_SR_SV_EESW_SX_SY_SZ_S13_S14_S15_S18_S19_jS1A_jS1B_S1B_jjS1D_bEUljE0_EEESW_SX_SY_S15_S19_S1B_T6_T7_T9_mT8_S1D_bDpT10_ENKUlT_T0_E_clISt17integral_constantIbLb0EES1Q_IbLb1EEEEDaS1M_S1N_EUlS1M_E_NS1_11comp_targetILNS1_3genE3ELNS1_11target_archE908ELNS1_3gpuE7ELNS1_3repE0EEENS1_30default_config_static_selectorELNS0_4arch9wavefront6targetE0EEEvSZ_
; %bb.0:
	.section	.rodata,"a",@progbits
	.p2align	6, 0x0
	.amdhsa_kernel _ZN7rocprim17ROCPRIM_400000_NS6detail17trampoline_kernelINS0_13select_configILj256ELj13ELNS0_17block_load_methodE3ELS4_3ELS4_3ELNS0_20block_scan_algorithmE0ELj4294967295EEENS1_25partition_config_selectorILNS1_17partition_subalgoE4EjNS0_10empty_typeEbEEZZNS1_14partition_implILS8_4ELb0ES6_15HIP_vector_typeIjLj2EENS0_17counting_iteratorIjlEEPS9_SG_NS0_5tupleIJPjSI_NS0_16reverse_iteratorISI_EEEEENSH_IJSG_SG_SG_EEES9_SI_JZNS1_25segmented_radix_sort_implINS0_14default_configELb0EPKlPlSQ_SR_N2at6native12_GLOBAL__N_18offset_tEEE10hipError_tPvRmT1_PNSt15iterator_traitsISZ_E10value_typeET2_T3_PNS10_IS15_E10value_typeET4_jRbjT5_S1B_jjP12ihipStream_tbEUljE_ZNSN_ISO_Lb0ESQ_SR_SQ_SR_SV_EESW_SX_SY_SZ_S13_S14_S15_S18_S19_jS1A_jS1B_S1B_jjS1D_bEUljE0_EEESW_SX_SY_S15_S19_S1B_T6_T7_T9_mT8_S1D_bDpT10_ENKUlT_T0_E_clISt17integral_constantIbLb0EES1Q_IbLb1EEEEDaS1M_S1N_EUlS1M_E_NS1_11comp_targetILNS1_3genE3ELNS1_11target_archE908ELNS1_3gpuE7ELNS1_3repE0EEENS1_30default_config_static_selectorELNS0_4arch9wavefront6targetE0EEEvSZ_
		.amdhsa_group_segment_fixed_size 0
		.amdhsa_private_segment_fixed_size 0
		.amdhsa_kernarg_size 184
		.amdhsa_user_sgpr_count 2
		.amdhsa_user_sgpr_dispatch_ptr 0
		.amdhsa_user_sgpr_queue_ptr 0
		.amdhsa_user_sgpr_kernarg_segment_ptr 1
		.amdhsa_user_sgpr_dispatch_id 0
		.amdhsa_user_sgpr_kernarg_preload_length 0
		.amdhsa_user_sgpr_kernarg_preload_offset 0
		.amdhsa_user_sgpr_private_segment_size 0
		.amdhsa_wavefront_size32 1
		.amdhsa_uses_dynamic_stack 0
		.amdhsa_enable_private_segment 0
		.amdhsa_system_sgpr_workgroup_id_x 1
		.amdhsa_system_sgpr_workgroup_id_y 0
		.amdhsa_system_sgpr_workgroup_id_z 0
		.amdhsa_system_sgpr_workgroup_info 0
		.amdhsa_system_vgpr_workitem_id 0
		.amdhsa_next_free_vgpr 1
		.amdhsa_next_free_sgpr 1
		.amdhsa_named_barrier_count 0
		.amdhsa_reserve_vcc 0
		.amdhsa_float_round_mode_32 0
		.amdhsa_float_round_mode_16_64 0
		.amdhsa_float_denorm_mode_32 3
		.amdhsa_float_denorm_mode_16_64 3
		.amdhsa_fp16_overflow 0
		.amdhsa_memory_ordered 1
		.amdhsa_forward_progress 1
		.amdhsa_inst_pref_size 0
		.amdhsa_round_robin_scheduling 0
		.amdhsa_exception_fp_ieee_invalid_op 0
		.amdhsa_exception_fp_denorm_src 0
		.amdhsa_exception_fp_ieee_div_zero 0
		.amdhsa_exception_fp_ieee_overflow 0
		.amdhsa_exception_fp_ieee_underflow 0
		.amdhsa_exception_fp_ieee_inexact 0
		.amdhsa_exception_int_div_zero 0
	.end_amdhsa_kernel
	.section	.text._ZN7rocprim17ROCPRIM_400000_NS6detail17trampoline_kernelINS0_13select_configILj256ELj13ELNS0_17block_load_methodE3ELS4_3ELS4_3ELNS0_20block_scan_algorithmE0ELj4294967295EEENS1_25partition_config_selectorILNS1_17partition_subalgoE4EjNS0_10empty_typeEbEEZZNS1_14partition_implILS8_4ELb0ES6_15HIP_vector_typeIjLj2EENS0_17counting_iteratorIjlEEPS9_SG_NS0_5tupleIJPjSI_NS0_16reverse_iteratorISI_EEEEENSH_IJSG_SG_SG_EEES9_SI_JZNS1_25segmented_radix_sort_implINS0_14default_configELb0EPKlPlSQ_SR_N2at6native12_GLOBAL__N_18offset_tEEE10hipError_tPvRmT1_PNSt15iterator_traitsISZ_E10value_typeET2_T3_PNS10_IS15_E10value_typeET4_jRbjT5_S1B_jjP12ihipStream_tbEUljE_ZNSN_ISO_Lb0ESQ_SR_SQ_SR_SV_EESW_SX_SY_SZ_S13_S14_S15_S18_S19_jS1A_jS1B_S1B_jjS1D_bEUljE0_EEESW_SX_SY_S15_S19_S1B_T6_T7_T9_mT8_S1D_bDpT10_ENKUlT_T0_E_clISt17integral_constantIbLb0EES1Q_IbLb1EEEEDaS1M_S1N_EUlS1M_E_NS1_11comp_targetILNS1_3genE3ELNS1_11target_archE908ELNS1_3gpuE7ELNS1_3repE0EEENS1_30default_config_static_selectorELNS0_4arch9wavefront6targetE0EEEvSZ_,"axG",@progbits,_ZN7rocprim17ROCPRIM_400000_NS6detail17trampoline_kernelINS0_13select_configILj256ELj13ELNS0_17block_load_methodE3ELS4_3ELS4_3ELNS0_20block_scan_algorithmE0ELj4294967295EEENS1_25partition_config_selectorILNS1_17partition_subalgoE4EjNS0_10empty_typeEbEEZZNS1_14partition_implILS8_4ELb0ES6_15HIP_vector_typeIjLj2EENS0_17counting_iteratorIjlEEPS9_SG_NS0_5tupleIJPjSI_NS0_16reverse_iteratorISI_EEEEENSH_IJSG_SG_SG_EEES9_SI_JZNS1_25segmented_radix_sort_implINS0_14default_configELb0EPKlPlSQ_SR_N2at6native12_GLOBAL__N_18offset_tEEE10hipError_tPvRmT1_PNSt15iterator_traitsISZ_E10value_typeET2_T3_PNS10_IS15_E10value_typeET4_jRbjT5_S1B_jjP12ihipStream_tbEUljE_ZNSN_ISO_Lb0ESQ_SR_SQ_SR_SV_EESW_SX_SY_SZ_S13_S14_S15_S18_S19_jS1A_jS1B_S1B_jjS1D_bEUljE0_EEESW_SX_SY_S15_S19_S1B_T6_T7_T9_mT8_S1D_bDpT10_ENKUlT_T0_E_clISt17integral_constantIbLb0EES1Q_IbLb1EEEEDaS1M_S1N_EUlS1M_E_NS1_11comp_targetILNS1_3genE3ELNS1_11target_archE908ELNS1_3gpuE7ELNS1_3repE0EEENS1_30default_config_static_selectorELNS0_4arch9wavefront6targetE0EEEvSZ_,comdat
.Lfunc_end766:
	.size	_ZN7rocprim17ROCPRIM_400000_NS6detail17trampoline_kernelINS0_13select_configILj256ELj13ELNS0_17block_load_methodE3ELS4_3ELS4_3ELNS0_20block_scan_algorithmE0ELj4294967295EEENS1_25partition_config_selectorILNS1_17partition_subalgoE4EjNS0_10empty_typeEbEEZZNS1_14partition_implILS8_4ELb0ES6_15HIP_vector_typeIjLj2EENS0_17counting_iteratorIjlEEPS9_SG_NS0_5tupleIJPjSI_NS0_16reverse_iteratorISI_EEEEENSH_IJSG_SG_SG_EEES9_SI_JZNS1_25segmented_radix_sort_implINS0_14default_configELb0EPKlPlSQ_SR_N2at6native12_GLOBAL__N_18offset_tEEE10hipError_tPvRmT1_PNSt15iterator_traitsISZ_E10value_typeET2_T3_PNS10_IS15_E10value_typeET4_jRbjT5_S1B_jjP12ihipStream_tbEUljE_ZNSN_ISO_Lb0ESQ_SR_SQ_SR_SV_EESW_SX_SY_SZ_S13_S14_S15_S18_S19_jS1A_jS1B_S1B_jjS1D_bEUljE0_EEESW_SX_SY_S15_S19_S1B_T6_T7_T9_mT8_S1D_bDpT10_ENKUlT_T0_E_clISt17integral_constantIbLb0EES1Q_IbLb1EEEEDaS1M_S1N_EUlS1M_E_NS1_11comp_targetILNS1_3genE3ELNS1_11target_archE908ELNS1_3gpuE7ELNS1_3repE0EEENS1_30default_config_static_selectorELNS0_4arch9wavefront6targetE0EEEvSZ_, .Lfunc_end766-_ZN7rocprim17ROCPRIM_400000_NS6detail17trampoline_kernelINS0_13select_configILj256ELj13ELNS0_17block_load_methodE3ELS4_3ELS4_3ELNS0_20block_scan_algorithmE0ELj4294967295EEENS1_25partition_config_selectorILNS1_17partition_subalgoE4EjNS0_10empty_typeEbEEZZNS1_14partition_implILS8_4ELb0ES6_15HIP_vector_typeIjLj2EENS0_17counting_iteratorIjlEEPS9_SG_NS0_5tupleIJPjSI_NS0_16reverse_iteratorISI_EEEEENSH_IJSG_SG_SG_EEES9_SI_JZNS1_25segmented_radix_sort_implINS0_14default_configELb0EPKlPlSQ_SR_N2at6native12_GLOBAL__N_18offset_tEEE10hipError_tPvRmT1_PNSt15iterator_traitsISZ_E10value_typeET2_T3_PNS10_IS15_E10value_typeET4_jRbjT5_S1B_jjP12ihipStream_tbEUljE_ZNSN_ISO_Lb0ESQ_SR_SQ_SR_SV_EESW_SX_SY_SZ_S13_S14_S15_S18_S19_jS1A_jS1B_S1B_jjS1D_bEUljE0_EEESW_SX_SY_S15_S19_S1B_T6_T7_T9_mT8_S1D_bDpT10_ENKUlT_T0_E_clISt17integral_constantIbLb0EES1Q_IbLb1EEEEDaS1M_S1N_EUlS1M_E_NS1_11comp_targetILNS1_3genE3ELNS1_11target_archE908ELNS1_3gpuE7ELNS1_3repE0EEENS1_30default_config_static_selectorELNS0_4arch9wavefront6targetE0EEEvSZ_
                                        ; -- End function
	.set _ZN7rocprim17ROCPRIM_400000_NS6detail17trampoline_kernelINS0_13select_configILj256ELj13ELNS0_17block_load_methodE3ELS4_3ELS4_3ELNS0_20block_scan_algorithmE0ELj4294967295EEENS1_25partition_config_selectorILNS1_17partition_subalgoE4EjNS0_10empty_typeEbEEZZNS1_14partition_implILS8_4ELb0ES6_15HIP_vector_typeIjLj2EENS0_17counting_iteratorIjlEEPS9_SG_NS0_5tupleIJPjSI_NS0_16reverse_iteratorISI_EEEEENSH_IJSG_SG_SG_EEES9_SI_JZNS1_25segmented_radix_sort_implINS0_14default_configELb0EPKlPlSQ_SR_N2at6native12_GLOBAL__N_18offset_tEEE10hipError_tPvRmT1_PNSt15iterator_traitsISZ_E10value_typeET2_T3_PNS10_IS15_E10value_typeET4_jRbjT5_S1B_jjP12ihipStream_tbEUljE_ZNSN_ISO_Lb0ESQ_SR_SQ_SR_SV_EESW_SX_SY_SZ_S13_S14_S15_S18_S19_jS1A_jS1B_S1B_jjS1D_bEUljE0_EEESW_SX_SY_S15_S19_S1B_T6_T7_T9_mT8_S1D_bDpT10_ENKUlT_T0_E_clISt17integral_constantIbLb0EES1Q_IbLb1EEEEDaS1M_S1N_EUlS1M_E_NS1_11comp_targetILNS1_3genE3ELNS1_11target_archE908ELNS1_3gpuE7ELNS1_3repE0EEENS1_30default_config_static_selectorELNS0_4arch9wavefront6targetE0EEEvSZ_.num_vgpr, 0
	.set _ZN7rocprim17ROCPRIM_400000_NS6detail17trampoline_kernelINS0_13select_configILj256ELj13ELNS0_17block_load_methodE3ELS4_3ELS4_3ELNS0_20block_scan_algorithmE0ELj4294967295EEENS1_25partition_config_selectorILNS1_17partition_subalgoE4EjNS0_10empty_typeEbEEZZNS1_14partition_implILS8_4ELb0ES6_15HIP_vector_typeIjLj2EENS0_17counting_iteratorIjlEEPS9_SG_NS0_5tupleIJPjSI_NS0_16reverse_iteratorISI_EEEEENSH_IJSG_SG_SG_EEES9_SI_JZNS1_25segmented_radix_sort_implINS0_14default_configELb0EPKlPlSQ_SR_N2at6native12_GLOBAL__N_18offset_tEEE10hipError_tPvRmT1_PNSt15iterator_traitsISZ_E10value_typeET2_T3_PNS10_IS15_E10value_typeET4_jRbjT5_S1B_jjP12ihipStream_tbEUljE_ZNSN_ISO_Lb0ESQ_SR_SQ_SR_SV_EESW_SX_SY_SZ_S13_S14_S15_S18_S19_jS1A_jS1B_S1B_jjS1D_bEUljE0_EEESW_SX_SY_S15_S19_S1B_T6_T7_T9_mT8_S1D_bDpT10_ENKUlT_T0_E_clISt17integral_constantIbLb0EES1Q_IbLb1EEEEDaS1M_S1N_EUlS1M_E_NS1_11comp_targetILNS1_3genE3ELNS1_11target_archE908ELNS1_3gpuE7ELNS1_3repE0EEENS1_30default_config_static_selectorELNS0_4arch9wavefront6targetE0EEEvSZ_.num_agpr, 0
	.set _ZN7rocprim17ROCPRIM_400000_NS6detail17trampoline_kernelINS0_13select_configILj256ELj13ELNS0_17block_load_methodE3ELS4_3ELS4_3ELNS0_20block_scan_algorithmE0ELj4294967295EEENS1_25partition_config_selectorILNS1_17partition_subalgoE4EjNS0_10empty_typeEbEEZZNS1_14partition_implILS8_4ELb0ES6_15HIP_vector_typeIjLj2EENS0_17counting_iteratorIjlEEPS9_SG_NS0_5tupleIJPjSI_NS0_16reverse_iteratorISI_EEEEENSH_IJSG_SG_SG_EEES9_SI_JZNS1_25segmented_radix_sort_implINS0_14default_configELb0EPKlPlSQ_SR_N2at6native12_GLOBAL__N_18offset_tEEE10hipError_tPvRmT1_PNSt15iterator_traitsISZ_E10value_typeET2_T3_PNS10_IS15_E10value_typeET4_jRbjT5_S1B_jjP12ihipStream_tbEUljE_ZNSN_ISO_Lb0ESQ_SR_SQ_SR_SV_EESW_SX_SY_SZ_S13_S14_S15_S18_S19_jS1A_jS1B_S1B_jjS1D_bEUljE0_EEESW_SX_SY_S15_S19_S1B_T6_T7_T9_mT8_S1D_bDpT10_ENKUlT_T0_E_clISt17integral_constantIbLb0EES1Q_IbLb1EEEEDaS1M_S1N_EUlS1M_E_NS1_11comp_targetILNS1_3genE3ELNS1_11target_archE908ELNS1_3gpuE7ELNS1_3repE0EEENS1_30default_config_static_selectorELNS0_4arch9wavefront6targetE0EEEvSZ_.numbered_sgpr, 0
	.set _ZN7rocprim17ROCPRIM_400000_NS6detail17trampoline_kernelINS0_13select_configILj256ELj13ELNS0_17block_load_methodE3ELS4_3ELS4_3ELNS0_20block_scan_algorithmE0ELj4294967295EEENS1_25partition_config_selectorILNS1_17partition_subalgoE4EjNS0_10empty_typeEbEEZZNS1_14partition_implILS8_4ELb0ES6_15HIP_vector_typeIjLj2EENS0_17counting_iteratorIjlEEPS9_SG_NS0_5tupleIJPjSI_NS0_16reverse_iteratorISI_EEEEENSH_IJSG_SG_SG_EEES9_SI_JZNS1_25segmented_radix_sort_implINS0_14default_configELb0EPKlPlSQ_SR_N2at6native12_GLOBAL__N_18offset_tEEE10hipError_tPvRmT1_PNSt15iterator_traitsISZ_E10value_typeET2_T3_PNS10_IS15_E10value_typeET4_jRbjT5_S1B_jjP12ihipStream_tbEUljE_ZNSN_ISO_Lb0ESQ_SR_SQ_SR_SV_EESW_SX_SY_SZ_S13_S14_S15_S18_S19_jS1A_jS1B_S1B_jjS1D_bEUljE0_EEESW_SX_SY_S15_S19_S1B_T6_T7_T9_mT8_S1D_bDpT10_ENKUlT_T0_E_clISt17integral_constantIbLb0EES1Q_IbLb1EEEEDaS1M_S1N_EUlS1M_E_NS1_11comp_targetILNS1_3genE3ELNS1_11target_archE908ELNS1_3gpuE7ELNS1_3repE0EEENS1_30default_config_static_selectorELNS0_4arch9wavefront6targetE0EEEvSZ_.num_named_barrier, 0
	.set _ZN7rocprim17ROCPRIM_400000_NS6detail17trampoline_kernelINS0_13select_configILj256ELj13ELNS0_17block_load_methodE3ELS4_3ELS4_3ELNS0_20block_scan_algorithmE0ELj4294967295EEENS1_25partition_config_selectorILNS1_17partition_subalgoE4EjNS0_10empty_typeEbEEZZNS1_14partition_implILS8_4ELb0ES6_15HIP_vector_typeIjLj2EENS0_17counting_iteratorIjlEEPS9_SG_NS0_5tupleIJPjSI_NS0_16reverse_iteratorISI_EEEEENSH_IJSG_SG_SG_EEES9_SI_JZNS1_25segmented_radix_sort_implINS0_14default_configELb0EPKlPlSQ_SR_N2at6native12_GLOBAL__N_18offset_tEEE10hipError_tPvRmT1_PNSt15iterator_traitsISZ_E10value_typeET2_T3_PNS10_IS15_E10value_typeET4_jRbjT5_S1B_jjP12ihipStream_tbEUljE_ZNSN_ISO_Lb0ESQ_SR_SQ_SR_SV_EESW_SX_SY_SZ_S13_S14_S15_S18_S19_jS1A_jS1B_S1B_jjS1D_bEUljE0_EEESW_SX_SY_S15_S19_S1B_T6_T7_T9_mT8_S1D_bDpT10_ENKUlT_T0_E_clISt17integral_constantIbLb0EES1Q_IbLb1EEEEDaS1M_S1N_EUlS1M_E_NS1_11comp_targetILNS1_3genE3ELNS1_11target_archE908ELNS1_3gpuE7ELNS1_3repE0EEENS1_30default_config_static_selectorELNS0_4arch9wavefront6targetE0EEEvSZ_.private_seg_size, 0
	.set _ZN7rocprim17ROCPRIM_400000_NS6detail17trampoline_kernelINS0_13select_configILj256ELj13ELNS0_17block_load_methodE3ELS4_3ELS4_3ELNS0_20block_scan_algorithmE0ELj4294967295EEENS1_25partition_config_selectorILNS1_17partition_subalgoE4EjNS0_10empty_typeEbEEZZNS1_14partition_implILS8_4ELb0ES6_15HIP_vector_typeIjLj2EENS0_17counting_iteratorIjlEEPS9_SG_NS0_5tupleIJPjSI_NS0_16reverse_iteratorISI_EEEEENSH_IJSG_SG_SG_EEES9_SI_JZNS1_25segmented_radix_sort_implINS0_14default_configELb0EPKlPlSQ_SR_N2at6native12_GLOBAL__N_18offset_tEEE10hipError_tPvRmT1_PNSt15iterator_traitsISZ_E10value_typeET2_T3_PNS10_IS15_E10value_typeET4_jRbjT5_S1B_jjP12ihipStream_tbEUljE_ZNSN_ISO_Lb0ESQ_SR_SQ_SR_SV_EESW_SX_SY_SZ_S13_S14_S15_S18_S19_jS1A_jS1B_S1B_jjS1D_bEUljE0_EEESW_SX_SY_S15_S19_S1B_T6_T7_T9_mT8_S1D_bDpT10_ENKUlT_T0_E_clISt17integral_constantIbLb0EES1Q_IbLb1EEEEDaS1M_S1N_EUlS1M_E_NS1_11comp_targetILNS1_3genE3ELNS1_11target_archE908ELNS1_3gpuE7ELNS1_3repE0EEENS1_30default_config_static_selectorELNS0_4arch9wavefront6targetE0EEEvSZ_.uses_vcc, 0
	.set _ZN7rocprim17ROCPRIM_400000_NS6detail17trampoline_kernelINS0_13select_configILj256ELj13ELNS0_17block_load_methodE3ELS4_3ELS4_3ELNS0_20block_scan_algorithmE0ELj4294967295EEENS1_25partition_config_selectorILNS1_17partition_subalgoE4EjNS0_10empty_typeEbEEZZNS1_14partition_implILS8_4ELb0ES6_15HIP_vector_typeIjLj2EENS0_17counting_iteratorIjlEEPS9_SG_NS0_5tupleIJPjSI_NS0_16reverse_iteratorISI_EEEEENSH_IJSG_SG_SG_EEES9_SI_JZNS1_25segmented_radix_sort_implINS0_14default_configELb0EPKlPlSQ_SR_N2at6native12_GLOBAL__N_18offset_tEEE10hipError_tPvRmT1_PNSt15iterator_traitsISZ_E10value_typeET2_T3_PNS10_IS15_E10value_typeET4_jRbjT5_S1B_jjP12ihipStream_tbEUljE_ZNSN_ISO_Lb0ESQ_SR_SQ_SR_SV_EESW_SX_SY_SZ_S13_S14_S15_S18_S19_jS1A_jS1B_S1B_jjS1D_bEUljE0_EEESW_SX_SY_S15_S19_S1B_T6_T7_T9_mT8_S1D_bDpT10_ENKUlT_T0_E_clISt17integral_constantIbLb0EES1Q_IbLb1EEEEDaS1M_S1N_EUlS1M_E_NS1_11comp_targetILNS1_3genE3ELNS1_11target_archE908ELNS1_3gpuE7ELNS1_3repE0EEENS1_30default_config_static_selectorELNS0_4arch9wavefront6targetE0EEEvSZ_.uses_flat_scratch, 0
	.set _ZN7rocprim17ROCPRIM_400000_NS6detail17trampoline_kernelINS0_13select_configILj256ELj13ELNS0_17block_load_methodE3ELS4_3ELS4_3ELNS0_20block_scan_algorithmE0ELj4294967295EEENS1_25partition_config_selectorILNS1_17partition_subalgoE4EjNS0_10empty_typeEbEEZZNS1_14partition_implILS8_4ELb0ES6_15HIP_vector_typeIjLj2EENS0_17counting_iteratorIjlEEPS9_SG_NS0_5tupleIJPjSI_NS0_16reverse_iteratorISI_EEEEENSH_IJSG_SG_SG_EEES9_SI_JZNS1_25segmented_radix_sort_implINS0_14default_configELb0EPKlPlSQ_SR_N2at6native12_GLOBAL__N_18offset_tEEE10hipError_tPvRmT1_PNSt15iterator_traitsISZ_E10value_typeET2_T3_PNS10_IS15_E10value_typeET4_jRbjT5_S1B_jjP12ihipStream_tbEUljE_ZNSN_ISO_Lb0ESQ_SR_SQ_SR_SV_EESW_SX_SY_SZ_S13_S14_S15_S18_S19_jS1A_jS1B_S1B_jjS1D_bEUljE0_EEESW_SX_SY_S15_S19_S1B_T6_T7_T9_mT8_S1D_bDpT10_ENKUlT_T0_E_clISt17integral_constantIbLb0EES1Q_IbLb1EEEEDaS1M_S1N_EUlS1M_E_NS1_11comp_targetILNS1_3genE3ELNS1_11target_archE908ELNS1_3gpuE7ELNS1_3repE0EEENS1_30default_config_static_selectorELNS0_4arch9wavefront6targetE0EEEvSZ_.has_dyn_sized_stack, 0
	.set _ZN7rocprim17ROCPRIM_400000_NS6detail17trampoline_kernelINS0_13select_configILj256ELj13ELNS0_17block_load_methodE3ELS4_3ELS4_3ELNS0_20block_scan_algorithmE0ELj4294967295EEENS1_25partition_config_selectorILNS1_17partition_subalgoE4EjNS0_10empty_typeEbEEZZNS1_14partition_implILS8_4ELb0ES6_15HIP_vector_typeIjLj2EENS0_17counting_iteratorIjlEEPS9_SG_NS0_5tupleIJPjSI_NS0_16reverse_iteratorISI_EEEEENSH_IJSG_SG_SG_EEES9_SI_JZNS1_25segmented_radix_sort_implINS0_14default_configELb0EPKlPlSQ_SR_N2at6native12_GLOBAL__N_18offset_tEEE10hipError_tPvRmT1_PNSt15iterator_traitsISZ_E10value_typeET2_T3_PNS10_IS15_E10value_typeET4_jRbjT5_S1B_jjP12ihipStream_tbEUljE_ZNSN_ISO_Lb0ESQ_SR_SQ_SR_SV_EESW_SX_SY_SZ_S13_S14_S15_S18_S19_jS1A_jS1B_S1B_jjS1D_bEUljE0_EEESW_SX_SY_S15_S19_S1B_T6_T7_T9_mT8_S1D_bDpT10_ENKUlT_T0_E_clISt17integral_constantIbLb0EES1Q_IbLb1EEEEDaS1M_S1N_EUlS1M_E_NS1_11comp_targetILNS1_3genE3ELNS1_11target_archE908ELNS1_3gpuE7ELNS1_3repE0EEENS1_30default_config_static_selectorELNS0_4arch9wavefront6targetE0EEEvSZ_.has_recursion, 0
	.set _ZN7rocprim17ROCPRIM_400000_NS6detail17trampoline_kernelINS0_13select_configILj256ELj13ELNS0_17block_load_methodE3ELS4_3ELS4_3ELNS0_20block_scan_algorithmE0ELj4294967295EEENS1_25partition_config_selectorILNS1_17partition_subalgoE4EjNS0_10empty_typeEbEEZZNS1_14partition_implILS8_4ELb0ES6_15HIP_vector_typeIjLj2EENS0_17counting_iteratorIjlEEPS9_SG_NS0_5tupleIJPjSI_NS0_16reverse_iteratorISI_EEEEENSH_IJSG_SG_SG_EEES9_SI_JZNS1_25segmented_radix_sort_implINS0_14default_configELb0EPKlPlSQ_SR_N2at6native12_GLOBAL__N_18offset_tEEE10hipError_tPvRmT1_PNSt15iterator_traitsISZ_E10value_typeET2_T3_PNS10_IS15_E10value_typeET4_jRbjT5_S1B_jjP12ihipStream_tbEUljE_ZNSN_ISO_Lb0ESQ_SR_SQ_SR_SV_EESW_SX_SY_SZ_S13_S14_S15_S18_S19_jS1A_jS1B_S1B_jjS1D_bEUljE0_EEESW_SX_SY_S15_S19_S1B_T6_T7_T9_mT8_S1D_bDpT10_ENKUlT_T0_E_clISt17integral_constantIbLb0EES1Q_IbLb1EEEEDaS1M_S1N_EUlS1M_E_NS1_11comp_targetILNS1_3genE3ELNS1_11target_archE908ELNS1_3gpuE7ELNS1_3repE0EEENS1_30default_config_static_selectorELNS0_4arch9wavefront6targetE0EEEvSZ_.has_indirect_call, 0
	.section	.AMDGPU.csdata,"",@progbits
; Kernel info:
; codeLenInByte = 0
; TotalNumSgprs: 0
; NumVgprs: 0
; ScratchSize: 0
; MemoryBound: 0
; FloatMode: 240
; IeeeMode: 1
; LDSByteSize: 0 bytes/workgroup (compile time only)
; SGPRBlocks: 0
; VGPRBlocks: 0
; NumSGPRsForWavesPerEU: 1
; NumVGPRsForWavesPerEU: 1
; NamedBarCnt: 0
; Occupancy: 16
; WaveLimiterHint : 0
; COMPUTE_PGM_RSRC2:SCRATCH_EN: 0
; COMPUTE_PGM_RSRC2:USER_SGPR: 2
; COMPUTE_PGM_RSRC2:TRAP_HANDLER: 0
; COMPUTE_PGM_RSRC2:TGID_X_EN: 1
; COMPUTE_PGM_RSRC2:TGID_Y_EN: 0
; COMPUTE_PGM_RSRC2:TGID_Z_EN: 0
; COMPUTE_PGM_RSRC2:TIDIG_COMP_CNT: 0
	.section	.text._ZN7rocprim17ROCPRIM_400000_NS6detail17trampoline_kernelINS0_13select_configILj256ELj13ELNS0_17block_load_methodE3ELS4_3ELS4_3ELNS0_20block_scan_algorithmE0ELj4294967295EEENS1_25partition_config_selectorILNS1_17partition_subalgoE4EjNS0_10empty_typeEbEEZZNS1_14partition_implILS8_4ELb0ES6_15HIP_vector_typeIjLj2EENS0_17counting_iteratorIjlEEPS9_SG_NS0_5tupleIJPjSI_NS0_16reverse_iteratorISI_EEEEENSH_IJSG_SG_SG_EEES9_SI_JZNS1_25segmented_radix_sort_implINS0_14default_configELb0EPKlPlSQ_SR_N2at6native12_GLOBAL__N_18offset_tEEE10hipError_tPvRmT1_PNSt15iterator_traitsISZ_E10value_typeET2_T3_PNS10_IS15_E10value_typeET4_jRbjT5_S1B_jjP12ihipStream_tbEUljE_ZNSN_ISO_Lb0ESQ_SR_SQ_SR_SV_EESW_SX_SY_SZ_S13_S14_S15_S18_S19_jS1A_jS1B_S1B_jjS1D_bEUljE0_EEESW_SX_SY_S15_S19_S1B_T6_T7_T9_mT8_S1D_bDpT10_ENKUlT_T0_E_clISt17integral_constantIbLb0EES1Q_IbLb1EEEEDaS1M_S1N_EUlS1M_E_NS1_11comp_targetILNS1_3genE2ELNS1_11target_archE906ELNS1_3gpuE6ELNS1_3repE0EEENS1_30default_config_static_selectorELNS0_4arch9wavefront6targetE0EEEvSZ_,"axG",@progbits,_ZN7rocprim17ROCPRIM_400000_NS6detail17trampoline_kernelINS0_13select_configILj256ELj13ELNS0_17block_load_methodE3ELS4_3ELS4_3ELNS0_20block_scan_algorithmE0ELj4294967295EEENS1_25partition_config_selectorILNS1_17partition_subalgoE4EjNS0_10empty_typeEbEEZZNS1_14partition_implILS8_4ELb0ES6_15HIP_vector_typeIjLj2EENS0_17counting_iteratorIjlEEPS9_SG_NS0_5tupleIJPjSI_NS0_16reverse_iteratorISI_EEEEENSH_IJSG_SG_SG_EEES9_SI_JZNS1_25segmented_radix_sort_implINS0_14default_configELb0EPKlPlSQ_SR_N2at6native12_GLOBAL__N_18offset_tEEE10hipError_tPvRmT1_PNSt15iterator_traitsISZ_E10value_typeET2_T3_PNS10_IS15_E10value_typeET4_jRbjT5_S1B_jjP12ihipStream_tbEUljE_ZNSN_ISO_Lb0ESQ_SR_SQ_SR_SV_EESW_SX_SY_SZ_S13_S14_S15_S18_S19_jS1A_jS1B_S1B_jjS1D_bEUljE0_EEESW_SX_SY_S15_S19_S1B_T6_T7_T9_mT8_S1D_bDpT10_ENKUlT_T0_E_clISt17integral_constantIbLb0EES1Q_IbLb1EEEEDaS1M_S1N_EUlS1M_E_NS1_11comp_targetILNS1_3genE2ELNS1_11target_archE906ELNS1_3gpuE6ELNS1_3repE0EEENS1_30default_config_static_selectorELNS0_4arch9wavefront6targetE0EEEvSZ_,comdat
	.globl	_ZN7rocprim17ROCPRIM_400000_NS6detail17trampoline_kernelINS0_13select_configILj256ELj13ELNS0_17block_load_methodE3ELS4_3ELS4_3ELNS0_20block_scan_algorithmE0ELj4294967295EEENS1_25partition_config_selectorILNS1_17partition_subalgoE4EjNS0_10empty_typeEbEEZZNS1_14partition_implILS8_4ELb0ES6_15HIP_vector_typeIjLj2EENS0_17counting_iteratorIjlEEPS9_SG_NS0_5tupleIJPjSI_NS0_16reverse_iteratorISI_EEEEENSH_IJSG_SG_SG_EEES9_SI_JZNS1_25segmented_radix_sort_implINS0_14default_configELb0EPKlPlSQ_SR_N2at6native12_GLOBAL__N_18offset_tEEE10hipError_tPvRmT1_PNSt15iterator_traitsISZ_E10value_typeET2_T3_PNS10_IS15_E10value_typeET4_jRbjT5_S1B_jjP12ihipStream_tbEUljE_ZNSN_ISO_Lb0ESQ_SR_SQ_SR_SV_EESW_SX_SY_SZ_S13_S14_S15_S18_S19_jS1A_jS1B_S1B_jjS1D_bEUljE0_EEESW_SX_SY_S15_S19_S1B_T6_T7_T9_mT8_S1D_bDpT10_ENKUlT_T0_E_clISt17integral_constantIbLb0EES1Q_IbLb1EEEEDaS1M_S1N_EUlS1M_E_NS1_11comp_targetILNS1_3genE2ELNS1_11target_archE906ELNS1_3gpuE6ELNS1_3repE0EEENS1_30default_config_static_selectorELNS0_4arch9wavefront6targetE0EEEvSZ_ ; -- Begin function _ZN7rocprim17ROCPRIM_400000_NS6detail17trampoline_kernelINS0_13select_configILj256ELj13ELNS0_17block_load_methodE3ELS4_3ELS4_3ELNS0_20block_scan_algorithmE0ELj4294967295EEENS1_25partition_config_selectorILNS1_17partition_subalgoE4EjNS0_10empty_typeEbEEZZNS1_14partition_implILS8_4ELb0ES6_15HIP_vector_typeIjLj2EENS0_17counting_iteratorIjlEEPS9_SG_NS0_5tupleIJPjSI_NS0_16reverse_iteratorISI_EEEEENSH_IJSG_SG_SG_EEES9_SI_JZNS1_25segmented_radix_sort_implINS0_14default_configELb0EPKlPlSQ_SR_N2at6native12_GLOBAL__N_18offset_tEEE10hipError_tPvRmT1_PNSt15iterator_traitsISZ_E10value_typeET2_T3_PNS10_IS15_E10value_typeET4_jRbjT5_S1B_jjP12ihipStream_tbEUljE_ZNSN_ISO_Lb0ESQ_SR_SQ_SR_SV_EESW_SX_SY_SZ_S13_S14_S15_S18_S19_jS1A_jS1B_S1B_jjS1D_bEUljE0_EEESW_SX_SY_S15_S19_S1B_T6_T7_T9_mT8_S1D_bDpT10_ENKUlT_T0_E_clISt17integral_constantIbLb0EES1Q_IbLb1EEEEDaS1M_S1N_EUlS1M_E_NS1_11comp_targetILNS1_3genE2ELNS1_11target_archE906ELNS1_3gpuE6ELNS1_3repE0EEENS1_30default_config_static_selectorELNS0_4arch9wavefront6targetE0EEEvSZ_
	.p2align	8
	.type	_ZN7rocprim17ROCPRIM_400000_NS6detail17trampoline_kernelINS0_13select_configILj256ELj13ELNS0_17block_load_methodE3ELS4_3ELS4_3ELNS0_20block_scan_algorithmE0ELj4294967295EEENS1_25partition_config_selectorILNS1_17partition_subalgoE4EjNS0_10empty_typeEbEEZZNS1_14partition_implILS8_4ELb0ES6_15HIP_vector_typeIjLj2EENS0_17counting_iteratorIjlEEPS9_SG_NS0_5tupleIJPjSI_NS0_16reverse_iteratorISI_EEEEENSH_IJSG_SG_SG_EEES9_SI_JZNS1_25segmented_radix_sort_implINS0_14default_configELb0EPKlPlSQ_SR_N2at6native12_GLOBAL__N_18offset_tEEE10hipError_tPvRmT1_PNSt15iterator_traitsISZ_E10value_typeET2_T3_PNS10_IS15_E10value_typeET4_jRbjT5_S1B_jjP12ihipStream_tbEUljE_ZNSN_ISO_Lb0ESQ_SR_SQ_SR_SV_EESW_SX_SY_SZ_S13_S14_S15_S18_S19_jS1A_jS1B_S1B_jjS1D_bEUljE0_EEESW_SX_SY_S15_S19_S1B_T6_T7_T9_mT8_S1D_bDpT10_ENKUlT_T0_E_clISt17integral_constantIbLb0EES1Q_IbLb1EEEEDaS1M_S1N_EUlS1M_E_NS1_11comp_targetILNS1_3genE2ELNS1_11target_archE906ELNS1_3gpuE6ELNS1_3repE0EEENS1_30default_config_static_selectorELNS0_4arch9wavefront6targetE0EEEvSZ_,@function
_ZN7rocprim17ROCPRIM_400000_NS6detail17trampoline_kernelINS0_13select_configILj256ELj13ELNS0_17block_load_methodE3ELS4_3ELS4_3ELNS0_20block_scan_algorithmE0ELj4294967295EEENS1_25partition_config_selectorILNS1_17partition_subalgoE4EjNS0_10empty_typeEbEEZZNS1_14partition_implILS8_4ELb0ES6_15HIP_vector_typeIjLj2EENS0_17counting_iteratorIjlEEPS9_SG_NS0_5tupleIJPjSI_NS0_16reverse_iteratorISI_EEEEENSH_IJSG_SG_SG_EEES9_SI_JZNS1_25segmented_radix_sort_implINS0_14default_configELb0EPKlPlSQ_SR_N2at6native12_GLOBAL__N_18offset_tEEE10hipError_tPvRmT1_PNSt15iterator_traitsISZ_E10value_typeET2_T3_PNS10_IS15_E10value_typeET4_jRbjT5_S1B_jjP12ihipStream_tbEUljE_ZNSN_ISO_Lb0ESQ_SR_SQ_SR_SV_EESW_SX_SY_SZ_S13_S14_S15_S18_S19_jS1A_jS1B_S1B_jjS1D_bEUljE0_EEESW_SX_SY_S15_S19_S1B_T6_T7_T9_mT8_S1D_bDpT10_ENKUlT_T0_E_clISt17integral_constantIbLb0EES1Q_IbLb1EEEEDaS1M_S1N_EUlS1M_E_NS1_11comp_targetILNS1_3genE2ELNS1_11target_archE906ELNS1_3gpuE6ELNS1_3repE0EEENS1_30default_config_static_selectorELNS0_4arch9wavefront6targetE0EEEvSZ_: ; @_ZN7rocprim17ROCPRIM_400000_NS6detail17trampoline_kernelINS0_13select_configILj256ELj13ELNS0_17block_load_methodE3ELS4_3ELS4_3ELNS0_20block_scan_algorithmE0ELj4294967295EEENS1_25partition_config_selectorILNS1_17partition_subalgoE4EjNS0_10empty_typeEbEEZZNS1_14partition_implILS8_4ELb0ES6_15HIP_vector_typeIjLj2EENS0_17counting_iteratorIjlEEPS9_SG_NS0_5tupleIJPjSI_NS0_16reverse_iteratorISI_EEEEENSH_IJSG_SG_SG_EEES9_SI_JZNS1_25segmented_radix_sort_implINS0_14default_configELb0EPKlPlSQ_SR_N2at6native12_GLOBAL__N_18offset_tEEE10hipError_tPvRmT1_PNSt15iterator_traitsISZ_E10value_typeET2_T3_PNS10_IS15_E10value_typeET4_jRbjT5_S1B_jjP12ihipStream_tbEUljE_ZNSN_ISO_Lb0ESQ_SR_SQ_SR_SV_EESW_SX_SY_SZ_S13_S14_S15_S18_S19_jS1A_jS1B_S1B_jjS1D_bEUljE0_EEESW_SX_SY_S15_S19_S1B_T6_T7_T9_mT8_S1D_bDpT10_ENKUlT_T0_E_clISt17integral_constantIbLb0EES1Q_IbLb1EEEEDaS1M_S1N_EUlS1M_E_NS1_11comp_targetILNS1_3genE2ELNS1_11target_archE906ELNS1_3gpuE6ELNS1_3repE0EEENS1_30default_config_static_selectorELNS0_4arch9wavefront6targetE0EEEvSZ_
; %bb.0:
	.section	.rodata,"a",@progbits
	.p2align	6, 0x0
	.amdhsa_kernel _ZN7rocprim17ROCPRIM_400000_NS6detail17trampoline_kernelINS0_13select_configILj256ELj13ELNS0_17block_load_methodE3ELS4_3ELS4_3ELNS0_20block_scan_algorithmE0ELj4294967295EEENS1_25partition_config_selectorILNS1_17partition_subalgoE4EjNS0_10empty_typeEbEEZZNS1_14partition_implILS8_4ELb0ES6_15HIP_vector_typeIjLj2EENS0_17counting_iteratorIjlEEPS9_SG_NS0_5tupleIJPjSI_NS0_16reverse_iteratorISI_EEEEENSH_IJSG_SG_SG_EEES9_SI_JZNS1_25segmented_radix_sort_implINS0_14default_configELb0EPKlPlSQ_SR_N2at6native12_GLOBAL__N_18offset_tEEE10hipError_tPvRmT1_PNSt15iterator_traitsISZ_E10value_typeET2_T3_PNS10_IS15_E10value_typeET4_jRbjT5_S1B_jjP12ihipStream_tbEUljE_ZNSN_ISO_Lb0ESQ_SR_SQ_SR_SV_EESW_SX_SY_SZ_S13_S14_S15_S18_S19_jS1A_jS1B_S1B_jjS1D_bEUljE0_EEESW_SX_SY_S15_S19_S1B_T6_T7_T9_mT8_S1D_bDpT10_ENKUlT_T0_E_clISt17integral_constantIbLb0EES1Q_IbLb1EEEEDaS1M_S1N_EUlS1M_E_NS1_11comp_targetILNS1_3genE2ELNS1_11target_archE906ELNS1_3gpuE6ELNS1_3repE0EEENS1_30default_config_static_selectorELNS0_4arch9wavefront6targetE0EEEvSZ_
		.amdhsa_group_segment_fixed_size 0
		.amdhsa_private_segment_fixed_size 0
		.amdhsa_kernarg_size 184
		.amdhsa_user_sgpr_count 2
		.amdhsa_user_sgpr_dispatch_ptr 0
		.amdhsa_user_sgpr_queue_ptr 0
		.amdhsa_user_sgpr_kernarg_segment_ptr 1
		.amdhsa_user_sgpr_dispatch_id 0
		.amdhsa_user_sgpr_kernarg_preload_length 0
		.amdhsa_user_sgpr_kernarg_preload_offset 0
		.amdhsa_user_sgpr_private_segment_size 0
		.amdhsa_wavefront_size32 1
		.amdhsa_uses_dynamic_stack 0
		.amdhsa_enable_private_segment 0
		.amdhsa_system_sgpr_workgroup_id_x 1
		.amdhsa_system_sgpr_workgroup_id_y 0
		.amdhsa_system_sgpr_workgroup_id_z 0
		.amdhsa_system_sgpr_workgroup_info 0
		.amdhsa_system_vgpr_workitem_id 0
		.amdhsa_next_free_vgpr 1
		.amdhsa_next_free_sgpr 1
		.amdhsa_named_barrier_count 0
		.amdhsa_reserve_vcc 0
		.amdhsa_float_round_mode_32 0
		.amdhsa_float_round_mode_16_64 0
		.amdhsa_float_denorm_mode_32 3
		.amdhsa_float_denorm_mode_16_64 3
		.amdhsa_fp16_overflow 0
		.amdhsa_memory_ordered 1
		.amdhsa_forward_progress 1
		.amdhsa_inst_pref_size 0
		.amdhsa_round_robin_scheduling 0
		.amdhsa_exception_fp_ieee_invalid_op 0
		.amdhsa_exception_fp_denorm_src 0
		.amdhsa_exception_fp_ieee_div_zero 0
		.amdhsa_exception_fp_ieee_overflow 0
		.amdhsa_exception_fp_ieee_underflow 0
		.amdhsa_exception_fp_ieee_inexact 0
		.amdhsa_exception_int_div_zero 0
	.end_amdhsa_kernel
	.section	.text._ZN7rocprim17ROCPRIM_400000_NS6detail17trampoline_kernelINS0_13select_configILj256ELj13ELNS0_17block_load_methodE3ELS4_3ELS4_3ELNS0_20block_scan_algorithmE0ELj4294967295EEENS1_25partition_config_selectorILNS1_17partition_subalgoE4EjNS0_10empty_typeEbEEZZNS1_14partition_implILS8_4ELb0ES6_15HIP_vector_typeIjLj2EENS0_17counting_iteratorIjlEEPS9_SG_NS0_5tupleIJPjSI_NS0_16reverse_iteratorISI_EEEEENSH_IJSG_SG_SG_EEES9_SI_JZNS1_25segmented_radix_sort_implINS0_14default_configELb0EPKlPlSQ_SR_N2at6native12_GLOBAL__N_18offset_tEEE10hipError_tPvRmT1_PNSt15iterator_traitsISZ_E10value_typeET2_T3_PNS10_IS15_E10value_typeET4_jRbjT5_S1B_jjP12ihipStream_tbEUljE_ZNSN_ISO_Lb0ESQ_SR_SQ_SR_SV_EESW_SX_SY_SZ_S13_S14_S15_S18_S19_jS1A_jS1B_S1B_jjS1D_bEUljE0_EEESW_SX_SY_S15_S19_S1B_T6_T7_T9_mT8_S1D_bDpT10_ENKUlT_T0_E_clISt17integral_constantIbLb0EES1Q_IbLb1EEEEDaS1M_S1N_EUlS1M_E_NS1_11comp_targetILNS1_3genE2ELNS1_11target_archE906ELNS1_3gpuE6ELNS1_3repE0EEENS1_30default_config_static_selectorELNS0_4arch9wavefront6targetE0EEEvSZ_,"axG",@progbits,_ZN7rocprim17ROCPRIM_400000_NS6detail17trampoline_kernelINS0_13select_configILj256ELj13ELNS0_17block_load_methodE3ELS4_3ELS4_3ELNS0_20block_scan_algorithmE0ELj4294967295EEENS1_25partition_config_selectorILNS1_17partition_subalgoE4EjNS0_10empty_typeEbEEZZNS1_14partition_implILS8_4ELb0ES6_15HIP_vector_typeIjLj2EENS0_17counting_iteratorIjlEEPS9_SG_NS0_5tupleIJPjSI_NS0_16reverse_iteratorISI_EEEEENSH_IJSG_SG_SG_EEES9_SI_JZNS1_25segmented_radix_sort_implINS0_14default_configELb0EPKlPlSQ_SR_N2at6native12_GLOBAL__N_18offset_tEEE10hipError_tPvRmT1_PNSt15iterator_traitsISZ_E10value_typeET2_T3_PNS10_IS15_E10value_typeET4_jRbjT5_S1B_jjP12ihipStream_tbEUljE_ZNSN_ISO_Lb0ESQ_SR_SQ_SR_SV_EESW_SX_SY_SZ_S13_S14_S15_S18_S19_jS1A_jS1B_S1B_jjS1D_bEUljE0_EEESW_SX_SY_S15_S19_S1B_T6_T7_T9_mT8_S1D_bDpT10_ENKUlT_T0_E_clISt17integral_constantIbLb0EES1Q_IbLb1EEEEDaS1M_S1N_EUlS1M_E_NS1_11comp_targetILNS1_3genE2ELNS1_11target_archE906ELNS1_3gpuE6ELNS1_3repE0EEENS1_30default_config_static_selectorELNS0_4arch9wavefront6targetE0EEEvSZ_,comdat
.Lfunc_end767:
	.size	_ZN7rocprim17ROCPRIM_400000_NS6detail17trampoline_kernelINS0_13select_configILj256ELj13ELNS0_17block_load_methodE3ELS4_3ELS4_3ELNS0_20block_scan_algorithmE0ELj4294967295EEENS1_25partition_config_selectorILNS1_17partition_subalgoE4EjNS0_10empty_typeEbEEZZNS1_14partition_implILS8_4ELb0ES6_15HIP_vector_typeIjLj2EENS0_17counting_iteratorIjlEEPS9_SG_NS0_5tupleIJPjSI_NS0_16reverse_iteratorISI_EEEEENSH_IJSG_SG_SG_EEES9_SI_JZNS1_25segmented_radix_sort_implINS0_14default_configELb0EPKlPlSQ_SR_N2at6native12_GLOBAL__N_18offset_tEEE10hipError_tPvRmT1_PNSt15iterator_traitsISZ_E10value_typeET2_T3_PNS10_IS15_E10value_typeET4_jRbjT5_S1B_jjP12ihipStream_tbEUljE_ZNSN_ISO_Lb0ESQ_SR_SQ_SR_SV_EESW_SX_SY_SZ_S13_S14_S15_S18_S19_jS1A_jS1B_S1B_jjS1D_bEUljE0_EEESW_SX_SY_S15_S19_S1B_T6_T7_T9_mT8_S1D_bDpT10_ENKUlT_T0_E_clISt17integral_constantIbLb0EES1Q_IbLb1EEEEDaS1M_S1N_EUlS1M_E_NS1_11comp_targetILNS1_3genE2ELNS1_11target_archE906ELNS1_3gpuE6ELNS1_3repE0EEENS1_30default_config_static_selectorELNS0_4arch9wavefront6targetE0EEEvSZ_, .Lfunc_end767-_ZN7rocprim17ROCPRIM_400000_NS6detail17trampoline_kernelINS0_13select_configILj256ELj13ELNS0_17block_load_methodE3ELS4_3ELS4_3ELNS0_20block_scan_algorithmE0ELj4294967295EEENS1_25partition_config_selectorILNS1_17partition_subalgoE4EjNS0_10empty_typeEbEEZZNS1_14partition_implILS8_4ELb0ES6_15HIP_vector_typeIjLj2EENS0_17counting_iteratorIjlEEPS9_SG_NS0_5tupleIJPjSI_NS0_16reverse_iteratorISI_EEEEENSH_IJSG_SG_SG_EEES9_SI_JZNS1_25segmented_radix_sort_implINS0_14default_configELb0EPKlPlSQ_SR_N2at6native12_GLOBAL__N_18offset_tEEE10hipError_tPvRmT1_PNSt15iterator_traitsISZ_E10value_typeET2_T3_PNS10_IS15_E10value_typeET4_jRbjT5_S1B_jjP12ihipStream_tbEUljE_ZNSN_ISO_Lb0ESQ_SR_SQ_SR_SV_EESW_SX_SY_SZ_S13_S14_S15_S18_S19_jS1A_jS1B_S1B_jjS1D_bEUljE0_EEESW_SX_SY_S15_S19_S1B_T6_T7_T9_mT8_S1D_bDpT10_ENKUlT_T0_E_clISt17integral_constantIbLb0EES1Q_IbLb1EEEEDaS1M_S1N_EUlS1M_E_NS1_11comp_targetILNS1_3genE2ELNS1_11target_archE906ELNS1_3gpuE6ELNS1_3repE0EEENS1_30default_config_static_selectorELNS0_4arch9wavefront6targetE0EEEvSZ_
                                        ; -- End function
	.set _ZN7rocprim17ROCPRIM_400000_NS6detail17trampoline_kernelINS0_13select_configILj256ELj13ELNS0_17block_load_methodE3ELS4_3ELS4_3ELNS0_20block_scan_algorithmE0ELj4294967295EEENS1_25partition_config_selectorILNS1_17partition_subalgoE4EjNS0_10empty_typeEbEEZZNS1_14partition_implILS8_4ELb0ES6_15HIP_vector_typeIjLj2EENS0_17counting_iteratorIjlEEPS9_SG_NS0_5tupleIJPjSI_NS0_16reverse_iteratorISI_EEEEENSH_IJSG_SG_SG_EEES9_SI_JZNS1_25segmented_radix_sort_implINS0_14default_configELb0EPKlPlSQ_SR_N2at6native12_GLOBAL__N_18offset_tEEE10hipError_tPvRmT1_PNSt15iterator_traitsISZ_E10value_typeET2_T3_PNS10_IS15_E10value_typeET4_jRbjT5_S1B_jjP12ihipStream_tbEUljE_ZNSN_ISO_Lb0ESQ_SR_SQ_SR_SV_EESW_SX_SY_SZ_S13_S14_S15_S18_S19_jS1A_jS1B_S1B_jjS1D_bEUljE0_EEESW_SX_SY_S15_S19_S1B_T6_T7_T9_mT8_S1D_bDpT10_ENKUlT_T0_E_clISt17integral_constantIbLb0EES1Q_IbLb1EEEEDaS1M_S1N_EUlS1M_E_NS1_11comp_targetILNS1_3genE2ELNS1_11target_archE906ELNS1_3gpuE6ELNS1_3repE0EEENS1_30default_config_static_selectorELNS0_4arch9wavefront6targetE0EEEvSZ_.num_vgpr, 0
	.set _ZN7rocprim17ROCPRIM_400000_NS6detail17trampoline_kernelINS0_13select_configILj256ELj13ELNS0_17block_load_methodE3ELS4_3ELS4_3ELNS0_20block_scan_algorithmE0ELj4294967295EEENS1_25partition_config_selectorILNS1_17partition_subalgoE4EjNS0_10empty_typeEbEEZZNS1_14partition_implILS8_4ELb0ES6_15HIP_vector_typeIjLj2EENS0_17counting_iteratorIjlEEPS9_SG_NS0_5tupleIJPjSI_NS0_16reverse_iteratorISI_EEEEENSH_IJSG_SG_SG_EEES9_SI_JZNS1_25segmented_radix_sort_implINS0_14default_configELb0EPKlPlSQ_SR_N2at6native12_GLOBAL__N_18offset_tEEE10hipError_tPvRmT1_PNSt15iterator_traitsISZ_E10value_typeET2_T3_PNS10_IS15_E10value_typeET4_jRbjT5_S1B_jjP12ihipStream_tbEUljE_ZNSN_ISO_Lb0ESQ_SR_SQ_SR_SV_EESW_SX_SY_SZ_S13_S14_S15_S18_S19_jS1A_jS1B_S1B_jjS1D_bEUljE0_EEESW_SX_SY_S15_S19_S1B_T6_T7_T9_mT8_S1D_bDpT10_ENKUlT_T0_E_clISt17integral_constantIbLb0EES1Q_IbLb1EEEEDaS1M_S1N_EUlS1M_E_NS1_11comp_targetILNS1_3genE2ELNS1_11target_archE906ELNS1_3gpuE6ELNS1_3repE0EEENS1_30default_config_static_selectorELNS0_4arch9wavefront6targetE0EEEvSZ_.num_agpr, 0
	.set _ZN7rocprim17ROCPRIM_400000_NS6detail17trampoline_kernelINS0_13select_configILj256ELj13ELNS0_17block_load_methodE3ELS4_3ELS4_3ELNS0_20block_scan_algorithmE0ELj4294967295EEENS1_25partition_config_selectorILNS1_17partition_subalgoE4EjNS0_10empty_typeEbEEZZNS1_14partition_implILS8_4ELb0ES6_15HIP_vector_typeIjLj2EENS0_17counting_iteratorIjlEEPS9_SG_NS0_5tupleIJPjSI_NS0_16reverse_iteratorISI_EEEEENSH_IJSG_SG_SG_EEES9_SI_JZNS1_25segmented_radix_sort_implINS0_14default_configELb0EPKlPlSQ_SR_N2at6native12_GLOBAL__N_18offset_tEEE10hipError_tPvRmT1_PNSt15iterator_traitsISZ_E10value_typeET2_T3_PNS10_IS15_E10value_typeET4_jRbjT5_S1B_jjP12ihipStream_tbEUljE_ZNSN_ISO_Lb0ESQ_SR_SQ_SR_SV_EESW_SX_SY_SZ_S13_S14_S15_S18_S19_jS1A_jS1B_S1B_jjS1D_bEUljE0_EEESW_SX_SY_S15_S19_S1B_T6_T7_T9_mT8_S1D_bDpT10_ENKUlT_T0_E_clISt17integral_constantIbLb0EES1Q_IbLb1EEEEDaS1M_S1N_EUlS1M_E_NS1_11comp_targetILNS1_3genE2ELNS1_11target_archE906ELNS1_3gpuE6ELNS1_3repE0EEENS1_30default_config_static_selectorELNS0_4arch9wavefront6targetE0EEEvSZ_.numbered_sgpr, 0
	.set _ZN7rocprim17ROCPRIM_400000_NS6detail17trampoline_kernelINS0_13select_configILj256ELj13ELNS0_17block_load_methodE3ELS4_3ELS4_3ELNS0_20block_scan_algorithmE0ELj4294967295EEENS1_25partition_config_selectorILNS1_17partition_subalgoE4EjNS0_10empty_typeEbEEZZNS1_14partition_implILS8_4ELb0ES6_15HIP_vector_typeIjLj2EENS0_17counting_iteratorIjlEEPS9_SG_NS0_5tupleIJPjSI_NS0_16reverse_iteratorISI_EEEEENSH_IJSG_SG_SG_EEES9_SI_JZNS1_25segmented_radix_sort_implINS0_14default_configELb0EPKlPlSQ_SR_N2at6native12_GLOBAL__N_18offset_tEEE10hipError_tPvRmT1_PNSt15iterator_traitsISZ_E10value_typeET2_T3_PNS10_IS15_E10value_typeET4_jRbjT5_S1B_jjP12ihipStream_tbEUljE_ZNSN_ISO_Lb0ESQ_SR_SQ_SR_SV_EESW_SX_SY_SZ_S13_S14_S15_S18_S19_jS1A_jS1B_S1B_jjS1D_bEUljE0_EEESW_SX_SY_S15_S19_S1B_T6_T7_T9_mT8_S1D_bDpT10_ENKUlT_T0_E_clISt17integral_constantIbLb0EES1Q_IbLb1EEEEDaS1M_S1N_EUlS1M_E_NS1_11comp_targetILNS1_3genE2ELNS1_11target_archE906ELNS1_3gpuE6ELNS1_3repE0EEENS1_30default_config_static_selectorELNS0_4arch9wavefront6targetE0EEEvSZ_.num_named_barrier, 0
	.set _ZN7rocprim17ROCPRIM_400000_NS6detail17trampoline_kernelINS0_13select_configILj256ELj13ELNS0_17block_load_methodE3ELS4_3ELS4_3ELNS0_20block_scan_algorithmE0ELj4294967295EEENS1_25partition_config_selectorILNS1_17partition_subalgoE4EjNS0_10empty_typeEbEEZZNS1_14partition_implILS8_4ELb0ES6_15HIP_vector_typeIjLj2EENS0_17counting_iteratorIjlEEPS9_SG_NS0_5tupleIJPjSI_NS0_16reverse_iteratorISI_EEEEENSH_IJSG_SG_SG_EEES9_SI_JZNS1_25segmented_radix_sort_implINS0_14default_configELb0EPKlPlSQ_SR_N2at6native12_GLOBAL__N_18offset_tEEE10hipError_tPvRmT1_PNSt15iterator_traitsISZ_E10value_typeET2_T3_PNS10_IS15_E10value_typeET4_jRbjT5_S1B_jjP12ihipStream_tbEUljE_ZNSN_ISO_Lb0ESQ_SR_SQ_SR_SV_EESW_SX_SY_SZ_S13_S14_S15_S18_S19_jS1A_jS1B_S1B_jjS1D_bEUljE0_EEESW_SX_SY_S15_S19_S1B_T6_T7_T9_mT8_S1D_bDpT10_ENKUlT_T0_E_clISt17integral_constantIbLb0EES1Q_IbLb1EEEEDaS1M_S1N_EUlS1M_E_NS1_11comp_targetILNS1_3genE2ELNS1_11target_archE906ELNS1_3gpuE6ELNS1_3repE0EEENS1_30default_config_static_selectorELNS0_4arch9wavefront6targetE0EEEvSZ_.private_seg_size, 0
	.set _ZN7rocprim17ROCPRIM_400000_NS6detail17trampoline_kernelINS0_13select_configILj256ELj13ELNS0_17block_load_methodE3ELS4_3ELS4_3ELNS0_20block_scan_algorithmE0ELj4294967295EEENS1_25partition_config_selectorILNS1_17partition_subalgoE4EjNS0_10empty_typeEbEEZZNS1_14partition_implILS8_4ELb0ES6_15HIP_vector_typeIjLj2EENS0_17counting_iteratorIjlEEPS9_SG_NS0_5tupleIJPjSI_NS0_16reverse_iteratorISI_EEEEENSH_IJSG_SG_SG_EEES9_SI_JZNS1_25segmented_radix_sort_implINS0_14default_configELb0EPKlPlSQ_SR_N2at6native12_GLOBAL__N_18offset_tEEE10hipError_tPvRmT1_PNSt15iterator_traitsISZ_E10value_typeET2_T3_PNS10_IS15_E10value_typeET4_jRbjT5_S1B_jjP12ihipStream_tbEUljE_ZNSN_ISO_Lb0ESQ_SR_SQ_SR_SV_EESW_SX_SY_SZ_S13_S14_S15_S18_S19_jS1A_jS1B_S1B_jjS1D_bEUljE0_EEESW_SX_SY_S15_S19_S1B_T6_T7_T9_mT8_S1D_bDpT10_ENKUlT_T0_E_clISt17integral_constantIbLb0EES1Q_IbLb1EEEEDaS1M_S1N_EUlS1M_E_NS1_11comp_targetILNS1_3genE2ELNS1_11target_archE906ELNS1_3gpuE6ELNS1_3repE0EEENS1_30default_config_static_selectorELNS0_4arch9wavefront6targetE0EEEvSZ_.uses_vcc, 0
	.set _ZN7rocprim17ROCPRIM_400000_NS6detail17trampoline_kernelINS0_13select_configILj256ELj13ELNS0_17block_load_methodE3ELS4_3ELS4_3ELNS0_20block_scan_algorithmE0ELj4294967295EEENS1_25partition_config_selectorILNS1_17partition_subalgoE4EjNS0_10empty_typeEbEEZZNS1_14partition_implILS8_4ELb0ES6_15HIP_vector_typeIjLj2EENS0_17counting_iteratorIjlEEPS9_SG_NS0_5tupleIJPjSI_NS0_16reverse_iteratorISI_EEEEENSH_IJSG_SG_SG_EEES9_SI_JZNS1_25segmented_radix_sort_implINS0_14default_configELb0EPKlPlSQ_SR_N2at6native12_GLOBAL__N_18offset_tEEE10hipError_tPvRmT1_PNSt15iterator_traitsISZ_E10value_typeET2_T3_PNS10_IS15_E10value_typeET4_jRbjT5_S1B_jjP12ihipStream_tbEUljE_ZNSN_ISO_Lb0ESQ_SR_SQ_SR_SV_EESW_SX_SY_SZ_S13_S14_S15_S18_S19_jS1A_jS1B_S1B_jjS1D_bEUljE0_EEESW_SX_SY_S15_S19_S1B_T6_T7_T9_mT8_S1D_bDpT10_ENKUlT_T0_E_clISt17integral_constantIbLb0EES1Q_IbLb1EEEEDaS1M_S1N_EUlS1M_E_NS1_11comp_targetILNS1_3genE2ELNS1_11target_archE906ELNS1_3gpuE6ELNS1_3repE0EEENS1_30default_config_static_selectorELNS0_4arch9wavefront6targetE0EEEvSZ_.uses_flat_scratch, 0
	.set _ZN7rocprim17ROCPRIM_400000_NS6detail17trampoline_kernelINS0_13select_configILj256ELj13ELNS0_17block_load_methodE3ELS4_3ELS4_3ELNS0_20block_scan_algorithmE0ELj4294967295EEENS1_25partition_config_selectorILNS1_17partition_subalgoE4EjNS0_10empty_typeEbEEZZNS1_14partition_implILS8_4ELb0ES6_15HIP_vector_typeIjLj2EENS0_17counting_iteratorIjlEEPS9_SG_NS0_5tupleIJPjSI_NS0_16reverse_iteratorISI_EEEEENSH_IJSG_SG_SG_EEES9_SI_JZNS1_25segmented_radix_sort_implINS0_14default_configELb0EPKlPlSQ_SR_N2at6native12_GLOBAL__N_18offset_tEEE10hipError_tPvRmT1_PNSt15iterator_traitsISZ_E10value_typeET2_T3_PNS10_IS15_E10value_typeET4_jRbjT5_S1B_jjP12ihipStream_tbEUljE_ZNSN_ISO_Lb0ESQ_SR_SQ_SR_SV_EESW_SX_SY_SZ_S13_S14_S15_S18_S19_jS1A_jS1B_S1B_jjS1D_bEUljE0_EEESW_SX_SY_S15_S19_S1B_T6_T7_T9_mT8_S1D_bDpT10_ENKUlT_T0_E_clISt17integral_constantIbLb0EES1Q_IbLb1EEEEDaS1M_S1N_EUlS1M_E_NS1_11comp_targetILNS1_3genE2ELNS1_11target_archE906ELNS1_3gpuE6ELNS1_3repE0EEENS1_30default_config_static_selectorELNS0_4arch9wavefront6targetE0EEEvSZ_.has_dyn_sized_stack, 0
	.set _ZN7rocprim17ROCPRIM_400000_NS6detail17trampoline_kernelINS0_13select_configILj256ELj13ELNS0_17block_load_methodE3ELS4_3ELS4_3ELNS0_20block_scan_algorithmE0ELj4294967295EEENS1_25partition_config_selectorILNS1_17partition_subalgoE4EjNS0_10empty_typeEbEEZZNS1_14partition_implILS8_4ELb0ES6_15HIP_vector_typeIjLj2EENS0_17counting_iteratorIjlEEPS9_SG_NS0_5tupleIJPjSI_NS0_16reverse_iteratorISI_EEEEENSH_IJSG_SG_SG_EEES9_SI_JZNS1_25segmented_radix_sort_implINS0_14default_configELb0EPKlPlSQ_SR_N2at6native12_GLOBAL__N_18offset_tEEE10hipError_tPvRmT1_PNSt15iterator_traitsISZ_E10value_typeET2_T3_PNS10_IS15_E10value_typeET4_jRbjT5_S1B_jjP12ihipStream_tbEUljE_ZNSN_ISO_Lb0ESQ_SR_SQ_SR_SV_EESW_SX_SY_SZ_S13_S14_S15_S18_S19_jS1A_jS1B_S1B_jjS1D_bEUljE0_EEESW_SX_SY_S15_S19_S1B_T6_T7_T9_mT8_S1D_bDpT10_ENKUlT_T0_E_clISt17integral_constantIbLb0EES1Q_IbLb1EEEEDaS1M_S1N_EUlS1M_E_NS1_11comp_targetILNS1_3genE2ELNS1_11target_archE906ELNS1_3gpuE6ELNS1_3repE0EEENS1_30default_config_static_selectorELNS0_4arch9wavefront6targetE0EEEvSZ_.has_recursion, 0
	.set _ZN7rocprim17ROCPRIM_400000_NS6detail17trampoline_kernelINS0_13select_configILj256ELj13ELNS0_17block_load_methodE3ELS4_3ELS4_3ELNS0_20block_scan_algorithmE0ELj4294967295EEENS1_25partition_config_selectorILNS1_17partition_subalgoE4EjNS0_10empty_typeEbEEZZNS1_14partition_implILS8_4ELb0ES6_15HIP_vector_typeIjLj2EENS0_17counting_iteratorIjlEEPS9_SG_NS0_5tupleIJPjSI_NS0_16reverse_iteratorISI_EEEEENSH_IJSG_SG_SG_EEES9_SI_JZNS1_25segmented_radix_sort_implINS0_14default_configELb0EPKlPlSQ_SR_N2at6native12_GLOBAL__N_18offset_tEEE10hipError_tPvRmT1_PNSt15iterator_traitsISZ_E10value_typeET2_T3_PNS10_IS15_E10value_typeET4_jRbjT5_S1B_jjP12ihipStream_tbEUljE_ZNSN_ISO_Lb0ESQ_SR_SQ_SR_SV_EESW_SX_SY_SZ_S13_S14_S15_S18_S19_jS1A_jS1B_S1B_jjS1D_bEUljE0_EEESW_SX_SY_S15_S19_S1B_T6_T7_T9_mT8_S1D_bDpT10_ENKUlT_T0_E_clISt17integral_constantIbLb0EES1Q_IbLb1EEEEDaS1M_S1N_EUlS1M_E_NS1_11comp_targetILNS1_3genE2ELNS1_11target_archE906ELNS1_3gpuE6ELNS1_3repE0EEENS1_30default_config_static_selectorELNS0_4arch9wavefront6targetE0EEEvSZ_.has_indirect_call, 0
	.section	.AMDGPU.csdata,"",@progbits
; Kernel info:
; codeLenInByte = 0
; TotalNumSgprs: 0
; NumVgprs: 0
; ScratchSize: 0
; MemoryBound: 0
; FloatMode: 240
; IeeeMode: 1
; LDSByteSize: 0 bytes/workgroup (compile time only)
; SGPRBlocks: 0
; VGPRBlocks: 0
; NumSGPRsForWavesPerEU: 1
; NumVGPRsForWavesPerEU: 1
; NamedBarCnt: 0
; Occupancy: 16
; WaveLimiterHint : 0
; COMPUTE_PGM_RSRC2:SCRATCH_EN: 0
; COMPUTE_PGM_RSRC2:USER_SGPR: 2
; COMPUTE_PGM_RSRC2:TRAP_HANDLER: 0
; COMPUTE_PGM_RSRC2:TGID_X_EN: 1
; COMPUTE_PGM_RSRC2:TGID_Y_EN: 0
; COMPUTE_PGM_RSRC2:TGID_Z_EN: 0
; COMPUTE_PGM_RSRC2:TIDIG_COMP_CNT: 0
	.section	.text._ZN7rocprim17ROCPRIM_400000_NS6detail17trampoline_kernelINS0_13select_configILj256ELj13ELNS0_17block_load_methodE3ELS4_3ELS4_3ELNS0_20block_scan_algorithmE0ELj4294967295EEENS1_25partition_config_selectorILNS1_17partition_subalgoE4EjNS0_10empty_typeEbEEZZNS1_14partition_implILS8_4ELb0ES6_15HIP_vector_typeIjLj2EENS0_17counting_iteratorIjlEEPS9_SG_NS0_5tupleIJPjSI_NS0_16reverse_iteratorISI_EEEEENSH_IJSG_SG_SG_EEES9_SI_JZNS1_25segmented_radix_sort_implINS0_14default_configELb0EPKlPlSQ_SR_N2at6native12_GLOBAL__N_18offset_tEEE10hipError_tPvRmT1_PNSt15iterator_traitsISZ_E10value_typeET2_T3_PNS10_IS15_E10value_typeET4_jRbjT5_S1B_jjP12ihipStream_tbEUljE_ZNSN_ISO_Lb0ESQ_SR_SQ_SR_SV_EESW_SX_SY_SZ_S13_S14_S15_S18_S19_jS1A_jS1B_S1B_jjS1D_bEUljE0_EEESW_SX_SY_S15_S19_S1B_T6_T7_T9_mT8_S1D_bDpT10_ENKUlT_T0_E_clISt17integral_constantIbLb0EES1Q_IbLb1EEEEDaS1M_S1N_EUlS1M_E_NS1_11comp_targetILNS1_3genE10ELNS1_11target_archE1200ELNS1_3gpuE4ELNS1_3repE0EEENS1_30default_config_static_selectorELNS0_4arch9wavefront6targetE0EEEvSZ_,"axG",@progbits,_ZN7rocprim17ROCPRIM_400000_NS6detail17trampoline_kernelINS0_13select_configILj256ELj13ELNS0_17block_load_methodE3ELS4_3ELS4_3ELNS0_20block_scan_algorithmE0ELj4294967295EEENS1_25partition_config_selectorILNS1_17partition_subalgoE4EjNS0_10empty_typeEbEEZZNS1_14partition_implILS8_4ELb0ES6_15HIP_vector_typeIjLj2EENS0_17counting_iteratorIjlEEPS9_SG_NS0_5tupleIJPjSI_NS0_16reverse_iteratorISI_EEEEENSH_IJSG_SG_SG_EEES9_SI_JZNS1_25segmented_radix_sort_implINS0_14default_configELb0EPKlPlSQ_SR_N2at6native12_GLOBAL__N_18offset_tEEE10hipError_tPvRmT1_PNSt15iterator_traitsISZ_E10value_typeET2_T3_PNS10_IS15_E10value_typeET4_jRbjT5_S1B_jjP12ihipStream_tbEUljE_ZNSN_ISO_Lb0ESQ_SR_SQ_SR_SV_EESW_SX_SY_SZ_S13_S14_S15_S18_S19_jS1A_jS1B_S1B_jjS1D_bEUljE0_EEESW_SX_SY_S15_S19_S1B_T6_T7_T9_mT8_S1D_bDpT10_ENKUlT_T0_E_clISt17integral_constantIbLb0EES1Q_IbLb1EEEEDaS1M_S1N_EUlS1M_E_NS1_11comp_targetILNS1_3genE10ELNS1_11target_archE1200ELNS1_3gpuE4ELNS1_3repE0EEENS1_30default_config_static_selectorELNS0_4arch9wavefront6targetE0EEEvSZ_,comdat
	.globl	_ZN7rocprim17ROCPRIM_400000_NS6detail17trampoline_kernelINS0_13select_configILj256ELj13ELNS0_17block_load_methodE3ELS4_3ELS4_3ELNS0_20block_scan_algorithmE0ELj4294967295EEENS1_25partition_config_selectorILNS1_17partition_subalgoE4EjNS0_10empty_typeEbEEZZNS1_14partition_implILS8_4ELb0ES6_15HIP_vector_typeIjLj2EENS0_17counting_iteratorIjlEEPS9_SG_NS0_5tupleIJPjSI_NS0_16reverse_iteratorISI_EEEEENSH_IJSG_SG_SG_EEES9_SI_JZNS1_25segmented_radix_sort_implINS0_14default_configELb0EPKlPlSQ_SR_N2at6native12_GLOBAL__N_18offset_tEEE10hipError_tPvRmT1_PNSt15iterator_traitsISZ_E10value_typeET2_T3_PNS10_IS15_E10value_typeET4_jRbjT5_S1B_jjP12ihipStream_tbEUljE_ZNSN_ISO_Lb0ESQ_SR_SQ_SR_SV_EESW_SX_SY_SZ_S13_S14_S15_S18_S19_jS1A_jS1B_S1B_jjS1D_bEUljE0_EEESW_SX_SY_S15_S19_S1B_T6_T7_T9_mT8_S1D_bDpT10_ENKUlT_T0_E_clISt17integral_constantIbLb0EES1Q_IbLb1EEEEDaS1M_S1N_EUlS1M_E_NS1_11comp_targetILNS1_3genE10ELNS1_11target_archE1200ELNS1_3gpuE4ELNS1_3repE0EEENS1_30default_config_static_selectorELNS0_4arch9wavefront6targetE0EEEvSZ_ ; -- Begin function _ZN7rocprim17ROCPRIM_400000_NS6detail17trampoline_kernelINS0_13select_configILj256ELj13ELNS0_17block_load_methodE3ELS4_3ELS4_3ELNS0_20block_scan_algorithmE0ELj4294967295EEENS1_25partition_config_selectorILNS1_17partition_subalgoE4EjNS0_10empty_typeEbEEZZNS1_14partition_implILS8_4ELb0ES6_15HIP_vector_typeIjLj2EENS0_17counting_iteratorIjlEEPS9_SG_NS0_5tupleIJPjSI_NS0_16reverse_iteratorISI_EEEEENSH_IJSG_SG_SG_EEES9_SI_JZNS1_25segmented_radix_sort_implINS0_14default_configELb0EPKlPlSQ_SR_N2at6native12_GLOBAL__N_18offset_tEEE10hipError_tPvRmT1_PNSt15iterator_traitsISZ_E10value_typeET2_T3_PNS10_IS15_E10value_typeET4_jRbjT5_S1B_jjP12ihipStream_tbEUljE_ZNSN_ISO_Lb0ESQ_SR_SQ_SR_SV_EESW_SX_SY_SZ_S13_S14_S15_S18_S19_jS1A_jS1B_S1B_jjS1D_bEUljE0_EEESW_SX_SY_S15_S19_S1B_T6_T7_T9_mT8_S1D_bDpT10_ENKUlT_T0_E_clISt17integral_constantIbLb0EES1Q_IbLb1EEEEDaS1M_S1N_EUlS1M_E_NS1_11comp_targetILNS1_3genE10ELNS1_11target_archE1200ELNS1_3gpuE4ELNS1_3repE0EEENS1_30default_config_static_selectorELNS0_4arch9wavefront6targetE0EEEvSZ_
	.p2align	8
	.type	_ZN7rocprim17ROCPRIM_400000_NS6detail17trampoline_kernelINS0_13select_configILj256ELj13ELNS0_17block_load_methodE3ELS4_3ELS4_3ELNS0_20block_scan_algorithmE0ELj4294967295EEENS1_25partition_config_selectorILNS1_17partition_subalgoE4EjNS0_10empty_typeEbEEZZNS1_14partition_implILS8_4ELb0ES6_15HIP_vector_typeIjLj2EENS0_17counting_iteratorIjlEEPS9_SG_NS0_5tupleIJPjSI_NS0_16reverse_iteratorISI_EEEEENSH_IJSG_SG_SG_EEES9_SI_JZNS1_25segmented_radix_sort_implINS0_14default_configELb0EPKlPlSQ_SR_N2at6native12_GLOBAL__N_18offset_tEEE10hipError_tPvRmT1_PNSt15iterator_traitsISZ_E10value_typeET2_T3_PNS10_IS15_E10value_typeET4_jRbjT5_S1B_jjP12ihipStream_tbEUljE_ZNSN_ISO_Lb0ESQ_SR_SQ_SR_SV_EESW_SX_SY_SZ_S13_S14_S15_S18_S19_jS1A_jS1B_S1B_jjS1D_bEUljE0_EEESW_SX_SY_S15_S19_S1B_T6_T7_T9_mT8_S1D_bDpT10_ENKUlT_T0_E_clISt17integral_constantIbLb0EES1Q_IbLb1EEEEDaS1M_S1N_EUlS1M_E_NS1_11comp_targetILNS1_3genE10ELNS1_11target_archE1200ELNS1_3gpuE4ELNS1_3repE0EEENS1_30default_config_static_selectorELNS0_4arch9wavefront6targetE0EEEvSZ_,@function
_ZN7rocprim17ROCPRIM_400000_NS6detail17trampoline_kernelINS0_13select_configILj256ELj13ELNS0_17block_load_methodE3ELS4_3ELS4_3ELNS0_20block_scan_algorithmE0ELj4294967295EEENS1_25partition_config_selectorILNS1_17partition_subalgoE4EjNS0_10empty_typeEbEEZZNS1_14partition_implILS8_4ELb0ES6_15HIP_vector_typeIjLj2EENS0_17counting_iteratorIjlEEPS9_SG_NS0_5tupleIJPjSI_NS0_16reverse_iteratorISI_EEEEENSH_IJSG_SG_SG_EEES9_SI_JZNS1_25segmented_radix_sort_implINS0_14default_configELb0EPKlPlSQ_SR_N2at6native12_GLOBAL__N_18offset_tEEE10hipError_tPvRmT1_PNSt15iterator_traitsISZ_E10value_typeET2_T3_PNS10_IS15_E10value_typeET4_jRbjT5_S1B_jjP12ihipStream_tbEUljE_ZNSN_ISO_Lb0ESQ_SR_SQ_SR_SV_EESW_SX_SY_SZ_S13_S14_S15_S18_S19_jS1A_jS1B_S1B_jjS1D_bEUljE0_EEESW_SX_SY_S15_S19_S1B_T6_T7_T9_mT8_S1D_bDpT10_ENKUlT_T0_E_clISt17integral_constantIbLb0EES1Q_IbLb1EEEEDaS1M_S1N_EUlS1M_E_NS1_11comp_targetILNS1_3genE10ELNS1_11target_archE1200ELNS1_3gpuE4ELNS1_3repE0EEENS1_30default_config_static_selectorELNS0_4arch9wavefront6targetE0EEEvSZ_: ; @_ZN7rocprim17ROCPRIM_400000_NS6detail17trampoline_kernelINS0_13select_configILj256ELj13ELNS0_17block_load_methodE3ELS4_3ELS4_3ELNS0_20block_scan_algorithmE0ELj4294967295EEENS1_25partition_config_selectorILNS1_17partition_subalgoE4EjNS0_10empty_typeEbEEZZNS1_14partition_implILS8_4ELb0ES6_15HIP_vector_typeIjLj2EENS0_17counting_iteratorIjlEEPS9_SG_NS0_5tupleIJPjSI_NS0_16reverse_iteratorISI_EEEEENSH_IJSG_SG_SG_EEES9_SI_JZNS1_25segmented_radix_sort_implINS0_14default_configELb0EPKlPlSQ_SR_N2at6native12_GLOBAL__N_18offset_tEEE10hipError_tPvRmT1_PNSt15iterator_traitsISZ_E10value_typeET2_T3_PNS10_IS15_E10value_typeET4_jRbjT5_S1B_jjP12ihipStream_tbEUljE_ZNSN_ISO_Lb0ESQ_SR_SQ_SR_SV_EESW_SX_SY_SZ_S13_S14_S15_S18_S19_jS1A_jS1B_S1B_jjS1D_bEUljE0_EEESW_SX_SY_S15_S19_S1B_T6_T7_T9_mT8_S1D_bDpT10_ENKUlT_T0_E_clISt17integral_constantIbLb0EES1Q_IbLb1EEEEDaS1M_S1N_EUlS1M_E_NS1_11comp_targetILNS1_3genE10ELNS1_11target_archE1200ELNS1_3gpuE4ELNS1_3repE0EEENS1_30default_config_static_selectorELNS0_4arch9wavefront6targetE0EEEvSZ_
; %bb.0:
	.section	.rodata,"a",@progbits
	.p2align	6, 0x0
	.amdhsa_kernel _ZN7rocprim17ROCPRIM_400000_NS6detail17trampoline_kernelINS0_13select_configILj256ELj13ELNS0_17block_load_methodE3ELS4_3ELS4_3ELNS0_20block_scan_algorithmE0ELj4294967295EEENS1_25partition_config_selectorILNS1_17partition_subalgoE4EjNS0_10empty_typeEbEEZZNS1_14partition_implILS8_4ELb0ES6_15HIP_vector_typeIjLj2EENS0_17counting_iteratorIjlEEPS9_SG_NS0_5tupleIJPjSI_NS0_16reverse_iteratorISI_EEEEENSH_IJSG_SG_SG_EEES9_SI_JZNS1_25segmented_radix_sort_implINS0_14default_configELb0EPKlPlSQ_SR_N2at6native12_GLOBAL__N_18offset_tEEE10hipError_tPvRmT1_PNSt15iterator_traitsISZ_E10value_typeET2_T3_PNS10_IS15_E10value_typeET4_jRbjT5_S1B_jjP12ihipStream_tbEUljE_ZNSN_ISO_Lb0ESQ_SR_SQ_SR_SV_EESW_SX_SY_SZ_S13_S14_S15_S18_S19_jS1A_jS1B_S1B_jjS1D_bEUljE0_EEESW_SX_SY_S15_S19_S1B_T6_T7_T9_mT8_S1D_bDpT10_ENKUlT_T0_E_clISt17integral_constantIbLb0EES1Q_IbLb1EEEEDaS1M_S1N_EUlS1M_E_NS1_11comp_targetILNS1_3genE10ELNS1_11target_archE1200ELNS1_3gpuE4ELNS1_3repE0EEENS1_30default_config_static_selectorELNS0_4arch9wavefront6targetE0EEEvSZ_
		.amdhsa_group_segment_fixed_size 0
		.amdhsa_private_segment_fixed_size 0
		.amdhsa_kernarg_size 184
		.amdhsa_user_sgpr_count 2
		.amdhsa_user_sgpr_dispatch_ptr 0
		.amdhsa_user_sgpr_queue_ptr 0
		.amdhsa_user_sgpr_kernarg_segment_ptr 1
		.amdhsa_user_sgpr_dispatch_id 0
		.amdhsa_user_sgpr_kernarg_preload_length 0
		.amdhsa_user_sgpr_kernarg_preload_offset 0
		.amdhsa_user_sgpr_private_segment_size 0
		.amdhsa_wavefront_size32 1
		.amdhsa_uses_dynamic_stack 0
		.amdhsa_enable_private_segment 0
		.amdhsa_system_sgpr_workgroup_id_x 1
		.amdhsa_system_sgpr_workgroup_id_y 0
		.amdhsa_system_sgpr_workgroup_id_z 0
		.amdhsa_system_sgpr_workgroup_info 0
		.amdhsa_system_vgpr_workitem_id 0
		.amdhsa_next_free_vgpr 1
		.amdhsa_next_free_sgpr 1
		.amdhsa_named_barrier_count 0
		.amdhsa_reserve_vcc 0
		.amdhsa_float_round_mode_32 0
		.amdhsa_float_round_mode_16_64 0
		.amdhsa_float_denorm_mode_32 3
		.amdhsa_float_denorm_mode_16_64 3
		.amdhsa_fp16_overflow 0
		.amdhsa_memory_ordered 1
		.amdhsa_forward_progress 1
		.amdhsa_inst_pref_size 0
		.amdhsa_round_robin_scheduling 0
		.amdhsa_exception_fp_ieee_invalid_op 0
		.amdhsa_exception_fp_denorm_src 0
		.amdhsa_exception_fp_ieee_div_zero 0
		.amdhsa_exception_fp_ieee_overflow 0
		.amdhsa_exception_fp_ieee_underflow 0
		.amdhsa_exception_fp_ieee_inexact 0
		.amdhsa_exception_int_div_zero 0
	.end_amdhsa_kernel
	.section	.text._ZN7rocprim17ROCPRIM_400000_NS6detail17trampoline_kernelINS0_13select_configILj256ELj13ELNS0_17block_load_methodE3ELS4_3ELS4_3ELNS0_20block_scan_algorithmE0ELj4294967295EEENS1_25partition_config_selectorILNS1_17partition_subalgoE4EjNS0_10empty_typeEbEEZZNS1_14partition_implILS8_4ELb0ES6_15HIP_vector_typeIjLj2EENS0_17counting_iteratorIjlEEPS9_SG_NS0_5tupleIJPjSI_NS0_16reverse_iteratorISI_EEEEENSH_IJSG_SG_SG_EEES9_SI_JZNS1_25segmented_radix_sort_implINS0_14default_configELb0EPKlPlSQ_SR_N2at6native12_GLOBAL__N_18offset_tEEE10hipError_tPvRmT1_PNSt15iterator_traitsISZ_E10value_typeET2_T3_PNS10_IS15_E10value_typeET4_jRbjT5_S1B_jjP12ihipStream_tbEUljE_ZNSN_ISO_Lb0ESQ_SR_SQ_SR_SV_EESW_SX_SY_SZ_S13_S14_S15_S18_S19_jS1A_jS1B_S1B_jjS1D_bEUljE0_EEESW_SX_SY_S15_S19_S1B_T6_T7_T9_mT8_S1D_bDpT10_ENKUlT_T0_E_clISt17integral_constantIbLb0EES1Q_IbLb1EEEEDaS1M_S1N_EUlS1M_E_NS1_11comp_targetILNS1_3genE10ELNS1_11target_archE1200ELNS1_3gpuE4ELNS1_3repE0EEENS1_30default_config_static_selectorELNS0_4arch9wavefront6targetE0EEEvSZ_,"axG",@progbits,_ZN7rocprim17ROCPRIM_400000_NS6detail17trampoline_kernelINS0_13select_configILj256ELj13ELNS0_17block_load_methodE3ELS4_3ELS4_3ELNS0_20block_scan_algorithmE0ELj4294967295EEENS1_25partition_config_selectorILNS1_17partition_subalgoE4EjNS0_10empty_typeEbEEZZNS1_14partition_implILS8_4ELb0ES6_15HIP_vector_typeIjLj2EENS0_17counting_iteratorIjlEEPS9_SG_NS0_5tupleIJPjSI_NS0_16reverse_iteratorISI_EEEEENSH_IJSG_SG_SG_EEES9_SI_JZNS1_25segmented_radix_sort_implINS0_14default_configELb0EPKlPlSQ_SR_N2at6native12_GLOBAL__N_18offset_tEEE10hipError_tPvRmT1_PNSt15iterator_traitsISZ_E10value_typeET2_T3_PNS10_IS15_E10value_typeET4_jRbjT5_S1B_jjP12ihipStream_tbEUljE_ZNSN_ISO_Lb0ESQ_SR_SQ_SR_SV_EESW_SX_SY_SZ_S13_S14_S15_S18_S19_jS1A_jS1B_S1B_jjS1D_bEUljE0_EEESW_SX_SY_S15_S19_S1B_T6_T7_T9_mT8_S1D_bDpT10_ENKUlT_T0_E_clISt17integral_constantIbLb0EES1Q_IbLb1EEEEDaS1M_S1N_EUlS1M_E_NS1_11comp_targetILNS1_3genE10ELNS1_11target_archE1200ELNS1_3gpuE4ELNS1_3repE0EEENS1_30default_config_static_selectorELNS0_4arch9wavefront6targetE0EEEvSZ_,comdat
.Lfunc_end768:
	.size	_ZN7rocprim17ROCPRIM_400000_NS6detail17trampoline_kernelINS0_13select_configILj256ELj13ELNS0_17block_load_methodE3ELS4_3ELS4_3ELNS0_20block_scan_algorithmE0ELj4294967295EEENS1_25partition_config_selectorILNS1_17partition_subalgoE4EjNS0_10empty_typeEbEEZZNS1_14partition_implILS8_4ELb0ES6_15HIP_vector_typeIjLj2EENS0_17counting_iteratorIjlEEPS9_SG_NS0_5tupleIJPjSI_NS0_16reverse_iteratorISI_EEEEENSH_IJSG_SG_SG_EEES9_SI_JZNS1_25segmented_radix_sort_implINS0_14default_configELb0EPKlPlSQ_SR_N2at6native12_GLOBAL__N_18offset_tEEE10hipError_tPvRmT1_PNSt15iterator_traitsISZ_E10value_typeET2_T3_PNS10_IS15_E10value_typeET4_jRbjT5_S1B_jjP12ihipStream_tbEUljE_ZNSN_ISO_Lb0ESQ_SR_SQ_SR_SV_EESW_SX_SY_SZ_S13_S14_S15_S18_S19_jS1A_jS1B_S1B_jjS1D_bEUljE0_EEESW_SX_SY_S15_S19_S1B_T6_T7_T9_mT8_S1D_bDpT10_ENKUlT_T0_E_clISt17integral_constantIbLb0EES1Q_IbLb1EEEEDaS1M_S1N_EUlS1M_E_NS1_11comp_targetILNS1_3genE10ELNS1_11target_archE1200ELNS1_3gpuE4ELNS1_3repE0EEENS1_30default_config_static_selectorELNS0_4arch9wavefront6targetE0EEEvSZ_, .Lfunc_end768-_ZN7rocprim17ROCPRIM_400000_NS6detail17trampoline_kernelINS0_13select_configILj256ELj13ELNS0_17block_load_methodE3ELS4_3ELS4_3ELNS0_20block_scan_algorithmE0ELj4294967295EEENS1_25partition_config_selectorILNS1_17partition_subalgoE4EjNS0_10empty_typeEbEEZZNS1_14partition_implILS8_4ELb0ES6_15HIP_vector_typeIjLj2EENS0_17counting_iteratorIjlEEPS9_SG_NS0_5tupleIJPjSI_NS0_16reverse_iteratorISI_EEEEENSH_IJSG_SG_SG_EEES9_SI_JZNS1_25segmented_radix_sort_implINS0_14default_configELb0EPKlPlSQ_SR_N2at6native12_GLOBAL__N_18offset_tEEE10hipError_tPvRmT1_PNSt15iterator_traitsISZ_E10value_typeET2_T3_PNS10_IS15_E10value_typeET4_jRbjT5_S1B_jjP12ihipStream_tbEUljE_ZNSN_ISO_Lb0ESQ_SR_SQ_SR_SV_EESW_SX_SY_SZ_S13_S14_S15_S18_S19_jS1A_jS1B_S1B_jjS1D_bEUljE0_EEESW_SX_SY_S15_S19_S1B_T6_T7_T9_mT8_S1D_bDpT10_ENKUlT_T0_E_clISt17integral_constantIbLb0EES1Q_IbLb1EEEEDaS1M_S1N_EUlS1M_E_NS1_11comp_targetILNS1_3genE10ELNS1_11target_archE1200ELNS1_3gpuE4ELNS1_3repE0EEENS1_30default_config_static_selectorELNS0_4arch9wavefront6targetE0EEEvSZ_
                                        ; -- End function
	.set _ZN7rocprim17ROCPRIM_400000_NS6detail17trampoline_kernelINS0_13select_configILj256ELj13ELNS0_17block_load_methodE3ELS4_3ELS4_3ELNS0_20block_scan_algorithmE0ELj4294967295EEENS1_25partition_config_selectorILNS1_17partition_subalgoE4EjNS0_10empty_typeEbEEZZNS1_14partition_implILS8_4ELb0ES6_15HIP_vector_typeIjLj2EENS0_17counting_iteratorIjlEEPS9_SG_NS0_5tupleIJPjSI_NS0_16reverse_iteratorISI_EEEEENSH_IJSG_SG_SG_EEES9_SI_JZNS1_25segmented_radix_sort_implINS0_14default_configELb0EPKlPlSQ_SR_N2at6native12_GLOBAL__N_18offset_tEEE10hipError_tPvRmT1_PNSt15iterator_traitsISZ_E10value_typeET2_T3_PNS10_IS15_E10value_typeET4_jRbjT5_S1B_jjP12ihipStream_tbEUljE_ZNSN_ISO_Lb0ESQ_SR_SQ_SR_SV_EESW_SX_SY_SZ_S13_S14_S15_S18_S19_jS1A_jS1B_S1B_jjS1D_bEUljE0_EEESW_SX_SY_S15_S19_S1B_T6_T7_T9_mT8_S1D_bDpT10_ENKUlT_T0_E_clISt17integral_constantIbLb0EES1Q_IbLb1EEEEDaS1M_S1N_EUlS1M_E_NS1_11comp_targetILNS1_3genE10ELNS1_11target_archE1200ELNS1_3gpuE4ELNS1_3repE0EEENS1_30default_config_static_selectorELNS0_4arch9wavefront6targetE0EEEvSZ_.num_vgpr, 0
	.set _ZN7rocprim17ROCPRIM_400000_NS6detail17trampoline_kernelINS0_13select_configILj256ELj13ELNS0_17block_load_methodE3ELS4_3ELS4_3ELNS0_20block_scan_algorithmE0ELj4294967295EEENS1_25partition_config_selectorILNS1_17partition_subalgoE4EjNS0_10empty_typeEbEEZZNS1_14partition_implILS8_4ELb0ES6_15HIP_vector_typeIjLj2EENS0_17counting_iteratorIjlEEPS9_SG_NS0_5tupleIJPjSI_NS0_16reverse_iteratorISI_EEEEENSH_IJSG_SG_SG_EEES9_SI_JZNS1_25segmented_radix_sort_implINS0_14default_configELb0EPKlPlSQ_SR_N2at6native12_GLOBAL__N_18offset_tEEE10hipError_tPvRmT1_PNSt15iterator_traitsISZ_E10value_typeET2_T3_PNS10_IS15_E10value_typeET4_jRbjT5_S1B_jjP12ihipStream_tbEUljE_ZNSN_ISO_Lb0ESQ_SR_SQ_SR_SV_EESW_SX_SY_SZ_S13_S14_S15_S18_S19_jS1A_jS1B_S1B_jjS1D_bEUljE0_EEESW_SX_SY_S15_S19_S1B_T6_T7_T9_mT8_S1D_bDpT10_ENKUlT_T0_E_clISt17integral_constantIbLb0EES1Q_IbLb1EEEEDaS1M_S1N_EUlS1M_E_NS1_11comp_targetILNS1_3genE10ELNS1_11target_archE1200ELNS1_3gpuE4ELNS1_3repE0EEENS1_30default_config_static_selectorELNS0_4arch9wavefront6targetE0EEEvSZ_.num_agpr, 0
	.set _ZN7rocprim17ROCPRIM_400000_NS6detail17trampoline_kernelINS0_13select_configILj256ELj13ELNS0_17block_load_methodE3ELS4_3ELS4_3ELNS0_20block_scan_algorithmE0ELj4294967295EEENS1_25partition_config_selectorILNS1_17partition_subalgoE4EjNS0_10empty_typeEbEEZZNS1_14partition_implILS8_4ELb0ES6_15HIP_vector_typeIjLj2EENS0_17counting_iteratorIjlEEPS9_SG_NS0_5tupleIJPjSI_NS0_16reverse_iteratorISI_EEEEENSH_IJSG_SG_SG_EEES9_SI_JZNS1_25segmented_radix_sort_implINS0_14default_configELb0EPKlPlSQ_SR_N2at6native12_GLOBAL__N_18offset_tEEE10hipError_tPvRmT1_PNSt15iterator_traitsISZ_E10value_typeET2_T3_PNS10_IS15_E10value_typeET4_jRbjT5_S1B_jjP12ihipStream_tbEUljE_ZNSN_ISO_Lb0ESQ_SR_SQ_SR_SV_EESW_SX_SY_SZ_S13_S14_S15_S18_S19_jS1A_jS1B_S1B_jjS1D_bEUljE0_EEESW_SX_SY_S15_S19_S1B_T6_T7_T9_mT8_S1D_bDpT10_ENKUlT_T0_E_clISt17integral_constantIbLb0EES1Q_IbLb1EEEEDaS1M_S1N_EUlS1M_E_NS1_11comp_targetILNS1_3genE10ELNS1_11target_archE1200ELNS1_3gpuE4ELNS1_3repE0EEENS1_30default_config_static_selectorELNS0_4arch9wavefront6targetE0EEEvSZ_.numbered_sgpr, 0
	.set _ZN7rocprim17ROCPRIM_400000_NS6detail17trampoline_kernelINS0_13select_configILj256ELj13ELNS0_17block_load_methodE3ELS4_3ELS4_3ELNS0_20block_scan_algorithmE0ELj4294967295EEENS1_25partition_config_selectorILNS1_17partition_subalgoE4EjNS0_10empty_typeEbEEZZNS1_14partition_implILS8_4ELb0ES6_15HIP_vector_typeIjLj2EENS0_17counting_iteratorIjlEEPS9_SG_NS0_5tupleIJPjSI_NS0_16reverse_iteratorISI_EEEEENSH_IJSG_SG_SG_EEES9_SI_JZNS1_25segmented_radix_sort_implINS0_14default_configELb0EPKlPlSQ_SR_N2at6native12_GLOBAL__N_18offset_tEEE10hipError_tPvRmT1_PNSt15iterator_traitsISZ_E10value_typeET2_T3_PNS10_IS15_E10value_typeET4_jRbjT5_S1B_jjP12ihipStream_tbEUljE_ZNSN_ISO_Lb0ESQ_SR_SQ_SR_SV_EESW_SX_SY_SZ_S13_S14_S15_S18_S19_jS1A_jS1B_S1B_jjS1D_bEUljE0_EEESW_SX_SY_S15_S19_S1B_T6_T7_T9_mT8_S1D_bDpT10_ENKUlT_T0_E_clISt17integral_constantIbLb0EES1Q_IbLb1EEEEDaS1M_S1N_EUlS1M_E_NS1_11comp_targetILNS1_3genE10ELNS1_11target_archE1200ELNS1_3gpuE4ELNS1_3repE0EEENS1_30default_config_static_selectorELNS0_4arch9wavefront6targetE0EEEvSZ_.num_named_barrier, 0
	.set _ZN7rocprim17ROCPRIM_400000_NS6detail17trampoline_kernelINS0_13select_configILj256ELj13ELNS0_17block_load_methodE3ELS4_3ELS4_3ELNS0_20block_scan_algorithmE0ELj4294967295EEENS1_25partition_config_selectorILNS1_17partition_subalgoE4EjNS0_10empty_typeEbEEZZNS1_14partition_implILS8_4ELb0ES6_15HIP_vector_typeIjLj2EENS0_17counting_iteratorIjlEEPS9_SG_NS0_5tupleIJPjSI_NS0_16reverse_iteratorISI_EEEEENSH_IJSG_SG_SG_EEES9_SI_JZNS1_25segmented_radix_sort_implINS0_14default_configELb0EPKlPlSQ_SR_N2at6native12_GLOBAL__N_18offset_tEEE10hipError_tPvRmT1_PNSt15iterator_traitsISZ_E10value_typeET2_T3_PNS10_IS15_E10value_typeET4_jRbjT5_S1B_jjP12ihipStream_tbEUljE_ZNSN_ISO_Lb0ESQ_SR_SQ_SR_SV_EESW_SX_SY_SZ_S13_S14_S15_S18_S19_jS1A_jS1B_S1B_jjS1D_bEUljE0_EEESW_SX_SY_S15_S19_S1B_T6_T7_T9_mT8_S1D_bDpT10_ENKUlT_T0_E_clISt17integral_constantIbLb0EES1Q_IbLb1EEEEDaS1M_S1N_EUlS1M_E_NS1_11comp_targetILNS1_3genE10ELNS1_11target_archE1200ELNS1_3gpuE4ELNS1_3repE0EEENS1_30default_config_static_selectorELNS0_4arch9wavefront6targetE0EEEvSZ_.private_seg_size, 0
	.set _ZN7rocprim17ROCPRIM_400000_NS6detail17trampoline_kernelINS0_13select_configILj256ELj13ELNS0_17block_load_methodE3ELS4_3ELS4_3ELNS0_20block_scan_algorithmE0ELj4294967295EEENS1_25partition_config_selectorILNS1_17partition_subalgoE4EjNS0_10empty_typeEbEEZZNS1_14partition_implILS8_4ELb0ES6_15HIP_vector_typeIjLj2EENS0_17counting_iteratorIjlEEPS9_SG_NS0_5tupleIJPjSI_NS0_16reverse_iteratorISI_EEEEENSH_IJSG_SG_SG_EEES9_SI_JZNS1_25segmented_radix_sort_implINS0_14default_configELb0EPKlPlSQ_SR_N2at6native12_GLOBAL__N_18offset_tEEE10hipError_tPvRmT1_PNSt15iterator_traitsISZ_E10value_typeET2_T3_PNS10_IS15_E10value_typeET4_jRbjT5_S1B_jjP12ihipStream_tbEUljE_ZNSN_ISO_Lb0ESQ_SR_SQ_SR_SV_EESW_SX_SY_SZ_S13_S14_S15_S18_S19_jS1A_jS1B_S1B_jjS1D_bEUljE0_EEESW_SX_SY_S15_S19_S1B_T6_T7_T9_mT8_S1D_bDpT10_ENKUlT_T0_E_clISt17integral_constantIbLb0EES1Q_IbLb1EEEEDaS1M_S1N_EUlS1M_E_NS1_11comp_targetILNS1_3genE10ELNS1_11target_archE1200ELNS1_3gpuE4ELNS1_3repE0EEENS1_30default_config_static_selectorELNS0_4arch9wavefront6targetE0EEEvSZ_.uses_vcc, 0
	.set _ZN7rocprim17ROCPRIM_400000_NS6detail17trampoline_kernelINS0_13select_configILj256ELj13ELNS0_17block_load_methodE3ELS4_3ELS4_3ELNS0_20block_scan_algorithmE0ELj4294967295EEENS1_25partition_config_selectorILNS1_17partition_subalgoE4EjNS0_10empty_typeEbEEZZNS1_14partition_implILS8_4ELb0ES6_15HIP_vector_typeIjLj2EENS0_17counting_iteratorIjlEEPS9_SG_NS0_5tupleIJPjSI_NS0_16reverse_iteratorISI_EEEEENSH_IJSG_SG_SG_EEES9_SI_JZNS1_25segmented_radix_sort_implINS0_14default_configELb0EPKlPlSQ_SR_N2at6native12_GLOBAL__N_18offset_tEEE10hipError_tPvRmT1_PNSt15iterator_traitsISZ_E10value_typeET2_T3_PNS10_IS15_E10value_typeET4_jRbjT5_S1B_jjP12ihipStream_tbEUljE_ZNSN_ISO_Lb0ESQ_SR_SQ_SR_SV_EESW_SX_SY_SZ_S13_S14_S15_S18_S19_jS1A_jS1B_S1B_jjS1D_bEUljE0_EEESW_SX_SY_S15_S19_S1B_T6_T7_T9_mT8_S1D_bDpT10_ENKUlT_T0_E_clISt17integral_constantIbLb0EES1Q_IbLb1EEEEDaS1M_S1N_EUlS1M_E_NS1_11comp_targetILNS1_3genE10ELNS1_11target_archE1200ELNS1_3gpuE4ELNS1_3repE0EEENS1_30default_config_static_selectorELNS0_4arch9wavefront6targetE0EEEvSZ_.uses_flat_scratch, 0
	.set _ZN7rocprim17ROCPRIM_400000_NS6detail17trampoline_kernelINS0_13select_configILj256ELj13ELNS0_17block_load_methodE3ELS4_3ELS4_3ELNS0_20block_scan_algorithmE0ELj4294967295EEENS1_25partition_config_selectorILNS1_17partition_subalgoE4EjNS0_10empty_typeEbEEZZNS1_14partition_implILS8_4ELb0ES6_15HIP_vector_typeIjLj2EENS0_17counting_iteratorIjlEEPS9_SG_NS0_5tupleIJPjSI_NS0_16reverse_iteratorISI_EEEEENSH_IJSG_SG_SG_EEES9_SI_JZNS1_25segmented_radix_sort_implINS0_14default_configELb0EPKlPlSQ_SR_N2at6native12_GLOBAL__N_18offset_tEEE10hipError_tPvRmT1_PNSt15iterator_traitsISZ_E10value_typeET2_T3_PNS10_IS15_E10value_typeET4_jRbjT5_S1B_jjP12ihipStream_tbEUljE_ZNSN_ISO_Lb0ESQ_SR_SQ_SR_SV_EESW_SX_SY_SZ_S13_S14_S15_S18_S19_jS1A_jS1B_S1B_jjS1D_bEUljE0_EEESW_SX_SY_S15_S19_S1B_T6_T7_T9_mT8_S1D_bDpT10_ENKUlT_T0_E_clISt17integral_constantIbLb0EES1Q_IbLb1EEEEDaS1M_S1N_EUlS1M_E_NS1_11comp_targetILNS1_3genE10ELNS1_11target_archE1200ELNS1_3gpuE4ELNS1_3repE0EEENS1_30default_config_static_selectorELNS0_4arch9wavefront6targetE0EEEvSZ_.has_dyn_sized_stack, 0
	.set _ZN7rocprim17ROCPRIM_400000_NS6detail17trampoline_kernelINS0_13select_configILj256ELj13ELNS0_17block_load_methodE3ELS4_3ELS4_3ELNS0_20block_scan_algorithmE0ELj4294967295EEENS1_25partition_config_selectorILNS1_17partition_subalgoE4EjNS0_10empty_typeEbEEZZNS1_14partition_implILS8_4ELb0ES6_15HIP_vector_typeIjLj2EENS0_17counting_iteratorIjlEEPS9_SG_NS0_5tupleIJPjSI_NS0_16reverse_iteratorISI_EEEEENSH_IJSG_SG_SG_EEES9_SI_JZNS1_25segmented_radix_sort_implINS0_14default_configELb0EPKlPlSQ_SR_N2at6native12_GLOBAL__N_18offset_tEEE10hipError_tPvRmT1_PNSt15iterator_traitsISZ_E10value_typeET2_T3_PNS10_IS15_E10value_typeET4_jRbjT5_S1B_jjP12ihipStream_tbEUljE_ZNSN_ISO_Lb0ESQ_SR_SQ_SR_SV_EESW_SX_SY_SZ_S13_S14_S15_S18_S19_jS1A_jS1B_S1B_jjS1D_bEUljE0_EEESW_SX_SY_S15_S19_S1B_T6_T7_T9_mT8_S1D_bDpT10_ENKUlT_T0_E_clISt17integral_constantIbLb0EES1Q_IbLb1EEEEDaS1M_S1N_EUlS1M_E_NS1_11comp_targetILNS1_3genE10ELNS1_11target_archE1200ELNS1_3gpuE4ELNS1_3repE0EEENS1_30default_config_static_selectorELNS0_4arch9wavefront6targetE0EEEvSZ_.has_recursion, 0
	.set _ZN7rocprim17ROCPRIM_400000_NS6detail17trampoline_kernelINS0_13select_configILj256ELj13ELNS0_17block_load_methodE3ELS4_3ELS4_3ELNS0_20block_scan_algorithmE0ELj4294967295EEENS1_25partition_config_selectorILNS1_17partition_subalgoE4EjNS0_10empty_typeEbEEZZNS1_14partition_implILS8_4ELb0ES6_15HIP_vector_typeIjLj2EENS0_17counting_iteratorIjlEEPS9_SG_NS0_5tupleIJPjSI_NS0_16reverse_iteratorISI_EEEEENSH_IJSG_SG_SG_EEES9_SI_JZNS1_25segmented_radix_sort_implINS0_14default_configELb0EPKlPlSQ_SR_N2at6native12_GLOBAL__N_18offset_tEEE10hipError_tPvRmT1_PNSt15iterator_traitsISZ_E10value_typeET2_T3_PNS10_IS15_E10value_typeET4_jRbjT5_S1B_jjP12ihipStream_tbEUljE_ZNSN_ISO_Lb0ESQ_SR_SQ_SR_SV_EESW_SX_SY_SZ_S13_S14_S15_S18_S19_jS1A_jS1B_S1B_jjS1D_bEUljE0_EEESW_SX_SY_S15_S19_S1B_T6_T7_T9_mT8_S1D_bDpT10_ENKUlT_T0_E_clISt17integral_constantIbLb0EES1Q_IbLb1EEEEDaS1M_S1N_EUlS1M_E_NS1_11comp_targetILNS1_3genE10ELNS1_11target_archE1200ELNS1_3gpuE4ELNS1_3repE0EEENS1_30default_config_static_selectorELNS0_4arch9wavefront6targetE0EEEvSZ_.has_indirect_call, 0
	.section	.AMDGPU.csdata,"",@progbits
; Kernel info:
; codeLenInByte = 0
; TotalNumSgprs: 0
; NumVgprs: 0
; ScratchSize: 0
; MemoryBound: 0
; FloatMode: 240
; IeeeMode: 1
; LDSByteSize: 0 bytes/workgroup (compile time only)
; SGPRBlocks: 0
; VGPRBlocks: 0
; NumSGPRsForWavesPerEU: 1
; NumVGPRsForWavesPerEU: 1
; NamedBarCnt: 0
; Occupancy: 16
; WaveLimiterHint : 0
; COMPUTE_PGM_RSRC2:SCRATCH_EN: 0
; COMPUTE_PGM_RSRC2:USER_SGPR: 2
; COMPUTE_PGM_RSRC2:TRAP_HANDLER: 0
; COMPUTE_PGM_RSRC2:TGID_X_EN: 1
; COMPUTE_PGM_RSRC2:TGID_Y_EN: 0
; COMPUTE_PGM_RSRC2:TGID_Z_EN: 0
; COMPUTE_PGM_RSRC2:TIDIG_COMP_CNT: 0
	.section	.text._ZN7rocprim17ROCPRIM_400000_NS6detail17trampoline_kernelINS0_13select_configILj256ELj13ELNS0_17block_load_methodE3ELS4_3ELS4_3ELNS0_20block_scan_algorithmE0ELj4294967295EEENS1_25partition_config_selectorILNS1_17partition_subalgoE4EjNS0_10empty_typeEbEEZZNS1_14partition_implILS8_4ELb0ES6_15HIP_vector_typeIjLj2EENS0_17counting_iteratorIjlEEPS9_SG_NS0_5tupleIJPjSI_NS0_16reverse_iteratorISI_EEEEENSH_IJSG_SG_SG_EEES9_SI_JZNS1_25segmented_radix_sort_implINS0_14default_configELb0EPKlPlSQ_SR_N2at6native12_GLOBAL__N_18offset_tEEE10hipError_tPvRmT1_PNSt15iterator_traitsISZ_E10value_typeET2_T3_PNS10_IS15_E10value_typeET4_jRbjT5_S1B_jjP12ihipStream_tbEUljE_ZNSN_ISO_Lb0ESQ_SR_SQ_SR_SV_EESW_SX_SY_SZ_S13_S14_S15_S18_S19_jS1A_jS1B_S1B_jjS1D_bEUljE0_EEESW_SX_SY_S15_S19_S1B_T6_T7_T9_mT8_S1D_bDpT10_ENKUlT_T0_E_clISt17integral_constantIbLb0EES1Q_IbLb1EEEEDaS1M_S1N_EUlS1M_E_NS1_11comp_targetILNS1_3genE9ELNS1_11target_archE1100ELNS1_3gpuE3ELNS1_3repE0EEENS1_30default_config_static_selectorELNS0_4arch9wavefront6targetE0EEEvSZ_,"axG",@progbits,_ZN7rocprim17ROCPRIM_400000_NS6detail17trampoline_kernelINS0_13select_configILj256ELj13ELNS0_17block_load_methodE3ELS4_3ELS4_3ELNS0_20block_scan_algorithmE0ELj4294967295EEENS1_25partition_config_selectorILNS1_17partition_subalgoE4EjNS0_10empty_typeEbEEZZNS1_14partition_implILS8_4ELb0ES6_15HIP_vector_typeIjLj2EENS0_17counting_iteratorIjlEEPS9_SG_NS0_5tupleIJPjSI_NS0_16reverse_iteratorISI_EEEEENSH_IJSG_SG_SG_EEES9_SI_JZNS1_25segmented_radix_sort_implINS0_14default_configELb0EPKlPlSQ_SR_N2at6native12_GLOBAL__N_18offset_tEEE10hipError_tPvRmT1_PNSt15iterator_traitsISZ_E10value_typeET2_T3_PNS10_IS15_E10value_typeET4_jRbjT5_S1B_jjP12ihipStream_tbEUljE_ZNSN_ISO_Lb0ESQ_SR_SQ_SR_SV_EESW_SX_SY_SZ_S13_S14_S15_S18_S19_jS1A_jS1B_S1B_jjS1D_bEUljE0_EEESW_SX_SY_S15_S19_S1B_T6_T7_T9_mT8_S1D_bDpT10_ENKUlT_T0_E_clISt17integral_constantIbLb0EES1Q_IbLb1EEEEDaS1M_S1N_EUlS1M_E_NS1_11comp_targetILNS1_3genE9ELNS1_11target_archE1100ELNS1_3gpuE3ELNS1_3repE0EEENS1_30default_config_static_selectorELNS0_4arch9wavefront6targetE0EEEvSZ_,comdat
	.globl	_ZN7rocprim17ROCPRIM_400000_NS6detail17trampoline_kernelINS0_13select_configILj256ELj13ELNS0_17block_load_methodE3ELS4_3ELS4_3ELNS0_20block_scan_algorithmE0ELj4294967295EEENS1_25partition_config_selectorILNS1_17partition_subalgoE4EjNS0_10empty_typeEbEEZZNS1_14partition_implILS8_4ELb0ES6_15HIP_vector_typeIjLj2EENS0_17counting_iteratorIjlEEPS9_SG_NS0_5tupleIJPjSI_NS0_16reverse_iteratorISI_EEEEENSH_IJSG_SG_SG_EEES9_SI_JZNS1_25segmented_radix_sort_implINS0_14default_configELb0EPKlPlSQ_SR_N2at6native12_GLOBAL__N_18offset_tEEE10hipError_tPvRmT1_PNSt15iterator_traitsISZ_E10value_typeET2_T3_PNS10_IS15_E10value_typeET4_jRbjT5_S1B_jjP12ihipStream_tbEUljE_ZNSN_ISO_Lb0ESQ_SR_SQ_SR_SV_EESW_SX_SY_SZ_S13_S14_S15_S18_S19_jS1A_jS1B_S1B_jjS1D_bEUljE0_EEESW_SX_SY_S15_S19_S1B_T6_T7_T9_mT8_S1D_bDpT10_ENKUlT_T0_E_clISt17integral_constantIbLb0EES1Q_IbLb1EEEEDaS1M_S1N_EUlS1M_E_NS1_11comp_targetILNS1_3genE9ELNS1_11target_archE1100ELNS1_3gpuE3ELNS1_3repE0EEENS1_30default_config_static_selectorELNS0_4arch9wavefront6targetE0EEEvSZ_ ; -- Begin function _ZN7rocprim17ROCPRIM_400000_NS6detail17trampoline_kernelINS0_13select_configILj256ELj13ELNS0_17block_load_methodE3ELS4_3ELS4_3ELNS0_20block_scan_algorithmE0ELj4294967295EEENS1_25partition_config_selectorILNS1_17partition_subalgoE4EjNS0_10empty_typeEbEEZZNS1_14partition_implILS8_4ELb0ES6_15HIP_vector_typeIjLj2EENS0_17counting_iteratorIjlEEPS9_SG_NS0_5tupleIJPjSI_NS0_16reverse_iteratorISI_EEEEENSH_IJSG_SG_SG_EEES9_SI_JZNS1_25segmented_radix_sort_implINS0_14default_configELb0EPKlPlSQ_SR_N2at6native12_GLOBAL__N_18offset_tEEE10hipError_tPvRmT1_PNSt15iterator_traitsISZ_E10value_typeET2_T3_PNS10_IS15_E10value_typeET4_jRbjT5_S1B_jjP12ihipStream_tbEUljE_ZNSN_ISO_Lb0ESQ_SR_SQ_SR_SV_EESW_SX_SY_SZ_S13_S14_S15_S18_S19_jS1A_jS1B_S1B_jjS1D_bEUljE0_EEESW_SX_SY_S15_S19_S1B_T6_T7_T9_mT8_S1D_bDpT10_ENKUlT_T0_E_clISt17integral_constantIbLb0EES1Q_IbLb1EEEEDaS1M_S1N_EUlS1M_E_NS1_11comp_targetILNS1_3genE9ELNS1_11target_archE1100ELNS1_3gpuE3ELNS1_3repE0EEENS1_30default_config_static_selectorELNS0_4arch9wavefront6targetE0EEEvSZ_
	.p2align	8
	.type	_ZN7rocprim17ROCPRIM_400000_NS6detail17trampoline_kernelINS0_13select_configILj256ELj13ELNS0_17block_load_methodE3ELS4_3ELS4_3ELNS0_20block_scan_algorithmE0ELj4294967295EEENS1_25partition_config_selectorILNS1_17partition_subalgoE4EjNS0_10empty_typeEbEEZZNS1_14partition_implILS8_4ELb0ES6_15HIP_vector_typeIjLj2EENS0_17counting_iteratorIjlEEPS9_SG_NS0_5tupleIJPjSI_NS0_16reverse_iteratorISI_EEEEENSH_IJSG_SG_SG_EEES9_SI_JZNS1_25segmented_radix_sort_implINS0_14default_configELb0EPKlPlSQ_SR_N2at6native12_GLOBAL__N_18offset_tEEE10hipError_tPvRmT1_PNSt15iterator_traitsISZ_E10value_typeET2_T3_PNS10_IS15_E10value_typeET4_jRbjT5_S1B_jjP12ihipStream_tbEUljE_ZNSN_ISO_Lb0ESQ_SR_SQ_SR_SV_EESW_SX_SY_SZ_S13_S14_S15_S18_S19_jS1A_jS1B_S1B_jjS1D_bEUljE0_EEESW_SX_SY_S15_S19_S1B_T6_T7_T9_mT8_S1D_bDpT10_ENKUlT_T0_E_clISt17integral_constantIbLb0EES1Q_IbLb1EEEEDaS1M_S1N_EUlS1M_E_NS1_11comp_targetILNS1_3genE9ELNS1_11target_archE1100ELNS1_3gpuE3ELNS1_3repE0EEENS1_30default_config_static_selectorELNS0_4arch9wavefront6targetE0EEEvSZ_,@function
_ZN7rocprim17ROCPRIM_400000_NS6detail17trampoline_kernelINS0_13select_configILj256ELj13ELNS0_17block_load_methodE3ELS4_3ELS4_3ELNS0_20block_scan_algorithmE0ELj4294967295EEENS1_25partition_config_selectorILNS1_17partition_subalgoE4EjNS0_10empty_typeEbEEZZNS1_14partition_implILS8_4ELb0ES6_15HIP_vector_typeIjLj2EENS0_17counting_iteratorIjlEEPS9_SG_NS0_5tupleIJPjSI_NS0_16reverse_iteratorISI_EEEEENSH_IJSG_SG_SG_EEES9_SI_JZNS1_25segmented_radix_sort_implINS0_14default_configELb0EPKlPlSQ_SR_N2at6native12_GLOBAL__N_18offset_tEEE10hipError_tPvRmT1_PNSt15iterator_traitsISZ_E10value_typeET2_T3_PNS10_IS15_E10value_typeET4_jRbjT5_S1B_jjP12ihipStream_tbEUljE_ZNSN_ISO_Lb0ESQ_SR_SQ_SR_SV_EESW_SX_SY_SZ_S13_S14_S15_S18_S19_jS1A_jS1B_S1B_jjS1D_bEUljE0_EEESW_SX_SY_S15_S19_S1B_T6_T7_T9_mT8_S1D_bDpT10_ENKUlT_T0_E_clISt17integral_constantIbLb0EES1Q_IbLb1EEEEDaS1M_S1N_EUlS1M_E_NS1_11comp_targetILNS1_3genE9ELNS1_11target_archE1100ELNS1_3gpuE3ELNS1_3repE0EEENS1_30default_config_static_selectorELNS0_4arch9wavefront6targetE0EEEvSZ_: ; @_ZN7rocprim17ROCPRIM_400000_NS6detail17trampoline_kernelINS0_13select_configILj256ELj13ELNS0_17block_load_methodE3ELS4_3ELS4_3ELNS0_20block_scan_algorithmE0ELj4294967295EEENS1_25partition_config_selectorILNS1_17partition_subalgoE4EjNS0_10empty_typeEbEEZZNS1_14partition_implILS8_4ELb0ES6_15HIP_vector_typeIjLj2EENS0_17counting_iteratorIjlEEPS9_SG_NS0_5tupleIJPjSI_NS0_16reverse_iteratorISI_EEEEENSH_IJSG_SG_SG_EEES9_SI_JZNS1_25segmented_radix_sort_implINS0_14default_configELb0EPKlPlSQ_SR_N2at6native12_GLOBAL__N_18offset_tEEE10hipError_tPvRmT1_PNSt15iterator_traitsISZ_E10value_typeET2_T3_PNS10_IS15_E10value_typeET4_jRbjT5_S1B_jjP12ihipStream_tbEUljE_ZNSN_ISO_Lb0ESQ_SR_SQ_SR_SV_EESW_SX_SY_SZ_S13_S14_S15_S18_S19_jS1A_jS1B_S1B_jjS1D_bEUljE0_EEESW_SX_SY_S15_S19_S1B_T6_T7_T9_mT8_S1D_bDpT10_ENKUlT_T0_E_clISt17integral_constantIbLb0EES1Q_IbLb1EEEEDaS1M_S1N_EUlS1M_E_NS1_11comp_targetILNS1_3genE9ELNS1_11target_archE1100ELNS1_3gpuE3ELNS1_3repE0EEENS1_30default_config_static_selectorELNS0_4arch9wavefront6targetE0EEEvSZ_
; %bb.0:
	.section	.rodata,"a",@progbits
	.p2align	6, 0x0
	.amdhsa_kernel _ZN7rocprim17ROCPRIM_400000_NS6detail17trampoline_kernelINS0_13select_configILj256ELj13ELNS0_17block_load_methodE3ELS4_3ELS4_3ELNS0_20block_scan_algorithmE0ELj4294967295EEENS1_25partition_config_selectorILNS1_17partition_subalgoE4EjNS0_10empty_typeEbEEZZNS1_14partition_implILS8_4ELb0ES6_15HIP_vector_typeIjLj2EENS0_17counting_iteratorIjlEEPS9_SG_NS0_5tupleIJPjSI_NS0_16reverse_iteratorISI_EEEEENSH_IJSG_SG_SG_EEES9_SI_JZNS1_25segmented_radix_sort_implINS0_14default_configELb0EPKlPlSQ_SR_N2at6native12_GLOBAL__N_18offset_tEEE10hipError_tPvRmT1_PNSt15iterator_traitsISZ_E10value_typeET2_T3_PNS10_IS15_E10value_typeET4_jRbjT5_S1B_jjP12ihipStream_tbEUljE_ZNSN_ISO_Lb0ESQ_SR_SQ_SR_SV_EESW_SX_SY_SZ_S13_S14_S15_S18_S19_jS1A_jS1B_S1B_jjS1D_bEUljE0_EEESW_SX_SY_S15_S19_S1B_T6_T7_T9_mT8_S1D_bDpT10_ENKUlT_T0_E_clISt17integral_constantIbLb0EES1Q_IbLb1EEEEDaS1M_S1N_EUlS1M_E_NS1_11comp_targetILNS1_3genE9ELNS1_11target_archE1100ELNS1_3gpuE3ELNS1_3repE0EEENS1_30default_config_static_selectorELNS0_4arch9wavefront6targetE0EEEvSZ_
		.amdhsa_group_segment_fixed_size 0
		.amdhsa_private_segment_fixed_size 0
		.amdhsa_kernarg_size 184
		.amdhsa_user_sgpr_count 2
		.amdhsa_user_sgpr_dispatch_ptr 0
		.amdhsa_user_sgpr_queue_ptr 0
		.amdhsa_user_sgpr_kernarg_segment_ptr 1
		.amdhsa_user_sgpr_dispatch_id 0
		.amdhsa_user_sgpr_kernarg_preload_length 0
		.amdhsa_user_sgpr_kernarg_preload_offset 0
		.amdhsa_user_sgpr_private_segment_size 0
		.amdhsa_wavefront_size32 1
		.amdhsa_uses_dynamic_stack 0
		.amdhsa_enable_private_segment 0
		.amdhsa_system_sgpr_workgroup_id_x 1
		.amdhsa_system_sgpr_workgroup_id_y 0
		.amdhsa_system_sgpr_workgroup_id_z 0
		.amdhsa_system_sgpr_workgroup_info 0
		.amdhsa_system_vgpr_workitem_id 0
		.amdhsa_next_free_vgpr 1
		.amdhsa_next_free_sgpr 1
		.amdhsa_named_barrier_count 0
		.amdhsa_reserve_vcc 0
		.amdhsa_float_round_mode_32 0
		.amdhsa_float_round_mode_16_64 0
		.amdhsa_float_denorm_mode_32 3
		.amdhsa_float_denorm_mode_16_64 3
		.amdhsa_fp16_overflow 0
		.amdhsa_memory_ordered 1
		.amdhsa_forward_progress 1
		.amdhsa_inst_pref_size 0
		.amdhsa_round_robin_scheduling 0
		.amdhsa_exception_fp_ieee_invalid_op 0
		.amdhsa_exception_fp_denorm_src 0
		.amdhsa_exception_fp_ieee_div_zero 0
		.amdhsa_exception_fp_ieee_overflow 0
		.amdhsa_exception_fp_ieee_underflow 0
		.amdhsa_exception_fp_ieee_inexact 0
		.amdhsa_exception_int_div_zero 0
	.end_amdhsa_kernel
	.section	.text._ZN7rocprim17ROCPRIM_400000_NS6detail17trampoline_kernelINS0_13select_configILj256ELj13ELNS0_17block_load_methodE3ELS4_3ELS4_3ELNS0_20block_scan_algorithmE0ELj4294967295EEENS1_25partition_config_selectorILNS1_17partition_subalgoE4EjNS0_10empty_typeEbEEZZNS1_14partition_implILS8_4ELb0ES6_15HIP_vector_typeIjLj2EENS0_17counting_iteratorIjlEEPS9_SG_NS0_5tupleIJPjSI_NS0_16reverse_iteratorISI_EEEEENSH_IJSG_SG_SG_EEES9_SI_JZNS1_25segmented_radix_sort_implINS0_14default_configELb0EPKlPlSQ_SR_N2at6native12_GLOBAL__N_18offset_tEEE10hipError_tPvRmT1_PNSt15iterator_traitsISZ_E10value_typeET2_T3_PNS10_IS15_E10value_typeET4_jRbjT5_S1B_jjP12ihipStream_tbEUljE_ZNSN_ISO_Lb0ESQ_SR_SQ_SR_SV_EESW_SX_SY_SZ_S13_S14_S15_S18_S19_jS1A_jS1B_S1B_jjS1D_bEUljE0_EEESW_SX_SY_S15_S19_S1B_T6_T7_T9_mT8_S1D_bDpT10_ENKUlT_T0_E_clISt17integral_constantIbLb0EES1Q_IbLb1EEEEDaS1M_S1N_EUlS1M_E_NS1_11comp_targetILNS1_3genE9ELNS1_11target_archE1100ELNS1_3gpuE3ELNS1_3repE0EEENS1_30default_config_static_selectorELNS0_4arch9wavefront6targetE0EEEvSZ_,"axG",@progbits,_ZN7rocprim17ROCPRIM_400000_NS6detail17trampoline_kernelINS0_13select_configILj256ELj13ELNS0_17block_load_methodE3ELS4_3ELS4_3ELNS0_20block_scan_algorithmE0ELj4294967295EEENS1_25partition_config_selectorILNS1_17partition_subalgoE4EjNS0_10empty_typeEbEEZZNS1_14partition_implILS8_4ELb0ES6_15HIP_vector_typeIjLj2EENS0_17counting_iteratorIjlEEPS9_SG_NS0_5tupleIJPjSI_NS0_16reverse_iteratorISI_EEEEENSH_IJSG_SG_SG_EEES9_SI_JZNS1_25segmented_radix_sort_implINS0_14default_configELb0EPKlPlSQ_SR_N2at6native12_GLOBAL__N_18offset_tEEE10hipError_tPvRmT1_PNSt15iterator_traitsISZ_E10value_typeET2_T3_PNS10_IS15_E10value_typeET4_jRbjT5_S1B_jjP12ihipStream_tbEUljE_ZNSN_ISO_Lb0ESQ_SR_SQ_SR_SV_EESW_SX_SY_SZ_S13_S14_S15_S18_S19_jS1A_jS1B_S1B_jjS1D_bEUljE0_EEESW_SX_SY_S15_S19_S1B_T6_T7_T9_mT8_S1D_bDpT10_ENKUlT_T0_E_clISt17integral_constantIbLb0EES1Q_IbLb1EEEEDaS1M_S1N_EUlS1M_E_NS1_11comp_targetILNS1_3genE9ELNS1_11target_archE1100ELNS1_3gpuE3ELNS1_3repE0EEENS1_30default_config_static_selectorELNS0_4arch9wavefront6targetE0EEEvSZ_,comdat
.Lfunc_end769:
	.size	_ZN7rocprim17ROCPRIM_400000_NS6detail17trampoline_kernelINS0_13select_configILj256ELj13ELNS0_17block_load_methodE3ELS4_3ELS4_3ELNS0_20block_scan_algorithmE0ELj4294967295EEENS1_25partition_config_selectorILNS1_17partition_subalgoE4EjNS0_10empty_typeEbEEZZNS1_14partition_implILS8_4ELb0ES6_15HIP_vector_typeIjLj2EENS0_17counting_iteratorIjlEEPS9_SG_NS0_5tupleIJPjSI_NS0_16reverse_iteratorISI_EEEEENSH_IJSG_SG_SG_EEES9_SI_JZNS1_25segmented_radix_sort_implINS0_14default_configELb0EPKlPlSQ_SR_N2at6native12_GLOBAL__N_18offset_tEEE10hipError_tPvRmT1_PNSt15iterator_traitsISZ_E10value_typeET2_T3_PNS10_IS15_E10value_typeET4_jRbjT5_S1B_jjP12ihipStream_tbEUljE_ZNSN_ISO_Lb0ESQ_SR_SQ_SR_SV_EESW_SX_SY_SZ_S13_S14_S15_S18_S19_jS1A_jS1B_S1B_jjS1D_bEUljE0_EEESW_SX_SY_S15_S19_S1B_T6_T7_T9_mT8_S1D_bDpT10_ENKUlT_T0_E_clISt17integral_constantIbLb0EES1Q_IbLb1EEEEDaS1M_S1N_EUlS1M_E_NS1_11comp_targetILNS1_3genE9ELNS1_11target_archE1100ELNS1_3gpuE3ELNS1_3repE0EEENS1_30default_config_static_selectorELNS0_4arch9wavefront6targetE0EEEvSZ_, .Lfunc_end769-_ZN7rocprim17ROCPRIM_400000_NS6detail17trampoline_kernelINS0_13select_configILj256ELj13ELNS0_17block_load_methodE3ELS4_3ELS4_3ELNS0_20block_scan_algorithmE0ELj4294967295EEENS1_25partition_config_selectorILNS1_17partition_subalgoE4EjNS0_10empty_typeEbEEZZNS1_14partition_implILS8_4ELb0ES6_15HIP_vector_typeIjLj2EENS0_17counting_iteratorIjlEEPS9_SG_NS0_5tupleIJPjSI_NS0_16reverse_iteratorISI_EEEEENSH_IJSG_SG_SG_EEES9_SI_JZNS1_25segmented_radix_sort_implINS0_14default_configELb0EPKlPlSQ_SR_N2at6native12_GLOBAL__N_18offset_tEEE10hipError_tPvRmT1_PNSt15iterator_traitsISZ_E10value_typeET2_T3_PNS10_IS15_E10value_typeET4_jRbjT5_S1B_jjP12ihipStream_tbEUljE_ZNSN_ISO_Lb0ESQ_SR_SQ_SR_SV_EESW_SX_SY_SZ_S13_S14_S15_S18_S19_jS1A_jS1B_S1B_jjS1D_bEUljE0_EEESW_SX_SY_S15_S19_S1B_T6_T7_T9_mT8_S1D_bDpT10_ENKUlT_T0_E_clISt17integral_constantIbLb0EES1Q_IbLb1EEEEDaS1M_S1N_EUlS1M_E_NS1_11comp_targetILNS1_3genE9ELNS1_11target_archE1100ELNS1_3gpuE3ELNS1_3repE0EEENS1_30default_config_static_selectorELNS0_4arch9wavefront6targetE0EEEvSZ_
                                        ; -- End function
	.set _ZN7rocprim17ROCPRIM_400000_NS6detail17trampoline_kernelINS0_13select_configILj256ELj13ELNS0_17block_load_methodE3ELS4_3ELS4_3ELNS0_20block_scan_algorithmE0ELj4294967295EEENS1_25partition_config_selectorILNS1_17partition_subalgoE4EjNS0_10empty_typeEbEEZZNS1_14partition_implILS8_4ELb0ES6_15HIP_vector_typeIjLj2EENS0_17counting_iteratorIjlEEPS9_SG_NS0_5tupleIJPjSI_NS0_16reverse_iteratorISI_EEEEENSH_IJSG_SG_SG_EEES9_SI_JZNS1_25segmented_radix_sort_implINS0_14default_configELb0EPKlPlSQ_SR_N2at6native12_GLOBAL__N_18offset_tEEE10hipError_tPvRmT1_PNSt15iterator_traitsISZ_E10value_typeET2_T3_PNS10_IS15_E10value_typeET4_jRbjT5_S1B_jjP12ihipStream_tbEUljE_ZNSN_ISO_Lb0ESQ_SR_SQ_SR_SV_EESW_SX_SY_SZ_S13_S14_S15_S18_S19_jS1A_jS1B_S1B_jjS1D_bEUljE0_EEESW_SX_SY_S15_S19_S1B_T6_T7_T9_mT8_S1D_bDpT10_ENKUlT_T0_E_clISt17integral_constantIbLb0EES1Q_IbLb1EEEEDaS1M_S1N_EUlS1M_E_NS1_11comp_targetILNS1_3genE9ELNS1_11target_archE1100ELNS1_3gpuE3ELNS1_3repE0EEENS1_30default_config_static_selectorELNS0_4arch9wavefront6targetE0EEEvSZ_.num_vgpr, 0
	.set _ZN7rocprim17ROCPRIM_400000_NS6detail17trampoline_kernelINS0_13select_configILj256ELj13ELNS0_17block_load_methodE3ELS4_3ELS4_3ELNS0_20block_scan_algorithmE0ELj4294967295EEENS1_25partition_config_selectorILNS1_17partition_subalgoE4EjNS0_10empty_typeEbEEZZNS1_14partition_implILS8_4ELb0ES6_15HIP_vector_typeIjLj2EENS0_17counting_iteratorIjlEEPS9_SG_NS0_5tupleIJPjSI_NS0_16reverse_iteratorISI_EEEEENSH_IJSG_SG_SG_EEES9_SI_JZNS1_25segmented_radix_sort_implINS0_14default_configELb0EPKlPlSQ_SR_N2at6native12_GLOBAL__N_18offset_tEEE10hipError_tPvRmT1_PNSt15iterator_traitsISZ_E10value_typeET2_T3_PNS10_IS15_E10value_typeET4_jRbjT5_S1B_jjP12ihipStream_tbEUljE_ZNSN_ISO_Lb0ESQ_SR_SQ_SR_SV_EESW_SX_SY_SZ_S13_S14_S15_S18_S19_jS1A_jS1B_S1B_jjS1D_bEUljE0_EEESW_SX_SY_S15_S19_S1B_T6_T7_T9_mT8_S1D_bDpT10_ENKUlT_T0_E_clISt17integral_constantIbLb0EES1Q_IbLb1EEEEDaS1M_S1N_EUlS1M_E_NS1_11comp_targetILNS1_3genE9ELNS1_11target_archE1100ELNS1_3gpuE3ELNS1_3repE0EEENS1_30default_config_static_selectorELNS0_4arch9wavefront6targetE0EEEvSZ_.num_agpr, 0
	.set _ZN7rocprim17ROCPRIM_400000_NS6detail17trampoline_kernelINS0_13select_configILj256ELj13ELNS0_17block_load_methodE3ELS4_3ELS4_3ELNS0_20block_scan_algorithmE0ELj4294967295EEENS1_25partition_config_selectorILNS1_17partition_subalgoE4EjNS0_10empty_typeEbEEZZNS1_14partition_implILS8_4ELb0ES6_15HIP_vector_typeIjLj2EENS0_17counting_iteratorIjlEEPS9_SG_NS0_5tupleIJPjSI_NS0_16reverse_iteratorISI_EEEEENSH_IJSG_SG_SG_EEES9_SI_JZNS1_25segmented_radix_sort_implINS0_14default_configELb0EPKlPlSQ_SR_N2at6native12_GLOBAL__N_18offset_tEEE10hipError_tPvRmT1_PNSt15iterator_traitsISZ_E10value_typeET2_T3_PNS10_IS15_E10value_typeET4_jRbjT5_S1B_jjP12ihipStream_tbEUljE_ZNSN_ISO_Lb0ESQ_SR_SQ_SR_SV_EESW_SX_SY_SZ_S13_S14_S15_S18_S19_jS1A_jS1B_S1B_jjS1D_bEUljE0_EEESW_SX_SY_S15_S19_S1B_T6_T7_T9_mT8_S1D_bDpT10_ENKUlT_T0_E_clISt17integral_constantIbLb0EES1Q_IbLb1EEEEDaS1M_S1N_EUlS1M_E_NS1_11comp_targetILNS1_3genE9ELNS1_11target_archE1100ELNS1_3gpuE3ELNS1_3repE0EEENS1_30default_config_static_selectorELNS0_4arch9wavefront6targetE0EEEvSZ_.numbered_sgpr, 0
	.set _ZN7rocprim17ROCPRIM_400000_NS6detail17trampoline_kernelINS0_13select_configILj256ELj13ELNS0_17block_load_methodE3ELS4_3ELS4_3ELNS0_20block_scan_algorithmE0ELj4294967295EEENS1_25partition_config_selectorILNS1_17partition_subalgoE4EjNS0_10empty_typeEbEEZZNS1_14partition_implILS8_4ELb0ES6_15HIP_vector_typeIjLj2EENS0_17counting_iteratorIjlEEPS9_SG_NS0_5tupleIJPjSI_NS0_16reverse_iteratorISI_EEEEENSH_IJSG_SG_SG_EEES9_SI_JZNS1_25segmented_radix_sort_implINS0_14default_configELb0EPKlPlSQ_SR_N2at6native12_GLOBAL__N_18offset_tEEE10hipError_tPvRmT1_PNSt15iterator_traitsISZ_E10value_typeET2_T3_PNS10_IS15_E10value_typeET4_jRbjT5_S1B_jjP12ihipStream_tbEUljE_ZNSN_ISO_Lb0ESQ_SR_SQ_SR_SV_EESW_SX_SY_SZ_S13_S14_S15_S18_S19_jS1A_jS1B_S1B_jjS1D_bEUljE0_EEESW_SX_SY_S15_S19_S1B_T6_T7_T9_mT8_S1D_bDpT10_ENKUlT_T0_E_clISt17integral_constantIbLb0EES1Q_IbLb1EEEEDaS1M_S1N_EUlS1M_E_NS1_11comp_targetILNS1_3genE9ELNS1_11target_archE1100ELNS1_3gpuE3ELNS1_3repE0EEENS1_30default_config_static_selectorELNS0_4arch9wavefront6targetE0EEEvSZ_.num_named_barrier, 0
	.set _ZN7rocprim17ROCPRIM_400000_NS6detail17trampoline_kernelINS0_13select_configILj256ELj13ELNS0_17block_load_methodE3ELS4_3ELS4_3ELNS0_20block_scan_algorithmE0ELj4294967295EEENS1_25partition_config_selectorILNS1_17partition_subalgoE4EjNS0_10empty_typeEbEEZZNS1_14partition_implILS8_4ELb0ES6_15HIP_vector_typeIjLj2EENS0_17counting_iteratorIjlEEPS9_SG_NS0_5tupleIJPjSI_NS0_16reverse_iteratorISI_EEEEENSH_IJSG_SG_SG_EEES9_SI_JZNS1_25segmented_radix_sort_implINS0_14default_configELb0EPKlPlSQ_SR_N2at6native12_GLOBAL__N_18offset_tEEE10hipError_tPvRmT1_PNSt15iterator_traitsISZ_E10value_typeET2_T3_PNS10_IS15_E10value_typeET4_jRbjT5_S1B_jjP12ihipStream_tbEUljE_ZNSN_ISO_Lb0ESQ_SR_SQ_SR_SV_EESW_SX_SY_SZ_S13_S14_S15_S18_S19_jS1A_jS1B_S1B_jjS1D_bEUljE0_EEESW_SX_SY_S15_S19_S1B_T6_T7_T9_mT8_S1D_bDpT10_ENKUlT_T0_E_clISt17integral_constantIbLb0EES1Q_IbLb1EEEEDaS1M_S1N_EUlS1M_E_NS1_11comp_targetILNS1_3genE9ELNS1_11target_archE1100ELNS1_3gpuE3ELNS1_3repE0EEENS1_30default_config_static_selectorELNS0_4arch9wavefront6targetE0EEEvSZ_.private_seg_size, 0
	.set _ZN7rocprim17ROCPRIM_400000_NS6detail17trampoline_kernelINS0_13select_configILj256ELj13ELNS0_17block_load_methodE3ELS4_3ELS4_3ELNS0_20block_scan_algorithmE0ELj4294967295EEENS1_25partition_config_selectorILNS1_17partition_subalgoE4EjNS0_10empty_typeEbEEZZNS1_14partition_implILS8_4ELb0ES6_15HIP_vector_typeIjLj2EENS0_17counting_iteratorIjlEEPS9_SG_NS0_5tupleIJPjSI_NS0_16reverse_iteratorISI_EEEEENSH_IJSG_SG_SG_EEES9_SI_JZNS1_25segmented_radix_sort_implINS0_14default_configELb0EPKlPlSQ_SR_N2at6native12_GLOBAL__N_18offset_tEEE10hipError_tPvRmT1_PNSt15iterator_traitsISZ_E10value_typeET2_T3_PNS10_IS15_E10value_typeET4_jRbjT5_S1B_jjP12ihipStream_tbEUljE_ZNSN_ISO_Lb0ESQ_SR_SQ_SR_SV_EESW_SX_SY_SZ_S13_S14_S15_S18_S19_jS1A_jS1B_S1B_jjS1D_bEUljE0_EEESW_SX_SY_S15_S19_S1B_T6_T7_T9_mT8_S1D_bDpT10_ENKUlT_T0_E_clISt17integral_constantIbLb0EES1Q_IbLb1EEEEDaS1M_S1N_EUlS1M_E_NS1_11comp_targetILNS1_3genE9ELNS1_11target_archE1100ELNS1_3gpuE3ELNS1_3repE0EEENS1_30default_config_static_selectorELNS0_4arch9wavefront6targetE0EEEvSZ_.uses_vcc, 0
	.set _ZN7rocprim17ROCPRIM_400000_NS6detail17trampoline_kernelINS0_13select_configILj256ELj13ELNS0_17block_load_methodE3ELS4_3ELS4_3ELNS0_20block_scan_algorithmE0ELj4294967295EEENS1_25partition_config_selectorILNS1_17partition_subalgoE4EjNS0_10empty_typeEbEEZZNS1_14partition_implILS8_4ELb0ES6_15HIP_vector_typeIjLj2EENS0_17counting_iteratorIjlEEPS9_SG_NS0_5tupleIJPjSI_NS0_16reverse_iteratorISI_EEEEENSH_IJSG_SG_SG_EEES9_SI_JZNS1_25segmented_radix_sort_implINS0_14default_configELb0EPKlPlSQ_SR_N2at6native12_GLOBAL__N_18offset_tEEE10hipError_tPvRmT1_PNSt15iterator_traitsISZ_E10value_typeET2_T3_PNS10_IS15_E10value_typeET4_jRbjT5_S1B_jjP12ihipStream_tbEUljE_ZNSN_ISO_Lb0ESQ_SR_SQ_SR_SV_EESW_SX_SY_SZ_S13_S14_S15_S18_S19_jS1A_jS1B_S1B_jjS1D_bEUljE0_EEESW_SX_SY_S15_S19_S1B_T6_T7_T9_mT8_S1D_bDpT10_ENKUlT_T0_E_clISt17integral_constantIbLb0EES1Q_IbLb1EEEEDaS1M_S1N_EUlS1M_E_NS1_11comp_targetILNS1_3genE9ELNS1_11target_archE1100ELNS1_3gpuE3ELNS1_3repE0EEENS1_30default_config_static_selectorELNS0_4arch9wavefront6targetE0EEEvSZ_.uses_flat_scratch, 0
	.set _ZN7rocprim17ROCPRIM_400000_NS6detail17trampoline_kernelINS0_13select_configILj256ELj13ELNS0_17block_load_methodE3ELS4_3ELS4_3ELNS0_20block_scan_algorithmE0ELj4294967295EEENS1_25partition_config_selectorILNS1_17partition_subalgoE4EjNS0_10empty_typeEbEEZZNS1_14partition_implILS8_4ELb0ES6_15HIP_vector_typeIjLj2EENS0_17counting_iteratorIjlEEPS9_SG_NS0_5tupleIJPjSI_NS0_16reverse_iteratorISI_EEEEENSH_IJSG_SG_SG_EEES9_SI_JZNS1_25segmented_radix_sort_implINS0_14default_configELb0EPKlPlSQ_SR_N2at6native12_GLOBAL__N_18offset_tEEE10hipError_tPvRmT1_PNSt15iterator_traitsISZ_E10value_typeET2_T3_PNS10_IS15_E10value_typeET4_jRbjT5_S1B_jjP12ihipStream_tbEUljE_ZNSN_ISO_Lb0ESQ_SR_SQ_SR_SV_EESW_SX_SY_SZ_S13_S14_S15_S18_S19_jS1A_jS1B_S1B_jjS1D_bEUljE0_EEESW_SX_SY_S15_S19_S1B_T6_T7_T9_mT8_S1D_bDpT10_ENKUlT_T0_E_clISt17integral_constantIbLb0EES1Q_IbLb1EEEEDaS1M_S1N_EUlS1M_E_NS1_11comp_targetILNS1_3genE9ELNS1_11target_archE1100ELNS1_3gpuE3ELNS1_3repE0EEENS1_30default_config_static_selectorELNS0_4arch9wavefront6targetE0EEEvSZ_.has_dyn_sized_stack, 0
	.set _ZN7rocprim17ROCPRIM_400000_NS6detail17trampoline_kernelINS0_13select_configILj256ELj13ELNS0_17block_load_methodE3ELS4_3ELS4_3ELNS0_20block_scan_algorithmE0ELj4294967295EEENS1_25partition_config_selectorILNS1_17partition_subalgoE4EjNS0_10empty_typeEbEEZZNS1_14partition_implILS8_4ELb0ES6_15HIP_vector_typeIjLj2EENS0_17counting_iteratorIjlEEPS9_SG_NS0_5tupleIJPjSI_NS0_16reverse_iteratorISI_EEEEENSH_IJSG_SG_SG_EEES9_SI_JZNS1_25segmented_radix_sort_implINS0_14default_configELb0EPKlPlSQ_SR_N2at6native12_GLOBAL__N_18offset_tEEE10hipError_tPvRmT1_PNSt15iterator_traitsISZ_E10value_typeET2_T3_PNS10_IS15_E10value_typeET4_jRbjT5_S1B_jjP12ihipStream_tbEUljE_ZNSN_ISO_Lb0ESQ_SR_SQ_SR_SV_EESW_SX_SY_SZ_S13_S14_S15_S18_S19_jS1A_jS1B_S1B_jjS1D_bEUljE0_EEESW_SX_SY_S15_S19_S1B_T6_T7_T9_mT8_S1D_bDpT10_ENKUlT_T0_E_clISt17integral_constantIbLb0EES1Q_IbLb1EEEEDaS1M_S1N_EUlS1M_E_NS1_11comp_targetILNS1_3genE9ELNS1_11target_archE1100ELNS1_3gpuE3ELNS1_3repE0EEENS1_30default_config_static_selectorELNS0_4arch9wavefront6targetE0EEEvSZ_.has_recursion, 0
	.set _ZN7rocprim17ROCPRIM_400000_NS6detail17trampoline_kernelINS0_13select_configILj256ELj13ELNS0_17block_load_methodE3ELS4_3ELS4_3ELNS0_20block_scan_algorithmE0ELj4294967295EEENS1_25partition_config_selectorILNS1_17partition_subalgoE4EjNS0_10empty_typeEbEEZZNS1_14partition_implILS8_4ELb0ES6_15HIP_vector_typeIjLj2EENS0_17counting_iteratorIjlEEPS9_SG_NS0_5tupleIJPjSI_NS0_16reverse_iteratorISI_EEEEENSH_IJSG_SG_SG_EEES9_SI_JZNS1_25segmented_radix_sort_implINS0_14default_configELb0EPKlPlSQ_SR_N2at6native12_GLOBAL__N_18offset_tEEE10hipError_tPvRmT1_PNSt15iterator_traitsISZ_E10value_typeET2_T3_PNS10_IS15_E10value_typeET4_jRbjT5_S1B_jjP12ihipStream_tbEUljE_ZNSN_ISO_Lb0ESQ_SR_SQ_SR_SV_EESW_SX_SY_SZ_S13_S14_S15_S18_S19_jS1A_jS1B_S1B_jjS1D_bEUljE0_EEESW_SX_SY_S15_S19_S1B_T6_T7_T9_mT8_S1D_bDpT10_ENKUlT_T0_E_clISt17integral_constantIbLb0EES1Q_IbLb1EEEEDaS1M_S1N_EUlS1M_E_NS1_11comp_targetILNS1_3genE9ELNS1_11target_archE1100ELNS1_3gpuE3ELNS1_3repE0EEENS1_30default_config_static_selectorELNS0_4arch9wavefront6targetE0EEEvSZ_.has_indirect_call, 0
	.section	.AMDGPU.csdata,"",@progbits
; Kernel info:
; codeLenInByte = 0
; TotalNumSgprs: 0
; NumVgprs: 0
; ScratchSize: 0
; MemoryBound: 0
; FloatMode: 240
; IeeeMode: 1
; LDSByteSize: 0 bytes/workgroup (compile time only)
; SGPRBlocks: 0
; VGPRBlocks: 0
; NumSGPRsForWavesPerEU: 1
; NumVGPRsForWavesPerEU: 1
; NamedBarCnt: 0
; Occupancy: 16
; WaveLimiterHint : 0
; COMPUTE_PGM_RSRC2:SCRATCH_EN: 0
; COMPUTE_PGM_RSRC2:USER_SGPR: 2
; COMPUTE_PGM_RSRC2:TRAP_HANDLER: 0
; COMPUTE_PGM_RSRC2:TGID_X_EN: 1
; COMPUTE_PGM_RSRC2:TGID_Y_EN: 0
; COMPUTE_PGM_RSRC2:TGID_Z_EN: 0
; COMPUTE_PGM_RSRC2:TIDIG_COMP_CNT: 0
	.section	.text._ZN7rocprim17ROCPRIM_400000_NS6detail17trampoline_kernelINS0_13select_configILj256ELj13ELNS0_17block_load_methodE3ELS4_3ELS4_3ELNS0_20block_scan_algorithmE0ELj4294967295EEENS1_25partition_config_selectorILNS1_17partition_subalgoE4EjNS0_10empty_typeEbEEZZNS1_14partition_implILS8_4ELb0ES6_15HIP_vector_typeIjLj2EENS0_17counting_iteratorIjlEEPS9_SG_NS0_5tupleIJPjSI_NS0_16reverse_iteratorISI_EEEEENSH_IJSG_SG_SG_EEES9_SI_JZNS1_25segmented_radix_sort_implINS0_14default_configELb0EPKlPlSQ_SR_N2at6native12_GLOBAL__N_18offset_tEEE10hipError_tPvRmT1_PNSt15iterator_traitsISZ_E10value_typeET2_T3_PNS10_IS15_E10value_typeET4_jRbjT5_S1B_jjP12ihipStream_tbEUljE_ZNSN_ISO_Lb0ESQ_SR_SQ_SR_SV_EESW_SX_SY_SZ_S13_S14_S15_S18_S19_jS1A_jS1B_S1B_jjS1D_bEUljE0_EEESW_SX_SY_S15_S19_S1B_T6_T7_T9_mT8_S1D_bDpT10_ENKUlT_T0_E_clISt17integral_constantIbLb0EES1Q_IbLb1EEEEDaS1M_S1N_EUlS1M_E_NS1_11comp_targetILNS1_3genE8ELNS1_11target_archE1030ELNS1_3gpuE2ELNS1_3repE0EEENS1_30default_config_static_selectorELNS0_4arch9wavefront6targetE0EEEvSZ_,"axG",@progbits,_ZN7rocprim17ROCPRIM_400000_NS6detail17trampoline_kernelINS0_13select_configILj256ELj13ELNS0_17block_load_methodE3ELS4_3ELS4_3ELNS0_20block_scan_algorithmE0ELj4294967295EEENS1_25partition_config_selectorILNS1_17partition_subalgoE4EjNS0_10empty_typeEbEEZZNS1_14partition_implILS8_4ELb0ES6_15HIP_vector_typeIjLj2EENS0_17counting_iteratorIjlEEPS9_SG_NS0_5tupleIJPjSI_NS0_16reverse_iteratorISI_EEEEENSH_IJSG_SG_SG_EEES9_SI_JZNS1_25segmented_radix_sort_implINS0_14default_configELb0EPKlPlSQ_SR_N2at6native12_GLOBAL__N_18offset_tEEE10hipError_tPvRmT1_PNSt15iterator_traitsISZ_E10value_typeET2_T3_PNS10_IS15_E10value_typeET4_jRbjT5_S1B_jjP12ihipStream_tbEUljE_ZNSN_ISO_Lb0ESQ_SR_SQ_SR_SV_EESW_SX_SY_SZ_S13_S14_S15_S18_S19_jS1A_jS1B_S1B_jjS1D_bEUljE0_EEESW_SX_SY_S15_S19_S1B_T6_T7_T9_mT8_S1D_bDpT10_ENKUlT_T0_E_clISt17integral_constantIbLb0EES1Q_IbLb1EEEEDaS1M_S1N_EUlS1M_E_NS1_11comp_targetILNS1_3genE8ELNS1_11target_archE1030ELNS1_3gpuE2ELNS1_3repE0EEENS1_30default_config_static_selectorELNS0_4arch9wavefront6targetE0EEEvSZ_,comdat
	.globl	_ZN7rocprim17ROCPRIM_400000_NS6detail17trampoline_kernelINS0_13select_configILj256ELj13ELNS0_17block_load_methodE3ELS4_3ELS4_3ELNS0_20block_scan_algorithmE0ELj4294967295EEENS1_25partition_config_selectorILNS1_17partition_subalgoE4EjNS0_10empty_typeEbEEZZNS1_14partition_implILS8_4ELb0ES6_15HIP_vector_typeIjLj2EENS0_17counting_iteratorIjlEEPS9_SG_NS0_5tupleIJPjSI_NS0_16reverse_iteratorISI_EEEEENSH_IJSG_SG_SG_EEES9_SI_JZNS1_25segmented_radix_sort_implINS0_14default_configELb0EPKlPlSQ_SR_N2at6native12_GLOBAL__N_18offset_tEEE10hipError_tPvRmT1_PNSt15iterator_traitsISZ_E10value_typeET2_T3_PNS10_IS15_E10value_typeET4_jRbjT5_S1B_jjP12ihipStream_tbEUljE_ZNSN_ISO_Lb0ESQ_SR_SQ_SR_SV_EESW_SX_SY_SZ_S13_S14_S15_S18_S19_jS1A_jS1B_S1B_jjS1D_bEUljE0_EEESW_SX_SY_S15_S19_S1B_T6_T7_T9_mT8_S1D_bDpT10_ENKUlT_T0_E_clISt17integral_constantIbLb0EES1Q_IbLb1EEEEDaS1M_S1N_EUlS1M_E_NS1_11comp_targetILNS1_3genE8ELNS1_11target_archE1030ELNS1_3gpuE2ELNS1_3repE0EEENS1_30default_config_static_selectorELNS0_4arch9wavefront6targetE0EEEvSZ_ ; -- Begin function _ZN7rocprim17ROCPRIM_400000_NS6detail17trampoline_kernelINS0_13select_configILj256ELj13ELNS0_17block_load_methodE3ELS4_3ELS4_3ELNS0_20block_scan_algorithmE0ELj4294967295EEENS1_25partition_config_selectorILNS1_17partition_subalgoE4EjNS0_10empty_typeEbEEZZNS1_14partition_implILS8_4ELb0ES6_15HIP_vector_typeIjLj2EENS0_17counting_iteratorIjlEEPS9_SG_NS0_5tupleIJPjSI_NS0_16reverse_iteratorISI_EEEEENSH_IJSG_SG_SG_EEES9_SI_JZNS1_25segmented_radix_sort_implINS0_14default_configELb0EPKlPlSQ_SR_N2at6native12_GLOBAL__N_18offset_tEEE10hipError_tPvRmT1_PNSt15iterator_traitsISZ_E10value_typeET2_T3_PNS10_IS15_E10value_typeET4_jRbjT5_S1B_jjP12ihipStream_tbEUljE_ZNSN_ISO_Lb0ESQ_SR_SQ_SR_SV_EESW_SX_SY_SZ_S13_S14_S15_S18_S19_jS1A_jS1B_S1B_jjS1D_bEUljE0_EEESW_SX_SY_S15_S19_S1B_T6_T7_T9_mT8_S1D_bDpT10_ENKUlT_T0_E_clISt17integral_constantIbLb0EES1Q_IbLb1EEEEDaS1M_S1N_EUlS1M_E_NS1_11comp_targetILNS1_3genE8ELNS1_11target_archE1030ELNS1_3gpuE2ELNS1_3repE0EEENS1_30default_config_static_selectorELNS0_4arch9wavefront6targetE0EEEvSZ_
	.p2align	8
	.type	_ZN7rocprim17ROCPRIM_400000_NS6detail17trampoline_kernelINS0_13select_configILj256ELj13ELNS0_17block_load_methodE3ELS4_3ELS4_3ELNS0_20block_scan_algorithmE0ELj4294967295EEENS1_25partition_config_selectorILNS1_17partition_subalgoE4EjNS0_10empty_typeEbEEZZNS1_14partition_implILS8_4ELb0ES6_15HIP_vector_typeIjLj2EENS0_17counting_iteratorIjlEEPS9_SG_NS0_5tupleIJPjSI_NS0_16reverse_iteratorISI_EEEEENSH_IJSG_SG_SG_EEES9_SI_JZNS1_25segmented_radix_sort_implINS0_14default_configELb0EPKlPlSQ_SR_N2at6native12_GLOBAL__N_18offset_tEEE10hipError_tPvRmT1_PNSt15iterator_traitsISZ_E10value_typeET2_T3_PNS10_IS15_E10value_typeET4_jRbjT5_S1B_jjP12ihipStream_tbEUljE_ZNSN_ISO_Lb0ESQ_SR_SQ_SR_SV_EESW_SX_SY_SZ_S13_S14_S15_S18_S19_jS1A_jS1B_S1B_jjS1D_bEUljE0_EEESW_SX_SY_S15_S19_S1B_T6_T7_T9_mT8_S1D_bDpT10_ENKUlT_T0_E_clISt17integral_constantIbLb0EES1Q_IbLb1EEEEDaS1M_S1N_EUlS1M_E_NS1_11comp_targetILNS1_3genE8ELNS1_11target_archE1030ELNS1_3gpuE2ELNS1_3repE0EEENS1_30default_config_static_selectorELNS0_4arch9wavefront6targetE0EEEvSZ_,@function
_ZN7rocprim17ROCPRIM_400000_NS6detail17trampoline_kernelINS0_13select_configILj256ELj13ELNS0_17block_load_methodE3ELS4_3ELS4_3ELNS0_20block_scan_algorithmE0ELj4294967295EEENS1_25partition_config_selectorILNS1_17partition_subalgoE4EjNS0_10empty_typeEbEEZZNS1_14partition_implILS8_4ELb0ES6_15HIP_vector_typeIjLj2EENS0_17counting_iteratorIjlEEPS9_SG_NS0_5tupleIJPjSI_NS0_16reverse_iteratorISI_EEEEENSH_IJSG_SG_SG_EEES9_SI_JZNS1_25segmented_radix_sort_implINS0_14default_configELb0EPKlPlSQ_SR_N2at6native12_GLOBAL__N_18offset_tEEE10hipError_tPvRmT1_PNSt15iterator_traitsISZ_E10value_typeET2_T3_PNS10_IS15_E10value_typeET4_jRbjT5_S1B_jjP12ihipStream_tbEUljE_ZNSN_ISO_Lb0ESQ_SR_SQ_SR_SV_EESW_SX_SY_SZ_S13_S14_S15_S18_S19_jS1A_jS1B_S1B_jjS1D_bEUljE0_EEESW_SX_SY_S15_S19_S1B_T6_T7_T9_mT8_S1D_bDpT10_ENKUlT_T0_E_clISt17integral_constantIbLb0EES1Q_IbLb1EEEEDaS1M_S1N_EUlS1M_E_NS1_11comp_targetILNS1_3genE8ELNS1_11target_archE1030ELNS1_3gpuE2ELNS1_3repE0EEENS1_30default_config_static_selectorELNS0_4arch9wavefront6targetE0EEEvSZ_: ; @_ZN7rocprim17ROCPRIM_400000_NS6detail17trampoline_kernelINS0_13select_configILj256ELj13ELNS0_17block_load_methodE3ELS4_3ELS4_3ELNS0_20block_scan_algorithmE0ELj4294967295EEENS1_25partition_config_selectorILNS1_17partition_subalgoE4EjNS0_10empty_typeEbEEZZNS1_14partition_implILS8_4ELb0ES6_15HIP_vector_typeIjLj2EENS0_17counting_iteratorIjlEEPS9_SG_NS0_5tupleIJPjSI_NS0_16reverse_iteratorISI_EEEEENSH_IJSG_SG_SG_EEES9_SI_JZNS1_25segmented_radix_sort_implINS0_14default_configELb0EPKlPlSQ_SR_N2at6native12_GLOBAL__N_18offset_tEEE10hipError_tPvRmT1_PNSt15iterator_traitsISZ_E10value_typeET2_T3_PNS10_IS15_E10value_typeET4_jRbjT5_S1B_jjP12ihipStream_tbEUljE_ZNSN_ISO_Lb0ESQ_SR_SQ_SR_SV_EESW_SX_SY_SZ_S13_S14_S15_S18_S19_jS1A_jS1B_S1B_jjS1D_bEUljE0_EEESW_SX_SY_S15_S19_S1B_T6_T7_T9_mT8_S1D_bDpT10_ENKUlT_T0_E_clISt17integral_constantIbLb0EES1Q_IbLb1EEEEDaS1M_S1N_EUlS1M_E_NS1_11comp_targetILNS1_3genE8ELNS1_11target_archE1030ELNS1_3gpuE2ELNS1_3repE0EEENS1_30default_config_static_selectorELNS0_4arch9wavefront6targetE0EEEvSZ_
; %bb.0:
	.section	.rodata,"a",@progbits
	.p2align	6, 0x0
	.amdhsa_kernel _ZN7rocprim17ROCPRIM_400000_NS6detail17trampoline_kernelINS0_13select_configILj256ELj13ELNS0_17block_load_methodE3ELS4_3ELS4_3ELNS0_20block_scan_algorithmE0ELj4294967295EEENS1_25partition_config_selectorILNS1_17partition_subalgoE4EjNS0_10empty_typeEbEEZZNS1_14partition_implILS8_4ELb0ES6_15HIP_vector_typeIjLj2EENS0_17counting_iteratorIjlEEPS9_SG_NS0_5tupleIJPjSI_NS0_16reverse_iteratorISI_EEEEENSH_IJSG_SG_SG_EEES9_SI_JZNS1_25segmented_radix_sort_implINS0_14default_configELb0EPKlPlSQ_SR_N2at6native12_GLOBAL__N_18offset_tEEE10hipError_tPvRmT1_PNSt15iterator_traitsISZ_E10value_typeET2_T3_PNS10_IS15_E10value_typeET4_jRbjT5_S1B_jjP12ihipStream_tbEUljE_ZNSN_ISO_Lb0ESQ_SR_SQ_SR_SV_EESW_SX_SY_SZ_S13_S14_S15_S18_S19_jS1A_jS1B_S1B_jjS1D_bEUljE0_EEESW_SX_SY_S15_S19_S1B_T6_T7_T9_mT8_S1D_bDpT10_ENKUlT_T0_E_clISt17integral_constantIbLb0EES1Q_IbLb1EEEEDaS1M_S1N_EUlS1M_E_NS1_11comp_targetILNS1_3genE8ELNS1_11target_archE1030ELNS1_3gpuE2ELNS1_3repE0EEENS1_30default_config_static_selectorELNS0_4arch9wavefront6targetE0EEEvSZ_
		.amdhsa_group_segment_fixed_size 0
		.amdhsa_private_segment_fixed_size 0
		.amdhsa_kernarg_size 184
		.amdhsa_user_sgpr_count 2
		.amdhsa_user_sgpr_dispatch_ptr 0
		.amdhsa_user_sgpr_queue_ptr 0
		.amdhsa_user_sgpr_kernarg_segment_ptr 1
		.amdhsa_user_sgpr_dispatch_id 0
		.amdhsa_user_sgpr_kernarg_preload_length 0
		.amdhsa_user_sgpr_kernarg_preload_offset 0
		.amdhsa_user_sgpr_private_segment_size 0
		.amdhsa_wavefront_size32 1
		.amdhsa_uses_dynamic_stack 0
		.amdhsa_enable_private_segment 0
		.amdhsa_system_sgpr_workgroup_id_x 1
		.amdhsa_system_sgpr_workgroup_id_y 0
		.amdhsa_system_sgpr_workgroup_id_z 0
		.amdhsa_system_sgpr_workgroup_info 0
		.amdhsa_system_vgpr_workitem_id 0
		.amdhsa_next_free_vgpr 1
		.amdhsa_next_free_sgpr 1
		.amdhsa_named_barrier_count 0
		.amdhsa_reserve_vcc 0
		.amdhsa_float_round_mode_32 0
		.amdhsa_float_round_mode_16_64 0
		.amdhsa_float_denorm_mode_32 3
		.amdhsa_float_denorm_mode_16_64 3
		.amdhsa_fp16_overflow 0
		.amdhsa_memory_ordered 1
		.amdhsa_forward_progress 1
		.amdhsa_inst_pref_size 0
		.amdhsa_round_robin_scheduling 0
		.amdhsa_exception_fp_ieee_invalid_op 0
		.amdhsa_exception_fp_denorm_src 0
		.amdhsa_exception_fp_ieee_div_zero 0
		.amdhsa_exception_fp_ieee_overflow 0
		.amdhsa_exception_fp_ieee_underflow 0
		.amdhsa_exception_fp_ieee_inexact 0
		.amdhsa_exception_int_div_zero 0
	.end_amdhsa_kernel
	.section	.text._ZN7rocprim17ROCPRIM_400000_NS6detail17trampoline_kernelINS0_13select_configILj256ELj13ELNS0_17block_load_methodE3ELS4_3ELS4_3ELNS0_20block_scan_algorithmE0ELj4294967295EEENS1_25partition_config_selectorILNS1_17partition_subalgoE4EjNS0_10empty_typeEbEEZZNS1_14partition_implILS8_4ELb0ES6_15HIP_vector_typeIjLj2EENS0_17counting_iteratorIjlEEPS9_SG_NS0_5tupleIJPjSI_NS0_16reverse_iteratorISI_EEEEENSH_IJSG_SG_SG_EEES9_SI_JZNS1_25segmented_radix_sort_implINS0_14default_configELb0EPKlPlSQ_SR_N2at6native12_GLOBAL__N_18offset_tEEE10hipError_tPvRmT1_PNSt15iterator_traitsISZ_E10value_typeET2_T3_PNS10_IS15_E10value_typeET4_jRbjT5_S1B_jjP12ihipStream_tbEUljE_ZNSN_ISO_Lb0ESQ_SR_SQ_SR_SV_EESW_SX_SY_SZ_S13_S14_S15_S18_S19_jS1A_jS1B_S1B_jjS1D_bEUljE0_EEESW_SX_SY_S15_S19_S1B_T6_T7_T9_mT8_S1D_bDpT10_ENKUlT_T0_E_clISt17integral_constantIbLb0EES1Q_IbLb1EEEEDaS1M_S1N_EUlS1M_E_NS1_11comp_targetILNS1_3genE8ELNS1_11target_archE1030ELNS1_3gpuE2ELNS1_3repE0EEENS1_30default_config_static_selectorELNS0_4arch9wavefront6targetE0EEEvSZ_,"axG",@progbits,_ZN7rocprim17ROCPRIM_400000_NS6detail17trampoline_kernelINS0_13select_configILj256ELj13ELNS0_17block_load_methodE3ELS4_3ELS4_3ELNS0_20block_scan_algorithmE0ELj4294967295EEENS1_25partition_config_selectorILNS1_17partition_subalgoE4EjNS0_10empty_typeEbEEZZNS1_14partition_implILS8_4ELb0ES6_15HIP_vector_typeIjLj2EENS0_17counting_iteratorIjlEEPS9_SG_NS0_5tupleIJPjSI_NS0_16reverse_iteratorISI_EEEEENSH_IJSG_SG_SG_EEES9_SI_JZNS1_25segmented_radix_sort_implINS0_14default_configELb0EPKlPlSQ_SR_N2at6native12_GLOBAL__N_18offset_tEEE10hipError_tPvRmT1_PNSt15iterator_traitsISZ_E10value_typeET2_T3_PNS10_IS15_E10value_typeET4_jRbjT5_S1B_jjP12ihipStream_tbEUljE_ZNSN_ISO_Lb0ESQ_SR_SQ_SR_SV_EESW_SX_SY_SZ_S13_S14_S15_S18_S19_jS1A_jS1B_S1B_jjS1D_bEUljE0_EEESW_SX_SY_S15_S19_S1B_T6_T7_T9_mT8_S1D_bDpT10_ENKUlT_T0_E_clISt17integral_constantIbLb0EES1Q_IbLb1EEEEDaS1M_S1N_EUlS1M_E_NS1_11comp_targetILNS1_3genE8ELNS1_11target_archE1030ELNS1_3gpuE2ELNS1_3repE0EEENS1_30default_config_static_selectorELNS0_4arch9wavefront6targetE0EEEvSZ_,comdat
.Lfunc_end770:
	.size	_ZN7rocprim17ROCPRIM_400000_NS6detail17trampoline_kernelINS0_13select_configILj256ELj13ELNS0_17block_load_methodE3ELS4_3ELS4_3ELNS0_20block_scan_algorithmE0ELj4294967295EEENS1_25partition_config_selectorILNS1_17partition_subalgoE4EjNS0_10empty_typeEbEEZZNS1_14partition_implILS8_4ELb0ES6_15HIP_vector_typeIjLj2EENS0_17counting_iteratorIjlEEPS9_SG_NS0_5tupleIJPjSI_NS0_16reverse_iteratorISI_EEEEENSH_IJSG_SG_SG_EEES9_SI_JZNS1_25segmented_radix_sort_implINS0_14default_configELb0EPKlPlSQ_SR_N2at6native12_GLOBAL__N_18offset_tEEE10hipError_tPvRmT1_PNSt15iterator_traitsISZ_E10value_typeET2_T3_PNS10_IS15_E10value_typeET4_jRbjT5_S1B_jjP12ihipStream_tbEUljE_ZNSN_ISO_Lb0ESQ_SR_SQ_SR_SV_EESW_SX_SY_SZ_S13_S14_S15_S18_S19_jS1A_jS1B_S1B_jjS1D_bEUljE0_EEESW_SX_SY_S15_S19_S1B_T6_T7_T9_mT8_S1D_bDpT10_ENKUlT_T0_E_clISt17integral_constantIbLb0EES1Q_IbLb1EEEEDaS1M_S1N_EUlS1M_E_NS1_11comp_targetILNS1_3genE8ELNS1_11target_archE1030ELNS1_3gpuE2ELNS1_3repE0EEENS1_30default_config_static_selectorELNS0_4arch9wavefront6targetE0EEEvSZ_, .Lfunc_end770-_ZN7rocprim17ROCPRIM_400000_NS6detail17trampoline_kernelINS0_13select_configILj256ELj13ELNS0_17block_load_methodE3ELS4_3ELS4_3ELNS0_20block_scan_algorithmE0ELj4294967295EEENS1_25partition_config_selectorILNS1_17partition_subalgoE4EjNS0_10empty_typeEbEEZZNS1_14partition_implILS8_4ELb0ES6_15HIP_vector_typeIjLj2EENS0_17counting_iteratorIjlEEPS9_SG_NS0_5tupleIJPjSI_NS0_16reverse_iteratorISI_EEEEENSH_IJSG_SG_SG_EEES9_SI_JZNS1_25segmented_radix_sort_implINS0_14default_configELb0EPKlPlSQ_SR_N2at6native12_GLOBAL__N_18offset_tEEE10hipError_tPvRmT1_PNSt15iterator_traitsISZ_E10value_typeET2_T3_PNS10_IS15_E10value_typeET4_jRbjT5_S1B_jjP12ihipStream_tbEUljE_ZNSN_ISO_Lb0ESQ_SR_SQ_SR_SV_EESW_SX_SY_SZ_S13_S14_S15_S18_S19_jS1A_jS1B_S1B_jjS1D_bEUljE0_EEESW_SX_SY_S15_S19_S1B_T6_T7_T9_mT8_S1D_bDpT10_ENKUlT_T0_E_clISt17integral_constantIbLb0EES1Q_IbLb1EEEEDaS1M_S1N_EUlS1M_E_NS1_11comp_targetILNS1_3genE8ELNS1_11target_archE1030ELNS1_3gpuE2ELNS1_3repE0EEENS1_30default_config_static_selectorELNS0_4arch9wavefront6targetE0EEEvSZ_
                                        ; -- End function
	.set _ZN7rocprim17ROCPRIM_400000_NS6detail17trampoline_kernelINS0_13select_configILj256ELj13ELNS0_17block_load_methodE3ELS4_3ELS4_3ELNS0_20block_scan_algorithmE0ELj4294967295EEENS1_25partition_config_selectorILNS1_17partition_subalgoE4EjNS0_10empty_typeEbEEZZNS1_14partition_implILS8_4ELb0ES6_15HIP_vector_typeIjLj2EENS0_17counting_iteratorIjlEEPS9_SG_NS0_5tupleIJPjSI_NS0_16reverse_iteratorISI_EEEEENSH_IJSG_SG_SG_EEES9_SI_JZNS1_25segmented_radix_sort_implINS0_14default_configELb0EPKlPlSQ_SR_N2at6native12_GLOBAL__N_18offset_tEEE10hipError_tPvRmT1_PNSt15iterator_traitsISZ_E10value_typeET2_T3_PNS10_IS15_E10value_typeET4_jRbjT5_S1B_jjP12ihipStream_tbEUljE_ZNSN_ISO_Lb0ESQ_SR_SQ_SR_SV_EESW_SX_SY_SZ_S13_S14_S15_S18_S19_jS1A_jS1B_S1B_jjS1D_bEUljE0_EEESW_SX_SY_S15_S19_S1B_T6_T7_T9_mT8_S1D_bDpT10_ENKUlT_T0_E_clISt17integral_constantIbLb0EES1Q_IbLb1EEEEDaS1M_S1N_EUlS1M_E_NS1_11comp_targetILNS1_3genE8ELNS1_11target_archE1030ELNS1_3gpuE2ELNS1_3repE0EEENS1_30default_config_static_selectorELNS0_4arch9wavefront6targetE0EEEvSZ_.num_vgpr, 0
	.set _ZN7rocprim17ROCPRIM_400000_NS6detail17trampoline_kernelINS0_13select_configILj256ELj13ELNS0_17block_load_methodE3ELS4_3ELS4_3ELNS0_20block_scan_algorithmE0ELj4294967295EEENS1_25partition_config_selectorILNS1_17partition_subalgoE4EjNS0_10empty_typeEbEEZZNS1_14partition_implILS8_4ELb0ES6_15HIP_vector_typeIjLj2EENS0_17counting_iteratorIjlEEPS9_SG_NS0_5tupleIJPjSI_NS0_16reverse_iteratorISI_EEEEENSH_IJSG_SG_SG_EEES9_SI_JZNS1_25segmented_radix_sort_implINS0_14default_configELb0EPKlPlSQ_SR_N2at6native12_GLOBAL__N_18offset_tEEE10hipError_tPvRmT1_PNSt15iterator_traitsISZ_E10value_typeET2_T3_PNS10_IS15_E10value_typeET4_jRbjT5_S1B_jjP12ihipStream_tbEUljE_ZNSN_ISO_Lb0ESQ_SR_SQ_SR_SV_EESW_SX_SY_SZ_S13_S14_S15_S18_S19_jS1A_jS1B_S1B_jjS1D_bEUljE0_EEESW_SX_SY_S15_S19_S1B_T6_T7_T9_mT8_S1D_bDpT10_ENKUlT_T0_E_clISt17integral_constantIbLb0EES1Q_IbLb1EEEEDaS1M_S1N_EUlS1M_E_NS1_11comp_targetILNS1_3genE8ELNS1_11target_archE1030ELNS1_3gpuE2ELNS1_3repE0EEENS1_30default_config_static_selectorELNS0_4arch9wavefront6targetE0EEEvSZ_.num_agpr, 0
	.set _ZN7rocprim17ROCPRIM_400000_NS6detail17trampoline_kernelINS0_13select_configILj256ELj13ELNS0_17block_load_methodE3ELS4_3ELS4_3ELNS0_20block_scan_algorithmE0ELj4294967295EEENS1_25partition_config_selectorILNS1_17partition_subalgoE4EjNS0_10empty_typeEbEEZZNS1_14partition_implILS8_4ELb0ES6_15HIP_vector_typeIjLj2EENS0_17counting_iteratorIjlEEPS9_SG_NS0_5tupleIJPjSI_NS0_16reverse_iteratorISI_EEEEENSH_IJSG_SG_SG_EEES9_SI_JZNS1_25segmented_radix_sort_implINS0_14default_configELb0EPKlPlSQ_SR_N2at6native12_GLOBAL__N_18offset_tEEE10hipError_tPvRmT1_PNSt15iterator_traitsISZ_E10value_typeET2_T3_PNS10_IS15_E10value_typeET4_jRbjT5_S1B_jjP12ihipStream_tbEUljE_ZNSN_ISO_Lb0ESQ_SR_SQ_SR_SV_EESW_SX_SY_SZ_S13_S14_S15_S18_S19_jS1A_jS1B_S1B_jjS1D_bEUljE0_EEESW_SX_SY_S15_S19_S1B_T6_T7_T9_mT8_S1D_bDpT10_ENKUlT_T0_E_clISt17integral_constantIbLb0EES1Q_IbLb1EEEEDaS1M_S1N_EUlS1M_E_NS1_11comp_targetILNS1_3genE8ELNS1_11target_archE1030ELNS1_3gpuE2ELNS1_3repE0EEENS1_30default_config_static_selectorELNS0_4arch9wavefront6targetE0EEEvSZ_.numbered_sgpr, 0
	.set _ZN7rocprim17ROCPRIM_400000_NS6detail17trampoline_kernelINS0_13select_configILj256ELj13ELNS0_17block_load_methodE3ELS4_3ELS4_3ELNS0_20block_scan_algorithmE0ELj4294967295EEENS1_25partition_config_selectorILNS1_17partition_subalgoE4EjNS0_10empty_typeEbEEZZNS1_14partition_implILS8_4ELb0ES6_15HIP_vector_typeIjLj2EENS0_17counting_iteratorIjlEEPS9_SG_NS0_5tupleIJPjSI_NS0_16reverse_iteratorISI_EEEEENSH_IJSG_SG_SG_EEES9_SI_JZNS1_25segmented_radix_sort_implINS0_14default_configELb0EPKlPlSQ_SR_N2at6native12_GLOBAL__N_18offset_tEEE10hipError_tPvRmT1_PNSt15iterator_traitsISZ_E10value_typeET2_T3_PNS10_IS15_E10value_typeET4_jRbjT5_S1B_jjP12ihipStream_tbEUljE_ZNSN_ISO_Lb0ESQ_SR_SQ_SR_SV_EESW_SX_SY_SZ_S13_S14_S15_S18_S19_jS1A_jS1B_S1B_jjS1D_bEUljE0_EEESW_SX_SY_S15_S19_S1B_T6_T7_T9_mT8_S1D_bDpT10_ENKUlT_T0_E_clISt17integral_constantIbLb0EES1Q_IbLb1EEEEDaS1M_S1N_EUlS1M_E_NS1_11comp_targetILNS1_3genE8ELNS1_11target_archE1030ELNS1_3gpuE2ELNS1_3repE0EEENS1_30default_config_static_selectorELNS0_4arch9wavefront6targetE0EEEvSZ_.num_named_barrier, 0
	.set _ZN7rocprim17ROCPRIM_400000_NS6detail17trampoline_kernelINS0_13select_configILj256ELj13ELNS0_17block_load_methodE3ELS4_3ELS4_3ELNS0_20block_scan_algorithmE0ELj4294967295EEENS1_25partition_config_selectorILNS1_17partition_subalgoE4EjNS0_10empty_typeEbEEZZNS1_14partition_implILS8_4ELb0ES6_15HIP_vector_typeIjLj2EENS0_17counting_iteratorIjlEEPS9_SG_NS0_5tupleIJPjSI_NS0_16reverse_iteratorISI_EEEEENSH_IJSG_SG_SG_EEES9_SI_JZNS1_25segmented_radix_sort_implINS0_14default_configELb0EPKlPlSQ_SR_N2at6native12_GLOBAL__N_18offset_tEEE10hipError_tPvRmT1_PNSt15iterator_traitsISZ_E10value_typeET2_T3_PNS10_IS15_E10value_typeET4_jRbjT5_S1B_jjP12ihipStream_tbEUljE_ZNSN_ISO_Lb0ESQ_SR_SQ_SR_SV_EESW_SX_SY_SZ_S13_S14_S15_S18_S19_jS1A_jS1B_S1B_jjS1D_bEUljE0_EEESW_SX_SY_S15_S19_S1B_T6_T7_T9_mT8_S1D_bDpT10_ENKUlT_T0_E_clISt17integral_constantIbLb0EES1Q_IbLb1EEEEDaS1M_S1N_EUlS1M_E_NS1_11comp_targetILNS1_3genE8ELNS1_11target_archE1030ELNS1_3gpuE2ELNS1_3repE0EEENS1_30default_config_static_selectorELNS0_4arch9wavefront6targetE0EEEvSZ_.private_seg_size, 0
	.set _ZN7rocprim17ROCPRIM_400000_NS6detail17trampoline_kernelINS0_13select_configILj256ELj13ELNS0_17block_load_methodE3ELS4_3ELS4_3ELNS0_20block_scan_algorithmE0ELj4294967295EEENS1_25partition_config_selectorILNS1_17partition_subalgoE4EjNS0_10empty_typeEbEEZZNS1_14partition_implILS8_4ELb0ES6_15HIP_vector_typeIjLj2EENS0_17counting_iteratorIjlEEPS9_SG_NS0_5tupleIJPjSI_NS0_16reverse_iteratorISI_EEEEENSH_IJSG_SG_SG_EEES9_SI_JZNS1_25segmented_radix_sort_implINS0_14default_configELb0EPKlPlSQ_SR_N2at6native12_GLOBAL__N_18offset_tEEE10hipError_tPvRmT1_PNSt15iterator_traitsISZ_E10value_typeET2_T3_PNS10_IS15_E10value_typeET4_jRbjT5_S1B_jjP12ihipStream_tbEUljE_ZNSN_ISO_Lb0ESQ_SR_SQ_SR_SV_EESW_SX_SY_SZ_S13_S14_S15_S18_S19_jS1A_jS1B_S1B_jjS1D_bEUljE0_EEESW_SX_SY_S15_S19_S1B_T6_T7_T9_mT8_S1D_bDpT10_ENKUlT_T0_E_clISt17integral_constantIbLb0EES1Q_IbLb1EEEEDaS1M_S1N_EUlS1M_E_NS1_11comp_targetILNS1_3genE8ELNS1_11target_archE1030ELNS1_3gpuE2ELNS1_3repE0EEENS1_30default_config_static_selectorELNS0_4arch9wavefront6targetE0EEEvSZ_.uses_vcc, 0
	.set _ZN7rocprim17ROCPRIM_400000_NS6detail17trampoline_kernelINS0_13select_configILj256ELj13ELNS0_17block_load_methodE3ELS4_3ELS4_3ELNS0_20block_scan_algorithmE0ELj4294967295EEENS1_25partition_config_selectorILNS1_17partition_subalgoE4EjNS0_10empty_typeEbEEZZNS1_14partition_implILS8_4ELb0ES6_15HIP_vector_typeIjLj2EENS0_17counting_iteratorIjlEEPS9_SG_NS0_5tupleIJPjSI_NS0_16reverse_iteratorISI_EEEEENSH_IJSG_SG_SG_EEES9_SI_JZNS1_25segmented_radix_sort_implINS0_14default_configELb0EPKlPlSQ_SR_N2at6native12_GLOBAL__N_18offset_tEEE10hipError_tPvRmT1_PNSt15iterator_traitsISZ_E10value_typeET2_T3_PNS10_IS15_E10value_typeET4_jRbjT5_S1B_jjP12ihipStream_tbEUljE_ZNSN_ISO_Lb0ESQ_SR_SQ_SR_SV_EESW_SX_SY_SZ_S13_S14_S15_S18_S19_jS1A_jS1B_S1B_jjS1D_bEUljE0_EEESW_SX_SY_S15_S19_S1B_T6_T7_T9_mT8_S1D_bDpT10_ENKUlT_T0_E_clISt17integral_constantIbLb0EES1Q_IbLb1EEEEDaS1M_S1N_EUlS1M_E_NS1_11comp_targetILNS1_3genE8ELNS1_11target_archE1030ELNS1_3gpuE2ELNS1_3repE0EEENS1_30default_config_static_selectorELNS0_4arch9wavefront6targetE0EEEvSZ_.uses_flat_scratch, 0
	.set _ZN7rocprim17ROCPRIM_400000_NS6detail17trampoline_kernelINS0_13select_configILj256ELj13ELNS0_17block_load_methodE3ELS4_3ELS4_3ELNS0_20block_scan_algorithmE0ELj4294967295EEENS1_25partition_config_selectorILNS1_17partition_subalgoE4EjNS0_10empty_typeEbEEZZNS1_14partition_implILS8_4ELb0ES6_15HIP_vector_typeIjLj2EENS0_17counting_iteratorIjlEEPS9_SG_NS0_5tupleIJPjSI_NS0_16reverse_iteratorISI_EEEEENSH_IJSG_SG_SG_EEES9_SI_JZNS1_25segmented_radix_sort_implINS0_14default_configELb0EPKlPlSQ_SR_N2at6native12_GLOBAL__N_18offset_tEEE10hipError_tPvRmT1_PNSt15iterator_traitsISZ_E10value_typeET2_T3_PNS10_IS15_E10value_typeET4_jRbjT5_S1B_jjP12ihipStream_tbEUljE_ZNSN_ISO_Lb0ESQ_SR_SQ_SR_SV_EESW_SX_SY_SZ_S13_S14_S15_S18_S19_jS1A_jS1B_S1B_jjS1D_bEUljE0_EEESW_SX_SY_S15_S19_S1B_T6_T7_T9_mT8_S1D_bDpT10_ENKUlT_T0_E_clISt17integral_constantIbLb0EES1Q_IbLb1EEEEDaS1M_S1N_EUlS1M_E_NS1_11comp_targetILNS1_3genE8ELNS1_11target_archE1030ELNS1_3gpuE2ELNS1_3repE0EEENS1_30default_config_static_selectorELNS0_4arch9wavefront6targetE0EEEvSZ_.has_dyn_sized_stack, 0
	.set _ZN7rocprim17ROCPRIM_400000_NS6detail17trampoline_kernelINS0_13select_configILj256ELj13ELNS0_17block_load_methodE3ELS4_3ELS4_3ELNS0_20block_scan_algorithmE0ELj4294967295EEENS1_25partition_config_selectorILNS1_17partition_subalgoE4EjNS0_10empty_typeEbEEZZNS1_14partition_implILS8_4ELb0ES6_15HIP_vector_typeIjLj2EENS0_17counting_iteratorIjlEEPS9_SG_NS0_5tupleIJPjSI_NS0_16reverse_iteratorISI_EEEEENSH_IJSG_SG_SG_EEES9_SI_JZNS1_25segmented_radix_sort_implINS0_14default_configELb0EPKlPlSQ_SR_N2at6native12_GLOBAL__N_18offset_tEEE10hipError_tPvRmT1_PNSt15iterator_traitsISZ_E10value_typeET2_T3_PNS10_IS15_E10value_typeET4_jRbjT5_S1B_jjP12ihipStream_tbEUljE_ZNSN_ISO_Lb0ESQ_SR_SQ_SR_SV_EESW_SX_SY_SZ_S13_S14_S15_S18_S19_jS1A_jS1B_S1B_jjS1D_bEUljE0_EEESW_SX_SY_S15_S19_S1B_T6_T7_T9_mT8_S1D_bDpT10_ENKUlT_T0_E_clISt17integral_constantIbLb0EES1Q_IbLb1EEEEDaS1M_S1N_EUlS1M_E_NS1_11comp_targetILNS1_3genE8ELNS1_11target_archE1030ELNS1_3gpuE2ELNS1_3repE0EEENS1_30default_config_static_selectorELNS0_4arch9wavefront6targetE0EEEvSZ_.has_recursion, 0
	.set _ZN7rocprim17ROCPRIM_400000_NS6detail17trampoline_kernelINS0_13select_configILj256ELj13ELNS0_17block_load_methodE3ELS4_3ELS4_3ELNS0_20block_scan_algorithmE0ELj4294967295EEENS1_25partition_config_selectorILNS1_17partition_subalgoE4EjNS0_10empty_typeEbEEZZNS1_14partition_implILS8_4ELb0ES6_15HIP_vector_typeIjLj2EENS0_17counting_iteratorIjlEEPS9_SG_NS0_5tupleIJPjSI_NS0_16reverse_iteratorISI_EEEEENSH_IJSG_SG_SG_EEES9_SI_JZNS1_25segmented_radix_sort_implINS0_14default_configELb0EPKlPlSQ_SR_N2at6native12_GLOBAL__N_18offset_tEEE10hipError_tPvRmT1_PNSt15iterator_traitsISZ_E10value_typeET2_T3_PNS10_IS15_E10value_typeET4_jRbjT5_S1B_jjP12ihipStream_tbEUljE_ZNSN_ISO_Lb0ESQ_SR_SQ_SR_SV_EESW_SX_SY_SZ_S13_S14_S15_S18_S19_jS1A_jS1B_S1B_jjS1D_bEUljE0_EEESW_SX_SY_S15_S19_S1B_T6_T7_T9_mT8_S1D_bDpT10_ENKUlT_T0_E_clISt17integral_constantIbLb0EES1Q_IbLb1EEEEDaS1M_S1N_EUlS1M_E_NS1_11comp_targetILNS1_3genE8ELNS1_11target_archE1030ELNS1_3gpuE2ELNS1_3repE0EEENS1_30default_config_static_selectorELNS0_4arch9wavefront6targetE0EEEvSZ_.has_indirect_call, 0
	.section	.AMDGPU.csdata,"",@progbits
; Kernel info:
; codeLenInByte = 0
; TotalNumSgprs: 0
; NumVgprs: 0
; ScratchSize: 0
; MemoryBound: 0
; FloatMode: 240
; IeeeMode: 1
; LDSByteSize: 0 bytes/workgroup (compile time only)
; SGPRBlocks: 0
; VGPRBlocks: 0
; NumSGPRsForWavesPerEU: 1
; NumVGPRsForWavesPerEU: 1
; NamedBarCnt: 0
; Occupancy: 16
; WaveLimiterHint : 0
; COMPUTE_PGM_RSRC2:SCRATCH_EN: 0
; COMPUTE_PGM_RSRC2:USER_SGPR: 2
; COMPUTE_PGM_RSRC2:TRAP_HANDLER: 0
; COMPUTE_PGM_RSRC2:TGID_X_EN: 1
; COMPUTE_PGM_RSRC2:TGID_Y_EN: 0
; COMPUTE_PGM_RSRC2:TGID_Z_EN: 0
; COMPUTE_PGM_RSRC2:TIDIG_COMP_CNT: 0
	.section	.text._ZN7rocprim17ROCPRIM_400000_NS6detail17trampoline_kernelINS0_13select_configILj256ELj13ELNS0_17block_load_methodE3ELS4_3ELS4_3ELNS0_20block_scan_algorithmE0ELj4294967295EEENS1_25partition_config_selectorILNS1_17partition_subalgoE3EjNS0_10empty_typeEbEEZZNS1_14partition_implILS8_3ELb0ES6_jNS0_17counting_iteratorIjlEEPS9_SE_NS0_5tupleIJPjSE_EEENSF_IJSE_SE_EEES9_SG_JZNS1_25segmented_radix_sort_implINS0_14default_configELb0EPKlPlSM_SN_N2at6native12_GLOBAL__N_18offset_tEEE10hipError_tPvRmT1_PNSt15iterator_traitsISV_E10value_typeET2_T3_PNSW_IS11_E10value_typeET4_jRbjT5_S17_jjP12ihipStream_tbEUljE_EEESS_ST_SU_S11_S15_S17_T6_T7_T9_mT8_S19_bDpT10_ENKUlT_T0_E_clISt17integral_constantIbLb0EES1M_EEDaS1H_S1I_EUlS1H_E_NS1_11comp_targetILNS1_3genE0ELNS1_11target_archE4294967295ELNS1_3gpuE0ELNS1_3repE0EEENS1_30default_config_static_selectorELNS0_4arch9wavefront6targetE0EEEvSV_,"axG",@progbits,_ZN7rocprim17ROCPRIM_400000_NS6detail17trampoline_kernelINS0_13select_configILj256ELj13ELNS0_17block_load_methodE3ELS4_3ELS4_3ELNS0_20block_scan_algorithmE0ELj4294967295EEENS1_25partition_config_selectorILNS1_17partition_subalgoE3EjNS0_10empty_typeEbEEZZNS1_14partition_implILS8_3ELb0ES6_jNS0_17counting_iteratorIjlEEPS9_SE_NS0_5tupleIJPjSE_EEENSF_IJSE_SE_EEES9_SG_JZNS1_25segmented_radix_sort_implINS0_14default_configELb0EPKlPlSM_SN_N2at6native12_GLOBAL__N_18offset_tEEE10hipError_tPvRmT1_PNSt15iterator_traitsISV_E10value_typeET2_T3_PNSW_IS11_E10value_typeET4_jRbjT5_S17_jjP12ihipStream_tbEUljE_EEESS_ST_SU_S11_S15_S17_T6_T7_T9_mT8_S19_bDpT10_ENKUlT_T0_E_clISt17integral_constantIbLb0EES1M_EEDaS1H_S1I_EUlS1H_E_NS1_11comp_targetILNS1_3genE0ELNS1_11target_archE4294967295ELNS1_3gpuE0ELNS1_3repE0EEENS1_30default_config_static_selectorELNS0_4arch9wavefront6targetE0EEEvSV_,comdat
	.globl	_ZN7rocprim17ROCPRIM_400000_NS6detail17trampoline_kernelINS0_13select_configILj256ELj13ELNS0_17block_load_methodE3ELS4_3ELS4_3ELNS0_20block_scan_algorithmE0ELj4294967295EEENS1_25partition_config_selectorILNS1_17partition_subalgoE3EjNS0_10empty_typeEbEEZZNS1_14partition_implILS8_3ELb0ES6_jNS0_17counting_iteratorIjlEEPS9_SE_NS0_5tupleIJPjSE_EEENSF_IJSE_SE_EEES9_SG_JZNS1_25segmented_radix_sort_implINS0_14default_configELb0EPKlPlSM_SN_N2at6native12_GLOBAL__N_18offset_tEEE10hipError_tPvRmT1_PNSt15iterator_traitsISV_E10value_typeET2_T3_PNSW_IS11_E10value_typeET4_jRbjT5_S17_jjP12ihipStream_tbEUljE_EEESS_ST_SU_S11_S15_S17_T6_T7_T9_mT8_S19_bDpT10_ENKUlT_T0_E_clISt17integral_constantIbLb0EES1M_EEDaS1H_S1I_EUlS1H_E_NS1_11comp_targetILNS1_3genE0ELNS1_11target_archE4294967295ELNS1_3gpuE0ELNS1_3repE0EEENS1_30default_config_static_selectorELNS0_4arch9wavefront6targetE0EEEvSV_ ; -- Begin function _ZN7rocprim17ROCPRIM_400000_NS6detail17trampoline_kernelINS0_13select_configILj256ELj13ELNS0_17block_load_methodE3ELS4_3ELS4_3ELNS0_20block_scan_algorithmE0ELj4294967295EEENS1_25partition_config_selectorILNS1_17partition_subalgoE3EjNS0_10empty_typeEbEEZZNS1_14partition_implILS8_3ELb0ES6_jNS0_17counting_iteratorIjlEEPS9_SE_NS0_5tupleIJPjSE_EEENSF_IJSE_SE_EEES9_SG_JZNS1_25segmented_radix_sort_implINS0_14default_configELb0EPKlPlSM_SN_N2at6native12_GLOBAL__N_18offset_tEEE10hipError_tPvRmT1_PNSt15iterator_traitsISV_E10value_typeET2_T3_PNSW_IS11_E10value_typeET4_jRbjT5_S17_jjP12ihipStream_tbEUljE_EEESS_ST_SU_S11_S15_S17_T6_T7_T9_mT8_S19_bDpT10_ENKUlT_T0_E_clISt17integral_constantIbLb0EES1M_EEDaS1H_S1I_EUlS1H_E_NS1_11comp_targetILNS1_3genE0ELNS1_11target_archE4294967295ELNS1_3gpuE0ELNS1_3repE0EEENS1_30default_config_static_selectorELNS0_4arch9wavefront6targetE0EEEvSV_
	.p2align	8
	.type	_ZN7rocprim17ROCPRIM_400000_NS6detail17trampoline_kernelINS0_13select_configILj256ELj13ELNS0_17block_load_methodE3ELS4_3ELS4_3ELNS0_20block_scan_algorithmE0ELj4294967295EEENS1_25partition_config_selectorILNS1_17partition_subalgoE3EjNS0_10empty_typeEbEEZZNS1_14partition_implILS8_3ELb0ES6_jNS0_17counting_iteratorIjlEEPS9_SE_NS0_5tupleIJPjSE_EEENSF_IJSE_SE_EEES9_SG_JZNS1_25segmented_radix_sort_implINS0_14default_configELb0EPKlPlSM_SN_N2at6native12_GLOBAL__N_18offset_tEEE10hipError_tPvRmT1_PNSt15iterator_traitsISV_E10value_typeET2_T3_PNSW_IS11_E10value_typeET4_jRbjT5_S17_jjP12ihipStream_tbEUljE_EEESS_ST_SU_S11_S15_S17_T6_T7_T9_mT8_S19_bDpT10_ENKUlT_T0_E_clISt17integral_constantIbLb0EES1M_EEDaS1H_S1I_EUlS1H_E_NS1_11comp_targetILNS1_3genE0ELNS1_11target_archE4294967295ELNS1_3gpuE0ELNS1_3repE0EEENS1_30default_config_static_selectorELNS0_4arch9wavefront6targetE0EEEvSV_,@function
_ZN7rocprim17ROCPRIM_400000_NS6detail17trampoline_kernelINS0_13select_configILj256ELj13ELNS0_17block_load_methodE3ELS4_3ELS4_3ELNS0_20block_scan_algorithmE0ELj4294967295EEENS1_25partition_config_selectorILNS1_17partition_subalgoE3EjNS0_10empty_typeEbEEZZNS1_14partition_implILS8_3ELb0ES6_jNS0_17counting_iteratorIjlEEPS9_SE_NS0_5tupleIJPjSE_EEENSF_IJSE_SE_EEES9_SG_JZNS1_25segmented_radix_sort_implINS0_14default_configELb0EPKlPlSM_SN_N2at6native12_GLOBAL__N_18offset_tEEE10hipError_tPvRmT1_PNSt15iterator_traitsISV_E10value_typeET2_T3_PNSW_IS11_E10value_typeET4_jRbjT5_S17_jjP12ihipStream_tbEUljE_EEESS_ST_SU_S11_S15_S17_T6_T7_T9_mT8_S19_bDpT10_ENKUlT_T0_E_clISt17integral_constantIbLb0EES1M_EEDaS1H_S1I_EUlS1H_E_NS1_11comp_targetILNS1_3genE0ELNS1_11target_archE4294967295ELNS1_3gpuE0ELNS1_3repE0EEENS1_30default_config_static_selectorELNS0_4arch9wavefront6targetE0EEEvSV_: ; @_ZN7rocprim17ROCPRIM_400000_NS6detail17trampoline_kernelINS0_13select_configILj256ELj13ELNS0_17block_load_methodE3ELS4_3ELS4_3ELNS0_20block_scan_algorithmE0ELj4294967295EEENS1_25partition_config_selectorILNS1_17partition_subalgoE3EjNS0_10empty_typeEbEEZZNS1_14partition_implILS8_3ELb0ES6_jNS0_17counting_iteratorIjlEEPS9_SE_NS0_5tupleIJPjSE_EEENSF_IJSE_SE_EEES9_SG_JZNS1_25segmented_radix_sort_implINS0_14default_configELb0EPKlPlSM_SN_N2at6native12_GLOBAL__N_18offset_tEEE10hipError_tPvRmT1_PNSt15iterator_traitsISV_E10value_typeET2_T3_PNSW_IS11_E10value_typeET4_jRbjT5_S17_jjP12ihipStream_tbEUljE_EEESS_ST_SU_S11_S15_S17_T6_T7_T9_mT8_S19_bDpT10_ENKUlT_T0_E_clISt17integral_constantIbLb0EES1M_EEDaS1H_S1I_EUlS1H_E_NS1_11comp_targetILNS1_3genE0ELNS1_11target_archE4294967295ELNS1_3gpuE0ELNS1_3repE0EEENS1_30default_config_static_selectorELNS0_4arch9wavefront6targetE0EEEvSV_
; %bb.0:
	s_clause 0x4
	s_load_b128 s[8:11], s[0:1], 0x48
	s_load_b32 s2, s[0:1], 0x70
	s_load_b64 s[12:13], s[0:1], 0x10
	s_load_b64 s[14:15], s[0:1], 0x58
	s_load_b32 s20, s[0:1], 0x8
	s_bfe_u32 s3, ttmp6, 0x4000c
	s_and_b32 s4, ttmp6, 15
	s_add_co_i32 s3, s3, 1
	s_getreg_b32 s5, hwreg(HW_REG_IB_STS2, 6, 4)
	s_mul_i32 s3, ttmp9, s3
	s_mov_b32 s17, 0
	s_add_co_i32 s16, s4, s3
	s_cmp_eq_u32 s5, 0
	s_clause 0x1
	s_load_b32 s3, s[0:1], 0x88
	s_load_b128 s[4:7], s[0:1], 0x78
	s_cselect_b32 s24, ttmp9, s16
	v_lshlrev_b32_e32 v19, 2, v0
	s_wait_kmcnt 0x0
	s_load_b64 s[18:19], s[10:11], 0x0
	s_mul_i32 s16, s2, 0xd00
	s_add_co_i32 s2, s2, -1
	s_add_co_i32 s21, s16, s12
	s_wait_xcnt 0x0
	s_add_nc_u64 s[10:11], s[12:13], s[16:17]
	s_sub_co_i32 s23, s14, s21
	v_cmp_gt_u64_e64 s11, s[14:15], s[10:11]
	s_addk_co_i32 s23, 0xd00
	s_cmp_eq_u32 s24, s2
	s_mul_i32 s10, s24, 0xd00
	s_cselect_b32 s22, -1, 0
	s_cmp_lg_u32 s24, s2
	s_mov_b32 s17, -1
	s_cselect_b32 s2, -1, 0
	s_add_co_i32 s16, s20, s10
	s_or_b32 s11, s2, s11
	s_add_co_i32 s16, s16, s12
	s_and_b32 vcc_lo, exec_lo, s11
	v_add_nc_u32_e32 v1, s16, v0
	s_cbranch_vccz .LBB771_2
; %bb.1:
	s_delay_alu instid0(VALU_DEP_1)
	v_add_nc_u32_e32 v2, 0x100, v1
	v_add_nc_u32_e32 v3, 0x200, v1
	;; [unrolled: 1-line block ×12, first 2 shown]
	ds_store_2addr_stride64_b32 v19, v1, v2 offset1:4
	ds_store_2addr_stride64_b32 v19, v3, v4 offset0:8 offset1:12
	ds_store_2addr_stride64_b32 v19, v5, v6 offset0:16 offset1:20
	;; [unrolled: 1-line block ×5, first 2 shown]
	ds_store_b32 v19, v13 offset:12288
	s_wait_dscnt 0x0
	s_barrier_signal -1
	s_mov_b32 s17, 0
	s_barrier_wait -1
.LBB771_2:
	v_cmp_gt_u32_e64 s2, s23, v0
	v_or_b32_e32 v40, 0x100, v0
	v_or_b32_e32 v38, 0x200, v0
	;; [unrolled: 1-line block ×12, first 2 shown]
	s_and_not1_b32 vcc_lo, exec_lo, s17
	s_cbranch_vccnz .LBB771_4
; %bb.3:
	v_dual_add_nc_u32 v2, s16, v40 :: v_dual_cndmask_b32 v1, 0, v1, s2
	v_cmp_gt_u32_e32 vcc_lo, s23, v40
	v_dual_add_nc_u32 v3, s16, v38 :: v_dual_add_nc_u32 v4, s16, v36
	v_dual_add_nc_u32 v7, s16, v30 :: v_dual_add_nc_u32 v8, s16, v28
	s_delay_alu instid0(VALU_DEP_4)
	v_cndmask_b32_e32 v2, 0, v2, vcc_lo
	v_cmp_gt_u32_e32 vcc_lo, s23, v38
	v_dual_add_nc_u32 v11, s16, v22 :: v_dual_add_nc_u32 v12, s16, v20
	v_cndmask_b32_e32 v3, 0, v3, vcc_lo
	v_cmp_gt_u32_e32 vcc_lo, s23, v36
	v_dual_cndmask_b32 v4, 0, v4 :: v_dual_add_nc_u32 v5, s16, v34
	v_cmp_gt_u32_e32 vcc_lo, s23, v34
	s_delay_alu instid0(VALU_DEP_2) | instskip(SKIP_1) | instid1(VALU_DEP_2)
	v_dual_cndmask_b32 v5, 0, v5 :: v_dual_add_nc_u32 v6, s16, v32
	v_cmp_gt_u32_e32 vcc_lo, s23, v32
	v_cndmask_b32_e32 v6, 0, v6, vcc_lo
	v_cmp_gt_u32_e32 vcc_lo, s23, v30
	v_cndmask_b32_e32 v7, 0, v7, vcc_lo
	v_cmp_gt_u32_e32 vcc_lo, s23, v28
	v_dual_cndmask_b32 v8, 0, v8 :: v_dual_add_nc_u32 v9, s16, v26
	v_cmp_gt_u32_e32 vcc_lo, s23, v26
	s_delay_alu instid0(VALU_DEP_2) | instskip(SKIP_1) | instid1(VALU_DEP_2)
	v_dual_cndmask_b32 v9, 0, v9 :: v_dual_add_nc_u32 v10, s16, v24
	v_cmp_gt_u32_e32 vcc_lo, s23, v24
	v_cndmask_b32_e32 v10, 0, v10, vcc_lo
	v_cmp_gt_u32_e32 vcc_lo, s23, v22
	v_cndmask_b32_e32 v11, 0, v11, vcc_lo
	v_cmp_gt_u32_e32 vcc_lo, s23, v20
	v_dual_cndmask_b32 v12, 0, v12 :: v_dual_add_nc_u32 v13, s16, v18
	v_cmp_gt_u32_e32 vcc_lo, s23, v18
	s_delay_alu instid0(VALU_DEP_2)
	v_cndmask_b32_e32 v13, 0, v13, vcc_lo
	ds_store_2addr_stride64_b32 v19, v1, v2 offset1:4
	ds_store_2addr_stride64_b32 v19, v3, v4 offset0:8 offset1:12
	ds_store_2addr_stride64_b32 v19, v5, v6 offset0:16 offset1:20
	;; [unrolled: 1-line block ×5, first 2 shown]
	ds_store_b32 v19, v13 offset:12288
	s_wait_dscnt 0x0
	s_barrier_signal -1
	s_barrier_wait -1
.LBB771_4:
	v_mul_u32_u24_e32 v23, 13, v0
	v_cndmask_b32_e64 v21, 0, 1, s11
	s_and_not1_b32 vcc_lo, exec_lo, s11
	s_delay_alu instid0(VALU_DEP_2)
	v_lshlrev_b32_e32 v2, 2, v23
	ds_load_2addr_b32 v[50:51], v2 offset0:2 offset1:3
	ds_load_2addr_b32 v[46:47], v2 offset0:6 offset1:7
	;; [unrolled: 1-line block ×3, first 2 shown]
	ds_load_2addr_b32 v[52:53], v2 offset1:1
	ds_load_2addr_b32 v[42:43], v2 offset0:10 offset1:11
	ds_load_b32 v1, v2 offset:48
	ds_load_2addr_b32 v[44:45], v2 offset0:8 offset1:9
	s_wait_dscnt 0x0
	s_barrier_signal -1
	s_barrier_wait -1
	s_cbranch_vccnz .LBB771_6
; %bb.5:
	v_dual_add_nc_u32 v2, s5, v51 :: v_dual_add_nc_u32 v3, s5, v53
	v_dual_add_nc_u32 v4, s5, v52 :: v_dual_add_nc_u32 v5, s5, v50
	;; [unrolled: 1-line block ×4, first 2 shown]
	s_delay_alu instid0(VALU_DEP_3) | instskip(NEXT) | instid1(VALU_DEP_4)
	v_mul_lo_u32 v5, v5, s4
	v_mul_lo_u32 v4, v4, s4
	;; [unrolled: 1-line block ×8, first 2 shown]
	v_dual_add_nc_u32 v10, s5, v48 :: v_dual_add_nc_u32 v11, s7, v48
	v_dual_add_nc_u32 v14, s7, v43 :: v_dual_add_nc_u32 v15, s5, v42
	;; [unrolled: 1-line block ×3, first 2 shown]
	s_delay_alu instid0(VALU_DEP_3)
	v_mul_lo_u32 v10, v10, s4
	v_dual_sub_nc_u32 v2, v2, v6 :: v_dual_sub_nc_u32 v3, v3, v7
	v_dual_sub_nc_u32 v4, v4, v8 :: v_dual_sub_nc_u32 v5, v5, v9
	v_dual_add_nc_u32 v6, s5, v49 :: v_dual_add_nc_u32 v7, s7, v49
	v_dual_add_nc_u32 v8, s5, v47 :: v_dual_add_nc_u32 v9, s7, v47
	v_mul_lo_u32 v11, v11, s6
	s_delay_alu instid0(VALU_DEP_3) | instskip(NEXT) | instid1(VALU_DEP_4)
	v_mul_lo_u32 v6, v6, s4
	v_mul_lo_u32 v7, v7, s6
	s_delay_alu instid0(VALU_DEP_4)
	v_mul_lo_u32 v8, v8, s4
	v_mul_lo_u32 v9, v9, s6
	v_cmp_lt_u32_e32 vcc_lo, s3, v2
	v_dual_add_nc_u32 v12, s5, v46 :: v_dual_add_nc_u32 v13, s5, v44
	v_mul_lo_u32 v14, v14, s6
	v_mul_lo_u32 v16, v16, s6
	v_cndmask_b32_e64 v2, 0, 1, vcc_lo
	v_cmp_lt_u32_e32 vcc_lo, s3, v3
	v_mul_lo_u32 v13, v13, s4
	v_dual_sub_nc_u32 v6, v6, v7 :: v_dual_add_nc_u32 v7, s7, v46
	v_dual_sub_nc_u32 v8, v8, v9 :: v_dual_sub_nc_u32 v9, v10, v11
	v_dual_add_nc_u32 v11, s5, v45 :: v_dual_add_nc_u32 v10, s5, v43
	v_cndmask_b32_e64 v3, 0, 1, vcc_lo
	s_delay_alu instid0(VALU_DEP_4)
	v_cmp_lt_u32_e32 vcc_lo, s3, v6
	v_mul_lo_u32 v12, v12, s4
	v_mul_lo_u32 v7, v7, s6
	v_mul_lo_u32 v10, v10, s4
	v_mul_lo_u32 v11, v11, s4
	v_cndmask_b32_e64 v6, 0, 1, vcc_lo
	v_cmp_lt_u32_e32 vcc_lo, s3, v8
	v_lshlrev_b16 v3, 8, v3
	v_add_nc_u32_e32 v25, s7, v42
	v_mul_lo_u32 v17, v17, s6
	v_lshlrev_b16 v6, 8, v6
	v_cndmask_b32_e64 v8, 0, 1, vcc_lo
	v_cmp_lt_u32_e32 vcc_lo, s3, v4
	v_dual_sub_nc_u32 v7, v12, v7 :: v_dual_sub_nc_u32 v10, v10, v14
	v_mul_lo_u32 v12, v15, s4
	v_mul_lo_u32 v15, v25, s6
	v_dual_add_nc_u32 v25, s7, v1 :: v_dual_lshrrev_b32 v3, 8, v3
	v_sub_nc_u32_e32 v11, v11, v16
	v_cndmask_b32_e64 v4, 0, 1, vcc_lo
	v_cmp_lt_u32_e32 vcc_lo, s3, v10
	v_dual_lshrrev_b32 v6, 8, v6 :: v_dual_add_nc_u32 v14, s5, v1
	v_mul_lo_u32 v16, v25, s6
	v_lshlrev_b16 v2, 8, v2
	v_cndmask_b32_e64 v10, 0, 1, vcc_lo
	v_cmp_lt_u32_e32 vcc_lo, s3, v11
	v_mul_lo_u32 v14, v14, s4
	v_dual_sub_nc_u32 v13, v13, v17 :: v_dual_sub_nc_u32 v12, v12, v15
	v_lshlrev_b16 v3, 8, v3
	v_cndmask_b32_e64 v11, 0, 1, vcc_lo
	v_cmp_lt_u32_e32 vcc_lo, s3, v5
	v_lshrrev_b32_e32 v2, 8, v2
	v_lshlrev_b16 v8, 8, v8
	v_or_b32_e32 v3, v4, v3
	v_lshlrev_b16 v4, 8, v10
	v_cndmask_b32_e64 v5, 0, 1, vcc_lo
	v_cmp_lt_u32_e32 vcc_lo, s3, v9
	v_lshlrev_b16 v10, 8, v11
	v_sub_nc_u32_e32 v11, v14, v16
	v_lshlrev_b16 v2, 8, v2
	v_lshrrev_b32_e32 v4, 8, v4
	v_cndmask_b32_e64 v9, 0, 1, vcc_lo
	v_cmp_lt_u32_e32 vcc_lo, s3, v7
	v_lshrrev_b32_e32 v10, 8, v10
	v_lshlrev_b16 v6, 8, v6
	v_or_b32_e32 v2, v5, v2
	v_lshlrev_b16 v4, 8, v4
	v_cndmask_b32_e64 v7, 0, 1, vcc_lo
	v_cmp_lt_u32_e32 vcc_lo, s3, v13
	v_lshlrev_b16 v10, 8, v10
	v_or_b32_e32 v5, v9, v6
	v_and_b32_e32 v3, 0xffff, v3
	v_dual_lshlrev_b32 v2, 16, v2 :: v_dual_bitop2_b32 v6, v7, v8 bitop3:0x54
	v_cndmask_b32_e64 v13, 0, 1, vcc_lo
	v_cmp_lt_u32_e32 vcc_lo, s3, v12
	s_delay_alu instid0(VALU_DEP_3) | instskip(SKIP_4) | instid1(VALU_DEP_4)
	v_lshlrev_b32_e32 v6, 16, v6
	v_and_b32_e32 v5, 0xffff, v5
	v_or_b32_e32 v35, v3, v2
	v_cndmask_b32_e64 v12, 0, 1, vcc_lo
	v_cmp_lt_u32_e32 vcc_lo, s3, v11
	v_or_b32_e32 v31, v5, v6
	s_delay_alu instid0(VALU_DEP_3) | instskip(SKIP_2) | instid1(VALU_DEP_3)
	v_or_b32_e32 v4, v12, v4
	v_or_b32_e32 v7, v13, v10
	v_cndmask_b32_e64 v25, 0, 1, vcc_lo
	v_lshlrev_b32_e32 v4, 16, v4
	s_delay_alu instid0(VALU_DEP_3) | instskip(NEXT) | instid1(VALU_DEP_1)
	v_and_b32_e32 v7, 0xffff, v7
	v_or_b32_e32 v27, v7, v4
	s_load_b64 s[20:21], s[0:1], 0x68
	s_cbranch_execz .LBB771_7
	s_branch .LBB771_34
.LBB771_6:
                                        ; implicit-def: $vgpr25
                                        ; implicit-def: $vgpr27
                                        ; implicit-def: $vgpr31
                                        ; implicit-def: $vgpr35
	s_load_b64 s[20:21], s[0:1], 0x68
.LBB771_7:
	v_dual_mov_b32 v3, 0 :: v_dual_mov_b32 v2, 0
	s_mov_b32 s2, exec_lo
	v_cmpx_gt_u32_e64 s23, v23
	s_cbranch_execz .LBB771_9
; %bb.8:
	v_dual_add_nc_u32 v2, s5, v52 :: v_dual_add_nc_u32 v4, s7, v52
	s_delay_alu instid0(VALU_DEP_1) | instskip(NEXT) | instid1(VALU_DEP_2)
	v_mul_lo_u32 v2, v2, s4
	v_mul_lo_u32 v4, v4, s6
	s_delay_alu instid0(VALU_DEP_1) | instskip(NEXT) | instid1(VALU_DEP_1)
	v_sub_nc_u32_e32 v2, v2, v4
	v_cmp_lt_u32_e32 vcc_lo, s3, v2
	v_cndmask_b32_e64 v2, 0, 1, vcc_lo
.LBB771_9:
	s_or_b32 exec_lo, exec_lo, s2
	v_add_nc_u32_e32 v4, 1, v23
	s_mov_b32 s2, exec_lo
	s_delay_alu instid0(VALU_DEP_1)
	v_cmpx_gt_u32_e64 s23, v4
	s_cbranch_execz .LBB771_11
; %bb.10:
	v_dual_add_nc_u32 v3, s5, v53 :: v_dual_add_nc_u32 v4, s7, v53
	s_delay_alu instid0(VALU_DEP_1) | instskip(NEXT) | instid1(VALU_DEP_2)
	v_mul_lo_u32 v3, v3, s4
	v_mul_lo_u32 v4, v4, s6
	s_delay_alu instid0(VALU_DEP_1) | instskip(NEXT) | instid1(VALU_DEP_1)
	v_sub_nc_u32_e32 v3, v3, v4
	v_cmp_lt_u32_e32 vcc_lo, s3, v3
	v_cndmask_b32_e64 v3, 0, 1, vcc_lo
.LBB771_11:
	s_or_b32 exec_lo, exec_lo, s2
	v_dual_mov_b32 v5, 0 :: v_dual_add_nc_u32 v4, 2, v23
	s_delay_alu instid0(VALU_DEP_1)
	v_cmp_gt_u32_e32 vcc_lo, s23, v4
	v_mov_b32_e32 v4, 0
	s_and_saveexec_b32 s2, vcc_lo
	s_cbranch_execz .LBB771_13
; %bb.12:
	v_dual_add_nc_u32 v4, s5, v50 :: v_dual_add_nc_u32 v6, s7, v50
	s_delay_alu instid0(VALU_DEP_1) | instskip(NEXT) | instid1(VALU_DEP_2)
	v_mul_lo_u32 v4, v4, s4
	v_mul_lo_u32 v6, v6, s6
	s_delay_alu instid0(VALU_DEP_1) | instskip(NEXT) | instid1(VALU_DEP_1)
	v_sub_nc_u32_e32 v4, v4, v6
	v_cmp_lt_u32_e32 vcc_lo, s3, v4
	v_cndmask_b32_e64 v4, 0, 1, vcc_lo
.LBB771_13:
	s_or_b32 exec_lo, exec_lo, s2
	v_add_nc_u32_e32 v6, 3, v23
	s_mov_b32 s2, exec_lo
	s_delay_alu instid0(VALU_DEP_1)
	v_cmpx_gt_u32_e64 s23, v6
	s_cbranch_execz .LBB771_15
; %bb.14:
	v_dual_add_nc_u32 v5, s5, v51 :: v_dual_add_nc_u32 v6, s7, v51
	s_delay_alu instid0(VALU_DEP_1) | instskip(NEXT) | instid1(VALU_DEP_2)
	v_mul_lo_u32 v5, v5, s4
	v_mul_lo_u32 v6, v6, s6
	s_delay_alu instid0(VALU_DEP_1) | instskip(NEXT) | instid1(VALU_DEP_1)
	v_sub_nc_u32_e32 v5, v5, v6
	v_cmp_lt_u32_e32 vcc_lo, s3, v5
	v_cndmask_b32_e64 v5, 0, 1, vcc_lo
.LBB771_15:
	s_or_b32 exec_lo, exec_lo, s2
	v_dual_mov_b32 v7, 0 :: v_dual_add_nc_u32 v6, 4, v23
	s_delay_alu instid0(VALU_DEP_1)
	v_cmp_gt_u32_e32 vcc_lo, s23, v6
	v_mov_b32_e32 v6, 0
	s_and_saveexec_b32 s2, vcc_lo
	;; [unrolled: 33-line block ×5, first 2 shown]
	s_cbranch_execz .LBB771_29
; %bb.28:
	v_dual_add_nc_u32 v12, s5, v42 :: v_dual_add_nc_u32 v14, s7, v42
	s_delay_alu instid0(VALU_DEP_1) | instskip(NEXT) | instid1(VALU_DEP_2)
	v_mul_lo_u32 v12, v12, s4
	v_mul_lo_u32 v14, v14, s6
	s_delay_alu instid0(VALU_DEP_1) | instskip(NEXT) | instid1(VALU_DEP_1)
	v_sub_nc_u32_e32 v12, v12, v14
	v_cmp_lt_u32_e32 vcc_lo, s3, v12
	v_cndmask_b32_e64 v12, 0, 1, vcc_lo
.LBB771_29:
	s_or_b32 exec_lo, exec_lo, s2
	v_add_nc_u32_e32 v14, 11, v23
	s_mov_b32 s2, exec_lo
	s_delay_alu instid0(VALU_DEP_1)
	v_cmpx_gt_u32_e64 s23, v14
	s_cbranch_execz .LBB771_31
; %bb.30:
	v_dual_add_nc_u32 v13, s5, v43 :: v_dual_add_nc_u32 v14, s7, v43
	s_delay_alu instid0(VALU_DEP_1) | instskip(NEXT) | instid1(VALU_DEP_2)
	v_mul_lo_u32 v13, v13, s4
	v_mul_lo_u32 v14, v14, s6
	s_delay_alu instid0(VALU_DEP_1) | instskip(NEXT) | instid1(VALU_DEP_1)
	v_sub_nc_u32_e32 v13, v13, v14
	v_cmp_lt_u32_e32 vcc_lo, s3, v13
	v_cndmask_b32_e64 v13, 0, 1, vcc_lo
.LBB771_31:
	s_or_b32 exec_lo, exec_lo, s2
	v_dual_mov_b32 v25, 0 :: v_dual_add_nc_u32 v14, 12, v23
	s_mov_b32 s2, exec_lo
	s_delay_alu instid0(VALU_DEP_1)
	v_cmpx_gt_u32_e64 s23, v14
	s_cbranch_execz .LBB771_33
; %bb.32:
	v_dual_add_nc_u32 v14, s7, v1 :: v_dual_add_nc_u32 v15, s5, v1
	s_delay_alu instid0(VALU_DEP_1) | instskip(NEXT) | instid1(VALU_DEP_2)
	v_mul_lo_u32 v14, v14, s6
	v_mul_lo_u32 v15, v15, s4
	s_delay_alu instid0(VALU_DEP_1) | instskip(NEXT) | instid1(VALU_DEP_1)
	v_sub_nc_u32_e32 v14, v15, v14
	v_cmp_lt_u32_e32 vcc_lo, s3, v14
	v_cndmask_b32_e64 v25, 0, 1, vcc_lo
.LBB771_33:
	s_or_b32 exec_lo, exec_lo, s2
	v_lshlrev_b16 v5, 8, v5
	v_lshlrev_b16 v7, 8, v7
	;; [unrolled: 1-line block ×5, first 2 shown]
	v_or_b32_e32 v4, v4, v5
	v_or_b32_e32 v5, v6, v7
	;; [unrolled: 1-line block ×3, first 2 shown]
	s_delay_alu instid0(VALU_DEP_4) | instskip(NEXT) | instid1(VALU_DEP_3)
	v_or_b32_e32 v7, v10, v11
	v_and_b32_e32 v5, 0xffff, v5
	s_delay_alu instid0(VALU_DEP_3) | instskip(SKIP_3) | instid1(VALU_DEP_4)
	v_dual_lshlrev_b32 v6, 16, v6 :: v_dual_bitop2_b32 v2, v2, v3 bitop3:0x54
	v_lshlrev_b32_e32 v4, 16, v4
	v_lshlrev_b16 v3, 8, v13
	v_and_b32_e32 v7, 0xffff, v7
	v_or_b32_e32 v31, v5, v6
	v_and_b32_e32 v2, 0xffff, v2
	s_delay_alu instid0(VALU_DEP_4) | instskip(NEXT) | instid1(VALU_DEP_1)
	v_or_b32_e32 v3, v12, v3
	v_dual_lshlrev_b32 v3, 16, v3 :: v_dual_bitop2_b32 v35, v2, v4 bitop3:0x54
	s_delay_alu instid0(VALU_DEP_1)
	v_or_b32_e32 v27, v7, v3
.LBB771_34:
	s_delay_alu instid0(VALU_DEP_2)
	v_bfe_u32 v39, v35, 16, 8
	v_bfe_u32 v41, v35, 8, 8
	v_and_b32_e32 v55, 0xff, v35
	v_and_b32_e32 v56, 0xff, v31
	v_mbcnt_lo_u32_b32 v62, -1, 0
	v_lshrrev_b32_e32 v37, 24, v35
	v_bfe_u32 v57, v31, 16, 8
	v_add3_u32 v2, v41, v55, v39
	v_bfe_u32 v58, v31, 8, 8
	v_and_b32_e32 v4, 15, v62
	s_load_b64 s[16:17], s[0:1], 0x28
	v_dual_lshrrev_b32 v33, 24, v31 :: v_dual_lshrrev_b32 v63, 5, v0
	v_add3_u32 v2, v2, v37, v56
	v_and_b32_e32 v59, 0xff, v27
	v_bfe_u32 v60, v27, 16, 8
	v_bfe_u32 v61, v27, 8, 8
	v_dual_lshrrev_b32 v29, 24, v27 :: v_dual_bitop2_b32 v5, 31, v0 bitop3:0x54
	v_add3_u32 v2, v2, v58, v57
	v_and_b32_e32 v3, 0xff, v25
	v_and_b32_e32 v6, 16, v62
	v_cmp_eq_u32_e64 s5, 0, v4
	v_cmp_lt_u32_e64 s4, 1, v4
	v_add3_u32 v2, v2, v33, v59
	v_cmp_lt_u32_e64 s3, 3, v4
	v_cmp_lt_u32_e64 s2, 7, v4
	s_wait_xcnt 0x0
	v_cmp_eq_u32_e64 s1, 0, v6
	v_cmp_eq_u32_e64 s0, v0, v5
	v_add3_u32 v2, v2, v61, v60
	s_cmp_lg_u32 s24, 0
	s_mov_b32 s6, -1
	s_delay_alu instid0(VALU_DEP_1)
	v_add3_u32 v64, v2, v29, v3
	s_cbranch_scc0 .LBB771_56
; %bb.35:
	s_delay_alu instid0(VALU_DEP_1) | instskip(NEXT) | instid1(VALU_DEP_1)
	v_mov_b32_dpp v2, v64 row_shr:1 row_mask:0xf bank_mask:0xf
	v_cndmask_b32_e64 v2, v2, 0, s5
	s_delay_alu instid0(VALU_DEP_1) | instskip(NEXT) | instid1(VALU_DEP_1)
	v_add_nc_u32_e32 v2, v2, v64
	v_mov_b32_dpp v3, v2 row_shr:2 row_mask:0xf bank_mask:0xf
	s_delay_alu instid0(VALU_DEP_1) | instskip(NEXT) | instid1(VALU_DEP_1)
	v_cndmask_b32_e64 v3, 0, v3, s4
	v_add_nc_u32_e32 v2, v2, v3
	s_delay_alu instid0(VALU_DEP_1) | instskip(NEXT) | instid1(VALU_DEP_1)
	v_mov_b32_dpp v3, v2 row_shr:4 row_mask:0xf bank_mask:0xf
	v_cndmask_b32_e64 v3, 0, v3, s3
	s_delay_alu instid0(VALU_DEP_1) | instskip(NEXT) | instid1(VALU_DEP_1)
	v_add_nc_u32_e32 v2, v2, v3
	v_mov_b32_dpp v3, v2 row_shr:8 row_mask:0xf bank_mask:0xf
	s_delay_alu instid0(VALU_DEP_1) | instskip(NEXT) | instid1(VALU_DEP_1)
	v_cndmask_b32_e64 v3, 0, v3, s2
	v_add_nc_u32_e32 v2, v2, v3
	ds_swizzle_b32 v3, v2 offset:swizzle(BROADCAST,32,15)
	s_wait_dscnt 0x0
	v_cndmask_b32_e64 v3, v3, 0, s1
	s_delay_alu instid0(VALU_DEP_1)
	v_add_nc_u32_e32 v2, v2, v3
	s_and_saveexec_b32 s6, s0
; %bb.36:
	v_lshlrev_b32_e32 v3, 2, v63
	ds_store_b32 v3, v2
; %bb.37:
	s_or_b32 exec_lo, exec_lo, s6
	s_delay_alu instid0(SALU_CYCLE_1)
	s_mov_b32 s6, exec_lo
	s_wait_dscnt 0x0
	s_barrier_signal -1
	s_barrier_wait -1
	v_cmpx_gt_u32_e32 8, v0
	s_cbranch_execz .LBB771_39
; %bb.38:
	ds_load_b32 v3, v19
	s_wait_dscnt 0x0
	v_mov_b32_dpp v5, v3 row_shr:1 row_mask:0xf bank_mask:0xf
	v_and_b32_e32 v4, 7, v62
	s_delay_alu instid0(VALU_DEP_1) | instskip(NEXT) | instid1(VALU_DEP_3)
	v_cmp_ne_u32_e32 vcc_lo, 0, v4
	v_cndmask_b32_e32 v5, 0, v5, vcc_lo
	v_cmp_lt_u32_e32 vcc_lo, 1, v4
	s_delay_alu instid0(VALU_DEP_2) | instskip(NEXT) | instid1(VALU_DEP_1)
	v_add_nc_u32_e32 v3, v5, v3
	v_mov_b32_dpp v5, v3 row_shr:2 row_mask:0xf bank_mask:0xf
	s_delay_alu instid0(VALU_DEP_1) | instskip(SKIP_1) | instid1(VALU_DEP_2)
	v_cndmask_b32_e32 v5, 0, v5, vcc_lo
	v_cmp_lt_u32_e32 vcc_lo, 3, v4
	v_add_nc_u32_e32 v3, v3, v5
	s_delay_alu instid0(VALU_DEP_1) | instskip(NEXT) | instid1(VALU_DEP_1)
	v_mov_b32_dpp v5, v3 row_shr:4 row_mask:0xf bank_mask:0xf
	v_cndmask_b32_e32 v4, 0, v5, vcc_lo
	s_delay_alu instid0(VALU_DEP_1)
	v_add_nc_u32_e32 v3, v3, v4
	ds_store_b32 v19, v3
.LBB771_39:
	s_or_b32 exec_lo, exec_lo, s6
	s_delay_alu instid0(SALU_CYCLE_1)
	s_mov_b32 s7, exec_lo
	v_cmp_gt_u32_e32 vcc_lo, 32, v0
	s_wait_dscnt 0x0
	s_barrier_signal -1
	s_barrier_wait -1
                                        ; implicit-def: $vgpr10
	v_cmpx_lt_u32_e32 31, v0
	s_cbranch_execz .LBB771_41
; %bb.40:
	v_lshl_add_u32 v3, v63, 2, -4
	ds_load_b32 v10, v3
	s_wait_dscnt 0x0
	v_add_nc_u32_e32 v2, v10, v2
.LBB771_41:
	s_or_b32 exec_lo, exec_lo, s7
	v_sub_co_u32 v3, s6, v62, 1
	s_delay_alu instid0(VALU_DEP_1) | instskip(NEXT) | instid1(VALU_DEP_1)
	v_cmp_gt_i32_e64 s7, 0, v3
	v_cndmask_b32_e64 v3, v3, v62, s7
	s_delay_alu instid0(VALU_DEP_1)
	v_lshlrev_b32_e32 v3, 2, v3
	ds_bpermute_b32 v11, v3, v2
	s_and_saveexec_b32 s7, vcc_lo
	s_cbranch_execz .LBB771_61
; %bb.42:
	v_mov_b32_e32 v9, 0
	ds_load_b32 v2, v9 offset:28
	s_and_saveexec_b32 s11, s6
	s_cbranch_execz .LBB771_44
; %bb.43:
	s_add_co_i32 s25, s24, 32
	s_delay_alu instid0(SALU_CYCLE_1)
	v_dual_mov_b32 v3, 1 :: v_dual_mov_b32 v4, s25
	s_wait_dscnt 0x0
	s_wait_kmcnt 0x0
	global_store_b64 v4, v[2:3], s[20:21] scale_offset scope:SCOPE_DEV
.LBB771_44:
	s_wait_xcnt 0x0
	s_or_b32 exec_lo, exec_lo, s11
	v_xad_u32 v4, v62, -1, s24
	s_mov_b32 s25, 0
	s_mov_b32 s11, exec_lo
	s_delay_alu instid0(VALU_DEP_1)
	v_add_nc_u32_e32 v8, 32, v4
	s_wait_kmcnt 0x0
	global_load_b64 v[6:7], v8, s[20:21] scale_offset scope:SCOPE_DEV
	s_wait_loadcnt 0x0
	v_and_b32_e32 v3, 0xff, v7
	s_wait_xcnt 0x0
	s_delay_alu instid0(VALU_DEP_1)
	v_cmpx_eq_u16_e32 0, v3
	s_cbranch_execz .LBB771_48
; %bb.45:
	v_lshl_add_u64 v[8:9], v[8:9], 3, s[20:21]
.LBB771_46:                             ; =>This Inner Loop Header: Depth=1
	global_load_b64 v[6:7], v[8:9], off scope:SCOPE_DEV
	s_wait_loadcnt 0x0
	v_and_b32_e32 v3, 0xff, v7
	s_delay_alu instid0(VALU_DEP_1)
	v_cmp_ne_u16_e32 vcc_lo, 0, v3
	s_or_b32 s25, vcc_lo, s25
	s_wait_xcnt 0x0
	s_and_not1_b32 exec_lo, exec_lo, s25
	s_cbranch_execnz .LBB771_46
; %bb.47:
	s_or_b32 exec_lo, exec_lo, s25
.LBB771_48:
	s_delay_alu instid0(SALU_CYCLE_1)
	s_or_b32 exec_lo, exec_lo, s11
	v_cmp_ne_u32_e32 vcc_lo, 31, v62
	v_lshlrev_b32_e64 v13, v62, -1
	v_dual_add_nc_u32 v15, 2, v62 :: v_dual_add_nc_u32 v17, 4, v62
	v_dual_add_nc_u32 v65, 8, v62 :: v_dual_add_nc_u32 v67, 16, v62
	v_add_co_ci_u32_e64 v3, null, 0, v62, vcc_lo
	v_lshl_or_b32 v66, v62, 2, 64
	s_delay_alu instid0(VALU_DEP_2)
	v_lshlrev_b32_e32 v12, 2, v3
	v_and_b32_e32 v3, 0xff, v7
	ds_bpermute_b32 v5, v12, v6
	v_cmp_eq_u16_e32 vcc_lo, 2, v3
	v_and_or_b32 v3, vcc_lo, v13, 0x80000000
	v_cmp_gt_u32_e32 vcc_lo, 30, v62
	s_delay_alu instid0(VALU_DEP_2) | instskip(SKIP_1) | instid1(VALU_DEP_2)
	v_ctz_i32_b32_e32 v3, v3
	v_cndmask_b32_e64 v8, 0, 2, vcc_lo
	v_cmp_lt_u32_e32 vcc_lo, v62, v3
	s_delay_alu instid0(VALU_DEP_2)
	v_add_lshl_u32 v14, v8, v62, 2
	s_wait_dscnt 0x0
	v_cndmask_b32_e32 v5, 0, v5, vcc_lo
	v_cmp_gt_u32_e32 vcc_lo, 28, v62
	v_cndmask_b32_e64 v8, 0, 4, vcc_lo
	v_cmp_le_u32_e32 vcc_lo, v15, v3
	s_delay_alu instid0(VALU_DEP_4) | instskip(NEXT) | instid1(VALU_DEP_3)
	v_add_nc_u32_e32 v5, v5, v6
	v_add_lshl_u32 v16, v8, v62, 2
	ds_bpermute_b32 v6, v14, v5
	s_wait_dscnt 0x0
	v_cndmask_b32_e32 v6, 0, v6, vcc_lo
	v_cmp_gt_u32_e32 vcc_lo, 24, v62
	v_cndmask_b32_e64 v8, 0, 8, vcc_lo
	v_cmp_le_u32_e32 vcc_lo, v17, v3
	s_delay_alu instid0(VALU_DEP_4) | instskip(NEXT) | instid1(VALU_DEP_3)
	v_add_nc_u32_e32 v5, v5, v6
	v_add_lshl_u32 v54, v8, v62, 2
	ds_bpermute_b32 v6, v16, v5
	s_wait_dscnt 0x0
	v_cndmask_b32_e32 v6, 0, v6, vcc_lo
	v_cmp_le_u32_e32 vcc_lo, v65, v3
	s_delay_alu instid0(VALU_DEP_2) | instskip(SKIP_4) | instid1(VALU_DEP_2)
	v_add_nc_u32_e32 v5, v5, v6
	ds_bpermute_b32 v6, v54, v5
	s_wait_dscnt 0x0
	v_cndmask_b32_e32 v6, 0, v6, vcc_lo
	v_cmp_le_u32_e32 vcc_lo, v67, v3
	v_add_nc_u32_e32 v5, v5, v6
	ds_bpermute_b32 v6, v66, v5
	s_wait_dscnt 0x0
	v_cndmask_b32_e32 v3, 0, v6, vcc_lo
	s_delay_alu instid0(VALU_DEP_1)
	v_dual_mov_b32 v5, 0 :: v_dual_add_nc_u32 v6, v5, v3
	s_branch .LBB771_52
.LBB771_49:                             ;   in Loop: Header=BB771_52 Depth=1
	s_or_b32 exec_lo, exec_lo, s25
.LBB771_50:                             ;   in Loop: Header=BB771_52 Depth=1
	s_delay_alu instid0(SALU_CYCLE_1)
	s_or_b32 exec_lo, exec_lo, s11
	v_and_b32_e32 v8, 0xff, v7
	ds_bpermute_b32 v9, v12, v6
	v_subrev_nc_u32_e32 v4, 32, v4
	s_mov_b32 s11, 0
	v_cmp_eq_u16_e32 vcc_lo, 2, v8
	v_and_or_b32 v8, vcc_lo, v13, 0x80000000
	s_delay_alu instid0(VALU_DEP_1) | instskip(NEXT) | instid1(VALU_DEP_1)
	v_ctz_i32_b32_e32 v8, v8
	v_cmp_lt_u32_e32 vcc_lo, v62, v8
	s_wait_dscnt 0x0
	v_cndmask_b32_e32 v9, 0, v9, vcc_lo
	v_cmp_le_u32_e32 vcc_lo, v15, v8
	s_delay_alu instid0(VALU_DEP_2) | instskip(SKIP_4) | instid1(VALU_DEP_2)
	v_add_nc_u32_e32 v6, v9, v6
	ds_bpermute_b32 v9, v14, v6
	s_wait_dscnt 0x0
	v_cndmask_b32_e32 v9, 0, v9, vcc_lo
	v_cmp_le_u32_e32 vcc_lo, v17, v8
	v_add_nc_u32_e32 v6, v6, v9
	ds_bpermute_b32 v9, v16, v6
	s_wait_dscnt 0x0
	v_cndmask_b32_e32 v9, 0, v9, vcc_lo
	v_cmp_le_u32_e32 vcc_lo, v65, v8
	s_delay_alu instid0(VALU_DEP_2) | instskip(SKIP_4) | instid1(VALU_DEP_2)
	v_add_nc_u32_e32 v6, v6, v9
	ds_bpermute_b32 v9, v54, v6
	s_wait_dscnt 0x0
	v_cndmask_b32_e32 v9, 0, v9, vcc_lo
	v_cmp_le_u32_e32 vcc_lo, v67, v8
	v_add_nc_u32_e32 v6, v6, v9
	ds_bpermute_b32 v9, v66, v6
	s_wait_dscnt 0x0
	v_cndmask_b32_e32 v8, 0, v9, vcc_lo
	s_delay_alu instid0(VALU_DEP_1)
	v_add3_u32 v6, v8, v3, v6
.LBB771_51:                             ;   in Loop: Header=BB771_52 Depth=1
	s_and_b32 vcc_lo, exec_lo, s11
	s_cbranch_vccnz .LBB771_57
.LBB771_52:                             ; =>This Loop Header: Depth=1
                                        ;     Child Loop BB771_55 Depth 2
	v_and_b32_e32 v3, 0xff, v7
	s_mov_b32 s11, -1
                                        ; implicit-def: $vgpr7
	s_delay_alu instid0(VALU_DEP_1)
	v_cmp_ne_u16_e32 vcc_lo, 2, v3
	v_mov_b32_e32 v3, v6
                                        ; implicit-def: $vgpr6
	s_cmp_lg_u32 vcc_lo, exec_lo
	s_cbranch_scc1 .LBB771_51
; %bb.53:                               ;   in Loop: Header=BB771_52 Depth=1
	global_load_b64 v[6:7], v4, s[20:21] scale_offset scope:SCOPE_DEV
	s_mov_b32 s11, exec_lo
	s_wait_loadcnt 0x0
	v_and_b32_e32 v8, 0xff, v7
	s_wait_xcnt 0x0
	s_delay_alu instid0(VALU_DEP_1)
	v_cmpx_eq_u16_e32 0, v8
	s_cbranch_execz .LBB771_50
; %bb.54:                               ;   in Loop: Header=BB771_52 Depth=1
	v_lshl_add_u64 v[8:9], v[4:5], 3, s[20:21]
	s_mov_b32 s25, 0
.LBB771_55:                             ;   Parent Loop BB771_52 Depth=1
                                        ; =>  This Inner Loop Header: Depth=2
	global_load_b64 v[6:7], v[8:9], off scope:SCOPE_DEV
	s_wait_loadcnt 0x0
	v_and_b32_e32 v68, 0xff, v7
	s_delay_alu instid0(VALU_DEP_1)
	v_cmp_ne_u16_e32 vcc_lo, 0, v68
	s_or_b32 s25, vcc_lo, s25
	s_wait_xcnt 0x0
	s_and_not1_b32 exec_lo, exec_lo, s25
	s_cbranch_execnz .LBB771_55
	s_branch .LBB771_49
.LBB771_56:
                                        ; implicit-def: $vgpr2_vgpr3_vgpr4_vgpr5_vgpr6_vgpr7_vgpr8_vgpr9_vgpr10_vgpr11_vgpr12_vgpr13_vgpr14_vgpr15_vgpr16_vgpr17
                                        ; implicit-def: $vgpr54
                                        ; implicit-def: $vgpr16
	s_and_b32 vcc_lo, exec_lo, s6
	s_cbranch_vccnz .LBB771_62
	s_branch .LBB771_71
.LBB771_57:
	s_and_saveexec_b32 s11, s6
	s_cbranch_execz .LBB771_59
; %bb.58:
	s_add_co_i32 s24, s24, 32
	v_dual_mov_b32 v5, 2 :: v_dual_add_nc_u32 v4, v3, v2
	v_dual_mov_b32 v6, s24 :: v_dual_mov_b32 v7, 0
	global_store_b64 v6, v[4:5], s[20:21] scale_offset scope:SCOPE_DEV
	ds_store_b64 v7, v[2:3] offset:13312
.LBB771_59:
	s_wait_xcnt 0x0
	s_or_b32 exec_lo, exec_lo, s11
	v_cmp_eq_u32_e32 vcc_lo, 0, v0
	s_and_b32 exec_lo, exec_lo, vcc_lo
; %bb.60:
	v_mov_b32_e32 v2, 0
	ds_store_b32 v2, v3 offset:28
.LBB771_61:
	s_or_b32 exec_lo, exec_lo, s7
	s_wait_dscnt 0x0
	v_dual_mov_b32 v12, 0 :: v_dual_cndmask_b32 v3, v11, v10, s6
	s_wait_storecnt 0x0
	s_barrier_signal -1
	s_barrier_wait -1
	ds_load_b32 v2, v12 offset:28
	v_cmp_ne_u32_e32 vcc_lo, 0, v0
	s_wait_dscnt 0x0
	s_barrier_signal -1
	s_barrier_wait -1
	v_cndmask_b32_e32 v3, 0, v3, vcc_lo
	ds_load_b64 v[16:17], v12 offset:13312
	v_add_nc_u32_e32 v2, v2, v3
	s_wait_dscnt 0x0
	s_delay_alu instid0(VALU_DEP_1) | instskip(NEXT) | instid1(VALU_DEP_1)
	v_dual_mov_b32 v54, v17 :: v_dual_add_nc_u32 v3, v2, v55
	v_add_nc_u32_e32 v4, v3, v41
	s_delay_alu instid0(VALU_DEP_1) | instskip(NEXT) | instid1(VALU_DEP_1)
	v_add_nc_u32_e32 v5, v4, v39
	v_add_nc_u32_e32 v6, v5, v37
	s_delay_alu instid0(VALU_DEP_1) | instskip(NEXT) | instid1(VALU_DEP_1)
	v_add_nc_u32_e32 v7, v6, v56
	;; [unrolled: 3-line block ×5, first 2 shown]
	v_add_nc_u32_e32 v14, v13, v29
	s_branch .LBB771_71
.LBB771_62:
	v_mov_b32_dpp v2, v64 row_shr:1 row_mask:0xf bank_mask:0xf
	s_delay_alu instid0(VALU_DEP_1) | instskip(NEXT) | instid1(VALU_DEP_1)
	v_cndmask_b32_e64 v2, v2, 0, s5
	v_add_nc_u32_e32 v2, v2, v64
	s_delay_alu instid0(VALU_DEP_1) | instskip(NEXT) | instid1(VALU_DEP_1)
	v_mov_b32_dpp v3, v2 row_shr:2 row_mask:0xf bank_mask:0xf
	v_cndmask_b32_e64 v3, 0, v3, s4
	s_delay_alu instid0(VALU_DEP_1) | instskip(NEXT) | instid1(VALU_DEP_1)
	v_add_nc_u32_e32 v2, v2, v3
	v_mov_b32_dpp v3, v2 row_shr:4 row_mask:0xf bank_mask:0xf
	s_delay_alu instid0(VALU_DEP_1) | instskip(NEXT) | instid1(VALU_DEP_1)
	v_cndmask_b32_e64 v3, 0, v3, s3
	v_add_nc_u32_e32 v2, v2, v3
	s_delay_alu instid0(VALU_DEP_1) | instskip(NEXT) | instid1(VALU_DEP_1)
	v_mov_b32_dpp v3, v2 row_shr:8 row_mask:0xf bank_mask:0xf
	v_cndmask_b32_e64 v3, 0, v3, s2
	s_delay_alu instid0(VALU_DEP_1) | instskip(SKIP_3) | instid1(VALU_DEP_1)
	v_add_nc_u32_e32 v2, v2, v3
	ds_swizzle_b32 v3, v2 offset:swizzle(BROADCAST,32,15)
	s_wait_dscnt 0x0
	v_cndmask_b32_e64 v3, v3, 0, s1
	v_add_nc_u32_e32 v2, v2, v3
	s_and_saveexec_b32 s1, s0
; %bb.63:
	v_lshlrev_b32_e32 v3, 2, v63
	ds_store_b32 v3, v2
; %bb.64:
	s_or_b32 exec_lo, exec_lo, s1
	s_delay_alu instid0(SALU_CYCLE_1)
	s_mov_b32 s0, exec_lo
	s_wait_dscnt 0x0
	s_barrier_signal -1
	s_barrier_wait -1
	v_cmpx_gt_u32_e32 8, v0
	s_cbranch_execz .LBB771_66
; %bb.65:
	ds_load_b32 v3, v19
	s_wait_dscnt 0x0
	v_mov_b32_dpp v5, v3 row_shr:1 row_mask:0xf bank_mask:0xf
	v_and_b32_e32 v4, 7, v62
	s_delay_alu instid0(VALU_DEP_1) | instskip(NEXT) | instid1(VALU_DEP_3)
	v_cmp_ne_u32_e32 vcc_lo, 0, v4
	v_cndmask_b32_e32 v5, 0, v5, vcc_lo
	v_cmp_lt_u32_e32 vcc_lo, 1, v4
	s_delay_alu instid0(VALU_DEP_2) | instskip(NEXT) | instid1(VALU_DEP_1)
	v_add_nc_u32_e32 v3, v5, v3
	v_mov_b32_dpp v5, v3 row_shr:2 row_mask:0xf bank_mask:0xf
	s_delay_alu instid0(VALU_DEP_1) | instskip(SKIP_1) | instid1(VALU_DEP_2)
	v_cndmask_b32_e32 v5, 0, v5, vcc_lo
	v_cmp_lt_u32_e32 vcc_lo, 3, v4
	v_add_nc_u32_e32 v3, v3, v5
	s_delay_alu instid0(VALU_DEP_1) | instskip(NEXT) | instid1(VALU_DEP_1)
	v_mov_b32_dpp v5, v3 row_shr:4 row_mask:0xf bank_mask:0xf
	v_cndmask_b32_e32 v4, 0, v5, vcc_lo
	s_delay_alu instid0(VALU_DEP_1)
	v_add_nc_u32_e32 v3, v3, v4
	ds_store_b32 v19, v3
.LBB771_66:
	s_or_b32 exec_lo, exec_lo, s0
	v_dual_mov_b32 v4, 0 :: v_dual_mov_b32 v3, 0
	s_mov_b32 s0, exec_lo
	s_wait_dscnt 0x0
	s_barrier_signal -1
	s_barrier_wait -1
	v_cmpx_lt_u32_e32 31, v0
; %bb.67:
	v_lshl_add_u32 v3, v63, 2, -4
	ds_load_b32 v3, v3
; %bb.68:
	s_or_b32 exec_lo, exec_lo, s0
	v_sub_co_u32 v5, vcc_lo, v62, 1
	ds_load_b32 v16, v4 offset:28
	v_cmp_gt_i32_e64 s0, 0, v5
	s_delay_alu instid0(VALU_DEP_1) | instskip(SKIP_3) | instid1(VALU_DEP_3)
	v_cndmask_b32_e64 v5, v5, v62, s0
	s_wait_dscnt 0x1
	v_add_nc_u32_e32 v2, v3, v2
	v_cmp_eq_u32_e64 s0, 0, v0
	v_lshlrev_b32_e32 v5, 2, v5
	ds_bpermute_b32 v2, v5, v2
	s_and_saveexec_b32 s1, s0
	s_cbranch_execz .LBB771_70
; %bb.69:
	v_dual_mov_b32 v4, 0 :: v_dual_mov_b32 v17, 2
	s_wait_dscnt 0x1
	s_wait_kmcnt 0x0
	global_store_b64 v4, v[16:17], s[20:21] offset:256 scope:SCOPE_DEV
.LBB771_70:
	s_wait_xcnt 0x0
	s_or_b32 exec_lo, exec_lo, s1
	s_wait_dscnt 0x0
	v_cndmask_b32_e32 v2, v2, v3, vcc_lo
	s_wait_storecnt 0x0
	s_barrier_signal -1
	s_barrier_wait -1
	s_delay_alu instid0(VALU_DEP_1) | instskip(NEXT) | instid1(VALU_DEP_1)
	v_cndmask_b32_e64 v2, v2, 0, s0
	v_dual_mov_b32 v54, 0 :: v_dual_add_nc_u32 v3, v2, v55
	s_delay_alu instid0(VALU_DEP_1) | instskip(NEXT) | instid1(VALU_DEP_1)
	v_add_nc_u32_e32 v4, v3, v41
	v_add_nc_u32_e32 v5, v4, v39
	s_delay_alu instid0(VALU_DEP_1) | instskip(NEXT) | instid1(VALU_DEP_1)
	v_add_nc_u32_e32 v6, v5, v37
	v_add_nc_u32_e32 v7, v6, v56
	;; [unrolled: 3-line block ×5, first 2 shown]
	s_delay_alu instid0(VALU_DEP_1)
	v_add_nc_u32_e32 v14, v13, v29
.LBB771_71:
	v_dual_lshrrev_b32 v55, 16, v35 :: v_dual_lshrrev_b32 v56, 8, v35
	v_dual_add_nc_u32 v23, v16, v23 :: v_dual_sub_nc_u32 v3, v3, v54
	v_dual_sub_nc_u32 v2, v2, v54 :: v_dual_bitop2_b32 v35, 1, v35 bitop3:0x40
	s_delay_alu instid0(VALU_DEP_3) | instskip(NEXT) | instid1(VALU_DEP_4)
	v_dual_sub_nc_u32 v4, v4, v54 :: v_dual_bitop2_b32 v56, 1, v56 bitop3:0x40
	v_and_b32_e32 v55, 1, v55
	s_delay_alu instid0(VALU_DEP_3) | instskip(NEXT) | instid1(VALU_DEP_4)
	v_dual_sub_nc_u32 v57, v23, v3 :: v_dual_sub_nc_u32 v58, v23, v2
	v_cmp_eq_u32_e32 vcc_lo, 1, v35
	s_delay_alu instid0(VALU_DEP_4) | instskip(NEXT) | instid1(VALU_DEP_3)
	v_dual_sub_nc_u32 v5, v5, v54 :: v_dual_sub_nc_u32 v59, v23, v4
	v_dual_add_nc_u32 v57, 1, v57 :: v_dual_sub_nc_u32 v6, v6, v54
	s_delay_alu instid0(VALU_DEP_4) | instskip(SKIP_1) | instid1(VALU_DEP_4)
	v_cndmask_b32_e32 v2, v58, v2, vcc_lo
	v_cmp_eq_u32_e32 vcc_lo, 1, v56
	v_dual_sub_nc_u32 v35, v23, v5 :: v_dual_add_nc_u32 v56, 2, v59
	v_dual_lshrrev_b32 v41, 8, v31 :: v_dual_lshrrev_b32 v39, 16, v31
	v_dual_cndmask_b32 v3, v57, v3, vcc_lo :: v_dual_bitop2_b32 v37, 1, v37 bitop3:0x40
	v_lshlrev_b32_e32 v2, 2, v2
	v_cmp_eq_u32_e32 vcc_lo, 1, v55
	v_add_nc_u32_e32 v35, 3, v35
	s_delay_alu instid0(VALU_DEP_4)
	v_lshlrev_b32_e32 v3, 2, v3
	v_dual_lshrrev_b32 v15, 16, v27 :: v_dual_lshrrev_b32 v17, 8, v27
	v_cndmask_b32_e32 v4, v56, v4, vcc_lo
	v_cmp_eq_u32_e32 vcc_lo, 1, v37
	ds_store_b32 v2, v52
	ds_store_b32 v3, v53
	v_dual_lshlrev_b32 v3, 2, v4 :: v_dual_cndmask_b32 v5, v35, v5, vcc_lo
	s_delay_alu instid0(VALU_DEP_1) | instskip(SKIP_1) | instid1(VALU_DEP_2)
	v_dual_sub_nc_u32 v2, v23, v6 :: v_dual_lshlrev_b32 v4, 2, v5
	v_dual_sub_nc_u32 v5, v7, v54 :: v_dual_bitop2_b32 v7, 1, v31 bitop3:0x40
	v_add_nc_u32_e32 v2, 4, v2
	ds_store_b32 v3, v50
	ds_store_b32 v4, v51
	v_sub_nc_u32_e32 v3, v23, v5
	v_cmp_eq_u32_e32 vcc_lo, 1, v7
	s_delay_alu instid0(VALU_DEP_2) | instskip(SKIP_1) | instid1(VALU_DEP_2)
	v_dual_sub_nc_u32 v4, v8, v54 :: v_dual_add_nc_u32 v3, 5, v3
	v_dual_cndmask_b32 v2, v2, v6, vcc_lo :: v_dual_bitop2_b32 v6, 1, v41 bitop3:0x40
	v_dual_sub_nc_u32 v7, v9, v54 :: v_dual_sub_nc_u32 v8, v23, v4
	s_delay_alu instid0(VALU_DEP_2) | instskip(NEXT) | instid1(VALU_DEP_2)
	v_cmp_eq_u32_e32 vcc_lo, 1, v6
	v_dual_lshlrev_b32 v2, 2, v2 :: v_dual_add_nc_u32 v8, 6, v8
	v_cndmask_b32_e32 v3, v3, v5, vcc_lo
	s_delay_alu instid0(VALU_DEP_4)
	v_sub_nc_u32_e32 v5, v23, v7
	v_and_b32_e32 v6, 1, v39
	ds_store_b32 v2, v48
	v_dual_lshlrev_b32 v3, 2, v3 :: v_dual_add_nc_u32 v5, 7, v5
	v_cmp_eq_u32_e32 vcc_lo, 1, v6
	v_dual_sub_nc_u32 v6, v11, v54 :: v_dual_bitop2_b32 v2, 1, v33 bitop3:0x40
	ds_store_b32 v3, v49
	v_cndmask_b32_e32 v4, v8, v4, vcc_lo
	v_cmp_eq_u32_e32 vcc_lo, 1, v2
	s_delay_alu instid0(VALU_DEP_2)
	v_dual_lshlrev_b32 v4, 2, v4 :: v_dual_cndmask_b32 v2, v5, v7, vcc_lo
	v_dual_sub_nc_u32 v5, v10, v54 :: v_dual_bitop2_b32 v7, 1, v17 bitop3:0x40
	v_sub_nc_u32_e32 v3, v23, v6
	ds_store_b32 v4, v46
	v_dual_sub_nc_u32 v4, v23, v5 :: v_dual_lshlrev_b32 v2, 2, v2
	v_add_nc_u32_e32 v3, 9, v3
	v_cmp_eq_u32_e32 vcc_lo, 1, v7
	s_delay_alu instid0(VALU_DEP_3) | instskip(SKIP_3) | instid1(VALU_DEP_2)
	v_dual_sub_nc_u32 v7, v12, v54 :: v_dual_add_nc_u32 v4, 8, v4
	ds_store_b32 v2, v47
	v_dual_cndmask_b32 v3, v3, v6, vcc_lo :: v_dual_bitop2_b32 v2, 1, v27 bitop3:0x40
	v_dual_sub_nc_u32 v6, v13, v54 :: v_dual_sub_nc_u32 v8, v14, v54
	v_cmp_eq_u32_e32 vcc_lo, 1, v2
	v_dual_cndmask_b32 v2, v4, v5 :: v_dual_sub_nc_u32 v5, v23, v7
	s_delay_alu instid0(VALU_DEP_3) | instskip(SKIP_1) | instid1(VALU_DEP_3)
	v_dual_sub_nc_u32 v4, v23, v6 :: v_dual_sub_nc_u32 v9, v23, v8
	v_and_b32_e32 v10, 1, v15
	v_dual_lshlrev_b32 v2, 2, v2 :: v_dual_bitop2_b32 v12, 1, v25 bitop3:0x40
	s_delay_alu instid0(VALU_DEP_3) | instskip(NEXT) | instid1(VALU_DEP_1)
	v_dual_add_nc_u32 v4, 11, v4 :: v_dual_bitop2_b32 v11, 1, v29 bitop3:0x40
	v_cmp_eq_u32_e32 vcc_lo, 1, v11
	s_delay_alu instid0(VALU_DEP_2) | instskip(SKIP_3) | instid1(VALU_DEP_1)
	v_cndmask_b32_e32 v4, v4, v6, vcc_lo
	v_cmp_eq_u32_e32 vcc_lo, 1, v10
	v_add_nc_u32_e32 v9, 12, v9
	v_add_nc_u32_e32 v5, 10, v5
	v_cndmask_b32_e32 v5, v5, v7, vcc_lo
	v_cmp_eq_u32_e32 vcc_lo, 1, v12
	s_delay_alu instid0(VALU_DEP_2) | instskip(SKIP_3) | instid1(VALU_DEP_3)
	v_dual_lshlrev_b32 v3, 2, v3 :: v_dual_lshlrev_b32 v5, 2, v5
	v_cndmask_b32_e32 v6, v9, v8, vcc_lo
	v_lshlrev_b32_e32 v4, 2, v4
	v_cmp_ne_u32_e32 vcc_lo, 1, v21
	v_lshlrev_b32_e32 v6, 2, v6
	ds_store_b32 v2, v44
	ds_store_b32 v3, v45
	;; [unrolled: 1-line block ×5, first 2 shown]
	s_wait_dscnt 0x0
	s_barrier_signal -1
	s_barrier_wait -1
	ds_load_2addr_stride64_b32 v[14:15], v19 offset1:4
	ds_load_2addr_stride64_b32 v[12:13], v19 offset0:8 offset1:12
	ds_load_2addr_stride64_b32 v[10:11], v19 offset0:16 offset1:20
	;; [unrolled: 1-line block ×5, first 2 shown]
	ds_load_b32 v46, v19 offset:12288
	v_mov_b32_e32 v1, 0
	s_and_b32 vcc_lo, exec_lo, vcc_lo
	s_delay_alu instid0(VALU_DEP_1) | instskip(SKIP_3) | instid1(VALU_DEP_3)
	v_dual_mov_b32 v29, v1 :: v_dual_mov_b32 v55, v1
	v_dual_mov_b32 v41, v1 :: v_dual_mov_b32 v39, v1
	;; [unrolled: 1-line block ×3, first 2 shown]
	s_wait_kmcnt 0x0
	v_add_nc_u64_e32 v[2:3], s[18:19], v[54:55]
	v_dual_mov_b32 v33, v1 :: v_dual_mov_b32 v31, v1
	v_dual_mov_b32 v27, v1 :: v_dual_mov_b32 v25, v1
	;; [unrolled: 1-line block ×3, first 2 shown]
	v_mov_b32_e32 v19, v1
	s_cbranch_vccnz .LBB771_125
; %bb.72:
	v_mov_b32_e32 v17, v1
	s_mov_b32 s11, 0
	v_sub_nc_u64_e64 v[42:43], v[2:3], s[12:13]
	s_sub_nc_u64 s[0:1], s[14:15], s[10:11]
	s_delay_alu instid0(VALU_DEP_2) | instid1(SALU_CYCLE_1)
	v_add_nc_u64_e32 v[44:45], s[0:1], v[16:17]
	s_mov_b32 s0, exec_lo
	s_delay_alu instid0(VALU_DEP_1)
	v_add_nc_u64_e32 v[42:43], v[44:45], v[42:43]
                                        ; implicit-def: $vgpr44_vgpr45
	v_cmpx_ge_u32_e64 v0, v16
	s_xor_b32 s0, exec_lo, s0
; %bb.73:
	v_not_b32_e32 v44, v0
	s_delay_alu instid0(VALU_DEP_1) | instskip(NEXT) | instid1(VALU_DEP_1)
	v_ashrrev_i32_e32 v45, 31, v44
	v_add_nc_u64_e32 v[44:45], v[42:43], v[44:45]
; %bb.74:
	s_and_not1_saveexec_b32 s0, s0
; %bb.75:
	v_add_nc_u64_e32 v[44:45], v[2:3], v[0:1]
; %bb.76:
	s_or_b32 exec_lo, exec_lo, s0
	s_delay_alu instid0(VALU_DEP_1)
	v_lshl_add_u64 v[44:45], v[44:45], 2, s[16:17]
	s_mov_b32 s0, exec_lo
	s_wait_dscnt 0x6
	global_store_b32 v[44:45], v14, off
                                        ; implicit-def: $vgpr44_vgpr45
	s_wait_xcnt 0x0
	v_cmpx_ge_u32_e64 v40, v16
	s_xor_b32 s0, exec_lo, s0
; %bb.77:
	v_xor_b32_e32 v44, 0xfffffeff, v0
	s_delay_alu instid0(VALU_DEP_1) | instskip(NEXT) | instid1(VALU_DEP_1)
	v_ashrrev_i32_e32 v45, 31, v44
	v_add_nc_u64_e32 v[44:45], v[42:43], v[44:45]
; %bb.78:
	s_and_not1_saveexec_b32 s0, s0
; %bb.79:
	v_add_nc_u64_e32 v[44:45], v[2:3], v[40:41]
; %bb.80:
	s_or_b32 exec_lo, exec_lo, s0
	s_delay_alu instid0(VALU_DEP_1)
	v_lshl_add_u64 v[44:45], v[44:45], 2, s[16:17]
	s_mov_b32 s0, exec_lo
	global_store_b32 v[44:45], v15, off
                                        ; implicit-def: $vgpr44_vgpr45
	s_wait_xcnt 0x0
	v_cmpx_ge_u32_e64 v38, v16
	s_xor_b32 s0, exec_lo, s0
; %bb.81:
	v_xor_b32_e32 v44, 0xfffffdff, v0
	s_delay_alu instid0(VALU_DEP_1) | instskip(NEXT) | instid1(VALU_DEP_1)
	v_ashrrev_i32_e32 v45, 31, v44
	v_add_nc_u64_e32 v[44:45], v[42:43], v[44:45]
; %bb.82:
	s_and_not1_saveexec_b32 s0, s0
; %bb.83:
	v_add_nc_u64_e32 v[44:45], v[2:3], v[38:39]
; %bb.84:
	s_or_b32 exec_lo, exec_lo, s0
	s_delay_alu instid0(VALU_DEP_1)
	v_lshl_add_u64 v[44:45], v[44:45], 2, s[16:17]
	s_mov_b32 s0, exec_lo
	s_wait_dscnt 0x5
	global_store_b32 v[44:45], v12, off
                                        ; implicit-def: $vgpr44_vgpr45
	s_wait_xcnt 0x0
	v_cmpx_ge_u32_e64 v36, v16
	s_xor_b32 s0, exec_lo, s0
; %bb.85:
	v_xor_b32_e32 v44, 0xfffffcff, v0
	s_delay_alu instid0(VALU_DEP_1) | instskip(NEXT) | instid1(VALU_DEP_1)
	v_ashrrev_i32_e32 v45, 31, v44
	v_add_nc_u64_e32 v[44:45], v[42:43], v[44:45]
; %bb.86:
	s_and_not1_saveexec_b32 s0, s0
; %bb.87:
	v_add_nc_u64_e32 v[44:45], v[2:3], v[36:37]
; %bb.88:
	s_or_b32 exec_lo, exec_lo, s0
	s_delay_alu instid0(VALU_DEP_1)
	v_lshl_add_u64 v[44:45], v[44:45], 2, s[16:17]
	s_mov_b32 s0, exec_lo
	global_store_b32 v[44:45], v13, off
                                        ; implicit-def: $vgpr44_vgpr45
	s_wait_xcnt 0x0
	v_cmpx_ge_u32_e64 v34, v16
	s_xor_b32 s0, exec_lo, s0
; %bb.89:
	v_xor_b32_e32 v44, 0xfffffbff, v0
	;; [unrolled: 39-line block ×6, first 2 shown]
	s_delay_alu instid0(VALU_DEP_1) | instskip(NEXT) | instid1(VALU_DEP_1)
	v_ashrrev_i32_e32 v45, 31, v44
	v_add_nc_u64_e32 v[44:45], v[42:43], v[44:45]
; %bb.122:
	s_and_not1_saveexec_b32 s0, s0
; %bb.123:
	v_add_nc_u64_e32 v[44:45], v[2:3], v[18:19]
; %bb.124:
	s_or_b32 exec_lo, exec_lo, s0
	s_mov_b32 s0, -1
	s_branch .LBB771_205
.LBB771_125:
	s_mov_b32 s0, 0
                                        ; implicit-def: $vgpr44_vgpr45
	s_cbranch_execz .LBB771_205
; %bb.126:
	s_mov_b32 s11, 0
	v_mov_b32_e32 v17, 0
	s_add_nc_u64 s[2:3], s[12:13], s[10:11]
	s_mov_b32 s1, exec_lo
	s_sub_nc_u64 s[2:3], s[14:15], s[2:3]
	s_delay_alu instid0(VALU_DEP_1) | instid1(SALU_CYCLE_1)
	v_add_nc_u64_e32 v[42:43], s[2:3], v[16:17]
	s_delay_alu instid0(VALU_DEP_1)
	v_add_nc_u64_e32 v[42:43], v[42:43], v[2:3]
	v_cmpx_gt_u32_e64 s23, v0
	s_cbranch_execz .LBB771_162
; %bb.127:
	s_mov_b32 s2, exec_lo
                                        ; implicit-def: $vgpr44_vgpr45
	v_cmpx_ge_u32_e64 v0, v16
	s_xor_b32 s2, exec_lo, s2
; %bb.128:
	v_not_b32_e32 v44, v0
	s_delay_alu instid0(VALU_DEP_1) | instskip(NEXT) | instid1(VALU_DEP_1)
	v_ashrrev_i32_e32 v45, 31, v44
	v_add_nc_u64_e32 v[44:45], v[42:43], v[44:45]
; %bb.129:
	s_and_not1_saveexec_b32 s2, s2
; %bb.130:
	v_add_nc_u64_e32 v[44:45], v[2:3], v[0:1]
; %bb.131:
	s_or_b32 exec_lo, exec_lo, s2
	s_delay_alu instid0(VALU_DEP_1) | instskip(SKIP_4) | instid1(SALU_CYCLE_1)
	v_lshl_add_u64 v[44:45], v[44:45], 2, s[16:17]
	s_wait_dscnt 0x6
	global_store_b32 v[44:45], v14, off
	s_wait_xcnt 0x0
	s_or_b32 exec_lo, exec_lo, s1
	s_mov_b32 s1, exec_lo
	v_cmpx_gt_u32_e64 s23, v40
	s_cbranch_execnz .LBB771_163
.LBB771_132:
	s_or_b32 exec_lo, exec_lo, s1
	s_delay_alu instid0(SALU_CYCLE_1)
	s_mov_b32 s1, exec_lo
	v_cmpx_gt_u32_e64 s23, v38
	s_cbranch_execz .LBB771_168
.LBB771_133:
	s_mov_b32 s2, exec_lo
                                        ; implicit-def: $vgpr14_vgpr15
	v_cmpx_ge_u32_e64 v38, v16
	s_xor_b32 s2, exec_lo, s2
	s_cbranch_execz .LBB771_135
; %bb.134:
	s_wait_dscnt 0x6
	v_xor_b32_e32 v14, 0xfffffdff, v0
                                        ; implicit-def: $vgpr38_vgpr39
	s_delay_alu instid0(VALU_DEP_1) | instskip(NEXT) | instid1(VALU_DEP_1)
	v_ashrrev_i32_e32 v15, 31, v14
	v_add_nc_u64_e32 v[14:15], v[42:43], v[14:15]
.LBB771_135:
	s_and_not1_saveexec_b32 s2, s2
	s_cbranch_execz .LBB771_137
; %bb.136:
	s_wait_dscnt 0x6
	v_add_nc_u64_e32 v[14:15], v[2:3], v[38:39]
.LBB771_137:
	s_or_b32 exec_lo, exec_lo, s2
	s_wait_dscnt 0x6
	s_delay_alu instid0(VALU_DEP_1) | instskip(SKIP_4) | instid1(SALU_CYCLE_1)
	v_lshl_add_u64 v[14:15], v[14:15], 2, s[16:17]
	s_wait_dscnt 0x5
	global_store_b32 v[14:15], v12, off
	s_wait_xcnt 0x0
	s_or_b32 exec_lo, exec_lo, s1
	s_mov_b32 s1, exec_lo
	v_cmpx_gt_u32_e64 s23, v36
	s_cbranch_execnz .LBB771_169
.LBB771_138:
	s_or_b32 exec_lo, exec_lo, s1
	s_delay_alu instid0(SALU_CYCLE_1)
	s_mov_b32 s1, exec_lo
	v_cmpx_gt_u32_e64 s23, v34
	s_cbranch_execz .LBB771_174
.LBB771_139:
	s_mov_b32 s2, exec_lo
                                        ; implicit-def: $vgpr12_vgpr13
	v_cmpx_ge_u32_e64 v34, v16
	s_xor_b32 s2, exec_lo, s2
	s_cbranch_execz .LBB771_141
; %bb.140:
	s_wait_dscnt 0x5
	v_xor_b32_e32 v12, 0xfffffbff, v0
                                        ; implicit-def: $vgpr34_vgpr35
	s_delay_alu instid0(VALU_DEP_1) | instskip(NEXT) | instid1(VALU_DEP_1)
	v_ashrrev_i32_e32 v13, 31, v12
	v_add_nc_u64_e32 v[12:13], v[42:43], v[12:13]
.LBB771_141:
	s_and_not1_saveexec_b32 s2, s2
	s_cbranch_execz .LBB771_143
; %bb.142:
	s_wait_dscnt 0x5
	v_add_nc_u64_e32 v[12:13], v[2:3], v[34:35]
.LBB771_143:
	s_or_b32 exec_lo, exec_lo, s2
	s_wait_dscnt 0x5
	s_delay_alu instid0(VALU_DEP_1) | instskip(SKIP_4) | instid1(SALU_CYCLE_1)
	v_lshl_add_u64 v[12:13], v[12:13], 2, s[16:17]
	s_wait_dscnt 0x4
	global_store_b32 v[12:13], v10, off
	s_wait_xcnt 0x0
	s_or_b32 exec_lo, exec_lo, s1
	s_mov_b32 s1, exec_lo
	v_cmpx_gt_u32_e64 s23, v32
	s_cbranch_execnz .LBB771_175
.LBB771_144:
	s_or_b32 exec_lo, exec_lo, s1
	s_delay_alu instid0(SALU_CYCLE_1)
	s_mov_b32 s1, exec_lo
	v_cmpx_gt_u32_e64 s23, v30
	s_cbranch_execz .LBB771_180
.LBB771_145:
	s_mov_b32 s2, exec_lo
                                        ; implicit-def: $vgpr10_vgpr11
	v_cmpx_ge_u32_e64 v30, v16
	s_xor_b32 s2, exec_lo, s2
	s_cbranch_execz .LBB771_147
; %bb.146:
	s_wait_dscnt 0x4
	v_xor_b32_e32 v10, 0xfffff9ff, v0
                                        ; implicit-def: $vgpr30_vgpr31
	s_delay_alu instid0(VALU_DEP_1) | instskip(NEXT) | instid1(VALU_DEP_1)
	v_ashrrev_i32_e32 v11, 31, v10
	v_add_nc_u64_e32 v[10:11], v[42:43], v[10:11]
.LBB771_147:
	s_and_not1_saveexec_b32 s2, s2
	s_cbranch_execz .LBB771_149
; %bb.148:
	s_wait_dscnt 0x4
	v_add_nc_u64_e32 v[10:11], v[2:3], v[30:31]
.LBB771_149:
	s_or_b32 exec_lo, exec_lo, s2
	s_wait_dscnt 0x4
	s_delay_alu instid0(VALU_DEP_1) | instskip(SKIP_4) | instid1(SALU_CYCLE_1)
	v_lshl_add_u64 v[10:11], v[10:11], 2, s[16:17]
	s_wait_dscnt 0x3
	global_store_b32 v[10:11], v8, off
	s_wait_xcnt 0x0
	s_or_b32 exec_lo, exec_lo, s1
	s_mov_b32 s1, exec_lo
	v_cmpx_gt_u32_e64 s23, v28
	s_cbranch_execnz .LBB771_181
.LBB771_150:
	s_or_b32 exec_lo, exec_lo, s1
	s_delay_alu instid0(SALU_CYCLE_1)
	s_mov_b32 s1, exec_lo
	v_cmpx_gt_u32_e64 s23, v26
	s_cbranch_execz .LBB771_186
.LBB771_151:
	s_mov_b32 s2, exec_lo
                                        ; implicit-def: $vgpr8_vgpr9
	v_cmpx_ge_u32_e64 v26, v16
	s_xor_b32 s2, exec_lo, s2
	s_cbranch_execz .LBB771_153
; %bb.152:
	s_wait_dscnt 0x3
	v_xor_b32_e32 v8, 0xfffff7ff, v0
                                        ; implicit-def: $vgpr26_vgpr27
	s_delay_alu instid0(VALU_DEP_1) | instskip(NEXT) | instid1(VALU_DEP_1)
	v_ashrrev_i32_e32 v9, 31, v8
	v_add_nc_u64_e32 v[8:9], v[42:43], v[8:9]
.LBB771_153:
	s_and_not1_saveexec_b32 s2, s2
	s_cbranch_execz .LBB771_155
; %bb.154:
	s_wait_dscnt 0x3
	v_add_nc_u64_e32 v[8:9], v[2:3], v[26:27]
.LBB771_155:
	s_or_b32 exec_lo, exec_lo, s2
	s_wait_dscnt 0x3
	s_delay_alu instid0(VALU_DEP_1) | instskip(SKIP_4) | instid1(SALU_CYCLE_1)
	v_lshl_add_u64 v[8:9], v[8:9], 2, s[16:17]
	s_wait_dscnt 0x2
	global_store_b32 v[8:9], v6, off
	s_wait_xcnt 0x0
	s_or_b32 exec_lo, exec_lo, s1
	s_mov_b32 s1, exec_lo
	v_cmpx_gt_u32_e64 s23, v24
	s_cbranch_execnz .LBB771_187
.LBB771_156:
	s_or_b32 exec_lo, exec_lo, s1
	s_delay_alu instid0(SALU_CYCLE_1)
	s_mov_b32 s1, exec_lo
	v_cmpx_gt_u32_e64 s23, v22
	s_cbranch_execz .LBB771_192
.LBB771_157:
	s_mov_b32 s2, exec_lo
                                        ; implicit-def: $vgpr6_vgpr7
	v_cmpx_ge_u32_e64 v22, v16
	s_xor_b32 s2, exec_lo, s2
	s_cbranch_execz .LBB771_159
; %bb.158:
	s_wait_dscnt 0x2
	v_xor_b32_e32 v6, 0xfffff5ff, v0
                                        ; implicit-def: $vgpr22_vgpr23
	s_delay_alu instid0(VALU_DEP_1) | instskip(NEXT) | instid1(VALU_DEP_1)
	v_ashrrev_i32_e32 v7, 31, v6
	v_add_nc_u64_e32 v[6:7], v[42:43], v[6:7]
.LBB771_159:
	s_and_not1_saveexec_b32 s2, s2
	s_cbranch_execz .LBB771_161
; %bb.160:
	s_wait_dscnt 0x2
	v_add_nc_u64_e32 v[6:7], v[2:3], v[22:23]
.LBB771_161:
	s_or_b32 exec_lo, exec_lo, s2
	s_wait_dscnt 0x2
	s_delay_alu instid0(VALU_DEP_1) | instskip(SKIP_4) | instid1(SALU_CYCLE_1)
	v_lshl_add_u64 v[6:7], v[6:7], 2, s[16:17]
	s_wait_dscnt 0x1
	global_store_b32 v[6:7], v4, off
	s_wait_xcnt 0x0
	s_or_b32 exec_lo, exec_lo, s1
	s_mov_b32 s1, exec_lo
	v_cmpx_gt_u32_e64 s23, v20
	s_cbranch_execz .LBB771_198
	s_branch .LBB771_193
.LBB771_162:
	s_or_b32 exec_lo, exec_lo, s1
	s_delay_alu instid0(SALU_CYCLE_1)
	s_mov_b32 s1, exec_lo
	v_cmpx_gt_u32_e64 s23, v40
	s_cbranch_execz .LBB771_132
.LBB771_163:
	s_mov_b32 s2, exec_lo
                                        ; implicit-def: $vgpr44_vgpr45
	v_cmpx_ge_u32_e64 v40, v16
	s_xor_b32 s2, exec_lo, s2
; %bb.164:
	v_xor_b32_e32 v40, 0xfffffeff, v0
	s_delay_alu instid0(VALU_DEP_1) | instskip(NEXT) | instid1(VALU_DEP_1)
	v_ashrrev_i32_e32 v41, 31, v40
	v_add_nc_u64_e32 v[44:45], v[42:43], v[40:41]
                                        ; implicit-def: $vgpr40_vgpr41
; %bb.165:
	s_and_not1_saveexec_b32 s2, s2
; %bb.166:
	v_add_nc_u64_e32 v[44:45], v[2:3], v[40:41]
; %bb.167:
	s_or_b32 exec_lo, exec_lo, s2
	s_delay_alu instid0(VALU_DEP_1) | instskip(SKIP_4) | instid1(SALU_CYCLE_1)
	v_lshl_add_u64 v[40:41], v[44:45], 2, s[16:17]
	s_wait_dscnt 0x6
	global_store_b32 v[40:41], v15, off
	s_wait_xcnt 0x0
	s_or_b32 exec_lo, exec_lo, s1
	s_mov_b32 s1, exec_lo
	v_cmpx_gt_u32_e64 s23, v38
	s_cbranch_execnz .LBB771_133
.LBB771_168:
	s_or_b32 exec_lo, exec_lo, s1
	s_delay_alu instid0(SALU_CYCLE_1)
	s_mov_b32 s1, exec_lo
	v_cmpx_gt_u32_e64 s23, v36
	s_cbranch_execz .LBB771_138
.LBB771_169:
	s_mov_b32 s2, exec_lo
                                        ; implicit-def: $vgpr14_vgpr15
	v_cmpx_ge_u32_e64 v36, v16
	s_xor_b32 s2, exec_lo, s2
	s_cbranch_execz .LBB771_171
; %bb.170:
	s_wait_dscnt 0x6
	v_xor_b32_e32 v14, 0xfffffcff, v0
                                        ; implicit-def: $vgpr36_vgpr37
	s_delay_alu instid0(VALU_DEP_1) | instskip(NEXT) | instid1(VALU_DEP_1)
	v_ashrrev_i32_e32 v15, 31, v14
	v_add_nc_u64_e32 v[14:15], v[42:43], v[14:15]
.LBB771_171:
	s_and_not1_saveexec_b32 s2, s2
	s_cbranch_execz .LBB771_173
; %bb.172:
	s_wait_dscnt 0x6
	v_add_nc_u64_e32 v[14:15], v[2:3], v[36:37]
.LBB771_173:
	s_or_b32 exec_lo, exec_lo, s2
	s_wait_dscnt 0x6
	s_delay_alu instid0(VALU_DEP_1) | instskip(SKIP_4) | instid1(SALU_CYCLE_1)
	v_lshl_add_u64 v[14:15], v[14:15], 2, s[16:17]
	s_wait_dscnt 0x5
	global_store_b32 v[14:15], v13, off
	s_wait_xcnt 0x0
	s_or_b32 exec_lo, exec_lo, s1
	s_mov_b32 s1, exec_lo
	v_cmpx_gt_u32_e64 s23, v34
	s_cbranch_execnz .LBB771_139
.LBB771_174:
	s_or_b32 exec_lo, exec_lo, s1
	s_delay_alu instid0(SALU_CYCLE_1)
	s_mov_b32 s1, exec_lo
	v_cmpx_gt_u32_e64 s23, v32
	s_cbranch_execz .LBB771_144
.LBB771_175:
	s_mov_b32 s2, exec_lo
                                        ; implicit-def: $vgpr12_vgpr13
	v_cmpx_ge_u32_e64 v32, v16
	s_xor_b32 s2, exec_lo, s2
	s_cbranch_execz .LBB771_177
; %bb.176:
	s_wait_dscnt 0x5
	v_xor_b32_e32 v12, 0xfffffaff, v0
                                        ; implicit-def: $vgpr32_vgpr33
	s_delay_alu instid0(VALU_DEP_1) | instskip(NEXT) | instid1(VALU_DEP_1)
	v_ashrrev_i32_e32 v13, 31, v12
	v_add_nc_u64_e32 v[12:13], v[42:43], v[12:13]
.LBB771_177:
	s_and_not1_saveexec_b32 s2, s2
	s_cbranch_execz .LBB771_179
; %bb.178:
	s_wait_dscnt 0x5
	v_add_nc_u64_e32 v[12:13], v[2:3], v[32:33]
.LBB771_179:
	s_or_b32 exec_lo, exec_lo, s2
	s_wait_dscnt 0x5
	s_delay_alu instid0(VALU_DEP_1) | instskip(SKIP_4) | instid1(SALU_CYCLE_1)
	v_lshl_add_u64 v[12:13], v[12:13], 2, s[16:17]
	s_wait_dscnt 0x4
	global_store_b32 v[12:13], v11, off
	s_wait_xcnt 0x0
	s_or_b32 exec_lo, exec_lo, s1
	s_mov_b32 s1, exec_lo
	v_cmpx_gt_u32_e64 s23, v30
	s_cbranch_execnz .LBB771_145
.LBB771_180:
	s_or_b32 exec_lo, exec_lo, s1
	s_delay_alu instid0(SALU_CYCLE_1)
	s_mov_b32 s1, exec_lo
	v_cmpx_gt_u32_e64 s23, v28
	s_cbranch_execz .LBB771_150
.LBB771_181:
	s_mov_b32 s2, exec_lo
                                        ; implicit-def: $vgpr10_vgpr11
	v_cmpx_ge_u32_e64 v28, v16
	s_xor_b32 s2, exec_lo, s2
	s_cbranch_execz .LBB771_183
; %bb.182:
	s_wait_dscnt 0x4
	v_xor_b32_e32 v10, 0xfffff8ff, v0
                                        ; implicit-def: $vgpr28_vgpr29
	s_delay_alu instid0(VALU_DEP_1) | instskip(NEXT) | instid1(VALU_DEP_1)
	v_ashrrev_i32_e32 v11, 31, v10
	v_add_nc_u64_e32 v[10:11], v[42:43], v[10:11]
.LBB771_183:
	s_and_not1_saveexec_b32 s2, s2
	s_cbranch_execz .LBB771_185
; %bb.184:
	s_wait_dscnt 0x4
	v_add_nc_u64_e32 v[10:11], v[2:3], v[28:29]
.LBB771_185:
	s_or_b32 exec_lo, exec_lo, s2
	s_wait_dscnt 0x4
	s_delay_alu instid0(VALU_DEP_1) | instskip(SKIP_4) | instid1(SALU_CYCLE_1)
	v_lshl_add_u64 v[10:11], v[10:11], 2, s[16:17]
	s_wait_dscnt 0x3
	global_store_b32 v[10:11], v9, off
	s_wait_xcnt 0x0
	s_or_b32 exec_lo, exec_lo, s1
	s_mov_b32 s1, exec_lo
	v_cmpx_gt_u32_e64 s23, v26
	s_cbranch_execnz .LBB771_151
.LBB771_186:
	s_or_b32 exec_lo, exec_lo, s1
	s_delay_alu instid0(SALU_CYCLE_1)
	s_mov_b32 s1, exec_lo
	v_cmpx_gt_u32_e64 s23, v24
	s_cbranch_execz .LBB771_156
.LBB771_187:
	s_mov_b32 s2, exec_lo
                                        ; implicit-def: $vgpr8_vgpr9
	v_cmpx_ge_u32_e64 v24, v16
	s_xor_b32 s2, exec_lo, s2
	s_cbranch_execz .LBB771_189
; %bb.188:
	s_wait_dscnt 0x3
	v_xor_b32_e32 v8, 0xfffff6ff, v0
                                        ; implicit-def: $vgpr24_vgpr25
	s_delay_alu instid0(VALU_DEP_1) | instskip(NEXT) | instid1(VALU_DEP_1)
	v_ashrrev_i32_e32 v9, 31, v8
	v_add_nc_u64_e32 v[8:9], v[42:43], v[8:9]
.LBB771_189:
	s_and_not1_saveexec_b32 s2, s2
	s_cbranch_execz .LBB771_191
; %bb.190:
	s_wait_dscnt 0x3
	v_add_nc_u64_e32 v[8:9], v[2:3], v[24:25]
.LBB771_191:
	s_or_b32 exec_lo, exec_lo, s2
	s_wait_dscnt 0x3
	s_delay_alu instid0(VALU_DEP_1) | instskip(SKIP_4) | instid1(SALU_CYCLE_1)
	v_lshl_add_u64 v[8:9], v[8:9], 2, s[16:17]
	s_wait_dscnt 0x2
	global_store_b32 v[8:9], v7, off
	s_wait_xcnt 0x0
	s_or_b32 exec_lo, exec_lo, s1
	s_mov_b32 s1, exec_lo
	v_cmpx_gt_u32_e64 s23, v22
	s_cbranch_execnz .LBB771_157
.LBB771_192:
	s_or_b32 exec_lo, exec_lo, s1
	s_delay_alu instid0(SALU_CYCLE_1)
	s_mov_b32 s1, exec_lo
	v_cmpx_gt_u32_e64 s23, v20
	s_cbranch_execz .LBB771_198
.LBB771_193:
	s_mov_b32 s2, exec_lo
                                        ; implicit-def: $vgpr6_vgpr7
	v_cmpx_ge_u32_e64 v20, v16
	s_xor_b32 s2, exec_lo, s2
	s_cbranch_execz .LBB771_195
; %bb.194:
	s_wait_dscnt 0x2
	v_xor_b32_e32 v6, 0xfffff4ff, v0
                                        ; implicit-def: $vgpr20_vgpr21
	s_delay_alu instid0(VALU_DEP_1) | instskip(NEXT) | instid1(VALU_DEP_1)
	v_ashrrev_i32_e32 v7, 31, v6
	v_add_nc_u64_e32 v[6:7], v[42:43], v[6:7]
.LBB771_195:
	s_and_not1_saveexec_b32 s2, s2
	s_cbranch_execz .LBB771_197
; %bb.196:
	s_wait_dscnt 0x2
	v_add_nc_u64_e32 v[6:7], v[2:3], v[20:21]
.LBB771_197:
	s_or_b32 exec_lo, exec_lo, s2
	s_wait_dscnt 0x2
	s_delay_alu instid0(VALU_DEP_1)
	v_lshl_add_u64 v[6:7], v[6:7], 2, s[16:17]
	s_wait_dscnt 0x1
	global_store_b32 v[6:7], v5, off
.LBB771_198:
	s_wait_xcnt 0x0
	s_or_b32 exec_lo, exec_lo, s1
	s_delay_alu instid0(SALU_CYCLE_1)
	s_mov_b32 s1, exec_lo
                                        ; implicit-def: $vgpr44_vgpr45
	v_cmpx_gt_u32_e64 s23, v18
	s_cbranch_execz .LBB771_204
; %bb.199:
	s_mov_b32 s2, exec_lo
                                        ; implicit-def: $vgpr44_vgpr45
	v_cmpx_ge_u32_e64 v18, v16
	s_xor_b32 s2, exec_lo, s2
	s_cbranch_execz .LBB771_201
; %bb.200:
	s_wait_dscnt 0x1
	v_xor_b32_e32 v4, 0xfffff3ff, v0
                                        ; implicit-def: $vgpr18_vgpr19
	s_delay_alu instid0(VALU_DEP_1) | instskip(NEXT) | instid1(VALU_DEP_1)
	v_ashrrev_i32_e32 v5, 31, v4
	v_add_nc_u64_e32 v[44:45], v[42:43], v[4:5]
.LBB771_201:
	s_and_not1_saveexec_b32 s2, s2
; %bb.202:
	v_add_nc_u64_e32 v[44:45], v[2:3], v[18:19]
; %bb.203:
	s_or_b32 exec_lo, exec_lo, s2
	s_delay_alu instid0(SALU_CYCLE_1)
	s_or_b32 s0, s0, exec_lo
.LBB771_204:
	s_or_b32 exec_lo, exec_lo, s1
.LBB771_205:
	s_and_saveexec_b32 s1, s0
	s_cbranch_execz .LBB771_207
; %bb.206:
	s_wait_dscnt 0x1
	v_lshl_add_u64 v[4:5], v[44:45], 2, s[16:17]
	s_wait_dscnt 0x0
	global_store_b32 v[4:5], v46, off
.LBB771_207:
	s_wait_xcnt 0x0
	s_or_b32 exec_lo, exec_lo, s1
	v_cmp_eq_u32_e32 vcc_lo, 0, v0
	s_and_b32 s0, vcc_lo, s22
	s_delay_alu instid0(SALU_CYCLE_1)
	s_and_saveexec_b32 s1, s0
	s_cbranch_execz .LBB771_209
; %bb.208:
	v_mov_b32_e32 v17, 0
	s_delay_alu instid0(VALU_DEP_1)
	v_add_nc_u64_e32 v[0:1], v[2:3], v[16:17]
	global_store_b64 v17, v[0:1], s[8:9]
.LBB771_209:
	s_sendmsg sendmsg(MSG_DEALLOC_VGPRS)
	s_endpgm
	.section	.rodata,"a",@progbits
	.p2align	6, 0x0
	.amdhsa_kernel _ZN7rocprim17ROCPRIM_400000_NS6detail17trampoline_kernelINS0_13select_configILj256ELj13ELNS0_17block_load_methodE3ELS4_3ELS4_3ELNS0_20block_scan_algorithmE0ELj4294967295EEENS1_25partition_config_selectorILNS1_17partition_subalgoE3EjNS0_10empty_typeEbEEZZNS1_14partition_implILS8_3ELb0ES6_jNS0_17counting_iteratorIjlEEPS9_SE_NS0_5tupleIJPjSE_EEENSF_IJSE_SE_EEES9_SG_JZNS1_25segmented_radix_sort_implINS0_14default_configELb0EPKlPlSM_SN_N2at6native12_GLOBAL__N_18offset_tEEE10hipError_tPvRmT1_PNSt15iterator_traitsISV_E10value_typeET2_T3_PNSW_IS11_E10value_typeET4_jRbjT5_S17_jjP12ihipStream_tbEUljE_EEESS_ST_SU_S11_S15_S17_T6_T7_T9_mT8_S19_bDpT10_ENKUlT_T0_E_clISt17integral_constantIbLb0EES1M_EEDaS1H_S1I_EUlS1H_E_NS1_11comp_targetILNS1_3genE0ELNS1_11target_archE4294967295ELNS1_3gpuE0ELNS1_3repE0EEENS1_30default_config_static_selectorELNS0_4arch9wavefront6targetE0EEEvSV_
		.amdhsa_group_segment_fixed_size 13320
		.amdhsa_private_segment_fixed_size 0
		.amdhsa_kernarg_size 144
		.amdhsa_user_sgpr_count 2
		.amdhsa_user_sgpr_dispatch_ptr 0
		.amdhsa_user_sgpr_queue_ptr 0
		.amdhsa_user_sgpr_kernarg_segment_ptr 1
		.amdhsa_user_sgpr_dispatch_id 0
		.amdhsa_user_sgpr_kernarg_preload_length 0
		.amdhsa_user_sgpr_kernarg_preload_offset 0
		.amdhsa_user_sgpr_private_segment_size 0
		.amdhsa_wavefront_size32 1
		.amdhsa_uses_dynamic_stack 0
		.amdhsa_enable_private_segment 0
		.amdhsa_system_sgpr_workgroup_id_x 1
		.amdhsa_system_sgpr_workgroup_id_y 0
		.amdhsa_system_sgpr_workgroup_id_z 0
		.amdhsa_system_sgpr_workgroup_info 0
		.amdhsa_system_vgpr_workitem_id 0
		.amdhsa_next_free_vgpr 69
		.amdhsa_next_free_sgpr 26
		.amdhsa_named_barrier_count 0
		.amdhsa_reserve_vcc 1
		.amdhsa_float_round_mode_32 0
		.amdhsa_float_round_mode_16_64 0
		.amdhsa_float_denorm_mode_32 3
		.amdhsa_float_denorm_mode_16_64 3
		.amdhsa_fp16_overflow 0
		.amdhsa_memory_ordered 1
		.amdhsa_forward_progress 1
		.amdhsa_inst_pref_size 70
		.amdhsa_round_robin_scheduling 0
		.amdhsa_exception_fp_ieee_invalid_op 0
		.amdhsa_exception_fp_denorm_src 0
		.amdhsa_exception_fp_ieee_div_zero 0
		.amdhsa_exception_fp_ieee_overflow 0
		.amdhsa_exception_fp_ieee_underflow 0
		.amdhsa_exception_fp_ieee_inexact 0
		.amdhsa_exception_int_div_zero 0
	.end_amdhsa_kernel
	.section	.text._ZN7rocprim17ROCPRIM_400000_NS6detail17trampoline_kernelINS0_13select_configILj256ELj13ELNS0_17block_load_methodE3ELS4_3ELS4_3ELNS0_20block_scan_algorithmE0ELj4294967295EEENS1_25partition_config_selectorILNS1_17partition_subalgoE3EjNS0_10empty_typeEbEEZZNS1_14partition_implILS8_3ELb0ES6_jNS0_17counting_iteratorIjlEEPS9_SE_NS0_5tupleIJPjSE_EEENSF_IJSE_SE_EEES9_SG_JZNS1_25segmented_radix_sort_implINS0_14default_configELb0EPKlPlSM_SN_N2at6native12_GLOBAL__N_18offset_tEEE10hipError_tPvRmT1_PNSt15iterator_traitsISV_E10value_typeET2_T3_PNSW_IS11_E10value_typeET4_jRbjT5_S17_jjP12ihipStream_tbEUljE_EEESS_ST_SU_S11_S15_S17_T6_T7_T9_mT8_S19_bDpT10_ENKUlT_T0_E_clISt17integral_constantIbLb0EES1M_EEDaS1H_S1I_EUlS1H_E_NS1_11comp_targetILNS1_3genE0ELNS1_11target_archE4294967295ELNS1_3gpuE0ELNS1_3repE0EEENS1_30default_config_static_selectorELNS0_4arch9wavefront6targetE0EEEvSV_,"axG",@progbits,_ZN7rocprim17ROCPRIM_400000_NS6detail17trampoline_kernelINS0_13select_configILj256ELj13ELNS0_17block_load_methodE3ELS4_3ELS4_3ELNS0_20block_scan_algorithmE0ELj4294967295EEENS1_25partition_config_selectorILNS1_17partition_subalgoE3EjNS0_10empty_typeEbEEZZNS1_14partition_implILS8_3ELb0ES6_jNS0_17counting_iteratorIjlEEPS9_SE_NS0_5tupleIJPjSE_EEENSF_IJSE_SE_EEES9_SG_JZNS1_25segmented_radix_sort_implINS0_14default_configELb0EPKlPlSM_SN_N2at6native12_GLOBAL__N_18offset_tEEE10hipError_tPvRmT1_PNSt15iterator_traitsISV_E10value_typeET2_T3_PNSW_IS11_E10value_typeET4_jRbjT5_S17_jjP12ihipStream_tbEUljE_EEESS_ST_SU_S11_S15_S17_T6_T7_T9_mT8_S19_bDpT10_ENKUlT_T0_E_clISt17integral_constantIbLb0EES1M_EEDaS1H_S1I_EUlS1H_E_NS1_11comp_targetILNS1_3genE0ELNS1_11target_archE4294967295ELNS1_3gpuE0ELNS1_3repE0EEENS1_30default_config_static_selectorELNS0_4arch9wavefront6targetE0EEEvSV_,comdat
.Lfunc_end771:
	.size	_ZN7rocprim17ROCPRIM_400000_NS6detail17trampoline_kernelINS0_13select_configILj256ELj13ELNS0_17block_load_methodE3ELS4_3ELS4_3ELNS0_20block_scan_algorithmE0ELj4294967295EEENS1_25partition_config_selectorILNS1_17partition_subalgoE3EjNS0_10empty_typeEbEEZZNS1_14partition_implILS8_3ELb0ES6_jNS0_17counting_iteratorIjlEEPS9_SE_NS0_5tupleIJPjSE_EEENSF_IJSE_SE_EEES9_SG_JZNS1_25segmented_radix_sort_implINS0_14default_configELb0EPKlPlSM_SN_N2at6native12_GLOBAL__N_18offset_tEEE10hipError_tPvRmT1_PNSt15iterator_traitsISV_E10value_typeET2_T3_PNSW_IS11_E10value_typeET4_jRbjT5_S17_jjP12ihipStream_tbEUljE_EEESS_ST_SU_S11_S15_S17_T6_T7_T9_mT8_S19_bDpT10_ENKUlT_T0_E_clISt17integral_constantIbLb0EES1M_EEDaS1H_S1I_EUlS1H_E_NS1_11comp_targetILNS1_3genE0ELNS1_11target_archE4294967295ELNS1_3gpuE0ELNS1_3repE0EEENS1_30default_config_static_selectorELNS0_4arch9wavefront6targetE0EEEvSV_, .Lfunc_end771-_ZN7rocprim17ROCPRIM_400000_NS6detail17trampoline_kernelINS0_13select_configILj256ELj13ELNS0_17block_load_methodE3ELS4_3ELS4_3ELNS0_20block_scan_algorithmE0ELj4294967295EEENS1_25partition_config_selectorILNS1_17partition_subalgoE3EjNS0_10empty_typeEbEEZZNS1_14partition_implILS8_3ELb0ES6_jNS0_17counting_iteratorIjlEEPS9_SE_NS0_5tupleIJPjSE_EEENSF_IJSE_SE_EEES9_SG_JZNS1_25segmented_radix_sort_implINS0_14default_configELb0EPKlPlSM_SN_N2at6native12_GLOBAL__N_18offset_tEEE10hipError_tPvRmT1_PNSt15iterator_traitsISV_E10value_typeET2_T3_PNSW_IS11_E10value_typeET4_jRbjT5_S17_jjP12ihipStream_tbEUljE_EEESS_ST_SU_S11_S15_S17_T6_T7_T9_mT8_S19_bDpT10_ENKUlT_T0_E_clISt17integral_constantIbLb0EES1M_EEDaS1H_S1I_EUlS1H_E_NS1_11comp_targetILNS1_3genE0ELNS1_11target_archE4294967295ELNS1_3gpuE0ELNS1_3repE0EEENS1_30default_config_static_selectorELNS0_4arch9wavefront6targetE0EEEvSV_
                                        ; -- End function
	.set _ZN7rocprim17ROCPRIM_400000_NS6detail17trampoline_kernelINS0_13select_configILj256ELj13ELNS0_17block_load_methodE3ELS4_3ELS4_3ELNS0_20block_scan_algorithmE0ELj4294967295EEENS1_25partition_config_selectorILNS1_17partition_subalgoE3EjNS0_10empty_typeEbEEZZNS1_14partition_implILS8_3ELb0ES6_jNS0_17counting_iteratorIjlEEPS9_SE_NS0_5tupleIJPjSE_EEENSF_IJSE_SE_EEES9_SG_JZNS1_25segmented_radix_sort_implINS0_14default_configELb0EPKlPlSM_SN_N2at6native12_GLOBAL__N_18offset_tEEE10hipError_tPvRmT1_PNSt15iterator_traitsISV_E10value_typeET2_T3_PNSW_IS11_E10value_typeET4_jRbjT5_S17_jjP12ihipStream_tbEUljE_EEESS_ST_SU_S11_S15_S17_T6_T7_T9_mT8_S19_bDpT10_ENKUlT_T0_E_clISt17integral_constantIbLb0EES1M_EEDaS1H_S1I_EUlS1H_E_NS1_11comp_targetILNS1_3genE0ELNS1_11target_archE4294967295ELNS1_3gpuE0ELNS1_3repE0EEENS1_30default_config_static_selectorELNS0_4arch9wavefront6targetE0EEEvSV_.num_vgpr, 69
	.set _ZN7rocprim17ROCPRIM_400000_NS6detail17trampoline_kernelINS0_13select_configILj256ELj13ELNS0_17block_load_methodE3ELS4_3ELS4_3ELNS0_20block_scan_algorithmE0ELj4294967295EEENS1_25partition_config_selectorILNS1_17partition_subalgoE3EjNS0_10empty_typeEbEEZZNS1_14partition_implILS8_3ELb0ES6_jNS0_17counting_iteratorIjlEEPS9_SE_NS0_5tupleIJPjSE_EEENSF_IJSE_SE_EEES9_SG_JZNS1_25segmented_radix_sort_implINS0_14default_configELb0EPKlPlSM_SN_N2at6native12_GLOBAL__N_18offset_tEEE10hipError_tPvRmT1_PNSt15iterator_traitsISV_E10value_typeET2_T3_PNSW_IS11_E10value_typeET4_jRbjT5_S17_jjP12ihipStream_tbEUljE_EEESS_ST_SU_S11_S15_S17_T6_T7_T9_mT8_S19_bDpT10_ENKUlT_T0_E_clISt17integral_constantIbLb0EES1M_EEDaS1H_S1I_EUlS1H_E_NS1_11comp_targetILNS1_3genE0ELNS1_11target_archE4294967295ELNS1_3gpuE0ELNS1_3repE0EEENS1_30default_config_static_selectorELNS0_4arch9wavefront6targetE0EEEvSV_.num_agpr, 0
	.set _ZN7rocprim17ROCPRIM_400000_NS6detail17trampoline_kernelINS0_13select_configILj256ELj13ELNS0_17block_load_methodE3ELS4_3ELS4_3ELNS0_20block_scan_algorithmE0ELj4294967295EEENS1_25partition_config_selectorILNS1_17partition_subalgoE3EjNS0_10empty_typeEbEEZZNS1_14partition_implILS8_3ELb0ES6_jNS0_17counting_iteratorIjlEEPS9_SE_NS0_5tupleIJPjSE_EEENSF_IJSE_SE_EEES9_SG_JZNS1_25segmented_radix_sort_implINS0_14default_configELb0EPKlPlSM_SN_N2at6native12_GLOBAL__N_18offset_tEEE10hipError_tPvRmT1_PNSt15iterator_traitsISV_E10value_typeET2_T3_PNSW_IS11_E10value_typeET4_jRbjT5_S17_jjP12ihipStream_tbEUljE_EEESS_ST_SU_S11_S15_S17_T6_T7_T9_mT8_S19_bDpT10_ENKUlT_T0_E_clISt17integral_constantIbLb0EES1M_EEDaS1H_S1I_EUlS1H_E_NS1_11comp_targetILNS1_3genE0ELNS1_11target_archE4294967295ELNS1_3gpuE0ELNS1_3repE0EEENS1_30default_config_static_selectorELNS0_4arch9wavefront6targetE0EEEvSV_.numbered_sgpr, 26
	.set _ZN7rocprim17ROCPRIM_400000_NS6detail17trampoline_kernelINS0_13select_configILj256ELj13ELNS0_17block_load_methodE3ELS4_3ELS4_3ELNS0_20block_scan_algorithmE0ELj4294967295EEENS1_25partition_config_selectorILNS1_17partition_subalgoE3EjNS0_10empty_typeEbEEZZNS1_14partition_implILS8_3ELb0ES6_jNS0_17counting_iteratorIjlEEPS9_SE_NS0_5tupleIJPjSE_EEENSF_IJSE_SE_EEES9_SG_JZNS1_25segmented_radix_sort_implINS0_14default_configELb0EPKlPlSM_SN_N2at6native12_GLOBAL__N_18offset_tEEE10hipError_tPvRmT1_PNSt15iterator_traitsISV_E10value_typeET2_T3_PNSW_IS11_E10value_typeET4_jRbjT5_S17_jjP12ihipStream_tbEUljE_EEESS_ST_SU_S11_S15_S17_T6_T7_T9_mT8_S19_bDpT10_ENKUlT_T0_E_clISt17integral_constantIbLb0EES1M_EEDaS1H_S1I_EUlS1H_E_NS1_11comp_targetILNS1_3genE0ELNS1_11target_archE4294967295ELNS1_3gpuE0ELNS1_3repE0EEENS1_30default_config_static_selectorELNS0_4arch9wavefront6targetE0EEEvSV_.num_named_barrier, 0
	.set _ZN7rocprim17ROCPRIM_400000_NS6detail17trampoline_kernelINS0_13select_configILj256ELj13ELNS0_17block_load_methodE3ELS4_3ELS4_3ELNS0_20block_scan_algorithmE0ELj4294967295EEENS1_25partition_config_selectorILNS1_17partition_subalgoE3EjNS0_10empty_typeEbEEZZNS1_14partition_implILS8_3ELb0ES6_jNS0_17counting_iteratorIjlEEPS9_SE_NS0_5tupleIJPjSE_EEENSF_IJSE_SE_EEES9_SG_JZNS1_25segmented_radix_sort_implINS0_14default_configELb0EPKlPlSM_SN_N2at6native12_GLOBAL__N_18offset_tEEE10hipError_tPvRmT1_PNSt15iterator_traitsISV_E10value_typeET2_T3_PNSW_IS11_E10value_typeET4_jRbjT5_S17_jjP12ihipStream_tbEUljE_EEESS_ST_SU_S11_S15_S17_T6_T7_T9_mT8_S19_bDpT10_ENKUlT_T0_E_clISt17integral_constantIbLb0EES1M_EEDaS1H_S1I_EUlS1H_E_NS1_11comp_targetILNS1_3genE0ELNS1_11target_archE4294967295ELNS1_3gpuE0ELNS1_3repE0EEENS1_30default_config_static_selectorELNS0_4arch9wavefront6targetE0EEEvSV_.private_seg_size, 0
	.set _ZN7rocprim17ROCPRIM_400000_NS6detail17trampoline_kernelINS0_13select_configILj256ELj13ELNS0_17block_load_methodE3ELS4_3ELS4_3ELNS0_20block_scan_algorithmE0ELj4294967295EEENS1_25partition_config_selectorILNS1_17partition_subalgoE3EjNS0_10empty_typeEbEEZZNS1_14partition_implILS8_3ELb0ES6_jNS0_17counting_iteratorIjlEEPS9_SE_NS0_5tupleIJPjSE_EEENSF_IJSE_SE_EEES9_SG_JZNS1_25segmented_radix_sort_implINS0_14default_configELb0EPKlPlSM_SN_N2at6native12_GLOBAL__N_18offset_tEEE10hipError_tPvRmT1_PNSt15iterator_traitsISV_E10value_typeET2_T3_PNSW_IS11_E10value_typeET4_jRbjT5_S17_jjP12ihipStream_tbEUljE_EEESS_ST_SU_S11_S15_S17_T6_T7_T9_mT8_S19_bDpT10_ENKUlT_T0_E_clISt17integral_constantIbLb0EES1M_EEDaS1H_S1I_EUlS1H_E_NS1_11comp_targetILNS1_3genE0ELNS1_11target_archE4294967295ELNS1_3gpuE0ELNS1_3repE0EEENS1_30default_config_static_selectorELNS0_4arch9wavefront6targetE0EEEvSV_.uses_vcc, 1
	.set _ZN7rocprim17ROCPRIM_400000_NS6detail17trampoline_kernelINS0_13select_configILj256ELj13ELNS0_17block_load_methodE3ELS4_3ELS4_3ELNS0_20block_scan_algorithmE0ELj4294967295EEENS1_25partition_config_selectorILNS1_17partition_subalgoE3EjNS0_10empty_typeEbEEZZNS1_14partition_implILS8_3ELb0ES6_jNS0_17counting_iteratorIjlEEPS9_SE_NS0_5tupleIJPjSE_EEENSF_IJSE_SE_EEES9_SG_JZNS1_25segmented_radix_sort_implINS0_14default_configELb0EPKlPlSM_SN_N2at6native12_GLOBAL__N_18offset_tEEE10hipError_tPvRmT1_PNSt15iterator_traitsISV_E10value_typeET2_T3_PNSW_IS11_E10value_typeET4_jRbjT5_S17_jjP12ihipStream_tbEUljE_EEESS_ST_SU_S11_S15_S17_T6_T7_T9_mT8_S19_bDpT10_ENKUlT_T0_E_clISt17integral_constantIbLb0EES1M_EEDaS1H_S1I_EUlS1H_E_NS1_11comp_targetILNS1_3genE0ELNS1_11target_archE4294967295ELNS1_3gpuE0ELNS1_3repE0EEENS1_30default_config_static_selectorELNS0_4arch9wavefront6targetE0EEEvSV_.uses_flat_scratch, 0
	.set _ZN7rocprim17ROCPRIM_400000_NS6detail17trampoline_kernelINS0_13select_configILj256ELj13ELNS0_17block_load_methodE3ELS4_3ELS4_3ELNS0_20block_scan_algorithmE0ELj4294967295EEENS1_25partition_config_selectorILNS1_17partition_subalgoE3EjNS0_10empty_typeEbEEZZNS1_14partition_implILS8_3ELb0ES6_jNS0_17counting_iteratorIjlEEPS9_SE_NS0_5tupleIJPjSE_EEENSF_IJSE_SE_EEES9_SG_JZNS1_25segmented_radix_sort_implINS0_14default_configELb0EPKlPlSM_SN_N2at6native12_GLOBAL__N_18offset_tEEE10hipError_tPvRmT1_PNSt15iterator_traitsISV_E10value_typeET2_T3_PNSW_IS11_E10value_typeET4_jRbjT5_S17_jjP12ihipStream_tbEUljE_EEESS_ST_SU_S11_S15_S17_T6_T7_T9_mT8_S19_bDpT10_ENKUlT_T0_E_clISt17integral_constantIbLb0EES1M_EEDaS1H_S1I_EUlS1H_E_NS1_11comp_targetILNS1_3genE0ELNS1_11target_archE4294967295ELNS1_3gpuE0ELNS1_3repE0EEENS1_30default_config_static_selectorELNS0_4arch9wavefront6targetE0EEEvSV_.has_dyn_sized_stack, 0
	.set _ZN7rocprim17ROCPRIM_400000_NS6detail17trampoline_kernelINS0_13select_configILj256ELj13ELNS0_17block_load_methodE3ELS4_3ELS4_3ELNS0_20block_scan_algorithmE0ELj4294967295EEENS1_25partition_config_selectorILNS1_17partition_subalgoE3EjNS0_10empty_typeEbEEZZNS1_14partition_implILS8_3ELb0ES6_jNS0_17counting_iteratorIjlEEPS9_SE_NS0_5tupleIJPjSE_EEENSF_IJSE_SE_EEES9_SG_JZNS1_25segmented_radix_sort_implINS0_14default_configELb0EPKlPlSM_SN_N2at6native12_GLOBAL__N_18offset_tEEE10hipError_tPvRmT1_PNSt15iterator_traitsISV_E10value_typeET2_T3_PNSW_IS11_E10value_typeET4_jRbjT5_S17_jjP12ihipStream_tbEUljE_EEESS_ST_SU_S11_S15_S17_T6_T7_T9_mT8_S19_bDpT10_ENKUlT_T0_E_clISt17integral_constantIbLb0EES1M_EEDaS1H_S1I_EUlS1H_E_NS1_11comp_targetILNS1_3genE0ELNS1_11target_archE4294967295ELNS1_3gpuE0ELNS1_3repE0EEENS1_30default_config_static_selectorELNS0_4arch9wavefront6targetE0EEEvSV_.has_recursion, 0
	.set _ZN7rocprim17ROCPRIM_400000_NS6detail17trampoline_kernelINS0_13select_configILj256ELj13ELNS0_17block_load_methodE3ELS4_3ELS4_3ELNS0_20block_scan_algorithmE0ELj4294967295EEENS1_25partition_config_selectorILNS1_17partition_subalgoE3EjNS0_10empty_typeEbEEZZNS1_14partition_implILS8_3ELb0ES6_jNS0_17counting_iteratorIjlEEPS9_SE_NS0_5tupleIJPjSE_EEENSF_IJSE_SE_EEES9_SG_JZNS1_25segmented_radix_sort_implINS0_14default_configELb0EPKlPlSM_SN_N2at6native12_GLOBAL__N_18offset_tEEE10hipError_tPvRmT1_PNSt15iterator_traitsISV_E10value_typeET2_T3_PNSW_IS11_E10value_typeET4_jRbjT5_S17_jjP12ihipStream_tbEUljE_EEESS_ST_SU_S11_S15_S17_T6_T7_T9_mT8_S19_bDpT10_ENKUlT_T0_E_clISt17integral_constantIbLb0EES1M_EEDaS1H_S1I_EUlS1H_E_NS1_11comp_targetILNS1_3genE0ELNS1_11target_archE4294967295ELNS1_3gpuE0ELNS1_3repE0EEENS1_30default_config_static_selectorELNS0_4arch9wavefront6targetE0EEEvSV_.has_indirect_call, 0
	.section	.AMDGPU.csdata,"",@progbits
; Kernel info:
; codeLenInByte = 8920
; TotalNumSgprs: 28
; NumVgprs: 69
; ScratchSize: 0
; MemoryBound: 0
; FloatMode: 240
; IeeeMode: 1
; LDSByteSize: 13320 bytes/workgroup (compile time only)
; SGPRBlocks: 0
; VGPRBlocks: 4
; NumSGPRsForWavesPerEU: 28
; NumVGPRsForWavesPerEU: 69
; NamedBarCnt: 0
; Occupancy: 12
; WaveLimiterHint : 0
; COMPUTE_PGM_RSRC2:SCRATCH_EN: 0
; COMPUTE_PGM_RSRC2:USER_SGPR: 2
; COMPUTE_PGM_RSRC2:TRAP_HANDLER: 0
; COMPUTE_PGM_RSRC2:TGID_X_EN: 1
; COMPUTE_PGM_RSRC2:TGID_Y_EN: 0
; COMPUTE_PGM_RSRC2:TGID_Z_EN: 0
; COMPUTE_PGM_RSRC2:TIDIG_COMP_CNT: 0
	.section	.text._ZN7rocprim17ROCPRIM_400000_NS6detail17trampoline_kernelINS0_13select_configILj256ELj13ELNS0_17block_load_methodE3ELS4_3ELS4_3ELNS0_20block_scan_algorithmE0ELj4294967295EEENS1_25partition_config_selectorILNS1_17partition_subalgoE3EjNS0_10empty_typeEbEEZZNS1_14partition_implILS8_3ELb0ES6_jNS0_17counting_iteratorIjlEEPS9_SE_NS0_5tupleIJPjSE_EEENSF_IJSE_SE_EEES9_SG_JZNS1_25segmented_radix_sort_implINS0_14default_configELb0EPKlPlSM_SN_N2at6native12_GLOBAL__N_18offset_tEEE10hipError_tPvRmT1_PNSt15iterator_traitsISV_E10value_typeET2_T3_PNSW_IS11_E10value_typeET4_jRbjT5_S17_jjP12ihipStream_tbEUljE_EEESS_ST_SU_S11_S15_S17_T6_T7_T9_mT8_S19_bDpT10_ENKUlT_T0_E_clISt17integral_constantIbLb0EES1M_EEDaS1H_S1I_EUlS1H_E_NS1_11comp_targetILNS1_3genE5ELNS1_11target_archE942ELNS1_3gpuE9ELNS1_3repE0EEENS1_30default_config_static_selectorELNS0_4arch9wavefront6targetE0EEEvSV_,"axG",@progbits,_ZN7rocprim17ROCPRIM_400000_NS6detail17trampoline_kernelINS0_13select_configILj256ELj13ELNS0_17block_load_methodE3ELS4_3ELS4_3ELNS0_20block_scan_algorithmE0ELj4294967295EEENS1_25partition_config_selectorILNS1_17partition_subalgoE3EjNS0_10empty_typeEbEEZZNS1_14partition_implILS8_3ELb0ES6_jNS0_17counting_iteratorIjlEEPS9_SE_NS0_5tupleIJPjSE_EEENSF_IJSE_SE_EEES9_SG_JZNS1_25segmented_radix_sort_implINS0_14default_configELb0EPKlPlSM_SN_N2at6native12_GLOBAL__N_18offset_tEEE10hipError_tPvRmT1_PNSt15iterator_traitsISV_E10value_typeET2_T3_PNSW_IS11_E10value_typeET4_jRbjT5_S17_jjP12ihipStream_tbEUljE_EEESS_ST_SU_S11_S15_S17_T6_T7_T9_mT8_S19_bDpT10_ENKUlT_T0_E_clISt17integral_constantIbLb0EES1M_EEDaS1H_S1I_EUlS1H_E_NS1_11comp_targetILNS1_3genE5ELNS1_11target_archE942ELNS1_3gpuE9ELNS1_3repE0EEENS1_30default_config_static_selectorELNS0_4arch9wavefront6targetE0EEEvSV_,comdat
	.globl	_ZN7rocprim17ROCPRIM_400000_NS6detail17trampoline_kernelINS0_13select_configILj256ELj13ELNS0_17block_load_methodE3ELS4_3ELS4_3ELNS0_20block_scan_algorithmE0ELj4294967295EEENS1_25partition_config_selectorILNS1_17partition_subalgoE3EjNS0_10empty_typeEbEEZZNS1_14partition_implILS8_3ELb0ES6_jNS0_17counting_iteratorIjlEEPS9_SE_NS0_5tupleIJPjSE_EEENSF_IJSE_SE_EEES9_SG_JZNS1_25segmented_radix_sort_implINS0_14default_configELb0EPKlPlSM_SN_N2at6native12_GLOBAL__N_18offset_tEEE10hipError_tPvRmT1_PNSt15iterator_traitsISV_E10value_typeET2_T3_PNSW_IS11_E10value_typeET4_jRbjT5_S17_jjP12ihipStream_tbEUljE_EEESS_ST_SU_S11_S15_S17_T6_T7_T9_mT8_S19_bDpT10_ENKUlT_T0_E_clISt17integral_constantIbLb0EES1M_EEDaS1H_S1I_EUlS1H_E_NS1_11comp_targetILNS1_3genE5ELNS1_11target_archE942ELNS1_3gpuE9ELNS1_3repE0EEENS1_30default_config_static_selectorELNS0_4arch9wavefront6targetE0EEEvSV_ ; -- Begin function _ZN7rocprim17ROCPRIM_400000_NS6detail17trampoline_kernelINS0_13select_configILj256ELj13ELNS0_17block_load_methodE3ELS4_3ELS4_3ELNS0_20block_scan_algorithmE0ELj4294967295EEENS1_25partition_config_selectorILNS1_17partition_subalgoE3EjNS0_10empty_typeEbEEZZNS1_14partition_implILS8_3ELb0ES6_jNS0_17counting_iteratorIjlEEPS9_SE_NS0_5tupleIJPjSE_EEENSF_IJSE_SE_EEES9_SG_JZNS1_25segmented_radix_sort_implINS0_14default_configELb0EPKlPlSM_SN_N2at6native12_GLOBAL__N_18offset_tEEE10hipError_tPvRmT1_PNSt15iterator_traitsISV_E10value_typeET2_T3_PNSW_IS11_E10value_typeET4_jRbjT5_S17_jjP12ihipStream_tbEUljE_EEESS_ST_SU_S11_S15_S17_T6_T7_T9_mT8_S19_bDpT10_ENKUlT_T0_E_clISt17integral_constantIbLb0EES1M_EEDaS1H_S1I_EUlS1H_E_NS1_11comp_targetILNS1_3genE5ELNS1_11target_archE942ELNS1_3gpuE9ELNS1_3repE0EEENS1_30default_config_static_selectorELNS0_4arch9wavefront6targetE0EEEvSV_
	.p2align	8
	.type	_ZN7rocprim17ROCPRIM_400000_NS6detail17trampoline_kernelINS0_13select_configILj256ELj13ELNS0_17block_load_methodE3ELS4_3ELS4_3ELNS0_20block_scan_algorithmE0ELj4294967295EEENS1_25partition_config_selectorILNS1_17partition_subalgoE3EjNS0_10empty_typeEbEEZZNS1_14partition_implILS8_3ELb0ES6_jNS0_17counting_iteratorIjlEEPS9_SE_NS0_5tupleIJPjSE_EEENSF_IJSE_SE_EEES9_SG_JZNS1_25segmented_radix_sort_implINS0_14default_configELb0EPKlPlSM_SN_N2at6native12_GLOBAL__N_18offset_tEEE10hipError_tPvRmT1_PNSt15iterator_traitsISV_E10value_typeET2_T3_PNSW_IS11_E10value_typeET4_jRbjT5_S17_jjP12ihipStream_tbEUljE_EEESS_ST_SU_S11_S15_S17_T6_T7_T9_mT8_S19_bDpT10_ENKUlT_T0_E_clISt17integral_constantIbLb0EES1M_EEDaS1H_S1I_EUlS1H_E_NS1_11comp_targetILNS1_3genE5ELNS1_11target_archE942ELNS1_3gpuE9ELNS1_3repE0EEENS1_30default_config_static_selectorELNS0_4arch9wavefront6targetE0EEEvSV_,@function
_ZN7rocprim17ROCPRIM_400000_NS6detail17trampoline_kernelINS0_13select_configILj256ELj13ELNS0_17block_load_methodE3ELS4_3ELS4_3ELNS0_20block_scan_algorithmE0ELj4294967295EEENS1_25partition_config_selectorILNS1_17partition_subalgoE3EjNS0_10empty_typeEbEEZZNS1_14partition_implILS8_3ELb0ES6_jNS0_17counting_iteratorIjlEEPS9_SE_NS0_5tupleIJPjSE_EEENSF_IJSE_SE_EEES9_SG_JZNS1_25segmented_radix_sort_implINS0_14default_configELb0EPKlPlSM_SN_N2at6native12_GLOBAL__N_18offset_tEEE10hipError_tPvRmT1_PNSt15iterator_traitsISV_E10value_typeET2_T3_PNSW_IS11_E10value_typeET4_jRbjT5_S17_jjP12ihipStream_tbEUljE_EEESS_ST_SU_S11_S15_S17_T6_T7_T9_mT8_S19_bDpT10_ENKUlT_T0_E_clISt17integral_constantIbLb0EES1M_EEDaS1H_S1I_EUlS1H_E_NS1_11comp_targetILNS1_3genE5ELNS1_11target_archE942ELNS1_3gpuE9ELNS1_3repE0EEENS1_30default_config_static_selectorELNS0_4arch9wavefront6targetE0EEEvSV_: ; @_ZN7rocprim17ROCPRIM_400000_NS6detail17trampoline_kernelINS0_13select_configILj256ELj13ELNS0_17block_load_methodE3ELS4_3ELS4_3ELNS0_20block_scan_algorithmE0ELj4294967295EEENS1_25partition_config_selectorILNS1_17partition_subalgoE3EjNS0_10empty_typeEbEEZZNS1_14partition_implILS8_3ELb0ES6_jNS0_17counting_iteratorIjlEEPS9_SE_NS0_5tupleIJPjSE_EEENSF_IJSE_SE_EEES9_SG_JZNS1_25segmented_radix_sort_implINS0_14default_configELb0EPKlPlSM_SN_N2at6native12_GLOBAL__N_18offset_tEEE10hipError_tPvRmT1_PNSt15iterator_traitsISV_E10value_typeET2_T3_PNSW_IS11_E10value_typeET4_jRbjT5_S17_jjP12ihipStream_tbEUljE_EEESS_ST_SU_S11_S15_S17_T6_T7_T9_mT8_S19_bDpT10_ENKUlT_T0_E_clISt17integral_constantIbLb0EES1M_EEDaS1H_S1I_EUlS1H_E_NS1_11comp_targetILNS1_3genE5ELNS1_11target_archE942ELNS1_3gpuE9ELNS1_3repE0EEENS1_30default_config_static_selectorELNS0_4arch9wavefront6targetE0EEEvSV_
; %bb.0:
	.section	.rodata,"a",@progbits
	.p2align	6, 0x0
	.amdhsa_kernel _ZN7rocprim17ROCPRIM_400000_NS6detail17trampoline_kernelINS0_13select_configILj256ELj13ELNS0_17block_load_methodE3ELS4_3ELS4_3ELNS0_20block_scan_algorithmE0ELj4294967295EEENS1_25partition_config_selectorILNS1_17partition_subalgoE3EjNS0_10empty_typeEbEEZZNS1_14partition_implILS8_3ELb0ES6_jNS0_17counting_iteratorIjlEEPS9_SE_NS0_5tupleIJPjSE_EEENSF_IJSE_SE_EEES9_SG_JZNS1_25segmented_radix_sort_implINS0_14default_configELb0EPKlPlSM_SN_N2at6native12_GLOBAL__N_18offset_tEEE10hipError_tPvRmT1_PNSt15iterator_traitsISV_E10value_typeET2_T3_PNSW_IS11_E10value_typeET4_jRbjT5_S17_jjP12ihipStream_tbEUljE_EEESS_ST_SU_S11_S15_S17_T6_T7_T9_mT8_S19_bDpT10_ENKUlT_T0_E_clISt17integral_constantIbLb0EES1M_EEDaS1H_S1I_EUlS1H_E_NS1_11comp_targetILNS1_3genE5ELNS1_11target_archE942ELNS1_3gpuE9ELNS1_3repE0EEENS1_30default_config_static_selectorELNS0_4arch9wavefront6targetE0EEEvSV_
		.amdhsa_group_segment_fixed_size 0
		.amdhsa_private_segment_fixed_size 0
		.amdhsa_kernarg_size 144
		.amdhsa_user_sgpr_count 2
		.amdhsa_user_sgpr_dispatch_ptr 0
		.amdhsa_user_sgpr_queue_ptr 0
		.amdhsa_user_sgpr_kernarg_segment_ptr 1
		.amdhsa_user_sgpr_dispatch_id 0
		.amdhsa_user_sgpr_kernarg_preload_length 0
		.amdhsa_user_sgpr_kernarg_preload_offset 0
		.amdhsa_user_sgpr_private_segment_size 0
		.amdhsa_wavefront_size32 1
		.amdhsa_uses_dynamic_stack 0
		.amdhsa_enable_private_segment 0
		.amdhsa_system_sgpr_workgroup_id_x 1
		.amdhsa_system_sgpr_workgroup_id_y 0
		.amdhsa_system_sgpr_workgroup_id_z 0
		.amdhsa_system_sgpr_workgroup_info 0
		.amdhsa_system_vgpr_workitem_id 0
		.amdhsa_next_free_vgpr 1
		.amdhsa_next_free_sgpr 1
		.amdhsa_named_barrier_count 0
		.amdhsa_reserve_vcc 0
		.amdhsa_float_round_mode_32 0
		.amdhsa_float_round_mode_16_64 0
		.amdhsa_float_denorm_mode_32 3
		.amdhsa_float_denorm_mode_16_64 3
		.amdhsa_fp16_overflow 0
		.amdhsa_memory_ordered 1
		.amdhsa_forward_progress 1
		.amdhsa_inst_pref_size 0
		.amdhsa_round_robin_scheduling 0
		.amdhsa_exception_fp_ieee_invalid_op 0
		.amdhsa_exception_fp_denorm_src 0
		.amdhsa_exception_fp_ieee_div_zero 0
		.amdhsa_exception_fp_ieee_overflow 0
		.amdhsa_exception_fp_ieee_underflow 0
		.amdhsa_exception_fp_ieee_inexact 0
		.amdhsa_exception_int_div_zero 0
	.end_amdhsa_kernel
	.section	.text._ZN7rocprim17ROCPRIM_400000_NS6detail17trampoline_kernelINS0_13select_configILj256ELj13ELNS0_17block_load_methodE3ELS4_3ELS4_3ELNS0_20block_scan_algorithmE0ELj4294967295EEENS1_25partition_config_selectorILNS1_17partition_subalgoE3EjNS0_10empty_typeEbEEZZNS1_14partition_implILS8_3ELb0ES6_jNS0_17counting_iteratorIjlEEPS9_SE_NS0_5tupleIJPjSE_EEENSF_IJSE_SE_EEES9_SG_JZNS1_25segmented_radix_sort_implINS0_14default_configELb0EPKlPlSM_SN_N2at6native12_GLOBAL__N_18offset_tEEE10hipError_tPvRmT1_PNSt15iterator_traitsISV_E10value_typeET2_T3_PNSW_IS11_E10value_typeET4_jRbjT5_S17_jjP12ihipStream_tbEUljE_EEESS_ST_SU_S11_S15_S17_T6_T7_T9_mT8_S19_bDpT10_ENKUlT_T0_E_clISt17integral_constantIbLb0EES1M_EEDaS1H_S1I_EUlS1H_E_NS1_11comp_targetILNS1_3genE5ELNS1_11target_archE942ELNS1_3gpuE9ELNS1_3repE0EEENS1_30default_config_static_selectorELNS0_4arch9wavefront6targetE0EEEvSV_,"axG",@progbits,_ZN7rocprim17ROCPRIM_400000_NS6detail17trampoline_kernelINS0_13select_configILj256ELj13ELNS0_17block_load_methodE3ELS4_3ELS4_3ELNS0_20block_scan_algorithmE0ELj4294967295EEENS1_25partition_config_selectorILNS1_17partition_subalgoE3EjNS0_10empty_typeEbEEZZNS1_14partition_implILS8_3ELb0ES6_jNS0_17counting_iteratorIjlEEPS9_SE_NS0_5tupleIJPjSE_EEENSF_IJSE_SE_EEES9_SG_JZNS1_25segmented_radix_sort_implINS0_14default_configELb0EPKlPlSM_SN_N2at6native12_GLOBAL__N_18offset_tEEE10hipError_tPvRmT1_PNSt15iterator_traitsISV_E10value_typeET2_T3_PNSW_IS11_E10value_typeET4_jRbjT5_S17_jjP12ihipStream_tbEUljE_EEESS_ST_SU_S11_S15_S17_T6_T7_T9_mT8_S19_bDpT10_ENKUlT_T0_E_clISt17integral_constantIbLb0EES1M_EEDaS1H_S1I_EUlS1H_E_NS1_11comp_targetILNS1_3genE5ELNS1_11target_archE942ELNS1_3gpuE9ELNS1_3repE0EEENS1_30default_config_static_selectorELNS0_4arch9wavefront6targetE0EEEvSV_,comdat
.Lfunc_end772:
	.size	_ZN7rocprim17ROCPRIM_400000_NS6detail17trampoline_kernelINS0_13select_configILj256ELj13ELNS0_17block_load_methodE3ELS4_3ELS4_3ELNS0_20block_scan_algorithmE0ELj4294967295EEENS1_25partition_config_selectorILNS1_17partition_subalgoE3EjNS0_10empty_typeEbEEZZNS1_14partition_implILS8_3ELb0ES6_jNS0_17counting_iteratorIjlEEPS9_SE_NS0_5tupleIJPjSE_EEENSF_IJSE_SE_EEES9_SG_JZNS1_25segmented_radix_sort_implINS0_14default_configELb0EPKlPlSM_SN_N2at6native12_GLOBAL__N_18offset_tEEE10hipError_tPvRmT1_PNSt15iterator_traitsISV_E10value_typeET2_T3_PNSW_IS11_E10value_typeET4_jRbjT5_S17_jjP12ihipStream_tbEUljE_EEESS_ST_SU_S11_S15_S17_T6_T7_T9_mT8_S19_bDpT10_ENKUlT_T0_E_clISt17integral_constantIbLb0EES1M_EEDaS1H_S1I_EUlS1H_E_NS1_11comp_targetILNS1_3genE5ELNS1_11target_archE942ELNS1_3gpuE9ELNS1_3repE0EEENS1_30default_config_static_selectorELNS0_4arch9wavefront6targetE0EEEvSV_, .Lfunc_end772-_ZN7rocprim17ROCPRIM_400000_NS6detail17trampoline_kernelINS0_13select_configILj256ELj13ELNS0_17block_load_methodE3ELS4_3ELS4_3ELNS0_20block_scan_algorithmE0ELj4294967295EEENS1_25partition_config_selectorILNS1_17partition_subalgoE3EjNS0_10empty_typeEbEEZZNS1_14partition_implILS8_3ELb0ES6_jNS0_17counting_iteratorIjlEEPS9_SE_NS0_5tupleIJPjSE_EEENSF_IJSE_SE_EEES9_SG_JZNS1_25segmented_radix_sort_implINS0_14default_configELb0EPKlPlSM_SN_N2at6native12_GLOBAL__N_18offset_tEEE10hipError_tPvRmT1_PNSt15iterator_traitsISV_E10value_typeET2_T3_PNSW_IS11_E10value_typeET4_jRbjT5_S17_jjP12ihipStream_tbEUljE_EEESS_ST_SU_S11_S15_S17_T6_T7_T9_mT8_S19_bDpT10_ENKUlT_T0_E_clISt17integral_constantIbLb0EES1M_EEDaS1H_S1I_EUlS1H_E_NS1_11comp_targetILNS1_3genE5ELNS1_11target_archE942ELNS1_3gpuE9ELNS1_3repE0EEENS1_30default_config_static_selectorELNS0_4arch9wavefront6targetE0EEEvSV_
                                        ; -- End function
	.set _ZN7rocprim17ROCPRIM_400000_NS6detail17trampoline_kernelINS0_13select_configILj256ELj13ELNS0_17block_load_methodE3ELS4_3ELS4_3ELNS0_20block_scan_algorithmE0ELj4294967295EEENS1_25partition_config_selectorILNS1_17partition_subalgoE3EjNS0_10empty_typeEbEEZZNS1_14partition_implILS8_3ELb0ES6_jNS0_17counting_iteratorIjlEEPS9_SE_NS0_5tupleIJPjSE_EEENSF_IJSE_SE_EEES9_SG_JZNS1_25segmented_radix_sort_implINS0_14default_configELb0EPKlPlSM_SN_N2at6native12_GLOBAL__N_18offset_tEEE10hipError_tPvRmT1_PNSt15iterator_traitsISV_E10value_typeET2_T3_PNSW_IS11_E10value_typeET4_jRbjT5_S17_jjP12ihipStream_tbEUljE_EEESS_ST_SU_S11_S15_S17_T6_T7_T9_mT8_S19_bDpT10_ENKUlT_T0_E_clISt17integral_constantIbLb0EES1M_EEDaS1H_S1I_EUlS1H_E_NS1_11comp_targetILNS1_3genE5ELNS1_11target_archE942ELNS1_3gpuE9ELNS1_3repE0EEENS1_30default_config_static_selectorELNS0_4arch9wavefront6targetE0EEEvSV_.num_vgpr, 0
	.set _ZN7rocprim17ROCPRIM_400000_NS6detail17trampoline_kernelINS0_13select_configILj256ELj13ELNS0_17block_load_methodE3ELS4_3ELS4_3ELNS0_20block_scan_algorithmE0ELj4294967295EEENS1_25partition_config_selectorILNS1_17partition_subalgoE3EjNS0_10empty_typeEbEEZZNS1_14partition_implILS8_3ELb0ES6_jNS0_17counting_iteratorIjlEEPS9_SE_NS0_5tupleIJPjSE_EEENSF_IJSE_SE_EEES9_SG_JZNS1_25segmented_radix_sort_implINS0_14default_configELb0EPKlPlSM_SN_N2at6native12_GLOBAL__N_18offset_tEEE10hipError_tPvRmT1_PNSt15iterator_traitsISV_E10value_typeET2_T3_PNSW_IS11_E10value_typeET4_jRbjT5_S17_jjP12ihipStream_tbEUljE_EEESS_ST_SU_S11_S15_S17_T6_T7_T9_mT8_S19_bDpT10_ENKUlT_T0_E_clISt17integral_constantIbLb0EES1M_EEDaS1H_S1I_EUlS1H_E_NS1_11comp_targetILNS1_3genE5ELNS1_11target_archE942ELNS1_3gpuE9ELNS1_3repE0EEENS1_30default_config_static_selectorELNS0_4arch9wavefront6targetE0EEEvSV_.num_agpr, 0
	.set _ZN7rocprim17ROCPRIM_400000_NS6detail17trampoline_kernelINS0_13select_configILj256ELj13ELNS0_17block_load_methodE3ELS4_3ELS4_3ELNS0_20block_scan_algorithmE0ELj4294967295EEENS1_25partition_config_selectorILNS1_17partition_subalgoE3EjNS0_10empty_typeEbEEZZNS1_14partition_implILS8_3ELb0ES6_jNS0_17counting_iteratorIjlEEPS9_SE_NS0_5tupleIJPjSE_EEENSF_IJSE_SE_EEES9_SG_JZNS1_25segmented_radix_sort_implINS0_14default_configELb0EPKlPlSM_SN_N2at6native12_GLOBAL__N_18offset_tEEE10hipError_tPvRmT1_PNSt15iterator_traitsISV_E10value_typeET2_T3_PNSW_IS11_E10value_typeET4_jRbjT5_S17_jjP12ihipStream_tbEUljE_EEESS_ST_SU_S11_S15_S17_T6_T7_T9_mT8_S19_bDpT10_ENKUlT_T0_E_clISt17integral_constantIbLb0EES1M_EEDaS1H_S1I_EUlS1H_E_NS1_11comp_targetILNS1_3genE5ELNS1_11target_archE942ELNS1_3gpuE9ELNS1_3repE0EEENS1_30default_config_static_selectorELNS0_4arch9wavefront6targetE0EEEvSV_.numbered_sgpr, 0
	.set _ZN7rocprim17ROCPRIM_400000_NS6detail17trampoline_kernelINS0_13select_configILj256ELj13ELNS0_17block_load_methodE3ELS4_3ELS4_3ELNS0_20block_scan_algorithmE0ELj4294967295EEENS1_25partition_config_selectorILNS1_17partition_subalgoE3EjNS0_10empty_typeEbEEZZNS1_14partition_implILS8_3ELb0ES6_jNS0_17counting_iteratorIjlEEPS9_SE_NS0_5tupleIJPjSE_EEENSF_IJSE_SE_EEES9_SG_JZNS1_25segmented_radix_sort_implINS0_14default_configELb0EPKlPlSM_SN_N2at6native12_GLOBAL__N_18offset_tEEE10hipError_tPvRmT1_PNSt15iterator_traitsISV_E10value_typeET2_T3_PNSW_IS11_E10value_typeET4_jRbjT5_S17_jjP12ihipStream_tbEUljE_EEESS_ST_SU_S11_S15_S17_T6_T7_T9_mT8_S19_bDpT10_ENKUlT_T0_E_clISt17integral_constantIbLb0EES1M_EEDaS1H_S1I_EUlS1H_E_NS1_11comp_targetILNS1_3genE5ELNS1_11target_archE942ELNS1_3gpuE9ELNS1_3repE0EEENS1_30default_config_static_selectorELNS0_4arch9wavefront6targetE0EEEvSV_.num_named_barrier, 0
	.set _ZN7rocprim17ROCPRIM_400000_NS6detail17trampoline_kernelINS0_13select_configILj256ELj13ELNS0_17block_load_methodE3ELS4_3ELS4_3ELNS0_20block_scan_algorithmE0ELj4294967295EEENS1_25partition_config_selectorILNS1_17partition_subalgoE3EjNS0_10empty_typeEbEEZZNS1_14partition_implILS8_3ELb0ES6_jNS0_17counting_iteratorIjlEEPS9_SE_NS0_5tupleIJPjSE_EEENSF_IJSE_SE_EEES9_SG_JZNS1_25segmented_radix_sort_implINS0_14default_configELb0EPKlPlSM_SN_N2at6native12_GLOBAL__N_18offset_tEEE10hipError_tPvRmT1_PNSt15iterator_traitsISV_E10value_typeET2_T3_PNSW_IS11_E10value_typeET4_jRbjT5_S17_jjP12ihipStream_tbEUljE_EEESS_ST_SU_S11_S15_S17_T6_T7_T9_mT8_S19_bDpT10_ENKUlT_T0_E_clISt17integral_constantIbLb0EES1M_EEDaS1H_S1I_EUlS1H_E_NS1_11comp_targetILNS1_3genE5ELNS1_11target_archE942ELNS1_3gpuE9ELNS1_3repE0EEENS1_30default_config_static_selectorELNS0_4arch9wavefront6targetE0EEEvSV_.private_seg_size, 0
	.set _ZN7rocprim17ROCPRIM_400000_NS6detail17trampoline_kernelINS0_13select_configILj256ELj13ELNS0_17block_load_methodE3ELS4_3ELS4_3ELNS0_20block_scan_algorithmE0ELj4294967295EEENS1_25partition_config_selectorILNS1_17partition_subalgoE3EjNS0_10empty_typeEbEEZZNS1_14partition_implILS8_3ELb0ES6_jNS0_17counting_iteratorIjlEEPS9_SE_NS0_5tupleIJPjSE_EEENSF_IJSE_SE_EEES9_SG_JZNS1_25segmented_radix_sort_implINS0_14default_configELb0EPKlPlSM_SN_N2at6native12_GLOBAL__N_18offset_tEEE10hipError_tPvRmT1_PNSt15iterator_traitsISV_E10value_typeET2_T3_PNSW_IS11_E10value_typeET4_jRbjT5_S17_jjP12ihipStream_tbEUljE_EEESS_ST_SU_S11_S15_S17_T6_T7_T9_mT8_S19_bDpT10_ENKUlT_T0_E_clISt17integral_constantIbLb0EES1M_EEDaS1H_S1I_EUlS1H_E_NS1_11comp_targetILNS1_3genE5ELNS1_11target_archE942ELNS1_3gpuE9ELNS1_3repE0EEENS1_30default_config_static_selectorELNS0_4arch9wavefront6targetE0EEEvSV_.uses_vcc, 0
	.set _ZN7rocprim17ROCPRIM_400000_NS6detail17trampoline_kernelINS0_13select_configILj256ELj13ELNS0_17block_load_methodE3ELS4_3ELS4_3ELNS0_20block_scan_algorithmE0ELj4294967295EEENS1_25partition_config_selectorILNS1_17partition_subalgoE3EjNS0_10empty_typeEbEEZZNS1_14partition_implILS8_3ELb0ES6_jNS0_17counting_iteratorIjlEEPS9_SE_NS0_5tupleIJPjSE_EEENSF_IJSE_SE_EEES9_SG_JZNS1_25segmented_radix_sort_implINS0_14default_configELb0EPKlPlSM_SN_N2at6native12_GLOBAL__N_18offset_tEEE10hipError_tPvRmT1_PNSt15iterator_traitsISV_E10value_typeET2_T3_PNSW_IS11_E10value_typeET4_jRbjT5_S17_jjP12ihipStream_tbEUljE_EEESS_ST_SU_S11_S15_S17_T6_T7_T9_mT8_S19_bDpT10_ENKUlT_T0_E_clISt17integral_constantIbLb0EES1M_EEDaS1H_S1I_EUlS1H_E_NS1_11comp_targetILNS1_3genE5ELNS1_11target_archE942ELNS1_3gpuE9ELNS1_3repE0EEENS1_30default_config_static_selectorELNS0_4arch9wavefront6targetE0EEEvSV_.uses_flat_scratch, 0
	.set _ZN7rocprim17ROCPRIM_400000_NS6detail17trampoline_kernelINS0_13select_configILj256ELj13ELNS0_17block_load_methodE3ELS4_3ELS4_3ELNS0_20block_scan_algorithmE0ELj4294967295EEENS1_25partition_config_selectorILNS1_17partition_subalgoE3EjNS0_10empty_typeEbEEZZNS1_14partition_implILS8_3ELb0ES6_jNS0_17counting_iteratorIjlEEPS9_SE_NS0_5tupleIJPjSE_EEENSF_IJSE_SE_EEES9_SG_JZNS1_25segmented_radix_sort_implINS0_14default_configELb0EPKlPlSM_SN_N2at6native12_GLOBAL__N_18offset_tEEE10hipError_tPvRmT1_PNSt15iterator_traitsISV_E10value_typeET2_T3_PNSW_IS11_E10value_typeET4_jRbjT5_S17_jjP12ihipStream_tbEUljE_EEESS_ST_SU_S11_S15_S17_T6_T7_T9_mT8_S19_bDpT10_ENKUlT_T0_E_clISt17integral_constantIbLb0EES1M_EEDaS1H_S1I_EUlS1H_E_NS1_11comp_targetILNS1_3genE5ELNS1_11target_archE942ELNS1_3gpuE9ELNS1_3repE0EEENS1_30default_config_static_selectorELNS0_4arch9wavefront6targetE0EEEvSV_.has_dyn_sized_stack, 0
	.set _ZN7rocprim17ROCPRIM_400000_NS6detail17trampoline_kernelINS0_13select_configILj256ELj13ELNS0_17block_load_methodE3ELS4_3ELS4_3ELNS0_20block_scan_algorithmE0ELj4294967295EEENS1_25partition_config_selectorILNS1_17partition_subalgoE3EjNS0_10empty_typeEbEEZZNS1_14partition_implILS8_3ELb0ES6_jNS0_17counting_iteratorIjlEEPS9_SE_NS0_5tupleIJPjSE_EEENSF_IJSE_SE_EEES9_SG_JZNS1_25segmented_radix_sort_implINS0_14default_configELb0EPKlPlSM_SN_N2at6native12_GLOBAL__N_18offset_tEEE10hipError_tPvRmT1_PNSt15iterator_traitsISV_E10value_typeET2_T3_PNSW_IS11_E10value_typeET4_jRbjT5_S17_jjP12ihipStream_tbEUljE_EEESS_ST_SU_S11_S15_S17_T6_T7_T9_mT8_S19_bDpT10_ENKUlT_T0_E_clISt17integral_constantIbLb0EES1M_EEDaS1H_S1I_EUlS1H_E_NS1_11comp_targetILNS1_3genE5ELNS1_11target_archE942ELNS1_3gpuE9ELNS1_3repE0EEENS1_30default_config_static_selectorELNS0_4arch9wavefront6targetE0EEEvSV_.has_recursion, 0
	.set _ZN7rocprim17ROCPRIM_400000_NS6detail17trampoline_kernelINS0_13select_configILj256ELj13ELNS0_17block_load_methodE3ELS4_3ELS4_3ELNS0_20block_scan_algorithmE0ELj4294967295EEENS1_25partition_config_selectorILNS1_17partition_subalgoE3EjNS0_10empty_typeEbEEZZNS1_14partition_implILS8_3ELb0ES6_jNS0_17counting_iteratorIjlEEPS9_SE_NS0_5tupleIJPjSE_EEENSF_IJSE_SE_EEES9_SG_JZNS1_25segmented_radix_sort_implINS0_14default_configELb0EPKlPlSM_SN_N2at6native12_GLOBAL__N_18offset_tEEE10hipError_tPvRmT1_PNSt15iterator_traitsISV_E10value_typeET2_T3_PNSW_IS11_E10value_typeET4_jRbjT5_S17_jjP12ihipStream_tbEUljE_EEESS_ST_SU_S11_S15_S17_T6_T7_T9_mT8_S19_bDpT10_ENKUlT_T0_E_clISt17integral_constantIbLb0EES1M_EEDaS1H_S1I_EUlS1H_E_NS1_11comp_targetILNS1_3genE5ELNS1_11target_archE942ELNS1_3gpuE9ELNS1_3repE0EEENS1_30default_config_static_selectorELNS0_4arch9wavefront6targetE0EEEvSV_.has_indirect_call, 0
	.section	.AMDGPU.csdata,"",@progbits
; Kernel info:
; codeLenInByte = 0
; TotalNumSgprs: 0
; NumVgprs: 0
; ScratchSize: 0
; MemoryBound: 0
; FloatMode: 240
; IeeeMode: 1
; LDSByteSize: 0 bytes/workgroup (compile time only)
; SGPRBlocks: 0
; VGPRBlocks: 0
; NumSGPRsForWavesPerEU: 1
; NumVGPRsForWavesPerEU: 1
; NamedBarCnt: 0
; Occupancy: 16
; WaveLimiterHint : 0
; COMPUTE_PGM_RSRC2:SCRATCH_EN: 0
; COMPUTE_PGM_RSRC2:USER_SGPR: 2
; COMPUTE_PGM_RSRC2:TRAP_HANDLER: 0
; COMPUTE_PGM_RSRC2:TGID_X_EN: 1
; COMPUTE_PGM_RSRC2:TGID_Y_EN: 0
; COMPUTE_PGM_RSRC2:TGID_Z_EN: 0
; COMPUTE_PGM_RSRC2:TIDIG_COMP_CNT: 0
	.section	.text._ZN7rocprim17ROCPRIM_400000_NS6detail17trampoline_kernelINS0_13select_configILj256ELj13ELNS0_17block_load_methodE3ELS4_3ELS4_3ELNS0_20block_scan_algorithmE0ELj4294967295EEENS1_25partition_config_selectorILNS1_17partition_subalgoE3EjNS0_10empty_typeEbEEZZNS1_14partition_implILS8_3ELb0ES6_jNS0_17counting_iteratorIjlEEPS9_SE_NS0_5tupleIJPjSE_EEENSF_IJSE_SE_EEES9_SG_JZNS1_25segmented_radix_sort_implINS0_14default_configELb0EPKlPlSM_SN_N2at6native12_GLOBAL__N_18offset_tEEE10hipError_tPvRmT1_PNSt15iterator_traitsISV_E10value_typeET2_T3_PNSW_IS11_E10value_typeET4_jRbjT5_S17_jjP12ihipStream_tbEUljE_EEESS_ST_SU_S11_S15_S17_T6_T7_T9_mT8_S19_bDpT10_ENKUlT_T0_E_clISt17integral_constantIbLb0EES1M_EEDaS1H_S1I_EUlS1H_E_NS1_11comp_targetILNS1_3genE4ELNS1_11target_archE910ELNS1_3gpuE8ELNS1_3repE0EEENS1_30default_config_static_selectorELNS0_4arch9wavefront6targetE0EEEvSV_,"axG",@progbits,_ZN7rocprim17ROCPRIM_400000_NS6detail17trampoline_kernelINS0_13select_configILj256ELj13ELNS0_17block_load_methodE3ELS4_3ELS4_3ELNS0_20block_scan_algorithmE0ELj4294967295EEENS1_25partition_config_selectorILNS1_17partition_subalgoE3EjNS0_10empty_typeEbEEZZNS1_14partition_implILS8_3ELb0ES6_jNS0_17counting_iteratorIjlEEPS9_SE_NS0_5tupleIJPjSE_EEENSF_IJSE_SE_EEES9_SG_JZNS1_25segmented_radix_sort_implINS0_14default_configELb0EPKlPlSM_SN_N2at6native12_GLOBAL__N_18offset_tEEE10hipError_tPvRmT1_PNSt15iterator_traitsISV_E10value_typeET2_T3_PNSW_IS11_E10value_typeET4_jRbjT5_S17_jjP12ihipStream_tbEUljE_EEESS_ST_SU_S11_S15_S17_T6_T7_T9_mT8_S19_bDpT10_ENKUlT_T0_E_clISt17integral_constantIbLb0EES1M_EEDaS1H_S1I_EUlS1H_E_NS1_11comp_targetILNS1_3genE4ELNS1_11target_archE910ELNS1_3gpuE8ELNS1_3repE0EEENS1_30default_config_static_selectorELNS0_4arch9wavefront6targetE0EEEvSV_,comdat
	.globl	_ZN7rocprim17ROCPRIM_400000_NS6detail17trampoline_kernelINS0_13select_configILj256ELj13ELNS0_17block_load_methodE3ELS4_3ELS4_3ELNS0_20block_scan_algorithmE0ELj4294967295EEENS1_25partition_config_selectorILNS1_17partition_subalgoE3EjNS0_10empty_typeEbEEZZNS1_14partition_implILS8_3ELb0ES6_jNS0_17counting_iteratorIjlEEPS9_SE_NS0_5tupleIJPjSE_EEENSF_IJSE_SE_EEES9_SG_JZNS1_25segmented_radix_sort_implINS0_14default_configELb0EPKlPlSM_SN_N2at6native12_GLOBAL__N_18offset_tEEE10hipError_tPvRmT1_PNSt15iterator_traitsISV_E10value_typeET2_T3_PNSW_IS11_E10value_typeET4_jRbjT5_S17_jjP12ihipStream_tbEUljE_EEESS_ST_SU_S11_S15_S17_T6_T7_T9_mT8_S19_bDpT10_ENKUlT_T0_E_clISt17integral_constantIbLb0EES1M_EEDaS1H_S1I_EUlS1H_E_NS1_11comp_targetILNS1_3genE4ELNS1_11target_archE910ELNS1_3gpuE8ELNS1_3repE0EEENS1_30default_config_static_selectorELNS0_4arch9wavefront6targetE0EEEvSV_ ; -- Begin function _ZN7rocprim17ROCPRIM_400000_NS6detail17trampoline_kernelINS0_13select_configILj256ELj13ELNS0_17block_load_methodE3ELS4_3ELS4_3ELNS0_20block_scan_algorithmE0ELj4294967295EEENS1_25partition_config_selectorILNS1_17partition_subalgoE3EjNS0_10empty_typeEbEEZZNS1_14partition_implILS8_3ELb0ES6_jNS0_17counting_iteratorIjlEEPS9_SE_NS0_5tupleIJPjSE_EEENSF_IJSE_SE_EEES9_SG_JZNS1_25segmented_radix_sort_implINS0_14default_configELb0EPKlPlSM_SN_N2at6native12_GLOBAL__N_18offset_tEEE10hipError_tPvRmT1_PNSt15iterator_traitsISV_E10value_typeET2_T3_PNSW_IS11_E10value_typeET4_jRbjT5_S17_jjP12ihipStream_tbEUljE_EEESS_ST_SU_S11_S15_S17_T6_T7_T9_mT8_S19_bDpT10_ENKUlT_T0_E_clISt17integral_constantIbLb0EES1M_EEDaS1H_S1I_EUlS1H_E_NS1_11comp_targetILNS1_3genE4ELNS1_11target_archE910ELNS1_3gpuE8ELNS1_3repE0EEENS1_30default_config_static_selectorELNS0_4arch9wavefront6targetE0EEEvSV_
	.p2align	8
	.type	_ZN7rocprim17ROCPRIM_400000_NS6detail17trampoline_kernelINS0_13select_configILj256ELj13ELNS0_17block_load_methodE3ELS4_3ELS4_3ELNS0_20block_scan_algorithmE0ELj4294967295EEENS1_25partition_config_selectorILNS1_17partition_subalgoE3EjNS0_10empty_typeEbEEZZNS1_14partition_implILS8_3ELb0ES6_jNS0_17counting_iteratorIjlEEPS9_SE_NS0_5tupleIJPjSE_EEENSF_IJSE_SE_EEES9_SG_JZNS1_25segmented_radix_sort_implINS0_14default_configELb0EPKlPlSM_SN_N2at6native12_GLOBAL__N_18offset_tEEE10hipError_tPvRmT1_PNSt15iterator_traitsISV_E10value_typeET2_T3_PNSW_IS11_E10value_typeET4_jRbjT5_S17_jjP12ihipStream_tbEUljE_EEESS_ST_SU_S11_S15_S17_T6_T7_T9_mT8_S19_bDpT10_ENKUlT_T0_E_clISt17integral_constantIbLb0EES1M_EEDaS1H_S1I_EUlS1H_E_NS1_11comp_targetILNS1_3genE4ELNS1_11target_archE910ELNS1_3gpuE8ELNS1_3repE0EEENS1_30default_config_static_selectorELNS0_4arch9wavefront6targetE0EEEvSV_,@function
_ZN7rocprim17ROCPRIM_400000_NS6detail17trampoline_kernelINS0_13select_configILj256ELj13ELNS0_17block_load_methodE3ELS4_3ELS4_3ELNS0_20block_scan_algorithmE0ELj4294967295EEENS1_25partition_config_selectorILNS1_17partition_subalgoE3EjNS0_10empty_typeEbEEZZNS1_14partition_implILS8_3ELb0ES6_jNS0_17counting_iteratorIjlEEPS9_SE_NS0_5tupleIJPjSE_EEENSF_IJSE_SE_EEES9_SG_JZNS1_25segmented_radix_sort_implINS0_14default_configELb0EPKlPlSM_SN_N2at6native12_GLOBAL__N_18offset_tEEE10hipError_tPvRmT1_PNSt15iterator_traitsISV_E10value_typeET2_T3_PNSW_IS11_E10value_typeET4_jRbjT5_S17_jjP12ihipStream_tbEUljE_EEESS_ST_SU_S11_S15_S17_T6_T7_T9_mT8_S19_bDpT10_ENKUlT_T0_E_clISt17integral_constantIbLb0EES1M_EEDaS1H_S1I_EUlS1H_E_NS1_11comp_targetILNS1_3genE4ELNS1_11target_archE910ELNS1_3gpuE8ELNS1_3repE0EEENS1_30default_config_static_selectorELNS0_4arch9wavefront6targetE0EEEvSV_: ; @_ZN7rocprim17ROCPRIM_400000_NS6detail17trampoline_kernelINS0_13select_configILj256ELj13ELNS0_17block_load_methodE3ELS4_3ELS4_3ELNS0_20block_scan_algorithmE0ELj4294967295EEENS1_25partition_config_selectorILNS1_17partition_subalgoE3EjNS0_10empty_typeEbEEZZNS1_14partition_implILS8_3ELb0ES6_jNS0_17counting_iteratorIjlEEPS9_SE_NS0_5tupleIJPjSE_EEENSF_IJSE_SE_EEES9_SG_JZNS1_25segmented_radix_sort_implINS0_14default_configELb0EPKlPlSM_SN_N2at6native12_GLOBAL__N_18offset_tEEE10hipError_tPvRmT1_PNSt15iterator_traitsISV_E10value_typeET2_T3_PNSW_IS11_E10value_typeET4_jRbjT5_S17_jjP12ihipStream_tbEUljE_EEESS_ST_SU_S11_S15_S17_T6_T7_T9_mT8_S19_bDpT10_ENKUlT_T0_E_clISt17integral_constantIbLb0EES1M_EEDaS1H_S1I_EUlS1H_E_NS1_11comp_targetILNS1_3genE4ELNS1_11target_archE910ELNS1_3gpuE8ELNS1_3repE0EEENS1_30default_config_static_selectorELNS0_4arch9wavefront6targetE0EEEvSV_
; %bb.0:
	.section	.rodata,"a",@progbits
	.p2align	6, 0x0
	.amdhsa_kernel _ZN7rocprim17ROCPRIM_400000_NS6detail17trampoline_kernelINS0_13select_configILj256ELj13ELNS0_17block_load_methodE3ELS4_3ELS4_3ELNS0_20block_scan_algorithmE0ELj4294967295EEENS1_25partition_config_selectorILNS1_17partition_subalgoE3EjNS0_10empty_typeEbEEZZNS1_14partition_implILS8_3ELb0ES6_jNS0_17counting_iteratorIjlEEPS9_SE_NS0_5tupleIJPjSE_EEENSF_IJSE_SE_EEES9_SG_JZNS1_25segmented_radix_sort_implINS0_14default_configELb0EPKlPlSM_SN_N2at6native12_GLOBAL__N_18offset_tEEE10hipError_tPvRmT1_PNSt15iterator_traitsISV_E10value_typeET2_T3_PNSW_IS11_E10value_typeET4_jRbjT5_S17_jjP12ihipStream_tbEUljE_EEESS_ST_SU_S11_S15_S17_T6_T7_T9_mT8_S19_bDpT10_ENKUlT_T0_E_clISt17integral_constantIbLb0EES1M_EEDaS1H_S1I_EUlS1H_E_NS1_11comp_targetILNS1_3genE4ELNS1_11target_archE910ELNS1_3gpuE8ELNS1_3repE0EEENS1_30default_config_static_selectorELNS0_4arch9wavefront6targetE0EEEvSV_
		.amdhsa_group_segment_fixed_size 0
		.amdhsa_private_segment_fixed_size 0
		.amdhsa_kernarg_size 144
		.amdhsa_user_sgpr_count 2
		.amdhsa_user_sgpr_dispatch_ptr 0
		.amdhsa_user_sgpr_queue_ptr 0
		.amdhsa_user_sgpr_kernarg_segment_ptr 1
		.amdhsa_user_sgpr_dispatch_id 0
		.amdhsa_user_sgpr_kernarg_preload_length 0
		.amdhsa_user_sgpr_kernarg_preload_offset 0
		.amdhsa_user_sgpr_private_segment_size 0
		.amdhsa_wavefront_size32 1
		.amdhsa_uses_dynamic_stack 0
		.amdhsa_enable_private_segment 0
		.amdhsa_system_sgpr_workgroup_id_x 1
		.amdhsa_system_sgpr_workgroup_id_y 0
		.amdhsa_system_sgpr_workgroup_id_z 0
		.amdhsa_system_sgpr_workgroup_info 0
		.amdhsa_system_vgpr_workitem_id 0
		.amdhsa_next_free_vgpr 1
		.amdhsa_next_free_sgpr 1
		.amdhsa_named_barrier_count 0
		.amdhsa_reserve_vcc 0
		.amdhsa_float_round_mode_32 0
		.amdhsa_float_round_mode_16_64 0
		.amdhsa_float_denorm_mode_32 3
		.amdhsa_float_denorm_mode_16_64 3
		.amdhsa_fp16_overflow 0
		.amdhsa_memory_ordered 1
		.amdhsa_forward_progress 1
		.amdhsa_inst_pref_size 0
		.amdhsa_round_robin_scheduling 0
		.amdhsa_exception_fp_ieee_invalid_op 0
		.amdhsa_exception_fp_denorm_src 0
		.amdhsa_exception_fp_ieee_div_zero 0
		.amdhsa_exception_fp_ieee_overflow 0
		.amdhsa_exception_fp_ieee_underflow 0
		.amdhsa_exception_fp_ieee_inexact 0
		.amdhsa_exception_int_div_zero 0
	.end_amdhsa_kernel
	.section	.text._ZN7rocprim17ROCPRIM_400000_NS6detail17trampoline_kernelINS0_13select_configILj256ELj13ELNS0_17block_load_methodE3ELS4_3ELS4_3ELNS0_20block_scan_algorithmE0ELj4294967295EEENS1_25partition_config_selectorILNS1_17partition_subalgoE3EjNS0_10empty_typeEbEEZZNS1_14partition_implILS8_3ELb0ES6_jNS0_17counting_iteratorIjlEEPS9_SE_NS0_5tupleIJPjSE_EEENSF_IJSE_SE_EEES9_SG_JZNS1_25segmented_radix_sort_implINS0_14default_configELb0EPKlPlSM_SN_N2at6native12_GLOBAL__N_18offset_tEEE10hipError_tPvRmT1_PNSt15iterator_traitsISV_E10value_typeET2_T3_PNSW_IS11_E10value_typeET4_jRbjT5_S17_jjP12ihipStream_tbEUljE_EEESS_ST_SU_S11_S15_S17_T6_T7_T9_mT8_S19_bDpT10_ENKUlT_T0_E_clISt17integral_constantIbLb0EES1M_EEDaS1H_S1I_EUlS1H_E_NS1_11comp_targetILNS1_3genE4ELNS1_11target_archE910ELNS1_3gpuE8ELNS1_3repE0EEENS1_30default_config_static_selectorELNS0_4arch9wavefront6targetE0EEEvSV_,"axG",@progbits,_ZN7rocprim17ROCPRIM_400000_NS6detail17trampoline_kernelINS0_13select_configILj256ELj13ELNS0_17block_load_methodE3ELS4_3ELS4_3ELNS0_20block_scan_algorithmE0ELj4294967295EEENS1_25partition_config_selectorILNS1_17partition_subalgoE3EjNS0_10empty_typeEbEEZZNS1_14partition_implILS8_3ELb0ES6_jNS0_17counting_iteratorIjlEEPS9_SE_NS0_5tupleIJPjSE_EEENSF_IJSE_SE_EEES9_SG_JZNS1_25segmented_radix_sort_implINS0_14default_configELb0EPKlPlSM_SN_N2at6native12_GLOBAL__N_18offset_tEEE10hipError_tPvRmT1_PNSt15iterator_traitsISV_E10value_typeET2_T3_PNSW_IS11_E10value_typeET4_jRbjT5_S17_jjP12ihipStream_tbEUljE_EEESS_ST_SU_S11_S15_S17_T6_T7_T9_mT8_S19_bDpT10_ENKUlT_T0_E_clISt17integral_constantIbLb0EES1M_EEDaS1H_S1I_EUlS1H_E_NS1_11comp_targetILNS1_3genE4ELNS1_11target_archE910ELNS1_3gpuE8ELNS1_3repE0EEENS1_30default_config_static_selectorELNS0_4arch9wavefront6targetE0EEEvSV_,comdat
.Lfunc_end773:
	.size	_ZN7rocprim17ROCPRIM_400000_NS6detail17trampoline_kernelINS0_13select_configILj256ELj13ELNS0_17block_load_methodE3ELS4_3ELS4_3ELNS0_20block_scan_algorithmE0ELj4294967295EEENS1_25partition_config_selectorILNS1_17partition_subalgoE3EjNS0_10empty_typeEbEEZZNS1_14partition_implILS8_3ELb0ES6_jNS0_17counting_iteratorIjlEEPS9_SE_NS0_5tupleIJPjSE_EEENSF_IJSE_SE_EEES9_SG_JZNS1_25segmented_radix_sort_implINS0_14default_configELb0EPKlPlSM_SN_N2at6native12_GLOBAL__N_18offset_tEEE10hipError_tPvRmT1_PNSt15iterator_traitsISV_E10value_typeET2_T3_PNSW_IS11_E10value_typeET4_jRbjT5_S17_jjP12ihipStream_tbEUljE_EEESS_ST_SU_S11_S15_S17_T6_T7_T9_mT8_S19_bDpT10_ENKUlT_T0_E_clISt17integral_constantIbLb0EES1M_EEDaS1H_S1I_EUlS1H_E_NS1_11comp_targetILNS1_3genE4ELNS1_11target_archE910ELNS1_3gpuE8ELNS1_3repE0EEENS1_30default_config_static_selectorELNS0_4arch9wavefront6targetE0EEEvSV_, .Lfunc_end773-_ZN7rocprim17ROCPRIM_400000_NS6detail17trampoline_kernelINS0_13select_configILj256ELj13ELNS0_17block_load_methodE3ELS4_3ELS4_3ELNS0_20block_scan_algorithmE0ELj4294967295EEENS1_25partition_config_selectorILNS1_17partition_subalgoE3EjNS0_10empty_typeEbEEZZNS1_14partition_implILS8_3ELb0ES6_jNS0_17counting_iteratorIjlEEPS9_SE_NS0_5tupleIJPjSE_EEENSF_IJSE_SE_EEES9_SG_JZNS1_25segmented_radix_sort_implINS0_14default_configELb0EPKlPlSM_SN_N2at6native12_GLOBAL__N_18offset_tEEE10hipError_tPvRmT1_PNSt15iterator_traitsISV_E10value_typeET2_T3_PNSW_IS11_E10value_typeET4_jRbjT5_S17_jjP12ihipStream_tbEUljE_EEESS_ST_SU_S11_S15_S17_T6_T7_T9_mT8_S19_bDpT10_ENKUlT_T0_E_clISt17integral_constantIbLb0EES1M_EEDaS1H_S1I_EUlS1H_E_NS1_11comp_targetILNS1_3genE4ELNS1_11target_archE910ELNS1_3gpuE8ELNS1_3repE0EEENS1_30default_config_static_selectorELNS0_4arch9wavefront6targetE0EEEvSV_
                                        ; -- End function
	.set _ZN7rocprim17ROCPRIM_400000_NS6detail17trampoline_kernelINS0_13select_configILj256ELj13ELNS0_17block_load_methodE3ELS4_3ELS4_3ELNS0_20block_scan_algorithmE0ELj4294967295EEENS1_25partition_config_selectorILNS1_17partition_subalgoE3EjNS0_10empty_typeEbEEZZNS1_14partition_implILS8_3ELb0ES6_jNS0_17counting_iteratorIjlEEPS9_SE_NS0_5tupleIJPjSE_EEENSF_IJSE_SE_EEES9_SG_JZNS1_25segmented_radix_sort_implINS0_14default_configELb0EPKlPlSM_SN_N2at6native12_GLOBAL__N_18offset_tEEE10hipError_tPvRmT1_PNSt15iterator_traitsISV_E10value_typeET2_T3_PNSW_IS11_E10value_typeET4_jRbjT5_S17_jjP12ihipStream_tbEUljE_EEESS_ST_SU_S11_S15_S17_T6_T7_T9_mT8_S19_bDpT10_ENKUlT_T0_E_clISt17integral_constantIbLb0EES1M_EEDaS1H_S1I_EUlS1H_E_NS1_11comp_targetILNS1_3genE4ELNS1_11target_archE910ELNS1_3gpuE8ELNS1_3repE0EEENS1_30default_config_static_selectorELNS0_4arch9wavefront6targetE0EEEvSV_.num_vgpr, 0
	.set _ZN7rocprim17ROCPRIM_400000_NS6detail17trampoline_kernelINS0_13select_configILj256ELj13ELNS0_17block_load_methodE3ELS4_3ELS4_3ELNS0_20block_scan_algorithmE0ELj4294967295EEENS1_25partition_config_selectorILNS1_17partition_subalgoE3EjNS0_10empty_typeEbEEZZNS1_14partition_implILS8_3ELb0ES6_jNS0_17counting_iteratorIjlEEPS9_SE_NS0_5tupleIJPjSE_EEENSF_IJSE_SE_EEES9_SG_JZNS1_25segmented_radix_sort_implINS0_14default_configELb0EPKlPlSM_SN_N2at6native12_GLOBAL__N_18offset_tEEE10hipError_tPvRmT1_PNSt15iterator_traitsISV_E10value_typeET2_T3_PNSW_IS11_E10value_typeET4_jRbjT5_S17_jjP12ihipStream_tbEUljE_EEESS_ST_SU_S11_S15_S17_T6_T7_T9_mT8_S19_bDpT10_ENKUlT_T0_E_clISt17integral_constantIbLb0EES1M_EEDaS1H_S1I_EUlS1H_E_NS1_11comp_targetILNS1_3genE4ELNS1_11target_archE910ELNS1_3gpuE8ELNS1_3repE0EEENS1_30default_config_static_selectorELNS0_4arch9wavefront6targetE0EEEvSV_.num_agpr, 0
	.set _ZN7rocprim17ROCPRIM_400000_NS6detail17trampoline_kernelINS0_13select_configILj256ELj13ELNS0_17block_load_methodE3ELS4_3ELS4_3ELNS0_20block_scan_algorithmE0ELj4294967295EEENS1_25partition_config_selectorILNS1_17partition_subalgoE3EjNS0_10empty_typeEbEEZZNS1_14partition_implILS8_3ELb0ES6_jNS0_17counting_iteratorIjlEEPS9_SE_NS0_5tupleIJPjSE_EEENSF_IJSE_SE_EEES9_SG_JZNS1_25segmented_radix_sort_implINS0_14default_configELb0EPKlPlSM_SN_N2at6native12_GLOBAL__N_18offset_tEEE10hipError_tPvRmT1_PNSt15iterator_traitsISV_E10value_typeET2_T3_PNSW_IS11_E10value_typeET4_jRbjT5_S17_jjP12ihipStream_tbEUljE_EEESS_ST_SU_S11_S15_S17_T6_T7_T9_mT8_S19_bDpT10_ENKUlT_T0_E_clISt17integral_constantIbLb0EES1M_EEDaS1H_S1I_EUlS1H_E_NS1_11comp_targetILNS1_3genE4ELNS1_11target_archE910ELNS1_3gpuE8ELNS1_3repE0EEENS1_30default_config_static_selectorELNS0_4arch9wavefront6targetE0EEEvSV_.numbered_sgpr, 0
	.set _ZN7rocprim17ROCPRIM_400000_NS6detail17trampoline_kernelINS0_13select_configILj256ELj13ELNS0_17block_load_methodE3ELS4_3ELS4_3ELNS0_20block_scan_algorithmE0ELj4294967295EEENS1_25partition_config_selectorILNS1_17partition_subalgoE3EjNS0_10empty_typeEbEEZZNS1_14partition_implILS8_3ELb0ES6_jNS0_17counting_iteratorIjlEEPS9_SE_NS0_5tupleIJPjSE_EEENSF_IJSE_SE_EEES9_SG_JZNS1_25segmented_radix_sort_implINS0_14default_configELb0EPKlPlSM_SN_N2at6native12_GLOBAL__N_18offset_tEEE10hipError_tPvRmT1_PNSt15iterator_traitsISV_E10value_typeET2_T3_PNSW_IS11_E10value_typeET4_jRbjT5_S17_jjP12ihipStream_tbEUljE_EEESS_ST_SU_S11_S15_S17_T6_T7_T9_mT8_S19_bDpT10_ENKUlT_T0_E_clISt17integral_constantIbLb0EES1M_EEDaS1H_S1I_EUlS1H_E_NS1_11comp_targetILNS1_3genE4ELNS1_11target_archE910ELNS1_3gpuE8ELNS1_3repE0EEENS1_30default_config_static_selectorELNS0_4arch9wavefront6targetE0EEEvSV_.num_named_barrier, 0
	.set _ZN7rocprim17ROCPRIM_400000_NS6detail17trampoline_kernelINS0_13select_configILj256ELj13ELNS0_17block_load_methodE3ELS4_3ELS4_3ELNS0_20block_scan_algorithmE0ELj4294967295EEENS1_25partition_config_selectorILNS1_17partition_subalgoE3EjNS0_10empty_typeEbEEZZNS1_14partition_implILS8_3ELb0ES6_jNS0_17counting_iteratorIjlEEPS9_SE_NS0_5tupleIJPjSE_EEENSF_IJSE_SE_EEES9_SG_JZNS1_25segmented_radix_sort_implINS0_14default_configELb0EPKlPlSM_SN_N2at6native12_GLOBAL__N_18offset_tEEE10hipError_tPvRmT1_PNSt15iterator_traitsISV_E10value_typeET2_T3_PNSW_IS11_E10value_typeET4_jRbjT5_S17_jjP12ihipStream_tbEUljE_EEESS_ST_SU_S11_S15_S17_T6_T7_T9_mT8_S19_bDpT10_ENKUlT_T0_E_clISt17integral_constantIbLb0EES1M_EEDaS1H_S1I_EUlS1H_E_NS1_11comp_targetILNS1_3genE4ELNS1_11target_archE910ELNS1_3gpuE8ELNS1_3repE0EEENS1_30default_config_static_selectorELNS0_4arch9wavefront6targetE0EEEvSV_.private_seg_size, 0
	.set _ZN7rocprim17ROCPRIM_400000_NS6detail17trampoline_kernelINS0_13select_configILj256ELj13ELNS0_17block_load_methodE3ELS4_3ELS4_3ELNS0_20block_scan_algorithmE0ELj4294967295EEENS1_25partition_config_selectorILNS1_17partition_subalgoE3EjNS0_10empty_typeEbEEZZNS1_14partition_implILS8_3ELb0ES6_jNS0_17counting_iteratorIjlEEPS9_SE_NS0_5tupleIJPjSE_EEENSF_IJSE_SE_EEES9_SG_JZNS1_25segmented_radix_sort_implINS0_14default_configELb0EPKlPlSM_SN_N2at6native12_GLOBAL__N_18offset_tEEE10hipError_tPvRmT1_PNSt15iterator_traitsISV_E10value_typeET2_T3_PNSW_IS11_E10value_typeET4_jRbjT5_S17_jjP12ihipStream_tbEUljE_EEESS_ST_SU_S11_S15_S17_T6_T7_T9_mT8_S19_bDpT10_ENKUlT_T0_E_clISt17integral_constantIbLb0EES1M_EEDaS1H_S1I_EUlS1H_E_NS1_11comp_targetILNS1_3genE4ELNS1_11target_archE910ELNS1_3gpuE8ELNS1_3repE0EEENS1_30default_config_static_selectorELNS0_4arch9wavefront6targetE0EEEvSV_.uses_vcc, 0
	.set _ZN7rocprim17ROCPRIM_400000_NS6detail17trampoline_kernelINS0_13select_configILj256ELj13ELNS0_17block_load_methodE3ELS4_3ELS4_3ELNS0_20block_scan_algorithmE0ELj4294967295EEENS1_25partition_config_selectorILNS1_17partition_subalgoE3EjNS0_10empty_typeEbEEZZNS1_14partition_implILS8_3ELb0ES6_jNS0_17counting_iteratorIjlEEPS9_SE_NS0_5tupleIJPjSE_EEENSF_IJSE_SE_EEES9_SG_JZNS1_25segmented_radix_sort_implINS0_14default_configELb0EPKlPlSM_SN_N2at6native12_GLOBAL__N_18offset_tEEE10hipError_tPvRmT1_PNSt15iterator_traitsISV_E10value_typeET2_T3_PNSW_IS11_E10value_typeET4_jRbjT5_S17_jjP12ihipStream_tbEUljE_EEESS_ST_SU_S11_S15_S17_T6_T7_T9_mT8_S19_bDpT10_ENKUlT_T0_E_clISt17integral_constantIbLb0EES1M_EEDaS1H_S1I_EUlS1H_E_NS1_11comp_targetILNS1_3genE4ELNS1_11target_archE910ELNS1_3gpuE8ELNS1_3repE0EEENS1_30default_config_static_selectorELNS0_4arch9wavefront6targetE0EEEvSV_.uses_flat_scratch, 0
	.set _ZN7rocprim17ROCPRIM_400000_NS6detail17trampoline_kernelINS0_13select_configILj256ELj13ELNS0_17block_load_methodE3ELS4_3ELS4_3ELNS0_20block_scan_algorithmE0ELj4294967295EEENS1_25partition_config_selectorILNS1_17partition_subalgoE3EjNS0_10empty_typeEbEEZZNS1_14partition_implILS8_3ELb0ES6_jNS0_17counting_iteratorIjlEEPS9_SE_NS0_5tupleIJPjSE_EEENSF_IJSE_SE_EEES9_SG_JZNS1_25segmented_radix_sort_implINS0_14default_configELb0EPKlPlSM_SN_N2at6native12_GLOBAL__N_18offset_tEEE10hipError_tPvRmT1_PNSt15iterator_traitsISV_E10value_typeET2_T3_PNSW_IS11_E10value_typeET4_jRbjT5_S17_jjP12ihipStream_tbEUljE_EEESS_ST_SU_S11_S15_S17_T6_T7_T9_mT8_S19_bDpT10_ENKUlT_T0_E_clISt17integral_constantIbLb0EES1M_EEDaS1H_S1I_EUlS1H_E_NS1_11comp_targetILNS1_3genE4ELNS1_11target_archE910ELNS1_3gpuE8ELNS1_3repE0EEENS1_30default_config_static_selectorELNS0_4arch9wavefront6targetE0EEEvSV_.has_dyn_sized_stack, 0
	.set _ZN7rocprim17ROCPRIM_400000_NS6detail17trampoline_kernelINS0_13select_configILj256ELj13ELNS0_17block_load_methodE3ELS4_3ELS4_3ELNS0_20block_scan_algorithmE0ELj4294967295EEENS1_25partition_config_selectorILNS1_17partition_subalgoE3EjNS0_10empty_typeEbEEZZNS1_14partition_implILS8_3ELb0ES6_jNS0_17counting_iteratorIjlEEPS9_SE_NS0_5tupleIJPjSE_EEENSF_IJSE_SE_EEES9_SG_JZNS1_25segmented_radix_sort_implINS0_14default_configELb0EPKlPlSM_SN_N2at6native12_GLOBAL__N_18offset_tEEE10hipError_tPvRmT1_PNSt15iterator_traitsISV_E10value_typeET2_T3_PNSW_IS11_E10value_typeET4_jRbjT5_S17_jjP12ihipStream_tbEUljE_EEESS_ST_SU_S11_S15_S17_T6_T7_T9_mT8_S19_bDpT10_ENKUlT_T0_E_clISt17integral_constantIbLb0EES1M_EEDaS1H_S1I_EUlS1H_E_NS1_11comp_targetILNS1_3genE4ELNS1_11target_archE910ELNS1_3gpuE8ELNS1_3repE0EEENS1_30default_config_static_selectorELNS0_4arch9wavefront6targetE0EEEvSV_.has_recursion, 0
	.set _ZN7rocprim17ROCPRIM_400000_NS6detail17trampoline_kernelINS0_13select_configILj256ELj13ELNS0_17block_load_methodE3ELS4_3ELS4_3ELNS0_20block_scan_algorithmE0ELj4294967295EEENS1_25partition_config_selectorILNS1_17partition_subalgoE3EjNS0_10empty_typeEbEEZZNS1_14partition_implILS8_3ELb0ES6_jNS0_17counting_iteratorIjlEEPS9_SE_NS0_5tupleIJPjSE_EEENSF_IJSE_SE_EEES9_SG_JZNS1_25segmented_radix_sort_implINS0_14default_configELb0EPKlPlSM_SN_N2at6native12_GLOBAL__N_18offset_tEEE10hipError_tPvRmT1_PNSt15iterator_traitsISV_E10value_typeET2_T3_PNSW_IS11_E10value_typeET4_jRbjT5_S17_jjP12ihipStream_tbEUljE_EEESS_ST_SU_S11_S15_S17_T6_T7_T9_mT8_S19_bDpT10_ENKUlT_T0_E_clISt17integral_constantIbLb0EES1M_EEDaS1H_S1I_EUlS1H_E_NS1_11comp_targetILNS1_3genE4ELNS1_11target_archE910ELNS1_3gpuE8ELNS1_3repE0EEENS1_30default_config_static_selectorELNS0_4arch9wavefront6targetE0EEEvSV_.has_indirect_call, 0
	.section	.AMDGPU.csdata,"",@progbits
; Kernel info:
; codeLenInByte = 0
; TotalNumSgprs: 0
; NumVgprs: 0
; ScratchSize: 0
; MemoryBound: 0
; FloatMode: 240
; IeeeMode: 1
; LDSByteSize: 0 bytes/workgroup (compile time only)
; SGPRBlocks: 0
; VGPRBlocks: 0
; NumSGPRsForWavesPerEU: 1
; NumVGPRsForWavesPerEU: 1
; NamedBarCnt: 0
; Occupancy: 16
; WaveLimiterHint : 0
; COMPUTE_PGM_RSRC2:SCRATCH_EN: 0
; COMPUTE_PGM_RSRC2:USER_SGPR: 2
; COMPUTE_PGM_RSRC2:TRAP_HANDLER: 0
; COMPUTE_PGM_RSRC2:TGID_X_EN: 1
; COMPUTE_PGM_RSRC2:TGID_Y_EN: 0
; COMPUTE_PGM_RSRC2:TGID_Z_EN: 0
; COMPUTE_PGM_RSRC2:TIDIG_COMP_CNT: 0
	.section	.text._ZN7rocprim17ROCPRIM_400000_NS6detail17trampoline_kernelINS0_13select_configILj256ELj13ELNS0_17block_load_methodE3ELS4_3ELS4_3ELNS0_20block_scan_algorithmE0ELj4294967295EEENS1_25partition_config_selectorILNS1_17partition_subalgoE3EjNS0_10empty_typeEbEEZZNS1_14partition_implILS8_3ELb0ES6_jNS0_17counting_iteratorIjlEEPS9_SE_NS0_5tupleIJPjSE_EEENSF_IJSE_SE_EEES9_SG_JZNS1_25segmented_radix_sort_implINS0_14default_configELb0EPKlPlSM_SN_N2at6native12_GLOBAL__N_18offset_tEEE10hipError_tPvRmT1_PNSt15iterator_traitsISV_E10value_typeET2_T3_PNSW_IS11_E10value_typeET4_jRbjT5_S17_jjP12ihipStream_tbEUljE_EEESS_ST_SU_S11_S15_S17_T6_T7_T9_mT8_S19_bDpT10_ENKUlT_T0_E_clISt17integral_constantIbLb0EES1M_EEDaS1H_S1I_EUlS1H_E_NS1_11comp_targetILNS1_3genE3ELNS1_11target_archE908ELNS1_3gpuE7ELNS1_3repE0EEENS1_30default_config_static_selectorELNS0_4arch9wavefront6targetE0EEEvSV_,"axG",@progbits,_ZN7rocprim17ROCPRIM_400000_NS6detail17trampoline_kernelINS0_13select_configILj256ELj13ELNS0_17block_load_methodE3ELS4_3ELS4_3ELNS0_20block_scan_algorithmE0ELj4294967295EEENS1_25partition_config_selectorILNS1_17partition_subalgoE3EjNS0_10empty_typeEbEEZZNS1_14partition_implILS8_3ELb0ES6_jNS0_17counting_iteratorIjlEEPS9_SE_NS0_5tupleIJPjSE_EEENSF_IJSE_SE_EEES9_SG_JZNS1_25segmented_radix_sort_implINS0_14default_configELb0EPKlPlSM_SN_N2at6native12_GLOBAL__N_18offset_tEEE10hipError_tPvRmT1_PNSt15iterator_traitsISV_E10value_typeET2_T3_PNSW_IS11_E10value_typeET4_jRbjT5_S17_jjP12ihipStream_tbEUljE_EEESS_ST_SU_S11_S15_S17_T6_T7_T9_mT8_S19_bDpT10_ENKUlT_T0_E_clISt17integral_constantIbLb0EES1M_EEDaS1H_S1I_EUlS1H_E_NS1_11comp_targetILNS1_3genE3ELNS1_11target_archE908ELNS1_3gpuE7ELNS1_3repE0EEENS1_30default_config_static_selectorELNS0_4arch9wavefront6targetE0EEEvSV_,comdat
	.globl	_ZN7rocprim17ROCPRIM_400000_NS6detail17trampoline_kernelINS0_13select_configILj256ELj13ELNS0_17block_load_methodE3ELS4_3ELS4_3ELNS0_20block_scan_algorithmE0ELj4294967295EEENS1_25partition_config_selectorILNS1_17partition_subalgoE3EjNS0_10empty_typeEbEEZZNS1_14partition_implILS8_3ELb0ES6_jNS0_17counting_iteratorIjlEEPS9_SE_NS0_5tupleIJPjSE_EEENSF_IJSE_SE_EEES9_SG_JZNS1_25segmented_radix_sort_implINS0_14default_configELb0EPKlPlSM_SN_N2at6native12_GLOBAL__N_18offset_tEEE10hipError_tPvRmT1_PNSt15iterator_traitsISV_E10value_typeET2_T3_PNSW_IS11_E10value_typeET4_jRbjT5_S17_jjP12ihipStream_tbEUljE_EEESS_ST_SU_S11_S15_S17_T6_T7_T9_mT8_S19_bDpT10_ENKUlT_T0_E_clISt17integral_constantIbLb0EES1M_EEDaS1H_S1I_EUlS1H_E_NS1_11comp_targetILNS1_3genE3ELNS1_11target_archE908ELNS1_3gpuE7ELNS1_3repE0EEENS1_30default_config_static_selectorELNS0_4arch9wavefront6targetE0EEEvSV_ ; -- Begin function _ZN7rocprim17ROCPRIM_400000_NS6detail17trampoline_kernelINS0_13select_configILj256ELj13ELNS0_17block_load_methodE3ELS4_3ELS4_3ELNS0_20block_scan_algorithmE0ELj4294967295EEENS1_25partition_config_selectorILNS1_17partition_subalgoE3EjNS0_10empty_typeEbEEZZNS1_14partition_implILS8_3ELb0ES6_jNS0_17counting_iteratorIjlEEPS9_SE_NS0_5tupleIJPjSE_EEENSF_IJSE_SE_EEES9_SG_JZNS1_25segmented_radix_sort_implINS0_14default_configELb0EPKlPlSM_SN_N2at6native12_GLOBAL__N_18offset_tEEE10hipError_tPvRmT1_PNSt15iterator_traitsISV_E10value_typeET2_T3_PNSW_IS11_E10value_typeET4_jRbjT5_S17_jjP12ihipStream_tbEUljE_EEESS_ST_SU_S11_S15_S17_T6_T7_T9_mT8_S19_bDpT10_ENKUlT_T0_E_clISt17integral_constantIbLb0EES1M_EEDaS1H_S1I_EUlS1H_E_NS1_11comp_targetILNS1_3genE3ELNS1_11target_archE908ELNS1_3gpuE7ELNS1_3repE0EEENS1_30default_config_static_selectorELNS0_4arch9wavefront6targetE0EEEvSV_
	.p2align	8
	.type	_ZN7rocprim17ROCPRIM_400000_NS6detail17trampoline_kernelINS0_13select_configILj256ELj13ELNS0_17block_load_methodE3ELS4_3ELS4_3ELNS0_20block_scan_algorithmE0ELj4294967295EEENS1_25partition_config_selectorILNS1_17partition_subalgoE3EjNS0_10empty_typeEbEEZZNS1_14partition_implILS8_3ELb0ES6_jNS0_17counting_iteratorIjlEEPS9_SE_NS0_5tupleIJPjSE_EEENSF_IJSE_SE_EEES9_SG_JZNS1_25segmented_radix_sort_implINS0_14default_configELb0EPKlPlSM_SN_N2at6native12_GLOBAL__N_18offset_tEEE10hipError_tPvRmT1_PNSt15iterator_traitsISV_E10value_typeET2_T3_PNSW_IS11_E10value_typeET4_jRbjT5_S17_jjP12ihipStream_tbEUljE_EEESS_ST_SU_S11_S15_S17_T6_T7_T9_mT8_S19_bDpT10_ENKUlT_T0_E_clISt17integral_constantIbLb0EES1M_EEDaS1H_S1I_EUlS1H_E_NS1_11comp_targetILNS1_3genE3ELNS1_11target_archE908ELNS1_3gpuE7ELNS1_3repE0EEENS1_30default_config_static_selectorELNS0_4arch9wavefront6targetE0EEEvSV_,@function
_ZN7rocprim17ROCPRIM_400000_NS6detail17trampoline_kernelINS0_13select_configILj256ELj13ELNS0_17block_load_methodE3ELS4_3ELS4_3ELNS0_20block_scan_algorithmE0ELj4294967295EEENS1_25partition_config_selectorILNS1_17partition_subalgoE3EjNS0_10empty_typeEbEEZZNS1_14partition_implILS8_3ELb0ES6_jNS0_17counting_iteratorIjlEEPS9_SE_NS0_5tupleIJPjSE_EEENSF_IJSE_SE_EEES9_SG_JZNS1_25segmented_radix_sort_implINS0_14default_configELb0EPKlPlSM_SN_N2at6native12_GLOBAL__N_18offset_tEEE10hipError_tPvRmT1_PNSt15iterator_traitsISV_E10value_typeET2_T3_PNSW_IS11_E10value_typeET4_jRbjT5_S17_jjP12ihipStream_tbEUljE_EEESS_ST_SU_S11_S15_S17_T6_T7_T9_mT8_S19_bDpT10_ENKUlT_T0_E_clISt17integral_constantIbLb0EES1M_EEDaS1H_S1I_EUlS1H_E_NS1_11comp_targetILNS1_3genE3ELNS1_11target_archE908ELNS1_3gpuE7ELNS1_3repE0EEENS1_30default_config_static_selectorELNS0_4arch9wavefront6targetE0EEEvSV_: ; @_ZN7rocprim17ROCPRIM_400000_NS6detail17trampoline_kernelINS0_13select_configILj256ELj13ELNS0_17block_load_methodE3ELS4_3ELS4_3ELNS0_20block_scan_algorithmE0ELj4294967295EEENS1_25partition_config_selectorILNS1_17partition_subalgoE3EjNS0_10empty_typeEbEEZZNS1_14partition_implILS8_3ELb0ES6_jNS0_17counting_iteratorIjlEEPS9_SE_NS0_5tupleIJPjSE_EEENSF_IJSE_SE_EEES9_SG_JZNS1_25segmented_radix_sort_implINS0_14default_configELb0EPKlPlSM_SN_N2at6native12_GLOBAL__N_18offset_tEEE10hipError_tPvRmT1_PNSt15iterator_traitsISV_E10value_typeET2_T3_PNSW_IS11_E10value_typeET4_jRbjT5_S17_jjP12ihipStream_tbEUljE_EEESS_ST_SU_S11_S15_S17_T6_T7_T9_mT8_S19_bDpT10_ENKUlT_T0_E_clISt17integral_constantIbLb0EES1M_EEDaS1H_S1I_EUlS1H_E_NS1_11comp_targetILNS1_3genE3ELNS1_11target_archE908ELNS1_3gpuE7ELNS1_3repE0EEENS1_30default_config_static_selectorELNS0_4arch9wavefront6targetE0EEEvSV_
; %bb.0:
	.section	.rodata,"a",@progbits
	.p2align	6, 0x0
	.amdhsa_kernel _ZN7rocprim17ROCPRIM_400000_NS6detail17trampoline_kernelINS0_13select_configILj256ELj13ELNS0_17block_load_methodE3ELS4_3ELS4_3ELNS0_20block_scan_algorithmE0ELj4294967295EEENS1_25partition_config_selectorILNS1_17partition_subalgoE3EjNS0_10empty_typeEbEEZZNS1_14partition_implILS8_3ELb0ES6_jNS0_17counting_iteratorIjlEEPS9_SE_NS0_5tupleIJPjSE_EEENSF_IJSE_SE_EEES9_SG_JZNS1_25segmented_radix_sort_implINS0_14default_configELb0EPKlPlSM_SN_N2at6native12_GLOBAL__N_18offset_tEEE10hipError_tPvRmT1_PNSt15iterator_traitsISV_E10value_typeET2_T3_PNSW_IS11_E10value_typeET4_jRbjT5_S17_jjP12ihipStream_tbEUljE_EEESS_ST_SU_S11_S15_S17_T6_T7_T9_mT8_S19_bDpT10_ENKUlT_T0_E_clISt17integral_constantIbLb0EES1M_EEDaS1H_S1I_EUlS1H_E_NS1_11comp_targetILNS1_3genE3ELNS1_11target_archE908ELNS1_3gpuE7ELNS1_3repE0EEENS1_30default_config_static_selectorELNS0_4arch9wavefront6targetE0EEEvSV_
		.amdhsa_group_segment_fixed_size 0
		.amdhsa_private_segment_fixed_size 0
		.amdhsa_kernarg_size 144
		.amdhsa_user_sgpr_count 2
		.amdhsa_user_sgpr_dispatch_ptr 0
		.amdhsa_user_sgpr_queue_ptr 0
		.amdhsa_user_sgpr_kernarg_segment_ptr 1
		.amdhsa_user_sgpr_dispatch_id 0
		.amdhsa_user_sgpr_kernarg_preload_length 0
		.amdhsa_user_sgpr_kernarg_preload_offset 0
		.amdhsa_user_sgpr_private_segment_size 0
		.amdhsa_wavefront_size32 1
		.amdhsa_uses_dynamic_stack 0
		.amdhsa_enable_private_segment 0
		.amdhsa_system_sgpr_workgroup_id_x 1
		.amdhsa_system_sgpr_workgroup_id_y 0
		.amdhsa_system_sgpr_workgroup_id_z 0
		.amdhsa_system_sgpr_workgroup_info 0
		.amdhsa_system_vgpr_workitem_id 0
		.amdhsa_next_free_vgpr 1
		.amdhsa_next_free_sgpr 1
		.amdhsa_named_barrier_count 0
		.amdhsa_reserve_vcc 0
		.amdhsa_float_round_mode_32 0
		.amdhsa_float_round_mode_16_64 0
		.amdhsa_float_denorm_mode_32 3
		.amdhsa_float_denorm_mode_16_64 3
		.amdhsa_fp16_overflow 0
		.amdhsa_memory_ordered 1
		.amdhsa_forward_progress 1
		.amdhsa_inst_pref_size 0
		.amdhsa_round_robin_scheduling 0
		.amdhsa_exception_fp_ieee_invalid_op 0
		.amdhsa_exception_fp_denorm_src 0
		.amdhsa_exception_fp_ieee_div_zero 0
		.amdhsa_exception_fp_ieee_overflow 0
		.amdhsa_exception_fp_ieee_underflow 0
		.amdhsa_exception_fp_ieee_inexact 0
		.amdhsa_exception_int_div_zero 0
	.end_amdhsa_kernel
	.section	.text._ZN7rocprim17ROCPRIM_400000_NS6detail17trampoline_kernelINS0_13select_configILj256ELj13ELNS0_17block_load_methodE3ELS4_3ELS4_3ELNS0_20block_scan_algorithmE0ELj4294967295EEENS1_25partition_config_selectorILNS1_17partition_subalgoE3EjNS0_10empty_typeEbEEZZNS1_14partition_implILS8_3ELb0ES6_jNS0_17counting_iteratorIjlEEPS9_SE_NS0_5tupleIJPjSE_EEENSF_IJSE_SE_EEES9_SG_JZNS1_25segmented_radix_sort_implINS0_14default_configELb0EPKlPlSM_SN_N2at6native12_GLOBAL__N_18offset_tEEE10hipError_tPvRmT1_PNSt15iterator_traitsISV_E10value_typeET2_T3_PNSW_IS11_E10value_typeET4_jRbjT5_S17_jjP12ihipStream_tbEUljE_EEESS_ST_SU_S11_S15_S17_T6_T7_T9_mT8_S19_bDpT10_ENKUlT_T0_E_clISt17integral_constantIbLb0EES1M_EEDaS1H_S1I_EUlS1H_E_NS1_11comp_targetILNS1_3genE3ELNS1_11target_archE908ELNS1_3gpuE7ELNS1_3repE0EEENS1_30default_config_static_selectorELNS0_4arch9wavefront6targetE0EEEvSV_,"axG",@progbits,_ZN7rocprim17ROCPRIM_400000_NS6detail17trampoline_kernelINS0_13select_configILj256ELj13ELNS0_17block_load_methodE3ELS4_3ELS4_3ELNS0_20block_scan_algorithmE0ELj4294967295EEENS1_25partition_config_selectorILNS1_17partition_subalgoE3EjNS0_10empty_typeEbEEZZNS1_14partition_implILS8_3ELb0ES6_jNS0_17counting_iteratorIjlEEPS9_SE_NS0_5tupleIJPjSE_EEENSF_IJSE_SE_EEES9_SG_JZNS1_25segmented_radix_sort_implINS0_14default_configELb0EPKlPlSM_SN_N2at6native12_GLOBAL__N_18offset_tEEE10hipError_tPvRmT1_PNSt15iterator_traitsISV_E10value_typeET2_T3_PNSW_IS11_E10value_typeET4_jRbjT5_S17_jjP12ihipStream_tbEUljE_EEESS_ST_SU_S11_S15_S17_T6_T7_T9_mT8_S19_bDpT10_ENKUlT_T0_E_clISt17integral_constantIbLb0EES1M_EEDaS1H_S1I_EUlS1H_E_NS1_11comp_targetILNS1_3genE3ELNS1_11target_archE908ELNS1_3gpuE7ELNS1_3repE0EEENS1_30default_config_static_selectorELNS0_4arch9wavefront6targetE0EEEvSV_,comdat
.Lfunc_end774:
	.size	_ZN7rocprim17ROCPRIM_400000_NS6detail17trampoline_kernelINS0_13select_configILj256ELj13ELNS0_17block_load_methodE3ELS4_3ELS4_3ELNS0_20block_scan_algorithmE0ELj4294967295EEENS1_25partition_config_selectorILNS1_17partition_subalgoE3EjNS0_10empty_typeEbEEZZNS1_14partition_implILS8_3ELb0ES6_jNS0_17counting_iteratorIjlEEPS9_SE_NS0_5tupleIJPjSE_EEENSF_IJSE_SE_EEES9_SG_JZNS1_25segmented_radix_sort_implINS0_14default_configELb0EPKlPlSM_SN_N2at6native12_GLOBAL__N_18offset_tEEE10hipError_tPvRmT1_PNSt15iterator_traitsISV_E10value_typeET2_T3_PNSW_IS11_E10value_typeET4_jRbjT5_S17_jjP12ihipStream_tbEUljE_EEESS_ST_SU_S11_S15_S17_T6_T7_T9_mT8_S19_bDpT10_ENKUlT_T0_E_clISt17integral_constantIbLb0EES1M_EEDaS1H_S1I_EUlS1H_E_NS1_11comp_targetILNS1_3genE3ELNS1_11target_archE908ELNS1_3gpuE7ELNS1_3repE0EEENS1_30default_config_static_selectorELNS0_4arch9wavefront6targetE0EEEvSV_, .Lfunc_end774-_ZN7rocprim17ROCPRIM_400000_NS6detail17trampoline_kernelINS0_13select_configILj256ELj13ELNS0_17block_load_methodE3ELS4_3ELS4_3ELNS0_20block_scan_algorithmE0ELj4294967295EEENS1_25partition_config_selectorILNS1_17partition_subalgoE3EjNS0_10empty_typeEbEEZZNS1_14partition_implILS8_3ELb0ES6_jNS0_17counting_iteratorIjlEEPS9_SE_NS0_5tupleIJPjSE_EEENSF_IJSE_SE_EEES9_SG_JZNS1_25segmented_radix_sort_implINS0_14default_configELb0EPKlPlSM_SN_N2at6native12_GLOBAL__N_18offset_tEEE10hipError_tPvRmT1_PNSt15iterator_traitsISV_E10value_typeET2_T3_PNSW_IS11_E10value_typeET4_jRbjT5_S17_jjP12ihipStream_tbEUljE_EEESS_ST_SU_S11_S15_S17_T6_T7_T9_mT8_S19_bDpT10_ENKUlT_T0_E_clISt17integral_constantIbLb0EES1M_EEDaS1H_S1I_EUlS1H_E_NS1_11comp_targetILNS1_3genE3ELNS1_11target_archE908ELNS1_3gpuE7ELNS1_3repE0EEENS1_30default_config_static_selectorELNS0_4arch9wavefront6targetE0EEEvSV_
                                        ; -- End function
	.set _ZN7rocprim17ROCPRIM_400000_NS6detail17trampoline_kernelINS0_13select_configILj256ELj13ELNS0_17block_load_methodE3ELS4_3ELS4_3ELNS0_20block_scan_algorithmE0ELj4294967295EEENS1_25partition_config_selectorILNS1_17partition_subalgoE3EjNS0_10empty_typeEbEEZZNS1_14partition_implILS8_3ELb0ES6_jNS0_17counting_iteratorIjlEEPS9_SE_NS0_5tupleIJPjSE_EEENSF_IJSE_SE_EEES9_SG_JZNS1_25segmented_radix_sort_implINS0_14default_configELb0EPKlPlSM_SN_N2at6native12_GLOBAL__N_18offset_tEEE10hipError_tPvRmT1_PNSt15iterator_traitsISV_E10value_typeET2_T3_PNSW_IS11_E10value_typeET4_jRbjT5_S17_jjP12ihipStream_tbEUljE_EEESS_ST_SU_S11_S15_S17_T6_T7_T9_mT8_S19_bDpT10_ENKUlT_T0_E_clISt17integral_constantIbLb0EES1M_EEDaS1H_S1I_EUlS1H_E_NS1_11comp_targetILNS1_3genE3ELNS1_11target_archE908ELNS1_3gpuE7ELNS1_3repE0EEENS1_30default_config_static_selectorELNS0_4arch9wavefront6targetE0EEEvSV_.num_vgpr, 0
	.set _ZN7rocprim17ROCPRIM_400000_NS6detail17trampoline_kernelINS0_13select_configILj256ELj13ELNS0_17block_load_methodE3ELS4_3ELS4_3ELNS0_20block_scan_algorithmE0ELj4294967295EEENS1_25partition_config_selectorILNS1_17partition_subalgoE3EjNS0_10empty_typeEbEEZZNS1_14partition_implILS8_3ELb0ES6_jNS0_17counting_iteratorIjlEEPS9_SE_NS0_5tupleIJPjSE_EEENSF_IJSE_SE_EEES9_SG_JZNS1_25segmented_radix_sort_implINS0_14default_configELb0EPKlPlSM_SN_N2at6native12_GLOBAL__N_18offset_tEEE10hipError_tPvRmT1_PNSt15iterator_traitsISV_E10value_typeET2_T3_PNSW_IS11_E10value_typeET4_jRbjT5_S17_jjP12ihipStream_tbEUljE_EEESS_ST_SU_S11_S15_S17_T6_T7_T9_mT8_S19_bDpT10_ENKUlT_T0_E_clISt17integral_constantIbLb0EES1M_EEDaS1H_S1I_EUlS1H_E_NS1_11comp_targetILNS1_3genE3ELNS1_11target_archE908ELNS1_3gpuE7ELNS1_3repE0EEENS1_30default_config_static_selectorELNS0_4arch9wavefront6targetE0EEEvSV_.num_agpr, 0
	.set _ZN7rocprim17ROCPRIM_400000_NS6detail17trampoline_kernelINS0_13select_configILj256ELj13ELNS0_17block_load_methodE3ELS4_3ELS4_3ELNS0_20block_scan_algorithmE0ELj4294967295EEENS1_25partition_config_selectorILNS1_17partition_subalgoE3EjNS0_10empty_typeEbEEZZNS1_14partition_implILS8_3ELb0ES6_jNS0_17counting_iteratorIjlEEPS9_SE_NS0_5tupleIJPjSE_EEENSF_IJSE_SE_EEES9_SG_JZNS1_25segmented_radix_sort_implINS0_14default_configELb0EPKlPlSM_SN_N2at6native12_GLOBAL__N_18offset_tEEE10hipError_tPvRmT1_PNSt15iterator_traitsISV_E10value_typeET2_T3_PNSW_IS11_E10value_typeET4_jRbjT5_S17_jjP12ihipStream_tbEUljE_EEESS_ST_SU_S11_S15_S17_T6_T7_T9_mT8_S19_bDpT10_ENKUlT_T0_E_clISt17integral_constantIbLb0EES1M_EEDaS1H_S1I_EUlS1H_E_NS1_11comp_targetILNS1_3genE3ELNS1_11target_archE908ELNS1_3gpuE7ELNS1_3repE0EEENS1_30default_config_static_selectorELNS0_4arch9wavefront6targetE0EEEvSV_.numbered_sgpr, 0
	.set _ZN7rocprim17ROCPRIM_400000_NS6detail17trampoline_kernelINS0_13select_configILj256ELj13ELNS0_17block_load_methodE3ELS4_3ELS4_3ELNS0_20block_scan_algorithmE0ELj4294967295EEENS1_25partition_config_selectorILNS1_17partition_subalgoE3EjNS0_10empty_typeEbEEZZNS1_14partition_implILS8_3ELb0ES6_jNS0_17counting_iteratorIjlEEPS9_SE_NS0_5tupleIJPjSE_EEENSF_IJSE_SE_EEES9_SG_JZNS1_25segmented_radix_sort_implINS0_14default_configELb0EPKlPlSM_SN_N2at6native12_GLOBAL__N_18offset_tEEE10hipError_tPvRmT1_PNSt15iterator_traitsISV_E10value_typeET2_T3_PNSW_IS11_E10value_typeET4_jRbjT5_S17_jjP12ihipStream_tbEUljE_EEESS_ST_SU_S11_S15_S17_T6_T7_T9_mT8_S19_bDpT10_ENKUlT_T0_E_clISt17integral_constantIbLb0EES1M_EEDaS1H_S1I_EUlS1H_E_NS1_11comp_targetILNS1_3genE3ELNS1_11target_archE908ELNS1_3gpuE7ELNS1_3repE0EEENS1_30default_config_static_selectorELNS0_4arch9wavefront6targetE0EEEvSV_.num_named_barrier, 0
	.set _ZN7rocprim17ROCPRIM_400000_NS6detail17trampoline_kernelINS0_13select_configILj256ELj13ELNS0_17block_load_methodE3ELS4_3ELS4_3ELNS0_20block_scan_algorithmE0ELj4294967295EEENS1_25partition_config_selectorILNS1_17partition_subalgoE3EjNS0_10empty_typeEbEEZZNS1_14partition_implILS8_3ELb0ES6_jNS0_17counting_iteratorIjlEEPS9_SE_NS0_5tupleIJPjSE_EEENSF_IJSE_SE_EEES9_SG_JZNS1_25segmented_radix_sort_implINS0_14default_configELb0EPKlPlSM_SN_N2at6native12_GLOBAL__N_18offset_tEEE10hipError_tPvRmT1_PNSt15iterator_traitsISV_E10value_typeET2_T3_PNSW_IS11_E10value_typeET4_jRbjT5_S17_jjP12ihipStream_tbEUljE_EEESS_ST_SU_S11_S15_S17_T6_T7_T9_mT8_S19_bDpT10_ENKUlT_T0_E_clISt17integral_constantIbLb0EES1M_EEDaS1H_S1I_EUlS1H_E_NS1_11comp_targetILNS1_3genE3ELNS1_11target_archE908ELNS1_3gpuE7ELNS1_3repE0EEENS1_30default_config_static_selectorELNS0_4arch9wavefront6targetE0EEEvSV_.private_seg_size, 0
	.set _ZN7rocprim17ROCPRIM_400000_NS6detail17trampoline_kernelINS0_13select_configILj256ELj13ELNS0_17block_load_methodE3ELS4_3ELS4_3ELNS0_20block_scan_algorithmE0ELj4294967295EEENS1_25partition_config_selectorILNS1_17partition_subalgoE3EjNS0_10empty_typeEbEEZZNS1_14partition_implILS8_3ELb0ES6_jNS0_17counting_iteratorIjlEEPS9_SE_NS0_5tupleIJPjSE_EEENSF_IJSE_SE_EEES9_SG_JZNS1_25segmented_radix_sort_implINS0_14default_configELb0EPKlPlSM_SN_N2at6native12_GLOBAL__N_18offset_tEEE10hipError_tPvRmT1_PNSt15iterator_traitsISV_E10value_typeET2_T3_PNSW_IS11_E10value_typeET4_jRbjT5_S17_jjP12ihipStream_tbEUljE_EEESS_ST_SU_S11_S15_S17_T6_T7_T9_mT8_S19_bDpT10_ENKUlT_T0_E_clISt17integral_constantIbLb0EES1M_EEDaS1H_S1I_EUlS1H_E_NS1_11comp_targetILNS1_3genE3ELNS1_11target_archE908ELNS1_3gpuE7ELNS1_3repE0EEENS1_30default_config_static_selectorELNS0_4arch9wavefront6targetE0EEEvSV_.uses_vcc, 0
	.set _ZN7rocprim17ROCPRIM_400000_NS6detail17trampoline_kernelINS0_13select_configILj256ELj13ELNS0_17block_load_methodE3ELS4_3ELS4_3ELNS0_20block_scan_algorithmE0ELj4294967295EEENS1_25partition_config_selectorILNS1_17partition_subalgoE3EjNS0_10empty_typeEbEEZZNS1_14partition_implILS8_3ELb0ES6_jNS0_17counting_iteratorIjlEEPS9_SE_NS0_5tupleIJPjSE_EEENSF_IJSE_SE_EEES9_SG_JZNS1_25segmented_radix_sort_implINS0_14default_configELb0EPKlPlSM_SN_N2at6native12_GLOBAL__N_18offset_tEEE10hipError_tPvRmT1_PNSt15iterator_traitsISV_E10value_typeET2_T3_PNSW_IS11_E10value_typeET4_jRbjT5_S17_jjP12ihipStream_tbEUljE_EEESS_ST_SU_S11_S15_S17_T6_T7_T9_mT8_S19_bDpT10_ENKUlT_T0_E_clISt17integral_constantIbLb0EES1M_EEDaS1H_S1I_EUlS1H_E_NS1_11comp_targetILNS1_3genE3ELNS1_11target_archE908ELNS1_3gpuE7ELNS1_3repE0EEENS1_30default_config_static_selectorELNS0_4arch9wavefront6targetE0EEEvSV_.uses_flat_scratch, 0
	.set _ZN7rocprim17ROCPRIM_400000_NS6detail17trampoline_kernelINS0_13select_configILj256ELj13ELNS0_17block_load_methodE3ELS4_3ELS4_3ELNS0_20block_scan_algorithmE0ELj4294967295EEENS1_25partition_config_selectorILNS1_17partition_subalgoE3EjNS0_10empty_typeEbEEZZNS1_14partition_implILS8_3ELb0ES6_jNS0_17counting_iteratorIjlEEPS9_SE_NS0_5tupleIJPjSE_EEENSF_IJSE_SE_EEES9_SG_JZNS1_25segmented_radix_sort_implINS0_14default_configELb0EPKlPlSM_SN_N2at6native12_GLOBAL__N_18offset_tEEE10hipError_tPvRmT1_PNSt15iterator_traitsISV_E10value_typeET2_T3_PNSW_IS11_E10value_typeET4_jRbjT5_S17_jjP12ihipStream_tbEUljE_EEESS_ST_SU_S11_S15_S17_T6_T7_T9_mT8_S19_bDpT10_ENKUlT_T0_E_clISt17integral_constantIbLb0EES1M_EEDaS1H_S1I_EUlS1H_E_NS1_11comp_targetILNS1_3genE3ELNS1_11target_archE908ELNS1_3gpuE7ELNS1_3repE0EEENS1_30default_config_static_selectorELNS0_4arch9wavefront6targetE0EEEvSV_.has_dyn_sized_stack, 0
	.set _ZN7rocprim17ROCPRIM_400000_NS6detail17trampoline_kernelINS0_13select_configILj256ELj13ELNS0_17block_load_methodE3ELS4_3ELS4_3ELNS0_20block_scan_algorithmE0ELj4294967295EEENS1_25partition_config_selectorILNS1_17partition_subalgoE3EjNS0_10empty_typeEbEEZZNS1_14partition_implILS8_3ELb0ES6_jNS0_17counting_iteratorIjlEEPS9_SE_NS0_5tupleIJPjSE_EEENSF_IJSE_SE_EEES9_SG_JZNS1_25segmented_radix_sort_implINS0_14default_configELb0EPKlPlSM_SN_N2at6native12_GLOBAL__N_18offset_tEEE10hipError_tPvRmT1_PNSt15iterator_traitsISV_E10value_typeET2_T3_PNSW_IS11_E10value_typeET4_jRbjT5_S17_jjP12ihipStream_tbEUljE_EEESS_ST_SU_S11_S15_S17_T6_T7_T9_mT8_S19_bDpT10_ENKUlT_T0_E_clISt17integral_constantIbLb0EES1M_EEDaS1H_S1I_EUlS1H_E_NS1_11comp_targetILNS1_3genE3ELNS1_11target_archE908ELNS1_3gpuE7ELNS1_3repE0EEENS1_30default_config_static_selectorELNS0_4arch9wavefront6targetE0EEEvSV_.has_recursion, 0
	.set _ZN7rocprim17ROCPRIM_400000_NS6detail17trampoline_kernelINS0_13select_configILj256ELj13ELNS0_17block_load_methodE3ELS4_3ELS4_3ELNS0_20block_scan_algorithmE0ELj4294967295EEENS1_25partition_config_selectorILNS1_17partition_subalgoE3EjNS0_10empty_typeEbEEZZNS1_14partition_implILS8_3ELb0ES6_jNS0_17counting_iteratorIjlEEPS9_SE_NS0_5tupleIJPjSE_EEENSF_IJSE_SE_EEES9_SG_JZNS1_25segmented_radix_sort_implINS0_14default_configELb0EPKlPlSM_SN_N2at6native12_GLOBAL__N_18offset_tEEE10hipError_tPvRmT1_PNSt15iterator_traitsISV_E10value_typeET2_T3_PNSW_IS11_E10value_typeET4_jRbjT5_S17_jjP12ihipStream_tbEUljE_EEESS_ST_SU_S11_S15_S17_T6_T7_T9_mT8_S19_bDpT10_ENKUlT_T0_E_clISt17integral_constantIbLb0EES1M_EEDaS1H_S1I_EUlS1H_E_NS1_11comp_targetILNS1_3genE3ELNS1_11target_archE908ELNS1_3gpuE7ELNS1_3repE0EEENS1_30default_config_static_selectorELNS0_4arch9wavefront6targetE0EEEvSV_.has_indirect_call, 0
	.section	.AMDGPU.csdata,"",@progbits
; Kernel info:
; codeLenInByte = 0
; TotalNumSgprs: 0
; NumVgprs: 0
; ScratchSize: 0
; MemoryBound: 0
; FloatMode: 240
; IeeeMode: 1
; LDSByteSize: 0 bytes/workgroup (compile time only)
; SGPRBlocks: 0
; VGPRBlocks: 0
; NumSGPRsForWavesPerEU: 1
; NumVGPRsForWavesPerEU: 1
; NamedBarCnt: 0
; Occupancy: 16
; WaveLimiterHint : 0
; COMPUTE_PGM_RSRC2:SCRATCH_EN: 0
; COMPUTE_PGM_RSRC2:USER_SGPR: 2
; COMPUTE_PGM_RSRC2:TRAP_HANDLER: 0
; COMPUTE_PGM_RSRC2:TGID_X_EN: 1
; COMPUTE_PGM_RSRC2:TGID_Y_EN: 0
; COMPUTE_PGM_RSRC2:TGID_Z_EN: 0
; COMPUTE_PGM_RSRC2:TIDIG_COMP_CNT: 0
	.section	.text._ZN7rocprim17ROCPRIM_400000_NS6detail17trampoline_kernelINS0_13select_configILj256ELj13ELNS0_17block_load_methodE3ELS4_3ELS4_3ELNS0_20block_scan_algorithmE0ELj4294967295EEENS1_25partition_config_selectorILNS1_17partition_subalgoE3EjNS0_10empty_typeEbEEZZNS1_14partition_implILS8_3ELb0ES6_jNS0_17counting_iteratorIjlEEPS9_SE_NS0_5tupleIJPjSE_EEENSF_IJSE_SE_EEES9_SG_JZNS1_25segmented_radix_sort_implINS0_14default_configELb0EPKlPlSM_SN_N2at6native12_GLOBAL__N_18offset_tEEE10hipError_tPvRmT1_PNSt15iterator_traitsISV_E10value_typeET2_T3_PNSW_IS11_E10value_typeET4_jRbjT5_S17_jjP12ihipStream_tbEUljE_EEESS_ST_SU_S11_S15_S17_T6_T7_T9_mT8_S19_bDpT10_ENKUlT_T0_E_clISt17integral_constantIbLb0EES1M_EEDaS1H_S1I_EUlS1H_E_NS1_11comp_targetILNS1_3genE2ELNS1_11target_archE906ELNS1_3gpuE6ELNS1_3repE0EEENS1_30default_config_static_selectorELNS0_4arch9wavefront6targetE0EEEvSV_,"axG",@progbits,_ZN7rocprim17ROCPRIM_400000_NS6detail17trampoline_kernelINS0_13select_configILj256ELj13ELNS0_17block_load_methodE3ELS4_3ELS4_3ELNS0_20block_scan_algorithmE0ELj4294967295EEENS1_25partition_config_selectorILNS1_17partition_subalgoE3EjNS0_10empty_typeEbEEZZNS1_14partition_implILS8_3ELb0ES6_jNS0_17counting_iteratorIjlEEPS9_SE_NS0_5tupleIJPjSE_EEENSF_IJSE_SE_EEES9_SG_JZNS1_25segmented_radix_sort_implINS0_14default_configELb0EPKlPlSM_SN_N2at6native12_GLOBAL__N_18offset_tEEE10hipError_tPvRmT1_PNSt15iterator_traitsISV_E10value_typeET2_T3_PNSW_IS11_E10value_typeET4_jRbjT5_S17_jjP12ihipStream_tbEUljE_EEESS_ST_SU_S11_S15_S17_T6_T7_T9_mT8_S19_bDpT10_ENKUlT_T0_E_clISt17integral_constantIbLb0EES1M_EEDaS1H_S1I_EUlS1H_E_NS1_11comp_targetILNS1_3genE2ELNS1_11target_archE906ELNS1_3gpuE6ELNS1_3repE0EEENS1_30default_config_static_selectorELNS0_4arch9wavefront6targetE0EEEvSV_,comdat
	.globl	_ZN7rocprim17ROCPRIM_400000_NS6detail17trampoline_kernelINS0_13select_configILj256ELj13ELNS0_17block_load_methodE3ELS4_3ELS4_3ELNS0_20block_scan_algorithmE0ELj4294967295EEENS1_25partition_config_selectorILNS1_17partition_subalgoE3EjNS0_10empty_typeEbEEZZNS1_14partition_implILS8_3ELb0ES6_jNS0_17counting_iteratorIjlEEPS9_SE_NS0_5tupleIJPjSE_EEENSF_IJSE_SE_EEES9_SG_JZNS1_25segmented_radix_sort_implINS0_14default_configELb0EPKlPlSM_SN_N2at6native12_GLOBAL__N_18offset_tEEE10hipError_tPvRmT1_PNSt15iterator_traitsISV_E10value_typeET2_T3_PNSW_IS11_E10value_typeET4_jRbjT5_S17_jjP12ihipStream_tbEUljE_EEESS_ST_SU_S11_S15_S17_T6_T7_T9_mT8_S19_bDpT10_ENKUlT_T0_E_clISt17integral_constantIbLb0EES1M_EEDaS1H_S1I_EUlS1H_E_NS1_11comp_targetILNS1_3genE2ELNS1_11target_archE906ELNS1_3gpuE6ELNS1_3repE0EEENS1_30default_config_static_selectorELNS0_4arch9wavefront6targetE0EEEvSV_ ; -- Begin function _ZN7rocprim17ROCPRIM_400000_NS6detail17trampoline_kernelINS0_13select_configILj256ELj13ELNS0_17block_load_methodE3ELS4_3ELS4_3ELNS0_20block_scan_algorithmE0ELj4294967295EEENS1_25partition_config_selectorILNS1_17partition_subalgoE3EjNS0_10empty_typeEbEEZZNS1_14partition_implILS8_3ELb0ES6_jNS0_17counting_iteratorIjlEEPS9_SE_NS0_5tupleIJPjSE_EEENSF_IJSE_SE_EEES9_SG_JZNS1_25segmented_radix_sort_implINS0_14default_configELb0EPKlPlSM_SN_N2at6native12_GLOBAL__N_18offset_tEEE10hipError_tPvRmT1_PNSt15iterator_traitsISV_E10value_typeET2_T3_PNSW_IS11_E10value_typeET4_jRbjT5_S17_jjP12ihipStream_tbEUljE_EEESS_ST_SU_S11_S15_S17_T6_T7_T9_mT8_S19_bDpT10_ENKUlT_T0_E_clISt17integral_constantIbLb0EES1M_EEDaS1H_S1I_EUlS1H_E_NS1_11comp_targetILNS1_3genE2ELNS1_11target_archE906ELNS1_3gpuE6ELNS1_3repE0EEENS1_30default_config_static_selectorELNS0_4arch9wavefront6targetE0EEEvSV_
	.p2align	8
	.type	_ZN7rocprim17ROCPRIM_400000_NS6detail17trampoline_kernelINS0_13select_configILj256ELj13ELNS0_17block_load_methodE3ELS4_3ELS4_3ELNS0_20block_scan_algorithmE0ELj4294967295EEENS1_25partition_config_selectorILNS1_17partition_subalgoE3EjNS0_10empty_typeEbEEZZNS1_14partition_implILS8_3ELb0ES6_jNS0_17counting_iteratorIjlEEPS9_SE_NS0_5tupleIJPjSE_EEENSF_IJSE_SE_EEES9_SG_JZNS1_25segmented_radix_sort_implINS0_14default_configELb0EPKlPlSM_SN_N2at6native12_GLOBAL__N_18offset_tEEE10hipError_tPvRmT1_PNSt15iterator_traitsISV_E10value_typeET2_T3_PNSW_IS11_E10value_typeET4_jRbjT5_S17_jjP12ihipStream_tbEUljE_EEESS_ST_SU_S11_S15_S17_T6_T7_T9_mT8_S19_bDpT10_ENKUlT_T0_E_clISt17integral_constantIbLb0EES1M_EEDaS1H_S1I_EUlS1H_E_NS1_11comp_targetILNS1_3genE2ELNS1_11target_archE906ELNS1_3gpuE6ELNS1_3repE0EEENS1_30default_config_static_selectorELNS0_4arch9wavefront6targetE0EEEvSV_,@function
_ZN7rocprim17ROCPRIM_400000_NS6detail17trampoline_kernelINS0_13select_configILj256ELj13ELNS0_17block_load_methodE3ELS4_3ELS4_3ELNS0_20block_scan_algorithmE0ELj4294967295EEENS1_25partition_config_selectorILNS1_17partition_subalgoE3EjNS0_10empty_typeEbEEZZNS1_14partition_implILS8_3ELb0ES6_jNS0_17counting_iteratorIjlEEPS9_SE_NS0_5tupleIJPjSE_EEENSF_IJSE_SE_EEES9_SG_JZNS1_25segmented_radix_sort_implINS0_14default_configELb0EPKlPlSM_SN_N2at6native12_GLOBAL__N_18offset_tEEE10hipError_tPvRmT1_PNSt15iterator_traitsISV_E10value_typeET2_T3_PNSW_IS11_E10value_typeET4_jRbjT5_S17_jjP12ihipStream_tbEUljE_EEESS_ST_SU_S11_S15_S17_T6_T7_T9_mT8_S19_bDpT10_ENKUlT_T0_E_clISt17integral_constantIbLb0EES1M_EEDaS1H_S1I_EUlS1H_E_NS1_11comp_targetILNS1_3genE2ELNS1_11target_archE906ELNS1_3gpuE6ELNS1_3repE0EEENS1_30default_config_static_selectorELNS0_4arch9wavefront6targetE0EEEvSV_: ; @_ZN7rocprim17ROCPRIM_400000_NS6detail17trampoline_kernelINS0_13select_configILj256ELj13ELNS0_17block_load_methodE3ELS4_3ELS4_3ELNS0_20block_scan_algorithmE0ELj4294967295EEENS1_25partition_config_selectorILNS1_17partition_subalgoE3EjNS0_10empty_typeEbEEZZNS1_14partition_implILS8_3ELb0ES6_jNS0_17counting_iteratorIjlEEPS9_SE_NS0_5tupleIJPjSE_EEENSF_IJSE_SE_EEES9_SG_JZNS1_25segmented_radix_sort_implINS0_14default_configELb0EPKlPlSM_SN_N2at6native12_GLOBAL__N_18offset_tEEE10hipError_tPvRmT1_PNSt15iterator_traitsISV_E10value_typeET2_T3_PNSW_IS11_E10value_typeET4_jRbjT5_S17_jjP12ihipStream_tbEUljE_EEESS_ST_SU_S11_S15_S17_T6_T7_T9_mT8_S19_bDpT10_ENKUlT_T0_E_clISt17integral_constantIbLb0EES1M_EEDaS1H_S1I_EUlS1H_E_NS1_11comp_targetILNS1_3genE2ELNS1_11target_archE906ELNS1_3gpuE6ELNS1_3repE0EEENS1_30default_config_static_selectorELNS0_4arch9wavefront6targetE0EEEvSV_
; %bb.0:
	.section	.rodata,"a",@progbits
	.p2align	6, 0x0
	.amdhsa_kernel _ZN7rocprim17ROCPRIM_400000_NS6detail17trampoline_kernelINS0_13select_configILj256ELj13ELNS0_17block_load_methodE3ELS4_3ELS4_3ELNS0_20block_scan_algorithmE0ELj4294967295EEENS1_25partition_config_selectorILNS1_17partition_subalgoE3EjNS0_10empty_typeEbEEZZNS1_14partition_implILS8_3ELb0ES6_jNS0_17counting_iteratorIjlEEPS9_SE_NS0_5tupleIJPjSE_EEENSF_IJSE_SE_EEES9_SG_JZNS1_25segmented_radix_sort_implINS0_14default_configELb0EPKlPlSM_SN_N2at6native12_GLOBAL__N_18offset_tEEE10hipError_tPvRmT1_PNSt15iterator_traitsISV_E10value_typeET2_T3_PNSW_IS11_E10value_typeET4_jRbjT5_S17_jjP12ihipStream_tbEUljE_EEESS_ST_SU_S11_S15_S17_T6_T7_T9_mT8_S19_bDpT10_ENKUlT_T0_E_clISt17integral_constantIbLb0EES1M_EEDaS1H_S1I_EUlS1H_E_NS1_11comp_targetILNS1_3genE2ELNS1_11target_archE906ELNS1_3gpuE6ELNS1_3repE0EEENS1_30default_config_static_selectorELNS0_4arch9wavefront6targetE0EEEvSV_
		.amdhsa_group_segment_fixed_size 0
		.amdhsa_private_segment_fixed_size 0
		.amdhsa_kernarg_size 144
		.amdhsa_user_sgpr_count 2
		.amdhsa_user_sgpr_dispatch_ptr 0
		.amdhsa_user_sgpr_queue_ptr 0
		.amdhsa_user_sgpr_kernarg_segment_ptr 1
		.amdhsa_user_sgpr_dispatch_id 0
		.amdhsa_user_sgpr_kernarg_preload_length 0
		.amdhsa_user_sgpr_kernarg_preload_offset 0
		.amdhsa_user_sgpr_private_segment_size 0
		.amdhsa_wavefront_size32 1
		.amdhsa_uses_dynamic_stack 0
		.amdhsa_enable_private_segment 0
		.amdhsa_system_sgpr_workgroup_id_x 1
		.amdhsa_system_sgpr_workgroup_id_y 0
		.amdhsa_system_sgpr_workgroup_id_z 0
		.amdhsa_system_sgpr_workgroup_info 0
		.amdhsa_system_vgpr_workitem_id 0
		.amdhsa_next_free_vgpr 1
		.amdhsa_next_free_sgpr 1
		.amdhsa_named_barrier_count 0
		.amdhsa_reserve_vcc 0
		.amdhsa_float_round_mode_32 0
		.amdhsa_float_round_mode_16_64 0
		.amdhsa_float_denorm_mode_32 3
		.amdhsa_float_denorm_mode_16_64 3
		.amdhsa_fp16_overflow 0
		.amdhsa_memory_ordered 1
		.amdhsa_forward_progress 1
		.amdhsa_inst_pref_size 0
		.amdhsa_round_robin_scheduling 0
		.amdhsa_exception_fp_ieee_invalid_op 0
		.amdhsa_exception_fp_denorm_src 0
		.amdhsa_exception_fp_ieee_div_zero 0
		.amdhsa_exception_fp_ieee_overflow 0
		.amdhsa_exception_fp_ieee_underflow 0
		.amdhsa_exception_fp_ieee_inexact 0
		.amdhsa_exception_int_div_zero 0
	.end_amdhsa_kernel
	.section	.text._ZN7rocprim17ROCPRIM_400000_NS6detail17trampoline_kernelINS0_13select_configILj256ELj13ELNS0_17block_load_methodE3ELS4_3ELS4_3ELNS0_20block_scan_algorithmE0ELj4294967295EEENS1_25partition_config_selectorILNS1_17partition_subalgoE3EjNS0_10empty_typeEbEEZZNS1_14partition_implILS8_3ELb0ES6_jNS0_17counting_iteratorIjlEEPS9_SE_NS0_5tupleIJPjSE_EEENSF_IJSE_SE_EEES9_SG_JZNS1_25segmented_radix_sort_implINS0_14default_configELb0EPKlPlSM_SN_N2at6native12_GLOBAL__N_18offset_tEEE10hipError_tPvRmT1_PNSt15iterator_traitsISV_E10value_typeET2_T3_PNSW_IS11_E10value_typeET4_jRbjT5_S17_jjP12ihipStream_tbEUljE_EEESS_ST_SU_S11_S15_S17_T6_T7_T9_mT8_S19_bDpT10_ENKUlT_T0_E_clISt17integral_constantIbLb0EES1M_EEDaS1H_S1I_EUlS1H_E_NS1_11comp_targetILNS1_3genE2ELNS1_11target_archE906ELNS1_3gpuE6ELNS1_3repE0EEENS1_30default_config_static_selectorELNS0_4arch9wavefront6targetE0EEEvSV_,"axG",@progbits,_ZN7rocprim17ROCPRIM_400000_NS6detail17trampoline_kernelINS0_13select_configILj256ELj13ELNS0_17block_load_methodE3ELS4_3ELS4_3ELNS0_20block_scan_algorithmE0ELj4294967295EEENS1_25partition_config_selectorILNS1_17partition_subalgoE3EjNS0_10empty_typeEbEEZZNS1_14partition_implILS8_3ELb0ES6_jNS0_17counting_iteratorIjlEEPS9_SE_NS0_5tupleIJPjSE_EEENSF_IJSE_SE_EEES9_SG_JZNS1_25segmented_radix_sort_implINS0_14default_configELb0EPKlPlSM_SN_N2at6native12_GLOBAL__N_18offset_tEEE10hipError_tPvRmT1_PNSt15iterator_traitsISV_E10value_typeET2_T3_PNSW_IS11_E10value_typeET4_jRbjT5_S17_jjP12ihipStream_tbEUljE_EEESS_ST_SU_S11_S15_S17_T6_T7_T9_mT8_S19_bDpT10_ENKUlT_T0_E_clISt17integral_constantIbLb0EES1M_EEDaS1H_S1I_EUlS1H_E_NS1_11comp_targetILNS1_3genE2ELNS1_11target_archE906ELNS1_3gpuE6ELNS1_3repE0EEENS1_30default_config_static_selectorELNS0_4arch9wavefront6targetE0EEEvSV_,comdat
.Lfunc_end775:
	.size	_ZN7rocprim17ROCPRIM_400000_NS6detail17trampoline_kernelINS0_13select_configILj256ELj13ELNS0_17block_load_methodE3ELS4_3ELS4_3ELNS0_20block_scan_algorithmE0ELj4294967295EEENS1_25partition_config_selectorILNS1_17partition_subalgoE3EjNS0_10empty_typeEbEEZZNS1_14partition_implILS8_3ELb0ES6_jNS0_17counting_iteratorIjlEEPS9_SE_NS0_5tupleIJPjSE_EEENSF_IJSE_SE_EEES9_SG_JZNS1_25segmented_radix_sort_implINS0_14default_configELb0EPKlPlSM_SN_N2at6native12_GLOBAL__N_18offset_tEEE10hipError_tPvRmT1_PNSt15iterator_traitsISV_E10value_typeET2_T3_PNSW_IS11_E10value_typeET4_jRbjT5_S17_jjP12ihipStream_tbEUljE_EEESS_ST_SU_S11_S15_S17_T6_T7_T9_mT8_S19_bDpT10_ENKUlT_T0_E_clISt17integral_constantIbLb0EES1M_EEDaS1H_S1I_EUlS1H_E_NS1_11comp_targetILNS1_3genE2ELNS1_11target_archE906ELNS1_3gpuE6ELNS1_3repE0EEENS1_30default_config_static_selectorELNS0_4arch9wavefront6targetE0EEEvSV_, .Lfunc_end775-_ZN7rocprim17ROCPRIM_400000_NS6detail17trampoline_kernelINS0_13select_configILj256ELj13ELNS0_17block_load_methodE3ELS4_3ELS4_3ELNS0_20block_scan_algorithmE0ELj4294967295EEENS1_25partition_config_selectorILNS1_17partition_subalgoE3EjNS0_10empty_typeEbEEZZNS1_14partition_implILS8_3ELb0ES6_jNS0_17counting_iteratorIjlEEPS9_SE_NS0_5tupleIJPjSE_EEENSF_IJSE_SE_EEES9_SG_JZNS1_25segmented_radix_sort_implINS0_14default_configELb0EPKlPlSM_SN_N2at6native12_GLOBAL__N_18offset_tEEE10hipError_tPvRmT1_PNSt15iterator_traitsISV_E10value_typeET2_T3_PNSW_IS11_E10value_typeET4_jRbjT5_S17_jjP12ihipStream_tbEUljE_EEESS_ST_SU_S11_S15_S17_T6_T7_T9_mT8_S19_bDpT10_ENKUlT_T0_E_clISt17integral_constantIbLb0EES1M_EEDaS1H_S1I_EUlS1H_E_NS1_11comp_targetILNS1_3genE2ELNS1_11target_archE906ELNS1_3gpuE6ELNS1_3repE0EEENS1_30default_config_static_selectorELNS0_4arch9wavefront6targetE0EEEvSV_
                                        ; -- End function
	.set _ZN7rocprim17ROCPRIM_400000_NS6detail17trampoline_kernelINS0_13select_configILj256ELj13ELNS0_17block_load_methodE3ELS4_3ELS4_3ELNS0_20block_scan_algorithmE0ELj4294967295EEENS1_25partition_config_selectorILNS1_17partition_subalgoE3EjNS0_10empty_typeEbEEZZNS1_14partition_implILS8_3ELb0ES6_jNS0_17counting_iteratorIjlEEPS9_SE_NS0_5tupleIJPjSE_EEENSF_IJSE_SE_EEES9_SG_JZNS1_25segmented_radix_sort_implINS0_14default_configELb0EPKlPlSM_SN_N2at6native12_GLOBAL__N_18offset_tEEE10hipError_tPvRmT1_PNSt15iterator_traitsISV_E10value_typeET2_T3_PNSW_IS11_E10value_typeET4_jRbjT5_S17_jjP12ihipStream_tbEUljE_EEESS_ST_SU_S11_S15_S17_T6_T7_T9_mT8_S19_bDpT10_ENKUlT_T0_E_clISt17integral_constantIbLb0EES1M_EEDaS1H_S1I_EUlS1H_E_NS1_11comp_targetILNS1_3genE2ELNS1_11target_archE906ELNS1_3gpuE6ELNS1_3repE0EEENS1_30default_config_static_selectorELNS0_4arch9wavefront6targetE0EEEvSV_.num_vgpr, 0
	.set _ZN7rocprim17ROCPRIM_400000_NS6detail17trampoline_kernelINS0_13select_configILj256ELj13ELNS0_17block_load_methodE3ELS4_3ELS4_3ELNS0_20block_scan_algorithmE0ELj4294967295EEENS1_25partition_config_selectorILNS1_17partition_subalgoE3EjNS0_10empty_typeEbEEZZNS1_14partition_implILS8_3ELb0ES6_jNS0_17counting_iteratorIjlEEPS9_SE_NS0_5tupleIJPjSE_EEENSF_IJSE_SE_EEES9_SG_JZNS1_25segmented_radix_sort_implINS0_14default_configELb0EPKlPlSM_SN_N2at6native12_GLOBAL__N_18offset_tEEE10hipError_tPvRmT1_PNSt15iterator_traitsISV_E10value_typeET2_T3_PNSW_IS11_E10value_typeET4_jRbjT5_S17_jjP12ihipStream_tbEUljE_EEESS_ST_SU_S11_S15_S17_T6_T7_T9_mT8_S19_bDpT10_ENKUlT_T0_E_clISt17integral_constantIbLb0EES1M_EEDaS1H_S1I_EUlS1H_E_NS1_11comp_targetILNS1_3genE2ELNS1_11target_archE906ELNS1_3gpuE6ELNS1_3repE0EEENS1_30default_config_static_selectorELNS0_4arch9wavefront6targetE0EEEvSV_.num_agpr, 0
	.set _ZN7rocprim17ROCPRIM_400000_NS6detail17trampoline_kernelINS0_13select_configILj256ELj13ELNS0_17block_load_methodE3ELS4_3ELS4_3ELNS0_20block_scan_algorithmE0ELj4294967295EEENS1_25partition_config_selectorILNS1_17partition_subalgoE3EjNS0_10empty_typeEbEEZZNS1_14partition_implILS8_3ELb0ES6_jNS0_17counting_iteratorIjlEEPS9_SE_NS0_5tupleIJPjSE_EEENSF_IJSE_SE_EEES9_SG_JZNS1_25segmented_radix_sort_implINS0_14default_configELb0EPKlPlSM_SN_N2at6native12_GLOBAL__N_18offset_tEEE10hipError_tPvRmT1_PNSt15iterator_traitsISV_E10value_typeET2_T3_PNSW_IS11_E10value_typeET4_jRbjT5_S17_jjP12ihipStream_tbEUljE_EEESS_ST_SU_S11_S15_S17_T6_T7_T9_mT8_S19_bDpT10_ENKUlT_T0_E_clISt17integral_constantIbLb0EES1M_EEDaS1H_S1I_EUlS1H_E_NS1_11comp_targetILNS1_3genE2ELNS1_11target_archE906ELNS1_3gpuE6ELNS1_3repE0EEENS1_30default_config_static_selectorELNS0_4arch9wavefront6targetE0EEEvSV_.numbered_sgpr, 0
	.set _ZN7rocprim17ROCPRIM_400000_NS6detail17trampoline_kernelINS0_13select_configILj256ELj13ELNS0_17block_load_methodE3ELS4_3ELS4_3ELNS0_20block_scan_algorithmE0ELj4294967295EEENS1_25partition_config_selectorILNS1_17partition_subalgoE3EjNS0_10empty_typeEbEEZZNS1_14partition_implILS8_3ELb0ES6_jNS0_17counting_iteratorIjlEEPS9_SE_NS0_5tupleIJPjSE_EEENSF_IJSE_SE_EEES9_SG_JZNS1_25segmented_radix_sort_implINS0_14default_configELb0EPKlPlSM_SN_N2at6native12_GLOBAL__N_18offset_tEEE10hipError_tPvRmT1_PNSt15iterator_traitsISV_E10value_typeET2_T3_PNSW_IS11_E10value_typeET4_jRbjT5_S17_jjP12ihipStream_tbEUljE_EEESS_ST_SU_S11_S15_S17_T6_T7_T9_mT8_S19_bDpT10_ENKUlT_T0_E_clISt17integral_constantIbLb0EES1M_EEDaS1H_S1I_EUlS1H_E_NS1_11comp_targetILNS1_3genE2ELNS1_11target_archE906ELNS1_3gpuE6ELNS1_3repE0EEENS1_30default_config_static_selectorELNS0_4arch9wavefront6targetE0EEEvSV_.num_named_barrier, 0
	.set _ZN7rocprim17ROCPRIM_400000_NS6detail17trampoline_kernelINS0_13select_configILj256ELj13ELNS0_17block_load_methodE3ELS4_3ELS4_3ELNS0_20block_scan_algorithmE0ELj4294967295EEENS1_25partition_config_selectorILNS1_17partition_subalgoE3EjNS0_10empty_typeEbEEZZNS1_14partition_implILS8_3ELb0ES6_jNS0_17counting_iteratorIjlEEPS9_SE_NS0_5tupleIJPjSE_EEENSF_IJSE_SE_EEES9_SG_JZNS1_25segmented_radix_sort_implINS0_14default_configELb0EPKlPlSM_SN_N2at6native12_GLOBAL__N_18offset_tEEE10hipError_tPvRmT1_PNSt15iterator_traitsISV_E10value_typeET2_T3_PNSW_IS11_E10value_typeET4_jRbjT5_S17_jjP12ihipStream_tbEUljE_EEESS_ST_SU_S11_S15_S17_T6_T7_T9_mT8_S19_bDpT10_ENKUlT_T0_E_clISt17integral_constantIbLb0EES1M_EEDaS1H_S1I_EUlS1H_E_NS1_11comp_targetILNS1_3genE2ELNS1_11target_archE906ELNS1_3gpuE6ELNS1_3repE0EEENS1_30default_config_static_selectorELNS0_4arch9wavefront6targetE0EEEvSV_.private_seg_size, 0
	.set _ZN7rocprim17ROCPRIM_400000_NS6detail17trampoline_kernelINS0_13select_configILj256ELj13ELNS0_17block_load_methodE3ELS4_3ELS4_3ELNS0_20block_scan_algorithmE0ELj4294967295EEENS1_25partition_config_selectorILNS1_17partition_subalgoE3EjNS0_10empty_typeEbEEZZNS1_14partition_implILS8_3ELb0ES6_jNS0_17counting_iteratorIjlEEPS9_SE_NS0_5tupleIJPjSE_EEENSF_IJSE_SE_EEES9_SG_JZNS1_25segmented_radix_sort_implINS0_14default_configELb0EPKlPlSM_SN_N2at6native12_GLOBAL__N_18offset_tEEE10hipError_tPvRmT1_PNSt15iterator_traitsISV_E10value_typeET2_T3_PNSW_IS11_E10value_typeET4_jRbjT5_S17_jjP12ihipStream_tbEUljE_EEESS_ST_SU_S11_S15_S17_T6_T7_T9_mT8_S19_bDpT10_ENKUlT_T0_E_clISt17integral_constantIbLb0EES1M_EEDaS1H_S1I_EUlS1H_E_NS1_11comp_targetILNS1_3genE2ELNS1_11target_archE906ELNS1_3gpuE6ELNS1_3repE0EEENS1_30default_config_static_selectorELNS0_4arch9wavefront6targetE0EEEvSV_.uses_vcc, 0
	.set _ZN7rocprim17ROCPRIM_400000_NS6detail17trampoline_kernelINS0_13select_configILj256ELj13ELNS0_17block_load_methodE3ELS4_3ELS4_3ELNS0_20block_scan_algorithmE0ELj4294967295EEENS1_25partition_config_selectorILNS1_17partition_subalgoE3EjNS0_10empty_typeEbEEZZNS1_14partition_implILS8_3ELb0ES6_jNS0_17counting_iteratorIjlEEPS9_SE_NS0_5tupleIJPjSE_EEENSF_IJSE_SE_EEES9_SG_JZNS1_25segmented_radix_sort_implINS0_14default_configELb0EPKlPlSM_SN_N2at6native12_GLOBAL__N_18offset_tEEE10hipError_tPvRmT1_PNSt15iterator_traitsISV_E10value_typeET2_T3_PNSW_IS11_E10value_typeET4_jRbjT5_S17_jjP12ihipStream_tbEUljE_EEESS_ST_SU_S11_S15_S17_T6_T7_T9_mT8_S19_bDpT10_ENKUlT_T0_E_clISt17integral_constantIbLb0EES1M_EEDaS1H_S1I_EUlS1H_E_NS1_11comp_targetILNS1_3genE2ELNS1_11target_archE906ELNS1_3gpuE6ELNS1_3repE0EEENS1_30default_config_static_selectorELNS0_4arch9wavefront6targetE0EEEvSV_.uses_flat_scratch, 0
	.set _ZN7rocprim17ROCPRIM_400000_NS6detail17trampoline_kernelINS0_13select_configILj256ELj13ELNS0_17block_load_methodE3ELS4_3ELS4_3ELNS0_20block_scan_algorithmE0ELj4294967295EEENS1_25partition_config_selectorILNS1_17partition_subalgoE3EjNS0_10empty_typeEbEEZZNS1_14partition_implILS8_3ELb0ES6_jNS0_17counting_iteratorIjlEEPS9_SE_NS0_5tupleIJPjSE_EEENSF_IJSE_SE_EEES9_SG_JZNS1_25segmented_radix_sort_implINS0_14default_configELb0EPKlPlSM_SN_N2at6native12_GLOBAL__N_18offset_tEEE10hipError_tPvRmT1_PNSt15iterator_traitsISV_E10value_typeET2_T3_PNSW_IS11_E10value_typeET4_jRbjT5_S17_jjP12ihipStream_tbEUljE_EEESS_ST_SU_S11_S15_S17_T6_T7_T9_mT8_S19_bDpT10_ENKUlT_T0_E_clISt17integral_constantIbLb0EES1M_EEDaS1H_S1I_EUlS1H_E_NS1_11comp_targetILNS1_3genE2ELNS1_11target_archE906ELNS1_3gpuE6ELNS1_3repE0EEENS1_30default_config_static_selectorELNS0_4arch9wavefront6targetE0EEEvSV_.has_dyn_sized_stack, 0
	.set _ZN7rocprim17ROCPRIM_400000_NS6detail17trampoline_kernelINS0_13select_configILj256ELj13ELNS0_17block_load_methodE3ELS4_3ELS4_3ELNS0_20block_scan_algorithmE0ELj4294967295EEENS1_25partition_config_selectorILNS1_17partition_subalgoE3EjNS0_10empty_typeEbEEZZNS1_14partition_implILS8_3ELb0ES6_jNS0_17counting_iteratorIjlEEPS9_SE_NS0_5tupleIJPjSE_EEENSF_IJSE_SE_EEES9_SG_JZNS1_25segmented_radix_sort_implINS0_14default_configELb0EPKlPlSM_SN_N2at6native12_GLOBAL__N_18offset_tEEE10hipError_tPvRmT1_PNSt15iterator_traitsISV_E10value_typeET2_T3_PNSW_IS11_E10value_typeET4_jRbjT5_S17_jjP12ihipStream_tbEUljE_EEESS_ST_SU_S11_S15_S17_T6_T7_T9_mT8_S19_bDpT10_ENKUlT_T0_E_clISt17integral_constantIbLb0EES1M_EEDaS1H_S1I_EUlS1H_E_NS1_11comp_targetILNS1_3genE2ELNS1_11target_archE906ELNS1_3gpuE6ELNS1_3repE0EEENS1_30default_config_static_selectorELNS0_4arch9wavefront6targetE0EEEvSV_.has_recursion, 0
	.set _ZN7rocprim17ROCPRIM_400000_NS6detail17trampoline_kernelINS0_13select_configILj256ELj13ELNS0_17block_load_methodE3ELS4_3ELS4_3ELNS0_20block_scan_algorithmE0ELj4294967295EEENS1_25partition_config_selectorILNS1_17partition_subalgoE3EjNS0_10empty_typeEbEEZZNS1_14partition_implILS8_3ELb0ES6_jNS0_17counting_iteratorIjlEEPS9_SE_NS0_5tupleIJPjSE_EEENSF_IJSE_SE_EEES9_SG_JZNS1_25segmented_radix_sort_implINS0_14default_configELb0EPKlPlSM_SN_N2at6native12_GLOBAL__N_18offset_tEEE10hipError_tPvRmT1_PNSt15iterator_traitsISV_E10value_typeET2_T3_PNSW_IS11_E10value_typeET4_jRbjT5_S17_jjP12ihipStream_tbEUljE_EEESS_ST_SU_S11_S15_S17_T6_T7_T9_mT8_S19_bDpT10_ENKUlT_T0_E_clISt17integral_constantIbLb0EES1M_EEDaS1H_S1I_EUlS1H_E_NS1_11comp_targetILNS1_3genE2ELNS1_11target_archE906ELNS1_3gpuE6ELNS1_3repE0EEENS1_30default_config_static_selectorELNS0_4arch9wavefront6targetE0EEEvSV_.has_indirect_call, 0
	.section	.AMDGPU.csdata,"",@progbits
; Kernel info:
; codeLenInByte = 0
; TotalNumSgprs: 0
; NumVgprs: 0
; ScratchSize: 0
; MemoryBound: 0
; FloatMode: 240
; IeeeMode: 1
; LDSByteSize: 0 bytes/workgroup (compile time only)
; SGPRBlocks: 0
; VGPRBlocks: 0
; NumSGPRsForWavesPerEU: 1
; NumVGPRsForWavesPerEU: 1
; NamedBarCnt: 0
; Occupancy: 16
; WaveLimiterHint : 0
; COMPUTE_PGM_RSRC2:SCRATCH_EN: 0
; COMPUTE_PGM_RSRC2:USER_SGPR: 2
; COMPUTE_PGM_RSRC2:TRAP_HANDLER: 0
; COMPUTE_PGM_RSRC2:TGID_X_EN: 1
; COMPUTE_PGM_RSRC2:TGID_Y_EN: 0
; COMPUTE_PGM_RSRC2:TGID_Z_EN: 0
; COMPUTE_PGM_RSRC2:TIDIG_COMP_CNT: 0
	.section	.text._ZN7rocprim17ROCPRIM_400000_NS6detail17trampoline_kernelINS0_13select_configILj256ELj13ELNS0_17block_load_methodE3ELS4_3ELS4_3ELNS0_20block_scan_algorithmE0ELj4294967295EEENS1_25partition_config_selectorILNS1_17partition_subalgoE3EjNS0_10empty_typeEbEEZZNS1_14partition_implILS8_3ELb0ES6_jNS0_17counting_iteratorIjlEEPS9_SE_NS0_5tupleIJPjSE_EEENSF_IJSE_SE_EEES9_SG_JZNS1_25segmented_radix_sort_implINS0_14default_configELb0EPKlPlSM_SN_N2at6native12_GLOBAL__N_18offset_tEEE10hipError_tPvRmT1_PNSt15iterator_traitsISV_E10value_typeET2_T3_PNSW_IS11_E10value_typeET4_jRbjT5_S17_jjP12ihipStream_tbEUljE_EEESS_ST_SU_S11_S15_S17_T6_T7_T9_mT8_S19_bDpT10_ENKUlT_T0_E_clISt17integral_constantIbLb0EES1M_EEDaS1H_S1I_EUlS1H_E_NS1_11comp_targetILNS1_3genE10ELNS1_11target_archE1200ELNS1_3gpuE4ELNS1_3repE0EEENS1_30default_config_static_selectorELNS0_4arch9wavefront6targetE0EEEvSV_,"axG",@progbits,_ZN7rocprim17ROCPRIM_400000_NS6detail17trampoline_kernelINS0_13select_configILj256ELj13ELNS0_17block_load_methodE3ELS4_3ELS4_3ELNS0_20block_scan_algorithmE0ELj4294967295EEENS1_25partition_config_selectorILNS1_17partition_subalgoE3EjNS0_10empty_typeEbEEZZNS1_14partition_implILS8_3ELb0ES6_jNS0_17counting_iteratorIjlEEPS9_SE_NS0_5tupleIJPjSE_EEENSF_IJSE_SE_EEES9_SG_JZNS1_25segmented_radix_sort_implINS0_14default_configELb0EPKlPlSM_SN_N2at6native12_GLOBAL__N_18offset_tEEE10hipError_tPvRmT1_PNSt15iterator_traitsISV_E10value_typeET2_T3_PNSW_IS11_E10value_typeET4_jRbjT5_S17_jjP12ihipStream_tbEUljE_EEESS_ST_SU_S11_S15_S17_T6_T7_T9_mT8_S19_bDpT10_ENKUlT_T0_E_clISt17integral_constantIbLb0EES1M_EEDaS1H_S1I_EUlS1H_E_NS1_11comp_targetILNS1_3genE10ELNS1_11target_archE1200ELNS1_3gpuE4ELNS1_3repE0EEENS1_30default_config_static_selectorELNS0_4arch9wavefront6targetE0EEEvSV_,comdat
	.globl	_ZN7rocprim17ROCPRIM_400000_NS6detail17trampoline_kernelINS0_13select_configILj256ELj13ELNS0_17block_load_methodE3ELS4_3ELS4_3ELNS0_20block_scan_algorithmE0ELj4294967295EEENS1_25partition_config_selectorILNS1_17partition_subalgoE3EjNS0_10empty_typeEbEEZZNS1_14partition_implILS8_3ELb0ES6_jNS0_17counting_iteratorIjlEEPS9_SE_NS0_5tupleIJPjSE_EEENSF_IJSE_SE_EEES9_SG_JZNS1_25segmented_radix_sort_implINS0_14default_configELb0EPKlPlSM_SN_N2at6native12_GLOBAL__N_18offset_tEEE10hipError_tPvRmT1_PNSt15iterator_traitsISV_E10value_typeET2_T3_PNSW_IS11_E10value_typeET4_jRbjT5_S17_jjP12ihipStream_tbEUljE_EEESS_ST_SU_S11_S15_S17_T6_T7_T9_mT8_S19_bDpT10_ENKUlT_T0_E_clISt17integral_constantIbLb0EES1M_EEDaS1H_S1I_EUlS1H_E_NS1_11comp_targetILNS1_3genE10ELNS1_11target_archE1200ELNS1_3gpuE4ELNS1_3repE0EEENS1_30default_config_static_selectorELNS0_4arch9wavefront6targetE0EEEvSV_ ; -- Begin function _ZN7rocprim17ROCPRIM_400000_NS6detail17trampoline_kernelINS0_13select_configILj256ELj13ELNS0_17block_load_methodE3ELS4_3ELS4_3ELNS0_20block_scan_algorithmE0ELj4294967295EEENS1_25partition_config_selectorILNS1_17partition_subalgoE3EjNS0_10empty_typeEbEEZZNS1_14partition_implILS8_3ELb0ES6_jNS0_17counting_iteratorIjlEEPS9_SE_NS0_5tupleIJPjSE_EEENSF_IJSE_SE_EEES9_SG_JZNS1_25segmented_radix_sort_implINS0_14default_configELb0EPKlPlSM_SN_N2at6native12_GLOBAL__N_18offset_tEEE10hipError_tPvRmT1_PNSt15iterator_traitsISV_E10value_typeET2_T3_PNSW_IS11_E10value_typeET4_jRbjT5_S17_jjP12ihipStream_tbEUljE_EEESS_ST_SU_S11_S15_S17_T6_T7_T9_mT8_S19_bDpT10_ENKUlT_T0_E_clISt17integral_constantIbLb0EES1M_EEDaS1H_S1I_EUlS1H_E_NS1_11comp_targetILNS1_3genE10ELNS1_11target_archE1200ELNS1_3gpuE4ELNS1_3repE0EEENS1_30default_config_static_selectorELNS0_4arch9wavefront6targetE0EEEvSV_
	.p2align	8
	.type	_ZN7rocprim17ROCPRIM_400000_NS6detail17trampoline_kernelINS0_13select_configILj256ELj13ELNS0_17block_load_methodE3ELS4_3ELS4_3ELNS0_20block_scan_algorithmE0ELj4294967295EEENS1_25partition_config_selectorILNS1_17partition_subalgoE3EjNS0_10empty_typeEbEEZZNS1_14partition_implILS8_3ELb0ES6_jNS0_17counting_iteratorIjlEEPS9_SE_NS0_5tupleIJPjSE_EEENSF_IJSE_SE_EEES9_SG_JZNS1_25segmented_radix_sort_implINS0_14default_configELb0EPKlPlSM_SN_N2at6native12_GLOBAL__N_18offset_tEEE10hipError_tPvRmT1_PNSt15iterator_traitsISV_E10value_typeET2_T3_PNSW_IS11_E10value_typeET4_jRbjT5_S17_jjP12ihipStream_tbEUljE_EEESS_ST_SU_S11_S15_S17_T6_T7_T9_mT8_S19_bDpT10_ENKUlT_T0_E_clISt17integral_constantIbLb0EES1M_EEDaS1H_S1I_EUlS1H_E_NS1_11comp_targetILNS1_3genE10ELNS1_11target_archE1200ELNS1_3gpuE4ELNS1_3repE0EEENS1_30default_config_static_selectorELNS0_4arch9wavefront6targetE0EEEvSV_,@function
_ZN7rocprim17ROCPRIM_400000_NS6detail17trampoline_kernelINS0_13select_configILj256ELj13ELNS0_17block_load_methodE3ELS4_3ELS4_3ELNS0_20block_scan_algorithmE0ELj4294967295EEENS1_25partition_config_selectorILNS1_17partition_subalgoE3EjNS0_10empty_typeEbEEZZNS1_14partition_implILS8_3ELb0ES6_jNS0_17counting_iteratorIjlEEPS9_SE_NS0_5tupleIJPjSE_EEENSF_IJSE_SE_EEES9_SG_JZNS1_25segmented_radix_sort_implINS0_14default_configELb0EPKlPlSM_SN_N2at6native12_GLOBAL__N_18offset_tEEE10hipError_tPvRmT1_PNSt15iterator_traitsISV_E10value_typeET2_T3_PNSW_IS11_E10value_typeET4_jRbjT5_S17_jjP12ihipStream_tbEUljE_EEESS_ST_SU_S11_S15_S17_T6_T7_T9_mT8_S19_bDpT10_ENKUlT_T0_E_clISt17integral_constantIbLb0EES1M_EEDaS1H_S1I_EUlS1H_E_NS1_11comp_targetILNS1_3genE10ELNS1_11target_archE1200ELNS1_3gpuE4ELNS1_3repE0EEENS1_30default_config_static_selectorELNS0_4arch9wavefront6targetE0EEEvSV_: ; @_ZN7rocprim17ROCPRIM_400000_NS6detail17trampoline_kernelINS0_13select_configILj256ELj13ELNS0_17block_load_methodE3ELS4_3ELS4_3ELNS0_20block_scan_algorithmE0ELj4294967295EEENS1_25partition_config_selectorILNS1_17partition_subalgoE3EjNS0_10empty_typeEbEEZZNS1_14partition_implILS8_3ELb0ES6_jNS0_17counting_iteratorIjlEEPS9_SE_NS0_5tupleIJPjSE_EEENSF_IJSE_SE_EEES9_SG_JZNS1_25segmented_radix_sort_implINS0_14default_configELb0EPKlPlSM_SN_N2at6native12_GLOBAL__N_18offset_tEEE10hipError_tPvRmT1_PNSt15iterator_traitsISV_E10value_typeET2_T3_PNSW_IS11_E10value_typeET4_jRbjT5_S17_jjP12ihipStream_tbEUljE_EEESS_ST_SU_S11_S15_S17_T6_T7_T9_mT8_S19_bDpT10_ENKUlT_T0_E_clISt17integral_constantIbLb0EES1M_EEDaS1H_S1I_EUlS1H_E_NS1_11comp_targetILNS1_3genE10ELNS1_11target_archE1200ELNS1_3gpuE4ELNS1_3repE0EEENS1_30default_config_static_selectorELNS0_4arch9wavefront6targetE0EEEvSV_
; %bb.0:
	.section	.rodata,"a",@progbits
	.p2align	6, 0x0
	.amdhsa_kernel _ZN7rocprim17ROCPRIM_400000_NS6detail17trampoline_kernelINS0_13select_configILj256ELj13ELNS0_17block_load_methodE3ELS4_3ELS4_3ELNS0_20block_scan_algorithmE0ELj4294967295EEENS1_25partition_config_selectorILNS1_17partition_subalgoE3EjNS0_10empty_typeEbEEZZNS1_14partition_implILS8_3ELb0ES6_jNS0_17counting_iteratorIjlEEPS9_SE_NS0_5tupleIJPjSE_EEENSF_IJSE_SE_EEES9_SG_JZNS1_25segmented_radix_sort_implINS0_14default_configELb0EPKlPlSM_SN_N2at6native12_GLOBAL__N_18offset_tEEE10hipError_tPvRmT1_PNSt15iterator_traitsISV_E10value_typeET2_T3_PNSW_IS11_E10value_typeET4_jRbjT5_S17_jjP12ihipStream_tbEUljE_EEESS_ST_SU_S11_S15_S17_T6_T7_T9_mT8_S19_bDpT10_ENKUlT_T0_E_clISt17integral_constantIbLb0EES1M_EEDaS1H_S1I_EUlS1H_E_NS1_11comp_targetILNS1_3genE10ELNS1_11target_archE1200ELNS1_3gpuE4ELNS1_3repE0EEENS1_30default_config_static_selectorELNS0_4arch9wavefront6targetE0EEEvSV_
		.amdhsa_group_segment_fixed_size 0
		.amdhsa_private_segment_fixed_size 0
		.amdhsa_kernarg_size 144
		.amdhsa_user_sgpr_count 2
		.amdhsa_user_sgpr_dispatch_ptr 0
		.amdhsa_user_sgpr_queue_ptr 0
		.amdhsa_user_sgpr_kernarg_segment_ptr 1
		.amdhsa_user_sgpr_dispatch_id 0
		.amdhsa_user_sgpr_kernarg_preload_length 0
		.amdhsa_user_sgpr_kernarg_preload_offset 0
		.amdhsa_user_sgpr_private_segment_size 0
		.amdhsa_wavefront_size32 1
		.amdhsa_uses_dynamic_stack 0
		.amdhsa_enable_private_segment 0
		.amdhsa_system_sgpr_workgroup_id_x 1
		.amdhsa_system_sgpr_workgroup_id_y 0
		.amdhsa_system_sgpr_workgroup_id_z 0
		.amdhsa_system_sgpr_workgroup_info 0
		.amdhsa_system_vgpr_workitem_id 0
		.amdhsa_next_free_vgpr 1
		.amdhsa_next_free_sgpr 1
		.amdhsa_named_barrier_count 0
		.amdhsa_reserve_vcc 0
		.amdhsa_float_round_mode_32 0
		.amdhsa_float_round_mode_16_64 0
		.amdhsa_float_denorm_mode_32 3
		.amdhsa_float_denorm_mode_16_64 3
		.amdhsa_fp16_overflow 0
		.amdhsa_memory_ordered 1
		.amdhsa_forward_progress 1
		.amdhsa_inst_pref_size 0
		.amdhsa_round_robin_scheduling 0
		.amdhsa_exception_fp_ieee_invalid_op 0
		.amdhsa_exception_fp_denorm_src 0
		.amdhsa_exception_fp_ieee_div_zero 0
		.amdhsa_exception_fp_ieee_overflow 0
		.amdhsa_exception_fp_ieee_underflow 0
		.amdhsa_exception_fp_ieee_inexact 0
		.amdhsa_exception_int_div_zero 0
	.end_amdhsa_kernel
	.section	.text._ZN7rocprim17ROCPRIM_400000_NS6detail17trampoline_kernelINS0_13select_configILj256ELj13ELNS0_17block_load_methodE3ELS4_3ELS4_3ELNS0_20block_scan_algorithmE0ELj4294967295EEENS1_25partition_config_selectorILNS1_17partition_subalgoE3EjNS0_10empty_typeEbEEZZNS1_14partition_implILS8_3ELb0ES6_jNS0_17counting_iteratorIjlEEPS9_SE_NS0_5tupleIJPjSE_EEENSF_IJSE_SE_EEES9_SG_JZNS1_25segmented_radix_sort_implINS0_14default_configELb0EPKlPlSM_SN_N2at6native12_GLOBAL__N_18offset_tEEE10hipError_tPvRmT1_PNSt15iterator_traitsISV_E10value_typeET2_T3_PNSW_IS11_E10value_typeET4_jRbjT5_S17_jjP12ihipStream_tbEUljE_EEESS_ST_SU_S11_S15_S17_T6_T7_T9_mT8_S19_bDpT10_ENKUlT_T0_E_clISt17integral_constantIbLb0EES1M_EEDaS1H_S1I_EUlS1H_E_NS1_11comp_targetILNS1_3genE10ELNS1_11target_archE1200ELNS1_3gpuE4ELNS1_3repE0EEENS1_30default_config_static_selectorELNS0_4arch9wavefront6targetE0EEEvSV_,"axG",@progbits,_ZN7rocprim17ROCPRIM_400000_NS6detail17trampoline_kernelINS0_13select_configILj256ELj13ELNS0_17block_load_methodE3ELS4_3ELS4_3ELNS0_20block_scan_algorithmE0ELj4294967295EEENS1_25partition_config_selectorILNS1_17partition_subalgoE3EjNS0_10empty_typeEbEEZZNS1_14partition_implILS8_3ELb0ES6_jNS0_17counting_iteratorIjlEEPS9_SE_NS0_5tupleIJPjSE_EEENSF_IJSE_SE_EEES9_SG_JZNS1_25segmented_radix_sort_implINS0_14default_configELb0EPKlPlSM_SN_N2at6native12_GLOBAL__N_18offset_tEEE10hipError_tPvRmT1_PNSt15iterator_traitsISV_E10value_typeET2_T3_PNSW_IS11_E10value_typeET4_jRbjT5_S17_jjP12ihipStream_tbEUljE_EEESS_ST_SU_S11_S15_S17_T6_T7_T9_mT8_S19_bDpT10_ENKUlT_T0_E_clISt17integral_constantIbLb0EES1M_EEDaS1H_S1I_EUlS1H_E_NS1_11comp_targetILNS1_3genE10ELNS1_11target_archE1200ELNS1_3gpuE4ELNS1_3repE0EEENS1_30default_config_static_selectorELNS0_4arch9wavefront6targetE0EEEvSV_,comdat
.Lfunc_end776:
	.size	_ZN7rocprim17ROCPRIM_400000_NS6detail17trampoline_kernelINS0_13select_configILj256ELj13ELNS0_17block_load_methodE3ELS4_3ELS4_3ELNS0_20block_scan_algorithmE0ELj4294967295EEENS1_25partition_config_selectorILNS1_17partition_subalgoE3EjNS0_10empty_typeEbEEZZNS1_14partition_implILS8_3ELb0ES6_jNS0_17counting_iteratorIjlEEPS9_SE_NS0_5tupleIJPjSE_EEENSF_IJSE_SE_EEES9_SG_JZNS1_25segmented_radix_sort_implINS0_14default_configELb0EPKlPlSM_SN_N2at6native12_GLOBAL__N_18offset_tEEE10hipError_tPvRmT1_PNSt15iterator_traitsISV_E10value_typeET2_T3_PNSW_IS11_E10value_typeET4_jRbjT5_S17_jjP12ihipStream_tbEUljE_EEESS_ST_SU_S11_S15_S17_T6_T7_T9_mT8_S19_bDpT10_ENKUlT_T0_E_clISt17integral_constantIbLb0EES1M_EEDaS1H_S1I_EUlS1H_E_NS1_11comp_targetILNS1_3genE10ELNS1_11target_archE1200ELNS1_3gpuE4ELNS1_3repE0EEENS1_30default_config_static_selectorELNS0_4arch9wavefront6targetE0EEEvSV_, .Lfunc_end776-_ZN7rocprim17ROCPRIM_400000_NS6detail17trampoline_kernelINS0_13select_configILj256ELj13ELNS0_17block_load_methodE3ELS4_3ELS4_3ELNS0_20block_scan_algorithmE0ELj4294967295EEENS1_25partition_config_selectorILNS1_17partition_subalgoE3EjNS0_10empty_typeEbEEZZNS1_14partition_implILS8_3ELb0ES6_jNS0_17counting_iteratorIjlEEPS9_SE_NS0_5tupleIJPjSE_EEENSF_IJSE_SE_EEES9_SG_JZNS1_25segmented_radix_sort_implINS0_14default_configELb0EPKlPlSM_SN_N2at6native12_GLOBAL__N_18offset_tEEE10hipError_tPvRmT1_PNSt15iterator_traitsISV_E10value_typeET2_T3_PNSW_IS11_E10value_typeET4_jRbjT5_S17_jjP12ihipStream_tbEUljE_EEESS_ST_SU_S11_S15_S17_T6_T7_T9_mT8_S19_bDpT10_ENKUlT_T0_E_clISt17integral_constantIbLb0EES1M_EEDaS1H_S1I_EUlS1H_E_NS1_11comp_targetILNS1_3genE10ELNS1_11target_archE1200ELNS1_3gpuE4ELNS1_3repE0EEENS1_30default_config_static_selectorELNS0_4arch9wavefront6targetE0EEEvSV_
                                        ; -- End function
	.set _ZN7rocprim17ROCPRIM_400000_NS6detail17trampoline_kernelINS0_13select_configILj256ELj13ELNS0_17block_load_methodE3ELS4_3ELS4_3ELNS0_20block_scan_algorithmE0ELj4294967295EEENS1_25partition_config_selectorILNS1_17partition_subalgoE3EjNS0_10empty_typeEbEEZZNS1_14partition_implILS8_3ELb0ES6_jNS0_17counting_iteratorIjlEEPS9_SE_NS0_5tupleIJPjSE_EEENSF_IJSE_SE_EEES9_SG_JZNS1_25segmented_radix_sort_implINS0_14default_configELb0EPKlPlSM_SN_N2at6native12_GLOBAL__N_18offset_tEEE10hipError_tPvRmT1_PNSt15iterator_traitsISV_E10value_typeET2_T3_PNSW_IS11_E10value_typeET4_jRbjT5_S17_jjP12ihipStream_tbEUljE_EEESS_ST_SU_S11_S15_S17_T6_T7_T9_mT8_S19_bDpT10_ENKUlT_T0_E_clISt17integral_constantIbLb0EES1M_EEDaS1H_S1I_EUlS1H_E_NS1_11comp_targetILNS1_3genE10ELNS1_11target_archE1200ELNS1_3gpuE4ELNS1_3repE0EEENS1_30default_config_static_selectorELNS0_4arch9wavefront6targetE0EEEvSV_.num_vgpr, 0
	.set _ZN7rocprim17ROCPRIM_400000_NS6detail17trampoline_kernelINS0_13select_configILj256ELj13ELNS0_17block_load_methodE3ELS4_3ELS4_3ELNS0_20block_scan_algorithmE0ELj4294967295EEENS1_25partition_config_selectorILNS1_17partition_subalgoE3EjNS0_10empty_typeEbEEZZNS1_14partition_implILS8_3ELb0ES6_jNS0_17counting_iteratorIjlEEPS9_SE_NS0_5tupleIJPjSE_EEENSF_IJSE_SE_EEES9_SG_JZNS1_25segmented_radix_sort_implINS0_14default_configELb0EPKlPlSM_SN_N2at6native12_GLOBAL__N_18offset_tEEE10hipError_tPvRmT1_PNSt15iterator_traitsISV_E10value_typeET2_T3_PNSW_IS11_E10value_typeET4_jRbjT5_S17_jjP12ihipStream_tbEUljE_EEESS_ST_SU_S11_S15_S17_T6_T7_T9_mT8_S19_bDpT10_ENKUlT_T0_E_clISt17integral_constantIbLb0EES1M_EEDaS1H_S1I_EUlS1H_E_NS1_11comp_targetILNS1_3genE10ELNS1_11target_archE1200ELNS1_3gpuE4ELNS1_3repE0EEENS1_30default_config_static_selectorELNS0_4arch9wavefront6targetE0EEEvSV_.num_agpr, 0
	.set _ZN7rocprim17ROCPRIM_400000_NS6detail17trampoline_kernelINS0_13select_configILj256ELj13ELNS0_17block_load_methodE3ELS4_3ELS4_3ELNS0_20block_scan_algorithmE0ELj4294967295EEENS1_25partition_config_selectorILNS1_17partition_subalgoE3EjNS0_10empty_typeEbEEZZNS1_14partition_implILS8_3ELb0ES6_jNS0_17counting_iteratorIjlEEPS9_SE_NS0_5tupleIJPjSE_EEENSF_IJSE_SE_EEES9_SG_JZNS1_25segmented_radix_sort_implINS0_14default_configELb0EPKlPlSM_SN_N2at6native12_GLOBAL__N_18offset_tEEE10hipError_tPvRmT1_PNSt15iterator_traitsISV_E10value_typeET2_T3_PNSW_IS11_E10value_typeET4_jRbjT5_S17_jjP12ihipStream_tbEUljE_EEESS_ST_SU_S11_S15_S17_T6_T7_T9_mT8_S19_bDpT10_ENKUlT_T0_E_clISt17integral_constantIbLb0EES1M_EEDaS1H_S1I_EUlS1H_E_NS1_11comp_targetILNS1_3genE10ELNS1_11target_archE1200ELNS1_3gpuE4ELNS1_3repE0EEENS1_30default_config_static_selectorELNS0_4arch9wavefront6targetE0EEEvSV_.numbered_sgpr, 0
	.set _ZN7rocprim17ROCPRIM_400000_NS6detail17trampoline_kernelINS0_13select_configILj256ELj13ELNS0_17block_load_methodE3ELS4_3ELS4_3ELNS0_20block_scan_algorithmE0ELj4294967295EEENS1_25partition_config_selectorILNS1_17partition_subalgoE3EjNS0_10empty_typeEbEEZZNS1_14partition_implILS8_3ELb0ES6_jNS0_17counting_iteratorIjlEEPS9_SE_NS0_5tupleIJPjSE_EEENSF_IJSE_SE_EEES9_SG_JZNS1_25segmented_radix_sort_implINS0_14default_configELb0EPKlPlSM_SN_N2at6native12_GLOBAL__N_18offset_tEEE10hipError_tPvRmT1_PNSt15iterator_traitsISV_E10value_typeET2_T3_PNSW_IS11_E10value_typeET4_jRbjT5_S17_jjP12ihipStream_tbEUljE_EEESS_ST_SU_S11_S15_S17_T6_T7_T9_mT8_S19_bDpT10_ENKUlT_T0_E_clISt17integral_constantIbLb0EES1M_EEDaS1H_S1I_EUlS1H_E_NS1_11comp_targetILNS1_3genE10ELNS1_11target_archE1200ELNS1_3gpuE4ELNS1_3repE0EEENS1_30default_config_static_selectorELNS0_4arch9wavefront6targetE0EEEvSV_.num_named_barrier, 0
	.set _ZN7rocprim17ROCPRIM_400000_NS6detail17trampoline_kernelINS0_13select_configILj256ELj13ELNS0_17block_load_methodE3ELS4_3ELS4_3ELNS0_20block_scan_algorithmE0ELj4294967295EEENS1_25partition_config_selectorILNS1_17partition_subalgoE3EjNS0_10empty_typeEbEEZZNS1_14partition_implILS8_3ELb0ES6_jNS0_17counting_iteratorIjlEEPS9_SE_NS0_5tupleIJPjSE_EEENSF_IJSE_SE_EEES9_SG_JZNS1_25segmented_radix_sort_implINS0_14default_configELb0EPKlPlSM_SN_N2at6native12_GLOBAL__N_18offset_tEEE10hipError_tPvRmT1_PNSt15iterator_traitsISV_E10value_typeET2_T3_PNSW_IS11_E10value_typeET4_jRbjT5_S17_jjP12ihipStream_tbEUljE_EEESS_ST_SU_S11_S15_S17_T6_T7_T9_mT8_S19_bDpT10_ENKUlT_T0_E_clISt17integral_constantIbLb0EES1M_EEDaS1H_S1I_EUlS1H_E_NS1_11comp_targetILNS1_3genE10ELNS1_11target_archE1200ELNS1_3gpuE4ELNS1_3repE0EEENS1_30default_config_static_selectorELNS0_4arch9wavefront6targetE0EEEvSV_.private_seg_size, 0
	.set _ZN7rocprim17ROCPRIM_400000_NS6detail17trampoline_kernelINS0_13select_configILj256ELj13ELNS0_17block_load_methodE3ELS4_3ELS4_3ELNS0_20block_scan_algorithmE0ELj4294967295EEENS1_25partition_config_selectorILNS1_17partition_subalgoE3EjNS0_10empty_typeEbEEZZNS1_14partition_implILS8_3ELb0ES6_jNS0_17counting_iteratorIjlEEPS9_SE_NS0_5tupleIJPjSE_EEENSF_IJSE_SE_EEES9_SG_JZNS1_25segmented_radix_sort_implINS0_14default_configELb0EPKlPlSM_SN_N2at6native12_GLOBAL__N_18offset_tEEE10hipError_tPvRmT1_PNSt15iterator_traitsISV_E10value_typeET2_T3_PNSW_IS11_E10value_typeET4_jRbjT5_S17_jjP12ihipStream_tbEUljE_EEESS_ST_SU_S11_S15_S17_T6_T7_T9_mT8_S19_bDpT10_ENKUlT_T0_E_clISt17integral_constantIbLb0EES1M_EEDaS1H_S1I_EUlS1H_E_NS1_11comp_targetILNS1_3genE10ELNS1_11target_archE1200ELNS1_3gpuE4ELNS1_3repE0EEENS1_30default_config_static_selectorELNS0_4arch9wavefront6targetE0EEEvSV_.uses_vcc, 0
	.set _ZN7rocprim17ROCPRIM_400000_NS6detail17trampoline_kernelINS0_13select_configILj256ELj13ELNS0_17block_load_methodE3ELS4_3ELS4_3ELNS0_20block_scan_algorithmE0ELj4294967295EEENS1_25partition_config_selectorILNS1_17partition_subalgoE3EjNS0_10empty_typeEbEEZZNS1_14partition_implILS8_3ELb0ES6_jNS0_17counting_iteratorIjlEEPS9_SE_NS0_5tupleIJPjSE_EEENSF_IJSE_SE_EEES9_SG_JZNS1_25segmented_radix_sort_implINS0_14default_configELb0EPKlPlSM_SN_N2at6native12_GLOBAL__N_18offset_tEEE10hipError_tPvRmT1_PNSt15iterator_traitsISV_E10value_typeET2_T3_PNSW_IS11_E10value_typeET4_jRbjT5_S17_jjP12ihipStream_tbEUljE_EEESS_ST_SU_S11_S15_S17_T6_T7_T9_mT8_S19_bDpT10_ENKUlT_T0_E_clISt17integral_constantIbLb0EES1M_EEDaS1H_S1I_EUlS1H_E_NS1_11comp_targetILNS1_3genE10ELNS1_11target_archE1200ELNS1_3gpuE4ELNS1_3repE0EEENS1_30default_config_static_selectorELNS0_4arch9wavefront6targetE0EEEvSV_.uses_flat_scratch, 0
	.set _ZN7rocprim17ROCPRIM_400000_NS6detail17trampoline_kernelINS0_13select_configILj256ELj13ELNS0_17block_load_methodE3ELS4_3ELS4_3ELNS0_20block_scan_algorithmE0ELj4294967295EEENS1_25partition_config_selectorILNS1_17partition_subalgoE3EjNS0_10empty_typeEbEEZZNS1_14partition_implILS8_3ELb0ES6_jNS0_17counting_iteratorIjlEEPS9_SE_NS0_5tupleIJPjSE_EEENSF_IJSE_SE_EEES9_SG_JZNS1_25segmented_radix_sort_implINS0_14default_configELb0EPKlPlSM_SN_N2at6native12_GLOBAL__N_18offset_tEEE10hipError_tPvRmT1_PNSt15iterator_traitsISV_E10value_typeET2_T3_PNSW_IS11_E10value_typeET4_jRbjT5_S17_jjP12ihipStream_tbEUljE_EEESS_ST_SU_S11_S15_S17_T6_T7_T9_mT8_S19_bDpT10_ENKUlT_T0_E_clISt17integral_constantIbLb0EES1M_EEDaS1H_S1I_EUlS1H_E_NS1_11comp_targetILNS1_3genE10ELNS1_11target_archE1200ELNS1_3gpuE4ELNS1_3repE0EEENS1_30default_config_static_selectorELNS0_4arch9wavefront6targetE0EEEvSV_.has_dyn_sized_stack, 0
	.set _ZN7rocprim17ROCPRIM_400000_NS6detail17trampoline_kernelINS0_13select_configILj256ELj13ELNS0_17block_load_methodE3ELS4_3ELS4_3ELNS0_20block_scan_algorithmE0ELj4294967295EEENS1_25partition_config_selectorILNS1_17partition_subalgoE3EjNS0_10empty_typeEbEEZZNS1_14partition_implILS8_3ELb0ES6_jNS0_17counting_iteratorIjlEEPS9_SE_NS0_5tupleIJPjSE_EEENSF_IJSE_SE_EEES9_SG_JZNS1_25segmented_radix_sort_implINS0_14default_configELb0EPKlPlSM_SN_N2at6native12_GLOBAL__N_18offset_tEEE10hipError_tPvRmT1_PNSt15iterator_traitsISV_E10value_typeET2_T3_PNSW_IS11_E10value_typeET4_jRbjT5_S17_jjP12ihipStream_tbEUljE_EEESS_ST_SU_S11_S15_S17_T6_T7_T9_mT8_S19_bDpT10_ENKUlT_T0_E_clISt17integral_constantIbLb0EES1M_EEDaS1H_S1I_EUlS1H_E_NS1_11comp_targetILNS1_3genE10ELNS1_11target_archE1200ELNS1_3gpuE4ELNS1_3repE0EEENS1_30default_config_static_selectorELNS0_4arch9wavefront6targetE0EEEvSV_.has_recursion, 0
	.set _ZN7rocprim17ROCPRIM_400000_NS6detail17trampoline_kernelINS0_13select_configILj256ELj13ELNS0_17block_load_methodE3ELS4_3ELS4_3ELNS0_20block_scan_algorithmE0ELj4294967295EEENS1_25partition_config_selectorILNS1_17partition_subalgoE3EjNS0_10empty_typeEbEEZZNS1_14partition_implILS8_3ELb0ES6_jNS0_17counting_iteratorIjlEEPS9_SE_NS0_5tupleIJPjSE_EEENSF_IJSE_SE_EEES9_SG_JZNS1_25segmented_radix_sort_implINS0_14default_configELb0EPKlPlSM_SN_N2at6native12_GLOBAL__N_18offset_tEEE10hipError_tPvRmT1_PNSt15iterator_traitsISV_E10value_typeET2_T3_PNSW_IS11_E10value_typeET4_jRbjT5_S17_jjP12ihipStream_tbEUljE_EEESS_ST_SU_S11_S15_S17_T6_T7_T9_mT8_S19_bDpT10_ENKUlT_T0_E_clISt17integral_constantIbLb0EES1M_EEDaS1H_S1I_EUlS1H_E_NS1_11comp_targetILNS1_3genE10ELNS1_11target_archE1200ELNS1_3gpuE4ELNS1_3repE0EEENS1_30default_config_static_selectorELNS0_4arch9wavefront6targetE0EEEvSV_.has_indirect_call, 0
	.section	.AMDGPU.csdata,"",@progbits
; Kernel info:
; codeLenInByte = 0
; TotalNumSgprs: 0
; NumVgprs: 0
; ScratchSize: 0
; MemoryBound: 0
; FloatMode: 240
; IeeeMode: 1
; LDSByteSize: 0 bytes/workgroup (compile time only)
; SGPRBlocks: 0
; VGPRBlocks: 0
; NumSGPRsForWavesPerEU: 1
; NumVGPRsForWavesPerEU: 1
; NamedBarCnt: 0
; Occupancy: 16
; WaveLimiterHint : 0
; COMPUTE_PGM_RSRC2:SCRATCH_EN: 0
; COMPUTE_PGM_RSRC2:USER_SGPR: 2
; COMPUTE_PGM_RSRC2:TRAP_HANDLER: 0
; COMPUTE_PGM_RSRC2:TGID_X_EN: 1
; COMPUTE_PGM_RSRC2:TGID_Y_EN: 0
; COMPUTE_PGM_RSRC2:TGID_Z_EN: 0
; COMPUTE_PGM_RSRC2:TIDIG_COMP_CNT: 0
	.section	.text._ZN7rocprim17ROCPRIM_400000_NS6detail17trampoline_kernelINS0_13select_configILj256ELj13ELNS0_17block_load_methodE3ELS4_3ELS4_3ELNS0_20block_scan_algorithmE0ELj4294967295EEENS1_25partition_config_selectorILNS1_17partition_subalgoE3EjNS0_10empty_typeEbEEZZNS1_14partition_implILS8_3ELb0ES6_jNS0_17counting_iteratorIjlEEPS9_SE_NS0_5tupleIJPjSE_EEENSF_IJSE_SE_EEES9_SG_JZNS1_25segmented_radix_sort_implINS0_14default_configELb0EPKlPlSM_SN_N2at6native12_GLOBAL__N_18offset_tEEE10hipError_tPvRmT1_PNSt15iterator_traitsISV_E10value_typeET2_T3_PNSW_IS11_E10value_typeET4_jRbjT5_S17_jjP12ihipStream_tbEUljE_EEESS_ST_SU_S11_S15_S17_T6_T7_T9_mT8_S19_bDpT10_ENKUlT_T0_E_clISt17integral_constantIbLb0EES1M_EEDaS1H_S1I_EUlS1H_E_NS1_11comp_targetILNS1_3genE9ELNS1_11target_archE1100ELNS1_3gpuE3ELNS1_3repE0EEENS1_30default_config_static_selectorELNS0_4arch9wavefront6targetE0EEEvSV_,"axG",@progbits,_ZN7rocprim17ROCPRIM_400000_NS6detail17trampoline_kernelINS0_13select_configILj256ELj13ELNS0_17block_load_methodE3ELS4_3ELS4_3ELNS0_20block_scan_algorithmE0ELj4294967295EEENS1_25partition_config_selectorILNS1_17partition_subalgoE3EjNS0_10empty_typeEbEEZZNS1_14partition_implILS8_3ELb0ES6_jNS0_17counting_iteratorIjlEEPS9_SE_NS0_5tupleIJPjSE_EEENSF_IJSE_SE_EEES9_SG_JZNS1_25segmented_radix_sort_implINS0_14default_configELb0EPKlPlSM_SN_N2at6native12_GLOBAL__N_18offset_tEEE10hipError_tPvRmT1_PNSt15iterator_traitsISV_E10value_typeET2_T3_PNSW_IS11_E10value_typeET4_jRbjT5_S17_jjP12ihipStream_tbEUljE_EEESS_ST_SU_S11_S15_S17_T6_T7_T9_mT8_S19_bDpT10_ENKUlT_T0_E_clISt17integral_constantIbLb0EES1M_EEDaS1H_S1I_EUlS1H_E_NS1_11comp_targetILNS1_3genE9ELNS1_11target_archE1100ELNS1_3gpuE3ELNS1_3repE0EEENS1_30default_config_static_selectorELNS0_4arch9wavefront6targetE0EEEvSV_,comdat
	.globl	_ZN7rocprim17ROCPRIM_400000_NS6detail17trampoline_kernelINS0_13select_configILj256ELj13ELNS0_17block_load_methodE3ELS4_3ELS4_3ELNS0_20block_scan_algorithmE0ELj4294967295EEENS1_25partition_config_selectorILNS1_17partition_subalgoE3EjNS0_10empty_typeEbEEZZNS1_14partition_implILS8_3ELb0ES6_jNS0_17counting_iteratorIjlEEPS9_SE_NS0_5tupleIJPjSE_EEENSF_IJSE_SE_EEES9_SG_JZNS1_25segmented_radix_sort_implINS0_14default_configELb0EPKlPlSM_SN_N2at6native12_GLOBAL__N_18offset_tEEE10hipError_tPvRmT1_PNSt15iterator_traitsISV_E10value_typeET2_T3_PNSW_IS11_E10value_typeET4_jRbjT5_S17_jjP12ihipStream_tbEUljE_EEESS_ST_SU_S11_S15_S17_T6_T7_T9_mT8_S19_bDpT10_ENKUlT_T0_E_clISt17integral_constantIbLb0EES1M_EEDaS1H_S1I_EUlS1H_E_NS1_11comp_targetILNS1_3genE9ELNS1_11target_archE1100ELNS1_3gpuE3ELNS1_3repE0EEENS1_30default_config_static_selectorELNS0_4arch9wavefront6targetE0EEEvSV_ ; -- Begin function _ZN7rocprim17ROCPRIM_400000_NS6detail17trampoline_kernelINS0_13select_configILj256ELj13ELNS0_17block_load_methodE3ELS4_3ELS4_3ELNS0_20block_scan_algorithmE0ELj4294967295EEENS1_25partition_config_selectorILNS1_17partition_subalgoE3EjNS0_10empty_typeEbEEZZNS1_14partition_implILS8_3ELb0ES6_jNS0_17counting_iteratorIjlEEPS9_SE_NS0_5tupleIJPjSE_EEENSF_IJSE_SE_EEES9_SG_JZNS1_25segmented_radix_sort_implINS0_14default_configELb0EPKlPlSM_SN_N2at6native12_GLOBAL__N_18offset_tEEE10hipError_tPvRmT1_PNSt15iterator_traitsISV_E10value_typeET2_T3_PNSW_IS11_E10value_typeET4_jRbjT5_S17_jjP12ihipStream_tbEUljE_EEESS_ST_SU_S11_S15_S17_T6_T7_T9_mT8_S19_bDpT10_ENKUlT_T0_E_clISt17integral_constantIbLb0EES1M_EEDaS1H_S1I_EUlS1H_E_NS1_11comp_targetILNS1_3genE9ELNS1_11target_archE1100ELNS1_3gpuE3ELNS1_3repE0EEENS1_30default_config_static_selectorELNS0_4arch9wavefront6targetE0EEEvSV_
	.p2align	8
	.type	_ZN7rocprim17ROCPRIM_400000_NS6detail17trampoline_kernelINS0_13select_configILj256ELj13ELNS0_17block_load_methodE3ELS4_3ELS4_3ELNS0_20block_scan_algorithmE0ELj4294967295EEENS1_25partition_config_selectorILNS1_17partition_subalgoE3EjNS0_10empty_typeEbEEZZNS1_14partition_implILS8_3ELb0ES6_jNS0_17counting_iteratorIjlEEPS9_SE_NS0_5tupleIJPjSE_EEENSF_IJSE_SE_EEES9_SG_JZNS1_25segmented_radix_sort_implINS0_14default_configELb0EPKlPlSM_SN_N2at6native12_GLOBAL__N_18offset_tEEE10hipError_tPvRmT1_PNSt15iterator_traitsISV_E10value_typeET2_T3_PNSW_IS11_E10value_typeET4_jRbjT5_S17_jjP12ihipStream_tbEUljE_EEESS_ST_SU_S11_S15_S17_T6_T7_T9_mT8_S19_bDpT10_ENKUlT_T0_E_clISt17integral_constantIbLb0EES1M_EEDaS1H_S1I_EUlS1H_E_NS1_11comp_targetILNS1_3genE9ELNS1_11target_archE1100ELNS1_3gpuE3ELNS1_3repE0EEENS1_30default_config_static_selectorELNS0_4arch9wavefront6targetE0EEEvSV_,@function
_ZN7rocprim17ROCPRIM_400000_NS6detail17trampoline_kernelINS0_13select_configILj256ELj13ELNS0_17block_load_methodE3ELS4_3ELS4_3ELNS0_20block_scan_algorithmE0ELj4294967295EEENS1_25partition_config_selectorILNS1_17partition_subalgoE3EjNS0_10empty_typeEbEEZZNS1_14partition_implILS8_3ELb0ES6_jNS0_17counting_iteratorIjlEEPS9_SE_NS0_5tupleIJPjSE_EEENSF_IJSE_SE_EEES9_SG_JZNS1_25segmented_radix_sort_implINS0_14default_configELb0EPKlPlSM_SN_N2at6native12_GLOBAL__N_18offset_tEEE10hipError_tPvRmT1_PNSt15iterator_traitsISV_E10value_typeET2_T3_PNSW_IS11_E10value_typeET4_jRbjT5_S17_jjP12ihipStream_tbEUljE_EEESS_ST_SU_S11_S15_S17_T6_T7_T9_mT8_S19_bDpT10_ENKUlT_T0_E_clISt17integral_constantIbLb0EES1M_EEDaS1H_S1I_EUlS1H_E_NS1_11comp_targetILNS1_3genE9ELNS1_11target_archE1100ELNS1_3gpuE3ELNS1_3repE0EEENS1_30default_config_static_selectorELNS0_4arch9wavefront6targetE0EEEvSV_: ; @_ZN7rocprim17ROCPRIM_400000_NS6detail17trampoline_kernelINS0_13select_configILj256ELj13ELNS0_17block_load_methodE3ELS4_3ELS4_3ELNS0_20block_scan_algorithmE0ELj4294967295EEENS1_25partition_config_selectorILNS1_17partition_subalgoE3EjNS0_10empty_typeEbEEZZNS1_14partition_implILS8_3ELb0ES6_jNS0_17counting_iteratorIjlEEPS9_SE_NS0_5tupleIJPjSE_EEENSF_IJSE_SE_EEES9_SG_JZNS1_25segmented_radix_sort_implINS0_14default_configELb0EPKlPlSM_SN_N2at6native12_GLOBAL__N_18offset_tEEE10hipError_tPvRmT1_PNSt15iterator_traitsISV_E10value_typeET2_T3_PNSW_IS11_E10value_typeET4_jRbjT5_S17_jjP12ihipStream_tbEUljE_EEESS_ST_SU_S11_S15_S17_T6_T7_T9_mT8_S19_bDpT10_ENKUlT_T0_E_clISt17integral_constantIbLb0EES1M_EEDaS1H_S1I_EUlS1H_E_NS1_11comp_targetILNS1_3genE9ELNS1_11target_archE1100ELNS1_3gpuE3ELNS1_3repE0EEENS1_30default_config_static_selectorELNS0_4arch9wavefront6targetE0EEEvSV_
; %bb.0:
	.section	.rodata,"a",@progbits
	.p2align	6, 0x0
	.amdhsa_kernel _ZN7rocprim17ROCPRIM_400000_NS6detail17trampoline_kernelINS0_13select_configILj256ELj13ELNS0_17block_load_methodE3ELS4_3ELS4_3ELNS0_20block_scan_algorithmE0ELj4294967295EEENS1_25partition_config_selectorILNS1_17partition_subalgoE3EjNS0_10empty_typeEbEEZZNS1_14partition_implILS8_3ELb0ES6_jNS0_17counting_iteratorIjlEEPS9_SE_NS0_5tupleIJPjSE_EEENSF_IJSE_SE_EEES9_SG_JZNS1_25segmented_radix_sort_implINS0_14default_configELb0EPKlPlSM_SN_N2at6native12_GLOBAL__N_18offset_tEEE10hipError_tPvRmT1_PNSt15iterator_traitsISV_E10value_typeET2_T3_PNSW_IS11_E10value_typeET4_jRbjT5_S17_jjP12ihipStream_tbEUljE_EEESS_ST_SU_S11_S15_S17_T6_T7_T9_mT8_S19_bDpT10_ENKUlT_T0_E_clISt17integral_constantIbLb0EES1M_EEDaS1H_S1I_EUlS1H_E_NS1_11comp_targetILNS1_3genE9ELNS1_11target_archE1100ELNS1_3gpuE3ELNS1_3repE0EEENS1_30default_config_static_selectorELNS0_4arch9wavefront6targetE0EEEvSV_
		.amdhsa_group_segment_fixed_size 0
		.amdhsa_private_segment_fixed_size 0
		.amdhsa_kernarg_size 144
		.amdhsa_user_sgpr_count 2
		.amdhsa_user_sgpr_dispatch_ptr 0
		.amdhsa_user_sgpr_queue_ptr 0
		.amdhsa_user_sgpr_kernarg_segment_ptr 1
		.amdhsa_user_sgpr_dispatch_id 0
		.amdhsa_user_sgpr_kernarg_preload_length 0
		.amdhsa_user_sgpr_kernarg_preload_offset 0
		.amdhsa_user_sgpr_private_segment_size 0
		.amdhsa_wavefront_size32 1
		.amdhsa_uses_dynamic_stack 0
		.amdhsa_enable_private_segment 0
		.amdhsa_system_sgpr_workgroup_id_x 1
		.amdhsa_system_sgpr_workgroup_id_y 0
		.amdhsa_system_sgpr_workgroup_id_z 0
		.amdhsa_system_sgpr_workgroup_info 0
		.amdhsa_system_vgpr_workitem_id 0
		.amdhsa_next_free_vgpr 1
		.amdhsa_next_free_sgpr 1
		.amdhsa_named_barrier_count 0
		.amdhsa_reserve_vcc 0
		.amdhsa_float_round_mode_32 0
		.amdhsa_float_round_mode_16_64 0
		.amdhsa_float_denorm_mode_32 3
		.amdhsa_float_denorm_mode_16_64 3
		.amdhsa_fp16_overflow 0
		.amdhsa_memory_ordered 1
		.amdhsa_forward_progress 1
		.amdhsa_inst_pref_size 0
		.amdhsa_round_robin_scheduling 0
		.amdhsa_exception_fp_ieee_invalid_op 0
		.amdhsa_exception_fp_denorm_src 0
		.amdhsa_exception_fp_ieee_div_zero 0
		.amdhsa_exception_fp_ieee_overflow 0
		.amdhsa_exception_fp_ieee_underflow 0
		.amdhsa_exception_fp_ieee_inexact 0
		.amdhsa_exception_int_div_zero 0
	.end_amdhsa_kernel
	.section	.text._ZN7rocprim17ROCPRIM_400000_NS6detail17trampoline_kernelINS0_13select_configILj256ELj13ELNS0_17block_load_methodE3ELS4_3ELS4_3ELNS0_20block_scan_algorithmE0ELj4294967295EEENS1_25partition_config_selectorILNS1_17partition_subalgoE3EjNS0_10empty_typeEbEEZZNS1_14partition_implILS8_3ELb0ES6_jNS0_17counting_iteratorIjlEEPS9_SE_NS0_5tupleIJPjSE_EEENSF_IJSE_SE_EEES9_SG_JZNS1_25segmented_radix_sort_implINS0_14default_configELb0EPKlPlSM_SN_N2at6native12_GLOBAL__N_18offset_tEEE10hipError_tPvRmT1_PNSt15iterator_traitsISV_E10value_typeET2_T3_PNSW_IS11_E10value_typeET4_jRbjT5_S17_jjP12ihipStream_tbEUljE_EEESS_ST_SU_S11_S15_S17_T6_T7_T9_mT8_S19_bDpT10_ENKUlT_T0_E_clISt17integral_constantIbLb0EES1M_EEDaS1H_S1I_EUlS1H_E_NS1_11comp_targetILNS1_3genE9ELNS1_11target_archE1100ELNS1_3gpuE3ELNS1_3repE0EEENS1_30default_config_static_selectorELNS0_4arch9wavefront6targetE0EEEvSV_,"axG",@progbits,_ZN7rocprim17ROCPRIM_400000_NS6detail17trampoline_kernelINS0_13select_configILj256ELj13ELNS0_17block_load_methodE3ELS4_3ELS4_3ELNS0_20block_scan_algorithmE0ELj4294967295EEENS1_25partition_config_selectorILNS1_17partition_subalgoE3EjNS0_10empty_typeEbEEZZNS1_14partition_implILS8_3ELb0ES6_jNS0_17counting_iteratorIjlEEPS9_SE_NS0_5tupleIJPjSE_EEENSF_IJSE_SE_EEES9_SG_JZNS1_25segmented_radix_sort_implINS0_14default_configELb0EPKlPlSM_SN_N2at6native12_GLOBAL__N_18offset_tEEE10hipError_tPvRmT1_PNSt15iterator_traitsISV_E10value_typeET2_T3_PNSW_IS11_E10value_typeET4_jRbjT5_S17_jjP12ihipStream_tbEUljE_EEESS_ST_SU_S11_S15_S17_T6_T7_T9_mT8_S19_bDpT10_ENKUlT_T0_E_clISt17integral_constantIbLb0EES1M_EEDaS1H_S1I_EUlS1H_E_NS1_11comp_targetILNS1_3genE9ELNS1_11target_archE1100ELNS1_3gpuE3ELNS1_3repE0EEENS1_30default_config_static_selectorELNS0_4arch9wavefront6targetE0EEEvSV_,comdat
.Lfunc_end777:
	.size	_ZN7rocprim17ROCPRIM_400000_NS6detail17trampoline_kernelINS0_13select_configILj256ELj13ELNS0_17block_load_methodE3ELS4_3ELS4_3ELNS0_20block_scan_algorithmE0ELj4294967295EEENS1_25partition_config_selectorILNS1_17partition_subalgoE3EjNS0_10empty_typeEbEEZZNS1_14partition_implILS8_3ELb0ES6_jNS0_17counting_iteratorIjlEEPS9_SE_NS0_5tupleIJPjSE_EEENSF_IJSE_SE_EEES9_SG_JZNS1_25segmented_radix_sort_implINS0_14default_configELb0EPKlPlSM_SN_N2at6native12_GLOBAL__N_18offset_tEEE10hipError_tPvRmT1_PNSt15iterator_traitsISV_E10value_typeET2_T3_PNSW_IS11_E10value_typeET4_jRbjT5_S17_jjP12ihipStream_tbEUljE_EEESS_ST_SU_S11_S15_S17_T6_T7_T9_mT8_S19_bDpT10_ENKUlT_T0_E_clISt17integral_constantIbLb0EES1M_EEDaS1H_S1I_EUlS1H_E_NS1_11comp_targetILNS1_3genE9ELNS1_11target_archE1100ELNS1_3gpuE3ELNS1_3repE0EEENS1_30default_config_static_selectorELNS0_4arch9wavefront6targetE0EEEvSV_, .Lfunc_end777-_ZN7rocprim17ROCPRIM_400000_NS6detail17trampoline_kernelINS0_13select_configILj256ELj13ELNS0_17block_load_methodE3ELS4_3ELS4_3ELNS0_20block_scan_algorithmE0ELj4294967295EEENS1_25partition_config_selectorILNS1_17partition_subalgoE3EjNS0_10empty_typeEbEEZZNS1_14partition_implILS8_3ELb0ES6_jNS0_17counting_iteratorIjlEEPS9_SE_NS0_5tupleIJPjSE_EEENSF_IJSE_SE_EEES9_SG_JZNS1_25segmented_radix_sort_implINS0_14default_configELb0EPKlPlSM_SN_N2at6native12_GLOBAL__N_18offset_tEEE10hipError_tPvRmT1_PNSt15iterator_traitsISV_E10value_typeET2_T3_PNSW_IS11_E10value_typeET4_jRbjT5_S17_jjP12ihipStream_tbEUljE_EEESS_ST_SU_S11_S15_S17_T6_T7_T9_mT8_S19_bDpT10_ENKUlT_T0_E_clISt17integral_constantIbLb0EES1M_EEDaS1H_S1I_EUlS1H_E_NS1_11comp_targetILNS1_3genE9ELNS1_11target_archE1100ELNS1_3gpuE3ELNS1_3repE0EEENS1_30default_config_static_selectorELNS0_4arch9wavefront6targetE0EEEvSV_
                                        ; -- End function
	.set _ZN7rocprim17ROCPRIM_400000_NS6detail17trampoline_kernelINS0_13select_configILj256ELj13ELNS0_17block_load_methodE3ELS4_3ELS4_3ELNS0_20block_scan_algorithmE0ELj4294967295EEENS1_25partition_config_selectorILNS1_17partition_subalgoE3EjNS0_10empty_typeEbEEZZNS1_14partition_implILS8_3ELb0ES6_jNS0_17counting_iteratorIjlEEPS9_SE_NS0_5tupleIJPjSE_EEENSF_IJSE_SE_EEES9_SG_JZNS1_25segmented_radix_sort_implINS0_14default_configELb0EPKlPlSM_SN_N2at6native12_GLOBAL__N_18offset_tEEE10hipError_tPvRmT1_PNSt15iterator_traitsISV_E10value_typeET2_T3_PNSW_IS11_E10value_typeET4_jRbjT5_S17_jjP12ihipStream_tbEUljE_EEESS_ST_SU_S11_S15_S17_T6_T7_T9_mT8_S19_bDpT10_ENKUlT_T0_E_clISt17integral_constantIbLb0EES1M_EEDaS1H_S1I_EUlS1H_E_NS1_11comp_targetILNS1_3genE9ELNS1_11target_archE1100ELNS1_3gpuE3ELNS1_3repE0EEENS1_30default_config_static_selectorELNS0_4arch9wavefront6targetE0EEEvSV_.num_vgpr, 0
	.set _ZN7rocprim17ROCPRIM_400000_NS6detail17trampoline_kernelINS0_13select_configILj256ELj13ELNS0_17block_load_methodE3ELS4_3ELS4_3ELNS0_20block_scan_algorithmE0ELj4294967295EEENS1_25partition_config_selectorILNS1_17partition_subalgoE3EjNS0_10empty_typeEbEEZZNS1_14partition_implILS8_3ELb0ES6_jNS0_17counting_iteratorIjlEEPS9_SE_NS0_5tupleIJPjSE_EEENSF_IJSE_SE_EEES9_SG_JZNS1_25segmented_radix_sort_implINS0_14default_configELb0EPKlPlSM_SN_N2at6native12_GLOBAL__N_18offset_tEEE10hipError_tPvRmT1_PNSt15iterator_traitsISV_E10value_typeET2_T3_PNSW_IS11_E10value_typeET4_jRbjT5_S17_jjP12ihipStream_tbEUljE_EEESS_ST_SU_S11_S15_S17_T6_T7_T9_mT8_S19_bDpT10_ENKUlT_T0_E_clISt17integral_constantIbLb0EES1M_EEDaS1H_S1I_EUlS1H_E_NS1_11comp_targetILNS1_3genE9ELNS1_11target_archE1100ELNS1_3gpuE3ELNS1_3repE0EEENS1_30default_config_static_selectorELNS0_4arch9wavefront6targetE0EEEvSV_.num_agpr, 0
	.set _ZN7rocprim17ROCPRIM_400000_NS6detail17trampoline_kernelINS0_13select_configILj256ELj13ELNS0_17block_load_methodE3ELS4_3ELS4_3ELNS0_20block_scan_algorithmE0ELj4294967295EEENS1_25partition_config_selectorILNS1_17partition_subalgoE3EjNS0_10empty_typeEbEEZZNS1_14partition_implILS8_3ELb0ES6_jNS0_17counting_iteratorIjlEEPS9_SE_NS0_5tupleIJPjSE_EEENSF_IJSE_SE_EEES9_SG_JZNS1_25segmented_radix_sort_implINS0_14default_configELb0EPKlPlSM_SN_N2at6native12_GLOBAL__N_18offset_tEEE10hipError_tPvRmT1_PNSt15iterator_traitsISV_E10value_typeET2_T3_PNSW_IS11_E10value_typeET4_jRbjT5_S17_jjP12ihipStream_tbEUljE_EEESS_ST_SU_S11_S15_S17_T6_T7_T9_mT8_S19_bDpT10_ENKUlT_T0_E_clISt17integral_constantIbLb0EES1M_EEDaS1H_S1I_EUlS1H_E_NS1_11comp_targetILNS1_3genE9ELNS1_11target_archE1100ELNS1_3gpuE3ELNS1_3repE0EEENS1_30default_config_static_selectorELNS0_4arch9wavefront6targetE0EEEvSV_.numbered_sgpr, 0
	.set _ZN7rocprim17ROCPRIM_400000_NS6detail17trampoline_kernelINS0_13select_configILj256ELj13ELNS0_17block_load_methodE3ELS4_3ELS4_3ELNS0_20block_scan_algorithmE0ELj4294967295EEENS1_25partition_config_selectorILNS1_17partition_subalgoE3EjNS0_10empty_typeEbEEZZNS1_14partition_implILS8_3ELb0ES6_jNS0_17counting_iteratorIjlEEPS9_SE_NS0_5tupleIJPjSE_EEENSF_IJSE_SE_EEES9_SG_JZNS1_25segmented_radix_sort_implINS0_14default_configELb0EPKlPlSM_SN_N2at6native12_GLOBAL__N_18offset_tEEE10hipError_tPvRmT1_PNSt15iterator_traitsISV_E10value_typeET2_T3_PNSW_IS11_E10value_typeET4_jRbjT5_S17_jjP12ihipStream_tbEUljE_EEESS_ST_SU_S11_S15_S17_T6_T7_T9_mT8_S19_bDpT10_ENKUlT_T0_E_clISt17integral_constantIbLb0EES1M_EEDaS1H_S1I_EUlS1H_E_NS1_11comp_targetILNS1_3genE9ELNS1_11target_archE1100ELNS1_3gpuE3ELNS1_3repE0EEENS1_30default_config_static_selectorELNS0_4arch9wavefront6targetE0EEEvSV_.num_named_barrier, 0
	.set _ZN7rocprim17ROCPRIM_400000_NS6detail17trampoline_kernelINS0_13select_configILj256ELj13ELNS0_17block_load_methodE3ELS4_3ELS4_3ELNS0_20block_scan_algorithmE0ELj4294967295EEENS1_25partition_config_selectorILNS1_17partition_subalgoE3EjNS0_10empty_typeEbEEZZNS1_14partition_implILS8_3ELb0ES6_jNS0_17counting_iteratorIjlEEPS9_SE_NS0_5tupleIJPjSE_EEENSF_IJSE_SE_EEES9_SG_JZNS1_25segmented_radix_sort_implINS0_14default_configELb0EPKlPlSM_SN_N2at6native12_GLOBAL__N_18offset_tEEE10hipError_tPvRmT1_PNSt15iterator_traitsISV_E10value_typeET2_T3_PNSW_IS11_E10value_typeET4_jRbjT5_S17_jjP12ihipStream_tbEUljE_EEESS_ST_SU_S11_S15_S17_T6_T7_T9_mT8_S19_bDpT10_ENKUlT_T0_E_clISt17integral_constantIbLb0EES1M_EEDaS1H_S1I_EUlS1H_E_NS1_11comp_targetILNS1_3genE9ELNS1_11target_archE1100ELNS1_3gpuE3ELNS1_3repE0EEENS1_30default_config_static_selectorELNS0_4arch9wavefront6targetE0EEEvSV_.private_seg_size, 0
	.set _ZN7rocprim17ROCPRIM_400000_NS6detail17trampoline_kernelINS0_13select_configILj256ELj13ELNS0_17block_load_methodE3ELS4_3ELS4_3ELNS0_20block_scan_algorithmE0ELj4294967295EEENS1_25partition_config_selectorILNS1_17partition_subalgoE3EjNS0_10empty_typeEbEEZZNS1_14partition_implILS8_3ELb0ES6_jNS0_17counting_iteratorIjlEEPS9_SE_NS0_5tupleIJPjSE_EEENSF_IJSE_SE_EEES9_SG_JZNS1_25segmented_radix_sort_implINS0_14default_configELb0EPKlPlSM_SN_N2at6native12_GLOBAL__N_18offset_tEEE10hipError_tPvRmT1_PNSt15iterator_traitsISV_E10value_typeET2_T3_PNSW_IS11_E10value_typeET4_jRbjT5_S17_jjP12ihipStream_tbEUljE_EEESS_ST_SU_S11_S15_S17_T6_T7_T9_mT8_S19_bDpT10_ENKUlT_T0_E_clISt17integral_constantIbLb0EES1M_EEDaS1H_S1I_EUlS1H_E_NS1_11comp_targetILNS1_3genE9ELNS1_11target_archE1100ELNS1_3gpuE3ELNS1_3repE0EEENS1_30default_config_static_selectorELNS0_4arch9wavefront6targetE0EEEvSV_.uses_vcc, 0
	.set _ZN7rocprim17ROCPRIM_400000_NS6detail17trampoline_kernelINS0_13select_configILj256ELj13ELNS0_17block_load_methodE3ELS4_3ELS4_3ELNS0_20block_scan_algorithmE0ELj4294967295EEENS1_25partition_config_selectorILNS1_17partition_subalgoE3EjNS0_10empty_typeEbEEZZNS1_14partition_implILS8_3ELb0ES6_jNS0_17counting_iteratorIjlEEPS9_SE_NS0_5tupleIJPjSE_EEENSF_IJSE_SE_EEES9_SG_JZNS1_25segmented_radix_sort_implINS0_14default_configELb0EPKlPlSM_SN_N2at6native12_GLOBAL__N_18offset_tEEE10hipError_tPvRmT1_PNSt15iterator_traitsISV_E10value_typeET2_T3_PNSW_IS11_E10value_typeET4_jRbjT5_S17_jjP12ihipStream_tbEUljE_EEESS_ST_SU_S11_S15_S17_T6_T7_T9_mT8_S19_bDpT10_ENKUlT_T0_E_clISt17integral_constantIbLb0EES1M_EEDaS1H_S1I_EUlS1H_E_NS1_11comp_targetILNS1_3genE9ELNS1_11target_archE1100ELNS1_3gpuE3ELNS1_3repE0EEENS1_30default_config_static_selectorELNS0_4arch9wavefront6targetE0EEEvSV_.uses_flat_scratch, 0
	.set _ZN7rocprim17ROCPRIM_400000_NS6detail17trampoline_kernelINS0_13select_configILj256ELj13ELNS0_17block_load_methodE3ELS4_3ELS4_3ELNS0_20block_scan_algorithmE0ELj4294967295EEENS1_25partition_config_selectorILNS1_17partition_subalgoE3EjNS0_10empty_typeEbEEZZNS1_14partition_implILS8_3ELb0ES6_jNS0_17counting_iteratorIjlEEPS9_SE_NS0_5tupleIJPjSE_EEENSF_IJSE_SE_EEES9_SG_JZNS1_25segmented_radix_sort_implINS0_14default_configELb0EPKlPlSM_SN_N2at6native12_GLOBAL__N_18offset_tEEE10hipError_tPvRmT1_PNSt15iterator_traitsISV_E10value_typeET2_T3_PNSW_IS11_E10value_typeET4_jRbjT5_S17_jjP12ihipStream_tbEUljE_EEESS_ST_SU_S11_S15_S17_T6_T7_T9_mT8_S19_bDpT10_ENKUlT_T0_E_clISt17integral_constantIbLb0EES1M_EEDaS1H_S1I_EUlS1H_E_NS1_11comp_targetILNS1_3genE9ELNS1_11target_archE1100ELNS1_3gpuE3ELNS1_3repE0EEENS1_30default_config_static_selectorELNS0_4arch9wavefront6targetE0EEEvSV_.has_dyn_sized_stack, 0
	.set _ZN7rocprim17ROCPRIM_400000_NS6detail17trampoline_kernelINS0_13select_configILj256ELj13ELNS0_17block_load_methodE3ELS4_3ELS4_3ELNS0_20block_scan_algorithmE0ELj4294967295EEENS1_25partition_config_selectorILNS1_17partition_subalgoE3EjNS0_10empty_typeEbEEZZNS1_14partition_implILS8_3ELb0ES6_jNS0_17counting_iteratorIjlEEPS9_SE_NS0_5tupleIJPjSE_EEENSF_IJSE_SE_EEES9_SG_JZNS1_25segmented_radix_sort_implINS0_14default_configELb0EPKlPlSM_SN_N2at6native12_GLOBAL__N_18offset_tEEE10hipError_tPvRmT1_PNSt15iterator_traitsISV_E10value_typeET2_T3_PNSW_IS11_E10value_typeET4_jRbjT5_S17_jjP12ihipStream_tbEUljE_EEESS_ST_SU_S11_S15_S17_T6_T7_T9_mT8_S19_bDpT10_ENKUlT_T0_E_clISt17integral_constantIbLb0EES1M_EEDaS1H_S1I_EUlS1H_E_NS1_11comp_targetILNS1_3genE9ELNS1_11target_archE1100ELNS1_3gpuE3ELNS1_3repE0EEENS1_30default_config_static_selectorELNS0_4arch9wavefront6targetE0EEEvSV_.has_recursion, 0
	.set _ZN7rocprim17ROCPRIM_400000_NS6detail17trampoline_kernelINS0_13select_configILj256ELj13ELNS0_17block_load_methodE3ELS4_3ELS4_3ELNS0_20block_scan_algorithmE0ELj4294967295EEENS1_25partition_config_selectorILNS1_17partition_subalgoE3EjNS0_10empty_typeEbEEZZNS1_14partition_implILS8_3ELb0ES6_jNS0_17counting_iteratorIjlEEPS9_SE_NS0_5tupleIJPjSE_EEENSF_IJSE_SE_EEES9_SG_JZNS1_25segmented_radix_sort_implINS0_14default_configELb0EPKlPlSM_SN_N2at6native12_GLOBAL__N_18offset_tEEE10hipError_tPvRmT1_PNSt15iterator_traitsISV_E10value_typeET2_T3_PNSW_IS11_E10value_typeET4_jRbjT5_S17_jjP12ihipStream_tbEUljE_EEESS_ST_SU_S11_S15_S17_T6_T7_T9_mT8_S19_bDpT10_ENKUlT_T0_E_clISt17integral_constantIbLb0EES1M_EEDaS1H_S1I_EUlS1H_E_NS1_11comp_targetILNS1_3genE9ELNS1_11target_archE1100ELNS1_3gpuE3ELNS1_3repE0EEENS1_30default_config_static_selectorELNS0_4arch9wavefront6targetE0EEEvSV_.has_indirect_call, 0
	.section	.AMDGPU.csdata,"",@progbits
; Kernel info:
; codeLenInByte = 0
; TotalNumSgprs: 0
; NumVgprs: 0
; ScratchSize: 0
; MemoryBound: 0
; FloatMode: 240
; IeeeMode: 1
; LDSByteSize: 0 bytes/workgroup (compile time only)
; SGPRBlocks: 0
; VGPRBlocks: 0
; NumSGPRsForWavesPerEU: 1
; NumVGPRsForWavesPerEU: 1
; NamedBarCnt: 0
; Occupancy: 16
; WaveLimiterHint : 0
; COMPUTE_PGM_RSRC2:SCRATCH_EN: 0
; COMPUTE_PGM_RSRC2:USER_SGPR: 2
; COMPUTE_PGM_RSRC2:TRAP_HANDLER: 0
; COMPUTE_PGM_RSRC2:TGID_X_EN: 1
; COMPUTE_PGM_RSRC2:TGID_Y_EN: 0
; COMPUTE_PGM_RSRC2:TGID_Z_EN: 0
; COMPUTE_PGM_RSRC2:TIDIG_COMP_CNT: 0
	.section	.text._ZN7rocprim17ROCPRIM_400000_NS6detail17trampoline_kernelINS0_13select_configILj256ELj13ELNS0_17block_load_methodE3ELS4_3ELS4_3ELNS0_20block_scan_algorithmE0ELj4294967295EEENS1_25partition_config_selectorILNS1_17partition_subalgoE3EjNS0_10empty_typeEbEEZZNS1_14partition_implILS8_3ELb0ES6_jNS0_17counting_iteratorIjlEEPS9_SE_NS0_5tupleIJPjSE_EEENSF_IJSE_SE_EEES9_SG_JZNS1_25segmented_radix_sort_implINS0_14default_configELb0EPKlPlSM_SN_N2at6native12_GLOBAL__N_18offset_tEEE10hipError_tPvRmT1_PNSt15iterator_traitsISV_E10value_typeET2_T3_PNSW_IS11_E10value_typeET4_jRbjT5_S17_jjP12ihipStream_tbEUljE_EEESS_ST_SU_S11_S15_S17_T6_T7_T9_mT8_S19_bDpT10_ENKUlT_T0_E_clISt17integral_constantIbLb0EES1M_EEDaS1H_S1I_EUlS1H_E_NS1_11comp_targetILNS1_3genE8ELNS1_11target_archE1030ELNS1_3gpuE2ELNS1_3repE0EEENS1_30default_config_static_selectorELNS0_4arch9wavefront6targetE0EEEvSV_,"axG",@progbits,_ZN7rocprim17ROCPRIM_400000_NS6detail17trampoline_kernelINS0_13select_configILj256ELj13ELNS0_17block_load_methodE3ELS4_3ELS4_3ELNS0_20block_scan_algorithmE0ELj4294967295EEENS1_25partition_config_selectorILNS1_17partition_subalgoE3EjNS0_10empty_typeEbEEZZNS1_14partition_implILS8_3ELb0ES6_jNS0_17counting_iteratorIjlEEPS9_SE_NS0_5tupleIJPjSE_EEENSF_IJSE_SE_EEES9_SG_JZNS1_25segmented_radix_sort_implINS0_14default_configELb0EPKlPlSM_SN_N2at6native12_GLOBAL__N_18offset_tEEE10hipError_tPvRmT1_PNSt15iterator_traitsISV_E10value_typeET2_T3_PNSW_IS11_E10value_typeET4_jRbjT5_S17_jjP12ihipStream_tbEUljE_EEESS_ST_SU_S11_S15_S17_T6_T7_T9_mT8_S19_bDpT10_ENKUlT_T0_E_clISt17integral_constantIbLb0EES1M_EEDaS1H_S1I_EUlS1H_E_NS1_11comp_targetILNS1_3genE8ELNS1_11target_archE1030ELNS1_3gpuE2ELNS1_3repE0EEENS1_30default_config_static_selectorELNS0_4arch9wavefront6targetE0EEEvSV_,comdat
	.globl	_ZN7rocprim17ROCPRIM_400000_NS6detail17trampoline_kernelINS0_13select_configILj256ELj13ELNS0_17block_load_methodE3ELS4_3ELS4_3ELNS0_20block_scan_algorithmE0ELj4294967295EEENS1_25partition_config_selectorILNS1_17partition_subalgoE3EjNS0_10empty_typeEbEEZZNS1_14partition_implILS8_3ELb0ES6_jNS0_17counting_iteratorIjlEEPS9_SE_NS0_5tupleIJPjSE_EEENSF_IJSE_SE_EEES9_SG_JZNS1_25segmented_radix_sort_implINS0_14default_configELb0EPKlPlSM_SN_N2at6native12_GLOBAL__N_18offset_tEEE10hipError_tPvRmT1_PNSt15iterator_traitsISV_E10value_typeET2_T3_PNSW_IS11_E10value_typeET4_jRbjT5_S17_jjP12ihipStream_tbEUljE_EEESS_ST_SU_S11_S15_S17_T6_T7_T9_mT8_S19_bDpT10_ENKUlT_T0_E_clISt17integral_constantIbLb0EES1M_EEDaS1H_S1I_EUlS1H_E_NS1_11comp_targetILNS1_3genE8ELNS1_11target_archE1030ELNS1_3gpuE2ELNS1_3repE0EEENS1_30default_config_static_selectorELNS0_4arch9wavefront6targetE0EEEvSV_ ; -- Begin function _ZN7rocprim17ROCPRIM_400000_NS6detail17trampoline_kernelINS0_13select_configILj256ELj13ELNS0_17block_load_methodE3ELS4_3ELS4_3ELNS0_20block_scan_algorithmE0ELj4294967295EEENS1_25partition_config_selectorILNS1_17partition_subalgoE3EjNS0_10empty_typeEbEEZZNS1_14partition_implILS8_3ELb0ES6_jNS0_17counting_iteratorIjlEEPS9_SE_NS0_5tupleIJPjSE_EEENSF_IJSE_SE_EEES9_SG_JZNS1_25segmented_radix_sort_implINS0_14default_configELb0EPKlPlSM_SN_N2at6native12_GLOBAL__N_18offset_tEEE10hipError_tPvRmT1_PNSt15iterator_traitsISV_E10value_typeET2_T3_PNSW_IS11_E10value_typeET4_jRbjT5_S17_jjP12ihipStream_tbEUljE_EEESS_ST_SU_S11_S15_S17_T6_T7_T9_mT8_S19_bDpT10_ENKUlT_T0_E_clISt17integral_constantIbLb0EES1M_EEDaS1H_S1I_EUlS1H_E_NS1_11comp_targetILNS1_3genE8ELNS1_11target_archE1030ELNS1_3gpuE2ELNS1_3repE0EEENS1_30default_config_static_selectorELNS0_4arch9wavefront6targetE0EEEvSV_
	.p2align	8
	.type	_ZN7rocprim17ROCPRIM_400000_NS6detail17trampoline_kernelINS0_13select_configILj256ELj13ELNS0_17block_load_methodE3ELS4_3ELS4_3ELNS0_20block_scan_algorithmE0ELj4294967295EEENS1_25partition_config_selectorILNS1_17partition_subalgoE3EjNS0_10empty_typeEbEEZZNS1_14partition_implILS8_3ELb0ES6_jNS0_17counting_iteratorIjlEEPS9_SE_NS0_5tupleIJPjSE_EEENSF_IJSE_SE_EEES9_SG_JZNS1_25segmented_radix_sort_implINS0_14default_configELb0EPKlPlSM_SN_N2at6native12_GLOBAL__N_18offset_tEEE10hipError_tPvRmT1_PNSt15iterator_traitsISV_E10value_typeET2_T3_PNSW_IS11_E10value_typeET4_jRbjT5_S17_jjP12ihipStream_tbEUljE_EEESS_ST_SU_S11_S15_S17_T6_T7_T9_mT8_S19_bDpT10_ENKUlT_T0_E_clISt17integral_constantIbLb0EES1M_EEDaS1H_S1I_EUlS1H_E_NS1_11comp_targetILNS1_3genE8ELNS1_11target_archE1030ELNS1_3gpuE2ELNS1_3repE0EEENS1_30default_config_static_selectorELNS0_4arch9wavefront6targetE0EEEvSV_,@function
_ZN7rocprim17ROCPRIM_400000_NS6detail17trampoline_kernelINS0_13select_configILj256ELj13ELNS0_17block_load_methodE3ELS4_3ELS4_3ELNS0_20block_scan_algorithmE0ELj4294967295EEENS1_25partition_config_selectorILNS1_17partition_subalgoE3EjNS0_10empty_typeEbEEZZNS1_14partition_implILS8_3ELb0ES6_jNS0_17counting_iteratorIjlEEPS9_SE_NS0_5tupleIJPjSE_EEENSF_IJSE_SE_EEES9_SG_JZNS1_25segmented_radix_sort_implINS0_14default_configELb0EPKlPlSM_SN_N2at6native12_GLOBAL__N_18offset_tEEE10hipError_tPvRmT1_PNSt15iterator_traitsISV_E10value_typeET2_T3_PNSW_IS11_E10value_typeET4_jRbjT5_S17_jjP12ihipStream_tbEUljE_EEESS_ST_SU_S11_S15_S17_T6_T7_T9_mT8_S19_bDpT10_ENKUlT_T0_E_clISt17integral_constantIbLb0EES1M_EEDaS1H_S1I_EUlS1H_E_NS1_11comp_targetILNS1_3genE8ELNS1_11target_archE1030ELNS1_3gpuE2ELNS1_3repE0EEENS1_30default_config_static_selectorELNS0_4arch9wavefront6targetE0EEEvSV_: ; @_ZN7rocprim17ROCPRIM_400000_NS6detail17trampoline_kernelINS0_13select_configILj256ELj13ELNS0_17block_load_methodE3ELS4_3ELS4_3ELNS0_20block_scan_algorithmE0ELj4294967295EEENS1_25partition_config_selectorILNS1_17partition_subalgoE3EjNS0_10empty_typeEbEEZZNS1_14partition_implILS8_3ELb0ES6_jNS0_17counting_iteratorIjlEEPS9_SE_NS0_5tupleIJPjSE_EEENSF_IJSE_SE_EEES9_SG_JZNS1_25segmented_radix_sort_implINS0_14default_configELb0EPKlPlSM_SN_N2at6native12_GLOBAL__N_18offset_tEEE10hipError_tPvRmT1_PNSt15iterator_traitsISV_E10value_typeET2_T3_PNSW_IS11_E10value_typeET4_jRbjT5_S17_jjP12ihipStream_tbEUljE_EEESS_ST_SU_S11_S15_S17_T6_T7_T9_mT8_S19_bDpT10_ENKUlT_T0_E_clISt17integral_constantIbLb0EES1M_EEDaS1H_S1I_EUlS1H_E_NS1_11comp_targetILNS1_3genE8ELNS1_11target_archE1030ELNS1_3gpuE2ELNS1_3repE0EEENS1_30default_config_static_selectorELNS0_4arch9wavefront6targetE0EEEvSV_
; %bb.0:
	.section	.rodata,"a",@progbits
	.p2align	6, 0x0
	.amdhsa_kernel _ZN7rocprim17ROCPRIM_400000_NS6detail17trampoline_kernelINS0_13select_configILj256ELj13ELNS0_17block_load_methodE3ELS4_3ELS4_3ELNS0_20block_scan_algorithmE0ELj4294967295EEENS1_25partition_config_selectorILNS1_17partition_subalgoE3EjNS0_10empty_typeEbEEZZNS1_14partition_implILS8_3ELb0ES6_jNS0_17counting_iteratorIjlEEPS9_SE_NS0_5tupleIJPjSE_EEENSF_IJSE_SE_EEES9_SG_JZNS1_25segmented_radix_sort_implINS0_14default_configELb0EPKlPlSM_SN_N2at6native12_GLOBAL__N_18offset_tEEE10hipError_tPvRmT1_PNSt15iterator_traitsISV_E10value_typeET2_T3_PNSW_IS11_E10value_typeET4_jRbjT5_S17_jjP12ihipStream_tbEUljE_EEESS_ST_SU_S11_S15_S17_T6_T7_T9_mT8_S19_bDpT10_ENKUlT_T0_E_clISt17integral_constantIbLb0EES1M_EEDaS1H_S1I_EUlS1H_E_NS1_11comp_targetILNS1_3genE8ELNS1_11target_archE1030ELNS1_3gpuE2ELNS1_3repE0EEENS1_30default_config_static_selectorELNS0_4arch9wavefront6targetE0EEEvSV_
		.amdhsa_group_segment_fixed_size 0
		.amdhsa_private_segment_fixed_size 0
		.amdhsa_kernarg_size 144
		.amdhsa_user_sgpr_count 2
		.amdhsa_user_sgpr_dispatch_ptr 0
		.amdhsa_user_sgpr_queue_ptr 0
		.amdhsa_user_sgpr_kernarg_segment_ptr 1
		.amdhsa_user_sgpr_dispatch_id 0
		.amdhsa_user_sgpr_kernarg_preload_length 0
		.amdhsa_user_sgpr_kernarg_preload_offset 0
		.amdhsa_user_sgpr_private_segment_size 0
		.amdhsa_wavefront_size32 1
		.amdhsa_uses_dynamic_stack 0
		.amdhsa_enable_private_segment 0
		.amdhsa_system_sgpr_workgroup_id_x 1
		.amdhsa_system_sgpr_workgroup_id_y 0
		.amdhsa_system_sgpr_workgroup_id_z 0
		.amdhsa_system_sgpr_workgroup_info 0
		.amdhsa_system_vgpr_workitem_id 0
		.amdhsa_next_free_vgpr 1
		.amdhsa_next_free_sgpr 1
		.amdhsa_named_barrier_count 0
		.amdhsa_reserve_vcc 0
		.amdhsa_float_round_mode_32 0
		.amdhsa_float_round_mode_16_64 0
		.amdhsa_float_denorm_mode_32 3
		.amdhsa_float_denorm_mode_16_64 3
		.amdhsa_fp16_overflow 0
		.amdhsa_memory_ordered 1
		.amdhsa_forward_progress 1
		.amdhsa_inst_pref_size 0
		.amdhsa_round_robin_scheduling 0
		.amdhsa_exception_fp_ieee_invalid_op 0
		.amdhsa_exception_fp_denorm_src 0
		.amdhsa_exception_fp_ieee_div_zero 0
		.amdhsa_exception_fp_ieee_overflow 0
		.amdhsa_exception_fp_ieee_underflow 0
		.amdhsa_exception_fp_ieee_inexact 0
		.amdhsa_exception_int_div_zero 0
	.end_amdhsa_kernel
	.section	.text._ZN7rocprim17ROCPRIM_400000_NS6detail17trampoline_kernelINS0_13select_configILj256ELj13ELNS0_17block_load_methodE3ELS4_3ELS4_3ELNS0_20block_scan_algorithmE0ELj4294967295EEENS1_25partition_config_selectorILNS1_17partition_subalgoE3EjNS0_10empty_typeEbEEZZNS1_14partition_implILS8_3ELb0ES6_jNS0_17counting_iteratorIjlEEPS9_SE_NS0_5tupleIJPjSE_EEENSF_IJSE_SE_EEES9_SG_JZNS1_25segmented_radix_sort_implINS0_14default_configELb0EPKlPlSM_SN_N2at6native12_GLOBAL__N_18offset_tEEE10hipError_tPvRmT1_PNSt15iterator_traitsISV_E10value_typeET2_T3_PNSW_IS11_E10value_typeET4_jRbjT5_S17_jjP12ihipStream_tbEUljE_EEESS_ST_SU_S11_S15_S17_T6_T7_T9_mT8_S19_bDpT10_ENKUlT_T0_E_clISt17integral_constantIbLb0EES1M_EEDaS1H_S1I_EUlS1H_E_NS1_11comp_targetILNS1_3genE8ELNS1_11target_archE1030ELNS1_3gpuE2ELNS1_3repE0EEENS1_30default_config_static_selectorELNS0_4arch9wavefront6targetE0EEEvSV_,"axG",@progbits,_ZN7rocprim17ROCPRIM_400000_NS6detail17trampoline_kernelINS0_13select_configILj256ELj13ELNS0_17block_load_methodE3ELS4_3ELS4_3ELNS0_20block_scan_algorithmE0ELj4294967295EEENS1_25partition_config_selectorILNS1_17partition_subalgoE3EjNS0_10empty_typeEbEEZZNS1_14partition_implILS8_3ELb0ES6_jNS0_17counting_iteratorIjlEEPS9_SE_NS0_5tupleIJPjSE_EEENSF_IJSE_SE_EEES9_SG_JZNS1_25segmented_radix_sort_implINS0_14default_configELb0EPKlPlSM_SN_N2at6native12_GLOBAL__N_18offset_tEEE10hipError_tPvRmT1_PNSt15iterator_traitsISV_E10value_typeET2_T3_PNSW_IS11_E10value_typeET4_jRbjT5_S17_jjP12ihipStream_tbEUljE_EEESS_ST_SU_S11_S15_S17_T6_T7_T9_mT8_S19_bDpT10_ENKUlT_T0_E_clISt17integral_constantIbLb0EES1M_EEDaS1H_S1I_EUlS1H_E_NS1_11comp_targetILNS1_3genE8ELNS1_11target_archE1030ELNS1_3gpuE2ELNS1_3repE0EEENS1_30default_config_static_selectorELNS0_4arch9wavefront6targetE0EEEvSV_,comdat
.Lfunc_end778:
	.size	_ZN7rocprim17ROCPRIM_400000_NS6detail17trampoline_kernelINS0_13select_configILj256ELj13ELNS0_17block_load_methodE3ELS4_3ELS4_3ELNS0_20block_scan_algorithmE0ELj4294967295EEENS1_25partition_config_selectorILNS1_17partition_subalgoE3EjNS0_10empty_typeEbEEZZNS1_14partition_implILS8_3ELb0ES6_jNS0_17counting_iteratorIjlEEPS9_SE_NS0_5tupleIJPjSE_EEENSF_IJSE_SE_EEES9_SG_JZNS1_25segmented_radix_sort_implINS0_14default_configELb0EPKlPlSM_SN_N2at6native12_GLOBAL__N_18offset_tEEE10hipError_tPvRmT1_PNSt15iterator_traitsISV_E10value_typeET2_T3_PNSW_IS11_E10value_typeET4_jRbjT5_S17_jjP12ihipStream_tbEUljE_EEESS_ST_SU_S11_S15_S17_T6_T7_T9_mT8_S19_bDpT10_ENKUlT_T0_E_clISt17integral_constantIbLb0EES1M_EEDaS1H_S1I_EUlS1H_E_NS1_11comp_targetILNS1_3genE8ELNS1_11target_archE1030ELNS1_3gpuE2ELNS1_3repE0EEENS1_30default_config_static_selectorELNS0_4arch9wavefront6targetE0EEEvSV_, .Lfunc_end778-_ZN7rocprim17ROCPRIM_400000_NS6detail17trampoline_kernelINS0_13select_configILj256ELj13ELNS0_17block_load_methodE3ELS4_3ELS4_3ELNS0_20block_scan_algorithmE0ELj4294967295EEENS1_25partition_config_selectorILNS1_17partition_subalgoE3EjNS0_10empty_typeEbEEZZNS1_14partition_implILS8_3ELb0ES6_jNS0_17counting_iteratorIjlEEPS9_SE_NS0_5tupleIJPjSE_EEENSF_IJSE_SE_EEES9_SG_JZNS1_25segmented_radix_sort_implINS0_14default_configELb0EPKlPlSM_SN_N2at6native12_GLOBAL__N_18offset_tEEE10hipError_tPvRmT1_PNSt15iterator_traitsISV_E10value_typeET2_T3_PNSW_IS11_E10value_typeET4_jRbjT5_S17_jjP12ihipStream_tbEUljE_EEESS_ST_SU_S11_S15_S17_T6_T7_T9_mT8_S19_bDpT10_ENKUlT_T0_E_clISt17integral_constantIbLb0EES1M_EEDaS1H_S1I_EUlS1H_E_NS1_11comp_targetILNS1_3genE8ELNS1_11target_archE1030ELNS1_3gpuE2ELNS1_3repE0EEENS1_30default_config_static_selectorELNS0_4arch9wavefront6targetE0EEEvSV_
                                        ; -- End function
	.set _ZN7rocprim17ROCPRIM_400000_NS6detail17trampoline_kernelINS0_13select_configILj256ELj13ELNS0_17block_load_methodE3ELS4_3ELS4_3ELNS0_20block_scan_algorithmE0ELj4294967295EEENS1_25partition_config_selectorILNS1_17partition_subalgoE3EjNS0_10empty_typeEbEEZZNS1_14partition_implILS8_3ELb0ES6_jNS0_17counting_iteratorIjlEEPS9_SE_NS0_5tupleIJPjSE_EEENSF_IJSE_SE_EEES9_SG_JZNS1_25segmented_radix_sort_implINS0_14default_configELb0EPKlPlSM_SN_N2at6native12_GLOBAL__N_18offset_tEEE10hipError_tPvRmT1_PNSt15iterator_traitsISV_E10value_typeET2_T3_PNSW_IS11_E10value_typeET4_jRbjT5_S17_jjP12ihipStream_tbEUljE_EEESS_ST_SU_S11_S15_S17_T6_T7_T9_mT8_S19_bDpT10_ENKUlT_T0_E_clISt17integral_constantIbLb0EES1M_EEDaS1H_S1I_EUlS1H_E_NS1_11comp_targetILNS1_3genE8ELNS1_11target_archE1030ELNS1_3gpuE2ELNS1_3repE0EEENS1_30default_config_static_selectorELNS0_4arch9wavefront6targetE0EEEvSV_.num_vgpr, 0
	.set _ZN7rocprim17ROCPRIM_400000_NS6detail17trampoline_kernelINS0_13select_configILj256ELj13ELNS0_17block_load_methodE3ELS4_3ELS4_3ELNS0_20block_scan_algorithmE0ELj4294967295EEENS1_25partition_config_selectorILNS1_17partition_subalgoE3EjNS0_10empty_typeEbEEZZNS1_14partition_implILS8_3ELb0ES6_jNS0_17counting_iteratorIjlEEPS9_SE_NS0_5tupleIJPjSE_EEENSF_IJSE_SE_EEES9_SG_JZNS1_25segmented_radix_sort_implINS0_14default_configELb0EPKlPlSM_SN_N2at6native12_GLOBAL__N_18offset_tEEE10hipError_tPvRmT1_PNSt15iterator_traitsISV_E10value_typeET2_T3_PNSW_IS11_E10value_typeET4_jRbjT5_S17_jjP12ihipStream_tbEUljE_EEESS_ST_SU_S11_S15_S17_T6_T7_T9_mT8_S19_bDpT10_ENKUlT_T0_E_clISt17integral_constantIbLb0EES1M_EEDaS1H_S1I_EUlS1H_E_NS1_11comp_targetILNS1_3genE8ELNS1_11target_archE1030ELNS1_3gpuE2ELNS1_3repE0EEENS1_30default_config_static_selectorELNS0_4arch9wavefront6targetE0EEEvSV_.num_agpr, 0
	.set _ZN7rocprim17ROCPRIM_400000_NS6detail17trampoline_kernelINS0_13select_configILj256ELj13ELNS0_17block_load_methodE3ELS4_3ELS4_3ELNS0_20block_scan_algorithmE0ELj4294967295EEENS1_25partition_config_selectorILNS1_17partition_subalgoE3EjNS0_10empty_typeEbEEZZNS1_14partition_implILS8_3ELb0ES6_jNS0_17counting_iteratorIjlEEPS9_SE_NS0_5tupleIJPjSE_EEENSF_IJSE_SE_EEES9_SG_JZNS1_25segmented_radix_sort_implINS0_14default_configELb0EPKlPlSM_SN_N2at6native12_GLOBAL__N_18offset_tEEE10hipError_tPvRmT1_PNSt15iterator_traitsISV_E10value_typeET2_T3_PNSW_IS11_E10value_typeET4_jRbjT5_S17_jjP12ihipStream_tbEUljE_EEESS_ST_SU_S11_S15_S17_T6_T7_T9_mT8_S19_bDpT10_ENKUlT_T0_E_clISt17integral_constantIbLb0EES1M_EEDaS1H_S1I_EUlS1H_E_NS1_11comp_targetILNS1_3genE8ELNS1_11target_archE1030ELNS1_3gpuE2ELNS1_3repE0EEENS1_30default_config_static_selectorELNS0_4arch9wavefront6targetE0EEEvSV_.numbered_sgpr, 0
	.set _ZN7rocprim17ROCPRIM_400000_NS6detail17trampoline_kernelINS0_13select_configILj256ELj13ELNS0_17block_load_methodE3ELS4_3ELS4_3ELNS0_20block_scan_algorithmE0ELj4294967295EEENS1_25partition_config_selectorILNS1_17partition_subalgoE3EjNS0_10empty_typeEbEEZZNS1_14partition_implILS8_3ELb0ES6_jNS0_17counting_iteratorIjlEEPS9_SE_NS0_5tupleIJPjSE_EEENSF_IJSE_SE_EEES9_SG_JZNS1_25segmented_radix_sort_implINS0_14default_configELb0EPKlPlSM_SN_N2at6native12_GLOBAL__N_18offset_tEEE10hipError_tPvRmT1_PNSt15iterator_traitsISV_E10value_typeET2_T3_PNSW_IS11_E10value_typeET4_jRbjT5_S17_jjP12ihipStream_tbEUljE_EEESS_ST_SU_S11_S15_S17_T6_T7_T9_mT8_S19_bDpT10_ENKUlT_T0_E_clISt17integral_constantIbLb0EES1M_EEDaS1H_S1I_EUlS1H_E_NS1_11comp_targetILNS1_3genE8ELNS1_11target_archE1030ELNS1_3gpuE2ELNS1_3repE0EEENS1_30default_config_static_selectorELNS0_4arch9wavefront6targetE0EEEvSV_.num_named_barrier, 0
	.set _ZN7rocprim17ROCPRIM_400000_NS6detail17trampoline_kernelINS0_13select_configILj256ELj13ELNS0_17block_load_methodE3ELS4_3ELS4_3ELNS0_20block_scan_algorithmE0ELj4294967295EEENS1_25partition_config_selectorILNS1_17partition_subalgoE3EjNS0_10empty_typeEbEEZZNS1_14partition_implILS8_3ELb0ES6_jNS0_17counting_iteratorIjlEEPS9_SE_NS0_5tupleIJPjSE_EEENSF_IJSE_SE_EEES9_SG_JZNS1_25segmented_radix_sort_implINS0_14default_configELb0EPKlPlSM_SN_N2at6native12_GLOBAL__N_18offset_tEEE10hipError_tPvRmT1_PNSt15iterator_traitsISV_E10value_typeET2_T3_PNSW_IS11_E10value_typeET4_jRbjT5_S17_jjP12ihipStream_tbEUljE_EEESS_ST_SU_S11_S15_S17_T6_T7_T9_mT8_S19_bDpT10_ENKUlT_T0_E_clISt17integral_constantIbLb0EES1M_EEDaS1H_S1I_EUlS1H_E_NS1_11comp_targetILNS1_3genE8ELNS1_11target_archE1030ELNS1_3gpuE2ELNS1_3repE0EEENS1_30default_config_static_selectorELNS0_4arch9wavefront6targetE0EEEvSV_.private_seg_size, 0
	.set _ZN7rocprim17ROCPRIM_400000_NS6detail17trampoline_kernelINS0_13select_configILj256ELj13ELNS0_17block_load_methodE3ELS4_3ELS4_3ELNS0_20block_scan_algorithmE0ELj4294967295EEENS1_25partition_config_selectorILNS1_17partition_subalgoE3EjNS0_10empty_typeEbEEZZNS1_14partition_implILS8_3ELb0ES6_jNS0_17counting_iteratorIjlEEPS9_SE_NS0_5tupleIJPjSE_EEENSF_IJSE_SE_EEES9_SG_JZNS1_25segmented_radix_sort_implINS0_14default_configELb0EPKlPlSM_SN_N2at6native12_GLOBAL__N_18offset_tEEE10hipError_tPvRmT1_PNSt15iterator_traitsISV_E10value_typeET2_T3_PNSW_IS11_E10value_typeET4_jRbjT5_S17_jjP12ihipStream_tbEUljE_EEESS_ST_SU_S11_S15_S17_T6_T7_T9_mT8_S19_bDpT10_ENKUlT_T0_E_clISt17integral_constantIbLb0EES1M_EEDaS1H_S1I_EUlS1H_E_NS1_11comp_targetILNS1_3genE8ELNS1_11target_archE1030ELNS1_3gpuE2ELNS1_3repE0EEENS1_30default_config_static_selectorELNS0_4arch9wavefront6targetE0EEEvSV_.uses_vcc, 0
	.set _ZN7rocprim17ROCPRIM_400000_NS6detail17trampoline_kernelINS0_13select_configILj256ELj13ELNS0_17block_load_methodE3ELS4_3ELS4_3ELNS0_20block_scan_algorithmE0ELj4294967295EEENS1_25partition_config_selectorILNS1_17partition_subalgoE3EjNS0_10empty_typeEbEEZZNS1_14partition_implILS8_3ELb0ES6_jNS0_17counting_iteratorIjlEEPS9_SE_NS0_5tupleIJPjSE_EEENSF_IJSE_SE_EEES9_SG_JZNS1_25segmented_radix_sort_implINS0_14default_configELb0EPKlPlSM_SN_N2at6native12_GLOBAL__N_18offset_tEEE10hipError_tPvRmT1_PNSt15iterator_traitsISV_E10value_typeET2_T3_PNSW_IS11_E10value_typeET4_jRbjT5_S17_jjP12ihipStream_tbEUljE_EEESS_ST_SU_S11_S15_S17_T6_T7_T9_mT8_S19_bDpT10_ENKUlT_T0_E_clISt17integral_constantIbLb0EES1M_EEDaS1H_S1I_EUlS1H_E_NS1_11comp_targetILNS1_3genE8ELNS1_11target_archE1030ELNS1_3gpuE2ELNS1_3repE0EEENS1_30default_config_static_selectorELNS0_4arch9wavefront6targetE0EEEvSV_.uses_flat_scratch, 0
	.set _ZN7rocprim17ROCPRIM_400000_NS6detail17trampoline_kernelINS0_13select_configILj256ELj13ELNS0_17block_load_methodE3ELS4_3ELS4_3ELNS0_20block_scan_algorithmE0ELj4294967295EEENS1_25partition_config_selectorILNS1_17partition_subalgoE3EjNS0_10empty_typeEbEEZZNS1_14partition_implILS8_3ELb0ES6_jNS0_17counting_iteratorIjlEEPS9_SE_NS0_5tupleIJPjSE_EEENSF_IJSE_SE_EEES9_SG_JZNS1_25segmented_radix_sort_implINS0_14default_configELb0EPKlPlSM_SN_N2at6native12_GLOBAL__N_18offset_tEEE10hipError_tPvRmT1_PNSt15iterator_traitsISV_E10value_typeET2_T3_PNSW_IS11_E10value_typeET4_jRbjT5_S17_jjP12ihipStream_tbEUljE_EEESS_ST_SU_S11_S15_S17_T6_T7_T9_mT8_S19_bDpT10_ENKUlT_T0_E_clISt17integral_constantIbLb0EES1M_EEDaS1H_S1I_EUlS1H_E_NS1_11comp_targetILNS1_3genE8ELNS1_11target_archE1030ELNS1_3gpuE2ELNS1_3repE0EEENS1_30default_config_static_selectorELNS0_4arch9wavefront6targetE0EEEvSV_.has_dyn_sized_stack, 0
	.set _ZN7rocprim17ROCPRIM_400000_NS6detail17trampoline_kernelINS0_13select_configILj256ELj13ELNS0_17block_load_methodE3ELS4_3ELS4_3ELNS0_20block_scan_algorithmE0ELj4294967295EEENS1_25partition_config_selectorILNS1_17partition_subalgoE3EjNS0_10empty_typeEbEEZZNS1_14partition_implILS8_3ELb0ES6_jNS0_17counting_iteratorIjlEEPS9_SE_NS0_5tupleIJPjSE_EEENSF_IJSE_SE_EEES9_SG_JZNS1_25segmented_radix_sort_implINS0_14default_configELb0EPKlPlSM_SN_N2at6native12_GLOBAL__N_18offset_tEEE10hipError_tPvRmT1_PNSt15iterator_traitsISV_E10value_typeET2_T3_PNSW_IS11_E10value_typeET4_jRbjT5_S17_jjP12ihipStream_tbEUljE_EEESS_ST_SU_S11_S15_S17_T6_T7_T9_mT8_S19_bDpT10_ENKUlT_T0_E_clISt17integral_constantIbLb0EES1M_EEDaS1H_S1I_EUlS1H_E_NS1_11comp_targetILNS1_3genE8ELNS1_11target_archE1030ELNS1_3gpuE2ELNS1_3repE0EEENS1_30default_config_static_selectorELNS0_4arch9wavefront6targetE0EEEvSV_.has_recursion, 0
	.set _ZN7rocprim17ROCPRIM_400000_NS6detail17trampoline_kernelINS0_13select_configILj256ELj13ELNS0_17block_load_methodE3ELS4_3ELS4_3ELNS0_20block_scan_algorithmE0ELj4294967295EEENS1_25partition_config_selectorILNS1_17partition_subalgoE3EjNS0_10empty_typeEbEEZZNS1_14partition_implILS8_3ELb0ES6_jNS0_17counting_iteratorIjlEEPS9_SE_NS0_5tupleIJPjSE_EEENSF_IJSE_SE_EEES9_SG_JZNS1_25segmented_radix_sort_implINS0_14default_configELb0EPKlPlSM_SN_N2at6native12_GLOBAL__N_18offset_tEEE10hipError_tPvRmT1_PNSt15iterator_traitsISV_E10value_typeET2_T3_PNSW_IS11_E10value_typeET4_jRbjT5_S17_jjP12ihipStream_tbEUljE_EEESS_ST_SU_S11_S15_S17_T6_T7_T9_mT8_S19_bDpT10_ENKUlT_T0_E_clISt17integral_constantIbLb0EES1M_EEDaS1H_S1I_EUlS1H_E_NS1_11comp_targetILNS1_3genE8ELNS1_11target_archE1030ELNS1_3gpuE2ELNS1_3repE0EEENS1_30default_config_static_selectorELNS0_4arch9wavefront6targetE0EEEvSV_.has_indirect_call, 0
	.section	.AMDGPU.csdata,"",@progbits
; Kernel info:
; codeLenInByte = 0
; TotalNumSgprs: 0
; NumVgprs: 0
; ScratchSize: 0
; MemoryBound: 0
; FloatMode: 240
; IeeeMode: 1
; LDSByteSize: 0 bytes/workgroup (compile time only)
; SGPRBlocks: 0
; VGPRBlocks: 0
; NumSGPRsForWavesPerEU: 1
; NumVGPRsForWavesPerEU: 1
; NamedBarCnt: 0
; Occupancy: 16
; WaveLimiterHint : 0
; COMPUTE_PGM_RSRC2:SCRATCH_EN: 0
; COMPUTE_PGM_RSRC2:USER_SGPR: 2
; COMPUTE_PGM_RSRC2:TRAP_HANDLER: 0
; COMPUTE_PGM_RSRC2:TGID_X_EN: 1
; COMPUTE_PGM_RSRC2:TGID_Y_EN: 0
; COMPUTE_PGM_RSRC2:TGID_Z_EN: 0
; COMPUTE_PGM_RSRC2:TIDIG_COMP_CNT: 0
	.section	.text._ZN7rocprim17ROCPRIM_400000_NS6detail17trampoline_kernelINS0_13select_configILj256ELj13ELNS0_17block_load_methodE3ELS4_3ELS4_3ELNS0_20block_scan_algorithmE0ELj4294967295EEENS1_25partition_config_selectorILNS1_17partition_subalgoE3EjNS0_10empty_typeEbEEZZNS1_14partition_implILS8_3ELb0ES6_jNS0_17counting_iteratorIjlEEPS9_SE_NS0_5tupleIJPjSE_EEENSF_IJSE_SE_EEES9_SG_JZNS1_25segmented_radix_sort_implINS0_14default_configELb0EPKlPlSM_SN_N2at6native12_GLOBAL__N_18offset_tEEE10hipError_tPvRmT1_PNSt15iterator_traitsISV_E10value_typeET2_T3_PNSW_IS11_E10value_typeET4_jRbjT5_S17_jjP12ihipStream_tbEUljE_EEESS_ST_SU_S11_S15_S17_T6_T7_T9_mT8_S19_bDpT10_ENKUlT_T0_E_clISt17integral_constantIbLb1EES1M_EEDaS1H_S1I_EUlS1H_E_NS1_11comp_targetILNS1_3genE0ELNS1_11target_archE4294967295ELNS1_3gpuE0ELNS1_3repE0EEENS1_30default_config_static_selectorELNS0_4arch9wavefront6targetE0EEEvSV_,"axG",@progbits,_ZN7rocprim17ROCPRIM_400000_NS6detail17trampoline_kernelINS0_13select_configILj256ELj13ELNS0_17block_load_methodE3ELS4_3ELS4_3ELNS0_20block_scan_algorithmE0ELj4294967295EEENS1_25partition_config_selectorILNS1_17partition_subalgoE3EjNS0_10empty_typeEbEEZZNS1_14partition_implILS8_3ELb0ES6_jNS0_17counting_iteratorIjlEEPS9_SE_NS0_5tupleIJPjSE_EEENSF_IJSE_SE_EEES9_SG_JZNS1_25segmented_radix_sort_implINS0_14default_configELb0EPKlPlSM_SN_N2at6native12_GLOBAL__N_18offset_tEEE10hipError_tPvRmT1_PNSt15iterator_traitsISV_E10value_typeET2_T3_PNSW_IS11_E10value_typeET4_jRbjT5_S17_jjP12ihipStream_tbEUljE_EEESS_ST_SU_S11_S15_S17_T6_T7_T9_mT8_S19_bDpT10_ENKUlT_T0_E_clISt17integral_constantIbLb1EES1M_EEDaS1H_S1I_EUlS1H_E_NS1_11comp_targetILNS1_3genE0ELNS1_11target_archE4294967295ELNS1_3gpuE0ELNS1_3repE0EEENS1_30default_config_static_selectorELNS0_4arch9wavefront6targetE0EEEvSV_,comdat
	.globl	_ZN7rocprim17ROCPRIM_400000_NS6detail17trampoline_kernelINS0_13select_configILj256ELj13ELNS0_17block_load_methodE3ELS4_3ELS4_3ELNS0_20block_scan_algorithmE0ELj4294967295EEENS1_25partition_config_selectorILNS1_17partition_subalgoE3EjNS0_10empty_typeEbEEZZNS1_14partition_implILS8_3ELb0ES6_jNS0_17counting_iteratorIjlEEPS9_SE_NS0_5tupleIJPjSE_EEENSF_IJSE_SE_EEES9_SG_JZNS1_25segmented_radix_sort_implINS0_14default_configELb0EPKlPlSM_SN_N2at6native12_GLOBAL__N_18offset_tEEE10hipError_tPvRmT1_PNSt15iterator_traitsISV_E10value_typeET2_T3_PNSW_IS11_E10value_typeET4_jRbjT5_S17_jjP12ihipStream_tbEUljE_EEESS_ST_SU_S11_S15_S17_T6_T7_T9_mT8_S19_bDpT10_ENKUlT_T0_E_clISt17integral_constantIbLb1EES1M_EEDaS1H_S1I_EUlS1H_E_NS1_11comp_targetILNS1_3genE0ELNS1_11target_archE4294967295ELNS1_3gpuE0ELNS1_3repE0EEENS1_30default_config_static_selectorELNS0_4arch9wavefront6targetE0EEEvSV_ ; -- Begin function _ZN7rocprim17ROCPRIM_400000_NS6detail17trampoline_kernelINS0_13select_configILj256ELj13ELNS0_17block_load_methodE3ELS4_3ELS4_3ELNS0_20block_scan_algorithmE0ELj4294967295EEENS1_25partition_config_selectorILNS1_17partition_subalgoE3EjNS0_10empty_typeEbEEZZNS1_14partition_implILS8_3ELb0ES6_jNS0_17counting_iteratorIjlEEPS9_SE_NS0_5tupleIJPjSE_EEENSF_IJSE_SE_EEES9_SG_JZNS1_25segmented_radix_sort_implINS0_14default_configELb0EPKlPlSM_SN_N2at6native12_GLOBAL__N_18offset_tEEE10hipError_tPvRmT1_PNSt15iterator_traitsISV_E10value_typeET2_T3_PNSW_IS11_E10value_typeET4_jRbjT5_S17_jjP12ihipStream_tbEUljE_EEESS_ST_SU_S11_S15_S17_T6_T7_T9_mT8_S19_bDpT10_ENKUlT_T0_E_clISt17integral_constantIbLb1EES1M_EEDaS1H_S1I_EUlS1H_E_NS1_11comp_targetILNS1_3genE0ELNS1_11target_archE4294967295ELNS1_3gpuE0ELNS1_3repE0EEENS1_30default_config_static_selectorELNS0_4arch9wavefront6targetE0EEEvSV_
	.p2align	8
	.type	_ZN7rocprim17ROCPRIM_400000_NS6detail17trampoline_kernelINS0_13select_configILj256ELj13ELNS0_17block_load_methodE3ELS4_3ELS4_3ELNS0_20block_scan_algorithmE0ELj4294967295EEENS1_25partition_config_selectorILNS1_17partition_subalgoE3EjNS0_10empty_typeEbEEZZNS1_14partition_implILS8_3ELb0ES6_jNS0_17counting_iteratorIjlEEPS9_SE_NS0_5tupleIJPjSE_EEENSF_IJSE_SE_EEES9_SG_JZNS1_25segmented_radix_sort_implINS0_14default_configELb0EPKlPlSM_SN_N2at6native12_GLOBAL__N_18offset_tEEE10hipError_tPvRmT1_PNSt15iterator_traitsISV_E10value_typeET2_T3_PNSW_IS11_E10value_typeET4_jRbjT5_S17_jjP12ihipStream_tbEUljE_EEESS_ST_SU_S11_S15_S17_T6_T7_T9_mT8_S19_bDpT10_ENKUlT_T0_E_clISt17integral_constantIbLb1EES1M_EEDaS1H_S1I_EUlS1H_E_NS1_11comp_targetILNS1_3genE0ELNS1_11target_archE4294967295ELNS1_3gpuE0ELNS1_3repE0EEENS1_30default_config_static_selectorELNS0_4arch9wavefront6targetE0EEEvSV_,@function
_ZN7rocprim17ROCPRIM_400000_NS6detail17trampoline_kernelINS0_13select_configILj256ELj13ELNS0_17block_load_methodE3ELS4_3ELS4_3ELNS0_20block_scan_algorithmE0ELj4294967295EEENS1_25partition_config_selectorILNS1_17partition_subalgoE3EjNS0_10empty_typeEbEEZZNS1_14partition_implILS8_3ELb0ES6_jNS0_17counting_iteratorIjlEEPS9_SE_NS0_5tupleIJPjSE_EEENSF_IJSE_SE_EEES9_SG_JZNS1_25segmented_radix_sort_implINS0_14default_configELb0EPKlPlSM_SN_N2at6native12_GLOBAL__N_18offset_tEEE10hipError_tPvRmT1_PNSt15iterator_traitsISV_E10value_typeET2_T3_PNSW_IS11_E10value_typeET4_jRbjT5_S17_jjP12ihipStream_tbEUljE_EEESS_ST_SU_S11_S15_S17_T6_T7_T9_mT8_S19_bDpT10_ENKUlT_T0_E_clISt17integral_constantIbLb1EES1M_EEDaS1H_S1I_EUlS1H_E_NS1_11comp_targetILNS1_3genE0ELNS1_11target_archE4294967295ELNS1_3gpuE0ELNS1_3repE0EEENS1_30default_config_static_selectorELNS0_4arch9wavefront6targetE0EEEvSV_: ; @_ZN7rocprim17ROCPRIM_400000_NS6detail17trampoline_kernelINS0_13select_configILj256ELj13ELNS0_17block_load_methodE3ELS4_3ELS4_3ELNS0_20block_scan_algorithmE0ELj4294967295EEENS1_25partition_config_selectorILNS1_17partition_subalgoE3EjNS0_10empty_typeEbEEZZNS1_14partition_implILS8_3ELb0ES6_jNS0_17counting_iteratorIjlEEPS9_SE_NS0_5tupleIJPjSE_EEENSF_IJSE_SE_EEES9_SG_JZNS1_25segmented_radix_sort_implINS0_14default_configELb0EPKlPlSM_SN_N2at6native12_GLOBAL__N_18offset_tEEE10hipError_tPvRmT1_PNSt15iterator_traitsISV_E10value_typeET2_T3_PNSW_IS11_E10value_typeET4_jRbjT5_S17_jjP12ihipStream_tbEUljE_EEESS_ST_SU_S11_S15_S17_T6_T7_T9_mT8_S19_bDpT10_ENKUlT_T0_E_clISt17integral_constantIbLb1EES1M_EEDaS1H_S1I_EUlS1H_E_NS1_11comp_targetILNS1_3genE0ELNS1_11target_archE4294967295ELNS1_3gpuE0ELNS1_3repE0EEENS1_30default_config_static_selectorELNS0_4arch9wavefront6targetE0EEEvSV_
; %bb.0:
	s_endpgm
	.section	.rodata,"a",@progbits
	.p2align	6, 0x0
	.amdhsa_kernel _ZN7rocprim17ROCPRIM_400000_NS6detail17trampoline_kernelINS0_13select_configILj256ELj13ELNS0_17block_load_methodE3ELS4_3ELS4_3ELNS0_20block_scan_algorithmE0ELj4294967295EEENS1_25partition_config_selectorILNS1_17partition_subalgoE3EjNS0_10empty_typeEbEEZZNS1_14partition_implILS8_3ELb0ES6_jNS0_17counting_iteratorIjlEEPS9_SE_NS0_5tupleIJPjSE_EEENSF_IJSE_SE_EEES9_SG_JZNS1_25segmented_radix_sort_implINS0_14default_configELb0EPKlPlSM_SN_N2at6native12_GLOBAL__N_18offset_tEEE10hipError_tPvRmT1_PNSt15iterator_traitsISV_E10value_typeET2_T3_PNSW_IS11_E10value_typeET4_jRbjT5_S17_jjP12ihipStream_tbEUljE_EEESS_ST_SU_S11_S15_S17_T6_T7_T9_mT8_S19_bDpT10_ENKUlT_T0_E_clISt17integral_constantIbLb1EES1M_EEDaS1H_S1I_EUlS1H_E_NS1_11comp_targetILNS1_3genE0ELNS1_11target_archE4294967295ELNS1_3gpuE0ELNS1_3repE0EEENS1_30default_config_static_selectorELNS0_4arch9wavefront6targetE0EEEvSV_
		.amdhsa_group_segment_fixed_size 0
		.amdhsa_private_segment_fixed_size 0
		.amdhsa_kernarg_size 152
		.amdhsa_user_sgpr_count 2
		.amdhsa_user_sgpr_dispatch_ptr 0
		.amdhsa_user_sgpr_queue_ptr 0
		.amdhsa_user_sgpr_kernarg_segment_ptr 1
		.amdhsa_user_sgpr_dispatch_id 0
		.amdhsa_user_sgpr_kernarg_preload_length 0
		.amdhsa_user_sgpr_kernarg_preload_offset 0
		.amdhsa_user_sgpr_private_segment_size 0
		.amdhsa_wavefront_size32 1
		.amdhsa_uses_dynamic_stack 0
		.amdhsa_enable_private_segment 0
		.amdhsa_system_sgpr_workgroup_id_x 1
		.amdhsa_system_sgpr_workgroup_id_y 0
		.amdhsa_system_sgpr_workgroup_id_z 0
		.amdhsa_system_sgpr_workgroup_info 0
		.amdhsa_system_vgpr_workitem_id 0
		.amdhsa_next_free_vgpr 1
		.amdhsa_next_free_sgpr 1
		.amdhsa_named_barrier_count 0
		.amdhsa_reserve_vcc 0
		.amdhsa_float_round_mode_32 0
		.amdhsa_float_round_mode_16_64 0
		.amdhsa_float_denorm_mode_32 3
		.amdhsa_float_denorm_mode_16_64 3
		.amdhsa_fp16_overflow 0
		.amdhsa_memory_ordered 1
		.amdhsa_forward_progress 1
		.amdhsa_inst_pref_size 1
		.amdhsa_round_robin_scheduling 0
		.amdhsa_exception_fp_ieee_invalid_op 0
		.amdhsa_exception_fp_denorm_src 0
		.amdhsa_exception_fp_ieee_div_zero 0
		.amdhsa_exception_fp_ieee_overflow 0
		.amdhsa_exception_fp_ieee_underflow 0
		.amdhsa_exception_fp_ieee_inexact 0
		.amdhsa_exception_int_div_zero 0
	.end_amdhsa_kernel
	.section	.text._ZN7rocprim17ROCPRIM_400000_NS6detail17trampoline_kernelINS0_13select_configILj256ELj13ELNS0_17block_load_methodE3ELS4_3ELS4_3ELNS0_20block_scan_algorithmE0ELj4294967295EEENS1_25partition_config_selectorILNS1_17partition_subalgoE3EjNS0_10empty_typeEbEEZZNS1_14partition_implILS8_3ELb0ES6_jNS0_17counting_iteratorIjlEEPS9_SE_NS0_5tupleIJPjSE_EEENSF_IJSE_SE_EEES9_SG_JZNS1_25segmented_radix_sort_implINS0_14default_configELb0EPKlPlSM_SN_N2at6native12_GLOBAL__N_18offset_tEEE10hipError_tPvRmT1_PNSt15iterator_traitsISV_E10value_typeET2_T3_PNSW_IS11_E10value_typeET4_jRbjT5_S17_jjP12ihipStream_tbEUljE_EEESS_ST_SU_S11_S15_S17_T6_T7_T9_mT8_S19_bDpT10_ENKUlT_T0_E_clISt17integral_constantIbLb1EES1M_EEDaS1H_S1I_EUlS1H_E_NS1_11comp_targetILNS1_3genE0ELNS1_11target_archE4294967295ELNS1_3gpuE0ELNS1_3repE0EEENS1_30default_config_static_selectorELNS0_4arch9wavefront6targetE0EEEvSV_,"axG",@progbits,_ZN7rocprim17ROCPRIM_400000_NS6detail17trampoline_kernelINS0_13select_configILj256ELj13ELNS0_17block_load_methodE3ELS4_3ELS4_3ELNS0_20block_scan_algorithmE0ELj4294967295EEENS1_25partition_config_selectorILNS1_17partition_subalgoE3EjNS0_10empty_typeEbEEZZNS1_14partition_implILS8_3ELb0ES6_jNS0_17counting_iteratorIjlEEPS9_SE_NS0_5tupleIJPjSE_EEENSF_IJSE_SE_EEES9_SG_JZNS1_25segmented_radix_sort_implINS0_14default_configELb0EPKlPlSM_SN_N2at6native12_GLOBAL__N_18offset_tEEE10hipError_tPvRmT1_PNSt15iterator_traitsISV_E10value_typeET2_T3_PNSW_IS11_E10value_typeET4_jRbjT5_S17_jjP12ihipStream_tbEUljE_EEESS_ST_SU_S11_S15_S17_T6_T7_T9_mT8_S19_bDpT10_ENKUlT_T0_E_clISt17integral_constantIbLb1EES1M_EEDaS1H_S1I_EUlS1H_E_NS1_11comp_targetILNS1_3genE0ELNS1_11target_archE4294967295ELNS1_3gpuE0ELNS1_3repE0EEENS1_30default_config_static_selectorELNS0_4arch9wavefront6targetE0EEEvSV_,comdat
.Lfunc_end779:
	.size	_ZN7rocprim17ROCPRIM_400000_NS6detail17trampoline_kernelINS0_13select_configILj256ELj13ELNS0_17block_load_methodE3ELS4_3ELS4_3ELNS0_20block_scan_algorithmE0ELj4294967295EEENS1_25partition_config_selectorILNS1_17partition_subalgoE3EjNS0_10empty_typeEbEEZZNS1_14partition_implILS8_3ELb0ES6_jNS0_17counting_iteratorIjlEEPS9_SE_NS0_5tupleIJPjSE_EEENSF_IJSE_SE_EEES9_SG_JZNS1_25segmented_radix_sort_implINS0_14default_configELb0EPKlPlSM_SN_N2at6native12_GLOBAL__N_18offset_tEEE10hipError_tPvRmT1_PNSt15iterator_traitsISV_E10value_typeET2_T3_PNSW_IS11_E10value_typeET4_jRbjT5_S17_jjP12ihipStream_tbEUljE_EEESS_ST_SU_S11_S15_S17_T6_T7_T9_mT8_S19_bDpT10_ENKUlT_T0_E_clISt17integral_constantIbLb1EES1M_EEDaS1H_S1I_EUlS1H_E_NS1_11comp_targetILNS1_3genE0ELNS1_11target_archE4294967295ELNS1_3gpuE0ELNS1_3repE0EEENS1_30default_config_static_selectorELNS0_4arch9wavefront6targetE0EEEvSV_, .Lfunc_end779-_ZN7rocprim17ROCPRIM_400000_NS6detail17trampoline_kernelINS0_13select_configILj256ELj13ELNS0_17block_load_methodE3ELS4_3ELS4_3ELNS0_20block_scan_algorithmE0ELj4294967295EEENS1_25partition_config_selectorILNS1_17partition_subalgoE3EjNS0_10empty_typeEbEEZZNS1_14partition_implILS8_3ELb0ES6_jNS0_17counting_iteratorIjlEEPS9_SE_NS0_5tupleIJPjSE_EEENSF_IJSE_SE_EEES9_SG_JZNS1_25segmented_radix_sort_implINS0_14default_configELb0EPKlPlSM_SN_N2at6native12_GLOBAL__N_18offset_tEEE10hipError_tPvRmT1_PNSt15iterator_traitsISV_E10value_typeET2_T3_PNSW_IS11_E10value_typeET4_jRbjT5_S17_jjP12ihipStream_tbEUljE_EEESS_ST_SU_S11_S15_S17_T6_T7_T9_mT8_S19_bDpT10_ENKUlT_T0_E_clISt17integral_constantIbLb1EES1M_EEDaS1H_S1I_EUlS1H_E_NS1_11comp_targetILNS1_3genE0ELNS1_11target_archE4294967295ELNS1_3gpuE0ELNS1_3repE0EEENS1_30default_config_static_selectorELNS0_4arch9wavefront6targetE0EEEvSV_
                                        ; -- End function
	.set _ZN7rocprim17ROCPRIM_400000_NS6detail17trampoline_kernelINS0_13select_configILj256ELj13ELNS0_17block_load_methodE3ELS4_3ELS4_3ELNS0_20block_scan_algorithmE0ELj4294967295EEENS1_25partition_config_selectorILNS1_17partition_subalgoE3EjNS0_10empty_typeEbEEZZNS1_14partition_implILS8_3ELb0ES6_jNS0_17counting_iteratorIjlEEPS9_SE_NS0_5tupleIJPjSE_EEENSF_IJSE_SE_EEES9_SG_JZNS1_25segmented_radix_sort_implINS0_14default_configELb0EPKlPlSM_SN_N2at6native12_GLOBAL__N_18offset_tEEE10hipError_tPvRmT1_PNSt15iterator_traitsISV_E10value_typeET2_T3_PNSW_IS11_E10value_typeET4_jRbjT5_S17_jjP12ihipStream_tbEUljE_EEESS_ST_SU_S11_S15_S17_T6_T7_T9_mT8_S19_bDpT10_ENKUlT_T0_E_clISt17integral_constantIbLb1EES1M_EEDaS1H_S1I_EUlS1H_E_NS1_11comp_targetILNS1_3genE0ELNS1_11target_archE4294967295ELNS1_3gpuE0ELNS1_3repE0EEENS1_30default_config_static_selectorELNS0_4arch9wavefront6targetE0EEEvSV_.num_vgpr, 0
	.set _ZN7rocprim17ROCPRIM_400000_NS6detail17trampoline_kernelINS0_13select_configILj256ELj13ELNS0_17block_load_methodE3ELS4_3ELS4_3ELNS0_20block_scan_algorithmE0ELj4294967295EEENS1_25partition_config_selectorILNS1_17partition_subalgoE3EjNS0_10empty_typeEbEEZZNS1_14partition_implILS8_3ELb0ES6_jNS0_17counting_iteratorIjlEEPS9_SE_NS0_5tupleIJPjSE_EEENSF_IJSE_SE_EEES9_SG_JZNS1_25segmented_radix_sort_implINS0_14default_configELb0EPKlPlSM_SN_N2at6native12_GLOBAL__N_18offset_tEEE10hipError_tPvRmT1_PNSt15iterator_traitsISV_E10value_typeET2_T3_PNSW_IS11_E10value_typeET4_jRbjT5_S17_jjP12ihipStream_tbEUljE_EEESS_ST_SU_S11_S15_S17_T6_T7_T9_mT8_S19_bDpT10_ENKUlT_T0_E_clISt17integral_constantIbLb1EES1M_EEDaS1H_S1I_EUlS1H_E_NS1_11comp_targetILNS1_3genE0ELNS1_11target_archE4294967295ELNS1_3gpuE0ELNS1_3repE0EEENS1_30default_config_static_selectorELNS0_4arch9wavefront6targetE0EEEvSV_.num_agpr, 0
	.set _ZN7rocprim17ROCPRIM_400000_NS6detail17trampoline_kernelINS0_13select_configILj256ELj13ELNS0_17block_load_methodE3ELS4_3ELS4_3ELNS0_20block_scan_algorithmE0ELj4294967295EEENS1_25partition_config_selectorILNS1_17partition_subalgoE3EjNS0_10empty_typeEbEEZZNS1_14partition_implILS8_3ELb0ES6_jNS0_17counting_iteratorIjlEEPS9_SE_NS0_5tupleIJPjSE_EEENSF_IJSE_SE_EEES9_SG_JZNS1_25segmented_radix_sort_implINS0_14default_configELb0EPKlPlSM_SN_N2at6native12_GLOBAL__N_18offset_tEEE10hipError_tPvRmT1_PNSt15iterator_traitsISV_E10value_typeET2_T3_PNSW_IS11_E10value_typeET4_jRbjT5_S17_jjP12ihipStream_tbEUljE_EEESS_ST_SU_S11_S15_S17_T6_T7_T9_mT8_S19_bDpT10_ENKUlT_T0_E_clISt17integral_constantIbLb1EES1M_EEDaS1H_S1I_EUlS1H_E_NS1_11comp_targetILNS1_3genE0ELNS1_11target_archE4294967295ELNS1_3gpuE0ELNS1_3repE0EEENS1_30default_config_static_selectorELNS0_4arch9wavefront6targetE0EEEvSV_.numbered_sgpr, 0
	.set _ZN7rocprim17ROCPRIM_400000_NS6detail17trampoline_kernelINS0_13select_configILj256ELj13ELNS0_17block_load_methodE3ELS4_3ELS4_3ELNS0_20block_scan_algorithmE0ELj4294967295EEENS1_25partition_config_selectorILNS1_17partition_subalgoE3EjNS0_10empty_typeEbEEZZNS1_14partition_implILS8_3ELb0ES6_jNS0_17counting_iteratorIjlEEPS9_SE_NS0_5tupleIJPjSE_EEENSF_IJSE_SE_EEES9_SG_JZNS1_25segmented_radix_sort_implINS0_14default_configELb0EPKlPlSM_SN_N2at6native12_GLOBAL__N_18offset_tEEE10hipError_tPvRmT1_PNSt15iterator_traitsISV_E10value_typeET2_T3_PNSW_IS11_E10value_typeET4_jRbjT5_S17_jjP12ihipStream_tbEUljE_EEESS_ST_SU_S11_S15_S17_T6_T7_T9_mT8_S19_bDpT10_ENKUlT_T0_E_clISt17integral_constantIbLb1EES1M_EEDaS1H_S1I_EUlS1H_E_NS1_11comp_targetILNS1_3genE0ELNS1_11target_archE4294967295ELNS1_3gpuE0ELNS1_3repE0EEENS1_30default_config_static_selectorELNS0_4arch9wavefront6targetE0EEEvSV_.num_named_barrier, 0
	.set _ZN7rocprim17ROCPRIM_400000_NS6detail17trampoline_kernelINS0_13select_configILj256ELj13ELNS0_17block_load_methodE3ELS4_3ELS4_3ELNS0_20block_scan_algorithmE0ELj4294967295EEENS1_25partition_config_selectorILNS1_17partition_subalgoE3EjNS0_10empty_typeEbEEZZNS1_14partition_implILS8_3ELb0ES6_jNS0_17counting_iteratorIjlEEPS9_SE_NS0_5tupleIJPjSE_EEENSF_IJSE_SE_EEES9_SG_JZNS1_25segmented_radix_sort_implINS0_14default_configELb0EPKlPlSM_SN_N2at6native12_GLOBAL__N_18offset_tEEE10hipError_tPvRmT1_PNSt15iterator_traitsISV_E10value_typeET2_T3_PNSW_IS11_E10value_typeET4_jRbjT5_S17_jjP12ihipStream_tbEUljE_EEESS_ST_SU_S11_S15_S17_T6_T7_T9_mT8_S19_bDpT10_ENKUlT_T0_E_clISt17integral_constantIbLb1EES1M_EEDaS1H_S1I_EUlS1H_E_NS1_11comp_targetILNS1_3genE0ELNS1_11target_archE4294967295ELNS1_3gpuE0ELNS1_3repE0EEENS1_30default_config_static_selectorELNS0_4arch9wavefront6targetE0EEEvSV_.private_seg_size, 0
	.set _ZN7rocprim17ROCPRIM_400000_NS6detail17trampoline_kernelINS0_13select_configILj256ELj13ELNS0_17block_load_methodE3ELS4_3ELS4_3ELNS0_20block_scan_algorithmE0ELj4294967295EEENS1_25partition_config_selectorILNS1_17partition_subalgoE3EjNS0_10empty_typeEbEEZZNS1_14partition_implILS8_3ELb0ES6_jNS0_17counting_iteratorIjlEEPS9_SE_NS0_5tupleIJPjSE_EEENSF_IJSE_SE_EEES9_SG_JZNS1_25segmented_radix_sort_implINS0_14default_configELb0EPKlPlSM_SN_N2at6native12_GLOBAL__N_18offset_tEEE10hipError_tPvRmT1_PNSt15iterator_traitsISV_E10value_typeET2_T3_PNSW_IS11_E10value_typeET4_jRbjT5_S17_jjP12ihipStream_tbEUljE_EEESS_ST_SU_S11_S15_S17_T6_T7_T9_mT8_S19_bDpT10_ENKUlT_T0_E_clISt17integral_constantIbLb1EES1M_EEDaS1H_S1I_EUlS1H_E_NS1_11comp_targetILNS1_3genE0ELNS1_11target_archE4294967295ELNS1_3gpuE0ELNS1_3repE0EEENS1_30default_config_static_selectorELNS0_4arch9wavefront6targetE0EEEvSV_.uses_vcc, 0
	.set _ZN7rocprim17ROCPRIM_400000_NS6detail17trampoline_kernelINS0_13select_configILj256ELj13ELNS0_17block_load_methodE3ELS4_3ELS4_3ELNS0_20block_scan_algorithmE0ELj4294967295EEENS1_25partition_config_selectorILNS1_17partition_subalgoE3EjNS0_10empty_typeEbEEZZNS1_14partition_implILS8_3ELb0ES6_jNS0_17counting_iteratorIjlEEPS9_SE_NS0_5tupleIJPjSE_EEENSF_IJSE_SE_EEES9_SG_JZNS1_25segmented_radix_sort_implINS0_14default_configELb0EPKlPlSM_SN_N2at6native12_GLOBAL__N_18offset_tEEE10hipError_tPvRmT1_PNSt15iterator_traitsISV_E10value_typeET2_T3_PNSW_IS11_E10value_typeET4_jRbjT5_S17_jjP12ihipStream_tbEUljE_EEESS_ST_SU_S11_S15_S17_T6_T7_T9_mT8_S19_bDpT10_ENKUlT_T0_E_clISt17integral_constantIbLb1EES1M_EEDaS1H_S1I_EUlS1H_E_NS1_11comp_targetILNS1_3genE0ELNS1_11target_archE4294967295ELNS1_3gpuE0ELNS1_3repE0EEENS1_30default_config_static_selectorELNS0_4arch9wavefront6targetE0EEEvSV_.uses_flat_scratch, 0
	.set _ZN7rocprim17ROCPRIM_400000_NS6detail17trampoline_kernelINS0_13select_configILj256ELj13ELNS0_17block_load_methodE3ELS4_3ELS4_3ELNS0_20block_scan_algorithmE0ELj4294967295EEENS1_25partition_config_selectorILNS1_17partition_subalgoE3EjNS0_10empty_typeEbEEZZNS1_14partition_implILS8_3ELb0ES6_jNS0_17counting_iteratorIjlEEPS9_SE_NS0_5tupleIJPjSE_EEENSF_IJSE_SE_EEES9_SG_JZNS1_25segmented_radix_sort_implINS0_14default_configELb0EPKlPlSM_SN_N2at6native12_GLOBAL__N_18offset_tEEE10hipError_tPvRmT1_PNSt15iterator_traitsISV_E10value_typeET2_T3_PNSW_IS11_E10value_typeET4_jRbjT5_S17_jjP12ihipStream_tbEUljE_EEESS_ST_SU_S11_S15_S17_T6_T7_T9_mT8_S19_bDpT10_ENKUlT_T0_E_clISt17integral_constantIbLb1EES1M_EEDaS1H_S1I_EUlS1H_E_NS1_11comp_targetILNS1_3genE0ELNS1_11target_archE4294967295ELNS1_3gpuE0ELNS1_3repE0EEENS1_30default_config_static_selectorELNS0_4arch9wavefront6targetE0EEEvSV_.has_dyn_sized_stack, 0
	.set _ZN7rocprim17ROCPRIM_400000_NS6detail17trampoline_kernelINS0_13select_configILj256ELj13ELNS0_17block_load_methodE3ELS4_3ELS4_3ELNS0_20block_scan_algorithmE0ELj4294967295EEENS1_25partition_config_selectorILNS1_17partition_subalgoE3EjNS0_10empty_typeEbEEZZNS1_14partition_implILS8_3ELb0ES6_jNS0_17counting_iteratorIjlEEPS9_SE_NS0_5tupleIJPjSE_EEENSF_IJSE_SE_EEES9_SG_JZNS1_25segmented_radix_sort_implINS0_14default_configELb0EPKlPlSM_SN_N2at6native12_GLOBAL__N_18offset_tEEE10hipError_tPvRmT1_PNSt15iterator_traitsISV_E10value_typeET2_T3_PNSW_IS11_E10value_typeET4_jRbjT5_S17_jjP12ihipStream_tbEUljE_EEESS_ST_SU_S11_S15_S17_T6_T7_T9_mT8_S19_bDpT10_ENKUlT_T0_E_clISt17integral_constantIbLb1EES1M_EEDaS1H_S1I_EUlS1H_E_NS1_11comp_targetILNS1_3genE0ELNS1_11target_archE4294967295ELNS1_3gpuE0ELNS1_3repE0EEENS1_30default_config_static_selectorELNS0_4arch9wavefront6targetE0EEEvSV_.has_recursion, 0
	.set _ZN7rocprim17ROCPRIM_400000_NS6detail17trampoline_kernelINS0_13select_configILj256ELj13ELNS0_17block_load_methodE3ELS4_3ELS4_3ELNS0_20block_scan_algorithmE0ELj4294967295EEENS1_25partition_config_selectorILNS1_17partition_subalgoE3EjNS0_10empty_typeEbEEZZNS1_14partition_implILS8_3ELb0ES6_jNS0_17counting_iteratorIjlEEPS9_SE_NS0_5tupleIJPjSE_EEENSF_IJSE_SE_EEES9_SG_JZNS1_25segmented_radix_sort_implINS0_14default_configELb0EPKlPlSM_SN_N2at6native12_GLOBAL__N_18offset_tEEE10hipError_tPvRmT1_PNSt15iterator_traitsISV_E10value_typeET2_T3_PNSW_IS11_E10value_typeET4_jRbjT5_S17_jjP12ihipStream_tbEUljE_EEESS_ST_SU_S11_S15_S17_T6_T7_T9_mT8_S19_bDpT10_ENKUlT_T0_E_clISt17integral_constantIbLb1EES1M_EEDaS1H_S1I_EUlS1H_E_NS1_11comp_targetILNS1_3genE0ELNS1_11target_archE4294967295ELNS1_3gpuE0ELNS1_3repE0EEENS1_30default_config_static_selectorELNS0_4arch9wavefront6targetE0EEEvSV_.has_indirect_call, 0
	.section	.AMDGPU.csdata,"",@progbits
; Kernel info:
; codeLenInByte = 4
; TotalNumSgprs: 0
; NumVgprs: 0
; ScratchSize: 0
; MemoryBound: 0
; FloatMode: 240
; IeeeMode: 1
; LDSByteSize: 0 bytes/workgroup (compile time only)
; SGPRBlocks: 0
; VGPRBlocks: 0
; NumSGPRsForWavesPerEU: 1
; NumVGPRsForWavesPerEU: 1
; NamedBarCnt: 0
; Occupancy: 16
; WaveLimiterHint : 0
; COMPUTE_PGM_RSRC2:SCRATCH_EN: 0
; COMPUTE_PGM_RSRC2:USER_SGPR: 2
; COMPUTE_PGM_RSRC2:TRAP_HANDLER: 0
; COMPUTE_PGM_RSRC2:TGID_X_EN: 1
; COMPUTE_PGM_RSRC2:TGID_Y_EN: 0
; COMPUTE_PGM_RSRC2:TGID_Z_EN: 0
; COMPUTE_PGM_RSRC2:TIDIG_COMP_CNT: 0
	.section	.text._ZN7rocprim17ROCPRIM_400000_NS6detail17trampoline_kernelINS0_13select_configILj256ELj13ELNS0_17block_load_methodE3ELS4_3ELS4_3ELNS0_20block_scan_algorithmE0ELj4294967295EEENS1_25partition_config_selectorILNS1_17partition_subalgoE3EjNS0_10empty_typeEbEEZZNS1_14partition_implILS8_3ELb0ES6_jNS0_17counting_iteratorIjlEEPS9_SE_NS0_5tupleIJPjSE_EEENSF_IJSE_SE_EEES9_SG_JZNS1_25segmented_radix_sort_implINS0_14default_configELb0EPKlPlSM_SN_N2at6native12_GLOBAL__N_18offset_tEEE10hipError_tPvRmT1_PNSt15iterator_traitsISV_E10value_typeET2_T3_PNSW_IS11_E10value_typeET4_jRbjT5_S17_jjP12ihipStream_tbEUljE_EEESS_ST_SU_S11_S15_S17_T6_T7_T9_mT8_S19_bDpT10_ENKUlT_T0_E_clISt17integral_constantIbLb1EES1M_EEDaS1H_S1I_EUlS1H_E_NS1_11comp_targetILNS1_3genE5ELNS1_11target_archE942ELNS1_3gpuE9ELNS1_3repE0EEENS1_30default_config_static_selectorELNS0_4arch9wavefront6targetE0EEEvSV_,"axG",@progbits,_ZN7rocprim17ROCPRIM_400000_NS6detail17trampoline_kernelINS0_13select_configILj256ELj13ELNS0_17block_load_methodE3ELS4_3ELS4_3ELNS0_20block_scan_algorithmE0ELj4294967295EEENS1_25partition_config_selectorILNS1_17partition_subalgoE3EjNS0_10empty_typeEbEEZZNS1_14partition_implILS8_3ELb0ES6_jNS0_17counting_iteratorIjlEEPS9_SE_NS0_5tupleIJPjSE_EEENSF_IJSE_SE_EEES9_SG_JZNS1_25segmented_radix_sort_implINS0_14default_configELb0EPKlPlSM_SN_N2at6native12_GLOBAL__N_18offset_tEEE10hipError_tPvRmT1_PNSt15iterator_traitsISV_E10value_typeET2_T3_PNSW_IS11_E10value_typeET4_jRbjT5_S17_jjP12ihipStream_tbEUljE_EEESS_ST_SU_S11_S15_S17_T6_T7_T9_mT8_S19_bDpT10_ENKUlT_T0_E_clISt17integral_constantIbLb1EES1M_EEDaS1H_S1I_EUlS1H_E_NS1_11comp_targetILNS1_3genE5ELNS1_11target_archE942ELNS1_3gpuE9ELNS1_3repE0EEENS1_30default_config_static_selectorELNS0_4arch9wavefront6targetE0EEEvSV_,comdat
	.globl	_ZN7rocprim17ROCPRIM_400000_NS6detail17trampoline_kernelINS0_13select_configILj256ELj13ELNS0_17block_load_methodE3ELS4_3ELS4_3ELNS0_20block_scan_algorithmE0ELj4294967295EEENS1_25partition_config_selectorILNS1_17partition_subalgoE3EjNS0_10empty_typeEbEEZZNS1_14partition_implILS8_3ELb0ES6_jNS0_17counting_iteratorIjlEEPS9_SE_NS0_5tupleIJPjSE_EEENSF_IJSE_SE_EEES9_SG_JZNS1_25segmented_radix_sort_implINS0_14default_configELb0EPKlPlSM_SN_N2at6native12_GLOBAL__N_18offset_tEEE10hipError_tPvRmT1_PNSt15iterator_traitsISV_E10value_typeET2_T3_PNSW_IS11_E10value_typeET4_jRbjT5_S17_jjP12ihipStream_tbEUljE_EEESS_ST_SU_S11_S15_S17_T6_T7_T9_mT8_S19_bDpT10_ENKUlT_T0_E_clISt17integral_constantIbLb1EES1M_EEDaS1H_S1I_EUlS1H_E_NS1_11comp_targetILNS1_3genE5ELNS1_11target_archE942ELNS1_3gpuE9ELNS1_3repE0EEENS1_30default_config_static_selectorELNS0_4arch9wavefront6targetE0EEEvSV_ ; -- Begin function _ZN7rocprim17ROCPRIM_400000_NS6detail17trampoline_kernelINS0_13select_configILj256ELj13ELNS0_17block_load_methodE3ELS4_3ELS4_3ELNS0_20block_scan_algorithmE0ELj4294967295EEENS1_25partition_config_selectorILNS1_17partition_subalgoE3EjNS0_10empty_typeEbEEZZNS1_14partition_implILS8_3ELb0ES6_jNS0_17counting_iteratorIjlEEPS9_SE_NS0_5tupleIJPjSE_EEENSF_IJSE_SE_EEES9_SG_JZNS1_25segmented_radix_sort_implINS0_14default_configELb0EPKlPlSM_SN_N2at6native12_GLOBAL__N_18offset_tEEE10hipError_tPvRmT1_PNSt15iterator_traitsISV_E10value_typeET2_T3_PNSW_IS11_E10value_typeET4_jRbjT5_S17_jjP12ihipStream_tbEUljE_EEESS_ST_SU_S11_S15_S17_T6_T7_T9_mT8_S19_bDpT10_ENKUlT_T0_E_clISt17integral_constantIbLb1EES1M_EEDaS1H_S1I_EUlS1H_E_NS1_11comp_targetILNS1_3genE5ELNS1_11target_archE942ELNS1_3gpuE9ELNS1_3repE0EEENS1_30default_config_static_selectorELNS0_4arch9wavefront6targetE0EEEvSV_
	.p2align	8
	.type	_ZN7rocprim17ROCPRIM_400000_NS6detail17trampoline_kernelINS0_13select_configILj256ELj13ELNS0_17block_load_methodE3ELS4_3ELS4_3ELNS0_20block_scan_algorithmE0ELj4294967295EEENS1_25partition_config_selectorILNS1_17partition_subalgoE3EjNS0_10empty_typeEbEEZZNS1_14partition_implILS8_3ELb0ES6_jNS0_17counting_iteratorIjlEEPS9_SE_NS0_5tupleIJPjSE_EEENSF_IJSE_SE_EEES9_SG_JZNS1_25segmented_radix_sort_implINS0_14default_configELb0EPKlPlSM_SN_N2at6native12_GLOBAL__N_18offset_tEEE10hipError_tPvRmT1_PNSt15iterator_traitsISV_E10value_typeET2_T3_PNSW_IS11_E10value_typeET4_jRbjT5_S17_jjP12ihipStream_tbEUljE_EEESS_ST_SU_S11_S15_S17_T6_T7_T9_mT8_S19_bDpT10_ENKUlT_T0_E_clISt17integral_constantIbLb1EES1M_EEDaS1H_S1I_EUlS1H_E_NS1_11comp_targetILNS1_3genE5ELNS1_11target_archE942ELNS1_3gpuE9ELNS1_3repE0EEENS1_30default_config_static_selectorELNS0_4arch9wavefront6targetE0EEEvSV_,@function
_ZN7rocprim17ROCPRIM_400000_NS6detail17trampoline_kernelINS0_13select_configILj256ELj13ELNS0_17block_load_methodE3ELS4_3ELS4_3ELNS0_20block_scan_algorithmE0ELj4294967295EEENS1_25partition_config_selectorILNS1_17partition_subalgoE3EjNS0_10empty_typeEbEEZZNS1_14partition_implILS8_3ELb0ES6_jNS0_17counting_iteratorIjlEEPS9_SE_NS0_5tupleIJPjSE_EEENSF_IJSE_SE_EEES9_SG_JZNS1_25segmented_radix_sort_implINS0_14default_configELb0EPKlPlSM_SN_N2at6native12_GLOBAL__N_18offset_tEEE10hipError_tPvRmT1_PNSt15iterator_traitsISV_E10value_typeET2_T3_PNSW_IS11_E10value_typeET4_jRbjT5_S17_jjP12ihipStream_tbEUljE_EEESS_ST_SU_S11_S15_S17_T6_T7_T9_mT8_S19_bDpT10_ENKUlT_T0_E_clISt17integral_constantIbLb1EES1M_EEDaS1H_S1I_EUlS1H_E_NS1_11comp_targetILNS1_3genE5ELNS1_11target_archE942ELNS1_3gpuE9ELNS1_3repE0EEENS1_30default_config_static_selectorELNS0_4arch9wavefront6targetE0EEEvSV_: ; @_ZN7rocprim17ROCPRIM_400000_NS6detail17trampoline_kernelINS0_13select_configILj256ELj13ELNS0_17block_load_methodE3ELS4_3ELS4_3ELNS0_20block_scan_algorithmE0ELj4294967295EEENS1_25partition_config_selectorILNS1_17partition_subalgoE3EjNS0_10empty_typeEbEEZZNS1_14partition_implILS8_3ELb0ES6_jNS0_17counting_iteratorIjlEEPS9_SE_NS0_5tupleIJPjSE_EEENSF_IJSE_SE_EEES9_SG_JZNS1_25segmented_radix_sort_implINS0_14default_configELb0EPKlPlSM_SN_N2at6native12_GLOBAL__N_18offset_tEEE10hipError_tPvRmT1_PNSt15iterator_traitsISV_E10value_typeET2_T3_PNSW_IS11_E10value_typeET4_jRbjT5_S17_jjP12ihipStream_tbEUljE_EEESS_ST_SU_S11_S15_S17_T6_T7_T9_mT8_S19_bDpT10_ENKUlT_T0_E_clISt17integral_constantIbLb1EES1M_EEDaS1H_S1I_EUlS1H_E_NS1_11comp_targetILNS1_3genE5ELNS1_11target_archE942ELNS1_3gpuE9ELNS1_3repE0EEENS1_30default_config_static_selectorELNS0_4arch9wavefront6targetE0EEEvSV_
; %bb.0:
	.section	.rodata,"a",@progbits
	.p2align	6, 0x0
	.amdhsa_kernel _ZN7rocprim17ROCPRIM_400000_NS6detail17trampoline_kernelINS0_13select_configILj256ELj13ELNS0_17block_load_methodE3ELS4_3ELS4_3ELNS0_20block_scan_algorithmE0ELj4294967295EEENS1_25partition_config_selectorILNS1_17partition_subalgoE3EjNS0_10empty_typeEbEEZZNS1_14partition_implILS8_3ELb0ES6_jNS0_17counting_iteratorIjlEEPS9_SE_NS0_5tupleIJPjSE_EEENSF_IJSE_SE_EEES9_SG_JZNS1_25segmented_radix_sort_implINS0_14default_configELb0EPKlPlSM_SN_N2at6native12_GLOBAL__N_18offset_tEEE10hipError_tPvRmT1_PNSt15iterator_traitsISV_E10value_typeET2_T3_PNSW_IS11_E10value_typeET4_jRbjT5_S17_jjP12ihipStream_tbEUljE_EEESS_ST_SU_S11_S15_S17_T6_T7_T9_mT8_S19_bDpT10_ENKUlT_T0_E_clISt17integral_constantIbLb1EES1M_EEDaS1H_S1I_EUlS1H_E_NS1_11comp_targetILNS1_3genE5ELNS1_11target_archE942ELNS1_3gpuE9ELNS1_3repE0EEENS1_30default_config_static_selectorELNS0_4arch9wavefront6targetE0EEEvSV_
		.amdhsa_group_segment_fixed_size 0
		.amdhsa_private_segment_fixed_size 0
		.amdhsa_kernarg_size 152
		.amdhsa_user_sgpr_count 2
		.amdhsa_user_sgpr_dispatch_ptr 0
		.amdhsa_user_sgpr_queue_ptr 0
		.amdhsa_user_sgpr_kernarg_segment_ptr 1
		.amdhsa_user_sgpr_dispatch_id 0
		.amdhsa_user_sgpr_kernarg_preload_length 0
		.amdhsa_user_sgpr_kernarg_preload_offset 0
		.amdhsa_user_sgpr_private_segment_size 0
		.amdhsa_wavefront_size32 1
		.amdhsa_uses_dynamic_stack 0
		.amdhsa_enable_private_segment 0
		.amdhsa_system_sgpr_workgroup_id_x 1
		.amdhsa_system_sgpr_workgroup_id_y 0
		.amdhsa_system_sgpr_workgroup_id_z 0
		.amdhsa_system_sgpr_workgroup_info 0
		.amdhsa_system_vgpr_workitem_id 0
		.amdhsa_next_free_vgpr 1
		.amdhsa_next_free_sgpr 1
		.amdhsa_named_barrier_count 0
		.amdhsa_reserve_vcc 0
		.amdhsa_float_round_mode_32 0
		.amdhsa_float_round_mode_16_64 0
		.amdhsa_float_denorm_mode_32 3
		.amdhsa_float_denorm_mode_16_64 3
		.amdhsa_fp16_overflow 0
		.amdhsa_memory_ordered 1
		.amdhsa_forward_progress 1
		.amdhsa_inst_pref_size 0
		.amdhsa_round_robin_scheduling 0
		.amdhsa_exception_fp_ieee_invalid_op 0
		.amdhsa_exception_fp_denorm_src 0
		.amdhsa_exception_fp_ieee_div_zero 0
		.amdhsa_exception_fp_ieee_overflow 0
		.amdhsa_exception_fp_ieee_underflow 0
		.amdhsa_exception_fp_ieee_inexact 0
		.amdhsa_exception_int_div_zero 0
	.end_amdhsa_kernel
	.section	.text._ZN7rocprim17ROCPRIM_400000_NS6detail17trampoline_kernelINS0_13select_configILj256ELj13ELNS0_17block_load_methodE3ELS4_3ELS4_3ELNS0_20block_scan_algorithmE0ELj4294967295EEENS1_25partition_config_selectorILNS1_17partition_subalgoE3EjNS0_10empty_typeEbEEZZNS1_14partition_implILS8_3ELb0ES6_jNS0_17counting_iteratorIjlEEPS9_SE_NS0_5tupleIJPjSE_EEENSF_IJSE_SE_EEES9_SG_JZNS1_25segmented_radix_sort_implINS0_14default_configELb0EPKlPlSM_SN_N2at6native12_GLOBAL__N_18offset_tEEE10hipError_tPvRmT1_PNSt15iterator_traitsISV_E10value_typeET2_T3_PNSW_IS11_E10value_typeET4_jRbjT5_S17_jjP12ihipStream_tbEUljE_EEESS_ST_SU_S11_S15_S17_T6_T7_T9_mT8_S19_bDpT10_ENKUlT_T0_E_clISt17integral_constantIbLb1EES1M_EEDaS1H_S1I_EUlS1H_E_NS1_11comp_targetILNS1_3genE5ELNS1_11target_archE942ELNS1_3gpuE9ELNS1_3repE0EEENS1_30default_config_static_selectorELNS0_4arch9wavefront6targetE0EEEvSV_,"axG",@progbits,_ZN7rocprim17ROCPRIM_400000_NS6detail17trampoline_kernelINS0_13select_configILj256ELj13ELNS0_17block_load_methodE3ELS4_3ELS4_3ELNS0_20block_scan_algorithmE0ELj4294967295EEENS1_25partition_config_selectorILNS1_17partition_subalgoE3EjNS0_10empty_typeEbEEZZNS1_14partition_implILS8_3ELb0ES6_jNS0_17counting_iteratorIjlEEPS9_SE_NS0_5tupleIJPjSE_EEENSF_IJSE_SE_EEES9_SG_JZNS1_25segmented_radix_sort_implINS0_14default_configELb0EPKlPlSM_SN_N2at6native12_GLOBAL__N_18offset_tEEE10hipError_tPvRmT1_PNSt15iterator_traitsISV_E10value_typeET2_T3_PNSW_IS11_E10value_typeET4_jRbjT5_S17_jjP12ihipStream_tbEUljE_EEESS_ST_SU_S11_S15_S17_T6_T7_T9_mT8_S19_bDpT10_ENKUlT_T0_E_clISt17integral_constantIbLb1EES1M_EEDaS1H_S1I_EUlS1H_E_NS1_11comp_targetILNS1_3genE5ELNS1_11target_archE942ELNS1_3gpuE9ELNS1_3repE0EEENS1_30default_config_static_selectorELNS0_4arch9wavefront6targetE0EEEvSV_,comdat
.Lfunc_end780:
	.size	_ZN7rocprim17ROCPRIM_400000_NS6detail17trampoline_kernelINS0_13select_configILj256ELj13ELNS0_17block_load_methodE3ELS4_3ELS4_3ELNS0_20block_scan_algorithmE0ELj4294967295EEENS1_25partition_config_selectorILNS1_17partition_subalgoE3EjNS0_10empty_typeEbEEZZNS1_14partition_implILS8_3ELb0ES6_jNS0_17counting_iteratorIjlEEPS9_SE_NS0_5tupleIJPjSE_EEENSF_IJSE_SE_EEES9_SG_JZNS1_25segmented_radix_sort_implINS0_14default_configELb0EPKlPlSM_SN_N2at6native12_GLOBAL__N_18offset_tEEE10hipError_tPvRmT1_PNSt15iterator_traitsISV_E10value_typeET2_T3_PNSW_IS11_E10value_typeET4_jRbjT5_S17_jjP12ihipStream_tbEUljE_EEESS_ST_SU_S11_S15_S17_T6_T7_T9_mT8_S19_bDpT10_ENKUlT_T0_E_clISt17integral_constantIbLb1EES1M_EEDaS1H_S1I_EUlS1H_E_NS1_11comp_targetILNS1_3genE5ELNS1_11target_archE942ELNS1_3gpuE9ELNS1_3repE0EEENS1_30default_config_static_selectorELNS0_4arch9wavefront6targetE0EEEvSV_, .Lfunc_end780-_ZN7rocprim17ROCPRIM_400000_NS6detail17trampoline_kernelINS0_13select_configILj256ELj13ELNS0_17block_load_methodE3ELS4_3ELS4_3ELNS0_20block_scan_algorithmE0ELj4294967295EEENS1_25partition_config_selectorILNS1_17partition_subalgoE3EjNS0_10empty_typeEbEEZZNS1_14partition_implILS8_3ELb0ES6_jNS0_17counting_iteratorIjlEEPS9_SE_NS0_5tupleIJPjSE_EEENSF_IJSE_SE_EEES9_SG_JZNS1_25segmented_radix_sort_implINS0_14default_configELb0EPKlPlSM_SN_N2at6native12_GLOBAL__N_18offset_tEEE10hipError_tPvRmT1_PNSt15iterator_traitsISV_E10value_typeET2_T3_PNSW_IS11_E10value_typeET4_jRbjT5_S17_jjP12ihipStream_tbEUljE_EEESS_ST_SU_S11_S15_S17_T6_T7_T9_mT8_S19_bDpT10_ENKUlT_T0_E_clISt17integral_constantIbLb1EES1M_EEDaS1H_S1I_EUlS1H_E_NS1_11comp_targetILNS1_3genE5ELNS1_11target_archE942ELNS1_3gpuE9ELNS1_3repE0EEENS1_30default_config_static_selectorELNS0_4arch9wavefront6targetE0EEEvSV_
                                        ; -- End function
	.set _ZN7rocprim17ROCPRIM_400000_NS6detail17trampoline_kernelINS0_13select_configILj256ELj13ELNS0_17block_load_methodE3ELS4_3ELS4_3ELNS0_20block_scan_algorithmE0ELj4294967295EEENS1_25partition_config_selectorILNS1_17partition_subalgoE3EjNS0_10empty_typeEbEEZZNS1_14partition_implILS8_3ELb0ES6_jNS0_17counting_iteratorIjlEEPS9_SE_NS0_5tupleIJPjSE_EEENSF_IJSE_SE_EEES9_SG_JZNS1_25segmented_radix_sort_implINS0_14default_configELb0EPKlPlSM_SN_N2at6native12_GLOBAL__N_18offset_tEEE10hipError_tPvRmT1_PNSt15iterator_traitsISV_E10value_typeET2_T3_PNSW_IS11_E10value_typeET4_jRbjT5_S17_jjP12ihipStream_tbEUljE_EEESS_ST_SU_S11_S15_S17_T6_T7_T9_mT8_S19_bDpT10_ENKUlT_T0_E_clISt17integral_constantIbLb1EES1M_EEDaS1H_S1I_EUlS1H_E_NS1_11comp_targetILNS1_3genE5ELNS1_11target_archE942ELNS1_3gpuE9ELNS1_3repE0EEENS1_30default_config_static_selectorELNS0_4arch9wavefront6targetE0EEEvSV_.num_vgpr, 0
	.set _ZN7rocprim17ROCPRIM_400000_NS6detail17trampoline_kernelINS0_13select_configILj256ELj13ELNS0_17block_load_methodE3ELS4_3ELS4_3ELNS0_20block_scan_algorithmE0ELj4294967295EEENS1_25partition_config_selectorILNS1_17partition_subalgoE3EjNS0_10empty_typeEbEEZZNS1_14partition_implILS8_3ELb0ES6_jNS0_17counting_iteratorIjlEEPS9_SE_NS0_5tupleIJPjSE_EEENSF_IJSE_SE_EEES9_SG_JZNS1_25segmented_radix_sort_implINS0_14default_configELb0EPKlPlSM_SN_N2at6native12_GLOBAL__N_18offset_tEEE10hipError_tPvRmT1_PNSt15iterator_traitsISV_E10value_typeET2_T3_PNSW_IS11_E10value_typeET4_jRbjT5_S17_jjP12ihipStream_tbEUljE_EEESS_ST_SU_S11_S15_S17_T6_T7_T9_mT8_S19_bDpT10_ENKUlT_T0_E_clISt17integral_constantIbLb1EES1M_EEDaS1H_S1I_EUlS1H_E_NS1_11comp_targetILNS1_3genE5ELNS1_11target_archE942ELNS1_3gpuE9ELNS1_3repE0EEENS1_30default_config_static_selectorELNS0_4arch9wavefront6targetE0EEEvSV_.num_agpr, 0
	.set _ZN7rocprim17ROCPRIM_400000_NS6detail17trampoline_kernelINS0_13select_configILj256ELj13ELNS0_17block_load_methodE3ELS4_3ELS4_3ELNS0_20block_scan_algorithmE0ELj4294967295EEENS1_25partition_config_selectorILNS1_17partition_subalgoE3EjNS0_10empty_typeEbEEZZNS1_14partition_implILS8_3ELb0ES6_jNS0_17counting_iteratorIjlEEPS9_SE_NS0_5tupleIJPjSE_EEENSF_IJSE_SE_EEES9_SG_JZNS1_25segmented_radix_sort_implINS0_14default_configELb0EPKlPlSM_SN_N2at6native12_GLOBAL__N_18offset_tEEE10hipError_tPvRmT1_PNSt15iterator_traitsISV_E10value_typeET2_T3_PNSW_IS11_E10value_typeET4_jRbjT5_S17_jjP12ihipStream_tbEUljE_EEESS_ST_SU_S11_S15_S17_T6_T7_T9_mT8_S19_bDpT10_ENKUlT_T0_E_clISt17integral_constantIbLb1EES1M_EEDaS1H_S1I_EUlS1H_E_NS1_11comp_targetILNS1_3genE5ELNS1_11target_archE942ELNS1_3gpuE9ELNS1_3repE0EEENS1_30default_config_static_selectorELNS0_4arch9wavefront6targetE0EEEvSV_.numbered_sgpr, 0
	.set _ZN7rocprim17ROCPRIM_400000_NS6detail17trampoline_kernelINS0_13select_configILj256ELj13ELNS0_17block_load_methodE3ELS4_3ELS4_3ELNS0_20block_scan_algorithmE0ELj4294967295EEENS1_25partition_config_selectorILNS1_17partition_subalgoE3EjNS0_10empty_typeEbEEZZNS1_14partition_implILS8_3ELb0ES6_jNS0_17counting_iteratorIjlEEPS9_SE_NS0_5tupleIJPjSE_EEENSF_IJSE_SE_EEES9_SG_JZNS1_25segmented_radix_sort_implINS0_14default_configELb0EPKlPlSM_SN_N2at6native12_GLOBAL__N_18offset_tEEE10hipError_tPvRmT1_PNSt15iterator_traitsISV_E10value_typeET2_T3_PNSW_IS11_E10value_typeET4_jRbjT5_S17_jjP12ihipStream_tbEUljE_EEESS_ST_SU_S11_S15_S17_T6_T7_T9_mT8_S19_bDpT10_ENKUlT_T0_E_clISt17integral_constantIbLb1EES1M_EEDaS1H_S1I_EUlS1H_E_NS1_11comp_targetILNS1_3genE5ELNS1_11target_archE942ELNS1_3gpuE9ELNS1_3repE0EEENS1_30default_config_static_selectorELNS0_4arch9wavefront6targetE0EEEvSV_.num_named_barrier, 0
	.set _ZN7rocprim17ROCPRIM_400000_NS6detail17trampoline_kernelINS0_13select_configILj256ELj13ELNS0_17block_load_methodE3ELS4_3ELS4_3ELNS0_20block_scan_algorithmE0ELj4294967295EEENS1_25partition_config_selectorILNS1_17partition_subalgoE3EjNS0_10empty_typeEbEEZZNS1_14partition_implILS8_3ELb0ES6_jNS0_17counting_iteratorIjlEEPS9_SE_NS0_5tupleIJPjSE_EEENSF_IJSE_SE_EEES9_SG_JZNS1_25segmented_radix_sort_implINS0_14default_configELb0EPKlPlSM_SN_N2at6native12_GLOBAL__N_18offset_tEEE10hipError_tPvRmT1_PNSt15iterator_traitsISV_E10value_typeET2_T3_PNSW_IS11_E10value_typeET4_jRbjT5_S17_jjP12ihipStream_tbEUljE_EEESS_ST_SU_S11_S15_S17_T6_T7_T9_mT8_S19_bDpT10_ENKUlT_T0_E_clISt17integral_constantIbLb1EES1M_EEDaS1H_S1I_EUlS1H_E_NS1_11comp_targetILNS1_3genE5ELNS1_11target_archE942ELNS1_3gpuE9ELNS1_3repE0EEENS1_30default_config_static_selectorELNS0_4arch9wavefront6targetE0EEEvSV_.private_seg_size, 0
	.set _ZN7rocprim17ROCPRIM_400000_NS6detail17trampoline_kernelINS0_13select_configILj256ELj13ELNS0_17block_load_methodE3ELS4_3ELS4_3ELNS0_20block_scan_algorithmE0ELj4294967295EEENS1_25partition_config_selectorILNS1_17partition_subalgoE3EjNS0_10empty_typeEbEEZZNS1_14partition_implILS8_3ELb0ES6_jNS0_17counting_iteratorIjlEEPS9_SE_NS0_5tupleIJPjSE_EEENSF_IJSE_SE_EEES9_SG_JZNS1_25segmented_radix_sort_implINS0_14default_configELb0EPKlPlSM_SN_N2at6native12_GLOBAL__N_18offset_tEEE10hipError_tPvRmT1_PNSt15iterator_traitsISV_E10value_typeET2_T3_PNSW_IS11_E10value_typeET4_jRbjT5_S17_jjP12ihipStream_tbEUljE_EEESS_ST_SU_S11_S15_S17_T6_T7_T9_mT8_S19_bDpT10_ENKUlT_T0_E_clISt17integral_constantIbLb1EES1M_EEDaS1H_S1I_EUlS1H_E_NS1_11comp_targetILNS1_3genE5ELNS1_11target_archE942ELNS1_3gpuE9ELNS1_3repE0EEENS1_30default_config_static_selectorELNS0_4arch9wavefront6targetE0EEEvSV_.uses_vcc, 0
	.set _ZN7rocprim17ROCPRIM_400000_NS6detail17trampoline_kernelINS0_13select_configILj256ELj13ELNS0_17block_load_methodE3ELS4_3ELS4_3ELNS0_20block_scan_algorithmE0ELj4294967295EEENS1_25partition_config_selectorILNS1_17partition_subalgoE3EjNS0_10empty_typeEbEEZZNS1_14partition_implILS8_3ELb0ES6_jNS0_17counting_iteratorIjlEEPS9_SE_NS0_5tupleIJPjSE_EEENSF_IJSE_SE_EEES9_SG_JZNS1_25segmented_radix_sort_implINS0_14default_configELb0EPKlPlSM_SN_N2at6native12_GLOBAL__N_18offset_tEEE10hipError_tPvRmT1_PNSt15iterator_traitsISV_E10value_typeET2_T3_PNSW_IS11_E10value_typeET4_jRbjT5_S17_jjP12ihipStream_tbEUljE_EEESS_ST_SU_S11_S15_S17_T6_T7_T9_mT8_S19_bDpT10_ENKUlT_T0_E_clISt17integral_constantIbLb1EES1M_EEDaS1H_S1I_EUlS1H_E_NS1_11comp_targetILNS1_3genE5ELNS1_11target_archE942ELNS1_3gpuE9ELNS1_3repE0EEENS1_30default_config_static_selectorELNS0_4arch9wavefront6targetE0EEEvSV_.uses_flat_scratch, 0
	.set _ZN7rocprim17ROCPRIM_400000_NS6detail17trampoline_kernelINS0_13select_configILj256ELj13ELNS0_17block_load_methodE3ELS4_3ELS4_3ELNS0_20block_scan_algorithmE0ELj4294967295EEENS1_25partition_config_selectorILNS1_17partition_subalgoE3EjNS0_10empty_typeEbEEZZNS1_14partition_implILS8_3ELb0ES6_jNS0_17counting_iteratorIjlEEPS9_SE_NS0_5tupleIJPjSE_EEENSF_IJSE_SE_EEES9_SG_JZNS1_25segmented_radix_sort_implINS0_14default_configELb0EPKlPlSM_SN_N2at6native12_GLOBAL__N_18offset_tEEE10hipError_tPvRmT1_PNSt15iterator_traitsISV_E10value_typeET2_T3_PNSW_IS11_E10value_typeET4_jRbjT5_S17_jjP12ihipStream_tbEUljE_EEESS_ST_SU_S11_S15_S17_T6_T7_T9_mT8_S19_bDpT10_ENKUlT_T0_E_clISt17integral_constantIbLb1EES1M_EEDaS1H_S1I_EUlS1H_E_NS1_11comp_targetILNS1_3genE5ELNS1_11target_archE942ELNS1_3gpuE9ELNS1_3repE0EEENS1_30default_config_static_selectorELNS0_4arch9wavefront6targetE0EEEvSV_.has_dyn_sized_stack, 0
	.set _ZN7rocprim17ROCPRIM_400000_NS6detail17trampoline_kernelINS0_13select_configILj256ELj13ELNS0_17block_load_methodE3ELS4_3ELS4_3ELNS0_20block_scan_algorithmE0ELj4294967295EEENS1_25partition_config_selectorILNS1_17partition_subalgoE3EjNS0_10empty_typeEbEEZZNS1_14partition_implILS8_3ELb0ES6_jNS0_17counting_iteratorIjlEEPS9_SE_NS0_5tupleIJPjSE_EEENSF_IJSE_SE_EEES9_SG_JZNS1_25segmented_radix_sort_implINS0_14default_configELb0EPKlPlSM_SN_N2at6native12_GLOBAL__N_18offset_tEEE10hipError_tPvRmT1_PNSt15iterator_traitsISV_E10value_typeET2_T3_PNSW_IS11_E10value_typeET4_jRbjT5_S17_jjP12ihipStream_tbEUljE_EEESS_ST_SU_S11_S15_S17_T6_T7_T9_mT8_S19_bDpT10_ENKUlT_T0_E_clISt17integral_constantIbLb1EES1M_EEDaS1H_S1I_EUlS1H_E_NS1_11comp_targetILNS1_3genE5ELNS1_11target_archE942ELNS1_3gpuE9ELNS1_3repE0EEENS1_30default_config_static_selectorELNS0_4arch9wavefront6targetE0EEEvSV_.has_recursion, 0
	.set _ZN7rocprim17ROCPRIM_400000_NS6detail17trampoline_kernelINS0_13select_configILj256ELj13ELNS0_17block_load_methodE3ELS4_3ELS4_3ELNS0_20block_scan_algorithmE0ELj4294967295EEENS1_25partition_config_selectorILNS1_17partition_subalgoE3EjNS0_10empty_typeEbEEZZNS1_14partition_implILS8_3ELb0ES6_jNS0_17counting_iteratorIjlEEPS9_SE_NS0_5tupleIJPjSE_EEENSF_IJSE_SE_EEES9_SG_JZNS1_25segmented_radix_sort_implINS0_14default_configELb0EPKlPlSM_SN_N2at6native12_GLOBAL__N_18offset_tEEE10hipError_tPvRmT1_PNSt15iterator_traitsISV_E10value_typeET2_T3_PNSW_IS11_E10value_typeET4_jRbjT5_S17_jjP12ihipStream_tbEUljE_EEESS_ST_SU_S11_S15_S17_T6_T7_T9_mT8_S19_bDpT10_ENKUlT_T0_E_clISt17integral_constantIbLb1EES1M_EEDaS1H_S1I_EUlS1H_E_NS1_11comp_targetILNS1_3genE5ELNS1_11target_archE942ELNS1_3gpuE9ELNS1_3repE0EEENS1_30default_config_static_selectorELNS0_4arch9wavefront6targetE0EEEvSV_.has_indirect_call, 0
	.section	.AMDGPU.csdata,"",@progbits
; Kernel info:
; codeLenInByte = 0
; TotalNumSgprs: 0
; NumVgprs: 0
; ScratchSize: 0
; MemoryBound: 0
; FloatMode: 240
; IeeeMode: 1
; LDSByteSize: 0 bytes/workgroup (compile time only)
; SGPRBlocks: 0
; VGPRBlocks: 0
; NumSGPRsForWavesPerEU: 1
; NumVGPRsForWavesPerEU: 1
; NamedBarCnt: 0
; Occupancy: 16
; WaveLimiterHint : 0
; COMPUTE_PGM_RSRC2:SCRATCH_EN: 0
; COMPUTE_PGM_RSRC2:USER_SGPR: 2
; COMPUTE_PGM_RSRC2:TRAP_HANDLER: 0
; COMPUTE_PGM_RSRC2:TGID_X_EN: 1
; COMPUTE_PGM_RSRC2:TGID_Y_EN: 0
; COMPUTE_PGM_RSRC2:TGID_Z_EN: 0
; COMPUTE_PGM_RSRC2:TIDIG_COMP_CNT: 0
	.section	.text._ZN7rocprim17ROCPRIM_400000_NS6detail17trampoline_kernelINS0_13select_configILj256ELj13ELNS0_17block_load_methodE3ELS4_3ELS4_3ELNS0_20block_scan_algorithmE0ELj4294967295EEENS1_25partition_config_selectorILNS1_17partition_subalgoE3EjNS0_10empty_typeEbEEZZNS1_14partition_implILS8_3ELb0ES6_jNS0_17counting_iteratorIjlEEPS9_SE_NS0_5tupleIJPjSE_EEENSF_IJSE_SE_EEES9_SG_JZNS1_25segmented_radix_sort_implINS0_14default_configELb0EPKlPlSM_SN_N2at6native12_GLOBAL__N_18offset_tEEE10hipError_tPvRmT1_PNSt15iterator_traitsISV_E10value_typeET2_T3_PNSW_IS11_E10value_typeET4_jRbjT5_S17_jjP12ihipStream_tbEUljE_EEESS_ST_SU_S11_S15_S17_T6_T7_T9_mT8_S19_bDpT10_ENKUlT_T0_E_clISt17integral_constantIbLb1EES1M_EEDaS1H_S1I_EUlS1H_E_NS1_11comp_targetILNS1_3genE4ELNS1_11target_archE910ELNS1_3gpuE8ELNS1_3repE0EEENS1_30default_config_static_selectorELNS0_4arch9wavefront6targetE0EEEvSV_,"axG",@progbits,_ZN7rocprim17ROCPRIM_400000_NS6detail17trampoline_kernelINS0_13select_configILj256ELj13ELNS0_17block_load_methodE3ELS4_3ELS4_3ELNS0_20block_scan_algorithmE0ELj4294967295EEENS1_25partition_config_selectorILNS1_17partition_subalgoE3EjNS0_10empty_typeEbEEZZNS1_14partition_implILS8_3ELb0ES6_jNS0_17counting_iteratorIjlEEPS9_SE_NS0_5tupleIJPjSE_EEENSF_IJSE_SE_EEES9_SG_JZNS1_25segmented_radix_sort_implINS0_14default_configELb0EPKlPlSM_SN_N2at6native12_GLOBAL__N_18offset_tEEE10hipError_tPvRmT1_PNSt15iterator_traitsISV_E10value_typeET2_T3_PNSW_IS11_E10value_typeET4_jRbjT5_S17_jjP12ihipStream_tbEUljE_EEESS_ST_SU_S11_S15_S17_T6_T7_T9_mT8_S19_bDpT10_ENKUlT_T0_E_clISt17integral_constantIbLb1EES1M_EEDaS1H_S1I_EUlS1H_E_NS1_11comp_targetILNS1_3genE4ELNS1_11target_archE910ELNS1_3gpuE8ELNS1_3repE0EEENS1_30default_config_static_selectorELNS0_4arch9wavefront6targetE0EEEvSV_,comdat
	.globl	_ZN7rocprim17ROCPRIM_400000_NS6detail17trampoline_kernelINS0_13select_configILj256ELj13ELNS0_17block_load_methodE3ELS4_3ELS4_3ELNS0_20block_scan_algorithmE0ELj4294967295EEENS1_25partition_config_selectorILNS1_17partition_subalgoE3EjNS0_10empty_typeEbEEZZNS1_14partition_implILS8_3ELb0ES6_jNS0_17counting_iteratorIjlEEPS9_SE_NS0_5tupleIJPjSE_EEENSF_IJSE_SE_EEES9_SG_JZNS1_25segmented_radix_sort_implINS0_14default_configELb0EPKlPlSM_SN_N2at6native12_GLOBAL__N_18offset_tEEE10hipError_tPvRmT1_PNSt15iterator_traitsISV_E10value_typeET2_T3_PNSW_IS11_E10value_typeET4_jRbjT5_S17_jjP12ihipStream_tbEUljE_EEESS_ST_SU_S11_S15_S17_T6_T7_T9_mT8_S19_bDpT10_ENKUlT_T0_E_clISt17integral_constantIbLb1EES1M_EEDaS1H_S1I_EUlS1H_E_NS1_11comp_targetILNS1_3genE4ELNS1_11target_archE910ELNS1_3gpuE8ELNS1_3repE0EEENS1_30default_config_static_selectorELNS0_4arch9wavefront6targetE0EEEvSV_ ; -- Begin function _ZN7rocprim17ROCPRIM_400000_NS6detail17trampoline_kernelINS0_13select_configILj256ELj13ELNS0_17block_load_methodE3ELS4_3ELS4_3ELNS0_20block_scan_algorithmE0ELj4294967295EEENS1_25partition_config_selectorILNS1_17partition_subalgoE3EjNS0_10empty_typeEbEEZZNS1_14partition_implILS8_3ELb0ES6_jNS0_17counting_iteratorIjlEEPS9_SE_NS0_5tupleIJPjSE_EEENSF_IJSE_SE_EEES9_SG_JZNS1_25segmented_radix_sort_implINS0_14default_configELb0EPKlPlSM_SN_N2at6native12_GLOBAL__N_18offset_tEEE10hipError_tPvRmT1_PNSt15iterator_traitsISV_E10value_typeET2_T3_PNSW_IS11_E10value_typeET4_jRbjT5_S17_jjP12ihipStream_tbEUljE_EEESS_ST_SU_S11_S15_S17_T6_T7_T9_mT8_S19_bDpT10_ENKUlT_T0_E_clISt17integral_constantIbLb1EES1M_EEDaS1H_S1I_EUlS1H_E_NS1_11comp_targetILNS1_3genE4ELNS1_11target_archE910ELNS1_3gpuE8ELNS1_3repE0EEENS1_30default_config_static_selectorELNS0_4arch9wavefront6targetE0EEEvSV_
	.p2align	8
	.type	_ZN7rocprim17ROCPRIM_400000_NS6detail17trampoline_kernelINS0_13select_configILj256ELj13ELNS0_17block_load_methodE3ELS4_3ELS4_3ELNS0_20block_scan_algorithmE0ELj4294967295EEENS1_25partition_config_selectorILNS1_17partition_subalgoE3EjNS0_10empty_typeEbEEZZNS1_14partition_implILS8_3ELb0ES6_jNS0_17counting_iteratorIjlEEPS9_SE_NS0_5tupleIJPjSE_EEENSF_IJSE_SE_EEES9_SG_JZNS1_25segmented_radix_sort_implINS0_14default_configELb0EPKlPlSM_SN_N2at6native12_GLOBAL__N_18offset_tEEE10hipError_tPvRmT1_PNSt15iterator_traitsISV_E10value_typeET2_T3_PNSW_IS11_E10value_typeET4_jRbjT5_S17_jjP12ihipStream_tbEUljE_EEESS_ST_SU_S11_S15_S17_T6_T7_T9_mT8_S19_bDpT10_ENKUlT_T0_E_clISt17integral_constantIbLb1EES1M_EEDaS1H_S1I_EUlS1H_E_NS1_11comp_targetILNS1_3genE4ELNS1_11target_archE910ELNS1_3gpuE8ELNS1_3repE0EEENS1_30default_config_static_selectorELNS0_4arch9wavefront6targetE0EEEvSV_,@function
_ZN7rocprim17ROCPRIM_400000_NS6detail17trampoline_kernelINS0_13select_configILj256ELj13ELNS0_17block_load_methodE3ELS4_3ELS4_3ELNS0_20block_scan_algorithmE0ELj4294967295EEENS1_25partition_config_selectorILNS1_17partition_subalgoE3EjNS0_10empty_typeEbEEZZNS1_14partition_implILS8_3ELb0ES6_jNS0_17counting_iteratorIjlEEPS9_SE_NS0_5tupleIJPjSE_EEENSF_IJSE_SE_EEES9_SG_JZNS1_25segmented_radix_sort_implINS0_14default_configELb0EPKlPlSM_SN_N2at6native12_GLOBAL__N_18offset_tEEE10hipError_tPvRmT1_PNSt15iterator_traitsISV_E10value_typeET2_T3_PNSW_IS11_E10value_typeET4_jRbjT5_S17_jjP12ihipStream_tbEUljE_EEESS_ST_SU_S11_S15_S17_T6_T7_T9_mT8_S19_bDpT10_ENKUlT_T0_E_clISt17integral_constantIbLb1EES1M_EEDaS1H_S1I_EUlS1H_E_NS1_11comp_targetILNS1_3genE4ELNS1_11target_archE910ELNS1_3gpuE8ELNS1_3repE0EEENS1_30default_config_static_selectorELNS0_4arch9wavefront6targetE0EEEvSV_: ; @_ZN7rocprim17ROCPRIM_400000_NS6detail17trampoline_kernelINS0_13select_configILj256ELj13ELNS0_17block_load_methodE3ELS4_3ELS4_3ELNS0_20block_scan_algorithmE0ELj4294967295EEENS1_25partition_config_selectorILNS1_17partition_subalgoE3EjNS0_10empty_typeEbEEZZNS1_14partition_implILS8_3ELb0ES6_jNS0_17counting_iteratorIjlEEPS9_SE_NS0_5tupleIJPjSE_EEENSF_IJSE_SE_EEES9_SG_JZNS1_25segmented_radix_sort_implINS0_14default_configELb0EPKlPlSM_SN_N2at6native12_GLOBAL__N_18offset_tEEE10hipError_tPvRmT1_PNSt15iterator_traitsISV_E10value_typeET2_T3_PNSW_IS11_E10value_typeET4_jRbjT5_S17_jjP12ihipStream_tbEUljE_EEESS_ST_SU_S11_S15_S17_T6_T7_T9_mT8_S19_bDpT10_ENKUlT_T0_E_clISt17integral_constantIbLb1EES1M_EEDaS1H_S1I_EUlS1H_E_NS1_11comp_targetILNS1_3genE4ELNS1_11target_archE910ELNS1_3gpuE8ELNS1_3repE0EEENS1_30default_config_static_selectorELNS0_4arch9wavefront6targetE0EEEvSV_
; %bb.0:
	.section	.rodata,"a",@progbits
	.p2align	6, 0x0
	.amdhsa_kernel _ZN7rocprim17ROCPRIM_400000_NS6detail17trampoline_kernelINS0_13select_configILj256ELj13ELNS0_17block_load_methodE3ELS4_3ELS4_3ELNS0_20block_scan_algorithmE0ELj4294967295EEENS1_25partition_config_selectorILNS1_17partition_subalgoE3EjNS0_10empty_typeEbEEZZNS1_14partition_implILS8_3ELb0ES6_jNS0_17counting_iteratorIjlEEPS9_SE_NS0_5tupleIJPjSE_EEENSF_IJSE_SE_EEES9_SG_JZNS1_25segmented_radix_sort_implINS0_14default_configELb0EPKlPlSM_SN_N2at6native12_GLOBAL__N_18offset_tEEE10hipError_tPvRmT1_PNSt15iterator_traitsISV_E10value_typeET2_T3_PNSW_IS11_E10value_typeET4_jRbjT5_S17_jjP12ihipStream_tbEUljE_EEESS_ST_SU_S11_S15_S17_T6_T7_T9_mT8_S19_bDpT10_ENKUlT_T0_E_clISt17integral_constantIbLb1EES1M_EEDaS1H_S1I_EUlS1H_E_NS1_11comp_targetILNS1_3genE4ELNS1_11target_archE910ELNS1_3gpuE8ELNS1_3repE0EEENS1_30default_config_static_selectorELNS0_4arch9wavefront6targetE0EEEvSV_
		.amdhsa_group_segment_fixed_size 0
		.amdhsa_private_segment_fixed_size 0
		.amdhsa_kernarg_size 152
		.amdhsa_user_sgpr_count 2
		.amdhsa_user_sgpr_dispatch_ptr 0
		.amdhsa_user_sgpr_queue_ptr 0
		.amdhsa_user_sgpr_kernarg_segment_ptr 1
		.amdhsa_user_sgpr_dispatch_id 0
		.amdhsa_user_sgpr_kernarg_preload_length 0
		.amdhsa_user_sgpr_kernarg_preload_offset 0
		.amdhsa_user_sgpr_private_segment_size 0
		.amdhsa_wavefront_size32 1
		.amdhsa_uses_dynamic_stack 0
		.amdhsa_enable_private_segment 0
		.amdhsa_system_sgpr_workgroup_id_x 1
		.amdhsa_system_sgpr_workgroup_id_y 0
		.amdhsa_system_sgpr_workgroup_id_z 0
		.amdhsa_system_sgpr_workgroup_info 0
		.amdhsa_system_vgpr_workitem_id 0
		.amdhsa_next_free_vgpr 1
		.amdhsa_next_free_sgpr 1
		.amdhsa_named_barrier_count 0
		.amdhsa_reserve_vcc 0
		.amdhsa_float_round_mode_32 0
		.amdhsa_float_round_mode_16_64 0
		.amdhsa_float_denorm_mode_32 3
		.amdhsa_float_denorm_mode_16_64 3
		.amdhsa_fp16_overflow 0
		.amdhsa_memory_ordered 1
		.amdhsa_forward_progress 1
		.amdhsa_inst_pref_size 0
		.amdhsa_round_robin_scheduling 0
		.amdhsa_exception_fp_ieee_invalid_op 0
		.amdhsa_exception_fp_denorm_src 0
		.amdhsa_exception_fp_ieee_div_zero 0
		.amdhsa_exception_fp_ieee_overflow 0
		.amdhsa_exception_fp_ieee_underflow 0
		.amdhsa_exception_fp_ieee_inexact 0
		.amdhsa_exception_int_div_zero 0
	.end_amdhsa_kernel
	.section	.text._ZN7rocprim17ROCPRIM_400000_NS6detail17trampoline_kernelINS0_13select_configILj256ELj13ELNS0_17block_load_methodE3ELS4_3ELS4_3ELNS0_20block_scan_algorithmE0ELj4294967295EEENS1_25partition_config_selectorILNS1_17partition_subalgoE3EjNS0_10empty_typeEbEEZZNS1_14partition_implILS8_3ELb0ES6_jNS0_17counting_iteratorIjlEEPS9_SE_NS0_5tupleIJPjSE_EEENSF_IJSE_SE_EEES9_SG_JZNS1_25segmented_radix_sort_implINS0_14default_configELb0EPKlPlSM_SN_N2at6native12_GLOBAL__N_18offset_tEEE10hipError_tPvRmT1_PNSt15iterator_traitsISV_E10value_typeET2_T3_PNSW_IS11_E10value_typeET4_jRbjT5_S17_jjP12ihipStream_tbEUljE_EEESS_ST_SU_S11_S15_S17_T6_T7_T9_mT8_S19_bDpT10_ENKUlT_T0_E_clISt17integral_constantIbLb1EES1M_EEDaS1H_S1I_EUlS1H_E_NS1_11comp_targetILNS1_3genE4ELNS1_11target_archE910ELNS1_3gpuE8ELNS1_3repE0EEENS1_30default_config_static_selectorELNS0_4arch9wavefront6targetE0EEEvSV_,"axG",@progbits,_ZN7rocprim17ROCPRIM_400000_NS6detail17trampoline_kernelINS0_13select_configILj256ELj13ELNS0_17block_load_methodE3ELS4_3ELS4_3ELNS0_20block_scan_algorithmE0ELj4294967295EEENS1_25partition_config_selectorILNS1_17partition_subalgoE3EjNS0_10empty_typeEbEEZZNS1_14partition_implILS8_3ELb0ES6_jNS0_17counting_iteratorIjlEEPS9_SE_NS0_5tupleIJPjSE_EEENSF_IJSE_SE_EEES9_SG_JZNS1_25segmented_radix_sort_implINS0_14default_configELb0EPKlPlSM_SN_N2at6native12_GLOBAL__N_18offset_tEEE10hipError_tPvRmT1_PNSt15iterator_traitsISV_E10value_typeET2_T3_PNSW_IS11_E10value_typeET4_jRbjT5_S17_jjP12ihipStream_tbEUljE_EEESS_ST_SU_S11_S15_S17_T6_T7_T9_mT8_S19_bDpT10_ENKUlT_T0_E_clISt17integral_constantIbLb1EES1M_EEDaS1H_S1I_EUlS1H_E_NS1_11comp_targetILNS1_3genE4ELNS1_11target_archE910ELNS1_3gpuE8ELNS1_3repE0EEENS1_30default_config_static_selectorELNS0_4arch9wavefront6targetE0EEEvSV_,comdat
.Lfunc_end781:
	.size	_ZN7rocprim17ROCPRIM_400000_NS6detail17trampoline_kernelINS0_13select_configILj256ELj13ELNS0_17block_load_methodE3ELS4_3ELS4_3ELNS0_20block_scan_algorithmE0ELj4294967295EEENS1_25partition_config_selectorILNS1_17partition_subalgoE3EjNS0_10empty_typeEbEEZZNS1_14partition_implILS8_3ELb0ES6_jNS0_17counting_iteratorIjlEEPS9_SE_NS0_5tupleIJPjSE_EEENSF_IJSE_SE_EEES9_SG_JZNS1_25segmented_radix_sort_implINS0_14default_configELb0EPKlPlSM_SN_N2at6native12_GLOBAL__N_18offset_tEEE10hipError_tPvRmT1_PNSt15iterator_traitsISV_E10value_typeET2_T3_PNSW_IS11_E10value_typeET4_jRbjT5_S17_jjP12ihipStream_tbEUljE_EEESS_ST_SU_S11_S15_S17_T6_T7_T9_mT8_S19_bDpT10_ENKUlT_T0_E_clISt17integral_constantIbLb1EES1M_EEDaS1H_S1I_EUlS1H_E_NS1_11comp_targetILNS1_3genE4ELNS1_11target_archE910ELNS1_3gpuE8ELNS1_3repE0EEENS1_30default_config_static_selectorELNS0_4arch9wavefront6targetE0EEEvSV_, .Lfunc_end781-_ZN7rocprim17ROCPRIM_400000_NS6detail17trampoline_kernelINS0_13select_configILj256ELj13ELNS0_17block_load_methodE3ELS4_3ELS4_3ELNS0_20block_scan_algorithmE0ELj4294967295EEENS1_25partition_config_selectorILNS1_17partition_subalgoE3EjNS0_10empty_typeEbEEZZNS1_14partition_implILS8_3ELb0ES6_jNS0_17counting_iteratorIjlEEPS9_SE_NS0_5tupleIJPjSE_EEENSF_IJSE_SE_EEES9_SG_JZNS1_25segmented_radix_sort_implINS0_14default_configELb0EPKlPlSM_SN_N2at6native12_GLOBAL__N_18offset_tEEE10hipError_tPvRmT1_PNSt15iterator_traitsISV_E10value_typeET2_T3_PNSW_IS11_E10value_typeET4_jRbjT5_S17_jjP12ihipStream_tbEUljE_EEESS_ST_SU_S11_S15_S17_T6_T7_T9_mT8_S19_bDpT10_ENKUlT_T0_E_clISt17integral_constantIbLb1EES1M_EEDaS1H_S1I_EUlS1H_E_NS1_11comp_targetILNS1_3genE4ELNS1_11target_archE910ELNS1_3gpuE8ELNS1_3repE0EEENS1_30default_config_static_selectorELNS0_4arch9wavefront6targetE0EEEvSV_
                                        ; -- End function
	.set _ZN7rocprim17ROCPRIM_400000_NS6detail17trampoline_kernelINS0_13select_configILj256ELj13ELNS0_17block_load_methodE3ELS4_3ELS4_3ELNS0_20block_scan_algorithmE0ELj4294967295EEENS1_25partition_config_selectorILNS1_17partition_subalgoE3EjNS0_10empty_typeEbEEZZNS1_14partition_implILS8_3ELb0ES6_jNS0_17counting_iteratorIjlEEPS9_SE_NS0_5tupleIJPjSE_EEENSF_IJSE_SE_EEES9_SG_JZNS1_25segmented_radix_sort_implINS0_14default_configELb0EPKlPlSM_SN_N2at6native12_GLOBAL__N_18offset_tEEE10hipError_tPvRmT1_PNSt15iterator_traitsISV_E10value_typeET2_T3_PNSW_IS11_E10value_typeET4_jRbjT5_S17_jjP12ihipStream_tbEUljE_EEESS_ST_SU_S11_S15_S17_T6_T7_T9_mT8_S19_bDpT10_ENKUlT_T0_E_clISt17integral_constantIbLb1EES1M_EEDaS1H_S1I_EUlS1H_E_NS1_11comp_targetILNS1_3genE4ELNS1_11target_archE910ELNS1_3gpuE8ELNS1_3repE0EEENS1_30default_config_static_selectorELNS0_4arch9wavefront6targetE0EEEvSV_.num_vgpr, 0
	.set _ZN7rocprim17ROCPRIM_400000_NS6detail17trampoline_kernelINS0_13select_configILj256ELj13ELNS0_17block_load_methodE3ELS4_3ELS4_3ELNS0_20block_scan_algorithmE0ELj4294967295EEENS1_25partition_config_selectorILNS1_17partition_subalgoE3EjNS0_10empty_typeEbEEZZNS1_14partition_implILS8_3ELb0ES6_jNS0_17counting_iteratorIjlEEPS9_SE_NS0_5tupleIJPjSE_EEENSF_IJSE_SE_EEES9_SG_JZNS1_25segmented_radix_sort_implINS0_14default_configELb0EPKlPlSM_SN_N2at6native12_GLOBAL__N_18offset_tEEE10hipError_tPvRmT1_PNSt15iterator_traitsISV_E10value_typeET2_T3_PNSW_IS11_E10value_typeET4_jRbjT5_S17_jjP12ihipStream_tbEUljE_EEESS_ST_SU_S11_S15_S17_T6_T7_T9_mT8_S19_bDpT10_ENKUlT_T0_E_clISt17integral_constantIbLb1EES1M_EEDaS1H_S1I_EUlS1H_E_NS1_11comp_targetILNS1_3genE4ELNS1_11target_archE910ELNS1_3gpuE8ELNS1_3repE0EEENS1_30default_config_static_selectorELNS0_4arch9wavefront6targetE0EEEvSV_.num_agpr, 0
	.set _ZN7rocprim17ROCPRIM_400000_NS6detail17trampoline_kernelINS0_13select_configILj256ELj13ELNS0_17block_load_methodE3ELS4_3ELS4_3ELNS0_20block_scan_algorithmE0ELj4294967295EEENS1_25partition_config_selectorILNS1_17partition_subalgoE3EjNS0_10empty_typeEbEEZZNS1_14partition_implILS8_3ELb0ES6_jNS0_17counting_iteratorIjlEEPS9_SE_NS0_5tupleIJPjSE_EEENSF_IJSE_SE_EEES9_SG_JZNS1_25segmented_radix_sort_implINS0_14default_configELb0EPKlPlSM_SN_N2at6native12_GLOBAL__N_18offset_tEEE10hipError_tPvRmT1_PNSt15iterator_traitsISV_E10value_typeET2_T3_PNSW_IS11_E10value_typeET4_jRbjT5_S17_jjP12ihipStream_tbEUljE_EEESS_ST_SU_S11_S15_S17_T6_T7_T9_mT8_S19_bDpT10_ENKUlT_T0_E_clISt17integral_constantIbLb1EES1M_EEDaS1H_S1I_EUlS1H_E_NS1_11comp_targetILNS1_3genE4ELNS1_11target_archE910ELNS1_3gpuE8ELNS1_3repE0EEENS1_30default_config_static_selectorELNS0_4arch9wavefront6targetE0EEEvSV_.numbered_sgpr, 0
	.set _ZN7rocprim17ROCPRIM_400000_NS6detail17trampoline_kernelINS0_13select_configILj256ELj13ELNS0_17block_load_methodE3ELS4_3ELS4_3ELNS0_20block_scan_algorithmE0ELj4294967295EEENS1_25partition_config_selectorILNS1_17partition_subalgoE3EjNS0_10empty_typeEbEEZZNS1_14partition_implILS8_3ELb0ES6_jNS0_17counting_iteratorIjlEEPS9_SE_NS0_5tupleIJPjSE_EEENSF_IJSE_SE_EEES9_SG_JZNS1_25segmented_radix_sort_implINS0_14default_configELb0EPKlPlSM_SN_N2at6native12_GLOBAL__N_18offset_tEEE10hipError_tPvRmT1_PNSt15iterator_traitsISV_E10value_typeET2_T3_PNSW_IS11_E10value_typeET4_jRbjT5_S17_jjP12ihipStream_tbEUljE_EEESS_ST_SU_S11_S15_S17_T6_T7_T9_mT8_S19_bDpT10_ENKUlT_T0_E_clISt17integral_constantIbLb1EES1M_EEDaS1H_S1I_EUlS1H_E_NS1_11comp_targetILNS1_3genE4ELNS1_11target_archE910ELNS1_3gpuE8ELNS1_3repE0EEENS1_30default_config_static_selectorELNS0_4arch9wavefront6targetE0EEEvSV_.num_named_barrier, 0
	.set _ZN7rocprim17ROCPRIM_400000_NS6detail17trampoline_kernelINS0_13select_configILj256ELj13ELNS0_17block_load_methodE3ELS4_3ELS4_3ELNS0_20block_scan_algorithmE0ELj4294967295EEENS1_25partition_config_selectorILNS1_17partition_subalgoE3EjNS0_10empty_typeEbEEZZNS1_14partition_implILS8_3ELb0ES6_jNS0_17counting_iteratorIjlEEPS9_SE_NS0_5tupleIJPjSE_EEENSF_IJSE_SE_EEES9_SG_JZNS1_25segmented_radix_sort_implINS0_14default_configELb0EPKlPlSM_SN_N2at6native12_GLOBAL__N_18offset_tEEE10hipError_tPvRmT1_PNSt15iterator_traitsISV_E10value_typeET2_T3_PNSW_IS11_E10value_typeET4_jRbjT5_S17_jjP12ihipStream_tbEUljE_EEESS_ST_SU_S11_S15_S17_T6_T7_T9_mT8_S19_bDpT10_ENKUlT_T0_E_clISt17integral_constantIbLb1EES1M_EEDaS1H_S1I_EUlS1H_E_NS1_11comp_targetILNS1_3genE4ELNS1_11target_archE910ELNS1_3gpuE8ELNS1_3repE0EEENS1_30default_config_static_selectorELNS0_4arch9wavefront6targetE0EEEvSV_.private_seg_size, 0
	.set _ZN7rocprim17ROCPRIM_400000_NS6detail17trampoline_kernelINS0_13select_configILj256ELj13ELNS0_17block_load_methodE3ELS4_3ELS4_3ELNS0_20block_scan_algorithmE0ELj4294967295EEENS1_25partition_config_selectorILNS1_17partition_subalgoE3EjNS0_10empty_typeEbEEZZNS1_14partition_implILS8_3ELb0ES6_jNS0_17counting_iteratorIjlEEPS9_SE_NS0_5tupleIJPjSE_EEENSF_IJSE_SE_EEES9_SG_JZNS1_25segmented_radix_sort_implINS0_14default_configELb0EPKlPlSM_SN_N2at6native12_GLOBAL__N_18offset_tEEE10hipError_tPvRmT1_PNSt15iterator_traitsISV_E10value_typeET2_T3_PNSW_IS11_E10value_typeET4_jRbjT5_S17_jjP12ihipStream_tbEUljE_EEESS_ST_SU_S11_S15_S17_T6_T7_T9_mT8_S19_bDpT10_ENKUlT_T0_E_clISt17integral_constantIbLb1EES1M_EEDaS1H_S1I_EUlS1H_E_NS1_11comp_targetILNS1_3genE4ELNS1_11target_archE910ELNS1_3gpuE8ELNS1_3repE0EEENS1_30default_config_static_selectorELNS0_4arch9wavefront6targetE0EEEvSV_.uses_vcc, 0
	.set _ZN7rocprim17ROCPRIM_400000_NS6detail17trampoline_kernelINS0_13select_configILj256ELj13ELNS0_17block_load_methodE3ELS4_3ELS4_3ELNS0_20block_scan_algorithmE0ELj4294967295EEENS1_25partition_config_selectorILNS1_17partition_subalgoE3EjNS0_10empty_typeEbEEZZNS1_14partition_implILS8_3ELb0ES6_jNS0_17counting_iteratorIjlEEPS9_SE_NS0_5tupleIJPjSE_EEENSF_IJSE_SE_EEES9_SG_JZNS1_25segmented_radix_sort_implINS0_14default_configELb0EPKlPlSM_SN_N2at6native12_GLOBAL__N_18offset_tEEE10hipError_tPvRmT1_PNSt15iterator_traitsISV_E10value_typeET2_T3_PNSW_IS11_E10value_typeET4_jRbjT5_S17_jjP12ihipStream_tbEUljE_EEESS_ST_SU_S11_S15_S17_T6_T7_T9_mT8_S19_bDpT10_ENKUlT_T0_E_clISt17integral_constantIbLb1EES1M_EEDaS1H_S1I_EUlS1H_E_NS1_11comp_targetILNS1_3genE4ELNS1_11target_archE910ELNS1_3gpuE8ELNS1_3repE0EEENS1_30default_config_static_selectorELNS0_4arch9wavefront6targetE0EEEvSV_.uses_flat_scratch, 0
	.set _ZN7rocprim17ROCPRIM_400000_NS6detail17trampoline_kernelINS0_13select_configILj256ELj13ELNS0_17block_load_methodE3ELS4_3ELS4_3ELNS0_20block_scan_algorithmE0ELj4294967295EEENS1_25partition_config_selectorILNS1_17partition_subalgoE3EjNS0_10empty_typeEbEEZZNS1_14partition_implILS8_3ELb0ES6_jNS0_17counting_iteratorIjlEEPS9_SE_NS0_5tupleIJPjSE_EEENSF_IJSE_SE_EEES9_SG_JZNS1_25segmented_radix_sort_implINS0_14default_configELb0EPKlPlSM_SN_N2at6native12_GLOBAL__N_18offset_tEEE10hipError_tPvRmT1_PNSt15iterator_traitsISV_E10value_typeET2_T3_PNSW_IS11_E10value_typeET4_jRbjT5_S17_jjP12ihipStream_tbEUljE_EEESS_ST_SU_S11_S15_S17_T6_T7_T9_mT8_S19_bDpT10_ENKUlT_T0_E_clISt17integral_constantIbLb1EES1M_EEDaS1H_S1I_EUlS1H_E_NS1_11comp_targetILNS1_3genE4ELNS1_11target_archE910ELNS1_3gpuE8ELNS1_3repE0EEENS1_30default_config_static_selectorELNS0_4arch9wavefront6targetE0EEEvSV_.has_dyn_sized_stack, 0
	.set _ZN7rocprim17ROCPRIM_400000_NS6detail17trampoline_kernelINS0_13select_configILj256ELj13ELNS0_17block_load_methodE3ELS4_3ELS4_3ELNS0_20block_scan_algorithmE0ELj4294967295EEENS1_25partition_config_selectorILNS1_17partition_subalgoE3EjNS0_10empty_typeEbEEZZNS1_14partition_implILS8_3ELb0ES6_jNS0_17counting_iteratorIjlEEPS9_SE_NS0_5tupleIJPjSE_EEENSF_IJSE_SE_EEES9_SG_JZNS1_25segmented_radix_sort_implINS0_14default_configELb0EPKlPlSM_SN_N2at6native12_GLOBAL__N_18offset_tEEE10hipError_tPvRmT1_PNSt15iterator_traitsISV_E10value_typeET2_T3_PNSW_IS11_E10value_typeET4_jRbjT5_S17_jjP12ihipStream_tbEUljE_EEESS_ST_SU_S11_S15_S17_T6_T7_T9_mT8_S19_bDpT10_ENKUlT_T0_E_clISt17integral_constantIbLb1EES1M_EEDaS1H_S1I_EUlS1H_E_NS1_11comp_targetILNS1_3genE4ELNS1_11target_archE910ELNS1_3gpuE8ELNS1_3repE0EEENS1_30default_config_static_selectorELNS0_4arch9wavefront6targetE0EEEvSV_.has_recursion, 0
	.set _ZN7rocprim17ROCPRIM_400000_NS6detail17trampoline_kernelINS0_13select_configILj256ELj13ELNS0_17block_load_methodE3ELS4_3ELS4_3ELNS0_20block_scan_algorithmE0ELj4294967295EEENS1_25partition_config_selectorILNS1_17partition_subalgoE3EjNS0_10empty_typeEbEEZZNS1_14partition_implILS8_3ELb0ES6_jNS0_17counting_iteratorIjlEEPS9_SE_NS0_5tupleIJPjSE_EEENSF_IJSE_SE_EEES9_SG_JZNS1_25segmented_radix_sort_implINS0_14default_configELb0EPKlPlSM_SN_N2at6native12_GLOBAL__N_18offset_tEEE10hipError_tPvRmT1_PNSt15iterator_traitsISV_E10value_typeET2_T3_PNSW_IS11_E10value_typeET4_jRbjT5_S17_jjP12ihipStream_tbEUljE_EEESS_ST_SU_S11_S15_S17_T6_T7_T9_mT8_S19_bDpT10_ENKUlT_T0_E_clISt17integral_constantIbLb1EES1M_EEDaS1H_S1I_EUlS1H_E_NS1_11comp_targetILNS1_3genE4ELNS1_11target_archE910ELNS1_3gpuE8ELNS1_3repE0EEENS1_30default_config_static_selectorELNS0_4arch9wavefront6targetE0EEEvSV_.has_indirect_call, 0
	.section	.AMDGPU.csdata,"",@progbits
; Kernel info:
; codeLenInByte = 0
; TotalNumSgprs: 0
; NumVgprs: 0
; ScratchSize: 0
; MemoryBound: 0
; FloatMode: 240
; IeeeMode: 1
; LDSByteSize: 0 bytes/workgroup (compile time only)
; SGPRBlocks: 0
; VGPRBlocks: 0
; NumSGPRsForWavesPerEU: 1
; NumVGPRsForWavesPerEU: 1
; NamedBarCnt: 0
; Occupancy: 16
; WaveLimiterHint : 0
; COMPUTE_PGM_RSRC2:SCRATCH_EN: 0
; COMPUTE_PGM_RSRC2:USER_SGPR: 2
; COMPUTE_PGM_RSRC2:TRAP_HANDLER: 0
; COMPUTE_PGM_RSRC2:TGID_X_EN: 1
; COMPUTE_PGM_RSRC2:TGID_Y_EN: 0
; COMPUTE_PGM_RSRC2:TGID_Z_EN: 0
; COMPUTE_PGM_RSRC2:TIDIG_COMP_CNT: 0
	.section	.text._ZN7rocprim17ROCPRIM_400000_NS6detail17trampoline_kernelINS0_13select_configILj256ELj13ELNS0_17block_load_methodE3ELS4_3ELS4_3ELNS0_20block_scan_algorithmE0ELj4294967295EEENS1_25partition_config_selectorILNS1_17partition_subalgoE3EjNS0_10empty_typeEbEEZZNS1_14partition_implILS8_3ELb0ES6_jNS0_17counting_iteratorIjlEEPS9_SE_NS0_5tupleIJPjSE_EEENSF_IJSE_SE_EEES9_SG_JZNS1_25segmented_radix_sort_implINS0_14default_configELb0EPKlPlSM_SN_N2at6native12_GLOBAL__N_18offset_tEEE10hipError_tPvRmT1_PNSt15iterator_traitsISV_E10value_typeET2_T3_PNSW_IS11_E10value_typeET4_jRbjT5_S17_jjP12ihipStream_tbEUljE_EEESS_ST_SU_S11_S15_S17_T6_T7_T9_mT8_S19_bDpT10_ENKUlT_T0_E_clISt17integral_constantIbLb1EES1M_EEDaS1H_S1I_EUlS1H_E_NS1_11comp_targetILNS1_3genE3ELNS1_11target_archE908ELNS1_3gpuE7ELNS1_3repE0EEENS1_30default_config_static_selectorELNS0_4arch9wavefront6targetE0EEEvSV_,"axG",@progbits,_ZN7rocprim17ROCPRIM_400000_NS6detail17trampoline_kernelINS0_13select_configILj256ELj13ELNS0_17block_load_methodE3ELS4_3ELS4_3ELNS0_20block_scan_algorithmE0ELj4294967295EEENS1_25partition_config_selectorILNS1_17partition_subalgoE3EjNS0_10empty_typeEbEEZZNS1_14partition_implILS8_3ELb0ES6_jNS0_17counting_iteratorIjlEEPS9_SE_NS0_5tupleIJPjSE_EEENSF_IJSE_SE_EEES9_SG_JZNS1_25segmented_radix_sort_implINS0_14default_configELb0EPKlPlSM_SN_N2at6native12_GLOBAL__N_18offset_tEEE10hipError_tPvRmT1_PNSt15iterator_traitsISV_E10value_typeET2_T3_PNSW_IS11_E10value_typeET4_jRbjT5_S17_jjP12ihipStream_tbEUljE_EEESS_ST_SU_S11_S15_S17_T6_T7_T9_mT8_S19_bDpT10_ENKUlT_T0_E_clISt17integral_constantIbLb1EES1M_EEDaS1H_S1I_EUlS1H_E_NS1_11comp_targetILNS1_3genE3ELNS1_11target_archE908ELNS1_3gpuE7ELNS1_3repE0EEENS1_30default_config_static_selectorELNS0_4arch9wavefront6targetE0EEEvSV_,comdat
	.globl	_ZN7rocprim17ROCPRIM_400000_NS6detail17trampoline_kernelINS0_13select_configILj256ELj13ELNS0_17block_load_methodE3ELS4_3ELS4_3ELNS0_20block_scan_algorithmE0ELj4294967295EEENS1_25partition_config_selectorILNS1_17partition_subalgoE3EjNS0_10empty_typeEbEEZZNS1_14partition_implILS8_3ELb0ES6_jNS0_17counting_iteratorIjlEEPS9_SE_NS0_5tupleIJPjSE_EEENSF_IJSE_SE_EEES9_SG_JZNS1_25segmented_radix_sort_implINS0_14default_configELb0EPKlPlSM_SN_N2at6native12_GLOBAL__N_18offset_tEEE10hipError_tPvRmT1_PNSt15iterator_traitsISV_E10value_typeET2_T3_PNSW_IS11_E10value_typeET4_jRbjT5_S17_jjP12ihipStream_tbEUljE_EEESS_ST_SU_S11_S15_S17_T6_T7_T9_mT8_S19_bDpT10_ENKUlT_T0_E_clISt17integral_constantIbLb1EES1M_EEDaS1H_S1I_EUlS1H_E_NS1_11comp_targetILNS1_3genE3ELNS1_11target_archE908ELNS1_3gpuE7ELNS1_3repE0EEENS1_30default_config_static_selectorELNS0_4arch9wavefront6targetE0EEEvSV_ ; -- Begin function _ZN7rocprim17ROCPRIM_400000_NS6detail17trampoline_kernelINS0_13select_configILj256ELj13ELNS0_17block_load_methodE3ELS4_3ELS4_3ELNS0_20block_scan_algorithmE0ELj4294967295EEENS1_25partition_config_selectorILNS1_17partition_subalgoE3EjNS0_10empty_typeEbEEZZNS1_14partition_implILS8_3ELb0ES6_jNS0_17counting_iteratorIjlEEPS9_SE_NS0_5tupleIJPjSE_EEENSF_IJSE_SE_EEES9_SG_JZNS1_25segmented_radix_sort_implINS0_14default_configELb0EPKlPlSM_SN_N2at6native12_GLOBAL__N_18offset_tEEE10hipError_tPvRmT1_PNSt15iterator_traitsISV_E10value_typeET2_T3_PNSW_IS11_E10value_typeET4_jRbjT5_S17_jjP12ihipStream_tbEUljE_EEESS_ST_SU_S11_S15_S17_T6_T7_T9_mT8_S19_bDpT10_ENKUlT_T0_E_clISt17integral_constantIbLb1EES1M_EEDaS1H_S1I_EUlS1H_E_NS1_11comp_targetILNS1_3genE3ELNS1_11target_archE908ELNS1_3gpuE7ELNS1_3repE0EEENS1_30default_config_static_selectorELNS0_4arch9wavefront6targetE0EEEvSV_
	.p2align	8
	.type	_ZN7rocprim17ROCPRIM_400000_NS6detail17trampoline_kernelINS0_13select_configILj256ELj13ELNS0_17block_load_methodE3ELS4_3ELS4_3ELNS0_20block_scan_algorithmE0ELj4294967295EEENS1_25partition_config_selectorILNS1_17partition_subalgoE3EjNS0_10empty_typeEbEEZZNS1_14partition_implILS8_3ELb0ES6_jNS0_17counting_iteratorIjlEEPS9_SE_NS0_5tupleIJPjSE_EEENSF_IJSE_SE_EEES9_SG_JZNS1_25segmented_radix_sort_implINS0_14default_configELb0EPKlPlSM_SN_N2at6native12_GLOBAL__N_18offset_tEEE10hipError_tPvRmT1_PNSt15iterator_traitsISV_E10value_typeET2_T3_PNSW_IS11_E10value_typeET4_jRbjT5_S17_jjP12ihipStream_tbEUljE_EEESS_ST_SU_S11_S15_S17_T6_T7_T9_mT8_S19_bDpT10_ENKUlT_T0_E_clISt17integral_constantIbLb1EES1M_EEDaS1H_S1I_EUlS1H_E_NS1_11comp_targetILNS1_3genE3ELNS1_11target_archE908ELNS1_3gpuE7ELNS1_3repE0EEENS1_30default_config_static_selectorELNS0_4arch9wavefront6targetE0EEEvSV_,@function
_ZN7rocprim17ROCPRIM_400000_NS6detail17trampoline_kernelINS0_13select_configILj256ELj13ELNS0_17block_load_methodE3ELS4_3ELS4_3ELNS0_20block_scan_algorithmE0ELj4294967295EEENS1_25partition_config_selectorILNS1_17partition_subalgoE3EjNS0_10empty_typeEbEEZZNS1_14partition_implILS8_3ELb0ES6_jNS0_17counting_iteratorIjlEEPS9_SE_NS0_5tupleIJPjSE_EEENSF_IJSE_SE_EEES9_SG_JZNS1_25segmented_radix_sort_implINS0_14default_configELb0EPKlPlSM_SN_N2at6native12_GLOBAL__N_18offset_tEEE10hipError_tPvRmT1_PNSt15iterator_traitsISV_E10value_typeET2_T3_PNSW_IS11_E10value_typeET4_jRbjT5_S17_jjP12ihipStream_tbEUljE_EEESS_ST_SU_S11_S15_S17_T6_T7_T9_mT8_S19_bDpT10_ENKUlT_T0_E_clISt17integral_constantIbLb1EES1M_EEDaS1H_S1I_EUlS1H_E_NS1_11comp_targetILNS1_3genE3ELNS1_11target_archE908ELNS1_3gpuE7ELNS1_3repE0EEENS1_30default_config_static_selectorELNS0_4arch9wavefront6targetE0EEEvSV_: ; @_ZN7rocprim17ROCPRIM_400000_NS6detail17trampoline_kernelINS0_13select_configILj256ELj13ELNS0_17block_load_methodE3ELS4_3ELS4_3ELNS0_20block_scan_algorithmE0ELj4294967295EEENS1_25partition_config_selectorILNS1_17partition_subalgoE3EjNS0_10empty_typeEbEEZZNS1_14partition_implILS8_3ELb0ES6_jNS0_17counting_iteratorIjlEEPS9_SE_NS0_5tupleIJPjSE_EEENSF_IJSE_SE_EEES9_SG_JZNS1_25segmented_radix_sort_implINS0_14default_configELb0EPKlPlSM_SN_N2at6native12_GLOBAL__N_18offset_tEEE10hipError_tPvRmT1_PNSt15iterator_traitsISV_E10value_typeET2_T3_PNSW_IS11_E10value_typeET4_jRbjT5_S17_jjP12ihipStream_tbEUljE_EEESS_ST_SU_S11_S15_S17_T6_T7_T9_mT8_S19_bDpT10_ENKUlT_T0_E_clISt17integral_constantIbLb1EES1M_EEDaS1H_S1I_EUlS1H_E_NS1_11comp_targetILNS1_3genE3ELNS1_11target_archE908ELNS1_3gpuE7ELNS1_3repE0EEENS1_30default_config_static_selectorELNS0_4arch9wavefront6targetE0EEEvSV_
; %bb.0:
	.section	.rodata,"a",@progbits
	.p2align	6, 0x0
	.amdhsa_kernel _ZN7rocprim17ROCPRIM_400000_NS6detail17trampoline_kernelINS0_13select_configILj256ELj13ELNS0_17block_load_methodE3ELS4_3ELS4_3ELNS0_20block_scan_algorithmE0ELj4294967295EEENS1_25partition_config_selectorILNS1_17partition_subalgoE3EjNS0_10empty_typeEbEEZZNS1_14partition_implILS8_3ELb0ES6_jNS0_17counting_iteratorIjlEEPS9_SE_NS0_5tupleIJPjSE_EEENSF_IJSE_SE_EEES9_SG_JZNS1_25segmented_radix_sort_implINS0_14default_configELb0EPKlPlSM_SN_N2at6native12_GLOBAL__N_18offset_tEEE10hipError_tPvRmT1_PNSt15iterator_traitsISV_E10value_typeET2_T3_PNSW_IS11_E10value_typeET4_jRbjT5_S17_jjP12ihipStream_tbEUljE_EEESS_ST_SU_S11_S15_S17_T6_T7_T9_mT8_S19_bDpT10_ENKUlT_T0_E_clISt17integral_constantIbLb1EES1M_EEDaS1H_S1I_EUlS1H_E_NS1_11comp_targetILNS1_3genE3ELNS1_11target_archE908ELNS1_3gpuE7ELNS1_3repE0EEENS1_30default_config_static_selectorELNS0_4arch9wavefront6targetE0EEEvSV_
		.amdhsa_group_segment_fixed_size 0
		.amdhsa_private_segment_fixed_size 0
		.amdhsa_kernarg_size 152
		.amdhsa_user_sgpr_count 2
		.amdhsa_user_sgpr_dispatch_ptr 0
		.amdhsa_user_sgpr_queue_ptr 0
		.amdhsa_user_sgpr_kernarg_segment_ptr 1
		.amdhsa_user_sgpr_dispatch_id 0
		.amdhsa_user_sgpr_kernarg_preload_length 0
		.amdhsa_user_sgpr_kernarg_preload_offset 0
		.amdhsa_user_sgpr_private_segment_size 0
		.amdhsa_wavefront_size32 1
		.amdhsa_uses_dynamic_stack 0
		.amdhsa_enable_private_segment 0
		.amdhsa_system_sgpr_workgroup_id_x 1
		.amdhsa_system_sgpr_workgroup_id_y 0
		.amdhsa_system_sgpr_workgroup_id_z 0
		.amdhsa_system_sgpr_workgroup_info 0
		.amdhsa_system_vgpr_workitem_id 0
		.amdhsa_next_free_vgpr 1
		.amdhsa_next_free_sgpr 1
		.amdhsa_named_barrier_count 0
		.amdhsa_reserve_vcc 0
		.amdhsa_float_round_mode_32 0
		.amdhsa_float_round_mode_16_64 0
		.amdhsa_float_denorm_mode_32 3
		.amdhsa_float_denorm_mode_16_64 3
		.amdhsa_fp16_overflow 0
		.amdhsa_memory_ordered 1
		.amdhsa_forward_progress 1
		.amdhsa_inst_pref_size 0
		.amdhsa_round_robin_scheduling 0
		.amdhsa_exception_fp_ieee_invalid_op 0
		.amdhsa_exception_fp_denorm_src 0
		.amdhsa_exception_fp_ieee_div_zero 0
		.amdhsa_exception_fp_ieee_overflow 0
		.amdhsa_exception_fp_ieee_underflow 0
		.amdhsa_exception_fp_ieee_inexact 0
		.amdhsa_exception_int_div_zero 0
	.end_amdhsa_kernel
	.section	.text._ZN7rocprim17ROCPRIM_400000_NS6detail17trampoline_kernelINS0_13select_configILj256ELj13ELNS0_17block_load_methodE3ELS4_3ELS4_3ELNS0_20block_scan_algorithmE0ELj4294967295EEENS1_25partition_config_selectorILNS1_17partition_subalgoE3EjNS0_10empty_typeEbEEZZNS1_14partition_implILS8_3ELb0ES6_jNS0_17counting_iteratorIjlEEPS9_SE_NS0_5tupleIJPjSE_EEENSF_IJSE_SE_EEES9_SG_JZNS1_25segmented_radix_sort_implINS0_14default_configELb0EPKlPlSM_SN_N2at6native12_GLOBAL__N_18offset_tEEE10hipError_tPvRmT1_PNSt15iterator_traitsISV_E10value_typeET2_T3_PNSW_IS11_E10value_typeET4_jRbjT5_S17_jjP12ihipStream_tbEUljE_EEESS_ST_SU_S11_S15_S17_T6_T7_T9_mT8_S19_bDpT10_ENKUlT_T0_E_clISt17integral_constantIbLb1EES1M_EEDaS1H_S1I_EUlS1H_E_NS1_11comp_targetILNS1_3genE3ELNS1_11target_archE908ELNS1_3gpuE7ELNS1_3repE0EEENS1_30default_config_static_selectorELNS0_4arch9wavefront6targetE0EEEvSV_,"axG",@progbits,_ZN7rocprim17ROCPRIM_400000_NS6detail17trampoline_kernelINS0_13select_configILj256ELj13ELNS0_17block_load_methodE3ELS4_3ELS4_3ELNS0_20block_scan_algorithmE0ELj4294967295EEENS1_25partition_config_selectorILNS1_17partition_subalgoE3EjNS0_10empty_typeEbEEZZNS1_14partition_implILS8_3ELb0ES6_jNS0_17counting_iteratorIjlEEPS9_SE_NS0_5tupleIJPjSE_EEENSF_IJSE_SE_EEES9_SG_JZNS1_25segmented_radix_sort_implINS0_14default_configELb0EPKlPlSM_SN_N2at6native12_GLOBAL__N_18offset_tEEE10hipError_tPvRmT1_PNSt15iterator_traitsISV_E10value_typeET2_T3_PNSW_IS11_E10value_typeET4_jRbjT5_S17_jjP12ihipStream_tbEUljE_EEESS_ST_SU_S11_S15_S17_T6_T7_T9_mT8_S19_bDpT10_ENKUlT_T0_E_clISt17integral_constantIbLb1EES1M_EEDaS1H_S1I_EUlS1H_E_NS1_11comp_targetILNS1_3genE3ELNS1_11target_archE908ELNS1_3gpuE7ELNS1_3repE0EEENS1_30default_config_static_selectorELNS0_4arch9wavefront6targetE0EEEvSV_,comdat
.Lfunc_end782:
	.size	_ZN7rocprim17ROCPRIM_400000_NS6detail17trampoline_kernelINS0_13select_configILj256ELj13ELNS0_17block_load_methodE3ELS4_3ELS4_3ELNS0_20block_scan_algorithmE0ELj4294967295EEENS1_25partition_config_selectorILNS1_17partition_subalgoE3EjNS0_10empty_typeEbEEZZNS1_14partition_implILS8_3ELb0ES6_jNS0_17counting_iteratorIjlEEPS9_SE_NS0_5tupleIJPjSE_EEENSF_IJSE_SE_EEES9_SG_JZNS1_25segmented_radix_sort_implINS0_14default_configELb0EPKlPlSM_SN_N2at6native12_GLOBAL__N_18offset_tEEE10hipError_tPvRmT1_PNSt15iterator_traitsISV_E10value_typeET2_T3_PNSW_IS11_E10value_typeET4_jRbjT5_S17_jjP12ihipStream_tbEUljE_EEESS_ST_SU_S11_S15_S17_T6_T7_T9_mT8_S19_bDpT10_ENKUlT_T0_E_clISt17integral_constantIbLb1EES1M_EEDaS1H_S1I_EUlS1H_E_NS1_11comp_targetILNS1_3genE3ELNS1_11target_archE908ELNS1_3gpuE7ELNS1_3repE0EEENS1_30default_config_static_selectorELNS0_4arch9wavefront6targetE0EEEvSV_, .Lfunc_end782-_ZN7rocprim17ROCPRIM_400000_NS6detail17trampoline_kernelINS0_13select_configILj256ELj13ELNS0_17block_load_methodE3ELS4_3ELS4_3ELNS0_20block_scan_algorithmE0ELj4294967295EEENS1_25partition_config_selectorILNS1_17partition_subalgoE3EjNS0_10empty_typeEbEEZZNS1_14partition_implILS8_3ELb0ES6_jNS0_17counting_iteratorIjlEEPS9_SE_NS0_5tupleIJPjSE_EEENSF_IJSE_SE_EEES9_SG_JZNS1_25segmented_radix_sort_implINS0_14default_configELb0EPKlPlSM_SN_N2at6native12_GLOBAL__N_18offset_tEEE10hipError_tPvRmT1_PNSt15iterator_traitsISV_E10value_typeET2_T3_PNSW_IS11_E10value_typeET4_jRbjT5_S17_jjP12ihipStream_tbEUljE_EEESS_ST_SU_S11_S15_S17_T6_T7_T9_mT8_S19_bDpT10_ENKUlT_T0_E_clISt17integral_constantIbLb1EES1M_EEDaS1H_S1I_EUlS1H_E_NS1_11comp_targetILNS1_3genE3ELNS1_11target_archE908ELNS1_3gpuE7ELNS1_3repE0EEENS1_30default_config_static_selectorELNS0_4arch9wavefront6targetE0EEEvSV_
                                        ; -- End function
	.set _ZN7rocprim17ROCPRIM_400000_NS6detail17trampoline_kernelINS0_13select_configILj256ELj13ELNS0_17block_load_methodE3ELS4_3ELS4_3ELNS0_20block_scan_algorithmE0ELj4294967295EEENS1_25partition_config_selectorILNS1_17partition_subalgoE3EjNS0_10empty_typeEbEEZZNS1_14partition_implILS8_3ELb0ES6_jNS0_17counting_iteratorIjlEEPS9_SE_NS0_5tupleIJPjSE_EEENSF_IJSE_SE_EEES9_SG_JZNS1_25segmented_radix_sort_implINS0_14default_configELb0EPKlPlSM_SN_N2at6native12_GLOBAL__N_18offset_tEEE10hipError_tPvRmT1_PNSt15iterator_traitsISV_E10value_typeET2_T3_PNSW_IS11_E10value_typeET4_jRbjT5_S17_jjP12ihipStream_tbEUljE_EEESS_ST_SU_S11_S15_S17_T6_T7_T9_mT8_S19_bDpT10_ENKUlT_T0_E_clISt17integral_constantIbLb1EES1M_EEDaS1H_S1I_EUlS1H_E_NS1_11comp_targetILNS1_3genE3ELNS1_11target_archE908ELNS1_3gpuE7ELNS1_3repE0EEENS1_30default_config_static_selectorELNS0_4arch9wavefront6targetE0EEEvSV_.num_vgpr, 0
	.set _ZN7rocprim17ROCPRIM_400000_NS6detail17trampoline_kernelINS0_13select_configILj256ELj13ELNS0_17block_load_methodE3ELS4_3ELS4_3ELNS0_20block_scan_algorithmE0ELj4294967295EEENS1_25partition_config_selectorILNS1_17partition_subalgoE3EjNS0_10empty_typeEbEEZZNS1_14partition_implILS8_3ELb0ES6_jNS0_17counting_iteratorIjlEEPS9_SE_NS0_5tupleIJPjSE_EEENSF_IJSE_SE_EEES9_SG_JZNS1_25segmented_radix_sort_implINS0_14default_configELb0EPKlPlSM_SN_N2at6native12_GLOBAL__N_18offset_tEEE10hipError_tPvRmT1_PNSt15iterator_traitsISV_E10value_typeET2_T3_PNSW_IS11_E10value_typeET4_jRbjT5_S17_jjP12ihipStream_tbEUljE_EEESS_ST_SU_S11_S15_S17_T6_T7_T9_mT8_S19_bDpT10_ENKUlT_T0_E_clISt17integral_constantIbLb1EES1M_EEDaS1H_S1I_EUlS1H_E_NS1_11comp_targetILNS1_3genE3ELNS1_11target_archE908ELNS1_3gpuE7ELNS1_3repE0EEENS1_30default_config_static_selectorELNS0_4arch9wavefront6targetE0EEEvSV_.num_agpr, 0
	.set _ZN7rocprim17ROCPRIM_400000_NS6detail17trampoline_kernelINS0_13select_configILj256ELj13ELNS0_17block_load_methodE3ELS4_3ELS4_3ELNS0_20block_scan_algorithmE0ELj4294967295EEENS1_25partition_config_selectorILNS1_17partition_subalgoE3EjNS0_10empty_typeEbEEZZNS1_14partition_implILS8_3ELb0ES6_jNS0_17counting_iteratorIjlEEPS9_SE_NS0_5tupleIJPjSE_EEENSF_IJSE_SE_EEES9_SG_JZNS1_25segmented_radix_sort_implINS0_14default_configELb0EPKlPlSM_SN_N2at6native12_GLOBAL__N_18offset_tEEE10hipError_tPvRmT1_PNSt15iterator_traitsISV_E10value_typeET2_T3_PNSW_IS11_E10value_typeET4_jRbjT5_S17_jjP12ihipStream_tbEUljE_EEESS_ST_SU_S11_S15_S17_T6_T7_T9_mT8_S19_bDpT10_ENKUlT_T0_E_clISt17integral_constantIbLb1EES1M_EEDaS1H_S1I_EUlS1H_E_NS1_11comp_targetILNS1_3genE3ELNS1_11target_archE908ELNS1_3gpuE7ELNS1_3repE0EEENS1_30default_config_static_selectorELNS0_4arch9wavefront6targetE0EEEvSV_.numbered_sgpr, 0
	.set _ZN7rocprim17ROCPRIM_400000_NS6detail17trampoline_kernelINS0_13select_configILj256ELj13ELNS0_17block_load_methodE3ELS4_3ELS4_3ELNS0_20block_scan_algorithmE0ELj4294967295EEENS1_25partition_config_selectorILNS1_17partition_subalgoE3EjNS0_10empty_typeEbEEZZNS1_14partition_implILS8_3ELb0ES6_jNS0_17counting_iteratorIjlEEPS9_SE_NS0_5tupleIJPjSE_EEENSF_IJSE_SE_EEES9_SG_JZNS1_25segmented_radix_sort_implINS0_14default_configELb0EPKlPlSM_SN_N2at6native12_GLOBAL__N_18offset_tEEE10hipError_tPvRmT1_PNSt15iterator_traitsISV_E10value_typeET2_T3_PNSW_IS11_E10value_typeET4_jRbjT5_S17_jjP12ihipStream_tbEUljE_EEESS_ST_SU_S11_S15_S17_T6_T7_T9_mT8_S19_bDpT10_ENKUlT_T0_E_clISt17integral_constantIbLb1EES1M_EEDaS1H_S1I_EUlS1H_E_NS1_11comp_targetILNS1_3genE3ELNS1_11target_archE908ELNS1_3gpuE7ELNS1_3repE0EEENS1_30default_config_static_selectorELNS0_4arch9wavefront6targetE0EEEvSV_.num_named_barrier, 0
	.set _ZN7rocprim17ROCPRIM_400000_NS6detail17trampoline_kernelINS0_13select_configILj256ELj13ELNS0_17block_load_methodE3ELS4_3ELS4_3ELNS0_20block_scan_algorithmE0ELj4294967295EEENS1_25partition_config_selectorILNS1_17partition_subalgoE3EjNS0_10empty_typeEbEEZZNS1_14partition_implILS8_3ELb0ES6_jNS0_17counting_iteratorIjlEEPS9_SE_NS0_5tupleIJPjSE_EEENSF_IJSE_SE_EEES9_SG_JZNS1_25segmented_radix_sort_implINS0_14default_configELb0EPKlPlSM_SN_N2at6native12_GLOBAL__N_18offset_tEEE10hipError_tPvRmT1_PNSt15iterator_traitsISV_E10value_typeET2_T3_PNSW_IS11_E10value_typeET4_jRbjT5_S17_jjP12ihipStream_tbEUljE_EEESS_ST_SU_S11_S15_S17_T6_T7_T9_mT8_S19_bDpT10_ENKUlT_T0_E_clISt17integral_constantIbLb1EES1M_EEDaS1H_S1I_EUlS1H_E_NS1_11comp_targetILNS1_3genE3ELNS1_11target_archE908ELNS1_3gpuE7ELNS1_3repE0EEENS1_30default_config_static_selectorELNS0_4arch9wavefront6targetE0EEEvSV_.private_seg_size, 0
	.set _ZN7rocprim17ROCPRIM_400000_NS6detail17trampoline_kernelINS0_13select_configILj256ELj13ELNS0_17block_load_methodE3ELS4_3ELS4_3ELNS0_20block_scan_algorithmE0ELj4294967295EEENS1_25partition_config_selectorILNS1_17partition_subalgoE3EjNS0_10empty_typeEbEEZZNS1_14partition_implILS8_3ELb0ES6_jNS0_17counting_iteratorIjlEEPS9_SE_NS0_5tupleIJPjSE_EEENSF_IJSE_SE_EEES9_SG_JZNS1_25segmented_radix_sort_implINS0_14default_configELb0EPKlPlSM_SN_N2at6native12_GLOBAL__N_18offset_tEEE10hipError_tPvRmT1_PNSt15iterator_traitsISV_E10value_typeET2_T3_PNSW_IS11_E10value_typeET4_jRbjT5_S17_jjP12ihipStream_tbEUljE_EEESS_ST_SU_S11_S15_S17_T6_T7_T9_mT8_S19_bDpT10_ENKUlT_T0_E_clISt17integral_constantIbLb1EES1M_EEDaS1H_S1I_EUlS1H_E_NS1_11comp_targetILNS1_3genE3ELNS1_11target_archE908ELNS1_3gpuE7ELNS1_3repE0EEENS1_30default_config_static_selectorELNS0_4arch9wavefront6targetE0EEEvSV_.uses_vcc, 0
	.set _ZN7rocprim17ROCPRIM_400000_NS6detail17trampoline_kernelINS0_13select_configILj256ELj13ELNS0_17block_load_methodE3ELS4_3ELS4_3ELNS0_20block_scan_algorithmE0ELj4294967295EEENS1_25partition_config_selectorILNS1_17partition_subalgoE3EjNS0_10empty_typeEbEEZZNS1_14partition_implILS8_3ELb0ES6_jNS0_17counting_iteratorIjlEEPS9_SE_NS0_5tupleIJPjSE_EEENSF_IJSE_SE_EEES9_SG_JZNS1_25segmented_radix_sort_implINS0_14default_configELb0EPKlPlSM_SN_N2at6native12_GLOBAL__N_18offset_tEEE10hipError_tPvRmT1_PNSt15iterator_traitsISV_E10value_typeET2_T3_PNSW_IS11_E10value_typeET4_jRbjT5_S17_jjP12ihipStream_tbEUljE_EEESS_ST_SU_S11_S15_S17_T6_T7_T9_mT8_S19_bDpT10_ENKUlT_T0_E_clISt17integral_constantIbLb1EES1M_EEDaS1H_S1I_EUlS1H_E_NS1_11comp_targetILNS1_3genE3ELNS1_11target_archE908ELNS1_3gpuE7ELNS1_3repE0EEENS1_30default_config_static_selectorELNS0_4arch9wavefront6targetE0EEEvSV_.uses_flat_scratch, 0
	.set _ZN7rocprim17ROCPRIM_400000_NS6detail17trampoline_kernelINS0_13select_configILj256ELj13ELNS0_17block_load_methodE3ELS4_3ELS4_3ELNS0_20block_scan_algorithmE0ELj4294967295EEENS1_25partition_config_selectorILNS1_17partition_subalgoE3EjNS0_10empty_typeEbEEZZNS1_14partition_implILS8_3ELb0ES6_jNS0_17counting_iteratorIjlEEPS9_SE_NS0_5tupleIJPjSE_EEENSF_IJSE_SE_EEES9_SG_JZNS1_25segmented_radix_sort_implINS0_14default_configELb0EPKlPlSM_SN_N2at6native12_GLOBAL__N_18offset_tEEE10hipError_tPvRmT1_PNSt15iterator_traitsISV_E10value_typeET2_T3_PNSW_IS11_E10value_typeET4_jRbjT5_S17_jjP12ihipStream_tbEUljE_EEESS_ST_SU_S11_S15_S17_T6_T7_T9_mT8_S19_bDpT10_ENKUlT_T0_E_clISt17integral_constantIbLb1EES1M_EEDaS1H_S1I_EUlS1H_E_NS1_11comp_targetILNS1_3genE3ELNS1_11target_archE908ELNS1_3gpuE7ELNS1_3repE0EEENS1_30default_config_static_selectorELNS0_4arch9wavefront6targetE0EEEvSV_.has_dyn_sized_stack, 0
	.set _ZN7rocprim17ROCPRIM_400000_NS6detail17trampoline_kernelINS0_13select_configILj256ELj13ELNS0_17block_load_methodE3ELS4_3ELS4_3ELNS0_20block_scan_algorithmE0ELj4294967295EEENS1_25partition_config_selectorILNS1_17partition_subalgoE3EjNS0_10empty_typeEbEEZZNS1_14partition_implILS8_3ELb0ES6_jNS0_17counting_iteratorIjlEEPS9_SE_NS0_5tupleIJPjSE_EEENSF_IJSE_SE_EEES9_SG_JZNS1_25segmented_radix_sort_implINS0_14default_configELb0EPKlPlSM_SN_N2at6native12_GLOBAL__N_18offset_tEEE10hipError_tPvRmT1_PNSt15iterator_traitsISV_E10value_typeET2_T3_PNSW_IS11_E10value_typeET4_jRbjT5_S17_jjP12ihipStream_tbEUljE_EEESS_ST_SU_S11_S15_S17_T6_T7_T9_mT8_S19_bDpT10_ENKUlT_T0_E_clISt17integral_constantIbLb1EES1M_EEDaS1H_S1I_EUlS1H_E_NS1_11comp_targetILNS1_3genE3ELNS1_11target_archE908ELNS1_3gpuE7ELNS1_3repE0EEENS1_30default_config_static_selectorELNS0_4arch9wavefront6targetE0EEEvSV_.has_recursion, 0
	.set _ZN7rocprim17ROCPRIM_400000_NS6detail17trampoline_kernelINS0_13select_configILj256ELj13ELNS0_17block_load_methodE3ELS4_3ELS4_3ELNS0_20block_scan_algorithmE0ELj4294967295EEENS1_25partition_config_selectorILNS1_17partition_subalgoE3EjNS0_10empty_typeEbEEZZNS1_14partition_implILS8_3ELb0ES6_jNS0_17counting_iteratorIjlEEPS9_SE_NS0_5tupleIJPjSE_EEENSF_IJSE_SE_EEES9_SG_JZNS1_25segmented_radix_sort_implINS0_14default_configELb0EPKlPlSM_SN_N2at6native12_GLOBAL__N_18offset_tEEE10hipError_tPvRmT1_PNSt15iterator_traitsISV_E10value_typeET2_T3_PNSW_IS11_E10value_typeET4_jRbjT5_S17_jjP12ihipStream_tbEUljE_EEESS_ST_SU_S11_S15_S17_T6_T7_T9_mT8_S19_bDpT10_ENKUlT_T0_E_clISt17integral_constantIbLb1EES1M_EEDaS1H_S1I_EUlS1H_E_NS1_11comp_targetILNS1_3genE3ELNS1_11target_archE908ELNS1_3gpuE7ELNS1_3repE0EEENS1_30default_config_static_selectorELNS0_4arch9wavefront6targetE0EEEvSV_.has_indirect_call, 0
	.section	.AMDGPU.csdata,"",@progbits
; Kernel info:
; codeLenInByte = 0
; TotalNumSgprs: 0
; NumVgprs: 0
; ScratchSize: 0
; MemoryBound: 0
; FloatMode: 240
; IeeeMode: 1
; LDSByteSize: 0 bytes/workgroup (compile time only)
; SGPRBlocks: 0
; VGPRBlocks: 0
; NumSGPRsForWavesPerEU: 1
; NumVGPRsForWavesPerEU: 1
; NamedBarCnt: 0
; Occupancy: 16
; WaveLimiterHint : 0
; COMPUTE_PGM_RSRC2:SCRATCH_EN: 0
; COMPUTE_PGM_RSRC2:USER_SGPR: 2
; COMPUTE_PGM_RSRC2:TRAP_HANDLER: 0
; COMPUTE_PGM_RSRC2:TGID_X_EN: 1
; COMPUTE_PGM_RSRC2:TGID_Y_EN: 0
; COMPUTE_PGM_RSRC2:TGID_Z_EN: 0
; COMPUTE_PGM_RSRC2:TIDIG_COMP_CNT: 0
	.section	.text._ZN7rocprim17ROCPRIM_400000_NS6detail17trampoline_kernelINS0_13select_configILj256ELj13ELNS0_17block_load_methodE3ELS4_3ELS4_3ELNS0_20block_scan_algorithmE0ELj4294967295EEENS1_25partition_config_selectorILNS1_17partition_subalgoE3EjNS0_10empty_typeEbEEZZNS1_14partition_implILS8_3ELb0ES6_jNS0_17counting_iteratorIjlEEPS9_SE_NS0_5tupleIJPjSE_EEENSF_IJSE_SE_EEES9_SG_JZNS1_25segmented_radix_sort_implINS0_14default_configELb0EPKlPlSM_SN_N2at6native12_GLOBAL__N_18offset_tEEE10hipError_tPvRmT1_PNSt15iterator_traitsISV_E10value_typeET2_T3_PNSW_IS11_E10value_typeET4_jRbjT5_S17_jjP12ihipStream_tbEUljE_EEESS_ST_SU_S11_S15_S17_T6_T7_T9_mT8_S19_bDpT10_ENKUlT_T0_E_clISt17integral_constantIbLb1EES1M_EEDaS1H_S1I_EUlS1H_E_NS1_11comp_targetILNS1_3genE2ELNS1_11target_archE906ELNS1_3gpuE6ELNS1_3repE0EEENS1_30default_config_static_selectorELNS0_4arch9wavefront6targetE0EEEvSV_,"axG",@progbits,_ZN7rocprim17ROCPRIM_400000_NS6detail17trampoline_kernelINS0_13select_configILj256ELj13ELNS0_17block_load_methodE3ELS4_3ELS4_3ELNS0_20block_scan_algorithmE0ELj4294967295EEENS1_25partition_config_selectorILNS1_17partition_subalgoE3EjNS0_10empty_typeEbEEZZNS1_14partition_implILS8_3ELb0ES6_jNS0_17counting_iteratorIjlEEPS9_SE_NS0_5tupleIJPjSE_EEENSF_IJSE_SE_EEES9_SG_JZNS1_25segmented_radix_sort_implINS0_14default_configELb0EPKlPlSM_SN_N2at6native12_GLOBAL__N_18offset_tEEE10hipError_tPvRmT1_PNSt15iterator_traitsISV_E10value_typeET2_T3_PNSW_IS11_E10value_typeET4_jRbjT5_S17_jjP12ihipStream_tbEUljE_EEESS_ST_SU_S11_S15_S17_T6_T7_T9_mT8_S19_bDpT10_ENKUlT_T0_E_clISt17integral_constantIbLb1EES1M_EEDaS1H_S1I_EUlS1H_E_NS1_11comp_targetILNS1_3genE2ELNS1_11target_archE906ELNS1_3gpuE6ELNS1_3repE0EEENS1_30default_config_static_selectorELNS0_4arch9wavefront6targetE0EEEvSV_,comdat
	.globl	_ZN7rocprim17ROCPRIM_400000_NS6detail17trampoline_kernelINS0_13select_configILj256ELj13ELNS0_17block_load_methodE3ELS4_3ELS4_3ELNS0_20block_scan_algorithmE0ELj4294967295EEENS1_25partition_config_selectorILNS1_17partition_subalgoE3EjNS0_10empty_typeEbEEZZNS1_14partition_implILS8_3ELb0ES6_jNS0_17counting_iteratorIjlEEPS9_SE_NS0_5tupleIJPjSE_EEENSF_IJSE_SE_EEES9_SG_JZNS1_25segmented_radix_sort_implINS0_14default_configELb0EPKlPlSM_SN_N2at6native12_GLOBAL__N_18offset_tEEE10hipError_tPvRmT1_PNSt15iterator_traitsISV_E10value_typeET2_T3_PNSW_IS11_E10value_typeET4_jRbjT5_S17_jjP12ihipStream_tbEUljE_EEESS_ST_SU_S11_S15_S17_T6_T7_T9_mT8_S19_bDpT10_ENKUlT_T0_E_clISt17integral_constantIbLb1EES1M_EEDaS1H_S1I_EUlS1H_E_NS1_11comp_targetILNS1_3genE2ELNS1_11target_archE906ELNS1_3gpuE6ELNS1_3repE0EEENS1_30default_config_static_selectorELNS0_4arch9wavefront6targetE0EEEvSV_ ; -- Begin function _ZN7rocprim17ROCPRIM_400000_NS6detail17trampoline_kernelINS0_13select_configILj256ELj13ELNS0_17block_load_methodE3ELS4_3ELS4_3ELNS0_20block_scan_algorithmE0ELj4294967295EEENS1_25partition_config_selectorILNS1_17partition_subalgoE3EjNS0_10empty_typeEbEEZZNS1_14partition_implILS8_3ELb0ES6_jNS0_17counting_iteratorIjlEEPS9_SE_NS0_5tupleIJPjSE_EEENSF_IJSE_SE_EEES9_SG_JZNS1_25segmented_radix_sort_implINS0_14default_configELb0EPKlPlSM_SN_N2at6native12_GLOBAL__N_18offset_tEEE10hipError_tPvRmT1_PNSt15iterator_traitsISV_E10value_typeET2_T3_PNSW_IS11_E10value_typeET4_jRbjT5_S17_jjP12ihipStream_tbEUljE_EEESS_ST_SU_S11_S15_S17_T6_T7_T9_mT8_S19_bDpT10_ENKUlT_T0_E_clISt17integral_constantIbLb1EES1M_EEDaS1H_S1I_EUlS1H_E_NS1_11comp_targetILNS1_3genE2ELNS1_11target_archE906ELNS1_3gpuE6ELNS1_3repE0EEENS1_30default_config_static_selectorELNS0_4arch9wavefront6targetE0EEEvSV_
	.p2align	8
	.type	_ZN7rocprim17ROCPRIM_400000_NS6detail17trampoline_kernelINS0_13select_configILj256ELj13ELNS0_17block_load_methodE3ELS4_3ELS4_3ELNS0_20block_scan_algorithmE0ELj4294967295EEENS1_25partition_config_selectorILNS1_17partition_subalgoE3EjNS0_10empty_typeEbEEZZNS1_14partition_implILS8_3ELb0ES6_jNS0_17counting_iteratorIjlEEPS9_SE_NS0_5tupleIJPjSE_EEENSF_IJSE_SE_EEES9_SG_JZNS1_25segmented_radix_sort_implINS0_14default_configELb0EPKlPlSM_SN_N2at6native12_GLOBAL__N_18offset_tEEE10hipError_tPvRmT1_PNSt15iterator_traitsISV_E10value_typeET2_T3_PNSW_IS11_E10value_typeET4_jRbjT5_S17_jjP12ihipStream_tbEUljE_EEESS_ST_SU_S11_S15_S17_T6_T7_T9_mT8_S19_bDpT10_ENKUlT_T0_E_clISt17integral_constantIbLb1EES1M_EEDaS1H_S1I_EUlS1H_E_NS1_11comp_targetILNS1_3genE2ELNS1_11target_archE906ELNS1_3gpuE6ELNS1_3repE0EEENS1_30default_config_static_selectorELNS0_4arch9wavefront6targetE0EEEvSV_,@function
_ZN7rocprim17ROCPRIM_400000_NS6detail17trampoline_kernelINS0_13select_configILj256ELj13ELNS0_17block_load_methodE3ELS4_3ELS4_3ELNS0_20block_scan_algorithmE0ELj4294967295EEENS1_25partition_config_selectorILNS1_17partition_subalgoE3EjNS0_10empty_typeEbEEZZNS1_14partition_implILS8_3ELb0ES6_jNS0_17counting_iteratorIjlEEPS9_SE_NS0_5tupleIJPjSE_EEENSF_IJSE_SE_EEES9_SG_JZNS1_25segmented_radix_sort_implINS0_14default_configELb0EPKlPlSM_SN_N2at6native12_GLOBAL__N_18offset_tEEE10hipError_tPvRmT1_PNSt15iterator_traitsISV_E10value_typeET2_T3_PNSW_IS11_E10value_typeET4_jRbjT5_S17_jjP12ihipStream_tbEUljE_EEESS_ST_SU_S11_S15_S17_T6_T7_T9_mT8_S19_bDpT10_ENKUlT_T0_E_clISt17integral_constantIbLb1EES1M_EEDaS1H_S1I_EUlS1H_E_NS1_11comp_targetILNS1_3genE2ELNS1_11target_archE906ELNS1_3gpuE6ELNS1_3repE0EEENS1_30default_config_static_selectorELNS0_4arch9wavefront6targetE0EEEvSV_: ; @_ZN7rocprim17ROCPRIM_400000_NS6detail17trampoline_kernelINS0_13select_configILj256ELj13ELNS0_17block_load_methodE3ELS4_3ELS4_3ELNS0_20block_scan_algorithmE0ELj4294967295EEENS1_25partition_config_selectorILNS1_17partition_subalgoE3EjNS0_10empty_typeEbEEZZNS1_14partition_implILS8_3ELb0ES6_jNS0_17counting_iteratorIjlEEPS9_SE_NS0_5tupleIJPjSE_EEENSF_IJSE_SE_EEES9_SG_JZNS1_25segmented_radix_sort_implINS0_14default_configELb0EPKlPlSM_SN_N2at6native12_GLOBAL__N_18offset_tEEE10hipError_tPvRmT1_PNSt15iterator_traitsISV_E10value_typeET2_T3_PNSW_IS11_E10value_typeET4_jRbjT5_S17_jjP12ihipStream_tbEUljE_EEESS_ST_SU_S11_S15_S17_T6_T7_T9_mT8_S19_bDpT10_ENKUlT_T0_E_clISt17integral_constantIbLb1EES1M_EEDaS1H_S1I_EUlS1H_E_NS1_11comp_targetILNS1_3genE2ELNS1_11target_archE906ELNS1_3gpuE6ELNS1_3repE0EEENS1_30default_config_static_selectorELNS0_4arch9wavefront6targetE0EEEvSV_
; %bb.0:
	.section	.rodata,"a",@progbits
	.p2align	6, 0x0
	.amdhsa_kernel _ZN7rocprim17ROCPRIM_400000_NS6detail17trampoline_kernelINS0_13select_configILj256ELj13ELNS0_17block_load_methodE3ELS4_3ELS4_3ELNS0_20block_scan_algorithmE0ELj4294967295EEENS1_25partition_config_selectorILNS1_17partition_subalgoE3EjNS0_10empty_typeEbEEZZNS1_14partition_implILS8_3ELb0ES6_jNS0_17counting_iteratorIjlEEPS9_SE_NS0_5tupleIJPjSE_EEENSF_IJSE_SE_EEES9_SG_JZNS1_25segmented_radix_sort_implINS0_14default_configELb0EPKlPlSM_SN_N2at6native12_GLOBAL__N_18offset_tEEE10hipError_tPvRmT1_PNSt15iterator_traitsISV_E10value_typeET2_T3_PNSW_IS11_E10value_typeET4_jRbjT5_S17_jjP12ihipStream_tbEUljE_EEESS_ST_SU_S11_S15_S17_T6_T7_T9_mT8_S19_bDpT10_ENKUlT_T0_E_clISt17integral_constantIbLb1EES1M_EEDaS1H_S1I_EUlS1H_E_NS1_11comp_targetILNS1_3genE2ELNS1_11target_archE906ELNS1_3gpuE6ELNS1_3repE0EEENS1_30default_config_static_selectorELNS0_4arch9wavefront6targetE0EEEvSV_
		.amdhsa_group_segment_fixed_size 0
		.amdhsa_private_segment_fixed_size 0
		.amdhsa_kernarg_size 152
		.amdhsa_user_sgpr_count 2
		.amdhsa_user_sgpr_dispatch_ptr 0
		.amdhsa_user_sgpr_queue_ptr 0
		.amdhsa_user_sgpr_kernarg_segment_ptr 1
		.amdhsa_user_sgpr_dispatch_id 0
		.amdhsa_user_sgpr_kernarg_preload_length 0
		.amdhsa_user_sgpr_kernarg_preload_offset 0
		.amdhsa_user_sgpr_private_segment_size 0
		.amdhsa_wavefront_size32 1
		.amdhsa_uses_dynamic_stack 0
		.amdhsa_enable_private_segment 0
		.amdhsa_system_sgpr_workgroup_id_x 1
		.amdhsa_system_sgpr_workgroup_id_y 0
		.amdhsa_system_sgpr_workgroup_id_z 0
		.amdhsa_system_sgpr_workgroup_info 0
		.amdhsa_system_vgpr_workitem_id 0
		.amdhsa_next_free_vgpr 1
		.amdhsa_next_free_sgpr 1
		.amdhsa_named_barrier_count 0
		.amdhsa_reserve_vcc 0
		.amdhsa_float_round_mode_32 0
		.amdhsa_float_round_mode_16_64 0
		.amdhsa_float_denorm_mode_32 3
		.amdhsa_float_denorm_mode_16_64 3
		.amdhsa_fp16_overflow 0
		.amdhsa_memory_ordered 1
		.amdhsa_forward_progress 1
		.amdhsa_inst_pref_size 0
		.amdhsa_round_robin_scheduling 0
		.amdhsa_exception_fp_ieee_invalid_op 0
		.amdhsa_exception_fp_denorm_src 0
		.amdhsa_exception_fp_ieee_div_zero 0
		.amdhsa_exception_fp_ieee_overflow 0
		.amdhsa_exception_fp_ieee_underflow 0
		.amdhsa_exception_fp_ieee_inexact 0
		.amdhsa_exception_int_div_zero 0
	.end_amdhsa_kernel
	.section	.text._ZN7rocprim17ROCPRIM_400000_NS6detail17trampoline_kernelINS0_13select_configILj256ELj13ELNS0_17block_load_methodE3ELS4_3ELS4_3ELNS0_20block_scan_algorithmE0ELj4294967295EEENS1_25partition_config_selectorILNS1_17partition_subalgoE3EjNS0_10empty_typeEbEEZZNS1_14partition_implILS8_3ELb0ES6_jNS0_17counting_iteratorIjlEEPS9_SE_NS0_5tupleIJPjSE_EEENSF_IJSE_SE_EEES9_SG_JZNS1_25segmented_radix_sort_implINS0_14default_configELb0EPKlPlSM_SN_N2at6native12_GLOBAL__N_18offset_tEEE10hipError_tPvRmT1_PNSt15iterator_traitsISV_E10value_typeET2_T3_PNSW_IS11_E10value_typeET4_jRbjT5_S17_jjP12ihipStream_tbEUljE_EEESS_ST_SU_S11_S15_S17_T6_T7_T9_mT8_S19_bDpT10_ENKUlT_T0_E_clISt17integral_constantIbLb1EES1M_EEDaS1H_S1I_EUlS1H_E_NS1_11comp_targetILNS1_3genE2ELNS1_11target_archE906ELNS1_3gpuE6ELNS1_3repE0EEENS1_30default_config_static_selectorELNS0_4arch9wavefront6targetE0EEEvSV_,"axG",@progbits,_ZN7rocprim17ROCPRIM_400000_NS6detail17trampoline_kernelINS0_13select_configILj256ELj13ELNS0_17block_load_methodE3ELS4_3ELS4_3ELNS0_20block_scan_algorithmE0ELj4294967295EEENS1_25partition_config_selectorILNS1_17partition_subalgoE3EjNS0_10empty_typeEbEEZZNS1_14partition_implILS8_3ELb0ES6_jNS0_17counting_iteratorIjlEEPS9_SE_NS0_5tupleIJPjSE_EEENSF_IJSE_SE_EEES9_SG_JZNS1_25segmented_radix_sort_implINS0_14default_configELb0EPKlPlSM_SN_N2at6native12_GLOBAL__N_18offset_tEEE10hipError_tPvRmT1_PNSt15iterator_traitsISV_E10value_typeET2_T3_PNSW_IS11_E10value_typeET4_jRbjT5_S17_jjP12ihipStream_tbEUljE_EEESS_ST_SU_S11_S15_S17_T6_T7_T9_mT8_S19_bDpT10_ENKUlT_T0_E_clISt17integral_constantIbLb1EES1M_EEDaS1H_S1I_EUlS1H_E_NS1_11comp_targetILNS1_3genE2ELNS1_11target_archE906ELNS1_3gpuE6ELNS1_3repE0EEENS1_30default_config_static_selectorELNS0_4arch9wavefront6targetE0EEEvSV_,comdat
.Lfunc_end783:
	.size	_ZN7rocprim17ROCPRIM_400000_NS6detail17trampoline_kernelINS0_13select_configILj256ELj13ELNS0_17block_load_methodE3ELS4_3ELS4_3ELNS0_20block_scan_algorithmE0ELj4294967295EEENS1_25partition_config_selectorILNS1_17partition_subalgoE3EjNS0_10empty_typeEbEEZZNS1_14partition_implILS8_3ELb0ES6_jNS0_17counting_iteratorIjlEEPS9_SE_NS0_5tupleIJPjSE_EEENSF_IJSE_SE_EEES9_SG_JZNS1_25segmented_radix_sort_implINS0_14default_configELb0EPKlPlSM_SN_N2at6native12_GLOBAL__N_18offset_tEEE10hipError_tPvRmT1_PNSt15iterator_traitsISV_E10value_typeET2_T3_PNSW_IS11_E10value_typeET4_jRbjT5_S17_jjP12ihipStream_tbEUljE_EEESS_ST_SU_S11_S15_S17_T6_T7_T9_mT8_S19_bDpT10_ENKUlT_T0_E_clISt17integral_constantIbLb1EES1M_EEDaS1H_S1I_EUlS1H_E_NS1_11comp_targetILNS1_3genE2ELNS1_11target_archE906ELNS1_3gpuE6ELNS1_3repE0EEENS1_30default_config_static_selectorELNS0_4arch9wavefront6targetE0EEEvSV_, .Lfunc_end783-_ZN7rocprim17ROCPRIM_400000_NS6detail17trampoline_kernelINS0_13select_configILj256ELj13ELNS0_17block_load_methodE3ELS4_3ELS4_3ELNS0_20block_scan_algorithmE0ELj4294967295EEENS1_25partition_config_selectorILNS1_17partition_subalgoE3EjNS0_10empty_typeEbEEZZNS1_14partition_implILS8_3ELb0ES6_jNS0_17counting_iteratorIjlEEPS9_SE_NS0_5tupleIJPjSE_EEENSF_IJSE_SE_EEES9_SG_JZNS1_25segmented_radix_sort_implINS0_14default_configELb0EPKlPlSM_SN_N2at6native12_GLOBAL__N_18offset_tEEE10hipError_tPvRmT1_PNSt15iterator_traitsISV_E10value_typeET2_T3_PNSW_IS11_E10value_typeET4_jRbjT5_S17_jjP12ihipStream_tbEUljE_EEESS_ST_SU_S11_S15_S17_T6_T7_T9_mT8_S19_bDpT10_ENKUlT_T0_E_clISt17integral_constantIbLb1EES1M_EEDaS1H_S1I_EUlS1H_E_NS1_11comp_targetILNS1_3genE2ELNS1_11target_archE906ELNS1_3gpuE6ELNS1_3repE0EEENS1_30default_config_static_selectorELNS0_4arch9wavefront6targetE0EEEvSV_
                                        ; -- End function
	.set _ZN7rocprim17ROCPRIM_400000_NS6detail17trampoline_kernelINS0_13select_configILj256ELj13ELNS0_17block_load_methodE3ELS4_3ELS4_3ELNS0_20block_scan_algorithmE0ELj4294967295EEENS1_25partition_config_selectorILNS1_17partition_subalgoE3EjNS0_10empty_typeEbEEZZNS1_14partition_implILS8_3ELb0ES6_jNS0_17counting_iteratorIjlEEPS9_SE_NS0_5tupleIJPjSE_EEENSF_IJSE_SE_EEES9_SG_JZNS1_25segmented_radix_sort_implINS0_14default_configELb0EPKlPlSM_SN_N2at6native12_GLOBAL__N_18offset_tEEE10hipError_tPvRmT1_PNSt15iterator_traitsISV_E10value_typeET2_T3_PNSW_IS11_E10value_typeET4_jRbjT5_S17_jjP12ihipStream_tbEUljE_EEESS_ST_SU_S11_S15_S17_T6_T7_T9_mT8_S19_bDpT10_ENKUlT_T0_E_clISt17integral_constantIbLb1EES1M_EEDaS1H_S1I_EUlS1H_E_NS1_11comp_targetILNS1_3genE2ELNS1_11target_archE906ELNS1_3gpuE6ELNS1_3repE0EEENS1_30default_config_static_selectorELNS0_4arch9wavefront6targetE0EEEvSV_.num_vgpr, 0
	.set _ZN7rocprim17ROCPRIM_400000_NS6detail17trampoline_kernelINS0_13select_configILj256ELj13ELNS0_17block_load_methodE3ELS4_3ELS4_3ELNS0_20block_scan_algorithmE0ELj4294967295EEENS1_25partition_config_selectorILNS1_17partition_subalgoE3EjNS0_10empty_typeEbEEZZNS1_14partition_implILS8_3ELb0ES6_jNS0_17counting_iteratorIjlEEPS9_SE_NS0_5tupleIJPjSE_EEENSF_IJSE_SE_EEES9_SG_JZNS1_25segmented_radix_sort_implINS0_14default_configELb0EPKlPlSM_SN_N2at6native12_GLOBAL__N_18offset_tEEE10hipError_tPvRmT1_PNSt15iterator_traitsISV_E10value_typeET2_T3_PNSW_IS11_E10value_typeET4_jRbjT5_S17_jjP12ihipStream_tbEUljE_EEESS_ST_SU_S11_S15_S17_T6_T7_T9_mT8_S19_bDpT10_ENKUlT_T0_E_clISt17integral_constantIbLb1EES1M_EEDaS1H_S1I_EUlS1H_E_NS1_11comp_targetILNS1_3genE2ELNS1_11target_archE906ELNS1_3gpuE6ELNS1_3repE0EEENS1_30default_config_static_selectorELNS0_4arch9wavefront6targetE0EEEvSV_.num_agpr, 0
	.set _ZN7rocprim17ROCPRIM_400000_NS6detail17trampoline_kernelINS0_13select_configILj256ELj13ELNS0_17block_load_methodE3ELS4_3ELS4_3ELNS0_20block_scan_algorithmE0ELj4294967295EEENS1_25partition_config_selectorILNS1_17partition_subalgoE3EjNS0_10empty_typeEbEEZZNS1_14partition_implILS8_3ELb0ES6_jNS0_17counting_iteratorIjlEEPS9_SE_NS0_5tupleIJPjSE_EEENSF_IJSE_SE_EEES9_SG_JZNS1_25segmented_radix_sort_implINS0_14default_configELb0EPKlPlSM_SN_N2at6native12_GLOBAL__N_18offset_tEEE10hipError_tPvRmT1_PNSt15iterator_traitsISV_E10value_typeET2_T3_PNSW_IS11_E10value_typeET4_jRbjT5_S17_jjP12ihipStream_tbEUljE_EEESS_ST_SU_S11_S15_S17_T6_T7_T9_mT8_S19_bDpT10_ENKUlT_T0_E_clISt17integral_constantIbLb1EES1M_EEDaS1H_S1I_EUlS1H_E_NS1_11comp_targetILNS1_3genE2ELNS1_11target_archE906ELNS1_3gpuE6ELNS1_3repE0EEENS1_30default_config_static_selectorELNS0_4arch9wavefront6targetE0EEEvSV_.numbered_sgpr, 0
	.set _ZN7rocprim17ROCPRIM_400000_NS6detail17trampoline_kernelINS0_13select_configILj256ELj13ELNS0_17block_load_methodE3ELS4_3ELS4_3ELNS0_20block_scan_algorithmE0ELj4294967295EEENS1_25partition_config_selectorILNS1_17partition_subalgoE3EjNS0_10empty_typeEbEEZZNS1_14partition_implILS8_3ELb0ES6_jNS0_17counting_iteratorIjlEEPS9_SE_NS0_5tupleIJPjSE_EEENSF_IJSE_SE_EEES9_SG_JZNS1_25segmented_radix_sort_implINS0_14default_configELb0EPKlPlSM_SN_N2at6native12_GLOBAL__N_18offset_tEEE10hipError_tPvRmT1_PNSt15iterator_traitsISV_E10value_typeET2_T3_PNSW_IS11_E10value_typeET4_jRbjT5_S17_jjP12ihipStream_tbEUljE_EEESS_ST_SU_S11_S15_S17_T6_T7_T9_mT8_S19_bDpT10_ENKUlT_T0_E_clISt17integral_constantIbLb1EES1M_EEDaS1H_S1I_EUlS1H_E_NS1_11comp_targetILNS1_3genE2ELNS1_11target_archE906ELNS1_3gpuE6ELNS1_3repE0EEENS1_30default_config_static_selectorELNS0_4arch9wavefront6targetE0EEEvSV_.num_named_barrier, 0
	.set _ZN7rocprim17ROCPRIM_400000_NS6detail17trampoline_kernelINS0_13select_configILj256ELj13ELNS0_17block_load_methodE3ELS4_3ELS4_3ELNS0_20block_scan_algorithmE0ELj4294967295EEENS1_25partition_config_selectorILNS1_17partition_subalgoE3EjNS0_10empty_typeEbEEZZNS1_14partition_implILS8_3ELb0ES6_jNS0_17counting_iteratorIjlEEPS9_SE_NS0_5tupleIJPjSE_EEENSF_IJSE_SE_EEES9_SG_JZNS1_25segmented_radix_sort_implINS0_14default_configELb0EPKlPlSM_SN_N2at6native12_GLOBAL__N_18offset_tEEE10hipError_tPvRmT1_PNSt15iterator_traitsISV_E10value_typeET2_T3_PNSW_IS11_E10value_typeET4_jRbjT5_S17_jjP12ihipStream_tbEUljE_EEESS_ST_SU_S11_S15_S17_T6_T7_T9_mT8_S19_bDpT10_ENKUlT_T0_E_clISt17integral_constantIbLb1EES1M_EEDaS1H_S1I_EUlS1H_E_NS1_11comp_targetILNS1_3genE2ELNS1_11target_archE906ELNS1_3gpuE6ELNS1_3repE0EEENS1_30default_config_static_selectorELNS0_4arch9wavefront6targetE0EEEvSV_.private_seg_size, 0
	.set _ZN7rocprim17ROCPRIM_400000_NS6detail17trampoline_kernelINS0_13select_configILj256ELj13ELNS0_17block_load_methodE3ELS4_3ELS4_3ELNS0_20block_scan_algorithmE0ELj4294967295EEENS1_25partition_config_selectorILNS1_17partition_subalgoE3EjNS0_10empty_typeEbEEZZNS1_14partition_implILS8_3ELb0ES6_jNS0_17counting_iteratorIjlEEPS9_SE_NS0_5tupleIJPjSE_EEENSF_IJSE_SE_EEES9_SG_JZNS1_25segmented_radix_sort_implINS0_14default_configELb0EPKlPlSM_SN_N2at6native12_GLOBAL__N_18offset_tEEE10hipError_tPvRmT1_PNSt15iterator_traitsISV_E10value_typeET2_T3_PNSW_IS11_E10value_typeET4_jRbjT5_S17_jjP12ihipStream_tbEUljE_EEESS_ST_SU_S11_S15_S17_T6_T7_T9_mT8_S19_bDpT10_ENKUlT_T0_E_clISt17integral_constantIbLb1EES1M_EEDaS1H_S1I_EUlS1H_E_NS1_11comp_targetILNS1_3genE2ELNS1_11target_archE906ELNS1_3gpuE6ELNS1_3repE0EEENS1_30default_config_static_selectorELNS0_4arch9wavefront6targetE0EEEvSV_.uses_vcc, 0
	.set _ZN7rocprim17ROCPRIM_400000_NS6detail17trampoline_kernelINS0_13select_configILj256ELj13ELNS0_17block_load_methodE3ELS4_3ELS4_3ELNS0_20block_scan_algorithmE0ELj4294967295EEENS1_25partition_config_selectorILNS1_17partition_subalgoE3EjNS0_10empty_typeEbEEZZNS1_14partition_implILS8_3ELb0ES6_jNS0_17counting_iteratorIjlEEPS9_SE_NS0_5tupleIJPjSE_EEENSF_IJSE_SE_EEES9_SG_JZNS1_25segmented_radix_sort_implINS0_14default_configELb0EPKlPlSM_SN_N2at6native12_GLOBAL__N_18offset_tEEE10hipError_tPvRmT1_PNSt15iterator_traitsISV_E10value_typeET2_T3_PNSW_IS11_E10value_typeET4_jRbjT5_S17_jjP12ihipStream_tbEUljE_EEESS_ST_SU_S11_S15_S17_T6_T7_T9_mT8_S19_bDpT10_ENKUlT_T0_E_clISt17integral_constantIbLb1EES1M_EEDaS1H_S1I_EUlS1H_E_NS1_11comp_targetILNS1_3genE2ELNS1_11target_archE906ELNS1_3gpuE6ELNS1_3repE0EEENS1_30default_config_static_selectorELNS0_4arch9wavefront6targetE0EEEvSV_.uses_flat_scratch, 0
	.set _ZN7rocprim17ROCPRIM_400000_NS6detail17trampoline_kernelINS0_13select_configILj256ELj13ELNS0_17block_load_methodE3ELS4_3ELS4_3ELNS0_20block_scan_algorithmE0ELj4294967295EEENS1_25partition_config_selectorILNS1_17partition_subalgoE3EjNS0_10empty_typeEbEEZZNS1_14partition_implILS8_3ELb0ES6_jNS0_17counting_iteratorIjlEEPS9_SE_NS0_5tupleIJPjSE_EEENSF_IJSE_SE_EEES9_SG_JZNS1_25segmented_radix_sort_implINS0_14default_configELb0EPKlPlSM_SN_N2at6native12_GLOBAL__N_18offset_tEEE10hipError_tPvRmT1_PNSt15iterator_traitsISV_E10value_typeET2_T3_PNSW_IS11_E10value_typeET4_jRbjT5_S17_jjP12ihipStream_tbEUljE_EEESS_ST_SU_S11_S15_S17_T6_T7_T9_mT8_S19_bDpT10_ENKUlT_T0_E_clISt17integral_constantIbLb1EES1M_EEDaS1H_S1I_EUlS1H_E_NS1_11comp_targetILNS1_3genE2ELNS1_11target_archE906ELNS1_3gpuE6ELNS1_3repE0EEENS1_30default_config_static_selectorELNS0_4arch9wavefront6targetE0EEEvSV_.has_dyn_sized_stack, 0
	.set _ZN7rocprim17ROCPRIM_400000_NS6detail17trampoline_kernelINS0_13select_configILj256ELj13ELNS0_17block_load_methodE3ELS4_3ELS4_3ELNS0_20block_scan_algorithmE0ELj4294967295EEENS1_25partition_config_selectorILNS1_17partition_subalgoE3EjNS0_10empty_typeEbEEZZNS1_14partition_implILS8_3ELb0ES6_jNS0_17counting_iteratorIjlEEPS9_SE_NS0_5tupleIJPjSE_EEENSF_IJSE_SE_EEES9_SG_JZNS1_25segmented_radix_sort_implINS0_14default_configELb0EPKlPlSM_SN_N2at6native12_GLOBAL__N_18offset_tEEE10hipError_tPvRmT1_PNSt15iterator_traitsISV_E10value_typeET2_T3_PNSW_IS11_E10value_typeET4_jRbjT5_S17_jjP12ihipStream_tbEUljE_EEESS_ST_SU_S11_S15_S17_T6_T7_T9_mT8_S19_bDpT10_ENKUlT_T0_E_clISt17integral_constantIbLb1EES1M_EEDaS1H_S1I_EUlS1H_E_NS1_11comp_targetILNS1_3genE2ELNS1_11target_archE906ELNS1_3gpuE6ELNS1_3repE0EEENS1_30default_config_static_selectorELNS0_4arch9wavefront6targetE0EEEvSV_.has_recursion, 0
	.set _ZN7rocprim17ROCPRIM_400000_NS6detail17trampoline_kernelINS0_13select_configILj256ELj13ELNS0_17block_load_methodE3ELS4_3ELS4_3ELNS0_20block_scan_algorithmE0ELj4294967295EEENS1_25partition_config_selectorILNS1_17partition_subalgoE3EjNS0_10empty_typeEbEEZZNS1_14partition_implILS8_3ELb0ES6_jNS0_17counting_iteratorIjlEEPS9_SE_NS0_5tupleIJPjSE_EEENSF_IJSE_SE_EEES9_SG_JZNS1_25segmented_radix_sort_implINS0_14default_configELb0EPKlPlSM_SN_N2at6native12_GLOBAL__N_18offset_tEEE10hipError_tPvRmT1_PNSt15iterator_traitsISV_E10value_typeET2_T3_PNSW_IS11_E10value_typeET4_jRbjT5_S17_jjP12ihipStream_tbEUljE_EEESS_ST_SU_S11_S15_S17_T6_T7_T9_mT8_S19_bDpT10_ENKUlT_T0_E_clISt17integral_constantIbLb1EES1M_EEDaS1H_S1I_EUlS1H_E_NS1_11comp_targetILNS1_3genE2ELNS1_11target_archE906ELNS1_3gpuE6ELNS1_3repE0EEENS1_30default_config_static_selectorELNS0_4arch9wavefront6targetE0EEEvSV_.has_indirect_call, 0
	.section	.AMDGPU.csdata,"",@progbits
; Kernel info:
; codeLenInByte = 0
; TotalNumSgprs: 0
; NumVgprs: 0
; ScratchSize: 0
; MemoryBound: 0
; FloatMode: 240
; IeeeMode: 1
; LDSByteSize: 0 bytes/workgroup (compile time only)
; SGPRBlocks: 0
; VGPRBlocks: 0
; NumSGPRsForWavesPerEU: 1
; NumVGPRsForWavesPerEU: 1
; NamedBarCnt: 0
; Occupancy: 16
; WaveLimiterHint : 0
; COMPUTE_PGM_RSRC2:SCRATCH_EN: 0
; COMPUTE_PGM_RSRC2:USER_SGPR: 2
; COMPUTE_PGM_RSRC2:TRAP_HANDLER: 0
; COMPUTE_PGM_RSRC2:TGID_X_EN: 1
; COMPUTE_PGM_RSRC2:TGID_Y_EN: 0
; COMPUTE_PGM_RSRC2:TGID_Z_EN: 0
; COMPUTE_PGM_RSRC2:TIDIG_COMP_CNT: 0
	.section	.text._ZN7rocprim17ROCPRIM_400000_NS6detail17trampoline_kernelINS0_13select_configILj256ELj13ELNS0_17block_load_methodE3ELS4_3ELS4_3ELNS0_20block_scan_algorithmE0ELj4294967295EEENS1_25partition_config_selectorILNS1_17partition_subalgoE3EjNS0_10empty_typeEbEEZZNS1_14partition_implILS8_3ELb0ES6_jNS0_17counting_iteratorIjlEEPS9_SE_NS0_5tupleIJPjSE_EEENSF_IJSE_SE_EEES9_SG_JZNS1_25segmented_radix_sort_implINS0_14default_configELb0EPKlPlSM_SN_N2at6native12_GLOBAL__N_18offset_tEEE10hipError_tPvRmT1_PNSt15iterator_traitsISV_E10value_typeET2_T3_PNSW_IS11_E10value_typeET4_jRbjT5_S17_jjP12ihipStream_tbEUljE_EEESS_ST_SU_S11_S15_S17_T6_T7_T9_mT8_S19_bDpT10_ENKUlT_T0_E_clISt17integral_constantIbLb1EES1M_EEDaS1H_S1I_EUlS1H_E_NS1_11comp_targetILNS1_3genE10ELNS1_11target_archE1200ELNS1_3gpuE4ELNS1_3repE0EEENS1_30default_config_static_selectorELNS0_4arch9wavefront6targetE0EEEvSV_,"axG",@progbits,_ZN7rocprim17ROCPRIM_400000_NS6detail17trampoline_kernelINS0_13select_configILj256ELj13ELNS0_17block_load_methodE3ELS4_3ELS4_3ELNS0_20block_scan_algorithmE0ELj4294967295EEENS1_25partition_config_selectorILNS1_17partition_subalgoE3EjNS0_10empty_typeEbEEZZNS1_14partition_implILS8_3ELb0ES6_jNS0_17counting_iteratorIjlEEPS9_SE_NS0_5tupleIJPjSE_EEENSF_IJSE_SE_EEES9_SG_JZNS1_25segmented_radix_sort_implINS0_14default_configELb0EPKlPlSM_SN_N2at6native12_GLOBAL__N_18offset_tEEE10hipError_tPvRmT1_PNSt15iterator_traitsISV_E10value_typeET2_T3_PNSW_IS11_E10value_typeET4_jRbjT5_S17_jjP12ihipStream_tbEUljE_EEESS_ST_SU_S11_S15_S17_T6_T7_T9_mT8_S19_bDpT10_ENKUlT_T0_E_clISt17integral_constantIbLb1EES1M_EEDaS1H_S1I_EUlS1H_E_NS1_11comp_targetILNS1_3genE10ELNS1_11target_archE1200ELNS1_3gpuE4ELNS1_3repE0EEENS1_30default_config_static_selectorELNS0_4arch9wavefront6targetE0EEEvSV_,comdat
	.globl	_ZN7rocprim17ROCPRIM_400000_NS6detail17trampoline_kernelINS0_13select_configILj256ELj13ELNS0_17block_load_methodE3ELS4_3ELS4_3ELNS0_20block_scan_algorithmE0ELj4294967295EEENS1_25partition_config_selectorILNS1_17partition_subalgoE3EjNS0_10empty_typeEbEEZZNS1_14partition_implILS8_3ELb0ES6_jNS0_17counting_iteratorIjlEEPS9_SE_NS0_5tupleIJPjSE_EEENSF_IJSE_SE_EEES9_SG_JZNS1_25segmented_radix_sort_implINS0_14default_configELb0EPKlPlSM_SN_N2at6native12_GLOBAL__N_18offset_tEEE10hipError_tPvRmT1_PNSt15iterator_traitsISV_E10value_typeET2_T3_PNSW_IS11_E10value_typeET4_jRbjT5_S17_jjP12ihipStream_tbEUljE_EEESS_ST_SU_S11_S15_S17_T6_T7_T9_mT8_S19_bDpT10_ENKUlT_T0_E_clISt17integral_constantIbLb1EES1M_EEDaS1H_S1I_EUlS1H_E_NS1_11comp_targetILNS1_3genE10ELNS1_11target_archE1200ELNS1_3gpuE4ELNS1_3repE0EEENS1_30default_config_static_selectorELNS0_4arch9wavefront6targetE0EEEvSV_ ; -- Begin function _ZN7rocprim17ROCPRIM_400000_NS6detail17trampoline_kernelINS0_13select_configILj256ELj13ELNS0_17block_load_methodE3ELS4_3ELS4_3ELNS0_20block_scan_algorithmE0ELj4294967295EEENS1_25partition_config_selectorILNS1_17partition_subalgoE3EjNS0_10empty_typeEbEEZZNS1_14partition_implILS8_3ELb0ES6_jNS0_17counting_iteratorIjlEEPS9_SE_NS0_5tupleIJPjSE_EEENSF_IJSE_SE_EEES9_SG_JZNS1_25segmented_radix_sort_implINS0_14default_configELb0EPKlPlSM_SN_N2at6native12_GLOBAL__N_18offset_tEEE10hipError_tPvRmT1_PNSt15iterator_traitsISV_E10value_typeET2_T3_PNSW_IS11_E10value_typeET4_jRbjT5_S17_jjP12ihipStream_tbEUljE_EEESS_ST_SU_S11_S15_S17_T6_T7_T9_mT8_S19_bDpT10_ENKUlT_T0_E_clISt17integral_constantIbLb1EES1M_EEDaS1H_S1I_EUlS1H_E_NS1_11comp_targetILNS1_3genE10ELNS1_11target_archE1200ELNS1_3gpuE4ELNS1_3repE0EEENS1_30default_config_static_selectorELNS0_4arch9wavefront6targetE0EEEvSV_
	.p2align	8
	.type	_ZN7rocprim17ROCPRIM_400000_NS6detail17trampoline_kernelINS0_13select_configILj256ELj13ELNS0_17block_load_methodE3ELS4_3ELS4_3ELNS0_20block_scan_algorithmE0ELj4294967295EEENS1_25partition_config_selectorILNS1_17partition_subalgoE3EjNS0_10empty_typeEbEEZZNS1_14partition_implILS8_3ELb0ES6_jNS0_17counting_iteratorIjlEEPS9_SE_NS0_5tupleIJPjSE_EEENSF_IJSE_SE_EEES9_SG_JZNS1_25segmented_radix_sort_implINS0_14default_configELb0EPKlPlSM_SN_N2at6native12_GLOBAL__N_18offset_tEEE10hipError_tPvRmT1_PNSt15iterator_traitsISV_E10value_typeET2_T3_PNSW_IS11_E10value_typeET4_jRbjT5_S17_jjP12ihipStream_tbEUljE_EEESS_ST_SU_S11_S15_S17_T6_T7_T9_mT8_S19_bDpT10_ENKUlT_T0_E_clISt17integral_constantIbLb1EES1M_EEDaS1H_S1I_EUlS1H_E_NS1_11comp_targetILNS1_3genE10ELNS1_11target_archE1200ELNS1_3gpuE4ELNS1_3repE0EEENS1_30default_config_static_selectorELNS0_4arch9wavefront6targetE0EEEvSV_,@function
_ZN7rocprim17ROCPRIM_400000_NS6detail17trampoline_kernelINS0_13select_configILj256ELj13ELNS0_17block_load_methodE3ELS4_3ELS4_3ELNS0_20block_scan_algorithmE0ELj4294967295EEENS1_25partition_config_selectorILNS1_17partition_subalgoE3EjNS0_10empty_typeEbEEZZNS1_14partition_implILS8_3ELb0ES6_jNS0_17counting_iteratorIjlEEPS9_SE_NS0_5tupleIJPjSE_EEENSF_IJSE_SE_EEES9_SG_JZNS1_25segmented_radix_sort_implINS0_14default_configELb0EPKlPlSM_SN_N2at6native12_GLOBAL__N_18offset_tEEE10hipError_tPvRmT1_PNSt15iterator_traitsISV_E10value_typeET2_T3_PNSW_IS11_E10value_typeET4_jRbjT5_S17_jjP12ihipStream_tbEUljE_EEESS_ST_SU_S11_S15_S17_T6_T7_T9_mT8_S19_bDpT10_ENKUlT_T0_E_clISt17integral_constantIbLb1EES1M_EEDaS1H_S1I_EUlS1H_E_NS1_11comp_targetILNS1_3genE10ELNS1_11target_archE1200ELNS1_3gpuE4ELNS1_3repE0EEENS1_30default_config_static_selectorELNS0_4arch9wavefront6targetE0EEEvSV_: ; @_ZN7rocprim17ROCPRIM_400000_NS6detail17trampoline_kernelINS0_13select_configILj256ELj13ELNS0_17block_load_methodE3ELS4_3ELS4_3ELNS0_20block_scan_algorithmE0ELj4294967295EEENS1_25partition_config_selectorILNS1_17partition_subalgoE3EjNS0_10empty_typeEbEEZZNS1_14partition_implILS8_3ELb0ES6_jNS0_17counting_iteratorIjlEEPS9_SE_NS0_5tupleIJPjSE_EEENSF_IJSE_SE_EEES9_SG_JZNS1_25segmented_radix_sort_implINS0_14default_configELb0EPKlPlSM_SN_N2at6native12_GLOBAL__N_18offset_tEEE10hipError_tPvRmT1_PNSt15iterator_traitsISV_E10value_typeET2_T3_PNSW_IS11_E10value_typeET4_jRbjT5_S17_jjP12ihipStream_tbEUljE_EEESS_ST_SU_S11_S15_S17_T6_T7_T9_mT8_S19_bDpT10_ENKUlT_T0_E_clISt17integral_constantIbLb1EES1M_EEDaS1H_S1I_EUlS1H_E_NS1_11comp_targetILNS1_3genE10ELNS1_11target_archE1200ELNS1_3gpuE4ELNS1_3repE0EEENS1_30default_config_static_selectorELNS0_4arch9wavefront6targetE0EEEvSV_
; %bb.0:
	.section	.rodata,"a",@progbits
	.p2align	6, 0x0
	.amdhsa_kernel _ZN7rocprim17ROCPRIM_400000_NS6detail17trampoline_kernelINS0_13select_configILj256ELj13ELNS0_17block_load_methodE3ELS4_3ELS4_3ELNS0_20block_scan_algorithmE0ELj4294967295EEENS1_25partition_config_selectorILNS1_17partition_subalgoE3EjNS0_10empty_typeEbEEZZNS1_14partition_implILS8_3ELb0ES6_jNS0_17counting_iteratorIjlEEPS9_SE_NS0_5tupleIJPjSE_EEENSF_IJSE_SE_EEES9_SG_JZNS1_25segmented_radix_sort_implINS0_14default_configELb0EPKlPlSM_SN_N2at6native12_GLOBAL__N_18offset_tEEE10hipError_tPvRmT1_PNSt15iterator_traitsISV_E10value_typeET2_T3_PNSW_IS11_E10value_typeET4_jRbjT5_S17_jjP12ihipStream_tbEUljE_EEESS_ST_SU_S11_S15_S17_T6_T7_T9_mT8_S19_bDpT10_ENKUlT_T0_E_clISt17integral_constantIbLb1EES1M_EEDaS1H_S1I_EUlS1H_E_NS1_11comp_targetILNS1_3genE10ELNS1_11target_archE1200ELNS1_3gpuE4ELNS1_3repE0EEENS1_30default_config_static_selectorELNS0_4arch9wavefront6targetE0EEEvSV_
		.amdhsa_group_segment_fixed_size 0
		.amdhsa_private_segment_fixed_size 0
		.amdhsa_kernarg_size 152
		.amdhsa_user_sgpr_count 2
		.amdhsa_user_sgpr_dispatch_ptr 0
		.amdhsa_user_sgpr_queue_ptr 0
		.amdhsa_user_sgpr_kernarg_segment_ptr 1
		.amdhsa_user_sgpr_dispatch_id 0
		.amdhsa_user_sgpr_kernarg_preload_length 0
		.amdhsa_user_sgpr_kernarg_preload_offset 0
		.amdhsa_user_sgpr_private_segment_size 0
		.amdhsa_wavefront_size32 1
		.amdhsa_uses_dynamic_stack 0
		.amdhsa_enable_private_segment 0
		.amdhsa_system_sgpr_workgroup_id_x 1
		.amdhsa_system_sgpr_workgroup_id_y 0
		.amdhsa_system_sgpr_workgroup_id_z 0
		.amdhsa_system_sgpr_workgroup_info 0
		.amdhsa_system_vgpr_workitem_id 0
		.amdhsa_next_free_vgpr 1
		.amdhsa_next_free_sgpr 1
		.amdhsa_named_barrier_count 0
		.amdhsa_reserve_vcc 0
		.amdhsa_float_round_mode_32 0
		.amdhsa_float_round_mode_16_64 0
		.amdhsa_float_denorm_mode_32 3
		.amdhsa_float_denorm_mode_16_64 3
		.amdhsa_fp16_overflow 0
		.amdhsa_memory_ordered 1
		.amdhsa_forward_progress 1
		.amdhsa_inst_pref_size 0
		.amdhsa_round_robin_scheduling 0
		.amdhsa_exception_fp_ieee_invalid_op 0
		.amdhsa_exception_fp_denorm_src 0
		.amdhsa_exception_fp_ieee_div_zero 0
		.amdhsa_exception_fp_ieee_overflow 0
		.amdhsa_exception_fp_ieee_underflow 0
		.amdhsa_exception_fp_ieee_inexact 0
		.amdhsa_exception_int_div_zero 0
	.end_amdhsa_kernel
	.section	.text._ZN7rocprim17ROCPRIM_400000_NS6detail17trampoline_kernelINS0_13select_configILj256ELj13ELNS0_17block_load_methodE3ELS4_3ELS4_3ELNS0_20block_scan_algorithmE0ELj4294967295EEENS1_25partition_config_selectorILNS1_17partition_subalgoE3EjNS0_10empty_typeEbEEZZNS1_14partition_implILS8_3ELb0ES6_jNS0_17counting_iteratorIjlEEPS9_SE_NS0_5tupleIJPjSE_EEENSF_IJSE_SE_EEES9_SG_JZNS1_25segmented_radix_sort_implINS0_14default_configELb0EPKlPlSM_SN_N2at6native12_GLOBAL__N_18offset_tEEE10hipError_tPvRmT1_PNSt15iterator_traitsISV_E10value_typeET2_T3_PNSW_IS11_E10value_typeET4_jRbjT5_S17_jjP12ihipStream_tbEUljE_EEESS_ST_SU_S11_S15_S17_T6_T7_T9_mT8_S19_bDpT10_ENKUlT_T0_E_clISt17integral_constantIbLb1EES1M_EEDaS1H_S1I_EUlS1H_E_NS1_11comp_targetILNS1_3genE10ELNS1_11target_archE1200ELNS1_3gpuE4ELNS1_3repE0EEENS1_30default_config_static_selectorELNS0_4arch9wavefront6targetE0EEEvSV_,"axG",@progbits,_ZN7rocprim17ROCPRIM_400000_NS6detail17trampoline_kernelINS0_13select_configILj256ELj13ELNS0_17block_load_methodE3ELS4_3ELS4_3ELNS0_20block_scan_algorithmE0ELj4294967295EEENS1_25partition_config_selectorILNS1_17partition_subalgoE3EjNS0_10empty_typeEbEEZZNS1_14partition_implILS8_3ELb0ES6_jNS0_17counting_iteratorIjlEEPS9_SE_NS0_5tupleIJPjSE_EEENSF_IJSE_SE_EEES9_SG_JZNS1_25segmented_radix_sort_implINS0_14default_configELb0EPKlPlSM_SN_N2at6native12_GLOBAL__N_18offset_tEEE10hipError_tPvRmT1_PNSt15iterator_traitsISV_E10value_typeET2_T3_PNSW_IS11_E10value_typeET4_jRbjT5_S17_jjP12ihipStream_tbEUljE_EEESS_ST_SU_S11_S15_S17_T6_T7_T9_mT8_S19_bDpT10_ENKUlT_T0_E_clISt17integral_constantIbLb1EES1M_EEDaS1H_S1I_EUlS1H_E_NS1_11comp_targetILNS1_3genE10ELNS1_11target_archE1200ELNS1_3gpuE4ELNS1_3repE0EEENS1_30default_config_static_selectorELNS0_4arch9wavefront6targetE0EEEvSV_,comdat
.Lfunc_end784:
	.size	_ZN7rocprim17ROCPRIM_400000_NS6detail17trampoline_kernelINS0_13select_configILj256ELj13ELNS0_17block_load_methodE3ELS4_3ELS4_3ELNS0_20block_scan_algorithmE0ELj4294967295EEENS1_25partition_config_selectorILNS1_17partition_subalgoE3EjNS0_10empty_typeEbEEZZNS1_14partition_implILS8_3ELb0ES6_jNS0_17counting_iteratorIjlEEPS9_SE_NS0_5tupleIJPjSE_EEENSF_IJSE_SE_EEES9_SG_JZNS1_25segmented_radix_sort_implINS0_14default_configELb0EPKlPlSM_SN_N2at6native12_GLOBAL__N_18offset_tEEE10hipError_tPvRmT1_PNSt15iterator_traitsISV_E10value_typeET2_T3_PNSW_IS11_E10value_typeET4_jRbjT5_S17_jjP12ihipStream_tbEUljE_EEESS_ST_SU_S11_S15_S17_T6_T7_T9_mT8_S19_bDpT10_ENKUlT_T0_E_clISt17integral_constantIbLb1EES1M_EEDaS1H_S1I_EUlS1H_E_NS1_11comp_targetILNS1_3genE10ELNS1_11target_archE1200ELNS1_3gpuE4ELNS1_3repE0EEENS1_30default_config_static_selectorELNS0_4arch9wavefront6targetE0EEEvSV_, .Lfunc_end784-_ZN7rocprim17ROCPRIM_400000_NS6detail17trampoline_kernelINS0_13select_configILj256ELj13ELNS0_17block_load_methodE3ELS4_3ELS4_3ELNS0_20block_scan_algorithmE0ELj4294967295EEENS1_25partition_config_selectorILNS1_17partition_subalgoE3EjNS0_10empty_typeEbEEZZNS1_14partition_implILS8_3ELb0ES6_jNS0_17counting_iteratorIjlEEPS9_SE_NS0_5tupleIJPjSE_EEENSF_IJSE_SE_EEES9_SG_JZNS1_25segmented_radix_sort_implINS0_14default_configELb0EPKlPlSM_SN_N2at6native12_GLOBAL__N_18offset_tEEE10hipError_tPvRmT1_PNSt15iterator_traitsISV_E10value_typeET2_T3_PNSW_IS11_E10value_typeET4_jRbjT5_S17_jjP12ihipStream_tbEUljE_EEESS_ST_SU_S11_S15_S17_T6_T7_T9_mT8_S19_bDpT10_ENKUlT_T0_E_clISt17integral_constantIbLb1EES1M_EEDaS1H_S1I_EUlS1H_E_NS1_11comp_targetILNS1_3genE10ELNS1_11target_archE1200ELNS1_3gpuE4ELNS1_3repE0EEENS1_30default_config_static_selectorELNS0_4arch9wavefront6targetE0EEEvSV_
                                        ; -- End function
	.set _ZN7rocprim17ROCPRIM_400000_NS6detail17trampoline_kernelINS0_13select_configILj256ELj13ELNS0_17block_load_methodE3ELS4_3ELS4_3ELNS0_20block_scan_algorithmE0ELj4294967295EEENS1_25partition_config_selectorILNS1_17partition_subalgoE3EjNS0_10empty_typeEbEEZZNS1_14partition_implILS8_3ELb0ES6_jNS0_17counting_iteratorIjlEEPS9_SE_NS0_5tupleIJPjSE_EEENSF_IJSE_SE_EEES9_SG_JZNS1_25segmented_radix_sort_implINS0_14default_configELb0EPKlPlSM_SN_N2at6native12_GLOBAL__N_18offset_tEEE10hipError_tPvRmT1_PNSt15iterator_traitsISV_E10value_typeET2_T3_PNSW_IS11_E10value_typeET4_jRbjT5_S17_jjP12ihipStream_tbEUljE_EEESS_ST_SU_S11_S15_S17_T6_T7_T9_mT8_S19_bDpT10_ENKUlT_T0_E_clISt17integral_constantIbLb1EES1M_EEDaS1H_S1I_EUlS1H_E_NS1_11comp_targetILNS1_3genE10ELNS1_11target_archE1200ELNS1_3gpuE4ELNS1_3repE0EEENS1_30default_config_static_selectorELNS0_4arch9wavefront6targetE0EEEvSV_.num_vgpr, 0
	.set _ZN7rocprim17ROCPRIM_400000_NS6detail17trampoline_kernelINS0_13select_configILj256ELj13ELNS0_17block_load_methodE3ELS4_3ELS4_3ELNS0_20block_scan_algorithmE0ELj4294967295EEENS1_25partition_config_selectorILNS1_17partition_subalgoE3EjNS0_10empty_typeEbEEZZNS1_14partition_implILS8_3ELb0ES6_jNS0_17counting_iteratorIjlEEPS9_SE_NS0_5tupleIJPjSE_EEENSF_IJSE_SE_EEES9_SG_JZNS1_25segmented_radix_sort_implINS0_14default_configELb0EPKlPlSM_SN_N2at6native12_GLOBAL__N_18offset_tEEE10hipError_tPvRmT1_PNSt15iterator_traitsISV_E10value_typeET2_T3_PNSW_IS11_E10value_typeET4_jRbjT5_S17_jjP12ihipStream_tbEUljE_EEESS_ST_SU_S11_S15_S17_T6_T7_T9_mT8_S19_bDpT10_ENKUlT_T0_E_clISt17integral_constantIbLb1EES1M_EEDaS1H_S1I_EUlS1H_E_NS1_11comp_targetILNS1_3genE10ELNS1_11target_archE1200ELNS1_3gpuE4ELNS1_3repE0EEENS1_30default_config_static_selectorELNS0_4arch9wavefront6targetE0EEEvSV_.num_agpr, 0
	.set _ZN7rocprim17ROCPRIM_400000_NS6detail17trampoline_kernelINS0_13select_configILj256ELj13ELNS0_17block_load_methodE3ELS4_3ELS4_3ELNS0_20block_scan_algorithmE0ELj4294967295EEENS1_25partition_config_selectorILNS1_17partition_subalgoE3EjNS0_10empty_typeEbEEZZNS1_14partition_implILS8_3ELb0ES6_jNS0_17counting_iteratorIjlEEPS9_SE_NS0_5tupleIJPjSE_EEENSF_IJSE_SE_EEES9_SG_JZNS1_25segmented_radix_sort_implINS0_14default_configELb0EPKlPlSM_SN_N2at6native12_GLOBAL__N_18offset_tEEE10hipError_tPvRmT1_PNSt15iterator_traitsISV_E10value_typeET2_T3_PNSW_IS11_E10value_typeET4_jRbjT5_S17_jjP12ihipStream_tbEUljE_EEESS_ST_SU_S11_S15_S17_T6_T7_T9_mT8_S19_bDpT10_ENKUlT_T0_E_clISt17integral_constantIbLb1EES1M_EEDaS1H_S1I_EUlS1H_E_NS1_11comp_targetILNS1_3genE10ELNS1_11target_archE1200ELNS1_3gpuE4ELNS1_3repE0EEENS1_30default_config_static_selectorELNS0_4arch9wavefront6targetE0EEEvSV_.numbered_sgpr, 0
	.set _ZN7rocprim17ROCPRIM_400000_NS6detail17trampoline_kernelINS0_13select_configILj256ELj13ELNS0_17block_load_methodE3ELS4_3ELS4_3ELNS0_20block_scan_algorithmE0ELj4294967295EEENS1_25partition_config_selectorILNS1_17partition_subalgoE3EjNS0_10empty_typeEbEEZZNS1_14partition_implILS8_3ELb0ES6_jNS0_17counting_iteratorIjlEEPS9_SE_NS0_5tupleIJPjSE_EEENSF_IJSE_SE_EEES9_SG_JZNS1_25segmented_radix_sort_implINS0_14default_configELb0EPKlPlSM_SN_N2at6native12_GLOBAL__N_18offset_tEEE10hipError_tPvRmT1_PNSt15iterator_traitsISV_E10value_typeET2_T3_PNSW_IS11_E10value_typeET4_jRbjT5_S17_jjP12ihipStream_tbEUljE_EEESS_ST_SU_S11_S15_S17_T6_T7_T9_mT8_S19_bDpT10_ENKUlT_T0_E_clISt17integral_constantIbLb1EES1M_EEDaS1H_S1I_EUlS1H_E_NS1_11comp_targetILNS1_3genE10ELNS1_11target_archE1200ELNS1_3gpuE4ELNS1_3repE0EEENS1_30default_config_static_selectorELNS0_4arch9wavefront6targetE0EEEvSV_.num_named_barrier, 0
	.set _ZN7rocprim17ROCPRIM_400000_NS6detail17trampoline_kernelINS0_13select_configILj256ELj13ELNS0_17block_load_methodE3ELS4_3ELS4_3ELNS0_20block_scan_algorithmE0ELj4294967295EEENS1_25partition_config_selectorILNS1_17partition_subalgoE3EjNS0_10empty_typeEbEEZZNS1_14partition_implILS8_3ELb0ES6_jNS0_17counting_iteratorIjlEEPS9_SE_NS0_5tupleIJPjSE_EEENSF_IJSE_SE_EEES9_SG_JZNS1_25segmented_radix_sort_implINS0_14default_configELb0EPKlPlSM_SN_N2at6native12_GLOBAL__N_18offset_tEEE10hipError_tPvRmT1_PNSt15iterator_traitsISV_E10value_typeET2_T3_PNSW_IS11_E10value_typeET4_jRbjT5_S17_jjP12ihipStream_tbEUljE_EEESS_ST_SU_S11_S15_S17_T6_T7_T9_mT8_S19_bDpT10_ENKUlT_T0_E_clISt17integral_constantIbLb1EES1M_EEDaS1H_S1I_EUlS1H_E_NS1_11comp_targetILNS1_3genE10ELNS1_11target_archE1200ELNS1_3gpuE4ELNS1_3repE0EEENS1_30default_config_static_selectorELNS0_4arch9wavefront6targetE0EEEvSV_.private_seg_size, 0
	.set _ZN7rocprim17ROCPRIM_400000_NS6detail17trampoline_kernelINS0_13select_configILj256ELj13ELNS0_17block_load_methodE3ELS4_3ELS4_3ELNS0_20block_scan_algorithmE0ELj4294967295EEENS1_25partition_config_selectorILNS1_17partition_subalgoE3EjNS0_10empty_typeEbEEZZNS1_14partition_implILS8_3ELb0ES6_jNS0_17counting_iteratorIjlEEPS9_SE_NS0_5tupleIJPjSE_EEENSF_IJSE_SE_EEES9_SG_JZNS1_25segmented_radix_sort_implINS0_14default_configELb0EPKlPlSM_SN_N2at6native12_GLOBAL__N_18offset_tEEE10hipError_tPvRmT1_PNSt15iterator_traitsISV_E10value_typeET2_T3_PNSW_IS11_E10value_typeET4_jRbjT5_S17_jjP12ihipStream_tbEUljE_EEESS_ST_SU_S11_S15_S17_T6_T7_T9_mT8_S19_bDpT10_ENKUlT_T0_E_clISt17integral_constantIbLb1EES1M_EEDaS1H_S1I_EUlS1H_E_NS1_11comp_targetILNS1_3genE10ELNS1_11target_archE1200ELNS1_3gpuE4ELNS1_3repE0EEENS1_30default_config_static_selectorELNS0_4arch9wavefront6targetE0EEEvSV_.uses_vcc, 0
	.set _ZN7rocprim17ROCPRIM_400000_NS6detail17trampoline_kernelINS0_13select_configILj256ELj13ELNS0_17block_load_methodE3ELS4_3ELS4_3ELNS0_20block_scan_algorithmE0ELj4294967295EEENS1_25partition_config_selectorILNS1_17partition_subalgoE3EjNS0_10empty_typeEbEEZZNS1_14partition_implILS8_3ELb0ES6_jNS0_17counting_iteratorIjlEEPS9_SE_NS0_5tupleIJPjSE_EEENSF_IJSE_SE_EEES9_SG_JZNS1_25segmented_radix_sort_implINS0_14default_configELb0EPKlPlSM_SN_N2at6native12_GLOBAL__N_18offset_tEEE10hipError_tPvRmT1_PNSt15iterator_traitsISV_E10value_typeET2_T3_PNSW_IS11_E10value_typeET4_jRbjT5_S17_jjP12ihipStream_tbEUljE_EEESS_ST_SU_S11_S15_S17_T6_T7_T9_mT8_S19_bDpT10_ENKUlT_T0_E_clISt17integral_constantIbLb1EES1M_EEDaS1H_S1I_EUlS1H_E_NS1_11comp_targetILNS1_3genE10ELNS1_11target_archE1200ELNS1_3gpuE4ELNS1_3repE0EEENS1_30default_config_static_selectorELNS0_4arch9wavefront6targetE0EEEvSV_.uses_flat_scratch, 0
	.set _ZN7rocprim17ROCPRIM_400000_NS6detail17trampoline_kernelINS0_13select_configILj256ELj13ELNS0_17block_load_methodE3ELS4_3ELS4_3ELNS0_20block_scan_algorithmE0ELj4294967295EEENS1_25partition_config_selectorILNS1_17partition_subalgoE3EjNS0_10empty_typeEbEEZZNS1_14partition_implILS8_3ELb0ES6_jNS0_17counting_iteratorIjlEEPS9_SE_NS0_5tupleIJPjSE_EEENSF_IJSE_SE_EEES9_SG_JZNS1_25segmented_radix_sort_implINS0_14default_configELb0EPKlPlSM_SN_N2at6native12_GLOBAL__N_18offset_tEEE10hipError_tPvRmT1_PNSt15iterator_traitsISV_E10value_typeET2_T3_PNSW_IS11_E10value_typeET4_jRbjT5_S17_jjP12ihipStream_tbEUljE_EEESS_ST_SU_S11_S15_S17_T6_T7_T9_mT8_S19_bDpT10_ENKUlT_T0_E_clISt17integral_constantIbLb1EES1M_EEDaS1H_S1I_EUlS1H_E_NS1_11comp_targetILNS1_3genE10ELNS1_11target_archE1200ELNS1_3gpuE4ELNS1_3repE0EEENS1_30default_config_static_selectorELNS0_4arch9wavefront6targetE0EEEvSV_.has_dyn_sized_stack, 0
	.set _ZN7rocprim17ROCPRIM_400000_NS6detail17trampoline_kernelINS0_13select_configILj256ELj13ELNS0_17block_load_methodE3ELS4_3ELS4_3ELNS0_20block_scan_algorithmE0ELj4294967295EEENS1_25partition_config_selectorILNS1_17partition_subalgoE3EjNS0_10empty_typeEbEEZZNS1_14partition_implILS8_3ELb0ES6_jNS0_17counting_iteratorIjlEEPS9_SE_NS0_5tupleIJPjSE_EEENSF_IJSE_SE_EEES9_SG_JZNS1_25segmented_radix_sort_implINS0_14default_configELb0EPKlPlSM_SN_N2at6native12_GLOBAL__N_18offset_tEEE10hipError_tPvRmT1_PNSt15iterator_traitsISV_E10value_typeET2_T3_PNSW_IS11_E10value_typeET4_jRbjT5_S17_jjP12ihipStream_tbEUljE_EEESS_ST_SU_S11_S15_S17_T6_T7_T9_mT8_S19_bDpT10_ENKUlT_T0_E_clISt17integral_constantIbLb1EES1M_EEDaS1H_S1I_EUlS1H_E_NS1_11comp_targetILNS1_3genE10ELNS1_11target_archE1200ELNS1_3gpuE4ELNS1_3repE0EEENS1_30default_config_static_selectorELNS0_4arch9wavefront6targetE0EEEvSV_.has_recursion, 0
	.set _ZN7rocprim17ROCPRIM_400000_NS6detail17trampoline_kernelINS0_13select_configILj256ELj13ELNS0_17block_load_methodE3ELS4_3ELS4_3ELNS0_20block_scan_algorithmE0ELj4294967295EEENS1_25partition_config_selectorILNS1_17partition_subalgoE3EjNS0_10empty_typeEbEEZZNS1_14partition_implILS8_3ELb0ES6_jNS0_17counting_iteratorIjlEEPS9_SE_NS0_5tupleIJPjSE_EEENSF_IJSE_SE_EEES9_SG_JZNS1_25segmented_radix_sort_implINS0_14default_configELb0EPKlPlSM_SN_N2at6native12_GLOBAL__N_18offset_tEEE10hipError_tPvRmT1_PNSt15iterator_traitsISV_E10value_typeET2_T3_PNSW_IS11_E10value_typeET4_jRbjT5_S17_jjP12ihipStream_tbEUljE_EEESS_ST_SU_S11_S15_S17_T6_T7_T9_mT8_S19_bDpT10_ENKUlT_T0_E_clISt17integral_constantIbLb1EES1M_EEDaS1H_S1I_EUlS1H_E_NS1_11comp_targetILNS1_3genE10ELNS1_11target_archE1200ELNS1_3gpuE4ELNS1_3repE0EEENS1_30default_config_static_selectorELNS0_4arch9wavefront6targetE0EEEvSV_.has_indirect_call, 0
	.section	.AMDGPU.csdata,"",@progbits
; Kernel info:
; codeLenInByte = 0
; TotalNumSgprs: 0
; NumVgprs: 0
; ScratchSize: 0
; MemoryBound: 0
; FloatMode: 240
; IeeeMode: 1
; LDSByteSize: 0 bytes/workgroup (compile time only)
; SGPRBlocks: 0
; VGPRBlocks: 0
; NumSGPRsForWavesPerEU: 1
; NumVGPRsForWavesPerEU: 1
; NamedBarCnt: 0
; Occupancy: 16
; WaveLimiterHint : 0
; COMPUTE_PGM_RSRC2:SCRATCH_EN: 0
; COMPUTE_PGM_RSRC2:USER_SGPR: 2
; COMPUTE_PGM_RSRC2:TRAP_HANDLER: 0
; COMPUTE_PGM_RSRC2:TGID_X_EN: 1
; COMPUTE_PGM_RSRC2:TGID_Y_EN: 0
; COMPUTE_PGM_RSRC2:TGID_Z_EN: 0
; COMPUTE_PGM_RSRC2:TIDIG_COMP_CNT: 0
	.section	.text._ZN7rocprim17ROCPRIM_400000_NS6detail17trampoline_kernelINS0_13select_configILj256ELj13ELNS0_17block_load_methodE3ELS4_3ELS4_3ELNS0_20block_scan_algorithmE0ELj4294967295EEENS1_25partition_config_selectorILNS1_17partition_subalgoE3EjNS0_10empty_typeEbEEZZNS1_14partition_implILS8_3ELb0ES6_jNS0_17counting_iteratorIjlEEPS9_SE_NS0_5tupleIJPjSE_EEENSF_IJSE_SE_EEES9_SG_JZNS1_25segmented_radix_sort_implINS0_14default_configELb0EPKlPlSM_SN_N2at6native12_GLOBAL__N_18offset_tEEE10hipError_tPvRmT1_PNSt15iterator_traitsISV_E10value_typeET2_T3_PNSW_IS11_E10value_typeET4_jRbjT5_S17_jjP12ihipStream_tbEUljE_EEESS_ST_SU_S11_S15_S17_T6_T7_T9_mT8_S19_bDpT10_ENKUlT_T0_E_clISt17integral_constantIbLb1EES1M_EEDaS1H_S1I_EUlS1H_E_NS1_11comp_targetILNS1_3genE9ELNS1_11target_archE1100ELNS1_3gpuE3ELNS1_3repE0EEENS1_30default_config_static_selectorELNS0_4arch9wavefront6targetE0EEEvSV_,"axG",@progbits,_ZN7rocprim17ROCPRIM_400000_NS6detail17trampoline_kernelINS0_13select_configILj256ELj13ELNS0_17block_load_methodE3ELS4_3ELS4_3ELNS0_20block_scan_algorithmE0ELj4294967295EEENS1_25partition_config_selectorILNS1_17partition_subalgoE3EjNS0_10empty_typeEbEEZZNS1_14partition_implILS8_3ELb0ES6_jNS0_17counting_iteratorIjlEEPS9_SE_NS0_5tupleIJPjSE_EEENSF_IJSE_SE_EEES9_SG_JZNS1_25segmented_radix_sort_implINS0_14default_configELb0EPKlPlSM_SN_N2at6native12_GLOBAL__N_18offset_tEEE10hipError_tPvRmT1_PNSt15iterator_traitsISV_E10value_typeET2_T3_PNSW_IS11_E10value_typeET4_jRbjT5_S17_jjP12ihipStream_tbEUljE_EEESS_ST_SU_S11_S15_S17_T6_T7_T9_mT8_S19_bDpT10_ENKUlT_T0_E_clISt17integral_constantIbLb1EES1M_EEDaS1H_S1I_EUlS1H_E_NS1_11comp_targetILNS1_3genE9ELNS1_11target_archE1100ELNS1_3gpuE3ELNS1_3repE0EEENS1_30default_config_static_selectorELNS0_4arch9wavefront6targetE0EEEvSV_,comdat
	.globl	_ZN7rocprim17ROCPRIM_400000_NS6detail17trampoline_kernelINS0_13select_configILj256ELj13ELNS0_17block_load_methodE3ELS4_3ELS4_3ELNS0_20block_scan_algorithmE0ELj4294967295EEENS1_25partition_config_selectorILNS1_17partition_subalgoE3EjNS0_10empty_typeEbEEZZNS1_14partition_implILS8_3ELb0ES6_jNS0_17counting_iteratorIjlEEPS9_SE_NS0_5tupleIJPjSE_EEENSF_IJSE_SE_EEES9_SG_JZNS1_25segmented_radix_sort_implINS0_14default_configELb0EPKlPlSM_SN_N2at6native12_GLOBAL__N_18offset_tEEE10hipError_tPvRmT1_PNSt15iterator_traitsISV_E10value_typeET2_T3_PNSW_IS11_E10value_typeET4_jRbjT5_S17_jjP12ihipStream_tbEUljE_EEESS_ST_SU_S11_S15_S17_T6_T7_T9_mT8_S19_bDpT10_ENKUlT_T0_E_clISt17integral_constantIbLb1EES1M_EEDaS1H_S1I_EUlS1H_E_NS1_11comp_targetILNS1_3genE9ELNS1_11target_archE1100ELNS1_3gpuE3ELNS1_3repE0EEENS1_30default_config_static_selectorELNS0_4arch9wavefront6targetE0EEEvSV_ ; -- Begin function _ZN7rocprim17ROCPRIM_400000_NS6detail17trampoline_kernelINS0_13select_configILj256ELj13ELNS0_17block_load_methodE3ELS4_3ELS4_3ELNS0_20block_scan_algorithmE0ELj4294967295EEENS1_25partition_config_selectorILNS1_17partition_subalgoE3EjNS0_10empty_typeEbEEZZNS1_14partition_implILS8_3ELb0ES6_jNS0_17counting_iteratorIjlEEPS9_SE_NS0_5tupleIJPjSE_EEENSF_IJSE_SE_EEES9_SG_JZNS1_25segmented_radix_sort_implINS0_14default_configELb0EPKlPlSM_SN_N2at6native12_GLOBAL__N_18offset_tEEE10hipError_tPvRmT1_PNSt15iterator_traitsISV_E10value_typeET2_T3_PNSW_IS11_E10value_typeET4_jRbjT5_S17_jjP12ihipStream_tbEUljE_EEESS_ST_SU_S11_S15_S17_T6_T7_T9_mT8_S19_bDpT10_ENKUlT_T0_E_clISt17integral_constantIbLb1EES1M_EEDaS1H_S1I_EUlS1H_E_NS1_11comp_targetILNS1_3genE9ELNS1_11target_archE1100ELNS1_3gpuE3ELNS1_3repE0EEENS1_30default_config_static_selectorELNS0_4arch9wavefront6targetE0EEEvSV_
	.p2align	8
	.type	_ZN7rocprim17ROCPRIM_400000_NS6detail17trampoline_kernelINS0_13select_configILj256ELj13ELNS0_17block_load_methodE3ELS4_3ELS4_3ELNS0_20block_scan_algorithmE0ELj4294967295EEENS1_25partition_config_selectorILNS1_17partition_subalgoE3EjNS0_10empty_typeEbEEZZNS1_14partition_implILS8_3ELb0ES6_jNS0_17counting_iteratorIjlEEPS9_SE_NS0_5tupleIJPjSE_EEENSF_IJSE_SE_EEES9_SG_JZNS1_25segmented_radix_sort_implINS0_14default_configELb0EPKlPlSM_SN_N2at6native12_GLOBAL__N_18offset_tEEE10hipError_tPvRmT1_PNSt15iterator_traitsISV_E10value_typeET2_T3_PNSW_IS11_E10value_typeET4_jRbjT5_S17_jjP12ihipStream_tbEUljE_EEESS_ST_SU_S11_S15_S17_T6_T7_T9_mT8_S19_bDpT10_ENKUlT_T0_E_clISt17integral_constantIbLb1EES1M_EEDaS1H_S1I_EUlS1H_E_NS1_11comp_targetILNS1_3genE9ELNS1_11target_archE1100ELNS1_3gpuE3ELNS1_3repE0EEENS1_30default_config_static_selectorELNS0_4arch9wavefront6targetE0EEEvSV_,@function
_ZN7rocprim17ROCPRIM_400000_NS6detail17trampoline_kernelINS0_13select_configILj256ELj13ELNS0_17block_load_methodE3ELS4_3ELS4_3ELNS0_20block_scan_algorithmE0ELj4294967295EEENS1_25partition_config_selectorILNS1_17partition_subalgoE3EjNS0_10empty_typeEbEEZZNS1_14partition_implILS8_3ELb0ES6_jNS0_17counting_iteratorIjlEEPS9_SE_NS0_5tupleIJPjSE_EEENSF_IJSE_SE_EEES9_SG_JZNS1_25segmented_radix_sort_implINS0_14default_configELb0EPKlPlSM_SN_N2at6native12_GLOBAL__N_18offset_tEEE10hipError_tPvRmT1_PNSt15iterator_traitsISV_E10value_typeET2_T3_PNSW_IS11_E10value_typeET4_jRbjT5_S17_jjP12ihipStream_tbEUljE_EEESS_ST_SU_S11_S15_S17_T6_T7_T9_mT8_S19_bDpT10_ENKUlT_T0_E_clISt17integral_constantIbLb1EES1M_EEDaS1H_S1I_EUlS1H_E_NS1_11comp_targetILNS1_3genE9ELNS1_11target_archE1100ELNS1_3gpuE3ELNS1_3repE0EEENS1_30default_config_static_selectorELNS0_4arch9wavefront6targetE0EEEvSV_: ; @_ZN7rocprim17ROCPRIM_400000_NS6detail17trampoline_kernelINS0_13select_configILj256ELj13ELNS0_17block_load_methodE3ELS4_3ELS4_3ELNS0_20block_scan_algorithmE0ELj4294967295EEENS1_25partition_config_selectorILNS1_17partition_subalgoE3EjNS0_10empty_typeEbEEZZNS1_14partition_implILS8_3ELb0ES6_jNS0_17counting_iteratorIjlEEPS9_SE_NS0_5tupleIJPjSE_EEENSF_IJSE_SE_EEES9_SG_JZNS1_25segmented_radix_sort_implINS0_14default_configELb0EPKlPlSM_SN_N2at6native12_GLOBAL__N_18offset_tEEE10hipError_tPvRmT1_PNSt15iterator_traitsISV_E10value_typeET2_T3_PNSW_IS11_E10value_typeET4_jRbjT5_S17_jjP12ihipStream_tbEUljE_EEESS_ST_SU_S11_S15_S17_T6_T7_T9_mT8_S19_bDpT10_ENKUlT_T0_E_clISt17integral_constantIbLb1EES1M_EEDaS1H_S1I_EUlS1H_E_NS1_11comp_targetILNS1_3genE9ELNS1_11target_archE1100ELNS1_3gpuE3ELNS1_3repE0EEENS1_30default_config_static_selectorELNS0_4arch9wavefront6targetE0EEEvSV_
; %bb.0:
	.section	.rodata,"a",@progbits
	.p2align	6, 0x0
	.amdhsa_kernel _ZN7rocprim17ROCPRIM_400000_NS6detail17trampoline_kernelINS0_13select_configILj256ELj13ELNS0_17block_load_methodE3ELS4_3ELS4_3ELNS0_20block_scan_algorithmE0ELj4294967295EEENS1_25partition_config_selectorILNS1_17partition_subalgoE3EjNS0_10empty_typeEbEEZZNS1_14partition_implILS8_3ELb0ES6_jNS0_17counting_iteratorIjlEEPS9_SE_NS0_5tupleIJPjSE_EEENSF_IJSE_SE_EEES9_SG_JZNS1_25segmented_radix_sort_implINS0_14default_configELb0EPKlPlSM_SN_N2at6native12_GLOBAL__N_18offset_tEEE10hipError_tPvRmT1_PNSt15iterator_traitsISV_E10value_typeET2_T3_PNSW_IS11_E10value_typeET4_jRbjT5_S17_jjP12ihipStream_tbEUljE_EEESS_ST_SU_S11_S15_S17_T6_T7_T9_mT8_S19_bDpT10_ENKUlT_T0_E_clISt17integral_constantIbLb1EES1M_EEDaS1H_S1I_EUlS1H_E_NS1_11comp_targetILNS1_3genE9ELNS1_11target_archE1100ELNS1_3gpuE3ELNS1_3repE0EEENS1_30default_config_static_selectorELNS0_4arch9wavefront6targetE0EEEvSV_
		.amdhsa_group_segment_fixed_size 0
		.amdhsa_private_segment_fixed_size 0
		.amdhsa_kernarg_size 152
		.amdhsa_user_sgpr_count 2
		.amdhsa_user_sgpr_dispatch_ptr 0
		.amdhsa_user_sgpr_queue_ptr 0
		.amdhsa_user_sgpr_kernarg_segment_ptr 1
		.amdhsa_user_sgpr_dispatch_id 0
		.amdhsa_user_sgpr_kernarg_preload_length 0
		.amdhsa_user_sgpr_kernarg_preload_offset 0
		.amdhsa_user_sgpr_private_segment_size 0
		.amdhsa_wavefront_size32 1
		.amdhsa_uses_dynamic_stack 0
		.amdhsa_enable_private_segment 0
		.amdhsa_system_sgpr_workgroup_id_x 1
		.amdhsa_system_sgpr_workgroup_id_y 0
		.amdhsa_system_sgpr_workgroup_id_z 0
		.amdhsa_system_sgpr_workgroup_info 0
		.amdhsa_system_vgpr_workitem_id 0
		.amdhsa_next_free_vgpr 1
		.amdhsa_next_free_sgpr 1
		.amdhsa_named_barrier_count 0
		.amdhsa_reserve_vcc 0
		.amdhsa_float_round_mode_32 0
		.amdhsa_float_round_mode_16_64 0
		.amdhsa_float_denorm_mode_32 3
		.amdhsa_float_denorm_mode_16_64 3
		.amdhsa_fp16_overflow 0
		.amdhsa_memory_ordered 1
		.amdhsa_forward_progress 1
		.amdhsa_inst_pref_size 0
		.amdhsa_round_robin_scheduling 0
		.amdhsa_exception_fp_ieee_invalid_op 0
		.amdhsa_exception_fp_denorm_src 0
		.amdhsa_exception_fp_ieee_div_zero 0
		.amdhsa_exception_fp_ieee_overflow 0
		.amdhsa_exception_fp_ieee_underflow 0
		.amdhsa_exception_fp_ieee_inexact 0
		.amdhsa_exception_int_div_zero 0
	.end_amdhsa_kernel
	.section	.text._ZN7rocprim17ROCPRIM_400000_NS6detail17trampoline_kernelINS0_13select_configILj256ELj13ELNS0_17block_load_methodE3ELS4_3ELS4_3ELNS0_20block_scan_algorithmE0ELj4294967295EEENS1_25partition_config_selectorILNS1_17partition_subalgoE3EjNS0_10empty_typeEbEEZZNS1_14partition_implILS8_3ELb0ES6_jNS0_17counting_iteratorIjlEEPS9_SE_NS0_5tupleIJPjSE_EEENSF_IJSE_SE_EEES9_SG_JZNS1_25segmented_radix_sort_implINS0_14default_configELb0EPKlPlSM_SN_N2at6native12_GLOBAL__N_18offset_tEEE10hipError_tPvRmT1_PNSt15iterator_traitsISV_E10value_typeET2_T3_PNSW_IS11_E10value_typeET4_jRbjT5_S17_jjP12ihipStream_tbEUljE_EEESS_ST_SU_S11_S15_S17_T6_T7_T9_mT8_S19_bDpT10_ENKUlT_T0_E_clISt17integral_constantIbLb1EES1M_EEDaS1H_S1I_EUlS1H_E_NS1_11comp_targetILNS1_3genE9ELNS1_11target_archE1100ELNS1_3gpuE3ELNS1_3repE0EEENS1_30default_config_static_selectorELNS0_4arch9wavefront6targetE0EEEvSV_,"axG",@progbits,_ZN7rocprim17ROCPRIM_400000_NS6detail17trampoline_kernelINS0_13select_configILj256ELj13ELNS0_17block_load_methodE3ELS4_3ELS4_3ELNS0_20block_scan_algorithmE0ELj4294967295EEENS1_25partition_config_selectorILNS1_17partition_subalgoE3EjNS0_10empty_typeEbEEZZNS1_14partition_implILS8_3ELb0ES6_jNS0_17counting_iteratorIjlEEPS9_SE_NS0_5tupleIJPjSE_EEENSF_IJSE_SE_EEES9_SG_JZNS1_25segmented_radix_sort_implINS0_14default_configELb0EPKlPlSM_SN_N2at6native12_GLOBAL__N_18offset_tEEE10hipError_tPvRmT1_PNSt15iterator_traitsISV_E10value_typeET2_T3_PNSW_IS11_E10value_typeET4_jRbjT5_S17_jjP12ihipStream_tbEUljE_EEESS_ST_SU_S11_S15_S17_T6_T7_T9_mT8_S19_bDpT10_ENKUlT_T0_E_clISt17integral_constantIbLb1EES1M_EEDaS1H_S1I_EUlS1H_E_NS1_11comp_targetILNS1_3genE9ELNS1_11target_archE1100ELNS1_3gpuE3ELNS1_3repE0EEENS1_30default_config_static_selectorELNS0_4arch9wavefront6targetE0EEEvSV_,comdat
.Lfunc_end785:
	.size	_ZN7rocprim17ROCPRIM_400000_NS6detail17trampoline_kernelINS0_13select_configILj256ELj13ELNS0_17block_load_methodE3ELS4_3ELS4_3ELNS0_20block_scan_algorithmE0ELj4294967295EEENS1_25partition_config_selectorILNS1_17partition_subalgoE3EjNS0_10empty_typeEbEEZZNS1_14partition_implILS8_3ELb0ES6_jNS0_17counting_iteratorIjlEEPS9_SE_NS0_5tupleIJPjSE_EEENSF_IJSE_SE_EEES9_SG_JZNS1_25segmented_radix_sort_implINS0_14default_configELb0EPKlPlSM_SN_N2at6native12_GLOBAL__N_18offset_tEEE10hipError_tPvRmT1_PNSt15iterator_traitsISV_E10value_typeET2_T3_PNSW_IS11_E10value_typeET4_jRbjT5_S17_jjP12ihipStream_tbEUljE_EEESS_ST_SU_S11_S15_S17_T6_T7_T9_mT8_S19_bDpT10_ENKUlT_T0_E_clISt17integral_constantIbLb1EES1M_EEDaS1H_S1I_EUlS1H_E_NS1_11comp_targetILNS1_3genE9ELNS1_11target_archE1100ELNS1_3gpuE3ELNS1_3repE0EEENS1_30default_config_static_selectorELNS0_4arch9wavefront6targetE0EEEvSV_, .Lfunc_end785-_ZN7rocprim17ROCPRIM_400000_NS6detail17trampoline_kernelINS0_13select_configILj256ELj13ELNS0_17block_load_methodE3ELS4_3ELS4_3ELNS0_20block_scan_algorithmE0ELj4294967295EEENS1_25partition_config_selectorILNS1_17partition_subalgoE3EjNS0_10empty_typeEbEEZZNS1_14partition_implILS8_3ELb0ES6_jNS0_17counting_iteratorIjlEEPS9_SE_NS0_5tupleIJPjSE_EEENSF_IJSE_SE_EEES9_SG_JZNS1_25segmented_radix_sort_implINS0_14default_configELb0EPKlPlSM_SN_N2at6native12_GLOBAL__N_18offset_tEEE10hipError_tPvRmT1_PNSt15iterator_traitsISV_E10value_typeET2_T3_PNSW_IS11_E10value_typeET4_jRbjT5_S17_jjP12ihipStream_tbEUljE_EEESS_ST_SU_S11_S15_S17_T6_T7_T9_mT8_S19_bDpT10_ENKUlT_T0_E_clISt17integral_constantIbLb1EES1M_EEDaS1H_S1I_EUlS1H_E_NS1_11comp_targetILNS1_3genE9ELNS1_11target_archE1100ELNS1_3gpuE3ELNS1_3repE0EEENS1_30default_config_static_selectorELNS0_4arch9wavefront6targetE0EEEvSV_
                                        ; -- End function
	.set _ZN7rocprim17ROCPRIM_400000_NS6detail17trampoline_kernelINS0_13select_configILj256ELj13ELNS0_17block_load_methodE3ELS4_3ELS4_3ELNS0_20block_scan_algorithmE0ELj4294967295EEENS1_25partition_config_selectorILNS1_17partition_subalgoE3EjNS0_10empty_typeEbEEZZNS1_14partition_implILS8_3ELb0ES6_jNS0_17counting_iteratorIjlEEPS9_SE_NS0_5tupleIJPjSE_EEENSF_IJSE_SE_EEES9_SG_JZNS1_25segmented_radix_sort_implINS0_14default_configELb0EPKlPlSM_SN_N2at6native12_GLOBAL__N_18offset_tEEE10hipError_tPvRmT1_PNSt15iterator_traitsISV_E10value_typeET2_T3_PNSW_IS11_E10value_typeET4_jRbjT5_S17_jjP12ihipStream_tbEUljE_EEESS_ST_SU_S11_S15_S17_T6_T7_T9_mT8_S19_bDpT10_ENKUlT_T0_E_clISt17integral_constantIbLb1EES1M_EEDaS1H_S1I_EUlS1H_E_NS1_11comp_targetILNS1_3genE9ELNS1_11target_archE1100ELNS1_3gpuE3ELNS1_3repE0EEENS1_30default_config_static_selectorELNS0_4arch9wavefront6targetE0EEEvSV_.num_vgpr, 0
	.set _ZN7rocprim17ROCPRIM_400000_NS6detail17trampoline_kernelINS0_13select_configILj256ELj13ELNS0_17block_load_methodE3ELS4_3ELS4_3ELNS0_20block_scan_algorithmE0ELj4294967295EEENS1_25partition_config_selectorILNS1_17partition_subalgoE3EjNS0_10empty_typeEbEEZZNS1_14partition_implILS8_3ELb0ES6_jNS0_17counting_iteratorIjlEEPS9_SE_NS0_5tupleIJPjSE_EEENSF_IJSE_SE_EEES9_SG_JZNS1_25segmented_radix_sort_implINS0_14default_configELb0EPKlPlSM_SN_N2at6native12_GLOBAL__N_18offset_tEEE10hipError_tPvRmT1_PNSt15iterator_traitsISV_E10value_typeET2_T3_PNSW_IS11_E10value_typeET4_jRbjT5_S17_jjP12ihipStream_tbEUljE_EEESS_ST_SU_S11_S15_S17_T6_T7_T9_mT8_S19_bDpT10_ENKUlT_T0_E_clISt17integral_constantIbLb1EES1M_EEDaS1H_S1I_EUlS1H_E_NS1_11comp_targetILNS1_3genE9ELNS1_11target_archE1100ELNS1_3gpuE3ELNS1_3repE0EEENS1_30default_config_static_selectorELNS0_4arch9wavefront6targetE0EEEvSV_.num_agpr, 0
	.set _ZN7rocprim17ROCPRIM_400000_NS6detail17trampoline_kernelINS0_13select_configILj256ELj13ELNS0_17block_load_methodE3ELS4_3ELS4_3ELNS0_20block_scan_algorithmE0ELj4294967295EEENS1_25partition_config_selectorILNS1_17partition_subalgoE3EjNS0_10empty_typeEbEEZZNS1_14partition_implILS8_3ELb0ES6_jNS0_17counting_iteratorIjlEEPS9_SE_NS0_5tupleIJPjSE_EEENSF_IJSE_SE_EEES9_SG_JZNS1_25segmented_radix_sort_implINS0_14default_configELb0EPKlPlSM_SN_N2at6native12_GLOBAL__N_18offset_tEEE10hipError_tPvRmT1_PNSt15iterator_traitsISV_E10value_typeET2_T3_PNSW_IS11_E10value_typeET4_jRbjT5_S17_jjP12ihipStream_tbEUljE_EEESS_ST_SU_S11_S15_S17_T6_T7_T9_mT8_S19_bDpT10_ENKUlT_T0_E_clISt17integral_constantIbLb1EES1M_EEDaS1H_S1I_EUlS1H_E_NS1_11comp_targetILNS1_3genE9ELNS1_11target_archE1100ELNS1_3gpuE3ELNS1_3repE0EEENS1_30default_config_static_selectorELNS0_4arch9wavefront6targetE0EEEvSV_.numbered_sgpr, 0
	.set _ZN7rocprim17ROCPRIM_400000_NS6detail17trampoline_kernelINS0_13select_configILj256ELj13ELNS0_17block_load_methodE3ELS4_3ELS4_3ELNS0_20block_scan_algorithmE0ELj4294967295EEENS1_25partition_config_selectorILNS1_17partition_subalgoE3EjNS0_10empty_typeEbEEZZNS1_14partition_implILS8_3ELb0ES6_jNS0_17counting_iteratorIjlEEPS9_SE_NS0_5tupleIJPjSE_EEENSF_IJSE_SE_EEES9_SG_JZNS1_25segmented_radix_sort_implINS0_14default_configELb0EPKlPlSM_SN_N2at6native12_GLOBAL__N_18offset_tEEE10hipError_tPvRmT1_PNSt15iterator_traitsISV_E10value_typeET2_T3_PNSW_IS11_E10value_typeET4_jRbjT5_S17_jjP12ihipStream_tbEUljE_EEESS_ST_SU_S11_S15_S17_T6_T7_T9_mT8_S19_bDpT10_ENKUlT_T0_E_clISt17integral_constantIbLb1EES1M_EEDaS1H_S1I_EUlS1H_E_NS1_11comp_targetILNS1_3genE9ELNS1_11target_archE1100ELNS1_3gpuE3ELNS1_3repE0EEENS1_30default_config_static_selectorELNS0_4arch9wavefront6targetE0EEEvSV_.num_named_barrier, 0
	.set _ZN7rocprim17ROCPRIM_400000_NS6detail17trampoline_kernelINS0_13select_configILj256ELj13ELNS0_17block_load_methodE3ELS4_3ELS4_3ELNS0_20block_scan_algorithmE0ELj4294967295EEENS1_25partition_config_selectorILNS1_17partition_subalgoE3EjNS0_10empty_typeEbEEZZNS1_14partition_implILS8_3ELb0ES6_jNS0_17counting_iteratorIjlEEPS9_SE_NS0_5tupleIJPjSE_EEENSF_IJSE_SE_EEES9_SG_JZNS1_25segmented_radix_sort_implINS0_14default_configELb0EPKlPlSM_SN_N2at6native12_GLOBAL__N_18offset_tEEE10hipError_tPvRmT1_PNSt15iterator_traitsISV_E10value_typeET2_T3_PNSW_IS11_E10value_typeET4_jRbjT5_S17_jjP12ihipStream_tbEUljE_EEESS_ST_SU_S11_S15_S17_T6_T7_T9_mT8_S19_bDpT10_ENKUlT_T0_E_clISt17integral_constantIbLb1EES1M_EEDaS1H_S1I_EUlS1H_E_NS1_11comp_targetILNS1_3genE9ELNS1_11target_archE1100ELNS1_3gpuE3ELNS1_3repE0EEENS1_30default_config_static_selectorELNS0_4arch9wavefront6targetE0EEEvSV_.private_seg_size, 0
	.set _ZN7rocprim17ROCPRIM_400000_NS6detail17trampoline_kernelINS0_13select_configILj256ELj13ELNS0_17block_load_methodE3ELS4_3ELS4_3ELNS0_20block_scan_algorithmE0ELj4294967295EEENS1_25partition_config_selectorILNS1_17partition_subalgoE3EjNS0_10empty_typeEbEEZZNS1_14partition_implILS8_3ELb0ES6_jNS0_17counting_iteratorIjlEEPS9_SE_NS0_5tupleIJPjSE_EEENSF_IJSE_SE_EEES9_SG_JZNS1_25segmented_radix_sort_implINS0_14default_configELb0EPKlPlSM_SN_N2at6native12_GLOBAL__N_18offset_tEEE10hipError_tPvRmT1_PNSt15iterator_traitsISV_E10value_typeET2_T3_PNSW_IS11_E10value_typeET4_jRbjT5_S17_jjP12ihipStream_tbEUljE_EEESS_ST_SU_S11_S15_S17_T6_T7_T9_mT8_S19_bDpT10_ENKUlT_T0_E_clISt17integral_constantIbLb1EES1M_EEDaS1H_S1I_EUlS1H_E_NS1_11comp_targetILNS1_3genE9ELNS1_11target_archE1100ELNS1_3gpuE3ELNS1_3repE0EEENS1_30default_config_static_selectorELNS0_4arch9wavefront6targetE0EEEvSV_.uses_vcc, 0
	.set _ZN7rocprim17ROCPRIM_400000_NS6detail17trampoline_kernelINS0_13select_configILj256ELj13ELNS0_17block_load_methodE3ELS4_3ELS4_3ELNS0_20block_scan_algorithmE0ELj4294967295EEENS1_25partition_config_selectorILNS1_17partition_subalgoE3EjNS0_10empty_typeEbEEZZNS1_14partition_implILS8_3ELb0ES6_jNS0_17counting_iteratorIjlEEPS9_SE_NS0_5tupleIJPjSE_EEENSF_IJSE_SE_EEES9_SG_JZNS1_25segmented_radix_sort_implINS0_14default_configELb0EPKlPlSM_SN_N2at6native12_GLOBAL__N_18offset_tEEE10hipError_tPvRmT1_PNSt15iterator_traitsISV_E10value_typeET2_T3_PNSW_IS11_E10value_typeET4_jRbjT5_S17_jjP12ihipStream_tbEUljE_EEESS_ST_SU_S11_S15_S17_T6_T7_T9_mT8_S19_bDpT10_ENKUlT_T0_E_clISt17integral_constantIbLb1EES1M_EEDaS1H_S1I_EUlS1H_E_NS1_11comp_targetILNS1_3genE9ELNS1_11target_archE1100ELNS1_3gpuE3ELNS1_3repE0EEENS1_30default_config_static_selectorELNS0_4arch9wavefront6targetE0EEEvSV_.uses_flat_scratch, 0
	.set _ZN7rocprim17ROCPRIM_400000_NS6detail17trampoline_kernelINS0_13select_configILj256ELj13ELNS0_17block_load_methodE3ELS4_3ELS4_3ELNS0_20block_scan_algorithmE0ELj4294967295EEENS1_25partition_config_selectorILNS1_17partition_subalgoE3EjNS0_10empty_typeEbEEZZNS1_14partition_implILS8_3ELb0ES6_jNS0_17counting_iteratorIjlEEPS9_SE_NS0_5tupleIJPjSE_EEENSF_IJSE_SE_EEES9_SG_JZNS1_25segmented_radix_sort_implINS0_14default_configELb0EPKlPlSM_SN_N2at6native12_GLOBAL__N_18offset_tEEE10hipError_tPvRmT1_PNSt15iterator_traitsISV_E10value_typeET2_T3_PNSW_IS11_E10value_typeET4_jRbjT5_S17_jjP12ihipStream_tbEUljE_EEESS_ST_SU_S11_S15_S17_T6_T7_T9_mT8_S19_bDpT10_ENKUlT_T0_E_clISt17integral_constantIbLb1EES1M_EEDaS1H_S1I_EUlS1H_E_NS1_11comp_targetILNS1_3genE9ELNS1_11target_archE1100ELNS1_3gpuE3ELNS1_3repE0EEENS1_30default_config_static_selectorELNS0_4arch9wavefront6targetE0EEEvSV_.has_dyn_sized_stack, 0
	.set _ZN7rocprim17ROCPRIM_400000_NS6detail17trampoline_kernelINS0_13select_configILj256ELj13ELNS0_17block_load_methodE3ELS4_3ELS4_3ELNS0_20block_scan_algorithmE0ELj4294967295EEENS1_25partition_config_selectorILNS1_17partition_subalgoE3EjNS0_10empty_typeEbEEZZNS1_14partition_implILS8_3ELb0ES6_jNS0_17counting_iteratorIjlEEPS9_SE_NS0_5tupleIJPjSE_EEENSF_IJSE_SE_EEES9_SG_JZNS1_25segmented_radix_sort_implINS0_14default_configELb0EPKlPlSM_SN_N2at6native12_GLOBAL__N_18offset_tEEE10hipError_tPvRmT1_PNSt15iterator_traitsISV_E10value_typeET2_T3_PNSW_IS11_E10value_typeET4_jRbjT5_S17_jjP12ihipStream_tbEUljE_EEESS_ST_SU_S11_S15_S17_T6_T7_T9_mT8_S19_bDpT10_ENKUlT_T0_E_clISt17integral_constantIbLb1EES1M_EEDaS1H_S1I_EUlS1H_E_NS1_11comp_targetILNS1_3genE9ELNS1_11target_archE1100ELNS1_3gpuE3ELNS1_3repE0EEENS1_30default_config_static_selectorELNS0_4arch9wavefront6targetE0EEEvSV_.has_recursion, 0
	.set _ZN7rocprim17ROCPRIM_400000_NS6detail17trampoline_kernelINS0_13select_configILj256ELj13ELNS0_17block_load_methodE3ELS4_3ELS4_3ELNS0_20block_scan_algorithmE0ELj4294967295EEENS1_25partition_config_selectorILNS1_17partition_subalgoE3EjNS0_10empty_typeEbEEZZNS1_14partition_implILS8_3ELb0ES6_jNS0_17counting_iteratorIjlEEPS9_SE_NS0_5tupleIJPjSE_EEENSF_IJSE_SE_EEES9_SG_JZNS1_25segmented_radix_sort_implINS0_14default_configELb0EPKlPlSM_SN_N2at6native12_GLOBAL__N_18offset_tEEE10hipError_tPvRmT1_PNSt15iterator_traitsISV_E10value_typeET2_T3_PNSW_IS11_E10value_typeET4_jRbjT5_S17_jjP12ihipStream_tbEUljE_EEESS_ST_SU_S11_S15_S17_T6_T7_T9_mT8_S19_bDpT10_ENKUlT_T0_E_clISt17integral_constantIbLb1EES1M_EEDaS1H_S1I_EUlS1H_E_NS1_11comp_targetILNS1_3genE9ELNS1_11target_archE1100ELNS1_3gpuE3ELNS1_3repE0EEENS1_30default_config_static_selectorELNS0_4arch9wavefront6targetE0EEEvSV_.has_indirect_call, 0
	.section	.AMDGPU.csdata,"",@progbits
; Kernel info:
; codeLenInByte = 0
; TotalNumSgprs: 0
; NumVgprs: 0
; ScratchSize: 0
; MemoryBound: 0
; FloatMode: 240
; IeeeMode: 1
; LDSByteSize: 0 bytes/workgroup (compile time only)
; SGPRBlocks: 0
; VGPRBlocks: 0
; NumSGPRsForWavesPerEU: 1
; NumVGPRsForWavesPerEU: 1
; NamedBarCnt: 0
; Occupancy: 16
; WaveLimiterHint : 0
; COMPUTE_PGM_RSRC2:SCRATCH_EN: 0
; COMPUTE_PGM_RSRC2:USER_SGPR: 2
; COMPUTE_PGM_RSRC2:TRAP_HANDLER: 0
; COMPUTE_PGM_RSRC2:TGID_X_EN: 1
; COMPUTE_PGM_RSRC2:TGID_Y_EN: 0
; COMPUTE_PGM_RSRC2:TGID_Z_EN: 0
; COMPUTE_PGM_RSRC2:TIDIG_COMP_CNT: 0
	.section	.text._ZN7rocprim17ROCPRIM_400000_NS6detail17trampoline_kernelINS0_13select_configILj256ELj13ELNS0_17block_load_methodE3ELS4_3ELS4_3ELNS0_20block_scan_algorithmE0ELj4294967295EEENS1_25partition_config_selectorILNS1_17partition_subalgoE3EjNS0_10empty_typeEbEEZZNS1_14partition_implILS8_3ELb0ES6_jNS0_17counting_iteratorIjlEEPS9_SE_NS0_5tupleIJPjSE_EEENSF_IJSE_SE_EEES9_SG_JZNS1_25segmented_radix_sort_implINS0_14default_configELb0EPKlPlSM_SN_N2at6native12_GLOBAL__N_18offset_tEEE10hipError_tPvRmT1_PNSt15iterator_traitsISV_E10value_typeET2_T3_PNSW_IS11_E10value_typeET4_jRbjT5_S17_jjP12ihipStream_tbEUljE_EEESS_ST_SU_S11_S15_S17_T6_T7_T9_mT8_S19_bDpT10_ENKUlT_T0_E_clISt17integral_constantIbLb1EES1M_EEDaS1H_S1I_EUlS1H_E_NS1_11comp_targetILNS1_3genE8ELNS1_11target_archE1030ELNS1_3gpuE2ELNS1_3repE0EEENS1_30default_config_static_selectorELNS0_4arch9wavefront6targetE0EEEvSV_,"axG",@progbits,_ZN7rocprim17ROCPRIM_400000_NS6detail17trampoline_kernelINS0_13select_configILj256ELj13ELNS0_17block_load_methodE3ELS4_3ELS4_3ELNS0_20block_scan_algorithmE0ELj4294967295EEENS1_25partition_config_selectorILNS1_17partition_subalgoE3EjNS0_10empty_typeEbEEZZNS1_14partition_implILS8_3ELb0ES6_jNS0_17counting_iteratorIjlEEPS9_SE_NS0_5tupleIJPjSE_EEENSF_IJSE_SE_EEES9_SG_JZNS1_25segmented_radix_sort_implINS0_14default_configELb0EPKlPlSM_SN_N2at6native12_GLOBAL__N_18offset_tEEE10hipError_tPvRmT1_PNSt15iterator_traitsISV_E10value_typeET2_T3_PNSW_IS11_E10value_typeET4_jRbjT5_S17_jjP12ihipStream_tbEUljE_EEESS_ST_SU_S11_S15_S17_T6_T7_T9_mT8_S19_bDpT10_ENKUlT_T0_E_clISt17integral_constantIbLb1EES1M_EEDaS1H_S1I_EUlS1H_E_NS1_11comp_targetILNS1_3genE8ELNS1_11target_archE1030ELNS1_3gpuE2ELNS1_3repE0EEENS1_30default_config_static_selectorELNS0_4arch9wavefront6targetE0EEEvSV_,comdat
	.globl	_ZN7rocprim17ROCPRIM_400000_NS6detail17trampoline_kernelINS0_13select_configILj256ELj13ELNS0_17block_load_methodE3ELS4_3ELS4_3ELNS0_20block_scan_algorithmE0ELj4294967295EEENS1_25partition_config_selectorILNS1_17partition_subalgoE3EjNS0_10empty_typeEbEEZZNS1_14partition_implILS8_3ELb0ES6_jNS0_17counting_iteratorIjlEEPS9_SE_NS0_5tupleIJPjSE_EEENSF_IJSE_SE_EEES9_SG_JZNS1_25segmented_radix_sort_implINS0_14default_configELb0EPKlPlSM_SN_N2at6native12_GLOBAL__N_18offset_tEEE10hipError_tPvRmT1_PNSt15iterator_traitsISV_E10value_typeET2_T3_PNSW_IS11_E10value_typeET4_jRbjT5_S17_jjP12ihipStream_tbEUljE_EEESS_ST_SU_S11_S15_S17_T6_T7_T9_mT8_S19_bDpT10_ENKUlT_T0_E_clISt17integral_constantIbLb1EES1M_EEDaS1H_S1I_EUlS1H_E_NS1_11comp_targetILNS1_3genE8ELNS1_11target_archE1030ELNS1_3gpuE2ELNS1_3repE0EEENS1_30default_config_static_selectorELNS0_4arch9wavefront6targetE0EEEvSV_ ; -- Begin function _ZN7rocprim17ROCPRIM_400000_NS6detail17trampoline_kernelINS0_13select_configILj256ELj13ELNS0_17block_load_methodE3ELS4_3ELS4_3ELNS0_20block_scan_algorithmE0ELj4294967295EEENS1_25partition_config_selectorILNS1_17partition_subalgoE3EjNS0_10empty_typeEbEEZZNS1_14partition_implILS8_3ELb0ES6_jNS0_17counting_iteratorIjlEEPS9_SE_NS0_5tupleIJPjSE_EEENSF_IJSE_SE_EEES9_SG_JZNS1_25segmented_radix_sort_implINS0_14default_configELb0EPKlPlSM_SN_N2at6native12_GLOBAL__N_18offset_tEEE10hipError_tPvRmT1_PNSt15iterator_traitsISV_E10value_typeET2_T3_PNSW_IS11_E10value_typeET4_jRbjT5_S17_jjP12ihipStream_tbEUljE_EEESS_ST_SU_S11_S15_S17_T6_T7_T9_mT8_S19_bDpT10_ENKUlT_T0_E_clISt17integral_constantIbLb1EES1M_EEDaS1H_S1I_EUlS1H_E_NS1_11comp_targetILNS1_3genE8ELNS1_11target_archE1030ELNS1_3gpuE2ELNS1_3repE0EEENS1_30default_config_static_selectorELNS0_4arch9wavefront6targetE0EEEvSV_
	.p2align	8
	.type	_ZN7rocprim17ROCPRIM_400000_NS6detail17trampoline_kernelINS0_13select_configILj256ELj13ELNS0_17block_load_methodE3ELS4_3ELS4_3ELNS0_20block_scan_algorithmE0ELj4294967295EEENS1_25partition_config_selectorILNS1_17partition_subalgoE3EjNS0_10empty_typeEbEEZZNS1_14partition_implILS8_3ELb0ES6_jNS0_17counting_iteratorIjlEEPS9_SE_NS0_5tupleIJPjSE_EEENSF_IJSE_SE_EEES9_SG_JZNS1_25segmented_radix_sort_implINS0_14default_configELb0EPKlPlSM_SN_N2at6native12_GLOBAL__N_18offset_tEEE10hipError_tPvRmT1_PNSt15iterator_traitsISV_E10value_typeET2_T3_PNSW_IS11_E10value_typeET4_jRbjT5_S17_jjP12ihipStream_tbEUljE_EEESS_ST_SU_S11_S15_S17_T6_T7_T9_mT8_S19_bDpT10_ENKUlT_T0_E_clISt17integral_constantIbLb1EES1M_EEDaS1H_S1I_EUlS1H_E_NS1_11comp_targetILNS1_3genE8ELNS1_11target_archE1030ELNS1_3gpuE2ELNS1_3repE0EEENS1_30default_config_static_selectorELNS0_4arch9wavefront6targetE0EEEvSV_,@function
_ZN7rocprim17ROCPRIM_400000_NS6detail17trampoline_kernelINS0_13select_configILj256ELj13ELNS0_17block_load_methodE3ELS4_3ELS4_3ELNS0_20block_scan_algorithmE0ELj4294967295EEENS1_25partition_config_selectorILNS1_17partition_subalgoE3EjNS0_10empty_typeEbEEZZNS1_14partition_implILS8_3ELb0ES6_jNS0_17counting_iteratorIjlEEPS9_SE_NS0_5tupleIJPjSE_EEENSF_IJSE_SE_EEES9_SG_JZNS1_25segmented_radix_sort_implINS0_14default_configELb0EPKlPlSM_SN_N2at6native12_GLOBAL__N_18offset_tEEE10hipError_tPvRmT1_PNSt15iterator_traitsISV_E10value_typeET2_T3_PNSW_IS11_E10value_typeET4_jRbjT5_S17_jjP12ihipStream_tbEUljE_EEESS_ST_SU_S11_S15_S17_T6_T7_T9_mT8_S19_bDpT10_ENKUlT_T0_E_clISt17integral_constantIbLb1EES1M_EEDaS1H_S1I_EUlS1H_E_NS1_11comp_targetILNS1_3genE8ELNS1_11target_archE1030ELNS1_3gpuE2ELNS1_3repE0EEENS1_30default_config_static_selectorELNS0_4arch9wavefront6targetE0EEEvSV_: ; @_ZN7rocprim17ROCPRIM_400000_NS6detail17trampoline_kernelINS0_13select_configILj256ELj13ELNS0_17block_load_methodE3ELS4_3ELS4_3ELNS0_20block_scan_algorithmE0ELj4294967295EEENS1_25partition_config_selectorILNS1_17partition_subalgoE3EjNS0_10empty_typeEbEEZZNS1_14partition_implILS8_3ELb0ES6_jNS0_17counting_iteratorIjlEEPS9_SE_NS0_5tupleIJPjSE_EEENSF_IJSE_SE_EEES9_SG_JZNS1_25segmented_radix_sort_implINS0_14default_configELb0EPKlPlSM_SN_N2at6native12_GLOBAL__N_18offset_tEEE10hipError_tPvRmT1_PNSt15iterator_traitsISV_E10value_typeET2_T3_PNSW_IS11_E10value_typeET4_jRbjT5_S17_jjP12ihipStream_tbEUljE_EEESS_ST_SU_S11_S15_S17_T6_T7_T9_mT8_S19_bDpT10_ENKUlT_T0_E_clISt17integral_constantIbLb1EES1M_EEDaS1H_S1I_EUlS1H_E_NS1_11comp_targetILNS1_3genE8ELNS1_11target_archE1030ELNS1_3gpuE2ELNS1_3repE0EEENS1_30default_config_static_selectorELNS0_4arch9wavefront6targetE0EEEvSV_
; %bb.0:
	.section	.rodata,"a",@progbits
	.p2align	6, 0x0
	.amdhsa_kernel _ZN7rocprim17ROCPRIM_400000_NS6detail17trampoline_kernelINS0_13select_configILj256ELj13ELNS0_17block_load_methodE3ELS4_3ELS4_3ELNS0_20block_scan_algorithmE0ELj4294967295EEENS1_25partition_config_selectorILNS1_17partition_subalgoE3EjNS0_10empty_typeEbEEZZNS1_14partition_implILS8_3ELb0ES6_jNS0_17counting_iteratorIjlEEPS9_SE_NS0_5tupleIJPjSE_EEENSF_IJSE_SE_EEES9_SG_JZNS1_25segmented_radix_sort_implINS0_14default_configELb0EPKlPlSM_SN_N2at6native12_GLOBAL__N_18offset_tEEE10hipError_tPvRmT1_PNSt15iterator_traitsISV_E10value_typeET2_T3_PNSW_IS11_E10value_typeET4_jRbjT5_S17_jjP12ihipStream_tbEUljE_EEESS_ST_SU_S11_S15_S17_T6_T7_T9_mT8_S19_bDpT10_ENKUlT_T0_E_clISt17integral_constantIbLb1EES1M_EEDaS1H_S1I_EUlS1H_E_NS1_11comp_targetILNS1_3genE8ELNS1_11target_archE1030ELNS1_3gpuE2ELNS1_3repE0EEENS1_30default_config_static_selectorELNS0_4arch9wavefront6targetE0EEEvSV_
		.amdhsa_group_segment_fixed_size 0
		.amdhsa_private_segment_fixed_size 0
		.amdhsa_kernarg_size 152
		.amdhsa_user_sgpr_count 2
		.amdhsa_user_sgpr_dispatch_ptr 0
		.amdhsa_user_sgpr_queue_ptr 0
		.amdhsa_user_sgpr_kernarg_segment_ptr 1
		.amdhsa_user_sgpr_dispatch_id 0
		.amdhsa_user_sgpr_kernarg_preload_length 0
		.amdhsa_user_sgpr_kernarg_preload_offset 0
		.amdhsa_user_sgpr_private_segment_size 0
		.amdhsa_wavefront_size32 1
		.amdhsa_uses_dynamic_stack 0
		.amdhsa_enable_private_segment 0
		.amdhsa_system_sgpr_workgroup_id_x 1
		.amdhsa_system_sgpr_workgroup_id_y 0
		.amdhsa_system_sgpr_workgroup_id_z 0
		.amdhsa_system_sgpr_workgroup_info 0
		.amdhsa_system_vgpr_workitem_id 0
		.amdhsa_next_free_vgpr 1
		.amdhsa_next_free_sgpr 1
		.amdhsa_named_barrier_count 0
		.amdhsa_reserve_vcc 0
		.amdhsa_float_round_mode_32 0
		.amdhsa_float_round_mode_16_64 0
		.amdhsa_float_denorm_mode_32 3
		.amdhsa_float_denorm_mode_16_64 3
		.amdhsa_fp16_overflow 0
		.amdhsa_memory_ordered 1
		.amdhsa_forward_progress 1
		.amdhsa_inst_pref_size 0
		.amdhsa_round_robin_scheduling 0
		.amdhsa_exception_fp_ieee_invalid_op 0
		.amdhsa_exception_fp_denorm_src 0
		.amdhsa_exception_fp_ieee_div_zero 0
		.amdhsa_exception_fp_ieee_overflow 0
		.amdhsa_exception_fp_ieee_underflow 0
		.amdhsa_exception_fp_ieee_inexact 0
		.amdhsa_exception_int_div_zero 0
	.end_amdhsa_kernel
	.section	.text._ZN7rocprim17ROCPRIM_400000_NS6detail17trampoline_kernelINS0_13select_configILj256ELj13ELNS0_17block_load_methodE3ELS4_3ELS4_3ELNS0_20block_scan_algorithmE0ELj4294967295EEENS1_25partition_config_selectorILNS1_17partition_subalgoE3EjNS0_10empty_typeEbEEZZNS1_14partition_implILS8_3ELb0ES6_jNS0_17counting_iteratorIjlEEPS9_SE_NS0_5tupleIJPjSE_EEENSF_IJSE_SE_EEES9_SG_JZNS1_25segmented_radix_sort_implINS0_14default_configELb0EPKlPlSM_SN_N2at6native12_GLOBAL__N_18offset_tEEE10hipError_tPvRmT1_PNSt15iterator_traitsISV_E10value_typeET2_T3_PNSW_IS11_E10value_typeET4_jRbjT5_S17_jjP12ihipStream_tbEUljE_EEESS_ST_SU_S11_S15_S17_T6_T7_T9_mT8_S19_bDpT10_ENKUlT_T0_E_clISt17integral_constantIbLb1EES1M_EEDaS1H_S1I_EUlS1H_E_NS1_11comp_targetILNS1_3genE8ELNS1_11target_archE1030ELNS1_3gpuE2ELNS1_3repE0EEENS1_30default_config_static_selectorELNS0_4arch9wavefront6targetE0EEEvSV_,"axG",@progbits,_ZN7rocprim17ROCPRIM_400000_NS6detail17trampoline_kernelINS0_13select_configILj256ELj13ELNS0_17block_load_methodE3ELS4_3ELS4_3ELNS0_20block_scan_algorithmE0ELj4294967295EEENS1_25partition_config_selectorILNS1_17partition_subalgoE3EjNS0_10empty_typeEbEEZZNS1_14partition_implILS8_3ELb0ES6_jNS0_17counting_iteratorIjlEEPS9_SE_NS0_5tupleIJPjSE_EEENSF_IJSE_SE_EEES9_SG_JZNS1_25segmented_radix_sort_implINS0_14default_configELb0EPKlPlSM_SN_N2at6native12_GLOBAL__N_18offset_tEEE10hipError_tPvRmT1_PNSt15iterator_traitsISV_E10value_typeET2_T3_PNSW_IS11_E10value_typeET4_jRbjT5_S17_jjP12ihipStream_tbEUljE_EEESS_ST_SU_S11_S15_S17_T6_T7_T9_mT8_S19_bDpT10_ENKUlT_T0_E_clISt17integral_constantIbLb1EES1M_EEDaS1H_S1I_EUlS1H_E_NS1_11comp_targetILNS1_3genE8ELNS1_11target_archE1030ELNS1_3gpuE2ELNS1_3repE0EEENS1_30default_config_static_selectorELNS0_4arch9wavefront6targetE0EEEvSV_,comdat
.Lfunc_end786:
	.size	_ZN7rocprim17ROCPRIM_400000_NS6detail17trampoline_kernelINS0_13select_configILj256ELj13ELNS0_17block_load_methodE3ELS4_3ELS4_3ELNS0_20block_scan_algorithmE0ELj4294967295EEENS1_25partition_config_selectorILNS1_17partition_subalgoE3EjNS0_10empty_typeEbEEZZNS1_14partition_implILS8_3ELb0ES6_jNS0_17counting_iteratorIjlEEPS9_SE_NS0_5tupleIJPjSE_EEENSF_IJSE_SE_EEES9_SG_JZNS1_25segmented_radix_sort_implINS0_14default_configELb0EPKlPlSM_SN_N2at6native12_GLOBAL__N_18offset_tEEE10hipError_tPvRmT1_PNSt15iterator_traitsISV_E10value_typeET2_T3_PNSW_IS11_E10value_typeET4_jRbjT5_S17_jjP12ihipStream_tbEUljE_EEESS_ST_SU_S11_S15_S17_T6_T7_T9_mT8_S19_bDpT10_ENKUlT_T0_E_clISt17integral_constantIbLb1EES1M_EEDaS1H_S1I_EUlS1H_E_NS1_11comp_targetILNS1_3genE8ELNS1_11target_archE1030ELNS1_3gpuE2ELNS1_3repE0EEENS1_30default_config_static_selectorELNS0_4arch9wavefront6targetE0EEEvSV_, .Lfunc_end786-_ZN7rocprim17ROCPRIM_400000_NS6detail17trampoline_kernelINS0_13select_configILj256ELj13ELNS0_17block_load_methodE3ELS4_3ELS4_3ELNS0_20block_scan_algorithmE0ELj4294967295EEENS1_25partition_config_selectorILNS1_17partition_subalgoE3EjNS0_10empty_typeEbEEZZNS1_14partition_implILS8_3ELb0ES6_jNS0_17counting_iteratorIjlEEPS9_SE_NS0_5tupleIJPjSE_EEENSF_IJSE_SE_EEES9_SG_JZNS1_25segmented_radix_sort_implINS0_14default_configELb0EPKlPlSM_SN_N2at6native12_GLOBAL__N_18offset_tEEE10hipError_tPvRmT1_PNSt15iterator_traitsISV_E10value_typeET2_T3_PNSW_IS11_E10value_typeET4_jRbjT5_S17_jjP12ihipStream_tbEUljE_EEESS_ST_SU_S11_S15_S17_T6_T7_T9_mT8_S19_bDpT10_ENKUlT_T0_E_clISt17integral_constantIbLb1EES1M_EEDaS1H_S1I_EUlS1H_E_NS1_11comp_targetILNS1_3genE8ELNS1_11target_archE1030ELNS1_3gpuE2ELNS1_3repE0EEENS1_30default_config_static_selectorELNS0_4arch9wavefront6targetE0EEEvSV_
                                        ; -- End function
	.set _ZN7rocprim17ROCPRIM_400000_NS6detail17trampoline_kernelINS0_13select_configILj256ELj13ELNS0_17block_load_methodE3ELS4_3ELS4_3ELNS0_20block_scan_algorithmE0ELj4294967295EEENS1_25partition_config_selectorILNS1_17partition_subalgoE3EjNS0_10empty_typeEbEEZZNS1_14partition_implILS8_3ELb0ES6_jNS0_17counting_iteratorIjlEEPS9_SE_NS0_5tupleIJPjSE_EEENSF_IJSE_SE_EEES9_SG_JZNS1_25segmented_radix_sort_implINS0_14default_configELb0EPKlPlSM_SN_N2at6native12_GLOBAL__N_18offset_tEEE10hipError_tPvRmT1_PNSt15iterator_traitsISV_E10value_typeET2_T3_PNSW_IS11_E10value_typeET4_jRbjT5_S17_jjP12ihipStream_tbEUljE_EEESS_ST_SU_S11_S15_S17_T6_T7_T9_mT8_S19_bDpT10_ENKUlT_T0_E_clISt17integral_constantIbLb1EES1M_EEDaS1H_S1I_EUlS1H_E_NS1_11comp_targetILNS1_3genE8ELNS1_11target_archE1030ELNS1_3gpuE2ELNS1_3repE0EEENS1_30default_config_static_selectorELNS0_4arch9wavefront6targetE0EEEvSV_.num_vgpr, 0
	.set _ZN7rocprim17ROCPRIM_400000_NS6detail17trampoline_kernelINS0_13select_configILj256ELj13ELNS0_17block_load_methodE3ELS4_3ELS4_3ELNS0_20block_scan_algorithmE0ELj4294967295EEENS1_25partition_config_selectorILNS1_17partition_subalgoE3EjNS0_10empty_typeEbEEZZNS1_14partition_implILS8_3ELb0ES6_jNS0_17counting_iteratorIjlEEPS9_SE_NS0_5tupleIJPjSE_EEENSF_IJSE_SE_EEES9_SG_JZNS1_25segmented_radix_sort_implINS0_14default_configELb0EPKlPlSM_SN_N2at6native12_GLOBAL__N_18offset_tEEE10hipError_tPvRmT1_PNSt15iterator_traitsISV_E10value_typeET2_T3_PNSW_IS11_E10value_typeET4_jRbjT5_S17_jjP12ihipStream_tbEUljE_EEESS_ST_SU_S11_S15_S17_T6_T7_T9_mT8_S19_bDpT10_ENKUlT_T0_E_clISt17integral_constantIbLb1EES1M_EEDaS1H_S1I_EUlS1H_E_NS1_11comp_targetILNS1_3genE8ELNS1_11target_archE1030ELNS1_3gpuE2ELNS1_3repE0EEENS1_30default_config_static_selectorELNS0_4arch9wavefront6targetE0EEEvSV_.num_agpr, 0
	.set _ZN7rocprim17ROCPRIM_400000_NS6detail17trampoline_kernelINS0_13select_configILj256ELj13ELNS0_17block_load_methodE3ELS4_3ELS4_3ELNS0_20block_scan_algorithmE0ELj4294967295EEENS1_25partition_config_selectorILNS1_17partition_subalgoE3EjNS0_10empty_typeEbEEZZNS1_14partition_implILS8_3ELb0ES6_jNS0_17counting_iteratorIjlEEPS9_SE_NS0_5tupleIJPjSE_EEENSF_IJSE_SE_EEES9_SG_JZNS1_25segmented_radix_sort_implINS0_14default_configELb0EPKlPlSM_SN_N2at6native12_GLOBAL__N_18offset_tEEE10hipError_tPvRmT1_PNSt15iterator_traitsISV_E10value_typeET2_T3_PNSW_IS11_E10value_typeET4_jRbjT5_S17_jjP12ihipStream_tbEUljE_EEESS_ST_SU_S11_S15_S17_T6_T7_T9_mT8_S19_bDpT10_ENKUlT_T0_E_clISt17integral_constantIbLb1EES1M_EEDaS1H_S1I_EUlS1H_E_NS1_11comp_targetILNS1_3genE8ELNS1_11target_archE1030ELNS1_3gpuE2ELNS1_3repE0EEENS1_30default_config_static_selectorELNS0_4arch9wavefront6targetE0EEEvSV_.numbered_sgpr, 0
	.set _ZN7rocprim17ROCPRIM_400000_NS6detail17trampoline_kernelINS0_13select_configILj256ELj13ELNS0_17block_load_methodE3ELS4_3ELS4_3ELNS0_20block_scan_algorithmE0ELj4294967295EEENS1_25partition_config_selectorILNS1_17partition_subalgoE3EjNS0_10empty_typeEbEEZZNS1_14partition_implILS8_3ELb0ES6_jNS0_17counting_iteratorIjlEEPS9_SE_NS0_5tupleIJPjSE_EEENSF_IJSE_SE_EEES9_SG_JZNS1_25segmented_radix_sort_implINS0_14default_configELb0EPKlPlSM_SN_N2at6native12_GLOBAL__N_18offset_tEEE10hipError_tPvRmT1_PNSt15iterator_traitsISV_E10value_typeET2_T3_PNSW_IS11_E10value_typeET4_jRbjT5_S17_jjP12ihipStream_tbEUljE_EEESS_ST_SU_S11_S15_S17_T6_T7_T9_mT8_S19_bDpT10_ENKUlT_T0_E_clISt17integral_constantIbLb1EES1M_EEDaS1H_S1I_EUlS1H_E_NS1_11comp_targetILNS1_3genE8ELNS1_11target_archE1030ELNS1_3gpuE2ELNS1_3repE0EEENS1_30default_config_static_selectorELNS0_4arch9wavefront6targetE0EEEvSV_.num_named_barrier, 0
	.set _ZN7rocprim17ROCPRIM_400000_NS6detail17trampoline_kernelINS0_13select_configILj256ELj13ELNS0_17block_load_methodE3ELS4_3ELS4_3ELNS0_20block_scan_algorithmE0ELj4294967295EEENS1_25partition_config_selectorILNS1_17partition_subalgoE3EjNS0_10empty_typeEbEEZZNS1_14partition_implILS8_3ELb0ES6_jNS0_17counting_iteratorIjlEEPS9_SE_NS0_5tupleIJPjSE_EEENSF_IJSE_SE_EEES9_SG_JZNS1_25segmented_radix_sort_implINS0_14default_configELb0EPKlPlSM_SN_N2at6native12_GLOBAL__N_18offset_tEEE10hipError_tPvRmT1_PNSt15iterator_traitsISV_E10value_typeET2_T3_PNSW_IS11_E10value_typeET4_jRbjT5_S17_jjP12ihipStream_tbEUljE_EEESS_ST_SU_S11_S15_S17_T6_T7_T9_mT8_S19_bDpT10_ENKUlT_T0_E_clISt17integral_constantIbLb1EES1M_EEDaS1H_S1I_EUlS1H_E_NS1_11comp_targetILNS1_3genE8ELNS1_11target_archE1030ELNS1_3gpuE2ELNS1_3repE0EEENS1_30default_config_static_selectorELNS0_4arch9wavefront6targetE0EEEvSV_.private_seg_size, 0
	.set _ZN7rocprim17ROCPRIM_400000_NS6detail17trampoline_kernelINS0_13select_configILj256ELj13ELNS0_17block_load_methodE3ELS4_3ELS4_3ELNS0_20block_scan_algorithmE0ELj4294967295EEENS1_25partition_config_selectorILNS1_17partition_subalgoE3EjNS0_10empty_typeEbEEZZNS1_14partition_implILS8_3ELb0ES6_jNS0_17counting_iteratorIjlEEPS9_SE_NS0_5tupleIJPjSE_EEENSF_IJSE_SE_EEES9_SG_JZNS1_25segmented_radix_sort_implINS0_14default_configELb0EPKlPlSM_SN_N2at6native12_GLOBAL__N_18offset_tEEE10hipError_tPvRmT1_PNSt15iterator_traitsISV_E10value_typeET2_T3_PNSW_IS11_E10value_typeET4_jRbjT5_S17_jjP12ihipStream_tbEUljE_EEESS_ST_SU_S11_S15_S17_T6_T7_T9_mT8_S19_bDpT10_ENKUlT_T0_E_clISt17integral_constantIbLb1EES1M_EEDaS1H_S1I_EUlS1H_E_NS1_11comp_targetILNS1_3genE8ELNS1_11target_archE1030ELNS1_3gpuE2ELNS1_3repE0EEENS1_30default_config_static_selectorELNS0_4arch9wavefront6targetE0EEEvSV_.uses_vcc, 0
	.set _ZN7rocprim17ROCPRIM_400000_NS6detail17trampoline_kernelINS0_13select_configILj256ELj13ELNS0_17block_load_methodE3ELS4_3ELS4_3ELNS0_20block_scan_algorithmE0ELj4294967295EEENS1_25partition_config_selectorILNS1_17partition_subalgoE3EjNS0_10empty_typeEbEEZZNS1_14partition_implILS8_3ELb0ES6_jNS0_17counting_iteratorIjlEEPS9_SE_NS0_5tupleIJPjSE_EEENSF_IJSE_SE_EEES9_SG_JZNS1_25segmented_radix_sort_implINS0_14default_configELb0EPKlPlSM_SN_N2at6native12_GLOBAL__N_18offset_tEEE10hipError_tPvRmT1_PNSt15iterator_traitsISV_E10value_typeET2_T3_PNSW_IS11_E10value_typeET4_jRbjT5_S17_jjP12ihipStream_tbEUljE_EEESS_ST_SU_S11_S15_S17_T6_T7_T9_mT8_S19_bDpT10_ENKUlT_T0_E_clISt17integral_constantIbLb1EES1M_EEDaS1H_S1I_EUlS1H_E_NS1_11comp_targetILNS1_3genE8ELNS1_11target_archE1030ELNS1_3gpuE2ELNS1_3repE0EEENS1_30default_config_static_selectorELNS0_4arch9wavefront6targetE0EEEvSV_.uses_flat_scratch, 0
	.set _ZN7rocprim17ROCPRIM_400000_NS6detail17trampoline_kernelINS0_13select_configILj256ELj13ELNS0_17block_load_methodE3ELS4_3ELS4_3ELNS0_20block_scan_algorithmE0ELj4294967295EEENS1_25partition_config_selectorILNS1_17partition_subalgoE3EjNS0_10empty_typeEbEEZZNS1_14partition_implILS8_3ELb0ES6_jNS0_17counting_iteratorIjlEEPS9_SE_NS0_5tupleIJPjSE_EEENSF_IJSE_SE_EEES9_SG_JZNS1_25segmented_radix_sort_implINS0_14default_configELb0EPKlPlSM_SN_N2at6native12_GLOBAL__N_18offset_tEEE10hipError_tPvRmT1_PNSt15iterator_traitsISV_E10value_typeET2_T3_PNSW_IS11_E10value_typeET4_jRbjT5_S17_jjP12ihipStream_tbEUljE_EEESS_ST_SU_S11_S15_S17_T6_T7_T9_mT8_S19_bDpT10_ENKUlT_T0_E_clISt17integral_constantIbLb1EES1M_EEDaS1H_S1I_EUlS1H_E_NS1_11comp_targetILNS1_3genE8ELNS1_11target_archE1030ELNS1_3gpuE2ELNS1_3repE0EEENS1_30default_config_static_selectorELNS0_4arch9wavefront6targetE0EEEvSV_.has_dyn_sized_stack, 0
	.set _ZN7rocprim17ROCPRIM_400000_NS6detail17trampoline_kernelINS0_13select_configILj256ELj13ELNS0_17block_load_methodE3ELS4_3ELS4_3ELNS0_20block_scan_algorithmE0ELj4294967295EEENS1_25partition_config_selectorILNS1_17partition_subalgoE3EjNS0_10empty_typeEbEEZZNS1_14partition_implILS8_3ELb0ES6_jNS0_17counting_iteratorIjlEEPS9_SE_NS0_5tupleIJPjSE_EEENSF_IJSE_SE_EEES9_SG_JZNS1_25segmented_radix_sort_implINS0_14default_configELb0EPKlPlSM_SN_N2at6native12_GLOBAL__N_18offset_tEEE10hipError_tPvRmT1_PNSt15iterator_traitsISV_E10value_typeET2_T3_PNSW_IS11_E10value_typeET4_jRbjT5_S17_jjP12ihipStream_tbEUljE_EEESS_ST_SU_S11_S15_S17_T6_T7_T9_mT8_S19_bDpT10_ENKUlT_T0_E_clISt17integral_constantIbLb1EES1M_EEDaS1H_S1I_EUlS1H_E_NS1_11comp_targetILNS1_3genE8ELNS1_11target_archE1030ELNS1_3gpuE2ELNS1_3repE0EEENS1_30default_config_static_selectorELNS0_4arch9wavefront6targetE0EEEvSV_.has_recursion, 0
	.set _ZN7rocprim17ROCPRIM_400000_NS6detail17trampoline_kernelINS0_13select_configILj256ELj13ELNS0_17block_load_methodE3ELS4_3ELS4_3ELNS0_20block_scan_algorithmE0ELj4294967295EEENS1_25partition_config_selectorILNS1_17partition_subalgoE3EjNS0_10empty_typeEbEEZZNS1_14partition_implILS8_3ELb0ES6_jNS0_17counting_iteratorIjlEEPS9_SE_NS0_5tupleIJPjSE_EEENSF_IJSE_SE_EEES9_SG_JZNS1_25segmented_radix_sort_implINS0_14default_configELb0EPKlPlSM_SN_N2at6native12_GLOBAL__N_18offset_tEEE10hipError_tPvRmT1_PNSt15iterator_traitsISV_E10value_typeET2_T3_PNSW_IS11_E10value_typeET4_jRbjT5_S17_jjP12ihipStream_tbEUljE_EEESS_ST_SU_S11_S15_S17_T6_T7_T9_mT8_S19_bDpT10_ENKUlT_T0_E_clISt17integral_constantIbLb1EES1M_EEDaS1H_S1I_EUlS1H_E_NS1_11comp_targetILNS1_3genE8ELNS1_11target_archE1030ELNS1_3gpuE2ELNS1_3repE0EEENS1_30default_config_static_selectorELNS0_4arch9wavefront6targetE0EEEvSV_.has_indirect_call, 0
	.section	.AMDGPU.csdata,"",@progbits
; Kernel info:
; codeLenInByte = 0
; TotalNumSgprs: 0
; NumVgprs: 0
; ScratchSize: 0
; MemoryBound: 0
; FloatMode: 240
; IeeeMode: 1
; LDSByteSize: 0 bytes/workgroup (compile time only)
; SGPRBlocks: 0
; VGPRBlocks: 0
; NumSGPRsForWavesPerEU: 1
; NumVGPRsForWavesPerEU: 1
; NamedBarCnt: 0
; Occupancy: 16
; WaveLimiterHint : 0
; COMPUTE_PGM_RSRC2:SCRATCH_EN: 0
; COMPUTE_PGM_RSRC2:USER_SGPR: 2
; COMPUTE_PGM_RSRC2:TRAP_HANDLER: 0
; COMPUTE_PGM_RSRC2:TGID_X_EN: 1
; COMPUTE_PGM_RSRC2:TGID_Y_EN: 0
; COMPUTE_PGM_RSRC2:TGID_Z_EN: 0
; COMPUTE_PGM_RSRC2:TIDIG_COMP_CNT: 0
	.section	.text._ZN7rocprim17ROCPRIM_400000_NS6detail17trampoline_kernelINS0_13select_configILj256ELj13ELNS0_17block_load_methodE3ELS4_3ELS4_3ELNS0_20block_scan_algorithmE0ELj4294967295EEENS1_25partition_config_selectorILNS1_17partition_subalgoE3EjNS0_10empty_typeEbEEZZNS1_14partition_implILS8_3ELb0ES6_jNS0_17counting_iteratorIjlEEPS9_SE_NS0_5tupleIJPjSE_EEENSF_IJSE_SE_EEES9_SG_JZNS1_25segmented_radix_sort_implINS0_14default_configELb0EPKlPlSM_SN_N2at6native12_GLOBAL__N_18offset_tEEE10hipError_tPvRmT1_PNSt15iterator_traitsISV_E10value_typeET2_T3_PNSW_IS11_E10value_typeET4_jRbjT5_S17_jjP12ihipStream_tbEUljE_EEESS_ST_SU_S11_S15_S17_T6_T7_T9_mT8_S19_bDpT10_ENKUlT_T0_E_clISt17integral_constantIbLb1EES1L_IbLb0EEEEDaS1H_S1I_EUlS1H_E_NS1_11comp_targetILNS1_3genE0ELNS1_11target_archE4294967295ELNS1_3gpuE0ELNS1_3repE0EEENS1_30default_config_static_selectorELNS0_4arch9wavefront6targetE0EEEvSV_,"axG",@progbits,_ZN7rocprim17ROCPRIM_400000_NS6detail17trampoline_kernelINS0_13select_configILj256ELj13ELNS0_17block_load_methodE3ELS4_3ELS4_3ELNS0_20block_scan_algorithmE0ELj4294967295EEENS1_25partition_config_selectorILNS1_17partition_subalgoE3EjNS0_10empty_typeEbEEZZNS1_14partition_implILS8_3ELb0ES6_jNS0_17counting_iteratorIjlEEPS9_SE_NS0_5tupleIJPjSE_EEENSF_IJSE_SE_EEES9_SG_JZNS1_25segmented_radix_sort_implINS0_14default_configELb0EPKlPlSM_SN_N2at6native12_GLOBAL__N_18offset_tEEE10hipError_tPvRmT1_PNSt15iterator_traitsISV_E10value_typeET2_T3_PNSW_IS11_E10value_typeET4_jRbjT5_S17_jjP12ihipStream_tbEUljE_EEESS_ST_SU_S11_S15_S17_T6_T7_T9_mT8_S19_bDpT10_ENKUlT_T0_E_clISt17integral_constantIbLb1EES1L_IbLb0EEEEDaS1H_S1I_EUlS1H_E_NS1_11comp_targetILNS1_3genE0ELNS1_11target_archE4294967295ELNS1_3gpuE0ELNS1_3repE0EEENS1_30default_config_static_selectorELNS0_4arch9wavefront6targetE0EEEvSV_,comdat
	.globl	_ZN7rocprim17ROCPRIM_400000_NS6detail17trampoline_kernelINS0_13select_configILj256ELj13ELNS0_17block_load_methodE3ELS4_3ELS4_3ELNS0_20block_scan_algorithmE0ELj4294967295EEENS1_25partition_config_selectorILNS1_17partition_subalgoE3EjNS0_10empty_typeEbEEZZNS1_14partition_implILS8_3ELb0ES6_jNS0_17counting_iteratorIjlEEPS9_SE_NS0_5tupleIJPjSE_EEENSF_IJSE_SE_EEES9_SG_JZNS1_25segmented_radix_sort_implINS0_14default_configELb0EPKlPlSM_SN_N2at6native12_GLOBAL__N_18offset_tEEE10hipError_tPvRmT1_PNSt15iterator_traitsISV_E10value_typeET2_T3_PNSW_IS11_E10value_typeET4_jRbjT5_S17_jjP12ihipStream_tbEUljE_EEESS_ST_SU_S11_S15_S17_T6_T7_T9_mT8_S19_bDpT10_ENKUlT_T0_E_clISt17integral_constantIbLb1EES1L_IbLb0EEEEDaS1H_S1I_EUlS1H_E_NS1_11comp_targetILNS1_3genE0ELNS1_11target_archE4294967295ELNS1_3gpuE0ELNS1_3repE0EEENS1_30default_config_static_selectorELNS0_4arch9wavefront6targetE0EEEvSV_ ; -- Begin function _ZN7rocprim17ROCPRIM_400000_NS6detail17trampoline_kernelINS0_13select_configILj256ELj13ELNS0_17block_load_methodE3ELS4_3ELS4_3ELNS0_20block_scan_algorithmE0ELj4294967295EEENS1_25partition_config_selectorILNS1_17partition_subalgoE3EjNS0_10empty_typeEbEEZZNS1_14partition_implILS8_3ELb0ES6_jNS0_17counting_iteratorIjlEEPS9_SE_NS0_5tupleIJPjSE_EEENSF_IJSE_SE_EEES9_SG_JZNS1_25segmented_radix_sort_implINS0_14default_configELb0EPKlPlSM_SN_N2at6native12_GLOBAL__N_18offset_tEEE10hipError_tPvRmT1_PNSt15iterator_traitsISV_E10value_typeET2_T3_PNSW_IS11_E10value_typeET4_jRbjT5_S17_jjP12ihipStream_tbEUljE_EEESS_ST_SU_S11_S15_S17_T6_T7_T9_mT8_S19_bDpT10_ENKUlT_T0_E_clISt17integral_constantIbLb1EES1L_IbLb0EEEEDaS1H_S1I_EUlS1H_E_NS1_11comp_targetILNS1_3genE0ELNS1_11target_archE4294967295ELNS1_3gpuE0ELNS1_3repE0EEENS1_30default_config_static_selectorELNS0_4arch9wavefront6targetE0EEEvSV_
	.p2align	8
	.type	_ZN7rocprim17ROCPRIM_400000_NS6detail17trampoline_kernelINS0_13select_configILj256ELj13ELNS0_17block_load_methodE3ELS4_3ELS4_3ELNS0_20block_scan_algorithmE0ELj4294967295EEENS1_25partition_config_selectorILNS1_17partition_subalgoE3EjNS0_10empty_typeEbEEZZNS1_14partition_implILS8_3ELb0ES6_jNS0_17counting_iteratorIjlEEPS9_SE_NS0_5tupleIJPjSE_EEENSF_IJSE_SE_EEES9_SG_JZNS1_25segmented_radix_sort_implINS0_14default_configELb0EPKlPlSM_SN_N2at6native12_GLOBAL__N_18offset_tEEE10hipError_tPvRmT1_PNSt15iterator_traitsISV_E10value_typeET2_T3_PNSW_IS11_E10value_typeET4_jRbjT5_S17_jjP12ihipStream_tbEUljE_EEESS_ST_SU_S11_S15_S17_T6_T7_T9_mT8_S19_bDpT10_ENKUlT_T0_E_clISt17integral_constantIbLb1EES1L_IbLb0EEEEDaS1H_S1I_EUlS1H_E_NS1_11comp_targetILNS1_3genE0ELNS1_11target_archE4294967295ELNS1_3gpuE0ELNS1_3repE0EEENS1_30default_config_static_selectorELNS0_4arch9wavefront6targetE0EEEvSV_,@function
_ZN7rocprim17ROCPRIM_400000_NS6detail17trampoline_kernelINS0_13select_configILj256ELj13ELNS0_17block_load_methodE3ELS4_3ELS4_3ELNS0_20block_scan_algorithmE0ELj4294967295EEENS1_25partition_config_selectorILNS1_17partition_subalgoE3EjNS0_10empty_typeEbEEZZNS1_14partition_implILS8_3ELb0ES6_jNS0_17counting_iteratorIjlEEPS9_SE_NS0_5tupleIJPjSE_EEENSF_IJSE_SE_EEES9_SG_JZNS1_25segmented_radix_sort_implINS0_14default_configELb0EPKlPlSM_SN_N2at6native12_GLOBAL__N_18offset_tEEE10hipError_tPvRmT1_PNSt15iterator_traitsISV_E10value_typeET2_T3_PNSW_IS11_E10value_typeET4_jRbjT5_S17_jjP12ihipStream_tbEUljE_EEESS_ST_SU_S11_S15_S17_T6_T7_T9_mT8_S19_bDpT10_ENKUlT_T0_E_clISt17integral_constantIbLb1EES1L_IbLb0EEEEDaS1H_S1I_EUlS1H_E_NS1_11comp_targetILNS1_3genE0ELNS1_11target_archE4294967295ELNS1_3gpuE0ELNS1_3repE0EEENS1_30default_config_static_selectorELNS0_4arch9wavefront6targetE0EEEvSV_: ; @_ZN7rocprim17ROCPRIM_400000_NS6detail17trampoline_kernelINS0_13select_configILj256ELj13ELNS0_17block_load_methodE3ELS4_3ELS4_3ELNS0_20block_scan_algorithmE0ELj4294967295EEENS1_25partition_config_selectorILNS1_17partition_subalgoE3EjNS0_10empty_typeEbEEZZNS1_14partition_implILS8_3ELb0ES6_jNS0_17counting_iteratorIjlEEPS9_SE_NS0_5tupleIJPjSE_EEENSF_IJSE_SE_EEES9_SG_JZNS1_25segmented_radix_sort_implINS0_14default_configELb0EPKlPlSM_SN_N2at6native12_GLOBAL__N_18offset_tEEE10hipError_tPvRmT1_PNSt15iterator_traitsISV_E10value_typeET2_T3_PNSW_IS11_E10value_typeET4_jRbjT5_S17_jjP12ihipStream_tbEUljE_EEESS_ST_SU_S11_S15_S17_T6_T7_T9_mT8_S19_bDpT10_ENKUlT_T0_E_clISt17integral_constantIbLb1EES1L_IbLb0EEEEDaS1H_S1I_EUlS1H_E_NS1_11comp_targetILNS1_3genE0ELNS1_11target_archE4294967295ELNS1_3gpuE0ELNS1_3repE0EEENS1_30default_config_static_selectorELNS0_4arch9wavefront6targetE0EEEvSV_
; %bb.0:
	s_endpgm
	.section	.rodata,"a",@progbits
	.p2align	6, 0x0
	.amdhsa_kernel _ZN7rocprim17ROCPRIM_400000_NS6detail17trampoline_kernelINS0_13select_configILj256ELj13ELNS0_17block_load_methodE3ELS4_3ELS4_3ELNS0_20block_scan_algorithmE0ELj4294967295EEENS1_25partition_config_selectorILNS1_17partition_subalgoE3EjNS0_10empty_typeEbEEZZNS1_14partition_implILS8_3ELb0ES6_jNS0_17counting_iteratorIjlEEPS9_SE_NS0_5tupleIJPjSE_EEENSF_IJSE_SE_EEES9_SG_JZNS1_25segmented_radix_sort_implINS0_14default_configELb0EPKlPlSM_SN_N2at6native12_GLOBAL__N_18offset_tEEE10hipError_tPvRmT1_PNSt15iterator_traitsISV_E10value_typeET2_T3_PNSW_IS11_E10value_typeET4_jRbjT5_S17_jjP12ihipStream_tbEUljE_EEESS_ST_SU_S11_S15_S17_T6_T7_T9_mT8_S19_bDpT10_ENKUlT_T0_E_clISt17integral_constantIbLb1EES1L_IbLb0EEEEDaS1H_S1I_EUlS1H_E_NS1_11comp_targetILNS1_3genE0ELNS1_11target_archE4294967295ELNS1_3gpuE0ELNS1_3repE0EEENS1_30default_config_static_selectorELNS0_4arch9wavefront6targetE0EEEvSV_
		.amdhsa_group_segment_fixed_size 0
		.amdhsa_private_segment_fixed_size 0
		.amdhsa_kernarg_size 144
		.amdhsa_user_sgpr_count 2
		.amdhsa_user_sgpr_dispatch_ptr 0
		.amdhsa_user_sgpr_queue_ptr 0
		.amdhsa_user_sgpr_kernarg_segment_ptr 1
		.amdhsa_user_sgpr_dispatch_id 0
		.amdhsa_user_sgpr_kernarg_preload_length 0
		.amdhsa_user_sgpr_kernarg_preload_offset 0
		.amdhsa_user_sgpr_private_segment_size 0
		.amdhsa_wavefront_size32 1
		.amdhsa_uses_dynamic_stack 0
		.amdhsa_enable_private_segment 0
		.amdhsa_system_sgpr_workgroup_id_x 1
		.amdhsa_system_sgpr_workgroup_id_y 0
		.amdhsa_system_sgpr_workgroup_id_z 0
		.amdhsa_system_sgpr_workgroup_info 0
		.amdhsa_system_vgpr_workitem_id 0
		.amdhsa_next_free_vgpr 1
		.amdhsa_next_free_sgpr 1
		.amdhsa_named_barrier_count 0
		.amdhsa_reserve_vcc 0
		.amdhsa_float_round_mode_32 0
		.amdhsa_float_round_mode_16_64 0
		.amdhsa_float_denorm_mode_32 3
		.amdhsa_float_denorm_mode_16_64 3
		.amdhsa_fp16_overflow 0
		.amdhsa_memory_ordered 1
		.amdhsa_forward_progress 1
		.amdhsa_inst_pref_size 1
		.amdhsa_round_robin_scheduling 0
		.amdhsa_exception_fp_ieee_invalid_op 0
		.amdhsa_exception_fp_denorm_src 0
		.amdhsa_exception_fp_ieee_div_zero 0
		.amdhsa_exception_fp_ieee_overflow 0
		.amdhsa_exception_fp_ieee_underflow 0
		.amdhsa_exception_fp_ieee_inexact 0
		.amdhsa_exception_int_div_zero 0
	.end_amdhsa_kernel
	.section	.text._ZN7rocprim17ROCPRIM_400000_NS6detail17trampoline_kernelINS0_13select_configILj256ELj13ELNS0_17block_load_methodE3ELS4_3ELS4_3ELNS0_20block_scan_algorithmE0ELj4294967295EEENS1_25partition_config_selectorILNS1_17partition_subalgoE3EjNS0_10empty_typeEbEEZZNS1_14partition_implILS8_3ELb0ES6_jNS0_17counting_iteratorIjlEEPS9_SE_NS0_5tupleIJPjSE_EEENSF_IJSE_SE_EEES9_SG_JZNS1_25segmented_radix_sort_implINS0_14default_configELb0EPKlPlSM_SN_N2at6native12_GLOBAL__N_18offset_tEEE10hipError_tPvRmT1_PNSt15iterator_traitsISV_E10value_typeET2_T3_PNSW_IS11_E10value_typeET4_jRbjT5_S17_jjP12ihipStream_tbEUljE_EEESS_ST_SU_S11_S15_S17_T6_T7_T9_mT8_S19_bDpT10_ENKUlT_T0_E_clISt17integral_constantIbLb1EES1L_IbLb0EEEEDaS1H_S1I_EUlS1H_E_NS1_11comp_targetILNS1_3genE0ELNS1_11target_archE4294967295ELNS1_3gpuE0ELNS1_3repE0EEENS1_30default_config_static_selectorELNS0_4arch9wavefront6targetE0EEEvSV_,"axG",@progbits,_ZN7rocprim17ROCPRIM_400000_NS6detail17trampoline_kernelINS0_13select_configILj256ELj13ELNS0_17block_load_methodE3ELS4_3ELS4_3ELNS0_20block_scan_algorithmE0ELj4294967295EEENS1_25partition_config_selectorILNS1_17partition_subalgoE3EjNS0_10empty_typeEbEEZZNS1_14partition_implILS8_3ELb0ES6_jNS0_17counting_iteratorIjlEEPS9_SE_NS0_5tupleIJPjSE_EEENSF_IJSE_SE_EEES9_SG_JZNS1_25segmented_radix_sort_implINS0_14default_configELb0EPKlPlSM_SN_N2at6native12_GLOBAL__N_18offset_tEEE10hipError_tPvRmT1_PNSt15iterator_traitsISV_E10value_typeET2_T3_PNSW_IS11_E10value_typeET4_jRbjT5_S17_jjP12ihipStream_tbEUljE_EEESS_ST_SU_S11_S15_S17_T6_T7_T9_mT8_S19_bDpT10_ENKUlT_T0_E_clISt17integral_constantIbLb1EES1L_IbLb0EEEEDaS1H_S1I_EUlS1H_E_NS1_11comp_targetILNS1_3genE0ELNS1_11target_archE4294967295ELNS1_3gpuE0ELNS1_3repE0EEENS1_30default_config_static_selectorELNS0_4arch9wavefront6targetE0EEEvSV_,comdat
.Lfunc_end787:
	.size	_ZN7rocprim17ROCPRIM_400000_NS6detail17trampoline_kernelINS0_13select_configILj256ELj13ELNS0_17block_load_methodE3ELS4_3ELS4_3ELNS0_20block_scan_algorithmE0ELj4294967295EEENS1_25partition_config_selectorILNS1_17partition_subalgoE3EjNS0_10empty_typeEbEEZZNS1_14partition_implILS8_3ELb0ES6_jNS0_17counting_iteratorIjlEEPS9_SE_NS0_5tupleIJPjSE_EEENSF_IJSE_SE_EEES9_SG_JZNS1_25segmented_radix_sort_implINS0_14default_configELb0EPKlPlSM_SN_N2at6native12_GLOBAL__N_18offset_tEEE10hipError_tPvRmT1_PNSt15iterator_traitsISV_E10value_typeET2_T3_PNSW_IS11_E10value_typeET4_jRbjT5_S17_jjP12ihipStream_tbEUljE_EEESS_ST_SU_S11_S15_S17_T6_T7_T9_mT8_S19_bDpT10_ENKUlT_T0_E_clISt17integral_constantIbLb1EES1L_IbLb0EEEEDaS1H_S1I_EUlS1H_E_NS1_11comp_targetILNS1_3genE0ELNS1_11target_archE4294967295ELNS1_3gpuE0ELNS1_3repE0EEENS1_30default_config_static_selectorELNS0_4arch9wavefront6targetE0EEEvSV_, .Lfunc_end787-_ZN7rocprim17ROCPRIM_400000_NS6detail17trampoline_kernelINS0_13select_configILj256ELj13ELNS0_17block_load_methodE3ELS4_3ELS4_3ELNS0_20block_scan_algorithmE0ELj4294967295EEENS1_25partition_config_selectorILNS1_17partition_subalgoE3EjNS0_10empty_typeEbEEZZNS1_14partition_implILS8_3ELb0ES6_jNS0_17counting_iteratorIjlEEPS9_SE_NS0_5tupleIJPjSE_EEENSF_IJSE_SE_EEES9_SG_JZNS1_25segmented_radix_sort_implINS0_14default_configELb0EPKlPlSM_SN_N2at6native12_GLOBAL__N_18offset_tEEE10hipError_tPvRmT1_PNSt15iterator_traitsISV_E10value_typeET2_T3_PNSW_IS11_E10value_typeET4_jRbjT5_S17_jjP12ihipStream_tbEUljE_EEESS_ST_SU_S11_S15_S17_T6_T7_T9_mT8_S19_bDpT10_ENKUlT_T0_E_clISt17integral_constantIbLb1EES1L_IbLb0EEEEDaS1H_S1I_EUlS1H_E_NS1_11comp_targetILNS1_3genE0ELNS1_11target_archE4294967295ELNS1_3gpuE0ELNS1_3repE0EEENS1_30default_config_static_selectorELNS0_4arch9wavefront6targetE0EEEvSV_
                                        ; -- End function
	.set _ZN7rocprim17ROCPRIM_400000_NS6detail17trampoline_kernelINS0_13select_configILj256ELj13ELNS0_17block_load_methodE3ELS4_3ELS4_3ELNS0_20block_scan_algorithmE0ELj4294967295EEENS1_25partition_config_selectorILNS1_17partition_subalgoE3EjNS0_10empty_typeEbEEZZNS1_14partition_implILS8_3ELb0ES6_jNS0_17counting_iteratorIjlEEPS9_SE_NS0_5tupleIJPjSE_EEENSF_IJSE_SE_EEES9_SG_JZNS1_25segmented_radix_sort_implINS0_14default_configELb0EPKlPlSM_SN_N2at6native12_GLOBAL__N_18offset_tEEE10hipError_tPvRmT1_PNSt15iterator_traitsISV_E10value_typeET2_T3_PNSW_IS11_E10value_typeET4_jRbjT5_S17_jjP12ihipStream_tbEUljE_EEESS_ST_SU_S11_S15_S17_T6_T7_T9_mT8_S19_bDpT10_ENKUlT_T0_E_clISt17integral_constantIbLb1EES1L_IbLb0EEEEDaS1H_S1I_EUlS1H_E_NS1_11comp_targetILNS1_3genE0ELNS1_11target_archE4294967295ELNS1_3gpuE0ELNS1_3repE0EEENS1_30default_config_static_selectorELNS0_4arch9wavefront6targetE0EEEvSV_.num_vgpr, 0
	.set _ZN7rocprim17ROCPRIM_400000_NS6detail17trampoline_kernelINS0_13select_configILj256ELj13ELNS0_17block_load_methodE3ELS4_3ELS4_3ELNS0_20block_scan_algorithmE0ELj4294967295EEENS1_25partition_config_selectorILNS1_17partition_subalgoE3EjNS0_10empty_typeEbEEZZNS1_14partition_implILS8_3ELb0ES6_jNS0_17counting_iteratorIjlEEPS9_SE_NS0_5tupleIJPjSE_EEENSF_IJSE_SE_EEES9_SG_JZNS1_25segmented_radix_sort_implINS0_14default_configELb0EPKlPlSM_SN_N2at6native12_GLOBAL__N_18offset_tEEE10hipError_tPvRmT1_PNSt15iterator_traitsISV_E10value_typeET2_T3_PNSW_IS11_E10value_typeET4_jRbjT5_S17_jjP12ihipStream_tbEUljE_EEESS_ST_SU_S11_S15_S17_T6_T7_T9_mT8_S19_bDpT10_ENKUlT_T0_E_clISt17integral_constantIbLb1EES1L_IbLb0EEEEDaS1H_S1I_EUlS1H_E_NS1_11comp_targetILNS1_3genE0ELNS1_11target_archE4294967295ELNS1_3gpuE0ELNS1_3repE0EEENS1_30default_config_static_selectorELNS0_4arch9wavefront6targetE0EEEvSV_.num_agpr, 0
	.set _ZN7rocprim17ROCPRIM_400000_NS6detail17trampoline_kernelINS0_13select_configILj256ELj13ELNS0_17block_load_methodE3ELS4_3ELS4_3ELNS0_20block_scan_algorithmE0ELj4294967295EEENS1_25partition_config_selectorILNS1_17partition_subalgoE3EjNS0_10empty_typeEbEEZZNS1_14partition_implILS8_3ELb0ES6_jNS0_17counting_iteratorIjlEEPS9_SE_NS0_5tupleIJPjSE_EEENSF_IJSE_SE_EEES9_SG_JZNS1_25segmented_radix_sort_implINS0_14default_configELb0EPKlPlSM_SN_N2at6native12_GLOBAL__N_18offset_tEEE10hipError_tPvRmT1_PNSt15iterator_traitsISV_E10value_typeET2_T3_PNSW_IS11_E10value_typeET4_jRbjT5_S17_jjP12ihipStream_tbEUljE_EEESS_ST_SU_S11_S15_S17_T6_T7_T9_mT8_S19_bDpT10_ENKUlT_T0_E_clISt17integral_constantIbLb1EES1L_IbLb0EEEEDaS1H_S1I_EUlS1H_E_NS1_11comp_targetILNS1_3genE0ELNS1_11target_archE4294967295ELNS1_3gpuE0ELNS1_3repE0EEENS1_30default_config_static_selectorELNS0_4arch9wavefront6targetE0EEEvSV_.numbered_sgpr, 0
	.set _ZN7rocprim17ROCPRIM_400000_NS6detail17trampoline_kernelINS0_13select_configILj256ELj13ELNS0_17block_load_methodE3ELS4_3ELS4_3ELNS0_20block_scan_algorithmE0ELj4294967295EEENS1_25partition_config_selectorILNS1_17partition_subalgoE3EjNS0_10empty_typeEbEEZZNS1_14partition_implILS8_3ELb0ES6_jNS0_17counting_iteratorIjlEEPS9_SE_NS0_5tupleIJPjSE_EEENSF_IJSE_SE_EEES9_SG_JZNS1_25segmented_radix_sort_implINS0_14default_configELb0EPKlPlSM_SN_N2at6native12_GLOBAL__N_18offset_tEEE10hipError_tPvRmT1_PNSt15iterator_traitsISV_E10value_typeET2_T3_PNSW_IS11_E10value_typeET4_jRbjT5_S17_jjP12ihipStream_tbEUljE_EEESS_ST_SU_S11_S15_S17_T6_T7_T9_mT8_S19_bDpT10_ENKUlT_T0_E_clISt17integral_constantIbLb1EES1L_IbLb0EEEEDaS1H_S1I_EUlS1H_E_NS1_11comp_targetILNS1_3genE0ELNS1_11target_archE4294967295ELNS1_3gpuE0ELNS1_3repE0EEENS1_30default_config_static_selectorELNS0_4arch9wavefront6targetE0EEEvSV_.num_named_barrier, 0
	.set _ZN7rocprim17ROCPRIM_400000_NS6detail17trampoline_kernelINS0_13select_configILj256ELj13ELNS0_17block_load_methodE3ELS4_3ELS4_3ELNS0_20block_scan_algorithmE0ELj4294967295EEENS1_25partition_config_selectorILNS1_17partition_subalgoE3EjNS0_10empty_typeEbEEZZNS1_14partition_implILS8_3ELb0ES6_jNS0_17counting_iteratorIjlEEPS9_SE_NS0_5tupleIJPjSE_EEENSF_IJSE_SE_EEES9_SG_JZNS1_25segmented_radix_sort_implINS0_14default_configELb0EPKlPlSM_SN_N2at6native12_GLOBAL__N_18offset_tEEE10hipError_tPvRmT1_PNSt15iterator_traitsISV_E10value_typeET2_T3_PNSW_IS11_E10value_typeET4_jRbjT5_S17_jjP12ihipStream_tbEUljE_EEESS_ST_SU_S11_S15_S17_T6_T7_T9_mT8_S19_bDpT10_ENKUlT_T0_E_clISt17integral_constantIbLb1EES1L_IbLb0EEEEDaS1H_S1I_EUlS1H_E_NS1_11comp_targetILNS1_3genE0ELNS1_11target_archE4294967295ELNS1_3gpuE0ELNS1_3repE0EEENS1_30default_config_static_selectorELNS0_4arch9wavefront6targetE0EEEvSV_.private_seg_size, 0
	.set _ZN7rocprim17ROCPRIM_400000_NS6detail17trampoline_kernelINS0_13select_configILj256ELj13ELNS0_17block_load_methodE3ELS4_3ELS4_3ELNS0_20block_scan_algorithmE0ELj4294967295EEENS1_25partition_config_selectorILNS1_17partition_subalgoE3EjNS0_10empty_typeEbEEZZNS1_14partition_implILS8_3ELb0ES6_jNS0_17counting_iteratorIjlEEPS9_SE_NS0_5tupleIJPjSE_EEENSF_IJSE_SE_EEES9_SG_JZNS1_25segmented_radix_sort_implINS0_14default_configELb0EPKlPlSM_SN_N2at6native12_GLOBAL__N_18offset_tEEE10hipError_tPvRmT1_PNSt15iterator_traitsISV_E10value_typeET2_T3_PNSW_IS11_E10value_typeET4_jRbjT5_S17_jjP12ihipStream_tbEUljE_EEESS_ST_SU_S11_S15_S17_T6_T7_T9_mT8_S19_bDpT10_ENKUlT_T0_E_clISt17integral_constantIbLb1EES1L_IbLb0EEEEDaS1H_S1I_EUlS1H_E_NS1_11comp_targetILNS1_3genE0ELNS1_11target_archE4294967295ELNS1_3gpuE0ELNS1_3repE0EEENS1_30default_config_static_selectorELNS0_4arch9wavefront6targetE0EEEvSV_.uses_vcc, 0
	.set _ZN7rocprim17ROCPRIM_400000_NS6detail17trampoline_kernelINS0_13select_configILj256ELj13ELNS0_17block_load_methodE3ELS4_3ELS4_3ELNS0_20block_scan_algorithmE0ELj4294967295EEENS1_25partition_config_selectorILNS1_17partition_subalgoE3EjNS0_10empty_typeEbEEZZNS1_14partition_implILS8_3ELb0ES6_jNS0_17counting_iteratorIjlEEPS9_SE_NS0_5tupleIJPjSE_EEENSF_IJSE_SE_EEES9_SG_JZNS1_25segmented_radix_sort_implINS0_14default_configELb0EPKlPlSM_SN_N2at6native12_GLOBAL__N_18offset_tEEE10hipError_tPvRmT1_PNSt15iterator_traitsISV_E10value_typeET2_T3_PNSW_IS11_E10value_typeET4_jRbjT5_S17_jjP12ihipStream_tbEUljE_EEESS_ST_SU_S11_S15_S17_T6_T7_T9_mT8_S19_bDpT10_ENKUlT_T0_E_clISt17integral_constantIbLb1EES1L_IbLb0EEEEDaS1H_S1I_EUlS1H_E_NS1_11comp_targetILNS1_3genE0ELNS1_11target_archE4294967295ELNS1_3gpuE0ELNS1_3repE0EEENS1_30default_config_static_selectorELNS0_4arch9wavefront6targetE0EEEvSV_.uses_flat_scratch, 0
	.set _ZN7rocprim17ROCPRIM_400000_NS6detail17trampoline_kernelINS0_13select_configILj256ELj13ELNS0_17block_load_methodE3ELS4_3ELS4_3ELNS0_20block_scan_algorithmE0ELj4294967295EEENS1_25partition_config_selectorILNS1_17partition_subalgoE3EjNS0_10empty_typeEbEEZZNS1_14partition_implILS8_3ELb0ES6_jNS0_17counting_iteratorIjlEEPS9_SE_NS0_5tupleIJPjSE_EEENSF_IJSE_SE_EEES9_SG_JZNS1_25segmented_radix_sort_implINS0_14default_configELb0EPKlPlSM_SN_N2at6native12_GLOBAL__N_18offset_tEEE10hipError_tPvRmT1_PNSt15iterator_traitsISV_E10value_typeET2_T3_PNSW_IS11_E10value_typeET4_jRbjT5_S17_jjP12ihipStream_tbEUljE_EEESS_ST_SU_S11_S15_S17_T6_T7_T9_mT8_S19_bDpT10_ENKUlT_T0_E_clISt17integral_constantIbLb1EES1L_IbLb0EEEEDaS1H_S1I_EUlS1H_E_NS1_11comp_targetILNS1_3genE0ELNS1_11target_archE4294967295ELNS1_3gpuE0ELNS1_3repE0EEENS1_30default_config_static_selectorELNS0_4arch9wavefront6targetE0EEEvSV_.has_dyn_sized_stack, 0
	.set _ZN7rocprim17ROCPRIM_400000_NS6detail17trampoline_kernelINS0_13select_configILj256ELj13ELNS0_17block_load_methodE3ELS4_3ELS4_3ELNS0_20block_scan_algorithmE0ELj4294967295EEENS1_25partition_config_selectorILNS1_17partition_subalgoE3EjNS0_10empty_typeEbEEZZNS1_14partition_implILS8_3ELb0ES6_jNS0_17counting_iteratorIjlEEPS9_SE_NS0_5tupleIJPjSE_EEENSF_IJSE_SE_EEES9_SG_JZNS1_25segmented_radix_sort_implINS0_14default_configELb0EPKlPlSM_SN_N2at6native12_GLOBAL__N_18offset_tEEE10hipError_tPvRmT1_PNSt15iterator_traitsISV_E10value_typeET2_T3_PNSW_IS11_E10value_typeET4_jRbjT5_S17_jjP12ihipStream_tbEUljE_EEESS_ST_SU_S11_S15_S17_T6_T7_T9_mT8_S19_bDpT10_ENKUlT_T0_E_clISt17integral_constantIbLb1EES1L_IbLb0EEEEDaS1H_S1I_EUlS1H_E_NS1_11comp_targetILNS1_3genE0ELNS1_11target_archE4294967295ELNS1_3gpuE0ELNS1_3repE0EEENS1_30default_config_static_selectorELNS0_4arch9wavefront6targetE0EEEvSV_.has_recursion, 0
	.set _ZN7rocprim17ROCPRIM_400000_NS6detail17trampoline_kernelINS0_13select_configILj256ELj13ELNS0_17block_load_methodE3ELS4_3ELS4_3ELNS0_20block_scan_algorithmE0ELj4294967295EEENS1_25partition_config_selectorILNS1_17partition_subalgoE3EjNS0_10empty_typeEbEEZZNS1_14partition_implILS8_3ELb0ES6_jNS0_17counting_iteratorIjlEEPS9_SE_NS0_5tupleIJPjSE_EEENSF_IJSE_SE_EEES9_SG_JZNS1_25segmented_radix_sort_implINS0_14default_configELb0EPKlPlSM_SN_N2at6native12_GLOBAL__N_18offset_tEEE10hipError_tPvRmT1_PNSt15iterator_traitsISV_E10value_typeET2_T3_PNSW_IS11_E10value_typeET4_jRbjT5_S17_jjP12ihipStream_tbEUljE_EEESS_ST_SU_S11_S15_S17_T6_T7_T9_mT8_S19_bDpT10_ENKUlT_T0_E_clISt17integral_constantIbLb1EES1L_IbLb0EEEEDaS1H_S1I_EUlS1H_E_NS1_11comp_targetILNS1_3genE0ELNS1_11target_archE4294967295ELNS1_3gpuE0ELNS1_3repE0EEENS1_30default_config_static_selectorELNS0_4arch9wavefront6targetE0EEEvSV_.has_indirect_call, 0
	.section	.AMDGPU.csdata,"",@progbits
; Kernel info:
; codeLenInByte = 4
; TotalNumSgprs: 0
; NumVgprs: 0
; ScratchSize: 0
; MemoryBound: 0
; FloatMode: 240
; IeeeMode: 1
; LDSByteSize: 0 bytes/workgroup (compile time only)
; SGPRBlocks: 0
; VGPRBlocks: 0
; NumSGPRsForWavesPerEU: 1
; NumVGPRsForWavesPerEU: 1
; NamedBarCnt: 0
; Occupancy: 16
; WaveLimiterHint : 0
; COMPUTE_PGM_RSRC2:SCRATCH_EN: 0
; COMPUTE_PGM_RSRC2:USER_SGPR: 2
; COMPUTE_PGM_RSRC2:TRAP_HANDLER: 0
; COMPUTE_PGM_RSRC2:TGID_X_EN: 1
; COMPUTE_PGM_RSRC2:TGID_Y_EN: 0
; COMPUTE_PGM_RSRC2:TGID_Z_EN: 0
; COMPUTE_PGM_RSRC2:TIDIG_COMP_CNT: 0
	.section	.text._ZN7rocprim17ROCPRIM_400000_NS6detail17trampoline_kernelINS0_13select_configILj256ELj13ELNS0_17block_load_methodE3ELS4_3ELS4_3ELNS0_20block_scan_algorithmE0ELj4294967295EEENS1_25partition_config_selectorILNS1_17partition_subalgoE3EjNS0_10empty_typeEbEEZZNS1_14partition_implILS8_3ELb0ES6_jNS0_17counting_iteratorIjlEEPS9_SE_NS0_5tupleIJPjSE_EEENSF_IJSE_SE_EEES9_SG_JZNS1_25segmented_radix_sort_implINS0_14default_configELb0EPKlPlSM_SN_N2at6native12_GLOBAL__N_18offset_tEEE10hipError_tPvRmT1_PNSt15iterator_traitsISV_E10value_typeET2_T3_PNSW_IS11_E10value_typeET4_jRbjT5_S17_jjP12ihipStream_tbEUljE_EEESS_ST_SU_S11_S15_S17_T6_T7_T9_mT8_S19_bDpT10_ENKUlT_T0_E_clISt17integral_constantIbLb1EES1L_IbLb0EEEEDaS1H_S1I_EUlS1H_E_NS1_11comp_targetILNS1_3genE5ELNS1_11target_archE942ELNS1_3gpuE9ELNS1_3repE0EEENS1_30default_config_static_selectorELNS0_4arch9wavefront6targetE0EEEvSV_,"axG",@progbits,_ZN7rocprim17ROCPRIM_400000_NS6detail17trampoline_kernelINS0_13select_configILj256ELj13ELNS0_17block_load_methodE3ELS4_3ELS4_3ELNS0_20block_scan_algorithmE0ELj4294967295EEENS1_25partition_config_selectorILNS1_17partition_subalgoE3EjNS0_10empty_typeEbEEZZNS1_14partition_implILS8_3ELb0ES6_jNS0_17counting_iteratorIjlEEPS9_SE_NS0_5tupleIJPjSE_EEENSF_IJSE_SE_EEES9_SG_JZNS1_25segmented_radix_sort_implINS0_14default_configELb0EPKlPlSM_SN_N2at6native12_GLOBAL__N_18offset_tEEE10hipError_tPvRmT1_PNSt15iterator_traitsISV_E10value_typeET2_T3_PNSW_IS11_E10value_typeET4_jRbjT5_S17_jjP12ihipStream_tbEUljE_EEESS_ST_SU_S11_S15_S17_T6_T7_T9_mT8_S19_bDpT10_ENKUlT_T0_E_clISt17integral_constantIbLb1EES1L_IbLb0EEEEDaS1H_S1I_EUlS1H_E_NS1_11comp_targetILNS1_3genE5ELNS1_11target_archE942ELNS1_3gpuE9ELNS1_3repE0EEENS1_30default_config_static_selectorELNS0_4arch9wavefront6targetE0EEEvSV_,comdat
	.globl	_ZN7rocprim17ROCPRIM_400000_NS6detail17trampoline_kernelINS0_13select_configILj256ELj13ELNS0_17block_load_methodE3ELS4_3ELS4_3ELNS0_20block_scan_algorithmE0ELj4294967295EEENS1_25partition_config_selectorILNS1_17partition_subalgoE3EjNS0_10empty_typeEbEEZZNS1_14partition_implILS8_3ELb0ES6_jNS0_17counting_iteratorIjlEEPS9_SE_NS0_5tupleIJPjSE_EEENSF_IJSE_SE_EEES9_SG_JZNS1_25segmented_radix_sort_implINS0_14default_configELb0EPKlPlSM_SN_N2at6native12_GLOBAL__N_18offset_tEEE10hipError_tPvRmT1_PNSt15iterator_traitsISV_E10value_typeET2_T3_PNSW_IS11_E10value_typeET4_jRbjT5_S17_jjP12ihipStream_tbEUljE_EEESS_ST_SU_S11_S15_S17_T6_T7_T9_mT8_S19_bDpT10_ENKUlT_T0_E_clISt17integral_constantIbLb1EES1L_IbLb0EEEEDaS1H_S1I_EUlS1H_E_NS1_11comp_targetILNS1_3genE5ELNS1_11target_archE942ELNS1_3gpuE9ELNS1_3repE0EEENS1_30default_config_static_selectorELNS0_4arch9wavefront6targetE0EEEvSV_ ; -- Begin function _ZN7rocprim17ROCPRIM_400000_NS6detail17trampoline_kernelINS0_13select_configILj256ELj13ELNS0_17block_load_methodE3ELS4_3ELS4_3ELNS0_20block_scan_algorithmE0ELj4294967295EEENS1_25partition_config_selectorILNS1_17partition_subalgoE3EjNS0_10empty_typeEbEEZZNS1_14partition_implILS8_3ELb0ES6_jNS0_17counting_iteratorIjlEEPS9_SE_NS0_5tupleIJPjSE_EEENSF_IJSE_SE_EEES9_SG_JZNS1_25segmented_radix_sort_implINS0_14default_configELb0EPKlPlSM_SN_N2at6native12_GLOBAL__N_18offset_tEEE10hipError_tPvRmT1_PNSt15iterator_traitsISV_E10value_typeET2_T3_PNSW_IS11_E10value_typeET4_jRbjT5_S17_jjP12ihipStream_tbEUljE_EEESS_ST_SU_S11_S15_S17_T6_T7_T9_mT8_S19_bDpT10_ENKUlT_T0_E_clISt17integral_constantIbLb1EES1L_IbLb0EEEEDaS1H_S1I_EUlS1H_E_NS1_11comp_targetILNS1_3genE5ELNS1_11target_archE942ELNS1_3gpuE9ELNS1_3repE0EEENS1_30default_config_static_selectorELNS0_4arch9wavefront6targetE0EEEvSV_
	.p2align	8
	.type	_ZN7rocprim17ROCPRIM_400000_NS6detail17trampoline_kernelINS0_13select_configILj256ELj13ELNS0_17block_load_methodE3ELS4_3ELS4_3ELNS0_20block_scan_algorithmE0ELj4294967295EEENS1_25partition_config_selectorILNS1_17partition_subalgoE3EjNS0_10empty_typeEbEEZZNS1_14partition_implILS8_3ELb0ES6_jNS0_17counting_iteratorIjlEEPS9_SE_NS0_5tupleIJPjSE_EEENSF_IJSE_SE_EEES9_SG_JZNS1_25segmented_radix_sort_implINS0_14default_configELb0EPKlPlSM_SN_N2at6native12_GLOBAL__N_18offset_tEEE10hipError_tPvRmT1_PNSt15iterator_traitsISV_E10value_typeET2_T3_PNSW_IS11_E10value_typeET4_jRbjT5_S17_jjP12ihipStream_tbEUljE_EEESS_ST_SU_S11_S15_S17_T6_T7_T9_mT8_S19_bDpT10_ENKUlT_T0_E_clISt17integral_constantIbLb1EES1L_IbLb0EEEEDaS1H_S1I_EUlS1H_E_NS1_11comp_targetILNS1_3genE5ELNS1_11target_archE942ELNS1_3gpuE9ELNS1_3repE0EEENS1_30default_config_static_selectorELNS0_4arch9wavefront6targetE0EEEvSV_,@function
_ZN7rocprim17ROCPRIM_400000_NS6detail17trampoline_kernelINS0_13select_configILj256ELj13ELNS0_17block_load_methodE3ELS4_3ELS4_3ELNS0_20block_scan_algorithmE0ELj4294967295EEENS1_25partition_config_selectorILNS1_17partition_subalgoE3EjNS0_10empty_typeEbEEZZNS1_14partition_implILS8_3ELb0ES6_jNS0_17counting_iteratorIjlEEPS9_SE_NS0_5tupleIJPjSE_EEENSF_IJSE_SE_EEES9_SG_JZNS1_25segmented_radix_sort_implINS0_14default_configELb0EPKlPlSM_SN_N2at6native12_GLOBAL__N_18offset_tEEE10hipError_tPvRmT1_PNSt15iterator_traitsISV_E10value_typeET2_T3_PNSW_IS11_E10value_typeET4_jRbjT5_S17_jjP12ihipStream_tbEUljE_EEESS_ST_SU_S11_S15_S17_T6_T7_T9_mT8_S19_bDpT10_ENKUlT_T0_E_clISt17integral_constantIbLb1EES1L_IbLb0EEEEDaS1H_S1I_EUlS1H_E_NS1_11comp_targetILNS1_3genE5ELNS1_11target_archE942ELNS1_3gpuE9ELNS1_3repE0EEENS1_30default_config_static_selectorELNS0_4arch9wavefront6targetE0EEEvSV_: ; @_ZN7rocprim17ROCPRIM_400000_NS6detail17trampoline_kernelINS0_13select_configILj256ELj13ELNS0_17block_load_methodE3ELS4_3ELS4_3ELNS0_20block_scan_algorithmE0ELj4294967295EEENS1_25partition_config_selectorILNS1_17partition_subalgoE3EjNS0_10empty_typeEbEEZZNS1_14partition_implILS8_3ELb0ES6_jNS0_17counting_iteratorIjlEEPS9_SE_NS0_5tupleIJPjSE_EEENSF_IJSE_SE_EEES9_SG_JZNS1_25segmented_radix_sort_implINS0_14default_configELb0EPKlPlSM_SN_N2at6native12_GLOBAL__N_18offset_tEEE10hipError_tPvRmT1_PNSt15iterator_traitsISV_E10value_typeET2_T3_PNSW_IS11_E10value_typeET4_jRbjT5_S17_jjP12ihipStream_tbEUljE_EEESS_ST_SU_S11_S15_S17_T6_T7_T9_mT8_S19_bDpT10_ENKUlT_T0_E_clISt17integral_constantIbLb1EES1L_IbLb0EEEEDaS1H_S1I_EUlS1H_E_NS1_11comp_targetILNS1_3genE5ELNS1_11target_archE942ELNS1_3gpuE9ELNS1_3repE0EEENS1_30default_config_static_selectorELNS0_4arch9wavefront6targetE0EEEvSV_
; %bb.0:
	.section	.rodata,"a",@progbits
	.p2align	6, 0x0
	.amdhsa_kernel _ZN7rocprim17ROCPRIM_400000_NS6detail17trampoline_kernelINS0_13select_configILj256ELj13ELNS0_17block_load_methodE3ELS4_3ELS4_3ELNS0_20block_scan_algorithmE0ELj4294967295EEENS1_25partition_config_selectorILNS1_17partition_subalgoE3EjNS0_10empty_typeEbEEZZNS1_14partition_implILS8_3ELb0ES6_jNS0_17counting_iteratorIjlEEPS9_SE_NS0_5tupleIJPjSE_EEENSF_IJSE_SE_EEES9_SG_JZNS1_25segmented_radix_sort_implINS0_14default_configELb0EPKlPlSM_SN_N2at6native12_GLOBAL__N_18offset_tEEE10hipError_tPvRmT1_PNSt15iterator_traitsISV_E10value_typeET2_T3_PNSW_IS11_E10value_typeET4_jRbjT5_S17_jjP12ihipStream_tbEUljE_EEESS_ST_SU_S11_S15_S17_T6_T7_T9_mT8_S19_bDpT10_ENKUlT_T0_E_clISt17integral_constantIbLb1EES1L_IbLb0EEEEDaS1H_S1I_EUlS1H_E_NS1_11comp_targetILNS1_3genE5ELNS1_11target_archE942ELNS1_3gpuE9ELNS1_3repE0EEENS1_30default_config_static_selectorELNS0_4arch9wavefront6targetE0EEEvSV_
		.amdhsa_group_segment_fixed_size 0
		.amdhsa_private_segment_fixed_size 0
		.amdhsa_kernarg_size 144
		.amdhsa_user_sgpr_count 2
		.amdhsa_user_sgpr_dispatch_ptr 0
		.amdhsa_user_sgpr_queue_ptr 0
		.amdhsa_user_sgpr_kernarg_segment_ptr 1
		.amdhsa_user_sgpr_dispatch_id 0
		.amdhsa_user_sgpr_kernarg_preload_length 0
		.amdhsa_user_sgpr_kernarg_preload_offset 0
		.amdhsa_user_sgpr_private_segment_size 0
		.amdhsa_wavefront_size32 1
		.amdhsa_uses_dynamic_stack 0
		.amdhsa_enable_private_segment 0
		.amdhsa_system_sgpr_workgroup_id_x 1
		.amdhsa_system_sgpr_workgroup_id_y 0
		.amdhsa_system_sgpr_workgroup_id_z 0
		.amdhsa_system_sgpr_workgroup_info 0
		.amdhsa_system_vgpr_workitem_id 0
		.amdhsa_next_free_vgpr 1
		.amdhsa_next_free_sgpr 1
		.amdhsa_named_barrier_count 0
		.amdhsa_reserve_vcc 0
		.amdhsa_float_round_mode_32 0
		.amdhsa_float_round_mode_16_64 0
		.amdhsa_float_denorm_mode_32 3
		.amdhsa_float_denorm_mode_16_64 3
		.amdhsa_fp16_overflow 0
		.amdhsa_memory_ordered 1
		.amdhsa_forward_progress 1
		.amdhsa_inst_pref_size 0
		.amdhsa_round_robin_scheduling 0
		.amdhsa_exception_fp_ieee_invalid_op 0
		.amdhsa_exception_fp_denorm_src 0
		.amdhsa_exception_fp_ieee_div_zero 0
		.amdhsa_exception_fp_ieee_overflow 0
		.amdhsa_exception_fp_ieee_underflow 0
		.amdhsa_exception_fp_ieee_inexact 0
		.amdhsa_exception_int_div_zero 0
	.end_amdhsa_kernel
	.section	.text._ZN7rocprim17ROCPRIM_400000_NS6detail17trampoline_kernelINS0_13select_configILj256ELj13ELNS0_17block_load_methodE3ELS4_3ELS4_3ELNS0_20block_scan_algorithmE0ELj4294967295EEENS1_25partition_config_selectorILNS1_17partition_subalgoE3EjNS0_10empty_typeEbEEZZNS1_14partition_implILS8_3ELb0ES6_jNS0_17counting_iteratorIjlEEPS9_SE_NS0_5tupleIJPjSE_EEENSF_IJSE_SE_EEES9_SG_JZNS1_25segmented_radix_sort_implINS0_14default_configELb0EPKlPlSM_SN_N2at6native12_GLOBAL__N_18offset_tEEE10hipError_tPvRmT1_PNSt15iterator_traitsISV_E10value_typeET2_T3_PNSW_IS11_E10value_typeET4_jRbjT5_S17_jjP12ihipStream_tbEUljE_EEESS_ST_SU_S11_S15_S17_T6_T7_T9_mT8_S19_bDpT10_ENKUlT_T0_E_clISt17integral_constantIbLb1EES1L_IbLb0EEEEDaS1H_S1I_EUlS1H_E_NS1_11comp_targetILNS1_3genE5ELNS1_11target_archE942ELNS1_3gpuE9ELNS1_3repE0EEENS1_30default_config_static_selectorELNS0_4arch9wavefront6targetE0EEEvSV_,"axG",@progbits,_ZN7rocprim17ROCPRIM_400000_NS6detail17trampoline_kernelINS0_13select_configILj256ELj13ELNS0_17block_load_methodE3ELS4_3ELS4_3ELNS0_20block_scan_algorithmE0ELj4294967295EEENS1_25partition_config_selectorILNS1_17partition_subalgoE3EjNS0_10empty_typeEbEEZZNS1_14partition_implILS8_3ELb0ES6_jNS0_17counting_iteratorIjlEEPS9_SE_NS0_5tupleIJPjSE_EEENSF_IJSE_SE_EEES9_SG_JZNS1_25segmented_radix_sort_implINS0_14default_configELb0EPKlPlSM_SN_N2at6native12_GLOBAL__N_18offset_tEEE10hipError_tPvRmT1_PNSt15iterator_traitsISV_E10value_typeET2_T3_PNSW_IS11_E10value_typeET4_jRbjT5_S17_jjP12ihipStream_tbEUljE_EEESS_ST_SU_S11_S15_S17_T6_T7_T9_mT8_S19_bDpT10_ENKUlT_T0_E_clISt17integral_constantIbLb1EES1L_IbLb0EEEEDaS1H_S1I_EUlS1H_E_NS1_11comp_targetILNS1_3genE5ELNS1_11target_archE942ELNS1_3gpuE9ELNS1_3repE0EEENS1_30default_config_static_selectorELNS0_4arch9wavefront6targetE0EEEvSV_,comdat
.Lfunc_end788:
	.size	_ZN7rocprim17ROCPRIM_400000_NS6detail17trampoline_kernelINS0_13select_configILj256ELj13ELNS0_17block_load_methodE3ELS4_3ELS4_3ELNS0_20block_scan_algorithmE0ELj4294967295EEENS1_25partition_config_selectorILNS1_17partition_subalgoE3EjNS0_10empty_typeEbEEZZNS1_14partition_implILS8_3ELb0ES6_jNS0_17counting_iteratorIjlEEPS9_SE_NS0_5tupleIJPjSE_EEENSF_IJSE_SE_EEES9_SG_JZNS1_25segmented_radix_sort_implINS0_14default_configELb0EPKlPlSM_SN_N2at6native12_GLOBAL__N_18offset_tEEE10hipError_tPvRmT1_PNSt15iterator_traitsISV_E10value_typeET2_T3_PNSW_IS11_E10value_typeET4_jRbjT5_S17_jjP12ihipStream_tbEUljE_EEESS_ST_SU_S11_S15_S17_T6_T7_T9_mT8_S19_bDpT10_ENKUlT_T0_E_clISt17integral_constantIbLb1EES1L_IbLb0EEEEDaS1H_S1I_EUlS1H_E_NS1_11comp_targetILNS1_3genE5ELNS1_11target_archE942ELNS1_3gpuE9ELNS1_3repE0EEENS1_30default_config_static_selectorELNS0_4arch9wavefront6targetE0EEEvSV_, .Lfunc_end788-_ZN7rocprim17ROCPRIM_400000_NS6detail17trampoline_kernelINS0_13select_configILj256ELj13ELNS0_17block_load_methodE3ELS4_3ELS4_3ELNS0_20block_scan_algorithmE0ELj4294967295EEENS1_25partition_config_selectorILNS1_17partition_subalgoE3EjNS0_10empty_typeEbEEZZNS1_14partition_implILS8_3ELb0ES6_jNS0_17counting_iteratorIjlEEPS9_SE_NS0_5tupleIJPjSE_EEENSF_IJSE_SE_EEES9_SG_JZNS1_25segmented_radix_sort_implINS0_14default_configELb0EPKlPlSM_SN_N2at6native12_GLOBAL__N_18offset_tEEE10hipError_tPvRmT1_PNSt15iterator_traitsISV_E10value_typeET2_T3_PNSW_IS11_E10value_typeET4_jRbjT5_S17_jjP12ihipStream_tbEUljE_EEESS_ST_SU_S11_S15_S17_T6_T7_T9_mT8_S19_bDpT10_ENKUlT_T0_E_clISt17integral_constantIbLb1EES1L_IbLb0EEEEDaS1H_S1I_EUlS1H_E_NS1_11comp_targetILNS1_3genE5ELNS1_11target_archE942ELNS1_3gpuE9ELNS1_3repE0EEENS1_30default_config_static_selectorELNS0_4arch9wavefront6targetE0EEEvSV_
                                        ; -- End function
	.set _ZN7rocprim17ROCPRIM_400000_NS6detail17trampoline_kernelINS0_13select_configILj256ELj13ELNS0_17block_load_methodE3ELS4_3ELS4_3ELNS0_20block_scan_algorithmE0ELj4294967295EEENS1_25partition_config_selectorILNS1_17partition_subalgoE3EjNS0_10empty_typeEbEEZZNS1_14partition_implILS8_3ELb0ES6_jNS0_17counting_iteratorIjlEEPS9_SE_NS0_5tupleIJPjSE_EEENSF_IJSE_SE_EEES9_SG_JZNS1_25segmented_radix_sort_implINS0_14default_configELb0EPKlPlSM_SN_N2at6native12_GLOBAL__N_18offset_tEEE10hipError_tPvRmT1_PNSt15iterator_traitsISV_E10value_typeET2_T3_PNSW_IS11_E10value_typeET4_jRbjT5_S17_jjP12ihipStream_tbEUljE_EEESS_ST_SU_S11_S15_S17_T6_T7_T9_mT8_S19_bDpT10_ENKUlT_T0_E_clISt17integral_constantIbLb1EES1L_IbLb0EEEEDaS1H_S1I_EUlS1H_E_NS1_11comp_targetILNS1_3genE5ELNS1_11target_archE942ELNS1_3gpuE9ELNS1_3repE0EEENS1_30default_config_static_selectorELNS0_4arch9wavefront6targetE0EEEvSV_.num_vgpr, 0
	.set _ZN7rocprim17ROCPRIM_400000_NS6detail17trampoline_kernelINS0_13select_configILj256ELj13ELNS0_17block_load_methodE3ELS4_3ELS4_3ELNS0_20block_scan_algorithmE0ELj4294967295EEENS1_25partition_config_selectorILNS1_17partition_subalgoE3EjNS0_10empty_typeEbEEZZNS1_14partition_implILS8_3ELb0ES6_jNS0_17counting_iteratorIjlEEPS9_SE_NS0_5tupleIJPjSE_EEENSF_IJSE_SE_EEES9_SG_JZNS1_25segmented_radix_sort_implINS0_14default_configELb0EPKlPlSM_SN_N2at6native12_GLOBAL__N_18offset_tEEE10hipError_tPvRmT1_PNSt15iterator_traitsISV_E10value_typeET2_T3_PNSW_IS11_E10value_typeET4_jRbjT5_S17_jjP12ihipStream_tbEUljE_EEESS_ST_SU_S11_S15_S17_T6_T7_T9_mT8_S19_bDpT10_ENKUlT_T0_E_clISt17integral_constantIbLb1EES1L_IbLb0EEEEDaS1H_S1I_EUlS1H_E_NS1_11comp_targetILNS1_3genE5ELNS1_11target_archE942ELNS1_3gpuE9ELNS1_3repE0EEENS1_30default_config_static_selectorELNS0_4arch9wavefront6targetE0EEEvSV_.num_agpr, 0
	.set _ZN7rocprim17ROCPRIM_400000_NS6detail17trampoline_kernelINS0_13select_configILj256ELj13ELNS0_17block_load_methodE3ELS4_3ELS4_3ELNS0_20block_scan_algorithmE0ELj4294967295EEENS1_25partition_config_selectorILNS1_17partition_subalgoE3EjNS0_10empty_typeEbEEZZNS1_14partition_implILS8_3ELb0ES6_jNS0_17counting_iteratorIjlEEPS9_SE_NS0_5tupleIJPjSE_EEENSF_IJSE_SE_EEES9_SG_JZNS1_25segmented_radix_sort_implINS0_14default_configELb0EPKlPlSM_SN_N2at6native12_GLOBAL__N_18offset_tEEE10hipError_tPvRmT1_PNSt15iterator_traitsISV_E10value_typeET2_T3_PNSW_IS11_E10value_typeET4_jRbjT5_S17_jjP12ihipStream_tbEUljE_EEESS_ST_SU_S11_S15_S17_T6_T7_T9_mT8_S19_bDpT10_ENKUlT_T0_E_clISt17integral_constantIbLb1EES1L_IbLb0EEEEDaS1H_S1I_EUlS1H_E_NS1_11comp_targetILNS1_3genE5ELNS1_11target_archE942ELNS1_3gpuE9ELNS1_3repE0EEENS1_30default_config_static_selectorELNS0_4arch9wavefront6targetE0EEEvSV_.numbered_sgpr, 0
	.set _ZN7rocprim17ROCPRIM_400000_NS6detail17trampoline_kernelINS0_13select_configILj256ELj13ELNS0_17block_load_methodE3ELS4_3ELS4_3ELNS0_20block_scan_algorithmE0ELj4294967295EEENS1_25partition_config_selectorILNS1_17partition_subalgoE3EjNS0_10empty_typeEbEEZZNS1_14partition_implILS8_3ELb0ES6_jNS0_17counting_iteratorIjlEEPS9_SE_NS0_5tupleIJPjSE_EEENSF_IJSE_SE_EEES9_SG_JZNS1_25segmented_radix_sort_implINS0_14default_configELb0EPKlPlSM_SN_N2at6native12_GLOBAL__N_18offset_tEEE10hipError_tPvRmT1_PNSt15iterator_traitsISV_E10value_typeET2_T3_PNSW_IS11_E10value_typeET4_jRbjT5_S17_jjP12ihipStream_tbEUljE_EEESS_ST_SU_S11_S15_S17_T6_T7_T9_mT8_S19_bDpT10_ENKUlT_T0_E_clISt17integral_constantIbLb1EES1L_IbLb0EEEEDaS1H_S1I_EUlS1H_E_NS1_11comp_targetILNS1_3genE5ELNS1_11target_archE942ELNS1_3gpuE9ELNS1_3repE0EEENS1_30default_config_static_selectorELNS0_4arch9wavefront6targetE0EEEvSV_.num_named_barrier, 0
	.set _ZN7rocprim17ROCPRIM_400000_NS6detail17trampoline_kernelINS0_13select_configILj256ELj13ELNS0_17block_load_methodE3ELS4_3ELS4_3ELNS0_20block_scan_algorithmE0ELj4294967295EEENS1_25partition_config_selectorILNS1_17partition_subalgoE3EjNS0_10empty_typeEbEEZZNS1_14partition_implILS8_3ELb0ES6_jNS0_17counting_iteratorIjlEEPS9_SE_NS0_5tupleIJPjSE_EEENSF_IJSE_SE_EEES9_SG_JZNS1_25segmented_radix_sort_implINS0_14default_configELb0EPKlPlSM_SN_N2at6native12_GLOBAL__N_18offset_tEEE10hipError_tPvRmT1_PNSt15iterator_traitsISV_E10value_typeET2_T3_PNSW_IS11_E10value_typeET4_jRbjT5_S17_jjP12ihipStream_tbEUljE_EEESS_ST_SU_S11_S15_S17_T6_T7_T9_mT8_S19_bDpT10_ENKUlT_T0_E_clISt17integral_constantIbLb1EES1L_IbLb0EEEEDaS1H_S1I_EUlS1H_E_NS1_11comp_targetILNS1_3genE5ELNS1_11target_archE942ELNS1_3gpuE9ELNS1_3repE0EEENS1_30default_config_static_selectorELNS0_4arch9wavefront6targetE0EEEvSV_.private_seg_size, 0
	.set _ZN7rocprim17ROCPRIM_400000_NS6detail17trampoline_kernelINS0_13select_configILj256ELj13ELNS0_17block_load_methodE3ELS4_3ELS4_3ELNS0_20block_scan_algorithmE0ELj4294967295EEENS1_25partition_config_selectorILNS1_17partition_subalgoE3EjNS0_10empty_typeEbEEZZNS1_14partition_implILS8_3ELb0ES6_jNS0_17counting_iteratorIjlEEPS9_SE_NS0_5tupleIJPjSE_EEENSF_IJSE_SE_EEES9_SG_JZNS1_25segmented_radix_sort_implINS0_14default_configELb0EPKlPlSM_SN_N2at6native12_GLOBAL__N_18offset_tEEE10hipError_tPvRmT1_PNSt15iterator_traitsISV_E10value_typeET2_T3_PNSW_IS11_E10value_typeET4_jRbjT5_S17_jjP12ihipStream_tbEUljE_EEESS_ST_SU_S11_S15_S17_T6_T7_T9_mT8_S19_bDpT10_ENKUlT_T0_E_clISt17integral_constantIbLb1EES1L_IbLb0EEEEDaS1H_S1I_EUlS1H_E_NS1_11comp_targetILNS1_3genE5ELNS1_11target_archE942ELNS1_3gpuE9ELNS1_3repE0EEENS1_30default_config_static_selectorELNS0_4arch9wavefront6targetE0EEEvSV_.uses_vcc, 0
	.set _ZN7rocprim17ROCPRIM_400000_NS6detail17trampoline_kernelINS0_13select_configILj256ELj13ELNS0_17block_load_methodE3ELS4_3ELS4_3ELNS0_20block_scan_algorithmE0ELj4294967295EEENS1_25partition_config_selectorILNS1_17partition_subalgoE3EjNS0_10empty_typeEbEEZZNS1_14partition_implILS8_3ELb0ES6_jNS0_17counting_iteratorIjlEEPS9_SE_NS0_5tupleIJPjSE_EEENSF_IJSE_SE_EEES9_SG_JZNS1_25segmented_radix_sort_implINS0_14default_configELb0EPKlPlSM_SN_N2at6native12_GLOBAL__N_18offset_tEEE10hipError_tPvRmT1_PNSt15iterator_traitsISV_E10value_typeET2_T3_PNSW_IS11_E10value_typeET4_jRbjT5_S17_jjP12ihipStream_tbEUljE_EEESS_ST_SU_S11_S15_S17_T6_T7_T9_mT8_S19_bDpT10_ENKUlT_T0_E_clISt17integral_constantIbLb1EES1L_IbLb0EEEEDaS1H_S1I_EUlS1H_E_NS1_11comp_targetILNS1_3genE5ELNS1_11target_archE942ELNS1_3gpuE9ELNS1_3repE0EEENS1_30default_config_static_selectorELNS0_4arch9wavefront6targetE0EEEvSV_.uses_flat_scratch, 0
	.set _ZN7rocprim17ROCPRIM_400000_NS6detail17trampoline_kernelINS0_13select_configILj256ELj13ELNS0_17block_load_methodE3ELS4_3ELS4_3ELNS0_20block_scan_algorithmE0ELj4294967295EEENS1_25partition_config_selectorILNS1_17partition_subalgoE3EjNS0_10empty_typeEbEEZZNS1_14partition_implILS8_3ELb0ES6_jNS0_17counting_iteratorIjlEEPS9_SE_NS0_5tupleIJPjSE_EEENSF_IJSE_SE_EEES9_SG_JZNS1_25segmented_radix_sort_implINS0_14default_configELb0EPKlPlSM_SN_N2at6native12_GLOBAL__N_18offset_tEEE10hipError_tPvRmT1_PNSt15iterator_traitsISV_E10value_typeET2_T3_PNSW_IS11_E10value_typeET4_jRbjT5_S17_jjP12ihipStream_tbEUljE_EEESS_ST_SU_S11_S15_S17_T6_T7_T9_mT8_S19_bDpT10_ENKUlT_T0_E_clISt17integral_constantIbLb1EES1L_IbLb0EEEEDaS1H_S1I_EUlS1H_E_NS1_11comp_targetILNS1_3genE5ELNS1_11target_archE942ELNS1_3gpuE9ELNS1_3repE0EEENS1_30default_config_static_selectorELNS0_4arch9wavefront6targetE0EEEvSV_.has_dyn_sized_stack, 0
	.set _ZN7rocprim17ROCPRIM_400000_NS6detail17trampoline_kernelINS0_13select_configILj256ELj13ELNS0_17block_load_methodE3ELS4_3ELS4_3ELNS0_20block_scan_algorithmE0ELj4294967295EEENS1_25partition_config_selectorILNS1_17partition_subalgoE3EjNS0_10empty_typeEbEEZZNS1_14partition_implILS8_3ELb0ES6_jNS0_17counting_iteratorIjlEEPS9_SE_NS0_5tupleIJPjSE_EEENSF_IJSE_SE_EEES9_SG_JZNS1_25segmented_radix_sort_implINS0_14default_configELb0EPKlPlSM_SN_N2at6native12_GLOBAL__N_18offset_tEEE10hipError_tPvRmT1_PNSt15iterator_traitsISV_E10value_typeET2_T3_PNSW_IS11_E10value_typeET4_jRbjT5_S17_jjP12ihipStream_tbEUljE_EEESS_ST_SU_S11_S15_S17_T6_T7_T9_mT8_S19_bDpT10_ENKUlT_T0_E_clISt17integral_constantIbLb1EES1L_IbLb0EEEEDaS1H_S1I_EUlS1H_E_NS1_11comp_targetILNS1_3genE5ELNS1_11target_archE942ELNS1_3gpuE9ELNS1_3repE0EEENS1_30default_config_static_selectorELNS0_4arch9wavefront6targetE0EEEvSV_.has_recursion, 0
	.set _ZN7rocprim17ROCPRIM_400000_NS6detail17trampoline_kernelINS0_13select_configILj256ELj13ELNS0_17block_load_methodE3ELS4_3ELS4_3ELNS0_20block_scan_algorithmE0ELj4294967295EEENS1_25partition_config_selectorILNS1_17partition_subalgoE3EjNS0_10empty_typeEbEEZZNS1_14partition_implILS8_3ELb0ES6_jNS0_17counting_iteratorIjlEEPS9_SE_NS0_5tupleIJPjSE_EEENSF_IJSE_SE_EEES9_SG_JZNS1_25segmented_radix_sort_implINS0_14default_configELb0EPKlPlSM_SN_N2at6native12_GLOBAL__N_18offset_tEEE10hipError_tPvRmT1_PNSt15iterator_traitsISV_E10value_typeET2_T3_PNSW_IS11_E10value_typeET4_jRbjT5_S17_jjP12ihipStream_tbEUljE_EEESS_ST_SU_S11_S15_S17_T6_T7_T9_mT8_S19_bDpT10_ENKUlT_T0_E_clISt17integral_constantIbLb1EES1L_IbLb0EEEEDaS1H_S1I_EUlS1H_E_NS1_11comp_targetILNS1_3genE5ELNS1_11target_archE942ELNS1_3gpuE9ELNS1_3repE0EEENS1_30default_config_static_selectorELNS0_4arch9wavefront6targetE0EEEvSV_.has_indirect_call, 0
	.section	.AMDGPU.csdata,"",@progbits
; Kernel info:
; codeLenInByte = 0
; TotalNumSgprs: 0
; NumVgprs: 0
; ScratchSize: 0
; MemoryBound: 0
; FloatMode: 240
; IeeeMode: 1
; LDSByteSize: 0 bytes/workgroup (compile time only)
; SGPRBlocks: 0
; VGPRBlocks: 0
; NumSGPRsForWavesPerEU: 1
; NumVGPRsForWavesPerEU: 1
; NamedBarCnt: 0
; Occupancy: 16
; WaveLimiterHint : 0
; COMPUTE_PGM_RSRC2:SCRATCH_EN: 0
; COMPUTE_PGM_RSRC2:USER_SGPR: 2
; COMPUTE_PGM_RSRC2:TRAP_HANDLER: 0
; COMPUTE_PGM_RSRC2:TGID_X_EN: 1
; COMPUTE_PGM_RSRC2:TGID_Y_EN: 0
; COMPUTE_PGM_RSRC2:TGID_Z_EN: 0
; COMPUTE_PGM_RSRC2:TIDIG_COMP_CNT: 0
	.section	.text._ZN7rocprim17ROCPRIM_400000_NS6detail17trampoline_kernelINS0_13select_configILj256ELj13ELNS0_17block_load_methodE3ELS4_3ELS4_3ELNS0_20block_scan_algorithmE0ELj4294967295EEENS1_25partition_config_selectorILNS1_17partition_subalgoE3EjNS0_10empty_typeEbEEZZNS1_14partition_implILS8_3ELb0ES6_jNS0_17counting_iteratorIjlEEPS9_SE_NS0_5tupleIJPjSE_EEENSF_IJSE_SE_EEES9_SG_JZNS1_25segmented_radix_sort_implINS0_14default_configELb0EPKlPlSM_SN_N2at6native12_GLOBAL__N_18offset_tEEE10hipError_tPvRmT1_PNSt15iterator_traitsISV_E10value_typeET2_T3_PNSW_IS11_E10value_typeET4_jRbjT5_S17_jjP12ihipStream_tbEUljE_EEESS_ST_SU_S11_S15_S17_T6_T7_T9_mT8_S19_bDpT10_ENKUlT_T0_E_clISt17integral_constantIbLb1EES1L_IbLb0EEEEDaS1H_S1I_EUlS1H_E_NS1_11comp_targetILNS1_3genE4ELNS1_11target_archE910ELNS1_3gpuE8ELNS1_3repE0EEENS1_30default_config_static_selectorELNS0_4arch9wavefront6targetE0EEEvSV_,"axG",@progbits,_ZN7rocprim17ROCPRIM_400000_NS6detail17trampoline_kernelINS0_13select_configILj256ELj13ELNS0_17block_load_methodE3ELS4_3ELS4_3ELNS0_20block_scan_algorithmE0ELj4294967295EEENS1_25partition_config_selectorILNS1_17partition_subalgoE3EjNS0_10empty_typeEbEEZZNS1_14partition_implILS8_3ELb0ES6_jNS0_17counting_iteratorIjlEEPS9_SE_NS0_5tupleIJPjSE_EEENSF_IJSE_SE_EEES9_SG_JZNS1_25segmented_radix_sort_implINS0_14default_configELb0EPKlPlSM_SN_N2at6native12_GLOBAL__N_18offset_tEEE10hipError_tPvRmT1_PNSt15iterator_traitsISV_E10value_typeET2_T3_PNSW_IS11_E10value_typeET4_jRbjT5_S17_jjP12ihipStream_tbEUljE_EEESS_ST_SU_S11_S15_S17_T6_T7_T9_mT8_S19_bDpT10_ENKUlT_T0_E_clISt17integral_constantIbLb1EES1L_IbLb0EEEEDaS1H_S1I_EUlS1H_E_NS1_11comp_targetILNS1_3genE4ELNS1_11target_archE910ELNS1_3gpuE8ELNS1_3repE0EEENS1_30default_config_static_selectorELNS0_4arch9wavefront6targetE0EEEvSV_,comdat
	.globl	_ZN7rocprim17ROCPRIM_400000_NS6detail17trampoline_kernelINS0_13select_configILj256ELj13ELNS0_17block_load_methodE3ELS4_3ELS4_3ELNS0_20block_scan_algorithmE0ELj4294967295EEENS1_25partition_config_selectorILNS1_17partition_subalgoE3EjNS0_10empty_typeEbEEZZNS1_14partition_implILS8_3ELb0ES6_jNS0_17counting_iteratorIjlEEPS9_SE_NS0_5tupleIJPjSE_EEENSF_IJSE_SE_EEES9_SG_JZNS1_25segmented_radix_sort_implINS0_14default_configELb0EPKlPlSM_SN_N2at6native12_GLOBAL__N_18offset_tEEE10hipError_tPvRmT1_PNSt15iterator_traitsISV_E10value_typeET2_T3_PNSW_IS11_E10value_typeET4_jRbjT5_S17_jjP12ihipStream_tbEUljE_EEESS_ST_SU_S11_S15_S17_T6_T7_T9_mT8_S19_bDpT10_ENKUlT_T0_E_clISt17integral_constantIbLb1EES1L_IbLb0EEEEDaS1H_S1I_EUlS1H_E_NS1_11comp_targetILNS1_3genE4ELNS1_11target_archE910ELNS1_3gpuE8ELNS1_3repE0EEENS1_30default_config_static_selectorELNS0_4arch9wavefront6targetE0EEEvSV_ ; -- Begin function _ZN7rocprim17ROCPRIM_400000_NS6detail17trampoline_kernelINS0_13select_configILj256ELj13ELNS0_17block_load_methodE3ELS4_3ELS4_3ELNS0_20block_scan_algorithmE0ELj4294967295EEENS1_25partition_config_selectorILNS1_17partition_subalgoE3EjNS0_10empty_typeEbEEZZNS1_14partition_implILS8_3ELb0ES6_jNS0_17counting_iteratorIjlEEPS9_SE_NS0_5tupleIJPjSE_EEENSF_IJSE_SE_EEES9_SG_JZNS1_25segmented_radix_sort_implINS0_14default_configELb0EPKlPlSM_SN_N2at6native12_GLOBAL__N_18offset_tEEE10hipError_tPvRmT1_PNSt15iterator_traitsISV_E10value_typeET2_T3_PNSW_IS11_E10value_typeET4_jRbjT5_S17_jjP12ihipStream_tbEUljE_EEESS_ST_SU_S11_S15_S17_T6_T7_T9_mT8_S19_bDpT10_ENKUlT_T0_E_clISt17integral_constantIbLb1EES1L_IbLb0EEEEDaS1H_S1I_EUlS1H_E_NS1_11comp_targetILNS1_3genE4ELNS1_11target_archE910ELNS1_3gpuE8ELNS1_3repE0EEENS1_30default_config_static_selectorELNS0_4arch9wavefront6targetE0EEEvSV_
	.p2align	8
	.type	_ZN7rocprim17ROCPRIM_400000_NS6detail17trampoline_kernelINS0_13select_configILj256ELj13ELNS0_17block_load_methodE3ELS4_3ELS4_3ELNS0_20block_scan_algorithmE0ELj4294967295EEENS1_25partition_config_selectorILNS1_17partition_subalgoE3EjNS0_10empty_typeEbEEZZNS1_14partition_implILS8_3ELb0ES6_jNS0_17counting_iteratorIjlEEPS9_SE_NS0_5tupleIJPjSE_EEENSF_IJSE_SE_EEES9_SG_JZNS1_25segmented_radix_sort_implINS0_14default_configELb0EPKlPlSM_SN_N2at6native12_GLOBAL__N_18offset_tEEE10hipError_tPvRmT1_PNSt15iterator_traitsISV_E10value_typeET2_T3_PNSW_IS11_E10value_typeET4_jRbjT5_S17_jjP12ihipStream_tbEUljE_EEESS_ST_SU_S11_S15_S17_T6_T7_T9_mT8_S19_bDpT10_ENKUlT_T0_E_clISt17integral_constantIbLb1EES1L_IbLb0EEEEDaS1H_S1I_EUlS1H_E_NS1_11comp_targetILNS1_3genE4ELNS1_11target_archE910ELNS1_3gpuE8ELNS1_3repE0EEENS1_30default_config_static_selectorELNS0_4arch9wavefront6targetE0EEEvSV_,@function
_ZN7rocprim17ROCPRIM_400000_NS6detail17trampoline_kernelINS0_13select_configILj256ELj13ELNS0_17block_load_methodE3ELS4_3ELS4_3ELNS0_20block_scan_algorithmE0ELj4294967295EEENS1_25partition_config_selectorILNS1_17partition_subalgoE3EjNS0_10empty_typeEbEEZZNS1_14partition_implILS8_3ELb0ES6_jNS0_17counting_iteratorIjlEEPS9_SE_NS0_5tupleIJPjSE_EEENSF_IJSE_SE_EEES9_SG_JZNS1_25segmented_radix_sort_implINS0_14default_configELb0EPKlPlSM_SN_N2at6native12_GLOBAL__N_18offset_tEEE10hipError_tPvRmT1_PNSt15iterator_traitsISV_E10value_typeET2_T3_PNSW_IS11_E10value_typeET4_jRbjT5_S17_jjP12ihipStream_tbEUljE_EEESS_ST_SU_S11_S15_S17_T6_T7_T9_mT8_S19_bDpT10_ENKUlT_T0_E_clISt17integral_constantIbLb1EES1L_IbLb0EEEEDaS1H_S1I_EUlS1H_E_NS1_11comp_targetILNS1_3genE4ELNS1_11target_archE910ELNS1_3gpuE8ELNS1_3repE0EEENS1_30default_config_static_selectorELNS0_4arch9wavefront6targetE0EEEvSV_: ; @_ZN7rocprim17ROCPRIM_400000_NS6detail17trampoline_kernelINS0_13select_configILj256ELj13ELNS0_17block_load_methodE3ELS4_3ELS4_3ELNS0_20block_scan_algorithmE0ELj4294967295EEENS1_25partition_config_selectorILNS1_17partition_subalgoE3EjNS0_10empty_typeEbEEZZNS1_14partition_implILS8_3ELb0ES6_jNS0_17counting_iteratorIjlEEPS9_SE_NS0_5tupleIJPjSE_EEENSF_IJSE_SE_EEES9_SG_JZNS1_25segmented_radix_sort_implINS0_14default_configELb0EPKlPlSM_SN_N2at6native12_GLOBAL__N_18offset_tEEE10hipError_tPvRmT1_PNSt15iterator_traitsISV_E10value_typeET2_T3_PNSW_IS11_E10value_typeET4_jRbjT5_S17_jjP12ihipStream_tbEUljE_EEESS_ST_SU_S11_S15_S17_T6_T7_T9_mT8_S19_bDpT10_ENKUlT_T0_E_clISt17integral_constantIbLb1EES1L_IbLb0EEEEDaS1H_S1I_EUlS1H_E_NS1_11comp_targetILNS1_3genE4ELNS1_11target_archE910ELNS1_3gpuE8ELNS1_3repE0EEENS1_30default_config_static_selectorELNS0_4arch9wavefront6targetE0EEEvSV_
; %bb.0:
	.section	.rodata,"a",@progbits
	.p2align	6, 0x0
	.amdhsa_kernel _ZN7rocprim17ROCPRIM_400000_NS6detail17trampoline_kernelINS0_13select_configILj256ELj13ELNS0_17block_load_methodE3ELS4_3ELS4_3ELNS0_20block_scan_algorithmE0ELj4294967295EEENS1_25partition_config_selectorILNS1_17partition_subalgoE3EjNS0_10empty_typeEbEEZZNS1_14partition_implILS8_3ELb0ES6_jNS0_17counting_iteratorIjlEEPS9_SE_NS0_5tupleIJPjSE_EEENSF_IJSE_SE_EEES9_SG_JZNS1_25segmented_radix_sort_implINS0_14default_configELb0EPKlPlSM_SN_N2at6native12_GLOBAL__N_18offset_tEEE10hipError_tPvRmT1_PNSt15iterator_traitsISV_E10value_typeET2_T3_PNSW_IS11_E10value_typeET4_jRbjT5_S17_jjP12ihipStream_tbEUljE_EEESS_ST_SU_S11_S15_S17_T6_T7_T9_mT8_S19_bDpT10_ENKUlT_T0_E_clISt17integral_constantIbLb1EES1L_IbLb0EEEEDaS1H_S1I_EUlS1H_E_NS1_11comp_targetILNS1_3genE4ELNS1_11target_archE910ELNS1_3gpuE8ELNS1_3repE0EEENS1_30default_config_static_selectorELNS0_4arch9wavefront6targetE0EEEvSV_
		.amdhsa_group_segment_fixed_size 0
		.amdhsa_private_segment_fixed_size 0
		.amdhsa_kernarg_size 144
		.amdhsa_user_sgpr_count 2
		.amdhsa_user_sgpr_dispatch_ptr 0
		.amdhsa_user_sgpr_queue_ptr 0
		.amdhsa_user_sgpr_kernarg_segment_ptr 1
		.amdhsa_user_sgpr_dispatch_id 0
		.amdhsa_user_sgpr_kernarg_preload_length 0
		.amdhsa_user_sgpr_kernarg_preload_offset 0
		.amdhsa_user_sgpr_private_segment_size 0
		.amdhsa_wavefront_size32 1
		.amdhsa_uses_dynamic_stack 0
		.amdhsa_enable_private_segment 0
		.amdhsa_system_sgpr_workgroup_id_x 1
		.amdhsa_system_sgpr_workgroup_id_y 0
		.amdhsa_system_sgpr_workgroup_id_z 0
		.amdhsa_system_sgpr_workgroup_info 0
		.amdhsa_system_vgpr_workitem_id 0
		.amdhsa_next_free_vgpr 1
		.amdhsa_next_free_sgpr 1
		.amdhsa_named_barrier_count 0
		.amdhsa_reserve_vcc 0
		.amdhsa_float_round_mode_32 0
		.amdhsa_float_round_mode_16_64 0
		.amdhsa_float_denorm_mode_32 3
		.amdhsa_float_denorm_mode_16_64 3
		.amdhsa_fp16_overflow 0
		.amdhsa_memory_ordered 1
		.amdhsa_forward_progress 1
		.amdhsa_inst_pref_size 0
		.amdhsa_round_robin_scheduling 0
		.amdhsa_exception_fp_ieee_invalid_op 0
		.amdhsa_exception_fp_denorm_src 0
		.amdhsa_exception_fp_ieee_div_zero 0
		.amdhsa_exception_fp_ieee_overflow 0
		.amdhsa_exception_fp_ieee_underflow 0
		.amdhsa_exception_fp_ieee_inexact 0
		.amdhsa_exception_int_div_zero 0
	.end_amdhsa_kernel
	.section	.text._ZN7rocprim17ROCPRIM_400000_NS6detail17trampoline_kernelINS0_13select_configILj256ELj13ELNS0_17block_load_methodE3ELS4_3ELS4_3ELNS0_20block_scan_algorithmE0ELj4294967295EEENS1_25partition_config_selectorILNS1_17partition_subalgoE3EjNS0_10empty_typeEbEEZZNS1_14partition_implILS8_3ELb0ES6_jNS0_17counting_iteratorIjlEEPS9_SE_NS0_5tupleIJPjSE_EEENSF_IJSE_SE_EEES9_SG_JZNS1_25segmented_radix_sort_implINS0_14default_configELb0EPKlPlSM_SN_N2at6native12_GLOBAL__N_18offset_tEEE10hipError_tPvRmT1_PNSt15iterator_traitsISV_E10value_typeET2_T3_PNSW_IS11_E10value_typeET4_jRbjT5_S17_jjP12ihipStream_tbEUljE_EEESS_ST_SU_S11_S15_S17_T6_T7_T9_mT8_S19_bDpT10_ENKUlT_T0_E_clISt17integral_constantIbLb1EES1L_IbLb0EEEEDaS1H_S1I_EUlS1H_E_NS1_11comp_targetILNS1_3genE4ELNS1_11target_archE910ELNS1_3gpuE8ELNS1_3repE0EEENS1_30default_config_static_selectorELNS0_4arch9wavefront6targetE0EEEvSV_,"axG",@progbits,_ZN7rocprim17ROCPRIM_400000_NS6detail17trampoline_kernelINS0_13select_configILj256ELj13ELNS0_17block_load_methodE3ELS4_3ELS4_3ELNS0_20block_scan_algorithmE0ELj4294967295EEENS1_25partition_config_selectorILNS1_17partition_subalgoE3EjNS0_10empty_typeEbEEZZNS1_14partition_implILS8_3ELb0ES6_jNS0_17counting_iteratorIjlEEPS9_SE_NS0_5tupleIJPjSE_EEENSF_IJSE_SE_EEES9_SG_JZNS1_25segmented_radix_sort_implINS0_14default_configELb0EPKlPlSM_SN_N2at6native12_GLOBAL__N_18offset_tEEE10hipError_tPvRmT1_PNSt15iterator_traitsISV_E10value_typeET2_T3_PNSW_IS11_E10value_typeET4_jRbjT5_S17_jjP12ihipStream_tbEUljE_EEESS_ST_SU_S11_S15_S17_T6_T7_T9_mT8_S19_bDpT10_ENKUlT_T0_E_clISt17integral_constantIbLb1EES1L_IbLb0EEEEDaS1H_S1I_EUlS1H_E_NS1_11comp_targetILNS1_3genE4ELNS1_11target_archE910ELNS1_3gpuE8ELNS1_3repE0EEENS1_30default_config_static_selectorELNS0_4arch9wavefront6targetE0EEEvSV_,comdat
.Lfunc_end789:
	.size	_ZN7rocprim17ROCPRIM_400000_NS6detail17trampoline_kernelINS0_13select_configILj256ELj13ELNS0_17block_load_methodE3ELS4_3ELS4_3ELNS0_20block_scan_algorithmE0ELj4294967295EEENS1_25partition_config_selectorILNS1_17partition_subalgoE3EjNS0_10empty_typeEbEEZZNS1_14partition_implILS8_3ELb0ES6_jNS0_17counting_iteratorIjlEEPS9_SE_NS0_5tupleIJPjSE_EEENSF_IJSE_SE_EEES9_SG_JZNS1_25segmented_radix_sort_implINS0_14default_configELb0EPKlPlSM_SN_N2at6native12_GLOBAL__N_18offset_tEEE10hipError_tPvRmT1_PNSt15iterator_traitsISV_E10value_typeET2_T3_PNSW_IS11_E10value_typeET4_jRbjT5_S17_jjP12ihipStream_tbEUljE_EEESS_ST_SU_S11_S15_S17_T6_T7_T9_mT8_S19_bDpT10_ENKUlT_T0_E_clISt17integral_constantIbLb1EES1L_IbLb0EEEEDaS1H_S1I_EUlS1H_E_NS1_11comp_targetILNS1_3genE4ELNS1_11target_archE910ELNS1_3gpuE8ELNS1_3repE0EEENS1_30default_config_static_selectorELNS0_4arch9wavefront6targetE0EEEvSV_, .Lfunc_end789-_ZN7rocprim17ROCPRIM_400000_NS6detail17trampoline_kernelINS0_13select_configILj256ELj13ELNS0_17block_load_methodE3ELS4_3ELS4_3ELNS0_20block_scan_algorithmE0ELj4294967295EEENS1_25partition_config_selectorILNS1_17partition_subalgoE3EjNS0_10empty_typeEbEEZZNS1_14partition_implILS8_3ELb0ES6_jNS0_17counting_iteratorIjlEEPS9_SE_NS0_5tupleIJPjSE_EEENSF_IJSE_SE_EEES9_SG_JZNS1_25segmented_radix_sort_implINS0_14default_configELb0EPKlPlSM_SN_N2at6native12_GLOBAL__N_18offset_tEEE10hipError_tPvRmT1_PNSt15iterator_traitsISV_E10value_typeET2_T3_PNSW_IS11_E10value_typeET4_jRbjT5_S17_jjP12ihipStream_tbEUljE_EEESS_ST_SU_S11_S15_S17_T6_T7_T9_mT8_S19_bDpT10_ENKUlT_T0_E_clISt17integral_constantIbLb1EES1L_IbLb0EEEEDaS1H_S1I_EUlS1H_E_NS1_11comp_targetILNS1_3genE4ELNS1_11target_archE910ELNS1_3gpuE8ELNS1_3repE0EEENS1_30default_config_static_selectorELNS0_4arch9wavefront6targetE0EEEvSV_
                                        ; -- End function
	.set _ZN7rocprim17ROCPRIM_400000_NS6detail17trampoline_kernelINS0_13select_configILj256ELj13ELNS0_17block_load_methodE3ELS4_3ELS4_3ELNS0_20block_scan_algorithmE0ELj4294967295EEENS1_25partition_config_selectorILNS1_17partition_subalgoE3EjNS0_10empty_typeEbEEZZNS1_14partition_implILS8_3ELb0ES6_jNS0_17counting_iteratorIjlEEPS9_SE_NS0_5tupleIJPjSE_EEENSF_IJSE_SE_EEES9_SG_JZNS1_25segmented_radix_sort_implINS0_14default_configELb0EPKlPlSM_SN_N2at6native12_GLOBAL__N_18offset_tEEE10hipError_tPvRmT1_PNSt15iterator_traitsISV_E10value_typeET2_T3_PNSW_IS11_E10value_typeET4_jRbjT5_S17_jjP12ihipStream_tbEUljE_EEESS_ST_SU_S11_S15_S17_T6_T7_T9_mT8_S19_bDpT10_ENKUlT_T0_E_clISt17integral_constantIbLb1EES1L_IbLb0EEEEDaS1H_S1I_EUlS1H_E_NS1_11comp_targetILNS1_3genE4ELNS1_11target_archE910ELNS1_3gpuE8ELNS1_3repE0EEENS1_30default_config_static_selectorELNS0_4arch9wavefront6targetE0EEEvSV_.num_vgpr, 0
	.set _ZN7rocprim17ROCPRIM_400000_NS6detail17trampoline_kernelINS0_13select_configILj256ELj13ELNS0_17block_load_methodE3ELS4_3ELS4_3ELNS0_20block_scan_algorithmE0ELj4294967295EEENS1_25partition_config_selectorILNS1_17partition_subalgoE3EjNS0_10empty_typeEbEEZZNS1_14partition_implILS8_3ELb0ES6_jNS0_17counting_iteratorIjlEEPS9_SE_NS0_5tupleIJPjSE_EEENSF_IJSE_SE_EEES9_SG_JZNS1_25segmented_radix_sort_implINS0_14default_configELb0EPKlPlSM_SN_N2at6native12_GLOBAL__N_18offset_tEEE10hipError_tPvRmT1_PNSt15iterator_traitsISV_E10value_typeET2_T3_PNSW_IS11_E10value_typeET4_jRbjT5_S17_jjP12ihipStream_tbEUljE_EEESS_ST_SU_S11_S15_S17_T6_T7_T9_mT8_S19_bDpT10_ENKUlT_T0_E_clISt17integral_constantIbLb1EES1L_IbLb0EEEEDaS1H_S1I_EUlS1H_E_NS1_11comp_targetILNS1_3genE4ELNS1_11target_archE910ELNS1_3gpuE8ELNS1_3repE0EEENS1_30default_config_static_selectorELNS0_4arch9wavefront6targetE0EEEvSV_.num_agpr, 0
	.set _ZN7rocprim17ROCPRIM_400000_NS6detail17trampoline_kernelINS0_13select_configILj256ELj13ELNS0_17block_load_methodE3ELS4_3ELS4_3ELNS0_20block_scan_algorithmE0ELj4294967295EEENS1_25partition_config_selectorILNS1_17partition_subalgoE3EjNS0_10empty_typeEbEEZZNS1_14partition_implILS8_3ELb0ES6_jNS0_17counting_iteratorIjlEEPS9_SE_NS0_5tupleIJPjSE_EEENSF_IJSE_SE_EEES9_SG_JZNS1_25segmented_radix_sort_implINS0_14default_configELb0EPKlPlSM_SN_N2at6native12_GLOBAL__N_18offset_tEEE10hipError_tPvRmT1_PNSt15iterator_traitsISV_E10value_typeET2_T3_PNSW_IS11_E10value_typeET4_jRbjT5_S17_jjP12ihipStream_tbEUljE_EEESS_ST_SU_S11_S15_S17_T6_T7_T9_mT8_S19_bDpT10_ENKUlT_T0_E_clISt17integral_constantIbLb1EES1L_IbLb0EEEEDaS1H_S1I_EUlS1H_E_NS1_11comp_targetILNS1_3genE4ELNS1_11target_archE910ELNS1_3gpuE8ELNS1_3repE0EEENS1_30default_config_static_selectorELNS0_4arch9wavefront6targetE0EEEvSV_.numbered_sgpr, 0
	.set _ZN7rocprim17ROCPRIM_400000_NS6detail17trampoline_kernelINS0_13select_configILj256ELj13ELNS0_17block_load_methodE3ELS4_3ELS4_3ELNS0_20block_scan_algorithmE0ELj4294967295EEENS1_25partition_config_selectorILNS1_17partition_subalgoE3EjNS0_10empty_typeEbEEZZNS1_14partition_implILS8_3ELb0ES6_jNS0_17counting_iteratorIjlEEPS9_SE_NS0_5tupleIJPjSE_EEENSF_IJSE_SE_EEES9_SG_JZNS1_25segmented_radix_sort_implINS0_14default_configELb0EPKlPlSM_SN_N2at6native12_GLOBAL__N_18offset_tEEE10hipError_tPvRmT1_PNSt15iterator_traitsISV_E10value_typeET2_T3_PNSW_IS11_E10value_typeET4_jRbjT5_S17_jjP12ihipStream_tbEUljE_EEESS_ST_SU_S11_S15_S17_T6_T7_T9_mT8_S19_bDpT10_ENKUlT_T0_E_clISt17integral_constantIbLb1EES1L_IbLb0EEEEDaS1H_S1I_EUlS1H_E_NS1_11comp_targetILNS1_3genE4ELNS1_11target_archE910ELNS1_3gpuE8ELNS1_3repE0EEENS1_30default_config_static_selectorELNS0_4arch9wavefront6targetE0EEEvSV_.num_named_barrier, 0
	.set _ZN7rocprim17ROCPRIM_400000_NS6detail17trampoline_kernelINS0_13select_configILj256ELj13ELNS0_17block_load_methodE3ELS4_3ELS4_3ELNS0_20block_scan_algorithmE0ELj4294967295EEENS1_25partition_config_selectorILNS1_17partition_subalgoE3EjNS0_10empty_typeEbEEZZNS1_14partition_implILS8_3ELb0ES6_jNS0_17counting_iteratorIjlEEPS9_SE_NS0_5tupleIJPjSE_EEENSF_IJSE_SE_EEES9_SG_JZNS1_25segmented_radix_sort_implINS0_14default_configELb0EPKlPlSM_SN_N2at6native12_GLOBAL__N_18offset_tEEE10hipError_tPvRmT1_PNSt15iterator_traitsISV_E10value_typeET2_T3_PNSW_IS11_E10value_typeET4_jRbjT5_S17_jjP12ihipStream_tbEUljE_EEESS_ST_SU_S11_S15_S17_T6_T7_T9_mT8_S19_bDpT10_ENKUlT_T0_E_clISt17integral_constantIbLb1EES1L_IbLb0EEEEDaS1H_S1I_EUlS1H_E_NS1_11comp_targetILNS1_3genE4ELNS1_11target_archE910ELNS1_3gpuE8ELNS1_3repE0EEENS1_30default_config_static_selectorELNS0_4arch9wavefront6targetE0EEEvSV_.private_seg_size, 0
	.set _ZN7rocprim17ROCPRIM_400000_NS6detail17trampoline_kernelINS0_13select_configILj256ELj13ELNS0_17block_load_methodE3ELS4_3ELS4_3ELNS0_20block_scan_algorithmE0ELj4294967295EEENS1_25partition_config_selectorILNS1_17partition_subalgoE3EjNS0_10empty_typeEbEEZZNS1_14partition_implILS8_3ELb0ES6_jNS0_17counting_iteratorIjlEEPS9_SE_NS0_5tupleIJPjSE_EEENSF_IJSE_SE_EEES9_SG_JZNS1_25segmented_radix_sort_implINS0_14default_configELb0EPKlPlSM_SN_N2at6native12_GLOBAL__N_18offset_tEEE10hipError_tPvRmT1_PNSt15iterator_traitsISV_E10value_typeET2_T3_PNSW_IS11_E10value_typeET4_jRbjT5_S17_jjP12ihipStream_tbEUljE_EEESS_ST_SU_S11_S15_S17_T6_T7_T9_mT8_S19_bDpT10_ENKUlT_T0_E_clISt17integral_constantIbLb1EES1L_IbLb0EEEEDaS1H_S1I_EUlS1H_E_NS1_11comp_targetILNS1_3genE4ELNS1_11target_archE910ELNS1_3gpuE8ELNS1_3repE0EEENS1_30default_config_static_selectorELNS0_4arch9wavefront6targetE0EEEvSV_.uses_vcc, 0
	.set _ZN7rocprim17ROCPRIM_400000_NS6detail17trampoline_kernelINS0_13select_configILj256ELj13ELNS0_17block_load_methodE3ELS4_3ELS4_3ELNS0_20block_scan_algorithmE0ELj4294967295EEENS1_25partition_config_selectorILNS1_17partition_subalgoE3EjNS0_10empty_typeEbEEZZNS1_14partition_implILS8_3ELb0ES6_jNS0_17counting_iteratorIjlEEPS9_SE_NS0_5tupleIJPjSE_EEENSF_IJSE_SE_EEES9_SG_JZNS1_25segmented_radix_sort_implINS0_14default_configELb0EPKlPlSM_SN_N2at6native12_GLOBAL__N_18offset_tEEE10hipError_tPvRmT1_PNSt15iterator_traitsISV_E10value_typeET2_T3_PNSW_IS11_E10value_typeET4_jRbjT5_S17_jjP12ihipStream_tbEUljE_EEESS_ST_SU_S11_S15_S17_T6_T7_T9_mT8_S19_bDpT10_ENKUlT_T0_E_clISt17integral_constantIbLb1EES1L_IbLb0EEEEDaS1H_S1I_EUlS1H_E_NS1_11comp_targetILNS1_3genE4ELNS1_11target_archE910ELNS1_3gpuE8ELNS1_3repE0EEENS1_30default_config_static_selectorELNS0_4arch9wavefront6targetE0EEEvSV_.uses_flat_scratch, 0
	.set _ZN7rocprim17ROCPRIM_400000_NS6detail17trampoline_kernelINS0_13select_configILj256ELj13ELNS0_17block_load_methodE3ELS4_3ELS4_3ELNS0_20block_scan_algorithmE0ELj4294967295EEENS1_25partition_config_selectorILNS1_17partition_subalgoE3EjNS0_10empty_typeEbEEZZNS1_14partition_implILS8_3ELb0ES6_jNS0_17counting_iteratorIjlEEPS9_SE_NS0_5tupleIJPjSE_EEENSF_IJSE_SE_EEES9_SG_JZNS1_25segmented_radix_sort_implINS0_14default_configELb0EPKlPlSM_SN_N2at6native12_GLOBAL__N_18offset_tEEE10hipError_tPvRmT1_PNSt15iterator_traitsISV_E10value_typeET2_T3_PNSW_IS11_E10value_typeET4_jRbjT5_S17_jjP12ihipStream_tbEUljE_EEESS_ST_SU_S11_S15_S17_T6_T7_T9_mT8_S19_bDpT10_ENKUlT_T0_E_clISt17integral_constantIbLb1EES1L_IbLb0EEEEDaS1H_S1I_EUlS1H_E_NS1_11comp_targetILNS1_3genE4ELNS1_11target_archE910ELNS1_3gpuE8ELNS1_3repE0EEENS1_30default_config_static_selectorELNS0_4arch9wavefront6targetE0EEEvSV_.has_dyn_sized_stack, 0
	.set _ZN7rocprim17ROCPRIM_400000_NS6detail17trampoline_kernelINS0_13select_configILj256ELj13ELNS0_17block_load_methodE3ELS4_3ELS4_3ELNS0_20block_scan_algorithmE0ELj4294967295EEENS1_25partition_config_selectorILNS1_17partition_subalgoE3EjNS0_10empty_typeEbEEZZNS1_14partition_implILS8_3ELb0ES6_jNS0_17counting_iteratorIjlEEPS9_SE_NS0_5tupleIJPjSE_EEENSF_IJSE_SE_EEES9_SG_JZNS1_25segmented_radix_sort_implINS0_14default_configELb0EPKlPlSM_SN_N2at6native12_GLOBAL__N_18offset_tEEE10hipError_tPvRmT1_PNSt15iterator_traitsISV_E10value_typeET2_T3_PNSW_IS11_E10value_typeET4_jRbjT5_S17_jjP12ihipStream_tbEUljE_EEESS_ST_SU_S11_S15_S17_T6_T7_T9_mT8_S19_bDpT10_ENKUlT_T0_E_clISt17integral_constantIbLb1EES1L_IbLb0EEEEDaS1H_S1I_EUlS1H_E_NS1_11comp_targetILNS1_3genE4ELNS1_11target_archE910ELNS1_3gpuE8ELNS1_3repE0EEENS1_30default_config_static_selectorELNS0_4arch9wavefront6targetE0EEEvSV_.has_recursion, 0
	.set _ZN7rocprim17ROCPRIM_400000_NS6detail17trampoline_kernelINS0_13select_configILj256ELj13ELNS0_17block_load_methodE3ELS4_3ELS4_3ELNS0_20block_scan_algorithmE0ELj4294967295EEENS1_25partition_config_selectorILNS1_17partition_subalgoE3EjNS0_10empty_typeEbEEZZNS1_14partition_implILS8_3ELb0ES6_jNS0_17counting_iteratorIjlEEPS9_SE_NS0_5tupleIJPjSE_EEENSF_IJSE_SE_EEES9_SG_JZNS1_25segmented_radix_sort_implINS0_14default_configELb0EPKlPlSM_SN_N2at6native12_GLOBAL__N_18offset_tEEE10hipError_tPvRmT1_PNSt15iterator_traitsISV_E10value_typeET2_T3_PNSW_IS11_E10value_typeET4_jRbjT5_S17_jjP12ihipStream_tbEUljE_EEESS_ST_SU_S11_S15_S17_T6_T7_T9_mT8_S19_bDpT10_ENKUlT_T0_E_clISt17integral_constantIbLb1EES1L_IbLb0EEEEDaS1H_S1I_EUlS1H_E_NS1_11comp_targetILNS1_3genE4ELNS1_11target_archE910ELNS1_3gpuE8ELNS1_3repE0EEENS1_30default_config_static_selectorELNS0_4arch9wavefront6targetE0EEEvSV_.has_indirect_call, 0
	.section	.AMDGPU.csdata,"",@progbits
; Kernel info:
; codeLenInByte = 0
; TotalNumSgprs: 0
; NumVgprs: 0
; ScratchSize: 0
; MemoryBound: 0
; FloatMode: 240
; IeeeMode: 1
; LDSByteSize: 0 bytes/workgroup (compile time only)
; SGPRBlocks: 0
; VGPRBlocks: 0
; NumSGPRsForWavesPerEU: 1
; NumVGPRsForWavesPerEU: 1
; NamedBarCnt: 0
; Occupancy: 16
; WaveLimiterHint : 0
; COMPUTE_PGM_RSRC2:SCRATCH_EN: 0
; COMPUTE_PGM_RSRC2:USER_SGPR: 2
; COMPUTE_PGM_RSRC2:TRAP_HANDLER: 0
; COMPUTE_PGM_RSRC2:TGID_X_EN: 1
; COMPUTE_PGM_RSRC2:TGID_Y_EN: 0
; COMPUTE_PGM_RSRC2:TGID_Z_EN: 0
; COMPUTE_PGM_RSRC2:TIDIG_COMP_CNT: 0
	.section	.text._ZN7rocprim17ROCPRIM_400000_NS6detail17trampoline_kernelINS0_13select_configILj256ELj13ELNS0_17block_load_methodE3ELS4_3ELS4_3ELNS0_20block_scan_algorithmE0ELj4294967295EEENS1_25partition_config_selectorILNS1_17partition_subalgoE3EjNS0_10empty_typeEbEEZZNS1_14partition_implILS8_3ELb0ES6_jNS0_17counting_iteratorIjlEEPS9_SE_NS0_5tupleIJPjSE_EEENSF_IJSE_SE_EEES9_SG_JZNS1_25segmented_radix_sort_implINS0_14default_configELb0EPKlPlSM_SN_N2at6native12_GLOBAL__N_18offset_tEEE10hipError_tPvRmT1_PNSt15iterator_traitsISV_E10value_typeET2_T3_PNSW_IS11_E10value_typeET4_jRbjT5_S17_jjP12ihipStream_tbEUljE_EEESS_ST_SU_S11_S15_S17_T6_T7_T9_mT8_S19_bDpT10_ENKUlT_T0_E_clISt17integral_constantIbLb1EES1L_IbLb0EEEEDaS1H_S1I_EUlS1H_E_NS1_11comp_targetILNS1_3genE3ELNS1_11target_archE908ELNS1_3gpuE7ELNS1_3repE0EEENS1_30default_config_static_selectorELNS0_4arch9wavefront6targetE0EEEvSV_,"axG",@progbits,_ZN7rocprim17ROCPRIM_400000_NS6detail17trampoline_kernelINS0_13select_configILj256ELj13ELNS0_17block_load_methodE3ELS4_3ELS4_3ELNS0_20block_scan_algorithmE0ELj4294967295EEENS1_25partition_config_selectorILNS1_17partition_subalgoE3EjNS0_10empty_typeEbEEZZNS1_14partition_implILS8_3ELb0ES6_jNS0_17counting_iteratorIjlEEPS9_SE_NS0_5tupleIJPjSE_EEENSF_IJSE_SE_EEES9_SG_JZNS1_25segmented_radix_sort_implINS0_14default_configELb0EPKlPlSM_SN_N2at6native12_GLOBAL__N_18offset_tEEE10hipError_tPvRmT1_PNSt15iterator_traitsISV_E10value_typeET2_T3_PNSW_IS11_E10value_typeET4_jRbjT5_S17_jjP12ihipStream_tbEUljE_EEESS_ST_SU_S11_S15_S17_T6_T7_T9_mT8_S19_bDpT10_ENKUlT_T0_E_clISt17integral_constantIbLb1EES1L_IbLb0EEEEDaS1H_S1I_EUlS1H_E_NS1_11comp_targetILNS1_3genE3ELNS1_11target_archE908ELNS1_3gpuE7ELNS1_3repE0EEENS1_30default_config_static_selectorELNS0_4arch9wavefront6targetE0EEEvSV_,comdat
	.globl	_ZN7rocprim17ROCPRIM_400000_NS6detail17trampoline_kernelINS0_13select_configILj256ELj13ELNS0_17block_load_methodE3ELS4_3ELS4_3ELNS0_20block_scan_algorithmE0ELj4294967295EEENS1_25partition_config_selectorILNS1_17partition_subalgoE3EjNS0_10empty_typeEbEEZZNS1_14partition_implILS8_3ELb0ES6_jNS0_17counting_iteratorIjlEEPS9_SE_NS0_5tupleIJPjSE_EEENSF_IJSE_SE_EEES9_SG_JZNS1_25segmented_radix_sort_implINS0_14default_configELb0EPKlPlSM_SN_N2at6native12_GLOBAL__N_18offset_tEEE10hipError_tPvRmT1_PNSt15iterator_traitsISV_E10value_typeET2_T3_PNSW_IS11_E10value_typeET4_jRbjT5_S17_jjP12ihipStream_tbEUljE_EEESS_ST_SU_S11_S15_S17_T6_T7_T9_mT8_S19_bDpT10_ENKUlT_T0_E_clISt17integral_constantIbLb1EES1L_IbLb0EEEEDaS1H_S1I_EUlS1H_E_NS1_11comp_targetILNS1_3genE3ELNS1_11target_archE908ELNS1_3gpuE7ELNS1_3repE0EEENS1_30default_config_static_selectorELNS0_4arch9wavefront6targetE0EEEvSV_ ; -- Begin function _ZN7rocprim17ROCPRIM_400000_NS6detail17trampoline_kernelINS0_13select_configILj256ELj13ELNS0_17block_load_methodE3ELS4_3ELS4_3ELNS0_20block_scan_algorithmE0ELj4294967295EEENS1_25partition_config_selectorILNS1_17partition_subalgoE3EjNS0_10empty_typeEbEEZZNS1_14partition_implILS8_3ELb0ES6_jNS0_17counting_iteratorIjlEEPS9_SE_NS0_5tupleIJPjSE_EEENSF_IJSE_SE_EEES9_SG_JZNS1_25segmented_radix_sort_implINS0_14default_configELb0EPKlPlSM_SN_N2at6native12_GLOBAL__N_18offset_tEEE10hipError_tPvRmT1_PNSt15iterator_traitsISV_E10value_typeET2_T3_PNSW_IS11_E10value_typeET4_jRbjT5_S17_jjP12ihipStream_tbEUljE_EEESS_ST_SU_S11_S15_S17_T6_T7_T9_mT8_S19_bDpT10_ENKUlT_T0_E_clISt17integral_constantIbLb1EES1L_IbLb0EEEEDaS1H_S1I_EUlS1H_E_NS1_11comp_targetILNS1_3genE3ELNS1_11target_archE908ELNS1_3gpuE7ELNS1_3repE0EEENS1_30default_config_static_selectorELNS0_4arch9wavefront6targetE0EEEvSV_
	.p2align	8
	.type	_ZN7rocprim17ROCPRIM_400000_NS6detail17trampoline_kernelINS0_13select_configILj256ELj13ELNS0_17block_load_methodE3ELS4_3ELS4_3ELNS0_20block_scan_algorithmE0ELj4294967295EEENS1_25partition_config_selectorILNS1_17partition_subalgoE3EjNS0_10empty_typeEbEEZZNS1_14partition_implILS8_3ELb0ES6_jNS0_17counting_iteratorIjlEEPS9_SE_NS0_5tupleIJPjSE_EEENSF_IJSE_SE_EEES9_SG_JZNS1_25segmented_radix_sort_implINS0_14default_configELb0EPKlPlSM_SN_N2at6native12_GLOBAL__N_18offset_tEEE10hipError_tPvRmT1_PNSt15iterator_traitsISV_E10value_typeET2_T3_PNSW_IS11_E10value_typeET4_jRbjT5_S17_jjP12ihipStream_tbEUljE_EEESS_ST_SU_S11_S15_S17_T6_T7_T9_mT8_S19_bDpT10_ENKUlT_T0_E_clISt17integral_constantIbLb1EES1L_IbLb0EEEEDaS1H_S1I_EUlS1H_E_NS1_11comp_targetILNS1_3genE3ELNS1_11target_archE908ELNS1_3gpuE7ELNS1_3repE0EEENS1_30default_config_static_selectorELNS0_4arch9wavefront6targetE0EEEvSV_,@function
_ZN7rocprim17ROCPRIM_400000_NS6detail17trampoline_kernelINS0_13select_configILj256ELj13ELNS0_17block_load_methodE3ELS4_3ELS4_3ELNS0_20block_scan_algorithmE0ELj4294967295EEENS1_25partition_config_selectorILNS1_17partition_subalgoE3EjNS0_10empty_typeEbEEZZNS1_14partition_implILS8_3ELb0ES6_jNS0_17counting_iteratorIjlEEPS9_SE_NS0_5tupleIJPjSE_EEENSF_IJSE_SE_EEES9_SG_JZNS1_25segmented_radix_sort_implINS0_14default_configELb0EPKlPlSM_SN_N2at6native12_GLOBAL__N_18offset_tEEE10hipError_tPvRmT1_PNSt15iterator_traitsISV_E10value_typeET2_T3_PNSW_IS11_E10value_typeET4_jRbjT5_S17_jjP12ihipStream_tbEUljE_EEESS_ST_SU_S11_S15_S17_T6_T7_T9_mT8_S19_bDpT10_ENKUlT_T0_E_clISt17integral_constantIbLb1EES1L_IbLb0EEEEDaS1H_S1I_EUlS1H_E_NS1_11comp_targetILNS1_3genE3ELNS1_11target_archE908ELNS1_3gpuE7ELNS1_3repE0EEENS1_30default_config_static_selectorELNS0_4arch9wavefront6targetE0EEEvSV_: ; @_ZN7rocprim17ROCPRIM_400000_NS6detail17trampoline_kernelINS0_13select_configILj256ELj13ELNS0_17block_load_methodE3ELS4_3ELS4_3ELNS0_20block_scan_algorithmE0ELj4294967295EEENS1_25partition_config_selectorILNS1_17partition_subalgoE3EjNS0_10empty_typeEbEEZZNS1_14partition_implILS8_3ELb0ES6_jNS0_17counting_iteratorIjlEEPS9_SE_NS0_5tupleIJPjSE_EEENSF_IJSE_SE_EEES9_SG_JZNS1_25segmented_radix_sort_implINS0_14default_configELb0EPKlPlSM_SN_N2at6native12_GLOBAL__N_18offset_tEEE10hipError_tPvRmT1_PNSt15iterator_traitsISV_E10value_typeET2_T3_PNSW_IS11_E10value_typeET4_jRbjT5_S17_jjP12ihipStream_tbEUljE_EEESS_ST_SU_S11_S15_S17_T6_T7_T9_mT8_S19_bDpT10_ENKUlT_T0_E_clISt17integral_constantIbLb1EES1L_IbLb0EEEEDaS1H_S1I_EUlS1H_E_NS1_11comp_targetILNS1_3genE3ELNS1_11target_archE908ELNS1_3gpuE7ELNS1_3repE0EEENS1_30default_config_static_selectorELNS0_4arch9wavefront6targetE0EEEvSV_
; %bb.0:
	.section	.rodata,"a",@progbits
	.p2align	6, 0x0
	.amdhsa_kernel _ZN7rocprim17ROCPRIM_400000_NS6detail17trampoline_kernelINS0_13select_configILj256ELj13ELNS0_17block_load_methodE3ELS4_3ELS4_3ELNS0_20block_scan_algorithmE0ELj4294967295EEENS1_25partition_config_selectorILNS1_17partition_subalgoE3EjNS0_10empty_typeEbEEZZNS1_14partition_implILS8_3ELb0ES6_jNS0_17counting_iteratorIjlEEPS9_SE_NS0_5tupleIJPjSE_EEENSF_IJSE_SE_EEES9_SG_JZNS1_25segmented_radix_sort_implINS0_14default_configELb0EPKlPlSM_SN_N2at6native12_GLOBAL__N_18offset_tEEE10hipError_tPvRmT1_PNSt15iterator_traitsISV_E10value_typeET2_T3_PNSW_IS11_E10value_typeET4_jRbjT5_S17_jjP12ihipStream_tbEUljE_EEESS_ST_SU_S11_S15_S17_T6_T7_T9_mT8_S19_bDpT10_ENKUlT_T0_E_clISt17integral_constantIbLb1EES1L_IbLb0EEEEDaS1H_S1I_EUlS1H_E_NS1_11comp_targetILNS1_3genE3ELNS1_11target_archE908ELNS1_3gpuE7ELNS1_3repE0EEENS1_30default_config_static_selectorELNS0_4arch9wavefront6targetE0EEEvSV_
		.amdhsa_group_segment_fixed_size 0
		.amdhsa_private_segment_fixed_size 0
		.amdhsa_kernarg_size 144
		.amdhsa_user_sgpr_count 2
		.amdhsa_user_sgpr_dispatch_ptr 0
		.amdhsa_user_sgpr_queue_ptr 0
		.amdhsa_user_sgpr_kernarg_segment_ptr 1
		.amdhsa_user_sgpr_dispatch_id 0
		.amdhsa_user_sgpr_kernarg_preload_length 0
		.amdhsa_user_sgpr_kernarg_preload_offset 0
		.amdhsa_user_sgpr_private_segment_size 0
		.amdhsa_wavefront_size32 1
		.amdhsa_uses_dynamic_stack 0
		.amdhsa_enable_private_segment 0
		.amdhsa_system_sgpr_workgroup_id_x 1
		.amdhsa_system_sgpr_workgroup_id_y 0
		.amdhsa_system_sgpr_workgroup_id_z 0
		.amdhsa_system_sgpr_workgroup_info 0
		.amdhsa_system_vgpr_workitem_id 0
		.amdhsa_next_free_vgpr 1
		.amdhsa_next_free_sgpr 1
		.amdhsa_named_barrier_count 0
		.amdhsa_reserve_vcc 0
		.amdhsa_float_round_mode_32 0
		.amdhsa_float_round_mode_16_64 0
		.amdhsa_float_denorm_mode_32 3
		.amdhsa_float_denorm_mode_16_64 3
		.amdhsa_fp16_overflow 0
		.amdhsa_memory_ordered 1
		.amdhsa_forward_progress 1
		.amdhsa_inst_pref_size 0
		.amdhsa_round_robin_scheduling 0
		.amdhsa_exception_fp_ieee_invalid_op 0
		.amdhsa_exception_fp_denorm_src 0
		.amdhsa_exception_fp_ieee_div_zero 0
		.amdhsa_exception_fp_ieee_overflow 0
		.amdhsa_exception_fp_ieee_underflow 0
		.amdhsa_exception_fp_ieee_inexact 0
		.amdhsa_exception_int_div_zero 0
	.end_amdhsa_kernel
	.section	.text._ZN7rocprim17ROCPRIM_400000_NS6detail17trampoline_kernelINS0_13select_configILj256ELj13ELNS0_17block_load_methodE3ELS4_3ELS4_3ELNS0_20block_scan_algorithmE0ELj4294967295EEENS1_25partition_config_selectorILNS1_17partition_subalgoE3EjNS0_10empty_typeEbEEZZNS1_14partition_implILS8_3ELb0ES6_jNS0_17counting_iteratorIjlEEPS9_SE_NS0_5tupleIJPjSE_EEENSF_IJSE_SE_EEES9_SG_JZNS1_25segmented_radix_sort_implINS0_14default_configELb0EPKlPlSM_SN_N2at6native12_GLOBAL__N_18offset_tEEE10hipError_tPvRmT1_PNSt15iterator_traitsISV_E10value_typeET2_T3_PNSW_IS11_E10value_typeET4_jRbjT5_S17_jjP12ihipStream_tbEUljE_EEESS_ST_SU_S11_S15_S17_T6_T7_T9_mT8_S19_bDpT10_ENKUlT_T0_E_clISt17integral_constantIbLb1EES1L_IbLb0EEEEDaS1H_S1I_EUlS1H_E_NS1_11comp_targetILNS1_3genE3ELNS1_11target_archE908ELNS1_3gpuE7ELNS1_3repE0EEENS1_30default_config_static_selectorELNS0_4arch9wavefront6targetE0EEEvSV_,"axG",@progbits,_ZN7rocprim17ROCPRIM_400000_NS6detail17trampoline_kernelINS0_13select_configILj256ELj13ELNS0_17block_load_methodE3ELS4_3ELS4_3ELNS0_20block_scan_algorithmE0ELj4294967295EEENS1_25partition_config_selectorILNS1_17partition_subalgoE3EjNS0_10empty_typeEbEEZZNS1_14partition_implILS8_3ELb0ES6_jNS0_17counting_iteratorIjlEEPS9_SE_NS0_5tupleIJPjSE_EEENSF_IJSE_SE_EEES9_SG_JZNS1_25segmented_radix_sort_implINS0_14default_configELb0EPKlPlSM_SN_N2at6native12_GLOBAL__N_18offset_tEEE10hipError_tPvRmT1_PNSt15iterator_traitsISV_E10value_typeET2_T3_PNSW_IS11_E10value_typeET4_jRbjT5_S17_jjP12ihipStream_tbEUljE_EEESS_ST_SU_S11_S15_S17_T6_T7_T9_mT8_S19_bDpT10_ENKUlT_T0_E_clISt17integral_constantIbLb1EES1L_IbLb0EEEEDaS1H_S1I_EUlS1H_E_NS1_11comp_targetILNS1_3genE3ELNS1_11target_archE908ELNS1_3gpuE7ELNS1_3repE0EEENS1_30default_config_static_selectorELNS0_4arch9wavefront6targetE0EEEvSV_,comdat
.Lfunc_end790:
	.size	_ZN7rocprim17ROCPRIM_400000_NS6detail17trampoline_kernelINS0_13select_configILj256ELj13ELNS0_17block_load_methodE3ELS4_3ELS4_3ELNS0_20block_scan_algorithmE0ELj4294967295EEENS1_25partition_config_selectorILNS1_17partition_subalgoE3EjNS0_10empty_typeEbEEZZNS1_14partition_implILS8_3ELb0ES6_jNS0_17counting_iteratorIjlEEPS9_SE_NS0_5tupleIJPjSE_EEENSF_IJSE_SE_EEES9_SG_JZNS1_25segmented_radix_sort_implINS0_14default_configELb0EPKlPlSM_SN_N2at6native12_GLOBAL__N_18offset_tEEE10hipError_tPvRmT1_PNSt15iterator_traitsISV_E10value_typeET2_T3_PNSW_IS11_E10value_typeET4_jRbjT5_S17_jjP12ihipStream_tbEUljE_EEESS_ST_SU_S11_S15_S17_T6_T7_T9_mT8_S19_bDpT10_ENKUlT_T0_E_clISt17integral_constantIbLb1EES1L_IbLb0EEEEDaS1H_S1I_EUlS1H_E_NS1_11comp_targetILNS1_3genE3ELNS1_11target_archE908ELNS1_3gpuE7ELNS1_3repE0EEENS1_30default_config_static_selectorELNS0_4arch9wavefront6targetE0EEEvSV_, .Lfunc_end790-_ZN7rocprim17ROCPRIM_400000_NS6detail17trampoline_kernelINS0_13select_configILj256ELj13ELNS0_17block_load_methodE3ELS4_3ELS4_3ELNS0_20block_scan_algorithmE0ELj4294967295EEENS1_25partition_config_selectorILNS1_17partition_subalgoE3EjNS0_10empty_typeEbEEZZNS1_14partition_implILS8_3ELb0ES6_jNS0_17counting_iteratorIjlEEPS9_SE_NS0_5tupleIJPjSE_EEENSF_IJSE_SE_EEES9_SG_JZNS1_25segmented_radix_sort_implINS0_14default_configELb0EPKlPlSM_SN_N2at6native12_GLOBAL__N_18offset_tEEE10hipError_tPvRmT1_PNSt15iterator_traitsISV_E10value_typeET2_T3_PNSW_IS11_E10value_typeET4_jRbjT5_S17_jjP12ihipStream_tbEUljE_EEESS_ST_SU_S11_S15_S17_T6_T7_T9_mT8_S19_bDpT10_ENKUlT_T0_E_clISt17integral_constantIbLb1EES1L_IbLb0EEEEDaS1H_S1I_EUlS1H_E_NS1_11comp_targetILNS1_3genE3ELNS1_11target_archE908ELNS1_3gpuE7ELNS1_3repE0EEENS1_30default_config_static_selectorELNS0_4arch9wavefront6targetE0EEEvSV_
                                        ; -- End function
	.set _ZN7rocprim17ROCPRIM_400000_NS6detail17trampoline_kernelINS0_13select_configILj256ELj13ELNS0_17block_load_methodE3ELS4_3ELS4_3ELNS0_20block_scan_algorithmE0ELj4294967295EEENS1_25partition_config_selectorILNS1_17partition_subalgoE3EjNS0_10empty_typeEbEEZZNS1_14partition_implILS8_3ELb0ES6_jNS0_17counting_iteratorIjlEEPS9_SE_NS0_5tupleIJPjSE_EEENSF_IJSE_SE_EEES9_SG_JZNS1_25segmented_radix_sort_implINS0_14default_configELb0EPKlPlSM_SN_N2at6native12_GLOBAL__N_18offset_tEEE10hipError_tPvRmT1_PNSt15iterator_traitsISV_E10value_typeET2_T3_PNSW_IS11_E10value_typeET4_jRbjT5_S17_jjP12ihipStream_tbEUljE_EEESS_ST_SU_S11_S15_S17_T6_T7_T9_mT8_S19_bDpT10_ENKUlT_T0_E_clISt17integral_constantIbLb1EES1L_IbLb0EEEEDaS1H_S1I_EUlS1H_E_NS1_11comp_targetILNS1_3genE3ELNS1_11target_archE908ELNS1_3gpuE7ELNS1_3repE0EEENS1_30default_config_static_selectorELNS0_4arch9wavefront6targetE0EEEvSV_.num_vgpr, 0
	.set _ZN7rocprim17ROCPRIM_400000_NS6detail17trampoline_kernelINS0_13select_configILj256ELj13ELNS0_17block_load_methodE3ELS4_3ELS4_3ELNS0_20block_scan_algorithmE0ELj4294967295EEENS1_25partition_config_selectorILNS1_17partition_subalgoE3EjNS0_10empty_typeEbEEZZNS1_14partition_implILS8_3ELb0ES6_jNS0_17counting_iteratorIjlEEPS9_SE_NS0_5tupleIJPjSE_EEENSF_IJSE_SE_EEES9_SG_JZNS1_25segmented_radix_sort_implINS0_14default_configELb0EPKlPlSM_SN_N2at6native12_GLOBAL__N_18offset_tEEE10hipError_tPvRmT1_PNSt15iterator_traitsISV_E10value_typeET2_T3_PNSW_IS11_E10value_typeET4_jRbjT5_S17_jjP12ihipStream_tbEUljE_EEESS_ST_SU_S11_S15_S17_T6_T7_T9_mT8_S19_bDpT10_ENKUlT_T0_E_clISt17integral_constantIbLb1EES1L_IbLb0EEEEDaS1H_S1I_EUlS1H_E_NS1_11comp_targetILNS1_3genE3ELNS1_11target_archE908ELNS1_3gpuE7ELNS1_3repE0EEENS1_30default_config_static_selectorELNS0_4arch9wavefront6targetE0EEEvSV_.num_agpr, 0
	.set _ZN7rocprim17ROCPRIM_400000_NS6detail17trampoline_kernelINS0_13select_configILj256ELj13ELNS0_17block_load_methodE3ELS4_3ELS4_3ELNS0_20block_scan_algorithmE0ELj4294967295EEENS1_25partition_config_selectorILNS1_17partition_subalgoE3EjNS0_10empty_typeEbEEZZNS1_14partition_implILS8_3ELb0ES6_jNS0_17counting_iteratorIjlEEPS9_SE_NS0_5tupleIJPjSE_EEENSF_IJSE_SE_EEES9_SG_JZNS1_25segmented_radix_sort_implINS0_14default_configELb0EPKlPlSM_SN_N2at6native12_GLOBAL__N_18offset_tEEE10hipError_tPvRmT1_PNSt15iterator_traitsISV_E10value_typeET2_T3_PNSW_IS11_E10value_typeET4_jRbjT5_S17_jjP12ihipStream_tbEUljE_EEESS_ST_SU_S11_S15_S17_T6_T7_T9_mT8_S19_bDpT10_ENKUlT_T0_E_clISt17integral_constantIbLb1EES1L_IbLb0EEEEDaS1H_S1I_EUlS1H_E_NS1_11comp_targetILNS1_3genE3ELNS1_11target_archE908ELNS1_3gpuE7ELNS1_3repE0EEENS1_30default_config_static_selectorELNS0_4arch9wavefront6targetE0EEEvSV_.numbered_sgpr, 0
	.set _ZN7rocprim17ROCPRIM_400000_NS6detail17trampoline_kernelINS0_13select_configILj256ELj13ELNS0_17block_load_methodE3ELS4_3ELS4_3ELNS0_20block_scan_algorithmE0ELj4294967295EEENS1_25partition_config_selectorILNS1_17partition_subalgoE3EjNS0_10empty_typeEbEEZZNS1_14partition_implILS8_3ELb0ES6_jNS0_17counting_iteratorIjlEEPS9_SE_NS0_5tupleIJPjSE_EEENSF_IJSE_SE_EEES9_SG_JZNS1_25segmented_radix_sort_implINS0_14default_configELb0EPKlPlSM_SN_N2at6native12_GLOBAL__N_18offset_tEEE10hipError_tPvRmT1_PNSt15iterator_traitsISV_E10value_typeET2_T3_PNSW_IS11_E10value_typeET4_jRbjT5_S17_jjP12ihipStream_tbEUljE_EEESS_ST_SU_S11_S15_S17_T6_T7_T9_mT8_S19_bDpT10_ENKUlT_T0_E_clISt17integral_constantIbLb1EES1L_IbLb0EEEEDaS1H_S1I_EUlS1H_E_NS1_11comp_targetILNS1_3genE3ELNS1_11target_archE908ELNS1_3gpuE7ELNS1_3repE0EEENS1_30default_config_static_selectorELNS0_4arch9wavefront6targetE0EEEvSV_.num_named_barrier, 0
	.set _ZN7rocprim17ROCPRIM_400000_NS6detail17trampoline_kernelINS0_13select_configILj256ELj13ELNS0_17block_load_methodE3ELS4_3ELS4_3ELNS0_20block_scan_algorithmE0ELj4294967295EEENS1_25partition_config_selectorILNS1_17partition_subalgoE3EjNS0_10empty_typeEbEEZZNS1_14partition_implILS8_3ELb0ES6_jNS0_17counting_iteratorIjlEEPS9_SE_NS0_5tupleIJPjSE_EEENSF_IJSE_SE_EEES9_SG_JZNS1_25segmented_radix_sort_implINS0_14default_configELb0EPKlPlSM_SN_N2at6native12_GLOBAL__N_18offset_tEEE10hipError_tPvRmT1_PNSt15iterator_traitsISV_E10value_typeET2_T3_PNSW_IS11_E10value_typeET4_jRbjT5_S17_jjP12ihipStream_tbEUljE_EEESS_ST_SU_S11_S15_S17_T6_T7_T9_mT8_S19_bDpT10_ENKUlT_T0_E_clISt17integral_constantIbLb1EES1L_IbLb0EEEEDaS1H_S1I_EUlS1H_E_NS1_11comp_targetILNS1_3genE3ELNS1_11target_archE908ELNS1_3gpuE7ELNS1_3repE0EEENS1_30default_config_static_selectorELNS0_4arch9wavefront6targetE0EEEvSV_.private_seg_size, 0
	.set _ZN7rocprim17ROCPRIM_400000_NS6detail17trampoline_kernelINS0_13select_configILj256ELj13ELNS0_17block_load_methodE3ELS4_3ELS4_3ELNS0_20block_scan_algorithmE0ELj4294967295EEENS1_25partition_config_selectorILNS1_17partition_subalgoE3EjNS0_10empty_typeEbEEZZNS1_14partition_implILS8_3ELb0ES6_jNS0_17counting_iteratorIjlEEPS9_SE_NS0_5tupleIJPjSE_EEENSF_IJSE_SE_EEES9_SG_JZNS1_25segmented_radix_sort_implINS0_14default_configELb0EPKlPlSM_SN_N2at6native12_GLOBAL__N_18offset_tEEE10hipError_tPvRmT1_PNSt15iterator_traitsISV_E10value_typeET2_T3_PNSW_IS11_E10value_typeET4_jRbjT5_S17_jjP12ihipStream_tbEUljE_EEESS_ST_SU_S11_S15_S17_T6_T7_T9_mT8_S19_bDpT10_ENKUlT_T0_E_clISt17integral_constantIbLb1EES1L_IbLb0EEEEDaS1H_S1I_EUlS1H_E_NS1_11comp_targetILNS1_3genE3ELNS1_11target_archE908ELNS1_3gpuE7ELNS1_3repE0EEENS1_30default_config_static_selectorELNS0_4arch9wavefront6targetE0EEEvSV_.uses_vcc, 0
	.set _ZN7rocprim17ROCPRIM_400000_NS6detail17trampoline_kernelINS0_13select_configILj256ELj13ELNS0_17block_load_methodE3ELS4_3ELS4_3ELNS0_20block_scan_algorithmE0ELj4294967295EEENS1_25partition_config_selectorILNS1_17partition_subalgoE3EjNS0_10empty_typeEbEEZZNS1_14partition_implILS8_3ELb0ES6_jNS0_17counting_iteratorIjlEEPS9_SE_NS0_5tupleIJPjSE_EEENSF_IJSE_SE_EEES9_SG_JZNS1_25segmented_radix_sort_implINS0_14default_configELb0EPKlPlSM_SN_N2at6native12_GLOBAL__N_18offset_tEEE10hipError_tPvRmT1_PNSt15iterator_traitsISV_E10value_typeET2_T3_PNSW_IS11_E10value_typeET4_jRbjT5_S17_jjP12ihipStream_tbEUljE_EEESS_ST_SU_S11_S15_S17_T6_T7_T9_mT8_S19_bDpT10_ENKUlT_T0_E_clISt17integral_constantIbLb1EES1L_IbLb0EEEEDaS1H_S1I_EUlS1H_E_NS1_11comp_targetILNS1_3genE3ELNS1_11target_archE908ELNS1_3gpuE7ELNS1_3repE0EEENS1_30default_config_static_selectorELNS0_4arch9wavefront6targetE0EEEvSV_.uses_flat_scratch, 0
	.set _ZN7rocprim17ROCPRIM_400000_NS6detail17trampoline_kernelINS0_13select_configILj256ELj13ELNS0_17block_load_methodE3ELS4_3ELS4_3ELNS0_20block_scan_algorithmE0ELj4294967295EEENS1_25partition_config_selectorILNS1_17partition_subalgoE3EjNS0_10empty_typeEbEEZZNS1_14partition_implILS8_3ELb0ES6_jNS0_17counting_iteratorIjlEEPS9_SE_NS0_5tupleIJPjSE_EEENSF_IJSE_SE_EEES9_SG_JZNS1_25segmented_radix_sort_implINS0_14default_configELb0EPKlPlSM_SN_N2at6native12_GLOBAL__N_18offset_tEEE10hipError_tPvRmT1_PNSt15iterator_traitsISV_E10value_typeET2_T3_PNSW_IS11_E10value_typeET4_jRbjT5_S17_jjP12ihipStream_tbEUljE_EEESS_ST_SU_S11_S15_S17_T6_T7_T9_mT8_S19_bDpT10_ENKUlT_T0_E_clISt17integral_constantIbLb1EES1L_IbLb0EEEEDaS1H_S1I_EUlS1H_E_NS1_11comp_targetILNS1_3genE3ELNS1_11target_archE908ELNS1_3gpuE7ELNS1_3repE0EEENS1_30default_config_static_selectorELNS0_4arch9wavefront6targetE0EEEvSV_.has_dyn_sized_stack, 0
	.set _ZN7rocprim17ROCPRIM_400000_NS6detail17trampoline_kernelINS0_13select_configILj256ELj13ELNS0_17block_load_methodE3ELS4_3ELS4_3ELNS0_20block_scan_algorithmE0ELj4294967295EEENS1_25partition_config_selectorILNS1_17partition_subalgoE3EjNS0_10empty_typeEbEEZZNS1_14partition_implILS8_3ELb0ES6_jNS0_17counting_iteratorIjlEEPS9_SE_NS0_5tupleIJPjSE_EEENSF_IJSE_SE_EEES9_SG_JZNS1_25segmented_radix_sort_implINS0_14default_configELb0EPKlPlSM_SN_N2at6native12_GLOBAL__N_18offset_tEEE10hipError_tPvRmT1_PNSt15iterator_traitsISV_E10value_typeET2_T3_PNSW_IS11_E10value_typeET4_jRbjT5_S17_jjP12ihipStream_tbEUljE_EEESS_ST_SU_S11_S15_S17_T6_T7_T9_mT8_S19_bDpT10_ENKUlT_T0_E_clISt17integral_constantIbLb1EES1L_IbLb0EEEEDaS1H_S1I_EUlS1H_E_NS1_11comp_targetILNS1_3genE3ELNS1_11target_archE908ELNS1_3gpuE7ELNS1_3repE0EEENS1_30default_config_static_selectorELNS0_4arch9wavefront6targetE0EEEvSV_.has_recursion, 0
	.set _ZN7rocprim17ROCPRIM_400000_NS6detail17trampoline_kernelINS0_13select_configILj256ELj13ELNS0_17block_load_methodE3ELS4_3ELS4_3ELNS0_20block_scan_algorithmE0ELj4294967295EEENS1_25partition_config_selectorILNS1_17partition_subalgoE3EjNS0_10empty_typeEbEEZZNS1_14partition_implILS8_3ELb0ES6_jNS0_17counting_iteratorIjlEEPS9_SE_NS0_5tupleIJPjSE_EEENSF_IJSE_SE_EEES9_SG_JZNS1_25segmented_radix_sort_implINS0_14default_configELb0EPKlPlSM_SN_N2at6native12_GLOBAL__N_18offset_tEEE10hipError_tPvRmT1_PNSt15iterator_traitsISV_E10value_typeET2_T3_PNSW_IS11_E10value_typeET4_jRbjT5_S17_jjP12ihipStream_tbEUljE_EEESS_ST_SU_S11_S15_S17_T6_T7_T9_mT8_S19_bDpT10_ENKUlT_T0_E_clISt17integral_constantIbLb1EES1L_IbLb0EEEEDaS1H_S1I_EUlS1H_E_NS1_11comp_targetILNS1_3genE3ELNS1_11target_archE908ELNS1_3gpuE7ELNS1_3repE0EEENS1_30default_config_static_selectorELNS0_4arch9wavefront6targetE0EEEvSV_.has_indirect_call, 0
	.section	.AMDGPU.csdata,"",@progbits
; Kernel info:
; codeLenInByte = 0
; TotalNumSgprs: 0
; NumVgprs: 0
; ScratchSize: 0
; MemoryBound: 0
; FloatMode: 240
; IeeeMode: 1
; LDSByteSize: 0 bytes/workgroup (compile time only)
; SGPRBlocks: 0
; VGPRBlocks: 0
; NumSGPRsForWavesPerEU: 1
; NumVGPRsForWavesPerEU: 1
; NamedBarCnt: 0
; Occupancy: 16
; WaveLimiterHint : 0
; COMPUTE_PGM_RSRC2:SCRATCH_EN: 0
; COMPUTE_PGM_RSRC2:USER_SGPR: 2
; COMPUTE_PGM_RSRC2:TRAP_HANDLER: 0
; COMPUTE_PGM_RSRC2:TGID_X_EN: 1
; COMPUTE_PGM_RSRC2:TGID_Y_EN: 0
; COMPUTE_PGM_RSRC2:TGID_Z_EN: 0
; COMPUTE_PGM_RSRC2:TIDIG_COMP_CNT: 0
	.section	.text._ZN7rocprim17ROCPRIM_400000_NS6detail17trampoline_kernelINS0_13select_configILj256ELj13ELNS0_17block_load_methodE3ELS4_3ELS4_3ELNS0_20block_scan_algorithmE0ELj4294967295EEENS1_25partition_config_selectorILNS1_17partition_subalgoE3EjNS0_10empty_typeEbEEZZNS1_14partition_implILS8_3ELb0ES6_jNS0_17counting_iteratorIjlEEPS9_SE_NS0_5tupleIJPjSE_EEENSF_IJSE_SE_EEES9_SG_JZNS1_25segmented_radix_sort_implINS0_14default_configELb0EPKlPlSM_SN_N2at6native12_GLOBAL__N_18offset_tEEE10hipError_tPvRmT1_PNSt15iterator_traitsISV_E10value_typeET2_T3_PNSW_IS11_E10value_typeET4_jRbjT5_S17_jjP12ihipStream_tbEUljE_EEESS_ST_SU_S11_S15_S17_T6_T7_T9_mT8_S19_bDpT10_ENKUlT_T0_E_clISt17integral_constantIbLb1EES1L_IbLb0EEEEDaS1H_S1I_EUlS1H_E_NS1_11comp_targetILNS1_3genE2ELNS1_11target_archE906ELNS1_3gpuE6ELNS1_3repE0EEENS1_30default_config_static_selectorELNS0_4arch9wavefront6targetE0EEEvSV_,"axG",@progbits,_ZN7rocprim17ROCPRIM_400000_NS6detail17trampoline_kernelINS0_13select_configILj256ELj13ELNS0_17block_load_methodE3ELS4_3ELS4_3ELNS0_20block_scan_algorithmE0ELj4294967295EEENS1_25partition_config_selectorILNS1_17partition_subalgoE3EjNS0_10empty_typeEbEEZZNS1_14partition_implILS8_3ELb0ES6_jNS0_17counting_iteratorIjlEEPS9_SE_NS0_5tupleIJPjSE_EEENSF_IJSE_SE_EEES9_SG_JZNS1_25segmented_radix_sort_implINS0_14default_configELb0EPKlPlSM_SN_N2at6native12_GLOBAL__N_18offset_tEEE10hipError_tPvRmT1_PNSt15iterator_traitsISV_E10value_typeET2_T3_PNSW_IS11_E10value_typeET4_jRbjT5_S17_jjP12ihipStream_tbEUljE_EEESS_ST_SU_S11_S15_S17_T6_T7_T9_mT8_S19_bDpT10_ENKUlT_T0_E_clISt17integral_constantIbLb1EES1L_IbLb0EEEEDaS1H_S1I_EUlS1H_E_NS1_11comp_targetILNS1_3genE2ELNS1_11target_archE906ELNS1_3gpuE6ELNS1_3repE0EEENS1_30default_config_static_selectorELNS0_4arch9wavefront6targetE0EEEvSV_,comdat
	.globl	_ZN7rocprim17ROCPRIM_400000_NS6detail17trampoline_kernelINS0_13select_configILj256ELj13ELNS0_17block_load_methodE3ELS4_3ELS4_3ELNS0_20block_scan_algorithmE0ELj4294967295EEENS1_25partition_config_selectorILNS1_17partition_subalgoE3EjNS0_10empty_typeEbEEZZNS1_14partition_implILS8_3ELb0ES6_jNS0_17counting_iteratorIjlEEPS9_SE_NS0_5tupleIJPjSE_EEENSF_IJSE_SE_EEES9_SG_JZNS1_25segmented_radix_sort_implINS0_14default_configELb0EPKlPlSM_SN_N2at6native12_GLOBAL__N_18offset_tEEE10hipError_tPvRmT1_PNSt15iterator_traitsISV_E10value_typeET2_T3_PNSW_IS11_E10value_typeET4_jRbjT5_S17_jjP12ihipStream_tbEUljE_EEESS_ST_SU_S11_S15_S17_T6_T7_T9_mT8_S19_bDpT10_ENKUlT_T0_E_clISt17integral_constantIbLb1EES1L_IbLb0EEEEDaS1H_S1I_EUlS1H_E_NS1_11comp_targetILNS1_3genE2ELNS1_11target_archE906ELNS1_3gpuE6ELNS1_3repE0EEENS1_30default_config_static_selectorELNS0_4arch9wavefront6targetE0EEEvSV_ ; -- Begin function _ZN7rocprim17ROCPRIM_400000_NS6detail17trampoline_kernelINS0_13select_configILj256ELj13ELNS0_17block_load_methodE3ELS4_3ELS4_3ELNS0_20block_scan_algorithmE0ELj4294967295EEENS1_25partition_config_selectorILNS1_17partition_subalgoE3EjNS0_10empty_typeEbEEZZNS1_14partition_implILS8_3ELb0ES6_jNS0_17counting_iteratorIjlEEPS9_SE_NS0_5tupleIJPjSE_EEENSF_IJSE_SE_EEES9_SG_JZNS1_25segmented_radix_sort_implINS0_14default_configELb0EPKlPlSM_SN_N2at6native12_GLOBAL__N_18offset_tEEE10hipError_tPvRmT1_PNSt15iterator_traitsISV_E10value_typeET2_T3_PNSW_IS11_E10value_typeET4_jRbjT5_S17_jjP12ihipStream_tbEUljE_EEESS_ST_SU_S11_S15_S17_T6_T7_T9_mT8_S19_bDpT10_ENKUlT_T0_E_clISt17integral_constantIbLb1EES1L_IbLb0EEEEDaS1H_S1I_EUlS1H_E_NS1_11comp_targetILNS1_3genE2ELNS1_11target_archE906ELNS1_3gpuE6ELNS1_3repE0EEENS1_30default_config_static_selectorELNS0_4arch9wavefront6targetE0EEEvSV_
	.p2align	8
	.type	_ZN7rocprim17ROCPRIM_400000_NS6detail17trampoline_kernelINS0_13select_configILj256ELj13ELNS0_17block_load_methodE3ELS4_3ELS4_3ELNS0_20block_scan_algorithmE0ELj4294967295EEENS1_25partition_config_selectorILNS1_17partition_subalgoE3EjNS0_10empty_typeEbEEZZNS1_14partition_implILS8_3ELb0ES6_jNS0_17counting_iteratorIjlEEPS9_SE_NS0_5tupleIJPjSE_EEENSF_IJSE_SE_EEES9_SG_JZNS1_25segmented_radix_sort_implINS0_14default_configELb0EPKlPlSM_SN_N2at6native12_GLOBAL__N_18offset_tEEE10hipError_tPvRmT1_PNSt15iterator_traitsISV_E10value_typeET2_T3_PNSW_IS11_E10value_typeET4_jRbjT5_S17_jjP12ihipStream_tbEUljE_EEESS_ST_SU_S11_S15_S17_T6_T7_T9_mT8_S19_bDpT10_ENKUlT_T0_E_clISt17integral_constantIbLb1EES1L_IbLb0EEEEDaS1H_S1I_EUlS1H_E_NS1_11comp_targetILNS1_3genE2ELNS1_11target_archE906ELNS1_3gpuE6ELNS1_3repE0EEENS1_30default_config_static_selectorELNS0_4arch9wavefront6targetE0EEEvSV_,@function
_ZN7rocprim17ROCPRIM_400000_NS6detail17trampoline_kernelINS0_13select_configILj256ELj13ELNS0_17block_load_methodE3ELS4_3ELS4_3ELNS0_20block_scan_algorithmE0ELj4294967295EEENS1_25partition_config_selectorILNS1_17partition_subalgoE3EjNS0_10empty_typeEbEEZZNS1_14partition_implILS8_3ELb0ES6_jNS0_17counting_iteratorIjlEEPS9_SE_NS0_5tupleIJPjSE_EEENSF_IJSE_SE_EEES9_SG_JZNS1_25segmented_radix_sort_implINS0_14default_configELb0EPKlPlSM_SN_N2at6native12_GLOBAL__N_18offset_tEEE10hipError_tPvRmT1_PNSt15iterator_traitsISV_E10value_typeET2_T3_PNSW_IS11_E10value_typeET4_jRbjT5_S17_jjP12ihipStream_tbEUljE_EEESS_ST_SU_S11_S15_S17_T6_T7_T9_mT8_S19_bDpT10_ENKUlT_T0_E_clISt17integral_constantIbLb1EES1L_IbLb0EEEEDaS1H_S1I_EUlS1H_E_NS1_11comp_targetILNS1_3genE2ELNS1_11target_archE906ELNS1_3gpuE6ELNS1_3repE0EEENS1_30default_config_static_selectorELNS0_4arch9wavefront6targetE0EEEvSV_: ; @_ZN7rocprim17ROCPRIM_400000_NS6detail17trampoline_kernelINS0_13select_configILj256ELj13ELNS0_17block_load_methodE3ELS4_3ELS4_3ELNS0_20block_scan_algorithmE0ELj4294967295EEENS1_25partition_config_selectorILNS1_17partition_subalgoE3EjNS0_10empty_typeEbEEZZNS1_14partition_implILS8_3ELb0ES6_jNS0_17counting_iteratorIjlEEPS9_SE_NS0_5tupleIJPjSE_EEENSF_IJSE_SE_EEES9_SG_JZNS1_25segmented_radix_sort_implINS0_14default_configELb0EPKlPlSM_SN_N2at6native12_GLOBAL__N_18offset_tEEE10hipError_tPvRmT1_PNSt15iterator_traitsISV_E10value_typeET2_T3_PNSW_IS11_E10value_typeET4_jRbjT5_S17_jjP12ihipStream_tbEUljE_EEESS_ST_SU_S11_S15_S17_T6_T7_T9_mT8_S19_bDpT10_ENKUlT_T0_E_clISt17integral_constantIbLb1EES1L_IbLb0EEEEDaS1H_S1I_EUlS1H_E_NS1_11comp_targetILNS1_3genE2ELNS1_11target_archE906ELNS1_3gpuE6ELNS1_3repE0EEENS1_30default_config_static_selectorELNS0_4arch9wavefront6targetE0EEEvSV_
; %bb.0:
	.section	.rodata,"a",@progbits
	.p2align	6, 0x0
	.amdhsa_kernel _ZN7rocprim17ROCPRIM_400000_NS6detail17trampoline_kernelINS0_13select_configILj256ELj13ELNS0_17block_load_methodE3ELS4_3ELS4_3ELNS0_20block_scan_algorithmE0ELj4294967295EEENS1_25partition_config_selectorILNS1_17partition_subalgoE3EjNS0_10empty_typeEbEEZZNS1_14partition_implILS8_3ELb0ES6_jNS0_17counting_iteratorIjlEEPS9_SE_NS0_5tupleIJPjSE_EEENSF_IJSE_SE_EEES9_SG_JZNS1_25segmented_radix_sort_implINS0_14default_configELb0EPKlPlSM_SN_N2at6native12_GLOBAL__N_18offset_tEEE10hipError_tPvRmT1_PNSt15iterator_traitsISV_E10value_typeET2_T3_PNSW_IS11_E10value_typeET4_jRbjT5_S17_jjP12ihipStream_tbEUljE_EEESS_ST_SU_S11_S15_S17_T6_T7_T9_mT8_S19_bDpT10_ENKUlT_T0_E_clISt17integral_constantIbLb1EES1L_IbLb0EEEEDaS1H_S1I_EUlS1H_E_NS1_11comp_targetILNS1_3genE2ELNS1_11target_archE906ELNS1_3gpuE6ELNS1_3repE0EEENS1_30default_config_static_selectorELNS0_4arch9wavefront6targetE0EEEvSV_
		.amdhsa_group_segment_fixed_size 0
		.amdhsa_private_segment_fixed_size 0
		.amdhsa_kernarg_size 144
		.amdhsa_user_sgpr_count 2
		.amdhsa_user_sgpr_dispatch_ptr 0
		.amdhsa_user_sgpr_queue_ptr 0
		.amdhsa_user_sgpr_kernarg_segment_ptr 1
		.amdhsa_user_sgpr_dispatch_id 0
		.amdhsa_user_sgpr_kernarg_preload_length 0
		.amdhsa_user_sgpr_kernarg_preload_offset 0
		.amdhsa_user_sgpr_private_segment_size 0
		.amdhsa_wavefront_size32 1
		.amdhsa_uses_dynamic_stack 0
		.amdhsa_enable_private_segment 0
		.amdhsa_system_sgpr_workgroup_id_x 1
		.amdhsa_system_sgpr_workgroup_id_y 0
		.amdhsa_system_sgpr_workgroup_id_z 0
		.amdhsa_system_sgpr_workgroup_info 0
		.amdhsa_system_vgpr_workitem_id 0
		.amdhsa_next_free_vgpr 1
		.amdhsa_next_free_sgpr 1
		.amdhsa_named_barrier_count 0
		.amdhsa_reserve_vcc 0
		.amdhsa_float_round_mode_32 0
		.amdhsa_float_round_mode_16_64 0
		.amdhsa_float_denorm_mode_32 3
		.amdhsa_float_denorm_mode_16_64 3
		.amdhsa_fp16_overflow 0
		.amdhsa_memory_ordered 1
		.amdhsa_forward_progress 1
		.amdhsa_inst_pref_size 0
		.amdhsa_round_robin_scheduling 0
		.amdhsa_exception_fp_ieee_invalid_op 0
		.amdhsa_exception_fp_denorm_src 0
		.amdhsa_exception_fp_ieee_div_zero 0
		.amdhsa_exception_fp_ieee_overflow 0
		.amdhsa_exception_fp_ieee_underflow 0
		.amdhsa_exception_fp_ieee_inexact 0
		.amdhsa_exception_int_div_zero 0
	.end_amdhsa_kernel
	.section	.text._ZN7rocprim17ROCPRIM_400000_NS6detail17trampoline_kernelINS0_13select_configILj256ELj13ELNS0_17block_load_methodE3ELS4_3ELS4_3ELNS0_20block_scan_algorithmE0ELj4294967295EEENS1_25partition_config_selectorILNS1_17partition_subalgoE3EjNS0_10empty_typeEbEEZZNS1_14partition_implILS8_3ELb0ES6_jNS0_17counting_iteratorIjlEEPS9_SE_NS0_5tupleIJPjSE_EEENSF_IJSE_SE_EEES9_SG_JZNS1_25segmented_radix_sort_implINS0_14default_configELb0EPKlPlSM_SN_N2at6native12_GLOBAL__N_18offset_tEEE10hipError_tPvRmT1_PNSt15iterator_traitsISV_E10value_typeET2_T3_PNSW_IS11_E10value_typeET4_jRbjT5_S17_jjP12ihipStream_tbEUljE_EEESS_ST_SU_S11_S15_S17_T6_T7_T9_mT8_S19_bDpT10_ENKUlT_T0_E_clISt17integral_constantIbLb1EES1L_IbLb0EEEEDaS1H_S1I_EUlS1H_E_NS1_11comp_targetILNS1_3genE2ELNS1_11target_archE906ELNS1_3gpuE6ELNS1_3repE0EEENS1_30default_config_static_selectorELNS0_4arch9wavefront6targetE0EEEvSV_,"axG",@progbits,_ZN7rocprim17ROCPRIM_400000_NS6detail17trampoline_kernelINS0_13select_configILj256ELj13ELNS0_17block_load_methodE3ELS4_3ELS4_3ELNS0_20block_scan_algorithmE0ELj4294967295EEENS1_25partition_config_selectorILNS1_17partition_subalgoE3EjNS0_10empty_typeEbEEZZNS1_14partition_implILS8_3ELb0ES6_jNS0_17counting_iteratorIjlEEPS9_SE_NS0_5tupleIJPjSE_EEENSF_IJSE_SE_EEES9_SG_JZNS1_25segmented_radix_sort_implINS0_14default_configELb0EPKlPlSM_SN_N2at6native12_GLOBAL__N_18offset_tEEE10hipError_tPvRmT1_PNSt15iterator_traitsISV_E10value_typeET2_T3_PNSW_IS11_E10value_typeET4_jRbjT5_S17_jjP12ihipStream_tbEUljE_EEESS_ST_SU_S11_S15_S17_T6_T7_T9_mT8_S19_bDpT10_ENKUlT_T0_E_clISt17integral_constantIbLb1EES1L_IbLb0EEEEDaS1H_S1I_EUlS1H_E_NS1_11comp_targetILNS1_3genE2ELNS1_11target_archE906ELNS1_3gpuE6ELNS1_3repE0EEENS1_30default_config_static_selectorELNS0_4arch9wavefront6targetE0EEEvSV_,comdat
.Lfunc_end791:
	.size	_ZN7rocprim17ROCPRIM_400000_NS6detail17trampoline_kernelINS0_13select_configILj256ELj13ELNS0_17block_load_methodE3ELS4_3ELS4_3ELNS0_20block_scan_algorithmE0ELj4294967295EEENS1_25partition_config_selectorILNS1_17partition_subalgoE3EjNS0_10empty_typeEbEEZZNS1_14partition_implILS8_3ELb0ES6_jNS0_17counting_iteratorIjlEEPS9_SE_NS0_5tupleIJPjSE_EEENSF_IJSE_SE_EEES9_SG_JZNS1_25segmented_radix_sort_implINS0_14default_configELb0EPKlPlSM_SN_N2at6native12_GLOBAL__N_18offset_tEEE10hipError_tPvRmT1_PNSt15iterator_traitsISV_E10value_typeET2_T3_PNSW_IS11_E10value_typeET4_jRbjT5_S17_jjP12ihipStream_tbEUljE_EEESS_ST_SU_S11_S15_S17_T6_T7_T9_mT8_S19_bDpT10_ENKUlT_T0_E_clISt17integral_constantIbLb1EES1L_IbLb0EEEEDaS1H_S1I_EUlS1H_E_NS1_11comp_targetILNS1_3genE2ELNS1_11target_archE906ELNS1_3gpuE6ELNS1_3repE0EEENS1_30default_config_static_selectorELNS0_4arch9wavefront6targetE0EEEvSV_, .Lfunc_end791-_ZN7rocprim17ROCPRIM_400000_NS6detail17trampoline_kernelINS0_13select_configILj256ELj13ELNS0_17block_load_methodE3ELS4_3ELS4_3ELNS0_20block_scan_algorithmE0ELj4294967295EEENS1_25partition_config_selectorILNS1_17partition_subalgoE3EjNS0_10empty_typeEbEEZZNS1_14partition_implILS8_3ELb0ES6_jNS0_17counting_iteratorIjlEEPS9_SE_NS0_5tupleIJPjSE_EEENSF_IJSE_SE_EEES9_SG_JZNS1_25segmented_radix_sort_implINS0_14default_configELb0EPKlPlSM_SN_N2at6native12_GLOBAL__N_18offset_tEEE10hipError_tPvRmT1_PNSt15iterator_traitsISV_E10value_typeET2_T3_PNSW_IS11_E10value_typeET4_jRbjT5_S17_jjP12ihipStream_tbEUljE_EEESS_ST_SU_S11_S15_S17_T6_T7_T9_mT8_S19_bDpT10_ENKUlT_T0_E_clISt17integral_constantIbLb1EES1L_IbLb0EEEEDaS1H_S1I_EUlS1H_E_NS1_11comp_targetILNS1_3genE2ELNS1_11target_archE906ELNS1_3gpuE6ELNS1_3repE0EEENS1_30default_config_static_selectorELNS0_4arch9wavefront6targetE0EEEvSV_
                                        ; -- End function
	.set _ZN7rocprim17ROCPRIM_400000_NS6detail17trampoline_kernelINS0_13select_configILj256ELj13ELNS0_17block_load_methodE3ELS4_3ELS4_3ELNS0_20block_scan_algorithmE0ELj4294967295EEENS1_25partition_config_selectorILNS1_17partition_subalgoE3EjNS0_10empty_typeEbEEZZNS1_14partition_implILS8_3ELb0ES6_jNS0_17counting_iteratorIjlEEPS9_SE_NS0_5tupleIJPjSE_EEENSF_IJSE_SE_EEES9_SG_JZNS1_25segmented_radix_sort_implINS0_14default_configELb0EPKlPlSM_SN_N2at6native12_GLOBAL__N_18offset_tEEE10hipError_tPvRmT1_PNSt15iterator_traitsISV_E10value_typeET2_T3_PNSW_IS11_E10value_typeET4_jRbjT5_S17_jjP12ihipStream_tbEUljE_EEESS_ST_SU_S11_S15_S17_T6_T7_T9_mT8_S19_bDpT10_ENKUlT_T0_E_clISt17integral_constantIbLb1EES1L_IbLb0EEEEDaS1H_S1I_EUlS1H_E_NS1_11comp_targetILNS1_3genE2ELNS1_11target_archE906ELNS1_3gpuE6ELNS1_3repE0EEENS1_30default_config_static_selectorELNS0_4arch9wavefront6targetE0EEEvSV_.num_vgpr, 0
	.set _ZN7rocprim17ROCPRIM_400000_NS6detail17trampoline_kernelINS0_13select_configILj256ELj13ELNS0_17block_load_methodE3ELS4_3ELS4_3ELNS0_20block_scan_algorithmE0ELj4294967295EEENS1_25partition_config_selectorILNS1_17partition_subalgoE3EjNS0_10empty_typeEbEEZZNS1_14partition_implILS8_3ELb0ES6_jNS0_17counting_iteratorIjlEEPS9_SE_NS0_5tupleIJPjSE_EEENSF_IJSE_SE_EEES9_SG_JZNS1_25segmented_radix_sort_implINS0_14default_configELb0EPKlPlSM_SN_N2at6native12_GLOBAL__N_18offset_tEEE10hipError_tPvRmT1_PNSt15iterator_traitsISV_E10value_typeET2_T3_PNSW_IS11_E10value_typeET4_jRbjT5_S17_jjP12ihipStream_tbEUljE_EEESS_ST_SU_S11_S15_S17_T6_T7_T9_mT8_S19_bDpT10_ENKUlT_T0_E_clISt17integral_constantIbLb1EES1L_IbLb0EEEEDaS1H_S1I_EUlS1H_E_NS1_11comp_targetILNS1_3genE2ELNS1_11target_archE906ELNS1_3gpuE6ELNS1_3repE0EEENS1_30default_config_static_selectorELNS0_4arch9wavefront6targetE0EEEvSV_.num_agpr, 0
	.set _ZN7rocprim17ROCPRIM_400000_NS6detail17trampoline_kernelINS0_13select_configILj256ELj13ELNS0_17block_load_methodE3ELS4_3ELS4_3ELNS0_20block_scan_algorithmE0ELj4294967295EEENS1_25partition_config_selectorILNS1_17partition_subalgoE3EjNS0_10empty_typeEbEEZZNS1_14partition_implILS8_3ELb0ES6_jNS0_17counting_iteratorIjlEEPS9_SE_NS0_5tupleIJPjSE_EEENSF_IJSE_SE_EEES9_SG_JZNS1_25segmented_radix_sort_implINS0_14default_configELb0EPKlPlSM_SN_N2at6native12_GLOBAL__N_18offset_tEEE10hipError_tPvRmT1_PNSt15iterator_traitsISV_E10value_typeET2_T3_PNSW_IS11_E10value_typeET4_jRbjT5_S17_jjP12ihipStream_tbEUljE_EEESS_ST_SU_S11_S15_S17_T6_T7_T9_mT8_S19_bDpT10_ENKUlT_T0_E_clISt17integral_constantIbLb1EES1L_IbLb0EEEEDaS1H_S1I_EUlS1H_E_NS1_11comp_targetILNS1_3genE2ELNS1_11target_archE906ELNS1_3gpuE6ELNS1_3repE0EEENS1_30default_config_static_selectorELNS0_4arch9wavefront6targetE0EEEvSV_.numbered_sgpr, 0
	.set _ZN7rocprim17ROCPRIM_400000_NS6detail17trampoline_kernelINS0_13select_configILj256ELj13ELNS0_17block_load_methodE3ELS4_3ELS4_3ELNS0_20block_scan_algorithmE0ELj4294967295EEENS1_25partition_config_selectorILNS1_17partition_subalgoE3EjNS0_10empty_typeEbEEZZNS1_14partition_implILS8_3ELb0ES6_jNS0_17counting_iteratorIjlEEPS9_SE_NS0_5tupleIJPjSE_EEENSF_IJSE_SE_EEES9_SG_JZNS1_25segmented_radix_sort_implINS0_14default_configELb0EPKlPlSM_SN_N2at6native12_GLOBAL__N_18offset_tEEE10hipError_tPvRmT1_PNSt15iterator_traitsISV_E10value_typeET2_T3_PNSW_IS11_E10value_typeET4_jRbjT5_S17_jjP12ihipStream_tbEUljE_EEESS_ST_SU_S11_S15_S17_T6_T7_T9_mT8_S19_bDpT10_ENKUlT_T0_E_clISt17integral_constantIbLb1EES1L_IbLb0EEEEDaS1H_S1I_EUlS1H_E_NS1_11comp_targetILNS1_3genE2ELNS1_11target_archE906ELNS1_3gpuE6ELNS1_3repE0EEENS1_30default_config_static_selectorELNS0_4arch9wavefront6targetE0EEEvSV_.num_named_barrier, 0
	.set _ZN7rocprim17ROCPRIM_400000_NS6detail17trampoline_kernelINS0_13select_configILj256ELj13ELNS0_17block_load_methodE3ELS4_3ELS4_3ELNS0_20block_scan_algorithmE0ELj4294967295EEENS1_25partition_config_selectorILNS1_17partition_subalgoE3EjNS0_10empty_typeEbEEZZNS1_14partition_implILS8_3ELb0ES6_jNS0_17counting_iteratorIjlEEPS9_SE_NS0_5tupleIJPjSE_EEENSF_IJSE_SE_EEES9_SG_JZNS1_25segmented_radix_sort_implINS0_14default_configELb0EPKlPlSM_SN_N2at6native12_GLOBAL__N_18offset_tEEE10hipError_tPvRmT1_PNSt15iterator_traitsISV_E10value_typeET2_T3_PNSW_IS11_E10value_typeET4_jRbjT5_S17_jjP12ihipStream_tbEUljE_EEESS_ST_SU_S11_S15_S17_T6_T7_T9_mT8_S19_bDpT10_ENKUlT_T0_E_clISt17integral_constantIbLb1EES1L_IbLb0EEEEDaS1H_S1I_EUlS1H_E_NS1_11comp_targetILNS1_3genE2ELNS1_11target_archE906ELNS1_3gpuE6ELNS1_3repE0EEENS1_30default_config_static_selectorELNS0_4arch9wavefront6targetE0EEEvSV_.private_seg_size, 0
	.set _ZN7rocprim17ROCPRIM_400000_NS6detail17trampoline_kernelINS0_13select_configILj256ELj13ELNS0_17block_load_methodE3ELS4_3ELS4_3ELNS0_20block_scan_algorithmE0ELj4294967295EEENS1_25partition_config_selectorILNS1_17partition_subalgoE3EjNS0_10empty_typeEbEEZZNS1_14partition_implILS8_3ELb0ES6_jNS0_17counting_iteratorIjlEEPS9_SE_NS0_5tupleIJPjSE_EEENSF_IJSE_SE_EEES9_SG_JZNS1_25segmented_radix_sort_implINS0_14default_configELb0EPKlPlSM_SN_N2at6native12_GLOBAL__N_18offset_tEEE10hipError_tPvRmT1_PNSt15iterator_traitsISV_E10value_typeET2_T3_PNSW_IS11_E10value_typeET4_jRbjT5_S17_jjP12ihipStream_tbEUljE_EEESS_ST_SU_S11_S15_S17_T6_T7_T9_mT8_S19_bDpT10_ENKUlT_T0_E_clISt17integral_constantIbLb1EES1L_IbLb0EEEEDaS1H_S1I_EUlS1H_E_NS1_11comp_targetILNS1_3genE2ELNS1_11target_archE906ELNS1_3gpuE6ELNS1_3repE0EEENS1_30default_config_static_selectorELNS0_4arch9wavefront6targetE0EEEvSV_.uses_vcc, 0
	.set _ZN7rocprim17ROCPRIM_400000_NS6detail17trampoline_kernelINS0_13select_configILj256ELj13ELNS0_17block_load_methodE3ELS4_3ELS4_3ELNS0_20block_scan_algorithmE0ELj4294967295EEENS1_25partition_config_selectorILNS1_17partition_subalgoE3EjNS0_10empty_typeEbEEZZNS1_14partition_implILS8_3ELb0ES6_jNS0_17counting_iteratorIjlEEPS9_SE_NS0_5tupleIJPjSE_EEENSF_IJSE_SE_EEES9_SG_JZNS1_25segmented_radix_sort_implINS0_14default_configELb0EPKlPlSM_SN_N2at6native12_GLOBAL__N_18offset_tEEE10hipError_tPvRmT1_PNSt15iterator_traitsISV_E10value_typeET2_T3_PNSW_IS11_E10value_typeET4_jRbjT5_S17_jjP12ihipStream_tbEUljE_EEESS_ST_SU_S11_S15_S17_T6_T7_T9_mT8_S19_bDpT10_ENKUlT_T0_E_clISt17integral_constantIbLb1EES1L_IbLb0EEEEDaS1H_S1I_EUlS1H_E_NS1_11comp_targetILNS1_3genE2ELNS1_11target_archE906ELNS1_3gpuE6ELNS1_3repE0EEENS1_30default_config_static_selectorELNS0_4arch9wavefront6targetE0EEEvSV_.uses_flat_scratch, 0
	.set _ZN7rocprim17ROCPRIM_400000_NS6detail17trampoline_kernelINS0_13select_configILj256ELj13ELNS0_17block_load_methodE3ELS4_3ELS4_3ELNS0_20block_scan_algorithmE0ELj4294967295EEENS1_25partition_config_selectorILNS1_17partition_subalgoE3EjNS0_10empty_typeEbEEZZNS1_14partition_implILS8_3ELb0ES6_jNS0_17counting_iteratorIjlEEPS9_SE_NS0_5tupleIJPjSE_EEENSF_IJSE_SE_EEES9_SG_JZNS1_25segmented_radix_sort_implINS0_14default_configELb0EPKlPlSM_SN_N2at6native12_GLOBAL__N_18offset_tEEE10hipError_tPvRmT1_PNSt15iterator_traitsISV_E10value_typeET2_T3_PNSW_IS11_E10value_typeET4_jRbjT5_S17_jjP12ihipStream_tbEUljE_EEESS_ST_SU_S11_S15_S17_T6_T7_T9_mT8_S19_bDpT10_ENKUlT_T0_E_clISt17integral_constantIbLb1EES1L_IbLb0EEEEDaS1H_S1I_EUlS1H_E_NS1_11comp_targetILNS1_3genE2ELNS1_11target_archE906ELNS1_3gpuE6ELNS1_3repE0EEENS1_30default_config_static_selectorELNS0_4arch9wavefront6targetE0EEEvSV_.has_dyn_sized_stack, 0
	.set _ZN7rocprim17ROCPRIM_400000_NS6detail17trampoline_kernelINS0_13select_configILj256ELj13ELNS0_17block_load_methodE3ELS4_3ELS4_3ELNS0_20block_scan_algorithmE0ELj4294967295EEENS1_25partition_config_selectorILNS1_17partition_subalgoE3EjNS0_10empty_typeEbEEZZNS1_14partition_implILS8_3ELb0ES6_jNS0_17counting_iteratorIjlEEPS9_SE_NS0_5tupleIJPjSE_EEENSF_IJSE_SE_EEES9_SG_JZNS1_25segmented_radix_sort_implINS0_14default_configELb0EPKlPlSM_SN_N2at6native12_GLOBAL__N_18offset_tEEE10hipError_tPvRmT1_PNSt15iterator_traitsISV_E10value_typeET2_T3_PNSW_IS11_E10value_typeET4_jRbjT5_S17_jjP12ihipStream_tbEUljE_EEESS_ST_SU_S11_S15_S17_T6_T7_T9_mT8_S19_bDpT10_ENKUlT_T0_E_clISt17integral_constantIbLb1EES1L_IbLb0EEEEDaS1H_S1I_EUlS1H_E_NS1_11comp_targetILNS1_3genE2ELNS1_11target_archE906ELNS1_3gpuE6ELNS1_3repE0EEENS1_30default_config_static_selectorELNS0_4arch9wavefront6targetE0EEEvSV_.has_recursion, 0
	.set _ZN7rocprim17ROCPRIM_400000_NS6detail17trampoline_kernelINS0_13select_configILj256ELj13ELNS0_17block_load_methodE3ELS4_3ELS4_3ELNS0_20block_scan_algorithmE0ELj4294967295EEENS1_25partition_config_selectorILNS1_17partition_subalgoE3EjNS0_10empty_typeEbEEZZNS1_14partition_implILS8_3ELb0ES6_jNS0_17counting_iteratorIjlEEPS9_SE_NS0_5tupleIJPjSE_EEENSF_IJSE_SE_EEES9_SG_JZNS1_25segmented_radix_sort_implINS0_14default_configELb0EPKlPlSM_SN_N2at6native12_GLOBAL__N_18offset_tEEE10hipError_tPvRmT1_PNSt15iterator_traitsISV_E10value_typeET2_T3_PNSW_IS11_E10value_typeET4_jRbjT5_S17_jjP12ihipStream_tbEUljE_EEESS_ST_SU_S11_S15_S17_T6_T7_T9_mT8_S19_bDpT10_ENKUlT_T0_E_clISt17integral_constantIbLb1EES1L_IbLb0EEEEDaS1H_S1I_EUlS1H_E_NS1_11comp_targetILNS1_3genE2ELNS1_11target_archE906ELNS1_3gpuE6ELNS1_3repE0EEENS1_30default_config_static_selectorELNS0_4arch9wavefront6targetE0EEEvSV_.has_indirect_call, 0
	.section	.AMDGPU.csdata,"",@progbits
; Kernel info:
; codeLenInByte = 0
; TotalNumSgprs: 0
; NumVgprs: 0
; ScratchSize: 0
; MemoryBound: 0
; FloatMode: 240
; IeeeMode: 1
; LDSByteSize: 0 bytes/workgroup (compile time only)
; SGPRBlocks: 0
; VGPRBlocks: 0
; NumSGPRsForWavesPerEU: 1
; NumVGPRsForWavesPerEU: 1
; NamedBarCnt: 0
; Occupancy: 16
; WaveLimiterHint : 0
; COMPUTE_PGM_RSRC2:SCRATCH_EN: 0
; COMPUTE_PGM_RSRC2:USER_SGPR: 2
; COMPUTE_PGM_RSRC2:TRAP_HANDLER: 0
; COMPUTE_PGM_RSRC2:TGID_X_EN: 1
; COMPUTE_PGM_RSRC2:TGID_Y_EN: 0
; COMPUTE_PGM_RSRC2:TGID_Z_EN: 0
; COMPUTE_PGM_RSRC2:TIDIG_COMP_CNT: 0
	.section	.text._ZN7rocprim17ROCPRIM_400000_NS6detail17trampoline_kernelINS0_13select_configILj256ELj13ELNS0_17block_load_methodE3ELS4_3ELS4_3ELNS0_20block_scan_algorithmE0ELj4294967295EEENS1_25partition_config_selectorILNS1_17partition_subalgoE3EjNS0_10empty_typeEbEEZZNS1_14partition_implILS8_3ELb0ES6_jNS0_17counting_iteratorIjlEEPS9_SE_NS0_5tupleIJPjSE_EEENSF_IJSE_SE_EEES9_SG_JZNS1_25segmented_radix_sort_implINS0_14default_configELb0EPKlPlSM_SN_N2at6native12_GLOBAL__N_18offset_tEEE10hipError_tPvRmT1_PNSt15iterator_traitsISV_E10value_typeET2_T3_PNSW_IS11_E10value_typeET4_jRbjT5_S17_jjP12ihipStream_tbEUljE_EEESS_ST_SU_S11_S15_S17_T6_T7_T9_mT8_S19_bDpT10_ENKUlT_T0_E_clISt17integral_constantIbLb1EES1L_IbLb0EEEEDaS1H_S1I_EUlS1H_E_NS1_11comp_targetILNS1_3genE10ELNS1_11target_archE1200ELNS1_3gpuE4ELNS1_3repE0EEENS1_30default_config_static_selectorELNS0_4arch9wavefront6targetE0EEEvSV_,"axG",@progbits,_ZN7rocprim17ROCPRIM_400000_NS6detail17trampoline_kernelINS0_13select_configILj256ELj13ELNS0_17block_load_methodE3ELS4_3ELS4_3ELNS0_20block_scan_algorithmE0ELj4294967295EEENS1_25partition_config_selectorILNS1_17partition_subalgoE3EjNS0_10empty_typeEbEEZZNS1_14partition_implILS8_3ELb0ES6_jNS0_17counting_iteratorIjlEEPS9_SE_NS0_5tupleIJPjSE_EEENSF_IJSE_SE_EEES9_SG_JZNS1_25segmented_radix_sort_implINS0_14default_configELb0EPKlPlSM_SN_N2at6native12_GLOBAL__N_18offset_tEEE10hipError_tPvRmT1_PNSt15iterator_traitsISV_E10value_typeET2_T3_PNSW_IS11_E10value_typeET4_jRbjT5_S17_jjP12ihipStream_tbEUljE_EEESS_ST_SU_S11_S15_S17_T6_T7_T9_mT8_S19_bDpT10_ENKUlT_T0_E_clISt17integral_constantIbLb1EES1L_IbLb0EEEEDaS1H_S1I_EUlS1H_E_NS1_11comp_targetILNS1_3genE10ELNS1_11target_archE1200ELNS1_3gpuE4ELNS1_3repE0EEENS1_30default_config_static_selectorELNS0_4arch9wavefront6targetE0EEEvSV_,comdat
	.globl	_ZN7rocprim17ROCPRIM_400000_NS6detail17trampoline_kernelINS0_13select_configILj256ELj13ELNS0_17block_load_methodE3ELS4_3ELS4_3ELNS0_20block_scan_algorithmE0ELj4294967295EEENS1_25partition_config_selectorILNS1_17partition_subalgoE3EjNS0_10empty_typeEbEEZZNS1_14partition_implILS8_3ELb0ES6_jNS0_17counting_iteratorIjlEEPS9_SE_NS0_5tupleIJPjSE_EEENSF_IJSE_SE_EEES9_SG_JZNS1_25segmented_radix_sort_implINS0_14default_configELb0EPKlPlSM_SN_N2at6native12_GLOBAL__N_18offset_tEEE10hipError_tPvRmT1_PNSt15iterator_traitsISV_E10value_typeET2_T3_PNSW_IS11_E10value_typeET4_jRbjT5_S17_jjP12ihipStream_tbEUljE_EEESS_ST_SU_S11_S15_S17_T6_T7_T9_mT8_S19_bDpT10_ENKUlT_T0_E_clISt17integral_constantIbLb1EES1L_IbLb0EEEEDaS1H_S1I_EUlS1H_E_NS1_11comp_targetILNS1_3genE10ELNS1_11target_archE1200ELNS1_3gpuE4ELNS1_3repE0EEENS1_30default_config_static_selectorELNS0_4arch9wavefront6targetE0EEEvSV_ ; -- Begin function _ZN7rocprim17ROCPRIM_400000_NS6detail17trampoline_kernelINS0_13select_configILj256ELj13ELNS0_17block_load_methodE3ELS4_3ELS4_3ELNS0_20block_scan_algorithmE0ELj4294967295EEENS1_25partition_config_selectorILNS1_17partition_subalgoE3EjNS0_10empty_typeEbEEZZNS1_14partition_implILS8_3ELb0ES6_jNS0_17counting_iteratorIjlEEPS9_SE_NS0_5tupleIJPjSE_EEENSF_IJSE_SE_EEES9_SG_JZNS1_25segmented_radix_sort_implINS0_14default_configELb0EPKlPlSM_SN_N2at6native12_GLOBAL__N_18offset_tEEE10hipError_tPvRmT1_PNSt15iterator_traitsISV_E10value_typeET2_T3_PNSW_IS11_E10value_typeET4_jRbjT5_S17_jjP12ihipStream_tbEUljE_EEESS_ST_SU_S11_S15_S17_T6_T7_T9_mT8_S19_bDpT10_ENKUlT_T0_E_clISt17integral_constantIbLb1EES1L_IbLb0EEEEDaS1H_S1I_EUlS1H_E_NS1_11comp_targetILNS1_3genE10ELNS1_11target_archE1200ELNS1_3gpuE4ELNS1_3repE0EEENS1_30default_config_static_selectorELNS0_4arch9wavefront6targetE0EEEvSV_
	.p2align	8
	.type	_ZN7rocprim17ROCPRIM_400000_NS6detail17trampoline_kernelINS0_13select_configILj256ELj13ELNS0_17block_load_methodE3ELS4_3ELS4_3ELNS0_20block_scan_algorithmE0ELj4294967295EEENS1_25partition_config_selectorILNS1_17partition_subalgoE3EjNS0_10empty_typeEbEEZZNS1_14partition_implILS8_3ELb0ES6_jNS0_17counting_iteratorIjlEEPS9_SE_NS0_5tupleIJPjSE_EEENSF_IJSE_SE_EEES9_SG_JZNS1_25segmented_radix_sort_implINS0_14default_configELb0EPKlPlSM_SN_N2at6native12_GLOBAL__N_18offset_tEEE10hipError_tPvRmT1_PNSt15iterator_traitsISV_E10value_typeET2_T3_PNSW_IS11_E10value_typeET4_jRbjT5_S17_jjP12ihipStream_tbEUljE_EEESS_ST_SU_S11_S15_S17_T6_T7_T9_mT8_S19_bDpT10_ENKUlT_T0_E_clISt17integral_constantIbLb1EES1L_IbLb0EEEEDaS1H_S1I_EUlS1H_E_NS1_11comp_targetILNS1_3genE10ELNS1_11target_archE1200ELNS1_3gpuE4ELNS1_3repE0EEENS1_30default_config_static_selectorELNS0_4arch9wavefront6targetE0EEEvSV_,@function
_ZN7rocprim17ROCPRIM_400000_NS6detail17trampoline_kernelINS0_13select_configILj256ELj13ELNS0_17block_load_methodE3ELS4_3ELS4_3ELNS0_20block_scan_algorithmE0ELj4294967295EEENS1_25partition_config_selectorILNS1_17partition_subalgoE3EjNS0_10empty_typeEbEEZZNS1_14partition_implILS8_3ELb0ES6_jNS0_17counting_iteratorIjlEEPS9_SE_NS0_5tupleIJPjSE_EEENSF_IJSE_SE_EEES9_SG_JZNS1_25segmented_radix_sort_implINS0_14default_configELb0EPKlPlSM_SN_N2at6native12_GLOBAL__N_18offset_tEEE10hipError_tPvRmT1_PNSt15iterator_traitsISV_E10value_typeET2_T3_PNSW_IS11_E10value_typeET4_jRbjT5_S17_jjP12ihipStream_tbEUljE_EEESS_ST_SU_S11_S15_S17_T6_T7_T9_mT8_S19_bDpT10_ENKUlT_T0_E_clISt17integral_constantIbLb1EES1L_IbLb0EEEEDaS1H_S1I_EUlS1H_E_NS1_11comp_targetILNS1_3genE10ELNS1_11target_archE1200ELNS1_3gpuE4ELNS1_3repE0EEENS1_30default_config_static_selectorELNS0_4arch9wavefront6targetE0EEEvSV_: ; @_ZN7rocprim17ROCPRIM_400000_NS6detail17trampoline_kernelINS0_13select_configILj256ELj13ELNS0_17block_load_methodE3ELS4_3ELS4_3ELNS0_20block_scan_algorithmE0ELj4294967295EEENS1_25partition_config_selectorILNS1_17partition_subalgoE3EjNS0_10empty_typeEbEEZZNS1_14partition_implILS8_3ELb0ES6_jNS0_17counting_iteratorIjlEEPS9_SE_NS0_5tupleIJPjSE_EEENSF_IJSE_SE_EEES9_SG_JZNS1_25segmented_radix_sort_implINS0_14default_configELb0EPKlPlSM_SN_N2at6native12_GLOBAL__N_18offset_tEEE10hipError_tPvRmT1_PNSt15iterator_traitsISV_E10value_typeET2_T3_PNSW_IS11_E10value_typeET4_jRbjT5_S17_jjP12ihipStream_tbEUljE_EEESS_ST_SU_S11_S15_S17_T6_T7_T9_mT8_S19_bDpT10_ENKUlT_T0_E_clISt17integral_constantIbLb1EES1L_IbLb0EEEEDaS1H_S1I_EUlS1H_E_NS1_11comp_targetILNS1_3genE10ELNS1_11target_archE1200ELNS1_3gpuE4ELNS1_3repE0EEENS1_30default_config_static_selectorELNS0_4arch9wavefront6targetE0EEEvSV_
; %bb.0:
	.section	.rodata,"a",@progbits
	.p2align	6, 0x0
	.amdhsa_kernel _ZN7rocprim17ROCPRIM_400000_NS6detail17trampoline_kernelINS0_13select_configILj256ELj13ELNS0_17block_load_methodE3ELS4_3ELS4_3ELNS0_20block_scan_algorithmE0ELj4294967295EEENS1_25partition_config_selectorILNS1_17partition_subalgoE3EjNS0_10empty_typeEbEEZZNS1_14partition_implILS8_3ELb0ES6_jNS0_17counting_iteratorIjlEEPS9_SE_NS0_5tupleIJPjSE_EEENSF_IJSE_SE_EEES9_SG_JZNS1_25segmented_radix_sort_implINS0_14default_configELb0EPKlPlSM_SN_N2at6native12_GLOBAL__N_18offset_tEEE10hipError_tPvRmT1_PNSt15iterator_traitsISV_E10value_typeET2_T3_PNSW_IS11_E10value_typeET4_jRbjT5_S17_jjP12ihipStream_tbEUljE_EEESS_ST_SU_S11_S15_S17_T6_T7_T9_mT8_S19_bDpT10_ENKUlT_T0_E_clISt17integral_constantIbLb1EES1L_IbLb0EEEEDaS1H_S1I_EUlS1H_E_NS1_11comp_targetILNS1_3genE10ELNS1_11target_archE1200ELNS1_3gpuE4ELNS1_3repE0EEENS1_30default_config_static_selectorELNS0_4arch9wavefront6targetE0EEEvSV_
		.amdhsa_group_segment_fixed_size 0
		.amdhsa_private_segment_fixed_size 0
		.amdhsa_kernarg_size 144
		.amdhsa_user_sgpr_count 2
		.amdhsa_user_sgpr_dispatch_ptr 0
		.amdhsa_user_sgpr_queue_ptr 0
		.amdhsa_user_sgpr_kernarg_segment_ptr 1
		.amdhsa_user_sgpr_dispatch_id 0
		.amdhsa_user_sgpr_kernarg_preload_length 0
		.amdhsa_user_sgpr_kernarg_preload_offset 0
		.amdhsa_user_sgpr_private_segment_size 0
		.amdhsa_wavefront_size32 1
		.amdhsa_uses_dynamic_stack 0
		.amdhsa_enable_private_segment 0
		.amdhsa_system_sgpr_workgroup_id_x 1
		.amdhsa_system_sgpr_workgroup_id_y 0
		.amdhsa_system_sgpr_workgroup_id_z 0
		.amdhsa_system_sgpr_workgroup_info 0
		.amdhsa_system_vgpr_workitem_id 0
		.amdhsa_next_free_vgpr 1
		.amdhsa_next_free_sgpr 1
		.amdhsa_named_barrier_count 0
		.amdhsa_reserve_vcc 0
		.amdhsa_float_round_mode_32 0
		.amdhsa_float_round_mode_16_64 0
		.amdhsa_float_denorm_mode_32 3
		.amdhsa_float_denorm_mode_16_64 3
		.amdhsa_fp16_overflow 0
		.amdhsa_memory_ordered 1
		.amdhsa_forward_progress 1
		.amdhsa_inst_pref_size 0
		.amdhsa_round_robin_scheduling 0
		.amdhsa_exception_fp_ieee_invalid_op 0
		.amdhsa_exception_fp_denorm_src 0
		.amdhsa_exception_fp_ieee_div_zero 0
		.amdhsa_exception_fp_ieee_overflow 0
		.amdhsa_exception_fp_ieee_underflow 0
		.amdhsa_exception_fp_ieee_inexact 0
		.amdhsa_exception_int_div_zero 0
	.end_amdhsa_kernel
	.section	.text._ZN7rocprim17ROCPRIM_400000_NS6detail17trampoline_kernelINS0_13select_configILj256ELj13ELNS0_17block_load_methodE3ELS4_3ELS4_3ELNS0_20block_scan_algorithmE0ELj4294967295EEENS1_25partition_config_selectorILNS1_17partition_subalgoE3EjNS0_10empty_typeEbEEZZNS1_14partition_implILS8_3ELb0ES6_jNS0_17counting_iteratorIjlEEPS9_SE_NS0_5tupleIJPjSE_EEENSF_IJSE_SE_EEES9_SG_JZNS1_25segmented_radix_sort_implINS0_14default_configELb0EPKlPlSM_SN_N2at6native12_GLOBAL__N_18offset_tEEE10hipError_tPvRmT1_PNSt15iterator_traitsISV_E10value_typeET2_T3_PNSW_IS11_E10value_typeET4_jRbjT5_S17_jjP12ihipStream_tbEUljE_EEESS_ST_SU_S11_S15_S17_T6_T7_T9_mT8_S19_bDpT10_ENKUlT_T0_E_clISt17integral_constantIbLb1EES1L_IbLb0EEEEDaS1H_S1I_EUlS1H_E_NS1_11comp_targetILNS1_3genE10ELNS1_11target_archE1200ELNS1_3gpuE4ELNS1_3repE0EEENS1_30default_config_static_selectorELNS0_4arch9wavefront6targetE0EEEvSV_,"axG",@progbits,_ZN7rocprim17ROCPRIM_400000_NS6detail17trampoline_kernelINS0_13select_configILj256ELj13ELNS0_17block_load_methodE3ELS4_3ELS4_3ELNS0_20block_scan_algorithmE0ELj4294967295EEENS1_25partition_config_selectorILNS1_17partition_subalgoE3EjNS0_10empty_typeEbEEZZNS1_14partition_implILS8_3ELb0ES6_jNS0_17counting_iteratorIjlEEPS9_SE_NS0_5tupleIJPjSE_EEENSF_IJSE_SE_EEES9_SG_JZNS1_25segmented_radix_sort_implINS0_14default_configELb0EPKlPlSM_SN_N2at6native12_GLOBAL__N_18offset_tEEE10hipError_tPvRmT1_PNSt15iterator_traitsISV_E10value_typeET2_T3_PNSW_IS11_E10value_typeET4_jRbjT5_S17_jjP12ihipStream_tbEUljE_EEESS_ST_SU_S11_S15_S17_T6_T7_T9_mT8_S19_bDpT10_ENKUlT_T0_E_clISt17integral_constantIbLb1EES1L_IbLb0EEEEDaS1H_S1I_EUlS1H_E_NS1_11comp_targetILNS1_3genE10ELNS1_11target_archE1200ELNS1_3gpuE4ELNS1_3repE0EEENS1_30default_config_static_selectorELNS0_4arch9wavefront6targetE0EEEvSV_,comdat
.Lfunc_end792:
	.size	_ZN7rocprim17ROCPRIM_400000_NS6detail17trampoline_kernelINS0_13select_configILj256ELj13ELNS0_17block_load_methodE3ELS4_3ELS4_3ELNS0_20block_scan_algorithmE0ELj4294967295EEENS1_25partition_config_selectorILNS1_17partition_subalgoE3EjNS0_10empty_typeEbEEZZNS1_14partition_implILS8_3ELb0ES6_jNS0_17counting_iteratorIjlEEPS9_SE_NS0_5tupleIJPjSE_EEENSF_IJSE_SE_EEES9_SG_JZNS1_25segmented_radix_sort_implINS0_14default_configELb0EPKlPlSM_SN_N2at6native12_GLOBAL__N_18offset_tEEE10hipError_tPvRmT1_PNSt15iterator_traitsISV_E10value_typeET2_T3_PNSW_IS11_E10value_typeET4_jRbjT5_S17_jjP12ihipStream_tbEUljE_EEESS_ST_SU_S11_S15_S17_T6_T7_T9_mT8_S19_bDpT10_ENKUlT_T0_E_clISt17integral_constantIbLb1EES1L_IbLb0EEEEDaS1H_S1I_EUlS1H_E_NS1_11comp_targetILNS1_3genE10ELNS1_11target_archE1200ELNS1_3gpuE4ELNS1_3repE0EEENS1_30default_config_static_selectorELNS0_4arch9wavefront6targetE0EEEvSV_, .Lfunc_end792-_ZN7rocprim17ROCPRIM_400000_NS6detail17trampoline_kernelINS0_13select_configILj256ELj13ELNS0_17block_load_methodE3ELS4_3ELS4_3ELNS0_20block_scan_algorithmE0ELj4294967295EEENS1_25partition_config_selectorILNS1_17partition_subalgoE3EjNS0_10empty_typeEbEEZZNS1_14partition_implILS8_3ELb0ES6_jNS0_17counting_iteratorIjlEEPS9_SE_NS0_5tupleIJPjSE_EEENSF_IJSE_SE_EEES9_SG_JZNS1_25segmented_radix_sort_implINS0_14default_configELb0EPKlPlSM_SN_N2at6native12_GLOBAL__N_18offset_tEEE10hipError_tPvRmT1_PNSt15iterator_traitsISV_E10value_typeET2_T3_PNSW_IS11_E10value_typeET4_jRbjT5_S17_jjP12ihipStream_tbEUljE_EEESS_ST_SU_S11_S15_S17_T6_T7_T9_mT8_S19_bDpT10_ENKUlT_T0_E_clISt17integral_constantIbLb1EES1L_IbLb0EEEEDaS1H_S1I_EUlS1H_E_NS1_11comp_targetILNS1_3genE10ELNS1_11target_archE1200ELNS1_3gpuE4ELNS1_3repE0EEENS1_30default_config_static_selectorELNS0_4arch9wavefront6targetE0EEEvSV_
                                        ; -- End function
	.set _ZN7rocprim17ROCPRIM_400000_NS6detail17trampoline_kernelINS0_13select_configILj256ELj13ELNS0_17block_load_methodE3ELS4_3ELS4_3ELNS0_20block_scan_algorithmE0ELj4294967295EEENS1_25partition_config_selectorILNS1_17partition_subalgoE3EjNS0_10empty_typeEbEEZZNS1_14partition_implILS8_3ELb0ES6_jNS0_17counting_iteratorIjlEEPS9_SE_NS0_5tupleIJPjSE_EEENSF_IJSE_SE_EEES9_SG_JZNS1_25segmented_radix_sort_implINS0_14default_configELb0EPKlPlSM_SN_N2at6native12_GLOBAL__N_18offset_tEEE10hipError_tPvRmT1_PNSt15iterator_traitsISV_E10value_typeET2_T3_PNSW_IS11_E10value_typeET4_jRbjT5_S17_jjP12ihipStream_tbEUljE_EEESS_ST_SU_S11_S15_S17_T6_T7_T9_mT8_S19_bDpT10_ENKUlT_T0_E_clISt17integral_constantIbLb1EES1L_IbLb0EEEEDaS1H_S1I_EUlS1H_E_NS1_11comp_targetILNS1_3genE10ELNS1_11target_archE1200ELNS1_3gpuE4ELNS1_3repE0EEENS1_30default_config_static_selectorELNS0_4arch9wavefront6targetE0EEEvSV_.num_vgpr, 0
	.set _ZN7rocprim17ROCPRIM_400000_NS6detail17trampoline_kernelINS0_13select_configILj256ELj13ELNS0_17block_load_methodE3ELS4_3ELS4_3ELNS0_20block_scan_algorithmE0ELj4294967295EEENS1_25partition_config_selectorILNS1_17partition_subalgoE3EjNS0_10empty_typeEbEEZZNS1_14partition_implILS8_3ELb0ES6_jNS0_17counting_iteratorIjlEEPS9_SE_NS0_5tupleIJPjSE_EEENSF_IJSE_SE_EEES9_SG_JZNS1_25segmented_radix_sort_implINS0_14default_configELb0EPKlPlSM_SN_N2at6native12_GLOBAL__N_18offset_tEEE10hipError_tPvRmT1_PNSt15iterator_traitsISV_E10value_typeET2_T3_PNSW_IS11_E10value_typeET4_jRbjT5_S17_jjP12ihipStream_tbEUljE_EEESS_ST_SU_S11_S15_S17_T6_T7_T9_mT8_S19_bDpT10_ENKUlT_T0_E_clISt17integral_constantIbLb1EES1L_IbLb0EEEEDaS1H_S1I_EUlS1H_E_NS1_11comp_targetILNS1_3genE10ELNS1_11target_archE1200ELNS1_3gpuE4ELNS1_3repE0EEENS1_30default_config_static_selectorELNS0_4arch9wavefront6targetE0EEEvSV_.num_agpr, 0
	.set _ZN7rocprim17ROCPRIM_400000_NS6detail17trampoline_kernelINS0_13select_configILj256ELj13ELNS0_17block_load_methodE3ELS4_3ELS4_3ELNS0_20block_scan_algorithmE0ELj4294967295EEENS1_25partition_config_selectorILNS1_17partition_subalgoE3EjNS0_10empty_typeEbEEZZNS1_14partition_implILS8_3ELb0ES6_jNS0_17counting_iteratorIjlEEPS9_SE_NS0_5tupleIJPjSE_EEENSF_IJSE_SE_EEES9_SG_JZNS1_25segmented_radix_sort_implINS0_14default_configELb0EPKlPlSM_SN_N2at6native12_GLOBAL__N_18offset_tEEE10hipError_tPvRmT1_PNSt15iterator_traitsISV_E10value_typeET2_T3_PNSW_IS11_E10value_typeET4_jRbjT5_S17_jjP12ihipStream_tbEUljE_EEESS_ST_SU_S11_S15_S17_T6_T7_T9_mT8_S19_bDpT10_ENKUlT_T0_E_clISt17integral_constantIbLb1EES1L_IbLb0EEEEDaS1H_S1I_EUlS1H_E_NS1_11comp_targetILNS1_3genE10ELNS1_11target_archE1200ELNS1_3gpuE4ELNS1_3repE0EEENS1_30default_config_static_selectorELNS0_4arch9wavefront6targetE0EEEvSV_.numbered_sgpr, 0
	.set _ZN7rocprim17ROCPRIM_400000_NS6detail17trampoline_kernelINS0_13select_configILj256ELj13ELNS0_17block_load_methodE3ELS4_3ELS4_3ELNS0_20block_scan_algorithmE0ELj4294967295EEENS1_25partition_config_selectorILNS1_17partition_subalgoE3EjNS0_10empty_typeEbEEZZNS1_14partition_implILS8_3ELb0ES6_jNS0_17counting_iteratorIjlEEPS9_SE_NS0_5tupleIJPjSE_EEENSF_IJSE_SE_EEES9_SG_JZNS1_25segmented_radix_sort_implINS0_14default_configELb0EPKlPlSM_SN_N2at6native12_GLOBAL__N_18offset_tEEE10hipError_tPvRmT1_PNSt15iterator_traitsISV_E10value_typeET2_T3_PNSW_IS11_E10value_typeET4_jRbjT5_S17_jjP12ihipStream_tbEUljE_EEESS_ST_SU_S11_S15_S17_T6_T7_T9_mT8_S19_bDpT10_ENKUlT_T0_E_clISt17integral_constantIbLb1EES1L_IbLb0EEEEDaS1H_S1I_EUlS1H_E_NS1_11comp_targetILNS1_3genE10ELNS1_11target_archE1200ELNS1_3gpuE4ELNS1_3repE0EEENS1_30default_config_static_selectorELNS0_4arch9wavefront6targetE0EEEvSV_.num_named_barrier, 0
	.set _ZN7rocprim17ROCPRIM_400000_NS6detail17trampoline_kernelINS0_13select_configILj256ELj13ELNS0_17block_load_methodE3ELS4_3ELS4_3ELNS0_20block_scan_algorithmE0ELj4294967295EEENS1_25partition_config_selectorILNS1_17partition_subalgoE3EjNS0_10empty_typeEbEEZZNS1_14partition_implILS8_3ELb0ES6_jNS0_17counting_iteratorIjlEEPS9_SE_NS0_5tupleIJPjSE_EEENSF_IJSE_SE_EEES9_SG_JZNS1_25segmented_radix_sort_implINS0_14default_configELb0EPKlPlSM_SN_N2at6native12_GLOBAL__N_18offset_tEEE10hipError_tPvRmT1_PNSt15iterator_traitsISV_E10value_typeET2_T3_PNSW_IS11_E10value_typeET4_jRbjT5_S17_jjP12ihipStream_tbEUljE_EEESS_ST_SU_S11_S15_S17_T6_T7_T9_mT8_S19_bDpT10_ENKUlT_T0_E_clISt17integral_constantIbLb1EES1L_IbLb0EEEEDaS1H_S1I_EUlS1H_E_NS1_11comp_targetILNS1_3genE10ELNS1_11target_archE1200ELNS1_3gpuE4ELNS1_3repE0EEENS1_30default_config_static_selectorELNS0_4arch9wavefront6targetE0EEEvSV_.private_seg_size, 0
	.set _ZN7rocprim17ROCPRIM_400000_NS6detail17trampoline_kernelINS0_13select_configILj256ELj13ELNS0_17block_load_methodE3ELS4_3ELS4_3ELNS0_20block_scan_algorithmE0ELj4294967295EEENS1_25partition_config_selectorILNS1_17partition_subalgoE3EjNS0_10empty_typeEbEEZZNS1_14partition_implILS8_3ELb0ES6_jNS0_17counting_iteratorIjlEEPS9_SE_NS0_5tupleIJPjSE_EEENSF_IJSE_SE_EEES9_SG_JZNS1_25segmented_radix_sort_implINS0_14default_configELb0EPKlPlSM_SN_N2at6native12_GLOBAL__N_18offset_tEEE10hipError_tPvRmT1_PNSt15iterator_traitsISV_E10value_typeET2_T3_PNSW_IS11_E10value_typeET4_jRbjT5_S17_jjP12ihipStream_tbEUljE_EEESS_ST_SU_S11_S15_S17_T6_T7_T9_mT8_S19_bDpT10_ENKUlT_T0_E_clISt17integral_constantIbLb1EES1L_IbLb0EEEEDaS1H_S1I_EUlS1H_E_NS1_11comp_targetILNS1_3genE10ELNS1_11target_archE1200ELNS1_3gpuE4ELNS1_3repE0EEENS1_30default_config_static_selectorELNS0_4arch9wavefront6targetE0EEEvSV_.uses_vcc, 0
	.set _ZN7rocprim17ROCPRIM_400000_NS6detail17trampoline_kernelINS0_13select_configILj256ELj13ELNS0_17block_load_methodE3ELS4_3ELS4_3ELNS0_20block_scan_algorithmE0ELj4294967295EEENS1_25partition_config_selectorILNS1_17partition_subalgoE3EjNS0_10empty_typeEbEEZZNS1_14partition_implILS8_3ELb0ES6_jNS0_17counting_iteratorIjlEEPS9_SE_NS0_5tupleIJPjSE_EEENSF_IJSE_SE_EEES9_SG_JZNS1_25segmented_radix_sort_implINS0_14default_configELb0EPKlPlSM_SN_N2at6native12_GLOBAL__N_18offset_tEEE10hipError_tPvRmT1_PNSt15iterator_traitsISV_E10value_typeET2_T3_PNSW_IS11_E10value_typeET4_jRbjT5_S17_jjP12ihipStream_tbEUljE_EEESS_ST_SU_S11_S15_S17_T6_T7_T9_mT8_S19_bDpT10_ENKUlT_T0_E_clISt17integral_constantIbLb1EES1L_IbLb0EEEEDaS1H_S1I_EUlS1H_E_NS1_11comp_targetILNS1_3genE10ELNS1_11target_archE1200ELNS1_3gpuE4ELNS1_3repE0EEENS1_30default_config_static_selectorELNS0_4arch9wavefront6targetE0EEEvSV_.uses_flat_scratch, 0
	.set _ZN7rocprim17ROCPRIM_400000_NS6detail17trampoline_kernelINS0_13select_configILj256ELj13ELNS0_17block_load_methodE3ELS4_3ELS4_3ELNS0_20block_scan_algorithmE0ELj4294967295EEENS1_25partition_config_selectorILNS1_17partition_subalgoE3EjNS0_10empty_typeEbEEZZNS1_14partition_implILS8_3ELb0ES6_jNS0_17counting_iteratorIjlEEPS9_SE_NS0_5tupleIJPjSE_EEENSF_IJSE_SE_EEES9_SG_JZNS1_25segmented_radix_sort_implINS0_14default_configELb0EPKlPlSM_SN_N2at6native12_GLOBAL__N_18offset_tEEE10hipError_tPvRmT1_PNSt15iterator_traitsISV_E10value_typeET2_T3_PNSW_IS11_E10value_typeET4_jRbjT5_S17_jjP12ihipStream_tbEUljE_EEESS_ST_SU_S11_S15_S17_T6_T7_T9_mT8_S19_bDpT10_ENKUlT_T0_E_clISt17integral_constantIbLb1EES1L_IbLb0EEEEDaS1H_S1I_EUlS1H_E_NS1_11comp_targetILNS1_3genE10ELNS1_11target_archE1200ELNS1_3gpuE4ELNS1_3repE0EEENS1_30default_config_static_selectorELNS0_4arch9wavefront6targetE0EEEvSV_.has_dyn_sized_stack, 0
	.set _ZN7rocprim17ROCPRIM_400000_NS6detail17trampoline_kernelINS0_13select_configILj256ELj13ELNS0_17block_load_methodE3ELS4_3ELS4_3ELNS0_20block_scan_algorithmE0ELj4294967295EEENS1_25partition_config_selectorILNS1_17partition_subalgoE3EjNS0_10empty_typeEbEEZZNS1_14partition_implILS8_3ELb0ES6_jNS0_17counting_iteratorIjlEEPS9_SE_NS0_5tupleIJPjSE_EEENSF_IJSE_SE_EEES9_SG_JZNS1_25segmented_radix_sort_implINS0_14default_configELb0EPKlPlSM_SN_N2at6native12_GLOBAL__N_18offset_tEEE10hipError_tPvRmT1_PNSt15iterator_traitsISV_E10value_typeET2_T3_PNSW_IS11_E10value_typeET4_jRbjT5_S17_jjP12ihipStream_tbEUljE_EEESS_ST_SU_S11_S15_S17_T6_T7_T9_mT8_S19_bDpT10_ENKUlT_T0_E_clISt17integral_constantIbLb1EES1L_IbLb0EEEEDaS1H_S1I_EUlS1H_E_NS1_11comp_targetILNS1_3genE10ELNS1_11target_archE1200ELNS1_3gpuE4ELNS1_3repE0EEENS1_30default_config_static_selectorELNS0_4arch9wavefront6targetE0EEEvSV_.has_recursion, 0
	.set _ZN7rocprim17ROCPRIM_400000_NS6detail17trampoline_kernelINS0_13select_configILj256ELj13ELNS0_17block_load_methodE3ELS4_3ELS4_3ELNS0_20block_scan_algorithmE0ELj4294967295EEENS1_25partition_config_selectorILNS1_17partition_subalgoE3EjNS0_10empty_typeEbEEZZNS1_14partition_implILS8_3ELb0ES6_jNS0_17counting_iteratorIjlEEPS9_SE_NS0_5tupleIJPjSE_EEENSF_IJSE_SE_EEES9_SG_JZNS1_25segmented_radix_sort_implINS0_14default_configELb0EPKlPlSM_SN_N2at6native12_GLOBAL__N_18offset_tEEE10hipError_tPvRmT1_PNSt15iterator_traitsISV_E10value_typeET2_T3_PNSW_IS11_E10value_typeET4_jRbjT5_S17_jjP12ihipStream_tbEUljE_EEESS_ST_SU_S11_S15_S17_T6_T7_T9_mT8_S19_bDpT10_ENKUlT_T0_E_clISt17integral_constantIbLb1EES1L_IbLb0EEEEDaS1H_S1I_EUlS1H_E_NS1_11comp_targetILNS1_3genE10ELNS1_11target_archE1200ELNS1_3gpuE4ELNS1_3repE0EEENS1_30default_config_static_selectorELNS0_4arch9wavefront6targetE0EEEvSV_.has_indirect_call, 0
	.section	.AMDGPU.csdata,"",@progbits
; Kernel info:
; codeLenInByte = 0
; TotalNumSgprs: 0
; NumVgprs: 0
; ScratchSize: 0
; MemoryBound: 0
; FloatMode: 240
; IeeeMode: 1
; LDSByteSize: 0 bytes/workgroup (compile time only)
; SGPRBlocks: 0
; VGPRBlocks: 0
; NumSGPRsForWavesPerEU: 1
; NumVGPRsForWavesPerEU: 1
; NamedBarCnt: 0
; Occupancy: 16
; WaveLimiterHint : 0
; COMPUTE_PGM_RSRC2:SCRATCH_EN: 0
; COMPUTE_PGM_RSRC2:USER_SGPR: 2
; COMPUTE_PGM_RSRC2:TRAP_HANDLER: 0
; COMPUTE_PGM_RSRC2:TGID_X_EN: 1
; COMPUTE_PGM_RSRC2:TGID_Y_EN: 0
; COMPUTE_PGM_RSRC2:TGID_Z_EN: 0
; COMPUTE_PGM_RSRC2:TIDIG_COMP_CNT: 0
	.section	.text._ZN7rocprim17ROCPRIM_400000_NS6detail17trampoline_kernelINS0_13select_configILj256ELj13ELNS0_17block_load_methodE3ELS4_3ELS4_3ELNS0_20block_scan_algorithmE0ELj4294967295EEENS1_25partition_config_selectorILNS1_17partition_subalgoE3EjNS0_10empty_typeEbEEZZNS1_14partition_implILS8_3ELb0ES6_jNS0_17counting_iteratorIjlEEPS9_SE_NS0_5tupleIJPjSE_EEENSF_IJSE_SE_EEES9_SG_JZNS1_25segmented_radix_sort_implINS0_14default_configELb0EPKlPlSM_SN_N2at6native12_GLOBAL__N_18offset_tEEE10hipError_tPvRmT1_PNSt15iterator_traitsISV_E10value_typeET2_T3_PNSW_IS11_E10value_typeET4_jRbjT5_S17_jjP12ihipStream_tbEUljE_EEESS_ST_SU_S11_S15_S17_T6_T7_T9_mT8_S19_bDpT10_ENKUlT_T0_E_clISt17integral_constantIbLb1EES1L_IbLb0EEEEDaS1H_S1I_EUlS1H_E_NS1_11comp_targetILNS1_3genE9ELNS1_11target_archE1100ELNS1_3gpuE3ELNS1_3repE0EEENS1_30default_config_static_selectorELNS0_4arch9wavefront6targetE0EEEvSV_,"axG",@progbits,_ZN7rocprim17ROCPRIM_400000_NS6detail17trampoline_kernelINS0_13select_configILj256ELj13ELNS0_17block_load_methodE3ELS4_3ELS4_3ELNS0_20block_scan_algorithmE0ELj4294967295EEENS1_25partition_config_selectorILNS1_17partition_subalgoE3EjNS0_10empty_typeEbEEZZNS1_14partition_implILS8_3ELb0ES6_jNS0_17counting_iteratorIjlEEPS9_SE_NS0_5tupleIJPjSE_EEENSF_IJSE_SE_EEES9_SG_JZNS1_25segmented_radix_sort_implINS0_14default_configELb0EPKlPlSM_SN_N2at6native12_GLOBAL__N_18offset_tEEE10hipError_tPvRmT1_PNSt15iterator_traitsISV_E10value_typeET2_T3_PNSW_IS11_E10value_typeET4_jRbjT5_S17_jjP12ihipStream_tbEUljE_EEESS_ST_SU_S11_S15_S17_T6_T7_T9_mT8_S19_bDpT10_ENKUlT_T0_E_clISt17integral_constantIbLb1EES1L_IbLb0EEEEDaS1H_S1I_EUlS1H_E_NS1_11comp_targetILNS1_3genE9ELNS1_11target_archE1100ELNS1_3gpuE3ELNS1_3repE0EEENS1_30default_config_static_selectorELNS0_4arch9wavefront6targetE0EEEvSV_,comdat
	.globl	_ZN7rocprim17ROCPRIM_400000_NS6detail17trampoline_kernelINS0_13select_configILj256ELj13ELNS0_17block_load_methodE3ELS4_3ELS4_3ELNS0_20block_scan_algorithmE0ELj4294967295EEENS1_25partition_config_selectorILNS1_17partition_subalgoE3EjNS0_10empty_typeEbEEZZNS1_14partition_implILS8_3ELb0ES6_jNS0_17counting_iteratorIjlEEPS9_SE_NS0_5tupleIJPjSE_EEENSF_IJSE_SE_EEES9_SG_JZNS1_25segmented_radix_sort_implINS0_14default_configELb0EPKlPlSM_SN_N2at6native12_GLOBAL__N_18offset_tEEE10hipError_tPvRmT1_PNSt15iterator_traitsISV_E10value_typeET2_T3_PNSW_IS11_E10value_typeET4_jRbjT5_S17_jjP12ihipStream_tbEUljE_EEESS_ST_SU_S11_S15_S17_T6_T7_T9_mT8_S19_bDpT10_ENKUlT_T0_E_clISt17integral_constantIbLb1EES1L_IbLb0EEEEDaS1H_S1I_EUlS1H_E_NS1_11comp_targetILNS1_3genE9ELNS1_11target_archE1100ELNS1_3gpuE3ELNS1_3repE0EEENS1_30default_config_static_selectorELNS0_4arch9wavefront6targetE0EEEvSV_ ; -- Begin function _ZN7rocprim17ROCPRIM_400000_NS6detail17trampoline_kernelINS0_13select_configILj256ELj13ELNS0_17block_load_methodE3ELS4_3ELS4_3ELNS0_20block_scan_algorithmE0ELj4294967295EEENS1_25partition_config_selectorILNS1_17partition_subalgoE3EjNS0_10empty_typeEbEEZZNS1_14partition_implILS8_3ELb0ES6_jNS0_17counting_iteratorIjlEEPS9_SE_NS0_5tupleIJPjSE_EEENSF_IJSE_SE_EEES9_SG_JZNS1_25segmented_radix_sort_implINS0_14default_configELb0EPKlPlSM_SN_N2at6native12_GLOBAL__N_18offset_tEEE10hipError_tPvRmT1_PNSt15iterator_traitsISV_E10value_typeET2_T3_PNSW_IS11_E10value_typeET4_jRbjT5_S17_jjP12ihipStream_tbEUljE_EEESS_ST_SU_S11_S15_S17_T6_T7_T9_mT8_S19_bDpT10_ENKUlT_T0_E_clISt17integral_constantIbLb1EES1L_IbLb0EEEEDaS1H_S1I_EUlS1H_E_NS1_11comp_targetILNS1_3genE9ELNS1_11target_archE1100ELNS1_3gpuE3ELNS1_3repE0EEENS1_30default_config_static_selectorELNS0_4arch9wavefront6targetE0EEEvSV_
	.p2align	8
	.type	_ZN7rocprim17ROCPRIM_400000_NS6detail17trampoline_kernelINS0_13select_configILj256ELj13ELNS0_17block_load_methodE3ELS4_3ELS4_3ELNS0_20block_scan_algorithmE0ELj4294967295EEENS1_25partition_config_selectorILNS1_17partition_subalgoE3EjNS0_10empty_typeEbEEZZNS1_14partition_implILS8_3ELb0ES6_jNS0_17counting_iteratorIjlEEPS9_SE_NS0_5tupleIJPjSE_EEENSF_IJSE_SE_EEES9_SG_JZNS1_25segmented_radix_sort_implINS0_14default_configELb0EPKlPlSM_SN_N2at6native12_GLOBAL__N_18offset_tEEE10hipError_tPvRmT1_PNSt15iterator_traitsISV_E10value_typeET2_T3_PNSW_IS11_E10value_typeET4_jRbjT5_S17_jjP12ihipStream_tbEUljE_EEESS_ST_SU_S11_S15_S17_T6_T7_T9_mT8_S19_bDpT10_ENKUlT_T0_E_clISt17integral_constantIbLb1EES1L_IbLb0EEEEDaS1H_S1I_EUlS1H_E_NS1_11comp_targetILNS1_3genE9ELNS1_11target_archE1100ELNS1_3gpuE3ELNS1_3repE0EEENS1_30default_config_static_selectorELNS0_4arch9wavefront6targetE0EEEvSV_,@function
_ZN7rocprim17ROCPRIM_400000_NS6detail17trampoline_kernelINS0_13select_configILj256ELj13ELNS0_17block_load_methodE3ELS4_3ELS4_3ELNS0_20block_scan_algorithmE0ELj4294967295EEENS1_25partition_config_selectorILNS1_17partition_subalgoE3EjNS0_10empty_typeEbEEZZNS1_14partition_implILS8_3ELb0ES6_jNS0_17counting_iteratorIjlEEPS9_SE_NS0_5tupleIJPjSE_EEENSF_IJSE_SE_EEES9_SG_JZNS1_25segmented_radix_sort_implINS0_14default_configELb0EPKlPlSM_SN_N2at6native12_GLOBAL__N_18offset_tEEE10hipError_tPvRmT1_PNSt15iterator_traitsISV_E10value_typeET2_T3_PNSW_IS11_E10value_typeET4_jRbjT5_S17_jjP12ihipStream_tbEUljE_EEESS_ST_SU_S11_S15_S17_T6_T7_T9_mT8_S19_bDpT10_ENKUlT_T0_E_clISt17integral_constantIbLb1EES1L_IbLb0EEEEDaS1H_S1I_EUlS1H_E_NS1_11comp_targetILNS1_3genE9ELNS1_11target_archE1100ELNS1_3gpuE3ELNS1_3repE0EEENS1_30default_config_static_selectorELNS0_4arch9wavefront6targetE0EEEvSV_: ; @_ZN7rocprim17ROCPRIM_400000_NS6detail17trampoline_kernelINS0_13select_configILj256ELj13ELNS0_17block_load_methodE3ELS4_3ELS4_3ELNS0_20block_scan_algorithmE0ELj4294967295EEENS1_25partition_config_selectorILNS1_17partition_subalgoE3EjNS0_10empty_typeEbEEZZNS1_14partition_implILS8_3ELb0ES6_jNS0_17counting_iteratorIjlEEPS9_SE_NS0_5tupleIJPjSE_EEENSF_IJSE_SE_EEES9_SG_JZNS1_25segmented_radix_sort_implINS0_14default_configELb0EPKlPlSM_SN_N2at6native12_GLOBAL__N_18offset_tEEE10hipError_tPvRmT1_PNSt15iterator_traitsISV_E10value_typeET2_T3_PNSW_IS11_E10value_typeET4_jRbjT5_S17_jjP12ihipStream_tbEUljE_EEESS_ST_SU_S11_S15_S17_T6_T7_T9_mT8_S19_bDpT10_ENKUlT_T0_E_clISt17integral_constantIbLb1EES1L_IbLb0EEEEDaS1H_S1I_EUlS1H_E_NS1_11comp_targetILNS1_3genE9ELNS1_11target_archE1100ELNS1_3gpuE3ELNS1_3repE0EEENS1_30default_config_static_selectorELNS0_4arch9wavefront6targetE0EEEvSV_
; %bb.0:
	.section	.rodata,"a",@progbits
	.p2align	6, 0x0
	.amdhsa_kernel _ZN7rocprim17ROCPRIM_400000_NS6detail17trampoline_kernelINS0_13select_configILj256ELj13ELNS0_17block_load_methodE3ELS4_3ELS4_3ELNS0_20block_scan_algorithmE0ELj4294967295EEENS1_25partition_config_selectorILNS1_17partition_subalgoE3EjNS0_10empty_typeEbEEZZNS1_14partition_implILS8_3ELb0ES6_jNS0_17counting_iteratorIjlEEPS9_SE_NS0_5tupleIJPjSE_EEENSF_IJSE_SE_EEES9_SG_JZNS1_25segmented_radix_sort_implINS0_14default_configELb0EPKlPlSM_SN_N2at6native12_GLOBAL__N_18offset_tEEE10hipError_tPvRmT1_PNSt15iterator_traitsISV_E10value_typeET2_T3_PNSW_IS11_E10value_typeET4_jRbjT5_S17_jjP12ihipStream_tbEUljE_EEESS_ST_SU_S11_S15_S17_T6_T7_T9_mT8_S19_bDpT10_ENKUlT_T0_E_clISt17integral_constantIbLb1EES1L_IbLb0EEEEDaS1H_S1I_EUlS1H_E_NS1_11comp_targetILNS1_3genE9ELNS1_11target_archE1100ELNS1_3gpuE3ELNS1_3repE0EEENS1_30default_config_static_selectorELNS0_4arch9wavefront6targetE0EEEvSV_
		.amdhsa_group_segment_fixed_size 0
		.amdhsa_private_segment_fixed_size 0
		.amdhsa_kernarg_size 144
		.amdhsa_user_sgpr_count 2
		.amdhsa_user_sgpr_dispatch_ptr 0
		.amdhsa_user_sgpr_queue_ptr 0
		.amdhsa_user_sgpr_kernarg_segment_ptr 1
		.amdhsa_user_sgpr_dispatch_id 0
		.amdhsa_user_sgpr_kernarg_preload_length 0
		.amdhsa_user_sgpr_kernarg_preload_offset 0
		.amdhsa_user_sgpr_private_segment_size 0
		.amdhsa_wavefront_size32 1
		.amdhsa_uses_dynamic_stack 0
		.amdhsa_enable_private_segment 0
		.amdhsa_system_sgpr_workgroup_id_x 1
		.amdhsa_system_sgpr_workgroup_id_y 0
		.amdhsa_system_sgpr_workgroup_id_z 0
		.amdhsa_system_sgpr_workgroup_info 0
		.amdhsa_system_vgpr_workitem_id 0
		.amdhsa_next_free_vgpr 1
		.amdhsa_next_free_sgpr 1
		.amdhsa_named_barrier_count 0
		.amdhsa_reserve_vcc 0
		.amdhsa_float_round_mode_32 0
		.amdhsa_float_round_mode_16_64 0
		.amdhsa_float_denorm_mode_32 3
		.amdhsa_float_denorm_mode_16_64 3
		.amdhsa_fp16_overflow 0
		.amdhsa_memory_ordered 1
		.amdhsa_forward_progress 1
		.amdhsa_inst_pref_size 0
		.amdhsa_round_robin_scheduling 0
		.amdhsa_exception_fp_ieee_invalid_op 0
		.amdhsa_exception_fp_denorm_src 0
		.amdhsa_exception_fp_ieee_div_zero 0
		.amdhsa_exception_fp_ieee_overflow 0
		.amdhsa_exception_fp_ieee_underflow 0
		.amdhsa_exception_fp_ieee_inexact 0
		.amdhsa_exception_int_div_zero 0
	.end_amdhsa_kernel
	.section	.text._ZN7rocprim17ROCPRIM_400000_NS6detail17trampoline_kernelINS0_13select_configILj256ELj13ELNS0_17block_load_methodE3ELS4_3ELS4_3ELNS0_20block_scan_algorithmE0ELj4294967295EEENS1_25partition_config_selectorILNS1_17partition_subalgoE3EjNS0_10empty_typeEbEEZZNS1_14partition_implILS8_3ELb0ES6_jNS0_17counting_iteratorIjlEEPS9_SE_NS0_5tupleIJPjSE_EEENSF_IJSE_SE_EEES9_SG_JZNS1_25segmented_radix_sort_implINS0_14default_configELb0EPKlPlSM_SN_N2at6native12_GLOBAL__N_18offset_tEEE10hipError_tPvRmT1_PNSt15iterator_traitsISV_E10value_typeET2_T3_PNSW_IS11_E10value_typeET4_jRbjT5_S17_jjP12ihipStream_tbEUljE_EEESS_ST_SU_S11_S15_S17_T6_T7_T9_mT8_S19_bDpT10_ENKUlT_T0_E_clISt17integral_constantIbLb1EES1L_IbLb0EEEEDaS1H_S1I_EUlS1H_E_NS1_11comp_targetILNS1_3genE9ELNS1_11target_archE1100ELNS1_3gpuE3ELNS1_3repE0EEENS1_30default_config_static_selectorELNS0_4arch9wavefront6targetE0EEEvSV_,"axG",@progbits,_ZN7rocprim17ROCPRIM_400000_NS6detail17trampoline_kernelINS0_13select_configILj256ELj13ELNS0_17block_load_methodE3ELS4_3ELS4_3ELNS0_20block_scan_algorithmE0ELj4294967295EEENS1_25partition_config_selectorILNS1_17partition_subalgoE3EjNS0_10empty_typeEbEEZZNS1_14partition_implILS8_3ELb0ES6_jNS0_17counting_iteratorIjlEEPS9_SE_NS0_5tupleIJPjSE_EEENSF_IJSE_SE_EEES9_SG_JZNS1_25segmented_radix_sort_implINS0_14default_configELb0EPKlPlSM_SN_N2at6native12_GLOBAL__N_18offset_tEEE10hipError_tPvRmT1_PNSt15iterator_traitsISV_E10value_typeET2_T3_PNSW_IS11_E10value_typeET4_jRbjT5_S17_jjP12ihipStream_tbEUljE_EEESS_ST_SU_S11_S15_S17_T6_T7_T9_mT8_S19_bDpT10_ENKUlT_T0_E_clISt17integral_constantIbLb1EES1L_IbLb0EEEEDaS1H_S1I_EUlS1H_E_NS1_11comp_targetILNS1_3genE9ELNS1_11target_archE1100ELNS1_3gpuE3ELNS1_3repE0EEENS1_30default_config_static_selectorELNS0_4arch9wavefront6targetE0EEEvSV_,comdat
.Lfunc_end793:
	.size	_ZN7rocprim17ROCPRIM_400000_NS6detail17trampoline_kernelINS0_13select_configILj256ELj13ELNS0_17block_load_methodE3ELS4_3ELS4_3ELNS0_20block_scan_algorithmE0ELj4294967295EEENS1_25partition_config_selectorILNS1_17partition_subalgoE3EjNS0_10empty_typeEbEEZZNS1_14partition_implILS8_3ELb0ES6_jNS0_17counting_iteratorIjlEEPS9_SE_NS0_5tupleIJPjSE_EEENSF_IJSE_SE_EEES9_SG_JZNS1_25segmented_radix_sort_implINS0_14default_configELb0EPKlPlSM_SN_N2at6native12_GLOBAL__N_18offset_tEEE10hipError_tPvRmT1_PNSt15iterator_traitsISV_E10value_typeET2_T3_PNSW_IS11_E10value_typeET4_jRbjT5_S17_jjP12ihipStream_tbEUljE_EEESS_ST_SU_S11_S15_S17_T6_T7_T9_mT8_S19_bDpT10_ENKUlT_T0_E_clISt17integral_constantIbLb1EES1L_IbLb0EEEEDaS1H_S1I_EUlS1H_E_NS1_11comp_targetILNS1_3genE9ELNS1_11target_archE1100ELNS1_3gpuE3ELNS1_3repE0EEENS1_30default_config_static_selectorELNS0_4arch9wavefront6targetE0EEEvSV_, .Lfunc_end793-_ZN7rocprim17ROCPRIM_400000_NS6detail17trampoline_kernelINS0_13select_configILj256ELj13ELNS0_17block_load_methodE3ELS4_3ELS4_3ELNS0_20block_scan_algorithmE0ELj4294967295EEENS1_25partition_config_selectorILNS1_17partition_subalgoE3EjNS0_10empty_typeEbEEZZNS1_14partition_implILS8_3ELb0ES6_jNS0_17counting_iteratorIjlEEPS9_SE_NS0_5tupleIJPjSE_EEENSF_IJSE_SE_EEES9_SG_JZNS1_25segmented_radix_sort_implINS0_14default_configELb0EPKlPlSM_SN_N2at6native12_GLOBAL__N_18offset_tEEE10hipError_tPvRmT1_PNSt15iterator_traitsISV_E10value_typeET2_T3_PNSW_IS11_E10value_typeET4_jRbjT5_S17_jjP12ihipStream_tbEUljE_EEESS_ST_SU_S11_S15_S17_T6_T7_T9_mT8_S19_bDpT10_ENKUlT_T0_E_clISt17integral_constantIbLb1EES1L_IbLb0EEEEDaS1H_S1I_EUlS1H_E_NS1_11comp_targetILNS1_3genE9ELNS1_11target_archE1100ELNS1_3gpuE3ELNS1_3repE0EEENS1_30default_config_static_selectorELNS0_4arch9wavefront6targetE0EEEvSV_
                                        ; -- End function
	.set _ZN7rocprim17ROCPRIM_400000_NS6detail17trampoline_kernelINS0_13select_configILj256ELj13ELNS0_17block_load_methodE3ELS4_3ELS4_3ELNS0_20block_scan_algorithmE0ELj4294967295EEENS1_25partition_config_selectorILNS1_17partition_subalgoE3EjNS0_10empty_typeEbEEZZNS1_14partition_implILS8_3ELb0ES6_jNS0_17counting_iteratorIjlEEPS9_SE_NS0_5tupleIJPjSE_EEENSF_IJSE_SE_EEES9_SG_JZNS1_25segmented_radix_sort_implINS0_14default_configELb0EPKlPlSM_SN_N2at6native12_GLOBAL__N_18offset_tEEE10hipError_tPvRmT1_PNSt15iterator_traitsISV_E10value_typeET2_T3_PNSW_IS11_E10value_typeET4_jRbjT5_S17_jjP12ihipStream_tbEUljE_EEESS_ST_SU_S11_S15_S17_T6_T7_T9_mT8_S19_bDpT10_ENKUlT_T0_E_clISt17integral_constantIbLb1EES1L_IbLb0EEEEDaS1H_S1I_EUlS1H_E_NS1_11comp_targetILNS1_3genE9ELNS1_11target_archE1100ELNS1_3gpuE3ELNS1_3repE0EEENS1_30default_config_static_selectorELNS0_4arch9wavefront6targetE0EEEvSV_.num_vgpr, 0
	.set _ZN7rocprim17ROCPRIM_400000_NS6detail17trampoline_kernelINS0_13select_configILj256ELj13ELNS0_17block_load_methodE3ELS4_3ELS4_3ELNS0_20block_scan_algorithmE0ELj4294967295EEENS1_25partition_config_selectorILNS1_17partition_subalgoE3EjNS0_10empty_typeEbEEZZNS1_14partition_implILS8_3ELb0ES6_jNS0_17counting_iteratorIjlEEPS9_SE_NS0_5tupleIJPjSE_EEENSF_IJSE_SE_EEES9_SG_JZNS1_25segmented_radix_sort_implINS0_14default_configELb0EPKlPlSM_SN_N2at6native12_GLOBAL__N_18offset_tEEE10hipError_tPvRmT1_PNSt15iterator_traitsISV_E10value_typeET2_T3_PNSW_IS11_E10value_typeET4_jRbjT5_S17_jjP12ihipStream_tbEUljE_EEESS_ST_SU_S11_S15_S17_T6_T7_T9_mT8_S19_bDpT10_ENKUlT_T0_E_clISt17integral_constantIbLb1EES1L_IbLb0EEEEDaS1H_S1I_EUlS1H_E_NS1_11comp_targetILNS1_3genE9ELNS1_11target_archE1100ELNS1_3gpuE3ELNS1_3repE0EEENS1_30default_config_static_selectorELNS0_4arch9wavefront6targetE0EEEvSV_.num_agpr, 0
	.set _ZN7rocprim17ROCPRIM_400000_NS6detail17trampoline_kernelINS0_13select_configILj256ELj13ELNS0_17block_load_methodE3ELS4_3ELS4_3ELNS0_20block_scan_algorithmE0ELj4294967295EEENS1_25partition_config_selectorILNS1_17partition_subalgoE3EjNS0_10empty_typeEbEEZZNS1_14partition_implILS8_3ELb0ES6_jNS0_17counting_iteratorIjlEEPS9_SE_NS0_5tupleIJPjSE_EEENSF_IJSE_SE_EEES9_SG_JZNS1_25segmented_radix_sort_implINS0_14default_configELb0EPKlPlSM_SN_N2at6native12_GLOBAL__N_18offset_tEEE10hipError_tPvRmT1_PNSt15iterator_traitsISV_E10value_typeET2_T3_PNSW_IS11_E10value_typeET4_jRbjT5_S17_jjP12ihipStream_tbEUljE_EEESS_ST_SU_S11_S15_S17_T6_T7_T9_mT8_S19_bDpT10_ENKUlT_T0_E_clISt17integral_constantIbLb1EES1L_IbLb0EEEEDaS1H_S1I_EUlS1H_E_NS1_11comp_targetILNS1_3genE9ELNS1_11target_archE1100ELNS1_3gpuE3ELNS1_3repE0EEENS1_30default_config_static_selectorELNS0_4arch9wavefront6targetE0EEEvSV_.numbered_sgpr, 0
	.set _ZN7rocprim17ROCPRIM_400000_NS6detail17trampoline_kernelINS0_13select_configILj256ELj13ELNS0_17block_load_methodE3ELS4_3ELS4_3ELNS0_20block_scan_algorithmE0ELj4294967295EEENS1_25partition_config_selectorILNS1_17partition_subalgoE3EjNS0_10empty_typeEbEEZZNS1_14partition_implILS8_3ELb0ES6_jNS0_17counting_iteratorIjlEEPS9_SE_NS0_5tupleIJPjSE_EEENSF_IJSE_SE_EEES9_SG_JZNS1_25segmented_radix_sort_implINS0_14default_configELb0EPKlPlSM_SN_N2at6native12_GLOBAL__N_18offset_tEEE10hipError_tPvRmT1_PNSt15iterator_traitsISV_E10value_typeET2_T3_PNSW_IS11_E10value_typeET4_jRbjT5_S17_jjP12ihipStream_tbEUljE_EEESS_ST_SU_S11_S15_S17_T6_T7_T9_mT8_S19_bDpT10_ENKUlT_T0_E_clISt17integral_constantIbLb1EES1L_IbLb0EEEEDaS1H_S1I_EUlS1H_E_NS1_11comp_targetILNS1_3genE9ELNS1_11target_archE1100ELNS1_3gpuE3ELNS1_3repE0EEENS1_30default_config_static_selectorELNS0_4arch9wavefront6targetE0EEEvSV_.num_named_barrier, 0
	.set _ZN7rocprim17ROCPRIM_400000_NS6detail17trampoline_kernelINS0_13select_configILj256ELj13ELNS0_17block_load_methodE3ELS4_3ELS4_3ELNS0_20block_scan_algorithmE0ELj4294967295EEENS1_25partition_config_selectorILNS1_17partition_subalgoE3EjNS0_10empty_typeEbEEZZNS1_14partition_implILS8_3ELb0ES6_jNS0_17counting_iteratorIjlEEPS9_SE_NS0_5tupleIJPjSE_EEENSF_IJSE_SE_EEES9_SG_JZNS1_25segmented_radix_sort_implINS0_14default_configELb0EPKlPlSM_SN_N2at6native12_GLOBAL__N_18offset_tEEE10hipError_tPvRmT1_PNSt15iterator_traitsISV_E10value_typeET2_T3_PNSW_IS11_E10value_typeET4_jRbjT5_S17_jjP12ihipStream_tbEUljE_EEESS_ST_SU_S11_S15_S17_T6_T7_T9_mT8_S19_bDpT10_ENKUlT_T0_E_clISt17integral_constantIbLb1EES1L_IbLb0EEEEDaS1H_S1I_EUlS1H_E_NS1_11comp_targetILNS1_3genE9ELNS1_11target_archE1100ELNS1_3gpuE3ELNS1_3repE0EEENS1_30default_config_static_selectorELNS0_4arch9wavefront6targetE0EEEvSV_.private_seg_size, 0
	.set _ZN7rocprim17ROCPRIM_400000_NS6detail17trampoline_kernelINS0_13select_configILj256ELj13ELNS0_17block_load_methodE3ELS4_3ELS4_3ELNS0_20block_scan_algorithmE0ELj4294967295EEENS1_25partition_config_selectorILNS1_17partition_subalgoE3EjNS0_10empty_typeEbEEZZNS1_14partition_implILS8_3ELb0ES6_jNS0_17counting_iteratorIjlEEPS9_SE_NS0_5tupleIJPjSE_EEENSF_IJSE_SE_EEES9_SG_JZNS1_25segmented_radix_sort_implINS0_14default_configELb0EPKlPlSM_SN_N2at6native12_GLOBAL__N_18offset_tEEE10hipError_tPvRmT1_PNSt15iterator_traitsISV_E10value_typeET2_T3_PNSW_IS11_E10value_typeET4_jRbjT5_S17_jjP12ihipStream_tbEUljE_EEESS_ST_SU_S11_S15_S17_T6_T7_T9_mT8_S19_bDpT10_ENKUlT_T0_E_clISt17integral_constantIbLb1EES1L_IbLb0EEEEDaS1H_S1I_EUlS1H_E_NS1_11comp_targetILNS1_3genE9ELNS1_11target_archE1100ELNS1_3gpuE3ELNS1_3repE0EEENS1_30default_config_static_selectorELNS0_4arch9wavefront6targetE0EEEvSV_.uses_vcc, 0
	.set _ZN7rocprim17ROCPRIM_400000_NS6detail17trampoline_kernelINS0_13select_configILj256ELj13ELNS0_17block_load_methodE3ELS4_3ELS4_3ELNS0_20block_scan_algorithmE0ELj4294967295EEENS1_25partition_config_selectorILNS1_17partition_subalgoE3EjNS0_10empty_typeEbEEZZNS1_14partition_implILS8_3ELb0ES6_jNS0_17counting_iteratorIjlEEPS9_SE_NS0_5tupleIJPjSE_EEENSF_IJSE_SE_EEES9_SG_JZNS1_25segmented_radix_sort_implINS0_14default_configELb0EPKlPlSM_SN_N2at6native12_GLOBAL__N_18offset_tEEE10hipError_tPvRmT1_PNSt15iterator_traitsISV_E10value_typeET2_T3_PNSW_IS11_E10value_typeET4_jRbjT5_S17_jjP12ihipStream_tbEUljE_EEESS_ST_SU_S11_S15_S17_T6_T7_T9_mT8_S19_bDpT10_ENKUlT_T0_E_clISt17integral_constantIbLb1EES1L_IbLb0EEEEDaS1H_S1I_EUlS1H_E_NS1_11comp_targetILNS1_3genE9ELNS1_11target_archE1100ELNS1_3gpuE3ELNS1_3repE0EEENS1_30default_config_static_selectorELNS0_4arch9wavefront6targetE0EEEvSV_.uses_flat_scratch, 0
	.set _ZN7rocprim17ROCPRIM_400000_NS6detail17trampoline_kernelINS0_13select_configILj256ELj13ELNS0_17block_load_methodE3ELS4_3ELS4_3ELNS0_20block_scan_algorithmE0ELj4294967295EEENS1_25partition_config_selectorILNS1_17partition_subalgoE3EjNS0_10empty_typeEbEEZZNS1_14partition_implILS8_3ELb0ES6_jNS0_17counting_iteratorIjlEEPS9_SE_NS0_5tupleIJPjSE_EEENSF_IJSE_SE_EEES9_SG_JZNS1_25segmented_radix_sort_implINS0_14default_configELb0EPKlPlSM_SN_N2at6native12_GLOBAL__N_18offset_tEEE10hipError_tPvRmT1_PNSt15iterator_traitsISV_E10value_typeET2_T3_PNSW_IS11_E10value_typeET4_jRbjT5_S17_jjP12ihipStream_tbEUljE_EEESS_ST_SU_S11_S15_S17_T6_T7_T9_mT8_S19_bDpT10_ENKUlT_T0_E_clISt17integral_constantIbLb1EES1L_IbLb0EEEEDaS1H_S1I_EUlS1H_E_NS1_11comp_targetILNS1_3genE9ELNS1_11target_archE1100ELNS1_3gpuE3ELNS1_3repE0EEENS1_30default_config_static_selectorELNS0_4arch9wavefront6targetE0EEEvSV_.has_dyn_sized_stack, 0
	.set _ZN7rocprim17ROCPRIM_400000_NS6detail17trampoline_kernelINS0_13select_configILj256ELj13ELNS0_17block_load_methodE3ELS4_3ELS4_3ELNS0_20block_scan_algorithmE0ELj4294967295EEENS1_25partition_config_selectorILNS1_17partition_subalgoE3EjNS0_10empty_typeEbEEZZNS1_14partition_implILS8_3ELb0ES6_jNS0_17counting_iteratorIjlEEPS9_SE_NS0_5tupleIJPjSE_EEENSF_IJSE_SE_EEES9_SG_JZNS1_25segmented_radix_sort_implINS0_14default_configELb0EPKlPlSM_SN_N2at6native12_GLOBAL__N_18offset_tEEE10hipError_tPvRmT1_PNSt15iterator_traitsISV_E10value_typeET2_T3_PNSW_IS11_E10value_typeET4_jRbjT5_S17_jjP12ihipStream_tbEUljE_EEESS_ST_SU_S11_S15_S17_T6_T7_T9_mT8_S19_bDpT10_ENKUlT_T0_E_clISt17integral_constantIbLb1EES1L_IbLb0EEEEDaS1H_S1I_EUlS1H_E_NS1_11comp_targetILNS1_3genE9ELNS1_11target_archE1100ELNS1_3gpuE3ELNS1_3repE0EEENS1_30default_config_static_selectorELNS0_4arch9wavefront6targetE0EEEvSV_.has_recursion, 0
	.set _ZN7rocprim17ROCPRIM_400000_NS6detail17trampoline_kernelINS0_13select_configILj256ELj13ELNS0_17block_load_methodE3ELS4_3ELS4_3ELNS0_20block_scan_algorithmE0ELj4294967295EEENS1_25partition_config_selectorILNS1_17partition_subalgoE3EjNS0_10empty_typeEbEEZZNS1_14partition_implILS8_3ELb0ES6_jNS0_17counting_iteratorIjlEEPS9_SE_NS0_5tupleIJPjSE_EEENSF_IJSE_SE_EEES9_SG_JZNS1_25segmented_radix_sort_implINS0_14default_configELb0EPKlPlSM_SN_N2at6native12_GLOBAL__N_18offset_tEEE10hipError_tPvRmT1_PNSt15iterator_traitsISV_E10value_typeET2_T3_PNSW_IS11_E10value_typeET4_jRbjT5_S17_jjP12ihipStream_tbEUljE_EEESS_ST_SU_S11_S15_S17_T6_T7_T9_mT8_S19_bDpT10_ENKUlT_T0_E_clISt17integral_constantIbLb1EES1L_IbLb0EEEEDaS1H_S1I_EUlS1H_E_NS1_11comp_targetILNS1_3genE9ELNS1_11target_archE1100ELNS1_3gpuE3ELNS1_3repE0EEENS1_30default_config_static_selectorELNS0_4arch9wavefront6targetE0EEEvSV_.has_indirect_call, 0
	.section	.AMDGPU.csdata,"",@progbits
; Kernel info:
; codeLenInByte = 0
; TotalNumSgprs: 0
; NumVgprs: 0
; ScratchSize: 0
; MemoryBound: 0
; FloatMode: 240
; IeeeMode: 1
; LDSByteSize: 0 bytes/workgroup (compile time only)
; SGPRBlocks: 0
; VGPRBlocks: 0
; NumSGPRsForWavesPerEU: 1
; NumVGPRsForWavesPerEU: 1
; NamedBarCnt: 0
; Occupancy: 16
; WaveLimiterHint : 0
; COMPUTE_PGM_RSRC2:SCRATCH_EN: 0
; COMPUTE_PGM_RSRC2:USER_SGPR: 2
; COMPUTE_PGM_RSRC2:TRAP_HANDLER: 0
; COMPUTE_PGM_RSRC2:TGID_X_EN: 1
; COMPUTE_PGM_RSRC2:TGID_Y_EN: 0
; COMPUTE_PGM_RSRC2:TGID_Z_EN: 0
; COMPUTE_PGM_RSRC2:TIDIG_COMP_CNT: 0
	.section	.text._ZN7rocprim17ROCPRIM_400000_NS6detail17trampoline_kernelINS0_13select_configILj256ELj13ELNS0_17block_load_methodE3ELS4_3ELS4_3ELNS0_20block_scan_algorithmE0ELj4294967295EEENS1_25partition_config_selectorILNS1_17partition_subalgoE3EjNS0_10empty_typeEbEEZZNS1_14partition_implILS8_3ELb0ES6_jNS0_17counting_iteratorIjlEEPS9_SE_NS0_5tupleIJPjSE_EEENSF_IJSE_SE_EEES9_SG_JZNS1_25segmented_radix_sort_implINS0_14default_configELb0EPKlPlSM_SN_N2at6native12_GLOBAL__N_18offset_tEEE10hipError_tPvRmT1_PNSt15iterator_traitsISV_E10value_typeET2_T3_PNSW_IS11_E10value_typeET4_jRbjT5_S17_jjP12ihipStream_tbEUljE_EEESS_ST_SU_S11_S15_S17_T6_T7_T9_mT8_S19_bDpT10_ENKUlT_T0_E_clISt17integral_constantIbLb1EES1L_IbLb0EEEEDaS1H_S1I_EUlS1H_E_NS1_11comp_targetILNS1_3genE8ELNS1_11target_archE1030ELNS1_3gpuE2ELNS1_3repE0EEENS1_30default_config_static_selectorELNS0_4arch9wavefront6targetE0EEEvSV_,"axG",@progbits,_ZN7rocprim17ROCPRIM_400000_NS6detail17trampoline_kernelINS0_13select_configILj256ELj13ELNS0_17block_load_methodE3ELS4_3ELS4_3ELNS0_20block_scan_algorithmE0ELj4294967295EEENS1_25partition_config_selectorILNS1_17partition_subalgoE3EjNS0_10empty_typeEbEEZZNS1_14partition_implILS8_3ELb0ES6_jNS0_17counting_iteratorIjlEEPS9_SE_NS0_5tupleIJPjSE_EEENSF_IJSE_SE_EEES9_SG_JZNS1_25segmented_radix_sort_implINS0_14default_configELb0EPKlPlSM_SN_N2at6native12_GLOBAL__N_18offset_tEEE10hipError_tPvRmT1_PNSt15iterator_traitsISV_E10value_typeET2_T3_PNSW_IS11_E10value_typeET4_jRbjT5_S17_jjP12ihipStream_tbEUljE_EEESS_ST_SU_S11_S15_S17_T6_T7_T9_mT8_S19_bDpT10_ENKUlT_T0_E_clISt17integral_constantIbLb1EES1L_IbLb0EEEEDaS1H_S1I_EUlS1H_E_NS1_11comp_targetILNS1_3genE8ELNS1_11target_archE1030ELNS1_3gpuE2ELNS1_3repE0EEENS1_30default_config_static_selectorELNS0_4arch9wavefront6targetE0EEEvSV_,comdat
	.globl	_ZN7rocprim17ROCPRIM_400000_NS6detail17trampoline_kernelINS0_13select_configILj256ELj13ELNS0_17block_load_methodE3ELS4_3ELS4_3ELNS0_20block_scan_algorithmE0ELj4294967295EEENS1_25partition_config_selectorILNS1_17partition_subalgoE3EjNS0_10empty_typeEbEEZZNS1_14partition_implILS8_3ELb0ES6_jNS0_17counting_iteratorIjlEEPS9_SE_NS0_5tupleIJPjSE_EEENSF_IJSE_SE_EEES9_SG_JZNS1_25segmented_radix_sort_implINS0_14default_configELb0EPKlPlSM_SN_N2at6native12_GLOBAL__N_18offset_tEEE10hipError_tPvRmT1_PNSt15iterator_traitsISV_E10value_typeET2_T3_PNSW_IS11_E10value_typeET4_jRbjT5_S17_jjP12ihipStream_tbEUljE_EEESS_ST_SU_S11_S15_S17_T6_T7_T9_mT8_S19_bDpT10_ENKUlT_T0_E_clISt17integral_constantIbLb1EES1L_IbLb0EEEEDaS1H_S1I_EUlS1H_E_NS1_11comp_targetILNS1_3genE8ELNS1_11target_archE1030ELNS1_3gpuE2ELNS1_3repE0EEENS1_30default_config_static_selectorELNS0_4arch9wavefront6targetE0EEEvSV_ ; -- Begin function _ZN7rocprim17ROCPRIM_400000_NS6detail17trampoline_kernelINS0_13select_configILj256ELj13ELNS0_17block_load_methodE3ELS4_3ELS4_3ELNS0_20block_scan_algorithmE0ELj4294967295EEENS1_25partition_config_selectorILNS1_17partition_subalgoE3EjNS0_10empty_typeEbEEZZNS1_14partition_implILS8_3ELb0ES6_jNS0_17counting_iteratorIjlEEPS9_SE_NS0_5tupleIJPjSE_EEENSF_IJSE_SE_EEES9_SG_JZNS1_25segmented_radix_sort_implINS0_14default_configELb0EPKlPlSM_SN_N2at6native12_GLOBAL__N_18offset_tEEE10hipError_tPvRmT1_PNSt15iterator_traitsISV_E10value_typeET2_T3_PNSW_IS11_E10value_typeET4_jRbjT5_S17_jjP12ihipStream_tbEUljE_EEESS_ST_SU_S11_S15_S17_T6_T7_T9_mT8_S19_bDpT10_ENKUlT_T0_E_clISt17integral_constantIbLb1EES1L_IbLb0EEEEDaS1H_S1I_EUlS1H_E_NS1_11comp_targetILNS1_3genE8ELNS1_11target_archE1030ELNS1_3gpuE2ELNS1_3repE0EEENS1_30default_config_static_selectorELNS0_4arch9wavefront6targetE0EEEvSV_
	.p2align	8
	.type	_ZN7rocprim17ROCPRIM_400000_NS6detail17trampoline_kernelINS0_13select_configILj256ELj13ELNS0_17block_load_methodE3ELS4_3ELS4_3ELNS0_20block_scan_algorithmE0ELj4294967295EEENS1_25partition_config_selectorILNS1_17partition_subalgoE3EjNS0_10empty_typeEbEEZZNS1_14partition_implILS8_3ELb0ES6_jNS0_17counting_iteratorIjlEEPS9_SE_NS0_5tupleIJPjSE_EEENSF_IJSE_SE_EEES9_SG_JZNS1_25segmented_radix_sort_implINS0_14default_configELb0EPKlPlSM_SN_N2at6native12_GLOBAL__N_18offset_tEEE10hipError_tPvRmT1_PNSt15iterator_traitsISV_E10value_typeET2_T3_PNSW_IS11_E10value_typeET4_jRbjT5_S17_jjP12ihipStream_tbEUljE_EEESS_ST_SU_S11_S15_S17_T6_T7_T9_mT8_S19_bDpT10_ENKUlT_T0_E_clISt17integral_constantIbLb1EES1L_IbLb0EEEEDaS1H_S1I_EUlS1H_E_NS1_11comp_targetILNS1_3genE8ELNS1_11target_archE1030ELNS1_3gpuE2ELNS1_3repE0EEENS1_30default_config_static_selectorELNS0_4arch9wavefront6targetE0EEEvSV_,@function
_ZN7rocprim17ROCPRIM_400000_NS6detail17trampoline_kernelINS0_13select_configILj256ELj13ELNS0_17block_load_methodE3ELS4_3ELS4_3ELNS0_20block_scan_algorithmE0ELj4294967295EEENS1_25partition_config_selectorILNS1_17partition_subalgoE3EjNS0_10empty_typeEbEEZZNS1_14partition_implILS8_3ELb0ES6_jNS0_17counting_iteratorIjlEEPS9_SE_NS0_5tupleIJPjSE_EEENSF_IJSE_SE_EEES9_SG_JZNS1_25segmented_radix_sort_implINS0_14default_configELb0EPKlPlSM_SN_N2at6native12_GLOBAL__N_18offset_tEEE10hipError_tPvRmT1_PNSt15iterator_traitsISV_E10value_typeET2_T3_PNSW_IS11_E10value_typeET4_jRbjT5_S17_jjP12ihipStream_tbEUljE_EEESS_ST_SU_S11_S15_S17_T6_T7_T9_mT8_S19_bDpT10_ENKUlT_T0_E_clISt17integral_constantIbLb1EES1L_IbLb0EEEEDaS1H_S1I_EUlS1H_E_NS1_11comp_targetILNS1_3genE8ELNS1_11target_archE1030ELNS1_3gpuE2ELNS1_3repE0EEENS1_30default_config_static_selectorELNS0_4arch9wavefront6targetE0EEEvSV_: ; @_ZN7rocprim17ROCPRIM_400000_NS6detail17trampoline_kernelINS0_13select_configILj256ELj13ELNS0_17block_load_methodE3ELS4_3ELS4_3ELNS0_20block_scan_algorithmE0ELj4294967295EEENS1_25partition_config_selectorILNS1_17partition_subalgoE3EjNS0_10empty_typeEbEEZZNS1_14partition_implILS8_3ELb0ES6_jNS0_17counting_iteratorIjlEEPS9_SE_NS0_5tupleIJPjSE_EEENSF_IJSE_SE_EEES9_SG_JZNS1_25segmented_radix_sort_implINS0_14default_configELb0EPKlPlSM_SN_N2at6native12_GLOBAL__N_18offset_tEEE10hipError_tPvRmT1_PNSt15iterator_traitsISV_E10value_typeET2_T3_PNSW_IS11_E10value_typeET4_jRbjT5_S17_jjP12ihipStream_tbEUljE_EEESS_ST_SU_S11_S15_S17_T6_T7_T9_mT8_S19_bDpT10_ENKUlT_T0_E_clISt17integral_constantIbLb1EES1L_IbLb0EEEEDaS1H_S1I_EUlS1H_E_NS1_11comp_targetILNS1_3genE8ELNS1_11target_archE1030ELNS1_3gpuE2ELNS1_3repE0EEENS1_30default_config_static_selectorELNS0_4arch9wavefront6targetE0EEEvSV_
; %bb.0:
	.section	.rodata,"a",@progbits
	.p2align	6, 0x0
	.amdhsa_kernel _ZN7rocprim17ROCPRIM_400000_NS6detail17trampoline_kernelINS0_13select_configILj256ELj13ELNS0_17block_load_methodE3ELS4_3ELS4_3ELNS0_20block_scan_algorithmE0ELj4294967295EEENS1_25partition_config_selectorILNS1_17partition_subalgoE3EjNS0_10empty_typeEbEEZZNS1_14partition_implILS8_3ELb0ES6_jNS0_17counting_iteratorIjlEEPS9_SE_NS0_5tupleIJPjSE_EEENSF_IJSE_SE_EEES9_SG_JZNS1_25segmented_radix_sort_implINS0_14default_configELb0EPKlPlSM_SN_N2at6native12_GLOBAL__N_18offset_tEEE10hipError_tPvRmT1_PNSt15iterator_traitsISV_E10value_typeET2_T3_PNSW_IS11_E10value_typeET4_jRbjT5_S17_jjP12ihipStream_tbEUljE_EEESS_ST_SU_S11_S15_S17_T6_T7_T9_mT8_S19_bDpT10_ENKUlT_T0_E_clISt17integral_constantIbLb1EES1L_IbLb0EEEEDaS1H_S1I_EUlS1H_E_NS1_11comp_targetILNS1_3genE8ELNS1_11target_archE1030ELNS1_3gpuE2ELNS1_3repE0EEENS1_30default_config_static_selectorELNS0_4arch9wavefront6targetE0EEEvSV_
		.amdhsa_group_segment_fixed_size 0
		.amdhsa_private_segment_fixed_size 0
		.amdhsa_kernarg_size 144
		.amdhsa_user_sgpr_count 2
		.amdhsa_user_sgpr_dispatch_ptr 0
		.amdhsa_user_sgpr_queue_ptr 0
		.amdhsa_user_sgpr_kernarg_segment_ptr 1
		.amdhsa_user_sgpr_dispatch_id 0
		.amdhsa_user_sgpr_kernarg_preload_length 0
		.amdhsa_user_sgpr_kernarg_preload_offset 0
		.amdhsa_user_sgpr_private_segment_size 0
		.amdhsa_wavefront_size32 1
		.amdhsa_uses_dynamic_stack 0
		.amdhsa_enable_private_segment 0
		.amdhsa_system_sgpr_workgroup_id_x 1
		.amdhsa_system_sgpr_workgroup_id_y 0
		.amdhsa_system_sgpr_workgroup_id_z 0
		.amdhsa_system_sgpr_workgroup_info 0
		.amdhsa_system_vgpr_workitem_id 0
		.amdhsa_next_free_vgpr 1
		.amdhsa_next_free_sgpr 1
		.amdhsa_named_barrier_count 0
		.amdhsa_reserve_vcc 0
		.amdhsa_float_round_mode_32 0
		.amdhsa_float_round_mode_16_64 0
		.amdhsa_float_denorm_mode_32 3
		.amdhsa_float_denorm_mode_16_64 3
		.amdhsa_fp16_overflow 0
		.amdhsa_memory_ordered 1
		.amdhsa_forward_progress 1
		.amdhsa_inst_pref_size 0
		.amdhsa_round_robin_scheduling 0
		.amdhsa_exception_fp_ieee_invalid_op 0
		.amdhsa_exception_fp_denorm_src 0
		.amdhsa_exception_fp_ieee_div_zero 0
		.amdhsa_exception_fp_ieee_overflow 0
		.amdhsa_exception_fp_ieee_underflow 0
		.amdhsa_exception_fp_ieee_inexact 0
		.amdhsa_exception_int_div_zero 0
	.end_amdhsa_kernel
	.section	.text._ZN7rocprim17ROCPRIM_400000_NS6detail17trampoline_kernelINS0_13select_configILj256ELj13ELNS0_17block_load_methodE3ELS4_3ELS4_3ELNS0_20block_scan_algorithmE0ELj4294967295EEENS1_25partition_config_selectorILNS1_17partition_subalgoE3EjNS0_10empty_typeEbEEZZNS1_14partition_implILS8_3ELb0ES6_jNS0_17counting_iteratorIjlEEPS9_SE_NS0_5tupleIJPjSE_EEENSF_IJSE_SE_EEES9_SG_JZNS1_25segmented_radix_sort_implINS0_14default_configELb0EPKlPlSM_SN_N2at6native12_GLOBAL__N_18offset_tEEE10hipError_tPvRmT1_PNSt15iterator_traitsISV_E10value_typeET2_T3_PNSW_IS11_E10value_typeET4_jRbjT5_S17_jjP12ihipStream_tbEUljE_EEESS_ST_SU_S11_S15_S17_T6_T7_T9_mT8_S19_bDpT10_ENKUlT_T0_E_clISt17integral_constantIbLb1EES1L_IbLb0EEEEDaS1H_S1I_EUlS1H_E_NS1_11comp_targetILNS1_3genE8ELNS1_11target_archE1030ELNS1_3gpuE2ELNS1_3repE0EEENS1_30default_config_static_selectorELNS0_4arch9wavefront6targetE0EEEvSV_,"axG",@progbits,_ZN7rocprim17ROCPRIM_400000_NS6detail17trampoline_kernelINS0_13select_configILj256ELj13ELNS0_17block_load_methodE3ELS4_3ELS4_3ELNS0_20block_scan_algorithmE0ELj4294967295EEENS1_25partition_config_selectorILNS1_17partition_subalgoE3EjNS0_10empty_typeEbEEZZNS1_14partition_implILS8_3ELb0ES6_jNS0_17counting_iteratorIjlEEPS9_SE_NS0_5tupleIJPjSE_EEENSF_IJSE_SE_EEES9_SG_JZNS1_25segmented_radix_sort_implINS0_14default_configELb0EPKlPlSM_SN_N2at6native12_GLOBAL__N_18offset_tEEE10hipError_tPvRmT1_PNSt15iterator_traitsISV_E10value_typeET2_T3_PNSW_IS11_E10value_typeET4_jRbjT5_S17_jjP12ihipStream_tbEUljE_EEESS_ST_SU_S11_S15_S17_T6_T7_T9_mT8_S19_bDpT10_ENKUlT_T0_E_clISt17integral_constantIbLb1EES1L_IbLb0EEEEDaS1H_S1I_EUlS1H_E_NS1_11comp_targetILNS1_3genE8ELNS1_11target_archE1030ELNS1_3gpuE2ELNS1_3repE0EEENS1_30default_config_static_selectorELNS0_4arch9wavefront6targetE0EEEvSV_,comdat
.Lfunc_end794:
	.size	_ZN7rocprim17ROCPRIM_400000_NS6detail17trampoline_kernelINS0_13select_configILj256ELj13ELNS0_17block_load_methodE3ELS4_3ELS4_3ELNS0_20block_scan_algorithmE0ELj4294967295EEENS1_25partition_config_selectorILNS1_17partition_subalgoE3EjNS0_10empty_typeEbEEZZNS1_14partition_implILS8_3ELb0ES6_jNS0_17counting_iteratorIjlEEPS9_SE_NS0_5tupleIJPjSE_EEENSF_IJSE_SE_EEES9_SG_JZNS1_25segmented_radix_sort_implINS0_14default_configELb0EPKlPlSM_SN_N2at6native12_GLOBAL__N_18offset_tEEE10hipError_tPvRmT1_PNSt15iterator_traitsISV_E10value_typeET2_T3_PNSW_IS11_E10value_typeET4_jRbjT5_S17_jjP12ihipStream_tbEUljE_EEESS_ST_SU_S11_S15_S17_T6_T7_T9_mT8_S19_bDpT10_ENKUlT_T0_E_clISt17integral_constantIbLb1EES1L_IbLb0EEEEDaS1H_S1I_EUlS1H_E_NS1_11comp_targetILNS1_3genE8ELNS1_11target_archE1030ELNS1_3gpuE2ELNS1_3repE0EEENS1_30default_config_static_selectorELNS0_4arch9wavefront6targetE0EEEvSV_, .Lfunc_end794-_ZN7rocprim17ROCPRIM_400000_NS6detail17trampoline_kernelINS0_13select_configILj256ELj13ELNS0_17block_load_methodE3ELS4_3ELS4_3ELNS0_20block_scan_algorithmE0ELj4294967295EEENS1_25partition_config_selectorILNS1_17partition_subalgoE3EjNS0_10empty_typeEbEEZZNS1_14partition_implILS8_3ELb0ES6_jNS0_17counting_iteratorIjlEEPS9_SE_NS0_5tupleIJPjSE_EEENSF_IJSE_SE_EEES9_SG_JZNS1_25segmented_radix_sort_implINS0_14default_configELb0EPKlPlSM_SN_N2at6native12_GLOBAL__N_18offset_tEEE10hipError_tPvRmT1_PNSt15iterator_traitsISV_E10value_typeET2_T3_PNSW_IS11_E10value_typeET4_jRbjT5_S17_jjP12ihipStream_tbEUljE_EEESS_ST_SU_S11_S15_S17_T6_T7_T9_mT8_S19_bDpT10_ENKUlT_T0_E_clISt17integral_constantIbLb1EES1L_IbLb0EEEEDaS1H_S1I_EUlS1H_E_NS1_11comp_targetILNS1_3genE8ELNS1_11target_archE1030ELNS1_3gpuE2ELNS1_3repE0EEENS1_30default_config_static_selectorELNS0_4arch9wavefront6targetE0EEEvSV_
                                        ; -- End function
	.set _ZN7rocprim17ROCPRIM_400000_NS6detail17trampoline_kernelINS0_13select_configILj256ELj13ELNS0_17block_load_methodE3ELS4_3ELS4_3ELNS0_20block_scan_algorithmE0ELj4294967295EEENS1_25partition_config_selectorILNS1_17partition_subalgoE3EjNS0_10empty_typeEbEEZZNS1_14partition_implILS8_3ELb0ES6_jNS0_17counting_iteratorIjlEEPS9_SE_NS0_5tupleIJPjSE_EEENSF_IJSE_SE_EEES9_SG_JZNS1_25segmented_radix_sort_implINS0_14default_configELb0EPKlPlSM_SN_N2at6native12_GLOBAL__N_18offset_tEEE10hipError_tPvRmT1_PNSt15iterator_traitsISV_E10value_typeET2_T3_PNSW_IS11_E10value_typeET4_jRbjT5_S17_jjP12ihipStream_tbEUljE_EEESS_ST_SU_S11_S15_S17_T6_T7_T9_mT8_S19_bDpT10_ENKUlT_T0_E_clISt17integral_constantIbLb1EES1L_IbLb0EEEEDaS1H_S1I_EUlS1H_E_NS1_11comp_targetILNS1_3genE8ELNS1_11target_archE1030ELNS1_3gpuE2ELNS1_3repE0EEENS1_30default_config_static_selectorELNS0_4arch9wavefront6targetE0EEEvSV_.num_vgpr, 0
	.set _ZN7rocprim17ROCPRIM_400000_NS6detail17trampoline_kernelINS0_13select_configILj256ELj13ELNS0_17block_load_methodE3ELS4_3ELS4_3ELNS0_20block_scan_algorithmE0ELj4294967295EEENS1_25partition_config_selectorILNS1_17partition_subalgoE3EjNS0_10empty_typeEbEEZZNS1_14partition_implILS8_3ELb0ES6_jNS0_17counting_iteratorIjlEEPS9_SE_NS0_5tupleIJPjSE_EEENSF_IJSE_SE_EEES9_SG_JZNS1_25segmented_radix_sort_implINS0_14default_configELb0EPKlPlSM_SN_N2at6native12_GLOBAL__N_18offset_tEEE10hipError_tPvRmT1_PNSt15iterator_traitsISV_E10value_typeET2_T3_PNSW_IS11_E10value_typeET4_jRbjT5_S17_jjP12ihipStream_tbEUljE_EEESS_ST_SU_S11_S15_S17_T6_T7_T9_mT8_S19_bDpT10_ENKUlT_T0_E_clISt17integral_constantIbLb1EES1L_IbLb0EEEEDaS1H_S1I_EUlS1H_E_NS1_11comp_targetILNS1_3genE8ELNS1_11target_archE1030ELNS1_3gpuE2ELNS1_3repE0EEENS1_30default_config_static_selectorELNS0_4arch9wavefront6targetE0EEEvSV_.num_agpr, 0
	.set _ZN7rocprim17ROCPRIM_400000_NS6detail17trampoline_kernelINS0_13select_configILj256ELj13ELNS0_17block_load_methodE3ELS4_3ELS4_3ELNS0_20block_scan_algorithmE0ELj4294967295EEENS1_25partition_config_selectorILNS1_17partition_subalgoE3EjNS0_10empty_typeEbEEZZNS1_14partition_implILS8_3ELb0ES6_jNS0_17counting_iteratorIjlEEPS9_SE_NS0_5tupleIJPjSE_EEENSF_IJSE_SE_EEES9_SG_JZNS1_25segmented_radix_sort_implINS0_14default_configELb0EPKlPlSM_SN_N2at6native12_GLOBAL__N_18offset_tEEE10hipError_tPvRmT1_PNSt15iterator_traitsISV_E10value_typeET2_T3_PNSW_IS11_E10value_typeET4_jRbjT5_S17_jjP12ihipStream_tbEUljE_EEESS_ST_SU_S11_S15_S17_T6_T7_T9_mT8_S19_bDpT10_ENKUlT_T0_E_clISt17integral_constantIbLb1EES1L_IbLb0EEEEDaS1H_S1I_EUlS1H_E_NS1_11comp_targetILNS1_3genE8ELNS1_11target_archE1030ELNS1_3gpuE2ELNS1_3repE0EEENS1_30default_config_static_selectorELNS0_4arch9wavefront6targetE0EEEvSV_.numbered_sgpr, 0
	.set _ZN7rocprim17ROCPRIM_400000_NS6detail17trampoline_kernelINS0_13select_configILj256ELj13ELNS0_17block_load_methodE3ELS4_3ELS4_3ELNS0_20block_scan_algorithmE0ELj4294967295EEENS1_25partition_config_selectorILNS1_17partition_subalgoE3EjNS0_10empty_typeEbEEZZNS1_14partition_implILS8_3ELb0ES6_jNS0_17counting_iteratorIjlEEPS9_SE_NS0_5tupleIJPjSE_EEENSF_IJSE_SE_EEES9_SG_JZNS1_25segmented_radix_sort_implINS0_14default_configELb0EPKlPlSM_SN_N2at6native12_GLOBAL__N_18offset_tEEE10hipError_tPvRmT1_PNSt15iterator_traitsISV_E10value_typeET2_T3_PNSW_IS11_E10value_typeET4_jRbjT5_S17_jjP12ihipStream_tbEUljE_EEESS_ST_SU_S11_S15_S17_T6_T7_T9_mT8_S19_bDpT10_ENKUlT_T0_E_clISt17integral_constantIbLb1EES1L_IbLb0EEEEDaS1H_S1I_EUlS1H_E_NS1_11comp_targetILNS1_3genE8ELNS1_11target_archE1030ELNS1_3gpuE2ELNS1_3repE0EEENS1_30default_config_static_selectorELNS0_4arch9wavefront6targetE0EEEvSV_.num_named_barrier, 0
	.set _ZN7rocprim17ROCPRIM_400000_NS6detail17trampoline_kernelINS0_13select_configILj256ELj13ELNS0_17block_load_methodE3ELS4_3ELS4_3ELNS0_20block_scan_algorithmE0ELj4294967295EEENS1_25partition_config_selectorILNS1_17partition_subalgoE3EjNS0_10empty_typeEbEEZZNS1_14partition_implILS8_3ELb0ES6_jNS0_17counting_iteratorIjlEEPS9_SE_NS0_5tupleIJPjSE_EEENSF_IJSE_SE_EEES9_SG_JZNS1_25segmented_radix_sort_implINS0_14default_configELb0EPKlPlSM_SN_N2at6native12_GLOBAL__N_18offset_tEEE10hipError_tPvRmT1_PNSt15iterator_traitsISV_E10value_typeET2_T3_PNSW_IS11_E10value_typeET4_jRbjT5_S17_jjP12ihipStream_tbEUljE_EEESS_ST_SU_S11_S15_S17_T6_T7_T9_mT8_S19_bDpT10_ENKUlT_T0_E_clISt17integral_constantIbLb1EES1L_IbLb0EEEEDaS1H_S1I_EUlS1H_E_NS1_11comp_targetILNS1_3genE8ELNS1_11target_archE1030ELNS1_3gpuE2ELNS1_3repE0EEENS1_30default_config_static_selectorELNS0_4arch9wavefront6targetE0EEEvSV_.private_seg_size, 0
	.set _ZN7rocprim17ROCPRIM_400000_NS6detail17trampoline_kernelINS0_13select_configILj256ELj13ELNS0_17block_load_methodE3ELS4_3ELS4_3ELNS0_20block_scan_algorithmE0ELj4294967295EEENS1_25partition_config_selectorILNS1_17partition_subalgoE3EjNS0_10empty_typeEbEEZZNS1_14partition_implILS8_3ELb0ES6_jNS0_17counting_iteratorIjlEEPS9_SE_NS0_5tupleIJPjSE_EEENSF_IJSE_SE_EEES9_SG_JZNS1_25segmented_radix_sort_implINS0_14default_configELb0EPKlPlSM_SN_N2at6native12_GLOBAL__N_18offset_tEEE10hipError_tPvRmT1_PNSt15iterator_traitsISV_E10value_typeET2_T3_PNSW_IS11_E10value_typeET4_jRbjT5_S17_jjP12ihipStream_tbEUljE_EEESS_ST_SU_S11_S15_S17_T6_T7_T9_mT8_S19_bDpT10_ENKUlT_T0_E_clISt17integral_constantIbLb1EES1L_IbLb0EEEEDaS1H_S1I_EUlS1H_E_NS1_11comp_targetILNS1_3genE8ELNS1_11target_archE1030ELNS1_3gpuE2ELNS1_3repE0EEENS1_30default_config_static_selectorELNS0_4arch9wavefront6targetE0EEEvSV_.uses_vcc, 0
	.set _ZN7rocprim17ROCPRIM_400000_NS6detail17trampoline_kernelINS0_13select_configILj256ELj13ELNS0_17block_load_methodE3ELS4_3ELS4_3ELNS0_20block_scan_algorithmE0ELj4294967295EEENS1_25partition_config_selectorILNS1_17partition_subalgoE3EjNS0_10empty_typeEbEEZZNS1_14partition_implILS8_3ELb0ES6_jNS0_17counting_iteratorIjlEEPS9_SE_NS0_5tupleIJPjSE_EEENSF_IJSE_SE_EEES9_SG_JZNS1_25segmented_radix_sort_implINS0_14default_configELb0EPKlPlSM_SN_N2at6native12_GLOBAL__N_18offset_tEEE10hipError_tPvRmT1_PNSt15iterator_traitsISV_E10value_typeET2_T3_PNSW_IS11_E10value_typeET4_jRbjT5_S17_jjP12ihipStream_tbEUljE_EEESS_ST_SU_S11_S15_S17_T6_T7_T9_mT8_S19_bDpT10_ENKUlT_T0_E_clISt17integral_constantIbLb1EES1L_IbLb0EEEEDaS1H_S1I_EUlS1H_E_NS1_11comp_targetILNS1_3genE8ELNS1_11target_archE1030ELNS1_3gpuE2ELNS1_3repE0EEENS1_30default_config_static_selectorELNS0_4arch9wavefront6targetE0EEEvSV_.uses_flat_scratch, 0
	.set _ZN7rocprim17ROCPRIM_400000_NS6detail17trampoline_kernelINS0_13select_configILj256ELj13ELNS0_17block_load_methodE3ELS4_3ELS4_3ELNS0_20block_scan_algorithmE0ELj4294967295EEENS1_25partition_config_selectorILNS1_17partition_subalgoE3EjNS0_10empty_typeEbEEZZNS1_14partition_implILS8_3ELb0ES6_jNS0_17counting_iteratorIjlEEPS9_SE_NS0_5tupleIJPjSE_EEENSF_IJSE_SE_EEES9_SG_JZNS1_25segmented_radix_sort_implINS0_14default_configELb0EPKlPlSM_SN_N2at6native12_GLOBAL__N_18offset_tEEE10hipError_tPvRmT1_PNSt15iterator_traitsISV_E10value_typeET2_T3_PNSW_IS11_E10value_typeET4_jRbjT5_S17_jjP12ihipStream_tbEUljE_EEESS_ST_SU_S11_S15_S17_T6_T7_T9_mT8_S19_bDpT10_ENKUlT_T0_E_clISt17integral_constantIbLb1EES1L_IbLb0EEEEDaS1H_S1I_EUlS1H_E_NS1_11comp_targetILNS1_3genE8ELNS1_11target_archE1030ELNS1_3gpuE2ELNS1_3repE0EEENS1_30default_config_static_selectorELNS0_4arch9wavefront6targetE0EEEvSV_.has_dyn_sized_stack, 0
	.set _ZN7rocprim17ROCPRIM_400000_NS6detail17trampoline_kernelINS0_13select_configILj256ELj13ELNS0_17block_load_methodE3ELS4_3ELS4_3ELNS0_20block_scan_algorithmE0ELj4294967295EEENS1_25partition_config_selectorILNS1_17partition_subalgoE3EjNS0_10empty_typeEbEEZZNS1_14partition_implILS8_3ELb0ES6_jNS0_17counting_iteratorIjlEEPS9_SE_NS0_5tupleIJPjSE_EEENSF_IJSE_SE_EEES9_SG_JZNS1_25segmented_radix_sort_implINS0_14default_configELb0EPKlPlSM_SN_N2at6native12_GLOBAL__N_18offset_tEEE10hipError_tPvRmT1_PNSt15iterator_traitsISV_E10value_typeET2_T3_PNSW_IS11_E10value_typeET4_jRbjT5_S17_jjP12ihipStream_tbEUljE_EEESS_ST_SU_S11_S15_S17_T6_T7_T9_mT8_S19_bDpT10_ENKUlT_T0_E_clISt17integral_constantIbLb1EES1L_IbLb0EEEEDaS1H_S1I_EUlS1H_E_NS1_11comp_targetILNS1_3genE8ELNS1_11target_archE1030ELNS1_3gpuE2ELNS1_3repE0EEENS1_30default_config_static_selectorELNS0_4arch9wavefront6targetE0EEEvSV_.has_recursion, 0
	.set _ZN7rocprim17ROCPRIM_400000_NS6detail17trampoline_kernelINS0_13select_configILj256ELj13ELNS0_17block_load_methodE3ELS4_3ELS4_3ELNS0_20block_scan_algorithmE0ELj4294967295EEENS1_25partition_config_selectorILNS1_17partition_subalgoE3EjNS0_10empty_typeEbEEZZNS1_14partition_implILS8_3ELb0ES6_jNS0_17counting_iteratorIjlEEPS9_SE_NS0_5tupleIJPjSE_EEENSF_IJSE_SE_EEES9_SG_JZNS1_25segmented_radix_sort_implINS0_14default_configELb0EPKlPlSM_SN_N2at6native12_GLOBAL__N_18offset_tEEE10hipError_tPvRmT1_PNSt15iterator_traitsISV_E10value_typeET2_T3_PNSW_IS11_E10value_typeET4_jRbjT5_S17_jjP12ihipStream_tbEUljE_EEESS_ST_SU_S11_S15_S17_T6_T7_T9_mT8_S19_bDpT10_ENKUlT_T0_E_clISt17integral_constantIbLb1EES1L_IbLb0EEEEDaS1H_S1I_EUlS1H_E_NS1_11comp_targetILNS1_3genE8ELNS1_11target_archE1030ELNS1_3gpuE2ELNS1_3repE0EEENS1_30default_config_static_selectorELNS0_4arch9wavefront6targetE0EEEvSV_.has_indirect_call, 0
	.section	.AMDGPU.csdata,"",@progbits
; Kernel info:
; codeLenInByte = 0
; TotalNumSgprs: 0
; NumVgprs: 0
; ScratchSize: 0
; MemoryBound: 0
; FloatMode: 240
; IeeeMode: 1
; LDSByteSize: 0 bytes/workgroup (compile time only)
; SGPRBlocks: 0
; VGPRBlocks: 0
; NumSGPRsForWavesPerEU: 1
; NumVGPRsForWavesPerEU: 1
; NamedBarCnt: 0
; Occupancy: 16
; WaveLimiterHint : 0
; COMPUTE_PGM_RSRC2:SCRATCH_EN: 0
; COMPUTE_PGM_RSRC2:USER_SGPR: 2
; COMPUTE_PGM_RSRC2:TRAP_HANDLER: 0
; COMPUTE_PGM_RSRC2:TGID_X_EN: 1
; COMPUTE_PGM_RSRC2:TGID_Y_EN: 0
; COMPUTE_PGM_RSRC2:TGID_Z_EN: 0
; COMPUTE_PGM_RSRC2:TIDIG_COMP_CNT: 0
	.section	.text._ZN7rocprim17ROCPRIM_400000_NS6detail17trampoline_kernelINS0_13select_configILj256ELj13ELNS0_17block_load_methodE3ELS4_3ELS4_3ELNS0_20block_scan_algorithmE0ELj4294967295EEENS1_25partition_config_selectorILNS1_17partition_subalgoE3EjNS0_10empty_typeEbEEZZNS1_14partition_implILS8_3ELb0ES6_jNS0_17counting_iteratorIjlEEPS9_SE_NS0_5tupleIJPjSE_EEENSF_IJSE_SE_EEES9_SG_JZNS1_25segmented_radix_sort_implINS0_14default_configELb0EPKlPlSM_SN_N2at6native12_GLOBAL__N_18offset_tEEE10hipError_tPvRmT1_PNSt15iterator_traitsISV_E10value_typeET2_T3_PNSW_IS11_E10value_typeET4_jRbjT5_S17_jjP12ihipStream_tbEUljE_EEESS_ST_SU_S11_S15_S17_T6_T7_T9_mT8_S19_bDpT10_ENKUlT_T0_E_clISt17integral_constantIbLb0EES1L_IbLb1EEEEDaS1H_S1I_EUlS1H_E_NS1_11comp_targetILNS1_3genE0ELNS1_11target_archE4294967295ELNS1_3gpuE0ELNS1_3repE0EEENS1_30default_config_static_selectorELNS0_4arch9wavefront6targetE0EEEvSV_,"axG",@progbits,_ZN7rocprim17ROCPRIM_400000_NS6detail17trampoline_kernelINS0_13select_configILj256ELj13ELNS0_17block_load_methodE3ELS4_3ELS4_3ELNS0_20block_scan_algorithmE0ELj4294967295EEENS1_25partition_config_selectorILNS1_17partition_subalgoE3EjNS0_10empty_typeEbEEZZNS1_14partition_implILS8_3ELb0ES6_jNS0_17counting_iteratorIjlEEPS9_SE_NS0_5tupleIJPjSE_EEENSF_IJSE_SE_EEES9_SG_JZNS1_25segmented_radix_sort_implINS0_14default_configELb0EPKlPlSM_SN_N2at6native12_GLOBAL__N_18offset_tEEE10hipError_tPvRmT1_PNSt15iterator_traitsISV_E10value_typeET2_T3_PNSW_IS11_E10value_typeET4_jRbjT5_S17_jjP12ihipStream_tbEUljE_EEESS_ST_SU_S11_S15_S17_T6_T7_T9_mT8_S19_bDpT10_ENKUlT_T0_E_clISt17integral_constantIbLb0EES1L_IbLb1EEEEDaS1H_S1I_EUlS1H_E_NS1_11comp_targetILNS1_3genE0ELNS1_11target_archE4294967295ELNS1_3gpuE0ELNS1_3repE0EEENS1_30default_config_static_selectorELNS0_4arch9wavefront6targetE0EEEvSV_,comdat
	.globl	_ZN7rocprim17ROCPRIM_400000_NS6detail17trampoline_kernelINS0_13select_configILj256ELj13ELNS0_17block_load_methodE3ELS4_3ELS4_3ELNS0_20block_scan_algorithmE0ELj4294967295EEENS1_25partition_config_selectorILNS1_17partition_subalgoE3EjNS0_10empty_typeEbEEZZNS1_14partition_implILS8_3ELb0ES6_jNS0_17counting_iteratorIjlEEPS9_SE_NS0_5tupleIJPjSE_EEENSF_IJSE_SE_EEES9_SG_JZNS1_25segmented_radix_sort_implINS0_14default_configELb0EPKlPlSM_SN_N2at6native12_GLOBAL__N_18offset_tEEE10hipError_tPvRmT1_PNSt15iterator_traitsISV_E10value_typeET2_T3_PNSW_IS11_E10value_typeET4_jRbjT5_S17_jjP12ihipStream_tbEUljE_EEESS_ST_SU_S11_S15_S17_T6_T7_T9_mT8_S19_bDpT10_ENKUlT_T0_E_clISt17integral_constantIbLb0EES1L_IbLb1EEEEDaS1H_S1I_EUlS1H_E_NS1_11comp_targetILNS1_3genE0ELNS1_11target_archE4294967295ELNS1_3gpuE0ELNS1_3repE0EEENS1_30default_config_static_selectorELNS0_4arch9wavefront6targetE0EEEvSV_ ; -- Begin function _ZN7rocprim17ROCPRIM_400000_NS6detail17trampoline_kernelINS0_13select_configILj256ELj13ELNS0_17block_load_methodE3ELS4_3ELS4_3ELNS0_20block_scan_algorithmE0ELj4294967295EEENS1_25partition_config_selectorILNS1_17partition_subalgoE3EjNS0_10empty_typeEbEEZZNS1_14partition_implILS8_3ELb0ES6_jNS0_17counting_iteratorIjlEEPS9_SE_NS0_5tupleIJPjSE_EEENSF_IJSE_SE_EEES9_SG_JZNS1_25segmented_radix_sort_implINS0_14default_configELb0EPKlPlSM_SN_N2at6native12_GLOBAL__N_18offset_tEEE10hipError_tPvRmT1_PNSt15iterator_traitsISV_E10value_typeET2_T3_PNSW_IS11_E10value_typeET4_jRbjT5_S17_jjP12ihipStream_tbEUljE_EEESS_ST_SU_S11_S15_S17_T6_T7_T9_mT8_S19_bDpT10_ENKUlT_T0_E_clISt17integral_constantIbLb0EES1L_IbLb1EEEEDaS1H_S1I_EUlS1H_E_NS1_11comp_targetILNS1_3genE0ELNS1_11target_archE4294967295ELNS1_3gpuE0ELNS1_3repE0EEENS1_30default_config_static_selectorELNS0_4arch9wavefront6targetE0EEEvSV_
	.p2align	8
	.type	_ZN7rocprim17ROCPRIM_400000_NS6detail17trampoline_kernelINS0_13select_configILj256ELj13ELNS0_17block_load_methodE3ELS4_3ELS4_3ELNS0_20block_scan_algorithmE0ELj4294967295EEENS1_25partition_config_selectorILNS1_17partition_subalgoE3EjNS0_10empty_typeEbEEZZNS1_14partition_implILS8_3ELb0ES6_jNS0_17counting_iteratorIjlEEPS9_SE_NS0_5tupleIJPjSE_EEENSF_IJSE_SE_EEES9_SG_JZNS1_25segmented_radix_sort_implINS0_14default_configELb0EPKlPlSM_SN_N2at6native12_GLOBAL__N_18offset_tEEE10hipError_tPvRmT1_PNSt15iterator_traitsISV_E10value_typeET2_T3_PNSW_IS11_E10value_typeET4_jRbjT5_S17_jjP12ihipStream_tbEUljE_EEESS_ST_SU_S11_S15_S17_T6_T7_T9_mT8_S19_bDpT10_ENKUlT_T0_E_clISt17integral_constantIbLb0EES1L_IbLb1EEEEDaS1H_S1I_EUlS1H_E_NS1_11comp_targetILNS1_3genE0ELNS1_11target_archE4294967295ELNS1_3gpuE0ELNS1_3repE0EEENS1_30default_config_static_selectorELNS0_4arch9wavefront6targetE0EEEvSV_,@function
_ZN7rocprim17ROCPRIM_400000_NS6detail17trampoline_kernelINS0_13select_configILj256ELj13ELNS0_17block_load_methodE3ELS4_3ELS4_3ELNS0_20block_scan_algorithmE0ELj4294967295EEENS1_25partition_config_selectorILNS1_17partition_subalgoE3EjNS0_10empty_typeEbEEZZNS1_14partition_implILS8_3ELb0ES6_jNS0_17counting_iteratorIjlEEPS9_SE_NS0_5tupleIJPjSE_EEENSF_IJSE_SE_EEES9_SG_JZNS1_25segmented_radix_sort_implINS0_14default_configELb0EPKlPlSM_SN_N2at6native12_GLOBAL__N_18offset_tEEE10hipError_tPvRmT1_PNSt15iterator_traitsISV_E10value_typeET2_T3_PNSW_IS11_E10value_typeET4_jRbjT5_S17_jjP12ihipStream_tbEUljE_EEESS_ST_SU_S11_S15_S17_T6_T7_T9_mT8_S19_bDpT10_ENKUlT_T0_E_clISt17integral_constantIbLb0EES1L_IbLb1EEEEDaS1H_S1I_EUlS1H_E_NS1_11comp_targetILNS1_3genE0ELNS1_11target_archE4294967295ELNS1_3gpuE0ELNS1_3repE0EEENS1_30default_config_static_selectorELNS0_4arch9wavefront6targetE0EEEvSV_: ; @_ZN7rocprim17ROCPRIM_400000_NS6detail17trampoline_kernelINS0_13select_configILj256ELj13ELNS0_17block_load_methodE3ELS4_3ELS4_3ELNS0_20block_scan_algorithmE0ELj4294967295EEENS1_25partition_config_selectorILNS1_17partition_subalgoE3EjNS0_10empty_typeEbEEZZNS1_14partition_implILS8_3ELb0ES6_jNS0_17counting_iteratorIjlEEPS9_SE_NS0_5tupleIJPjSE_EEENSF_IJSE_SE_EEES9_SG_JZNS1_25segmented_radix_sort_implINS0_14default_configELb0EPKlPlSM_SN_N2at6native12_GLOBAL__N_18offset_tEEE10hipError_tPvRmT1_PNSt15iterator_traitsISV_E10value_typeET2_T3_PNSW_IS11_E10value_typeET4_jRbjT5_S17_jjP12ihipStream_tbEUljE_EEESS_ST_SU_S11_S15_S17_T6_T7_T9_mT8_S19_bDpT10_ENKUlT_T0_E_clISt17integral_constantIbLb0EES1L_IbLb1EEEEDaS1H_S1I_EUlS1H_E_NS1_11comp_targetILNS1_3genE0ELNS1_11target_archE4294967295ELNS1_3gpuE0ELNS1_3repE0EEENS1_30default_config_static_selectorELNS0_4arch9wavefront6targetE0EEEvSV_
; %bb.0:
	s_clause 0x5
	s_load_b64 s[16:17], s[0:1], 0x10
	s_load_b128 s[12:15], s[0:1], 0x48
	s_load_b64 s[18:19], s[0:1], 0x58
	s_load_b64 s[20:21], s[0:1], 0x68
	s_load_b32 s3, s[0:1], 0x90
	s_load_b128 s[4:7], s[0:1], 0x80
	v_cmp_eq_u32_e64 s2, 0, v0
	s_and_saveexec_b32 s8, s2
	s_cbranch_execz .LBB795_4
; %bb.1:
	s_mov_b32 s10, exec_lo
	s_mov_b32 s9, exec_lo
	v_mbcnt_lo_u32_b32 v1, s10, 0
                                        ; implicit-def: $vgpr2
	s_delay_alu instid0(VALU_DEP_1)
	v_cmpx_eq_u32_e32 0, v1
	s_cbranch_execz .LBB795_3
; %bb.2:
	s_load_b64 s[22:23], s[0:1], 0x78
	s_bcnt1_i32_b32 s10, s10
	s_delay_alu instid0(SALU_CYCLE_1)
	v_dual_mov_b32 v2, 0 :: v_dual_mov_b32 v3, s10
	s_wait_xcnt 0x0
	s_wait_kmcnt 0x0
	global_atomic_add_u32 v2, v2, v3, s[22:23] th:TH_ATOMIC_RETURN scope:SCOPE_DEV
.LBB795_3:
	s_wait_xcnt 0x0
	s_or_b32 exec_lo, exec_lo, s9
	s_wait_loadcnt 0x0
	v_readfirstlane_b32 s9, v2
	s_delay_alu instid0(VALU_DEP_1)
	v_dual_mov_b32 v2, 0 :: v_dual_add_nc_u32 v1, s9, v1
	ds_store_b32 v2, v1
.LBB795_4:
	s_or_b32 exec_lo, exec_lo, s8
	v_dual_mov_b32 v1, 0 :: v_dual_lshlrev_b32 v19, 2, v0
	s_clause 0x2
	s_load_b32 s8, s[0:1], 0x8
	s_load_b64 s[10:11], s[0:1], 0x28
	s_load_b32 s9, s[0:1], 0x70
	s_wait_dscnt 0x0
	s_barrier_signal -1
	s_barrier_wait -1
	ds_load_b32 v4, v1
	s_wait_dscnt 0x0
	s_barrier_signal -1
	s_barrier_wait -1
	s_wait_kmcnt 0x0
	global_load_b64 v[42:43], v1, s[14:15]
	s_mov_b32 s1, 0
	s_add_co_i32 s8, s8, s16
	s_mul_i32 s0, s9, 0xd00
	s_add_co_i32 s9, s9, -1
	s_wait_xcnt 0x0
	s_add_nc_u64 s[14:15], s[16:17], s[0:1]
	s_add_co_i32 s0, s0, s16
	v_cmp_gt_u64_e64 s1, s[18:19], s[14:15]
	v_readfirstlane_b32 s23, v4
	s_sub_co_i32 s22, s18, s0
	v_cmp_ne_u32_e32 vcc_lo, s9, v4
	s_addk_co_i32 s22, 0xd00
	s_mov_b32 s15, -1
	s_cmp_eq_u32 s23, s9
	s_mul_i32 s14, s23, 0xd00
	s_cselect_b32 s9, -1, 0
	s_or_b32 s1, s1, vcc_lo
	s_delay_alu instid0(SALU_CYCLE_1)
	s_and_b32 vcc_lo, exec_lo, s1
	s_cbranch_vccz .LBB795_6
; %bb.5:
	v_add3_u32 v1, s14, s8, v0
	s_mov_b32 s15, 0
	s_delay_alu instid0(VALU_DEP_1)
	v_add_nc_u32_e32 v2, 0x100, v1
	v_add_nc_u32_e32 v3, 0x200, v1
	;; [unrolled: 1-line block ×12, first 2 shown]
	ds_store_2addr_stride64_b32 v19, v1, v2 offset1:4
	ds_store_2addr_stride64_b32 v19, v3, v5 offset0:8 offset1:12
	ds_store_2addr_stride64_b32 v19, v6, v7 offset0:16 offset1:20
	ds_store_2addr_stride64_b32 v19, v8, v9 offset0:24 offset1:28
	ds_store_2addr_stride64_b32 v19, v10, v11 offset0:32 offset1:36
	ds_store_2addr_stride64_b32 v19, v12, v13 offset0:40 offset1:44
	ds_store_b32 v19, v14 offset:12288
	s_wait_loadcnt_dscnt 0x0
	s_barrier_signal -1
	s_barrier_wait -1
.LBB795_6:
	v_cmp_gt_u32_e64 s0, s22, v0
	v_or_b32_e32 v40, 0x100, v0
	v_or_b32_e32 v38, 0x200, v0
	;; [unrolled: 1-line block ×12, first 2 shown]
	s_and_not1_b32 vcc_lo, exec_lo, s15
	s_cbranch_vccnz .LBB795_8
; %bb.7:
	s_add_co_i32 s8, s14, s8
	v_cmp_gt_u32_e32 vcc_lo, s22, v40
	v_dual_add_nc_u32 v1, s8, v0 :: v_dual_add_nc_u32 v3, s8, v38
	v_dual_add_nc_u32 v2, s8, v40 :: v_dual_add_nc_u32 v8, s8, v30
	s_delay_alu instid0(VALU_DEP_2) | instskip(NEXT) | instid1(VALU_DEP_2)
	v_dual_add_nc_u32 v9, s8, v28 :: v_dual_cndmask_b32 v1, 0, v1, s0
	v_dual_cndmask_b32 v2, 0, v2 :: v_dual_add_nc_u32 v5, s8, v36
	v_cmp_gt_u32_e32 vcc_lo, s22, v38
	v_dual_add_nc_u32 v12, s8, v22 :: v_dual_add_nc_u32 v13, s8, v20
	v_dual_add_nc_u32 v6, s8, v34 :: v_dual_add_nc_u32 v7, s8, v32
	v_cndmask_b32_e32 v3, 0, v3, vcc_lo
	v_cmp_gt_u32_e32 vcc_lo, s22, v36
	v_dual_add_nc_u32 v10, s8, v26 :: v_dual_add_nc_u32 v11, s8, v24
	v_cndmask_b32_e32 v5, 0, v5, vcc_lo
	v_cmp_gt_u32_e32 vcc_lo, s22, v34
	v_cndmask_b32_e32 v6, 0, v6, vcc_lo
	v_cmp_gt_u32_e32 vcc_lo, s22, v32
	v_cndmask_b32_e32 v7, 0, v7, vcc_lo
	v_cmp_gt_u32_e32 vcc_lo, s22, v30
	v_cndmask_b32_e32 v8, 0, v8, vcc_lo
	v_cmp_gt_u32_e32 vcc_lo, s22, v28
	v_cndmask_b32_e32 v9, 0, v9, vcc_lo
	v_cmp_gt_u32_e32 vcc_lo, s22, v26
	v_cndmask_b32_e32 v10, 0, v10, vcc_lo
	v_cmp_gt_u32_e32 vcc_lo, s22, v24
	v_cndmask_b32_e32 v11, 0, v11, vcc_lo
	v_cmp_gt_u32_e32 vcc_lo, s22, v22
	v_dual_add_nc_u32 v14, s8, v18 :: v_dual_cndmask_b32 v12, 0, v12, vcc_lo
	v_cmp_gt_u32_e32 vcc_lo, s22, v20
	v_cndmask_b32_e32 v13, 0, v13, vcc_lo
	v_cmp_gt_u32_e32 vcc_lo, s22, v18
	s_delay_alu instid0(VALU_DEP_4)
	v_cndmask_b32_e32 v14, 0, v14, vcc_lo
	ds_store_2addr_stride64_b32 v19, v1, v2 offset1:4
	ds_store_2addr_stride64_b32 v19, v3, v5 offset0:8 offset1:12
	ds_store_2addr_stride64_b32 v19, v6, v7 offset0:16 offset1:20
	;; [unrolled: 1-line block ×5, first 2 shown]
	ds_store_b32 v19, v14 offset:12288
	s_wait_loadcnt_dscnt 0x0
	s_barrier_signal -1
	s_barrier_wait -1
.LBB795_8:
	v_mul_u32_u24_e32 v23, 13, v0
	s_wait_loadcnt 0x0
	v_cndmask_b32_e64 v21, 0, 1, s1
	s_and_not1_b32 vcc_lo, exec_lo, s1
	s_delay_alu instid0(VALU_DEP_2)
	v_lshlrev_b32_e32 v2, 2, v23
	ds_load_2addr_b32 v[52:53], v2 offset0:2 offset1:3
	ds_load_2addr_b32 v[48:49], v2 offset0:6 offset1:7
	;; [unrolled: 1-line block ×3, first 2 shown]
	ds_load_2addr_b32 v[54:55], v2 offset1:1
	ds_load_2addr_b32 v[44:45], v2 offset0:10 offset1:11
	ds_load_b32 v1, v2 offset:48
	ds_load_2addr_b32 v[46:47], v2 offset0:8 offset1:9
	s_wait_dscnt 0x0
	s_barrier_signal -1
	s_barrier_wait -1
	s_cbranch_vccnz .LBB795_10
; %bb.9:
	v_dual_add_nc_u32 v2, s5, v53 :: v_dual_add_nc_u32 v3, s5, v55
	v_dual_add_nc_u32 v5, s5, v54 :: v_dual_add_nc_u32 v6, s5, v52
	;; [unrolled: 1-line block ×4, first 2 shown]
	s_delay_alu instid0(VALU_DEP_3) | instskip(NEXT) | instid1(VALU_DEP_4)
	v_mul_lo_u32 v6, v6, s4
	v_mul_lo_u32 v5, v5, s4
	;; [unrolled: 1-line block ×8, first 2 shown]
	v_dual_add_nc_u32 v11, s5, v50 :: v_dual_add_nc_u32 v12, s7, v50
	v_dual_add_nc_u32 v13, s5, v48 :: v_dual_add_nc_u32 v15, s7, v45
	v_add_nc_u32_e32 v16, s5, v44
	s_delay_alu instid0(VALU_DEP_3) | instskip(NEXT) | instid1(VALU_DEP_4)
	v_mul_lo_u32 v11, v11, s4
	v_mul_lo_u32 v12, v12, s6
	v_dual_sub_nc_u32 v2, v2, v7 :: v_dual_sub_nc_u32 v3, v3, v8
	v_dual_sub_nc_u32 v5, v5, v9 :: v_dual_sub_nc_u32 v6, v6, v10
	v_dual_add_nc_u32 v7, s5, v51 :: v_dual_add_nc_u32 v8, s7, v51
	v_dual_add_nc_u32 v9, s5, v49 :: v_dual_add_nc_u32 v10, s7, v49
	s_delay_alu instid0(VALU_DEP_4) | instskip(NEXT) | instid1(VALU_DEP_3)
	v_cmp_lt_u32_e32 vcc_lo, s3, v2
	v_mul_lo_u32 v7, v7, s4
	s_delay_alu instid0(VALU_DEP_4) | instskip(NEXT) | instid1(VALU_DEP_4)
	v_mul_lo_u32 v8, v8, s6
	v_mul_lo_u32 v9, v9, s4
	;; [unrolled: 1-line block ×3, first 2 shown]
	v_cndmask_b32_e64 v2, 0, 1, vcc_lo
	v_cmp_lt_u32_e32 vcc_lo, s3, v3
	v_dual_add_nc_u32 v17, s7, v47 :: v_dual_add_nc_u32 v25, s7, v46
	v_mul_lo_u32 v15, v15, s6
	v_add_nc_u32_e32 v14, s5, v46
	v_cndmask_b32_e64 v3, 0, 1, vcc_lo
	s_delay_alu instid0(VALU_DEP_4) | instskip(SKIP_4) | instid1(VALU_DEP_3)
	v_mul_lo_u32 v17, v17, s6
	v_sub_nc_u32_e32 v7, v7, v8
	v_dual_add_nc_u32 v8, s7, v48 :: v_dual_sub_nc_u32 v9, v9, v10
	v_dual_sub_nc_u32 v10, v11, v12 :: v_dual_add_nc_u32 v11, s5, v45
	v_mul_lo_u32 v13, v13, s4
	v_mul_lo_u32 v8, v8, s6
	v_add_nc_u32_e32 v12, s5, v47
	v_cmp_lt_u32_e32 vcc_lo, s3, v7
	v_mul_lo_u32 v11, v11, s4
	v_lshlrev_b16 v3, 8, v3
	v_mul_lo_u32 v14, v14, s4
	v_mul_lo_u32 v12, v12, s4
	v_cndmask_b32_e64 v7, 0, 1, vcc_lo
	v_cmp_lt_u32_e32 vcc_lo, s3, v9
	v_lshrrev_b32_e32 v3, 8, v3
	v_mul_lo_u32 v25, v25, s6
	v_sub_nc_u32_e32 v8, v13, v8
	v_lshlrev_b16 v7, 8, v7
	v_cndmask_b32_e64 v9, 0, 1, vcc_lo
	v_sub_nc_u32_e32 v11, v11, v15
	v_cmp_lt_u32_e32 vcc_lo, s3, v5
	s_delay_alu instid0(VALU_DEP_4)
	v_dual_add_nc_u32 v27, s7, v44 :: v_dual_lshrrev_b32 v7, 8, v7
	v_sub_nc_u32_e32 v12, v12, v17
	v_mul_lo_u32 v13, v16, s4
	v_cndmask_b32_e64 v5, 0, 1, vcc_lo
	v_cmp_lt_u32_e32 vcc_lo, s3, v11
	v_mul_lo_u32 v16, v27, s6
	v_dual_add_nc_u32 v15, s5, v1 :: v_dual_add_nc_u32 v27, s7, v1
	v_lshlrev_b16 v2, 8, v2
	v_cndmask_b32_e64 v11, 0, 1, vcc_lo
	v_cmp_lt_u32_e32 vcc_lo, s3, v12
	s_delay_alu instid0(VALU_DEP_4)
	v_mul_lo_u32 v15, v15, s4
	v_mul_lo_u32 v17, v27, s6
	v_sub_nc_u32_e32 v14, v14, v25
	v_lshlrev_b16 v3, 8, v3
	v_cndmask_b32_e64 v12, 0, 1, vcc_lo
	v_cmp_lt_u32_e32 vcc_lo, s3, v6
	v_dual_sub_nc_u32 v13, v13, v16 :: v_dual_lshrrev_b32 v2, 8, v2
	s_delay_alu instid0(VALU_DEP_4)
	v_or_b32_e32 v3, v5, v3
	v_lshlrev_b16 v5, 8, v11
	v_cndmask_b32_e64 v6, 0, 1, vcc_lo
	v_cmp_lt_u32_e32 vcc_lo, s3, v10
	v_lshlrev_b16 v11, 8, v12
	v_lshlrev_b16 v9, 8, v9
	v_sub_nc_u32_e32 v12, v15, v17
	v_lshlrev_b16 v2, 8, v2
	v_cndmask_b32_e64 v10, 0, 1, vcc_lo
	v_cmp_lt_u32_e32 vcc_lo, s3, v8
	v_lshlrev_b16 v7, 8, v7
	v_dual_lshrrev_b32 v11, 8, v11 :: v_dual_lshrrev_b32 v5, 8, v5
	v_or_b32_e32 v2, v6, v2
	v_cndmask_b32_e64 v8, 0, 1, vcc_lo
	v_cmp_lt_u32_e32 vcc_lo, s3, v14
	s_delay_alu instid0(VALU_DEP_4)
	v_lshlrev_b16 v11, 8, v11
	v_lshlrev_b16 v5, 8, v5
	v_dual_lshlrev_b32 v2, 16, v2 :: v_dual_bitop2_b32 v6, v10, v7 bitop3:0x54
	v_cndmask_b32_e64 v14, 0, 1, vcc_lo
	v_cmp_lt_u32_e32 vcc_lo, s3, v13
	v_or_b32_e32 v7, v8, v9
	v_and_b32_e32 v3, 0xffff, v3
	v_and_b32_e32 v6, 0xffff, v6
	v_cndmask_b32_e64 v13, 0, 1, vcc_lo
	s_delay_alu instid0(VALU_DEP_4) | instskip(SKIP_2) | instid1(VALU_DEP_4)
	v_lshlrev_b32_e32 v7, 16, v7
	v_cmp_lt_u32_e32 vcc_lo, s3, v12
	v_or_b32_e32 v35, v3, v2
	v_or_b32_e32 v5, v13, v5
	;; [unrolled: 1-line block ×3, first 2 shown]
	v_cndmask_b32_e64 v25, 0, 1, vcc_lo
	s_delay_alu instid0(VALU_DEP_3) | instskip(NEXT) | instid1(VALU_DEP_3)
	v_dual_lshlrev_b32 v5, 16, v5 :: v_dual_bitop2_b32 v31, v6, v7 bitop3:0x54
	v_and_b32_e32 v8, 0xffff, v8
	s_delay_alu instid0(VALU_DEP_1)
	v_or_b32_e32 v27, v8, v5
	s_cbranch_execz .LBB795_11
	s_branch .LBB795_38
.LBB795_10:
                                        ; implicit-def: $vgpr25
                                        ; implicit-def: $vgpr27
                                        ; implicit-def: $vgpr31
                                        ; implicit-def: $vgpr35
.LBB795_11:
	v_dual_mov_b32 v3, 0 :: v_dual_mov_b32 v2, 0
	s_mov_b32 s0, exec_lo
	v_cmpx_gt_u32_e64 s22, v23
	s_cbranch_execz .LBB795_13
; %bb.12:
	v_dual_add_nc_u32 v2, s5, v54 :: v_dual_add_nc_u32 v5, s7, v54
	s_delay_alu instid0(VALU_DEP_1) | instskip(NEXT) | instid1(VALU_DEP_2)
	v_mul_lo_u32 v2, v2, s4
	v_mul_lo_u32 v5, v5, s6
	s_delay_alu instid0(VALU_DEP_1) | instskip(NEXT) | instid1(VALU_DEP_1)
	v_sub_nc_u32_e32 v2, v2, v5
	v_cmp_lt_u32_e32 vcc_lo, s3, v2
	v_cndmask_b32_e64 v2, 0, 1, vcc_lo
.LBB795_13:
	s_or_b32 exec_lo, exec_lo, s0
	v_add_nc_u32_e32 v5, 1, v23
	s_mov_b32 s0, exec_lo
	s_delay_alu instid0(VALU_DEP_1)
	v_cmpx_gt_u32_e64 s22, v5
	s_cbranch_execz .LBB795_15
; %bb.14:
	v_dual_add_nc_u32 v3, s5, v55 :: v_dual_add_nc_u32 v5, s7, v55
	s_delay_alu instid0(VALU_DEP_1) | instskip(NEXT) | instid1(VALU_DEP_2)
	v_mul_lo_u32 v3, v3, s4
	v_mul_lo_u32 v5, v5, s6
	s_delay_alu instid0(VALU_DEP_1) | instskip(NEXT) | instid1(VALU_DEP_1)
	v_sub_nc_u32_e32 v3, v3, v5
	v_cmp_lt_u32_e32 vcc_lo, s3, v3
	v_cndmask_b32_e64 v3, 0, 1, vcc_lo
.LBB795_15:
	s_or_b32 exec_lo, exec_lo, s0
	v_dual_mov_b32 v6, 0 :: v_dual_add_nc_u32 v5, 2, v23
	s_delay_alu instid0(VALU_DEP_1)
	v_cmp_gt_u32_e32 vcc_lo, s22, v5
	v_mov_b32_e32 v5, 0
	s_and_saveexec_b32 s0, vcc_lo
	s_cbranch_execz .LBB795_17
; %bb.16:
	v_dual_add_nc_u32 v5, s5, v52 :: v_dual_add_nc_u32 v7, s7, v52
	s_delay_alu instid0(VALU_DEP_1) | instskip(NEXT) | instid1(VALU_DEP_2)
	v_mul_lo_u32 v5, v5, s4
	v_mul_lo_u32 v7, v7, s6
	s_delay_alu instid0(VALU_DEP_1) | instskip(NEXT) | instid1(VALU_DEP_1)
	v_sub_nc_u32_e32 v5, v5, v7
	v_cmp_lt_u32_e32 vcc_lo, s3, v5
	v_cndmask_b32_e64 v5, 0, 1, vcc_lo
.LBB795_17:
	s_or_b32 exec_lo, exec_lo, s0
	v_add_nc_u32_e32 v7, 3, v23
	s_mov_b32 s0, exec_lo
	s_delay_alu instid0(VALU_DEP_1)
	v_cmpx_gt_u32_e64 s22, v7
	s_cbranch_execz .LBB795_19
; %bb.18:
	v_dual_add_nc_u32 v6, s5, v53 :: v_dual_add_nc_u32 v7, s7, v53
	s_delay_alu instid0(VALU_DEP_1) | instskip(NEXT) | instid1(VALU_DEP_2)
	v_mul_lo_u32 v6, v6, s4
	v_mul_lo_u32 v7, v7, s6
	s_delay_alu instid0(VALU_DEP_1) | instskip(NEXT) | instid1(VALU_DEP_1)
	v_sub_nc_u32_e32 v6, v6, v7
	v_cmp_lt_u32_e32 vcc_lo, s3, v6
	v_cndmask_b32_e64 v6, 0, 1, vcc_lo
.LBB795_19:
	s_or_b32 exec_lo, exec_lo, s0
	v_dual_mov_b32 v8, 0 :: v_dual_add_nc_u32 v7, 4, v23
	s_delay_alu instid0(VALU_DEP_1)
	v_cmp_gt_u32_e32 vcc_lo, s22, v7
	v_mov_b32_e32 v7, 0
	s_and_saveexec_b32 s0, vcc_lo
	;; [unrolled: 33-line block ×5, first 2 shown]
	s_cbranch_execz .LBB795_33
; %bb.32:
	v_dual_add_nc_u32 v13, s5, v44 :: v_dual_add_nc_u32 v15, s7, v44
	s_delay_alu instid0(VALU_DEP_1) | instskip(NEXT) | instid1(VALU_DEP_2)
	v_mul_lo_u32 v13, v13, s4
	v_mul_lo_u32 v15, v15, s6
	s_delay_alu instid0(VALU_DEP_1) | instskip(NEXT) | instid1(VALU_DEP_1)
	v_sub_nc_u32_e32 v13, v13, v15
	v_cmp_lt_u32_e32 vcc_lo, s3, v13
	v_cndmask_b32_e64 v13, 0, 1, vcc_lo
.LBB795_33:
	s_or_b32 exec_lo, exec_lo, s0
	v_add_nc_u32_e32 v15, 11, v23
	s_mov_b32 s0, exec_lo
	s_delay_alu instid0(VALU_DEP_1)
	v_cmpx_gt_u32_e64 s22, v15
	s_cbranch_execz .LBB795_35
; %bb.34:
	v_dual_add_nc_u32 v14, s5, v45 :: v_dual_add_nc_u32 v15, s7, v45
	s_delay_alu instid0(VALU_DEP_1) | instskip(NEXT) | instid1(VALU_DEP_2)
	v_mul_lo_u32 v14, v14, s4
	v_mul_lo_u32 v15, v15, s6
	s_delay_alu instid0(VALU_DEP_1) | instskip(NEXT) | instid1(VALU_DEP_1)
	v_sub_nc_u32_e32 v14, v14, v15
	v_cmp_lt_u32_e32 vcc_lo, s3, v14
	v_cndmask_b32_e64 v14, 0, 1, vcc_lo
.LBB795_35:
	s_or_b32 exec_lo, exec_lo, s0
	v_dual_add_nc_u32 v15, 12, v23 :: v_dual_mov_b32 v25, 0
	s_mov_b32 s0, exec_lo
	s_delay_alu instid0(VALU_DEP_1)
	v_cmpx_gt_u32_e64 s22, v15
	s_cbranch_execz .LBB795_37
; %bb.36:
	v_dual_add_nc_u32 v15, s7, v1 :: v_dual_add_nc_u32 v16, s5, v1
	s_delay_alu instid0(VALU_DEP_1) | instskip(NEXT) | instid1(VALU_DEP_2)
	v_mul_lo_u32 v15, v15, s6
	v_mul_lo_u32 v16, v16, s4
	s_delay_alu instid0(VALU_DEP_1) | instskip(NEXT) | instid1(VALU_DEP_1)
	v_sub_nc_u32_e32 v15, v16, v15
	v_cmp_lt_u32_e32 vcc_lo, s3, v15
	v_cndmask_b32_e64 v25, 0, 1, vcc_lo
.LBB795_37:
	s_or_b32 exec_lo, exec_lo, s0
	v_lshlrev_b16 v6, 8, v6
	v_lshlrev_b16 v8, 8, v8
	;; [unrolled: 1-line block ×5, first 2 shown]
	v_or_b32_e32 v5, v5, v6
	v_or_b32_e32 v6, v7, v8
	v_or_b32_e32 v7, v9, v10
	s_delay_alu instid0(VALU_DEP_1) | instskip(NEXT) | instid1(VALU_DEP_4)
	v_dual_lshlrev_b32 v7, 16, v7 :: v_dual_bitop2_b32 v8, v11, v12 bitop3:0x54
	v_dual_lshlrev_b32 v5, 16, v5 :: v_dual_bitop2_b32 v2, v2, v3 bitop3:0x54
	v_lshlrev_b16 v3, 8, v14
	s_delay_alu instid0(VALU_DEP_3) | instskip(NEXT) | instid1(VALU_DEP_3)
	v_and_b32_e32 v8, 0xffff, v8
	v_and_b32_e32 v2, 0xffff, v2
	s_delay_alu instid0(VALU_DEP_3) | instskip(NEXT) | instid1(VALU_DEP_1)
	v_or_b32_e32 v3, v13, v3
	v_dual_lshlrev_b32 v3, 16, v3 :: v_dual_bitop2_b32 v35, v2, v5 bitop3:0x54
	v_and_b32_e32 v6, 0xffff, v6
	s_delay_alu instid0(VALU_DEP_2) | instskip(NEXT) | instid1(VALU_DEP_2)
	v_or_b32_e32 v27, v8, v3
	v_or_b32_e32 v31, v6, v7
.LBB795_38:
	s_delay_alu instid0(VALU_DEP_4) | instskip(SKIP_2) | instid1(VALU_DEP_4)
	v_bfe_u32 v39, v35, 16, 8
	v_bfe_u32 v41, v35, 8, 8
	v_and_b32_e32 v57, 0xff, v35
	v_and_b32_e32 v58, 0xff, v31
	v_mbcnt_lo_u32_b32 v64, -1, 0
	v_lshrrev_b32_e32 v37, 24, v35
	v_bfe_u32 v59, v31, 16, 8
	v_add3_u32 v2, v41, v57, v39
	v_bfe_u32 v60, v31, 8, 8
	v_dual_lshrrev_b32 v33, 24, v31 :: v_dual_bitop2_b32 v5, 15, v64 bitop3:0x40
	v_lshrrev_b32_e32 v65, 5, v0
	s_delay_alu instid0(VALU_DEP_4)
	v_add3_u32 v2, v2, v37, v58
	v_and_b32_e32 v61, 0xff, v27
	v_bfe_u32 v62, v27, 16, 8
	v_bfe_u32 v63, v27, 8, 8
	v_dual_lshrrev_b32 v29, 24, v27 :: v_dual_bitop2_b32 v6, 31, v0 bitop3:0x54
	v_add3_u32 v2, v2, v60, v59
	v_and_b32_e32 v3, 0xff, v25
	v_and_b32_e32 v7, 16, v64
	v_cmp_ne_u32_e32 vcc_lo, 0, v4
	v_cmp_eq_u32_e64 s6, 0, v5
	v_add3_u32 v2, v2, v33, v61
	v_cmp_lt_u32_e64 s5, 1, v5
	v_cmp_lt_u32_e64 s4, 3, v5
	;; [unrolled: 1-line block ×3, first 2 shown]
	v_cmp_eq_u32_e64 s1, 0, v7
	v_add3_u32 v2, v2, v63, v62
	v_cmp_eq_u32_e64 s0, v0, v6
	s_mov_b32 s7, -1
	v_add3_u32 v66, v2, v29, v3
	s_cbranch_vccz .LBB795_60
; %bb.39:
	s_delay_alu instid0(VALU_DEP_1) | instskip(NEXT) | instid1(VALU_DEP_1)
	v_mov_b32_dpp v2, v66 row_shr:1 row_mask:0xf bank_mask:0xf
	v_cndmask_b32_e64 v2, v2, 0, s6
	s_delay_alu instid0(VALU_DEP_1) | instskip(NEXT) | instid1(VALU_DEP_1)
	v_add_nc_u32_e32 v2, v2, v66
	v_mov_b32_dpp v3, v2 row_shr:2 row_mask:0xf bank_mask:0xf
	s_delay_alu instid0(VALU_DEP_1) | instskip(NEXT) | instid1(VALU_DEP_1)
	v_cndmask_b32_e64 v3, 0, v3, s5
	v_add_nc_u32_e32 v2, v2, v3
	s_delay_alu instid0(VALU_DEP_1) | instskip(NEXT) | instid1(VALU_DEP_1)
	v_mov_b32_dpp v3, v2 row_shr:4 row_mask:0xf bank_mask:0xf
	v_cndmask_b32_e64 v3, 0, v3, s4
	s_delay_alu instid0(VALU_DEP_1) | instskip(NEXT) | instid1(VALU_DEP_1)
	v_add_nc_u32_e32 v2, v2, v3
	v_mov_b32_dpp v3, v2 row_shr:8 row_mask:0xf bank_mask:0xf
	s_delay_alu instid0(VALU_DEP_1) | instskip(NEXT) | instid1(VALU_DEP_1)
	v_cndmask_b32_e64 v3, 0, v3, s3
	v_add_nc_u32_e32 v2, v2, v3
	ds_swizzle_b32 v3, v2 offset:swizzle(BROADCAST,32,15)
	s_wait_dscnt 0x0
	v_cndmask_b32_e64 v3, v3, 0, s1
	s_delay_alu instid0(VALU_DEP_1)
	v_add_nc_u32_e32 v2, v2, v3
	s_and_saveexec_b32 s7, s0
; %bb.40:
	v_lshlrev_b32_e32 v3, 2, v65
	ds_store_b32 v3, v2
; %bb.41:
	s_or_b32 exec_lo, exec_lo, s7
	s_delay_alu instid0(SALU_CYCLE_1)
	s_mov_b32 s7, exec_lo
	s_wait_dscnt 0x0
	s_barrier_signal -1
	s_barrier_wait -1
	v_cmpx_gt_u32_e32 8, v0
	s_cbranch_execz .LBB795_43
; %bb.42:
	ds_load_b32 v3, v19
	s_wait_dscnt 0x0
	v_mov_b32_dpp v6, v3 row_shr:1 row_mask:0xf bank_mask:0xf
	v_and_b32_e32 v5, 7, v64
	s_delay_alu instid0(VALU_DEP_1) | instskip(NEXT) | instid1(VALU_DEP_3)
	v_cmp_ne_u32_e32 vcc_lo, 0, v5
	v_cndmask_b32_e32 v6, 0, v6, vcc_lo
	v_cmp_lt_u32_e32 vcc_lo, 1, v5
	s_delay_alu instid0(VALU_DEP_2) | instskip(NEXT) | instid1(VALU_DEP_1)
	v_add_nc_u32_e32 v3, v6, v3
	v_mov_b32_dpp v6, v3 row_shr:2 row_mask:0xf bank_mask:0xf
	s_delay_alu instid0(VALU_DEP_1) | instskip(SKIP_1) | instid1(VALU_DEP_2)
	v_cndmask_b32_e32 v6, 0, v6, vcc_lo
	v_cmp_lt_u32_e32 vcc_lo, 3, v5
	v_add_nc_u32_e32 v3, v3, v6
	s_delay_alu instid0(VALU_DEP_1) | instskip(NEXT) | instid1(VALU_DEP_1)
	v_mov_b32_dpp v6, v3 row_shr:4 row_mask:0xf bank_mask:0xf
	v_cndmask_b32_e32 v5, 0, v6, vcc_lo
	s_delay_alu instid0(VALU_DEP_1)
	v_add_nc_u32_e32 v3, v3, v5
	ds_store_b32 v19, v3
.LBB795_43:
	s_or_b32 exec_lo, exec_lo, s7
	s_delay_alu instid0(SALU_CYCLE_1)
	s_mov_b32 s8, exec_lo
	v_cmp_gt_u32_e32 vcc_lo, 32, v0
	s_wait_dscnt 0x0
	s_barrier_signal -1
	s_barrier_wait -1
                                        ; implicit-def: $vgpr10
	v_cmpx_lt_u32_e32 31, v0
	s_cbranch_execz .LBB795_45
; %bb.44:
	v_lshl_add_u32 v3, v65, 2, -4
	ds_load_b32 v10, v3
	s_wait_dscnt 0x0
	v_add_nc_u32_e32 v2, v10, v2
.LBB795_45:
	s_or_b32 exec_lo, exec_lo, s8
	v_sub_co_u32 v3, s7, v64, 1
	s_delay_alu instid0(VALU_DEP_1) | instskip(NEXT) | instid1(VALU_DEP_1)
	v_cmp_gt_i32_e64 s8, 0, v3
	v_cndmask_b32_e64 v3, v3, v64, s8
	s_delay_alu instid0(VALU_DEP_1)
	v_lshlrev_b32_e32 v3, 2, v3
	ds_bpermute_b32 v11, v3, v2
	s_and_saveexec_b32 s8, vcc_lo
	s_cbranch_execz .LBB795_65
; %bb.46:
	v_dual_mov_b32 v9, 0 :: v_dual_add_nc_u32 v12, 32, v4
	ds_load_b32 v2, v9 offset:28
	s_and_saveexec_b32 s15, s7
	s_cbranch_execz .LBB795_48
; %bb.47:
	v_mov_b32_e32 v3, 1
	s_wait_dscnt 0x0
	global_store_b64 v12, v[2:3], s[20:21] scale_offset scope:SCOPE_DEV
.LBB795_48:
	s_wait_xcnt 0x0
	s_or_b32 exec_lo, exec_lo, s15
	v_xad_u32 v4, v64, -1, v4
	s_mov_b32 s23, 0
	s_mov_b32 s15, exec_lo
	s_delay_alu instid0(VALU_DEP_1) | instskip(SKIP_4) | instid1(VALU_DEP_1)
	v_add_nc_u32_e32 v8, 32, v4
	global_load_b64 v[6:7], v8, s[20:21] scale_offset scope:SCOPE_DEV
	s_wait_loadcnt 0x0
	v_and_b32_e32 v3, 0xff, v7
	s_wait_xcnt 0x0
	v_cmpx_eq_u16_e32 0, v3
	s_cbranch_execz .LBB795_52
; %bb.49:
	v_lshl_add_u64 v[8:9], v[8:9], 3, s[20:21]
.LBB795_50:                             ; =>This Inner Loop Header: Depth=1
	global_load_b64 v[6:7], v[8:9], off scope:SCOPE_DEV
	s_wait_loadcnt 0x0
	v_and_b32_e32 v3, 0xff, v7
	s_delay_alu instid0(VALU_DEP_1)
	v_cmp_ne_u16_e32 vcc_lo, 0, v3
	s_or_b32 s23, vcc_lo, s23
	s_wait_xcnt 0x0
	s_and_not1_b32 exec_lo, exec_lo, s23
	s_cbranch_execnz .LBB795_50
; %bb.51:
	s_or_b32 exec_lo, exec_lo, s23
.LBB795_52:
	s_delay_alu instid0(SALU_CYCLE_1)
	s_or_b32 exec_lo, exec_lo, s15
	v_cmp_ne_u32_e32 vcc_lo, 31, v64
	v_lshlrev_b32_e64 v14, v64, -1
	v_lshl_or_b32 v69, v64, 2, 64
	v_dual_add_nc_u32 v16, 2, v64 :: v_dual_add_nc_u32 v56, 4, v64
	v_add_co_ci_u32_e64 v3, null, 0, v64, vcc_lo
	v_dual_add_nc_u32 v68, 8, v64 :: v_dual_add_nc_u32 v70, 16, v64
	s_delay_alu instid0(VALU_DEP_2)
	v_lshlrev_b32_e32 v13, 2, v3
	v_and_b32_e32 v3, 0xff, v7
	ds_bpermute_b32 v5, v13, v6
	v_cmp_eq_u16_e32 vcc_lo, 2, v3
	v_and_or_b32 v3, vcc_lo, v14, 0x80000000
	v_cmp_gt_u32_e32 vcc_lo, 30, v64
	s_delay_alu instid0(VALU_DEP_2) | instskip(SKIP_1) | instid1(VALU_DEP_2)
	v_ctz_i32_b32_e32 v3, v3
	v_cndmask_b32_e64 v8, 0, 2, vcc_lo
	v_cmp_lt_u32_e32 vcc_lo, v64, v3
	s_delay_alu instid0(VALU_DEP_2) | instskip(SKIP_3) | instid1(VALU_DEP_2)
	v_add_lshl_u32 v15, v8, v64, 2
	s_wait_dscnt 0x0
	v_cndmask_b32_e32 v5, 0, v5, vcc_lo
	v_cmp_gt_u32_e32 vcc_lo, 28, v64
	v_add_nc_u32_e32 v5, v5, v6
	v_cndmask_b32_e64 v8, 0, 4, vcc_lo
	v_cmp_le_u32_e32 vcc_lo, v16, v3
	ds_bpermute_b32 v6, v15, v5
	v_add_lshl_u32 v17, v8, v64, 2
	s_wait_dscnt 0x0
	v_cndmask_b32_e32 v6, 0, v6, vcc_lo
	v_cmp_gt_u32_e32 vcc_lo, 24, v64
	v_cndmask_b32_e64 v8, 0, 8, vcc_lo
	v_cmp_le_u32_e32 vcc_lo, v56, v3
	s_delay_alu instid0(VALU_DEP_4) | instskip(NEXT) | instid1(VALU_DEP_3)
	v_add_nc_u32_e32 v5, v5, v6
	v_add_lshl_u32 v67, v8, v64, 2
	ds_bpermute_b32 v6, v17, v5
	s_wait_dscnt 0x0
	v_cndmask_b32_e32 v6, 0, v6, vcc_lo
	v_cmp_le_u32_e32 vcc_lo, v68, v3
	s_delay_alu instid0(VALU_DEP_2) | instskip(SKIP_4) | instid1(VALU_DEP_2)
	v_add_nc_u32_e32 v5, v5, v6
	ds_bpermute_b32 v6, v67, v5
	s_wait_dscnt 0x0
	v_cndmask_b32_e32 v6, 0, v6, vcc_lo
	v_cmp_le_u32_e32 vcc_lo, v70, v3
	v_add_nc_u32_e32 v5, v5, v6
	ds_bpermute_b32 v6, v69, v5
	s_wait_dscnt 0x0
	v_cndmask_b32_e32 v3, 0, v6, vcc_lo
	s_delay_alu instid0(VALU_DEP_1)
	v_dual_mov_b32 v5, 0 :: v_dual_add_nc_u32 v6, v5, v3
	s_branch .LBB795_56
.LBB795_53:                             ;   in Loop: Header=BB795_56 Depth=1
	s_or_b32 exec_lo, exec_lo, s23
.LBB795_54:                             ;   in Loop: Header=BB795_56 Depth=1
	s_delay_alu instid0(SALU_CYCLE_1)
	s_or_b32 exec_lo, exec_lo, s15
	v_and_b32_e32 v8, 0xff, v7
	ds_bpermute_b32 v9, v13, v6
	v_subrev_nc_u32_e32 v4, 32, v4
	s_mov_b32 s15, 0
	v_cmp_eq_u16_e32 vcc_lo, 2, v8
	v_and_or_b32 v8, vcc_lo, v14, 0x80000000
	s_delay_alu instid0(VALU_DEP_1) | instskip(NEXT) | instid1(VALU_DEP_1)
	v_ctz_i32_b32_e32 v8, v8
	v_cmp_lt_u32_e32 vcc_lo, v64, v8
	s_wait_dscnt 0x0
	v_cndmask_b32_e32 v9, 0, v9, vcc_lo
	v_cmp_le_u32_e32 vcc_lo, v16, v8
	s_delay_alu instid0(VALU_DEP_2) | instskip(SKIP_4) | instid1(VALU_DEP_2)
	v_add_nc_u32_e32 v6, v9, v6
	ds_bpermute_b32 v9, v15, v6
	s_wait_dscnt 0x0
	v_cndmask_b32_e32 v9, 0, v9, vcc_lo
	v_cmp_le_u32_e32 vcc_lo, v56, v8
	v_add_nc_u32_e32 v6, v6, v9
	ds_bpermute_b32 v9, v17, v6
	s_wait_dscnt 0x0
	v_cndmask_b32_e32 v9, 0, v9, vcc_lo
	v_cmp_le_u32_e32 vcc_lo, v68, v8
	s_delay_alu instid0(VALU_DEP_2) | instskip(SKIP_4) | instid1(VALU_DEP_2)
	v_add_nc_u32_e32 v6, v6, v9
	ds_bpermute_b32 v9, v67, v6
	s_wait_dscnt 0x0
	v_cndmask_b32_e32 v9, 0, v9, vcc_lo
	v_cmp_le_u32_e32 vcc_lo, v70, v8
	v_add_nc_u32_e32 v6, v6, v9
	ds_bpermute_b32 v9, v69, v6
	s_wait_dscnt 0x0
	v_cndmask_b32_e32 v8, 0, v9, vcc_lo
	s_delay_alu instid0(VALU_DEP_1)
	v_add3_u32 v6, v8, v3, v6
.LBB795_55:                             ;   in Loop: Header=BB795_56 Depth=1
	s_and_b32 vcc_lo, exec_lo, s15
	s_cbranch_vccnz .LBB795_61
.LBB795_56:                             ; =>This Loop Header: Depth=1
                                        ;     Child Loop BB795_59 Depth 2
	v_and_b32_e32 v3, 0xff, v7
	s_mov_b32 s15, -1
                                        ; implicit-def: $vgpr7
	s_delay_alu instid0(VALU_DEP_1)
	v_cmp_ne_u16_e32 vcc_lo, 2, v3
	v_mov_b32_e32 v3, v6
                                        ; implicit-def: $vgpr6
	s_cmp_lg_u32 vcc_lo, exec_lo
	s_cbranch_scc1 .LBB795_55
; %bb.57:                               ;   in Loop: Header=BB795_56 Depth=1
	global_load_b64 v[6:7], v4, s[20:21] scale_offset scope:SCOPE_DEV
	s_mov_b32 s15, exec_lo
	s_wait_loadcnt 0x0
	v_and_b32_e32 v8, 0xff, v7
	s_wait_xcnt 0x0
	s_delay_alu instid0(VALU_DEP_1)
	v_cmpx_eq_u16_e32 0, v8
	s_cbranch_execz .LBB795_54
; %bb.58:                               ;   in Loop: Header=BB795_56 Depth=1
	v_lshl_add_u64 v[8:9], v[4:5], 3, s[20:21]
	s_mov_b32 s23, 0
.LBB795_59:                             ;   Parent Loop BB795_56 Depth=1
                                        ; =>  This Inner Loop Header: Depth=2
	global_load_b64 v[6:7], v[8:9], off scope:SCOPE_DEV
	s_wait_loadcnt 0x0
	v_and_b32_e32 v71, 0xff, v7
	s_delay_alu instid0(VALU_DEP_1)
	v_cmp_ne_u16_e32 vcc_lo, 0, v71
	s_or_b32 s23, vcc_lo, s23
	s_wait_xcnt 0x0
	s_and_not1_b32 exec_lo, exec_lo, s23
	s_cbranch_execnz .LBB795_59
	s_branch .LBB795_53
.LBB795_60:
                                        ; implicit-def: $vgpr2_vgpr3_vgpr4_vgpr5_vgpr6_vgpr7_vgpr8_vgpr9_vgpr10_vgpr11_vgpr12_vgpr13_vgpr14_vgpr15_vgpr16_vgpr17
                                        ; implicit-def: $vgpr56
                                        ; implicit-def: $vgpr16
	s_and_b32 vcc_lo, exec_lo, s7
	s_cbranch_vccnz .LBB795_66
	s_branch .LBB795_75
.LBB795_61:
	s_and_saveexec_b32 s15, s7
	s_cbranch_execz .LBB795_63
; %bb.62:
	v_dual_mov_b32 v5, 2 :: v_dual_add_nc_u32 v4, v3, v2
	v_mov_b32_e32 v6, 0
	global_store_b64 v12, v[4:5], s[20:21] scale_offset scope:SCOPE_DEV
	ds_store_b64 v6, v[2:3] offset:13312
.LBB795_63:
	s_wait_xcnt 0x0
	s_or_b32 exec_lo, exec_lo, s15
	s_delay_alu instid0(SALU_CYCLE_1)
	s_and_b32 exec_lo, exec_lo, s2
; %bb.64:
	v_mov_b32_e32 v2, 0
	ds_store_b32 v2, v3 offset:28
.LBB795_65:
	s_or_b32 exec_lo, exec_lo, s8
	s_wait_dscnt 0x0
	v_dual_mov_b32 v12, 0 :: v_dual_cndmask_b32 v3, v11, v10, s7
	s_wait_storecnt 0x0
	s_barrier_signal -1
	s_barrier_wait -1
	ds_load_b32 v2, v12 offset:28
	v_cndmask_b32_e64 v3, v3, 0, s2
	s_wait_dscnt 0x0
	s_barrier_signal -1
	s_barrier_wait -1
	ds_load_b64 v[16:17], v12 offset:13312
	v_add_nc_u32_e32 v2, v2, v3
	s_wait_dscnt 0x0
	s_delay_alu instid0(VALU_DEP_1) | instskip(NEXT) | instid1(VALU_DEP_1)
	v_dual_mov_b32 v56, v17 :: v_dual_add_nc_u32 v3, v2, v57
	v_add_nc_u32_e32 v4, v3, v41
	s_delay_alu instid0(VALU_DEP_1) | instskip(NEXT) | instid1(VALU_DEP_1)
	v_add_nc_u32_e32 v5, v4, v39
	v_add_nc_u32_e32 v6, v5, v37
	s_delay_alu instid0(VALU_DEP_1) | instskip(NEXT) | instid1(VALU_DEP_1)
	v_add_nc_u32_e32 v7, v6, v58
	;; [unrolled: 3-line block ×5, first 2 shown]
	v_add_nc_u32_e32 v14, v13, v29
	s_branch .LBB795_75
.LBB795_66:
	v_mov_b32_dpp v2, v66 row_shr:1 row_mask:0xf bank_mask:0xf
	s_delay_alu instid0(VALU_DEP_1) | instskip(NEXT) | instid1(VALU_DEP_1)
	v_cndmask_b32_e64 v2, v2, 0, s6
	v_add_nc_u32_e32 v2, v2, v66
	s_delay_alu instid0(VALU_DEP_1) | instskip(NEXT) | instid1(VALU_DEP_1)
	v_mov_b32_dpp v3, v2 row_shr:2 row_mask:0xf bank_mask:0xf
	v_cndmask_b32_e64 v3, 0, v3, s5
	s_delay_alu instid0(VALU_DEP_1) | instskip(NEXT) | instid1(VALU_DEP_1)
	v_add_nc_u32_e32 v2, v2, v3
	v_mov_b32_dpp v3, v2 row_shr:4 row_mask:0xf bank_mask:0xf
	s_delay_alu instid0(VALU_DEP_1) | instskip(NEXT) | instid1(VALU_DEP_1)
	v_cndmask_b32_e64 v3, 0, v3, s4
	v_add_nc_u32_e32 v2, v2, v3
	s_delay_alu instid0(VALU_DEP_1) | instskip(NEXT) | instid1(VALU_DEP_1)
	v_mov_b32_dpp v3, v2 row_shr:8 row_mask:0xf bank_mask:0xf
	v_cndmask_b32_e64 v3, 0, v3, s3
	s_delay_alu instid0(VALU_DEP_1) | instskip(SKIP_3) | instid1(VALU_DEP_1)
	v_add_nc_u32_e32 v2, v2, v3
	ds_swizzle_b32 v3, v2 offset:swizzle(BROADCAST,32,15)
	s_wait_dscnt 0x0
	v_cndmask_b32_e64 v3, v3, 0, s1
	v_add_nc_u32_e32 v2, v2, v3
	s_and_saveexec_b32 s1, s0
; %bb.67:
	v_lshlrev_b32_e32 v3, 2, v65
	ds_store_b32 v3, v2
; %bb.68:
	s_or_b32 exec_lo, exec_lo, s1
	s_delay_alu instid0(SALU_CYCLE_1)
	s_mov_b32 s0, exec_lo
	s_wait_dscnt 0x0
	s_barrier_signal -1
	s_barrier_wait -1
	v_cmpx_gt_u32_e32 8, v0
	s_cbranch_execz .LBB795_70
; %bb.69:
	ds_load_b32 v3, v19
	s_wait_dscnt 0x0
	v_mov_b32_dpp v5, v3 row_shr:1 row_mask:0xf bank_mask:0xf
	v_and_b32_e32 v4, 7, v64
	s_delay_alu instid0(VALU_DEP_1) | instskip(NEXT) | instid1(VALU_DEP_3)
	v_cmp_ne_u32_e32 vcc_lo, 0, v4
	v_cndmask_b32_e32 v5, 0, v5, vcc_lo
	v_cmp_lt_u32_e32 vcc_lo, 1, v4
	s_delay_alu instid0(VALU_DEP_2) | instskip(NEXT) | instid1(VALU_DEP_1)
	v_add_nc_u32_e32 v3, v5, v3
	v_mov_b32_dpp v5, v3 row_shr:2 row_mask:0xf bank_mask:0xf
	s_delay_alu instid0(VALU_DEP_1) | instskip(SKIP_1) | instid1(VALU_DEP_2)
	v_cndmask_b32_e32 v5, 0, v5, vcc_lo
	v_cmp_lt_u32_e32 vcc_lo, 3, v4
	v_add_nc_u32_e32 v3, v3, v5
	s_delay_alu instid0(VALU_DEP_1) | instskip(NEXT) | instid1(VALU_DEP_1)
	v_mov_b32_dpp v5, v3 row_shr:4 row_mask:0xf bank_mask:0xf
	v_cndmask_b32_e32 v4, 0, v5, vcc_lo
	s_delay_alu instid0(VALU_DEP_1)
	v_add_nc_u32_e32 v3, v3, v4
	ds_store_b32 v19, v3
.LBB795_70:
	s_or_b32 exec_lo, exec_lo, s0
	v_dual_mov_b32 v4, 0 :: v_dual_mov_b32 v3, 0
	s_mov_b32 s0, exec_lo
	s_wait_dscnt 0x0
	s_barrier_signal -1
	s_barrier_wait -1
	v_cmpx_lt_u32_e32 31, v0
; %bb.71:
	v_lshl_add_u32 v3, v65, 2, -4
	ds_load_b32 v3, v3
; %bb.72:
	s_or_b32 exec_lo, exec_lo, s0
	v_sub_co_u32 v5, vcc_lo, v64, 1
	ds_load_b32 v16, v4 offset:28
	s_wait_dscnt 0x1
	v_add_nc_u32_e32 v2, v3, v2
	v_cmp_gt_i32_e64 s0, 0, v5
	s_delay_alu instid0(VALU_DEP_1) | instskip(NEXT) | instid1(VALU_DEP_1)
	v_cndmask_b32_e64 v5, v5, v64, s0
	v_lshlrev_b32_e32 v5, 2, v5
	ds_bpermute_b32 v2, v5, v2
	s_and_saveexec_b32 s0, s2
	s_cbranch_execz .LBB795_74
; %bb.73:
	v_dual_mov_b32 v4, 0 :: v_dual_mov_b32 v17, 2
	s_wait_dscnt 0x1
	global_store_b64 v4, v[16:17], s[20:21] offset:256 scope:SCOPE_DEV
.LBB795_74:
	s_wait_xcnt 0x0
	s_or_b32 exec_lo, exec_lo, s0
	s_wait_dscnt 0x0
	v_cndmask_b32_e32 v2, v2, v3, vcc_lo
	s_wait_storecnt 0x0
	s_barrier_signal -1
	s_barrier_wait -1
	s_delay_alu instid0(VALU_DEP_1) | instskip(NEXT) | instid1(VALU_DEP_1)
	v_cndmask_b32_e64 v2, v2, 0, s2
	v_dual_mov_b32 v56, 0 :: v_dual_add_nc_u32 v3, v2, v57
	s_delay_alu instid0(VALU_DEP_1) | instskip(NEXT) | instid1(VALU_DEP_1)
	v_add_nc_u32_e32 v4, v3, v41
	v_add_nc_u32_e32 v5, v4, v39
	s_delay_alu instid0(VALU_DEP_1) | instskip(NEXT) | instid1(VALU_DEP_1)
	v_add_nc_u32_e32 v6, v5, v37
	v_add_nc_u32_e32 v7, v6, v58
	;; [unrolled: 3-line block ×5, first 2 shown]
	s_delay_alu instid0(VALU_DEP_1)
	v_add_nc_u32_e32 v14, v13, v29
.LBB795_75:
	v_dual_lshrrev_b32 v57, 16, v35 :: v_dual_lshrrev_b32 v58, 8, v35
	v_dual_add_nc_u32 v23, v16, v23 :: v_dual_sub_nc_u32 v3, v3, v56
	v_dual_sub_nc_u32 v2, v2, v56 :: v_dual_bitop2_b32 v35, 1, v35 bitop3:0x40
	s_delay_alu instid0(VALU_DEP_3) | instskip(NEXT) | instid1(VALU_DEP_3)
	v_dual_sub_nc_u32 v4, v4, v56 :: v_dual_bitop2_b32 v58, 1, v58 bitop3:0x40
	v_dual_sub_nc_u32 v59, v23, v3 :: v_dual_bitop2_b32 v57, 1, v57 bitop3:0x40
	s_delay_alu instid0(VALU_DEP_3) | instskip(NEXT) | instid1(VALU_DEP_4)
	v_dual_sub_nc_u32 v60, v23, v2 :: v_dual_sub_nc_u32 v5, v5, v56
	v_cmp_eq_u32_e32 vcc_lo, 1, v35
	s_delay_alu instid0(VALU_DEP_3) | instskip(SKIP_1) | instid1(VALU_DEP_4)
	v_dual_sub_nc_u32 v61, v23, v4 :: v_dual_add_nc_u32 v59, 1, v59
	v_dual_lshrrev_b32 v41, 8, v31 :: v_dual_lshrrev_b32 v39, 16, v31
	v_cndmask_b32_e32 v2, v60, v2, vcc_lo
	v_cmp_eq_u32_e32 vcc_lo, 1, v58
	v_dual_lshrrev_b32 v15, 16, v27 :: v_dual_lshrrev_b32 v17, 8, v27
	v_cndmask_b32_e32 v3, v59, v3, vcc_lo
	s_delay_alu instid0(VALU_DEP_4)
	v_dual_sub_nc_u32 v35, v23, v5 :: v_dual_lshlrev_b32 v2, 2, v2
	v_and_b32_e32 v37, 1, v37
	v_add_nc_u32_e32 v58, 2, v61
	v_cmp_eq_u32_e32 vcc_lo, 1, v57
	v_lshlrev_b32_e32 v3, 2, v3
	v_add_nc_u32_e32 v35, 3, v35
	ds_store_b32 v2, v54
	ds_store_b32 v3, v55
	v_cndmask_b32_e32 v4, v58, v4, vcc_lo
	v_cmp_eq_u32_e32 vcc_lo, 1, v37
	v_dual_cndmask_b32 v5, v35, v5 :: v_dual_sub_nc_u32 v6, v6, v56
	s_delay_alu instid0(VALU_DEP_1) | instskip(NEXT) | instid1(VALU_DEP_2)
	v_dual_lshlrev_b32 v3, 2, v4 :: v_dual_lshlrev_b32 v4, 2, v5
	v_sub_nc_u32_e32 v2, v23, v6
	v_dual_sub_nc_u32 v5, v7, v56 :: v_dual_bitop2_b32 v7, 1, v31 bitop3:0x40
	s_delay_alu instid0(VALU_DEP_2)
	v_add_nc_u32_e32 v2, 4, v2
	ds_store_b32 v3, v52
	ds_store_b32 v4, v53
	v_cmp_eq_u32_e32 vcc_lo, 1, v7
	v_dual_sub_nc_u32 v4, v8, v56 :: v_dual_cndmask_b32 v2, v2, v6, vcc_lo
	v_sub_nc_u32_e32 v3, v23, v5
	v_dual_sub_nc_u32 v7, v9, v56 :: v_dual_bitop2_b32 v6, 1, v41 bitop3:0x40
	s_delay_alu instid0(VALU_DEP_2) | instskip(NEXT) | instid1(VALU_DEP_2)
	v_dual_lshlrev_b32 v2, 2, v2 :: v_dual_add_nc_u32 v3, 5, v3
	v_cmp_eq_u32_e32 vcc_lo, 1, v6
	v_dual_sub_nc_u32 v8, v23, v4 :: v_dual_bitop2_b32 v6, 1, v39 bitop3:0x40
	ds_store_b32 v2, v50
	v_and_b32_e32 v2, 1, v33
	v_cndmask_b32_e32 v3, v3, v5, vcc_lo
	v_dual_sub_nc_u32 v5, v23, v7 :: v_dual_add_nc_u32 v8, 6, v8
	v_cmp_eq_u32_e32 vcc_lo, 1, v6
	s_delay_alu instid0(VALU_DEP_3) | instskip(NEXT) | instid1(VALU_DEP_3)
	v_dual_sub_nc_u32 v6, v11, v56 :: v_dual_lshlrev_b32 v3, 2, v3
	v_dual_cndmask_b32 v4, v8, v4 :: v_dual_add_nc_u32 v5, 7, v5
	v_cmp_eq_u32_e32 vcc_lo, 1, v2
	ds_store_b32 v3, v51
	v_dual_sub_nc_u32 v3, v23, v6 :: v_dual_sub_nc_u32 v8, v14, v56
	v_dual_lshlrev_b32 v4, 2, v4 :: v_dual_cndmask_b32 v2, v5, v7, vcc_lo
	v_dual_sub_nc_u32 v5, v10, v56 :: v_dual_bitop2_b32 v7, 1, v17 bitop3:0x40
	s_delay_alu instid0(VALU_DEP_3)
	v_add_nc_u32_e32 v3, 9, v3
	ds_store_b32 v4, v48
	v_dual_lshlrev_b32 v2, 2, v2 :: v_dual_sub_nc_u32 v4, v23, v5
	v_cmp_eq_u32_e32 vcc_lo, 1, v7
	v_sub_nc_u32_e32 v7, v12, v56
	v_sub_nc_u32_e32 v9, v23, v8
	ds_store_b32 v2, v49
	v_dual_add_nc_u32 v4, 8, v4 :: v_dual_bitop2_b32 v2, 1, v27 bitop3:0x40
	v_dual_cndmask_b32 v3, v3, v6 :: v_dual_sub_nc_u32 v6, v13, v56
	s_delay_alu instid0(VALU_DEP_2) | instskip(NEXT) | instid1(VALU_DEP_2)
	v_cmp_eq_u32_e32 vcc_lo, 1, v2
	v_dual_cndmask_b32 v2, v4, v5, vcc_lo :: v_dual_sub_nc_u32 v4, v23, v6
	v_and_b32_e32 v10, 1, v15
	v_dual_sub_nc_u32 v5, v23, v7 :: v_dual_bitop2_b32 v12, 1, v25 bitop3:0x40
	s_delay_alu instid0(VALU_DEP_3) | instskip(SKIP_1) | instid1(VALU_DEP_1)
	v_dual_lshlrev_b32 v2, 2, v2 :: v_dual_add_nc_u32 v4, 11, v4
	v_and_b32_e32 v11, 1, v29
	v_cmp_eq_u32_e32 vcc_lo, 1, v11
	s_delay_alu instid0(VALU_DEP_3) | instskip(SKIP_3) | instid1(VALU_DEP_1)
	v_cndmask_b32_e32 v4, v4, v6, vcc_lo
	v_cmp_eq_u32_e32 vcc_lo, 1, v10
	v_add_nc_u32_e32 v9, 12, v9
	v_add_nc_u32_e32 v5, 10, v5
	v_cndmask_b32_e32 v5, v5, v7, vcc_lo
	v_cmp_eq_u32_e32 vcc_lo, 1, v12
	s_delay_alu instid0(VALU_DEP_2) | instskip(SKIP_3) | instid1(VALU_DEP_3)
	v_dual_lshlrev_b32 v3, 2, v3 :: v_dual_lshlrev_b32 v5, 2, v5
	v_cndmask_b32_e32 v6, v9, v8, vcc_lo
	v_lshlrev_b32_e32 v4, 2, v4
	v_cmp_ne_u32_e32 vcc_lo, 1, v21
	v_lshlrev_b32_e32 v6, 2, v6
	ds_store_b32 v2, v46
	ds_store_b32 v3, v47
	;; [unrolled: 1-line block ×5, first 2 shown]
	s_wait_dscnt 0x0
	s_barrier_signal -1
	s_barrier_wait -1
	ds_load_2addr_stride64_b32 v[14:15], v19 offset1:4
	ds_load_2addr_stride64_b32 v[12:13], v19 offset0:8 offset1:12
	ds_load_2addr_stride64_b32 v[10:11], v19 offset0:16 offset1:20
	;; [unrolled: 1-line block ×5, first 2 shown]
	ds_load_b32 v46, v19 offset:12288
	v_mov_b32_e32 v1, 0
	s_and_b32 vcc_lo, exec_lo, vcc_lo
	s_delay_alu instid0(VALU_DEP_1) | instskip(SKIP_2) | instid1(VALU_DEP_3)
	v_dual_mov_b32 v29, v1 :: v_dual_mov_b32 v57, v1
	v_dual_mov_b32 v41, v1 :: v_dual_mov_b32 v39, v1
	;; [unrolled: 1-line block ×3, first 2 shown]
	v_add_nc_u64_e32 v[2:3], v[42:43], v[56:57]
	v_dual_mov_b32 v33, v1 :: v_dual_mov_b32 v31, v1
	v_dual_mov_b32 v27, v1 :: v_dual_mov_b32 v25, v1
	;; [unrolled: 1-line block ×3, first 2 shown]
	v_mov_b32_e32 v19, v1
	s_cbranch_vccnz .LBB795_132
; %bb.76:
	v_mov_b32_e32 v17, v1
	s_mov_b32 s15, 0
	v_sub_nc_u64_e64 v[42:43], v[2:3], s[16:17]
	s_sub_nc_u64 s[0:1], s[18:19], s[14:15]
	s_delay_alu instid0(VALU_DEP_2) | instid1(SALU_CYCLE_1)
	v_add_nc_u64_e32 v[44:45], s[0:1], v[16:17]
	s_mov_b32 s0, exec_lo
	s_delay_alu instid0(VALU_DEP_1)
	v_add_nc_u64_e32 v[42:43], v[44:45], v[42:43]
                                        ; implicit-def: $vgpr44_vgpr45
	v_cmpx_ge_u32_e64 v0, v16
	s_xor_b32 s0, exec_lo, s0
; %bb.77:
	v_not_b32_e32 v44, v0
	s_delay_alu instid0(VALU_DEP_1) | instskip(NEXT) | instid1(VALU_DEP_1)
	v_ashrrev_i32_e32 v45, 31, v44
	v_add_nc_u64_e32 v[44:45], v[42:43], v[44:45]
; %bb.78:
	s_and_not1_saveexec_b32 s0, s0
; %bb.79:
	v_add_nc_u64_e32 v[44:45], v[2:3], v[0:1]
; %bb.80:
	s_or_b32 exec_lo, exec_lo, s0
	s_delay_alu instid0(VALU_DEP_1)
	v_lshl_add_u64 v[44:45], v[44:45], 2, s[10:11]
	s_mov_b32 s0, exec_lo
	s_wait_dscnt 0x6
	global_store_b32 v[44:45], v14, off
                                        ; implicit-def: $vgpr44_vgpr45
	s_wait_xcnt 0x0
	v_cmpx_ge_u32_e64 v40, v16
	s_xor_b32 s0, exec_lo, s0
; %bb.81:
	v_xor_b32_e32 v44, 0xfffffeff, v0
	s_delay_alu instid0(VALU_DEP_1) | instskip(NEXT) | instid1(VALU_DEP_1)
	v_ashrrev_i32_e32 v45, 31, v44
	v_add_nc_u64_e32 v[44:45], v[42:43], v[44:45]
; %bb.82:
	s_and_not1_saveexec_b32 s0, s0
; %bb.83:
	v_add_nc_u64_e32 v[44:45], v[2:3], v[40:41]
; %bb.84:
	s_or_b32 exec_lo, exec_lo, s0
	s_delay_alu instid0(VALU_DEP_1)
	v_lshl_add_u64 v[44:45], v[44:45], 2, s[10:11]
	s_mov_b32 s0, exec_lo
	global_store_b32 v[44:45], v15, off
                                        ; implicit-def: $vgpr44_vgpr45
	s_wait_xcnt 0x0
	v_cmpx_ge_u32_e64 v38, v16
	s_xor_b32 s0, exec_lo, s0
; %bb.85:
	v_xor_b32_e32 v44, 0xfffffdff, v0
	s_delay_alu instid0(VALU_DEP_1) | instskip(NEXT) | instid1(VALU_DEP_1)
	v_ashrrev_i32_e32 v45, 31, v44
	v_add_nc_u64_e32 v[44:45], v[42:43], v[44:45]
; %bb.86:
	s_and_not1_saveexec_b32 s0, s0
; %bb.87:
	v_add_nc_u64_e32 v[44:45], v[2:3], v[38:39]
; %bb.88:
	s_or_b32 exec_lo, exec_lo, s0
	s_delay_alu instid0(VALU_DEP_1)
	v_lshl_add_u64 v[44:45], v[44:45], 2, s[10:11]
	s_mov_b32 s0, exec_lo
	s_wait_dscnt 0x5
	global_store_b32 v[44:45], v12, off
                                        ; implicit-def: $vgpr44_vgpr45
	s_wait_xcnt 0x0
	v_cmpx_ge_u32_e64 v36, v16
	s_xor_b32 s0, exec_lo, s0
; %bb.89:
	v_xor_b32_e32 v44, 0xfffffcff, v0
	s_delay_alu instid0(VALU_DEP_1) | instskip(NEXT) | instid1(VALU_DEP_1)
	v_ashrrev_i32_e32 v45, 31, v44
	v_add_nc_u64_e32 v[44:45], v[42:43], v[44:45]
; %bb.90:
	s_and_not1_saveexec_b32 s0, s0
; %bb.91:
	v_add_nc_u64_e32 v[44:45], v[2:3], v[36:37]
; %bb.92:
	s_or_b32 exec_lo, exec_lo, s0
	s_delay_alu instid0(VALU_DEP_1)
	v_lshl_add_u64 v[44:45], v[44:45], 2, s[10:11]
	s_mov_b32 s0, exec_lo
	global_store_b32 v[44:45], v13, off
                                        ; implicit-def: $vgpr44_vgpr45
	s_wait_xcnt 0x0
	v_cmpx_ge_u32_e64 v34, v16
	s_xor_b32 s0, exec_lo, s0
; %bb.93:
	v_xor_b32_e32 v44, 0xfffffbff, v0
	;; [unrolled: 39-line block ×6, first 2 shown]
	s_delay_alu instid0(VALU_DEP_1) | instskip(NEXT) | instid1(VALU_DEP_1)
	v_ashrrev_i32_e32 v45, 31, v44
	v_add_nc_u64_e32 v[44:45], v[42:43], v[44:45]
; %bb.126:
	s_and_not1_saveexec_b32 s0, s0
; %bb.127:
	v_add_nc_u64_e32 v[44:45], v[2:3], v[18:19]
; %bb.128:
	s_or_b32 exec_lo, exec_lo, s0
	s_mov_b32 s0, -1
.LBB795_129:
	s_delay_alu instid0(SALU_CYCLE_1)
	s_and_saveexec_b32 s1, s0
	s_cbranch_execz .LBB795_212
.LBB795_130:
	s_delay_alu instid0(VALU_DEP_1)
	v_lshl_add_u64 v[0:1], v[44:45], 2, s[10:11]
	s_wait_dscnt 0x0
	global_store_b32 v[0:1], v46, off
	s_wait_xcnt 0x0
	s_or_b32 exec_lo, exec_lo, s1
	s_and_b32 s0, s2, s9
	s_delay_alu instid0(SALU_CYCLE_1)
	s_and_saveexec_b32 s1, s0
	s_cbranch_execnz .LBB795_213
.LBB795_131:
	s_sendmsg sendmsg(MSG_DEALLOC_VGPRS)
	s_endpgm
.LBB795_132:
	s_mov_b32 s0, 0
                                        ; implicit-def: $vgpr44_vgpr45
	s_cbranch_execz .LBB795_129
; %bb.133:
	s_mov_b32 s15, 0
	v_mov_b32_e32 v17, 0
	s_add_nc_u64 s[4:5], s[16:17], s[14:15]
	s_mov_b32 s1, exec_lo
	s_sub_nc_u64 s[4:5], s[18:19], s[4:5]
	s_delay_alu instid0(VALU_DEP_1) | instid1(SALU_CYCLE_1)
	v_add_nc_u64_e32 v[42:43], s[4:5], v[16:17]
	s_delay_alu instid0(VALU_DEP_1)
	v_add_nc_u64_e32 v[42:43], v[42:43], v[2:3]
	v_cmpx_gt_u32_e64 s22, v0
	s_cbranch_execz .LBB795_169
; %bb.134:
	s_mov_b32 s3, exec_lo
                                        ; implicit-def: $vgpr44_vgpr45
	v_cmpx_ge_u32_e64 v0, v16
	s_xor_b32 s3, exec_lo, s3
; %bb.135:
	v_not_b32_e32 v44, v0
	s_delay_alu instid0(VALU_DEP_1) | instskip(NEXT) | instid1(VALU_DEP_1)
	v_ashrrev_i32_e32 v45, 31, v44
	v_add_nc_u64_e32 v[44:45], v[42:43], v[44:45]
; %bb.136:
	s_and_not1_saveexec_b32 s3, s3
; %bb.137:
	v_add_nc_u64_e32 v[44:45], v[2:3], v[0:1]
; %bb.138:
	s_or_b32 exec_lo, exec_lo, s3
	s_delay_alu instid0(VALU_DEP_1) | instskip(SKIP_4) | instid1(SALU_CYCLE_1)
	v_lshl_add_u64 v[44:45], v[44:45], 2, s[10:11]
	s_wait_dscnt 0x6
	global_store_b32 v[44:45], v14, off
	s_wait_xcnt 0x0
	s_or_b32 exec_lo, exec_lo, s1
	s_mov_b32 s1, exec_lo
	v_cmpx_gt_u32_e64 s22, v40
	s_cbranch_execnz .LBB795_170
.LBB795_139:
	s_or_b32 exec_lo, exec_lo, s1
	s_delay_alu instid0(SALU_CYCLE_1)
	s_mov_b32 s1, exec_lo
	v_cmpx_gt_u32_e64 s22, v38
	s_cbranch_execz .LBB795_175
.LBB795_140:
	s_mov_b32 s3, exec_lo
                                        ; implicit-def: $vgpr14_vgpr15
	v_cmpx_ge_u32_e64 v38, v16
	s_xor_b32 s3, exec_lo, s3
	s_cbranch_execz .LBB795_142
; %bb.141:
	s_wait_dscnt 0x6
	v_xor_b32_e32 v14, 0xfffffdff, v0
                                        ; implicit-def: $vgpr38_vgpr39
	s_delay_alu instid0(VALU_DEP_1) | instskip(NEXT) | instid1(VALU_DEP_1)
	v_ashrrev_i32_e32 v15, 31, v14
	v_add_nc_u64_e32 v[14:15], v[42:43], v[14:15]
.LBB795_142:
	s_and_not1_saveexec_b32 s3, s3
	s_cbranch_execz .LBB795_144
; %bb.143:
	s_wait_dscnt 0x6
	v_add_nc_u64_e32 v[14:15], v[2:3], v[38:39]
.LBB795_144:
	s_or_b32 exec_lo, exec_lo, s3
	s_wait_dscnt 0x6
	s_delay_alu instid0(VALU_DEP_1) | instskip(SKIP_4) | instid1(SALU_CYCLE_1)
	v_lshl_add_u64 v[14:15], v[14:15], 2, s[10:11]
	s_wait_dscnt 0x5
	global_store_b32 v[14:15], v12, off
	s_wait_xcnt 0x0
	s_or_b32 exec_lo, exec_lo, s1
	s_mov_b32 s1, exec_lo
	v_cmpx_gt_u32_e64 s22, v36
	s_cbranch_execnz .LBB795_176
.LBB795_145:
	s_or_b32 exec_lo, exec_lo, s1
	s_delay_alu instid0(SALU_CYCLE_1)
	s_mov_b32 s1, exec_lo
	v_cmpx_gt_u32_e64 s22, v34
	s_cbranch_execz .LBB795_181
.LBB795_146:
	s_mov_b32 s3, exec_lo
                                        ; implicit-def: $vgpr12_vgpr13
	v_cmpx_ge_u32_e64 v34, v16
	s_xor_b32 s3, exec_lo, s3
	s_cbranch_execz .LBB795_148
; %bb.147:
	s_wait_dscnt 0x5
	v_xor_b32_e32 v12, 0xfffffbff, v0
                                        ; implicit-def: $vgpr34_vgpr35
	s_delay_alu instid0(VALU_DEP_1) | instskip(NEXT) | instid1(VALU_DEP_1)
	v_ashrrev_i32_e32 v13, 31, v12
	v_add_nc_u64_e32 v[12:13], v[42:43], v[12:13]
.LBB795_148:
	s_and_not1_saveexec_b32 s3, s3
	s_cbranch_execz .LBB795_150
; %bb.149:
	s_wait_dscnt 0x5
	v_add_nc_u64_e32 v[12:13], v[2:3], v[34:35]
.LBB795_150:
	s_or_b32 exec_lo, exec_lo, s3
	s_wait_dscnt 0x5
	s_delay_alu instid0(VALU_DEP_1) | instskip(SKIP_4) | instid1(SALU_CYCLE_1)
	v_lshl_add_u64 v[12:13], v[12:13], 2, s[10:11]
	s_wait_dscnt 0x4
	global_store_b32 v[12:13], v10, off
	s_wait_xcnt 0x0
	s_or_b32 exec_lo, exec_lo, s1
	s_mov_b32 s1, exec_lo
	v_cmpx_gt_u32_e64 s22, v32
	s_cbranch_execnz .LBB795_182
.LBB795_151:
	s_or_b32 exec_lo, exec_lo, s1
	s_delay_alu instid0(SALU_CYCLE_1)
	s_mov_b32 s1, exec_lo
	v_cmpx_gt_u32_e64 s22, v30
	s_cbranch_execz .LBB795_187
.LBB795_152:
	s_mov_b32 s3, exec_lo
                                        ; implicit-def: $vgpr10_vgpr11
	v_cmpx_ge_u32_e64 v30, v16
	s_xor_b32 s3, exec_lo, s3
	s_cbranch_execz .LBB795_154
; %bb.153:
	s_wait_dscnt 0x4
	v_xor_b32_e32 v10, 0xfffff9ff, v0
                                        ; implicit-def: $vgpr30_vgpr31
	s_delay_alu instid0(VALU_DEP_1) | instskip(NEXT) | instid1(VALU_DEP_1)
	v_ashrrev_i32_e32 v11, 31, v10
	v_add_nc_u64_e32 v[10:11], v[42:43], v[10:11]
.LBB795_154:
	s_and_not1_saveexec_b32 s3, s3
	s_cbranch_execz .LBB795_156
; %bb.155:
	s_wait_dscnt 0x4
	v_add_nc_u64_e32 v[10:11], v[2:3], v[30:31]
.LBB795_156:
	s_or_b32 exec_lo, exec_lo, s3
	s_wait_dscnt 0x4
	s_delay_alu instid0(VALU_DEP_1) | instskip(SKIP_4) | instid1(SALU_CYCLE_1)
	v_lshl_add_u64 v[10:11], v[10:11], 2, s[10:11]
	s_wait_dscnt 0x3
	global_store_b32 v[10:11], v8, off
	s_wait_xcnt 0x0
	s_or_b32 exec_lo, exec_lo, s1
	s_mov_b32 s1, exec_lo
	v_cmpx_gt_u32_e64 s22, v28
	s_cbranch_execnz .LBB795_188
.LBB795_157:
	s_or_b32 exec_lo, exec_lo, s1
	s_delay_alu instid0(SALU_CYCLE_1)
	s_mov_b32 s1, exec_lo
	v_cmpx_gt_u32_e64 s22, v26
	s_cbranch_execz .LBB795_193
.LBB795_158:
	s_mov_b32 s3, exec_lo
                                        ; implicit-def: $vgpr8_vgpr9
	v_cmpx_ge_u32_e64 v26, v16
	s_xor_b32 s3, exec_lo, s3
	s_cbranch_execz .LBB795_160
; %bb.159:
	s_wait_dscnt 0x3
	v_xor_b32_e32 v8, 0xfffff7ff, v0
                                        ; implicit-def: $vgpr26_vgpr27
	s_delay_alu instid0(VALU_DEP_1) | instskip(NEXT) | instid1(VALU_DEP_1)
	v_ashrrev_i32_e32 v9, 31, v8
	v_add_nc_u64_e32 v[8:9], v[42:43], v[8:9]
.LBB795_160:
	s_and_not1_saveexec_b32 s3, s3
	s_cbranch_execz .LBB795_162
; %bb.161:
	s_wait_dscnt 0x3
	v_add_nc_u64_e32 v[8:9], v[2:3], v[26:27]
.LBB795_162:
	s_or_b32 exec_lo, exec_lo, s3
	s_wait_dscnt 0x3
	s_delay_alu instid0(VALU_DEP_1) | instskip(SKIP_4) | instid1(SALU_CYCLE_1)
	v_lshl_add_u64 v[8:9], v[8:9], 2, s[10:11]
	s_wait_dscnt 0x2
	global_store_b32 v[8:9], v6, off
	s_wait_xcnt 0x0
	s_or_b32 exec_lo, exec_lo, s1
	s_mov_b32 s1, exec_lo
	v_cmpx_gt_u32_e64 s22, v24
	s_cbranch_execnz .LBB795_194
.LBB795_163:
	s_or_b32 exec_lo, exec_lo, s1
	s_delay_alu instid0(SALU_CYCLE_1)
	s_mov_b32 s1, exec_lo
	v_cmpx_gt_u32_e64 s22, v22
	s_cbranch_execz .LBB795_199
.LBB795_164:
	s_mov_b32 s3, exec_lo
                                        ; implicit-def: $vgpr6_vgpr7
	v_cmpx_ge_u32_e64 v22, v16
	s_xor_b32 s3, exec_lo, s3
	s_cbranch_execz .LBB795_166
; %bb.165:
	s_wait_dscnt 0x2
	v_xor_b32_e32 v6, 0xfffff5ff, v0
                                        ; implicit-def: $vgpr22_vgpr23
	s_delay_alu instid0(VALU_DEP_1) | instskip(NEXT) | instid1(VALU_DEP_1)
	v_ashrrev_i32_e32 v7, 31, v6
	v_add_nc_u64_e32 v[6:7], v[42:43], v[6:7]
.LBB795_166:
	s_and_not1_saveexec_b32 s3, s3
	s_cbranch_execz .LBB795_168
; %bb.167:
	s_wait_dscnt 0x2
	v_add_nc_u64_e32 v[6:7], v[2:3], v[22:23]
.LBB795_168:
	s_or_b32 exec_lo, exec_lo, s3
	s_wait_dscnt 0x2
	s_delay_alu instid0(VALU_DEP_1) | instskip(SKIP_4) | instid1(SALU_CYCLE_1)
	v_lshl_add_u64 v[6:7], v[6:7], 2, s[10:11]
	s_wait_dscnt 0x1
	global_store_b32 v[6:7], v4, off
	s_wait_xcnt 0x0
	s_or_b32 exec_lo, exec_lo, s1
	s_mov_b32 s1, exec_lo
	v_cmpx_gt_u32_e64 s22, v20
	s_cbranch_execz .LBB795_205
	s_branch .LBB795_200
.LBB795_169:
	s_or_b32 exec_lo, exec_lo, s1
	s_delay_alu instid0(SALU_CYCLE_1)
	s_mov_b32 s1, exec_lo
	v_cmpx_gt_u32_e64 s22, v40
	s_cbranch_execz .LBB795_139
.LBB795_170:
	s_mov_b32 s3, exec_lo
                                        ; implicit-def: $vgpr44_vgpr45
	v_cmpx_ge_u32_e64 v40, v16
	s_xor_b32 s3, exec_lo, s3
; %bb.171:
	v_xor_b32_e32 v40, 0xfffffeff, v0
	s_delay_alu instid0(VALU_DEP_1) | instskip(NEXT) | instid1(VALU_DEP_1)
	v_ashrrev_i32_e32 v41, 31, v40
	v_add_nc_u64_e32 v[44:45], v[42:43], v[40:41]
                                        ; implicit-def: $vgpr40_vgpr41
; %bb.172:
	s_and_not1_saveexec_b32 s3, s3
; %bb.173:
	v_add_nc_u64_e32 v[44:45], v[2:3], v[40:41]
; %bb.174:
	s_or_b32 exec_lo, exec_lo, s3
	s_delay_alu instid0(VALU_DEP_1) | instskip(SKIP_4) | instid1(SALU_CYCLE_1)
	v_lshl_add_u64 v[40:41], v[44:45], 2, s[10:11]
	s_wait_dscnt 0x6
	global_store_b32 v[40:41], v15, off
	s_wait_xcnt 0x0
	s_or_b32 exec_lo, exec_lo, s1
	s_mov_b32 s1, exec_lo
	v_cmpx_gt_u32_e64 s22, v38
	s_cbranch_execnz .LBB795_140
.LBB795_175:
	s_or_b32 exec_lo, exec_lo, s1
	s_delay_alu instid0(SALU_CYCLE_1)
	s_mov_b32 s1, exec_lo
	v_cmpx_gt_u32_e64 s22, v36
	s_cbranch_execz .LBB795_145
.LBB795_176:
	s_mov_b32 s3, exec_lo
                                        ; implicit-def: $vgpr14_vgpr15
	v_cmpx_ge_u32_e64 v36, v16
	s_xor_b32 s3, exec_lo, s3
	s_cbranch_execz .LBB795_178
; %bb.177:
	s_wait_dscnt 0x6
	v_xor_b32_e32 v14, 0xfffffcff, v0
                                        ; implicit-def: $vgpr36_vgpr37
	s_delay_alu instid0(VALU_DEP_1) | instskip(NEXT) | instid1(VALU_DEP_1)
	v_ashrrev_i32_e32 v15, 31, v14
	v_add_nc_u64_e32 v[14:15], v[42:43], v[14:15]
.LBB795_178:
	s_and_not1_saveexec_b32 s3, s3
	s_cbranch_execz .LBB795_180
; %bb.179:
	s_wait_dscnt 0x6
	v_add_nc_u64_e32 v[14:15], v[2:3], v[36:37]
.LBB795_180:
	s_or_b32 exec_lo, exec_lo, s3
	s_wait_dscnt 0x6
	s_delay_alu instid0(VALU_DEP_1) | instskip(SKIP_4) | instid1(SALU_CYCLE_1)
	v_lshl_add_u64 v[14:15], v[14:15], 2, s[10:11]
	s_wait_dscnt 0x5
	global_store_b32 v[14:15], v13, off
	s_wait_xcnt 0x0
	s_or_b32 exec_lo, exec_lo, s1
	s_mov_b32 s1, exec_lo
	v_cmpx_gt_u32_e64 s22, v34
	s_cbranch_execnz .LBB795_146
.LBB795_181:
	s_or_b32 exec_lo, exec_lo, s1
	s_delay_alu instid0(SALU_CYCLE_1)
	s_mov_b32 s1, exec_lo
	v_cmpx_gt_u32_e64 s22, v32
	s_cbranch_execz .LBB795_151
.LBB795_182:
	s_mov_b32 s3, exec_lo
                                        ; implicit-def: $vgpr12_vgpr13
	v_cmpx_ge_u32_e64 v32, v16
	s_xor_b32 s3, exec_lo, s3
	s_cbranch_execz .LBB795_184
; %bb.183:
	s_wait_dscnt 0x5
	v_xor_b32_e32 v12, 0xfffffaff, v0
                                        ; implicit-def: $vgpr32_vgpr33
	s_delay_alu instid0(VALU_DEP_1) | instskip(NEXT) | instid1(VALU_DEP_1)
	v_ashrrev_i32_e32 v13, 31, v12
	v_add_nc_u64_e32 v[12:13], v[42:43], v[12:13]
.LBB795_184:
	s_and_not1_saveexec_b32 s3, s3
	s_cbranch_execz .LBB795_186
; %bb.185:
	s_wait_dscnt 0x5
	v_add_nc_u64_e32 v[12:13], v[2:3], v[32:33]
.LBB795_186:
	s_or_b32 exec_lo, exec_lo, s3
	s_wait_dscnt 0x5
	s_delay_alu instid0(VALU_DEP_1) | instskip(SKIP_4) | instid1(SALU_CYCLE_1)
	v_lshl_add_u64 v[12:13], v[12:13], 2, s[10:11]
	s_wait_dscnt 0x4
	global_store_b32 v[12:13], v11, off
	s_wait_xcnt 0x0
	s_or_b32 exec_lo, exec_lo, s1
	s_mov_b32 s1, exec_lo
	v_cmpx_gt_u32_e64 s22, v30
	s_cbranch_execnz .LBB795_152
.LBB795_187:
	s_or_b32 exec_lo, exec_lo, s1
	s_delay_alu instid0(SALU_CYCLE_1)
	s_mov_b32 s1, exec_lo
	v_cmpx_gt_u32_e64 s22, v28
	s_cbranch_execz .LBB795_157
.LBB795_188:
	s_mov_b32 s3, exec_lo
                                        ; implicit-def: $vgpr10_vgpr11
	v_cmpx_ge_u32_e64 v28, v16
	s_xor_b32 s3, exec_lo, s3
	s_cbranch_execz .LBB795_190
; %bb.189:
	s_wait_dscnt 0x4
	v_xor_b32_e32 v10, 0xfffff8ff, v0
                                        ; implicit-def: $vgpr28_vgpr29
	s_delay_alu instid0(VALU_DEP_1) | instskip(NEXT) | instid1(VALU_DEP_1)
	v_ashrrev_i32_e32 v11, 31, v10
	v_add_nc_u64_e32 v[10:11], v[42:43], v[10:11]
.LBB795_190:
	s_and_not1_saveexec_b32 s3, s3
	s_cbranch_execz .LBB795_192
; %bb.191:
	s_wait_dscnt 0x4
	v_add_nc_u64_e32 v[10:11], v[2:3], v[28:29]
.LBB795_192:
	s_or_b32 exec_lo, exec_lo, s3
	s_wait_dscnt 0x4
	s_delay_alu instid0(VALU_DEP_1) | instskip(SKIP_4) | instid1(SALU_CYCLE_1)
	v_lshl_add_u64 v[10:11], v[10:11], 2, s[10:11]
	s_wait_dscnt 0x3
	global_store_b32 v[10:11], v9, off
	s_wait_xcnt 0x0
	s_or_b32 exec_lo, exec_lo, s1
	s_mov_b32 s1, exec_lo
	v_cmpx_gt_u32_e64 s22, v26
	s_cbranch_execnz .LBB795_158
.LBB795_193:
	s_or_b32 exec_lo, exec_lo, s1
	s_delay_alu instid0(SALU_CYCLE_1)
	s_mov_b32 s1, exec_lo
	v_cmpx_gt_u32_e64 s22, v24
	s_cbranch_execz .LBB795_163
.LBB795_194:
	s_mov_b32 s3, exec_lo
                                        ; implicit-def: $vgpr8_vgpr9
	v_cmpx_ge_u32_e64 v24, v16
	s_xor_b32 s3, exec_lo, s3
	s_cbranch_execz .LBB795_196
; %bb.195:
	s_wait_dscnt 0x3
	v_xor_b32_e32 v8, 0xfffff6ff, v0
                                        ; implicit-def: $vgpr24_vgpr25
	s_delay_alu instid0(VALU_DEP_1) | instskip(NEXT) | instid1(VALU_DEP_1)
	v_ashrrev_i32_e32 v9, 31, v8
	v_add_nc_u64_e32 v[8:9], v[42:43], v[8:9]
.LBB795_196:
	s_and_not1_saveexec_b32 s3, s3
	s_cbranch_execz .LBB795_198
; %bb.197:
	s_wait_dscnt 0x3
	v_add_nc_u64_e32 v[8:9], v[2:3], v[24:25]
.LBB795_198:
	s_or_b32 exec_lo, exec_lo, s3
	s_wait_dscnt 0x3
	s_delay_alu instid0(VALU_DEP_1) | instskip(SKIP_4) | instid1(SALU_CYCLE_1)
	v_lshl_add_u64 v[8:9], v[8:9], 2, s[10:11]
	s_wait_dscnt 0x2
	global_store_b32 v[8:9], v7, off
	s_wait_xcnt 0x0
	s_or_b32 exec_lo, exec_lo, s1
	s_mov_b32 s1, exec_lo
	v_cmpx_gt_u32_e64 s22, v22
	s_cbranch_execnz .LBB795_164
.LBB795_199:
	s_or_b32 exec_lo, exec_lo, s1
	s_delay_alu instid0(SALU_CYCLE_1)
	s_mov_b32 s1, exec_lo
	v_cmpx_gt_u32_e64 s22, v20
	s_cbranch_execz .LBB795_205
.LBB795_200:
	s_mov_b32 s3, exec_lo
                                        ; implicit-def: $vgpr6_vgpr7
	v_cmpx_ge_u32_e64 v20, v16
	s_xor_b32 s3, exec_lo, s3
	s_cbranch_execz .LBB795_202
; %bb.201:
	s_wait_dscnt 0x2
	v_xor_b32_e32 v6, 0xfffff4ff, v0
                                        ; implicit-def: $vgpr20_vgpr21
	s_delay_alu instid0(VALU_DEP_1) | instskip(NEXT) | instid1(VALU_DEP_1)
	v_ashrrev_i32_e32 v7, 31, v6
	v_add_nc_u64_e32 v[6:7], v[42:43], v[6:7]
.LBB795_202:
	s_and_not1_saveexec_b32 s3, s3
	s_cbranch_execz .LBB795_204
; %bb.203:
	s_wait_dscnt 0x2
	v_add_nc_u64_e32 v[6:7], v[2:3], v[20:21]
.LBB795_204:
	s_or_b32 exec_lo, exec_lo, s3
	s_wait_dscnt 0x2
	s_delay_alu instid0(VALU_DEP_1)
	v_lshl_add_u64 v[6:7], v[6:7], 2, s[10:11]
	s_wait_dscnt 0x1
	global_store_b32 v[6:7], v5, off
.LBB795_205:
	s_wait_xcnt 0x0
	s_or_b32 exec_lo, exec_lo, s1
	s_delay_alu instid0(SALU_CYCLE_1)
	s_mov_b32 s1, exec_lo
                                        ; implicit-def: $vgpr44_vgpr45
	v_cmpx_gt_u32_e64 s22, v18
	s_cbranch_execz .LBB795_211
; %bb.206:
	s_mov_b32 s3, exec_lo
                                        ; implicit-def: $vgpr44_vgpr45
	v_cmpx_ge_u32_e64 v18, v16
	s_xor_b32 s3, exec_lo, s3
; %bb.207:
	v_xor_b32_e32 v0, 0xfffff3ff, v0
                                        ; implicit-def: $vgpr18_vgpr19
	s_delay_alu instid0(VALU_DEP_1) | instskip(NEXT) | instid1(VALU_DEP_1)
	v_ashrrev_i32_e32 v1, 31, v0
	v_add_nc_u64_e32 v[44:45], v[42:43], v[0:1]
; %bb.208:
	s_and_not1_saveexec_b32 s3, s3
; %bb.209:
	v_add_nc_u64_e32 v[44:45], v[2:3], v[18:19]
; %bb.210:
	s_or_b32 exec_lo, exec_lo, s3
	s_delay_alu instid0(SALU_CYCLE_1)
	s_or_b32 s0, s0, exec_lo
.LBB795_211:
	s_or_b32 exec_lo, exec_lo, s1
	s_and_saveexec_b32 s1, s0
	s_cbranch_execnz .LBB795_130
.LBB795_212:
	s_or_b32 exec_lo, exec_lo, s1
	s_and_b32 s0, s2, s9
	s_delay_alu instid0(SALU_CYCLE_1)
	s_and_saveexec_b32 s1, s0
	s_cbranch_execz .LBB795_131
.LBB795_213:
	v_mov_b32_e32 v17, 0
	s_delay_alu instid0(VALU_DEP_1)
	v_add_nc_u64_e32 v[0:1], v[2:3], v[16:17]
	global_store_b64 v17, v[0:1], s[12:13]
	s_sendmsg sendmsg(MSG_DEALLOC_VGPRS)
	s_endpgm
	.section	.rodata,"a",@progbits
	.p2align	6, 0x0
	.amdhsa_kernel _ZN7rocprim17ROCPRIM_400000_NS6detail17trampoline_kernelINS0_13select_configILj256ELj13ELNS0_17block_load_methodE3ELS4_3ELS4_3ELNS0_20block_scan_algorithmE0ELj4294967295EEENS1_25partition_config_selectorILNS1_17partition_subalgoE3EjNS0_10empty_typeEbEEZZNS1_14partition_implILS8_3ELb0ES6_jNS0_17counting_iteratorIjlEEPS9_SE_NS0_5tupleIJPjSE_EEENSF_IJSE_SE_EEES9_SG_JZNS1_25segmented_radix_sort_implINS0_14default_configELb0EPKlPlSM_SN_N2at6native12_GLOBAL__N_18offset_tEEE10hipError_tPvRmT1_PNSt15iterator_traitsISV_E10value_typeET2_T3_PNSW_IS11_E10value_typeET4_jRbjT5_S17_jjP12ihipStream_tbEUljE_EEESS_ST_SU_S11_S15_S17_T6_T7_T9_mT8_S19_bDpT10_ENKUlT_T0_E_clISt17integral_constantIbLb0EES1L_IbLb1EEEEDaS1H_S1I_EUlS1H_E_NS1_11comp_targetILNS1_3genE0ELNS1_11target_archE4294967295ELNS1_3gpuE0ELNS1_3repE0EEENS1_30default_config_static_selectorELNS0_4arch9wavefront6targetE0EEEvSV_
		.amdhsa_group_segment_fixed_size 13320
		.amdhsa_private_segment_fixed_size 0
		.amdhsa_kernarg_size 152
		.amdhsa_user_sgpr_count 2
		.amdhsa_user_sgpr_dispatch_ptr 0
		.amdhsa_user_sgpr_queue_ptr 0
		.amdhsa_user_sgpr_kernarg_segment_ptr 1
		.amdhsa_user_sgpr_dispatch_id 0
		.amdhsa_user_sgpr_kernarg_preload_length 0
		.amdhsa_user_sgpr_kernarg_preload_offset 0
		.amdhsa_user_sgpr_private_segment_size 0
		.amdhsa_wavefront_size32 1
		.amdhsa_uses_dynamic_stack 0
		.amdhsa_enable_private_segment 0
		.amdhsa_system_sgpr_workgroup_id_x 1
		.amdhsa_system_sgpr_workgroup_id_y 0
		.amdhsa_system_sgpr_workgroup_id_z 0
		.amdhsa_system_sgpr_workgroup_info 0
		.amdhsa_system_vgpr_workitem_id 0
		.amdhsa_next_free_vgpr 72
		.amdhsa_next_free_sgpr 24
		.amdhsa_named_barrier_count 0
		.amdhsa_reserve_vcc 1
		.amdhsa_float_round_mode_32 0
		.amdhsa_float_round_mode_16_64 0
		.amdhsa_float_denorm_mode_32 3
		.amdhsa_float_denorm_mode_16_64 3
		.amdhsa_fp16_overflow 0
		.amdhsa_memory_ordered 1
		.amdhsa_forward_progress 1
		.amdhsa_inst_pref_size 71
		.amdhsa_round_robin_scheduling 0
		.amdhsa_exception_fp_ieee_invalid_op 0
		.amdhsa_exception_fp_denorm_src 0
		.amdhsa_exception_fp_ieee_div_zero 0
		.amdhsa_exception_fp_ieee_overflow 0
		.amdhsa_exception_fp_ieee_underflow 0
		.amdhsa_exception_fp_ieee_inexact 0
		.amdhsa_exception_int_div_zero 0
	.end_amdhsa_kernel
	.section	.text._ZN7rocprim17ROCPRIM_400000_NS6detail17trampoline_kernelINS0_13select_configILj256ELj13ELNS0_17block_load_methodE3ELS4_3ELS4_3ELNS0_20block_scan_algorithmE0ELj4294967295EEENS1_25partition_config_selectorILNS1_17partition_subalgoE3EjNS0_10empty_typeEbEEZZNS1_14partition_implILS8_3ELb0ES6_jNS0_17counting_iteratorIjlEEPS9_SE_NS0_5tupleIJPjSE_EEENSF_IJSE_SE_EEES9_SG_JZNS1_25segmented_radix_sort_implINS0_14default_configELb0EPKlPlSM_SN_N2at6native12_GLOBAL__N_18offset_tEEE10hipError_tPvRmT1_PNSt15iterator_traitsISV_E10value_typeET2_T3_PNSW_IS11_E10value_typeET4_jRbjT5_S17_jjP12ihipStream_tbEUljE_EEESS_ST_SU_S11_S15_S17_T6_T7_T9_mT8_S19_bDpT10_ENKUlT_T0_E_clISt17integral_constantIbLb0EES1L_IbLb1EEEEDaS1H_S1I_EUlS1H_E_NS1_11comp_targetILNS1_3genE0ELNS1_11target_archE4294967295ELNS1_3gpuE0ELNS1_3repE0EEENS1_30default_config_static_selectorELNS0_4arch9wavefront6targetE0EEEvSV_,"axG",@progbits,_ZN7rocprim17ROCPRIM_400000_NS6detail17trampoline_kernelINS0_13select_configILj256ELj13ELNS0_17block_load_methodE3ELS4_3ELS4_3ELNS0_20block_scan_algorithmE0ELj4294967295EEENS1_25partition_config_selectorILNS1_17partition_subalgoE3EjNS0_10empty_typeEbEEZZNS1_14partition_implILS8_3ELb0ES6_jNS0_17counting_iteratorIjlEEPS9_SE_NS0_5tupleIJPjSE_EEENSF_IJSE_SE_EEES9_SG_JZNS1_25segmented_radix_sort_implINS0_14default_configELb0EPKlPlSM_SN_N2at6native12_GLOBAL__N_18offset_tEEE10hipError_tPvRmT1_PNSt15iterator_traitsISV_E10value_typeET2_T3_PNSW_IS11_E10value_typeET4_jRbjT5_S17_jjP12ihipStream_tbEUljE_EEESS_ST_SU_S11_S15_S17_T6_T7_T9_mT8_S19_bDpT10_ENKUlT_T0_E_clISt17integral_constantIbLb0EES1L_IbLb1EEEEDaS1H_S1I_EUlS1H_E_NS1_11comp_targetILNS1_3genE0ELNS1_11target_archE4294967295ELNS1_3gpuE0ELNS1_3repE0EEENS1_30default_config_static_selectorELNS0_4arch9wavefront6targetE0EEEvSV_,comdat
.Lfunc_end795:
	.size	_ZN7rocprim17ROCPRIM_400000_NS6detail17trampoline_kernelINS0_13select_configILj256ELj13ELNS0_17block_load_methodE3ELS4_3ELS4_3ELNS0_20block_scan_algorithmE0ELj4294967295EEENS1_25partition_config_selectorILNS1_17partition_subalgoE3EjNS0_10empty_typeEbEEZZNS1_14partition_implILS8_3ELb0ES6_jNS0_17counting_iteratorIjlEEPS9_SE_NS0_5tupleIJPjSE_EEENSF_IJSE_SE_EEES9_SG_JZNS1_25segmented_radix_sort_implINS0_14default_configELb0EPKlPlSM_SN_N2at6native12_GLOBAL__N_18offset_tEEE10hipError_tPvRmT1_PNSt15iterator_traitsISV_E10value_typeET2_T3_PNSW_IS11_E10value_typeET4_jRbjT5_S17_jjP12ihipStream_tbEUljE_EEESS_ST_SU_S11_S15_S17_T6_T7_T9_mT8_S19_bDpT10_ENKUlT_T0_E_clISt17integral_constantIbLb0EES1L_IbLb1EEEEDaS1H_S1I_EUlS1H_E_NS1_11comp_targetILNS1_3genE0ELNS1_11target_archE4294967295ELNS1_3gpuE0ELNS1_3repE0EEENS1_30default_config_static_selectorELNS0_4arch9wavefront6targetE0EEEvSV_, .Lfunc_end795-_ZN7rocprim17ROCPRIM_400000_NS6detail17trampoline_kernelINS0_13select_configILj256ELj13ELNS0_17block_load_methodE3ELS4_3ELS4_3ELNS0_20block_scan_algorithmE0ELj4294967295EEENS1_25partition_config_selectorILNS1_17partition_subalgoE3EjNS0_10empty_typeEbEEZZNS1_14partition_implILS8_3ELb0ES6_jNS0_17counting_iteratorIjlEEPS9_SE_NS0_5tupleIJPjSE_EEENSF_IJSE_SE_EEES9_SG_JZNS1_25segmented_radix_sort_implINS0_14default_configELb0EPKlPlSM_SN_N2at6native12_GLOBAL__N_18offset_tEEE10hipError_tPvRmT1_PNSt15iterator_traitsISV_E10value_typeET2_T3_PNSW_IS11_E10value_typeET4_jRbjT5_S17_jjP12ihipStream_tbEUljE_EEESS_ST_SU_S11_S15_S17_T6_T7_T9_mT8_S19_bDpT10_ENKUlT_T0_E_clISt17integral_constantIbLb0EES1L_IbLb1EEEEDaS1H_S1I_EUlS1H_E_NS1_11comp_targetILNS1_3genE0ELNS1_11target_archE4294967295ELNS1_3gpuE0ELNS1_3repE0EEENS1_30default_config_static_selectorELNS0_4arch9wavefront6targetE0EEEvSV_
                                        ; -- End function
	.set _ZN7rocprim17ROCPRIM_400000_NS6detail17trampoline_kernelINS0_13select_configILj256ELj13ELNS0_17block_load_methodE3ELS4_3ELS4_3ELNS0_20block_scan_algorithmE0ELj4294967295EEENS1_25partition_config_selectorILNS1_17partition_subalgoE3EjNS0_10empty_typeEbEEZZNS1_14partition_implILS8_3ELb0ES6_jNS0_17counting_iteratorIjlEEPS9_SE_NS0_5tupleIJPjSE_EEENSF_IJSE_SE_EEES9_SG_JZNS1_25segmented_radix_sort_implINS0_14default_configELb0EPKlPlSM_SN_N2at6native12_GLOBAL__N_18offset_tEEE10hipError_tPvRmT1_PNSt15iterator_traitsISV_E10value_typeET2_T3_PNSW_IS11_E10value_typeET4_jRbjT5_S17_jjP12ihipStream_tbEUljE_EEESS_ST_SU_S11_S15_S17_T6_T7_T9_mT8_S19_bDpT10_ENKUlT_T0_E_clISt17integral_constantIbLb0EES1L_IbLb1EEEEDaS1H_S1I_EUlS1H_E_NS1_11comp_targetILNS1_3genE0ELNS1_11target_archE4294967295ELNS1_3gpuE0ELNS1_3repE0EEENS1_30default_config_static_selectorELNS0_4arch9wavefront6targetE0EEEvSV_.num_vgpr, 72
	.set _ZN7rocprim17ROCPRIM_400000_NS6detail17trampoline_kernelINS0_13select_configILj256ELj13ELNS0_17block_load_methodE3ELS4_3ELS4_3ELNS0_20block_scan_algorithmE0ELj4294967295EEENS1_25partition_config_selectorILNS1_17partition_subalgoE3EjNS0_10empty_typeEbEEZZNS1_14partition_implILS8_3ELb0ES6_jNS0_17counting_iteratorIjlEEPS9_SE_NS0_5tupleIJPjSE_EEENSF_IJSE_SE_EEES9_SG_JZNS1_25segmented_radix_sort_implINS0_14default_configELb0EPKlPlSM_SN_N2at6native12_GLOBAL__N_18offset_tEEE10hipError_tPvRmT1_PNSt15iterator_traitsISV_E10value_typeET2_T3_PNSW_IS11_E10value_typeET4_jRbjT5_S17_jjP12ihipStream_tbEUljE_EEESS_ST_SU_S11_S15_S17_T6_T7_T9_mT8_S19_bDpT10_ENKUlT_T0_E_clISt17integral_constantIbLb0EES1L_IbLb1EEEEDaS1H_S1I_EUlS1H_E_NS1_11comp_targetILNS1_3genE0ELNS1_11target_archE4294967295ELNS1_3gpuE0ELNS1_3repE0EEENS1_30default_config_static_selectorELNS0_4arch9wavefront6targetE0EEEvSV_.num_agpr, 0
	.set _ZN7rocprim17ROCPRIM_400000_NS6detail17trampoline_kernelINS0_13select_configILj256ELj13ELNS0_17block_load_methodE3ELS4_3ELS4_3ELNS0_20block_scan_algorithmE0ELj4294967295EEENS1_25partition_config_selectorILNS1_17partition_subalgoE3EjNS0_10empty_typeEbEEZZNS1_14partition_implILS8_3ELb0ES6_jNS0_17counting_iteratorIjlEEPS9_SE_NS0_5tupleIJPjSE_EEENSF_IJSE_SE_EEES9_SG_JZNS1_25segmented_radix_sort_implINS0_14default_configELb0EPKlPlSM_SN_N2at6native12_GLOBAL__N_18offset_tEEE10hipError_tPvRmT1_PNSt15iterator_traitsISV_E10value_typeET2_T3_PNSW_IS11_E10value_typeET4_jRbjT5_S17_jjP12ihipStream_tbEUljE_EEESS_ST_SU_S11_S15_S17_T6_T7_T9_mT8_S19_bDpT10_ENKUlT_T0_E_clISt17integral_constantIbLb0EES1L_IbLb1EEEEDaS1H_S1I_EUlS1H_E_NS1_11comp_targetILNS1_3genE0ELNS1_11target_archE4294967295ELNS1_3gpuE0ELNS1_3repE0EEENS1_30default_config_static_selectorELNS0_4arch9wavefront6targetE0EEEvSV_.numbered_sgpr, 24
	.set _ZN7rocprim17ROCPRIM_400000_NS6detail17trampoline_kernelINS0_13select_configILj256ELj13ELNS0_17block_load_methodE3ELS4_3ELS4_3ELNS0_20block_scan_algorithmE0ELj4294967295EEENS1_25partition_config_selectorILNS1_17partition_subalgoE3EjNS0_10empty_typeEbEEZZNS1_14partition_implILS8_3ELb0ES6_jNS0_17counting_iteratorIjlEEPS9_SE_NS0_5tupleIJPjSE_EEENSF_IJSE_SE_EEES9_SG_JZNS1_25segmented_radix_sort_implINS0_14default_configELb0EPKlPlSM_SN_N2at6native12_GLOBAL__N_18offset_tEEE10hipError_tPvRmT1_PNSt15iterator_traitsISV_E10value_typeET2_T3_PNSW_IS11_E10value_typeET4_jRbjT5_S17_jjP12ihipStream_tbEUljE_EEESS_ST_SU_S11_S15_S17_T6_T7_T9_mT8_S19_bDpT10_ENKUlT_T0_E_clISt17integral_constantIbLb0EES1L_IbLb1EEEEDaS1H_S1I_EUlS1H_E_NS1_11comp_targetILNS1_3genE0ELNS1_11target_archE4294967295ELNS1_3gpuE0ELNS1_3repE0EEENS1_30default_config_static_selectorELNS0_4arch9wavefront6targetE0EEEvSV_.num_named_barrier, 0
	.set _ZN7rocprim17ROCPRIM_400000_NS6detail17trampoline_kernelINS0_13select_configILj256ELj13ELNS0_17block_load_methodE3ELS4_3ELS4_3ELNS0_20block_scan_algorithmE0ELj4294967295EEENS1_25partition_config_selectorILNS1_17partition_subalgoE3EjNS0_10empty_typeEbEEZZNS1_14partition_implILS8_3ELb0ES6_jNS0_17counting_iteratorIjlEEPS9_SE_NS0_5tupleIJPjSE_EEENSF_IJSE_SE_EEES9_SG_JZNS1_25segmented_radix_sort_implINS0_14default_configELb0EPKlPlSM_SN_N2at6native12_GLOBAL__N_18offset_tEEE10hipError_tPvRmT1_PNSt15iterator_traitsISV_E10value_typeET2_T3_PNSW_IS11_E10value_typeET4_jRbjT5_S17_jjP12ihipStream_tbEUljE_EEESS_ST_SU_S11_S15_S17_T6_T7_T9_mT8_S19_bDpT10_ENKUlT_T0_E_clISt17integral_constantIbLb0EES1L_IbLb1EEEEDaS1H_S1I_EUlS1H_E_NS1_11comp_targetILNS1_3genE0ELNS1_11target_archE4294967295ELNS1_3gpuE0ELNS1_3repE0EEENS1_30default_config_static_selectorELNS0_4arch9wavefront6targetE0EEEvSV_.private_seg_size, 0
	.set _ZN7rocprim17ROCPRIM_400000_NS6detail17trampoline_kernelINS0_13select_configILj256ELj13ELNS0_17block_load_methodE3ELS4_3ELS4_3ELNS0_20block_scan_algorithmE0ELj4294967295EEENS1_25partition_config_selectorILNS1_17partition_subalgoE3EjNS0_10empty_typeEbEEZZNS1_14partition_implILS8_3ELb0ES6_jNS0_17counting_iteratorIjlEEPS9_SE_NS0_5tupleIJPjSE_EEENSF_IJSE_SE_EEES9_SG_JZNS1_25segmented_radix_sort_implINS0_14default_configELb0EPKlPlSM_SN_N2at6native12_GLOBAL__N_18offset_tEEE10hipError_tPvRmT1_PNSt15iterator_traitsISV_E10value_typeET2_T3_PNSW_IS11_E10value_typeET4_jRbjT5_S17_jjP12ihipStream_tbEUljE_EEESS_ST_SU_S11_S15_S17_T6_T7_T9_mT8_S19_bDpT10_ENKUlT_T0_E_clISt17integral_constantIbLb0EES1L_IbLb1EEEEDaS1H_S1I_EUlS1H_E_NS1_11comp_targetILNS1_3genE0ELNS1_11target_archE4294967295ELNS1_3gpuE0ELNS1_3repE0EEENS1_30default_config_static_selectorELNS0_4arch9wavefront6targetE0EEEvSV_.uses_vcc, 1
	.set _ZN7rocprim17ROCPRIM_400000_NS6detail17trampoline_kernelINS0_13select_configILj256ELj13ELNS0_17block_load_methodE3ELS4_3ELS4_3ELNS0_20block_scan_algorithmE0ELj4294967295EEENS1_25partition_config_selectorILNS1_17partition_subalgoE3EjNS0_10empty_typeEbEEZZNS1_14partition_implILS8_3ELb0ES6_jNS0_17counting_iteratorIjlEEPS9_SE_NS0_5tupleIJPjSE_EEENSF_IJSE_SE_EEES9_SG_JZNS1_25segmented_radix_sort_implINS0_14default_configELb0EPKlPlSM_SN_N2at6native12_GLOBAL__N_18offset_tEEE10hipError_tPvRmT1_PNSt15iterator_traitsISV_E10value_typeET2_T3_PNSW_IS11_E10value_typeET4_jRbjT5_S17_jjP12ihipStream_tbEUljE_EEESS_ST_SU_S11_S15_S17_T6_T7_T9_mT8_S19_bDpT10_ENKUlT_T0_E_clISt17integral_constantIbLb0EES1L_IbLb1EEEEDaS1H_S1I_EUlS1H_E_NS1_11comp_targetILNS1_3genE0ELNS1_11target_archE4294967295ELNS1_3gpuE0ELNS1_3repE0EEENS1_30default_config_static_selectorELNS0_4arch9wavefront6targetE0EEEvSV_.uses_flat_scratch, 0
	.set _ZN7rocprim17ROCPRIM_400000_NS6detail17trampoline_kernelINS0_13select_configILj256ELj13ELNS0_17block_load_methodE3ELS4_3ELS4_3ELNS0_20block_scan_algorithmE0ELj4294967295EEENS1_25partition_config_selectorILNS1_17partition_subalgoE3EjNS0_10empty_typeEbEEZZNS1_14partition_implILS8_3ELb0ES6_jNS0_17counting_iteratorIjlEEPS9_SE_NS0_5tupleIJPjSE_EEENSF_IJSE_SE_EEES9_SG_JZNS1_25segmented_radix_sort_implINS0_14default_configELb0EPKlPlSM_SN_N2at6native12_GLOBAL__N_18offset_tEEE10hipError_tPvRmT1_PNSt15iterator_traitsISV_E10value_typeET2_T3_PNSW_IS11_E10value_typeET4_jRbjT5_S17_jjP12ihipStream_tbEUljE_EEESS_ST_SU_S11_S15_S17_T6_T7_T9_mT8_S19_bDpT10_ENKUlT_T0_E_clISt17integral_constantIbLb0EES1L_IbLb1EEEEDaS1H_S1I_EUlS1H_E_NS1_11comp_targetILNS1_3genE0ELNS1_11target_archE4294967295ELNS1_3gpuE0ELNS1_3repE0EEENS1_30default_config_static_selectorELNS0_4arch9wavefront6targetE0EEEvSV_.has_dyn_sized_stack, 0
	.set _ZN7rocprim17ROCPRIM_400000_NS6detail17trampoline_kernelINS0_13select_configILj256ELj13ELNS0_17block_load_methodE3ELS4_3ELS4_3ELNS0_20block_scan_algorithmE0ELj4294967295EEENS1_25partition_config_selectorILNS1_17partition_subalgoE3EjNS0_10empty_typeEbEEZZNS1_14partition_implILS8_3ELb0ES6_jNS0_17counting_iteratorIjlEEPS9_SE_NS0_5tupleIJPjSE_EEENSF_IJSE_SE_EEES9_SG_JZNS1_25segmented_radix_sort_implINS0_14default_configELb0EPKlPlSM_SN_N2at6native12_GLOBAL__N_18offset_tEEE10hipError_tPvRmT1_PNSt15iterator_traitsISV_E10value_typeET2_T3_PNSW_IS11_E10value_typeET4_jRbjT5_S17_jjP12ihipStream_tbEUljE_EEESS_ST_SU_S11_S15_S17_T6_T7_T9_mT8_S19_bDpT10_ENKUlT_T0_E_clISt17integral_constantIbLb0EES1L_IbLb1EEEEDaS1H_S1I_EUlS1H_E_NS1_11comp_targetILNS1_3genE0ELNS1_11target_archE4294967295ELNS1_3gpuE0ELNS1_3repE0EEENS1_30default_config_static_selectorELNS0_4arch9wavefront6targetE0EEEvSV_.has_recursion, 0
	.set _ZN7rocprim17ROCPRIM_400000_NS6detail17trampoline_kernelINS0_13select_configILj256ELj13ELNS0_17block_load_methodE3ELS4_3ELS4_3ELNS0_20block_scan_algorithmE0ELj4294967295EEENS1_25partition_config_selectorILNS1_17partition_subalgoE3EjNS0_10empty_typeEbEEZZNS1_14partition_implILS8_3ELb0ES6_jNS0_17counting_iteratorIjlEEPS9_SE_NS0_5tupleIJPjSE_EEENSF_IJSE_SE_EEES9_SG_JZNS1_25segmented_radix_sort_implINS0_14default_configELb0EPKlPlSM_SN_N2at6native12_GLOBAL__N_18offset_tEEE10hipError_tPvRmT1_PNSt15iterator_traitsISV_E10value_typeET2_T3_PNSW_IS11_E10value_typeET4_jRbjT5_S17_jjP12ihipStream_tbEUljE_EEESS_ST_SU_S11_S15_S17_T6_T7_T9_mT8_S19_bDpT10_ENKUlT_T0_E_clISt17integral_constantIbLb0EES1L_IbLb1EEEEDaS1H_S1I_EUlS1H_E_NS1_11comp_targetILNS1_3genE0ELNS1_11target_archE4294967295ELNS1_3gpuE0ELNS1_3repE0EEENS1_30default_config_static_selectorELNS0_4arch9wavefront6targetE0EEEvSV_.has_indirect_call, 0
	.section	.AMDGPU.csdata,"",@progbits
; Kernel info:
; codeLenInByte = 9040
; TotalNumSgprs: 26
; NumVgprs: 72
; ScratchSize: 0
; MemoryBound: 0
; FloatMode: 240
; IeeeMode: 1
; LDSByteSize: 13320 bytes/workgroup (compile time only)
; SGPRBlocks: 0
; VGPRBlocks: 4
; NumSGPRsForWavesPerEU: 26
; NumVGPRsForWavesPerEU: 72
; NamedBarCnt: 0
; Occupancy: 12
; WaveLimiterHint : 0
; COMPUTE_PGM_RSRC2:SCRATCH_EN: 0
; COMPUTE_PGM_RSRC2:USER_SGPR: 2
; COMPUTE_PGM_RSRC2:TRAP_HANDLER: 0
; COMPUTE_PGM_RSRC2:TGID_X_EN: 1
; COMPUTE_PGM_RSRC2:TGID_Y_EN: 0
; COMPUTE_PGM_RSRC2:TGID_Z_EN: 0
; COMPUTE_PGM_RSRC2:TIDIG_COMP_CNT: 0
	.section	.text._ZN7rocprim17ROCPRIM_400000_NS6detail17trampoline_kernelINS0_13select_configILj256ELj13ELNS0_17block_load_methodE3ELS4_3ELS4_3ELNS0_20block_scan_algorithmE0ELj4294967295EEENS1_25partition_config_selectorILNS1_17partition_subalgoE3EjNS0_10empty_typeEbEEZZNS1_14partition_implILS8_3ELb0ES6_jNS0_17counting_iteratorIjlEEPS9_SE_NS0_5tupleIJPjSE_EEENSF_IJSE_SE_EEES9_SG_JZNS1_25segmented_radix_sort_implINS0_14default_configELb0EPKlPlSM_SN_N2at6native12_GLOBAL__N_18offset_tEEE10hipError_tPvRmT1_PNSt15iterator_traitsISV_E10value_typeET2_T3_PNSW_IS11_E10value_typeET4_jRbjT5_S17_jjP12ihipStream_tbEUljE_EEESS_ST_SU_S11_S15_S17_T6_T7_T9_mT8_S19_bDpT10_ENKUlT_T0_E_clISt17integral_constantIbLb0EES1L_IbLb1EEEEDaS1H_S1I_EUlS1H_E_NS1_11comp_targetILNS1_3genE5ELNS1_11target_archE942ELNS1_3gpuE9ELNS1_3repE0EEENS1_30default_config_static_selectorELNS0_4arch9wavefront6targetE0EEEvSV_,"axG",@progbits,_ZN7rocprim17ROCPRIM_400000_NS6detail17trampoline_kernelINS0_13select_configILj256ELj13ELNS0_17block_load_methodE3ELS4_3ELS4_3ELNS0_20block_scan_algorithmE0ELj4294967295EEENS1_25partition_config_selectorILNS1_17partition_subalgoE3EjNS0_10empty_typeEbEEZZNS1_14partition_implILS8_3ELb0ES6_jNS0_17counting_iteratorIjlEEPS9_SE_NS0_5tupleIJPjSE_EEENSF_IJSE_SE_EEES9_SG_JZNS1_25segmented_radix_sort_implINS0_14default_configELb0EPKlPlSM_SN_N2at6native12_GLOBAL__N_18offset_tEEE10hipError_tPvRmT1_PNSt15iterator_traitsISV_E10value_typeET2_T3_PNSW_IS11_E10value_typeET4_jRbjT5_S17_jjP12ihipStream_tbEUljE_EEESS_ST_SU_S11_S15_S17_T6_T7_T9_mT8_S19_bDpT10_ENKUlT_T0_E_clISt17integral_constantIbLb0EES1L_IbLb1EEEEDaS1H_S1I_EUlS1H_E_NS1_11comp_targetILNS1_3genE5ELNS1_11target_archE942ELNS1_3gpuE9ELNS1_3repE0EEENS1_30default_config_static_selectorELNS0_4arch9wavefront6targetE0EEEvSV_,comdat
	.globl	_ZN7rocprim17ROCPRIM_400000_NS6detail17trampoline_kernelINS0_13select_configILj256ELj13ELNS0_17block_load_methodE3ELS4_3ELS4_3ELNS0_20block_scan_algorithmE0ELj4294967295EEENS1_25partition_config_selectorILNS1_17partition_subalgoE3EjNS0_10empty_typeEbEEZZNS1_14partition_implILS8_3ELb0ES6_jNS0_17counting_iteratorIjlEEPS9_SE_NS0_5tupleIJPjSE_EEENSF_IJSE_SE_EEES9_SG_JZNS1_25segmented_radix_sort_implINS0_14default_configELb0EPKlPlSM_SN_N2at6native12_GLOBAL__N_18offset_tEEE10hipError_tPvRmT1_PNSt15iterator_traitsISV_E10value_typeET2_T3_PNSW_IS11_E10value_typeET4_jRbjT5_S17_jjP12ihipStream_tbEUljE_EEESS_ST_SU_S11_S15_S17_T6_T7_T9_mT8_S19_bDpT10_ENKUlT_T0_E_clISt17integral_constantIbLb0EES1L_IbLb1EEEEDaS1H_S1I_EUlS1H_E_NS1_11comp_targetILNS1_3genE5ELNS1_11target_archE942ELNS1_3gpuE9ELNS1_3repE0EEENS1_30default_config_static_selectorELNS0_4arch9wavefront6targetE0EEEvSV_ ; -- Begin function _ZN7rocprim17ROCPRIM_400000_NS6detail17trampoline_kernelINS0_13select_configILj256ELj13ELNS0_17block_load_methodE3ELS4_3ELS4_3ELNS0_20block_scan_algorithmE0ELj4294967295EEENS1_25partition_config_selectorILNS1_17partition_subalgoE3EjNS0_10empty_typeEbEEZZNS1_14partition_implILS8_3ELb0ES6_jNS0_17counting_iteratorIjlEEPS9_SE_NS0_5tupleIJPjSE_EEENSF_IJSE_SE_EEES9_SG_JZNS1_25segmented_radix_sort_implINS0_14default_configELb0EPKlPlSM_SN_N2at6native12_GLOBAL__N_18offset_tEEE10hipError_tPvRmT1_PNSt15iterator_traitsISV_E10value_typeET2_T3_PNSW_IS11_E10value_typeET4_jRbjT5_S17_jjP12ihipStream_tbEUljE_EEESS_ST_SU_S11_S15_S17_T6_T7_T9_mT8_S19_bDpT10_ENKUlT_T0_E_clISt17integral_constantIbLb0EES1L_IbLb1EEEEDaS1H_S1I_EUlS1H_E_NS1_11comp_targetILNS1_3genE5ELNS1_11target_archE942ELNS1_3gpuE9ELNS1_3repE0EEENS1_30default_config_static_selectorELNS0_4arch9wavefront6targetE0EEEvSV_
	.p2align	8
	.type	_ZN7rocprim17ROCPRIM_400000_NS6detail17trampoline_kernelINS0_13select_configILj256ELj13ELNS0_17block_load_methodE3ELS4_3ELS4_3ELNS0_20block_scan_algorithmE0ELj4294967295EEENS1_25partition_config_selectorILNS1_17partition_subalgoE3EjNS0_10empty_typeEbEEZZNS1_14partition_implILS8_3ELb0ES6_jNS0_17counting_iteratorIjlEEPS9_SE_NS0_5tupleIJPjSE_EEENSF_IJSE_SE_EEES9_SG_JZNS1_25segmented_radix_sort_implINS0_14default_configELb0EPKlPlSM_SN_N2at6native12_GLOBAL__N_18offset_tEEE10hipError_tPvRmT1_PNSt15iterator_traitsISV_E10value_typeET2_T3_PNSW_IS11_E10value_typeET4_jRbjT5_S17_jjP12ihipStream_tbEUljE_EEESS_ST_SU_S11_S15_S17_T6_T7_T9_mT8_S19_bDpT10_ENKUlT_T0_E_clISt17integral_constantIbLb0EES1L_IbLb1EEEEDaS1H_S1I_EUlS1H_E_NS1_11comp_targetILNS1_3genE5ELNS1_11target_archE942ELNS1_3gpuE9ELNS1_3repE0EEENS1_30default_config_static_selectorELNS0_4arch9wavefront6targetE0EEEvSV_,@function
_ZN7rocprim17ROCPRIM_400000_NS6detail17trampoline_kernelINS0_13select_configILj256ELj13ELNS0_17block_load_methodE3ELS4_3ELS4_3ELNS0_20block_scan_algorithmE0ELj4294967295EEENS1_25partition_config_selectorILNS1_17partition_subalgoE3EjNS0_10empty_typeEbEEZZNS1_14partition_implILS8_3ELb0ES6_jNS0_17counting_iteratorIjlEEPS9_SE_NS0_5tupleIJPjSE_EEENSF_IJSE_SE_EEES9_SG_JZNS1_25segmented_radix_sort_implINS0_14default_configELb0EPKlPlSM_SN_N2at6native12_GLOBAL__N_18offset_tEEE10hipError_tPvRmT1_PNSt15iterator_traitsISV_E10value_typeET2_T3_PNSW_IS11_E10value_typeET4_jRbjT5_S17_jjP12ihipStream_tbEUljE_EEESS_ST_SU_S11_S15_S17_T6_T7_T9_mT8_S19_bDpT10_ENKUlT_T0_E_clISt17integral_constantIbLb0EES1L_IbLb1EEEEDaS1H_S1I_EUlS1H_E_NS1_11comp_targetILNS1_3genE5ELNS1_11target_archE942ELNS1_3gpuE9ELNS1_3repE0EEENS1_30default_config_static_selectorELNS0_4arch9wavefront6targetE0EEEvSV_: ; @_ZN7rocprim17ROCPRIM_400000_NS6detail17trampoline_kernelINS0_13select_configILj256ELj13ELNS0_17block_load_methodE3ELS4_3ELS4_3ELNS0_20block_scan_algorithmE0ELj4294967295EEENS1_25partition_config_selectorILNS1_17partition_subalgoE3EjNS0_10empty_typeEbEEZZNS1_14partition_implILS8_3ELb0ES6_jNS0_17counting_iteratorIjlEEPS9_SE_NS0_5tupleIJPjSE_EEENSF_IJSE_SE_EEES9_SG_JZNS1_25segmented_radix_sort_implINS0_14default_configELb0EPKlPlSM_SN_N2at6native12_GLOBAL__N_18offset_tEEE10hipError_tPvRmT1_PNSt15iterator_traitsISV_E10value_typeET2_T3_PNSW_IS11_E10value_typeET4_jRbjT5_S17_jjP12ihipStream_tbEUljE_EEESS_ST_SU_S11_S15_S17_T6_T7_T9_mT8_S19_bDpT10_ENKUlT_T0_E_clISt17integral_constantIbLb0EES1L_IbLb1EEEEDaS1H_S1I_EUlS1H_E_NS1_11comp_targetILNS1_3genE5ELNS1_11target_archE942ELNS1_3gpuE9ELNS1_3repE0EEENS1_30default_config_static_selectorELNS0_4arch9wavefront6targetE0EEEvSV_
; %bb.0:
	.section	.rodata,"a",@progbits
	.p2align	6, 0x0
	.amdhsa_kernel _ZN7rocprim17ROCPRIM_400000_NS6detail17trampoline_kernelINS0_13select_configILj256ELj13ELNS0_17block_load_methodE3ELS4_3ELS4_3ELNS0_20block_scan_algorithmE0ELj4294967295EEENS1_25partition_config_selectorILNS1_17partition_subalgoE3EjNS0_10empty_typeEbEEZZNS1_14partition_implILS8_3ELb0ES6_jNS0_17counting_iteratorIjlEEPS9_SE_NS0_5tupleIJPjSE_EEENSF_IJSE_SE_EEES9_SG_JZNS1_25segmented_radix_sort_implINS0_14default_configELb0EPKlPlSM_SN_N2at6native12_GLOBAL__N_18offset_tEEE10hipError_tPvRmT1_PNSt15iterator_traitsISV_E10value_typeET2_T3_PNSW_IS11_E10value_typeET4_jRbjT5_S17_jjP12ihipStream_tbEUljE_EEESS_ST_SU_S11_S15_S17_T6_T7_T9_mT8_S19_bDpT10_ENKUlT_T0_E_clISt17integral_constantIbLb0EES1L_IbLb1EEEEDaS1H_S1I_EUlS1H_E_NS1_11comp_targetILNS1_3genE5ELNS1_11target_archE942ELNS1_3gpuE9ELNS1_3repE0EEENS1_30default_config_static_selectorELNS0_4arch9wavefront6targetE0EEEvSV_
		.amdhsa_group_segment_fixed_size 0
		.amdhsa_private_segment_fixed_size 0
		.amdhsa_kernarg_size 152
		.amdhsa_user_sgpr_count 2
		.amdhsa_user_sgpr_dispatch_ptr 0
		.amdhsa_user_sgpr_queue_ptr 0
		.amdhsa_user_sgpr_kernarg_segment_ptr 1
		.amdhsa_user_sgpr_dispatch_id 0
		.amdhsa_user_sgpr_kernarg_preload_length 0
		.amdhsa_user_sgpr_kernarg_preload_offset 0
		.amdhsa_user_sgpr_private_segment_size 0
		.amdhsa_wavefront_size32 1
		.amdhsa_uses_dynamic_stack 0
		.amdhsa_enable_private_segment 0
		.amdhsa_system_sgpr_workgroup_id_x 1
		.amdhsa_system_sgpr_workgroup_id_y 0
		.amdhsa_system_sgpr_workgroup_id_z 0
		.amdhsa_system_sgpr_workgroup_info 0
		.amdhsa_system_vgpr_workitem_id 0
		.amdhsa_next_free_vgpr 1
		.amdhsa_next_free_sgpr 1
		.amdhsa_named_barrier_count 0
		.amdhsa_reserve_vcc 0
		.amdhsa_float_round_mode_32 0
		.amdhsa_float_round_mode_16_64 0
		.amdhsa_float_denorm_mode_32 3
		.amdhsa_float_denorm_mode_16_64 3
		.amdhsa_fp16_overflow 0
		.amdhsa_memory_ordered 1
		.amdhsa_forward_progress 1
		.amdhsa_inst_pref_size 0
		.amdhsa_round_robin_scheduling 0
		.amdhsa_exception_fp_ieee_invalid_op 0
		.amdhsa_exception_fp_denorm_src 0
		.amdhsa_exception_fp_ieee_div_zero 0
		.amdhsa_exception_fp_ieee_overflow 0
		.amdhsa_exception_fp_ieee_underflow 0
		.amdhsa_exception_fp_ieee_inexact 0
		.amdhsa_exception_int_div_zero 0
	.end_amdhsa_kernel
	.section	.text._ZN7rocprim17ROCPRIM_400000_NS6detail17trampoline_kernelINS0_13select_configILj256ELj13ELNS0_17block_load_methodE3ELS4_3ELS4_3ELNS0_20block_scan_algorithmE0ELj4294967295EEENS1_25partition_config_selectorILNS1_17partition_subalgoE3EjNS0_10empty_typeEbEEZZNS1_14partition_implILS8_3ELb0ES6_jNS0_17counting_iteratorIjlEEPS9_SE_NS0_5tupleIJPjSE_EEENSF_IJSE_SE_EEES9_SG_JZNS1_25segmented_radix_sort_implINS0_14default_configELb0EPKlPlSM_SN_N2at6native12_GLOBAL__N_18offset_tEEE10hipError_tPvRmT1_PNSt15iterator_traitsISV_E10value_typeET2_T3_PNSW_IS11_E10value_typeET4_jRbjT5_S17_jjP12ihipStream_tbEUljE_EEESS_ST_SU_S11_S15_S17_T6_T7_T9_mT8_S19_bDpT10_ENKUlT_T0_E_clISt17integral_constantIbLb0EES1L_IbLb1EEEEDaS1H_S1I_EUlS1H_E_NS1_11comp_targetILNS1_3genE5ELNS1_11target_archE942ELNS1_3gpuE9ELNS1_3repE0EEENS1_30default_config_static_selectorELNS0_4arch9wavefront6targetE0EEEvSV_,"axG",@progbits,_ZN7rocprim17ROCPRIM_400000_NS6detail17trampoline_kernelINS0_13select_configILj256ELj13ELNS0_17block_load_methodE3ELS4_3ELS4_3ELNS0_20block_scan_algorithmE0ELj4294967295EEENS1_25partition_config_selectorILNS1_17partition_subalgoE3EjNS0_10empty_typeEbEEZZNS1_14partition_implILS8_3ELb0ES6_jNS0_17counting_iteratorIjlEEPS9_SE_NS0_5tupleIJPjSE_EEENSF_IJSE_SE_EEES9_SG_JZNS1_25segmented_radix_sort_implINS0_14default_configELb0EPKlPlSM_SN_N2at6native12_GLOBAL__N_18offset_tEEE10hipError_tPvRmT1_PNSt15iterator_traitsISV_E10value_typeET2_T3_PNSW_IS11_E10value_typeET4_jRbjT5_S17_jjP12ihipStream_tbEUljE_EEESS_ST_SU_S11_S15_S17_T6_T7_T9_mT8_S19_bDpT10_ENKUlT_T0_E_clISt17integral_constantIbLb0EES1L_IbLb1EEEEDaS1H_S1I_EUlS1H_E_NS1_11comp_targetILNS1_3genE5ELNS1_11target_archE942ELNS1_3gpuE9ELNS1_3repE0EEENS1_30default_config_static_selectorELNS0_4arch9wavefront6targetE0EEEvSV_,comdat
.Lfunc_end796:
	.size	_ZN7rocprim17ROCPRIM_400000_NS6detail17trampoline_kernelINS0_13select_configILj256ELj13ELNS0_17block_load_methodE3ELS4_3ELS4_3ELNS0_20block_scan_algorithmE0ELj4294967295EEENS1_25partition_config_selectorILNS1_17partition_subalgoE3EjNS0_10empty_typeEbEEZZNS1_14partition_implILS8_3ELb0ES6_jNS0_17counting_iteratorIjlEEPS9_SE_NS0_5tupleIJPjSE_EEENSF_IJSE_SE_EEES9_SG_JZNS1_25segmented_radix_sort_implINS0_14default_configELb0EPKlPlSM_SN_N2at6native12_GLOBAL__N_18offset_tEEE10hipError_tPvRmT1_PNSt15iterator_traitsISV_E10value_typeET2_T3_PNSW_IS11_E10value_typeET4_jRbjT5_S17_jjP12ihipStream_tbEUljE_EEESS_ST_SU_S11_S15_S17_T6_T7_T9_mT8_S19_bDpT10_ENKUlT_T0_E_clISt17integral_constantIbLb0EES1L_IbLb1EEEEDaS1H_S1I_EUlS1H_E_NS1_11comp_targetILNS1_3genE5ELNS1_11target_archE942ELNS1_3gpuE9ELNS1_3repE0EEENS1_30default_config_static_selectorELNS0_4arch9wavefront6targetE0EEEvSV_, .Lfunc_end796-_ZN7rocprim17ROCPRIM_400000_NS6detail17trampoline_kernelINS0_13select_configILj256ELj13ELNS0_17block_load_methodE3ELS4_3ELS4_3ELNS0_20block_scan_algorithmE0ELj4294967295EEENS1_25partition_config_selectorILNS1_17partition_subalgoE3EjNS0_10empty_typeEbEEZZNS1_14partition_implILS8_3ELb0ES6_jNS0_17counting_iteratorIjlEEPS9_SE_NS0_5tupleIJPjSE_EEENSF_IJSE_SE_EEES9_SG_JZNS1_25segmented_radix_sort_implINS0_14default_configELb0EPKlPlSM_SN_N2at6native12_GLOBAL__N_18offset_tEEE10hipError_tPvRmT1_PNSt15iterator_traitsISV_E10value_typeET2_T3_PNSW_IS11_E10value_typeET4_jRbjT5_S17_jjP12ihipStream_tbEUljE_EEESS_ST_SU_S11_S15_S17_T6_T7_T9_mT8_S19_bDpT10_ENKUlT_T0_E_clISt17integral_constantIbLb0EES1L_IbLb1EEEEDaS1H_S1I_EUlS1H_E_NS1_11comp_targetILNS1_3genE5ELNS1_11target_archE942ELNS1_3gpuE9ELNS1_3repE0EEENS1_30default_config_static_selectorELNS0_4arch9wavefront6targetE0EEEvSV_
                                        ; -- End function
	.set _ZN7rocprim17ROCPRIM_400000_NS6detail17trampoline_kernelINS0_13select_configILj256ELj13ELNS0_17block_load_methodE3ELS4_3ELS4_3ELNS0_20block_scan_algorithmE0ELj4294967295EEENS1_25partition_config_selectorILNS1_17partition_subalgoE3EjNS0_10empty_typeEbEEZZNS1_14partition_implILS8_3ELb0ES6_jNS0_17counting_iteratorIjlEEPS9_SE_NS0_5tupleIJPjSE_EEENSF_IJSE_SE_EEES9_SG_JZNS1_25segmented_radix_sort_implINS0_14default_configELb0EPKlPlSM_SN_N2at6native12_GLOBAL__N_18offset_tEEE10hipError_tPvRmT1_PNSt15iterator_traitsISV_E10value_typeET2_T3_PNSW_IS11_E10value_typeET4_jRbjT5_S17_jjP12ihipStream_tbEUljE_EEESS_ST_SU_S11_S15_S17_T6_T7_T9_mT8_S19_bDpT10_ENKUlT_T0_E_clISt17integral_constantIbLb0EES1L_IbLb1EEEEDaS1H_S1I_EUlS1H_E_NS1_11comp_targetILNS1_3genE5ELNS1_11target_archE942ELNS1_3gpuE9ELNS1_3repE0EEENS1_30default_config_static_selectorELNS0_4arch9wavefront6targetE0EEEvSV_.num_vgpr, 0
	.set _ZN7rocprim17ROCPRIM_400000_NS6detail17trampoline_kernelINS0_13select_configILj256ELj13ELNS0_17block_load_methodE3ELS4_3ELS4_3ELNS0_20block_scan_algorithmE0ELj4294967295EEENS1_25partition_config_selectorILNS1_17partition_subalgoE3EjNS0_10empty_typeEbEEZZNS1_14partition_implILS8_3ELb0ES6_jNS0_17counting_iteratorIjlEEPS9_SE_NS0_5tupleIJPjSE_EEENSF_IJSE_SE_EEES9_SG_JZNS1_25segmented_radix_sort_implINS0_14default_configELb0EPKlPlSM_SN_N2at6native12_GLOBAL__N_18offset_tEEE10hipError_tPvRmT1_PNSt15iterator_traitsISV_E10value_typeET2_T3_PNSW_IS11_E10value_typeET4_jRbjT5_S17_jjP12ihipStream_tbEUljE_EEESS_ST_SU_S11_S15_S17_T6_T7_T9_mT8_S19_bDpT10_ENKUlT_T0_E_clISt17integral_constantIbLb0EES1L_IbLb1EEEEDaS1H_S1I_EUlS1H_E_NS1_11comp_targetILNS1_3genE5ELNS1_11target_archE942ELNS1_3gpuE9ELNS1_3repE0EEENS1_30default_config_static_selectorELNS0_4arch9wavefront6targetE0EEEvSV_.num_agpr, 0
	.set _ZN7rocprim17ROCPRIM_400000_NS6detail17trampoline_kernelINS0_13select_configILj256ELj13ELNS0_17block_load_methodE3ELS4_3ELS4_3ELNS0_20block_scan_algorithmE0ELj4294967295EEENS1_25partition_config_selectorILNS1_17partition_subalgoE3EjNS0_10empty_typeEbEEZZNS1_14partition_implILS8_3ELb0ES6_jNS0_17counting_iteratorIjlEEPS9_SE_NS0_5tupleIJPjSE_EEENSF_IJSE_SE_EEES9_SG_JZNS1_25segmented_radix_sort_implINS0_14default_configELb0EPKlPlSM_SN_N2at6native12_GLOBAL__N_18offset_tEEE10hipError_tPvRmT1_PNSt15iterator_traitsISV_E10value_typeET2_T3_PNSW_IS11_E10value_typeET4_jRbjT5_S17_jjP12ihipStream_tbEUljE_EEESS_ST_SU_S11_S15_S17_T6_T7_T9_mT8_S19_bDpT10_ENKUlT_T0_E_clISt17integral_constantIbLb0EES1L_IbLb1EEEEDaS1H_S1I_EUlS1H_E_NS1_11comp_targetILNS1_3genE5ELNS1_11target_archE942ELNS1_3gpuE9ELNS1_3repE0EEENS1_30default_config_static_selectorELNS0_4arch9wavefront6targetE0EEEvSV_.numbered_sgpr, 0
	.set _ZN7rocprim17ROCPRIM_400000_NS6detail17trampoline_kernelINS0_13select_configILj256ELj13ELNS0_17block_load_methodE3ELS4_3ELS4_3ELNS0_20block_scan_algorithmE0ELj4294967295EEENS1_25partition_config_selectorILNS1_17partition_subalgoE3EjNS0_10empty_typeEbEEZZNS1_14partition_implILS8_3ELb0ES6_jNS0_17counting_iteratorIjlEEPS9_SE_NS0_5tupleIJPjSE_EEENSF_IJSE_SE_EEES9_SG_JZNS1_25segmented_radix_sort_implINS0_14default_configELb0EPKlPlSM_SN_N2at6native12_GLOBAL__N_18offset_tEEE10hipError_tPvRmT1_PNSt15iterator_traitsISV_E10value_typeET2_T3_PNSW_IS11_E10value_typeET4_jRbjT5_S17_jjP12ihipStream_tbEUljE_EEESS_ST_SU_S11_S15_S17_T6_T7_T9_mT8_S19_bDpT10_ENKUlT_T0_E_clISt17integral_constantIbLb0EES1L_IbLb1EEEEDaS1H_S1I_EUlS1H_E_NS1_11comp_targetILNS1_3genE5ELNS1_11target_archE942ELNS1_3gpuE9ELNS1_3repE0EEENS1_30default_config_static_selectorELNS0_4arch9wavefront6targetE0EEEvSV_.num_named_barrier, 0
	.set _ZN7rocprim17ROCPRIM_400000_NS6detail17trampoline_kernelINS0_13select_configILj256ELj13ELNS0_17block_load_methodE3ELS4_3ELS4_3ELNS0_20block_scan_algorithmE0ELj4294967295EEENS1_25partition_config_selectorILNS1_17partition_subalgoE3EjNS0_10empty_typeEbEEZZNS1_14partition_implILS8_3ELb0ES6_jNS0_17counting_iteratorIjlEEPS9_SE_NS0_5tupleIJPjSE_EEENSF_IJSE_SE_EEES9_SG_JZNS1_25segmented_radix_sort_implINS0_14default_configELb0EPKlPlSM_SN_N2at6native12_GLOBAL__N_18offset_tEEE10hipError_tPvRmT1_PNSt15iterator_traitsISV_E10value_typeET2_T3_PNSW_IS11_E10value_typeET4_jRbjT5_S17_jjP12ihipStream_tbEUljE_EEESS_ST_SU_S11_S15_S17_T6_T7_T9_mT8_S19_bDpT10_ENKUlT_T0_E_clISt17integral_constantIbLb0EES1L_IbLb1EEEEDaS1H_S1I_EUlS1H_E_NS1_11comp_targetILNS1_3genE5ELNS1_11target_archE942ELNS1_3gpuE9ELNS1_3repE0EEENS1_30default_config_static_selectorELNS0_4arch9wavefront6targetE0EEEvSV_.private_seg_size, 0
	.set _ZN7rocprim17ROCPRIM_400000_NS6detail17trampoline_kernelINS0_13select_configILj256ELj13ELNS0_17block_load_methodE3ELS4_3ELS4_3ELNS0_20block_scan_algorithmE0ELj4294967295EEENS1_25partition_config_selectorILNS1_17partition_subalgoE3EjNS0_10empty_typeEbEEZZNS1_14partition_implILS8_3ELb0ES6_jNS0_17counting_iteratorIjlEEPS9_SE_NS0_5tupleIJPjSE_EEENSF_IJSE_SE_EEES9_SG_JZNS1_25segmented_radix_sort_implINS0_14default_configELb0EPKlPlSM_SN_N2at6native12_GLOBAL__N_18offset_tEEE10hipError_tPvRmT1_PNSt15iterator_traitsISV_E10value_typeET2_T3_PNSW_IS11_E10value_typeET4_jRbjT5_S17_jjP12ihipStream_tbEUljE_EEESS_ST_SU_S11_S15_S17_T6_T7_T9_mT8_S19_bDpT10_ENKUlT_T0_E_clISt17integral_constantIbLb0EES1L_IbLb1EEEEDaS1H_S1I_EUlS1H_E_NS1_11comp_targetILNS1_3genE5ELNS1_11target_archE942ELNS1_3gpuE9ELNS1_3repE0EEENS1_30default_config_static_selectorELNS0_4arch9wavefront6targetE0EEEvSV_.uses_vcc, 0
	.set _ZN7rocprim17ROCPRIM_400000_NS6detail17trampoline_kernelINS0_13select_configILj256ELj13ELNS0_17block_load_methodE3ELS4_3ELS4_3ELNS0_20block_scan_algorithmE0ELj4294967295EEENS1_25partition_config_selectorILNS1_17partition_subalgoE3EjNS0_10empty_typeEbEEZZNS1_14partition_implILS8_3ELb0ES6_jNS0_17counting_iteratorIjlEEPS9_SE_NS0_5tupleIJPjSE_EEENSF_IJSE_SE_EEES9_SG_JZNS1_25segmented_radix_sort_implINS0_14default_configELb0EPKlPlSM_SN_N2at6native12_GLOBAL__N_18offset_tEEE10hipError_tPvRmT1_PNSt15iterator_traitsISV_E10value_typeET2_T3_PNSW_IS11_E10value_typeET4_jRbjT5_S17_jjP12ihipStream_tbEUljE_EEESS_ST_SU_S11_S15_S17_T6_T7_T9_mT8_S19_bDpT10_ENKUlT_T0_E_clISt17integral_constantIbLb0EES1L_IbLb1EEEEDaS1H_S1I_EUlS1H_E_NS1_11comp_targetILNS1_3genE5ELNS1_11target_archE942ELNS1_3gpuE9ELNS1_3repE0EEENS1_30default_config_static_selectorELNS0_4arch9wavefront6targetE0EEEvSV_.uses_flat_scratch, 0
	.set _ZN7rocprim17ROCPRIM_400000_NS6detail17trampoline_kernelINS0_13select_configILj256ELj13ELNS0_17block_load_methodE3ELS4_3ELS4_3ELNS0_20block_scan_algorithmE0ELj4294967295EEENS1_25partition_config_selectorILNS1_17partition_subalgoE3EjNS0_10empty_typeEbEEZZNS1_14partition_implILS8_3ELb0ES6_jNS0_17counting_iteratorIjlEEPS9_SE_NS0_5tupleIJPjSE_EEENSF_IJSE_SE_EEES9_SG_JZNS1_25segmented_radix_sort_implINS0_14default_configELb0EPKlPlSM_SN_N2at6native12_GLOBAL__N_18offset_tEEE10hipError_tPvRmT1_PNSt15iterator_traitsISV_E10value_typeET2_T3_PNSW_IS11_E10value_typeET4_jRbjT5_S17_jjP12ihipStream_tbEUljE_EEESS_ST_SU_S11_S15_S17_T6_T7_T9_mT8_S19_bDpT10_ENKUlT_T0_E_clISt17integral_constantIbLb0EES1L_IbLb1EEEEDaS1H_S1I_EUlS1H_E_NS1_11comp_targetILNS1_3genE5ELNS1_11target_archE942ELNS1_3gpuE9ELNS1_3repE0EEENS1_30default_config_static_selectorELNS0_4arch9wavefront6targetE0EEEvSV_.has_dyn_sized_stack, 0
	.set _ZN7rocprim17ROCPRIM_400000_NS6detail17trampoline_kernelINS0_13select_configILj256ELj13ELNS0_17block_load_methodE3ELS4_3ELS4_3ELNS0_20block_scan_algorithmE0ELj4294967295EEENS1_25partition_config_selectorILNS1_17partition_subalgoE3EjNS0_10empty_typeEbEEZZNS1_14partition_implILS8_3ELb0ES6_jNS0_17counting_iteratorIjlEEPS9_SE_NS0_5tupleIJPjSE_EEENSF_IJSE_SE_EEES9_SG_JZNS1_25segmented_radix_sort_implINS0_14default_configELb0EPKlPlSM_SN_N2at6native12_GLOBAL__N_18offset_tEEE10hipError_tPvRmT1_PNSt15iterator_traitsISV_E10value_typeET2_T3_PNSW_IS11_E10value_typeET4_jRbjT5_S17_jjP12ihipStream_tbEUljE_EEESS_ST_SU_S11_S15_S17_T6_T7_T9_mT8_S19_bDpT10_ENKUlT_T0_E_clISt17integral_constantIbLb0EES1L_IbLb1EEEEDaS1H_S1I_EUlS1H_E_NS1_11comp_targetILNS1_3genE5ELNS1_11target_archE942ELNS1_3gpuE9ELNS1_3repE0EEENS1_30default_config_static_selectorELNS0_4arch9wavefront6targetE0EEEvSV_.has_recursion, 0
	.set _ZN7rocprim17ROCPRIM_400000_NS6detail17trampoline_kernelINS0_13select_configILj256ELj13ELNS0_17block_load_methodE3ELS4_3ELS4_3ELNS0_20block_scan_algorithmE0ELj4294967295EEENS1_25partition_config_selectorILNS1_17partition_subalgoE3EjNS0_10empty_typeEbEEZZNS1_14partition_implILS8_3ELb0ES6_jNS0_17counting_iteratorIjlEEPS9_SE_NS0_5tupleIJPjSE_EEENSF_IJSE_SE_EEES9_SG_JZNS1_25segmented_radix_sort_implINS0_14default_configELb0EPKlPlSM_SN_N2at6native12_GLOBAL__N_18offset_tEEE10hipError_tPvRmT1_PNSt15iterator_traitsISV_E10value_typeET2_T3_PNSW_IS11_E10value_typeET4_jRbjT5_S17_jjP12ihipStream_tbEUljE_EEESS_ST_SU_S11_S15_S17_T6_T7_T9_mT8_S19_bDpT10_ENKUlT_T0_E_clISt17integral_constantIbLb0EES1L_IbLb1EEEEDaS1H_S1I_EUlS1H_E_NS1_11comp_targetILNS1_3genE5ELNS1_11target_archE942ELNS1_3gpuE9ELNS1_3repE0EEENS1_30default_config_static_selectorELNS0_4arch9wavefront6targetE0EEEvSV_.has_indirect_call, 0
	.section	.AMDGPU.csdata,"",@progbits
; Kernel info:
; codeLenInByte = 0
; TotalNumSgprs: 0
; NumVgprs: 0
; ScratchSize: 0
; MemoryBound: 0
; FloatMode: 240
; IeeeMode: 1
; LDSByteSize: 0 bytes/workgroup (compile time only)
; SGPRBlocks: 0
; VGPRBlocks: 0
; NumSGPRsForWavesPerEU: 1
; NumVGPRsForWavesPerEU: 1
; NamedBarCnt: 0
; Occupancy: 16
; WaveLimiterHint : 0
; COMPUTE_PGM_RSRC2:SCRATCH_EN: 0
; COMPUTE_PGM_RSRC2:USER_SGPR: 2
; COMPUTE_PGM_RSRC2:TRAP_HANDLER: 0
; COMPUTE_PGM_RSRC2:TGID_X_EN: 1
; COMPUTE_PGM_RSRC2:TGID_Y_EN: 0
; COMPUTE_PGM_RSRC2:TGID_Z_EN: 0
; COMPUTE_PGM_RSRC2:TIDIG_COMP_CNT: 0
	.section	.text._ZN7rocprim17ROCPRIM_400000_NS6detail17trampoline_kernelINS0_13select_configILj256ELj13ELNS0_17block_load_methodE3ELS4_3ELS4_3ELNS0_20block_scan_algorithmE0ELj4294967295EEENS1_25partition_config_selectorILNS1_17partition_subalgoE3EjNS0_10empty_typeEbEEZZNS1_14partition_implILS8_3ELb0ES6_jNS0_17counting_iteratorIjlEEPS9_SE_NS0_5tupleIJPjSE_EEENSF_IJSE_SE_EEES9_SG_JZNS1_25segmented_radix_sort_implINS0_14default_configELb0EPKlPlSM_SN_N2at6native12_GLOBAL__N_18offset_tEEE10hipError_tPvRmT1_PNSt15iterator_traitsISV_E10value_typeET2_T3_PNSW_IS11_E10value_typeET4_jRbjT5_S17_jjP12ihipStream_tbEUljE_EEESS_ST_SU_S11_S15_S17_T6_T7_T9_mT8_S19_bDpT10_ENKUlT_T0_E_clISt17integral_constantIbLb0EES1L_IbLb1EEEEDaS1H_S1I_EUlS1H_E_NS1_11comp_targetILNS1_3genE4ELNS1_11target_archE910ELNS1_3gpuE8ELNS1_3repE0EEENS1_30default_config_static_selectorELNS0_4arch9wavefront6targetE0EEEvSV_,"axG",@progbits,_ZN7rocprim17ROCPRIM_400000_NS6detail17trampoline_kernelINS0_13select_configILj256ELj13ELNS0_17block_load_methodE3ELS4_3ELS4_3ELNS0_20block_scan_algorithmE0ELj4294967295EEENS1_25partition_config_selectorILNS1_17partition_subalgoE3EjNS0_10empty_typeEbEEZZNS1_14partition_implILS8_3ELb0ES6_jNS0_17counting_iteratorIjlEEPS9_SE_NS0_5tupleIJPjSE_EEENSF_IJSE_SE_EEES9_SG_JZNS1_25segmented_radix_sort_implINS0_14default_configELb0EPKlPlSM_SN_N2at6native12_GLOBAL__N_18offset_tEEE10hipError_tPvRmT1_PNSt15iterator_traitsISV_E10value_typeET2_T3_PNSW_IS11_E10value_typeET4_jRbjT5_S17_jjP12ihipStream_tbEUljE_EEESS_ST_SU_S11_S15_S17_T6_T7_T9_mT8_S19_bDpT10_ENKUlT_T0_E_clISt17integral_constantIbLb0EES1L_IbLb1EEEEDaS1H_S1I_EUlS1H_E_NS1_11comp_targetILNS1_3genE4ELNS1_11target_archE910ELNS1_3gpuE8ELNS1_3repE0EEENS1_30default_config_static_selectorELNS0_4arch9wavefront6targetE0EEEvSV_,comdat
	.globl	_ZN7rocprim17ROCPRIM_400000_NS6detail17trampoline_kernelINS0_13select_configILj256ELj13ELNS0_17block_load_methodE3ELS4_3ELS4_3ELNS0_20block_scan_algorithmE0ELj4294967295EEENS1_25partition_config_selectorILNS1_17partition_subalgoE3EjNS0_10empty_typeEbEEZZNS1_14partition_implILS8_3ELb0ES6_jNS0_17counting_iteratorIjlEEPS9_SE_NS0_5tupleIJPjSE_EEENSF_IJSE_SE_EEES9_SG_JZNS1_25segmented_radix_sort_implINS0_14default_configELb0EPKlPlSM_SN_N2at6native12_GLOBAL__N_18offset_tEEE10hipError_tPvRmT1_PNSt15iterator_traitsISV_E10value_typeET2_T3_PNSW_IS11_E10value_typeET4_jRbjT5_S17_jjP12ihipStream_tbEUljE_EEESS_ST_SU_S11_S15_S17_T6_T7_T9_mT8_S19_bDpT10_ENKUlT_T0_E_clISt17integral_constantIbLb0EES1L_IbLb1EEEEDaS1H_S1I_EUlS1H_E_NS1_11comp_targetILNS1_3genE4ELNS1_11target_archE910ELNS1_3gpuE8ELNS1_3repE0EEENS1_30default_config_static_selectorELNS0_4arch9wavefront6targetE0EEEvSV_ ; -- Begin function _ZN7rocprim17ROCPRIM_400000_NS6detail17trampoline_kernelINS0_13select_configILj256ELj13ELNS0_17block_load_methodE3ELS4_3ELS4_3ELNS0_20block_scan_algorithmE0ELj4294967295EEENS1_25partition_config_selectorILNS1_17partition_subalgoE3EjNS0_10empty_typeEbEEZZNS1_14partition_implILS8_3ELb0ES6_jNS0_17counting_iteratorIjlEEPS9_SE_NS0_5tupleIJPjSE_EEENSF_IJSE_SE_EEES9_SG_JZNS1_25segmented_radix_sort_implINS0_14default_configELb0EPKlPlSM_SN_N2at6native12_GLOBAL__N_18offset_tEEE10hipError_tPvRmT1_PNSt15iterator_traitsISV_E10value_typeET2_T3_PNSW_IS11_E10value_typeET4_jRbjT5_S17_jjP12ihipStream_tbEUljE_EEESS_ST_SU_S11_S15_S17_T6_T7_T9_mT8_S19_bDpT10_ENKUlT_T0_E_clISt17integral_constantIbLb0EES1L_IbLb1EEEEDaS1H_S1I_EUlS1H_E_NS1_11comp_targetILNS1_3genE4ELNS1_11target_archE910ELNS1_3gpuE8ELNS1_3repE0EEENS1_30default_config_static_selectorELNS0_4arch9wavefront6targetE0EEEvSV_
	.p2align	8
	.type	_ZN7rocprim17ROCPRIM_400000_NS6detail17trampoline_kernelINS0_13select_configILj256ELj13ELNS0_17block_load_methodE3ELS4_3ELS4_3ELNS0_20block_scan_algorithmE0ELj4294967295EEENS1_25partition_config_selectorILNS1_17partition_subalgoE3EjNS0_10empty_typeEbEEZZNS1_14partition_implILS8_3ELb0ES6_jNS0_17counting_iteratorIjlEEPS9_SE_NS0_5tupleIJPjSE_EEENSF_IJSE_SE_EEES9_SG_JZNS1_25segmented_radix_sort_implINS0_14default_configELb0EPKlPlSM_SN_N2at6native12_GLOBAL__N_18offset_tEEE10hipError_tPvRmT1_PNSt15iterator_traitsISV_E10value_typeET2_T3_PNSW_IS11_E10value_typeET4_jRbjT5_S17_jjP12ihipStream_tbEUljE_EEESS_ST_SU_S11_S15_S17_T6_T7_T9_mT8_S19_bDpT10_ENKUlT_T0_E_clISt17integral_constantIbLb0EES1L_IbLb1EEEEDaS1H_S1I_EUlS1H_E_NS1_11comp_targetILNS1_3genE4ELNS1_11target_archE910ELNS1_3gpuE8ELNS1_3repE0EEENS1_30default_config_static_selectorELNS0_4arch9wavefront6targetE0EEEvSV_,@function
_ZN7rocprim17ROCPRIM_400000_NS6detail17trampoline_kernelINS0_13select_configILj256ELj13ELNS0_17block_load_methodE3ELS4_3ELS4_3ELNS0_20block_scan_algorithmE0ELj4294967295EEENS1_25partition_config_selectorILNS1_17partition_subalgoE3EjNS0_10empty_typeEbEEZZNS1_14partition_implILS8_3ELb0ES6_jNS0_17counting_iteratorIjlEEPS9_SE_NS0_5tupleIJPjSE_EEENSF_IJSE_SE_EEES9_SG_JZNS1_25segmented_radix_sort_implINS0_14default_configELb0EPKlPlSM_SN_N2at6native12_GLOBAL__N_18offset_tEEE10hipError_tPvRmT1_PNSt15iterator_traitsISV_E10value_typeET2_T3_PNSW_IS11_E10value_typeET4_jRbjT5_S17_jjP12ihipStream_tbEUljE_EEESS_ST_SU_S11_S15_S17_T6_T7_T9_mT8_S19_bDpT10_ENKUlT_T0_E_clISt17integral_constantIbLb0EES1L_IbLb1EEEEDaS1H_S1I_EUlS1H_E_NS1_11comp_targetILNS1_3genE4ELNS1_11target_archE910ELNS1_3gpuE8ELNS1_3repE0EEENS1_30default_config_static_selectorELNS0_4arch9wavefront6targetE0EEEvSV_: ; @_ZN7rocprim17ROCPRIM_400000_NS6detail17trampoline_kernelINS0_13select_configILj256ELj13ELNS0_17block_load_methodE3ELS4_3ELS4_3ELNS0_20block_scan_algorithmE0ELj4294967295EEENS1_25partition_config_selectorILNS1_17partition_subalgoE3EjNS0_10empty_typeEbEEZZNS1_14partition_implILS8_3ELb0ES6_jNS0_17counting_iteratorIjlEEPS9_SE_NS0_5tupleIJPjSE_EEENSF_IJSE_SE_EEES9_SG_JZNS1_25segmented_radix_sort_implINS0_14default_configELb0EPKlPlSM_SN_N2at6native12_GLOBAL__N_18offset_tEEE10hipError_tPvRmT1_PNSt15iterator_traitsISV_E10value_typeET2_T3_PNSW_IS11_E10value_typeET4_jRbjT5_S17_jjP12ihipStream_tbEUljE_EEESS_ST_SU_S11_S15_S17_T6_T7_T9_mT8_S19_bDpT10_ENKUlT_T0_E_clISt17integral_constantIbLb0EES1L_IbLb1EEEEDaS1H_S1I_EUlS1H_E_NS1_11comp_targetILNS1_3genE4ELNS1_11target_archE910ELNS1_3gpuE8ELNS1_3repE0EEENS1_30default_config_static_selectorELNS0_4arch9wavefront6targetE0EEEvSV_
; %bb.0:
	.section	.rodata,"a",@progbits
	.p2align	6, 0x0
	.amdhsa_kernel _ZN7rocprim17ROCPRIM_400000_NS6detail17trampoline_kernelINS0_13select_configILj256ELj13ELNS0_17block_load_methodE3ELS4_3ELS4_3ELNS0_20block_scan_algorithmE0ELj4294967295EEENS1_25partition_config_selectorILNS1_17partition_subalgoE3EjNS0_10empty_typeEbEEZZNS1_14partition_implILS8_3ELb0ES6_jNS0_17counting_iteratorIjlEEPS9_SE_NS0_5tupleIJPjSE_EEENSF_IJSE_SE_EEES9_SG_JZNS1_25segmented_radix_sort_implINS0_14default_configELb0EPKlPlSM_SN_N2at6native12_GLOBAL__N_18offset_tEEE10hipError_tPvRmT1_PNSt15iterator_traitsISV_E10value_typeET2_T3_PNSW_IS11_E10value_typeET4_jRbjT5_S17_jjP12ihipStream_tbEUljE_EEESS_ST_SU_S11_S15_S17_T6_T7_T9_mT8_S19_bDpT10_ENKUlT_T0_E_clISt17integral_constantIbLb0EES1L_IbLb1EEEEDaS1H_S1I_EUlS1H_E_NS1_11comp_targetILNS1_3genE4ELNS1_11target_archE910ELNS1_3gpuE8ELNS1_3repE0EEENS1_30default_config_static_selectorELNS0_4arch9wavefront6targetE0EEEvSV_
		.amdhsa_group_segment_fixed_size 0
		.amdhsa_private_segment_fixed_size 0
		.amdhsa_kernarg_size 152
		.amdhsa_user_sgpr_count 2
		.amdhsa_user_sgpr_dispatch_ptr 0
		.amdhsa_user_sgpr_queue_ptr 0
		.amdhsa_user_sgpr_kernarg_segment_ptr 1
		.amdhsa_user_sgpr_dispatch_id 0
		.amdhsa_user_sgpr_kernarg_preload_length 0
		.amdhsa_user_sgpr_kernarg_preload_offset 0
		.amdhsa_user_sgpr_private_segment_size 0
		.amdhsa_wavefront_size32 1
		.amdhsa_uses_dynamic_stack 0
		.amdhsa_enable_private_segment 0
		.amdhsa_system_sgpr_workgroup_id_x 1
		.amdhsa_system_sgpr_workgroup_id_y 0
		.amdhsa_system_sgpr_workgroup_id_z 0
		.amdhsa_system_sgpr_workgroup_info 0
		.amdhsa_system_vgpr_workitem_id 0
		.amdhsa_next_free_vgpr 1
		.amdhsa_next_free_sgpr 1
		.amdhsa_named_barrier_count 0
		.amdhsa_reserve_vcc 0
		.amdhsa_float_round_mode_32 0
		.amdhsa_float_round_mode_16_64 0
		.amdhsa_float_denorm_mode_32 3
		.amdhsa_float_denorm_mode_16_64 3
		.amdhsa_fp16_overflow 0
		.amdhsa_memory_ordered 1
		.amdhsa_forward_progress 1
		.amdhsa_inst_pref_size 0
		.amdhsa_round_robin_scheduling 0
		.amdhsa_exception_fp_ieee_invalid_op 0
		.amdhsa_exception_fp_denorm_src 0
		.amdhsa_exception_fp_ieee_div_zero 0
		.amdhsa_exception_fp_ieee_overflow 0
		.amdhsa_exception_fp_ieee_underflow 0
		.amdhsa_exception_fp_ieee_inexact 0
		.amdhsa_exception_int_div_zero 0
	.end_amdhsa_kernel
	.section	.text._ZN7rocprim17ROCPRIM_400000_NS6detail17trampoline_kernelINS0_13select_configILj256ELj13ELNS0_17block_load_methodE3ELS4_3ELS4_3ELNS0_20block_scan_algorithmE0ELj4294967295EEENS1_25partition_config_selectorILNS1_17partition_subalgoE3EjNS0_10empty_typeEbEEZZNS1_14partition_implILS8_3ELb0ES6_jNS0_17counting_iteratorIjlEEPS9_SE_NS0_5tupleIJPjSE_EEENSF_IJSE_SE_EEES9_SG_JZNS1_25segmented_radix_sort_implINS0_14default_configELb0EPKlPlSM_SN_N2at6native12_GLOBAL__N_18offset_tEEE10hipError_tPvRmT1_PNSt15iterator_traitsISV_E10value_typeET2_T3_PNSW_IS11_E10value_typeET4_jRbjT5_S17_jjP12ihipStream_tbEUljE_EEESS_ST_SU_S11_S15_S17_T6_T7_T9_mT8_S19_bDpT10_ENKUlT_T0_E_clISt17integral_constantIbLb0EES1L_IbLb1EEEEDaS1H_S1I_EUlS1H_E_NS1_11comp_targetILNS1_3genE4ELNS1_11target_archE910ELNS1_3gpuE8ELNS1_3repE0EEENS1_30default_config_static_selectorELNS0_4arch9wavefront6targetE0EEEvSV_,"axG",@progbits,_ZN7rocprim17ROCPRIM_400000_NS6detail17trampoline_kernelINS0_13select_configILj256ELj13ELNS0_17block_load_methodE3ELS4_3ELS4_3ELNS0_20block_scan_algorithmE0ELj4294967295EEENS1_25partition_config_selectorILNS1_17partition_subalgoE3EjNS0_10empty_typeEbEEZZNS1_14partition_implILS8_3ELb0ES6_jNS0_17counting_iteratorIjlEEPS9_SE_NS0_5tupleIJPjSE_EEENSF_IJSE_SE_EEES9_SG_JZNS1_25segmented_radix_sort_implINS0_14default_configELb0EPKlPlSM_SN_N2at6native12_GLOBAL__N_18offset_tEEE10hipError_tPvRmT1_PNSt15iterator_traitsISV_E10value_typeET2_T3_PNSW_IS11_E10value_typeET4_jRbjT5_S17_jjP12ihipStream_tbEUljE_EEESS_ST_SU_S11_S15_S17_T6_T7_T9_mT8_S19_bDpT10_ENKUlT_T0_E_clISt17integral_constantIbLb0EES1L_IbLb1EEEEDaS1H_S1I_EUlS1H_E_NS1_11comp_targetILNS1_3genE4ELNS1_11target_archE910ELNS1_3gpuE8ELNS1_3repE0EEENS1_30default_config_static_selectorELNS0_4arch9wavefront6targetE0EEEvSV_,comdat
.Lfunc_end797:
	.size	_ZN7rocprim17ROCPRIM_400000_NS6detail17trampoline_kernelINS0_13select_configILj256ELj13ELNS0_17block_load_methodE3ELS4_3ELS4_3ELNS0_20block_scan_algorithmE0ELj4294967295EEENS1_25partition_config_selectorILNS1_17partition_subalgoE3EjNS0_10empty_typeEbEEZZNS1_14partition_implILS8_3ELb0ES6_jNS0_17counting_iteratorIjlEEPS9_SE_NS0_5tupleIJPjSE_EEENSF_IJSE_SE_EEES9_SG_JZNS1_25segmented_radix_sort_implINS0_14default_configELb0EPKlPlSM_SN_N2at6native12_GLOBAL__N_18offset_tEEE10hipError_tPvRmT1_PNSt15iterator_traitsISV_E10value_typeET2_T3_PNSW_IS11_E10value_typeET4_jRbjT5_S17_jjP12ihipStream_tbEUljE_EEESS_ST_SU_S11_S15_S17_T6_T7_T9_mT8_S19_bDpT10_ENKUlT_T0_E_clISt17integral_constantIbLb0EES1L_IbLb1EEEEDaS1H_S1I_EUlS1H_E_NS1_11comp_targetILNS1_3genE4ELNS1_11target_archE910ELNS1_3gpuE8ELNS1_3repE0EEENS1_30default_config_static_selectorELNS0_4arch9wavefront6targetE0EEEvSV_, .Lfunc_end797-_ZN7rocprim17ROCPRIM_400000_NS6detail17trampoline_kernelINS0_13select_configILj256ELj13ELNS0_17block_load_methodE3ELS4_3ELS4_3ELNS0_20block_scan_algorithmE0ELj4294967295EEENS1_25partition_config_selectorILNS1_17partition_subalgoE3EjNS0_10empty_typeEbEEZZNS1_14partition_implILS8_3ELb0ES6_jNS0_17counting_iteratorIjlEEPS9_SE_NS0_5tupleIJPjSE_EEENSF_IJSE_SE_EEES9_SG_JZNS1_25segmented_radix_sort_implINS0_14default_configELb0EPKlPlSM_SN_N2at6native12_GLOBAL__N_18offset_tEEE10hipError_tPvRmT1_PNSt15iterator_traitsISV_E10value_typeET2_T3_PNSW_IS11_E10value_typeET4_jRbjT5_S17_jjP12ihipStream_tbEUljE_EEESS_ST_SU_S11_S15_S17_T6_T7_T9_mT8_S19_bDpT10_ENKUlT_T0_E_clISt17integral_constantIbLb0EES1L_IbLb1EEEEDaS1H_S1I_EUlS1H_E_NS1_11comp_targetILNS1_3genE4ELNS1_11target_archE910ELNS1_3gpuE8ELNS1_3repE0EEENS1_30default_config_static_selectorELNS0_4arch9wavefront6targetE0EEEvSV_
                                        ; -- End function
	.set _ZN7rocprim17ROCPRIM_400000_NS6detail17trampoline_kernelINS0_13select_configILj256ELj13ELNS0_17block_load_methodE3ELS4_3ELS4_3ELNS0_20block_scan_algorithmE0ELj4294967295EEENS1_25partition_config_selectorILNS1_17partition_subalgoE3EjNS0_10empty_typeEbEEZZNS1_14partition_implILS8_3ELb0ES6_jNS0_17counting_iteratorIjlEEPS9_SE_NS0_5tupleIJPjSE_EEENSF_IJSE_SE_EEES9_SG_JZNS1_25segmented_radix_sort_implINS0_14default_configELb0EPKlPlSM_SN_N2at6native12_GLOBAL__N_18offset_tEEE10hipError_tPvRmT1_PNSt15iterator_traitsISV_E10value_typeET2_T3_PNSW_IS11_E10value_typeET4_jRbjT5_S17_jjP12ihipStream_tbEUljE_EEESS_ST_SU_S11_S15_S17_T6_T7_T9_mT8_S19_bDpT10_ENKUlT_T0_E_clISt17integral_constantIbLb0EES1L_IbLb1EEEEDaS1H_S1I_EUlS1H_E_NS1_11comp_targetILNS1_3genE4ELNS1_11target_archE910ELNS1_3gpuE8ELNS1_3repE0EEENS1_30default_config_static_selectorELNS0_4arch9wavefront6targetE0EEEvSV_.num_vgpr, 0
	.set _ZN7rocprim17ROCPRIM_400000_NS6detail17trampoline_kernelINS0_13select_configILj256ELj13ELNS0_17block_load_methodE3ELS4_3ELS4_3ELNS0_20block_scan_algorithmE0ELj4294967295EEENS1_25partition_config_selectorILNS1_17partition_subalgoE3EjNS0_10empty_typeEbEEZZNS1_14partition_implILS8_3ELb0ES6_jNS0_17counting_iteratorIjlEEPS9_SE_NS0_5tupleIJPjSE_EEENSF_IJSE_SE_EEES9_SG_JZNS1_25segmented_radix_sort_implINS0_14default_configELb0EPKlPlSM_SN_N2at6native12_GLOBAL__N_18offset_tEEE10hipError_tPvRmT1_PNSt15iterator_traitsISV_E10value_typeET2_T3_PNSW_IS11_E10value_typeET4_jRbjT5_S17_jjP12ihipStream_tbEUljE_EEESS_ST_SU_S11_S15_S17_T6_T7_T9_mT8_S19_bDpT10_ENKUlT_T0_E_clISt17integral_constantIbLb0EES1L_IbLb1EEEEDaS1H_S1I_EUlS1H_E_NS1_11comp_targetILNS1_3genE4ELNS1_11target_archE910ELNS1_3gpuE8ELNS1_3repE0EEENS1_30default_config_static_selectorELNS0_4arch9wavefront6targetE0EEEvSV_.num_agpr, 0
	.set _ZN7rocprim17ROCPRIM_400000_NS6detail17trampoline_kernelINS0_13select_configILj256ELj13ELNS0_17block_load_methodE3ELS4_3ELS4_3ELNS0_20block_scan_algorithmE0ELj4294967295EEENS1_25partition_config_selectorILNS1_17partition_subalgoE3EjNS0_10empty_typeEbEEZZNS1_14partition_implILS8_3ELb0ES6_jNS0_17counting_iteratorIjlEEPS9_SE_NS0_5tupleIJPjSE_EEENSF_IJSE_SE_EEES9_SG_JZNS1_25segmented_radix_sort_implINS0_14default_configELb0EPKlPlSM_SN_N2at6native12_GLOBAL__N_18offset_tEEE10hipError_tPvRmT1_PNSt15iterator_traitsISV_E10value_typeET2_T3_PNSW_IS11_E10value_typeET4_jRbjT5_S17_jjP12ihipStream_tbEUljE_EEESS_ST_SU_S11_S15_S17_T6_T7_T9_mT8_S19_bDpT10_ENKUlT_T0_E_clISt17integral_constantIbLb0EES1L_IbLb1EEEEDaS1H_S1I_EUlS1H_E_NS1_11comp_targetILNS1_3genE4ELNS1_11target_archE910ELNS1_3gpuE8ELNS1_3repE0EEENS1_30default_config_static_selectorELNS0_4arch9wavefront6targetE0EEEvSV_.numbered_sgpr, 0
	.set _ZN7rocprim17ROCPRIM_400000_NS6detail17trampoline_kernelINS0_13select_configILj256ELj13ELNS0_17block_load_methodE3ELS4_3ELS4_3ELNS0_20block_scan_algorithmE0ELj4294967295EEENS1_25partition_config_selectorILNS1_17partition_subalgoE3EjNS0_10empty_typeEbEEZZNS1_14partition_implILS8_3ELb0ES6_jNS0_17counting_iteratorIjlEEPS9_SE_NS0_5tupleIJPjSE_EEENSF_IJSE_SE_EEES9_SG_JZNS1_25segmented_radix_sort_implINS0_14default_configELb0EPKlPlSM_SN_N2at6native12_GLOBAL__N_18offset_tEEE10hipError_tPvRmT1_PNSt15iterator_traitsISV_E10value_typeET2_T3_PNSW_IS11_E10value_typeET4_jRbjT5_S17_jjP12ihipStream_tbEUljE_EEESS_ST_SU_S11_S15_S17_T6_T7_T9_mT8_S19_bDpT10_ENKUlT_T0_E_clISt17integral_constantIbLb0EES1L_IbLb1EEEEDaS1H_S1I_EUlS1H_E_NS1_11comp_targetILNS1_3genE4ELNS1_11target_archE910ELNS1_3gpuE8ELNS1_3repE0EEENS1_30default_config_static_selectorELNS0_4arch9wavefront6targetE0EEEvSV_.num_named_barrier, 0
	.set _ZN7rocprim17ROCPRIM_400000_NS6detail17trampoline_kernelINS0_13select_configILj256ELj13ELNS0_17block_load_methodE3ELS4_3ELS4_3ELNS0_20block_scan_algorithmE0ELj4294967295EEENS1_25partition_config_selectorILNS1_17partition_subalgoE3EjNS0_10empty_typeEbEEZZNS1_14partition_implILS8_3ELb0ES6_jNS0_17counting_iteratorIjlEEPS9_SE_NS0_5tupleIJPjSE_EEENSF_IJSE_SE_EEES9_SG_JZNS1_25segmented_radix_sort_implINS0_14default_configELb0EPKlPlSM_SN_N2at6native12_GLOBAL__N_18offset_tEEE10hipError_tPvRmT1_PNSt15iterator_traitsISV_E10value_typeET2_T3_PNSW_IS11_E10value_typeET4_jRbjT5_S17_jjP12ihipStream_tbEUljE_EEESS_ST_SU_S11_S15_S17_T6_T7_T9_mT8_S19_bDpT10_ENKUlT_T0_E_clISt17integral_constantIbLb0EES1L_IbLb1EEEEDaS1H_S1I_EUlS1H_E_NS1_11comp_targetILNS1_3genE4ELNS1_11target_archE910ELNS1_3gpuE8ELNS1_3repE0EEENS1_30default_config_static_selectorELNS0_4arch9wavefront6targetE0EEEvSV_.private_seg_size, 0
	.set _ZN7rocprim17ROCPRIM_400000_NS6detail17trampoline_kernelINS0_13select_configILj256ELj13ELNS0_17block_load_methodE3ELS4_3ELS4_3ELNS0_20block_scan_algorithmE0ELj4294967295EEENS1_25partition_config_selectorILNS1_17partition_subalgoE3EjNS0_10empty_typeEbEEZZNS1_14partition_implILS8_3ELb0ES6_jNS0_17counting_iteratorIjlEEPS9_SE_NS0_5tupleIJPjSE_EEENSF_IJSE_SE_EEES9_SG_JZNS1_25segmented_radix_sort_implINS0_14default_configELb0EPKlPlSM_SN_N2at6native12_GLOBAL__N_18offset_tEEE10hipError_tPvRmT1_PNSt15iterator_traitsISV_E10value_typeET2_T3_PNSW_IS11_E10value_typeET4_jRbjT5_S17_jjP12ihipStream_tbEUljE_EEESS_ST_SU_S11_S15_S17_T6_T7_T9_mT8_S19_bDpT10_ENKUlT_T0_E_clISt17integral_constantIbLb0EES1L_IbLb1EEEEDaS1H_S1I_EUlS1H_E_NS1_11comp_targetILNS1_3genE4ELNS1_11target_archE910ELNS1_3gpuE8ELNS1_3repE0EEENS1_30default_config_static_selectorELNS0_4arch9wavefront6targetE0EEEvSV_.uses_vcc, 0
	.set _ZN7rocprim17ROCPRIM_400000_NS6detail17trampoline_kernelINS0_13select_configILj256ELj13ELNS0_17block_load_methodE3ELS4_3ELS4_3ELNS0_20block_scan_algorithmE0ELj4294967295EEENS1_25partition_config_selectorILNS1_17partition_subalgoE3EjNS0_10empty_typeEbEEZZNS1_14partition_implILS8_3ELb0ES6_jNS0_17counting_iteratorIjlEEPS9_SE_NS0_5tupleIJPjSE_EEENSF_IJSE_SE_EEES9_SG_JZNS1_25segmented_radix_sort_implINS0_14default_configELb0EPKlPlSM_SN_N2at6native12_GLOBAL__N_18offset_tEEE10hipError_tPvRmT1_PNSt15iterator_traitsISV_E10value_typeET2_T3_PNSW_IS11_E10value_typeET4_jRbjT5_S17_jjP12ihipStream_tbEUljE_EEESS_ST_SU_S11_S15_S17_T6_T7_T9_mT8_S19_bDpT10_ENKUlT_T0_E_clISt17integral_constantIbLb0EES1L_IbLb1EEEEDaS1H_S1I_EUlS1H_E_NS1_11comp_targetILNS1_3genE4ELNS1_11target_archE910ELNS1_3gpuE8ELNS1_3repE0EEENS1_30default_config_static_selectorELNS0_4arch9wavefront6targetE0EEEvSV_.uses_flat_scratch, 0
	.set _ZN7rocprim17ROCPRIM_400000_NS6detail17trampoline_kernelINS0_13select_configILj256ELj13ELNS0_17block_load_methodE3ELS4_3ELS4_3ELNS0_20block_scan_algorithmE0ELj4294967295EEENS1_25partition_config_selectorILNS1_17partition_subalgoE3EjNS0_10empty_typeEbEEZZNS1_14partition_implILS8_3ELb0ES6_jNS0_17counting_iteratorIjlEEPS9_SE_NS0_5tupleIJPjSE_EEENSF_IJSE_SE_EEES9_SG_JZNS1_25segmented_radix_sort_implINS0_14default_configELb0EPKlPlSM_SN_N2at6native12_GLOBAL__N_18offset_tEEE10hipError_tPvRmT1_PNSt15iterator_traitsISV_E10value_typeET2_T3_PNSW_IS11_E10value_typeET4_jRbjT5_S17_jjP12ihipStream_tbEUljE_EEESS_ST_SU_S11_S15_S17_T6_T7_T9_mT8_S19_bDpT10_ENKUlT_T0_E_clISt17integral_constantIbLb0EES1L_IbLb1EEEEDaS1H_S1I_EUlS1H_E_NS1_11comp_targetILNS1_3genE4ELNS1_11target_archE910ELNS1_3gpuE8ELNS1_3repE0EEENS1_30default_config_static_selectorELNS0_4arch9wavefront6targetE0EEEvSV_.has_dyn_sized_stack, 0
	.set _ZN7rocprim17ROCPRIM_400000_NS6detail17trampoline_kernelINS0_13select_configILj256ELj13ELNS0_17block_load_methodE3ELS4_3ELS4_3ELNS0_20block_scan_algorithmE0ELj4294967295EEENS1_25partition_config_selectorILNS1_17partition_subalgoE3EjNS0_10empty_typeEbEEZZNS1_14partition_implILS8_3ELb0ES6_jNS0_17counting_iteratorIjlEEPS9_SE_NS0_5tupleIJPjSE_EEENSF_IJSE_SE_EEES9_SG_JZNS1_25segmented_radix_sort_implINS0_14default_configELb0EPKlPlSM_SN_N2at6native12_GLOBAL__N_18offset_tEEE10hipError_tPvRmT1_PNSt15iterator_traitsISV_E10value_typeET2_T3_PNSW_IS11_E10value_typeET4_jRbjT5_S17_jjP12ihipStream_tbEUljE_EEESS_ST_SU_S11_S15_S17_T6_T7_T9_mT8_S19_bDpT10_ENKUlT_T0_E_clISt17integral_constantIbLb0EES1L_IbLb1EEEEDaS1H_S1I_EUlS1H_E_NS1_11comp_targetILNS1_3genE4ELNS1_11target_archE910ELNS1_3gpuE8ELNS1_3repE0EEENS1_30default_config_static_selectorELNS0_4arch9wavefront6targetE0EEEvSV_.has_recursion, 0
	.set _ZN7rocprim17ROCPRIM_400000_NS6detail17trampoline_kernelINS0_13select_configILj256ELj13ELNS0_17block_load_methodE3ELS4_3ELS4_3ELNS0_20block_scan_algorithmE0ELj4294967295EEENS1_25partition_config_selectorILNS1_17partition_subalgoE3EjNS0_10empty_typeEbEEZZNS1_14partition_implILS8_3ELb0ES6_jNS0_17counting_iteratorIjlEEPS9_SE_NS0_5tupleIJPjSE_EEENSF_IJSE_SE_EEES9_SG_JZNS1_25segmented_radix_sort_implINS0_14default_configELb0EPKlPlSM_SN_N2at6native12_GLOBAL__N_18offset_tEEE10hipError_tPvRmT1_PNSt15iterator_traitsISV_E10value_typeET2_T3_PNSW_IS11_E10value_typeET4_jRbjT5_S17_jjP12ihipStream_tbEUljE_EEESS_ST_SU_S11_S15_S17_T6_T7_T9_mT8_S19_bDpT10_ENKUlT_T0_E_clISt17integral_constantIbLb0EES1L_IbLb1EEEEDaS1H_S1I_EUlS1H_E_NS1_11comp_targetILNS1_3genE4ELNS1_11target_archE910ELNS1_3gpuE8ELNS1_3repE0EEENS1_30default_config_static_selectorELNS0_4arch9wavefront6targetE0EEEvSV_.has_indirect_call, 0
	.section	.AMDGPU.csdata,"",@progbits
; Kernel info:
; codeLenInByte = 0
; TotalNumSgprs: 0
; NumVgprs: 0
; ScratchSize: 0
; MemoryBound: 0
; FloatMode: 240
; IeeeMode: 1
; LDSByteSize: 0 bytes/workgroup (compile time only)
; SGPRBlocks: 0
; VGPRBlocks: 0
; NumSGPRsForWavesPerEU: 1
; NumVGPRsForWavesPerEU: 1
; NamedBarCnt: 0
; Occupancy: 16
; WaveLimiterHint : 0
; COMPUTE_PGM_RSRC2:SCRATCH_EN: 0
; COMPUTE_PGM_RSRC2:USER_SGPR: 2
; COMPUTE_PGM_RSRC2:TRAP_HANDLER: 0
; COMPUTE_PGM_RSRC2:TGID_X_EN: 1
; COMPUTE_PGM_RSRC2:TGID_Y_EN: 0
; COMPUTE_PGM_RSRC2:TGID_Z_EN: 0
; COMPUTE_PGM_RSRC2:TIDIG_COMP_CNT: 0
	.section	.text._ZN7rocprim17ROCPRIM_400000_NS6detail17trampoline_kernelINS0_13select_configILj256ELj13ELNS0_17block_load_methodE3ELS4_3ELS4_3ELNS0_20block_scan_algorithmE0ELj4294967295EEENS1_25partition_config_selectorILNS1_17partition_subalgoE3EjNS0_10empty_typeEbEEZZNS1_14partition_implILS8_3ELb0ES6_jNS0_17counting_iteratorIjlEEPS9_SE_NS0_5tupleIJPjSE_EEENSF_IJSE_SE_EEES9_SG_JZNS1_25segmented_radix_sort_implINS0_14default_configELb0EPKlPlSM_SN_N2at6native12_GLOBAL__N_18offset_tEEE10hipError_tPvRmT1_PNSt15iterator_traitsISV_E10value_typeET2_T3_PNSW_IS11_E10value_typeET4_jRbjT5_S17_jjP12ihipStream_tbEUljE_EEESS_ST_SU_S11_S15_S17_T6_T7_T9_mT8_S19_bDpT10_ENKUlT_T0_E_clISt17integral_constantIbLb0EES1L_IbLb1EEEEDaS1H_S1I_EUlS1H_E_NS1_11comp_targetILNS1_3genE3ELNS1_11target_archE908ELNS1_3gpuE7ELNS1_3repE0EEENS1_30default_config_static_selectorELNS0_4arch9wavefront6targetE0EEEvSV_,"axG",@progbits,_ZN7rocprim17ROCPRIM_400000_NS6detail17trampoline_kernelINS0_13select_configILj256ELj13ELNS0_17block_load_methodE3ELS4_3ELS4_3ELNS0_20block_scan_algorithmE0ELj4294967295EEENS1_25partition_config_selectorILNS1_17partition_subalgoE3EjNS0_10empty_typeEbEEZZNS1_14partition_implILS8_3ELb0ES6_jNS0_17counting_iteratorIjlEEPS9_SE_NS0_5tupleIJPjSE_EEENSF_IJSE_SE_EEES9_SG_JZNS1_25segmented_radix_sort_implINS0_14default_configELb0EPKlPlSM_SN_N2at6native12_GLOBAL__N_18offset_tEEE10hipError_tPvRmT1_PNSt15iterator_traitsISV_E10value_typeET2_T3_PNSW_IS11_E10value_typeET4_jRbjT5_S17_jjP12ihipStream_tbEUljE_EEESS_ST_SU_S11_S15_S17_T6_T7_T9_mT8_S19_bDpT10_ENKUlT_T0_E_clISt17integral_constantIbLb0EES1L_IbLb1EEEEDaS1H_S1I_EUlS1H_E_NS1_11comp_targetILNS1_3genE3ELNS1_11target_archE908ELNS1_3gpuE7ELNS1_3repE0EEENS1_30default_config_static_selectorELNS0_4arch9wavefront6targetE0EEEvSV_,comdat
	.globl	_ZN7rocprim17ROCPRIM_400000_NS6detail17trampoline_kernelINS0_13select_configILj256ELj13ELNS0_17block_load_methodE3ELS4_3ELS4_3ELNS0_20block_scan_algorithmE0ELj4294967295EEENS1_25partition_config_selectorILNS1_17partition_subalgoE3EjNS0_10empty_typeEbEEZZNS1_14partition_implILS8_3ELb0ES6_jNS0_17counting_iteratorIjlEEPS9_SE_NS0_5tupleIJPjSE_EEENSF_IJSE_SE_EEES9_SG_JZNS1_25segmented_radix_sort_implINS0_14default_configELb0EPKlPlSM_SN_N2at6native12_GLOBAL__N_18offset_tEEE10hipError_tPvRmT1_PNSt15iterator_traitsISV_E10value_typeET2_T3_PNSW_IS11_E10value_typeET4_jRbjT5_S17_jjP12ihipStream_tbEUljE_EEESS_ST_SU_S11_S15_S17_T6_T7_T9_mT8_S19_bDpT10_ENKUlT_T0_E_clISt17integral_constantIbLb0EES1L_IbLb1EEEEDaS1H_S1I_EUlS1H_E_NS1_11comp_targetILNS1_3genE3ELNS1_11target_archE908ELNS1_3gpuE7ELNS1_3repE0EEENS1_30default_config_static_selectorELNS0_4arch9wavefront6targetE0EEEvSV_ ; -- Begin function _ZN7rocprim17ROCPRIM_400000_NS6detail17trampoline_kernelINS0_13select_configILj256ELj13ELNS0_17block_load_methodE3ELS4_3ELS4_3ELNS0_20block_scan_algorithmE0ELj4294967295EEENS1_25partition_config_selectorILNS1_17partition_subalgoE3EjNS0_10empty_typeEbEEZZNS1_14partition_implILS8_3ELb0ES6_jNS0_17counting_iteratorIjlEEPS9_SE_NS0_5tupleIJPjSE_EEENSF_IJSE_SE_EEES9_SG_JZNS1_25segmented_radix_sort_implINS0_14default_configELb0EPKlPlSM_SN_N2at6native12_GLOBAL__N_18offset_tEEE10hipError_tPvRmT1_PNSt15iterator_traitsISV_E10value_typeET2_T3_PNSW_IS11_E10value_typeET4_jRbjT5_S17_jjP12ihipStream_tbEUljE_EEESS_ST_SU_S11_S15_S17_T6_T7_T9_mT8_S19_bDpT10_ENKUlT_T0_E_clISt17integral_constantIbLb0EES1L_IbLb1EEEEDaS1H_S1I_EUlS1H_E_NS1_11comp_targetILNS1_3genE3ELNS1_11target_archE908ELNS1_3gpuE7ELNS1_3repE0EEENS1_30default_config_static_selectorELNS0_4arch9wavefront6targetE0EEEvSV_
	.p2align	8
	.type	_ZN7rocprim17ROCPRIM_400000_NS6detail17trampoline_kernelINS0_13select_configILj256ELj13ELNS0_17block_load_methodE3ELS4_3ELS4_3ELNS0_20block_scan_algorithmE0ELj4294967295EEENS1_25partition_config_selectorILNS1_17partition_subalgoE3EjNS0_10empty_typeEbEEZZNS1_14partition_implILS8_3ELb0ES6_jNS0_17counting_iteratorIjlEEPS9_SE_NS0_5tupleIJPjSE_EEENSF_IJSE_SE_EEES9_SG_JZNS1_25segmented_radix_sort_implINS0_14default_configELb0EPKlPlSM_SN_N2at6native12_GLOBAL__N_18offset_tEEE10hipError_tPvRmT1_PNSt15iterator_traitsISV_E10value_typeET2_T3_PNSW_IS11_E10value_typeET4_jRbjT5_S17_jjP12ihipStream_tbEUljE_EEESS_ST_SU_S11_S15_S17_T6_T7_T9_mT8_S19_bDpT10_ENKUlT_T0_E_clISt17integral_constantIbLb0EES1L_IbLb1EEEEDaS1H_S1I_EUlS1H_E_NS1_11comp_targetILNS1_3genE3ELNS1_11target_archE908ELNS1_3gpuE7ELNS1_3repE0EEENS1_30default_config_static_selectorELNS0_4arch9wavefront6targetE0EEEvSV_,@function
_ZN7rocprim17ROCPRIM_400000_NS6detail17trampoline_kernelINS0_13select_configILj256ELj13ELNS0_17block_load_methodE3ELS4_3ELS4_3ELNS0_20block_scan_algorithmE0ELj4294967295EEENS1_25partition_config_selectorILNS1_17partition_subalgoE3EjNS0_10empty_typeEbEEZZNS1_14partition_implILS8_3ELb0ES6_jNS0_17counting_iteratorIjlEEPS9_SE_NS0_5tupleIJPjSE_EEENSF_IJSE_SE_EEES9_SG_JZNS1_25segmented_radix_sort_implINS0_14default_configELb0EPKlPlSM_SN_N2at6native12_GLOBAL__N_18offset_tEEE10hipError_tPvRmT1_PNSt15iterator_traitsISV_E10value_typeET2_T3_PNSW_IS11_E10value_typeET4_jRbjT5_S17_jjP12ihipStream_tbEUljE_EEESS_ST_SU_S11_S15_S17_T6_T7_T9_mT8_S19_bDpT10_ENKUlT_T0_E_clISt17integral_constantIbLb0EES1L_IbLb1EEEEDaS1H_S1I_EUlS1H_E_NS1_11comp_targetILNS1_3genE3ELNS1_11target_archE908ELNS1_3gpuE7ELNS1_3repE0EEENS1_30default_config_static_selectorELNS0_4arch9wavefront6targetE0EEEvSV_: ; @_ZN7rocprim17ROCPRIM_400000_NS6detail17trampoline_kernelINS0_13select_configILj256ELj13ELNS0_17block_load_methodE3ELS4_3ELS4_3ELNS0_20block_scan_algorithmE0ELj4294967295EEENS1_25partition_config_selectorILNS1_17partition_subalgoE3EjNS0_10empty_typeEbEEZZNS1_14partition_implILS8_3ELb0ES6_jNS0_17counting_iteratorIjlEEPS9_SE_NS0_5tupleIJPjSE_EEENSF_IJSE_SE_EEES9_SG_JZNS1_25segmented_radix_sort_implINS0_14default_configELb0EPKlPlSM_SN_N2at6native12_GLOBAL__N_18offset_tEEE10hipError_tPvRmT1_PNSt15iterator_traitsISV_E10value_typeET2_T3_PNSW_IS11_E10value_typeET4_jRbjT5_S17_jjP12ihipStream_tbEUljE_EEESS_ST_SU_S11_S15_S17_T6_T7_T9_mT8_S19_bDpT10_ENKUlT_T0_E_clISt17integral_constantIbLb0EES1L_IbLb1EEEEDaS1H_S1I_EUlS1H_E_NS1_11comp_targetILNS1_3genE3ELNS1_11target_archE908ELNS1_3gpuE7ELNS1_3repE0EEENS1_30default_config_static_selectorELNS0_4arch9wavefront6targetE0EEEvSV_
; %bb.0:
	.section	.rodata,"a",@progbits
	.p2align	6, 0x0
	.amdhsa_kernel _ZN7rocprim17ROCPRIM_400000_NS6detail17trampoline_kernelINS0_13select_configILj256ELj13ELNS0_17block_load_methodE3ELS4_3ELS4_3ELNS0_20block_scan_algorithmE0ELj4294967295EEENS1_25partition_config_selectorILNS1_17partition_subalgoE3EjNS0_10empty_typeEbEEZZNS1_14partition_implILS8_3ELb0ES6_jNS0_17counting_iteratorIjlEEPS9_SE_NS0_5tupleIJPjSE_EEENSF_IJSE_SE_EEES9_SG_JZNS1_25segmented_radix_sort_implINS0_14default_configELb0EPKlPlSM_SN_N2at6native12_GLOBAL__N_18offset_tEEE10hipError_tPvRmT1_PNSt15iterator_traitsISV_E10value_typeET2_T3_PNSW_IS11_E10value_typeET4_jRbjT5_S17_jjP12ihipStream_tbEUljE_EEESS_ST_SU_S11_S15_S17_T6_T7_T9_mT8_S19_bDpT10_ENKUlT_T0_E_clISt17integral_constantIbLb0EES1L_IbLb1EEEEDaS1H_S1I_EUlS1H_E_NS1_11comp_targetILNS1_3genE3ELNS1_11target_archE908ELNS1_3gpuE7ELNS1_3repE0EEENS1_30default_config_static_selectorELNS0_4arch9wavefront6targetE0EEEvSV_
		.amdhsa_group_segment_fixed_size 0
		.amdhsa_private_segment_fixed_size 0
		.amdhsa_kernarg_size 152
		.amdhsa_user_sgpr_count 2
		.amdhsa_user_sgpr_dispatch_ptr 0
		.amdhsa_user_sgpr_queue_ptr 0
		.amdhsa_user_sgpr_kernarg_segment_ptr 1
		.amdhsa_user_sgpr_dispatch_id 0
		.amdhsa_user_sgpr_kernarg_preload_length 0
		.amdhsa_user_sgpr_kernarg_preload_offset 0
		.amdhsa_user_sgpr_private_segment_size 0
		.amdhsa_wavefront_size32 1
		.amdhsa_uses_dynamic_stack 0
		.amdhsa_enable_private_segment 0
		.amdhsa_system_sgpr_workgroup_id_x 1
		.amdhsa_system_sgpr_workgroup_id_y 0
		.amdhsa_system_sgpr_workgroup_id_z 0
		.amdhsa_system_sgpr_workgroup_info 0
		.amdhsa_system_vgpr_workitem_id 0
		.amdhsa_next_free_vgpr 1
		.amdhsa_next_free_sgpr 1
		.amdhsa_named_barrier_count 0
		.amdhsa_reserve_vcc 0
		.amdhsa_float_round_mode_32 0
		.amdhsa_float_round_mode_16_64 0
		.amdhsa_float_denorm_mode_32 3
		.amdhsa_float_denorm_mode_16_64 3
		.amdhsa_fp16_overflow 0
		.amdhsa_memory_ordered 1
		.amdhsa_forward_progress 1
		.amdhsa_inst_pref_size 0
		.amdhsa_round_robin_scheduling 0
		.amdhsa_exception_fp_ieee_invalid_op 0
		.amdhsa_exception_fp_denorm_src 0
		.amdhsa_exception_fp_ieee_div_zero 0
		.amdhsa_exception_fp_ieee_overflow 0
		.amdhsa_exception_fp_ieee_underflow 0
		.amdhsa_exception_fp_ieee_inexact 0
		.amdhsa_exception_int_div_zero 0
	.end_amdhsa_kernel
	.section	.text._ZN7rocprim17ROCPRIM_400000_NS6detail17trampoline_kernelINS0_13select_configILj256ELj13ELNS0_17block_load_methodE3ELS4_3ELS4_3ELNS0_20block_scan_algorithmE0ELj4294967295EEENS1_25partition_config_selectorILNS1_17partition_subalgoE3EjNS0_10empty_typeEbEEZZNS1_14partition_implILS8_3ELb0ES6_jNS0_17counting_iteratorIjlEEPS9_SE_NS0_5tupleIJPjSE_EEENSF_IJSE_SE_EEES9_SG_JZNS1_25segmented_radix_sort_implINS0_14default_configELb0EPKlPlSM_SN_N2at6native12_GLOBAL__N_18offset_tEEE10hipError_tPvRmT1_PNSt15iterator_traitsISV_E10value_typeET2_T3_PNSW_IS11_E10value_typeET4_jRbjT5_S17_jjP12ihipStream_tbEUljE_EEESS_ST_SU_S11_S15_S17_T6_T7_T9_mT8_S19_bDpT10_ENKUlT_T0_E_clISt17integral_constantIbLb0EES1L_IbLb1EEEEDaS1H_S1I_EUlS1H_E_NS1_11comp_targetILNS1_3genE3ELNS1_11target_archE908ELNS1_3gpuE7ELNS1_3repE0EEENS1_30default_config_static_selectorELNS0_4arch9wavefront6targetE0EEEvSV_,"axG",@progbits,_ZN7rocprim17ROCPRIM_400000_NS6detail17trampoline_kernelINS0_13select_configILj256ELj13ELNS0_17block_load_methodE3ELS4_3ELS4_3ELNS0_20block_scan_algorithmE0ELj4294967295EEENS1_25partition_config_selectorILNS1_17partition_subalgoE3EjNS0_10empty_typeEbEEZZNS1_14partition_implILS8_3ELb0ES6_jNS0_17counting_iteratorIjlEEPS9_SE_NS0_5tupleIJPjSE_EEENSF_IJSE_SE_EEES9_SG_JZNS1_25segmented_radix_sort_implINS0_14default_configELb0EPKlPlSM_SN_N2at6native12_GLOBAL__N_18offset_tEEE10hipError_tPvRmT1_PNSt15iterator_traitsISV_E10value_typeET2_T3_PNSW_IS11_E10value_typeET4_jRbjT5_S17_jjP12ihipStream_tbEUljE_EEESS_ST_SU_S11_S15_S17_T6_T7_T9_mT8_S19_bDpT10_ENKUlT_T0_E_clISt17integral_constantIbLb0EES1L_IbLb1EEEEDaS1H_S1I_EUlS1H_E_NS1_11comp_targetILNS1_3genE3ELNS1_11target_archE908ELNS1_3gpuE7ELNS1_3repE0EEENS1_30default_config_static_selectorELNS0_4arch9wavefront6targetE0EEEvSV_,comdat
.Lfunc_end798:
	.size	_ZN7rocprim17ROCPRIM_400000_NS6detail17trampoline_kernelINS0_13select_configILj256ELj13ELNS0_17block_load_methodE3ELS4_3ELS4_3ELNS0_20block_scan_algorithmE0ELj4294967295EEENS1_25partition_config_selectorILNS1_17partition_subalgoE3EjNS0_10empty_typeEbEEZZNS1_14partition_implILS8_3ELb0ES6_jNS0_17counting_iteratorIjlEEPS9_SE_NS0_5tupleIJPjSE_EEENSF_IJSE_SE_EEES9_SG_JZNS1_25segmented_radix_sort_implINS0_14default_configELb0EPKlPlSM_SN_N2at6native12_GLOBAL__N_18offset_tEEE10hipError_tPvRmT1_PNSt15iterator_traitsISV_E10value_typeET2_T3_PNSW_IS11_E10value_typeET4_jRbjT5_S17_jjP12ihipStream_tbEUljE_EEESS_ST_SU_S11_S15_S17_T6_T7_T9_mT8_S19_bDpT10_ENKUlT_T0_E_clISt17integral_constantIbLb0EES1L_IbLb1EEEEDaS1H_S1I_EUlS1H_E_NS1_11comp_targetILNS1_3genE3ELNS1_11target_archE908ELNS1_3gpuE7ELNS1_3repE0EEENS1_30default_config_static_selectorELNS0_4arch9wavefront6targetE0EEEvSV_, .Lfunc_end798-_ZN7rocprim17ROCPRIM_400000_NS6detail17trampoline_kernelINS0_13select_configILj256ELj13ELNS0_17block_load_methodE3ELS4_3ELS4_3ELNS0_20block_scan_algorithmE0ELj4294967295EEENS1_25partition_config_selectorILNS1_17partition_subalgoE3EjNS0_10empty_typeEbEEZZNS1_14partition_implILS8_3ELb0ES6_jNS0_17counting_iteratorIjlEEPS9_SE_NS0_5tupleIJPjSE_EEENSF_IJSE_SE_EEES9_SG_JZNS1_25segmented_radix_sort_implINS0_14default_configELb0EPKlPlSM_SN_N2at6native12_GLOBAL__N_18offset_tEEE10hipError_tPvRmT1_PNSt15iterator_traitsISV_E10value_typeET2_T3_PNSW_IS11_E10value_typeET4_jRbjT5_S17_jjP12ihipStream_tbEUljE_EEESS_ST_SU_S11_S15_S17_T6_T7_T9_mT8_S19_bDpT10_ENKUlT_T0_E_clISt17integral_constantIbLb0EES1L_IbLb1EEEEDaS1H_S1I_EUlS1H_E_NS1_11comp_targetILNS1_3genE3ELNS1_11target_archE908ELNS1_3gpuE7ELNS1_3repE0EEENS1_30default_config_static_selectorELNS0_4arch9wavefront6targetE0EEEvSV_
                                        ; -- End function
	.set _ZN7rocprim17ROCPRIM_400000_NS6detail17trampoline_kernelINS0_13select_configILj256ELj13ELNS0_17block_load_methodE3ELS4_3ELS4_3ELNS0_20block_scan_algorithmE0ELj4294967295EEENS1_25partition_config_selectorILNS1_17partition_subalgoE3EjNS0_10empty_typeEbEEZZNS1_14partition_implILS8_3ELb0ES6_jNS0_17counting_iteratorIjlEEPS9_SE_NS0_5tupleIJPjSE_EEENSF_IJSE_SE_EEES9_SG_JZNS1_25segmented_radix_sort_implINS0_14default_configELb0EPKlPlSM_SN_N2at6native12_GLOBAL__N_18offset_tEEE10hipError_tPvRmT1_PNSt15iterator_traitsISV_E10value_typeET2_T3_PNSW_IS11_E10value_typeET4_jRbjT5_S17_jjP12ihipStream_tbEUljE_EEESS_ST_SU_S11_S15_S17_T6_T7_T9_mT8_S19_bDpT10_ENKUlT_T0_E_clISt17integral_constantIbLb0EES1L_IbLb1EEEEDaS1H_S1I_EUlS1H_E_NS1_11comp_targetILNS1_3genE3ELNS1_11target_archE908ELNS1_3gpuE7ELNS1_3repE0EEENS1_30default_config_static_selectorELNS0_4arch9wavefront6targetE0EEEvSV_.num_vgpr, 0
	.set _ZN7rocprim17ROCPRIM_400000_NS6detail17trampoline_kernelINS0_13select_configILj256ELj13ELNS0_17block_load_methodE3ELS4_3ELS4_3ELNS0_20block_scan_algorithmE0ELj4294967295EEENS1_25partition_config_selectorILNS1_17partition_subalgoE3EjNS0_10empty_typeEbEEZZNS1_14partition_implILS8_3ELb0ES6_jNS0_17counting_iteratorIjlEEPS9_SE_NS0_5tupleIJPjSE_EEENSF_IJSE_SE_EEES9_SG_JZNS1_25segmented_radix_sort_implINS0_14default_configELb0EPKlPlSM_SN_N2at6native12_GLOBAL__N_18offset_tEEE10hipError_tPvRmT1_PNSt15iterator_traitsISV_E10value_typeET2_T3_PNSW_IS11_E10value_typeET4_jRbjT5_S17_jjP12ihipStream_tbEUljE_EEESS_ST_SU_S11_S15_S17_T6_T7_T9_mT8_S19_bDpT10_ENKUlT_T0_E_clISt17integral_constantIbLb0EES1L_IbLb1EEEEDaS1H_S1I_EUlS1H_E_NS1_11comp_targetILNS1_3genE3ELNS1_11target_archE908ELNS1_3gpuE7ELNS1_3repE0EEENS1_30default_config_static_selectorELNS0_4arch9wavefront6targetE0EEEvSV_.num_agpr, 0
	.set _ZN7rocprim17ROCPRIM_400000_NS6detail17trampoline_kernelINS0_13select_configILj256ELj13ELNS0_17block_load_methodE3ELS4_3ELS4_3ELNS0_20block_scan_algorithmE0ELj4294967295EEENS1_25partition_config_selectorILNS1_17partition_subalgoE3EjNS0_10empty_typeEbEEZZNS1_14partition_implILS8_3ELb0ES6_jNS0_17counting_iteratorIjlEEPS9_SE_NS0_5tupleIJPjSE_EEENSF_IJSE_SE_EEES9_SG_JZNS1_25segmented_radix_sort_implINS0_14default_configELb0EPKlPlSM_SN_N2at6native12_GLOBAL__N_18offset_tEEE10hipError_tPvRmT1_PNSt15iterator_traitsISV_E10value_typeET2_T3_PNSW_IS11_E10value_typeET4_jRbjT5_S17_jjP12ihipStream_tbEUljE_EEESS_ST_SU_S11_S15_S17_T6_T7_T9_mT8_S19_bDpT10_ENKUlT_T0_E_clISt17integral_constantIbLb0EES1L_IbLb1EEEEDaS1H_S1I_EUlS1H_E_NS1_11comp_targetILNS1_3genE3ELNS1_11target_archE908ELNS1_3gpuE7ELNS1_3repE0EEENS1_30default_config_static_selectorELNS0_4arch9wavefront6targetE0EEEvSV_.numbered_sgpr, 0
	.set _ZN7rocprim17ROCPRIM_400000_NS6detail17trampoline_kernelINS0_13select_configILj256ELj13ELNS0_17block_load_methodE3ELS4_3ELS4_3ELNS0_20block_scan_algorithmE0ELj4294967295EEENS1_25partition_config_selectorILNS1_17partition_subalgoE3EjNS0_10empty_typeEbEEZZNS1_14partition_implILS8_3ELb0ES6_jNS0_17counting_iteratorIjlEEPS9_SE_NS0_5tupleIJPjSE_EEENSF_IJSE_SE_EEES9_SG_JZNS1_25segmented_radix_sort_implINS0_14default_configELb0EPKlPlSM_SN_N2at6native12_GLOBAL__N_18offset_tEEE10hipError_tPvRmT1_PNSt15iterator_traitsISV_E10value_typeET2_T3_PNSW_IS11_E10value_typeET4_jRbjT5_S17_jjP12ihipStream_tbEUljE_EEESS_ST_SU_S11_S15_S17_T6_T7_T9_mT8_S19_bDpT10_ENKUlT_T0_E_clISt17integral_constantIbLb0EES1L_IbLb1EEEEDaS1H_S1I_EUlS1H_E_NS1_11comp_targetILNS1_3genE3ELNS1_11target_archE908ELNS1_3gpuE7ELNS1_3repE0EEENS1_30default_config_static_selectorELNS0_4arch9wavefront6targetE0EEEvSV_.num_named_barrier, 0
	.set _ZN7rocprim17ROCPRIM_400000_NS6detail17trampoline_kernelINS0_13select_configILj256ELj13ELNS0_17block_load_methodE3ELS4_3ELS4_3ELNS0_20block_scan_algorithmE0ELj4294967295EEENS1_25partition_config_selectorILNS1_17partition_subalgoE3EjNS0_10empty_typeEbEEZZNS1_14partition_implILS8_3ELb0ES6_jNS0_17counting_iteratorIjlEEPS9_SE_NS0_5tupleIJPjSE_EEENSF_IJSE_SE_EEES9_SG_JZNS1_25segmented_radix_sort_implINS0_14default_configELb0EPKlPlSM_SN_N2at6native12_GLOBAL__N_18offset_tEEE10hipError_tPvRmT1_PNSt15iterator_traitsISV_E10value_typeET2_T3_PNSW_IS11_E10value_typeET4_jRbjT5_S17_jjP12ihipStream_tbEUljE_EEESS_ST_SU_S11_S15_S17_T6_T7_T9_mT8_S19_bDpT10_ENKUlT_T0_E_clISt17integral_constantIbLb0EES1L_IbLb1EEEEDaS1H_S1I_EUlS1H_E_NS1_11comp_targetILNS1_3genE3ELNS1_11target_archE908ELNS1_3gpuE7ELNS1_3repE0EEENS1_30default_config_static_selectorELNS0_4arch9wavefront6targetE0EEEvSV_.private_seg_size, 0
	.set _ZN7rocprim17ROCPRIM_400000_NS6detail17trampoline_kernelINS0_13select_configILj256ELj13ELNS0_17block_load_methodE3ELS4_3ELS4_3ELNS0_20block_scan_algorithmE0ELj4294967295EEENS1_25partition_config_selectorILNS1_17partition_subalgoE3EjNS0_10empty_typeEbEEZZNS1_14partition_implILS8_3ELb0ES6_jNS0_17counting_iteratorIjlEEPS9_SE_NS0_5tupleIJPjSE_EEENSF_IJSE_SE_EEES9_SG_JZNS1_25segmented_radix_sort_implINS0_14default_configELb0EPKlPlSM_SN_N2at6native12_GLOBAL__N_18offset_tEEE10hipError_tPvRmT1_PNSt15iterator_traitsISV_E10value_typeET2_T3_PNSW_IS11_E10value_typeET4_jRbjT5_S17_jjP12ihipStream_tbEUljE_EEESS_ST_SU_S11_S15_S17_T6_T7_T9_mT8_S19_bDpT10_ENKUlT_T0_E_clISt17integral_constantIbLb0EES1L_IbLb1EEEEDaS1H_S1I_EUlS1H_E_NS1_11comp_targetILNS1_3genE3ELNS1_11target_archE908ELNS1_3gpuE7ELNS1_3repE0EEENS1_30default_config_static_selectorELNS0_4arch9wavefront6targetE0EEEvSV_.uses_vcc, 0
	.set _ZN7rocprim17ROCPRIM_400000_NS6detail17trampoline_kernelINS0_13select_configILj256ELj13ELNS0_17block_load_methodE3ELS4_3ELS4_3ELNS0_20block_scan_algorithmE0ELj4294967295EEENS1_25partition_config_selectorILNS1_17partition_subalgoE3EjNS0_10empty_typeEbEEZZNS1_14partition_implILS8_3ELb0ES6_jNS0_17counting_iteratorIjlEEPS9_SE_NS0_5tupleIJPjSE_EEENSF_IJSE_SE_EEES9_SG_JZNS1_25segmented_radix_sort_implINS0_14default_configELb0EPKlPlSM_SN_N2at6native12_GLOBAL__N_18offset_tEEE10hipError_tPvRmT1_PNSt15iterator_traitsISV_E10value_typeET2_T3_PNSW_IS11_E10value_typeET4_jRbjT5_S17_jjP12ihipStream_tbEUljE_EEESS_ST_SU_S11_S15_S17_T6_T7_T9_mT8_S19_bDpT10_ENKUlT_T0_E_clISt17integral_constantIbLb0EES1L_IbLb1EEEEDaS1H_S1I_EUlS1H_E_NS1_11comp_targetILNS1_3genE3ELNS1_11target_archE908ELNS1_3gpuE7ELNS1_3repE0EEENS1_30default_config_static_selectorELNS0_4arch9wavefront6targetE0EEEvSV_.uses_flat_scratch, 0
	.set _ZN7rocprim17ROCPRIM_400000_NS6detail17trampoline_kernelINS0_13select_configILj256ELj13ELNS0_17block_load_methodE3ELS4_3ELS4_3ELNS0_20block_scan_algorithmE0ELj4294967295EEENS1_25partition_config_selectorILNS1_17partition_subalgoE3EjNS0_10empty_typeEbEEZZNS1_14partition_implILS8_3ELb0ES6_jNS0_17counting_iteratorIjlEEPS9_SE_NS0_5tupleIJPjSE_EEENSF_IJSE_SE_EEES9_SG_JZNS1_25segmented_radix_sort_implINS0_14default_configELb0EPKlPlSM_SN_N2at6native12_GLOBAL__N_18offset_tEEE10hipError_tPvRmT1_PNSt15iterator_traitsISV_E10value_typeET2_T3_PNSW_IS11_E10value_typeET4_jRbjT5_S17_jjP12ihipStream_tbEUljE_EEESS_ST_SU_S11_S15_S17_T6_T7_T9_mT8_S19_bDpT10_ENKUlT_T0_E_clISt17integral_constantIbLb0EES1L_IbLb1EEEEDaS1H_S1I_EUlS1H_E_NS1_11comp_targetILNS1_3genE3ELNS1_11target_archE908ELNS1_3gpuE7ELNS1_3repE0EEENS1_30default_config_static_selectorELNS0_4arch9wavefront6targetE0EEEvSV_.has_dyn_sized_stack, 0
	.set _ZN7rocprim17ROCPRIM_400000_NS6detail17trampoline_kernelINS0_13select_configILj256ELj13ELNS0_17block_load_methodE3ELS4_3ELS4_3ELNS0_20block_scan_algorithmE0ELj4294967295EEENS1_25partition_config_selectorILNS1_17partition_subalgoE3EjNS0_10empty_typeEbEEZZNS1_14partition_implILS8_3ELb0ES6_jNS0_17counting_iteratorIjlEEPS9_SE_NS0_5tupleIJPjSE_EEENSF_IJSE_SE_EEES9_SG_JZNS1_25segmented_radix_sort_implINS0_14default_configELb0EPKlPlSM_SN_N2at6native12_GLOBAL__N_18offset_tEEE10hipError_tPvRmT1_PNSt15iterator_traitsISV_E10value_typeET2_T3_PNSW_IS11_E10value_typeET4_jRbjT5_S17_jjP12ihipStream_tbEUljE_EEESS_ST_SU_S11_S15_S17_T6_T7_T9_mT8_S19_bDpT10_ENKUlT_T0_E_clISt17integral_constantIbLb0EES1L_IbLb1EEEEDaS1H_S1I_EUlS1H_E_NS1_11comp_targetILNS1_3genE3ELNS1_11target_archE908ELNS1_3gpuE7ELNS1_3repE0EEENS1_30default_config_static_selectorELNS0_4arch9wavefront6targetE0EEEvSV_.has_recursion, 0
	.set _ZN7rocprim17ROCPRIM_400000_NS6detail17trampoline_kernelINS0_13select_configILj256ELj13ELNS0_17block_load_methodE3ELS4_3ELS4_3ELNS0_20block_scan_algorithmE0ELj4294967295EEENS1_25partition_config_selectorILNS1_17partition_subalgoE3EjNS0_10empty_typeEbEEZZNS1_14partition_implILS8_3ELb0ES6_jNS0_17counting_iteratorIjlEEPS9_SE_NS0_5tupleIJPjSE_EEENSF_IJSE_SE_EEES9_SG_JZNS1_25segmented_radix_sort_implINS0_14default_configELb0EPKlPlSM_SN_N2at6native12_GLOBAL__N_18offset_tEEE10hipError_tPvRmT1_PNSt15iterator_traitsISV_E10value_typeET2_T3_PNSW_IS11_E10value_typeET4_jRbjT5_S17_jjP12ihipStream_tbEUljE_EEESS_ST_SU_S11_S15_S17_T6_T7_T9_mT8_S19_bDpT10_ENKUlT_T0_E_clISt17integral_constantIbLb0EES1L_IbLb1EEEEDaS1H_S1I_EUlS1H_E_NS1_11comp_targetILNS1_3genE3ELNS1_11target_archE908ELNS1_3gpuE7ELNS1_3repE0EEENS1_30default_config_static_selectorELNS0_4arch9wavefront6targetE0EEEvSV_.has_indirect_call, 0
	.section	.AMDGPU.csdata,"",@progbits
; Kernel info:
; codeLenInByte = 0
; TotalNumSgprs: 0
; NumVgprs: 0
; ScratchSize: 0
; MemoryBound: 0
; FloatMode: 240
; IeeeMode: 1
; LDSByteSize: 0 bytes/workgroup (compile time only)
; SGPRBlocks: 0
; VGPRBlocks: 0
; NumSGPRsForWavesPerEU: 1
; NumVGPRsForWavesPerEU: 1
; NamedBarCnt: 0
; Occupancy: 16
; WaveLimiterHint : 0
; COMPUTE_PGM_RSRC2:SCRATCH_EN: 0
; COMPUTE_PGM_RSRC2:USER_SGPR: 2
; COMPUTE_PGM_RSRC2:TRAP_HANDLER: 0
; COMPUTE_PGM_RSRC2:TGID_X_EN: 1
; COMPUTE_PGM_RSRC2:TGID_Y_EN: 0
; COMPUTE_PGM_RSRC2:TGID_Z_EN: 0
; COMPUTE_PGM_RSRC2:TIDIG_COMP_CNT: 0
	.section	.text._ZN7rocprim17ROCPRIM_400000_NS6detail17trampoline_kernelINS0_13select_configILj256ELj13ELNS0_17block_load_methodE3ELS4_3ELS4_3ELNS0_20block_scan_algorithmE0ELj4294967295EEENS1_25partition_config_selectorILNS1_17partition_subalgoE3EjNS0_10empty_typeEbEEZZNS1_14partition_implILS8_3ELb0ES6_jNS0_17counting_iteratorIjlEEPS9_SE_NS0_5tupleIJPjSE_EEENSF_IJSE_SE_EEES9_SG_JZNS1_25segmented_radix_sort_implINS0_14default_configELb0EPKlPlSM_SN_N2at6native12_GLOBAL__N_18offset_tEEE10hipError_tPvRmT1_PNSt15iterator_traitsISV_E10value_typeET2_T3_PNSW_IS11_E10value_typeET4_jRbjT5_S17_jjP12ihipStream_tbEUljE_EEESS_ST_SU_S11_S15_S17_T6_T7_T9_mT8_S19_bDpT10_ENKUlT_T0_E_clISt17integral_constantIbLb0EES1L_IbLb1EEEEDaS1H_S1I_EUlS1H_E_NS1_11comp_targetILNS1_3genE2ELNS1_11target_archE906ELNS1_3gpuE6ELNS1_3repE0EEENS1_30default_config_static_selectorELNS0_4arch9wavefront6targetE0EEEvSV_,"axG",@progbits,_ZN7rocprim17ROCPRIM_400000_NS6detail17trampoline_kernelINS0_13select_configILj256ELj13ELNS0_17block_load_methodE3ELS4_3ELS4_3ELNS0_20block_scan_algorithmE0ELj4294967295EEENS1_25partition_config_selectorILNS1_17partition_subalgoE3EjNS0_10empty_typeEbEEZZNS1_14partition_implILS8_3ELb0ES6_jNS0_17counting_iteratorIjlEEPS9_SE_NS0_5tupleIJPjSE_EEENSF_IJSE_SE_EEES9_SG_JZNS1_25segmented_radix_sort_implINS0_14default_configELb0EPKlPlSM_SN_N2at6native12_GLOBAL__N_18offset_tEEE10hipError_tPvRmT1_PNSt15iterator_traitsISV_E10value_typeET2_T3_PNSW_IS11_E10value_typeET4_jRbjT5_S17_jjP12ihipStream_tbEUljE_EEESS_ST_SU_S11_S15_S17_T6_T7_T9_mT8_S19_bDpT10_ENKUlT_T0_E_clISt17integral_constantIbLb0EES1L_IbLb1EEEEDaS1H_S1I_EUlS1H_E_NS1_11comp_targetILNS1_3genE2ELNS1_11target_archE906ELNS1_3gpuE6ELNS1_3repE0EEENS1_30default_config_static_selectorELNS0_4arch9wavefront6targetE0EEEvSV_,comdat
	.globl	_ZN7rocprim17ROCPRIM_400000_NS6detail17trampoline_kernelINS0_13select_configILj256ELj13ELNS0_17block_load_methodE3ELS4_3ELS4_3ELNS0_20block_scan_algorithmE0ELj4294967295EEENS1_25partition_config_selectorILNS1_17partition_subalgoE3EjNS0_10empty_typeEbEEZZNS1_14partition_implILS8_3ELb0ES6_jNS0_17counting_iteratorIjlEEPS9_SE_NS0_5tupleIJPjSE_EEENSF_IJSE_SE_EEES9_SG_JZNS1_25segmented_radix_sort_implINS0_14default_configELb0EPKlPlSM_SN_N2at6native12_GLOBAL__N_18offset_tEEE10hipError_tPvRmT1_PNSt15iterator_traitsISV_E10value_typeET2_T3_PNSW_IS11_E10value_typeET4_jRbjT5_S17_jjP12ihipStream_tbEUljE_EEESS_ST_SU_S11_S15_S17_T6_T7_T9_mT8_S19_bDpT10_ENKUlT_T0_E_clISt17integral_constantIbLb0EES1L_IbLb1EEEEDaS1H_S1I_EUlS1H_E_NS1_11comp_targetILNS1_3genE2ELNS1_11target_archE906ELNS1_3gpuE6ELNS1_3repE0EEENS1_30default_config_static_selectorELNS0_4arch9wavefront6targetE0EEEvSV_ ; -- Begin function _ZN7rocprim17ROCPRIM_400000_NS6detail17trampoline_kernelINS0_13select_configILj256ELj13ELNS0_17block_load_methodE3ELS4_3ELS4_3ELNS0_20block_scan_algorithmE0ELj4294967295EEENS1_25partition_config_selectorILNS1_17partition_subalgoE3EjNS0_10empty_typeEbEEZZNS1_14partition_implILS8_3ELb0ES6_jNS0_17counting_iteratorIjlEEPS9_SE_NS0_5tupleIJPjSE_EEENSF_IJSE_SE_EEES9_SG_JZNS1_25segmented_radix_sort_implINS0_14default_configELb0EPKlPlSM_SN_N2at6native12_GLOBAL__N_18offset_tEEE10hipError_tPvRmT1_PNSt15iterator_traitsISV_E10value_typeET2_T3_PNSW_IS11_E10value_typeET4_jRbjT5_S17_jjP12ihipStream_tbEUljE_EEESS_ST_SU_S11_S15_S17_T6_T7_T9_mT8_S19_bDpT10_ENKUlT_T0_E_clISt17integral_constantIbLb0EES1L_IbLb1EEEEDaS1H_S1I_EUlS1H_E_NS1_11comp_targetILNS1_3genE2ELNS1_11target_archE906ELNS1_3gpuE6ELNS1_3repE0EEENS1_30default_config_static_selectorELNS0_4arch9wavefront6targetE0EEEvSV_
	.p2align	8
	.type	_ZN7rocprim17ROCPRIM_400000_NS6detail17trampoline_kernelINS0_13select_configILj256ELj13ELNS0_17block_load_methodE3ELS4_3ELS4_3ELNS0_20block_scan_algorithmE0ELj4294967295EEENS1_25partition_config_selectorILNS1_17partition_subalgoE3EjNS0_10empty_typeEbEEZZNS1_14partition_implILS8_3ELb0ES6_jNS0_17counting_iteratorIjlEEPS9_SE_NS0_5tupleIJPjSE_EEENSF_IJSE_SE_EEES9_SG_JZNS1_25segmented_radix_sort_implINS0_14default_configELb0EPKlPlSM_SN_N2at6native12_GLOBAL__N_18offset_tEEE10hipError_tPvRmT1_PNSt15iterator_traitsISV_E10value_typeET2_T3_PNSW_IS11_E10value_typeET4_jRbjT5_S17_jjP12ihipStream_tbEUljE_EEESS_ST_SU_S11_S15_S17_T6_T7_T9_mT8_S19_bDpT10_ENKUlT_T0_E_clISt17integral_constantIbLb0EES1L_IbLb1EEEEDaS1H_S1I_EUlS1H_E_NS1_11comp_targetILNS1_3genE2ELNS1_11target_archE906ELNS1_3gpuE6ELNS1_3repE0EEENS1_30default_config_static_selectorELNS0_4arch9wavefront6targetE0EEEvSV_,@function
_ZN7rocprim17ROCPRIM_400000_NS6detail17trampoline_kernelINS0_13select_configILj256ELj13ELNS0_17block_load_methodE3ELS4_3ELS4_3ELNS0_20block_scan_algorithmE0ELj4294967295EEENS1_25partition_config_selectorILNS1_17partition_subalgoE3EjNS0_10empty_typeEbEEZZNS1_14partition_implILS8_3ELb0ES6_jNS0_17counting_iteratorIjlEEPS9_SE_NS0_5tupleIJPjSE_EEENSF_IJSE_SE_EEES9_SG_JZNS1_25segmented_radix_sort_implINS0_14default_configELb0EPKlPlSM_SN_N2at6native12_GLOBAL__N_18offset_tEEE10hipError_tPvRmT1_PNSt15iterator_traitsISV_E10value_typeET2_T3_PNSW_IS11_E10value_typeET4_jRbjT5_S17_jjP12ihipStream_tbEUljE_EEESS_ST_SU_S11_S15_S17_T6_T7_T9_mT8_S19_bDpT10_ENKUlT_T0_E_clISt17integral_constantIbLb0EES1L_IbLb1EEEEDaS1H_S1I_EUlS1H_E_NS1_11comp_targetILNS1_3genE2ELNS1_11target_archE906ELNS1_3gpuE6ELNS1_3repE0EEENS1_30default_config_static_selectorELNS0_4arch9wavefront6targetE0EEEvSV_: ; @_ZN7rocprim17ROCPRIM_400000_NS6detail17trampoline_kernelINS0_13select_configILj256ELj13ELNS0_17block_load_methodE3ELS4_3ELS4_3ELNS0_20block_scan_algorithmE0ELj4294967295EEENS1_25partition_config_selectorILNS1_17partition_subalgoE3EjNS0_10empty_typeEbEEZZNS1_14partition_implILS8_3ELb0ES6_jNS0_17counting_iteratorIjlEEPS9_SE_NS0_5tupleIJPjSE_EEENSF_IJSE_SE_EEES9_SG_JZNS1_25segmented_radix_sort_implINS0_14default_configELb0EPKlPlSM_SN_N2at6native12_GLOBAL__N_18offset_tEEE10hipError_tPvRmT1_PNSt15iterator_traitsISV_E10value_typeET2_T3_PNSW_IS11_E10value_typeET4_jRbjT5_S17_jjP12ihipStream_tbEUljE_EEESS_ST_SU_S11_S15_S17_T6_T7_T9_mT8_S19_bDpT10_ENKUlT_T0_E_clISt17integral_constantIbLb0EES1L_IbLb1EEEEDaS1H_S1I_EUlS1H_E_NS1_11comp_targetILNS1_3genE2ELNS1_11target_archE906ELNS1_3gpuE6ELNS1_3repE0EEENS1_30default_config_static_selectorELNS0_4arch9wavefront6targetE0EEEvSV_
; %bb.0:
	.section	.rodata,"a",@progbits
	.p2align	6, 0x0
	.amdhsa_kernel _ZN7rocprim17ROCPRIM_400000_NS6detail17trampoline_kernelINS0_13select_configILj256ELj13ELNS0_17block_load_methodE3ELS4_3ELS4_3ELNS0_20block_scan_algorithmE0ELj4294967295EEENS1_25partition_config_selectorILNS1_17partition_subalgoE3EjNS0_10empty_typeEbEEZZNS1_14partition_implILS8_3ELb0ES6_jNS0_17counting_iteratorIjlEEPS9_SE_NS0_5tupleIJPjSE_EEENSF_IJSE_SE_EEES9_SG_JZNS1_25segmented_radix_sort_implINS0_14default_configELb0EPKlPlSM_SN_N2at6native12_GLOBAL__N_18offset_tEEE10hipError_tPvRmT1_PNSt15iterator_traitsISV_E10value_typeET2_T3_PNSW_IS11_E10value_typeET4_jRbjT5_S17_jjP12ihipStream_tbEUljE_EEESS_ST_SU_S11_S15_S17_T6_T7_T9_mT8_S19_bDpT10_ENKUlT_T0_E_clISt17integral_constantIbLb0EES1L_IbLb1EEEEDaS1H_S1I_EUlS1H_E_NS1_11comp_targetILNS1_3genE2ELNS1_11target_archE906ELNS1_3gpuE6ELNS1_3repE0EEENS1_30default_config_static_selectorELNS0_4arch9wavefront6targetE0EEEvSV_
		.amdhsa_group_segment_fixed_size 0
		.amdhsa_private_segment_fixed_size 0
		.amdhsa_kernarg_size 152
		.amdhsa_user_sgpr_count 2
		.amdhsa_user_sgpr_dispatch_ptr 0
		.amdhsa_user_sgpr_queue_ptr 0
		.amdhsa_user_sgpr_kernarg_segment_ptr 1
		.amdhsa_user_sgpr_dispatch_id 0
		.amdhsa_user_sgpr_kernarg_preload_length 0
		.amdhsa_user_sgpr_kernarg_preload_offset 0
		.amdhsa_user_sgpr_private_segment_size 0
		.amdhsa_wavefront_size32 1
		.amdhsa_uses_dynamic_stack 0
		.amdhsa_enable_private_segment 0
		.amdhsa_system_sgpr_workgroup_id_x 1
		.amdhsa_system_sgpr_workgroup_id_y 0
		.amdhsa_system_sgpr_workgroup_id_z 0
		.amdhsa_system_sgpr_workgroup_info 0
		.amdhsa_system_vgpr_workitem_id 0
		.amdhsa_next_free_vgpr 1
		.amdhsa_next_free_sgpr 1
		.amdhsa_named_barrier_count 0
		.amdhsa_reserve_vcc 0
		.amdhsa_float_round_mode_32 0
		.amdhsa_float_round_mode_16_64 0
		.amdhsa_float_denorm_mode_32 3
		.amdhsa_float_denorm_mode_16_64 3
		.amdhsa_fp16_overflow 0
		.amdhsa_memory_ordered 1
		.amdhsa_forward_progress 1
		.amdhsa_inst_pref_size 0
		.amdhsa_round_robin_scheduling 0
		.amdhsa_exception_fp_ieee_invalid_op 0
		.amdhsa_exception_fp_denorm_src 0
		.amdhsa_exception_fp_ieee_div_zero 0
		.amdhsa_exception_fp_ieee_overflow 0
		.amdhsa_exception_fp_ieee_underflow 0
		.amdhsa_exception_fp_ieee_inexact 0
		.amdhsa_exception_int_div_zero 0
	.end_amdhsa_kernel
	.section	.text._ZN7rocprim17ROCPRIM_400000_NS6detail17trampoline_kernelINS0_13select_configILj256ELj13ELNS0_17block_load_methodE3ELS4_3ELS4_3ELNS0_20block_scan_algorithmE0ELj4294967295EEENS1_25partition_config_selectorILNS1_17partition_subalgoE3EjNS0_10empty_typeEbEEZZNS1_14partition_implILS8_3ELb0ES6_jNS0_17counting_iteratorIjlEEPS9_SE_NS0_5tupleIJPjSE_EEENSF_IJSE_SE_EEES9_SG_JZNS1_25segmented_radix_sort_implINS0_14default_configELb0EPKlPlSM_SN_N2at6native12_GLOBAL__N_18offset_tEEE10hipError_tPvRmT1_PNSt15iterator_traitsISV_E10value_typeET2_T3_PNSW_IS11_E10value_typeET4_jRbjT5_S17_jjP12ihipStream_tbEUljE_EEESS_ST_SU_S11_S15_S17_T6_T7_T9_mT8_S19_bDpT10_ENKUlT_T0_E_clISt17integral_constantIbLb0EES1L_IbLb1EEEEDaS1H_S1I_EUlS1H_E_NS1_11comp_targetILNS1_3genE2ELNS1_11target_archE906ELNS1_3gpuE6ELNS1_3repE0EEENS1_30default_config_static_selectorELNS0_4arch9wavefront6targetE0EEEvSV_,"axG",@progbits,_ZN7rocprim17ROCPRIM_400000_NS6detail17trampoline_kernelINS0_13select_configILj256ELj13ELNS0_17block_load_methodE3ELS4_3ELS4_3ELNS0_20block_scan_algorithmE0ELj4294967295EEENS1_25partition_config_selectorILNS1_17partition_subalgoE3EjNS0_10empty_typeEbEEZZNS1_14partition_implILS8_3ELb0ES6_jNS0_17counting_iteratorIjlEEPS9_SE_NS0_5tupleIJPjSE_EEENSF_IJSE_SE_EEES9_SG_JZNS1_25segmented_radix_sort_implINS0_14default_configELb0EPKlPlSM_SN_N2at6native12_GLOBAL__N_18offset_tEEE10hipError_tPvRmT1_PNSt15iterator_traitsISV_E10value_typeET2_T3_PNSW_IS11_E10value_typeET4_jRbjT5_S17_jjP12ihipStream_tbEUljE_EEESS_ST_SU_S11_S15_S17_T6_T7_T9_mT8_S19_bDpT10_ENKUlT_T0_E_clISt17integral_constantIbLb0EES1L_IbLb1EEEEDaS1H_S1I_EUlS1H_E_NS1_11comp_targetILNS1_3genE2ELNS1_11target_archE906ELNS1_3gpuE6ELNS1_3repE0EEENS1_30default_config_static_selectorELNS0_4arch9wavefront6targetE0EEEvSV_,comdat
.Lfunc_end799:
	.size	_ZN7rocprim17ROCPRIM_400000_NS6detail17trampoline_kernelINS0_13select_configILj256ELj13ELNS0_17block_load_methodE3ELS4_3ELS4_3ELNS0_20block_scan_algorithmE0ELj4294967295EEENS1_25partition_config_selectorILNS1_17partition_subalgoE3EjNS0_10empty_typeEbEEZZNS1_14partition_implILS8_3ELb0ES6_jNS0_17counting_iteratorIjlEEPS9_SE_NS0_5tupleIJPjSE_EEENSF_IJSE_SE_EEES9_SG_JZNS1_25segmented_radix_sort_implINS0_14default_configELb0EPKlPlSM_SN_N2at6native12_GLOBAL__N_18offset_tEEE10hipError_tPvRmT1_PNSt15iterator_traitsISV_E10value_typeET2_T3_PNSW_IS11_E10value_typeET4_jRbjT5_S17_jjP12ihipStream_tbEUljE_EEESS_ST_SU_S11_S15_S17_T6_T7_T9_mT8_S19_bDpT10_ENKUlT_T0_E_clISt17integral_constantIbLb0EES1L_IbLb1EEEEDaS1H_S1I_EUlS1H_E_NS1_11comp_targetILNS1_3genE2ELNS1_11target_archE906ELNS1_3gpuE6ELNS1_3repE0EEENS1_30default_config_static_selectorELNS0_4arch9wavefront6targetE0EEEvSV_, .Lfunc_end799-_ZN7rocprim17ROCPRIM_400000_NS6detail17trampoline_kernelINS0_13select_configILj256ELj13ELNS0_17block_load_methodE3ELS4_3ELS4_3ELNS0_20block_scan_algorithmE0ELj4294967295EEENS1_25partition_config_selectorILNS1_17partition_subalgoE3EjNS0_10empty_typeEbEEZZNS1_14partition_implILS8_3ELb0ES6_jNS0_17counting_iteratorIjlEEPS9_SE_NS0_5tupleIJPjSE_EEENSF_IJSE_SE_EEES9_SG_JZNS1_25segmented_radix_sort_implINS0_14default_configELb0EPKlPlSM_SN_N2at6native12_GLOBAL__N_18offset_tEEE10hipError_tPvRmT1_PNSt15iterator_traitsISV_E10value_typeET2_T3_PNSW_IS11_E10value_typeET4_jRbjT5_S17_jjP12ihipStream_tbEUljE_EEESS_ST_SU_S11_S15_S17_T6_T7_T9_mT8_S19_bDpT10_ENKUlT_T0_E_clISt17integral_constantIbLb0EES1L_IbLb1EEEEDaS1H_S1I_EUlS1H_E_NS1_11comp_targetILNS1_3genE2ELNS1_11target_archE906ELNS1_3gpuE6ELNS1_3repE0EEENS1_30default_config_static_selectorELNS0_4arch9wavefront6targetE0EEEvSV_
                                        ; -- End function
	.set _ZN7rocprim17ROCPRIM_400000_NS6detail17trampoline_kernelINS0_13select_configILj256ELj13ELNS0_17block_load_methodE3ELS4_3ELS4_3ELNS0_20block_scan_algorithmE0ELj4294967295EEENS1_25partition_config_selectorILNS1_17partition_subalgoE3EjNS0_10empty_typeEbEEZZNS1_14partition_implILS8_3ELb0ES6_jNS0_17counting_iteratorIjlEEPS9_SE_NS0_5tupleIJPjSE_EEENSF_IJSE_SE_EEES9_SG_JZNS1_25segmented_radix_sort_implINS0_14default_configELb0EPKlPlSM_SN_N2at6native12_GLOBAL__N_18offset_tEEE10hipError_tPvRmT1_PNSt15iterator_traitsISV_E10value_typeET2_T3_PNSW_IS11_E10value_typeET4_jRbjT5_S17_jjP12ihipStream_tbEUljE_EEESS_ST_SU_S11_S15_S17_T6_T7_T9_mT8_S19_bDpT10_ENKUlT_T0_E_clISt17integral_constantIbLb0EES1L_IbLb1EEEEDaS1H_S1I_EUlS1H_E_NS1_11comp_targetILNS1_3genE2ELNS1_11target_archE906ELNS1_3gpuE6ELNS1_3repE0EEENS1_30default_config_static_selectorELNS0_4arch9wavefront6targetE0EEEvSV_.num_vgpr, 0
	.set _ZN7rocprim17ROCPRIM_400000_NS6detail17trampoline_kernelINS0_13select_configILj256ELj13ELNS0_17block_load_methodE3ELS4_3ELS4_3ELNS0_20block_scan_algorithmE0ELj4294967295EEENS1_25partition_config_selectorILNS1_17partition_subalgoE3EjNS0_10empty_typeEbEEZZNS1_14partition_implILS8_3ELb0ES6_jNS0_17counting_iteratorIjlEEPS9_SE_NS0_5tupleIJPjSE_EEENSF_IJSE_SE_EEES9_SG_JZNS1_25segmented_radix_sort_implINS0_14default_configELb0EPKlPlSM_SN_N2at6native12_GLOBAL__N_18offset_tEEE10hipError_tPvRmT1_PNSt15iterator_traitsISV_E10value_typeET2_T3_PNSW_IS11_E10value_typeET4_jRbjT5_S17_jjP12ihipStream_tbEUljE_EEESS_ST_SU_S11_S15_S17_T6_T7_T9_mT8_S19_bDpT10_ENKUlT_T0_E_clISt17integral_constantIbLb0EES1L_IbLb1EEEEDaS1H_S1I_EUlS1H_E_NS1_11comp_targetILNS1_3genE2ELNS1_11target_archE906ELNS1_3gpuE6ELNS1_3repE0EEENS1_30default_config_static_selectorELNS0_4arch9wavefront6targetE0EEEvSV_.num_agpr, 0
	.set _ZN7rocprim17ROCPRIM_400000_NS6detail17trampoline_kernelINS0_13select_configILj256ELj13ELNS0_17block_load_methodE3ELS4_3ELS4_3ELNS0_20block_scan_algorithmE0ELj4294967295EEENS1_25partition_config_selectorILNS1_17partition_subalgoE3EjNS0_10empty_typeEbEEZZNS1_14partition_implILS8_3ELb0ES6_jNS0_17counting_iteratorIjlEEPS9_SE_NS0_5tupleIJPjSE_EEENSF_IJSE_SE_EEES9_SG_JZNS1_25segmented_radix_sort_implINS0_14default_configELb0EPKlPlSM_SN_N2at6native12_GLOBAL__N_18offset_tEEE10hipError_tPvRmT1_PNSt15iterator_traitsISV_E10value_typeET2_T3_PNSW_IS11_E10value_typeET4_jRbjT5_S17_jjP12ihipStream_tbEUljE_EEESS_ST_SU_S11_S15_S17_T6_T7_T9_mT8_S19_bDpT10_ENKUlT_T0_E_clISt17integral_constantIbLb0EES1L_IbLb1EEEEDaS1H_S1I_EUlS1H_E_NS1_11comp_targetILNS1_3genE2ELNS1_11target_archE906ELNS1_3gpuE6ELNS1_3repE0EEENS1_30default_config_static_selectorELNS0_4arch9wavefront6targetE0EEEvSV_.numbered_sgpr, 0
	.set _ZN7rocprim17ROCPRIM_400000_NS6detail17trampoline_kernelINS0_13select_configILj256ELj13ELNS0_17block_load_methodE3ELS4_3ELS4_3ELNS0_20block_scan_algorithmE0ELj4294967295EEENS1_25partition_config_selectorILNS1_17partition_subalgoE3EjNS0_10empty_typeEbEEZZNS1_14partition_implILS8_3ELb0ES6_jNS0_17counting_iteratorIjlEEPS9_SE_NS0_5tupleIJPjSE_EEENSF_IJSE_SE_EEES9_SG_JZNS1_25segmented_radix_sort_implINS0_14default_configELb0EPKlPlSM_SN_N2at6native12_GLOBAL__N_18offset_tEEE10hipError_tPvRmT1_PNSt15iterator_traitsISV_E10value_typeET2_T3_PNSW_IS11_E10value_typeET4_jRbjT5_S17_jjP12ihipStream_tbEUljE_EEESS_ST_SU_S11_S15_S17_T6_T7_T9_mT8_S19_bDpT10_ENKUlT_T0_E_clISt17integral_constantIbLb0EES1L_IbLb1EEEEDaS1H_S1I_EUlS1H_E_NS1_11comp_targetILNS1_3genE2ELNS1_11target_archE906ELNS1_3gpuE6ELNS1_3repE0EEENS1_30default_config_static_selectorELNS0_4arch9wavefront6targetE0EEEvSV_.num_named_barrier, 0
	.set _ZN7rocprim17ROCPRIM_400000_NS6detail17trampoline_kernelINS0_13select_configILj256ELj13ELNS0_17block_load_methodE3ELS4_3ELS4_3ELNS0_20block_scan_algorithmE0ELj4294967295EEENS1_25partition_config_selectorILNS1_17partition_subalgoE3EjNS0_10empty_typeEbEEZZNS1_14partition_implILS8_3ELb0ES6_jNS0_17counting_iteratorIjlEEPS9_SE_NS0_5tupleIJPjSE_EEENSF_IJSE_SE_EEES9_SG_JZNS1_25segmented_radix_sort_implINS0_14default_configELb0EPKlPlSM_SN_N2at6native12_GLOBAL__N_18offset_tEEE10hipError_tPvRmT1_PNSt15iterator_traitsISV_E10value_typeET2_T3_PNSW_IS11_E10value_typeET4_jRbjT5_S17_jjP12ihipStream_tbEUljE_EEESS_ST_SU_S11_S15_S17_T6_T7_T9_mT8_S19_bDpT10_ENKUlT_T0_E_clISt17integral_constantIbLb0EES1L_IbLb1EEEEDaS1H_S1I_EUlS1H_E_NS1_11comp_targetILNS1_3genE2ELNS1_11target_archE906ELNS1_3gpuE6ELNS1_3repE0EEENS1_30default_config_static_selectorELNS0_4arch9wavefront6targetE0EEEvSV_.private_seg_size, 0
	.set _ZN7rocprim17ROCPRIM_400000_NS6detail17trampoline_kernelINS0_13select_configILj256ELj13ELNS0_17block_load_methodE3ELS4_3ELS4_3ELNS0_20block_scan_algorithmE0ELj4294967295EEENS1_25partition_config_selectorILNS1_17partition_subalgoE3EjNS0_10empty_typeEbEEZZNS1_14partition_implILS8_3ELb0ES6_jNS0_17counting_iteratorIjlEEPS9_SE_NS0_5tupleIJPjSE_EEENSF_IJSE_SE_EEES9_SG_JZNS1_25segmented_radix_sort_implINS0_14default_configELb0EPKlPlSM_SN_N2at6native12_GLOBAL__N_18offset_tEEE10hipError_tPvRmT1_PNSt15iterator_traitsISV_E10value_typeET2_T3_PNSW_IS11_E10value_typeET4_jRbjT5_S17_jjP12ihipStream_tbEUljE_EEESS_ST_SU_S11_S15_S17_T6_T7_T9_mT8_S19_bDpT10_ENKUlT_T0_E_clISt17integral_constantIbLb0EES1L_IbLb1EEEEDaS1H_S1I_EUlS1H_E_NS1_11comp_targetILNS1_3genE2ELNS1_11target_archE906ELNS1_3gpuE6ELNS1_3repE0EEENS1_30default_config_static_selectorELNS0_4arch9wavefront6targetE0EEEvSV_.uses_vcc, 0
	.set _ZN7rocprim17ROCPRIM_400000_NS6detail17trampoline_kernelINS0_13select_configILj256ELj13ELNS0_17block_load_methodE3ELS4_3ELS4_3ELNS0_20block_scan_algorithmE0ELj4294967295EEENS1_25partition_config_selectorILNS1_17partition_subalgoE3EjNS0_10empty_typeEbEEZZNS1_14partition_implILS8_3ELb0ES6_jNS0_17counting_iteratorIjlEEPS9_SE_NS0_5tupleIJPjSE_EEENSF_IJSE_SE_EEES9_SG_JZNS1_25segmented_radix_sort_implINS0_14default_configELb0EPKlPlSM_SN_N2at6native12_GLOBAL__N_18offset_tEEE10hipError_tPvRmT1_PNSt15iterator_traitsISV_E10value_typeET2_T3_PNSW_IS11_E10value_typeET4_jRbjT5_S17_jjP12ihipStream_tbEUljE_EEESS_ST_SU_S11_S15_S17_T6_T7_T9_mT8_S19_bDpT10_ENKUlT_T0_E_clISt17integral_constantIbLb0EES1L_IbLb1EEEEDaS1H_S1I_EUlS1H_E_NS1_11comp_targetILNS1_3genE2ELNS1_11target_archE906ELNS1_3gpuE6ELNS1_3repE0EEENS1_30default_config_static_selectorELNS0_4arch9wavefront6targetE0EEEvSV_.uses_flat_scratch, 0
	.set _ZN7rocprim17ROCPRIM_400000_NS6detail17trampoline_kernelINS0_13select_configILj256ELj13ELNS0_17block_load_methodE3ELS4_3ELS4_3ELNS0_20block_scan_algorithmE0ELj4294967295EEENS1_25partition_config_selectorILNS1_17partition_subalgoE3EjNS0_10empty_typeEbEEZZNS1_14partition_implILS8_3ELb0ES6_jNS0_17counting_iteratorIjlEEPS9_SE_NS0_5tupleIJPjSE_EEENSF_IJSE_SE_EEES9_SG_JZNS1_25segmented_radix_sort_implINS0_14default_configELb0EPKlPlSM_SN_N2at6native12_GLOBAL__N_18offset_tEEE10hipError_tPvRmT1_PNSt15iterator_traitsISV_E10value_typeET2_T3_PNSW_IS11_E10value_typeET4_jRbjT5_S17_jjP12ihipStream_tbEUljE_EEESS_ST_SU_S11_S15_S17_T6_T7_T9_mT8_S19_bDpT10_ENKUlT_T0_E_clISt17integral_constantIbLb0EES1L_IbLb1EEEEDaS1H_S1I_EUlS1H_E_NS1_11comp_targetILNS1_3genE2ELNS1_11target_archE906ELNS1_3gpuE6ELNS1_3repE0EEENS1_30default_config_static_selectorELNS0_4arch9wavefront6targetE0EEEvSV_.has_dyn_sized_stack, 0
	.set _ZN7rocprim17ROCPRIM_400000_NS6detail17trampoline_kernelINS0_13select_configILj256ELj13ELNS0_17block_load_methodE3ELS4_3ELS4_3ELNS0_20block_scan_algorithmE0ELj4294967295EEENS1_25partition_config_selectorILNS1_17partition_subalgoE3EjNS0_10empty_typeEbEEZZNS1_14partition_implILS8_3ELb0ES6_jNS0_17counting_iteratorIjlEEPS9_SE_NS0_5tupleIJPjSE_EEENSF_IJSE_SE_EEES9_SG_JZNS1_25segmented_radix_sort_implINS0_14default_configELb0EPKlPlSM_SN_N2at6native12_GLOBAL__N_18offset_tEEE10hipError_tPvRmT1_PNSt15iterator_traitsISV_E10value_typeET2_T3_PNSW_IS11_E10value_typeET4_jRbjT5_S17_jjP12ihipStream_tbEUljE_EEESS_ST_SU_S11_S15_S17_T6_T7_T9_mT8_S19_bDpT10_ENKUlT_T0_E_clISt17integral_constantIbLb0EES1L_IbLb1EEEEDaS1H_S1I_EUlS1H_E_NS1_11comp_targetILNS1_3genE2ELNS1_11target_archE906ELNS1_3gpuE6ELNS1_3repE0EEENS1_30default_config_static_selectorELNS0_4arch9wavefront6targetE0EEEvSV_.has_recursion, 0
	.set _ZN7rocprim17ROCPRIM_400000_NS6detail17trampoline_kernelINS0_13select_configILj256ELj13ELNS0_17block_load_methodE3ELS4_3ELS4_3ELNS0_20block_scan_algorithmE0ELj4294967295EEENS1_25partition_config_selectorILNS1_17partition_subalgoE3EjNS0_10empty_typeEbEEZZNS1_14partition_implILS8_3ELb0ES6_jNS0_17counting_iteratorIjlEEPS9_SE_NS0_5tupleIJPjSE_EEENSF_IJSE_SE_EEES9_SG_JZNS1_25segmented_radix_sort_implINS0_14default_configELb0EPKlPlSM_SN_N2at6native12_GLOBAL__N_18offset_tEEE10hipError_tPvRmT1_PNSt15iterator_traitsISV_E10value_typeET2_T3_PNSW_IS11_E10value_typeET4_jRbjT5_S17_jjP12ihipStream_tbEUljE_EEESS_ST_SU_S11_S15_S17_T6_T7_T9_mT8_S19_bDpT10_ENKUlT_T0_E_clISt17integral_constantIbLb0EES1L_IbLb1EEEEDaS1H_S1I_EUlS1H_E_NS1_11comp_targetILNS1_3genE2ELNS1_11target_archE906ELNS1_3gpuE6ELNS1_3repE0EEENS1_30default_config_static_selectorELNS0_4arch9wavefront6targetE0EEEvSV_.has_indirect_call, 0
	.section	.AMDGPU.csdata,"",@progbits
; Kernel info:
; codeLenInByte = 0
; TotalNumSgprs: 0
; NumVgprs: 0
; ScratchSize: 0
; MemoryBound: 0
; FloatMode: 240
; IeeeMode: 1
; LDSByteSize: 0 bytes/workgroup (compile time only)
; SGPRBlocks: 0
; VGPRBlocks: 0
; NumSGPRsForWavesPerEU: 1
; NumVGPRsForWavesPerEU: 1
; NamedBarCnt: 0
; Occupancy: 16
; WaveLimiterHint : 0
; COMPUTE_PGM_RSRC2:SCRATCH_EN: 0
; COMPUTE_PGM_RSRC2:USER_SGPR: 2
; COMPUTE_PGM_RSRC2:TRAP_HANDLER: 0
; COMPUTE_PGM_RSRC2:TGID_X_EN: 1
; COMPUTE_PGM_RSRC2:TGID_Y_EN: 0
; COMPUTE_PGM_RSRC2:TGID_Z_EN: 0
; COMPUTE_PGM_RSRC2:TIDIG_COMP_CNT: 0
	.section	.text._ZN7rocprim17ROCPRIM_400000_NS6detail17trampoline_kernelINS0_13select_configILj256ELj13ELNS0_17block_load_methodE3ELS4_3ELS4_3ELNS0_20block_scan_algorithmE0ELj4294967295EEENS1_25partition_config_selectorILNS1_17partition_subalgoE3EjNS0_10empty_typeEbEEZZNS1_14partition_implILS8_3ELb0ES6_jNS0_17counting_iteratorIjlEEPS9_SE_NS0_5tupleIJPjSE_EEENSF_IJSE_SE_EEES9_SG_JZNS1_25segmented_radix_sort_implINS0_14default_configELb0EPKlPlSM_SN_N2at6native12_GLOBAL__N_18offset_tEEE10hipError_tPvRmT1_PNSt15iterator_traitsISV_E10value_typeET2_T3_PNSW_IS11_E10value_typeET4_jRbjT5_S17_jjP12ihipStream_tbEUljE_EEESS_ST_SU_S11_S15_S17_T6_T7_T9_mT8_S19_bDpT10_ENKUlT_T0_E_clISt17integral_constantIbLb0EES1L_IbLb1EEEEDaS1H_S1I_EUlS1H_E_NS1_11comp_targetILNS1_3genE10ELNS1_11target_archE1200ELNS1_3gpuE4ELNS1_3repE0EEENS1_30default_config_static_selectorELNS0_4arch9wavefront6targetE0EEEvSV_,"axG",@progbits,_ZN7rocprim17ROCPRIM_400000_NS6detail17trampoline_kernelINS0_13select_configILj256ELj13ELNS0_17block_load_methodE3ELS4_3ELS4_3ELNS0_20block_scan_algorithmE0ELj4294967295EEENS1_25partition_config_selectorILNS1_17partition_subalgoE3EjNS0_10empty_typeEbEEZZNS1_14partition_implILS8_3ELb0ES6_jNS0_17counting_iteratorIjlEEPS9_SE_NS0_5tupleIJPjSE_EEENSF_IJSE_SE_EEES9_SG_JZNS1_25segmented_radix_sort_implINS0_14default_configELb0EPKlPlSM_SN_N2at6native12_GLOBAL__N_18offset_tEEE10hipError_tPvRmT1_PNSt15iterator_traitsISV_E10value_typeET2_T3_PNSW_IS11_E10value_typeET4_jRbjT5_S17_jjP12ihipStream_tbEUljE_EEESS_ST_SU_S11_S15_S17_T6_T7_T9_mT8_S19_bDpT10_ENKUlT_T0_E_clISt17integral_constantIbLb0EES1L_IbLb1EEEEDaS1H_S1I_EUlS1H_E_NS1_11comp_targetILNS1_3genE10ELNS1_11target_archE1200ELNS1_3gpuE4ELNS1_3repE0EEENS1_30default_config_static_selectorELNS0_4arch9wavefront6targetE0EEEvSV_,comdat
	.globl	_ZN7rocprim17ROCPRIM_400000_NS6detail17trampoline_kernelINS0_13select_configILj256ELj13ELNS0_17block_load_methodE3ELS4_3ELS4_3ELNS0_20block_scan_algorithmE0ELj4294967295EEENS1_25partition_config_selectorILNS1_17partition_subalgoE3EjNS0_10empty_typeEbEEZZNS1_14partition_implILS8_3ELb0ES6_jNS0_17counting_iteratorIjlEEPS9_SE_NS0_5tupleIJPjSE_EEENSF_IJSE_SE_EEES9_SG_JZNS1_25segmented_radix_sort_implINS0_14default_configELb0EPKlPlSM_SN_N2at6native12_GLOBAL__N_18offset_tEEE10hipError_tPvRmT1_PNSt15iterator_traitsISV_E10value_typeET2_T3_PNSW_IS11_E10value_typeET4_jRbjT5_S17_jjP12ihipStream_tbEUljE_EEESS_ST_SU_S11_S15_S17_T6_T7_T9_mT8_S19_bDpT10_ENKUlT_T0_E_clISt17integral_constantIbLb0EES1L_IbLb1EEEEDaS1H_S1I_EUlS1H_E_NS1_11comp_targetILNS1_3genE10ELNS1_11target_archE1200ELNS1_3gpuE4ELNS1_3repE0EEENS1_30default_config_static_selectorELNS0_4arch9wavefront6targetE0EEEvSV_ ; -- Begin function _ZN7rocprim17ROCPRIM_400000_NS6detail17trampoline_kernelINS0_13select_configILj256ELj13ELNS0_17block_load_methodE3ELS4_3ELS4_3ELNS0_20block_scan_algorithmE0ELj4294967295EEENS1_25partition_config_selectorILNS1_17partition_subalgoE3EjNS0_10empty_typeEbEEZZNS1_14partition_implILS8_3ELb0ES6_jNS0_17counting_iteratorIjlEEPS9_SE_NS0_5tupleIJPjSE_EEENSF_IJSE_SE_EEES9_SG_JZNS1_25segmented_radix_sort_implINS0_14default_configELb0EPKlPlSM_SN_N2at6native12_GLOBAL__N_18offset_tEEE10hipError_tPvRmT1_PNSt15iterator_traitsISV_E10value_typeET2_T3_PNSW_IS11_E10value_typeET4_jRbjT5_S17_jjP12ihipStream_tbEUljE_EEESS_ST_SU_S11_S15_S17_T6_T7_T9_mT8_S19_bDpT10_ENKUlT_T0_E_clISt17integral_constantIbLb0EES1L_IbLb1EEEEDaS1H_S1I_EUlS1H_E_NS1_11comp_targetILNS1_3genE10ELNS1_11target_archE1200ELNS1_3gpuE4ELNS1_3repE0EEENS1_30default_config_static_selectorELNS0_4arch9wavefront6targetE0EEEvSV_
	.p2align	8
	.type	_ZN7rocprim17ROCPRIM_400000_NS6detail17trampoline_kernelINS0_13select_configILj256ELj13ELNS0_17block_load_methodE3ELS4_3ELS4_3ELNS0_20block_scan_algorithmE0ELj4294967295EEENS1_25partition_config_selectorILNS1_17partition_subalgoE3EjNS0_10empty_typeEbEEZZNS1_14partition_implILS8_3ELb0ES6_jNS0_17counting_iteratorIjlEEPS9_SE_NS0_5tupleIJPjSE_EEENSF_IJSE_SE_EEES9_SG_JZNS1_25segmented_radix_sort_implINS0_14default_configELb0EPKlPlSM_SN_N2at6native12_GLOBAL__N_18offset_tEEE10hipError_tPvRmT1_PNSt15iterator_traitsISV_E10value_typeET2_T3_PNSW_IS11_E10value_typeET4_jRbjT5_S17_jjP12ihipStream_tbEUljE_EEESS_ST_SU_S11_S15_S17_T6_T7_T9_mT8_S19_bDpT10_ENKUlT_T0_E_clISt17integral_constantIbLb0EES1L_IbLb1EEEEDaS1H_S1I_EUlS1H_E_NS1_11comp_targetILNS1_3genE10ELNS1_11target_archE1200ELNS1_3gpuE4ELNS1_3repE0EEENS1_30default_config_static_selectorELNS0_4arch9wavefront6targetE0EEEvSV_,@function
_ZN7rocprim17ROCPRIM_400000_NS6detail17trampoline_kernelINS0_13select_configILj256ELj13ELNS0_17block_load_methodE3ELS4_3ELS4_3ELNS0_20block_scan_algorithmE0ELj4294967295EEENS1_25partition_config_selectorILNS1_17partition_subalgoE3EjNS0_10empty_typeEbEEZZNS1_14partition_implILS8_3ELb0ES6_jNS0_17counting_iteratorIjlEEPS9_SE_NS0_5tupleIJPjSE_EEENSF_IJSE_SE_EEES9_SG_JZNS1_25segmented_radix_sort_implINS0_14default_configELb0EPKlPlSM_SN_N2at6native12_GLOBAL__N_18offset_tEEE10hipError_tPvRmT1_PNSt15iterator_traitsISV_E10value_typeET2_T3_PNSW_IS11_E10value_typeET4_jRbjT5_S17_jjP12ihipStream_tbEUljE_EEESS_ST_SU_S11_S15_S17_T6_T7_T9_mT8_S19_bDpT10_ENKUlT_T0_E_clISt17integral_constantIbLb0EES1L_IbLb1EEEEDaS1H_S1I_EUlS1H_E_NS1_11comp_targetILNS1_3genE10ELNS1_11target_archE1200ELNS1_3gpuE4ELNS1_3repE0EEENS1_30default_config_static_selectorELNS0_4arch9wavefront6targetE0EEEvSV_: ; @_ZN7rocprim17ROCPRIM_400000_NS6detail17trampoline_kernelINS0_13select_configILj256ELj13ELNS0_17block_load_methodE3ELS4_3ELS4_3ELNS0_20block_scan_algorithmE0ELj4294967295EEENS1_25partition_config_selectorILNS1_17partition_subalgoE3EjNS0_10empty_typeEbEEZZNS1_14partition_implILS8_3ELb0ES6_jNS0_17counting_iteratorIjlEEPS9_SE_NS0_5tupleIJPjSE_EEENSF_IJSE_SE_EEES9_SG_JZNS1_25segmented_radix_sort_implINS0_14default_configELb0EPKlPlSM_SN_N2at6native12_GLOBAL__N_18offset_tEEE10hipError_tPvRmT1_PNSt15iterator_traitsISV_E10value_typeET2_T3_PNSW_IS11_E10value_typeET4_jRbjT5_S17_jjP12ihipStream_tbEUljE_EEESS_ST_SU_S11_S15_S17_T6_T7_T9_mT8_S19_bDpT10_ENKUlT_T0_E_clISt17integral_constantIbLb0EES1L_IbLb1EEEEDaS1H_S1I_EUlS1H_E_NS1_11comp_targetILNS1_3genE10ELNS1_11target_archE1200ELNS1_3gpuE4ELNS1_3repE0EEENS1_30default_config_static_selectorELNS0_4arch9wavefront6targetE0EEEvSV_
; %bb.0:
	.section	.rodata,"a",@progbits
	.p2align	6, 0x0
	.amdhsa_kernel _ZN7rocprim17ROCPRIM_400000_NS6detail17trampoline_kernelINS0_13select_configILj256ELj13ELNS0_17block_load_methodE3ELS4_3ELS4_3ELNS0_20block_scan_algorithmE0ELj4294967295EEENS1_25partition_config_selectorILNS1_17partition_subalgoE3EjNS0_10empty_typeEbEEZZNS1_14partition_implILS8_3ELb0ES6_jNS0_17counting_iteratorIjlEEPS9_SE_NS0_5tupleIJPjSE_EEENSF_IJSE_SE_EEES9_SG_JZNS1_25segmented_radix_sort_implINS0_14default_configELb0EPKlPlSM_SN_N2at6native12_GLOBAL__N_18offset_tEEE10hipError_tPvRmT1_PNSt15iterator_traitsISV_E10value_typeET2_T3_PNSW_IS11_E10value_typeET4_jRbjT5_S17_jjP12ihipStream_tbEUljE_EEESS_ST_SU_S11_S15_S17_T6_T7_T9_mT8_S19_bDpT10_ENKUlT_T0_E_clISt17integral_constantIbLb0EES1L_IbLb1EEEEDaS1H_S1I_EUlS1H_E_NS1_11comp_targetILNS1_3genE10ELNS1_11target_archE1200ELNS1_3gpuE4ELNS1_3repE0EEENS1_30default_config_static_selectorELNS0_4arch9wavefront6targetE0EEEvSV_
		.amdhsa_group_segment_fixed_size 0
		.amdhsa_private_segment_fixed_size 0
		.amdhsa_kernarg_size 152
		.amdhsa_user_sgpr_count 2
		.amdhsa_user_sgpr_dispatch_ptr 0
		.amdhsa_user_sgpr_queue_ptr 0
		.amdhsa_user_sgpr_kernarg_segment_ptr 1
		.amdhsa_user_sgpr_dispatch_id 0
		.amdhsa_user_sgpr_kernarg_preload_length 0
		.amdhsa_user_sgpr_kernarg_preload_offset 0
		.amdhsa_user_sgpr_private_segment_size 0
		.amdhsa_wavefront_size32 1
		.amdhsa_uses_dynamic_stack 0
		.amdhsa_enable_private_segment 0
		.amdhsa_system_sgpr_workgroup_id_x 1
		.amdhsa_system_sgpr_workgroup_id_y 0
		.amdhsa_system_sgpr_workgroup_id_z 0
		.amdhsa_system_sgpr_workgroup_info 0
		.amdhsa_system_vgpr_workitem_id 0
		.amdhsa_next_free_vgpr 1
		.amdhsa_next_free_sgpr 1
		.amdhsa_named_barrier_count 0
		.amdhsa_reserve_vcc 0
		.amdhsa_float_round_mode_32 0
		.amdhsa_float_round_mode_16_64 0
		.amdhsa_float_denorm_mode_32 3
		.amdhsa_float_denorm_mode_16_64 3
		.amdhsa_fp16_overflow 0
		.amdhsa_memory_ordered 1
		.amdhsa_forward_progress 1
		.amdhsa_inst_pref_size 0
		.amdhsa_round_robin_scheduling 0
		.amdhsa_exception_fp_ieee_invalid_op 0
		.amdhsa_exception_fp_denorm_src 0
		.amdhsa_exception_fp_ieee_div_zero 0
		.amdhsa_exception_fp_ieee_overflow 0
		.amdhsa_exception_fp_ieee_underflow 0
		.amdhsa_exception_fp_ieee_inexact 0
		.amdhsa_exception_int_div_zero 0
	.end_amdhsa_kernel
	.section	.text._ZN7rocprim17ROCPRIM_400000_NS6detail17trampoline_kernelINS0_13select_configILj256ELj13ELNS0_17block_load_methodE3ELS4_3ELS4_3ELNS0_20block_scan_algorithmE0ELj4294967295EEENS1_25partition_config_selectorILNS1_17partition_subalgoE3EjNS0_10empty_typeEbEEZZNS1_14partition_implILS8_3ELb0ES6_jNS0_17counting_iteratorIjlEEPS9_SE_NS0_5tupleIJPjSE_EEENSF_IJSE_SE_EEES9_SG_JZNS1_25segmented_radix_sort_implINS0_14default_configELb0EPKlPlSM_SN_N2at6native12_GLOBAL__N_18offset_tEEE10hipError_tPvRmT1_PNSt15iterator_traitsISV_E10value_typeET2_T3_PNSW_IS11_E10value_typeET4_jRbjT5_S17_jjP12ihipStream_tbEUljE_EEESS_ST_SU_S11_S15_S17_T6_T7_T9_mT8_S19_bDpT10_ENKUlT_T0_E_clISt17integral_constantIbLb0EES1L_IbLb1EEEEDaS1H_S1I_EUlS1H_E_NS1_11comp_targetILNS1_3genE10ELNS1_11target_archE1200ELNS1_3gpuE4ELNS1_3repE0EEENS1_30default_config_static_selectorELNS0_4arch9wavefront6targetE0EEEvSV_,"axG",@progbits,_ZN7rocprim17ROCPRIM_400000_NS6detail17trampoline_kernelINS0_13select_configILj256ELj13ELNS0_17block_load_methodE3ELS4_3ELS4_3ELNS0_20block_scan_algorithmE0ELj4294967295EEENS1_25partition_config_selectorILNS1_17partition_subalgoE3EjNS0_10empty_typeEbEEZZNS1_14partition_implILS8_3ELb0ES6_jNS0_17counting_iteratorIjlEEPS9_SE_NS0_5tupleIJPjSE_EEENSF_IJSE_SE_EEES9_SG_JZNS1_25segmented_radix_sort_implINS0_14default_configELb0EPKlPlSM_SN_N2at6native12_GLOBAL__N_18offset_tEEE10hipError_tPvRmT1_PNSt15iterator_traitsISV_E10value_typeET2_T3_PNSW_IS11_E10value_typeET4_jRbjT5_S17_jjP12ihipStream_tbEUljE_EEESS_ST_SU_S11_S15_S17_T6_T7_T9_mT8_S19_bDpT10_ENKUlT_T0_E_clISt17integral_constantIbLb0EES1L_IbLb1EEEEDaS1H_S1I_EUlS1H_E_NS1_11comp_targetILNS1_3genE10ELNS1_11target_archE1200ELNS1_3gpuE4ELNS1_3repE0EEENS1_30default_config_static_selectorELNS0_4arch9wavefront6targetE0EEEvSV_,comdat
.Lfunc_end800:
	.size	_ZN7rocprim17ROCPRIM_400000_NS6detail17trampoline_kernelINS0_13select_configILj256ELj13ELNS0_17block_load_methodE3ELS4_3ELS4_3ELNS0_20block_scan_algorithmE0ELj4294967295EEENS1_25partition_config_selectorILNS1_17partition_subalgoE3EjNS0_10empty_typeEbEEZZNS1_14partition_implILS8_3ELb0ES6_jNS0_17counting_iteratorIjlEEPS9_SE_NS0_5tupleIJPjSE_EEENSF_IJSE_SE_EEES9_SG_JZNS1_25segmented_radix_sort_implINS0_14default_configELb0EPKlPlSM_SN_N2at6native12_GLOBAL__N_18offset_tEEE10hipError_tPvRmT1_PNSt15iterator_traitsISV_E10value_typeET2_T3_PNSW_IS11_E10value_typeET4_jRbjT5_S17_jjP12ihipStream_tbEUljE_EEESS_ST_SU_S11_S15_S17_T6_T7_T9_mT8_S19_bDpT10_ENKUlT_T0_E_clISt17integral_constantIbLb0EES1L_IbLb1EEEEDaS1H_S1I_EUlS1H_E_NS1_11comp_targetILNS1_3genE10ELNS1_11target_archE1200ELNS1_3gpuE4ELNS1_3repE0EEENS1_30default_config_static_selectorELNS0_4arch9wavefront6targetE0EEEvSV_, .Lfunc_end800-_ZN7rocprim17ROCPRIM_400000_NS6detail17trampoline_kernelINS0_13select_configILj256ELj13ELNS0_17block_load_methodE3ELS4_3ELS4_3ELNS0_20block_scan_algorithmE0ELj4294967295EEENS1_25partition_config_selectorILNS1_17partition_subalgoE3EjNS0_10empty_typeEbEEZZNS1_14partition_implILS8_3ELb0ES6_jNS0_17counting_iteratorIjlEEPS9_SE_NS0_5tupleIJPjSE_EEENSF_IJSE_SE_EEES9_SG_JZNS1_25segmented_radix_sort_implINS0_14default_configELb0EPKlPlSM_SN_N2at6native12_GLOBAL__N_18offset_tEEE10hipError_tPvRmT1_PNSt15iterator_traitsISV_E10value_typeET2_T3_PNSW_IS11_E10value_typeET4_jRbjT5_S17_jjP12ihipStream_tbEUljE_EEESS_ST_SU_S11_S15_S17_T6_T7_T9_mT8_S19_bDpT10_ENKUlT_T0_E_clISt17integral_constantIbLb0EES1L_IbLb1EEEEDaS1H_S1I_EUlS1H_E_NS1_11comp_targetILNS1_3genE10ELNS1_11target_archE1200ELNS1_3gpuE4ELNS1_3repE0EEENS1_30default_config_static_selectorELNS0_4arch9wavefront6targetE0EEEvSV_
                                        ; -- End function
	.set _ZN7rocprim17ROCPRIM_400000_NS6detail17trampoline_kernelINS0_13select_configILj256ELj13ELNS0_17block_load_methodE3ELS4_3ELS4_3ELNS0_20block_scan_algorithmE0ELj4294967295EEENS1_25partition_config_selectorILNS1_17partition_subalgoE3EjNS0_10empty_typeEbEEZZNS1_14partition_implILS8_3ELb0ES6_jNS0_17counting_iteratorIjlEEPS9_SE_NS0_5tupleIJPjSE_EEENSF_IJSE_SE_EEES9_SG_JZNS1_25segmented_radix_sort_implINS0_14default_configELb0EPKlPlSM_SN_N2at6native12_GLOBAL__N_18offset_tEEE10hipError_tPvRmT1_PNSt15iterator_traitsISV_E10value_typeET2_T3_PNSW_IS11_E10value_typeET4_jRbjT5_S17_jjP12ihipStream_tbEUljE_EEESS_ST_SU_S11_S15_S17_T6_T7_T9_mT8_S19_bDpT10_ENKUlT_T0_E_clISt17integral_constantIbLb0EES1L_IbLb1EEEEDaS1H_S1I_EUlS1H_E_NS1_11comp_targetILNS1_3genE10ELNS1_11target_archE1200ELNS1_3gpuE4ELNS1_3repE0EEENS1_30default_config_static_selectorELNS0_4arch9wavefront6targetE0EEEvSV_.num_vgpr, 0
	.set _ZN7rocprim17ROCPRIM_400000_NS6detail17trampoline_kernelINS0_13select_configILj256ELj13ELNS0_17block_load_methodE3ELS4_3ELS4_3ELNS0_20block_scan_algorithmE0ELj4294967295EEENS1_25partition_config_selectorILNS1_17partition_subalgoE3EjNS0_10empty_typeEbEEZZNS1_14partition_implILS8_3ELb0ES6_jNS0_17counting_iteratorIjlEEPS9_SE_NS0_5tupleIJPjSE_EEENSF_IJSE_SE_EEES9_SG_JZNS1_25segmented_radix_sort_implINS0_14default_configELb0EPKlPlSM_SN_N2at6native12_GLOBAL__N_18offset_tEEE10hipError_tPvRmT1_PNSt15iterator_traitsISV_E10value_typeET2_T3_PNSW_IS11_E10value_typeET4_jRbjT5_S17_jjP12ihipStream_tbEUljE_EEESS_ST_SU_S11_S15_S17_T6_T7_T9_mT8_S19_bDpT10_ENKUlT_T0_E_clISt17integral_constantIbLb0EES1L_IbLb1EEEEDaS1H_S1I_EUlS1H_E_NS1_11comp_targetILNS1_3genE10ELNS1_11target_archE1200ELNS1_3gpuE4ELNS1_3repE0EEENS1_30default_config_static_selectorELNS0_4arch9wavefront6targetE0EEEvSV_.num_agpr, 0
	.set _ZN7rocprim17ROCPRIM_400000_NS6detail17trampoline_kernelINS0_13select_configILj256ELj13ELNS0_17block_load_methodE3ELS4_3ELS4_3ELNS0_20block_scan_algorithmE0ELj4294967295EEENS1_25partition_config_selectorILNS1_17partition_subalgoE3EjNS0_10empty_typeEbEEZZNS1_14partition_implILS8_3ELb0ES6_jNS0_17counting_iteratorIjlEEPS9_SE_NS0_5tupleIJPjSE_EEENSF_IJSE_SE_EEES9_SG_JZNS1_25segmented_radix_sort_implINS0_14default_configELb0EPKlPlSM_SN_N2at6native12_GLOBAL__N_18offset_tEEE10hipError_tPvRmT1_PNSt15iterator_traitsISV_E10value_typeET2_T3_PNSW_IS11_E10value_typeET4_jRbjT5_S17_jjP12ihipStream_tbEUljE_EEESS_ST_SU_S11_S15_S17_T6_T7_T9_mT8_S19_bDpT10_ENKUlT_T0_E_clISt17integral_constantIbLb0EES1L_IbLb1EEEEDaS1H_S1I_EUlS1H_E_NS1_11comp_targetILNS1_3genE10ELNS1_11target_archE1200ELNS1_3gpuE4ELNS1_3repE0EEENS1_30default_config_static_selectorELNS0_4arch9wavefront6targetE0EEEvSV_.numbered_sgpr, 0
	.set _ZN7rocprim17ROCPRIM_400000_NS6detail17trampoline_kernelINS0_13select_configILj256ELj13ELNS0_17block_load_methodE3ELS4_3ELS4_3ELNS0_20block_scan_algorithmE0ELj4294967295EEENS1_25partition_config_selectorILNS1_17partition_subalgoE3EjNS0_10empty_typeEbEEZZNS1_14partition_implILS8_3ELb0ES6_jNS0_17counting_iteratorIjlEEPS9_SE_NS0_5tupleIJPjSE_EEENSF_IJSE_SE_EEES9_SG_JZNS1_25segmented_radix_sort_implINS0_14default_configELb0EPKlPlSM_SN_N2at6native12_GLOBAL__N_18offset_tEEE10hipError_tPvRmT1_PNSt15iterator_traitsISV_E10value_typeET2_T3_PNSW_IS11_E10value_typeET4_jRbjT5_S17_jjP12ihipStream_tbEUljE_EEESS_ST_SU_S11_S15_S17_T6_T7_T9_mT8_S19_bDpT10_ENKUlT_T0_E_clISt17integral_constantIbLb0EES1L_IbLb1EEEEDaS1H_S1I_EUlS1H_E_NS1_11comp_targetILNS1_3genE10ELNS1_11target_archE1200ELNS1_3gpuE4ELNS1_3repE0EEENS1_30default_config_static_selectorELNS0_4arch9wavefront6targetE0EEEvSV_.num_named_barrier, 0
	.set _ZN7rocprim17ROCPRIM_400000_NS6detail17trampoline_kernelINS0_13select_configILj256ELj13ELNS0_17block_load_methodE3ELS4_3ELS4_3ELNS0_20block_scan_algorithmE0ELj4294967295EEENS1_25partition_config_selectorILNS1_17partition_subalgoE3EjNS0_10empty_typeEbEEZZNS1_14partition_implILS8_3ELb0ES6_jNS0_17counting_iteratorIjlEEPS9_SE_NS0_5tupleIJPjSE_EEENSF_IJSE_SE_EEES9_SG_JZNS1_25segmented_radix_sort_implINS0_14default_configELb0EPKlPlSM_SN_N2at6native12_GLOBAL__N_18offset_tEEE10hipError_tPvRmT1_PNSt15iterator_traitsISV_E10value_typeET2_T3_PNSW_IS11_E10value_typeET4_jRbjT5_S17_jjP12ihipStream_tbEUljE_EEESS_ST_SU_S11_S15_S17_T6_T7_T9_mT8_S19_bDpT10_ENKUlT_T0_E_clISt17integral_constantIbLb0EES1L_IbLb1EEEEDaS1H_S1I_EUlS1H_E_NS1_11comp_targetILNS1_3genE10ELNS1_11target_archE1200ELNS1_3gpuE4ELNS1_3repE0EEENS1_30default_config_static_selectorELNS0_4arch9wavefront6targetE0EEEvSV_.private_seg_size, 0
	.set _ZN7rocprim17ROCPRIM_400000_NS6detail17trampoline_kernelINS0_13select_configILj256ELj13ELNS0_17block_load_methodE3ELS4_3ELS4_3ELNS0_20block_scan_algorithmE0ELj4294967295EEENS1_25partition_config_selectorILNS1_17partition_subalgoE3EjNS0_10empty_typeEbEEZZNS1_14partition_implILS8_3ELb0ES6_jNS0_17counting_iteratorIjlEEPS9_SE_NS0_5tupleIJPjSE_EEENSF_IJSE_SE_EEES9_SG_JZNS1_25segmented_radix_sort_implINS0_14default_configELb0EPKlPlSM_SN_N2at6native12_GLOBAL__N_18offset_tEEE10hipError_tPvRmT1_PNSt15iterator_traitsISV_E10value_typeET2_T3_PNSW_IS11_E10value_typeET4_jRbjT5_S17_jjP12ihipStream_tbEUljE_EEESS_ST_SU_S11_S15_S17_T6_T7_T9_mT8_S19_bDpT10_ENKUlT_T0_E_clISt17integral_constantIbLb0EES1L_IbLb1EEEEDaS1H_S1I_EUlS1H_E_NS1_11comp_targetILNS1_3genE10ELNS1_11target_archE1200ELNS1_3gpuE4ELNS1_3repE0EEENS1_30default_config_static_selectorELNS0_4arch9wavefront6targetE0EEEvSV_.uses_vcc, 0
	.set _ZN7rocprim17ROCPRIM_400000_NS6detail17trampoline_kernelINS0_13select_configILj256ELj13ELNS0_17block_load_methodE3ELS4_3ELS4_3ELNS0_20block_scan_algorithmE0ELj4294967295EEENS1_25partition_config_selectorILNS1_17partition_subalgoE3EjNS0_10empty_typeEbEEZZNS1_14partition_implILS8_3ELb0ES6_jNS0_17counting_iteratorIjlEEPS9_SE_NS0_5tupleIJPjSE_EEENSF_IJSE_SE_EEES9_SG_JZNS1_25segmented_radix_sort_implINS0_14default_configELb0EPKlPlSM_SN_N2at6native12_GLOBAL__N_18offset_tEEE10hipError_tPvRmT1_PNSt15iterator_traitsISV_E10value_typeET2_T3_PNSW_IS11_E10value_typeET4_jRbjT5_S17_jjP12ihipStream_tbEUljE_EEESS_ST_SU_S11_S15_S17_T6_T7_T9_mT8_S19_bDpT10_ENKUlT_T0_E_clISt17integral_constantIbLb0EES1L_IbLb1EEEEDaS1H_S1I_EUlS1H_E_NS1_11comp_targetILNS1_3genE10ELNS1_11target_archE1200ELNS1_3gpuE4ELNS1_3repE0EEENS1_30default_config_static_selectorELNS0_4arch9wavefront6targetE0EEEvSV_.uses_flat_scratch, 0
	.set _ZN7rocprim17ROCPRIM_400000_NS6detail17trampoline_kernelINS0_13select_configILj256ELj13ELNS0_17block_load_methodE3ELS4_3ELS4_3ELNS0_20block_scan_algorithmE0ELj4294967295EEENS1_25partition_config_selectorILNS1_17partition_subalgoE3EjNS0_10empty_typeEbEEZZNS1_14partition_implILS8_3ELb0ES6_jNS0_17counting_iteratorIjlEEPS9_SE_NS0_5tupleIJPjSE_EEENSF_IJSE_SE_EEES9_SG_JZNS1_25segmented_radix_sort_implINS0_14default_configELb0EPKlPlSM_SN_N2at6native12_GLOBAL__N_18offset_tEEE10hipError_tPvRmT1_PNSt15iterator_traitsISV_E10value_typeET2_T3_PNSW_IS11_E10value_typeET4_jRbjT5_S17_jjP12ihipStream_tbEUljE_EEESS_ST_SU_S11_S15_S17_T6_T7_T9_mT8_S19_bDpT10_ENKUlT_T0_E_clISt17integral_constantIbLb0EES1L_IbLb1EEEEDaS1H_S1I_EUlS1H_E_NS1_11comp_targetILNS1_3genE10ELNS1_11target_archE1200ELNS1_3gpuE4ELNS1_3repE0EEENS1_30default_config_static_selectorELNS0_4arch9wavefront6targetE0EEEvSV_.has_dyn_sized_stack, 0
	.set _ZN7rocprim17ROCPRIM_400000_NS6detail17trampoline_kernelINS0_13select_configILj256ELj13ELNS0_17block_load_methodE3ELS4_3ELS4_3ELNS0_20block_scan_algorithmE0ELj4294967295EEENS1_25partition_config_selectorILNS1_17partition_subalgoE3EjNS0_10empty_typeEbEEZZNS1_14partition_implILS8_3ELb0ES6_jNS0_17counting_iteratorIjlEEPS9_SE_NS0_5tupleIJPjSE_EEENSF_IJSE_SE_EEES9_SG_JZNS1_25segmented_radix_sort_implINS0_14default_configELb0EPKlPlSM_SN_N2at6native12_GLOBAL__N_18offset_tEEE10hipError_tPvRmT1_PNSt15iterator_traitsISV_E10value_typeET2_T3_PNSW_IS11_E10value_typeET4_jRbjT5_S17_jjP12ihipStream_tbEUljE_EEESS_ST_SU_S11_S15_S17_T6_T7_T9_mT8_S19_bDpT10_ENKUlT_T0_E_clISt17integral_constantIbLb0EES1L_IbLb1EEEEDaS1H_S1I_EUlS1H_E_NS1_11comp_targetILNS1_3genE10ELNS1_11target_archE1200ELNS1_3gpuE4ELNS1_3repE0EEENS1_30default_config_static_selectorELNS0_4arch9wavefront6targetE0EEEvSV_.has_recursion, 0
	.set _ZN7rocprim17ROCPRIM_400000_NS6detail17trampoline_kernelINS0_13select_configILj256ELj13ELNS0_17block_load_methodE3ELS4_3ELS4_3ELNS0_20block_scan_algorithmE0ELj4294967295EEENS1_25partition_config_selectorILNS1_17partition_subalgoE3EjNS0_10empty_typeEbEEZZNS1_14partition_implILS8_3ELb0ES6_jNS0_17counting_iteratorIjlEEPS9_SE_NS0_5tupleIJPjSE_EEENSF_IJSE_SE_EEES9_SG_JZNS1_25segmented_radix_sort_implINS0_14default_configELb0EPKlPlSM_SN_N2at6native12_GLOBAL__N_18offset_tEEE10hipError_tPvRmT1_PNSt15iterator_traitsISV_E10value_typeET2_T3_PNSW_IS11_E10value_typeET4_jRbjT5_S17_jjP12ihipStream_tbEUljE_EEESS_ST_SU_S11_S15_S17_T6_T7_T9_mT8_S19_bDpT10_ENKUlT_T0_E_clISt17integral_constantIbLb0EES1L_IbLb1EEEEDaS1H_S1I_EUlS1H_E_NS1_11comp_targetILNS1_3genE10ELNS1_11target_archE1200ELNS1_3gpuE4ELNS1_3repE0EEENS1_30default_config_static_selectorELNS0_4arch9wavefront6targetE0EEEvSV_.has_indirect_call, 0
	.section	.AMDGPU.csdata,"",@progbits
; Kernel info:
; codeLenInByte = 0
; TotalNumSgprs: 0
; NumVgprs: 0
; ScratchSize: 0
; MemoryBound: 0
; FloatMode: 240
; IeeeMode: 1
; LDSByteSize: 0 bytes/workgroup (compile time only)
; SGPRBlocks: 0
; VGPRBlocks: 0
; NumSGPRsForWavesPerEU: 1
; NumVGPRsForWavesPerEU: 1
; NamedBarCnt: 0
; Occupancy: 16
; WaveLimiterHint : 0
; COMPUTE_PGM_RSRC2:SCRATCH_EN: 0
; COMPUTE_PGM_RSRC2:USER_SGPR: 2
; COMPUTE_PGM_RSRC2:TRAP_HANDLER: 0
; COMPUTE_PGM_RSRC2:TGID_X_EN: 1
; COMPUTE_PGM_RSRC2:TGID_Y_EN: 0
; COMPUTE_PGM_RSRC2:TGID_Z_EN: 0
; COMPUTE_PGM_RSRC2:TIDIG_COMP_CNT: 0
	.section	.text._ZN7rocprim17ROCPRIM_400000_NS6detail17trampoline_kernelINS0_13select_configILj256ELj13ELNS0_17block_load_methodE3ELS4_3ELS4_3ELNS0_20block_scan_algorithmE0ELj4294967295EEENS1_25partition_config_selectorILNS1_17partition_subalgoE3EjNS0_10empty_typeEbEEZZNS1_14partition_implILS8_3ELb0ES6_jNS0_17counting_iteratorIjlEEPS9_SE_NS0_5tupleIJPjSE_EEENSF_IJSE_SE_EEES9_SG_JZNS1_25segmented_radix_sort_implINS0_14default_configELb0EPKlPlSM_SN_N2at6native12_GLOBAL__N_18offset_tEEE10hipError_tPvRmT1_PNSt15iterator_traitsISV_E10value_typeET2_T3_PNSW_IS11_E10value_typeET4_jRbjT5_S17_jjP12ihipStream_tbEUljE_EEESS_ST_SU_S11_S15_S17_T6_T7_T9_mT8_S19_bDpT10_ENKUlT_T0_E_clISt17integral_constantIbLb0EES1L_IbLb1EEEEDaS1H_S1I_EUlS1H_E_NS1_11comp_targetILNS1_3genE9ELNS1_11target_archE1100ELNS1_3gpuE3ELNS1_3repE0EEENS1_30default_config_static_selectorELNS0_4arch9wavefront6targetE0EEEvSV_,"axG",@progbits,_ZN7rocprim17ROCPRIM_400000_NS6detail17trampoline_kernelINS0_13select_configILj256ELj13ELNS0_17block_load_methodE3ELS4_3ELS4_3ELNS0_20block_scan_algorithmE0ELj4294967295EEENS1_25partition_config_selectorILNS1_17partition_subalgoE3EjNS0_10empty_typeEbEEZZNS1_14partition_implILS8_3ELb0ES6_jNS0_17counting_iteratorIjlEEPS9_SE_NS0_5tupleIJPjSE_EEENSF_IJSE_SE_EEES9_SG_JZNS1_25segmented_radix_sort_implINS0_14default_configELb0EPKlPlSM_SN_N2at6native12_GLOBAL__N_18offset_tEEE10hipError_tPvRmT1_PNSt15iterator_traitsISV_E10value_typeET2_T3_PNSW_IS11_E10value_typeET4_jRbjT5_S17_jjP12ihipStream_tbEUljE_EEESS_ST_SU_S11_S15_S17_T6_T7_T9_mT8_S19_bDpT10_ENKUlT_T0_E_clISt17integral_constantIbLb0EES1L_IbLb1EEEEDaS1H_S1I_EUlS1H_E_NS1_11comp_targetILNS1_3genE9ELNS1_11target_archE1100ELNS1_3gpuE3ELNS1_3repE0EEENS1_30default_config_static_selectorELNS0_4arch9wavefront6targetE0EEEvSV_,comdat
	.globl	_ZN7rocprim17ROCPRIM_400000_NS6detail17trampoline_kernelINS0_13select_configILj256ELj13ELNS0_17block_load_methodE3ELS4_3ELS4_3ELNS0_20block_scan_algorithmE0ELj4294967295EEENS1_25partition_config_selectorILNS1_17partition_subalgoE3EjNS0_10empty_typeEbEEZZNS1_14partition_implILS8_3ELb0ES6_jNS0_17counting_iteratorIjlEEPS9_SE_NS0_5tupleIJPjSE_EEENSF_IJSE_SE_EEES9_SG_JZNS1_25segmented_radix_sort_implINS0_14default_configELb0EPKlPlSM_SN_N2at6native12_GLOBAL__N_18offset_tEEE10hipError_tPvRmT1_PNSt15iterator_traitsISV_E10value_typeET2_T3_PNSW_IS11_E10value_typeET4_jRbjT5_S17_jjP12ihipStream_tbEUljE_EEESS_ST_SU_S11_S15_S17_T6_T7_T9_mT8_S19_bDpT10_ENKUlT_T0_E_clISt17integral_constantIbLb0EES1L_IbLb1EEEEDaS1H_S1I_EUlS1H_E_NS1_11comp_targetILNS1_3genE9ELNS1_11target_archE1100ELNS1_3gpuE3ELNS1_3repE0EEENS1_30default_config_static_selectorELNS0_4arch9wavefront6targetE0EEEvSV_ ; -- Begin function _ZN7rocprim17ROCPRIM_400000_NS6detail17trampoline_kernelINS0_13select_configILj256ELj13ELNS0_17block_load_methodE3ELS4_3ELS4_3ELNS0_20block_scan_algorithmE0ELj4294967295EEENS1_25partition_config_selectorILNS1_17partition_subalgoE3EjNS0_10empty_typeEbEEZZNS1_14partition_implILS8_3ELb0ES6_jNS0_17counting_iteratorIjlEEPS9_SE_NS0_5tupleIJPjSE_EEENSF_IJSE_SE_EEES9_SG_JZNS1_25segmented_radix_sort_implINS0_14default_configELb0EPKlPlSM_SN_N2at6native12_GLOBAL__N_18offset_tEEE10hipError_tPvRmT1_PNSt15iterator_traitsISV_E10value_typeET2_T3_PNSW_IS11_E10value_typeET4_jRbjT5_S17_jjP12ihipStream_tbEUljE_EEESS_ST_SU_S11_S15_S17_T6_T7_T9_mT8_S19_bDpT10_ENKUlT_T0_E_clISt17integral_constantIbLb0EES1L_IbLb1EEEEDaS1H_S1I_EUlS1H_E_NS1_11comp_targetILNS1_3genE9ELNS1_11target_archE1100ELNS1_3gpuE3ELNS1_3repE0EEENS1_30default_config_static_selectorELNS0_4arch9wavefront6targetE0EEEvSV_
	.p2align	8
	.type	_ZN7rocprim17ROCPRIM_400000_NS6detail17trampoline_kernelINS0_13select_configILj256ELj13ELNS0_17block_load_methodE3ELS4_3ELS4_3ELNS0_20block_scan_algorithmE0ELj4294967295EEENS1_25partition_config_selectorILNS1_17partition_subalgoE3EjNS0_10empty_typeEbEEZZNS1_14partition_implILS8_3ELb0ES6_jNS0_17counting_iteratorIjlEEPS9_SE_NS0_5tupleIJPjSE_EEENSF_IJSE_SE_EEES9_SG_JZNS1_25segmented_radix_sort_implINS0_14default_configELb0EPKlPlSM_SN_N2at6native12_GLOBAL__N_18offset_tEEE10hipError_tPvRmT1_PNSt15iterator_traitsISV_E10value_typeET2_T3_PNSW_IS11_E10value_typeET4_jRbjT5_S17_jjP12ihipStream_tbEUljE_EEESS_ST_SU_S11_S15_S17_T6_T7_T9_mT8_S19_bDpT10_ENKUlT_T0_E_clISt17integral_constantIbLb0EES1L_IbLb1EEEEDaS1H_S1I_EUlS1H_E_NS1_11comp_targetILNS1_3genE9ELNS1_11target_archE1100ELNS1_3gpuE3ELNS1_3repE0EEENS1_30default_config_static_selectorELNS0_4arch9wavefront6targetE0EEEvSV_,@function
_ZN7rocprim17ROCPRIM_400000_NS6detail17trampoline_kernelINS0_13select_configILj256ELj13ELNS0_17block_load_methodE3ELS4_3ELS4_3ELNS0_20block_scan_algorithmE0ELj4294967295EEENS1_25partition_config_selectorILNS1_17partition_subalgoE3EjNS0_10empty_typeEbEEZZNS1_14partition_implILS8_3ELb0ES6_jNS0_17counting_iteratorIjlEEPS9_SE_NS0_5tupleIJPjSE_EEENSF_IJSE_SE_EEES9_SG_JZNS1_25segmented_radix_sort_implINS0_14default_configELb0EPKlPlSM_SN_N2at6native12_GLOBAL__N_18offset_tEEE10hipError_tPvRmT1_PNSt15iterator_traitsISV_E10value_typeET2_T3_PNSW_IS11_E10value_typeET4_jRbjT5_S17_jjP12ihipStream_tbEUljE_EEESS_ST_SU_S11_S15_S17_T6_T7_T9_mT8_S19_bDpT10_ENKUlT_T0_E_clISt17integral_constantIbLb0EES1L_IbLb1EEEEDaS1H_S1I_EUlS1H_E_NS1_11comp_targetILNS1_3genE9ELNS1_11target_archE1100ELNS1_3gpuE3ELNS1_3repE0EEENS1_30default_config_static_selectorELNS0_4arch9wavefront6targetE0EEEvSV_: ; @_ZN7rocprim17ROCPRIM_400000_NS6detail17trampoline_kernelINS0_13select_configILj256ELj13ELNS0_17block_load_methodE3ELS4_3ELS4_3ELNS0_20block_scan_algorithmE0ELj4294967295EEENS1_25partition_config_selectorILNS1_17partition_subalgoE3EjNS0_10empty_typeEbEEZZNS1_14partition_implILS8_3ELb0ES6_jNS0_17counting_iteratorIjlEEPS9_SE_NS0_5tupleIJPjSE_EEENSF_IJSE_SE_EEES9_SG_JZNS1_25segmented_radix_sort_implINS0_14default_configELb0EPKlPlSM_SN_N2at6native12_GLOBAL__N_18offset_tEEE10hipError_tPvRmT1_PNSt15iterator_traitsISV_E10value_typeET2_T3_PNSW_IS11_E10value_typeET4_jRbjT5_S17_jjP12ihipStream_tbEUljE_EEESS_ST_SU_S11_S15_S17_T6_T7_T9_mT8_S19_bDpT10_ENKUlT_T0_E_clISt17integral_constantIbLb0EES1L_IbLb1EEEEDaS1H_S1I_EUlS1H_E_NS1_11comp_targetILNS1_3genE9ELNS1_11target_archE1100ELNS1_3gpuE3ELNS1_3repE0EEENS1_30default_config_static_selectorELNS0_4arch9wavefront6targetE0EEEvSV_
; %bb.0:
	.section	.rodata,"a",@progbits
	.p2align	6, 0x0
	.amdhsa_kernel _ZN7rocprim17ROCPRIM_400000_NS6detail17trampoline_kernelINS0_13select_configILj256ELj13ELNS0_17block_load_methodE3ELS4_3ELS4_3ELNS0_20block_scan_algorithmE0ELj4294967295EEENS1_25partition_config_selectorILNS1_17partition_subalgoE3EjNS0_10empty_typeEbEEZZNS1_14partition_implILS8_3ELb0ES6_jNS0_17counting_iteratorIjlEEPS9_SE_NS0_5tupleIJPjSE_EEENSF_IJSE_SE_EEES9_SG_JZNS1_25segmented_radix_sort_implINS0_14default_configELb0EPKlPlSM_SN_N2at6native12_GLOBAL__N_18offset_tEEE10hipError_tPvRmT1_PNSt15iterator_traitsISV_E10value_typeET2_T3_PNSW_IS11_E10value_typeET4_jRbjT5_S17_jjP12ihipStream_tbEUljE_EEESS_ST_SU_S11_S15_S17_T6_T7_T9_mT8_S19_bDpT10_ENKUlT_T0_E_clISt17integral_constantIbLb0EES1L_IbLb1EEEEDaS1H_S1I_EUlS1H_E_NS1_11comp_targetILNS1_3genE9ELNS1_11target_archE1100ELNS1_3gpuE3ELNS1_3repE0EEENS1_30default_config_static_selectorELNS0_4arch9wavefront6targetE0EEEvSV_
		.amdhsa_group_segment_fixed_size 0
		.amdhsa_private_segment_fixed_size 0
		.amdhsa_kernarg_size 152
		.amdhsa_user_sgpr_count 2
		.amdhsa_user_sgpr_dispatch_ptr 0
		.amdhsa_user_sgpr_queue_ptr 0
		.amdhsa_user_sgpr_kernarg_segment_ptr 1
		.amdhsa_user_sgpr_dispatch_id 0
		.amdhsa_user_sgpr_kernarg_preload_length 0
		.amdhsa_user_sgpr_kernarg_preload_offset 0
		.amdhsa_user_sgpr_private_segment_size 0
		.amdhsa_wavefront_size32 1
		.amdhsa_uses_dynamic_stack 0
		.amdhsa_enable_private_segment 0
		.amdhsa_system_sgpr_workgroup_id_x 1
		.amdhsa_system_sgpr_workgroup_id_y 0
		.amdhsa_system_sgpr_workgroup_id_z 0
		.amdhsa_system_sgpr_workgroup_info 0
		.amdhsa_system_vgpr_workitem_id 0
		.amdhsa_next_free_vgpr 1
		.amdhsa_next_free_sgpr 1
		.amdhsa_named_barrier_count 0
		.amdhsa_reserve_vcc 0
		.amdhsa_float_round_mode_32 0
		.amdhsa_float_round_mode_16_64 0
		.amdhsa_float_denorm_mode_32 3
		.amdhsa_float_denorm_mode_16_64 3
		.amdhsa_fp16_overflow 0
		.amdhsa_memory_ordered 1
		.amdhsa_forward_progress 1
		.amdhsa_inst_pref_size 0
		.amdhsa_round_robin_scheduling 0
		.amdhsa_exception_fp_ieee_invalid_op 0
		.amdhsa_exception_fp_denorm_src 0
		.amdhsa_exception_fp_ieee_div_zero 0
		.amdhsa_exception_fp_ieee_overflow 0
		.amdhsa_exception_fp_ieee_underflow 0
		.amdhsa_exception_fp_ieee_inexact 0
		.amdhsa_exception_int_div_zero 0
	.end_amdhsa_kernel
	.section	.text._ZN7rocprim17ROCPRIM_400000_NS6detail17trampoline_kernelINS0_13select_configILj256ELj13ELNS0_17block_load_methodE3ELS4_3ELS4_3ELNS0_20block_scan_algorithmE0ELj4294967295EEENS1_25partition_config_selectorILNS1_17partition_subalgoE3EjNS0_10empty_typeEbEEZZNS1_14partition_implILS8_3ELb0ES6_jNS0_17counting_iteratorIjlEEPS9_SE_NS0_5tupleIJPjSE_EEENSF_IJSE_SE_EEES9_SG_JZNS1_25segmented_radix_sort_implINS0_14default_configELb0EPKlPlSM_SN_N2at6native12_GLOBAL__N_18offset_tEEE10hipError_tPvRmT1_PNSt15iterator_traitsISV_E10value_typeET2_T3_PNSW_IS11_E10value_typeET4_jRbjT5_S17_jjP12ihipStream_tbEUljE_EEESS_ST_SU_S11_S15_S17_T6_T7_T9_mT8_S19_bDpT10_ENKUlT_T0_E_clISt17integral_constantIbLb0EES1L_IbLb1EEEEDaS1H_S1I_EUlS1H_E_NS1_11comp_targetILNS1_3genE9ELNS1_11target_archE1100ELNS1_3gpuE3ELNS1_3repE0EEENS1_30default_config_static_selectorELNS0_4arch9wavefront6targetE0EEEvSV_,"axG",@progbits,_ZN7rocprim17ROCPRIM_400000_NS6detail17trampoline_kernelINS0_13select_configILj256ELj13ELNS0_17block_load_methodE3ELS4_3ELS4_3ELNS0_20block_scan_algorithmE0ELj4294967295EEENS1_25partition_config_selectorILNS1_17partition_subalgoE3EjNS0_10empty_typeEbEEZZNS1_14partition_implILS8_3ELb0ES6_jNS0_17counting_iteratorIjlEEPS9_SE_NS0_5tupleIJPjSE_EEENSF_IJSE_SE_EEES9_SG_JZNS1_25segmented_radix_sort_implINS0_14default_configELb0EPKlPlSM_SN_N2at6native12_GLOBAL__N_18offset_tEEE10hipError_tPvRmT1_PNSt15iterator_traitsISV_E10value_typeET2_T3_PNSW_IS11_E10value_typeET4_jRbjT5_S17_jjP12ihipStream_tbEUljE_EEESS_ST_SU_S11_S15_S17_T6_T7_T9_mT8_S19_bDpT10_ENKUlT_T0_E_clISt17integral_constantIbLb0EES1L_IbLb1EEEEDaS1H_S1I_EUlS1H_E_NS1_11comp_targetILNS1_3genE9ELNS1_11target_archE1100ELNS1_3gpuE3ELNS1_3repE0EEENS1_30default_config_static_selectorELNS0_4arch9wavefront6targetE0EEEvSV_,comdat
.Lfunc_end801:
	.size	_ZN7rocprim17ROCPRIM_400000_NS6detail17trampoline_kernelINS0_13select_configILj256ELj13ELNS0_17block_load_methodE3ELS4_3ELS4_3ELNS0_20block_scan_algorithmE0ELj4294967295EEENS1_25partition_config_selectorILNS1_17partition_subalgoE3EjNS0_10empty_typeEbEEZZNS1_14partition_implILS8_3ELb0ES6_jNS0_17counting_iteratorIjlEEPS9_SE_NS0_5tupleIJPjSE_EEENSF_IJSE_SE_EEES9_SG_JZNS1_25segmented_radix_sort_implINS0_14default_configELb0EPKlPlSM_SN_N2at6native12_GLOBAL__N_18offset_tEEE10hipError_tPvRmT1_PNSt15iterator_traitsISV_E10value_typeET2_T3_PNSW_IS11_E10value_typeET4_jRbjT5_S17_jjP12ihipStream_tbEUljE_EEESS_ST_SU_S11_S15_S17_T6_T7_T9_mT8_S19_bDpT10_ENKUlT_T0_E_clISt17integral_constantIbLb0EES1L_IbLb1EEEEDaS1H_S1I_EUlS1H_E_NS1_11comp_targetILNS1_3genE9ELNS1_11target_archE1100ELNS1_3gpuE3ELNS1_3repE0EEENS1_30default_config_static_selectorELNS0_4arch9wavefront6targetE0EEEvSV_, .Lfunc_end801-_ZN7rocprim17ROCPRIM_400000_NS6detail17trampoline_kernelINS0_13select_configILj256ELj13ELNS0_17block_load_methodE3ELS4_3ELS4_3ELNS0_20block_scan_algorithmE0ELj4294967295EEENS1_25partition_config_selectorILNS1_17partition_subalgoE3EjNS0_10empty_typeEbEEZZNS1_14partition_implILS8_3ELb0ES6_jNS0_17counting_iteratorIjlEEPS9_SE_NS0_5tupleIJPjSE_EEENSF_IJSE_SE_EEES9_SG_JZNS1_25segmented_radix_sort_implINS0_14default_configELb0EPKlPlSM_SN_N2at6native12_GLOBAL__N_18offset_tEEE10hipError_tPvRmT1_PNSt15iterator_traitsISV_E10value_typeET2_T3_PNSW_IS11_E10value_typeET4_jRbjT5_S17_jjP12ihipStream_tbEUljE_EEESS_ST_SU_S11_S15_S17_T6_T7_T9_mT8_S19_bDpT10_ENKUlT_T0_E_clISt17integral_constantIbLb0EES1L_IbLb1EEEEDaS1H_S1I_EUlS1H_E_NS1_11comp_targetILNS1_3genE9ELNS1_11target_archE1100ELNS1_3gpuE3ELNS1_3repE0EEENS1_30default_config_static_selectorELNS0_4arch9wavefront6targetE0EEEvSV_
                                        ; -- End function
	.set _ZN7rocprim17ROCPRIM_400000_NS6detail17trampoline_kernelINS0_13select_configILj256ELj13ELNS0_17block_load_methodE3ELS4_3ELS4_3ELNS0_20block_scan_algorithmE0ELj4294967295EEENS1_25partition_config_selectorILNS1_17partition_subalgoE3EjNS0_10empty_typeEbEEZZNS1_14partition_implILS8_3ELb0ES6_jNS0_17counting_iteratorIjlEEPS9_SE_NS0_5tupleIJPjSE_EEENSF_IJSE_SE_EEES9_SG_JZNS1_25segmented_radix_sort_implINS0_14default_configELb0EPKlPlSM_SN_N2at6native12_GLOBAL__N_18offset_tEEE10hipError_tPvRmT1_PNSt15iterator_traitsISV_E10value_typeET2_T3_PNSW_IS11_E10value_typeET4_jRbjT5_S17_jjP12ihipStream_tbEUljE_EEESS_ST_SU_S11_S15_S17_T6_T7_T9_mT8_S19_bDpT10_ENKUlT_T0_E_clISt17integral_constantIbLb0EES1L_IbLb1EEEEDaS1H_S1I_EUlS1H_E_NS1_11comp_targetILNS1_3genE9ELNS1_11target_archE1100ELNS1_3gpuE3ELNS1_3repE0EEENS1_30default_config_static_selectorELNS0_4arch9wavefront6targetE0EEEvSV_.num_vgpr, 0
	.set _ZN7rocprim17ROCPRIM_400000_NS6detail17trampoline_kernelINS0_13select_configILj256ELj13ELNS0_17block_load_methodE3ELS4_3ELS4_3ELNS0_20block_scan_algorithmE0ELj4294967295EEENS1_25partition_config_selectorILNS1_17partition_subalgoE3EjNS0_10empty_typeEbEEZZNS1_14partition_implILS8_3ELb0ES6_jNS0_17counting_iteratorIjlEEPS9_SE_NS0_5tupleIJPjSE_EEENSF_IJSE_SE_EEES9_SG_JZNS1_25segmented_radix_sort_implINS0_14default_configELb0EPKlPlSM_SN_N2at6native12_GLOBAL__N_18offset_tEEE10hipError_tPvRmT1_PNSt15iterator_traitsISV_E10value_typeET2_T3_PNSW_IS11_E10value_typeET4_jRbjT5_S17_jjP12ihipStream_tbEUljE_EEESS_ST_SU_S11_S15_S17_T6_T7_T9_mT8_S19_bDpT10_ENKUlT_T0_E_clISt17integral_constantIbLb0EES1L_IbLb1EEEEDaS1H_S1I_EUlS1H_E_NS1_11comp_targetILNS1_3genE9ELNS1_11target_archE1100ELNS1_3gpuE3ELNS1_3repE0EEENS1_30default_config_static_selectorELNS0_4arch9wavefront6targetE0EEEvSV_.num_agpr, 0
	.set _ZN7rocprim17ROCPRIM_400000_NS6detail17trampoline_kernelINS0_13select_configILj256ELj13ELNS0_17block_load_methodE3ELS4_3ELS4_3ELNS0_20block_scan_algorithmE0ELj4294967295EEENS1_25partition_config_selectorILNS1_17partition_subalgoE3EjNS0_10empty_typeEbEEZZNS1_14partition_implILS8_3ELb0ES6_jNS0_17counting_iteratorIjlEEPS9_SE_NS0_5tupleIJPjSE_EEENSF_IJSE_SE_EEES9_SG_JZNS1_25segmented_radix_sort_implINS0_14default_configELb0EPKlPlSM_SN_N2at6native12_GLOBAL__N_18offset_tEEE10hipError_tPvRmT1_PNSt15iterator_traitsISV_E10value_typeET2_T3_PNSW_IS11_E10value_typeET4_jRbjT5_S17_jjP12ihipStream_tbEUljE_EEESS_ST_SU_S11_S15_S17_T6_T7_T9_mT8_S19_bDpT10_ENKUlT_T0_E_clISt17integral_constantIbLb0EES1L_IbLb1EEEEDaS1H_S1I_EUlS1H_E_NS1_11comp_targetILNS1_3genE9ELNS1_11target_archE1100ELNS1_3gpuE3ELNS1_3repE0EEENS1_30default_config_static_selectorELNS0_4arch9wavefront6targetE0EEEvSV_.numbered_sgpr, 0
	.set _ZN7rocprim17ROCPRIM_400000_NS6detail17trampoline_kernelINS0_13select_configILj256ELj13ELNS0_17block_load_methodE3ELS4_3ELS4_3ELNS0_20block_scan_algorithmE0ELj4294967295EEENS1_25partition_config_selectorILNS1_17partition_subalgoE3EjNS0_10empty_typeEbEEZZNS1_14partition_implILS8_3ELb0ES6_jNS0_17counting_iteratorIjlEEPS9_SE_NS0_5tupleIJPjSE_EEENSF_IJSE_SE_EEES9_SG_JZNS1_25segmented_radix_sort_implINS0_14default_configELb0EPKlPlSM_SN_N2at6native12_GLOBAL__N_18offset_tEEE10hipError_tPvRmT1_PNSt15iterator_traitsISV_E10value_typeET2_T3_PNSW_IS11_E10value_typeET4_jRbjT5_S17_jjP12ihipStream_tbEUljE_EEESS_ST_SU_S11_S15_S17_T6_T7_T9_mT8_S19_bDpT10_ENKUlT_T0_E_clISt17integral_constantIbLb0EES1L_IbLb1EEEEDaS1H_S1I_EUlS1H_E_NS1_11comp_targetILNS1_3genE9ELNS1_11target_archE1100ELNS1_3gpuE3ELNS1_3repE0EEENS1_30default_config_static_selectorELNS0_4arch9wavefront6targetE0EEEvSV_.num_named_barrier, 0
	.set _ZN7rocprim17ROCPRIM_400000_NS6detail17trampoline_kernelINS0_13select_configILj256ELj13ELNS0_17block_load_methodE3ELS4_3ELS4_3ELNS0_20block_scan_algorithmE0ELj4294967295EEENS1_25partition_config_selectorILNS1_17partition_subalgoE3EjNS0_10empty_typeEbEEZZNS1_14partition_implILS8_3ELb0ES6_jNS0_17counting_iteratorIjlEEPS9_SE_NS0_5tupleIJPjSE_EEENSF_IJSE_SE_EEES9_SG_JZNS1_25segmented_radix_sort_implINS0_14default_configELb0EPKlPlSM_SN_N2at6native12_GLOBAL__N_18offset_tEEE10hipError_tPvRmT1_PNSt15iterator_traitsISV_E10value_typeET2_T3_PNSW_IS11_E10value_typeET4_jRbjT5_S17_jjP12ihipStream_tbEUljE_EEESS_ST_SU_S11_S15_S17_T6_T7_T9_mT8_S19_bDpT10_ENKUlT_T0_E_clISt17integral_constantIbLb0EES1L_IbLb1EEEEDaS1H_S1I_EUlS1H_E_NS1_11comp_targetILNS1_3genE9ELNS1_11target_archE1100ELNS1_3gpuE3ELNS1_3repE0EEENS1_30default_config_static_selectorELNS0_4arch9wavefront6targetE0EEEvSV_.private_seg_size, 0
	.set _ZN7rocprim17ROCPRIM_400000_NS6detail17trampoline_kernelINS0_13select_configILj256ELj13ELNS0_17block_load_methodE3ELS4_3ELS4_3ELNS0_20block_scan_algorithmE0ELj4294967295EEENS1_25partition_config_selectorILNS1_17partition_subalgoE3EjNS0_10empty_typeEbEEZZNS1_14partition_implILS8_3ELb0ES6_jNS0_17counting_iteratorIjlEEPS9_SE_NS0_5tupleIJPjSE_EEENSF_IJSE_SE_EEES9_SG_JZNS1_25segmented_radix_sort_implINS0_14default_configELb0EPKlPlSM_SN_N2at6native12_GLOBAL__N_18offset_tEEE10hipError_tPvRmT1_PNSt15iterator_traitsISV_E10value_typeET2_T3_PNSW_IS11_E10value_typeET4_jRbjT5_S17_jjP12ihipStream_tbEUljE_EEESS_ST_SU_S11_S15_S17_T6_T7_T9_mT8_S19_bDpT10_ENKUlT_T0_E_clISt17integral_constantIbLb0EES1L_IbLb1EEEEDaS1H_S1I_EUlS1H_E_NS1_11comp_targetILNS1_3genE9ELNS1_11target_archE1100ELNS1_3gpuE3ELNS1_3repE0EEENS1_30default_config_static_selectorELNS0_4arch9wavefront6targetE0EEEvSV_.uses_vcc, 0
	.set _ZN7rocprim17ROCPRIM_400000_NS6detail17trampoline_kernelINS0_13select_configILj256ELj13ELNS0_17block_load_methodE3ELS4_3ELS4_3ELNS0_20block_scan_algorithmE0ELj4294967295EEENS1_25partition_config_selectorILNS1_17partition_subalgoE3EjNS0_10empty_typeEbEEZZNS1_14partition_implILS8_3ELb0ES6_jNS0_17counting_iteratorIjlEEPS9_SE_NS0_5tupleIJPjSE_EEENSF_IJSE_SE_EEES9_SG_JZNS1_25segmented_radix_sort_implINS0_14default_configELb0EPKlPlSM_SN_N2at6native12_GLOBAL__N_18offset_tEEE10hipError_tPvRmT1_PNSt15iterator_traitsISV_E10value_typeET2_T3_PNSW_IS11_E10value_typeET4_jRbjT5_S17_jjP12ihipStream_tbEUljE_EEESS_ST_SU_S11_S15_S17_T6_T7_T9_mT8_S19_bDpT10_ENKUlT_T0_E_clISt17integral_constantIbLb0EES1L_IbLb1EEEEDaS1H_S1I_EUlS1H_E_NS1_11comp_targetILNS1_3genE9ELNS1_11target_archE1100ELNS1_3gpuE3ELNS1_3repE0EEENS1_30default_config_static_selectorELNS0_4arch9wavefront6targetE0EEEvSV_.uses_flat_scratch, 0
	.set _ZN7rocprim17ROCPRIM_400000_NS6detail17trampoline_kernelINS0_13select_configILj256ELj13ELNS0_17block_load_methodE3ELS4_3ELS4_3ELNS0_20block_scan_algorithmE0ELj4294967295EEENS1_25partition_config_selectorILNS1_17partition_subalgoE3EjNS0_10empty_typeEbEEZZNS1_14partition_implILS8_3ELb0ES6_jNS0_17counting_iteratorIjlEEPS9_SE_NS0_5tupleIJPjSE_EEENSF_IJSE_SE_EEES9_SG_JZNS1_25segmented_radix_sort_implINS0_14default_configELb0EPKlPlSM_SN_N2at6native12_GLOBAL__N_18offset_tEEE10hipError_tPvRmT1_PNSt15iterator_traitsISV_E10value_typeET2_T3_PNSW_IS11_E10value_typeET4_jRbjT5_S17_jjP12ihipStream_tbEUljE_EEESS_ST_SU_S11_S15_S17_T6_T7_T9_mT8_S19_bDpT10_ENKUlT_T0_E_clISt17integral_constantIbLb0EES1L_IbLb1EEEEDaS1H_S1I_EUlS1H_E_NS1_11comp_targetILNS1_3genE9ELNS1_11target_archE1100ELNS1_3gpuE3ELNS1_3repE0EEENS1_30default_config_static_selectorELNS0_4arch9wavefront6targetE0EEEvSV_.has_dyn_sized_stack, 0
	.set _ZN7rocprim17ROCPRIM_400000_NS6detail17trampoline_kernelINS0_13select_configILj256ELj13ELNS0_17block_load_methodE3ELS4_3ELS4_3ELNS0_20block_scan_algorithmE0ELj4294967295EEENS1_25partition_config_selectorILNS1_17partition_subalgoE3EjNS0_10empty_typeEbEEZZNS1_14partition_implILS8_3ELb0ES6_jNS0_17counting_iteratorIjlEEPS9_SE_NS0_5tupleIJPjSE_EEENSF_IJSE_SE_EEES9_SG_JZNS1_25segmented_radix_sort_implINS0_14default_configELb0EPKlPlSM_SN_N2at6native12_GLOBAL__N_18offset_tEEE10hipError_tPvRmT1_PNSt15iterator_traitsISV_E10value_typeET2_T3_PNSW_IS11_E10value_typeET4_jRbjT5_S17_jjP12ihipStream_tbEUljE_EEESS_ST_SU_S11_S15_S17_T6_T7_T9_mT8_S19_bDpT10_ENKUlT_T0_E_clISt17integral_constantIbLb0EES1L_IbLb1EEEEDaS1H_S1I_EUlS1H_E_NS1_11comp_targetILNS1_3genE9ELNS1_11target_archE1100ELNS1_3gpuE3ELNS1_3repE0EEENS1_30default_config_static_selectorELNS0_4arch9wavefront6targetE0EEEvSV_.has_recursion, 0
	.set _ZN7rocprim17ROCPRIM_400000_NS6detail17trampoline_kernelINS0_13select_configILj256ELj13ELNS0_17block_load_methodE3ELS4_3ELS4_3ELNS0_20block_scan_algorithmE0ELj4294967295EEENS1_25partition_config_selectorILNS1_17partition_subalgoE3EjNS0_10empty_typeEbEEZZNS1_14partition_implILS8_3ELb0ES6_jNS0_17counting_iteratorIjlEEPS9_SE_NS0_5tupleIJPjSE_EEENSF_IJSE_SE_EEES9_SG_JZNS1_25segmented_radix_sort_implINS0_14default_configELb0EPKlPlSM_SN_N2at6native12_GLOBAL__N_18offset_tEEE10hipError_tPvRmT1_PNSt15iterator_traitsISV_E10value_typeET2_T3_PNSW_IS11_E10value_typeET4_jRbjT5_S17_jjP12ihipStream_tbEUljE_EEESS_ST_SU_S11_S15_S17_T6_T7_T9_mT8_S19_bDpT10_ENKUlT_T0_E_clISt17integral_constantIbLb0EES1L_IbLb1EEEEDaS1H_S1I_EUlS1H_E_NS1_11comp_targetILNS1_3genE9ELNS1_11target_archE1100ELNS1_3gpuE3ELNS1_3repE0EEENS1_30default_config_static_selectorELNS0_4arch9wavefront6targetE0EEEvSV_.has_indirect_call, 0
	.section	.AMDGPU.csdata,"",@progbits
; Kernel info:
; codeLenInByte = 0
; TotalNumSgprs: 0
; NumVgprs: 0
; ScratchSize: 0
; MemoryBound: 0
; FloatMode: 240
; IeeeMode: 1
; LDSByteSize: 0 bytes/workgroup (compile time only)
; SGPRBlocks: 0
; VGPRBlocks: 0
; NumSGPRsForWavesPerEU: 1
; NumVGPRsForWavesPerEU: 1
; NamedBarCnt: 0
; Occupancy: 16
; WaveLimiterHint : 0
; COMPUTE_PGM_RSRC2:SCRATCH_EN: 0
; COMPUTE_PGM_RSRC2:USER_SGPR: 2
; COMPUTE_PGM_RSRC2:TRAP_HANDLER: 0
; COMPUTE_PGM_RSRC2:TGID_X_EN: 1
; COMPUTE_PGM_RSRC2:TGID_Y_EN: 0
; COMPUTE_PGM_RSRC2:TGID_Z_EN: 0
; COMPUTE_PGM_RSRC2:TIDIG_COMP_CNT: 0
	.section	.text._ZN7rocprim17ROCPRIM_400000_NS6detail17trampoline_kernelINS0_13select_configILj256ELj13ELNS0_17block_load_methodE3ELS4_3ELS4_3ELNS0_20block_scan_algorithmE0ELj4294967295EEENS1_25partition_config_selectorILNS1_17partition_subalgoE3EjNS0_10empty_typeEbEEZZNS1_14partition_implILS8_3ELb0ES6_jNS0_17counting_iteratorIjlEEPS9_SE_NS0_5tupleIJPjSE_EEENSF_IJSE_SE_EEES9_SG_JZNS1_25segmented_radix_sort_implINS0_14default_configELb0EPKlPlSM_SN_N2at6native12_GLOBAL__N_18offset_tEEE10hipError_tPvRmT1_PNSt15iterator_traitsISV_E10value_typeET2_T3_PNSW_IS11_E10value_typeET4_jRbjT5_S17_jjP12ihipStream_tbEUljE_EEESS_ST_SU_S11_S15_S17_T6_T7_T9_mT8_S19_bDpT10_ENKUlT_T0_E_clISt17integral_constantIbLb0EES1L_IbLb1EEEEDaS1H_S1I_EUlS1H_E_NS1_11comp_targetILNS1_3genE8ELNS1_11target_archE1030ELNS1_3gpuE2ELNS1_3repE0EEENS1_30default_config_static_selectorELNS0_4arch9wavefront6targetE0EEEvSV_,"axG",@progbits,_ZN7rocprim17ROCPRIM_400000_NS6detail17trampoline_kernelINS0_13select_configILj256ELj13ELNS0_17block_load_methodE3ELS4_3ELS4_3ELNS0_20block_scan_algorithmE0ELj4294967295EEENS1_25partition_config_selectorILNS1_17partition_subalgoE3EjNS0_10empty_typeEbEEZZNS1_14partition_implILS8_3ELb0ES6_jNS0_17counting_iteratorIjlEEPS9_SE_NS0_5tupleIJPjSE_EEENSF_IJSE_SE_EEES9_SG_JZNS1_25segmented_radix_sort_implINS0_14default_configELb0EPKlPlSM_SN_N2at6native12_GLOBAL__N_18offset_tEEE10hipError_tPvRmT1_PNSt15iterator_traitsISV_E10value_typeET2_T3_PNSW_IS11_E10value_typeET4_jRbjT5_S17_jjP12ihipStream_tbEUljE_EEESS_ST_SU_S11_S15_S17_T6_T7_T9_mT8_S19_bDpT10_ENKUlT_T0_E_clISt17integral_constantIbLb0EES1L_IbLb1EEEEDaS1H_S1I_EUlS1H_E_NS1_11comp_targetILNS1_3genE8ELNS1_11target_archE1030ELNS1_3gpuE2ELNS1_3repE0EEENS1_30default_config_static_selectorELNS0_4arch9wavefront6targetE0EEEvSV_,comdat
	.globl	_ZN7rocprim17ROCPRIM_400000_NS6detail17trampoline_kernelINS0_13select_configILj256ELj13ELNS0_17block_load_methodE3ELS4_3ELS4_3ELNS0_20block_scan_algorithmE0ELj4294967295EEENS1_25partition_config_selectorILNS1_17partition_subalgoE3EjNS0_10empty_typeEbEEZZNS1_14partition_implILS8_3ELb0ES6_jNS0_17counting_iteratorIjlEEPS9_SE_NS0_5tupleIJPjSE_EEENSF_IJSE_SE_EEES9_SG_JZNS1_25segmented_radix_sort_implINS0_14default_configELb0EPKlPlSM_SN_N2at6native12_GLOBAL__N_18offset_tEEE10hipError_tPvRmT1_PNSt15iterator_traitsISV_E10value_typeET2_T3_PNSW_IS11_E10value_typeET4_jRbjT5_S17_jjP12ihipStream_tbEUljE_EEESS_ST_SU_S11_S15_S17_T6_T7_T9_mT8_S19_bDpT10_ENKUlT_T0_E_clISt17integral_constantIbLb0EES1L_IbLb1EEEEDaS1H_S1I_EUlS1H_E_NS1_11comp_targetILNS1_3genE8ELNS1_11target_archE1030ELNS1_3gpuE2ELNS1_3repE0EEENS1_30default_config_static_selectorELNS0_4arch9wavefront6targetE0EEEvSV_ ; -- Begin function _ZN7rocprim17ROCPRIM_400000_NS6detail17trampoline_kernelINS0_13select_configILj256ELj13ELNS0_17block_load_methodE3ELS4_3ELS4_3ELNS0_20block_scan_algorithmE0ELj4294967295EEENS1_25partition_config_selectorILNS1_17partition_subalgoE3EjNS0_10empty_typeEbEEZZNS1_14partition_implILS8_3ELb0ES6_jNS0_17counting_iteratorIjlEEPS9_SE_NS0_5tupleIJPjSE_EEENSF_IJSE_SE_EEES9_SG_JZNS1_25segmented_radix_sort_implINS0_14default_configELb0EPKlPlSM_SN_N2at6native12_GLOBAL__N_18offset_tEEE10hipError_tPvRmT1_PNSt15iterator_traitsISV_E10value_typeET2_T3_PNSW_IS11_E10value_typeET4_jRbjT5_S17_jjP12ihipStream_tbEUljE_EEESS_ST_SU_S11_S15_S17_T6_T7_T9_mT8_S19_bDpT10_ENKUlT_T0_E_clISt17integral_constantIbLb0EES1L_IbLb1EEEEDaS1H_S1I_EUlS1H_E_NS1_11comp_targetILNS1_3genE8ELNS1_11target_archE1030ELNS1_3gpuE2ELNS1_3repE0EEENS1_30default_config_static_selectorELNS0_4arch9wavefront6targetE0EEEvSV_
	.p2align	8
	.type	_ZN7rocprim17ROCPRIM_400000_NS6detail17trampoline_kernelINS0_13select_configILj256ELj13ELNS0_17block_load_methodE3ELS4_3ELS4_3ELNS0_20block_scan_algorithmE0ELj4294967295EEENS1_25partition_config_selectorILNS1_17partition_subalgoE3EjNS0_10empty_typeEbEEZZNS1_14partition_implILS8_3ELb0ES6_jNS0_17counting_iteratorIjlEEPS9_SE_NS0_5tupleIJPjSE_EEENSF_IJSE_SE_EEES9_SG_JZNS1_25segmented_radix_sort_implINS0_14default_configELb0EPKlPlSM_SN_N2at6native12_GLOBAL__N_18offset_tEEE10hipError_tPvRmT1_PNSt15iterator_traitsISV_E10value_typeET2_T3_PNSW_IS11_E10value_typeET4_jRbjT5_S17_jjP12ihipStream_tbEUljE_EEESS_ST_SU_S11_S15_S17_T6_T7_T9_mT8_S19_bDpT10_ENKUlT_T0_E_clISt17integral_constantIbLb0EES1L_IbLb1EEEEDaS1H_S1I_EUlS1H_E_NS1_11comp_targetILNS1_3genE8ELNS1_11target_archE1030ELNS1_3gpuE2ELNS1_3repE0EEENS1_30default_config_static_selectorELNS0_4arch9wavefront6targetE0EEEvSV_,@function
_ZN7rocprim17ROCPRIM_400000_NS6detail17trampoline_kernelINS0_13select_configILj256ELj13ELNS0_17block_load_methodE3ELS4_3ELS4_3ELNS0_20block_scan_algorithmE0ELj4294967295EEENS1_25partition_config_selectorILNS1_17partition_subalgoE3EjNS0_10empty_typeEbEEZZNS1_14partition_implILS8_3ELb0ES6_jNS0_17counting_iteratorIjlEEPS9_SE_NS0_5tupleIJPjSE_EEENSF_IJSE_SE_EEES9_SG_JZNS1_25segmented_radix_sort_implINS0_14default_configELb0EPKlPlSM_SN_N2at6native12_GLOBAL__N_18offset_tEEE10hipError_tPvRmT1_PNSt15iterator_traitsISV_E10value_typeET2_T3_PNSW_IS11_E10value_typeET4_jRbjT5_S17_jjP12ihipStream_tbEUljE_EEESS_ST_SU_S11_S15_S17_T6_T7_T9_mT8_S19_bDpT10_ENKUlT_T0_E_clISt17integral_constantIbLb0EES1L_IbLb1EEEEDaS1H_S1I_EUlS1H_E_NS1_11comp_targetILNS1_3genE8ELNS1_11target_archE1030ELNS1_3gpuE2ELNS1_3repE0EEENS1_30default_config_static_selectorELNS0_4arch9wavefront6targetE0EEEvSV_: ; @_ZN7rocprim17ROCPRIM_400000_NS6detail17trampoline_kernelINS0_13select_configILj256ELj13ELNS0_17block_load_methodE3ELS4_3ELS4_3ELNS0_20block_scan_algorithmE0ELj4294967295EEENS1_25partition_config_selectorILNS1_17partition_subalgoE3EjNS0_10empty_typeEbEEZZNS1_14partition_implILS8_3ELb0ES6_jNS0_17counting_iteratorIjlEEPS9_SE_NS0_5tupleIJPjSE_EEENSF_IJSE_SE_EEES9_SG_JZNS1_25segmented_radix_sort_implINS0_14default_configELb0EPKlPlSM_SN_N2at6native12_GLOBAL__N_18offset_tEEE10hipError_tPvRmT1_PNSt15iterator_traitsISV_E10value_typeET2_T3_PNSW_IS11_E10value_typeET4_jRbjT5_S17_jjP12ihipStream_tbEUljE_EEESS_ST_SU_S11_S15_S17_T6_T7_T9_mT8_S19_bDpT10_ENKUlT_T0_E_clISt17integral_constantIbLb0EES1L_IbLb1EEEEDaS1H_S1I_EUlS1H_E_NS1_11comp_targetILNS1_3genE8ELNS1_11target_archE1030ELNS1_3gpuE2ELNS1_3repE0EEENS1_30default_config_static_selectorELNS0_4arch9wavefront6targetE0EEEvSV_
; %bb.0:
	.section	.rodata,"a",@progbits
	.p2align	6, 0x0
	.amdhsa_kernel _ZN7rocprim17ROCPRIM_400000_NS6detail17trampoline_kernelINS0_13select_configILj256ELj13ELNS0_17block_load_methodE3ELS4_3ELS4_3ELNS0_20block_scan_algorithmE0ELj4294967295EEENS1_25partition_config_selectorILNS1_17partition_subalgoE3EjNS0_10empty_typeEbEEZZNS1_14partition_implILS8_3ELb0ES6_jNS0_17counting_iteratorIjlEEPS9_SE_NS0_5tupleIJPjSE_EEENSF_IJSE_SE_EEES9_SG_JZNS1_25segmented_radix_sort_implINS0_14default_configELb0EPKlPlSM_SN_N2at6native12_GLOBAL__N_18offset_tEEE10hipError_tPvRmT1_PNSt15iterator_traitsISV_E10value_typeET2_T3_PNSW_IS11_E10value_typeET4_jRbjT5_S17_jjP12ihipStream_tbEUljE_EEESS_ST_SU_S11_S15_S17_T6_T7_T9_mT8_S19_bDpT10_ENKUlT_T0_E_clISt17integral_constantIbLb0EES1L_IbLb1EEEEDaS1H_S1I_EUlS1H_E_NS1_11comp_targetILNS1_3genE8ELNS1_11target_archE1030ELNS1_3gpuE2ELNS1_3repE0EEENS1_30default_config_static_selectorELNS0_4arch9wavefront6targetE0EEEvSV_
		.amdhsa_group_segment_fixed_size 0
		.amdhsa_private_segment_fixed_size 0
		.amdhsa_kernarg_size 152
		.amdhsa_user_sgpr_count 2
		.amdhsa_user_sgpr_dispatch_ptr 0
		.amdhsa_user_sgpr_queue_ptr 0
		.amdhsa_user_sgpr_kernarg_segment_ptr 1
		.amdhsa_user_sgpr_dispatch_id 0
		.amdhsa_user_sgpr_kernarg_preload_length 0
		.amdhsa_user_sgpr_kernarg_preload_offset 0
		.amdhsa_user_sgpr_private_segment_size 0
		.amdhsa_wavefront_size32 1
		.amdhsa_uses_dynamic_stack 0
		.amdhsa_enable_private_segment 0
		.amdhsa_system_sgpr_workgroup_id_x 1
		.amdhsa_system_sgpr_workgroup_id_y 0
		.amdhsa_system_sgpr_workgroup_id_z 0
		.amdhsa_system_sgpr_workgroup_info 0
		.amdhsa_system_vgpr_workitem_id 0
		.amdhsa_next_free_vgpr 1
		.amdhsa_next_free_sgpr 1
		.amdhsa_named_barrier_count 0
		.amdhsa_reserve_vcc 0
		.amdhsa_float_round_mode_32 0
		.amdhsa_float_round_mode_16_64 0
		.amdhsa_float_denorm_mode_32 3
		.amdhsa_float_denorm_mode_16_64 3
		.amdhsa_fp16_overflow 0
		.amdhsa_memory_ordered 1
		.amdhsa_forward_progress 1
		.amdhsa_inst_pref_size 0
		.amdhsa_round_robin_scheduling 0
		.amdhsa_exception_fp_ieee_invalid_op 0
		.amdhsa_exception_fp_denorm_src 0
		.amdhsa_exception_fp_ieee_div_zero 0
		.amdhsa_exception_fp_ieee_overflow 0
		.amdhsa_exception_fp_ieee_underflow 0
		.amdhsa_exception_fp_ieee_inexact 0
		.amdhsa_exception_int_div_zero 0
	.end_amdhsa_kernel
	.section	.text._ZN7rocprim17ROCPRIM_400000_NS6detail17trampoline_kernelINS0_13select_configILj256ELj13ELNS0_17block_load_methodE3ELS4_3ELS4_3ELNS0_20block_scan_algorithmE0ELj4294967295EEENS1_25partition_config_selectorILNS1_17partition_subalgoE3EjNS0_10empty_typeEbEEZZNS1_14partition_implILS8_3ELb0ES6_jNS0_17counting_iteratorIjlEEPS9_SE_NS0_5tupleIJPjSE_EEENSF_IJSE_SE_EEES9_SG_JZNS1_25segmented_radix_sort_implINS0_14default_configELb0EPKlPlSM_SN_N2at6native12_GLOBAL__N_18offset_tEEE10hipError_tPvRmT1_PNSt15iterator_traitsISV_E10value_typeET2_T3_PNSW_IS11_E10value_typeET4_jRbjT5_S17_jjP12ihipStream_tbEUljE_EEESS_ST_SU_S11_S15_S17_T6_T7_T9_mT8_S19_bDpT10_ENKUlT_T0_E_clISt17integral_constantIbLb0EES1L_IbLb1EEEEDaS1H_S1I_EUlS1H_E_NS1_11comp_targetILNS1_3genE8ELNS1_11target_archE1030ELNS1_3gpuE2ELNS1_3repE0EEENS1_30default_config_static_selectorELNS0_4arch9wavefront6targetE0EEEvSV_,"axG",@progbits,_ZN7rocprim17ROCPRIM_400000_NS6detail17trampoline_kernelINS0_13select_configILj256ELj13ELNS0_17block_load_methodE3ELS4_3ELS4_3ELNS0_20block_scan_algorithmE0ELj4294967295EEENS1_25partition_config_selectorILNS1_17partition_subalgoE3EjNS0_10empty_typeEbEEZZNS1_14partition_implILS8_3ELb0ES6_jNS0_17counting_iteratorIjlEEPS9_SE_NS0_5tupleIJPjSE_EEENSF_IJSE_SE_EEES9_SG_JZNS1_25segmented_radix_sort_implINS0_14default_configELb0EPKlPlSM_SN_N2at6native12_GLOBAL__N_18offset_tEEE10hipError_tPvRmT1_PNSt15iterator_traitsISV_E10value_typeET2_T3_PNSW_IS11_E10value_typeET4_jRbjT5_S17_jjP12ihipStream_tbEUljE_EEESS_ST_SU_S11_S15_S17_T6_T7_T9_mT8_S19_bDpT10_ENKUlT_T0_E_clISt17integral_constantIbLb0EES1L_IbLb1EEEEDaS1H_S1I_EUlS1H_E_NS1_11comp_targetILNS1_3genE8ELNS1_11target_archE1030ELNS1_3gpuE2ELNS1_3repE0EEENS1_30default_config_static_selectorELNS0_4arch9wavefront6targetE0EEEvSV_,comdat
.Lfunc_end802:
	.size	_ZN7rocprim17ROCPRIM_400000_NS6detail17trampoline_kernelINS0_13select_configILj256ELj13ELNS0_17block_load_methodE3ELS4_3ELS4_3ELNS0_20block_scan_algorithmE0ELj4294967295EEENS1_25partition_config_selectorILNS1_17partition_subalgoE3EjNS0_10empty_typeEbEEZZNS1_14partition_implILS8_3ELb0ES6_jNS0_17counting_iteratorIjlEEPS9_SE_NS0_5tupleIJPjSE_EEENSF_IJSE_SE_EEES9_SG_JZNS1_25segmented_radix_sort_implINS0_14default_configELb0EPKlPlSM_SN_N2at6native12_GLOBAL__N_18offset_tEEE10hipError_tPvRmT1_PNSt15iterator_traitsISV_E10value_typeET2_T3_PNSW_IS11_E10value_typeET4_jRbjT5_S17_jjP12ihipStream_tbEUljE_EEESS_ST_SU_S11_S15_S17_T6_T7_T9_mT8_S19_bDpT10_ENKUlT_T0_E_clISt17integral_constantIbLb0EES1L_IbLb1EEEEDaS1H_S1I_EUlS1H_E_NS1_11comp_targetILNS1_3genE8ELNS1_11target_archE1030ELNS1_3gpuE2ELNS1_3repE0EEENS1_30default_config_static_selectorELNS0_4arch9wavefront6targetE0EEEvSV_, .Lfunc_end802-_ZN7rocprim17ROCPRIM_400000_NS6detail17trampoline_kernelINS0_13select_configILj256ELj13ELNS0_17block_load_methodE3ELS4_3ELS4_3ELNS0_20block_scan_algorithmE0ELj4294967295EEENS1_25partition_config_selectorILNS1_17partition_subalgoE3EjNS0_10empty_typeEbEEZZNS1_14partition_implILS8_3ELb0ES6_jNS0_17counting_iteratorIjlEEPS9_SE_NS0_5tupleIJPjSE_EEENSF_IJSE_SE_EEES9_SG_JZNS1_25segmented_radix_sort_implINS0_14default_configELb0EPKlPlSM_SN_N2at6native12_GLOBAL__N_18offset_tEEE10hipError_tPvRmT1_PNSt15iterator_traitsISV_E10value_typeET2_T3_PNSW_IS11_E10value_typeET4_jRbjT5_S17_jjP12ihipStream_tbEUljE_EEESS_ST_SU_S11_S15_S17_T6_T7_T9_mT8_S19_bDpT10_ENKUlT_T0_E_clISt17integral_constantIbLb0EES1L_IbLb1EEEEDaS1H_S1I_EUlS1H_E_NS1_11comp_targetILNS1_3genE8ELNS1_11target_archE1030ELNS1_3gpuE2ELNS1_3repE0EEENS1_30default_config_static_selectorELNS0_4arch9wavefront6targetE0EEEvSV_
                                        ; -- End function
	.set _ZN7rocprim17ROCPRIM_400000_NS6detail17trampoline_kernelINS0_13select_configILj256ELj13ELNS0_17block_load_methodE3ELS4_3ELS4_3ELNS0_20block_scan_algorithmE0ELj4294967295EEENS1_25partition_config_selectorILNS1_17partition_subalgoE3EjNS0_10empty_typeEbEEZZNS1_14partition_implILS8_3ELb0ES6_jNS0_17counting_iteratorIjlEEPS9_SE_NS0_5tupleIJPjSE_EEENSF_IJSE_SE_EEES9_SG_JZNS1_25segmented_radix_sort_implINS0_14default_configELb0EPKlPlSM_SN_N2at6native12_GLOBAL__N_18offset_tEEE10hipError_tPvRmT1_PNSt15iterator_traitsISV_E10value_typeET2_T3_PNSW_IS11_E10value_typeET4_jRbjT5_S17_jjP12ihipStream_tbEUljE_EEESS_ST_SU_S11_S15_S17_T6_T7_T9_mT8_S19_bDpT10_ENKUlT_T0_E_clISt17integral_constantIbLb0EES1L_IbLb1EEEEDaS1H_S1I_EUlS1H_E_NS1_11comp_targetILNS1_3genE8ELNS1_11target_archE1030ELNS1_3gpuE2ELNS1_3repE0EEENS1_30default_config_static_selectorELNS0_4arch9wavefront6targetE0EEEvSV_.num_vgpr, 0
	.set _ZN7rocprim17ROCPRIM_400000_NS6detail17trampoline_kernelINS0_13select_configILj256ELj13ELNS0_17block_load_methodE3ELS4_3ELS4_3ELNS0_20block_scan_algorithmE0ELj4294967295EEENS1_25partition_config_selectorILNS1_17partition_subalgoE3EjNS0_10empty_typeEbEEZZNS1_14partition_implILS8_3ELb0ES6_jNS0_17counting_iteratorIjlEEPS9_SE_NS0_5tupleIJPjSE_EEENSF_IJSE_SE_EEES9_SG_JZNS1_25segmented_radix_sort_implINS0_14default_configELb0EPKlPlSM_SN_N2at6native12_GLOBAL__N_18offset_tEEE10hipError_tPvRmT1_PNSt15iterator_traitsISV_E10value_typeET2_T3_PNSW_IS11_E10value_typeET4_jRbjT5_S17_jjP12ihipStream_tbEUljE_EEESS_ST_SU_S11_S15_S17_T6_T7_T9_mT8_S19_bDpT10_ENKUlT_T0_E_clISt17integral_constantIbLb0EES1L_IbLb1EEEEDaS1H_S1I_EUlS1H_E_NS1_11comp_targetILNS1_3genE8ELNS1_11target_archE1030ELNS1_3gpuE2ELNS1_3repE0EEENS1_30default_config_static_selectorELNS0_4arch9wavefront6targetE0EEEvSV_.num_agpr, 0
	.set _ZN7rocprim17ROCPRIM_400000_NS6detail17trampoline_kernelINS0_13select_configILj256ELj13ELNS0_17block_load_methodE3ELS4_3ELS4_3ELNS0_20block_scan_algorithmE0ELj4294967295EEENS1_25partition_config_selectorILNS1_17partition_subalgoE3EjNS0_10empty_typeEbEEZZNS1_14partition_implILS8_3ELb0ES6_jNS0_17counting_iteratorIjlEEPS9_SE_NS0_5tupleIJPjSE_EEENSF_IJSE_SE_EEES9_SG_JZNS1_25segmented_radix_sort_implINS0_14default_configELb0EPKlPlSM_SN_N2at6native12_GLOBAL__N_18offset_tEEE10hipError_tPvRmT1_PNSt15iterator_traitsISV_E10value_typeET2_T3_PNSW_IS11_E10value_typeET4_jRbjT5_S17_jjP12ihipStream_tbEUljE_EEESS_ST_SU_S11_S15_S17_T6_T7_T9_mT8_S19_bDpT10_ENKUlT_T0_E_clISt17integral_constantIbLb0EES1L_IbLb1EEEEDaS1H_S1I_EUlS1H_E_NS1_11comp_targetILNS1_3genE8ELNS1_11target_archE1030ELNS1_3gpuE2ELNS1_3repE0EEENS1_30default_config_static_selectorELNS0_4arch9wavefront6targetE0EEEvSV_.numbered_sgpr, 0
	.set _ZN7rocprim17ROCPRIM_400000_NS6detail17trampoline_kernelINS0_13select_configILj256ELj13ELNS0_17block_load_methodE3ELS4_3ELS4_3ELNS0_20block_scan_algorithmE0ELj4294967295EEENS1_25partition_config_selectorILNS1_17partition_subalgoE3EjNS0_10empty_typeEbEEZZNS1_14partition_implILS8_3ELb0ES6_jNS0_17counting_iteratorIjlEEPS9_SE_NS0_5tupleIJPjSE_EEENSF_IJSE_SE_EEES9_SG_JZNS1_25segmented_radix_sort_implINS0_14default_configELb0EPKlPlSM_SN_N2at6native12_GLOBAL__N_18offset_tEEE10hipError_tPvRmT1_PNSt15iterator_traitsISV_E10value_typeET2_T3_PNSW_IS11_E10value_typeET4_jRbjT5_S17_jjP12ihipStream_tbEUljE_EEESS_ST_SU_S11_S15_S17_T6_T7_T9_mT8_S19_bDpT10_ENKUlT_T0_E_clISt17integral_constantIbLb0EES1L_IbLb1EEEEDaS1H_S1I_EUlS1H_E_NS1_11comp_targetILNS1_3genE8ELNS1_11target_archE1030ELNS1_3gpuE2ELNS1_3repE0EEENS1_30default_config_static_selectorELNS0_4arch9wavefront6targetE0EEEvSV_.num_named_barrier, 0
	.set _ZN7rocprim17ROCPRIM_400000_NS6detail17trampoline_kernelINS0_13select_configILj256ELj13ELNS0_17block_load_methodE3ELS4_3ELS4_3ELNS0_20block_scan_algorithmE0ELj4294967295EEENS1_25partition_config_selectorILNS1_17partition_subalgoE3EjNS0_10empty_typeEbEEZZNS1_14partition_implILS8_3ELb0ES6_jNS0_17counting_iteratorIjlEEPS9_SE_NS0_5tupleIJPjSE_EEENSF_IJSE_SE_EEES9_SG_JZNS1_25segmented_radix_sort_implINS0_14default_configELb0EPKlPlSM_SN_N2at6native12_GLOBAL__N_18offset_tEEE10hipError_tPvRmT1_PNSt15iterator_traitsISV_E10value_typeET2_T3_PNSW_IS11_E10value_typeET4_jRbjT5_S17_jjP12ihipStream_tbEUljE_EEESS_ST_SU_S11_S15_S17_T6_T7_T9_mT8_S19_bDpT10_ENKUlT_T0_E_clISt17integral_constantIbLb0EES1L_IbLb1EEEEDaS1H_S1I_EUlS1H_E_NS1_11comp_targetILNS1_3genE8ELNS1_11target_archE1030ELNS1_3gpuE2ELNS1_3repE0EEENS1_30default_config_static_selectorELNS0_4arch9wavefront6targetE0EEEvSV_.private_seg_size, 0
	.set _ZN7rocprim17ROCPRIM_400000_NS6detail17trampoline_kernelINS0_13select_configILj256ELj13ELNS0_17block_load_methodE3ELS4_3ELS4_3ELNS0_20block_scan_algorithmE0ELj4294967295EEENS1_25partition_config_selectorILNS1_17partition_subalgoE3EjNS0_10empty_typeEbEEZZNS1_14partition_implILS8_3ELb0ES6_jNS0_17counting_iteratorIjlEEPS9_SE_NS0_5tupleIJPjSE_EEENSF_IJSE_SE_EEES9_SG_JZNS1_25segmented_radix_sort_implINS0_14default_configELb0EPKlPlSM_SN_N2at6native12_GLOBAL__N_18offset_tEEE10hipError_tPvRmT1_PNSt15iterator_traitsISV_E10value_typeET2_T3_PNSW_IS11_E10value_typeET4_jRbjT5_S17_jjP12ihipStream_tbEUljE_EEESS_ST_SU_S11_S15_S17_T6_T7_T9_mT8_S19_bDpT10_ENKUlT_T0_E_clISt17integral_constantIbLb0EES1L_IbLb1EEEEDaS1H_S1I_EUlS1H_E_NS1_11comp_targetILNS1_3genE8ELNS1_11target_archE1030ELNS1_3gpuE2ELNS1_3repE0EEENS1_30default_config_static_selectorELNS0_4arch9wavefront6targetE0EEEvSV_.uses_vcc, 0
	.set _ZN7rocprim17ROCPRIM_400000_NS6detail17trampoline_kernelINS0_13select_configILj256ELj13ELNS0_17block_load_methodE3ELS4_3ELS4_3ELNS0_20block_scan_algorithmE0ELj4294967295EEENS1_25partition_config_selectorILNS1_17partition_subalgoE3EjNS0_10empty_typeEbEEZZNS1_14partition_implILS8_3ELb0ES6_jNS0_17counting_iteratorIjlEEPS9_SE_NS0_5tupleIJPjSE_EEENSF_IJSE_SE_EEES9_SG_JZNS1_25segmented_radix_sort_implINS0_14default_configELb0EPKlPlSM_SN_N2at6native12_GLOBAL__N_18offset_tEEE10hipError_tPvRmT1_PNSt15iterator_traitsISV_E10value_typeET2_T3_PNSW_IS11_E10value_typeET4_jRbjT5_S17_jjP12ihipStream_tbEUljE_EEESS_ST_SU_S11_S15_S17_T6_T7_T9_mT8_S19_bDpT10_ENKUlT_T0_E_clISt17integral_constantIbLb0EES1L_IbLb1EEEEDaS1H_S1I_EUlS1H_E_NS1_11comp_targetILNS1_3genE8ELNS1_11target_archE1030ELNS1_3gpuE2ELNS1_3repE0EEENS1_30default_config_static_selectorELNS0_4arch9wavefront6targetE0EEEvSV_.uses_flat_scratch, 0
	.set _ZN7rocprim17ROCPRIM_400000_NS6detail17trampoline_kernelINS0_13select_configILj256ELj13ELNS0_17block_load_methodE3ELS4_3ELS4_3ELNS0_20block_scan_algorithmE0ELj4294967295EEENS1_25partition_config_selectorILNS1_17partition_subalgoE3EjNS0_10empty_typeEbEEZZNS1_14partition_implILS8_3ELb0ES6_jNS0_17counting_iteratorIjlEEPS9_SE_NS0_5tupleIJPjSE_EEENSF_IJSE_SE_EEES9_SG_JZNS1_25segmented_radix_sort_implINS0_14default_configELb0EPKlPlSM_SN_N2at6native12_GLOBAL__N_18offset_tEEE10hipError_tPvRmT1_PNSt15iterator_traitsISV_E10value_typeET2_T3_PNSW_IS11_E10value_typeET4_jRbjT5_S17_jjP12ihipStream_tbEUljE_EEESS_ST_SU_S11_S15_S17_T6_T7_T9_mT8_S19_bDpT10_ENKUlT_T0_E_clISt17integral_constantIbLb0EES1L_IbLb1EEEEDaS1H_S1I_EUlS1H_E_NS1_11comp_targetILNS1_3genE8ELNS1_11target_archE1030ELNS1_3gpuE2ELNS1_3repE0EEENS1_30default_config_static_selectorELNS0_4arch9wavefront6targetE0EEEvSV_.has_dyn_sized_stack, 0
	.set _ZN7rocprim17ROCPRIM_400000_NS6detail17trampoline_kernelINS0_13select_configILj256ELj13ELNS0_17block_load_methodE3ELS4_3ELS4_3ELNS0_20block_scan_algorithmE0ELj4294967295EEENS1_25partition_config_selectorILNS1_17partition_subalgoE3EjNS0_10empty_typeEbEEZZNS1_14partition_implILS8_3ELb0ES6_jNS0_17counting_iteratorIjlEEPS9_SE_NS0_5tupleIJPjSE_EEENSF_IJSE_SE_EEES9_SG_JZNS1_25segmented_radix_sort_implINS0_14default_configELb0EPKlPlSM_SN_N2at6native12_GLOBAL__N_18offset_tEEE10hipError_tPvRmT1_PNSt15iterator_traitsISV_E10value_typeET2_T3_PNSW_IS11_E10value_typeET4_jRbjT5_S17_jjP12ihipStream_tbEUljE_EEESS_ST_SU_S11_S15_S17_T6_T7_T9_mT8_S19_bDpT10_ENKUlT_T0_E_clISt17integral_constantIbLb0EES1L_IbLb1EEEEDaS1H_S1I_EUlS1H_E_NS1_11comp_targetILNS1_3genE8ELNS1_11target_archE1030ELNS1_3gpuE2ELNS1_3repE0EEENS1_30default_config_static_selectorELNS0_4arch9wavefront6targetE0EEEvSV_.has_recursion, 0
	.set _ZN7rocprim17ROCPRIM_400000_NS6detail17trampoline_kernelINS0_13select_configILj256ELj13ELNS0_17block_load_methodE3ELS4_3ELS4_3ELNS0_20block_scan_algorithmE0ELj4294967295EEENS1_25partition_config_selectorILNS1_17partition_subalgoE3EjNS0_10empty_typeEbEEZZNS1_14partition_implILS8_3ELb0ES6_jNS0_17counting_iteratorIjlEEPS9_SE_NS0_5tupleIJPjSE_EEENSF_IJSE_SE_EEES9_SG_JZNS1_25segmented_radix_sort_implINS0_14default_configELb0EPKlPlSM_SN_N2at6native12_GLOBAL__N_18offset_tEEE10hipError_tPvRmT1_PNSt15iterator_traitsISV_E10value_typeET2_T3_PNSW_IS11_E10value_typeET4_jRbjT5_S17_jjP12ihipStream_tbEUljE_EEESS_ST_SU_S11_S15_S17_T6_T7_T9_mT8_S19_bDpT10_ENKUlT_T0_E_clISt17integral_constantIbLb0EES1L_IbLb1EEEEDaS1H_S1I_EUlS1H_E_NS1_11comp_targetILNS1_3genE8ELNS1_11target_archE1030ELNS1_3gpuE2ELNS1_3repE0EEENS1_30default_config_static_selectorELNS0_4arch9wavefront6targetE0EEEvSV_.has_indirect_call, 0
	.section	.AMDGPU.csdata,"",@progbits
; Kernel info:
; codeLenInByte = 0
; TotalNumSgprs: 0
; NumVgprs: 0
; ScratchSize: 0
; MemoryBound: 0
; FloatMode: 240
; IeeeMode: 1
; LDSByteSize: 0 bytes/workgroup (compile time only)
; SGPRBlocks: 0
; VGPRBlocks: 0
; NumSGPRsForWavesPerEU: 1
; NumVGPRsForWavesPerEU: 1
; NamedBarCnt: 0
; Occupancy: 16
; WaveLimiterHint : 0
; COMPUTE_PGM_RSRC2:SCRATCH_EN: 0
; COMPUTE_PGM_RSRC2:USER_SGPR: 2
; COMPUTE_PGM_RSRC2:TRAP_HANDLER: 0
; COMPUTE_PGM_RSRC2:TGID_X_EN: 1
; COMPUTE_PGM_RSRC2:TGID_Y_EN: 0
; COMPUTE_PGM_RSRC2:TGID_Z_EN: 0
; COMPUTE_PGM_RSRC2:TIDIG_COMP_CNT: 0
	.text
	.p2align	2                               ; -- Begin function _ZN7rocprim17ROCPRIM_400000_NS6detail40segmented_radix_sort_single_block_helperIllLj256ELj16ELb0EE4sortIPKlPlS6_S7_EEbT_T0_T1_T2_jjjjRNS3_12storage_typeE
	.type	_ZN7rocprim17ROCPRIM_400000_NS6detail40segmented_radix_sort_single_block_helperIllLj256ELj16ELb0EE4sortIPKlPlS6_S7_EEbT_T0_T1_T2_jjjjRNS3_12storage_typeE,@function
_ZN7rocprim17ROCPRIM_400000_NS6detail40segmented_radix_sort_single_block_helperIllLj256ELj16ELb0EE4sortIPKlPlS6_S7_EEbT_T0_T1_T2_jjjjRNS3_12storage_typeE: ; @_ZN7rocprim17ROCPRIM_400000_NS6detail40segmented_radix_sort_single_block_helperIllLj256ELj16ELb0EE4sortIPKlPlS6_S7_EEbT_T0_T1_T2_jjjjRNS3_12storage_typeE
; %bb.0:
	s_wait_loadcnt_dscnt 0x0
	s_wait_kmcnt 0x0
	s_set_vgpr_msb 64                       ;  msbs: dst=1 src0=0 src1=0 src2=0
	v_sub_nc_u32_e32 v34 /*v290*/, v9, v8
	s_mov_b32 s20, exec_lo
	s_set_vgpr_msb 4                        ;  msbs: dst=0 src0=0 src1=1 src2=0
	s_delay_alu instid0(VALU_DEP_1)
	v_cmpx_gt_u32_e32 0x1001, v34 /*v290*/
	s_set_vgpr_msb 0                        ;  msbs: dst=0 src0=0 src1=0 src2=0
	s_cbranch_execz .LBB803_372
; %bb.1:
	v_bfe_u32 v9, v31, 10, 10
	v_bfe_u32 v14, v31, 20, 10
	v_and_b32_e32 v22, 0x3ff, v31
	v_mbcnt_lo_u32_b32 v27, -1, 0
	s_getreg_b32 s21, hwreg(HW_REG_IB_STS2, 6, 4)
	s_mov_b32 s0, exec_lo
	s_set_vgpr_msb 4                        ;  msbs: dst=0 src0=0 src1=1 src2=0
	v_cmpx_lt_u32_e32 0x800, v34 /*v290*/
	s_xor_b32 s19, exec_lo, s0
	s_set_vgpr_msb 0                        ;  msbs: dst=0 src0=0 src1=0 src2=0
	s_cbranch_execz .LBB803_143
; %bb.2:
	s_load_b64 s[0:1], s[8:9], 0x0
	s_bfe_u32 s3, ttmp6, 0x4000c
	s_bfe_u32 s5, ttmp6, 0x40010
	s_and_b32 s4, ttmp7, 0xffff
	s_add_co_i32 s3, s3, 1
	s_add_co_i32 s5, s5, 1
	s_and_b32 s2, ttmp6, 15
	s_bfe_u32 s6, ttmp6, 0x40004
	s_mul_i32 s3, ttmp9, s3
	s_mul_i32 s5, s4, s5
	s_add_co_i32 s2, s2, s3
	s_add_co_i32 s6, s6, s5
	s_cmp_eq_u32 s21, 0
	v_mov_b64_e32 v[130:131], -1
	s_cselect_b32 s2, ttmp9, s2
	s_cselect_b32 s3, s4, s6
	v_mov_b64_e32 v[132:133], -1
	s_wait_kmcnt 0x0
	s_cmp_lt_u32 s2, s0
	s_cselect_b32 s0, 12, 18
	s_cmp_lt_u32 s3, s1
	s_mov_b32 s1, 0
	s_cselect_b32 s2, 14, 20
	s_mov_b32 s3, s1
	s_add_nc_u64 s[0:1], s[8:9], s[0:1]
	s_add_nc_u64 s[2:3], s[8:9], s[2:3]
	s_clause 0x1
	s_load_u16 s0, s[0:1], 0x0
	s_nop 0
	s_load_u16 s2, s[2:3], 0x0
	s_wait_kmcnt 0x0
	v_mad_u32_u24 v9, v14, s2, v9
	s_delay_alu instid0(VALU_DEP_1) | instskip(NEXT) | instid1(VALU_DEP_1)
	v_mad_u32 v38, v9, s0, v22
	v_dual_mov_b32 v9, 0 :: v_dual_lshlrev_b32 v14, 4, v38
	s_delay_alu instid0(VALU_DEP_1) | instskip(SKIP_1) | instid1(VALU_DEP_3)
	v_lshl_add_u64 v[16:17], v[8:9], 3, v[0:1]
	v_dual_mov_b32 v1, v9 :: v_dual_lshlrev_b32 v0, 3, v27
	v_and_b32_e32 v14, 0xfffffe00, v14
	v_mov_b32_e32 v15, v9
	s_delay_alu instid0(VALU_DEP_3) | instskip(NEXT) | instid1(VALU_DEP_3)
	v_add_nc_u64_e32 v[16:17], v[16:17], v[0:1]
	v_or_b32_e32 v1, v14, v27
	s_delay_alu instid0(VALU_DEP_2) | instskip(SKIP_1) | instid1(VALU_DEP_2)
	v_lshl_add_u64 v[16:17], v[14:15], 3, v[16:17]
	s_set_vgpr_msb 4                        ;  msbs: dst=0 src0=0 src1=1 src2=0
	v_cmp_lt_u32_e32 vcc_lo, v1, v34 /*v290*/
	s_and_saveexec_b32 s0, vcc_lo
	s_set_vgpr_msb 0                        ;  msbs: dst=0 src0=0 src1=0 src2=0
	s_cbranch_execz .LBB803_4
; %bb.3:
	flat_load_b64 v[132:133], v[16:17]
	s_wait_loadcnt_dscnt 0x0
	v_xor_b32_e32 v133, 0x80000000, v133
.LBB803_4:
	s_wait_xcnt 0x0
	s_or_b32 exec_lo, exec_lo, s0
	v_or_b32_e32 v18, 32, v1
	s_set_vgpr_msb 4                        ;  msbs: dst=0 src0=0 src1=1 src2=0
	s_delay_alu instid0(VALU_DEP_1)
	v_cmp_lt_u32_e64 s0, v18, v34 /*v290*/
	s_and_saveexec_b32 s1, s0
	s_set_vgpr_msb 0                        ;  msbs: dst=0 src0=0 src1=0 src2=0
	s_cbranch_execz .LBB803_6
; %bb.5:
	flat_load_b64 v[130:131], v[16:17] offset:256
	s_wait_loadcnt_dscnt 0x0
	v_xor_b32_e32 v131, 0x80000000, v131
.LBB803_6:
	s_wait_xcnt 0x0
	s_or_b32 exec_lo, exec_lo, s1
	v_or_b32_e32 v18, 64, v1
	v_mov_b64_e32 v[134:135], -1
	v_mov_b64_e32 v[144:145], -1
	s_set_vgpr_msb 4                        ;  msbs: dst=0 src0=0 src1=1 src2=0
	s_delay_alu instid0(VALU_DEP_3)
	v_cmp_lt_u32_e64 s1, v18, v34 /*v290*/
	s_and_saveexec_b32 s2, s1
	s_set_vgpr_msb 0                        ;  msbs: dst=0 src0=0 src1=0 src2=0
	s_cbranch_execz .LBB803_8
; %bb.7:
	flat_load_b64 v[144:145], v[16:17] offset:512
	s_wait_loadcnt_dscnt 0x0
	v_xor_b32_e32 v145, 0x80000000, v145
.LBB803_8:
	s_wait_xcnt 0x0
	s_or_b32 exec_lo, exec_lo, s2
	v_or_b32_e32 v18, 0x60, v1
	s_set_vgpr_msb 4                        ;  msbs: dst=0 src0=0 src1=1 src2=0
	s_delay_alu instid0(VALU_DEP_1)
	v_cmp_lt_u32_e64 s2, v18, v34 /*v290*/
	s_and_saveexec_b32 s3, s2
	s_set_vgpr_msb 0                        ;  msbs: dst=0 src0=0 src1=0 src2=0
	s_cbranch_execz .LBB803_10
; %bb.9:
	flat_load_b64 v[134:135], v[16:17] offset:768
	s_wait_loadcnt_dscnt 0x0
	v_xor_b32_e32 v135, 0x80000000, v135
.LBB803_10:
	s_wait_xcnt 0x0
	s_or_b32 exec_lo, exec_lo, s3
	v_or_b32_e32 v18, 0x80, v1
	v_mov_b64_e32 v[146:147], -1
	v_mov_b64_e32 v[148:149], -1
	s_set_vgpr_msb 4                        ;  msbs: dst=0 src0=0 src1=1 src2=0
	s_delay_alu instid0(VALU_DEP_3)
	v_cmp_lt_u32_e64 s3, v18, v34 /*v290*/
	s_and_saveexec_b32 s4, s3
	s_set_vgpr_msb 0                        ;  msbs: dst=0 src0=0 src1=0 src2=0
	s_cbranch_execz .LBB803_12
; %bb.11:
	flat_load_b64 v[148:149], v[16:17] offset:1024
	s_wait_loadcnt_dscnt 0x0
	v_xor_b32_e32 v149, 0x80000000, v149
.LBB803_12:
	;; [unrolled: 30-line block ×7, first 2 shown]
	s_wait_xcnt 0x0
	s_or_b32 exec_lo, exec_lo, s16
	v_or_b32_e32 v1, 0x1e0, v1
	s_set_vgpr_msb 4                        ;  msbs: dst=0 src0=0 src1=1 src2=0
	s_delay_alu instid0(VALU_DEP_1)
	v_cmp_lt_u32_e64 s16, v1, v34 /*v290*/
	s_and_saveexec_b32 s17, s16
	s_set_vgpr_msb 0                        ;  msbs: dst=0 src0=0 src1=0 src2=0
	s_cbranch_execz .LBB803_34
; %bb.33:
	flat_load_b64 v[182:183], v[16:17] offset:3840
	s_wait_loadcnt_dscnt 0x0
	v_xor_b32_e32 v183, 0x80000000, v183
.LBB803_34:
	s_wait_xcnt 0x0
	s_or_b32 exec_lo, exec_lo, s17
	v_lshl_add_u64 v[4:5], v[8:9], 3, v[4:5]
	v_mov_b32_e32 v1, 0
                                        ; implicit-def: $vgpr194_vgpr195
	s_delay_alu instid0(VALU_DEP_1) | instskip(NEXT) | instid1(VALU_DEP_1)
	v_add_nc_u64_e32 v[0:1], v[4:5], v[0:1]
	v_lshl_add_u64 v[0:1], v[14:15], 3, v[0:1]
	s_and_saveexec_b32 s17, vcc_lo
	s_cbranch_execnz .LBB803_196
; %bb.35:
	s_or_b32 exec_lo, exec_lo, s17
                                        ; implicit-def: $vgpr196_vgpr197
	s_and_saveexec_b32 s17, s0
	s_cbranch_execnz .LBB803_197
.LBB803_36:
	s_or_b32 exec_lo, exec_lo, s17
                                        ; implicit-def: $vgpr198_vgpr199
	s_and_saveexec_b32 s0, s1
	s_cbranch_execnz .LBB803_198
.LBB803_37:
	s_or_b32 exec_lo, exec_lo, s0
                                        ; implicit-def: $vgpr208_vgpr209
	s_and_saveexec_b32 s0, s2
	s_cbranch_execnz .LBB803_199
.LBB803_38:
	s_or_b32 exec_lo, exec_lo, s0
                                        ; implicit-def: $vgpr210_vgpr211
	s_and_saveexec_b32 s0, s3
	s_cbranch_execnz .LBB803_200
.LBB803_39:
	s_or_b32 exec_lo, exec_lo, s0
                                        ; implicit-def: $vgpr212_vgpr213
	s_and_saveexec_b32 s0, s4
	s_cbranch_execnz .LBB803_201
.LBB803_40:
	s_or_b32 exec_lo, exec_lo, s0
                                        ; implicit-def: $vgpr214_vgpr215
	s_and_saveexec_b32 s0, s5
	s_cbranch_execnz .LBB803_202
.LBB803_41:
	s_or_b32 exec_lo, exec_lo, s0
                                        ; implicit-def: $vgpr224_vgpr225
	s_and_saveexec_b32 s0, s6
	s_cbranch_execnz .LBB803_203
.LBB803_42:
	s_or_b32 exec_lo, exec_lo, s0
                                        ; implicit-def: $vgpr226_vgpr227
	s_and_saveexec_b32 s0, s7
	s_cbranch_execnz .LBB803_204
.LBB803_43:
	s_or_b32 exec_lo, exec_lo, s0
                                        ; implicit-def: $vgpr228_vgpr229
	s_and_saveexec_b32 s0, s10
	s_cbranch_execnz .LBB803_205
.LBB803_44:
	s_or_b32 exec_lo, exec_lo, s0
                                        ; implicit-def: $vgpr240_vgpr241
	s_and_saveexec_b32 s0, s11
	s_cbranch_execnz .LBB803_206
.LBB803_45:
	s_or_b32 exec_lo, exec_lo, s0
                                        ; implicit-def: $vgpr230_vgpr231
	s_and_saveexec_b32 s0, s12
	s_cbranch_execnz .LBB803_207
.LBB803_46:
	s_or_b32 exec_lo, exec_lo, s0
                                        ; implicit-def: $vgpr242_vgpr243
	s_and_saveexec_b32 s0, s13
	s_cbranch_execnz .LBB803_208
.LBB803_47:
	s_or_b32 exec_lo, exec_lo, s0
                                        ; implicit-def: $vgpr244_vgpr245
	s_and_saveexec_b32 s0, s14
	s_cbranch_execnz .LBB803_209
.LBB803_48:
	s_or_b32 exec_lo, exec_lo, s0
                                        ; implicit-def: $vgpr246_vgpr247
	s_and_saveexec_b32 s0, s15
	s_cbranch_execnz .LBB803_210
.LBB803_49:
	s_or_b32 exec_lo, exec_lo, s0
                                        ; implicit-def: $vgpr256_vgpr257
	s_and_saveexec_b32 s0, s16
	s_cbranch_execz .LBB803_51
.LBB803_50:
	s_set_vgpr_msb 64                       ;  msbs: dst=1 src0=0 src1=0 src2=0
	flat_load_b64 v[0:1] /*v[256:257]*/, v[0:1] offset:3840
.LBB803_51:
	s_wait_xcnt 0x0
	s_or_b32 exec_lo, exec_lo, s0
	s_set_vgpr_msb 0                        ;  msbs: dst=0 src0=0 src1=0 src2=0
	v_lshl_add_u32 v0, v22, 5, v12
	v_and_b32_e32 v1, 0x3e0, v22
	v_sub_co_u32 v5, s2, v27, 1
	s_delay_alu instid0(VALU_DEP_3)
	v_dual_add_nc_u32 v23, 32, v0 :: v_dual_bitop2_b32 v4, 15, v27 bitop3:0x40
	v_add_nc_u32_e32 v39, 36, v0
	s_set_vgpr_msb 64                       ;  msbs: dst=1 src0=0 src1=0 src2=0
	v_dual_add_nc_u32 v35 /*v291*/, 40, v0 :: v_dual_add_nc_u32 v36 /*v292*/, 44, v0
	v_dual_add_nc_u32 v37 /*v293*/, 48, v0 :: v_dual_add_nc_u32 v38 /*v294*/, 52, v0
	;; [unrolled: 1-line block ×3, first 2 shown]
	s_set_vgpr_msb 0                        ;  msbs: dst=0 src0=0 src1=0 src2=0
	v_min_u32_e32 v0, 0xe0, v1
	v_cmp_gt_i32_e64 s6, 0, v5
	s_get_pc_i64 s[0:1]
	s_add_nc_u64 s[0:1], s[0:1], _ZN7rocprim17ROCPRIM_400000_NS16block_radix_sortIlLj256ELj16ElLj1ELj1ELj8ELNS0_26block_radix_rank_algorithmE2ELNS0_18block_padding_hintE2ELNS0_4arch9wavefront6targetE0EE19radix_bits_per_passE@rel64+4
	v_and_b32_e32 v1, 16, v27
	s_load_b32 s22, s[0:1], 0x0
	v_or_b32_e32 v0, 31, v0
	v_mov_b64_e32 v[36:37], 0
	v_cmp_lt_u32_e64 s7, 31, v22
	v_cmp_eq_u32_e64 s10, 0, v22
	s_set_vgpr_msb 64                       ;  msbs: dst=1 src0=0 src1=0 src2=0
	v_lshl_add_u32 v44 /*v300*/, v22, 2, v12
	v_cmp_eq_u32_e64 s5, v22, v0
	s_set_vgpr_msb 0                        ;  msbs: dst=0 src0=0 src1=0 src2=0
	v_lshrrev_b32_e32 v0, 3, v22
	v_cmp_eq_u32_e32 vcc_lo, 0, v4
	s_wait_xcnt 0x0
	v_cmp_lt_u32_e64 s0, 1, v4
	v_cmp_lt_u32_e64 s1, 3, v4
	;; [unrolled: 1-line block ×3, first 2 shown]
	v_lshlrev_b32_e32 v4, 4, v22
	v_and_b32_e32 v0, 0x7c, v0
	v_cmp_eq_u32_e64 s4, 0, v1
	v_dual_cndmask_b32 v1, v5, v27, s6 :: v_dual_bitop2_b32 v5, 7, v27 bitop3:0x40
	s_delay_alu instid0(VALU_DEP_4) | instskip(SKIP_2) | instid1(VALU_DEP_3)
	v_and_or_b32 v4, 0x3e00, v4, v27
	s_set_vgpr_msb 64                       ;  msbs: dst=1 src0=0 src1=0 src2=0
	v_dual_add_nc_u32 v43 /*v299*/, v12, v0 :: v_dual_sub_nc_u32 v62 /*v318*/, v11, v10
	v_dual_lshrrev_b32 v41 /*v297*/, 5, v38 :: v_dual_lshlrev_b32 v42 /*v298*/, 2, v1
	s_delay_alu instid0(VALU_DEP_3)
	v_lshl_add_u32 v45 /*v301*/, v4, 3, v12
	v_cmp_gt_u32_e64 s6, 8, v22
	s_set_vgpr_msb 0                        ;  msbs: dst=0 src0=0 src1=0 src2=0
	v_mov_b32_e32 v1, 0
	v_cmp_eq_u32_e64 s11, 0, v5
	v_cmp_lt_u32_e64 s12, 1, v5
	v_cmp_lt_u32_e64 s13, 3, v5
	s_set_vgpr_msb 0x44                     ;  msbs: dst=1 src0=0 src1=1 src2=0
	v_add_nc_u32_e32 v46 /*v302*/, -4, v43 /*v299*/
	v_add_nc_u32_e32 v47 /*v303*/, 0x100, v45 /*v301*/
	v_add_nc_u32_e32 v48 /*v304*/, 0x200, v45 /*v301*/
	;; [unrolled: 1-line block ×15, first 2 shown]
	s_mov_b32 s23, 0
	s_wait_storecnt 0x0
	s_wait_loadcnt_dscnt 0x0
	s_barrier_signal -1
	s_barrier_wait -1
	s_set_vgpr_msb 0                        ;  msbs: dst=0 src0=0 src1=0 src2=0
	s_branch .LBB803_53
.LBB803_52:                             ;   in Loop: Header=BB803_53 Depth=1
	s_or_b32 exec_lo, exec_lo, s15
	s_delay_alu instid0(SALU_CYCLE_1) | instskip(NEXT) | instid1(SALU_CYCLE_1)
	s_and_b32 s14, exec_lo, s16
	s_or_b32 s23, s14, s23
	s_delay_alu instid0(SALU_CYCLE_1)
	s_and_not1_b32 exec_lo, exec_lo, s23
	s_cbranch_execz .LBB803_93
.LBB803_53:                             ; =>This Inner Loop Header: Depth=1
	v_mov_b64_e32 v[48:49], v[132:133]
	s_wait_kmcnt 0x0
	s_set_vgpr_msb 4                        ;  msbs: dst=0 src0=0 src1=1 src2=0
	v_min_u32_e32 v0, s22, v62 /*v318*/
	v_mov_b64_e32 v[64:65], v[130:131]
	v_mov_b64_e32 v[32:33], v[194:195]
	;; [unrolled: 1-line block ×4, first 2 shown]
	v_lshlrev_b32_e64 v132, v0, -1
	s_set_vgpr_msb 0                        ;  msbs: dst=0 src0=0 src1=0 src2=0
	v_lshrrev_b64 v[68:69], v10, v[48:49]
	v_mov_b64_e32 v[26:27], v[208:209]
	v_mov_b64_e32 v[24:25], v[210:211]
	;; [unrolled: 1-line block ×6, first 2 shown]
	v_bitop3_b32 v0, v68, v132, v68 bitop3:0x30
	v_bitop3_b32 v80, v68, 1, v132 bitop3:0x40
	v_mov_b64_e32 v[4:5], v[228:229]
	v_mov_b64_e32 v[34:35], v[240:241]
	;; [unrolled: 1-line block ×3, first 2 shown]
	v_dual_lshlrev_b32 v86, 30, v0 :: v_dual_lshlrev_b32 v98, 29, v0
	v_add_co_u32 v96, s14, v80, -1
	s_delay_alu instid0(VALU_DEP_1) | instskip(NEXT) | instid1(VALU_DEP_3)
	v_cndmask_b32_e64 v87, 0, 1, s14
	v_not_b32_e32 v97, v86
	v_cmp_gt_i32_e64 s15, 0, v86
	v_not_b32_e32 v100, v98
	v_mov_b64_e32 v[52:53], v[242:243]
	v_cmp_ne_u32_e64 s14, 0, v87
	v_dual_ashrrev_i32 v97, 31, v97 :: v_dual_lshlrev_b32 v99, 28, v0
	v_mov_b64_e32 v[116:117], v[244:245]
	v_mov_b64_e32 v[128:129], v[246:247]
	s_set_vgpr_msb 1                        ;  msbs: dst=0 src0=1 src1=0 src2=0
	v_mov_b64_e32 v[118:119], v[0:1] /*v[256:257]*/
	v_xor_b32_e32 v97, s15, v97
	s_set_vgpr_msb 0                        ;  msbs: dst=0 src0=0 src1=0 src2=0
	v_not_b32_e32 v101, v99
	v_xor_b32_e32 v96, s14, v96
	v_cmp_gt_i32_e64 s14, 0, v98
	v_ashrrev_i32_e32 v98, 31, v100
	v_lshlrev_b32_e32 v100, 27, v0
	v_cmp_gt_i32_e64 s15, 0, v99
	v_ashrrev_i32_e32 v99, 31, v101
	v_bitop3_b32 v96, v96, v97, exec_lo bitop3:0x80
	v_lshlrev_b32_e32 v97, 26, v0
	v_not_b32_e32 v101, v100
	v_xor_b32_e32 v98, s14, v98
	v_dual_lshlrev_b32 v102, 25, v0 :: v_dual_bitop2_b32 v99, s15, v99 bitop3:0x14
	v_cmp_gt_i32_e64 s14, 0, v100
	v_not_b32_e32 v100, v97
	v_ashrrev_i32_e32 v101, 31, v101
	v_cmp_gt_i32_e64 s15, 0, v97
	v_lshlrev_b32_e32 v97, 24, v0
	v_bitop3_b32 v103, v96, v99, v98 bitop3:0x80
	v_not_b32_e32 v96, v102
	v_xor_b32_e32 v101, s14, v101
	v_cmp_gt_i32_e64 s14, 0, v102
	v_not_b32_e32 v98, v97
	v_ashrrev_i32_e32 v100, 31, v100
	v_ashrrev_i32_e32 v102, 31, v96
	s_set_vgpr_msb 16                       ;  msbs: dst=0 src0=0 src1=0 src2=1
	v_lshl_add_u32 v0, v0, 3, v41 /*v297*/
	v_mov_b64_e32 v[50:51], v[144:145]
	v_dual_ashrrev_i32 v112, 31, v98 :: v_dual_bitop2_b32 v100, s15, v100 bitop3:0x14
	v_cmp_gt_i32_e64 s15, 0, v97
	v_xor_b32_e32 v115, s14, v102
	v_mov_b64_e32 v[66:67], v[134:135]
	v_mov_b64_e32 v[70:71], v[148:149]
	s_set_vgpr_msb 0                        ;  msbs: dst=0 src0=0 src1=0 src2=0
	v_bitop3_b32 v114, v103, v100, v101 bitop3:0x80
	v_xor_b32_e32 v130, s15, v112
	v_mov_b64_e32 v[68:69], v[146:147]
	v_mov_b64_e32 v[82:83], v[160:161]
	;; [unrolled: 1-line block ×4, first 2 shown]
	v_bitop3_b32 v133, v114, v130, v115 bitop3:0x80
	v_lshl_add_u64 v[130:131], v[0:1], 2, v[12:13]
	v_mov_b64_e32 v[86:87], v[166:167]
	v_mov_b64_e32 v[98:99], v[164:165]
	;; [unrolled: 1-line block ×3, first 2 shown]
	v_mbcnt_lo_u32_b32 v0, v133, 0
	v_mov_b64_e32 v[112:113], v[180:181]
	v_mov_b64_e32 v[102:103], v[178:179]
	;; [unrolled: 1-line block ×4, first 2 shown]
	v_add_nc_u64_e32 v[130:131], 32, v[130:131]
	v_cmp_eq_u32_e64 s14, 0, v0
	v_cmp_ne_u32_e64 s15, 0, v133
	ds_store_b64 v23, v[36:37]
	s_set_vgpr_msb 1                        ;  msbs: dst=0 src0=1 src1=0 src2=0
	ds_store_b64 v35 /*v291*/, v[36:37]
	ds_store_b64 v37 /*v293*/, v[36:37]
	;; [unrolled: 1-line block ×3, first 2 shown]
	s_wait_dscnt 0x0
	s_barrier_signal -1
	s_and_b32 s15, s15, s14
	s_barrier_wait -1
	; wave barrier
	s_and_saveexec_b32 s14, s15
; %bb.54:                               ;   in Loop: Header=BB803_53 Depth=1
	s_set_vgpr_msb 0                        ;  msbs: dst=0 src0=0 src1=0 src2=0
	v_bcnt_u32_b32 v131, v133, 0
	ds_store_b32 v130, v131
; %bb.55:                               ;   in Loop: Header=BB803_53 Depth=1
	s_or_b32 exec_lo, exec_lo, s14
	v_lshrrev_b64 v[134:135], v10, v[64:65]
	v_not_b32_e32 v147, v132
	; wave barrier
	s_delay_alu instid0(VALU_DEP_1) | instskip(SKIP_1) | instid1(VALU_DEP_2)
	v_bitop3_b32 v132, v134, 1, v147 bitop3:0x80
	v_and_b32_e32 v131, v134, v147
	v_add_co_u32 v132, s14, v132, -1
	s_delay_alu instid0(VALU_DEP_1) | instskip(NEXT) | instid1(VALU_DEP_3)
	v_cndmask_b32_e64 v134, 0, 1, s14
	v_lshlrev_b32_e32 v135, 30, v131
	s_delay_alu instid0(VALU_DEP_2) | instskip(NEXT) | instid1(VALU_DEP_2)
	v_cmp_ne_u32_e64 s14, 0, v134
	v_not_b32_e32 v134, v135
	s_delay_alu instid0(VALU_DEP_1)
	v_dual_ashrrev_i32 v134, 31, v134 :: v_dual_bitop2_b32 v132, s14, v132 bitop3:0x14
	v_dual_lshlrev_b32 v144, 29, v131 :: v_dual_lshlrev_b32 v145, 28, v131
	v_lshlrev_b32_e32 v146, 27, v131
	v_cmp_gt_i32_e64 s15, 0, v135
	s_set_vgpr_msb 16                       ;  msbs: dst=0 src0=0 src1=0 src2=1
	v_lshl_add_u32 v133, v131, 3, v41 /*v297*/
	v_cmp_gt_i32_e64 s16, 0, v144
	v_not_b32_e32 v135, v144
	v_not_b32_e32 v144, v145
	v_dual_lshlrev_b32 v148, 26, v131 :: v_dual_lshlrev_b32 v149, 25, v131
	v_lshlrev_b32_e32 v131, 24, v131
	v_cmp_gt_i32_e64 s17, 0, v145
	s_delay_alu instid0(VALU_DEP_4)
	v_dual_ashrrev_i32 v135, 31, v135 :: v_dual_ashrrev_i32 v144, 31, v144
	v_xor_b32_e32 v134, s15, v134
	v_cmp_gt_i32_e64 s18, 0, v146
	v_not_b32_e32 v145, v146
	v_not_b32_e32 v146, v148
	v_xor_b32_e32 v135, s16, v135
	v_xor_b32_e32 v144, s17, v144
	v_bitop3_b32 v132, v132, v134, exec_lo bitop3:0x80
	v_ashrrev_i32_e32 v134, 31, v145
	v_cmp_gt_i32_e64 s14, 0, v148
	v_ashrrev_i32_e32 v145, 31, v146
	v_not_b32_e32 v146, v149
	s_set_vgpr_msb 0                        ;  msbs: dst=0 src0=0 src1=0 src2=0
	v_bitop3_b32 v132, v132, v144, v135 bitop3:0x80
	v_not_b32_e32 v135, v131
	v_cmp_gt_i32_e64 s15, 0, v131
	v_dual_ashrrev_i32 v145, 31, v146 :: v_dual_bitop2_b32 v144, s14, v145 bitop3:0x14
	v_cmp_gt_i32_e64 s14, 0, v149
	s_delay_alu instid0(VALU_DEP_4) | instskip(SKIP_2) | instid1(VALU_DEP_3)
	v_ashrrev_i32_e32 v131, 31, v135
	v_lshl_add_u32 v133, v133, 2, v12
	v_xor_b32_e32 v134, s18, v134
	v_xor_b32_e32 v135, s15, v131
	ds_load_b32 v131, v133 offset:32
	v_add_nc_u32_e32 v133, 32, v133
	v_bitop3_b32 v132, v132, v144, v134 bitop3:0x80
	v_xor_b32_e32 v134, s14, v145
	; wave barrier
	s_delay_alu instid0(VALU_DEP_1) | instskip(NEXT) | instid1(VALU_DEP_1)
	v_bitop3_b32 v134, v132, v135, v134 bitop3:0x80
	v_mbcnt_lo_u32_b32 v132, v134, 0
	v_cmp_ne_u32_e64 s15, 0, v134
	s_delay_alu instid0(VALU_DEP_2) | instskip(SKIP_1) | instid1(SALU_CYCLE_1)
	v_cmp_eq_u32_e64 s14, 0, v132
	s_and_b32 s15, s15, s14
	s_and_saveexec_b32 s14, s15
	s_cbranch_execz .LBB803_57
; %bb.56:                               ;   in Loop: Header=BB803_53 Depth=1
	s_wait_dscnt 0x0
	v_bcnt_u32_b32 v134, v134, v131
	ds_store_b32 v133, v134
.LBB803_57:                             ;   in Loop: Header=BB803_53 Depth=1
	s_or_b32 exec_lo, exec_lo, s14
	v_lshrrev_b64 v[134:135], v10, v[50:51]
	; wave barrier
	s_delay_alu instid0(VALU_DEP_1) | instskip(SKIP_1) | instid1(VALU_DEP_2)
	v_and_b32_e32 v135, v134, v147
	v_bitop3_b32 v134, v134, 1, v147 bitop3:0x80
	v_lshlrev_b32_e32 v146, 30, v135
	s_delay_alu instid0(VALU_DEP_2) | instskip(NEXT) | instid1(VALU_DEP_1)
	v_add_co_u32 v134, s14, v134, -1
	v_cndmask_b32_e64 v145, 0, 1, s14
	s_delay_alu instid0(VALU_DEP_1) | instskip(NEXT) | instid1(VALU_DEP_4)
	v_cmp_ne_u32_e64 s14, 0, v145
	v_not_b32_e32 v145, v146
	s_delay_alu instid0(VALU_DEP_1)
	v_dual_ashrrev_i32 v145, 31, v145 :: v_dual_bitop2_b32 v134, s14, v134 bitop3:0x14
	v_dual_lshlrev_b32 v148, 29, v135 :: v_dual_lshlrev_b32 v149, 28, v135
	v_lshlrev_b32_e32 v150, 27, v135
	v_cmp_gt_i32_e64 s15, 0, v146
	s_set_vgpr_msb 16                       ;  msbs: dst=0 src0=0 src1=0 src2=1
	v_lshl_add_u32 v144, v135, 3, v41 /*v297*/
	v_cmp_gt_i32_e64 s16, 0, v148
	v_not_b32_e32 v146, v148
	v_not_b32_e32 v148, v149
	v_dual_lshlrev_b32 v151, 26, v135 :: v_dual_lshlrev_b32 v160, 25, v135
	v_lshlrev_b32_e32 v135, 24, v135
	v_cmp_gt_i32_e64 s17, 0, v149
	v_not_b32_e32 v149, v150
	v_dual_ashrrev_i32 v146, 31, v146 :: v_dual_ashrrev_i32 v148, 31, v148
	v_xor_b32_e32 v145, s15, v145
	v_cmp_gt_i32_e64 s18, 0, v150
	v_not_b32_e32 v150, v151
	s_delay_alu instid0(VALU_DEP_4)
	v_dual_ashrrev_i32 v149, 31, v149 :: v_dual_bitop2_b32 v146, s16, v146 bitop3:0x14
	v_xor_b32_e32 v148, s17, v148
	v_bitop3_b32 v134, v134, v145, exec_lo bitop3:0x80
	v_cmp_gt_i32_e64 s14, 0, v151
	v_ashrrev_i32_e32 v145, 31, v150
	v_not_b32_e32 v150, v160
	v_cmp_gt_i32_e64 s15, 0, v135
	s_set_vgpr_msb 0                        ;  msbs: dst=0 src0=0 src1=0 src2=0
	v_bitop3_b32 v134, v134, v148, v146 bitop3:0x80
	v_not_b32_e32 v146, v135
	v_dual_ashrrev_i32 v148, 31, v150 :: v_dual_bitop2_b32 v149, s18, v149 bitop3:0x14
	v_lshl_add_u32 v144, v144, 2, v12
	v_xor_b32_e32 v145, s14, v145
	v_cmp_gt_i32_e64 s14, 0, v160
	v_ashrrev_i32_e32 v135, 31, v146
	s_delay_alu instid0(VALU_DEP_3) | instskip(NEXT) | instid1(VALU_DEP_3)
	v_bitop3_b32 v145, v134, v145, v149 bitop3:0x80
	v_xor_b32_e32 v146, s14, v148
	s_delay_alu instid0(VALU_DEP_3) | instskip(SKIP_3) | instid1(VALU_DEP_1)
	v_xor_b32_e32 v135, s15, v135
	ds_load_b32 v134, v144 offset:32
	v_add_nc_u32_e32 v144, 32, v144
	; wave barrier
	v_bitop3_b32 v145, v145, v135, v146 bitop3:0x80
	v_mbcnt_lo_u32_b32 v135, v145, 0
	v_cmp_ne_u32_e64 s15, 0, v145
	s_delay_alu instid0(VALU_DEP_2) | instskip(SKIP_1) | instid1(SALU_CYCLE_1)
	v_cmp_eq_u32_e64 s14, 0, v135
	s_and_b32 s15, s15, s14
	s_and_saveexec_b32 s14, s15
	s_cbranch_execz .LBB803_59
; %bb.58:                               ;   in Loop: Header=BB803_53 Depth=1
	s_wait_dscnt 0x0
	v_bcnt_u32_b32 v145, v145, v134
	ds_store_b32 v144, v145
.LBB803_59:                             ;   in Loop: Header=BB803_53 Depth=1
	s_or_b32 exec_lo, exec_lo, s14
	v_lshrrev_b64 v[148:149], v10, v[66:67]
	; wave barrier
	s_delay_alu instid0(VALU_DEP_1) | instskip(SKIP_1) | instid1(VALU_DEP_2)
	v_bitop3_b32 v146, v148, 1, v147 bitop3:0x80
	v_and_b32_e32 v145, v148, v147
	v_add_co_u32 v146, s14, v146, -1
	s_delay_alu instid0(VALU_DEP_1) | instskip(NEXT) | instid1(VALU_DEP_3)
	v_cndmask_b32_e64 v149, 0, 1, s14
	v_lshlrev_b32_e32 v150, 30, v145
	s_delay_alu instid0(VALU_DEP_2) | instskip(NEXT) | instid1(VALU_DEP_2)
	v_cmp_ne_u32_e64 s14, 0, v149
	v_not_b32_e32 v149, v150
	s_delay_alu instid0(VALU_DEP_1)
	v_dual_ashrrev_i32 v149, 31, v149 :: v_dual_bitop2_b32 v146, s14, v146 bitop3:0x14
	v_dual_lshlrev_b32 v151, 29, v145 :: v_dual_lshlrev_b32 v160, 28, v145
	v_lshlrev_b32_e32 v161, 27, v145
	v_cmp_gt_i32_e64 s15, 0, v150
	s_set_vgpr_msb 16                       ;  msbs: dst=0 src0=0 src1=0 src2=1
	v_lshl_add_u32 v148, v145, 3, v41 /*v297*/
	v_cmp_gt_i32_e64 s16, 0, v151
	v_not_b32_e32 v150, v151
	v_not_b32_e32 v151, v160
	v_dual_lshlrev_b32 v162, 26, v145 :: v_dual_lshlrev_b32 v163, 25, v145
	v_lshlrev_b32_e32 v145, 24, v145
	v_cmp_gt_i32_e64 s17, 0, v160
	v_not_b32_e32 v160, v161
	v_dual_ashrrev_i32 v150, 31, v150 :: v_dual_ashrrev_i32 v151, 31, v151
	v_xor_b32_e32 v149, s15, v149
	v_cmp_gt_i32_e64 s18, 0, v161
	v_not_b32_e32 v161, v162
	s_delay_alu instid0(VALU_DEP_4)
	v_dual_ashrrev_i32 v160, 31, v160 :: v_dual_bitop2_b32 v150, s16, v150 bitop3:0x14
	v_xor_b32_e32 v151, s17, v151
	v_bitop3_b32 v146, v146, v149, exec_lo bitop3:0x80
	v_cmp_gt_i32_e64 s14, 0, v162
	v_ashrrev_i32_e32 v149, 31, v161
	v_not_b32_e32 v161, v163
	v_xor_b32_e32 v160, s18, v160
	s_set_vgpr_msb 0                        ;  msbs: dst=0 src0=0 src1=0 src2=0
	v_bitop3_b32 v146, v146, v151, v150 bitop3:0x80
	v_not_b32_e32 v150, v145
	v_cmp_gt_i32_e64 s15, 0, v145
	v_ashrrev_i32_e32 v151, 31, v161
	v_lshl_add_u32 v148, v148, 2, v12
	v_xor_b32_e32 v149, s14, v149
	v_cmp_gt_i32_e64 s14, 0, v163
	v_ashrrev_i32_e32 v145, 31, v150
	s_delay_alu instid0(VALU_DEP_1) | instskip(SKIP_4) | instid1(VALU_DEP_1)
	v_xor_b32_e32 v150, s15, v145
	ds_load_b32 v145, v148 offset:32
	v_add_nc_u32_e32 v148, 32, v148
	v_bitop3_b32 v146, v146, v149, v160 bitop3:0x80
	v_xor_b32_e32 v149, s14, v151
	; wave barrier
	v_bitop3_b32 v149, v146, v150, v149 bitop3:0x80
	s_delay_alu instid0(VALU_DEP_1) | instskip(SKIP_1) | instid1(VALU_DEP_2)
	v_mbcnt_lo_u32_b32 v146, v149, 0
	v_cmp_ne_u32_e64 s15, 0, v149
	v_cmp_eq_u32_e64 s14, 0, v146
	s_and_b32 s15, s15, s14
	s_delay_alu instid0(SALU_CYCLE_1)
	s_and_saveexec_b32 s14, s15
	s_cbranch_execz .LBB803_61
; %bb.60:                               ;   in Loop: Header=BB803_53 Depth=1
	s_wait_dscnt 0x0
	v_bcnt_u32_b32 v149, v149, v145
	ds_store_b32 v148, v149
.LBB803_61:                             ;   in Loop: Header=BB803_53 Depth=1
	s_or_b32 exec_lo, exec_lo, s14
	v_lshrrev_b64 v[150:151], v10, v[70:71]
	; wave barrier
	s_delay_alu instid0(VALU_DEP_1) | instskip(SKIP_1) | instid1(VALU_DEP_2)
	v_and_b32_e32 v149, v150, v147
	v_bitop3_b32 v150, v150, 1, v147 bitop3:0x80
	v_lshlrev_b32_e32 v161, 30, v149
	s_delay_alu instid0(VALU_DEP_2) | instskip(NEXT) | instid1(VALU_DEP_1)
	v_add_co_u32 v150, s14, v150, -1
	v_cndmask_b32_e64 v160, 0, 1, s14
	s_delay_alu instid0(VALU_DEP_1) | instskip(NEXT) | instid1(VALU_DEP_4)
	v_cmp_ne_u32_e64 s14, 0, v160
	v_not_b32_e32 v160, v161
	s_delay_alu instid0(VALU_DEP_1)
	v_dual_ashrrev_i32 v160, 31, v160 :: v_dual_bitop2_b32 v150, s14, v150 bitop3:0x14
	v_dual_lshlrev_b32 v162, 29, v149 :: v_dual_lshlrev_b32 v163, 28, v149
	v_lshlrev_b32_e32 v164, 27, v149
	v_cmp_gt_i32_e64 s15, 0, v161
	s_set_vgpr_msb 16                       ;  msbs: dst=0 src0=0 src1=0 src2=1
	v_lshl_add_u32 v151, v149, 3, v41 /*v297*/
	v_cmp_gt_i32_e64 s16, 0, v162
	v_not_b32_e32 v161, v162
	v_not_b32_e32 v162, v163
	v_dual_lshlrev_b32 v165, 26, v149 :: v_dual_lshlrev_b32 v166, 25, v149
	v_lshlrev_b32_e32 v149, 24, v149
	v_cmp_gt_i32_e64 s17, 0, v163
	v_not_b32_e32 v163, v164
	v_dual_ashrrev_i32 v161, 31, v161 :: v_dual_ashrrev_i32 v162, 31, v162
	v_xor_b32_e32 v160, s15, v160
	v_cmp_gt_i32_e64 s18, 0, v164
	v_not_b32_e32 v164, v165
	s_delay_alu instid0(VALU_DEP_4)
	v_dual_ashrrev_i32 v163, 31, v163 :: v_dual_bitop2_b32 v161, s16, v161 bitop3:0x14
	v_xor_b32_e32 v162, s17, v162
	v_bitop3_b32 v150, v150, v160, exec_lo bitop3:0x80
	v_cmp_gt_i32_e64 s14, 0, v165
	v_ashrrev_i32_e32 v160, 31, v164
	v_not_b32_e32 v164, v166
	v_xor_b32_e32 v163, s18, v163
	s_set_vgpr_msb 0                        ;  msbs: dst=0 src0=0 src1=0 src2=0
	v_bitop3_b32 v150, v150, v162, v161 bitop3:0x80
	v_not_b32_e32 v161, v149
	v_cmp_gt_i32_e64 s15, 0, v149
	v_ashrrev_i32_e32 v162, 31, v164
	v_lshl_add_u32 v151, v151, 2, v12
	v_xor_b32_e32 v160, s14, v160
	v_cmp_gt_i32_e64 s14, 0, v166
	v_ashrrev_i32_e32 v149, 31, v161
	s_delay_alu instid0(VALU_DEP_1) | instskip(SKIP_4) | instid1(VALU_DEP_1)
	v_xor_b32_e32 v161, s15, v149
	ds_load_b32 v149, v151 offset:32
	v_add_nc_u32_e32 v151, 32, v151
	v_bitop3_b32 v150, v150, v160, v163 bitop3:0x80
	v_xor_b32_e32 v160, s14, v162
	; wave barrier
	v_bitop3_b32 v160, v150, v161, v160 bitop3:0x80
	s_delay_alu instid0(VALU_DEP_1) | instskip(SKIP_1) | instid1(VALU_DEP_2)
	v_mbcnt_lo_u32_b32 v150, v160, 0
	v_cmp_ne_u32_e64 s15, 0, v160
	v_cmp_eq_u32_e64 s14, 0, v150
	s_and_b32 s15, s15, s14
	s_delay_alu instid0(SALU_CYCLE_1)
	s_and_saveexec_b32 s14, s15
	s_cbranch_execz .LBB803_63
; %bb.62:                               ;   in Loop: Header=BB803_53 Depth=1
	s_wait_dscnt 0x0
	v_bcnt_u32_b32 v160, v160, v149
	ds_store_b32 v151, v160
.LBB803_63:                             ;   in Loop: Header=BB803_53 Depth=1
	s_or_b32 exec_lo, exec_lo, s14
	v_lshrrev_b64 v[160:161], v10, v[68:69]
	; wave barrier
	s_delay_alu instid0(VALU_DEP_1) | instskip(SKIP_1) | instid1(VALU_DEP_2)
	v_and_b32_e32 v161, v160, v147
	v_bitop3_b32 v160, v160, 1, v147 bitop3:0x80
	v_dual_lshlrev_b32 v164, 30, v161 :: v_dual_lshlrev_b32 v165, 29, v161
	s_delay_alu instid0(VALU_DEP_2) | instskip(NEXT) | instid1(VALU_DEP_1)
	v_add_co_u32 v160, s14, v160, -1
	v_cndmask_b32_e64 v163, 0, 1, s14
	s_delay_alu instid0(VALU_DEP_3) | instskip(NEXT) | instid1(VALU_DEP_4)
	v_cmp_gt_i32_e64 s15, 0, v164
	v_cmp_gt_i32_e64 s16, 0, v165
	s_delay_alu instid0(VALU_DEP_3) | instskip(SKIP_2) | instid1(VALU_DEP_1)
	v_cmp_ne_u32_e64 s14, 0, v163
	v_not_b32_e32 v163, v164
	v_not_b32_e32 v164, v165
	v_dual_ashrrev_i32 v163, 31, v163 :: v_dual_ashrrev_i32 v164, 31, v164
	v_dual_lshlrev_b32 v166, 28, v161 :: v_dual_lshlrev_b32 v167, 27, v161
	s_set_vgpr_msb 16                       ;  msbs: dst=0 src0=0 src1=0 src2=1
	v_lshl_add_u32 v162, v161, 3, v41 /*v297*/
	v_dual_lshlrev_b32 v176, 26, v161 :: v_dual_lshlrev_b32 v177, 25, v161
	v_lshlrev_b32_e32 v161, 24, v161
	v_not_b32_e32 v165, v166
	v_cmp_gt_i32_e64 s17, 0, v166
	v_not_b32_e32 v166, v167
	v_xor_b32_e32 v160, s14, v160
	s_delay_alu instid0(VALU_DEP_4) | instskip(SKIP_3) | instid1(VALU_DEP_4)
	v_dual_ashrrev_i32 v165, 31, v165 :: v_dual_bitop2_b32 v163, s15, v163 bitop3:0x14
	v_cmp_gt_i32_e64 s18, 0, v167
	v_not_b32_e32 v167, v176
	v_dual_ashrrev_i32 v166, 31, v166 :: v_dual_bitop2_b32 v164, s16, v164 bitop3:0x14
	v_xor_b32_e32 v165, s17, v165
	v_bitop3_b32 v160, v160, v163, exec_lo bitop3:0x80
	v_cmp_gt_i32_e64 s14, 0, v176
	v_ashrrev_i32_e32 v163, 31, v167
	v_not_b32_e32 v167, v177
	v_xor_b32_e32 v166, s18, v166
	s_set_vgpr_msb 0                        ;  msbs: dst=0 src0=0 src1=0 src2=0
	v_bitop3_b32 v160, v160, v165, v164 bitop3:0x80
	v_not_b32_e32 v164, v161
	v_cmp_gt_i32_e64 s15, 0, v161
	v_ashrrev_i32_e32 v165, 31, v167
	v_lshl_add_u32 v162, v162, 2, v12
	v_xor_b32_e32 v163, s14, v163
	v_cmp_gt_i32_e64 s14, 0, v177
	v_ashrrev_i32_e32 v161, 31, v164
	s_delay_alu instid0(VALU_DEP_3) | instskip(NEXT) | instid1(VALU_DEP_3)
	v_bitop3_b32 v163, v160, v163, v166 bitop3:0x80
	v_xor_b32_e32 v164, s14, v165
	s_delay_alu instid0(VALU_DEP_3) | instskip(SKIP_3) | instid1(VALU_DEP_1)
	v_xor_b32_e32 v161, s15, v161
	ds_load_b32 v160, v162 offset:32
	v_add_nc_u32_e32 v162, 32, v162
	; wave barrier
	v_bitop3_b32 v163, v163, v161, v164 bitop3:0x80
	v_mbcnt_lo_u32_b32 v161, v163, 0
	v_cmp_ne_u32_e64 s15, 0, v163
	s_delay_alu instid0(VALU_DEP_2) | instskip(SKIP_1) | instid1(SALU_CYCLE_1)
	v_cmp_eq_u32_e64 s14, 0, v161
	s_and_b32 s15, s15, s14
	s_and_saveexec_b32 s14, s15
	s_cbranch_execz .LBB803_65
; %bb.64:                               ;   in Loop: Header=BB803_53 Depth=1
	s_wait_dscnt 0x0
	v_bcnt_u32_b32 v163, v163, v160
	ds_store_b32 v162, v163
.LBB803_65:                             ;   in Loop: Header=BB803_53 Depth=1
	s_or_b32 exec_lo, exec_lo, s14
	v_lshrrev_b64 v[164:165], v10, v[82:83]
	; wave barrier
	s_delay_alu instid0(VALU_DEP_1) | instskip(SKIP_1) | instid1(VALU_DEP_2)
	v_and_b32_e32 v163, v164, v147
	v_bitop3_b32 v164, v164, 1, v147 bitop3:0x80
	v_lshlrev_b32_e32 v167, 30, v163
	s_delay_alu instid0(VALU_DEP_2) | instskip(NEXT) | instid1(VALU_DEP_1)
	v_add_co_u32 v164, s14, v164, -1
	v_cndmask_b32_e64 v166, 0, 1, s14
	s_delay_alu instid0(VALU_DEP_1) | instskip(NEXT) | instid1(VALU_DEP_4)
	v_cmp_ne_u32_e64 s14, 0, v166
	v_not_b32_e32 v166, v167
	s_delay_alu instid0(VALU_DEP_1)
	v_dual_ashrrev_i32 v166, 31, v166 :: v_dual_bitop2_b32 v164, s14, v164 bitop3:0x14
	v_dual_lshlrev_b32 v176, 29, v163 :: v_dual_lshlrev_b32 v177, 28, v163
	v_lshlrev_b32_e32 v178, 27, v163
	v_cmp_gt_i32_e64 s15, 0, v167
	s_set_vgpr_msb 16                       ;  msbs: dst=0 src0=0 src1=0 src2=1
	v_lshl_add_u32 v165, v163, 3, v41 /*v297*/
	v_cmp_gt_i32_e64 s16, 0, v176
	v_not_b32_e32 v167, v176
	v_not_b32_e32 v176, v177
	v_dual_lshlrev_b32 v179, 26, v163 :: v_dual_lshlrev_b32 v180, 25, v163
	v_lshlrev_b32_e32 v163, 24, v163
	v_cmp_gt_i32_e64 s17, 0, v177
	v_not_b32_e32 v177, v178
	v_dual_ashrrev_i32 v167, 31, v167 :: v_dual_ashrrev_i32 v176, 31, v176
	v_xor_b32_e32 v166, s15, v166
	v_cmp_gt_i32_e64 s18, 0, v178
	v_not_b32_e32 v178, v179
	s_delay_alu instid0(VALU_DEP_4)
	v_dual_ashrrev_i32 v177, 31, v177 :: v_dual_bitop2_b32 v167, s16, v167 bitop3:0x14
	v_xor_b32_e32 v176, s17, v176
	v_bitop3_b32 v164, v164, v166, exec_lo bitop3:0x80
	v_cmp_gt_i32_e64 s14, 0, v179
	v_ashrrev_i32_e32 v166, 31, v178
	v_not_b32_e32 v178, v180
	v_xor_b32_e32 v177, s18, v177
	s_set_vgpr_msb 0                        ;  msbs: dst=0 src0=0 src1=0 src2=0
	v_bitop3_b32 v164, v164, v176, v167 bitop3:0x80
	v_not_b32_e32 v167, v163
	v_cmp_gt_i32_e64 s15, 0, v163
	v_ashrrev_i32_e32 v176, 31, v178
	v_lshl_add_u32 v165, v165, 2, v12
	v_xor_b32_e32 v166, s14, v166
	v_cmp_gt_i32_e64 s14, 0, v180
	v_ashrrev_i32_e32 v163, 31, v167
	s_delay_alu instid0(VALU_DEP_1) | instskip(SKIP_4) | instid1(VALU_DEP_1)
	v_xor_b32_e32 v167, s15, v163
	ds_load_b32 v163, v165 offset:32
	v_add_nc_u32_e32 v165, 32, v165
	v_bitop3_b32 v164, v164, v166, v177 bitop3:0x80
	v_xor_b32_e32 v166, s14, v176
	; wave barrier
	v_bitop3_b32 v166, v164, v167, v166 bitop3:0x80
	s_delay_alu instid0(VALU_DEP_1) | instskip(SKIP_1) | instid1(VALU_DEP_2)
	v_mbcnt_lo_u32_b32 v164, v166, 0
	v_cmp_ne_u32_e64 s15, 0, v166
	v_cmp_eq_u32_e64 s14, 0, v164
	s_and_b32 s15, s15, s14
	s_delay_alu instid0(SALU_CYCLE_1)
	s_and_saveexec_b32 s14, s15
	s_cbranch_execz .LBB803_67
; %bb.66:                               ;   in Loop: Header=BB803_53 Depth=1
	s_wait_dscnt 0x0
	v_bcnt_u32_b32 v166, v166, v163
	ds_store_b32 v165, v166
.LBB803_67:                             ;   in Loop: Header=BB803_53 Depth=1
	s_or_b32 exec_lo, exec_lo, s14
	v_lshrrev_b64 v[166:167], v10, v[80:81]
	; wave barrier
	s_delay_alu instid0(VALU_DEP_1) | instskip(SKIP_1) | instid1(VALU_DEP_2)
	v_and_b32_e32 v167, v166, v147
	v_bitop3_b32 v166, v166, 1, v147 bitop3:0x80
	v_lshlrev_b32_e32 v178, 30, v167
	s_delay_alu instid0(VALU_DEP_2) | instskip(NEXT) | instid1(VALU_DEP_1)
	v_add_co_u32 v166, s14, v166, -1
	v_cndmask_b32_e64 v177, 0, 1, s14
	s_delay_alu instid0(VALU_DEP_1) | instskip(NEXT) | instid1(VALU_DEP_4)
	v_cmp_ne_u32_e64 s14, 0, v177
	v_not_b32_e32 v177, v178
	s_delay_alu instid0(VALU_DEP_1)
	v_dual_ashrrev_i32 v177, 31, v177 :: v_dual_bitop2_b32 v166, s14, v166 bitop3:0x14
	v_dual_lshlrev_b32 v179, 29, v167 :: v_dual_lshlrev_b32 v180, 28, v167
	v_lshlrev_b32_e32 v181, 27, v167
	v_cmp_gt_i32_e64 s15, 0, v178
	s_set_vgpr_msb 16                       ;  msbs: dst=0 src0=0 src1=0 src2=1
	v_lshl_add_u32 v176, v167, 3, v41 /*v297*/
	v_cmp_gt_i32_e64 s16, 0, v179
	v_not_b32_e32 v178, v179
	v_not_b32_e32 v179, v180
	v_dual_lshlrev_b32 v182, 26, v167 :: v_dual_lshlrev_b32 v183, 25, v167
	v_lshlrev_b32_e32 v167, 24, v167
	v_cmp_gt_i32_e64 s17, 0, v180
	v_not_b32_e32 v180, v181
	v_dual_ashrrev_i32 v178, 31, v178 :: v_dual_ashrrev_i32 v179, 31, v179
	v_xor_b32_e32 v177, s15, v177
	v_cmp_gt_i32_e64 s18, 0, v181
	v_not_b32_e32 v181, v182
	s_delay_alu instid0(VALU_DEP_4)
	v_dual_ashrrev_i32 v180, 31, v180 :: v_dual_bitop2_b32 v178, s16, v178 bitop3:0x14
	v_xor_b32_e32 v179, s17, v179
	v_bitop3_b32 v166, v166, v177, exec_lo bitop3:0x80
	v_cmp_gt_i32_e64 s14, 0, v182
	v_ashrrev_i32_e32 v177, 31, v181
	v_not_b32_e32 v181, v183
	v_xor_b32_e32 v180, s18, v180
	s_set_vgpr_msb 0                        ;  msbs: dst=0 src0=0 src1=0 src2=0
	v_bitop3_b32 v166, v166, v179, v178 bitop3:0x80
	v_not_b32_e32 v178, v167
	v_cmp_gt_i32_e64 s15, 0, v167
	v_ashrrev_i32_e32 v179, 31, v181
	v_lshl_add_u32 v176, v176, 2, v12
	v_xor_b32_e32 v177, s14, v177
	v_cmp_gt_i32_e64 s14, 0, v183
	v_ashrrev_i32_e32 v167, 31, v178
	s_delay_alu instid0(VALU_DEP_3) | instskip(NEXT) | instid1(VALU_DEP_3)
	v_bitop3_b32 v177, v166, v177, v180 bitop3:0x80
	v_xor_b32_e32 v178, s14, v179
	s_delay_alu instid0(VALU_DEP_3) | instskip(SKIP_3) | instid1(VALU_DEP_1)
	v_xor_b32_e32 v167, s15, v167
	ds_load_b32 v166, v176 offset:32
	v_add_nc_u32_e32 v176, 32, v176
	; wave barrier
	v_bitop3_b32 v177, v177, v167, v178 bitop3:0x80
	v_mbcnt_lo_u32_b32 v167, v177, 0
	v_cmp_ne_u32_e64 s15, 0, v177
	s_delay_alu instid0(VALU_DEP_2) | instskip(SKIP_1) | instid1(SALU_CYCLE_1)
	v_cmp_eq_u32_e64 s14, 0, v167
	s_and_b32 s15, s15, s14
	s_and_saveexec_b32 s14, s15
	s_cbranch_execz .LBB803_69
; %bb.68:                               ;   in Loop: Header=BB803_53 Depth=1
	s_wait_dscnt 0x0
	v_bcnt_u32_b32 v177, v177, v166
	ds_store_b32 v176, v177
.LBB803_69:                             ;   in Loop: Header=BB803_53 Depth=1
	s_or_b32 exec_lo, exec_lo, s14
	v_lshrrev_b64 v[178:179], v10, v[84:85]
	; wave barrier
	s_delay_alu instid0(VALU_DEP_1) | instskip(SKIP_1) | instid1(VALU_DEP_2)
	v_and_b32_e32 v177, v178, v147
	v_bitop3_b32 v178, v178, 1, v147 bitop3:0x80
	v_lshlrev_b32_e32 v181, 30, v177
	s_delay_alu instid0(VALU_DEP_2) | instskip(NEXT) | instid1(VALU_DEP_1)
	v_add_co_u32 v178, s14, v178, -1
	v_cndmask_b32_e64 v180, 0, 1, s14
	s_delay_alu instid0(VALU_DEP_1) | instskip(NEXT) | instid1(VALU_DEP_4)
	v_cmp_ne_u32_e64 s14, 0, v180
	v_not_b32_e32 v180, v181
	s_delay_alu instid0(VALU_DEP_1)
	v_dual_ashrrev_i32 v180, 31, v180 :: v_dual_bitop2_b32 v178, s14, v178 bitop3:0x14
	v_dual_lshlrev_b32 v182, 29, v177 :: v_dual_lshlrev_b32 v183, 28, v177
	v_lshlrev_b32_e32 v192, 27, v177
	v_cmp_gt_i32_e64 s15, 0, v181
	s_set_vgpr_msb 16                       ;  msbs: dst=0 src0=0 src1=0 src2=1
	v_lshl_add_u32 v179, v177, 3, v41 /*v297*/
	v_cmp_gt_i32_e64 s16, 0, v182
	v_not_b32_e32 v181, v182
	v_not_b32_e32 v182, v183
	v_dual_lshlrev_b32 v193, 26, v177 :: v_dual_lshlrev_b32 v194, 25, v177
	v_lshlrev_b32_e32 v177, 24, v177
	v_cmp_gt_i32_e64 s17, 0, v183
	v_not_b32_e32 v183, v192
	v_dual_ashrrev_i32 v181, 31, v181 :: v_dual_ashrrev_i32 v182, 31, v182
	v_xor_b32_e32 v180, s15, v180
	v_cmp_gt_i32_e64 s18, 0, v192
	v_not_b32_e32 v192, v193
	s_delay_alu instid0(VALU_DEP_4)
	v_dual_ashrrev_i32 v183, 31, v183 :: v_dual_bitop2_b32 v181, s16, v181 bitop3:0x14
	v_xor_b32_e32 v182, s17, v182
	v_bitop3_b32 v178, v178, v180, exec_lo bitop3:0x80
	v_cmp_gt_i32_e64 s14, 0, v193
	v_ashrrev_i32_e32 v180, 31, v192
	v_not_b32_e32 v192, v194
	v_xor_b32_e32 v183, s18, v183
	s_set_vgpr_msb 0                        ;  msbs: dst=0 src0=0 src1=0 src2=0
	v_bitop3_b32 v178, v178, v182, v181 bitop3:0x80
	v_not_b32_e32 v181, v177
	v_cmp_gt_i32_e64 s15, 0, v177
	v_ashrrev_i32_e32 v182, 31, v192
	v_lshl_add_u32 v179, v179, 2, v12
	v_xor_b32_e32 v180, s14, v180
	v_cmp_gt_i32_e64 s14, 0, v194
	v_ashrrev_i32_e32 v177, 31, v181
	s_delay_alu instid0(VALU_DEP_1) | instskip(SKIP_4) | instid1(VALU_DEP_1)
	v_xor_b32_e32 v181, s15, v177
	ds_load_b32 v177, v179 offset:32
	v_add_nc_u32_e32 v179, 32, v179
	v_bitop3_b32 v178, v178, v180, v183 bitop3:0x80
	v_xor_b32_e32 v180, s14, v182
	; wave barrier
	v_bitop3_b32 v180, v178, v181, v180 bitop3:0x80
	s_delay_alu instid0(VALU_DEP_1) | instskip(SKIP_1) | instid1(VALU_DEP_2)
	v_mbcnt_lo_u32_b32 v178, v180, 0
	v_cmp_ne_u32_e64 s15, 0, v180
	v_cmp_eq_u32_e64 s14, 0, v178
	s_and_b32 s15, s15, s14
	s_delay_alu instid0(SALU_CYCLE_1)
	s_and_saveexec_b32 s14, s15
	s_cbranch_execz .LBB803_71
; %bb.70:                               ;   in Loop: Header=BB803_53 Depth=1
	s_wait_dscnt 0x0
	v_bcnt_u32_b32 v180, v180, v177
	ds_store_b32 v179, v180
.LBB803_71:                             ;   in Loop: Header=BB803_53 Depth=1
	s_or_b32 exec_lo, exec_lo, s14
	v_lshrrev_b64 v[180:181], v10, v[86:87]
	; wave barrier
	s_delay_alu instid0(VALU_DEP_1) | instskip(SKIP_1) | instid1(VALU_DEP_2)
	v_and_b32_e32 v181, v180, v147
	v_bitop3_b32 v180, v180, 1, v147 bitop3:0x80
	v_dual_lshlrev_b32 v192, 30, v181 :: v_dual_lshlrev_b32 v193, 29, v181
	s_delay_alu instid0(VALU_DEP_2) | instskip(NEXT) | instid1(VALU_DEP_1)
	v_add_co_u32 v180, s14, v180, -1
	v_cndmask_b32_e64 v183, 0, 1, s14
	s_delay_alu instid0(VALU_DEP_3) | instskip(NEXT) | instid1(VALU_DEP_4)
	v_cmp_gt_i32_e64 s15, 0, v192
	v_cmp_gt_i32_e64 s16, 0, v193
	s_delay_alu instid0(VALU_DEP_3) | instskip(SKIP_2) | instid1(VALU_DEP_1)
	v_cmp_ne_u32_e64 s14, 0, v183
	v_not_b32_e32 v183, v192
	v_not_b32_e32 v192, v193
	v_dual_ashrrev_i32 v183, 31, v183 :: v_dual_ashrrev_i32 v192, 31, v192
	v_dual_lshlrev_b32 v194, 28, v181 :: v_dual_lshlrev_b32 v195, 27, v181
	s_set_vgpr_msb 16                       ;  msbs: dst=0 src0=0 src1=0 src2=1
	v_lshl_add_u32 v182, v181, 3, v41 /*v297*/
	v_dual_lshlrev_b32 v196, 26, v181 :: v_dual_lshlrev_b32 v197, 25, v181
	v_lshlrev_b32_e32 v181, 24, v181
	v_not_b32_e32 v193, v194
	v_cmp_gt_i32_e64 s17, 0, v194
	v_not_b32_e32 v194, v195
	v_xor_b32_e32 v180, s14, v180
	s_delay_alu instid0(VALU_DEP_4) | instskip(SKIP_3) | instid1(VALU_DEP_4)
	v_dual_ashrrev_i32 v193, 31, v193 :: v_dual_bitop2_b32 v183, s15, v183 bitop3:0x14
	v_cmp_gt_i32_e64 s18, 0, v195
	v_not_b32_e32 v195, v196
	v_dual_ashrrev_i32 v194, 31, v194 :: v_dual_bitop2_b32 v192, s16, v192 bitop3:0x14
	v_xor_b32_e32 v193, s17, v193
	v_bitop3_b32 v180, v180, v183, exec_lo bitop3:0x80
	v_cmp_gt_i32_e64 s14, 0, v196
	v_ashrrev_i32_e32 v183, 31, v195
	v_not_b32_e32 v195, v197
	v_xor_b32_e32 v194, s18, v194
	s_set_vgpr_msb 0                        ;  msbs: dst=0 src0=0 src1=0 src2=0
	v_bitop3_b32 v180, v180, v193, v192 bitop3:0x80
	v_not_b32_e32 v192, v181
	v_cmp_gt_i32_e64 s15, 0, v181
	v_ashrrev_i32_e32 v193, 31, v195
	v_lshl_add_u32 v182, v182, 2, v12
	v_xor_b32_e32 v183, s14, v183
	v_cmp_gt_i32_e64 s14, 0, v197
	v_ashrrev_i32_e32 v181, 31, v192
	s_delay_alu instid0(VALU_DEP_3) | instskip(NEXT) | instid1(VALU_DEP_3)
	v_bitop3_b32 v183, v180, v183, v194 bitop3:0x80
	v_xor_b32_e32 v192, s14, v193
	s_delay_alu instid0(VALU_DEP_3) | instskip(SKIP_3) | instid1(VALU_DEP_1)
	v_xor_b32_e32 v181, s15, v181
	ds_load_b32 v180, v182 offset:32
	v_add_nc_u32_e32 v182, 32, v182
	; wave barrier
	v_bitop3_b32 v183, v183, v181, v192 bitop3:0x80
	v_mbcnt_lo_u32_b32 v181, v183, 0
	v_cmp_ne_u32_e64 s15, 0, v183
	s_delay_alu instid0(VALU_DEP_2) | instskip(SKIP_1) | instid1(SALU_CYCLE_1)
	v_cmp_eq_u32_e64 s14, 0, v181
	s_and_b32 s15, s15, s14
	s_and_saveexec_b32 s14, s15
	s_cbranch_execz .LBB803_73
; %bb.72:                               ;   in Loop: Header=BB803_53 Depth=1
	s_wait_dscnt 0x0
	v_bcnt_u32_b32 v183, v183, v180
	ds_store_b32 v182, v183
.LBB803_73:                             ;   in Loop: Header=BB803_53 Depth=1
	s_or_b32 exec_lo, exec_lo, s14
	v_lshrrev_b64 v[192:193], v10, v[98:99]
	; wave barrier
	s_delay_alu instid0(VALU_DEP_1) | instskip(SKIP_1) | instid1(VALU_DEP_2)
	v_and_b32_e32 v183, v192, v147
	v_bitop3_b32 v192, v192, 1, v147 bitop3:0x80
	v_lshlrev_b32_e32 v195, 30, v183
	s_delay_alu instid0(VALU_DEP_2) | instskip(NEXT) | instid1(VALU_DEP_1)
	v_add_co_u32 v192, s14, v192, -1
	v_cndmask_b32_e64 v194, 0, 1, s14
	s_delay_alu instid0(VALU_DEP_1) | instskip(NEXT) | instid1(VALU_DEP_4)
	v_cmp_ne_u32_e64 s14, 0, v194
	v_not_b32_e32 v194, v195
	s_delay_alu instid0(VALU_DEP_1)
	v_dual_ashrrev_i32 v194, 31, v194 :: v_dual_bitop2_b32 v192, s14, v192 bitop3:0x14
	v_dual_lshlrev_b32 v196, 29, v183 :: v_dual_lshlrev_b32 v197, 28, v183
	v_lshlrev_b32_e32 v198, 27, v183
	v_cmp_gt_i32_e64 s15, 0, v195
	s_set_vgpr_msb 16                       ;  msbs: dst=0 src0=0 src1=0 src2=1
	v_lshl_add_u32 v193, v183, 3, v41 /*v297*/
	v_cmp_gt_i32_e64 s16, 0, v196
	v_not_b32_e32 v195, v196
	v_not_b32_e32 v196, v197
	v_dual_lshlrev_b32 v199, 26, v183 :: v_dual_lshlrev_b32 v208, 25, v183
	v_lshlrev_b32_e32 v183, 24, v183
	v_cmp_gt_i32_e64 s17, 0, v197
	v_not_b32_e32 v197, v198
	v_dual_ashrrev_i32 v195, 31, v195 :: v_dual_ashrrev_i32 v196, 31, v196
	v_xor_b32_e32 v194, s15, v194
	v_cmp_gt_i32_e64 s18, 0, v198
	v_not_b32_e32 v198, v199
	s_delay_alu instid0(VALU_DEP_4)
	v_dual_ashrrev_i32 v197, 31, v197 :: v_dual_bitop2_b32 v195, s16, v195 bitop3:0x14
	v_xor_b32_e32 v196, s17, v196
	v_bitop3_b32 v192, v192, v194, exec_lo bitop3:0x80
	v_cmp_gt_i32_e64 s14, 0, v199
	v_ashrrev_i32_e32 v194, 31, v198
	v_not_b32_e32 v198, v208
	v_xor_b32_e32 v197, s18, v197
	s_set_vgpr_msb 0                        ;  msbs: dst=0 src0=0 src1=0 src2=0
	v_bitop3_b32 v192, v192, v196, v195 bitop3:0x80
	v_not_b32_e32 v195, v183
	v_cmp_gt_i32_e64 s15, 0, v183
	v_ashrrev_i32_e32 v196, 31, v198
	v_lshl_add_u32 v193, v193, 2, v12
	v_xor_b32_e32 v194, s14, v194
	v_cmp_gt_i32_e64 s14, 0, v208
	v_ashrrev_i32_e32 v183, 31, v195
	s_delay_alu instid0(VALU_DEP_1) | instskip(SKIP_4) | instid1(VALU_DEP_1)
	v_xor_b32_e32 v195, s15, v183
	ds_load_b32 v183, v193 offset:32
	v_add_nc_u32_e32 v193, 32, v193
	v_bitop3_b32 v192, v192, v194, v197 bitop3:0x80
	v_xor_b32_e32 v194, s14, v196
	; wave barrier
	v_bitop3_b32 v194, v192, v195, v194 bitop3:0x80
	s_delay_alu instid0(VALU_DEP_1) | instskip(SKIP_1) | instid1(VALU_DEP_2)
	v_mbcnt_lo_u32_b32 v192, v194, 0
	v_cmp_ne_u32_e64 s15, 0, v194
	v_cmp_eq_u32_e64 s14, 0, v192
	s_and_b32 s15, s15, s14
	s_delay_alu instid0(SALU_CYCLE_1)
	s_and_saveexec_b32 s14, s15
	s_cbranch_execz .LBB803_75
; %bb.74:                               ;   in Loop: Header=BB803_53 Depth=1
	s_wait_dscnt 0x0
	v_bcnt_u32_b32 v194, v194, v183
	ds_store_b32 v193, v194
.LBB803_75:                             ;   in Loop: Header=BB803_53 Depth=1
	s_or_b32 exec_lo, exec_lo, s14
	v_lshrrev_b64 v[194:195], v10, v[96:97]
	; wave barrier
	s_delay_alu instid0(VALU_DEP_1) | instskip(SKIP_1) | instid1(VALU_DEP_2)
	v_and_b32_e32 v195, v194, v147
	v_bitop3_b32 v194, v194, 1, v147 bitop3:0x80
	v_lshlrev_b32_e32 v198, 30, v195
	s_delay_alu instid0(VALU_DEP_2) | instskip(NEXT) | instid1(VALU_DEP_1)
	v_add_co_u32 v194, s14, v194, -1
	v_cndmask_b32_e64 v197, 0, 1, s14
	s_delay_alu instid0(VALU_DEP_1) | instskip(NEXT) | instid1(VALU_DEP_4)
	v_cmp_ne_u32_e64 s14, 0, v197
	v_not_b32_e32 v197, v198
	s_delay_alu instid0(VALU_DEP_1)
	v_dual_ashrrev_i32 v197, 31, v197 :: v_dual_bitop2_b32 v194, s14, v194 bitop3:0x14
	v_dual_lshlrev_b32 v199, 29, v195 :: v_dual_lshlrev_b32 v208, 28, v195
	v_lshlrev_b32_e32 v209, 27, v195
	v_cmp_gt_i32_e64 s15, 0, v198
	s_set_vgpr_msb 16                       ;  msbs: dst=0 src0=0 src1=0 src2=1
	v_lshl_add_u32 v196, v195, 3, v41 /*v297*/
	v_cmp_gt_i32_e64 s16, 0, v199
	v_not_b32_e32 v198, v199
	v_not_b32_e32 v199, v208
	v_dual_lshlrev_b32 v210, 26, v195 :: v_dual_lshlrev_b32 v211, 25, v195
	v_lshlrev_b32_e32 v195, 24, v195
	v_cmp_gt_i32_e64 s17, 0, v208
	v_not_b32_e32 v208, v209
	v_dual_ashrrev_i32 v198, 31, v198 :: v_dual_ashrrev_i32 v199, 31, v199
	v_xor_b32_e32 v197, s15, v197
	v_cmp_gt_i32_e64 s18, 0, v209
	v_not_b32_e32 v209, v210
	s_delay_alu instid0(VALU_DEP_4)
	v_dual_ashrrev_i32 v208, 31, v208 :: v_dual_bitop2_b32 v198, s16, v198 bitop3:0x14
	v_xor_b32_e32 v199, s17, v199
	v_bitop3_b32 v194, v194, v197, exec_lo bitop3:0x80
	v_cmp_gt_i32_e64 s14, 0, v210
	v_ashrrev_i32_e32 v197, 31, v209
	v_not_b32_e32 v209, v211
	v_xor_b32_e32 v208, s18, v208
	s_set_vgpr_msb 0                        ;  msbs: dst=0 src0=0 src1=0 src2=0
	v_bitop3_b32 v194, v194, v199, v198 bitop3:0x80
	v_not_b32_e32 v198, v195
	v_cmp_gt_i32_e64 s15, 0, v195
	v_ashrrev_i32_e32 v199, 31, v209
	v_lshl_add_u32 v196, v196, 2, v12
	v_xor_b32_e32 v197, s14, v197
	v_cmp_gt_i32_e64 s14, 0, v211
	v_ashrrev_i32_e32 v195, 31, v198
	s_delay_alu instid0(VALU_DEP_3) | instskip(NEXT) | instid1(VALU_DEP_3)
	v_bitop3_b32 v197, v194, v197, v208 bitop3:0x80
	v_xor_b32_e32 v198, s14, v199
	s_delay_alu instid0(VALU_DEP_3) | instskip(SKIP_3) | instid1(VALU_DEP_1)
	v_xor_b32_e32 v195, s15, v195
	ds_load_b32 v194, v196 offset:32
	v_add_nc_u32_e32 v196, 32, v196
	; wave barrier
	v_bitop3_b32 v197, v197, v195, v198 bitop3:0x80
	v_mbcnt_lo_u32_b32 v195, v197, 0
	v_cmp_ne_u32_e64 s15, 0, v197
	s_delay_alu instid0(VALU_DEP_2) | instskip(SKIP_1) | instid1(SALU_CYCLE_1)
	v_cmp_eq_u32_e64 s14, 0, v195
	s_and_b32 s15, s15, s14
	s_and_saveexec_b32 s14, s15
	s_cbranch_execz .LBB803_77
; %bb.76:                               ;   in Loop: Header=BB803_53 Depth=1
	s_wait_dscnt 0x0
	v_bcnt_u32_b32 v197, v197, v194
	ds_store_b32 v196, v197
.LBB803_77:                             ;   in Loop: Header=BB803_53 Depth=1
	s_or_b32 exec_lo, exec_lo, s14
	v_lshrrev_b64 v[198:199], v10, v[112:113]
	; wave barrier
	s_delay_alu instid0(VALU_DEP_1) | instskip(SKIP_1) | instid1(VALU_DEP_2)
	v_and_b32_e32 v197, v198, v147
	v_bitop3_b32 v198, v198, 1, v147 bitop3:0x80
	v_lshlrev_b32_e32 v209, 30, v197
	s_delay_alu instid0(VALU_DEP_2) | instskip(NEXT) | instid1(VALU_DEP_1)
	v_add_co_u32 v198, s14, v198, -1
	v_cndmask_b32_e64 v208, 0, 1, s14
	s_delay_alu instid0(VALU_DEP_1) | instskip(NEXT) | instid1(VALU_DEP_4)
	v_cmp_ne_u32_e64 s14, 0, v208
	v_not_b32_e32 v208, v209
	s_delay_alu instid0(VALU_DEP_1)
	v_dual_ashrrev_i32 v208, 31, v208 :: v_dual_bitop2_b32 v198, s14, v198 bitop3:0x14
	v_dual_lshlrev_b32 v210, 29, v197 :: v_dual_lshlrev_b32 v211, 28, v197
	v_lshlrev_b32_e32 v212, 27, v197
	v_cmp_gt_i32_e64 s15, 0, v209
	s_set_vgpr_msb 16                       ;  msbs: dst=0 src0=0 src1=0 src2=1
	v_lshl_add_u32 v199, v197, 3, v41 /*v297*/
	v_cmp_gt_i32_e64 s16, 0, v210
	v_not_b32_e32 v209, v210
	v_not_b32_e32 v210, v211
	v_dual_lshlrev_b32 v213, 26, v197 :: v_dual_lshlrev_b32 v214, 25, v197
	v_lshlrev_b32_e32 v197, 24, v197
	v_cmp_gt_i32_e64 s17, 0, v211
	v_not_b32_e32 v211, v212
	v_dual_ashrrev_i32 v209, 31, v209 :: v_dual_ashrrev_i32 v210, 31, v210
	v_xor_b32_e32 v208, s15, v208
	v_cmp_gt_i32_e64 s18, 0, v212
	v_not_b32_e32 v212, v213
	s_delay_alu instid0(VALU_DEP_4)
	v_dual_ashrrev_i32 v211, 31, v211 :: v_dual_bitop2_b32 v209, s16, v209 bitop3:0x14
	v_xor_b32_e32 v210, s17, v210
	v_bitop3_b32 v198, v198, v208, exec_lo bitop3:0x80
	v_cmp_gt_i32_e64 s14, 0, v213
	v_ashrrev_i32_e32 v208, 31, v212
	v_not_b32_e32 v212, v214
	v_xor_b32_e32 v211, s18, v211
	s_set_vgpr_msb 0                        ;  msbs: dst=0 src0=0 src1=0 src2=0
	v_bitop3_b32 v198, v198, v210, v209 bitop3:0x80
	v_not_b32_e32 v209, v197
	v_cmp_gt_i32_e64 s15, 0, v197
	v_ashrrev_i32_e32 v210, 31, v212
	v_lshl_add_u32 v199, v199, 2, v12
	v_xor_b32_e32 v208, s14, v208
	v_cmp_gt_i32_e64 s14, 0, v214
	v_ashrrev_i32_e32 v197, 31, v209
	s_delay_alu instid0(VALU_DEP_1) | instskip(SKIP_4) | instid1(VALU_DEP_1)
	v_xor_b32_e32 v209, s15, v197
	ds_load_b32 v197, v199 offset:32
	v_add_nc_u32_e32 v199, 32, v199
	v_bitop3_b32 v198, v198, v208, v211 bitop3:0x80
	v_xor_b32_e32 v208, s14, v210
	; wave barrier
	v_bitop3_b32 v208, v198, v209, v208 bitop3:0x80
	s_delay_alu instid0(VALU_DEP_1) | instskip(SKIP_1) | instid1(VALU_DEP_2)
	v_mbcnt_lo_u32_b32 v198, v208, 0
	v_cmp_ne_u32_e64 s15, 0, v208
	v_cmp_eq_u32_e64 s14, 0, v198
	s_and_b32 s15, s15, s14
	s_delay_alu instid0(SALU_CYCLE_1)
	s_and_saveexec_b32 s14, s15
	s_cbranch_execz .LBB803_79
; %bb.78:                               ;   in Loop: Header=BB803_53 Depth=1
	s_wait_dscnt 0x0
	v_bcnt_u32_b32 v208, v208, v197
	ds_store_b32 v199, v208
.LBB803_79:                             ;   in Loop: Header=BB803_53 Depth=1
	s_or_b32 exec_lo, exec_lo, s14
	v_lshrrev_b64 v[208:209], v10, v[102:103]
	; wave barrier
	s_delay_alu instid0(VALU_DEP_1) | instskip(SKIP_1) | instid1(VALU_DEP_2)
	v_and_b32_e32 v209, v208, v147
	v_bitop3_b32 v208, v208, 1, v147 bitop3:0x80
	v_dual_lshlrev_b32 v212, 30, v209 :: v_dual_lshlrev_b32 v213, 29, v209
	s_delay_alu instid0(VALU_DEP_2) | instskip(NEXT) | instid1(VALU_DEP_1)
	v_add_co_u32 v208, s14, v208, -1
	v_cndmask_b32_e64 v211, 0, 1, s14
	s_delay_alu instid0(VALU_DEP_3) | instskip(NEXT) | instid1(VALU_DEP_4)
	v_cmp_gt_i32_e64 s15, 0, v212
	v_cmp_gt_i32_e64 s16, 0, v213
	s_delay_alu instid0(VALU_DEP_3) | instskip(SKIP_2) | instid1(VALU_DEP_1)
	v_cmp_ne_u32_e64 s14, 0, v211
	v_not_b32_e32 v211, v212
	v_not_b32_e32 v212, v213
	v_dual_ashrrev_i32 v211, 31, v211 :: v_dual_ashrrev_i32 v212, 31, v212
	v_dual_lshlrev_b32 v214, 28, v209 :: v_dual_lshlrev_b32 v215, 27, v209
	s_set_vgpr_msb 16                       ;  msbs: dst=0 src0=0 src1=0 src2=1
	v_lshl_add_u32 v210, v209, 3, v41 /*v297*/
	v_dual_lshlrev_b32 v224, 26, v209 :: v_dual_lshlrev_b32 v225, 25, v209
	v_lshlrev_b32_e32 v209, 24, v209
	v_not_b32_e32 v213, v214
	v_cmp_gt_i32_e64 s17, 0, v214
	v_not_b32_e32 v214, v215
	v_xor_b32_e32 v208, s14, v208
	s_delay_alu instid0(VALU_DEP_4) | instskip(SKIP_3) | instid1(VALU_DEP_4)
	v_dual_ashrrev_i32 v213, 31, v213 :: v_dual_bitop2_b32 v211, s15, v211 bitop3:0x14
	v_cmp_gt_i32_e64 s18, 0, v215
	v_not_b32_e32 v215, v224
	v_dual_ashrrev_i32 v214, 31, v214 :: v_dual_bitop2_b32 v212, s16, v212 bitop3:0x14
	v_xor_b32_e32 v213, s17, v213
	v_bitop3_b32 v208, v208, v211, exec_lo bitop3:0x80
	v_cmp_gt_i32_e64 s14, 0, v224
	v_ashrrev_i32_e32 v211, 31, v215
	v_not_b32_e32 v215, v225
	v_xor_b32_e32 v214, s18, v214
	s_set_vgpr_msb 0                        ;  msbs: dst=0 src0=0 src1=0 src2=0
	v_bitop3_b32 v208, v208, v213, v212 bitop3:0x80
	v_not_b32_e32 v212, v209
	v_cmp_gt_i32_e64 s15, 0, v209
	v_ashrrev_i32_e32 v213, 31, v215
	v_lshl_add_u32 v210, v210, 2, v12
	v_xor_b32_e32 v211, s14, v211
	v_cmp_gt_i32_e64 s14, 0, v225
	v_ashrrev_i32_e32 v209, 31, v212
	s_delay_alu instid0(VALU_DEP_3) | instskip(NEXT) | instid1(VALU_DEP_3)
	v_bitop3_b32 v211, v208, v211, v214 bitop3:0x80
	v_xor_b32_e32 v212, s14, v213
	s_delay_alu instid0(VALU_DEP_3) | instskip(SKIP_3) | instid1(VALU_DEP_1)
	v_xor_b32_e32 v209, s15, v209
	ds_load_b32 v208, v210 offset:32
	v_add_nc_u32_e32 v210, 32, v210
	; wave barrier
	v_bitop3_b32 v211, v211, v209, v212 bitop3:0x80
	v_mbcnt_lo_u32_b32 v209, v211, 0
	v_cmp_ne_u32_e64 s15, 0, v211
	s_delay_alu instid0(VALU_DEP_2) | instskip(SKIP_1) | instid1(SALU_CYCLE_1)
	v_cmp_eq_u32_e64 s14, 0, v209
	s_and_b32 s15, s15, s14
	s_and_saveexec_b32 s14, s15
	s_cbranch_execz .LBB803_81
; %bb.80:                               ;   in Loop: Header=BB803_53 Depth=1
	s_wait_dscnt 0x0
	v_bcnt_u32_b32 v211, v211, v208
	ds_store_b32 v210, v211
.LBB803_81:                             ;   in Loop: Header=BB803_53 Depth=1
	s_or_b32 exec_lo, exec_lo, s14
	v_lshrrev_b64 v[212:213], v10, v[100:101]
	; wave barrier
	s_delay_alu instid0(VALU_DEP_1) | instskip(SKIP_1) | instid1(VALU_DEP_2)
	v_and_b32_e32 v211, v212, v147
	v_bitop3_b32 v212, v212, 1, v147 bitop3:0x80
	v_lshlrev_b32_e32 v215, 30, v211
	s_delay_alu instid0(VALU_DEP_2) | instskip(NEXT) | instid1(VALU_DEP_1)
	v_add_co_u32 v212, s14, v212, -1
	v_cndmask_b32_e64 v214, 0, 1, s14
	s_delay_alu instid0(VALU_DEP_1) | instskip(NEXT) | instid1(VALU_DEP_4)
	v_cmp_ne_u32_e64 s14, 0, v214
	v_not_b32_e32 v214, v215
	s_delay_alu instid0(VALU_DEP_1)
	v_dual_ashrrev_i32 v214, 31, v214 :: v_dual_bitop2_b32 v212, s14, v212 bitop3:0x14
	v_dual_lshlrev_b32 v224, 29, v211 :: v_dual_lshlrev_b32 v225, 28, v211
	v_lshlrev_b32_e32 v226, 27, v211
	v_cmp_gt_i32_e64 s15, 0, v215
	s_set_vgpr_msb 16                       ;  msbs: dst=0 src0=0 src1=0 src2=1
	v_lshl_add_u32 v213, v211, 3, v41 /*v297*/
	v_cmp_gt_i32_e64 s16, 0, v224
	v_not_b32_e32 v215, v224
	v_not_b32_e32 v224, v225
	v_dual_lshlrev_b32 v227, 26, v211 :: v_dual_lshlrev_b32 v228, 25, v211
	v_lshlrev_b32_e32 v211, 24, v211
	v_cmp_gt_i32_e64 s17, 0, v225
	v_not_b32_e32 v225, v226
	v_dual_ashrrev_i32 v215, 31, v215 :: v_dual_ashrrev_i32 v224, 31, v224
	v_xor_b32_e32 v214, s15, v214
	v_cmp_gt_i32_e64 s18, 0, v226
	v_not_b32_e32 v226, v227
	s_delay_alu instid0(VALU_DEP_4)
	v_dual_ashrrev_i32 v225, 31, v225 :: v_dual_bitop2_b32 v215, s16, v215 bitop3:0x14
	v_xor_b32_e32 v224, s17, v224
	v_bitop3_b32 v212, v212, v214, exec_lo bitop3:0x80
	v_cmp_gt_i32_e64 s14, 0, v227
	v_ashrrev_i32_e32 v214, 31, v226
	v_not_b32_e32 v226, v228
	v_xor_b32_e32 v225, s18, v225
	s_set_vgpr_msb 0                        ;  msbs: dst=0 src0=0 src1=0 src2=0
	v_bitop3_b32 v212, v212, v224, v215 bitop3:0x80
	v_not_b32_e32 v215, v211
	v_cmp_gt_i32_e64 s15, 0, v211
	v_ashrrev_i32_e32 v224, 31, v226
	v_lshl_add_u32 v213, v213, 2, v12
	v_xor_b32_e32 v214, s14, v214
	v_cmp_gt_i32_e64 s14, 0, v228
	v_ashrrev_i32_e32 v211, 31, v215
	s_delay_alu instid0(VALU_DEP_1) | instskip(SKIP_4) | instid1(VALU_DEP_1)
	v_xor_b32_e32 v215, s15, v211
	ds_load_b32 v211, v213 offset:32
	v_add_nc_u32_e32 v213, 32, v213
	v_bitop3_b32 v212, v212, v214, v225 bitop3:0x80
	v_xor_b32_e32 v214, s14, v224
	; wave barrier
	v_bitop3_b32 v214, v212, v215, v214 bitop3:0x80
	s_delay_alu instid0(VALU_DEP_1) | instskip(SKIP_1) | instid1(VALU_DEP_2)
	v_mbcnt_lo_u32_b32 v212, v214, 0
	v_cmp_ne_u32_e64 s15, 0, v214
	v_cmp_eq_u32_e64 s14, 0, v212
	s_and_b32 s15, s15, s14
	s_delay_alu instid0(SALU_CYCLE_1)
	s_and_saveexec_b32 s14, s15
	s_cbranch_execz .LBB803_83
; %bb.82:                               ;   in Loop: Header=BB803_53 Depth=1
	s_wait_dscnt 0x0
	v_bcnt_u32_b32 v214, v214, v211
	ds_store_b32 v213, v214
.LBB803_83:                             ;   in Loop: Header=BB803_53 Depth=1
	s_or_b32 exec_lo, exec_lo, s14
	v_lshrrev_b64 v[214:215], v10, v[114:115]
	; wave barrier
	s_delay_alu instid0(VALU_DEP_1) | instskip(SKIP_1) | instid1(VALU_DEP_2)
	v_and_b32_e32 v215, v214, v147
	v_bitop3_b32 v147, v214, 1, v147 bitop3:0x80
	v_lshlrev_b32_e32 v225, 30, v215
	s_delay_alu instid0(VALU_DEP_2) | instskip(NEXT) | instid1(VALU_DEP_1)
	v_add_co_u32 v147, s14, v147, -1
	v_cndmask_b32_e64 v224, 0, 1, s14
	s_delay_alu instid0(VALU_DEP_1) | instskip(NEXT) | instid1(VALU_DEP_4)
	v_cmp_ne_u32_e64 s14, 0, v224
	v_not_b32_e32 v224, v225
	s_delay_alu instid0(VALU_DEP_1)
	v_dual_ashrrev_i32 v224, 31, v224 :: v_dual_lshlrev_b32 v226, 29, v215
	v_dual_lshlrev_b32 v227, 28, v215 :: v_dual_lshlrev_b32 v228, 27, v215
	v_cmp_gt_i32_e64 s15, 0, v225
	s_set_vgpr_msb 16                       ;  msbs: dst=0 src0=0 src1=0 src2=1
	v_lshl_add_u32 v214, v215, 3, v41 /*v297*/
	v_cmp_gt_i32_e64 s16, 0, v226
	v_not_b32_e32 v225, v226
	v_not_b32_e32 v226, v227
	v_dual_lshlrev_b32 v229, 26, v215 :: v_dual_lshlrev_b32 v230, 25, v215
	s_delay_alu instid0(VALU_DEP_3)
	v_dual_lshlrev_b32 v215, 24, v215 :: v_dual_ashrrev_i32 v225, 31, v225
	v_cmp_gt_i32_e64 s17, 0, v227
	v_not_b32_e32 v227, v228
	v_dual_ashrrev_i32 v226, 31, v226 :: v_dual_bitop2_b32 v147, s14, v147 bitop3:0x14
	v_xor_b32_e32 v224, s15, v224
	v_cmp_gt_i32_e64 s18, 0, v228
	v_not_b32_e32 v228, v229
	v_dual_ashrrev_i32 v227, 31, v227 :: v_dual_bitop2_b32 v225, s16, v225 bitop3:0x14
	v_xor_b32_e32 v226, s17, v226
	v_bitop3_b32 v147, v147, v224, exec_lo bitop3:0x80
	v_cmp_gt_i32_e64 s14, 0, v229
	v_ashrrev_i32_e32 v224, 31, v228
	v_not_b32_e32 v228, v230
	v_xor_b32_e32 v227, s18, v227
	s_set_vgpr_msb 0                        ;  msbs: dst=0 src0=0 src1=0 src2=0
	v_bitop3_b32 v147, v147, v226, v225 bitop3:0x80
	v_not_b32_e32 v225, v215
	v_cmp_gt_i32_e64 s15, 0, v215
	s_delay_alu instid0(VALU_DEP_2) | instskip(SKIP_3) | instid1(VALU_DEP_4)
	v_dual_ashrrev_i32 v226, 31, v228 :: v_dual_ashrrev_i32 v215, 31, v225
	v_lshl_add_u32 v225, v214, 2, v12
	v_xor_b32_e32 v224, s14, v224
	v_cmp_gt_i32_e64 s14, 0, v230
	v_xor_b32_e32 v215, s15, v215
	s_delay_alu instid0(VALU_DEP_3) | instskip(NEXT) | instid1(VALU_DEP_3)
	v_bitop3_b32 v214, v147, v224, v227 bitop3:0x80
	v_xor_b32_e32 v224, s14, v226
	ds_load_b32 v147, v225 offset:32
	; wave barrier
	v_bitop3_b32 v224, v214, v215, v224 bitop3:0x80
	v_add_nc_u32_e32 v215, 32, v225
	s_delay_alu instid0(VALU_DEP_2) | instskip(SKIP_1) | instid1(VALU_DEP_2)
	v_mbcnt_lo_u32_b32 v214, v224, 0
	v_cmp_ne_u32_e64 s15, 0, v224
	v_cmp_eq_u32_e64 s14, 0, v214
	s_and_b32 s15, s15, s14
	s_delay_alu instid0(SALU_CYCLE_1)
	s_and_saveexec_b32 s14, s15
	s_cbranch_execz .LBB803_85
; %bb.84:                               ;   in Loop: Header=BB803_53 Depth=1
	s_wait_dscnt 0x0
	v_bcnt_u32_b32 v224, v224, v147
	ds_store_b32 v215, v224
.LBB803_85:                             ;   in Loop: Header=BB803_53 Depth=1
	s_or_b32 exec_lo, exec_lo, s14
	; wave barrier
	s_wait_dscnt 0x0
	s_barrier_signal -1
	s_barrier_wait -1
	ds_load_b32 v228, v23
	ds_load_b32 v229, v39
	s_set_vgpr_msb 1                        ;  msbs: dst=0 src0=1 src1=0 src2=0
	ds_load_b32 v230, v35 /*v291*/
	ds_load_b32 v227, v36 /*v292*/
	;; [unrolled: 1-line block ×6, first 2 shown]
	s_wait_dscnt 0x6
	s_set_vgpr_msb 0                        ;  msbs: dst=0 src0=0 src1=0 src2=0
	v_add_nc_u32_e32 v240, v229, v228
	s_wait_dscnt 0x4
	s_delay_alu instid0(VALU_DEP_1) | instskip(SKIP_1) | instid1(VALU_DEP_1)
	v_add3_u32 v240, v240, v230, v227
	s_wait_dscnt 0x2
	v_add3_u32 v240, v240, v226, v225
	s_wait_dscnt 0x0
	s_delay_alu instid0(VALU_DEP_1) | instskip(NEXT) | instid1(VALU_DEP_1)
	v_add3_u32 v231, v240, v224, v231
	v_mov_b32_dpp v240, v231 row_shr:1 row_mask:0xf bank_mask:0xf
	s_delay_alu instid0(VALU_DEP_1) | instskip(NEXT) | instid1(VALU_DEP_1)
	v_cndmask_b32_e64 v240, v240, 0, vcc_lo
	v_add_nc_u32_e32 v231, v240, v231
	s_delay_alu instid0(VALU_DEP_1) | instskip(NEXT) | instid1(VALU_DEP_1)
	v_mov_b32_dpp v240, v231 row_shr:2 row_mask:0xf bank_mask:0xf
	v_cndmask_b32_e64 v240, 0, v240, s0
	s_delay_alu instid0(VALU_DEP_1) | instskip(NEXT) | instid1(VALU_DEP_1)
	v_add_nc_u32_e32 v231, v231, v240
	v_mov_b32_dpp v240, v231 row_shr:4 row_mask:0xf bank_mask:0xf
	s_delay_alu instid0(VALU_DEP_1) | instskip(NEXT) | instid1(VALU_DEP_1)
	v_cndmask_b32_e64 v240, 0, v240, s1
	v_add_nc_u32_e32 v231, v231, v240
	s_delay_alu instid0(VALU_DEP_1) | instskip(NEXT) | instid1(VALU_DEP_1)
	v_mov_b32_dpp v240, v231 row_shr:8 row_mask:0xf bank_mask:0xf
	v_cndmask_b32_e64 v240, 0, v240, s3
	s_delay_alu instid0(VALU_DEP_1) | instskip(SKIP_3) | instid1(VALU_DEP_1)
	v_add_nc_u32_e32 v231, v231, v240
	ds_swizzle_b32 v240, v231 offset:swizzle(BROADCAST,32,15)
	s_wait_dscnt 0x0
	v_cndmask_b32_e64 v240, v240, 0, s4
	v_add_nc_u32_e32 v231, v231, v240
	s_and_saveexec_b32 s14, s5
; %bb.86:                               ;   in Loop: Header=BB803_53 Depth=1
	s_set_vgpr_msb 1                        ;  msbs: dst=0 src0=1 src1=0 src2=0
	ds_store_b32 v43 /*v299*/, v231
; %bb.87:                               ;   in Loop: Header=BB803_53 Depth=1
	s_or_b32 exec_lo, exec_lo, s14
	s_wait_dscnt 0x0
	s_barrier_signal -1
	s_barrier_wait -1
	s_and_saveexec_b32 s14, s6
	s_set_vgpr_msb 0                        ;  msbs: dst=0 src0=0 src1=0 src2=0
	s_cbranch_execz .LBB803_89
; %bb.88:                               ;   in Loop: Header=BB803_53 Depth=1
	s_set_vgpr_msb 1                        ;  msbs: dst=0 src0=1 src1=0 src2=0
	ds_load_b32 v240, v44 /*v300*/
	s_wait_dscnt 0x0
	s_set_vgpr_msb 0                        ;  msbs: dst=0 src0=0 src1=0 src2=0
	v_mov_b32_dpp v241, v240 row_shr:1 row_mask:0xf bank_mask:0xf
	s_delay_alu instid0(VALU_DEP_1) | instskip(NEXT) | instid1(VALU_DEP_1)
	v_cndmask_b32_e64 v241, v241, 0, s11
	v_add_nc_u32_e32 v240, v241, v240
	s_delay_alu instid0(VALU_DEP_1) | instskip(NEXT) | instid1(VALU_DEP_1)
	v_mov_b32_dpp v241, v240 row_shr:2 row_mask:0xf bank_mask:0xf
	v_cndmask_b32_e64 v241, 0, v241, s12
	s_delay_alu instid0(VALU_DEP_1) | instskip(NEXT) | instid1(VALU_DEP_1)
	v_add_nc_u32_e32 v240, v240, v241
	v_mov_b32_dpp v241, v240 row_shr:4 row_mask:0xf bank_mask:0xf
	s_delay_alu instid0(VALU_DEP_1) | instskip(NEXT) | instid1(VALU_DEP_1)
	v_cndmask_b32_e64 v241, 0, v241, s13
	v_add_nc_u32_e32 v240, v240, v241
	s_set_vgpr_msb 1                        ;  msbs: dst=0 src0=1 src1=0 src2=0
	ds_store_b32 v44 /*v300*/, v240
.LBB803_89:                             ;   in Loop: Header=BB803_53 Depth=1
	s_or_b32 exec_lo, exec_lo, s14
	s_set_vgpr_msb 0                        ;  msbs: dst=0 src0=0 src1=0 src2=0
	v_mov_b32_e32 v240, 0
	s_wait_dscnt 0x0
	s_barrier_signal -1
	s_barrier_wait -1
	s_and_saveexec_b32 s14, s7
; %bb.90:                               ;   in Loop: Header=BB803_53 Depth=1
	s_set_vgpr_msb 1                        ;  msbs: dst=0 src0=1 src1=0 src2=0
	ds_load_b32 v240, v46 /*v302*/
; %bb.91:                               ;   in Loop: Header=BB803_53 Depth=1
	s_or_b32 exec_lo, exec_lo, s14
	s_wait_dscnt 0x0
	s_set_vgpr_msb 0                        ;  msbs: dst=0 src0=0 src1=0 src2=0
	v_dual_add_nc_u32 v231, v240, v231 :: v_dual_add_nc_u32 v10, 8, v10
	v_dual_mov_b32 v245, v1 :: v_dual_mov_b32 v247, v1
	s_set_vgpr_msb 64                       ;  msbs: dst=1 src0=0 src1=0 src2=0
	v_dual_mov_b32 v1 /*v257*/, v1 :: v_dual_mov_b32 v21 /*v277*/, v1
	s_set_vgpr_msb 1                        ;  msbs: dst=0 src0=1 src1=0 src2=0
	ds_bpermute_b32 v231, v42 /*v298*/, v231
	s_set_vgpr_msb 64                       ;  msbs: dst=1 src0=0 src1=0 src2=0
	v_dual_mov_b32 v23 /*v279*/, v1 :: v_dual_mov_b32 v25 /*v281*/, v1
	s_mov_b32 s16, -1
	s_wait_dscnt 0x0
	s_set_vgpr_msb 0                        ;  msbs: dst=0 src0=0 src1=0 src2=0
	v_dual_mov_b32 v243, v1 :: v_dual_cndmask_b32 v231, v231, v240, s2
	s_delay_alu instid0(VALU_DEP_1) | instskip(SKIP_2) | instid1(VALU_DEP_3)
	v_cndmask_b32_e64 v240, v231, 0, s10
	v_mov_b32_e32 v231, v1
	v_cmp_lt_u32_e64 s14, v10, v11
	v_add_nc_u32_e32 v228, v240, v228
	s_delay_alu instid0(VALU_DEP_1)
	v_dual_mov_b32 v229, v1 :: v_dual_add_nc_u32 v242, v228, v229
	ds_store_b32 v23, v240
	ds_store_b32 v39, v228
	s_set_vgpr_msb 1                        ;  msbs: dst=0 src0=1 src1=0 src2=0
	ds_store_b32 v35 /*v291*/, v242
	s_set_vgpr_msb 0                        ;  msbs: dst=0 src0=0 src1=0 src2=0
	v_dual_mov_b32 v241, v1 :: v_dual_add_nc_u32 v230, v242, v230
	s_delay_alu instid0(VALU_DEP_1) | instskip(NEXT) | instid1(VALU_DEP_1)
	v_dual_mov_b32 v227, v1 :: v_dual_add_nc_u32 v244, v230, v227
	v_add_nc_u32_e32 v226, v244, v226
	s_delay_alu instid0(VALU_DEP_1) | instskip(NEXT) | instid1(VALU_DEP_1)
	v_dual_mov_b32 v225, v1 :: v_dual_add_nc_u32 v246, v226, v225
	v_add_nc_u32_e32 v224, v246, v224
	s_set_vgpr_msb 1                        ;  msbs: dst=0 src0=1 src1=0 src2=0
	ds_store_b32 v36 /*v292*/, v230
	ds_store_b32 v37 /*v293*/, v244
	;; [unrolled: 1-line block ×5, first 2 shown]
	s_wait_dscnt 0x0
	s_barrier_signal -1
	s_barrier_wait -1
	s_set_vgpr_msb 0                        ;  msbs: dst=0 src0=0 src1=0 src2=0
	ds_load_b32 v130, v130
	ds_load_b32 v224, v133
	;; [unrolled: 1-line block ×16, first 2 shown]
	v_dual_mov_b32 v133, v1 :: v_dual_mov_b32 v151, v1
	v_mov_b32_e32 v165, v1
	s_wait_dscnt 0x0
	v_add_nc_u32_e32 v0, v130, v0
	v_add3_u32 v228, v132, v131, v224
	v_add3_u32 v230, v135, v134, v144
	;; [unrolled: 1-line block ×7, first 2 shown]
	s_set_vgpr_msb 64                       ;  msbs: dst=1 src0=0 src1=0 src2=0
	v_add3_u32 v0 /*v256*/, v178, v177, v179
	v_add3_u32 v20 /*v276*/, v181, v180, v182
	;; [unrolled: 1-line block ×4, first 2 shown]
	s_set_vgpr_msb 0                        ;  msbs: dst=0 src0=0 src1=0 src2=0
	v_add3_u32 v224, v198, v197, v199
	v_add3_u32 v132, v209, v208, v210
	;; [unrolled: 1-line block ×4, first 2 shown]
	s_set_vgpr_msb 64                       ;  msbs: dst=1 src0=0 src1=0 src2=0
	v_lshl_add_u64 v[2:3] /*v[258:259]*/, v[0:1], 3, v[12:13]
	v_lshl_add_u64 v[4:5] /*v[260:261]*/, v[228:229], 3, v[12:13]
	;; [unrolled: 1-line block ×8, first 2 shown]
	s_set_vgpr_msb 0x41                     ;  msbs: dst=1 src0=1 src1=0 src2=0
	v_lshl_add_u64 v[18:19] /*v[274:275]*/, v[0:1] /*v[256:257]*/, 3, v[12:13]
	v_lshl_add_u64 v[20:21] /*v[276:277]*/, v[20:21] /*v[276:277]*/, 3, v[12:13]
	;; [unrolled: 1-line block ×4, first 2 shown]
	s_set_vgpr_msb 64                       ;  msbs: dst=1 src0=0 src1=0 src2=0
	v_lshl_add_u64 v[26:27] /*v[282:283]*/, v[224:225], 3, v[12:13]
	v_lshl_add_u64 v[28:29] /*v[284:285]*/, v[132:133], 3, v[12:13]
	;; [unrolled: 1-line block ×4, first 2 shown]
                                        ; implicit-def: $vgpr194_vgpr195
                                        ; implicit-def: $vgpr196_vgpr197
                                        ; implicit-def: $vgpr198_vgpr199
                                        ; implicit-def: $vgpr208_vgpr209
                                        ; implicit-def: $vgpr210_vgpr211
                                        ; implicit-def: $vgpr212_vgpr213
                                        ; implicit-def: $vgpr214_vgpr215
                                        ; implicit-def: $vgpr224_vgpr225
                                        ; implicit-def: $vgpr226_vgpr227
                                        ; implicit-def: $vgpr228_vgpr229
                                        ; implicit-def: $vgpr240_vgpr241
                                        ; implicit-def: $vgpr230_vgpr231
                                        ; implicit-def: $vgpr242_vgpr243
                                        ; implicit-def: $vgpr244_vgpr245
                                        ; implicit-def: $vgpr246_vgpr247
                                        ; implicit-def: $vgpr256_vgpr257
                                        ; implicit-def: $vgpr132_vgpr133
                                        ; implicit-def: $vgpr130_vgpr131
                                        ; implicit-def: $vgpr144_vgpr145
                                        ; implicit-def: $vgpr134_vgpr135
                                        ; implicit-def: $vgpr148_vgpr149
                                        ; implicit-def: $vgpr146_vgpr147
                                        ; implicit-def: $vgpr160_vgpr161
                                        ; implicit-def: $vgpr150_vgpr151
                                        ; implicit-def: $vgpr176_vgpr177
                                        ; implicit-def: $vgpr166_vgpr167
                                        ; implicit-def: $vgpr164_vgpr165
                                        ; implicit-def: $vgpr162_vgpr163
                                        ; implicit-def: $vgpr180_vgpr181
                                        ; implicit-def: $vgpr178_vgpr179
                                        ; implicit-def: $vgpr192_vgpr193
                                        ; implicit-def: $vgpr182_vgpr183
	s_and_saveexec_b32 s15, s14
	s_set_vgpr_msb 0                        ;  msbs: dst=0 src0=0 src1=0 src2=0
	s_cbranch_execz .LBB803_52
; %bb.92:                               ;   in Loop: Header=BB803_53 Depth=1
	s_barrier_signal -1
	s_barrier_wait -1
	s_set_vgpr_msb 1                        ;  msbs: dst=0 src0=1 src1=0 src2=0
	ds_store_b64 v2 /*v258*/, v[48:49]
	ds_store_b64 v4 /*v260*/, v[64:65]
	;; [unrolled: 1-line block ×16, first 2 shown]
	s_wait_dscnt 0x0
	s_barrier_signal -1
	s_barrier_wait -1
	ds_load_b64 v[132:133], v45 /*v301*/
	ds_load_b64 v[130:131], v47 /*v303*/
	;; [unrolled: 1-line block ×16, first 2 shown]
	s_wait_dscnt 0x0
	s_barrier_signal -1
	s_barrier_wait -1
	ds_store_b64 v2 /*v258*/, v[32:33]
	ds_store_b64 v4 /*v260*/, v[30:31]
	;; [unrolled: 1-line block ×16, first 2 shown]
	s_wait_dscnt 0x0
	s_barrier_signal -1
	s_barrier_wait -1
	ds_load_b64 v[194:195], v45 /*v301*/
	ds_load_b64 v[196:197], v47 /*v303*/
	;; [unrolled: 1-line block ×15, first 2 shown]
	s_set_vgpr_msb 0x41                     ;  msbs: dst=1 src0=1 src1=0 src2=0
	ds_load_b64 v[0:1] /*v[256:257]*/, v61 /*v317*/
	s_set_vgpr_msb 0x44                     ;  msbs: dst=1 src0=0 src1=1 src2=0
	v_add_nc_u32_e32 v62 /*v318*/, -8, v62 /*v318*/
	s_xor_b32 s16, exec_lo, -1
	s_wait_dscnt 0x0
	s_barrier_signal -1
	s_barrier_wait -1
	s_set_vgpr_msb 0                        ;  msbs: dst=0 src0=0 src1=0 src2=0
	s_branch .LBB803_52
.LBB803_93:
	s_or_b32 exec_lo, exec_lo, s23
	v_lshl_add_u32 v0, v22, 3, v12
	s_barrier_signal -1
	s_barrier_wait -1
	s_set_vgpr_msb 1                        ;  msbs: dst=0 src0=1 src1=0 src2=0
	ds_store_b64 v2 /*v258*/, v[48:49]
	ds_store_b64 v4 /*v260*/, v[64:65]
	;; [unrolled: 1-line block ×16, first 2 shown]
	s_wait_dscnt 0x0
	s_barrier_signal -1
	s_barrier_wait -1
	s_set_vgpr_msb 0                        ;  msbs: dst=0 src0=0 src1=0 src2=0
	ds_load_2addr_stride64_b64 v[112:115], v0 offset1:4
	ds_load_2addr_stride64_b64 v[100:103], v0 offset0:8 offset1:12
	ds_load_2addr_stride64_b64 v[96:99], v0 offset0:16 offset1:20
	;; [unrolled: 1-line block ×7, first 2 shown]
	s_wait_dscnt 0x0
	s_barrier_signal -1
	s_barrier_wait -1
	s_set_vgpr_msb 1                        ;  msbs: dst=0 src0=1 src1=0 src2=0
	ds_store_b64 v2 /*v258*/, v[32:33]
	ds_store_b64 v4 /*v260*/, v[30:31]
	;; [unrolled: 1-line block ×16, first 2 shown]
	s_wait_dscnt 0x0
	s_barrier_signal -1
	s_barrier_wait -1
	s_set_vgpr_msb 4                        ;  msbs: dst=0 src0=0 src1=1 src2=0
	ds_load_2addr_stride64_b64 v[52:55], v0 offset1:4
	ds_load_2addr_stride64_b64 v[34:37], v0 offset0:8 offset1:12
	ds_load_2addr_stride64_b64 v[30:33], v0 offset0:16 offset1:20
	;; [unrolled: 1-line block ×7, first 2 shown]
	v_lshl_add_u64 v[0:1], v[8:9], 3, v[2:3]
	v_mov_b32_e32 v39, 0
	v_cmp_lt_u32_e32 vcc_lo, v38, v34 /*v290*/
	s_wait_dscnt 0x0
	s_barrier_signal -1
	s_barrier_wait -1
	v_lshl_add_u64 v[0:1], v[38:39], 3, v[0:1]
	s_and_saveexec_b32 s0, vcc_lo
	s_set_vgpr_msb 0                        ;  msbs: dst=0 src0=0 src1=0 src2=0
	s_cbranch_execz .LBB803_95
; %bb.94:
	v_xor_b32_e32 v113, 0x80000000, v113
	flat_store_b64 v[0:1], v[112:113]
.LBB803_95:
	s_wait_xcnt 0x0
	s_or_b32 exec_lo, exec_lo, s0
	v_add_nc_u32_e32 v2, 0x100, v38
	s_set_vgpr_msb 4                        ;  msbs: dst=0 src0=0 src1=1 src2=0
	s_delay_alu instid0(VALU_DEP_1)
	v_cmp_lt_u32_e64 s0, v2, v34 /*v290*/
	s_and_saveexec_b32 s1, s0
	s_set_vgpr_msb 0                        ;  msbs: dst=0 src0=0 src1=0 src2=0
	s_cbranch_execz .LBB803_97
; %bb.96:
	v_xor_b32_e32 v115, 0x80000000, v115
	flat_store_b64 v[0:1], v[114:115] offset:2048
.LBB803_97:
	s_wait_xcnt 0x0
	s_or_b32 exec_lo, exec_lo, s1
	v_add_nc_u32_e32 v2, 0x200, v38
	s_set_vgpr_msb 4                        ;  msbs: dst=0 src0=0 src1=1 src2=0
	s_delay_alu instid0(VALU_DEP_1)
	v_cmp_lt_u32_e64 s1, v2, v34 /*v290*/
	s_and_saveexec_b32 s2, s1
	s_set_vgpr_msb 0                        ;  msbs: dst=0 src0=0 src1=0 src2=0
	s_cbranch_execz .LBB803_99
; %bb.98:
	v_xor_b32_e32 v101, 0x80000000, v101
	flat_store_b64 v[0:1], v[100:101] offset:4096
.LBB803_99:
	;; [unrolled: 13-line block ×15, first 2 shown]
	s_wait_xcnt 0x0
	s_or_b32 exec_lo, exec_lo, s17
	v_lshl_add_u64 v[0:1], v[8:9], 3, v[6:7]
	s_delay_alu instid0(VALU_DEP_1)
	v_lshl_add_u64 v[0:1], v[38:39], 3, v[0:1]
	s_and_saveexec_b32 s17, vcc_lo
	s_cbranch_execnz .LBB803_211
; %bb.126:
	s_or_b32 exec_lo, exec_lo, s17
	s_and_saveexec_b32 s17, s0
	s_cbranch_execnz .LBB803_212
.LBB803_127:
	s_or_b32 exec_lo, exec_lo, s17
	s_and_saveexec_b32 s0, s1
	s_cbranch_execnz .LBB803_213
.LBB803_128:
	s_or_b32 exec_lo, exec_lo, s0
	s_and_saveexec_b32 s0, s2
	s_cbranch_execnz .LBB803_214
.LBB803_129:
	s_or_b32 exec_lo, exec_lo, s0
	s_and_saveexec_b32 s0, s3
	s_cbranch_execnz .LBB803_215
.LBB803_130:
	s_or_b32 exec_lo, exec_lo, s0
	s_and_saveexec_b32 s0, s4
	s_cbranch_execnz .LBB803_216
.LBB803_131:
	s_or_b32 exec_lo, exec_lo, s0
	s_and_saveexec_b32 s0, s5
	s_cbranch_execnz .LBB803_217
.LBB803_132:
	s_or_b32 exec_lo, exec_lo, s0
	s_and_saveexec_b32 s0, s6
	s_cbranch_execnz .LBB803_218
.LBB803_133:
	s_or_b32 exec_lo, exec_lo, s0
	s_and_saveexec_b32 s0, s7
	s_cbranch_execnz .LBB803_219
.LBB803_134:
	s_or_b32 exec_lo, exec_lo, s0
	s_and_saveexec_b32 s0, s10
	s_cbranch_execnz .LBB803_220
.LBB803_135:
	s_or_b32 exec_lo, exec_lo, s0
	s_and_saveexec_b32 s0, s11
	s_cbranch_execnz .LBB803_221
.LBB803_136:
	s_or_b32 exec_lo, exec_lo, s0
	s_and_saveexec_b32 s0, s12
	s_cbranch_execnz .LBB803_222
.LBB803_137:
	s_or_b32 exec_lo, exec_lo, s0
	s_and_saveexec_b32 s0, s13
	s_cbranch_execnz .LBB803_223
.LBB803_138:
	s_or_b32 exec_lo, exec_lo, s0
	s_and_saveexec_b32 s0, s14
	s_cbranch_execnz .LBB803_224
.LBB803_139:
	s_or_b32 exec_lo, exec_lo, s0
	s_and_saveexec_b32 s0, s15
	s_cbranch_execnz .LBB803_225
.LBB803_140:
	s_or_b32 exec_lo, exec_lo, s0
	s_and_saveexec_b32 s0, s16
	s_cbranch_execz .LBB803_142
.LBB803_141:
	flat_store_b64 v[0:1], v[12:13] offset:30720
.LBB803_142:
	s_wait_xcnt 0x0
	s_or_b32 exec_lo, exec_lo, s0
                                        ; implicit-def: $vgpr290
                                        ; implicit-def: $vgpr8
                                        ; implicit-def: $vgpr10
                                        ; implicit-def: $vgpr11
                                        ; implicit-def: $vgpr0_vgpr1
                                        ; implicit-def: $vgpr2_vgpr3
                                        ; implicit-def: $vgpr4_vgpr5
                                        ; implicit-def: $vgpr6_vgpr7
                                        ; implicit-def: $vgpr12_vgpr13
                                        ; implicit-def: $vgpr9
                                        ; implicit-def: $vgpr14
                                        ; implicit-def: $vgpr22
                                        ; implicit-def: $vgpr27
.LBB803_143:
	s_and_not1_saveexec_b32 s0, s19
	s_cbranch_execz .LBB803_372
; %bb.144:
	s_mov_b32 s0, exec_lo
	s_set_vgpr_msb 4                        ;  msbs: dst=0 src0=0 src1=1 src2=0
	v_cmpx_lt_u32_e32 0x400, v34 /*v290*/
	s_xor_b32 s19, exec_lo, s0
	s_set_vgpr_msb 0                        ;  msbs: dst=0 src0=0 src1=0 src2=0
	s_cbranch_execz .LBB803_252
; %bb.145:
	s_load_b64 s[0:1], s[8:9], 0x0
	s_bfe_u32 s3, ttmp6, 0x4000c
	s_bfe_u32 s5, ttmp6, 0x40010
	s_and_b32 s4, ttmp7, 0xffff
	s_add_co_i32 s3, s3, 1
	s_add_co_i32 s5, s5, 1
	s_and_b32 s2, ttmp6, 15
	s_bfe_u32 s6, ttmp6, 0x40004
	s_mul_i32 s3, ttmp9, s3
	s_mul_i32 s5, s4, s5
	s_add_co_i32 s2, s2, s3
	s_add_co_i32 s6, s6, s5
	s_cmp_eq_u32 s21, 0
	v_mov_b64_e32 v[70:71], -1
	s_cselect_b32 s2, ttmp9, s2
	s_cselect_b32 s3, s4, s6
	v_mov_b64_e32 v[84:85], -1
	s_wait_kmcnt 0x0
	s_cmp_lt_u32 s2, s0
	s_cselect_b32 s0, 12, 18
	s_cmp_lt_u32 s3, s1
	s_mov_b32 s1, 0
	s_cselect_b32 s2, 14, 20
	s_mov_b32 s3, s1
	s_add_nc_u64 s[0:1], s[8:9], s[0:1]
	s_add_nc_u64 s[2:3], s[8:9], s[2:3]
	s_clause 0x1
	s_load_u16 s0, s[0:1], 0x0
	s_nop 0
	s_load_u16 s2, s[2:3], 0x0
	s_wait_kmcnt 0x0
	v_mad_u32_u24 v9, v14, s2, v9
	s_delay_alu instid0(VALU_DEP_1) | instskip(NEXT) | instid1(VALU_DEP_1)
	v_mad_u32 v38, v9, s0, v22
	v_dual_mov_b32 v9, 0 :: v_dual_lshlrev_b32 v14, 3, v38
	s_delay_alu instid0(VALU_DEP_1) | instskip(SKIP_1) | instid1(VALU_DEP_3)
	v_lshl_add_u64 v[16:17], v[8:9], 3, v[0:1]
	v_dual_mov_b32 v1, v9 :: v_dual_lshlrev_b32 v0, 3, v27
	v_and_b32_e32 v14, 0xffffff00, v14
	v_mov_b32_e32 v15, v9
	s_delay_alu instid0(VALU_DEP_3) | instskip(NEXT) | instid1(VALU_DEP_3)
	v_add_nc_u64_e32 v[16:17], v[16:17], v[0:1]
	v_or_b32_e32 v1, v14, v27
	s_delay_alu instid0(VALU_DEP_2) | instskip(SKIP_1) | instid1(VALU_DEP_2)
	v_lshl_add_u64 v[16:17], v[14:15], 3, v[16:17]
	s_set_vgpr_msb 4                        ;  msbs: dst=0 src0=0 src1=1 src2=0
	v_cmp_lt_u32_e32 vcc_lo, v1, v34 /*v290*/
	s_and_saveexec_b32 s0, vcc_lo
	s_set_vgpr_msb 0                        ;  msbs: dst=0 src0=0 src1=0 src2=0
	s_cbranch_execz .LBB803_147
; %bb.146:
	flat_load_b64 v[84:85], v[16:17]
	s_wait_loadcnt_dscnt 0x0
	v_xor_b32_e32 v85, 0x80000000, v85
.LBB803_147:
	s_wait_xcnt 0x0
	s_or_b32 exec_lo, exec_lo, s0
	v_or_b32_e32 v18, 32, v1
	s_set_vgpr_msb 4                        ;  msbs: dst=0 src0=0 src1=1 src2=0
	s_delay_alu instid0(VALU_DEP_1)
	v_cmp_lt_u32_e64 s0, v18, v34 /*v290*/
	s_and_saveexec_b32 s1, s0
	s_set_vgpr_msb 0                        ;  msbs: dst=0 src0=0 src1=0 src2=0
	s_cbranch_execz .LBB803_149
; %bb.148:
	flat_load_b64 v[70:71], v[16:17] offset:256
	s_wait_loadcnt_dscnt 0x0
	v_xor_b32_e32 v71, 0x80000000, v71
.LBB803_149:
	s_wait_xcnt 0x0
	s_or_b32 exec_lo, exec_lo, s1
	v_or_b32_e32 v18, 64, v1
	v_mov_b64_e32 v[66:67], -1
	v_mov_b64_e32 v[68:69], -1
	s_set_vgpr_msb 4                        ;  msbs: dst=0 src0=0 src1=1 src2=0
	s_delay_alu instid0(VALU_DEP_3)
	v_cmp_lt_u32_e64 s1, v18, v34 /*v290*/
	s_and_saveexec_b32 s2, s1
	s_set_vgpr_msb 0                        ;  msbs: dst=0 src0=0 src1=0 src2=0
	s_cbranch_execz .LBB803_151
; %bb.150:
	flat_load_b64 v[68:69], v[16:17] offset:512
	s_wait_loadcnt_dscnt 0x0
	v_xor_b32_e32 v69, 0x80000000, v69
.LBB803_151:
	s_wait_xcnt 0x0
	s_or_b32 exec_lo, exec_lo, s2
	v_or_b32_e32 v18, 0x60, v1
	s_set_vgpr_msb 4                        ;  msbs: dst=0 src0=0 src1=1 src2=0
	s_delay_alu instid0(VALU_DEP_1)
	v_cmp_lt_u32_e64 s2, v18, v34 /*v290*/
	s_and_saveexec_b32 s3, s2
	s_set_vgpr_msb 0                        ;  msbs: dst=0 src0=0 src1=0 src2=0
	s_cbranch_execz .LBB803_153
; %bb.152:
	flat_load_b64 v[66:67], v[16:17] offset:768
	s_wait_loadcnt_dscnt 0x0
	v_xor_b32_e32 v67, 0x80000000, v67
.LBB803_153:
	s_wait_xcnt 0x0
	s_or_b32 exec_lo, exec_lo, s3
	v_or_b32_e32 v18, 0x80, v1
	v_mov_b64_e32 v[80:81], -1
	v_mov_b64_e32 v[82:83], -1
	s_set_vgpr_msb 4                        ;  msbs: dst=0 src0=0 src1=1 src2=0
	s_delay_alu instid0(VALU_DEP_3)
	v_cmp_lt_u32_e64 s3, v18, v34 /*v290*/
	s_and_saveexec_b32 s4, s3
	s_set_vgpr_msb 0                        ;  msbs: dst=0 src0=0 src1=0 src2=0
	s_cbranch_execz .LBB803_155
; %bb.154:
	flat_load_b64 v[82:83], v[16:17] offset:1024
	s_wait_loadcnt_dscnt 0x0
	v_xor_b32_e32 v83, 0x80000000, v83
.LBB803_155:
	;; [unrolled: 30-line block ×3, first 2 shown]
	s_wait_xcnt 0x0
	s_or_b32 exec_lo, exec_lo, s6
	v_or_b32_e32 v1, 0xe0, v1
	s_set_vgpr_msb 4                        ;  msbs: dst=0 src0=0 src1=1 src2=0
	s_delay_alu instid0(VALU_DEP_1)
	v_cmp_lt_u32_e64 s6, v1, v34 /*v290*/
	s_and_saveexec_b32 s7, s6
	s_set_vgpr_msb 0                        ;  msbs: dst=0 src0=0 src1=0 src2=0
	s_cbranch_execz .LBB803_161
; %bb.160:
	flat_load_b64 v[86:87], v[16:17] offset:1792
	s_wait_loadcnt_dscnt 0x0
	v_xor_b32_e32 v87, 0x80000000, v87
.LBB803_161:
	s_wait_xcnt 0x0
	s_or_b32 exec_lo, exec_lo, s7
	v_lshl_add_u64 v[4:5], v[8:9], 3, v[4:5]
	v_mov_b32_e32 v1, 0
                                        ; implicit-def: $vgpr98_vgpr99
	s_delay_alu instid0(VALU_DEP_1) | instskip(NEXT) | instid1(VALU_DEP_1)
	v_add_nc_u64_e32 v[0:1], v[4:5], v[0:1]
	v_lshl_add_u64 v[0:1], v[14:15], 3, v[0:1]
	s_and_saveexec_b32 s7, vcc_lo
	s_cbranch_execnz .LBB803_285
; %bb.162:
	s_or_b32 exec_lo, exec_lo, s7
                                        ; implicit-def: $vgpr100_vgpr101
	s_and_saveexec_b32 s7, s0
	s_cbranch_execnz .LBB803_286
.LBB803_163:
	s_or_b32 exec_lo, exec_lo, s7
                                        ; implicit-def: $vgpr102_vgpr103
	s_and_saveexec_b32 s0, s1
	s_cbranch_execnz .LBB803_287
.LBB803_164:
	s_or_b32 exec_lo, exec_lo, s0
                                        ; implicit-def: $vgpr112_vgpr113
	s_and_saveexec_b32 s0, s2
	s_cbranch_execnz .LBB803_288
.LBB803_165:
	s_or_b32 exec_lo, exec_lo, s0
                                        ; implicit-def: $vgpr114_vgpr115
	s_and_saveexec_b32 s0, s3
	s_cbranch_execnz .LBB803_289
.LBB803_166:
	s_or_b32 exec_lo, exec_lo, s0
                                        ; implicit-def: $vgpr116_vgpr117
	s_and_saveexec_b32 s0, s4
	s_cbranch_execnz .LBB803_290
.LBB803_167:
	s_or_b32 exec_lo, exec_lo, s0
                                        ; implicit-def: $vgpr118_vgpr119
	s_and_saveexec_b32 s0, s5
	s_cbranch_execnz .LBB803_291
.LBB803_168:
	s_or_b32 exec_lo, exec_lo, s0
                                        ; implicit-def: $vgpr128_vgpr129
	s_and_saveexec_b32 s0, s6
	s_cbranch_execz .LBB803_170
.LBB803_169:
	flat_load_b64 v[128:129], v[0:1] offset:1792
.LBB803_170:
	s_wait_xcnt 0x0
	s_or_b32 exec_lo, exec_lo, s0
	v_lshl_add_u32 v0, v22, 5, v12
	v_lshlrev_b32_e32 v1, 3, v22
	v_sub_co_u32 v14, s2, v27, 1
	s_get_pc_i64 s[0:1]
	s_add_nc_u64 s[0:1], s[0:1], _ZN7rocprim17ROCPRIM_400000_NS16block_radix_sortIlLj256ELj8ElLj1ELj1ELj8ELNS0_26block_radix_rank_algorithmE2ELNS0_18block_padding_hintE2ELNS0_4arch9wavefront6targetE0EE19radix_bits_per_passE@rel64+4
	v_dual_add_nc_u32 v23, 32, v0 :: v_dual_add_nc_u32 v39, 36, v0
	v_dual_add_nc_u32 v162, 40, v0 :: v_dual_add_nc_u32 v163, 44, v0
	;; [unrolled: 1-line block ×3, first 2 shown]
	v_dual_add_nc_u32 v166, 56, v0 :: v_dual_bitop2_b32 v4, 15, v27 bitop3:0x40
	v_add_nc_u32_e32 v167, 60, v0
	v_and_b32_e32 v0, 0x3e0, v22
	s_load_b32 s22, s[0:1], 0x0
	v_dual_lshrrev_b32 v176, 5, v38 :: v_dual_bitop2_b32 v5, 16, v27 bitop3:0x40
	v_cmp_eq_u32_e32 vcc_lo, 0, v4
	s_delay_alu instid0(VALU_DEP_3)
	v_min_u32_e32 v0, 0xe0, v0
	s_wait_xcnt 0x0
	v_cmp_lt_u32_e64 s0, 1, v4
	v_cmp_lt_u32_e64 s1, 3, v4
	;; [unrolled: 1-line block ×3, first 2 shown]
	v_dual_lshrrev_b32 v4, 3, v22 :: v_dual_bitop2_b32 v0, 31, v0 bitop3:0x54
	v_cmp_gt_i32_e64 s5, 0, v14
	v_cmp_eq_u32_e64 s4, 0, v5
	v_cmp_gt_u32_e64 s6, 8, v22
	v_cmp_lt_u32_e64 s7, 31, v22
	v_cmp_eq_u32_e64 s10, 0, v22
	v_cndmask_b32_e64 v5, v14, v27, s5
	v_cmp_eq_u32_e64 s5, v22, v0
	v_and_b32_e32 v0, 0x7c, v4
	v_and_or_b32 v4, 0x1f00, v1, v27
	v_lshl_add_u32 v179, v22, 2, v12
	v_sub_nc_u32_e32 v197, v11, v10
	s_mov_b32 s23, 0
	v_dual_add_nc_u32 v178, v12, v0 :: v_dual_lshlrev_b32 v177, 2, v5
	v_and_b32_e32 v5, 7, v27
	v_lshl_add_u32 v180, v4, 3, v12
	s_delay_alu instid0(VALU_DEP_3)
	v_dual_mov_b32 v1, 0 :: v_dual_add_nc_u32 v181, -4, v178
	s_wait_storecnt 0x0
	s_wait_loadcnt_dscnt 0x0
	v_cmp_eq_u32_e64 s11, 0, v5
	v_cmp_lt_u32_e64 s12, 1, v5
	v_cmp_lt_u32_e64 s13, 3, v5
	v_mov_b64_e32 v[4:5], 0
	v_add_nc_u32_e32 v182, 0x100, v180
	v_add_nc_u32_e32 v183, 0x200, v180
	;; [unrolled: 1-line block ×7, first 2 shown]
	s_barrier_signal -1
	s_barrier_wait -1
	s_branch .LBB803_172
.LBB803_171:                            ;   in Loop: Header=BB803_172 Depth=1
	s_or_b32 exec_lo, exec_lo, s15
	s_delay_alu instid0(SALU_CYCLE_1) | instskip(NEXT) | instid1(SALU_CYCLE_1)
	s_and_b32 s14, exec_lo, s16
	s_or_b32 s23, s14, s23
	s_delay_alu instid0(SALU_CYCLE_1)
	s_and_not1_b32 exec_lo, exec_lo, s23
	s_cbranch_execz .LBB803_226
.LBB803_172:                            ; =>This Inner Loop Header: Depth=1
	v_mov_b64_e32 v[26:27], v[84:85]
	s_wait_kmcnt 0x0
	v_min_u32_e32 v0, s22, v197
	v_mov_b64_e32 v[14:15], v[98:99]
	v_mov_b64_e32 v[16:17], v[100:101]
	;; [unrolled: 1-line block ×4, first 2 shown]
	v_lshlrev_b32_e64 v84, v0, -1
	v_lshrrev_b64 v[28:29], v10, v[26:27]
	v_mov_b64_e32 v[20:21], v[114:115]
	v_mov_b64_e32 v[18:19], v[116:117]
	;; [unrolled: 1-line block ×4, first 2 shown]
	ds_store_b64 v23, v[4:5]
	ds_store_b64 v162, v[4:5]
	;; [unrolled: 1-line block ×4, first 2 shown]
	v_bitop3_b32 v0, v28, v84, v28 bitop3:0x30
	v_bitop3_b32 v30, v28, 1, v84 bitop3:0x40
	v_mov_b64_e32 v[28:29], v[70:71]
	s_wait_dscnt 0x0
	s_barrier_signal -1
	v_dual_lshlrev_b32 v31, 30, v0 :: v_dual_lshlrev_b32 v33, 29, v0
	v_add_co_u32 v30, s14, v30, -1
	s_delay_alu instid0(VALU_DEP_1) | instskip(SKIP_1) | instid1(VALU_DEP_4)
	v_cndmask_b32_e64 v32, 0, 1, s14
	v_dual_lshlrev_b32 v34, 28, v0 :: v_dual_lshlrev_b32 v35, 27, v0
	v_not_b32_e32 v36, v31
	v_cmp_gt_i32_e64 s15, 0, v31
	s_delay_alu instid0(VALU_DEP_4)
	v_cmp_ne_u32_e64 s14, 0, v32
	v_cmp_gt_i32_e64 s16, 0, v33
	v_not_b32_e32 v31, v33
	v_ashrrev_i32_e32 v32, 31, v36
	v_not_b32_e32 v33, v34
	v_cmp_gt_i32_e64 s17, 0, v34
	s_delay_alu instid0(VALU_DEP_4) | instskip(NEXT) | instid1(VALU_DEP_3)
	v_dual_ashrrev_i32 v31, 31, v31 :: v_dual_bitop2_b32 v30, s14, v30 bitop3:0x14
	v_dual_ashrrev_i32 v33, 31, v33 :: v_dual_bitop2_b32 v32, s15, v32 bitop3:0x14
	v_lshlrev_b32_e32 v34, 26, v0
	v_not_b32_e32 v36, v35
	s_delay_alu instid0(VALU_DEP_4) | instskip(NEXT) | instid1(VALU_DEP_4)
	v_xor_b32_e32 v31, s16, v31
	v_bitop3_b32 v30, v30, v32, exec_lo bitop3:0x80
	v_xor_b32_e32 v32, s17, v33
	v_cmp_gt_i32_e64 s14, 0, v35
	v_not_b32_e32 v33, v34
	v_ashrrev_i32_e32 v35, 31, v36
	v_lshlrev_b32_e32 v36, 25, v0
	v_cmp_gt_i32_e64 s15, 0, v34
	s_delay_alu instid0(VALU_DEP_4) | instskip(SKIP_1) | instid1(VALU_DEP_4)
	v_dual_lshlrev_b32 v34, 24, v0 :: v_dual_ashrrev_i32 v33, 31, v33
	v_bitop3_b32 v37, v30, v32, v31 bitop3:0x80
	v_not_b32_e32 v30, v36
	v_xor_b32_e32 v35, s14, v35
	s_delay_alu instid0(VALU_DEP_4)
	v_not_b32_e32 v31, v34
	v_xor_b32_e32 v48, s15, v33
	v_cmp_gt_i32_e64 s14, 0, v36
	v_ashrrev_i32_e32 v36, 31, v30
	v_cmp_gt_i32_e64 s15, 0, v34
	v_ashrrev_i32_e32 v34, 31, v31
	v_mov_b64_e32 v[30:31], v[66:67]
	v_bitop3_b32 v50, v37, v48, v35 bitop3:0x80
	v_xor_b32_e32 v51, s14, v36
	v_mov_b64_e32 v[32:33], v[68:69]
	v_xor_b32_e32 v66, s15, v34
	v_lshl_add_u32 v0, v0, 3, v176
	v_mov_b64_e32 v[48:49], v[82:83]
	v_mov_b64_e32 v[36:37], v[80:81]
	v_mov_b64_e32 v[34:35], v[96:97]
	v_bitop3_b32 v68, v50, v66, v51 bitop3:0x80
	v_lshl_add_u64 v[66:67], v[0:1], 2, v[12:13]
	v_mov_b64_e32 v[50:51], v[86:87]
	s_barrier_wait -1
	s_delay_alu instid0(VALU_DEP_3) | instskip(NEXT) | instid1(VALU_DEP_3)
	v_mbcnt_lo_u32_b32 v0, v68, 0
	v_add_nc_u64_e32 v[66:67], 32, v[66:67]
	v_cmp_ne_u32_e64 s15, 0, v68
	; wave barrier
	s_delay_alu instid0(VALU_DEP_3) | instskip(SKIP_1) | instid1(SALU_CYCLE_1)
	v_cmp_eq_u32_e64 s14, 0, v0
	s_and_b32 s15, s15, s14
	s_and_saveexec_b32 s14, s15
; %bb.173:                              ;   in Loop: Header=BB803_172 Depth=1
	v_bcnt_u32_b32 v67, v68, 0
	ds_store_b32 v66, v67
; %bb.174:                              ;   in Loop: Header=BB803_172 Depth=1
	s_or_b32 exec_lo, exec_lo, s14
	v_lshrrev_b64 v[68:69], v10, v[28:29]
	v_not_b32_e32 v81, v84
	; wave barrier
	s_delay_alu instid0(VALU_DEP_1) | instskip(SKIP_1) | instid1(VALU_DEP_2)
	v_and_b32_e32 v67, v68, v81
	v_bitop3_b32 v68, v68, 1, v81 bitop3:0x80
	v_lshlrev_b32_e32 v71, 30, v67
	s_delay_alu instid0(VALU_DEP_2) | instskip(NEXT) | instid1(VALU_DEP_1)
	v_add_co_u32 v68, s14, v68, -1
	v_cndmask_b32_e64 v70, 0, 1, s14
	s_delay_alu instid0(VALU_DEP_1) | instskip(NEXT) | instid1(VALU_DEP_4)
	v_cmp_ne_u32_e64 s14, 0, v70
	v_not_b32_e32 v70, v71
	s_delay_alu instid0(VALU_DEP_1) | instskip(SKIP_4) | instid1(VALU_DEP_4)
	v_dual_ashrrev_i32 v70, 31, v70 :: v_dual_bitop2_b32 v68, s14, v68 bitop3:0x14
	v_dual_lshlrev_b32 v80, 29, v67 :: v_dual_lshlrev_b32 v82, 28, v67
	v_dual_lshlrev_b32 v83, 27, v67 :: v_dual_lshlrev_b32 v84, 26, v67
	v_lshlrev_b32_e32 v85, 25, v67
	v_cmp_gt_i32_e64 s15, 0, v71
	v_cmp_gt_i32_e64 s16, 0, v80
	v_not_b32_e32 v71, v80
	v_not_b32_e32 v80, v82
	v_lshl_add_u32 v69, v67, 3, v176
	v_lshlrev_b32_e32 v67, 24, v67
	v_cmp_gt_i32_e64 s17, 0, v82
	v_cmp_gt_i32_e64 s18, 0, v83
	v_dual_ashrrev_i32 v71, 31, v71 :: v_dual_ashrrev_i32 v80, 31, v80
	v_not_b32_e32 v82, v83
	v_not_b32_e32 v83, v84
	v_xor_b32_e32 v70, s15, v70
	s_delay_alu instid0(VALU_DEP_4)
	v_xor_b32_e32 v71, s16, v71
	v_cmp_gt_i32_e64 s14, 0, v84
	v_cmp_gt_i32_e64 s15, 0, v67
	v_lshl_add_u32 v69, v69, 2, v12
	v_bitop3_b32 v68, v68, v70, exec_lo bitop3:0x80
	v_dual_ashrrev_i32 v70, 31, v82 :: v_dual_ashrrev_i32 v82, 31, v83
	v_not_b32_e32 v83, v85
	v_xor_b32_e32 v80, s17, v80
	s_delay_alu instid0(VALU_DEP_1)
	v_bitop3_b32 v68, v68, v80, v71 bitop3:0x80
	v_not_b32_e32 v71, v67
	v_xor_b32_e32 v70, s18, v70
	v_xor_b32_e32 v80, s14, v82
	v_cmp_gt_i32_e64 s14, 0, v85
	v_ashrrev_i32_e32 v82, 31, v83
	v_ashrrev_i32_e32 v67, 31, v71
	s_delay_alu instid0(VALU_DEP_1) | instskip(SKIP_4) | instid1(VALU_DEP_1)
	v_xor_b32_e32 v71, s15, v67
	ds_load_b32 v67, v69 offset:32
	v_add_nc_u32_e32 v69, 32, v69
	v_bitop3_b32 v68, v68, v80, v70 bitop3:0x80
	v_xor_b32_e32 v70, s14, v82
	; wave barrier
	v_bitop3_b32 v70, v68, v71, v70 bitop3:0x80
	s_delay_alu instid0(VALU_DEP_1) | instskip(SKIP_1) | instid1(VALU_DEP_2)
	v_mbcnt_lo_u32_b32 v68, v70, 0
	v_cmp_ne_u32_e64 s15, 0, v70
	v_cmp_eq_u32_e64 s14, 0, v68
	s_and_b32 s15, s15, s14
	s_delay_alu instid0(SALU_CYCLE_1)
	s_and_saveexec_b32 s14, s15
	s_cbranch_execz .LBB803_176
; %bb.175:                              ;   in Loop: Header=BB803_172 Depth=1
	s_wait_dscnt 0x0
	v_bcnt_u32_b32 v70, v70, v67
	ds_store_b32 v69, v70
.LBB803_176:                            ;   in Loop: Header=BB803_172 Depth=1
	s_or_b32 exec_lo, exec_lo, s14
	v_lshrrev_b64 v[70:71], v10, v[32:33]
	; wave barrier
	s_delay_alu instid0(VALU_DEP_1) | instskip(SKIP_1) | instid1(VALU_DEP_2)
	v_and_b32_e32 v71, v70, v81
	v_bitop3_b32 v70, v70, 1, v81 bitop3:0x80
	v_lshlrev_b32_e32 v83, 30, v71
	s_delay_alu instid0(VALU_DEP_2) | instskip(NEXT) | instid1(VALU_DEP_1)
	v_add_co_u32 v70, s14, v70, -1
	v_cndmask_b32_e64 v82, 0, 1, s14
	s_delay_alu instid0(VALU_DEP_1) | instskip(NEXT) | instid1(VALU_DEP_4)
	v_cmp_ne_u32_e64 s14, 0, v82
	v_not_b32_e32 v82, v83
	s_delay_alu instid0(VALU_DEP_2) | instskip(NEXT) | instid1(VALU_DEP_2)
	v_xor_b32_e32 v70, s14, v70
	v_dual_ashrrev_i32 v82, 31, v82 :: v_dual_lshlrev_b32 v84, 29, v71
	v_dual_lshlrev_b32 v85, 28, v71 :: v_dual_lshlrev_b32 v86, 27, v71
	v_cmp_gt_i32_e64 s15, 0, v83
	v_lshl_add_u32 v80, v71, 3, v176
	s_delay_alu instid0(VALU_DEP_4)
	v_cmp_gt_i32_e64 s16, 0, v84
	v_not_b32_e32 v83, v84
	v_not_b32_e32 v84, v85
	v_dual_lshlrev_b32 v87, 26, v71 :: v_dual_lshlrev_b32 v96, 25, v71
	v_lshlrev_b32_e32 v71, 24, v71
	v_cmp_gt_i32_e64 s17, 0, v85
	v_not_b32_e32 v85, v86
	v_dual_ashrrev_i32 v83, 31, v83 :: v_dual_ashrrev_i32 v84, 31, v84
	v_xor_b32_e32 v82, s15, v82
	v_cmp_gt_i32_e64 s18, 0, v86
	v_not_b32_e32 v86, v87
	s_delay_alu instid0(VALU_DEP_4)
	v_dual_ashrrev_i32 v85, 31, v85 :: v_dual_bitop2_b32 v83, s16, v83 bitop3:0x14
	v_xor_b32_e32 v84, s17, v84
	v_bitop3_b32 v70, v70, v82, exec_lo bitop3:0x80
	v_cmp_gt_i32_e64 s14, 0, v87
	v_ashrrev_i32_e32 v82, 31, v86
	v_not_b32_e32 v86, v96
	v_xor_b32_e32 v85, s18, v85
	v_bitop3_b32 v70, v70, v84, v83 bitop3:0x80
	v_not_b32_e32 v83, v71
	v_cmp_gt_i32_e64 s15, 0, v71
	v_ashrrev_i32_e32 v84, 31, v86
	v_lshl_add_u32 v80, v80, 2, v12
	v_xor_b32_e32 v82, s14, v82
	v_cmp_gt_i32_e64 s14, 0, v96
	v_ashrrev_i32_e32 v71, 31, v83
	s_delay_alu instid0(VALU_DEP_3) | instskip(NEXT) | instid1(VALU_DEP_3)
	v_bitop3_b32 v82, v70, v82, v85 bitop3:0x80
	v_xor_b32_e32 v83, s14, v84
	s_delay_alu instid0(VALU_DEP_3) | instskip(SKIP_3) | instid1(VALU_DEP_1)
	v_xor_b32_e32 v71, s15, v71
	ds_load_b32 v70, v80 offset:32
	v_add_nc_u32_e32 v80, 32, v80
	; wave barrier
	v_bitop3_b32 v82, v82, v71, v83 bitop3:0x80
	v_mbcnt_lo_u32_b32 v71, v82, 0
	v_cmp_ne_u32_e64 s15, 0, v82
	s_delay_alu instid0(VALU_DEP_2) | instskip(SKIP_1) | instid1(SALU_CYCLE_1)
	v_cmp_eq_u32_e64 s14, 0, v71
	s_and_b32 s15, s15, s14
	s_and_saveexec_b32 s14, s15
	s_cbranch_execz .LBB803_178
; %bb.177:                              ;   in Loop: Header=BB803_172 Depth=1
	s_wait_dscnt 0x0
	v_bcnt_u32_b32 v82, v82, v70
	ds_store_b32 v80, v82
.LBB803_178:                            ;   in Loop: Header=BB803_172 Depth=1
	s_or_b32 exec_lo, exec_lo, s14
	v_lshrrev_b64 v[82:83], v10, v[30:31]
	; wave barrier
	s_delay_alu instid0(VALU_DEP_1) | instskip(SKIP_1) | instid1(VALU_DEP_2)
	v_and_b32_e32 v83, v82, v81
	v_bitop3_b32 v82, v82, 1, v81 bitop3:0x80
	v_dual_lshlrev_b32 v86, 30, v83 :: v_dual_lshlrev_b32 v87, 29, v83
	s_delay_alu instid0(VALU_DEP_2) | instskip(NEXT) | instid1(VALU_DEP_1)
	v_add_co_u32 v82, s14, v82, -1
	v_cndmask_b32_e64 v85, 0, 1, s14
	s_delay_alu instid0(VALU_DEP_3) | instskip(NEXT) | instid1(VALU_DEP_4)
	v_cmp_gt_i32_e64 s15, 0, v86
	v_cmp_gt_i32_e64 s16, 0, v87
	s_delay_alu instid0(VALU_DEP_3) | instskip(SKIP_2) | instid1(VALU_DEP_1)
	v_cmp_ne_u32_e64 s14, 0, v85
	v_not_b32_e32 v85, v86
	v_not_b32_e32 v86, v87
	v_dual_ashrrev_i32 v85, 31, v85 :: v_dual_ashrrev_i32 v86, 31, v86
	v_dual_lshlrev_b32 v96, 28, v83 :: v_dual_lshlrev_b32 v97, 27, v83
	v_lshl_add_u32 v84, v83, 3, v176
	v_dual_lshlrev_b32 v98, 26, v83 :: v_dual_lshlrev_b32 v99, 25, v83
	v_lshlrev_b32_e32 v83, 24, v83
	s_delay_alu instid0(VALU_DEP_4) | instskip(SKIP_3) | instid1(VALU_DEP_4)
	v_not_b32_e32 v87, v96
	v_cmp_gt_i32_e64 s17, 0, v96
	v_not_b32_e32 v96, v97
	v_xor_b32_e32 v82, s14, v82
	v_dual_ashrrev_i32 v87, 31, v87 :: v_dual_bitop2_b32 v85, s15, v85 bitop3:0x14
	v_cmp_gt_i32_e64 s18, 0, v97
	v_not_b32_e32 v97, v98
	v_dual_ashrrev_i32 v96, 31, v96 :: v_dual_bitop2_b32 v86, s16, v86 bitop3:0x14
	s_delay_alu instid0(VALU_DEP_4)
	v_xor_b32_e32 v87, s17, v87
	v_bitop3_b32 v82, v82, v85, exec_lo bitop3:0x80
	v_cmp_gt_i32_e64 s14, 0, v98
	v_ashrrev_i32_e32 v85, 31, v97
	v_not_b32_e32 v97, v99
	v_xor_b32_e32 v96, s18, v96
	v_bitop3_b32 v82, v82, v87, v86 bitop3:0x80
	v_not_b32_e32 v86, v83
	v_cmp_gt_i32_e64 s15, 0, v83
	v_ashrrev_i32_e32 v87, 31, v97
	v_lshl_add_u32 v84, v84, 2, v12
	v_xor_b32_e32 v85, s14, v85
	v_cmp_gt_i32_e64 s14, 0, v99
	v_ashrrev_i32_e32 v83, 31, v86
	s_delay_alu instid0(VALU_DEP_3) | instskip(NEXT) | instid1(VALU_DEP_3)
	v_bitop3_b32 v85, v82, v85, v96 bitop3:0x80
	v_xor_b32_e32 v86, s14, v87
	s_delay_alu instid0(VALU_DEP_3) | instskip(SKIP_3) | instid1(VALU_DEP_1)
	v_xor_b32_e32 v83, s15, v83
	ds_load_b32 v82, v84 offset:32
	v_add_nc_u32_e32 v84, 32, v84
	; wave barrier
	v_bitop3_b32 v85, v85, v83, v86 bitop3:0x80
	v_mbcnt_lo_u32_b32 v83, v85, 0
	v_cmp_ne_u32_e64 s15, 0, v85
	s_delay_alu instid0(VALU_DEP_2) | instskip(SKIP_1) | instid1(SALU_CYCLE_1)
	v_cmp_eq_u32_e64 s14, 0, v83
	s_and_b32 s15, s15, s14
	s_and_saveexec_b32 s14, s15
	s_cbranch_execz .LBB803_180
; %bb.179:                              ;   in Loop: Header=BB803_172 Depth=1
	s_wait_dscnt 0x0
	v_bcnt_u32_b32 v85, v85, v82
	ds_store_b32 v84, v85
.LBB803_180:                            ;   in Loop: Header=BB803_172 Depth=1
	s_or_b32 exec_lo, exec_lo, s14
	v_lshrrev_b64 v[86:87], v10, v[48:49]
	; wave barrier
	s_delay_alu instid0(VALU_DEP_1) | instskip(SKIP_1) | instid1(VALU_DEP_2)
	v_and_b32_e32 v85, v86, v81
	v_bitop3_b32 v86, v86, 1, v81 bitop3:0x80
	v_lshlrev_b32_e32 v97, 30, v85
	s_delay_alu instid0(VALU_DEP_2) | instskip(NEXT) | instid1(VALU_DEP_1)
	v_add_co_u32 v86, s14, v86, -1
	v_cndmask_b32_e64 v96, 0, 1, s14
	s_delay_alu instid0(VALU_DEP_1) | instskip(NEXT) | instid1(VALU_DEP_4)
	v_cmp_ne_u32_e64 s14, 0, v96
	v_not_b32_e32 v96, v97
	s_delay_alu instid0(VALU_DEP_1) | instskip(SKIP_4) | instid1(VALU_DEP_4)
	v_dual_ashrrev_i32 v96, 31, v96 :: v_dual_bitop2_b32 v86, s14, v86 bitop3:0x14
	v_dual_lshlrev_b32 v98, 29, v85 :: v_dual_lshlrev_b32 v99, 28, v85
	v_lshlrev_b32_e32 v100, 27, v85
	v_cmp_gt_i32_e64 s15, 0, v97
	v_lshl_add_u32 v87, v85, 3, v176
	v_cmp_gt_i32_e64 s16, 0, v98
	v_not_b32_e32 v97, v98
	v_not_b32_e32 v98, v99
	v_dual_lshlrev_b32 v101, 26, v85 :: v_dual_lshlrev_b32 v102, 25, v85
	v_lshlrev_b32_e32 v85, 24, v85
	v_cmp_gt_i32_e64 s17, 0, v99
	v_not_b32_e32 v99, v100
	v_dual_ashrrev_i32 v97, 31, v97 :: v_dual_ashrrev_i32 v98, 31, v98
	v_xor_b32_e32 v96, s15, v96
	v_cmp_gt_i32_e64 s18, 0, v100
	v_not_b32_e32 v100, v101
	s_delay_alu instid0(VALU_DEP_4)
	v_dual_ashrrev_i32 v99, 31, v99 :: v_dual_bitop2_b32 v97, s16, v97 bitop3:0x14
	v_xor_b32_e32 v98, s17, v98
	v_bitop3_b32 v86, v86, v96, exec_lo bitop3:0x80
	v_cmp_gt_i32_e64 s14, 0, v101
	v_ashrrev_i32_e32 v96, 31, v100
	v_not_b32_e32 v100, v102
	v_xor_b32_e32 v99, s18, v99
	v_bitop3_b32 v86, v86, v98, v97 bitop3:0x80
	v_not_b32_e32 v97, v85
	v_cmp_gt_i32_e64 s15, 0, v85
	v_ashrrev_i32_e32 v98, 31, v100
	v_lshl_add_u32 v87, v87, 2, v12
	v_xor_b32_e32 v96, s14, v96
	v_cmp_gt_i32_e64 s14, 0, v102
	v_ashrrev_i32_e32 v85, 31, v97
	s_delay_alu instid0(VALU_DEP_1) | instskip(SKIP_4) | instid1(VALU_DEP_1)
	v_xor_b32_e32 v97, s15, v85
	ds_load_b32 v85, v87 offset:32
	v_add_nc_u32_e32 v87, 32, v87
	v_bitop3_b32 v86, v86, v96, v99 bitop3:0x80
	v_xor_b32_e32 v96, s14, v98
	; wave barrier
	v_bitop3_b32 v96, v86, v97, v96 bitop3:0x80
	s_delay_alu instid0(VALU_DEP_1) | instskip(SKIP_1) | instid1(VALU_DEP_2)
	v_mbcnt_lo_u32_b32 v86, v96, 0
	v_cmp_ne_u32_e64 s15, 0, v96
	v_cmp_eq_u32_e64 s14, 0, v86
	s_and_b32 s15, s15, s14
	s_delay_alu instid0(SALU_CYCLE_1)
	s_and_saveexec_b32 s14, s15
	s_cbranch_execz .LBB803_182
; %bb.181:                              ;   in Loop: Header=BB803_172 Depth=1
	s_wait_dscnt 0x0
	v_bcnt_u32_b32 v96, v96, v85
	ds_store_b32 v87, v96
.LBB803_182:                            ;   in Loop: Header=BB803_172 Depth=1
	s_or_b32 exec_lo, exec_lo, s14
	v_lshrrev_b64 v[96:97], v10, v[36:37]
	; wave barrier
	s_delay_alu instid0(VALU_DEP_1) | instskip(SKIP_1) | instid1(VALU_DEP_2)
	v_and_b32_e32 v97, v96, v81
	v_bitop3_b32 v96, v96, 1, v81 bitop3:0x80
	v_lshlrev_b32_e32 v100, 30, v97
	s_delay_alu instid0(VALU_DEP_2) | instskip(NEXT) | instid1(VALU_DEP_1)
	v_add_co_u32 v96, s14, v96, -1
	v_cndmask_b32_e64 v99, 0, 1, s14
	s_delay_alu instid0(VALU_DEP_1) | instskip(NEXT) | instid1(VALU_DEP_4)
	v_cmp_ne_u32_e64 s14, 0, v99
	v_not_b32_e32 v99, v100
	s_delay_alu instid0(VALU_DEP_1) | instskip(SKIP_4) | instid1(VALU_DEP_4)
	v_dual_ashrrev_i32 v99, 31, v99 :: v_dual_bitop2_b32 v96, s14, v96 bitop3:0x14
	v_dual_lshlrev_b32 v101, 29, v97 :: v_dual_lshlrev_b32 v102, 28, v97
	v_lshlrev_b32_e32 v103, 27, v97
	v_cmp_gt_i32_e64 s15, 0, v100
	v_lshl_add_u32 v98, v97, 3, v176
	v_cmp_gt_i32_e64 s16, 0, v101
	v_not_b32_e32 v100, v101
	v_not_b32_e32 v101, v102
	v_dual_lshlrev_b32 v112, 26, v97 :: v_dual_lshlrev_b32 v113, 25, v97
	v_lshlrev_b32_e32 v97, 24, v97
	v_cmp_gt_i32_e64 s17, 0, v102
	v_not_b32_e32 v102, v103
	v_dual_ashrrev_i32 v100, 31, v100 :: v_dual_ashrrev_i32 v101, 31, v101
	v_xor_b32_e32 v99, s15, v99
	v_cmp_gt_i32_e64 s18, 0, v103
	v_not_b32_e32 v103, v112
	s_delay_alu instid0(VALU_DEP_4)
	v_dual_ashrrev_i32 v102, 31, v102 :: v_dual_bitop2_b32 v100, s16, v100 bitop3:0x14
	v_xor_b32_e32 v101, s17, v101
	v_bitop3_b32 v96, v96, v99, exec_lo bitop3:0x80
	v_cmp_gt_i32_e64 s14, 0, v112
	v_ashrrev_i32_e32 v99, 31, v103
	v_not_b32_e32 v103, v113
	v_xor_b32_e32 v102, s18, v102
	v_bitop3_b32 v96, v96, v101, v100 bitop3:0x80
	v_not_b32_e32 v100, v97
	v_cmp_gt_i32_e64 s15, 0, v97
	v_ashrrev_i32_e32 v101, 31, v103
	v_lshl_add_u32 v98, v98, 2, v12
	v_xor_b32_e32 v99, s14, v99
	v_cmp_gt_i32_e64 s14, 0, v113
	v_ashrrev_i32_e32 v97, 31, v100
	s_delay_alu instid0(VALU_DEP_3) | instskip(NEXT) | instid1(VALU_DEP_3)
	v_bitop3_b32 v99, v96, v99, v102 bitop3:0x80
	v_xor_b32_e32 v100, s14, v101
	s_delay_alu instid0(VALU_DEP_3) | instskip(SKIP_3) | instid1(VALU_DEP_1)
	v_xor_b32_e32 v97, s15, v97
	ds_load_b32 v96, v98 offset:32
	v_add_nc_u32_e32 v98, 32, v98
	; wave barrier
	v_bitop3_b32 v99, v99, v97, v100 bitop3:0x80
	v_mbcnt_lo_u32_b32 v97, v99, 0
	v_cmp_ne_u32_e64 s15, 0, v99
	s_delay_alu instid0(VALU_DEP_2) | instskip(SKIP_1) | instid1(SALU_CYCLE_1)
	v_cmp_eq_u32_e64 s14, 0, v97
	s_and_b32 s15, s15, s14
	s_and_saveexec_b32 s14, s15
	s_cbranch_execz .LBB803_184
; %bb.183:                              ;   in Loop: Header=BB803_172 Depth=1
	s_wait_dscnt 0x0
	v_bcnt_u32_b32 v99, v99, v96
	ds_store_b32 v98, v99
.LBB803_184:                            ;   in Loop: Header=BB803_172 Depth=1
	s_or_b32 exec_lo, exec_lo, s14
	v_lshrrev_b64 v[100:101], v10, v[34:35]
	; wave barrier
	s_delay_alu instid0(VALU_DEP_1) | instskip(SKIP_1) | instid1(VALU_DEP_2)
	v_and_b32_e32 v99, v100, v81
	v_bitop3_b32 v100, v100, 1, v81 bitop3:0x80
	v_lshlrev_b32_e32 v103, 30, v99
	s_delay_alu instid0(VALU_DEP_2) | instskip(NEXT) | instid1(VALU_DEP_1)
	v_add_co_u32 v100, s14, v100, -1
	v_cndmask_b32_e64 v102, 0, 1, s14
	s_delay_alu instid0(VALU_DEP_1) | instskip(NEXT) | instid1(VALU_DEP_4)
	v_cmp_ne_u32_e64 s14, 0, v102
	v_not_b32_e32 v102, v103
	s_delay_alu instid0(VALU_DEP_1) | instskip(SKIP_4) | instid1(VALU_DEP_4)
	v_dual_ashrrev_i32 v102, 31, v102 :: v_dual_bitop2_b32 v100, s14, v100 bitop3:0x14
	v_dual_lshlrev_b32 v112, 29, v99 :: v_dual_lshlrev_b32 v113, 28, v99
	v_lshlrev_b32_e32 v114, 27, v99
	v_cmp_gt_i32_e64 s15, 0, v103
	v_lshl_add_u32 v101, v99, 3, v176
	v_cmp_gt_i32_e64 s16, 0, v112
	v_not_b32_e32 v103, v112
	v_not_b32_e32 v112, v113
	v_dual_lshlrev_b32 v115, 26, v99 :: v_dual_lshlrev_b32 v116, 25, v99
	v_lshlrev_b32_e32 v99, 24, v99
	v_cmp_gt_i32_e64 s17, 0, v113
	v_not_b32_e32 v113, v114
	v_dual_ashrrev_i32 v103, 31, v103 :: v_dual_ashrrev_i32 v112, 31, v112
	v_xor_b32_e32 v102, s15, v102
	v_cmp_gt_i32_e64 s18, 0, v114
	v_not_b32_e32 v114, v115
	s_delay_alu instid0(VALU_DEP_4)
	v_dual_ashrrev_i32 v113, 31, v113 :: v_dual_bitop2_b32 v103, s16, v103 bitop3:0x14
	v_xor_b32_e32 v112, s17, v112
	v_bitop3_b32 v100, v100, v102, exec_lo bitop3:0x80
	v_cmp_gt_i32_e64 s14, 0, v115
	v_ashrrev_i32_e32 v102, 31, v114
	v_not_b32_e32 v114, v116
	v_xor_b32_e32 v113, s18, v113
	v_bitop3_b32 v100, v100, v112, v103 bitop3:0x80
	v_not_b32_e32 v103, v99
	v_cmp_gt_i32_e64 s15, 0, v99
	v_ashrrev_i32_e32 v112, 31, v114
	v_lshl_add_u32 v101, v101, 2, v12
	v_xor_b32_e32 v102, s14, v102
	v_cmp_gt_i32_e64 s14, 0, v116
	v_ashrrev_i32_e32 v99, 31, v103
	s_delay_alu instid0(VALU_DEP_1) | instskip(SKIP_4) | instid1(VALU_DEP_1)
	v_xor_b32_e32 v103, s15, v99
	ds_load_b32 v99, v101 offset:32
	v_add_nc_u32_e32 v101, 32, v101
	v_bitop3_b32 v100, v100, v102, v113 bitop3:0x80
	v_xor_b32_e32 v102, s14, v112
	; wave barrier
	v_bitop3_b32 v102, v100, v103, v102 bitop3:0x80
	s_delay_alu instid0(VALU_DEP_1) | instskip(SKIP_1) | instid1(VALU_DEP_2)
	v_mbcnt_lo_u32_b32 v100, v102, 0
	v_cmp_ne_u32_e64 s15, 0, v102
	v_cmp_eq_u32_e64 s14, 0, v100
	s_and_b32 s15, s15, s14
	s_delay_alu instid0(SALU_CYCLE_1)
	s_and_saveexec_b32 s14, s15
	s_cbranch_execz .LBB803_186
; %bb.185:                              ;   in Loop: Header=BB803_172 Depth=1
	s_wait_dscnt 0x0
	v_bcnt_u32_b32 v102, v102, v99
	ds_store_b32 v101, v102
.LBB803_186:                            ;   in Loop: Header=BB803_172 Depth=1
	s_or_b32 exec_lo, exec_lo, s14
	v_lshrrev_b64 v[102:103], v10, v[50:51]
	; wave barrier
	s_delay_alu instid0(VALU_DEP_1) | instskip(SKIP_1) | instid1(VALU_DEP_2)
	v_and_b32_e32 v103, v102, v81
	v_bitop3_b32 v81, v102, 1, v81 bitop3:0x80
	v_lshlrev_b32_e32 v113, 30, v103
	s_delay_alu instid0(VALU_DEP_2) | instskip(NEXT) | instid1(VALU_DEP_1)
	v_add_co_u32 v81, s14, v81, -1
	v_cndmask_b32_e64 v112, 0, 1, s14
	s_delay_alu instid0(VALU_DEP_1) | instskip(NEXT) | instid1(VALU_DEP_4)
	v_cmp_ne_u32_e64 s14, 0, v112
	v_not_b32_e32 v112, v113
	s_delay_alu instid0(VALU_DEP_1) | instskip(SKIP_4) | instid1(VALU_DEP_4)
	v_dual_ashrrev_i32 v112, 31, v112 :: v_dual_bitop2_b32 v81, s14, v81 bitop3:0x14
	v_dual_lshlrev_b32 v114, 29, v103 :: v_dual_lshlrev_b32 v115, 28, v103
	v_lshlrev_b32_e32 v116, 27, v103
	v_cmp_gt_i32_e64 s15, 0, v113
	v_lshl_add_u32 v102, v103, 3, v176
	v_cmp_gt_i32_e64 s16, 0, v114
	v_not_b32_e32 v113, v114
	v_not_b32_e32 v114, v115
	v_dual_lshlrev_b32 v117, 26, v103 :: v_dual_lshlrev_b32 v118, 25, v103
	v_lshlrev_b32_e32 v103, 24, v103
	v_cmp_gt_i32_e64 s17, 0, v115
	v_not_b32_e32 v115, v116
	v_dual_ashrrev_i32 v113, 31, v113 :: v_dual_ashrrev_i32 v114, 31, v114
	v_xor_b32_e32 v112, s15, v112
	v_cmp_gt_i32_e64 s18, 0, v116
	v_not_b32_e32 v116, v117
	s_delay_alu instid0(VALU_DEP_4)
	v_dual_ashrrev_i32 v115, 31, v115 :: v_dual_bitop2_b32 v113, s16, v113 bitop3:0x14
	v_xor_b32_e32 v114, s17, v114
	v_bitop3_b32 v81, v81, v112, exec_lo bitop3:0x80
	v_cmp_gt_i32_e64 s14, 0, v117
	v_ashrrev_i32_e32 v112, 31, v116
	v_not_b32_e32 v116, v118
	v_xor_b32_e32 v115, s18, v115
	v_bitop3_b32 v81, v81, v114, v113 bitop3:0x80
	v_not_b32_e32 v113, v103
	v_cmp_gt_i32_e64 s15, 0, v103
	s_delay_alu instid0(VALU_DEP_2) | instskip(SKIP_3) | instid1(VALU_DEP_4)
	v_dual_ashrrev_i32 v114, 31, v116 :: v_dual_ashrrev_i32 v103, 31, v113
	v_lshl_add_u32 v113, v102, 2, v12
	v_xor_b32_e32 v112, s14, v112
	v_cmp_gt_i32_e64 s14, 0, v118
	v_xor_b32_e32 v103, s15, v103
	s_delay_alu instid0(VALU_DEP_3) | instskip(NEXT) | instid1(VALU_DEP_3)
	v_bitop3_b32 v102, v81, v112, v115 bitop3:0x80
	v_xor_b32_e32 v112, s14, v114
	ds_load_b32 v81, v113 offset:32
	; wave barrier
	v_bitop3_b32 v112, v102, v103, v112 bitop3:0x80
	v_add_nc_u32_e32 v103, 32, v113
	s_delay_alu instid0(VALU_DEP_2) | instskip(SKIP_1) | instid1(VALU_DEP_2)
	v_mbcnt_lo_u32_b32 v102, v112, 0
	v_cmp_ne_u32_e64 s15, 0, v112
	v_cmp_eq_u32_e64 s14, 0, v102
	s_and_b32 s15, s15, s14
	s_delay_alu instid0(SALU_CYCLE_1)
	s_and_saveexec_b32 s14, s15
	s_cbranch_execz .LBB803_188
; %bb.187:                              ;   in Loop: Header=BB803_172 Depth=1
	s_wait_dscnt 0x0
	v_bcnt_u32_b32 v112, v112, v81
	ds_store_b32 v103, v112
.LBB803_188:                            ;   in Loop: Header=BB803_172 Depth=1
	s_or_b32 exec_lo, exec_lo, s14
	; wave barrier
	s_wait_dscnt 0x0
	s_barrier_signal -1
	s_barrier_wait -1
	ds_load_b32 v113, v23
	ds_load_b32 v114, v39
	;; [unrolled: 1-line block ×8, first 2 shown]
	s_wait_dscnt 0x6
	v_add_nc_u32_e32 v128, v114, v113
	s_wait_dscnt 0x4
	s_delay_alu instid0(VALU_DEP_1) | instskip(SKIP_1) | instid1(VALU_DEP_1)
	v_add3_u32 v128, v128, v115, v116
	s_wait_dscnt 0x2
	v_add3_u32 v128, v128, v117, v118
	s_wait_dscnt 0x0
	s_delay_alu instid0(VALU_DEP_1) | instskip(NEXT) | instid1(VALU_DEP_1)
	v_add3_u32 v119, v128, v112, v119
	v_mov_b32_dpp v128, v119 row_shr:1 row_mask:0xf bank_mask:0xf
	s_delay_alu instid0(VALU_DEP_1) | instskip(NEXT) | instid1(VALU_DEP_1)
	v_cndmask_b32_e64 v128, v128, 0, vcc_lo
	v_add_nc_u32_e32 v119, v128, v119
	s_delay_alu instid0(VALU_DEP_1) | instskip(NEXT) | instid1(VALU_DEP_1)
	v_mov_b32_dpp v128, v119 row_shr:2 row_mask:0xf bank_mask:0xf
	v_cndmask_b32_e64 v128, 0, v128, s0
	s_delay_alu instid0(VALU_DEP_1) | instskip(NEXT) | instid1(VALU_DEP_1)
	v_add_nc_u32_e32 v119, v119, v128
	v_mov_b32_dpp v128, v119 row_shr:4 row_mask:0xf bank_mask:0xf
	s_delay_alu instid0(VALU_DEP_1) | instskip(NEXT) | instid1(VALU_DEP_1)
	v_cndmask_b32_e64 v128, 0, v128, s1
	v_add_nc_u32_e32 v119, v119, v128
	s_delay_alu instid0(VALU_DEP_1) | instskip(NEXT) | instid1(VALU_DEP_1)
	v_mov_b32_dpp v128, v119 row_shr:8 row_mask:0xf bank_mask:0xf
	v_cndmask_b32_e64 v128, 0, v128, s3
	s_delay_alu instid0(VALU_DEP_1) | instskip(SKIP_3) | instid1(VALU_DEP_1)
	v_add_nc_u32_e32 v119, v119, v128
	ds_swizzle_b32 v128, v119 offset:swizzle(BROADCAST,32,15)
	s_wait_dscnt 0x0
	v_cndmask_b32_e64 v128, v128, 0, s4
	v_add_nc_u32_e32 v119, v119, v128
	s_and_saveexec_b32 s14, s5
; %bb.189:                              ;   in Loop: Header=BB803_172 Depth=1
	ds_store_b32 v178, v119
; %bb.190:                              ;   in Loop: Header=BB803_172 Depth=1
	s_or_b32 exec_lo, exec_lo, s14
	s_wait_dscnt 0x0
	s_barrier_signal -1
	s_barrier_wait -1
	s_and_saveexec_b32 s14, s6
	s_cbranch_execz .LBB803_192
; %bb.191:                              ;   in Loop: Header=BB803_172 Depth=1
	ds_load_b32 v128, v179
	s_wait_dscnt 0x0
	v_mov_b32_dpp v129, v128 row_shr:1 row_mask:0xf bank_mask:0xf
	s_delay_alu instid0(VALU_DEP_1) | instskip(NEXT) | instid1(VALU_DEP_1)
	v_cndmask_b32_e64 v129, v129, 0, s11
	v_add_nc_u32_e32 v128, v129, v128
	s_delay_alu instid0(VALU_DEP_1) | instskip(NEXT) | instid1(VALU_DEP_1)
	v_mov_b32_dpp v129, v128 row_shr:2 row_mask:0xf bank_mask:0xf
	v_cndmask_b32_e64 v129, 0, v129, s12
	s_delay_alu instid0(VALU_DEP_1) | instskip(NEXT) | instid1(VALU_DEP_1)
	v_add_nc_u32_e32 v128, v128, v129
	v_mov_b32_dpp v129, v128 row_shr:4 row_mask:0xf bank_mask:0xf
	s_delay_alu instid0(VALU_DEP_1) | instskip(NEXT) | instid1(VALU_DEP_1)
	v_cndmask_b32_e64 v129, 0, v129, s13
	v_add_nc_u32_e32 v128, v128, v129
	ds_store_b32 v179, v128
.LBB803_192:                            ;   in Loop: Header=BB803_172 Depth=1
	s_or_b32 exec_lo, exec_lo, s14
	v_mov_b32_e32 v128, 0
	s_wait_dscnt 0x0
	s_barrier_signal -1
	s_barrier_wait -1
	s_and_saveexec_b32 s14, s7
; %bb.193:                              ;   in Loop: Header=BB803_172 Depth=1
	ds_load_b32 v128, v181
; %bb.194:                              ;   in Loop: Header=BB803_172 Depth=1
	s_or_b32 exec_lo, exec_lo, s14
	s_wait_dscnt 0x0
	v_add_nc_u32_e32 v119, v128, v119
	s_mov_b32 s16, -1
	v_add_nc_u32_e32 v10, 8, v10
	ds_bpermute_b32 v119, v177, v119
	v_cmp_lt_u32_e64 s14, v10, v11
	s_wait_dscnt 0x0
	v_cndmask_b32_e64 v119, v119, v128, s2
                                        ; implicit-def: $vgpr128_vgpr129
	s_delay_alu instid0(VALU_DEP_1) | instskip(NEXT) | instid1(VALU_DEP_1)
	v_cndmask_b32_e64 v119, v119, 0, s10
	v_add_nc_u32_e32 v113, v119, v113
	s_delay_alu instid0(VALU_DEP_1) | instskip(NEXT) | instid1(VALU_DEP_1)
	v_add_nc_u32_e32 v114, v113, v114
	v_add_nc_u32_e32 v115, v114, v115
	s_delay_alu instid0(VALU_DEP_1) | instskip(NEXT) | instid1(VALU_DEP_1)
	v_add_nc_u32_e32 v116, v115, v116
	v_add_nc_u32_e32 v117, v116, v117
	s_delay_alu instid0(VALU_DEP_1)
	v_add_nc_u32_e32 v118, v117, v118
	ds_store_b32 v23, v119
	ds_store_b32 v39, v113
	;; [unrolled: 1-line block ×3, first 2 shown]
	v_dual_mov_b32 v113, v1 :: v_dual_add_nc_u32 v112, v118, v112
	ds_store_b32 v163, v115
	ds_store_b32 v164, v116
	;; [unrolled: 1-line block ×5, first 2 shown]
	s_wait_dscnt 0x0
	s_barrier_signal -1
	s_barrier_wait -1
	ds_load_b32 v66, v66
	ds_load_b32 v112, v69
	;; [unrolled: 1-line block ×8, first 2 shown]
	v_dual_mov_b32 v69, v1 :: v_dual_mov_b32 v115, v1
	v_dual_mov_b32 v87, v1 :: v_dual_mov_b32 v117, v1
	;; [unrolled: 1-line block ×3, first 2 shown]
	s_wait_dscnt 0x0
	v_add_nc_u32_e32 v0, v66, v0
	v_add3_u32 v68, v68, v67, v112
	v_add3_u32 v112, v71, v70, v80
	;; [unrolled: 1-line block ×7, first 2 shown]
	v_lshl_add_u64 v[130:131], v[0:1], 3, v[12:13]
	v_lshl_add_u64 v[132:133], v[68:69], 3, v[12:13]
	;; [unrolled: 1-line block ×8, first 2 shown]
                                        ; implicit-def: $vgpr98_vgpr99
                                        ; implicit-def: $vgpr100_vgpr101
                                        ; implicit-def: $vgpr102_vgpr103
                                        ; implicit-def: $vgpr112_vgpr113
                                        ; implicit-def: $vgpr114_vgpr115
                                        ; implicit-def: $vgpr116_vgpr117
                                        ; implicit-def: $vgpr118_vgpr119
                                        ; implicit-def: $vgpr84_vgpr85
                                        ; implicit-def: $vgpr70_vgpr71
                                        ; implicit-def: $vgpr68_vgpr69
                                        ; implicit-def: $vgpr66_vgpr67
                                        ; implicit-def: $vgpr82_vgpr83
                                        ; implicit-def: $vgpr80_vgpr81
                                        ; implicit-def: $vgpr96_vgpr97
                                        ; implicit-def: $vgpr86_vgpr87
	s_and_saveexec_b32 s15, s14
	s_cbranch_execz .LBB803_171
; %bb.195:                              ;   in Loop: Header=BB803_172 Depth=1
	s_barrier_signal -1
	s_barrier_wait -1
	ds_store_b64 v130, v[26:27]
	ds_store_b64 v132, v[28:29]
	;; [unrolled: 1-line block ×8, first 2 shown]
	s_wait_dscnt 0x0
	s_barrier_signal -1
	s_barrier_wait -1
	ds_load_b64 v[84:85], v180
	ds_load_b64 v[70:71], v182
	;; [unrolled: 1-line block ×8, first 2 shown]
	s_wait_dscnt 0x0
	s_barrier_signal -1
	s_barrier_wait -1
	ds_store_b64 v130, v[14:15]
	ds_store_b64 v132, v[16:17]
	ds_store_b64 v134, v[52:53]
	ds_store_b64 v144, v[24:25]
	ds_store_b64 v146, v[20:21]
	ds_store_b64 v148, v[18:19]
	ds_store_b64 v150, v[54:55]
	ds_store_b64 v160, v[64:65]
	s_wait_dscnt 0x0
	s_barrier_signal -1
	s_barrier_wait -1
	ds_load_b64 v[98:99], v180
	ds_load_b64 v[100:101], v182
	;; [unrolled: 1-line block ×8, first 2 shown]
	v_add_nc_u32_e32 v197, -8, v197
	s_xor_b32 s16, exec_lo, -1
	s_wait_dscnt 0x0
	s_barrier_signal -1
	s_barrier_wait -1
	s_branch .LBB803_171
.LBB803_196:
	flat_load_b64 v[194:195], v[0:1]
	s_wait_xcnt 0x0
	s_or_b32 exec_lo, exec_lo, s17
                                        ; implicit-def: $vgpr196_vgpr197
	s_and_saveexec_b32 s17, s0
	s_cbranch_execz .LBB803_36
.LBB803_197:
	flat_load_b64 v[196:197], v[0:1] offset:256
	s_wait_xcnt 0x0
	s_or_b32 exec_lo, exec_lo, s17
                                        ; implicit-def: $vgpr198_vgpr199
	s_and_saveexec_b32 s0, s1
	s_cbranch_execz .LBB803_37
.LBB803_198:
	flat_load_b64 v[198:199], v[0:1] offset:512
	s_wait_xcnt 0x0
	s_or_b32 exec_lo, exec_lo, s0
                                        ; implicit-def: $vgpr208_vgpr209
	s_and_saveexec_b32 s0, s2
	s_cbranch_execz .LBB803_38
.LBB803_199:
	flat_load_b64 v[208:209], v[0:1] offset:768
	s_wait_xcnt 0x0
	s_or_b32 exec_lo, exec_lo, s0
                                        ; implicit-def: $vgpr210_vgpr211
	s_and_saveexec_b32 s0, s3
	s_cbranch_execz .LBB803_39
.LBB803_200:
	flat_load_b64 v[210:211], v[0:1] offset:1024
	s_wait_xcnt 0x0
	s_or_b32 exec_lo, exec_lo, s0
                                        ; implicit-def: $vgpr212_vgpr213
	s_and_saveexec_b32 s0, s4
	s_cbranch_execz .LBB803_40
.LBB803_201:
	flat_load_b64 v[212:213], v[0:1] offset:1280
	s_wait_xcnt 0x0
	s_or_b32 exec_lo, exec_lo, s0
                                        ; implicit-def: $vgpr214_vgpr215
	s_and_saveexec_b32 s0, s5
	s_cbranch_execz .LBB803_41
.LBB803_202:
	flat_load_b64 v[214:215], v[0:1] offset:1536
	s_wait_xcnt 0x0
	s_or_b32 exec_lo, exec_lo, s0
                                        ; implicit-def: $vgpr224_vgpr225
	s_and_saveexec_b32 s0, s6
	s_cbranch_execz .LBB803_42
.LBB803_203:
	flat_load_b64 v[224:225], v[0:1] offset:1792
	s_wait_xcnt 0x0
	s_or_b32 exec_lo, exec_lo, s0
                                        ; implicit-def: $vgpr226_vgpr227
	s_and_saveexec_b32 s0, s7
	s_cbranch_execz .LBB803_43
.LBB803_204:
	flat_load_b64 v[226:227], v[0:1] offset:2048
	s_wait_xcnt 0x0
	s_or_b32 exec_lo, exec_lo, s0
                                        ; implicit-def: $vgpr228_vgpr229
	s_and_saveexec_b32 s0, s10
	s_cbranch_execz .LBB803_44
.LBB803_205:
	flat_load_b64 v[228:229], v[0:1] offset:2304
	s_wait_xcnt 0x0
	s_or_b32 exec_lo, exec_lo, s0
                                        ; implicit-def: $vgpr240_vgpr241
	s_and_saveexec_b32 s0, s11
	s_cbranch_execz .LBB803_45
.LBB803_206:
	flat_load_b64 v[240:241], v[0:1] offset:2560
	s_wait_xcnt 0x0
	s_or_b32 exec_lo, exec_lo, s0
                                        ; implicit-def: $vgpr230_vgpr231
	s_and_saveexec_b32 s0, s12
	s_cbranch_execz .LBB803_46
.LBB803_207:
	flat_load_b64 v[230:231], v[0:1] offset:2816
	s_wait_xcnt 0x0
	s_or_b32 exec_lo, exec_lo, s0
                                        ; implicit-def: $vgpr242_vgpr243
	s_and_saveexec_b32 s0, s13
	s_cbranch_execz .LBB803_47
.LBB803_208:
	flat_load_b64 v[242:243], v[0:1] offset:3072
	s_wait_xcnt 0x0
	s_or_b32 exec_lo, exec_lo, s0
                                        ; implicit-def: $vgpr244_vgpr245
	s_and_saveexec_b32 s0, s14
	s_cbranch_execz .LBB803_48
.LBB803_209:
	flat_load_b64 v[244:245], v[0:1] offset:3328
	s_wait_xcnt 0x0
	s_or_b32 exec_lo, exec_lo, s0
                                        ; implicit-def: $vgpr246_vgpr247
	s_and_saveexec_b32 s0, s15
	s_cbranch_execz .LBB803_49
.LBB803_210:
	flat_load_b64 v[246:247], v[0:1] offset:3584
	s_wait_xcnt 0x0
	s_or_b32 exec_lo, exec_lo, s0
                                        ; implicit-def: $vgpr256_vgpr257
	s_and_saveexec_b32 s0, s16
	s_cbranch_execnz .LBB803_50
	s_branch .LBB803_51
.LBB803_211:
	flat_store_b64 v[0:1], v[52:53]
	s_wait_xcnt 0x0
	s_or_b32 exec_lo, exec_lo, s17
	s_and_saveexec_b32 s17, s0
	s_cbranch_execz .LBB803_127
.LBB803_212:
	flat_store_b64 v[0:1], v[54:55] offset:2048
	s_wait_xcnt 0x0
	s_or_b32 exec_lo, exec_lo, s17
	s_and_saveexec_b32 s0, s1
	s_cbranch_execz .LBB803_128
.LBB803_213:
	flat_store_b64 v[0:1], v[34:35] offset:4096
	s_wait_xcnt 0x0
	s_or_b32 exec_lo, exec_lo, s0
	s_and_saveexec_b32 s0, s2
	s_cbranch_execz .LBB803_129
.LBB803_214:
	flat_store_b64 v[0:1], v[36:37] offset:6144
	s_wait_xcnt 0x0
	s_or_b32 exec_lo, exec_lo, s0
	s_and_saveexec_b32 s0, s3
	s_cbranch_execz .LBB803_130
.LBB803_215:
	flat_store_b64 v[0:1], v[30:31] offset:8192
	s_wait_xcnt 0x0
	s_or_b32 exec_lo, exec_lo, s0
	s_and_saveexec_b32 s0, s4
	s_cbranch_execz .LBB803_131
.LBB803_216:
	flat_store_b64 v[0:1], v[32:33] offset:10240
	s_wait_xcnt 0x0
	s_or_b32 exec_lo, exec_lo, s0
	s_and_saveexec_b32 s0, s5
	s_cbranch_execz .LBB803_132
.LBB803_217:
	flat_store_b64 v[0:1], v[26:27] offset:12288
	s_wait_xcnt 0x0
	s_or_b32 exec_lo, exec_lo, s0
	s_and_saveexec_b32 s0, s6
	s_cbranch_execz .LBB803_133
.LBB803_218:
	flat_store_b64 v[0:1], v[28:29] offset:14336
	s_wait_xcnt 0x0
	s_or_b32 exec_lo, exec_lo, s0
	s_and_saveexec_b32 s0, s7
	s_cbranch_execz .LBB803_134
.LBB803_219:
	flat_store_b64 v[0:1], v[22:23] offset:16384
	s_wait_xcnt 0x0
	s_or_b32 exec_lo, exec_lo, s0
	s_and_saveexec_b32 s0, s10
	s_cbranch_execz .LBB803_135
.LBB803_220:
	flat_store_b64 v[0:1], v[24:25] offset:18432
	s_wait_xcnt 0x0
	s_or_b32 exec_lo, exec_lo, s0
	s_and_saveexec_b32 s0, s11
	s_cbranch_execz .LBB803_136
.LBB803_221:
	flat_store_b64 v[0:1], v[18:19] offset:20480
	s_wait_xcnt 0x0
	s_or_b32 exec_lo, exec_lo, s0
	s_and_saveexec_b32 s0, s12
	s_cbranch_execz .LBB803_137
.LBB803_222:
	flat_store_b64 v[0:1], v[20:21] offset:22528
	s_wait_xcnt 0x0
	s_or_b32 exec_lo, exec_lo, s0
	s_and_saveexec_b32 s0, s13
	s_cbranch_execz .LBB803_138
.LBB803_223:
	flat_store_b64 v[0:1], v[14:15] offset:24576
	s_wait_xcnt 0x0
	s_or_b32 exec_lo, exec_lo, s0
	s_and_saveexec_b32 s0, s14
	s_cbranch_execz .LBB803_139
.LBB803_224:
	flat_store_b64 v[0:1], v[16:17] offset:26624
	s_wait_xcnt 0x0
	s_or_b32 exec_lo, exec_lo, s0
	s_and_saveexec_b32 s0, s15
	s_cbranch_execz .LBB803_140
.LBB803_225:
	flat_store_b64 v[0:1], v[10:11] offset:28672
	s_wait_xcnt 0x0
	s_or_b32 exec_lo, exec_lo, s0
	s_and_saveexec_b32 s0, s16
	s_cbranch_execnz .LBB803_141
	s_branch .LBB803_142
.LBB803_226:
	s_or_b32 exec_lo, exec_lo, s23
	v_lshl_add_u32 v0, v22, 3, v12
	s_barrier_signal -1
	s_barrier_wait -1
	ds_store_b64 v130, v[26:27]
	ds_store_b64 v132, v[28:29]
	;; [unrolled: 1-line block ×8, first 2 shown]
	s_wait_dscnt 0x0
	s_barrier_signal -1
	s_barrier_wait -1
	ds_load_2addr_stride64_b64 v[48:51], v0 offset1:4
	ds_load_2addr_stride64_b64 v[34:37], v0 offset0:8 offset1:12
	ds_load_2addr_stride64_b64 v[30:33], v0 offset0:16 offset1:20
	;; [unrolled: 1-line block ×3, first 2 shown]
	s_wait_dscnt 0x0
	s_barrier_signal -1
	s_barrier_wait -1
	ds_store_b64 v130, v[14:15]
	ds_store_b64 v132, v[16:17]
	;; [unrolled: 1-line block ×8, first 2 shown]
	s_wait_dscnt 0x0
	s_barrier_signal -1
	s_barrier_wait -1
	ds_load_2addr_stride64_b64 v[22:25], v0 offset1:4
	ds_load_2addr_stride64_b64 v[18:21], v0 offset0:8 offset1:12
	ds_load_2addr_stride64_b64 v[14:17], v0 offset0:16 offset1:20
	;; [unrolled: 1-line block ×3, first 2 shown]
	v_lshl_add_u64 v[0:1], v[8:9], 3, v[2:3]
	v_mov_b32_e32 v39, 0
	s_set_vgpr_msb 4                        ;  msbs: dst=0 src0=0 src1=1 src2=0
	v_cmp_lt_u32_e32 vcc_lo, v38, v34 /*v290*/
	s_wait_dscnt 0x0
	s_barrier_signal -1
	s_barrier_wait -1
	v_lshl_add_u64 v[0:1], v[38:39], 3, v[0:1]
	s_and_saveexec_b32 s0, vcc_lo
	s_set_vgpr_msb 0                        ;  msbs: dst=0 src0=0 src1=0 src2=0
	s_cbranch_execz .LBB803_228
; %bb.227:
	v_xor_b32_e32 v49, 0x80000000, v49
	flat_store_b64 v[0:1], v[48:49]
.LBB803_228:
	s_wait_xcnt 0x0
	s_or_b32 exec_lo, exec_lo, s0
	v_add_nc_u32_e32 v2, 0x100, v38
	s_set_vgpr_msb 4                        ;  msbs: dst=0 src0=0 src1=1 src2=0
	s_delay_alu instid0(VALU_DEP_1)
	v_cmp_lt_u32_e64 s0, v2, v34 /*v290*/
	s_and_saveexec_b32 s1, s0
	s_set_vgpr_msb 0                        ;  msbs: dst=0 src0=0 src1=0 src2=0
	s_cbranch_execz .LBB803_230
; %bb.229:
	v_xor_b32_e32 v51, 0x80000000, v51
	flat_store_b64 v[0:1], v[50:51] offset:2048
.LBB803_230:
	s_wait_xcnt 0x0
	s_or_b32 exec_lo, exec_lo, s1
	v_add_nc_u32_e32 v2, 0x200, v38
	s_set_vgpr_msb 4                        ;  msbs: dst=0 src0=0 src1=1 src2=0
	s_delay_alu instid0(VALU_DEP_1)
	v_cmp_lt_u32_e64 s1, v2, v34 /*v290*/
	s_and_saveexec_b32 s2, s1
	s_set_vgpr_msb 0                        ;  msbs: dst=0 src0=0 src1=0 src2=0
	s_cbranch_execz .LBB803_232
; %bb.231:
	v_xor_b32_e32 v35, 0x80000000, v35
	flat_store_b64 v[0:1], v[34:35] offset:4096
.LBB803_232:
	;; [unrolled: 13-line block ×7, first 2 shown]
	s_wait_xcnt 0x0
	s_or_b32 exec_lo, exec_lo, s7
	v_lshl_add_u64 v[0:1], v[8:9], 3, v[6:7]
	s_delay_alu instid0(VALU_DEP_1)
	v_lshl_add_u64 v[0:1], v[38:39], 3, v[0:1]
	s_and_saveexec_b32 s7, vcc_lo
	s_cbranch_execnz .LBB803_292
; %bb.243:
	s_or_b32 exec_lo, exec_lo, s7
	s_and_saveexec_b32 s7, s0
	s_cbranch_execnz .LBB803_293
.LBB803_244:
	s_or_b32 exec_lo, exec_lo, s7
	s_and_saveexec_b32 s0, s1
	s_cbranch_execnz .LBB803_294
.LBB803_245:
	s_or_b32 exec_lo, exec_lo, s0
	s_and_saveexec_b32 s0, s2
	s_cbranch_execnz .LBB803_295
.LBB803_246:
	s_or_b32 exec_lo, exec_lo, s0
	s_and_saveexec_b32 s0, s3
	s_cbranch_execnz .LBB803_296
.LBB803_247:
	s_or_b32 exec_lo, exec_lo, s0
	s_and_saveexec_b32 s0, s4
	s_cbranch_execnz .LBB803_297
.LBB803_248:
	s_or_b32 exec_lo, exec_lo, s0
	s_and_saveexec_b32 s0, s5
	s_cbranch_execnz .LBB803_298
.LBB803_249:
	s_or_b32 exec_lo, exec_lo, s0
	s_and_saveexec_b32 s0, s6
	s_cbranch_execz .LBB803_251
.LBB803_250:
	flat_store_b64 v[0:1], v[12:13] offset:14336
.LBB803_251:
	s_wait_xcnt 0x0
	s_or_b32 exec_lo, exec_lo, s0
                                        ; implicit-def: $vgpr290
                                        ; implicit-def: $vgpr8
                                        ; implicit-def: $vgpr10
                                        ; implicit-def: $vgpr11
                                        ; implicit-def: $vgpr0_vgpr1
                                        ; implicit-def: $vgpr2_vgpr3
                                        ; implicit-def: $vgpr4_vgpr5
                                        ; implicit-def: $vgpr6_vgpr7
                                        ; implicit-def: $vgpr12_vgpr13
                                        ; implicit-def: $vgpr9
                                        ; implicit-def: $vgpr14
                                        ; implicit-def: $vgpr22
                                        ; implicit-def: $vgpr27
.LBB803_252:
	s_and_not1_saveexec_b32 s0, s19
	s_cbranch_execz .LBB803_372
; %bb.253:
	s_mov_b32 s0, exec_lo
	s_set_vgpr_msb 4                        ;  msbs: dst=0 src0=0 src1=1 src2=0
	v_cmpx_lt_u32_e32 0x200, v34 /*v290*/
	s_xor_b32 s22, exec_lo, s0
	s_set_vgpr_msb 0                        ;  msbs: dst=0 src0=0 src1=0 src2=0
	s_cbranch_execz .LBB803_313
; %bb.254:
	s_load_b64 s[0:1], s[8:9], 0x0
	s_bfe_u32 s3, ttmp6, 0x4000c
	s_bfe_u32 s5, ttmp6, 0x40010
	s_and_b32 s4, ttmp7, 0xffff
	s_add_co_i32 s3, s3, 1
	s_add_co_i32 s5, s5, 1
	s_and_b32 s2, ttmp6, 15
	s_bfe_u32 s6, ttmp6, 0x40004
	s_mul_i32 s3, ttmp9, s3
	s_mul_i32 s5, s4, s5
	s_add_co_i32 s2, s2, s3
	s_add_co_i32 s6, s6, s5
	s_cmp_eq_u32 s21, 0
	s_mov_b32 s3, 0
	s_cselect_b32 s2, ttmp9, s2
	s_cselect_b32 s4, s4, s6
	v_bfrev_b32_e32 v15, -2
	v_lshlrev_b32_e32 v24, 3, v27
	s_wait_kmcnt 0x0
	s_cmp_lt_u32 s2, s0
	s_delay_alu instid0(VALU_DEP_2) | instskip(SKIP_4) | instid1(SALU_CYCLE_1)
	v_mov_b32_e32 v21, v15
	s_cselect_b32 s2, 12, 18
	s_cmp_lt_u32 s4, s1
	s_mov_b32 s1, s3
	s_cselect_b32 s0, 14, 20
	s_add_nc_u64 s[0:1], s[8:9], s[0:1]
	s_load_u16 s4, s[0:1], 0x0
	s_wait_xcnt 0x0
	s_add_nc_u64 s[0:1], s[8:9], s[2:3]
	s_load_u16 s0, s[0:1], 0x0
	s_wait_kmcnt 0x0
	v_mad_u32_u24 v9, v14, s4, v9
	s_delay_alu instid0(VALU_DEP_1) | instskip(SKIP_1) | instid1(VALU_DEP_1)
	v_mad_u32 v26, v9, s0, v22
	v_dual_mov_b32 v9, 0 :: v_dual_mov_b32 v14, -1
	v_lshl_add_u64 v[16:17], v[8:9], 3, v[0:1]
	v_dual_mov_b32 v1, v9 :: v_dual_mov_b32 v19, v15
	s_delay_alu instid0(VALU_DEP_3) | instskip(SKIP_1) | instid1(VALU_DEP_2)
	v_dual_mov_b32 v20, v14 :: v_dual_mov_b32 v25, v9
	v_lshlrev_b32_e32 v18, 2, v26
	v_add_nc_u64_e32 v[28:29], v[16:17], v[24:25]
	s_delay_alu instid0(VALU_DEP_2) | instskip(SKIP_1) | instid1(VALU_DEP_2)
	v_and_b32_e32 v0, 0xffffff80, v18
	v_dual_mov_b32 v16, v14 :: v_dual_mov_b32 v17, v15
	v_dual_mov_b32 v18, v14 :: v_dual_bitop2_b32 v23, v0, v27 bitop3:0x54
	s_delay_alu instid0(VALU_DEP_4) | instskip(SKIP_1) | instid1(VALU_DEP_2)
	v_lshl_add_u64 v[28:29], v[0:1], 3, v[28:29]
	s_set_vgpr_msb 4                        ;  msbs: dst=0 src0=0 src1=1 src2=0
	v_cmp_lt_u32_e32 vcc_lo, v23, v34 /*v290*/
	s_and_saveexec_b32 s0, vcc_lo
	s_set_vgpr_msb 0                        ;  msbs: dst=0 src0=0 src1=0 src2=0
	s_cbranch_execz .LBB803_256
; %bb.255:
	flat_load_b64 v[30:31], v[28:29]
	v_dual_mov_b32 v32, v14 :: v_dual_mov_b32 v33, v15
	v_dual_mov_b32 v34, v14 :: v_dual_mov_b32 v35, v15
	v_dual_mov_b32 v36, v14 :: v_dual_mov_b32 v37, v15
	s_wait_loadcnt_dscnt 0x0
	v_mov_b64_e32 v[14:15], v[30:31]
	v_mov_b64_e32 v[16:17], v[32:33]
	;; [unrolled: 1-line block ×4, first 2 shown]
.LBB803_256:
	s_wait_xcnt 0x0
	s_or_b32 exec_lo, exec_lo, s0
	v_or_b32_e32 v25, 32, v23
	s_set_vgpr_msb 4                        ;  msbs: dst=0 src0=0 src1=1 src2=0
	s_delay_alu instid0(VALU_DEP_1)
	v_cmp_lt_u32_e64 s0, v25, v34 /*v290*/
	s_and_saveexec_b32 s1, s0
	s_set_vgpr_msb 0                        ;  msbs: dst=0 src0=0 src1=0 src2=0
	s_cbranch_execz .LBB803_258
; %bb.257:
	flat_load_b64 v[16:17], v[28:29] offset:256
.LBB803_258:
	s_wait_xcnt 0x0
	s_or_b32 exec_lo, exec_lo, s1
	v_or_b32_e32 v25, 64, v23
	s_set_vgpr_msb 4                        ;  msbs: dst=0 src0=0 src1=1 src2=0
	s_delay_alu instid0(VALU_DEP_1)
	v_cmp_lt_u32_e64 s1, v25, v34 /*v290*/
	s_and_saveexec_b32 s2, s1
	s_set_vgpr_msb 0                        ;  msbs: dst=0 src0=0 src1=0 src2=0
	s_cbranch_execz .LBB803_260
; %bb.259:
	flat_load_b64 v[18:19], v[28:29] offset:512
.LBB803_260:
	;; [unrolled: 12-line block ×3, first 2 shown]
	s_wait_xcnt 0x0
	s_or_b32 exec_lo, exec_lo, s3
	v_lshl_add_u64 v[4:5], v[8:9], 3, v[4:5]
	v_mov_b32_e32 v25, 0
                                        ; implicit-def: $vgpr50_vgpr51
	s_delay_alu instid0(VALU_DEP_1) | instskip(NEXT) | instid1(VALU_DEP_1)
	v_add_nc_u64_e32 v[4:5], v[4:5], v[24:25]
	v_lshl_add_u64 v[0:1], v[0:1], 3, v[4:5]
	s_and_saveexec_b32 s3, vcc_lo
	s_cbranch_execnz .LBB803_337
; %bb.263:
	s_or_b32 exec_lo, exec_lo, s3
                                        ; implicit-def: $vgpr52_vgpr53
	s_and_saveexec_b32 s3, s0
	s_cbranch_execnz .LBB803_338
.LBB803_264:
	s_or_b32 exec_lo, exec_lo, s3
                                        ; implicit-def: $vgpr54_vgpr55
	s_and_saveexec_b32 s0, s1
	s_cbranch_execnz .LBB803_339
.LBB803_265:
	s_or_b32 exec_lo, exec_lo, s0
                                        ; implicit-def: $vgpr64_vgpr65
	s_and_saveexec_b32 s0, s2
	s_cbranch_execz .LBB803_267
.LBB803_266:
	flat_load_b64 v[64:65], v[0:1] offset:768
.LBB803_267:
	s_wait_xcnt 0x0
	s_or_b32 exec_lo, exec_lo, s0
	v_lshl_add_u32 v0, v22, 5, v12
	v_and_b32_e32 v1, 0x3e0, v22
	v_and_b32_e32 v4, 15, v27
	v_sub_co_u32 v5, s2, v27, 1
	s_delay_alu instid0(VALU_DEP_4)
	v_dual_add_nc_u32 v23, 32, v0 :: v_dual_add_nc_u32 v82, 36, v0
	v_dual_add_nc_u32 v83, 40, v0 :: v_dual_add_nc_u32 v84, 44, v0
	;; [unrolled: 1-line block ×4, first 2 shown]
	v_lshrrev_b32_e32 v97, 5, v26
	v_min_u32_e32 v0, 0xe0, v1
	v_and_b32_e32 v1, 16, v27
	v_cmp_gt_i32_e64 s6, 0, v5
	s_get_pc_i64 s[0:1]
	s_add_nc_u64 s[0:1], s[0:1], _ZN7rocprim17ROCPRIM_400000_NS16block_radix_sortIlLj256ELj4ElLj1ELj1ELj8ELNS0_26block_radix_rank_algorithmE2ELNS0_18block_padding_hintE2ELNS0_4arch9wavefront6targetE0EE19radix_bits_per_passE@rel64+4
	v_cmp_eq_u32_e32 vcc_lo, 0, v4
	v_or_b32_e32 v0, 31, v0
	s_load_b32 s23, s[0:1], 0x0
	s_wait_xcnt 0x0
	v_cmp_lt_u32_e64 s0, 1, v4
	v_cmp_lt_u32_e64 s1, 3, v4
	;; [unrolled: 1-line block ×3, first 2 shown]
	v_cmp_eq_u32_e64 s5, v22, v0
	v_lshrrev_b32_e32 v0, 3, v22
	v_cmp_eq_u32_e64 s4, 0, v1
	v_dual_cndmask_b32 v1, v5, v27, s6 :: v_dual_lshlrev_b32 v4, 2, v22
	v_xor_b32_e32 v15, 0x80000000, v15
	s_delay_alu instid0(VALU_DEP_4) | instskip(NEXT) | instid1(VALU_DEP_3)
	v_and_b32_e32 v0, 0x7c, v0
	v_dual_lshlrev_b32 v98, 2, v1 :: v_dual_bitop2_b32 v24, 7, v27 bitop3:0x40
	s_delay_alu instid0(VALU_DEP_4) | instskip(SKIP_1) | instid1(VALU_DEP_4)
	v_and_or_b32 v5, 0xf80, v4, v27
	v_dual_mov_b32 v1, 0 :: v_dual_add_nc_u32 v99, v12, v4
	v_add_nc_u32_e32 v27, v12, v0
	s_wait_loadcnt_dscnt 0x0
	v_xor_b32_e32 v17, 0x80000000, v17
	v_lshl_add_u32 v100, v5, 3, v12
	v_mov_b64_e32 v[4:5], 0
	v_xor_b32_e32 v19, 0x80000000, v19
	v_xor_b32_e32 v21, 0x80000000, v21
	v_cmp_gt_u32_e64 s6, 8, v22
	v_cmp_lt_u32_e64 s7, 31, v22
	v_cmp_eq_u32_e64 s10, 0, v22
	v_cmp_eq_u32_e64 s11, 0, v24
	v_cmp_lt_u32_e64 s12, 1, v24
	v_cmp_lt_u32_e64 s13, 3, v24
	v_dual_add_nc_u32 v101, -4, v27 :: v_dual_sub_nc_u32 v113, v11, v10
	v_add_nc_u32_e32 v102, 0x100, v100
	v_add_nc_u32_e32 v103, 0x200, v100
	;; [unrolled: 1-line block ×3, first 2 shown]
	s_mov_b32 s24, 0
	s_wait_storecnt 0x0
	s_barrier_signal -1
	s_barrier_wait -1
	s_branch .LBB803_269
.LBB803_268:                            ;   in Loop: Header=BB803_269 Depth=1
	s_or_b32 exec_lo, exec_lo, s15
	s_delay_alu instid0(SALU_CYCLE_1) | instskip(NEXT) | instid1(SALU_CYCLE_1)
	s_and_b32 s14, exec_lo, s16
	s_or_b32 s24, s14, s24
	s_delay_alu instid0(SALU_CYCLE_1)
	s_and_not1_b32 exec_lo, exec_lo, s24
	s_cbranch_execz .LBB803_299
.LBB803_269:                            ; =>This Inner Loop Header: Depth=1
	v_mov_b64_e32 v[24:25], v[14:15]
	s_wait_kmcnt 0x0
	v_min_u32_e32 v0, s23, v113
	v_mov_b64_e32 v[28:29], v[20:21]
	v_mov_b64_e32 v[48:49], v[16:17]
	;; [unrolled: 1-line block ×4, first 2 shown]
	v_lshlrev_b32_e64 v66, v0, -1
	v_lshrrev_b64 v[14:15], v10, v[24:25]
	ds_store_b64 v23, v[4:5]
	ds_store_b64 v83, v[4:5]
	;; [unrolled: 1-line block ×4, first 2 shown]
	s_wait_dscnt 0x0
	s_barrier_signal -1
	s_barrier_wait -1
	v_bitop3_b32 v0, v14, 1, v66 bitop3:0x40
	v_bitop3_b32 v14, v14, v66, v14 bitop3:0x30
	; wave barrier
	s_delay_alu instid0(VALU_DEP_2) | instskip(NEXT) | instid1(VALU_DEP_1)
	v_add_co_u32 v0, s14, v0, -1
	v_cndmask_b32_e64 v15, 0, 1, s14
	s_delay_alu instid0(VALU_DEP_3) | instskip(SKIP_1) | instid1(VALU_DEP_3)
	v_dual_lshlrev_b32 v20, 30, v14 :: v_dual_lshlrev_b32 v21, 29, v14
	v_dual_lshlrev_b32 v30, 28, v14 :: v_dual_lshlrev_b32 v31, 27, v14
	v_cmp_ne_u32_e64 s14, 0, v15
	s_delay_alu instid0(VALU_DEP_3)
	v_not_b32_e32 v15, v20
	v_dual_lshlrev_b32 v32, 26, v14 :: v_dual_lshlrev_b32 v33, 25, v14
	v_lshlrev_b32_e32 v34, 24, v14
	v_cmp_gt_i32_e64 s15, 0, v20
	v_cmp_gt_i32_e64 s16, 0, v21
	v_not_b32_e32 v20, v21
	v_not_b32_e32 v21, v30
	v_ashrrev_i32_e32 v15, 31, v15
	v_cmp_gt_i32_e64 s17, 0, v30
	v_cmp_gt_i32_e64 s18, 0, v31
	v_not_b32_e32 v30, v31
	v_not_b32_e32 v31, v32
	v_dual_ashrrev_i32 v21, 31, v21 :: v_dual_bitop2_b32 v0, s14, v0 bitop3:0x14
	v_dual_ashrrev_i32 v20, 31, v20 :: v_dual_bitop2_b32 v15, s15, v15 bitop3:0x14
	v_cmp_gt_i32_e64 s19, 0, v32
	s_delay_alu instid0(VALU_DEP_4)
	v_dual_ashrrev_i32 v30, 31, v30 :: v_dual_ashrrev_i32 v31, 31, v31
	v_not_b32_e32 v32, v34
	v_xor_b32_e32 v21, s17, v21
	v_bitop3_b32 v0, v0, v15, exec_lo bitop3:0x80
	v_not_b32_e32 v15, v33
	v_xor_b32_e32 v20, s16, v20
	v_xor_b32_e32 v30, s18, v30
	;; [unrolled: 1-line block ×3, first 2 shown]
	v_cmp_gt_i32_e64 s14, 0, v33
	v_ashrrev_i32_e32 v15, 31, v15
	v_bitop3_b32 v0, v0, v21, v20 bitop3:0x80
	v_cmp_gt_i32_e64 s15, 0, v34
	v_ashrrev_i32_e32 v20, 31, v32
	v_mov_b64_e32 v[34:35], v[50:51]
	v_xor_b32_e32 v15, s14, v15
	v_bitop3_b32 v16, v0, v31, v30 bitop3:0x80
	v_lshl_add_u32 v0, v14, 3, v97
	v_xor_b32_e32 v17, s15, v20
	v_mov_b64_e32 v[32:33], v[52:53]
	v_mov_b64_e32 v[30:31], v[54:55]
	s_delay_alu instid0(VALU_DEP_3) | instskip(SKIP_1) | instid1(VALU_DEP_2)
	v_bitop3_b32 v16, v16, v17, v15 bitop3:0x80
	v_lshl_add_u64 v[14:15], v[0:1], 2, v[12:13]
	v_mbcnt_lo_u32_b32 v0, v16, 0
	s_delay_alu instid0(VALU_DEP_2) | instskip(SKIP_1) | instid1(VALU_DEP_3)
	v_add_nc_u64_e32 v[14:15], 32, v[14:15]
	v_cmp_ne_u32_e64 s15, 0, v16
	v_cmp_eq_u32_e64 s14, 0, v0
	s_and_b32 s15, s15, s14
	s_delay_alu instid0(SALU_CYCLE_1)
	s_and_saveexec_b32 s14, s15
; %bb.270:                              ;   in Loop: Header=BB803_269 Depth=1
	v_bcnt_u32_b32 v15, v16, 0
	ds_store_b32 v14, v15
; %bb.271:                              ;   in Loop: Header=BB803_269 Depth=1
	s_or_b32 exec_lo, exec_lo, s14
	v_lshrrev_b64 v[16:17], v10, v[48:49]
	v_not_b32_e32 v21, v66
	; wave barrier
	s_delay_alu instid0(VALU_DEP_1) | instskip(SKIP_1) | instid1(VALU_DEP_2)
	v_and_b32_e32 v15, v16, v21
	v_bitop3_b32 v16, v16, 1, v21 bitop3:0x80
	v_lshlrev_b32_e32 v19, 30, v15
	s_delay_alu instid0(VALU_DEP_2) | instskip(NEXT) | instid1(VALU_DEP_1)
	v_add_co_u32 v16, s14, v16, -1
	v_cndmask_b32_e64 v18, 0, 1, s14
	s_delay_alu instid0(VALU_DEP_1) | instskip(NEXT) | instid1(VALU_DEP_4)
	v_cmp_ne_u32_e64 s14, 0, v18
	v_not_b32_e32 v18, v19
	s_delay_alu instid0(VALU_DEP_1) | instskip(SKIP_4) | instid1(VALU_DEP_4)
	v_dual_ashrrev_i32 v18, 31, v18 :: v_dual_bitop2_b32 v16, s14, v16 bitop3:0x14
	v_dual_lshlrev_b32 v20, 29, v15 :: v_dual_lshlrev_b32 v50, 28, v15
	v_dual_lshlrev_b32 v51, 27, v15 :: v_dual_lshlrev_b32 v52, 26, v15
	v_lshlrev_b32_e32 v53, 25, v15
	v_cmp_gt_i32_e64 s15, 0, v19
	v_cmp_gt_i32_e64 s16, 0, v20
	v_not_b32_e32 v19, v20
	v_not_b32_e32 v20, v50
	v_lshl_add_u32 v17, v15, 3, v97
	v_lshlrev_b32_e32 v15, 24, v15
	v_cmp_gt_i32_e64 s17, 0, v50
	v_cmp_gt_i32_e64 s18, 0, v51
	v_dual_ashrrev_i32 v19, 31, v19 :: v_dual_ashrrev_i32 v20, 31, v20
	v_not_b32_e32 v50, v51
	v_not_b32_e32 v51, v52
	v_xor_b32_e32 v18, s15, v18
	s_delay_alu instid0(VALU_DEP_4)
	v_xor_b32_e32 v19, s16, v19
	v_cmp_gt_i32_e64 s14, 0, v52
	v_cmp_gt_i32_e64 s15, 0, v15
	v_lshl_add_u32 v17, v17, 2, v12
	v_bitop3_b32 v16, v16, v18, exec_lo bitop3:0x80
	v_dual_ashrrev_i32 v18, 31, v50 :: v_dual_ashrrev_i32 v50, 31, v51
	v_not_b32_e32 v51, v53
	v_xor_b32_e32 v20, s17, v20
	s_delay_alu instid0(VALU_DEP_1)
	v_bitop3_b32 v16, v16, v20, v19 bitop3:0x80
	v_not_b32_e32 v19, v15
	v_xor_b32_e32 v18, s18, v18
	v_xor_b32_e32 v20, s14, v50
	v_cmp_gt_i32_e64 s14, 0, v53
	v_ashrrev_i32_e32 v50, 31, v51
	v_ashrrev_i32_e32 v15, 31, v19
	s_delay_alu instid0(VALU_DEP_1) | instskip(SKIP_4) | instid1(VALU_DEP_1)
	v_xor_b32_e32 v19, s15, v15
	ds_load_b32 v15, v17 offset:32
	v_add_nc_u32_e32 v17, 32, v17
	v_bitop3_b32 v16, v16, v20, v18 bitop3:0x80
	v_xor_b32_e32 v18, s14, v50
	; wave barrier
	v_bitop3_b32 v18, v16, v19, v18 bitop3:0x80
	s_delay_alu instid0(VALU_DEP_1) | instskip(SKIP_1) | instid1(VALU_DEP_2)
	v_mbcnt_lo_u32_b32 v16, v18, 0
	v_cmp_ne_u32_e64 s15, 0, v18
	v_cmp_eq_u32_e64 s14, 0, v16
	s_and_b32 s15, s15, s14
	s_delay_alu instid0(SALU_CYCLE_1)
	s_and_saveexec_b32 s14, s15
	s_cbranch_execz .LBB803_273
; %bb.272:                              ;   in Loop: Header=BB803_269 Depth=1
	s_wait_dscnt 0x0
	v_bcnt_u32_b32 v18, v18, v15
	ds_store_b32 v17, v18
.LBB803_273:                            ;   in Loop: Header=BB803_269 Depth=1
	s_or_b32 exec_lo, exec_lo, s14
	v_lshrrev_b64 v[18:19], v10, v[38:39]
	; wave barrier
	s_delay_alu instid0(VALU_DEP_1) | instskip(SKIP_1) | instid1(VALU_DEP_2)
	v_and_b32_e32 v19, v18, v21
	v_bitop3_b32 v18, v18, 1, v21 bitop3:0x80
	v_lshlrev_b32_e32 v51, 30, v19
	s_delay_alu instid0(VALU_DEP_2) | instskip(NEXT) | instid1(VALU_DEP_1)
	v_add_co_u32 v18, s14, v18, -1
	v_cndmask_b32_e64 v50, 0, 1, s14
	s_delay_alu instid0(VALU_DEP_1) | instskip(NEXT) | instid1(VALU_DEP_4)
	v_cmp_ne_u32_e64 s14, 0, v50
	v_not_b32_e32 v50, v51
	s_delay_alu instid0(VALU_DEP_2) | instskip(NEXT) | instid1(VALU_DEP_2)
	v_xor_b32_e32 v18, s14, v18
	v_dual_ashrrev_i32 v50, 31, v50 :: v_dual_lshlrev_b32 v52, 29, v19
	v_dual_lshlrev_b32 v53, 28, v19 :: v_dual_lshlrev_b32 v54, 27, v19
	v_cmp_gt_i32_e64 s15, 0, v51
	v_lshl_add_u32 v20, v19, 3, v97
	s_delay_alu instid0(VALU_DEP_4)
	v_cmp_gt_i32_e64 s16, 0, v52
	v_not_b32_e32 v51, v52
	v_not_b32_e32 v52, v53
	v_dual_lshlrev_b32 v55, 26, v19 :: v_dual_lshlrev_b32 v64, 25, v19
	v_lshlrev_b32_e32 v19, 24, v19
	v_cmp_gt_i32_e64 s17, 0, v53
	v_not_b32_e32 v53, v54
	v_dual_ashrrev_i32 v51, 31, v51 :: v_dual_ashrrev_i32 v52, 31, v52
	v_xor_b32_e32 v50, s15, v50
	v_cmp_gt_i32_e64 s18, 0, v54
	v_not_b32_e32 v54, v55
	s_delay_alu instid0(VALU_DEP_4)
	v_dual_ashrrev_i32 v53, 31, v53 :: v_dual_bitop2_b32 v51, s16, v51 bitop3:0x14
	v_xor_b32_e32 v52, s17, v52
	v_bitop3_b32 v18, v18, v50, exec_lo bitop3:0x80
	v_cmp_gt_i32_e64 s14, 0, v55
	v_ashrrev_i32_e32 v50, 31, v54
	v_not_b32_e32 v54, v64
	v_xor_b32_e32 v53, s18, v53
	v_bitop3_b32 v18, v18, v52, v51 bitop3:0x80
	v_not_b32_e32 v51, v19
	v_cmp_gt_i32_e64 s15, 0, v19
	v_ashrrev_i32_e32 v52, 31, v54
	v_lshl_add_u32 v20, v20, 2, v12
	v_xor_b32_e32 v50, s14, v50
	v_cmp_gt_i32_e64 s14, 0, v64
	v_ashrrev_i32_e32 v19, 31, v51
	s_delay_alu instid0(VALU_DEP_3) | instskip(NEXT) | instid1(VALU_DEP_3)
	v_bitop3_b32 v50, v18, v50, v53 bitop3:0x80
	v_xor_b32_e32 v51, s14, v52
	s_delay_alu instid0(VALU_DEP_3) | instskip(SKIP_3) | instid1(VALU_DEP_1)
	v_xor_b32_e32 v19, s15, v19
	ds_load_b32 v18, v20 offset:32
	v_add_nc_u32_e32 v20, 32, v20
	; wave barrier
	v_bitop3_b32 v50, v50, v19, v51 bitop3:0x80
	v_mbcnt_lo_u32_b32 v19, v50, 0
	v_cmp_ne_u32_e64 s15, 0, v50
	s_delay_alu instid0(VALU_DEP_2) | instskip(SKIP_1) | instid1(SALU_CYCLE_1)
	v_cmp_eq_u32_e64 s14, 0, v19
	s_and_b32 s15, s15, s14
	s_and_saveexec_b32 s14, s15
	s_cbranch_execz .LBB803_275
; %bb.274:                              ;   in Loop: Header=BB803_269 Depth=1
	s_wait_dscnt 0x0
	v_bcnt_u32_b32 v50, v50, v18
	ds_store_b32 v20, v50
.LBB803_275:                            ;   in Loop: Header=BB803_269 Depth=1
	s_or_b32 exec_lo, exec_lo, s14
	v_lshrrev_b64 v[50:51], v10, v[28:29]
	; wave barrier
	s_delay_alu instid0(VALU_DEP_1) | instskip(SKIP_1) | instid1(VALU_DEP_2)
	v_and_b32_e32 v51, v50, v21
	v_bitop3_b32 v21, v50, 1, v21 bitop3:0x80
	v_lshlrev_b32_e32 v53, 30, v51
	s_delay_alu instid0(VALU_DEP_2) | instskip(NEXT) | instid1(VALU_DEP_1)
	v_add_co_u32 v21, s14, v21, -1
	v_cndmask_b32_e64 v52, 0, 1, s14
	s_delay_alu instid0(VALU_DEP_1) | instskip(NEXT) | instid1(VALU_DEP_4)
	v_cmp_ne_u32_e64 s14, 0, v52
	v_not_b32_e32 v52, v53
	s_delay_alu instid0(VALU_DEP_1) | instskip(SKIP_4) | instid1(VALU_DEP_4)
	v_dual_ashrrev_i32 v52, 31, v52 :: v_dual_bitop2_b32 v21, s14, v21 bitop3:0x14
	v_dual_lshlrev_b32 v54, 29, v51 :: v_dual_lshlrev_b32 v55, 28, v51
	v_lshlrev_b32_e32 v64, 27, v51
	v_cmp_gt_i32_e64 s15, 0, v53
	v_lshl_add_u32 v50, v51, 3, v97
	v_cmp_gt_i32_e64 s16, 0, v54
	v_not_b32_e32 v53, v54
	v_not_b32_e32 v54, v55
	v_dual_lshlrev_b32 v65, 26, v51 :: v_dual_lshlrev_b32 v66, 25, v51
	v_lshlrev_b32_e32 v51, 24, v51
	v_cmp_gt_i32_e64 s17, 0, v55
	v_not_b32_e32 v55, v64
	v_dual_ashrrev_i32 v53, 31, v53 :: v_dual_ashrrev_i32 v54, 31, v54
	v_xor_b32_e32 v52, s15, v52
	v_cmp_gt_i32_e64 s18, 0, v64
	v_not_b32_e32 v64, v65
	s_delay_alu instid0(VALU_DEP_4)
	v_dual_ashrrev_i32 v55, 31, v55 :: v_dual_bitop2_b32 v53, s16, v53 bitop3:0x14
	v_xor_b32_e32 v54, s17, v54
	v_bitop3_b32 v21, v21, v52, exec_lo bitop3:0x80
	v_cmp_gt_i32_e64 s14, 0, v65
	v_ashrrev_i32_e32 v52, 31, v64
	v_not_b32_e32 v64, v66
	v_xor_b32_e32 v55, s18, v55
	v_bitop3_b32 v21, v21, v54, v53 bitop3:0x80
	v_not_b32_e32 v53, v51
	v_cmp_gt_i32_e64 s15, 0, v51
	s_delay_alu instid0(VALU_DEP_2) | instskip(SKIP_3) | instid1(VALU_DEP_4)
	v_dual_ashrrev_i32 v54, 31, v64 :: v_dual_ashrrev_i32 v51, 31, v53
	v_lshl_add_u32 v53, v50, 2, v12
	v_xor_b32_e32 v52, s14, v52
	v_cmp_gt_i32_e64 s14, 0, v66
	v_xor_b32_e32 v51, s15, v51
	s_delay_alu instid0(VALU_DEP_3) | instskip(NEXT) | instid1(VALU_DEP_3)
	v_bitop3_b32 v50, v21, v52, v55 bitop3:0x80
	v_xor_b32_e32 v52, s14, v54
	ds_load_b32 v21, v53 offset:32
	; wave barrier
	v_bitop3_b32 v52, v50, v51, v52 bitop3:0x80
	v_add_nc_u32_e32 v51, 32, v53
	s_delay_alu instid0(VALU_DEP_2) | instskip(SKIP_1) | instid1(VALU_DEP_2)
	v_mbcnt_lo_u32_b32 v50, v52, 0
	v_cmp_ne_u32_e64 s15, 0, v52
	v_cmp_eq_u32_e64 s14, 0, v50
	s_and_b32 s15, s15, s14
	s_delay_alu instid0(SALU_CYCLE_1)
	s_and_saveexec_b32 s14, s15
	s_cbranch_execz .LBB803_277
; %bb.276:                              ;   in Loop: Header=BB803_269 Depth=1
	s_wait_dscnt 0x0
	v_bcnt_u32_b32 v52, v52, v21
	ds_store_b32 v51, v52
.LBB803_277:                            ;   in Loop: Header=BB803_269 Depth=1
	s_or_b32 exec_lo, exec_lo, s14
	; wave barrier
	s_wait_dscnt 0x0
	s_barrier_signal -1
	s_barrier_wait -1
	ds_load_b32 v53, v23
	ds_load_b32 v54, v82
	;; [unrolled: 1-line block ×8, first 2 shown]
	s_wait_dscnt 0x6
	v_add_nc_u32_e32 v68, v54, v53
	s_wait_dscnt 0x4
	s_delay_alu instid0(VALU_DEP_1) | instskip(SKIP_1) | instid1(VALU_DEP_1)
	v_add3_u32 v68, v68, v55, v64
	s_wait_dscnt 0x2
	v_add3_u32 v68, v68, v65, v66
	s_wait_dscnt 0x0
	s_delay_alu instid0(VALU_DEP_1) | instskip(NEXT) | instid1(VALU_DEP_1)
	v_add3_u32 v67, v68, v52, v67
	v_mov_b32_dpp v68, v67 row_shr:1 row_mask:0xf bank_mask:0xf
	s_delay_alu instid0(VALU_DEP_1) | instskip(NEXT) | instid1(VALU_DEP_1)
	v_cndmask_b32_e64 v68, v68, 0, vcc_lo
	v_add_nc_u32_e32 v67, v68, v67
	s_delay_alu instid0(VALU_DEP_1) | instskip(NEXT) | instid1(VALU_DEP_1)
	v_mov_b32_dpp v68, v67 row_shr:2 row_mask:0xf bank_mask:0xf
	v_cndmask_b32_e64 v68, 0, v68, s0
	s_delay_alu instid0(VALU_DEP_1) | instskip(NEXT) | instid1(VALU_DEP_1)
	v_add_nc_u32_e32 v67, v67, v68
	v_mov_b32_dpp v68, v67 row_shr:4 row_mask:0xf bank_mask:0xf
	s_delay_alu instid0(VALU_DEP_1) | instskip(NEXT) | instid1(VALU_DEP_1)
	v_cndmask_b32_e64 v68, 0, v68, s1
	v_add_nc_u32_e32 v67, v67, v68
	s_delay_alu instid0(VALU_DEP_1) | instskip(NEXT) | instid1(VALU_DEP_1)
	v_mov_b32_dpp v68, v67 row_shr:8 row_mask:0xf bank_mask:0xf
	v_cndmask_b32_e64 v68, 0, v68, s3
	s_delay_alu instid0(VALU_DEP_1) | instskip(SKIP_3) | instid1(VALU_DEP_1)
	v_add_nc_u32_e32 v67, v67, v68
	ds_swizzle_b32 v68, v67 offset:swizzle(BROADCAST,32,15)
	s_wait_dscnt 0x0
	v_cndmask_b32_e64 v68, v68, 0, s4
	v_add_nc_u32_e32 v67, v67, v68
	s_and_saveexec_b32 s14, s5
; %bb.278:                              ;   in Loop: Header=BB803_269 Depth=1
	ds_store_b32 v27, v67
; %bb.279:                              ;   in Loop: Header=BB803_269 Depth=1
	s_or_b32 exec_lo, exec_lo, s14
	s_wait_dscnt 0x0
	s_barrier_signal -1
	s_barrier_wait -1
	s_and_saveexec_b32 s14, s6
	s_cbranch_execz .LBB803_281
; %bb.280:                              ;   in Loop: Header=BB803_269 Depth=1
	ds_load_b32 v68, v99
	s_wait_dscnt 0x0
	v_mov_b32_dpp v69, v68 row_shr:1 row_mask:0xf bank_mask:0xf
	s_delay_alu instid0(VALU_DEP_1) | instskip(NEXT) | instid1(VALU_DEP_1)
	v_cndmask_b32_e64 v69, v69, 0, s11
	v_add_nc_u32_e32 v68, v69, v68
	s_delay_alu instid0(VALU_DEP_1) | instskip(NEXT) | instid1(VALU_DEP_1)
	v_mov_b32_dpp v69, v68 row_shr:2 row_mask:0xf bank_mask:0xf
	v_cndmask_b32_e64 v69, 0, v69, s12
	s_delay_alu instid0(VALU_DEP_1) | instskip(NEXT) | instid1(VALU_DEP_1)
	v_add_nc_u32_e32 v68, v68, v69
	v_mov_b32_dpp v69, v68 row_shr:4 row_mask:0xf bank_mask:0xf
	s_delay_alu instid0(VALU_DEP_1) | instskip(NEXT) | instid1(VALU_DEP_1)
	v_cndmask_b32_e64 v69, 0, v69, s13
	v_add_nc_u32_e32 v68, v68, v69
	ds_store_b32 v99, v68
.LBB803_281:                            ;   in Loop: Header=BB803_269 Depth=1
	s_or_b32 exec_lo, exec_lo, s14
	v_mov_b32_e32 v68, 0
	s_wait_dscnt 0x0
	s_barrier_signal -1
	s_barrier_wait -1
	s_and_saveexec_b32 s14, s7
; %bb.282:                              ;   in Loop: Header=BB803_269 Depth=1
	ds_load_b32 v68, v101
; %bb.283:                              ;   in Loop: Header=BB803_269 Depth=1
	s_or_b32 exec_lo, exec_lo, s14
	s_wait_dscnt 0x0
	v_add_nc_u32_e32 v67, v68, v67
	s_mov_b32 s16, -1
	s_mov_b32 s15, exec_lo
	v_add_nc_u32_e32 v10, 8, v10
	ds_bpermute_b32 v67, v98, v67
	s_wait_dscnt 0x0
	v_cndmask_b32_e64 v67, v67, v68, s2
	s_delay_alu instid0(VALU_DEP_1) | instskip(NEXT) | instid1(VALU_DEP_1)
	v_cndmask_b32_e64 v67, v67, 0, s10
	v_add_nc_u32_e32 v53, v67, v53
	s_delay_alu instid0(VALU_DEP_1) | instskip(NEXT) | instid1(VALU_DEP_1)
	v_add_nc_u32_e32 v54, v53, v54
	v_add_nc_u32_e32 v55, v54, v55
	s_delay_alu instid0(VALU_DEP_1) | instskip(NEXT) | instid1(VALU_DEP_1)
	v_add_nc_u32_e32 v64, v55, v64
	v_add_nc_u32_e32 v65, v64, v65
	s_delay_alu instid0(VALU_DEP_1)
	v_add_nc_u32_e32 v66, v65, v66
	ds_store_b32 v23, v67
	ds_store_b32 v82, v53
	;; [unrolled: 1-line block ×3, first 2 shown]
	v_dual_mov_b32 v53, v1 :: v_dual_add_nc_u32 v52, v66, v52
	ds_store_b32 v84, v55
	ds_store_b32 v85, v64
	;; [unrolled: 1-line block ×5, first 2 shown]
	s_wait_dscnt 0x0
	s_barrier_signal -1
	s_barrier_wait -1
	ds_load_b32 v14, v14
	ds_load_b32 v52, v17
	;; [unrolled: 1-line block ×4, first 2 shown]
	v_dual_mov_b32 v17, v1 :: v_dual_mov_b32 v51, v1
	s_wait_dscnt 0x0
                                        ; implicit-def: $vgpr64_vgpr65
	v_add_nc_u32_e32 v0, v14, v0
	v_add3_u32 v16, v16, v15, v52
	v_add3_u32 v52, v19, v18, v20
	;; [unrolled: 1-line block ×3, first 2 shown]
                                        ; implicit-def: $vgpr54_vgpr55
	s_delay_alu instid0(VALU_DEP_4) | instskip(NEXT) | instid1(VALU_DEP_4)
	v_lshl_add_u64 v[66:67], v[0:1], 3, v[12:13]
	v_lshl_add_u64 v[68:69], v[16:17], 3, v[12:13]
	s_delay_alu instid0(VALU_DEP_4) | instskip(NEXT) | instid1(VALU_DEP_4)
	v_lshl_add_u64 v[70:71], v[52:53], 3, v[12:13]
	v_lshl_add_u64 v[80:81], v[50:51], 3, v[12:13]
                                        ; implicit-def: $vgpr20_vgpr21
                                        ; implicit-def: $vgpr50_vgpr51
                                        ; implicit-def: $vgpr52_vgpr53
	v_cmpx_lt_u32_e64 v10, v11
	s_cbranch_execz .LBB803_268
; %bb.284:                              ;   in Loop: Header=BB803_269 Depth=1
	s_barrier_signal -1
	s_barrier_wait -1
	ds_store_b64 v66, v[24:25]
	ds_store_b64 v68, v[48:49]
	;; [unrolled: 1-line block ×4, first 2 shown]
	s_wait_dscnt 0x0
	s_barrier_signal -1
	s_barrier_wait -1
	ds_load_b64 v[14:15], v100
	ds_load_b64 v[16:17], v102
	;; [unrolled: 1-line block ×4, first 2 shown]
	s_wait_dscnt 0x0
	s_barrier_signal -1
	s_barrier_wait -1
	ds_store_b64 v66, v[34:35]
	ds_store_b64 v68, v[32:33]
	;; [unrolled: 1-line block ×4, first 2 shown]
	s_wait_dscnt 0x0
	s_barrier_signal -1
	s_barrier_wait -1
	ds_load_b64 v[50:51], v100
	ds_load_b64 v[52:53], v102
	ds_load_b64 v[54:55], v103
	ds_load_b64 v[64:65], v112
	v_add_nc_u32_e32 v113, -8, v113
	s_xor_b32 s16, exec_lo, -1
	s_wait_dscnt 0x0
	s_barrier_signal -1
	s_barrier_wait -1
	s_branch .LBB803_268
.LBB803_285:
	flat_load_b64 v[98:99], v[0:1]
	s_wait_xcnt 0x0
	s_or_b32 exec_lo, exec_lo, s7
                                        ; implicit-def: $vgpr100_vgpr101
	s_and_saveexec_b32 s7, s0
	s_cbranch_execz .LBB803_163
.LBB803_286:
	flat_load_b64 v[100:101], v[0:1] offset:256
	s_wait_xcnt 0x0
	s_or_b32 exec_lo, exec_lo, s7
                                        ; implicit-def: $vgpr102_vgpr103
	s_and_saveexec_b32 s0, s1
	s_cbranch_execz .LBB803_164
.LBB803_287:
	flat_load_b64 v[102:103], v[0:1] offset:512
	s_wait_xcnt 0x0
	s_or_b32 exec_lo, exec_lo, s0
                                        ; implicit-def: $vgpr112_vgpr113
	s_and_saveexec_b32 s0, s2
	s_cbranch_execz .LBB803_165
.LBB803_288:
	flat_load_b64 v[112:113], v[0:1] offset:768
	s_wait_xcnt 0x0
	s_or_b32 exec_lo, exec_lo, s0
                                        ; implicit-def: $vgpr114_vgpr115
	s_and_saveexec_b32 s0, s3
	s_cbranch_execz .LBB803_166
.LBB803_289:
	flat_load_b64 v[114:115], v[0:1] offset:1024
	s_wait_xcnt 0x0
	s_or_b32 exec_lo, exec_lo, s0
                                        ; implicit-def: $vgpr116_vgpr117
	s_and_saveexec_b32 s0, s4
	s_cbranch_execz .LBB803_167
.LBB803_290:
	flat_load_b64 v[116:117], v[0:1] offset:1280
	s_wait_xcnt 0x0
	s_or_b32 exec_lo, exec_lo, s0
                                        ; implicit-def: $vgpr118_vgpr119
	s_and_saveexec_b32 s0, s5
	s_cbranch_execz .LBB803_168
.LBB803_291:
	flat_load_b64 v[118:119], v[0:1] offset:1536
	s_wait_xcnt 0x0
	s_or_b32 exec_lo, exec_lo, s0
                                        ; implicit-def: $vgpr128_vgpr129
	s_and_saveexec_b32 s0, s6
	s_cbranch_execnz .LBB803_169
	s_branch .LBB803_170
.LBB803_292:
	flat_store_b64 v[0:1], v[22:23]
	s_wait_xcnt 0x0
	s_or_b32 exec_lo, exec_lo, s7
	s_and_saveexec_b32 s7, s0
	s_cbranch_execz .LBB803_244
.LBB803_293:
	flat_store_b64 v[0:1], v[24:25] offset:2048
	s_wait_xcnt 0x0
	s_or_b32 exec_lo, exec_lo, s7
	s_and_saveexec_b32 s0, s1
	s_cbranch_execz .LBB803_245
.LBB803_294:
	flat_store_b64 v[0:1], v[18:19] offset:4096
	s_wait_xcnt 0x0
	s_or_b32 exec_lo, exec_lo, s0
	s_and_saveexec_b32 s0, s2
	s_cbranch_execz .LBB803_246
.LBB803_295:
	flat_store_b64 v[0:1], v[20:21] offset:6144
	s_wait_xcnt 0x0
	s_or_b32 exec_lo, exec_lo, s0
	s_and_saveexec_b32 s0, s3
	s_cbranch_execz .LBB803_247
.LBB803_296:
	flat_store_b64 v[0:1], v[14:15] offset:8192
	s_wait_xcnt 0x0
	s_or_b32 exec_lo, exec_lo, s0
	s_and_saveexec_b32 s0, s4
	s_cbranch_execz .LBB803_248
.LBB803_297:
	flat_store_b64 v[0:1], v[16:17] offset:10240
	s_wait_xcnt 0x0
	s_or_b32 exec_lo, exec_lo, s0
	s_and_saveexec_b32 s0, s5
	s_cbranch_execz .LBB803_249
.LBB803_298:
	flat_store_b64 v[0:1], v[10:11] offset:12288
	s_wait_xcnt 0x0
	s_or_b32 exec_lo, exec_lo, s0
	s_and_saveexec_b32 s0, s6
	s_cbranch_execnz .LBB803_250
	s_branch .LBB803_251
.LBB803_299:
	s_or_b32 exec_lo, exec_lo, s24
	v_lshl_add_u32 v0, v22, 3, v12
	s_barrier_signal -1
	s_barrier_wait -1
	ds_store_b64 v66, v[24:25]
	ds_store_b64 v68, v[48:49]
	;; [unrolled: 1-line block ×4, first 2 shown]
	s_wait_dscnt 0x0
	s_barrier_signal -1
	s_barrier_wait -1
	ds_load_2addr_stride64_b64 v[22:25], v0 offset1:4
	ds_load_2addr_stride64_b64 v[18:21], v0 offset0:8 offset1:12
	s_wait_dscnt 0x0
	s_barrier_signal -1
	s_barrier_wait -1
	ds_store_b64 v66, v[34:35]
	ds_store_b64 v68, v[32:33]
	;; [unrolled: 1-line block ×4, first 2 shown]
	s_wait_dscnt 0x0
	s_barrier_signal -1
	s_barrier_wait -1
	ds_load_2addr_stride64_b64 v[14:17], v0 offset1:4
	ds_load_2addr_stride64_b64 v[10:13], v0 offset0:8 offset1:12
	v_lshl_add_u64 v[0:1], v[8:9], 3, v[2:3]
	v_mov_b32_e32 v27, 0
	s_set_vgpr_msb 4                        ;  msbs: dst=0 src0=0 src1=1 src2=0
	v_cmp_lt_u32_e32 vcc_lo, v26, v34 /*v290*/
	s_wait_dscnt 0x0
	s_barrier_signal -1
	s_barrier_wait -1
	v_lshl_add_u64 v[0:1], v[26:27], 3, v[0:1]
	s_and_saveexec_b32 s0, vcc_lo
	s_set_vgpr_msb 0                        ;  msbs: dst=0 src0=0 src1=0 src2=0
	s_cbranch_execz .LBB803_301
; %bb.300:
	v_xor_b32_e32 v23, 0x80000000, v23
	flat_store_b64 v[0:1], v[22:23]
.LBB803_301:
	s_wait_xcnt 0x0
	s_or_b32 exec_lo, exec_lo, s0
	v_add_nc_u32_e32 v2, 0x100, v26
	s_set_vgpr_msb 4                        ;  msbs: dst=0 src0=0 src1=1 src2=0
	s_delay_alu instid0(VALU_DEP_1)
	v_cmp_lt_u32_e64 s0, v2, v34 /*v290*/
	s_and_saveexec_b32 s1, s0
	s_set_vgpr_msb 0                        ;  msbs: dst=0 src0=0 src1=0 src2=0
	s_cbranch_execz .LBB803_303
; %bb.302:
	v_xor_b32_e32 v25, 0x80000000, v25
	flat_store_b64 v[0:1], v[24:25] offset:2048
.LBB803_303:
	s_wait_xcnt 0x0
	s_or_b32 exec_lo, exec_lo, s1
	v_add_nc_u32_e32 v2, 0x200, v26
	s_set_vgpr_msb 4                        ;  msbs: dst=0 src0=0 src1=1 src2=0
	s_delay_alu instid0(VALU_DEP_1)
	v_cmp_lt_u32_e64 s1, v2, v34 /*v290*/
	s_and_saveexec_b32 s2, s1
	s_set_vgpr_msb 0                        ;  msbs: dst=0 src0=0 src1=0 src2=0
	s_cbranch_execz .LBB803_305
; %bb.304:
	v_xor_b32_e32 v19, 0x80000000, v19
	flat_store_b64 v[0:1], v[18:19] offset:4096
.LBB803_305:
	;; [unrolled: 13-line block ×3, first 2 shown]
	s_wait_xcnt 0x0
	s_or_b32 exec_lo, exec_lo, s3
	v_lshl_add_u64 v[0:1], v[8:9], 3, v[6:7]
	s_delay_alu instid0(VALU_DEP_1)
	v_lshl_add_u64 v[0:1], v[26:27], 3, v[0:1]
	s_and_saveexec_b32 s3, vcc_lo
	s_cbranch_execnz .LBB803_340
; %bb.308:
	s_or_b32 exec_lo, exec_lo, s3
	s_and_saveexec_b32 s3, s0
	s_cbranch_execnz .LBB803_341
.LBB803_309:
	s_or_b32 exec_lo, exec_lo, s3
	s_and_saveexec_b32 s0, s1
	s_cbranch_execnz .LBB803_342
.LBB803_310:
	s_or_b32 exec_lo, exec_lo, s0
	s_and_saveexec_b32 s0, s2
	s_cbranch_execz .LBB803_312
.LBB803_311:
	flat_store_b64 v[0:1], v[12:13] offset:6144
.LBB803_312:
	s_wait_xcnt 0x0
	s_or_b32 exec_lo, exec_lo, s0
                                        ; implicit-def: $vgpr290
                                        ; implicit-def: $vgpr8
                                        ; implicit-def: $vgpr10
                                        ; implicit-def: $vgpr11
                                        ; implicit-def: $vgpr0_vgpr1
                                        ; implicit-def: $vgpr2_vgpr3
                                        ; implicit-def: $vgpr4_vgpr5
                                        ; implicit-def: $vgpr6_vgpr7
                                        ; implicit-def: $vgpr12_vgpr13
                                        ; implicit-def: $vgpr9
                                        ; implicit-def: $vgpr14
                                        ; implicit-def: $vgpr22
                                        ; implicit-def: $vgpr27
.LBB803_313:
	s_and_not1_saveexec_b32 s0, s22
	s_cbranch_execz .LBB803_372
; %bb.314:
	s_load_b64 s[0:1], s[8:9], 0x0
	s_bfe_u32 s3, ttmp6, 0x4000c
	s_bfe_u32 s5, ttmp6, 0x40010
	s_and_b32 s4, ttmp7, 0xffff
	s_add_co_i32 s3, s3, 1
	s_add_co_i32 s5, s5, 1
	s_and_b32 s2, ttmp6, 15
	s_bfe_u32 s6, ttmp6, 0x40004
	s_mul_i32 s3, ttmp9, s3
	s_mul_i32 s5, s4, s5
	s_add_co_i32 s2, s2, s3
	s_add_co_i32 s6, s6, s5
	s_cmp_eq_u32 s21, 0
	s_cselect_b32 s2, ttmp9, s2
	s_cselect_b32 s3, s4, s6
	s_wait_kmcnt 0x0
	s_cmp_lt_u32 s2, s0
	s_cselect_b32 s0, 12, 18
	s_cmp_lt_u32 s3, s1
	s_mov_b32 s1, 0
	s_cselect_b32 s2, 14, 20
	s_mov_b32 s3, s1
	s_add_nc_u64 s[0:1], s[8:9], s[0:1]
	s_add_nc_u64 s[2:3], s[8:9], s[2:3]
	s_clause 0x1
	s_load_u16 s0, s[0:1], 0x0
	s_nop 0
	s_load_u16 s2, s[2:3], 0x0
	s_wait_kmcnt 0x0
	v_mad_u32_u24 v9, v14, s2, v9
	s_delay_alu instid0(VALU_DEP_1)
	v_mad_u32 v18, v9, s0, v22
	v_mov_b32_e32 v9, 0
	s_mov_b32 s0, exec_lo
	s_set_vgpr_msb 4                        ;  msbs: dst=0 src0=0 src1=1 src2=0
	v_cmpx_lt_u32_e32 0x100, v34 /*v290*/
	s_xor_b32 s19, exec_lo, s0
	s_set_vgpr_msb 0                        ;  msbs: dst=0 src0=0 src1=0 src2=0
	s_cbranch_execz .LBB803_352
; %bb.315:
	v_lshl_add_u64 v[14:15], v[8:9], 3, v[0:1]
	s_delay_alu instid0(VALU_DEP_4) | instskip(SKIP_1) | instid1(VALU_DEP_2)
	v_dual_lshlrev_b32 v0, 1, v18 :: v_dual_lshlrev_b32 v20, 3, v27
	v_mov_b32_e32 v21, v9
	v_and_b32_e32 v0, 0xffffffc0, v0
	v_mov_b32_e32 v1, v9
	s_delay_alu instid0(VALU_DEP_3) | instskip(SKIP_2) | instid1(VALU_DEP_2)
	v_add_nc_u64_e32 v[24:25], v[14:15], v[20:21]
	v_mov_b32_e32 v14, -1
	v_bfrev_b32_e32 v15, -2
	v_dual_mov_b32 v16, v14 :: v_dual_bitop2_b32 v19, v27, v0 bitop3:0x54
	s_delay_alu instid0(VALU_DEP_2) | instskip(SKIP_2) | instid1(VALU_DEP_3)
	v_mov_b32_e32 v17, v15
	v_lshl_add_u64 v[24:25], v[0:1], 3, v[24:25]
	s_set_vgpr_msb 4                        ;  msbs: dst=0 src0=0 src1=1 src2=0
	v_cmp_lt_u32_e32 vcc_lo, v19, v34 /*v290*/
	s_and_saveexec_b32 s0, vcc_lo
	s_set_vgpr_msb 0                        ;  msbs: dst=0 src0=0 src1=0 src2=0
	s_cbranch_execz .LBB803_317
; %bb.316:
	flat_load_b64 v[28:29], v[24:25]
	v_dual_mov_b32 v30, v14 :: v_dual_mov_b32 v31, v15
	s_wait_loadcnt_dscnt 0x0
	v_mov_b64_e32 v[14:15], v[28:29]
	s_delay_alu instid0(VALU_DEP_2)
	v_mov_b64_e32 v[16:17], v[30:31]
.LBB803_317:
	s_wait_xcnt 0x0
	s_or_b32 exec_lo, exec_lo, s0
	v_or_b32_e32 v19, 32, v19
	s_set_vgpr_msb 4                        ;  msbs: dst=0 src0=0 src1=1 src2=0
	s_delay_alu instid0(VALU_DEP_1)
	v_cmp_lt_u32_e64 s0, v19, v34 /*v290*/
	s_and_saveexec_b32 s1, s0
	s_set_vgpr_msb 0                        ;  msbs: dst=0 src0=0 src1=0 src2=0
	s_cbranch_execz .LBB803_319
; %bb.318:
	flat_load_b64 v[16:17], v[24:25] offset:256
.LBB803_319:
	s_wait_xcnt 0x0
	s_or_b32 exec_lo, exec_lo, s1
	v_lshl_add_u64 v[4:5], v[8:9], 3, v[4:5]
	v_mov_b32_e32 v21, 0
	v_mov_b64_e32 v[32:33], 0
	v_mov_b64_e32 v[30:31], 0
	s_delay_alu instid0(VALU_DEP_3) | instskip(NEXT) | instid1(VALU_DEP_1)
	v_add_nc_u64_e32 v[4:5], v[4:5], v[20:21]
	v_lshl_add_u64 v[0:1], v[0:1], 3, v[4:5]
	s_and_saveexec_b32 s1, vcc_lo
	s_cbranch_execz .LBB803_321
; %bb.320:
	flat_load_b64 v[30:31], v[0:1]
.LBB803_321:
	s_wait_xcnt 0x0
	s_or_b32 exec_lo, exec_lo, s1
	s_and_saveexec_b32 s1, s0
	s_cbranch_execz .LBB803_323
; %bb.322:
	flat_load_b64 v[32:33], v[0:1] offset:256
.LBB803_323:
	s_wait_xcnt 0x0
	s_or_b32 exec_lo, exec_lo, s1
	v_lshl_add_u32 v0, v22, 5, v12
	v_and_b32_e32 v1, 0x3e0, v22
	v_and_b32_e32 v4, 15, v27
	v_sub_co_u32 v5, s2, v27, 1
	s_delay_alu instid0(VALU_DEP_4)
	v_dual_add_nc_u32 v19, 32, v0 :: v_dual_add_nc_u32 v23, 36, v0
	v_dual_add_nc_u32 v38, 40, v0 :: v_dual_add_nc_u32 v39, 44, v0
	;; [unrolled: 1-line block ×4, first 2 shown]
	v_lshrrev_b32_e32 v52, 5, v18
	v_min_u32_e32 v0, 0xe0, v1
	v_and_b32_e32 v1, 16, v27
	v_cmp_gt_i32_e64 s6, 0, v5
	s_get_pc_i64 s[0:1]
	s_add_nc_u64 s[0:1], s[0:1], _ZN7rocprim17ROCPRIM_400000_NS16block_radix_sortIlLj256ELj2ElLj1ELj1ELj8ELNS0_26block_radix_rank_algorithmE2ELNS0_18block_padding_hintE2ELNS0_4arch9wavefront6targetE0EE19radix_bits_per_passE@rel64+4
	v_cmp_eq_u32_e32 vcc_lo, 0, v4
	v_or_b32_e32 v0, 31, v0
	s_load_b32 s21, s[0:1], 0x0
	s_wait_xcnt 0x0
	v_cmp_lt_u32_e64 s0, 1, v4
	v_cmp_lt_u32_e64 s1, 3, v4
	;; [unrolled: 1-line block ×3, first 2 shown]
	v_cmp_eq_u32_e64 s5, v22, v0
	v_lshrrev_b32_e32 v0, 3, v22
	v_cmp_eq_u32_e64 s4, 0, v1
	v_dual_cndmask_b32 v1, v5, v27, s6 :: v_dual_lshlrev_b32 v4, 1, v22
	v_xor_b32_e32 v15, 0x80000000, v15
	s_delay_alu instid0(VALU_DEP_4) | instskip(NEXT) | instid1(VALU_DEP_3)
	v_and_b32_e32 v0, 0x7c, v0
	v_dual_lshlrev_b32 v53, 2, v1 :: v_dual_bitop2_b32 v5, 7, v27 bitop3:0x40
	s_delay_alu instid0(VALU_DEP_4)
	v_and_or_b32 v4, 0x7c0, v4, v27
	s_wait_loadcnt_dscnt 0x0
	v_xor_b32_e32 v17, 0x80000000, v17
	v_add_nc_u32_e32 v54, v12, v0
	v_cmp_eq_u32_e64 s9, 0, v5
	v_cmp_lt_u32_e64 s10, 1, v5
	v_lshl_add_u32 v64, v4, 3, v12
	v_cmp_lt_u32_e64 s11, 3, v5
	v_mov_b64_e32 v[4:5], 0
	v_cmp_gt_u32_e64 s6, 8, v22
	v_cmp_lt_u32_e64 s7, 31, v22
	v_cmp_eq_u32_e64 s8, 0, v22
	v_dual_mov_b32 v1, 0 :: v_dual_add_nc_u32 v65, -4, v54
	v_lshl_add_u32 v55, v22, 2, v12
	v_add_nc_u32_e32 v66, 0x100, v64
	v_sub_nc_u32_e32 v67, v11, v10
	s_mov_b32 s22, 0
	s_wait_storecnt 0x0
	s_barrier_signal -1
	s_barrier_wait -1
	s_branch .LBB803_325
.LBB803_324:                            ;   in Loop: Header=BB803_325 Depth=1
	s_or_b32 exec_lo, exec_lo, s13
	s_delay_alu instid0(SALU_CYCLE_1) | instskip(NEXT) | instid1(SALU_CYCLE_1)
	s_and_b32 s12, exec_lo, s14
	s_or_b32 s22, s12, s22
	s_delay_alu instid0(SALU_CYCLE_1)
	s_and_not1_b32 exec_lo, exec_lo, s22
	s_cbranch_execz .LBB803_343
.LBB803_325:                            ; =>This Inner Loop Header: Depth=1
	v_mov_b64_e32 v[20:21], v[14:15]
	s_wait_kmcnt 0x0
	v_min_u32_e32 v0, s21, v67
	ds_store_b64 v19, v[4:5]
	ds_store_b64 v38, v[4:5]
	;; [unrolled: 1-line block ×4, first 2 shown]
	s_wait_dscnt 0x0
	s_barrier_signal -1
	v_lshlrev_b32_e64 v34, v0, -1
	v_lshrrev_b64 v[14:15], v10, v[20:21]
	s_barrier_wait -1
	; wave barrier
	s_delay_alu instid0(VALU_DEP_1) | instskip(SKIP_1) | instid1(VALU_DEP_2)
	v_bitop3_b32 v0, v14, 1, v34 bitop3:0x40
	v_bitop3_b32 v14, v14, v34, v14 bitop3:0x30
	v_add_co_u32 v0, s12, v0, -1
	s_delay_alu instid0(VALU_DEP_1) | instskip(NEXT) | instid1(VALU_DEP_3)
	v_cndmask_b32_e64 v15, 0, 1, s12
	v_dual_lshlrev_b32 v24, 30, v14 :: v_dual_lshlrev_b32 v25, 29, v14
	v_dual_lshlrev_b32 v26, 28, v14 :: v_dual_lshlrev_b32 v27, 27, v14
	s_delay_alu instid0(VALU_DEP_3) | instskip(NEXT) | instid1(VALU_DEP_3)
	v_cmp_ne_u32_e64 s12, 0, v15
	v_not_b32_e32 v15, v24
	v_dual_lshlrev_b32 v28, 26, v14 :: v_dual_lshlrev_b32 v29, 25, v14
	v_lshlrev_b32_e32 v35, 24, v14
	v_cmp_gt_i32_e64 s13, 0, v24
	v_cmp_gt_i32_e64 s14, 0, v25
	v_not_b32_e32 v24, v25
	v_not_b32_e32 v25, v26
	v_ashrrev_i32_e32 v15, 31, v15
	v_cmp_gt_i32_e64 s15, 0, v26
	v_cmp_gt_i32_e64 s16, 0, v27
	v_not_b32_e32 v26, v27
	v_not_b32_e32 v27, v28
	v_dual_ashrrev_i32 v25, 31, v25 :: v_dual_bitop2_b32 v0, s12, v0 bitop3:0x14
	v_dual_ashrrev_i32 v24, 31, v24 :: v_dual_bitop2_b32 v15, s13, v15 bitop3:0x14
	v_cmp_gt_i32_e64 s17, 0, v28
	v_not_b32_e32 v28, v29
	s_delay_alu instid0(VALU_DEP_3)
	v_dual_ashrrev_i32 v26, 31, v26 :: v_dual_bitop2_b32 v24, s14, v24 bitop3:0x14
	v_dual_ashrrev_i32 v27, 31, v27 :: v_dual_bitop2_b32 v25, s15, v25 bitop3:0x14
	v_bitop3_b32 v0, v0, v15, exec_lo bitop3:0x80
	v_not_b32_e32 v15, v35
	v_cmp_gt_i32_e64 s18, 0, v29
	v_dual_ashrrev_i32 v28, 31, v28 :: v_dual_bitop2_b32 v26, s16, v26 bitop3:0x14
	s_delay_alu instid0(VALU_DEP_4)
	v_bitop3_b32 v0, v0, v25, v24 bitop3:0x80
	v_cmp_gt_i32_e64 s12, 0, v35
	v_ashrrev_i32_e32 v15, 31, v15
	v_xor_b32_e32 v24, s17, v27
	v_xor_b32_e32 v27, s18, v28
	v_mov_b64_e32 v[28:29], v[16:17]
	s_delay_alu instid0(VALU_DEP_4) | instskip(NEXT) | instid1(VALU_DEP_4)
	v_xor_b32_e32 v15, s12, v15
	v_bitop3_b32 v26, v0, v24, v26 bitop3:0x80
	v_lshl_add_u32 v0, v14, 3, v52
	v_mov_b64_e32 v[24:25], v[32:33]
	s_delay_alu instid0(VALU_DEP_3) | instskip(NEXT) | instid1(VALU_DEP_3)
	v_bitop3_b32 v16, v26, v15, v27 bitop3:0x80
	v_lshl_add_u64 v[14:15], v[0:1], 2, v[12:13]
	v_mov_b64_e32 v[26:27], v[30:31]
	s_delay_alu instid0(VALU_DEP_3) | instskip(NEXT) | instid1(VALU_DEP_3)
	v_mbcnt_lo_u32_b32 v0, v16, 0
	v_add_nc_u64_e32 v[14:15], 32, v[14:15]
	v_cmp_ne_u32_e64 s13, 0, v16
	s_delay_alu instid0(VALU_DEP_3) | instskip(SKIP_1) | instid1(SALU_CYCLE_1)
	v_cmp_eq_u32_e64 s12, 0, v0
	s_and_b32 s13, s13, s12
	s_and_saveexec_b32 s12, s13
; %bb.326:                              ;   in Loop: Header=BB803_325 Depth=1
	v_bcnt_u32_b32 v15, v16, 0
	ds_store_b32 v14, v15
; %bb.327:                              ;   in Loop: Header=BB803_325 Depth=1
	s_or_b32 exec_lo, exec_lo, s12
	v_lshrrev_b64 v[16:17], v10, v[28:29]
	v_not_b32_e32 v15, v34
	; wave barrier
	s_delay_alu instid0(VALU_DEP_1) | instskip(SKIP_1) | instid1(VALU_DEP_2)
	v_and_b32_e32 v17, v16, v15
	v_bitop3_b32 v15, v16, 1, v15 bitop3:0x80
	v_lshlrev_b32_e32 v31, 30, v17
	s_delay_alu instid0(VALU_DEP_2) | instskip(NEXT) | instid1(VALU_DEP_1)
	v_add_co_u32 v15, s12, v15, -1
	v_cndmask_b32_e64 v30, 0, 1, s12
	s_delay_alu instid0(VALU_DEP_1) | instskip(NEXT) | instid1(VALU_DEP_4)
	v_cmp_ne_u32_e64 s12, 0, v30
	v_not_b32_e32 v30, v31
	s_delay_alu instid0(VALU_DEP_1) | instskip(SKIP_4) | instid1(VALU_DEP_4)
	v_dual_ashrrev_i32 v30, 31, v30 :: v_dual_bitop2_b32 v15, s12, v15 bitop3:0x14
	v_dual_lshlrev_b32 v32, 29, v17 :: v_dual_lshlrev_b32 v33, 28, v17
	v_lshlrev_b32_e32 v34, 27, v17
	v_cmp_gt_i32_e64 s13, 0, v31
	v_lshl_add_u32 v16, v17, 3, v52
	v_cmp_gt_i32_e64 s14, 0, v32
	v_not_b32_e32 v31, v32
	v_not_b32_e32 v32, v33
	v_dual_lshlrev_b32 v35, 26, v17 :: v_dual_lshlrev_b32 v36, 25, v17
	v_lshlrev_b32_e32 v17, 24, v17
	v_cmp_gt_i32_e64 s15, 0, v33
	s_delay_alu instid0(VALU_DEP_4)
	v_dual_ashrrev_i32 v31, 31, v31 :: v_dual_ashrrev_i32 v32, 31, v32
	v_xor_b32_e32 v30, s13, v30
	v_cmp_gt_i32_e64 s16, 0, v34
	v_not_b32_e32 v33, v34
	v_not_b32_e32 v34, v35
	v_xor_b32_e32 v31, s14, v31
	v_xor_b32_e32 v32, s15, v32
	v_bitop3_b32 v15, v15, v30, exec_lo bitop3:0x80
	v_ashrrev_i32_e32 v30, 31, v33
	v_cmp_gt_i32_e64 s12, 0, v35
	v_ashrrev_i32_e32 v33, 31, v34
	v_not_b32_e32 v34, v36
	v_bitop3_b32 v15, v15, v32, v31 bitop3:0x80
	v_not_b32_e32 v31, v17
	v_cmp_gt_i32_e64 s13, 0, v17
	s_delay_alu instid0(VALU_DEP_4) | instskip(SKIP_1) | instid1(VALU_DEP_4)
	v_dual_ashrrev_i32 v33, 31, v34 :: v_dual_bitop2_b32 v32, s12, v33 bitop3:0x14
	v_cmp_gt_i32_e64 s12, 0, v36
	v_ashrrev_i32_e32 v17, 31, v31
	v_lshl_add_u32 v31, v16, 2, v12
	v_xor_b32_e32 v30, s16, v30
	s_delay_alu instid0(VALU_DEP_3) | instskip(NEXT) | instid1(VALU_DEP_2)
	v_xor_b32_e32 v17, s13, v17
	v_bitop3_b32 v16, v15, v32, v30 bitop3:0x80
	v_xor_b32_e32 v30, s12, v33
	ds_load_b32 v15, v31 offset:32
	; wave barrier
	v_bitop3_b32 v30, v16, v17, v30 bitop3:0x80
	v_add_nc_u32_e32 v17, 32, v31
	s_delay_alu instid0(VALU_DEP_2) | instskip(SKIP_1) | instid1(VALU_DEP_2)
	v_mbcnt_lo_u32_b32 v16, v30, 0
	v_cmp_ne_u32_e64 s13, 0, v30
	v_cmp_eq_u32_e64 s12, 0, v16
	s_and_b32 s13, s13, s12
	s_delay_alu instid0(SALU_CYCLE_1)
	s_and_saveexec_b32 s12, s13
	s_cbranch_execz .LBB803_329
; %bb.328:                              ;   in Loop: Header=BB803_325 Depth=1
	s_wait_dscnt 0x0
	v_bcnt_u32_b32 v30, v30, v15
	ds_store_b32 v17, v30
.LBB803_329:                            ;   in Loop: Header=BB803_325 Depth=1
	s_or_b32 exec_lo, exec_lo, s12
	; wave barrier
	s_wait_dscnt 0x0
	s_barrier_signal -1
	s_barrier_wait -1
	ds_load_b32 v31, v19
	ds_load_b32 v32, v23
	;; [unrolled: 1-line block ×8, first 2 shown]
	s_wait_dscnt 0x6
	v_add_nc_u32_e32 v68, v32, v31
	s_wait_dscnt 0x4
	s_delay_alu instid0(VALU_DEP_1) | instskip(SKIP_1) | instid1(VALU_DEP_1)
	v_add3_u32 v68, v68, v33, v34
	s_wait_dscnt 0x2
	v_add3_u32 v68, v68, v35, v36
	s_wait_dscnt 0x0
	s_delay_alu instid0(VALU_DEP_1) | instskip(NEXT) | instid1(VALU_DEP_1)
	v_add3_u32 v37, v68, v30, v37
	v_mov_b32_dpp v68, v37 row_shr:1 row_mask:0xf bank_mask:0xf
	s_delay_alu instid0(VALU_DEP_1) | instskip(NEXT) | instid1(VALU_DEP_1)
	v_cndmask_b32_e64 v68, v68, 0, vcc_lo
	v_add_nc_u32_e32 v37, v68, v37
	s_delay_alu instid0(VALU_DEP_1) | instskip(NEXT) | instid1(VALU_DEP_1)
	v_mov_b32_dpp v68, v37 row_shr:2 row_mask:0xf bank_mask:0xf
	v_cndmask_b32_e64 v68, 0, v68, s0
	s_delay_alu instid0(VALU_DEP_1) | instskip(NEXT) | instid1(VALU_DEP_1)
	v_add_nc_u32_e32 v37, v37, v68
	v_mov_b32_dpp v68, v37 row_shr:4 row_mask:0xf bank_mask:0xf
	s_delay_alu instid0(VALU_DEP_1) | instskip(NEXT) | instid1(VALU_DEP_1)
	v_cndmask_b32_e64 v68, 0, v68, s1
	v_add_nc_u32_e32 v37, v37, v68
	s_delay_alu instid0(VALU_DEP_1) | instskip(NEXT) | instid1(VALU_DEP_1)
	v_mov_b32_dpp v68, v37 row_shr:8 row_mask:0xf bank_mask:0xf
	v_cndmask_b32_e64 v68, 0, v68, s3
	s_delay_alu instid0(VALU_DEP_1) | instskip(SKIP_3) | instid1(VALU_DEP_1)
	v_add_nc_u32_e32 v37, v37, v68
	ds_swizzle_b32 v68, v37 offset:swizzle(BROADCAST,32,15)
	s_wait_dscnt 0x0
	v_cndmask_b32_e64 v68, v68, 0, s4
	v_add_nc_u32_e32 v37, v37, v68
	s_and_saveexec_b32 s12, s5
; %bb.330:                              ;   in Loop: Header=BB803_325 Depth=1
	ds_store_b32 v54, v37
; %bb.331:                              ;   in Loop: Header=BB803_325 Depth=1
	s_or_b32 exec_lo, exec_lo, s12
	s_wait_dscnt 0x0
	s_barrier_signal -1
	s_barrier_wait -1
	s_and_saveexec_b32 s12, s6
	s_cbranch_execz .LBB803_333
; %bb.332:                              ;   in Loop: Header=BB803_325 Depth=1
	ds_load_b32 v68, v55
	s_wait_dscnt 0x0
	v_mov_b32_dpp v69, v68 row_shr:1 row_mask:0xf bank_mask:0xf
	s_delay_alu instid0(VALU_DEP_1) | instskip(NEXT) | instid1(VALU_DEP_1)
	v_cndmask_b32_e64 v69, v69, 0, s9
	v_add_nc_u32_e32 v68, v69, v68
	s_delay_alu instid0(VALU_DEP_1) | instskip(NEXT) | instid1(VALU_DEP_1)
	v_mov_b32_dpp v69, v68 row_shr:2 row_mask:0xf bank_mask:0xf
	v_cndmask_b32_e64 v69, 0, v69, s10
	s_delay_alu instid0(VALU_DEP_1) | instskip(NEXT) | instid1(VALU_DEP_1)
	v_add_nc_u32_e32 v68, v68, v69
	v_mov_b32_dpp v69, v68 row_shr:4 row_mask:0xf bank_mask:0xf
	s_delay_alu instid0(VALU_DEP_1) | instskip(NEXT) | instid1(VALU_DEP_1)
	v_cndmask_b32_e64 v69, 0, v69, s11
	v_add_nc_u32_e32 v68, v68, v69
	ds_store_b32 v55, v68
.LBB803_333:                            ;   in Loop: Header=BB803_325 Depth=1
	s_or_b32 exec_lo, exec_lo, s12
	v_mov_b32_e32 v68, 0
	s_wait_dscnt 0x0
	s_barrier_signal -1
	s_barrier_wait -1
	s_and_saveexec_b32 s12, s7
; %bb.334:                              ;   in Loop: Header=BB803_325 Depth=1
	ds_load_b32 v68, v65
; %bb.335:                              ;   in Loop: Header=BB803_325 Depth=1
	s_or_b32 exec_lo, exec_lo, s12
	s_wait_dscnt 0x0
	v_dual_add_nc_u32 v37, v68, v37 :: v_dual_add_nc_u32 v10, 8, v10
	s_mov_b32 s14, -1
	s_mov_b32 s13, exec_lo
	ds_bpermute_b32 v37, v53, v37
	s_wait_dscnt 0x0
	v_cndmask_b32_e64 v37, v37, v68, s2
	s_delay_alu instid0(VALU_DEP_1) | instskip(NEXT) | instid1(VALU_DEP_1)
	v_cndmask_b32_e64 v37, v37, 0, s8
	v_add_nc_u32_e32 v31, v37, v31
	s_delay_alu instid0(VALU_DEP_1) | instskip(NEXT) | instid1(VALU_DEP_1)
	v_add_nc_u32_e32 v32, v31, v32
	v_add_nc_u32_e32 v33, v32, v33
	s_delay_alu instid0(VALU_DEP_1) | instskip(NEXT) | instid1(VALU_DEP_1)
	v_add_nc_u32_e32 v34, v33, v34
	v_add_nc_u32_e32 v35, v34, v35
	s_delay_alu instid0(VALU_DEP_1)
	v_add_nc_u32_e32 v36, v35, v36
	ds_store_b32 v19, v37
	ds_store_b32 v23, v31
	;; [unrolled: 1-line block ×3, first 2 shown]
	v_add_nc_u32_e32 v30, v36, v30
	ds_store_b32 v39, v33
	ds_store_b32 v48, v34
	;; [unrolled: 1-line block ×5, first 2 shown]
	s_wait_dscnt 0x0
	s_barrier_signal -1
	s_barrier_wait -1
	ds_load_b32 v14, v14
	ds_load_b32 v30, v17
	v_mov_b32_e32 v17, v1
	s_wait_dscnt 0x0
                                        ; implicit-def: $vgpr32_vgpr33
	v_add_nc_u32_e32 v0, v14, v0
	v_add3_u32 v16, v16, v15, v30
                                        ; implicit-def: $vgpr30_vgpr31
	s_delay_alu instid0(VALU_DEP_2) | instskip(NEXT) | instid1(VALU_DEP_2)
	v_lshl_add_u64 v[34:35], v[0:1], 3, v[12:13]
	v_lshl_add_u64 v[36:37], v[16:17], 3, v[12:13]
                                        ; implicit-def: $vgpr16_vgpr17
	v_cmpx_lt_u32_e64 v10, v11
	s_cbranch_execz .LBB803_324
; %bb.336:                              ;   in Loop: Header=BB803_325 Depth=1
	s_barrier_signal -1
	s_barrier_wait -1
	ds_store_b64 v34, v[20:21]
	ds_store_b64 v36, v[28:29]
	s_wait_dscnt 0x0
	s_barrier_signal -1
	s_barrier_wait -1
	ds_load_b64 v[14:15], v64
	ds_load_b64 v[16:17], v66
	s_wait_dscnt 0x0
	s_barrier_signal -1
	s_barrier_wait -1
	ds_store_b64 v34, v[26:27]
	ds_store_b64 v36, v[24:25]
	s_wait_dscnt 0x0
	s_barrier_signal -1
	s_barrier_wait -1
	ds_load_b64 v[30:31], v64
	ds_load_b64 v[32:33], v66
	v_add_nc_u32_e32 v67, -8, v67
	s_xor_b32 s14, exec_lo, -1
	s_wait_dscnt 0x0
	s_barrier_signal -1
	s_barrier_wait -1
	s_branch .LBB803_324
.LBB803_337:
	flat_load_b64 v[50:51], v[0:1]
	s_wait_xcnt 0x0
	s_or_b32 exec_lo, exec_lo, s3
                                        ; implicit-def: $vgpr52_vgpr53
	s_and_saveexec_b32 s3, s0
	s_cbranch_execz .LBB803_264
.LBB803_338:
	flat_load_b64 v[52:53], v[0:1] offset:256
	s_wait_xcnt 0x0
	s_or_b32 exec_lo, exec_lo, s3
                                        ; implicit-def: $vgpr54_vgpr55
	s_and_saveexec_b32 s0, s1
	s_cbranch_execz .LBB803_265
.LBB803_339:
	flat_load_b64 v[54:55], v[0:1] offset:512
	s_wait_xcnt 0x0
	s_or_b32 exec_lo, exec_lo, s0
                                        ; implicit-def: $vgpr64_vgpr65
	s_and_saveexec_b32 s0, s2
	s_cbranch_execnz .LBB803_266
	s_branch .LBB803_267
.LBB803_340:
	flat_store_b64 v[0:1], v[14:15]
	s_wait_xcnt 0x0
	s_or_b32 exec_lo, exec_lo, s3
	s_and_saveexec_b32 s3, s0
	s_cbranch_execz .LBB803_309
.LBB803_341:
	flat_store_b64 v[0:1], v[16:17] offset:2048
	s_wait_xcnt 0x0
	s_or_b32 exec_lo, exec_lo, s3
	s_and_saveexec_b32 s0, s1
	s_cbranch_execz .LBB803_310
.LBB803_342:
	flat_store_b64 v[0:1], v[10:11] offset:4096
	s_wait_xcnt 0x0
	s_or_b32 exec_lo, exec_lo, s0
	s_and_saveexec_b32 s0, s2
	s_cbranch_execnz .LBB803_311
	s_branch .LBB803_312
.LBB803_343:
	s_or_b32 exec_lo, exec_lo, s22
	v_lshl_add_u32 v0, v22, 3, v12
	s_barrier_signal -1
	s_barrier_wait -1
	ds_store_b64 v34, v[20:21]
	ds_store_b64 v36, v[28:29]
	s_wait_dscnt 0x0
	s_barrier_signal -1
	s_barrier_wait -1
	ds_load_2addr_stride64_b64 v[14:17], v0 offset1:4
	s_wait_dscnt 0x0
	s_barrier_signal -1
	s_barrier_wait -1
	ds_store_b64 v34, v[26:27]
	ds_store_b64 v36, v[24:25]
	s_wait_dscnt 0x0
	s_barrier_signal -1
	s_barrier_wait -1
	ds_load_2addr_stride64_b64 v[10:13], v0 offset1:4
	v_lshl_add_u64 v[0:1], v[8:9], 3, v[2:3]
	v_mov_b32_e32 v19, 0
	s_set_vgpr_msb 4                        ;  msbs: dst=0 src0=0 src1=1 src2=0
	v_cmp_lt_u32_e32 vcc_lo, v18, v34 /*v290*/
	s_wait_dscnt 0x0
	s_barrier_signal -1
	s_barrier_wait -1
	v_lshl_add_u64 v[0:1], v[18:19], 3, v[0:1]
	s_and_saveexec_b32 s0, vcc_lo
	s_set_vgpr_msb 0                        ;  msbs: dst=0 src0=0 src1=0 src2=0
	s_cbranch_execz .LBB803_345
; %bb.344:
	v_xor_b32_e32 v15, 0x80000000, v15
	flat_store_b64 v[0:1], v[14:15]
.LBB803_345:
	s_wait_xcnt 0x0
	s_or_b32 exec_lo, exec_lo, s0
	v_add_nc_u32_e32 v2, 0x100, v18
	s_set_vgpr_msb 4                        ;  msbs: dst=0 src0=0 src1=1 src2=0
	s_delay_alu instid0(VALU_DEP_1)
	v_cmp_lt_u32_e64 s0, v2, v34 /*v290*/
	s_and_saveexec_b32 s1, s0
	s_set_vgpr_msb 0                        ;  msbs: dst=0 src0=0 src1=0 src2=0
	s_cbranch_execz .LBB803_347
; %bb.346:
	v_xor_b32_e32 v17, 0x80000000, v17
	flat_store_b64 v[0:1], v[16:17] offset:2048
.LBB803_347:
	s_wait_xcnt 0x0
	s_or_b32 exec_lo, exec_lo, s1
	v_lshl_add_u64 v[0:1], v[8:9], 3, v[6:7]
	s_delay_alu instid0(VALU_DEP_1)
	v_lshl_add_u64 v[0:1], v[18:19], 3, v[0:1]
	s_and_saveexec_b32 s1, vcc_lo
	s_cbranch_execz .LBB803_349
; %bb.348:
	flat_store_b64 v[0:1], v[10:11]
.LBB803_349:
	s_wait_xcnt 0x0
	s_or_b32 exec_lo, exec_lo, s1
	s_and_saveexec_b32 s1, s0
	s_cbranch_execz .LBB803_351
; %bb.350:
	flat_store_b64 v[0:1], v[12:13] offset:2048
.LBB803_351:
	s_wait_xcnt 0x0
	s_or_b32 exec_lo, exec_lo, s1
                                        ; implicit-def: $vgpr18
                                        ; implicit-def: $vgpr8_vgpr9
                                        ; implicit-def: $vgpr290
                                        ; implicit-def: $vgpr10
                                        ; implicit-def: $vgpr11
                                        ; implicit-def: $vgpr0_vgpr1
                                        ; implicit-def: $vgpr2_vgpr3
                                        ; implicit-def: $vgpr4_vgpr5
                                        ; implicit-def: $vgpr6_vgpr7
                                        ; implicit-def: $vgpr12_vgpr13
                                        ; implicit-def: $vgpr22
                                        ; implicit-def: $vgpr27
.LBB803_352:
	s_and_not1_saveexec_b32 s0, s19
	s_cbranch_execz .LBB803_372
; %bb.353:
	s_delay_alu instid0(VALU_DEP_3) | instskip(SKIP_1) | instid1(VALU_DEP_2)
	v_and_b32_e32 v14, 0xffffffe0, v18
	v_mov_b64_e32 v[24:25], -1
	v_dual_lshlrev_b32 v20, 3, v27 :: v_dual_bitop2_b32 v15, v27, v14 bitop3:0x54
	s_set_vgpr_msb 4                        ;  msbs: dst=0 src0=0 src1=1 src2=0
	s_delay_alu instid0(VALU_DEP_1)
	v_cmp_lt_u32_e32 vcc_lo, v15, v34 /*v290*/
	s_and_saveexec_b32 s0, vcc_lo
	s_set_vgpr_msb 0                        ;  msbs: dst=0 src0=0 src1=0 src2=0
	s_cbranch_execz .LBB803_355
; %bb.354:
	v_lshl_add_u64 v[0:1], v[8:9], 3, v[0:1]
	v_mov_b32_e32 v21, 0
	s_delay_alu instid0(VALU_DEP_1) | instskip(SKIP_1) | instid1(VALU_DEP_1)
	v_add_nc_u64_e32 v[0:1], v[0:1], v[20:21]
	v_mov_b32_e32 v15, v21
	v_lshl_add_u64 v[0:1], v[14:15], 3, v[0:1]
	flat_load_b64 v[24:25], v[0:1]
	s_wait_loadcnt_dscnt 0x0
	v_xor_b32_e32 v25, 0x80000000, v25
.LBB803_355:
	s_wait_xcnt 0x0
	s_or_b32 exec_lo, exec_lo, s0
                                        ; implicit-def: $vgpr16_vgpr17
	s_and_saveexec_b32 s0, vcc_lo
	s_cbranch_execz .LBB803_357
; %bb.356:
	v_lshl_add_u64 v[0:1], v[8:9], 3, v[4:5]
	v_mov_b32_e32 v21, 0
	s_delay_alu instid0(VALU_DEP_1) | instskip(SKIP_1) | instid1(VALU_DEP_1)
	v_add_nc_u64_e32 v[0:1], v[0:1], v[20:21]
	v_mov_b32_e32 v15, v21
	v_lshl_add_u64 v[0:1], v[14:15], 3, v[0:1]
	flat_load_b64 v[16:17], v[0:1]
.LBB803_357:
	s_wait_xcnt 0x0
	s_or_b32 exec_lo, exec_lo, s0
	v_lshl_add_u32 v0, v22, 5, v12
	v_and_b32_e32 v1, 15, v27
	v_sub_co_u32 v14, s2, v27, 1
	s_get_pc_i64 s[0:1]
	s_add_nc_u64 s[0:1], s[0:1], _ZN7rocprim17ROCPRIM_400000_NS16block_radix_sortIlLj256ELj1ElLj1ELj1ELj8ELNS0_26block_radix_rank_algorithmE2ELNS0_18block_padding_hintE2ELNS0_4arch9wavefront6targetE0EE19radix_bits_per_passE@rel64+4
	v_dual_add_nc_u32 v19, 32, v0 :: v_dual_add_nc_u32 v23, 36, v0
	v_dual_add_nc_u32 v28, 40, v0 :: v_dual_add_nc_u32 v29, 44, v0
	;; [unrolled: 1-line block ×4, first 2 shown]
	v_lshrrev_b32_e32 v34, 5, v18
	v_and_b32_e32 v0, 0x3e0, v22
	v_and_b32_e32 v5, 16, v27
	v_cmp_gt_i32_e64 s5, 0, v14
	s_load_b32 s19, s[0:1], 0x0
	v_cmp_eq_u32_e32 vcc_lo, 0, v1
	v_min_u32_e32 v4, 0xe0, v0
	s_wait_xcnt 0x0
	v_cmp_lt_u32_e64 s0, 1, v1
	v_cmp_lt_u32_e64 s1, 3, v1
	;; [unrolled: 1-line block ×3, first 2 shown]
	v_or_b32_e32 v0, v27, v0
	v_dual_lshrrev_b32 v4, 3, v22 :: v_dual_bitop2_b32 v1, 31, v4 bitop3:0x54
	v_cmp_eq_u32_e64 s4, 0, v5
	v_cndmask_b32_e64 v5, v14, v27, s5
	v_cmp_gt_u32_e64 s6, 8, v22
	s_delay_alu instid0(VALU_DEP_4) | instskip(SKIP_1) | instid1(VALU_DEP_4)
	v_cmp_eq_u32_e64 s5, v22, v1
	v_and_b32_e32 v1, 0x7c, v4
	v_dual_lshlrev_b32 v35, 2, v5 :: v_dual_bitop2_b32 v4, 7, v27 bitop3:0x40
	v_cmp_lt_u32_e64 s7, 31, v22
	v_cmp_eq_u32_e64 s8, 0, v22
	s_delay_alu instid0(VALU_DEP_4) | instskip(NEXT) | instid1(VALU_DEP_4)
	v_dual_mov_b32 v1, 0 :: v_dual_add_nc_u32 v36, v12, v1
	v_cmp_eq_u32_e64 s9, 0, v4
	v_cmp_lt_u32_e64 s10, 1, v4
	v_cmp_lt_u32_e64 s11, 3, v4
	v_mov_b64_e32 v[4:5], 0
	v_lshl_add_u32 v37, v22, 2, v12
	v_dual_add_nc_u32 v38, -4, v36 :: v_dual_sub_nc_u32 v48, v11, v10
	v_lshl_add_u32 v39, v0, 3, v12
	s_mov_b32 s21, 0
	s_wait_storecnt 0x0
	s_wait_loadcnt_dscnt 0x0
	s_barrier_signal -1
	s_barrier_wait -1
	s_branch .LBB803_359
.LBB803_358:                            ;   in Loop: Header=BB803_359 Depth=1
	s_or_b32 exec_lo, exec_lo, s13
	s_delay_alu instid0(SALU_CYCLE_1) | instskip(NEXT) | instid1(SALU_CYCLE_1)
	s_and_b32 s12, exec_lo, s14
	s_or_b32 s21, s12, s21
	s_delay_alu instid0(SALU_CYCLE_1)
	s_and_not1_b32 exec_lo, exec_lo, s21
	s_cbranch_execz .LBB803_369
.LBB803_359:                            ; =>This Inner Loop Header: Depth=1
	v_mov_b64_e32 v[14:15], v[24:25]
	s_wait_kmcnt 0x0
	v_min_u32_e32 v0, s19, v48
	ds_store_b64 v19, v[4:5]
	ds_store_b64 v28, v[4:5]
	;; [unrolled: 1-line block ×4, first 2 shown]
	s_wait_dscnt 0x0
	s_barrier_signal -1
	v_lshlrev_b32_e64 v0, v0, -1
	v_lshrrev_b64 v[20:21], v10, v[14:15]
	s_barrier_wait -1
	; wave barrier
	s_delay_alu instid0(VALU_DEP_1) | instskip(SKIP_1) | instid1(VALU_DEP_2)
	v_bitop3_b32 v21, v20, 1, v0 bitop3:0x40
	v_bitop3_b32 v0, v20, v0, v20 bitop3:0x30
	v_add_co_u32 v20, s12, v21, -1
	s_delay_alu instid0(VALU_DEP_1) | instskip(NEXT) | instid1(VALU_DEP_3)
	v_cndmask_b32_e64 v21, 0, 1, s12
	v_dual_lshlrev_b32 v24, 30, v0 :: v_dual_lshlrev_b32 v25, 29, v0
	v_dual_lshlrev_b32 v26, 28, v0 :: v_dual_lshlrev_b32 v27, 27, v0
	s_delay_alu instid0(VALU_DEP_3) | instskip(NEXT) | instid1(VALU_DEP_3)
	v_cmp_ne_u32_e64 s12, 0, v21
	v_not_b32_e32 v21, v24
	v_dual_lshlrev_b32 v49, 26, v0 :: v_dual_lshlrev_b32 v50, 25, v0
	v_lshlrev_b32_e32 v51, 24, v0
	v_cmp_gt_i32_e64 s13, 0, v24
	v_cmp_gt_i32_e64 s14, 0, v25
	v_not_b32_e32 v24, v25
	v_not_b32_e32 v25, v26
	v_ashrrev_i32_e32 v21, 31, v21
	v_cmp_gt_i32_e64 s15, 0, v26
	v_cmp_gt_i32_e64 s16, 0, v27
	v_not_b32_e32 v26, v27
	v_not_b32_e32 v27, v49
	v_dual_ashrrev_i32 v25, 31, v25 :: v_dual_bitop2_b32 v20, s12, v20 bitop3:0x14
	v_dual_ashrrev_i32 v24, 31, v24 :: v_dual_bitop2_b32 v21, s13, v21 bitop3:0x14
	v_cmp_gt_i32_e64 s17, 0, v49
	v_not_b32_e32 v49, v50
	s_delay_alu instid0(VALU_DEP_3)
	v_dual_ashrrev_i32 v26, 31, v26 :: v_dual_bitop2_b32 v24, s14, v24 bitop3:0x14
	v_dual_ashrrev_i32 v27, 31, v27 :: v_dual_bitop2_b32 v25, s15, v25 bitop3:0x14
	v_bitop3_b32 v20, v20, v21, exec_lo bitop3:0x80
	v_not_b32_e32 v21, v51
	v_cmp_gt_i32_e64 s18, 0, v50
	v_dual_ashrrev_i32 v49, 31, v49 :: v_dual_bitop2_b32 v26, s16, v26 bitop3:0x14
	s_delay_alu instid0(VALU_DEP_4) | instskip(SKIP_2) | instid1(VALU_DEP_4)
	v_bitop3_b32 v20, v20, v25, v24 bitop3:0x80
	v_cmp_gt_i32_e64 s12, 0, v51
	v_dual_ashrrev_i32 v21, 31, v21 :: v_dual_bitop2_b32 v24, s17, v27 bitop3:0x14
	v_xor_b32_e32 v25, s18, v49
	v_lshl_add_u32 v0, v0, 3, v34
	s_delay_alu instid0(VALU_DEP_3) | instskip(NEXT) | instid1(VALU_DEP_4)
	v_xor_b32_e32 v21, s12, v21
	v_bitop3_b32 v20, v20, v24, v26 bitop3:0x80
	s_delay_alu instid0(VALU_DEP_1) | instskip(SKIP_2) | instid1(VALU_DEP_3)
	v_bitop3_b32 v24, v20, v21, v25 bitop3:0x80
	v_mov_b64_e32 v[20:21], v[16:17]
	v_lshl_add_u64 v[16:17], v[0:1], 2, v[12:13]
	v_mbcnt_lo_u32_b32 v0, v24, 0
	v_cmp_ne_u32_e64 s13, 0, v24
	s_delay_alu instid0(VALU_DEP_3) | instskip(NEXT) | instid1(VALU_DEP_3)
	v_add_nc_u64_e32 v[16:17], 32, v[16:17]
	v_cmp_eq_u32_e64 s12, 0, v0
	s_and_b32 s13, s13, s12
	s_delay_alu instid0(SALU_CYCLE_1)
	s_and_saveexec_b32 s12, s13
; %bb.360:                              ;   in Loop: Header=BB803_359 Depth=1
	v_bcnt_u32_b32 v17, v24, 0
	ds_store_b32 v16, v17
; %bb.361:                              ;   in Loop: Header=BB803_359 Depth=1
	s_or_b32 exec_lo, exec_lo, s12
	; wave barrier
	s_wait_dscnt 0x0
	s_barrier_signal -1
	s_barrier_wait -1
	ds_load_b32 v24, v19
	ds_load_b32 v25, v23
	ds_load_b32 v26, v28
	ds_load_b32 v27, v29
	ds_load_b32 v49, v30
	ds_load_b32 v50, v31
	ds_load_b32 v17, v32
	ds_load_b32 v51, v33
	s_wait_dscnt 0x6
	v_add_nc_u32_e32 v52, v25, v24
	s_wait_dscnt 0x4
	s_delay_alu instid0(VALU_DEP_1) | instskip(SKIP_1) | instid1(VALU_DEP_1)
	v_add3_u32 v52, v52, v26, v27
	s_wait_dscnt 0x2
	v_add3_u32 v52, v52, v49, v50
	s_wait_dscnt 0x0
	s_delay_alu instid0(VALU_DEP_1) | instskip(NEXT) | instid1(VALU_DEP_1)
	v_add3_u32 v51, v52, v17, v51
	v_mov_b32_dpp v52, v51 row_shr:1 row_mask:0xf bank_mask:0xf
	s_delay_alu instid0(VALU_DEP_1) | instskip(NEXT) | instid1(VALU_DEP_1)
	v_cndmask_b32_e64 v52, v52, 0, vcc_lo
	v_add_nc_u32_e32 v51, v52, v51
	s_delay_alu instid0(VALU_DEP_1) | instskip(NEXT) | instid1(VALU_DEP_1)
	v_mov_b32_dpp v52, v51 row_shr:2 row_mask:0xf bank_mask:0xf
	v_cndmask_b32_e64 v52, 0, v52, s0
	s_delay_alu instid0(VALU_DEP_1) | instskip(NEXT) | instid1(VALU_DEP_1)
	v_add_nc_u32_e32 v51, v51, v52
	v_mov_b32_dpp v52, v51 row_shr:4 row_mask:0xf bank_mask:0xf
	s_delay_alu instid0(VALU_DEP_1) | instskip(NEXT) | instid1(VALU_DEP_1)
	v_cndmask_b32_e64 v52, 0, v52, s1
	v_add_nc_u32_e32 v51, v51, v52
	s_delay_alu instid0(VALU_DEP_1) | instskip(NEXT) | instid1(VALU_DEP_1)
	v_mov_b32_dpp v52, v51 row_shr:8 row_mask:0xf bank_mask:0xf
	v_cndmask_b32_e64 v52, 0, v52, s3
	s_delay_alu instid0(VALU_DEP_1) | instskip(SKIP_3) | instid1(VALU_DEP_1)
	v_add_nc_u32_e32 v51, v51, v52
	ds_swizzle_b32 v52, v51 offset:swizzle(BROADCAST,32,15)
	s_wait_dscnt 0x0
	v_cndmask_b32_e64 v52, v52, 0, s4
	v_add_nc_u32_e32 v51, v51, v52
	s_and_saveexec_b32 s12, s5
; %bb.362:                              ;   in Loop: Header=BB803_359 Depth=1
	ds_store_b32 v36, v51
; %bb.363:                              ;   in Loop: Header=BB803_359 Depth=1
	s_or_b32 exec_lo, exec_lo, s12
	s_wait_dscnt 0x0
	s_barrier_signal -1
	s_barrier_wait -1
	s_and_saveexec_b32 s12, s6
	s_cbranch_execz .LBB803_365
; %bb.364:                              ;   in Loop: Header=BB803_359 Depth=1
	ds_load_b32 v52, v37
	s_wait_dscnt 0x0
	v_mov_b32_dpp v53, v52 row_shr:1 row_mask:0xf bank_mask:0xf
	s_delay_alu instid0(VALU_DEP_1) | instskip(NEXT) | instid1(VALU_DEP_1)
	v_cndmask_b32_e64 v53, v53, 0, s9
	v_add_nc_u32_e32 v52, v53, v52
	s_delay_alu instid0(VALU_DEP_1) | instskip(NEXT) | instid1(VALU_DEP_1)
	v_mov_b32_dpp v53, v52 row_shr:2 row_mask:0xf bank_mask:0xf
	v_cndmask_b32_e64 v53, 0, v53, s10
	s_delay_alu instid0(VALU_DEP_1) | instskip(NEXT) | instid1(VALU_DEP_1)
	v_add_nc_u32_e32 v52, v52, v53
	v_mov_b32_dpp v53, v52 row_shr:4 row_mask:0xf bank_mask:0xf
	s_delay_alu instid0(VALU_DEP_1) | instskip(NEXT) | instid1(VALU_DEP_1)
	v_cndmask_b32_e64 v53, 0, v53, s11
	v_add_nc_u32_e32 v52, v52, v53
	ds_store_b32 v37, v52
.LBB803_365:                            ;   in Loop: Header=BB803_359 Depth=1
	s_or_b32 exec_lo, exec_lo, s12
	v_mov_b32_e32 v52, 0
	s_wait_dscnt 0x0
	s_barrier_signal -1
	s_barrier_wait -1
	s_and_saveexec_b32 s12, s7
; %bb.366:                              ;   in Loop: Header=BB803_359 Depth=1
	ds_load_b32 v52, v38
; %bb.367:                              ;   in Loop: Header=BB803_359 Depth=1
	s_or_b32 exec_lo, exec_lo, s12
	s_wait_dscnt 0x0
	v_add_nc_u32_e32 v51, v52, v51
	s_mov_b32 s14, -1
	s_mov_b32 s13, exec_lo
	v_add_nc_u32_e32 v10, 8, v10
	ds_bpermute_b32 v51, v35, v51
	s_wait_dscnt 0x0
	v_cndmask_b32_e64 v51, v51, v52, s2
	s_delay_alu instid0(VALU_DEP_1) | instskip(NEXT) | instid1(VALU_DEP_1)
	v_cndmask_b32_e64 v51, v51, 0, s8
	v_add_nc_u32_e32 v24, v51, v24
	s_delay_alu instid0(VALU_DEP_1) | instskip(NEXT) | instid1(VALU_DEP_1)
	v_add_nc_u32_e32 v25, v24, v25
	v_add_nc_u32_e32 v26, v25, v26
	s_delay_alu instid0(VALU_DEP_1) | instskip(SKIP_4) | instid1(VALU_DEP_1)
	v_add_nc_u32_e32 v27, v26, v27
	ds_store_b32 v19, v51
	ds_store_b32 v23, v24
	ds_store_b32 v28, v25
                                        ; implicit-def: $vgpr24_vgpr25
	v_add_nc_u32_e32 v49, v27, v49
	v_add_nc_u32_e32 v50, v49, v50
	s_delay_alu instid0(VALU_DEP_1)
	v_add_nc_u32_e32 v17, v50, v17
	ds_store_b32 v29, v26
	ds_store_b32 v30, v27
	;; [unrolled: 1-line block ×5, first 2 shown]
	s_wait_dscnt 0x0
	s_barrier_signal -1
	s_barrier_wait -1
	ds_load_b32 v16, v16
	s_wait_dscnt 0x0
	v_add_nc_u32_e32 v0, v16, v0
                                        ; implicit-def: $vgpr16_vgpr17
	s_delay_alu instid0(VALU_DEP_1)
	v_lshl_add_u64 v[26:27], v[0:1], 3, v[12:13]
	v_cmpx_lt_u32_e64 v10, v11
	s_cbranch_execz .LBB803_358
; %bb.368:                              ;   in Loop: Header=BB803_359 Depth=1
	s_barrier_signal -1
	s_barrier_wait -1
	ds_store_b64 v26, v[14:15]
	s_wait_dscnt 0x0
	s_barrier_signal -1
	s_barrier_wait -1
	ds_load_b64 v[24:25], v39
	s_wait_dscnt 0x0
	s_barrier_signal -1
	s_barrier_wait -1
	ds_store_b64 v26, v[20:21]
	s_wait_dscnt 0x0
	s_barrier_signal -1
	s_barrier_wait -1
	ds_load_b64 v[16:17], v39
	v_add_nc_u32_e32 v48, -8, v48
	s_xor_b32 s14, exec_lo, -1
	s_wait_dscnt 0x0
	s_barrier_signal -1
	s_barrier_wait -1
	s_branch .LBB803_358
.LBB803_369:
	s_or_b32 exec_lo, exec_lo, s21
	v_lshl_add_u32 v4, v22, 3, v12
	s_barrier_signal -1
	s_barrier_wait -1
	ds_store_b64 v26, v[14:15]
	s_wait_dscnt 0x0
	s_barrier_signal -1
	s_barrier_wait -1
	ds_load_b64 v[0:1], v4
	s_wait_dscnt 0x0
	s_barrier_signal -1
	s_barrier_wait -1
	ds_store_b64 v26, v[20:21]
	s_wait_dscnt 0x0
	s_barrier_signal -1
	s_barrier_wait -1
	ds_load_b64 v[4:5], v4
	s_mov_b32 s0, exec_lo
	s_wait_dscnt 0x0
	s_barrier_signal -1
	s_barrier_wait -1
	s_set_vgpr_msb 4                        ;  msbs: dst=0 src0=0 src1=1 src2=0
	v_cmpx_lt_u32_e64 v18, v34 /*v290*/
	s_set_vgpr_msb 0                        ;  msbs: dst=0 src0=0 src1=0 src2=0
	s_cbranch_execz .LBB803_371
; %bb.370:
	v_lshlrev_b64_e32 v[8:9], 3, v[8:9]
	v_mov_b32_e32 v19, 0
	v_xor_b32_e32 v1, 0x80000000, v1
	s_delay_alu instid0(VALU_DEP_2) | instskip(NEXT) | instid1(VALU_DEP_4)
	v_lshlrev_b64_e32 v[10:11], 3, v[18:19]
	v_add_nc_u64_e32 v[2:3], v[2:3], v[8:9]
	v_add_nc_u64_e32 v[6:7], v[6:7], v[8:9]
	s_delay_alu instid0(VALU_DEP_2) | instskip(NEXT) | instid1(VALU_DEP_2)
	v_add_nc_u64_e32 v[2:3], v[2:3], v[10:11]
	v_add_nc_u64_e32 v[6:7], v[6:7], v[10:11]
	flat_store_b64 v[2:3], v[0:1]
	flat_store_b64 v[6:7], v[4:5]
.LBB803_371:
	s_wait_xcnt 0x0
	s_or_b32 exec_lo, exec_lo, s0
.LBB803_372:
	s_delay_alu instid0(SALU_CYCLE_1)
	s_or_b32 exec_lo, exec_lo, s20
	s_wait_dscnt 0x0
	s_set_pc_i64 s[30:31]
.Lfunc_end803:
	.size	_ZN7rocprim17ROCPRIM_400000_NS6detail40segmented_radix_sort_single_block_helperIllLj256ELj16ELb0EE4sortIPKlPlS6_S7_EEbT_T0_T1_T2_jjjjRNS3_12storage_typeE, .Lfunc_end803-_ZN7rocprim17ROCPRIM_400000_NS6detail40segmented_radix_sort_single_block_helperIllLj256ELj16ELb0EE4sortIPKlPlS6_S7_EEbT_T0_T1_T2_jjjjRNS3_12storage_typeE
                                        ; -- End function
	.set .L_ZN7rocprim17ROCPRIM_400000_NS6detail40segmented_radix_sort_single_block_helperIllLj256ELj16ELb0EE4sortIPKlPlS6_S7_EEbT_T0_T1_T2_jjjjRNS3_12storage_typeE.num_vgpr, 319
	.set .L_ZN7rocprim17ROCPRIM_400000_NS6detail40segmented_radix_sort_single_block_helperIllLj256ELj16ELb0EE4sortIPKlPlS6_S7_EEbT_T0_T1_T2_jjjjRNS3_12storage_typeE.num_agpr, 0
	.set .L_ZN7rocprim17ROCPRIM_400000_NS6detail40segmented_radix_sort_single_block_helperIllLj256ELj16ELb0EE4sortIPKlPlS6_S7_EEbT_T0_T1_T2_jjjjRNS3_12storage_typeE.numbered_sgpr, 32
	.set .L_ZN7rocprim17ROCPRIM_400000_NS6detail40segmented_radix_sort_single_block_helperIllLj256ELj16ELb0EE4sortIPKlPlS6_S7_EEbT_T0_T1_T2_jjjjRNS3_12storage_typeE.num_named_barrier, 0
	.set .L_ZN7rocprim17ROCPRIM_400000_NS6detail40segmented_radix_sort_single_block_helperIllLj256ELj16ELb0EE4sortIPKlPlS6_S7_EEbT_T0_T1_T2_jjjjRNS3_12storage_typeE.private_seg_size, 0
	.set .L_ZN7rocprim17ROCPRIM_400000_NS6detail40segmented_radix_sort_single_block_helperIllLj256ELj16ELb0EE4sortIPKlPlS6_S7_EEbT_T0_T1_T2_jjjjRNS3_12storage_typeE.uses_vcc, 1
	.set .L_ZN7rocprim17ROCPRIM_400000_NS6detail40segmented_radix_sort_single_block_helperIllLj256ELj16ELb0EE4sortIPKlPlS6_S7_EEbT_T0_T1_T2_jjjjRNS3_12storage_typeE.uses_flat_scratch, 0
	.set .L_ZN7rocprim17ROCPRIM_400000_NS6detail40segmented_radix_sort_single_block_helperIllLj256ELj16ELb0EE4sortIPKlPlS6_S7_EEbT_T0_T1_T2_jjjjRNS3_12storage_typeE.has_dyn_sized_stack, 0
	.set .L_ZN7rocprim17ROCPRIM_400000_NS6detail40segmented_radix_sort_single_block_helperIllLj256ELj16ELb0EE4sortIPKlPlS6_S7_EEbT_T0_T1_T2_jjjjRNS3_12storage_typeE.has_recursion, 0
	.set .L_ZN7rocprim17ROCPRIM_400000_NS6detail40segmented_radix_sort_single_block_helperIllLj256ELj16ELb0EE4sortIPKlPlS6_S7_EEbT_T0_T1_T2_jjjjRNS3_12storage_typeE.has_indirect_call, 0
	.section	.AMDGPU.csdata,"",@progbits
; Function info:
; codeLenInByte = 29372
; TotalNumSgprs: 34
; NumVgprs: 319
; ScratchSize: 0
; MemoryBound: 1
	.section	.text._ZN7rocprim17ROCPRIM_400000_NS6detail17trampoline_kernelINS0_14default_configENS1_36segmented_radix_sort_config_selectorIllEEZNS1_25segmented_radix_sort_implIS3_Lb0EPKlPlS8_S9_N2at6native12_GLOBAL__N_18offset_tEEE10hipError_tPvRmT1_PNSt15iterator_traitsISH_E10value_typeET2_T3_PNSI_ISN_E10value_typeET4_jRbjT5_ST_jjP12ihipStream_tbEUlT_E_NS1_11comp_targetILNS1_3genE0ELNS1_11target_archE4294967295ELNS1_3gpuE0ELNS1_3repE0EEENS1_30default_config_static_selectorELNS0_4arch9wavefront6targetE0EEEvSH_,"axG",@progbits,_ZN7rocprim17ROCPRIM_400000_NS6detail17trampoline_kernelINS0_14default_configENS1_36segmented_radix_sort_config_selectorIllEEZNS1_25segmented_radix_sort_implIS3_Lb0EPKlPlS8_S9_N2at6native12_GLOBAL__N_18offset_tEEE10hipError_tPvRmT1_PNSt15iterator_traitsISH_E10value_typeET2_T3_PNSI_ISN_E10value_typeET4_jRbjT5_ST_jjP12ihipStream_tbEUlT_E_NS1_11comp_targetILNS1_3genE0ELNS1_11target_archE4294967295ELNS1_3gpuE0ELNS1_3repE0EEENS1_30default_config_static_selectorELNS0_4arch9wavefront6targetE0EEEvSH_,comdat
	.globl	_ZN7rocprim17ROCPRIM_400000_NS6detail17trampoline_kernelINS0_14default_configENS1_36segmented_radix_sort_config_selectorIllEEZNS1_25segmented_radix_sort_implIS3_Lb0EPKlPlS8_S9_N2at6native12_GLOBAL__N_18offset_tEEE10hipError_tPvRmT1_PNSt15iterator_traitsISH_E10value_typeET2_T3_PNSI_ISN_E10value_typeET4_jRbjT5_ST_jjP12ihipStream_tbEUlT_E_NS1_11comp_targetILNS1_3genE0ELNS1_11target_archE4294967295ELNS1_3gpuE0ELNS1_3repE0EEENS1_30default_config_static_selectorELNS0_4arch9wavefront6targetE0EEEvSH_ ; -- Begin function _ZN7rocprim17ROCPRIM_400000_NS6detail17trampoline_kernelINS0_14default_configENS1_36segmented_radix_sort_config_selectorIllEEZNS1_25segmented_radix_sort_implIS3_Lb0EPKlPlS8_S9_N2at6native12_GLOBAL__N_18offset_tEEE10hipError_tPvRmT1_PNSt15iterator_traitsISH_E10value_typeET2_T3_PNSI_ISN_E10value_typeET4_jRbjT5_ST_jjP12ihipStream_tbEUlT_E_NS1_11comp_targetILNS1_3genE0ELNS1_11target_archE4294967295ELNS1_3gpuE0ELNS1_3repE0EEENS1_30default_config_static_selectorELNS0_4arch9wavefront6targetE0EEEvSH_
	.p2align	8
	.type	_ZN7rocprim17ROCPRIM_400000_NS6detail17trampoline_kernelINS0_14default_configENS1_36segmented_radix_sort_config_selectorIllEEZNS1_25segmented_radix_sort_implIS3_Lb0EPKlPlS8_S9_N2at6native12_GLOBAL__N_18offset_tEEE10hipError_tPvRmT1_PNSt15iterator_traitsISH_E10value_typeET2_T3_PNSI_ISN_E10value_typeET4_jRbjT5_ST_jjP12ihipStream_tbEUlT_E_NS1_11comp_targetILNS1_3genE0ELNS1_11target_archE4294967295ELNS1_3gpuE0ELNS1_3repE0EEENS1_30default_config_static_selectorELNS0_4arch9wavefront6targetE0EEEvSH_,@function
_ZN7rocprim17ROCPRIM_400000_NS6detail17trampoline_kernelINS0_14default_configENS1_36segmented_radix_sort_config_selectorIllEEZNS1_25segmented_radix_sort_implIS3_Lb0EPKlPlS8_S9_N2at6native12_GLOBAL__N_18offset_tEEE10hipError_tPvRmT1_PNSt15iterator_traitsISH_E10value_typeET2_T3_PNSI_ISN_E10value_typeET4_jRbjT5_ST_jjP12ihipStream_tbEUlT_E_NS1_11comp_targetILNS1_3genE0ELNS1_11target_archE4294967295ELNS1_3gpuE0ELNS1_3repE0EEENS1_30default_config_static_selectorELNS0_4arch9wavefront6targetE0EEEvSH_: ; @_ZN7rocprim17ROCPRIM_400000_NS6detail17trampoline_kernelINS0_14default_configENS1_36segmented_radix_sort_config_selectorIllEEZNS1_25segmented_radix_sort_implIS3_Lb0EPKlPlS8_S9_N2at6native12_GLOBAL__N_18offset_tEEE10hipError_tPvRmT1_PNSt15iterator_traitsISH_E10value_typeET2_T3_PNSI_ISN_E10value_typeET4_jRbjT5_ST_jjP12ihipStream_tbEUlT_E_NS1_11comp_targetILNS1_3genE0ELNS1_11target_archE4294967295ELNS1_3gpuE0ELNS1_3repE0EEENS1_30default_config_static_selectorELNS0_4arch9wavefront6targetE0EEEvSH_
; %bb.0:
	s_load_b64 s[8:9], s[2:3], 0x38
	s_bfe_u32 s4, ttmp6, 0x4000c
	s_and_b32 s5, ttmp6, 15
	s_add_co_i32 s4, s4, 1
	s_getreg_b32 s25, hwreg(HW_REG_IB_STS2, 6, 4)
	s_mul_i32 s4, ttmp9, s4
	s_mov_b32 s32, 0
	s_add_co_i32 s5, s5, s4
	s_cmp_eq_u32 s25, 0
	s_cselect_b32 s33, ttmp9, s5
	s_load_b128 s[4:7], s[2:3], 0x40
	s_wait_kmcnt 0x0
	s_load_b32 s10, s[8:9], s33 offset:0x0 scale_offset
	s_wait_kmcnt 0x0
	s_add_co_i32 s51, s10, s7
	s_add_co_i32 s52, s10, s5
	s_mul_i32 s51, s51, s6
	s_mul_i32 s52, s52, s4
	s_delay_alu instid0(SALU_CYCLE_1)
	s_cmp_le_u32 s51, s52
	s_cbranch_scc1 .LBB804_1182
; %bb.1:
	s_clause 0x3
	s_load_b32 s4, s[2:3], 0x30
	s_load_b128 s[44:47], s[2:3], 0x20
	s_load_b96 s[48:50], s[2:3], 0x50
	s_load_b256 s[36:43], s[2:3], 0x0
	s_wait_kmcnt 0x0
	s_bitcmp1_b32 s4, 0
	s_mov_b32 s4, -1
	s_cselect_b32 s53, -1, 0
	s_sub_co_i32 s54, s51, s52
	s_delay_alu instid0(SALU_CYCLE_1)
	s_cmp_lt_u32 s54, 0x1001
	s_cbranch_scc0 .LBB804_7
; %bb.2:
	v_cndmask_b32_e64 v1, 0, 1, s53
	s_and_b32 s4, s48, 1
	s_get_pc_i64 s[26:27]
	s_add_nc_u64 s[26:27], s[26:27], _ZN7rocprim17ROCPRIM_400000_NS6detail40segmented_radix_sort_single_block_helperIllLj256ELj16ELb0EE4sortIPKlPlS6_S7_EEbT_T0_T1_T2_jjjjRNS3_12storage_typeE@rel64+4
	s_delay_alu instid0(VALU_DEP_1)
	v_cmp_ne_u32_e32 vcc_lo, s4, v1
	s_mov_b32 s4, -1
	s_cbranch_vccnz .LBB804_4
; %bb.3:
	s_mov_b64 s[4:5], src_shared_base
	v_dual_mov_b32 v31, v0 :: v_dual_mov_b32 v40, v0
	v_dual_mov_b32 v0, s36 :: v_dual_mov_b32 v1, s37
	;; [unrolled: 1-line block ×8, first 2 shown]
	s_add_nc_u64 s[8:9], s[2:3], 0x60
	s_mov_b64 s[6:7], s[0:1]
	s_mov_b64 s[28:29], s[2:3]
	;; [unrolled: 1-line block ×3, first 2 shown]
	s_swap_pc_i64 s[30:31], s[26:27]
	v_mov_b32_e32 v0, v40
	s_mov_b64 s[0:1], s[34:35]
	s_mov_b64 s[2:3], s[28:29]
	s_mov_b32 s4, 0
.LBB804_4:
	s_delay_alu instid0(SALU_CYCLE_1)
	s_and_not1_b32 vcc_lo, exec_lo, s4
	s_cbranch_vccnz .LBB804_6
; %bb.5:
	s_mov_b64 s[4:5], src_shared_base
	v_dual_mov_b32 v31, v0 :: v_dual_mov_b32 v40, v0
	v_dual_mov_b32 v0, s36 :: v_dual_mov_b32 v1, s37
	;; [unrolled: 1-line block ×8, first 2 shown]
	s_add_nc_u64 s[8:9], s[2:3], 0x60
	s_mov_b64 s[6:7], s[0:1]
	s_mov_b64 s[28:29], s[2:3]
	s_swap_pc_i64 s[30:31], s[26:27]
	v_mov_b32_e32 v0, v40
	s_mov_b64 s[2:3], s[28:29]
.LBB804_6:
	s_mov_b32 s4, 0
.LBB804_7:
	s_delay_alu instid0(SALU_CYCLE_1)
	s_and_not1_b32 vcc_lo, exec_lo, s4
	s_cbranch_vccnz .LBB804_1182
; %bb.8:
	s_cmp_ge_u32 s49, s50
	s_cbranch_scc1 .LBB804_1182
; %bb.9:
	v_and_b32_e32 v2, 0x3ff, v0
	v_dual_mov_b32 v5, 0 :: v_dual_bitop2_b32 v1, 3, v0 bitop3:0x40
	v_lshrrev_b32_e32 v8, 3, v0
	v_mbcnt_lo_u32_b32 v124, -1, 0
	s_delay_alu instid0(VALU_DEP_4) | instskip(NEXT) | instid1(VALU_DEP_4)
	v_dual_lshlrev_b32 v3, 2, v2 :: v_dual_lshlrev_b32 v4, 3, v2
	v_dual_lshlrev_b32 v113, 2, v1 :: v_dual_bitop2_b32 v1, 31, v2 bitop3:0x54
	s_delay_alu instid0(VALU_DEP_4) | instskip(NEXT) | instid1(VALU_DEP_3)
	v_dual_lshlrev_b32 v8, 4, v2 :: v_dual_bitop2_b32 v114, 28, v8 bitop3:0x40
	v_mad_u32_u24 v115, v2, 12, v3
	v_mov_b32_e32 v21, v5
	s_delay_alu instid0(VALU_DEP_4)
	v_cmp_eq_u32_e64 s1, v2, v1
	v_lshlrev_b32_e32 v1, 5, v2
	v_and_b32_e32 v22, 0xe00, v8
	v_mad_u32_u24 v120, v2, 20, v115
	v_add_nc_u32_e32 v118, 0x83fc, v114
	s_bfe_u32 s6, ttmp6, 0x40010
	v_add_nc_u64_e32 v[6:7], s[40:41], v[4:5]
	s_delay_alu instid0(VALU_DEP_3)
	v_dual_lshlrev_b32 v20, 3, v22 :: v_dual_sub_nc_u32 v122, v120, v1
	v_or_b32_e32 v129, v124, v22
	s_add_co_i32 s6, s6, 1
	v_bfe_u32 v119, v0, 20, 10
	s_mul_i32 s6, ttmp7, s6
	s_bfe_u32 s7, ttmp6, 0x40004
	v_bfe_u32 v121, v0, 10, 10
	v_add_nc_u64_e32 v[0:1], s[46:47], v[20:21]
	v_add_nc_u64_e32 v[8:9], s[40:41], v[20:21]
	;; [unrolled: 1-line block ×8, first 2 shown]
	v_or_b32_e32 v98, 0x100, v2
	v_or_b32_e32 v99, 0x200, v2
	;; [unrolled: 1-line block ×15, first 2 shown]
	v_cmp_gt_u32_e64 s0, 0x100, v2
	v_or_b32_e32 v116, 0x8400, v114
	v_cmp_gt_u32_e64 s4, 8, v2
	v_add_nc_u32_e32 v117, 0x8400, v3
	v_cmp_lt_u32_e64 s5, 31, v2
	s_add_nc_u64 s[34:35], s[2:3], 0x60
	s_add_co_i32 s7, s7, s6
	v_cmp_eq_u32_e64 s2, 0, v2
	v_cmp_ne_u32_e64 s3, 0xff, v2
	v_dual_add_nc_u32 v123, v122, v3 :: v_dual_mov_b32 v125, 1
	v_dual_lshlrev_b32 v4, 3, v124 :: v_dual_bitop2_b32 v126, 15, v124 bitop3:0x40
	v_bfe_i32 v127, v124, 4, 1
	v_and_b32_e32 v128, 16, v124
	v_and_b32_e32 v130, 7, v124
	v_sub_co_u32 v131, s6, v124, 1
	v_or_b32_e32 v132, 32, v129
	v_or_b32_e32 v133, 64, v129
	;; [unrolled: 1-line block ×15, first 2 shown]
	s_cmp_eq_u32 s25, 0
	s_mov_b32 s31, 0
	s_cselect_b32 s42, ttmp7, s7
	s_mov_b32 s43, s49
	s_mov_b32 s48, s49
	s_branch .LBB804_12
.LBB804_10:                             ;   in Loop: Header=BB804_12 Depth=1
	s_wait_dscnt 0x0
	s_barrier_signal -1
	s_barrier_wait -1
.LBB804_11:                             ;   in Loop: Header=BB804_12 Depth=1
	s_add_co_i32 s48, s48, 8
	s_delay_alu instid0(SALU_CYCLE_1)
	s_cmp_ge_u32 s48, s50
	s_cbranch_scc1 .LBB804_1182
.LBB804_12:                             ; =>This Loop Header: Depth=1
                                        ;     Child Loop BB804_16 Depth 2
                                        ;     Child Loop BB804_96 Depth 2
                                        ;     Child Loop BB804_308 Depth 2
                                        ;     Child Loop BB804_388 Depth 2
                                        ;     Child Loop BB804_602 Depth 2
                                        ;     Child Loop BB804_682 Depth 2
                                        ;     Child Loop BB804_894 Depth 2
                                        ;     Child Loop BB804_974 Depth 2
	s_sub_co_i32 s7, s50, s48
	s_xor_b32 s53, s53, -1
	s_min_u32 s55, s7, 8
	s_cmp_lg_u32 s48, s49
	s_mov_b32 s7, -1
	ds_store_2addr_stride64_b32 v3, v5, v5 offset1:4
	ds_store_2addr_stride64_b32 v3, v5, v5 offset0:8 offset1:12
	s_wait_storecnt_dscnt 0x0
	s_cbranch_scc0 .LBB804_598
; %bb.13:                               ;   in Loop: Header=BB804_12 Depth=1
	s_lshl_b32 s7, -1, s55
	s_and_b32 vcc_lo, exec_lo, s53
	s_not_b32 s56, s7
	s_mov_b32 s7, -1
	s_cbranch_vccz .LBB804_305
; %bb.14:                               ;   in Loop: Header=BB804_12 Depth=1
	s_mov_b32 s7, s54
	s_mov_b32 s30, s52
	s_barrier_signal -1
	s_barrier_wait -1
                                        ; implicit-def: $vgpr22_vgpr23
                                        ; implicit-def: $vgpr24_vgpr25
                                        ; implicit-def: $vgpr26_vgpr27
                                        ; implicit-def: $vgpr28_vgpr29
                                        ; implicit-def: $vgpr30_vgpr31
                                        ; implicit-def: $vgpr32_vgpr33
                                        ; implicit-def: $vgpr34_vgpr35
                                        ; implicit-def: $vgpr36_vgpr37
                                        ; implicit-def: $vgpr38_vgpr39
                                        ; implicit-def: $vgpr40_vgpr41
                                        ; implicit-def: $vgpr42_vgpr43
                                        ; implicit-def: $vgpr44_vgpr45
                                        ; implicit-def: $vgpr46_vgpr47
                                        ; implicit-def: $vgpr48_vgpr49
                                        ; implicit-def: $vgpr50_vgpr51
                                        ; implicit-def: $vgpr52_vgpr53
	s_branch .LBB804_16
.LBB804_15:                             ;   in Loop: Header=BB804_16 Depth=2
	s_or_b32 exec_lo, exec_lo, s8
	s_addk_co_i32 s7, 0xf000
	s_cmp_ge_u32 s10, s51
	s_mov_b32 s30, s10
	s_cbranch_scc1 .LBB804_84
.LBB804_16:                             ;   Parent Loop BB804_12 Depth=1
                                        ; =>  This Inner Loop Header: Depth=2
	s_add_co_i32 s10, s30, 0x1000
	s_mov_b32 s8, -1
	s_cmp_gt_u32 s10, s51
                                        ; implicit-def: $vgpr54_vgpr55
                                        ; implicit-def: $vgpr56_vgpr57
                                        ; implicit-def: $vgpr58_vgpr59
                                        ; implicit-def: $vgpr60_vgpr61
                                        ; implicit-def: $vgpr62_vgpr63
                                        ; implicit-def: $vgpr64_vgpr65
                                        ; implicit-def: $vgpr66_vgpr67
                                        ; implicit-def: $vgpr68_vgpr69
                                        ; implicit-def: $vgpr70_vgpr71
                                        ; implicit-def: $vgpr72_vgpr73
                                        ; implicit-def: $vgpr74_vgpr75
                                        ; implicit-def: $vgpr76_vgpr77
                                        ; implicit-def: $vgpr78_vgpr79
                                        ; implicit-def: $vgpr80_vgpr81
                                        ; implicit-def: $vgpr82_vgpr83
                                        ; implicit-def: $vgpr84_vgpr85
	s_cbranch_scc1 .LBB804_18
; %bb.17:                               ;   in Loop: Header=BB804_16 Depth=2
	v_lshl_add_u64 v[84:85], s[30:31], 3, v[6:7]
	s_mov_b32 s8, 0
	s_clause 0xf
	global_load_b64 v[54:55], v[84:85], off
	global_load_b64 v[56:57], v[84:85], off offset:2048
	global_load_b64 v[58:59], v[84:85], off offset:4096
	;; [unrolled: 1-line block ×15, first 2 shown]
.LBB804_18:                             ;   in Loop: Header=BB804_16 Depth=2
	s_and_not1_b32 vcc_lo, exec_lo, s8
	s_movk_i32 s8, 0x1000
	s_cbranch_vccnz .LBB804_37
; %bb.19:                               ;   in Loop: Header=BB804_16 Depth=2
	s_lshl_b64 s[8:9], s[30:31], 3
	s_mov_b32 s11, exec_lo
	s_add_nc_u64 s[8:9], s[40:41], s[8:9]
	s_wait_xcnt 0x0
	v_cmpx_gt_u32_e64 s7, v2
	s_cbranch_execnz .LBB804_69
; %bb.20:                               ;   in Loop: Header=BB804_16 Depth=2
	s_or_b32 exec_lo, exec_lo, s11
	s_delay_alu instid0(SALU_CYCLE_1)
	s_mov_b32 s11, exec_lo
	v_cmpx_gt_u32_e64 s7, v98
	s_cbranch_execnz .LBB804_70
.LBB804_21:                             ;   in Loop: Header=BB804_16 Depth=2
	s_or_b32 exec_lo, exec_lo, s11
	s_delay_alu instid0(SALU_CYCLE_1)
	s_mov_b32 s11, exec_lo
	v_cmpx_gt_u32_e64 s7, v99
	s_cbranch_execnz .LBB804_71
.LBB804_22:                             ;   in Loop: Header=BB804_16 Depth=2
	s_or_b32 exec_lo, exec_lo, s11
	s_delay_alu instid0(SALU_CYCLE_1)
	s_mov_b32 s11, exec_lo
	v_cmpx_gt_u32_e64 s7, v100
	s_cbranch_execnz .LBB804_72
.LBB804_23:                             ;   in Loop: Header=BB804_16 Depth=2
	s_or_b32 exec_lo, exec_lo, s11
	s_delay_alu instid0(SALU_CYCLE_1)
	s_mov_b32 s11, exec_lo
	v_cmpx_gt_u32_e64 s7, v101
	s_cbranch_execnz .LBB804_73
.LBB804_24:                             ;   in Loop: Header=BB804_16 Depth=2
	s_or_b32 exec_lo, exec_lo, s11
	s_delay_alu instid0(SALU_CYCLE_1)
	s_mov_b32 s11, exec_lo
	v_cmpx_gt_u32_e64 s7, v102
	s_cbranch_execnz .LBB804_74
.LBB804_25:                             ;   in Loop: Header=BB804_16 Depth=2
	s_or_b32 exec_lo, exec_lo, s11
	s_delay_alu instid0(SALU_CYCLE_1)
	s_mov_b32 s11, exec_lo
	v_cmpx_gt_u32_e64 s7, v103
	s_cbranch_execnz .LBB804_75
.LBB804_26:                             ;   in Loop: Header=BB804_16 Depth=2
	s_or_b32 exec_lo, exec_lo, s11
	s_delay_alu instid0(SALU_CYCLE_1)
	s_mov_b32 s11, exec_lo
	v_cmpx_gt_u32_e64 s7, v104
	s_cbranch_execnz .LBB804_76
.LBB804_27:                             ;   in Loop: Header=BB804_16 Depth=2
	s_or_b32 exec_lo, exec_lo, s11
	s_delay_alu instid0(SALU_CYCLE_1)
	s_mov_b32 s11, exec_lo
	v_cmpx_gt_u32_e64 s7, v105
	s_cbranch_execnz .LBB804_77
.LBB804_28:                             ;   in Loop: Header=BB804_16 Depth=2
	s_or_b32 exec_lo, exec_lo, s11
	s_delay_alu instid0(SALU_CYCLE_1)
	s_mov_b32 s11, exec_lo
	v_cmpx_gt_u32_e64 s7, v106
	s_cbranch_execnz .LBB804_78
.LBB804_29:                             ;   in Loop: Header=BB804_16 Depth=2
	s_or_b32 exec_lo, exec_lo, s11
	s_delay_alu instid0(SALU_CYCLE_1)
	s_mov_b32 s11, exec_lo
	v_cmpx_gt_u32_e64 s7, v107
	s_cbranch_execnz .LBB804_79
.LBB804_30:                             ;   in Loop: Header=BB804_16 Depth=2
	s_or_b32 exec_lo, exec_lo, s11
	s_delay_alu instid0(SALU_CYCLE_1)
	s_mov_b32 s11, exec_lo
	v_cmpx_gt_u32_e64 s7, v108
	s_cbranch_execnz .LBB804_80
.LBB804_31:                             ;   in Loop: Header=BB804_16 Depth=2
	s_or_b32 exec_lo, exec_lo, s11
	s_delay_alu instid0(SALU_CYCLE_1)
	s_mov_b32 s11, exec_lo
	v_cmpx_gt_u32_e64 s7, v109
	s_cbranch_execnz .LBB804_81
.LBB804_32:                             ;   in Loop: Header=BB804_16 Depth=2
	s_or_b32 exec_lo, exec_lo, s11
	s_delay_alu instid0(SALU_CYCLE_1)
	s_mov_b32 s11, exec_lo
	v_cmpx_gt_u32_e64 s7, v110
	s_cbranch_execnz .LBB804_82
.LBB804_33:                             ;   in Loop: Header=BB804_16 Depth=2
	s_or_b32 exec_lo, exec_lo, s11
	s_delay_alu instid0(SALU_CYCLE_1)
	s_mov_b32 s11, exec_lo
	v_cmpx_gt_u32_e64 s7, v111
	s_cbranch_execnz .LBB804_83
.LBB804_34:                             ;   in Loop: Header=BB804_16 Depth=2
	s_or_b32 exec_lo, exec_lo, s11
	s_delay_alu instid0(SALU_CYCLE_1)
	s_mov_b32 s11, exec_lo
	v_cmpx_gt_u32_e64 s7, v112
	s_cbranch_execz .LBB804_36
.LBB804_35:                             ;   in Loop: Header=BB804_16 Depth=2
	global_load_b64 v[22:23], v2, s[8:9] offset:30720 scale_offset
.LBB804_36:                             ;   in Loop: Header=BB804_16 Depth=2
	s_wait_xcnt 0x0
	s_or_b32 exec_lo, exec_lo, s11
	s_wait_loadcnt 0x0
	v_mov_b64_e32 v[54:55], v[52:53]
	v_mov_b64_e32 v[56:57], v[50:51]
	;; [unrolled: 1-line block ×16, first 2 shown]
	s_mov_b32 s8, s7
.LBB804_37:                             ;   in Loop: Header=BB804_16 Depth=2
	s_wait_loadcnt 0x0
	s_delay_alu instid0(VALU_DEP_1) | instskip(NEXT) | instid1(VALU_DEP_3)
	v_mov_b64_e32 v[22:23], v[84:85]
	v_mov_b64_e32 v[24:25], v[82:83]
	;; [unrolled: 1-line block ×16, first 2 shown]
	s_mov_b32 s9, exec_lo
	s_wait_xcnt 0x0
	v_cmpx_gt_u32_e64 s8, v2
	s_cbranch_execnz .LBB804_53
; %bb.38:                               ;   in Loop: Header=BB804_16 Depth=2
	s_or_b32 exec_lo, exec_lo, s9
	s_delay_alu instid0(SALU_CYCLE_1)
	s_mov_b32 s9, exec_lo
	v_cmpx_gt_u32_e64 s8, v98
	s_cbranch_execnz .LBB804_54
.LBB804_39:                             ;   in Loop: Header=BB804_16 Depth=2
	s_or_b32 exec_lo, exec_lo, s9
	s_delay_alu instid0(SALU_CYCLE_1)
	s_mov_b32 s9, exec_lo
	v_cmpx_gt_u32_e64 s8, v99
	s_cbranch_execnz .LBB804_55
.LBB804_40:                             ;   in Loop: Header=BB804_16 Depth=2
	s_or_b32 exec_lo, exec_lo, s9
	s_delay_alu instid0(SALU_CYCLE_1)
	s_mov_b32 s9, exec_lo
	v_cmpx_gt_u32_e64 s8, v100
	s_cbranch_execnz .LBB804_56
.LBB804_41:                             ;   in Loop: Header=BB804_16 Depth=2
	s_or_b32 exec_lo, exec_lo, s9
	s_delay_alu instid0(SALU_CYCLE_1)
	s_mov_b32 s9, exec_lo
	v_cmpx_gt_u32_e64 s8, v101
	s_cbranch_execnz .LBB804_57
.LBB804_42:                             ;   in Loop: Header=BB804_16 Depth=2
	s_or_b32 exec_lo, exec_lo, s9
	s_delay_alu instid0(SALU_CYCLE_1)
	s_mov_b32 s9, exec_lo
	v_cmpx_gt_u32_e64 s8, v102
	s_cbranch_execnz .LBB804_58
.LBB804_43:                             ;   in Loop: Header=BB804_16 Depth=2
	s_or_b32 exec_lo, exec_lo, s9
	s_delay_alu instid0(SALU_CYCLE_1)
	s_mov_b32 s9, exec_lo
	v_cmpx_gt_u32_e64 s8, v103
	s_cbranch_execnz .LBB804_59
.LBB804_44:                             ;   in Loop: Header=BB804_16 Depth=2
	s_or_b32 exec_lo, exec_lo, s9
	s_delay_alu instid0(SALU_CYCLE_1)
	s_mov_b32 s9, exec_lo
	v_cmpx_gt_u32_e64 s8, v104
	s_cbranch_execnz .LBB804_60
.LBB804_45:                             ;   in Loop: Header=BB804_16 Depth=2
	s_or_b32 exec_lo, exec_lo, s9
	s_delay_alu instid0(SALU_CYCLE_1)
	s_mov_b32 s9, exec_lo
	v_cmpx_gt_u32_e64 s8, v105
	s_cbranch_execnz .LBB804_61
.LBB804_46:                             ;   in Loop: Header=BB804_16 Depth=2
	s_or_b32 exec_lo, exec_lo, s9
	s_delay_alu instid0(SALU_CYCLE_1)
	s_mov_b32 s9, exec_lo
	v_cmpx_gt_u32_e64 s8, v106
	s_cbranch_execnz .LBB804_62
.LBB804_47:                             ;   in Loop: Header=BB804_16 Depth=2
	s_or_b32 exec_lo, exec_lo, s9
	s_delay_alu instid0(SALU_CYCLE_1)
	s_mov_b32 s9, exec_lo
	v_cmpx_gt_u32_e64 s8, v107
	s_cbranch_execnz .LBB804_63
.LBB804_48:                             ;   in Loop: Header=BB804_16 Depth=2
	s_or_b32 exec_lo, exec_lo, s9
	s_delay_alu instid0(SALU_CYCLE_1)
	s_mov_b32 s9, exec_lo
	v_cmpx_gt_u32_e64 s8, v108
	s_cbranch_execnz .LBB804_64
.LBB804_49:                             ;   in Loop: Header=BB804_16 Depth=2
	s_or_b32 exec_lo, exec_lo, s9
	s_delay_alu instid0(SALU_CYCLE_1)
	s_mov_b32 s9, exec_lo
	v_cmpx_gt_u32_e64 s8, v109
	s_cbranch_execnz .LBB804_65
.LBB804_50:                             ;   in Loop: Header=BB804_16 Depth=2
	s_or_b32 exec_lo, exec_lo, s9
	s_delay_alu instid0(SALU_CYCLE_1)
	s_mov_b32 s9, exec_lo
	v_cmpx_gt_u32_e64 s8, v110
	s_cbranch_execnz .LBB804_66
.LBB804_51:                             ;   in Loop: Header=BB804_16 Depth=2
	s_or_b32 exec_lo, exec_lo, s9
	s_delay_alu instid0(SALU_CYCLE_1)
	s_mov_b32 s9, exec_lo
	v_cmpx_gt_u32_e64 s8, v111
	s_cbranch_execnz .LBB804_67
.LBB804_52:                             ;   in Loop: Header=BB804_16 Depth=2
	s_or_b32 exec_lo, exec_lo, s9
	v_cmp_gt_u32_e32 vcc_lo, s8, v112
	s_and_saveexec_b32 s8, vcc_lo
	s_cbranch_execz .LBB804_15
	s_branch .LBB804_68
.LBB804_53:                             ;   in Loop: Header=BB804_16 Depth=2
	s_delay_alu instid0(VALU_DEP_2) | instskip(NEXT) | instid1(VALU_DEP_3)
	v_xor_b32_e32 v55, 0x80000000, v53
	v_mov_b32_e32 v54, v52
	s_delay_alu instid0(VALU_DEP_1) | instskip(NEXT) | instid1(VALU_DEP_1)
	v_lshrrev_b64 v[54:55], s48, v[54:55]
	v_and_b32_e32 v54, s56, v54
	s_delay_alu instid0(VALU_DEP_1) | instskip(SKIP_2) | instid1(SALU_CYCLE_1)
	v_lshl_or_b32 v54, v54, 4, v113
	ds_add_u32 v54, v125
	s_or_b32 exec_lo, exec_lo, s9
	s_mov_b32 s9, exec_lo
	v_cmpx_gt_u32_e64 s8, v98
	s_cbranch_execz .LBB804_39
.LBB804_54:                             ;   in Loop: Header=BB804_16 Depth=2
	v_xor_b32_e32 v55, 0x80000000, v51
	v_mov_b32_e32 v54, v50
	s_delay_alu instid0(VALU_DEP_1) | instskip(NEXT) | instid1(VALU_DEP_1)
	v_lshrrev_b64 v[54:55], s48, v[54:55]
	v_and_b32_e32 v54, s56, v54
	s_delay_alu instid0(VALU_DEP_1) | instskip(SKIP_2) | instid1(SALU_CYCLE_1)
	v_lshl_or_b32 v54, v54, 4, v113
	ds_add_u32 v54, v125
	s_or_b32 exec_lo, exec_lo, s9
	s_mov_b32 s9, exec_lo
	v_cmpx_gt_u32_e64 s8, v99
	s_cbranch_execz .LBB804_40
.LBB804_55:                             ;   in Loop: Header=BB804_16 Depth=2
	v_xor_b32_e32 v55, 0x80000000, v49
	v_mov_b32_e32 v54, v48
	s_delay_alu instid0(VALU_DEP_1) | instskip(NEXT) | instid1(VALU_DEP_1)
	v_lshrrev_b64 v[54:55], s48, v[54:55]
	v_and_b32_e32 v54, s56, v54
	s_delay_alu instid0(VALU_DEP_1) | instskip(SKIP_2) | instid1(SALU_CYCLE_1)
	v_lshl_or_b32 v54, v54, 4, v113
	ds_add_u32 v54, v125
	s_or_b32 exec_lo, exec_lo, s9
	s_mov_b32 s9, exec_lo
	v_cmpx_gt_u32_e64 s8, v100
	s_cbranch_execz .LBB804_41
.LBB804_56:                             ;   in Loop: Header=BB804_16 Depth=2
	v_xor_b32_e32 v55, 0x80000000, v47
	v_mov_b32_e32 v54, v46
	s_delay_alu instid0(VALU_DEP_1) | instskip(NEXT) | instid1(VALU_DEP_1)
	v_lshrrev_b64 v[54:55], s48, v[54:55]
	v_and_b32_e32 v54, s56, v54
	s_delay_alu instid0(VALU_DEP_1) | instskip(SKIP_2) | instid1(SALU_CYCLE_1)
	v_lshl_or_b32 v54, v54, 4, v113
	ds_add_u32 v54, v125
	s_or_b32 exec_lo, exec_lo, s9
	s_mov_b32 s9, exec_lo
	v_cmpx_gt_u32_e64 s8, v101
	s_cbranch_execz .LBB804_42
.LBB804_57:                             ;   in Loop: Header=BB804_16 Depth=2
	v_xor_b32_e32 v55, 0x80000000, v45
	v_mov_b32_e32 v54, v44
	s_delay_alu instid0(VALU_DEP_1) | instskip(NEXT) | instid1(VALU_DEP_1)
	v_lshrrev_b64 v[54:55], s48, v[54:55]
	v_and_b32_e32 v54, s56, v54
	s_delay_alu instid0(VALU_DEP_1) | instskip(SKIP_2) | instid1(SALU_CYCLE_1)
	v_lshl_or_b32 v54, v54, 4, v113
	ds_add_u32 v54, v125
	s_or_b32 exec_lo, exec_lo, s9
	s_mov_b32 s9, exec_lo
	v_cmpx_gt_u32_e64 s8, v102
	s_cbranch_execz .LBB804_43
.LBB804_58:                             ;   in Loop: Header=BB804_16 Depth=2
	v_xor_b32_e32 v55, 0x80000000, v43
	v_mov_b32_e32 v54, v42
	s_delay_alu instid0(VALU_DEP_1) | instskip(NEXT) | instid1(VALU_DEP_1)
	v_lshrrev_b64 v[54:55], s48, v[54:55]
	v_and_b32_e32 v54, s56, v54
	s_delay_alu instid0(VALU_DEP_1) | instskip(SKIP_2) | instid1(SALU_CYCLE_1)
	v_lshl_or_b32 v54, v54, 4, v113
	ds_add_u32 v54, v125
	s_or_b32 exec_lo, exec_lo, s9
	s_mov_b32 s9, exec_lo
	v_cmpx_gt_u32_e64 s8, v103
	s_cbranch_execz .LBB804_44
.LBB804_59:                             ;   in Loop: Header=BB804_16 Depth=2
	v_xor_b32_e32 v55, 0x80000000, v41
	v_mov_b32_e32 v54, v40
	s_delay_alu instid0(VALU_DEP_1) | instskip(NEXT) | instid1(VALU_DEP_1)
	v_lshrrev_b64 v[54:55], s48, v[54:55]
	v_and_b32_e32 v54, s56, v54
	s_delay_alu instid0(VALU_DEP_1) | instskip(SKIP_2) | instid1(SALU_CYCLE_1)
	v_lshl_or_b32 v54, v54, 4, v113
	ds_add_u32 v54, v125
	s_or_b32 exec_lo, exec_lo, s9
	s_mov_b32 s9, exec_lo
	v_cmpx_gt_u32_e64 s8, v104
	s_cbranch_execz .LBB804_45
.LBB804_60:                             ;   in Loop: Header=BB804_16 Depth=2
	v_xor_b32_e32 v55, 0x80000000, v39
	v_mov_b32_e32 v54, v38
	s_delay_alu instid0(VALU_DEP_1) | instskip(NEXT) | instid1(VALU_DEP_1)
	v_lshrrev_b64 v[54:55], s48, v[54:55]
	v_and_b32_e32 v54, s56, v54
	s_delay_alu instid0(VALU_DEP_1) | instskip(SKIP_2) | instid1(SALU_CYCLE_1)
	v_lshl_or_b32 v54, v54, 4, v113
	ds_add_u32 v54, v125
	s_or_b32 exec_lo, exec_lo, s9
	s_mov_b32 s9, exec_lo
	v_cmpx_gt_u32_e64 s8, v105
	s_cbranch_execz .LBB804_46
.LBB804_61:                             ;   in Loop: Header=BB804_16 Depth=2
	v_xor_b32_e32 v55, 0x80000000, v37
	v_mov_b32_e32 v54, v36
	s_delay_alu instid0(VALU_DEP_1) | instskip(NEXT) | instid1(VALU_DEP_1)
	v_lshrrev_b64 v[54:55], s48, v[54:55]
	v_and_b32_e32 v54, s56, v54
	s_delay_alu instid0(VALU_DEP_1) | instskip(SKIP_2) | instid1(SALU_CYCLE_1)
	v_lshl_or_b32 v54, v54, 4, v113
	ds_add_u32 v54, v125
	s_or_b32 exec_lo, exec_lo, s9
	s_mov_b32 s9, exec_lo
	v_cmpx_gt_u32_e64 s8, v106
	s_cbranch_execz .LBB804_47
.LBB804_62:                             ;   in Loop: Header=BB804_16 Depth=2
	v_xor_b32_e32 v55, 0x80000000, v35
	v_mov_b32_e32 v54, v34
	s_delay_alu instid0(VALU_DEP_1) | instskip(NEXT) | instid1(VALU_DEP_1)
	v_lshrrev_b64 v[54:55], s48, v[54:55]
	v_and_b32_e32 v54, s56, v54
	s_delay_alu instid0(VALU_DEP_1) | instskip(SKIP_2) | instid1(SALU_CYCLE_1)
	v_lshl_or_b32 v54, v54, 4, v113
	ds_add_u32 v54, v125
	s_or_b32 exec_lo, exec_lo, s9
	s_mov_b32 s9, exec_lo
	v_cmpx_gt_u32_e64 s8, v107
	s_cbranch_execz .LBB804_48
.LBB804_63:                             ;   in Loop: Header=BB804_16 Depth=2
	v_xor_b32_e32 v55, 0x80000000, v33
	v_mov_b32_e32 v54, v32
	s_delay_alu instid0(VALU_DEP_1) | instskip(NEXT) | instid1(VALU_DEP_1)
	v_lshrrev_b64 v[54:55], s48, v[54:55]
	v_and_b32_e32 v54, s56, v54
	s_delay_alu instid0(VALU_DEP_1) | instskip(SKIP_2) | instid1(SALU_CYCLE_1)
	v_lshl_or_b32 v54, v54, 4, v113
	ds_add_u32 v54, v125
	s_or_b32 exec_lo, exec_lo, s9
	s_mov_b32 s9, exec_lo
	v_cmpx_gt_u32_e64 s8, v108
	s_cbranch_execz .LBB804_49
.LBB804_64:                             ;   in Loop: Header=BB804_16 Depth=2
	v_xor_b32_e32 v55, 0x80000000, v31
	v_mov_b32_e32 v54, v30
	s_delay_alu instid0(VALU_DEP_1) | instskip(NEXT) | instid1(VALU_DEP_1)
	v_lshrrev_b64 v[54:55], s48, v[54:55]
	v_and_b32_e32 v54, s56, v54
	s_delay_alu instid0(VALU_DEP_1) | instskip(SKIP_2) | instid1(SALU_CYCLE_1)
	v_lshl_or_b32 v54, v54, 4, v113
	ds_add_u32 v54, v125
	s_or_b32 exec_lo, exec_lo, s9
	s_mov_b32 s9, exec_lo
	v_cmpx_gt_u32_e64 s8, v109
	s_cbranch_execz .LBB804_50
.LBB804_65:                             ;   in Loop: Header=BB804_16 Depth=2
	v_xor_b32_e32 v55, 0x80000000, v29
	v_mov_b32_e32 v54, v28
	s_delay_alu instid0(VALU_DEP_1) | instskip(NEXT) | instid1(VALU_DEP_1)
	v_lshrrev_b64 v[54:55], s48, v[54:55]
	v_and_b32_e32 v54, s56, v54
	s_delay_alu instid0(VALU_DEP_1) | instskip(SKIP_2) | instid1(SALU_CYCLE_1)
	v_lshl_or_b32 v54, v54, 4, v113
	ds_add_u32 v54, v125
	s_or_b32 exec_lo, exec_lo, s9
	s_mov_b32 s9, exec_lo
	v_cmpx_gt_u32_e64 s8, v110
	s_cbranch_execz .LBB804_51
.LBB804_66:                             ;   in Loop: Header=BB804_16 Depth=2
	v_xor_b32_e32 v55, 0x80000000, v27
	v_mov_b32_e32 v54, v26
	s_delay_alu instid0(VALU_DEP_1) | instskip(NEXT) | instid1(VALU_DEP_1)
	v_lshrrev_b64 v[54:55], s48, v[54:55]
	v_and_b32_e32 v54, s56, v54
	s_delay_alu instid0(VALU_DEP_1) | instskip(SKIP_2) | instid1(SALU_CYCLE_1)
	v_lshl_or_b32 v54, v54, 4, v113
	ds_add_u32 v54, v125
	s_or_b32 exec_lo, exec_lo, s9
	s_mov_b32 s9, exec_lo
	v_cmpx_gt_u32_e64 s8, v111
	s_cbranch_execz .LBB804_52
.LBB804_67:                             ;   in Loop: Header=BB804_16 Depth=2
	v_xor_b32_e32 v55, 0x80000000, v25
	v_mov_b32_e32 v54, v24
	s_delay_alu instid0(VALU_DEP_1) | instskip(NEXT) | instid1(VALU_DEP_1)
	v_lshrrev_b64 v[54:55], s48, v[54:55]
	v_and_b32_e32 v54, s56, v54
	s_delay_alu instid0(VALU_DEP_1)
	v_lshl_or_b32 v54, v54, 4, v113
	ds_add_u32 v54, v125
	s_or_b32 exec_lo, exec_lo, s9
	v_cmp_gt_u32_e32 vcc_lo, s8, v112
	s_and_saveexec_b32 s8, vcc_lo
	s_cbranch_execz .LBB804_15
.LBB804_68:                             ;   in Loop: Header=BB804_16 Depth=2
	v_xor_b32_e32 v55, 0x80000000, v23
	v_mov_b32_e32 v54, v22
	s_delay_alu instid0(VALU_DEP_1) | instskip(NEXT) | instid1(VALU_DEP_1)
	v_lshrrev_b64 v[54:55], s48, v[54:55]
	v_and_b32_e32 v54, s56, v54
	s_delay_alu instid0(VALU_DEP_1)
	v_lshl_or_b32 v54, v54, 4, v113
	ds_add_u32 v54, v125
	s_branch .LBB804_15
.LBB804_69:                             ;   in Loop: Header=BB804_16 Depth=2
	global_load_b64 v[52:53], v2, s[8:9] scale_offset
	s_wait_xcnt 0x0
	s_or_b32 exec_lo, exec_lo, s11
	s_delay_alu instid0(SALU_CYCLE_1)
	s_mov_b32 s11, exec_lo
	v_cmpx_gt_u32_e64 s7, v98
	s_cbranch_execz .LBB804_21
.LBB804_70:                             ;   in Loop: Header=BB804_16 Depth=2
	global_load_b64 v[50:51], v2, s[8:9] offset:2048 scale_offset
	s_wait_xcnt 0x0
	s_or_b32 exec_lo, exec_lo, s11
	s_delay_alu instid0(SALU_CYCLE_1)
	s_mov_b32 s11, exec_lo
	v_cmpx_gt_u32_e64 s7, v99
	s_cbranch_execz .LBB804_22
.LBB804_71:                             ;   in Loop: Header=BB804_16 Depth=2
	global_load_b64 v[48:49], v2, s[8:9] offset:4096 scale_offset
	s_wait_xcnt 0x0
	s_or_b32 exec_lo, exec_lo, s11
	s_delay_alu instid0(SALU_CYCLE_1)
	s_mov_b32 s11, exec_lo
	v_cmpx_gt_u32_e64 s7, v100
	s_cbranch_execz .LBB804_23
.LBB804_72:                             ;   in Loop: Header=BB804_16 Depth=2
	global_load_b64 v[46:47], v2, s[8:9] offset:6144 scale_offset
	s_wait_xcnt 0x0
	s_or_b32 exec_lo, exec_lo, s11
	s_delay_alu instid0(SALU_CYCLE_1)
	s_mov_b32 s11, exec_lo
	v_cmpx_gt_u32_e64 s7, v101
	s_cbranch_execz .LBB804_24
.LBB804_73:                             ;   in Loop: Header=BB804_16 Depth=2
	global_load_b64 v[44:45], v2, s[8:9] offset:8192 scale_offset
	s_wait_xcnt 0x0
	s_or_b32 exec_lo, exec_lo, s11
	s_delay_alu instid0(SALU_CYCLE_1)
	s_mov_b32 s11, exec_lo
	v_cmpx_gt_u32_e64 s7, v102
	s_cbranch_execz .LBB804_25
.LBB804_74:                             ;   in Loop: Header=BB804_16 Depth=2
	global_load_b64 v[42:43], v2, s[8:9] offset:10240 scale_offset
	s_wait_xcnt 0x0
	s_or_b32 exec_lo, exec_lo, s11
	s_delay_alu instid0(SALU_CYCLE_1)
	s_mov_b32 s11, exec_lo
	v_cmpx_gt_u32_e64 s7, v103
	s_cbranch_execz .LBB804_26
.LBB804_75:                             ;   in Loop: Header=BB804_16 Depth=2
	global_load_b64 v[40:41], v2, s[8:9] offset:12288 scale_offset
	s_wait_xcnt 0x0
	s_or_b32 exec_lo, exec_lo, s11
	s_delay_alu instid0(SALU_CYCLE_1)
	s_mov_b32 s11, exec_lo
	v_cmpx_gt_u32_e64 s7, v104
	s_cbranch_execz .LBB804_27
.LBB804_76:                             ;   in Loop: Header=BB804_16 Depth=2
	global_load_b64 v[38:39], v2, s[8:9] offset:14336 scale_offset
	s_wait_xcnt 0x0
	s_or_b32 exec_lo, exec_lo, s11
	s_delay_alu instid0(SALU_CYCLE_1)
	s_mov_b32 s11, exec_lo
	v_cmpx_gt_u32_e64 s7, v105
	s_cbranch_execz .LBB804_28
.LBB804_77:                             ;   in Loop: Header=BB804_16 Depth=2
	global_load_b64 v[36:37], v2, s[8:9] offset:16384 scale_offset
	s_wait_xcnt 0x0
	s_or_b32 exec_lo, exec_lo, s11
	s_delay_alu instid0(SALU_CYCLE_1)
	s_mov_b32 s11, exec_lo
	v_cmpx_gt_u32_e64 s7, v106
	s_cbranch_execz .LBB804_29
.LBB804_78:                             ;   in Loop: Header=BB804_16 Depth=2
	global_load_b64 v[34:35], v2, s[8:9] offset:18432 scale_offset
	s_wait_xcnt 0x0
	s_or_b32 exec_lo, exec_lo, s11
	s_delay_alu instid0(SALU_CYCLE_1)
	s_mov_b32 s11, exec_lo
	v_cmpx_gt_u32_e64 s7, v107
	s_cbranch_execz .LBB804_30
.LBB804_79:                             ;   in Loop: Header=BB804_16 Depth=2
	global_load_b64 v[32:33], v2, s[8:9] offset:20480 scale_offset
	s_wait_xcnt 0x0
	s_or_b32 exec_lo, exec_lo, s11
	s_delay_alu instid0(SALU_CYCLE_1)
	s_mov_b32 s11, exec_lo
	v_cmpx_gt_u32_e64 s7, v108
	s_cbranch_execz .LBB804_31
.LBB804_80:                             ;   in Loop: Header=BB804_16 Depth=2
	global_load_b64 v[30:31], v2, s[8:9] offset:22528 scale_offset
	s_wait_xcnt 0x0
	s_or_b32 exec_lo, exec_lo, s11
	s_delay_alu instid0(SALU_CYCLE_1)
	s_mov_b32 s11, exec_lo
	v_cmpx_gt_u32_e64 s7, v109
	s_cbranch_execz .LBB804_32
.LBB804_81:                             ;   in Loop: Header=BB804_16 Depth=2
	global_load_b64 v[28:29], v2, s[8:9] offset:24576 scale_offset
	s_wait_xcnt 0x0
	s_or_b32 exec_lo, exec_lo, s11
	s_delay_alu instid0(SALU_CYCLE_1)
	s_mov_b32 s11, exec_lo
	v_cmpx_gt_u32_e64 s7, v110
	s_cbranch_execz .LBB804_33
.LBB804_82:                             ;   in Loop: Header=BB804_16 Depth=2
	global_load_b64 v[26:27], v2, s[8:9] offset:26624 scale_offset
	s_wait_xcnt 0x0
	s_or_b32 exec_lo, exec_lo, s11
	s_delay_alu instid0(SALU_CYCLE_1)
	s_mov_b32 s11, exec_lo
	v_cmpx_gt_u32_e64 s7, v111
	s_cbranch_execz .LBB804_34
.LBB804_83:                             ;   in Loop: Header=BB804_16 Depth=2
	global_load_b64 v[24:25], v2, s[8:9] offset:28672 scale_offset
	s_wait_xcnt 0x0
	s_or_b32 exec_lo, exec_lo, s11
	s_delay_alu instid0(SALU_CYCLE_1)
	s_mov_b32 s11, exec_lo
	v_cmpx_gt_u32_e64 s7, v112
	s_cbranch_execnz .LBB804_35
	s_branch .LBB804_36
.LBB804_84:                             ;   in Loop: Header=BB804_12 Depth=1
	v_mov_b32_e32 v22, 0
	s_wait_dscnt 0x0
	s_barrier_signal -1
	s_barrier_wait -1
	s_and_saveexec_b32 s7, s0
	s_cbranch_execz .LBB804_86
; %bb.85:                               ;   in Loop: Header=BB804_12 Depth=1
	ds_load_2addr_b64 v[22:25], v115 offset1:1
	s_wait_dscnt 0x0
	v_add_nc_u32_e32 v22, v23, v22
	s_delay_alu instid0(VALU_DEP_1)
	v_add3_u32 v22, v22, v24, v25
.LBB804_86:                             ;   in Loop: Header=BB804_12 Depth=1
	s_or_b32 exec_lo, exec_lo, s7
	s_delay_alu instid0(VALU_DEP_1)
	v_mov_b32_dpp v23, v22 row_shr:1 row_mask:0xf bank_mask:0xf
	v_cmp_eq_u32_e64 s7, 0, v126
	v_cmp_lt_u32_e64 s8, 1, v126
	v_cmp_lt_u32_e64 s9, 3, v126
	v_cmp_lt_u32_e64 s10, 7, v126
	v_cmp_eq_u32_e64 s11, 0, v128
	v_cndmask_b32_e64 v23, v23, 0, s7
	s_delay_alu instid0(VALU_DEP_1) | instskip(NEXT) | instid1(VALU_DEP_1)
	v_add_nc_u32_e32 v22, v23, v22
	v_mov_b32_dpp v23, v22 row_shr:2 row_mask:0xf bank_mask:0xf
	s_delay_alu instid0(VALU_DEP_1) | instskip(NEXT) | instid1(VALU_DEP_1)
	v_cndmask_b32_e64 v23, 0, v23, s8
	v_add_nc_u32_e32 v22, v22, v23
	s_delay_alu instid0(VALU_DEP_1) | instskip(NEXT) | instid1(VALU_DEP_1)
	v_mov_b32_dpp v23, v22 row_shr:4 row_mask:0xf bank_mask:0xf
	v_cndmask_b32_e64 v23, 0, v23, s9
	s_delay_alu instid0(VALU_DEP_1) | instskip(NEXT) | instid1(VALU_DEP_1)
	v_add_nc_u32_e32 v22, v22, v23
	v_mov_b32_dpp v23, v22 row_shr:8 row_mask:0xf bank_mask:0xf
	s_delay_alu instid0(VALU_DEP_1) | instskip(NEXT) | instid1(VALU_DEP_1)
	v_cndmask_b32_e64 v23, 0, v23, s10
	v_add_nc_u32_e32 v22, v22, v23
	ds_swizzle_b32 v23, v22 offset:swizzle(BROADCAST,32,15)
	s_wait_dscnt 0x0
	v_and_b32_e32 v23, v127, v23
	s_delay_alu instid0(VALU_DEP_1)
	v_add_nc_u32_e32 v22, v22, v23
	s_and_saveexec_b32 s12, s1
; %bb.87:                               ;   in Loop: Header=BB804_12 Depth=1
	ds_store_b32 v116, v22
; %bb.88:                               ;   in Loop: Header=BB804_12 Depth=1
	s_or_b32 exec_lo, exec_lo, s12
	s_wait_dscnt 0x0
	s_barrier_signal -1
	s_barrier_wait -1
	s_and_saveexec_b32 s12, s4
	s_cbranch_execz .LBB804_90
; %bb.89:                               ;   in Loop: Header=BB804_12 Depth=1
	ds_load_b32 v23, v117
	v_cmp_ne_u32_e32 vcc_lo, 0, v130
	s_wait_dscnt 0x0
	v_mov_b32_dpp v24, v23 row_shr:1 row_mask:0xf bank_mask:0xf
	s_delay_alu instid0(VALU_DEP_1) | instskip(SKIP_1) | instid1(VALU_DEP_2)
	v_cndmask_b32_e32 v24, 0, v24, vcc_lo
	v_cmp_lt_u32_e32 vcc_lo, 1, v130
	v_add_nc_u32_e32 v23, v24, v23
	s_delay_alu instid0(VALU_DEP_1) | instskip(NEXT) | instid1(VALU_DEP_1)
	v_mov_b32_dpp v24, v23 row_shr:2 row_mask:0xf bank_mask:0xf
	v_cndmask_b32_e32 v24, 0, v24, vcc_lo
	v_cmp_lt_u32_e32 vcc_lo, 3, v130
	s_delay_alu instid0(VALU_DEP_2) | instskip(NEXT) | instid1(VALU_DEP_1)
	v_add_nc_u32_e32 v23, v23, v24
	v_mov_b32_dpp v24, v23 row_shr:4 row_mask:0xf bank_mask:0xf
	s_delay_alu instid0(VALU_DEP_1) | instskip(NEXT) | instid1(VALU_DEP_1)
	v_cndmask_b32_e32 v24, 0, v24, vcc_lo
	v_add_nc_u32_e32 v23, v23, v24
	ds_store_b32 v117, v23
.LBB804_90:                             ;   in Loop: Header=BB804_12 Depth=1
	s_or_b32 exec_lo, exec_lo, s12
	v_mov_b32_e32 v23, 0
	s_wait_dscnt 0x0
	s_barrier_signal -1
	s_barrier_wait -1
	s_and_saveexec_b32 s12, s5
; %bb.91:                               ;   in Loop: Header=BB804_12 Depth=1
	ds_load_b32 v23, v118
; %bb.92:                               ;   in Loop: Header=BB804_12 Depth=1
	s_or_b32 exec_lo, exec_lo, s12
	v_cmp_gt_i32_e32 vcc_lo, 0, v131
	s_wait_dscnt 0x0
	s_barrier_signal -1
	s_barrier_wait -1
	v_cndmask_b32_e32 v24, v131, v124, vcc_lo
	s_delay_alu instid0(VALU_DEP_1)
	v_dual_add_nc_u32 v22, v23, v22 :: v_dual_lshlrev_b32 v147, 2, v24
	ds_bpermute_b32 v22, v147, v22
	s_and_saveexec_b32 s12, s0
	s_cbranch_execz .LBB804_94
; %bb.93:                               ;   in Loop: Header=BB804_12 Depth=1
	s_wait_dscnt 0x0
	v_cndmask_b32_e64 v22, v22, v23, s6
	s_delay_alu instid0(VALU_DEP_1)
	v_add_nc_u32_e32 v22, s52, v22
	ds_store_b32 v3, v22
.LBB804_94:                             ;   in Loop: Header=BB804_12 Depth=1
	s_or_b32 exec_lo, exec_lo, s12
	s_clause 0x1
	s_load_b32 s12, s[34:35], 0x4
	s_load_b32 s14, s[34:35], 0xc
	v_add_nc_u64_e32 v[24:25], v[8:9], v[4:5]
	s_mov_b32 s57, s54
                                        ; implicit-def: $vgpr28_vgpr29
                                        ; implicit-def: $vgpr30_vgpr31
                                        ; implicit-def: $vgpr32_vgpr33
                                        ; implicit-def: $vgpr34_vgpr35
                                        ; implicit-def: $vgpr36_vgpr37
                                        ; implicit-def: $vgpr38_vgpr39
                                        ; implicit-def: $vgpr40_vgpr41
                                        ; implicit-def: $vgpr42_vgpr43
                                        ; implicit-def: $vgpr44_vgpr45
                                        ; implicit-def: $vgpr46_vgpr47
                                        ; implicit-def: $vgpr48_vgpr49
                                        ; implicit-def: $vgpr50_vgpr51
                                        ; implicit-def: $vgpr52_vgpr53
                                        ; implicit-def: $vgpr54_vgpr55
                                        ; implicit-def: $vgpr56_vgpr57
                                        ; implicit-def: $vgpr149
                                        ; implicit-def: $vgpr150
                                        ; implicit-def: $vgpr151
                                        ; implicit-def: $vgpr152
                                        ; implicit-def: $vgpr153
                                        ; implicit-def: $vgpr154
                                        ; implicit-def: $vgpr155
                                        ; implicit-def: $vgpr156
                                        ; implicit-def: $vgpr157
                                        ; implicit-def: $vgpr158
                                        ; implicit-def: $vgpr159
                                        ; implicit-def: $vgpr160
                                        ; implicit-def: $vgpr161
                                        ; implicit-def: $vgpr162
                                        ; implicit-def: $vgpr163
                                        ; implicit-def: $vgpr164
	s_wait_kmcnt 0x0
	s_cmp_lt_u32 s42, s12
	s_cselect_b32 s30, 14, 20
	s_delay_alu instid0(SALU_CYCLE_1)
	s_add_nc_u64 s[12:13], s[34:35], s[30:31]
	s_mov_b32 s30, s52
	s_load_u16 s12, s[12:13], 0x0
	s_wait_xcnt 0x0
	v_cmp_lt_u32_e64 s13, 1, v130
	s_wait_dscnt 0x0
	s_wait_kmcnt 0x0
	v_mad_u32_u24 v22, v119, s12, v121
	s_and_b32 s12, s14, 0xffff
	v_cmp_lt_u32_e64 s14, 3, v130
	s_delay_alu instid0(VALU_DEP_2) | instskip(SKIP_1) | instid1(VALU_DEP_2)
	v_mad_u32 v22, v22, s12, v2
	v_cmp_eq_u32_e64 s12, 0, v130
	v_lshrrev_b32_e32 v26, 3, v22
	v_add_nc_u64_e32 v[22:23], v[0:1], v[4:5]
	s_delay_alu instid0(VALU_DEP_2)
	v_and_b32_e32 v148, 0x1ffffffc, v26
                                        ; implicit-def: $vgpr26_vgpr27
	s_branch .LBB804_96
.LBB804_95:                             ;   in Loop: Header=BB804_96 Depth=2
	s_or_b32 exec_lo, exec_lo, s15
	s_addk_co_i32 s57, 0xf000
	s_cmp_lt_u32 s58, s51
	s_mov_b32 s30, s58
	s_cbranch_scc0 .LBB804_304
.LBB804_96:                             ;   Parent Loop BB804_12 Depth=1
                                        ; =>  This Inner Loop Header: Depth=2
	s_add_co_i32 s58, s30, 0x1000
	s_delay_alu instid0(SALU_CYCLE_1)
	s_cmp_gt_u32 s58, s51
	s_cbranch_scc1 .LBB804_98
; %bb.97:                               ;   in Loop: Header=BB804_96 Depth=2
	v_lshl_add_u64 v[88:89], s[30:31], 3, v[24:25]
	s_mov_b32 s15, -1
	s_clause 0xe
	global_load_b64 v[60:61], v[88:89], off
	global_load_b64 v[58:59], v[88:89], off offset:256
	global_load_b64 v[64:65], v[88:89], off offset:512
	global_load_b64 v[62:63], v[88:89], off offset:768
	global_load_b64 v[68:69], v[88:89], off offset:1024
	global_load_b64 v[66:67], v[88:89], off offset:1280
	global_load_b64 v[72:73], v[88:89], off offset:1536
	global_load_b64 v[70:71], v[88:89], off offset:1792
	global_load_b64 v[76:77], v[88:89], off offset:2048
	global_load_b64 v[74:75], v[88:89], off offset:2304
	global_load_b64 v[80:81], v[88:89], off offset:2560
	global_load_b64 v[78:79], v[88:89], off offset:2816
	global_load_b64 v[84:85], v[88:89], off offset:3072
	global_load_b64 v[82:83], v[88:89], off offset:3328
	global_load_b64 v[86:87], v[88:89], off offset:3584
	s_movk_i32 s16, 0x1000
	s_cbranch_execz .LBB804_99
	s_branch .LBB804_130
.LBB804_98:                             ;   in Loop: Header=BB804_96 Depth=2
	s_mov_b32 s15, 0
                                        ; implicit-def: $vgpr60_vgpr61
                                        ; implicit-def: $vgpr58_vgpr59
                                        ; implicit-def: $vgpr64_vgpr65
                                        ; implicit-def: $vgpr62_vgpr63
                                        ; implicit-def: $vgpr68_vgpr69
                                        ; implicit-def: $vgpr66_vgpr67
                                        ; implicit-def: $vgpr72_vgpr73
                                        ; implicit-def: $vgpr70_vgpr71
                                        ; implicit-def: $vgpr76_vgpr77
                                        ; implicit-def: $vgpr74_vgpr75
                                        ; implicit-def: $vgpr80_vgpr81
                                        ; implicit-def: $vgpr78_vgpr79
                                        ; implicit-def: $vgpr84_vgpr85
                                        ; implicit-def: $vgpr82_vgpr83
                                        ; implicit-def: $vgpr86_vgpr87
	s_movk_i32 s16, 0x1000
.LBB804_99:                             ;   in Loop: Header=BB804_96 Depth=2
	s_wait_loadcnt 0xd
	v_mov_b64_e32 v[58:59], 0x7fffffffffffffff
	v_mov_b64_e32 v[60:61], 0x7fffffffffffffff
	s_wait_xcnt 0x0
	v_lshl_add_u64 v[88:89], s[30:31], 3, v[24:25]
	s_mov_b32 s15, exec_lo
	v_cmpx_gt_u32_e64 s57, v129
	s_cbranch_execz .LBB804_101
; %bb.100:                              ;   in Loop: Header=BB804_96 Depth=2
	global_load_b64 v[60:61], v[88:89], off
.LBB804_101:                            ;   in Loop: Header=BB804_96 Depth=2
	s_wait_xcnt 0x0
	s_or_b32 exec_lo, exec_lo, s15
	s_delay_alu instid0(SALU_CYCLE_1)
	s_mov_b32 s15, exec_lo
	v_cmpx_gt_u32_e64 s57, v132
	s_cbranch_execz .LBB804_103
; %bb.102:                              ;   in Loop: Header=BB804_96 Depth=2
	global_load_b64 v[58:59], v[88:89], off offset:256
.LBB804_103:                            ;   in Loop: Header=BB804_96 Depth=2
	s_wait_xcnt 0x0
	s_or_b32 exec_lo, exec_lo, s15
	s_wait_loadcnt 0xb
	v_mov_b64_e32 v[62:63], 0x7fffffffffffffff
	v_mov_b64_e32 v[64:65], 0x7fffffffffffffff
	s_mov_b32 s15, exec_lo
	v_cmpx_gt_u32_e64 s57, v133
	s_cbranch_execz .LBB804_105
; %bb.104:                              ;   in Loop: Header=BB804_96 Depth=2
	global_load_b64 v[64:65], v[88:89], off offset:512
.LBB804_105:                            ;   in Loop: Header=BB804_96 Depth=2
	s_wait_xcnt 0x0
	s_or_b32 exec_lo, exec_lo, s15
	s_delay_alu instid0(SALU_CYCLE_1)
	s_mov_b32 s15, exec_lo
	v_cmpx_gt_u32_e64 s57, v134
	s_cbranch_execz .LBB804_107
; %bb.106:                              ;   in Loop: Header=BB804_96 Depth=2
	global_load_b64 v[62:63], v[88:89], off offset:768
.LBB804_107:                            ;   in Loop: Header=BB804_96 Depth=2
	s_wait_xcnt 0x0
	s_or_b32 exec_lo, exec_lo, s15
	s_wait_loadcnt 0x9
	v_mov_b64_e32 v[66:67], 0x7fffffffffffffff
	v_mov_b64_e32 v[68:69], 0x7fffffffffffffff
	s_mov_b32 s15, exec_lo
	v_cmpx_gt_u32_e64 s57, v135
	s_cbranch_execz .LBB804_109
; %bb.108:                              ;   in Loop: Header=BB804_96 Depth=2
	global_load_b64 v[68:69], v[88:89], off offset:1024
.LBB804_109:                            ;   in Loop: Header=BB804_96 Depth=2
	;; [unrolled: 20-line block ×6, first 2 shown]
	s_wait_xcnt 0x0
	s_or_b32 exec_lo, exec_lo, s15
	s_delay_alu instid0(SALU_CYCLE_1)
	s_mov_b32 s15, exec_lo
	v_cmpx_gt_u32_e64 s57, v144
	s_cbranch_execz .LBB804_127
; %bb.126:                              ;   in Loop: Header=BB804_96 Depth=2
	global_load_b64 v[82:83], v[88:89], off offset:3328
.LBB804_127:                            ;   in Loop: Header=BB804_96 Depth=2
	s_wait_xcnt 0x0
	s_or_b32 exec_lo, exec_lo, s15
	s_wait_loadcnt 0x0
	v_mov_b64_e32 v[86:87], 0x7fffffffffffffff
	s_mov_b32 s15, exec_lo
	v_cmpx_gt_u32_e64 s57, v145
	s_cbranch_execz .LBB804_129
; %bb.128:                              ;   in Loop: Header=BB804_96 Depth=2
	global_load_b64 v[86:87], v[88:89], off offset:3584
.LBB804_129:                            ;   in Loop: Header=BB804_96 Depth=2
	s_wait_xcnt 0x0
	s_or_b32 exec_lo, exec_lo, s15
	v_cmp_gt_u32_e64 s15, s57, v146
	s_sub_co_i32 s16, s51, s30
.LBB804_130:                            ;   in Loop: Header=BB804_96 Depth=2
	s_wait_xcnt 0x0
	v_mov_b64_e32 v[88:89], -1
	v_mov_b32_e32 v165, s57
	s_and_saveexec_b32 s17, s15
	s_cbranch_execz .LBB804_132
; %bb.131:                              ;   in Loop: Header=BB804_96 Depth=2
	v_lshl_add_u64 v[88:89], s[30:31], 3, v[24:25]
	v_mov_b32_e32 v165, s16
	global_load_b64 v[88:89], v[88:89], off offset:3840
	s_wait_loadcnt 0x0
	s_wait_xcnt 0x0
	v_xor_b32_e32 v89, 0x80000000, v89
.LBB804_132:                            ;   in Loop: Header=BB804_96 Depth=2
	s_or_b32 exec_lo, exec_lo, s17
	s_wait_loadcnt 0xe
	v_xor_b32_e32 v61, 0x80000000, v61
	v_add_nc_u32_e32 v169, 0x428, v120
	v_add_nc_u32_e32 v170, 0x430, v120
	s_delay_alu instid0(VALU_DEP_3) | instskip(NEXT) | instid1(VALU_DEP_1)
	v_lshrrev_b64 v[90:91], s48, v[60:61]
	v_bitop3_b32 v91, v90, 1, s56 bitop3:0x80
	v_and_b32_e32 v92, s56, v90
	s_delay_alu instid0(VALU_DEP_2) | instskip(NEXT) | instid1(VALU_DEP_1)
	v_add_co_u32 v90, s15, v91, -1
	v_cndmask_b32_e64 v91, 0, 1, s15
	s_delay_alu instid0(VALU_DEP_3) | instskip(NEXT) | instid1(VALU_DEP_2)
	v_lshlrev_b32_e32 v93, 30, v92
	v_cmp_ne_u32_e32 vcc_lo, 0, v91
	s_delay_alu instid0(VALU_DEP_2) | instskip(NEXT) | instid1(VALU_DEP_1)
	v_not_b32_e32 v91, v93
	v_dual_ashrrev_i32 v91, 31, v91 :: v_dual_bitop2_b32 v90, vcc_lo, v90 bitop3:0x14
	v_dual_lshlrev_b32 v94, 29, v92 :: v_dual_lshlrev_b32 v95, 28, v92
	v_dual_lshlrev_b32 v96, 27, v92 :: v_dual_lshlrev_b32 v97, 26, v92
	v_lshlrev_b32_e32 v166, 25, v92
	v_cmp_gt_i32_e64 s15, 0, v93
	s_delay_alu instid0(VALU_DEP_4)
	v_cmp_gt_i32_e64 s16, 0, v94
	v_not_b32_e32 v93, v94
	v_not_b32_e32 v94, v95
	v_lshlrev_b32_e32 v167, 24, v92
	v_cmp_gt_i32_e64 s17, 0, v95
	v_cmp_gt_i32_e64 s18, 0, v96
	v_not_b32_e32 v95, v96
	v_cmp_gt_i32_e64 s19, 0, v97
	v_not_b32_e32 v96, v97
	v_not_b32_e32 v97, v166
	v_dual_ashrrev_i32 v93, 31, v93 :: v_dual_ashrrev_i32 v94, 31, v94
	v_xor_b32_e32 v91, s15, v91
	v_not_b32_e32 v168, v167
	v_dual_ashrrev_i32 v95, 31, v95 :: v_dual_ashrrev_i32 v96, 31, v96
	s_delay_alu instid0(VALU_DEP_4) | instskip(SKIP_2) | instid1(VALU_DEP_4)
	v_xor_b32_e32 v93, s16, v93
	v_xor_b32_e32 v94, s17, v94
	v_bitop3_b32 v90, v90, v91, exec_lo bitop3:0x80
	v_xor_b32_e32 v95, s18, v95
	v_xor_b32_e32 v91, s19, v96
	v_cmp_gt_i32_e32 vcc_lo, 0, v166
	v_ashrrev_i32_e32 v96, 31, v97
	v_cmp_gt_i32_e64 s15, 0, v167
	v_ashrrev_i32_e32 v97, 31, v168
	v_bitop3_b32 v90, v90, v94, v93 bitop3:0x80
	v_add_nc_u32_e32 v167, 0x438, v120
	v_xor_b32_e32 v93, vcc_lo, v96
	v_add_nc_u32_e32 v168, 0x420, v120
	v_xor_b32_e32 v94, s15, v97
	v_bitop3_b32 v90, v90, v91, v95 bitop3:0x80
	v_mul_u32_u24_e32 v91, 36, v92
	ds_store_2addr_b32 v167, v5, v5 offset1:1
	ds_store_2addr_b32 v168, v5, v5 offset1:1
	;; [unrolled: 1-line block ×4, first 2 shown]
	ds_store_b32 v120, v5 offset:1088
	s_wait_loadcnt_dscnt 0x0
	v_bitop3_b32 v90, v90, v94, v93 bitop3:0x80
	v_add_nc_u32_e32 v171, v148, v91
	s_barrier_signal -1
	s_barrier_wait -1
	s_delay_alu instid0(VALU_DEP_2) | instskip(SKIP_1) | instid1(VALU_DEP_2)
	v_mbcnt_lo_u32_b32 v166, v90, 0
	v_cmp_ne_u32_e64 s15, 0, v90
	; wave barrier
	v_cmp_eq_u32_e32 vcc_lo, 0, v166
	s_and_b32 s16, s15, vcc_lo
	s_delay_alu instid0(SALU_CYCLE_1)
	s_and_saveexec_b32 s15, s16
; %bb.133:                              ;   in Loop: Header=BB804_96 Depth=2
	v_bcnt_u32_b32 v90, v90, 0
	ds_store_b32 v171, v90 offset:1056
; %bb.134:                              ;   in Loop: Header=BB804_96 Depth=2
	s_or_b32 exec_lo, exec_lo, s15
	v_xor_b32_e32 v59, 0x80000000, v59
	; wave barrier
	s_delay_alu instid0(VALU_DEP_1) | instskip(NEXT) | instid1(VALU_DEP_1)
	v_lshrrev_b64 v[90:91], s48, v[58:59]
	v_bitop3_b32 v91, v90, 1, s56 bitop3:0x80
	v_and_b32_e32 v92, s56, v90
	s_delay_alu instid0(VALU_DEP_2) | instskip(NEXT) | instid1(VALU_DEP_1)
	v_add_co_u32 v90, s15, v91, -1
	v_cndmask_b32_e64 v91, 0, 1, s15
	s_delay_alu instid0(VALU_DEP_3) | instskip(NEXT) | instid1(VALU_DEP_2)
	v_lshlrev_b32_e32 v93, 30, v92
	v_cmp_ne_u32_e32 vcc_lo, 0, v91
	s_delay_alu instid0(VALU_DEP_2) | instskip(NEXT) | instid1(VALU_DEP_1)
	v_not_b32_e32 v91, v93
	v_dual_ashrrev_i32 v91, 31, v91 :: v_dual_bitop2_b32 v90, vcc_lo, v90 bitop3:0x14
	v_dual_lshlrev_b32 v94, 29, v92 :: v_dual_lshlrev_b32 v95, 28, v92
	v_dual_lshlrev_b32 v96, 27, v92 :: v_dual_lshlrev_b32 v97, 26, v92
	v_lshlrev_b32_e32 v172, 25, v92
	v_cmp_gt_i32_e64 s15, 0, v93
	s_delay_alu instid0(VALU_DEP_4)
	v_cmp_gt_i32_e64 s16, 0, v94
	v_not_b32_e32 v93, v94
	v_not_b32_e32 v94, v95
	v_lshlrev_b32_e32 v173, 24, v92
	v_cmp_gt_i32_e64 s17, 0, v95
	v_cmp_gt_i32_e64 s18, 0, v96
	v_not_b32_e32 v95, v96
	v_cmp_gt_i32_e64 s19, 0, v97
	v_not_b32_e32 v96, v97
	v_not_b32_e32 v97, v172
	v_dual_ashrrev_i32 v93, 31, v93 :: v_dual_ashrrev_i32 v94, 31, v94
	v_xor_b32_e32 v91, s15, v91
	v_not_b32_e32 v174, v173
	v_dual_ashrrev_i32 v95, 31, v95 :: v_dual_ashrrev_i32 v96, 31, v96
	s_delay_alu instid0(VALU_DEP_4) | instskip(SKIP_2) | instid1(VALU_DEP_4)
	v_xor_b32_e32 v93, s16, v93
	v_xor_b32_e32 v94, s17, v94
	v_bitop3_b32 v90, v90, v91, exec_lo bitop3:0x80
	v_xor_b32_e32 v95, s18, v95
	v_xor_b32_e32 v91, s19, v96
	v_cmp_gt_i32_e32 vcc_lo, 0, v172
	v_ashrrev_i32_e32 v96, 31, v97
	v_cmp_gt_i32_e64 s15, 0, v173
	v_ashrrev_i32_e32 v97, 31, v174
	v_bitop3_b32 v90, v90, v94, v93 bitop3:0x80
	v_mad_u32_u24 v93, v92, 36, v148
	v_xor_b32_e32 v94, vcc_lo, v96
	s_delay_alu instid0(VALU_DEP_4) | instskip(NEXT) | instid1(VALU_DEP_4)
	v_xor_b32_e32 v96, s15, v97
	v_bitop3_b32 v90, v90, v91, v95 bitop3:0x80
	ds_load_b32 v172, v93 offset:1056
	v_mul_u32_u24_e32 v91, 36, v92
	; wave barrier
	v_bitop3_b32 v90, v90, v96, v94 bitop3:0x80
	s_delay_alu instid0(VALU_DEP_2) | instskip(NEXT) | instid1(VALU_DEP_2)
	v_add_nc_u32_e32 v174, v148, v91
	v_mbcnt_lo_u32_b32 v173, v90, 0
	v_cmp_ne_u32_e64 s15, 0, v90
	s_delay_alu instid0(VALU_DEP_2) | instskip(SKIP_1) | instid1(SALU_CYCLE_1)
	v_cmp_eq_u32_e32 vcc_lo, 0, v173
	s_and_b32 s16, s15, vcc_lo
	s_and_saveexec_b32 s15, s16
	s_cbranch_execz .LBB804_136
; %bb.135:                              ;   in Loop: Header=BB804_96 Depth=2
	s_wait_dscnt 0x0
	v_bcnt_u32_b32 v90, v90, v172
	ds_store_b32 v174, v90 offset:1056
.LBB804_136:                            ;   in Loop: Header=BB804_96 Depth=2
	s_or_b32 exec_lo, exec_lo, s15
	v_xor_b32_e32 v65, 0x80000000, v65
	; wave barrier
	s_delay_alu instid0(VALU_DEP_1) | instskip(NEXT) | instid1(VALU_DEP_1)
	v_lshrrev_b64 v[90:91], s48, v[64:65]
	v_bitop3_b32 v91, v90, 1, s56 bitop3:0x80
	v_and_b32_e32 v92, s56, v90
	s_delay_alu instid0(VALU_DEP_2) | instskip(NEXT) | instid1(VALU_DEP_1)
	v_add_co_u32 v90, s15, v91, -1
	v_cndmask_b32_e64 v91, 0, 1, s15
	s_delay_alu instid0(VALU_DEP_3) | instskip(NEXT) | instid1(VALU_DEP_2)
	v_lshlrev_b32_e32 v93, 30, v92
	v_cmp_ne_u32_e32 vcc_lo, 0, v91
	s_delay_alu instid0(VALU_DEP_2) | instskip(NEXT) | instid1(VALU_DEP_1)
	v_not_b32_e32 v91, v93
	v_dual_ashrrev_i32 v91, 31, v91 :: v_dual_bitop2_b32 v90, vcc_lo, v90 bitop3:0x14
	v_dual_lshlrev_b32 v94, 29, v92 :: v_dual_lshlrev_b32 v95, 28, v92
	v_dual_lshlrev_b32 v96, 27, v92 :: v_dual_lshlrev_b32 v97, 26, v92
	v_lshlrev_b32_e32 v175, 25, v92
	v_cmp_gt_i32_e64 s15, 0, v93
	s_delay_alu instid0(VALU_DEP_4)
	v_cmp_gt_i32_e64 s16, 0, v94
	v_not_b32_e32 v93, v94
	v_not_b32_e32 v94, v95
	v_lshlrev_b32_e32 v176, 24, v92
	v_cmp_gt_i32_e64 s17, 0, v95
	v_cmp_gt_i32_e64 s18, 0, v96
	v_not_b32_e32 v95, v96
	v_cmp_gt_i32_e64 s19, 0, v97
	v_not_b32_e32 v96, v97
	v_not_b32_e32 v97, v175
	v_dual_ashrrev_i32 v93, 31, v93 :: v_dual_ashrrev_i32 v94, 31, v94
	v_xor_b32_e32 v91, s15, v91
	v_not_b32_e32 v177, v176
	v_dual_ashrrev_i32 v95, 31, v95 :: v_dual_ashrrev_i32 v96, 31, v96
	s_delay_alu instid0(VALU_DEP_4) | instskip(SKIP_2) | instid1(VALU_DEP_4)
	v_xor_b32_e32 v93, s16, v93
	v_xor_b32_e32 v94, s17, v94
	v_bitop3_b32 v90, v90, v91, exec_lo bitop3:0x80
	v_xor_b32_e32 v95, s18, v95
	v_xor_b32_e32 v91, s19, v96
	v_cmp_gt_i32_e32 vcc_lo, 0, v175
	v_ashrrev_i32_e32 v96, 31, v97
	v_cmp_gt_i32_e64 s15, 0, v176
	v_ashrrev_i32_e32 v97, 31, v177
	v_bitop3_b32 v90, v90, v94, v93 bitop3:0x80
	v_mad_u32_u24 v93, v92, 36, v148
	v_xor_b32_e32 v94, vcc_lo, v96
	s_delay_alu instid0(VALU_DEP_4) | instskip(NEXT) | instid1(VALU_DEP_4)
	v_xor_b32_e32 v96, s15, v97
	v_bitop3_b32 v90, v90, v91, v95 bitop3:0x80
	ds_load_b32 v175, v93 offset:1056
	v_mul_u32_u24_e32 v91, 36, v92
	; wave barrier
	v_bitop3_b32 v90, v90, v96, v94 bitop3:0x80
	s_delay_alu instid0(VALU_DEP_2) | instskip(NEXT) | instid1(VALU_DEP_2)
	v_add_nc_u32_e32 v177, v148, v91
	v_mbcnt_lo_u32_b32 v176, v90, 0
	v_cmp_ne_u32_e64 s15, 0, v90
	s_delay_alu instid0(VALU_DEP_2) | instskip(SKIP_1) | instid1(SALU_CYCLE_1)
	v_cmp_eq_u32_e32 vcc_lo, 0, v176
	s_and_b32 s16, s15, vcc_lo
	s_and_saveexec_b32 s15, s16
	s_cbranch_execz .LBB804_138
; %bb.137:                              ;   in Loop: Header=BB804_96 Depth=2
	s_wait_dscnt 0x0
	v_bcnt_u32_b32 v90, v90, v175
	ds_store_b32 v177, v90 offset:1056
.LBB804_138:                            ;   in Loop: Header=BB804_96 Depth=2
	s_or_b32 exec_lo, exec_lo, s15
	v_xor_b32_e32 v63, 0x80000000, v63
	; wave barrier
	s_delay_alu instid0(VALU_DEP_1) | instskip(NEXT) | instid1(VALU_DEP_1)
	v_lshrrev_b64 v[90:91], s48, v[62:63]
	v_bitop3_b32 v91, v90, 1, s56 bitop3:0x80
	v_and_b32_e32 v92, s56, v90
	s_delay_alu instid0(VALU_DEP_2) | instskip(NEXT) | instid1(VALU_DEP_1)
	v_add_co_u32 v90, s15, v91, -1
	v_cndmask_b32_e64 v91, 0, 1, s15
	s_delay_alu instid0(VALU_DEP_3) | instskip(NEXT) | instid1(VALU_DEP_2)
	v_lshlrev_b32_e32 v93, 30, v92
	v_cmp_ne_u32_e32 vcc_lo, 0, v91
	s_delay_alu instid0(VALU_DEP_2) | instskip(NEXT) | instid1(VALU_DEP_1)
	v_not_b32_e32 v91, v93
	v_dual_ashrrev_i32 v91, 31, v91 :: v_dual_bitop2_b32 v90, vcc_lo, v90 bitop3:0x14
	v_dual_lshlrev_b32 v94, 29, v92 :: v_dual_lshlrev_b32 v95, 28, v92
	v_dual_lshlrev_b32 v96, 27, v92 :: v_dual_lshlrev_b32 v97, 26, v92
	v_lshlrev_b32_e32 v178, 25, v92
	v_cmp_gt_i32_e64 s15, 0, v93
	s_delay_alu instid0(VALU_DEP_4)
	v_cmp_gt_i32_e64 s16, 0, v94
	v_not_b32_e32 v93, v94
	v_not_b32_e32 v94, v95
	v_lshlrev_b32_e32 v179, 24, v92
	v_cmp_gt_i32_e64 s17, 0, v95
	v_cmp_gt_i32_e64 s18, 0, v96
	v_not_b32_e32 v95, v96
	v_cmp_gt_i32_e64 s19, 0, v97
	v_not_b32_e32 v96, v97
	v_not_b32_e32 v97, v178
	v_dual_ashrrev_i32 v93, 31, v93 :: v_dual_ashrrev_i32 v94, 31, v94
	v_xor_b32_e32 v91, s15, v91
	v_not_b32_e32 v180, v179
	v_dual_ashrrev_i32 v95, 31, v95 :: v_dual_ashrrev_i32 v96, 31, v96
	s_delay_alu instid0(VALU_DEP_4) | instskip(SKIP_2) | instid1(VALU_DEP_4)
	v_xor_b32_e32 v93, s16, v93
	v_xor_b32_e32 v94, s17, v94
	v_bitop3_b32 v90, v90, v91, exec_lo bitop3:0x80
	v_xor_b32_e32 v95, s18, v95
	v_xor_b32_e32 v91, s19, v96
	v_cmp_gt_i32_e32 vcc_lo, 0, v178
	v_ashrrev_i32_e32 v96, 31, v97
	v_cmp_gt_i32_e64 s15, 0, v179
	v_ashrrev_i32_e32 v97, 31, v180
	v_bitop3_b32 v90, v90, v94, v93 bitop3:0x80
	v_mad_u32_u24 v93, v92, 36, v148
	v_xor_b32_e32 v94, vcc_lo, v96
	s_delay_alu instid0(VALU_DEP_4) | instskip(NEXT) | instid1(VALU_DEP_4)
	v_xor_b32_e32 v96, s15, v97
	v_bitop3_b32 v90, v90, v91, v95 bitop3:0x80
	ds_load_b32 v178, v93 offset:1056
	v_mul_u32_u24_e32 v91, 36, v92
	; wave barrier
	v_bitop3_b32 v90, v90, v96, v94 bitop3:0x80
	s_delay_alu instid0(VALU_DEP_2) | instskip(NEXT) | instid1(VALU_DEP_2)
	v_add_nc_u32_e32 v180, v148, v91
	v_mbcnt_lo_u32_b32 v179, v90, 0
	v_cmp_ne_u32_e64 s15, 0, v90
	s_delay_alu instid0(VALU_DEP_2) | instskip(SKIP_1) | instid1(SALU_CYCLE_1)
	v_cmp_eq_u32_e32 vcc_lo, 0, v179
	s_and_b32 s16, s15, vcc_lo
	s_and_saveexec_b32 s15, s16
	s_cbranch_execz .LBB804_140
; %bb.139:                              ;   in Loop: Header=BB804_96 Depth=2
	s_wait_dscnt 0x0
	v_bcnt_u32_b32 v90, v90, v178
	ds_store_b32 v180, v90 offset:1056
.LBB804_140:                            ;   in Loop: Header=BB804_96 Depth=2
	s_or_b32 exec_lo, exec_lo, s15
	v_xor_b32_e32 v69, 0x80000000, v69
	; wave barrier
	s_delay_alu instid0(VALU_DEP_1) | instskip(NEXT) | instid1(VALU_DEP_1)
	v_lshrrev_b64 v[90:91], s48, v[68:69]
	v_bitop3_b32 v91, v90, 1, s56 bitop3:0x80
	v_and_b32_e32 v92, s56, v90
	s_delay_alu instid0(VALU_DEP_2) | instskip(NEXT) | instid1(VALU_DEP_1)
	v_add_co_u32 v90, s15, v91, -1
	v_cndmask_b32_e64 v91, 0, 1, s15
	s_delay_alu instid0(VALU_DEP_3) | instskip(NEXT) | instid1(VALU_DEP_2)
	v_lshlrev_b32_e32 v93, 30, v92
	v_cmp_ne_u32_e32 vcc_lo, 0, v91
	s_delay_alu instid0(VALU_DEP_2) | instskip(NEXT) | instid1(VALU_DEP_1)
	v_not_b32_e32 v91, v93
	v_dual_ashrrev_i32 v91, 31, v91 :: v_dual_bitop2_b32 v90, vcc_lo, v90 bitop3:0x14
	v_dual_lshlrev_b32 v94, 29, v92 :: v_dual_lshlrev_b32 v95, 28, v92
	v_dual_lshlrev_b32 v96, 27, v92 :: v_dual_lshlrev_b32 v97, 26, v92
	v_lshlrev_b32_e32 v181, 25, v92
	v_cmp_gt_i32_e64 s15, 0, v93
	s_delay_alu instid0(VALU_DEP_4)
	v_cmp_gt_i32_e64 s16, 0, v94
	v_not_b32_e32 v93, v94
	v_not_b32_e32 v94, v95
	v_lshlrev_b32_e32 v182, 24, v92
	v_cmp_gt_i32_e64 s17, 0, v95
	v_cmp_gt_i32_e64 s18, 0, v96
	v_not_b32_e32 v95, v96
	v_cmp_gt_i32_e64 s19, 0, v97
	v_not_b32_e32 v96, v97
	v_not_b32_e32 v97, v181
	v_dual_ashrrev_i32 v93, 31, v93 :: v_dual_ashrrev_i32 v94, 31, v94
	v_xor_b32_e32 v91, s15, v91
	v_not_b32_e32 v183, v182
	v_dual_ashrrev_i32 v95, 31, v95 :: v_dual_ashrrev_i32 v96, 31, v96
	s_delay_alu instid0(VALU_DEP_4) | instskip(SKIP_2) | instid1(VALU_DEP_4)
	v_xor_b32_e32 v93, s16, v93
	v_xor_b32_e32 v94, s17, v94
	v_bitop3_b32 v90, v90, v91, exec_lo bitop3:0x80
	v_xor_b32_e32 v95, s18, v95
	v_xor_b32_e32 v91, s19, v96
	v_cmp_gt_i32_e32 vcc_lo, 0, v181
	v_ashrrev_i32_e32 v96, 31, v97
	v_cmp_gt_i32_e64 s15, 0, v182
	v_ashrrev_i32_e32 v97, 31, v183
	v_bitop3_b32 v90, v90, v94, v93 bitop3:0x80
	v_mad_u32_u24 v93, v92, 36, v148
	v_xor_b32_e32 v94, vcc_lo, v96
	s_delay_alu instid0(VALU_DEP_4) | instskip(NEXT) | instid1(VALU_DEP_4)
	v_xor_b32_e32 v96, s15, v97
	v_bitop3_b32 v90, v90, v91, v95 bitop3:0x80
	ds_load_b32 v181, v93 offset:1056
	v_mul_u32_u24_e32 v91, 36, v92
	; wave barrier
	v_bitop3_b32 v90, v90, v96, v94 bitop3:0x80
	s_delay_alu instid0(VALU_DEP_2) | instskip(NEXT) | instid1(VALU_DEP_2)
	v_add_nc_u32_e32 v183, v148, v91
	v_mbcnt_lo_u32_b32 v182, v90, 0
	v_cmp_ne_u32_e64 s15, 0, v90
	s_delay_alu instid0(VALU_DEP_2) | instskip(SKIP_1) | instid1(SALU_CYCLE_1)
	v_cmp_eq_u32_e32 vcc_lo, 0, v182
	s_and_b32 s16, s15, vcc_lo
	s_and_saveexec_b32 s15, s16
	s_cbranch_execz .LBB804_142
; %bb.141:                              ;   in Loop: Header=BB804_96 Depth=2
	s_wait_dscnt 0x0
	v_bcnt_u32_b32 v90, v90, v181
	ds_store_b32 v183, v90 offset:1056
.LBB804_142:                            ;   in Loop: Header=BB804_96 Depth=2
	s_or_b32 exec_lo, exec_lo, s15
	v_xor_b32_e32 v67, 0x80000000, v67
	; wave barrier
	s_delay_alu instid0(VALU_DEP_1) | instskip(NEXT) | instid1(VALU_DEP_1)
	v_lshrrev_b64 v[90:91], s48, v[66:67]
	v_bitop3_b32 v91, v90, 1, s56 bitop3:0x80
	v_and_b32_e32 v92, s56, v90
	s_delay_alu instid0(VALU_DEP_2) | instskip(NEXT) | instid1(VALU_DEP_1)
	v_add_co_u32 v90, s15, v91, -1
	v_cndmask_b32_e64 v91, 0, 1, s15
	s_delay_alu instid0(VALU_DEP_3) | instskip(NEXT) | instid1(VALU_DEP_2)
	v_lshlrev_b32_e32 v93, 30, v92
	v_cmp_ne_u32_e32 vcc_lo, 0, v91
	s_delay_alu instid0(VALU_DEP_2) | instskip(NEXT) | instid1(VALU_DEP_1)
	v_not_b32_e32 v91, v93
	v_dual_ashrrev_i32 v91, 31, v91 :: v_dual_bitop2_b32 v90, vcc_lo, v90 bitop3:0x14
	v_dual_lshlrev_b32 v94, 29, v92 :: v_dual_lshlrev_b32 v95, 28, v92
	v_dual_lshlrev_b32 v96, 27, v92 :: v_dual_lshlrev_b32 v97, 26, v92
	v_lshlrev_b32_e32 v184, 25, v92
	v_cmp_gt_i32_e64 s15, 0, v93
	s_delay_alu instid0(VALU_DEP_4)
	v_cmp_gt_i32_e64 s16, 0, v94
	v_not_b32_e32 v93, v94
	v_not_b32_e32 v94, v95
	v_lshlrev_b32_e32 v185, 24, v92
	v_cmp_gt_i32_e64 s17, 0, v95
	v_cmp_gt_i32_e64 s18, 0, v96
	v_not_b32_e32 v95, v96
	v_cmp_gt_i32_e64 s19, 0, v97
	v_not_b32_e32 v96, v97
	v_not_b32_e32 v97, v184
	v_dual_ashrrev_i32 v93, 31, v93 :: v_dual_ashrrev_i32 v94, 31, v94
	v_xor_b32_e32 v91, s15, v91
	v_not_b32_e32 v186, v185
	v_dual_ashrrev_i32 v95, 31, v95 :: v_dual_ashrrev_i32 v96, 31, v96
	s_delay_alu instid0(VALU_DEP_4) | instskip(SKIP_2) | instid1(VALU_DEP_4)
	v_xor_b32_e32 v93, s16, v93
	v_xor_b32_e32 v94, s17, v94
	v_bitop3_b32 v90, v90, v91, exec_lo bitop3:0x80
	v_xor_b32_e32 v95, s18, v95
	v_xor_b32_e32 v91, s19, v96
	v_cmp_gt_i32_e32 vcc_lo, 0, v184
	v_ashrrev_i32_e32 v96, 31, v97
	v_cmp_gt_i32_e64 s15, 0, v185
	v_ashrrev_i32_e32 v97, 31, v186
	v_bitop3_b32 v90, v90, v94, v93 bitop3:0x80
	v_mad_u32_u24 v93, v92, 36, v148
	v_xor_b32_e32 v94, vcc_lo, v96
	s_delay_alu instid0(VALU_DEP_4) | instskip(NEXT) | instid1(VALU_DEP_4)
	v_xor_b32_e32 v96, s15, v97
	v_bitop3_b32 v90, v90, v91, v95 bitop3:0x80
	ds_load_b32 v184, v93 offset:1056
	v_mul_u32_u24_e32 v91, 36, v92
	; wave barrier
	v_bitop3_b32 v90, v90, v96, v94 bitop3:0x80
	s_delay_alu instid0(VALU_DEP_2) | instskip(NEXT) | instid1(VALU_DEP_2)
	v_add_nc_u32_e32 v186, v148, v91
	v_mbcnt_lo_u32_b32 v185, v90, 0
	v_cmp_ne_u32_e64 s15, 0, v90
	s_delay_alu instid0(VALU_DEP_2) | instskip(SKIP_1) | instid1(SALU_CYCLE_1)
	v_cmp_eq_u32_e32 vcc_lo, 0, v185
	s_and_b32 s16, s15, vcc_lo
	s_and_saveexec_b32 s15, s16
	s_cbranch_execz .LBB804_144
; %bb.143:                              ;   in Loop: Header=BB804_96 Depth=2
	s_wait_dscnt 0x0
	v_bcnt_u32_b32 v90, v90, v184
	ds_store_b32 v186, v90 offset:1056
.LBB804_144:                            ;   in Loop: Header=BB804_96 Depth=2
	s_or_b32 exec_lo, exec_lo, s15
	v_xor_b32_e32 v73, 0x80000000, v73
	; wave barrier
	s_delay_alu instid0(VALU_DEP_1) | instskip(NEXT) | instid1(VALU_DEP_1)
	v_lshrrev_b64 v[90:91], s48, v[72:73]
	v_bitop3_b32 v91, v90, 1, s56 bitop3:0x80
	v_and_b32_e32 v92, s56, v90
	s_delay_alu instid0(VALU_DEP_2) | instskip(NEXT) | instid1(VALU_DEP_1)
	v_add_co_u32 v90, s15, v91, -1
	v_cndmask_b32_e64 v91, 0, 1, s15
	s_delay_alu instid0(VALU_DEP_3) | instskip(NEXT) | instid1(VALU_DEP_2)
	v_lshlrev_b32_e32 v93, 30, v92
	v_cmp_ne_u32_e32 vcc_lo, 0, v91
	s_delay_alu instid0(VALU_DEP_2) | instskip(NEXT) | instid1(VALU_DEP_1)
	v_not_b32_e32 v91, v93
	v_dual_ashrrev_i32 v91, 31, v91 :: v_dual_bitop2_b32 v90, vcc_lo, v90 bitop3:0x14
	v_dual_lshlrev_b32 v94, 29, v92 :: v_dual_lshlrev_b32 v95, 28, v92
	v_dual_lshlrev_b32 v96, 27, v92 :: v_dual_lshlrev_b32 v97, 26, v92
	v_lshlrev_b32_e32 v187, 25, v92
	v_cmp_gt_i32_e64 s15, 0, v93
	s_delay_alu instid0(VALU_DEP_4)
	v_cmp_gt_i32_e64 s16, 0, v94
	v_not_b32_e32 v93, v94
	v_not_b32_e32 v94, v95
	v_lshlrev_b32_e32 v188, 24, v92
	v_cmp_gt_i32_e64 s17, 0, v95
	v_cmp_gt_i32_e64 s18, 0, v96
	v_not_b32_e32 v95, v96
	v_cmp_gt_i32_e64 s19, 0, v97
	v_not_b32_e32 v96, v97
	v_not_b32_e32 v97, v187
	v_dual_ashrrev_i32 v93, 31, v93 :: v_dual_ashrrev_i32 v94, 31, v94
	v_xor_b32_e32 v91, s15, v91
	v_not_b32_e32 v189, v188
	v_dual_ashrrev_i32 v95, 31, v95 :: v_dual_ashrrev_i32 v96, 31, v96
	s_delay_alu instid0(VALU_DEP_4) | instskip(SKIP_2) | instid1(VALU_DEP_4)
	v_xor_b32_e32 v93, s16, v93
	v_xor_b32_e32 v94, s17, v94
	v_bitop3_b32 v90, v90, v91, exec_lo bitop3:0x80
	v_xor_b32_e32 v95, s18, v95
	v_xor_b32_e32 v91, s19, v96
	v_cmp_gt_i32_e32 vcc_lo, 0, v187
	v_ashrrev_i32_e32 v96, 31, v97
	v_cmp_gt_i32_e64 s15, 0, v188
	v_ashrrev_i32_e32 v97, 31, v189
	v_bitop3_b32 v90, v90, v94, v93 bitop3:0x80
	v_mad_u32_u24 v93, v92, 36, v148
	v_xor_b32_e32 v94, vcc_lo, v96
	s_delay_alu instid0(VALU_DEP_4) | instskip(NEXT) | instid1(VALU_DEP_4)
	v_xor_b32_e32 v96, s15, v97
	v_bitop3_b32 v90, v90, v91, v95 bitop3:0x80
	ds_load_b32 v187, v93 offset:1056
	v_mul_u32_u24_e32 v91, 36, v92
	; wave barrier
	v_bitop3_b32 v90, v90, v96, v94 bitop3:0x80
	s_delay_alu instid0(VALU_DEP_2) | instskip(NEXT) | instid1(VALU_DEP_2)
	v_add_nc_u32_e32 v189, v148, v91
	v_mbcnt_lo_u32_b32 v188, v90, 0
	v_cmp_ne_u32_e64 s15, 0, v90
	s_delay_alu instid0(VALU_DEP_2) | instskip(SKIP_1) | instid1(SALU_CYCLE_1)
	v_cmp_eq_u32_e32 vcc_lo, 0, v188
	s_and_b32 s16, s15, vcc_lo
	s_and_saveexec_b32 s15, s16
	s_cbranch_execz .LBB804_146
; %bb.145:                              ;   in Loop: Header=BB804_96 Depth=2
	s_wait_dscnt 0x0
	v_bcnt_u32_b32 v90, v90, v187
	ds_store_b32 v189, v90 offset:1056
.LBB804_146:                            ;   in Loop: Header=BB804_96 Depth=2
	s_or_b32 exec_lo, exec_lo, s15
	v_xor_b32_e32 v71, 0x80000000, v71
	; wave barrier
	s_delay_alu instid0(VALU_DEP_1) | instskip(NEXT) | instid1(VALU_DEP_1)
	v_lshrrev_b64 v[90:91], s48, v[70:71]
	v_bitop3_b32 v91, v90, 1, s56 bitop3:0x80
	v_and_b32_e32 v92, s56, v90
	s_delay_alu instid0(VALU_DEP_2) | instskip(NEXT) | instid1(VALU_DEP_1)
	v_add_co_u32 v90, s15, v91, -1
	v_cndmask_b32_e64 v91, 0, 1, s15
	s_delay_alu instid0(VALU_DEP_3) | instskip(NEXT) | instid1(VALU_DEP_2)
	v_lshlrev_b32_e32 v93, 30, v92
	v_cmp_ne_u32_e32 vcc_lo, 0, v91
	s_delay_alu instid0(VALU_DEP_2) | instskip(NEXT) | instid1(VALU_DEP_1)
	v_not_b32_e32 v91, v93
	v_dual_ashrrev_i32 v91, 31, v91 :: v_dual_bitop2_b32 v90, vcc_lo, v90 bitop3:0x14
	v_dual_lshlrev_b32 v94, 29, v92 :: v_dual_lshlrev_b32 v95, 28, v92
	v_dual_lshlrev_b32 v96, 27, v92 :: v_dual_lshlrev_b32 v97, 26, v92
	v_lshlrev_b32_e32 v190, 25, v92
	v_cmp_gt_i32_e64 s15, 0, v93
	s_delay_alu instid0(VALU_DEP_4)
	v_cmp_gt_i32_e64 s16, 0, v94
	v_not_b32_e32 v93, v94
	v_not_b32_e32 v94, v95
	v_lshlrev_b32_e32 v191, 24, v92
	v_cmp_gt_i32_e64 s17, 0, v95
	v_cmp_gt_i32_e64 s18, 0, v96
	v_not_b32_e32 v95, v96
	v_cmp_gt_i32_e64 s19, 0, v97
	v_not_b32_e32 v96, v97
	v_not_b32_e32 v97, v190
	v_dual_ashrrev_i32 v93, 31, v93 :: v_dual_ashrrev_i32 v94, 31, v94
	v_xor_b32_e32 v91, s15, v91
	v_not_b32_e32 v192, v191
	v_dual_ashrrev_i32 v95, 31, v95 :: v_dual_ashrrev_i32 v96, 31, v96
	s_delay_alu instid0(VALU_DEP_4) | instskip(SKIP_2) | instid1(VALU_DEP_4)
	v_xor_b32_e32 v93, s16, v93
	v_xor_b32_e32 v94, s17, v94
	v_bitop3_b32 v90, v90, v91, exec_lo bitop3:0x80
	v_xor_b32_e32 v95, s18, v95
	v_xor_b32_e32 v91, s19, v96
	v_cmp_gt_i32_e32 vcc_lo, 0, v190
	v_ashrrev_i32_e32 v96, 31, v97
	v_cmp_gt_i32_e64 s15, 0, v191
	v_ashrrev_i32_e32 v97, 31, v192
	v_bitop3_b32 v90, v90, v94, v93 bitop3:0x80
	v_mad_u32_u24 v93, v92, 36, v148
	v_xor_b32_e32 v94, vcc_lo, v96
	s_delay_alu instid0(VALU_DEP_4) | instskip(NEXT) | instid1(VALU_DEP_4)
	v_xor_b32_e32 v96, s15, v97
	v_bitop3_b32 v90, v90, v91, v95 bitop3:0x80
	ds_load_b32 v190, v93 offset:1056
	v_mul_u32_u24_e32 v91, 36, v92
	; wave barrier
	v_bitop3_b32 v90, v90, v96, v94 bitop3:0x80
	s_delay_alu instid0(VALU_DEP_2) | instskip(NEXT) | instid1(VALU_DEP_2)
	v_add_nc_u32_e32 v192, v148, v91
	v_mbcnt_lo_u32_b32 v191, v90, 0
	v_cmp_ne_u32_e64 s15, 0, v90
	s_delay_alu instid0(VALU_DEP_2) | instskip(SKIP_1) | instid1(SALU_CYCLE_1)
	v_cmp_eq_u32_e32 vcc_lo, 0, v191
	s_and_b32 s16, s15, vcc_lo
	s_and_saveexec_b32 s15, s16
	s_cbranch_execz .LBB804_148
; %bb.147:                              ;   in Loop: Header=BB804_96 Depth=2
	s_wait_dscnt 0x0
	v_bcnt_u32_b32 v90, v90, v190
	ds_store_b32 v192, v90 offset:1056
.LBB804_148:                            ;   in Loop: Header=BB804_96 Depth=2
	s_or_b32 exec_lo, exec_lo, s15
	v_xor_b32_e32 v77, 0x80000000, v77
	; wave barrier
	s_delay_alu instid0(VALU_DEP_1) | instskip(NEXT) | instid1(VALU_DEP_1)
	v_lshrrev_b64 v[90:91], s48, v[76:77]
	v_bitop3_b32 v91, v90, 1, s56 bitop3:0x80
	v_and_b32_e32 v92, s56, v90
	s_delay_alu instid0(VALU_DEP_2) | instskip(NEXT) | instid1(VALU_DEP_1)
	v_add_co_u32 v90, s15, v91, -1
	v_cndmask_b32_e64 v91, 0, 1, s15
	s_delay_alu instid0(VALU_DEP_3) | instskip(NEXT) | instid1(VALU_DEP_2)
	v_lshlrev_b32_e32 v93, 30, v92
	v_cmp_ne_u32_e32 vcc_lo, 0, v91
	s_delay_alu instid0(VALU_DEP_2) | instskip(NEXT) | instid1(VALU_DEP_1)
	v_not_b32_e32 v91, v93
	v_dual_ashrrev_i32 v91, 31, v91 :: v_dual_bitop2_b32 v90, vcc_lo, v90 bitop3:0x14
	v_dual_lshlrev_b32 v94, 29, v92 :: v_dual_lshlrev_b32 v95, 28, v92
	v_dual_lshlrev_b32 v96, 27, v92 :: v_dual_lshlrev_b32 v97, 26, v92
	v_lshlrev_b32_e32 v193, 25, v92
	v_cmp_gt_i32_e64 s15, 0, v93
	s_delay_alu instid0(VALU_DEP_4)
	v_cmp_gt_i32_e64 s16, 0, v94
	v_not_b32_e32 v93, v94
	v_not_b32_e32 v94, v95
	v_lshlrev_b32_e32 v194, 24, v92
	v_cmp_gt_i32_e64 s17, 0, v95
	v_cmp_gt_i32_e64 s18, 0, v96
	v_not_b32_e32 v95, v96
	v_cmp_gt_i32_e64 s19, 0, v97
	v_not_b32_e32 v96, v97
	v_not_b32_e32 v97, v193
	v_dual_ashrrev_i32 v93, 31, v93 :: v_dual_ashrrev_i32 v94, 31, v94
	v_xor_b32_e32 v91, s15, v91
	v_not_b32_e32 v195, v194
	v_dual_ashrrev_i32 v95, 31, v95 :: v_dual_ashrrev_i32 v96, 31, v96
	s_delay_alu instid0(VALU_DEP_4) | instskip(SKIP_2) | instid1(VALU_DEP_4)
	v_xor_b32_e32 v93, s16, v93
	v_xor_b32_e32 v94, s17, v94
	v_bitop3_b32 v90, v90, v91, exec_lo bitop3:0x80
	v_xor_b32_e32 v95, s18, v95
	v_xor_b32_e32 v91, s19, v96
	v_cmp_gt_i32_e32 vcc_lo, 0, v193
	v_ashrrev_i32_e32 v96, 31, v97
	v_cmp_gt_i32_e64 s15, 0, v194
	v_ashrrev_i32_e32 v97, 31, v195
	v_bitop3_b32 v90, v90, v94, v93 bitop3:0x80
	v_mad_u32_u24 v93, v92, 36, v148
	v_xor_b32_e32 v94, vcc_lo, v96
	s_delay_alu instid0(VALU_DEP_4) | instskip(NEXT) | instid1(VALU_DEP_4)
	v_xor_b32_e32 v96, s15, v97
	v_bitop3_b32 v90, v90, v91, v95 bitop3:0x80
	ds_load_b32 v193, v93 offset:1056
	v_mul_u32_u24_e32 v91, 36, v92
	; wave barrier
	v_bitop3_b32 v90, v90, v96, v94 bitop3:0x80
	s_delay_alu instid0(VALU_DEP_2) | instskip(NEXT) | instid1(VALU_DEP_2)
	v_add_nc_u32_e32 v195, v148, v91
	v_mbcnt_lo_u32_b32 v194, v90, 0
	v_cmp_ne_u32_e64 s15, 0, v90
	s_delay_alu instid0(VALU_DEP_2) | instskip(SKIP_1) | instid1(SALU_CYCLE_1)
	v_cmp_eq_u32_e32 vcc_lo, 0, v194
	s_and_b32 s16, s15, vcc_lo
	s_and_saveexec_b32 s15, s16
	s_cbranch_execz .LBB804_150
; %bb.149:                              ;   in Loop: Header=BB804_96 Depth=2
	s_wait_dscnt 0x0
	v_bcnt_u32_b32 v90, v90, v193
	ds_store_b32 v195, v90 offset:1056
.LBB804_150:                            ;   in Loop: Header=BB804_96 Depth=2
	s_or_b32 exec_lo, exec_lo, s15
	v_xor_b32_e32 v75, 0x80000000, v75
	; wave barrier
	s_delay_alu instid0(VALU_DEP_1) | instskip(NEXT) | instid1(VALU_DEP_1)
	v_lshrrev_b64 v[90:91], s48, v[74:75]
	v_bitop3_b32 v91, v90, 1, s56 bitop3:0x80
	v_and_b32_e32 v92, s56, v90
	s_delay_alu instid0(VALU_DEP_2) | instskip(NEXT) | instid1(VALU_DEP_1)
	v_add_co_u32 v90, s15, v91, -1
	v_cndmask_b32_e64 v91, 0, 1, s15
	s_delay_alu instid0(VALU_DEP_3) | instskip(NEXT) | instid1(VALU_DEP_2)
	v_lshlrev_b32_e32 v93, 30, v92
	v_cmp_ne_u32_e32 vcc_lo, 0, v91
	s_delay_alu instid0(VALU_DEP_2) | instskip(NEXT) | instid1(VALU_DEP_1)
	v_not_b32_e32 v91, v93
	v_dual_ashrrev_i32 v91, 31, v91 :: v_dual_bitop2_b32 v90, vcc_lo, v90 bitop3:0x14
	v_dual_lshlrev_b32 v94, 29, v92 :: v_dual_lshlrev_b32 v95, 28, v92
	v_dual_lshlrev_b32 v96, 27, v92 :: v_dual_lshlrev_b32 v97, 26, v92
	v_lshlrev_b32_e32 v196, 25, v92
	v_cmp_gt_i32_e64 s15, 0, v93
	s_delay_alu instid0(VALU_DEP_4)
	v_cmp_gt_i32_e64 s16, 0, v94
	v_not_b32_e32 v93, v94
	v_not_b32_e32 v94, v95
	v_lshlrev_b32_e32 v197, 24, v92
	v_cmp_gt_i32_e64 s17, 0, v95
	v_cmp_gt_i32_e64 s18, 0, v96
	v_not_b32_e32 v95, v96
	v_cmp_gt_i32_e64 s19, 0, v97
	v_not_b32_e32 v96, v97
	v_not_b32_e32 v97, v196
	v_dual_ashrrev_i32 v93, 31, v93 :: v_dual_ashrrev_i32 v94, 31, v94
	v_xor_b32_e32 v91, s15, v91
	v_not_b32_e32 v198, v197
	v_dual_ashrrev_i32 v95, 31, v95 :: v_dual_ashrrev_i32 v96, 31, v96
	s_delay_alu instid0(VALU_DEP_4) | instskip(SKIP_2) | instid1(VALU_DEP_4)
	v_xor_b32_e32 v93, s16, v93
	v_xor_b32_e32 v94, s17, v94
	v_bitop3_b32 v90, v90, v91, exec_lo bitop3:0x80
	v_xor_b32_e32 v95, s18, v95
	v_xor_b32_e32 v91, s19, v96
	v_cmp_gt_i32_e32 vcc_lo, 0, v196
	v_ashrrev_i32_e32 v96, 31, v97
	v_cmp_gt_i32_e64 s15, 0, v197
	v_ashrrev_i32_e32 v97, 31, v198
	v_bitop3_b32 v90, v90, v94, v93 bitop3:0x80
	v_mad_u32_u24 v93, v92, 36, v148
	v_xor_b32_e32 v94, vcc_lo, v96
	s_delay_alu instid0(VALU_DEP_4) | instskip(NEXT) | instid1(VALU_DEP_4)
	v_xor_b32_e32 v96, s15, v97
	v_bitop3_b32 v90, v90, v91, v95 bitop3:0x80
	ds_load_b32 v196, v93 offset:1056
	v_mul_u32_u24_e32 v91, 36, v92
	; wave barrier
	v_bitop3_b32 v90, v90, v96, v94 bitop3:0x80
	s_delay_alu instid0(VALU_DEP_2) | instskip(NEXT) | instid1(VALU_DEP_2)
	v_add_nc_u32_e32 v198, v148, v91
	v_mbcnt_lo_u32_b32 v197, v90, 0
	v_cmp_ne_u32_e64 s15, 0, v90
	s_delay_alu instid0(VALU_DEP_2) | instskip(SKIP_1) | instid1(SALU_CYCLE_1)
	v_cmp_eq_u32_e32 vcc_lo, 0, v197
	s_and_b32 s16, s15, vcc_lo
	s_and_saveexec_b32 s15, s16
	s_cbranch_execz .LBB804_152
; %bb.151:                              ;   in Loop: Header=BB804_96 Depth=2
	s_wait_dscnt 0x0
	v_bcnt_u32_b32 v90, v90, v196
	ds_store_b32 v198, v90 offset:1056
.LBB804_152:                            ;   in Loop: Header=BB804_96 Depth=2
	s_or_b32 exec_lo, exec_lo, s15
	v_xor_b32_e32 v81, 0x80000000, v81
	; wave barrier
	s_delay_alu instid0(VALU_DEP_1) | instskip(NEXT) | instid1(VALU_DEP_1)
	v_lshrrev_b64 v[90:91], s48, v[80:81]
	v_bitop3_b32 v91, v90, 1, s56 bitop3:0x80
	v_and_b32_e32 v92, s56, v90
	s_delay_alu instid0(VALU_DEP_2) | instskip(NEXT) | instid1(VALU_DEP_1)
	v_add_co_u32 v90, s15, v91, -1
	v_cndmask_b32_e64 v91, 0, 1, s15
	s_delay_alu instid0(VALU_DEP_3) | instskip(NEXT) | instid1(VALU_DEP_2)
	v_lshlrev_b32_e32 v93, 30, v92
	v_cmp_ne_u32_e32 vcc_lo, 0, v91
	s_delay_alu instid0(VALU_DEP_2) | instskip(NEXT) | instid1(VALU_DEP_1)
	v_not_b32_e32 v91, v93
	v_dual_ashrrev_i32 v91, 31, v91 :: v_dual_bitop2_b32 v90, vcc_lo, v90 bitop3:0x14
	v_dual_lshlrev_b32 v94, 29, v92 :: v_dual_lshlrev_b32 v95, 28, v92
	v_dual_lshlrev_b32 v96, 27, v92 :: v_dual_lshlrev_b32 v97, 26, v92
	v_lshlrev_b32_e32 v199, 25, v92
	v_cmp_gt_i32_e64 s15, 0, v93
	s_delay_alu instid0(VALU_DEP_4)
	v_cmp_gt_i32_e64 s16, 0, v94
	v_not_b32_e32 v93, v94
	v_not_b32_e32 v94, v95
	v_lshlrev_b32_e32 v200, 24, v92
	v_cmp_gt_i32_e64 s17, 0, v95
	v_cmp_gt_i32_e64 s18, 0, v96
	v_not_b32_e32 v95, v96
	v_cmp_gt_i32_e64 s19, 0, v97
	v_not_b32_e32 v96, v97
	v_not_b32_e32 v97, v199
	v_dual_ashrrev_i32 v93, 31, v93 :: v_dual_ashrrev_i32 v94, 31, v94
	v_xor_b32_e32 v91, s15, v91
	v_not_b32_e32 v201, v200
	v_dual_ashrrev_i32 v95, 31, v95 :: v_dual_ashrrev_i32 v96, 31, v96
	s_delay_alu instid0(VALU_DEP_4) | instskip(SKIP_2) | instid1(VALU_DEP_4)
	v_xor_b32_e32 v93, s16, v93
	v_xor_b32_e32 v94, s17, v94
	v_bitop3_b32 v90, v90, v91, exec_lo bitop3:0x80
	v_xor_b32_e32 v95, s18, v95
	v_xor_b32_e32 v91, s19, v96
	v_cmp_gt_i32_e32 vcc_lo, 0, v199
	v_ashrrev_i32_e32 v96, 31, v97
	v_cmp_gt_i32_e64 s15, 0, v200
	v_ashrrev_i32_e32 v97, 31, v201
	v_bitop3_b32 v90, v90, v94, v93 bitop3:0x80
	v_mad_u32_u24 v93, v92, 36, v148
	v_xor_b32_e32 v94, vcc_lo, v96
	s_delay_alu instid0(VALU_DEP_4) | instskip(NEXT) | instid1(VALU_DEP_4)
	v_xor_b32_e32 v96, s15, v97
	v_bitop3_b32 v90, v90, v91, v95 bitop3:0x80
	ds_load_b32 v199, v93 offset:1056
	v_mul_u32_u24_e32 v91, 36, v92
	; wave barrier
	v_bitop3_b32 v90, v90, v96, v94 bitop3:0x80
	s_delay_alu instid0(VALU_DEP_2) | instskip(NEXT) | instid1(VALU_DEP_2)
	v_add_nc_u32_e32 v202, v148, v91
	v_mbcnt_lo_u32_b32 v200, v90, 0
	v_cmp_ne_u32_e64 s15, 0, v90
	s_delay_alu instid0(VALU_DEP_2) | instskip(SKIP_1) | instid1(SALU_CYCLE_1)
	v_cmp_eq_u32_e32 vcc_lo, 0, v200
	s_and_b32 s16, s15, vcc_lo
	s_and_saveexec_b32 s15, s16
	s_cbranch_execz .LBB804_154
; %bb.153:                              ;   in Loop: Header=BB804_96 Depth=2
	s_wait_dscnt 0x0
	v_bcnt_u32_b32 v90, v90, v199
	ds_store_b32 v202, v90 offset:1056
.LBB804_154:                            ;   in Loop: Header=BB804_96 Depth=2
	s_or_b32 exec_lo, exec_lo, s15
	v_xor_b32_e32 v79, 0x80000000, v79
	; wave barrier
	s_delay_alu instid0(VALU_DEP_1) | instskip(NEXT) | instid1(VALU_DEP_1)
	v_lshrrev_b64 v[90:91], s48, v[78:79]
	v_bitop3_b32 v91, v90, 1, s56 bitop3:0x80
	v_and_b32_e32 v92, s56, v90
	s_delay_alu instid0(VALU_DEP_2) | instskip(NEXT) | instid1(VALU_DEP_1)
	v_add_co_u32 v90, s15, v91, -1
	v_cndmask_b32_e64 v91, 0, 1, s15
	s_delay_alu instid0(VALU_DEP_3) | instskip(NEXT) | instid1(VALU_DEP_2)
	v_lshlrev_b32_e32 v93, 30, v92
	v_cmp_ne_u32_e32 vcc_lo, 0, v91
	s_delay_alu instid0(VALU_DEP_2) | instskip(NEXT) | instid1(VALU_DEP_1)
	v_not_b32_e32 v91, v93
	v_dual_ashrrev_i32 v91, 31, v91 :: v_dual_bitop2_b32 v90, vcc_lo, v90 bitop3:0x14
	v_dual_lshlrev_b32 v94, 29, v92 :: v_dual_lshlrev_b32 v95, 28, v92
	v_dual_lshlrev_b32 v96, 27, v92 :: v_dual_lshlrev_b32 v97, 26, v92
	v_lshlrev_b32_e32 v201, 25, v92
	v_cmp_gt_i32_e64 s15, 0, v93
	s_delay_alu instid0(VALU_DEP_4)
	v_cmp_gt_i32_e64 s16, 0, v94
	v_not_b32_e32 v93, v94
	v_not_b32_e32 v94, v95
	v_lshlrev_b32_e32 v203, 24, v92
	v_cmp_gt_i32_e64 s17, 0, v95
	v_cmp_gt_i32_e64 s18, 0, v96
	v_not_b32_e32 v95, v96
	v_cmp_gt_i32_e64 s19, 0, v97
	v_not_b32_e32 v96, v97
	v_not_b32_e32 v97, v201
	v_dual_ashrrev_i32 v93, 31, v93 :: v_dual_ashrrev_i32 v94, 31, v94
	v_xor_b32_e32 v91, s15, v91
	v_not_b32_e32 v204, v203
	v_dual_ashrrev_i32 v95, 31, v95 :: v_dual_ashrrev_i32 v96, 31, v96
	s_delay_alu instid0(VALU_DEP_4) | instskip(SKIP_2) | instid1(VALU_DEP_4)
	v_xor_b32_e32 v93, s16, v93
	v_xor_b32_e32 v94, s17, v94
	v_bitop3_b32 v90, v90, v91, exec_lo bitop3:0x80
	v_xor_b32_e32 v95, s18, v95
	v_xor_b32_e32 v91, s19, v96
	v_cmp_gt_i32_e32 vcc_lo, 0, v201
	v_ashrrev_i32_e32 v96, 31, v97
	v_cmp_gt_i32_e64 s15, 0, v203
	v_ashrrev_i32_e32 v97, 31, v204
	v_bitop3_b32 v90, v90, v94, v93 bitop3:0x80
	v_mad_u32_u24 v93, v92, 36, v148
	v_xor_b32_e32 v94, vcc_lo, v96
	s_delay_alu instid0(VALU_DEP_4) | instskip(NEXT) | instid1(VALU_DEP_4)
	v_xor_b32_e32 v96, s15, v97
	v_bitop3_b32 v90, v90, v91, v95 bitop3:0x80
	ds_load_b32 v201, v93 offset:1056
	v_mul_u32_u24_e32 v91, 36, v92
	; wave barrier
	v_bitop3_b32 v90, v90, v96, v94 bitop3:0x80
	s_delay_alu instid0(VALU_DEP_2) | instskip(NEXT) | instid1(VALU_DEP_2)
	v_add_nc_u32_e32 v206, v148, v91
	v_mbcnt_lo_u32_b32 v203, v90, 0
	v_cmp_ne_u32_e64 s15, 0, v90
	s_delay_alu instid0(VALU_DEP_2) | instskip(SKIP_1) | instid1(SALU_CYCLE_1)
	v_cmp_eq_u32_e32 vcc_lo, 0, v203
	s_and_b32 s16, s15, vcc_lo
	s_and_saveexec_b32 s15, s16
	s_cbranch_execz .LBB804_156
; %bb.155:                              ;   in Loop: Header=BB804_96 Depth=2
	s_wait_dscnt 0x0
	v_bcnt_u32_b32 v90, v90, v201
	ds_store_b32 v206, v90 offset:1056
.LBB804_156:                            ;   in Loop: Header=BB804_96 Depth=2
	s_or_b32 exec_lo, exec_lo, s15
	v_xor_b32_e32 v85, 0x80000000, v85
	; wave barrier
	s_delay_alu instid0(VALU_DEP_1) | instskip(NEXT) | instid1(VALU_DEP_1)
	v_lshrrev_b64 v[90:91], s48, v[84:85]
	v_bitop3_b32 v91, v90, 1, s56 bitop3:0x80
	v_and_b32_e32 v92, s56, v90
	s_delay_alu instid0(VALU_DEP_2) | instskip(NEXT) | instid1(VALU_DEP_1)
	v_add_co_u32 v90, s15, v91, -1
	v_cndmask_b32_e64 v91, 0, 1, s15
	s_delay_alu instid0(VALU_DEP_3) | instskip(NEXT) | instid1(VALU_DEP_2)
	v_lshlrev_b32_e32 v93, 30, v92
	v_cmp_ne_u32_e32 vcc_lo, 0, v91
	s_delay_alu instid0(VALU_DEP_2) | instskip(NEXT) | instid1(VALU_DEP_1)
	v_not_b32_e32 v91, v93
	v_dual_ashrrev_i32 v91, 31, v91 :: v_dual_bitop2_b32 v90, vcc_lo, v90 bitop3:0x14
	v_dual_lshlrev_b32 v94, 29, v92 :: v_dual_lshlrev_b32 v95, 28, v92
	v_dual_lshlrev_b32 v96, 27, v92 :: v_dual_lshlrev_b32 v97, 26, v92
	v_lshlrev_b32_e32 v204, 25, v92
	v_cmp_gt_i32_e64 s15, 0, v93
	s_delay_alu instid0(VALU_DEP_4)
	v_cmp_gt_i32_e64 s16, 0, v94
	v_not_b32_e32 v93, v94
	v_not_b32_e32 v94, v95
	v_lshlrev_b32_e32 v205, 24, v92
	v_cmp_gt_i32_e64 s17, 0, v95
	v_cmp_gt_i32_e64 s18, 0, v96
	v_not_b32_e32 v95, v96
	v_cmp_gt_i32_e64 s19, 0, v97
	v_not_b32_e32 v96, v97
	v_not_b32_e32 v97, v204
	v_dual_ashrrev_i32 v93, 31, v93 :: v_dual_ashrrev_i32 v94, 31, v94
	v_xor_b32_e32 v91, s15, v91
	v_not_b32_e32 v207, v205
	v_dual_ashrrev_i32 v95, 31, v95 :: v_dual_ashrrev_i32 v96, 31, v96
	s_delay_alu instid0(VALU_DEP_4) | instskip(SKIP_2) | instid1(VALU_DEP_4)
	v_xor_b32_e32 v93, s16, v93
	v_xor_b32_e32 v94, s17, v94
	v_bitop3_b32 v90, v90, v91, exec_lo bitop3:0x80
	v_xor_b32_e32 v95, s18, v95
	v_xor_b32_e32 v91, s19, v96
	v_cmp_gt_i32_e32 vcc_lo, 0, v204
	v_ashrrev_i32_e32 v96, 31, v97
	v_cmp_gt_i32_e64 s15, 0, v205
	v_ashrrev_i32_e32 v97, 31, v207
	v_bitop3_b32 v90, v90, v94, v93 bitop3:0x80
	v_mad_u32_u24 v93, v92, 36, v148
	v_xor_b32_e32 v94, vcc_lo, v96
	s_delay_alu instid0(VALU_DEP_4) | instskip(NEXT) | instid1(VALU_DEP_4)
	v_xor_b32_e32 v96, s15, v97
	v_bitop3_b32 v90, v90, v91, v95 bitop3:0x80
	ds_load_b32 v204, v93 offset:1056
	v_mul_u32_u24_e32 v91, 36, v92
	; wave barrier
	v_bitop3_b32 v90, v90, v96, v94 bitop3:0x80
	s_delay_alu instid0(VALU_DEP_2) | instskip(NEXT) | instid1(VALU_DEP_2)
	v_add_nc_u32_e32 v209, v148, v91
	v_mbcnt_lo_u32_b32 v205, v90, 0
	v_cmp_ne_u32_e64 s15, 0, v90
	s_delay_alu instid0(VALU_DEP_2) | instskip(SKIP_1) | instid1(SALU_CYCLE_1)
	v_cmp_eq_u32_e32 vcc_lo, 0, v205
	s_and_b32 s16, s15, vcc_lo
	s_and_saveexec_b32 s15, s16
	s_cbranch_execz .LBB804_158
; %bb.157:                              ;   in Loop: Header=BB804_96 Depth=2
	s_wait_dscnt 0x0
	v_bcnt_u32_b32 v90, v90, v204
	ds_store_b32 v209, v90 offset:1056
.LBB804_158:                            ;   in Loop: Header=BB804_96 Depth=2
	s_or_b32 exec_lo, exec_lo, s15
	v_xor_b32_e32 v83, 0x80000000, v83
	; wave barrier
	s_delay_alu instid0(VALU_DEP_1) | instskip(NEXT) | instid1(VALU_DEP_1)
	v_lshrrev_b64 v[90:91], s48, v[82:83]
	v_bitop3_b32 v91, v90, 1, s56 bitop3:0x80
	v_and_b32_e32 v92, s56, v90
	s_delay_alu instid0(VALU_DEP_2) | instskip(NEXT) | instid1(VALU_DEP_1)
	v_add_co_u32 v90, s15, v91, -1
	v_cndmask_b32_e64 v91, 0, 1, s15
	s_delay_alu instid0(VALU_DEP_3) | instskip(NEXT) | instid1(VALU_DEP_2)
	v_lshlrev_b32_e32 v93, 30, v92
	v_cmp_ne_u32_e32 vcc_lo, 0, v91
	s_delay_alu instid0(VALU_DEP_2) | instskip(NEXT) | instid1(VALU_DEP_1)
	v_not_b32_e32 v91, v93
	v_dual_ashrrev_i32 v91, 31, v91 :: v_dual_bitop2_b32 v90, vcc_lo, v90 bitop3:0x14
	v_dual_lshlrev_b32 v94, 29, v92 :: v_dual_lshlrev_b32 v95, 28, v92
	v_dual_lshlrev_b32 v96, 27, v92 :: v_dual_lshlrev_b32 v97, 26, v92
	v_lshlrev_b32_e32 v207, 25, v92
	v_cmp_gt_i32_e64 s15, 0, v93
	s_delay_alu instid0(VALU_DEP_4)
	v_cmp_gt_i32_e64 s16, 0, v94
	v_not_b32_e32 v93, v94
	v_not_b32_e32 v94, v95
	v_lshlrev_b32_e32 v208, 24, v92
	v_cmp_gt_i32_e64 s17, 0, v95
	v_cmp_gt_i32_e64 s18, 0, v96
	v_not_b32_e32 v95, v96
	v_cmp_gt_i32_e64 s19, 0, v97
	v_not_b32_e32 v96, v97
	v_not_b32_e32 v97, v207
	v_dual_ashrrev_i32 v93, 31, v93 :: v_dual_ashrrev_i32 v94, 31, v94
	v_xor_b32_e32 v91, s15, v91
	v_not_b32_e32 v210, v208
	v_dual_ashrrev_i32 v95, 31, v95 :: v_dual_ashrrev_i32 v96, 31, v96
	s_delay_alu instid0(VALU_DEP_4) | instskip(SKIP_2) | instid1(VALU_DEP_4)
	v_xor_b32_e32 v93, s16, v93
	v_xor_b32_e32 v94, s17, v94
	v_bitop3_b32 v90, v90, v91, exec_lo bitop3:0x80
	v_xor_b32_e32 v95, s18, v95
	v_xor_b32_e32 v91, s19, v96
	v_cmp_gt_i32_e32 vcc_lo, 0, v207
	v_ashrrev_i32_e32 v96, 31, v97
	v_cmp_gt_i32_e64 s15, 0, v208
	v_ashrrev_i32_e32 v97, 31, v210
	v_bitop3_b32 v90, v90, v94, v93 bitop3:0x80
	v_mad_u32_u24 v93, v92, 36, v148
	v_xor_b32_e32 v94, vcc_lo, v96
	s_delay_alu instid0(VALU_DEP_4) | instskip(NEXT) | instid1(VALU_DEP_4)
	v_xor_b32_e32 v96, s15, v97
	v_bitop3_b32 v90, v90, v91, v95 bitop3:0x80
	ds_load_b32 v207, v93 offset:1056
	v_mul_u32_u24_e32 v91, 36, v92
	; wave barrier
	v_bitop3_b32 v90, v90, v96, v94 bitop3:0x80
	s_delay_alu instid0(VALU_DEP_2) | instskip(NEXT) | instid1(VALU_DEP_2)
	v_add_nc_u32_e32 v212, v148, v91
	v_mbcnt_lo_u32_b32 v208, v90, 0
	v_cmp_ne_u32_e64 s15, 0, v90
	s_delay_alu instid0(VALU_DEP_2) | instskip(SKIP_1) | instid1(SALU_CYCLE_1)
	v_cmp_eq_u32_e32 vcc_lo, 0, v208
	s_and_b32 s16, s15, vcc_lo
	s_and_saveexec_b32 s15, s16
	s_cbranch_execz .LBB804_160
; %bb.159:                              ;   in Loop: Header=BB804_96 Depth=2
	s_wait_dscnt 0x0
	v_bcnt_u32_b32 v90, v90, v207
	ds_store_b32 v212, v90 offset:1056
.LBB804_160:                            ;   in Loop: Header=BB804_96 Depth=2
	s_or_b32 exec_lo, exec_lo, s15
	v_xor_b32_e32 v87, 0x80000000, v87
	; wave barrier
	s_delay_alu instid0(VALU_DEP_1) | instskip(NEXT) | instid1(VALU_DEP_1)
	v_lshrrev_b64 v[90:91], s48, v[86:87]
	v_bitop3_b32 v91, v90, 1, s56 bitop3:0x80
	v_and_b32_e32 v92, s56, v90
	s_delay_alu instid0(VALU_DEP_2) | instskip(NEXT) | instid1(VALU_DEP_1)
	v_add_co_u32 v90, s15, v91, -1
	v_cndmask_b32_e64 v91, 0, 1, s15
	s_delay_alu instid0(VALU_DEP_3) | instskip(NEXT) | instid1(VALU_DEP_2)
	v_lshlrev_b32_e32 v93, 30, v92
	v_cmp_ne_u32_e32 vcc_lo, 0, v91
	s_delay_alu instid0(VALU_DEP_2) | instskip(NEXT) | instid1(VALU_DEP_1)
	v_not_b32_e32 v91, v93
	v_dual_ashrrev_i32 v91, 31, v91 :: v_dual_bitop2_b32 v90, vcc_lo, v90 bitop3:0x14
	v_dual_lshlrev_b32 v94, 29, v92 :: v_dual_lshlrev_b32 v95, 28, v92
	v_dual_lshlrev_b32 v96, 27, v92 :: v_dual_lshlrev_b32 v97, 26, v92
	v_lshlrev_b32_e32 v210, 25, v92
	v_cmp_gt_i32_e64 s15, 0, v93
	s_delay_alu instid0(VALU_DEP_4)
	v_cmp_gt_i32_e64 s16, 0, v94
	v_not_b32_e32 v93, v94
	v_not_b32_e32 v94, v95
	v_lshlrev_b32_e32 v211, 24, v92
	v_cmp_gt_i32_e64 s17, 0, v95
	v_cmp_gt_i32_e64 s18, 0, v96
	v_not_b32_e32 v95, v96
	v_cmp_gt_i32_e64 s19, 0, v97
	v_not_b32_e32 v96, v97
	v_not_b32_e32 v97, v210
	v_dual_ashrrev_i32 v93, 31, v93 :: v_dual_ashrrev_i32 v94, 31, v94
	v_xor_b32_e32 v91, s15, v91
	v_not_b32_e32 v213, v211
	v_dual_ashrrev_i32 v95, 31, v95 :: v_dual_ashrrev_i32 v96, 31, v96
	s_delay_alu instid0(VALU_DEP_4) | instskip(SKIP_2) | instid1(VALU_DEP_4)
	v_xor_b32_e32 v93, s16, v93
	v_xor_b32_e32 v94, s17, v94
	v_bitop3_b32 v90, v90, v91, exec_lo bitop3:0x80
	v_xor_b32_e32 v95, s18, v95
	v_xor_b32_e32 v91, s19, v96
	v_cmp_gt_i32_e32 vcc_lo, 0, v210
	v_ashrrev_i32_e32 v96, 31, v97
	v_cmp_gt_i32_e64 s15, 0, v211
	v_ashrrev_i32_e32 v97, 31, v213
	v_bitop3_b32 v90, v90, v94, v93 bitop3:0x80
	v_mad_u32_u24 v93, v92, 36, v148
	v_xor_b32_e32 v94, vcc_lo, v96
	s_delay_alu instid0(VALU_DEP_4) | instskip(NEXT) | instid1(VALU_DEP_4)
	v_xor_b32_e32 v96, s15, v97
	v_bitop3_b32 v90, v90, v91, v95 bitop3:0x80
	ds_load_b32 v210, v93 offset:1056
	v_mul_u32_u24_e32 v91, 36, v92
	; wave barrier
	v_bitop3_b32 v90, v90, v96, v94 bitop3:0x80
	s_delay_alu instid0(VALU_DEP_2) | instskip(NEXT) | instid1(VALU_DEP_2)
	v_add_nc_u32_e32 v215, v148, v91
	v_mbcnt_lo_u32_b32 v211, v90, 0
	v_cmp_ne_u32_e64 s15, 0, v90
	s_delay_alu instid0(VALU_DEP_2) | instskip(SKIP_1) | instid1(SALU_CYCLE_1)
	v_cmp_eq_u32_e32 vcc_lo, 0, v211
	s_and_b32 s16, s15, vcc_lo
	s_and_saveexec_b32 s15, s16
	s_cbranch_execz .LBB804_162
; %bb.161:                              ;   in Loop: Header=BB804_96 Depth=2
	s_wait_dscnt 0x0
	v_bcnt_u32_b32 v90, v90, v210
	ds_store_b32 v215, v90 offset:1056
.LBB804_162:                            ;   in Loop: Header=BB804_96 Depth=2
	s_or_b32 exec_lo, exec_lo, s15
	v_lshrrev_b64 v[90:91], s48, v[88:89]
	; wave barrier
	s_delay_alu instid0(VALU_DEP_1) | instskip(SKIP_1) | instid1(VALU_DEP_2)
	v_bitop3_b32 v91, v90, 1, s56 bitop3:0x80
	v_and_b32_e32 v92, s56, v90
	v_add_co_u32 v90, s15, v91, -1
	s_delay_alu instid0(VALU_DEP_1) | instskip(NEXT) | instid1(VALU_DEP_3)
	v_cndmask_b32_e64 v91, 0, 1, s15
	v_lshlrev_b32_e32 v93, 30, v92
	s_delay_alu instid0(VALU_DEP_2) | instskip(NEXT) | instid1(VALU_DEP_2)
	v_cmp_ne_u32_e32 vcc_lo, 0, v91
	v_not_b32_e32 v91, v93
	s_delay_alu instid0(VALU_DEP_1) | instskip(SKIP_4) | instid1(VALU_DEP_4)
	v_dual_ashrrev_i32 v91, 31, v91 :: v_dual_bitop2_b32 v90, vcc_lo, v90 bitop3:0x14
	v_dual_lshlrev_b32 v94, 29, v92 :: v_dual_lshlrev_b32 v95, 28, v92
	v_dual_lshlrev_b32 v96, 27, v92 :: v_dual_lshlrev_b32 v97, 26, v92
	v_lshlrev_b32_e32 v213, 25, v92
	v_cmp_gt_i32_e64 s15, 0, v93
	v_cmp_gt_i32_e64 s16, 0, v94
	v_not_b32_e32 v93, v94
	v_not_b32_e32 v94, v95
	v_lshlrev_b32_e32 v214, 24, v92
	v_cmp_gt_i32_e64 s17, 0, v95
	v_cmp_gt_i32_e64 s18, 0, v96
	v_not_b32_e32 v95, v96
	v_dual_ashrrev_i32 v93, 31, v93 :: v_dual_ashrrev_i32 v94, 31, v94
	v_xor_b32_e32 v91, s15, v91
	v_not_b32_e32 v96, v97
	v_cmp_gt_i32_e64 s19, 0, v97
	s_delay_alu instid0(VALU_DEP_4)
	v_dual_ashrrev_i32 v95, 31, v95 :: v_dual_bitop2_b32 v93, s16, v93 bitop3:0x14
	v_xor_b32_e32 v94, s17, v94
	v_bitop3_b32 v90, v90, v91, exec_lo bitop3:0x80
	v_ashrrev_i32_e32 v91, 31, v96
	v_not_b32_e32 v96, v213
	v_not_b32_e32 v97, v214
	v_xor_b32_e32 v95, s18, v95
	v_bitop3_b32 v90, v90, v94, v93 bitop3:0x80
	v_xor_b32_e32 v91, s19, v91
	v_cmp_gt_i32_e32 vcc_lo, 0, v213
	v_ashrrev_i32_e32 v93, 31, v96
	v_cmp_gt_i32_e64 s15, 0, v214
	v_ashrrev_i32_e32 v94, 31, v97
	v_mad_u32_u24 v96, v92, 36, v148
	v_bitop3_b32 v90, v90, v91, v95 bitop3:0x80
	v_xor_b32_e32 v91, vcc_lo, v93
	s_delay_alu instid0(VALU_DEP_4) | instskip(SKIP_3) | instid1(VALU_DEP_2)
	v_xor_b32_e32 v93, s15, v94
	ds_load_b32 v213, v96 offset:1056
	; wave barrier
	v_bitop3_b32 v90, v90, v93, v91 bitop3:0x80
	v_mul_u32_u24_e32 v91, 36, v92
	v_mbcnt_lo_u32_b32 v214, v90, 0
	v_cmp_ne_u32_e64 s15, 0, v90
	s_delay_alu instid0(VALU_DEP_3) | instskip(NEXT) | instid1(VALU_DEP_3)
	v_add_nc_u32_e32 v216, v148, v91
	v_cmp_eq_u32_e32 vcc_lo, 0, v214
	s_and_b32 s16, s15, vcc_lo
	s_delay_alu instid0(SALU_CYCLE_1)
	s_and_saveexec_b32 s15, s16
	s_cbranch_execz .LBB804_164
; %bb.163:                              ;   in Loop: Header=BB804_96 Depth=2
	s_wait_dscnt 0x0
	v_bcnt_u32_b32 v90, v90, v213
	ds_store_b32 v216, v90 offset:1056
.LBB804_164:                            ;   in Loop: Header=BB804_96 Depth=2
	s_or_b32 exec_lo, exec_lo, s15
	; wave barrier
	s_wait_dscnt 0x0
	s_barrier_signal -1
	s_barrier_wait -1
	ds_load_2addr_b32 v[96:97], v168 offset1:1
	ds_load_2addr_b32 v[94:95], v169 offset1:1
	;; [unrolled: 1-line block ×4, first 2 shown]
	ds_load_b32 v217, v120 offset:1088
	s_wait_dscnt 0x3
	v_add3_u32 v218, v97, v96, v94
	s_wait_dscnt 0x2
	s_delay_alu instid0(VALU_DEP_1) | instskip(SKIP_1) | instid1(VALU_DEP_1)
	v_add3_u32 v218, v218, v95, v92
	s_wait_dscnt 0x1
	v_add3_u32 v218, v218, v93, v90
	s_wait_dscnt 0x0
	s_delay_alu instid0(VALU_DEP_1) | instskip(NEXT) | instid1(VALU_DEP_1)
	v_add3_u32 v217, v218, v91, v217
	v_mov_b32_dpp v218, v217 row_shr:1 row_mask:0xf bank_mask:0xf
	s_delay_alu instid0(VALU_DEP_1) | instskip(NEXT) | instid1(VALU_DEP_1)
	v_cndmask_b32_e64 v218, v218, 0, s7
	v_add_nc_u32_e32 v217, v218, v217
	s_delay_alu instid0(VALU_DEP_1) | instskip(NEXT) | instid1(VALU_DEP_1)
	v_mov_b32_dpp v218, v217 row_shr:2 row_mask:0xf bank_mask:0xf
	v_cndmask_b32_e64 v218, 0, v218, s8
	s_delay_alu instid0(VALU_DEP_1) | instskip(NEXT) | instid1(VALU_DEP_1)
	v_add_nc_u32_e32 v217, v217, v218
	v_mov_b32_dpp v218, v217 row_shr:4 row_mask:0xf bank_mask:0xf
	s_delay_alu instid0(VALU_DEP_1) | instskip(NEXT) | instid1(VALU_DEP_1)
	v_cndmask_b32_e64 v218, 0, v218, s9
	v_add_nc_u32_e32 v217, v217, v218
	s_delay_alu instid0(VALU_DEP_1) | instskip(NEXT) | instid1(VALU_DEP_1)
	v_mov_b32_dpp v218, v217 row_shr:8 row_mask:0xf bank_mask:0xf
	v_cndmask_b32_e64 v218, 0, v218, s10
	s_delay_alu instid0(VALU_DEP_1) | instskip(SKIP_3) | instid1(VALU_DEP_1)
	v_add_nc_u32_e32 v217, v217, v218
	ds_swizzle_b32 v218, v217 offset:swizzle(BROADCAST,32,15)
	s_wait_dscnt 0x0
	v_cndmask_b32_e64 v218, v218, 0, s11
	v_add_nc_u32_e32 v217, v217, v218
	s_and_saveexec_b32 s15, s1
; %bb.165:                              ;   in Loop: Header=BB804_96 Depth=2
	ds_store_b32 v114, v217 offset:1024
; %bb.166:                              ;   in Loop: Header=BB804_96 Depth=2
	s_or_b32 exec_lo, exec_lo, s15
	s_wait_dscnt 0x0
	s_barrier_signal -1
	s_barrier_wait -1
	s_and_saveexec_b32 s15, s4
	s_cbranch_execz .LBB804_168
; %bb.167:                              ;   in Loop: Header=BB804_96 Depth=2
	ds_load_b32 v218, v122 offset:1024
	s_wait_dscnt 0x0
	v_mov_b32_dpp v219, v218 row_shr:1 row_mask:0xf bank_mask:0xf
	s_delay_alu instid0(VALU_DEP_1) | instskip(NEXT) | instid1(VALU_DEP_1)
	v_cndmask_b32_e64 v219, v219, 0, s12
	v_add_nc_u32_e32 v218, v219, v218
	s_delay_alu instid0(VALU_DEP_1) | instskip(NEXT) | instid1(VALU_DEP_1)
	v_mov_b32_dpp v219, v218 row_shr:2 row_mask:0xf bank_mask:0xf
	v_cndmask_b32_e64 v219, 0, v219, s13
	s_delay_alu instid0(VALU_DEP_1) | instskip(NEXT) | instid1(VALU_DEP_1)
	v_add_nc_u32_e32 v218, v218, v219
	v_mov_b32_dpp v219, v218 row_shr:4 row_mask:0xf bank_mask:0xf
	s_delay_alu instid0(VALU_DEP_1) | instskip(NEXT) | instid1(VALU_DEP_1)
	v_cndmask_b32_e64 v219, 0, v219, s14
	v_add_nc_u32_e32 v218, v218, v219
	ds_store_b32 v122, v218 offset:1024
.LBB804_168:                            ;   in Loop: Header=BB804_96 Depth=2
	s_or_b32 exec_lo, exec_lo, s15
	v_mov_b32_e32 v218, 0
	s_wait_dscnt 0x0
	s_barrier_signal -1
	s_barrier_wait -1
	s_and_saveexec_b32 s15, s5
; %bb.169:                              ;   in Loop: Header=BB804_96 Depth=2
	ds_load_b32 v218, v114 offset:1020
; %bb.170:                              ;   in Loop: Header=BB804_96 Depth=2
	s_or_b32 exec_lo, exec_lo, s15
	s_wait_dscnt 0x0
	v_add_nc_u32_e32 v217, v218, v217
	ds_bpermute_b32 v217, v147, v217
	s_wait_dscnt 0x0
	v_cndmask_b32_e64 v217, v217, v218, s6
	s_delay_alu instid0(VALU_DEP_1) | instskip(NEXT) | instid1(VALU_DEP_1)
	v_cndmask_b32_e64 v217, v217, 0, s2
	v_add_nc_u32_e32 v96, v217, v96
	s_delay_alu instid0(VALU_DEP_1) | instskip(NEXT) | instid1(VALU_DEP_1)
	v_add_nc_u32_e32 v97, v96, v97
	v_add_nc_u32_e32 v94, v97, v94
	s_delay_alu instid0(VALU_DEP_1) | instskip(NEXT) | instid1(VALU_DEP_1)
	v_add_nc_u32_e32 v95, v94, v95
	;; [unrolled: 3-line block ×3, first 2 shown]
	v_add_nc_u32_e32 v90, v93, v90
	s_delay_alu instid0(VALU_DEP_1)
	v_add_nc_u32_e32 v91, v90, v91
	ds_store_2addr_b32 v167, v93, v90 offset1:1
	ds_store_2addr_b32 v168, v217, v96 offset1:1
	;; [unrolled: 1-line block ×4, first 2 shown]
	ds_store_b32 v120, v91 offset:1088
	s_wait_dscnt 0x0
	s_barrier_signal -1
	s_barrier_wait -1
	ds_load_b32 v91, v171 offset:1056
	ds_load_b32 v218, v174 offset:1056
	;; [unrolled: 1-line block ×17, first 2 shown]
	v_mov_b32_e32 v90, 0x1000
	s_and_saveexec_b32 s15, s3
; %bb.171:                              ;   in Loop: Header=BB804_96 Depth=2
	ds_load_b32 v90, v120 offset:1092
; %bb.172:                              ;   in Loop: Header=BB804_96 Depth=2
	s_or_b32 exec_lo, exec_lo, s15
	s_wait_dscnt 0x0
	s_barrier_signal -1
	s_barrier_wait -1
	s_and_saveexec_b32 s15, s0
	s_cbranch_execz .LBB804_174
; %bb.173:                              ;   in Loop: Header=BB804_96 Depth=2
	ds_load_b32 v183, v3
	s_wait_dscnt 0x0
	v_sub_nc_u32_e32 v180, v183, v180
	ds_store_b32 v3, v180
.LBB804_174:                            ;   in Loop: Header=BB804_96 Depth=2
	s_or_b32 exec_lo, exec_lo, s15
	v_dual_lshlrev_b32 v166, 3, v166 :: v_dual_lshlrev_b32 v173, 3, v173
	v_dual_lshlrev_b32 v172, 3, v172 :: v_dual_lshlrev_b32 v180, 3, v218
	v_lshlrev_b32_e32 v176, 3, v176
	s_delay_alu instid0(VALU_DEP_3)
	v_lshl_add_u32 v91, v91, 3, v166
	v_dual_lshlrev_b32 v166, 3, v175 :: v_dual_lshlrev_b32 v175, 3, v217
	v_dual_lshlrev_b32 v179, 3, v179 :: v_dual_lshlrev_b32 v178, 3, v178
	;; [unrolled: 1-line block ×5, first 2 shown]
	v_lshlrev_b32_e32 v185, 3, v92
	ds_store_b64 v91, v[60:61] offset:1024
	v_add3_u32 v60, v173, v172, v180
	v_add3_u32 v61, v176, v166, v175
	;; [unrolled: 1-line block ×5, first 2 shown]
	ds_store_b64 v60, v[58:59] offset:1024
	ds_store_b64 v61, v[64:65] offset:1024
	;; [unrolled: 1-line block ×5, first 2 shown]
	v_dual_lshlrev_b32 v58, 3, v188 :: v_dual_lshlrev_b32 v63, 3, v191
	v_dual_lshlrev_b32 v59, 3, v187 :: v_dual_lshlrev_b32 v62, 3, v177
	;; [unrolled: 1-line block ×7, first 2 shown]
	v_lshlrev_b32_e32 v169, 3, v169
	v_add3_u32 v62, v58, v59, v62
	v_add3_u32 v63, v63, v64, v65
	;; [unrolled: 1-line block ×4, first 2 shown]
	v_lshlrev_b32_e32 v58, 3, v203
	v_add3_u32 v66, v171, v172, v169
	ds_store_b64 v62, v[72:73] offset:1024
	ds_store_b64 v63, v[70:71] offset:1024
	;; [unrolled: 1-line block ×5, first 2 shown]
	v_dual_lshlrev_b32 v59, 3, v201 :: v_dual_lshlrev_b32 v67, 3, v168
	v_dual_lshlrev_b32 v68, 3, v205 :: v_dual_lshlrev_b32 v69, 3, v204
	;; [unrolled: 1-line block ×7, first 2 shown]
	v_add3_u32 v67, v58, v59, v67
	v_add3_u32 v68, v68, v69, v70
	;; [unrolled: 1-line block ×5, first 2 shown]
	v_cmp_lt_u32_e32 vcc_lo, v2, v165
	ds_store_b64 v67, v[78:79] offset:1024
	ds_store_b64 v68, v[84:85] offset:1024
	;; [unrolled: 1-line block ×5, first 2 shown]
	s_wait_dscnt 0x0
	s_barrier_signal -1
	s_barrier_wait -1
	s_and_saveexec_b32 s15, vcc_lo
	s_cbranch_execnz .LBB804_243
; %bb.175:                              ;   in Loop: Header=BB804_96 Depth=2
	s_or_b32 exec_lo, exec_lo, s15
	v_cmp_lt_u32_e64 s15, v98, v165
	s_and_saveexec_b32 s16, s15
	s_cbranch_execnz .LBB804_244
.LBB804_176:                            ;   in Loop: Header=BB804_96 Depth=2
	s_or_b32 exec_lo, exec_lo, s16
	v_cmp_lt_u32_e64 s16, v99, v165
	s_and_saveexec_b32 s17, s16
	s_cbranch_execnz .LBB804_245
.LBB804_177:                            ;   in Loop: Header=BB804_96 Depth=2
	s_or_b32 exec_lo, exec_lo, s17
	v_cmp_lt_u32_e64 s17, v100, v165
	s_and_saveexec_b32 s18, s17
	s_cbranch_execnz .LBB804_246
.LBB804_178:                            ;   in Loop: Header=BB804_96 Depth=2
	s_or_b32 exec_lo, exec_lo, s18
	v_cmp_lt_u32_e64 s18, v101, v165
	s_and_saveexec_b32 s19, s18
	s_cbranch_execnz .LBB804_247
.LBB804_179:                            ;   in Loop: Header=BB804_96 Depth=2
	s_or_b32 exec_lo, exec_lo, s19
	v_cmp_lt_u32_e64 s19, v102, v165
	s_and_saveexec_b32 s20, s19
	s_cbranch_execnz .LBB804_248
.LBB804_180:                            ;   in Loop: Header=BB804_96 Depth=2
	s_or_b32 exec_lo, exec_lo, s20
	v_cmp_lt_u32_e64 s20, v103, v165
	s_and_saveexec_b32 s21, s20
	s_cbranch_execnz .LBB804_249
.LBB804_181:                            ;   in Loop: Header=BB804_96 Depth=2
	s_or_b32 exec_lo, exec_lo, s21
	v_cmp_lt_u32_e64 s21, v104, v165
	s_and_saveexec_b32 s22, s21
	s_cbranch_execnz .LBB804_250
.LBB804_182:                            ;   in Loop: Header=BB804_96 Depth=2
	s_or_b32 exec_lo, exec_lo, s22
	v_cmp_lt_u32_e64 s22, v105, v165
	s_and_saveexec_b32 s23, s22
	s_cbranch_execnz .LBB804_251
.LBB804_183:                            ;   in Loop: Header=BB804_96 Depth=2
	s_or_b32 exec_lo, exec_lo, s23
	v_cmp_lt_u32_e64 s23, v106, v165
	s_and_saveexec_b32 s24, s23
	s_cbranch_execnz .LBB804_252
.LBB804_184:                            ;   in Loop: Header=BB804_96 Depth=2
	s_or_b32 exec_lo, exec_lo, s24
	v_cmp_lt_u32_e64 s24, v107, v165
	s_and_saveexec_b32 s25, s24
	s_cbranch_execnz .LBB804_253
.LBB804_185:                            ;   in Loop: Header=BB804_96 Depth=2
	s_or_b32 exec_lo, exec_lo, s25
	v_cmp_lt_u32_e64 s25, v108, v165
	s_and_saveexec_b32 s26, s25
	s_cbranch_execnz .LBB804_254
.LBB804_186:                            ;   in Loop: Header=BB804_96 Depth=2
	s_or_b32 exec_lo, exec_lo, s26
	v_cmp_lt_u32_e64 s26, v109, v165
	s_and_saveexec_b32 s27, s26
	s_cbranch_execnz .LBB804_255
.LBB804_187:                            ;   in Loop: Header=BB804_96 Depth=2
	s_or_b32 exec_lo, exec_lo, s27
	v_cmp_lt_u32_e64 s27, v110, v165
	s_and_saveexec_b32 s28, s27
	s_cbranch_execnz .LBB804_256
.LBB804_188:                            ;   in Loop: Header=BB804_96 Depth=2
	s_or_b32 exec_lo, exec_lo, s28
	v_cmp_lt_u32_e64 s28, v111, v165
	s_and_saveexec_b32 s29, s28
	s_cbranch_execnz .LBB804_257
.LBB804_189:                            ;   in Loop: Header=BB804_96 Depth=2
	s_or_b32 exec_lo, exec_lo, s29
	v_cmp_lt_u32_e64 s29, v112, v165
	s_and_saveexec_b32 s59, s29
	s_cbranch_execz .LBB804_191
.LBB804_190:                            ;   in Loop: Header=BB804_96 Depth=2
	ds_load_b64 v[58:59], v123 offset:31744
	s_wait_dscnt 0x0
	v_lshrrev_b64 v[72:73], s48, v[58:59]
	v_xor_b32_e32 v59, 0x80000000, v59
	s_delay_alu instid0(VALU_DEP_2) | instskip(NEXT) | instid1(VALU_DEP_1)
	v_and_b32_e32 v72, s56, v72
	v_lshlrev_b32_e32 v72, 2, v72
	ds_load_b32 v72, v72
	s_wait_dscnt 0x0
	v_add_nc_u32_e32 v72, v72, v112
	global_store_b64 v72, v[58:59], s[38:39] scale_offset
.LBB804_191:                            ;   in Loop: Header=BB804_96 Depth=2
	s_wait_xcnt 0x0
	s_or_b32 exec_lo, exec_lo, s59
	v_lshl_add_u64 v[58:59], s[30:31], 3, v[22:23]
	v_cmp_lt_u32_e64 s30, v129, v165
	s_and_saveexec_b32 s59, s30
	s_delay_alu instid0(SALU_CYCLE_1)
	s_xor_b32 s30, exec_lo, s59
	s_cbranch_execnz .LBB804_258
; %bb.192:                              ;   in Loop: Header=BB804_96 Depth=2
	s_or_b32 exec_lo, exec_lo, s30
	s_delay_alu instid0(SALU_CYCLE_1)
	s_mov_b32 s59, exec_lo
	v_cmpx_lt_u32_e64 v132, v165
	s_cbranch_execnz .LBB804_259
.LBB804_193:                            ;   in Loop: Header=BB804_96 Depth=2
	s_or_b32 exec_lo, exec_lo, s59
	s_delay_alu instid0(SALU_CYCLE_1)
	s_mov_b32 s59, exec_lo
	v_cmpx_lt_u32_e64 v133, v165
	s_cbranch_execnz .LBB804_260
.LBB804_194:                            ;   in Loop: Header=BB804_96 Depth=2
	s_or_b32 exec_lo, exec_lo, s59
	s_delay_alu instid0(SALU_CYCLE_1)
	s_mov_b32 s59, exec_lo
	v_cmpx_lt_u32_e64 v134, v165
	s_cbranch_execnz .LBB804_261
.LBB804_195:                            ;   in Loop: Header=BB804_96 Depth=2
	s_or_b32 exec_lo, exec_lo, s59
	s_delay_alu instid0(SALU_CYCLE_1)
	s_mov_b32 s59, exec_lo
	v_cmpx_lt_u32_e64 v135, v165
	s_cbranch_execnz .LBB804_262
.LBB804_196:                            ;   in Loop: Header=BB804_96 Depth=2
	s_or_b32 exec_lo, exec_lo, s59
	s_delay_alu instid0(SALU_CYCLE_1)
	s_mov_b32 s59, exec_lo
	v_cmpx_lt_u32_e64 v136, v165
	s_cbranch_execnz .LBB804_263
.LBB804_197:                            ;   in Loop: Header=BB804_96 Depth=2
	s_or_b32 exec_lo, exec_lo, s59
	s_delay_alu instid0(SALU_CYCLE_1)
	s_mov_b32 s59, exec_lo
	v_cmpx_lt_u32_e64 v137, v165
	s_cbranch_execnz .LBB804_264
.LBB804_198:                            ;   in Loop: Header=BB804_96 Depth=2
	s_or_b32 exec_lo, exec_lo, s59
	s_delay_alu instid0(SALU_CYCLE_1)
	s_mov_b32 s59, exec_lo
	v_cmpx_lt_u32_e64 v138, v165
	s_cbranch_execnz .LBB804_265
.LBB804_199:                            ;   in Loop: Header=BB804_96 Depth=2
	s_or_b32 exec_lo, exec_lo, s59
	s_delay_alu instid0(SALU_CYCLE_1)
	s_mov_b32 s59, exec_lo
	v_cmpx_lt_u32_e64 v139, v165
	s_cbranch_execnz .LBB804_266
.LBB804_200:                            ;   in Loop: Header=BB804_96 Depth=2
	s_or_b32 exec_lo, exec_lo, s59
	s_delay_alu instid0(SALU_CYCLE_1)
	s_mov_b32 s59, exec_lo
	v_cmpx_lt_u32_e64 v140, v165
	s_cbranch_execnz .LBB804_267
.LBB804_201:                            ;   in Loop: Header=BB804_96 Depth=2
	s_or_b32 exec_lo, exec_lo, s59
	s_delay_alu instid0(SALU_CYCLE_1)
	s_mov_b32 s59, exec_lo
	v_cmpx_lt_u32_e64 v141, v165
	s_cbranch_execnz .LBB804_268
.LBB804_202:                            ;   in Loop: Header=BB804_96 Depth=2
	s_or_b32 exec_lo, exec_lo, s59
	s_delay_alu instid0(SALU_CYCLE_1)
	s_mov_b32 s59, exec_lo
	v_cmpx_lt_u32_e64 v142, v165
	s_cbranch_execnz .LBB804_269
.LBB804_203:                            ;   in Loop: Header=BB804_96 Depth=2
	s_or_b32 exec_lo, exec_lo, s59
	s_delay_alu instid0(SALU_CYCLE_1)
	s_mov_b32 s59, exec_lo
	v_cmpx_lt_u32_e64 v143, v165
	s_cbranch_execnz .LBB804_270
.LBB804_204:                            ;   in Loop: Header=BB804_96 Depth=2
	s_or_b32 exec_lo, exec_lo, s59
	s_delay_alu instid0(SALU_CYCLE_1)
	s_mov_b32 s59, exec_lo
	v_cmpx_lt_u32_e64 v144, v165
	s_cbranch_execnz .LBB804_271
.LBB804_205:                            ;   in Loop: Header=BB804_96 Depth=2
	s_or_b32 exec_lo, exec_lo, s59
	s_delay_alu instid0(SALU_CYCLE_1)
	s_mov_b32 s59, exec_lo
	v_cmpx_lt_u32_e64 v145, v165
	s_cbranch_execnz .LBB804_272
.LBB804_206:                            ;   in Loop: Header=BB804_96 Depth=2
	s_or_b32 exec_lo, exec_lo, s59
	s_delay_alu instid0(SALU_CYCLE_1)
	s_mov_b32 s59, exec_lo
	v_cmpx_lt_u32_e64 v146, v165
	s_cbranch_execnz .LBB804_273
.LBB804_207:                            ;   in Loop: Header=BB804_96 Depth=2
	s_or_b32 exec_lo, exec_lo, s59
	s_and_saveexec_b32 s30, vcc_lo
	s_cbranch_execnz .LBB804_274
.LBB804_208:                            ;   in Loop: Header=BB804_96 Depth=2
	s_or_b32 exec_lo, exec_lo, s30
	s_and_saveexec_b32 s30, s15
	s_cbranch_execnz .LBB804_275
.LBB804_209:                            ;   in Loop: Header=BB804_96 Depth=2
	s_or_b32 exec_lo, exec_lo, s30
	s_and_saveexec_b32 s30, s16
	s_cbranch_execnz .LBB804_276
.LBB804_210:                            ;   in Loop: Header=BB804_96 Depth=2
	s_or_b32 exec_lo, exec_lo, s30
	s_and_saveexec_b32 s30, s17
	s_cbranch_execnz .LBB804_277
.LBB804_211:                            ;   in Loop: Header=BB804_96 Depth=2
	s_or_b32 exec_lo, exec_lo, s30
	s_and_saveexec_b32 s30, s18
	s_cbranch_execnz .LBB804_278
.LBB804_212:                            ;   in Loop: Header=BB804_96 Depth=2
	s_or_b32 exec_lo, exec_lo, s30
	s_and_saveexec_b32 s30, s19
	s_cbranch_execnz .LBB804_279
.LBB804_213:                            ;   in Loop: Header=BB804_96 Depth=2
	s_or_b32 exec_lo, exec_lo, s30
	s_and_saveexec_b32 s30, s20
	s_cbranch_execnz .LBB804_280
.LBB804_214:                            ;   in Loop: Header=BB804_96 Depth=2
	s_or_b32 exec_lo, exec_lo, s30
	s_and_saveexec_b32 s30, s21
	s_cbranch_execnz .LBB804_281
.LBB804_215:                            ;   in Loop: Header=BB804_96 Depth=2
	s_or_b32 exec_lo, exec_lo, s30
	s_and_saveexec_b32 s30, s22
	s_cbranch_execnz .LBB804_282
.LBB804_216:                            ;   in Loop: Header=BB804_96 Depth=2
	s_or_b32 exec_lo, exec_lo, s30
	s_and_saveexec_b32 s30, s23
	s_cbranch_execnz .LBB804_283
.LBB804_217:                            ;   in Loop: Header=BB804_96 Depth=2
	s_or_b32 exec_lo, exec_lo, s30
	s_and_saveexec_b32 s30, s24
	s_cbranch_execnz .LBB804_284
.LBB804_218:                            ;   in Loop: Header=BB804_96 Depth=2
	s_or_b32 exec_lo, exec_lo, s30
	s_and_saveexec_b32 s30, s25
	s_cbranch_execnz .LBB804_285
.LBB804_219:                            ;   in Loop: Header=BB804_96 Depth=2
	s_or_b32 exec_lo, exec_lo, s30
	s_and_saveexec_b32 s30, s26
	s_cbranch_execnz .LBB804_286
.LBB804_220:                            ;   in Loop: Header=BB804_96 Depth=2
	s_or_b32 exec_lo, exec_lo, s30
	s_and_saveexec_b32 s30, s27
	s_cbranch_execnz .LBB804_287
.LBB804_221:                            ;   in Loop: Header=BB804_96 Depth=2
	s_or_b32 exec_lo, exec_lo, s30
	s_and_saveexec_b32 s30, s28
	s_cbranch_execnz .LBB804_288
.LBB804_222:                            ;   in Loop: Header=BB804_96 Depth=2
	s_or_b32 exec_lo, exec_lo, s30
	s_and_saveexec_b32 s30, s29
	s_cbranch_execz .LBB804_224
.LBB804_223:                            ;   in Loop: Header=BB804_96 Depth=2
	ds_load_b64 v[58:59], v123 offset:31744
	s_wait_dscnt 0x0
	v_lshrrev_b64 v[58:59], s48, v[58:59]
	s_delay_alu instid0(VALU_DEP_1)
	v_and_b32_e32 v149, s56, v58
.LBB804_224:                            ;   in Loop: Header=BB804_96 Depth=2
	s_or_b32 exec_lo, exec_lo, s30
	s_wait_loadcnt 0x0
	s_wait_storecnt 0x0
	s_barrier_signal -1
	s_barrier_wait -1
	ds_store_b64 v91, v[56:57] offset:1024
	ds_store_b64 v60, v[54:55] offset:1024
	;; [unrolled: 1-line block ×16, first 2 shown]
	s_wait_dscnt 0x0
	s_barrier_signal -1
	s_barrier_wait -1
	s_and_saveexec_b32 s30, vcc_lo
	s_cbranch_execnz .LBB804_289
; %bb.225:                              ;   in Loop: Header=BB804_96 Depth=2
	s_or_b32 exec_lo, exec_lo, s30
	s_and_saveexec_b32 s30, s15
	s_cbranch_execnz .LBB804_290
.LBB804_226:                            ;   in Loop: Header=BB804_96 Depth=2
	s_or_b32 exec_lo, exec_lo, s30
	s_and_saveexec_b32 s15, s16
	s_cbranch_execnz .LBB804_291
.LBB804_227:                            ;   in Loop: Header=BB804_96 Depth=2
	s_or_b32 exec_lo, exec_lo, s15
	s_and_saveexec_b32 s15, s17
	s_cbranch_execnz .LBB804_292
.LBB804_228:                            ;   in Loop: Header=BB804_96 Depth=2
	s_or_b32 exec_lo, exec_lo, s15
	s_and_saveexec_b32 s15, s18
	s_cbranch_execnz .LBB804_293
.LBB804_229:                            ;   in Loop: Header=BB804_96 Depth=2
	s_or_b32 exec_lo, exec_lo, s15
	s_and_saveexec_b32 s15, s19
	s_cbranch_execnz .LBB804_294
.LBB804_230:                            ;   in Loop: Header=BB804_96 Depth=2
	s_or_b32 exec_lo, exec_lo, s15
	s_and_saveexec_b32 s15, s20
	s_cbranch_execnz .LBB804_295
.LBB804_231:                            ;   in Loop: Header=BB804_96 Depth=2
	s_or_b32 exec_lo, exec_lo, s15
	s_and_saveexec_b32 s15, s21
	s_cbranch_execnz .LBB804_296
.LBB804_232:                            ;   in Loop: Header=BB804_96 Depth=2
	s_or_b32 exec_lo, exec_lo, s15
	s_and_saveexec_b32 s15, s22
	s_cbranch_execnz .LBB804_297
.LBB804_233:                            ;   in Loop: Header=BB804_96 Depth=2
	s_or_b32 exec_lo, exec_lo, s15
	s_and_saveexec_b32 s15, s23
	s_cbranch_execnz .LBB804_298
.LBB804_234:                            ;   in Loop: Header=BB804_96 Depth=2
	s_or_b32 exec_lo, exec_lo, s15
	s_and_saveexec_b32 s15, s24
	s_cbranch_execnz .LBB804_299
.LBB804_235:                            ;   in Loop: Header=BB804_96 Depth=2
	s_or_b32 exec_lo, exec_lo, s15
	s_and_saveexec_b32 s15, s25
	s_cbranch_execnz .LBB804_300
.LBB804_236:                            ;   in Loop: Header=BB804_96 Depth=2
	s_or_b32 exec_lo, exec_lo, s15
	s_and_saveexec_b32 s15, s26
	s_cbranch_execnz .LBB804_301
.LBB804_237:                            ;   in Loop: Header=BB804_96 Depth=2
	s_or_b32 exec_lo, exec_lo, s15
	s_and_saveexec_b32 s15, s27
	s_cbranch_execnz .LBB804_302
.LBB804_238:                            ;   in Loop: Header=BB804_96 Depth=2
	s_or_b32 exec_lo, exec_lo, s15
	s_and_saveexec_b32 s15, s28
	s_cbranch_execnz .LBB804_303
.LBB804_239:                            ;   in Loop: Header=BB804_96 Depth=2
	s_or_b32 exec_lo, exec_lo, s15
	s_and_saveexec_b32 s15, s29
	s_cbranch_execz .LBB804_241
.LBB804_240:                            ;   in Loop: Header=BB804_96 Depth=2
	v_lshlrev_b32_e32 v58, 2, v149
	ds_load_b32 v60, v58
	ds_load_b64 v[58:59], v123 offset:31744
	s_wait_dscnt 0x1
	v_add_nc_u32_e32 v60, v60, v112
	s_wait_dscnt 0x0
	global_store_b64 v60, v[58:59], s[44:45] scale_offset
.LBB804_241:                            ;   in Loop: Header=BB804_96 Depth=2
	s_wait_xcnt 0x0
	s_or_b32 exec_lo, exec_lo, s15
	s_wait_storecnt 0x0
	s_barrier_signal -1
	s_barrier_wait -1
	s_and_saveexec_b32 s15, s0
	s_cbranch_execz .LBB804_95
; %bb.242:                              ;   in Loop: Header=BB804_96 Depth=2
	ds_load_b32 v58, v3
	s_wait_dscnt 0x0
	v_add_nc_u32_e32 v58, v58, v90
	ds_store_b32 v3, v58
	s_branch .LBB804_95
.LBB804_243:                            ;   in Loop: Header=BB804_96 Depth=2
	ds_load_b64 v[58:59], v123 offset:1024
	s_wait_dscnt 0x0
	v_lshrrev_b64 v[72:73], s48, v[58:59]
	v_xor_b32_e32 v59, 0x80000000, v59
	s_delay_alu instid0(VALU_DEP_2) | instskip(NEXT) | instid1(VALU_DEP_1)
	v_and_b32_e32 v72, s56, v72
	v_lshlrev_b32_e32 v72, 2, v72
	ds_load_b32 v72, v72
	s_wait_dscnt 0x0
	v_add_nc_u32_e32 v72, v72, v2
	global_store_b64 v72, v[58:59], s[38:39] scale_offset
	s_wait_xcnt 0x0
	s_or_b32 exec_lo, exec_lo, s15
	v_cmp_lt_u32_e64 s15, v98, v165
	s_and_saveexec_b32 s16, s15
	s_cbranch_execz .LBB804_176
.LBB804_244:                            ;   in Loop: Header=BB804_96 Depth=2
	ds_load_b64 v[58:59], v123 offset:3072
	s_wait_dscnt 0x0
	v_lshrrev_b64 v[72:73], s48, v[58:59]
	v_xor_b32_e32 v59, 0x80000000, v59
	s_delay_alu instid0(VALU_DEP_2) | instskip(NEXT) | instid1(VALU_DEP_1)
	v_and_b32_e32 v72, s56, v72
	v_lshlrev_b32_e32 v72, 2, v72
	ds_load_b32 v72, v72
	s_wait_dscnt 0x0
	v_add_nc_u32_e32 v72, v72, v98
	global_store_b64 v72, v[58:59], s[38:39] scale_offset
	s_wait_xcnt 0x0
	s_or_b32 exec_lo, exec_lo, s16
	v_cmp_lt_u32_e64 s16, v99, v165
	s_and_saveexec_b32 s17, s16
	s_cbranch_execz .LBB804_177
.LBB804_245:                            ;   in Loop: Header=BB804_96 Depth=2
	ds_load_b64 v[58:59], v123 offset:5120
	s_wait_dscnt 0x0
	v_lshrrev_b64 v[72:73], s48, v[58:59]
	v_xor_b32_e32 v59, 0x80000000, v59
	s_delay_alu instid0(VALU_DEP_2) | instskip(NEXT) | instid1(VALU_DEP_1)
	v_and_b32_e32 v72, s56, v72
	v_lshlrev_b32_e32 v72, 2, v72
	ds_load_b32 v72, v72
	s_wait_dscnt 0x0
	v_add_nc_u32_e32 v72, v72, v99
	global_store_b64 v72, v[58:59], s[38:39] scale_offset
	s_wait_xcnt 0x0
	s_or_b32 exec_lo, exec_lo, s17
	v_cmp_lt_u32_e64 s17, v100, v165
	s_and_saveexec_b32 s18, s17
	s_cbranch_execz .LBB804_178
.LBB804_246:                            ;   in Loop: Header=BB804_96 Depth=2
	ds_load_b64 v[58:59], v123 offset:7168
	s_wait_dscnt 0x0
	v_lshrrev_b64 v[72:73], s48, v[58:59]
	v_xor_b32_e32 v59, 0x80000000, v59
	s_delay_alu instid0(VALU_DEP_2) | instskip(NEXT) | instid1(VALU_DEP_1)
	v_and_b32_e32 v72, s56, v72
	v_lshlrev_b32_e32 v72, 2, v72
	ds_load_b32 v72, v72
	s_wait_dscnt 0x0
	v_add_nc_u32_e32 v72, v72, v100
	global_store_b64 v72, v[58:59], s[38:39] scale_offset
	s_wait_xcnt 0x0
	s_or_b32 exec_lo, exec_lo, s18
	v_cmp_lt_u32_e64 s18, v101, v165
	s_and_saveexec_b32 s19, s18
	s_cbranch_execz .LBB804_179
.LBB804_247:                            ;   in Loop: Header=BB804_96 Depth=2
	ds_load_b64 v[58:59], v123 offset:9216
	s_wait_dscnt 0x0
	v_lshrrev_b64 v[72:73], s48, v[58:59]
	v_xor_b32_e32 v59, 0x80000000, v59
	s_delay_alu instid0(VALU_DEP_2) | instskip(NEXT) | instid1(VALU_DEP_1)
	v_and_b32_e32 v72, s56, v72
	v_lshlrev_b32_e32 v72, 2, v72
	ds_load_b32 v72, v72
	s_wait_dscnt 0x0
	v_add_nc_u32_e32 v72, v72, v101
	global_store_b64 v72, v[58:59], s[38:39] scale_offset
	s_wait_xcnt 0x0
	s_or_b32 exec_lo, exec_lo, s19
	v_cmp_lt_u32_e64 s19, v102, v165
	s_and_saveexec_b32 s20, s19
	s_cbranch_execz .LBB804_180
.LBB804_248:                            ;   in Loop: Header=BB804_96 Depth=2
	ds_load_b64 v[58:59], v123 offset:11264
	s_wait_dscnt 0x0
	v_lshrrev_b64 v[72:73], s48, v[58:59]
	v_xor_b32_e32 v59, 0x80000000, v59
	s_delay_alu instid0(VALU_DEP_2) | instskip(NEXT) | instid1(VALU_DEP_1)
	v_and_b32_e32 v72, s56, v72
	v_lshlrev_b32_e32 v72, 2, v72
	ds_load_b32 v72, v72
	s_wait_dscnt 0x0
	v_add_nc_u32_e32 v72, v72, v102
	global_store_b64 v72, v[58:59], s[38:39] scale_offset
	s_wait_xcnt 0x0
	s_or_b32 exec_lo, exec_lo, s20
	v_cmp_lt_u32_e64 s20, v103, v165
	s_and_saveexec_b32 s21, s20
	s_cbranch_execz .LBB804_181
.LBB804_249:                            ;   in Loop: Header=BB804_96 Depth=2
	ds_load_b64 v[58:59], v123 offset:13312
	s_wait_dscnt 0x0
	v_lshrrev_b64 v[72:73], s48, v[58:59]
	v_xor_b32_e32 v59, 0x80000000, v59
	s_delay_alu instid0(VALU_DEP_2) | instskip(NEXT) | instid1(VALU_DEP_1)
	v_and_b32_e32 v72, s56, v72
	v_lshlrev_b32_e32 v72, 2, v72
	ds_load_b32 v72, v72
	s_wait_dscnt 0x0
	v_add_nc_u32_e32 v72, v72, v103
	global_store_b64 v72, v[58:59], s[38:39] scale_offset
	s_wait_xcnt 0x0
	s_or_b32 exec_lo, exec_lo, s21
	v_cmp_lt_u32_e64 s21, v104, v165
	s_and_saveexec_b32 s22, s21
	s_cbranch_execz .LBB804_182
.LBB804_250:                            ;   in Loop: Header=BB804_96 Depth=2
	ds_load_b64 v[58:59], v123 offset:15360
	s_wait_dscnt 0x0
	v_lshrrev_b64 v[72:73], s48, v[58:59]
	v_xor_b32_e32 v59, 0x80000000, v59
	s_delay_alu instid0(VALU_DEP_2) | instskip(NEXT) | instid1(VALU_DEP_1)
	v_and_b32_e32 v72, s56, v72
	v_lshlrev_b32_e32 v72, 2, v72
	ds_load_b32 v72, v72
	s_wait_dscnt 0x0
	v_add_nc_u32_e32 v72, v72, v104
	global_store_b64 v72, v[58:59], s[38:39] scale_offset
	s_wait_xcnt 0x0
	s_or_b32 exec_lo, exec_lo, s22
	v_cmp_lt_u32_e64 s22, v105, v165
	s_and_saveexec_b32 s23, s22
	s_cbranch_execz .LBB804_183
.LBB804_251:                            ;   in Loop: Header=BB804_96 Depth=2
	ds_load_b64 v[58:59], v123 offset:17408
	s_wait_dscnt 0x0
	v_lshrrev_b64 v[72:73], s48, v[58:59]
	v_xor_b32_e32 v59, 0x80000000, v59
	s_delay_alu instid0(VALU_DEP_2) | instskip(NEXT) | instid1(VALU_DEP_1)
	v_and_b32_e32 v72, s56, v72
	v_lshlrev_b32_e32 v72, 2, v72
	ds_load_b32 v72, v72
	s_wait_dscnt 0x0
	v_add_nc_u32_e32 v72, v72, v105
	global_store_b64 v72, v[58:59], s[38:39] scale_offset
	s_wait_xcnt 0x0
	s_or_b32 exec_lo, exec_lo, s23
	v_cmp_lt_u32_e64 s23, v106, v165
	s_and_saveexec_b32 s24, s23
	s_cbranch_execz .LBB804_184
.LBB804_252:                            ;   in Loop: Header=BB804_96 Depth=2
	ds_load_b64 v[58:59], v123 offset:19456
	s_wait_dscnt 0x0
	v_lshrrev_b64 v[72:73], s48, v[58:59]
	v_xor_b32_e32 v59, 0x80000000, v59
	s_delay_alu instid0(VALU_DEP_2) | instskip(NEXT) | instid1(VALU_DEP_1)
	v_and_b32_e32 v72, s56, v72
	v_lshlrev_b32_e32 v72, 2, v72
	ds_load_b32 v72, v72
	s_wait_dscnt 0x0
	v_add_nc_u32_e32 v72, v72, v106
	global_store_b64 v72, v[58:59], s[38:39] scale_offset
	s_wait_xcnt 0x0
	s_or_b32 exec_lo, exec_lo, s24
	v_cmp_lt_u32_e64 s24, v107, v165
	s_and_saveexec_b32 s25, s24
	s_cbranch_execz .LBB804_185
.LBB804_253:                            ;   in Loop: Header=BB804_96 Depth=2
	ds_load_b64 v[58:59], v123 offset:21504
	s_wait_dscnt 0x0
	v_lshrrev_b64 v[72:73], s48, v[58:59]
	v_xor_b32_e32 v59, 0x80000000, v59
	s_delay_alu instid0(VALU_DEP_2) | instskip(NEXT) | instid1(VALU_DEP_1)
	v_and_b32_e32 v72, s56, v72
	v_lshlrev_b32_e32 v72, 2, v72
	ds_load_b32 v72, v72
	s_wait_dscnt 0x0
	v_add_nc_u32_e32 v72, v72, v107
	global_store_b64 v72, v[58:59], s[38:39] scale_offset
	s_wait_xcnt 0x0
	s_or_b32 exec_lo, exec_lo, s25
	v_cmp_lt_u32_e64 s25, v108, v165
	s_and_saveexec_b32 s26, s25
	s_cbranch_execz .LBB804_186
.LBB804_254:                            ;   in Loop: Header=BB804_96 Depth=2
	ds_load_b64 v[58:59], v123 offset:23552
	s_wait_dscnt 0x0
	v_lshrrev_b64 v[72:73], s48, v[58:59]
	v_xor_b32_e32 v59, 0x80000000, v59
	s_delay_alu instid0(VALU_DEP_2) | instskip(NEXT) | instid1(VALU_DEP_1)
	v_and_b32_e32 v72, s56, v72
	v_lshlrev_b32_e32 v72, 2, v72
	ds_load_b32 v72, v72
	s_wait_dscnt 0x0
	v_add_nc_u32_e32 v72, v72, v108
	global_store_b64 v72, v[58:59], s[38:39] scale_offset
	s_wait_xcnt 0x0
	s_or_b32 exec_lo, exec_lo, s26
	v_cmp_lt_u32_e64 s26, v109, v165
	s_and_saveexec_b32 s27, s26
	s_cbranch_execz .LBB804_187
.LBB804_255:                            ;   in Loop: Header=BB804_96 Depth=2
	ds_load_b64 v[58:59], v123 offset:25600
	s_wait_dscnt 0x0
	v_lshrrev_b64 v[72:73], s48, v[58:59]
	v_xor_b32_e32 v59, 0x80000000, v59
	s_delay_alu instid0(VALU_DEP_2) | instskip(NEXT) | instid1(VALU_DEP_1)
	v_and_b32_e32 v72, s56, v72
	v_lshlrev_b32_e32 v72, 2, v72
	ds_load_b32 v72, v72
	s_wait_dscnt 0x0
	v_add_nc_u32_e32 v72, v72, v109
	global_store_b64 v72, v[58:59], s[38:39] scale_offset
	s_wait_xcnt 0x0
	s_or_b32 exec_lo, exec_lo, s27
	v_cmp_lt_u32_e64 s27, v110, v165
	s_and_saveexec_b32 s28, s27
	s_cbranch_execz .LBB804_188
.LBB804_256:                            ;   in Loop: Header=BB804_96 Depth=2
	ds_load_b64 v[58:59], v123 offset:27648
	s_wait_dscnt 0x0
	v_lshrrev_b64 v[72:73], s48, v[58:59]
	v_xor_b32_e32 v59, 0x80000000, v59
	s_delay_alu instid0(VALU_DEP_2) | instskip(NEXT) | instid1(VALU_DEP_1)
	v_and_b32_e32 v72, s56, v72
	v_lshlrev_b32_e32 v72, 2, v72
	ds_load_b32 v72, v72
	s_wait_dscnt 0x0
	v_add_nc_u32_e32 v72, v72, v110
	global_store_b64 v72, v[58:59], s[38:39] scale_offset
	s_wait_xcnt 0x0
	s_or_b32 exec_lo, exec_lo, s28
	v_cmp_lt_u32_e64 s28, v111, v165
	s_and_saveexec_b32 s29, s28
	s_cbranch_execz .LBB804_189
.LBB804_257:                            ;   in Loop: Header=BB804_96 Depth=2
	ds_load_b64 v[58:59], v123 offset:29696
	s_wait_dscnt 0x0
	v_lshrrev_b64 v[72:73], s48, v[58:59]
	v_xor_b32_e32 v59, 0x80000000, v59
	s_delay_alu instid0(VALU_DEP_2) | instskip(NEXT) | instid1(VALU_DEP_1)
	v_and_b32_e32 v72, s56, v72
	v_lshlrev_b32_e32 v72, 2, v72
	ds_load_b32 v72, v72
	s_wait_dscnt 0x0
	v_add_nc_u32_e32 v72, v72, v111
	global_store_b64 v72, v[58:59], s[38:39] scale_offset
	s_wait_xcnt 0x0
	s_or_b32 exec_lo, exec_lo, s29
	v_cmp_lt_u32_e64 s29, v112, v165
	s_and_saveexec_b32 s59, s29
	s_cbranch_execnz .LBB804_190
	s_branch .LBB804_191
.LBB804_258:                            ;   in Loop: Header=BB804_96 Depth=2
	global_load_b64 v[56:57], v[58:59], off
	s_wait_xcnt 0x0
	s_or_b32 exec_lo, exec_lo, s30
	s_delay_alu instid0(SALU_CYCLE_1)
	s_mov_b32 s59, exec_lo
	v_cmpx_lt_u32_e64 v132, v165
	s_cbranch_execz .LBB804_193
.LBB804_259:                            ;   in Loop: Header=BB804_96 Depth=2
	global_load_b64 v[54:55], v[58:59], off offset:256
	s_wait_xcnt 0x0
	s_or_b32 exec_lo, exec_lo, s59
	s_delay_alu instid0(SALU_CYCLE_1)
	s_mov_b32 s59, exec_lo
	v_cmpx_lt_u32_e64 v133, v165
	s_cbranch_execz .LBB804_194
.LBB804_260:                            ;   in Loop: Header=BB804_96 Depth=2
	global_load_b64 v[52:53], v[58:59], off offset:512
	s_wait_xcnt 0x0
	s_or_b32 exec_lo, exec_lo, s59
	s_delay_alu instid0(SALU_CYCLE_1)
	s_mov_b32 s59, exec_lo
	v_cmpx_lt_u32_e64 v134, v165
	s_cbranch_execz .LBB804_195
.LBB804_261:                            ;   in Loop: Header=BB804_96 Depth=2
	global_load_b64 v[50:51], v[58:59], off offset:768
	s_wait_xcnt 0x0
	s_or_b32 exec_lo, exec_lo, s59
	s_delay_alu instid0(SALU_CYCLE_1)
	s_mov_b32 s59, exec_lo
	v_cmpx_lt_u32_e64 v135, v165
	s_cbranch_execz .LBB804_196
.LBB804_262:                            ;   in Loop: Header=BB804_96 Depth=2
	global_load_b64 v[48:49], v[58:59], off offset:1024
	s_wait_xcnt 0x0
	s_or_b32 exec_lo, exec_lo, s59
	s_delay_alu instid0(SALU_CYCLE_1)
	s_mov_b32 s59, exec_lo
	v_cmpx_lt_u32_e64 v136, v165
	s_cbranch_execz .LBB804_197
.LBB804_263:                            ;   in Loop: Header=BB804_96 Depth=2
	global_load_b64 v[46:47], v[58:59], off offset:1280
	s_wait_xcnt 0x0
	s_or_b32 exec_lo, exec_lo, s59
	s_delay_alu instid0(SALU_CYCLE_1)
	s_mov_b32 s59, exec_lo
	v_cmpx_lt_u32_e64 v137, v165
	s_cbranch_execz .LBB804_198
.LBB804_264:                            ;   in Loop: Header=BB804_96 Depth=2
	global_load_b64 v[44:45], v[58:59], off offset:1536
	s_wait_xcnt 0x0
	s_or_b32 exec_lo, exec_lo, s59
	s_delay_alu instid0(SALU_CYCLE_1)
	s_mov_b32 s59, exec_lo
	v_cmpx_lt_u32_e64 v138, v165
	s_cbranch_execz .LBB804_199
.LBB804_265:                            ;   in Loop: Header=BB804_96 Depth=2
	global_load_b64 v[42:43], v[58:59], off offset:1792
	s_wait_xcnt 0x0
	s_or_b32 exec_lo, exec_lo, s59
	s_delay_alu instid0(SALU_CYCLE_1)
	s_mov_b32 s59, exec_lo
	v_cmpx_lt_u32_e64 v139, v165
	s_cbranch_execz .LBB804_200
.LBB804_266:                            ;   in Loop: Header=BB804_96 Depth=2
	global_load_b64 v[40:41], v[58:59], off offset:2048
	s_wait_xcnt 0x0
	s_or_b32 exec_lo, exec_lo, s59
	s_delay_alu instid0(SALU_CYCLE_1)
	s_mov_b32 s59, exec_lo
	v_cmpx_lt_u32_e64 v140, v165
	s_cbranch_execz .LBB804_201
.LBB804_267:                            ;   in Loop: Header=BB804_96 Depth=2
	global_load_b64 v[38:39], v[58:59], off offset:2304
	s_wait_xcnt 0x0
	s_or_b32 exec_lo, exec_lo, s59
	s_delay_alu instid0(SALU_CYCLE_1)
	s_mov_b32 s59, exec_lo
	v_cmpx_lt_u32_e64 v141, v165
	s_cbranch_execz .LBB804_202
.LBB804_268:                            ;   in Loop: Header=BB804_96 Depth=2
	global_load_b64 v[36:37], v[58:59], off offset:2560
	s_wait_xcnt 0x0
	s_or_b32 exec_lo, exec_lo, s59
	s_delay_alu instid0(SALU_CYCLE_1)
	s_mov_b32 s59, exec_lo
	v_cmpx_lt_u32_e64 v142, v165
	s_cbranch_execz .LBB804_203
.LBB804_269:                            ;   in Loop: Header=BB804_96 Depth=2
	global_load_b64 v[34:35], v[58:59], off offset:2816
	s_wait_xcnt 0x0
	s_or_b32 exec_lo, exec_lo, s59
	s_delay_alu instid0(SALU_CYCLE_1)
	s_mov_b32 s59, exec_lo
	v_cmpx_lt_u32_e64 v143, v165
	s_cbranch_execz .LBB804_204
.LBB804_270:                            ;   in Loop: Header=BB804_96 Depth=2
	global_load_b64 v[32:33], v[58:59], off offset:3072
	s_wait_xcnt 0x0
	s_or_b32 exec_lo, exec_lo, s59
	s_delay_alu instid0(SALU_CYCLE_1)
	s_mov_b32 s59, exec_lo
	v_cmpx_lt_u32_e64 v144, v165
	s_cbranch_execz .LBB804_205
.LBB804_271:                            ;   in Loop: Header=BB804_96 Depth=2
	global_load_b64 v[30:31], v[58:59], off offset:3328
	s_wait_xcnt 0x0
	s_or_b32 exec_lo, exec_lo, s59
	s_delay_alu instid0(SALU_CYCLE_1)
	s_mov_b32 s59, exec_lo
	v_cmpx_lt_u32_e64 v145, v165
	s_cbranch_execz .LBB804_206
.LBB804_272:                            ;   in Loop: Header=BB804_96 Depth=2
	global_load_b64 v[28:29], v[58:59], off offset:3584
	s_wait_xcnt 0x0
	s_or_b32 exec_lo, exec_lo, s59
	s_delay_alu instid0(SALU_CYCLE_1)
	s_mov_b32 s59, exec_lo
	v_cmpx_lt_u32_e64 v146, v165
	s_cbranch_execz .LBB804_207
.LBB804_273:                            ;   in Loop: Header=BB804_96 Depth=2
	global_load_b64 v[26:27], v[58:59], off offset:3840
	s_wait_xcnt 0x0
	s_or_b32 exec_lo, exec_lo, s59
	s_and_saveexec_b32 s30, vcc_lo
	s_cbranch_execz .LBB804_208
.LBB804_274:                            ;   in Loop: Header=BB804_96 Depth=2
	ds_load_b64 v[58:59], v123 offset:1024
	s_wait_dscnt 0x0
	v_lshrrev_b64 v[58:59], s48, v[58:59]
	s_delay_alu instid0(VALU_DEP_1)
	v_and_b32_e32 v164, s56, v58
	s_or_b32 exec_lo, exec_lo, s30
	s_and_saveexec_b32 s30, s15
	s_cbranch_execz .LBB804_209
.LBB804_275:                            ;   in Loop: Header=BB804_96 Depth=2
	ds_load_b64 v[58:59], v123 offset:3072
	s_wait_dscnt 0x0
	v_lshrrev_b64 v[58:59], s48, v[58:59]
	s_delay_alu instid0(VALU_DEP_1)
	v_and_b32_e32 v163, s56, v58
	s_or_b32 exec_lo, exec_lo, s30
	s_and_saveexec_b32 s30, s16
	s_cbranch_execz .LBB804_210
.LBB804_276:                            ;   in Loop: Header=BB804_96 Depth=2
	ds_load_b64 v[58:59], v123 offset:5120
	s_wait_dscnt 0x0
	v_lshrrev_b64 v[58:59], s48, v[58:59]
	s_delay_alu instid0(VALU_DEP_1)
	v_and_b32_e32 v162, s56, v58
	s_or_b32 exec_lo, exec_lo, s30
	s_and_saveexec_b32 s30, s17
	s_cbranch_execz .LBB804_211
.LBB804_277:                            ;   in Loop: Header=BB804_96 Depth=2
	ds_load_b64 v[58:59], v123 offset:7168
	s_wait_dscnt 0x0
	v_lshrrev_b64 v[58:59], s48, v[58:59]
	s_delay_alu instid0(VALU_DEP_1)
	v_and_b32_e32 v161, s56, v58
	s_or_b32 exec_lo, exec_lo, s30
	s_and_saveexec_b32 s30, s18
	s_cbranch_execz .LBB804_212
.LBB804_278:                            ;   in Loop: Header=BB804_96 Depth=2
	ds_load_b64 v[58:59], v123 offset:9216
	s_wait_dscnt 0x0
	v_lshrrev_b64 v[58:59], s48, v[58:59]
	s_delay_alu instid0(VALU_DEP_1)
	v_and_b32_e32 v160, s56, v58
	s_or_b32 exec_lo, exec_lo, s30
	s_and_saveexec_b32 s30, s19
	s_cbranch_execz .LBB804_213
.LBB804_279:                            ;   in Loop: Header=BB804_96 Depth=2
	ds_load_b64 v[58:59], v123 offset:11264
	s_wait_dscnt 0x0
	v_lshrrev_b64 v[58:59], s48, v[58:59]
	s_delay_alu instid0(VALU_DEP_1)
	v_and_b32_e32 v159, s56, v58
	s_or_b32 exec_lo, exec_lo, s30
	s_and_saveexec_b32 s30, s20
	s_cbranch_execz .LBB804_214
.LBB804_280:                            ;   in Loop: Header=BB804_96 Depth=2
	ds_load_b64 v[58:59], v123 offset:13312
	s_wait_dscnt 0x0
	v_lshrrev_b64 v[58:59], s48, v[58:59]
	s_delay_alu instid0(VALU_DEP_1)
	v_and_b32_e32 v158, s56, v58
	s_or_b32 exec_lo, exec_lo, s30
	s_and_saveexec_b32 s30, s21
	s_cbranch_execz .LBB804_215
.LBB804_281:                            ;   in Loop: Header=BB804_96 Depth=2
	ds_load_b64 v[58:59], v123 offset:15360
	s_wait_dscnt 0x0
	v_lshrrev_b64 v[58:59], s48, v[58:59]
	s_delay_alu instid0(VALU_DEP_1)
	v_and_b32_e32 v157, s56, v58
	s_or_b32 exec_lo, exec_lo, s30
	s_and_saveexec_b32 s30, s22
	s_cbranch_execz .LBB804_216
.LBB804_282:                            ;   in Loop: Header=BB804_96 Depth=2
	ds_load_b64 v[58:59], v123 offset:17408
	s_wait_dscnt 0x0
	v_lshrrev_b64 v[58:59], s48, v[58:59]
	s_delay_alu instid0(VALU_DEP_1)
	v_and_b32_e32 v156, s56, v58
	s_or_b32 exec_lo, exec_lo, s30
	s_and_saveexec_b32 s30, s23
	s_cbranch_execz .LBB804_217
.LBB804_283:                            ;   in Loop: Header=BB804_96 Depth=2
	ds_load_b64 v[58:59], v123 offset:19456
	s_wait_dscnt 0x0
	v_lshrrev_b64 v[58:59], s48, v[58:59]
	s_delay_alu instid0(VALU_DEP_1)
	v_and_b32_e32 v155, s56, v58
	s_or_b32 exec_lo, exec_lo, s30
	s_and_saveexec_b32 s30, s24
	s_cbranch_execz .LBB804_218
.LBB804_284:                            ;   in Loop: Header=BB804_96 Depth=2
	ds_load_b64 v[58:59], v123 offset:21504
	s_wait_dscnt 0x0
	v_lshrrev_b64 v[58:59], s48, v[58:59]
	s_delay_alu instid0(VALU_DEP_1)
	v_and_b32_e32 v154, s56, v58
	s_or_b32 exec_lo, exec_lo, s30
	s_and_saveexec_b32 s30, s25
	s_cbranch_execz .LBB804_219
.LBB804_285:                            ;   in Loop: Header=BB804_96 Depth=2
	ds_load_b64 v[58:59], v123 offset:23552
	s_wait_dscnt 0x0
	v_lshrrev_b64 v[58:59], s48, v[58:59]
	s_delay_alu instid0(VALU_DEP_1)
	v_and_b32_e32 v153, s56, v58
	s_or_b32 exec_lo, exec_lo, s30
	s_and_saveexec_b32 s30, s26
	s_cbranch_execz .LBB804_220
.LBB804_286:                            ;   in Loop: Header=BB804_96 Depth=2
	ds_load_b64 v[58:59], v123 offset:25600
	s_wait_dscnt 0x0
	v_lshrrev_b64 v[58:59], s48, v[58:59]
	s_delay_alu instid0(VALU_DEP_1)
	v_and_b32_e32 v152, s56, v58
	s_or_b32 exec_lo, exec_lo, s30
	s_and_saveexec_b32 s30, s27
	s_cbranch_execz .LBB804_221
.LBB804_287:                            ;   in Loop: Header=BB804_96 Depth=2
	ds_load_b64 v[58:59], v123 offset:27648
	s_wait_dscnt 0x0
	v_lshrrev_b64 v[58:59], s48, v[58:59]
	s_delay_alu instid0(VALU_DEP_1)
	v_and_b32_e32 v151, s56, v58
	s_or_b32 exec_lo, exec_lo, s30
	s_and_saveexec_b32 s30, s28
	s_cbranch_execz .LBB804_222
.LBB804_288:                            ;   in Loop: Header=BB804_96 Depth=2
	ds_load_b64 v[58:59], v123 offset:29696
	s_wait_dscnt 0x0
	v_lshrrev_b64 v[58:59], s48, v[58:59]
	s_delay_alu instid0(VALU_DEP_1)
	v_and_b32_e32 v150, s56, v58
	s_or_b32 exec_lo, exec_lo, s30
	s_and_saveexec_b32 s30, s29
	s_cbranch_execnz .LBB804_223
	s_branch .LBB804_224
.LBB804_289:                            ;   in Loop: Header=BB804_96 Depth=2
	v_lshlrev_b32_e32 v58, 2, v164
	ds_load_b32 v60, v58
	ds_load_b64 v[58:59], v123 offset:1024
	s_wait_dscnt 0x1
	v_add_nc_u32_e32 v60, v60, v2
	s_wait_dscnt 0x0
	global_store_b64 v60, v[58:59], s[44:45] scale_offset
	s_wait_xcnt 0x0
	s_or_b32 exec_lo, exec_lo, s30
	s_and_saveexec_b32 s30, s15
	s_cbranch_execz .LBB804_226
.LBB804_290:                            ;   in Loop: Header=BB804_96 Depth=2
	v_lshlrev_b32_e32 v58, 2, v163
	ds_load_b32 v60, v58
	ds_load_b64 v[58:59], v123 offset:3072
	s_wait_dscnt 0x1
	v_add_nc_u32_e32 v60, v60, v98
	s_wait_dscnt 0x0
	global_store_b64 v60, v[58:59], s[44:45] scale_offset
	s_wait_xcnt 0x0
	s_or_b32 exec_lo, exec_lo, s30
	s_and_saveexec_b32 s15, s16
	s_cbranch_execz .LBB804_227
.LBB804_291:                            ;   in Loop: Header=BB804_96 Depth=2
	v_lshlrev_b32_e32 v58, 2, v162
	ds_load_b32 v60, v58
	ds_load_b64 v[58:59], v123 offset:5120
	s_wait_dscnt 0x1
	v_add_nc_u32_e32 v60, v60, v99
	s_wait_dscnt 0x0
	global_store_b64 v60, v[58:59], s[44:45] scale_offset
	s_wait_xcnt 0x0
	s_or_b32 exec_lo, exec_lo, s15
	s_and_saveexec_b32 s15, s17
	s_cbranch_execz .LBB804_228
.LBB804_292:                            ;   in Loop: Header=BB804_96 Depth=2
	v_lshlrev_b32_e32 v58, 2, v161
	ds_load_b32 v60, v58
	ds_load_b64 v[58:59], v123 offset:7168
	s_wait_dscnt 0x1
	v_add_nc_u32_e32 v60, v60, v100
	s_wait_dscnt 0x0
	global_store_b64 v60, v[58:59], s[44:45] scale_offset
	s_wait_xcnt 0x0
	s_or_b32 exec_lo, exec_lo, s15
	s_and_saveexec_b32 s15, s18
	s_cbranch_execz .LBB804_229
.LBB804_293:                            ;   in Loop: Header=BB804_96 Depth=2
	v_lshlrev_b32_e32 v58, 2, v160
	ds_load_b32 v60, v58
	ds_load_b64 v[58:59], v123 offset:9216
	s_wait_dscnt 0x1
	v_add_nc_u32_e32 v60, v60, v101
	s_wait_dscnt 0x0
	global_store_b64 v60, v[58:59], s[44:45] scale_offset
	s_wait_xcnt 0x0
	s_or_b32 exec_lo, exec_lo, s15
	s_and_saveexec_b32 s15, s19
	s_cbranch_execz .LBB804_230
.LBB804_294:                            ;   in Loop: Header=BB804_96 Depth=2
	v_lshlrev_b32_e32 v58, 2, v159
	ds_load_b32 v60, v58
	ds_load_b64 v[58:59], v123 offset:11264
	s_wait_dscnt 0x1
	v_add_nc_u32_e32 v60, v60, v102
	s_wait_dscnt 0x0
	global_store_b64 v60, v[58:59], s[44:45] scale_offset
	s_wait_xcnt 0x0
	s_or_b32 exec_lo, exec_lo, s15
	s_and_saveexec_b32 s15, s20
	s_cbranch_execz .LBB804_231
.LBB804_295:                            ;   in Loop: Header=BB804_96 Depth=2
	v_lshlrev_b32_e32 v58, 2, v158
	ds_load_b32 v60, v58
	ds_load_b64 v[58:59], v123 offset:13312
	s_wait_dscnt 0x1
	v_add_nc_u32_e32 v60, v60, v103
	s_wait_dscnt 0x0
	global_store_b64 v60, v[58:59], s[44:45] scale_offset
	s_wait_xcnt 0x0
	s_or_b32 exec_lo, exec_lo, s15
	s_and_saveexec_b32 s15, s21
	s_cbranch_execz .LBB804_232
.LBB804_296:                            ;   in Loop: Header=BB804_96 Depth=2
	v_lshlrev_b32_e32 v58, 2, v157
	ds_load_b32 v60, v58
	ds_load_b64 v[58:59], v123 offset:15360
	s_wait_dscnt 0x1
	v_add_nc_u32_e32 v60, v60, v104
	s_wait_dscnt 0x0
	global_store_b64 v60, v[58:59], s[44:45] scale_offset
	s_wait_xcnt 0x0
	s_or_b32 exec_lo, exec_lo, s15
	s_and_saveexec_b32 s15, s22
	s_cbranch_execz .LBB804_233
.LBB804_297:                            ;   in Loop: Header=BB804_96 Depth=2
	v_lshlrev_b32_e32 v58, 2, v156
	ds_load_b32 v60, v58
	ds_load_b64 v[58:59], v123 offset:17408
	s_wait_dscnt 0x1
	v_add_nc_u32_e32 v60, v60, v105
	s_wait_dscnt 0x0
	global_store_b64 v60, v[58:59], s[44:45] scale_offset
	s_wait_xcnt 0x0
	s_or_b32 exec_lo, exec_lo, s15
	s_and_saveexec_b32 s15, s23
	s_cbranch_execz .LBB804_234
.LBB804_298:                            ;   in Loop: Header=BB804_96 Depth=2
	v_lshlrev_b32_e32 v58, 2, v155
	ds_load_b32 v60, v58
	ds_load_b64 v[58:59], v123 offset:19456
	s_wait_dscnt 0x1
	v_add_nc_u32_e32 v60, v60, v106
	s_wait_dscnt 0x0
	global_store_b64 v60, v[58:59], s[44:45] scale_offset
	s_wait_xcnt 0x0
	s_or_b32 exec_lo, exec_lo, s15
	s_and_saveexec_b32 s15, s24
	s_cbranch_execz .LBB804_235
.LBB804_299:                            ;   in Loop: Header=BB804_96 Depth=2
	v_lshlrev_b32_e32 v58, 2, v154
	ds_load_b32 v60, v58
	ds_load_b64 v[58:59], v123 offset:21504
	s_wait_dscnt 0x1
	v_add_nc_u32_e32 v60, v60, v107
	s_wait_dscnt 0x0
	global_store_b64 v60, v[58:59], s[44:45] scale_offset
	s_wait_xcnt 0x0
	s_or_b32 exec_lo, exec_lo, s15
	s_and_saveexec_b32 s15, s25
	s_cbranch_execz .LBB804_236
.LBB804_300:                            ;   in Loop: Header=BB804_96 Depth=2
	v_lshlrev_b32_e32 v58, 2, v153
	ds_load_b32 v60, v58
	ds_load_b64 v[58:59], v123 offset:23552
	s_wait_dscnt 0x1
	v_add_nc_u32_e32 v60, v60, v108
	s_wait_dscnt 0x0
	global_store_b64 v60, v[58:59], s[44:45] scale_offset
	s_wait_xcnt 0x0
	s_or_b32 exec_lo, exec_lo, s15
	s_and_saveexec_b32 s15, s26
	s_cbranch_execz .LBB804_237
.LBB804_301:                            ;   in Loop: Header=BB804_96 Depth=2
	v_lshlrev_b32_e32 v58, 2, v152
	ds_load_b32 v60, v58
	ds_load_b64 v[58:59], v123 offset:25600
	s_wait_dscnt 0x1
	v_add_nc_u32_e32 v60, v60, v109
	s_wait_dscnt 0x0
	global_store_b64 v60, v[58:59], s[44:45] scale_offset
	s_wait_xcnt 0x0
	s_or_b32 exec_lo, exec_lo, s15
	s_and_saveexec_b32 s15, s27
	s_cbranch_execz .LBB804_238
.LBB804_302:                            ;   in Loop: Header=BB804_96 Depth=2
	v_lshlrev_b32_e32 v58, 2, v151
	ds_load_b32 v60, v58
	ds_load_b64 v[58:59], v123 offset:27648
	s_wait_dscnt 0x1
	v_add_nc_u32_e32 v60, v60, v110
	s_wait_dscnt 0x0
	global_store_b64 v60, v[58:59], s[44:45] scale_offset
	s_wait_xcnt 0x0
	s_or_b32 exec_lo, exec_lo, s15
	s_and_saveexec_b32 s15, s28
	s_cbranch_execz .LBB804_239
.LBB804_303:                            ;   in Loop: Header=BB804_96 Depth=2
	v_lshlrev_b32_e32 v58, 2, v150
	ds_load_b32 v60, v58
	ds_load_b64 v[58:59], v123 offset:29696
	s_wait_dscnt 0x1
	v_add_nc_u32_e32 v60, v60, v111
	s_wait_dscnt 0x0
	global_store_b64 v60, v[58:59], s[44:45] scale_offset
	s_wait_xcnt 0x0
	s_or_b32 exec_lo, exec_lo, s15
	s_and_saveexec_b32 s15, s29
	s_cbranch_execnz .LBB804_240
	s_branch .LBB804_241
.LBB804_304:                            ;   in Loop: Header=BB804_12 Depth=1
	s_wait_dscnt 0x0
	s_barrier_signal -1
	s_mov_b32 s7, 0
	s_barrier_wait -1
.LBB804_305:                            ;   in Loop: Header=BB804_12 Depth=1
	s_and_b32 vcc_lo, exec_lo, s7
	s_cbranch_vccz .LBB804_597
; %bb.306:                              ;   in Loop: Header=BB804_12 Depth=1
	s_mov_b32 s7, s54
	s_mov_b32 s30, s52
	s_barrier_signal -1
	s_barrier_wait -1
                                        ; implicit-def: $vgpr22_vgpr23
                                        ; implicit-def: $vgpr24_vgpr25
                                        ; implicit-def: $vgpr26_vgpr27
                                        ; implicit-def: $vgpr28_vgpr29
                                        ; implicit-def: $vgpr30_vgpr31
                                        ; implicit-def: $vgpr32_vgpr33
                                        ; implicit-def: $vgpr34_vgpr35
                                        ; implicit-def: $vgpr36_vgpr37
                                        ; implicit-def: $vgpr38_vgpr39
                                        ; implicit-def: $vgpr40_vgpr41
                                        ; implicit-def: $vgpr42_vgpr43
                                        ; implicit-def: $vgpr44_vgpr45
                                        ; implicit-def: $vgpr46_vgpr47
                                        ; implicit-def: $vgpr48_vgpr49
                                        ; implicit-def: $vgpr50_vgpr51
                                        ; implicit-def: $vgpr52_vgpr53
	s_branch .LBB804_308
.LBB804_307:                            ;   in Loop: Header=BB804_308 Depth=2
	s_or_b32 exec_lo, exec_lo, s8
	s_addk_co_i32 s7, 0xf000
	s_cmp_ge_u32 s10, s51
	s_mov_b32 s30, s10
	s_cbranch_scc1 .LBB804_376
.LBB804_308:                            ;   Parent Loop BB804_12 Depth=1
                                        ; =>  This Inner Loop Header: Depth=2
	s_add_co_i32 s10, s30, 0x1000
	s_mov_b32 s8, -1
	s_cmp_gt_u32 s10, s51
                                        ; implicit-def: $vgpr54_vgpr55
                                        ; implicit-def: $vgpr56_vgpr57
                                        ; implicit-def: $vgpr58_vgpr59
                                        ; implicit-def: $vgpr60_vgpr61
                                        ; implicit-def: $vgpr62_vgpr63
                                        ; implicit-def: $vgpr64_vgpr65
                                        ; implicit-def: $vgpr66_vgpr67
                                        ; implicit-def: $vgpr68_vgpr69
                                        ; implicit-def: $vgpr70_vgpr71
                                        ; implicit-def: $vgpr72_vgpr73
                                        ; implicit-def: $vgpr74_vgpr75
                                        ; implicit-def: $vgpr76_vgpr77
                                        ; implicit-def: $vgpr78_vgpr79
                                        ; implicit-def: $vgpr80_vgpr81
                                        ; implicit-def: $vgpr82_vgpr83
                                        ; implicit-def: $vgpr84_vgpr85
	s_cbranch_scc1 .LBB804_310
; %bb.309:                              ;   in Loop: Header=BB804_308 Depth=2
	v_lshl_add_u64 v[84:85], s[30:31], 3, v[10:11]
	s_mov_b32 s8, 0
	s_clause 0xf
	global_load_b64 v[54:55], v[84:85], off
	global_load_b64 v[56:57], v[84:85], off offset:2048
	global_load_b64 v[58:59], v[84:85], off offset:4096
	;; [unrolled: 1-line block ×15, first 2 shown]
.LBB804_310:                            ;   in Loop: Header=BB804_308 Depth=2
	s_and_not1_b32 vcc_lo, exec_lo, s8
	s_movk_i32 s8, 0x1000
	s_cbranch_vccnz .LBB804_329
; %bb.311:                              ;   in Loop: Header=BB804_308 Depth=2
	s_lshl_b64 s[8:9], s[30:31], 3
	s_mov_b32 s11, exec_lo
	s_add_nc_u64 s[8:9], s[38:39], s[8:9]
	s_wait_xcnt 0x0
	v_cmpx_gt_u32_e64 s7, v2
	s_cbranch_execnz .LBB804_361
; %bb.312:                              ;   in Loop: Header=BB804_308 Depth=2
	s_or_b32 exec_lo, exec_lo, s11
	s_delay_alu instid0(SALU_CYCLE_1)
	s_mov_b32 s11, exec_lo
	v_cmpx_gt_u32_e64 s7, v98
	s_cbranch_execnz .LBB804_362
.LBB804_313:                            ;   in Loop: Header=BB804_308 Depth=2
	s_or_b32 exec_lo, exec_lo, s11
	s_delay_alu instid0(SALU_CYCLE_1)
	s_mov_b32 s11, exec_lo
	v_cmpx_gt_u32_e64 s7, v99
	s_cbranch_execnz .LBB804_363
.LBB804_314:                            ;   in Loop: Header=BB804_308 Depth=2
	s_or_b32 exec_lo, exec_lo, s11
	s_delay_alu instid0(SALU_CYCLE_1)
	s_mov_b32 s11, exec_lo
	v_cmpx_gt_u32_e64 s7, v100
	s_cbranch_execnz .LBB804_364
.LBB804_315:                            ;   in Loop: Header=BB804_308 Depth=2
	s_or_b32 exec_lo, exec_lo, s11
	s_delay_alu instid0(SALU_CYCLE_1)
	s_mov_b32 s11, exec_lo
	v_cmpx_gt_u32_e64 s7, v101
	s_cbranch_execnz .LBB804_365
.LBB804_316:                            ;   in Loop: Header=BB804_308 Depth=2
	s_or_b32 exec_lo, exec_lo, s11
	s_delay_alu instid0(SALU_CYCLE_1)
	s_mov_b32 s11, exec_lo
	v_cmpx_gt_u32_e64 s7, v102
	s_cbranch_execnz .LBB804_366
.LBB804_317:                            ;   in Loop: Header=BB804_308 Depth=2
	s_or_b32 exec_lo, exec_lo, s11
	s_delay_alu instid0(SALU_CYCLE_1)
	s_mov_b32 s11, exec_lo
	v_cmpx_gt_u32_e64 s7, v103
	s_cbranch_execnz .LBB804_367
.LBB804_318:                            ;   in Loop: Header=BB804_308 Depth=2
	s_or_b32 exec_lo, exec_lo, s11
	s_delay_alu instid0(SALU_CYCLE_1)
	s_mov_b32 s11, exec_lo
	v_cmpx_gt_u32_e64 s7, v104
	s_cbranch_execnz .LBB804_368
.LBB804_319:                            ;   in Loop: Header=BB804_308 Depth=2
	s_or_b32 exec_lo, exec_lo, s11
	s_delay_alu instid0(SALU_CYCLE_1)
	s_mov_b32 s11, exec_lo
	v_cmpx_gt_u32_e64 s7, v105
	s_cbranch_execnz .LBB804_369
.LBB804_320:                            ;   in Loop: Header=BB804_308 Depth=2
	s_or_b32 exec_lo, exec_lo, s11
	s_delay_alu instid0(SALU_CYCLE_1)
	s_mov_b32 s11, exec_lo
	v_cmpx_gt_u32_e64 s7, v106
	s_cbranch_execnz .LBB804_370
.LBB804_321:                            ;   in Loop: Header=BB804_308 Depth=2
	s_or_b32 exec_lo, exec_lo, s11
	s_delay_alu instid0(SALU_CYCLE_1)
	s_mov_b32 s11, exec_lo
	v_cmpx_gt_u32_e64 s7, v107
	s_cbranch_execnz .LBB804_371
.LBB804_322:                            ;   in Loop: Header=BB804_308 Depth=2
	s_or_b32 exec_lo, exec_lo, s11
	s_delay_alu instid0(SALU_CYCLE_1)
	s_mov_b32 s11, exec_lo
	v_cmpx_gt_u32_e64 s7, v108
	s_cbranch_execnz .LBB804_372
.LBB804_323:                            ;   in Loop: Header=BB804_308 Depth=2
	s_or_b32 exec_lo, exec_lo, s11
	s_delay_alu instid0(SALU_CYCLE_1)
	s_mov_b32 s11, exec_lo
	v_cmpx_gt_u32_e64 s7, v109
	s_cbranch_execnz .LBB804_373
.LBB804_324:                            ;   in Loop: Header=BB804_308 Depth=2
	s_or_b32 exec_lo, exec_lo, s11
	s_delay_alu instid0(SALU_CYCLE_1)
	s_mov_b32 s11, exec_lo
	v_cmpx_gt_u32_e64 s7, v110
	s_cbranch_execnz .LBB804_374
.LBB804_325:                            ;   in Loop: Header=BB804_308 Depth=2
	s_or_b32 exec_lo, exec_lo, s11
	s_delay_alu instid0(SALU_CYCLE_1)
	s_mov_b32 s11, exec_lo
	v_cmpx_gt_u32_e64 s7, v111
	s_cbranch_execnz .LBB804_375
.LBB804_326:                            ;   in Loop: Header=BB804_308 Depth=2
	s_or_b32 exec_lo, exec_lo, s11
	s_delay_alu instid0(SALU_CYCLE_1)
	s_mov_b32 s11, exec_lo
	v_cmpx_gt_u32_e64 s7, v112
	s_cbranch_execz .LBB804_328
.LBB804_327:                            ;   in Loop: Header=BB804_308 Depth=2
	global_load_b64 v[22:23], v2, s[8:9] offset:30720 scale_offset
.LBB804_328:                            ;   in Loop: Header=BB804_308 Depth=2
	s_wait_xcnt 0x0
	s_or_b32 exec_lo, exec_lo, s11
	s_wait_loadcnt 0x0
	v_mov_b64_e32 v[54:55], v[52:53]
	v_mov_b64_e32 v[56:57], v[50:51]
	;; [unrolled: 1-line block ×16, first 2 shown]
	s_mov_b32 s8, s7
.LBB804_329:                            ;   in Loop: Header=BB804_308 Depth=2
	s_wait_loadcnt 0x0
	s_delay_alu instid0(VALU_DEP_1) | instskip(NEXT) | instid1(VALU_DEP_3)
	v_mov_b64_e32 v[22:23], v[84:85]
	v_mov_b64_e32 v[24:25], v[82:83]
	;; [unrolled: 1-line block ×16, first 2 shown]
	s_mov_b32 s9, exec_lo
	s_wait_xcnt 0x0
	v_cmpx_gt_u32_e64 s8, v2
	s_cbranch_execnz .LBB804_345
; %bb.330:                              ;   in Loop: Header=BB804_308 Depth=2
	s_or_b32 exec_lo, exec_lo, s9
	s_delay_alu instid0(SALU_CYCLE_1)
	s_mov_b32 s9, exec_lo
	v_cmpx_gt_u32_e64 s8, v98
	s_cbranch_execnz .LBB804_346
.LBB804_331:                            ;   in Loop: Header=BB804_308 Depth=2
	s_or_b32 exec_lo, exec_lo, s9
	s_delay_alu instid0(SALU_CYCLE_1)
	s_mov_b32 s9, exec_lo
	v_cmpx_gt_u32_e64 s8, v99
	s_cbranch_execnz .LBB804_347
.LBB804_332:                            ;   in Loop: Header=BB804_308 Depth=2
	s_or_b32 exec_lo, exec_lo, s9
	s_delay_alu instid0(SALU_CYCLE_1)
	s_mov_b32 s9, exec_lo
	v_cmpx_gt_u32_e64 s8, v100
	s_cbranch_execnz .LBB804_348
.LBB804_333:                            ;   in Loop: Header=BB804_308 Depth=2
	s_or_b32 exec_lo, exec_lo, s9
	s_delay_alu instid0(SALU_CYCLE_1)
	s_mov_b32 s9, exec_lo
	v_cmpx_gt_u32_e64 s8, v101
	s_cbranch_execnz .LBB804_349
.LBB804_334:                            ;   in Loop: Header=BB804_308 Depth=2
	s_or_b32 exec_lo, exec_lo, s9
	s_delay_alu instid0(SALU_CYCLE_1)
	s_mov_b32 s9, exec_lo
	v_cmpx_gt_u32_e64 s8, v102
	s_cbranch_execnz .LBB804_350
.LBB804_335:                            ;   in Loop: Header=BB804_308 Depth=2
	s_or_b32 exec_lo, exec_lo, s9
	s_delay_alu instid0(SALU_CYCLE_1)
	s_mov_b32 s9, exec_lo
	v_cmpx_gt_u32_e64 s8, v103
	s_cbranch_execnz .LBB804_351
.LBB804_336:                            ;   in Loop: Header=BB804_308 Depth=2
	s_or_b32 exec_lo, exec_lo, s9
	s_delay_alu instid0(SALU_CYCLE_1)
	s_mov_b32 s9, exec_lo
	v_cmpx_gt_u32_e64 s8, v104
	s_cbranch_execnz .LBB804_352
.LBB804_337:                            ;   in Loop: Header=BB804_308 Depth=2
	s_or_b32 exec_lo, exec_lo, s9
	s_delay_alu instid0(SALU_CYCLE_1)
	s_mov_b32 s9, exec_lo
	v_cmpx_gt_u32_e64 s8, v105
	s_cbranch_execnz .LBB804_353
.LBB804_338:                            ;   in Loop: Header=BB804_308 Depth=2
	s_or_b32 exec_lo, exec_lo, s9
	s_delay_alu instid0(SALU_CYCLE_1)
	s_mov_b32 s9, exec_lo
	v_cmpx_gt_u32_e64 s8, v106
	s_cbranch_execnz .LBB804_354
.LBB804_339:                            ;   in Loop: Header=BB804_308 Depth=2
	s_or_b32 exec_lo, exec_lo, s9
	s_delay_alu instid0(SALU_CYCLE_1)
	s_mov_b32 s9, exec_lo
	v_cmpx_gt_u32_e64 s8, v107
	s_cbranch_execnz .LBB804_355
.LBB804_340:                            ;   in Loop: Header=BB804_308 Depth=2
	s_or_b32 exec_lo, exec_lo, s9
	s_delay_alu instid0(SALU_CYCLE_1)
	s_mov_b32 s9, exec_lo
	v_cmpx_gt_u32_e64 s8, v108
	s_cbranch_execnz .LBB804_356
.LBB804_341:                            ;   in Loop: Header=BB804_308 Depth=2
	s_or_b32 exec_lo, exec_lo, s9
	s_delay_alu instid0(SALU_CYCLE_1)
	s_mov_b32 s9, exec_lo
	v_cmpx_gt_u32_e64 s8, v109
	s_cbranch_execnz .LBB804_357
.LBB804_342:                            ;   in Loop: Header=BB804_308 Depth=2
	s_or_b32 exec_lo, exec_lo, s9
	s_delay_alu instid0(SALU_CYCLE_1)
	s_mov_b32 s9, exec_lo
	v_cmpx_gt_u32_e64 s8, v110
	s_cbranch_execnz .LBB804_358
.LBB804_343:                            ;   in Loop: Header=BB804_308 Depth=2
	s_or_b32 exec_lo, exec_lo, s9
	s_delay_alu instid0(SALU_CYCLE_1)
	s_mov_b32 s9, exec_lo
	v_cmpx_gt_u32_e64 s8, v111
	s_cbranch_execnz .LBB804_359
.LBB804_344:                            ;   in Loop: Header=BB804_308 Depth=2
	s_or_b32 exec_lo, exec_lo, s9
	v_cmp_gt_u32_e32 vcc_lo, s8, v112
	s_and_saveexec_b32 s8, vcc_lo
	s_cbranch_execz .LBB804_307
	s_branch .LBB804_360
.LBB804_345:                            ;   in Loop: Header=BB804_308 Depth=2
	s_delay_alu instid0(VALU_DEP_2) | instskip(NEXT) | instid1(VALU_DEP_3)
	v_xor_b32_e32 v55, 0x80000000, v53
	v_mov_b32_e32 v54, v52
	s_delay_alu instid0(VALU_DEP_1) | instskip(NEXT) | instid1(VALU_DEP_1)
	v_lshrrev_b64 v[54:55], s48, v[54:55]
	v_and_b32_e32 v54, s56, v54
	s_delay_alu instid0(VALU_DEP_1) | instskip(SKIP_2) | instid1(SALU_CYCLE_1)
	v_lshl_or_b32 v54, v54, 4, v113
	ds_add_u32 v54, v125
	s_or_b32 exec_lo, exec_lo, s9
	s_mov_b32 s9, exec_lo
	v_cmpx_gt_u32_e64 s8, v98
	s_cbranch_execz .LBB804_331
.LBB804_346:                            ;   in Loop: Header=BB804_308 Depth=2
	v_xor_b32_e32 v55, 0x80000000, v51
	v_mov_b32_e32 v54, v50
	s_delay_alu instid0(VALU_DEP_1) | instskip(NEXT) | instid1(VALU_DEP_1)
	v_lshrrev_b64 v[54:55], s48, v[54:55]
	v_and_b32_e32 v54, s56, v54
	s_delay_alu instid0(VALU_DEP_1) | instskip(SKIP_2) | instid1(SALU_CYCLE_1)
	v_lshl_or_b32 v54, v54, 4, v113
	ds_add_u32 v54, v125
	s_or_b32 exec_lo, exec_lo, s9
	s_mov_b32 s9, exec_lo
	v_cmpx_gt_u32_e64 s8, v99
	s_cbranch_execz .LBB804_332
.LBB804_347:                            ;   in Loop: Header=BB804_308 Depth=2
	v_xor_b32_e32 v55, 0x80000000, v49
	v_mov_b32_e32 v54, v48
	s_delay_alu instid0(VALU_DEP_1) | instskip(NEXT) | instid1(VALU_DEP_1)
	v_lshrrev_b64 v[54:55], s48, v[54:55]
	v_and_b32_e32 v54, s56, v54
	s_delay_alu instid0(VALU_DEP_1) | instskip(SKIP_2) | instid1(SALU_CYCLE_1)
	v_lshl_or_b32 v54, v54, 4, v113
	ds_add_u32 v54, v125
	s_or_b32 exec_lo, exec_lo, s9
	s_mov_b32 s9, exec_lo
	v_cmpx_gt_u32_e64 s8, v100
	s_cbranch_execz .LBB804_333
.LBB804_348:                            ;   in Loop: Header=BB804_308 Depth=2
	v_xor_b32_e32 v55, 0x80000000, v47
	v_mov_b32_e32 v54, v46
	s_delay_alu instid0(VALU_DEP_1) | instskip(NEXT) | instid1(VALU_DEP_1)
	v_lshrrev_b64 v[54:55], s48, v[54:55]
	v_and_b32_e32 v54, s56, v54
	s_delay_alu instid0(VALU_DEP_1) | instskip(SKIP_2) | instid1(SALU_CYCLE_1)
	v_lshl_or_b32 v54, v54, 4, v113
	ds_add_u32 v54, v125
	s_or_b32 exec_lo, exec_lo, s9
	s_mov_b32 s9, exec_lo
	v_cmpx_gt_u32_e64 s8, v101
	s_cbranch_execz .LBB804_334
.LBB804_349:                            ;   in Loop: Header=BB804_308 Depth=2
	v_xor_b32_e32 v55, 0x80000000, v45
	v_mov_b32_e32 v54, v44
	s_delay_alu instid0(VALU_DEP_1) | instskip(NEXT) | instid1(VALU_DEP_1)
	v_lshrrev_b64 v[54:55], s48, v[54:55]
	v_and_b32_e32 v54, s56, v54
	s_delay_alu instid0(VALU_DEP_1) | instskip(SKIP_2) | instid1(SALU_CYCLE_1)
	v_lshl_or_b32 v54, v54, 4, v113
	ds_add_u32 v54, v125
	s_or_b32 exec_lo, exec_lo, s9
	s_mov_b32 s9, exec_lo
	v_cmpx_gt_u32_e64 s8, v102
	s_cbranch_execz .LBB804_335
.LBB804_350:                            ;   in Loop: Header=BB804_308 Depth=2
	v_xor_b32_e32 v55, 0x80000000, v43
	v_mov_b32_e32 v54, v42
	s_delay_alu instid0(VALU_DEP_1) | instskip(NEXT) | instid1(VALU_DEP_1)
	v_lshrrev_b64 v[54:55], s48, v[54:55]
	v_and_b32_e32 v54, s56, v54
	s_delay_alu instid0(VALU_DEP_1) | instskip(SKIP_2) | instid1(SALU_CYCLE_1)
	v_lshl_or_b32 v54, v54, 4, v113
	ds_add_u32 v54, v125
	s_or_b32 exec_lo, exec_lo, s9
	s_mov_b32 s9, exec_lo
	v_cmpx_gt_u32_e64 s8, v103
	s_cbranch_execz .LBB804_336
.LBB804_351:                            ;   in Loop: Header=BB804_308 Depth=2
	v_xor_b32_e32 v55, 0x80000000, v41
	v_mov_b32_e32 v54, v40
	s_delay_alu instid0(VALU_DEP_1) | instskip(NEXT) | instid1(VALU_DEP_1)
	v_lshrrev_b64 v[54:55], s48, v[54:55]
	v_and_b32_e32 v54, s56, v54
	s_delay_alu instid0(VALU_DEP_1) | instskip(SKIP_2) | instid1(SALU_CYCLE_1)
	v_lshl_or_b32 v54, v54, 4, v113
	ds_add_u32 v54, v125
	s_or_b32 exec_lo, exec_lo, s9
	s_mov_b32 s9, exec_lo
	v_cmpx_gt_u32_e64 s8, v104
	s_cbranch_execz .LBB804_337
.LBB804_352:                            ;   in Loop: Header=BB804_308 Depth=2
	v_xor_b32_e32 v55, 0x80000000, v39
	v_mov_b32_e32 v54, v38
	s_delay_alu instid0(VALU_DEP_1) | instskip(NEXT) | instid1(VALU_DEP_1)
	v_lshrrev_b64 v[54:55], s48, v[54:55]
	v_and_b32_e32 v54, s56, v54
	s_delay_alu instid0(VALU_DEP_1) | instskip(SKIP_2) | instid1(SALU_CYCLE_1)
	v_lshl_or_b32 v54, v54, 4, v113
	ds_add_u32 v54, v125
	s_or_b32 exec_lo, exec_lo, s9
	s_mov_b32 s9, exec_lo
	v_cmpx_gt_u32_e64 s8, v105
	s_cbranch_execz .LBB804_338
.LBB804_353:                            ;   in Loop: Header=BB804_308 Depth=2
	v_xor_b32_e32 v55, 0x80000000, v37
	v_mov_b32_e32 v54, v36
	s_delay_alu instid0(VALU_DEP_1) | instskip(NEXT) | instid1(VALU_DEP_1)
	v_lshrrev_b64 v[54:55], s48, v[54:55]
	v_and_b32_e32 v54, s56, v54
	s_delay_alu instid0(VALU_DEP_1) | instskip(SKIP_2) | instid1(SALU_CYCLE_1)
	v_lshl_or_b32 v54, v54, 4, v113
	ds_add_u32 v54, v125
	s_or_b32 exec_lo, exec_lo, s9
	s_mov_b32 s9, exec_lo
	v_cmpx_gt_u32_e64 s8, v106
	s_cbranch_execz .LBB804_339
.LBB804_354:                            ;   in Loop: Header=BB804_308 Depth=2
	v_xor_b32_e32 v55, 0x80000000, v35
	v_mov_b32_e32 v54, v34
	s_delay_alu instid0(VALU_DEP_1) | instskip(NEXT) | instid1(VALU_DEP_1)
	v_lshrrev_b64 v[54:55], s48, v[54:55]
	v_and_b32_e32 v54, s56, v54
	s_delay_alu instid0(VALU_DEP_1) | instskip(SKIP_2) | instid1(SALU_CYCLE_1)
	v_lshl_or_b32 v54, v54, 4, v113
	ds_add_u32 v54, v125
	s_or_b32 exec_lo, exec_lo, s9
	s_mov_b32 s9, exec_lo
	v_cmpx_gt_u32_e64 s8, v107
	s_cbranch_execz .LBB804_340
.LBB804_355:                            ;   in Loop: Header=BB804_308 Depth=2
	v_xor_b32_e32 v55, 0x80000000, v33
	v_mov_b32_e32 v54, v32
	s_delay_alu instid0(VALU_DEP_1) | instskip(NEXT) | instid1(VALU_DEP_1)
	v_lshrrev_b64 v[54:55], s48, v[54:55]
	v_and_b32_e32 v54, s56, v54
	s_delay_alu instid0(VALU_DEP_1) | instskip(SKIP_2) | instid1(SALU_CYCLE_1)
	v_lshl_or_b32 v54, v54, 4, v113
	ds_add_u32 v54, v125
	s_or_b32 exec_lo, exec_lo, s9
	s_mov_b32 s9, exec_lo
	v_cmpx_gt_u32_e64 s8, v108
	s_cbranch_execz .LBB804_341
.LBB804_356:                            ;   in Loop: Header=BB804_308 Depth=2
	v_xor_b32_e32 v55, 0x80000000, v31
	v_mov_b32_e32 v54, v30
	s_delay_alu instid0(VALU_DEP_1) | instskip(NEXT) | instid1(VALU_DEP_1)
	v_lshrrev_b64 v[54:55], s48, v[54:55]
	v_and_b32_e32 v54, s56, v54
	s_delay_alu instid0(VALU_DEP_1) | instskip(SKIP_2) | instid1(SALU_CYCLE_1)
	v_lshl_or_b32 v54, v54, 4, v113
	ds_add_u32 v54, v125
	s_or_b32 exec_lo, exec_lo, s9
	s_mov_b32 s9, exec_lo
	v_cmpx_gt_u32_e64 s8, v109
	s_cbranch_execz .LBB804_342
.LBB804_357:                            ;   in Loop: Header=BB804_308 Depth=2
	v_xor_b32_e32 v55, 0x80000000, v29
	v_mov_b32_e32 v54, v28
	s_delay_alu instid0(VALU_DEP_1) | instskip(NEXT) | instid1(VALU_DEP_1)
	v_lshrrev_b64 v[54:55], s48, v[54:55]
	v_and_b32_e32 v54, s56, v54
	s_delay_alu instid0(VALU_DEP_1) | instskip(SKIP_2) | instid1(SALU_CYCLE_1)
	v_lshl_or_b32 v54, v54, 4, v113
	ds_add_u32 v54, v125
	s_or_b32 exec_lo, exec_lo, s9
	s_mov_b32 s9, exec_lo
	v_cmpx_gt_u32_e64 s8, v110
	s_cbranch_execz .LBB804_343
.LBB804_358:                            ;   in Loop: Header=BB804_308 Depth=2
	v_xor_b32_e32 v55, 0x80000000, v27
	v_mov_b32_e32 v54, v26
	s_delay_alu instid0(VALU_DEP_1) | instskip(NEXT) | instid1(VALU_DEP_1)
	v_lshrrev_b64 v[54:55], s48, v[54:55]
	v_and_b32_e32 v54, s56, v54
	s_delay_alu instid0(VALU_DEP_1) | instskip(SKIP_2) | instid1(SALU_CYCLE_1)
	v_lshl_or_b32 v54, v54, 4, v113
	ds_add_u32 v54, v125
	s_or_b32 exec_lo, exec_lo, s9
	s_mov_b32 s9, exec_lo
	v_cmpx_gt_u32_e64 s8, v111
	s_cbranch_execz .LBB804_344
.LBB804_359:                            ;   in Loop: Header=BB804_308 Depth=2
	v_xor_b32_e32 v55, 0x80000000, v25
	v_mov_b32_e32 v54, v24
	s_delay_alu instid0(VALU_DEP_1) | instskip(NEXT) | instid1(VALU_DEP_1)
	v_lshrrev_b64 v[54:55], s48, v[54:55]
	v_and_b32_e32 v54, s56, v54
	s_delay_alu instid0(VALU_DEP_1)
	v_lshl_or_b32 v54, v54, 4, v113
	ds_add_u32 v54, v125
	s_or_b32 exec_lo, exec_lo, s9
	v_cmp_gt_u32_e32 vcc_lo, s8, v112
	s_and_saveexec_b32 s8, vcc_lo
	s_cbranch_execz .LBB804_307
.LBB804_360:                            ;   in Loop: Header=BB804_308 Depth=2
	v_xor_b32_e32 v55, 0x80000000, v23
	v_mov_b32_e32 v54, v22
	s_delay_alu instid0(VALU_DEP_1) | instskip(NEXT) | instid1(VALU_DEP_1)
	v_lshrrev_b64 v[54:55], s48, v[54:55]
	v_and_b32_e32 v54, s56, v54
	s_delay_alu instid0(VALU_DEP_1)
	v_lshl_or_b32 v54, v54, 4, v113
	ds_add_u32 v54, v125
	s_branch .LBB804_307
.LBB804_361:                            ;   in Loop: Header=BB804_308 Depth=2
	global_load_b64 v[52:53], v2, s[8:9] scale_offset
	s_wait_xcnt 0x0
	s_or_b32 exec_lo, exec_lo, s11
	s_delay_alu instid0(SALU_CYCLE_1)
	s_mov_b32 s11, exec_lo
	v_cmpx_gt_u32_e64 s7, v98
	s_cbranch_execz .LBB804_313
.LBB804_362:                            ;   in Loop: Header=BB804_308 Depth=2
	global_load_b64 v[50:51], v2, s[8:9] offset:2048 scale_offset
	s_wait_xcnt 0x0
	s_or_b32 exec_lo, exec_lo, s11
	s_delay_alu instid0(SALU_CYCLE_1)
	s_mov_b32 s11, exec_lo
	v_cmpx_gt_u32_e64 s7, v99
	s_cbranch_execz .LBB804_314
.LBB804_363:                            ;   in Loop: Header=BB804_308 Depth=2
	global_load_b64 v[48:49], v2, s[8:9] offset:4096 scale_offset
	s_wait_xcnt 0x0
	s_or_b32 exec_lo, exec_lo, s11
	s_delay_alu instid0(SALU_CYCLE_1)
	s_mov_b32 s11, exec_lo
	v_cmpx_gt_u32_e64 s7, v100
	s_cbranch_execz .LBB804_315
.LBB804_364:                            ;   in Loop: Header=BB804_308 Depth=2
	global_load_b64 v[46:47], v2, s[8:9] offset:6144 scale_offset
	s_wait_xcnt 0x0
	s_or_b32 exec_lo, exec_lo, s11
	s_delay_alu instid0(SALU_CYCLE_1)
	s_mov_b32 s11, exec_lo
	v_cmpx_gt_u32_e64 s7, v101
	s_cbranch_execz .LBB804_316
.LBB804_365:                            ;   in Loop: Header=BB804_308 Depth=2
	global_load_b64 v[44:45], v2, s[8:9] offset:8192 scale_offset
	s_wait_xcnt 0x0
	s_or_b32 exec_lo, exec_lo, s11
	s_delay_alu instid0(SALU_CYCLE_1)
	s_mov_b32 s11, exec_lo
	v_cmpx_gt_u32_e64 s7, v102
	s_cbranch_execz .LBB804_317
.LBB804_366:                            ;   in Loop: Header=BB804_308 Depth=2
	global_load_b64 v[42:43], v2, s[8:9] offset:10240 scale_offset
	s_wait_xcnt 0x0
	s_or_b32 exec_lo, exec_lo, s11
	s_delay_alu instid0(SALU_CYCLE_1)
	s_mov_b32 s11, exec_lo
	v_cmpx_gt_u32_e64 s7, v103
	s_cbranch_execz .LBB804_318
.LBB804_367:                            ;   in Loop: Header=BB804_308 Depth=2
	global_load_b64 v[40:41], v2, s[8:9] offset:12288 scale_offset
	s_wait_xcnt 0x0
	s_or_b32 exec_lo, exec_lo, s11
	s_delay_alu instid0(SALU_CYCLE_1)
	s_mov_b32 s11, exec_lo
	v_cmpx_gt_u32_e64 s7, v104
	s_cbranch_execz .LBB804_319
.LBB804_368:                            ;   in Loop: Header=BB804_308 Depth=2
	global_load_b64 v[38:39], v2, s[8:9] offset:14336 scale_offset
	s_wait_xcnt 0x0
	s_or_b32 exec_lo, exec_lo, s11
	s_delay_alu instid0(SALU_CYCLE_1)
	s_mov_b32 s11, exec_lo
	v_cmpx_gt_u32_e64 s7, v105
	s_cbranch_execz .LBB804_320
.LBB804_369:                            ;   in Loop: Header=BB804_308 Depth=2
	global_load_b64 v[36:37], v2, s[8:9] offset:16384 scale_offset
	s_wait_xcnt 0x0
	s_or_b32 exec_lo, exec_lo, s11
	s_delay_alu instid0(SALU_CYCLE_1)
	s_mov_b32 s11, exec_lo
	v_cmpx_gt_u32_e64 s7, v106
	s_cbranch_execz .LBB804_321
.LBB804_370:                            ;   in Loop: Header=BB804_308 Depth=2
	global_load_b64 v[34:35], v2, s[8:9] offset:18432 scale_offset
	s_wait_xcnt 0x0
	s_or_b32 exec_lo, exec_lo, s11
	s_delay_alu instid0(SALU_CYCLE_1)
	s_mov_b32 s11, exec_lo
	v_cmpx_gt_u32_e64 s7, v107
	s_cbranch_execz .LBB804_322
.LBB804_371:                            ;   in Loop: Header=BB804_308 Depth=2
	global_load_b64 v[32:33], v2, s[8:9] offset:20480 scale_offset
	s_wait_xcnt 0x0
	s_or_b32 exec_lo, exec_lo, s11
	s_delay_alu instid0(SALU_CYCLE_1)
	s_mov_b32 s11, exec_lo
	v_cmpx_gt_u32_e64 s7, v108
	s_cbranch_execz .LBB804_323
.LBB804_372:                            ;   in Loop: Header=BB804_308 Depth=2
	global_load_b64 v[30:31], v2, s[8:9] offset:22528 scale_offset
	s_wait_xcnt 0x0
	s_or_b32 exec_lo, exec_lo, s11
	s_delay_alu instid0(SALU_CYCLE_1)
	s_mov_b32 s11, exec_lo
	v_cmpx_gt_u32_e64 s7, v109
	s_cbranch_execz .LBB804_324
.LBB804_373:                            ;   in Loop: Header=BB804_308 Depth=2
	global_load_b64 v[28:29], v2, s[8:9] offset:24576 scale_offset
	s_wait_xcnt 0x0
	s_or_b32 exec_lo, exec_lo, s11
	s_delay_alu instid0(SALU_CYCLE_1)
	s_mov_b32 s11, exec_lo
	v_cmpx_gt_u32_e64 s7, v110
	s_cbranch_execz .LBB804_325
.LBB804_374:                            ;   in Loop: Header=BB804_308 Depth=2
	global_load_b64 v[26:27], v2, s[8:9] offset:26624 scale_offset
	s_wait_xcnt 0x0
	s_or_b32 exec_lo, exec_lo, s11
	s_delay_alu instid0(SALU_CYCLE_1)
	s_mov_b32 s11, exec_lo
	v_cmpx_gt_u32_e64 s7, v111
	s_cbranch_execz .LBB804_326
.LBB804_375:                            ;   in Loop: Header=BB804_308 Depth=2
	global_load_b64 v[24:25], v2, s[8:9] offset:28672 scale_offset
	s_wait_xcnt 0x0
	s_or_b32 exec_lo, exec_lo, s11
	s_delay_alu instid0(SALU_CYCLE_1)
	s_mov_b32 s11, exec_lo
	v_cmpx_gt_u32_e64 s7, v112
	s_cbranch_execnz .LBB804_327
	s_branch .LBB804_328
.LBB804_376:                            ;   in Loop: Header=BB804_12 Depth=1
	v_mov_b32_e32 v22, 0
	s_wait_dscnt 0x0
	s_barrier_signal -1
	s_barrier_wait -1
	s_and_saveexec_b32 s7, s0
	s_cbranch_execz .LBB804_378
; %bb.377:                              ;   in Loop: Header=BB804_12 Depth=1
	ds_load_2addr_b64 v[22:25], v115 offset1:1
	s_wait_dscnt 0x0
	v_add_nc_u32_e32 v22, v23, v22
	s_delay_alu instid0(VALU_DEP_1)
	v_add3_u32 v22, v22, v24, v25
.LBB804_378:                            ;   in Loop: Header=BB804_12 Depth=1
	s_or_b32 exec_lo, exec_lo, s7
	s_delay_alu instid0(VALU_DEP_1)
	v_mov_b32_dpp v23, v22 row_shr:1 row_mask:0xf bank_mask:0xf
	v_cmp_eq_u32_e64 s7, 0, v126
	v_cmp_lt_u32_e64 s8, 1, v126
	v_cmp_lt_u32_e64 s9, 3, v126
	;; [unrolled: 1-line block ×3, first 2 shown]
	v_cmp_eq_u32_e64 s11, 0, v128
	v_cndmask_b32_e64 v23, v23, 0, s7
	s_delay_alu instid0(VALU_DEP_1) | instskip(NEXT) | instid1(VALU_DEP_1)
	v_add_nc_u32_e32 v22, v23, v22
	v_mov_b32_dpp v23, v22 row_shr:2 row_mask:0xf bank_mask:0xf
	s_delay_alu instid0(VALU_DEP_1) | instskip(NEXT) | instid1(VALU_DEP_1)
	v_cndmask_b32_e64 v23, 0, v23, s8
	v_add_nc_u32_e32 v22, v22, v23
	s_delay_alu instid0(VALU_DEP_1) | instskip(NEXT) | instid1(VALU_DEP_1)
	v_mov_b32_dpp v23, v22 row_shr:4 row_mask:0xf bank_mask:0xf
	v_cndmask_b32_e64 v23, 0, v23, s9
	s_delay_alu instid0(VALU_DEP_1) | instskip(NEXT) | instid1(VALU_DEP_1)
	v_add_nc_u32_e32 v22, v22, v23
	v_mov_b32_dpp v23, v22 row_shr:8 row_mask:0xf bank_mask:0xf
	s_delay_alu instid0(VALU_DEP_1) | instskip(NEXT) | instid1(VALU_DEP_1)
	v_cndmask_b32_e64 v23, 0, v23, s10
	v_add_nc_u32_e32 v22, v22, v23
	ds_swizzle_b32 v23, v22 offset:swizzle(BROADCAST,32,15)
	s_wait_dscnt 0x0
	v_and_b32_e32 v23, v127, v23
	s_delay_alu instid0(VALU_DEP_1)
	v_add_nc_u32_e32 v22, v22, v23
	s_and_saveexec_b32 s12, s1
; %bb.379:                              ;   in Loop: Header=BB804_12 Depth=1
	ds_store_b32 v116, v22
; %bb.380:                              ;   in Loop: Header=BB804_12 Depth=1
	s_or_b32 exec_lo, exec_lo, s12
	s_wait_dscnt 0x0
	s_barrier_signal -1
	s_barrier_wait -1
	s_and_saveexec_b32 s12, s4
	s_cbranch_execz .LBB804_382
; %bb.381:                              ;   in Loop: Header=BB804_12 Depth=1
	ds_load_b32 v23, v117
	v_cmp_ne_u32_e32 vcc_lo, 0, v130
	s_wait_dscnt 0x0
	v_mov_b32_dpp v24, v23 row_shr:1 row_mask:0xf bank_mask:0xf
	s_delay_alu instid0(VALU_DEP_1) | instskip(SKIP_1) | instid1(VALU_DEP_2)
	v_cndmask_b32_e32 v24, 0, v24, vcc_lo
	v_cmp_lt_u32_e32 vcc_lo, 1, v130
	v_add_nc_u32_e32 v23, v24, v23
	s_delay_alu instid0(VALU_DEP_1) | instskip(NEXT) | instid1(VALU_DEP_1)
	v_mov_b32_dpp v24, v23 row_shr:2 row_mask:0xf bank_mask:0xf
	v_cndmask_b32_e32 v24, 0, v24, vcc_lo
	v_cmp_lt_u32_e32 vcc_lo, 3, v130
	s_delay_alu instid0(VALU_DEP_2) | instskip(NEXT) | instid1(VALU_DEP_1)
	v_add_nc_u32_e32 v23, v23, v24
	v_mov_b32_dpp v24, v23 row_shr:4 row_mask:0xf bank_mask:0xf
	s_delay_alu instid0(VALU_DEP_1) | instskip(NEXT) | instid1(VALU_DEP_1)
	v_cndmask_b32_e32 v24, 0, v24, vcc_lo
	v_add_nc_u32_e32 v23, v23, v24
	ds_store_b32 v117, v23
.LBB804_382:                            ;   in Loop: Header=BB804_12 Depth=1
	s_or_b32 exec_lo, exec_lo, s12
	v_mov_b32_e32 v23, 0
	s_wait_dscnt 0x0
	s_barrier_signal -1
	s_barrier_wait -1
	s_and_saveexec_b32 s12, s5
; %bb.383:                              ;   in Loop: Header=BB804_12 Depth=1
	ds_load_b32 v23, v118
; %bb.384:                              ;   in Loop: Header=BB804_12 Depth=1
	s_or_b32 exec_lo, exec_lo, s12
	v_cmp_gt_i32_e32 vcc_lo, 0, v131
	s_wait_dscnt 0x0
	s_barrier_signal -1
	s_barrier_wait -1
	v_cndmask_b32_e32 v24, v131, v124, vcc_lo
	s_delay_alu instid0(VALU_DEP_1)
	v_dual_add_nc_u32 v22, v23, v22 :: v_dual_lshlrev_b32 v147, 2, v24
	ds_bpermute_b32 v22, v147, v22
	s_and_saveexec_b32 s12, s0
	s_cbranch_execz .LBB804_386
; %bb.385:                              ;   in Loop: Header=BB804_12 Depth=1
	s_wait_dscnt 0x0
	v_cndmask_b32_e64 v22, v22, v23, s6
	s_delay_alu instid0(VALU_DEP_1)
	v_add_nc_u32_e32 v22, s52, v22
	ds_store_b32 v3, v22
.LBB804_386:                            ;   in Loop: Header=BB804_12 Depth=1
	s_or_b32 exec_lo, exec_lo, s12
	s_load_b64 s[12:13], s[34:35], 0x0
	v_add_nc_u64_e32 v[24:25], v[14:15], v[4:5]
	s_mov_b32 s57, s54
                                        ; implicit-def: $vgpr28_vgpr29
                                        ; implicit-def: $vgpr30_vgpr31
                                        ; implicit-def: $vgpr32_vgpr33
                                        ; implicit-def: $vgpr34_vgpr35
                                        ; implicit-def: $vgpr36_vgpr37
                                        ; implicit-def: $vgpr38_vgpr39
                                        ; implicit-def: $vgpr40_vgpr41
                                        ; implicit-def: $vgpr42_vgpr43
                                        ; implicit-def: $vgpr44_vgpr45
                                        ; implicit-def: $vgpr46_vgpr47
                                        ; implicit-def: $vgpr48_vgpr49
                                        ; implicit-def: $vgpr50_vgpr51
                                        ; implicit-def: $vgpr52_vgpr53
                                        ; implicit-def: $vgpr54_vgpr55
                                        ; implicit-def: $vgpr56_vgpr57
                                        ; implicit-def: $vgpr149
                                        ; implicit-def: $vgpr150
                                        ; implicit-def: $vgpr151
                                        ; implicit-def: $vgpr152
                                        ; implicit-def: $vgpr153
                                        ; implicit-def: $vgpr154
                                        ; implicit-def: $vgpr155
                                        ; implicit-def: $vgpr156
                                        ; implicit-def: $vgpr157
                                        ; implicit-def: $vgpr158
                                        ; implicit-def: $vgpr159
                                        ; implicit-def: $vgpr160
                                        ; implicit-def: $vgpr161
                                        ; implicit-def: $vgpr162
                                        ; implicit-def: $vgpr163
                                        ; implicit-def: $vgpr164
	s_wait_kmcnt 0x0
	s_cmp_lt_u32 s33, s12
	s_cselect_b32 s30, 12, 18
	s_cmp_lt_u32 s42, s13
	s_mov_b32 s13, s31
	s_cselect_b32 s12, 14, 20
	s_delay_alu instid0(SALU_CYCLE_1)
	s_add_nc_u64 s[12:13], s[34:35], s[12:13]
	s_load_u16 s14, s[12:13], 0x0
	s_wait_xcnt 0x0
	s_add_nc_u64 s[12:13], s[34:35], s[30:31]
	s_mov_b32 s30, s52
	s_load_u16 s12, s[12:13], 0x0
	s_wait_xcnt 0x0
	v_cmp_lt_u32_e64 s13, 1, v130
	s_wait_dscnt 0x0
	s_wait_kmcnt 0x0
	v_mad_u32_u24 v22, v119, s14, v121
	v_cmp_lt_u32_e64 s14, 3, v130
	s_delay_alu instid0(VALU_DEP_2) | instskip(SKIP_1) | instid1(VALU_DEP_2)
	v_mad_u32 v22, v22, s12, v2
	v_cmp_eq_u32_e64 s12, 0, v130
	v_lshrrev_b32_e32 v26, 3, v22
	v_add_nc_u64_e32 v[22:23], v[12:13], v[4:5]
	s_delay_alu instid0(VALU_DEP_2)
	v_and_b32_e32 v148, 0x1ffffffc, v26
                                        ; implicit-def: $vgpr26_vgpr27
	s_branch .LBB804_388
.LBB804_387:                            ;   in Loop: Header=BB804_388 Depth=2
	s_or_b32 exec_lo, exec_lo, s15
	s_addk_co_i32 s57, 0xf000
	s_cmp_lt_u32 s58, s51
	s_mov_b32 s30, s58
	s_cbranch_scc0 .LBB804_596
.LBB804_388:                            ;   Parent Loop BB804_12 Depth=1
                                        ; =>  This Inner Loop Header: Depth=2
	s_add_co_i32 s58, s30, 0x1000
	s_delay_alu instid0(SALU_CYCLE_1)
	s_cmp_gt_u32 s58, s51
	s_cbranch_scc1 .LBB804_390
; %bb.389:                              ;   in Loop: Header=BB804_388 Depth=2
	v_lshl_add_u64 v[88:89], s[30:31], 3, v[24:25]
	s_mov_b32 s15, -1
	s_clause 0xe
	global_load_b64 v[60:61], v[88:89], off
	global_load_b64 v[58:59], v[88:89], off offset:256
	global_load_b64 v[64:65], v[88:89], off offset:512
	;; [unrolled: 1-line block ×14, first 2 shown]
	s_movk_i32 s16, 0x1000
	s_cbranch_execz .LBB804_391
	s_branch .LBB804_422
.LBB804_390:                            ;   in Loop: Header=BB804_388 Depth=2
	s_mov_b32 s15, 0
                                        ; implicit-def: $vgpr60_vgpr61
                                        ; implicit-def: $vgpr58_vgpr59
                                        ; implicit-def: $vgpr64_vgpr65
                                        ; implicit-def: $vgpr62_vgpr63
                                        ; implicit-def: $vgpr68_vgpr69
                                        ; implicit-def: $vgpr66_vgpr67
                                        ; implicit-def: $vgpr72_vgpr73
                                        ; implicit-def: $vgpr70_vgpr71
                                        ; implicit-def: $vgpr76_vgpr77
                                        ; implicit-def: $vgpr74_vgpr75
                                        ; implicit-def: $vgpr80_vgpr81
                                        ; implicit-def: $vgpr78_vgpr79
                                        ; implicit-def: $vgpr84_vgpr85
                                        ; implicit-def: $vgpr82_vgpr83
                                        ; implicit-def: $vgpr86_vgpr87
	s_movk_i32 s16, 0x1000
.LBB804_391:                            ;   in Loop: Header=BB804_388 Depth=2
	s_wait_loadcnt 0xd
	v_mov_b64_e32 v[58:59], 0x7fffffffffffffff
	v_mov_b64_e32 v[60:61], 0x7fffffffffffffff
	s_wait_xcnt 0x0
	v_lshl_add_u64 v[88:89], s[30:31], 3, v[24:25]
	s_mov_b32 s15, exec_lo
	v_cmpx_gt_u32_e64 s57, v129
	s_cbranch_execz .LBB804_393
; %bb.392:                              ;   in Loop: Header=BB804_388 Depth=2
	global_load_b64 v[60:61], v[88:89], off
.LBB804_393:                            ;   in Loop: Header=BB804_388 Depth=2
	s_wait_xcnt 0x0
	s_or_b32 exec_lo, exec_lo, s15
	s_delay_alu instid0(SALU_CYCLE_1)
	s_mov_b32 s15, exec_lo
	v_cmpx_gt_u32_e64 s57, v132
	s_cbranch_execz .LBB804_395
; %bb.394:                              ;   in Loop: Header=BB804_388 Depth=2
	global_load_b64 v[58:59], v[88:89], off offset:256
.LBB804_395:                            ;   in Loop: Header=BB804_388 Depth=2
	s_wait_xcnt 0x0
	s_or_b32 exec_lo, exec_lo, s15
	s_wait_loadcnt 0xb
	v_mov_b64_e32 v[62:63], 0x7fffffffffffffff
	v_mov_b64_e32 v[64:65], 0x7fffffffffffffff
	s_mov_b32 s15, exec_lo
	v_cmpx_gt_u32_e64 s57, v133
	s_cbranch_execz .LBB804_397
; %bb.396:                              ;   in Loop: Header=BB804_388 Depth=2
	global_load_b64 v[64:65], v[88:89], off offset:512
.LBB804_397:                            ;   in Loop: Header=BB804_388 Depth=2
	s_wait_xcnt 0x0
	s_or_b32 exec_lo, exec_lo, s15
	s_delay_alu instid0(SALU_CYCLE_1)
	s_mov_b32 s15, exec_lo
	v_cmpx_gt_u32_e64 s57, v134
	s_cbranch_execz .LBB804_399
; %bb.398:                              ;   in Loop: Header=BB804_388 Depth=2
	global_load_b64 v[62:63], v[88:89], off offset:768
.LBB804_399:                            ;   in Loop: Header=BB804_388 Depth=2
	s_wait_xcnt 0x0
	s_or_b32 exec_lo, exec_lo, s15
	s_wait_loadcnt 0x9
	v_mov_b64_e32 v[66:67], 0x7fffffffffffffff
	v_mov_b64_e32 v[68:69], 0x7fffffffffffffff
	s_mov_b32 s15, exec_lo
	v_cmpx_gt_u32_e64 s57, v135
	s_cbranch_execz .LBB804_401
; %bb.400:                              ;   in Loop: Header=BB804_388 Depth=2
	global_load_b64 v[68:69], v[88:89], off offset:1024
.LBB804_401:                            ;   in Loop: Header=BB804_388 Depth=2
	;; [unrolled: 20-line block ×6, first 2 shown]
	s_wait_xcnt 0x0
	s_or_b32 exec_lo, exec_lo, s15
	s_delay_alu instid0(SALU_CYCLE_1)
	s_mov_b32 s15, exec_lo
	v_cmpx_gt_u32_e64 s57, v144
	s_cbranch_execz .LBB804_419
; %bb.418:                              ;   in Loop: Header=BB804_388 Depth=2
	global_load_b64 v[82:83], v[88:89], off offset:3328
.LBB804_419:                            ;   in Loop: Header=BB804_388 Depth=2
	s_wait_xcnt 0x0
	s_or_b32 exec_lo, exec_lo, s15
	s_wait_loadcnt 0x0
	v_mov_b64_e32 v[86:87], 0x7fffffffffffffff
	s_mov_b32 s15, exec_lo
	v_cmpx_gt_u32_e64 s57, v145
	s_cbranch_execz .LBB804_421
; %bb.420:                              ;   in Loop: Header=BB804_388 Depth=2
	global_load_b64 v[86:87], v[88:89], off offset:3584
.LBB804_421:                            ;   in Loop: Header=BB804_388 Depth=2
	s_wait_xcnt 0x0
	s_or_b32 exec_lo, exec_lo, s15
	v_cmp_gt_u32_e64 s15, s57, v146
	s_sub_co_i32 s16, s51, s30
.LBB804_422:                            ;   in Loop: Header=BB804_388 Depth=2
	s_wait_xcnt 0x0
	v_mov_b64_e32 v[88:89], -1
	v_mov_b32_e32 v165, s57
	s_and_saveexec_b32 s17, s15
	s_cbranch_execz .LBB804_424
; %bb.423:                              ;   in Loop: Header=BB804_388 Depth=2
	v_lshl_add_u64 v[88:89], s[30:31], 3, v[24:25]
	v_mov_b32_e32 v165, s16
	global_load_b64 v[88:89], v[88:89], off offset:3840
	s_wait_loadcnt 0x0
	s_wait_xcnt 0x0
	v_xor_b32_e32 v89, 0x80000000, v89
.LBB804_424:                            ;   in Loop: Header=BB804_388 Depth=2
	s_or_b32 exec_lo, exec_lo, s17
	s_wait_loadcnt 0xe
	v_xor_b32_e32 v61, 0x80000000, v61
	v_add_nc_u32_e32 v169, 0x428, v120
	v_add_nc_u32_e32 v170, 0x430, v120
	s_delay_alu instid0(VALU_DEP_3) | instskip(NEXT) | instid1(VALU_DEP_1)
	v_lshrrev_b64 v[90:91], s48, v[60:61]
	v_bitop3_b32 v91, v90, 1, s56 bitop3:0x80
	v_and_b32_e32 v92, s56, v90
	s_delay_alu instid0(VALU_DEP_2) | instskip(NEXT) | instid1(VALU_DEP_1)
	v_add_co_u32 v90, s15, v91, -1
	v_cndmask_b32_e64 v91, 0, 1, s15
	s_delay_alu instid0(VALU_DEP_3) | instskip(NEXT) | instid1(VALU_DEP_2)
	v_lshlrev_b32_e32 v93, 30, v92
	v_cmp_ne_u32_e32 vcc_lo, 0, v91
	s_delay_alu instid0(VALU_DEP_2) | instskip(NEXT) | instid1(VALU_DEP_1)
	v_not_b32_e32 v91, v93
	v_dual_ashrrev_i32 v91, 31, v91 :: v_dual_bitop2_b32 v90, vcc_lo, v90 bitop3:0x14
	v_dual_lshlrev_b32 v94, 29, v92 :: v_dual_lshlrev_b32 v95, 28, v92
	v_dual_lshlrev_b32 v96, 27, v92 :: v_dual_lshlrev_b32 v97, 26, v92
	v_lshlrev_b32_e32 v166, 25, v92
	v_cmp_gt_i32_e64 s15, 0, v93
	s_delay_alu instid0(VALU_DEP_4)
	v_cmp_gt_i32_e64 s16, 0, v94
	v_not_b32_e32 v93, v94
	v_not_b32_e32 v94, v95
	v_lshlrev_b32_e32 v167, 24, v92
	v_cmp_gt_i32_e64 s17, 0, v95
	v_cmp_gt_i32_e64 s18, 0, v96
	v_not_b32_e32 v95, v96
	v_cmp_gt_i32_e64 s19, 0, v97
	v_not_b32_e32 v96, v97
	v_not_b32_e32 v97, v166
	v_dual_ashrrev_i32 v93, 31, v93 :: v_dual_ashrrev_i32 v94, 31, v94
	v_xor_b32_e32 v91, s15, v91
	v_not_b32_e32 v168, v167
	v_dual_ashrrev_i32 v95, 31, v95 :: v_dual_ashrrev_i32 v96, 31, v96
	s_delay_alu instid0(VALU_DEP_4) | instskip(SKIP_2) | instid1(VALU_DEP_4)
	v_xor_b32_e32 v93, s16, v93
	v_xor_b32_e32 v94, s17, v94
	v_bitop3_b32 v90, v90, v91, exec_lo bitop3:0x80
	v_xor_b32_e32 v95, s18, v95
	v_xor_b32_e32 v91, s19, v96
	v_cmp_gt_i32_e32 vcc_lo, 0, v166
	v_ashrrev_i32_e32 v96, 31, v97
	v_cmp_gt_i32_e64 s15, 0, v167
	v_ashrrev_i32_e32 v97, 31, v168
	v_bitop3_b32 v90, v90, v94, v93 bitop3:0x80
	v_add_nc_u32_e32 v167, 0x438, v120
	v_xor_b32_e32 v93, vcc_lo, v96
	v_add_nc_u32_e32 v168, 0x420, v120
	v_xor_b32_e32 v94, s15, v97
	v_bitop3_b32 v90, v90, v91, v95 bitop3:0x80
	v_mul_u32_u24_e32 v91, 36, v92
	ds_store_2addr_b32 v167, v5, v5 offset1:1
	ds_store_2addr_b32 v168, v5, v5 offset1:1
	;; [unrolled: 1-line block ×4, first 2 shown]
	ds_store_b32 v120, v5 offset:1088
	s_wait_loadcnt_dscnt 0x0
	v_bitop3_b32 v90, v90, v94, v93 bitop3:0x80
	v_add_nc_u32_e32 v171, v148, v91
	s_barrier_signal -1
	s_barrier_wait -1
	s_delay_alu instid0(VALU_DEP_2) | instskip(SKIP_1) | instid1(VALU_DEP_2)
	v_mbcnt_lo_u32_b32 v166, v90, 0
	v_cmp_ne_u32_e64 s15, 0, v90
	; wave barrier
	v_cmp_eq_u32_e32 vcc_lo, 0, v166
	s_and_b32 s16, s15, vcc_lo
	s_delay_alu instid0(SALU_CYCLE_1)
	s_and_saveexec_b32 s15, s16
; %bb.425:                              ;   in Loop: Header=BB804_388 Depth=2
	v_bcnt_u32_b32 v90, v90, 0
	ds_store_b32 v171, v90 offset:1056
; %bb.426:                              ;   in Loop: Header=BB804_388 Depth=2
	s_or_b32 exec_lo, exec_lo, s15
	v_xor_b32_e32 v59, 0x80000000, v59
	; wave barrier
	s_delay_alu instid0(VALU_DEP_1) | instskip(NEXT) | instid1(VALU_DEP_1)
	v_lshrrev_b64 v[90:91], s48, v[58:59]
	v_bitop3_b32 v91, v90, 1, s56 bitop3:0x80
	v_and_b32_e32 v92, s56, v90
	s_delay_alu instid0(VALU_DEP_2) | instskip(NEXT) | instid1(VALU_DEP_1)
	v_add_co_u32 v90, s15, v91, -1
	v_cndmask_b32_e64 v91, 0, 1, s15
	s_delay_alu instid0(VALU_DEP_3) | instskip(NEXT) | instid1(VALU_DEP_2)
	v_lshlrev_b32_e32 v93, 30, v92
	v_cmp_ne_u32_e32 vcc_lo, 0, v91
	s_delay_alu instid0(VALU_DEP_2) | instskip(NEXT) | instid1(VALU_DEP_1)
	v_not_b32_e32 v91, v93
	v_dual_ashrrev_i32 v91, 31, v91 :: v_dual_bitop2_b32 v90, vcc_lo, v90 bitop3:0x14
	v_dual_lshlrev_b32 v94, 29, v92 :: v_dual_lshlrev_b32 v95, 28, v92
	v_dual_lshlrev_b32 v96, 27, v92 :: v_dual_lshlrev_b32 v97, 26, v92
	v_lshlrev_b32_e32 v172, 25, v92
	v_cmp_gt_i32_e64 s15, 0, v93
	s_delay_alu instid0(VALU_DEP_4)
	v_cmp_gt_i32_e64 s16, 0, v94
	v_not_b32_e32 v93, v94
	v_not_b32_e32 v94, v95
	v_lshlrev_b32_e32 v173, 24, v92
	v_cmp_gt_i32_e64 s17, 0, v95
	v_cmp_gt_i32_e64 s18, 0, v96
	v_not_b32_e32 v95, v96
	v_cmp_gt_i32_e64 s19, 0, v97
	v_not_b32_e32 v96, v97
	v_not_b32_e32 v97, v172
	v_dual_ashrrev_i32 v93, 31, v93 :: v_dual_ashrrev_i32 v94, 31, v94
	v_xor_b32_e32 v91, s15, v91
	v_not_b32_e32 v174, v173
	v_dual_ashrrev_i32 v95, 31, v95 :: v_dual_ashrrev_i32 v96, 31, v96
	s_delay_alu instid0(VALU_DEP_4) | instskip(SKIP_2) | instid1(VALU_DEP_4)
	v_xor_b32_e32 v93, s16, v93
	v_xor_b32_e32 v94, s17, v94
	v_bitop3_b32 v90, v90, v91, exec_lo bitop3:0x80
	v_xor_b32_e32 v95, s18, v95
	v_xor_b32_e32 v91, s19, v96
	v_cmp_gt_i32_e32 vcc_lo, 0, v172
	v_ashrrev_i32_e32 v96, 31, v97
	v_cmp_gt_i32_e64 s15, 0, v173
	v_ashrrev_i32_e32 v97, 31, v174
	v_bitop3_b32 v90, v90, v94, v93 bitop3:0x80
	v_mad_u32_u24 v93, v92, 36, v148
	v_xor_b32_e32 v94, vcc_lo, v96
	s_delay_alu instid0(VALU_DEP_4) | instskip(NEXT) | instid1(VALU_DEP_4)
	v_xor_b32_e32 v96, s15, v97
	v_bitop3_b32 v90, v90, v91, v95 bitop3:0x80
	ds_load_b32 v172, v93 offset:1056
	v_mul_u32_u24_e32 v91, 36, v92
	; wave barrier
	v_bitop3_b32 v90, v90, v96, v94 bitop3:0x80
	s_delay_alu instid0(VALU_DEP_2) | instskip(NEXT) | instid1(VALU_DEP_2)
	v_add_nc_u32_e32 v174, v148, v91
	v_mbcnt_lo_u32_b32 v173, v90, 0
	v_cmp_ne_u32_e64 s15, 0, v90
	s_delay_alu instid0(VALU_DEP_2) | instskip(SKIP_1) | instid1(SALU_CYCLE_1)
	v_cmp_eq_u32_e32 vcc_lo, 0, v173
	s_and_b32 s16, s15, vcc_lo
	s_and_saveexec_b32 s15, s16
	s_cbranch_execz .LBB804_428
; %bb.427:                              ;   in Loop: Header=BB804_388 Depth=2
	s_wait_dscnt 0x0
	v_bcnt_u32_b32 v90, v90, v172
	ds_store_b32 v174, v90 offset:1056
.LBB804_428:                            ;   in Loop: Header=BB804_388 Depth=2
	s_or_b32 exec_lo, exec_lo, s15
	v_xor_b32_e32 v65, 0x80000000, v65
	; wave barrier
	s_delay_alu instid0(VALU_DEP_1) | instskip(NEXT) | instid1(VALU_DEP_1)
	v_lshrrev_b64 v[90:91], s48, v[64:65]
	v_bitop3_b32 v91, v90, 1, s56 bitop3:0x80
	v_and_b32_e32 v92, s56, v90
	s_delay_alu instid0(VALU_DEP_2) | instskip(NEXT) | instid1(VALU_DEP_1)
	v_add_co_u32 v90, s15, v91, -1
	v_cndmask_b32_e64 v91, 0, 1, s15
	s_delay_alu instid0(VALU_DEP_3) | instskip(NEXT) | instid1(VALU_DEP_2)
	v_lshlrev_b32_e32 v93, 30, v92
	v_cmp_ne_u32_e32 vcc_lo, 0, v91
	s_delay_alu instid0(VALU_DEP_2) | instskip(NEXT) | instid1(VALU_DEP_1)
	v_not_b32_e32 v91, v93
	v_dual_ashrrev_i32 v91, 31, v91 :: v_dual_bitop2_b32 v90, vcc_lo, v90 bitop3:0x14
	v_dual_lshlrev_b32 v94, 29, v92 :: v_dual_lshlrev_b32 v95, 28, v92
	v_dual_lshlrev_b32 v96, 27, v92 :: v_dual_lshlrev_b32 v97, 26, v92
	v_lshlrev_b32_e32 v175, 25, v92
	v_cmp_gt_i32_e64 s15, 0, v93
	s_delay_alu instid0(VALU_DEP_4)
	v_cmp_gt_i32_e64 s16, 0, v94
	v_not_b32_e32 v93, v94
	v_not_b32_e32 v94, v95
	v_lshlrev_b32_e32 v176, 24, v92
	v_cmp_gt_i32_e64 s17, 0, v95
	v_cmp_gt_i32_e64 s18, 0, v96
	v_not_b32_e32 v95, v96
	v_cmp_gt_i32_e64 s19, 0, v97
	v_not_b32_e32 v96, v97
	v_not_b32_e32 v97, v175
	v_dual_ashrrev_i32 v93, 31, v93 :: v_dual_ashrrev_i32 v94, 31, v94
	v_xor_b32_e32 v91, s15, v91
	v_not_b32_e32 v177, v176
	v_dual_ashrrev_i32 v95, 31, v95 :: v_dual_ashrrev_i32 v96, 31, v96
	s_delay_alu instid0(VALU_DEP_4) | instskip(SKIP_2) | instid1(VALU_DEP_4)
	v_xor_b32_e32 v93, s16, v93
	v_xor_b32_e32 v94, s17, v94
	v_bitop3_b32 v90, v90, v91, exec_lo bitop3:0x80
	v_xor_b32_e32 v95, s18, v95
	v_xor_b32_e32 v91, s19, v96
	v_cmp_gt_i32_e32 vcc_lo, 0, v175
	v_ashrrev_i32_e32 v96, 31, v97
	v_cmp_gt_i32_e64 s15, 0, v176
	v_ashrrev_i32_e32 v97, 31, v177
	v_bitop3_b32 v90, v90, v94, v93 bitop3:0x80
	v_mad_u32_u24 v93, v92, 36, v148
	v_xor_b32_e32 v94, vcc_lo, v96
	s_delay_alu instid0(VALU_DEP_4) | instskip(NEXT) | instid1(VALU_DEP_4)
	v_xor_b32_e32 v96, s15, v97
	v_bitop3_b32 v90, v90, v91, v95 bitop3:0x80
	ds_load_b32 v175, v93 offset:1056
	v_mul_u32_u24_e32 v91, 36, v92
	; wave barrier
	v_bitop3_b32 v90, v90, v96, v94 bitop3:0x80
	s_delay_alu instid0(VALU_DEP_2) | instskip(NEXT) | instid1(VALU_DEP_2)
	v_add_nc_u32_e32 v177, v148, v91
	v_mbcnt_lo_u32_b32 v176, v90, 0
	v_cmp_ne_u32_e64 s15, 0, v90
	s_delay_alu instid0(VALU_DEP_2) | instskip(SKIP_1) | instid1(SALU_CYCLE_1)
	v_cmp_eq_u32_e32 vcc_lo, 0, v176
	s_and_b32 s16, s15, vcc_lo
	s_and_saveexec_b32 s15, s16
	s_cbranch_execz .LBB804_430
; %bb.429:                              ;   in Loop: Header=BB804_388 Depth=2
	s_wait_dscnt 0x0
	v_bcnt_u32_b32 v90, v90, v175
	ds_store_b32 v177, v90 offset:1056
.LBB804_430:                            ;   in Loop: Header=BB804_388 Depth=2
	s_or_b32 exec_lo, exec_lo, s15
	v_xor_b32_e32 v63, 0x80000000, v63
	; wave barrier
	s_delay_alu instid0(VALU_DEP_1) | instskip(NEXT) | instid1(VALU_DEP_1)
	v_lshrrev_b64 v[90:91], s48, v[62:63]
	v_bitop3_b32 v91, v90, 1, s56 bitop3:0x80
	v_and_b32_e32 v92, s56, v90
	s_delay_alu instid0(VALU_DEP_2) | instskip(NEXT) | instid1(VALU_DEP_1)
	v_add_co_u32 v90, s15, v91, -1
	v_cndmask_b32_e64 v91, 0, 1, s15
	s_delay_alu instid0(VALU_DEP_3) | instskip(NEXT) | instid1(VALU_DEP_2)
	v_lshlrev_b32_e32 v93, 30, v92
	v_cmp_ne_u32_e32 vcc_lo, 0, v91
	s_delay_alu instid0(VALU_DEP_2) | instskip(NEXT) | instid1(VALU_DEP_1)
	v_not_b32_e32 v91, v93
	v_dual_ashrrev_i32 v91, 31, v91 :: v_dual_bitop2_b32 v90, vcc_lo, v90 bitop3:0x14
	v_dual_lshlrev_b32 v94, 29, v92 :: v_dual_lshlrev_b32 v95, 28, v92
	v_dual_lshlrev_b32 v96, 27, v92 :: v_dual_lshlrev_b32 v97, 26, v92
	v_lshlrev_b32_e32 v178, 25, v92
	v_cmp_gt_i32_e64 s15, 0, v93
	s_delay_alu instid0(VALU_DEP_4)
	v_cmp_gt_i32_e64 s16, 0, v94
	v_not_b32_e32 v93, v94
	v_not_b32_e32 v94, v95
	v_lshlrev_b32_e32 v179, 24, v92
	v_cmp_gt_i32_e64 s17, 0, v95
	v_cmp_gt_i32_e64 s18, 0, v96
	v_not_b32_e32 v95, v96
	v_cmp_gt_i32_e64 s19, 0, v97
	v_not_b32_e32 v96, v97
	v_not_b32_e32 v97, v178
	v_dual_ashrrev_i32 v93, 31, v93 :: v_dual_ashrrev_i32 v94, 31, v94
	v_xor_b32_e32 v91, s15, v91
	v_not_b32_e32 v180, v179
	v_dual_ashrrev_i32 v95, 31, v95 :: v_dual_ashrrev_i32 v96, 31, v96
	s_delay_alu instid0(VALU_DEP_4) | instskip(SKIP_2) | instid1(VALU_DEP_4)
	v_xor_b32_e32 v93, s16, v93
	v_xor_b32_e32 v94, s17, v94
	v_bitop3_b32 v90, v90, v91, exec_lo bitop3:0x80
	v_xor_b32_e32 v95, s18, v95
	v_xor_b32_e32 v91, s19, v96
	v_cmp_gt_i32_e32 vcc_lo, 0, v178
	v_ashrrev_i32_e32 v96, 31, v97
	v_cmp_gt_i32_e64 s15, 0, v179
	v_ashrrev_i32_e32 v97, 31, v180
	v_bitop3_b32 v90, v90, v94, v93 bitop3:0x80
	v_mad_u32_u24 v93, v92, 36, v148
	v_xor_b32_e32 v94, vcc_lo, v96
	s_delay_alu instid0(VALU_DEP_4) | instskip(NEXT) | instid1(VALU_DEP_4)
	v_xor_b32_e32 v96, s15, v97
	v_bitop3_b32 v90, v90, v91, v95 bitop3:0x80
	ds_load_b32 v178, v93 offset:1056
	v_mul_u32_u24_e32 v91, 36, v92
	; wave barrier
	v_bitop3_b32 v90, v90, v96, v94 bitop3:0x80
	s_delay_alu instid0(VALU_DEP_2) | instskip(NEXT) | instid1(VALU_DEP_2)
	v_add_nc_u32_e32 v180, v148, v91
	v_mbcnt_lo_u32_b32 v179, v90, 0
	v_cmp_ne_u32_e64 s15, 0, v90
	s_delay_alu instid0(VALU_DEP_2) | instskip(SKIP_1) | instid1(SALU_CYCLE_1)
	v_cmp_eq_u32_e32 vcc_lo, 0, v179
	s_and_b32 s16, s15, vcc_lo
	s_and_saveexec_b32 s15, s16
	s_cbranch_execz .LBB804_432
; %bb.431:                              ;   in Loop: Header=BB804_388 Depth=2
	s_wait_dscnt 0x0
	v_bcnt_u32_b32 v90, v90, v178
	ds_store_b32 v180, v90 offset:1056
.LBB804_432:                            ;   in Loop: Header=BB804_388 Depth=2
	s_or_b32 exec_lo, exec_lo, s15
	v_xor_b32_e32 v69, 0x80000000, v69
	; wave barrier
	s_delay_alu instid0(VALU_DEP_1) | instskip(NEXT) | instid1(VALU_DEP_1)
	v_lshrrev_b64 v[90:91], s48, v[68:69]
	v_bitop3_b32 v91, v90, 1, s56 bitop3:0x80
	v_and_b32_e32 v92, s56, v90
	s_delay_alu instid0(VALU_DEP_2) | instskip(NEXT) | instid1(VALU_DEP_1)
	v_add_co_u32 v90, s15, v91, -1
	v_cndmask_b32_e64 v91, 0, 1, s15
	s_delay_alu instid0(VALU_DEP_3) | instskip(NEXT) | instid1(VALU_DEP_2)
	v_lshlrev_b32_e32 v93, 30, v92
	v_cmp_ne_u32_e32 vcc_lo, 0, v91
	s_delay_alu instid0(VALU_DEP_2) | instskip(NEXT) | instid1(VALU_DEP_1)
	v_not_b32_e32 v91, v93
	v_dual_ashrrev_i32 v91, 31, v91 :: v_dual_bitop2_b32 v90, vcc_lo, v90 bitop3:0x14
	v_dual_lshlrev_b32 v94, 29, v92 :: v_dual_lshlrev_b32 v95, 28, v92
	v_dual_lshlrev_b32 v96, 27, v92 :: v_dual_lshlrev_b32 v97, 26, v92
	v_lshlrev_b32_e32 v181, 25, v92
	v_cmp_gt_i32_e64 s15, 0, v93
	s_delay_alu instid0(VALU_DEP_4)
	v_cmp_gt_i32_e64 s16, 0, v94
	v_not_b32_e32 v93, v94
	v_not_b32_e32 v94, v95
	v_lshlrev_b32_e32 v182, 24, v92
	v_cmp_gt_i32_e64 s17, 0, v95
	v_cmp_gt_i32_e64 s18, 0, v96
	v_not_b32_e32 v95, v96
	v_cmp_gt_i32_e64 s19, 0, v97
	v_not_b32_e32 v96, v97
	v_not_b32_e32 v97, v181
	v_dual_ashrrev_i32 v93, 31, v93 :: v_dual_ashrrev_i32 v94, 31, v94
	v_xor_b32_e32 v91, s15, v91
	v_not_b32_e32 v183, v182
	v_dual_ashrrev_i32 v95, 31, v95 :: v_dual_ashrrev_i32 v96, 31, v96
	s_delay_alu instid0(VALU_DEP_4) | instskip(SKIP_2) | instid1(VALU_DEP_4)
	v_xor_b32_e32 v93, s16, v93
	v_xor_b32_e32 v94, s17, v94
	v_bitop3_b32 v90, v90, v91, exec_lo bitop3:0x80
	v_xor_b32_e32 v95, s18, v95
	v_xor_b32_e32 v91, s19, v96
	v_cmp_gt_i32_e32 vcc_lo, 0, v181
	v_ashrrev_i32_e32 v96, 31, v97
	v_cmp_gt_i32_e64 s15, 0, v182
	v_ashrrev_i32_e32 v97, 31, v183
	v_bitop3_b32 v90, v90, v94, v93 bitop3:0x80
	v_mad_u32_u24 v93, v92, 36, v148
	v_xor_b32_e32 v94, vcc_lo, v96
	s_delay_alu instid0(VALU_DEP_4) | instskip(NEXT) | instid1(VALU_DEP_4)
	v_xor_b32_e32 v96, s15, v97
	v_bitop3_b32 v90, v90, v91, v95 bitop3:0x80
	ds_load_b32 v181, v93 offset:1056
	v_mul_u32_u24_e32 v91, 36, v92
	; wave barrier
	v_bitop3_b32 v90, v90, v96, v94 bitop3:0x80
	s_delay_alu instid0(VALU_DEP_2) | instskip(NEXT) | instid1(VALU_DEP_2)
	v_add_nc_u32_e32 v183, v148, v91
	v_mbcnt_lo_u32_b32 v182, v90, 0
	v_cmp_ne_u32_e64 s15, 0, v90
	s_delay_alu instid0(VALU_DEP_2) | instskip(SKIP_1) | instid1(SALU_CYCLE_1)
	v_cmp_eq_u32_e32 vcc_lo, 0, v182
	s_and_b32 s16, s15, vcc_lo
	s_and_saveexec_b32 s15, s16
	s_cbranch_execz .LBB804_434
; %bb.433:                              ;   in Loop: Header=BB804_388 Depth=2
	s_wait_dscnt 0x0
	v_bcnt_u32_b32 v90, v90, v181
	ds_store_b32 v183, v90 offset:1056
.LBB804_434:                            ;   in Loop: Header=BB804_388 Depth=2
	s_or_b32 exec_lo, exec_lo, s15
	v_xor_b32_e32 v67, 0x80000000, v67
	; wave barrier
	s_delay_alu instid0(VALU_DEP_1) | instskip(NEXT) | instid1(VALU_DEP_1)
	v_lshrrev_b64 v[90:91], s48, v[66:67]
	v_bitop3_b32 v91, v90, 1, s56 bitop3:0x80
	v_and_b32_e32 v92, s56, v90
	s_delay_alu instid0(VALU_DEP_2) | instskip(NEXT) | instid1(VALU_DEP_1)
	v_add_co_u32 v90, s15, v91, -1
	v_cndmask_b32_e64 v91, 0, 1, s15
	s_delay_alu instid0(VALU_DEP_3) | instskip(NEXT) | instid1(VALU_DEP_2)
	v_lshlrev_b32_e32 v93, 30, v92
	v_cmp_ne_u32_e32 vcc_lo, 0, v91
	s_delay_alu instid0(VALU_DEP_2) | instskip(NEXT) | instid1(VALU_DEP_1)
	v_not_b32_e32 v91, v93
	v_dual_ashrrev_i32 v91, 31, v91 :: v_dual_bitop2_b32 v90, vcc_lo, v90 bitop3:0x14
	v_dual_lshlrev_b32 v94, 29, v92 :: v_dual_lshlrev_b32 v95, 28, v92
	v_dual_lshlrev_b32 v96, 27, v92 :: v_dual_lshlrev_b32 v97, 26, v92
	v_lshlrev_b32_e32 v184, 25, v92
	v_cmp_gt_i32_e64 s15, 0, v93
	s_delay_alu instid0(VALU_DEP_4)
	v_cmp_gt_i32_e64 s16, 0, v94
	v_not_b32_e32 v93, v94
	v_not_b32_e32 v94, v95
	v_lshlrev_b32_e32 v185, 24, v92
	v_cmp_gt_i32_e64 s17, 0, v95
	v_cmp_gt_i32_e64 s18, 0, v96
	v_not_b32_e32 v95, v96
	v_cmp_gt_i32_e64 s19, 0, v97
	v_not_b32_e32 v96, v97
	v_not_b32_e32 v97, v184
	v_dual_ashrrev_i32 v93, 31, v93 :: v_dual_ashrrev_i32 v94, 31, v94
	v_xor_b32_e32 v91, s15, v91
	v_not_b32_e32 v186, v185
	v_dual_ashrrev_i32 v95, 31, v95 :: v_dual_ashrrev_i32 v96, 31, v96
	s_delay_alu instid0(VALU_DEP_4) | instskip(SKIP_2) | instid1(VALU_DEP_4)
	v_xor_b32_e32 v93, s16, v93
	v_xor_b32_e32 v94, s17, v94
	v_bitop3_b32 v90, v90, v91, exec_lo bitop3:0x80
	v_xor_b32_e32 v95, s18, v95
	v_xor_b32_e32 v91, s19, v96
	v_cmp_gt_i32_e32 vcc_lo, 0, v184
	v_ashrrev_i32_e32 v96, 31, v97
	v_cmp_gt_i32_e64 s15, 0, v185
	v_ashrrev_i32_e32 v97, 31, v186
	v_bitop3_b32 v90, v90, v94, v93 bitop3:0x80
	v_mad_u32_u24 v93, v92, 36, v148
	v_xor_b32_e32 v94, vcc_lo, v96
	s_delay_alu instid0(VALU_DEP_4) | instskip(NEXT) | instid1(VALU_DEP_4)
	v_xor_b32_e32 v96, s15, v97
	v_bitop3_b32 v90, v90, v91, v95 bitop3:0x80
	ds_load_b32 v184, v93 offset:1056
	v_mul_u32_u24_e32 v91, 36, v92
	; wave barrier
	v_bitop3_b32 v90, v90, v96, v94 bitop3:0x80
	s_delay_alu instid0(VALU_DEP_2) | instskip(NEXT) | instid1(VALU_DEP_2)
	v_add_nc_u32_e32 v186, v148, v91
	v_mbcnt_lo_u32_b32 v185, v90, 0
	v_cmp_ne_u32_e64 s15, 0, v90
	s_delay_alu instid0(VALU_DEP_2) | instskip(SKIP_1) | instid1(SALU_CYCLE_1)
	v_cmp_eq_u32_e32 vcc_lo, 0, v185
	s_and_b32 s16, s15, vcc_lo
	s_and_saveexec_b32 s15, s16
	s_cbranch_execz .LBB804_436
; %bb.435:                              ;   in Loop: Header=BB804_388 Depth=2
	s_wait_dscnt 0x0
	v_bcnt_u32_b32 v90, v90, v184
	ds_store_b32 v186, v90 offset:1056
.LBB804_436:                            ;   in Loop: Header=BB804_388 Depth=2
	s_or_b32 exec_lo, exec_lo, s15
	v_xor_b32_e32 v73, 0x80000000, v73
	; wave barrier
	s_delay_alu instid0(VALU_DEP_1) | instskip(NEXT) | instid1(VALU_DEP_1)
	v_lshrrev_b64 v[90:91], s48, v[72:73]
	v_bitop3_b32 v91, v90, 1, s56 bitop3:0x80
	v_and_b32_e32 v92, s56, v90
	s_delay_alu instid0(VALU_DEP_2) | instskip(NEXT) | instid1(VALU_DEP_1)
	v_add_co_u32 v90, s15, v91, -1
	v_cndmask_b32_e64 v91, 0, 1, s15
	s_delay_alu instid0(VALU_DEP_3) | instskip(NEXT) | instid1(VALU_DEP_2)
	v_lshlrev_b32_e32 v93, 30, v92
	v_cmp_ne_u32_e32 vcc_lo, 0, v91
	s_delay_alu instid0(VALU_DEP_2) | instskip(NEXT) | instid1(VALU_DEP_1)
	v_not_b32_e32 v91, v93
	v_dual_ashrrev_i32 v91, 31, v91 :: v_dual_bitop2_b32 v90, vcc_lo, v90 bitop3:0x14
	v_dual_lshlrev_b32 v94, 29, v92 :: v_dual_lshlrev_b32 v95, 28, v92
	v_dual_lshlrev_b32 v96, 27, v92 :: v_dual_lshlrev_b32 v97, 26, v92
	v_lshlrev_b32_e32 v187, 25, v92
	v_cmp_gt_i32_e64 s15, 0, v93
	s_delay_alu instid0(VALU_DEP_4)
	v_cmp_gt_i32_e64 s16, 0, v94
	v_not_b32_e32 v93, v94
	v_not_b32_e32 v94, v95
	v_lshlrev_b32_e32 v188, 24, v92
	v_cmp_gt_i32_e64 s17, 0, v95
	v_cmp_gt_i32_e64 s18, 0, v96
	v_not_b32_e32 v95, v96
	v_cmp_gt_i32_e64 s19, 0, v97
	v_not_b32_e32 v96, v97
	v_not_b32_e32 v97, v187
	v_dual_ashrrev_i32 v93, 31, v93 :: v_dual_ashrrev_i32 v94, 31, v94
	v_xor_b32_e32 v91, s15, v91
	v_not_b32_e32 v189, v188
	v_dual_ashrrev_i32 v95, 31, v95 :: v_dual_ashrrev_i32 v96, 31, v96
	s_delay_alu instid0(VALU_DEP_4) | instskip(SKIP_2) | instid1(VALU_DEP_4)
	v_xor_b32_e32 v93, s16, v93
	v_xor_b32_e32 v94, s17, v94
	v_bitop3_b32 v90, v90, v91, exec_lo bitop3:0x80
	v_xor_b32_e32 v95, s18, v95
	v_xor_b32_e32 v91, s19, v96
	v_cmp_gt_i32_e32 vcc_lo, 0, v187
	v_ashrrev_i32_e32 v96, 31, v97
	v_cmp_gt_i32_e64 s15, 0, v188
	v_ashrrev_i32_e32 v97, 31, v189
	v_bitop3_b32 v90, v90, v94, v93 bitop3:0x80
	v_mad_u32_u24 v93, v92, 36, v148
	v_xor_b32_e32 v94, vcc_lo, v96
	s_delay_alu instid0(VALU_DEP_4) | instskip(NEXT) | instid1(VALU_DEP_4)
	v_xor_b32_e32 v96, s15, v97
	v_bitop3_b32 v90, v90, v91, v95 bitop3:0x80
	ds_load_b32 v187, v93 offset:1056
	v_mul_u32_u24_e32 v91, 36, v92
	; wave barrier
	v_bitop3_b32 v90, v90, v96, v94 bitop3:0x80
	s_delay_alu instid0(VALU_DEP_2) | instskip(NEXT) | instid1(VALU_DEP_2)
	v_add_nc_u32_e32 v189, v148, v91
	v_mbcnt_lo_u32_b32 v188, v90, 0
	v_cmp_ne_u32_e64 s15, 0, v90
	s_delay_alu instid0(VALU_DEP_2) | instskip(SKIP_1) | instid1(SALU_CYCLE_1)
	v_cmp_eq_u32_e32 vcc_lo, 0, v188
	s_and_b32 s16, s15, vcc_lo
	s_and_saveexec_b32 s15, s16
	s_cbranch_execz .LBB804_438
; %bb.437:                              ;   in Loop: Header=BB804_388 Depth=2
	s_wait_dscnt 0x0
	v_bcnt_u32_b32 v90, v90, v187
	ds_store_b32 v189, v90 offset:1056
.LBB804_438:                            ;   in Loop: Header=BB804_388 Depth=2
	s_or_b32 exec_lo, exec_lo, s15
	v_xor_b32_e32 v71, 0x80000000, v71
	; wave barrier
	s_delay_alu instid0(VALU_DEP_1) | instskip(NEXT) | instid1(VALU_DEP_1)
	v_lshrrev_b64 v[90:91], s48, v[70:71]
	v_bitop3_b32 v91, v90, 1, s56 bitop3:0x80
	v_and_b32_e32 v92, s56, v90
	s_delay_alu instid0(VALU_DEP_2) | instskip(NEXT) | instid1(VALU_DEP_1)
	v_add_co_u32 v90, s15, v91, -1
	v_cndmask_b32_e64 v91, 0, 1, s15
	s_delay_alu instid0(VALU_DEP_3) | instskip(NEXT) | instid1(VALU_DEP_2)
	v_lshlrev_b32_e32 v93, 30, v92
	v_cmp_ne_u32_e32 vcc_lo, 0, v91
	s_delay_alu instid0(VALU_DEP_2) | instskip(NEXT) | instid1(VALU_DEP_1)
	v_not_b32_e32 v91, v93
	v_dual_ashrrev_i32 v91, 31, v91 :: v_dual_bitop2_b32 v90, vcc_lo, v90 bitop3:0x14
	v_dual_lshlrev_b32 v94, 29, v92 :: v_dual_lshlrev_b32 v95, 28, v92
	v_dual_lshlrev_b32 v96, 27, v92 :: v_dual_lshlrev_b32 v97, 26, v92
	v_lshlrev_b32_e32 v190, 25, v92
	v_cmp_gt_i32_e64 s15, 0, v93
	s_delay_alu instid0(VALU_DEP_4)
	v_cmp_gt_i32_e64 s16, 0, v94
	v_not_b32_e32 v93, v94
	v_not_b32_e32 v94, v95
	v_lshlrev_b32_e32 v191, 24, v92
	v_cmp_gt_i32_e64 s17, 0, v95
	v_cmp_gt_i32_e64 s18, 0, v96
	v_not_b32_e32 v95, v96
	v_cmp_gt_i32_e64 s19, 0, v97
	v_not_b32_e32 v96, v97
	v_not_b32_e32 v97, v190
	v_dual_ashrrev_i32 v93, 31, v93 :: v_dual_ashrrev_i32 v94, 31, v94
	v_xor_b32_e32 v91, s15, v91
	v_not_b32_e32 v192, v191
	v_dual_ashrrev_i32 v95, 31, v95 :: v_dual_ashrrev_i32 v96, 31, v96
	s_delay_alu instid0(VALU_DEP_4) | instskip(SKIP_2) | instid1(VALU_DEP_4)
	v_xor_b32_e32 v93, s16, v93
	v_xor_b32_e32 v94, s17, v94
	v_bitop3_b32 v90, v90, v91, exec_lo bitop3:0x80
	v_xor_b32_e32 v95, s18, v95
	v_xor_b32_e32 v91, s19, v96
	v_cmp_gt_i32_e32 vcc_lo, 0, v190
	v_ashrrev_i32_e32 v96, 31, v97
	v_cmp_gt_i32_e64 s15, 0, v191
	v_ashrrev_i32_e32 v97, 31, v192
	v_bitop3_b32 v90, v90, v94, v93 bitop3:0x80
	v_mad_u32_u24 v93, v92, 36, v148
	v_xor_b32_e32 v94, vcc_lo, v96
	s_delay_alu instid0(VALU_DEP_4) | instskip(NEXT) | instid1(VALU_DEP_4)
	v_xor_b32_e32 v96, s15, v97
	v_bitop3_b32 v90, v90, v91, v95 bitop3:0x80
	ds_load_b32 v190, v93 offset:1056
	v_mul_u32_u24_e32 v91, 36, v92
	; wave barrier
	v_bitop3_b32 v90, v90, v96, v94 bitop3:0x80
	s_delay_alu instid0(VALU_DEP_2) | instskip(NEXT) | instid1(VALU_DEP_2)
	v_add_nc_u32_e32 v192, v148, v91
	v_mbcnt_lo_u32_b32 v191, v90, 0
	v_cmp_ne_u32_e64 s15, 0, v90
	s_delay_alu instid0(VALU_DEP_2) | instskip(SKIP_1) | instid1(SALU_CYCLE_1)
	v_cmp_eq_u32_e32 vcc_lo, 0, v191
	s_and_b32 s16, s15, vcc_lo
	s_and_saveexec_b32 s15, s16
	s_cbranch_execz .LBB804_440
; %bb.439:                              ;   in Loop: Header=BB804_388 Depth=2
	s_wait_dscnt 0x0
	v_bcnt_u32_b32 v90, v90, v190
	ds_store_b32 v192, v90 offset:1056
.LBB804_440:                            ;   in Loop: Header=BB804_388 Depth=2
	s_or_b32 exec_lo, exec_lo, s15
	v_xor_b32_e32 v77, 0x80000000, v77
	; wave barrier
	s_delay_alu instid0(VALU_DEP_1) | instskip(NEXT) | instid1(VALU_DEP_1)
	v_lshrrev_b64 v[90:91], s48, v[76:77]
	v_bitop3_b32 v91, v90, 1, s56 bitop3:0x80
	v_and_b32_e32 v92, s56, v90
	s_delay_alu instid0(VALU_DEP_2) | instskip(NEXT) | instid1(VALU_DEP_1)
	v_add_co_u32 v90, s15, v91, -1
	v_cndmask_b32_e64 v91, 0, 1, s15
	s_delay_alu instid0(VALU_DEP_3) | instskip(NEXT) | instid1(VALU_DEP_2)
	v_lshlrev_b32_e32 v93, 30, v92
	v_cmp_ne_u32_e32 vcc_lo, 0, v91
	s_delay_alu instid0(VALU_DEP_2) | instskip(NEXT) | instid1(VALU_DEP_1)
	v_not_b32_e32 v91, v93
	v_dual_ashrrev_i32 v91, 31, v91 :: v_dual_bitop2_b32 v90, vcc_lo, v90 bitop3:0x14
	v_dual_lshlrev_b32 v94, 29, v92 :: v_dual_lshlrev_b32 v95, 28, v92
	v_dual_lshlrev_b32 v96, 27, v92 :: v_dual_lshlrev_b32 v97, 26, v92
	v_lshlrev_b32_e32 v193, 25, v92
	v_cmp_gt_i32_e64 s15, 0, v93
	s_delay_alu instid0(VALU_DEP_4)
	v_cmp_gt_i32_e64 s16, 0, v94
	v_not_b32_e32 v93, v94
	v_not_b32_e32 v94, v95
	v_lshlrev_b32_e32 v194, 24, v92
	v_cmp_gt_i32_e64 s17, 0, v95
	v_cmp_gt_i32_e64 s18, 0, v96
	v_not_b32_e32 v95, v96
	v_cmp_gt_i32_e64 s19, 0, v97
	v_not_b32_e32 v96, v97
	v_not_b32_e32 v97, v193
	v_dual_ashrrev_i32 v93, 31, v93 :: v_dual_ashrrev_i32 v94, 31, v94
	v_xor_b32_e32 v91, s15, v91
	v_not_b32_e32 v195, v194
	v_dual_ashrrev_i32 v95, 31, v95 :: v_dual_ashrrev_i32 v96, 31, v96
	s_delay_alu instid0(VALU_DEP_4) | instskip(SKIP_2) | instid1(VALU_DEP_4)
	v_xor_b32_e32 v93, s16, v93
	v_xor_b32_e32 v94, s17, v94
	v_bitop3_b32 v90, v90, v91, exec_lo bitop3:0x80
	v_xor_b32_e32 v95, s18, v95
	v_xor_b32_e32 v91, s19, v96
	v_cmp_gt_i32_e32 vcc_lo, 0, v193
	v_ashrrev_i32_e32 v96, 31, v97
	v_cmp_gt_i32_e64 s15, 0, v194
	v_ashrrev_i32_e32 v97, 31, v195
	v_bitop3_b32 v90, v90, v94, v93 bitop3:0x80
	v_mad_u32_u24 v93, v92, 36, v148
	v_xor_b32_e32 v94, vcc_lo, v96
	s_delay_alu instid0(VALU_DEP_4) | instskip(NEXT) | instid1(VALU_DEP_4)
	v_xor_b32_e32 v96, s15, v97
	v_bitop3_b32 v90, v90, v91, v95 bitop3:0x80
	ds_load_b32 v193, v93 offset:1056
	v_mul_u32_u24_e32 v91, 36, v92
	; wave barrier
	v_bitop3_b32 v90, v90, v96, v94 bitop3:0x80
	s_delay_alu instid0(VALU_DEP_2) | instskip(NEXT) | instid1(VALU_DEP_2)
	v_add_nc_u32_e32 v195, v148, v91
	v_mbcnt_lo_u32_b32 v194, v90, 0
	v_cmp_ne_u32_e64 s15, 0, v90
	s_delay_alu instid0(VALU_DEP_2) | instskip(SKIP_1) | instid1(SALU_CYCLE_1)
	v_cmp_eq_u32_e32 vcc_lo, 0, v194
	s_and_b32 s16, s15, vcc_lo
	s_and_saveexec_b32 s15, s16
	s_cbranch_execz .LBB804_442
; %bb.441:                              ;   in Loop: Header=BB804_388 Depth=2
	s_wait_dscnt 0x0
	v_bcnt_u32_b32 v90, v90, v193
	ds_store_b32 v195, v90 offset:1056
.LBB804_442:                            ;   in Loop: Header=BB804_388 Depth=2
	s_or_b32 exec_lo, exec_lo, s15
	v_xor_b32_e32 v75, 0x80000000, v75
	; wave barrier
	s_delay_alu instid0(VALU_DEP_1) | instskip(NEXT) | instid1(VALU_DEP_1)
	v_lshrrev_b64 v[90:91], s48, v[74:75]
	v_bitop3_b32 v91, v90, 1, s56 bitop3:0x80
	v_and_b32_e32 v92, s56, v90
	s_delay_alu instid0(VALU_DEP_2) | instskip(NEXT) | instid1(VALU_DEP_1)
	v_add_co_u32 v90, s15, v91, -1
	v_cndmask_b32_e64 v91, 0, 1, s15
	s_delay_alu instid0(VALU_DEP_3) | instskip(NEXT) | instid1(VALU_DEP_2)
	v_lshlrev_b32_e32 v93, 30, v92
	v_cmp_ne_u32_e32 vcc_lo, 0, v91
	s_delay_alu instid0(VALU_DEP_2) | instskip(NEXT) | instid1(VALU_DEP_1)
	v_not_b32_e32 v91, v93
	v_dual_ashrrev_i32 v91, 31, v91 :: v_dual_bitop2_b32 v90, vcc_lo, v90 bitop3:0x14
	v_dual_lshlrev_b32 v94, 29, v92 :: v_dual_lshlrev_b32 v95, 28, v92
	v_dual_lshlrev_b32 v96, 27, v92 :: v_dual_lshlrev_b32 v97, 26, v92
	v_lshlrev_b32_e32 v196, 25, v92
	v_cmp_gt_i32_e64 s15, 0, v93
	s_delay_alu instid0(VALU_DEP_4)
	v_cmp_gt_i32_e64 s16, 0, v94
	v_not_b32_e32 v93, v94
	v_not_b32_e32 v94, v95
	v_lshlrev_b32_e32 v197, 24, v92
	v_cmp_gt_i32_e64 s17, 0, v95
	v_cmp_gt_i32_e64 s18, 0, v96
	v_not_b32_e32 v95, v96
	v_cmp_gt_i32_e64 s19, 0, v97
	v_not_b32_e32 v96, v97
	v_not_b32_e32 v97, v196
	v_dual_ashrrev_i32 v93, 31, v93 :: v_dual_ashrrev_i32 v94, 31, v94
	v_xor_b32_e32 v91, s15, v91
	v_not_b32_e32 v198, v197
	v_dual_ashrrev_i32 v95, 31, v95 :: v_dual_ashrrev_i32 v96, 31, v96
	s_delay_alu instid0(VALU_DEP_4) | instskip(SKIP_2) | instid1(VALU_DEP_4)
	v_xor_b32_e32 v93, s16, v93
	v_xor_b32_e32 v94, s17, v94
	v_bitop3_b32 v90, v90, v91, exec_lo bitop3:0x80
	v_xor_b32_e32 v95, s18, v95
	v_xor_b32_e32 v91, s19, v96
	v_cmp_gt_i32_e32 vcc_lo, 0, v196
	v_ashrrev_i32_e32 v96, 31, v97
	v_cmp_gt_i32_e64 s15, 0, v197
	v_ashrrev_i32_e32 v97, 31, v198
	v_bitop3_b32 v90, v90, v94, v93 bitop3:0x80
	v_mad_u32_u24 v93, v92, 36, v148
	v_xor_b32_e32 v94, vcc_lo, v96
	s_delay_alu instid0(VALU_DEP_4) | instskip(NEXT) | instid1(VALU_DEP_4)
	v_xor_b32_e32 v96, s15, v97
	v_bitop3_b32 v90, v90, v91, v95 bitop3:0x80
	ds_load_b32 v196, v93 offset:1056
	v_mul_u32_u24_e32 v91, 36, v92
	; wave barrier
	v_bitop3_b32 v90, v90, v96, v94 bitop3:0x80
	s_delay_alu instid0(VALU_DEP_2) | instskip(NEXT) | instid1(VALU_DEP_2)
	v_add_nc_u32_e32 v198, v148, v91
	v_mbcnt_lo_u32_b32 v197, v90, 0
	v_cmp_ne_u32_e64 s15, 0, v90
	s_delay_alu instid0(VALU_DEP_2) | instskip(SKIP_1) | instid1(SALU_CYCLE_1)
	v_cmp_eq_u32_e32 vcc_lo, 0, v197
	s_and_b32 s16, s15, vcc_lo
	s_and_saveexec_b32 s15, s16
	s_cbranch_execz .LBB804_444
; %bb.443:                              ;   in Loop: Header=BB804_388 Depth=2
	s_wait_dscnt 0x0
	v_bcnt_u32_b32 v90, v90, v196
	ds_store_b32 v198, v90 offset:1056
.LBB804_444:                            ;   in Loop: Header=BB804_388 Depth=2
	s_or_b32 exec_lo, exec_lo, s15
	v_xor_b32_e32 v81, 0x80000000, v81
	; wave barrier
	s_delay_alu instid0(VALU_DEP_1) | instskip(NEXT) | instid1(VALU_DEP_1)
	v_lshrrev_b64 v[90:91], s48, v[80:81]
	v_bitop3_b32 v91, v90, 1, s56 bitop3:0x80
	v_and_b32_e32 v92, s56, v90
	s_delay_alu instid0(VALU_DEP_2) | instskip(NEXT) | instid1(VALU_DEP_1)
	v_add_co_u32 v90, s15, v91, -1
	v_cndmask_b32_e64 v91, 0, 1, s15
	s_delay_alu instid0(VALU_DEP_3) | instskip(NEXT) | instid1(VALU_DEP_2)
	v_lshlrev_b32_e32 v93, 30, v92
	v_cmp_ne_u32_e32 vcc_lo, 0, v91
	s_delay_alu instid0(VALU_DEP_2) | instskip(NEXT) | instid1(VALU_DEP_1)
	v_not_b32_e32 v91, v93
	v_dual_ashrrev_i32 v91, 31, v91 :: v_dual_bitop2_b32 v90, vcc_lo, v90 bitop3:0x14
	v_dual_lshlrev_b32 v94, 29, v92 :: v_dual_lshlrev_b32 v95, 28, v92
	v_dual_lshlrev_b32 v96, 27, v92 :: v_dual_lshlrev_b32 v97, 26, v92
	v_lshlrev_b32_e32 v199, 25, v92
	v_cmp_gt_i32_e64 s15, 0, v93
	s_delay_alu instid0(VALU_DEP_4)
	v_cmp_gt_i32_e64 s16, 0, v94
	v_not_b32_e32 v93, v94
	v_not_b32_e32 v94, v95
	v_lshlrev_b32_e32 v200, 24, v92
	v_cmp_gt_i32_e64 s17, 0, v95
	v_cmp_gt_i32_e64 s18, 0, v96
	v_not_b32_e32 v95, v96
	v_cmp_gt_i32_e64 s19, 0, v97
	v_not_b32_e32 v96, v97
	v_not_b32_e32 v97, v199
	v_dual_ashrrev_i32 v93, 31, v93 :: v_dual_ashrrev_i32 v94, 31, v94
	v_xor_b32_e32 v91, s15, v91
	v_not_b32_e32 v201, v200
	v_dual_ashrrev_i32 v95, 31, v95 :: v_dual_ashrrev_i32 v96, 31, v96
	s_delay_alu instid0(VALU_DEP_4) | instskip(SKIP_2) | instid1(VALU_DEP_4)
	v_xor_b32_e32 v93, s16, v93
	v_xor_b32_e32 v94, s17, v94
	v_bitop3_b32 v90, v90, v91, exec_lo bitop3:0x80
	v_xor_b32_e32 v95, s18, v95
	v_xor_b32_e32 v91, s19, v96
	v_cmp_gt_i32_e32 vcc_lo, 0, v199
	v_ashrrev_i32_e32 v96, 31, v97
	v_cmp_gt_i32_e64 s15, 0, v200
	v_ashrrev_i32_e32 v97, 31, v201
	v_bitop3_b32 v90, v90, v94, v93 bitop3:0x80
	v_mad_u32_u24 v93, v92, 36, v148
	v_xor_b32_e32 v94, vcc_lo, v96
	s_delay_alu instid0(VALU_DEP_4) | instskip(NEXT) | instid1(VALU_DEP_4)
	v_xor_b32_e32 v96, s15, v97
	v_bitop3_b32 v90, v90, v91, v95 bitop3:0x80
	ds_load_b32 v199, v93 offset:1056
	v_mul_u32_u24_e32 v91, 36, v92
	; wave barrier
	v_bitop3_b32 v90, v90, v96, v94 bitop3:0x80
	s_delay_alu instid0(VALU_DEP_2) | instskip(NEXT) | instid1(VALU_DEP_2)
	v_add_nc_u32_e32 v202, v148, v91
	v_mbcnt_lo_u32_b32 v200, v90, 0
	v_cmp_ne_u32_e64 s15, 0, v90
	s_delay_alu instid0(VALU_DEP_2) | instskip(SKIP_1) | instid1(SALU_CYCLE_1)
	v_cmp_eq_u32_e32 vcc_lo, 0, v200
	s_and_b32 s16, s15, vcc_lo
	s_and_saveexec_b32 s15, s16
	s_cbranch_execz .LBB804_446
; %bb.445:                              ;   in Loop: Header=BB804_388 Depth=2
	s_wait_dscnt 0x0
	v_bcnt_u32_b32 v90, v90, v199
	ds_store_b32 v202, v90 offset:1056
.LBB804_446:                            ;   in Loop: Header=BB804_388 Depth=2
	s_or_b32 exec_lo, exec_lo, s15
	v_xor_b32_e32 v79, 0x80000000, v79
	; wave barrier
	s_delay_alu instid0(VALU_DEP_1) | instskip(NEXT) | instid1(VALU_DEP_1)
	v_lshrrev_b64 v[90:91], s48, v[78:79]
	v_bitop3_b32 v91, v90, 1, s56 bitop3:0x80
	v_and_b32_e32 v92, s56, v90
	s_delay_alu instid0(VALU_DEP_2) | instskip(NEXT) | instid1(VALU_DEP_1)
	v_add_co_u32 v90, s15, v91, -1
	v_cndmask_b32_e64 v91, 0, 1, s15
	s_delay_alu instid0(VALU_DEP_3) | instskip(NEXT) | instid1(VALU_DEP_2)
	v_lshlrev_b32_e32 v93, 30, v92
	v_cmp_ne_u32_e32 vcc_lo, 0, v91
	s_delay_alu instid0(VALU_DEP_2) | instskip(NEXT) | instid1(VALU_DEP_1)
	v_not_b32_e32 v91, v93
	v_dual_ashrrev_i32 v91, 31, v91 :: v_dual_bitop2_b32 v90, vcc_lo, v90 bitop3:0x14
	v_dual_lshlrev_b32 v94, 29, v92 :: v_dual_lshlrev_b32 v95, 28, v92
	v_dual_lshlrev_b32 v96, 27, v92 :: v_dual_lshlrev_b32 v97, 26, v92
	v_lshlrev_b32_e32 v201, 25, v92
	v_cmp_gt_i32_e64 s15, 0, v93
	s_delay_alu instid0(VALU_DEP_4)
	v_cmp_gt_i32_e64 s16, 0, v94
	v_not_b32_e32 v93, v94
	v_not_b32_e32 v94, v95
	v_lshlrev_b32_e32 v203, 24, v92
	v_cmp_gt_i32_e64 s17, 0, v95
	v_cmp_gt_i32_e64 s18, 0, v96
	v_not_b32_e32 v95, v96
	v_cmp_gt_i32_e64 s19, 0, v97
	v_not_b32_e32 v96, v97
	v_not_b32_e32 v97, v201
	v_dual_ashrrev_i32 v93, 31, v93 :: v_dual_ashrrev_i32 v94, 31, v94
	v_xor_b32_e32 v91, s15, v91
	v_not_b32_e32 v204, v203
	v_dual_ashrrev_i32 v95, 31, v95 :: v_dual_ashrrev_i32 v96, 31, v96
	s_delay_alu instid0(VALU_DEP_4) | instskip(SKIP_2) | instid1(VALU_DEP_4)
	v_xor_b32_e32 v93, s16, v93
	v_xor_b32_e32 v94, s17, v94
	v_bitop3_b32 v90, v90, v91, exec_lo bitop3:0x80
	v_xor_b32_e32 v95, s18, v95
	v_xor_b32_e32 v91, s19, v96
	v_cmp_gt_i32_e32 vcc_lo, 0, v201
	v_ashrrev_i32_e32 v96, 31, v97
	v_cmp_gt_i32_e64 s15, 0, v203
	v_ashrrev_i32_e32 v97, 31, v204
	v_bitop3_b32 v90, v90, v94, v93 bitop3:0x80
	v_mad_u32_u24 v93, v92, 36, v148
	v_xor_b32_e32 v94, vcc_lo, v96
	s_delay_alu instid0(VALU_DEP_4) | instskip(NEXT) | instid1(VALU_DEP_4)
	v_xor_b32_e32 v96, s15, v97
	v_bitop3_b32 v90, v90, v91, v95 bitop3:0x80
	ds_load_b32 v201, v93 offset:1056
	v_mul_u32_u24_e32 v91, 36, v92
	; wave barrier
	v_bitop3_b32 v90, v90, v96, v94 bitop3:0x80
	s_delay_alu instid0(VALU_DEP_2) | instskip(NEXT) | instid1(VALU_DEP_2)
	v_add_nc_u32_e32 v206, v148, v91
	v_mbcnt_lo_u32_b32 v203, v90, 0
	v_cmp_ne_u32_e64 s15, 0, v90
	s_delay_alu instid0(VALU_DEP_2) | instskip(SKIP_1) | instid1(SALU_CYCLE_1)
	v_cmp_eq_u32_e32 vcc_lo, 0, v203
	s_and_b32 s16, s15, vcc_lo
	s_and_saveexec_b32 s15, s16
	s_cbranch_execz .LBB804_448
; %bb.447:                              ;   in Loop: Header=BB804_388 Depth=2
	s_wait_dscnt 0x0
	v_bcnt_u32_b32 v90, v90, v201
	ds_store_b32 v206, v90 offset:1056
.LBB804_448:                            ;   in Loop: Header=BB804_388 Depth=2
	s_or_b32 exec_lo, exec_lo, s15
	v_xor_b32_e32 v85, 0x80000000, v85
	; wave barrier
	s_delay_alu instid0(VALU_DEP_1) | instskip(NEXT) | instid1(VALU_DEP_1)
	v_lshrrev_b64 v[90:91], s48, v[84:85]
	v_bitop3_b32 v91, v90, 1, s56 bitop3:0x80
	v_and_b32_e32 v92, s56, v90
	s_delay_alu instid0(VALU_DEP_2) | instskip(NEXT) | instid1(VALU_DEP_1)
	v_add_co_u32 v90, s15, v91, -1
	v_cndmask_b32_e64 v91, 0, 1, s15
	s_delay_alu instid0(VALU_DEP_3) | instskip(NEXT) | instid1(VALU_DEP_2)
	v_lshlrev_b32_e32 v93, 30, v92
	v_cmp_ne_u32_e32 vcc_lo, 0, v91
	s_delay_alu instid0(VALU_DEP_2) | instskip(NEXT) | instid1(VALU_DEP_1)
	v_not_b32_e32 v91, v93
	v_dual_ashrrev_i32 v91, 31, v91 :: v_dual_bitop2_b32 v90, vcc_lo, v90 bitop3:0x14
	v_dual_lshlrev_b32 v94, 29, v92 :: v_dual_lshlrev_b32 v95, 28, v92
	v_dual_lshlrev_b32 v96, 27, v92 :: v_dual_lshlrev_b32 v97, 26, v92
	v_lshlrev_b32_e32 v204, 25, v92
	v_cmp_gt_i32_e64 s15, 0, v93
	s_delay_alu instid0(VALU_DEP_4)
	v_cmp_gt_i32_e64 s16, 0, v94
	v_not_b32_e32 v93, v94
	v_not_b32_e32 v94, v95
	v_lshlrev_b32_e32 v205, 24, v92
	v_cmp_gt_i32_e64 s17, 0, v95
	v_cmp_gt_i32_e64 s18, 0, v96
	v_not_b32_e32 v95, v96
	v_cmp_gt_i32_e64 s19, 0, v97
	v_not_b32_e32 v96, v97
	v_not_b32_e32 v97, v204
	v_dual_ashrrev_i32 v93, 31, v93 :: v_dual_ashrrev_i32 v94, 31, v94
	v_xor_b32_e32 v91, s15, v91
	v_not_b32_e32 v207, v205
	v_dual_ashrrev_i32 v95, 31, v95 :: v_dual_ashrrev_i32 v96, 31, v96
	s_delay_alu instid0(VALU_DEP_4) | instskip(SKIP_2) | instid1(VALU_DEP_4)
	v_xor_b32_e32 v93, s16, v93
	v_xor_b32_e32 v94, s17, v94
	v_bitop3_b32 v90, v90, v91, exec_lo bitop3:0x80
	v_xor_b32_e32 v95, s18, v95
	v_xor_b32_e32 v91, s19, v96
	v_cmp_gt_i32_e32 vcc_lo, 0, v204
	v_ashrrev_i32_e32 v96, 31, v97
	v_cmp_gt_i32_e64 s15, 0, v205
	v_ashrrev_i32_e32 v97, 31, v207
	v_bitop3_b32 v90, v90, v94, v93 bitop3:0x80
	v_mad_u32_u24 v93, v92, 36, v148
	v_xor_b32_e32 v94, vcc_lo, v96
	s_delay_alu instid0(VALU_DEP_4) | instskip(NEXT) | instid1(VALU_DEP_4)
	v_xor_b32_e32 v96, s15, v97
	v_bitop3_b32 v90, v90, v91, v95 bitop3:0x80
	ds_load_b32 v204, v93 offset:1056
	v_mul_u32_u24_e32 v91, 36, v92
	; wave barrier
	v_bitop3_b32 v90, v90, v96, v94 bitop3:0x80
	s_delay_alu instid0(VALU_DEP_2) | instskip(NEXT) | instid1(VALU_DEP_2)
	v_add_nc_u32_e32 v209, v148, v91
	v_mbcnt_lo_u32_b32 v205, v90, 0
	v_cmp_ne_u32_e64 s15, 0, v90
	s_delay_alu instid0(VALU_DEP_2) | instskip(SKIP_1) | instid1(SALU_CYCLE_1)
	v_cmp_eq_u32_e32 vcc_lo, 0, v205
	s_and_b32 s16, s15, vcc_lo
	s_and_saveexec_b32 s15, s16
	s_cbranch_execz .LBB804_450
; %bb.449:                              ;   in Loop: Header=BB804_388 Depth=2
	s_wait_dscnt 0x0
	v_bcnt_u32_b32 v90, v90, v204
	ds_store_b32 v209, v90 offset:1056
.LBB804_450:                            ;   in Loop: Header=BB804_388 Depth=2
	s_or_b32 exec_lo, exec_lo, s15
	v_xor_b32_e32 v83, 0x80000000, v83
	; wave barrier
	s_delay_alu instid0(VALU_DEP_1) | instskip(NEXT) | instid1(VALU_DEP_1)
	v_lshrrev_b64 v[90:91], s48, v[82:83]
	v_bitop3_b32 v91, v90, 1, s56 bitop3:0x80
	v_and_b32_e32 v92, s56, v90
	s_delay_alu instid0(VALU_DEP_2) | instskip(NEXT) | instid1(VALU_DEP_1)
	v_add_co_u32 v90, s15, v91, -1
	v_cndmask_b32_e64 v91, 0, 1, s15
	s_delay_alu instid0(VALU_DEP_3) | instskip(NEXT) | instid1(VALU_DEP_2)
	v_lshlrev_b32_e32 v93, 30, v92
	v_cmp_ne_u32_e32 vcc_lo, 0, v91
	s_delay_alu instid0(VALU_DEP_2) | instskip(NEXT) | instid1(VALU_DEP_1)
	v_not_b32_e32 v91, v93
	v_dual_ashrrev_i32 v91, 31, v91 :: v_dual_bitop2_b32 v90, vcc_lo, v90 bitop3:0x14
	v_dual_lshlrev_b32 v94, 29, v92 :: v_dual_lshlrev_b32 v95, 28, v92
	v_dual_lshlrev_b32 v96, 27, v92 :: v_dual_lshlrev_b32 v97, 26, v92
	v_lshlrev_b32_e32 v207, 25, v92
	v_cmp_gt_i32_e64 s15, 0, v93
	s_delay_alu instid0(VALU_DEP_4)
	v_cmp_gt_i32_e64 s16, 0, v94
	v_not_b32_e32 v93, v94
	v_not_b32_e32 v94, v95
	v_lshlrev_b32_e32 v208, 24, v92
	v_cmp_gt_i32_e64 s17, 0, v95
	v_cmp_gt_i32_e64 s18, 0, v96
	v_not_b32_e32 v95, v96
	v_cmp_gt_i32_e64 s19, 0, v97
	v_not_b32_e32 v96, v97
	v_not_b32_e32 v97, v207
	v_dual_ashrrev_i32 v93, 31, v93 :: v_dual_ashrrev_i32 v94, 31, v94
	v_xor_b32_e32 v91, s15, v91
	v_not_b32_e32 v210, v208
	v_dual_ashrrev_i32 v95, 31, v95 :: v_dual_ashrrev_i32 v96, 31, v96
	s_delay_alu instid0(VALU_DEP_4) | instskip(SKIP_2) | instid1(VALU_DEP_4)
	v_xor_b32_e32 v93, s16, v93
	v_xor_b32_e32 v94, s17, v94
	v_bitop3_b32 v90, v90, v91, exec_lo bitop3:0x80
	v_xor_b32_e32 v95, s18, v95
	v_xor_b32_e32 v91, s19, v96
	v_cmp_gt_i32_e32 vcc_lo, 0, v207
	v_ashrrev_i32_e32 v96, 31, v97
	v_cmp_gt_i32_e64 s15, 0, v208
	v_ashrrev_i32_e32 v97, 31, v210
	v_bitop3_b32 v90, v90, v94, v93 bitop3:0x80
	v_mad_u32_u24 v93, v92, 36, v148
	v_xor_b32_e32 v94, vcc_lo, v96
	s_delay_alu instid0(VALU_DEP_4) | instskip(NEXT) | instid1(VALU_DEP_4)
	v_xor_b32_e32 v96, s15, v97
	v_bitop3_b32 v90, v90, v91, v95 bitop3:0x80
	ds_load_b32 v207, v93 offset:1056
	v_mul_u32_u24_e32 v91, 36, v92
	; wave barrier
	v_bitop3_b32 v90, v90, v96, v94 bitop3:0x80
	s_delay_alu instid0(VALU_DEP_2) | instskip(NEXT) | instid1(VALU_DEP_2)
	v_add_nc_u32_e32 v212, v148, v91
	v_mbcnt_lo_u32_b32 v208, v90, 0
	v_cmp_ne_u32_e64 s15, 0, v90
	s_delay_alu instid0(VALU_DEP_2) | instskip(SKIP_1) | instid1(SALU_CYCLE_1)
	v_cmp_eq_u32_e32 vcc_lo, 0, v208
	s_and_b32 s16, s15, vcc_lo
	s_and_saveexec_b32 s15, s16
	s_cbranch_execz .LBB804_452
; %bb.451:                              ;   in Loop: Header=BB804_388 Depth=2
	s_wait_dscnt 0x0
	v_bcnt_u32_b32 v90, v90, v207
	ds_store_b32 v212, v90 offset:1056
.LBB804_452:                            ;   in Loop: Header=BB804_388 Depth=2
	s_or_b32 exec_lo, exec_lo, s15
	v_xor_b32_e32 v87, 0x80000000, v87
	; wave barrier
	s_delay_alu instid0(VALU_DEP_1) | instskip(NEXT) | instid1(VALU_DEP_1)
	v_lshrrev_b64 v[90:91], s48, v[86:87]
	v_bitop3_b32 v91, v90, 1, s56 bitop3:0x80
	v_and_b32_e32 v92, s56, v90
	s_delay_alu instid0(VALU_DEP_2) | instskip(NEXT) | instid1(VALU_DEP_1)
	v_add_co_u32 v90, s15, v91, -1
	v_cndmask_b32_e64 v91, 0, 1, s15
	s_delay_alu instid0(VALU_DEP_3) | instskip(NEXT) | instid1(VALU_DEP_2)
	v_lshlrev_b32_e32 v93, 30, v92
	v_cmp_ne_u32_e32 vcc_lo, 0, v91
	s_delay_alu instid0(VALU_DEP_2) | instskip(NEXT) | instid1(VALU_DEP_1)
	v_not_b32_e32 v91, v93
	v_dual_ashrrev_i32 v91, 31, v91 :: v_dual_bitop2_b32 v90, vcc_lo, v90 bitop3:0x14
	v_dual_lshlrev_b32 v94, 29, v92 :: v_dual_lshlrev_b32 v95, 28, v92
	v_dual_lshlrev_b32 v96, 27, v92 :: v_dual_lshlrev_b32 v97, 26, v92
	v_lshlrev_b32_e32 v210, 25, v92
	v_cmp_gt_i32_e64 s15, 0, v93
	s_delay_alu instid0(VALU_DEP_4)
	v_cmp_gt_i32_e64 s16, 0, v94
	v_not_b32_e32 v93, v94
	v_not_b32_e32 v94, v95
	v_lshlrev_b32_e32 v211, 24, v92
	v_cmp_gt_i32_e64 s17, 0, v95
	v_cmp_gt_i32_e64 s18, 0, v96
	v_not_b32_e32 v95, v96
	v_cmp_gt_i32_e64 s19, 0, v97
	v_not_b32_e32 v96, v97
	v_not_b32_e32 v97, v210
	v_dual_ashrrev_i32 v93, 31, v93 :: v_dual_ashrrev_i32 v94, 31, v94
	v_xor_b32_e32 v91, s15, v91
	v_not_b32_e32 v213, v211
	v_dual_ashrrev_i32 v95, 31, v95 :: v_dual_ashrrev_i32 v96, 31, v96
	s_delay_alu instid0(VALU_DEP_4) | instskip(SKIP_2) | instid1(VALU_DEP_4)
	v_xor_b32_e32 v93, s16, v93
	v_xor_b32_e32 v94, s17, v94
	v_bitop3_b32 v90, v90, v91, exec_lo bitop3:0x80
	v_xor_b32_e32 v95, s18, v95
	v_xor_b32_e32 v91, s19, v96
	v_cmp_gt_i32_e32 vcc_lo, 0, v210
	v_ashrrev_i32_e32 v96, 31, v97
	v_cmp_gt_i32_e64 s15, 0, v211
	v_ashrrev_i32_e32 v97, 31, v213
	v_bitop3_b32 v90, v90, v94, v93 bitop3:0x80
	v_mad_u32_u24 v93, v92, 36, v148
	v_xor_b32_e32 v94, vcc_lo, v96
	s_delay_alu instid0(VALU_DEP_4) | instskip(NEXT) | instid1(VALU_DEP_4)
	v_xor_b32_e32 v96, s15, v97
	v_bitop3_b32 v90, v90, v91, v95 bitop3:0x80
	ds_load_b32 v210, v93 offset:1056
	v_mul_u32_u24_e32 v91, 36, v92
	; wave barrier
	v_bitop3_b32 v90, v90, v96, v94 bitop3:0x80
	s_delay_alu instid0(VALU_DEP_2) | instskip(NEXT) | instid1(VALU_DEP_2)
	v_add_nc_u32_e32 v215, v148, v91
	v_mbcnt_lo_u32_b32 v211, v90, 0
	v_cmp_ne_u32_e64 s15, 0, v90
	s_delay_alu instid0(VALU_DEP_2) | instskip(SKIP_1) | instid1(SALU_CYCLE_1)
	v_cmp_eq_u32_e32 vcc_lo, 0, v211
	s_and_b32 s16, s15, vcc_lo
	s_and_saveexec_b32 s15, s16
	s_cbranch_execz .LBB804_454
; %bb.453:                              ;   in Loop: Header=BB804_388 Depth=2
	s_wait_dscnt 0x0
	v_bcnt_u32_b32 v90, v90, v210
	ds_store_b32 v215, v90 offset:1056
.LBB804_454:                            ;   in Loop: Header=BB804_388 Depth=2
	s_or_b32 exec_lo, exec_lo, s15
	v_lshrrev_b64 v[90:91], s48, v[88:89]
	; wave barrier
	s_delay_alu instid0(VALU_DEP_1) | instskip(SKIP_1) | instid1(VALU_DEP_2)
	v_bitop3_b32 v91, v90, 1, s56 bitop3:0x80
	v_and_b32_e32 v92, s56, v90
	v_add_co_u32 v90, s15, v91, -1
	s_delay_alu instid0(VALU_DEP_1) | instskip(NEXT) | instid1(VALU_DEP_3)
	v_cndmask_b32_e64 v91, 0, 1, s15
	v_lshlrev_b32_e32 v93, 30, v92
	s_delay_alu instid0(VALU_DEP_2) | instskip(NEXT) | instid1(VALU_DEP_2)
	v_cmp_ne_u32_e32 vcc_lo, 0, v91
	v_not_b32_e32 v91, v93
	s_delay_alu instid0(VALU_DEP_1) | instskip(SKIP_4) | instid1(VALU_DEP_4)
	v_dual_ashrrev_i32 v91, 31, v91 :: v_dual_bitop2_b32 v90, vcc_lo, v90 bitop3:0x14
	v_dual_lshlrev_b32 v94, 29, v92 :: v_dual_lshlrev_b32 v95, 28, v92
	v_dual_lshlrev_b32 v96, 27, v92 :: v_dual_lshlrev_b32 v97, 26, v92
	v_lshlrev_b32_e32 v213, 25, v92
	v_cmp_gt_i32_e64 s15, 0, v93
	v_cmp_gt_i32_e64 s16, 0, v94
	v_not_b32_e32 v93, v94
	v_not_b32_e32 v94, v95
	v_lshlrev_b32_e32 v214, 24, v92
	v_cmp_gt_i32_e64 s17, 0, v95
	v_cmp_gt_i32_e64 s18, 0, v96
	v_not_b32_e32 v95, v96
	v_dual_ashrrev_i32 v93, 31, v93 :: v_dual_ashrrev_i32 v94, 31, v94
	v_xor_b32_e32 v91, s15, v91
	v_not_b32_e32 v96, v97
	v_cmp_gt_i32_e64 s19, 0, v97
	s_delay_alu instid0(VALU_DEP_4)
	v_dual_ashrrev_i32 v95, 31, v95 :: v_dual_bitop2_b32 v93, s16, v93 bitop3:0x14
	v_xor_b32_e32 v94, s17, v94
	v_bitop3_b32 v90, v90, v91, exec_lo bitop3:0x80
	v_ashrrev_i32_e32 v91, 31, v96
	v_not_b32_e32 v96, v213
	v_not_b32_e32 v97, v214
	v_xor_b32_e32 v95, s18, v95
	v_bitop3_b32 v90, v90, v94, v93 bitop3:0x80
	v_xor_b32_e32 v91, s19, v91
	v_cmp_gt_i32_e32 vcc_lo, 0, v213
	v_ashrrev_i32_e32 v93, 31, v96
	v_cmp_gt_i32_e64 s15, 0, v214
	v_ashrrev_i32_e32 v94, 31, v97
	v_mad_u32_u24 v96, v92, 36, v148
	v_bitop3_b32 v90, v90, v91, v95 bitop3:0x80
	v_xor_b32_e32 v91, vcc_lo, v93
	s_delay_alu instid0(VALU_DEP_4) | instskip(SKIP_3) | instid1(VALU_DEP_2)
	v_xor_b32_e32 v93, s15, v94
	ds_load_b32 v213, v96 offset:1056
	; wave barrier
	v_bitop3_b32 v90, v90, v93, v91 bitop3:0x80
	v_mul_u32_u24_e32 v91, 36, v92
	v_mbcnt_lo_u32_b32 v214, v90, 0
	v_cmp_ne_u32_e64 s15, 0, v90
	s_delay_alu instid0(VALU_DEP_3) | instskip(NEXT) | instid1(VALU_DEP_3)
	v_add_nc_u32_e32 v216, v148, v91
	v_cmp_eq_u32_e32 vcc_lo, 0, v214
	s_and_b32 s16, s15, vcc_lo
	s_delay_alu instid0(SALU_CYCLE_1)
	s_and_saveexec_b32 s15, s16
	s_cbranch_execz .LBB804_456
; %bb.455:                              ;   in Loop: Header=BB804_388 Depth=2
	s_wait_dscnt 0x0
	v_bcnt_u32_b32 v90, v90, v213
	ds_store_b32 v216, v90 offset:1056
.LBB804_456:                            ;   in Loop: Header=BB804_388 Depth=2
	s_or_b32 exec_lo, exec_lo, s15
	; wave barrier
	s_wait_dscnt 0x0
	s_barrier_signal -1
	s_barrier_wait -1
	ds_load_2addr_b32 v[96:97], v168 offset1:1
	ds_load_2addr_b32 v[94:95], v169 offset1:1
	ds_load_2addr_b32 v[92:93], v170 offset1:1
	ds_load_2addr_b32 v[90:91], v167 offset1:1
	ds_load_b32 v217, v120 offset:1088
	s_wait_dscnt 0x3
	v_add3_u32 v218, v97, v96, v94
	s_wait_dscnt 0x2
	s_delay_alu instid0(VALU_DEP_1) | instskip(SKIP_1) | instid1(VALU_DEP_1)
	v_add3_u32 v218, v218, v95, v92
	s_wait_dscnt 0x1
	v_add3_u32 v218, v218, v93, v90
	s_wait_dscnt 0x0
	s_delay_alu instid0(VALU_DEP_1) | instskip(NEXT) | instid1(VALU_DEP_1)
	v_add3_u32 v217, v218, v91, v217
	v_mov_b32_dpp v218, v217 row_shr:1 row_mask:0xf bank_mask:0xf
	s_delay_alu instid0(VALU_DEP_1) | instskip(NEXT) | instid1(VALU_DEP_1)
	v_cndmask_b32_e64 v218, v218, 0, s7
	v_add_nc_u32_e32 v217, v218, v217
	s_delay_alu instid0(VALU_DEP_1) | instskip(NEXT) | instid1(VALU_DEP_1)
	v_mov_b32_dpp v218, v217 row_shr:2 row_mask:0xf bank_mask:0xf
	v_cndmask_b32_e64 v218, 0, v218, s8
	s_delay_alu instid0(VALU_DEP_1) | instskip(NEXT) | instid1(VALU_DEP_1)
	v_add_nc_u32_e32 v217, v217, v218
	v_mov_b32_dpp v218, v217 row_shr:4 row_mask:0xf bank_mask:0xf
	s_delay_alu instid0(VALU_DEP_1) | instskip(NEXT) | instid1(VALU_DEP_1)
	v_cndmask_b32_e64 v218, 0, v218, s9
	v_add_nc_u32_e32 v217, v217, v218
	s_delay_alu instid0(VALU_DEP_1) | instskip(NEXT) | instid1(VALU_DEP_1)
	v_mov_b32_dpp v218, v217 row_shr:8 row_mask:0xf bank_mask:0xf
	v_cndmask_b32_e64 v218, 0, v218, s10
	s_delay_alu instid0(VALU_DEP_1) | instskip(SKIP_3) | instid1(VALU_DEP_1)
	v_add_nc_u32_e32 v217, v217, v218
	ds_swizzle_b32 v218, v217 offset:swizzle(BROADCAST,32,15)
	s_wait_dscnt 0x0
	v_cndmask_b32_e64 v218, v218, 0, s11
	v_add_nc_u32_e32 v217, v217, v218
	s_and_saveexec_b32 s15, s1
; %bb.457:                              ;   in Loop: Header=BB804_388 Depth=2
	ds_store_b32 v114, v217 offset:1024
; %bb.458:                              ;   in Loop: Header=BB804_388 Depth=2
	s_or_b32 exec_lo, exec_lo, s15
	s_wait_dscnt 0x0
	s_barrier_signal -1
	s_barrier_wait -1
	s_and_saveexec_b32 s15, s4
	s_cbranch_execz .LBB804_460
; %bb.459:                              ;   in Loop: Header=BB804_388 Depth=2
	ds_load_b32 v218, v122 offset:1024
	s_wait_dscnt 0x0
	v_mov_b32_dpp v219, v218 row_shr:1 row_mask:0xf bank_mask:0xf
	s_delay_alu instid0(VALU_DEP_1) | instskip(NEXT) | instid1(VALU_DEP_1)
	v_cndmask_b32_e64 v219, v219, 0, s12
	v_add_nc_u32_e32 v218, v219, v218
	s_delay_alu instid0(VALU_DEP_1) | instskip(NEXT) | instid1(VALU_DEP_1)
	v_mov_b32_dpp v219, v218 row_shr:2 row_mask:0xf bank_mask:0xf
	v_cndmask_b32_e64 v219, 0, v219, s13
	s_delay_alu instid0(VALU_DEP_1) | instskip(NEXT) | instid1(VALU_DEP_1)
	v_add_nc_u32_e32 v218, v218, v219
	v_mov_b32_dpp v219, v218 row_shr:4 row_mask:0xf bank_mask:0xf
	s_delay_alu instid0(VALU_DEP_1) | instskip(NEXT) | instid1(VALU_DEP_1)
	v_cndmask_b32_e64 v219, 0, v219, s14
	v_add_nc_u32_e32 v218, v218, v219
	ds_store_b32 v122, v218 offset:1024
.LBB804_460:                            ;   in Loop: Header=BB804_388 Depth=2
	s_or_b32 exec_lo, exec_lo, s15
	v_mov_b32_e32 v218, 0
	s_wait_dscnt 0x0
	s_barrier_signal -1
	s_barrier_wait -1
	s_and_saveexec_b32 s15, s5
; %bb.461:                              ;   in Loop: Header=BB804_388 Depth=2
	ds_load_b32 v218, v114 offset:1020
; %bb.462:                              ;   in Loop: Header=BB804_388 Depth=2
	s_or_b32 exec_lo, exec_lo, s15
	s_wait_dscnt 0x0
	v_add_nc_u32_e32 v217, v218, v217
	ds_bpermute_b32 v217, v147, v217
	s_wait_dscnt 0x0
	v_cndmask_b32_e64 v217, v217, v218, s6
	s_delay_alu instid0(VALU_DEP_1) | instskip(NEXT) | instid1(VALU_DEP_1)
	v_cndmask_b32_e64 v217, v217, 0, s2
	v_add_nc_u32_e32 v96, v217, v96
	s_delay_alu instid0(VALU_DEP_1) | instskip(NEXT) | instid1(VALU_DEP_1)
	v_add_nc_u32_e32 v97, v96, v97
	v_add_nc_u32_e32 v94, v97, v94
	s_delay_alu instid0(VALU_DEP_1) | instskip(NEXT) | instid1(VALU_DEP_1)
	v_add_nc_u32_e32 v95, v94, v95
	;; [unrolled: 3-line block ×3, first 2 shown]
	v_add_nc_u32_e32 v90, v93, v90
	s_delay_alu instid0(VALU_DEP_1)
	v_add_nc_u32_e32 v91, v90, v91
	ds_store_2addr_b32 v167, v93, v90 offset1:1
	ds_store_2addr_b32 v168, v217, v96 offset1:1
	;; [unrolled: 1-line block ×4, first 2 shown]
	ds_store_b32 v120, v91 offset:1088
	s_wait_dscnt 0x0
	s_barrier_signal -1
	s_barrier_wait -1
	ds_load_b32 v91, v171 offset:1056
	ds_load_b32 v218, v174 offset:1056
	;; [unrolled: 1-line block ×17, first 2 shown]
	v_mov_b32_e32 v90, 0x1000
	s_and_saveexec_b32 s15, s3
; %bb.463:                              ;   in Loop: Header=BB804_388 Depth=2
	ds_load_b32 v90, v120 offset:1092
; %bb.464:                              ;   in Loop: Header=BB804_388 Depth=2
	s_or_b32 exec_lo, exec_lo, s15
	s_wait_dscnt 0x0
	s_barrier_signal -1
	s_barrier_wait -1
	s_and_saveexec_b32 s15, s0
	s_cbranch_execz .LBB804_466
; %bb.465:                              ;   in Loop: Header=BB804_388 Depth=2
	ds_load_b32 v183, v3
	s_wait_dscnt 0x0
	v_sub_nc_u32_e32 v180, v183, v180
	ds_store_b32 v3, v180
.LBB804_466:                            ;   in Loop: Header=BB804_388 Depth=2
	s_or_b32 exec_lo, exec_lo, s15
	v_dual_lshlrev_b32 v166, 3, v166 :: v_dual_lshlrev_b32 v173, 3, v173
	v_dual_lshlrev_b32 v172, 3, v172 :: v_dual_lshlrev_b32 v180, 3, v218
	v_lshlrev_b32_e32 v176, 3, v176
	s_delay_alu instid0(VALU_DEP_3)
	v_lshl_add_u32 v91, v91, 3, v166
	v_dual_lshlrev_b32 v166, 3, v175 :: v_dual_lshlrev_b32 v175, 3, v217
	v_dual_lshlrev_b32 v179, 3, v179 :: v_dual_lshlrev_b32 v178, 3, v178
	;; [unrolled: 1-line block ×5, first 2 shown]
	v_lshlrev_b32_e32 v185, 3, v92
	ds_store_b64 v91, v[60:61] offset:1024
	v_add3_u32 v60, v173, v172, v180
	v_add3_u32 v61, v176, v166, v175
	;; [unrolled: 1-line block ×5, first 2 shown]
	ds_store_b64 v60, v[58:59] offset:1024
	ds_store_b64 v61, v[64:65] offset:1024
	;; [unrolled: 1-line block ×5, first 2 shown]
	v_dual_lshlrev_b32 v58, 3, v188 :: v_dual_lshlrev_b32 v63, 3, v191
	v_dual_lshlrev_b32 v59, 3, v187 :: v_dual_lshlrev_b32 v62, 3, v177
	;; [unrolled: 1-line block ×7, first 2 shown]
	v_lshlrev_b32_e32 v169, 3, v169
	v_add3_u32 v62, v58, v59, v62
	v_add3_u32 v63, v63, v64, v65
	;; [unrolled: 1-line block ×4, first 2 shown]
	v_lshlrev_b32_e32 v58, 3, v203
	v_add3_u32 v66, v171, v172, v169
	ds_store_b64 v62, v[72:73] offset:1024
	ds_store_b64 v63, v[70:71] offset:1024
	;; [unrolled: 1-line block ×5, first 2 shown]
	v_dual_lshlrev_b32 v59, 3, v201 :: v_dual_lshlrev_b32 v67, 3, v168
	v_dual_lshlrev_b32 v68, 3, v205 :: v_dual_lshlrev_b32 v69, 3, v204
	;; [unrolled: 1-line block ×7, first 2 shown]
	v_add3_u32 v67, v58, v59, v67
	v_add3_u32 v68, v68, v69, v70
	;; [unrolled: 1-line block ×5, first 2 shown]
	v_cmp_lt_u32_e32 vcc_lo, v2, v165
	ds_store_b64 v67, v[78:79] offset:1024
	ds_store_b64 v68, v[84:85] offset:1024
	;; [unrolled: 1-line block ×5, first 2 shown]
	s_wait_dscnt 0x0
	s_barrier_signal -1
	s_barrier_wait -1
	s_and_saveexec_b32 s15, vcc_lo
	s_cbranch_execnz .LBB804_535
; %bb.467:                              ;   in Loop: Header=BB804_388 Depth=2
	s_or_b32 exec_lo, exec_lo, s15
	v_cmp_lt_u32_e64 s15, v98, v165
	s_and_saveexec_b32 s16, s15
	s_cbranch_execnz .LBB804_536
.LBB804_468:                            ;   in Loop: Header=BB804_388 Depth=2
	s_or_b32 exec_lo, exec_lo, s16
	v_cmp_lt_u32_e64 s16, v99, v165
	s_and_saveexec_b32 s17, s16
	s_cbranch_execnz .LBB804_537
.LBB804_469:                            ;   in Loop: Header=BB804_388 Depth=2
	s_or_b32 exec_lo, exec_lo, s17
	v_cmp_lt_u32_e64 s17, v100, v165
	s_and_saveexec_b32 s18, s17
	s_cbranch_execnz .LBB804_538
.LBB804_470:                            ;   in Loop: Header=BB804_388 Depth=2
	s_or_b32 exec_lo, exec_lo, s18
	v_cmp_lt_u32_e64 s18, v101, v165
	s_and_saveexec_b32 s19, s18
	s_cbranch_execnz .LBB804_539
.LBB804_471:                            ;   in Loop: Header=BB804_388 Depth=2
	s_or_b32 exec_lo, exec_lo, s19
	v_cmp_lt_u32_e64 s19, v102, v165
	s_and_saveexec_b32 s20, s19
	s_cbranch_execnz .LBB804_540
.LBB804_472:                            ;   in Loop: Header=BB804_388 Depth=2
	s_or_b32 exec_lo, exec_lo, s20
	v_cmp_lt_u32_e64 s20, v103, v165
	s_and_saveexec_b32 s21, s20
	s_cbranch_execnz .LBB804_541
.LBB804_473:                            ;   in Loop: Header=BB804_388 Depth=2
	s_or_b32 exec_lo, exec_lo, s21
	v_cmp_lt_u32_e64 s21, v104, v165
	s_and_saveexec_b32 s22, s21
	s_cbranch_execnz .LBB804_542
.LBB804_474:                            ;   in Loop: Header=BB804_388 Depth=2
	s_or_b32 exec_lo, exec_lo, s22
	v_cmp_lt_u32_e64 s22, v105, v165
	s_and_saveexec_b32 s23, s22
	s_cbranch_execnz .LBB804_543
.LBB804_475:                            ;   in Loop: Header=BB804_388 Depth=2
	s_or_b32 exec_lo, exec_lo, s23
	v_cmp_lt_u32_e64 s23, v106, v165
	s_and_saveexec_b32 s24, s23
	s_cbranch_execnz .LBB804_544
.LBB804_476:                            ;   in Loop: Header=BB804_388 Depth=2
	s_or_b32 exec_lo, exec_lo, s24
	v_cmp_lt_u32_e64 s24, v107, v165
	s_and_saveexec_b32 s25, s24
	s_cbranch_execnz .LBB804_545
.LBB804_477:                            ;   in Loop: Header=BB804_388 Depth=2
	s_or_b32 exec_lo, exec_lo, s25
	v_cmp_lt_u32_e64 s25, v108, v165
	s_and_saveexec_b32 s26, s25
	s_cbranch_execnz .LBB804_546
.LBB804_478:                            ;   in Loop: Header=BB804_388 Depth=2
	s_or_b32 exec_lo, exec_lo, s26
	v_cmp_lt_u32_e64 s26, v109, v165
	s_and_saveexec_b32 s27, s26
	s_cbranch_execnz .LBB804_547
.LBB804_479:                            ;   in Loop: Header=BB804_388 Depth=2
	s_or_b32 exec_lo, exec_lo, s27
	v_cmp_lt_u32_e64 s27, v110, v165
	s_and_saveexec_b32 s28, s27
	s_cbranch_execnz .LBB804_548
.LBB804_480:                            ;   in Loop: Header=BB804_388 Depth=2
	s_or_b32 exec_lo, exec_lo, s28
	v_cmp_lt_u32_e64 s28, v111, v165
	s_and_saveexec_b32 s29, s28
	s_cbranch_execnz .LBB804_549
.LBB804_481:                            ;   in Loop: Header=BB804_388 Depth=2
	s_or_b32 exec_lo, exec_lo, s29
	v_cmp_lt_u32_e64 s29, v112, v165
	s_and_saveexec_b32 s59, s29
	s_cbranch_execz .LBB804_483
.LBB804_482:                            ;   in Loop: Header=BB804_388 Depth=2
	ds_load_b64 v[58:59], v123 offset:31744
	s_wait_dscnt 0x0
	v_lshrrev_b64 v[72:73], s48, v[58:59]
	v_xor_b32_e32 v59, 0x80000000, v59
	s_delay_alu instid0(VALU_DEP_2) | instskip(NEXT) | instid1(VALU_DEP_1)
	v_and_b32_e32 v72, s56, v72
	v_lshlrev_b32_e32 v72, 2, v72
	ds_load_b32 v72, v72
	s_wait_dscnt 0x0
	v_add_nc_u32_e32 v72, v72, v112
	global_store_b64 v72, v[58:59], s[40:41] scale_offset
.LBB804_483:                            ;   in Loop: Header=BB804_388 Depth=2
	s_wait_xcnt 0x0
	s_or_b32 exec_lo, exec_lo, s59
	v_lshl_add_u64 v[58:59], s[30:31], 3, v[22:23]
	v_cmp_lt_u32_e64 s30, v129, v165
	s_and_saveexec_b32 s59, s30
	s_delay_alu instid0(SALU_CYCLE_1)
	s_xor_b32 s30, exec_lo, s59
	s_cbranch_execnz .LBB804_550
; %bb.484:                              ;   in Loop: Header=BB804_388 Depth=2
	s_or_b32 exec_lo, exec_lo, s30
	s_delay_alu instid0(SALU_CYCLE_1)
	s_mov_b32 s59, exec_lo
	v_cmpx_lt_u32_e64 v132, v165
	s_cbranch_execnz .LBB804_551
.LBB804_485:                            ;   in Loop: Header=BB804_388 Depth=2
	s_or_b32 exec_lo, exec_lo, s59
	s_delay_alu instid0(SALU_CYCLE_1)
	s_mov_b32 s59, exec_lo
	v_cmpx_lt_u32_e64 v133, v165
	s_cbranch_execnz .LBB804_552
.LBB804_486:                            ;   in Loop: Header=BB804_388 Depth=2
	s_or_b32 exec_lo, exec_lo, s59
	s_delay_alu instid0(SALU_CYCLE_1)
	s_mov_b32 s59, exec_lo
	v_cmpx_lt_u32_e64 v134, v165
	s_cbranch_execnz .LBB804_553
.LBB804_487:                            ;   in Loop: Header=BB804_388 Depth=2
	s_or_b32 exec_lo, exec_lo, s59
	s_delay_alu instid0(SALU_CYCLE_1)
	s_mov_b32 s59, exec_lo
	v_cmpx_lt_u32_e64 v135, v165
	s_cbranch_execnz .LBB804_554
.LBB804_488:                            ;   in Loop: Header=BB804_388 Depth=2
	s_or_b32 exec_lo, exec_lo, s59
	s_delay_alu instid0(SALU_CYCLE_1)
	s_mov_b32 s59, exec_lo
	v_cmpx_lt_u32_e64 v136, v165
	s_cbranch_execnz .LBB804_555
.LBB804_489:                            ;   in Loop: Header=BB804_388 Depth=2
	s_or_b32 exec_lo, exec_lo, s59
	s_delay_alu instid0(SALU_CYCLE_1)
	s_mov_b32 s59, exec_lo
	v_cmpx_lt_u32_e64 v137, v165
	s_cbranch_execnz .LBB804_556
.LBB804_490:                            ;   in Loop: Header=BB804_388 Depth=2
	s_or_b32 exec_lo, exec_lo, s59
	s_delay_alu instid0(SALU_CYCLE_1)
	s_mov_b32 s59, exec_lo
	v_cmpx_lt_u32_e64 v138, v165
	s_cbranch_execnz .LBB804_557
.LBB804_491:                            ;   in Loop: Header=BB804_388 Depth=2
	s_or_b32 exec_lo, exec_lo, s59
	s_delay_alu instid0(SALU_CYCLE_1)
	s_mov_b32 s59, exec_lo
	v_cmpx_lt_u32_e64 v139, v165
	s_cbranch_execnz .LBB804_558
.LBB804_492:                            ;   in Loop: Header=BB804_388 Depth=2
	s_or_b32 exec_lo, exec_lo, s59
	s_delay_alu instid0(SALU_CYCLE_1)
	s_mov_b32 s59, exec_lo
	v_cmpx_lt_u32_e64 v140, v165
	s_cbranch_execnz .LBB804_559
.LBB804_493:                            ;   in Loop: Header=BB804_388 Depth=2
	s_or_b32 exec_lo, exec_lo, s59
	s_delay_alu instid0(SALU_CYCLE_1)
	s_mov_b32 s59, exec_lo
	v_cmpx_lt_u32_e64 v141, v165
	s_cbranch_execnz .LBB804_560
.LBB804_494:                            ;   in Loop: Header=BB804_388 Depth=2
	s_or_b32 exec_lo, exec_lo, s59
	s_delay_alu instid0(SALU_CYCLE_1)
	s_mov_b32 s59, exec_lo
	v_cmpx_lt_u32_e64 v142, v165
	s_cbranch_execnz .LBB804_561
.LBB804_495:                            ;   in Loop: Header=BB804_388 Depth=2
	s_or_b32 exec_lo, exec_lo, s59
	s_delay_alu instid0(SALU_CYCLE_1)
	s_mov_b32 s59, exec_lo
	v_cmpx_lt_u32_e64 v143, v165
	s_cbranch_execnz .LBB804_562
.LBB804_496:                            ;   in Loop: Header=BB804_388 Depth=2
	s_or_b32 exec_lo, exec_lo, s59
	s_delay_alu instid0(SALU_CYCLE_1)
	s_mov_b32 s59, exec_lo
	v_cmpx_lt_u32_e64 v144, v165
	s_cbranch_execnz .LBB804_563
.LBB804_497:                            ;   in Loop: Header=BB804_388 Depth=2
	s_or_b32 exec_lo, exec_lo, s59
	s_delay_alu instid0(SALU_CYCLE_1)
	s_mov_b32 s59, exec_lo
	v_cmpx_lt_u32_e64 v145, v165
	s_cbranch_execnz .LBB804_564
.LBB804_498:                            ;   in Loop: Header=BB804_388 Depth=2
	s_or_b32 exec_lo, exec_lo, s59
	s_delay_alu instid0(SALU_CYCLE_1)
	s_mov_b32 s59, exec_lo
	v_cmpx_lt_u32_e64 v146, v165
	s_cbranch_execnz .LBB804_565
.LBB804_499:                            ;   in Loop: Header=BB804_388 Depth=2
	s_or_b32 exec_lo, exec_lo, s59
	s_and_saveexec_b32 s30, vcc_lo
	s_cbranch_execnz .LBB804_566
.LBB804_500:                            ;   in Loop: Header=BB804_388 Depth=2
	s_or_b32 exec_lo, exec_lo, s30
	s_and_saveexec_b32 s30, s15
	s_cbranch_execnz .LBB804_567
.LBB804_501:                            ;   in Loop: Header=BB804_388 Depth=2
	s_or_b32 exec_lo, exec_lo, s30
	s_and_saveexec_b32 s30, s16
	s_cbranch_execnz .LBB804_568
.LBB804_502:                            ;   in Loop: Header=BB804_388 Depth=2
	s_or_b32 exec_lo, exec_lo, s30
	s_and_saveexec_b32 s30, s17
	s_cbranch_execnz .LBB804_569
.LBB804_503:                            ;   in Loop: Header=BB804_388 Depth=2
	s_or_b32 exec_lo, exec_lo, s30
	s_and_saveexec_b32 s30, s18
	s_cbranch_execnz .LBB804_570
.LBB804_504:                            ;   in Loop: Header=BB804_388 Depth=2
	s_or_b32 exec_lo, exec_lo, s30
	s_and_saveexec_b32 s30, s19
	s_cbranch_execnz .LBB804_571
.LBB804_505:                            ;   in Loop: Header=BB804_388 Depth=2
	s_or_b32 exec_lo, exec_lo, s30
	s_and_saveexec_b32 s30, s20
	s_cbranch_execnz .LBB804_572
.LBB804_506:                            ;   in Loop: Header=BB804_388 Depth=2
	s_or_b32 exec_lo, exec_lo, s30
	s_and_saveexec_b32 s30, s21
	s_cbranch_execnz .LBB804_573
.LBB804_507:                            ;   in Loop: Header=BB804_388 Depth=2
	s_or_b32 exec_lo, exec_lo, s30
	s_and_saveexec_b32 s30, s22
	s_cbranch_execnz .LBB804_574
.LBB804_508:                            ;   in Loop: Header=BB804_388 Depth=2
	s_or_b32 exec_lo, exec_lo, s30
	s_and_saveexec_b32 s30, s23
	s_cbranch_execnz .LBB804_575
.LBB804_509:                            ;   in Loop: Header=BB804_388 Depth=2
	s_or_b32 exec_lo, exec_lo, s30
	s_and_saveexec_b32 s30, s24
	s_cbranch_execnz .LBB804_576
.LBB804_510:                            ;   in Loop: Header=BB804_388 Depth=2
	s_or_b32 exec_lo, exec_lo, s30
	s_and_saveexec_b32 s30, s25
	s_cbranch_execnz .LBB804_577
.LBB804_511:                            ;   in Loop: Header=BB804_388 Depth=2
	s_or_b32 exec_lo, exec_lo, s30
	s_and_saveexec_b32 s30, s26
	s_cbranch_execnz .LBB804_578
.LBB804_512:                            ;   in Loop: Header=BB804_388 Depth=2
	s_or_b32 exec_lo, exec_lo, s30
	s_and_saveexec_b32 s30, s27
	s_cbranch_execnz .LBB804_579
.LBB804_513:                            ;   in Loop: Header=BB804_388 Depth=2
	s_or_b32 exec_lo, exec_lo, s30
	s_and_saveexec_b32 s30, s28
	s_cbranch_execnz .LBB804_580
.LBB804_514:                            ;   in Loop: Header=BB804_388 Depth=2
	s_or_b32 exec_lo, exec_lo, s30
	s_and_saveexec_b32 s30, s29
	s_cbranch_execz .LBB804_516
.LBB804_515:                            ;   in Loop: Header=BB804_388 Depth=2
	ds_load_b64 v[58:59], v123 offset:31744
	s_wait_dscnt 0x0
	v_lshrrev_b64 v[58:59], s48, v[58:59]
	s_delay_alu instid0(VALU_DEP_1)
	v_and_b32_e32 v149, s56, v58
.LBB804_516:                            ;   in Loop: Header=BB804_388 Depth=2
	s_or_b32 exec_lo, exec_lo, s30
	s_wait_loadcnt 0x0
	s_wait_storecnt 0x0
	s_barrier_signal -1
	s_barrier_wait -1
	ds_store_b64 v91, v[56:57] offset:1024
	ds_store_b64 v60, v[54:55] offset:1024
	;; [unrolled: 1-line block ×16, first 2 shown]
	s_wait_dscnt 0x0
	s_barrier_signal -1
	s_barrier_wait -1
	s_and_saveexec_b32 s30, vcc_lo
	s_cbranch_execnz .LBB804_581
; %bb.517:                              ;   in Loop: Header=BB804_388 Depth=2
	s_or_b32 exec_lo, exec_lo, s30
	s_and_saveexec_b32 s30, s15
	s_cbranch_execnz .LBB804_582
.LBB804_518:                            ;   in Loop: Header=BB804_388 Depth=2
	s_or_b32 exec_lo, exec_lo, s30
	s_and_saveexec_b32 s15, s16
	s_cbranch_execnz .LBB804_583
.LBB804_519:                            ;   in Loop: Header=BB804_388 Depth=2
	s_or_b32 exec_lo, exec_lo, s15
	s_and_saveexec_b32 s15, s17
	s_cbranch_execnz .LBB804_584
.LBB804_520:                            ;   in Loop: Header=BB804_388 Depth=2
	s_or_b32 exec_lo, exec_lo, s15
	s_and_saveexec_b32 s15, s18
	s_cbranch_execnz .LBB804_585
.LBB804_521:                            ;   in Loop: Header=BB804_388 Depth=2
	s_or_b32 exec_lo, exec_lo, s15
	s_and_saveexec_b32 s15, s19
	s_cbranch_execnz .LBB804_586
.LBB804_522:                            ;   in Loop: Header=BB804_388 Depth=2
	s_or_b32 exec_lo, exec_lo, s15
	s_and_saveexec_b32 s15, s20
	s_cbranch_execnz .LBB804_587
.LBB804_523:                            ;   in Loop: Header=BB804_388 Depth=2
	s_or_b32 exec_lo, exec_lo, s15
	s_and_saveexec_b32 s15, s21
	s_cbranch_execnz .LBB804_588
.LBB804_524:                            ;   in Loop: Header=BB804_388 Depth=2
	s_or_b32 exec_lo, exec_lo, s15
	s_and_saveexec_b32 s15, s22
	s_cbranch_execnz .LBB804_589
.LBB804_525:                            ;   in Loop: Header=BB804_388 Depth=2
	s_or_b32 exec_lo, exec_lo, s15
	s_and_saveexec_b32 s15, s23
	s_cbranch_execnz .LBB804_590
.LBB804_526:                            ;   in Loop: Header=BB804_388 Depth=2
	s_or_b32 exec_lo, exec_lo, s15
	s_and_saveexec_b32 s15, s24
	s_cbranch_execnz .LBB804_591
.LBB804_527:                            ;   in Loop: Header=BB804_388 Depth=2
	s_or_b32 exec_lo, exec_lo, s15
	s_and_saveexec_b32 s15, s25
	s_cbranch_execnz .LBB804_592
.LBB804_528:                            ;   in Loop: Header=BB804_388 Depth=2
	s_or_b32 exec_lo, exec_lo, s15
	s_and_saveexec_b32 s15, s26
	s_cbranch_execnz .LBB804_593
.LBB804_529:                            ;   in Loop: Header=BB804_388 Depth=2
	s_or_b32 exec_lo, exec_lo, s15
	s_and_saveexec_b32 s15, s27
	s_cbranch_execnz .LBB804_594
.LBB804_530:                            ;   in Loop: Header=BB804_388 Depth=2
	s_or_b32 exec_lo, exec_lo, s15
	s_and_saveexec_b32 s15, s28
	s_cbranch_execnz .LBB804_595
.LBB804_531:                            ;   in Loop: Header=BB804_388 Depth=2
	s_or_b32 exec_lo, exec_lo, s15
	s_and_saveexec_b32 s15, s29
	s_cbranch_execz .LBB804_533
.LBB804_532:                            ;   in Loop: Header=BB804_388 Depth=2
	v_lshlrev_b32_e32 v58, 2, v149
	ds_load_b32 v60, v58
	ds_load_b64 v[58:59], v123 offset:31744
	s_wait_dscnt 0x1
	v_add_nc_u32_e32 v60, v60, v112
	s_wait_dscnt 0x0
	global_store_b64 v60, v[58:59], s[46:47] scale_offset
.LBB804_533:                            ;   in Loop: Header=BB804_388 Depth=2
	s_wait_xcnt 0x0
	s_or_b32 exec_lo, exec_lo, s15
	s_wait_storecnt 0x0
	s_barrier_signal -1
	s_barrier_wait -1
	s_and_saveexec_b32 s15, s0
	s_cbranch_execz .LBB804_387
; %bb.534:                              ;   in Loop: Header=BB804_388 Depth=2
	ds_load_b32 v58, v3
	s_wait_dscnt 0x0
	v_add_nc_u32_e32 v58, v58, v90
	ds_store_b32 v3, v58
	s_branch .LBB804_387
.LBB804_535:                            ;   in Loop: Header=BB804_388 Depth=2
	ds_load_b64 v[58:59], v123 offset:1024
	s_wait_dscnt 0x0
	v_lshrrev_b64 v[72:73], s48, v[58:59]
	v_xor_b32_e32 v59, 0x80000000, v59
	s_delay_alu instid0(VALU_DEP_2) | instskip(NEXT) | instid1(VALU_DEP_1)
	v_and_b32_e32 v72, s56, v72
	v_lshlrev_b32_e32 v72, 2, v72
	ds_load_b32 v72, v72
	s_wait_dscnt 0x0
	v_add_nc_u32_e32 v72, v72, v2
	global_store_b64 v72, v[58:59], s[40:41] scale_offset
	s_wait_xcnt 0x0
	s_or_b32 exec_lo, exec_lo, s15
	v_cmp_lt_u32_e64 s15, v98, v165
	s_and_saveexec_b32 s16, s15
	s_cbranch_execz .LBB804_468
.LBB804_536:                            ;   in Loop: Header=BB804_388 Depth=2
	ds_load_b64 v[58:59], v123 offset:3072
	s_wait_dscnt 0x0
	v_lshrrev_b64 v[72:73], s48, v[58:59]
	v_xor_b32_e32 v59, 0x80000000, v59
	s_delay_alu instid0(VALU_DEP_2) | instskip(NEXT) | instid1(VALU_DEP_1)
	v_and_b32_e32 v72, s56, v72
	v_lshlrev_b32_e32 v72, 2, v72
	ds_load_b32 v72, v72
	s_wait_dscnt 0x0
	v_add_nc_u32_e32 v72, v72, v98
	global_store_b64 v72, v[58:59], s[40:41] scale_offset
	s_wait_xcnt 0x0
	s_or_b32 exec_lo, exec_lo, s16
	v_cmp_lt_u32_e64 s16, v99, v165
	s_and_saveexec_b32 s17, s16
	s_cbranch_execz .LBB804_469
.LBB804_537:                            ;   in Loop: Header=BB804_388 Depth=2
	ds_load_b64 v[58:59], v123 offset:5120
	s_wait_dscnt 0x0
	v_lshrrev_b64 v[72:73], s48, v[58:59]
	v_xor_b32_e32 v59, 0x80000000, v59
	s_delay_alu instid0(VALU_DEP_2) | instskip(NEXT) | instid1(VALU_DEP_1)
	v_and_b32_e32 v72, s56, v72
	v_lshlrev_b32_e32 v72, 2, v72
	ds_load_b32 v72, v72
	s_wait_dscnt 0x0
	v_add_nc_u32_e32 v72, v72, v99
	global_store_b64 v72, v[58:59], s[40:41] scale_offset
	s_wait_xcnt 0x0
	s_or_b32 exec_lo, exec_lo, s17
	v_cmp_lt_u32_e64 s17, v100, v165
	s_and_saveexec_b32 s18, s17
	s_cbranch_execz .LBB804_470
.LBB804_538:                            ;   in Loop: Header=BB804_388 Depth=2
	ds_load_b64 v[58:59], v123 offset:7168
	s_wait_dscnt 0x0
	v_lshrrev_b64 v[72:73], s48, v[58:59]
	v_xor_b32_e32 v59, 0x80000000, v59
	s_delay_alu instid0(VALU_DEP_2) | instskip(NEXT) | instid1(VALU_DEP_1)
	v_and_b32_e32 v72, s56, v72
	v_lshlrev_b32_e32 v72, 2, v72
	ds_load_b32 v72, v72
	s_wait_dscnt 0x0
	v_add_nc_u32_e32 v72, v72, v100
	global_store_b64 v72, v[58:59], s[40:41] scale_offset
	s_wait_xcnt 0x0
	s_or_b32 exec_lo, exec_lo, s18
	v_cmp_lt_u32_e64 s18, v101, v165
	s_and_saveexec_b32 s19, s18
	s_cbranch_execz .LBB804_471
.LBB804_539:                            ;   in Loop: Header=BB804_388 Depth=2
	ds_load_b64 v[58:59], v123 offset:9216
	s_wait_dscnt 0x0
	v_lshrrev_b64 v[72:73], s48, v[58:59]
	v_xor_b32_e32 v59, 0x80000000, v59
	s_delay_alu instid0(VALU_DEP_2) | instskip(NEXT) | instid1(VALU_DEP_1)
	v_and_b32_e32 v72, s56, v72
	v_lshlrev_b32_e32 v72, 2, v72
	ds_load_b32 v72, v72
	s_wait_dscnt 0x0
	v_add_nc_u32_e32 v72, v72, v101
	global_store_b64 v72, v[58:59], s[40:41] scale_offset
	s_wait_xcnt 0x0
	s_or_b32 exec_lo, exec_lo, s19
	v_cmp_lt_u32_e64 s19, v102, v165
	s_and_saveexec_b32 s20, s19
	s_cbranch_execz .LBB804_472
.LBB804_540:                            ;   in Loop: Header=BB804_388 Depth=2
	ds_load_b64 v[58:59], v123 offset:11264
	s_wait_dscnt 0x0
	v_lshrrev_b64 v[72:73], s48, v[58:59]
	v_xor_b32_e32 v59, 0x80000000, v59
	s_delay_alu instid0(VALU_DEP_2) | instskip(NEXT) | instid1(VALU_DEP_1)
	v_and_b32_e32 v72, s56, v72
	v_lshlrev_b32_e32 v72, 2, v72
	ds_load_b32 v72, v72
	s_wait_dscnt 0x0
	v_add_nc_u32_e32 v72, v72, v102
	global_store_b64 v72, v[58:59], s[40:41] scale_offset
	s_wait_xcnt 0x0
	s_or_b32 exec_lo, exec_lo, s20
	v_cmp_lt_u32_e64 s20, v103, v165
	s_and_saveexec_b32 s21, s20
	s_cbranch_execz .LBB804_473
.LBB804_541:                            ;   in Loop: Header=BB804_388 Depth=2
	ds_load_b64 v[58:59], v123 offset:13312
	s_wait_dscnt 0x0
	v_lshrrev_b64 v[72:73], s48, v[58:59]
	v_xor_b32_e32 v59, 0x80000000, v59
	s_delay_alu instid0(VALU_DEP_2) | instskip(NEXT) | instid1(VALU_DEP_1)
	v_and_b32_e32 v72, s56, v72
	v_lshlrev_b32_e32 v72, 2, v72
	ds_load_b32 v72, v72
	s_wait_dscnt 0x0
	v_add_nc_u32_e32 v72, v72, v103
	global_store_b64 v72, v[58:59], s[40:41] scale_offset
	s_wait_xcnt 0x0
	s_or_b32 exec_lo, exec_lo, s21
	v_cmp_lt_u32_e64 s21, v104, v165
	s_and_saveexec_b32 s22, s21
	s_cbranch_execz .LBB804_474
.LBB804_542:                            ;   in Loop: Header=BB804_388 Depth=2
	ds_load_b64 v[58:59], v123 offset:15360
	s_wait_dscnt 0x0
	v_lshrrev_b64 v[72:73], s48, v[58:59]
	v_xor_b32_e32 v59, 0x80000000, v59
	s_delay_alu instid0(VALU_DEP_2) | instskip(NEXT) | instid1(VALU_DEP_1)
	v_and_b32_e32 v72, s56, v72
	v_lshlrev_b32_e32 v72, 2, v72
	ds_load_b32 v72, v72
	s_wait_dscnt 0x0
	v_add_nc_u32_e32 v72, v72, v104
	global_store_b64 v72, v[58:59], s[40:41] scale_offset
	s_wait_xcnt 0x0
	s_or_b32 exec_lo, exec_lo, s22
	v_cmp_lt_u32_e64 s22, v105, v165
	s_and_saveexec_b32 s23, s22
	s_cbranch_execz .LBB804_475
.LBB804_543:                            ;   in Loop: Header=BB804_388 Depth=2
	ds_load_b64 v[58:59], v123 offset:17408
	s_wait_dscnt 0x0
	v_lshrrev_b64 v[72:73], s48, v[58:59]
	v_xor_b32_e32 v59, 0x80000000, v59
	s_delay_alu instid0(VALU_DEP_2) | instskip(NEXT) | instid1(VALU_DEP_1)
	v_and_b32_e32 v72, s56, v72
	v_lshlrev_b32_e32 v72, 2, v72
	ds_load_b32 v72, v72
	s_wait_dscnt 0x0
	v_add_nc_u32_e32 v72, v72, v105
	global_store_b64 v72, v[58:59], s[40:41] scale_offset
	s_wait_xcnt 0x0
	s_or_b32 exec_lo, exec_lo, s23
	v_cmp_lt_u32_e64 s23, v106, v165
	s_and_saveexec_b32 s24, s23
	s_cbranch_execz .LBB804_476
.LBB804_544:                            ;   in Loop: Header=BB804_388 Depth=2
	ds_load_b64 v[58:59], v123 offset:19456
	s_wait_dscnt 0x0
	v_lshrrev_b64 v[72:73], s48, v[58:59]
	v_xor_b32_e32 v59, 0x80000000, v59
	s_delay_alu instid0(VALU_DEP_2) | instskip(NEXT) | instid1(VALU_DEP_1)
	v_and_b32_e32 v72, s56, v72
	v_lshlrev_b32_e32 v72, 2, v72
	ds_load_b32 v72, v72
	s_wait_dscnt 0x0
	v_add_nc_u32_e32 v72, v72, v106
	global_store_b64 v72, v[58:59], s[40:41] scale_offset
	s_wait_xcnt 0x0
	s_or_b32 exec_lo, exec_lo, s24
	v_cmp_lt_u32_e64 s24, v107, v165
	s_and_saveexec_b32 s25, s24
	s_cbranch_execz .LBB804_477
.LBB804_545:                            ;   in Loop: Header=BB804_388 Depth=2
	ds_load_b64 v[58:59], v123 offset:21504
	s_wait_dscnt 0x0
	v_lshrrev_b64 v[72:73], s48, v[58:59]
	v_xor_b32_e32 v59, 0x80000000, v59
	s_delay_alu instid0(VALU_DEP_2) | instskip(NEXT) | instid1(VALU_DEP_1)
	v_and_b32_e32 v72, s56, v72
	v_lshlrev_b32_e32 v72, 2, v72
	ds_load_b32 v72, v72
	s_wait_dscnt 0x0
	v_add_nc_u32_e32 v72, v72, v107
	global_store_b64 v72, v[58:59], s[40:41] scale_offset
	s_wait_xcnt 0x0
	s_or_b32 exec_lo, exec_lo, s25
	v_cmp_lt_u32_e64 s25, v108, v165
	s_and_saveexec_b32 s26, s25
	s_cbranch_execz .LBB804_478
.LBB804_546:                            ;   in Loop: Header=BB804_388 Depth=2
	ds_load_b64 v[58:59], v123 offset:23552
	s_wait_dscnt 0x0
	v_lshrrev_b64 v[72:73], s48, v[58:59]
	v_xor_b32_e32 v59, 0x80000000, v59
	s_delay_alu instid0(VALU_DEP_2) | instskip(NEXT) | instid1(VALU_DEP_1)
	v_and_b32_e32 v72, s56, v72
	v_lshlrev_b32_e32 v72, 2, v72
	ds_load_b32 v72, v72
	s_wait_dscnt 0x0
	v_add_nc_u32_e32 v72, v72, v108
	global_store_b64 v72, v[58:59], s[40:41] scale_offset
	s_wait_xcnt 0x0
	s_or_b32 exec_lo, exec_lo, s26
	v_cmp_lt_u32_e64 s26, v109, v165
	s_and_saveexec_b32 s27, s26
	s_cbranch_execz .LBB804_479
.LBB804_547:                            ;   in Loop: Header=BB804_388 Depth=2
	ds_load_b64 v[58:59], v123 offset:25600
	s_wait_dscnt 0x0
	v_lshrrev_b64 v[72:73], s48, v[58:59]
	v_xor_b32_e32 v59, 0x80000000, v59
	s_delay_alu instid0(VALU_DEP_2) | instskip(NEXT) | instid1(VALU_DEP_1)
	v_and_b32_e32 v72, s56, v72
	v_lshlrev_b32_e32 v72, 2, v72
	ds_load_b32 v72, v72
	s_wait_dscnt 0x0
	v_add_nc_u32_e32 v72, v72, v109
	global_store_b64 v72, v[58:59], s[40:41] scale_offset
	s_wait_xcnt 0x0
	s_or_b32 exec_lo, exec_lo, s27
	v_cmp_lt_u32_e64 s27, v110, v165
	s_and_saveexec_b32 s28, s27
	s_cbranch_execz .LBB804_480
.LBB804_548:                            ;   in Loop: Header=BB804_388 Depth=2
	ds_load_b64 v[58:59], v123 offset:27648
	s_wait_dscnt 0x0
	v_lshrrev_b64 v[72:73], s48, v[58:59]
	v_xor_b32_e32 v59, 0x80000000, v59
	s_delay_alu instid0(VALU_DEP_2) | instskip(NEXT) | instid1(VALU_DEP_1)
	v_and_b32_e32 v72, s56, v72
	v_lshlrev_b32_e32 v72, 2, v72
	ds_load_b32 v72, v72
	s_wait_dscnt 0x0
	v_add_nc_u32_e32 v72, v72, v110
	global_store_b64 v72, v[58:59], s[40:41] scale_offset
	s_wait_xcnt 0x0
	s_or_b32 exec_lo, exec_lo, s28
	v_cmp_lt_u32_e64 s28, v111, v165
	s_and_saveexec_b32 s29, s28
	s_cbranch_execz .LBB804_481
.LBB804_549:                            ;   in Loop: Header=BB804_388 Depth=2
	ds_load_b64 v[58:59], v123 offset:29696
	s_wait_dscnt 0x0
	v_lshrrev_b64 v[72:73], s48, v[58:59]
	v_xor_b32_e32 v59, 0x80000000, v59
	s_delay_alu instid0(VALU_DEP_2) | instskip(NEXT) | instid1(VALU_DEP_1)
	v_and_b32_e32 v72, s56, v72
	v_lshlrev_b32_e32 v72, 2, v72
	ds_load_b32 v72, v72
	s_wait_dscnt 0x0
	v_add_nc_u32_e32 v72, v72, v111
	global_store_b64 v72, v[58:59], s[40:41] scale_offset
	s_wait_xcnt 0x0
	s_or_b32 exec_lo, exec_lo, s29
	v_cmp_lt_u32_e64 s29, v112, v165
	s_and_saveexec_b32 s59, s29
	s_cbranch_execnz .LBB804_482
	s_branch .LBB804_483
.LBB804_550:                            ;   in Loop: Header=BB804_388 Depth=2
	global_load_b64 v[56:57], v[58:59], off
	s_wait_xcnt 0x0
	s_or_b32 exec_lo, exec_lo, s30
	s_delay_alu instid0(SALU_CYCLE_1)
	s_mov_b32 s59, exec_lo
	v_cmpx_lt_u32_e64 v132, v165
	s_cbranch_execz .LBB804_485
.LBB804_551:                            ;   in Loop: Header=BB804_388 Depth=2
	global_load_b64 v[54:55], v[58:59], off offset:256
	s_wait_xcnt 0x0
	s_or_b32 exec_lo, exec_lo, s59
	s_delay_alu instid0(SALU_CYCLE_1)
	s_mov_b32 s59, exec_lo
	v_cmpx_lt_u32_e64 v133, v165
	s_cbranch_execz .LBB804_486
.LBB804_552:                            ;   in Loop: Header=BB804_388 Depth=2
	global_load_b64 v[52:53], v[58:59], off offset:512
	s_wait_xcnt 0x0
	s_or_b32 exec_lo, exec_lo, s59
	s_delay_alu instid0(SALU_CYCLE_1)
	s_mov_b32 s59, exec_lo
	v_cmpx_lt_u32_e64 v134, v165
	s_cbranch_execz .LBB804_487
.LBB804_553:                            ;   in Loop: Header=BB804_388 Depth=2
	global_load_b64 v[50:51], v[58:59], off offset:768
	s_wait_xcnt 0x0
	s_or_b32 exec_lo, exec_lo, s59
	s_delay_alu instid0(SALU_CYCLE_1)
	s_mov_b32 s59, exec_lo
	v_cmpx_lt_u32_e64 v135, v165
	s_cbranch_execz .LBB804_488
.LBB804_554:                            ;   in Loop: Header=BB804_388 Depth=2
	global_load_b64 v[48:49], v[58:59], off offset:1024
	s_wait_xcnt 0x0
	s_or_b32 exec_lo, exec_lo, s59
	s_delay_alu instid0(SALU_CYCLE_1)
	s_mov_b32 s59, exec_lo
	v_cmpx_lt_u32_e64 v136, v165
	s_cbranch_execz .LBB804_489
.LBB804_555:                            ;   in Loop: Header=BB804_388 Depth=2
	global_load_b64 v[46:47], v[58:59], off offset:1280
	s_wait_xcnt 0x0
	s_or_b32 exec_lo, exec_lo, s59
	s_delay_alu instid0(SALU_CYCLE_1)
	s_mov_b32 s59, exec_lo
	v_cmpx_lt_u32_e64 v137, v165
	s_cbranch_execz .LBB804_490
.LBB804_556:                            ;   in Loop: Header=BB804_388 Depth=2
	global_load_b64 v[44:45], v[58:59], off offset:1536
	s_wait_xcnt 0x0
	s_or_b32 exec_lo, exec_lo, s59
	s_delay_alu instid0(SALU_CYCLE_1)
	s_mov_b32 s59, exec_lo
	v_cmpx_lt_u32_e64 v138, v165
	s_cbranch_execz .LBB804_491
.LBB804_557:                            ;   in Loop: Header=BB804_388 Depth=2
	global_load_b64 v[42:43], v[58:59], off offset:1792
	s_wait_xcnt 0x0
	s_or_b32 exec_lo, exec_lo, s59
	s_delay_alu instid0(SALU_CYCLE_1)
	s_mov_b32 s59, exec_lo
	v_cmpx_lt_u32_e64 v139, v165
	s_cbranch_execz .LBB804_492
.LBB804_558:                            ;   in Loop: Header=BB804_388 Depth=2
	global_load_b64 v[40:41], v[58:59], off offset:2048
	s_wait_xcnt 0x0
	s_or_b32 exec_lo, exec_lo, s59
	s_delay_alu instid0(SALU_CYCLE_1)
	s_mov_b32 s59, exec_lo
	v_cmpx_lt_u32_e64 v140, v165
	s_cbranch_execz .LBB804_493
.LBB804_559:                            ;   in Loop: Header=BB804_388 Depth=2
	global_load_b64 v[38:39], v[58:59], off offset:2304
	s_wait_xcnt 0x0
	s_or_b32 exec_lo, exec_lo, s59
	s_delay_alu instid0(SALU_CYCLE_1)
	s_mov_b32 s59, exec_lo
	v_cmpx_lt_u32_e64 v141, v165
	s_cbranch_execz .LBB804_494
.LBB804_560:                            ;   in Loop: Header=BB804_388 Depth=2
	global_load_b64 v[36:37], v[58:59], off offset:2560
	s_wait_xcnt 0x0
	s_or_b32 exec_lo, exec_lo, s59
	s_delay_alu instid0(SALU_CYCLE_1)
	s_mov_b32 s59, exec_lo
	v_cmpx_lt_u32_e64 v142, v165
	s_cbranch_execz .LBB804_495
.LBB804_561:                            ;   in Loop: Header=BB804_388 Depth=2
	global_load_b64 v[34:35], v[58:59], off offset:2816
	s_wait_xcnt 0x0
	s_or_b32 exec_lo, exec_lo, s59
	s_delay_alu instid0(SALU_CYCLE_1)
	s_mov_b32 s59, exec_lo
	v_cmpx_lt_u32_e64 v143, v165
	s_cbranch_execz .LBB804_496
.LBB804_562:                            ;   in Loop: Header=BB804_388 Depth=2
	global_load_b64 v[32:33], v[58:59], off offset:3072
	s_wait_xcnt 0x0
	s_or_b32 exec_lo, exec_lo, s59
	s_delay_alu instid0(SALU_CYCLE_1)
	s_mov_b32 s59, exec_lo
	v_cmpx_lt_u32_e64 v144, v165
	s_cbranch_execz .LBB804_497
.LBB804_563:                            ;   in Loop: Header=BB804_388 Depth=2
	global_load_b64 v[30:31], v[58:59], off offset:3328
	s_wait_xcnt 0x0
	s_or_b32 exec_lo, exec_lo, s59
	s_delay_alu instid0(SALU_CYCLE_1)
	s_mov_b32 s59, exec_lo
	v_cmpx_lt_u32_e64 v145, v165
	s_cbranch_execz .LBB804_498
.LBB804_564:                            ;   in Loop: Header=BB804_388 Depth=2
	global_load_b64 v[28:29], v[58:59], off offset:3584
	s_wait_xcnt 0x0
	s_or_b32 exec_lo, exec_lo, s59
	s_delay_alu instid0(SALU_CYCLE_1)
	s_mov_b32 s59, exec_lo
	v_cmpx_lt_u32_e64 v146, v165
	s_cbranch_execz .LBB804_499
.LBB804_565:                            ;   in Loop: Header=BB804_388 Depth=2
	global_load_b64 v[26:27], v[58:59], off offset:3840
	s_wait_xcnt 0x0
	s_or_b32 exec_lo, exec_lo, s59
	s_and_saveexec_b32 s30, vcc_lo
	s_cbranch_execz .LBB804_500
.LBB804_566:                            ;   in Loop: Header=BB804_388 Depth=2
	ds_load_b64 v[58:59], v123 offset:1024
	s_wait_dscnt 0x0
	v_lshrrev_b64 v[58:59], s48, v[58:59]
	s_delay_alu instid0(VALU_DEP_1)
	v_and_b32_e32 v164, s56, v58
	s_or_b32 exec_lo, exec_lo, s30
	s_and_saveexec_b32 s30, s15
	s_cbranch_execz .LBB804_501
.LBB804_567:                            ;   in Loop: Header=BB804_388 Depth=2
	ds_load_b64 v[58:59], v123 offset:3072
	s_wait_dscnt 0x0
	v_lshrrev_b64 v[58:59], s48, v[58:59]
	s_delay_alu instid0(VALU_DEP_1)
	v_and_b32_e32 v163, s56, v58
	s_or_b32 exec_lo, exec_lo, s30
	s_and_saveexec_b32 s30, s16
	s_cbranch_execz .LBB804_502
.LBB804_568:                            ;   in Loop: Header=BB804_388 Depth=2
	ds_load_b64 v[58:59], v123 offset:5120
	s_wait_dscnt 0x0
	v_lshrrev_b64 v[58:59], s48, v[58:59]
	s_delay_alu instid0(VALU_DEP_1)
	v_and_b32_e32 v162, s56, v58
	s_or_b32 exec_lo, exec_lo, s30
	s_and_saveexec_b32 s30, s17
	s_cbranch_execz .LBB804_503
.LBB804_569:                            ;   in Loop: Header=BB804_388 Depth=2
	ds_load_b64 v[58:59], v123 offset:7168
	s_wait_dscnt 0x0
	v_lshrrev_b64 v[58:59], s48, v[58:59]
	s_delay_alu instid0(VALU_DEP_1)
	v_and_b32_e32 v161, s56, v58
	s_or_b32 exec_lo, exec_lo, s30
	s_and_saveexec_b32 s30, s18
	s_cbranch_execz .LBB804_504
.LBB804_570:                            ;   in Loop: Header=BB804_388 Depth=2
	ds_load_b64 v[58:59], v123 offset:9216
	s_wait_dscnt 0x0
	v_lshrrev_b64 v[58:59], s48, v[58:59]
	s_delay_alu instid0(VALU_DEP_1)
	v_and_b32_e32 v160, s56, v58
	s_or_b32 exec_lo, exec_lo, s30
	s_and_saveexec_b32 s30, s19
	s_cbranch_execz .LBB804_505
.LBB804_571:                            ;   in Loop: Header=BB804_388 Depth=2
	ds_load_b64 v[58:59], v123 offset:11264
	s_wait_dscnt 0x0
	v_lshrrev_b64 v[58:59], s48, v[58:59]
	s_delay_alu instid0(VALU_DEP_1)
	v_and_b32_e32 v159, s56, v58
	s_or_b32 exec_lo, exec_lo, s30
	s_and_saveexec_b32 s30, s20
	s_cbranch_execz .LBB804_506
.LBB804_572:                            ;   in Loop: Header=BB804_388 Depth=2
	ds_load_b64 v[58:59], v123 offset:13312
	s_wait_dscnt 0x0
	v_lshrrev_b64 v[58:59], s48, v[58:59]
	s_delay_alu instid0(VALU_DEP_1)
	v_and_b32_e32 v158, s56, v58
	s_or_b32 exec_lo, exec_lo, s30
	s_and_saveexec_b32 s30, s21
	s_cbranch_execz .LBB804_507
.LBB804_573:                            ;   in Loop: Header=BB804_388 Depth=2
	ds_load_b64 v[58:59], v123 offset:15360
	s_wait_dscnt 0x0
	v_lshrrev_b64 v[58:59], s48, v[58:59]
	s_delay_alu instid0(VALU_DEP_1)
	v_and_b32_e32 v157, s56, v58
	s_or_b32 exec_lo, exec_lo, s30
	s_and_saveexec_b32 s30, s22
	s_cbranch_execz .LBB804_508
.LBB804_574:                            ;   in Loop: Header=BB804_388 Depth=2
	ds_load_b64 v[58:59], v123 offset:17408
	s_wait_dscnt 0x0
	v_lshrrev_b64 v[58:59], s48, v[58:59]
	s_delay_alu instid0(VALU_DEP_1)
	v_and_b32_e32 v156, s56, v58
	s_or_b32 exec_lo, exec_lo, s30
	s_and_saveexec_b32 s30, s23
	s_cbranch_execz .LBB804_509
.LBB804_575:                            ;   in Loop: Header=BB804_388 Depth=2
	ds_load_b64 v[58:59], v123 offset:19456
	s_wait_dscnt 0x0
	v_lshrrev_b64 v[58:59], s48, v[58:59]
	s_delay_alu instid0(VALU_DEP_1)
	v_and_b32_e32 v155, s56, v58
	s_or_b32 exec_lo, exec_lo, s30
	s_and_saveexec_b32 s30, s24
	s_cbranch_execz .LBB804_510
.LBB804_576:                            ;   in Loop: Header=BB804_388 Depth=2
	ds_load_b64 v[58:59], v123 offset:21504
	s_wait_dscnt 0x0
	v_lshrrev_b64 v[58:59], s48, v[58:59]
	s_delay_alu instid0(VALU_DEP_1)
	v_and_b32_e32 v154, s56, v58
	s_or_b32 exec_lo, exec_lo, s30
	s_and_saveexec_b32 s30, s25
	s_cbranch_execz .LBB804_511
.LBB804_577:                            ;   in Loop: Header=BB804_388 Depth=2
	ds_load_b64 v[58:59], v123 offset:23552
	s_wait_dscnt 0x0
	v_lshrrev_b64 v[58:59], s48, v[58:59]
	s_delay_alu instid0(VALU_DEP_1)
	v_and_b32_e32 v153, s56, v58
	s_or_b32 exec_lo, exec_lo, s30
	s_and_saveexec_b32 s30, s26
	s_cbranch_execz .LBB804_512
.LBB804_578:                            ;   in Loop: Header=BB804_388 Depth=2
	ds_load_b64 v[58:59], v123 offset:25600
	s_wait_dscnt 0x0
	v_lshrrev_b64 v[58:59], s48, v[58:59]
	s_delay_alu instid0(VALU_DEP_1)
	v_and_b32_e32 v152, s56, v58
	s_or_b32 exec_lo, exec_lo, s30
	s_and_saveexec_b32 s30, s27
	s_cbranch_execz .LBB804_513
.LBB804_579:                            ;   in Loop: Header=BB804_388 Depth=2
	ds_load_b64 v[58:59], v123 offset:27648
	s_wait_dscnt 0x0
	v_lshrrev_b64 v[58:59], s48, v[58:59]
	s_delay_alu instid0(VALU_DEP_1)
	v_and_b32_e32 v151, s56, v58
	s_or_b32 exec_lo, exec_lo, s30
	s_and_saveexec_b32 s30, s28
	s_cbranch_execz .LBB804_514
.LBB804_580:                            ;   in Loop: Header=BB804_388 Depth=2
	ds_load_b64 v[58:59], v123 offset:29696
	s_wait_dscnt 0x0
	v_lshrrev_b64 v[58:59], s48, v[58:59]
	s_delay_alu instid0(VALU_DEP_1)
	v_and_b32_e32 v150, s56, v58
	s_or_b32 exec_lo, exec_lo, s30
	s_and_saveexec_b32 s30, s29
	s_cbranch_execnz .LBB804_515
	s_branch .LBB804_516
.LBB804_581:                            ;   in Loop: Header=BB804_388 Depth=2
	v_lshlrev_b32_e32 v58, 2, v164
	ds_load_b32 v60, v58
	ds_load_b64 v[58:59], v123 offset:1024
	s_wait_dscnt 0x1
	v_add_nc_u32_e32 v60, v60, v2
	s_wait_dscnt 0x0
	global_store_b64 v60, v[58:59], s[46:47] scale_offset
	s_wait_xcnt 0x0
	s_or_b32 exec_lo, exec_lo, s30
	s_and_saveexec_b32 s30, s15
	s_cbranch_execz .LBB804_518
.LBB804_582:                            ;   in Loop: Header=BB804_388 Depth=2
	v_lshlrev_b32_e32 v58, 2, v163
	ds_load_b32 v60, v58
	ds_load_b64 v[58:59], v123 offset:3072
	s_wait_dscnt 0x1
	v_add_nc_u32_e32 v60, v60, v98
	s_wait_dscnt 0x0
	global_store_b64 v60, v[58:59], s[46:47] scale_offset
	s_wait_xcnt 0x0
	s_or_b32 exec_lo, exec_lo, s30
	s_and_saveexec_b32 s15, s16
	s_cbranch_execz .LBB804_519
.LBB804_583:                            ;   in Loop: Header=BB804_388 Depth=2
	v_lshlrev_b32_e32 v58, 2, v162
	ds_load_b32 v60, v58
	ds_load_b64 v[58:59], v123 offset:5120
	s_wait_dscnt 0x1
	v_add_nc_u32_e32 v60, v60, v99
	s_wait_dscnt 0x0
	global_store_b64 v60, v[58:59], s[46:47] scale_offset
	s_wait_xcnt 0x0
	s_or_b32 exec_lo, exec_lo, s15
	s_and_saveexec_b32 s15, s17
	s_cbranch_execz .LBB804_520
.LBB804_584:                            ;   in Loop: Header=BB804_388 Depth=2
	v_lshlrev_b32_e32 v58, 2, v161
	ds_load_b32 v60, v58
	ds_load_b64 v[58:59], v123 offset:7168
	s_wait_dscnt 0x1
	v_add_nc_u32_e32 v60, v60, v100
	s_wait_dscnt 0x0
	global_store_b64 v60, v[58:59], s[46:47] scale_offset
	s_wait_xcnt 0x0
	s_or_b32 exec_lo, exec_lo, s15
	s_and_saveexec_b32 s15, s18
	s_cbranch_execz .LBB804_521
.LBB804_585:                            ;   in Loop: Header=BB804_388 Depth=2
	v_lshlrev_b32_e32 v58, 2, v160
	ds_load_b32 v60, v58
	ds_load_b64 v[58:59], v123 offset:9216
	s_wait_dscnt 0x1
	v_add_nc_u32_e32 v60, v60, v101
	s_wait_dscnt 0x0
	global_store_b64 v60, v[58:59], s[46:47] scale_offset
	s_wait_xcnt 0x0
	s_or_b32 exec_lo, exec_lo, s15
	s_and_saveexec_b32 s15, s19
	s_cbranch_execz .LBB804_522
.LBB804_586:                            ;   in Loop: Header=BB804_388 Depth=2
	v_lshlrev_b32_e32 v58, 2, v159
	ds_load_b32 v60, v58
	ds_load_b64 v[58:59], v123 offset:11264
	s_wait_dscnt 0x1
	v_add_nc_u32_e32 v60, v60, v102
	s_wait_dscnt 0x0
	global_store_b64 v60, v[58:59], s[46:47] scale_offset
	s_wait_xcnt 0x0
	s_or_b32 exec_lo, exec_lo, s15
	s_and_saveexec_b32 s15, s20
	s_cbranch_execz .LBB804_523
.LBB804_587:                            ;   in Loop: Header=BB804_388 Depth=2
	v_lshlrev_b32_e32 v58, 2, v158
	ds_load_b32 v60, v58
	ds_load_b64 v[58:59], v123 offset:13312
	s_wait_dscnt 0x1
	v_add_nc_u32_e32 v60, v60, v103
	s_wait_dscnt 0x0
	global_store_b64 v60, v[58:59], s[46:47] scale_offset
	s_wait_xcnt 0x0
	s_or_b32 exec_lo, exec_lo, s15
	s_and_saveexec_b32 s15, s21
	s_cbranch_execz .LBB804_524
.LBB804_588:                            ;   in Loop: Header=BB804_388 Depth=2
	v_lshlrev_b32_e32 v58, 2, v157
	ds_load_b32 v60, v58
	ds_load_b64 v[58:59], v123 offset:15360
	s_wait_dscnt 0x1
	v_add_nc_u32_e32 v60, v60, v104
	s_wait_dscnt 0x0
	global_store_b64 v60, v[58:59], s[46:47] scale_offset
	s_wait_xcnt 0x0
	s_or_b32 exec_lo, exec_lo, s15
	s_and_saveexec_b32 s15, s22
	s_cbranch_execz .LBB804_525
.LBB804_589:                            ;   in Loop: Header=BB804_388 Depth=2
	v_lshlrev_b32_e32 v58, 2, v156
	ds_load_b32 v60, v58
	ds_load_b64 v[58:59], v123 offset:17408
	s_wait_dscnt 0x1
	v_add_nc_u32_e32 v60, v60, v105
	s_wait_dscnt 0x0
	global_store_b64 v60, v[58:59], s[46:47] scale_offset
	s_wait_xcnt 0x0
	s_or_b32 exec_lo, exec_lo, s15
	s_and_saveexec_b32 s15, s23
	s_cbranch_execz .LBB804_526
.LBB804_590:                            ;   in Loop: Header=BB804_388 Depth=2
	v_lshlrev_b32_e32 v58, 2, v155
	ds_load_b32 v60, v58
	ds_load_b64 v[58:59], v123 offset:19456
	s_wait_dscnt 0x1
	v_add_nc_u32_e32 v60, v60, v106
	s_wait_dscnt 0x0
	global_store_b64 v60, v[58:59], s[46:47] scale_offset
	s_wait_xcnt 0x0
	s_or_b32 exec_lo, exec_lo, s15
	s_and_saveexec_b32 s15, s24
	s_cbranch_execz .LBB804_527
.LBB804_591:                            ;   in Loop: Header=BB804_388 Depth=2
	v_lshlrev_b32_e32 v58, 2, v154
	ds_load_b32 v60, v58
	ds_load_b64 v[58:59], v123 offset:21504
	s_wait_dscnt 0x1
	v_add_nc_u32_e32 v60, v60, v107
	s_wait_dscnt 0x0
	global_store_b64 v60, v[58:59], s[46:47] scale_offset
	s_wait_xcnt 0x0
	s_or_b32 exec_lo, exec_lo, s15
	s_and_saveexec_b32 s15, s25
	s_cbranch_execz .LBB804_528
.LBB804_592:                            ;   in Loop: Header=BB804_388 Depth=2
	v_lshlrev_b32_e32 v58, 2, v153
	ds_load_b32 v60, v58
	ds_load_b64 v[58:59], v123 offset:23552
	s_wait_dscnt 0x1
	v_add_nc_u32_e32 v60, v60, v108
	s_wait_dscnt 0x0
	global_store_b64 v60, v[58:59], s[46:47] scale_offset
	s_wait_xcnt 0x0
	s_or_b32 exec_lo, exec_lo, s15
	s_and_saveexec_b32 s15, s26
	s_cbranch_execz .LBB804_529
.LBB804_593:                            ;   in Loop: Header=BB804_388 Depth=2
	v_lshlrev_b32_e32 v58, 2, v152
	ds_load_b32 v60, v58
	ds_load_b64 v[58:59], v123 offset:25600
	s_wait_dscnt 0x1
	v_add_nc_u32_e32 v60, v60, v109
	s_wait_dscnt 0x0
	global_store_b64 v60, v[58:59], s[46:47] scale_offset
	s_wait_xcnt 0x0
	s_or_b32 exec_lo, exec_lo, s15
	s_and_saveexec_b32 s15, s27
	s_cbranch_execz .LBB804_530
.LBB804_594:                            ;   in Loop: Header=BB804_388 Depth=2
	v_lshlrev_b32_e32 v58, 2, v151
	ds_load_b32 v60, v58
	ds_load_b64 v[58:59], v123 offset:27648
	s_wait_dscnt 0x1
	v_add_nc_u32_e32 v60, v60, v110
	s_wait_dscnt 0x0
	global_store_b64 v60, v[58:59], s[46:47] scale_offset
	s_wait_xcnt 0x0
	s_or_b32 exec_lo, exec_lo, s15
	s_and_saveexec_b32 s15, s28
	s_cbranch_execz .LBB804_531
.LBB804_595:                            ;   in Loop: Header=BB804_388 Depth=2
	v_lshlrev_b32_e32 v58, 2, v150
	ds_load_b32 v60, v58
	ds_load_b64 v[58:59], v123 offset:29696
	s_wait_dscnt 0x1
	v_add_nc_u32_e32 v60, v60, v111
	s_wait_dscnt 0x0
	global_store_b64 v60, v[58:59], s[46:47] scale_offset
	s_wait_xcnt 0x0
	s_or_b32 exec_lo, exec_lo, s15
	s_and_saveexec_b32 s15, s29
	s_cbranch_execnz .LBB804_532
	s_branch .LBB804_533
.LBB804_596:                            ;   in Loop: Header=BB804_12 Depth=1
	s_wait_dscnt 0x0
	s_barrier_signal -1
	s_barrier_wait -1
.LBB804_597:                            ;   in Loop: Header=BB804_12 Depth=1
	s_mov_b32 s7, 0
.LBB804_598:                            ;   in Loop: Header=BB804_12 Depth=1
	s_delay_alu instid0(SALU_CYCLE_1)
	s_and_not1_b32 vcc_lo, exec_lo, s7
	s_cbranch_vccnz .LBB804_11
; %bb.599:                              ;   in Loop: Header=BB804_12 Depth=1
	s_lshl_b32 s7, -1, s55
	s_and_b32 vcc_lo, exec_lo, s53
	s_not_b32 s55, s7
	s_mov_b32 s7, -1
	s_cbranch_vccz .LBB804_891
; %bb.600:                              ;   in Loop: Header=BB804_12 Depth=1
	s_mov_b32 s7, s54
	s_mov_b32 s30, s52
	s_barrier_signal -1
	s_barrier_wait -1
                                        ; implicit-def: $vgpr22_vgpr23
                                        ; implicit-def: $vgpr24_vgpr25
                                        ; implicit-def: $vgpr26_vgpr27
                                        ; implicit-def: $vgpr28_vgpr29
                                        ; implicit-def: $vgpr30_vgpr31
                                        ; implicit-def: $vgpr32_vgpr33
                                        ; implicit-def: $vgpr34_vgpr35
                                        ; implicit-def: $vgpr36_vgpr37
                                        ; implicit-def: $vgpr38_vgpr39
                                        ; implicit-def: $vgpr40_vgpr41
                                        ; implicit-def: $vgpr42_vgpr43
                                        ; implicit-def: $vgpr44_vgpr45
                                        ; implicit-def: $vgpr46_vgpr47
                                        ; implicit-def: $vgpr48_vgpr49
                                        ; implicit-def: $vgpr50_vgpr51
                                        ; implicit-def: $vgpr52_vgpr53
	s_branch .LBB804_602
.LBB804_601:                            ;   in Loop: Header=BB804_602 Depth=2
	s_or_b32 exec_lo, exec_lo, s8
	s_addk_co_i32 s7, 0xf000
	s_cmp_ge_u32 s10, s51
	s_mov_b32 s30, s10
	s_cbranch_scc1 .LBB804_670
.LBB804_602:                            ;   Parent Loop BB804_12 Depth=1
                                        ; =>  This Inner Loop Header: Depth=2
	s_add_co_i32 s10, s30, 0x1000
	s_mov_b32 s8, -1
	s_cmp_gt_u32 s10, s51
                                        ; implicit-def: $vgpr54_vgpr55
                                        ; implicit-def: $vgpr56_vgpr57
                                        ; implicit-def: $vgpr58_vgpr59
                                        ; implicit-def: $vgpr60_vgpr61
                                        ; implicit-def: $vgpr62_vgpr63
                                        ; implicit-def: $vgpr64_vgpr65
                                        ; implicit-def: $vgpr66_vgpr67
                                        ; implicit-def: $vgpr68_vgpr69
                                        ; implicit-def: $vgpr70_vgpr71
                                        ; implicit-def: $vgpr72_vgpr73
                                        ; implicit-def: $vgpr74_vgpr75
                                        ; implicit-def: $vgpr76_vgpr77
                                        ; implicit-def: $vgpr78_vgpr79
                                        ; implicit-def: $vgpr80_vgpr81
                                        ; implicit-def: $vgpr82_vgpr83
                                        ; implicit-def: $vgpr84_vgpr85
	s_cbranch_scc1 .LBB804_604
; %bb.603:                              ;   in Loop: Header=BB804_602 Depth=2
	v_lshl_add_u64 v[84:85], s[30:31], 3, v[16:17]
	s_mov_b32 s8, 0
	s_clause 0xf
	global_load_b64 v[54:55], v[84:85], off
	global_load_b64 v[56:57], v[84:85], off offset:2048
	global_load_b64 v[58:59], v[84:85], off offset:4096
	;; [unrolled: 1-line block ×15, first 2 shown]
.LBB804_604:                            ;   in Loop: Header=BB804_602 Depth=2
	s_and_not1_b32 vcc_lo, exec_lo, s8
	s_movk_i32 s8, 0x1000
	s_cbranch_vccnz .LBB804_623
; %bb.605:                              ;   in Loop: Header=BB804_602 Depth=2
	s_lshl_b64 s[8:9], s[30:31], 3
	s_mov_b32 s11, exec_lo
	s_add_nc_u64 s[8:9], s[36:37], s[8:9]
	s_wait_xcnt 0x0
	v_cmpx_gt_u32_e64 s7, v2
	s_cbranch_execnz .LBB804_655
; %bb.606:                              ;   in Loop: Header=BB804_602 Depth=2
	s_or_b32 exec_lo, exec_lo, s11
	s_delay_alu instid0(SALU_CYCLE_1)
	s_mov_b32 s11, exec_lo
	v_cmpx_gt_u32_e64 s7, v98
	s_cbranch_execnz .LBB804_656
.LBB804_607:                            ;   in Loop: Header=BB804_602 Depth=2
	s_or_b32 exec_lo, exec_lo, s11
	s_delay_alu instid0(SALU_CYCLE_1)
	s_mov_b32 s11, exec_lo
	v_cmpx_gt_u32_e64 s7, v99
	s_cbranch_execnz .LBB804_657
.LBB804_608:                            ;   in Loop: Header=BB804_602 Depth=2
	s_or_b32 exec_lo, exec_lo, s11
	s_delay_alu instid0(SALU_CYCLE_1)
	s_mov_b32 s11, exec_lo
	v_cmpx_gt_u32_e64 s7, v100
	s_cbranch_execnz .LBB804_658
.LBB804_609:                            ;   in Loop: Header=BB804_602 Depth=2
	s_or_b32 exec_lo, exec_lo, s11
	s_delay_alu instid0(SALU_CYCLE_1)
	s_mov_b32 s11, exec_lo
	v_cmpx_gt_u32_e64 s7, v101
	s_cbranch_execnz .LBB804_659
.LBB804_610:                            ;   in Loop: Header=BB804_602 Depth=2
	s_or_b32 exec_lo, exec_lo, s11
	s_delay_alu instid0(SALU_CYCLE_1)
	s_mov_b32 s11, exec_lo
	v_cmpx_gt_u32_e64 s7, v102
	s_cbranch_execnz .LBB804_660
.LBB804_611:                            ;   in Loop: Header=BB804_602 Depth=2
	s_or_b32 exec_lo, exec_lo, s11
	s_delay_alu instid0(SALU_CYCLE_1)
	s_mov_b32 s11, exec_lo
	v_cmpx_gt_u32_e64 s7, v103
	s_cbranch_execnz .LBB804_661
.LBB804_612:                            ;   in Loop: Header=BB804_602 Depth=2
	s_or_b32 exec_lo, exec_lo, s11
	s_delay_alu instid0(SALU_CYCLE_1)
	s_mov_b32 s11, exec_lo
	v_cmpx_gt_u32_e64 s7, v104
	s_cbranch_execnz .LBB804_662
.LBB804_613:                            ;   in Loop: Header=BB804_602 Depth=2
	s_or_b32 exec_lo, exec_lo, s11
	s_delay_alu instid0(SALU_CYCLE_1)
	s_mov_b32 s11, exec_lo
	v_cmpx_gt_u32_e64 s7, v105
	s_cbranch_execnz .LBB804_663
.LBB804_614:                            ;   in Loop: Header=BB804_602 Depth=2
	s_or_b32 exec_lo, exec_lo, s11
	s_delay_alu instid0(SALU_CYCLE_1)
	s_mov_b32 s11, exec_lo
	v_cmpx_gt_u32_e64 s7, v106
	s_cbranch_execnz .LBB804_664
.LBB804_615:                            ;   in Loop: Header=BB804_602 Depth=2
	s_or_b32 exec_lo, exec_lo, s11
	s_delay_alu instid0(SALU_CYCLE_1)
	s_mov_b32 s11, exec_lo
	v_cmpx_gt_u32_e64 s7, v107
	s_cbranch_execnz .LBB804_665
.LBB804_616:                            ;   in Loop: Header=BB804_602 Depth=2
	s_or_b32 exec_lo, exec_lo, s11
	s_delay_alu instid0(SALU_CYCLE_1)
	s_mov_b32 s11, exec_lo
	v_cmpx_gt_u32_e64 s7, v108
	s_cbranch_execnz .LBB804_666
.LBB804_617:                            ;   in Loop: Header=BB804_602 Depth=2
	s_or_b32 exec_lo, exec_lo, s11
	s_delay_alu instid0(SALU_CYCLE_1)
	s_mov_b32 s11, exec_lo
	v_cmpx_gt_u32_e64 s7, v109
	s_cbranch_execnz .LBB804_667
.LBB804_618:                            ;   in Loop: Header=BB804_602 Depth=2
	s_or_b32 exec_lo, exec_lo, s11
	s_delay_alu instid0(SALU_CYCLE_1)
	s_mov_b32 s11, exec_lo
	v_cmpx_gt_u32_e64 s7, v110
	s_cbranch_execnz .LBB804_668
.LBB804_619:                            ;   in Loop: Header=BB804_602 Depth=2
	s_or_b32 exec_lo, exec_lo, s11
	s_delay_alu instid0(SALU_CYCLE_1)
	s_mov_b32 s11, exec_lo
	v_cmpx_gt_u32_e64 s7, v111
	s_cbranch_execnz .LBB804_669
.LBB804_620:                            ;   in Loop: Header=BB804_602 Depth=2
	s_or_b32 exec_lo, exec_lo, s11
	s_delay_alu instid0(SALU_CYCLE_1)
	s_mov_b32 s11, exec_lo
	v_cmpx_gt_u32_e64 s7, v112
	s_cbranch_execz .LBB804_622
.LBB804_621:                            ;   in Loop: Header=BB804_602 Depth=2
	global_load_b64 v[22:23], v2, s[8:9] offset:30720 scale_offset
.LBB804_622:                            ;   in Loop: Header=BB804_602 Depth=2
	s_wait_xcnt 0x0
	s_or_b32 exec_lo, exec_lo, s11
	s_wait_loadcnt 0x0
	v_mov_b64_e32 v[54:55], v[52:53]
	v_mov_b64_e32 v[56:57], v[50:51]
	;; [unrolled: 1-line block ×16, first 2 shown]
	s_mov_b32 s8, s7
.LBB804_623:                            ;   in Loop: Header=BB804_602 Depth=2
	s_wait_loadcnt 0x0
	s_delay_alu instid0(VALU_DEP_1) | instskip(NEXT) | instid1(VALU_DEP_3)
	v_mov_b64_e32 v[22:23], v[84:85]
	v_mov_b64_e32 v[24:25], v[82:83]
	;; [unrolled: 1-line block ×16, first 2 shown]
	s_mov_b32 s9, exec_lo
	s_wait_xcnt 0x0
	v_cmpx_gt_u32_e64 s8, v2
	s_cbranch_execnz .LBB804_639
; %bb.624:                              ;   in Loop: Header=BB804_602 Depth=2
	s_or_b32 exec_lo, exec_lo, s9
	s_delay_alu instid0(SALU_CYCLE_1)
	s_mov_b32 s9, exec_lo
	v_cmpx_gt_u32_e64 s8, v98
	s_cbranch_execnz .LBB804_640
.LBB804_625:                            ;   in Loop: Header=BB804_602 Depth=2
	s_or_b32 exec_lo, exec_lo, s9
	s_delay_alu instid0(SALU_CYCLE_1)
	s_mov_b32 s9, exec_lo
	v_cmpx_gt_u32_e64 s8, v99
	s_cbranch_execnz .LBB804_641
.LBB804_626:                            ;   in Loop: Header=BB804_602 Depth=2
	s_or_b32 exec_lo, exec_lo, s9
	s_delay_alu instid0(SALU_CYCLE_1)
	s_mov_b32 s9, exec_lo
	v_cmpx_gt_u32_e64 s8, v100
	s_cbranch_execnz .LBB804_642
.LBB804_627:                            ;   in Loop: Header=BB804_602 Depth=2
	s_or_b32 exec_lo, exec_lo, s9
	s_delay_alu instid0(SALU_CYCLE_1)
	s_mov_b32 s9, exec_lo
	v_cmpx_gt_u32_e64 s8, v101
	s_cbranch_execnz .LBB804_643
.LBB804_628:                            ;   in Loop: Header=BB804_602 Depth=2
	s_or_b32 exec_lo, exec_lo, s9
	s_delay_alu instid0(SALU_CYCLE_1)
	s_mov_b32 s9, exec_lo
	v_cmpx_gt_u32_e64 s8, v102
	s_cbranch_execnz .LBB804_644
.LBB804_629:                            ;   in Loop: Header=BB804_602 Depth=2
	s_or_b32 exec_lo, exec_lo, s9
	s_delay_alu instid0(SALU_CYCLE_1)
	s_mov_b32 s9, exec_lo
	v_cmpx_gt_u32_e64 s8, v103
	s_cbranch_execnz .LBB804_645
.LBB804_630:                            ;   in Loop: Header=BB804_602 Depth=2
	s_or_b32 exec_lo, exec_lo, s9
	s_delay_alu instid0(SALU_CYCLE_1)
	s_mov_b32 s9, exec_lo
	v_cmpx_gt_u32_e64 s8, v104
	s_cbranch_execnz .LBB804_646
.LBB804_631:                            ;   in Loop: Header=BB804_602 Depth=2
	s_or_b32 exec_lo, exec_lo, s9
	s_delay_alu instid0(SALU_CYCLE_1)
	s_mov_b32 s9, exec_lo
	v_cmpx_gt_u32_e64 s8, v105
	s_cbranch_execnz .LBB804_647
.LBB804_632:                            ;   in Loop: Header=BB804_602 Depth=2
	s_or_b32 exec_lo, exec_lo, s9
	s_delay_alu instid0(SALU_CYCLE_1)
	s_mov_b32 s9, exec_lo
	v_cmpx_gt_u32_e64 s8, v106
	s_cbranch_execnz .LBB804_648
.LBB804_633:                            ;   in Loop: Header=BB804_602 Depth=2
	s_or_b32 exec_lo, exec_lo, s9
	s_delay_alu instid0(SALU_CYCLE_1)
	s_mov_b32 s9, exec_lo
	v_cmpx_gt_u32_e64 s8, v107
	s_cbranch_execnz .LBB804_649
.LBB804_634:                            ;   in Loop: Header=BB804_602 Depth=2
	s_or_b32 exec_lo, exec_lo, s9
	s_delay_alu instid0(SALU_CYCLE_1)
	s_mov_b32 s9, exec_lo
	v_cmpx_gt_u32_e64 s8, v108
	s_cbranch_execnz .LBB804_650
.LBB804_635:                            ;   in Loop: Header=BB804_602 Depth=2
	s_or_b32 exec_lo, exec_lo, s9
	s_delay_alu instid0(SALU_CYCLE_1)
	s_mov_b32 s9, exec_lo
	v_cmpx_gt_u32_e64 s8, v109
	s_cbranch_execnz .LBB804_651
.LBB804_636:                            ;   in Loop: Header=BB804_602 Depth=2
	s_or_b32 exec_lo, exec_lo, s9
	s_delay_alu instid0(SALU_CYCLE_1)
	s_mov_b32 s9, exec_lo
	v_cmpx_gt_u32_e64 s8, v110
	s_cbranch_execnz .LBB804_652
.LBB804_637:                            ;   in Loop: Header=BB804_602 Depth=2
	s_or_b32 exec_lo, exec_lo, s9
	s_delay_alu instid0(SALU_CYCLE_1)
	s_mov_b32 s9, exec_lo
	v_cmpx_gt_u32_e64 s8, v111
	s_cbranch_execnz .LBB804_653
.LBB804_638:                            ;   in Loop: Header=BB804_602 Depth=2
	s_or_b32 exec_lo, exec_lo, s9
	v_cmp_gt_u32_e32 vcc_lo, s8, v112
	s_and_saveexec_b32 s8, vcc_lo
	s_cbranch_execz .LBB804_601
	s_branch .LBB804_654
.LBB804_639:                            ;   in Loop: Header=BB804_602 Depth=2
	s_delay_alu instid0(VALU_DEP_2) | instskip(NEXT) | instid1(VALU_DEP_3)
	v_xor_b32_e32 v55, 0x80000000, v53
	v_mov_b32_e32 v54, v52
	s_delay_alu instid0(VALU_DEP_1) | instskip(NEXT) | instid1(VALU_DEP_1)
	v_lshrrev_b64 v[54:55], s43, v[54:55]
	v_and_b32_e32 v54, s55, v54
	s_delay_alu instid0(VALU_DEP_1) | instskip(SKIP_2) | instid1(SALU_CYCLE_1)
	v_lshl_or_b32 v54, v54, 4, v113
	ds_add_u32 v54, v125
	s_or_b32 exec_lo, exec_lo, s9
	s_mov_b32 s9, exec_lo
	v_cmpx_gt_u32_e64 s8, v98
	s_cbranch_execz .LBB804_625
.LBB804_640:                            ;   in Loop: Header=BB804_602 Depth=2
	v_xor_b32_e32 v55, 0x80000000, v51
	v_mov_b32_e32 v54, v50
	s_delay_alu instid0(VALU_DEP_1) | instskip(NEXT) | instid1(VALU_DEP_1)
	v_lshrrev_b64 v[54:55], s43, v[54:55]
	v_and_b32_e32 v54, s55, v54
	s_delay_alu instid0(VALU_DEP_1) | instskip(SKIP_2) | instid1(SALU_CYCLE_1)
	v_lshl_or_b32 v54, v54, 4, v113
	ds_add_u32 v54, v125
	s_or_b32 exec_lo, exec_lo, s9
	s_mov_b32 s9, exec_lo
	v_cmpx_gt_u32_e64 s8, v99
	s_cbranch_execz .LBB804_626
.LBB804_641:                            ;   in Loop: Header=BB804_602 Depth=2
	v_xor_b32_e32 v55, 0x80000000, v49
	v_mov_b32_e32 v54, v48
	s_delay_alu instid0(VALU_DEP_1) | instskip(NEXT) | instid1(VALU_DEP_1)
	v_lshrrev_b64 v[54:55], s43, v[54:55]
	v_and_b32_e32 v54, s55, v54
	s_delay_alu instid0(VALU_DEP_1) | instskip(SKIP_2) | instid1(SALU_CYCLE_1)
	v_lshl_or_b32 v54, v54, 4, v113
	ds_add_u32 v54, v125
	s_or_b32 exec_lo, exec_lo, s9
	s_mov_b32 s9, exec_lo
	v_cmpx_gt_u32_e64 s8, v100
	s_cbranch_execz .LBB804_627
.LBB804_642:                            ;   in Loop: Header=BB804_602 Depth=2
	v_xor_b32_e32 v55, 0x80000000, v47
	v_mov_b32_e32 v54, v46
	s_delay_alu instid0(VALU_DEP_1) | instskip(NEXT) | instid1(VALU_DEP_1)
	v_lshrrev_b64 v[54:55], s43, v[54:55]
	v_and_b32_e32 v54, s55, v54
	s_delay_alu instid0(VALU_DEP_1) | instskip(SKIP_2) | instid1(SALU_CYCLE_1)
	v_lshl_or_b32 v54, v54, 4, v113
	ds_add_u32 v54, v125
	s_or_b32 exec_lo, exec_lo, s9
	s_mov_b32 s9, exec_lo
	v_cmpx_gt_u32_e64 s8, v101
	s_cbranch_execz .LBB804_628
.LBB804_643:                            ;   in Loop: Header=BB804_602 Depth=2
	v_xor_b32_e32 v55, 0x80000000, v45
	v_mov_b32_e32 v54, v44
	s_delay_alu instid0(VALU_DEP_1) | instskip(NEXT) | instid1(VALU_DEP_1)
	v_lshrrev_b64 v[54:55], s43, v[54:55]
	v_and_b32_e32 v54, s55, v54
	s_delay_alu instid0(VALU_DEP_1) | instskip(SKIP_2) | instid1(SALU_CYCLE_1)
	v_lshl_or_b32 v54, v54, 4, v113
	ds_add_u32 v54, v125
	s_or_b32 exec_lo, exec_lo, s9
	s_mov_b32 s9, exec_lo
	v_cmpx_gt_u32_e64 s8, v102
	s_cbranch_execz .LBB804_629
.LBB804_644:                            ;   in Loop: Header=BB804_602 Depth=2
	v_xor_b32_e32 v55, 0x80000000, v43
	v_mov_b32_e32 v54, v42
	s_delay_alu instid0(VALU_DEP_1) | instskip(NEXT) | instid1(VALU_DEP_1)
	v_lshrrev_b64 v[54:55], s43, v[54:55]
	v_and_b32_e32 v54, s55, v54
	s_delay_alu instid0(VALU_DEP_1) | instskip(SKIP_2) | instid1(SALU_CYCLE_1)
	v_lshl_or_b32 v54, v54, 4, v113
	ds_add_u32 v54, v125
	s_or_b32 exec_lo, exec_lo, s9
	s_mov_b32 s9, exec_lo
	v_cmpx_gt_u32_e64 s8, v103
	s_cbranch_execz .LBB804_630
.LBB804_645:                            ;   in Loop: Header=BB804_602 Depth=2
	v_xor_b32_e32 v55, 0x80000000, v41
	v_mov_b32_e32 v54, v40
	s_delay_alu instid0(VALU_DEP_1) | instskip(NEXT) | instid1(VALU_DEP_1)
	v_lshrrev_b64 v[54:55], s43, v[54:55]
	v_and_b32_e32 v54, s55, v54
	s_delay_alu instid0(VALU_DEP_1) | instskip(SKIP_2) | instid1(SALU_CYCLE_1)
	v_lshl_or_b32 v54, v54, 4, v113
	ds_add_u32 v54, v125
	s_or_b32 exec_lo, exec_lo, s9
	s_mov_b32 s9, exec_lo
	v_cmpx_gt_u32_e64 s8, v104
	s_cbranch_execz .LBB804_631
.LBB804_646:                            ;   in Loop: Header=BB804_602 Depth=2
	v_xor_b32_e32 v55, 0x80000000, v39
	v_mov_b32_e32 v54, v38
	s_delay_alu instid0(VALU_DEP_1) | instskip(NEXT) | instid1(VALU_DEP_1)
	v_lshrrev_b64 v[54:55], s43, v[54:55]
	v_and_b32_e32 v54, s55, v54
	s_delay_alu instid0(VALU_DEP_1) | instskip(SKIP_2) | instid1(SALU_CYCLE_1)
	v_lshl_or_b32 v54, v54, 4, v113
	ds_add_u32 v54, v125
	s_or_b32 exec_lo, exec_lo, s9
	s_mov_b32 s9, exec_lo
	v_cmpx_gt_u32_e64 s8, v105
	s_cbranch_execz .LBB804_632
.LBB804_647:                            ;   in Loop: Header=BB804_602 Depth=2
	v_xor_b32_e32 v55, 0x80000000, v37
	v_mov_b32_e32 v54, v36
	s_delay_alu instid0(VALU_DEP_1) | instskip(NEXT) | instid1(VALU_DEP_1)
	v_lshrrev_b64 v[54:55], s43, v[54:55]
	v_and_b32_e32 v54, s55, v54
	s_delay_alu instid0(VALU_DEP_1) | instskip(SKIP_2) | instid1(SALU_CYCLE_1)
	v_lshl_or_b32 v54, v54, 4, v113
	ds_add_u32 v54, v125
	s_or_b32 exec_lo, exec_lo, s9
	s_mov_b32 s9, exec_lo
	v_cmpx_gt_u32_e64 s8, v106
	s_cbranch_execz .LBB804_633
.LBB804_648:                            ;   in Loop: Header=BB804_602 Depth=2
	v_xor_b32_e32 v55, 0x80000000, v35
	v_mov_b32_e32 v54, v34
	s_delay_alu instid0(VALU_DEP_1) | instskip(NEXT) | instid1(VALU_DEP_1)
	v_lshrrev_b64 v[54:55], s43, v[54:55]
	v_and_b32_e32 v54, s55, v54
	s_delay_alu instid0(VALU_DEP_1) | instskip(SKIP_2) | instid1(SALU_CYCLE_1)
	v_lshl_or_b32 v54, v54, 4, v113
	ds_add_u32 v54, v125
	s_or_b32 exec_lo, exec_lo, s9
	s_mov_b32 s9, exec_lo
	v_cmpx_gt_u32_e64 s8, v107
	s_cbranch_execz .LBB804_634
.LBB804_649:                            ;   in Loop: Header=BB804_602 Depth=2
	v_xor_b32_e32 v55, 0x80000000, v33
	v_mov_b32_e32 v54, v32
	s_delay_alu instid0(VALU_DEP_1) | instskip(NEXT) | instid1(VALU_DEP_1)
	v_lshrrev_b64 v[54:55], s43, v[54:55]
	v_and_b32_e32 v54, s55, v54
	s_delay_alu instid0(VALU_DEP_1) | instskip(SKIP_2) | instid1(SALU_CYCLE_1)
	v_lshl_or_b32 v54, v54, 4, v113
	ds_add_u32 v54, v125
	s_or_b32 exec_lo, exec_lo, s9
	s_mov_b32 s9, exec_lo
	v_cmpx_gt_u32_e64 s8, v108
	s_cbranch_execz .LBB804_635
.LBB804_650:                            ;   in Loop: Header=BB804_602 Depth=2
	v_xor_b32_e32 v55, 0x80000000, v31
	v_mov_b32_e32 v54, v30
	s_delay_alu instid0(VALU_DEP_1) | instskip(NEXT) | instid1(VALU_DEP_1)
	v_lshrrev_b64 v[54:55], s43, v[54:55]
	v_and_b32_e32 v54, s55, v54
	s_delay_alu instid0(VALU_DEP_1) | instskip(SKIP_2) | instid1(SALU_CYCLE_1)
	v_lshl_or_b32 v54, v54, 4, v113
	ds_add_u32 v54, v125
	s_or_b32 exec_lo, exec_lo, s9
	s_mov_b32 s9, exec_lo
	v_cmpx_gt_u32_e64 s8, v109
	s_cbranch_execz .LBB804_636
.LBB804_651:                            ;   in Loop: Header=BB804_602 Depth=2
	v_xor_b32_e32 v55, 0x80000000, v29
	v_mov_b32_e32 v54, v28
	s_delay_alu instid0(VALU_DEP_1) | instskip(NEXT) | instid1(VALU_DEP_1)
	v_lshrrev_b64 v[54:55], s43, v[54:55]
	v_and_b32_e32 v54, s55, v54
	s_delay_alu instid0(VALU_DEP_1) | instskip(SKIP_2) | instid1(SALU_CYCLE_1)
	v_lshl_or_b32 v54, v54, 4, v113
	ds_add_u32 v54, v125
	s_or_b32 exec_lo, exec_lo, s9
	s_mov_b32 s9, exec_lo
	v_cmpx_gt_u32_e64 s8, v110
	s_cbranch_execz .LBB804_637
.LBB804_652:                            ;   in Loop: Header=BB804_602 Depth=2
	v_xor_b32_e32 v55, 0x80000000, v27
	v_mov_b32_e32 v54, v26
	s_delay_alu instid0(VALU_DEP_1) | instskip(NEXT) | instid1(VALU_DEP_1)
	v_lshrrev_b64 v[54:55], s43, v[54:55]
	v_and_b32_e32 v54, s55, v54
	s_delay_alu instid0(VALU_DEP_1) | instskip(SKIP_2) | instid1(SALU_CYCLE_1)
	v_lshl_or_b32 v54, v54, 4, v113
	ds_add_u32 v54, v125
	s_or_b32 exec_lo, exec_lo, s9
	s_mov_b32 s9, exec_lo
	v_cmpx_gt_u32_e64 s8, v111
	s_cbranch_execz .LBB804_638
.LBB804_653:                            ;   in Loop: Header=BB804_602 Depth=2
	v_xor_b32_e32 v55, 0x80000000, v25
	v_mov_b32_e32 v54, v24
	s_delay_alu instid0(VALU_DEP_1) | instskip(NEXT) | instid1(VALU_DEP_1)
	v_lshrrev_b64 v[54:55], s43, v[54:55]
	v_and_b32_e32 v54, s55, v54
	s_delay_alu instid0(VALU_DEP_1)
	v_lshl_or_b32 v54, v54, 4, v113
	ds_add_u32 v54, v125
	s_or_b32 exec_lo, exec_lo, s9
	v_cmp_gt_u32_e32 vcc_lo, s8, v112
	s_and_saveexec_b32 s8, vcc_lo
	s_cbranch_execz .LBB804_601
.LBB804_654:                            ;   in Loop: Header=BB804_602 Depth=2
	v_xor_b32_e32 v55, 0x80000000, v23
	v_mov_b32_e32 v54, v22
	s_delay_alu instid0(VALU_DEP_1) | instskip(NEXT) | instid1(VALU_DEP_1)
	v_lshrrev_b64 v[54:55], s43, v[54:55]
	v_and_b32_e32 v54, s55, v54
	s_delay_alu instid0(VALU_DEP_1)
	v_lshl_or_b32 v54, v54, 4, v113
	ds_add_u32 v54, v125
	s_branch .LBB804_601
.LBB804_655:                            ;   in Loop: Header=BB804_602 Depth=2
	global_load_b64 v[52:53], v2, s[8:9] scale_offset
	s_wait_xcnt 0x0
	s_or_b32 exec_lo, exec_lo, s11
	s_delay_alu instid0(SALU_CYCLE_1)
	s_mov_b32 s11, exec_lo
	v_cmpx_gt_u32_e64 s7, v98
	s_cbranch_execz .LBB804_607
.LBB804_656:                            ;   in Loop: Header=BB804_602 Depth=2
	global_load_b64 v[50:51], v2, s[8:9] offset:2048 scale_offset
	s_wait_xcnt 0x0
	s_or_b32 exec_lo, exec_lo, s11
	s_delay_alu instid0(SALU_CYCLE_1)
	s_mov_b32 s11, exec_lo
	v_cmpx_gt_u32_e64 s7, v99
	s_cbranch_execz .LBB804_608
.LBB804_657:                            ;   in Loop: Header=BB804_602 Depth=2
	global_load_b64 v[48:49], v2, s[8:9] offset:4096 scale_offset
	s_wait_xcnt 0x0
	s_or_b32 exec_lo, exec_lo, s11
	s_delay_alu instid0(SALU_CYCLE_1)
	s_mov_b32 s11, exec_lo
	v_cmpx_gt_u32_e64 s7, v100
	s_cbranch_execz .LBB804_609
.LBB804_658:                            ;   in Loop: Header=BB804_602 Depth=2
	global_load_b64 v[46:47], v2, s[8:9] offset:6144 scale_offset
	s_wait_xcnt 0x0
	s_or_b32 exec_lo, exec_lo, s11
	s_delay_alu instid0(SALU_CYCLE_1)
	s_mov_b32 s11, exec_lo
	v_cmpx_gt_u32_e64 s7, v101
	s_cbranch_execz .LBB804_610
.LBB804_659:                            ;   in Loop: Header=BB804_602 Depth=2
	global_load_b64 v[44:45], v2, s[8:9] offset:8192 scale_offset
	s_wait_xcnt 0x0
	s_or_b32 exec_lo, exec_lo, s11
	s_delay_alu instid0(SALU_CYCLE_1)
	s_mov_b32 s11, exec_lo
	v_cmpx_gt_u32_e64 s7, v102
	s_cbranch_execz .LBB804_611
.LBB804_660:                            ;   in Loop: Header=BB804_602 Depth=2
	global_load_b64 v[42:43], v2, s[8:9] offset:10240 scale_offset
	s_wait_xcnt 0x0
	s_or_b32 exec_lo, exec_lo, s11
	s_delay_alu instid0(SALU_CYCLE_1)
	s_mov_b32 s11, exec_lo
	v_cmpx_gt_u32_e64 s7, v103
	s_cbranch_execz .LBB804_612
.LBB804_661:                            ;   in Loop: Header=BB804_602 Depth=2
	global_load_b64 v[40:41], v2, s[8:9] offset:12288 scale_offset
	s_wait_xcnt 0x0
	s_or_b32 exec_lo, exec_lo, s11
	s_delay_alu instid0(SALU_CYCLE_1)
	s_mov_b32 s11, exec_lo
	v_cmpx_gt_u32_e64 s7, v104
	s_cbranch_execz .LBB804_613
.LBB804_662:                            ;   in Loop: Header=BB804_602 Depth=2
	global_load_b64 v[38:39], v2, s[8:9] offset:14336 scale_offset
	s_wait_xcnt 0x0
	s_or_b32 exec_lo, exec_lo, s11
	s_delay_alu instid0(SALU_CYCLE_1)
	s_mov_b32 s11, exec_lo
	v_cmpx_gt_u32_e64 s7, v105
	s_cbranch_execz .LBB804_614
.LBB804_663:                            ;   in Loop: Header=BB804_602 Depth=2
	global_load_b64 v[36:37], v2, s[8:9] offset:16384 scale_offset
	s_wait_xcnt 0x0
	s_or_b32 exec_lo, exec_lo, s11
	s_delay_alu instid0(SALU_CYCLE_1)
	s_mov_b32 s11, exec_lo
	v_cmpx_gt_u32_e64 s7, v106
	s_cbranch_execz .LBB804_615
.LBB804_664:                            ;   in Loop: Header=BB804_602 Depth=2
	global_load_b64 v[34:35], v2, s[8:9] offset:18432 scale_offset
	s_wait_xcnt 0x0
	s_or_b32 exec_lo, exec_lo, s11
	s_delay_alu instid0(SALU_CYCLE_1)
	s_mov_b32 s11, exec_lo
	v_cmpx_gt_u32_e64 s7, v107
	s_cbranch_execz .LBB804_616
.LBB804_665:                            ;   in Loop: Header=BB804_602 Depth=2
	global_load_b64 v[32:33], v2, s[8:9] offset:20480 scale_offset
	s_wait_xcnt 0x0
	s_or_b32 exec_lo, exec_lo, s11
	s_delay_alu instid0(SALU_CYCLE_1)
	s_mov_b32 s11, exec_lo
	v_cmpx_gt_u32_e64 s7, v108
	s_cbranch_execz .LBB804_617
.LBB804_666:                            ;   in Loop: Header=BB804_602 Depth=2
	global_load_b64 v[30:31], v2, s[8:9] offset:22528 scale_offset
	s_wait_xcnt 0x0
	s_or_b32 exec_lo, exec_lo, s11
	s_delay_alu instid0(SALU_CYCLE_1)
	s_mov_b32 s11, exec_lo
	v_cmpx_gt_u32_e64 s7, v109
	s_cbranch_execz .LBB804_618
.LBB804_667:                            ;   in Loop: Header=BB804_602 Depth=2
	global_load_b64 v[28:29], v2, s[8:9] offset:24576 scale_offset
	s_wait_xcnt 0x0
	s_or_b32 exec_lo, exec_lo, s11
	s_delay_alu instid0(SALU_CYCLE_1)
	s_mov_b32 s11, exec_lo
	v_cmpx_gt_u32_e64 s7, v110
	s_cbranch_execz .LBB804_619
.LBB804_668:                            ;   in Loop: Header=BB804_602 Depth=2
	global_load_b64 v[26:27], v2, s[8:9] offset:26624 scale_offset
	s_wait_xcnt 0x0
	s_or_b32 exec_lo, exec_lo, s11
	s_delay_alu instid0(SALU_CYCLE_1)
	s_mov_b32 s11, exec_lo
	v_cmpx_gt_u32_e64 s7, v111
	s_cbranch_execz .LBB804_620
.LBB804_669:                            ;   in Loop: Header=BB804_602 Depth=2
	global_load_b64 v[24:25], v2, s[8:9] offset:28672 scale_offset
	s_wait_xcnt 0x0
	s_or_b32 exec_lo, exec_lo, s11
	s_delay_alu instid0(SALU_CYCLE_1)
	s_mov_b32 s11, exec_lo
	v_cmpx_gt_u32_e64 s7, v112
	s_cbranch_execnz .LBB804_621
	s_branch .LBB804_622
.LBB804_670:                            ;   in Loop: Header=BB804_12 Depth=1
	v_mov_b32_e32 v22, 0
	s_wait_dscnt 0x0
	s_barrier_signal -1
	s_barrier_wait -1
	s_and_saveexec_b32 s7, s0
	s_cbranch_execz .LBB804_672
; %bb.671:                              ;   in Loop: Header=BB804_12 Depth=1
	ds_load_2addr_b64 v[22:25], v115 offset1:1
	s_wait_dscnt 0x0
	v_add_nc_u32_e32 v22, v23, v22
	s_delay_alu instid0(VALU_DEP_1)
	v_add3_u32 v22, v22, v24, v25
.LBB804_672:                            ;   in Loop: Header=BB804_12 Depth=1
	s_or_b32 exec_lo, exec_lo, s7
	s_delay_alu instid0(VALU_DEP_1)
	v_mov_b32_dpp v23, v22 row_shr:1 row_mask:0xf bank_mask:0xf
	v_cmp_eq_u32_e64 s7, 0, v126
	v_cmp_lt_u32_e64 s8, 1, v126
	v_cmp_lt_u32_e64 s9, 3, v126
	;; [unrolled: 1-line block ×3, first 2 shown]
	v_cmp_eq_u32_e64 s11, 0, v128
	v_cndmask_b32_e64 v23, v23, 0, s7
	s_delay_alu instid0(VALU_DEP_1) | instskip(NEXT) | instid1(VALU_DEP_1)
	v_add_nc_u32_e32 v22, v23, v22
	v_mov_b32_dpp v23, v22 row_shr:2 row_mask:0xf bank_mask:0xf
	s_delay_alu instid0(VALU_DEP_1) | instskip(NEXT) | instid1(VALU_DEP_1)
	v_cndmask_b32_e64 v23, 0, v23, s8
	v_add_nc_u32_e32 v22, v22, v23
	s_delay_alu instid0(VALU_DEP_1) | instskip(NEXT) | instid1(VALU_DEP_1)
	v_mov_b32_dpp v23, v22 row_shr:4 row_mask:0xf bank_mask:0xf
	v_cndmask_b32_e64 v23, 0, v23, s9
	s_delay_alu instid0(VALU_DEP_1) | instskip(NEXT) | instid1(VALU_DEP_1)
	v_add_nc_u32_e32 v22, v22, v23
	v_mov_b32_dpp v23, v22 row_shr:8 row_mask:0xf bank_mask:0xf
	s_delay_alu instid0(VALU_DEP_1) | instskip(NEXT) | instid1(VALU_DEP_1)
	v_cndmask_b32_e64 v23, 0, v23, s10
	v_add_nc_u32_e32 v22, v22, v23
	ds_swizzle_b32 v23, v22 offset:swizzle(BROADCAST,32,15)
	s_wait_dscnt 0x0
	v_and_b32_e32 v23, v127, v23
	s_delay_alu instid0(VALU_DEP_1)
	v_add_nc_u32_e32 v22, v22, v23
	s_and_saveexec_b32 s12, s1
; %bb.673:                              ;   in Loop: Header=BB804_12 Depth=1
	ds_store_b32 v116, v22
; %bb.674:                              ;   in Loop: Header=BB804_12 Depth=1
	s_or_b32 exec_lo, exec_lo, s12
	s_wait_dscnt 0x0
	s_barrier_signal -1
	s_barrier_wait -1
	s_and_saveexec_b32 s12, s4
	s_cbranch_execz .LBB804_676
; %bb.675:                              ;   in Loop: Header=BB804_12 Depth=1
	ds_load_b32 v23, v117
	v_cmp_ne_u32_e32 vcc_lo, 0, v130
	s_wait_dscnt 0x0
	v_mov_b32_dpp v24, v23 row_shr:1 row_mask:0xf bank_mask:0xf
	s_delay_alu instid0(VALU_DEP_1) | instskip(SKIP_1) | instid1(VALU_DEP_2)
	v_cndmask_b32_e32 v24, 0, v24, vcc_lo
	v_cmp_lt_u32_e32 vcc_lo, 1, v130
	v_add_nc_u32_e32 v23, v24, v23
	s_delay_alu instid0(VALU_DEP_1) | instskip(NEXT) | instid1(VALU_DEP_1)
	v_mov_b32_dpp v24, v23 row_shr:2 row_mask:0xf bank_mask:0xf
	v_cndmask_b32_e32 v24, 0, v24, vcc_lo
	v_cmp_lt_u32_e32 vcc_lo, 3, v130
	s_delay_alu instid0(VALU_DEP_2) | instskip(NEXT) | instid1(VALU_DEP_1)
	v_add_nc_u32_e32 v23, v23, v24
	v_mov_b32_dpp v24, v23 row_shr:4 row_mask:0xf bank_mask:0xf
	s_delay_alu instid0(VALU_DEP_1) | instskip(NEXT) | instid1(VALU_DEP_1)
	v_cndmask_b32_e32 v24, 0, v24, vcc_lo
	v_add_nc_u32_e32 v23, v23, v24
	ds_store_b32 v117, v23
.LBB804_676:                            ;   in Loop: Header=BB804_12 Depth=1
	s_or_b32 exec_lo, exec_lo, s12
	v_mov_b32_e32 v23, 0
	s_wait_dscnt 0x0
	s_barrier_signal -1
	s_barrier_wait -1
	s_and_saveexec_b32 s12, s5
; %bb.677:                              ;   in Loop: Header=BB804_12 Depth=1
	ds_load_b32 v23, v118
; %bb.678:                              ;   in Loop: Header=BB804_12 Depth=1
	s_or_b32 exec_lo, exec_lo, s12
	v_cmp_gt_i32_e32 vcc_lo, 0, v131
	s_wait_dscnt 0x0
	s_barrier_signal -1
	s_barrier_wait -1
	v_cndmask_b32_e32 v24, v131, v124, vcc_lo
	s_delay_alu instid0(VALU_DEP_1)
	v_dual_add_nc_u32 v22, v23, v22 :: v_dual_lshlrev_b32 v147, 2, v24
	ds_bpermute_b32 v22, v147, v22
	s_and_saveexec_b32 s12, s0
	s_cbranch_execz .LBB804_680
; %bb.679:                              ;   in Loop: Header=BB804_12 Depth=1
	s_wait_dscnt 0x0
	v_cndmask_b32_e64 v22, v22, v23, s6
	s_delay_alu instid0(VALU_DEP_1)
	v_add_nc_u32_e32 v22, s52, v22
	ds_store_b32 v3, v22
.LBB804_680:                            ;   in Loop: Header=BB804_12 Depth=1
	s_or_b32 exec_lo, exec_lo, s12
	s_load_b64 s[12:13], s[34:35], 0x0
	v_add_nc_u64_e32 v[24:25], v[20:21], v[4:5]
	s_mov_b32 s56, s54
                                        ; implicit-def: $vgpr28_vgpr29
                                        ; implicit-def: $vgpr30_vgpr31
                                        ; implicit-def: $vgpr32_vgpr33
                                        ; implicit-def: $vgpr34_vgpr35
                                        ; implicit-def: $vgpr36_vgpr37
                                        ; implicit-def: $vgpr38_vgpr39
                                        ; implicit-def: $vgpr40_vgpr41
                                        ; implicit-def: $vgpr42_vgpr43
                                        ; implicit-def: $vgpr44_vgpr45
                                        ; implicit-def: $vgpr46_vgpr47
                                        ; implicit-def: $vgpr48_vgpr49
                                        ; implicit-def: $vgpr50_vgpr51
                                        ; implicit-def: $vgpr52_vgpr53
                                        ; implicit-def: $vgpr54_vgpr55
                                        ; implicit-def: $vgpr56_vgpr57
                                        ; implicit-def: $vgpr149
                                        ; implicit-def: $vgpr150
                                        ; implicit-def: $vgpr151
                                        ; implicit-def: $vgpr152
                                        ; implicit-def: $vgpr153
                                        ; implicit-def: $vgpr154
                                        ; implicit-def: $vgpr155
                                        ; implicit-def: $vgpr156
                                        ; implicit-def: $vgpr157
                                        ; implicit-def: $vgpr158
                                        ; implicit-def: $vgpr159
                                        ; implicit-def: $vgpr160
                                        ; implicit-def: $vgpr161
                                        ; implicit-def: $vgpr162
                                        ; implicit-def: $vgpr163
                                        ; implicit-def: $vgpr164
	s_wait_kmcnt 0x0
	s_cmp_lt_u32 s33, s12
	s_cselect_b32 s30, 12, 18
	s_cmp_lt_u32 s42, s13
	s_mov_b32 s13, s31
	s_cselect_b32 s12, 14, 20
	s_delay_alu instid0(SALU_CYCLE_1)
	s_add_nc_u64 s[12:13], s[34:35], s[12:13]
	s_load_u16 s14, s[12:13], 0x0
	s_wait_xcnt 0x0
	s_add_nc_u64 s[12:13], s[34:35], s[30:31]
	s_mov_b32 s30, s52
	s_load_u16 s12, s[12:13], 0x0
	s_wait_xcnt 0x0
	v_cmp_lt_u32_e64 s13, 1, v130
	s_wait_dscnt 0x0
	s_wait_kmcnt 0x0
	v_mad_u32_u24 v22, v119, s14, v121
	v_cmp_lt_u32_e64 s14, 3, v130
	s_delay_alu instid0(VALU_DEP_2) | instskip(SKIP_1) | instid1(VALU_DEP_2)
	v_mad_u32 v22, v22, s12, v2
	v_cmp_eq_u32_e64 s12, 0, v130
	v_lshrrev_b32_e32 v26, 3, v22
	v_add_nc_u64_e32 v[22:23], v[18:19], v[4:5]
	s_delay_alu instid0(VALU_DEP_2)
	v_and_b32_e32 v148, 0x1ffffffc, v26
                                        ; implicit-def: $vgpr26_vgpr27
	s_branch .LBB804_682
.LBB804_681:                            ;   in Loop: Header=BB804_682 Depth=2
	s_or_b32 exec_lo, exec_lo, s15
	s_addk_co_i32 s56, 0xf000
	s_cmp_lt_u32 s57, s51
	s_mov_b32 s30, s57
	s_cbranch_scc0 .LBB804_890
.LBB804_682:                            ;   Parent Loop BB804_12 Depth=1
                                        ; =>  This Inner Loop Header: Depth=2
	s_add_co_i32 s57, s30, 0x1000
	s_delay_alu instid0(SALU_CYCLE_1)
	s_cmp_gt_u32 s57, s51
	s_cbranch_scc1 .LBB804_684
; %bb.683:                              ;   in Loop: Header=BB804_682 Depth=2
	v_lshl_add_u64 v[88:89], s[30:31], 3, v[24:25]
	s_mov_b32 s15, -1
	s_clause 0xe
	global_load_b64 v[60:61], v[88:89], off
	global_load_b64 v[58:59], v[88:89], off offset:256
	global_load_b64 v[64:65], v[88:89], off offset:512
	;; [unrolled: 1-line block ×14, first 2 shown]
	s_movk_i32 s16, 0x1000
	s_cbranch_execz .LBB804_685
	s_branch .LBB804_716
.LBB804_684:                            ;   in Loop: Header=BB804_682 Depth=2
	s_mov_b32 s15, 0
                                        ; implicit-def: $vgpr60_vgpr61
                                        ; implicit-def: $vgpr58_vgpr59
                                        ; implicit-def: $vgpr64_vgpr65
                                        ; implicit-def: $vgpr62_vgpr63
                                        ; implicit-def: $vgpr68_vgpr69
                                        ; implicit-def: $vgpr66_vgpr67
                                        ; implicit-def: $vgpr72_vgpr73
                                        ; implicit-def: $vgpr70_vgpr71
                                        ; implicit-def: $vgpr76_vgpr77
                                        ; implicit-def: $vgpr74_vgpr75
                                        ; implicit-def: $vgpr80_vgpr81
                                        ; implicit-def: $vgpr78_vgpr79
                                        ; implicit-def: $vgpr84_vgpr85
                                        ; implicit-def: $vgpr82_vgpr83
                                        ; implicit-def: $vgpr86_vgpr87
	s_movk_i32 s16, 0x1000
.LBB804_685:                            ;   in Loop: Header=BB804_682 Depth=2
	s_wait_loadcnt 0xd
	v_mov_b64_e32 v[58:59], 0x7fffffffffffffff
	v_mov_b64_e32 v[60:61], 0x7fffffffffffffff
	s_wait_xcnt 0x0
	v_lshl_add_u64 v[88:89], s[30:31], 3, v[24:25]
	s_mov_b32 s15, exec_lo
	v_cmpx_gt_u32_e64 s56, v129
	s_cbranch_execz .LBB804_687
; %bb.686:                              ;   in Loop: Header=BB804_682 Depth=2
	global_load_b64 v[60:61], v[88:89], off
.LBB804_687:                            ;   in Loop: Header=BB804_682 Depth=2
	s_wait_xcnt 0x0
	s_or_b32 exec_lo, exec_lo, s15
	s_delay_alu instid0(SALU_CYCLE_1)
	s_mov_b32 s15, exec_lo
	v_cmpx_gt_u32_e64 s56, v132
	s_cbranch_execz .LBB804_689
; %bb.688:                              ;   in Loop: Header=BB804_682 Depth=2
	global_load_b64 v[58:59], v[88:89], off offset:256
.LBB804_689:                            ;   in Loop: Header=BB804_682 Depth=2
	s_wait_xcnt 0x0
	s_or_b32 exec_lo, exec_lo, s15
	s_wait_loadcnt 0xb
	v_mov_b64_e32 v[62:63], 0x7fffffffffffffff
	v_mov_b64_e32 v[64:65], 0x7fffffffffffffff
	s_mov_b32 s15, exec_lo
	v_cmpx_gt_u32_e64 s56, v133
	s_cbranch_execz .LBB804_691
; %bb.690:                              ;   in Loop: Header=BB804_682 Depth=2
	global_load_b64 v[64:65], v[88:89], off offset:512
.LBB804_691:                            ;   in Loop: Header=BB804_682 Depth=2
	s_wait_xcnt 0x0
	s_or_b32 exec_lo, exec_lo, s15
	s_delay_alu instid0(SALU_CYCLE_1)
	s_mov_b32 s15, exec_lo
	v_cmpx_gt_u32_e64 s56, v134
	s_cbranch_execz .LBB804_693
; %bb.692:                              ;   in Loop: Header=BB804_682 Depth=2
	global_load_b64 v[62:63], v[88:89], off offset:768
.LBB804_693:                            ;   in Loop: Header=BB804_682 Depth=2
	s_wait_xcnt 0x0
	s_or_b32 exec_lo, exec_lo, s15
	s_wait_loadcnt 0x9
	v_mov_b64_e32 v[66:67], 0x7fffffffffffffff
	v_mov_b64_e32 v[68:69], 0x7fffffffffffffff
	s_mov_b32 s15, exec_lo
	v_cmpx_gt_u32_e64 s56, v135
	s_cbranch_execz .LBB804_695
; %bb.694:                              ;   in Loop: Header=BB804_682 Depth=2
	global_load_b64 v[68:69], v[88:89], off offset:1024
.LBB804_695:                            ;   in Loop: Header=BB804_682 Depth=2
	;; [unrolled: 20-line block ×6, first 2 shown]
	s_wait_xcnt 0x0
	s_or_b32 exec_lo, exec_lo, s15
	s_delay_alu instid0(SALU_CYCLE_1)
	s_mov_b32 s15, exec_lo
	v_cmpx_gt_u32_e64 s56, v144
	s_cbranch_execz .LBB804_713
; %bb.712:                              ;   in Loop: Header=BB804_682 Depth=2
	global_load_b64 v[82:83], v[88:89], off offset:3328
.LBB804_713:                            ;   in Loop: Header=BB804_682 Depth=2
	s_wait_xcnt 0x0
	s_or_b32 exec_lo, exec_lo, s15
	s_wait_loadcnt 0x0
	v_mov_b64_e32 v[86:87], 0x7fffffffffffffff
	s_mov_b32 s15, exec_lo
	v_cmpx_gt_u32_e64 s56, v145
	s_cbranch_execz .LBB804_715
; %bb.714:                              ;   in Loop: Header=BB804_682 Depth=2
	global_load_b64 v[86:87], v[88:89], off offset:3584
.LBB804_715:                            ;   in Loop: Header=BB804_682 Depth=2
	s_wait_xcnt 0x0
	s_or_b32 exec_lo, exec_lo, s15
	v_cmp_gt_u32_e64 s15, s56, v146
	s_sub_co_i32 s16, s51, s30
.LBB804_716:                            ;   in Loop: Header=BB804_682 Depth=2
	s_wait_xcnt 0x0
	v_mov_b64_e32 v[88:89], -1
	v_mov_b32_e32 v165, s56
	s_and_saveexec_b32 s17, s15
	s_cbranch_execz .LBB804_718
; %bb.717:                              ;   in Loop: Header=BB804_682 Depth=2
	v_lshl_add_u64 v[88:89], s[30:31], 3, v[24:25]
	v_mov_b32_e32 v165, s16
	global_load_b64 v[88:89], v[88:89], off offset:3840
	s_wait_loadcnt 0x0
	s_wait_xcnt 0x0
	v_xor_b32_e32 v89, 0x80000000, v89
.LBB804_718:                            ;   in Loop: Header=BB804_682 Depth=2
	s_or_b32 exec_lo, exec_lo, s17
	s_wait_loadcnt 0xe
	v_xor_b32_e32 v61, 0x80000000, v61
	v_add_nc_u32_e32 v169, 0x428, v120
	v_add_nc_u32_e32 v170, 0x430, v120
	s_delay_alu instid0(VALU_DEP_3) | instskip(NEXT) | instid1(VALU_DEP_1)
	v_lshrrev_b64 v[90:91], s43, v[60:61]
	v_bitop3_b32 v91, v90, 1, s55 bitop3:0x80
	v_and_b32_e32 v92, s55, v90
	s_delay_alu instid0(VALU_DEP_2) | instskip(NEXT) | instid1(VALU_DEP_1)
	v_add_co_u32 v90, s15, v91, -1
	v_cndmask_b32_e64 v91, 0, 1, s15
	s_delay_alu instid0(VALU_DEP_3) | instskip(NEXT) | instid1(VALU_DEP_2)
	v_lshlrev_b32_e32 v93, 30, v92
	v_cmp_ne_u32_e32 vcc_lo, 0, v91
	s_delay_alu instid0(VALU_DEP_2) | instskip(NEXT) | instid1(VALU_DEP_1)
	v_not_b32_e32 v91, v93
	v_dual_ashrrev_i32 v91, 31, v91 :: v_dual_bitop2_b32 v90, vcc_lo, v90 bitop3:0x14
	v_dual_lshlrev_b32 v94, 29, v92 :: v_dual_lshlrev_b32 v95, 28, v92
	v_dual_lshlrev_b32 v96, 27, v92 :: v_dual_lshlrev_b32 v97, 26, v92
	v_lshlrev_b32_e32 v166, 25, v92
	v_cmp_gt_i32_e64 s15, 0, v93
	s_delay_alu instid0(VALU_DEP_4)
	v_cmp_gt_i32_e64 s16, 0, v94
	v_not_b32_e32 v93, v94
	v_not_b32_e32 v94, v95
	v_lshlrev_b32_e32 v167, 24, v92
	v_cmp_gt_i32_e64 s17, 0, v95
	v_cmp_gt_i32_e64 s18, 0, v96
	v_not_b32_e32 v95, v96
	v_cmp_gt_i32_e64 s19, 0, v97
	v_not_b32_e32 v96, v97
	v_not_b32_e32 v97, v166
	v_dual_ashrrev_i32 v93, 31, v93 :: v_dual_ashrrev_i32 v94, 31, v94
	v_xor_b32_e32 v91, s15, v91
	v_not_b32_e32 v168, v167
	v_dual_ashrrev_i32 v95, 31, v95 :: v_dual_ashrrev_i32 v96, 31, v96
	s_delay_alu instid0(VALU_DEP_4) | instskip(SKIP_2) | instid1(VALU_DEP_4)
	v_xor_b32_e32 v93, s16, v93
	v_xor_b32_e32 v94, s17, v94
	v_bitop3_b32 v90, v90, v91, exec_lo bitop3:0x80
	v_xor_b32_e32 v95, s18, v95
	v_xor_b32_e32 v91, s19, v96
	v_cmp_gt_i32_e32 vcc_lo, 0, v166
	v_ashrrev_i32_e32 v96, 31, v97
	v_cmp_gt_i32_e64 s15, 0, v167
	v_ashrrev_i32_e32 v97, 31, v168
	v_bitop3_b32 v90, v90, v94, v93 bitop3:0x80
	v_add_nc_u32_e32 v167, 0x438, v120
	v_xor_b32_e32 v93, vcc_lo, v96
	v_add_nc_u32_e32 v168, 0x420, v120
	v_xor_b32_e32 v94, s15, v97
	v_bitop3_b32 v90, v90, v91, v95 bitop3:0x80
	v_mul_u32_u24_e32 v91, 36, v92
	ds_store_2addr_b32 v167, v5, v5 offset1:1
	ds_store_2addr_b32 v168, v5, v5 offset1:1
	;; [unrolled: 1-line block ×4, first 2 shown]
	ds_store_b32 v120, v5 offset:1088
	s_wait_loadcnt_dscnt 0x0
	v_bitop3_b32 v90, v90, v94, v93 bitop3:0x80
	v_add_nc_u32_e32 v171, v148, v91
	s_barrier_signal -1
	s_barrier_wait -1
	s_delay_alu instid0(VALU_DEP_2) | instskip(SKIP_1) | instid1(VALU_DEP_2)
	v_mbcnt_lo_u32_b32 v166, v90, 0
	v_cmp_ne_u32_e64 s15, 0, v90
	; wave barrier
	v_cmp_eq_u32_e32 vcc_lo, 0, v166
	s_and_b32 s16, s15, vcc_lo
	s_delay_alu instid0(SALU_CYCLE_1)
	s_and_saveexec_b32 s15, s16
; %bb.719:                              ;   in Loop: Header=BB804_682 Depth=2
	v_bcnt_u32_b32 v90, v90, 0
	ds_store_b32 v171, v90 offset:1056
; %bb.720:                              ;   in Loop: Header=BB804_682 Depth=2
	s_or_b32 exec_lo, exec_lo, s15
	v_xor_b32_e32 v59, 0x80000000, v59
	; wave barrier
	s_delay_alu instid0(VALU_DEP_1) | instskip(NEXT) | instid1(VALU_DEP_1)
	v_lshrrev_b64 v[90:91], s43, v[58:59]
	v_bitop3_b32 v91, v90, 1, s55 bitop3:0x80
	v_and_b32_e32 v92, s55, v90
	s_delay_alu instid0(VALU_DEP_2) | instskip(NEXT) | instid1(VALU_DEP_1)
	v_add_co_u32 v90, s15, v91, -1
	v_cndmask_b32_e64 v91, 0, 1, s15
	s_delay_alu instid0(VALU_DEP_3) | instskip(NEXT) | instid1(VALU_DEP_2)
	v_lshlrev_b32_e32 v93, 30, v92
	v_cmp_ne_u32_e32 vcc_lo, 0, v91
	s_delay_alu instid0(VALU_DEP_2) | instskip(NEXT) | instid1(VALU_DEP_1)
	v_not_b32_e32 v91, v93
	v_dual_ashrrev_i32 v91, 31, v91 :: v_dual_bitop2_b32 v90, vcc_lo, v90 bitop3:0x14
	v_dual_lshlrev_b32 v94, 29, v92 :: v_dual_lshlrev_b32 v95, 28, v92
	v_dual_lshlrev_b32 v96, 27, v92 :: v_dual_lshlrev_b32 v97, 26, v92
	v_lshlrev_b32_e32 v172, 25, v92
	v_cmp_gt_i32_e64 s15, 0, v93
	s_delay_alu instid0(VALU_DEP_4)
	v_cmp_gt_i32_e64 s16, 0, v94
	v_not_b32_e32 v93, v94
	v_not_b32_e32 v94, v95
	v_lshlrev_b32_e32 v173, 24, v92
	v_cmp_gt_i32_e64 s17, 0, v95
	v_cmp_gt_i32_e64 s18, 0, v96
	v_not_b32_e32 v95, v96
	v_cmp_gt_i32_e64 s19, 0, v97
	v_not_b32_e32 v96, v97
	v_not_b32_e32 v97, v172
	v_dual_ashrrev_i32 v93, 31, v93 :: v_dual_ashrrev_i32 v94, 31, v94
	v_xor_b32_e32 v91, s15, v91
	v_not_b32_e32 v174, v173
	v_dual_ashrrev_i32 v95, 31, v95 :: v_dual_ashrrev_i32 v96, 31, v96
	s_delay_alu instid0(VALU_DEP_4) | instskip(SKIP_2) | instid1(VALU_DEP_4)
	v_xor_b32_e32 v93, s16, v93
	v_xor_b32_e32 v94, s17, v94
	v_bitop3_b32 v90, v90, v91, exec_lo bitop3:0x80
	v_xor_b32_e32 v95, s18, v95
	v_xor_b32_e32 v91, s19, v96
	v_cmp_gt_i32_e32 vcc_lo, 0, v172
	v_ashrrev_i32_e32 v96, 31, v97
	v_cmp_gt_i32_e64 s15, 0, v173
	v_ashrrev_i32_e32 v97, 31, v174
	v_bitop3_b32 v90, v90, v94, v93 bitop3:0x80
	v_mad_u32_u24 v93, v92, 36, v148
	v_xor_b32_e32 v94, vcc_lo, v96
	s_delay_alu instid0(VALU_DEP_4) | instskip(NEXT) | instid1(VALU_DEP_4)
	v_xor_b32_e32 v96, s15, v97
	v_bitop3_b32 v90, v90, v91, v95 bitop3:0x80
	ds_load_b32 v172, v93 offset:1056
	v_mul_u32_u24_e32 v91, 36, v92
	; wave barrier
	v_bitop3_b32 v90, v90, v96, v94 bitop3:0x80
	s_delay_alu instid0(VALU_DEP_2) | instskip(NEXT) | instid1(VALU_DEP_2)
	v_add_nc_u32_e32 v174, v148, v91
	v_mbcnt_lo_u32_b32 v173, v90, 0
	v_cmp_ne_u32_e64 s15, 0, v90
	s_delay_alu instid0(VALU_DEP_2) | instskip(SKIP_1) | instid1(SALU_CYCLE_1)
	v_cmp_eq_u32_e32 vcc_lo, 0, v173
	s_and_b32 s16, s15, vcc_lo
	s_and_saveexec_b32 s15, s16
	s_cbranch_execz .LBB804_722
; %bb.721:                              ;   in Loop: Header=BB804_682 Depth=2
	s_wait_dscnt 0x0
	v_bcnt_u32_b32 v90, v90, v172
	ds_store_b32 v174, v90 offset:1056
.LBB804_722:                            ;   in Loop: Header=BB804_682 Depth=2
	s_or_b32 exec_lo, exec_lo, s15
	v_xor_b32_e32 v65, 0x80000000, v65
	; wave barrier
	s_delay_alu instid0(VALU_DEP_1) | instskip(NEXT) | instid1(VALU_DEP_1)
	v_lshrrev_b64 v[90:91], s43, v[64:65]
	v_bitop3_b32 v91, v90, 1, s55 bitop3:0x80
	v_and_b32_e32 v92, s55, v90
	s_delay_alu instid0(VALU_DEP_2) | instskip(NEXT) | instid1(VALU_DEP_1)
	v_add_co_u32 v90, s15, v91, -1
	v_cndmask_b32_e64 v91, 0, 1, s15
	s_delay_alu instid0(VALU_DEP_3) | instskip(NEXT) | instid1(VALU_DEP_2)
	v_lshlrev_b32_e32 v93, 30, v92
	v_cmp_ne_u32_e32 vcc_lo, 0, v91
	s_delay_alu instid0(VALU_DEP_2) | instskip(NEXT) | instid1(VALU_DEP_1)
	v_not_b32_e32 v91, v93
	v_dual_ashrrev_i32 v91, 31, v91 :: v_dual_bitop2_b32 v90, vcc_lo, v90 bitop3:0x14
	v_dual_lshlrev_b32 v94, 29, v92 :: v_dual_lshlrev_b32 v95, 28, v92
	v_dual_lshlrev_b32 v96, 27, v92 :: v_dual_lshlrev_b32 v97, 26, v92
	v_lshlrev_b32_e32 v175, 25, v92
	v_cmp_gt_i32_e64 s15, 0, v93
	s_delay_alu instid0(VALU_DEP_4)
	v_cmp_gt_i32_e64 s16, 0, v94
	v_not_b32_e32 v93, v94
	v_not_b32_e32 v94, v95
	v_lshlrev_b32_e32 v176, 24, v92
	v_cmp_gt_i32_e64 s17, 0, v95
	v_cmp_gt_i32_e64 s18, 0, v96
	v_not_b32_e32 v95, v96
	v_cmp_gt_i32_e64 s19, 0, v97
	v_not_b32_e32 v96, v97
	v_not_b32_e32 v97, v175
	v_dual_ashrrev_i32 v93, 31, v93 :: v_dual_ashrrev_i32 v94, 31, v94
	v_xor_b32_e32 v91, s15, v91
	v_not_b32_e32 v177, v176
	v_dual_ashrrev_i32 v95, 31, v95 :: v_dual_ashrrev_i32 v96, 31, v96
	s_delay_alu instid0(VALU_DEP_4) | instskip(SKIP_2) | instid1(VALU_DEP_4)
	v_xor_b32_e32 v93, s16, v93
	v_xor_b32_e32 v94, s17, v94
	v_bitop3_b32 v90, v90, v91, exec_lo bitop3:0x80
	v_xor_b32_e32 v95, s18, v95
	v_xor_b32_e32 v91, s19, v96
	v_cmp_gt_i32_e32 vcc_lo, 0, v175
	v_ashrrev_i32_e32 v96, 31, v97
	v_cmp_gt_i32_e64 s15, 0, v176
	v_ashrrev_i32_e32 v97, 31, v177
	v_bitop3_b32 v90, v90, v94, v93 bitop3:0x80
	v_mad_u32_u24 v93, v92, 36, v148
	v_xor_b32_e32 v94, vcc_lo, v96
	s_delay_alu instid0(VALU_DEP_4) | instskip(NEXT) | instid1(VALU_DEP_4)
	v_xor_b32_e32 v96, s15, v97
	v_bitop3_b32 v90, v90, v91, v95 bitop3:0x80
	ds_load_b32 v175, v93 offset:1056
	v_mul_u32_u24_e32 v91, 36, v92
	; wave barrier
	v_bitop3_b32 v90, v90, v96, v94 bitop3:0x80
	s_delay_alu instid0(VALU_DEP_2) | instskip(NEXT) | instid1(VALU_DEP_2)
	v_add_nc_u32_e32 v177, v148, v91
	v_mbcnt_lo_u32_b32 v176, v90, 0
	v_cmp_ne_u32_e64 s15, 0, v90
	s_delay_alu instid0(VALU_DEP_2) | instskip(SKIP_1) | instid1(SALU_CYCLE_1)
	v_cmp_eq_u32_e32 vcc_lo, 0, v176
	s_and_b32 s16, s15, vcc_lo
	s_and_saveexec_b32 s15, s16
	s_cbranch_execz .LBB804_724
; %bb.723:                              ;   in Loop: Header=BB804_682 Depth=2
	s_wait_dscnt 0x0
	v_bcnt_u32_b32 v90, v90, v175
	ds_store_b32 v177, v90 offset:1056
.LBB804_724:                            ;   in Loop: Header=BB804_682 Depth=2
	s_or_b32 exec_lo, exec_lo, s15
	v_xor_b32_e32 v63, 0x80000000, v63
	; wave barrier
	s_delay_alu instid0(VALU_DEP_1) | instskip(NEXT) | instid1(VALU_DEP_1)
	v_lshrrev_b64 v[90:91], s43, v[62:63]
	v_bitop3_b32 v91, v90, 1, s55 bitop3:0x80
	v_and_b32_e32 v92, s55, v90
	s_delay_alu instid0(VALU_DEP_2) | instskip(NEXT) | instid1(VALU_DEP_1)
	v_add_co_u32 v90, s15, v91, -1
	v_cndmask_b32_e64 v91, 0, 1, s15
	s_delay_alu instid0(VALU_DEP_3) | instskip(NEXT) | instid1(VALU_DEP_2)
	v_lshlrev_b32_e32 v93, 30, v92
	v_cmp_ne_u32_e32 vcc_lo, 0, v91
	s_delay_alu instid0(VALU_DEP_2) | instskip(NEXT) | instid1(VALU_DEP_1)
	v_not_b32_e32 v91, v93
	v_dual_ashrrev_i32 v91, 31, v91 :: v_dual_bitop2_b32 v90, vcc_lo, v90 bitop3:0x14
	v_dual_lshlrev_b32 v94, 29, v92 :: v_dual_lshlrev_b32 v95, 28, v92
	v_dual_lshlrev_b32 v96, 27, v92 :: v_dual_lshlrev_b32 v97, 26, v92
	v_lshlrev_b32_e32 v178, 25, v92
	v_cmp_gt_i32_e64 s15, 0, v93
	s_delay_alu instid0(VALU_DEP_4)
	v_cmp_gt_i32_e64 s16, 0, v94
	v_not_b32_e32 v93, v94
	v_not_b32_e32 v94, v95
	v_lshlrev_b32_e32 v179, 24, v92
	v_cmp_gt_i32_e64 s17, 0, v95
	v_cmp_gt_i32_e64 s18, 0, v96
	v_not_b32_e32 v95, v96
	v_cmp_gt_i32_e64 s19, 0, v97
	v_not_b32_e32 v96, v97
	v_not_b32_e32 v97, v178
	v_dual_ashrrev_i32 v93, 31, v93 :: v_dual_ashrrev_i32 v94, 31, v94
	v_xor_b32_e32 v91, s15, v91
	v_not_b32_e32 v180, v179
	v_dual_ashrrev_i32 v95, 31, v95 :: v_dual_ashrrev_i32 v96, 31, v96
	s_delay_alu instid0(VALU_DEP_4) | instskip(SKIP_2) | instid1(VALU_DEP_4)
	v_xor_b32_e32 v93, s16, v93
	v_xor_b32_e32 v94, s17, v94
	v_bitop3_b32 v90, v90, v91, exec_lo bitop3:0x80
	v_xor_b32_e32 v95, s18, v95
	v_xor_b32_e32 v91, s19, v96
	v_cmp_gt_i32_e32 vcc_lo, 0, v178
	v_ashrrev_i32_e32 v96, 31, v97
	v_cmp_gt_i32_e64 s15, 0, v179
	v_ashrrev_i32_e32 v97, 31, v180
	v_bitop3_b32 v90, v90, v94, v93 bitop3:0x80
	v_mad_u32_u24 v93, v92, 36, v148
	v_xor_b32_e32 v94, vcc_lo, v96
	s_delay_alu instid0(VALU_DEP_4) | instskip(NEXT) | instid1(VALU_DEP_4)
	v_xor_b32_e32 v96, s15, v97
	v_bitop3_b32 v90, v90, v91, v95 bitop3:0x80
	ds_load_b32 v178, v93 offset:1056
	v_mul_u32_u24_e32 v91, 36, v92
	; wave barrier
	v_bitop3_b32 v90, v90, v96, v94 bitop3:0x80
	s_delay_alu instid0(VALU_DEP_2) | instskip(NEXT) | instid1(VALU_DEP_2)
	v_add_nc_u32_e32 v180, v148, v91
	v_mbcnt_lo_u32_b32 v179, v90, 0
	v_cmp_ne_u32_e64 s15, 0, v90
	s_delay_alu instid0(VALU_DEP_2) | instskip(SKIP_1) | instid1(SALU_CYCLE_1)
	v_cmp_eq_u32_e32 vcc_lo, 0, v179
	s_and_b32 s16, s15, vcc_lo
	s_and_saveexec_b32 s15, s16
	s_cbranch_execz .LBB804_726
; %bb.725:                              ;   in Loop: Header=BB804_682 Depth=2
	s_wait_dscnt 0x0
	v_bcnt_u32_b32 v90, v90, v178
	ds_store_b32 v180, v90 offset:1056
.LBB804_726:                            ;   in Loop: Header=BB804_682 Depth=2
	s_or_b32 exec_lo, exec_lo, s15
	v_xor_b32_e32 v69, 0x80000000, v69
	; wave barrier
	s_delay_alu instid0(VALU_DEP_1) | instskip(NEXT) | instid1(VALU_DEP_1)
	v_lshrrev_b64 v[90:91], s43, v[68:69]
	v_bitop3_b32 v91, v90, 1, s55 bitop3:0x80
	v_and_b32_e32 v92, s55, v90
	s_delay_alu instid0(VALU_DEP_2) | instskip(NEXT) | instid1(VALU_DEP_1)
	v_add_co_u32 v90, s15, v91, -1
	v_cndmask_b32_e64 v91, 0, 1, s15
	s_delay_alu instid0(VALU_DEP_3) | instskip(NEXT) | instid1(VALU_DEP_2)
	v_lshlrev_b32_e32 v93, 30, v92
	v_cmp_ne_u32_e32 vcc_lo, 0, v91
	s_delay_alu instid0(VALU_DEP_2) | instskip(NEXT) | instid1(VALU_DEP_1)
	v_not_b32_e32 v91, v93
	v_dual_ashrrev_i32 v91, 31, v91 :: v_dual_bitop2_b32 v90, vcc_lo, v90 bitop3:0x14
	v_dual_lshlrev_b32 v94, 29, v92 :: v_dual_lshlrev_b32 v95, 28, v92
	v_dual_lshlrev_b32 v96, 27, v92 :: v_dual_lshlrev_b32 v97, 26, v92
	v_lshlrev_b32_e32 v181, 25, v92
	v_cmp_gt_i32_e64 s15, 0, v93
	s_delay_alu instid0(VALU_DEP_4)
	v_cmp_gt_i32_e64 s16, 0, v94
	v_not_b32_e32 v93, v94
	v_not_b32_e32 v94, v95
	v_lshlrev_b32_e32 v182, 24, v92
	v_cmp_gt_i32_e64 s17, 0, v95
	v_cmp_gt_i32_e64 s18, 0, v96
	v_not_b32_e32 v95, v96
	v_cmp_gt_i32_e64 s19, 0, v97
	v_not_b32_e32 v96, v97
	v_not_b32_e32 v97, v181
	v_dual_ashrrev_i32 v93, 31, v93 :: v_dual_ashrrev_i32 v94, 31, v94
	v_xor_b32_e32 v91, s15, v91
	v_not_b32_e32 v183, v182
	v_dual_ashrrev_i32 v95, 31, v95 :: v_dual_ashrrev_i32 v96, 31, v96
	s_delay_alu instid0(VALU_DEP_4) | instskip(SKIP_2) | instid1(VALU_DEP_4)
	v_xor_b32_e32 v93, s16, v93
	v_xor_b32_e32 v94, s17, v94
	v_bitop3_b32 v90, v90, v91, exec_lo bitop3:0x80
	v_xor_b32_e32 v95, s18, v95
	v_xor_b32_e32 v91, s19, v96
	v_cmp_gt_i32_e32 vcc_lo, 0, v181
	v_ashrrev_i32_e32 v96, 31, v97
	v_cmp_gt_i32_e64 s15, 0, v182
	v_ashrrev_i32_e32 v97, 31, v183
	v_bitop3_b32 v90, v90, v94, v93 bitop3:0x80
	v_mad_u32_u24 v93, v92, 36, v148
	v_xor_b32_e32 v94, vcc_lo, v96
	s_delay_alu instid0(VALU_DEP_4) | instskip(NEXT) | instid1(VALU_DEP_4)
	v_xor_b32_e32 v96, s15, v97
	v_bitop3_b32 v90, v90, v91, v95 bitop3:0x80
	ds_load_b32 v181, v93 offset:1056
	v_mul_u32_u24_e32 v91, 36, v92
	; wave barrier
	v_bitop3_b32 v90, v90, v96, v94 bitop3:0x80
	s_delay_alu instid0(VALU_DEP_2) | instskip(NEXT) | instid1(VALU_DEP_2)
	v_add_nc_u32_e32 v183, v148, v91
	v_mbcnt_lo_u32_b32 v182, v90, 0
	v_cmp_ne_u32_e64 s15, 0, v90
	s_delay_alu instid0(VALU_DEP_2) | instskip(SKIP_1) | instid1(SALU_CYCLE_1)
	v_cmp_eq_u32_e32 vcc_lo, 0, v182
	s_and_b32 s16, s15, vcc_lo
	s_and_saveexec_b32 s15, s16
	s_cbranch_execz .LBB804_728
; %bb.727:                              ;   in Loop: Header=BB804_682 Depth=2
	s_wait_dscnt 0x0
	v_bcnt_u32_b32 v90, v90, v181
	ds_store_b32 v183, v90 offset:1056
.LBB804_728:                            ;   in Loop: Header=BB804_682 Depth=2
	s_or_b32 exec_lo, exec_lo, s15
	v_xor_b32_e32 v67, 0x80000000, v67
	; wave barrier
	s_delay_alu instid0(VALU_DEP_1) | instskip(NEXT) | instid1(VALU_DEP_1)
	v_lshrrev_b64 v[90:91], s43, v[66:67]
	v_bitop3_b32 v91, v90, 1, s55 bitop3:0x80
	v_and_b32_e32 v92, s55, v90
	s_delay_alu instid0(VALU_DEP_2) | instskip(NEXT) | instid1(VALU_DEP_1)
	v_add_co_u32 v90, s15, v91, -1
	v_cndmask_b32_e64 v91, 0, 1, s15
	s_delay_alu instid0(VALU_DEP_3) | instskip(NEXT) | instid1(VALU_DEP_2)
	v_lshlrev_b32_e32 v93, 30, v92
	v_cmp_ne_u32_e32 vcc_lo, 0, v91
	s_delay_alu instid0(VALU_DEP_2) | instskip(NEXT) | instid1(VALU_DEP_1)
	v_not_b32_e32 v91, v93
	v_dual_ashrrev_i32 v91, 31, v91 :: v_dual_bitop2_b32 v90, vcc_lo, v90 bitop3:0x14
	v_dual_lshlrev_b32 v94, 29, v92 :: v_dual_lshlrev_b32 v95, 28, v92
	v_dual_lshlrev_b32 v96, 27, v92 :: v_dual_lshlrev_b32 v97, 26, v92
	v_lshlrev_b32_e32 v184, 25, v92
	v_cmp_gt_i32_e64 s15, 0, v93
	s_delay_alu instid0(VALU_DEP_4)
	v_cmp_gt_i32_e64 s16, 0, v94
	v_not_b32_e32 v93, v94
	v_not_b32_e32 v94, v95
	v_lshlrev_b32_e32 v185, 24, v92
	v_cmp_gt_i32_e64 s17, 0, v95
	v_cmp_gt_i32_e64 s18, 0, v96
	v_not_b32_e32 v95, v96
	v_cmp_gt_i32_e64 s19, 0, v97
	v_not_b32_e32 v96, v97
	v_not_b32_e32 v97, v184
	v_dual_ashrrev_i32 v93, 31, v93 :: v_dual_ashrrev_i32 v94, 31, v94
	v_xor_b32_e32 v91, s15, v91
	v_not_b32_e32 v186, v185
	v_dual_ashrrev_i32 v95, 31, v95 :: v_dual_ashrrev_i32 v96, 31, v96
	s_delay_alu instid0(VALU_DEP_4) | instskip(SKIP_2) | instid1(VALU_DEP_4)
	v_xor_b32_e32 v93, s16, v93
	v_xor_b32_e32 v94, s17, v94
	v_bitop3_b32 v90, v90, v91, exec_lo bitop3:0x80
	v_xor_b32_e32 v95, s18, v95
	v_xor_b32_e32 v91, s19, v96
	v_cmp_gt_i32_e32 vcc_lo, 0, v184
	v_ashrrev_i32_e32 v96, 31, v97
	v_cmp_gt_i32_e64 s15, 0, v185
	v_ashrrev_i32_e32 v97, 31, v186
	v_bitop3_b32 v90, v90, v94, v93 bitop3:0x80
	v_mad_u32_u24 v93, v92, 36, v148
	v_xor_b32_e32 v94, vcc_lo, v96
	s_delay_alu instid0(VALU_DEP_4) | instskip(NEXT) | instid1(VALU_DEP_4)
	v_xor_b32_e32 v96, s15, v97
	v_bitop3_b32 v90, v90, v91, v95 bitop3:0x80
	ds_load_b32 v184, v93 offset:1056
	v_mul_u32_u24_e32 v91, 36, v92
	; wave barrier
	v_bitop3_b32 v90, v90, v96, v94 bitop3:0x80
	s_delay_alu instid0(VALU_DEP_2) | instskip(NEXT) | instid1(VALU_DEP_2)
	v_add_nc_u32_e32 v186, v148, v91
	v_mbcnt_lo_u32_b32 v185, v90, 0
	v_cmp_ne_u32_e64 s15, 0, v90
	s_delay_alu instid0(VALU_DEP_2) | instskip(SKIP_1) | instid1(SALU_CYCLE_1)
	v_cmp_eq_u32_e32 vcc_lo, 0, v185
	s_and_b32 s16, s15, vcc_lo
	s_and_saveexec_b32 s15, s16
	s_cbranch_execz .LBB804_730
; %bb.729:                              ;   in Loop: Header=BB804_682 Depth=2
	s_wait_dscnt 0x0
	v_bcnt_u32_b32 v90, v90, v184
	ds_store_b32 v186, v90 offset:1056
.LBB804_730:                            ;   in Loop: Header=BB804_682 Depth=2
	s_or_b32 exec_lo, exec_lo, s15
	v_xor_b32_e32 v73, 0x80000000, v73
	; wave barrier
	s_delay_alu instid0(VALU_DEP_1) | instskip(NEXT) | instid1(VALU_DEP_1)
	v_lshrrev_b64 v[90:91], s43, v[72:73]
	v_bitop3_b32 v91, v90, 1, s55 bitop3:0x80
	v_and_b32_e32 v92, s55, v90
	s_delay_alu instid0(VALU_DEP_2) | instskip(NEXT) | instid1(VALU_DEP_1)
	v_add_co_u32 v90, s15, v91, -1
	v_cndmask_b32_e64 v91, 0, 1, s15
	s_delay_alu instid0(VALU_DEP_3) | instskip(NEXT) | instid1(VALU_DEP_2)
	v_lshlrev_b32_e32 v93, 30, v92
	v_cmp_ne_u32_e32 vcc_lo, 0, v91
	s_delay_alu instid0(VALU_DEP_2) | instskip(NEXT) | instid1(VALU_DEP_1)
	v_not_b32_e32 v91, v93
	v_dual_ashrrev_i32 v91, 31, v91 :: v_dual_bitop2_b32 v90, vcc_lo, v90 bitop3:0x14
	v_dual_lshlrev_b32 v94, 29, v92 :: v_dual_lshlrev_b32 v95, 28, v92
	v_dual_lshlrev_b32 v96, 27, v92 :: v_dual_lshlrev_b32 v97, 26, v92
	v_lshlrev_b32_e32 v187, 25, v92
	v_cmp_gt_i32_e64 s15, 0, v93
	s_delay_alu instid0(VALU_DEP_4)
	v_cmp_gt_i32_e64 s16, 0, v94
	v_not_b32_e32 v93, v94
	v_not_b32_e32 v94, v95
	v_lshlrev_b32_e32 v188, 24, v92
	v_cmp_gt_i32_e64 s17, 0, v95
	v_cmp_gt_i32_e64 s18, 0, v96
	v_not_b32_e32 v95, v96
	v_cmp_gt_i32_e64 s19, 0, v97
	v_not_b32_e32 v96, v97
	v_not_b32_e32 v97, v187
	v_dual_ashrrev_i32 v93, 31, v93 :: v_dual_ashrrev_i32 v94, 31, v94
	v_xor_b32_e32 v91, s15, v91
	v_not_b32_e32 v189, v188
	v_dual_ashrrev_i32 v95, 31, v95 :: v_dual_ashrrev_i32 v96, 31, v96
	s_delay_alu instid0(VALU_DEP_4) | instskip(SKIP_2) | instid1(VALU_DEP_4)
	v_xor_b32_e32 v93, s16, v93
	v_xor_b32_e32 v94, s17, v94
	v_bitop3_b32 v90, v90, v91, exec_lo bitop3:0x80
	v_xor_b32_e32 v95, s18, v95
	v_xor_b32_e32 v91, s19, v96
	v_cmp_gt_i32_e32 vcc_lo, 0, v187
	v_ashrrev_i32_e32 v96, 31, v97
	v_cmp_gt_i32_e64 s15, 0, v188
	v_ashrrev_i32_e32 v97, 31, v189
	v_bitop3_b32 v90, v90, v94, v93 bitop3:0x80
	v_mad_u32_u24 v93, v92, 36, v148
	v_xor_b32_e32 v94, vcc_lo, v96
	s_delay_alu instid0(VALU_DEP_4) | instskip(NEXT) | instid1(VALU_DEP_4)
	v_xor_b32_e32 v96, s15, v97
	v_bitop3_b32 v90, v90, v91, v95 bitop3:0x80
	ds_load_b32 v187, v93 offset:1056
	v_mul_u32_u24_e32 v91, 36, v92
	; wave barrier
	v_bitop3_b32 v90, v90, v96, v94 bitop3:0x80
	s_delay_alu instid0(VALU_DEP_2) | instskip(NEXT) | instid1(VALU_DEP_2)
	v_add_nc_u32_e32 v189, v148, v91
	v_mbcnt_lo_u32_b32 v188, v90, 0
	v_cmp_ne_u32_e64 s15, 0, v90
	s_delay_alu instid0(VALU_DEP_2) | instskip(SKIP_1) | instid1(SALU_CYCLE_1)
	v_cmp_eq_u32_e32 vcc_lo, 0, v188
	s_and_b32 s16, s15, vcc_lo
	s_and_saveexec_b32 s15, s16
	s_cbranch_execz .LBB804_732
; %bb.731:                              ;   in Loop: Header=BB804_682 Depth=2
	s_wait_dscnt 0x0
	v_bcnt_u32_b32 v90, v90, v187
	ds_store_b32 v189, v90 offset:1056
.LBB804_732:                            ;   in Loop: Header=BB804_682 Depth=2
	s_or_b32 exec_lo, exec_lo, s15
	v_xor_b32_e32 v71, 0x80000000, v71
	; wave barrier
	s_delay_alu instid0(VALU_DEP_1) | instskip(NEXT) | instid1(VALU_DEP_1)
	v_lshrrev_b64 v[90:91], s43, v[70:71]
	v_bitop3_b32 v91, v90, 1, s55 bitop3:0x80
	v_and_b32_e32 v92, s55, v90
	s_delay_alu instid0(VALU_DEP_2) | instskip(NEXT) | instid1(VALU_DEP_1)
	v_add_co_u32 v90, s15, v91, -1
	v_cndmask_b32_e64 v91, 0, 1, s15
	s_delay_alu instid0(VALU_DEP_3) | instskip(NEXT) | instid1(VALU_DEP_2)
	v_lshlrev_b32_e32 v93, 30, v92
	v_cmp_ne_u32_e32 vcc_lo, 0, v91
	s_delay_alu instid0(VALU_DEP_2) | instskip(NEXT) | instid1(VALU_DEP_1)
	v_not_b32_e32 v91, v93
	v_dual_ashrrev_i32 v91, 31, v91 :: v_dual_bitop2_b32 v90, vcc_lo, v90 bitop3:0x14
	v_dual_lshlrev_b32 v94, 29, v92 :: v_dual_lshlrev_b32 v95, 28, v92
	v_dual_lshlrev_b32 v96, 27, v92 :: v_dual_lshlrev_b32 v97, 26, v92
	v_lshlrev_b32_e32 v190, 25, v92
	v_cmp_gt_i32_e64 s15, 0, v93
	s_delay_alu instid0(VALU_DEP_4)
	v_cmp_gt_i32_e64 s16, 0, v94
	v_not_b32_e32 v93, v94
	v_not_b32_e32 v94, v95
	v_lshlrev_b32_e32 v191, 24, v92
	v_cmp_gt_i32_e64 s17, 0, v95
	v_cmp_gt_i32_e64 s18, 0, v96
	v_not_b32_e32 v95, v96
	v_cmp_gt_i32_e64 s19, 0, v97
	v_not_b32_e32 v96, v97
	v_not_b32_e32 v97, v190
	v_dual_ashrrev_i32 v93, 31, v93 :: v_dual_ashrrev_i32 v94, 31, v94
	v_xor_b32_e32 v91, s15, v91
	v_not_b32_e32 v192, v191
	v_dual_ashrrev_i32 v95, 31, v95 :: v_dual_ashrrev_i32 v96, 31, v96
	s_delay_alu instid0(VALU_DEP_4) | instskip(SKIP_2) | instid1(VALU_DEP_4)
	v_xor_b32_e32 v93, s16, v93
	v_xor_b32_e32 v94, s17, v94
	v_bitop3_b32 v90, v90, v91, exec_lo bitop3:0x80
	v_xor_b32_e32 v95, s18, v95
	v_xor_b32_e32 v91, s19, v96
	v_cmp_gt_i32_e32 vcc_lo, 0, v190
	v_ashrrev_i32_e32 v96, 31, v97
	v_cmp_gt_i32_e64 s15, 0, v191
	v_ashrrev_i32_e32 v97, 31, v192
	v_bitop3_b32 v90, v90, v94, v93 bitop3:0x80
	v_mad_u32_u24 v93, v92, 36, v148
	v_xor_b32_e32 v94, vcc_lo, v96
	s_delay_alu instid0(VALU_DEP_4) | instskip(NEXT) | instid1(VALU_DEP_4)
	v_xor_b32_e32 v96, s15, v97
	v_bitop3_b32 v90, v90, v91, v95 bitop3:0x80
	ds_load_b32 v190, v93 offset:1056
	v_mul_u32_u24_e32 v91, 36, v92
	; wave barrier
	v_bitop3_b32 v90, v90, v96, v94 bitop3:0x80
	s_delay_alu instid0(VALU_DEP_2) | instskip(NEXT) | instid1(VALU_DEP_2)
	v_add_nc_u32_e32 v192, v148, v91
	v_mbcnt_lo_u32_b32 v191, v90, 0
	v_cmp_ne_u32_e64 s15, 0, v90
	s_delay_alu instid0(VALU_DEP_2) | instskip(SKIP_1) | instid1(SALU_CYCLE_1)
	v_cmp_eq_u32_e32 vcc_lo, 0, v191
	s_and_b32 s16, s15, vcc_lo
	s_and_saveexec_b32 s15, s16
	s_cbranch_execz .LBB804_734
; %bb.733:                              ;   in Loop: Header=BB804_682 Depth=2
	s_wait_dscnt 0x0
	v_bcnt_u32_b32 v90, v90, v190
	ds_store_b32 v192, v90 offset:1056
.LBB804_734:                            ;   in Loop: Header=BB804_682 Depth=2
	s_or_b32 exec_lo, exec_lo, s15
	v_xor_b32_e32 v77, 0x80000000, v77
	; wave barrier
	s_delay_alu instid0(VALU_DEP_1) | instskip(NEXT) | instid1(VALU_DEP_1)
	v_lshrrev_b64 v[90:91], s43, v[76:77]
	v_bitop3_b32 v91, v90, 1, s55 bitop3:0x80
	v_and_b32_e32 v92, s55, v90
	s_delay_alu instid0(VALU_DEP_2) | instskip(NEXT) | instid1(VALU_DEP_1)
	v_add_co_u32 v90, s15, v91, -1
	v_cndmask_b32_e64 v91, 0, 1, s15
	s_delay_alu instid0(VALU_DEP_3) | instskip(NEXT) | instid1(VALU_DEP_2)
	v_lshlrev_b32_e32 v93, 30, v92
	v_cmp_ne_u32_e32 vcc_lo, 0, v91
	s_delay_alu instid0(VALU_DEP_2) | instskip(NEXT) | instid1(VALU_DEP_1)
	v_not_b32_e32 v91, v93
	v_dual_ashrrev_i32 v91, 31, v91 :: v_dual_bitop2_b32 v90, vcc_lo, v90 bitop3:0x14
	v_dual_lshlrev_b32 v94, 29, v92 :: v_dual_lshlrev_b32 v95, 28, v92
	v_dual_lshlrev_b32 v96, 27, v92 :: v_dual_lshlrev_b32 v97, 26, v92
	v_lshlrev_b32_e32 v193, 25, v92
	v_cmp_gt_i32_e64 s15, 0, v93
	s_delay_alu instid0(VALU_DEP_4)
	v_cmp_gt_i32_e64 s16, 0, v94
	v_not_b32_e32 v93, v94
	v_not_b32_e32 v94, v95
	v_lshlrev_b32_e32 v194, 24, v92
	v_cmp_gt_i32_e64 s17, 0, v95
	v_cmp_gt_i32_e64 s18, 0, v96
	v_not_b32_e32 v95, v96
	v_cmp_gt_i32_e64 s19, 0, v97
	v_not_b32_e32 v96, v97
	v_not_b32_e32 v97, v193
	v_dual_ashrrev_i32 v93, 31, v93 :: v_dual_ashrrev_i32 v94, 31, v94
	v_xor_b32_e32 v91, s15, v91
	v_not_b32_e32 v195, v194
	v_dual_ashrrev_i32 v95, 31, v95 :: v_dual_ashrrev_i32 v96, 31, v96
	s_delay_alu instid0(VALU_DEP_4) | instskip(SKIP_2) | instid1(VALU_DEP_4)
	v_xor_b32_e32 v93, s16, v93
	v_xor_b32_e32 v94, s17, v94
	v_bitop3_b32 v90, v90, v91, exec_lo bitop3:0x80
	v_xor_b32_e32 v95, s18, v95
	v_xor_b32_e32 v91, s19, v96
	v_cmp_gt_i32_e32 vcc_lo, 0, v193
	v_ashrrev_i32_e32 v96, 31, v97
	v_cmp_gt_i32_e64 s15, 0, v194
	v_ashrrev_i32_e32 v97, 31, v195
	v_bitop3_b32 v90, v90, v94, v93 bitop3:0x80
	v_mad_u32_u24 v93, v92, 36, v148
	v_xor_b32_e32 v94, vcc_lo, v96
	s_delay_alu instid0(VALU_DEP_4) | instskip(NEXT) | instid1(VALU_DEP_4)
	v_xor_b32_e32 v96, s15, v97
	v_bitop3_b32 v90, v90, v91, v95 bitop3:0x80
	ds_load_b32 v193, v93 offset:1056
	v_mul_u32_u24_e32 v91, 36, v92
	; wave barrier
	v_bitop3_b32 v90, v90, v96, v94 bitop3:0x80
	s_delay_alu instid0(VALU_DEP_2) | instskip(NEXT) | instid1(VALU_DEP_2)
	v_add_nc_u32_e32 v195, v148, v91
	v_mbcnt_lo_u32_b32 v194, v90, 0
	v_cmp_ne_u32_e64 s15, 0, v90
	s_delay_alu instid0(VALU_DEP_2) | instskip(SKIP_1) | instid1(SALU_CYCLE_1)
	v_cmp_eq_u32_e32 vcc_lo, 0, v194
	s_and_b32 s16, s15, vcc_lo
	s_and_saveexec_b32 s15, s16
	s_cbranch_execz .LBB804_736
; %bb.735:                              ;   in Loop: Header=BB804_682 Depth=2
	s_wait_dscnt 0x0
	v_bcnt_u32_b32 v90, v90, v193
	ds_store_b32 v195, v90 offset:1056
.LBB804_736:                            ;   in Loop: Header=BB804_682 Depth=2
	s_or_b32 exec_lo, exec_lo, s15
	v_xor_b32_e32 v75, 0x80000000, v75
	; wave barrier
	s_delay_alu instid0(VALU_DEP_1) | instskip(NEXT) | instid1(VALU_DEP_1)
	v_lshrrev_b64 v[90:91], s43, v[74:75]
	v_bitop3_b32 v91, v90, 1, s55 bitop3:0x80
	v_and_b32_e32 v92, s55, v90
	s_delay_alu instid0(VALU_DEP_2) | instskip(NEXT) | instid1(VALU_DEP_1)
	v_add_co_u32 v90, s15, v91, -1
	v_cndmask_b32_e64 v91, 0, 1, s15
	s_delay_alu instid0(VALU_DEP_3) | instskip(NEXT) | instid1(VALU_DEP_2)
	v_lshlrev_b32_e32 v93, 30, v92
	v_cmp_ne_u32_e32 vcc_lo, 0, v91
	s_delay_alu instid0(VALU_DEP_2) | instskip(NEXT) | instid1(VALU_DEP_1)
	v_not_b32_e32 v91, v93
	v_dual_ashrrev_i32 v91, 31, v91 :: v_dual_bitop2_b32 v90, vcc_lo, v90 bitop3:0x14
	v_dual_lshlrev_b32 v94, 29, v92 :: v_dual_lshlrev_b32 v95, 28, v92
	v_dual_lshlrev_b32 v96, 27, v92 :: v_dual_lshlrev_b32 v97, 26, v92
	v_lshlrev_b32_e32 v196, 25, v92
	v_cmp_gt_i32_e64 s15, 0, v93
	s_delay_alu instid0(VALU_DEP_4)
	v_cmp_gt_i32_e64 s16, 0, v94
	v_not_b32_e32 v93, v94
	v_not_b32_e32 v94, v95
	v_lshlrev_b32_e32 v197, 24, v92
	v_cmp_gt_i32_e64 s17, 0, v95
	v_cmp_gt_i32_e64 s18, 0, v96
	v_not_b32_e32 v95, v96
	v_cmp_gt_i32_e64 s19, 0, v97
	v_not_b32_e32 v96, v97
	v_not_b32_e32 v97, v196
	v_dual_ashrrev_i32 v93, 31, v93 :: v_dual_ashrrev_i32 v94, 31, v94
	v_xor_b32_e32 v91, s15, v91
	v_not_b32_e32 v198, v197
	v_dual_ashrrev_i32 v95, 31, v95 :: v_dual_ashrrev_i32 v96, 31, v96
	s_delay_alu instid0(VALU_DEP_4) | instskip(SKIP_2) | instid1(VALU_DEP_4)
	v_xor_b32_e32 v93, s16, v93
	v_xor_b32_e32 v94, s17, v94
	v_bitop3_b32 v90, v90, v91, exec_lo bitop3:0x80
	v_xor_b32_e32 v95, s18, v95
	v_xor_b32_e32 v91, s19, v96
	v_cmp_gt_i32_e32 vcc_lo, 0, v196
	v_ashrrev_i32_e32 v96, 31, v97
	v_cmp_gt_i32_e64 s15, 0, v197
	v_ashrrev_i32_e32 v97, 31, v198
	v_bitop3_b32 v90, v90, v94, v93 bitop3:0x80
	v_mad_u32_u24 v93, v92, 36, v148
	v_xor_b32_e32 v94, vcc_lo, v96
	s_delay_alu instid0(VALU_DEP_4) | instskip(NEXT) | instid1(VALU_DEP_4)
	v_xor_b32_e32 v96, s15, v97
	v_bitop3_b32 v90, v90, v91, v95 bitop3:0x80
	ds_load_b32 v196, v93 offset:1056
	v_mul_u32_u24_e32 v91, 36, v92
	; wave barrier
	v_bitop3_b32 v90, v90, v96, v94 bitop3:0x80
	s_delay_alu instid0(VALU_DEP_2) | instskip(NEXT) | instid1(VALU_DEP_2)
	v_add_nc_u32_e32 v198, v148, v91
	v_mbcnt_lo_u32_b32 v197, v90, 0
	v_cmp_ne_u32_e64 s15, 0, v90
	s_delay_alu instid0(VALU_DEP_2) | instskip(SKIP_1) | instid1(SALU_CYCLE_1)
	v_cmp_eq_u32_e32 vcc_lo, 0, v197
	s_and_b32 s16, s15, vcc_lo
	s_and_saveexec_b32 s15, s16
	s_cbranch_execz .LBB804_738
; %bb.737:                              ;   in Loop: Header=BB804_682 Depth=2
	s_wait_dscnt 0x0
	v_bcnt_u32_b32 v90, v90, v196
	ds_store_b32 v198, v90 offset:1056
.LBB804_738:                            ;   in Loop: Header=BB804_682 Depth=2
	s_or_b32 exec_lo, exec_lo, s15
	v_xor_b32_e32 v81, 0x80000000, v81
	; wave barrier
	s_delay_alu instid0(VALU_DEP_1) | instskip(NEXT) | instid1(VALU_DEP_1)
	v_lshrrev_b64 v[90:91], s43, v[80:81]
	v_bitop3_b32 v91, v90, 1, s55 bitop3:0x80
	v_and_b32_e32 v92, s55, v90
	s_delay_alu instid0(VALU_DEP_2) | instskip(NEXT) | instid1(VALU_DEP_1)
	v_add_co_u32 v90, s15, v91, -1
	v_cndmask_b32_e64 v91, 0, 1, s15
	s_delay_alu instid0(VALU_DEP_3) | instskip(NEXT) | instid1(VALU_DEP_2)
	v_lshlrev_b32_e32 v93, 30, v92
	v_cmp_ne_u32_e32 vcc_lo, 0, v91
	s_delay_alu instid0(VALU_DEP_2) | instskip(NEXT) | instid1(VALU_DEP_1)
	v_not_b32_e32 v91, v93
	v_dual_ashrrev_i32 v91, 31, v91 :: v_dual_bitop2_b32 v90, vcc_lo, v90 bitop3:0x14
	v_dual_lshlrev_b32 v94, 29, v92 :: v_dual_lshlrev_b32 v95, 28, v92
	v_dual_lshlrev_b32 v96, 27, v92 :: v_dual_lshlrev_b32 v97, 26, v92
	v_lshlrev_b32_e32 v199, 25, v92
	v_cmp_gt_i32_e64 s15, 0, v93
	s_delay_alu instid0(VALU_DEP_4)
	v_cmp_gt_i32_e64 s16, 0, v94
	v_not_b32_e32 v93, v94
	v_not_b32_e32 v94, v95
	v_lshlrev_b32_e32 v200, 24, v92
	v_cmp_gt_i32_e64 s17, 0, v95
	v_cmp_gt_i32_e64 s18, 0, v96
	v_not_b32_e32 v95, v96
	v_cmp_gt_i32_e64 s19, 0, v97
	v_not_b32_e32 v96, v97
	v_not_b32_e32 v97, v199
	v_dual_ashrrev_i32 v93, 31, v93 :: v_dual_ashrrev_i32 v94, 31, v94
	v_xor_b32_e32 v91, s15, v91
	v_not_b32_e32 v201, v200
	v_dual_ashrrev_i32 v95, 31, v95 :: v_dual_ashrrev_i32 v96, 31, v96
	s_delay_alu instid0(VALU_DEP_4) | instskip(SKIP_2) | instid1(VALU_DEP_4)
	v_xor_b32_e32 v93, s16, v93
	v_xor_b32_e32 v94, s17, v94
	v_bitop3_b32 v90, v90, v91, exec_lo bitop3:0x80
	v_xor_b32_e32 v95, s18, v95
	v_xor_b32_e32 v91, s19, v96
	v_cmp_gt_i32_e32 vcc_lo, 0, v199
	v_ashrrev_i32_e32 v96, 31, v97
	v_cmp_gt_i32_e64 s15, 0, v200
	v_ashrrev_i32_e32 v97, 31, v201
	v_bitop3_b32 v90, v90, v94, v93 bitop3:0x80
	v_mad_u32_u24 v93, v92, 36, v148
	v_xor_b32_e32 v94, vcc_lo, v96
	s_delay_alu instid0(VALU_DEP_4) | instskip(NEXT) | instid1(VALU_DEP_4)
	v_xor_b32_e32 v96, s15, v97
	v_bitop3_b32 v90, v90, v91, v95 bitop3:0x80
	ds_load_b32 v199, v93 offset:1056
	v_mul_u32_u24_e32 v91, 36, v92
	; wave barrier
	v_bitop3_b32 v90, v90, v96, v94 bitop3:0x80
	s_delay_alu instid0(VALU_DEP_2) | instskip(NEXT) | instid1(VALU_DEP_2)
	v_add_nc_u32_e32 v202, v148, v91
	v_mbcnt_lo_u32_b32 v200, v90, 0
	v_cmp_ne_u32_e64 s15, 0, v90
	s_delay_alu instid0(VALU_DEP_2) | instskip(SKIP_1) | instid1(SALU_CYCLE_1)
	v_cmp_eq_u32_e32 vcc_lo, 0, v200
	s_and_b32 s16, s15, vcc_lo
	s_and_saveexec_b32 s15, s16
	s_cbranch_execz .LBB804_740
; %bb.739:                              ;   in Loop: Header=BB804_682 Depth=2
	s_wait_dscnt 0x0
	v_bcnt_u32_b32 v90, v90, v199
	ds_store_b32 v202, v90 offset:1056
.LBB804_740:                            ;   in Loop: Header=BB804_682 Depth=2
	s_or_b32 exec_lo, exec_lo, s15
	v_xor_b32_e32 v79, 0x80000000, v79
	; wave barrier
	s_delay_alu instid0(VALU_DEP_1) | instskip(NEXT) | instid1(VALU_DEP_1)
	v_lshrrev_b64 v[90:91], s43, v[78:79]
	v_bitop3_b32 v91, v90, 1, s55 bitop3:0x80
	v_and_b32_e32 v92, s55, v90
	s_delay_alu instid0(VALU_DEP_2) | instskip(NEXT) | instid1(VALU_DEP_1)
	v_add_co_u32 v90, s15, v91, -1
	v_cndmask_b32_e64 v91, 0, 1, s15
	s_delay_alu instid0(VALU_DEP_3) | instskip(NEXT) | instid1(VALU_DEP_2)
	v_lshlrev_b32_e32 v93, 30, v92
	v_cmp_ne_u32_e32 vcc_lo, 0, v91
	s_delay_alu instid0(VALU_DEP_2) | instskip(NEXT) | instid1(VALU_DEP_1)
	v_not_b32_e32 v91, v93
	v_dual_ashrrev_i32 v91, 31, v91 :: v_dual_bitop2_b32 v90, vcc_lo, v90 bitop3:0x14
	v_dual_lshlrev_b32 v94, 29, v92 :: v_dual_lshlrev_b32 v95, 28, v92
	v_dual_lshlrev_b32 v96, 27, v92 :: v_dual_lshlrev_b32 v97, 26, v92
	v_lshlrev_b32_e32 v201, 25, v92
	v_cmp_gt_i32_e64 s15, 0, v93
	s_delay_alu instid0(VALU_DEP_4)
	v_cmp_gt_i32_e64 s16, 0, v94
	v_not_b32_e32 v93, v94
	v_not_b32_e32 v94, v95
	v_lshlrev_b32_e32 v203, 24, v92
	v_cmp_gt_i32_e64 s17, 0, v95
	v_cmp_gt_i32_e64 s18, 0, v96
	v_not_b32_e32 v95, v96
	v_cmp_gt_i32_e64 s19, 0, v97
	v_not_b32_e32 v96, v97
	v_not_b32_e32 v97, v201
	v_dual_ashrrev_i32 v93, 31, v93 :: v_dual_ashrrev_i32 v94, 31, v94
	v_xor_b32_e32 v91, s15, v91
	v_not_b32_e32 v204, v203
	v_dual_ashrrev_i32 v95, 31, v95 :: v_dual_ashrrev_i32 v96, 31, v96
	s_delay_alu instid0(VALU_DEP_4) | instskip(SKIP_2) | instid1(VALU_DEP_4)
	v_xor_b32_e32 v93, s16, v93
	v_xor_b32_e32 v94, s17, v94
	v_bitop3_b32 v90, v90, v91, exec_lo bitop3:0x80
	v_xor_b32_e32 v95, s18, v95
	v_xor_b32_e32 v91, s19, v96
	v_cmp_gt_i32_e32 vcc_lo, 0, v201
	v_ashrrev_i32_e32 v96, 31, v97
	v_cmp_gt_i32_e64 s15, 0, v203
	v_ashrrev_i32_e32 v97, 31, v204
	v_bitop3_b32 v90, v90, v94, v93 bitop3:0x80
	v_mad_u32_u24 v93, v92, 36, v148
	v_xor_b32_e32 v94, vcc_lo, v96
	s_delay_alu instid0(VALU_DEP_4) | instskip(NEXT) | instid1(VALU_DEP_4)
	v_xor_b32_e32 v96, s15, v97
	v_bitop3_b32 v90, v90, v91, v95 bitop3:0x80
	ds_load_b32 v201, v93 offset:1056
	v_mul_u32_u24_e32 v91, 36, v92
	; wave barrier
	v_bitop3_b32 v90, v90, v96, v94 bitop3:0x80
	s_delay_alu instid0(VALU_DEP_2) | instskip(NEXT) | instid1(VALU_DEP_2)
	v_add_nc_u32_e32 v206, v148, v91
	v_mbcnt_lo_u32_b32 v203, v90, 0
	v_cmp_ne_u32_e64 s15, 0, v90
	s_delay_alu instid0(VALU_DEP_2) | instskip(SKIP_1) | instid1(SALU_CYCLE_1)
	v_cmp_eq_u32_e32 vcc_lo, 0, v203
	s_and_b32 s16, s15, vcc_lo
	s_and_saveexec_b32 s15, s16
	s_cbranch_execz .LBB804_742
; %bb.741:                              ;   in Loop: Header=BB804_682 Depth=2
	s_wait_dscnt 0x0
	v_bcnt_u32_b32 v90, v90, v201
	ds_store_b32 v206, v90 offset:1056
.LBB804_742:                            ;   in Loop: Header=BB804_682 Depth=2
	s_or_b32 exec_lo, exec_lo, s15
	v_xor_b32_e32 v85, 0x80000000, v85
	; wave barrier
	s_delay_alu instid0(VALU_DEP_1) | instskip(NEXT) | instid1(VALU_DEP_1)
	v_lshrrev_b64 v[90:91], s43, v[84:85]
	v_bitop3_b32 v91, v90, 1, s55 bitop3:0x80
	v_and_b32_e32 v92, s55, v90
	s_delay_alu instid0(VALU_DEP_2) | instskip(NEXT) | instid1(VALU_DEP_1)
	v_add_co_u32 v90, s15, v91, -1
	v_cndmask_b32_e64 v91, 0, 1, s15
	s_delay_alu instid0(VALU_DEP_3) | instskip(NEXT) | instid1(VALU_DEP_2)
	v_lshlrev_b32_e32 v93, 30, v92
	v_cmp_ne_u32_e32 vcc_lo, 0, v91
	s_delay_alu instid0(VALU_DEP_2) | instskip(NEXT) | instid1(VALU_DEP_1)
	v_not_b32_e32 v91, v93
	v_dual_ashrrev_i32 v91, 31, v91 :: v_dual_bitop2_b32 v90, vcc_lo, v90 bitop3:0x14
	v_dual_lshlrev_b32 v94, 29, v92 :: v_dual_lshlrev_b32 v95, 28, v92
	v_dual_lshlrev_b32 v96, 27, v92 :: v_dual_lshlrev_b32 v97, 26, v92
	v_lshlrev_b32_e32 v204, 25, v92
	v_cmp_gt_i32_e64 s15, 0, v93
	s_delay_alu instid0(VALU_DEP_4)
	v_cmp_gt_i32_e64 s16, 0, v94
	v_not_b32_e32 v93, v94
	v_not_b32_e32 v94, v95
	v_lshlrev_b32_e32 v205, 24, v92
	v_cmp_gt_i32_e64 s17, 0, v95
	v_cmp_gt_i32_e64 s18, 0, v96
	v_not_b32_e32 v95, v96
	v_cmp_gt_i32_e64 s19, 0, v97
	v_not_b32_e32 v96, v97
	v_not_b32_e32 v97, v204
	v_dual_ashrrev_i32 v93, 31, v93 :: v_dual_ashrrev_i32 v94, 31, v94
	v_xor_b32_e32 v91, s15, v91
	v_not_b32_e32 v207, v205
	v_dual_ashrrev_i32 v95, 31, v95 :: v_dual_ashrrev_i32 v96, 31, v96
	s_delay_alu instid0(VALU_DEP_4) | instskip(SKIP_2) | instid1(VALU_DEP_4)
	v_xor_b32_e32 v93, s16, v93
	v_xor_b32_e32 v94, s17, v94
	v_bitop3_b32 v90, v90, v91, exec_lo bitop3:0x80
	v_xor_b32_e32 v95, s18, v95
	v_xor_b32_e32 v91, s19, v96
	v_cmp_gt_i32_e32 vcc_lo, 0, v204
	v_ashrrev_i32_e32 v96, 31, v97
	v_cmp_gt_i32_e64 s15, 0, v205
	v_ashrrev_i32_e32 v97, 31, v207
	v_bitop3_b32 v90, v90, v94, v93 bitop3:0x80
	v_mad_u32_u24 v93, v92, 36, v148
	v_xor_b32_e32 v94, vcc_lo, v96
	s_delay_alu instid0(VALU_DEP_4) | instskip(NEXT) | instid1(VALU_DEP_4)
	v_xor_b32_e32 v96, s15, v97
	v_bitop3_b32 v90, v90, v91, v95 bitop3:0x80
	ds_load_b32 v204, v93 offset:1056
	v_mul_u32_u24_e32 v91, 36, v92
	; wave barrier
	v_bitop3_b32 v90, v90, v96, v94 bitop3:0x80
	s_delay_alu instid0(VALU_DEP_2) | instskip(NEXT) | instid1(VALU_DEP_2)
	v_add_nc_u32_e32 v209, v148, v91
	v_mbcnt_lo_u32_b32 v205, v90, 0
	v_cmp_ne_u32_e64 s15, 0, v90
	s_delay_alu instid0(VALU_DEP_2) | instskip(SKIP_1) | instid1(SALU_CYCLE_1)
	v_cmp_eq_u32_e32 vcc_lo, 0, v205
	s_and_b32 s16, s15, vcc_lo
	s_and_saveexec_b32 s15, s16
	s_cbranch_execz .LBB804_744
; %bb.743:                              ;   in Loop: Header=BB804_682 Depth=2
	s_wait_dscnt 0x0
	v_bcnt_u32_b32 v90, v90, v204
	ds_store_b32 v209, v90 offset:1056
.LBB804_744:                            ;   in Loop: Header=BB804_682 Depth=2
	s_or_b32 exec_lo, exec_lo, s15
	v_xor_b32_e32 v83, 0x80000000, v83
	; wave barrier
	s_delay_alu instid0(VALU_DEP_1) | instskip(NEXT) | instid1(VALU_DEP_1)
	v_lshrrev_b64 v[90:91], s43, v[82:83]
	v_bitop3_b32 v91, v90, 1, s55 bitop3:0x80
	v_and_b32_e32 v92, s55, v90
	s_delay_alu instid0(VALU_DEP_2) | instskip(NEXT) | instid1(VALU_DEP_1)
	v_add_co_u32 v90, s15, v91, -1
	v_cndmask_b32_e64 v91, 0, 1, s15
	s_delay_alu instid0(VALU_DEP_3) | instskip(NEXT) | instid1(VALU_DEP_2)
	v_lshlrev_b32_e32 v93, 30, v92
	v_cmp_ne_u32_e32 vcc_lo, 0, v91
	s_delay_alu instid0(VALU_DEP_2) | instskip(NEXT) | instid1(VALU_DEP_1)
	v_not_b32_e32 v91, v93
	v_dual_ashrrev_i32 v91, 31, v91 :: v_dual_bitop2_b32 v90, vcc_lo, v90 bitop3:0x14
	v_dual_lshlrev_b32 v94, 29, v92 :: v_dual_lshlrev_b32 v95, 28, v92
	v_dual_lshlrev_b32 v96, 27, v92 :: v_dual_lshlrev_b32 v97, 26, v92
	v_lshlrev_b32_e32 v207, 25, v92
	v_cmp_gt_i32_e64 s15, 0, v93
	s_delay_alu instid0(VALU_DEP_4)
	v_cmp_gt_i32_e64 s16, 0, v94
	v_not_b32_e32 v93, v94
	v_not_b32_e32 v94, v95
	v_lshlrev_b32_e32 v208, 24, v92
	v_cmp_gt_i32_e64 s17, 0, v95
	v_cmp_gt_i32_e64 s18, 0, v96
	v_not_b32_e32 v95, v96
	v_cmp_gt_i32_e64 s19, 0, v97
	v_not_b32_e32 v96, v97
	v_not_b32_e32 v97, v207
	v_dual_ashrrev_i32 v93, 31, v93 :: v_dual_ashrrev_i32 v94, 31, v94
	v_xor_b32_e32 v91, s15, v91
	v_not_b32_e32 v210, v208
	v_dual_ashrrev_i32 v95, 31, v95 :: v_dual_ashrrev_i32 v96, 31, v96
	s_delay_alu instid0(VALU_DEP_4) | instskip(SKIP_2) | instid1(VALU_DEP_4)
	v_xor_b32_e32 v93, s16, v93
	v_xor_b32_e32 v94, s17, v94
	v_bitop3_b32 v90, v90, v91, exec_lo bitop3:0x80
	v_xor_b32_e32 v95, s18, v95
	v_xor_b32_e32 v91, s19, v96
	v_cmp_gt_i32_e32 vcc_lo, 0, v207
	v_ashrrev_i32_e32 v96, 31, v97
	v_cmp_gt_i32_e64 s15, 0, v208
	v_ashrrev_i32_e32 v97, 31, v210
	v_bitop3_b32 v90, v90, v94, v93 bitop3:0x80
	v_mad_u32_u24 v93, v92, 36, v148
	v_xor_b32_e32 v94, vcc_lo, v96
	s_delay_alu instid0(VALU_DEP_4) | instskip(NEXT) | instid1(VALU_DEP_4)
	v_xor_b32_e32 v96, s15, v97
	v_bitop3_b32 v90, v90, v91, v95 bitop3:0x80
	ds_load_b32 v207, v93 offset:1056
	v_mul_u32_u24_e32 v91, 36, v92
	; wave barrier
	v_bitop3_b32 v90, v90, v96, v94 bitop3:0x80
	s_delay_alu instid0(VALU_DEP_2) | instskip(NEXT) | instid1(VALU_DEP_2)
	v_add_nc_u32_e32 v212, v148, v91
	v_mbcnt_lo_u32_b32 v208, v90, 0
	v_cmp_ne_u32_e64 s15, 0, v90
	s_delay_alu instid0(VALU_DEP_2) | instskip(SKIP_1) | instid1(SALU_CYCLE_1)
	v_cmp_eq_u32_e32 vcc_lo, 0, v208
	s_and_b32 s16, s15, vcc_lo
	s_and_saveexec_b32 s15, s16
	s_cbranch_execz .LBB804_746
; %bb.745:                              ;   in Loop: Header=BB804_682 Depth=2
	s_wait_dscnt 0x0
	v_bcnt_u32_b32 v90, v90, v207
	ds_store_b32 v212, v90 offset:1056
.LBB804_746:                            ;   in Loop: Header=BB804_682 Depth=2
	s_or_b32 exec_lo, exec_lo, s15
	v_xor_b32_e32 v87, 0x80000000, v87
	; wave barrier
	s_delay_alu instid0(VALU_DEP_1) | instskip(NEXT) | instid1(VALU_DEP_1)
	v_lshrrev_b64 v[90:91], s43, v[86:87]
	v_bitop3_b32 v91, v90, 1, s55 bitop3:0x80
	v_and_b32_e32 v92, s55, v90
	s_delay_alu instid0(VALU_DEP_2) | instskip(NEXT) | instid1(VALU_DEP_1)
	v_add_co_u32 v90, s15, v91, -1
	v_cndmask_b32_e64 v91, 0, 1, s15
	s_delay_alu instid0(VALU_DEP_3) | instskip(NEXT) | instid1(VALU_DEP_2)
	v_lshlrev_b32_e32 v93, 30, v92
	v_cmp_ne_u32_e32 vcc_lo, 0, v91
	s_delay_alu instid0(VALU_DEP_2) | instskip(NEXT) | instid1(VALU_DEP_1)
	v_not_b32_e32 v91, v93
	v_dual_ashrrev_i32 v91, 31, v91 :: v_dual_bitop2_b32 v90, vcc_lo, v90 bitop3:0x14
	v_dual_lshlrev_b32 v94, 29, v92 :: v_dual_lshlrev_b32 v95, 28, v92
	v_dual_lshlrev_b32 v96, 27, v92 :: v_dual_lshlrev_b32 v97, 26, v92
	v_lshlrev_b32_e32 v210, 25, v92
	v_cmp_gt_i32_e64 s15, 0, v93
	s_delay_alu instid0(VALU_DEP_4)
	v_cmp_gt_i32_e64 s16, 0, v94
	v_not_b32_e32 v93, v94
	v_not_b32_e32 v94, v95
	v_lshlrev_b32_e32 v211, 24, v92
	v_cmp_gt_i32_e64 s17, 0, v95
	v_cmp_gt_i32_e64 s18, 0, v96
	v_not_b32_e32 v95, v96
	v_cmp_gt_i32_e64 s19, 0, v97
	v_not_b32_e32 v96, v97
	v_not_b32_e32 v97, v210
	v_dual_ashrrev_i32 v93, 31, v93 :: v_dual_ashrrev_i32 v94, 31, v94
	v_xor_b32_e32 v91, s15, v91
	v_not_b32_e32 v213, v211
	v_dual_ashrrev_i32 v95, 31, v95 :: v_dual_ashrrev_i32 v96, 31, v96
	s_delay_alu instid0(VALU_DEP_4) | instskip(SKIP_2) | instid1(VALU_DEP_4)
	v_xor_b32_e32 v93, s16, v93
	v_xor_b32_e32 v94, s17, v94
	v_bitop3_b32 v90, v90, v91, exec_lo bitop3:0x80
	v_xor_b32_e32 v95, s18, v95
	v_xor_b32_e32 v91, s19, v96
	v_cmp_gt_i32_e32 vcc_lo, 0, v210
	v_ashrrev_i32_e32 v96, 31, v97
	v_cmp_gt_i32_e64 s15, 0, v211
	v_ashrrev_i32_e32 v97, 31, v213
	v_bitop3_b32 v90, v90, v94, v93 bitop3:0x80
	v_mad_u32_u24 v93, v92, 36, v148
	v_xor_b32_e32 v94, vcc_lo, v96
	s_delay_alu instid0(VALU_DEP_4) | instskip(NEXT) | instid1(VALU_DEP_4)
	v_xor_b32_e32 v96, s15, v97
	v_bitop3_b32 v90, v90, v91, v95 bitop3:0x80
	ds_load_b32 v210, v93 offset:1056
	v_mul_u32_u24_e32 v91, 36, v92
	; wave barrier
	v_bitop3_b32 v90, v90, v96, v94 bitop3:0x80
	s_delay_alu instid0(VALU_DEP_2) | instskip(NEXT) | instid1(VALU_DEP_2)
	v_add_nc_u32_e32 v215, v148, v91
	v_mbcnt_lo_u32_b32 v211, v90, 0
	v_cmp_ne_u32_e64 s15, 0, v90
	s_delay_alu instid0(VALU_DEP_2) | instskip(SKIP_1) | instid1(SALU_CYCLE_1)
	v_cmp_eq_u32_e32 vcc_lo, 0, v211
	s_and_b32 s16, s15, vcc_lo
	s_and_saveexec_b32 s15, s16
	s_cbranch_execz .LBB804_748
; %bb.747:                              ;   in Loop: Header=BB804_682 Depth=2
	s_wait_dscnt 0x0
	v_bcnt_u32_b32 v90, v90, v210
	ds_store_b32 v215, v90 offset:1056
.LBB804_748:                            ;   in Loop: Header=BB804_682 Depth=2
	s_or_b32 exec_lo, exec_lo, s15
	v_lshrrev_b64 v[90:91], s43, v[88:89]
	; wave barrier
	s_delay_alu instid0(VALU_DEP_1) | instskip(SKIP_1) | instid1(VALU_DEP_2)
	v_bitop3_b32 v91, v90, 1, s55 bitop3:0x80
	v_and_b32_e32 v92, s55, v90
	v_add_co_u32 v90, s15, v91, -1
	s_delay_alu instid0(VALU_DEP_1) | instskip(NEXT) | instid1(VALU_DEP_3)
	v_cndmask_b32_e64 v91, 0, 1, s15
	v_lshlrev_b32_e32 v93, 30, v92
	s_delay_alu instid0(VALU_DEP_2) | instskip(NEXT) | instid1(VALU_DEP_2)
	v_cmp_ne_u32_e32 vcc_lo, 0, v91
	v_not_b32_e32 v91, v93
	s_delay_alu instid0(VALU_DEP_1) | instskip(SKIP_4) | instid1(VALU_DEP_4)
	v_dual_ashrrev_i32 v91, 31, v91 :: v_dual_bitop2_b32 v90, vcc_lo, v90 bitop3:0x14
	v_dual_lshlrev_b32 v94, 29, v92 :: v_dual_lshlrev_b32 v95, 28, v92
	v_dual_lshlrev_b32 v96, 27, v92 :: v_dual_lshlrev_b32 v97, 26, v92
	v_lshlrev_b32_e32 v213, 25, v92
	v_cmp_gt_i32_e64 s15, 0, v93
	v_cmp_gt_i32_e64 s16, 0, v94
	v_not_b32_e32 v93, v94
	v_not_b32_e32 v94, v95
	v_lshlrev_b32_e32 v214, 24, v92
	v_cmp_gt_i32_e64 s17, 0, v95
	v_cmp_gt_i32_e64 s18, 0, v96
	v_not_b32_e32 v95, v96
	v_dual_ashrrev_i32 v93, 31, v93 :: v_dual_ashrrev_i32 v94, 31, v94
	v_xor_b32_e32 v91, s15, v91
	v_not_b32_e32 v96, v97
	v_cmp_gt_i32_e64 s19, 0, v97
	s_delay_alu instid0(VALU_DEP_4)
	v_dual_ashrrev_i32 v95, 31, v95 :: v_dual_bitop2_b32 v93, s16, v93 bitop3:0x14
	v_xor_b32_e32 v94, s17, v94
	v_bitop3_b32 v90, v90, v91, exec_lo bitop3:0x80
	v_ashrrev_i32_e32 v91, 31, v96
	v_not_b32_e32 v96, v213
	v_not_b32_e32 v97, v214
	v_xor_b32_e32 v95, s18, v95
	v_bitop3_b32 v90, v90, v94, v93 bitop3:0x80
	v_xor_b32_e32 v91, s19, v91
	v_cmp_gt_i32_e32 vcc_lo, 0, v213
	v_ashrrev_i32_e32 v93, 31, v96
	v_cmp_gt_i32_e64 s15, 0, v214
	v_ashrrev_i32_e32 v94, 31, v97
	v_mad_u32_u24 v96, v92, 36, v148
	v_bitop3_b32 v90, v90, v91, v95 bitop3:0x80
	v_xor_b32_e32 v91, vcc_lo, v93
	s_delay_alu instid0(VALU_DEP_4) | instskip(SKIP_3) | instid1(VALU_DEP_2)
	v_xor_b32_e32 v93, s15, v94
	ds_load_b32 v213, v96 offset:1056
	; wave barrier
	v_bitop3_b32 v90, v90, v93, v91 bitop3:0x80
	v_mul_u32_u24_e32 v91, 36, v92
	v_mbcnt_lo_u32_b32 v214, v90, 0
	v_cmp_ne_u32_e64 s15, 0, v90
	s_delay_alu instid0(VALU_DEP_3) | instskip(NEXT) | instid1(VALU_DEP_3)
	v_add_nc_u32_e32 v216, v148, v91
	v_cmp_eq_u32_e32 vcc_lo, 0, v214
	s_and_b32 s16, s15, vcc_lo
	s_delay_alu instid0(SALU_CYCLE_1)
	s_and_saveexec_b32 s15, s16
	s_cbranch_execz .LBB804_750
; %bb.749:                              ;   in Loop: Header=BB804_682 Depth=2
	s_wait_dscnt 0x0
	v_bcnt_u32_b32 v90, v90, v213
	ds_store_b32 v216, v90 offset:1056
.LBB804_750:                            ;   in Loop: Header=BB804_682 Depth=2
	s_or_b32 exec_lo, exec_lo, s15
	; wave barrier
	s_wait_dscnt 0x0
	s_barrier_signal -1
	s_barrier_wait -1
	ds_load_2addr_b32 v[96:97], v168 offset1:1
	ds_load_2addr_b32 v[94:95], v169 offset1:1
	;; [unrolled: 1-line block ×4, first 2 shown]
	ds_load_b32 v217, v120 offset:1088
	s_wait_dscnt 0x3
	v_add3_u32 v218, v97, v96, v94
	s_wait_dscnt 0x2
	s_delay_alu instid0(VALU_DEP_1) | instskip(SKIP_1) | instid1(VALU_DEP_1)
	v_add3_u32 v218, v218, v95, v92
	s_wait_dscnt 0x1
	v_add3_u32 v218, v218, v93, v90
	s_wait_dscnt 0x0
	s_delay_alu instid0(VALU_DEP_1) | instskip(NEXT) | instid1(VALU_DEP_1)
	v_add3_u32 v217, v218, v91, v217
	v_mov_b32_dpp v218, v217 row_shr:1 row_mask:0xf bank_mask:0xf
	s_delay_alu instid0(VALU_DEP_1) | instskip(NEXT) | instid1(VALU_DEP_1)
	v_cndmask_b32_e64 v218, v218, 0, s7
	v_add_nc_u32_e32 v217, v218, v217
	s_delay_alu instid0(VALU_DEP_1) | instskip(NEXT) | instid1(VALU_DEP_1)
	v_mov_b32_dpp v218, v217 row_shr:2 row_mask:0xf bank_mask:0xf
	v_cndmask_b32_e64 v218, 0, v218, s8
	s_delay_alu instid0(VALU_DEP_1) | instskip(NEXT) | instid1(VALU_DEP_1)
	v_add_nc_u32_e32 v217, v217, v218
	v_mov_b32_dpp v218, v217 row_shr:4 row_mask:0xf bank_mask:0xf
	s_delay_alu instid0(VALU_DEP_1) | instskip(NEXT) | instid1(VALU_DEP_1)
	v_cndmask_b32_e64 v218, 0, v218, s9
	v_add_nc_u32_e32 v217, v217, v218
	s_delay_alu instid0(VALU_DEP_1) | instskip(NEXT) | instid1(VALU_DEP_1)
	v_mov_b32_dpp v218, v217 row_shr:8 row_mask:0xf bank_mask:0xf
	v_cndmask_b32_e64 v218, 0, v218, s10
	s_delay_alu instid0(VALU_DEP_1) | instskip(SKIP_3) | instid1(VALU_DEP_1)
	v_add_nc_u32_e32 v217, v217, v218
	ds_swizzle_b32 v218, v217 offset:swizzle(BROADCAST,32,15)
	s_wait_dscnt 0x0
	v_cndmask_b32_e64 v218, v218, 0, s11
	v_add_nc_u32_e32 v217, v217, v218
	s_and_saveexec_b32 s15, s1
; %bb.751:                              ;   in Loop: Header=BB804_682 Depth=2
	ds_store_b32 v114, v217 offset:1024
; %bb.752:                              ;   in Loop: Header=BB804_682 Depth=2
	s_or_b32 exec_lo, exec_lo, s15
	s_wait_dscnt 0x0
	s_barrier_signal -1
	s_barrier_wait -1
	s_and_saveexec_b32 s15, s4
	s_cbranch_execz .LBB804_754
; %bb.753:                              ;   in Loop: Header=BB804_682 Depth=2
	ds_load_b32 v218, v122 offset:1024
	s_wait_dscnt 0x0
	v_mov_b32_dpp v219, v218 row_shr:1 row_mask:0xf bank_mask:0xf
	s_delay_alu instid0(VALU_DEP_1) | instskip(NEXT) | instid1(VALU_DEP_1)
	v_cndmask_b32_e64 v219, v219, 0, s12
	v_add_nc_u32_e32 v218, v219, v218
	s_delay_alu instid0(VALU_DEP_1) | instskip(NEXT) | instid1(VALU_DEP_1)
	v_mov_b32_dpp v219, v218 row_shr:2 row_mask:0xf bank_mask:0xf
	v_cndmask_b32_e64 v219, 0, v219, s13
	s_delay_alu instid0(VALU_DEP_1) | instskip(NEXT) | instid1(VALU_DEP_1)
	v_add_nc_u32_e32 v218, v218, v219
	v_mov_b32_dpp v219, v218 row_shr:4 row_mask:0xf bank_mask:0xf
	s_delay_alu instid0(VALU_DEP_1) | instskip(NEXT) | instid1(VALU_DEP_1)
	v_cndmask_b32_e64 v219, 0, v219, s14
	v_add_nc_u32_e32 v218, v218, v219
	ds_store_b32 v122, v218 offset:1024
.LBB804_754:                            ;   in Loop: Header=BB804_682 Depth=2
	s_or_b32 exec_lo, exec_lo, s15
	v_mov_b32_e32 v218, 0
	s_wait_dscnt 0x0
	s_barrier_signal -1
	s_barrier_wait -1
	s_and_saveexec_b32 s15, s5
; %bb.755:                              ;   in Loop: Header=BB804_682 Depth=2
	ds_load_b32 v218, v114 offset:1020
; %bb.756:                              ;   in Loop: Header=BB804_682 Depth=2
	s_or_b32 exec_lo, exec_lo, s15
	s_wait_dscnt 0x0
	v_add_nc_u32_e32 v217, v218, v217
	ds_bpermute_b32 v217, v147, v217
	s_wait_dscnt 0x0
	v_cndmask_b32_e64 v217, v217, v218, s6
	s_delay_alu instid0(VALU_DEP_1) | instskip(NEXT) | instid1(VALU_DEP_1)
	v_cndmask_b32_e64 v217, v217, 0, s2
	v_add_nc_u32_e32 v96, v217, v96
	s_delay_alu instid0(VALU_DEP_1) | instskip(NEXT) | instid1(VALU_DEP_1)
	v_add_nc_u32_e32 v97, v96, v97
	v_add_nc_u32_e32 v94, v97, v94
	s_delay_alu instid0(VALU_DEP_1) | instskip(NEXT) | instid1(VALU_DEP_1)
	v_add_nc_u32_e32 v95, v94, v95
	;; [unrolled: 3-line block ×3, first 2 shown]
	v_add_nc_u32_e32 v90, v93, v90
	s_delay_alu instid0(VALU_DEP_1)
	v_add_nc_u32_e32 v91, v90, v91
	ds_store_2addr_b32 v167, v93, v90 offset1:1
	ds_store_2addr_b32 v168, v217, v96 offset1:1
	;; [unrolled: 1-line block ×4, first 2 shown]
	ds_store_b32 v120, v91 offset:1088
	s_wait_dscnt 0x0
	s_barrier_signal -1
	s_barrier_wait -1
	ds_load_b32 v91, v171 offset:1056
	ds_load_b32 v218, v174 offset:1056
	;; [unrolled: 1-line block ×17, first 2 shown]
	v_mov_b32_e32 v90, 0x1000
	s_and_saveexec_b32 s15, s3
; %bb.757:                              ;   in Loop: Header=BB804_682 Depth=2
	ds_load_b32 v90, v120 offset:1092
; %bb.758:                              ;   in Loop: Header=BB804_682 Depth=2
	s_or_b32 exec_lo, exec_lo, s15
	s_wait_dscnt 0x0
	s_barrier_signal -1
	s_barrier_wait -1
	s_and_saveexec_b32 s15, s0
	s_cbranch_execz .LBB804_760
; %bb.759:                              ;   in Loop: Header=BB804_682 Depth=2
	ds_load_b32 v183, v3
	s_wait_dscnt 0x0
	v_sub_nc_u32_e32 v180, v183, v180
	ds_store_b32 v3, v180
.LBB804_760:                            ;   in Loop: Header=BB804_682 Depth=2
	s_or_b32 exec_lo, exec_lo, s15
	v_dual_lshlrev_b32 v166, 3, v166 :: v_dual_lshlrev_b32 v173, 3, v173
	v_dual_lshlrev_b32 v172, 3, v172 :: v_dual_lshlrev_b32 v180, 3, v218
	v_lshlrev_b32_e32 v176, 3, v176
	s_delay_alu instid0(VALU_DEP_3)
	v_lshl_add_u32 v91, v91, 3, v166
	v_dual_lshlrev_b32 v166, 3, v175 :: v_dual_lshlrev_b32 v175, 3, v217
	v_dual_lshlrev_b32 v179, 3, v179 :: v_dual_lshlrev_b32 v178, 3, v178
	;; [unrolled: 1-line block ×5, first 2 shown]
	v_lshlrev_b32_e32 v185, 3, v92
	ds_store_b64 v91, v[60:61] offset:1024
	v_add3_u32 v60, v173, v172, v180
	v_add3_u32 v61, v176, v166, v175
	;; [unrolled: 1-line block ×5, first 2 shown]
	ds_store_b64 v60, v[58:59] offset:1024
	ds_store_b64 v61, v[64:65] offset:1024
	;; [unrolled: 1-line block ×5, first 2 shown]
	v_dual_lshlrev_b32 v58, 3, v188 :: v_dual_lshlrev_b32 v63, 3, v191
	v_dual_lshlrev_b32 v59, 3, v187 :: v_dual_lshlrev_b32 v62, 3, v177
	;; [unrolled: 1-line block ×7, first 2 shown]
	v_lshlrev_b32_e32 v169, 3, v169
	v_add3_u32 v62, v58, v59, v62
	v_add3_u32 v63, v63, v64, v65
	;; [unrolled: 1-line block ×4, first 2 shown]
	v_lshlrev_b32_e32 v58, 3, v203
	v_add3_u32 v66, v171, v172, v169
	ds_store_b64 v62, v[72:73] offset:1024
	ds_store_b64 v63, v[70:71] offset:1024
	;; [unrolled: 1-line block ×5, first 2 shown]
	v_dual_lshlrev_b32 v59, 3, v201 :: v_dual_lshlrev_b32 v67, 3, v168
	v_dual_lshlrev_b32 v68, 3, v205 :: v_dual_lshlrev_b32 v69, 3, v204
	;; [unrolled: 1-line block ×7, first 2 shown]
	v_add3_u32 v67, v58, v59, v67
	v_add3_u32 v68, v68, v69, v70
	;; [unrolled: 1-line block ×5, first 2 shown]
	v_cmp_lt_u32_e32 vcc_lo, v2, v165
	ds_store_b64 v67, v[78:79] offset:1024
	ds_store_b64 v68, v[84:85] offset:1024
	;; [unrolled: 1-line block ×5, first 2 shown]
	s_wait_dscnt 0x0
	s_barrier_signal -1
	s_barrier_wait -1
	s_and_saveexec_b32 s15, vcc_lo
	s_cbranch_execnz .LBB804_829
; %bb.761:                              ;   in Loop: Header=BB804_682 Depth=2
	s_or_b32 exec_lo, exec_lo, s15
	v_cmp_lt_u32_e64 s15, v98, v165
	s_and_saveexec_b32 s16, s15
	s_cbranch_execnz .LBB804_830
.LBB804_762:                            ;   in Loop: Header=BB804_682 Depth=2
	s_or_b32 exec_lo, exec_lo, s16
	v_cmp_lt_u32_e64 s16, v99, v165
	s_and_saveexec_b32 s17, s16
	s_cbranch_execnz .LBB804_831
.LBB804_763:                            ;   in Loop: Header=BB804_682 Depth=2
	s_or_b32 exec_lo, exec_lo, s17
	v_cmp_lt_u32_e64 s17, v100, v165
	s_and_saveexec_b32 s18, s17
	s_cbranch_execnz .LBB804_832
.LBB804_764:                            ;   in Loop: Header=BB804_682 Depth=2
	s_or_b32 exec_lo, exec_lo, s18
	v_cmp_lt_u32_e64 s18, v101, v165
	s_and_saveexec_b32 s19, s18
	s_cbranch_execnz .LBB804_833
.LBB804_765:                            ;   in Loop: Header=BB804_682 Depth=2
	s_or_b32 exec_lo, exec_lo, s19
	v_cmp_lt_u32_e64 s19, v102, v165
	s_and_saveexec_b32 s20, s19
	s_cbranch_execnz .LBB804_834
.LBB804_766:                            ;   in Loop: Header=BB804_682 Depth=2
	s_or_b32 exec_lo, exec_lo, s20
	v_cmp_lt_u32_e64 s20, v103, v165
	s_and_saveexec_b32 s21, s20
	s_cbranch_execnz .LBB804_835
.LBB804_767:                            ;   in Loop: Header=BB804_682 Depth=2
	s_or_b32 exec_lo, exec_lo, s21
	v_cmp_lt_u32_e64 s21, v104, v165
	s_and_saveexec_b32 s22, s21
	s_cbranch_execnz .LBB804_836
.LBB804_768:                            ;   in Loop: Header=BB804_682 Depth=2
	s_or_b32 exec_lo, exec_lo, s22
	v_cmp_lt_u32_e64 s22, v105, v165
	s_and_saveexec_b32 s23, s22
	s_cbranch_execnz .LBB804_837
.LBB804_769:                            ;   in Loop: Header=BB804_682 Depth=2
	s_or_b32 exec_lo, exec_lo, s23
	v_cmp_lt_u32_e64 s23, v106, v165
	s_and_saveexec_b32 s24, s23
	s_cbranch_execnz .LBB804_838
.LBB804_770:                            ;   in Loop: Header=BB804_682 Depth=2
	s_or_b32 exec_lo, exec_lo, s24
	v_cmp_lt_u32_e64 s24, v107, v165
	s_and_saveexec_b32 s25, s24
	s_cbranch_execnz .LBB804_839
.LBB804_771:                            ;   in Loop: Header=BB804_682 Depth=2
	s_or_b32 exec_lo, exec_lo, s25
	v_cmp_lt_u32_e64 s25, v108, v165
	s_and_saveexec_b32 s26, s25
	s_cbranch_execnz .LBB804_840
.LBB804_772:                            ;   in Loop: Header=BB804_682 Depth=2
	s_or_b32 exec_lo, exec_lo, s26
	v_cmp_lt_u32_e64 s26, v109, v165
	s_and_saveexec_b32 s27, s26
	s_cbranch_execnz .LBB804_841
.LBB804_773:                            ;   in Loop: Header=BB804_682 Depth=2
	s_or_b32 exec_lo, exec_lo, s27
	v_cmp_lt_u32_e64 s27, v110, v165
	s_and_saveexec_b32 s28, s27
	s_cbranch_execnz .LBB804_842
.LBB804_774:                            ;   in Loop: Header=BB804_682 Depth=2
	s_or_b32 exec_lo, exec_lo, s28
	v_cmp_lt_u32_e64 s28, v111, v165
	s_and_saveexec_b32 s29, s28
	s_cbranch_execnz .LBB804_843
.LBB804_775:                            ;   in Loop: Header=BB804_682 Depth=2
	s_or_b32 exec_lo, exec_lo, s29
	v_cmp_lt_u32_e64 s29, v112, v165
	s_and_saveexec_b32 s58, s29
	s_cbranch_execz .LBB804_777
.LBB804_776:                            ;   in Loop: Header=BB804_682 Depth=2
	ds_load_b64 v[58:59], v123 offset:31744
	s_wait_dscnt 0x0
	v_lshrrev_b64 v[72:73], s43, v[58:59]
	v_xor_b32_e32 v59, 0x80000000, v59
	s_delay_alu instid0(VALU_DEP_2) | instskip(NEXT) | instid1(VALU_DEP_1)
	v_and_b32_e32 v72, s55, v72
	v_lshlrev_b32_e32 v72, 2, v72
	ds_load_b32 v72, v72
	s_wait_dscnt 0x0
	v_add_nc_u32_e32 v72, v72, v112
	global_store_b64 v72, v[58:59], s[38:39] scale_offset
.LBB804_777:                            ;   in Loop: Header=BB804_682 Depth=2
	s_wait_xcnt 0x0
	s_or_b32 exec_lo, exec_lo, s58
	v_lshl_add_u64 v[58:59], s[30:31], 3, v[22:23]
	v_cmp_lt_u32_e64 s30, v129, v165
	s_and_saveexec_b32 s58, s30
	s_delay_alu instid0(SALU_CYCLE_1)
	s_xor_b32 s30, exec_lo, s58
	s_cbranch_execnz .LBB804_844
; %bb.778:                              ;   in Loop: Header=BB804_682 Depth=2
	s_or_b32 exec_lo, exec_lo, s30
	s_delay_alu instid0(SALU_CYCLE_1)
	s_mov_b32 s58, exec_lo
	v_cmpx_lt_u32_e64 v132, v165
	s_cbranch_execnz .LBB804_845
.LBB804_779:                            ;   in Loop: Header=BB804_682 Depth=2
	s_or_b32 exec_lo, exec_lo, s58
	s_delay_alu instid0(SALU_CYCLE_1)
	s_mov_b32 s58, exec_lo
	v_cmpx_lt_u32_e64 v133, v165
	s_cbranch_execnz .LBB804_846
.LBB804_780:                            ;   in Loop: Header=BB804_682 Depth=2
	s_or_b32 exec_lo, exec_lo, s58
	s_delay_alu instid0(SALU_CYCLE_1)
	s_mov_b32 s58, exec_lo
	v_cmpx_lt_u32_e64 v134, v165
	s_cbranch_execnz .LBB804_847
.LBB804_781:                            ;   in Loop: Header=BB804_682 Depth=2
	s_or_b32 exec_lo, exec_lo, s58
	s_delay_alu instid0(SALU_CYCLE_1)
	s_mov_b32 s58, exec_lo
	v_cmpx_lt_u32_e64 v135, v165
	s_cbranch_execnz .LBB804_848
.LBB804_782:                            ;   in Loop: Header=BB804_682 Depth=2
	s_or_b32 exec_lo, exec_lo, s58
	s_delay_alu instid0(SALU_CYCLE_1)
	s_mov_b32 s58, exec_lo
	v_cmpx_lt_u32_e64 v136, v165
	s_cbranch_execnz .LBB804_849
.LBB804_783:                            ;   in Loop: Header=BB804_682 Depth=2
	s_or_b32 exec_lo, exec_lo, s58
	s_delay_alu instid0(SALU_CYCLE_1)
	s_mov_b32 s58, exec_lo
	v_cmpx_lt_u32_e64 v137, v165
	s_cbranch_execnz .LBB804_850
.LBB804_784:                            ;   in Loop: Header=BB804_682 Depth=2
	s_or_b32 exec_lo, exec_lo, s58
	s_delay_alu instid0(SALU_CYCLE_1)
	s_mov_b32 s58, exec_lo
	v_cmpx_lt_u32_e64 v138, v165
	s_cbranch_execnz .LBB804_851
.LBB804_785:                            ;   in Loop: Header=BB804_682 Depth=2
	s_or_b32 exec_lo, exec_lo, s58
	s_delay_alu instid0(SALU_CYCLE_1)
	s_mov_b32 s58, exec_lo
	v_cmpx_lt_u32_e64 v139, v165
	s_cbranch_execnz .LBB804_852
.LBB804_786:                            ;   in Loop: Header=BB804_682 Depth=2
	s_or_b32 exec_lo, exec_lo, s58
	s_delay_alu instid0(SALU_CYCLE_1)
	s_mov_b32 s58, exec_lo
	v_cmpx_lt_u32_e64 v140, v165
	s_cbranch_execnz .LBB804_853
.LBB804_787:                            ;   in Loop: Header=BB804_682 Depth=2
	s_or_b32 exec_lo, exec_lo, s58
	s_delay_alu instid0(SALU_CYCLE_1)
	s_mov_b32 s58, exec_lo
	v_cmpx_lt_u32_e64 v141, v165
	s_cbranch_execnz .LBB804_854
.LBB804_788:                            ;   in Loop: Header=BB804_682 Depth=2
	s_or_b32 exec_lo, exec_lo, s58
	s_delay_alu instid0(SALU_CYCLE_1)
	s_mov_b32 s58, exec_lo
	v_cmpx_lt_u32_e64 v142, v165
	s_cbranch_execnz .LBB804_855
.LBB804_789:                            ;   in Loop: Header=BB804_682 Depth=2
	s_or_b32 exec_lo, exec_lo, s58
	s_delay_alu instid0(SALU_CYCLE_1)
	s_mov_b32 s58, exec_lo
	v_cmpx_lt_u32_e64 v143, v165
	s_cbranch_execnz .LBB804_856
.LBB804_790:                            ;   in Loop: Header=BB804_682 Depth=2
	s_or_b32 exec_lo, exec_lo, s58
	s_delay_alu instid0(SALU_CYCLE_1)
	s_mov_b32 s58, exec_lo
	v_cmpx_lt_u32_e64 v144, v165
	s_cbranch_execnz .LBB804_857
.LBB804_791:                            ;   in Loop: Header=BB804_682 Depth=2
	s_or_b32 exec_lo, exec_lo, s58
	s_delay_alu instid0(SALU_CYCLE_1)
	s_mov_b32 s58, exec_lo
	v_cmpx_lt_u32_e64 v145, v165
	s_cbranch_execnz .LBB804_858
.LBB804_792:                            ;   in Loop: Header=BB804_682 Depth=2
	s_or_b32 exec_lo, exec_lo, s58
	s_delay_alu instid0(SALU_CYCLE_1)
	s_mov_b32 s58, exec_lo
	v_cmpx_lt_u32_e64 v146, v165
	s_cbranch_execnz .LBB804_859
.LBB804_793:                            ;   in Loop: Header=BB804_682 Depth=2
	s_or_b32 exec_lo, exec_lo, s58
	s_and_saveexec_b32 s30, vcc_lo
	s_cbranch_execnz .LBB804_860
.LBB804_794:                            ;   in Loop: Header=BB804_682 Depth=2
	s_or_b32 exec_lo, exec_lo, s30
	s_and_saveexec_b32 s30, s15
	s_cbranch_execnz .LBB804_861
.LBB804_795:                            ;   in Loop: Header=BB804_682 Depth=2
	s_or_b32 exec_lo, exec_lo, s30
	s_and_saveexec_b32 s30, s16
	s_cbranch_execnz .LBB804_862
.LBB804_796:                            ;   in Loop: Header=BB804_682 Depth=2
	s_or_b32 exec_lo, exec_lo, s30
	s_and_saveexec_b32 s30, s17
	s_cbranch_execnz .LBB804_863
.LBB804_797:                            ;   in Loop: Header=BB804_682 Depth=2
	s_or_b32 exec_lo, exec_lo, s30
	s_and_saveexec_b32 s30, s18
	s_cbranch_execnz .LBB804_864
.LBB804_798:                            ;   in Loop: Header=BB804_682 Depth=2
	s_or_b32 exec_lo, exec_lo, s30
	s_and_saveexec_b32 s30, s19
	s_cbranch_execnz .LBB804_865
.LBB804_799:                            ;   in Loop: Header=BB804_682 Depth=2
	s_or_b32 exec_lo, exec_lo, s30
	s_and_saveexec_b32 s30, s20
	s_cbranch_execnz .LBB804_866
.LBB804_800:                            ;   in Loop: Header=BB804_682 Depth=2
	s_or_b32 exec_lo, exec_lo, s30
	s_and_saveexec_b32 s30, s21
	s_cbranch_execnz .LBB804_867
.LBB804_801:                            ;   in Loop: Header=BB804_682 Depth=2
	s_or_b32 exec_lo, exec_lo, s30
	s_and_saveexec_b32 s30, s22
	s_cbranch_execnz .LBB804_868
.LBB804_802:                            ;   in Loop: Header=BB804_682 Depth=2
	s_or_b32 exec_lo, exec_lo, s30
	s_and_saveexec_b32 s30, s23
	s_cbranch_execnz .LBB804_869
.LBB804_803:                            ;   in Loop: Header=BB804_682 Depth=2
	s_or_b32 exec_lo, exec_lo, s30
	s_and_saveexec_b32 s30, s24
	s_cbranch_execnz .LBB804_870
.LBB804_804:                            ;   in Loop: Header=BB804_682 Depth=2
	s_or_b32 exec_lo, exec_lo, s30
	s_and_saveexec_b32 s30, s25
	s_cbranch_execnz .LBB804_871
.LBB804_805:                            ;   in Loop: Header=BB804_682 Depth=2
	s_or_b32 exec_lo, exec_lo, s30
	s_and_saveexec_b32 s30, s26
	s_cbranch_execnz .LBB804_872
.LBB804_806:                            ;   in Loop: Header=BB804_682 Depth=2
	s_or_b32 exec_lo, exec_lo, s30
	s_and_saveexec_b32 s30, s27
	s_cbranch_execnz .LBB804_873
.LBB804_807:                            ;   in Loop: Header=BB804_682 Depth=2
	s_or_b32 exec_lo, exec_lo, s30
	s_and_saveexec_b32 s30, s28
	s_cbranch_execnz .LBB804_874
.LBB804_808:                            ;   in Loop: Header=BB804_682 Depth=2
	s_or_b32 exec_lo, exec_lo, s30
	s_and_saveexec_b32 s30, s29
	s_cbranch_execz .LBB804_810
.LBB804_809:                            ;   in Loop: Header=BB804_682 Depth=2
	ds_load_b64 v[58:59], v123 offset:31744
	s_wait_dscnt 0x0
	v_lshrrev_b64 v[58:59], s43, v[58:59]
	s_delay_alu instid0(VALU_DEP_1)
	v_and_b32_e32 v149, s55, v58
.LBB804_810:                            ;   in Loop: Header=BB804_682 Depth=2
	s_or_b32 exec_lo, exec_lo, s30
	s_wait_loadcnt 0x0
	s_wait_storecnt 0x0
	s_barrier_signal -1
	s_barrier_wait -1
	ds_store_b64 v91, v[56:57] offset:1024
	ds_store_b64 v60, v[54:55] offset:1024
	;; [unrolled: 1-line block ×16, first 2 shown]
	s_wait_dscnt 0x0
	s_barrier_signal -1
	s_barrier_wait -1
	s_and_saveexec_b32 s30, vcc_lo
	s_cbranch_execnz .LBB804_875
; %bb.811:                              ;   in Loop: Header=BB804_682 Depth=2
	s_or_b32 exec_lo, exec_lo, s30
	s_and_saveexec_b32 s30, s15
	s_cbranch_execnz .LBB804_876
.LBB804_812:                            ;   in Loop: Header=BB804_682 Depth=2
	s_or_b32 exec_lo, exec_lo, s30
	s_and_saveexec_b32 s15, s16
	s_cbranch_execnz .LBB804_877
.LBB804_813:                            ;   in Loop: Header=BB804_682 Depth=2
	s_or_b32 exec_lo, exec_lo, s15
	s_and_saveexec_b32 s15, s17
	s_cbranch_execnz .LBB804_878
.LBB804_814:                            ;   in Loop: Header=BB804_682 Depth=2
	s_or_b32 exec_lo, exec_lo, s15
	s_and_saveexec_b32 s15, s18
	s_cbranch_execnz .LBB804_879
.LBB804_815:                            ;   in Loop: Header=BB804_682 Depth=2
	s_or_b32 exec_lo, exec_lo, s15
	s_and_saveexec_b32 s15, s19
	s_cbranch_execnz .LBB804_880
.LBB804_816:                            ;   in Loop: Header=BB804_682 Depth=2
	s_or_b32 exec_lo, exec_lo, s15
	s_and_saveexec_b32 s15, s20
	s_cbranch_execnz .LBB804_881
.LBB804_817:                            ;   in Loop: Header=BB804_682 Depth=2
	s_or_b32 exec_lo, exec_lo, s15
	s_and_saveexec_b32 s15, s21
	s_cbranch_execnz .LBB804_882
.LBB804_818:                            ;   in Loop: Header=BB804_682 Depth=2
	s_or_b32 exec_lo, exec_lo, s15
	s_and_saveexec_b32 s15, s22
	s_cbranch_execnz .LBB804_883
.LBB804_819:                            ;   in Loop: Header=BB804_682 Depth=2
	s_or_b32 exec_lo, exec_lo, s15
	s_and_saveexec_b32 s15, s23
	s_cbranch_execnz .LBB804_884
.LBB804_820:                            ;   in Loop: Header=BB804_682 Depth=2
	s_or_b32 exec_lo, exec_lo, s15
	s_and_saveexec_b32 s15, s24
	s_cbranch_execnz .LBB804_885
.LBB804_821:                            ;   in Loop: Header=BB804_682 Depth=2
	s_or_b32 exec_lo, exec_lo, s15
	s_and_saveexec_b32 s15, s25
	s_cbranch_execnz .LBB804_886
.LBB804_822:                            ;   in Loop: Header=BB804_682 Depth=2
	s_or_b32 exec_lo, exec_lo, s15
	s_and_saveexec_b32 s15, s26
	s_cbranch_execnz .LBB804_887
.LBB804_823:                            ;   in Loop: Header=BB804_682 Depth=2
	s_or_b32 exec_lo, exec_lo, s15
	s_and_saveexec_b32 s15, s27
	s_cbranch_execnz .LBB804_888
.LBB804_824:                            ;   in Loop: Header=BB804_682 Depth=2
	s_or_b32 exec_lo, exec_lo, s15
	s_and_saveexec_b32 s15, s28
	s_cbranch_execnz .LBB804_889
.LBB804_825:                            ;   in Loop: Header=BB804_682 Depth=2
	s_or_b32 exec_lo, exec_lo, s15
	s_and_saveexec_b32 s15, s29
	s_cbranch_execz .LBB804_827
.LBB804_826:                            ;   in Loop: Header=BB804_682 Depth=2
	v_lshlrev_b32_e32 v58, 2, v149
	ds_load_b32 v60, v58
	ds_load_b64 v[58:59], v123 offset:31744
	s_wait_dscnt 0x1
	v_add_nc_u32_e32 v60, v60, v112
	s_wait_dscnt 0x0
	global_store_b64 v60, v[58:59], s[44:45] scale_offset
.LBB804_827:                            ;   in Loop: Header=BB804_682 Depth=2
	s_wait_xcnt 0x0
	s_or_b32 exec_lo, exec_lo, s15
	s_wait_storecnt 0x0
	s_barrier_signal -1
	s_barrier_wait -1
	s_and_saveexec_b32 s15, s0
	s_cbranch_execz .LBB804_681
; %bb.828:                              ;   in Loop: Header=BB804_682 Depth=2
	ds_load_b32 v58, v3
	s_wait_dscnt 0x0
	v_add_nc_u32_e32 v58, v58, v90
	ds_store_b32 v3, v58
	s_branch .LBB804_681
.LBB804_829:                            ;   in Loop: Header=BB804_682 Depth=2
	ds_load_b64 v[58:59], v123 offset:1024
	s_wait_dscnt 0x0
	v_lshrrev_b64 v[72:73], s43, v[58:59]
	v_xor_b32_e32 v59, 0x80000000, v59
	s_delay_alu instid0(VALU_DEP_2) | instskip(NEXT) | instid1(VALU_DEP_1)
	v_and_b32_e32 v72, s55, v72
	v_lshlrev_b32_e32 v72, 2, v72
	ds_load_b32 v72, v72
	s_wait_dscnt 0x0
	v_add_nc_u32_e32 v72, v72, v2
	global_store_b64 v72, v[58:59], s[38:39] scale_offset
	s_wait_xcnt 0x0
	s_or_b32 exec_lo, exec_lo, s15
	v_cmp_lt_u32_e64 s15, v98, v165
	s_and_saveexec_b32 s16, s15
	s_cbranch_execz .LBB804_762
.LBB804_830:                            ;   in Loop: Header=BB804_682 Depth=2
	ds_load_b64 v[58:59], v123 offset:3072
	s_wait_dscnt 0x0
	v_lshrrev_b64 v[72:73], s43, v[58:59]
	v_xor_b32_e32 v59, 0x80000000, v59
	s_delay_alu instid0(VALU_DEP_2) | instskip(NEXT) | instid1(VALU_DEP_1)
	v_and_b32_e32 v72, s55, v72
	v_lshlrev_b32_e32 v72, 2, v72
	ds_load_b32 v72, v72
	s_wait_dscnt 0x0
	v_add_nc_u32_e32 v72, v72, v98
	global_store_b64 v72, v[58:59], s[38:39] scale_offset
	s_wait_xcnt 0x0
	s_or_b32 exec_lo, exec_lo, s16
	v_cmp_lt_u32_e64 s16, v99, v165
	s_and_saveexec_b32 s17, s16
	s_cbranch_execz .LBB804_763
.LBB804_831:                            ;   in Loop: Header=BB804_682 Depth=2
	ds_load_b64 v[58:59], v123 offset:5120
	s_wait_dscnt 0x0
	v_lshrrev_b64 v[72:73], s43, v[58:59]
	v_xor_b32_e32 v59, 0x80000000, v59
	s_delay_alu instid0(VALU_DEP_2) | instskip(NEXT) | instid1(VALU_DEP_1)
	v_and_b32_e32 v72, s55, v72
	v_lshlrev_b32_e32 v72, 2, v72
	ds_load_b32 v72, v72
	s_wait_dscnt 0x0
	v_add_nc_u32_e32 v72, v72, v99
	global_store_b64 v72, v[58:59], s[38:39] scale_offset
	s_wait_xcnt 0x0
	s_or_b32 exec_lo, exec_lo, s17
	v_cmp_lt_u32_e64 s17, v100, v165
	s_and_saveexec_b32 s18, s17
	s_cbranch_execz .LBB804_764
.LBB804_832:                            ;   in Loop: Header=BB804_682 Depth=2
	ds_load_b64 v[58:59], v123 offset:7168
	s_wait_dscnt 0x0
	v_lshrrev_b64 v[72:73], s43, v[58:59]
	v_xor_b32_e32 v59, 0x80000000, v59
	s_delay_alu instid0(VALU_DEP_2) | instskip(NEXT) | instid1(VALU_DEP_1)
	v_and_b32_e32 v72, s55, v72
	v_lshlrev_b32_e32 v72, 2, v72
	ds_load_b32 v72, v72
	s_wait_dscnt 0x0
	v_add_nc_u32_e32 v72, v72, v100
	global_store_b64 v72, v[58:59], s[38:39] scale_offset
	s_wait_xcnt 0x0
	s_or_b32 exec_lo, exec_lo, s18
	v_cmp_lt_u32_e64 s18, v101, v165
	s_and_saveexec_b32 s19, s18
	s_cbranch_execz .LBB804_765
.LBB804_833:                            ;   in Loop: Header=BB804_682 Depth=2
	ds_load_b64 v[58:59], v123 offset:9216
	s_wait_dscnt 0x0
	v_lshrrev_b64 v[72:73], s43, v[58:59]
	v_xor_b32_e32 v59, 0x80000000, v59
	s_delay_alu instid0(VALU_DEP_2) | instskip(NEXT) | instid1(VALU_DEP_1)
	v_and_b32_e32 v72, s55, v72
	v_lshlrev_b32_e32 v72, 2, v72
	ds_load_b32 v72, v72
	s_wait_dscnt 0x0
	v_add_nc_u32_e32 v72, v72, v101
	global_store_b64 v72, v[58:59], s[38:39] scale_offset
	s_wait_xcnt 0x0
	s_or_b32 exec_lo, exec_lo, s19
	v_cmp_lt_u32_e64 s19, v102, v165
	s_and_saveexec_b32 s20, s19
	s_cbranch_execz .LBB804_766
.LBB804_834:                            ;   in Loop: Header=BB804_682 Depth=2
	ds_load_b64 v[58:59], v123 offset:11264
	s_wait_dscnt 0x0
	v_lshrrev_b64 v[72:73], s43, v[58:59]
	v_xor_b32_e32 v59, 0x80000000, v59
	s_delay_alu instid0(VALU_DEP_2) | instskip(NEXT) | instid1(VALU_DEP_1)
	v_and_b32_e32 v72, s55, v72
	v_lshlrev_b32_e32 v72, 2, v72
	ds_load_b32 v72, v72
	s_wait_dscnt 0x0
	v_add_nc_u32_e32 v72, v72, v102
	global_store_b64 v72, v[58:59], s[38:39] scale_offset
	s_wait_xcnt 0x0
	s_or_b32 exec_lo, exec_lo, s20
	v_cmp_lt_u32_e64 s20, v103, v165
	s_and_saveexec_b32 s21, s20
	s_cbranch_execz .LBB804_767
.LBB804_835:                            ;   in Loop: Header=BB804_682 Depth=2
	ds_load_b64 v[58:59], v123 offset:13312
	s_wait_dscnt 0x0
	v_lshrrev_b64 v[72:73], s43, v[58:59]
	v_xor_b32_e32 v59, 0x80000000, v59
	s_delay_alu instid0(VALU_DEP_2) | instskip(NEXT) | instid1(VALU_DEP_1)
	v_and_b32_e32 v72, s55, v72
	v_lshlrev_b32_e32 v72, 2, v72
	ds_load_b32 v72, v72
	s_wait_dscnt 0x0
	v_add_nc_u32_e32 v72, v72, v103
	global_store_b64 v72, v[58:59], s[38:39] scale_offset
	s_wait_xcnt 0x0
	s_or_b32 exec_lo, exec_lo, s21
	v_cmp_lt_u32_e64 s21, v104, v165
	s_and_saveexec_b32 s22, s21
	s_cbranch_execz .LBB804_768
.LBB804_836:                            ;   in Loop: Header=BB804_682 Depth=2
	ds_load_b64 v[58:59], v123 offset:15360
	s_wait_dscnt 0x0
	v_lshrrev_b64 v[72:73], s43, v[58:59]
	v_xor_b32_e32 v59, 0x80000000, v59
	s_delay_alu instid0(VALU_DEP_2) | instskip(NEXT) | instid1(VALU_DEP_1)
	v_and_b32_e32 v72, s55, v72
	v_lshlrev_b32_e32 v72, 2, v72
	ds_load_b32 v72, v72
	s_wait_dscnt 0x0
	v_add_nc_u32_e32 v72, v72, v104
	global_store_b64 v72, v[58:59], s[38:39] scale_offset
	s_wait_xcnt 0x0
	s_or_b32 exec_lo, exec_lo, s22
	v_cmp_lt_u32_e64 s22, v105, v165
	s_and_saveexec_b32 s23, s22
	s_cbranch_execz .LBB804_769
.LBB804_837:                            ;   in Loop: Header=BB804_682 Depth=2
	ds_load_b64 v[58:59], v123 offset:17408
	s_wait_dscnt 0x0
	v_lshrrev_b64 v[72:73], s43, v[58:59]
	v_xor_b32_e32 v59, 0x80000000, v59
	s_delay_alu instid0(VALU_DEP_2) | instskip(NEXT) | instid1(VALU_DEP_1)
	v_and_b32_e32 v72, s55, v72
	v_lshlrev_b32_e32 v72, 2, v72
	ds_load_b32 v72, v72
	s_wait_dscnt 0x0
	v_add_nc_u32_e32 v72, v72, v105
	global_store_b64 v72, v[58:59], s[38:39] scale_offset
	s_wait_xcnt 0x0
	s_or_b32 exec_lo, exec_lo, s23
	v_cmp_lt_u32_e64 s23, v106, v165
	s_and_saveexec_b32 s24, s23
	s_cbranch_execz .LBB804_770
.LBB804_838:                            ;   in Loop: Header=BB804_682 Depth=2
	ds_load_b64 v[58:59], v123 offset:19456
	s_wait_dscnt 0x0
	v_lshrrev_b64 v[72:73], s43, v[58:59]
	v_xor_b32_e32 v59, 0x80000000, v59
	s_delay_alu instid0(VALU_DEP_2) | instskip(NEXT) | instid1(VALU_DEP_1)
	v_and_b32_e32 v72, s55, v72
	v_lshlrev_b32_e32 v72, 2, v72
	ds_load_b32 v72, v72
	s_wait_dscnt 0x0
	v_add_nc_u32_e32 v72, v72, v106
	global_store_b64 v72, v[58:59], s[38:39] scale_offset
	s_wait_xcnt 0x0
	s_or_b32 exec_lo, exec_lo, s24
	v_cmp_lt_u32_e64 s24, v107, v165
	s_and_saveexec_b32 s25, s24
	s_cbranch_execz .LBB804_771
.LBB804_839:                            ;   in Loop: Header=BB804_682 Depth=2
	ds_load_b64 v[58:59], v123 offset:21504
	s_wait_dscnt 0x0
	v_lshrrev_b64 v[72:73], s43, v[58:59]
	v_xor_b32_e32 v59, 0x80000000, v59
	s_delay_alu instid0(VALU_DEP_2) | instskip(NEXT) | instid1(VALU_DEP_1)
	v_and_b32_e32 v72, s55, v72
	v_lshlrev_b32_e32 v72, 2, v72
	ds_load_b32 v72, v72
	s_wait_dscnt 0x0
	v_add_nc_u32_e32 v72, v72, v107
	global_store_b64 v72, v[58:59], s[38:39] scale_offset
	s_wait_xcnt 0x0
	s_or_b32 exec_lo, exec_lo, s25
	v_cmp_lt_u32_e64 s25, v108, v165
	s_and_saveexec_b32 s26, s25
	s_cbranch_execz .LBB804_772
.LBB804_840:                            ;   in Loop: Header=BB804_682 Depth=2
	ds_load_b64 v[58:59], v123 offset:23552
	s_wait_dscnt 0x0
	v_lshrrev_b64 v[72:73], s43, v[58:59]
	v_xor_b32_e32 v59, 0x80000000, v59
	s_delay_alu instid0(VALU_DEP_2) | instskip(NEXT) | instid1(VALU_DEP_1)
	v_and_b32_e32 v72, s55, v72
	v_lshlrev_b32_e32 v72, 2, v72
	ds_load_b32 v72, v72
	s_wait_dscnt 0x0
	v_add_nc_u32_e32 v72, v72, v108
	global_store_b64 v72, v[58:59], s[38:39] scale_offset
	s_wait_xcnt 0x0
	s_or_b32 exec_lo, exec_lo, s26
	v_cmp_lt_u32_e64 s26, v109, v165
	s_and_saveexec_b32 s27, s26
	s_cbranch_execz .LBB804_773
.LBB804_841:                            ;   in Loop: Header=BB804_682 Depth=2
	ds_load_b64 v[58:59], v123 offset:25600
	s_wait_dscnt 0x0
	v_lshrrev_b64 v[72:73], s43, v[58:59]
	v_xor_b32_e32 v59, 0x80000000, v59
	s_delay_alu instid0(VALU_DEP_2) | instskip(NEXT) | instid1(VALU_DEP_1)
	v_and_b32_e32 v72, s55, v72
	v_lshlrev_b32_e32 v72, 2, v72
	ds_load_b32 v72, v72
	s_wait_dscnt 0x0
	v_add_nc_u32_e32 v72, v72, v109
	global_store_b64 v72, v[58:59], s[38:39] scale_offset
	s_wait_xcnt 0x0
	s_or_b32 exec_lo, exec_lo, s27
	v_cmp_lt_u32_e64 s27, v110, v165
	s_and_saveexec_b32 s28, s27
	s_cbranch_execz .LBB804_774
.LBB804_842:                            ;   in Loop: Header=BB804_682 Depth=2
	ds_load_b64 v[58:59], v123 offset:27648
	s_wait_dscnt 0x0
	v_lshrrev_b64 v[72:73], s43, v[58:59]
	v_xor_b32_e32 v59, 0x80000000, v59
	s_delay_alu instid0(VALU_DEP_2) | instskip(NEXT) | instid1(VALU_DEP_1)
	v_and_b32_e32 v72, s55, v72
	v_lshlrev_b32_e32 v72, 2, v72
	ds_load_b32 v72, v72
	s_wait_dscnt 0x0
	v_add_nc_u32_e32 v72, v72, v110
	global_store_b64 v72, v[58:59], s[38:39] scale_offset
	s_wait_xcnt 0x0
	s_or_b32 exec_lo, exec_lo, s28
	v_cmp_lt_u32_e64 s28, v111, v165
	s_and_saveexec_b32 s29, s28
	s_cbranch_execz .LBB804_775
.LBB804_843:                            ;   in Loop: Header=BB804_682 Depth=2
	ds_load_b64 v[58:59], v123 offset:29696
	s_wait_dscnt 0x0
	v_lshrrev_b64 v[72:73], s43, v[58:59]
	v_xor_b32_e32 v59, 0x80000000, v59
	s_delay_alu instid0(VALU_DEP_2) | instskip(NEXT) | instid1(VALU_DEP_1)
	v_and_b32_e32 v72, s55, v72
	v_lshlrev_b32_e32 v72, 2, v72
	ds_load_b32 v72, v72
	s_wait_dscnt 0x0
	v_add_nc_u32_e32 v72, v72, v111
	global_store_b64 v72, v[58:59], s[38:39] scale_offset
	s_wait_xcnt 0x0
	s_or_b32 exec_lo, exec_lo, s29
	v_cmp_lt_u32_e64 s29, v112, v165
	s_and_saveexec_b32 s58, s29
	s_cbranch_execnz .LBB804_776
	s_branch .LBB804_777
.LBB804_844:                            ;   in Loop: Header=BB804_682 Depth=2
	global_load_b64 v[56:57], v[58:59], off
	s_wait_xcnt 0x0
	s_or_b32 exec_lo, exec_lo, s30
	s_delay_alu instid0(SALU_CYCLE_1)
	s_mov_b32 s58, exec_lo
	v_cmpx_lt_u32_e64 v132, v165
	s_cbranch_execz .LBB804_779
.LBB804_845:                            ;   in Loop: Header=BB804_682 Depth=2
	global_load_b64 v[54:55], v[58:59], off offset:256
	s_wait_xcnt 0x0
	s_or_b32 exec_lo, exec_lo, s58
	s_delay_alu instid0(SALU_CYCLE_1)
	s_mov_b32 s58, exec_lo
	v_cmpx_lt_u32_e64 v133, v165
	s_cbranch_execz .LBB804_780
.LBB804_846:                            ;   in Loop: Header=BB804_682 Depth=2
	global_load_b64 v[52:53], v[58:59], off offset:512
	s_wait_xcnt 0x0
	s_or_b32 exec_lo, exec_lo, s58
	s_delay_alu instid0(SALU_CYCLE_1)
	s_mov_b32 s58, exec_lo
	v_cmpx_lt_u32_e64 v134, v165
	s_cbranch_execz .LBB804_781
.LBB804_847:                            ;   in Loop: Header=BB804_682 Depth=2
	global_load_b64 v[50:51], v[58:59], off offset:768
	s_wait_xcnt 0x0
	s_or_b32 exec_lo, exec_lo, s58
	s_delay_alu instid0(SALU_CYCLE_1)
	s_mov_b32 s58, exec_lo
	v_cmpx_lt_u32_e64 v135, v165
	s_cbranch_execz .LBB804_782
.LBB804_848:                            ;   in Loop: Header=BB804_682 Depth=2
	global_load_b64 v[48:49], v[58:59], off offset:1024
	s_wait_xcnt 0x0
	s_or_b32 exec_lo, exec_lo, s58
	s_delay_alu instid0(SALU_CYCLE_1)
	s_mov_b32 s58, exec_lo
	v_cmpx_lt_u32_e64 v136, v165
	s_cbranch_execz .LBB804_783
.LBB804_849:                            ;   in Loop: Header=BB804_682 Depth=2
	global_load_b64 v[46:47], v[58:59], off offset:1280
	s_wait_xcnt 0x0
	s_or_b32 exec_lo, exec_lo, s58
	s_delay_alu instid0(SALU_CYCLE_1)
	s_mov_b32 s58, exec_lo
	v_cmpx_lt_u32_e64 v137, v165
	s_cbranch_execz .LBB804_784
.LBB804_850:                            ;   in Loop: Header=BB804_682 Depth=2
	global_load_b64 v[44:45], v[58:59], off offset:1536
	s_wait_xcnt 0x0
	s_or_b32 exec_lo, exec_lo, s58
	s_delay_alu instid0(SALU_CYCLE_1)
	s_mov_b32 s58, exec_lo
	v_cmpx_lt_u32_e64 v138, v165
	s_cbranch_execz .LBB804_785
.LBB804_851:                            ;   in Loop: Header=BB804_682 Depth=2
	global_load_b64 v[42:43], v[58:59], off offset:1792
	s_wait_xcnt 0x0
	s_or_b32 exec_lo, exec_lo, s58
	s_delay_alu instid0(SALU_CYCLE_1)
	s_mov_b32 s58, exec_lo
	v_cmpx_lt_u32_e64 v139, v165
	s_cbranch_execz .LBB804_786
.LBB804_852:                            ;   in Loop: Header=BB804_682 Depth=2
	global_load_b64 v[40:41], v[58:59], off offset:2048
	s_wait_xcnt 0x0
	s_or_b32 exec_lo, exec_lo, s58
	s_delay_alu instid0(SALU_CYCLE_1)
	s_mov_b32 s58, exec_lo
	v_cmpx_lt_u32_e64 v140, v165
	s_cbranch_execz .LBB804_787
.LBB804_853:                            ;   in Loop: Header=BB804_682 Depth=2
	global_load_b64 v[38:39], v[58:59], off offset:2304
	s_wait_xcnt 0x0
	s_or_b32 exec_lo, exec_lo, s58
	s_delay_alu instid0(SALU_CYCLE_1)
	s_mov_b32 s58, exec_lo
	v_cmpx_lt_u32_e64 v141, v165
	s_cbranch_execz .LBB804_788
.LBB804_854:                            ;   in Loop: Header=BB804_682 Depth=2
	global_load_b64 v[36:37], v[58:59], off offset:2560
	s_wait_xcnt 0x0
	s_or_b32 exec_lo, exec_lo, s58
	s_delay_alu instid0(SALU_CYCLE_1)
	s_mov_b32 s58, exec_lo
	v_cmpx_lt_u32_e64 v142, v165
	s_cbranch_execz .LBB804_789
.LBB804_855:                            ;   in Loop: Header=BB804_682 Depth=2
	global_load_b64 v[34:35], v[58:59], off offset:2816
	s_wait_xcnt 0x0
	s_or_b32 exec_lo, exec_lo, s58
	s_delay_alu instid0(SALU_CYCLE_1)
	s_mov_b32 s58, exec_lo
	v_cmpx_lt_u32_e64 v143, v165
	s_cbranch_execz .LBB804_790
.LBB804_856:                            ;   in Loop: Header=BB804_682 Depth=2
	global_load_b64 v[32:33], v[58:59], off offset:3072
	s_wait_xcnt 0x0
	s_or_b32 exec_lo, exec_lo, s58
	s_delay_alu instid0(SALU_CYCLE_1)
	s_mov_b32 s58, exec_lo
	v_cmpx_lt_u32_e64 v144, v165
	s_cbranch_execz .LBB804_791
.LBB804_857:                            ;   in Loop: Header=BB804_682 Depth=2
	global_load_b64 v[30:31], v[58:59], off offset:3328
	s_wait_xcnt 0x0
	s_or_b32 exec_lo, exec_lo, s58
	s_delay_alu instid0(SALU_CYCLE_1)
	s_mov_b32 s58, exec_lo
	v_cmpx_lt_u32_e64 v145, v165
	s_cbranch_execz .LBB804_792
.LBB804_858:                            ;   in Loop: Header=BB804_682 Depth=2
	global_load_b64 v[28:29], v[58:59], off offset:3584
	s_wait_xcnt 0x0
	s_or_b32 exec_lo, exec_lo, s58
	s_delay_alu instid0(SALU_CYCLE_1)
	s_mov_b32 s58, exec_lo
	v_cmpx_lt_u32_e64 v146, v165
	s_cbranch_execz .LBB804_793
.LBB804_859:                            ;   in Loop: Header=BB804_682 Depth=2
	global_load_b64 v[26:27], v[58:59], off offset:3840
	s_wait_xcnt 0x0
	s_or_b32 exec_lo, exec_lo, s58
	s_and_saveexec_b32 s30, vcc_lo
	s_cbranch_execz .LBB804_794
.LBB804_860:                            ;   in Loop: Header=BB804_682 Depth=2
	ds_load_b64 v[58:59], v123 offset:1024
	s_wait_dscnt 0x0
	v_lshrrev_b64 v[58:59], s43, v[58:59]
	s_delay_alu instid0(VALU_DEP_1)
	v_and_b32_e32 v164, s55, v58
	s_or_b32 exec_lo, exec_lo, s30
	s_and_saveexec_b32 s30, s15
	s_cbranch_execz .LBB804_795
.LBB804_861:                            ;   in Loop: Header=BB804_682 Depth=2
	ds_load_b64 v[58:59], v123 offset:3072
	s_wait_dscnt 0x0
	v_lshrrev_b64 v[58:59], s43, v[58:59]
	s_delay_alu instid0(VALU_DEP_1)
	v_and_b32_e32 v163, s55, v58
	s_or_b32 exec_lo, exec_lo, s30
	s_and_saveexec_b32 s30, s16
	s_cbranch_execz .LBB804_796
.LBB804_862:                            ;   in Loop: Header=BB804_682 Depth=2
	ds_load_b64 v[58:59], v123 offset:5120
	s_wait_dscnt 0x0
	v_lshrrev_b64 v[58:59], s43, v[58:59]
	s_delay_alu instid0(VALU_DEP_1)
	v_and_b32_e32 v162, s55, v58
	s_or_b32 exec_lo, exec_lo, s30
	s_and_saveexec_b32 s30, s17
	s_cbranch_execz .LBB804_797
.LBB804_863:                            ;   in Loop: Header=BB804_682 Depth=2
	ds_load_b64 v[58:59], v123 offset:7168
	s_wait_dscnt 0x0
	v_lshrrev_b64 v[58:59], s43, v[58:59]
	s_delay_alu instid0(VALU_DEP_1)
	v_and_b32_e32 v161, s55, v58
	s_or_b32 exec_lo, exec_lo, s30
	s_and_saveexec_b32 s30, s18
	s_cbranch_execz .LBB804_798
.LBB804_864:                            ;   in Loop: Header=BB804_682 Depth=2
	ds_load_b64 v[58:59], v123 offset:9216
	s_wait_dscnt 0x0
	v_lshrrev_b64 v[58:59], s43, v[58:59]
	s_delay_alu instid0(VALU_DEP_1)
	v_and_b32_e32 v160, s55, v58
	s_or_b32 exec_lo, exec_lo, s30
	s_and_saveexec_b32 s30, s19
	s_cbranch_execz .LBB804_799
.LBB804_865:                            ;   in Loop: Header=BB804_682 Depth=2
	ds_load_b64 v[58:59], v123 offset:11264
	s_wait_dscnt 0x0
	v_lshrrev_b64 v[58:59], s43, v[58:59]
	s_delay_alu instid0(VALU_DEP_1)
	v_and_b32_e32 v159, s55, v58
	s_or_b32 exec_lo, exec_lo, s30
	s_and_saveexec_b32 s30, s20
	s_cbranch_execz .LBB804_800
.LBB804_866:                            ;   in Loop: Header=BB804_682 Depth=2
	ds_load_b64 v[58:59], v123 offset:13312
	s_wait_dscnt 0x0
	v_lshrrev_b64 v[58:59], s43, v[58:59]
	s_delay_alu instid0(VALU_DEP_1)
	v_and_b32_e32 v158, s55, v58
	s_or_b32 exec_lo, exec_lo, s30
	s_and_saveexec_b32 s30, s21
	s_cbranch_execz .LBB804_801
.LBB804_867:                            ;   in Loop: Header=BB804_682 Depth=2
	ds_load_b64 v[58:59], v123 offset:15360
	s_wait_dscnt 0x0
	v_lshrrev_b64 v[58:59], s43, v[58:59]
	s_delay_alu instid0(VALU_DEP_1)
	v_and_b32_e32 v157, s55, v58
	s_or_b32 exec_lo, exec_lo, s30
	s_and_saveexec_b32 s30, s22
	s_cbranch_execz .LBB804_802
.LBB804_868:                            ;   in Loop: Header=BB804_682 Depth=2
	ds_load_b64 v[58:59], v123 offset:17408
	s_wait_dscnt 0x0
	v_lshrrev_b64 v[58:59], s43, v[58:59]
	s_delay_alu instid0(VALU_DEP_1)
	v_and_b32_e32 v156, s55, v58
	s_or_b32 exec_lo, exec_lo, s30
	s_and_saveexec_b32 s30, s23
	s_cbranch_execz .LBB804_803
.LBB804_869:                            ;   in Loop: Header=BB804_682 Depth=2
	ds_load_b64 v[58:59], v123 offset:19456
	s_wait_dscnt 0x0
	v_lshrrev_b64 v[58:59], s43, v[58:59]
	s_delay_alu instid0(VALU_DEP_1)
	v_and_b32_e32 v155, s55, v58
	s_or_b32 exec_lo, exec_lo, s30
	s_and_saveexec_b32 s30, s24
	s_cbranch_execz .LBB804_804
.LBB804_870:                            ;   in Loop: Header=BB804_682 Depth=2
	ds_load_b64 v[58:59], v123 offset:21504
	s_wait_dscnt 0x0
	v_lshrrev_b64 v[58:59], s43, v[58:59]
	s_delay_alu instid0(VALU_DEP_1)
	v_and_b32_e32 v154, s55, v58
	s_or_b32 exec_lo, exec_lo, s30
	s_and_saveexec_b32 s30, s25
	s_cbranch_execz .LBB804_805
.LBB804_871:                            ;   in Loop: Header=BB804_682 Depth=2
	ds_load_b64 v[58:59], v123 offset:23552
	s_wait_dscnt 0x0
	v_lshrrev_b64 v[58:59], s43, v[58:59]
	s_delay_alu instid0(VALU_DEP_1)
	v_and_b32_e32 v153, s55, v58
	s_or_b32 exec_lo, exec_lo, s30
	s_and_saveexec_b32 s30, s26
	s_cbranch_execz .LBB804_806
.LBB804_872:                            ;   in Loop: Header=BB804_682 Depth=2
	ds_load_b64 v[58:59], v123 offset:25600
	s_wait_dscnt 0x0
	v_lshrrev_b64 v[58:59], s43, v[58:59]
	s_delay_alu instid0(VALU_DEP_1)
	v_and_b32_e32 v152, s55, v58
	s_or_b32 exec_lo, exec_lo, s30
	s_and_saveexec_b32 s30, s27
	s_cbranch_execz .LBB804_807
.LBB804_873:                            ;   in Loop: Header=BB804_682 Depth=2
	ds_load_b64 v[58:59], v123 offset:27648
	s_wait_dscnt 0x0
	v_lshrrev_b64 v[58:59], s43, v[58:59]
	s_delay_alu instid0(VALU_DEP_1)
	v_and_b32_e32 v151, s55, v58
	s_or_b32 exec_lo, exec_lo, s30
	s_and_saveexec_b32 s30, s28
	s_cbranch_execz .LBB804_808
.LBB804_874:                            ;   in Loop: Header=BB804_682 Depth=2
	ds_load_b64 v[58:59], v123 offset:29696
	s_wait_dscnt 0x0
	v_lshrrev_b64 v[58:59], s43, v[58:59]
	s_delay_alu instid0(VALU_DEP_1)
	v_and_b32_e32 v150, s55, v58
	s_or_b32 exec_lo, exec_lo, s30
	s_and_saveexec_b32 s30, s29
	s_cbranch_execnz .LBB804_809
	s_branch .LBB804_810
.LBB804_875:                            ;   in Loop: Header=BB804_682 Depth=2
	v_lshlrev_b32_e32 v58, 2, v164
	ds_load_b32 v60, v58
	ds_load_b64 v[58:59], v123 offset:1024
	s_wait_dscnt 0x1
	v_add_nc_u32_e32 v60, v60, v2
	s_wait_dscnt 0x0
	global_store_b64 v60, v[58:59], s[44:45] scale_offset
	s_wait_xcnt 0x0
	s_or_b32 exec_lo, exec_lo, s30
	s_and_saveexec_b32 s30, s15
	s_cbranch_execz .LBB804_812
.LBB804_876:                            ;   in Loop: Header=BB804_682 Depth=2
	v_lshlrev_b32_e32 v58, 2, v163
	ds_load_b32 v60, v58
	ds_load_b64 v[58:59], v123 offset:3072
	s_wait_dscnt 0x1
	v_add_nc_u32_e32 v60, v60, v98
	s_wait_dscnt 0x0
	global_store_b64 v60, v[58:59], s[44:45] scale_offset
	s_wait_xcnt 0x0
	s_or_b32 exec_lo, exec_lo, s30
	s_and_saveexec_b32 s15, s16
	s_cbranch_execz .LBB804_813
.LBB804_877:                            ;   in Loop: Header=BB804_682 Depth=2
	v_lshlrev_b32_e32 v58, 2, v162
	ds_load_b32 v60, v58
	ds_load_b64 v[58:59], v123 offset:5120
	s_wait_dscnt 0x1
	v_add_nc_u32_e32 v60, v60, v99
	s_wait_dscnt 0x0
	global_store_b64 v60, v[58:59], s[44:45] scale_offset
	s_wait_xcnt 0x0
	s_or_b32 exec_lo, exec_lo, s15
	s_and_saveexec_b32 s15, s17
	s_cbranch_execz .LBB804_814
.LBB804_878:                            ;   in Loop: Header=BB804_682 Depth=2
	v_lshlrev_b32_e32 v58, 2, v161
	ds_load_b32 v60, v58
	ds_load_b64 v[58:59], v123 offset:7168
	s_wait_dscnt 0x1
	v_add_nc_u32_e32 v60, v60, v100
	s_wait_dscnt 0x0
	global_store_b64 v60, v[58:59], s[44:45] scale_offset
	s_wait_xcnt 0x0
	s_or_b32 exec_lo, exec_lo, s15
	s_and_saveexec_b32 s15, s18
	s_cbranch_execz .LBB804_815
.LBB804_879:                            ;   in Loop: Header=BB804_682 Depth=2
	v_lshlrev_b32_e32 v58, 2, v160
	ds_load_b32 v60, v58
	ds_load_b64 v[58:59], v123 offset:9216
	s_wait_dscnt 0x1
	v_add_nc_u32_e32 v60, v60, v101
	s_wait_dscnt 0x0
	global_store_b64 v60, v[58:59], s[44:45] scale_offset
	s_wait_xcnt 0x0
	s_or_b32 exec_lo, exec_lo, s15
	s_and_saveexec_b32 s15, s19
	s_cbranch_execz .LBB804_816
.LBB804_880:                            ;   in Loop: Header=BB804_682 Depth=2
	v_lshlrev_b32_e32 v58, 2, v159
	ds_load_b32 v60, v58
	ds_load_b64 v[58:59], v123 offset:11264
	s_wait_dscnt 0x1
	v_add_nc_u32_e32 v60, v60, v102
	s_wait_dscnt 0x0
	global_store_b64 v60, v[58:59], s[44:45] scale_offset
	s_wait_xcnt 0x0
	s_or_b32 exec_lo, exec_lo, s15
	s_and_saveexec_b32 s15, s20
	s_cbranch_execz .LBB804_817
.LBB804_881:                            ;   in Loop: Header=BB804_682 Depth=2
	v_lshlrev_b32_e32 v58, 2, v158
	ds_load_b32 v60, v58
	ds_load_b64 v[58:59], v123 offset:13312
	s_wait_dscnt 0x1
	v_add_nc_u32_e32 v60, v60, v103
	s_wait_dscnt 0x0
	global_store_b64 v60, v[58:59], s[44:45] scale_offset
	s_wait_xcnt 0x0
	s_or_b32 exec_lo, exec_lo, s15
	s_and_saveexec_b32 s15, s21
	s_cbranch_execz .LBB804_818
.LBB804_882:                            ;   in Loop: Header=BB804_682 Depth=2
	v_lshlrev_b32_e32 v58, 2, v157
	ds_load_b32 v60, v58
	ds_load_b64 v[58:59], v123 offset:15360
	s_wait_dscnt 0x1
	v_add_nc_u32_e32 v60, v60, v104
	s_wait_dscnt 0x0
	global_store_b64 v60, v[58:59], s[44:45] scale_offset
	s_wait_xcnt 0x0
	s_or_b32 exec_lo, exec_lo, s15
	s_and_saveexec_b32 s15, s22
	s_cbranch_execz .LBB804_819
.LBB804_883:                            ;   in Loop: Header=BB804_682 Depth=2
	v_lshlrev_b32_e32 v58, 2, v156
	ds_load_b32 v60, v58
	ds_load_b64 v[58:59], v123 offset:17408
	s_wait_dscnt 0x1
	v_add_nc_u32_e32 v60, v60, v105
	s_wait_dscnt 0x0
	global_store_b64 v60, v[58:59], s[44:45] scale_offset
	s_wait_xcnt 0x0
	s_or_b32 exec_lo, exec_lo, s15
	s_and_saveexec_b32 s15, s23
	s_cbranch_execz .LBB804_820
.LBB804_884:                            ;   in Loop: Header=BB804_682 Depth=2
	v_lshlrev_b32_e32 v58, 2, v155
	ds_load_b32 v60, v58
	ds_load_b64 v[58:59], v123 offset:19456
	s_wait_dscnt 0x1
	v_add_nc_u32_e32 v60, v60, v106
	s_wait_dscnt 0x0
	global_store_b64 v60, v[58:59], s[44:45] scale_offset
	s_wait_xcnt 0x0
	s_or_b32 exec_lo, exec_lo, s15
	s_and_saveexec_b32 s15, s24
	s_cbranch_execz .LBB804_821
.LBB804_885:                            ;   in Loop: Header=BB804_682 Depth=2
	v_lshlrev_b32_e32 v58, 2, v154
	ds_load_b32 v60, v58
	ds_load_b64 v[58:59], v123 offset:21504
	s_wait_dscnt 0x1
	v_add_nc_u32_e32 v60, v60, v107
	s_wait_dscnt 0x0
	global_store_b64 v60, v[58:59], s[44:45] scale_offset
	s_wait_xcnt 0x0
	s_or_b32 exec_lo, exec_lo, s15
	s_and_saveexec_b32 s15, s25
	s_cbranch_execz .LBB804_822
.LBB804_886:                            ;   in Loop: Header=BB804_682 Depth=2
	v_lshlrev_b32_e32 v58, 2, v153
	ds_load_b32 v60, v58
	ds_load_b64 v[58:59], v123 offset:23552
	s_wait_dscnt 0x1
	v_add_nc_u32_e32 v60, v60, v108
	s_wait_dscnt 0x0
	global_store_b64 v60, v[58:59], s[44:45] scale_offset
	s_wait_xcnt 0x0
	s_or_b32 exec_lo, exec_lo, s15
	s_and_saveexec_b32 s15, s26
	s_cbranch_execz .LBB804_823
.LBB804_887:                            ;   in Loop: Header=BB804_682 Depth=2
	v_lshlrev_b32_e32 v58, 2, v152
	ds_load_b32 v60, v58
	ds_load_b64 v[58:59], v123 offset:25600
	s_wait_dscnt 0x1
	v_add_nc_u32_e32 v60, v60, v109
	s_wait_dscnt 0x0
	global_store_b64 v60, v[58:59], s[44:45] scale_offset
	s_wait_xcnt 0x0
	s_or_b32 exec_lo, exec_lo, s15
	s_and_saveexec_b32 s15, s27
	s_cbranch_execz .LBB804_824
.LBB804_888:                            ;   in Loop: Header=BB804_682 Depth=2
	v_lshlrev_b32_e32 v58, 2, v151
	ds_load_b32 v60, v58
	ds_load_b64 v[58:59], v123 offset:27648
	s_wait_dscnt 0x1
	v_add_nc_u32_e32 v60, v60, v110
	s_wait_dscnt 0x0
	global_store_b64 v60, v[58:59], s[44:45] scale_offset
	s_wait_xcnt 0x0
	s_or_b32 exec_lo, exec_lo, s15
	s_and_saveexec_b32 s15, s28
	s_cbranch_execz .LBB804_825
.LBB804_889:                            ;   in Loop: Header=BB804_682 Depth=2
	v_lshlrev_b32_e32 v58, 2, v150
	ds_load_b32 v60, v58
	ds_load_b64 v[58:59], v123 offset:29696
	s_wait_dscnt 0x1
	v_add_nc_u32_e32 v60, v60, v111
	s_wait_dscnt 0x0
	global_store_b64 v60, v[58:59], s[44:45] scale_offset
	s_wait_xcnt 0x0
	s_or_b32 exec_lo, exec_lo, s15
	s_and_saveexec_b32 s15, s29
	s_cbranch_execnz .LBB804_826
	s_branch .LBB804_827
.LBB804_890:                            ;   in Loop: Header=BB804_12 Depth=1
	s_wait_dscnt 0x0
	s_barrier_signal -1
	s_mov_b32 s7, 0
	s_barrier_wait -1
.LBB804_891:                            ;   in Loop: Header=BB804_12 Depth=1
	s_and_b32 vcc_lo, exec_lo, s7
	s_cbranch_vccz .LBB804_11
; %bb.892:                              ;   in Loop: Header=BB804_12 Depth=1
	s_mov_b32 s7, s54
	s_mov_b32 s30, s52
	s_barrier_signal -1
	s_barrier_wait -1
                                        ; implicit-def: $vgpr22_vgpr23
                                        ; implicit-def: $vgpr24_vgpr25
                                        ; implicit-def: $vgpr26_vgpr27
                                        ; implicit-def: $vgpr28_vgpr29
                                        ; implicit-def: $vgpr30_vgpr31
                                        ; implicit-def: $vgpr32_vgpr33
                                        ; implicit-def: $vgpr34_vgpr35
                                        ; implicit-def: $vgpr36_vgpr37
                                        ; implicit-def: $vgpr38_vgpr39
                                        ; implicit-def: $vgpr40_vgpr41
                                        ; implicit-def: $vgpr42_vgpr43
                                        ; implicit-def: $vgpr44_vgpr45
                                        ; implicit-def: $vgpr46_vgpr47
                                        ; implicit-def: $vgpr48_vgpr49
                                        ; implicit-def: $vgpr50_vgpr51
                                        ; implicit-def: $vgpr52_vgpr53
	s_branch .LBB804_894
.LBB804_893:                            ;   in Loop: Header=BB804_894 Depth=2
	s_or_b32 exec_lo, exec_lo, s8
	s_addk_co_i32 s7, 0xf000
	s_cmp_ge_u32 s10, s51
	s_mov_b32 s30, s10
	s_cbranch_scc1 .LBB804_962
.LBB804_894:                            ;   Parent Loop BB804_12 Depth=1
                                        ; =>  This Inner Loop Header: Depth=2
	s_add_co_i32 s10, s30, 0x1000
	s_mov_b32 s8, -1
	s_cmp_gt_u32 s10, s51
                                        ; implicit-def: $vgpr54_vgpr55
                                        ; implicit-def: $vgpr56_vgpr57
                                        ; implicit-def: $vgpr58_vgpr59
                                        ; implicit-def: $vgpr60_vgpr61
                                        ; implicit-def: $vgpr62_vgpr63
                                        ; implicit-def: $vgpr64_vgpr65
                                        ; implicit-def: $vgpr66_vgpr67
                                        ; implicit-def: $vgpr68_vgpr69
                                        ; implicit-def: $vgpr70_vgpr71
                                        ; implicit-def: $vgpr72_vgpr73
                                        ; implicit-def: $vgpr74_vgpr75
                                        ; implicit-def: $vgpr76_vgpr77
                                        ; implicit-def: $vgpr78_vgpr79
                                        ; implicit-def: $vgpr80_vgpr81
                                        ; implicit-def: $vgpr82_vgpr83
                                        ; implicit-def: $vgpr84_vgpr85
	s_cbranch_scc1 .LBB804_896
; %bb.895:                              ;   in Loop: Header=BB804_894 Depth=2
	v_lshl_add_u64 v[84:85], s[30:31], 3, v[16:17]
	s_mov_b32 s8, 0
	s_clause 0xf
	global_load_b64 v[54:55], v[84:85], off
	global_load_b64 v[56:57], v[84:85], off offset:2048
	global_load_b64 v[58:59], v[84:85], off offset:4096
	;; [unrolled: 1-line block ×15, first 2 shown]
.LBB804_896:                            ;   in Loop: Header=BB804_894 Depth=2
	s_and_not1_b32 vcc_lo, exec_lo, s8
	s_movk_i32 s8, 0x1000
	s_cbranch_vccnz .LBB804_915
; %bb.897:                              ;   in Loop: Header=BB804_894 Depth=2
	s_lshl_b64 s[8:9], s[30:31], 3
	s_mov_b32 s11, exec_lo
	s_add_nc_u64 s[8:9], s[36:37], s[8:9]
	s_wait_xcnt 0x0
	v_cmpx_gt_u32_e64 s7, v2
	s_cbranch_execnz .LBB804_947
; %bb.898:                              ;   in Loop: Header=BB804_894 Depth=2
	s_or_b32 exec_lo, exec_lo, s11
	s_delay_alu instid0(SALU_CYCLE_1)
	s_mov_b32 s11, exec_lo
	v_cmpx_gt_u32_e64 s7, v98
	s_cbranch_execnz .LBB804_948
.LBB804_899:                            ;   in Loop: Header=BB804_894 Depth=2
	s_or_b32 exec_lo, exec_lo, s11
	s_delay_alu instid0(SALU_CYCLE_1)
	s_mov_b32 s11, exec_lo
	v_cmpx_gt_u32_e64 s7, v99
	s_cbranch_execnz .LBB804_949
.LBB804_900:                            ;   in Loop: Header=BB804_894 Depth=2
	s_or_b32 exec_lo, exec_lo, s11
	s_delay_alu instid0(SALU_CYCLE_1)
	s_mov_b32 s11, exec_lo
	v_cmpx_gt_u32_e64 s7, v100
	s_cbranch_execnz .LBB804_950
.LBB804_901:                            ;   in Loop: Header=BB804_894 Depth=2
	s_or_b32 exec_lo, exec_lo, s11
	s_delay_alu instid0(SALU_CYCLE_1)
	s_mov_b32 s11, exec_lo
	v_cmpx_gt_u32_e64 s7, v101
	s_cbranch_execnz .LBB804_951
.LBB804_902:                            ;   in Loop: Header=BB804_894 Depth=2
	s_or_b32 exec_lo, exec_lo, s11
	s_delay_alu instid0(SALU_CYCLE_1)
	s_mov_b32 s11, exec_lo
	v_cmpx_gt_u32_e64 s7, v102
	s_cbranch_execnz .LBB804_952
.LBB804_903:                            ;   in Loop: Header=BB804_894 Depth=2
	s_or_b32 exec_lo, exec_lo, s11
	s_delay_alu instid0(SALU_CYCLE_1)
	s_mov_b32 s11, exec_lo
	v_cmpx_gt_u32_e64 s7, v103
	s_cbranch_execnz .LBB804_953
.LBB804_904:                            ;   in Loop: Header=BB804_894 Depth=2
	s_or_b32 exec_lo, exec_lo, s11
	s_delay_alu instid0(SALU_CYCLE_1)
	s_mov_b32 s11, exec_lo
	v_cmpx_gt_u32_e64 s7, v104
	s_cbranch_execnz .LBB804_954
.LBB804_905:                            ;   in Loop: Header=BB804_894 Depth=2
	s_or_b32 exec_lo, exec_lo, s11
	s_delay_alu instid0(SALU_CYCLE_1)
	s_mov_b32 s11, exec_lo
	v_cmpx_gt_u32_e64 s7, v105
	s_cbranch_execnz .LBB804_955
.LBB804_906:                            ;   in Loop: Header=BB804_894 Depth=2
	s_or_b32 exec_lo, exec_lo, s11
	s_delay_alu instid0(SALU_CYCLE_1)
	s_mov_b32 s11, exec_lo
	v_cmpx_gt_u32_e64 s7, v106
	s_cbranch_execnz .LBB804_956
.LBB804_907:                            ;   in Loop: Header=BB804_894 Depth=2
	s_or_b32 exec_lo, exec_lo, s11
	s_delay_alu instid0(SALU_CYCLE_1)
	s_mov_b32 s11, exec_lo
	v_cmpx_gt_u32_e64 s7, v107
	s_cbranch_execnz .LBB804_957
.LBB804_908:                            ;   in Loop: Header=BB804_894 Depth=2
	s_or_b32 exec_lo, exec_lo, s11
	s_delay_alu instid0(SALU_CYCLE_1)
	s_mov_b32 s11, exec_lo
	v_cmpx_gt_u32_e64 s7, v108
	s_cbranch_execnz .LBB804_958
.LBB804_909:                            ;   in Loop: Header=BB804_894 Depth=2
	s_or_b32 exec_lo, exec_lo, s11
	s_delay_alu instid0(SALU_CYCLE_1)
	s_mov_b32 s11, exec_lo
	v_cmpx_gt_u32_e64 s7, v109
	s_cbranch_execnz .LBB804_959
.LBB804_910:                            ;   in Loop: Header=BB804_894 Depth=2
	s_or_b32 exec_lo, exec_lo, s11
	s_delay_alu instid0(SALU_CYCLE_1)
	s_mov_b32 s11, exec_lo
	v_cmpx_gt_u32_e64 s7, v110
	s_cbranch_execnz .LBB804_960
.LBB804_911:                            ;   in Loop: Header=BB804_894 Depth=2
	s_or_b32 exec_lo, exec_lo, s11
	s_delay_alu instid0(SALU_CYCLE_1)
	s_mov_b32 s11, exec_lo
	v_cmpx_gt_u32_e64 s7, v111
	s_cbranch_execnz .LBB804_961
.LBB804_912:                            ;   in Loop: Header=BB804_894 Depth=2
	s_or_b32 exec_lo, exec_lo, s11
	s_delay_alu instid0(SALU_CYCLE_1)
	s_mov_b32 s11, exec_lo
	v_cmpx_gt_u32_e64 s7, v112
	s_cbranch_execz .LBB804_914
.LBB804_913:                            ;   in Loop: Header=BB804_894 Depth=2
	global_load_b64 v[22:23], v2, s[8:9] offset:30720 scale_offset
.LBB804_914:                            ;   in Loop: Header=BB804_894 Depth=2
	s_wait_xcnt 0x0
	s_or_b32 exec_lo, exec_lo, s11
	s_wait_loadcnt 0x0
	v_mov_b64_e32 v[54:55], v[52:53]
	v_mov_b64_e32 v[56:57], v[50:51]
	;; [unrolled: 1-line block ×16, first 2 shown]
	s_mov_b32 s8, s7
.LBB804_915:                            ;   in Loop: Header=BB804_894 Depth=2
	s_wait_loadcnt 0x0
	s_delay_alu instid0(VALU_DEP_1) | instskip(NEXT) | instid1(VALU_DEP_3)
	v_mov_b64_e32 v[22:23], v[84:85]
	v_mov_b64_e32 v[24:25], v[82:83]
	;; [unrolled: 1-line block ×16, first 2 shown]
	s_mov_b32 s9, exec_lo
	s_wait_xcnt 0x0
	v_cmpx_gt_u32_e64 s8, v2
	s_cbranch_execnz .LBB804_931
; %bb.916:                              ;   in Loop: Header=BB804_894 Depth=2
	s_or_b32 exec_lo, exec_lo, s9
	s_delay_alu instid0(SALU_CYCLE_1)
	s_mov_b32 s9, exec_lo
	v_cmpx_gt_u32_e64 s8, v98
	s_cbranch_execnz .LBB804_932
.LBB804_917:                            ;   in Loop: Header=BB804_894 Depth=2
	s_or_b32 exec_lo, exec_lo, s9
	s_delay_alu instid0(SALU_CYCLE_1)
	s_mov_b32 s9, exec_lo
	v_cmpx_gt_u32_e64 s8, v99
	s_cbranch_execnz .LBB804_933
.LBB804_918:                            ;   in Loop: Header=BB804_894 Depth=2
	s_or_b32 exec_lo, exec_lo, s9
	s_delay_alu instid0(SALU_CYCLE_1)
	s_mov_b32 s9, exec_lo
	v_cmpx_gt_u32_e64 s8, v100
	s_cbranch_execnz .LBB804_934
.LBB804_919:                            ;   in Loop: Header=BB804_894 Depth=2
	s_or_b32 exec_lo, exec_lo, s9
	s_delay_alu instid0(SALU_CYCLE_1)
	s_mov_b32 s9, exec_lo
	v_cmpx_gt_u32_e64 s8, v101
	s_cbranch_execnz .LBB804_935
.LBB804_920:                            ;   in Loop: Header=BB804_894 Depth=2
	s_or_b32 exec_lo, exec_lo, s9
	s_delay_alu instid0(SALU_CYCLE_1)
	s_mov_b32 s9, exec_lo
	v_cmpx_gt_u32_e64 s8, v102
	s_cbranch_execnz .LBB804_936
.LBB804_921:                            ;   in Loop: Header=BB804_894 Depth=2
	s_or_b32 exec_lo, exec_lo, s9
	s_delay_alu instid0(SALU_CYCLE_1)
	s_mov_b32 s9, exec_lo
	v_cmpx_gt_u32_e64 s8, v103
	s_cbranch_execnz .LBB804_937
.LBB804_922:                            ;   in Loop: Header=BB804_894 Depth=2
	s_or_b32 exec_lo, exec_lo, s9
	s_delay_alu instid0(SALU_CYCLE_1)
	s_mov_b32 s9, exec_lo
	v_cmpx_gt_u32_e64 s8, v104
	s_cbranch_execnz .LBB804_938
.LBB804_923:                            ;   in Loop: Header=BB804_894 Depth=2
	s_or_b32 exec_lo, exec_lo, s9
	s_delay_alu instid0(SALU_CYCLE_1)
	s_mov_b32 s9, exec_lo
	v_cmpx_gt_u32_e64 s8, v105
	s_cbranch_execnz .LBB804_939
.LBB804_924:                            ;   in Loop: Header=BB804_894 Depth=2
	s_or_b32 exec_lo, exec_lo, s9
	s_delay_alu instid0(SALU_CYCLE_1)
	s_mov_b32 s9, exec_lo
	v_cmpx_gt_u32_e64 s8, v106
	s_cbranch_execnz .LBB804_940
.LBB804_925:                            ;   in Loop: Header=BB804_894 Depth=2
	s_or_b32 exec_lo, exec_lo, s9
	s_delay_alu instid0(SALU_CYCLE_1)
	s_mov_b32 s9, exec_lo
	v_cmpx_gt_u32_e64 s8, v107
	s_cbranch_execnz .LBB804_941
.LBB804_926:                            ;   in Loop: Header=BB804_894 Depth=2
	s_or_b32 exec_lo, exec_lo, s9
	s_delay_alu instid0(SALU_CYCLE_1)
	s_mov_b32 s9, exec_lo
	v_cmpx_gt_u32_e64 s8, v108
	s_cbranch_execnz .LBB804_942
.LBB804_927:                            ;   in Loop: Header=BB804_894 Depth=2
	s_or_b32 exec_lo, exec_lo, s9
	s_delay_alu instid0(SALU_CYCLE_1)
	s_mov_b32 s9, exec_lo
	v_cmpx_gt_u32_e64 s8, v109
	s_cbranch_execnz .LBB804_943
.LBB804_928:                            ;   in Loop: Header=BB804_894 Depth=2
	s_or_b32 exec_lo, exec_lo, s9
	s_delay_alu instid0(SALU_CYCLE_1)
	s_mov_b32 s9, exec_lo
	v_cmpx_gt_u32_e64 s8, v110
	s_cbranch_execnz .LBB804_944
.LBB804_929:                            ;   in Loop: Header=BB804_894 Depth=2
	s_or_b32 exec_lo, exec_lo, s9
	s_delay_alu instid0(SALU_CYCLE_1)
	s_mov_b32 s9, exec_lo
	v_cmpx_gt_u32_e64 s8, v111
	s_cbranch_execnz .LBB804_945
.LBB804_930:                            ;   in Loop: Header=BB804_894 Depth=2
	s_or_b32 exec_lo, exec_lo, s9
	v_cmp_gt_u32_e32 vcc_lo, s8, v112
	s_and_saveexec_b32 s8, vcc_lo
	s_cbranch_execz .LBB804_893
	s_branch .LBB804_946
.LBB804_931:                            ;   in Loop: Header=BB804_894 Depth=2
	s_delay_alu instid0(VALU_DEP_2) | instskip(NEXT) | instid1(VALU_DEP_3)
	v_xor_b32_e32 v55, 0x80000000, v53
	v_mov_b32_e32 v54, v52
	s_delay_alu instid0(VALU_DEP_1) | instskip(NEXT) | instid1(VALU_DEP_1)
	v_lshrrev_b64 v[54:55], s43, v[54:55]
	v_and_b32_e32 v54, s55, v54
	s_delay_alu instid0(VALU_DEP_1) | instskip(SKIP_2) | instid1(SALU_CYCLE_1)
	v_lshl_or_b32 v54, v54, 4, v113
	ds_add_u32 v54, v125
	s_or_b32 exec_lo, exec_lo, s9
	s_mov_b32 s9, exec_lo
	v_cmpx_gt_u32_e64 s8, v98
	s_cbranch_execz .LBB804_917
.LBB804_932:                            ;   in Loop: Header=BB804_894 Depth=2
	v_xor_b32_e32 v55, 0x80000000, v51
	v_mov_b32_e32 v54, v50
	s_delay_alu instid0(VALU_DEP_1) | instskip(NEXT) | instid1(VALU_DEP_1)
	v_lshrrev_b64 v[54:55], s43, v[54:55]
	v_and_b32_e32 v54, s55, v54
	s_delay_alu instid0(VALU_DEP_1) | instskip(SKIP_2) | instid1(SALU_CYCLE_1)
	v_lshl_or_b32 v54, v54, 4, v113
	ds_add_u32 v54, v125
	s_or_b32 exec_lo, exec_lo, s9
	s_mov_b32 s9, exec_lo
	v_cmpx_gt_u32_e64 s8, v99
	s_cbranch_execz .LBB804_918
.LBB804_933:                            ;   in Loop: Header=BB804_894 Depth=2
	v_xor_b32_e32 v55, 0x80000000, v49
	v_mov_b32_e32 v54, v48
	s_delay_alu instid0(VALU_DEP_1) | instskip(NEXT) | instid1(VALU_DEP_1)
	v_lshrrev_b64 v[54:55], s43, v[54:55]
	v_and_b32_e32 v54, s55, v54
	s_delay_alu instid0(VALU_DEP_1) | instskip(SKIP_2) | instid1(SALU_CYCLE_1)
	v_lshl_or_b32 v54, v54, 4, v113
	ds_add_u32 v54, v125
	s_or_b32 exec_lo, exec_lo, s9
	s_mov_b32 s9, exec_lo
	v_cmpx_gt_u32_e64 s8, v100
	s_cbranch_execz .LBB804_919
.LBB804_934:                            ;   in Loop: Header=BB804_894 Depth=2
	v_xor_b32_e32 v55, 0x80000000, v47
	v_mov_b32_e32 v54, v46
	s_delay_alu instid0(VALU_DEP_1) | instskip(NEXT) | instid1(VALU_DEP_1)
	v_lshrrev_b64 v[54:55], s43, v[54:55]
	v_and_b32_e32 v54, s55, v54
	s_delay_alu instid0(VALU_DEP_1) | instskip(SKIP_2) | instid1(SALU_CYCLE_1)
	v_lshl_or_b32 v54, v54, 4, v113
	ds_add_u32 v54, v125
	s_or_b32 exec_lo, exec_lo, s9
	s_mov_b32 s9, exec_lo
	v_cmpx_gt_u32_e64 s8, v101
	s_cbranch_execz .LBB804_920
.LBB804_935:                            ;   in Loop: Header=BB804_894 Depth=2
	v_xor_b32_e32 v55, 0x80000000, v45
	v_mov_b32_e32 v54, v44
	s_delay_alu instid0(VALU_DEP_1) | instskip(NEXT) | instid1(VALU_DEP_1)
	v_lshrrev_b64 v[54:55], s43, v[54:55]
	v_and_b32_e32 v54, s55, v54
	s_delay_alu instid0(VALU_DEP_1) | instskip(SKIP_2) | instid1(SALU_CYCLE_1)
	v_lshl_or_b32 v54, v54, 4, v113
	ds_add_u32 v54, v125
	s_or_b32 exec_lo, exec_lo, s9
	s_mov_b32 s9, exec_lo
	v_cmpx_gt_u32_e64 s8, v102
	s_cbranch_execz .LBB804_921
.LBB804_936:                            ;   in Loop: Header=BB804_894 Depth=2
	v_xor_b32_e32 v55, 0x80000000, v43
	v_mov_b32_e32 v54, v42
	s_delay_alu instid0(VALU_DEP_1) | instskip(NEXT) | instid1(VALU_DEP_1)
	v_lshrrev_b64 v[54:55], s43, v[54:55]
	v_and_b32_e32 v54, s55, v54
	s_delay_alu instid0(VALU_DEP_1) | instskip(SKIP_2) | instid1(SALU_CYCLE_1)
	v_lshl_or_b32 v54, v54, 4, v113
	ds_add_u32 v54, v125
	s_or_b32 exec_lo, exec_lo, s9
	s_mov_b32 s9, exec_lo
	v_cmpx_gt_u32_e64 s8, v103
	s_cbranch_execz .LBB804_922
.LBB804_937:                            ;   in Loop: Header=BB804_894 Depth=2
	v_xor_b32_e32 v55, 0x80000000, v41
	v_mov_b32_e32 v54, v40
	s_delay_alu instid0(VALU_DEP_1) | instskip(NEXT) | instid1(VALU_DEP_1)
	v_lshrrev_b64 v[54:55], s43, v[54:55]
	v_and_b32_e32 v54, s55, v54
	s_delay_alu instid0(VALU_DEP_1) | instskip(SKIP_2) | instid1(SALU_CYCLE_1)
	v_lshl_or_b32 v54, v54, 4, v113
	ds_add_u32 v54, v125
	s_or_b32 exec_lo, exec_lo, s9
	s_mov_b32 s9, exec_lo
	v_cmpx_gt_u32_e64 s8, v104
	s_cbranch_execz .LBB804_923
.LBB804_938:                            ;   in Loop: Header=BB804_894 Depth=2
	v_xor_b32_e32 v55, 0x80000000, v39
	v_mov_b32_e32 v54, v38
	s_delay_alu instid0(VALU_DEP_1) | instskip(NEXT) | instid1(VALU_DEP_1)
	v_lshrrev_b64 v[54:55], s43, v[54:55]
	v_and_b32_e32 v54, s55, v54
	s_delay_alu instid0(VALU_DEP_1) | instskip(SKIP_2) | instid1(SALU_CYCLE_1)
	v_lshl_or_b32 v54, v54, 4, v113
	ds_add_u32 v54, v125
	s_or_b32 exec_lo, exec_lo, s9
	s_mov_b32 s9, exec_lo
	v_cmpx_gt_u32_e64 s8, v105
	s_cbranch_execz .LBB804_924
.LBB804_939:                            ;   in Loop: Header=BB804_894 Depth=2
	v_xor_b32_e32 v55, 0x80000000, v37
	v_mov_b32_e32 v54, v36
	s_delay_alu instid0(VALU_DEP_1) | instskip(NEXT) | instid1(VALU_DEP_1)
	v_lshrrev_b64 v[54:55], s43, v[54:55]
	v_and_b32_e32 v54, s55, v54
	s_delay_alu instid0(VALU_DEP_1) | instskip(SKIP_2) | instid1(SALU_CYCLE_1)
	v_lshl_or_b32 v54, v54, 4, v113
	ds_add_u32 v54, v125
	s_or_b32 exec_lo, exec_lo, s9
	s_mov_b32 s9, exec_lo
	v_cmpx_gt_u32_e64 s8, v106
	s_cbranch_execz .LBB804_925
.LBB804_940:                            ;   in Loop: Header=BB804_894 Depth=2
	v_xor_b32_e32 v55, 0x80000000, v35
	v_mov_b32_e32 v54, v34
	s_delay_alu instid0(VALU_DEP_1) | instskip(NEXT) | instid1(VALU_DEP_1)
	v_lshrrev_b64 v[54:55], s43, v[54:55]
	v_and_b32_e32 v54, s55, v54
	s_delay_alu instid0(VALU_DEP_1) | instskip(SKIP_2) | instid1(SALU_CYCLE_1)
	v_lshl_or_b32 v54, v54, 4, v113
	ds_add_u32 v54, v125
	s_or_b32 exec_lo, exec_lo, s9
	s_mov_b32 s9, exec_lo
	v_cmpx_gt_u32_e64 s8, v107
	s_cbranch_execz .LBB804_926
.LBB804_941:                            ;   in Loop: Header=BB804_894 Depth=2
	v_xor_b32_e32 v55, 0x80000000, v33
	v_mov_b32_e32 v54, v32
	s_delay_alu instid0(VALU_DEP_1) | instskip(NEXT) | instid1(VALU_DEP_1)
	v_lshrrev_b64 v[54:55], s43, v[54:55]
	v_and_b32_e32 v54, s55, v54
	s_delay_alu instid0(VALU_DEP_1) | instskip(SKIP_2) | instid1(SALU_CYCLE_1)
	v_lshl_or_b32 v54, v54, 4, v113
	ds_add_u32 v54, v125
	s_or_b32 exec_lo, exec_lo, s9
	s_mov_b32 s9, exec_lo
	v_cmpx_gt_u32_e64 s8, v108
	s_cbranch_execz .LBB804_927
.LBB804_942:                            ;   in Loop: Header=BB804_894 Depth=2
	v_xor_b32_e32 v55, 0x80000000, v31
	v_mov_b32_e32 v54, v30
	s_delay_alu instid0(VALU_DEP_1) | instskip(NEXT) | instid1(VALU_DEP_1)
	v_lshrrev_b64 v[54:55], s43, v[54:55]
	v_and_b32_e32 v54, s55, v54
	s_delay_alu instid0(VALU_DEP_1) | instskip(SKIP_2) | instid1(SALU_CYCLE_1)
	v_lshl_or_b32 v54, v54, 4, v113
	ds_add_u32 v54, v125
	s_or_b32 exec_lo, exec_lo, s9
	s_mov_b32 s9, exec_lo
	v_cmpx_gt_u32_e64 s8, v109
	s_cbranch_execz .LBB804_928
.LBB804_943:                            ;   in Loop: Header=BB804_894 Depth=2
	v_xor_b32_e32 v55, 0x80000000, v29
	v_mov_b32_e32 v54, v28
	s_delay_alu instid0(VALU_DEP_1) | instskip(NEXT) | instid1(VALU_DEP_1)
	v_lshrrev_b64 v[54:55], s43, v[54:55]
	v_and_b32_e32 v54, s55, v54
	s_delay_alu instid0(VALU_DEP_1) | instskip(SKIP_2) | instid1(SALU_CYCLE_1)
	v_lshl_or_b32 v54, v54, 4, v113
	ds_add_u32 v54, v125
	s_or_b32 exec_lo, exec_lo, s9
	s_mov_b32 s9, exec_lo
	v_cmpx_gt_u32_e64 s8, v110
	s_cbranch_execz .LBB804_929
.LBB804_944:                            ;   in Loop: Header=BB804_894 Depth=2
	v_xor_b32_e32 v55, 0x80000000, v27
	v_mov_b32_e32 v54, v26
	s_delay_alu instid0(VALU_DEP_1) | instskip(NEXT) | instid1(VALU_DEP_1)
	v_lshrrev_b64 v[54:55], s43, v[54:55]
	v_and_b32_e32 v54, s55, v54
	s_delay_alu instid0(VALU_DEP_1) | instskip(SKIP_2) | instid1(SALU_CYCLE_1)
	v_lshl_or_b32 v54, v54, 4, v113
	ds_add_u32 v54, v125
	s_or_b32 exec_lo, exec_lo, s9
	s_mov_b32 s9, exec_lo
	v_cmpx_gt_u32_e64 s8, v111
	s_cbranch_execz .LBB804_930
.LBB804_945:                            ;   in Loop: Header=BB804_894 Depth=2
	v_xor_b32_e32 v55, 0x80000000, v25
	v_mov_b32_e32 v54, v24
	s_delay_alu instid0(VALU_DEP_1) | instskip(NEXT) | instid1(VALU_DEP_1)
	v_lshrrev_b64 v[54:55], s43, v[54:55]
	v_and_b32_e32 v54, s55, v54
	s_delay_alu instid0(VALU_DEP_1)
	v_lshl_or_b32 v54, v54, 4, v113
	ds_add_u32 v54, v125
	s_or_b32 exec_lo, exec_lo, s9
	v_cmp_gt_u32_e32 vcc_lo, s8, v112
	s_and_saveexec_b32 s8, vcc_lo
	s_cbranch_execz .LBB804_893
.LBB804_946:                            ;   in Loop: Header=BB804_894 Depth=2
	v_xor_b32_e32 v55, 0x80000000, v23
	v_mov_b32_e32 v54, v22
	s_delay_alu instid0(VALU_DEP_1) | instskip(NEXT) | instid1(VALU_DEP_1)
	v_lshrrev_b64 v[54:55], s43, v[54:55]
	v_and_b32_e32 v54, s55, v54
	s_delay_alu instid0(VALU_DEP_1)
	v_lshl_or_b32 v54, v54, 4, v113
	ds_add_u32 v54, v125
	s_branch .LBB804_893
.LBB804_947:                            ;   in Loop: Header=BB804_894 Depth=2
	global_load_b64 v[52:53], v2, s[8:9] scale_offset
	s_wait_xcnt 0x0
	s_or_b32 exec_lo, exec_lo, s11
	s_delay_alu instid0(SALU_CYCLE_1)
	s_mov_b32 s11, exec_lo
	v_cmpx_gt_u32_e64 s7, v98
	s_cbranch_execz .LBB804_899
.LBB804_948:                            ;   in Loop: Header=BB804_894 Depth=2
	global_load_b64 v[50:51], v2, s[8:9] offset:2048 scale_offset
	s_wait_xcnt 0x0
	s_or_b32 exec_lo, exec_lo, s11
	s_delay_alu instid0(SALU_CYCLE_1)
	s_mov_b32 s11, exec_lo
	v_cmpx_gt_u32_e64 s7, v99
	s_cbranch_execz .LBB804_900
.LBB804_949:                            ;   in Loop: Header=BB804_894 Depth=2
	global_load_b64 v[48:49], v2, s[8:9] offset:4096 scale_offset
	s_wait_xcnt 0x0
	s_or_b32 exec_lo, exec_lo, s11
	s_delay_alu instid0(SALU_CYCLE_1)
	s_mov_b32 s11, exec_lo
	v_cmpx_gt_u32_e64 s7, v100
	s_cbranch_execz .LBB804_901
.LBB804_950:                            ;   in Loop: Header=BB804_894 Depth=2
	global_load_b64 v[46:47], v2, s[8:9] offset:6144 scale_offset
	s_wait_xcnt 0x0
	s_or_b32 exec_lo, exec_lo, s11
	s_delay_alu instid0(SALU_CYCLE_1)
	s_mov_b32 s11, exec_lo
	v_cmpx_gt_u32_e64 s7, v101
	s_cbranch_execz .LBB804_902
.LBB804_951:                            ;   in Loop: Header=BB804_894 Depth=2
	global_load_b64 v[44:45], v2, s[8:9] offset:8192 scale_offset
	s_wait_xcnt 0x0
	s_or_b32 exec_lo, exec_lo, s11
	s_delay_alu instid0(SALU_CYCLE_1)
	s_mov_b32 s11, exec_lo
	v_cmpx_gt_u32_e64 s7, v102
	s_cbranch_execz .LBB804_903
.LBB804_952:                            ;   in Loop: Header=BB804_894 Depth=2
	global_load_b64 v[42:43], v2, s[8:9] offset:10240 scale_offset
	s_wait_xcnt 0x0
	s_or_b32 exec_lo, exec_lo, s11
	s_delay_alu instid0(SALU_CYCLE_1)
	s_mov_b32 s11, exec_lo
	v_cmpx_gt_u32_e64 s7, v103
	s_cbranch_execz .LBB804_904
.LBB804_953:                            ;   in Loop: Header=BB804_894 Depth=2
	global_load_b64 v[40:41], v2, s[8:9] offset:12288 scale_offset
	s_wait_xcnt 0x0
	s_or_b32 exec_lo, exec_lo, s11
	s_delay_alu instid0(SALU_CYCLE_1)
	s_mov_b32 s11, exec_lo
	v_cmpx_gt_u32_e64 s7, v104
	s_cbranch_execz .LBB804_905
.LBB804_954:                            ;   in Loop: Header=BB804_894 Depth=2
	global_load_b64 v[38:39], v2, s[8:9] offset:14336 scale_offset
	s_wait_xcnt 0x0
	s_or_b32 exec_lo, exec_lo, s11
	s_delay_alu instid0(SALU_CYCLE_1)
	s_mov_b32 s11, exec_lo
	v_cmpx_gt_u32_e64 s7, v105
	s_cbranch_execz .LBB804_906
.LBB804_955:                            ;   in Loop: Header=BB804_894 Depth=2
	global_load_b64 v[36:37], v2, s[8:9] offset:16384 scale_offset
	s_wait_xcnt 0x0
	s_or_b32 exec_lo, exec_lo, s11
	s_delay_alu instid0(SALU_CYCLE_1)
	s_mov_b32 s11, exec_lo
	v_cmpx_gt_u32_e64 s7, v106
	s_cbranch_execz .LBB804_907
.LBB804_956:                            ;   in Loop: Header=BB804_894 Depth=2
	global_load_b64 v[34:35], v2, s[8:9] offset:18432 scale_offset
	s_wait_xcnt 0x0
	s_or_b32 exec_lo, exec_lo, s11
	s_delay_alu instid0(SALU_CYCLE_1)
	s_mov_b32 s11, exec_lo
	v_cmpx_gt_u32_e64 s7, v107
	s_cbranch_execz .LBB804_908
.LBB804_957:                            ;   in Loop: Header=BB804_894 Depth=2
	global_load_b64 v[32:33], v2, s[8:9] offset:20480 scale_offset
	s_wait_xcnt 0x0
	s_or_b32 exec_lo, exec_lo, s11
	s_delay_alu instid0(SALU_CYCLE_1)
	s_mov_b32 s11, exec_lo
	v_cmpx_gt_u32_e64 s7, v108
	s_cbranch_execz .LBB804_909
.LBB804_958:                            ;   in Loop: Header=BB804_894 Depth=2
	global_load_b64 v[30:31], v2, s[8:9] offset:22528 scale_offset
	s_wait_xcnt 0x0
	s_or_b32 exec_lo, exec_lo, s11
	s_delay_alu instid0(SALU_CYCLE_1)
	s_mov_b32 s11, exec_lo
	v_cmpx_gt_u32_e64 s7, v109
	s_cbranch_execz .LBB804_910
.LBB804_959:                            ;   in Loop: Header=BB804_894 Depth=2
	global_load_b64 v[28:29], v2, s[8:9] offset:24576 scale_offset
	s_wait_xcnt 0x0
	s_or_b32 exec_lo, exec_lo, s11
	s_delay_alu instid0(SALU_CYCLE_1)
	s_mov_b32 s11, exec_lo
	v_cmpx_gt_u32_e64 s7, v110
	s_cbranch_execz .LBB804_911
.LBB804_960:                            ;   in Loop: Header=BB804_894 Depth=2
	global_load_b64 v[26:27], v2, s[8:9] offset:26624 scale_offset
	s_wait_xcnt 0x0
	s_or_b32 exec_lo, exec_lo, s11
	s_delay_alu instid0(SALU_CYCLE_1)
	s_mov_b32 s11, exec_lo
	v_cmpx_gt_u32_e64 s7, v111
	s_cbranch_execz .LBB804_912
.LBB804_961:                            ;   in Loop: Header=BB804_894 Depth=2
	global_load_b64 v[24:25], v2, s[8:9] offset:28672 scale_offset
	s_wait_xcnt 0x0
	s_or_b32 exec_lo, exec_lo, s11
	s_delay_alu instid0(SALU_CYCLE_1)
	s_mov_b32 s11, exec_lo
	v_cmpx_gt_u32_e64 s7, v112
	s_cbranch_execnz .LBB804_913
	s_branch .LBB804_914
.LBB804_962:                            ;   in Loop: Header=BB804_12 Depth=1
	v_mov_b32_e32 v22, 0
	s_wait_dscnt 0x0
	s_barrier_signal -1
	s_barrier_wait -1
	s_and_saveexec_b32 s7, s0
	s_cbranch_execz .LBB804_964
; %bb.963:                              ;   in Loop: Header=BB804_12 Depth=1
	ds_load_2addr_b64 v[22:25], v115 offset1:1
	s_wait_dscnt 0x0
	v_add_nc_u32_e32 v22, v23, v22
	s_delay_alu instid0(VALU_DEP_1)
	v_add3_u32 v22, v22, v24, v25
.LBB804_964:                            ;   in Loop: Header=BB804_12 Depth=1
	s_or_b32 exec_lo, exec_lo, s7
	s_delay_alu instid0(VALU_DEP_1)
	v_mov_b32_dpp v23, v22 row_shr:1 row_mask:0xf bank_mask:0xf
	v_cmp_eq_u32_e64 s7, 0, v126
	v_cmp_lt_u32_e64 s8, 1, v126
	v_cmp_lt_u32_e64 s9, 3, v126
	;; [unrolled: 1-line block ×3, first 2 shown]
	v_cmp_eq_u32_e64 s11, 0, v128
	v_cndmask_b32_e64 v23, v23, 0, s7
	s_delay_alu instid0(VALU_DEP_1) | instskip(NEXT) | instid1(VALU_DEP_1)
	v_add_nc_u32_e32 v22, v23, v22
	v_mov_b32_dpp v23, v22 row_shr:2 row_mask:0xf bank_mask:0xf
	s_delay_alu instid0(VALU_DEP_1) | instskip(NEXT) | instid1(VALU_DEP_1)
	v_cndmask_b32_e64 v23, 0, v23, s8
	v_add_nc_u32_e32 v22, v22, v23
	s_delay_alu instid0(VALU_DEP_1) | instskip(NEXT) | instid1(VALU_DEP_1)
	v_mov_b32_dpp v23, v22 row_shr:4 row_mask:0xf bank_mask:0xf
	v_cndmask_b32_e64 v23, 0, v23, s9
	s_delay_alu instid0(VALU_DEP_1) | instskip(NEXT) | instid1(VALU_DEP_1)
	v_add_nc_u32_e32 v22, v22, v23
	v_mov_b32_dpp v23, v22 row_shr:8 row_mask:0xf bank_mask:0xf
	s_delay_alu instid0(VALU_DEP_1) | instskip(NEXT) | instid1(VALU_DEP_1)
	v_cndmask_b32_e64 v23, 0, v23, s10
	v_add_nc_u32_e32 v22, v22, v23
	ds_swizzle_b32 v23, v22 offset:swizzle(BROADCAST,32,15)
	s_wait_dscnt 0x0
	v_and_b32_e32 v23, v127, v23
	s_delay_alu instid0(VALU_DEP_1)
	v_add_nc_u32_e32 v22, v22, v23
	s_and_saveexec_b32 s12, s1
; %bb.965:                              ;   in Loop: Header=BB804_12 Depth=1
	ds_store_b32 v116, v22
; %bb.966:                              ;   in Loop: Header=BB804_12 Depth=1
	s_or_b32 exec_lo, exec_lo, s12
	s_wait_dscnt 0x0
	s_barrier_signal -1
	s_barrier_wait -1
	s_and_saveexec_b32 s12, s4
	s_cbranch_execz .LBB804_968
; %bb.967:                              ;   in Loop: Header=BB804_12 Depth=1
	ds_load_b32 v23, v117
	v_cmp_ne_u32_e32 vcc_lo, 0, v130
	s_wait_dscnt 0x0
	v_mov_b32_dpp v24, v23 row_shr:1 row_mask:0xf bank_mask:0xf
	s_delay_alu instid0(VALU_DEP_1) | instskip(SKIP_1) | instid1(VALU_DEP_2)
	v_cndmask_b32_e32 v24, 0, v24, vcc_lo
	v_cmp_lt_u32_e32 vcc_lo, 1, v130
	v_add_nc_u32_e32 v23, v24, v23
	s_delay_alu instid0(VALU_DEP_1) | instskip(NEXT) | instid1(VALU_DEP_1)
	v_mov_b32_dpp v24, v23 row_shr:2 row_mask:0xf bank_mask:0xf
	v_cndmask_b32_e32 v24, 0, v24, vcc_lo
	v_cmp_lt_u32_e32 vcc_lo, 3, v130
	s_delay_alu instid0(VALU_DEP_2) | instskip(NEXT) | instid1(VALU_DEP_1)
	v_add_nc_u32_e32 v23, v23, v24
	v_mov_b32_dpp v24, v23 row_shr:4 row_mask:0xf bank_mask:0xf
	s_delay_alu instid0(VALU_DEP_1) | instskip(NEXT) | instid1(VALU_DEP_1)
	v_cndmask_b32_e32 v24, 0, v24, vcc_lo
	v_add_nc_u32_e32 v23, v23, v24
	ds_store_b32 v117, v23
.LBB804_968:                            ;   in Loop: Header=BB804_12 Depth=1
	s_or_b32 exec_lo, exec_lo, s12
	v_mov_b32_e32 v23, 0
	s_wait_dscnt 0x0
	s_barrier_signal -1
	s_barrier_wait -1
	s_and_saveexec_b32 s12, s5
; %bb.969:                              ;   in Loop: Header=BB804_12 Depth=1
	ds_load_b32 v23, v118
; %bb.970:                              ;   in Loop: Header=BB804_12 Depth=1
	s_or_b32 exec_lo, exec_lo, s12
	v_cmp_gt_i32_e32 vcc_lo, 0, v131
	s_wait_dscnt 0x0
	s_barrier_signal -1
	s_barrier_wait -1
	v_cndmask_b32_e32 v24, v131, v124, vcc_lo
	s_delay_alu instid0(VALU_DEP_1)
	v_dual_add_nc_u32 v22, v23, v22 :: v_dual_lshlrev_b32 v147, 2, v24
	ds_bpermute_b32 v22, v147, v22
	s_and_saveexec_b32 s12, s0
	s_cbranch_execz .LBB804_972
; %bb.971:                              ;   in Loop: Header=BB804_12 Depth=1
	s_wait_dscnt 0x0
	v_cndmask_b32_e64 v22, v22, v23, s6
	s_delay_alu instid0(VALU_DEP_1)
	v_add_nc_u32_e32 v22, s52, v22
	ds_store_b32 v3, v22
.LBB804_972:                            ;   in Loop: Header=BB804_12 Depth=1
	s_or_b32 exec_lo, exec_lo, s12
	s_load_b64 s[12:13], s[34:35], 0x0
	v_add_nc_u64_e32 v[24:25], v[20:21], v[4:5]
	s_mov_b32 s56, s54
                                        ; implicit-def: $vgpr28_vgpr29
                                        ; implicit-def: $vgpr30_vgpr31
                                        ; implicit-def: $vgpr32_vgpr33
                                        ; implicit-def: $vgpr34_vgpr35
                                        ; implicit-def: $vgpr36_vgpr37
                                        ; implicit-def: $vgpr38_vgpr39
                                        ; implicit-def: $vgpr40_vgpr41
                                        ; implicit-def: $vgpr42_vgpr43
                                        ; implicit-def: $vgpr44_vgpr45
                                        ; implicit-def: $vgpr46_vgpr47
                                        ; implicit-def: $vgpr48_vgpr49
                                        ; implicit-def: $vgpr50_vgpr51
                                        ; implicit-def: $vgpr52_vgpr53
                                        ; implicit-def: $vgpr54_vgpr55
                                        ; implicit-def: $vgpr56_vgpr57
                                        ; implicit-def: $vgpr149
                                        ; implicit-def: $vgpr150
                                        ; implicit-def: $vgpr151
                                        ; implicit-def: $vgpr152
                                        ; implicit-def: $vgpr153
                                        ; implicit-def: $vgpr154
                                        ; implicit-def: $vgpr155
                                        ; implicit-def: $vgpr156
                                        ; implicit-def: $vgpr157
                                        ; implicit-def: $vgpr158
                                        ; implicit-def: $vgpr159
                                        ; implicit-def: $vgpr160
                                        ; implicit-def: $vgpr161
                                        ; implicit-def: $vgpr162
                                        ; implicit-def: $vgpr163
                                        ; implicit-def: $vgpr164
	s_wait_kmcnt 0x0
	s_cmp_lt_u32 s33, s12
	s_cselect_b32 s30, 12, 18
	s_cmp_lt_u32 s42, s13
	s_mov_b32 s13, s31
	s_cselect_b32 s12, 14, 20
	s_delay_alu instid0(SALU_CYCLE_1)
	s_add_nc_u64 s[12:13], s[34:35], s[12:13]
	s_load_u16 s14, s[12:13], 0x0
	s_wait_xcnt 0x0
	s_add_nc_u64 s[12:13], s[34:35], s[30:31]
	s_mov_b32 s30, s52
	s_load_u16 s12, s[12:13], 0x0
	s_wait_xcnt 0x0
	v_cmp_lt_u32_e64 s13, 1, v130
	s_wait_dscnt 0x0
	s_wait_kmcnt 0x0
	v_mad_u32_u24 v22, v119, s14, v121
	v_cmp_lt_u32_e64 s14, 3, v130
	s_delay_alu instid0(VALU_DEP_2) | instskip(SKIP_1) | instid1(VALU_DEP_2)
	v_mad_u32 v22, v22, s12, v2
	v_cmp_eq_u32_e64 s12, 0, v130
	v_lshrrev_b32_e32 v26, 3, v22
	v_add_nc_u64_e32 v[22:23], v[18:19], v[4:5]
	s_delay_alu instid0(VALU_DEP_2)
	v_and_b32_e32 v148, 0x1ffffffc, v26
                                        ; implicit-def: $vgpr26_vgpr27
	s_branch .LBB804_974
.LBB804_973:                            ;   in Loop: Header=BB804_974 Depth=2
	s_or_b32 exec_lo, exec_lo, s15
	s_addk_co_i32 s56, 0xf000
	s_cmp_lt_u32 s57, s51
	s_mov_b32 s30, s57
	s_cbranch_scc0 .LBB804_10
.LBB804_974:                            ;   Parent Loop BB804_12 Depth=1
                                        ; =>  This Inner Loop Header: Depth=2
	s_add_co_i32 s57, s30, 0x1000
	s_delay_alu instid0(SALU_CYCLE_1)
	s_cmp_gt_u32 s57, s51
	s_cbranch_scc1 .LBB804_976
; %bb.975:                              ;   in Loop: Header=BB804_974 Depth=2
	v_lshl_add_u64 v[88:89], s[30:31], 3, v[24:25]
	s_mov_b32 s15, -1
	s_clause 0xe
	global_load_b64 v[60:61], v[88:89], off
	global_load_b64 v[58:59], v[88:89], off offset:256
	global_load_b64 v[64:65], v[88:89], off offset:512
	;; [unrolled: 1-line block ×14, first 2 shown]
	s_movk_i32 s16, 0x1000
	s_cbranch_execz .LBB804_977
	s_branch .LBB804_1008
.LBB804_976:                            ;   in Loop: Header=BB804_974 Depth=2
	s_mov_b32 s15, 0
                                        ; implicit-def: $vgpr60_vgpr61
                                        ; implicit-def: $vgpr58_vgpr59
                                        ; implicit-def: $vgpr64_vgpr65
                                        ; implicit-def: $vgpr62_vgpr63
                                        ; implicit-def: $vgpr68_vgpr69
                                        ; implicit-def: $vgpr66_vgpr67
                                        ; implicit-def: $vgpr72_vgpr73
                                        ; implicit-def: $vgpr70_vgpr71
                                        ; implicit-def: $vgpr76_vgpr77
                                        ; implicit-def: $vgpr74_vgpr75
                                        ; implicit-def: $vgpr80_vgpr81
                                        ; implicit-def: $vgpr78_vgpr79
                                        ; implicit-def: $vgpr84_vgpr85
                                        ; implicit-def: $vgpr82_vgpr83
                                        ; implicit-def: $vgpr86_vgpr87
	s_movk_i32 s16, 0x1000
.LBB804_977:                            ;   in Loop: Header=BB804_974 Depth=2
	s_wait_loadcnt 0xd
	v_mov_b64_e32 v[58:59], 0x7fffffffffffffff
	v_mov_b64_e32 v[60:61], 0x7fffffffffffffff
	s_wait_xcnt 0x0
	v_lshl_add_u64 v[88:89], s[30:31], 3, v[24:25]
	s_mov_b32 s15, exec_lo
	v_cmpx_gt_u32_e64 s56, v129
	s_cbranch_execz .LBB804_979
; %bb.978:                              ;   in Loop: Header=BB804_974 Depth=2
	global_load_b64 v[60:61], v[88:89], off
.LBB804_979:                            ;   in Loop: Header=BB804_974 Depth=2
	s_wait_xcnt 0x0
	s_or_b32 exec_lo, exec_lo, s15
	s_delay_alu instid0(SALU_CYCLE_1)
	s_mov_b32 s15, exec_lo
	v_cmpx_gt_u32_e64 s56, v132
	s_cbranch_execz .LBB804_981
; %bb.980:                              ;   in Loop: Header=BB804_974 Depth=2
	global_load_b64 v[58:59], v[88:89], off offset:256
.LBB804_981:                            ;   in Loop: Header=BB804_974 Depth=2
	s_wait_xcnt 0x0
	s_or_b32 exec_lo, exec_lo, s15
	s_wait_loadcnt 0xb
	v_mov_b64_e32 v[62:63], 0x7fffffffffffffff
	v_mov_b64_e32 v[64:65], 0x7fffffffffffffff
	s_mov_b32 s15, exec_lo
	v_cmpx_gt_u32_e64 s56, v133
	s_cbranch_execz .LBB804_983
; %bb.982:                              ;   in Loop: Header=BB804_974 Depth=2
	global_load_b64 v[64:65], v[88:89], off offset:512
.LBB804_983:                            ;   in Loop: Header=BB804_974 Depth=2
	s_wait_xcnt 0x0
	s_or_b32 exec_lo, exec_lo, s15
	s_delay_alu instid0(SALU_CYCLE_1)
	s_mov_b32 s15, exec_lo
	v_cmpx_gt_u32_e64 s56, v134
	s_cbranch_execz .LBB804_985
; %bb.984:                              ;   in Loop: Header=BB804_974 Depth=2
	global_load_b64 v[62:63], v[88:89], off offset:768
.LBB804_985:                            ;   in Loop: Header=BB804_974 Depth=2
	s_wait_xcnt 0x0
	s_or_b32 exec_lo, exec_lo, s15
	s_wait_loadcnt 0x9
	v_mov_b64_e32 v[66:67], 0x7fffffffffffffff
	v_mov_b64_e32 v[68:69], 0x7fffffffffffffff
	s_mov_b32 s15, exec_lo
	v_cmpx_gt_u32_e64 s56, v135
	s_cbranch_execz .LBB804_987
; %bb.986:                              ;   in Loop: Header=BB804_974 Depth=2
	global_load_b64 v[68:69], v[88:89], off offset:1024
.LBB804_987:                            ;   in Loop: Header=BB804_974 Depth=2
	;; [unrolled: 20-line block ×5, first 2 shown]
	s_wait_xcnt 0x0
	s_or_b32 exec_lo, exec_lo, s15
	s_delay_alu instid0(SALU_CYCLE_1)
	s_mov_b32 s15, exec_lo
	v_cmpx_gt_u32_e64 s56, v142
	s_cbranch_execz .LBB804_1001
; %bb.1000:                             ;   in Loop: Header=BB804_974 Depth=2
	global_load_b64 v[78:79], v[88:89], off offset:2816
.LBB804_1001:                           ;   in Loop: Header=BB804_974 Depth=2
	s_wait_xcnt 0x0
	s_or_b32 exec_lo, exec_lo, s15
	s_wait_loadcnt 0x1
	v_mov_b64_e32 v[82:83], 0x7fffffffffffffff
	v_mov_b64_e32 v[84:85], 0x7fffffffffffffff
	s_mov_b32 s15, exec_lo
	v_cmpx_gt_u32_e64 s56, v143
	s_cbranch_execz .LBB804_1003
; %bb.1002:                             ;   in Loop: Header=BB804_974 Depth=2
	global_load_b64 v[84:85], v[88:89], off offset:3072
.LBB804_1003:                           ;   in Loop: Header=BB804_974 Depth=2
	s_wait_xcnt 0x0
	s_or_b32 exec_lo, exec_lo, s15
	s_delay_alu instid0(SALU_CYCLE_1)
	s_mov_b32 s15, exec_lo
	v_cmpx_gt_u32_e64 s56, v144
	s_cbranch_execz .LBB804_1005
; %bb.1004:                             ;   in Loop: Header=BB804_974 Depth=2
	global_load_b64 v[82:83], v[88:89], off offset:3328
.LBB804_1005:                           ;   in Loop: Header=BB804_974 Depth=2
	s_wait_xcnt 0x0
	s_or_b32 exec_lo, exec_lo, s15
	s_wait_loadcnt 0x0
	v_mov_b64_e32 v[86:87], 0x7fffffffffffffff
	s_mov_b32 s15, exec_lo
	v_cmpx_gt_u32_e64 s56, v145
	s_cbranch_execz .LBB804_1007
; %bb.1006:                             ;   in Loop: Header=BB804_974 Depth=2
	global_load_b64 v[86:87], v[88:89], off offset:3584
.LBB804_1007:                           ;   in Loop: Header=BB804_974 Depth=2
	s_wait_xcnt 0x0
	s_or_b32 exec_lo, exec_lo, s15
	v_cmp_gt_u32_e64 s15, s56, v146
	s_sub_co_i32 s16, s51, s30
.LBB804_1008:                           ;   in Loop: Header=BB804_974 Depth=2
	s_wait_xcnt 0x0
	v_mov_b64_e32 v[88:89], -1
	v_mov_b32_e32 v165, s56
	s_and_saveexec_b32 s17, s15
	s_cbranch_execz .LBB804_1010
; %bb.1009:                             ;   in Loop: Header=BB804_974 Depth=2
	v_lshl_add_u64 v[88:89], s[30:31], 3, v[24:25]
	v_mov_b32_e32 v165, s16
	global_load_b64 v[88:89], v[88:89], off offset:3840
	s_wait_loadcnt 0x0
	s_wait_xcnt 0x0
	v_xor_b32_e32 v89, 0x80000000, v89
.LBB804_1010:                           ;   in Loop: Header=BB804_974 Depth=2
	s_or_b32 exec_lo, exec_lo, s17
	s_wait_loadcnt 0xe
	v_xor_b32_e32 v61, 0x80000000, v61
	v_add_nc_u32_e32 v169, 0x428, v120
	v_add_nc_u32_e32 v170, 0x430, v120
	s_delay_alu instid0(VALU_DEP_3) | instskip(NEXT) | instid1(VALU_DEP_1)
	v_lshrrev_b64 v[90:91], s43, v[60:61]
	v_bitop3_b32 v91, v90, 1, s55 bitop3:0x80
	v_and_b32_e32 v92, s55, v90
	s_delay_alu instid0(VALU_DEP_2) | instskip(NEXT) | instid1(VALU_DEP_1)
	v_add_co_u32 v90, s15, v91, -1
	v_cndmask_b32_e64 v91, 0, 1, s15
	s_delay_alu instid0(VALU_DEP_3) | instskip(NEXT) | instid1(VALU_DEP_2)
	v_lshlrev_b32_e32 v93, 30, v92
	v_cmp_ne_u32_e32 vcc_lo, 0, v91
	s_delay_alu instid0(VALU_DEP_2) | instskip(NEXT) | instid1(VALU_DEP_1)
	v_not_b32_e32 v91, v93
	v_dual_ashrrev_i32 v91, 31, v91 :: v_dual_bitop2_b32 v90, vcc_lo, v90 bitop3:0x14
	v_dual_lshlrev_b32 v94, 29, v92 :: v_dual_lshlrev_b32 v95, 28, v92
	v_dual_lshlrev_b32 v96, 27, v92 :: v_dual_lshlrev_b32 v97, 26, v92
	v_lshlrev_b32_e32 v166, 25, v92
	v_cmp_gt_i32_e64 s15, 0, v93
	s_delay_alu instid0(VALU_DEP_4)
	v_cmp_gt_i32_e64 s16, 0, v94
	v_not_b32_e32 v93, v94
	v_not_b32_e32 v94, v95
	v_lshlrev_b32_e32 v167, 24, v92
	v_cmp_gt_i32_e64 s17, 0, v95
	v_cmp_gt_i32_e64 s18, 0, v96
	v_not_b32_e32 v95, v96
	v_cmp_gt_i32_e64 s19, 0, v97
	v_not_b32_e32 v96, v97
	v_not_b32_e32 v97, v166
	v_dual_ashrrev_i32 v93, 31, v93 :: v_dual_ashrrev_i32 v94, 31, v94
	v_xor_b32_e32 v91, s15, v91
	v_not_b32_e32 v168, v167
	v_dual_ashrrev_i32 v95, 31, v95 :: v_dual_ashrrev_i32 v96, 31, v96
	s_delay_alu instid0(VALU_DEP_4) | instskip(SKIP_2) | instid1(VALU_DEP_4)
	v_xor_b32_e32 v93, s16, v93
	v_xor_b32_e32 v94, s17, v94
	v_bitop3_b32 v90, v90, v91, exec_lo bitop3:0x80
	v_xor_b32_e32 v95, s18, v95
	v_xor_b32_e32 v91, s19, v96
	v_cmp_gt_i32_e32 vcc_lo, 0, v166
	v_ashrrev_i32_e32 v96, 31, v97
	v_cmp_gt_i32_e64 s15, 0, v167
	v_ashrrev_i32_e32 v97, 31, v168
	v_bitop3_b32 v90, v90, v94, v93 bitop3:0x80
	v_add_nc_u32_e32 v167, 0x438, v120
	v_xor_b32_e32 v93, vcc_lo, v96
	v_add_nc_u32_e32 v168, 0x420, v120
	v_xor_b32_e32 v94, s15, v97
	v_bitop3_b32 v90, v90, v91, v95 bitop3:0x80
	v_mul_u32_u24_e32 v91, 36, v92
	ds_store_2addr_b32 v167, v5, v5 offset1:1
	ds_store_2addr_b32 v168, v5, v5 offset1:1
	;; [unrolled: 1-line block ×4, first 2 shown]
	ds_store_b32 v120, v5 offset:1088
	s_wait_loadcnt_dscnt 0x0
	v_bitop3_b32 v90, v90, v94, v93 bitop3:0x80
	v_add_nc_u32_e32 v171, v148, v91
	s_barrier_signal -1
	s_barrier_wait -1
	s_delay_alu instid0(VALU_DEP_2) | instskip(SKIP_1) | instid1(VALU_DEP_2)
	v_mbcnt_lo_u32_b32 v166, v90, 0
	v_cmp_ne_u32_e64 s15, 0, v90
	; wave barrier
	v_cmp_eq_u32_e32 vcc_lo, 0, v166
	s_and_b32 s16, s15, vcc_lo
	s_delay_alu instid0(SALU_CYCLE_1)
	s_and_saveexec_b32 s15, s16
; %bb.1011:                             ;   in Loop: Header=BB804_974 Depth=2
	v_bcnt_u32_b32 v90, v90, 0
	ds_store_b32 v171, v90 offset:1056
; %bb.1012:                             ;   in Loop: Header=BB804_974 Depth=2
	s_or_b32 exec_lo, exec_lo, s15
	v_xor_b32_e32 v59, 0x80000000, v59
	; wave barrier
	s_delay_alu instid0(VALU_DEP_1) | instskip(NEXT) | instid1(VALU_DEP_1)
	v_lshrrev_b64 v[90:91], s43, v[58:59]
	v_bitop3_b32 v91, v90, 1, s55 bitop3:0x80
	v_and_b32_e32 v92, s55, v90
	s_delay_alu instid0(VALU_DEP_2) | instskip(NEXT) | instid1(VALU_DEP_1)
	v_add_co_u32 v90, s15, v91, -1
	v_cndmask_b32_e64 v91, 0, 1, s15
	s_delay_alu instid0(VALU_DEP_3) | instskip(NEXT) | instid1(VALU_DEP_2)
	v_lshlrev_b32_e32 v93, 30, v92
	v_cmp_ne_u32_e32 vcc_lo, 0, v91
	s_delay_alu instid0(VALU_DEP_2) | instskip(NEXT) | instid1(VALU_DEP_1)
	v_not_b32_e32 v91, v93
	v_dual_ashrrev_i32 v91, 31, v91 :: v_dual_bitop2_b32 v90, vcc_lo, v90 bitop3:0x14
	v_dual_lshlrev_b32 v94, 29, v92 :: v_dual_lshlrev_b32 v95, 28, v92
	v_dual_lshlrev_b32 v96, 27, v92 :: v_dual_lshlrev_b32 v97, 26, v92
	v_lshlrev_b32_e32 v172, 25, v92
	v_cmp_gt_i32_e64 s15, 0, v93
	s_delay_alu instid0(VALU_DEP_4)
	v_cmp_gt_i32_e64 s16, 0, v94
	v_not_b32_e32 v93, v94
	v_not_b32_e32 v94, v95
	v_lshlrev_b32_e32 v173, 24, v92
	v_cmp_gt_i32_e64 s17, 0, v95
	v_cmp_gt_i32_e64 s18, 0, v96
	v_not_b32_e32 v95, v96
	v_cmp_gt_i32_e64 s19, 0, v97
	v_not_b32_e32 v96, v97
	v_not_b32_e32 v97, v172
	v_dual_ashrrev_i32 v93, 31, v93 :: v_dual_ashrrev_i32 v94, 31, v94
	v_xor_b32_e32 v91, s15, v91
	v_not_b32_e32 v174, v173
	v_dual_ashrrev_i32 v95, 31, v95 :: v_dual_ashrrev_i32 v96, 31, v96
	s_delay_alu instid0(VALU_DEP_4) | instskip(SKIP_2) | instid1(VALU_DEP_4)
	v_xor_b32_e32 v93, s16, v93
	v_xor_b32_e32 v94, s17, v94
	v_bitop3_b32 v90, v90, v91, exec_lo bitop3:0x80
	v_xor_b32_e32 v95, s18, v95
	v_xor_b32_e32 v91, s19, v96
	v_cmp_gt_i32_e32 vcc_lo, 0, v172
	v_ashrrev_i32_e32 v96, 31, v97
	v_cmp_gt_i32_e64 s15, 0, v173
	v_ashrrev_i32_e32 v97, 31, v174
	v_bitop3_b32 v90, v90, v94, v93 bitop3:0x80
	v_mad_u32_u24 v93, v92, 36, v148
	v_xor_b32_e32 v94, vcc_lo, v96
	s_delay_alu instid0(VALU_DEP_4) | instskip(NEXT) | instid1(VALU_DEP_4)
	v_xor_b32_e32 v96, s15, v97
	v_bitop3_b32 v90, v90, v91, v95 bitop3:0x80
	ds_load_b32 v172, v93 offset:1056
	v_mul_u32_u24_e32 v91, 36, v92
	; wave barrier
	v_bitop3_b32 v90, v90, v96, v94 bitop3:0x80
	s_delay_alu instid0(VALU_DEP_2) | instskip(NEXT) | instid1(VALU_DEP_2)
	v_add_nc_u32_e32 v174, v148, v91
	v_mbcnt_lo_u32_b32 v173, v90, 0
	v_cmp_ne_u32_e64 s15, 0, v90
	s_delay_alu instid0(VALU_DEP_2) | instskip(SKIP_1) | instid1(SALU_CYCLE_1)
	v_cmp_eq_u32_e32 vcc_lo, 0, v173
	s_and_b32 s16, s15, vcc_lo
	s_and_saveexec_b32 s15, s16
	s_cbranch_execz .LBB804_1014
; %bb.1013:                             ;   in Loop: Header=BB804_974 Depth=2
	s_wait_dscnt 0x0
	v_bcnt_u32_b32 v90, v90, v172
	ds_store_b32 v174, v90 offset:1056
.LBB804_1014:                           ;   in Loop: Header=BB804_974 Depth=2
	s_or_b32 exec_lo, exec_lo, s15
	v_xor_b32_e32 v65, 0x80000000, v65
	; wave barrier
	s_delay_alu instid0(VALU_DEP_1) | instskip(NEXT) | instid1(VALU_DEP_1)
	v_lshrrev_b64 v[90:91], s43, v[64:65]
	v_bitop3_b32 v91, v90, 1, s55 bitop3:0x80
	v_and_b32_e32 v92, s55, v90
	s_delay_alu instid0(VALU_DEP_2) | instskip(NEXT) | instid1(VALU_DEP_1)
	v_add_co_u32 v90, s15, v91, -1
	v_cndmask_b32_e64 v91, 0, 1, s15
	s_delay_alu instid0(VALU_DEP_3) | instskip(NEXT) | instid1(VALU_DEP_2)
	v_lshlrev_b32_e32 v93, 30, v92
	v_cmp_ne_u32_e32 vcc_lo, 0, v91
	s_delay_alu instid0(VALU_DEP_2) | instskip(NEXT) | instid1(VALU_DEP_1)
	v_not_b32_e32 v91, v93
	v_dual_ashrrev_i32 v91, 31, v91 :: v_dual_bitop2_b32 v90, vcc_lo, v90 bitop3:0x14
	v_dual_lshlrev_b32 v94, 29, v92 :: v_dual_lshlrev_b32 v95, 28, v92
	v_dual_lshlrev_b32 v96, 27, v92 :: v_dual_lshlrev_b32 v97, 26, v92
	v_lshlrev_b32_e32 v175, 25, v92
	v_cmp_gt_i32_e64 s15, 0, v93
	s_delay_alu instid0(VALU_DEP_4)
	v_cmp_gt_i32_e64 s16, 0, v94
	v_not_b32_e32 v93, v94
	v_not_b32_e32 v94, v95
	v_lshlrev_b32_e32 v176, 24, v92
	v_cmp_gt_i32_e64 s17, 0, v95
	v_cmp_gt_i32_e64 s18, 0, v96
	v_not_b32_e32 v95, v96
	v_cmp_gt_i32_e64 s19, 0, v97
	v_not_b32_e32 v96, v97
	v_not_b32_e32 v97, v175
	v_dual_ashrrev_i32 v93, 31, v93 :: v_dual_ashrrev_i32 v94, 31, v94
	v_xor_b32_e32 v91, s15, v91
	v_not_b32_e32 v177, v176
	v_dual_ashrrev_i32 v95, 31, v95 :: v_dual_ashrrev_i32 v96, 31, v96
	s_delay_alu instid0(VALU_DEP_4) | instskip(SKIP_2) | instid1(VALU_DEP_4)
	v_xor_b32_e32 v93, s16, v93
	v_xor_b32_e32 v94, s17, v94
	v_bitop3_b32 v90, v90, v91, exec_lo bitop3:0x80
	v_xor_b32_e32 v95, s18, v95
	v_xor_b32_e32 v91, s19, v96
	v_cmp_gt_i32_e32 vcc_lo, 0, v175
	v_ashrrev_i32_e32 v96, 31, v97
	v_cmp_gt_i32_e64 s15, 0, v176
	v_ashrrev_i32_e32 v97, 31, v177
	v_bitop3_b32 v90, v90, v94, v93 bitop3:0x80
	v_mad_u32_u24 v93, v92, 36, v148
	v_xor_b32_e32 v94, vcc_lo, v96
	s_delay_alu instid0(VALU_DEP_4) | instskip(NEXT) | instid1(VALU_DEP_4)
	v_xor_b32_e32 v96, s15, v97
	v_bitop3_b32 v90, v90, v91, v95 bitop3:0x80
	ds_load_b32 v175, v93 offset:1056
	v_mul_u32_u24_e32 v91, 36, v92
	; wave barrier
	v_bitop3_b32 v90, v90, v96, v94 bitop3:0x80
	s_delay_alu instid0(VALU_DEP_2) | instskip(NEXT) | instid1(VALU_DEP_2)
	v_add_nc_u32_e32 v177, v148, v91
	v_mbcnt_lo_u32_b32 v176, v90, 0
	v_cmp_ne_u32_e64 s15, 0, v90
	s_delay_alu instid0(VALU_DEP_2) | instskip(SKIP_1) | instid1(SALU_CYCLE_1)
	v_cmp_eq_u32_e32 vcc_lo, 0, v176
	s_and_b32 s16, s15, vcc_lo
	s_and_saveexec_b32 s15, s16
	s_cbranch_execz .LBB804_1016
; %bb.1015:                             ;   in Loop: Header=BB804_974 Depth=2
	s_wait_dscnt 0x0
	v_bcnt_u32_b32 v90, v90, v175
	ds_store_b32 v177, v90 offset:1056
.LBB804_1016:                           ;   in Loop: Header=BB804_974 Depth=2
	s_or_b32 exec_lo, exec_lo, s15
	v_xor_b32_e32 v63, 0x80000000, v63
	; wave barrier
	s_delay_alu instid0(VALU_DEP_1) | instskip(NEXT) | instid1(VALU_DEP_1)
	v_lshrrev_b64 v[90:91], s43, v[62:63]
	v_bitop3_b32 v91, v90, 1, s55 bitop3:0x80
	v_and_b32_e32 v92, s55, v90
	s_delay_alu instid0(VALU_DEP_2) | instskip(NEXT) | instid1(VALU_DEP_1)
	v_add_co_u32 v90, s15, v91, -1
	v_cndmask_b32_e64 v91, 0, 1, s15
	s_delay_alu instid0(VALU_DEP_3) | instskip(NEXT) | instid1(VALU_DEP_2)
	v_lshlrev_b32_e32 v93, 30, v92
	v_cmp_ne_u32_e32 vcc_lo, 0, v91
	s_delay_alu instid0(VALU_DEP_2) | instskip(NEXT) | instid1(VALU_DEP_1)
	v_not_b32_e32 v91, v93
	v_dual_ashrrev_i32 v91, 31, v91 :: v_dual_bitop2_b32 v90, vcc_lo, v90 bitop3:0x14
	v_dual_lshlrev_b32 v94, 29, v92 :: v_dual_lshlrev_b32 v95, 28, v92
	v_dual_lshlrev_b32 v96, 27, v92 :: v_dual_lshlrev_b32 v97, 26, v92
	v_lshlrev_b32_e32 v178, 25, v92
	v_cmp_gt_i32_e64 s15, 0, v93
	s_delay_alu instid0(VALU_DEP_4)
	v_cmp_gt_i32_e64 s16, 0, v94
	v_not_b32_e32 v93, v94
	v_not_b32_e32 v94, v95
	v_lshlrev_b32_e32 v179, 24, v92
	v_cmp_gt_i32_e64 s17, 0, v95
	v_cmp_gt_i32_e64 s18, 0, v96
	v_not_b32_e32 v95, v96
	v_cmp_gt_i32_e64 s19, 0, v97
	v_not_b32_e32 v96, v97
	v_not_b32_e32 v97, v178
	v_dual_ashrrev_i32 v93, 31, v93 :: v_dual_ashrrev_i32 v94, 31, v94
	v_xor_b32_e32 v91, s15, v91
	v_not_b32_e32 v180, v179
	v_dual_ashrrev_i32 v95, 31, v95 :: v_dual_ashrrev_i32 v96, 31, v96
	s_delay_alu instid0(VALU_DEP_4) | instskip(SKIP_2) | instid1(VALU_DEP_4)
	v_xor_b32_e32 v93, s16, v93
	v_xor_b32_e32 v94, s17, v94
	v_bitop3_b32 v90, v90, v91, exec_lo bitop3:0x80
	v_xor_b32_e32 v95, s18, v95
	v_xor_b32_e32 v91, s19, v96
	v_cmp_gt_i32_e32 vcc_lo, 0, v178
	v_ashrrev_i32_e32 v96, 31, v97
	v_cmp_gt_i32_e64 s15, 0, v179
	v_ashrrev_i32_e32 v97, 31, v180
	v_bitop3_b32 v90, v90, v94, v93 bitop3:0x80
	v_mad_u32_u24 v93, v92, 36, v148
	v_xor_b32_e32 v94, vcc_lo, v96
	s_delay_alu instid0(VALU_DEP_4) | instskip(NEXT) | instid1(VALU_DEP_4)
	v_xor_b32_e32 v96, s15, v97
	v_bitop3_b32 v90, v90, v91, v95 bitop3:0x80
	ds_load_b32 v178, v93 offset:1056
	v_mul_u32_u24_e32 v91, 36, v92
	; wave barrier
	v_bitop3_b32 v90, v90, v96, v94 bitop3:0x80
	s_delay_alu instid0(VALU_DEP_2) | instskip(NEXT) | instid1(VALU_DEP_2)
	v_add_nc_u32_e32 v180, v148, v91
	v_mbcnt_lo_u32_b32 v179, v90, 0
	v_cmp_ne_u32_e64 s15, 0, v90
	s_delay_alu instid0(VALU_DEP_2) | instskip(SKIP_1) | instid1(SALU_CYCLE_1)
	v_cmp_eq_u32_e32 vcc_lo, 0, v179
	s_and_b32 s16, s15, vcc_lo
	s_and_saveexec_b32 s15, s16
	s_cbranch_execz .LBB804_1018
; %bb.1017:                             ;   in Loop: Header=BB804_974 Depth=2
	s_wait_dscnt 0x0
	v_bcnt_u32_b32 v90, v90, v178
	ds_store_b32 v180, v90 offset:1056
.LBB804_1018:                           ;   in Loop: Header=BB804_974 Depth=2
	s_or_b32 exec_lo, exec_lo, s15
	v_xor_b32_e32 v69, 0x80000000, v69
	; wave barrier
	s_delay_alu instid0(VALU_DEP_1) | instskip(NEXT) | instid1(VALU_DEP_1)
	v_lshrrev_b64 v[90:91], s43, v[68:69]
	v_bitop3_b32 v91, v90, 1, s55 bitop3:0x80
	v_and_b32_e32 v92, s55, v90
	s_delay_alu instid0(VALU_DEP_2) | instskip(NEXT) | instid1(VALU_DEP_1)
	v_add_co_u32 v90, s15, v91, -1
	v_cndmask_b32_e64 v91, 0, 1, s15
	s_delay_alu instid0(VALU_DEP_3) | instskip(NEXT) | instid1(VALU_DEP_2)
	v_lshlrev_b32_e32 v93, 30, v92
	v_cmp_ne_u32_e32 vcc_lo, 0, v91
	s_delay_alu instid0(VALU_DEP_2) | instskip(NEXT) | instid1(VALU_DEP_1)
	v_not_b32_e32 v91, v93
	v_dual_ashrrev_i32 v91, 31, v91 :: v_dual_bitop2_b32 v90, vcc_lo, v90 bitop3:0x14
	v_dual_lshlrev_b32 v94, 29, v92 :: v_dual_lshlrev_b32 v95, 28, v92
	v_dual_lshlrev_b32 v96, 27, v92 :: v_dual_lshlrev_b32 v97, 26, v92
	v_lshlrev_b32_e32 v181, 25, v92
	v_cmp_gt_i32_e64 s15, 0, v93
	s_delay_alu instid0(VALU_DEP_4)
	v_cmp_gt_i32_e64 s16, 0, v94
	v_not_b32_e32 v93, v94
	v_not_b32_e32 v94, v95
	v_lshlrev_b32_e32 v182, 24, v92
	v_cmp_gt_i32_e64 s17, 0, v95
	v_cmp_gt_i32_e64 s18, 0, v96
	v_not_b32_e32 v95, v96
	v_cmp_gt_i32_e64 s19, 0, v97
	v_not_b32_e32 v96, v97
	v_not_b32_e32 v97, v181
	v_dual_ashrrev_i32 v93, 31, v93 :: v_dual_ashrrev_i32 v94, 31, v94
	v_xor_b32_e32 v91, s15, v91
	v_not_b32_e32 v183, v182
	v_dual_ashrrev_i32 v95, 31, v95 :: v_dual_ashrrev_i32 v96, 31, v96
	s_delay_alu instid0(VALU_DEP_4) | instskip(SKIP_2) | instid1(VALU_DEP_4)
	v_xor_b32_e32 v93, s16, v93
	v_xor_b32_e32 v94, s17, v94
	v_bitop3_b32 v90, v90, v91, exec_lo bitop3:0x80
	v_xor_b32_e32 v95, s18, v95
	v_xor_b32_e32 v91, s19, v96
	v_cmp_gt_i32_e32 vcc_lo, 0, v181
	v_ashrrev_i32_e32 v96, 31, v97
	v_cmp_gt_i32_e64 s15, 0, v182
	v_ashrrev_i32_e32 v97, 31, v183
	v_bitop3_b32 v90, v90, v94, v93 bitop3:0x80
	v_mad_u32_u24 v93, v92, 36, v148
	v_xor_b32_e32 v94, vcc_lo, v96
	s_delay_alu instid0(VALU_DEP_4) | instskip(NEXT) | instid1(VALU_DEP_4)
	v_xor_b32_e32 v96, s15, v97
	v_bitop3_b32 v90, v90, v91, v95 bitop3:0x80
	ds_load_b32 v181, v93 offset:1056
	v_mul_u32_u24_e32 v91, 36, v92
	; wave barrier
	v_bitop3_b32 v90, v90, v96, v94 bitop3:0x80
	s_delay_alu instid0(VALU_DEP_2) | instskip(NEXT) | instid1(VALU_DEP_2)
	v_add_nc_u32_e32 v183, v148, v91
	v_mbcnt_lo_u32_b32 v182, v90, 0
	v_cmp_ne_u32_e64 s15, 0, v90
	s_delay_alu instid0(VALU_DEP_2) | instskip(SKIP_1) | instid1(SALU_CYCLE_1)
	v_cmp_eq_u32_e32 vcc_lo, 0, v182
	s_and_b32 s16, s15, vcc_lo
	s_and_saveexec_b32 s15, s16
	s_cbranch_execz .LBB804_1020
; %bb.1019:                             ;   in Loop: Header=BB804_974 Depth=2
	s_wait_dscnt 0x0
	v_bcnt_u32_b32 v90, v90, v181
	ds_store_b32 v183, v90 offset:1056
.LBB804_1020:                           ;   in Loop: Header=BB804_974 Depth=2
	s_or_b32 exec_lo, exec_lo, s15
	v_xor_b32_e32 v67, 0x80000000, v67
	; wave barrier
	s_delay_alu instid0(VALU_DEP_1) | instskip(NEXT) | instid1(VALU_DEP_1)
	v_lshrrev_b64 v[90:91], s43, v[66:67]
	v_bitop3_b32 v91, v90, 1, s55 bitop3:0x80
	v_and_b32_e32 v92, s55, v90
	s_delay_alu instid0(VALU_DEP_2) | instskip(NEXT) | instid1(VALU_DEP_1)
	v_add_co_u32 v90, s15, v91, -1
	v_cndmask_b32_e64 v91, 0, 1, s15
	s_delay_alu instid0(VALU_DEP_3) | instskip(NEXT) | instid1(VALU_DEP_2)
	v_lshlrev_b32_e32 v93, 30, v92
	v_cmp_ne_u32_e32 vcc_lo, 0, v91
	s_delay_alu instid0(VALU_DEP_2) | instskip(NEXT) | instid1(VALU_DEP_1)
	v_not_b32_e32 v91, v93
	v_dual_ashrrev_i32 v91, 31, v91 :: v_dual_bitop2_b32 v90, vcc_lo, v90 bitop3:0x14
	v_dual_lshlrev_b32 v94, 29, v92 :: v_dual_lshlrev_b32 v95, 28, v92
	v_dual_lshlrev_b32 v96, 27, v92 :: v_dual_lshlrev_b32 v97, 26, v92
	v_lshlrev_b32_e32 v184, 25, v92
	v_cmp_gt_i32_e64 s15, 0, v93
	s_delay_alu instid0(VALU_DEP_4)
	v_cmp_gt_i32_e64 s16, 0, v94
	v_not_b32_e32 v93, v94
	v_not_b32_e32 v94, v95
	v_lshlrev_b32_e32 v185, 24, v92
	v_cmp_gt_i32_e64 s17, 0, v95
	v_cmp_gt_i32_e64 s18, 0, v96
	v_not_b32_e32 v95, v96
	v_cmp_gt_i32_e64 s19, 0, v97
	v_not_b32_e32 v96, v97
	v_not_b32_e32 v97, v184
	v_dual_ashrrev_i32 v93, 31, v93 :: v_dual_ashrrev_i32 v94, 31, v94
	v_xor_b32_e32 v91, s15, v91
	v_not_b32_e32 v186, v185
	v_dual_ashrrev_i32 v95, 31, v95 :: v_dual_ashrrev_i32 v96, 31, v96
	s_delay_alu instid0(VALU_DEP_4) | instskip(SKIP_2) | instid1(VALU_DEP_4)
	v_xor_b32_e32 v93, s16, v93
	v_xor_b32_e32 v94, s17, v94
	v_bitop3_b32 v90, v90, v91, exec_lo bitop3:0x80
	v_xor_b32_e32 v95, s18, v95
	v_xor_b32_e32 v91, s19, v96
	v_cmp_gt_i32_e32 vcc_lo, 0, v184
	v_ashrrev_i32_e32 v96, 31, v97
	v_cmp_gt_i32_e64 s15, 0, v185
	v_ashrrev_i32_e32 v97, 31, v186
	v_bitop3_b32 v90, v90, v94, v93 bitop3:0x80
	v_mad_u32_u24 v93, v92, 36, v148
	v_xor_b32_e32 v94, vcc_lo, v96
	s_delay_alu instid0(VALU_DEP_4) | instskip(NEXT) | instid1(VALU_DEP_4)
	v_xor_b32_e32 v96, s15, v97
	v_bitop3_b32 v90, v90, v91, v95 bitop3:0x80
	ds_load_b32 v184, v93 offset:1056
	v_mul_u32_u24_e32 v91, 36, v92
	; wave barrier
	v_bitop3_b32 v90, v90, v96, v94 bitop3:0x80
	s_delay_alu instid0(VALU_DEP_2) | instskip(NEXT) | instid1(VALU_DEP_2)
	v_add_nc_u32_e32 v186, v148, v91
	v_mbcnt_lo_u32_b32 v185, v90, 0
	v_cmp_ne_u32_e64 s15, 0, v90
	s_delay_alu instid0(VALU_DEP_2) | instskip(SKIP_1) | instid1(SALU_CYCLE_1)
	v_cmp_eq_u32_e32 vcc_lo, 0, v185
	s_and_b32 s16, s15, vcc_lo
	s_and_saveexec_b32 s15, s16
	s_cbranch_execz .LBB804_1022
; %bb.1021:                             ;   in Loop: Header=BB804_974 Depth=2
	s_wait_dscnt 0x0
	v_bcnt_u32_b32 v90, v90, v184
	ds_store_b32 v186, v90 offset:1056
.LBB804_1022:                           ;   in Loop: Header=BB804_974 Depth=2
	s_or_b32 exec_lo, exec_lo, s15
	v_xor_b32_e32 v73, 0x80000000, v73
	; wave barrier
	s_delay_alu instid0(VALU_DEP_1) | instskip(NEXT) | instid1(VALU_DEP_1)
	v_lshrrev_b64 v[90:91], s43, v[72:73]
	v_bitop3_b32 v91, v90, 1, s55 bitop3:0x80
	v_and_b32_e32 v92, s55, v90
	s_delay_alu instid0(VALU_DEP_2) | instskip(NEXT) | instid1(VALU_DEP_1)
	v_add_co_u32 v90, s15, v91, -1
	v_cndmask_b32_e64 v91, 0, 1, s15
	s_delay_alu instid0(VALU_DEP_3) | instskip(NEXT) | instid1(VALU_DEP_2)
	v_lshlrev_b32_e32 v93, 30, v92
	v_cmp_ne_u32_e32 vcc_lo, 0, v91
	s_delay_alu instid0(VALU_DEP_2) | instskip(NEXT) | instid1(VALU_DEP_1)
	v_not_b32_e32 v91, v93
	v_dual_ashrrev_i32 v91, 31, v91 :: v_dual_bitop2_b32 v90, vcc_lo, v90 bitop3:0x14
	v_dual_lshlrev_b32 v94, 29, v92 :: v_dual_lshlrev_b32 v95, 28, v92
	v_dual_lshlrev_b32 v96, 27, v92 :: v_dual_lshlrev_b32 v97, 26, v92
	v_lshlrev_b32_e32 v187, 25, v92
	v_cmp_gt_i32_e64 s15, 0, v93
	s_delay_alu instid0(VALU_DEP_4)
	v_cmp_gt_i32_e64 s16, 0, v94
	v_not_b32_e32 v93, v94
	v_not_b32_e32 v94, v95
	v_lshlrev_b32_e32 v188, 24, v92
	v_cmp_gt_i32_e64 s17, 0, v95
	v_cmp_gt_i32_e64 s18, 0, v96
	v_not_b32_e32 v95, v96
	v_cmp_gt_i32_e64 s19, 0, v97
	v_not_b32_e32 v96, v97
	v_not_b32_e32 v97, v187
	v_dual_ashrrev_i32 v93, 31, v93 :: v_dual_ashrrev_i32 v94, 31, v94
	v_xor_b32_e32 v91, s15, v91
	v_not_b32_e32 v189, v188
	v_dual_ashrrev_i32 v95, 31, v95 :: v_dual_ashrrev_i32 v96, 31, v96
	s_delay_alu instid0(VALU_DEP_4) | instskip(SKIP_2) | instid1(VALU_DEP_4)
	v_xor_b32_e32 v93, s16, v93
	v_xor_b32_e32 v94, s17, v94
	v_bitop3_b32 v90, v90, v91, exec_lo bitop3:0x80
	v_xor_b32_e32 v95, s18, v95
	v_xor_b32_e32 v91, s19, v96
	v_cmp_gt_i32_e32 vcc_lo, 0, v187
	v_ashrrev_i32_e32 v96, 31, v97
	v_cmp_gt_i32_e64 s15, 0, v188
	v_ashrrev_i32_e32 v97, 31, v189
	v_bitop3_b32 v90, v90, v94, v93 bitop3:0x80
	v_mad_u32_u24 v93, v92, 36, v148
	v_xor_b32_e32 v94, vcc_lo, v96
	s_delay_alu instid0(VALU_DEP_4) | instskip(NEXT) | instid1(VALU_DEP_4)
	v_xor_b32_e32 v96, s15, v97
	v_bitop3_b32 v90, v90, v91, v95 bitop3:0x80
	ds_load_b32 v187, v93 offset:1056
	v_mul_u32_u24_e32 v91, 36, v92
	; wave barrier
	v_bitop3_b32 v90, v90, v96, v94 bitop3:0x80
	s_delay_alu instid0(VALU_DEP_2) | instskip(NEXT) | instid1(VALU_DEP_2)
	v_add_nc_u32_e32 v189, v148, v91
	v_mbcnt_lo_u32_b32 v188, v90, 0
	v_cmp_ne_u32_e64 s15, 0, v90
	s_delay_alu instid0(VALU_DEP_2) | instskip(SKIP_1) | instid1(SALU_CYCLE_1)
	v_cmp_eq_u32_e32 vcc_lo, 0, v188
	s_and_b32 s16, s15, vcc_lo
	s_and_saveexec_b32 s15, s16
	s_cbranch_execz .LBB804_1024
; %bb.1023:                             ;   in Loop: Header=BB804_974 Depth=2
	s_wait_dscnt 0x0
	v_bcnt_u32_b32 v90, v90, v187
	ds_store_b32 v189, v90 offset:1056
.LBB804_1024:                           ;   in Loop: Header=BB804_974 Depth=2
	s_or_b32 exec_lo, exec_lo, s15
	v_xor_b32_e32 v71, 0x80000000, v71
	; wave barrier
	s_delay_alu instid0(VALU_DEP_1) | instskip(NEXT) | instid1(VALU_DEP_1)
	v_lshrrev_b64 v[90:91], s43, v[70:71]
	v_bitop3_b32 v91, v90, 1, s55 bitop3:0x80
	v_and_b32_e32 v92, s55, v90
	s_delay_alu instid0(VALU_DEP_2) | instskip(NEXT) | instid1(VALU_DEP_2)
	v_add_co_u32 v90, s15, v91, -1
	v_lshlrev_b32_e32 v91, 30, v92
	v_cndmask_b32_e64 v191, 0, 1, s15
	s_delay_alu instid0(VALU_DEP_2) | instskip(SKIP_1) | instid1(VALU_DEP_3)
	v_cmp_gt_i32_e32 vcc_lo, 0, v91
	v_not_b32_e32 v91, v91
	v_cmp_ne_u32_e64 s19, 0, v191
	s_delay_alu instid0(VALU_DEP_2) | instskip(SKIP_2) | instid1(VALU_DEP_3)
	v_dual_ashrrev_i32 v91, 31, v91 :: v_dual_lshlrev_b32 v93, 29, v92
	v_dual_lshlrev_b32 v94, 28, v92 :: v_dual_lshlrev_b32 v95, 27, v92
	v_dual_lshlrev_b32 v96, 26, v92 :: v_dual_lshlrev_b32 v97, 25, v92
	v_cmp_gt_i32_e64 s15, 0, v93
	v_not_b32_e32 v93, v93
	s_delay_alu instid0(VALU_DEP_4)
	v_cmp_gt_i32_e64 s16, 0, v94
	v_not_b32_e32 v94, v94
	v_lshlrev_b32_e32 v190, 24, v92
	v_cmp_gt_i32_e64 s17, 0, v95
	v_not_b32_e32 v95, v95
	v_cmp_gt_i32_e64 s18, 0, v96
	v_not_b32_e32 v96, v96
	v_not_b32_e32 v192, v97
	v_dual_ashrrev_i32 v93, 31, v93 :: v_dual_ashrrev_i32 v94, 31, v94
	v_dual_ashrrev_i32 v95, 31, v95 :: v_dual_bitop2_b32 v90, s19, v90 bitop3:0x14
	s_delay_alu instid0(VALU_DEP_4) | instskip(SKIP_1) | instid1(VALU_DEP_4)
	v_dual_ashrrev_i32 v96, 31, v96 :: v_dual_bitop2_b32 v91, vcc_lo, v91 bitop3:0x14
	v_not_b32_e32 v193, v190
	v_xor_b32_e32 v93, s15, v93
	v_xor_b32_e32 v94, s16, v94
	;; [unrolled: 1-line block ×3, first 2 shown]
	v_bitop3_b32 v90, v90, v91, exec_lo bitop3:0x80
	v_xor_b32_e32 v91, s18, v96
	v_cmp_gt_i32_e32 vcc_lo, 0, v97
	v_ashrrev_i32_e32 v96, 31, v192
	v_cmp_gt_i32_e64 s15, 0, v190
	v_ashrrev_i32_e32 v97, 31, v193
	v_bitop3_b32 v90, v90, v94, v93 bitop3:0x80
	v_mad_u32_u24 v93, v92, 36, v148
	v_xor_b32_e32 v94, vcc_lo, v96
	s_delay_alu instid0(VALU_DEP_4) | instskip(NEXT) | instid1(VALU_DEP_4)
	v_xor_b32_e32 v96, s15, v97
	v_bitop3_b32 v90, v90, v91, v95 bitop3:0x80
	ds_load_b32 v190, v93 offset:1056
	v_mul_u32_u24_e32 v91, 36, v92
	; wave barrier
	v_bitop3_b32 v90, v90, v96, v94 bitop3:0x80
	s_delay_alu instid0(VALU_DEP_2) | instskip(NEXT) | instid1(VALU_DEP_2)
	v_add_nc_u32_e32 v192, v148, v91
	v_mbcnt_lo_u32_b32 v191, v90, 0
	v_cmp_ne_u32_e64 s15, 0, v90
	s_delay_alu instid0(VALU_DEP_2) | instskip(SKIP_1) | instid1(SALU_CYCLE_1)
	v_cmp_eq_u32_e32 vcc_lo, 0, v191
	s_and_b32 s16, s15, vcc_lo
	s_and_saveexec_b32 s15, s16
	s_cbranch_execz .LBB804_1026
; %bb.1025:                             ;   in Loop: Header=BB804_974 Depth=2
	s_wait_dscnt 0x0
	v_bcnt_u32_b32 v90, v90, v190
	ds_store_b32 v192, v90 offset:1056
.LBB804_1026:                           ;   in Loop: Header=BB804_974 Depth=2
	s_or_b32 exec_lo, exec_lo, s15
	v_xor_b32_e32 v77, 0x80000000, v77
	; wave barrier
	s_delay_alu instid0(VALU_DEP_1) | instskip(NEXT) | instid1(VALU_DEP_1)
	v_lshrrev_b64 v[90:91], s43, v[76:77]
	v_bitop3_b32 v91, v90, 1, s55 bitop3:0x80
	v_and_b32_e32 v92, s55, v90
	s_delay_alu instid0(VALU_DEP_2) | instskip(NEXT) | instid1(VALU_DEP_1)
	v_add_co_u32 v90, s15, v91, -1
	v_cndmask_b32_e64 v91, 0, 1, s15
	s_delay_alu instid0(VALU_DEP_3) | instskip(NEXT) | instid1(VALU_DEP_2)
	v_lshlrev_b32_e32 v93, 30, v92
	v_cmp_ne_u32_e32 vcc_lo, 0, v91
	s_delay_alu instid0(VALU_DEP_2) | instskip(NEXT) | instid1(VALU_DEP_1)
	v_not_b32_e32 v91, v93
	v_dual_ashrrev_i32 v91, 31, v91 :: v_dual_bitop2_b32 v90, vcc_lo, v90 bitop3:0x14
	v_dual_lshlrev_b32 v94, 29, v92 :: v_dual_lshlrev_b32 v95, 28, v92
	v_dual_lshlrev_b32 v96, 27, v92 :: v_dual_lshlrev_b32 v97, 26, v92
	v_lshlrev_b32_e32 v193, 25, v92
	v_cmp_gt_i32_e64 s15, 0, v93
	s_delay_alu instid0(VALU_DEP_4)
	v_cmp_gt_i32_e64 s16, 0, v94
	v_not_b32_e32 v93, v94
	v_not_b32_e32 v94, v95
	v_lshlrev_b32_e32 v194, 24, v92
	v_cmp_gt_i32_e64 s17, 0, v95
	v_cmp_gt_i32_e64 s18, 0, v96
	v_not_b32_e32 v95, v96
	v_cmp_gt_i32_e64 s19, 0, v97
	v_not_b32_e32 v96, v97
	v_not_b32_e32 v97, v193
	v_dual_ashrrev_i32 v93, 31, v93 :: v_dual_ashrrev_i32 v94, 31, v94
	v_xor_b32_e32 v91, s15, v91
	v_not_b32_e32 v195, v194
	v_dual_ashrrev_i32 v95, 31, v95 :: v_dual_ashrrev_i32 v96, 31, v96
	s_delay_alu instid0(VALU_DEP_4) | instskip(SKIP_2) | instid1(VALU_DEP_4)
	v_xor_b32_e32 v93, s16, v93
	v_xor_b32_e32 v94, s17, v94
	v_bitop3_b32 v90, v90, v91, exec_lo bitop3:0x80
	v_xor_b32_e32 v95, s18, v95
	v_xor_b32_e32 v91, s19, v96
	v_cmp_gt_i32_e32 vcc_lo, 0, v193
	v_ashrrev_i32_e32 v96, 31, v97
	v_cmp_gt_i32_e64 s15, 0, v194
	v_ashrrev_i32_e32 v97, 31, v195
	v_bitop3_b32 v90, v90, v94, v93 bitop3:0x80
	v_mad_u32_u24 v93, v92, 36, v148
	v_xor_b32_e32 v94, vcc_lo, v96
	s_delay_alu instid0(VALU_DEP_4) | instskip(NEXT) | instid1(VALU_DEP_4)
	v_xor_b32_e32 v96, s15, v97
	v_bitop3_b32 v90, v90, v91, v95 bitop3:0x80
	ds_load_b32 v193, v93 offset:1056
	v_mul_u32_u24_e32 v91, 36, v92
	; wave barrier
	v_bitop3_b32 v90, v90, v96, v94 bitop3:0x80
	s_delay_alu instid0(VALU_DEP_2) | instskip(NEXT) | instid1(VALU_DEP_2)
	v_add_nc_u32_e32 v195, v148, v91
	v_mbcnt_lo_u32_b32 v194, v90, 0
	v_cmp_ne_u32_e64 s15, 0, v90
	s_delay_alu instid0(VALU_DEP_2) | instskip(SKIP_1) | instid1(SALU_CYCLE_1)
	v_cmp_eq_u32_e32 vcc_lo, 0, v194
	s_and_b32 s16, s15, vcc_lo
	s_and_saveexec_b32 s15, s16
	s_cbranch_execz .LBB804_1028
; %bb.1027:                             ;   in Loop: Header=BB804_974 Depth=2
	s_wait_dscnt 0x0
	v_bcnt_u32_b32 v90, v90, v193
	ds_store_b32 v195, v90 offset:1056
.LBB804_1028:                           ;   in Loop: Header=BB804_974 Depth=2
	s_or_b32 exec_lo, exec_lo, s15
	v_xor_b32_e32 v75, 0x80000000, v75
	; wave barrier
	s_delay_alu instid0(VALU_DEP_1) | instskip(NEXT) | instid1(VALU_DEP_1)
	v_lshrrev_b64 v[90:91], s43, v[74:75]
	v_bitop3_b32 v91, v90, 1, s55 bitop3:0x80
	v_and_b32_e32 v92, s55, v90
	s_delay_alu instid0(VALU_DEP_2) | instskip(NEXT) | instid1(VALU_DEP_1)
	v_add_co_u32 v90, s15, v91, -1
	v_cndmask_b32_e64 v91, 0, 1, s15
	s_delay_alu instid0(VALU_DEP_3) | instskip(NEXT) | instid1(VALU_DEP_2)
	v_lshlrev_b32_e32 v93, 30, v92
	v_cmp_ne_u32_e32 vcc_lo, 0, v91
	s_delay_alu instid0(VALU_DEP_2) | instskip(NEXT) | instid1(VALU_DEP_1)
	v_not_b32_e32 v91, v93
	v_dual_ashrrev_i32 v91, 31, v91 :: v_dual_bitop2_b32 v90, vcc_lo, v90 bitop3:0x14
	v_dual_lshlrev_b32 v94, 29, v92 :: v_dual_lshlrev_b32 v95, 28, v92
	v_dual_lshlrev_b32 v96, 27, v92 :: v_dual_lshlrev_b32 v97, 26, v92
	v_lshlrev_b32_e32 v196, 25, v92
	v_cmp_gt_i32_e64 s15, 0, v93
	s_delay_alu instid0(VALU_DEP_4)
	v_cmp_gt_i32_e64 s16, 0, v94
	v_not_b32_e32 v93, v94
	v_not_b32_e32 v94, v95
	v_lshlrev_b32_e32 v197, 24, v92
	v_cmp_gt_i32_e64 s17, 0, v95
	v_cmp_gt_i32_e64 s18, 0, v96
	v_not_b32_e32 v95, v96
	v_cmp_gt_i32_e64 s19, 0, v97
	v_not_b32_e32 v96, v97
	v_not_b32_e32 v97, v196
	v_dual_ashrrev_i32 v93, 31, v93 :: v_dual_ashrrev_i32 v94, 31, v94
	v_xor_b32_e32 v91, s15, v91
	v_not_b32_e32 v198, v197
	v_dual_ashrrev_i32 v95, 31, v95 :: v_dual_ashrrev_i32 v96, 31, v96
	s_delay_alu instid0(VALU_DEP_4) | instskip(SKIP_2) | instid1(VALU_DEP_4)
	v_xor_b32_e32 v93, s16, v93
	v_xor_b32_e32 v94, s17, v94
	v_bitop3_b32 v90, v90, v91, exec_lo bitop3:0x80
	v_xor_b32_e32 v95, s18, v95
	v_xor_b32_e32 v91, s19, v96
	v_cmp_gt_i32_e32 vcc_lo, 0, v196
	v_ashrrev_i32_e32 v96, 31, v97
	v_cmp_gt_i32_e64 s15, 0, v197
	v_ashrrev_i32_e32 v97, 31, v198
	v_bitop3_b32 v90, v90, v94, v93 bitop3:0x80
	v_mad_u32_u24 v93, v92, 36, v148
	v_xor_b32_e32 v94, vcc_lo, v96
	s_delay_alu instid0(VALU_DEP_4) | instskip(NEXT) | instid1(VALU_DEP_4)
	v_xor_b32_e32 v96, s15, v97
	v_bitop3_b32 v90, v90, v91, v95 bitop3:0x80
	ds_load_b32 v196, v93 offset:1056
	v_mul_u32_u24_e32 v91, 36, v92
	; wave barrier
	v_bitop3_b32 v90, v90, v96, v94 bitop3:0x80
	s_delay_alu instid0(VALU_DEP_2) | instskip(NEXT) | instid1(VALU_DEP_2)
	v_add_nc_u32_e32 v198, v148, v91
	v_mbcnt_lo_u32_b32 v197, v90, 0
	v_cmp_ne_u32_e64 s15, 0, v90
	s_delay_alu instid0(VALU_DEP_2) | instskip(SKIP_1) | instid1(SALU_CYCLE_1)
	v_cmp_eq_u32_e32 vcc_lo, 0, v197
	s_and_b32 s16, s15, vcc_lo
	s_and_saveexec_b32 s15, s16
	s_cbranch_execz .LBB804_1030
; %bb.1029:                             ;   in Loop: Header=BB804_974 Depth=2
	s_wait_dscnt 0x0
	v_bcnt_u32_b32 v90, v90, v196
	ds_store_b32 v198, v90 offset:1056
.LBB804_1030:                           ;   in Loop: Header=BB804_974 Depth=2
	s_or_b32 exec_lo, exec_lo, s15
	v_xor_b32_e32 v81, 0x80000000, v81
	; wave barrier
	s_delay_alu instid0(VALU_DEP_1) | instskip(NEXT) | instid1(VALU_DEP_1)
	v_lshrrev_b64 v[90:91], s43, v[80:81]
	v_bitop3_b32 v91, v90, 1, s55 bitop3:0x80
	v_and_b32_e32 v92, s55, v90
	s_delay_alu instid0(VALU_DEP_2) | instskip(NEXT) | instid1(VALU_DEP_1)
	v_add_co_u32 v90, s15, v91, -1
	v_cndmask_b32_e64 v91, 0, 1, s15
	s_delay_alu instid0(VALU_DEP_3) | instskip(NEXT) | instid1(VALU_DEP_2)
	v_lshlrev_b32_e32 v93, 30, v92
	v_cmp_ne_u32_e32 vcc_lo, 0, v91
	s_delay_alu instid0(VALU_DEP_2) | instskip(NEXT) | instid1(VALU_DEP_1)
	v_not_b32_e32 v91, v93
	v_dual_ashrrev_i32 v91, 31, v91 :: v_dual_bitop2_b32 v90, vcc_lo, v90 bitop3:0x14
	v_dual_lshlrev_b32 v94, 29, v92 :: v_dual_lshlrev_b32 v95, 28, v92
	v_dual_lshlrev_b32 v96, 27, v92 :: v_dual_lshlrev_b32 v97, 26, v92
	v_lshlrev_b32_e32 v199, 25, v92
	v_cmp_gt_i32_e64 s15, 0, v93
	s_delay_alu instid0(VALU_DEP_4)
	v_cmp_gt_i32_e64 s16, 0, v94
	v_not_b32_e32 v93, v94
	v_not_b32_e32 v94, v95
	v_lshlrev_b32_e32 v200, 24, v92
	v_cmp_gt_i32_e64 s17, 0, v95
	v_cmp_gt_i32_e64 s18, 0, v96
	v_not_b32_e32 v95, v96
	v_cmp_gt_i32_e64 s19, 0, v97
	v_not_b32_e32 v96, v97
	v_not_b32_e32 v97, v199
	v_dual_ashrrev_i32 v93, 31, v93 :: v_dual_ashrrev_i32 v94, 31, v94
	v_xor_b32_e32 v91, s15, v91
	v_not_b32_e32 v201, v200
	v_dual_ashrrev_i32 v95, 31, v95 :: v_dual_ashrrev_i32 v96, 31, v96
	s_delay_alu instid0(VALU_DEP_4) | instskip(SKIP_2) | instid1(VALU_DEP_4)
	v_xor_b32_e32 v93, s16, v93
	v_xor_b32_e32 v94, s17, v94
	v_bitop3_b32 v90, v90, v91, exec_lo bitop3:0x80
	v_xor_b32_e32 v95, s18, v95
	v_xor_b32_e32 v91, s19, v96
	v_cmp_gt_i32_e32 vcc_lo, 0, v199
	v_ashrrev_i32_e32 v96, 31, v97
	v_cmp_gt_i32_e64 s15, 0, v200
	v_ashrrev_i32_e32 v97, 31, v201
	v_bitop3_b32 v90, v90, v94, v93 bitop3:0x80
	v_mad_u32_u24 v93, v92, 36, v148
	v_xor_b32_e32 v94, vcc_lo, v96
	s_delay_alu instid0(VALU_DEP_4) | instskip(NEXT) | instid1(VALU_DEP_4)
	v_xor_b32_e32 v96, s15, v97
	v_bitop3_b32 v90, v90, v91, v95 bitop3:0x80
	ds_load_b32 v199, v93 offset:1056
	v_mul_u32_u24_e32 v91, 36, v92
	; wave barrier
	v_bitop3_b32 v90, v90, v96, v94 bitop3:0x80
	s_delay_alu instid0(VALU_DEP_2) | instskip(NEXT) | instid1(VALU_DEP_2)
	v_add_nc_u32_e32 v202, v148, v91
	v_mbcnt_lo_u32_b32 v200, v90, 0
	v_cmp_ne_u32_e64 s15, 0, v90
	s_delay_alu instid0(VALU_DEP_2) | instskip(SKIP_1) | instid1(SALU_CYCLE_1)
	v_cmp_eq_u32_e32 vcc_lo, 0, v200
	s_and_b32 s16, s15, vcc_lo
	s_and_saveexec_b32 s15, s16
	s_cbranch_execz .LBB804_1032
; %bb.1031:                             ;   in Loop: Header=BB804_974 Depth=2
	s_wait_dscnt 0x0
	v_bcnt_u32_b32 v90, v90, v199
	ds_store_b32 v202, v90 offset:1056
.LBB804_1032:                           ;   in Loop: Header=BB804_974 Depth=2
	s_or_b32 exec_lo, exec_lo, s15
	v_xor_b32_e32 v79, 0x80000000, v79
	; wave barrier
	s_delay_alu instid0(VALU_DEP_1) | instskip(NEXT) | instid1(VALU_DEP_1)
	v_lshrrev_b64 v[90:91], s43, v[78:79]
	v_bitop3_b32 v91, v90, 1, s55 bitop3:0x80
	v_and_b32_e32 v92, s55, v90
	s_delay_alu instid0(VALU_DEP_2) | instskip(NEXT) | instid1(VALU_DEP_1)
	v_add_co_u32 v90, s15, v91, -1
	v_cndmask_b32_e64 v91, 0, 1, s15
	s_delay_alu instid0(VALU_DEP_3) | instskip(NEXT) | instid1(VALU_DEP_2)
	v_lshlrev_b32_e32 v93, 30, v92
	v_cmp_ne_u32_e32 vcc_lo, 0, v91
	s_delay_alu instid0(VALU_DEP_2) | instskip(NEXT) | instid1(VALU_DEP_1)
	v_not_b32_e32 v91, v93
	v_dual_ashrrev_i32 v91, 31, v91 :: v_dual_bitop2_b32 v90, vcc_lo, v90 bitop3:0x14
	v_dual_lshlrev_b32 v94, 29, v92 :: v_dual_lshlrev_b32 v95, 28, v92
	v_dual_lshlrev_b32 v96, 27, v92 :: v_dual_lshlrev_b32 v97, 26, v92
	v_lshlrev_b32_e32 v201, 25, v92
	v_cmp_gt_i32_e64 s15, 0, v93
	s_delay_alu instid0(VALU_DEP_4)
	v_cmp_gt_i32_e64 s16, 0, v94
	v_not_b32_e32 v93, v94
	v_not_b32_e32 v94, v95
	v_lshlrev_b32_e32 v203, 24, v92
	v_cmp_gt_i32_e64 s17, 0, v95
	v_cmp_gt_i32_e64 s18, 0, v96
	v_not_b32_e32 v95, v96
	v_cmp_gt_i32_e64 s19, 0, v97
	v_not_b32_e32 v96, v97
	v_not_b32_e32 v97, v201
	v_dual_ashrrev_i32 v93, 31, v93 :: v_dual_ashrrev_i32 v94, 31, v94
	v_xor_b32_e32 v91, s15, v91
	v_not_b32_e32 v204, v203
	v_dual_ashrrev_i32 v95, 31, v95 :: v_dual_ashrrev_i32 v96, 31, v96
	s_delay_alu instid0(VALU_DEP_4) | instskip(SKIP_2) | instid1(VALU_DEP_4)
	v_xor_b32_e32 v93, s16, v93
	v_xor_b32_e32 v94, s17, v94
	v_bitop3_b32 v90, v90, v91, exec_lo bitop3:0x80
	v_xor_b32_e32 v95, s18, v95
	v_xor_b32_e32 v91, s19, v96
	v_cmp_gt_i32_e32 vcc_lo, 0, v201
	v_ashrrev_i32_e32 v96, 31, v97
	v_cmp_gt_i32_e64 s15, 0, v203
	v_ashrrev_i32_e32 v97, 31, v204
	v_bitop3_b32 v90, v90, v94, v93 bitop3:0x80
	v_mad_u32_u24 v93, v92, 36, v148
	v_xor_b32_e32 v94, vcc_lo, v96
	s_delay_alu instid0(VALU_DEP_4) | instskip(NEXT) | instid1(VALU_DEP_4)
	v_xor_b32_e32 v96, s15, v97
	v_bitop3_b32 v90, v90, v91, v95 bitop3:0x80
	ds_load_b32 v201, v93 offset:1056
	v_mul_u32_u24_e32 v91, 36, v92
	; wave barrier
	v_bitop3_b32 v90, v90, v96, v94 bitop3:0x80
	s_delay_alu instid0(VALU_DEP_2) | instskip(NEXT) | instid1(VALU_DEP_2)
	v_add_nc_u32_e32 v206, v148, v91
	v_mbcnt_lo_u32_b32 v203, v90, 0
	v_cmp_ne_u32_e64 s15, 0, v90
	s_delay_alu instid0(VALU_DEP_2) | instskip(SKIP_1) | instid1(SALU_CYCLE_1)
	v_cmp_eq_u32_e32 vcc_lo, 0, v203
	s_and_b32 s16, s15, vcc_lo
	s_and_saveexec_b32 s15, s16
	s_cbranch_execz .LBB804_1034
; %bb.1033:                             ;   in Loop: Header=BB804_974 Depth=2
	s_wait_dscnt 0x0
	v_bcnt_u32_b32 v90, v90, v201
	ds_store_b32 v206, v90 offset:1056
.LBB804_1034:                           ;   in Loop: Header=BB804_974 Depth=2
	s_or_b32 exec_lo, exec_lo, s15
	v_xor_b32_e32 v85, 0x80000000, v85
	; wave barrier
	s_delay_alu instid0(VALU_DEP_1) | instskip(NEXT) | instid1(VALU_DEP_1)
	v_lshrrev_b64 v[90:91], s43, v[84:85]
	v_bitop3_b32 v91, v90, 1, s55 bitop3:0x80
	v_and_b32_e32 v92, s55, v90
	s_delay_alu instid0(VALU_DEP_2) | instskip(NEXT) | instid1(VALU_DEP_1)
	v_add_co_u32 v90, s15, v91, -1
	v_cndmask_b32_e64 v91, 0, 1, s15
	s_delay_alu instid0(VALU_DEP_3) | instskip(NEXT) | instid1(VALU_DEP_2)
	v_lshlrev_b32_e32 v93, 30, v92
	v_cmp_ne_u32_e32 vcc_lo, 0, v91
	s_delay_alu instid0(VALU_DEP_2) | instskip(NEXT) | instid1(VALU_DEP_1)
	v_not_b32_e32 v91, v93
	v_dual_ashrrev_i32 v91, 31, v91 :: v_dual_bitop2_b32 v90, vcc_lo, v90 bitop3:0x14
	v_dual_lshlrev_b32 v94, 29, v92 :: v_dual_lshlrev_b32 v95, 28, v92
	v_dual_lshlrev_b32 v96, 27, v92 :: v_dual_lshlrev_b32 v97, 26, v92
	v_lshlrev_b32_e32 v204, 25, v92
	v_cmp_gt_i32_e64 s15, 0, v93
	s_delay_alu instid0(VALU_DEP_4)
	v_cmp_gt_i32_e64 s16, 0, v94
	v_not_b32_e32 v93, v94
	v_not_b32_e32 v94, v95
	v_lshlrev_b32_e32 v205, 24, v92
	v_cmp_gt_i32_e64 s17, 0, v95
	v_cmp_gt_i32_e64 s18, 0, v96
	v_not_b32_e32 v95, v96
	v_cmp_gt_i32_e64 s19, 0, v97
	v_not_b32_e32 v96, v97
	v_not_b32_e32 v97, v204
	v_dual_ashrrev_i32 v93, 31, v93 :: v_dual_ashrrev_i32 v94, 31, v94
	v_xor_b32_e32 v91, s15, v91
	v_not_b32_e32 v207, v205
	v_dual_ashrrev_i32 v95, 31, v95 :: v_dual_ashrrev_i32 v96, 31, v96
	s_delay_alu instid0(VALU_DEP_4) | instskip(SKIP_2) | instid1(VALU_DEP_4)
	v_xor_b32_e32 v93, s16, v93
	v_xor_b32_e32 v94, s17, v94
	v_bitop3_b32 v90, v90, v91, exec_lo bitop3:0x80
	v_xor_b32_e32 v95, s18, v95
	v_xor_b32_e32 v91, s19, v96
	v_cmp_gt_i32_e32 vcc_lo, 0, v204
	v_ashrrev_i32_e32 v96, 31, v97
	v_cmp_gt_i32_e64 s15, 0, v205
	v_ashrrev_i32_e32 v97, 31, v207
	v_bitop3_b32 v90, v90, v94, v93 bitop3:0x80
	v_mad_u32_u24 v93, v92, 36, v148
	v_xor_b32_e32 v94, vcc_lo, v96
	s_delay_alu instid0(VALU_DEP_4) | instskip(NEXT) | instid1(VALU_DEP_4)
	v_xor_b32_e32 v96, s15, v97
	v_bitop3_b32 v90, v90, v91, v95 bitop3:0x80
	ds_load_b32 v204, v93 offset:1056
	v_mul_u32_u24_e32 v91, 36, v92
	; wave barrier
	v_bitop3_b32 v90, v90, v96, v94 bitop3:0x80
	s_delay_alu instid0(VALU_DEP_2) | instskip(NEXT) | instid1(VALU_DEP_2)
	v_add_nc_u32_e32 v209, v148, v91
	v_mbcnt_lo_u32_b32 v205, v90, 0
	v_cmp_ne_u32_e64 s15, 0, v90
	s_delay_alu instid0(VALU_DEP_2) | instskip(SKIP_1) | instid1(SALU_CYCLE_1)
	v_cmp_eq_u32_e32 vcc_lo, 0, v205
	s_and_b32 s16, s15, vcc_lo
	s_and_saveexec_b32 s15, s16
	s_cbranch_execz .LBB804_1036
; %bb.1035:                             ;   in Loop: Header=BB804_974 Depth=2
	s_wait_dscnt 0x0
	v_bcnt_u32_b32 v90, v90, v204
	ds_store_b32 v209, v90 offset:1056
.LBB804_1036:                           ;   in Loop: Header=BB804_974 Depth=2
	s_or_b32 exec_lo, exec_lo, s15
	v_xor_b32_e32 v83, 0x80000000, v83
	; wave barrier
	s_delay_alu instid0(VALU_DEP_1) | instskip(NEXT) | instid1(VALU_DEP_1)
	v_lshrrev_b64 v[90:91], s43, v[82:83]
	v_bitop3_b32 v91, v90, 1, s55 bitop3:0x80
	v_and_b32_e32 v92, s55, v90
	s_delay_alu instid0(VALU_DEP_2) | instskip(NEXT) | instid1(VALU_DEP_1)
	v_add_co_u32 v90, s15, v91, -1
	v_cndmask_b32_e64 v91, 0, 1, s15
	s_delay_alu instid0(VALU_DEP_3) | instskip(NEXT) | instid1(VALU_DEP_2)
	v_lshlrev_b32_e32 v93, 30, v92
	v_cmp_ne_u32_e32 vcc_lo, 0, v91
	s_delay_alu instid0(VALU_DEP_2) | instskip(NEXT) | instid1(VALU_DEP_1)
	v_not_b32_e32 v91, v93
	v_dual_ashrrev_i32 v91, 31, v91 :: v_dual_bitop2_b32 v90, vcc_lo, v90 bitop3:0x14
	v_dual_lshlrev_b32 v94, 29, v92 :: v_dual_lshlrev_b32 v95, 28, v92
	v_dual_lshlrev_b32 v96, 27, v92 :: v_dual_lshlrev_b32 v97, 26, v92
	v_lshlrev_b32_e32 v207, 25, v92
	v_cmp_gt_i32_e64 s15, 0, v93
	s_delay_alu instid0(VALU_DEP_4)
	v_cmp_gt_i32_e64 s16, 0, v94
	v_not_b32_e32 v93, v94
	v_not_b32_e32 v94, v95
	v_lshlrev_b32_e32 v208, 24, v92
	v_cmp_gt_i32_e64 s17, 0, v95
	v_cmp_gt_i32_e64 s18, 0, v96
	v_not_b32_e32 v95, v96
	v_cmp_gt_i32_e64 s19, 0, v97
	v_not_b32_e32 v96, v97
	v_not_b32_e32 v97, v207
	v_dual_ashrrev_i32 v93, 31, v93 :: v_dual_ashrrev_i32 v94, 31, v94
	v_xor_b32_e32 v91, s15, v91
	v_not_b32_e32 v210, v208
	v_dual_ashrrev_i32 v95, 31, v95 :: v_dual_ashrrev_i32 v96, 31, v96
	s_delay_alu instid0(VALU_DEP_4) | instskip(SKIP_2) | instid1(VALU_DEP_4)
	v_xor_b32_e32 v93, s16, v93
	v_xor_b32_e32 v94, s17, v94
	v_bitop3_b32 v90, v90, v91, exec_lo bitop3:0x80
	v_xor_b32_e32 v95, s18, v95
	v_xor_b32_e32 v91, s19, v96
	v_cmp_gt_i32_e32 vcc_lo, 0, v207
	v_ashrrev_i32_e32 v96, 31, v97
	v_cmp_gt_i32_e64 s15, 0, v208
	v_ashrrev_i32_e32 v97, 31, v210
	v_bitop3_b32 v90, v90, v94, v93 bitop3:0x80
	v_mad_u32_u24 v93, v92, 36, v148
	v_xor_b32_e32 v94, vcc_lo, v96
	s_delay_alu instid0(VALU_DEP_4) | instskip(NEXT) | instid1(VALU_DEP_4)
	v_xor_b32_e32 v96, s15, v97
	v_bitop3_b32 v90, v90, v91, v95 bitop3:0x80
	ds_load_b32 v207, v93 offset:1056
	v_mul_u32_u24_e32 v91, 36, v92
	; wave barrier
	v_bitop3_b32 v90, v90, v96, v94 bitop3:0x80
	s_delay_alu instid0(VALU_DEP_2) | instskip(NEXT) | instid1(VALU_DEP_2)
	v_add_nc_u32_e32 v212, v148, v91
	v_mbcnt_lo_u32_b32 v208, v90, 0
	v_cmp_ne_u32_e64 s15, 0, v90
	s_delay_alu instid0(VALU_DEP_2) | instskip(SKIP_1) | instid1(SALU_CYCLE_1)
	v_cmp_eq_u32_e32 vcc_lo, 0, v208
	s_and_b32 s16, s15, vcc_lo
	s_and_saveexec_b32 s15, s16
	s_cbranch_execz .LBB804_1038
; %bb.1037:                             ;   in Loop: Header=BB804_974 Depth=2
	s_wait_dscnt 0x0
	v_bcnt_u32_b32 v90, v90, v207
	ds_store_b32 v212, v90 offset:1056
.LBB804_1038:                           ;   in Loop: Header=BB804_974 Depth=2
	s_or_b32 exec_lo, exec_lo, s15
	v_xor_b32_e32 v87, 0x80000000, v87
	; wave barrier
	s_delay_alu instid0(VALU_DEP_1) | instskip(NEXT) | instid1(VALU_DEP_1)
	v_lshrrev_b64 v[90:91], s43, v[86:87]
	v_bitop3_b32 v91, v90, 1, s55 bitop3:0x80
	v_and_b32_e32 v92, s55, v90
	s_delay_alu instid0(VALU_DEP_2) | instskip(NEXT) | instid1(VALU_DEP_1)
	v_add_co_u32 v90, s15, v91, -1
	v_cndmask_b32_e64 v91, 0, 1, s15
	s_delay_alu instid0(VALU_DEP_3) | instskip(NEXT) | instid1(VALU_DEP_2)
	v_lshlrev_b32_e32 v93, 30, v92
	v_cmp_ne_u32_e32 vcc_lo, 0, v91
	s_delay_alu instid0(VALU_DEP_2) | instskip(NEXT) | instid1(VALU_DEP_1)
	v_not_b32_e32 v91, v93
	v_dual_ashrrev_i32 v91, 31, v91 :: v_dual_bitop2_b32 v90, vcc_lo, v90 bitop3:0x14
	v_dual_lshlrev_b32 v94, 29, v92 :: v_dual_lshlrev_b32 v95, 28, v92
	v_dual_lshlrev_b32 v96, 27, v92 :: v_dual_lshlrev_b32 v97, 26, v92
	v_lshlrev_b32_e32 v210, 25, v92
	v_cmp_gt_i32_e64 s15, 0, v93
	s_delay_alu instid0(VALU_DEP_4)
	v_cmp_gt_i32_e64 s16, 0, v94
	v_not_b32_e32 v93, v94
	v_not_b32_e32 v94, v95
	v_lshlrev_b32_e32 v211, 24, v92
	v_cmp_gt_i32_e64 s17, 0, v95
	v_cmp_gt_i32_e64 s18, 0, v96
	v_not_b32_e32 v95, v96
	v_cmp_gt_i32_e64 s19, 0, v97
	v_not_b32_e32 v96, v97
	v_not_b32_e32 v97, v210
	v_dual_ashrrev_i32 v93, 31, v93 :: v_dual_ashrrev_i32 v94, 31, v94
	v_xor_b32_e32 v91, s15, v91
	v_not_b32_e32 v213, v211
	v_dual_ashrrev_i32 v95, 31, v95 :: v_dual_ashrrev_i32 v96, 31, v96
	s_delay_alu instid0(VALU_DEP_4) | instskip(SKIP_2) | instid1(VALU_DEP_4)
	v_xor_b32_e32 v93, s16, v93
	v_xor_b32_e32 v94, s17, v94
	v_bitop3_b32 v90, v90, v91, exec_lo bitop3:0x80
	v_xor_b32_e32 v95, s18, v95
	v_xor_b32_e32 v91, s19, v96
	v_cmp_gt_i32_e32 vcc_lo, 0, v210
	v_ashrrev_i32_e32 v96, 31, v97
	v_cmp_gt_i32_e64 s15, 0, v211
	v_ashrrev_i32_e32 v97, 31, v213
	v_bitop3_b32 v90, v90, v94, v93 bitop3:0x80
	v_mad_u32_u24 v93, v92, 36, v148
	v_xor_b32_e32 v94, vcc_lo, v96
	s_delay_alu instid0(VALU_DEP_4) | instskip(NEXT) | instid1(VALU_DEP_4)
	v_xor_b32_e32 v96, s15, v97
	v_bitop3_b32 v90, v90, v91, v95 bitop3:0x80
	ds_load_b32 v210, v93 offset:1056
	v_mul_u32_u24_e32 v91, 36, v92
	; wave barrier
	v_bitop3_b32 v90, v90, v96, v94 bitop3:0x80
	s_delay_alu instid0(VALU_DEP_2) | instskip(NEXT) | instid1(VALU_DEP_2)
	v_add_nc_u32_e32 v215, v148, v91
	v_mbcnt_lo_u32_b32 v211, v90, 0
	v_cmp_ne_u32_e64 s15, 0, v90
	s_delay_alu instid0(VALU_DEP_2) | instskip(SKIP_1) | instid1(SALU_CYCLE_1)
	v_cmp_eq_u32_e32 vcc_lo, 0, v211
	s_and_b32 s16, s15, vcc_lo
	s_and_saveexec_b32 s15, s16
	s_cbranch_execz .LBB804_1040
; %bb.1039:                             ;   in Loop: Header=BB804_974 Depth=2
	s_wait_dscnt 0x0
	v_bcnt_u32_b32 v90, v90, v210
	ds_store_b32 v215, v90 offset:1056
.LBB804_1040:                           ;   in Loop: Header=BB804_974 Depth=2
	s_or_b32 exec_lo, exec_lo, s15
	v_lshrrev_b64 v[90:91], s43, v[88:89]
	; wave barrier
	s_delay_alu instid0(VALU_DEP_1) | instskip(SKIP_1) | instid1(VALU_DEP_2)
	v_bitop3_b32 v91, v90, 1, s55 bitop3:0x80
	v_and_b32_e32 v92, s55, v90
	v_add_co_u32 v90, s15, v91, -1
	s_delay_alu instid0(VALU_DEP_1) | instskip(NEXT) | instid1(VALU_DEP_3)
	v_cndmask_b32_e64 v91, 0, 1, s15
	v_lshlrev_b32_e32 v93, 30, v92
	s_delay_alu instid0(VALU_DEP_2) | instskip(NEXT) | instid1(VALU_DEP_2)
	v_cmp_ne_u32_e32 vcc_lo, 0, v91
	v_not_b32_e32 v91, v93
	s_delay_alu instid0(VALU_DEP_1) | instskip(SKIP_4) | instid1(VALU_DEP_4)
	v_dual_ashrrev_i32 v91, 31, v91 :: v_dual_bitop2_b32 v90, vcc_lo, v90 bitop3:0x14
	v_dual_lshlrev_b32 v94, 29, v92 :: v_dual_lshlrev_b32 v95, 28, v92
	v_dual_lshlrev_b32 v96, 27, v92 :: v_dual_lshlrev_b32 v97, 26, v92
	v_lshlrev_b32_e32 v213, 25, v92
	v_cmp_gt_i32_e64 s15, 0, v93
	v_cmp_gt_i32_e64 s16, 0, v94
	v_not_b32_e32 v93, v94
	v_not_b32_e32 v94, v95
	v_lshlrev_b32_e32 v214, 24, v92
	v_cmp_gt_i32_e64 s17, 0, v95
	v_cmp_gt_i32_e64 s18, 0, v96
	v_not_b32_e32 v95, v96
	v_dual_ashrrev_i32 v93, 31, v93 :: v_dual_ashrrev_i32 v94, 31, v94
	v_xor_b32_e32 v91, s15, v91
	v_not_b32_e32 v96, v97
	v_cmp_gt_i32_e64 s19, 0, v97
	s_delay_alu instid0(VALU_DEP_4)
	v_dual_ashrrev_i32 v95, 31, v95 :: v_dual_bitop2_b32 v93, s16, v93 bitop3:0x14
	v_xor_b32_e32 v94, s17, v94
	v_bitop3_b32 v90, v90, v91, exec_lo bitop3:0x80
	v_ashrrev_i32_e32 v91, 31, v96
	v_not_b32_e32 v96, v213
	v_not_b32_e32 v97, v214
	v_xor_b32_e32 v95, s18, v95
	v_bitop3_b32 v90, v90, v94, v93 bitop3:0x80
	v_xor_b32_e32 v91, s19, v91
	v_cmp_gt_i32_e32 vcc_lo, 0, v213
	v_ashrrev_i32_e32 v93, 31, v96
	v_cmp_gt_i32_e64 s15, 0, v214
	v_ashrrev_i32_e32 v94, 31, v97
	v_mad_u32_u24 v96, v92, 36, v148
	v_bitop3_b32 v90, v90, v91, v95 bitop3:0x80
	v_xor_b32_e32 v91, vcc_lo, v93
	s_delay_alu instid0(VALU_DEP_4) | instskip(SKIP_3) | instid1(VALU_DEP_2)
	v_xor_b32_e32 v93, s15, v94
	ds_load_b32 v213, v96 offset:1056
	; wave barrier
	v_bitop3_b32 v90, v90, v93, v91 bitop3:0x80
	v_mul_u32_u24_e32 v91, 36, v92
	v_mbcnt_lo_u32_b32 v214, v90, 0
	v_cmp_ne_u32_e64 s15, 0, v90
	s_delay_alu instid0(VALU_DEP_3) | instskip(NEXT) | instid1(VALU_DEP_3)
	v_add_nc_u32_e32 v216, v148, v91
	v_cmp_eq_u32_e32 vcc_lo, 0, v214
	s_and_b32 s16, s15, vcc_lo
	s_delay_alu instid0(SALU_CYCLE_1)
	s_and_saveexec_b32 s15, s16
	s_cbranch_execz .LBB804_1042
; %bb.1041:                             ;   in Loop: Header=BB804_974 Depth=2
	s_wait_dscnt 0x0
	v_bcnt_u32_b32 v90, v90, v213
	ds_store_b32 v216, v90 offset:1056
.LBB804_1042:                           ;   in Loop: Header=BB804_974 Depth=2
	s_or_b32 exec_lo, exec_lo, s15
	; wave barrier
	s_wait_dscnt 0x0
	s_barrier_signal -1
	s_barrier_wait -1
	ds_load_2addr_b32 v[96:97], v168 offset1:1
	ds_load_2addr_b32 v[94:95], v169 offset1:1
	;; [unrolled: 1-line block ×4, first 2 shown]
	ds_load_b32 v217, v120 offset:1088
	s_wait_dscnt 0x3
	v_add3_u32 v218, v97, v96, v94
	s_wait_dscnt 0x2
	s_delay_alu instid0(VALU_DEP_1) | instskip(SKIP_1) | instid1(VALU_DEP_1)
	v_add3_u32 v218, v218, v95, v92
	s_wait_dscnt 0x1
	v_add3_u32 v218, v218, v93, v90
	s_wait_dscnt 0x0
	s_delay_alu instid0(VALU_DEP_1) | instskip(NEXT) | instid1(VALU_DEP_1)
	v_add3_u32 v217, v218, v91, v217
	v_mov_b32_dpp v218, v217 row_shr:1 row_mask:0xf bank_mask:0xf
	s_delay_alu instid0(VALU_DEP_1) | instskip(NEXT) | instid1(VALU_DEP_1)
	v_cndmask_b32_e64 v218, v218, 0, s7
	v_add_nc_u32_e32 v217, v218, v217
	s_delay_alu instid0(VALU_DEP_1) | instskip(NEXT) | instid1(VALU_DEP_1)
	v_mov_b32_dpp v218, v217 row_shr:2 row_mask:0xf bank_mask:0xf
	v_cndmask_b32_e64 v218, 0, v218, s8
	s_delay_alu instid0(VALU_DEP_1) | instskip(NEXT) | instid1(VALU_DEP_1)
	v_add_nc_u32_e32 v217, v217, v218
	v_mov_b32_dpp v218, v217 row_shr:4 row_mask:0xf bank_mask:0xf
	s_delay_alu instid0(VALU_DEP_1) | instskip(NEXT) | instid1(VALU_DEP_1)
	v_cndmask_b32_e64 v218, 0, v218, s9
	v_add_nc_u32_e32 v217, v217, v218
	s_delay_alu instid0(VALU_DEP_1) | instskip(NEXT) | instid1(VALU_DEP_1)
	v_mov_b32_dpp v218, v217 row_shr:8 row_mask:0xf bank_mask:0xf
	v_cndmask_b32_e64 v218, 0, v218, s10
	s_delay_alu instid0(VALU_DEP_1) | instskip(SKIP_3) | instid1(VALU_DEP_1)
	v_add_nc_u32_e32 v217, v217, v218
	ds_swizzle_b32 v218, v217 offset:swizzle(BROADCAST,32,15)
	s_wait_dscnt 0x0
	v_cndmask_b32_e64 v218, v218, 0, s11
	v_add_nc_u32_e32 v217, v217, v218
	s_and_saveexec_b32 s15, s1
; %bb.1043:                             ;   in Loop: Header=BB804_974 Depth=2
	ds_store_b32 v114, v217 offset:1024
; %bb.1044:                             ;   in Loop: Header=BB804_974 Depth=2
	s_or_b32 exec_lo, exec_lo, s15
	s_wait_dscnt 0x0
	s_barrier_signal -1
	s_barrier_wait -1
	s_and_saveexec_b32 s15, s4
	s_cbranch_execz .LBB804_1046
; %bb.1045:                             ;   in Loop: Header=BB804_974 Depth=2
	ds_load_b32 v218, v122 offset:1024
	s_wait_dscnt 0x0
	v_mov_b32_dpp v219, v218 row_shr:1 row_mask:0xf bank_mask:0xf
	s_delay_alu instid0(VALU_DEP_1) | instskip(NEXT) | instid1(VALU_DEP_1)
	v_cndmask_b32_e64 v219, v219, 0, s12
	v_add_nc_u32_e32 v218, v219, v218
	s_delay_alu instid0(VALU_DEP_1) | instskip(NEXT) | instid1(VALU_DEP_1)
	v_mov_b32_dpp v219, v218 row_shr:2 row_mask:0xf bank_mask:0xf
	v_cndmask_b32_e64 v219, 0, v219, s13
	s_delay_alu instid0(VALU_DEP_1) | instskip(NEXT) | instid1(VALU_DEP_1)
	v_add_nc_u32_e32 v218, v218, v219
	v_mov_b32_dpp v219, v218 row_shr:4 row_mask:0xf bank_mask:0xf
	s_delay_alu instid0(VALU_DEP_1) | instskip(NEXT) | instid1(VALU_DEP_1)
	v_cndmask_b32_e64 v219, 0, v219, s14
	v_add_nc_u32_e32 v218, v218, v219
	ds_store_b32 v122, v218 offset:1024
.LBB804_1046:                           ;   in Loop: Header=BB804_974 Depth=2
	s_or_b32 exec_lo, exec_lo, s15
	v_mov_b32_e32 v218, 0
	s_wait_dscnt 0x0
	s_barrier_signal -1
	s_barrier_wait -1
	s_and_saveexec_b32 s15, s5
; %bb.1047:                             ;   in Loop: Header=BB804_974 Depth=2
	ds_load_b32 v218, v114 offset:1020
; %bb.1048:                             ;   in Loop: Header=BB804_974 Depth=2
	s_or_b32 exec_lo, exec_lo, s15
	s_wait_dscnt 0x0
	v_add_nc_u32_e32 v217, v218, v217
	ds_bpermute_b32 v217, v147, v217
	s_wait_dscnt 0x0
	v_cndmask_b32_e64 v217, v217, v218, s6
	s_delay_alu instid0(VALU_DEP_1) | instskip(NEXT) | instid1(VALU_DEP_1)
	v_cndmask_b32_e64 v217, v217, 0, s2
	v_add_nc_u32_e32 v96, v217, v96
	s_delay_alu instid0(VALU_DEP_1) | instskip(NEXT) | instid1(VALU_DEP_1)
	v_add_nc_u32_e32 v97, v96, v97
	v_add_nc_u32_e32 v94, v97, v94
	s_delay_alu instid0(VALU_DEP_1) | instskip(NEXT) | instid1(VALU_DEP_1)
	v_add_nc_u32_e32 v95, v94, v95
	;; [unrolled: 3-line block ×3, first 2 shown]
	v_add_nc_u32_e32 v90, v93, v90
	s_delay_alu instid0(VALU_DEP_1)
	v_add_nc_u32_e32 v91, v90, v91
	ds_store_2addr_b32 v167, v93, v90 offset1:1
	ds_store_2addr_b32 v168, v217, v96 offset1:1
	;; [unrolled: 1-line block ×4, first 2 shown]
	ds_store_b32 v120, v91 offset:1088
	s_wait_dscnt 0x0
	s_barrier_signal -1
	s_barrier_wait -1
	ds_load_b32 v91, v171 offset:1056
	ds_load_b32 v218, v174 offset:1056
	;; [unrolled: 1-line block ×17, first 2 shown]
	v_mov_b32_e32 v90, 0x1000
	s_and_saveexec_b32 s15, s3
; %bb.1049:                             ;   in Loop: Header=BB804_974 Depth=2
	ds_load_b32 v90, v120 offset:1092
; %bb.1050:                             ;   in Loop: Header=BB804_974 Depth=2
	s_or_b32 exec_lo, exec_lo, s15
	s_wait_dscnt 0x0
	s_barrier_signal -1
	s_barrier_wait -1
	s_and_saveexec_b32 s15, s0
	s_cbranch_execz .LBB804_1052
; %bb.1051:                             ;   in Loop: Header=BB804_974 Depth=2
	ds_load_b32 v183, v3
	s_wait_dscnt 0x0
	v_sub_nc_u32_e32 v180, v183, v180
	ds_store_b32 v3, v180
.LBB804_1052:                           ;   in Loop: Header=BB804_974 Depth=2
	s_or_b32 exec_lo, exec_lo, s15
	v_dual_lshlrev_b32 v166, 3, v166 :: v_dual_lshlrev_b32 v173, 3, v173
	v_dual_lshlrev_b32 v172, 3, v172 :: v_dual_lshlrev_b32 v180, 3, v218
	v_lshlrev_b32_e32 v176, 3, v176
	s_delay_alu instid0(VALU_DEP_3)
	v_lshl_add_u32 v91, v91, 3, v166
	v_dual_lshlrev_b32 v166, 3, v175 :: v_dual_lshlrev_b32 v175, 3, v217
	v_dual_lshlrev_b32 v179, 3, v179 :: v_dual_lshlrev_b32 v178, 3, v178
	v_dual_lshlrev_b32 v181, 3, v181 :: v_dual_lshlrev_b32 v94, 3, v94
	v_dual_lshlrev_b32 v93, 3, v93 :: v_dual_lshlrev_b32 v182, 3, v182
	v_dual_lshlrev_b32 v183, 3, v185 :: v_dual_lshlrev_b32 v184, 3, v184
	v_lshlrev_b32_e32 v185, 3, v92
	ds_store_b64 v91, v[60:61] offset:1024
	v_add3_u32 v60, v173, v172, v180
	v_add3_u32 v61, v176, v166, v175
	;; [unrolled: 1-line block ×5, first 2 shown]
	ds_store_b64 v60, v[58:59] offset:1024
	ds_store_b64 v61, v[64:65] offset:1024
	;; [unrolled: 1-line block ×5, first 2 shown]
	v_dual_lshlrev_b32 v58, 3, v188 :: v_dual_lshlrev_b32 v63, 3, v191
	v_dual_lshlrev_b32 v59, 3, v187 :: v_dual_lshlrev_b32 v62, 3, v177
	;; [unrolled: 1-line block ×7, first 2 shown]
	v_lshlrev_b32_e32 v169, 3, v169
	v_add3_u32 v62, v58, v59, v62
	v_add3_u32 v63, v63, v64, v65
	;; [unrolled: 1-line block ×4, first 2 shown]
	v_lshlrev_b32_e32 v58, 3, v203
	v_add3_u32 v66, v171, v172, v169
	ds_store_b64 v62, v[72:73] offset:1024
	ds_store_b64 v63, v[70:71] offset:1024
	;; [unrolled: 1-line block ×5, first 2 shown]
	v_dual_lshlrev_b32 v59, 3, v201 :: v_dual_lshlrev_b32 v67, 3, v168
	v_dual_lshlrev_b32 v68, 3, v205 :: v_dual_lshlrev_b32 v69, 3, v204
	;; [unrolled: 1-line block ×7, first 2 shown]
	v_add3_u32 v67, v58, v59, v67
	v_add3_u32 v68, v68, v69, v70
	v_add3_u32 v69, v71, v72, v73
	v_add3_u32 v70, v74, v75, v76
	v_add3_u32 v71, v77, v80, v81
	v_cmp_lt_u32_e32 vcc_lo, v2, v165
	ds_store_b64 v67, v[78:79] offset:1024
	ds_store_b64 v68, v[84:85] offset:1024
	;; [unrolled: 1-line block ×5, first 2 shown]
	s_wait_dscnt 0x0
	s_barrier_signal -1
	s_barrier_wait -1
	s_and_saveexec_b32 s15, vcc_lo
	s_cbranch_execnz .LBB804_1121
; %bb.1053:                             ;   in Loop: Header=BB804_974 Depth=2
	s_or_b32 exec_lo, exec_lo, s15
	v_cmp_lt_u32_e64 s15, v98, v165
	s_and_saveexec_b32 s16, s15
	s_cbranch_execnz .LBB804_1122
.LBB804_1054:                           ;   in Loop: Header=BB804_974 Depth=2
	s_or_b32 exec_lo, exec_lo, s16
	v_cmp_lt_u32_e64 s16, v99, v165
	s_and_saveexec_b32 s17, s16
	s_cbranch_execnz .LBB804_1123
.LBB804_1055:                           ;   in Loop: Header=BB804_974 Depth=2
	s_or_b32 exec_lo, exec_lo, s17
	v_cmp_lt_u32_e64 s17, v100, v165
	s_and_saveexec_b32 s18, s17
	s_cbranch_execnz .LBB804_1124
.LBB804_1056:                           ;   in Loop: Header=BB804_974 Depth=2
	s_or_b32 exec_lo, exec_lo, s18
	v_cmp_lt_u32_e64 s18, v101, v165
	s_and_saveexec_b32 s19, s18
	s_cbranch_execnz .LBB804_1125
.LBB804_1057:                           ;   in Loop: Header=BB804_974 Depth=2
	s_or_b32 exec_lo, exec_lo, s19
	v_cmp_lt_u32_e64 s19, v102, v165
	s_and_saveexec_b32 s20, s19
	s_cbranch_execnz .LBB804_1126
.LBB804_1058:                           ;   in Loop: Header=BB804_974 Depth=2
	s_or_b32 exec_lo, exec_lo, s20
	v_cmp_lt_u32_e64 s20, v103, v165
	s_and_saveexec_b32 s21, s20
	s_cbranch_execnz .LBB804_1127
.LBB804_1059:                           ;   in Loop: Header=BB804_974 Depth=2
	s_or_b32 exec_lo, exec_lo, s21
	v_cmp_lt_u32_e64 s21, v104, v165
	s_and_saveexec_b32 s22, s21
	s_cbranch_execnz .LBB804_1128
.LBB804_1060:                           ;   in Loop: Header=BB804_974 Depth=2
	s_or_b32 exec_lo, exec_lo, s22
	v_cmp_lt_u32_e64 s22, v105, v165
	s_and_saveexec_b32 s23, s22
	s_cbranch_execnz .LBB804_1129
.LBB804_1061:                           ;   in Loop: Header=BB804_974 Depth=2
	s_or_b32 exec_lo, exec_lo, s23
	v_cmp_lt_u32_e64 s23, v106, v165
	s_and_saveexec_b32 s24, s23
	s_cbranch_execnz .LBB804_1130
.LBB804_1062:                           ;   in Loop: Header=BB804_974 Depth=2
	s_or_b32 exec_lo, exec_lo, s24
	v_cmp_lt_u32_e64 s24, v107, v165
	s_and_saveexec_b32 s25, s24
	s_cbranch_execnz .LBB804_1131
.LBB804_1063:                           ;   in Loop: Header=BB804_974 Depth=2
	s_or_b32 exec_lo, exec_lo, s25
	v_cmp_lt_u32_e64 s25, v108, v165
	s_and_saveexec_b32 s26, s25
	s_cbranch_execnz .LBB804_1132
.LBB804_1064:                           ;   in Loop: Header=BB804_974 Depth=2
	s_or_b32 exec_lo, exec_lo, s26
	v_cmp_lt_u32_e64 s26, v109, v165
	s_and_saveexec_b32 s27, s26
	s_cbranch_execnz .LBB804_1133
.LBB804_1065:                           ;   in Loop: Header=BB804_974 Depth=2
	s_or_b32 exec_lo, exec_lo, s27
	v_cmp_lt_u32_e64 s27, v110, v165
	s_and_saveexec_b32 s28, s27
	s_cbranch_execnz .LBB804_1134
.LBB804_1066:                           ;   in Loop: Header=BB804_974 Depth=2
	s_or_b32 exec_lo, exec_lo, s28
	v_cmp_lt_u32_e64 s28, v111, v165
	s_and_saveexec_b32 s29, s28
	s_cbranch_execnz .LBB804_1135
.LBB804_1067:                           ;   in Loop: Header=BB804_974 Depth=2
	s_or_b32 exec_lo, exec_lo, s29
	v_cmp_lt_u32_e64 s29, v112, v165
	s_and_saveexec_b32 s58, s29
	s_cbranch_execz .LBB804_1069
.LBB804_1068:                           ;   in Loop: Header=BB804_974 Depth=2
	ds_load_b64 v[58:59], v123 offset:31744
	s_wait_dscnt 0x0
	v_lshrrev_b64 v[72:73], s43, v[58:59]
	v_xor_b32_e32 v59, 0x80000000, v59
	s_delay_alu instid0(VALU_DEP_2) | instskip(NEXT) | instid1(VALU_DEP_1)
	v_and_b32_e32 v72, s55, v72
	v_lshlrev_b32_e32 v72, 2, v72
	ds_load_b32 v72, v72
	s_wait_dscnt 0x0
	v_add_nc_u32_e32 v72, v72, v112
	global_store_b64 v72, v[58:59], s[40:41] scale_offset
.LBB804_1069:                           ;   in Loop: Header=BB804_974 Depth=2
	s_wait_xcnt 0x0
	s_or_b32 exec_lo, exec_lo, s58
	v_lshl_add_u64 v[58:59], s[30:31], 3, v[22:23]
	v_cmp_lt_u32_e64 s30, v129, v165
	s_and_saveexec_b32 s58, s30
	s_delay_alu instid0(SALU_CYCLE_1)
	s_xor_b32 s30, exec_lo, s58
	s_cbranch_execnz .LBB804_1136
; %bb.1070:                             ;   in Loop: Header=BB804_974 Depth=2
	s_or_b32 exec_lo, exec_lo, s30
	s_delay_alu instid0(SALU_CYCLE_1)
	s_mov_b32 s58, exec_lo
	v_cmpx_lt_u32_e64 v132, v165
	s_cbranch_execnz .LBB804_1137
.LBB804_1071:                           ;   in Loop: Header=BB804_974 Depth=2
	s_or_b32 exec_lo, exec_lo, s58
	s_delay_alu instid0(SALU_CYCLE_1)
	s_mov_b32 s58, exec_lo
	v_cmpx_lt_u32_e64 v133, v165
	s_cbranch_execnz .LBB804_1138
.LBB804_1072:                           ;   in Loop: Header=BB804_974 Depth=2
	s_or_b32 exec_lo, exec_lo, s58
	s_delay_alu instid0(SALU_CYCLE_1)
	s_mov_b32 s58, exec_lo
	v_cmpx_lt_u32_e64 v134, v165
	s_cbranch_execnz .LBB804_1139
.LBB804_1073:                           ;   in Loop: Header=BB804_974 Depth=2
	s_or_b32 exec_lo, exec_lo, s58
	s_delay_alu instid0(SALU_CYCLE_1)
	s_mov_b32 s58, exec_lo
	v_cmpx_lt_u32_e64 v135, v165
	s_cbranch_execnz .LBB804_1140
.LBB804_1074:                           ;   in Loop: Header=BB804_974 Depth=2
	s_or_b32 exec_lo, exec_lo, s58
	s_delay_alu instid0(SALU_CYCLE_1)
	s_mov_b32 s58, exec_lo
	v_cmpx_lt_u32_e64 v136, v165
	s_cbranch_execnz .LBB804_1141
.LBB804_1075:                           ;   in Loop: Header=BB804_974 Depth=2
	s_or_b32 exec_lo, exec_lo, s58
	s_delay_alu instid0(SALU_CYCLE_1)
	s_mov_b32 s58, exec_lo
	v_cmpx_lt_u32_e64 v137, v165
	s_cbranch_execnz .LBB804_1142
.LBB804_1076:                           ;   in Loop: Header=BB804_974 Depth=2
	s_or_b32 exec_lo, exec_lo, s58
	s_delay_alu instid0(SALU_CYCLE_1)
	s_mov_b32 s58, exec_lo
	v_cmpx_lt_u32_e64 v138, v165
	s_cbranch_execnz .LBB804_1143
.LBB804_1077:                           ;   in Loop: Header=BB804_974 Depth=2
	s_or_b32 exec_lo, exec_lo, s58
	s_delay_alu instid0(SALU_CYCLE_1)
	s_mov_b32 s58, exec_lo
	v_cmpx_lt_u32_e64 v139, v165
	s_cbranch_execnz .LBB804_1144
.LBB804_1078:                           ;   in Loop: Header=BB804_974 Depth=2
	s_or_b32 exec_lo, exec_lo, s58
	s_delay_alu instid0(SALU_CYCLE_1)
	s_mov_b32 s58, exec_lo
	v_cmpx_lt_u32_e64 v140, v165
	s_cbranch_execnz .LBB804_1145
.LBB804_1079:                           ;   in Loop: Header=BB804_974 Depth=2
	s_or_b32 exec_lo, exec_lo, s58
	s_delay_alu instid0(SALU_CYCLE_1)
	s_mov_b32 s58, exec_lo
	v_cmpx_lt_u32_e64 v141, v165
	s_cbranch_execnz .LBB804_1146
.LBB804_1080:                           ;   in Loop: Header=BB804_974 Depth=2
	s_or_b32 exec_lo, exec_lo, s58
	s_delay_alu instid0(SALU_CYCLE_1)
	s_mov_b32 s58, exec_lo
	v_cmpx_lt_u32_e64 v142, v165
	s_cbranch_execnz .LBB804_1147
.LBB804_1081:                           ;   in Loop: Header=BB804_974 Depth=2
	s_or_b32 exec_lo, exec_lo, s58
	s_delay_alu instid0(SALU_CYCLE_1)
	s_mov_b32 s58, exec_lo
	v_cmpx_lt_u32_e64 v143, v165
	s_cbranch_execnz .LBB804_1148
.LBB804_1082:                           ;   in Loop: Header=BB804_974 Depth=2
	s_or_b32 exec_lo, exec_lo, s58
	s_delay_alu instid0(SALU_CYCLE_1)
	s_mov_b32 s58, exec_lo
	v_cmpx_lt_u32_e64 v144, v165
	s_cbranch_execnz .LBB804_1149
.LBB804_1083:                           ;   in Loop: Header=BB804_974 Depth=2
	s_or_b32 exec_lo, exec_lo, s58
	s_delay_alu instid0(SALU_CYCLE_1)
	s_mov_b32 s58, exec_lo
	v_cmpx_lt_u32_e64 v145, v165
	s_cbranch_execnz .LBB804_1150
.LBB804_1084:                           ;   in Loop: Header=BB804_974 Depth=2
	s_or_b32 exec_lo, exec_lo, s58
	s_delay_alu instid0(SALU_CYCLE_1)
	s_mov_b32 s58, exec_lo
	v_cmpx_lt_u32_e64 v146, v165
	s_cbranch_execnz .LBB804_1151
.LBB804_1085:                           ;   in Loop: Header=BB804_974 Depth=2
	s_or_b32 exec_lo, exec_lo, s58
	s_and_saveexec_b32 s30, vcc_lo
	s_cbranch_execnz .LBB804_1152
.LBB804_1086:                           ;   in Loop: Header=BB804_974 Depth=2
	s_or_b32 exec_lo, exec_lo, s30
	s_and_saveexec_b32 s30, s15
	s_cbranch_execnz .LBB804_1153
.LBB804_1087:                           ;   in Loop: Header=BB804_974 Depth=2
	s_or_b32 exec_lo, exec_lo, s30
	s_and_saveexec_b32 s30, s16
	s_cbranch_execnz .LBB804_1154
.LBB804_1088:                           ;   in Loop: Header=BB804_974 Depth=2
	s_or_b32 exec_lo, exec_lo, s30
	s_and_saveexec_b32 s30, s17
	s_cbranch_execnz .LBB804_1155
.LBB804_1089:                           ;   in Loop: Header=BB804_974 Depth=2
	s_or_b32 exec_lo, exec_lo, s30
	s_and_saveexec_b32 s30, s18
	s_cbranch_execnz .LBB804_1156
.LBB804_1090:                           ;   in Loop: Header=BB804_974 Depth=2
	s_or_b32 exec_lo, exec_lo, s30
	s_and_saveexec_b32 s30, s19
	s_cbranch_execnz .LBB804_1157
.LBB804_1091:                           ;   in Loop: Header=BB804_974 Depth=2
	s_or_b32 exec_lo, exec_lo, s30
	s_and_saveexec_b32 s30, s20
	s_cbranch_execnz .LBB804_1158
.LBB804_1092:                           ;   in Loop: Header=BB804_974 Depth=2
	s_or_b32 exec_lo, exec_lo, s30
	s_and_saveexec_b32 s30, s21
	s_cbranch_execnz .LBB804_1159
.LBB804_1093:                           ;   in Loop: Header=BB804_974 Depth=2
	s_or_b32 exec_lo, exec_lo, s30
	s_and_saveexec_b32 s30, s22
	s_cbranch_execnz .LBB804_1160
.LBB804_1094:                           ;   in Loop: Header=BB804_974 Depth=2
	s_or_b32 exec_lo, exec_lo, s30
	s_and_saveexec_b32 s30, s23
	s_cbranch_execnz .LBB804_1161
.LBB804_1095:                           ;   in Loop: Header=BB804_974 Depth=2
	s_or_b32 exec_lo, exec_lo, s30
	s_and_saveexec_b32 s30, s24
	s_cbranch_execnz .LBB804_1162
.LBB804_1096:                           ;   in Loop: Header=BB804_974 Depth=2
	s_or_b32 exec_lo, exec_lo, s30
	s_and_saveexec_b32 s30, s25
	s_cbranch_execnz .LBB804_1163
.LBB804_1097:                           ;   in Loop: Header=BB804_974 Depth=2
	s_or_b32 exec_lo, exec_lo, s30
	s_and_saveexec_b32 s30, s26
	s_cbranch_execnz .LBB804_1164
.LBB804_1098:                           ;   in Loop: Header=BB804_974 Depth=2
	s_or_b32 exec_lo, exec_lo, s30
	s_and_saveexec_b32 s30, s27
	s_cbranch_execnz .LBB804_1165
.LBB804_1099:                           ;   in Loop: Header=BB804_974 Depth=2
	s_or_b32 exec_lo, exec_lo, s30
	s_and_saveexec_b32 s30, s28
	s_cbranch_execnz .LBB804_1166
.LBB804_1100:                           ;   in Loop: Header=BB804_974 Depth=2
	s_or_b32 exec_lo, exec_lo, s30
	s_and_saveexec_b32 s30, s29
	s_cbranch_execz .LBB804_1102
.LBB804_1101:                           ;   in Loop: Header=BB804_974 Depth=2
	ds_load_b64 v[58:59], v123 offset:31744
	s_wait_dscnt 0x0
	v_lshrrev_b64 v[58:59], s43, v[58:59]
	s_delay_alu instid0(VALU_DEP_1)
	v_and_b32_e32 v149, s55, v58
.LBB804_1102:                           ;   in Loop: Header=BB804_974 Depth=2
	s_or_b32 exec_lo, exec_lo, s30
	s_wait_loadcnt 0x0
	s_wait_storecnt 0x0
	s_barrier_signal -1
	s_barrier_wait -1
	ds_store_b64 v91, v[56:57] offset:1024
	ds_store_b64 v60, v[54:55] offset:1024
	;; [unrolled: 1-line block ×16, first 2 shown]
	s_wait_dscnt 0x0
	s_barrier_signal -1
	s_barrier_wait -1
	s_and_saveexec_b32 s30, vcc_lo
	s_cbranch_execnz .LBB804_1167
; %bb.1103:                             ;   in Loop: Header=BB804_974 Depth=2
	s_or_b32 exec_lo, exec_lo, s30
	s_and_saveexec_b32 s30, s15
	s_cbranch_execnz .LBB804_1168
.LBB804_1104:                           ;   in Loop: Header=BB804_974 Depth=2
	s_or_b32 exec_lo, exec_lo, s30
	s_and_saveexec_b32 s15, s16
	s_cbranch_execnz .LBB804_1169
.LBB804_1105:                           ;   in Loop: Header=BB804_974 Depth=2
	s_or_b32 exec_lo, exec_lo, s15
	s_and_saveexec_b32 s15, s17
	s_cbranch_execnz .LBB804_1170
.LBB804_1106:                           ;   in Loop: Header=BB804_974 Depth=2
	s_or_b32 exec_lo, exec_lo, s15
	s_and_saveexec_b32 s15, s18
	s_cbranch_execnz .LBB804_1171
.LBB804_1107:                           ;   in Loop: Header=BB804_974 Depth=2
	s_or_b32 exec_lo, exec_lo, s15
	s_and_saveexec_b32 s15, s19
	s_cbranch_execnz .LBB804_1172
.LBB804_1108:                           ;   in Loop: Header=BB804_974 Depth=2
	s_or_b32 exec_lo, exec_lo, s15
	s_and_saveexec_b32 s15, s20
	s_cbranch_execnz .LBB804_1173
.LBB804_1109:                           ;   in Loop: Header=BB804_974 Depth=2
	s_or_b32 exec_lo, exec_lo, s15
	s_and_saveexec_b32 s15, s21
	s_cbranch_execnz .LBB804_1174
.LBB804_1110:                           ;   in Loop: Header=BB804_974 Depth=2
	s_or_b32 exec_lo, exec_lo, s15
	s_and_saveexec_b32 s15, s22
	s_cbranch_execnz .LBB804_1175
.LBB804_1111:                           ;   in Loop: Header=BB804_974 Depth=2
	s_or_b32 exec_lo, exec_lo, s15
	s_and_saveexec_b32 s15, s23
	s_cbranch_execnz .LBB804_1176
.LBB804_1112:                           ;   in Loop: Header=BB804_974 Depth=2
	s_or_b32 exec_lo, exec_lo, s15
	s_and_saveexec_b32 s15, s24
	s_cbranch_execnz .LBB804_1177
.LBB804_1113:                           ;   in Loop: Header=BB804_974 Depth=2
	s_or_b32 exec_lo, exec_lo, s15
	s_and_saveexec_b32 s15, s25
	s_cbranch_execnz .LBB804_1178
.LBB804_1114:                           ;   in Loop: Header=BB804_974 Depth=2
	s_or_b32 exec_lo, exec_lo, s15
	s_and_saveexec_b32 s15, s26
	s_cbranch_execnz .LBB804_1179
.LBB804_1115:                           ;   in Loop: Header=BB804_974 Depth=2
	s_or_b32 exec_lo, exec_lo, s15
	s_and_saveexec_b32 s15, s27
	s_cbranch_execnz .LBB804_1180
.LBB804_1116:                           ;   in Loop: Header=BB804_974 Depth=2
	s_or_b32 exec_lo, exec_lo, s15
	s_and_saveexec_b32 s15, s28
	s_cbranch_execnz .LBB804_1181
.LBB804_1117:                           ;   in Loop: Header=BB804_974 Depth=2
	s_or_b32 exec_lo, exec_lo, s15
	s_and_saveexec_b32 s15, s29
	s_cbranch_execz .LBB804_1119
.LBB804_1118:                           ;   in Loop: Header=BB804_974 Depth=2
	v_lshlrev_b32_e32 v58, 2, v149
	ds_load_b32 v60, v58
	ds_load_b64 v[58:59], v123 offset:31744
	s_wait_dscnt 0x1
	v_add_nc_u32_e32 v60, v60, v112
	s_wait_dscnt 0x0
	global_store_b64 v60, v[58:59], s[46:47] scale_offset
.LBB804_1119:                           ;   in Loop: Header=BB804_974 Depth=2
	s_wait_xcnt 0x0
	s_or_b32 exec_lo, exec_lo, s15
	s_wait_storecnt 0x0
	s_barrier_signal -1
	s_barrier_wait -1
	s_and_saveexec_b32 s15, s0
	s_cbranch_execz .LBB804_973
; %bb.1120:                             ;   in Loop: Header=BB804_974 Depth=2
	ds_load_b32 v58, v3
	s_wait_dscnt 0x0
	v_add_nc_u32_e32 v58, v58, v90
	ds_store_b32 v3, v58
	s_branch .LBB804_973
.LBB804_1121:                           ;   in Loop: Header=BB804_974 Depth=2
	ds_load_b64 v[58:59], v123 offset:1024
	s_wait_dscnt 0x0
	v_lshrrev_b64 v[72:73], s43, v[58:59]
	v_xor_b32_e32 v59, 0x80000000, v59
	s_delay_alu instid0(VALU_DEP_2) | instskip(NEXT) | instid1(VALU_DEP_1)
	v_and_b32_e32 v72, s55, v72
	v_lshlrev_b32_e32 v72, 2, v72
	ds_load_b32 v72, v72
	s_wait_dscnt 0x0
	v_add_nc_u32_e32 v72, v72, v2
	global_store_b64 v72, v[58:59], s[40:41] scale_offset
	s_wait_xcnt 0x0
	s_or_b32 exec_lo, exec_lo, s15
	v_cmp_lt_u32_e64 s15, v98, v165
	s_and_saveexec_b32 s16, s15
	s_cbranch_execz .LBB804_1054
.LBB804_1122:                           ;   in Loop: Header=BB804_974 Depth=2
	ds_load_b64 v[58:59], v123 offset:3072
	s_wait_dscnt 0x0
	v_lshrrev_b64 v[72:73], s43, v[58:59]
	v_xor_b32_e32 v59, 0x80000000, v59
	s_delay_alu instid0(VALU_DEP_2) | instskip(NEXT) | instid1(VALU_DEP_1)
	v_and_b32_e32 v72, s55, v72
	v_lshlrev_b32_e32 v72, 2, v72
	ds_load_b32 v72, v72
	s_wait_dscnt 0x0
	v_add_nc_u32_e32 v72, v72, v98
	global_store_b64 v72, v[58:59], s[40:41] scale_offset
	s_wait_xcnt 0x0
	s_or_b32 exec_lo, exec_lo, s16
	v_cmp_lt_u32_e64 s16, v99, v165
	s_and_saveexec_b32 s17, s16
	s_cbranch_execz .LBB804_1055
.LBB804_1123:                           ;   in Loop: Header=BB804_974 Depth=2
	ds_load_b64 v[58:59], v123 offset:5120
	s_wait_dscnt 0x0
	v_lshrrev_b64 v[72:73], s43, v[58:59]
	v_xor_b32_e32 v59, 0x80000000, v59
	s_delay_alu instid0(VALU_DEP_2) | instskip(NEXT) | instid1(VALU_DEP_1)
	v_and_b32_e32 v72, s55, v72
	v_lshlrev_b32_e32 v72, 2, v72
	ds_load_b32 v72, v72
	s_wait_dscnt 0x0
	v_add_nc_u32_e32 v72, v72, v99
	global_store_b64 v72, v[58:59], s[40:41] scale_offset
	s_wait_xcnt 0x0
	s_or_b32 exec_lo, exec_lo, s17
	v_cmp_lt_u32_e64 s17, v100, v165
	s_and_saveexec_b32 s18, s17
	s_cbranch_execz .LBB804_1056
.LBB804_1124:                           ;   in Loop: Header=BB804_974 Depth=2
	ds_load_b64 v[58:59], v123 offset:7168
	s_wait_dscnt 0x0
	v_lshrrev_b64 v[72:73], s43, v[58:59]
	v_xor_b32_e32 v59, 0x80000000, v59
	s_delay_alu instid0(VALU_DEP_2) | instskip(NEXT) | instid1(VALU_DEP_1)
	v_and_b32_e32 v72, s55, v72
	v_lshlrev_b32_e32 v72, 2, v72
	ds_load_b32 v72, v72
	s_wait_dscnt 0x0
	v_add_nc_u32_e32 v72, v72, v100
	global_store_b64 v72, v[58:59], s[40:41] scale_offset
	s_wait_xcnt 0x0
	s_or_b32 exec_lo, exec_lo, s18
	v_cmp_lt_u32_e64 s18, v101, v165
	s_and_saveexec_b32 s19, s18
	s_cbranch_execz .LBB804_1057
.LBB804_1125:                           ;   in Loop: Header=BB804_974 Depth=2
	ds_load_b64 v[58:59], v123 offset:9216
	s_wait_dscnt 0x0
	v_lshrrev_b64 v[72:73], s43, v[58:59]
	v_xor_b32_e32 v59, 0x80000000, v59
	s_delay_alu instid0(VALU_DEP_2) | instskip(NEXT) | instid1(VALU_DEP_1)
	v_and_b32_e32 v72, s55, v72
	v_lshlrev_b32_e32 v72, 2, v72
	ds_load_b32 v72, v72
	s_wait_dscnt 0x0
	v_add_nc_u32_e32 v72, v72, v101
	global_store_b64 v72, v[58:59], s[40:41] scale_offset
	s_wait_xcnt 0x0
	s_or_b32 exec_lo, exec_lo, s19
	v_cmp_lt_u32_e64 s19, v102, v165
	s_and_saveexec_b32 s20, s19
	s_cbranch_execz .LBB804_1058
.LBB804_1126:                           ;   in Loop: Header=BB804_974 Depth=2
	ds_load_b64 v[58:59], v123 offset:11264
	s_wait_dscnt 0x0
	v_lshrrev_b64 v[72:73], s43, v[58:59]
	v_xor_b32_e32 v59, 0x80000000, v59
	s_delay_alu instid0(VALU_DEP_2) | instskip(NEXT) | instid1(VALU_DEP_1)
	v_and_b32_e32 v72, s55, v72
	v_lshlrev_b32_e32 v72, 2, v72
	ds_load_b32 v72, v72
	s_wait_dscnt 0x0
	v_add_nc_u32_e32 v72, v72, v102
	global_store_b64 v72, v[58:59], s[40:41] scale_offset
	s_wait_xcnt 0x0
	s_or_b32 exec_lo, exec_lo, s20
	v_cmp_lt_u32_e64 s20, v103, v165
	s_and_saveexec_b32 s21, s20
	s_cbranch_execz .LBB804_1059
.LBB804_1127:                           ;   in Loop: Header=BB804_974 Depth=2
	ds_load_b64 v[58:59], v123 offset:13312
	s_wait_dscnt 0x0
	v_lshrrev_b64 v[72:73], s43, v[58:59]
	v_xor_b32_e32 v59, 0x80000000, v59
	s_delay_alu instid0(VALU_DEP_2) | instskip(NEXT) | instid1(VALU_DEP_1)
	v_and_b32_e32 v72, s55, v72
	v_lshlrev_b32_e32 v72, 2, v72
	ds_load_b32 v72, v72
	s_wait_dscnt 0x0
	v_add_nc_u32_e32 v72, v72, v103
	global_store_b64 v72, v[58:59], s[40:41] scale_offset
	s_wait_xcnt 0x0
	s_or_b32 exec_lo, exec_lo, s21
	v_cmp_lt_u32_e64 s21, v104, v165
	s_and_saveexec_b32 s22, s21
	s_cbranch_execz .LBB804_1060
.LBB804_1128:                           ;   in Loop: Header=BB804_974 Depth=2
	ds_load_b64 v[58:59], v123 offset:15360
	s_wait_dscnt 0x0
	v_lshrrev_b64 v[72:73], s43, v[58:59]
	v_xor_b32_e32 v59, 0x80000000, v59
	s_delay_alu instid0(VALU_DEP_2) | instskip(NEXT) | instid1(VALU_DEP_1)
	v_and_b32_e32 v72, s55, v72
	v_lshlrev_b32_e32 v72, 2, v72
	ds_load_b32 v72, v72
	s_wait_dscnt 0x0
	v_add_nc_u32_e32 v72, v72, v104
	global_store_b64 v72, v[58:59], s[40:41] scale_offset
	s_wait_xcnt 0x0
	s_or_b32 exec_lo, exec_lo, s22
	v_cmp_lt_u32_e64 s22, v105, v165
	s_and_saveexec_b32 s23, s22
	s_cbranch_execz .LBB804_1061
.LBB804_1129:                           ;   in Loop: Header=BB804_974 Depth=2
	ds_load_b64 v[58:59], v123 offset:17408
	s_wait_dscnt 0x0
	v_lshrrev_b64 v[72:73], s43, v[58:59]
	v_xor_b32_e32 v59, 0x80000000, v59
	s_delay_alu instid0(VALU_DEP_2) | instskip(NEXT) | instid1(VALU_DEP_1)
	v_and_b32_e32 v72, s55, v72
	v_lshlrev_b32_e32 v72, 2, v72
	ds_load_b32 v72, v72
	s_wait_dscnt 0x0
	v_add_nc_u32_e32 v72, v72, v105
	global_store_b64 v72, v[58:59], s[40:41] scale_offset
	s_wait_xcnt 0x0
	s_or_b32 exec_lo, exec_lo, s23
	v_cmp_lt_u32_e64 s23, v106, v165
	s_and_saveexec_b32 s24, s23
	s_cbranch_execz .LBB804_1062
.LBB804_1130:                           ;   in Loop: Header=BB804_974 Depth=2
	ds_load_b64 v[58:59], v123 offset:19456
	s_wait_dscnt 0x0
	v_lshrrev_b64 v[72:73], s43, v[58:59]
	v_xor_b32_e32 v59, 0x80000000, v59
	s_delay_alu instid0(VALU_DEP_2) | instskip(NEXT) | instid1(VALU_DEP_1)
	v_and_b32_e32 v72, s55, v72
	v_lshlrev_b32_e32 v72, 2, v72
	ds_load_b32 v72, v72
	s_wait_dscnt 0x0
	v_add_nc_u32_e32 v72, v72, v106
	global_store_b64 v72, v[58:59], s[40:41] scale_offset
	s_wait_xcnt 0x0
	s_or_b32 exec_lo, exec_lo, s24
	v_cmp_lt_u32_e64 s24, v107, v165
	s_and_saveexec_b32 s25, s24
	s_cbranch_execz .LBB804_1063
.LBB804_1131:                           ;   in Loop: Header=BB804_974 Depth=2
	ds_load_b64 v[58:59], v123 offset:21504
	s_wait_dscnt 0x0
	v_lshrrev_b64 v[72:73], s43, v[58:59]
	v_xor_b32_e32 v59, 0x80000000, v59
	s_delay_alu instid0(VALU_DEP_2) | instskip(NEXT) | instid1(VALU_DEP_1)
	v_and_b32_e32 v72, s55, v72
	v_lshlrev_b32_e32 v72, 2, v72
	ds_load_b32 v72, v72
	s_wait_dscnt 0x0
	v_add_nc_u32_e32 v72, v72, v107
	global_store_b64 v72, v[58:59], s[40:41] scale_offset
	s_wait_xcnt 0x0
	s_or_b32 exec_lo, exec_lo, s25
	v_cmp_lt_u32_e64 s25, v108, v165
	s_and_saveexec_b32 s26, s25
	s_cbranch_execz .LBB804_1064
.LBB804_1132:                           ;   in Loop: Header=BB804_974 Depth=2
	ds_load_b64 v[58:59], v123 offset:23552
	s_wait_dscnt 0x0
	v_lshrrev_b64 v[72:73], s43, v[58:59]
	v_xor_b32_e32 v59, 0x80000000, v59
	s_delay_alu instid0(VALU_DEP_2) | instskip(NEXT) | instid1(VALU_DEP_1)
	v_and_b32_e32 v72, s55, v72
	v_lshlrev_b32_e32 v72, 2, v72
	ds_load_b32 v72, v72
	s_wait_dscnt 0x0
	v_add_nc_u32_e32 v72, v72, v108
	global_store_b64 v72, v[58:59], s[40:41] scale_offset
	s_wait_xcnt 0x0
	s_or_b32 exec_lo, exec_lo, s26
	v_cmp_lt_u32_e64 s26, v109, v165
	s_and_saveexec_b32 s27, s26
	s_cbranch_execz .LBB804_1065
.LBB804_1133:                           ;   in Loop: Header=BB804_974 Depth=2
	ds_load_b64 v[58:59], v123 offset:25600
	s_wait_dscnt 0x0
	v_lshrrev_b64 v[72:73], s43, v[58:59]
	v_xor_b32_e32 v59, 0x80000000, v59
	s_delay_alu instid0(VALU_DEP_2) | instskip(NEXT) | instid1(VALU_DEP_1)
	v_and_b32_e32 v72, s55, v72
	v_lshlrev_b32_e32 v72, 2, v72
	ds_load_b32 v72, v72
	s_wait_dscnt 0x0
	v_add_nc_u32_e32 v72, v72, v109
	global_store_b64 v72, v[58:59], s[40:41] scale_offset
	s_wait_xcnt 0x0
	s_or_b32 exec_lo, exec_lo, s27
	v_cmp_lt_u32_e64 s27, v110, v165
	s_and_saveexec_b32 s28, s27
	s_cbranch_execz .LBB804_1066
.LBB804_1134:                           ;   in Loop: Header=BB804_974 Depth=2
	ds_load_b64 v[58:59], v123 offset:27648
	s_wait_dscnt 0x0
	v_lshrrev_b64 v[72:73], s43, v[58:59]
	v_xor_b32_e32 v59, 0x80000000, v59
	s_delay_alu instid0(VALU_DEP_2) | instskip(NEXT) | instid1(VALU_DEP_1)
	v_and_b32_e32 v72, s55, v72
	v_lshlrev_b32_e32 v72, 2, v72
	ds_load_b32 v72, v72
	s_wait_dscnt 0x0
	v_add_nc_u32_e32 v72, v72, v110
	global_store_b64 v72, v[58:59], s[40:41] scale_offset
	s_wait_xcnt 0x0
	s_or_b32 exec_lo, exec_lo, s28
	v_cmp_lt_u32_e64 s28, v111, v165
	s_and_saveexec_b32 s29, s28
	s_cbranch_execz .LBB804_1067
.LBB804_1135:                           ;   in Loop: Header=BB804_974 Depth=2
	ds_load_b64 v[58:59], v123 offset:29696
	s_wait_dscnt 0x0
	v_lshrrev_b64 v[72:73], s43, v[58:59]
	v_xor_b32_e32 v59, 0x80000000, v59
	s_delay_alu instid0(VALU_DEP_2) | instskip(NEXT) | instid1(VALU_DEP_1)
	v_and_b32_e32 v72, s55, v72
	v_lshlrev_b32_e32 v72, 2, v72
	ds_load_b32 v72, v72
	s_wait_dscnt 0x0
	v_add_nc_u32_e32 v72, v72, v111
	global_store_b64 v72, v[58:59], s[40:41] scale_offset
	s_wait_xcnt 0x0
	s_or_b32 exec_lo, exec_lo, s29
	v_cmp_lt_u32_e64 s29, v112, v165
	s_and_saveexec_b32 s58, s29
	s_cbranch_execnz .LBB804_1068
	s_branch .LBB804_1069
.LBB804_1136:                           ;   in Loop: Header=BB804_974 Depth=2
	global_load_b64 v[56:57], v[58:59], off
	s_wait_xcnt 0x0
	s_or_b32 exec_lo, exec_lo, s30
	s_delay_alu instid0(SALU_CYCLE_1)
	s_mov_b32 s58, exec_lo
	v_cmpx_lt_u32_e64 v132, v165
	s_cbranch_execz .LBB804_1071
.LBB804_1137:                           ;   in Loop: Header=BB804_974 Depth=2
	global_load_b64 v[54:55], v[58:59], off offset:256
	s_wait_xcnt 0x0
	s_or_b32 exec_lo, exec_lo, s58
	s_delay_alu instid0(SALU_CYCLE_1)
	s_mov_b32 s58, exec_lo
	v_cmpx_lt_u32_e64 v133, v165
	s_cbranch_execz .LBB804_1072
.LBB804_1138:                           ;   in Loop: Header=BB804_974 Depth=2
	global_load_b64 v[52:53], v[58:59], off offset:512
	s_wait_xcnt 0x0
	s_or_b32 exec_lo, exec_lo, s58
	s_delay_alu instid0(SALU_CYCLE_1)
	s_mov_b32 s58, exec_lo
	v_cmpx_lt_u32_e64 v134, v165
	s_cbranch_execz .LBB804_1073
.LBB804_1139:                           ;   in Loop: Header=BB804_974 Depth=2
	global_load_b64 v[50:51], v[58:59], off offset:768
	s_wait_xcnt 0x0
	s_or_b32 exec_lo, exec_lo, s58
	s_delay_alu instid0(SALU_CYCLE_1)
	s_mov_b32 s58, exec_lo
	v_cmpx_lt_u32_e64 v135, v165
	s_cbranch_execz .LBB804_1074
.LBB804_1140:                           ;   in Loop: Header=BB804_974 Depth=2
	global_load_b64 v[48:49], v[58:59], off offset:1024
	s_wait_xcnt 0x0
	s_or_b32 exec_lo, exec_lo, s58
	s_delay_alu instid0(SALU_CYCLE_1)
	s_mov_b32 s58, exec_lo
	v_cmpx_lt_u32_e64 v136, v165
	s_cbranch_execz .LBB804_1075
.LBB804_1141:                           ;   in Loop: Header=BB804_974 Depth=2
	global_load_b64 v[46:47], v[58:59], off offset:1280
	s_wait_xcnt 0x0
	s_or_b32 exec_lo, exec_lo, s58
	s_delay_alu instid0(SALU_CYCLE_1)
	s_mov_b32 s58, exec_lo
	v_cmpx_lt_u32_e64 v137, v165
	s_cbranch_execz .LBB804_1076
.LBB804_1142:                           ;   in Loop: Header=BB804_974 Depth=2
	global_load_b64 v[44:45], v[58:59], off offset:1536
	s_wait_xcnt 0x0
	s_or_b32 exec_lo, exec_lo, s58
	s_delay_alu instid0(SALU_CYCLE_1)
	s_mov_b32 s58, exec_lo
	v_cmpx_lt_u32_e64 v138, v165
	s_cbranch_execz .LBB804_1077
.LBB804_1143:                           ;   in Loop: Header=BB804_974 Depth=2
	global_load_b64 v[42:43], v[58:59], off offset:1792
	s_wait_xcnt 0x0
	s_or_b32 exec_lo, exec_lo, s58
	s_delay_alu instid0(SALU_CYCLE_1)
	s_mov_b32 s58, exec_lo
	v_cmpx_lt_u32_e64 v139, v165
	s_cbranch_execz .LBB804_1078
.LBB804_1144:                           ;   in Loop: Header=BB804_974 Depth=2
	global_load_b64 v[40:41], v[58:59], off offset:2048
	s_wait_xcnt 0x0
	s_or_b32 exec_lo, exec_lo, s58
	s_delay_alu instid0(SALU_CYCLE_1)
	s_mov_b32 s58, exec_lo
	v_cmpx_lt_u32_e64 v140, v165
	s_cbranch_execz .LBB804_1079
.LBB804_1145:                           ;   in Loop: Header=BB804_974 Depth=2
	global_load_b64 v[38:39], v[58:59], off offset:2304
	s_wait_xcnt 0x0
	s_or_b32 exec_lo, exec_lo, s58
	s_delay_alu instid0(SALU_CYCLE_1)
	s_mov_b32 s58, exec_lo
	v_cmpx_lt_u32_e64 v141, v165
	s_cbranch_execz .LBB804_1080
.LBB804_1146:                           ;   in Loop: Header=BB804_974 Depth=2
	global_load_b64 v[36:37], v[58:59], off offset:2560
	s_wait_xcnt 0x0
	s_or_b32 exec_lo, exec_lo, s58
	s_delay_alu instid0(SALU_CYCLE_1)
	s_mov_b32 s58, exec_lo
	v_cmpx_lt_u32_e64 v142, v165
	s_cbranch_execz .LBB804_1081
.LBB804_1147:                           ;   in Loop: Header=BB804_974 Depth=2
	global_load_b64 v[34:35], v[58:59], off offset:2816
	s_wait_xcnt 0x0
	s_or_b32 exec_lo, exec_lo, s58
	s_delay_alu instid0(SALU_CYCLE_1)
	s_mov_b32 s58, exec_lo
	v_cmpx_lt_u32_e64 v143, v165
	s_cbranch_execz .LBB804_1082
.LBB804_1148:                           ;   in Loop: Header=BB804_974 Depth=2
	global_load_b64 v[32:33], v[58:59], off offset:3072
	s_wait_xcnt 0x0
	s_or_b32 exec_lo, exec_lo, s58
	s_delay_alu instid0(SALU_CYCLE_1)
	s_mov_b32 s58, exec_lo
	v_cmpx_lt_u32_e64 v144, v165
	s_cbranch_execz .LBB804_1083
.LBB804_1149:                           ;   in Loop: Header=BB804_974 Depth=2
	global_load_b64 v[30:31], v[58:59], off offset:3328
	s_wait_xcnt 0x0
	s_or_b32 exec_lo, exec_lo, s58
	s_delay_alu instid0(SALU_CYCLE_1)
	s_mov_b32 s58, exec_lo
	v_cmpx_lt_u32_e64 v145, v165
	s_cbranch_execz .LBB804_1084
.LBB804_1150:                           ;   in Loop: Header=BB804_974 Depth=2
	global_load_b64 v[28:29], v[58:59], off offset:3584
	s_wait_xcnt 0x0
	s_or_b32 exec_lo, exec_lo, s58
	s_delay_alu instid0(SALU_CYCLE_1)
	s_mov_b32 s58, exec_lo
	v_cmpx_lt_u32_e64 v146, v165
	s_cbranch_execz .LBB804_1085
.LBB804_1151:                           ;   in Loop: Header=BB804_974 Depth=2
	global_load_b64 v[26:27], v[58:59], off offset:3840
	s_wait_xcnt 0x0
	s_or_b32 exec_lo, exec_lo, s58
	s_and_saveexec_b32 s30, vcc_lo
	s_cbranch_execz .LBB804_1086
.LBB804_1152:                           ;   in Loop: Header=BB804_974 Depth=2
	ds_load_b64 v[58:59], v123 offset:1024
	s_wait_dscnt 0x0
	v_lshrrev_b64 v[58:59], s43, v[58:59]
	s_delay_alu instid0(VALU_DEP_1)
	v_and_b32_e32 v164, s55, v58
	s_or_b32 exec_lo, exec_lo, s30
	s_and_saveexec_b32 s30, s15
	s_cbranch_execz .LBB804_1087
.LBB804_1153:                           ;   in Loop: Header=BB804_974 Depth=2
	ds_load_b64 v[58:59], v123 offset:3072
	s_wait_dscnt 0x0
	v_lshrrev_b64 v[58:59], s43, v[58:59]
	s_delay_alu instid0(VALU_DEP_1)
	v_and_b32_e32 v163, s55, v58
	s_or_b32 exec_lo, exec_lo, s30
	s_and_saveexec_b32 s30, s16
	s_cbranch_execz .LBB804_1088
.LBB804_1154:                           ;   in Loop: Header=BB804_974 Depth=2
	ds_load_b64 v[58:59], v123 offset:5120
	s_wait_dscnt 0x0
	v_lshrrev_b64 v[58:59], s43, v[58:59]
	s_delay_alu instid0(VALU_DEP_1)
	v_and_b32_e32 v162, s55, v58
	s_or_b32 exec_lo, exec_lo, s30
	s_and_saveexec_b32 s30, s17
	s_cbranch_execz .LBB804_1089
.LBB804_1155:                           ;   in Loop: Header=BB804_974 Depth=2
	ds_load_b64 v[58:59], v123 offset:7168
	s_wait_dscnt 0x0
	v_lshrrev_b64 v[58:59], s43, v[58:59]
	s_delay_alu instid0(VALU_DEP_1)
	v_and_b32_e32 v161, s55, v58
	s_or_b32 exec_lo, exec_lo, s30
	s_and_saveexec_b32 s30, s18
	s_cbranch_execz .LBB804_1090
.LBB804_1156:                           ;   in Loop: Header=BB804_974 Depth=2
	ds_load_b64 v[58:59], v123 offset:9216
	s_wait_dscnt 0x0
	v_lshrrev_b64 v[58:59], s43, v[58:59]
	s_delay_alu instid0(VALU_DEP_1)
	v_and_b32_e32 v160, s55, v58
	s_or_b32 exec_lo, exec_lo, s30
	s_and_saveexec_b32 s30, s19
	s_cbranch_execz .LBB804_1091
.LBB804_1157:                           ;   in Loop: Header=BB804_974 Depth=2
	ds_load_b64 v[58:59], v123 offset:11264
	s_wait_dscnt 0x0
	v_lshrrev_b64 v[58:59], s43, v[58:59]
	s_delay_alu instid0(VALU_DEP_1)
	v_and_b32_e32 v159, s55, v58
	s_or_b32 exec_lo, exec_lo, s30
	s_and_saveexec_b32 s30, s20
	s_cbranch_execz .LBB804_1092
.LBB804_1158:                           ;   in Loop: Header=BB804_974 Depth=2
	ds_load_b64 v[58:59], v123 offset:13312
	s_wait_dscnt 0x0
	v_lshrrev_b64 v[58:59], s43, v[58:59]
	s_delay_alu instid0(VALU_DEP_1)
	v_and_b32_e32 v158, s55, v58
	s_or_b32 exec_lo, exec_lo, s30
	s_and_saveexec_b32 s30, s21
	s_cbranch_execz .LBB804_1093
.LBB804_1159:                           ;   in Loop: Header=BB804_974 Depth=2
	ds_load_b64 v[58:59], v123 offset:15360
	s_wait_dscnt 0x0
	v_lshrrev_b64 v[58:59], s43, v[58:59]
	s_delay_alu instid0(VALU_DEP_1)
	v_and_b32_e32 v157, s55, v58
	s_or_b32 exec_lo, exec_lo, s30
	s_and_saveexec_b32 s30, s22
	s_cbranch_execz .LBB804_1094
.LBB804_1160:                           ;   in Loop: Header=BB804_974 Depth=2
	ds_load_b64 v[58:59], v123 offset:17408
	s_wait_dscnt 0x0
	v_lshrrev_b64 v[58:59], s43, v[58:59]
	s_delay_alu instid0(VALU_DEP_1)
	v_and_b32_e32 v156, s55, v58
	s_or_b32 exec_lo, exec_lo, s30
	s_and_saveexec_b32 s30, s23
	s_cbranch_execz .LBB804_1095
.LBB804_1161:                           ;   in Loop: Header=BB804_974 Depth=2
	ds_load_b64 v[58:59], v123 offset:19456
	s_wait_dscnt 0x0
	v_lshrrev_b64 v[58:59], s43, v[58:59]
	s_delay_alu instid0(VALU_DEP_1)
	v_and_b32_e32 v155, s55, v58
	s_or_b32 exec_lo, exec_lo, s30
	s_and_saveexec_b32 s30, s24
	s_cbranch_execz .LBB804_1096
.LBB804_1162:                           ;   in Loop: Header=BB804_974 Depth=2
	ds_load_b64 v[58:59], v123 offset:21504
	s_wait_dscnt 0x0
	v_lshrrev_b64 v[58:59], s43, v[58:59]
	s_delay_alu instid0(VALU_DEP_1)
	v_and_b32_e32 v154, s55, v58
	s_or_b32 exec_lo, exec_lo, s30
	s_and_saveexec_b32 s30, s25
	s_cbranch_execz .LBB804_1097
.LBB804_1163:                           ;   in Loop: Header=BB804_974 Depth=2
	ds_load_b64 v[58:59], v123 offset:23552
	s_wait_dscnt 0x0
	v_lshrrev_b64 v[58:59], s43, v[58:59]
	s_delay_alu instid0(VALU_DEP_1)
	v_and_b32_e32 v153, s55, v58
	s_or_b32 exec_lo, exec_lo, s30
	s_and_saveexec_b32 s30, s26
	s_cbranch_execz .LBB804_1098
.LBB804_1164:                           ;   in Loop: Header=BB804_974 Depth=2
	ds_load_b64 v[58:59], v123 offset:25600
	s_wait_dscnt 0x0
	v_lshrrev_b64 v[58:59], s43, v[58:59]
	s_delay_alu instid0(VALU_DEP_1)
	v_and_b32_e32 v152, s55, v58
	s_or_b32 exec_lo, exec_lo, s30
	s_and_saveexec_b32 s30, s27
	s_cbranch_execz .LBB804_1099
.LBB804_1165:                           ;   in Loop: Header=BB804_974 Depth=2
	ds_load_b64 v[58:59], v123 offset:27648
	s_wait_dscnt 0x0
	v_lshrrev_b64 v[58:59], s43, v[58:59]
	s_delay_alu instid0(VALU_DEP_1)
	v_and_b32_e32 v151, s55, v58
	s_or_b32 exec_lo, exec_lo, s30
	s_and_saveexec_b32 s30, s28
	s_cbranch_execz .LBB804_1100
.LBB804_1166:                           ;   in Loop: Header=BB804_974 Depth=2
	ds_load_b64 v[58:59], v123 offset:29696
	s_wait_dscnt 0x0
	v_lshrrev_b64 v[58:59], s43, v[58:59]
	s_delay_alu instid0(VALU_DEP_1)
	v_and_b32_e32 v150, s55, v58
	s_or_b32 exec_lo, exec_lo, s30
	s_and_saveexec_b32 s30, s29
	s_cbranch_execnz .LBB804_1101
	s_branch .LBB804_1102
.LBB804_1167:                           ;   in Loop: Header=BB804_974 Depth=2
	v_lshlrev_b32_e32 v58, 2, v164
	ds_load_b32 v60, v58
	ds_load_b64 v[58:59], v123 offset:1024
	s_wait_dscnt 0x1
	v_add_nc_u32_e32 v60, v60, v2
	s_wait_dscnt 0x0
	global_store_b64 v60, v[58:59], s[46:47] scale_offset
	s_wait_xcnt 0x0
	s_or_b32 exec_lo, exec_lo, s30
	s_and_saveexec_b32 s30, s15
	s_cbranch_execz .LBB804_1104
.LBB804_1168:                           ;   in Loop: Header=BB804_974 Depth=2
	v_lshlrev_b32_e32 v58, 2, v163
	ds_load_b32 v60, v58
	ds_load_b64 v[58:59], v123 offset:3072
	s_wait_dscnt 0x1
	v_add_nc_u32_e32 v60, v60, v98
	s_wait_dscnt 0x0
	global_store_b64 v60, v[58:59], s[46:47] scale_offset
	s_wait_xcnt 0x0
	s_or_b32 exec_lo, exec_lo, s30
	s_and_saveexec_b32 s15, s16
	s_cbranch_execz .LBB804_1105
.LBB804_1169:                           ;   in Loop: Header=BB804_974 Depth=2
	v_lshlrev_b32_e32 v58, 2, v162
	ds_load_b32 v60, v58
	ds_load_b64 v[58:59], v123 offset:5120
	s_wait_dscnt 0x1
	v_add_nc_u32_e32 v60, v60, v99
	s_wait_dscnt 0x0
	global_store_b64 v60, v[58:59], s[46:47] scale_offset
	s_wait_xcnt 0x0
	s_or_b32 exec_lo, exec_lo, s15
	s_and_saveexec_b32 s15, s17
	s_cbranch_execz .LBB804_1106
.LBB804_1170:                           ;   in Loop: Header=BB804_974 Depth=2
	v_lshlrev_b32_e32 v58, 2, v161
	ds_load_b32 v60, v58
	ds_load_b64 v[58:59], v123 offset:7168
	s_wait_dscnt 0x1
	v_add_nc_u32_e32 v60, v60, v100
	s_wait_dscnt 0x0
	global_store_b64 v60, v[58:59], s[46:47] scale_offset
	s_wait_xcnt 0x0
	s_or_b32 exec_lo, exec_lo, s15
	s_and_saveexec_b32 s15, s18
	s_cbranch_execz .LBB804_1107
.LBB804_1171:                           ;   in Loop: Header=BB804_974 Depth=2
	v_lshlrev_b32_e32 v58, 2, v160
	ds_load_b32 v60, v58
	ds_load_b64 v[58:59], v123 offset:9216
	s_wait_dscnt 0x1
	v_add_nc_u32_e32 v60, v60, v101
	s_wait_dscnt 0x0
	global_store_b64 v60, v[58:59], s[46:47] scale_offset
	s_wait_xcnt 0x0
	s_or_b32 exec_lo, exec_lo, s15
	s_and_saveexec_b32 s15, s19
	s_cbranch_execz .LBB804_1108
.LBB804_1172:                           ;   in Loop: Header=BB804_974 Depth=2
	v_lshlrev_b32_e32 v58, 2, v159
	ds_load_b32 v60, v58
	ds_load_b64 v[58:59], v123 offset:11264
	s_wait_dscnt 0x1
	v_add_nc_u32_e32 v60, v60, v102
	s_wait_dscnt 0x0
	global_store_b64 v60, v[58:59], s[46:47] scale_offset
	s_wait_xcnt 0x0
	s_or_b32 exec_lo, exec_lo, s15
	s_and_saveexec_b32 s15, s20
	s_cbranch_execz .LBB804_1109
.LBB804_1173:                           ;   in Loop: Header=BB804_974 Depth=2
	v_lshlrev_b32_e32 v58, 2, v158
	ds_load_b32 v60, v58
	ds_load_b64 v[58:59], v123 offset:13312
	s_wait_dscnt 0x1
	v_add_nc_u32_e32 v60, v60, v103
	s_wait_dscnt 0x0
	global_store_b64 v60, v[58:59], s[46:47] scale_offset
	s_wait_xcnt 0x0
	s_or_b32 exec_lo, exec_lo, s15
	s_and_saveexec_b32 s15, s21
	s_cbranch_execz .LBB804_1110
.LBB804_1174:                           ;   in Loop: Header=BB804_974 Depth=2
	v_lshlrev_b32_e32 v58, 2, v157
	ds_load_b32 v60, v58
	ds_load_b64 v[58:59], v123 offset:15360
	s_wait_dscnt 0x1
	v_add_nc_u32_e32 v60, v60, v104
	s_wait_dscnt 0x0
	global_store_b64 v60, v[58:59], s[46:47] scale_offset
	s_wait_xcnt 0x0
	s_or_b32 exec_lo, exec_lo, s15
	s_and_saveexec_b32 s15, s22
	s_cbranch_execz .LBB804_1111
.LBB804_1175:                           ;   in Loop: Header=BB804_974 Depth=2
	v_lshlrev_b32_e32 v58, 2, v156
	ds_load_b32 v60, v58
	ds_load_b64 v[58:59], v123 offset:17408
	s_wait_dscnt 0x1
	v_add_nc_u32_e32 v60, v60, v105
	s_wait_dscnt 0x0
	global_store_b64 v60, v[58:59], s[46:47] scale_offset
	s_wait_xcnt 0x0
	s_or_b32 exec_lo, exec_lo, s15
	s_and_saveexec_b32 s15, s23
	s_cbranch_execz .LBB804_1112
.LBB804_1176:                           ;   in Loop: Header=BB804_974 Depth=2
	v_lshlrev_b32_e32 v58, 2, v155
	ds_load_b32 v60, v58
	ds_load_b64 v[58:59], v123 offset:19456
	s_wait_dscnt 0x1
	v_add_nc_u32_e32 v60, v60, v106
	s_wait_dscnt 0x0
	global_store_b64 v60, v[58:59], s[46:47] scale_offset
	s_wait_xcnt 0x0
	s_or_b32 exec_lo, exec_lo, s15
	s_and_saveexec_b32 s15, s24
	s_cbranch_execz .LBB804_1113
.LBB804_1177:                           ;   in Loop: Header=BB804_974 Depth=2
	v_lshlrev_b32_e32 v58, 2, v154
	ds_load_b32 v60, v58
	ds_load_b64 v[58:59], v123 offset:21504
	s_wait_dscnt 0x1
	v_add_nc_u32_e32 v60, v60, v107
	s_wait_dscnt 0x0
	global_store_b64 v60, v[58:59], s[46:47] scale_offset
	s_wait_xcnt 0x0
	s_or_b32 exec_lo, exec_lo, s15
	s_and_saveexec_b32 s15, s25
	s_cbranch_execz .LBB804_1114
.LBB804_1178:                           ;   in Loop: Header=BB804_974 Depth=2
	v_lshlrev_b32_e32 v58, 2, v153
	ds_load_b32 v60, v58
	ds_load_b64 v[58:59], v123 offset:23552
	s_wait_dscnt 0x1
	v_add_nc_u32_e32 v60, v60, v108
	s_wait_dscnt 0x0
	global_store_b64 v60, v[58:59], s[46:47] scale_offset
	s_wait_xcnt 0x0
	s_or_b32 exec_lo, exec_lo, s15
	s_and_saveexec_b32 s15, s26
	s_cbranch_execz .LBB804_1115
.LBB804_1179:                           ;   in Loop: Header=BB804_974 Depth=2
	v_lshlrev_b32_e32 v58, 2, v152
	ds_load_b32 v60, v58
	ds_load_b64 v[58:59], v123 offset:25600
	s_wait_dscnt 0x1
	v_add_nc_u32_e32 v60, v60, v109
	s_wait_dscnt 0x0
	global_store_b64 v60, v[58:59], s[46:47] scale_offset
	s_wait_xcnt 0x0
	s_or_b32 exec_lo, exec_lo, s15
	s_and_saveexec_b32 s15, s27
	s_cbranch_execz .LBB804_1116
.LBB804_1180:                           ;   in Loop: Header=BB804_974 Depth=2
	v_lshlrev_b32_e32 v58, 2, v151
	ds_load_b32 v60, v58
	ds_load_b64 v[58:59], v123 offset:27648
	s_wait_dscnt 0x1
	v_add_nc_u32_e32 v60, v60, v110
	s_wait_dscnt 0x0
	global_store_b64 v60, v[58:59], s[46:47] scale_offset
	s_wait_xcnt 0x0
	s_or_b32 exec_lo, exec_lo, s15
	s_and_saveexec_b32 s15, s28
	s_cbranch_execz .LBB804_1117
.LBB804_1181:                           ;   in Loop: Header=BB804_974 Depth=2
	v_lshlrev_b32_e32 v58, 2, v150
	ds_load_b32 v60, v58
	ds_load_b64 v[58:59], v123 offset:29696
	s_wait_dscnt 0x1
	v_add_nc_u32_e32 v60, v60, v111
	s_wait_dscnt 0x0
	global_store_b64 v60, v[58:59], s[46:47] scale_offset
	s_wait_xcnt 0x0
	s_or_b32 exec_lo, exec_lo, s15
	s_and_saveexec_b32 s15, s29
	s_cbranch_execnz .LBB804_1118
	s_branch .LBB804_1119
.LBB804_1182:
	s_endpgm
	.section	.rodata,"a",@progbits
	.p2align	6, 0x0
	.amdhsa_kernel _ZN7rocprim17ROCPRIM_400000_NS6detail17trampoline_kernelINS0_14default_configENS1_36segmented_radix_sort_config_selectorIllEEZNS1_25segmented_radix_sort_implIS3_Lb0EPKlPlS8_S9_N2at6native12_GLOBAL__N_18offset_tEEE10hipError_tPvRmT1_PNSt15iterator_traitsISH_E10value_typeET2_T3_PNSI_ISN_E10value_typeET4_jRbjT5_ST_jjP12ihipStream_tbEUlT_E_NS1_11comp_targetILNS1_3genE0ELNS1_11target_archE4294967295ELNS1_3gpuE0ELNS1_3repE0EEENS1_30default_config_static_selectorELNS0_4arch9wavefront6targetE0EEEvSH_
		.amdhsa_group_segment_fixed_size 33824
		.amdhsa_private_segment_fixed_size 0
		.amdhsa_kernarg_size 352
		.amdhsa_user_sgpr_count 4
		.amdhsa_user_sgpr_dispatch_ptr 0
		.amdhsa_user_sgpr_queue_ptr 1
		.amdhsa_user_sgpr_kernarg_segment_ptr 1
		.amdhsa_user_sgpr_dispatch_id 0
		.amdhsa_user_sgpr_kernarg_preload_length 0
		.amdhsa_user_sgpr_kernarg_preload_offset 0
		.amdhsa_user_sgpr_private_segment_size 0
		.amdhsa_wavefront_size32 1
		.amdhsa_uses_dynamic_stack 0
		.amdhsa_enable_private_segment 0
		.amdhsa_system_sgpr_workgroup_id_x 1
		.amdhsa_system_sgpr_workgroup_id_y 1
		.amdhsa_system_sgpr_workgroup_id_z 0
		.amdhsa_system_sgpr_workgroup_info 0
		.amdhsa_system_vgpr_workitem_id 2
		.amdhsa_next_free_vgpr 319
		.amdhsa_next_free_sgpr 60
		.amdhsa_named_barrier_count 0
		.amdhsa_reserve_vcc 1
		.amdhsa_float_round_mode_32 0
		.amdhsa_float_round_mode_16_64 0
		.amdhsa_float_denorm_mode_32 3
		.amdhsa_float_denorm_mode_16_64 3
		.amdhsa_fp16_overflow 0
		.amdhsa_memory_ordered 1
		.amdhsa_forward_progress 1
		.amdhsa_inst_pref_size 255
		.amdhsa_round_robin_scheduling 0
		.amdhsa_exception_fp_ieee_invalid_op 0
		.amdhsa_exception_fp_denorm_src 0
		.amdhsa_exception_fp_ieee_div_zero 0
		.amdhsa_exception_fp_ieee_overflow 0
		.amdhsa_exception_fp_ieee_underflow 0
		.amdhsa_exception_fp_ieee_inexact 0
		.amdhsa_exception_int_div_zero 0
	.end_amdhsa_kernel
	.section	.text._ZN7rocprim17ROCPRIM_400000_NS6detail17trampoline_kernelINS0_14default_configENS1_36segmented_radix_sort_config_selectorIllEEZNS1_25segmented_radix_sort_implIS3_Lb0EPKlPlS8_S9_N2at6native12_GLOBAL__N_18offset_tEEE10hipError_tPvRmT1_PNSt15iterator_traitsISH_E10value_typeET2_T3_PNSI_ISN_E10value_typeET4_jRbjT5_ST_jjP12ihipStream_tbEUlT_E_NS1_11comp_targetILNS1_3genE0ELNS1_11target_archE4294967295ELNS1_3gpuE0ELNS1_3repE0EEENS1_30default_config_static_selectorELNS0_4arch9wavefront6targetE0EEEvSH_,"axG",@progbits,_ZN7rocprim17ROCPRIM_400000_NS6detail17trampoline_kernelINS0_14default_configENS1_36segmented_radix_sort_config_selectorIllEEZNS1_25segmented_radix_sort_implIS3_Lb0EPKlPlS8_S9_N2at6native12_GLOBAL__N_18offset_tEEE10hipError_tPvRmT1_PNSt15iterator_traitsISH_E10value_typeET2_T3_PNSI_ISN_E10value_typeET4_jRbjT5_ST_jjP12ihipStream_tbEUlT_E_NS1_11comp_targetILNS1_3genE0ELNS1_11target_archE4294967295ELNS1_3gpuE0ELNS1_3repE0EEENS1_30default_config_static_selectorELNS0_4arch9wavefront6targetE0EEEvSH_,comdat
.Lfunc_end804:
	.size	_ZN7rocprim17ROCPRIM_400000_NS6detail17trampoline_kernelINS0_14default_configENS1_36segmented_radix_sort_config_selectorIllEEZNS1_25segmented_radix_sort_implIS3_Lb0EPKlPlS8_S9_N2at6native12_GLOBAL__N_18offset_tEEE10hipError_tPvRmT1_PNSt15iterator_traitsISH_E10value_typeET2_T3_PNSI_ISN_E10value_typeET4_jRbjT5_ST_jjP12ihipStream_tbEUlT_E_NS1_11comp_targetILNS1_3genE0ELNS1_11target_archE4294967295ELNS1_3gpuE0ELNS1_3repE0EEENS1_30default_config_static_selectorELNS0_4arch9wavefront6targetE0EEEvSH_, .Lfunc_end804-_ZN7rocprim17ROCPRIM_400000_NS6detail17trampoline_kernelINS0_14default_configENS1_36segmented_radix_sort_config_selectorIllEEZNS1_25segmented_radix_sort_implIS3_Lb0EPKlPlS8_S9_N2at6native12_GLOBAL__N_18offset_tEEE10hipError_tPvRmT1_PNSt15iterator_traitsISH_E10value_typeET2_T3_PNSI_ISN_E10value_typeET4_jRbjT5_ST_jjP12ihipStream_tbEUlT_E_NS1_11comp_targetILNS1_3genE0ELNS1_11target_archE4294967295ELNS1_3gpuE0ELNS1_3repE0EEENS1_30default_config_static_selectorELNS0_4arch9wavefront6targetE0EEEvSH_
                                        ; -- End function
	.set _ZN7rocprim17ROCPRIM_400000_NS6detail17trampoline_kernelINS0_14default_configENS1_36segmented_radix_sort_config_selectorIllEEZNS1_25segmented_radix_sort_implIS3_Lb0EPKlPlS8_S9_N2at6native12_GLOBAL__N_18offset_tEEE10hipError_tPvRmT1_PNSt15iterator_traitsISH_E10value_typeET2_T3_PNSI_ISN_E10value_typeET4_jRbjT5_ST_jjP12ihipStream_tbEUlT_E_NS1_11comp_targetILNS1_3genE0ELNS1_11target_archE4294967295ELNS1_3gpuE0ELNS1_3repE0EEENS1_30default_config_static_selectorELNS0_4arch9wavefront6targetE0EEEvSH_.num_vgpr, max(220, .L_ZN7rocprim17ROCPRIM_400000_NS6detail40segmented_radix_sort_single_block_helperIllLj256ELj16ELb0EE4sortIPKlPlS6_S7_EEbT_T0_T1_T2_jjjjRNS3_12storage_typeE.num_vgpr)
	.set _ZN7rocprim17ROCPRIM_400000_NS6detail17trampoline_kernelINS0_14default_configENS1_36segmented_radix_sort_config_selectorIllEEZNS1_25segmented_radix_sort_implIS3_Lb0EPKlPlS8_S9_N2at6native12_GLOBAL__N_18offset_tEEE10hipError_tPvRmT1_PNSt15iterator_traitsISH_E10value_typeET2_T3_PNSI_ISN_E10value_typeET4_jRbjT5_ST_jjP12ihipStream_tbEUlT_E_NS1_11comp_targetILNS1_3genE0ELNS1_11target_archE4294967295ELNS1_3gpuE0ELNS1_3repE0EEENS1_30default_config_static_selectorELNS0_4arch9wavefront6targetE0EEEvSH_.num_agpr, max(0, .L_ZN7rocprim17ROCPRIM_400000_NS6detail40segmented_radix_sort_single_block_helperIllLj256ELj16ELb0EE4sortIPKlPlS6_S7_EEbT_T0_T1_T2_jjjjRNS3_12storage_typeE.num_agpr)
	.set _ZN7rocprim17ROCPRIM_400000_NS6detail17trampoline_kernelINS0_14default_configENS1_36segmented_radix_sort_config_selectorIllEEZNS1_25segmented_radix_sort_implIS3_Lb0EPKlPlS8_S9_N2at6native12_GLOBAL__N_18offset_tEEE10hipError_tPvRmT1_PNSt15iterator_traitsISH_E10value_typeET2_T3_PNSI_ISN_E10value_typeET4_jRbjT5_ST_jjP12ihipStream_tbEUlT_E_NS1_11comp_targetILNS1_3genE0ELNS1_11target_archE4294967295ELNS1_3gpuE0ELNS1_3repE0EEENS1_30default_config_static_selectorELNS0_4arch9wavefront6targetE0EEEvSH_.numbered_sgpr, max(60, .L_ZN7rocprim17ROCPRIM_400000_NS6detail40segmented_radix_sort_single_block_helperIllLj256ELj16ELb0EE4sortIPKlPlS6_S7_EEbT_T0_T1_T2_jjjjRNS3_12storage_typeE.numbered_sgpr)
	.set _ZN7rocprim17ROCPRIM_400000_NS6detail17trampoline_kernelINS0_14default_configENS1_36segmented_radix_sort_config_selectorIllEEZNS1_25segmented_radix_sort_implIS3_Lb0EPKlPlS8_S9_N2at6native12_GLOBAL__N_18offset_tEEE10hipError_tPvRmT1_PNSt15iterator_traitsISH_E10value_typeET2_T3_PNSI_ISN_E10value_typeET4_jRbjT5_ST_jjP12ihipStream_tbEUlT_E_NS1_11comp_targetILNS1_3genE0ELNS1_11target_archE4294967295ELNS1_3gpuE0ELNS1_3repE0EEENS1_30default_config_static_selectorELNS0_4arch9wavefront6targetE0EEEvSH_.num_named_barrier, max(0, .L_ZN7rocprim17ROCPRIM_400000_NS6detail40segmented_radix_sort_single_block_helperIllLj256ELj16ELb0EE4sortIPKlPlS6_S7_EEbT_T0_T1_T2_jjjjRNS3_12storage_typeE.num_named_barrier)
	.set _ZN7rocprim17ROCPRIM_400000_NS6detail17trampoline_kernelINS0_14default_configENS1_36segmented_radix_sort_config_selectorIllEEZNS1_25segmented_radix_sort_implIS3_Lb0EPKlPlS8_S9_N2at6native12_GLOBAL__N_18offset_tEEE10hipError_tPvRmT1_PNSt15iterator_traitsISH_E10value_typeET2_T3_PNSI_ISN_E10value_typeET4_jRbjT5_ST_jjP12ihipStream_tbEUlT_E_NS1_11comp_targetILNS1_3genE0ELNS1_11target_archE4294967295ELNS1_3gpuE0ELNS1_3repE0EEENS1_30default_config_static_selectorELNS0_4arch9wavefront6targetE0EEEvSH_.private_seg_size, 0+max(.L_ZN7rocprim17ROCPRIM_400000_NS6detail40segmented_radix_sort_single_block_helperIllLj256ELj16ELb0EE4sortIPKlPlS6_S7_EEbT_T0_T1_T2_jjjjRNS3_12storage_typeE.private_seg_size)
	.set _ZN7rocprim17ROCPRIM_400000_NS6detail17trampoline_kernelINS0_14default_configENS1_36segmented_radix_sort_config_selectorIllEEZNS1_25segmented_radix_sort_implIS3_Lb0EPKlPlS8_S9_N2at6native12_GLOBAL__N_18offset_tEEE10hipError_tPvRmT1_PNSt15iterator_traitsISH_E10value_typeET2_T3_PNSI_ISN_E10value_typeET4_jRbjT5_ST_jjP12ihipStream_tbEUlT_E_NS1_11comp_targetILNS1_3genE0ELNS1_11target_archE4294967295ELNS1_3gpuE0ELNS1_3repE0EEENS1_30default_config_static_selectorELNS0_4arch9wavefront6targetE0EEEvSH_.uses_vcc, or(1, .L_ZN7rocprim17ROCPRIM_400000_NS6detail40segmented_radix_sort_single_block_helperIllLj256ELj16ELb0EE4sortIPKlPlS6_S7_EEbT_T0_T1_T2_jjjjRNS3_12storage_typeE.uses_vcc)
	.set _ZN7rocprim17ROCPRIM_400000_NS6detail17trampoline_kernelINS0_14default_configENS1_36segmented_radix_sort_config_selectorIllEEZNS1_25segmented_radix_sort_implIS3_Lb0EPKlPlS8_S9_N2at6native12_GLOBAL__N_18offset_tEEE10hipError_tPvRmT1_PNSt15iterator_traitsISH_E10value_typeET2_T3_PNSI_ISN_E10value_typeET4_jRbjT5_ST_jjP12ihipStream_tbEUlT_E_NS1_11comp_targetILNS1_3genE0ELNS1_11target_archE4294967295ELNS1_3gpuE0ELNS1_3repE0EEENS1_30default_config_static_selectorELNS0_4arch9wavefront6targetE0EEEvSH_.uses_flat_scratch, or(0, .L_ZN7rocprim17ROCPRIM_400000_NS6detail40segmented_radix_sort_single_block_helperIllLj256ELj16ELb0EE4sortIPKlPlS6_S7_EEbT_T0_T1_T2_jjjjRNS3_12storage_typeE.uses_flat_scratch)
	.set _ZN7rocprim17ROCPRIM_400000_NS6detail17trampoline_kernelINS0_14default_configENS1_36segmented_radix_sort_config_selectorIllEEZNS1_25segmented_radix_sort_implIS3_Lb0EPKlPlS8_S9_N2at6native12_GLOBAL__N_18offset_tEEE10hipError_tPvRmT1_PNSt15iterator_traitsISH_E10value_typeET2_T3_PNSI_ISN_E10value_typeET4_jRbjT5_ST_jjP12ihipStream_tbEUlT_E_NS1_11comp_targetILNS1_3genE0ELNS1_11target_archE4294967295ELNS1_3gpuE0ELNS1_3repE0EEENS1_30default_config_static_selectorELNS0_4arch9wavefront6targetE0EEEvSH_.has_dyn_sized_stack, or(0, .L_ZN7rocprim17ROCPRIM_400000_NS6detail40segmented_radix_sort_single_block_helperIllLj256ELj16ELb0EE4sortIPKlPlS6_S7_EEbT_T0_T1_T2_jjjjRNS3_12storage_typeE.has_dyn_sized_stack)
	.set _ZN7rocprim17ROCPRIM_400000_NS6detail17trampoline_kernelINS0_14default_configENS1_36segmented_radix_sort_config_selectorIllEEZNS1_25segmented_radix_sort_implIS3_Lb0EPKlPlS8_S9_N2at6native12_GLOBAL__N_18offset_tEEE10hipError_tPvRmT1_PNSt15iterator_traitsISH_E10value_typeET2_T3_PNSI_ISN_E10value_typeET4_jRbjT5_ST_jjP12ihipStream_tbEUlT_E_NS1_11comp_targetILNS1_3genE0ELNS1_11target_archE4294967295ELNS1_3gpuE0ELNS1_3repE0EEENS1_30default_config_static_selectorELNS0_4arch9wavefront6targetE0EEEvSH_.has_recursion, or(0, .L_ZN7rocprim17ROCPRIM_400000_NS6detail40segmented_radix_sort_single_block_helperIllLj256ELj16ELb0EE4sortIPKlPlS6_S7_EEbT_T0_T1_T2_jjjjRNS3_12storage_typeE.has_recursion)
	.set _ZN7rocprim17ROCPRIM_400000_NS6detail17trampoline_kernelINS0_14default_configENS1_36segmented_radix_sort_config_selectorIllEEZNS1_25segmented_radix_sort_implIS3_Lb0EPKlPlS8_S9_N2at6native12_GLOBAL__N_18offset_tEEE10hipError_tPvRmT1_PNSt15iterator_traitsISH_E10value_typeET2_T3_PNSI_ISN_E10value_typeET4_jRbjT5_ST_jjP12ihipStream_tbEUlT_E_NS1_11comp_targetILNS1_3genE0ELNS1_11target_archE4294967295ELNS1_3gpuE0ELNS1_3repE0EEENS1_30default_config_static_selectorELNS0_4arch9wavefront6targetE0EEEvSH_.has_indirect_call, or(0, .L_ZN7rocprim17ROCPRIM_400000_NS6detail40segmented_radix_sort_single_block_helperIllLj256ELj16ELb0EE4sortIPKlPlS6_S7_EEbT_T0_T1_T2_jjjjRNS3_12storage_typeE.has_indirect_call)
	.section	.AMDGPU.csdata,"",@progbits
; Kernel info:
; codeLenInByte = 69616
; TotalNumSgprs: 62
; NumVgprs: 319
; ScratchSize: 0
; MemoryBound: 0
; FloatMode: 240
; IeeeMode: 1
; LDSByteSize: 33824 bytes/workgroup (compile time only)
; SGPRBlocks: 0
; VGPRBlocks: 19
; NumSGPRsForWavesPerEU: 62
; NumVGPRsForWavesPerEU: 319
; NamedBarCnt: 0
; Occupancy: 3
; WaveLimiterHint : 1
; COMPUTE_PGM_RSRC2:SCRATCH_EN: 0
; COMPUTE_PGM_RSRC2:USER_SGPR: 4
; COMPUTE_PGM_RSRC2:TRAP_HANDLER: 0
; COMPUTE_PGM_RSRC2:TGID_X_EN: 1
; COMPUTE_PGM_RSRC2:TGID_Y_EN: 1
; COMPUTE_PGM_RSRC2:TGID_Z_EN: 0
; COMPUTE_PGM_RSRC2:TIDIG_COMP_CNT: 2
	.section	.text._ZN7rocprim17ROCPRIM_400000_NS6detail17trampoline_kernelINS0_14default_configENS1_36segmented_radix_sort_config_selectorIllEEZNS1_25segmented_radix_sort_implIS3_Lb0EPKlPlS8_S9_N2at6native12_GLOBAL__N_18offset_tEEE10hipError_tPvRmT1_PNSt15iterator_traitsISH_E10value_typeET2_T3_PNSI_ISN_E10value_typeET4_jRbjT5_ST_jjP12ihipStream_tbEUlT_E_NS1_11comp_targetILNS1_3genE5ELNS1_11target_archE942ELNS1_3gpuE9ELNS1_3repE0EEENS1_30default_config_static_selectorELNS0_4arch9wavefront6targetE0EEEvSH_,"axG",@progbits,_ZN7rocprim17ROCPRIM_400000_NS6detail17trampoline_kernelINS0_14default_configENS1_36segmented_radix_sort_config_selectorIllEEZNS1_25segmented_radix_sort_implIS3_Lb0EPKlPlS8_S9_N2at6native12_GLOBAL__N_18offset_tEEE10hipError_tPvRmT1_PNSt15iterator_traitsISH_E10value_typeET2_T3_PNSI_ISN_E10value_typeET4_jRbjT5_ST_jjP12ihipStream_tbEUlT_E_NS1_11comp_targetILNS1_3genE5ELNS1_11target_archE942ELNS1_3gpuE9ELNS1_3repE0EEENS1_30default_config_static_selectorELNS0_4arch9wavefront6targetE0EEEvSH_,comdat
	.globl	_ZN7rocprim17ROCPRIM_400000_NS6detail17trampoline_kernelINS0_14default_configENS1_36segmented_radix_sort_config_selectorIllEEZNS1_25segmented_radix_sort_implIS3_Lb0EPKlPlS8_S9_N2at6native12_GLOBAL__N_18offset_tEEE10hipError_tPvRmT1_PNSt15iterator_traitsISH_E10value_typeET2_T3_PNSI_ISN_E10value_typeET4_jRbjT5_ST_jjP12ihipStream_tbEUlT_E_NS1_11comp_targetILNS1_3genE5ELNS1_11target_archE942ELNS1_3gpuE9ELNS1_3repE0EEENS1_30default_config_static_selectorELNS0_4arch9wavefront6targetE0EEEvSH_ ; -- Begin function _ZN7rocprim17ROCPRIM_400000_NS6detail17trampoline_kernelINS0_14default_configENS1_36segmented_radix_sort_config_selectorIllEEZNS1_25segmented_radix_sort_implIS3_Lb0EPKlPlS8_S9_N2at6native12_GLOBAL__N_18offset_tEEE10hipError_tPvRmT1_PNSt15iterator_traitsISH_E10value_typeET2_T3_PNSI_ISN_E10value_typeET4_jRbjT5_ST_jjP12ihipStream_tbEUlT_E_NS1_11comp_targetILNS1_3genE5ELNS1_11target_archE942ELNS1_3gpuE9ELNS1_3repE0EEENS1_30default_config_static_selectorELNS0_4arch9wavefront6targetE0EEEvSH_
	.p2align	8
	.type	_ZN7rocprim17ROCPRIM_400000_NS6detail17trampoline_kernelINS0_14default_configENS1_36segmented_radix_sort_config_selectorIllEEZNS1_25segmented_radix_sort_implIS3_Lb0EPKlPlS8_S9_N2at6native12_GLOBAL__N_18offset_tEEE10hipError_tPvRmT1_PNSt15iterator_traitsISH_E10value_typeET2_T3_PNSI_ISN_E10value_typeET4_jRbjT5_ST_jjP12ihipStream_tbEUlT_E_NS1_11comp_targetILNS1_3genE5ELNS1_11target_archE942ELNS1_3gpuE9ELNS1_3repE0EEENS1_30default_config_static_selectorELNS0_4arch9wavefront6targetE0EEEvSH_,@function
_ZN7rocprim17ROCPRIM_400000_NS6detail17trampoline_kernelINS0_14default_configENS1_36segmented_radix_sort_config_selectorIllEEZNS1_25segmented_radix_sort_implIS3_Lb0EPKlPlS8_S9_N2at6native12_GLOBAL__N_18offset_tEEE10hipError_tPvRmT1_PNSt15iterator_traitsISH_E10value_typeET2_T3_PNSI_ISN_E10value_typeET4_jRbjT5_ST_jjP12ihipStream_tbEUlT_E_NS1_11comp_targetILNS1_3genE5ELNS1_11target_archE942ELNS1_3gpuE9ELNS1_3repE0EEENS1_30default_config_static_selectorELNS0_4arch9wavefront6targetE0EEEvSH_: ; @_ZN7rocprim17ROCPRIM_400000_NS6detail17trampoline_kernelINS0_14default_configENS1_36segmented_radix_sort_config_selectorIllEEZNS1_25segmented_radix_sort_implIS3_Lb0EPKlPlS8_S9_N2at6native12_GLOBAL__N_18offset_tEEE10hipError_tPvRmT1_PNSt15iterator_traitsISH_E10value_typeET2_T3_PNSI_ISN_E10value_typeET4_jRbjT5_ST_jjP12ihipStream_tbEUlT_E_NS1_11comp_targetILNS1_3genE5ELNS1_11target_archE942ELNS1_3gpuE9ELNS1_3repE0EEENS1_30default_config_static_selectorELNS0_4arch9wavefront6targetE0EEEvSH_
; %bb.0:
	.section	.rodata,"a",@progbits
	.p2align	6, 0x0
	.amdhsa_kernel _ZN7rocprim17ROCPRIM_400000_NS6detail17trampoline_kernelINS0_14default_configENS1_36segmented_radix_sort_config_selectorIllEEZNS1_25segmented_radix_sort_implIS3_Lb0EPKlPlS8_S9_N2at6native12_GLOBAL__N_18offset_tEEE10hipError_tPvRmT1_PNSt15iterator_traitsISH_E10value_typeET2_T3_PNSI_ISN_E10value_typeET4_jRbjT5_ST_jjP12ihipStream_tbEUlT_E_NS1_11comp_targetILNS1_3genE5ELNS1_11target_archE942ELNS1_3gpuE9ELNS1_3repE0EEENS1_30default_config_static_selectorELNS0_4arch9wavefront6targetE0EEEvSH_
		.amdhsa_group_segment_fixed_size 0
		.amdhsa_private_segment_fixed_size 0
		.amdhsa_kernarg_size 96
		.amdhsa_user_sgpr_count 2
		.amdhsa_user_sgpr_dispatch_ptr 0
		.amdhsa_user_sgpr_queue_ptr 0
		.amdhsa_user_sgpr_kernarg_segment_ptr 1
		.amdhsa_user_sgpr_dispatch_id 0
		.amdhsa_user_sgpr_kernarg_preload_length 0
		.amdhsa_user_sgpr_kernarg_preload_offset 0
		.amdhsa_user_sgpr_private_segment_size 0
		.amdhsa_wavefront_size32 1
		.amdhsa_uses_dynamic_stack 0
		.amdhsa_enable_private_segment 0
		.amdhsa_system_sgpr_workgroup_id_x 1
		.amdhsa_system_sgpr_workgroup_id_y 0
		.amdhsa_system_sgpr_workgroup_id_z 0
		.amdhsa_system_sgpr_workgroup_info 0
		.amdhsa_system_vgpr_workitem_id 0
		.amdhsa_next_free_vgpr 1
		.amdhsa_next_free_sgpr 1
		.amdhsa_named_barrier_count 0
		.amdhsa_reserve_vcc 0
		.amdhsa_float_round_mode_32 0
		.amdhsa_float_round_mode_16_64 0
		.amdhsa_float_denorm_mode_32 3
		.amdhsa_float_denorm_mode_16_64 3
		.amdhsa_fp16_overflow 0
		.amdhsa_memory_ordered 1
		.amdhsa_forward_progress 1
		.amdhsa_inst_pref_size 0
		.amdhsa_round_robin_scheduling 0
		.amdhsa_exception_fp_ieee_invalid_op 0
		.amdhsa_exception_fp_denorm_src 0
		.amdhsa_exception_fp_ieee_div_zero 0
		.amdhsa_exception_fp_ieee_overflow 0
		.amdhsa_exception_fp_ieee_underflow 0
		.amdhsa_exception_fp_ieee_inexact 0
		.amdhsa_exception_int_div_zero 0
	.end_amdhsa_kernel
	.section	.text._ZN7rocprim17ROCPRIM_400000_NS6detail17trampoline_kernelINS0_14default_configENS1_36segmented_radix_sort_config_selectorIllEEZNS1_25segmented_radix_sort_implIS3_Lb0EPKlPlS8_S9_N2at6native12_GLOBAL__N_18offset_tEEE10hipError_tPvRmT1_PNSt15iterator_traitsISH_E10value_typeET2_T3_PNSI_ISN_E10value_typeET4_jRbjT5_ST_jjP12ihipStream_tbEUlT_E_NS1_11comp_targetILNS1_3genE5ELNS1_11target_archE942ELNS1_3gpuE9ELNS1_3repE0EEENS1_30default_config_static_selectorELNS0_4arch9wavefront6targetE0EEEvSH_,"axG",@progbits,_ZN7rocprim17ROCPRIM_400000_NS6detail17trampoline_kernelINS0_14default_configENS1_36segmented_radix_sort_config_selectorIllEEZNS1_25segmented_radix_sort_implIS3_Lb0EPKlPlS8_S9_N2at6native12_GLOBAL__N_18offset_tEEE10hipError_tPvRmT1_PNSt15iterator_traitsISH_E10value_typeET2_T3_PNSI_ISN_E10value_typeET4_jRbjT5_ST_jjP12ihipStream_tbEUlT_E_NS1_11comp_targetILNS1_3genE5ELNS1_11target_archE942ELNS1_3gpuE9ELNS1_3repE0EEENS1_30default_config_static_selectorELNS0_4arch9wavefront6targetE0EEEvSH_,comdat
.Lfunc_end805:
	.size	_ZN7rocprim17ROCPRIM_400000_NS6detail17trampoline_kernelINS0_14default_configENS1_36segmented_radix_sort_config_selectorIllEEZNS1_25segmented_radix_sort_implIS3_Lb0EPKlPlS8_S9_N2at6native12_GLOBAL__N_18offset_tEEE10hipError_tPvRmT1_PNSt15iterator_traitsISH_E10value_typeET2_T3_PNSI_ISN_E10value_typeET4_jRbjT5_ST_jjP12ihipStream_tbEUlT_E_NS1_11comp_targetILNS1_3genE5ELNS1_11target_archE942ELNS1_3gpuE9ELNS1_3repE0EEENS1_30default_config_static_selectorELNS0_4arch9wavefront6targetE0EEEvSH_, .Lfunc_end805-_ZN7rocprim17ROCPRIM_400000_NS6detail17trampoline_kernelINS0_14default_configENS1_36segmented_radix_sort_config_selectorIllEEZNS1_25segmented_radix_sort_implIS3_Lb0EPKlPlS8_S9_N2at6native12_GLOBAL__N_18offset_tEEE10hipError_tPvRmT1_PNSt15iterator_traitsISH_E10value_typeET2_T3_PNSI_ISN_E10value_typeET4_jRbjT5_ST_jjP12ihipStream_tbEUlT_E_NS1_11comp_targetILNS1_3genE5ELNS1_11target_archE942ELNS1_3gpuE9ELNS1_3repE0EEENS1_30default_config_static_selectorELNS0_4arch9wavefront6targetE0EEEvSH_
                                        ; -- End function
	.set _ZN7rocprim17ROCPRIM_400000_NS6detail17trampoline_kernelINS0_14default_configENS1_36segmented_radix_sort_config_selectorIllEEZNS1_25segmented_radix_sort_implIS3_Lb0EPKlPlS8_S9_N2at6native12_GLOBAL__N_18offset_tEEE10hipError_tPvRmT1_PNSt15iterator_traitsISH_E10value_typeET2_T3_PNSI_ISN_E10value_typeET4_jRbjT5_ST_jjP12ihipStream_tbEUlT_E_NS1_11comp_targetILNS1_3genE5ELNS1_11target_archE942ELNS1_3gpuE9ELNS1_3repE0EEENS1_30default_config_static_selectorELNS0_4arch9wavefront6targetE0EEEvSH_.num_vgpr, 0
	.set _ZN7rocprim17ROCPRIM_400000_NS6detail17trampoline_kernelINS0_14default_configENS1_36segmented_radix_sort_config_selectorIllEEZNS1_25segmented_radix_sort_implIS3_Lb0EPKlPlS8_S9_N2at6native12_GLOBAL__N_18offset_tEEE10hipError_tPvRmT1_PNSt15iterator_traitsISH_E10value_typeET2_T3_PNSI_ISN_E10value_typeET4_jRbjT5_ST_jjP12ihipStream_tbEUlT_E_NS1_11comp_targetILNS1_3genE5ELNS1_11target_archE942ELNS1_3gpuE9ELNS1_3repE0EEENS1_30default_config_static_selectorELNS0_4arch9wavefront6targetE0EEEvSH_.num_agpr, 0
	.set _ZN7rocprim17ROCPRIM_400000_NS6detail17trampoline_kernelINS0_14default_configENS1_36segmented_radix_sort_config_selectorIllEEZNS1_25segmented_radix_sort_implIS3_Lb0EPKlPlS8_S9_N2at6native12_GLOBAL__N_18offset_tEEE10hipError_tPvRmT1_PNSt15iterator_traitsISH_E10value_typeET2_T3_PNSI_ISN_E10value_typeET4_jRbjT5_ST_jjP12ihipStream_tbEUlT_E_NS1_11comp_targetILNS1_3genE5ELNS1_11target_archE942ELNS1_3gpuE9ELNS1_3repE0EEENS1_30default_config_static_selectorELNS0_4arch9wavefront6targetE0EEEvSH_.numbered_sgpr, 0
	.set _ZN7rocprim17ROCPRIM_400000_NS6detail17trampoline_kernelINS0_14default_configENS1_36segmented_radix_sort_config_selectorIllEEZNS1_25segmented_radix_sort_implIS3_Lb0EPKlPlS8_S9_N2at6native12_GLOBAL__N_18offset_tEEE10hipError_tPvRmT1_PNSt15iterator_traitsISH_E10value_typeET2_T3_PNSI_ISN_E10value_typeET4_jRbjT5_ST_jjP12ihipStream_tbEUlT_E_NS1_11comp_targetILNS1_3genE5ELNS1_11target_archE942ELNS1_3gpuE9ELNS1_3repE0EEENS1_30default_config_static_selectorELNS0_4arch9wavefront6targetE0EEEvSH_.num_named_barrier, 0
	.set _ZN7rocprim17ROCPRIM_400000_NS6detail17trampoline_kernelINS0_14default_configENS1_36segmented_radix_sort_config_selectorIllEEZNS1_25segmented_radix_sort_implIS3_Lb0EPKlPlS8_S9_N2at6native12_GLOBAL__N_18offset_tEEE10hipError_tPvRmT1_PNSt15iterator_traitsISH_E10value_typeET2_T3_PNSI_ISN_E10value_typeET4_jRbjT5_ST_jjP12ihipStream_tbEUlT_E_NS1_11comp_targetILNS1_3genE5ELNS1_11target_archE942ELNS1_3gpuE9ELNS1_3repE0EEENS1_30default_config_static_selectorELNS0_4arch9wavefront6targetE0EEEvSH_.private_seg_size, 0
	.set _ZN7rocprim17ROCPRIM_400000_NS6detail17trampoline_kernelINS0_14default_configENS1_36segmented_radix_sort_config_selectorIllEEZNS1_25segmented_radix_sort_implIS3_Lb0EPKlPlS8_S9_N2at6native12_GLOBAL__N_18offset_tEEE10hipError_tPvRmT1_PNSt15iterator_traitsISH_E10value_typeET2_T3_PNSI_ISN_E10value_typeET4_jRbjT5_ST_jjP12ihipStream_tbEUlT_E_NS1_11comp_targetILNS1_3genE5ELNS1_11target_archE942ELNS1_3gpuE9ELNS1_3repE0EEENS1_30default_config_static_selectorELNS0_4arch9wavefront6targetE0EEEvSH_.uses_vcc, 0
	.set _ZN7rocprim17ROCPRIM_400000_NS6detail17trampoline_kernelINS0_14default_configENS1_36segmented_radix_sort_config_selectorIllEEZNS1_25segmented_radix_sort_implIS3_Lb0EPKlPlS8_S9_N2at6native12_GLOBAL__N_18offset_tEEE10hipError_tPvRmT1_PNSt15iterator_traitsISH_E10value_typeET2_T3_PNSI_ISN_E10value_typeET4_jRbjT5_ST_jjP12ihipStream_tbEUlT_E_NS1_11comp_targetILNS1_3genE5ELNS1_11target_archE942ELNS1_3gpuE9ELNS1_3repE0EEENS1_30default_config_static_selectorELNS0_4arch9wavefront6targetE0EEEvSH_.uses_flat_scratch, 0
	.set _ZN7rocprim17ROCPRIM_400000_NS6detail17trampoline_kernelINS0_14default_configENS1_36segmented_radix_sort_config_selectorIllEEZNS1_25segmented_radix_sort_implIS3_Lb0EPKlPlS8_S9_N2at6native12_GLOBAL__N_18offset_tEEE10hipError_tPvRmT1_PNSt15iterator_traitsISH_E10value_typeET2_T3_PNSI_ISN_E10value_typeET4_jRbjT5_ST_jjP12ihipStream_tbEUlT_E_NS1_11comp_targetILNS1_3genE5ELNS1_11target_archE942ELNS1_3gpuE9ELNS1_3repE0EEENS1_30default_config_static_selectorELNS0_4arch9wavefront6targetE0EEEvSH_.has_dyn_sized_stack, 0
	.set _ZN7rocprim17ROCPRIM_400000_NS6detail17trampoline_kernelINS0_14default_configENS1_36segmented_radix_sort_config_selectorIllEEZNS1_25segmented_radix_sort_implIS3_Lb0EPKlPlS8_S9_N2at6native12_GLOBAL__N_18offset_tEEE10hipError_tPvRmT1_PNSt15iterator_traitsISH_E10value_typeET2_T3_PNSI_ISN_E10value_typeET4_jRbjT5_ST_jjP12ihipStream_tbEUlT_E_NS1_11comp_targetILNS1_3genE5ELNS1_11target_archE942ELNS1_3gpuE9ELNS1_3repE0EEENS1_30default_config_static_selectorELNS0_4arch9wavefront6targetE0EEEvSH_.has_recursion, 0
	.set _ZN7rocprim17ROCPRIM_400000_NS6detail17trampoline_kernelINS0_14default_configENS1_36segmented_radix_sort_config_selectorIllEEZNS1_25segmented_radix_sort_implIS3_Lb0EPKlPlS8_S9_N2at6native12_GLOBAL__N_18offset_tEEE10hipError_tPvRmT1_PNSt15iterator_traitsISH_E10value_typeET2_T3_PNSI_ISN_E10value_typeET4_jRbjT5_ST_jjP12ihipStream_tbEUlT_E_NS1_11comp_targetILNS1_3genE5ELNS1_11target_archE942ELNS1_3gpuE9ELNS1_3repE0EEENS1_30default_config_static_selectorELNS0_4arch9wavefront6targetE0EEEvSH_.has_indirect_call, 0
	.section	.AMDGPU.csdata,"",@progbits
; Kernel info:
; codeLenInByte = 0
; TotalNumSgprs: 0
; NumVgprs: 0
; ScratchSize: 0
; MemoryBound: 0
; FloatMode: 240
; IeeeMode: 1
; LDSByteSize: 0 bytes/workgroup (compile time only)
; SGPRBlocks: 0
; VGPRBlocks: 0
; NumSGPRsForWavesPerEU: 1
; NumVGPRsForWavesPerEU: 1
; NamedBarCnt: 0
; Occupancy: 16
; WaveLimiterHint : 0
; COMPUTE_PGM_RSRC2:SCRATCH_EN: 0
; COMPUTE_PGM_RSRC2:USER_SGPR: 2
; COMPUTE_PGM_RSRC2:TRAP_HANDLER: 0
; COMPUTE_PGM_RSRC2:TGID_X_EN: 1
; COMPUTE_PGM_RSRC2:TGID_Y_EN: 0
; COMPUTE_PGM_RSRC2:TGID_Z_EN: 0
; COMPUTE_PGM_RSRC2:TIDIG_COMP_CNT: 0
	.section	.text._ZN7rocprim17ROCPRIM_400000_NS6detail17trampoline_kernelINS0_14default_configENS1_36segmented_radix_sort_config_selectorIllEEZNS1_25segmented_radix_sort_implIS3_Lb0EPKlPlS8_S9_N2at6native12_GLOBAL__N_18offset_tEEE10hipError_tPvRmT1_PNSt15iterator_traitsISH_E10value_typeET2_T3_PNSI_ISN_E10value_typeET4_jRbjT5_ST_jjP12ihipStream_tbEUlT_E_NS1_11comp_targetILNS1_3genE4ELNS1_11target_archE910ELNS1_3gpuE8ELNS1_3repE0EEENS1_30default_config_static_selectorELNS0_4arch9wavefront6targetE0EEEvSH_,"axG",@progbits,_ZN7rocprim17ROCPRIM_400000_NS6detail17trampoline_kernelINS0_14default_configENS1_36segmented_radix_sort_config_selectorIllEEZNS1_25segmented_radix_sort_implIS3_Lb0EPKlPlS8_S9_N2at6native12_GLOBAL__N_18offset_tEEE10hipError_tPvRmT1_PNSt15iterator_traitsISH_E10value_typeET2_T3_PNSI_ISN_E10value_typeET4_jRbjT5_ST_jjP12ihipStream_tbEUlT_E_NS1_11comp_targetILNS1_3genE4ELNS1_11target_archE910ELNS1_3gpuE8ELNS1_3repE0EEENS1_30default_config_static_selectorELNS0_4arch9wavefront6targetE0EEEvSH_,comdat
	.globl	_ZN7rocprim17ROCPRIM_400000_NS6detail17trampoline_kernelINS0_14default_configENS1_36segmented_radix_sort_config_selectorIllEEZNS1_25segmented_radix_sort_implIS3_Lb0EPKlPlS8_S9_N2at6native12_GLOBAL__N_18offset_tEEE10hipError_tPvRmT1_PNSt15iterator_traitsISH_E10value_typeET2_T3_PNSI_ISN_E10value_typeET4_jRbjT5_ST_jjP12ihipStream_tbEUlT_E_NS1_11comp_targetILNS1_3genE4ELNS1_11target_archE910ELNS1_3gpuE8ELNS1_3repE0EEENS1_30default_config_static_selectorELNS0_4arch9wavefront6targetE0EEEvSH_ ; -- Begin function _ZN7rocprim17ROCPRIM_400000_NS6detail17trampoline_kernelINS0_14default_configENS1_36segmented_radix_sort_config_selectorIllEEZNS1_25segmented_radix_sort_implIS3_Lb0EPKlPlS8_S9_N2at6native12_GLOBAL__N_18offset_tEEE10hipError_tPvRmT1_PNSt15iterator_traitsISH_E10value_typeET2_T3_PNSI_ISN_E10value_typeET4_jRbjT5_ST_jjP12ihipStream_tbEUlT_E_NS1_11comp_targetILNS1_3genE4ELNS1_11target_archE910ELNS1_3gpuE8ELNS1_3repE0EEENS1_30default_config_static_selectorELNS0_4arch9wavefront6targetE0EEEvSH_
	.p2align	8
	.type	_ZN7rocprim17ROCPRIM_400000_NS6detail17trampoline_kernelINS0_14default_configENS1_36segmented_radix_sort_config_selectorIllEEZNS1_25segmented_radix_sort_implIS3_Lb0EPKlPlS8_S9_N2at6native12_GLOBAL__N_18offset_tEEE10hipError_tPvRmT1_PNSt15iterator_traitsISH_E10value_typeET2_T3_PNSI_ISN_E10value_typeET4_jRbjT5_ST_jjP12ihipStream_tbEUlT_E_NS1_11comp_targetILNS1_3genE4ELNS1_11target_archE910ELNS1_3gpuE8ELNS1_3repE0EEENS1_30default_config_static_selectorELNS0_4arch9wavefront6targetE0EEEvSH_,@function
_ZN7rocprim17ROCPRIM_400000_NS6detail17trampoline_kernelINS0_14default_configENS1_36segmented_radix_sort_config_selectorIllEEZNS1_25segmented_radix_sort_implIS3_Lb0EPKlPlS8_S9_N2at6native12_GLOBAL__N_18offset_tEEE10hipError_tPvRmT1_PNSt15iterator_traitsISH_E10value_typeET2_T3_PNSI_ISN_E10value_typeET4_jRbjT5_ST_jjP12ihipStream_tbEUlT_E_NS1_11comp_targetILNS1_3genE4ELNS1_11target_archE910ELNS1_3gpuE8ELNS1_3repE0EEENS1_30default_config_static_selectorELNS0_4arch9wavefront6targetE0EEEvSH_: ; @_ZN7rocprim17ROCPRIM_400000_NS6detail17trampoline_kernelINS0_14default_configENS1_36segmented_radix_sort_config_selectorIllEEZNS1_25segmented_radix_sort_implIS3_Lb0EPKlPlS8_S9_N2at6native12_GLOBAL__N_18offset_tEEE10hipError_tPvRmT1_PNSt15iterator_traitsISH_E10value_typeET2_T3_PNSI_ISN_E10value_typeET4_jRbjT5_ST_jjP12ihipStream_tbEUlT_E_NS1_11comp_targetILNS1_3genE4ELNS1_11target_archE910ELNS1_3gpuE8ELNS1_3repE0EEENS1_30default_config_static_selectorELNS0_4arch9wavefront6targetE0EEEvSH_
; %bb.0:
	.section	.rodata,"a",@progbits
	.p2align	6, 0x0
	.amdhsa_kernel _ZN7rocprim17ROCPRIM_400000_NS6detail17trampoline_kernelINS0_14default_configENS1_36segmented_radix_sort_config_selectorIllEEZNS1_25segmented_radix_sort_implIS3_Lb0EPKlPlS8_S9_N2at6native12_GLOBAL__N_18offset_tEEE10hipError_tPvRmT1_PNSt15iterator_traitsISH_E10value_typeET2_T3_PNSI_ISN_E10value_typeET4_jRbjT5_ST_jjP12ihipStream_tbEUlT_E_NS1_11comp_targetILNS1_3genE4ELNS1_11target_archE910ELNS1_3gpuE8ELNS1_3repE0EEENS1_30default_config_static_selectorELNS0_4arch9wavefront6targetE0EEEvSH_
		.amdhsa_group_segment_fixed_size 0
		.amdhsa_private_segment_fixed_size 0
		.amdhsa_kernarg_size 96
		.amdhsa_user_sgpr_count 2
		.amdhsa_user_sgpr_dispatch_ptr 0
		.amdhsa_user_sgpr_queue_ptr 0
		.amdhsa_user_sgpr_kernarg_segment_ptr 1
		.amdhsa_user_sgpr_dispatch_id 0
		.amdhsa_user_sgpr_kernarg_preload_length 0
		.amdhsa_user_sgpr_kernarg_preload_offset 0
		.amdhsa_user_sgpr_private_segment_size 0
		.amdhsa_wavefront_size32 1
		.amdhsa_uses_dynamic_stack 0
		.amdhsa_enable_private_segment 0
		.amdhsa_system_sgpr_workgroup_id_x 1
		.amdhsa_system_sgpr_workgroup_id_y 0
		.amdhsa_system_sgpr_workgroup_id_z 0
		.amdhsa_system_sgpr_workgroup_info 0
		.amdhsa_system_vgpr_workitem_id 0
		.amdhsa_next_free_vgpr 1
		.amdhsa_next_free_sgpr 1
		.amdhsa_named_barrier_count 0
		.amdhsa_reserve_vcc 0
		.amdhsa_float_round_mode_32 0
		.amdhsa_float_round_mode_16_64 0
		.amdhsa_float_denorm_mode_32 3
		.amdhsa_float_denorm_mode_16_64 3
		.amdhsa_fp16_overflow 0
		.amdhsa_memory_ordered 1
		.amdhsa_forward_progress 1
		.amdhsa_inst_pref_size 0
		.amdhsa_round_robin_scheduling 0
		.amdhsa_exception_fp_ieee_invalid_op 0
		.amdhsa_exception_fp_denorm_src 0
		.amdhsa_exception_fp_ieee_div_zero 0
		.amdhsa_exception_fp_ieee_overflow 0
		.amdhsa_exception_fp_ieee_underflow 0
		.amdhsa_exception_fp_ieee_inexact 0
		.amdhsa_exception_int_div_zero 0
	.end_amdhsa_kernel
	.section	.text._ZN7rocprim17ROCPRIM_400000_NS6detail17trampoline_kernelINS0_14default_configENS1_36segmented_radix_sort_config_selectorIllEEZNS1_25segmented_radix_sort_implIS3_Lb0EPKlPlS8_S9_N2at6native12_GLOBAL__N_18offset_tEEE10hipError_tPvRmT1_PNSt15iterator_traitsISH_E10value_typeET2_T3_PNSI_ISN_E10value_typeET4_jRbjT5_ST_jjP12ihipStream_tbEUlT_E_NS1_11comp_targetILNS1_3genE4ELNS1_11target_archE910ELNS1_3gpuE8ELNS1_3repE0EEENS1_30default_config_static_selectorELNS0_4arch9wavefront6targetE0EEEvSH_,"axG",@progbits,_ZN7rocprim17ROCPRIM_400000_NS6detail17trampoline_kernelINS0_14default_configENS1_36segmented_radix_sort_config_selectorIllEEZNS1_25segmented_radix_sort_implIS3_Lb0EPKlPlS8_S9_N2at6native12_GLOBAL__N_18offset_tEEE10hipError_tPvRmT1_PNSt15iterator_traitsISH_E10value_typeET2_T3_PNSI_ISN_E10value_typeET4_jRbjT5_ST_jjP12ihipStream_tbEUlT_E_NS1_11comp_targetILNS1_3genE4ELNS1_11target_archE910ELNS1_3gpuE8ELNS1_3repE0EEENS1_30default_config_static_selectorELNS0_4arch9wavefront6targetE0EEEvSH_,comdat
.Lfunc_end806:
	.size	_ZN7rocprim17ROCPRIM_400000_NS6detail17trampoline_kernelINS0_14default_configENS1_36segmented_radix_sort_config_selectorIllEEZNS1_25segmented_radix_sort_implIS3_Lb0EPKlPlS8_S9_N2at6native12_GLOBAL__N_18offset_tEEE10hipError_tPvRmT1_PNSt15iterator_traitsISH_E10value_typeET2_T3_PNSI_ISN_E10value_typeET4_jRbjT5_ST_jjP12ihipStream_tbEUlT_E_NS1_11comp_targetILNS1_3genE4ELNS1_11target_archE910ELNS1_3gpuE8ELNS1_3repE0EEENS1_30default_config_static_selectorELNS0_4arch9wavefront6targetE0EEEvSH_, .Lfunc_end806-_ZN7rocprim17ROCPRIM_400000_NS6detail17trampoline_kernelINS0_14default_configENS1_36segmented_radix_sort_config_selectorIllEEZNS1_25segmented_radix_sort_implIS3_Lb0EPKlPlS8_S9_N2at6native12_GLOBAL__N_18offset_tEEE10hipError_tPvRmT1_PNSt15iterator_traitsISH_E10value_typeET2_T3_PNSI_ISN_E10value_typeET4_jRbjT5_ST_jjP12ihipStream_tbEUlT_E_NS1_11comp_targetILNS1_3genE4ELNS1_11target_archE910ELNS1_3gpuE8ELNS1_3repE0EEENS1_30default_config_static_selectorELNS0_4arch9wavefront6targetE0EEEvSH_
                                        ; -- End function
	.set _ZN7rocprim17ROCPRIM_400000_NS6detail17trampoline_kernelINS0_14default_configENS1_36segmented_radix_sort_config_selectorIllEEZNS1_25segmented_radix_sort_implIS3_Lb0EPKlPlS8_S9_N2at6native12_GLOBAL__N_18offset_tEEE10hipError_tPvRmT1_PNSt15iterator_traitsISH_E10value_typeET2_T3_PNSI_ISN_E10value_typeET4_jRbjT5_ST_jjP12ihipStream_tbEUlT_E_NS1_11comp_targetILNS1_3genE4ELNS1_11target_archE910ELNS1_3gpuE8ELNS1_3repE0EEENS1_30default_config_static_selectorELNS0_4arch9wavefront6targetE0EEEvSH_.num_vgpr, 0
	.set _ZN7rocprim17ROCPRIM_400000_NS6detail17trampoline_kernelINS0_14default_configENS1_36segmented_radix_sort_config_selectorIllEEZNS1_25segmented_radix_sort_implIS3_Lb0EPKlPlS8_S9_N2at6native12_GLOBAL__N_18offset_tEEE10hipError_tPvRmT1_PNSt15iterator_traitsISH_E10value_typeET2_T3_PNSI_ISN_E10value_typeET4_jRbjT5_ST_jjP12ihipStream_tbEUlT_E_NS1_11comp_targetILNS1_3genE4ELNS1_11target_archE910ELNS1_3gpuE8ELNS1_3repE0EEENS1_30default_config_static_selectorELNS0_4arch9wavefront6targetE0EEEvSH_.num_agpr, 0
	.set _ZN7rocprim17ROCPRIM_400000_NS6detail17trampoline_kernelINS0_14default_configENS1_36segmented_radix_sort_config_selectorIllEEZNS1_25segmented_radix_sort_implIS3_Lb0EPKlPlS8_S9_N2at6native12_GLOBAL__N_18offset_tEEE10hipError_tPvRmT1_PNSt15iterator_traitsISH_E10value_typeET2_T3_PNSI_ISN_E10value_typeET4_jRbjT5_ST_jjP12ihipStream_tbEUlT_E_NS1_11comp_targetILNS1_3genE4ELNS1_11target_archE910ELNS1_3gpuE8ELNS1_3repE0EEENS1_30default_config_static_selectorELNS0_4arch9wavefront6targetE0EEEvSH_.numbered_sgpr, 0
	.set _ZN7rocprim17ROCPRIM_400000_NS6detail17trampoline_kernelINS0_14default_configENS1_36segmented_radix_sort_config_selectorIllEEZNS1_25segmented_radix_sort_implIS3_Lb0EPKlPlS8_S9_N2at6native12_GLOBAL__N_18offset_tEEE10hipError_tPvRmT1_PNSt15iterator_traitsISH_E10value_typeET2_T3_PNSI_ISN_E10value_typeET4_jRbjT5_ST_jjP12ihipStream_tbEUlT_E_NS1_11comp_targetILNS1_3genE4ELNS1_11target_archE910ELNS1_3gpuE8ELNS1_3repE0EEENS1_30default_config_static_selectorELNS0_4arch9wavefront6targetE0EEEvSH_.num_named_barrier, 0
	.set _ZN7rocprim17ROCPRIM_400000_NS6detail17trampoline_kernelINS0_14default_configENS1_36segmented_radix_sort_config_selectorIllEEZNS1_25segmented_radix_sort_implIS3_Lb0EPKlPlS8_S9_N2at6native12_GLOBAL__N_18offset_tEEE10hipError_tPvRmT1_PNSt15iterator_traitsISH_E10value_typeET2_T3_PNSI_ISN_E10value_typeET4_jRbjT5_ST_jjP12ihipStream_tbEUlT_E_NS1_11comp_targetILNS1_3genE4ELNS1_11target_archE910ELNS1_3gpuE8ELNS1_3repE0EEENS1_30default_config_static_selectorELNS0_4arch9wavefront6targetE0EEEvSH_.private_seg_size, 0
	.set _ZN7rocprim17ROCPRIM_400000_NS6detail17trampoline_kernelINS0_14default_configENS1_36segmented_radix_sort_config_selectorIllEEZNS1_25segmented_radix_sort_implIS3_Lb0EPKlPlS8_S9_N2at6native12_GLOBAL__N_18offset_tEEE10hipError_tPvRmT1_PNSt15iterator_traitsISH_E10value_typeET2_T3_PNSI_ISN_E10value_typeET4_jRbjT5_ST_jjP12ihipStream_tbEUlT_E_NS1_11comp_targetILNS1_3genE4ELNS1_11target_archE910ELNS1_3gpuE8ELNS1_3repE0EEENS1_30default_config_static_selectorELNS0_4arch9wavefront6targetE0EEEvSH_.uses_vcc, 0
	.set _ZN7rocprim17ROCPRIM_400000_NS6detail17trampoline_kernelINS0_14default_configENS1_36segmented_radix_sort_config_selectorIllEEZNS1_25segmented_radix_sort_implIS3_Lb0EPKlPlS8_S9_N2at6native12_GLOBAL__N_18offset_tEEE10hipError_tPvRmT1_PNSt15iterator_traitsISH_E10value_typeET2_T3_PNSI_ISN_E10value_typeET4_jRbjT5_ST_jjP12ihipStream_tbEUlT_E_NS1_11comp_targetILNS1_3genE4ELNS1_11target_archE910ELNS1_3gpuE8ELNS1_3repE0EEENS1_30default_config_static_selectorELNS0_4arch9wavefront6targetE0EEEvSH_.uses_flat_scratch, 0
	.set _ZN7rocprim17ROCPRIM_400000_NS6detail17trampoline_kernelINS0_14default_configENS1_36segmented_radix_sort_config_selectorIllEEZNS1_25segmented_radix_sort_implIS3_Lb0EPKlPlS8_S9_N2at6native12_GLOBAL__N_18offset_tEEE10hipError_tPvRmT1_PNSt15iterator_traitsISH_E10value_typeET2_T3_PNSI_ISN_E10value_typeET4_jRbjT5_ST_jjP12ihipStream_tbEUlT_E_NS1_11comp_targetILNS1_3genE4ELNS1_11target_archE910ELNS1_3gpuE8ELNS1_3repE0EEENS1_30default_config_static_selectorELNS0_4arch9wavefront6targetE0EEEvSH_.has_dyn_sized_stack, 0
	.set _ZN7rocprim17ROCPRIM_400000_NS6detail17trampoline_kernelINS0_14default_configENS1_36segmented_radix_sort_config_selectorIllEEZNS1_25segmented_radix_sort_implIS3_Lb0EPKlPlS8_S9_N2at6native12_GLOBAL__N_18offset_tEEE10hipError_tPvRmT1_PNSt15iterator_traitsISH_E10value_typeET2_T3_PNSI_ISN_E10value_typeET4_jRbjT5_ST_jjP12ihipStream_tbEUlT_E_NS1_11comp_targetILNS1_3genE4ELNS1_11target_archE910ELNS1_3gpuE8ELNS1_3repE0EEENS1_30default_config_static_selectorELNS0_4arch9wavefront6targetE0EEEvSH_.has_recursion, 0
	.set _ZN7rocprim17ROCPRIM_400000_NS6detail17trampoline_kernelINS0_14default_configENS1_36segmented_radix_sort_config_selectorIllEEZNS1_25segmented_radix_sort_implIS3_Lb0EPKlPlS8_S9_N2at6native12_GLOBAL__N_18offset_tEEE10hipError_tPvRmT1_PNSt15iterator_traitsISH_E10value_typeET2_T3_PNSI_ISN_E10value_typeET4_jRbjT5_ST_jjP12ihipStream_tbEUlT_E_NS1_11comp_targetILNS1_3genE4ELNS1_11target_archE910ELNS1_3gpuE8ELNS1_3repE0EEENS1_30default_config_static_selectorELNS0_4arch9wavefront6targetE0EEEvSH_.has_indirect_call, 0
	.section	.AMDGPU.csdata,"",@progbits
; Kernel info:
; codeLenInByte = 0
; TotalNumSgprs: 0
; NumVgprs: 0
; ScratchSize: 0
; MemoryBound: 0
; FloatMode: 240
; IeeeMode: 1
; LDSByteSize: 0 bytes/workgroup (compile time only)
; SGPRBlocks: 0
; VGPRBlocks: 0
; NumSGPRsForWavesPerEU: 1
; NumVGPRsForWavesPerEU: 1
; NamedBarCnt: 0
; Occupancy: 16
; WaveLimiterHint : 0
; COMPUTE_PGM_RSRC2:SCRATCH_EN: 0
; COMPUTE_PGM_RSRC2:USER_SGPR: 2
; COMPUTE_PGM_RSRC2:TRAP_HANDLER: 0
; COMPUTE_PGM_RSRC2:TGID_X_EN: 1
; COMPUTE_PGM_RSRC2:TGID_Y_EN: 0
; COMPUTE_PGM_RSRC2:TGID_Z_EN: 0
; COMPUTE_PGM_RSRC2:TIDIG_COMP_CNT: 0
	.section	.text._ZN7rocprim17ROCPRIM_400000_NS6detail17trampoline_kernelINS0_14default_configENS1_36segmented_radix_sort_config_selectorIllEEZNS1_25segmented_radix_sort_implIS3_Lb0EPKlPlS8_S9_N2at6native12_GLOBAL__N_18offset_tEEE10hipError_tPvRmT1_PNSt15iterator_traitsISH_E10value_typeET2_T3_PNSI_ISN_E10value_typeET4_jRbjT5_ST_jjP12ihipStream_tbEUlT_E_NS1_11comp_targetILNS1_3genE3ELNS1_11target_archE908ELNS1_3gpuE7ELNS1_3repE0EEENS1_30default_config_static_selectorELNS0_4arch9wavefront6targetE0EEEvSH_,"axG",@progbits,_ZN7rocprim17ROCPRIM_400000_NS6detail17trampoline_kernelINS0_14default_configENS1_36segmented_radix_sort_config_selectorIllEEZNS1_25segmented_radix_sort_implIS3_Lb0EPKlPlS8_S9_N2at6native12_GLOBAL__N_18offset_tEEE10hipError_tPvRmT1_PNSt15iterator_traitsISH_E10value_typeET2_T3_PNSI_ISN_E10value_typeET4_jRbjT5_ST_jjP12ihipStream_tbEUlT_E_NS1_11comp_targetILNS1_3genE3ELNS1_11target_archE908ELNS1_3gpuE7ELNS1_3repE0EEENS1_30default_config_static_selectorELNS0_4arch9wavefront6targetE0EEEvSH_,comdat
	.globl	_ZN7rocprim17ROCPRIM_400000_NS6detail17trampoline_kernelINS0_14default_configENS1_36segmented_radix_sort_config_selectorIllEEZNS1_25segmented_radix_sort_implIS3_Lb0EPKlPlS8_S9_N2at6native12_GLOBAL__N_18offset_tEEE10hipError_tPvRmT1_PNSt15iterator_traitsISH_E10value_typeET2_T3_PNSI_ISN_E10value_typeET4_jRbjT5_ST_jjP12ihipStream_tbEUlT_E_NS1_11comp_targetILNS1_3genE3ELNS1_11target_archE908ELNS1_3gpuE7ELNS1_3repE0EEENS1_30default_config_static_selectorELNS0_4arch9wavefront6targetE0EEEvSH_ ; -- Begin function _ZN7rocprim17ROCPRIM_400000_NS6detail17trampoline_kernelINS0_14default_configENS1_36segmented_radix_sort_config_selectorIllEEZNS1_25segmented_radix_sort_implIS3_Lb0EPKlPlS8_S9_N2at6native12_GLOBAL__N_18offset_tEEE10hipError_tPvRmT1_PNSt15iterator_traitsISH_E10value_typeET2_T3_PNSI_ISN_E10value_typeET4_jRbjT5_ST_jjP12ihipStream_tbEUlT_E_NS1_11comp_targetILNS1_3genE3ELNS1_11target_archE908ELNS1_3gpuE7ELNS1_3repE0EEENS1_30default_config_static_selectorELNS0_4arch9wavefront6targetE0EEEvSH_
	.p2align	8
	.type	_ZN7rocprim17ROCPRIM_400000_NS6detail17trampoline_kernelINS0_14default_configENS1_36segmented_radix_sort_config_selectorIllEEZNS1_25segmented_radix_sort_implIS3_Lb0EPKlPlS8_S9_N2at6native12_GLOBAL__N_18offset_tEEE10hipError_tPvRmT1_PNSt15iterator_traitsISH_E10value_typeET2_T3_PNSI_ISN_E10value_typeET4_jRbjT5_ST_jjP12ihipStream_tbEUlT_E_NS1_11comp_targetILNS1_3genE3ELNS1_11target_archE908ELNS1_3gpuE7ELNS1_3repE0EEENS1_30default_config_static_selectorELNS0_4arch9wavefront6targetE0EEEvSH_,@function
_ZN7rocprim17ROCPRIM_400000_NS6detail17trampoline_kernelINS0_14default_configENS1_36segmented_radix_sort_config_selectorIllEEZNS1_25segmented_radix_sort_implIS3_Lb0EPKlPlS8_S9_N2at6native12_GLOBAL__N_18offset_tEEE10hipError_tPvRmT1_PNSt15iterator_traitsISH_E10value_typeET2_T3_PNSI_ISN_E10value_typeET4_jRbjT5_ST_jjP12ihipStream_tbEUlT_E_NS1_11comp_targetILNS1_3genE3ELNS1_11target_archE908ELNS1_3gpuE7ELNS1_3repE0EEENS1_30default_config_static_selectorELNS0_4arch9wavefront6targetE0EEEvSH_: ; @_ZN7rocprim17ROCPRIM_400000_NS6detail17trampoline_kernelINS0_14default_configENS1_36segmented_radix_sort_config_selectorIllEEZNS1_25segmented_radix_sort_implIS3_Lb0EPKlPlS8_S9_N2at6native12_GLOBAL__N_18offset_tEEE10hipError_tPvRmT1_PNSt15iterator_traitsISH_E10value_typeET2_T3_PNSI_ISN_E10value_typeET4_jRbjT5_ST_jjP12ihipStream_tbEUlT_E_NS1_11comp_targetILNS1_3genE3ELNS1_11target_archE908ELNS1_3gpuE7ELNS1_3repE0EEENS1_30default_config_static_selectorELNS0_4arch9wavefront6targetE0EEEvSH_
; %bb.0:
	.section	.rodata,"a",@progbits
	.p2align	6, 0x0
	.amdhsa_kernel _ZN7rocprim17ROCPRIM_400000_NS6detail17trampoline_kernelINS0_14default_configENS1_36segmented_radix_sort_config_selectorIllEEZNS1_25segmented_radix_sort_implIS3_Lb0EPKlPlS8_S9_N2at6native12_GLOBAL__N_18offset_tEEE10hipError_tPvRmT1_PNSt15iterator_traitsISH_E10value_typeET2_T3_PNSI_ISN_E10value_typeET4_jRbjT5_ST_jjP12ihipStream_tbEUlT_E_NS1_11comp_targetILNS1_3genE3ELNS1_11target_archE908ELNS1_3gpuE7ELNS1_3repE0EEENS1_30default_config_static_selectorELNS0_4arch9wavefront6targetE0EEEvSH_
		.amdhsa_group_segment_fixed_size 0
		.amdhsa_private_segment_fixed_size 0
		.amdhsa_kernarg_size 96
		.amdhsa_user_sgpr_count 2
		.amdhsa_user_sgpr_dispatch_ptr 0
		.amdhsa_user_sgpr_queue_ptr 0
		.amdhsa_user_sgpr_kernarg_segment_ptr 1
		.amdhsa_user_sgpr_dispatch_id 0
		.amdhsa_user_sgpr_kernarg_preload_length 0
		.amdhsa_user_sgpr_kernarg_preload_offset 0
		.amdhsa_user_sgpr_private_segment_size 0
		.amdhsa_wavefront_size32 1
		.amdhsa_uses_dynamic_stack 0
		.amdhsa_enable_private_segment 0
		.amdhsa_system_sgpr_workgroup_id_x 1
		.amdhsa_system_sgpr_workgroup_id_y 0
		.amdhsa_system_sgpr_workgroup_id_z 0
		.amdhsa_system_sgpr_workgroup_info 0
		.amdhsa_system_vgpr_workitem_id 0
		.amdhsa_next_free_vgpr 1
		.amdhsa_next_free_sgpr 1
		.amdhsa_named_barrier_count 0
		.amdhsa_reserve_vcc 0
		.amdhsa_float_round_mode_32 0
		.amdhsa_float_round_mode_16_64 0
		.amdhsa_float_denorm_mode_32 3
		.amdhsa_float_denorm_mode_16_64 3
		.amdhsa_fp16_overflow 0
		.amdhsa_memory_ordered 1
		.amdhsa_forward_progress 1
		.amdhsa_inst_pref_size 0
		.amdhsa_round_robin_scheduling 0
		.amdhsa_exception_fp_ieee_invalid_op 0
		.amdhsa_exception_fp_denorm_src 0
		.amdhsa_exception_fp_ieee_div_zero 0
		.amdhsa_exception_fp_ieee_overflow 0
		.amdhsa_exception_fp_ieee_underflow 0
		.amdhsa_exception_fp_ieee_inexact 0
		.amdhsa_exception_int_div_zero 0
	.end_amdhsa_kernel
	.section	.text._ZN7rocprim17ROCPRIM_400000_NS6detail17trampoline_kernelINS0_14default_configENS1_36segmented_radix_sort_config_selectorIllEEZNS1_25segmented_radix_sort_implIS3_Lb0EPKlPlS8_S9_N2at6native12_GLOBAL__N_18offset_tEEE10hipError_tPvRmT1_PNSt15iterator_traitsISH_E10value_typeET2_T3_PNSI_ISN_E10value_typeET4_jRbjT5_ST_jjP12ihipStream_tbEUlT_E_NS1_11comp_targetILNS1_3genE3ELNS1_11target_archE908ELNS1_3gpuE7ELNS1_3repE0EEENS1_30default_config_static_selectorELNS0_4arch9wavefront6targetE0EEEvSH_,"axG",@progbits,_ZN7rocprim17ROCPRIM_400000_NS6detail17trampoline_kernelINS0_14default_configENS1_36segmented_radix_sort_config_selectorIllEEZNS1_25segmented_radix_sort_implIS3_Lb0EPKlPlS8_S9_N2at6native12_GLOBAL__N_18offset_tEEE10hipError_tPvRmT1_PNSt15iterator_traitsISH_E10value_typeET2_T3_PNSI_ISN_E10value_typeET4_jRbjT5_ST_jjP12ihipStream_tbEUlT_E_NS1_11comp_targetILNS1_3genE3ELNS1_11target_archE908ELNS1_3gpuE7ELNS1_3repE0EEENS1_30default_config_static_selectorELNS0_4arch9wavefront6targetE0EEEvSH_,comdat
.Lfunc_end807:
	.size	_ZN7rocprim17ROCPRIM_400000_NS6detail17trampoline_kernelINS0_14default_configENS1_36segmented_radix_sort_config_selectorIllEEZNS1_25segmented_radix_sort_implIS3_Lb0EPKlPlS8_S9_N2at6native12_GLOBAL__N_18offset_tEEE10hipError_tPvRmT1_PNSt15iterator_traitsISH_E10value_typeET2_T3_PNSI_ISN_E10value_typeET4_jRbjT5_ST_jjP12ihipStream_tbEUlT_E_NS1_11comp_targetILNS1_3genE3ELNS1_11target_archE908ELNS1_3gpuE7ELNS1_3repE0EEENS1_30default_config_static_selectorELNS0_4arch9wavefront6targetE0EEEvSH_, .Lfunc_end807-_ZN7rocprim17ROCPRIM_400000_NS6detail17trampoline_kernelINS0_14default_configENS1_36segmented_radix_sort_config_selectorIllEEZNS1_25segmented_radix_sort_implIS3_Lb0EPKlPlS8_S9_N2at6native12_GLOBAL__N_18offset_tEEE10hipError_tPvRmT1_PNSt15iterator_traitsISH_E10value_typeET2_T3_PNSI_ISN_E10value_typeET4_jRbjT5_ST_jjP12ihipStream_tbEUlT_E_NS1_11comp_targetILNS1_3genE3ELNS1_11target_archE908ELNS1_3gpuE7ELNS1_3repE0EEENS1_30default_config_static_selectorELNS0_4arch9wavefront6targetE0EEEvSH_
                                        ; -- End function
	.set _ZN7rocprim17ROCPRIM_400000_NS6detail17trampoline_kernelINS0_14default_configENS1_36segmented_radix_sort_config_selectorIllEEZNS1_25segmented_radix_sort_implIS3_Lb0EPKlPlS8_S9_N2at6native12_GLOBAL__N_18offset_tEEE10hipError_tPvRmT1_PNSt15iterator_traitsISH_E10value_typeET2_T3_PNSI_ISN_E10value_typeET4_jRbjT5_ST_jjP12ihipStream_tbEUlT_E_NS1_11comp_targetILNS1_3genE3ELNS1_11target_archE908ELNS1_3gpuE7ELNS1_3repE0EEENS1_30default_config_static_selectorELNS0_4arch9wavefront6targetE0EEEvSH_.num_vgpr, 0
	.set _ZN7rocprim17ROCPRIM_400000_NS6detail17trampoline_kernelINS0_14default_configENS1_36segmented_radix_sort_config_selectorIllEEZNS1_25segmented_radix_sort_implIS3_Lb0EPKlPlS8_S9_N2at6native12_GLOBAL__N_18offset_tEEE10hipError_tPvRmT1_PNSt15iterator_traitsISH_E10value_typeET2_T3_PNSI_ISN_E10value_typeET4_jRbjT5_ST_jjP12ihipStream_tbEUlT_E_NS1_11comp_targetILNS1_3genE3ELNS1_11target_archE908ELNS1_3gpuE7ELNS1_3repE0EEENS1_30default_config_static_selectorELNS0_4arch9wavefront6targetE0EEEvSH_.num_agpr, 0
	.set _ZN7rocprim17ROCPRIM_400000_NS6detail17trampoline_kernelINS0_14default_configENS1_36segmented_radix_sort_config_selectorIllEEZNS1_25segmented_radix_sort_implIS3_Lb0EPKlPlS8_S9_N2at6native12_GLOBAL__N_18offset_tEEE10hipError_tPvRmT1_PNSt15iterator_traitsISH_E10value_typeET2_T3_PNSI_ISN_E10value_typeET4_jRbjT5_ST_jjP12ihipStream_tbEUlT_E_NS1_11comp_targetILNS1_3genE3ELNS1_11target_archE908ELNS1_3gpuE7ELNS1_3repE0EEENS1_30default_config_static_selectorELNS0_4arch9wavefront6targetE0EEEvSH_.numbered_sgpr, 0
	.set _ZN7rocprim17ROCPRIM_400000_NS6detail17trampoline_kernelINS0_14default_configENS1_36segmented_radix_sort_config_selectorIllEEZNS1_25segmented_radix_sort_implIS3_Lb0EPKlPlS8_S9_N2at6native12_GLOBAL__N_18offset_tEEE10hipError_tPvRmT1_PNSt15iterator_traitsISH_E10value_typeET2_T3_PNSI_ISN_E10value_typeET4_jRbjT5_ST_jjP12ihipStream_tbEUlT_E_NS1_11comp_targetILNS1_3genE3ELNS1_11target_archE908ELNS1_3gpuE7ELNS1_3repE0EEENS1_30default_config_static_selectorELNS0_4arch9wavefront6targetE0EEEvSH_.num_named_barrier, 0
	.set _ZN7rocprim17ROCPRIM_400000_NS6detail17trampoline_kernelINS0_14default_configENS1_36segmented_radix_sort_config_selectorIllEEZNS1_25segmented_radix_sort_implIS3_Lb0EPKlPlS8_S9_N2at6native12_GLOBAL__N_18offset_tEEE10hipError_tPvRmT1_PNSt15iterator_traitsISH_E10value_typeET2_T3_PNSI_ISN_E10value_typeET4_jRbjT5_ST_jjP12ihipStream_tbEUlT_E_NS1_11comp_targetILNS1_3genE3ELNS1_11target_archE908ELNS1_3gpuE7ELNS1_3repE0EEENS1_30default_config_static_selectorELNS0_4arch9wavefront6targetE0EEEvSH_.private_seg_size, 0
	.set _ZN7rocprim17ROCPRIM_400000_NS6detail17trampoline_kernelINS0_14default_configENS1_36segmented_radix_sort_config_selectorIllEEZNS1_25segmented_radix_sort_implIS3_Lb0EPKlPlS8_S9_N2at6native12_GLOBAL__N_18offset_tEEE10hipError_tPvRmT1_PNSt15iterator_traitsISH_E10value_typeET2_T3_PNSI_ISN_E10value_typeET4_jRbjT5_ST_jjP12ihipStream_tbEUlT_E_NS1_11comp_targetILNS1_3genE3ELNS1_11target_archE908ELNS1_3gpuE7ELNS1_3repE0EEENS1_30default_config_static_selectorELNS0_4arch9wavefront6targetE0EEEvSH_.uses_vcc, 0
	.set _ZN7rocprim17ROCPRIM_400000_NS6detail17trampoline_kernelINS0_14default_configENS1_36segmented_radix_sort_config_selectorIllEEZNS1_25segmented_radix_sort_implIS3_Lb0EPKlPlS8_S9_N2at6native12_GLOBAL__N_18offset_tEEE10hipError_tPvRmT1_PNSt15iterator_traitsISH_E10value_typeET2_T3_PNSI_ISN_E10value_typeET4_jRbjT5_ST_jjP12ihipStream_tbEUlT_E_NS1_11comp_targetILNS1_3genE3ELNS1_11target_archE908ELNS1_3gpuE7ELNS1_3repE0EEENS1_30default_config_static_selectorELNS0_4arch9wavefront6targetE0EEEvSH_.uses_flat_scratch, 0
	.set _ZN7rocprim17ROCPRIM_400000_NS6detail17trampoline_kernelINS0_14default_configENS1_36segmented_radix_sort_config_selectorIllEEZNS1_25segmented_radix_sort_implIS3_Lb0EPKlPlS8_S9_N2at6native12_GLOBAL__N_18offset_tEEE10hipError_tPvRmT1_PNSt15iterator_traitsISH_E10value_typeET2_T3_PNSI_ISN_E10value_typeET4_jRbjT5_ST_jjP12ihipStream_tbEUlT_E_NS1_11comp_targetILNS1_3genE3ELNS1_11target_archE908ELNS1_3gpuE7ELNS1_3repE0EEENS1_30default_config_static_selectorELNS0_4arch9wavefront6targetE0EEEvSH_.has_dyn_sized_stack, 0
	.set _ZN7rocprim17ROCPRIM_400000_NS6detail17trampoline_kernelINS0_14default_configENS1_36segmented_radix_sort_config_selectorIllEEZNS1_25segmented_radix_sort_implIS3_Lb0EPKlPlS8_S9_N2at6native12_GLOBAL__N_18offset_tEEE10hipError_tPvRmT1_PNSt15iterator_traitsISH_E10value_typeET2_T3_PNSI_ISN_E10value_typeET4_jRbjT5_ST_jjP12ihipStream_tbEUlT_E_NS1_11comp_targetILNS1_3genE3ELNS1_11target_archE908ELNS1_3gpuE7ELNS1_3repE0EEENS1_30default_config_static_selectorELNS0_4arch9wavefront6targetE0EEEvSH_.has_recursion, 0
	.set _ZN7rocprim17ROCPRIM_400000_NS6detail17trampoline_kernelINS0_14default_configENS1_36segmented_radix_sort_config_selectorIllEEZNS1_25segmented_radix_sort_implIS3_Lb0EPKlPlS8_S9_N2at6native12_GLOBAL__N_18offset_tEEE10hipError_tPvRmT1_PNSt15iterator_traitsISH_E10value_typeET2_T3_PNSI_ISN_E10value_typeET4_jRbjT5_ST_jjP12ihipStream_tbEUlT_E_NS1_11comp_targetILNS1_3genE3ELNS1_11target_archE908ELNS1_3gpuE7ELNS1_3repE0EEENS1_30default_config_static_selectorELNS0_4arch9wavefront6targetE0EEEvSH_.has_indirect_call, 0
	.section	.AMDGPU.csdata,"",@progbits
; Kernel info:
; codeLenInByte = 0
; TotalNumSgprs: 0
; NumVgprs: 0
; ScratchSize: 0
; MemoryBound: 0
; FloatMode: 240
; IeeeMode: 1
; LDSByteSize: 0 bytes/workgroup (compile time only)
; SGPRBlocks: 0
; VGPRBlocks: 0
; NumSGPRsForWavesPerEU: 1
; NumVGPRsForWavesPerEU: 1
; NamedBarCnt: 0
; Occupancy: 16
; WaveLimiterHint : 0
; COMPUTE_PGM_RSRC2:SCRATCH_EN: 0
; COMPUTE_PGM_RSRC2:USER_SGPR: 2
; COMPUTE_PGM_RSRC2:TRAP_HANDLER: 0
; COMPUTE_PGM_RSRC2:TGID_X_EN: 1
; COMPUTE_PGM_RSRC2:TGID_Y_EN: 0
; COMPUTE_PGM_RSRC2:TGID_Z_EN: 0
; COMPUTE_PGM_RSRC2:TIDIG_COMP_CNT: 0
	.section	.text._ZN7rocprim17ROCPRIM_400000_NS6detail17trampoline_kernelINS0_14default_configENS1_36segmented_radix_sort_config_selectorIllEEZNS1_25segmented_radix_sort_implIS3_Lb0EPKlPlS8_S9_N2at6native12_GLOBAL__N_18offset_tEEE10hipError_tPvRmT1_PNSt15iterator_traitsISH_E10value_typeET2_T3_PNSI_ISN_E10value_typeET4_jRbjT5_ST_jjP12ihipStream_tbEUlT_E_NS1_11comp_targetILNS1_3genE2ELNS1_11target_archE906ELNS1_3gpuE6ELNS1_3repE0EEENS1_30default_config_static_selectorELNS0_4arch9wavefront6targetE0EEEvSH_,"axG",@progbits,_ZN7rocprim17ROCPRIM_400000_NS6detail17trampoline_kernelINS0_14default_configENS1_36segmented_radix_sort_config_selectorIllEEZNS1_25segmented_radix_sort_implIS3_Lb0EPKlPlS8_S9_N2at6native12_GLOBAL__N_18offset_tEEE10hipError_tPvRmT1_PNSt15iterator_traitsISH_E10value_typeET2_T3_PNSI_ISN_E10value_typeET4_jRbjT5_ST_jjP12ihipStream_tbEUlT_E_NS1_11comp_targetILNS1_3genE2ELNS1_11target_archE906ELNS1_3gpuE6ELNS1_3repE0EEENS1_30default_config_static_selectorELNS0_4arch9wavefront6targetE0EEEvSH_,comdat
	.globl	_ZN7rocprim17ROCPRIM_400000_NS6detail17trampoline_kernelINS0_14default_configENS1_36segmented_radix_sort_config_selectorIllEEZNS1_25segmented_radix_sort_implIS3_Lb0EPKlPlS8_S9_N2at6native12_GLOBAL__N_18offset_tEEE10hipError_tPvRmT1_PNSt15iterator_traitsISH_E10value_typeET2_T3_PNSI_ISN_E10value_typeET4_jRbjT5_ST_jjP12ihipStream_tbEUlT_E_NS1_11comp_targetILNS1_3genE2ELNS1_11target_archE906ELNS1_3gpuE6ELNS1_3repE0EEENS1_30default_config_static_selectorELNS0_4arch9wavefront6targetE0EEEvSH_ ; -- Begin function _ZN7rocprim17ROCPRIM_400000_NS6detail17trampoline_kernelINS0_14default_configENS1_36segmented_radix_sort_config_selectorIllEEZNS1_25segmented_radix_sort_implIS3_Lb0EPKlPlS8_S9_N2at6native12_GLOBAL__N_18offset_tEEE10hipError_tPvRmT1_PNSt15iterator_traitsISH_E10value_typeET2_T3_PNSI_ISN_E10value_typeET4_jRbjT5_ST_jjP12ihipStream_tbEUlT_E_NS1_11comp_targetILNS1_3genE2ELNS1_11target_archE906ELNS1_3gpuE6ELNS1_3repE0EEENS1_30default_config_static_selectorELNS0_4arch9wavefront6targetE0EEEvSH_
	.p2align	8
	.type	_ZN7rocprim17ROCPRIM_400000_NS6detail17trampoline_kernelINS0_14default_configENS1_36segmented_radix_sort_config_selectorIllEEZNS1_25segmented_radix_sort_implIS3_Lb0EPKlPlS8_S9_N2at6native12_GLOBAL__N_18offset_tEEE10hipError_tPvRmT1_PNSt15iterator_traitsISH_E10value_typeET2_T3_PNSI_ISN_E10value_typeET4_jRbjT5_ST_jjP12ihipStream_tbEUlT_E_NS1_11comp_targetILNS1_3genE2ELNS1_11target_archE906ELNS1_3gpuE6ELNS1_3repE0EEENS1_30default_config_static_selectorELNS0_4arch9wavefront6targetE0EEEvSH_,@function
_ZN7rocprim17ROCPRIM_400000_NS6detail17trampoline_kernelINS0_14default_configENS1_36segmented_radix_sort_config_selectorIllEEZNS1_25segmented_radix_sort_implIS3_Lb0EPKlPlS8_S9_N2at6native12_GLOBAL__N_18offset_tEEE10hipError_tPvRmT1_PNSt15iterator_traitsISH_E10value_typeET2_T3_PNSI_ISN_E10value_typeET4_jRbjT5_ST_jjP12ihipStream_tbEUlT_E_NS1_11comp_targetILNS1_3genE2ELNS1_11target_archE906ELNS1_3gpuE6ELNS1_3repE0EEENS1_30default_config_static_selectorELNS0_4arch9wavefront6targetE0EEEvSH_: ; @_ZN7rocprim17ROCPRIM_400000_NS6detail17trampoline_kernelINS0_14default_configENS1_36segmented_radix_sort_config_selectorIllEEZNS1_25segmented_radix_sort_implIS3_Lb0EPKlPlS8_S9_N2at6native12_GLOBAL__N_18offset_tEEE10hipError_tPvRmT1_PNSt15iterator_traitsISH_E10value_typeET2_T3_PNSI_ISN_E10value_typeET4_jRbjT5_ST_jjP12ihipStream_tbEUlT_E_NS1_11comp_targetILNS1_3genE2ELNS1_11target_archE906ELNS1_3gpuE6ELNS1_3repE0EEENS1_30default_config_static_selectorELNS0_4arch9wavefront6targetE0EEEvSH_
; %bb.0:
	.section	.rodata,"a",@progbits
	.p2align	6, 0x0
	.amdhsa_kernel _ZN7rocprim17ROCPRIM_400000_NS6detail17trampoline_kernelINS0_14default_configENS1_36segmented_radix_sort_config_selectorIllEEZNS1_25segmented_radix_sort_implIS3_Lb0EPKlPlS8_S9_N2at6native12_GLOBAL__N_18offset_tEEE10hipError_tPvRmT1_PNSt15iterator_traitsISH_E10value_typeET2_T3_PNSI_ISN_E10value_typeET4_jRbjT5_ST_jjP12ihipStream_tbEUlT_E_NS1_11comp_targetILNS1_3genE2ELNS1_11target_archE906ELNS1_3gpuE6ELNS1_3repE0EEENS1_30default_config_static_selectorELNS0_4arch9wavefront6targetE0EEEvSH_
		.amdhsa_group_segment_fixed_size 0
		.amdhsa_private_segment_fixed_size 0
		.amdhsa_kernarg_size 96
		.amdhsa_user_sgpr_count 2
		.amdhsa_user_sgpr_dispatch_ptr 0
		.amdhsa_user_sgpr_queue_ptr 0
		.amdhsa_user_sgpr_kernarg_segment_ptr 1
		.amdhsa_user_sgpr_dispatch_id 0
		.amdhsa_user_sgpr_kernarg_preload_length 0
		.amdhsa_user_sgpr_kernarg_preload_offset 0
		.amdhsa_user_sgpr_private_segment_size 0
		.amdhsa_wavefront_size32 1
		.amdhsa_uses_dynamic_stack 0
		.amdhsa_enable_private_segment 0
		.amdhsa_system_sgpr_workgroup_id_x 1
		.amdhsa_system_sgpr_workgroup_id_y 0
		.amdhsa_system_sgpr_workgroup_id_z 0
		.amdhsa_system_sgpr_workgroup_info 0
		.amdhsa_system_vgpr_workitem_id 0
		.amdhsa_next_free_vgpr 1
		.amdhsa_next_free_sgpr 1
		.amdhsa_named_barrier_count 0
		.amdhsa_reserve_vcc 0
		.amdhsa_float_round_mode_32 0
		.amdhsa_float_round_mode_16_64 0
		.amdhsa_float_denorm_mode_32 3
		.amdhsa_float_denorm_mode_16_64 3
		.amdhsa_fp16_overflow 0
		.amdhsa_memory_ordered 1
		.amdhsa_forward_progress 1
		.amdhsa_inst_pref_size 0
		.amdhsa_round_robin_scheduling 0
		.amdhsa_exception_fp_ieee_invalid_op 0
		.amdhsa_exception_fp_denorm_src 0
		.amdhsa_exception_fp_ieee_div_zero 0
		.amdhsa_exception_fp_ieee_overflow 0
		.amdhsa_exception_fp_ieee_underflow 0
		.amdhsa_exception_fp_ieee_inexact 0
		.amdhsa_exception_int_div_zero 0
	.end_amdhsa_kernel
	.section	.text._ZN7rocprim17ROCPRIM_400000_NS6detail17trampoline_kernelINS0_14default_configENS1_36segmented_radix_sort_config_selectorIllEEZNS1_25segmented_radix_sort_implIS3_Lb0EPKlPlS8_S9_N2at6native12_GLOBAL__N_18offset_tEEE10hipError_tPvRmT1_PNSt15iterator_traitsISH_E10value_typeET2_T3_PNSI_ISN_E10value_typeET4_jRbjT5_ST_jjP12ihipStream_tbEUlT_E_NS1_11comp_targetILNS1_3genE2ELNS1_11target_archE906ELNS1_3gpuE6ELNS1_3repE0EEENS1_30default_config_static_selectorELNS0_4arch9wavefront6targetE0EEEvSH_,"axG",@progbits,_ZN7rocprim17ROCPRIM_400000_NS6detail17trampoline_kernelINS0_14default_configENS1_36segmented_radix_sort_config_selectorIllEEZNS1_25segmented_radix_sort_implIS3_Lb0EPKlPlS8_S9_N2at6native12_GLOBAL__N_18offset_tEEE10hipError_tPvRmT1_PNSt15iterator_traitsISH_E10value_typeET2_T3_PNSI_ISN_E10value_typeET4_jRbjT5_ST_jjP12ihipStream_tbEUlT_E_NS1_11comp_targetILNS1_3genE2ELNS1_11target_archE906ELNS1_3gpuE6ELNS1_3repE0EEENS1_30default_config_static_selectorELNS0_4arch9wavefront6targetE0EEEvSH_,comdat
.Lfunc_end808:
	.size	_ZN7rocprim17ROCPRIM_400000_NS6detail17trampoline_kernelINS0_14default_configENS1_36segmented_radix_sort_config_selectorIllEEZNS1_25segmented_radix_sort_implIS3_Lb0EPKlPlS8_S9_N2at6native12_GLOBAL__N_18offset_tEEE10hipError_tPvRmT1_PNSt15iterator_traitsISH_E10value_typeET2_T3_PNSI_ISN_E10value_typeET4_jRbjT5_ST_jjP12ihipStream_tbEUlT_E_NS1_11comp_targetILNS1_3genE2ELNS1_11target_archE906ELNS1_3gpuE6ELNS1_3repE0EEENS1_30default_config_static_selectorELNS0_4arch9wavefront6targetE0EEEvSH_, .Lfunc_end808-_ZN7rocprim17ROCPRIM_400000_NS6detail17trampoline_kernelINS0_14default_configENS1_36segmented_radix_sort_config_selectorIllEEZNS1_25segmented_radix_sort_implIS3_Lb0EPKlPlS8_S9_N2at6native12_GLOBAL__N_18offset_tEEE10hipError_tPvRmT1_PNSt15iterator_traitsISH_E10value_typeET2_T3_PNSI_ISN_E10value_typeET4_jRbjT5_ST_jjP12ihipStream_tbEUlT_E_NS1_11comp_targetILNS1_3genE2ELNS1_11target_archE906ELNS1_3gpuE6ELNS1_3repE0EEENS1_30default_config_static_selectorELNS0_4arch9wavefront6targetE0EEEvSH_
                                        ; -- End function
	.set _ZN7rocprim17ROCPRIM_400000_NS6detail17trampoline_kernelINS0_14default_configENS1_36segmented_radix_sort_config_selectorIllEEZNS1_25segmented_radix_sort_implIS3_Lb0EPKlPlS8_S9_N2at6native12_GLOBAL__N_18offset_tEEE10hipError_tPvRmT1_PNSt15iterator_traitsISH_E10value_typeET2_T3_PNSI_ISN_E10value_typeET4_jRbjT5_ST_jjP12ihipStream_tbEUlT_E_NS1_11comp_targetILNS1_3genE2ELNS1_11target_archE906ELNS1_3gpuE6ELNS1_3repE0EEENS1_30default_config_static_selectorELNS0_4arch9wavefront6targetE0EEEvSH_.num_vgpr, 0
	.set _ZN7rocprim17ROCPRIM_400000_NS6detail17trampoline_kernelINS0_14default_configENS1_36segmented_radix_sort_config_selectorIllEEZNS1_25segmented_radix_sort_implIS3_Lb0EPKlPlS8_S9_N2at6native12_GLOBAL__N_18offset_tEEE10hipError_tPvRmT1_PNSt15iterator_traitsISH_E10value_typeET2_T3_PNSI_ISN_E10value_typeET4_jRbjT5_ST_jjP12ihipStream_tbEUlT_E_NS1_11comp_targetILNS1_3genE2ELNS1_11target_archE906ELNS1_3gpuE6ELNS1_3repE0EEENS1_30default_config_static_selectorELNS0_4arch9wavefront6targetE0EEEvSH_.num_agpr, 0
	.set _ZN7rocprim17ROCPRIM_400000_NS6detail17trampoline_kernelINS0_14default_configENS1_36segmented_radix_sort_config_selectorIllEEZNS1_25segmented_radix_sort_implIS3_Lb0EPKlPlS8_S9_N2at6native12_GLOBAL__N_18offset_tEEE10hipError_tPvRmT1_PNSt15iterator_traitsISH_E10value_typeET2_T3_PNSI_ISN_E10value_typeET4_jRbjT5_ST_jjP12ihipStream_tbEUlT_E_NS1_11comp_targetILNS1_3genE2ELNS1_11target_archE906ELNS1_3gpuE6ELNS1_3repE0EEENS1_30default_config_static_selectorELNS0_4arch9wavefront6targetE0EEEvSH_.numbered_sgpr, 0
	.set _ZN7rocprim17ROCPRIM_400000_NS6detail17trampoline_kernelINS0_14default_configENS1_36segmented_radix_sort_config_selectorIllEEZNS1_25segmented_radix_sort_implIS3_Lb0EPKlPlS8_S9_N2at6native12_GLOBAL__N_18offset_tEEE10hipError_tPvRmT1_PNSt15iterator_traitsISH_E10value_typeET2_T3_PNSI_ISN_E10value_typeET4_jRbjT5_ST_jjP12ihipStream_tbEUlT_E_NS1_11comp_targetILNS1_3genE2ELNS1_11target_archE906ELNS1_3gpuE6ELNS1_3repE0EEENS1_30default_config_static_selectorELNS0_4arch9wavefront6targetE0EEEvSH_.num_named_barrier, 0
	.set _ZN7rocprim17ROCPRIM_400000_NS6detail17trampoline_kernelINS0_14default_configENS1_36segmented_radix_sort_config_selectorIllEEZNS1_25segmented_radix_sort_implIS3_Lb0EPKlPlS8_S9_N2at6native12_GLOBAL__N_18offset_tEEE10hipError_tPvRmT1_PNSt15iterator_traitsISH_E10value_typeET2_T3_PNSI_ISN_E10value_typeET4_jRbjT5_ST_jjP12ihipStream_tbEUlT_E_NS1_11comp_targetILNS1_3genE2ELNS1_11target_archE906ELNS1_3gpuE6ELNS1_3repE0EEENS1_30default_config_static_selectorELNS0_4arch9wavefront6targetE0EEEvSH_.private_seg_size, 0
	.set _ZN7rocprim17ROCPRIM_400000_NS6detail17trampoline_kernelINS0_14default_configENS1_36segmented_radix_sort_config_selectorIllEEZNS1_25segmented_radix_sort_implIS3_Lb0EPKlPlS8_S9_N2at6native12_GLOBAL__N_18offset_tEEE10hipError_tPvRmT1_PNSt15iterator_traitsISH_E10value_typeET2_T3_PNSI_ISN_E10value_typeET4_jRbjT5_ST_jjP12ihipStream_tbEUlT_E_NS1_11comp_targetILNS1_3genE2ELNS1_11target_archE906ELNS1_3gpuE6ELNS1_3repE0EEENS1_30default_config_static_selectorELNS0_4arch9wavefront6targetE0EEEvSH_.uses_vcc, 0
	.set _ZN7rocprim17ROCPRIM_400000_NS6detail17trampoline_kernelINS0_14default_configENS1_36segmented_radix_sort_config_selectorIllEEZNS1_25segmented_radix_sort_implIS3_Lb0EPKlPlS8_S9_N2at6native12_GLOBAL__N_18offset_tEEE10hipError_tPvRmT1_PNSt15iterator_traitsISH_E10value_typeET2_T3_PNSI_ISN_E10value_typeET4_jRbjT5_ST_jjP12ihipStream_tbEUlT_E_NS1_11comp_targetILNS1_3genE2ELNS1_11target_archE906ELNS1_3gpuE6ELNS1_3repE0EEENS1_30default_config_static_selectorELNS0_4arch9wavefront6targetE0EEEvSH_.uses_flat_scratch, 0
	.set _ZN7rocprim17ROCPRIM_400000_NS6detail17trampoline_kernelINS0_14default_configENS1_36segmented_radix_sort_config_selectorIllEEZNS1_25segmented_radix_sort_implIS3_Lb0EPKlPlS8_S9_N2at6native12_GLOBAL__N_18offset_tEEE10hipError_tPvRmT1_PNSt15iterator_traitsISH_E10value_typeET2_T3_PNSI_ISN_E10value_typeET4_jRbjT5_ST_jjP12ihipStream_tbEUlT_E_NS1_11comp_targetILNS1_3genE2ELNS1_11target_archE906ELNS1_3gpuE6ELNS1_3repE0EEENS1_30default_config_static_selectorELNS0_4arch9wavefront6targetE0EEEvSH_.has_dyn_sized_stack, 0
	.set _ZN7rocprim17ROCPRIM_400000_NS6detail17trampoline_kernelINS0_14default_configENS1_36segmented_radix_sort_config_selectorIllEEZNS1_25segmented_radix_sort_implIS3_Lb0EPKlPlS8_S9_N2at6native12_GLOBAL__N_18offset_tEEE10hipError_tPvRmT1_PNSt15iterator_traitsISH_E10value_typeET2_T3_PNSI_ISN_E10value_typeET4_jRbjT5_ST_jjP12ihipStream_tbEUlT_E_NS1_11comp_targetILNS1_3genE2ELNS1_11target_archE906ELNS1_3gpuE6ELNS1_3repE0EEENS1_30default_config_static_selectorELNS0_4arch9wavefront6targetE0EEEvSH_.has_recursion, 0
	.set _ZN7rocprim17ROCPRIM_400000_NS6detail17trampoline_kernelINS0_14default_configENS1_36segmented_radix_sort_config_selectorIllEEZNS1_25segmented_radix_sort_implIS3_Lb0EPKlPlS8_S9_N2at6native12_GLOBAL__N_18offset_tEEE10hipError_tPvRmT1_PNSt15iterator_traitsISH_E10value_typeET2_T3_PNSI_ISN_E10value_typeET4_jRbjT5_ST_jjP12ihipStream_tbEUlT_E_NS1_11comp_targetILNS1_3genE2ELNS1_11target_archE906ELNS1_3gpuE6ELNS1_3repE0EEENS1_30default_config_static_selectorELNS0_4arch9wavefront6targetE0EEEvSH_.has_indirect_call, 0
	.section	.AMDGPU.csdata,"",@progbits
; Kernel info:
; codeLenInByte = 0
; TotalNumSgprs: 0
; NumVgprs: 0
; ScratchSize: 0
; MemoryBound: 0
; FloatMode: 240
; IeeeMode: 1
; LDSByteSize: 0 bytes/workgroup (compile time only)
; SGPRBlocks: 0
; VGPRBlocks: 0
; NumSGPRsForWavesPerEU: 1
; NumVGPRsForWavesPerEU: 1
; NamedBarCnt: 0
; Occupancy: 16
; WaveLimiterHint : 0
; COMPUTE_PGM_RSRC2:SCRATCH_EN: 0
; COMPUTE_PGM_RSRC2:USER_SGPR: 2
; COMPUTE_PGM_RSRC2:TRAP_HANDLER: 0
; COMPUTE_PGM_RSRC2:TGID_X_EN: 1
; COMPUTE_PGM_RSRC2:TGID_Y_EN: 0
; COMPUTE_PGM_RSRC2:TGID_Z_EN: 0
; COMPUTE_PGM_RSRC2:TIDIG_COMP_CNT: 0
	.section	.text._ZN7rocprim17ROCPRIM_400000_NS6detail17trampoline_kernelINS0_14default_configENS1_36segmented_radix_sort_config_selectorIllEEZNS1_25segmented_radix_sort_implIS3_Lb0EPKlPlS8_S9_N2at6native12_GLOBAL__N_18offset_tEEE10hipError_tPvRmT1_PNSt15iterator_traitsISH_E10value_typeET2_T3_PNSI_ISN_E10value_typeET4_jRbjT5_ST_jjP12ihipStream_tbEUlT_E_NS1_11comp_targetILNS1_3genE10ELNS1_11target_archE1201ELNS1_3gpuE5ELNS1_3repE0EEENS1_30default_config_static_selectorELNS0_4arch9wavefront6targetE0EEEvSH_,"axG",@progbits,_ZN7rocprim17ROCPRIM_400000_NS6detail17trampoline_kernelINS0_14default_configENS1_36segmented_radix_sort_config_selectorIllEEZNS1_25segmented_radix_sort_implIS3_Lb0EPKlPlS8_S9_N2at6native12_GLOBAL__N_18offset_tEEE10hipError_tPvRmT1_PNSt15iterator_traitsISH_E10value_typeET2_T3_PNSI_ISN_E10value_typeET4_jRbjT5_ST_jjP12ihipStream_tbEUlT_E_NS1_11comp_targetILNS1_3genE10ELNS1_11target_archE1201ELNS1_3gpuE5ELNS1_3repE0EEENS1_30default_config_static_selectorELNS0_4arch9wavefront6targetE0EEEvSH_,comdat
	.globl	_ZN7rocprim17ROCPRIM_400000_NS6detail17trampoline_kernelINS0_14default_configENS1_36segmented_radix_sort_config_selectorIllEEZNS1_25segmented_radix_sort_implIS3_Lb0EPKlPlS8_S9_N2at6native12_GLOBAL__N_18offset_tEEE10hipError_tPvRmT1_PNSt15iterator_traitsISH_E10value_typeET2_T3_PNSI_ISN_E10value_typeET4_jRbjT5_ST_jjP12ihipStream_tbEUlT_E_NS1_11comp_targetILNS1_3genE10ELNS1_11target_archE1201ELNS1_3gpuE5ELNS1_3repE0EEENS1_30default_config_static_selectorELNS0_4arch9wavefront6targetE0EEEvSH_ ; -- Begin function _ZN7rocprim17ROCPRIM_400000_NS6detail17trampoline_kernelINS0_14default_configENS1_36segmented_radix_sort_config_selectorIllEEZNS1_25segmented_radix_sort_implIS3_Lb0EPKlPlS8_S9_N2at6native12_GLOBAL__N_18offset_tEEE10hipError_tPvRmT1_PNSt15iterator_traitsISH_E10value_typeET2_T3_PNSI_ISN_E10value_typeET4_jRbjT5_ST_jjP12ihipStream_tbEUlT_E_NS1_11comp_targetILNS1_3genE10ELNS1_11target_archE1201ELNS1_3gpuE5ELNS1_3repE0EEENS1_30default_config_static_selectorELNS0_4arch9wavefront6targetE0EEEvSH_
	.p2align	8
	.type	_ZN7rocprim17ROCPRIM_400000_NS6detail17trampoline_kernelINS0_14default_configENS1_36segmented_radix_sort_config_selectorIllEEZNS1_25segmented_radix_sort_implIS3_Lb0EPKlPlS8_S9_N2at6native12_GLOBAL__N_18offset_tEEE10hipError_tPvRmT1_PNSt15iterator_traitsISH_E10value_typeET2_T3_PNSI_ISN_E10value_typeET4_jRbjT5_ST_jjP12ihipStream_tbEUlT_E_NS1_11comp_targetILNS1_3genE10ELNS1_11target_archE1201ELNS1_3gpuE5ELNS1_3repE0EEENS1_30default_config_static_selectorELNS0_4arch9wavefront6targetE0EEEvSH_,@function
_ZN7rocprim17ROCPRIM_400000_NS6detail17trampoline_kernelINS0_14default_configENS1_36segmented_radix_sort_config_selectorIllEEZNS1_25segmented_radix_sort_implIS3_Lb0EPKlPlS8_S9_N2at6native12_GLOBAL__N_18offset_tEEE10hipError_tPvRmT1_PNSt15iterator_traitsISH_E10value_typeET2_T3_PNSI_ISN_E10value_typeET4_jRbjT5_ST_jjP12ihipStream_tbEUlT_E_NS1_11comp_targetILNS1_3genE10ELNS1_11target_archE1201ELNS1_3gpuE5ELNS1_3repE0EEENS1_30default_config_static_selectorELNS0_4arch9wavefront6targetE0EEEvSH_: ; @_ZN7rocprim17ROCPRIM_400000_NS6detail17trampoline_kernelINS0_14default_configENS1_36segmented_radix_sort_config_selectorIllEEZNS1_25segmented_radix_sort_implIS3_Lb0EPKlPlS8_S9_N2at6native12_GLOBAL__N_18offset_tEEE10hipError_tPvRmT1_PNSt15iterator_traitsISH_E10value_typeET2_T3_PNSI_ISN_E10value_typeET4_jRbjT5_ST_jjP12ihipStream_tbEUlT_E_NS1_11comp_targetILNS1_3genE10ELNS1_11target_archE1201ELNS1_3gpuE5ELNS1_3repE0EEENS1_30default_config_static_selectorELNS0_4arch9wavefront6targetE0EEEvSH_
; %bb.0:
	.section	.rodata,"a",@progbits
	.p2align	6, 0x0
	.amdhsa_kernel _ZN7rocprim17ROCPRIM_400000_NS6detail17trampoline_kernelINS0_14default_configENS1_36segmented_radix_sort_config_selectorIllEEZNS1_25segmented_radix_sort_implIS3_Lb0EPKlPlS8_S9_N2at6native12_GLOBAL__N_18offset_tEEE10hipError_tPvRmT1_PNSt15iterator_traitsISH_E10value_typeET2_T3_PNSI_ISN_E10value_typeET4_jRbjT5_ST_jjP12ihipStream_tbEUlT_E_NS1_11comp_targetILNS1_3genE10ELNS1_11target_archE1201ELNS1_3gpuE5ELNS1_3repE0EEENS1_30default_config_static_selectorELNS0_4arch9wavefront6targetE0EEEvSH_
		.amdhsa_group_segment_fixed_size 0
		.amdhsa_private_segment_fixed_size 0
		.amdhsa_kernarg_size 96
		.amdhsa_user_sgpr_count 2
		.amdhsa_user_sgpr_dispatch_ptr 0
		.amdhsa_user_sgpr_queue_ptr 0
		.amdhsa_user_sgpr_kernarg_segment_ptr 1
		.amdhsa_user_sgpr_dispatch_id 0
		.amdhsa_user_sgpr_kernarg_preload_length 0
		.amdhsa_user_sgpr_kernarg_preload_offset 0
		.amdhsa_user_sgpr_private_segment_size 0
		.amdhsa_wavefront_size32 1
		.amdhsa_uses_dynamic_stack 0
		.amdhsa_enable_private_segment 0
		.amdhsa_system_sgpr_workgroup_id_x 1
		.amdhsa_system_sgpr_workgroup_id_y 0
		.amdhsa_system_sgpr_workgroup_id_z 0
		.amdhsa_system_sgpr_workgroup_info 0
		.amdhsa_system_vgpr_workitem_id 0
		.amdhsa_next_free_vgpr 1
		.amdhsa_next_free_sgpr 1
		.amdhsa_named_barrier_count 0
		.amdhsa_reserve_vcc 0
		.amdhsa_float_round_mode_32 0
		.amdhsa_float_round_mode_16_64 0
		.amdhsa_float_denorm_mode_32 3
		.amdhsa_float_denorm_mode_16_64 3
		.amdhsa_fp16_overflow 0
		.amdhsa_memory_ordered 1
		.amdhsa_forward_progress 1
		.amdhsa_inst_pref_size 0
		.amdhsa_round_robin_scheduling 0
		.amdhsa_exception_fp_ieee_invalid_op 0
		.amdhsa_exception_fp_denorm_src 0
		.amdhsa_exception_fp_ieee_div_zero 0
		.amdhsa_exception_fp_ieee_overflow 0
		.amdhsa_exception_fp_ieee_underflow 0
		.amdhsa_exception_fp_ieee_inexact 0
		.amdhsa_exception_int_div_zero 0
	.end_amdhsa_kernel
	.section	.text._ZN7rocprim17ROCPRIM_400000_NS6detail17trampoline_kernelINS0_14default_configENS1_36segmented_radix_sort_config_selectorIllEEZNS1_25segmented_radix_sort_implIS3_Lb0EPKlPlS8_S9_N2at6native12_GLOBAL__N_18offset_tEEE10hipError_tPvRmT1_PNSt15iterator_traitsISH_E10value_typeET2_T3_PNSI_ISN_E10value_typeET4_jRbjT5_ST_jjP12ihipStream_tbEUlT_E_NS1_11comp_targetILNS1_3genE10ELNS1_11target_archE1201ELNS1_3gpuE5ELNS1_3repE0EEENS1_30default_config_static_selectorELNS0_4arch9wavefront6targetE0EEEvSH_,"axG",@progbits,_ZN7rocprim17ROCPRIM_400000_NS6detail17trampoline_kernelINS0_14default_configENS1_36segmented_radix_sort_config_selectorIllEEZNS1_25segmented_radix_sort_implIS3_Lb0EPKlPlS8_S9_N2at6native12_GLOBAL__N_18offset_tEEE10hipError_tPvRmT1_PNSt15iterator_traitsISH_E10value_typeET2_T3_PNSI_ISN_E10value_typeET4_jRbjT5_ST_jjP12ihipStream_tbEUlT_E_NS1_11comp_targetILNS1_3genE10ELNS1_11target_archE1201ELNS1_3gpuE5ELNS1_3repE0EEENS1_30default_config_static_selectorELNS0_4arch9wavefront6targetE0EEEvSH_,comdat
.Lfunc_end809:
	.size	_ZN7rocprim17ROCPRIM_400000_NS6detail17trampoline_kernelINS0_14default_configENS1_36segmented_radix_sort_config_selectorIllEEZNS1_25segmented_radix_sort_implIS3_Lb0EPKlPlS8_S9_N2at6native12_GLOBAL__N_18offset_tEEE10hipError_tPvRmT1_PNSt15iterator_traitsISH_E10value_typeET2_T3_PNSI_ISN_E10value_typeET4_jRbjT5_ST_jjP12ihipStream_tbEUlT_E_NS1_11comp_targetILNS1_3genE10ELNS1_11target_archE1201ELNS1_3gpuE5ELNS1_3repE0EEENS1_30default_config_static_selectorELNS0_4arch9wavefront6targetE0EEEvSH_, .Lfunc_end809-_ZN7rocprim17ROCPRIM_400000_NS6detail17trampoline_kernelINS0_14default_configENS1_36segmented_radix_sort_config_selectorIllEEZNS1_25segmented_radix_sort_implIS3_Lb0EPKlPlS8_S9_N2at6native12_GLOBAL__N_18offset_tEEE10hipError_tPvRmT1_PNSt15iterator_traitsISH_E10value_typeET2_T3_PNSI_ISN_E10value_typeET4_jRbjT5_ST_jjP12ihipStream_tbEUlT_E_NS1_11comp_targetILNS1_3genE10ELNS1_11target_archE1201ELNS1_3gpuE5ELNS1_3repE0EEENS1_30default_config_static_selectorELNS0_4arch9wavefront6targetE0EEEvSH_
                                        ; -- End function
	.set _ZN7rocprim17ROCPRIM_400000_NS6detail17trampoline_kernelINS0_14default_configENS1_36segmented_radix_sort_config_selectorIllEEZNS1_25segmented_radix_sort_implIS3_Lb0EPKlPlS8_S9_N2at6native12_GLOBAL__N_18offset_tEEE10hipError_tPvRmT1_PNSt15iterator_traitsISH_E10value_typeET2_T3_PNSI_ISN_E10value_typeET4_jRbjT5_ST_jjP12ihipStream_tbEUlT_E_NS1_11comp_targetILNS1_3genE10ELNS1_11target_archE1201ELNS1_3gpuE5ELNS1_3repE0EEENS1_30default_config_static_selectorELNS0_4arch9wavefront6targetE0EEEvSH_.num_vgpr, 0
	.set _ZN7rocprim17ROCPRIM_400000_NS6detail17trampoline_kernelINS0_14default_configENS1_36segmented_radix_sort_config_selectorIllEEZNS1_25segmented_radix_sort_implIS3_Lb0EPKlPlS8_S9_N2at6native12_GLOBAL__N_18offset_tEEE10hipError_tPvRmT1_PNSt15iterator_traitsISH_E10value_typeET2_T3_PNSI_ISN_E10value_typeET4_jRbjT5_ST_jjP12ihipStream_tbEUlT_E_NS1_11comp_targetILNS1_3genE10ELNS1_11target_archE1201ELNS1_3gpuE5ELNS1_3repE0EEENS1_30default_config_static_selectorELNS0_4arch9wavefront6targetE0EEEvSH_.num_agpr, 0
	.set _ZN7rocprim17ROCPRIM_400000_NS6detail17trampoline_kernelINS0_14default_configENS1_36segmented_radix_sort_config_selectorIllEEZNS1_25segmented_radix_sort_implIS3_Lb0EPKlPlS8_S9_N2at6native12_GLOBAL__N_18offset_tEEE10hipError_tPvRmT1_PNSt15iterator_traitsISH_E10value_typeET2_T3_PNSI_ISN_E10value_typeET4_jRbjT5_ST_jjP12ihipStream_tbEUlT_E_NS1_11comp_targetILNS1_3genE10ELNS1_11target_archE1201ELNS1_3gpuE5ELNS1_3repE0EEENS1_30default_config_static_selectorELNS0_4arch9wavefront6targetE0EEEvSH_.numbered_sgpr, 0
	.set _ZN7rocprim17ROCPRIM_400000_NS6detail17trampoline_kernelINS0_14default_configENS1_36segmented_radix_sort_config_selectorIllEEZNS1_25segmented_radix_sort_implIS3_Lb0EPKlPlS8_S9_N2at6native12_GLOBAL__N_18offset_tEEE10hipError_tPvRmT1_PNSt15iterator_traitsISH_E10value_typeET2_T3_PNSI_ISN_E10value_typeET4_jRbjT5_ST_jjP12ihipStream_tbEUlT_E_NS1_11comp_targetILNS1_3genE10ELNS1_11target_archE1201ELNS1_3gpuE5ELNS1_3repE0EEENS1_30default_config_static_selectorELNS0_4arch9wavefront6targetE0EEEvSH_.num_named_barrier, 0
	.set _ZN7rocprim17ROCPRIM_400000_NS6detail17trampoline_kernelINS0_14default_configENS1_36segmented_radix_sort_config_selectorIllEEZNS1_25segmented_radix_sort_implIS3_Lb0EPKlPlS8_S9_N2at6native12_GLOBAL__N_18offset_tEEE10hipError_tPvRmT1_PNSt15iterator_traitsISH_E10value_typeET2_T3_PNSI_ISN_E10value_typeET4_jRbjT5_ST_jjP12ihipStream_tbEUlT_E_NS1_11comp_targetILNS1_3genE10ELNS1_11target_archE1201ELNS1_3gpuE5ELNS1_3repE0EEENS1_30default_config_static_selectorELNS0_4arch9wavefront6targetE0EEEvSH_.private_seg_size, 0
	.set _ZN7rocprim17ROCPRIM_400000_NS6detail17trampoline_kernelINS0_14default_configENS1_36segmented_radix_sort_config_selectorIllEEZNS1_25segmented_radix_sort_implIS3_Lb0EPKlPlS8_S9_N2at6native12_GLOBAL__N_18offset_tEEE10hipError_tPvRmT1_PNSt15iterator_traitsISH_E10value_typeET2_T3_PNSI_ISN_E10value_typeET4_jRbjT5_ST_jjP12ihipStream_tbEUlT_E_NS1_11comp_targetILNS1_3genE10ELNS1_11target_archE1201ELNS1_3gpuE5ELNS1_3repE0EEENS1_30default_config_static_selectorELNS0_4arch9wavefront6targetE0EEEvSH_.uses_vcc, 0
	.set _ZN7rocprim17ROCPRIM_400000_NS6detail17trampoline_kernelINS0_14default_configENS1_36segmented_radix_sort_config_selectorIllEEZNS1_25segmented_radix_sort_implIS3_Lb0EPKlPlS8_S9_N2at6native12_GLOBAL__N_18offset_tEEE10hipError_tPvRmT1_PNSt15iterator_traitsISH_E10value_typeET2_T3_PNSI_ISN_E10value_typeET4_jRbjT5_ST_jjP12ihipStream_tbEUlT_E_NS1_11comp_targetILNS1_3genE10ELNS1_11target_archE1201ELNS1_3gpuE5ELNS1_3repE0EEENS1_30default_config_static_selectorELNS0_4arch9wavefront6targetE0EEEvSH_.uses_flat_scratch, 0
	.set _ZN7rocprim17ROCPRIM_400000_NS6detail17trampoline_kernelINS0_14default_configENS1_36segmented_radix_sort_config_selectorIllEEZNS1_25segmented_radix_sort_implIS3_Lb0EPKlPlS8_S9_N2at6native12_GLOBAL__N_18offset_tEEE10hipError_tPvRmT1_PNSt15iterator_traitsISH_E10value_typeET2_T3_PNSI_ISN_E10value_typeET4_jRbjT5_ST_jjP12ihipStream_tbEUlT_E_NS1_11comp_targetILNS1_3genE10ELNS1_11target_archE1201ELNS1_3gpuE5ELNS1_3repE0EEENS1_30default_config_static_selectorELNS0_4arch9wavefront6targetE0EEEvSH_.has_dyn_sized_stack, 0
	.set _ZN7rocprim17ROCPRIM_400000_NS6detail17trampoline_kernelINS0_14default_configENS1_36segmented_radix_sort_config_selectorIllEEZNS1_25segmented_radix_sort_implIS3_Lb0EPKlPlS8_S9_N2at6native12_GLOBAL__N_18offset_tEEE10hipError_tPvRmT1_PNSt15iterator_traitsISH_E10value_typeET2_T3_PNSI_ISN_E10value_typeET4_jRbjT5_ST_jjP12ihipStream_tbEUlT_E_NS1_11comp_targetILNS1_3genE10ELNS1_11target_archE1201ELNS1_3gpuE5ELNS1_3repE0EEENS1_30default_config_static_selectorELNS0_4arch9wavefront6targetE0EEEvSH_.has_recursion, 0
	.set _ZN7rocprim17ROCPRIM_400000_NS6detail17trampoline_kernelINS0_14default_configENS1_36segmented_radix_sort_config_selectorIllEEZNS1_25segmented_radix_sort_implIS3_Lb0EPKlPlS8_S9_N2at6native12_GLOBAL__N_18offset_tEEE10hipError_tPvRmT1_PNSt15iterator_traitsISH_E10value_typeET2_T3_PNSI_ISN_E10value_typeET4_jRbjT5_ST_jjP12ihipStream_tbEUlT_E_NS1_11comp_targetILNS1_3genE10ELNS1_11target_archE1201ELNS1_3gpuE5ELNS1_3repE0EEENS1_30default_config_static_selectorELNS0_4arch9wavefront6targetE0EEEvSH_.has_indirect_call, 0
	.section	.AMDGPU.csdata,"",@progbits
; Kernel info:
; codeLenInByte = 0
; TotalNumSgprs: 0
; NumVgprs: 0
; ScratchSize: 0
; MemoryBound: 0
; FloatMode: 240
; IeeeMode: 1
; LDSByteSize: 0 bytes/workgroup (compile time only)
; SGPRBlocks: 0
; VGPRBlocks: 0
; NumSGPRsForWavesPerEU: 1
; NumVGPRsForWavesPerEU: 1
; NamedBarCnt: 0
; Occupancy: 16
; WaveLimiterHint : 0
; COMPUTE_PGM_RSRC2:SCRATCH_EN: 0
; COMPUTE_PGM_RSRC2:USER_SGPR: 2
; COMPUTE_PGM_RSRC2:TRAP_HANDLER: 0
; COMPUTE_PGM_RSRC2:TGID_X_EN: 1
; COMPUTE_PGM_RSRC2:TGID_Y_EN: 0
; COMPUTE_PGM_RSRC2:TGID_Z_EN: 0
; COMPUTE_PGM_RSRC2:TIDIG_COMP_CNT: 0
	.section	.text._ZN7rocprim17ROCPRIM_400000_NS6detail17trampoline_kernelINS0_14default_configENS1_36segmented_radix_sort_config_selectorIllEEZNS1_25segmented_radix_sort_implIS3_Lb0EPKlPlS8_S9_N2at6native12_GLOBAL__N_18offset_tEEE10hipError_tPvRmT1_PNSt15iterator_traitsISH_E10value_typeET2_T3_PNSI_ISN_E10value_typeET4_jRbjT5_ST_jjP12ihipStream_tbEUlT_E_NS1_11comp_targetILNS1_3genE10ELNS1_11target_archE1200ELNS1_3gpuE4ELNS1_3repE0EEENS1_30default_config_static_selectorELNS0_4arch9wavefront6targetE0EEEvSH_,"axG",@progbits,_ZN7rocprim17ROCPRIM_400000_NS6detail17trampoline_kernelINS0_14default_configENS1_36segmented_radix_sort_config_selectorIllEEZNS1_25segmented_radix_sort_implIS3_Lb0EPKlPlS8_S9_N2at6native12_GLOBAL__N_18offset_tEEE10hipError_tPvRmT1_PNSt15iterator_traitsISH_E10value_typeET2_T3_PNSI_ISN_E10value_typeET4_jRbjT5_ST_jjP12ihipStream_tbEUlT_E_NS1_11comp_targetILNS1_3genE10ELNS1_11target_archE1200ELNS1_3gpuE4ELNS1_3repE0EEENS1_30default_config_static_selectorELNS0_4arch9wavefront6targetE0EEEvSH_,comdat
	.globl	_ZN7rocprim17ROCPRIM_400000_NS6detail17trampoline_kernelINS0_14default_configENS1_36segmented_radix_sort_config_selectorIllEEZNS1_25segmented_radix_sort_implIS3_Lb0EPKlPlS8_S9_N2at6native12_GLOBAL__N_18offset_tEEE10hipError_tPvRmT1_PNSt15iterator_traitsISH_E10value_typeET2_T3_PNSI_ISN_E10value_typeET4_jRbjT5_ST_jjP12ihipStream_tbEUlT_E_NS1_11comp_targetILNS1_3genE10ELNS1_11target_archE1200ELNS1_3gpuE4ELNS1_3repE0EEENS1_30default_config_static_selectorELNS0_4arch9wavefront6targetE0EEEvSH_ ; -- Begin function _ZN7rocprim17ROCPRIM_400000_NS6detail17trampoline_kernelINS0_14default_configENS1_36segmented_radix_sort_config_selectorIllEEZNS1_25segmented_radix_sort_implIS3_Lb0EPKlPlS8_S9_N2at6native12_GLOBAL__N_18offset_tEEE10hipError_tPvRmT1_PNSt15iterator_traitsISH_E10value_typeET2_T3_PNSI_ISN_E10value_typeET4_jRbjT5_ST_jjP12ihipStream_tbEUlT_E_NS1_11comp_targetILNS1_3genE10ELNS1_11target_archE1200ELNS1_3gpuE4ELNS1_3repE0EEENS1_30default_config_static_selectorELNS0_4arch9wavefront6targetE0EEEvSH_
	.p2align	8
	.type	_ZN7rocprim17ROCPRIM_400000_NS6detail17trampoline_kernelINS0_14default_configENS1_36segmented_radix_sort_config_selectorIllEEZNS1_25segmented_radix_sort_implIS3_Lb0EPKlPlS8_S9_N2at6native12_GLOBAL__N_18offset_tEEE10hipError_tPvRmT1_PNSt15iterator_traitsISH_E10value_typeET2_T3_PNSI_ISN_E10value_typeET4_jRbjT5_ST_jjP12ihipStream_tbEUlT_E_NS1_11comp_targetILNS1_3genE10ELNS1_11target_archE1200ELNS1_3gpuE4ELNS1_3repE0EEENS1_30default_config_static_selectorELNS0_4arch9wavefront6targetE0EEEvSH_,@function
_ZN7rocprim17ROCPRIM_400000_NS6detail17trampoline_kernelINS0_14default_configENS1_36segmented_radix_sort_config_selectorIllEEZNS1_25segmented_radix_sort_implIS3_Lb0EPKlPlS8_S9_N2at6native12_GLOBAL__N_18offset_tEEE10hipError_tPvRmT1_PNSt15iterator_traitsISH_E10value_typeET2_T3_PNSI_ISN_E10value_typeET4_jRbjT5_ST_jjP12ihipStream_tbEUlT_E_NS1_11comp_targetILNS1_3genE10ELNS1_11target_archE1200ELNS1_3gpuE4ELNS1_3repE0EEENS1_30default_config_static_selectorELNS0_4arch9wavefront6targetE0EEEvSH_: ; @_ZN7rocprim17ROCPRIM_400000_NS6detail17trampoline_kernelINS0_14default_configENS1_36segmented_radix_sort_config_selectorIllEEZNS1_25segmented_radix_sort_implIS3_Lb0EPKlPlS8_S9_N2at6native12_GLOBAL__N_18offset_tEEE10hipError_tPvRmT1_PNSt15iterator_traitsISH_E10value_typeET2_T3_PNSI_ISN_E10value_typeET4_jRbjT5_ST_jjP12ihipStream_tbEUlT_E_NS1_11comp_targetILNS1_3genE10ELNS1_11target_archE1200ELNS1_3gpuE4ELNS1_3repE0EEENS1_30default_config_static_selectorELNS0_4arch9wavefront6targetE0EEEvSH_
; %bb.0:
	.section	.rodata,"a",@progbits
	.p2align	6, 0x0
	.amdhsa_kernel _ZN7rocprim17ROCPRIM_400000_NS6detail17trampoline_kernelINS0_14default_configENS1_36segmented_radix_sort_config_selectorIllEEZNS1_25segmented_radix_sort_implIS3_Lb0EPKlPlS8_S9_N2at6native12_GLOBAL__N_18offset_tEEE10hipError_tPvRmT1_PNSt15iterator_traitsISH_E10value_typeET2_T3_PNSI_ISN_E10value_typeET4_jRbjT5_ST_jjP12ihipStream_tbEUlT_E_NS1_11comp_targetILNS1_3genE10ELNS1_11target_archE1200ELNS1_3gpuE4ELNS1_3repE0EEENS1_30default_config_static_selectorELNS0_4arch9wavefront6targetE0EEEvSH_
		.amdhsa_group_segment_fixed_size 0
		.amdhsa_private_segment_fixed_size 0
		.amdhsa_kernarg_size 96
		.amdhsa_user_sgpr_count 2
		.amdhsa_user_sgpr_dispatch_ptr 0
		.amdhsa_user_sgpr_queue_ptr 0
		.amdhsa_user_sgpr_kernarg_segment_ptr 1
		.amdhsa_user_sgpr_dispatch_id 0
		.amdhsa_user_sgpr_kernarg_preload_length 0
		.amdhsa_user_sgpr_kernarg_preload_offset 0
		.amdhsa_user_sgpr_private_segment_size 0
		.amdhsa_wavefront_size32 1
		.amdhsa_uses_dynamic_stack 0
		.amdhsa_enable_private_segment 0
		.amdhsa_system_sgpr_workgroup_id_x 1
		.amdhsa_system_sgpr_workgroup_id_y 0
		.amdhsa_system_sgpr_workgroup_id_z 0
		.amdhsa_system_sgpr_workgroup_info 0
		.amdhsa_system_vgpr_workitem_id 0
		.amdhsa_next_free_vgpr 1
		.amdhsa_next_free_sgpr 1
		.amdhsa_named_barrier_count 0
		.amdhsa_reserve_vcc 0
		.amdhsa_float_round_mode_32 0
		.amdhsa_float_round_mode_16_64 0
		.amdhsa_float_denorm_mode_32 3
		.amdhsa_float_denorm_mode_16_64 3
		.amdhsa_fp16_overflow 0
		.amdhsa_memory_ordered 1
		.amdhsa_forward_progress 1
		.amdhsa_inst_pref_size 0
		.amdhsa_round_robin_scheduling 0
		.amdhsa_exception_fp_ieee_invalid_op 0
		.amdhsa_exception_fp_denorm_src 0
		.amdhsa_exception_fp_ieee_div_zero 0
		.amdhsa_exception_fp_ieee_overflow 0
		.amdhsa_exception_fp_ieee_underflow 0
		.amdhsa_exception_fp_ieee_inexact 0
		.amdhsa_exception_int_div_zero 0
	.end_amdhsa_kernel
	.section	.text._ZN7rocprim17ROCPRIM_400000_NS6detail17trampoline_kernelINS0_14default_configENS1_36segmented_radix_sort_config_selectorIllEEZNS1_25segmented_radix_sort_implIS3_Lb0EPKlPlS8_S9_N2at6native12_GLOBAL__N_18offset_tEEE10hipError_tPvRmT1_PNSt15iterator_traitsISH_E10value_typeET2_T3_PNSI_ISN_E10value_typeET4_jRbjT5_ST_jjP12ihipStream_tbEUlT_E_NS1_11comp_targetILNS1_3genE10ELNS1_11target_archE1200ELNS1_3gpuE4ELNS1_3repE0EEENS1_30default_config_static_selectorELNS0_4arch9wavefront6targetE0EEEvSH_,"axG",@progbits,_ZN7rocprim17ROCPRIM_400000_NS6detail17trampoline_kernelINS0_14default_configENS1_36segmented_radix_sort_config_selectorIllEEZNS1_25segmented_radix_sort_implIS3_Lb0EPKlPlS8_S9_N2at6native12_GLOBAL__N_18offset_tEEE10hipError_tPvRmT1_PNSt15iterator_traitsISH_E10value_typeET2_T3_PNSI_ISN_E10value_typeET4_jRbjT5_ST_jjP12ihipStream_tbEUlT_E_NS1_11comp_targetILNS1_3genE10ELNS1_11target_archE1200ELNS1_3gpuE4ELNS1_3repE0EEENS1_30default_config_static_selectorELNS0_4arch9wavefront6targetE0EEEvSH_,comdat
.Lfunc_end810:
	.size	_ZN7rocprim17ROCPRIM_400000_NS6detail17trampoline_kernelINS0_14default_configENS1_36segmented_radix_sort_config_selectorIllEEZNS1_25segmented_radix_sort_implIS3_Lb0EPKlPlS8_S9_N2at6native12_GLOBAL__N_18offset_tEEE10hipError_tPvRmT1_PNSt15iterator_traitsISH_E10value_typeET2_T3_PNSI_ISN_E10value_typeET4_jRbjT5_ST_jjP12ihipStream_tbEUlT_E_NS1_11comp_targetILNS1_3genE10ELNS1_11target_archE1200ELNS1_3gpuE4ELNS1_3repE0EEENS1_30default_config_static_selectorELNS0_4arch9wavefront6targetE0EEEvSH_, .Lfunc_end810-_ZN7rocprim17ROCPRIM_400000_NS6detail17trampoline_kernelINS0_14default_configENS1_36segmented_radix_sort_config_selectorIllEEZNS1_25segmented_radix_sort_implIS3_Lb0EPKlPlS8_S9_N2at6native12_GLOBAL__N_18offset_tEEE10hipError_tPvRmT1_PNSt15iterator_traitsISH_E10value_typeET2_T3_PNSI_ISN_E10value_typeET4_jRbjT5_ST_jjP12ihipStream_tbEUlT_E_NS1_11comp_targetILNS1_3genE10ELNS1_11target_archE1200ELNS1_3gpuE4ELNS1_3repE0EEENS1_30default_config_static_selectorELNS0_4arch9wavefront6targetE0EEEvSH_
                                        ; -- End function
	.set _ZN7rocprim17ROCPRIM_400000_NS6detail17trampoline_kernelINS0_14default_configENS1_36segmented_radix_sort_config_selectorIllEEZNS1_25segmented_radix_sort_implIS3_Lb0EPKlPlS8_S9_N2at6native12_GLOBAL__N_18offset_tEEE10hipError_tPvRmT1_PNSt15iterator_traitsISH_E10value_typeET2_T3_PNSI_ISN_E10value_typeET4_jRbjT5_ST_jjP12ihipStream_tbEUlT_E_NS1_11comp_targetILNS1_3genE10ELNS1_11target_archE1200ELNS1_3gpuE4ELNS1_3repE0EEENS1_30default_config_static_selectorELNS0_4arch9wavefront6targetE0EEEvSH_.num_vgpr, 0
	.set _ZN7rocprim17ROCPRIM_400000_NS6detail17trampoline_kernelINS0_14default_configENS1_36segmented_radix_sort_config_selectorIllEEZNS1_25segmented_radix_sort_implIS3_Lb0EPKlPlS8_S9_N2at6native12_GLOBAL__N_18offset_tEEE10hipError_tPvRmT1_PNSt15iterator_traitsISH_E10value_typeET2_T3_PNSI_ISN_E10value_typeET4_jRbjT5_ST_jjP12ihipStream_tbEUlT_E_NS1_11comp_targetILNS1_3genE10ELNS1_11target_archE1200ELNS1_3gpuE4ELNS1_3repE0EEENS1_30default_config_static_selectorELNS0_4arch9wavefront6targetE0EEEvSH_.num_agpr, 0
	.set _ZN7rocprim17ROCPRIM_400000_NS6detail17trampoline_kernelINS0_14default_configENS1_36segmented_radix_sort_config_selectorIllEEZNS1_25segmented_radix_sort_implIS3_Lb0EPKlPlS8_S9_N2at6native12_GLOBAL__N_18offset_tEEE10hipError_tPvRmT1_PNSt15iterator_traitsISH_E10value_typeET2_T3_PNSI_ISN_E10value_typeET4_jRbjT5_ST_jjP12ihipStream_tbEUlT_E_NS1_11comp_targetILNS1_3genE10ELNS1_11target_archE1200ELNS1_3gpuE4ELNS1_3repE0EEENS1_30default_config_static_selectorELNS0_4arch9wavefront6targetE0EEEvSH_.numbered_sgpr, 0
	.set _ZN7rocprim17ROCPRIM_400000_NS6detail17trampoline_kernelINS0_14default_configENS1_36segmented_radix_sort_config_selectorIllEEZNS1_25segmented_radix_sort_implIS3_Lb0EPKlPlS8_S9_N2at6native12_GLOBAL__N_18offset_tEEE10hipError_tPvRmT1_PNSt15iterator_traitsISH_E10value_typeET2_T3_PNSI_ISN_E10value_typeET4_jRbjT5_ST_jjP12ihipStream_tbEUlT_E_NS1_11comp_targetILNS1_3genE10ELNS1_11target_archE1200ELNS1_3gpuE4ELNS1_3repE0EEENS1_30default_config_static_selectorELNS0_4arch9wavefront6targetE0EEEvSH_.num_named_barrier, 0
	.set _ZN7rocprim17ROCPRIM_400000_NS6detail17trampoline_kernelINS0_14default_configENS1_36segmented_radix_sort_config_selectorIllEEZNS1_25segmented_radix_sort_implIS3_Lb0EPKlPlS8_S9_N2at6native12_GLOBAL__N_18offset_tEEE10hipError_tPvRmT1_PNSt15iterator_traitsISH_E10value_typeET2_T3_PNSI_ISN_E10value_typeET4_jRbjT5_ST_jjP12ihipStream_tbEUlT_E_NS1_11comp_targetILNS1_3genE10ELNS1_11target_archE1200ELNS1_3gpuE4ELNS1_3repE0EEENS1_30default_config_static_selectorELNS0_4arch9wavefront6targetE0EEEvSH_.private_seg_size, 0
	.set _ZN7rocprim17ROCPRIM_400000_NS6detail17trampoline_kernelINS0_14default_configENS1_36segmented_radix_sort_config_selectorIllEEZNS1_25segmented_radix_sort_implIS3_Lb0EPKlPlS8_S9_N2at6native12_GLOBAL__N_18offset_tEEE10hipError_tPvRmT1_PNSt15iterator_traitsISH_E10value_typeET2_T3_PNSI_ISN_E10value_typeET4_jRbjT5_ST_jjP12ihipStream_tbEUlT_E_NS1_11comp_targetILNS1_3genE10ELNS1_11target_archE1200ELNS1_3gpuE4ELNS1_3repE0EEENS1_30default_config_static_selectorELNS0_4arch9wavefront6targetE0EEEvSH_.uses_vcc, 0
	.set _ZN7rocprim17ROCPRIM_400000_NS6detail17trampoline_kernelINS0_14default_configENS1_36segmented_radix_sort_config_selectorIllEEZNS1_25segmented_radix_sort_implIS3_Lb0EPKlPlS8_S9_N2at6native12_GLOBAL__N_18offset_tEEE10hipError_tPvRmT1_PNSt15iterator_traitsISH_E10value_typeET2_T3_PNSI_ISN_E10value_typeET4_jRbjT5_ST_jjP12ihipStream_tbEUlT_E_NS1_11comp_targetILNS1_3genE10ELNS1_11target_archE1200ELNS1_3gpuE4ELNS1_3repE0EEENS1_30default_config_static_selectorELNS0_4arch9wavefront6targetE0EEEvSH_.uses_flat_scratch, 0
	.set _ZN7rocprim17ROCPRIM_400000_NS6detail17trampoline_kernelINS0_14default_configENS1_36segmented_radix_sort_config_selectorIllEEZNS1_25segmented_radix_sort_implIS3_Lb0EPKlPlS8_S9_N2at6native12_GLOBAL__N_18offset_tEEE10hipError_tPvRmT1_PNSt15iterator_traitsISH_E10value_typeET2_T3_PNSI_ISN_E10value_typeET4_jRbjT5_ST_jjP12ihipStream_tbEUlT_E_NS1_11comp_targetILNS1_3genE10ELNS1_11target_archE1200ELNS1_3gpuE4ELNS1_3repE0EEENS1_30default_config_static_selectorELNS0_4arch9wavefront6targetE0EEEvSH_.has_dyn_sized_stack, 0
	.set _ZN7rocprim17ROCPRIM_400000_NS6detail17trampoline_kernelINS0_14default_configENS1_36segmented_radix_sort_config_selectorIllEEZNS1_25segmented_radix_sort_implIS3_Lb0EPKlPlS8_S9_N2at6native12_GLOBAL__N_18offset_tEEE10hipError_tPvRmT1_PNSt15iterator_traitsISH_E10value_typeET2_T3_PNSI_ISN_E10value_typeET4_jRbjT5_ST_jjP12ihipStream_tbEUlT_E_NS1_11comp_targetILNS1_3genE10ELNS1_11target_archE1200ELNS1_3gpuE4ELNS1_3repE0EEENS1_30default_config_static_selectorELNS0_4arch9wavefront6targetE0EEEvSH_.has_recursion, 0
	.set _ZN7rocprim17ROCPRIM_400000_NS6detail17trampoline_kernelINS0_14default_configENS1_36segmented_radix_sort_config_selectorIllEEZNS1_25segmented_radix_sort_implIS3_Lb0EPKlPlS8_S9_N2at6native12_GLOBAL__N_18offset_tEEE10hipError_tPvRmT1_PNSt15iterator_traitsISH_E10value_typeET2_T3_PNSI_ISN_E10value_typeET4_jRbjT5_ST_jjP12ihipStream_tbEUlT_E_NS1_11comp_targetILNS1_3genE10ELNS1_11target_archE1200ELNS1_3gpuE4ELNS1_3repE0EEENS1_30default_config_static_selectorELNS0_4arch9wavefront6targetE0EEEvSH_.has_indirect_call, 0
	.section	.AMDGPU.csdata,"",@progbits
; Kernel info:
; codeLenInByte = 0
; TotalNumSgprs: 0
; NumVgprs: 0
; ScratchSize: 0
; MemoryBound: 0
; FloatMode: 240
; IeeeMode: 1
; LDSByteSize: 0 bytes/workgroup (compile time only)
; SGPRBlocks: 0
; VGPRBlocks: 0
; NumSGPRsForWavesPerEU: 1
; NumVGPRsForWavesPerEU: 1
; NamedBarCnt: 0
; Occupancy: 16
; WaveLimiterHint : 0
; COMPUTE_PGM_RSRC2:SCRATCH_EN: 0
; COMPUTE_PGM_RSRC2:USER_SGPR: 2
; COMPUTE_PGM_RSRC2:TRAP_HANDLER: 0
; COMPUTE_PGM_RSRC2:TGID_X_EN: 1
; COMPUTE_PGM_RSRC2:TGID_Y_EN: 0
; COMPUTE_PGM_RSRC2:TGID_Z_EN: 0
; COMPUTE_PGM_RSRC2:TIDIG_COMP_CNT: 0
	.section	.text._ZN7rocprim17ROCPRIM_400000_NS6detail17trampoline_kernelINS0_14default_configENS1_36segmented_radix_sort_config_selectorIllEEZNS1_25segmented_radix_sort_implIS3_Lb0EPKlPlS8_S9_N2at6native12_GLOBAL__N_18offset_tEEE10hipError_tPvRmT1_PNSt15iterator_traitsISH_E10value_typeET2_T3_PNSI_ISN_E10value_typeET4_jRbjT5_ST_jjP12ihipStream_tbEUlT_E_NS1_11comp_targetILNS1_3genE9ELNS1_11target_archE1100ELNS1_3gpuE3ELNS1_3repE0EEENS1_30default_config_static_selectorELNS0_4arch9wavefront6targetE0EEEvSH_,"axG",@progbits,_ZN7rocprim17ROCPRIM_400000_NS6detail17trampoline_kernelINS0_14default_configENS1_36segmented_radix_sort_config_selectorIllEEZNS1_25segmented_radix_sort_implIS3_Lb0EPKlPlS8_S9_N2at6native12_GLOBAL__N_18offset_tEEE10hipError_tPvRmT1_PNSt15iterator_traitsISH_E10value_typeET2_T3_PNSI_ISN_E10value_typeET4_jRbjT5_ST_jjP12ihipStream_tbEUlT_E_NS1_11comp_targetILNS1_3genE9ELNS1_11target_archE1100ELNS1_3gpuE3ELNS1_3repE0EEENS1_30default_config_static_selectorELNS0_4arch9wavefront6targetE0EEEvSH_,comdat
	.globl	_ZN7rocprim17ROCPRIM_400000_NS6detail17trampoline_kernelINS0_14default_configENS1_36segmented_radix_sort_config_selectorIllEEZNS1_25segmented_radix_sort_implIS3_Lb0EPKlPlS8_S9_N2at6native12_GLOBAL__N_18offset_tEEE10hipError_tPvRmT1_PNSt15iterator_traitsISH_E10value_typeET2_T3_PNSI_ISN_E10value_typeET4_jRbjT5_ST_jjP12ihipStream_tbEUlT_E_NS1_11comp_targetILNS1_3genE9ELNS1_11target_archE1100ELNS1_3gpuE3ELNS1_3repE0EEENS1_30default_config_static_selectorELNS0_4arch9wavefront6targetE0EEEvSH_ ; -- Begin function _ZN7rocprim17ROCPRIM_400000_NS6detail17trampoline_kernelINS0_14default_configENS1_36segmented_radix_sort_config_selectorIllEEZNS1_25segmented_radix_sort_implIS3_Lb0EPKlPlS8_S9_N2at6native12_GLOBAL__N_18offset_tEEE10hipError_tPvRmT1_PNSt15iterator_traitsISH_E10value_typeET2_T3_PNSI_ISN_E10value_typeET4_jRbjT5_ST_jjP12ihipStream_tbEUlT_E_NS1_11comp_targetILNS1_3genE9ELNS1_11target_archE1100ELNS1_3gpuE3ELNS1_3repE0EEENS1_30default_config_static_selectorELNS0_4arch9wavefront6targetE0EEEvSH_
	.p2align	8
	.type	_ZN7rocprim17ROCPRIM_400000_NS6detail17trampoline_kernelINS0_14default_configENS1_36segmented_radix_sort_config_selectorIllEEZNS1_25segmented_radix_sort_implIS3_Lb0EPKlPlS8_S9_N2at6native12_GLOBAL__N_18offset_tEEE10hipError_tPvRmT1_PNSt15iterator_traitsISH_E10value_typeET2_T3_PNSI_ISN_E10value_typeET4_jRbjT5_ST_jjP12ihipStream_tbEUlT_E_NS1_11comp_targetILNS1_3genE9ELNS1_11target_archE1100ELNS1_3gpuE3ELNS1_3repE0EEENS1_30default_config_static_selectorELNS0_4arch9wavefront6targetE0EEEvSH_,@function
_ZN7rocprim17ROCPRIM_400000_NS6detail17trampoline_kernelINS0_14default_configENS1_36segmented_radix_sort_config_selectorIllEEZNS1_25segmented_radix_sort_implIS3_Lb0EPKlPlS8_S9_N2at6native12_GLOBAL__N_18offset_tEEE10hipError_tPvRmT1_PNSt15iterator_traitsISH_E10value_typeET2_T3_PNSI_ISN_E10value_typeET4_jRbjT5_ST_jjP12ihipStream_tbEUlT_E_NS1_11comp_targetILNS1_3genE9ELNS1_11target_archE1100ELNS1_3gpuE3ELNS1_3repE0EEENS1_30default_config_static_selectorELNS0_4arch9wavefront6targetE0EEEvSH_: ; @_ZN7rocprim17ROCPRIM_400000_NS6detail17trampoline_kernelINS0_14default_configENS1_36segmented_radix_sort_config_selectorIllEEZNS1_25segmented_radix_sort_implIS3_Lb0EPKlPlS8_S9_N2at6native12_GLOBAL__N_18offset_tEEE10hipError_tPvRmT1_PNSt15iterator_traitsISH_E10value_typeET2_T3_PNSI_ISN_E10value_typeET4_jRbjT5_ST_jjP12ihipStream_tbEUlT_E_NS1_11comp_targetILNS1_3genE9ELNS1_11target_archE1100ELNS1_3gpuE3ELNS1_3repE0EEENS1_30default_config_static_selectorELNS0_4arch9wavefront6targetE0EEEvSH_
; %bb.0:
	.section	.rodata,"a",@progbits
	.p2align	6, 0x0
	.amdhsa_kernel _ZN7rocprim17ROCPRIM_400000_NS6detail17trampoline_kernelINS0_14default_configENS1_36segmented_radix_sort_config_selectorIllEEZNS1_25segmented_radix_sort_implIS3_Lb0EPKlPlS8_S9_N2at6native12_GLOBAL__N_18offset_tEEE10hipError_tPvRmT1_PNSt15iterator_traitsISH_E10value_typeET2_T3_PNSI_ISN_E10value_typeET4_jRbjT5_ST_jjP12ihipStream_tbEUlT_E_NS1_11comp_targetILNS1_3genE9ELNS1_11target_archE1100ELNS1_3gpuE3ELNS1_3repE0EEENS1_30default_config_static_selectorELNS0_4arch9wavefront6targetE0EEEvSH_
		.amdhsa_group_segment_fixed_size 0
		.amdhsa_private_segment_fixed_size 0
		.amdhsa_kernarg_size 96
		.amdhsa_user_sgpr_count 2
		.amdhsa_user_sgpr_dispatch_ptr 0
		.amdhsa_user_sgpr_queue_ptr 0
		.amdhsa_user_sgpr_kernarg_segment_ptr 1
		.amdhsa_user_sgpr_dispatch_id 0
		.amdhsa_user_sgpr_kernarg_preload_length 0
		.amdhsa_user_sgpr_kernarg_preload_offset 0
		.amdhsa_user_sgpr_private_segment_size 0
		.amdhsa_wavefront_size32 1
		.amdhsa_uses_dynamic_stack 0
		.amdhsa_enable_private_segment 0
		.amdhsa_system_sgpr_workgroup_id_x 1
		.amdhsa_system_sgpr_workgroup_id_y 0
		.amdhsa_system_sgpr_workgroup_id_z 0
		.amdhsa_system_sgpr_workgroup_info 0
		.amdhsa_system_vgpr_workitem_id 0
		.amdhsa_next_free_vgpr 1
		.amdhsa_next_free_sgpr 1
		.amdhsa_named_barrier_count 0
		.amdhsa_reserve_vcc 0
		.amdhsa_float_round_mode_32 0
		.amdhsa_float_round_mode_16_64 0
		.amdhsa_float_denorm_mode_32 3
		.amdhsa_float_denorm_mode_16_64 3
		.amdhsa_fp16_overflow 0
		.amdhsa_memory_ordered 1
		.amdhsa_forward_progress 1
		.amdhsa_inst_pref_size 0
		.amdhsa_round_robin_scheduling 0
		.amdhsa_exception_fp_ieee_invalid_op 0
		.amdhsa_exception_fp_denorm_src 0
		.amdhsa_exception_fp_ieee_div_zero 0
		.amdhsa_exception_fp_ieee_overflow 0
		.amdhsa_exception_fp_ieee_underflow 0
		.amdhsa_exception_fp_ieee_inexact 0
		.amdhsa_exception_int_div_zero 0
	.end_amdhsa_kernel
	.section	.text._ZN7rocprim17ROCPRIM_400000_NS6detail17trampoline_kernelINS0_14default_configENS1_36segmented_radix_sort_config_selectorIllEEZNS1_25segmented_radix_sort_implIS3_Lb0EPKlPlS8_S9_N2at6native12_GLOBAL__N_18offset_tEEE10hipError_tPvRmT1_PNSt15iterator_traitsISH_E10value_typeET2_T3_PNSI_ISN_E10value_typeET4_jRbjT5_ST_jjP12ihipStream_tbEUlT_E_NS1_11comp_targetILNS1_3genE9ELNS1_11target_archE1100ELNS1_3gpuE3ELNS1_3repE0EEENS1_30default_config_static_selectorELNS0_4arch9wavefront6targetE0EEEvSH_,"axG",@progbits,_ZN7rocprim17ROCPRIM_400000_NS6detail17trampoline_kernelINS0_14default_configENS1_36segmented_radix_sort_config_selectorIllEEZNS1_25segmented_radix_sort_implIS3_Lb0EPKlPlS8_S9_N2at6native12_GLOBAL__N_18offset_tEEE10hipError_tPvRmT1_PNSt15iterator_traitsISH_E10value_typeET2_T3_PNSI_ISN_E10value_typeET4_jRbjT5_ST_jjP12ihipStream_tbEUlT_E_NS1_11comp_targetILNS1_3genE9ELNS1_11target_archE1100ELNS1_3gpuE3ELNS1_3repE0EEENS1_30default_config_static_selectorELNS0_4arch9wavefront6targetE0EEEvSH_,comdat
.Lfunc_end811:
	.size	_ZN7rocprim17ROCPRIM_400000_NS6detail17trampoline_kernelINS0_14default_configENS1_36segmented_radix_sort_config_selectorIllEEZNS1_25segmented_radix_sort_implIS3_Lb0EPKlPlS8_S9_N2at6native12_GLOBAL__N_18offset_tEEE10hipError_tPvRmT1_PNSt15iterator_traitsISH_E10value_typeET2_T3_PNSI_ISN_E10value_typeET4_jRbjT5_ST_jjP12ihipStream_tbEUlT_E_NS1_11comp_targetILNS1_3genE9ELNS1_11target_archE1100ELNS1_3gpuE3ELNS1_3repE0EEENS1_30default_config_static_selectorELNS0_4arch9wavefront6targetE0EEEvSH_, .Lfunc_end811-_ZN7rocprim17ROCPRIM_400000_NS6detail17trampoline_kernelINS0_14default_configENS1_36segmented_radix_sort_config_selectorIllEEZNS1_25segmented_radix_sort_implIS3_Lb0EPKlPlS8_S9_N2at6native12_GLOBAL__N_18offset_tEEE10hipError_tPvRmT1_PNSt15iterator_traitsISH_E10value_typeET2_T3_PNSI_ISN_E10value_typeET4_jRbjT5_ST_jjP12ihipStream_tbEUlT_E_NS1_11comp_targetILNS1_3genE9ELNS1_11target_archE1100ELNS1_3gpuE3ELNS1_3repE0EEENS1_30default_config_static_selectorELNS0_4arch9wavefront6targetE0EEEvSH_
                                        ; -- End function
	.set _ZN7rocprim17ROCPRIM_400000_NS6detail17trampoline_kernelINS0_14default_configENS1_36segmented_radix_sort_config_selectorIllEEZNS1_25segmented_radix_sort_implIS3_Lb0EPKlPlS8_S9_N2at6native12_GLOBAL__N_18offset_tEEE10hipError_tPvRmT1_PNSt15iterator_traitsISH_E10value_typeET2_T3_PNSI_ISN_E10value_typeET4_jRbjT5_ST_jjP12ihipStream_tbEUlT_E_NS1_11comp_targetILNS1_3genE9ELNS1_11target_archE1100ELNS1_3gpuE3ELNS1_3repE0EEENS1_30default_config_static_selectorELNS0_4arch9wavefront6targetE0EEEvSH_.num_vgpr, 0
	.set _ZN7rocprim17ROCPRIM_400000_NS6detail17trampoline_kernelINS0_14default_configENS1_36segmented_radix_sort_config_selectorIllEEZNS1_25segmented_radix_sort_implIS3_Lb0EPKlPlS8_S9_N2at6native12_GLOBAL__N_18offset_tEEE10hipError_tPvRmT1_PNSt15iterator_traitsISH_E10value_typeET2_T3_PNSI_ISN_E10value_typeET4_jRbjT5_ST_jjP12ihipStream_tbEUlT_E_NS1_11comp_targetILNS1_3genE9ELNS1_11target_archE1100ELNS1_3gpuE3ELNS1_3repE0EEENS1_30default_config_static_selectorELNS0_4arch9wavefront6targetE0EEEvSH_.num_agpr, 0
	.set _ZN7rocprim17ROCPRIM_400000_NS6detail17trampoline_kernelINS0_14default_configENS1_36segmented_radix_sort_config_selectorIllEEZNS1_25segmented_radix_sort_implIS3_Lb0EPKlPlS8_S9_N2at6native12_GLOBAL__N_18offset_tEEE10hipError_tPvRmT1_PNSt15iterator_traitsISH_E10value_typeET2_T3_PNSI_ISN_E10value_typeET4_jRbjT5_ST_jjP12ihipStream_tbEUlT_E_NS1_11comp_targetILNS1_3genE9ELNS1_11target_archE1100ELNS1_3gpuE3ELNS1_3repE0EEENS1_30default_config_static_selectorELNS0_4arch9wavefront6targetE0EEEvSH_.numbered_sgpr, 0
	.set _ZN7rocprim17ROCPRIM_400000_NS6detail17trampoline_kernelINS0_14default_configENS1_36segmented_radix_sort_config_selectorIllEEZNS1_25segmented_radix_sort_implIS3_Lb0EPKlPlS8_S9_N2at6native12_GLOBAL__N_18offset_tEEE10hipError_tPvRmT1_PNSt15iterator_traitsISH_E10value_typeET2_T3_PNSI_ISN_E10value_typeET4_jRbjT5_ST_jjP12ihipStream_tbEUlT_E_NS1_11comp_targetILNS1_3genE9ELNS1_11target_archE1100ELNS1_3gpuE3ELNS1_3repE0EEENS1_30default_config_static_selectorELNS0_4arch9wavefront6targetE0EEEvSH_.num_named_barrier, 0
	.set _ZN7rocprim17ROCPRIM_400000_NS6detail17trampoline_kernelINS0_14default_configENS1_36segmented_radix_sort_config_selectorIllEEZNS1_25segmented_radix_sort_implIS3_Lb0EPKlPlS8_S9_N2at6native12_GLOBAL__N_18offset_tEEE10hipError_tPvRmT1_PNSt15iterator_traitsISH_E10value_typeET2_T3_PNSI_ISN_E10value_typeET4_jRbjT5_ST_jjP12ihipStream_tbEUlT_E_NS1_11comp_targetILNS1_3genE9ELNS1_11target_archE1100ELNS1_3gpuE3ELNS1_3repE0EEENS1_30default_config_static_selectorELNS0_4arch9wavefront6targetE0EEEvSH_.private_seg_size, 0
	.set _ZN7rocprim17ROCPRIM_400000_NS6detail17trampoline_kernelINS0_14default_configENS1_36segmented_radix_sort_config_selectorIllEEZNS1_25segmented_radix_sort_implIS3_Lb0EPKlPlS8_S9_N2at6native12_GLOBAL__N_18offset_tEEE10hipError_tPvRmT1_PNSt15iterator_traitsISH_E10value_typeET2_T3_PNSI_ISN_E10value_typeET4_jRbjT5_ST_jjP12ihipStream_tbEUlT_E_NS1_11comp_targetILNS1_3genE9ELNS1_11target_archE1100ELNS1_3gpuE3ELNS1_3repE0EEENS1_30default_config_static_selectorELNS0_4arch9wavefront6targetE0EEEvSH_.uses_vcc, 0
	.set _ZN7rocprim17ROCPRIM_400000_NS6detail17trampoline_kernelINS0_14default_configENS1_36segmented_radix_sort_config_selectorIllEEZNS1_25segmented_radix_sort_implIS3_Lb0EPKlPlS8_S9_N2at6native12_GLOBAL__N_18offset_tEEE10hipError_tPvRmT1_PNSt15iterator_traitsISH_E10value_typeET2_T3_PNSI_ISN_E10value_typeET4_jRbjT5_ST_jjP12ihipStream_tbEUlT_E_NS1_11comp_targetILNS1_3genE9ELNS1_11target_archE1100ELNS1_3gpuE3ELNS1_3repE0EEENS1_30default_config_static_selectorELNS0_4arch9wavefront6targetE0EEEvSH_.uses_flat_scratch, 0
	.set _ZN7rocprim17ROCPRIM_400000_NS6detail17trampoline_kernelINS0_14default_configENS1_36segmented_radix_sort_config_selectorIllEEZNS1_25segmented_radix_sort_implIS3_Lb0EPKlPlS8_S9_N2at6native12_GLOBAL__N_18offset_tEEE10hipError_tPvRmT1_PNSt15iterator_traitsISH_E10value_typeET2_T3_PNSI_ISN_E10value_typeET4_jRbjT5_ST_jjP12ihipStream_tbEUlT_E_NS1_11comp_targetILNS1_3genE9ELNS1_11target_archE1100ELNS1_3gpuE3ELNS1_3repE0EEENS1_30default_config_static_selectorELNS0_4arch9wavefront6targetE0EEEvSH_.has_dyn_sized_stack, 0
	.set _ZN7rocprim17ROCPRIM_400000_NS6detail17trampoline_kernelINS0_14default_configENS1_36segmented_radix_sort_config_selectorIllEEZNS1_25segmented_radix_sort_implIS3_Lb0EPKlPlS8_S9_N2at6native12_GLOBAL__N_18offset_tEEE10hipError_tPvRmT1_PNSt15iterator_traitsISH_E10value_typeET2_T3_PNSI_ISN_E10value_typeET4_jRbjT5_ST_jjP12ihipStream_tbEUlT_E_NS1_11comp_targetILNS1_3genE9ELNS1_11target_archE1100ELNS1_3gpuE3ELNS1_3repE0EEENS1_30default_config_static_selectorELNS0_4arch9wavefront6targetE0EEEvSH_.has_recursion, 0
	.set _ZN7rocprim17ROCPRIM_400000_NS6detail17trampoline_kernelINS0_14default_configENS1_36segmented_radix_sort_config_selectorIllEEZNS1_25segmented_radix_sort_implIS3_Lb0EPKlPlS8_S9_N2at6native12_GLOBAL__N_18offset_tEEE10hipError_tPvRmT1_PNSt15iterator_traitsISH_E10value_typeET2_T3_PNSI_ISN_E10value_typeET4_jRbjT5_ST_jjP12ihipStream_tbEUlT_E_NS1_11comp_targetILNS1_3genE9ELNS1_11target_archE1100ELNS1_3gpuE3ELNS1_3repE0EEENS1_30default_config_static_selectorELNS0_4arch9wavefront6targetE0EEEvSH_.has_indirect_call, 0
	.section	.AMDGPU.csdata,"",@progbits
; Kernel info:
; codeLenInByte = 0
; TotalNumSgprs: 0
; NumVgprs: 0
; ScratchSize: 0
; MemoryBound: 0
; FloatMode: 240
; IeeeMode: 1
; LDSByteSize: 0 bytes/workgroup (compile time only)
; SGPRBlocks: 0
; VGPRBlocks: 0
; NumSGPRsForWavesPerEU: 1
; NumVGPRsForWavesPerEU: 1
; NamedBarCnt: 0
; Occupancy: 16
; WaveLimiterHint : 0
; COMPUTE_PGM_RSRC2:SCRATCH_EN: 0
; COMPUTE_PGM_RSRC2:USER_SGPR: 2
; COMPUTE_PGM_RSRC2:TRAP_HANDLER: 0
; COMPUTE_PGM_RSRC2:TGID_X_EN: 1
; COMPUTE_PGM_RSRC2:TGID_Y_EN: 0
; COMPUTE_PGM_RSRC2:TGID_Z_EN: 0
; COMPUTE_PGM_RSRC2:TIDIG_COMP_CNT: 0
	.section	.text._ZN7rocprim17ROCPRIM_400000_NS6detail17trampoline_kernelINS0_14default_configENS1_36segmented_radix_sort_config_selectorIllEEZNS1_25segmented_radix_sort_implIS3_Lb0EPKlPlS8_S9_N2at6native12_GLOBAL__N_18offset_tEEE10hipError_tPvRmT1_PNSt15iterator_traitsISH_E10value_typeET2_T3_PNSI_ISN_E10value_typeET4_jRbjT5_ST_jjP12ihipStream_tbEUlT_E_NS1_11comp_targetILNS1_3genE8ELNS1_11target_archE1030ELNS1_3gpuE2ELNS1_3repE0EEENS1_30default_config_static_selectorELNS0_4arch9wavefront6targetE0EEEvSH_,"axG",@progbits,_ZN7rocprim17ROCPRIM_400000_NS6detail17trampoline_kernelINS0_14default_configENS1_36segmented_radix_sort_config_selectorIllEEZNS1_25segmented_radix_sort_implIS3_Lb0EPKlPlS8_S9_N2at6native12_GLOBAL__N_18offset_tEEE10hipError_tPvRmT1_PNSt15iterator_traitsISH_E10value_typeET2_T3_PNSI_ISN_E10value_typeET4_jRbjT5_ST_jjP12ihipStream_tbEUlT_E_NS1_11comp_targetILNS1_3genE8ELNS1_11target_archE1030ELNS1_3gpuE2ELNS1_3repE0EEENS1_30default_config_static_selectorELNS0_4arch9wavefront6targetE0EEEvSH_,comdat
	.globl	_ZN7rocprim17ROCPRIM_400000_NS6detail17trampoline_kernelINS0_14default_configENS1_36segmented_radix_sort_config_selectorIllEEZNS1_25segmented_radix_sort_implIS3_Lb0EPKlPlS8_S9_N2at6native12_GLOBAL__N_18offset_tEEE10hipError_tPvRmT1_PNSt15iterator_traitsISH_E10value_typeET2_T3_PNSI_ISN_E10value_typeET4_jRbjT5_ST_jjP12ihipStream_tbEUlT_E_NS1_11comp_targetILNS1_3genE8ELNS1_11target_archE1030ELNS1_3gpuE2ELNS1_3repE0EEENS1_30default_config_static_selectorELNS0_4arch9wavefront6targetE0EEEvSH_ ; -- Begin function _ZN7rocprim17ROCPRIM_400000_NS6detail17trampoline_kernelINS0_14default_configENS1_36segmented_radix_sort_config_selectorIllEEZNS1_25segmented_radix_sort_implIS3_Lb0EPKlPlS8_S9_N2at6native12_GLOBAL__N_18offset_tEEE10hipError_tPvRmT1_PNSt15iterator_traitsISH_E10value_typeET2_T3_PNSI_ISN_E10value_typeET4_jRbjT5_ST_jjP12ihipStream_tbEUlT_E_NS1_11comp_targetILNS1_3genE8ELNS1_11target_archE1030ELNS1_3gpuE2ELNS1_3repE0EEENS1_30default_config_static_selectorELNS0_4arch9wavefront6targetE0EEEvSH_
	.p2align	8
	.type	_ZN7rocprim17ROCPRIM_400000_NS6detail17trampoline_kernelINS0_14default_configENS1_36segmented_radix_sort_config_selectorIllEEZNS1_25segmented_radix_sort_implIS3_Lb0EPKlPlS8_S9_N2at6native12_GLOBAL__N_18offset_tEEE10hipError_tPvRmT1_PNSt15iterator_traitsISH_E10value_typeET2_T3_PNSI_ISN_E10value_typeET4_jRbjT5_ST_jjP12ihipStream_tbEUlT_E_NS1_11comp_targetILNS1_3genE8ELNS1_11target_archE1030ELNS1_3gpuE2ELNS1_3repE0EEENS1_30default_config_static_selectorELNS0_4arch9wavefront6targetE0EEEvSH_,@function
_ZN7rocprim17ROCPRIM_400000_NS6detail17trampoline_kernelINS0_14default_configENS1_36segmented_radix_sort_config_selectorIllEEZNS1_25segmented_radix_sort_implIS3_Lb0EPKlPlS8_S9_N2at6native12_GLOBAL__N_18offset_tEEE10hipError_tPvRmT1_PNSt15iterator_traitsISH_E10value_typeET2_T3_PNSI_ISN_E10value_typeET4_jRbjT5_ST_jjP12ihipStream_tbEUlT_E_NS1_11comp_targetILNS1_3genE8ELNS1_11target_archE1030ELNS1_3gpuE2ELNS1_3repE0EEENS1_30default_config_static_selectorELNS0_4arch9wavefront6targetE0EEEvSH_: ; @_ZN7rocprim17ROCPRIM_400000_NS6detail17trampoline_kernelINS0_14default_configENS1_36segmented_radix_sort_config_selectorIllEEZNS1_25segmented_radix_sort_implIS3_Lb0EPKlPlS8_S9_N2at6native12_GLOBAL__N_18offset_tEEE10hipError_tPvRmT1_PNSt15iterator_traitsISH_E10value_typeET2_T3_PNSI_ISN_E10value_typeET4_jRbjT5_ST_jjP12ihipStream_tbEUlT_E_NS1_11comp_targetILNS1_3genE8ELNS1_11target_archE1030ELNS1_3gpuE2ELNS1_3repE0EEENS1_30default_config_static_selectorELNS0_4arch9wavefront6targetE0EEEvSH_
; %bb.0:
	.section	.rodata,"a",@progbits
	.p2align	6, 0x0
	.amdhsa_kernel _ZN7rocprim17ROCPRIM_400000_NS6detail17trampoline_kernelINS0_14default_configENS1_36segmented_radix_sort_config_selectorIllEEZNS1_25segmented_radix_sort_implIS3_Lb0EPKlPlS8_S9_N2at6native12_GLOBAL__N_18offset_tEEE10hipError_tPvRmT1_PNSt15iterator_traitsISH_E10value_typeET2_T3_PNSI_ISN_E10value_typeET4_jRbjT5_ST_jjP12ihipStream_tbEUlT_E_NS1_11comp_targetILNS1_3genE8ELNS1_11target_archE1030ELNS1_3gpuE2ELNS1_3repE0EEENS1_30default_config_static_selectorELNS0_4arch9wavefront6targetE0EEEvSH_
		.amdhsa_group_segment_fixed_size 0
		.amdhsa_private_segment_fixed_size 0
		.amdhsa_kernarg_size 96
		.amdhsa_user_sgpr_count 2
		.amdhsa_user_sgpr_dispatch_ptr 0
		.amdhsa_user_sgpr_queue_ptr 0
		.amdhsa_user_sgpr_kernarg_segment_ptr 1
		.amdhsa_user_sgpr_dispatch_id 0
		.amdhsa_user_sgpr_kernarg_preload_length 0
		.amdhsa_user_sgpr_kernarg_preload_offset 0
		.amdhsa_user_sgpr_private_segment_size 0
		.amdhsa_wavefront_size32 1
		.amdhsa_uses_dynamic_stack 0
		.amdhsa_enable_private_segment 0
		.amdhsa_system_sgpr_workgroup_id_x 1
		.amdhsa_system_sgpr_workgroup_id_y 0
		.amdhsa_system_sgpr_workgroup_id_z 0
		.amdhsa_system_sgpr_workgroup_info 0
		.amdhsa_system_vgpr_workitem_id 0
		.amdhsa_next_free_vgpr 1
		.amdhsa_next_free_sgpr 1
		.amdhsa_named_barrier_count 0
		.amdhsa_reserve_vcc 0
		.amdhsa_float_round_mode_32 0
		.amdhsa_float_round_mode_16_64 0
		.amdhsa_float_denorm_mode_32 3
		.amdhsa_float_denorm_mode_16_64 3
		.amdhsa_fp16_overflow 0
		.amdhsa_memory_ordered 1
		.amdhsa_forward_progress 1
		.amdhsa_inst_pref_size 0
		.amdhsa_round_robin_scheduling 0
		.amdhsa_exception_fp_ieee_invalid_op 0
		.amdhsa_exception_fp_denorm_src 0
		.amdhsa_exception_fp_ieee_div_zero 0
		.amdhsa_exception_fp_ieee_overflow 0
		.amdhsa_exception_fp_ieee_underflow 0
		.amdhsa_exception_fp_ieee_inexact 0
		.amdhsa_exception_int_div_zero 0
	.end_amdhsa_kernel
	.section	.text._ZN7rocprim17ROCPRIM_400000_NS6detail17trampoline_kernelINS0_14default_configENS1_36segmented_radix_sort_config_selectorIllEEZNS1_25segmented_radix_sort_implIS3_Lb0EPKlPlS8_S9_N2at6native12_GLOBAL__N_18offset_tEEE10hipError_tPvRmT1_PNSt15iterator_traitsISH_E10value_typeET2_T3_PNSI_ISN_E10value_typeET4_jRbjT5_ST_jjP12ihipStream_tbEUlT_E_NS1_11comp_targetILNS1_3genE8ELNS1_11target_archE1030ELNS1_3gpuE2ELNS1_3repE0EEENS1_30default_config_static_selectorELNS0_4arch9wavefront6targetE0EEEvSH_,"axG",@progbits,_ZN7rocprim17ROCPRIM_400000_NS6detail17trampoline_kernelINS0_14default_configENS1_36segmented_radix_sort_config_selectorIllEEZNS1_25segmented_radix_sort_implIS3_Lb0EPKlPlS8_S9_N2at6native12_GLOBAL__N_18offset_tEEE10hipError_tPvRmT1_PNSt15iterator_traitsISH_E10value_typeET2_T3_PNSI_ISN_E10value_typeET4_jRbjT5_ST_jjP12ihipStream_tbEUlT_E_NS1_11comp_targetILNS1_3genE8ELNS1_11target_archE1030ELNS1_3gpuE2ELNS1_3repE0EEENS1_30default_config_static_selectorELNS0_4arch9wavefront6targetE0EEEvSH_,comdat
.Lfunc_end812:
	.size	_ZN7rocprim17ROCPRIM_400000_NS6detail17trampoline_kernelINS0_14default_configENS1_36segmented_radix_sort_config_selectorIllEEZNS1_25segmented_radix_sort_implIS3_Lb0EPKlPlS8_S9_N2at6native12_GLOBAL__N_18offset_tEEE10hipError_tPvRmT1_PNSt15iterator_traitsISH_E10value_typeET2_T3_PNSI_ISN_E10value_typeET4_jRbjT5_ST_jjP12ihipStream_tbEUlT_E_NS1_11comp_targetILNS1_3genE8ELNS1_11target_archE1030ELNS1_3gpuE2ELNS1_3repE0EEENS1_30default_config_static_selectorELNS0_4arch9wavefront6targetE0EEEvSH_, .Lfunc_end812-_ZN7rocprim17ROCPRIM_400000_NS6detail17trampoline_kernelINS0_14default_configENS1_36segmented_radix_sort_config_selectorIllEEZNS1_25segmented_radix_sort_implIS3_Lb0EPKlPlS8_S9_N2at6native12_GLOBAL__N_18offset_tEEE10hipError_tPvRmT1_PNSt15iterator_traitsISH_E10value_typeET2_T3_PNSI_ISN_E10value_typeET4_jRbjT5_ST_jjP12ihipStream_tbEUlT_E_NS1_11comp_targetILNS1_3genE8ELNS1_11target_archE1030ELNS1_3gpuE2ELNS1_3repE0EEENS1_30default_config_static_selectorELNS0_4arch9wavefront6targetE0EEEvSH_
                                        ; -- End function
	.set _ZN7rocprim17ROCPRIM_400000_NS6detail17trampoline_kernelINS0_14default_configENS1_36segmented_radix_sort_config_selectorIllEEZNS1_25segmented_radix_sort_implIS3_Lb0EPKlPlS8_S9_N2at6native12_GLOBAL__N_18offset_tEEE10hipError_tPvRmT1_PNSt15iterator_traitsISH_E10value_typeET2_T3_PNSI_ISN_E10value_typeET4_jRbjT5_ST_jjP12ihipStream_tbEUlT_E_NS1_11comp_targetILNS1_3genE8ELNS1_11target_archE1030ELNS1_3gpuE2ELNS1_3repE0EEENS1_30default_config_static_selectorELNS0_4arch9wavefront6targetE0EEEvSH_.num_vgpr, 0
	.set _ZN7rocprim17ROCPRIM_400000_NS6detail17trampoline_kernelINS0_14default_configENS1_36segmented_radix_sort_config_selectorIllEEZNS1_25segmented_radix_sort_implIS3_Lb0EPKlPlS8_S9_N2at6native12_GLOBAL__N_18offset_tEEE10hipError_tPvRmT1_PNSt15iterator_traitsISH_E10value_typeET2_T3_PNSI_ISN_E10value_typeET4_jRbjT5_ST_jjP12ihipStream_tbEUlT_E_NS1_11comp_targetILNS1_3genE8ELNS1_11target_archE1030ELNS1_3gpuE2ELNS1_3repE0EEENS1_30default_config_static_selectorELNS0_4arch9wavefront6targetE0EEEvSH_.num_agpr, 0
	.set _ZN7rocprim17ROCPRIM_400000_NS6detail17trampoline_kernelINS0_14default_configENS1_36segmented_radix_sort_config_selectorIllEEZNS1_25segmented_radix_sort_implIS3_Lb0EPKlPlS8_S9_N2at6native12_GLOBAL__N_18offset_tEEE10hipError_tPvRmT1_PNSt15iterator_traitsISH_E10value_typeET2_T3_PNSI_ISN_E10value_typeET4_jRbjT5_ST_jjP12ihipStream_tbEUlT_E_NS1_11comp_targetILNS1_3genE8ELNS1_11target_archE1030ELNS1_3gpuE2ELNS1_3repE0EEENS1_30default_config_static_selectorELNS0_4arch9wavefront6targetE0EEEvSH_.numbered_sgpr, 0
	.set _ZN7rocprim17ROCPRIM_400000_NS6detail17trampoline_kernelINS0_14default_configENS1_36segmented_radix_sort_config_selectorIllEEZNS1_25segmented_radix_sort_implIS3_Lb0EPKlPlS8_S9_N2at6native12_GLOBAL__N_18offset_tEEE10hipError_tPvRmT1_PNSt15iterator_traitsISH_E10value_typeET2_T3_PNSI_ISN_E10value_typeET4_jRbjT5_ST_jjP12ihipStream_tbEUlT_E_NS1_11comp_targetILNS1_3genE8ELNS1_11target_archE1030ELNS1_3gpuE2ELNS1_3repE0EEENS1_30default_config_static_selectorELNS0_4arch9wavefront6targetE0EEEvSH_.num_named_barrier, 0
	.set _ZN7rocprim17ROCPRIM_400000_NS6detail17trampoline_kernelINS0_14default_configENS1_36segmented_radix_sort_config_selectorIllEEZNS1_25segmented_radix_sort_implIS3_Lb0EPKlPlS8_S9_N2at6native12_GLOBAL__N_18offset_tEEE10hipError_tPvRmT1_PNSt15iterator_traitsISH_E10value_typeET2_T3_PNSI_ISN_E10value_typeET4_jRbjT5_ST_jjP12ihipStream_tbEUlT_E_NS1_11comp_targetILNS1_3genE8ELNS1_11target_archE1030ELNS1_3gpuE2ELNS1_3repE0EEENS1_30default_config_static_selectorELNS0_4arch9wavefront6targetE0EEEvSH_.private_seg_size, 0
	.set _ZN7rocprim17ROCPRIM_400000_NS6detail17trampoline_kernelINS0_14default_configENS1_36segmented_radix_sort_config_selectorIllEEZNS1_25segmented_radix_sort_implIS3_Lb0EPKlPlS8_S9_N2at6native12_GLOBAL__N_18offset_tEEE10hipError_tPvRmT1_PNSt15iterator_traitsISH_E10value_typeET2_T3_PNSI_ISN_E10value_typeET4_jRbjT5_ST_jjP12ihipStream_tbEUlT_E_NS1_11comp_targetILNS1_3genE8ELNS1_11target_archE1030ELNS1_3gpuE2ELNS1_3repE0EEENS1_30default_config_static_selectorELNS0_4arch9wavefront6targetE0EEEvSH_.uses_vcc, 0
	.set _ZN7rocprim17ROCPRIM_400000_NS6detail17trampoline_kernelINS0_14default_configENS1_36segmented_radix_sort_config_selectorIllEEZNS1_25segmented_radix_sort_implIS3_Lb0EPKlPlS8_S9_N2at6native12_GLOBAL__N_18offset_tEEE10hipError_tPvRmT1_PNSt15iterator_traitsISH_E10value_typeET2_T3_PNSI_ISN_E10value_typeET4_jRbjT5_ST_jjP12ihipStream_tbEUlT_E_NS1_11comp_targetILNS1_3genE8ELNS1_11target_archE1030ELNS1_3gpuE2ELNS1_3repE0EEENS1_30default_config_static_selectorELNS0_4arch9wavefront6targetE0EEEvSH_.uses_flat_scratch, 0
	.set _ZN7rocprim17ROCPRIM_400000_NS6detail17trampoline_kernelINS0_14default_configENS1_36segmented_radix_sort_config_selectorIllEEZNS1_25segmented_radix_sort_implIS3_Lb0EPKlPlS8_S9_N2at6native12_GLOBAL__N_18offset_tEEE10hipError_tPvRmT1_PNSt15iterator_traitsISH_E10value_typeET2_T3_PNSI_ISN_E10value_typeET4_jRbjT5_ST_jjP12ihipStream_tbEUlT_E_NS1_11comp_targetILNS1_3genE8ELNS1_11target_archE1030ELNS1_3gpuE2ELNS1_3repE0EEENS1_30default_config_static_selectorELNS0_4arch9wavefront6targetE0EEEvSH_.has_dyn_sized_stack, 0
	.set _ZN7rocprim17ROCPRIM_400000_NS6detail17trampoline_kernelINS0_14default_configENS1_36segmented_radix_sort_config_selectorIllEEZNS1_25segmented_radix_sort_implIS3_Lb0EPKlPlS8_S9_N2at6native12_GLOBAL__N_18offset_tEEE10hipError_tPvRmT1_PNSt15iterator_traitsISH_E10value_typeET2_T3_PNSI_ISN_E10value_typeET4_jRbjT5_ST_jjP12ihipStream_tbEUlT_E_NS1_11comp_targetILNS1_3genE8ELNS1_11target_archE1030ELNS1_3gpuE2ELNS1_3repE0EEENS1_30default_config_static_selectorELNS0_4arch9wavefront6targetE0EEEvSH_.has_recursion, 0
	.set _ZN7rocprim17ROCPRIM_400000_NS6detail17trampoline_kernelINS0_14default_configENS1_36segmented_radix_sort_config_selectorIllEEZNS1_25segmented_radix_sort_implIS3_Lb0EPKlPlS8_S9_N2at6native12_GLOBAL__N_18offset_tEEE10hipError_tPvRmT1_PNSt15iterator_traitsISH_E10value_typeET2_T3_PNSI_ISN_E10value_typeET4_jRbjT5_ST_jjP12ihipStream_tbEUlT_E_NS1_11comp_targetILNS1_3genE8ELNS1_11target_archE1030ELNS1_3gpuE2ELNS1_3repE0EEENS1_30default_config_static_selectorELNS0_4arch9wavefront6targetE0EEEvSH_.has_indirect_call, 0
	.section	.AMDGPU.csdata,"",@progbits
; Kernel info:
; codeLenInByte = 0
; TotalNumSgprs: 0
; NumVgprs: 0
; ScratchSize: 0
; MemoryBound: 0
; FloatMode: 240
; IeeeMode: 1
; LDSByteSize: 0 bytes/workgroup (compile time only)
; SGPRBlocks: 0
; VGPRBlocks: 0
; NumSGPRsForWavesPerEU: 1
; NumVGPRsForWavesPerEU: 1
; NamedBarCnt: 0
; Occupancy: 16
; WaveLimiterHint : 0
; COMPUTE_PGM_RSRC2:SCRATCH_EN: 0
; COMPUTE_PGM_RSRC2:USER_SGPR: 2
; COMPUTE_PGM_RSRC2:TRAP_HANDLER: 0
; COMPUTE_PGM_RSRC2:TGID_X_EN: 1
; COMPUTE_PGM_RSRC2:TGID_Y_EN: 0
; COMPUTE_PGM_RSRC2:TGID_Z_EN: 0
; COMPUTE_PGM_RSRC2:TIDIG_COMP_CNT: 0
	.text
	.p2align	2                               ; -- Begin function _ZN7rocprim17ROCPRIM_400000_NS6detail26segmented_warp_sort_helperINS1_20WarpSortHelperConfigILj16ELj8ELj256EEEllLi256ELb0EvE4sortIPKlPlS8_S9_EEvT_T0_T1_T2_jjjjRNS5_12storage_typeE
	.type	_ZN7rocprim17ROCPRIM_400000_NS6detail26segmented_warp_sort_helperINS1_20WarpSortHelperConfigILj16ELj8ELj256EEEllLi256ELb0EvE4sortIPKlPlS8_S9_EEvT_T0_T1_T2_jjjjRNS5_12storage_typeE,@function
_ZN7rocprim17ROCPRIM_400000_NS6detail26segmented_warp_sort_helperINS1_20WarpSortHelperConfigILj16ELj8ELj256EEEllLi256ELb0EvE4sortIPKlPlS8_S9_EEvT_T0_T1_T2_jjjjRNS5_12storage_typeE: ; @_ZN7rocprim17ROCPRIM_400000_NS6detail26segmented_warp_sort_helperINS1_20WarpSortHelperConfigILj16ELj8ELj256EEEllLi256ELb0EvE4sortIPKlPlS8_S9_EEvT_T0_T1_T2_jjjjRNS5_12storage_typeE
; %bb.0:
	s_wait_loadcnt_dscnt 0x0
	s_wait_kmcnt 0x0
	v_mov_b32_e32 v12, v9
	v_mbcnt_lo_u32_b32 v9, -1, 0
	v_mov_b64_e32 v[18:19], 0x7fffffffffffffff
	s_delay_alu instid0(VALU_DEP_2) | instskip(SKIP_1) | instid1(VALU_DEP_2)
	v_dual_lshlrev_b32 v70, 3, v9 :: v_dual_sub_nc_u32 v20, v12, v8
	v_mov_b64_e32 v[12:13], 0x7fffffffffffffff
	v_and_b32_e32 v71, 0x78, v70
	v_mov_b32_e32 v9, 0
	s_delay_alu instid0(VALU_DEP_2) | instskip(NEXT) | instid1(VALU_DEP_2)
	v_cmp_lt_u32_e32 vcc_lo, v71, v20
	v_lshl_add_u64 v[14:15], v[8:9], 3, v[0:1]
	v_dual_mov_b32 v1, v9 :: v_dual_lshlrev_b32 v0, 3, v71
	s_delay_alu instid0(VALU_DEP_1)
	v_add_nc_u64_e32 v[16:17], v[14:15], v[0:1]
	s_and_saveexec_b32 s0, vcc_lo
	s_cbranch_execz .LBB813_2
; %bb.1:
	flat_load_b64 v[12:13], v[16:17]
.LBB813_2:
	s_wait_xcnt 0x0
	s_or_b32 exec_lo, exec_lo, s0
	v_or_b32_e32 v1, 1, v71
	s_delay_alu instid0(VALU_DEP_1)
	v_cmp_lt_u32_e64 s0, v1, v20
	s_and_saveexec_b32 s1, s0
	s_cbranch_execz .LBB813_4
; %bb.3:
	flat_load_b64 v[18:19], v[16:17] offset:8
.LBB813_4:
	s_wait_xcnt 0x0
	s_or_b32 exec_lo, exec_lo, s1
	v_or_b32_e32 v1, 2, v71
	v_mov_b64_e32 v[36:37], 0x7fffffffffffffff
	v_mov_b64_e32 v[22:23], 0x7fffffffffffffff
	s_delay_alu instid0(VALU_DEP_3)
	v_cmp_lt_u32_e64 s1, v1, v20
	s_and_saveexec_b32 s2, s1
	s_cbranch_execz .LBB813_6
; %bb.5:
	flat_load_b64 v[22:23], v[16:17] offset:16
.LBB813_6:
	s_wait_xcnt 0x0
	s_or_b32 exec_lo, exec_lo, s2
	v_or_b32_e32 v1, 3, v71
	s_delay_alu instid0(VALU_DEP_1)
	v_cmp_lt_u32_e64 s2, v1, v20
	s_and_saveexec_b32 s3, s2
	s_cbranch_execz .LBB813_8
; %bb.7:
	flat_load_b64 v[36:37], v[16:17] offset:24
.LBB813_8:
	s_wait_xcnt 0x0
	s_or_b32 exec_lo, exec_lo, s3
	v_or_b32_e32 v1, 4, v71
	v_mov_b64_e32 v[24:25], 0x7fffffffffffffff
	v_mov_b64_e32 v[34:35], 0x7fffffffffffffff
	s_delay_alu instid0(VALU_DEP_3)
	v_cmp_lt_u32_e64 s3, v1, v20
	s_and_saveexec_b32 s4, s3
	s_cbranch_execz .LBB813_10
; %bb.9:
	flat_load_b64 v[34:35], v[16:17] offset:32
.LBB813_10:
	;; [unrolled: 22-line block ×3, first 2 shown]
	s_wait_xcnt 0x0
	s_or_b32 exec_lo, exec_lo, s6
	v_or_b32_e32 v1, 7, v71
	s_delay_alu instid0(VALU_DEP_1)
	v_cmp_lt_u32_e64 s6, v1, v20
	s_and_saveexec_b32 s7, s6
	s_cbranch_execz .LBB813_16
; %bb.15:
	flat_load_b64 v[14:15], v[16:17] offset:56
.LBB813_16:
	s_wait_xcnt 0x0
	s_or_b32 exec_lo, exec_lo, s7
	v_lshl_add_u64 v[4:5], v[8:9], 3, v[4:5]
	v_mov_b32_e32 v1, 0
	; wave barrier
	s_delay_alu instid0(VALU_DEP_1)
	v_add_nc_u64_e32 v[52:53], v[4:5], v[0:1]
                                        ; implicit-def: $vgpr4_vgpr5
	s_and_saveexec_b32 s7, vcc_lo
	s_cbranch_execnz .LBB813_243
; %bb.17:
	s_or_b32 exec_lo, exec_lo, s7
	s_and_saveexec_b32 s7, s0
                                        ; implicit-def: $vgpr16_vgpr17
	s_cbranch_execnz .LBB813_244
.LBB813_18:
	s_or_b32 exec_lo, exec_lo, s7
                                        ; implicit-def: $vgpr20_vgpr21
	s_and_saveexec_b32 s7, s1
	s_cbranch_execnz .LBB813_245
.LBB813_19:
	s_or_b32 exec_lo, exec_lo, s7
	s_and_saveexec_b32 s7, s2
                                        ; implicit-def: $vgpr26_vgpr27
	s_cbranch_execnz .LBB813_246
.LBB813_20:
	s_or_b32 exec_lo, exec_lo, s7
                                        ; implicit-def: $vgpr32_vgpr33
	s_and_saveexec_b32 s7, s3
	s_cbranch_execnz .LBB813_247
.LBB813_21:
	s_or_b32 exec_lo, exec_lo, s7
	s_and_saveexec_b32 s7, s4
                                        ; implicit-def: $vgpr38_vgpr39
	s_cbranch_execnz .LBB813_248
.LBB813_22:
	s_or_b32 exec_lo, exec_lo, s7
                                        ; implicit-def: $vgpr28_vgpr29
	s_and_saveexec_b32 s7, s5
	s_cbranch_execnz .LBB813_249
.LBB813_23:
	s_or_b32 exec_lo, exec_lo, s7
	s_and_saveexec_b32 s7, s6
                                        ; implicit-def: $vgpr50_vgpr51
	s_cbranch_execz .LBB813_25
.LBB813_24:
	flat_load_b64 v[50:51], v[52:53] offset:56
.LBB813_25:
	s_wait_xcnt 0x0
	s_or_b32 exec_lo, exec_lo, s7
	v_cmp_ne_u32_e64 s7, 0, v10
	v_cmp_ne_u32_e64 s10, 64, v11
	v_bfe_u32 v30, v31, 10, 10
	v_bfe_u32 v52, v31, 20, 10
	v_and_b32_e32 v1, 0x3ff, v31
	s_mov_b32 s11, 0
	s_or_b32 s7, s7, s10
	s_getreg_b32 s19, hwreg(HW_REG_IB_STS2, 6, 4)
	; wave barrier
	s_and_saveexec_b32 s10, s7
	s_delay_alu instid0(SALU_CYCLE_1)
	s_xor_b32 s20, exec_lo, s10
	s_cbranch_execz .LBB813_125
; %bb.26:
	s_load_b64 s[12:13], s[8:9], 0x0
	s_bfe_u32 s10, ttmp6, 0x4000c
	s_bfe_u32 s15, ttmp6, 0x40010
	s_and_b32 s14, ttmp7, 0xffff
	s_add_co_i32 s10, s10, 1
	s_add_co_i32 s15, s15, 1
	s_and_b32 s7, ttmp6, 15
	s_bfe_u32 s16, ttmp6, 0x40004
	s_mul_i32 s10, ttmp9, s10
	s_mul_i32 s15, s14, s15
	s_add_co_i32 s7, s7, s10
	s_add_co_i32 s16, s16, s15
	s_cmp_eq_u32 s19, 0
	s_cselect_b32 s7, ttmp9, s7
	s_cselect_b32 s14, s14, s16
	s_wait_kmcnt 0x0
	s_cmp_lt_u32 s7, s12
	s_cselect_b32 s10, 12, 18
	s_cmp_lt_u32 s14, s13
	s_mov_b32 s13, s11
	s_cselect_b32 s12, 14, 20
	s_add_nc_u64 s[10:11], s[8:9], s[10:11]
	s_add_nc_u64 s[12:13], s[8:9], s[12:13]
	s_clause 0x1
	s_load_u16 s10, s[10:11], 0x0
	s_nop 0
	s_load_u16 s7, s[12:13], 0x0
	s_wait_kmcnt 0x0
	v_mad_u32_u24 v30, v52, s7, v30
	v_lshlrev_b64_e64 v[52:53], v10, -1
	s_delay_alu instid0(VALU_DEP_2) | instskip(SKIP_2) | instid1(VALU_DEP_1)
	v_mul_lo_u32 v54, v30, s10
	v_lshlrev_b64_e64 v[30:31], v11, -1
	s_mov_b32 s10, exec_lo
	v_xor_b32_e32 v10, v30, v52
	s_delay_alu instid0(VALU_DEP_3) | instskip(NEXT) | instid1(VALU_DEP_3)
	v_add_lshl_u32 v11, v54, v1, 3
	v_xor_b32_e32 v1, v31, v53
	s_delay_alu instid0(VALU_DEP_2)
	v_cmpx_gt_u32_e32 0x800, v11
	s_cbranch_execz .LBB813_84
; %bb.27:
	s_wait_loadcnt_dscnt 0x0
	s_delay_alu instid0(VALU_DEP_2) | instskip(SKIP_3) | instid1(VALU_DEP_1)
	v_and_b32_e32 v31, v19, v1
	v_and_b32_e32 v30, v18, v10
	;; [unrolled: 1-line block ×4, first 2 shown]
	v_cmp_gt_u64_e64 s7, v[52:53], v[30:31]
	v_mov_b64_e32 v[30:31], v[18:19]
	v_mov_b64_e32 v[52:53], v[16:17]
	s_and_saveexec_b32 s11, s7
; %bb.28:
	v_mov_b64_e32 v[30:31], v[12:13]
	v_mov_b64_e32 v[12:13], v[18:19]
	;; [unrolled: 1-line block ×4, first 2 shown]
; %bb.29:
	s_or_b32 exec_lo, exec_lo, s11
	v_mov_b64_e32 v[66:67], v[36:37]
	v_mov_b64_e32 v[54:55], v[26:27]
	v_and_b32_e32 v17, v37, v1
	v_and_b32_e32 v16, v36, v10
	v_and_b32_e32 v19, v23, v1
	v_and_b32_e32 v18, v22, v10
	s_mov_b32 s11, exec_lo
	s_delay_alu instid0(VALU_DEP_1)
	v_cmpx_gt_u64_e64 v[18:19], v[16:17]
; %bb.30:
	v_mov_b64_e32 v[66:67], v[22:23]
	v_mov_b64_e32 v[22:23], v[36:37]
	;; [unrolled: 1-line block ×4, first 2 shown]
; %bb.31:
	s_or_b32 exec_lo, exec_lo, s11
	v_and_b32_e32 v17, v25, v1
	v_and_b32_e32 v16, v24, v10
	;; [unrolled: 1-line block ×4, first 2 shown]
	v_mov_b64_e32 v[64:65], v[34:35]
	s_delay_alu instid0(VALU_DEP_2)
	v_cmp_gt_u64_e64 s7, v[18:19], v[16:17]
	v_mov_b64_e32 v[18:19], v[38:39]
	s_and_saveexec_b32 s11, s7
; %bb.32:
	v_mov_b64_e32 v[18:19], v[32:33]
	v_mov_b64_e32 v[32:33], v[38:39]
	;; [unrolled: 1-line block ×4, first 2 shown]
; %bb.33:
	s_or_b32 exec_lo, exec_lo, s11
	v_and_b32_e32 v17, v15, v1
	v_and_b32_e32 v16, v14, v10
	;; [unrolled: 1-line block ×4, first 2 shown]
	v_mov_b64_e32 v[34:35], v[48:49]
	s_delay_alu instid0(VALU_DEP_2)
	v_cmp_gt_u64_e64 s7, v[26:27], v[16:17]
	v_mov_b64_e32 v[16:17], v[50:51]
	s_and_saveexec_b32 s11, s7
; %bb.34:
	v_mov_b64_e32 v[16:17], v[28:29]
	v_mov_b64_e32 v[28:29], v[50:51]
	;; [unrolled: 1-line block ×4, first 2 shown]
; %bb.35:
	s_or_b32 exec_lo, exec_lo, s11
	v_and_b32_e32 v27, v23, v1
	v_and_b32_e32 v26, v22, v10
	;; [unrolled: 1-line block ×4, first 2 shown]
	s_delay_alu instid0(VALU_DEP_1) | instskip(SKIP_3) | instid1(SALU_CYCLE_1)
	v_cmp_gt_u64_e64 s7, v[36:37], v[26:27]
	v_mov_b64_e32 v[26:27], v[22:23]
	v_mov_b64_e32 v[36:37], v[20:21]
	s_and_saveexec_b32 s11, s7
	s_xor_b32 s7, exec_lo, s11
; %bb.36:
	v_mov_b64_e32 v[26:27], v[30:31]
	v_mov_b64_e32 v[30:31], v[22:23]
	;; [unrolled: 1-line block ×4, first 2 shown]
; %bb.37:
	s_or_b32 exec_lo, exec_lo, s7
	v_mov_b64_e32 v[68:69], v[66:67]
	v_mov_b64_e32 v[38:39], v[32:33]
	v_and_b32_e32 v21, v65, v1
	v_and_b32_e32 v20, v64, v10
	;; [unrolled: 1-line block ×4, first 2 shown]
	s_mov_b32 s11, exec_lo
	s_delay_alu instid0(VALU_DEP_1)
	v_cmpx_gt_u64_e64 v[22:23], v[20:21]
; %bb.38:
	v_mov_b64_e32 v[68:69], v[64:65]
	v_mov_b64_e32 v[38:39], v[54:55]
	;; [unrolled: 1-line block ×4, first 2 shown]
; %bb.39:
	s_or_b32 exec_lo, exec_lo, s11
	v_and_b32_e32 v21, v35, v1
	v_and_b32_e32 v20, v34, v10
	;; [unrolled: 1-line block ×4, first 2 shown]
	v_mov_b64_e32 v[32:33], v[24:25]
	s_delay_alu instid0(VALU_DEP_2)
	v_cmp_gt_u64_e64 s7, v[22:23], v[20:21]
	v_mov_b64_e32 v[20:21], v[28:29]
	s_and_saveexec_b32 s11, s7
; %bb.40:
	v_mov_b64_e32 v[20:21], v[18:19]
	v_mov_b64_e32 v[18:19], v[28:29]
	;; [unrolled: 1-line block ×4, first 2 shown]
; %bb.41:
	s_or_b32 exec_lo, exec_lo, s11
	v_and_b32_e32 v23, v31, v1
	v_and_b32_e32 v22, v30, v10
	;; [unrolled: 1-line block ×4, first 2 shown]
	v_mov_b64_e32 v[48:49], v[52:53]
	s_delay_alu instid0(VALU_DEP_2)
	v_cmp_gt_u64_e64 s7, v[24:25], v[22:23]
	v_mov_b64_e32 v[22:23], v[30:31]
	s_and_saveexec_b32 s11, s7
; %bb.42:
	v_mov_b64_e32 v[22:23], v[12:13]
	v_mov_b64_e32 v[12:13], v[30:31]
	;; [unrolled: 1-line block ×4, first 2 shown]
; %bb.43:
	s_or_b32 exec_lo, exec_lo, s11
	v_mov_b64_e32 v[30:31], v[68:69]
	v_mov_b64_e32 v[50:51], v[54:55]
	v_and_b32_e32 v25, v69, v1
	v_and_b32_e32 v24, v68, v10
	;; [unrolled: 1-line block ×4, first 2 shown]
	s_mov_b32 s11, exec_lo
	s_delay_alu instid0(VALU_DEP_1)
	v_cmpx_gt_u64_e64 v[28:29], v[24:25]
; %bb.44:
	v_mov_b64_e32 v[30:31], v[26:27]
	v_mov_b64_e32 v[26:27], v[68:69]
	v_mov_b64_e32 v[50:51], v[36:37]
	v_mov_b64_e32 v[36:37], v[54:55]
; %bb.45:
	s_or_b32 exec_lo, exec_lo, s11
	v_and_b32_e32 v25, v33, v1
	v_and_b32_e32 v24, v32, v10
	v_and_b32_e32 v29, v65, v1
	v_and_b32_e32 v28, v64, v10
	v_mov_b64_e32 v[66:67], v[64:65]
	s_delay_alu instid0(VALU_DEP_2)
	v_cmp_gt_u64_e64 s7, v[28:29], v[24:25]
	v_mov_b64_e32 v[24:25], v[18:19]
	s_and_saveexec_b32 s11, s7
; %bb.46:
	v_mov_b64_e32 v[24:25], v[38:39]
	v_mov_b64_e32 v[38:39], v[18:19]
	v_mov_b64_e32 v[66:67], v[32:33]
	v_mov_b64_e32 v[32:33], v[64:65]
; %bb.47:
	s_or_b32 exec_lo, exec_lo, s11
	v_and_b32_e32 v19, v15, v1
	v_and_b32_e32 v18, v14, v10
	v_and_b32_e32 v29, v35, v1
	v_and_b32_e32 v28, v34, v10
	v_mov_b64_e32 v[52:53], v[34:35]
	s_delay_alu instid0(VALU_DEP_2)
	v_cmp_gt_u64_e64 s7, v[28:29], v[18:19]
	v_mov_b64_e32 v[18:19], v[16:17]
	s_and_saveexec_b32 s11, s7
	;; [unrolled: 16-line block ×6, first 2 shown]
; %bb.56:
	v_mov_b64_e32 v[30:31], v[12:13]
	v_mov_b64_e32 v[12:13], v[22:23]
	;; [unrolled: 1-line block ×4, first 2 shown]
; %bb.57:
	s_or_b32 exec_lo, exec_lo, s11
	v_mov_b64_e32 v[68:69], v[64:65]
	v_mov_b64_e32 v[48:49], v[50:51]
	v_and_b32_e32 v21, v65, v1
	v_and_b32_e32 v20, v64, v10
	;; [unrolled: 1-line block ×4, first 2 shown]
	s_mov_b32 s11, exec_lo
	s_delay_alu instid0(VALU_DEP_1)
	v_cmpx_gt_u64_e64 v[22:23], v[20:21]
; %bb.58:
	v_mov_b64_e32 v[68:69], v[16:17]
	v_mov_b64_e32 v[16:17], v[64:65]
	;; [unrolled: 1-line block ×4, first 2 shown]
; %bb.59:
	s_or_b32 exec_lo, exec_lo, s11
	v_and_b32_e32 v21, v37, v1
	v_and_b32_e32 v20, v36, v10
	;; [unrolled: 1-line block ×4, first 2 shown]
	v_mov_b64_e32 v[50:51], v[66:67]
	s_delay_alu instid0(VALU_DEP_2)
	v_cmp_gt_u64_e64 s7, v[22:23], v[20:21]
	v_mov_b64_e32 v[22:23], v[24:25]
	s_and_saveexec_b32 s11, s7
; %bb.60:
	v_mov_b64_e32 v[22:23], v[28:29]
	v_mov_b64_e32 v[28:29], v[24:25]
	;; [unrolled: 1-line block ×4, first 2 shown]
; %bb.61:
	s_or_b32 exec_lo, exec_lo, s11
	v_and_b32_e32 v21, v15, v1
	v_and_b32_e32 v20, v14, v10
	;; [unrolled: 1-line block ×4, first 2 shown]
	v_mov_b64_e32 v[64:65], v[52:53]
	s_delay_alu instid0(VALU_DEP_2)
	v_cmp_gt_u64_e64 s7, v[24:25], v[20:21]
	v_mov_b64_e32 v[20:21], v[18:19]
	s_and_saveexec_b32 s11, s7
; %bb.62:
	v_mov_b64_e32 v[20:21], v[26:27]
	v_mov_b64_e32 v[26:27], v[18:19]
	v_mov_b64_e32 v[64:65], v[14:15]
	v_mov_b64_e32 v[14:15], v[52:53]
; %bb.63:
	s_or_b32 exec_lo, exec_lo, s11
	v_mov_b64_e32 v[32:33], v[16:17]
	v_mov_b64_e32 v[52:53], v[34:35]
	v_and_b32_e32 v19, v17, v1
	v_and_b32_e32 v18, v16, v10
	v_and_b32_e32 v25, v31, v1
	v_and_b32_e32 v24, v30, v10
	s_mov_b32 s11, exec_lo
	s_delay_alu instid0(VALU_DEP_1)
	v_cmpx_gt_u64_e64 v[24:25], v[18:19]
; %bb.64:
	v_mov_b64_e32 v[32:33], v[30:31]
	v_mov_b64_e32 v[30:31], v[16:17]
	v_mov_b64_e32 v[52:53], v[54:55]
	v_mov_b64_e32 v[54:55], v[34:35]
; %bb.65:
	s_or_b32 exec_lo, exec_lo, s11
	v_mov_b64_e32 v[34:35], v[68:69]
	v_mov_b64_e32 v[38:39], v[28:29]
	v_and_b32_e32 v17, v51, v1
	v_and_b32_e32 v16, v50, v10
	v_and_b32_e32 v19, v69, v1
	v_and_b32_e32 v18, v68, v10
	s_mov_b32 s11, exec_lo
	s_delay_alu instid0(VALU_DEP_1)
	v_cmpx_gt_u64_e64 v[18:19], v[16:17]
	;; [unrolled: 16-line block ×3, first 2 shown]
; %bb.68:
	v_mov_b64_e32 v[28:29], v[22:23]
	v_mov_b64_e32 v[22:23], v[26:27]
	;; [unrolled: 1-line block ×4, first 2 shown]
; %bb.69:
	s_or_b32 exec_lo, exec_lo, s11
	v_and_b32_e32 v17, v31, v1
	v_and_b32_e32 v16, v30, v10
	;; [unrolled: 1-line block ×4, first 2 shown]
	s_delay_alu instid0(VALU_DEP_1)
	v_cmp_gt_u64_e64 s7, v[18:19], v[16:17]
	v_mov_b64_e32 v[18:19], v[30:31]
	v_mov_b64_e32 v[16:17], v[54:55]
	s_and_saveexec_b32 s11, s7
; %bb.70:
	v_mov_b64_e32 v[18:19], v[12:13]
	v_mov_b64_e32 v[12:13], v[30:31]
	;; [unrolled: 1-line block ×4, first 2 shown]
; %bb.71:
	s_or_b32 exec_lo, exec_lo, s11
	v_and_b32_e32 v27, v35, v1
	v_and_b32_e32 v26, v34, v10
	;; [unrolled: 1-line block ×4, first 2 shown]
	s_delay_alu instid0(VALU_DEP_1)
	v_cmp_gt_u64_e64 s7, v[30:31], v[26:27]
	v_mov_b64_e32 v[30:31], v[34:35]
	v_mov_b64_e32 v[26:27], v[48:49]
	s_and_saveexec_b32 s11, s7
; %bb.72:
	v_mov_b64_e32 v[30:31], v[32:33]
	v_mov_b64_e32 v[32:33], v[34:35]
	;; [unrolled: 1-line block ×4, first 2 shown]
; %bb.73:
	s_or_b32 exec_lo, exec_lo, s11
	v_and_b32_e32 v35, v25, v1
	v_and_b32_e32 v34, v24, v10
	;; [unrolled: 1-line block ×4, first 2 shown]
	v_mov_b64_e32 v[54:55], v[22:23]
	s_delay_alu instid0(VALU_DEP_2)
	v_cmp_gt_u64_e64 s7, v[36:37], v[34:35]
	v_mov_b64_e32 v[34:35], v[50:51]
	s_and_saveexec_b32 s11, s7
; %bb.74:
	v_mov_b64_e32 v[54:55], v[38:39]
	v_mov_b64_e32 v[38:39], v[22:23]
	;; [unrolled: 1-line block ×4, first 2 shown]
; %bb.75:
	s_or_b32 exec_lo, exec_lo, s11
	v_mov_b64_e32 v[50:51], v[20:21]
	v_mov_b64_e32 v[66:67], v[64:65]
	v_and_b32_e32 v23, v15, v1
	v_and_b32_e32 v22, v14, v10
	;; [unrolled: 1-line block ×4, first 2 shown]
	s_mov_b32 s11, exec_lo
	s_delay_alu instid0(VALU_DEP_1)
	v_cmpx_gt_u64_e64 v[36:37], v[22:23]
; %bb.76:
	v_mov_b64_e32 v[50:51], v[28:29]
	v_mov_b64_e32 v[28:29], v[20:21]
	;; [unrolled: 1-line block ×4, first 2 shown]
; %bb.77:
	s_or_b32 exec_lo, exec_lo, s11
	v_and_b32_e32 v21, v33, v1
	v_and_b32_e32 v20, v32, v10
	;; [unrolled: 1-line block ×4, first 2 shown]
	s_delay_alu instid0(VALU_DEP_1)
	v_cmp_gt_u64_e64 s7, v[22:23], v[20:21]
	v_mov_b64_e32 v[22:23], v[32:33]
	v_mov_b64_e32 v[20:21], v[52:53]
	s_and_saveexec_b32 s11, s7
; %bb.78:
	v_mov_b64_e32 v[22:23], v[18:19]
	v_mov_b64_e32 v[18:19], v[32:33]
	;; [unrolled: 1-line block ×4, first 2 shown]
; %bb.79:
	s_or_b32 exec_lo, exec_lo, s11
	v_and_b32_e32 v33, v35, v1
	v_and_b32_e32 v32, v34, v10
	;; [unrolled: 1-line block ×4, first 2 shown]
	s_delay_alu instid0(VALU_DEP_1)
	v_cmp_gt_u64_e64 s7, v[36:37], v[32:33]
	v_mov_b64_e32 v[36:37], v[30:31]
	v_mov_b64_e32 v[32:33], v[38:39]
	s_and_saveexec_b32 s11, s7
; %bb.80:
	v_mov_b64_e32 v[36:37], v[34:35]
	v_mov_b64_e32 v[32:33], v[26:27]
	;; [unrolled: 1-line block ×4, first 2 shown]
; %bb.81:
	s_or_b32 exec_lo, exec_lo, s11
	v_and_b32_e32 v31, v67, v1
	v_and_b32_e32 v30, v66, v10
	;; [unrolled: 1-line block ×4, first 2 shown]
	v_mov_b64_e32 v[48:49], v[66:67]
	s_delay_alu instid0(VALU_DEP_2)
	v_cmp_gt_u64_e64 s7, v[38:39], v[30:31]
	v_mov_b64_e32 v[38:39], v[54:55]
	s_and_saveexec_b32 s11, s7
; %bb.82:
	v_mov_b64_e32 v[48:49], v[24:25]
	v_mov_b64_e32 v[24:25], v[66:67]
	v_mov_b64_e32 v[38:39], v[28:29]
	v_mov_b64_e32 v[28:29], v[54:55]
; %bb.83:
	s_or_b32 exec_lo, exec_lo, s11
.LBB813_84:
	s_delay_alu instid0(SALU_CYCLE_1) | instskip(SKIP_4) | instid1(VALU_DEP_3)
	s_or_b32 exec_lo, exec_lo, s10
	v_and_b32_e32 v11, 0xffffff00, v11
	v_or_b32_e32 v30, 8, v70
	v_and_b32_e32 v68, 0xf0, v70
	s_mov_b32 s10, exec_lo
	v_sub_nc_u32_e64 v31, 0x800, v11 clamp
	v_lshlrev_b32_e32 v11, 3, v11
	s_delay_alu instid0(VALU_DEP_2) | instskip(NEXT) | instid1(VALU_DEP_2)
	v_min_u32_e32 v64, v31, v30
	v_lshl_or_b32 v30, v70, 3, v11
	s_wait_loadcnt_dscnt 0x0
	ds_store_2addr_b64 v30, v[12:13], v[18:19] offset1:1
	ds_store_2addr_b64 v30, v[22:23], v[36:37] offset0:2 offset1:3
	v_add_min_u32_e64 v65, v64, 8, v31
	v_dual_sub_nc_u32 v67, v64, v68 :: v_dual_bitop2_b32 v52, 8, v70 bitop3:0x40
	v_add_nc_u32_e32 v53, 0x4010, v30
	v_add_nc_u32_e32 v54, 0x4020, v30
	s_delay_alu instid0(VALU_DEP_4) | instskip(NEXT) | instid1(VALU_DEP_4)
	v_sub_nc_u32_e32 v55, v65, v64
	v_min_u32_e32 v69, v31, v52
	v_add_nc_u32_e32 v52, 0x4000, v30
	ds_store_2addr_b64 v52, v[4:5], v[16:17] offset1:1
	ds_store_2addr_b64 v53, v[20:21], v[26:27] offset1:1
	v_sub_nc_u32_e64 v66, v69, v55 clamp
	v_min_u32_e32 v80, v69, v67
	v_add_nc_u32_e32 v55, 0x4030, v30
	v_lshl_or_b32 v67, v68, 3, v11
	ds_store_2addr_b64 v30, v[34:35], v[24:25] offset0:4 offset1:5
	ds_store_2addr_b64 v30, v[48:49], v[14:15] offset0:6 offset1:7
	ds_store_2addr_b64 v54, v[32:33], v[38:39] offset1:1
	ds_store_2addr_b64 v55, v[28:29], v[50:51] offset1:1
	; wave barrier
	v_cmpx_lt_u32_e64 v66, v80
	s_cbranch_execz .LBB813_88
; %bb.85:
	v_dual_lshlrev_b32 v81, 3, v64 :: v_dual_lshlrev_b32 v82, 3, v69
	s_mov_b32 s11, 0
	s_delay_alu instid0(VALU_DEP_1)
	v_add3_u32 v81, v11, v81, v82
.LBB813_86:                             ; =>This Inner Loop Header: Depth=1
	v_add_nc_u32_e32 v82, v80, v66
	s_delay_alu instid0(VALU_DEP_1) | instskip(NEXT) | instid1(VALU_DEP_1)
	v_lshrrev_b32_e32 v86, 1, v82
	v_not_b32_e32 v82, v86
	v_lshl_add_u32 v83, v86, 3, v67
	s_delay_alu instid0(VALU_DEP_2)
	v_lshl_add_u32 v84, v82, 3, v81
	ds_load_b64 v[82:83], v83
	ds_load_b64 v[84:85], v84
	s_wait_dscnt 0x1
	v_and_b32_e32 v83, v83, v1
	v_and_b32_e32 v82, v82, v10
	s_wait_dscnt 0x0
	v_and_b32_e32 v85, v85, v1
	v_and_b32_e32 v84, v84, v10
	s_delay_alu instid0(VALU_DEP_1) | instskip(NEXT) | instid1(VALU_DEP_1)
	v_cmp_gt_u64_e64 s7, v[82:83], v[84:85]
	v_dual_add_nc_u32 v82, 1, v86 :: v_dual_cndmask_b32 v80, v80, v86, s7
	s_delay_alu instid0(VALU_DEP_1) | instskip(NEXT) | instid1(VALU_DEP_1)
	v_cndmask_b32_e64 v66, v82, v66, s7
	v_cmp_ge_u32_e64 s7, v66, v80
	s_or_b32 s11, s7, s11
	s_delay_alu instid0(SALU_CYCLE_1)
	s_and_not1_b32 exec_lo, exec_lo, s11
	s_cbranch_execnz .LBB813_86
; %bb.87:
	s_or_b32 exec_lo, exec_lo, s11
.LBB813_88:
	s_delay_alu instid0(SALU_CYCLE_1) | instskip(SKIP_1) | instid1(VALU_DEP_1)
	s_or_b32 exec_lo, exec_lo, s10
	v_dual_add_nc_u32 v69, v64, v69 :: v_dual_add_nc_u32 v68, v66, v68
	v_sub_nc_u32_e32 v69, v69, v66
	s_delay_alu instid0(VALU_DEP_2) | instskip(NEXT) | instid1(VALU_DEP_2)
	v_cmp_le_u32_e64 s7, v68, v64
	v_cmp_le_u32_e64 s10, v69, v65
	s_or_b32 s7, s7, s10
	s_delay_alu instid0(SALU_CYCLE_1)
	s_and_saveexec_b32 s12, s7
	s_cbranch_execz .LBB813_94
; %bb.89:
	v_cmp_lt_u32_e64 s7, v68, v64
                                        ; implicit-def: $vgpr14_vgpr15
	s_and_saveexec_b32 s10, s7
; %bb.90:
	v_lshl_add_u32 v4, v66, 3, v67
	ds_load_b64 v[14:15], v4
; %bb.91:
	s_or_b32 exec_lo, exec_lo, s10
	v_cmp_ge_u32_e64 s10, v69, v65
	s_mov_b32 s13, exec_lo
                                        ; implicit-def: $vgpr16_vgpr17
	v_cmpx_lt_u32_e64 v69, v65
; %bb.92:
	v_lshl_add_u32 v4, v69, 3, v11
	ds_load_b64 v[16:17], v4
; %bb.93:
	s_or_b32 exec_lo, exec_lo, s13
	s_wait_dscnt 0x0
	v_and_b32_e32 v5, v17, v1
	v_and_b32_e32 v4, v16, v10
	v_and_b32_e32 v13, v15, v1
	v_and_b32_e32 v12, v14, v10
	s_delay_alu instid0(VALU_DEP_1) | instskip(SKIP_1) | instid1(SALU_CYCLE_1)
	v_cmp_le_u64_e64 s11, v[12:13], v[4:5]
	s_and_b32 s7, s7, s11
	s_or_b32 s7, s10, s7
	s_delay_alu instid0(SALU_CYCLE_1) | instskip(SKIP_1) | instid1(VALU_DEP_2)
	v_cndmask_b32_e64 v18, v69, v68, s7
	v_cndmask_b32_e64 v19, v65, v64, s7
	v_dual_cndmask_b32 v13, v17, v15, s7 :: v_dual_add_nc_u32 v20, 1, v18
	v_lshl_add_u32 v4, v18, 3, v11
	s_delay_alu instid0(VALU_DEP_2)
	v_add_min_u32_e64 v18, v19, -1, v20
	ds_load_b64 v[4:5], v4 offset:16384
	v_lshl_add_u32 v18, v18, 3, v11
	ds_load_b64 v[18:19], v18
	s_wait_dscnt 0x0
	v_dual_cndmask_b32 v12, v16, v14, s7 :: v_dual_cndmask_b32 v22, v18, v16, s7
	v_cndmask_b32_e64 v21, v19, v17, s7
	v_dual_cndmask_b32 v23, v15, v19, s7 :: v_dual_cndmask_b32 v24, v14, v18, s7
	v_cndmask_b32_e64 v25, v20, v69, s7
	s_delay_alu instid0(VALU_DEP_3) | instskip(SKIP_1) | instid1(VALU_DEP_4)
	v_dual_cndmask_b32 v20, v68, v20, s7 :: v_dual_bitop2_b32 v15, v21, v1 bitop3:0x40
	v_and_b32_e32 v14, v22, v10
	v_and_b32_e32 v17, v23, v1
	;; [unrolled: 1-line block ×3, first 2 shown]
	s_delay_alu instid0(VALU_DEP_4) | instskip(SKIP_1) | instid1(VALU_DEP_3)
	v_cmp_lt_u32_e64 s10, v20, v64
	v_cmp_ge_u32_e64 s7, v25, v65
	v_cmp_le_u64_e64 s11, v[16:17], v[14:15]
	s_and_b32 s10, s10, s11
	s_delay_alu instid0(SALU_CYCLE_1) | instskip(NEXT) | instid1(SALU_CYCLE_1)
	s_or_b32 s7, s7, s10
	v_cndmask_b32_e64 v14, v25, v20, s7
	v_cndmask_b32_e64 v15, v65, v64, s7
	v_dual_cndmask_b32 v18, v22, v24, s7 :: v_dual_cndmask_b32 v19, v21, v23, s7
	s_delay_alu instid0(VALU_DEP_3) | instskip(SKIP_1) | instid1(VALU_DEP_2)
	v_add_nc_u32_e32 v26, 1, v14
	v_lshl_add_u32 v16, v14, 3, v11
	v_add_min_u32_e64 v14, v15, -1, v26
	ds_load_b64 v[16:17], v16 offset:16384
	v_dual_cndmask_b32 v25, v26, v25, s7 :: v_dual_cndmask_b32 v26, v20, v26, s7
	v_lshl_add_u32 v14, v14, 3, v11
	s_delay_alu instid0(VALU_DEP_2)
	v_cmp_lt_u32_e64 s10, v26, v64
	ds_load_b64 v[14:15], v14
	s_wait_dscnt 0x0
	v_dual_cndmask_b32 v27, v15, v21, s7 :: v_dual_cndmask_b32 v28, v14, v22, s7
	v_dual_cndmask_b32 v29, v23, v15, s7 :: v_dual_cndmask_b32 v24, v24, v14, s7
	v_cmp_ge_u32_e64 s7, v25, v65
	s_delay_alu instid0(VALU_DEP_3) | instskip(NEXT) | instid1(VALU_DEP_4)
	v_and_b32_e32 v15, v27, v1
	v_and_b32_e32 v14, v28, v10
	s_delay_alu instid0(VALU_DEP_4) | instskip(SKIP_1) | instid1(VALU_DEP_1)
	v_and_b32_e32 v21, v29, v1
	v_and_b32_e32 v20, v24, v10
	v_cmp_le_u64_e64 s11, v[20:21], v[14:15]
	s_and_b32 s10, s10, s11
	s_delay_alu instid0(SALU_CYCLE_1) | instskip(NEXT) | instid1(SALU_CYCLE_1)
	s_or_b32 s7, s7, s10
	v_cndmask_b32_e64 v14, v25, v26, s7
	v_dual_cndmask_b32 v15, v65, v64, s7 :: v_dual_cndmask_b32 v23, v27, v29, s7
	s_delay_alu instid0(VALU_DEP_2) | instskip(SKIP_1) | instid1(VALU_DEP_2)
	v_dual_cndmask_b32 v22, v28, v24, s7 :: v_dual_add_nc_u32 v32, 1, v14
	v_lshl_add_u32 v20, v14, 3, v11
	v_add_min_u32_e64 v14, v15, -1, v32
	ds_load_b64 v[20:21], v20 offset:16384
	v_lshl_add_u32 v14, v14, 3, v11
	ds_load_b64 v[14:15], v14
	s_wait_dscnt 0x0
	v_dual_cndmask_b32 v33, v15, v27, s7 :: v_dual_cndmask_b32 v28, v14, v28, s7
	v_dual_cndmask_b32 v29, v29, v15, s7 :: v_dual_cndmask_b32 v34, v24, v14, s7
	;; [unrolled: 1-line block ×3, first 2 shown]
	s_delay_alu instid0(VALU_DEP_3) | instskip(NEXT) | instid1(VALU_DEP_3)
	v_and_b32_e32 v14, v28, v10
	v_and_b32_e32 v25, v29, v1
	s_delay_alu instid0(VALU_DEP_4) | instskip(SKIP_3) | instid1(VALU_DEP_3)
	v_and_b32_e32 v24, v34, v10
	v_and_b32_e32 v15, v33, v1
	v_cmp_lt_u32_e64 s10, v32, v64
	v_cmp_ge_u32_e64 s7, v35, v65
	v_cmp_le_u64_e64 s11, v[24:25], v[14:15]
	s_and_b32 s10, s10, s11
	s_delay_alu instid0(SALU_CYCLE_1) | instskip(NEXT) | instid1(SALU_CYCLE_1)
	s_or_b32 s7, s7, s10
	v_cndmask_b32_e64 v14, v35, v32, s7
	v_cndmask_b32_e64 v15, v65, v64, s7
	v_dual_cndmask_b32 v37, v33, v29, s7 :: v_dual_cndmask_b32 v36, v28, v34, s7
	s_delay_alu instid0(VALU_DEP_3) | instskip(SKIP_2) | instid1(VALU_DEP_1)
	v_lshl_add_u32 v24, v14, 3, v11
	ds_load_b64 v[26:27], v24 offset:16384
	v_add_nc_u32_e32 v24, 1, v14
	v_add_min_u32_e64 v14, v15, -1, v24
	s_delay_alu instid0(VALU_DEP_1) | instskip(SKIP_4) | instid1(VALU_DEP_2)
	v_lshl_add_u32 v14, v14, 3, v11
	ds_load_b64 v[14:15], v14
	s_wait_dscnt 0x0
	v_dual_cndmask_b32 v38, v15, v33, s7 :: v_dual_cndmask_b32 v28, v14, v28, s7
	v_dual_cndmask_b32 v29, v29, v15, s7 :: v_dual_cndmask_b32 v39, v34, v14, s7
	v_dual_cndmask_b32 v48, v24, v35, s7 :: v_dual_bitop2_b32 v15, v38, v1 bitop3:0x40
	s_delay_alu instid0(VALU_DEP_2) | instskip(NEXT) | instid1(VALU_DEP_4)
	v_dual_cndmask_b32 v49, v32, v24, s7 :: v_dual_bitop2_b32 v25, v29, v1 bitop3:0x40
	v_and_b32_e32 v14, v28, v10
	s_delay_alu instid0(VALU_DEP_4) | instskip(NEXT) | instid1(VALU_DEP_4)
	v_and_b32_e32 v24, v39, v10
	v_cmp_ge_u32_e64 s7, v48, v65
	s_delay_alu instid0(VALU_DEP_4) | instskip(NEXT) | instid1(VALU_DEP_3)
	v_cmp_lt_u32_e64 s10, v49, v64
	v_cmp_le_u64_e64 s11, v[24:25], v[14:15]
	s_and_b32 s10, s10, s11
	s_delay_alu instid0(SALU_CYCLE_1) | instskip(NEXT) | instid1(SALU_CYCLE_1)
	s_or_b32 s7, s7, s10
	v_dual_cndmask_b32 v14, v48, v49, s7 :: v_dual_cndmask_b32 v15, v65, v64, s7
	v_dual_cndmask_b32 v35, v38, v29, s7 :: v_dual_cndmask_b32 v34, v28, v39, s7
	s_delay_alu instid0(VALU_DEP_2) | instskip(SKIP_2) | instid1(VALU_DEP_1)
	v_lshl_add_u32 v24, v14, 3, v11
	ds_load_b64 v[32:33], v24 offset:16384
	v_add_nc_u32_e32 v24, 1, v14
	v_add_min_u32_e64 v14, v15, -1, v24
	s_delay_alu instid0(VALU_DEP_1)
	v_lshl_add_u32 v14, v14, 3, v11
	ds_load_b64 v[14:15], v14
	s_wait_dscnt 0x0
	v_dual_cndmask_b32 v50, v15, v38, s7 :: v_dual_cndmask_b32 v29, v29, v15, s7
	v_dual_cndmask_b32 v28, v14, v28, s7 :: v_dual_cndmask_b32 v51, v39, v14, s7
	v_cndmask_b32_e64 v48, v24, v48, s7
	s_delay_alu instid0(VALU_DEP_3) | instskip(NEXT) | instid1(VALU_DEP_3)
	v_dual_cndmask_b32 v49, v49, v24, s7 :: v_dual_bitop2_b32 v15, v50, v1 bitop3:0x40
	v_and_b32_e32 v14, v28, v10
	v_and_b32_e32 v25, v29, v1
	;; [unrolled: 1-line block ×3, first 2 shown]
	s_delay_alu instid0(VALU_DEP_4) | instskip(SKIP_1) | instid1(VALU_DEP_3)
	v_cmp_lt_u32_e64 s10, v49, v64
	v_cmp_ge_u32_e64 s7, v48, v65
	v_cmp_le_u64_e64 s11, v[24:25], v[14:15]
	s_and_b32 s10, s10, s11
	s_delay_alu instid0(SALU_CYCLE_1) | instskip(NEXT) | instid1(SALU_CYCLE_1)
	s_or_b32 s7, s7, s10
	v_dual_cndmask_b32 v14, v48, v49, s7 :: v_dual_cndmask_b32 v15, v65, v64, s7
	v_dual_cndmask_b32 v25, v50, v29, s7 :: v_dual_cndmask_b32 v24, v28, v51, s7
	s_delay_alu instid0(VALU_DEP_2) | instskip(SKIP_1) | instid1(VALU_DEP_2)
	v_add_nc_u32_e32 v66, 1, v14
	v_lshl_add_u32 v38, v14, 3, v11
	v_add_min_u32_e64 v14, v15, -1, v66
	ds_load_b64 v[38:39], v38 offset:16384
	v_dual_cndmask_b32 v69, v66, v48, s7 :: v_dual_cndmask_b32 v66, v49, v66, s7
	v_lshl_add_u32 v14, v14, 3, v11
	s_delay_alu instid0(VALU_DEP_2)
	v_cmp_lt_u32_e64 s10, v66, v64
	ds_load_b64 v[14:15], v14
	s_wait_dscnt 0x0
	v_dual_cndmask_b32 v50, v15, v50, s7 :: v_dual_cndmask_b32 v67, v14, v28, s7
	v_dual_cndmask_b32 v68, v29, v15, s7 :: v_dual_cndmask_b32 v51, v51, v14, s7
	v_cmp_ge_u32_e64 s7, v69, v65
	s_delay_alu instid0(VALU_DEP_3) | instskip(NEXT) | instid1(VALU_DEP_4)
	v_and_b32_e32 v15, v50, v1
	v_and_b32_e32 v14, v67, v10
	s_delay_alu instid0(VALU_DEP_4) | instskip(SKIP_1) | instid1(VALU_DEP_1)
	v_and_b32_e32 v29, v68, v1
	v_and_b32_e32 v28, v51, v10
	v_cmp_le_u64_e64 s11, v[28:29], v[14:15]
	s_and_b32 s10, s10, s11
	s_delay_alu instid0(SALU_CYCLE_1) | instskip(NEXT) | instid1(SALU_CYCLE_1)
	s_or_b32 s7, s7, s10
	v_cndmask_b32_e64 v14, v69, v66, s7
	v_dual_cndmask_b32 v15, v65, v64, s7 :: v_dual_cndmask_b32 v48, v67, v51, s7
	s_delay_alu instid0(VALU_DEP_2) | instskip(SKIP_1) | instid1(VALU_DEP_2)
	v_dual_cndmask_b32 v49, v50, v68, s7 :: v_dual_add_nc_u32 v80, 1, v14
	v_lshl_add_u32 v28, v14, 3, v11
	v_add_min_u32_e64 v14, v15, -1, v80
	ds_load_b64 v[28:29], v28 offset:16384
	v_cndmask_b32_e64 v69, v80, v69, s7
	v_lshl_add_u32 v14, v14, 3, v11
	ds_load_b64 v[14:15], v14
	s_wait_dscnt 0x0
	v_dual_cndmask_b32 v81, v15, v50, s7 :: v_dual_cndmask_b32 v68, v68, v15, s7
	v_dual_cndmask_b32 v67, v14, v67, s7 :: v_dual_cndmask_b32 v82, v51, v14, s7
	s_delay_alu instid0(VALU_DEP_2) | instskip(NEXT) | instid1(VALU_DEP_3)
	v_dual_cndmask_b32 v66, v66, v80, s7 :: v_dual_bitop2_b32 v15, v81, v1 bitop3:0x40
	v_and_b32_e32 v51, v68, v1
	s_delay_alu instid0(VALU_DEP_3) | instskip(NEXT) | instid1(VALU_DEP_4)
	v_and_b32_e32 v14, v67, v10
	v_and_b32_e32 v50, v82, v10
	s_delay_alu instid0(VALU_DEP_4) | instskip(SKIP_1) | instid1(VALU_DEP_3)
	v_cmp_lt_u32_e64 s10, v66, v64
	v_cmp_ge_u32_e64 s7, v69, v65
	v_cmp_le_u64_e64 s11, v[50:51], v[14:15]
	s_and_b32 s10, s10, s11
	s_delay_alu instid0(SALU_CYCLE_1) | instskip(NEXT) | instid1(SALU_CYCLE_1)
	s_or_b32 s7, s7, s10
	v_cndmask_b32_e64 v50, v69, v66, s7
	v_dual_cndmask_b32 v15, v81, v68, s7 :: v_dual_cndmask_b32 v14, v67, v82, s7
	s_delay_alu instid0(VALU_DEP_2)
	v_lshl_add_u32 v50, v50, 3, v11
	ds_load_b64 v[50:51], v50 offset:16384
.LBB813_94:
	s_or_b32 exec_lo, exec_lo, s12
	v_and_b32_e32 v68, 0xe0, v70
	s_mov_b32 s10, exec_lo
	; wave barrier
	ds_store_2addr_b64 v30, v[12:13], v[18:19] offset1:1
	ds_store_2addr_b64 v30, v[22:23], v[36:37] offset0:2 offset1:3
	v_or_b32_e32 v64, 16, v68
	ds_store_2addr_b64 v52, v[4:5], v[16:17] offset1:1
	ds_store_2addr_b64 v53, v[20:21], v[26:27] offset1:1
	ds_store_2addr_b64 v30, v[34:35], v[24:25] offset0:4 offset1:5
	ds_store_2addr_b64 v30, v[48:49], v[14:15] offset0:6 offset1:7
	ds_store_2addr_b64 v54, v[32:33], v[38:39] offset1:1
	s_wait_dscnt 0x7
	ds_store_2addr_b64 v55, v[28:29], v[50:51] offset1:1
	; wave barrier
	v_min_u32_e32 v64, v31, v64
	s_delay_alu instid0(VALU_DEP_1) | instskip(NEXT) | instid1(VALU_DEP_1)
	v_add_min_u32_e64 v65, v64, 16, v31
	v_dual_sub_nc_u32 v67, v65, v64 :: v_dual_bitop2_b32 v66, 24, v70 bitop3:0x40
	s_delay_alu instid0(VALU_DEP_1) | instskip(SKIP_1) | instid1(VALU_DEP_1)
	v_min_u32_e32 v69, v31, v66
	v_sub_nc_u32_e32 v66, v64, v68
	v_min_u32_e32 v80, v69, v66
	s_delay_alu instid0(VALU_DEP_4) | instskip(SKIP_1) | instid1(VALU_DEP_2)
	v_sub_nc_u32_e64 v66, v69, v67 clamp
	v_lshl_add_u32 v67, v68, 3, v11
	v_cmpx_lt_u32_e64 v66, v80
	s_cbranch_execz .LBB813_98
; %bb.95:
	v_dual_lshlrev_b32 v81, 3, v64 :: v_dual_lshlrev_b32 v82, 3, v69
	s_mov_b32 s11, 0
	s_delay_alu instid0(VALU_DEP_1)
	v_add3_u32 v81, v11, v81, v82
.LBB813_96:                             ; =>This Inner Loop Header: Depth=1
	v_add_nc_u32_e32 v82, v80, v66
	s_delay_alu instid0(VALU_DEP_1) | instskip(NEXT) | instid1(VALU_DEP_1)
	v_lshrrev_b32_e32 v86, 1, v82
	v_not_b32_e32 v82, v86
	v_lshl_add_u32 v83, v86, 3, v67
	s_delay_alu instid0(VALU_DEP_2)
	v_lshl_add_u32 v84, v82, 3, v81
	ds_load_b64 v[82:83], v83
	ds_load_b64 v[84:85], v84
	s_wait_dscnt 0x1
	v_and_b32_e32 v83, v83, v1
	v_and_b32_e32 v82, v82, v10
	s_wait_dscnt 0x0
	v_and_b32_e32 v85, v85, v1
	v_and_b32_e32 v84, v84, v10
	s_delay_alu instid0(VALU_DEP_1) | instskip(NEXT) | instid1(VALU_DEP_1)
	v_cmp_gt_u64_e64 s7, v[82:83], v[84:85]
	v_dual_add_nc_u32 v82, 1, v86 :: v_dual_cndmask_b32 v80, v80, v86, s7
	s_delay_alu instid0(VALU_DEP_1) | instskip(NEXT) | instid1(VALU_DEP_1)
	v_cndmask_b32_e64 v66, v82, v66, s7
	v_cmp_ge_u32_e64 s7, v66, v80
	s_or_b32 s11, s7, s11
	s_delay_alu instid0(SALU_CYCLE_1)
	s_and_not1_b32 exec_lo, exec_lo, s11
	s_cbranch_execnz .LBB813_96
; %bb.97:
	s_or_b32 exec_lo, exec_lo, s11
.LBB813_98:
	s_delay_alu instid0(SALU_CYCLE_1) | instskip(SKIP_1) | instid1(VALU_DEP_1)
	s_or_b32 exec_lo, exec_lo, s10
	v_dual_add_nc_u32 v69, v64, v69 :: v_dual_add_nc_u32 v68, v66, v68
	v_sub_nc_u32_e32 v69, v69, v66
	s_delay_alu instid0(VALU_DEP_2) | instskip(NEXT) | instid1(VALU_DEP_2)
	v_cmp_le_u32_e64 s7, v68, v64
	v_cmp_le_u32_e64 s10, v69, v65
	s_or_b32 s7, s7, s10
	s_delay_alu instid0(SALU_CYCLE_1)
	s_and_saveexec_b32 s12, s7
	s_cbranch_execz .LBB813_104
; %bb.99:
	v_cmp_lt_u32_e64 s7, v68, v64
                                        ; implicit-def: $vgpr14_vgpr15
	s_and_saveexec_b32 s10, s7
; %bb.100:
	v_lshl_add_u32 v4, v66, 3, v67
	ds_load_b64 v[14:15], v4
; %bb.101:
	s_or_b32 exec_lo, exec_lo, s10
	v_cmp_ge_u32_e64 s10, v69, v65
	s_mov_b32 s13, exec_lo
                                        ; implicit-def: $vgpr16_vgpr17
	v_cmpx_lt_u32_e64 v69, v65
; %bb.102:
	v_lshl_add_u32 v4, v69, 3, v11
	ds_load_b64 v[16:17], v4
; %bb.103:
	s_or_b32 exec_lo, exec_lo, s13
	s_wait_dscnt 0x0
	v_and_b32_e32 v5, v17, v1
	v_and_b32_e32 v4, v16, v10
	v_and_b32_e32 v13, v15, v1
	v_and_b32_e32 v12, v14, v10
	s_delay_alu instid0(VALU_DEP_1) | instskip(SKIP_1) | instid1(SALU_CYCLE_1)
	v_cmp_le_u64_e64 s11, v[12:13], v[4:5]
	s_and_b32 s7, s7, s11
	s_or_b32 s7, s10, s7
	s_delay_alu instid0(SALU_CYCLE_1) | instskip(SKIP_1) | instid1(VALU_DEP_2)
	v_cndmask_b32_e64 v18, v69, v68, s7
	v_cndmask_b32_e64 v19, v65, v64, s7
	v_dual_cndmask_b32 v13, v17, v15, s7 :: v_dual_add_nc_u32 v20, 1, v18
	v_lshl_add_u32 v4, v18, 3, v11
	s_delay_alu instid0(VALU_DEP_2)
	v_add_min_u32_e64 v18, v19, -1, v20
	ds_load_b64 v[4:5], v4 offset:16384
	v_lshl_add_u32 v18, v18, 3, v11
	ds_load_b64 v[18:19], v18
	s_wait_dscnt 0x0
	v_dual_cndmask_b32 v12, v16, v14, s7 :: v_dual_cndmask_b32 v22, v18, v16, s7
	v_cndmask_b32_e64 v21, v19, v17, s7
	v_dual_cndmask_b32 v23, v15, v19, s7 :: v_dual_cndmask_b32 v24, v14, v18, s7
	v_cndmask_b32_e64 v25, v20, v69, s7
	s_delay_alu instid0(VALU_DEP_3) | instskip(SKIP_1) | instid1(VALU_DEP_4)
	v_dual_cndmask_b32 v20, v68, v20, s7 :: v_dual_bitop2_b32 v15, v21, v1 bitop3:0x40
	v_and_b32_e32 v14, v22, v10
	v_and_b32_e32 v17, v23, v1
	;; [unrolled: 1-line block ×3, first 2 shown]
	s_delay_alu instid0(VALU_DEP_4) | instskip(SKIP_1) | instid1(VALU_DEP_3)
	v_cmp_lt_u32_e64 s10, v20, v64
	v_cmp_ge_u32_e64 s7, v25, v65
	v_cmp_le_u64_e64 s11, v[16:17], v[14:15]
	s_and_b32 s10, s10, s11
	s_delay_alu instid0(SALU_CYCLE_1) | instskip(NEXT) | instid1(SALU_CYCLE_1)
	s_or_b32 s7, s7, s10
	v_cndmask_b32_e64 v14, v25, v20, s7
	v_cndmask_b32_e64 v15, v65, v64, s7
	v_dual_cndmask_b32 v18, v22, v24, s7 :: v_dual_cndmask_b32 v19, v21, v23, s7
	s_delay_alu instid0(VALU_DEP_3) | instskip(SKIP_1) | instid1(VALU_DEP_2)
	v_add_nc_u32_e32 v26, 1, v14
	v_lshl_add_u32 v16, v14, 3, v11
	v_add_min_u32_e64 v14, v15, -1, v26
	ds_load_b64 v[16:17], v16 offset:16384
	v_dual_cndmask_b32 v25, v26, v25, s7 :: v_dual_cndmask_b32 v26, v20, v26, s7
	v_lshl_add_u32 v14, v14, 3, v11
	s_delay_alu instid0(VALU_DEP_2)
	v_cmp_lt_u32_e64 s10, v26, v64
	ds_load_b64 v[14:15], v14
	s_wait_dscnt 0x0
	v_dual_cndmask_b32 v27, v15, v21, s7 :: v_dual_cndmask_b32 v28, v14, v22, s7
	v_dual_cndmask_b32 v29, v23, v15, s7 :: v_dual_cndmask_b32 v24, v24, v14, s7
	v_cmp_ge_u32_e64 s7, v25, v65
	s_delay_alu instid0(VALU_DEP_3) | instskip(NEXT) | instid1(VALU_DEP_4)
	v_and_b32_e32 v15, v27, v1
	v_and_b32_e32 v14, v28, v10
	s_delay_alu instid0(VALU_DEP_4) | instskip(SKIP_1) | instid1(VALU_DEP_1)
	v_and_b32_e32 v21, v29, v1
	v_and_b32_e32 v20, v24, v10
	v_cmp_le_u64_e64 s11, v[20:21], v[14:15]
	s_and_b32 s10, s10, s11
	s_delay_alu instid0(SALU_CYCLE_1) | instskip(NEXT) | instid1(SALU_CYCLE_1)
	s_or_b32 s7, s7, s10
	v_cndmask_b32_e64 v14, v25, v26, s7
	v_dual_cndmask_b32 v15, v65, v64, s7 :: v_dual_cndmask_b32 v23, v27, v29, s7
	s_delay_alu instid0(VALU_DEP_2) | instskip(SKIP_1) | instid1(VALU_DEP_2)
	v_dual_cndmask_b32 v22, v28, v24, s7 :: v_dual_add_nc_u32 v32, 1, v14
	v_lshl_add_u32 v20, v14, 3, v11
	v_add_min_u32_e64 v14, v15, -1, v32
	ds_load_b64 v[20:21], v20 offset:16384
	v_lshl_add_u32 v14, v14, 3, v11
	ds_load_b64 v[14:15], v14
	s_wait_dscnt 0x0
	v_dual_cndmask_b32 v33, v15, v27, s7 :: v_dual_cndmask_b32 v28, v14, v28, s7
	v_dual_cndmask_b32 v29, v29, v15, s7 :: v_dual_cndmask_b32 v34, v24, v14, s7
	v_dual_cndmask_b32 v35, v32, v25, s7 :: v_dual_cndmask_b32 v32, v26, v32, s7
	s_delay_alu instid0(VALU_DEP_3) | instskip(NEXT) | instid1(VALU_DEP_3)
	v_and_b32_e32 v14, v28, v10
	v_and_b32_e32 v25, v29, v1
	s_delay_alu instid0(VALU_DEP_4) | instskip(SKIP_3) | instid1(VALU_DEP_3)
	v_and_b32_e32 v24, v34, v10
	v_and_b32_e32 v15, v33, v1
	v_cmp_lt_u32_e64 s10, v32, v64
	v_cmp_ge_u32_e64 s7, v35, v65
	v_cmp_le_u64_e64 s11, v[24:25], v[14:15]
	s_and_b32 s10, s10, s11
	s_delay_alu instid0(SALU_CYCLE_1) | instskip(NEXT) | instid1(SALU_CYCLE_1)
	s_or_b32 s7, s7, s10
	v_cndmask_b32_e64 v14, v35, v32, s7
	v_cndmask_b32_e64 v15, v65, v64, s7
	v_dual_cndmask_b32 v37, v33, v29, s7 :: v_dual_cndmask_b32 v36, v28, v34, s7
	s_delay_alu instid0(VALU_DEP_3) | instskip(SKIP_2) | instid1(VALU_DEP_1)
	v_lshl_add_u32 v24, v14, 3, v11
	ds_load_b64 v[26:27], v24 offset:16384
	v_add_nc_u32_e32 v24, 1, v14
	v_add_min_u32_e64 v14, v15, -1, v24
	s_delay_alu instid0(VALU_DEP_1) | instskip(SKIP_4) | instid1(VALU_DEP_2)
	v_lshl_add_u32 v14, v14, 3, v11
	ds_load_b64 v[14:15], v14
	s_wait_dscnt 0x0
	v_dual_cndmask_b32 v38, v15, v33, s7 :: v_dual_cndmask_b32 v28, v14, v28, s7
	v_dual_cndmask_b32 v29, v29, v15, s7 :: v_dual_cndmask_b32 v39, v34, v14, s7
	v_dual_cndmask_b32 v48, v24, v35, s7 :: v_dual_bitop2_b32 v15, v38, v1 bitop3:0x40
	s_delay_alu instid0(VALU_DEP_2) | instskip(NEXT) | instid1(VALU_DEP_4)
	v_dual_cndmask_b32 v49, v32, v24, s7 :: v_dual_bitop2_b32 v25, v29, v1 bitop3:0x40
	v_and_b32_e32 v14, v28, v10
	s_delay_alu instid0(VALU_DEP_4) | instskip(NEXT) | instid1(VALU_DEP_4)
	v_and_b32_e32 v24, v39, v10
	v_cmp_ge_u32_e64 s7, v48, v65
	s_delay_alu instid0(VALU_DEP_4) | instskip(NEXT) | instid1(VALU_DEP_3)
	v_cmp_lt_u32_e64 s10, v49, v64
	v_cmp_le_u64_e64 s11, v[24:25], v[14:15]
	s_and_b32 s10, s10, s11
	s_delay_alu instid0(SALU_CYCLE_1) | instskip(NEXT) | instid1(SALU_CYCLE_1)
	s_or_b32 s7, s7, s10
	v_dual_cndmask_b32 v14, v48, v49, s7 :: v_dual_cndmask_b32 v15, v65, v64, s7
	v_dual_cndmask_b32 v35, v38, v29, s7 :: v_dual_cndmask_b32 v34, v28, v39, s7
	s_delay_alu instid0(VALU_DEP_2) | instskip(SKIP_2) | instid1(VALU_DEP_1)
	v_lshl_add_u32 v24, v14, 3, v11
	ds_load_b64 v[32:33], v24 offset:16384
	v_add_nc_u32_e32 v24, 1, v14
	v_add_min_u32_e64 v14, v15, -1, v24
	s_delay_alu instid0(VALU_DEP_1)
	v_lshl_add_u32 v14, v14, 3, v11
	ds_load_b64 v[14:15], v14
	s_wait_dscnt 0x0
	v_dual_cndmask_b32 v50, v15, v38, s7 :: v_dual_cndmask_b32 v29, v29, v15, s7
	v_dual_cndmask_b32 v28, v14, v28, s7 :: v_dual_cndmask_b32 v51, v39, v14, s7
	v_cndmask_b32_e64 v48, v24, v48, s7
	s_delay_alu instid0(VALU_DEP_3) | instskip(NEXT) | instid1(VALU_DEP_3)
	v_dual_cndmask_b32 v49, v49, v24, s7 :: v_dual_bitop2_b32 v15, v50, v1 bitop3:0x40
	v_and_b32_e32 v14, v28, v10
	v_and_b32_e32 v25, v29, v1
	;; [unrolled: 1-line block ×3, first 2 shown]
	s_delay_alu instid0(VALU_DEP_4) | instskip(SKIP_1) | instid1(VALU_DEP_3)
	v_cmp_lt_u32_e64 s10, v49, v64
	v_cmp_ge_u32_e64 s7, v48, v65
	v_cmp_le_u64_e64 s11, v[24:25], v[14:15]
	s_and_b32 s10, s10, s11
	s_delay_alu instid0(SALU_CYCLE_1) | instskip(NEXT) | instid1(SALU_CYCLE_1)
	s_or_b32 s7, s7, s10
	v_dual_cndmask_b32 v14, v48, v49, s7 :: v_dual_cndmask_b32 v15, v65, v64, s7
	v_dual_cndmask_b32 v25, v50, v29, s7 :: v_dual_cndmask_b32 v24, v28, v51, s7
	s_delay_alu instid0(VALU_DEP_2) | instskip(SKIP_1) | instid1(VALU_DEP_2)
	v_add_nc_u32_e32 v66, 1, v14
	v_lshl_add_u32 v38, v14, 3, v11
	v_add_min_u32_e64 v14, v15, -1, v66
	ds_load_b64 v[38:39], v38 offset:16384
	v_dual_cndmask_b32 v69, v66, v48, s7 :: v_dual_cndmask_b32 v66, v49, v66, s7
	v_lshl_add_u32 v14, v14, 3, v11
	s_delay_alu instid0(VALU_DEP_2)
	v_cmp_lt_u32_e64 s10, v66, v64
	ds_load_b64 v[14:15], v14
	s_wait_dscnt 0x0
	v_dual_cndmask_b32 v50, v15, v50, s7 :: v_dual_cndmask_b32 v67, v14, v28, s7
	v_dual_cndmask_b32 v68, v29, v15, s7 :: v_dual_cndmask_b32 v51, v51, v14, s7
	v_cmp_ge_u32_e64 s7, v69, v65
	s_delay_alu instid0(VALU_DEP_3) | instskip(NEXT) | instid1(VALU_DEP_4)
	v_and_b32_e32 v15, v50, v1
	v_and_b32_e32 v14, v67, v10
	s_delay_alu instid0(VALU_DEP_4) | instskip(SKIP_1) | instid1(VALU_DEP_1)
	v_and_b32_e32 v29, v68, v1
	v_and_b32_e32 v28, v51, v10
	v_cmp_le_u64_e64 s11, v[28:29], v[14:15]
	s_and_b32 s10, s10, s11
	s_delay_alu instid0(SALU_CYCLE_1) | instskip(NEXT) | instid1(SALU_CYCLE_1)
	s_or_b32 s7, s7, s10
	v_cndmask_b32_e64 v14, v69, v66, s7
	v_dual_cndmask_b32 v15, v65, v64, s7 :: v_dual_cndmask_b32 v48, v67, v51, s7
	s_delay_alu instid0(VALU_DEP_2) | instskip(SKIP_1) | instid1(VALU_DEP_2)
	v_dual_cndmask_b32 v49, v50, v68, s7 :: v_dual_add_nc_u32 v80, 1, v14
	v_lshl_add_u32 v28, v14, 3, v11
	v_add_min_u32_e64 v14, v15, -1, v80
	ds_load_b64 v[28:29], v28 offset:16384
	v_cndmask_b32_e64 v69, v80, v69, s7
	v_lshl_add_u32 v14, v14, 3, v11
	ds_load_b64 v[14:15], v14
	s_wait_dscnt 0x0
	v_dual_cndmask_b32 v81, v15, v50, s7 :: v_dual_cndmask_b32 v68, v68, v15, s7
	v_dual_cndmask_b32 v67, v14, v67, s7 :: v_dual_cndmask_b32 v82, v51, v14, s7
	s_delay_alu instid0(VALU_DEP_2) | instskip(NEXT) | instid1(VALU_DEP_3)
	v_dual_cndmask_b32 v66, v66, v80, s7 :: v_dual_bitop2_b32 v15, v81, v1 bitop3:0x40
	v_and_b32_e32 v51, v68, v1
	s_delay_alu instid0(VALU_DEP_3) | instskip(NEXT) | instid1(VALU_DEP_4)
	v_and_b32_e32 v14, v67, v10
	v_and_b32_e32 v50, v82, v10
	s_delay_alu instid0(VALU_DEP_4) | instskip(SKIP_1) | instid1(VALU_DEP_3)
	v_cmp_lt_u32_e64 s10, v66, v64
	v_cmp_ge_u32_e64 s7, v69, v65
	v_cmp_le_u64_e64 s11, v[50:51], v[14:15]
	s_and_b32 s10, s10, s11
	s_delay_alu instid0(SALU_CYCLE_1) | instskip(NEXT) | instid1(SALU_CYCLE_1)
	s_or_b32 s7, s7, s10
	v_cndmask_b32_e64 v50, v69, v66, s7
	v_dual_cndmask_b32 v15, v81, v68, s7 :: v_dual_cndmask_b32 v14, v67, v82, s7
	s_delay_alu instid0(VALU_DEP_2)
	v_lshl_add_u32 v50, v50, 3, v11
	ds_load_b64 v[50:51], v50 offset:16384
.LBB813_104:
	s_or_b32 exec_lo, exec_lo, s12
	v_and_b32_e32 v68, 0xc0, v70
	s_mov_b32 s10, exec_lo
	; wave barrier
	ds_store_2addr_b64 v30, v[12:13], v[18:19] offset1:1
	ds_store_2addr_b64 v30, v[22:23], v[36:37] offset0:2 offset1:3
	v_or_b32_e32 v64, 32, v68
	ds_store_2addr_b64 v52, v[4:5], v[16:17] offset1:1
	ds_store_2addr_b64 v53, v[20:21], v[26:27] offset1:1
	ds_store_2addr_b64 v30, v[34:35], v[24:25] offset0:4 offset1:5
	ds_store_2addr_b64 v30, v[48:49], v[14:15] offset0:6 offset1:7
	ds_store_2addr_b64 v54, v[32:33], v[38:39] offset1:1
	s_wait_dscnt 0x7
	ds_store_2addr_b64 v55, v[28:29], v[50:51] offset1:1
	; wave barrier
	v_min_u32_e32 v64, v31, v64
	s_delay_alu instid0(VALU_DEP_1) | instskip(NEXT) | instid1(VALU_DEP_1)
	v_add_min_u32_e64 v65, v64, 32, v31
	v_dual_sub_nc_u32 v67, v65, v64 :: v_dual_bitop2_b32 v66, 56, v70 bitop3:0x40
	s_delay_alu instid0(VALU_DEP_1) | instskip(SKIP_1) | instid1(VALU_DEP_1)
	v_min_u32_e32 v69, v31, v66
	v_sub_nc_u32_e32 v66, v64, v68
	v_min_u32_e32 v80, v69, v66
	s_delay_alu instid0(VALU_DEP_4) | instskip(SKIP_1) | instid1(VALU_DEP_2)
	v_sub_nc_u32_e64 v66, v69, v67 clamp
	v_lshl_add_u32 v67, v68, 3, v11
	v_cmpx_lt_u32_e64 v66, v80
	s_cbranch_execz .LBB813_108
; %bb.105:
	v_dual_lshlrev_b32 v81, 3, v64 :: v_dual_lshlrev_b32 v82, 3, v69
	s_mov_b32 s11, 0
	s_delay_alu instid0(VALU_DEP_1)
	v_add3_u32 v81, v11, v81, v82
.LBB813_106:                            ; =>This Inner Loop Header: Depth=1
	v_add_nc_u32_e32 v82, v80, v66
	s_delay_alu instid0(VALU_DEP_1) | instskip(NEXT) | instid1(VALU_DEP_1)
	v_lshrrev_b32_e32 v86, 1, v82
	v_not_b32_e32 v82, v86
	v_lshl_add_u32 v83, v86, 3, v67
	s_delay_alu instid0(VALU_DEP_2)
	v_lshl_add_u32 v84, v82, 3, v81
	ds_load_b64 v[82:83], v83
	ds_load_b64 v[84:85], v84
	s_wait_dscnt 0x1
	v_and_b32_e32 v83, v83, v1
	v_and_b32_e32 v82, v82, v10
	s_wait_dscnt 0x0
	v_and_b32_e32 v85, v85, v1
	v_and_b32_e32 v84, v84, v10
	s_delay_alu instid0(VALU_DEP_1) | instskip(NEXT) | instid1(VALU_DEP_1)
	v_cmp_gt_u64_e64 s7, v[82:83], v[84:85]
	v_dual_add_nc_u32 v82, 1, v86 :: v_dual_cndmask_b32 v80, v80, v86, s7
	s_delay_alu instid0(VALU_DEP_1) | instskip(NEXT) | instid1(VALU_DEP_1)
	v_cndmask_b32_e64 v66, v82, v66, s7
	v_cmp_ge_u32_e64 s7, v66, v80
	s_or_b32 s11, s7, s11
	s_delay_alu instid0(SALU_CYCLE_1)
	s_and_not1_b32 exec_lo, exec_lo, s11
	s_cbranch_execnz .LBB813_106
; %bb.107:
	s_or_b32 exec_lo, exec_lo, s11
.LBB813_108:
	s_delay_alu instid0(SALU_CYCLE_1) | instskip(SKIP_1) | instid1(VALU_DEP_1)
	s_or_b32 exec_lo, exec_lo, s10
	v_dual_add_nc_u32 v69, v64, v69 :: v_dual_add_nc_u32 v68, v66, v68
	v_sub_nc_u32_e32 v69, v69, v66
	s_delay_alu instid0(VALU_DEP_2) | instskip(NEXT) | instid1(VALU_DEP_2)
	v_cmp_le_u32_e64 s7, v68, v64
	v_cmp_le_u32_e64 s10, v69, v65
	s_or_b32 s7, s7, s10
	s_delay_alu instid0(SALU_CYCLE_1)
	s_and_saveexec_b32 s12, s7
	s_cbranch_execz .LBB813_114
; %bb.109:
	v_cmp_lt_u32_e64 s7, v68, v64
                                        ; implicit-def: $vgpr14_vgpr15
	s_and_saveexec_b32 s10, s7
; %bb.110:
	v_lshl_add_u32 v4, v66, 3, v67
	ds_load_b64 v[14:15], v4
; %bb.111:
	s_or_b32 exec_lo, exec_lo, s10
	v_cmp_ge_u32_e64 s10, v69, v65
	s_mov_b32 s13, exec_lo
                                        ; implicit-def: $vgpr16_vgpr17
	v_cmpx_lt_u32_e64 v69, v65
; %bb.112:
	v_lshl_add_u32 v4, v69, 3, v11
	ds_load_b64 v[16:17], v4
; %bb.113:
	s_or_b32 exec_lo, exec_lo, s13
	s_wait_dscnt 0x0
	v_and_b32_e32 v5, v17, v1
	v_and_b32_e32 v4, v16, v10
	;; [unrolled: 1-line block ×4, first 2 shown]
	s_delay_alu instid0(VALU_DEP_1) | instskip(SKIP_1) | instid1(SALU_CYCLE_1)
	v_cmp_le_u64_e64 s11, v[12:13], v[4:5]
	s_and_b32 s7, s7, s11
	s_or_b32 s7, s10, s7
	s_delay_alu instid0(SALU_CYCLE_1) | instskip(SKIP_1) | instid1(VALU_DEP_2)
	v_cndmask_b32_e64 v18, v69, v68, s7
	v_cndmask_b32_e64 v19, v65, v64, s7
	v_dual_cndmask_b32 v13, v17, v15, s7 :: v_dual_add_nc_u32 v20, 1, v18
	v_lshl_add_u32 v4, v18, 3, v11
	s_delay_alu instid0(VALU_DEP_2)
	v_add_min_u32_e64 v18, v19, -1, v20
	ds_load_b64 v[4:5], v4 offset:16384
	v_lshl_add_u32 v18, v18, 3, v11
	ds_load_b64 v[18:19], v18
	s_wait_dscnt 0x0
	v_dual_cndmask_b32 v12, v16, v14, s7 :: v_dual_cndmask_b32 v22, v18, v16, s7
	v_cndmask_b32_e64 v21, v19, v17, s7
	v_dual_cndmask_b32 v23, v15, v19, s7 :: v_dual_cndmask_b32 v24, v14, v18, s7
	v_cndmask_b32_e64 v25, v20, v69, s7
	s_delay_alu instid0(VALU_DEP_3) | instskip(SKIP_1) | instid1(VALU_DEP_4)
	v_dual_cndmask_b32 v20, v68, v20, s7 :: v_dual_bitop2_b32 v15, v21, v1 bitop3:0x40
	v_and_b32_e32 v14, v22, v10
	v_and_b32_e32 v17, v23, v1
	;; [unrolled: 1-line block ×3, first 2 shown]
	s_delay_alu instid0(VALU_DEP_4) | instskip(SKIP_1) | instid1(VALU_DEP_3)
	v_cmp_lt_u32_e64 s10, v20, v64
	v_cmp_ge_u32_e64 s7, v25, v65
	v_cmp_le_u64_e64 s11, v[16:17], v[14:15]
	s_and_b32 s10, s10, s11
	s_delay_alu instid0(SALU_CYCLE_1) | instskip(NEXT) | instid1(SALU_CYCLE_1)
	s_or_b32 s7, s7, s10
	v_cndmask_b32_e64 v14, v25, v20, s7
	v_cndmask_b32_e64 v15, v65, v64, s7
	v_dual_cndmask_b32 v18, v22, v24, s7 :: v_dual_cndmask_b32 v19, v21, v23, s7
	s_delay_alu instid0(VALU_DEP_3) | instskip(SKIP_1) | instid1(VALU_DEP_2)
	v_add_nc_u32_e32 v26, 1, v14
	v_lshl_add_u32 v16, v14, 3, v11
	v_add_min_u32_e64 v14, v15, -1, v26
	ds_load_b64 v[16:17], v16 offset:16384
	v_dual_cndmask_b32 v25, v26, v25, s7 :: v_dual_cndmask_b32 v26, v20, v26, s7
	v_lshl_add_u32 v14, v14, 3, v11
	s_delay_alu instid0(VALU_DEP_2)
	v_cmp_lt_u32_e64 s10, v26, v64
	ds_load_b64 v[14:15], v14
	s_wait_dscnt 0x0
	v_dual_cndmask_b32 v27, v15, v21, s7 :: v_dual_cndmask_b32 v28, v14, v22, s7
	v_dual_cndmask_b32 v29, v23, v15, s7 :: v_dual_cndmask_b32 v24, v24, v14, s7
	v_cmp_ge_u32_e64 s7, v25, v65
	s_delay_alu instid0(VALU_DEP_3) | instskip(NEXT) | instid1(VALU_DEP_4)
	v_and_b32_e32 v15, v27, v1
	v_and_b32_e32 v14, v28, v10
	s_delay_alu instid0(VALU_DEP_4) | instskip(SKIP_1) | instid1(VALU_DEP_1)
	v_and_b32_e32 v21, v29, v1
	v_and_b32_e32 v20, v24, v10
	v_cmp_le_u64_e64 s11, v[20:21], v[14:15]
	s_and_b32 s10, s10, s11
	s_delay_alu instid0(SALU_CYCLE_1) | instskip(NEXT) | instid1(SALU_CYCLE_1)
	s_or_b32 s7, s7, s10
	v_cndmask_b32_e64 v14, v25, v26, s7
	v_dual_cndmask_b32 v15, v65, v64, s7 :: v_dual_cndmask_b32 v23, v27, v29, s7
	s_delay_alu instid0(VALU_DEP_2) | instskip(SKIP_1) | instid1(VALU_DEP_2)
	v_dual_cndmask_b32 v22, v28, v24, s7 :: v_dual_add_nc_u32 v32, 1, v14
	v_lshl_add_u32 v20, v14, 3, v11
	v_add_min_u32_e64 v14, v15, -1, v32
	ds_load_b64 v[20:21], v20 offset:16384
	v_lshl_add_u32 v14, v14, 3, v11
	ds_load_b64 v[14:15], v14
	s_wait_dscnt 0x0
	v_dual_cndmask_b32 v33, v15, v27, s7 :: v_dual_cndmask_b32 v28, v14, v28, s7
	v_dual_cndmask_b32 v29, v29, v15, s7 :: v_dual_cndmask_b32 v34, v24, v14, s7
	v_dual_cndmask_b32 v35, v32, v25, s7 :: v_dual_cndmask_b32 v32, v26, v32, s7
	s_delay_alu instid0(VALU_DEP_3) | instskip(NEXT) | instid1(VALU_DEP_3)
	v_and_b32_e32 v14, v28, v10
	v_and_b32_e32 v25, v29, v1
	s_delay_alu instid0(VALU_DEP_4) | instskip(SKIP_3) | instid1(VALU_DEP_3)
	v_and_b32_e32 v24, v34, v10
	v_and_b32_e32 v15, v33, v1
	v_cmp_lt_u32_e64 s10, v32, v64
	v_cmp_ge_u32_e64 s7, v35, v65
	v_cmp_le_u64_e64 s11, v[24:25], v[14:15]
	s_and_b32 s10, s10, s11
	s_delay_alu instid0(SALU_CYCLE_1) | instskip(NEXT) | instid1(SALU_CYCLE_1)
	s_or_b32 s7, s7, s10
	v_cndmask_b32_e64 v14, v35, v32, s7
	v_cndmask_b32_e64 v15, v65, v64, s7
	v_dual_cndmask_b32 v37, v33, v29, s7 :: v_dual_cndmask_b32 v36, v28, v34, s7
	s_delay_alu instid0(VALU_DEP_3) | instskip(SKIP_2) | instid1(VALU_DEP_1)
	v_lshl_add_u32 v24, v14, 3, v11
	ds_load_b64 v[26:27], v24 offset:16384
	v_add_nc_u32_e32 v24, 1, v14
	v_add_min_u32_e64 v14, v15, -1, v24
	s_delay_alu instid0(VALU_DEP_1) | instskip(SKIP_4) | instid1(VALU_DEP_2)
	v_lshl_add_u32 v14, v14, 3, v11
	ds_load_b64 v[14:15], v14
	s_wait_dscnt 0x0
	v_dual_cndmask_b32 v38, v15, v33, s7 :: v_dual_cndmask_b32 v28, v14, v28, s7
	v_dual_cndmask_b32 v29, v29, v15, s7 :: v_dual_cndmask_b32 v39, v34, v14, s7
	v_dual_cndmask_b32 v48, v24, v35, s7 :: v_dual_bitop2_b32 v15, v38, v1 bitop3:0x40
	s_delay_alu instid0(VALU_DEP_2) | instskip(NEXT) | instid1(VALU_DEP_4)
	v_dual_cndmask_b32 v49, v32, v24, s7 :: v_dual_bitop2_b32 v25, v29, v1 bitop3:0x40
	v_and_b32_e32 v14, v28, v10
	s_delay_alu instid0(VALU_DEP_4) | instskip(NEXT) | instid1(VALU_DEP_4)
	v_and_b32_e32 v24, v39, v10
	v_cmp_ge_u32_e64 s7, v48, v65
	s_delay_alu instid0(VALU_DEP_4) | instskip(NEXT) | instid1(VALU_DEP_3)
	v_cmp_lt_u32_e64 s10, v49, v64
	v_cmp_le_u64_e64 s11, v[24:25], v[14:15]
	s_and_b32 s10, s10, s11
	s_delay_alu instid0(SALU_CYCLE_1) | instskip(NEXT) | instid1(SALU_CYCLE_1)
	s_or_b32 s7, s7, s10
	v_dual_cndmask_b32 v14, v48, v49, s7 :: v_dual_cndmask_b32 v15, v65, v64, s7
	v_dual_cndmask_b32 v35, v38, v29, s7 :: v_dual_cndmask_b32 v34, v28, v39, s7
	s_delay_alu instid0(VALU_DEP_2) | instskip(SKIP_2) | instid1(VALU_DEP_1)
	v_lshl_add_u32 v24, v14, 3, v11
	ds_load_b64 v[32:33], v24 offset:16384
	v_add_nc_u32_e32 v24, 1, v14
	v_add_min_u32_e64 v14, v15, -1, v24
	s_delay_alu instid0(VALU_DEP_1)
	v_lshl_add_u32 v14, v14, 3, v11
	ds_load_b64 v[14:15], v14
	s_wait_dscnt 0x0
	v_dual_cndmask_b32 v50, v15, v38, s7 :: v_dual_cndmask_b32 v29, v29, v15, s7
	v_dual_cndmask_b32 v28, v14, v28, s7 :: v_dual_cndmask_b32 v51, v39, v14, s7
	v_cndmask_b32_e64 v48, v24, v48, s7
	s_delay_alu instid0(VALU_DEP_3) | instskip(NEXT) | instid1(VALU_DEP_3)
	v_dual_cndmask_b32 v49, v49, v24, s7 :: v_dual_bitop2_b32 v15, v50, v1 bitop3:0x40
	v_and_b32_e32 v14, v28, v10
	v_and_b32_e32 v25, v29, v1
	;; [unrolled: 1-line block ×3, first 2 shown]
	s_delay_alu instid0(VALU_DEP_4) | instskip(SKIP_1) | instid1(VALU_DEP_3)
	v_cmp_lt_u32_e64 s10, v49, v64
	v_cmp_ge_u32_e64 s7, v48, v65
	v_cmp_le_u64_e64 s11, v[24:25], v[14:15]
	s_and_b32 s10, s10, s11
	s_delay_alu instid0(SALU_CYCLE_1) | instskip(NEXT) | instid1(SALU_CYCLE_1)
	s_or_b32 s7, s7, s10
	v_dual_cndmask_b32 v14, v48, v49, s7 :: v_dual_cndmask_b32 v15, v65, v64, s7
	v_dual_cndmask_b32 v25, v50, v29, s7 :: v_dual_cndmask_b32 v24, v28, v51, s7
	s_delay_alu instid0(VALU_DEP_2) | instskip(SKIP_1) | instid1(VALU_DEP_2)
	v_add_nc_u32_e32 v66, 1, v14
	v_lshl_add_u32 v38, v14, 3, v11
	v_add_min_u32_e64 v14, v15, -1, v66
	ds_load_b64 v[38:39], v38 offset:16384
	v_dual_cndmask_b32 v69, v66, v48, s7 :: v_dual_cndmask_b32 v66, v49, v66, s7
	v_lshl_add_u32 v14, v14, 3, v11
	s_delay_alu instid0(VALU_DEP_2)
	v_cmp_lt_u32_e64 s10, v66, v64
	ds_load_b64 v[14:15], v14
	s_wait_dscnt 0x0
	v_dual_cndmask_b32 v50, v15, v50, s7 :: v_dual_cndmask_b32 v67, v14, v28, s7
	v_dual_cndmask_b32 v68, v29, v15, s7 :: v_dual_cndmask_b32 v51, v51, v14, s7
	v_cmp_ge_u32_e64 s7, v69, v65
	s_delay_alu instid0(VALU_DEP_3) | instskip(NEXT) | instid1(VALU_DEP_4)
	v_and_b32_e32 v15, v50, v1
	v_and_b32_e32 v14, v67, v10
	s_delay_alu instid0(VALU_DEP_4) | instskip(SKIP_1) | instid1(VALU_DEP_1)
	v_and_b32_e32 v29, v68, v1
	v_and_b32_e32 v28, v51, v10
	v_cmp_le_u64_e64 s11, v[28:29], v[14:15]
	s_and_b32 s10, s10, s11
	s_delay_alu instid0(SALU_CYCLE_1) | instskip(NEXT) | instid1(SALU_CYCLE_1)
	s_or_b32 s7, s7, s10
	v_cndmask_b32_e64 v14, v69, v66, s7
	v_dual_cndmask_b32 v15, v65, v64, s7 :: v_dual_cndmask_b32 v48, v67, v51, s7
	s_delay_alu instid0(VALU_DEP_2) | instskip(SKIP_1) | instid1(VALU_DEP_2)
	v_dual_cndmask_b32 v49, v50, v68, s7 :: v_dual_add_nc_u32 v80, 1, v14
	v_lshl_add_u32 v28, v14, 3, v11
	v_add_min_u32_e64 v14, v15, -1, v80
	ds_load_b64 v[28:29], v28 offset:16384
	v_cndmask_b32_e64 v69, v80, v69, s7
	v_lshl_add_u32 v14, v14, 3, v11
	ds_load_b64 v[14:15], v14
	s_wait_dscnt 0x0
	v_dual_cndmask_b32 v81, v15, v50, s7 :: v_dual_cndmask_b32 v68, v68, v15, s7
	v_dual_cndmask_b32 v67, v14, v67, s7 :: v_dual_cndmask_b32 v82, v51, v14, s7
	s_delay_alu instid0(VALU_DEP_2) | instskip(NEXT) | instid1(VALU_DEP_3)
	v_dual_cndmask_b32 v66, v66, v80, s7 :: v_dual_bitop2_b32 v15, v81, v1 bitop3:0x40
	v_and_b32_e32 v51, v68, v1
	s_delay_alu instid0(VALU_DEP_3) | instskip(NEXT) | instid1(VALU_DEP_4)
	v_and_b32_e32 v14, v67, v10
	v_and_b32_e32 v50, v82, v10
	s_delay_alu instid0(VALU_DEP_4) | instskip(SKIP_1) | instid1(VALU_DEP_3)
	v_cmp_lt_u32_e64 s10, v66, v64
	v_cmp_ge_u32_e64 s7, v69, v65
	v_cmp_le_u64_e64 s11, v[50:51], v[14:15]
	s_and_b32 s10, s10, s11
	s_delay_alu instid0(SALU_CYCLE_1) | instskip(NEXT) | instid1(SALU_CYCLE_1)
	s_or_b32 s7, s7, s10
	v_cndmask_b32_e64 v50, v69, v66, s7
	v_dual_cndmask_b32 v15, v81, v68, s7 :: v_dual_cndmask_b32 v14, v67, v82, s7
	s_delay_alu instid0(VALU_DEP_2)
	v_lshl_add_u32 v50, v50, 3, v11
	ds_load_b64 v[50:51], v50 offset:16384
.LBB813_114:
	s_or_b32 exec_lo, exec_lo, s12
	v_and_b32_e32 v66, 0x80, v70
	v_min_u32_e32 v67, v31, v71
	; wave barrier
	ds_store_2addr_b64 v30, v[12:13], v[18:19] offset1:1
	ds_store_2addr_b64 v30, v[22:23], v[36:37] offset0:2 offset1:3
	v_or_b32_e32 v64, 64, v66
	ds_store_2addr_b64 v52, v[4:5], v[16:17] offset1:1
	ds_store_2addr_b64 v53, v[20:21], v[26:27] offset1:1
	ds_store_2addr_b64 v30, v[34:35], v[24:25] offset0:4 offset1:5
	ds_store_2addr_b64 v30, v[48:49], v[14:15] offset0:6 offset1:7
	v_lshl_add_u32 v30, v66, 3, v11
	s_mov_b32 s10, exec_lo
	ds_store_2addr_b64 v54, v[32:33], v[38:39] offset1:1
	s_wait_dscnt 0x7
	ds_store_2addr_b64 v55, v[28:29], v[50:51] offset1:1
	v_min_u32_e32 v65, v31, v64
	; wave barrier
	s_delay_alu instid0(VALU_DEP_1) | instskip(NEXT) | instid1(VALU_DEP_1)
	v_add_min_u32_e64 v64, v65, 64, v31
	v_dual_sub_nc_u32 v31, v65, v66 :: v_dual_sub_nc_u32 v69, v64, v65
	s_delay_alu instid0(VALU_DEP_1) | instskip(NEXT) | instid1(VALU_DEP_2)
	v_min_u32_e32 v68, v67, v31
	v_sub_nc_u32_e64 v31, v67, v69 clamp
	s_delay_alu instid0(VALU_DEP_1)
	v_cmpx_lt_u32_e64 v31, v68
	s_cbranch_execz .LBB813_118
; %bb.115:
	v_dual_lshlrev_b32 v52, 3, v65 :: v_dual_lshlrev_b32 v53, 3, v67
	s_mov_b32 s11, 0
	s_delay_alu instid0(VALU_DEP_1)
	v_add3_u32 v52, v11, v52, v53
.LBB813_116:                            ; =>This Inner Loop Header: Depth=1
	v_add_nc_u32_e32 v53, v68, v31
	s_delay_alu instid0(VALU_DEP_1) | instskip(NEXT) | instid1(VALU_DEP_1)
	v_lshrrev_b32_e32 v53, 1, v53
	v_not_b32_e32 v54, v53
	v_lshl_add_u32 v55, v53, 3, v30
	s_delay_alu instid0(VALU_DEP_2)
	v_lshl_add_u32 v69, v54, 3, v52
	ds_load_b64 v[54:55], v55
	ds_load_b64 v[70:71], v69
	s_wait_dscnt 0x1
	v_and_b32_e32 v55, v55, v1
	v_and_b32_e32 v54, v54, v10
	s_wait_dscnt 0x0
	v_and_b32_e32 v71, v71, v1
	v_and_b32_e32 v70, v70, v10
	s_delay_alu instid0(VALU_DEP_1) | instskip(NEXT) | instid1(VALU_DEP_1)
	v_cmp_gt_u64_e64 s7, v[54:55], v[70:71]
	v_dual_add_nc_u32 v54, 1, v53 :: v_dual_cndmask_b32 v68, v68, v53, s7
	s_delay_alu instid0(VALU_DEP_1) | instskip(NEXT) | instid1(VALU_DEP_1)
	v_cndmask_b32_e64 v31, v54, v31, s7
	v_cmp_ge_u32_e64 s7, v31, v68
	s_or_b32 s11, s7, s11
	s_delay_alu instid0(SALU_CYCLE_1)
	s_and_not1_b32 exec_lo, exec_lo, s11
	s_cbranch_execnz .LBB813_116
; %bb.117:
	s_or_b32 exec_lo, exec_lo, s11
.LBB813_118:
	s_delay_alu instid0(SALU_CYCLE_1) | instskip(SKIP_1) | instid1(VALU_DEP_1)
	s_or_b32 exec_lo, exec_lo, s10
	v_dual_add_nc_u32 v53, v65, v67 :: v_dual_add_nc_u32 v52, v31, v66
	v_sub_nc_u32_e32 v53, v53, v31
	s_delay_alu instid0(VALU_DEP_2) | instskip(NEXT) | instid1(VALU_DEP_2)
	v_cmp_le_u32_e64 s7, v52, v65
	v_cmp_le_u32_e64 s10, v53, v64
	s_or_b32 s7, s7, s10
	s_delay_alu instid0(SALU_CYCLE_1)
	s_and_saveexec_b32 s21, s7
	s_cbranch_execz .LBB813_124
; %bb.119:
	v_cmp_lt_u32_e64 s7, v52, v65
                                        ; implicit-def: $vgpr12_vgpr13
	s_and_saveexec_b32 s10, s7
; %bb.120:
	v_lshl_add_u32 v4, v31, 3, v30
	ds_load_b64 v[12:13], v4
; %bb.121:
	s_or_b32 exec_lo, exec_lo, s10
	v_cmp_ge_u32_e64 s10, v53, v64
	s_mov_b32 s12, exec_lo
                                        ; implicit-def: $vgpr14_vgpr15
	v_cmpx_lt_u32_e64 v53, v64
; %bb.122:
	v_lshl_add_u32 v4, v53, 3, v11
	ds_load_b64 v[14:15], v4
; %bb.123:
	s_or_b32 exec_lo, exec_lo, s12
	s_wait_dscnt 0x0
	v_and_b32_e32 v5, v15, v1
	v_and_b32_e32 v4, v14, v10
	;; [unrolled: 1-line block ×4, first 2 shown]
	s_delay_alu instid0(VALU_DEP_1) | instskip(SKIP_1) | instid1(SALU_CYCLE_1)
	v_cmp_le_u64_e64 s11, v[16:17], v[4:5]
	s_and_b32 s7, s7, s11
	s_or_b32 s7, s10, s7
	s_delay_alu instid0(SALU_CYCLE_1) | instskip(NEXT) | instid1(VALU_DEP_1)
	v_dual_cndmask_b32 v18, v53, v52, s7 :: v_dual_cndmask_b32 v4, v64, v65, s7
	v_add_nc_u32_e32 v19, 1, v18
	s_delay_alu instid0(VALU_DEP_1) | instskip(SKIP_1) | instid1(VALU_DEP_2)
	v_add_min_u32_e64 v4, v4, -1, v19
	v_dual_cndmask_b32 v20, v52, v19, s7 :: v_dual_cndmask_b32 v19, v19, v53, s7
	v_lshl_add_u32 v4, v4, 3, v11
	s_delay_alu instid0(VALU_DEP_2) | instskip(NEXT) | instid1(VALU_DEP_3)
	v_cmp_lt_u32_e64 s11, v20, v65
	v_cmp_ge_u32_e64 s12, v19, v64
	ds_load_b64 v[4:5], v4
	s_wait_dscnt 0x0
	v_dual_cndmask_b32 v22, v5, v15, s7 :: v_dual_cndmask_b32 v23, v4, v14, s7
	v_cndmask_b32_e64 v24, v13, v5, s7
	v_cndmask_b32_e64 v13, v15, v13, s7
	s_delay_alu instid0(VALU_DEP_3) | instskip(NEXT) | instid1(VALU_DEP_4)
	v_dual_cndmask_b32 v25, v12, v4, s7 :: v_dual_bitop2_b32 v5, v22, v1 bitop3:0x40
	v_and_b32_e32 v4, v23, v10
	s_delay_alu instid0(VALU_DEP_4) | instskip(NEXT) | instid1(VALU_DEP_3)
	v_dual_cndmask_b32 v12, v14, v12, s7 :: v_dual_bitop2_b32 v17, v24, v1 bitop3:0x40
	v_and_b32_e32 v16, v25, v10
	s_delay_alu instid0(VALU_DEP_1) | instskip(SKIP_1) | instid1(SALU_CYCLE_1)
	v_cmp_le_u64_e64 s10, v[16:17], v[4:5]
	s_and_b32 s10, s11, s10
	s_or_b32 s10, s12, s10
	s_delay_alu instid0(SALU_CYCLE_1) | instskip(NEXT) | instid1(VALU_DEP_1)
	v_dual_cndmask_b32 v21, v19, v20, s10 :: v_dual_cndmask_b32 v4, v64, v65, s10
	v_add_nc_u32_e32 v26, 1, v21
	s_delay_alu instid0(VALU_DEP_1) | instskip(NEXT) | instid1(VALU_DEP_1)
	v_add_min_u32_e64 v4, v4, -1, v26
	v_lshl_add_u32 v4, v4, 3, v11
	ds_load_b64 v[4:5], v4
	s_wait_dscnt 0x0
	v_dual_cndmask_b32 v30, v5, v22, s10 :: v_dual_cndmask_b32 v31, v4, v23, s10
	v_dual_cndmask_b32 v34, v24, v5, s10 :: v_dual_cndmask_b32 v35, v25, v4, s10
	s_delay_alu instid0(VALU_DEP_2) | instskip(NEXT) | instid1(VALU_DEP_3)
	v_dual_cndmask_b32 v20, v20, v26, s10 :: v_dual_bitop2_b32 v5, v30, v1 bitop3:0x40
	v_dual_cndmask_b32 v19, v26, v19, s10 :: v_dual_bitop2_b32 v4, v31, v10 bitop3:0x40
	s_delay_alu instid0(VALU_DEP_3) | instskip(NEXT) | instid1(VALU_DEP_4)
	v_and_b32_e32 v17, v34, v1
	v_and_b32_e32 v16, v35, v10
	s_delay_alu instid0(VALU_DEP_4) | instskip(NEXT) | instid1(VALU_DEP_4)
	v_cmp_lt_u32_e64 s12, v20, v65
	v_cmp_ge_u32_e64 s13, v19, v64
	s_delay_alu instid0(VALU_DEP_3) | instskip(SKIP_1) | instid1(SALU_CYCLE_1)
	v_cmp_le_u64_e64 s11, v[16:17], v[4:5]
	s_and_b32 s11, s12, s11
	s_or_b32 s11, s13, s11
	s_delay_alu instid0(SALU_CYCLE_1) | instskip(NEXT) | instid1(VALU_DEP_1)
	v_dual_cndmask_b32 v26, v19, v20, s11 :: v_dual_cndmask_b32 v4, v64, v65, s11
	v_add_nc_u32_e32 v27, 1, v26
	s_delay_alu instid0(VALU_DEP_1) | instskip(NEXT) | instid1(VALU_DEP_1)
	v_add_min_u32_e64 v4, v4, -1, v27
	v_lshl_add_u32 v4, v4, 3, v11
	ds_load_b64 v[4:5], v4
	s_wait_dscnt 0x0
	v_dual_cndmask_b32 v36, v5, v30, s11 :: v_dual_cndmask_b32 v37, v34, v5, s11
	v_dual_cndmask_b32 v48, v4, v31, s11 :: v_dual_cndmask_b32 v49, v35, v4, s11
	v_cndmask_b32_e64 v20, v20, v27, s11
	s_delay_alu instid0(VALU_DEP_3) | instskip(NEXT) | instid1(VALU_DEP_4)
	v_and_b32_e32 v5, v36, v1
	v_and_b32_e32 v17, v37, v1
	s_delay_alu instid0(VALU_DEP_4) | instskip(SKIP_2) | instid1(VALU_DEP_3)
	v_dual_cndmask_b32 v19, v27, v19, s11 :: v_dual_bitop2_b32 v4, v48, v10 bitop3:0x40
	v_and_b32_e32 v16, v49, v10
	v_cmp_lt_u32_e64 s13, v20, v65
	v_cmp_ge_u32_e64 s14, v19, v64
	s_delay_alu instid0(VALU_DEP_3) | instskip(SKIP_1) | instid1(SALU_CYCLE_1)
	v_cmp_le_u64_e64 s12, v[16:17], v[4:5]
	s_and_b32 s12, s13, s12
	s_or_b32 s12, s14, s12
	s_delay_alu instid0(SALU_CYCLE_1) | instskip(NEXT) | instid1(VALU_DEP_1)
	v_dual_cndmask_b32 v27, v19, v20, s12 :: v_dual_cndmask_b32 v4, v64, v65, s12
	v_add_nc_u32_e32 v28, 1, v27
	s_delay_alu instid0(VALU_DEP_1) | instskip(SKIP_2) | instid1(VALU_DEP_3)
	v_add_min_u32_e64 v4, v4, -1, v28
	v_cndmask_b32_e64 v20, v20, v28, s12
	v_cndmask_b32_e64 v19, v28, v19, s12
	v_lshl_add_u32 v4, v4, 3, v11
	s_delay_alu instid0(VALU_DEP_3) | instskip(NEXT) | instid1(VALU_DEP_3)
	v_cmp_lt_u32_e64 s14, v20, v65
	v_cmp_ge_u32_e64 s15, v19, v64
	ds_load_b64 v[4:5], v4
	s_wait_dscnt 0x0
	v_dual_cndmask_b32 v53, v4, v48, s12 :: v_dual_cndmask_b32 v54, v37, v5, s12
	s_delay_alu instid0(VALU_DEP_1) | instskip(NEXT) | instid1(VALU_DEP_1)
	v_dual_cndmask_b32 v52, v5, v36, s12 :: v_dual_bitop2_b32 v17, v54, v1 bitop3:0x40
	v_dual_cndmask_b32 v55, v49, v4, s12 :: v_dual_bitop2_b32 v5, v52, v1 bitop3:0x40
	s_delay_alu instid0(VALU_DEP_3) | instskip(NEXT) | instid1(VALU_DEP_2)
	v_and_b32_e32 v4, v53, v10
	v_and_b32_e32 v16, v55, v10
	s_delay_alu instid0(VALU_DEP_1) | instskip(SKIP_1) | instid1(SALU_CYCLE_1)
	v_cmp_le_u64_e64 s13, v[16:17], v[4:5]
	s_and_b32 s13, s14, s13
	s_or_b32 s13, s15, s13
	s_delay_alu instid0(SALU_CYCLE_1) | instskip(NEXT) | instid1(VALU_DEP_1)
	v_dual_cndmask_b32 v37, v36, v37, s12 :: v_dual_cndmask_b32 v28, v19, v20, s13
	v_dual_cndmask_b32 v4, v64, v65, s13 :: v_dual_add_nc_u32 v29, 1, v28
	s_delay_alu instid0(VALU_DEP_1) | instskip(NEXT) | instid1(VALU_DEP_1)
	v_add_min_u32_e64 v4, v4, -1, v29
	v_lshl_add_u32 v4, v4, 3, v11
	ds_load_b64 v[4:5], v4
	s_wait_dscnt 0x0
	v_dual_cndmask_b32 v66, v5, v52, s13 :: v_dual_cndmask_b32 v68, v54, v5, s13
	v_dual_cndmask_b32 v67, v4, v53, s13 :: v_dual_cndmask_b32 v69, v55, v4, s13
	v_cndmask_b32_e64 v20, v20, v29, s13
	s_delay_alu instid0(VALU_DEP_3) | instskip(NEXT) | instid1(VALU_DEP_4)
	v_and_b32_e32 v5, v66, v1
	v_dual_cndmask_b32 v19, v29, v19, s13 :: v_dual_bitop2_b32 v17, v68, v1 bitop3:0x40
	s_delay_alu instid0(VALU_DEP_4) | instskip(SKIP_2) | instid1(VALU_DEP_4)
	v_and_b32_e32 v4, v67, v10
	v_and_b32_e32 v16, v69, v10
	v_cmp_lt_u32_e64 s15, v20, v65
	v_cmp_ge_u32_e64 s16, v19, v64
	s_delay_alu instid0(VALU_DEP_3) | instskip(SKIP_1) | instid1(SALU_CYCLE_1)
	v_cmp_le_u64_e64 s14, v[16:17], v[4:5]
	s_and_b32 s14, s15, s14
	s_or_b32 s14, s16, s14
	s_delay_alu instid0(SALU_CYCLE_1) | instskip(SKIP_1) | instid1(VALU_DEP_2)
	v_dual_cndmask_b32 v36, v48, v49, s12 :: v_dual_cndmask_b32 v29, v19, v20, s14
	v_cndmask_b32_e64 v4, v64, v65, s14
	v_add_nc_u32_e32 v32, 1, v29
	s_delay_alu instid0(VALU_DEP_1) | instskip(NEXT) | instid1(VALU_DEP_1)
	v_add_min_u32_e64 v4, v4, -1, v32
	v_lshl_add_u32 v4, v4, 3, v11
	ds_load_b64 v[4:5], v4
	s_wait_dscnt 0x0
	v_dual_cndmask_b32 v70, v5, v66, s14 :: v_dual_cndmask_b32 v71, v4, v67, s14
	v_dual_cndmask_b32 v80, v68, v5, s14 :: v_dual_cndmask_b32 v81, v69, v4, s14
	s_delay_alu instid0(VALU_DEP_2) | instskip(NEXT) | instid1(VALU_DEP_3)
	v_dual_cndmask_b32 v20, v20, v32, s14 :: v_dual_bitop2_b32 v5, v70, v1 bitop3:0x40
	v_dual_cndmask_b32 v19, v32, v19, s14 :: v_dual_bitop2_b32 v4, v71, v10 bitop3:0x40
	s_delay_alu instid0(VALU_DEP_3) | instskip(NEXT) | instid1(VALU_DEP_4)
	v_and_b32_e32 v17, v80, v1
	v_and_b32_e32 v16, v81, v10
	s_delay_alu instid0(VALU_DEP_4) | instskip(NEXT) | instid1(VALU_DEP_4)
	v_cmp_lt_u32_e64 s16, v20, v65
	v_cmp_ge_u32_e64 s17, v19, v64
	s_delay_alu instid0(VALU_DEP_3) | instskip(SKIP_1) | instid1(SALU_CYCLE_1)
	v_cmp_le_u64_e64 s15, v[16:17], v[4:5]
	s_and_b32 s15, s16, s15
	s_or_b32 s15, s17, s15
	s_delay_alu instid0(SALU_CYCLE_1) | instskip(SKIP_1) | instid1(VALU_DEP_2)
	v_dual_cndmask_b32 v32, v19, v20, s15 :: v_dual_cndmask_b32 v4, v64, v65, s15
	v_dual_cndmask_b32 v49, v70, v80, s15 :: v_dual_cndmask_b32 v48, v71, v81, s15
	v_add_nc_u32_e32 v33, 1, v32
	s_delay_alu instid0(VALU_DEP_1) | instskip(NEXT) | instid1(VALU_DEP_1)
	v_add_min_u32_e64 v4, v4, -1, v33
	v_lshl_add_u32 v4, v4, 3, v11
	ds_load_b64 v[4:5], v4
	s_wait_dscnt 0x0
	v_dual_cndmask_b32 v82, v5, v70, s15 :: v_dual_cndmask_b32 v83, v4, v71, s15
	v_dual_cndmask_b32 v85, v81, v4, s15 :: v_dual_cndmask_b32 v84, v80, v5, s15
	s_delay_alu instid0(VALU_DEP_2) | instskip(NEXT) | instid1(VALU_DEP_3)
	v_dual_cndmask_b32 v19, v33, v19, s15 :: v_dual_bitop2_b32 v5, v82, v1 bitop3:0x40
	v_and_b32_e32 v4, v83, v10
	s_delay_alu instid0(VALU_DEP_3) | instskip(NEXT) | instid1(VALU_DEP_4)
	v_dual_cndmask_b32 v10, v20, v33, s15 :: v_dual_bitop2_b32 v16, v85, v10 bitop3:0x40
	v_and_b32_e32 v17, v84, v1
	s_delay_alu instid0(VALU_DEP_4)
	v_cmp_ge_u32_e64 s18, v19, v64
	v_lshl_add_u32 v1, v18, 3, v11
	v_lshl_add_u32 v18, v21, 3, v11
	v_cmp_lt_u32_e64 s17, v10, v65
	v_cmp_le_u64_e64 s16, v[16:17], v[4:5]
	v_lshl_add_u32 v20, v26, 3, v11
	ds_load_b64 v[4:5], v1 offset:16384
	v_lshl_add_u32 v1, v27, 3, v11
	ds_load_b64 v[16:17], v18 offset:16384
	ds_load_b64 v[20:21], v20 offset:16384
	v_lshl_add_u32 v18, v28, 3, v11
	s_and_b32 s16, s17, s16
	ds_load_b64 v[26:27], v1 offset:16384
	s_or_b32 s16, s18, s16
	v_lshl_add_u32 v28, v32, 3, v11
	v_cndmask_b32_e64 v10, v19, v10, s16
	v_lshl_add_u32 v19, v29, 3, v11
	ds_load_b64 v[32:33], v18 offset:16384
	ds_load_b64 v[38:39], v19 offset:16384
	;; [unrolled: 1-line block ×3, first 2 shown]
	v_lshl_add_u32 v1, v10, 3, v11
	v_dual_cndmask_b32 v19, v22, v24, s10 :: v_dual_cndmask_b32 v18, v23, v25, s10
	v_dual_cndmask_b32 v23, v30, v34, s11 :: v_dual_cndmask_b32 v22, v31, v35, s11
	ds_load_b64 v[50:51], v1 offset:16384
	v_dual_cndmask_b32 v35, v52, v54, s13 :: v_dual_cndmask_b32 v24, v67, v69, s14
	v_dual_cndmask_b32 v34, v53, v55, s13 :: v_dual_cndmask_b32 v25, v66, v68, s14
	;; [unrolled: 1-line block ×3, first 2 shown]
.LBB813_124:
	s_or_b32 exec_lo, exec_lo, s21
	; wave barrier
	s_wait_storecnt_dscnt 0x0
	s_barrier_signal -1
	s_barrier_wait -1
                                        ; implicit-def: $vgpr70
                                        ; implicit-def: $vgpr71
                                        ; implicit-def: $vgpr30
                                        ; implicit-def: $vgpr52
                                        ; implicit-def: $vgpr1
.LBB813_125:
	s_and_not1_saveexec_b32 s17, s20
	s_cbranch_execz .LBB813_225
; %bb.126:
	s_load_b64 s[10:11], s[8:9], 0x0
	s_bfe_u32 s12, ttmp6, 0x4000c
	s_bfe_u32 s14, ttmp6, 0x40010
	s_and_b32 s13, ttmp7, 0xffff
	s_add_co_i32 s12, s12, 1
	s_add_co_i32 s14, s14, 1
	s_and_b32 s7, ttmp6, 15
	s_bfe_u32 s15, ttmp6, 0x40004
	s_mul_i32 s12, ttmp9, s12
	s_mul_i32 s14, s13, s14
	s_add_co_i32 s7, s7, s12
	s_add_co_i32 s15, s15, s14
	s_cmp_eq_u32 s19, 0
	s_cselect_b32 s7, ttmp9, s7
	s_cselect_b32 s12, s13, s15
	s_wait_kmcnt 0x0
	s_cmp_lt_u32 s7, s10
	s_cselect_b32 s10, 12, 18
	s_cmp_lt_u32 s12, s11
	s_mov_b32 s11, 0
	s_cselect_b32 s12, 14, 20
	s_mov_b32 s13, s11
	s_delay_alu instid0(SALU_CYCLE_1)
	s_add_nc_u64 s[12:13], s[8:9], s[12:13]
	s_add_nc_u64 s[8:9], s[8:9], s[10:11]
	s_clause 0x1
	s_load_u16 s7, s[12:13], 0x0
	s_nop 0
	s_load_u16 s8, s[8:9], 0x0
	s_wait_kmcnt 0x0
	v_mad_u32_u24 v10, v52, s7, v30
	s_delay_alu instid0(VALU_DEP_1) | instskip(SKIP_1) | instid1(VALU_DEP_1)
	v_mul_lo_u32 v10, v10, s8
	s_mov_b32 s8, exec_lo
	v_add_lshl_u32 v1, v10, v1, 3
	s_delay_alu instid0(VALU_DEP_1)
	v_cmpx_gt_u32_e32 0x800, v1
	s_cbranch_execz .LBB813_184
; %bb.127:
	s_wait_loadcnt_dscnt 0x0
	v_mov_b64_e32 v[10:11], v[18:19]
	v_mov_b64_e32 v[30:31], v[16:17]
	s_mov_b32 s9, exec_lo
	v_cmpx_gt_i64_e64 v[12:13], v[18:19]
; %bb.128:
	v_mov_b64_e32 v[10:11], v[12:13]
	v_mov_b64_e32 v[12:13], v[18:19]
	v_mov_b64_e32 v[30:31], v[4:5]
	v_mov_b64_e32 v[4:5], v[16:17]
; %bb.129:
	s_or_b32 exec_lo, exec_lo, s9
	v_mov_b64_e32 v[64:65], v[36:37]
	v_mov_b64_e32 v[52:53], v[26:27]
	s_mov_b32 s9, exec_lo
	v_cmpx_gt_i64_e64 v[22:23], v[36:37]
; %bb.130:
	v_mov_b64_e32 v[64:65], v[22:23]
	v_mov_b64_e32 v[22:23], v[36:37]
	v_mov_b64_e32 v[52:53], v[20:21]
	v_mov_b64_e32 v[20:21], v[26:27]
; %bb.131:
	s_or_b32 exec_lo, exec_lo, s9
	;; [unrolled: 11-line block ×4, first 2 shown]
	v_cmp_gt_i64_e64 s7, v[10:11], v[22:23]
	v_mov_b64_e32 v[26:27], v[22:23]
	v_mov_b64_e32 v[36:37], v[20:21]
	s_and_saveexec_b32 s9, s7
	s_delay_alu instid0(SALU_CYCLE_1)
	s_xor_b32 s7, exec_lo, s9
; %bb.136:
	v_mov_b64_e32 v[26:27], v[10:11]
	v_mov_b64_e32 v[10:11], v[22:23]
	v_mov_b64_e32 v[36:37], v[30:31]
	v_mov_b64_e32 v[30:31], v[20:21]
; %bb.137:
	s_or_b32 exec_lo, exec_lo, s7
	v_mov_b64_e32 v[50:51], v[64:65]
	v_mov_b64_e32 v[38:39], v[32:33]
	s_mov_b32 s9, exec_lo
	v_cmpx_gt_i64_e64 v[64:65], v[54:55]
; %bb.138:
	v_mov_b64_e32 v[50:51], v[54:55]
	v_mov_b64_e32 v[38:39], v[52:53]
	v_mov_b64_e32 v[52:53], v[32:33]
	v_mov_b64_e32 v[54:55], v[64:65]
; %bb.139:
	s_or_b32 exec_lo, exec_lo, s9
	v_mov_b64_e32 v[20:21], v[28:29]
	v_mov_b64_e32 v[32:33], v[24:25]
	s_mov_b32 s9, exec_lo
	v_cmpx_gt_i64_e64 v[24:25], v[34:35]
	;; [unrolled: 11-line block ×23, first 2 shown]
; %bb.182:
	v_mov_b64_e32 v[48:49], v[24:25]
	v_mov_b64_e32 v[24:25], v[54:55]
	;; [unrolled: 1-line block ×4, first 2 shown]
; %bb.183:
	s_or_b32 exec_lo, exec_lo, s9
.LBB813_184:
	s_delay_alu instid0(SALU_CYCLE_1) | instskip(SKIP_3) | instid1(VALU_DEP_2)
	s_or_b32 exec_lo, exec_lo, s8
	v_and_b32_e32 v1, 0xffffff00, v1
	v_or_b32_e32 v10, 8, v70
	s_mov_b32 s8, exec_lo
	v_sub_nc_u32_e64 v31, 0x800, v1 clamp
	v_lshlrev_b32_e32 v1, 3, v1
	s_delay_alu instid0(VALU_DEP_2) | instskip(SKIP_1) | instid1(VALU_DEP_3)
	v_min_u32_e32 v64, v31, v10
	v_and_b32_e32 v10, 0xf0, v70
	v_lshl_or_b32 v30, v70, 3, v1
	s_wait_loadcnt_dscnt 0x0
	ds_store_2addr_b64 v30, v[12:13], v[18:19] offset1:1
	ds_store_2addr_b64 v30, v[22:23], v[36:37] offset0:2 offset1:3
	v_add_min_u32_e64 v65, v64, 8, v31
	v_and_b32_e32 v11, 8, v70
	v_sub_nc_u32_e32 v67, v64, v10
	v_add_nc_u32_e32 v52, 0x4000, v30
	v_add_nc_u32_e32 v53, 0x4010, v30
	v_sub_nc_u32_e32 v55, v65, v64
	v_min_u32_e32 v11, v31, v11
	v_add_nc_u32_e32 v54, 0x4020, v30
	ds_store_2addr_b64 v52, v[4:5], v[16:17] offset1:1
	ds_store_2addr_b64 v53, v[20:21], v[26:27] offset1:1
	ds_store_2addr_b64 v30, v[34:35], v[24:25] offset0:4 offset1:5
	ds_store_2addr_b64 v30, v[48:49], v[14:15] offset0:6 offset1:7
	v_sub_nc_u32_e64 v66, v11, v55 clamp
	v_min_u32_e32 v68, v11, v67
	v_add_nc_u32_e32 v55, 0x4030, v30
	v_lshl_or_b32 v67, v10, 3, v1
	ds_store_2addr_b64 v54, v[32:33], v[38:39] offset1:1
	ds_store_2addr_b64 v55, v[28:29], v[50:51] offset1:1
	; wave barrier
	v_cmpx_lt_u32_e64 v66, v68
	s_cbranch_execz .LBB813_188
; %bb.185:
	v_dual_lshlrev_b32 v69, 3, v64 :: v_dual_lshlrev_b32 v80, 3, v11
	s_mov_b32 s9, 0
	s_delay_alu instid0(VALU_DEP_1)
	v_add3_u32 v69, v1, v69, v80
.LBB813_186:                            ; =>This Inner Loop Header: Depth=1
	v_add_nc_u32_e32 v80, v68, v66
	s_delay_alu instid0(VALU_DEP_1) | instskip(NEXT) | instid1(VALU_DEP_1)
	v_lshrrev_b32_e32 v84, 1, v80
	v_not_b32_e32 v80, v84
	v_lshl_add_u32 v81, v84, 3, v67
	s_delay_alu instid0(VALU_DEP_2)
	v_lshl_add_u32 v82, v80, 3, v69
	ds_load_b64 v[80:81], v81
	ds_load_b64 v[82:83], v82
	s_wait_dscnt 0x0
	v_cmp_gt_i64_e64 s7, v[80:81], v[82:83]
	v_add_nc_u32_e32 v80, 1, v84
	s_delay_alu instid0(VALU_DEP_1) | instskip(SKIP_1) | instid1(VALU_DEP_1)
	v_cndmask_b32_e64 v66, v80, v66, s7
	v_cndmask_b32_e64 v68, v68, v84, s7
	v_cmp_ge_u32_e64 s7, v66, v68
	s_or_b32 s9, s7, s9
	s_delay_alu instid0(SALU_CYCLE_1)
	s_and_not1_b32 exec_lo, exec_lo, s9
	s_cbranch_execnz .LBB813_186
; %bb.187:
	s_or_b32 exec_lo, exec_lo, s9
.LBB813_188:
	s_delay_alu instid0(SALU_CYCLE_1) | instskip(SKIP_1) | instid1(VALU_DEP_1)
	s_or_b32 exec_lo, exec_lo, s8
	v_dual_add_nc_u32 v11, v64, v11 :: v_dual_add_nc_u32 v68, v66, v10
	v_sub_nc_u32_e32 v69, v11, v66
	s_delay_alu instid0(VALU_DEP_2) | instskip(NEXT) | instid1(VALU_DEP_2)
	v_cmp_le_u32_e64 s7, v68, v64
	v_cmp_le_u32_e64 s8, v69, v65
	s_or_b32 s7, s7, s8
	s_delay_alu instid0(SALU_CYCLE_1)
	s_and_saveexec_b32 s18, s7
	s_cbranch_execz .LBB813_194
; %bb.189:
	v_cmp_lt_u32_e64 s7, v68, v64
                                        ; implicit-def: $vgpr10_vgpr11
	s_and_saveexec_b32 s8, s7
; %bb.190:
	v_lshl_add_u32 v4, v66, 3, v67
	ds_load_b64 v[10:11], v4
; %bb.191:
	s_or_b32 exec_lo, exec_lo, s8
	v_cmp_ge_u32_e64 s8, v69, v65
	s_mov_b32 s10, exec_lo
                                        ; implicit-def: $vgpr12_vgpr13
	v_cmpx_lt_u32_e64 v69, v65
; %bb.192:
	v_lshl_add_u32 v4, v69, 3, v1
	ds_load_b64 v[12:13], v4
; %bb.193:
	s_or_b32 exec_lo, exec_lo, s10
	s_wait_dscnt 0x0
	v_cmp_le_i64_e64 s9, v[10:11], v[12:13]
	s_and_b32 s7, s7, s9
	s_delay_alu instid0(SALU_CYCLE_1) | instskip(NEXT) | instid1(SALU_CYCLE_1)
	s_or_b32 s7, s8, s7
	v_cndmask_b32_e64 v16, v69, v68, s7
	s_delay_alu instid0(VALU_DEP_1) | instskip(NEXT) | instid1(VALU_DEP_1)
	v_add_nc_u32_e32 v17, 1, v16
	v_dual_cndmask_b32 v4, v65, v64, s7 :: v_dual_cndmask_b32 v20, v68, v17, s7
	s_delay_alu instid0(VALU_DEP_1) | instskip(NEXT) | instid1(VALU_DEP_2)
	v_add_min_u32_e64 v4, v4, -1, v17
	v_cmp_lt_u32_e64 s9, v20, v64
	s_delay_alu instid0(VALU_DEP_2)
	v_lshl_add_u32 v4, v4, 3, v1
	ds_load_b64 v[4:5], v4
	s_wait_dscnt 0x0
	v_dual_cndmask_b32 v15, v5, v13, s7 :: v_dual_cndmask_b32 v14, v4, v12, s7
	v_cndmask_b32_e64 v17, v17, v69, s7
	v_dual_cndmask_b32 v19, v11, v5, s7 :: v_dual_cndmask_b32 v18, v10, v4, s7
	v_cndmask_b32_e64 v12, v12, v10, s7
	s_delay_alu instid0(VALU_DEP_3) | instskip(NEXT) | instid1(VALU_DEP_3)
	v_cmp_ge_u32_e64 s10, v17, v65
	v_cmp_le_i64_e64 s8, v[18:19], v[14:15]
	s_and_b32 s8, s9, s8
	s_delay_alu instid0(SALU_CYCLE_1) | instskip(NEXT) | instid1(SALU_CYCLE_1)
	s_or_b32 s8, s10, s8
	v_cndmask_b32_e64 v21, v17, v20, s8
	s_delay_alu instid0(VALU_DEP_1) | instskip(SKIP_1) | instid1(VALU_DEP_2)
	v_dual_cndmask_b32 v4, v65, v64, s8 :: v_dual_add_nc_u32 v26, 1, v21
	v_cndmask_b32_e64 v13, v13, v11, s7
	v_add_min_u32_e64 v4, v4, -1, v26
	v_dual_cndmask_b32 v20, v20, v26, s8 :: v_dual_cndmask_b32 v17, v26, v17, s8
	s_delay_alu instid0(VALU_DEP_2) | instskip(NEXT) | instid1(VALU_DEP_2)
	v_lshl_add_u32 v4, v4, 3, v1
	v_cmp_lt_u32_e64 s10, v20, v64
	s_delay_alu instid0(VALU_DEP_3)
	v_cmp_ge_u32_e64 s11, v17, v65
	ds_load_b64 v[4:5], v4
	s_wait_dscnt 0x0
	v_dual_cndmask_b32 v23, v5, v15, s8 :: v_dual_cndmask_b32 v24, v18, v4, s8
	v_dual_cndmask_b32 v22, v4, v14, s8 :: v_dual_cndmask_b32 v25, v19, v5, s8
	;; [unrolled: 1-line block ×3, first 2 shown]
	s_delay_alu instid0(VALU_DEP_2) | instskip(SKIP_1) | instid1(SALU_CYCLE_1)
	v_cmp_le_i64_e64 s9, v[24:25], v[22:23]
	s_and_b32 s9, s10, s9
	s_or_b32 s9, s11, s9
	s_delay_alu instid0(SALU_CYCLE_1) | instskip(NEXT) | instid1(VALU_DEP_1)
	v_cndmask_b32_e64 v26, v17, v20, s9
	v_dual_cndmask_b32 v4, v65, v64, s9 :: v_dual_add_nc_u32 v27, 1, v26
	s_delay_alu instid0(VALU_DEP_1) | instskip(SKIP_1) | instid1(VALU_DEP_2)
	v_add_min_u32_e64 v4, v4, -1, v27
	v_dual_cndmask_b32 v20, v20, v27, s9 :: v_dual_cndmask_b32 v17, v27, v17, s9
	v_lshl_add_u32 v4, v4, 3, v1
	s_delay_alu instid0(VALU_DEP_2) | instskip(NEXT) | instid1(VALU_DEP_3)
	v_cmp_lt_u32_e64 s11, v20, v64
	v_cmp_ge_u32_e64 s12, v17, v65
	ds_load_b64 v[4:5], v4
	s_wait_dscnt 0x0
	v_dual_cndmask_b32 v35, v5, v23, s9 :: v_dual_cndmask_b32 v36, v24, v4, s9
	v_dual_cndmask_b32 v34, v4, v22, s9 :: v_dual_cndmask_b32 v37, v25, v5, s9
	v_dual_cndmask_b32 v23, v23, v25, s9 :: v_dual_cndmask_b32 v22, v22, v24, s9
	s_delay_alu instid0(VALU_DEP_2) | instskip(SKIP_1) | instid1(SALU_CYCLE_1)
	v_cmp_le_i64_e64 s10, v[36:37], v[34:35]
	s_and_b32 s10, s11, s10
	s_or_b32 s10, s12, s10
	s_delay_alu instid0(SALU_CYCLE_1) | instskip(SKIP_1) | instid1(VALU_DEP_1)
	v_cndmask_b32_e64 v4, v65, v64, s10
	v_cndmask_b32_e64 v27, v17, v20, s10
	v_add_nc_u32_e32 v28, 1, v27
	s_delay_alu instid0(VALU_DEP_1) | instskip(NEXT) | instid1(VALU_DEP_1)
	v_add_min_u32_e64 v4, v4, -1, v28
	v_lshl_add_u32 v4, v4, 3, v1
	ds_load_b64 v[4:5], v4
	s_wait_dscnt 0x0
	v_dual_cndmask_b32 v49, v5, v35, s10 :: v_dual_cndmask_b32 v66, v36, v4, s10
	v_dual_cndmask_b32 v48, v4, v34, s10 :: v_dual_cndmask_b32 v67, v37, v5, s10
	v_cndmask_b32_e64 v20, v20, v28, s10
	v_cndmask_b32_e64 v17, v28, v17, s10
	v_dual_cndmask_b32 v37, v35, v37, s10 :: v_dual_cndmask_b32 v36, v34, v36, s10
	s_delay_alu instid0(VALU_DEP_4) | instskip(NEXT) | instid1(VALU_DEP_4)
	v_cmp_le_i64_e64 s11, v[66:67], v[48:49]
	v_cmp_lt_u32_e64 s12, v20, v64
	s_delay_alu instid0(VALU_DEP_4) | instskip(SKIP_1) | instid1(SALU_CYCLE_1)
	v_cmp_ge_u32_e64 s13, v17, v65
	s_and_b32 s11, s12, s11
	s_or_b32 s11, s13, s11
	s_delay_alu instid0(SALU_CYCLE_1) | instskip(SKIP_2) | instid1(VALU_DEP_2)
	v_cndmask_b32_e64 v4, v65, v64, s11
	v_cndmask_b32_e64 v28, v17, v20, s11
	v_dual_cndmask_b32 v35, v49, v67, s11 :: v_dual_cndmask_b32 v34, v48, v66, s11
	v_add_nc_u32_e32 v29, 1, v28
	s_delay_alu instid0(VALU_DEP_1) | instskip(SKIP_1) | instid1(VALU_DEP_2)
	v_add_min_u32_e64 v4, v4, -1, v29
	v_cndmask_b32_e64 v20, v20, v29, s11
	v_lshl_add_u32 v4, v4, 3, v1
	s_delay_alu instid0(VALU_DEP_2)
	v_cmp_lt_u32_e64 s13, v20, v64
	ds_load_b64 v[4:5], v4
	s_wait_dscnt 0x0
	v_dual_cndmask_b32 v69, v5, v49, s11 :: v_dual_cndmask_b32 v68, v4, v48, s11
	v_dual_cndmask_b32 v81, v67, v5, s11 :: v_dual_cndmask_b32 v80, v66, v4, s11
	v_cndmask_b32_e64 v17, v29, v17, s11
	v_lshl_add_u32 v28, v28, 3, v1
	s_delay_alu instid0(VALU_DEP_3) | instskip(NEXT) | instid1(VALU_DEP_3)
	v_cmp_le_i64_e64 s12, v[80:81], v[68:69]
	v_cmp_ge_u32_e64 s14, v17, v65
	s_and_b32 s12, s13, s12
	s_delay_alu instid0(SALU_CYCLE_1) | instskip(NEXT) | instid1(SALU_CYCLE_1)
	s_or_b32 s12, s14, s12
	v_cndmask_b32_e64 v29, v17, v20, s12
	v_cndmask_b32_e64 v4, v65, v64, s12
	v_dual_cndmask_b32 v25, v69, v81, s12 :: v_dual_cndmask_b32 v24, v68, v80, s12
	s_delay_alu instid0(VALU_DEP_3) | instskip(NEXT) | instid1(VALU_DEP_1)
	v_add_nc_u32_e32 v32, 1, v29
	v_add_min_u32_e64 v4, v4, -1, v32
	v_cndmask_b32_e64 v20, v20, v32, s12
	s_delay_alu instid0(VALU_DEP_2) | instskip(NEXT) | instid1(VALU_DEP_2)
	v_lshl_add_u32 v4, v4, 3, v1
	v_cmp_lt_u32_e64 s14, v20, v64
	ds_load_b64 v[4:5], v4
	s_wait_dscnt 0x0
	v_dual_cndmask_b32 v83, v5, v69, s12 :: v_dual_cndmask_b32 v84, v80, v4, s12
	v_dual_cndmask_b32 v82, v4, v68, s12 :: v_dual_cndmask_b32 v85, v81, v5, s12
	v_cndmask_b32_e64 v17, v32, v17, s12
	v_lshl_add_u32 v29, v29, 3, v1
	s_delay_alu instid0(VALU_DEP_3) | instskip(NEXT) | instid1(VALU_DEP_3)
	v_cmp_le_i64_e64 s13, v[84:85], v[82:83]
	v_cmp_ge_u32_e64 s15, v17, v65
	s_and_b32 s13, s14, s13
	s_delay_alu instid0(SALU_CYCLE_1) | instskip(NEXT) | instid1(SALU_CYCLE_1)
	s_or_b32 s13, s15, s13
	v_dual_cndmask_b32 v32, v17, v20, s13 :: v_dual_cndmask_b32 v49, v83, v85, s13
	v_cndmask_b32_e64 v48, v82, v84, s13
	s_delay_alu instid0(VALU_DEP_2) | instskip(NEXT) | instid1(VALU_DEP_1)
	v_add_nc_u32_e32 v33, 1, v32
	v_dual_cndmask_b32 v4, v65, v64, s13 :: v_dual_cndmask_b32 v38, v20, v33, s13
	s_delay_alu instid0(VALU_DEP_1) | instskip(SKIP_2) | instid1(VALU_DEP_4)
	v_add_min_u32_e64 v4, v4, -1, v33
	v_lshl_add_u32 v20, v26, 3, v1
	v_lshl_add_u32 v26, v27, 3, v1
	v_cmp_lt_u32_e64 s15, v38, v64
	s_delay_alu instid0(VALU_DEP_4)
	v_lshl_add_u32 v4, v4, 3, v1
	ds_load_b64 v[4:5], v4
	s_wait_dscnt 0x0
	v_dual_cndmask_b32 v87, v5, v83, s13 :: v_dual_cndmask_b32 v86, v4, v82, s13
	v_dual_cndmask_b32 v97, v85, v5, s13 :: v_dual_cndmask_b32 v96, v84, v4, s13
	v_cndmask_b32_e64 v33, v33, v17, s13
	v_lshl_add_u32 v4, v16, 3, v1
	v_lshl_add_u32 v16, v21, 3, v1
	v_lshl_add_u32 v50, v32, 3, v1
	v_cmp_le_i64_e64 s14, v[96:97], v[86:87]
	v_cmp_ge_u32_e64 s16, v33, v65
	ds_load_b64 v[4:5], v4 offset:16384
	ds_load_b64 v[16:17], v16 offset:16384
	;; [unrolled: 1-line block ×4, first 2 shown]
	s_and_b32 s14, s15, s14
	s_delay_alu instid0(SALU_CYCLE_1) | instskip(NEXT) | instid1(SALU_CYCLE_1)
	s_or_b32 s14, s16, s14
	v_dual_cndmask_b32 v33, v33, v38, s14 :: v_dual_cndmask_b32 v15, v87, v97, s14
	v_cndmask_b32_e64 v14, v86, v96, s14
	s_delay_alu instid0(VALU_DEP_2)
	v_lshl_add_u32 v51, v33, 3, v1
	ds_load_b64 v[32:33], v28 offset:16384
	ds_load_b64 v[38:39], v29 offset:16384
	;; [unrolled: 1-line block ×4, first 2 shown]
.LBB813_194:
	s_or_b32 exec_lo, exec_lo, s18
	v_and_b32_e32 v10, 0xe0, v70
	s_mov_b32 s8, exec_lo
	; wave barrier
	ds_store_2addr_b64 v30, v[12:13], v[18:19] offset1:1
	ds_store_2addr_b64 v30, v[22:23], v[36:37] offset0:2 offset1:3
	v_or_b32_e32 v11, 16, v10
	s_wait_dscnt 0x8
	ds_store_2addr_b64 v52, v[4:5], v[16:17] offset1:1
	s_wait_dscnt 0x7
	ds_store_2addr_b64 v53, v[20:21], v[26:27] offset1:1
	ds_store_2addr_b64 v30, v[34:35], v[24:25] offset0:4 offset1:5
	ds_store_2addr_b64 v30, v[48:49], v[14:15] offset0:6 offset1:7
	s_wait_dscnt 0x8
	ds_store_2addr_b64 v54, v[32:33], v[38:39] offset1:1
	s_wait_dscnt 0x7
	ds_store_2addr_b64 v55, v[28:29], v[50:51] offset1:1
	; wave barrier
	v_min_u32_e32 v64, v31, v11
	s_delay_alu instid0(VALU_DEP_1) | instskip(SKIP_1) | instid1(VALU_DEP_2)
	v_add_min_u32_e64 v65, v64, 16, v31
	v_and_b32_e32 v11, 24, v70
	v_dual_sub_nc_u32 v66, v64, v10 :: v_dual_sub_nc_u32 v67, v65, v64
	s_delay_alu instid0(VALU_DEP_2) | instskip(NEXT) | instid1(VALU_DEP_1)
	v_min_u32_e32 v11, v31, v11
	v_min_u32_e32 v68, v11, v66
	s_delay_alu instid0(VALU_DEP_3) | instskip(SKIP_1) | instid1(VALU_DEP_2)
	v_sub_nc_u32_e64 v66, v11, v67 clamp
	v_lshl_add_u32 v67, v10, 3, v1
	v_cmpx_lt_u32_e64 v66, v68
	s_cbranch_execz .LBB813_198
; %bb.195:
	v_dual_lshlrev_b32 v69, 3, v64 :: v_dual_lshlrev_b32 v80, 3, v11
	s_mov_b32 s9, 0
	s_delay_alu instid0(VALU_DEP_1)
	v_add3_u32 v69, v1, v69, v80
.LBB813_196:                            ; =>This Inner Loop Header: Depth=1
	v_add_nc_u32_e32 v80, v68, v66
	s_delay_alu instid0(VALU_DEP_1) | instskip(NEXT) | instid1(VALU_DEP_1)
	v_lshrrev_b32_e32 v84, 1, v80
	v_not_b32_e32 v80, v84
	v_lshl_add_u32 v81, v84, 3, v67
	s_delay_alu instid0(VALU_DEP_2)
	v_lshl_add_u32 v82, v80, 3, v69
	ds_load_b64 v[80:81], v81
	ds_load_b64 v[82:83], v82
	s_wait_dscnt 0x0
	v_cmp_gt_i64_e64 s7, v[80:81], v[82:83]
	v_add_nc_u32_e32 v80, 1, v84
	s_delay_alu instid0(VALU_DEP_1) | instskip(SKIP_1) | instid1(VALU_DEP_1)
	v_cndmask_b32_e64 v66, v80, v66, s7
	v_cndmask_b32_e64 v68, v68, v84, s7
	v_cmp_ge_u32_e64 s7, v66, v68
	s_or_b32 s9, s7, s9
	s_delay_alu instid0(SALU_CYCLE_1)
	s_and_not1_b32 exec_lo, exec_lo, s9
	s_cbranch_execnz .LBB813_196
; %bb.197:
	s_or_b32 exec_lo, exec_lo, s9
.LBB813_198:
	s_delay_alu instid0(SALU_CYCLE_1) | instskip(SKIP_1) | instid1(VALU_DEP_1)
	s_or_b32 exec_lo, exec_lo, s8
	v_dual_add_nc_u32 v11, v64, v11 :: v_dual_add_nc_u32 v68, v66, v10
	v_sub_nc_u32_e32 v69, v11, v66
	s_delay_alu instid0(VALU_DEP_2) | instskip(NEXT) | instid1(VALU_DEP_2)
	v_cmp_le_u32_e64 s7, v68, v64
	v_cmp_le_u32_e64 s8, v69, v65
	s_or_b32 s7, s7, s8
	s_delay_alu instid0(SALU_CYCLE_1)
	s_and_saveexec_b32 s18, s7
	s_cbranch_execz .LBB813_204
; %bb.199:
	v_cmp_lt_u32_e64 s7, v68, v64
                                        ; implicit-def: $vgpr10_vgpr11
	s_and_saveexec_b32 s8, s7
; %bb.200:
	v_lshl_add_u32 v4, v66, 3, v67
	ds_load_b64 v[10:11], v4
; %bb.201:
	s_or_b32 exec_lo, exec_lo, s8
	v_cmp_ge_u32_e64 s8, v69, v65
	s_mov_b32 s10, exec_lo
                                        ; implicit-def: $vgpr12_vgpr13
	v_cmpx_lt_u32_e64 v69, v65
; %bb.202:
	v_lshl_add_u32 v4, v69, 3, v1
	ds_load_b64 v[12:13], v4
; %bb.203:
	s_or_b32 exec_lo, exec_lo, s10
	s_wait_dscnt 0x0
	v_cmp_le_i64_e64 s9, v[10:11], v[12:13]
	s_and_b32 s7, s7, s9
	s_delay_alu instid0(SALU_CYCLE_1) | instskip(NEXT) | instid1(SALU_CYCLE_1)
	s_or_b32 s7, s8, s7
	v_cndmask_b32_e64 v16, v69, v68, s7
	s_delay_alu instid0(VALU_DEP_1) | instskip(NEXT) | instid1(VALU_DEP_1)
	v_add_nc_u32_e32 v17, 1, v16
	v_dual_cndmask_b32 v4, v65, v64, s7 :: v_dual_cndmask_b32 v20, v68, v17, s7
	s_delay_alu instid0(VALU_DEP_1) | instskip(NEXT) | instid1(VALU_DEP_2)
	v_add_min_u32_e64 v4, v4, -1, v17
	v_cmp_lt_u32_e64 s9, v20, v64
	s_delay_alu instid0(VALU_DEP_2)
	v_lshl_add_u32 v4, v4, 3, v1
	ds_load_b64 v[4:5], v4
	s_wait_dscnt 0x0
	v_dual_cndmask_b32 v15, v5, v13, s7 :: v_dual_cndmask_b32 v14, v4, v12, s7
	v_cndmask_b32_e64 v17, v17, v69, s7
	v_dual_cndmask_b32 v19, v11, v5, s7 :: v_dual_cndmask_b32 v18, v10, v4, s7
	v_cndmask_b32_e64 v12, v12, v10, s7
	s_delay_alu instid0(VALU_DEP_3) | instskip(NEXT) | instid1(VALU_DEP_3)
	v_cmp_ge_u32_e64 s10, v17, v65
	v_cmp_le_i64_e64 s8, v[18:19], v[14:15]
	s_and_b32 s8, s9, s8
	s_delay_alu instid0(SALU_CYCLE_1) | instskip(NEXT) | instid1(SALU_CYCLE_1)
	s_or_b32 s8, s10, s8
	v_cndmask_b32_e64 v21, v17, v20, s8
	s_delay_alu instid0(VALU_DEP_1) | instskip(SKIP_1) | instid1(VALU_DEP_2)
	v_dual_cndmask_b32 v4, v65, v64, s8 :: v_dual_add_nc_u32 v26, 1, v21
	v_cndmask_b32_e64 v13, v13, v11, s7
	v_add_min_u32_e64 v4, v4, -1, v26
	v_dual_cndmask_b32 v20, v20, v26, s8 :: v_dual_cndmask_b32 v17, v26, v17, s8
	s_delay_alu instid0(VALU_DEP_2) | instskip(NEXT) | instid1(VALU_DEP_2)
	v_lshl_add_u32 v4, v4, 3, v1
	v_cmp_lt_u32_e64 s10, v20, v64
	s_delay_alu instid0(VALU_DEP_3)
	v_cmp_ge_u32_e64 s11, v17, v65
	ds_load_b64 v[4:5], v4
	s_wait_dscnt 0x0
	v_dual_cndmask_b32 v23, v5, v15, s8 :: v_dual_cndmask_b32 v24, v18, v4, s8
	v_dual_cndmask_b32 v22, v4, v14, s8 :: v_dual_cndmask_b32 v25, v19, v5, s8
	;; [unrolled: 1-line block ×3, first 2 shown]
	s_delay_alu instid0(VALU_DEP_2) | instskip(SKIP_1) | instid1(SALU_CYCLE_1)
	v_cmp_le_i64_e64 s9, v[24:25], v[22:23]
	s_and_b32 s9, s10, s9
	s_or_b32 s9, s11, s9
	s_delay_alu instid0(SALU_CYCLE_1) | instskip(NEXT) | instid1(VALU_DEP_1)
	v_cndmask_b32_e64 v26, v17, v20, s9
	v_dual_cndmask_b32 v4, v65, v64, s9 :: v_dual_add_nc_u32 v27, 1, v26
	s_delay_alu instid0(VALU_DEP_1) | instskip(SKIP_1) | instid1(VALU_DEP_2)
	v_add_min_u32_e64 v4, v4, -1, v27
	v_dual_cndmask_b32 v20, v20, v27, s9 :: v_dual_cndmask_b32 v17, v27, v17, s9
	v_lshl_add_u32 v4, v4, 3, v1
	s_delay_alu instid0(VALU_DEP_2) | instskip(NEXT) | instid1(VALU_DEP_3)
	v_cmp_lt_u32_e64 s11, v20, v64
	v_cmp_ge_u32_e64 s12, v17, v65
	ds_load_b64 v[4:5], v4
	s_wait_dscnt 0x0
	v_dual_cndmask_b32 v35, v5, v23, s9 :: v_dual_cndmask_b32 v36, v24, v4, s9
	v_dual_cndmask_b32 v34, v4, v22, s9 :: v_dual_cndmask_b32 v37, v25, v5, s9
	;; [unrolled: 1-line block ×3, first 2 shown]
	s_delay_alu instid0(VALU_DEP_2) | instskip(SKIP_1) | instid1(SALU_CYCLE_1)
	v_cmp_le_i64_e64 s10, v[36:37], v[34:35]
	s_and_b32 s10, s11, s10
	s_or_b32 s10, s12, s10
	s_delay_alu instid0(SALU_CYCLE_1) | instskip(SKIP_1) | instid1(VALU_DEP_1)
	v_cndmask_b32_e64 v4, v65, v64, s10
	v_cndmask_b32_e64 v27, v17, v20, s10
	v_add_nc_u32_e32 v28, 1, v27
	s_delay_alu instid0(VALU_DEP_1) | instskip(NEXT) | instid1(VALU_DEP_1)
	v_add_min_u32_e64 v4, v4, -1, v28
	v_lshl_add_u32 v4, v4, 3, v1
	ds_load_b64 v[4:5], v4
	s_wait_dscnt 0x0
	v_dual_cndmask_b32 v49, v5, v35, s10 :: v_dual_cndmask_b32 v66, v36, v4, s10
	v_dual_cndmask_b32 v48, v4, v34, s10 :: v_dual_cndmask_b32 v67, v37, v5, s10
	v_cndmask_b32_e64 v20, v20, v28, s10
	v_cndmask_b32_e64 v17, v28, v17, s10
	v_dual_cndmask_b32 v37, v35, v37, s10 :: v_dual_cndmask_b32 v36, v34, v36, s10
	s_delay_alu instid0(VALU_DEP_4) | instskip(NEXT) | instid1(VALU_DEP_4)
	v_cmp_le_i64_e64 s11, v[66:67], v[48:49]
	v_cmp_lt_u32_e64 s12, v20, v64
	s_delay_alu instid0(VALU_DEP_4) | instskip(SKIP_1) | instid1(SALU_CYCLE_1)
	v_cmp_ge_u32_e64 s13, v17, v65
	s_and_b32 s11, s12, s11
	s_or_b32 s11, s13, s11
	s_delay_alu instid0(SALU_CYCLE_1) | instskip(SKIP_2) | instid1(VALU_DEP_2)
	v_cndmask_b32_e64 v4, v65, v64, s11
	v_cndmask_b32_e64 v28, v17, v20, s11
	v_dual_cndmask_b32 v35, v49, v67, s11 :: v_dual_cndmask_b32 v34, v48, v66, s11
	v_add_nc_u32_e32 v29, 1, v28
	s_delay_alu instid0(VALU_DEP_1) | instskip(SKIP_1) | instid1(VALU_DEP_2)
	v_add_min_u32_e64 v4, v4, -1, v29
	v_cndmask_b32_e64 v20, v20, v29, s11
	v_lshl_add_u32 v4, v4, 3, v1
	s_delay_alu instid0(VALU_DEP_2)
	v_cmp_lt_u32_e64 s13, v20, v64
	ds_load_b64 v[4:5], v4
	s_wait_dscnt 0x0
	v_dual_cndmask_b32 v69, v5, v49, s11 :: v_dual_cndmask_b32 v68, v4, v48, s11
	v_dual_cndmask_b32 v81, v67, v5, s11 :: v_dual_cndmask_b32 v80, v66, v4, s11
	v_cndmask_b32_e64 v17, v29, v17, s11
	v_lshl_add_u32 v28, v28, 3, v1
	s_delay_alu instid0(VALU_DEP_3) | instskip(NEXT) | instid1(VALU_DEP_3)
	v_cmp_le_i64_e64 s12, v[80:81], v[68:69]
	v_cmp_ge_u32_e64 s14, v17, v65
	s_and_b32 s12, s13, s12
	s_delay_alu instid0(SALU_CYCLE_1) | instskip(NEXT) | instid1(SALU_CYCLE_1)
	s_or_b32 s12, s14, s12
	v_cndmask_b32_e64 v29, v17, v20, s12
	v_cndmask_b32_e64 v4, v65, v64, s12
	v_dual_cndmask_b32 v25, v69, v81, s12 :: v_dual_cndmask_b32 v24, v68, v80, s12
	s_delay_alu instid0(VALU_DEP_3) | instskip(NEXT) | instid1(VALU_DEP_1)
	v_add_nc_u32_e32 v32, 1, v29
	v_add_min_u32_e64 v4, v4, -1, v32
	v_cndmask_b32_e64 v20, v20, v32, s12
	s_delay_alu instid0(VALU_DEP_2) | instskip(NEXT) | instid1(VALU_DEP_2)
	v_lshl_add_u32 v4, v4, 3, v1
	v_cmp_lt_u32_e64 s14, v20, v64
	ds_load_b64 v[4:5], v4
	s_wait_dscnt 0x0
	v_dual_cndmask_b32 v83, v5, v69, s12 :: v_dual_cndmask_b32 v84, v80, v4, s12
	v_dual_cndmask_b32 v82, v4, v68, s12 :: v_dual_cndmask_b32 v85, v81, v5, s12
	v_cndmask_b32_e64 v17, v32, v17, s12
	v_lshl_add_u32 v29, v29, 3, v1
	s_delay_alu instid0(VALU_DEP_3) | instskip(NEXT) | instid1(VALU_DEP_3)
	v_cmp_le_i64_e64 s13, v[84:85], v[82:83]
	v_cmp_ge_u32_e64 s15, v17, v65
	s_and_b32 s13, s14, s13
	s_delay_alu instid0(SALU_CYCLE_1) | instskip(NEXT) | instid1(SALU_CYCLE_1)
	s_or_b32 s13, s15, s13
	v_dual_cndmask_b32 v32, v17, v20, s13 :: v_dual_cndmask_b32 v49, v83, v85, s13
	v_cndmask_b32_e64 v48, v82, v84, s13
	s_delay_alu instid0(VALU_DEP_2) | instskip(NEXT) | instid1(VALU_DEP_1)
	v_add_nc_u32_e32 v33, 1, v32
	v_dual_cndmask_b32 v4, v65, v64, s13 :: v_dual_cndmask_b32 v38, v20, v33, s13
	s_delay_alu instid0(VALU_DEP_1) | instskip(SKIP_2) | instid1(VALU_DEP_4)
	v_add_min_u32_e64 v4, v4, -1, v33
	v_lshl_add_u32 v20, v26, 3, v1
	v_lshl_add_u32 v26, v27, 3, v1
	v_cmp_lt_u32_e64 s15, v38, v64
	s_delay_alu instid0(VALU_DEP_4)
	v_lshl_add_u32 v4, v4, 3, v1
	ds_load_b64 v[4:5], v4
	s_wait_dscnt 0x0
	v_dual_cndmask_b32 v87, v5, v83, s13 :: v_dual_cndmask_b32 v86, v4, v82, s13
	v_dual_cndmask_b32 v97, v85, v5, s13 :: v_dual_cndmask_b32 v96, v84, v4, s13
	v_cndmask_b32_e64 v33, v33, v17, s13
	v_lshl_add_u32 v4, v16, 3, v1
	v_lshl_add_u32 v16, v21, 3, v1
	;; [unrolled: 1-line block ×3, first 2 shown]
	v_cmp_le_i64_e64 s14, v[96:97], v[86:87]
	v_cmp_ge_u32_e64 s16, v33, v65
	ds_load_b64 v[4:5], v4 offset:16384
	ds_load_b64 v[16:17], v16 offset:16384
	;; [unrolled: 1-line block ×4, first 2 shown]
	s_and_b32 s14, s15, s14
	s_delay_alu instid0(SALU_CYCLE_1) | instskip(NEXT) | instid1(SALU_CYCLE_1)
	s_or_b32 s14, s16, s14
	v_dual_cndmask_b32 v33, v33, v38, s14 :: v_dual_cndmask_b32 v15, v87, v97, s14
	v_cndmask_b32_e64 v14, v86, v96, s14
	s_delay_alu instid0(VALU_DEP_2)
	v_lshl_add_u32 v51, v33, 3, v1
	ds_load_b64 v[32:33], v28 offset:16384
	ds_load_b64 v[38:39], v29 offset:16384
	;; [unrolled: 1-line block ×4, first 2 shown]
.LBB813_204:
	s_or_b32 exec_lo, exec_lo, s18
	v_and_b32_e32 v10, 0xc0, v70
	s_mov_b32 s8, exec_lo
	; wave barrier
	ds_store_2addr_b64 v30, v[12:13], v[18:19] offset1:1
	ds_store_2addr_b64 v30, v[22:23], v[36:37] offset0:2 offset1:3
	v_or_b32_e32 v11, 32, v10
	s_wait_dscnt 0x8
	ds_store_2addr_b64 v52, v[4:5], v[16:17] offset1:1
	s_wait_dscnt 0x7
	ds_store_2addr_b64 v53, v[20:21], v[26:27] offset1:1
	ds_store_2addr_b64 v30, v[34:35], v[24:25] offset0:4 offset1:5
	ds_store_2addr_b64 v30, v[48:49], v[14:15] offset0:6 offset1:7
	s_wait_dscnt 0x8
	ds_store_2addr_b64 v54, v[32:33], v[38:39] offset1:1
	s_wait_dscnt 0x7
	ds_store_2addr_b64 v55, v[28:29], v[50:51] offset1:1
	; wave barrier
	v_min_u32_e32 v64, v31, v11
	s_delay_alu instid0(VALU_DEP_1) | instskip(SKIP_1) | instid1(VALU_DEP_2)
	v_add_min_u32_e64 v65, v64, 32, v31
	v_and_b32_e32 v11, 56, v70
	v_dual_sub_nc_u32 v66, v64, v10 :: v_dual_sub_nc_u32 v67, v65, v64
	s_delay_alu instid0(VALU_DEP_2) | instskip(NEXT) | instid1(VALU_DEP_1)
	v_min_u32_e32 v11, v31, v11
	v_min_u32_e32 v68, v11, v66
	s_delay_alu instid0(VALU_DEP_3) | instskip(SKIP_1) | instid1(VALU_DEP_2)
	v_sub_nc_u32_e64 v66, v11, v67 clamp
	v_lshl_add_u32 v67, v10, 3, v1
	v_cmpx_lt_u32_e64 v66, v68
	s_cbranch_execz .LBB813_208
; %bb.205:
	v_dual_lshlrev_b32 v69, 3, v64 :: v_dual_lshlrev_b32 v80, 3, v11
	s_mov_b32 s9, 0
	s_delay_alu instid0(VALU_DEP_1)
	v_add3_u32 v69, v1, v69, v80
.LBB813_206:                            ; =>This Inner Loop Header: Depth=1
	v_add_nc_u32_e32 v80, v68, v66
	s_delay_alu instid0(VALU_DEP_1) | instskip(NEXT) | instid1(VALU_DEP_1)
	v_lshrrev_b32_e32 v84, 1, v80
	v_not_b32_e32 v80, v84
	v_lshl_add_u32 v81, v84, 3, v67
	s_delay_alu instid0(VALU_DEP_2)
	v_lshl_add_u32 v82, v80, 3, v69
	ds_load_b64 v[80:81], v81
	ds_load_b64 v[82:83], v82
	s_wait_dscnt 0x0
	v_cmp_gt_i64_e64 s7, v[80:81], v[82:83]
	v_add_nc_u32_e32 v80, 1, v84
	s_delay_alu instid0(VALU_DEP_1) | instskip(SKIP_1) | instid1(VALU_DEP_1)
	v_cndmask_b32_e64 v66, v80, v66, s7
	v_cndmask_b32_e64 v68, v68, v84, s7
	v_cmp_ge_u32_e64 s7, v66, v68
	s_or_b32 s9, s7, s9
	s_delay_alu instid0(SALU_CYCLE_1)
	s_and_not1_b32 exec_lo, exec_lo, s9
	s_cbranch_execnz .LBB813_206
; %bb.207:
	s_or_b32 exec_lo, exec_lo, s9
.LBB813_208:
	s_delay_alu instid0(SALU_CYCLE_1) | instskip(SKIP_1) | instid1(VALU_DEP_1)
	s_or_b32 exec_lo, exec_lo, s8
	v_dual_add_nc_u32 v11, v64, v11 :: v_dual_add_nc_u32 v68, v66, v10
	v_sub_nc_u32_e32 v69, v11, v66
	s_delay_alu instid0(VALU_DEP_2) | instskip(NEXT) | instid1(VALU_DEP_2)
	v_cmp_le_u32_e64 s7, v68, v64
	v_cmp_le_u32_e64 s8, v69, v65
	s_or_b32 s7, s7, s8
	s_delay_alu instid0(SALU_CYCLE_1)
	s_and_saveexec_b32 s18, s7
	s_cbranch_execz .LBB813_214
; %bb.209:
	v_cmp_lt_u32_e64 s7, v68, v64
                                        ; implicit-def: $vgpr10_vgpr11
	s_and_saveexec_b32 s8, s7
; %bb.210:
	v_lshl_add_u32 v4, v66, 3, v67
	ds_load_b64 v[10:11], v4
; %bb.211:
	s_or_b32 exec_lo, exec_lo, s8
	v_cmp_ge_u32_e64 s8, v69, v65
	s_mov_b32 s10, exec_lo
                                        ; implicit-def: $vgpr12_vgpr13
	v_cmpx_lt_u32_e64 v69, v65
; %bb.212:
	v_lshl_add_u32 v4, v69, 3, v1
	ds_load_b64 v[12:13], v4
; %bb.213:
	s_or_b32 exec_lo, exec_lo, s10
	s_wait_dscnt 0x0
	v_cmp_le_i64_e64 s9, v[10:11], v[12:13]
	s_and_b32 s7, s7, s9
	s_delay_alu instid0(SALU_CYCLE_1) | instskip(NEXT) | instid1(SALU_CYCLE_1)
	s_or_b32 s7, s8, s7
	v_cndmask_b32_e64 v16, v69, v68, s7
	s_delay_alu instid0(VALU_DEP_1) | instskip(NEXT) | instid1(VALU_DEP_1)
	v_add_nc_u32_e32 v17, 1, v16
	v_dual_cndmask_b32 v4, v65, v64, s7 :: v_dual_cndmask_b32 v20, v68, v17, s7
	s_delay_alu instid0(VALU_DEP_1) | instskip(NEXT) | instid1(VALU_DEP_2)
	v_add_min_u32_e64 v4, v4, -1, v17
	v_cmp_lt_u32_e64 s9, v20, v64
	s_delay_alu instid0(VALU_DEP_2)
	v_lshl_add_u32 v4, v4, 3, v1
	ds_load_b64 v[4:5], v4
	s_wait_dscnt 0x0
	v_dual_cndmask_b32 v15, v5, v13, s7 :: v_dual_cndmask_b32 v14, v4, v12, s7
	v_cndmask_b32_e64 v17, v17, v69, s7
	v_dual_cndmask_b32 v19, v11, v5, s7 :: v_dual_cndmask_b32 v18, v10, v4, s7
	v_cndmask_b32_e64 v12, v12, v10, s7
	s_delay_alu instid0(VALU_DEP_3) | instskip(NEXT) | instid1(VALU_DEP_3)
	v_cmp_ge_u32_e64 s10, v17, v65
	v_cmp_le_i64_e64 s8, v[18:19], v[14:15]
	s_and_b32 s8, s9, s8
	s_delay_alu instid0(SALU_CYCLE_1) | instskip(NEXT) | instid1(SALU_CYCLE_1)
	s_or_b32 s8, s10, s8
	v_cndmask_b32_e64 v21, v17, v20, s8
	s_delay_alu instid0(VALU_DEP_1) | instskip(SKIP_1) | instid1(VALU_DEP_2)
	v_dual_cndmask_b32 v4, v65, v64, s8 :: v_dual_add_nc_u32 v26, 1, v21
	v_cndmask_b32_e64 v13, v13, v11, s7
	v_add_min_u32_e64 v4, v4, -1, v26
	v_dual_cndmask_b32 v20, v20, v26, s8 :: v_dual_cndmask_b32 v17, v26, v17, s8
	s_delay_alu instid0(VALU_DEP_2) | instskip(NEXT) | instid1(VALU_DEP_2)
	v_lshl_add_u32 v4, v4, 3, v1
	v_cmp_lt_u32_e64 s10, v20, v64
	s_delay_alu instid0(VALU_DEP_3)
	v_cmp_ge_u32_e64 s11, v17, v65
	ds_load_b64 v[4:5], v4
	s_wait_dscnt 0x0
	v_dual_cndmask_b32 v23, v5, v15, s8 :: v_dual_cndmask_b32 v24, v18, v4, s8
	v_dual_cndmask_b32 v22, v4, v14, s8 :: v_dual_cndmask_b32 v25, v19, v5, s8
	;; [unrolled: 1-line block ×3, first 2 shown]
	s_delay_alu instid0(VALU_DEP_2) | instskip(SKIP_1) | instid1(SALU_CYCLE_1)
	v_cmp_le_i64_e64 s9, v[24:25], v[22:23]
	s_and_b32 s9, s10, s9
	s_or_b32 s9, s11, s9
	s_delay_alu instid0(SALU_CYCLE_1) | instskip(NEXT) | instid1(VALU_DEP_1)
	v_cndmask_b32_e64 v26, v17, v20, s9
	v_dual_cndmask_b32 v4, v65, v64, s9 :: v_dual_add_nc_u32 v27, 1, v26
	s_delay_alu instid0(VALU_DEP_1) | instskip(SKIP_1) | instid1(VALU_DEP_2)
	v_add_min_u32_e64 v4, v4, -1, v27
	v_dual_cndmask_b32 v20, v20, v27, s9 :: v_dual_cndmask_b32 v17, v27, v17, s9
	v_lshl_add_u32 v4, v4, 3, v1
	s_delay_alu instid0(VALU_DEP_2) | instskip(NEXT) | instid1(VALU_DEP_3)
	v_cmp_lt_u32_e64 s11, v20, v64
	v_cmp_ge_u32_e64 s12, v17, v65
	ds_load_b64 v[4:5], v4
	s_wait_dscnt 0x0
	v_dual_cndmask_b32 v35, v5, v23, s9 :: v_dual_cndmask_b32 v36, v24, v4, s9
	v_dual_cndmask_b32 v34, v4, v22, s9 :: v_dual_cndmask_b32 v37, v25, v5, s9
	;; [unrolled: 1-line block ×3, first 2 shown]
	s_delay_alu instid0(VALU_DEP_2) | instskip(SKIP_1) | instid1(SALU_CYCLE_1)
	v_cmp_le_i64_e64 s10, v[36:37], v[34:35]
	s_and_b32 s10, s11, s10
	s_or_b32 s10, s12, s10
	s_delay_alu instid0(SALU_CYCLE_1) | instskip(SKIP_1) | instid1(VALU_DEP_1)
	v_cndmask_b32_e64 v4, v65, v64, s10
	v_cndmask_b32_e64 v27, v17, v20, s10
	v_add_nc_u32_e32 v28, 1, v27
	s_delay_alu instid0(VALU_DEP_1) | instskip(NEXT) | instid1(VALU_DEP_1)
	v_add_min_u32_e64 v4, v4, -1, v28
	v_lshl_add_u32 v4, v4, 3, v1
	ds_load_b64 v[4:5], v4
	s_wait_dscnt 0x0
	v_dual_cndmask_b32 v49, v5, v35, s10 :: v_dual_cndmask_b32 v66, v36, v4, s10
	v_dual_cndmask_b32 v48, v4, v34, s10 :: v_dual_cndmask_b32 v67, v37, v5, s10
	v_cndmask_b32_e64 v20, v20, v28, s10
	v_cndmask_b32_e64 v17, v28, v17, s10
	v_dual_cndmask_b32 v37, v35, v37, s10 :: v_dual_cndmask_b32 v36, v34, v36, s10
	s_delay_alu instid0(VALU_DEP_4) | instskip(NEXT) | instid1(VALU_DEP_4)
	v_cmp_le_i64_e64 s11, v[66:67], v[48:49]
	v_cmp_lt_u32_e64 s12, v20, v64
	s_delay_alu instid0(VALU_DEP_4) | instskip(SKIP_1) | instid1(SALU_CYCLE_1)
	v_cmp_ge_u32_e64 s13, v17, v65
	s_and_b32 s11, s12, s11
	s_or_b32 s11, s13, s11
	s_delay_alu instid0(SALU_CYCLE_1) | instskip(SKIP_2) | instid1(VALU_DEP_2)
	v_cndmask_b32_e64 v4, v65, v64, s11
	v_cndmask_b32_e64 v28, v17, v20, s11
	v_dual_cndmask_b32 v35, v49, v67, s11 :: v_dual_cndmask_b32 v34, v48, v66, s11
	v_add_nc_u32_e32 v29, 1, v28
	s_delay_alu instid0(VALU_DEP_1) | instskip(SKIP_1) | instid1(VALU_DEP_2)
	v_add_min_u32_e64 v4, v4, -1, v29
	v_cndmask_b32_e64 v20, v20, v29, s11
	v_lshl_add_u32 v4, v4, 3, v1
	s_delay_alu instid0(VALU_DEP_2)
	v_cmp_lt_u32_e64 s13, v20, v64
	ds_load_b64 v[4:5], v4
	s_wait_dscnt 0x0
	v_dual_cndmask_b32 v69, v5, v49, s11 :: v_dual_cndmask_b32 v68, v4, v48, s11
	v_dual_cndmask_b32 v81, v67, v5, s11 :: v_dual_cndmask_b32 v80, v66, v4, s11
	v_cndmask_b32_e64 v17, v29, v17, s11
	v_lshl_add_u32 v28, v28, 3, v1
	s_delay_alu instid0(VALU_DEP_3) | instskip(NEXT) | instid1(VALU_DEP_3)
	v_cmp_le_i64_e64 s12, v[80:81], v[68:69]
	v_cmp_ge_u32_e64 s14, v17, v65
	s_and_b32 s12, s13, s12
	s_delay_alu instid0(SALU_CYCLE_1) | instskip(NEXT) | instid1(SALU_CYCLE_1)
	s_or_b32 s12, s14, s12
	v_cndmask_b32_e64 v29, v17, v20, s12
	v_cndmask_b32_e64 v4, v65, v64, s12
	v_dual_cndmask_b32 v25, v69, v81, s12 :: v_dual_cndmask_b32 v24, v68, v80, s12
	s_delay_alu instid0(VALU_DEP_3) | instskip(NEXT) | instid1(VALU_DEP_1)
	v_add_nc_u32_e32 v32, 1, v29
	v_add_min_u32_e64 v4, v4, -1, v32
	v_cndmask_b32_e64 v20, v20, v32, s12
	s_delay_alu instid0(VALU_DEP_2) | instskip(NEXT) | instid1(VALU_DEP_2)
	v_lshl_add_u32 v4, v4, 3, v1
	v_cmp_lt_u32_e64 s14, v20, v64
	ds_load_b64 v[4:5], v4
	s_wait_dscnt 0x0
	v_dual_cndmask_b32 v83, v5, v69, s12 :: v_dual_cndmask_b32 v84, v80, v4, s12
	v_dual_cndmask_b32 v82, v4, v68, s12 :: v_dual_cndmask_b32 v85, v81, v5, s12
	v_cndmask_b32_e64 v17, v32, v17, s12
	v_lshl_add_u32 v29, v29, 3, v1
	s_delay_alu instid0(VALU_DEP_3) | instskip(NEXT) | instid1(VALU_DEP_3)
	v_cmp_le_i64_e64 s13, v[84:85], v[82:83]
	v_cmp_ge_u32_e64 s15, v17, v65
	s_and_b32 s13, s14, s13
	s_delay_alu instid0(SALU_CYCLE_1) | instskip(NEXT) | instid1(SALU_CYCLE_1)
	s_or_b32 s13, s15, s13
	v_dual_cndmask_b32 v32, v17, v20, s13 :: v_dual_cndmask_b32 v49, v83, v85, s13
	v_cndmask_b32_e64 v48, v82, v84, s13
	s_delay_alu instid0(VALU_DEP_2) | instskip(NEXT) | instid1(VALU_DEP_1)
	v_add_nc_u32_e32 v33, 1, v32
	v_dual_cndmask_b32 v4, v65, v64, s13 :: v_dual_cndmask_b32 v38, v20, v33, s13
	s_delay_alu instid0(VALU_DEP_1) | instskip(SKIP_2) | instid1(VALU_DEP_4)
	v_add_min_u32_e64 v4, v4, -1, v33
	v_lshl_add_u32 v20, v26, 3, v1
	v_lshl_add_u32 v26, v27, 3, v1
	v_cmp_lt_u32_e64 s15, v38, v64
	s_delay_alu instid0(VALU_DEP_4)
	v_lshl_add_u32 v4, v4, 3, v1
	ds_load_b64 v[4:5], v4
	s_wait_dscnt 0x0
	v_dual_cndmask_b32 v87, v5, v83, s13 :: v_dual_cndmask_b32 v86, v4, v82, s13
	v_dual_cndmask_b32 v97, v85, v5, s13 :: v_dual_cndmask_b32 v96, v84, v4, s13
	v_cndmask_b32_e64 v33, v33, v17, s13
	v_lshl_add_u32 v4, v16, 3, v1
	v_lshl_add_u32 v16, v21, 3, v1
	;; [unrolled: 1-line block ×3, first 2 shown]
	v_cmp_le_i64_e64 s14, v[96:97], v[86:87]
	v_cmp_ge_u32_e64 s16, v33, v65
	ds_load_b64 v[4:5], v4 offset:16384
	ds_load_b64 v[16:17], v16 offset:16384
	ds_load_b64 v[20:21], v20 offset:16384
	ds_load_b64 v[26:27], v26 offset:16384
	s_and_b32 s14, s15, s14
	s_delay_alu instid0(SALU_CYCLE_1) | instskip(NEXT) | instid1(SALU_CYCLE_1)
	s_or_b32 s14, s16, s14
	v_dual_cndmask_b32 v33, v33, v38, s14 :: v_dual_cndmask_b32 v15, v87, v97, s14
	v_cndmask_b32_e64 v14, v86, v96, s14
	s_delay_alu instid0(VALU_DEP_2)
	v_lshl_add_u32 v51, v33, 3, v1
	ds_load_b64 v[32:33], v28 offset:16384
	ds_load_b64 v[38:39], v29 offset:16384
	ds_load_b64 v[28:29], v50 offset:16384
	ds_load_b64 v[50:51], v51 offset:16384
.LBB813_214:
	s_or_b32 exec_lo, exec_lo, s18
	v_and_b32_e32 v10, 0x80, v70
	; wave barrier
	ds_store_2addr_b64 v30, v[12:13], v[18:19] offset1:1
	ds_store_2addr_b64 v30, v[22:23], v[36:37] offset0:2 offset1:3
	s_wait_dscnt 0x8
	ds_store_2addr_b64 v52, v[4:5], v[16:17] offset1:1
	s_wait_dscnt 0x7
	ds_store_2addr_b64 v53, v[20:21], v[26:27] offset1:1
	ds_store_2addr_b64 v30, v[34:35], v[24:25] offset0:4 offset1:5
	ds_store_2addr_b64 v30, v[48:49], v[14:15] offset0:6 offset1:7
	v_or_b32_e32 v11, 64, v10
	v_lshl_add_u32 v30, v10, 3, v1
	s_mov_b32 s8, exec_lo
	s_wait_dscnt 0x8
	ds_store_2addr_b64 v54, v[32:33], v[38:39] offset1:1
	s_wait_dscnt 0x7
	ds_store_2addr_b64 v55, v[28:29], v[50:51] offset1:1
	v_min_u32_e32 v65, v31, v11
	v_min_u32_e32 v11, v31, v71
	; wave barrier
	s_delay_alu instid0(VALU_DEP_2) | instskip(NEXT) | instid1(VALU_DEP_1)
	v_add_min_u32_e64 v64, v65, 64, v31
	v_dual_sub_nc_u32 v31, v65, v10 :: v_dual_sub_nc_u32 v67, v64, v65
	s_delay_alu instid0(VALU_DEP_1) | instskip(NEXT) | instid1(VALU_DEP_2)
	v_min_u32_e32 v66, v11, v31
	v_sub_nc_u32_e64 v31, v11, v67 clamp
	s_delay_alu instid0(VALU_DEP_1)
	v_cmpx_lt_u32_e64 v31, v66
	s_cbranch_execz .LBB813_218
; %bb.215:
	v_dual_lshlrev_b32 v52, 3, v65 :: v_dual_lshlrev_b32 v53, 3, v11
	s_mov_b32 s9, 0
	s_delay_alu instid0(VALU_DEP_1)
	v_add3_u32 v52, v1, v52, v53
.LBB813_216:                            ; =>This Inner Loop Header: Depth=1
	v_add_nc_u32_e32 v53, v66, v31
	s_delay_alu instid0(VALU_DEP_1) | instskip(NEXT) | instid1(VALU_DEP_1)
	v_lshrrev_b32_e32 v53, 1, v53
	v_not_b32_e32 v54, v53
	v_lshl_add_u32 v55, v53, 3, v30
	s_delay_alu instid0(VALU_DEP_2)
	v_lshl_add_u32 v67, v54, 3, v52
	ds_load_b64 v[54:55], v55
	ds_load_b64 v[68:69], v67
	s_wait_dscnt 0x0
	v_cmp_gt_i64_e64 s7, v[54:55], v[68:69]
	v_add_nc_u32_e32 v54, 1, v53
	s_delay_alu instid0(VALU_DEP_1) | instskip(SKIP_1) | instid1(VALU_DEP_1)
	v_cndmask_b32_e64 v31, v54, v31, s7
	v_cndmask_b32_e64 v66, v66, v53, s7
	v_cmp_ge_u32_e64 s7, v31, v66
	s_or_b32 s9, s7, s9
	s_delay_alu instid0(SALU_CYCLE_1)
	s_and_not1_b32 exec_lo, exec_lo, s9
	s_cbranch_execnz .LBB813_216
; %bb.217:
	s_or_b32 exec_lo, exec_lo, s9
.LBB813_218:
	s_delay_alu instid0(SALU_CYCLE_1) | instskip(SKIP_1) | instid1(VALU_DEP_1)
	s_or_b32 exec_lo, exec_lo, s8
	v_dual_add_nc_u32 v11, v65, v11 :: v_dual_add_nc_u32 v52, v31, v10
	v_sub_nc_u32_e32 v53, v11, v31
	s_delay_alu instid0(VALU_DEP_2) | instskip(NEXT) | instid1(VALU_DEP_2)
	v_cmp_le_u32_e64 s7, v52, v65
	v_cmp_le_u32_e64 s8, v53, v64
	s_or_b32 s7, s7, s8
	s_delay_alu instid0(SALU_CYCLE_1)
	s_and_saveexec_b32 s18, s7
	s_cbranch_execz .LBB813_224
; %bb.219:
	v_cmp_lt_u32_e64 s7, v52, v65
                                        ; implicit-def: $vgpr10_vgpr11
	s_and_saveexec_b32 s8, s7
; %bb.220:
	v_lshl_add_u32 v4, v31, 3, v30
	ds_load_b64 v[10:11], v4
; %bb.221:
	s_or_b32 exec_lo, exec_lo, s8
	v_cmp_ge_u32_e64 s8, v53, v64
	s_mov_b32 s10, exec_lo
                                        ; implicit-def: $vgpr12_vgpr13
	v_cmpx_lt_u32_e64 v53, v64
; %bb.222:
	v_lshl_add_u32 v4, v53, 3, v1
	ds_load_b64 v[12:13], v4
; %bb.223:
	s_or_b32 exec_lo, exec_lo, s10
	s_wait_dscnt 0x0
	v_cmp_le_i64_e64 s9, v[10:11], v[12:13]
	s_and_b32 s7, s7, s9
	s_delay_alu instid0(SALU_CYCLE_1) | instskip(NEXT) | instid1(SALU_CYCLE_1)
	s_or_b32 s7, s8, s7
	v_dual_cndmask_b32 v16, v53, v52, s7 :: v_dual_cndmask_b32 v4, v64, v65, s7
	s_delay_alu instid0(VALU_DEP_1) | instskip(NEXT) | instid1(VALU_DEP_1)
	v_add_nc_u32_e32 v17, 1, v16
	v_add_min_u32_e64 v4, v4, -1, v17
	s_delay_alu instid0(VALU_DEP_1)
	v_lshl_add_u32 v4, v4, 3, v1
	ds_load_b64 v[4:5], v4
	s_wait_dscnt 0x0
	v_dual_cndmask_b32 v15, v5, v13, s7 :: v_dual_cndmask_b32 v14, v4, v12, s7
	v_dual_cndmask_b32 v19, v11, v5, s7 :: v_dual_cndmask_b32 v18, v10, v4, s7
	v_cndmask_b32_e64 v20, v52, v17, s7
	v_cndmask_b32_e64 v17, v17, v53, s7
	v_dual_cndmask_b32 v13, v13, v11, s7 :: v_dual_cndmask_b32 v12, v12, v10, s7
	s_delay_alu instid0(VALU_DEP_4) | instskip(NEXT) | instid1(VALU_DEP_4)
	v_cmp_le_i64_e64 s8, v[18:19], v[14:15]
	v_cmp_lt_u32_e64 s9, v20, v65
	s_delay_alu instid0(VALU_DEP_4) | instskip(SKIP_1) | instid1(SALU_CYCLE_1)
	v_cmp_ge_u32_e64 s10, v17, v64
	s_and_b32 s8, s9, s8
	s_or_b32 s8, s10, s8
	s_delay_alu instid0(SALU_CYCLE_1) | instskip(NEXT) | instid1(VALU_DEP_1)
	v_dual_cndmask_b32 v21, v17, v20, s8 :: v_dual_cndmask_b32 v4, v64, v65, s8
	v_add_nc_u32_e32 v26, 1, v21
	s_delay_alu instid0(VALU_DEP_1) | instskip(NEXT) | instid1(VALU_DEP_1)
	v_add_min_u32_e64 v4, v4, -1, v26
	v_lshl_add_u32 v4, v4, 3, v1
	ds_load_b64 v[4:5], v4
	s_wait_dscnt 0x0
	v_dual_cndmask_b32 v23, v5, v15, s8 :: v_dual_cndmask_b32 v22, v4, v14, s8
	v_dual_cndmask_b32 v25, v19, v5, s8 :: v_dual_cndmask_b32 v24, v18, v4, s8
	;; [unrolled: 1-line block ×4, first 2 shown]
	s_delay_alu instid0(VALU_DEP_3) | instskip(NEXT) | instid1(VALU_DEP_3)
	v_cmp_le_i64_e64 s9, v[24:25], v[22:23]
	v_cmp_lt_u32_e64 s10, v20, v65
	s_delay_alu instid0(VALU_DEP_4) | instskip(SKIP_1) | instid1(SALU_CYCLE_1)
	v_cmp_ge_u32_e64 s11, v17, v64
	s_and_b32 s9, s10, s9
	s_or_b32 s9, s11, s9
	s_delay_alu instid0(SALU_CYCLE_1) | instskip(NEXT) | instid1(VALU_DEP_1)
	v_dual_cndmask_b32 v26, v17, v20, s9 :: v_dual_cndmask_b32 v4, v64, v65, s9
	v_add_nc_u32_e32 v27, 1, v26
	s_delay_alu instid0(VALU_DEP_1) | instskip(NEXT) | instid1(VALU_DEP_1)
	v_add_min_u32_e64 v4, v4, -1, v27
	v_lshl_add_u32 v4, v4, 3, v1
	ds_load_b64 v[4:5], v4
	s_wait_dscnt 0x0
	v_dual_cndmask_b32 v31, v5, v23, s9 :: v_dual_cndmask_b32 v30, v4, v22, s9
	v_dual_cndmask_b32 v35, v25, v5, s9 :: v_dual_cndmask_b32 v34, v24, v4, s9
	;; [unrolled: 1-line block ×4, first 2 shown]
	s_delay_alu instid0(VALU_DEP_3) | instskip(NEXT) | instid1(VALU_DEP_3)
	v_cmp_le_i64_e64 s10, v[34:35], v[30:31]
	v_cmp_ge_u32_e64 s12, v17, v64
	s_delay_alu instid0(VALU_DEP_4) | instskip(SKIP_1) | instid1(SALU_CYCLE_1)
	v_cmp_lt_u32_e64 s11, v20, v65
	s_and_b32 s10, s11, s10
	s_or_b32 s10, s12, s10
	s_delay_alu instid0(SALU_CYCLE_1) | instskip(SKIP_1) | instid1(VALU_DEP_2)
	v_dual_cndmask_b32 v27, v17, v20, s10 :: v_dual_cndmask_b32 v4, v64, v65, s10
	v_cndmask_b32_e64 v37, v31, v35, s10
	v_add_nc_u32_e32 v28, 1, v27
	s_delay_alu instid0(VALU_DEP_1) | instskip(SKIP_2) | instid1(VALU_DEP_3)
	v_add_min_u32_e64 v4, v4, -1, v28
	v_cndmask_b32_e64 v20, v20, v28, s10
	v_cndmask_b32_e64 v17, v28, v17, s10
	v_lshl_add_u32 v4, v4, 3, v1
	s_delay_alu instid0(VALU_DEP_3) | instskip(NEXT) | instid1(VALU_DEP_3)
	v_cmp_lt_u32_e64 s12, v20, v65
	v_cmp_ge_u32_e64 s13, v17, v64
	ds_load_b64 v[4:5], v4
	s_wait_dscnt 0x0
	v_dual_cndmask_b32 v49, v5, v31, s10 :: v_dual_cndmask_b32 v48, v4, v30, s10
	v_dual_cndmask_b32 v53, v35, v5, s10 :: v_dual_cndmask_b32 v52, v34, v4, s10
	s_delay_alu instid0(VALU_DEP_1) | instskip(SKIP_1) | instid1(SALU_CYCLE_1)
	v_cmp_le_i64_e64 s11, v[52:53], v[48:49]
	s_and_b32 s11, s12, s11
	s_or_b32 s11, s13, s11
	s_delay_alu instid0(SALU_CYCLE_1) | instskip(NEXT) | instid1(VALU_DEP_1)
	v_dual_cndmask_b32 v28, v17, v20, s11 :: v_dual_cndmask_b32 v4, v64, v65, s11
	v_dual_cndmask_b32 v35, v49, v53, s11 :: v_dual_add_nc_u32 v29, 1, v28
	v_lshl_add_u32 v28, v28, 3, v1
	s_delay_alu instid0(VALU_DEP_2) | instskip(SKIP_1) | instid1(VALU_DEP_2)
	v_add_min_u32_e64 v4, v4, -1, v29
	v_cndmask_b32_e64 v20, v20, v29, s11
	v_lshl_add_u32 v4, v4, 3, v1
	s_delay_alu instid0(VALU_DEP_2)
	v_cmp_lt_u32_e64 s13, v20, v65
	ds_load_b64 v[4:5], v4
	s_wait_dscnt 0x0
	v_dual_cndmask_b32 v55, v5, v49, s11 :: v_dual_cndmask_b32 v54, v4, v48, s11
	v_dual_cndmask_b32 v67, v53, v5, s11 :: v_dual_cndmask_b32 v66, v52, v4, s11
	v_cndmask_b32_e64 v17, v29, v17, s11
	s_delay_alu instid0(VALU_DEP_2) | instskip(NEXT) | instid1(VALU_DEP_2)
	v_cmp_le_i64_e64 s12, v[66:67], v[54:55]
	v_cmp_ge_u32_e64 s14, v17, v64
	s_and_b32 s12, s13, s12
	s_delay_alu instid0(SALU_CYCLE_1) | instskip(NEXT) | instid1(SALU_CYCLE_1)
	s_or_b32 s12, s14, s12
	v_dual_cndmask_b32 v29, v17, v20, s12 :: v_dual_cndmask_b32 v4, v64, v65, s12
	v_dual_cndmask_b32 v25, v55, v67, s12 :: v_dual_cndmask_b32 v24, v54, v66, s12
	s_delay_alu instid0(VALU_DEP_2) | instskip(SKIP_1) | instid1(VALU_DEP_2)
	v_add_nc_u32_e32 v32, 1, v29
	v_lshl_add_u32 v29, v29, 3, v1
	v_add_min_u32_e64 v4, v4, -1, v32
	v_cndmask_b32_e64 v20, v20, v32, s12
	s_delay_alu instid0(VALU_DEP_2) | instskip(NEXT) | instid1(VALU_DEP_2)
	v_lshl_add_u32 v4, v4, 3, v1
	v_cmp_lt_u32_e64 s14, v20, v65
	ds_load_b64 v[4:5], v4
	s_wait_dscnt 0x0
	v_dual_cndmask_b32 v69, v5, v55, s12 :: v_dual_cndmask_b32 v68, v4, v54, s12
	v_dual_cndmask_b32 v71, v67, v5, s12 :: v_dual_cndmask_b32 v70, v66, v4, s12
	v_cndmask_b32_e64 v17, v32, v17, s12
	s_delay_alu instid0(VALU_DEP_2) | instskip(NEXT) | instid1(VALU_DEP_2)
	v_cmp_le_i64_e64 s13, v[70:71], v[68:69]
	v_cmp_ge_u32_e64 s15, v17, v64
	s_and_b32 s13, s14, s13
	s_delay_alu instid0(SALU_CYCLE_1) | instskip(NEXT) | instid1(SALU_CYCLE_1)
	s_or_b32 s13, s15, s13
	v_dual_cndmask_b32 v32, v17, v20, s13 :: v_dual_cndmask_b32 v4, v64, v65, s13
	s_delay_alu instid0(VALU_DEP_1) | instskip(NEXT) | instid1(VALU_DEP_1)
	v_dual_cndmask_b32 v49, v69, v71, s13 :: v_dual_add_nc_u32 v33, 1, v32
	v_add_min_u32_e64 v4, v4, -1, v33
	v_cndmask_b32_e64 v36, v20, v33, s13
	v_lshl_add_u32 v20, v26, 3, v1
	v_lshl_add_u32 v26, v27, 3, v1
	s_delay_alu instid0(VALU_DEP_4) | instskip(NEXT) | instid1(VALU_DEP_4)
	v_lshl_add_u32 v4, v4, 3, v1
	v_cmp_lt_u32_e64 s15, v36, v65
	ds_load_b64 v[4:5], v4
	s_wait_dscnt 0x0
	v_dual_cndmask_b32 v81, v5, v69, s13 :: v_dual_cndmask_b32 v80, v4, v68, s13
	v_dual_cndmask_b32 v82, v70, v4, s13 :: v_dual_cndmask_b32 v33, v33, v17, s13
	v_cndmask_b32_e64 v83, v71, v5, s13
	v_lshl_add_u32 v4, v16, 3, v1
	v_lshl_add_u32 v16, v21, 3, v1
	s_delay_alu instid0(VALU_DEP_4) | instskip(NEXT) | instid1(VALU_DEP_4)
	v_cmp_ge_u32_e64 s16, v33, v64
	v_cmp_le_i64_e64 s14, v[82:83], v[80:81]
	ds_load_b64 v[4:5], v4 offset:16384
	ds_load_b64 v[16:17], v16 offset:16384
	;; [unrolled: 1-line block ×4, first 2 shown]
	s_and_b32 s14, s15, s14
	s_delay_alu instid0(SALU_CYCLE_1) | instskip(NEXT) | instid1(SALU_CYCLE_1)
	s_or_b32 s14, s16, s14
	v_cndmask_b32_e64 v33, v33, v36, s14
	v_lshl_add_u32 v36, v32, 3, v1
	v_dual_cndmask_b32 v15, v81, v83, s14 :: v_dual_cndmask_b32 v14, v80, v82, s14
	s_delay_alu instid0(VALU_DEP_3)
	v_lshl_add_u32 v1, v33, 3, v1
	ds_load_b64 v[32:33], v28 offset:16384
	ds_load_b64 v[38:39], v29 offset:16384
	;; [unrolled: 1-line block ×3, first 2 shown]
	v_dual_cndmask_b32 v36, v30, v34, s10 :: v_dual_cndmask_b32 v34, v48, v52, s11
	v_cndmask_b32_e64 v48, v68, v70, s13
	ds_load_b64 v[50:51], v1 offset:16384
.LBB813_224:
	s_or_b32 exec_lo, exec_lo, s18
	; wave barrier
	s_wait_storecnt_dscnt 0x0
	s_barrier_signal -1
	s_barrier_wait -1
.LBB813_225:
	s_or_b32 exec_lo, exec_lo, s17
	v_lshl_add_u64 v[2:3], v[8:9], 3, v[2:3]
	v_mov_b32_e32 v1, 0
	s_wait_storecnt 0x0
	; wave barrier
	s_wait_loadcnt_dscnt 0x0
	s_delay_alu instid0(VALU_DEP_1)
	v_add_nc_u64_e32 v[2:3], v[2:3], v[0:1]
	s_and_saveexec_b32 s7, vcc_lo
	s_cbranch_execnz .LBB813_250
; %bb.226:
	s_or_b32 exec_lo, exec_lo, s7
	s_and_saveexec_b32 s7, s0
	s_cbranch_execnz .LBB813_251
.LBB813_227:
	s_or_b32 exec_lo, exec_lo, s7
	s_and_saveexec_b32 s7, s1
	s_cbranch_execnz .LBB813_252
.LBB813_228:
	s_or_b32 exec_lo, exec_lo, s7
	s_and_saveexec_b32 s7, s2
	s_cbranch_execnz .LBB813_253
.LBB813_229:
	s_or_b32 exec_lo, exec_lo, s7
	s_and_saveexec_b32 s7, s3
	s_cbranch_execnz .LBB813_254
.LBB813_230:
	s_or_b32 exec_lo, exec_lo, s7
	s_and_saveexec_b32 s7, s4
	s_cbranch_execnz .LBB813_255
.LBB813_231:
	s_or_b32 exec_lo, exec_lo, s7
	s_and_saveexec_b32 s7, s5
	s_cbranch_execnz .LBB813_256
.LBB813_232:
	s_or_b32 exec_lo, exec_lo, s7
	s_and_saveexec_b32 s7, s6
	s_cbranch_execz .LBB813_234
.LBB813_233:
	flat_store_b64 v[2:3], v[14:15] offset:56
.LBB813_234:
	s_wait_xcnt 0x0
	s_or_b32 exec_lo, exec_lo, s7
	v_lshl_add_u64 v[2:3], v[8:9], 3, v[6:7]
	v_mov_b32_e32 v1, 0
	; wave barrier
	s_delay_alu instid0(VALU_DEP_1)
	v_add_nc_u64_e32 v[0:1], v[2:3], v[0:1]
	s_and_saveexec_b32 s7, vcc_lo
	s_cbranch_execnz .LBB813_257
; %bb.235:
	s_or_b32 exec_lo, exec_lo, s7
	s_and_saveexec_b32 s7, s0
	s_cbranch_execnz .LBB813_258
.LBB813_236:
	s_or_b32 exec_lo, exec_lo, s7
	s_and_saveexec_b32 s0, s1
	s_cbranch_execnz .LBB813_259
.LBB813_237:
	s_or_b32 exec_lo, exec_lo, s0
	s_and_saveexec_b32 s0, s2
	s_cbranch_execnz .LBB813_260
.LBB813_238:
	s_or_b32 exec_lo, exec_lo, s0
	s_and_saveexec_b32 s0, s3
	s_cbranch_execnz .LBB813_261
.LBB813_239:
	s_or_b32 exec_lo, exec_lo, s0
	s_and_saveexec_b32 s0, s4
	s_cbranch_execnz .LBB813_262
.LBB813_240:
	s_or_b32 exec_lo, exec_lo, s0
	s_and_saveexec_b32 s0, s5
	s_cbranch_execnz .LBB813_263
.LBB813_241:
	s_or_b32 exec_lo, exec_lo, s0
	s_and_saveexec_b32 s0, s6
	s_cbranch_execnz .LBB813_264
.LBB813_242:
	s_or_b32 exec_lo, exec_lo, s0
	s_wait_dscnt 0x0
	s_set_pc_i64 s[30:31]
.LBB813_243:
	flat_load_b64 v[4:5], v[52:53]
	s_wait_xcnt 0x0
	s_or_b32 exec_lo, exec_lo, s7
	s_and_saveexec_b32 s7, s0
                                        ; implicit-def: $vgpr16_vgpr17
	s_cbranch_execz .LBB813_18
.LBB813_244:
	flat_load_b64 v[16:17], v[52:53] offset:8
	s_wait_xcnt 0x0
	s_or_b32 exec_lo, exec_lo, s7
                                        ; implicit-def: $vgpr20_vgpr21
	s_and_saveexec_b32 s7, s1
	s_cbranch_execz .LBB813_19
.LBB813_245:
	flat_load_b64 v[20:21], v[52:53] offset:16
	s_wait_xcnt 0x0
	s_or_b32 exec_lo, exec_lo, s7
	s_and_saveexec_b32 s7, s2
                                        ; implicit-def: $vgpr26_vgpr27
	s_cbranch_execz .LBB813_20
.LBB813_246:
	flat_load_b64 v[26:27], v[52:53] offset:24
	s_wait_xcnt 0x0
	s_or_b32 exec_lo, exec_lo, s7
                                        ; implicit-def: $vgpr32_vgpr33
	s_and_saveexec_b32 s7, s3
	s_cbranch_execz .LBB813_21
.LBB813_247:
	flat_load_b64 v[32:33], v[52:53] offset:32
	s_wait_xcnt 0x0
	s_or_b32 exec_lo, exec_lo, s7
	s_and_saveexec_b32 s7, s4
                                        ; implicit-def: $vgpr38_vgpr39
	s_cbranch_execz .LBB813_22
.LBB813_248:
	flat_load_b64 v[38:39], v[52:53] offset:40
	s_wait_xcnt 0x0
	s_or_b32 exec_lo, exec_lo, s7
                                        ; implicit-def: $vgpr28_vgpr29
	s_and_saveexec_b32 s7, s5
	s_cbranch_execz .LBB813_23
.LBB813_249:
	flat_load_b64 v[28:29], v[52:53] offset:48
	s_wait_xcnt 0x0
	s_or_b32 exec_lo, exec_lo, s7
	s_and_saveexec_b32 s7, s6
                                        ; implicit-def: $vgpr50_vgpr51
	s_cbranch_execnz .LBB813_24
	s_branch .LBB813_25
.LBB813_250:
	flat_store_b64 v[2:3], v[12:13]
	s_wait_xcnt 0x0
	s_or_b32 exec_lo, exec_lo, s7
	s_and_saveexec_b32 s7, s0
	s_cbranch_execz .LBB813_227
.LBB813_251:
	flat_store_b64 v[2:3], v[18:19] offset:8
	s_wait_xcnt 0x0
	s_or_b32 exec_lo, exec_lo, s7
	s_and_saveexec_b32 s7, s1
	s_cbranch_execz .LBB813_228
.LBB813_252:
	flat_store_b64 v[2:3], v[22:23] offset:16
	s_wait_xcnt 0x0
	s_or_b32 exec_lo, exec_lo, s7
	s_and_saveexec_b32 s7, s2
	s_cbranch_execz .LBB813_229
.LBB813_253:
	flat_store_b64 v[2:3], v[36:37] offset:24
	s_wait_xcnt 0x0
	s_or_b32 exec_lo, exec_lo, s7
	s_and_saveexec_b32 s7, s3
	s_cbranch_execz .LBB813_230
.LBB813_254:
	flat_store_b64 v[2:3], v[34:35] offset:32
	s_wait_xcnt 0x0
	s_or_b32 exec_lo, exec_lo, s7
	s_and_saveexec_b32 s7, s4
	s_cbranch_execz .LBB813_231
.LBB813_255:
	flat_store_b64 v[2:3], v[24:25] offset:40
	s_wait_xcnt 0x0
	s_or_b32 exec_lo, exec_lo, s7
	s_and_saveexec_b32 s7, s5
	s_cbranch_execz .LBB813_232
.LBB813_256:
	flat_store_b64 v[2:3], v[48:49] offset:48
	s_wait_xcnt 0x0
	s_or_b32 exec_lo, exec_lo, s7
	s_and_saveexec_b32 s7, s6
	s_cbranch_execnz .LBB813_233
	s_branch .LBB813_234
.LBB813_257:
	flat_store_b64 v[0:1], v[4:5]
	s_wait_xcnt 0x0
	s_or_b32 exec_lo, exec_lo, s7
	s_and_saveexec_b32 s7, s0
	s_cbranch_execz .LBB813_236
.LBB813_258:
	flat_store_b64 v[0:1], v[16:17] offset:8
	s_wait_xcnt 0x0
	s_or_b32 exec_lo, exec_lo, s7
	s_and_saveexec_b32 s0, s1
	s_cbranch_execz .LBB813_237
.LBB813_259:
	flat_store_b64 v[0:1], v[20:21] offset:16
	s_wait_xcnt 0x0
	s_or_b32 exec_lo, exec_lo, s0
	s_and_saveexec_b32 s0, s2
	s_cbranch_execz .LBB813_238
.LBB813_260:
	flat_store_b64 v[0:1], v[26:27] offset:24
	s_wait_xcnt 0x0
	s_or_b32 exec_lo, exec_lo, s0
	s_and_saveexec_b32 s0, s3
	s_cbranch_execz .LBB813_239
.LBB813_261:
	flat_store_b64 v[0:1], v[32:33] offset:32
	s_wait_xcnt 0x0
	s_or_b32 exec_lo, exec_lo, s0
	s_and_saveexec_b32 s0, s4
	s_cbranch_execz .LBB813_240
.LBB813_262:
	flat_store_b64 v[0:1], v[38:39] offset:40
	s_wait_xcnt 0x0
	s_or_b32 exec_lo, exec_lo, s0
	s_and_saveexec_b32 s0, s5
	s_cbranch_execz .LBB813_241
.LBB813_263:
	flat_store_b64 v[0:1], v[28:29] offset:48
	s_wait_xcnt 0x0
	s_or_b32 exec_lo, exec_lo, s0
	s_and_saveexec_b32 s0, s6
	s_cbranch_execz .LBB813_242
.LBB813_264:
	flat_store_b64 v[0:1], v[50:51] offset:56
	s_wait_xcnt 0x0
	s_or_b32 exec_lo, exec_lo, s0
	s_wait_dscnt 0x0
	s_set_pc_i64 s[30:31]
.Lfunc_end813:
	.size	_ZN7rocprim17ROCPRIM_400000_NS6detail26segmented_warp_sort_helperINS1_20WarpSortHelperConfigILj16ELj8ELj256EEEllLi256ELb0EvE4sortIPKlPlS8_S9_EEvT_T0_T1_T2_jjjjRNS5_12storage_typeE, .Lfunc_end813-_ZN7rocprim17ROCPRIM_400000_NS6detail26segmented_warp_sort_helperINS1_20WarpSortHelperConfigILj16ELj8ELj256EEEllLi256ELb0EvE4sortIPKlPlS8_S9_EEvT_T0_T1_T2_jjjjRNS5_12storage_typeE
                                        ; -- End function
	.set .L_ZN7rocprim17ROCPRIM_400000_NS6detail26segmented_warp_sort_helperINS1_20WarpSortHelperConfigILj16ELj8ELj256EEEllLi256ELb0EvE4sortIPKlPlS8_S9_EEvT_T0_T1_T2_jjjjRNS5_12storage_typeE.num_vgpr, 98
	.set .L_ZN7rocprim17ROCPRIM_400000_NS6detail26segmented_warp_sort_helperINS1_20WarpSortHelperConfigILj16ELj8ELj256EEEllLi256ELb0EvE4sortIPKlPlS8_S9_EEvT_T0_T1_T2_jjjjRNS5_12storage_typeE.num_agpr, 0
	.set .L_ZN7rocprim17ROCPRIM_400000_NS6detail26segmented_warp_sort_helperINS1_20WarpSortHelperConfigILj16ELj8ELj256EEEllLi256ELb0EvE4sortIPKlPlS8_S9_EEvT_T0_T1_T2_jjjjRNS5_12storage_typeE.numbered_sgpr, 32
	.set .L_ZN7rocprim17ROCPRIM_400000_NS6detail26segmented_warp_sort_helperINS1_20WarpSortHelperConfigILj16ELj8ELj256EEEllLi256ELb0EvE4sortIPKlPlS8_S9_EEvT_T0_T1_T2_jjjjRNS5_12storage_typeE.num_named_barrier, 0
	.set .L_ZN7rocprim17ROCPRIM_400000_NS6detail26segmented_warp_sort_helperINS1_20WarpSortHelperConfigILj16ELj8ELj256EEEllLi256ELb0EvE4sortIPKlPlS8_S9_EEvT_T0_T1_T2_jjjjRNS5_12storage_typeE.private_seg_size, 0
	.set .L_ZN7rocprim17ROCPRIM_400000_NS6detail26segmented_warp_sort_helperINS1_20WarpSortHelperConfigILj16ELj8ELj256EEEllLi256ELb0EvE4sortIPKlPlS8_S9_EEvT_T0_T1_T2_jjjjRNS5_12storage_typeE.uses_vcc, 1
	.set .L_ZN7rocprim17ROCPRIM_400000_NS6detail26segmented_warp_sort_helperINS1_20WarpSortHelperConfigILj16ELj8ELj256EEEllLi256ELb0EvE4sortIPKlPlS8_S9_EEvT_T0_T1_T2_jjjjRNS5_12storage_typeE.uses_flat_scratch, 0
	.set .L_ZN7rocprim17ROCPRIM_400000_NS6detail26segmented_warp_sort_helperINS1_20WarpSortHelperConfigILj16ELj8ELj256EEEllLi256ELb0EvE4sortIPKlPlS8_S9_EEvT_T0_T1_T2_jjjjRNS5_12storage_typeE.has_dyn_sized_stack, 0
	.set .L_ZN7rocprim17ROCPRIM_400000_NS6detail26segmented_warp_sort_helperINS1_20WarpSortHelperConfigILj16ELj8ELj256EEEllLi256ELb0EvE4sortIPKlPlS8_S9_EEvT_T0_T1_T2_jjjjRNS5_12storage_typeE.has_recursion, 0
	.set .L_ZN7rocprim17ROCPRIM_400000_NS6detail26segmented_warp_sort_helperINS1_20WarpSortHelperConfigILj16ELj8ELj256EEEllLi256ELb0EvE4sortIPKlPlS8_S9_EEvT_T0_T1_T2_jjjjRNS5_12storage_typeE.has_indirect_call, 0
	.section	.AMDGPU.csdata,"",@progbits
; Function info:
; codeLenInByte = 18872
; TotalNumSgprs: 34
; NumVgprs: 98
; ScratchSize: 0
; MemoryBound: 0
	.section	.text._ZN7rocprim17ROCPRIM_400000_NS6detail17trampoline_kernelINS0_14default_configENS1_36segmented_radix_sort_config_selectorIllEEZNS1_25segmented_radix_sort_implIS3_Lb0EPKlPlS8_S9_N2at6native12_GLOBAL__N_18offset_tEEE10hipError_tPvRmT1_PNSt15iterator_traitsISH_E10value_typeET2_T3_PNSI_ISN_E10value_typeET4_jRbjT5_ST_jjP12ihipStream_tbEUlT_E0_NS1_11comp_targetILNS1_3genE0ELNS1_11target_archE4294967295ELNS1_3gpuE0ELNS1_3repE0EEENS1_60segmented_radix_sort_warp_sort_medium_config_static_selectorELNS0_4arch9wavefront6targetE0EEEvSH_,"axG",@progbits,_ZN7rocprim17ROCPRIM_400000_NS6detail17trampoline_kernelINS0_14default_configENS1_36segmented_radix_sort_config_selectorIllEEZNS1_25segmented_radix_sort_implIS3_Lb0EPKlPlS8_S9_N2at6native12_GLOBAL__N_18offset_tEEE10hipError_tPvRmT1_PNSt15iterator_traitsISH_E10value_typeET2_T3_PNSI_ISN_E10value_typeET4_jRbjT5_ST_jjP12ihipStream_tbEUlT_E0_NS1_11comp_targetILNS1_3genE0ELNS1_11target_archE4294967295ELNS1_3gpuE0ELNS1_3repE0EEENS1_60segmented_radix_sort_warp_sort_medium_config_static_selectorELNS0_4arch9wavefront6targetE0EEEvSH_,comdat
	.globl	_ZN7rocprim17ROCPRIM_400000_NS6detail17trampoline_kernelINS0_14default_configENS1_36segmented_radix_sort_config_selectorIllEEZNS1_25segmented_radix_sort_implIS3_Lb0EPKlPlS8_S9_N2at6native12_GLOBAL__N_18offset_tEEE10hipError_tPvRmT1_PNSt15iterator_traitsISH_E10value_typeET2_T3_PNSI_ISN_E10value_typeET4_jRbjT5_ST_jjP12ihipStream_tbEUlT_E0_NS1_11comp_targetILNS1_3genE0ELNS1_11target_archE4294967295ELNS1_3gpuE0ELNS1_3repE0EEENS1_60segmented_radix_sort_warp_sort_medium_config_static_selectorELNS0_4arch9wavefront6targetE0EEEvSH_ ; -- Begin function _ZN7rocprim17ROCPRIM_400000_NS6detail17trampoline_kernelINS0_14default_configENS1_36segmented_radix_sort_config_selectorIllEEZNS1_25segmented_radix_sort_implIS3_Lb0EPKlPlS8_S9_N2at6native12_GLOBAL__N_18offset_tEEE10hipError_tPvRmT1_PNSt15iterator_traitsISH_E10value_typeET2_T3_PNSI_ISN_E10value_typeET4_jRbjT5_ST_jjP12ihipStream_tbEUlT_E0_NS1_11comp_targetILNS1_3genE0ELNS1_11target_archE4294967295ELNS1_3gpuE0ELNS1_3repE0EEENS1_60segmented_radix_sort_warp_sort_medium_config_static_selectorELNS0_4arch9wavefront6targetE0EEEvSH_
	.p2align	8
	.type	_ZN7rocprim17ROCPRIM_400000_NS6detail17trampoline_kernelINS0_14default_configENS1_36segmented_radix_sort_config_selectorIllEEZNS1_25segmented_radix_sort_implIS3_Lb0EPKlPlS8_S9_N2at6native12_GLOBAL__N_18offset_tEEE10hipError_tPvRmT1_PNSt15iterator_traitsISH_E10value_typeET2_T3_PNSI_ISN_E10value_typeET4_jRbjT5_ST_jjP12ihipStream_tbEUlT_E0_NS1_11comp_targetILNS1_3genE0ELNS1_11target_archE4294967295ELNS1_3gpuE0ELNS1_3repE0EEENS1_60segmented_radix_sort_warp_sort_medium_config_static_selectorELNS0_4arch9wavefront6targetE0EEEvSH_,@function
_ZN7rocprim17ROCPRIM_400000_NS6detail17trampoline_kernelINS0_14default_configENS1_36segmented_radix_sort_config_selectorIllEEZNS1_25segmented_radix_sort_implIS3_Lb0EPKlPlS8_S9_N2at6native12_GLOBAL__N_18offset_tEEE10hipError_tPvRmT1_PNSt15iterator_traitsISH_E10value_typeET2_T3_PNSI_ISN_E10value_typeET4_jRbjT5_ST_jjP12ihipStream_tbEUlT_E0_NS1_11comp_targetILNS1_3genE0ELNS1_11target_archE4294967295ELNS1_3gpuE0ELNS1_3repE0EEENS1_60segmented_radix_sort_warp_sort_medium_config_static_selectorELNS0_4arch9wavefront6targetE0EEEvSH_: ; @_ZN7rocprim17ROCPRIM_400000_NS6detail17trampoline_kernelINS0_14default_configENS1_36segmented_radix_sort_config_selectorIllEEZNS1_25segmented_radix_sort_implIS3_Lb0EPKlPlS8_S9_N2at6native12_GLOBAL__N_18offset_tEEE10hipError_tPvRmT1_PNSt15iterator_traitsISH_E10value_typeET2_T3_PNSI_ISN_E10value_typeET4_jRbjT5_ST_jjP12ihipStream_tbEUlT_E0_NS1_11comp_targetILNS1_3genE0ELNS1_11target_archE4294967295ELNS1_3gpuE0ELNS1_3repE0EEENS1_60segmented_radix_sort_warp_sort_medium_config_static_selectorELNS0_4arch9wavefront6targetE0EEEvSH_
; %bb.0:
	s_load_b32 s4, s[2:3], 0x64
	v_bfe_u32 v1, v0, 10, 10
	v_bfe_u32 v2, v0, 20, 10
	v_and_b32_e32 v3, 0x3ff, v0
	s_and_b32 s6, ttmp6, 15
	s_getreg_b32 s7, hwreg(HW_REG_IB_STS2, 6, 4)
	s_mov_b32 s32, 0
	s_wait_kmcnt 0x0
	s_lshr_b32 s5, s4, 16
	s_and_b32 s4, s4, 0xffff
	v_mad_u32_u24 v1, v2, s5, v1
	s_bfe_u32 s5, ttmp6, 0x4000c
	s_delay_alu instid0(SALU_CYCLE_1) | instskip(NEXT) | instid1(SALU_CYCLE_1)
	s_add_co_i32 s5, s5, 1
	s_mul_i32 s5, ttmp9, s5
	s_delay_alu instid0(VALU_DEP_1) | instskip(SKIP_4) | instid1(VALU_DEP_1)
	v_mad_u32 v1, v1, s4, v3
	s_load_b32 s4, s[2:3], 0x34
	s_add_co_i32 s6, s6, s5
	s_cmp_eq_u32 s7, 0
	s_cselect_b32 s5, ttmp9, s6
	v_lshrrev_b32_e32 v1, 4, v1
	s_delay_alu instid0(VALU_DEP_1) | instskip(SKIP_1) | instid1(VALU_DEP_1)
	v_lshl_add_u32 v1, s5, 4, v1
	s_wait_kmcnt 0x0
	v_cmp_gt_u32_e32 vcc_lo, s4, v1
	s_and_saveexec_b32 s4, vcc_lo
	s_cbranch_execz .LBB814_6
; %bb.1:
	s_clause 0x1
	s_load_b64 s[8:9], s[2:3], 0x38
	s_load_b128 s[4:7], s[2:3], 0x40
	s_wait_kmcnt 0x0
	global_load_b32 v1, v1, s[8:9] scale_offset
	s_wait_loadcnt 0x0
	v_dual_add_nc_u32 v2, s5, v1 :: v_dual_add_nc_u32 v1, s7, v1
	s_delay_alu instid0(VALU_DEP_1) | instskip(NEXT) | instid1(VALU_DEP_2)
	v_mul_lo_u32 v8, v2, s4
	v_mul_lo_u32 v40, v1, s6
	s_delay_alu instid0(VALU_DEP_1)
	v_cmp_gt_u32_e32 vcc_lo, v40, v8
	s_and_b32 exec_lo, exec_lo, vcc_lo
	s_cbranch_execz .LBB814_6
; %bb.2:
	s_clause 0x3
	s_load_b32 s4, s[2:3], 0x30
	s_load_b128 s[24:27], s[2:3], 0x20
	s_load_b256 s[36:43], s[2:3], 0x0
	s_load_b64 s[28:29], s[2:3], 0x50
	s_add_nc_u64 s[22:23], s[2:3], 0x58
	s_get_pc_i64 s[34:35]
	s_add_nc_u64 s[34:35], s[34:35], _ZN7rocprim17ROCPRIM_400000_NS6detail26segmented_warp_sort_helperINS1_20WarpSortHelperConfigILj16ELj8ELj256EEEllLi256ELb0EvE4sortIPKlPlS8_S9_EEvT_T0_T1_T2_jjjjRNS5_12storage_typeE@rel64+4
	s_wait_kmcnt 0x0
	s_bitcmp0_b32 s4, 0
	s_mov_b32 s4, -1
	s_cbranch_scc0 .LBB814_4
; %bb.3:
	v_dual_mov_b32 v31, v0 :: v_dual_mov_b32 v41, v0
	v_dual_mov_b32 v0, s36 :: v_dual_mov_b32 v1, s37
	;; [unrolled: 1-line block ×6, first 2 shown]
	v_mov_b32_e32 v11, s29
	s_mov_b64 s[6:7], s[0:1]
	s_mov_b64 s[8:9], s[22:23]
	;; [unrolled: 1-line block ×3, first 2 shown]
	s_swap_pc_i64 s[30:31], s[34:35]
	v_mov_b32_e32 v0, v41
	s_mov_b64 s[0:1], s[24:25]
	s_mov_b32 s4, 0
.LBB814_4:
	s_delay_alu instid0(SALU_CYCLE_1)
	s_and_not1_b32 vcc_lo, exec_lo, s4
	s_cbranch_vccnz .LBB814_6
; %bb.5:
	v_dual_mov_b32 v31, v0 :: v_dual_mov_b32 v0, s36
	v_dual_mov_b32 v1, s37 :: v_dual_mov_b32 v2, s40
	;; [unrolled: 1-line block ×6, first 2 shown]
	s_mov_b64 s[6:7], s[0:1]
	s_mov_b64 s[8:9], s[22:23]
	s_swap_pc_i64 s[30:31], s[34:35]
.LBB814_6:
	s_endpgm
	.section	.rodata,"a",@progbits
	.p2align	6, 0x0
	.amdhsa_kernel _ZN7rocprim17ROCPRIM_400000_NS6detail17trampoline_kernelINS0_14default_configENS1_36segmented_radix_sort_config_selectorIllEEZNS1_25segmented_radix_sort_implIS3_Lb0EPKlPlS8_S9_N2at6native12_GLOBAL__N_18offset_tEEE10hipError_tPvRmT1_PNSt15iterator_traitsISH_E10value_typeET2_T3_PNSI_ISN_E10value_typeET4_jRbjT5_ST_jjP12ihipStream_tbEUlT_E0_NS1_11comp_targetILNS1_3genE0ELNS1_11target_archE4294967295ELNS1_3gpuE0ELNS1_3repE0EEENS1_60segmented_radix_sort_warp_sort_medium_config_static_selectorELNS0_4arch9wavefront6targetE0EEEvSH_
		.amdhsa_group_segment_fixed_size 32768
		.amdhsa_private_segment_fixed_size 0
		.amdhsa_kernarg_size 344
		.amdhsa_user_sgpr_count 4
		.amdhsa_user_sgpr_dispatch_ptr 0
		.amdhsa_user_sgpr_queue_ptr 1
		.amdhsa_user_sgpr_kernarg_segment_ptr 1
		.amdhsa_user_sgpr_dispatch_id 0
		.amdhsa_user_sgpr_kernarg_preload_length 0
		.amdhsa_user_sgpr_kernarg_preload_offset 0
		.amdhsa_user_sgpr_private_segment_size 0
		.amdhsa_wavefront_size32 1
		.amdhsa_uses_dynamic_stack 0
		.amdhsa_enable_private_segment 0
		.amdhsa_system_sgpr_workgroup_id_x 1
		.amdhsa_system_sgpr_workgroup_id_y 1
		.amdhsa_system_sgpr_workgroup_id_z 0
		.amdhsa_system_sgpr_workgroup_info 0
		.amdhsa_system_vgpr_workitem_id 2
		.amdhsa_next_free_vgpr 98
		.amdhsa_next_free_sgpr 44
		.amdhsa_named_barrier_count 0
		.amdhsa_reserve_vcc 1
		.amdhsa_float_round_mode_32 0
		.amdhsa_float_round_mode_16_64 0
		.amdhsa_float_denorm_mode_32 3
		.amdhsa_float_denorm_mode_16_64 3
		.amdhsa_fp16_overflow 0
		.amdhsa_memory_ordered 1
		.amdhsa_forward_progress 1
		.amdhsa_inst_pref_size 4
		.amdhsa_round_robin_scheduling 0
		.amdhsa_exception_fp_ieee_invalid_op 0
		.amdhsa_exception_fp_denorm_src 0
		.amdhsa_exception_fp_ieee_div_zero 0
		.amdhsa_exception_fp_ieee_overflow 0
		.amdhsa_exception_fp_ieee_underflow 0
		.amdhsa_exception_fp_ieee_inexact 0
		.amdhsa_exception_int_div_zero 0
	.end_amdhsa_kernel
	.section	.text._ZN7rocprim17ROCPRIM_400000_NS6detail17trampoline_kernelINS0_14default_configENS1_36segmented_radix_sort_config_selectorIllEEZNS1_25segmented_radix_sort_implIS3_Lb0EPKlPlS8_S9_N2at6native12_GLOBAL__N_18offset_tEEE10hipError_tPvRmT1_PNSt15iterator_traitsISH_E10value_typeET2_T3_PNSI_ISN_E10value_typeET4_jRbjT5_ST_jjP12ihipStream_tbEUlT_E0_NS1_11comp_targetILNS1_3genE0ELNS1_11target_archE4294967295ELNS1_3gpuE0ELNS1_3repE0EEENS1_60segmented_radix_sort_warp_sort_medium_config_static_selectorELNS0_4arch9wavefront6targetE0EEEvSH_,"axG",@progbits,_ZN7rocprim17ROCPRIM_400000_NS6detail17trampoline_kernelINS0_14default_configENS1_36segmented_radix_sort_config_selectorIllEEZNS1_25segmented_radix_sort_implIS3_Lb0EPKlPlS8_S9_N2at6native12_GLOBAL__N_18offset_tEEE10hipError_tPvRmT1_PNSt15iterator_traitsISH_E10value_typeET2_T3_PNSI_ISN_E10value_typeET4_jRbjT5_ST_jjP12ihipStream_tbEUlT_E0_NS1_11comp_targetILNS1_3genE0ELNS1_11target_archE4294967295ELNS1_3gpuE0ELNS1_3repE0EEENS1_60segmented_radix_sort_warp_sort_medium_config_static_selectorELNS0_4arch9wavefront6targetE0EEEvSH_,comdat
.Lfunc_end814:
	.size	_ZN7rocprim17ROCPRIM_400000_NS6detail17trampoline_kernelINS0_14default_configENS1_36segmented_radix_sort_config_selectorIllEEZNS1_25segmented_radix_sort_implIS3_Lb0EPKlPlS8_S9_N2at6native12_GLOBAL__N_18offset_tEEE10hipError_tPvRmT1_PNSt15iterator_traitsISH_E10value_typeET2_T3_PNSI_ISN_E10value_typeET4_jRbjT5_ST_jjP12ihipStream_tbEUlT_E0_NS1_11comp_targetILNS1_3genE0ELNS1_11target_archE4294967295ELNS1_3gpuE0ELNS1_3repE0EEENS1_60segmented_radix_sort_warp_sort_medium_config_static_selectorELNS0_4arch9wavefront6targetE0EEEvSH_, .Lfunc_end814-_ZN7rocprim17ROCPRIM_400000_NS6detail17trampoline_kernelINS0_14default_configENS1_36segmented_radix_sort_config_selectorIllEEZNS1_25segmented_radix_sort_implIS3_Lb0EPKlPlS8_S9_N2at6native12_GLOBAL__N_18offset_tEEE10hipError_tPvRmT1_PNSt15iterator_traitsISH_E10value_typeET2_T3_PNSI_ISN_E10value_typeET4_jRbjT5_ST_jjP12ihipStream_tbEUlT_E0_NS1_11comp_targetILNS1_3genE0ELNS1_11target_archE4294967295ELNS1_3gpuE0ELNS1_3repE0EEENS1_60segmented_radix_sort_warp_sort_medium_config_static_selectorELNS0_4arch9wavefront6targetE0EEEvSH_
                                        ; -- End function
	.set _ZN7rocprim17ROCPRIM_400000_NS6detail17trampoline_kernelINS0_14default_configENS1_36segmented_radix_sort_config_selectorIllEEZNS1_25segmented_radix_sort_implIS3_Lb0EPKlPlS8_S9_N2at6native12_GLOBAL__N_18offset_tEEE10hipError_tPvRmT1_PNSt15iterator_traitsISH_E10value_typeET2_T3_PNSI_ISN_E10value_typeET4_jRbjT5_ST_jjP12ihipStream_tbEUlT_E0_NS1_11comp_targetILNS1_3genE0ELNS1_11target_archE4294967295ELNS1_3gpuE0ELNS1_3repE0EEENS1_60segmented_radix_sort_warp_sort_medium_config_static_selectorELNS0_4arch9wavefront6targetE0EEEvSH_.num_vgpr, max(42, .L_ZN7rocprim17ROCPRIM_400000_NS6detail26segmented_warp_sort_helperINS1_20WarpSortHelperConfigILj16ELj8ELj256EEEllLi256ELb0EvE4sortIPKlPlS8_S9_EEvT_T0_T1_T2_jjjjRNS5_12storage_typeE.num_vgpr)
	.set _ZN7rocprim17ROCPRIM_400000_NS6detail17trampoline_kernelINS0_14default_configENS1_36segmented_radix_sort_config_selectorIllEEZNS1_25segmented_radix_sort_implIS3_Lb0EPKlPlS8_S9_N2at6native12_GLOBAL__N_18offset_tEEE10hipError_tPvRmT1_PNSt15iterator_traitsISH_E10value_typeET2_T3_PNSI_ISN_E10value_typeET4_jRbjT5_ST_jjP12ihipStream_tbEUlT_E0_NS1_11comp_targetILNS1_3genE0ELNS1_11target_archE4294967295ELNS1_3gpuE0ELNS1_3repE0EEENS1_60segmented_radix_sort_warp_sort_medium_config_static_selectorELNS0_4arch9wavefront6targetE0EEEvSH_.num_agpr, max(0, .L_ZN7rocprim17ROCPRIM_400000_NS6detail26segmented_warp_sort_helperINS1_20WarpSortHelperConfigILj16ELj8ELj256EEEllLi256ELb0EvE4sortIPKlPlS8_S9_EEvT_T0_T1_T2_jjjjRNS5_12storage_typeE.num_agpr)
	.set _ZN7rocprim17ROCPRIM_400000_NS6detail17trampoline_kernelINS0_14default_configENS1_36segmented_radix_sort_config_selectorIllEEZNS1_25segmented_radix_sort_implIS3_Lb0EPKlPlS8_S9_N2at6native12_GLOBAL__N_18offset_tEEE10hipError_tPvRmT1_PNSt15iterator_traitsISH_E10value_typeET2_T3_PNSI_ISN_E10value_typeET4_jRbjT5_ST_jjP12ihipStream_tbEUlT_E0_NS1_11comp_targetILNS1_3genE0ELNS1_11target_archE4294967295ELNS1_3gpuE0ELNS1_3repE0EEENS1_60segmented_radix_sort_warp_sort_medium_config_static_selectorELNS0_4arch9wavefront6targetE0EEEvSH_.numbered_sgpr, max(44, .L_ZN7rocprim17ROCPRIM_400000_NS6detail26segmented_warp_sort_helperINS1_20WarpSortHelperConfigILj16ELj8ELj256EEEllLi256ELb0EvE4sortIPKlPlS8_S9_EEvT_T0_T1_T2_jjjjRNS5_12storage_typeE.numbered_sgpr)
	.set _ZN7rocprim17ROCPRIM_400000_NS6detail17trampoline_kernelINS0_14default_configENS1_36segmented_radix_sort_config_selectorIllEEZNS1_25segmented_radix_sort_implIS3_Lb0EPKlPlS8_S9_N2at6native12_GLOBAL__N_18offset_tEEE10hipError_tPvRmT1_PNSt15iterator_traitsISH_E10value_typeET2_T3_PNSI_ISN_E10value_typeET4_jRbjT5_ST_jjP12ihipStream_tbEUlT_E0_NS1_11comp_targetILNS1_3genE0ELNS1_11target_archE4294967295ELNS1_3gpuE0ELNS1_3repE0EEENS1_60segmented_radix_sort_warp_sort_medium_config_static_selectorELNS0_4arch9wavefront6targetE0EEEvSH_.num_named_barrier, max(0, .L_ZN7rocprim17ROCPRIM_400000_NS6detail26segmented_warp_sort_helperINS1_20WarpSortHelperConfigILj16ELj8ELj256EEEllLi256ELb0EvE4sortIPKlPlS8_S9_EEvT_T0_T1_T2_jjjjRNS5_12storage_typeE.num_named_barrier)
	.set _ZN7rocprim17ROCPRIM_400000_NS6detail17trampoline_kernelINS0_14default_configENS1_36segmented_radix_sort_config_selectorIllEEZNS1_25segmented_radix_sort_implIS3_Lb0EPKlPlS8_S9_N2at6native12_GLOBAL__N_18offset_tEEE10hipError_tPvRmT1_PNSt15iterator_traitsISH_E10value_typeET2_T3_PNSI_ISN_E10value_typeET4_jRbjT5_ST_jjP12ihipStream_tbEUlT_E0_NS1_11comp_targetILNS1_3genE0ELNS1_11target_archE4294967295ELNS1_3gpuE0ELNS1_3repE0EEENS1_60segmented_radix_sort_warp_sort_medium_config_static_selectorELNS0_4arch9wavefront6targetE0EEEvSH_.private_seg_size, 0+max(.L_ZN7rocprim17ROCPRIM_400000_NS6detail26segmented_warp_sort_helperINS1_20WarpSortHelperConfigILj16ELj8ELj256EEEllLi256ELb0EvE4sortIPKlPlS8_S9_EEvT_T0_T1_T2_jjjjRNS5_12storage_typeE.private_seg_size)
	.set _ZN7rocprim17ROCPRIM_400000_NS6detail17trampoline_kernelINS0_14default_configENS1_36segmented_radix_sort_config_selectorIllEEZNS1_25segmented_radix_sort_implIS3_Lb0EPKlPlS8_S9_N2at6native12_GLOBAL__N_18offset_tEEE10hipError_tPvRmT1_PNSt15iterator_traitsISH_E10value_typeET2_T3_PNSI_ISN_E10value_typeET4_jRbjT5_ST_jjP12ihipStream_tbEUlT_E0_NS1_11comp_targetILNS1_3genE0ELNS1_11target_archE4294967295ELNS1_3gpuE0ELNS1_3repE0EEENS1_60segmented_radix_sort_warp_sort_medium_config_static_selectorELNS0_4arch9wavefront6targetE0EEEvSH_.uses_vcc, or(1, .L_ZN7rocprim17ROCPRIM_400000_NS6detail26segmented_warp_sort_helperINS1_20WarpSortHelperConfigILj16ELj8ELj256EEEllLi256ELb0EvE4sortIPKlPlS8_S9_EEvT_T0_T1_T2_jjjjRNS5_12storage_typeE.uses_vcc)
	.set _ZN7rocprim17ROCPRIM_400000_NS6detail17trampoline_kernelINS0_14default_configENS1_36segmented_radix_sort_config_selectorIllEEZNS1_25segmented_radix_sort_implIS3_Lb0EPKlPlS8_S9_N2at6native12_GLOBAL__N_18offset_tEEE10hipError_tPvRmT1_PNSt15iterator_traitsISH_E10value_typeET2_T3_PNSI_ISN_E10value_typeET4_jRbjT5_ST_jjP12ihipStream_tbEUlT_E0_NS1_11comp_targetILNS1_3genE0ELNS1_11target_archE4294967295ELNS1_3gpuE0ELNS1_3repE0EEENS1_60segmented_radix_sort_warp_sort_medium_config_static_selectorELNS0_4arch9wavefront6targetE0EEEvSH_.uses_flat_scratch, or(0, .L_ZN7rocprim17ROCPRIM_400000_NS6detail26segmented_warp_sort_helperINS1_20WarpSortHelperConfigILj16ELj8ELj256EEEllLi256ELb0EvE4sortIPKlPlS8_S9_EEvT_T0_T1_T2_jjjjRNS5_12storage_typeE.uses_flat_scratch)
	.set _ZN7rocprim17ROCPRIM_400000_NS6detail17trampoline_kernelINS0_14default_configENS1_36segmented_radix_sort_config_selectorIllEEZNS1_25segmented_radix_sort_implIS3_Lb0EPKlPlS8_S9_N2at6native12_GLOBAL__N_18offset_tEEE10hipError_tPvRmT1_PNSt15iterator_traitsISH_E10value_typeET2_T3_PNSI_ISN_E10value_typeET4_jRbjT5_ST_jjP12ihipStream_tbEUlT_E0_NS1_11comp_targetILNS1_3genE0ELNS1_11target_archE4294967295ELNS1_3gpuE0ELNS1_3repE0EEENS1_60segmented_radix_sort_warp_sort_medium_config_static_selectorELNS0_4arch9wavefront6targetE0EEEvSH_.has_dyn_sized_stack, or(0, .L_ZN7rocprim17ROCPRIM_400000_NS6detail26segmented_warp_sort_helperINS1_20WarpSortHelperConfigILj16ELj8ELj256EEEllLi256ELb0EvE4sortIPKlPlS8_S9_EEvT_T0_T1_T2_jjjjRNS5_12storage_typeE.has_dyn_sized_stack)
	.set _ZN7rocprim17ROCPRIM_400000_NS6detail17trampoline_kernelINS0_14default_configENS1_36segmented_radix_sort_config_selectorIllEEZNS1_25segmented_radix_sort_implIS3_Lb0EPKlPlS8_S9_N2at6native12_GLOBAL__N_18offset_tEEE10hipError_tPvRmT1_PNSt15iterator_traitsISH_E10value_typeET2_T3_PNSI_ISN_E10value_typeET4_jRbjT5_ST_jjP12ihipStream_tbEUlT_E0_NS1_11comp_targetILNS1_3genE0ELNS1_11target_archE4294967295ELNS1_3gpuE0ELNS1_3repE0EEENS1_60segmented_radix_sort_warp_sort_medium_config_static_selectorELNS0_4arch9wavefront6targetE0EEEvSH_.has_recursion, or(0, .L_ZN7rocprim17ROCPRIM_400000_NS6detail26segmented_warp_sort_helperINS1_20WarpSortHelperConfigILj16ELj8ELj256EEEllLi256ELb0EvE4sortIPKlPlS8_S9_EEvT_T0_T1_T2_jjjjRNS5_12storage_typeE.has_recursion)
	.set _ZN7rocprim17ROCPRIM_400000_NS6detail17trampoline_kernelINS0_14default_configENS1_36segmented_radix_sort_config_selectorIllEEZNS1_25segmented_radix_sort_implIS3_Lb0EPKlPlS8_S9_N2at6native12_GLOBAL__N_18offset_tEEE10hipError_tPvRmT1_PNSt15iterator_traitsISH_E10value_typeET2_T3_PNSI_ISN_E10value_typeET4_jRbjT5_ST_jjP12ihipStream_tbEUlT_E0_NS1_11comp_targetILNS1_3genE0ELNS1_11target_archE4294967295ELNS1_3gpuE0ELNS1_3repE0EEENS1_60segmented_radix_sort_warp_sort_medium_config_static_selectorELNS0_4arch9wavefront6targetE0EEEvSH_.has_indirect_call, or(0, .L_ZN7rocprim17ROCPRIM_400000_NS6detail26segmented_warp_sort_helperINS1_20WarpSortHelperConfigILj16ELj8ELj256EEEllLi256ELb0EvE4sortIPKlPlS8_S9_EEvT_T0_T1_T2_jjjjRNS5_12storage_typeE.has_indirect_call)
	.section	.AMDGPU.csdata,"",@progbits
; Kernel info:
; codeLenInByte = 480
; TotalNumSgprs: 46
; NumVgprs: 98
; ScratchSize: 0
; MemoryBound: 0
; FloatMode: 240
; IeeeMode: 1
; LDSByteSize: 32768 bytes/workgroup (compile time only)
; SGPRBlocks: 0
; VGPRBlocks: 6
; NumSGPRsForWavesPerEU: 46
; NumVGPRsForWavesPerEU: 98
; NamedBarCnt: 0
; Occupancy: 9
; WaveLimiterHint : 0
; COMPUTE_PGM_RSRC2:SCRATCH_EN: 0
; COMPUTE_PGM_RSRC2:USER_SGPR: 4
; COMPUTE_PGM_RSRC2:TRAP_HANDLER: 0
; COMPUTE_PGM_RSRC2:TGID_X_EN: 1
; COMPUTE_PGM_RSRC2:TGID_Y_EN: 1
; COMPUTE_PGM_RSRC2:TGID_Z_EN: 0
; COMPUTE_PGM_RSRC2:TIDIG_COMP_CNT: 2
	.section	.text._ZN7rocprim17ROCPRIM_400000_NS6detail17trampoline_kernelINS0_14default_configENS1_36segmented_radix_sort_config_selectorIllEEZNS1_25segmented_radix_sort_implIS3_Lb0EPKlPlS8_S9_N2at6native12_GLOBAL__N_18offset_tEEE10hipError_tPvRmT1_PNSt15iterator_traitsISH_E10value_typeET2_T3_PNSI_ISN_E10value_typeET4_jRbjT5_ST_jjP12ihipStream_tbEUlT_E0_NS1_11comp_targetILNS1_3genE5ELNS1_11target_archE942ELNS1_3gpuE9ELNS1_3repE0EEENS1_60segmented_radix_sort_warp_sort_medium_config_static_selectorELNS0_4arch9wavefront6targetE0EEEvSH_,"axG",@progbits,_ZN7rocprim17ROCPRIM_400000_NS6detail17trampoline_kernelINS0_14default_configENS1_36segmented_radix_sort_config_selectorIllEEZNS1_25segmented_radix_sort_implIS3_Lb0EPKlPlS8_S9_N2at6native12_GLOBAL__N_18offset_tEEE10hipError_tPvRmT1_PNSt15iterator_traitsISH_E10value_typeET2_T3_PNSI_ISN_E10value_typeET4_jRbjT5_ST_jjP12ihipStream_tbEUlT_E0_NS1_11comp_targetILNS1_3genE5ELNS1_11target_archE942ELNS1_3gpuE9ELNS1_3repE0EEENS1_60segmented_radix_sort_warp_sort_medium_config_static_selectorELNS0_4arch9wavefront6targetE0EEEvSH_,comdat
	.globl	_ZN7rocprim17ROCPRIM_400000_NS6detail17trampoline_kernelINS0_14default_configENS1_36segmented_radix_sort_config_selectorIllEEZNS1_25segmented_radix_sort_implIS3_Lb0EPKlPlS8_S9_N2at6native12_GLOBAL__N_18offset_tEEE10hipError_tPvRmT1_PNSt15iterator_traitsISH_E10value_typeET2_T3_PNSI_ISN_E10value_typeET4_jRbjT5_ST_jjP12ihipStream_tbEUlT_E0_NS1_11comp_targetILNS1_3genE5ELNS1_11target_archE942ELNS1_3gpuE9ELNS1_3repE0EEENS1_60segmented_radix_sort_warp_sort_medium_config_static_selectorELNS0_4arch9wavefront6targetE0EEEvSH_ ; -- Begin function _ZN7rocprim17ROCPRIM_400000_NS6detail17trampoline_kernelINS0_14default_configENS1_36segmented_radix_sort_config_selectorIllEEZNS1_25segmented_radix_sort_implIS3_Lb0EPKlPlS8_S9_N2at6native12_GLOBAL__N_18offset_tEEE10hipError_tPvRmT1_PNSt15iterator_traitsISH_E10value_typeET2_T3_PNSI_ISN_E10value_typeET4_jRbjT5_ST_jjP12ihipStream_tbEUlT_E0_NS1_11comp_targetILNS1_3genE5ELNS1_11target_archE942ELNS1_3gpuE9ELNS1_3repE0EEENS1_60segmented_radix_sort_warp_sort_medium_config_static_selectorELNS0_4arch9wavefront6targetE0EEEvSH_
	.p2align	8
	.type	_ZN7rocprim17ROCPRIM_400000_NS6detail17trampoline_kernelINS0_14default_configENS1_36segmented_radix_sort_config_selectorIllEEZNS1_25segmented_radix_sort_implIS3_Lb0EPKlPlS8_S9_N2at6native12_GLOBAL__N_18offset_tEEE10hipError_tPvRmT1_PNSt15iterator_traitsISH_E10value_typeET2_T3_PNSI_ISN_E10value_typeET4_jRbjT5_ST_jjP12ihipStream_tbEUlT_E0_NS1_11comp_targetILNS1_3genE5ELNS1_11target_archE942ELNS1_3gpuE9ELNS1_3repE0EEENS1_60segmented_radix_sort_warp_sort_medium_config_static_selectorELNS0_4arch9wavefront6targetE0EEEvSH_,@function
_ZN7rocprim17ROCPRIM_400000_NS6detail17trampoline_kernelINS0_14default_configENS1_36segmented_radix_sort_config_selectorIllEEZNS1_25segmented_radix_sort_implIS3_Lb0EPKlPlS8_S9_N2at6native12_GLOBAL__N_18offset_tEEE10hipError_tPvRmT1_PNSt15iterator_traitsISH_E10value_typeET2_T3_PNSI_ISN_E10value_typeET4_jRbjT5_ST_jjP12ihipStream_tbEUlT_E0_NS1_11comp_targetILNS1_3genE5ELNS1_11target_archE942ELNS1_3gpuE9ELNS1_3repE0EEENS1_60segmented_radix_sort_warp_sort_medium_config_static_selectorELNS0_4arch9wavefront6targetE0EEEvSH_: ; @_ZN7rocprim17ROCPRIM_400000_NS6detail17trampoline_kernelINS0_14default_configENS1_36segmented_radix_sort_config_selectorIllEEZNS1_25segmented_radix_sort_implIS3_Lb0EPKlPlS8_S9_N2at6native12_GLOBAL__N_18offset_tEEE10hipError_tPvRmT1_PNSt15iterator_traitsISH_E10value_typeET2_T3_PNSI_ISN_E10value_typeET4_jRbjT5_ST_jjP12ihipStream_tbEUlT_E0_NS1_11comp_targetILNS1_3genE5ELNS1_11target_archE942ELNS1_3gpuE9ELNS1_3repE0EEENS1_60segmented_radix_sort_warp_sort_medium_config_static_selectorELNS0_4arch9wavefront6targetE0EEEvSH_
; %bb.0:
	.section	.rodata,"a",@progbits
	.p2align	6, 0x0
	.amdhsa_kernel _ZN7rocprim17ROCPRIM_400000_NS6detail17trampoline_kernelINS0_14default_configENS1_36segmented_radix_sort_config_selectorIllEEZNS1_25segmented_radix_sort_implIS3_Lb0EPKlPlS8_S9_N2at6native12_GLOBAL__N_18offset_tEEE10hipError_tPvRmT1_PNSt15iterator_traitsISH_E10value_typeET2_T3_PNSI_ISN_E10value_typeET4_jRbjT5_ST_jjP12ihipStream_tbEUlT_E0_NS1_11comp_targetILNS1_3genE5ELNS1_11target_archE942ELNS1_3gpuE9ELNS1_3repE0EEENS1_60segmented_radix_sort_warp_sort_medium_config_static_selectorELNS0_4arch9wavefront6targetE0EEEvSH_
		.amdhsa_group_segment_fixed_size 0
		.amdhsa_private_segment_fixed_size 0
		.amdhsa_kernarg_size 88
		.amdhsa_user_sgpr_count 2
		.amdhsa_user_sgpr_dispatch_ptr 0
		.amdhsa_user_sgpr_queue_ptr 0
		.amdhsa_user_sgpr_kernarg_segment_ptr 1
		.amdhsa_user_sgpr_dispatch_id 0
		.amdhsa_user_sgpr_kernarg_preload_length 0
		.amdhsa_user_sgpr_kernarg_preload_offset 0
		.amdhsa_user_sgpr_private_segment_size 0
		.amdhsa_wavefront_size32 1
		.amdhsa_uses_dynamic_stack 0
		.amdhsa_enable_private_segment 0
		.amdhsa_system_sgpr_workgroup_id_x 1
		.amdhsa_system_sgpr_workgroup_id_y 0
		.amdhsa_system_sgpr_workgroup_id_z 0
		.amdhsa_system_sgpr_workgroup_info 0
		.amdhsa_system_vgpr_workitem_id 0
		.amdhsa_next_free_vgpr 1
		.amdhsa_next_free_sgpr 1
		.amdhsa_named_barrier_count 0
		.amdhsa_reserve_vcc 0
		.amdhsa_float_round_mode_32 0
		.amdhsa_float_round_mode_16_64 0
		.amdhsa_float_denorm_mode_32 3
		.amdhsa_float_denorm_mode_16_64 3
		.amdhsa_fp16_overflow 0
		.amdhsa_memory_ordered 1
		.amdhsa_forward_progress 1
		.amdhsa_inst_pref_size 0
		.amdhsa_round_robin_scheduling 0
		.amdhsa_exception_fp_ieee_invalid_op 0
		.amdhsa_exception_fp_denorm_src 0
		.amdhsa_exception_fp_ieee_div_zero 0
		.amdhsa_exception_fp_ieee_overflow 0
		.amdhsa_exception_fp_ieee_underflow 0
		.amdhsa_exception_fp_ieee_inexact 0
		.amdhsa_exception_int_div_zero 0
	.end_amdhsa_kernel
	.section	.text._ZN7rocprim17ROCPRIM_400000_NS6detail17trampoline_kernelINS0_14default_configENS1_36segmented_radix_sort_config_selectorIllEEZNS1_25segmented_radix_sort_implIS3_Lb0EPKlPlS8_S9_N2at6native12_GLOBAL__N_18offset_tEEE10hipError_tPvRmT1_PNSt15iterator_traitsISH_E10value_typeET2_T3_PNSI_ISN_E10value_typeET4_jRbjT5_ST_jjP12ihipStream_tbEUlT_E0_NS1_11comp_targetILNS1_3genE5ELNS1_11target_archE942ELNS1_3gpuE9ELNS1_3repE0EEENS1_60segmented_radix_sort_warp_sort_medium_config_static_selectorELNS0_4arch9wavefront6targetE0EEEvSH_,"axG",@progbits,_ZN7rocprim17ROCPRIM_400000_NS6detail17trampoline_kernelINS0_14default_configENS1_36segmented_radix_sort_config_selectorIllEEZNS1_25segmented_radix_sort_implIS3_Lb0EPKlPlS8_S9_N2at6native12_GLOBAL__N_18offset_tEEE10hipError_tPvRmT1_PNSt15iterator_traitsISH_E10value_typeET2_T3_PNSI_ISN_E10value_typeET4_jRbjT5_ST_jjP12ihipStream_tbEUlT_E0_NS1_11comp_targetILNS1_3genE5ELNS1_11target_archE942ELNS1_3gpuE9ELNS1_3repE0EEENS1_60segmented_radix_sort_warp_sort_medium_config_static_selectorELNS0_4arch9wavefront6targetE0EEEvSH_,comdat
.Lfunc_end815:
	.size	_ZN7rocprim17ROCPRIM_400000_NS6detail17trampoline_kernelINS0_14default_configENS1_36segmented_radix_sort_config_selectorIllEEZNS1_25segmented_radix_sort_implIS3_Lb0EPKlPlS8_S9_N2at6native12_GLOBAL__N_18offset_tEEE10hipError_tPvRmT1_PNSt15iterator_traitsISH_E10value_typeET2_T3_PNSI_ISN_E10value_typeET4_jRbjT5_ST_jjP12ihipStream_tbEUlT_E0_NS1_11comp_targetILNS1_3genE5ELNS1_11target_archE942ELNS1_3gpuE9ELNS1_3repE0EEENS1_60segmented_radix_sort_warp_sort_medium_config_static_selectorELNS0_4arch9wavefront6targetE0EEEvSH_, .Lfunc_end815-_ZN7rocprim17ROCPRIM_400000_NS6detail17trampoline_kernelINS0_14default_configENS1_36segmented_radix_sort_config_selectorIllEEZNS1_25segmented_radix_sort_implIS3_Lb0EPKlPlS8_S9_N2at6native12_GLOBAL__N_18offset_tEEE10hipError_tPvRmT1_PNSt15iterator_traitsISH_E10value_typeET2_T3_PNSI_ISN_E10value_typeET4_jRbjT5_ST_jjP12ihipStream_tbEUlT_E0_NS1_11comp_targetILNS1_3genE5ELNS1_11target_archE942ELNS1_3gpuE9ELNS1_3repE0EEENS1_60segmented_radix_sort_warp_sort_medium_config_static_selectorELNS0_4arch9wavefront6targetE0EEEvSH_
                                        ; -- End function
	.set _ZN7rocprim17ROCPRIM_400000_NS6detail17trampoline_kernelINS0_14default_configENS1_36segmented_radix_sort_config_selectorIllEEZNS1_25segmented_radix_sort_implIS3_Lb0EPKlPlS8_S9_N2at6native12_GLOBAL__N_18offset_tEEE10hipError_tPvRmT1_PNSt15iterator_traitsISH_E10value_typeET2_T3_PNSI_ISN_E10value_typeET4_jRbjT5_ST_jjP12ihipStream_tbEUlT_E0_NS1_11comp_targetILNS1_3genE5ELNS1_11target_archE942ELNS1_3gpuE9ELNS1_3repE0EEENS1_60segmented_radix_sort_warp_sort_medium_config_static_selectorELNS0_4arch9wavefront6targetE0EEEvSH_.num_vgpr, 0
	.set _ZN7rocprim17ROCPRIM_400000_NS6detail17trampoline_kernelINS0_14default_configENS1_36segmented_radix_sort_config_selectorIllEEZNS1_25segmented_radix_sort_implIS3_Lb0EPKlPlS8_S9_N2at6native12_GLOBAL__N_18offset_tEEE10hipError_tPvRmT1_PNSt15iterator_traitsISH_E10value_typeET2_T3_PNSI_ISN_E10value_typeET4_jRbjT5_ST_jjP12ihipStream_tbEUlT_E0_NS1_11comp_targetILNS1_3genE5ELNS1_11target_archE942ELNS1_3gpuE9ELNS1_3repE0EEENS1_60segmented_radix_sort_warp_sort_medium_config_static_selectorELNS0_4arch9wavefront6targetE0EEEvSH_.num_agpr, 0
	.set _ZN7rocprim17ROCPRIM_400000_NS6detail17trampoline_kernelINS0_14default_configENS1_36segmented_radix_sort_config_selectorIllEEZNS1_25segmented_radix_sort_implIS3_Lb0EPKlPlS8_S9_N2at6native12_GLOBAL__N_18offset_tEEE10hipError_tPvRmT1_PNSt15iterator_traitsISH_E10value_typeET2_T3_PNSI_ISN_E10value_typeET4_jRbjT5_ST_jjP12ihipStream_tbEUlT_E0_NS1_11comp_targetILNS1_3genE5ELNS1_11target_archE942ELNS1_3gpuE9ELNS1_3repE0EEENS1_60segmented_radix_sort_warp_sort_medium_config_static_selectorELNS0_4arch9wavefront6targetE0EEEvSH_.numbered_sgpr, 0
	.set _ZN7rocprim17ROCPRIM_400000_NS6detail17trampoline_kernelINS0_14default_configENS1_36segmented_radix_sort_config_selectorIllEEZNS1_25segmented_radix_sort_implIS3_Lb0EPKlPlS8_S9_N2at6native12_GLOBAL__N_18offset_tEEE10hipError_tPvRmT1_PNSt15iterator_traitsISH_E10value_typeET2_T3_PNSI_ISN_E10value_typeET4_jRbjT5_ST_jjP12ihipStream_tbEUlT_E0_NS1_11comp_targetILNS1_3genE5ELNS1_11target_archE942ELNS1_3gpuE9ELNS1_3repE0EEENS1_60segmented_radix_sort_warp_sort_medium_config_static_selectorELNS0_4arch9wavefront6targetE0EEEvSH_.num_named_barrier, 0
	.set _ZN7rocprim17ROCPRIM_400000_NS6detail17trampoline_kernelINS0_14default_configENS1_36segmented_radix_sort_config_selectorIllEEZNS1_25segmented_radix_sort_implIS3_Lb0EPKlPlS8_S9_N2at6native12_GLOBAL__N_18offset_tEEE10hipError_tPvRmT1_PNSt15iterator_traitsISH_E10value_typeET2_T3_PNSI_ISN_E10value_typeET4_jRbjT5_ST_jjP12ihipStream_tbEUlT_E0_NS1_11comp_targetILNS1_3genE5ELNS1_11target_archE942ELNS1_3gpuE9ELNS1_3repE0EEENS1_60segmented_radix_sort_warp_sort_medium_config_static_selectorELNS0_4arch9wavefront6targetE0EEEvSH_.private_seg_size, 0
	.set _ZN7rocprim17ROCPRIM_400000_NS6detail17trampoline_kernelINS0_14default_configENS1_36segmented_radix_sort_config_selectorIllEEZNS1_25segmented_radix_sort_implIS3_Lb0EPKlPlS8_S9_N2at6native12_GLOBAL__N_18offset_tEEE10hipError_tPvRmT1_PNSt15iterator_traitsISH_E10value_typeET2_T3_PNSI_ISN_E10value_typeET4_jRbjT5_ST_jjP12ihipStream_tbEUlT_E0_NS1_11comp_targetILNS1_3genE5ELNS1_11target_archE942ELNS1_3gpuE9ELNS1_3repE0EEENS1_60segmented_radix_sort_warp_sort_medium_config_static_selectorELNS0_4arch9wavefront6targetE0EEEvSH_.uses_vcc, 0
	.set _ZN7rocprim17ROCPRIM_400000_NS6detail17trampoline_kernelINS0_14default_configENS1_36segmented_radix_sort_config_selectorIllEEZNS1_25segmented_radix_sort_implIS3_Lb0EPKlPlS8_S9_N2at6native12_GLOBAL__N_18offset_tEEE10hipError_tPvRmT1_PNSt15iterator_traitsISH_E10value_typeET2_T3_PNSI_ISN_E10value_typeET4_jRbjT5_ST_jjP12ihipStream_tbEUlT_E0_NS1_11comp_targetILNS1_3genE5ELNS1_11target_archE942ELNS1_3gpuE9ELNS1_3repE0EEENS1_60segmented_radix_sort_warp_sort_medium_config_static_selectorELNS0_4arch9wavefront6targetE0EEEvSH_.uses_flat_scratch, 0
	.set _ZN7rocprim17ROCPRIM_400000_NS6detail17trampoline_kernelINS0_14default_configENS1_36segmented_radix_sort_config_selectorIllEEZNS1_25segmented_radix_sort_implIS3_Lb0EPKlPlS8_S9_N2at6native12_GLOBAL__N_18offset_tEEE10hipError_tPvRmT1_PNSt15iterator_traitsISH_E10value_typeET2_T3_PNSI_ISN_E10value_typeET4_jRbjT5_ST_jjP12ihipStream_tbEUlT_E0_NS1_11comp_targetILNS1_3genE5ELNS1_11target_archE942ELNS1_3gpuE9ELNS1_3repE0EEENS1_60segmented_radix_sort_warp_sort_medium_config_static_selectorELNS0_4arch9wavefront6targetE0EEEvSH_.has_dyn_sized_stack, 0
	.set _ZN7rocprim17ROCPRIM_400000_NS6detail17trampoline_kernelINS0_14default_configENS1_36segmented_radix_sort_config_selectorIllEEZNS1_25segmented_radix_sort_implIS3_Lb0EPKlPlS8_S9_N2at6native12_GLOBAL__N_18offset_tEEE10hipError_tPvRmT1_PNSt15iterator_traitsISH_E10value_typeET2_T3_PNSI_ISN_E10value_typeET4_jRbjT5_ST_jjP12ihipStream_tbEUlT_E0_NS1_11comp_targetILNS1_3genE5ELNS1_11target_archE942ELNS1_3gpuE9ELNS1_3repE0EEENS1_60segmented_radix_sort_warp_sort_medium_config_static_selectorELNS0_4arch9wavefront6targetE0EEEvSH_.has_recursion, 0
	.set _ZN7rocprim17ROCPRIM_400000_NS6detail17trampoline_kernelINS0_14default_configENS1_36segmented_radix_sort_config_selectorIllEEZNS1_25segmented_radix_sort_implIS3_Lb0EPKlPlS8_S9_N2at6native12_GLOBAL__N_18offset_tEEE10hipError_tPvRmT1_PNSt15iterator_traitsISH_E10value_typeET2_T3_PNSI_ISN_E10value_typeET4_jRbjT5_ST_jjP12ihipStream_tbEUlT_E0_NS1_11comp_targetILNS1_3genE5ELNS1_11target_archE942ELNS1_3gpuE9ELNS1_3repE0EEENS1_60segmented_radix_sort_warp_sort_medium_config_static_selectorELNS0_4arch9wavefront6targetE0EEEvSH_.has_indirect_call, 0
	.section	.AMDGPU.csdata,"",@progbits
; Kernel info:
; codeLenInByte = 0
; TotalNumSgprs: 0
; NumVgprs: 0
; ScratchSize: 0
; MemoryBound: 0
; FloatMode: 240
; IeeeMode: 1
; LDSByteSize: 0 bytes/workgroup (compile time only)
; SGPRBlocks: 0
; VGPRBlocks: 0
; NumSGPRsForWavesPerEU: 1
; NumVGPRsForWavesPerEU: 1
; NamedBarCnt: 0
; Occupancy: 16
; WaveLimiterHint : 0
; COMPUTE_PGM_RSRC2:SCRATCH_EN: 0
; COMPUTE_PGM_RSRC2:USER_SGPR: 2
; COMPUTE_PGM_RSRC2:TRAP_HANDLER: 0
; COMPUTE_PGM_RSRC2:TGID_X_EN: 1
; COMPUTE_PGM_RSRC2:TGID_Y_EN: 0
; COMPUTE_PGM_RSRC2:TGID_Z_EN: 0
; COMPUTE_PGM_RSRC2:TIDIG_COMP_CNT: 0
	.section	.text._ZN7rocprim17ROCPRIM_400000_NS6detail17trampoline_kernelINS0_14default_configENS1_36segmented_radix_sort_config_selectorIllEEZNS1_25segmented_radix_sort_implIS3_Lb0EPKlPlS8_S9_N2at6native12_GLOBAL__N_18offset_tEEE10hipError_tPvRmT1_PNSt15iterator_traitsISH_E10value_typeET2_T3_PNSI_ISN_E10value_typeET4_jRbjT5_ST_jjP12ihipStream_tbEUlT_E0_NS1_11comp_targetILNS1_3genE4ELNS1_11target_archE910ELNS1_3gpuE8ELNS1_3repE0EEENS1_60segmented_radix_sort_warp_sort_medium_config_static_selectorELNS0_4arch9wavefront6targetE0EEEvSH_,"axG",@progbits,_ZN7rocprim17ROCPRIM_400000_NS6detail17trampoline_kernelINS0_14default_configENS1_36segmented_radix_sort_config_selectorIllEEZNS1_25segmented_radix_sort_implIS3_Lb0EPKlPlS8_S9_N2at6native12_GLOBAL__N_18offset_tEEE10hipError_tPvRmT1_PNSt15iterator_traitsISH_E10value_typeET2_T3_PNSI_ISN_E10value_typeET4_jRbjT5_ST_jjP12ihipStream_tbEUlT_E0_NS1_11comp_targetILNS1_3genE4ELNS1_11target_archE910ELNS1_3gpuE8ELNS1_3repE0EEENS1_60segmented_radix_sort_warp_sort_medium_config_static_selectorELNS0_4arch9wavefront6targetE0EEEvSH_,comdat
	.globl	_ZN7rocprim17ROCPRIM_400000_NS6detail17trampoline_kernelINS0_14default_configENS1_36segmented_radix_sort_config_selectorIllEEZNS1_25segmented_radix_sort_implIS3_Lb0EPKlPlS8_S9_N2at6native12_GLOBAL__N_18offset_tEEE10hipError_tPvRmT1_PNSt15iterator_traitsISH_E10value_typeET2_T3_PNSI_ISN_E10value_typeET4_jRbjT5_ST_jjP12ihipStream_tbEUlT_E0_NS1_11comp_targetILNS1_3genE4ELNS1_11target_archE910ELNS1_3gpuE8ELNS1_3repE0EEENS1_60segmented_radix_sort_warp_sort_medium_config_static_selectorELNS0_4arch9wavefront6targetE0EEEvSH_ ; -- Begin function _ZN7rocprim17ROCPRIM_400000_NS6detail17trampoline_kernelINS0_14default_configENS1_36segmented_radix_sort_config_selectorIllEEZNS1_25segmented_radix_sort_implIS3_Lb0EPKlPlS8_S9_N2at6native12_GLOBAL__N_18offset_tEEE10hipError_tPvRmT1_PNSt15iterator_traitsISH_E10value_typeET2_T3_PNSI_ISN_E10value_typeET4_jRbjT5_ST_jjP12ihipStream_tbEUlT_E0_NS1_11comp_targetILNS1_3genE4ELNS1_11target_archE910ELNS1_3gpuE8ELNS1_3repE0EEENS1_60segmented_radix_sort_warp_sort_medium_config_static_selectorELNS0_4arch9wavefront6targetE0EEEvSH_
	.p2align	8
	.type	_ZN7rocprim17ROCPRIM_400000_NS6detail17trampoline_kernelINS0_14default_configENS1_36segmented_radix_sort_config_selectorIllEEZNS1_25segmented_radix_sort_implIS3_Lb0EPKlPlS8_S9_N2at6native12_GLOBAL__N_18offset_tEEE10hipError_tPvRmT1_PNSt15iterator_traitsISH_E10value_typeET2_T3_PNSI_ISN_E10value_typeET4_jRbjT5_ST_jjP12ihipStream_tbEUlT_E0_NS1_11comp_targetILNS1_3genE4ELNS1_11target_archE910ELNS1_3gpuE8ELNS1_3repE0EEENS1_60segmented_radix_sort_warp_sort_medium_config_static_selectorELNS0_4arch9wavefront6targetE0EEEvSH_,@function
_ZN7rocprim17ROCPRIM_400000_NS6detail17trampoline_kernelINS0_14default_configENS1_36segmented_radix_sort_config_selectorIllEEZNS1_25segmented_radix_sort_implIS3_Lb0EPKlPlS8_S9_N2at6native12_GLOBAL__N_18offset_tEEE10hipError_tPvRmT1_PNSt15iterator_traitsISH_E10value_typeET2_T3_PNSI_ISN_E10value_typeET4_jRbjT5_ST_jjP12ihipStream_tbEUlT_E0_NS1_11comp_targetILNS1_3genE4ELNS1_11target_archE910ELNS1_3gpuE8ELNS1_3repE0EEENS1_60segmented_radix_sort_warp_sort_medium_config_static_selectorELNS0_4arch9wavefront6targetE0EEEvSH_: ; @_ZN7rocprim17ROCPRIM_400000_NS6detail17trampoline_kernelINS0_14default_configENS1_36segmented_radix_sort_config_selectorIllEEZNS1_25segmented_radix_sort_implIS3_Lb0EPKlPlS8_S9_N2at6native12_GLOBAL__N_18offset_tEEE10hipError_tPvRmT1_PNSt15iterator_traitsISH_E10value_typeET2_T3_PNSI_ISN_E10value_typeET4_jRbjT5_ST_jjP12ihipStream_tbEUlT_E0_NS1_11comp_targetILNS1_3genE4ELNS1_11target_archE910ELNS1_3gpuE8ELNS1_3repE0EEENS1_60segmented_radix_sort_warp_sort_medium_config_static_selectorELNS0_4arch9wavefront6targetE0EEEvSH_
; %bb.0:
	.section	.rodata,"a",@progbits
	.p2align	6, 0x0
	.amdhsa_kernel _ZN7rocprim17ROCPRIM_400000_NS6detail17trampoline_kernelINS0_14default_configENS1_36segmented_radix_sort_config_selectorIllEEZNS1_25segmented_radix_sort_implIS3_Lb0EPKlPlS8_S9_N2at6native12_GLOBAL__N_18offset_tEEE10hipError_tPvRmT1_PNSt15iterator_traitsISH_E10value_typeET2_T3_PNSI_ISN_E10value_typeET4_jRbjT5_ST_jjP12ihipStream_tbEUlT_E0_NS1_11comp_targetILNS1_3genE4ELNS1_11target_archE910ELNS1_3gpuE8ELNS1_3repE0EEENS1_60segmented_radix_sort_warp_sort_medium_config_static_selectorELNS0_4arch9wavefront6targetE0EEEvSH_
		.amdhsa_group_segment_fixed_size 0
		.amdhsa_private_segment_fixed_size 0
		.amdhsa_kernarg_size 88
		.amdhsa_user_sgpr_count 2
		.amdhsa_user_sgpr_dispatch_ptr 0
		.amdhsa_user_sgpr_queue_ptr 0
		.amdhsa_user_sgpr_kernarg_segment_ptr 1
		.amdhsa_user_sgpr_dispatch_id 0
		.amdhsa_user_sgpr_kernarg_preload_length 0
		.amdhsa_user_sgpr_kernarg_preload_offset 0
		.amdhsa_user_sgpr_private_segment_size 0
		.amdhsa_wavefront_size32 1
		.amdhsa_uses_dynamic_stack 0
		.amdhsa_enable_private_segment 0
		.amdhsa_system_sgpr_workgroup_id_x 1
		.amdhsa_system_sgpr_workgroup_id_y 0
		.amdhsa_system_sgpr_workgroup_id_z 0
		.amdhsa_system_sgpr_workgroup_info 0
		.amdhsa_system_vgpr_workitem_id 0
		.amdhsa_next_free_vgpr 1
		.amdhsa_next_free_sgpr 1
		.amdhsa_named_barrier_count 0
		.amdhsa_reserve_vcc 0
		.amdhsa_float_round_mode_32 0
		.amdhsa_float_round_mode_16_64 0
		.amdhsa_float_denorm_mode_32 3
		.amdhsa_float_denorm_mode_16_64 3
		.amdhsa_fp16_overflow 0
		.amdhsa_memory_ordered 1
		.amdhsa_forward_progress 1
		.amdhsa_inst_pref_size 0
		.amdhsa_round_robin_scheduling 0
		.amdhsa_exception_fp_ieee_invalid_op 0
		.amdhsa_exception_fp_denorm_src 0
		.amdhsa_exception_fp_ieee_div_zero 0
		.amdhsa_exception_fp_ieee_overflow 0
		.amdhsa_exception_fp_ieee_underflow 0
		.amdhsa_exception_fp_ieee_inexact 0
		.amdhsa_exception_int_div_zero 0
	.end_amdhsa_kernel
	.section	.text._ZN7rocprim17ROCPRIM_400000_NS6detail17trampoline_kernelINS0_14default_configENS1_36segmented_radix_sort_config_selectorIllEEZNS1_25segmented_radix_sort_implIS3_Lb0EPKlPlS8_S9_N2at6native12_GLOBAL__N_18offset_tEEE10hipError_tPvRmT1_PNSt15iterator_traitsISH_E10value_typeET2_T3_PNSI_ISN_E10value_typeET4_jRbjT5_ST_jjP12ihipStream_tbEUlT_E0_NS1_11comp_targetILNS1_3genE4ELNS1_11target_archE910ELNS1_3gpuE8ELNS1_3repE0EEENS1_60segmented_radix_sort_warp_sort_medium_config_static_selectorELNS0_4arch9wavefront6targetE0EEEvSH_,"axG",@progbits,_ZN7rocprim17ROCPRIM_400000_NS6detail17trampoline_kernelINS0_14default_configENS1_36segmented_radix_sort_config_selectorIllEEZNS1_25segmented_radix_sort_implIS3_Lb0EPKlPlS8_S9_N2at6native12_GLOBAL__N_18offset_tEEE10hipError_tPvRmT1_PNSt15iterator_traitsISH_E10value_typeET2_T3_PNSI_ISN_E10value_typeET4_jRbjT5_ST_jjP12ihipStream_tbEUlT_E0_NS1_11comp_targetILNS1_3genE4ELNS1_11target_archE910ELNS1_3gpuE8ELNS1_3repE0EEENS1_60segmented_radix_sort_warp_sort_medium_config_static_selectorELNS0_4arch9wavefront6targetE0EEEvSH_,comdat
.Lfunc_end816:
	.size	_ZN7rocprim17ROCPRIM_400000_NS6detail17trampoline_kernelINS0_14default_configENS1_36segmented_radix_sort_config_selectorIllEEZNS1_25segmented_radix_sort_implIS3_Lb0EPKlPlS8_S9_N2at6native12_GLOBAL__N_18offset_tEEE10hipError_tPvRmT1_PNSt15iterator_traitsISH_E10value_typeET2_T3_PNSI_ISN_E10value_typeET4_jRbjT5_ST_jjP12ihipStream_tbEUlT_E0_NS1_11comp_targetILNS1_3genE4ELNS1_11target_archE910ELNS1_3gpuE8ELNS1_3repE0EEENS1_60segmented_radix_sort_warp_sort_medium_config_static_selectorELNS0_4arch9wavefront6targetE0EEEvSH_, .Lfunc_end816-_ZN7rocprim17ROCPRIM_400000_NS6detail17trampoline_kernelINS0_14default_configENS1_36segmented_radix_sort_config_selectorIllEEZNS1_25segmented_radix_sort_implIS3_Lb0EPKlPlS8_S9_N2at6native12_GLOBAL__N_18offset_tEEE10hipError_tPvRmT1_PNSt15iterator_traitsISH_E10value_typeET2_T3_PNSI_ISN_E10value_typeET4_jRbjT5_ST_jjP12ihipStream_tbEUlT_E0_NS1_11comp_targetILNS1_3genE4ELNS1_11target_archE910ELNS1_3gpuE8ELNS1_3repE0EEENS1_60segmented_radix_sort_warp_sort_medium_config_static_selectorELNS0_4arch9wavefront6targetE0EEEvSH_
                                        ; -- End function
	.set _ZN7rocprim17ROCPRIM_400000_NS6detail17trampoline_kernelINS0_14default_configENS1_36segmented_radix_sort_config_selectorIllEEZNS1_25segmented_radix_sort_implIS3_Lb0EPKlPlS8_S9_N2at6native12_GLOBAL__N_18offset_tEEE10hipError_tPvRmT1_PNSt15iterator_traitsISH_E10value_typeET2_T3_PNSI_ISN_E10value_typeET4_jRbjT5_ST_jjP12ihipStream_tbEUlT_E0_NS1_11comp_targetILNS1_3genE4ELNS1_11target_archE910ELNS1_3gpuE8ELNS1_3repE0EEENS1_60segmented_radix_sort_warp_sort_medium_config_static_selectorELNS0_4arch9wavefront6targetE0EEEvSH_.num_vgpr, 0
	.set _ZN7rocprim17ROCPRIM_400000_NS6detail17trampoline_kernelINS0_14default_configENS1_36segmented_radix_sort_config_selectorIllEEZNS1_25segmented_radix_sort_implIS3_Lb0EPKlPlS8_S9_N2at6native12_GLOBAL__N_18offset_tEEE10hipError_tPvRmT1_PNSt15iterator_traitsISH_E10value_typeET2_T3_PNSI_ISN_E10value_typeET4_jRbjT5_ST_jjP12ihipStream_tbEUlT_E0_NS1_11comp_targetILNS1_3genE4ELNS1_11target_archE910ELNS1_3gpuE8ELNS1_3repE0EEENS1_60segmented_radix_sort_warp_sort_medium_config_static_selectorELNS0_4arch9wavefront6targetE0EEEvSH_.num_agpr, 0
	.set _ZN7rocprim17ROCPRIM_400000_NS6detail17trampoline_kernelINS0_14default_configENS1_36segmented_radix_sort_config_selectorIllEEZNS1_25segmented_radix_sort_implIS3_Lb0EPKlPlS8_S9_N2at6native12_GLOBAL__N_18offset_tEEE10hipError_tPvRmT1_PNSt15iterator_traitsISH_E10value_typeET2_T3_PNSI_ISN_E10value_typeET4_jRbjT5_ST_jjP12ihipStream_tbEUlT_E0_NS1_11comp_targetILNS1_3genE4ELNS1_11target_archE910ELNS1_3gpuE8ELNS1_3repE0EEENS1_60segmented_radix_sort_warp_sort_medium_config_static_selectorELNS0_4arch9wavefront6targetE0EEEvSH_.numbered_sgpr, 0
	.set _ZN7rocprim17ROCPRIM_400000_NS6detail17trampoline_kernelINS0_14default_configENS1_36segmented_radix_sort_config_selectorIllEEZNS1_25segmented_radix_sort_implIS3_Lb0EPKlPlS8_S9_N2at6native12_GLOBAL__N_18offset_tEEE10hipError_tPvRmT1_PNSt15iterator_traitsISH_E10value_typeET2_T3_PNSI_ISN_E10value_typeET4_jRbjT5_ST_jjP12ihipStream_tbEUlT_E0_NS1_11comp_targetILNS1_3genE4ELNS1_11target_archE910ELNS1_3gpuE8ELNS1_3repE0EEENS1_60segmented_radix_sort_warp_sort_medium_config_static_selectorELNS0_4arch9wavefront6targetE0EEEvSH_.num_named_barrier, 0
	.set _ZN7rocprim17ROCPRIM_400000_NS6detail17trampoline_kernelINS0_14default_configENS1_36segmented_radix_sort_config_selectorIllEEZNS1_25segmented_radix_sort_implIS3_Lb0EPKlPlS8_S9_N2at6native12_GLOBAL__N_18offset_tEEE10hipError_tPvRmT1_PNSt15iterator_traitsISH_E10value_typeET2_T3_PNSI_ISN_E10value_typeET4_jRbjT5_ST_jjP12ihipStream_tbEUlT_E0_NS1_11comp_targetILNS1_3genE4ELNS1_11target_archE910ELNS1_3gpuE8ELNS1_3repE0EEENS1_60segmented_radix_sort_warp_sort_medium_config_static_selectorELNS0_4arch9wavefront6targetE0EEEvSH_.private_seg_size, 0
	.set _ZN7rocprim17ROCPRIM_400000_NS6detail17trampoline_kernelINS0_14default_configENS1_36segmented_radix_sort_config_selectorIllEEZNS1_25segmented_radix_sort_implIS3_Lb0EPKlPlS8_S9_N2at6native12_GLOBAL__N_18offset_tEEE10hipError_tPvRmT1_PNSt15iterator_traitsISH_E10value_typeET2_T3_PNSI_ISN_E10value_typeET4_jRbjT5_ST_jjP12ihipStream_tbEUlT_E0_NS1_11comp_targetILNS1_3genE4ELNS1_11target_archE910ELNS1_3gpuE8ELNS1_3repE0EEENS1_60segmented_radix_sort_warp_sort_medium_config_static_selectorELNS0_4arch9wavefront6targetE0EEEvSH_.uses_vcc, 0
	.set _ZN7rocprim17ROCPRIM_400000_NS6detail17trampoline_kernelINS0_14default_configENS1_36segmented_radix_sort_config_selectorIllEEZNS1_25segmented_radix_sort_implIS3_Lb0EPKlPlS8_S9_N2at6native12_GLOBAL__N_18offset_tEEE10hipError_tPvRmT1_PNSt15iterator_traitsISH_E10value_typeET2_T3_PNSI_ISN_E10value_typeET4_jRbjT5_ST_jjP12ihipStream_tbEUlT_E0_NS1_11comp_targetILNS1_3genE4ELNS1_11target_archE910ELNS1_3gpuE8ELNS1_3repE0EEENS1_60segmented_radix_sort_warp_sort_medium_config_static_selectorELNS0_4arch9wavefront6targetE0EEEvSH_.uses_flat_scratch, 0
	.set _ZN7rocprim17ROCPRIM_400000_NS6detail17trampoline_kernelINS0_14default_configENS1_36segmented_radix_sort_config_selectorIllEEZNS1_25segmented_radix_sort_implIS3_Lb0EPKlPlS8_S9_N2at6native12_GLOBAL__N_18offset_tEEE10hipError_tPvRmT1_PNSt15iterator_traitsISH_E10value_typeET2_T3_PNSI_ISN_E10value_typeET4_jRbjT5_ST_jjP12ihipStream_tbEUlT_E0_NS1_11comp_targetILNS1_3genE4ELNS1_11target_archE910ELNS1_3gpuE8ELNS1_3repE0EEENS1_60segmented_radix_sort_warp_sort_medium_config_static_selectorELNS0_4arch9wavefront6targetE0EEEvSH_.has_dyn_sized_stack, 0
	.set _ZN7rocprim17ROCPRIM_400000_NS6detail17trampoline_kernelINS0_14default_configENS1_36segmented_radix_sort_config_selectorIllEEZNS1_25segmented_radix_sort_implIS3_Lb0EPKlPlS8_S9_N2at6native12_GLOBAL__N_18offset_tEEE10hipError_tPvRmT1_PNSt15iterator_traitsISH_E10value_typeET2_T3_PNSI_ISN_E10value_typeET4_jRbjT5_ST_jjP12ihipStream_tbEUlT_E0_NS1_11comp_targetILNS1_3genE4ELNS1_11target_archE910ELNS1_3gpuE8ELNS1_3repE0EEENS1_60segmented_radix_sort_warp_sort_medium_config_static_selectorELNS0_4arch9wavefront6targetE0EEEvSH_.has_recursion, 0
	.set _ZN7rocprim17ROCPRIM_400000_NS6detail17trampoline_kernelINS0_14default_configENS1_36segmented_radix_sort_config_selectorIllEEZNS1_25segmented_radix_sort_implIS3_Lb0EPKlPlS8_S9_N2at6native12_GLOBAL__N_18offset_tEEE10hipError_tPvRmT1_PNSt15iterator_traitsISH_E10value_typeET2_T3_PNSI_ISN_E10value_typeET4_jRbjT5_ST_jjP12ihipStream_tbEUlT_E0_NS1_11comp_targetILNS1_3genE4ELNS1_11target_archE910ELNS1_3gpuE8ELNS1_3repE0EEENS1_60segmented_radix_sort_warp_sort_medium_config_static_selectorELNS0_4arch9wavefront6targetE0EEEvSH_.has_indirect_call, 0
	.section	.AMDGPU.csdata,"",@progbits
; Kernel info:
; codeLenInByte = 0
; TotalNumSgprs: 0
; NumVgprs: 0
; ScratchSize: 0
; MemoryBound: 0
; FloatMode: 240
; IeeeMode: 1
; LDSByteSize: 0 bytes/workgroup (compile time only)
; SGPRBlocks: 0
; VGPRBlocks: 0
; NumSGPRsForWavesPerEU: 1
; NumVGPRsForWavesPerEU: 1
; NamedBarCnt: 0
; Occupancy: 16
; WaveLimiterHint : 0
; COMPUTE_PGM_RSRC2:SCRATCH_EN: 0
; COMPUTE_PGM_RSRC2:USER_SGPR: 2
; COMPUTE_PGM_RSRC2:TRAP_HANDLER: 0
; COMPUTE_PGM_RSRC2:TGID_X_EN: 1
; COMPUTE_PGM_RSRC2:TGID_Y_EN: 0
; COMPUTE_PGM_RSRC2:TGID_Z_EN: 0
; COMPUTE_PGM_RSRC2:TIDIG_COMP_CNT: 0
	.section	.text._ZN7rocprim17ROCPRIM_400000_NS6detail17trampoline_kernelINS0_14default_configENS1_36segmented_radix_sort_config_selectorIllEEZNS1_25segmented_radix_sort_implIS3_Lb0EPKlPlS8_S9_N2at6native12_GLOBAL__N_18offset_tEEE10hipError_tPvRmT1_PNSt15iterator_traitsISH_E10value_typeET2_T3_PNSI_ISN_E10value_typeET4_jRbjT5_ST_jjP12ihipStream_tbEUlT_E0_NS1_11comp_targetILNS1_3genE3ELNS1_11target_archE908ELNS1_3gpuE7ELNS1_3repE0EEENS1_60segmented_radix_sort_warp_sort_medium_config_static_selectorELNS0_4arch9wavefront6targetE0EEEvSH_,"axG",@progbits,_ZN7rocprim17ROCPRIM_400000_NS6detail17trampoline_kernelINS0_14default_configENS1_36segmented_radix_sort_config_selectorIllEEZNS1_25segmented_radix_sort_implIS3_Lb0EPKlPlS8_S9_N2at6native12_GLOBAL__N_18offset_tEEE10hipError_tPvRmT1_PNSt15iterator_traitsISH_E10value_typeET2_T3_PNSI_ISN_E10value_typeET4_jRbjT5_ST_jjP12ihipStream_tbEUlT_E0_NS1_11comp_targetILNS1_3genE3ELNS1_11target_archE908ELNS1_3gpuE7ELNS1_3repE0EEENS1_60segmented_radix_sort_warp_sort_medium_config_static_selectorELNS0_4arch9wavefront6targetE0EEEvSH_,comdat
	.globl	_ZN7rocprim17ROCPRIM_400000_NS6detail17trampoline_kernelINS0_14default_configENS1_36segmented_radix_sort_config_selectorIllEEZNS1_25segmented_radix_sort_implIS3_Lb0EPKlPlS8_S9_N2at6native12_GLOBAL__N_18offset_tEEE10hipError_tPvRmT1_PNSt15iterator_traitsISH_E10value_typeET2_T3_PNSI_ISN_E10value_typeET4_jRbjT5_ST_jjP12ihipStream_tbEUlT_E0_NS1_11comp_targetILNS1_3genE3ELNS1_11target_archE908ELNS1_3gpuE7ELNS1_3repE0EEENS1_60segmented_radix_sort_warp_sort_medium_config_static_selectorELNS0_4arch9wavefront6targetE0EEEvSH_ ; -- Begin function _ZN7rocprim17ROCPRIM_400000_NS6detail17trampoline_kernelINS0_14default_configENS1_36segmented_radix_sort_config_selectorIllEEZNS1_25segmented_radix_sort_implIS3_Lb0EPKlPlS8_S9_N2at6native12_GLOBAL__N_18offset_tEEE10hipError_tPvRmT1_PNSt15iterator_traitsISH_E10value_typeET2_T3_PNSI_ISN_E10value_typeET4_jRbjT5_ST_jjP12ihipStream_tbEUlT_E0_NS1_11comp_targetILNS1_3genE3ELNS1_11target_archE908ELNS1_3gpuE7ELNS1_3repE0EEENS1_60segmented_radix_sort_warp_sort_medium_config_static_selectorELNS0_4arch9wavefront6targetE0EEEvSH_
	.p2align	8
	.type	_ZN7rocprim17ROCPRIM_400000_NS6detail17trampoline_kernelINS0_14default_configENS1_36segmented_radix_sort_config_selectorIllEEZNS1_25segmented_radix_sort_implIS3_Lb0EPKlPlS8_S9_N2at6native12_GLOBAL__N_18offset_tEEE10hipError_tPvRmT1_PNSt15iterator_traitsISH_E10value_typeET2_T3_PNSI_ISN_E10value_typeET4_jRbjT5_ST_jjP12ihipStream_tbEUlT_E0_NS1_11comp_targetILNS1_3genE3ELNS1_11target_archE908ELNS1_3gpuE7ELNS1_3repE0EEENS1_60segmented_radix_sort_warp_sort_medium_config_static_selectorELNS0_4arch9wavefront6targetE0EEEvSH_,@function
_ZN7rocprim17ROCPRIM_400000_NS6detail17trampoline_kernelINS0_14default_configENS1_36segmented_radix_sort_config_selectorIllEEZNS1_25segmented_radix_sort_implIS3_Lb0EPKlPlS8_S9_N2at6native12_GLOBAL__N_18offset_tEEE10hipError_tPvRmT1_PNSt15iterator_traitsISH_E10value_typeET2_T3_PNSI_ISN_E10value_typeET4_jRbjT5_ST_jjP12ihipStream_tbEUlT_E0_NS1_11comp_targetILNS1_3genE3ELNS1_11target_archE908ELNS1_3gpuE7ELNS1_3repE0EEENS1_60segmented_radix_sort_warp_sort_medium_config_static_selectorELNS0_4arch9wavefront6targetE0EEEvSH_: ; @_ZN7rocprim17ROCPRIM_400000_NS6detail17trampoline_kernelINS0_14default_configENS1_36segmented_radix_sort_config_selectorIllEEZNS1_25segmented_radix_sort_implIS3_Lb0EPKlPlS8_S9_N2at6native12_GLOBAL__N_18offset_tEEE10hipError_tPvRmT1_PNSt15iterator_traitsISH_E10value_typeET2_T3_PNSI_ISN_E10value_typeET4_jRbjT5_ST_jjP12ihipStream_tbEUlT_E0_NS1_11comp_targetILNS1_3genE3ELNS1_11target_archE908ELNS1_3gpuE7ELNS1_3repE0EEENS1_60segmented_radix_sort_warp_sort_medium_config_static_selectorELNS0_4arch9wavefront6targetE0EEEvSH_
; %bb.0:
	.section	.rodata,"a",@progbits
	.p2align	6, 0x0
	.amdhsa_kernel _ZN7rocprim17ROCPRIM_400000_NS6detail17trampoline_kernelINS0_14default_configENS1_36segmented_radix_sort_config_selectorIllEEZNS1_25segmented_radix_sort_implIS3_Lb0EPKlPlS8_S9_N2at6native12_GLOBAL__N_18offset_tEEE10hipError_tPvRmT1_PNSt15iterator_traitsISH_E10value_typeET2_T3_PNSI_ISN_E10value_typeET4_jRbjT5_ST_jjP12ihipStream_tbEUlT_E0_NS1_11comp_targetILNS1_3genE3ELNS1_11target_archE908ELNS1_3gpuE7ELNS1_3repE0EEENS1_60segmented_radix_sort_warp_sort_medium_config_static_selectorELNS0_4arch9wavefront6targetE0EEEvSH_
		.amdhsa_group_segment_fixed_size 0
		.amdhsa_private_segment_fixed_size 0
		.amdhsa_kernarg_size 88
		.amdhsa_user_sgpr_count 2
		.amdhsa_user_sgpr_dispatch_ptr 0
		.amdhsa_user_sgpr_queue_ptr 0
		.amdhsa_user_sgpr_kernarg_segment_ptr 1
		.amdhsa_user_sgpr_dispatch_id 0
		.amdhsa_user_sgpr_kernarg_preload_length 0
		.amdhsa_user_sgpr_kernarg_preload_offset 0
		.amdhsa_user_sgpr_private_segment_size 0
		.amdhsa_wavefront_size32 1
		.amdhsa_uses_dynamic_stack 0
		.amdhsa_enable_private_segment 0
		.amdhsa_system_sgpr_workgroup_id_x 1
		.amdhsa_system_sgpr_workgroup_id_y 0
		.amdhsa_system_sgpr_workgroup_id_z 0
		.amdhsa_system_sgpr_workgroup_info 0
		.amdhsa_system_vgpr_workitem_id 0
		.amdhsa_next_free_vgpr 1
		.amdhsa_next_free_sgpr 1
		.amdhsa_named_barrier_count 0
		.amdhsa_reserve_vcc 0
		.amdhsa_float_round_mode_32 0
		.amdhsa_float_round_mode_16_64 0
		.amdhsa_float_denorm_mode_32 3
		.amdhsa_float_denorm_mode_16_64 3
		.amdhsa_fp16_overflow 0
		.amdhsa_memory_ordered 1
		.amdhsa_forward_progress 1
		.amdhsa_inst_pref_size 0
		.amdhsa_round_robin_scheduling 0
		.amdhsa_exception_fp_ieee_invalid_op 0
		.amdhsa_exception_fp_denorm_src 0
		.amdhsa_exception_fp_ieee_div_zero 0
		.amdhsa_exception_fp_ieee_overflow 0
		.amdhsa_exception_fp_ieee_underflow 0
		.amdhsa_exception_fp_ieee_inexact 0
		.amdhsa_exception_int_div_zero 0
	.end_amdhsa_kernel
	.section	.text._ZN7rocprim17ROCPRIM_400000_NS6detail17trampoline_kernelINS0_14default_configENS1_36segmented_radix_sort_config_selectorIllEEZNS1_25segmented_radix_sort_implIS3_Lb0EPKlPlS8_S9_N2at6native12_GLOBAL__N_18offset_tEEE10hipError_tPvRmT1_PNSt15iterator_traitsISH_E10value_typeET2_T3_PNSI_ISN_E10value_typeET4_jRbjT5_ST_jjP12ihipStream_tbEUlT_E0_NS1_11comp_targetILNS1_3genE3ELNS1_11target_archE908ELNS1_3gpuE7ELNS1_3repE0EEENS1_60segmented_radix_sort_warp_sort_medium_config_static_selectorELNS0_4arch9wavefront6targetE0EEEvSH_,"axG",@progbits,_ZN7rocprim17ROCPRIM_400000_NS6detail17trampoline_kernelINS0_14default_configENS1_36segmented_radix_sort_config_selectorIllEEZNS1_25segmented_radix_sort_implIS3_Lb0EPKlPlS8_S9_N2at6native12_GLOBAL__N_18offset_tEEE10hipError_tPvRmT1_PNSt15iterator_traitsISH_E10value_typeET2_T3_PNSI_ISN_E10value_typeET4_jRbjT5_ST_jjP12ihipStream_tbEUlT_E0_NS1_11comp_targetILNS1_3genE3ELNS1_11target_archE908ELNS1_3gpuE7ELNS1_3repE0EEENS1_60segmented_radix_sort_warp_sort_medium_config_static_selectorELNS0_4arch9wavefront6targetE0EEEvSH_,comdat
.Lfunc_end817:
	.size	_ZN7rocprim17ROCPRIM_400000_NS6detail17trampoline_kernelINS0_14default_configENS1_36segmented_radix_sort_config_selectorIllEEZNS1_25segmented_radix_sort_implIS3_Lb0EPKlPlS8_S9_N2at6native12_GLOBAL__N_18offset_tEEE10hipError_tPvRmT1_PNSt15iterator_traitsISH_E10value_typeET2_T3_PNSI_ISN_E10value_typeET4_jRbjT5_ST_jjP12ihipStream_tbEUlT_E0_NS1_11comp_targetILNS1_3genE3ELNS1_11target_archE908ELNS1_3gpuE7ELNS1_3repE0EEENS1_60segmented_radix_sort_warp_sort_medium_config_static_selectorELNS0_4arch9wavefront6targetE0EEEvSH_, .Lfunc_end817-_ZN7rocprim17ROCPRIM_400000_NS6detail17trampoline_kernelINS0_14default_configENS1_36segmented_radix_sort_config_selectorIllEEZNS1_25segmented_radix_sort_implIS3_Lb0EPKlPlS8_S9_N2at6native12_GLOBAL__N_18offset_tEEE10hipError_tPvRmT1_PNSt15iterator_traitsISH_E10value_typeET2_T3_PNSI_ISN_E10value_typeET4_jRbjT5_ST_jjP12ihipStream_tbEUlT_E0_NS1_11comp_targetILNS1_3genE3ELNS1_11target_archE908ELNS1_3gpuE7ELNS1_3repE0EEENS1_60segmented_radix_sort_warp_sort_medium_config_static_selectorELNS0_4arch9wavefront6targetE0EEEvSH_
                                        ; -- End function
	.set _ZN7rocprim17ROCPRIM_400000_NS6detail17trampoline_kernelINS0_14default_configENS1_36segmented_radix_sort_config_selectorIllEEZNS1_25segmented_radix_sort_implIS3_Lb0EPKlPlS8_S9_N2at6native12_GLOBAL__N_18offset_tEEE10hipError_tPvRmT1_PNSt15iterator_traitsISH_E10value_typeET2_T3_PNSI_ISN_E10value_typeET4_jRbjT5_ST_jjP12ihipStream_tbEUlT_E0_NS1_11comp_targetILNS1_3genE3ELNS1_11target_archE908ELNS1_3gpuE7ELNS1_3repE0EEENS1_60segmented_radix_sort_warp_sort_medium_config_static_selectorELNS0_4arch9wavefront6targetE0EEEvSH_.num_vgpr, 0
	.set _ZN7rocprim17ROCPRIM_400000_NS6detail17trampoline_kernelINS0_14default_configENS1_36segmented_radix_sort_config_selectorIllEEZNS1_25segmented_radix_sort_implIS3_Lb0EPKlPlS8_S9_N2at6native12_GLOBAL__N_18offset_tEEE10hipError_tPvRmT1_PNSt15iterator_traitsISH_E10value_typeET2_T3_PNSI_ISN_E10value_typeET4_jRbjT5_ST_jjP12ihipStream_tbEUlT_E0_NS1_11comp_targetILNS1_3genE3ELNS1_11target_archE908ELNS1_3gpuE7ELNS1_3repE0EEENS1_60segmented_radix_sort_warp_sort_medium_config_static_selectorELNS0_4arch9wavefront6targetE0EEEvSH_.num_agpr, 0
	.set _ZN7rocprim17ROCPRIM_400000_NS6detail17trampoline_kernelINS0_14default_configENS1_36segmented_radix_sort_config_selectorIllEEZNS1_25segmented_radix_sort_implIS3_Lb0EPKlPlS8_S9_N2at6native12_GLOBAL__N_18offset_tEEE10hipError_tPvRmT1_PNSt15iterator_traitsISH_E10value_typeET2_T3_PNSI_ISN_E10value_typeET4_jRbjT5_ST_jjP12ihipStream_tbEUlT_E0_NS1_11comp_targetILNS1_3genE3ELNS1_11target_archE908ELNS1_3gpuE7ELNS1_3repE0EEENS1_60segmented_radix_sort_warp_sort_medium_config_static_selectorELNS0_4arch9wavefront6targetE0EEEvSH_.numbered_sgpr, 0
	.set _ZN7rocprim17ROCPRIM_400000_NS6detail17trampoline_kernelINS0_14default_configENS1_36segmented_radix_sort_config_selectorIllEEZNS1_25segmented_radix_sort_implIS3_Lb0EPKlPlS8_S9_N2at6native12_GLOBAL__N_18offset_tEEE10hipError_tPvRmT1_PNSt15iterator_traitsISH_E10value_typeET2_T3_PNSI_ISN_E10value_typeET4_jRbjT5_ST_jjP12ihipStream_tbEUlT_E0_NS1_11comp_targetILNS1_3genE3ELNS1_11target_archE908ELNS1_3gpuE7ELNS1_3repE0EEENS1_60segmented_radix_sort_warp_sort_medium_config_static_selectorELNS0_4arch9wavefront6targetE0EEEvSH_.num_named_barrier, 0
	.set _ZN7rocprim17ROCPRIM_400000_NS6detail17trampoline_kernelINS0_14default_configENS1_36segmented_radix_sort_config_selectorIllEEZNS1_25segmented_radix_sort_implIS3_Lb0EPKlPlS8_S9_N2at6native12_GLOBAL__N_18offset_tEEE10hipError_tPvRmT1_PNSt15iterator_traitsISH_E10value_typeET2_T3_PNSI_ISN_E10value_typeET4_jRbjT5_ST_jjP12ihipStream_tbEUlT_E0_NS1_11comp_targetILNS1_3genE3ELNS1_11target_archE908ELNS1_3gpuE7ELNS1_3repE0EEENS1_60segmented_radix_sort_warp_sort_medium_config_static_selectorELNS0_4arch9wavefront6targetE0EEEvSH_.private_seg_size, 0
	.set _ZN7rocprim17ROCPRIM_400000_NS6detail17trampoline_kernelINS0_14default_configENS1_36segmented_radix_sort_config_selectorIllEEZNS1_25segmented_radix_sort_implIS3_Lb0EPKlPlS8_S9_N2at6native12_GLOBAL__N_18offset_tEEE10hipError_tPvRmT1_PNSt15iterator_traitsISH_E10value_typeET2_T3_PNSI_ISN_E10value_typeET4_jRbjT5_ST_jjP12ihipStream_tbEUlT_E0_NS1_11comp_targetILNS1_3genE3ELNS1_11target_archE908ELNS1_3gpuE7ELNS1_3repE0EEENS1_60segmented_radix_sort_warp_sort_medium_config_static_selectorELNS0_4arch9wavefront6targetE0EEEvSH_.uses_vcc, 0
	.set _ZN7rocprim17ROCPRIM_400000_NS6detail17trampoline_kernelINS0_14default_configENS1_36segmented_radix_sort_config_selectorIllEEZNS1_25segmented_radix_sort_implIS3_Lb0EPKlPlS8_S9_N2at6native12_GLOBAL__N_18offset_tEEE10hipError_tPvRmT1_PNSt15iterator_traitsISH_E10value_typeET2_T3_PNSI_ISN_E10value_typeET4_jRbjT5_ST_jjP12ihipStream_tbEUlT_E0_NS1_11comp_targetILNS1_3genE3ELNS1_11target_archE908ELNS1_3gpuE7ELNS1_3repE0EEENS1_60segmented_radix_sort_warp_sort_medium_config_static_selectorELNS0_4arch9wavefront6targetE0EEEvSH_.uses_flat_scratch, 0
	.set _ZN7rocprim17ROCPRIM_400000_NS6detail17trampoline_kernelINS0_14default_configENS1_36segmented_radix_sort_config_selectorIllEEZNS1_25segmented_radix_sort_implIS3_Lb0EPKlPlS8_S9_N2at6native12_GLOBAL__N_18offset_tEEE10hipError_tPvRmT1_PNSt15iterator_traitsISH_E10value_typeET2_T3_PNSI_ISN_E10value_typeET4_jRbjT5_ST_jjP12ihipStream_tbEUlT_E0_NS1_11comp_targetILNS1_3genE3ELNS1_11target_archE908ELNS1_3gpuE7ELNS1_3repE0EEENS1_60segmented_radix_sort_warp_sort_medium_config_static_selectorELNS0_4arch9wavefront6targetE0EEEvSH_.has_dyn_sized_stack, 0
	.set _ZN7rocprim17ROCPRIM_400000_NS6detail17trampoline_kernelINS0_14default_configENS1_36segmented_radix_sort_config_selectorIllEEZNS1_25segmented_radix_sort_implIS3_Lb0EPKlPlS8_S9_N2at6native12_GLOBAL__N_18offset_tEEE10hipError_tPvRmT1_PNSt15iterator_traitsISH_E10value_typeET2_T3_PNSI_ISN_E10value_typeET4_jRbjT5_ST_jjP12ihipStream_tbEUlT_E0_NS1_11comp_targetILNS1_3genE3ELNS1_11target_archE908ELNS1_3gpuE7ELNS1_3repE0EEENS1_60segmented_radix_sort_warp_sort_medium_config_static_selectorELNS0_4arch9wavefront6targetE0EEEvSH_.has_recursion, 0
	.set _ZN7rocprim17ROCPRIM_400000_NS6detail17trampoline_kernelINS0_14default_configENS1_36segmented_radix_sort_config_selectorIllEEZNS1_25segmented_radix_sort_implIS3_Lb0EPKlPlS8_S9_N2at6native12_GLOBAL__N_18offset_tEEE10hipError_tPvRmT1_PNSt15iterator_traitsISH_E10value_typeET2_T3_PNSI_ISN_E10value_typeET4_jRbjT5_ST_jjP12ihipStream_tbEUlT_E0_NS1_11comp_targetILNS1_3genE3ELNS1_11target_archE908ELNS1_3gpuE7ELNS1_3repE0EEENS1_60segmented_radix_sort_warp_sort_medium_config_static_selectorELNS0_4arch9wavefront6targetE0EEEvSH_.has_indirect_call, 0
	.section	.AMDGPU.csdata,"",@progbits
; Kernel info:
; codeLenInByte = 0
; TotalNumSgprs: 0
; NumVgprs: 0
; ScratchSize: 0
; MemoryBound: 0
; FloatMode: 240
; IeeeMode: 1
; LDSByteSize: 0 bytes/workgroup (compile time only)
; SGPRBlocks: 0
; VGPRBlocks: 0
; NumSGPRsForWavesPerEU: 1
; NumVGPRsForWavesPerEU: 1
; NamedBarCnt: 0
; Occupancy: 16
; WaveLimiterHint : 0
; COMPUTE_PGM_RSRC2:SCRATCH_EN: 0
; COMPUTE_PGM_RSRC2:USER_SGPR: 2
; COMPUTE_PGM_RSRC2:TRAP_HANDLER: 0
; COMPUTE_PGM_RSRC2:TGID_X_EN: 1
; COMPUTE_PGM_RSRC2:TGID_Y_EN: 0
; COMPUTE_PGM_RSRC2:TGID_Z_EN: 0
; COMPUTE_PGM_RSRC2:TIDIG_COMP_CNT: 0
	.section	.text._ZN7rocprim17ROCPRIM_400000_NS6detail17trampoline_kernelINS0_14default_configENS1_36segmented_radix_sort_config_selectorIllEEZNS1_25segmented_radix_sort_implIS3_Lb0EPKlPlS8_S9_N2at6native12_GLOBAL__N_18offset_tEEE10hipError_tPvRmT1_PNSt15iterator_traitsISH_E10value_typeET2_T3_PNSI_ISN_E10value_typeET4_jRbjT5_ST_jjP12ihipStream_tbEUlT_E0_NS1_11comp_targetILNS1_3genE2ELNS1_11target_archE906ELNS1_3gpuE6ELNS1_3repE0EEENS1_60segmented_radix_sort_warp_sort_medium_config_static_selectorELNS0_4arch9wavefront6targetE0EEEvSH_,"axG",@progbits,_ZN7rocprim17ROCPRIM_400000_NS6detail17trampoline_kernelINS0_14default_configENS1_36segmented_radix_sort_config_selectorIllEEZNS1_25segmented_radix_sort_implIS3_Lb0EPKlPlS8_S9_N2at6native12_GLOBAL__N_18offset_tEEE10hipError_tPvRmT1_PNSt15iterator_traitsISH_E10value_typeET2_T3_PNSI_ISN_E10value_typeET4_jRbjT5_ST_jjP12ihipStream_tbEUlT_E0_NS1_11comp_targetILNS1_3genE2ELNS1_11target_archE906ELNS1_3gpuE6ELNS1_3repE0EEENS1_60segmented_radix_sort_warp_sort_medium_config_static_selectorELNS0_4arch9wavefront6targetE0EEEvSH_,comdat
	.globl	_ZN7rocprim17ROCPRIM_400000_NS6detail17trampoline_kernelINS0_14default_configENS1_36segmented_radix_sort_config_selectorIllEEZNS1_25segmented_radix_sort_implIS3_Lb0EPKlPlS8_S9_N2at6native12_GLOBAL__N_18offset_tEEE10hipError_tPvRmT1_PNSt15iterator_traitsISH_E10value_typeET2_T3_PNSI_ISN_E10value_typeET4_jRbjT5_ST_jjP12ihipStream_tbEUlT_E0_NS1_11comp_targetILNS1_3genE2ELNS1_11target_archE906ELNS1_3gpuE6ELNS1_3repE0EEENS1_60segmented_radix_sort_warp_sort_medium_config_static_selectorELNS0_4arch9wavefront6targetE0EEEvSH_ ; -- Begin function _ZN7rocprim17ROCPRIM_400000_NS6detail17trampoline_kernelINS0_14default_configENS1_36segmented_radix_sort_config_selectorIllEEZNS1_25segmented_radix_sort_implIS3_Lb0EPKlPlS8_S9_N2at6native12_GLOBAL__N_18offset_tEEE10hipError_tPvRmT1_PNSt15iterator_traitsISH_E10value_typeET2_T3_PNSI_ISN_E10value_typeET4_jRbjT5_ST_jjP12ihipStream_tbEUlT_E0_NS1_11comp_targetILNS1_3genE2ELNS1_11target_archE906ELNS1_3gpuE6ELNS1_3repE0EEENS1_60segmented_radix_sort_warp_sort_medium_config_static_selectorELNS0_4arch9wavefront6targetE0EEEvSH_
	.p2align	8
	.type	_ZN7rocprim17ROCPRIM_400000_NS6detail17trampoline_kernelINS0_14default_configENS1_36segmented_radix_sort_config_selectorIllEEZNS1_25segmented_radix_sort_implIS3_Lb0EPKlPlS8_S9_N2at6native12_GLOBAL__N_18offset_tEEE10hipError_tPvRmT1_PNSt15iterator_traitsISH_E10value_typeET2_T3_PNSI_ISN_E10value_typeET4_jRbjT5_ST_jjP12ihipStream_tbEUlT_E0_NS1_11comp_targetILNS1_3genE2ELNS1_11target_archE906ELNS1_3gpuE6ELNS1_3repE0EEENS1_60segmented_radix_sort_warp_sort_medium_config_static_selectorELNS0_4arch9wavefront6targetE0EEEvSH_,@function
_ZN7rocprim17ROCPRIM_400000_NS6detail17trampoline_kernelINS0_14default_configENS1_36segmented_radix_sort_config_selectorIllEEZNS1_25segmented_radix_sort_implIS3_Lb0EPKlPlS8_S9_N2at6native12_GLOBAL__N_18offset_tEEE10hipError_tPvRmT1_PNSt15iterator_traitsISH_E10value_typeET2_T3_PNSI_ISN_E10value_typeET4_jRbjT5_ST_jjP12ihipStream_tbEUlT_E0_NS1_11comp_targetILNS1_3genE2ELNS1_11target_archE906ELNS1_3gpuE6ELNS1_3repE0EEENS1_60segmented_radix_sort_warp_sort_medium_config_static_selectorELNS0_4arch9wavefront6targetE0EEEvSH_: ; @_ZN7rocprim17ROCPRIM_400000_NS6detail17trampoline_kernelINS0_14default_configENS1_36segmented_radix_sort_config_selectorIllEEZNS1_25segmented_radix_sort_implIS3_Lb0EPKlPlS8_S9_N2at6native12_GLOBAL__N_18offset_tEEE10hipError_tPvRmT1_PNSt15iterator_traitsISH_E10value_typeET2_T3_PNSI_ISN_E10value_typeET4_jRbjT5_ST_jjP12ihipStream_tbEUlT_E0_NS1_11comp_targetILNS1_3genE2ELNS1_11target_archE906ELNS1_3gpuE6ELNS1_3repE0EEENS1_60segmented_radix_sort_warp_sort_medium_config_static_selectorELNS0_4arch9wavefront6targetE0EEEvSH_
; %bb.0:
	.section	.rodata,"a",@progbits
	.p2align	6, 0x0
	.amdhsa_kernel _ZN7rocprim17ROCPRIM_400000_NS6detail17trampoline_kernelINS0_14default_configENS1_36segmented_radix_sort_config_selectorIllEEZNS1_25segmented_radix_sort_implIS3_Lb0EPKlPlS8_S9_N2at6native12_GLOBAL__N_18offset_tEEE10hipError_tPvRmT1_PNSt15iterator_traitsISH_E10value_typeET2_T3_PNSI_ISN_E10value_typeET4_jRbjT5_ST_jjP12ihipStream_tbEUlT_E0_NS1_11comp_targetILNS1_3genE2ELNS1_11target_archE906ELNS1_3gpuE6ELNS1_3repE0EEENS1_60segmented_radix_sort_warp_sort_medium_config_static_selectorELNS0_4arch9wavefront6targetE0EEEvSH_
		.amdhsa_group_segment_fixed_size 0
		.amdhsa_private_segment_fixed_size 0
		.amdhsa_kernarg_size 88
		.amdhsa_user_sgpr_count 2
		.amdhsa_user_sgpr_dispatch_ptr 0
		.amdhsa_user_sgpr_queue_ptr 0
		.amdhsa_user_sgpr_kernarg_segment_ptr 1
		.amdhsa_user_sgpr_dispatch_id 0
		.amdhsa_user_sgpr_kernarg_preload_length 0
		.amdhsa_user_sgpr_kernarg_preload_offset 0
		.amdhsa_user_sgpr_private_segment_size 0
		.amdhsa_wavefront_size32 1
		.amdhsa_uses_dynamic_stack 0
		.amdhsa_enable_private_segment 0
		.amdhsa_system_sgpr_workgroup_id_x 1
		.amdhsa_system_sgpr_workgroup_id_y 0
		.amdhsa_system_sgpr_workgroup_id_z 0
		.amdhsa_system_sgpr_workgroup_info 0
		.amdhsa_system_vgpr_workitem_id 0
		.amdhsa_next_free_vgpr 1
		.amdhsa_next_free_sgpr 1
		.amdhsa_named_barrier_count 0
		.amdhsa_reserve_vcc 0
		.amdhsa_float_round_mode_32 0
		.amdhsa_float_round_mode_16_64 0
		.amdhsa_float_denorm_mode_32 3
		.amdhsa_float_denorm_mode_16_64 3
		.amdhsa_fp16_overflow 0
		.amdhsa_memory_ordered 1
		.amdhsa_forward_progress 1
		.amdhsa_inst_pref_size 0
		.amdhsa_round_robin_scheduling 0
		.amdhsa_exception_fp_ieee_invalid_op 0
		.amdhsa_exception_fp_denorm_src 0
		.amdhsa_exception_fp_ieee_div_zero 0
		.amdhsa_exception_fp_ieee_overflow 0
		.amdhsa_exception_fp_ieee_underflow 0
		.amdhsa_exception_fp_ieee_inexact 0
		.amdhsa_exception_int_div_zero 0
	.end_amdhsa_kernel
	.section	.text._ZN7rocprim17ROCPRIM_400000_NS6detail17trampoline_kernelINS0_14default_configENS1_36segmented_radix_sort_config_selectorIllEEZNS1_25segmented_radix_sort_implIS3_Lb0EPKlPlS8_S9_N2at6native12_GLOBAL__N_18offset_tEEE10hipError_tPvRmT1_PNSt15iterator_traitsISH_E10value_typeET2_T3_PNSI_ISN_E10value_typeET4_jRbjT5_ST_jjP12ihipStream_tbEUlT_E0_NS1_11comp_targetILNS1_3genE2ELNS1_11target_archE906ELNS1_3gpuE6ELNS1_3repE0EEENS1_60segmented_radix_sort_warp_sort_medium_config_static_selectorELNS0_4arch9wavefront6targetE0EEEvSH_,"axG",@progbits,_ZN7rocprim17ROCPRIM_400000_NS6detail17trampoline_kernelINS0_14default_configENS1_36segmented_radix_sort_config_selectorIllEEZNS1_25segmented_radix_sort_implIS3_Lb0EPKlPlS8_S9_N2at6native12_GLOBAL__N_18offset_tEEE10hipError_tPvRmT1_PNSt15iterator_traitsISH_E10value_typeET2_T3_PNSI_ISN_E10value_typeET4_jRbjT5_ST_jjP12ihipStream_tbEUlT_E0_NS1_11comp_targetILNS1_3genE2ELNS1_11target_archE906ELNS1_3gpuE6ELNS1_3repE0EEENS1_60segmented_radix_sort_warp_sort_medium_config_static_selectorELNS0_4arch9wavefront6targetE0EEEvSH_,comdat
.Lfunc_end818:
	.size	_ZN7rocprim17ROCPRIM_400000_NS6detail17trampoline_kernelINS0_14default_configENS1_36segmented_radix_sort_config_selectorIllEEZNS1_25segmented_radix_sort_implIS3_Lb0EPKlPlS8_S9_N2at6native12_GLOBAL__N_18offset_tEEE10hipError_tPvRmT1_PNSt15iterator_traitsISH_E10value_typeET2_T3_PNSI_ISN_E10value_typeET4_jRbjT5_ST_jjP12ihipStream_tbEUlT_E0_NS1_11comp_targetILNS1_3genE2ELNS1_11target_archE906ELNS1_3gpuE6ELNS1_3repE0EEENS1_60segmented_radix_sort_warp_sort_medium_config_static_selectorELNS0_4arch9wavefront6targetE0EEEvSH_, .Lfunc_end818-_ZN7rocprim17ROCPRIM_400000_NS6detail17trampoline_kernelINS0_14default_configENS1_36segmented_radix_sort_config_selectorIllEEZNS1_25segmented_radix_sort_implIS3_Lb0EPKlPlS8_S9_N2at6native12_GLOBAL__N_18offset_tEEE10hipError_tPvRmT1_PNSt15iterator_traitsISH_E10value_typeET2_T3_PNSI_ISN_E10value_typeET4_jRbjT5_ST_jjP12ihipStream_tbEUlT_E0_NS1_11comp_targetILNS1_3genE2ELNS1_11target_archE906ELNS1_3gpuE6ELNS1_3repE0EEENS1_60segmented_radix_sort_warp_sort_medium_config_static_selectorELNS0_4arch9wavefront6targetE0EEEvSH_
                                        ; -- End function
	.set _ZN7rocprim17ROCPRIM_400000_NS6detail17trampoline_kernelINS0_14default_configENS1_36segmented_radix_sort_config_selectorIllEEZNS1_25segmented_radix_sort_implIS3_Lb0EPKlPlS8_S9_N2at6native12_GLOBAL__N_18offset_tEEE10hipError_tPvRmT1_PNSt15iterator_traitsISH_E10value_typeET2_T3_PNSI_ISN_E10value_typeET4_jRbjT5_ST_jjP12ihipStream_tbEUlT_E0_NS1_11comp_targetILNS1_3genE2ELNS1_11target_archE906ELNS1_3gpuE6ELNS1_3repE0EEENS1_60segmented_radix_sort_warp_sort_medium_config_static_selectorELNS0_4arch9wavefront6targetE0EEEvSH_.num_vgpr, 0
	.set _ZN7rocprim17ROCPRIM_400000_NS6detail17trampoline_kernelINS0_14default_configENS1_36segmented_radix_sort_config_selectorIllEEZNS1_25segmented_radix_sort_implIS3_Lb0EPKlPlS8_S9_N2at6native12_GLOBAL__N_18offset_tEEE10hipError_tPvRmT1_PNSt15iterator_traitsISH_E10value_typeET2_T3_PNSI_ISN_E10value_typeET4_jRbjT5_ST_jjP12ihipStream_tbEUlT_E0_NS1_11comp_targetILNS1_3genE2ELNS1_11target_archE906ELNS1_3gpuE6ELNS1_3repE0EEENS1_60segmented_radix_sort_warp_sort_medium_config_static_selectorELNS0_4arch9wavefront6targetE0EEEvSH_.num_agpr, 0
	.set _ZN7rocprim17ROCPRIM_400000_NS6detail17trampoline_kernelINS0_14default_configENS1_36segmented_radix_sort_config_selectorIllEEZNS1_25segmented_radix_sort_implIS3_Lb0EPKlPlS8_S9_N2at6native12_GLOBAL__N_18offset_tEEE10hipError_tPvRmT1_PNSt15iterator_traitsISH_E10value_typeET2_T3_PNSI_ISN_E10value_typeET4_jRbjT5_ST_jjP12ihipStream_tbEUlT_E0_NS1_11comp_targetILNS1_3genE2ELNS1_11target_archE906ELNS1_3gpuE6ELNS1_3repE0EEENS1_60segmented_radix_sort_warp_sort_medium_config_static_selectorELNS0_4arch9wavefront6targetE0EEEvSH_.numbered_sgpr, 0
	.set _ZN7rocprim17ROCPRIM_400000_NS6detail17trampoline_kernelINS0_14default_configENS1_36segmented_radix_sort_config_selectorIllEEZNS1_25segmented_radix_sort_implIS3_Lb0EPKlPlS8_S9_N2at6native12_GLOBAL__N_18offset_tEEE10hipError_tPvRmT1_PNSt15iterator_traitsISH_E10value_typeET2_T3_PNSI_ISN_E10value_typeET4_jRbjT5_ST_jjP12ihipStream_tbEUlT_E0_NS1_11comp_targetILNS1_3genE2ELNS1_11target_archE906ELNS1_3gpuE6ELNS1_3repE0EEENS1_60segmented_radix_sort_warp_sort_medium_config_static_selectorELNS0_4arch9wavefront6targetE0EEEvSH_.num_named_barrier, 0
	.set _ZN7rocprim17ROCPRIM_400000_NS6detail17trampoline_kernelINS0_14default_configENS1_36segmented_radix_sort_config_selectorIllEEZNS1_25segmented_radix_sort_implIS3_Lb0EPKlPlS8_S9_N2at6native12_GLOBAL__N_18offset_tEEE10hipError_tPvRmT1_PNSt15iterator_traitsISH_E10value_typeET2_T3_PNSI_ISN_E10value_typeET4_jRbjT5_ST_jjP12ihipStream_tbEUlT_E0_NS1_11comp_targetILNS1_3genE2ELNS1_11target_archE906ELNS1_3gpuE6ELNS1_3repE0EEENS1_60segmented_radix_sort_warp_sort_medium_config_static_selectorELNS0_4arch9wavefront6targetE0EEEvSH_.private_seg_size, 0
	.set _ZN7rocprim17ROCPRIM_400000_NS6detail17trampoline_kernelINS0_14default_configENS1_36segmented_radix_sort_config_selectorIllEEZNS1_25segmented_radix_sort_implIS3_Lb0EPKlPlS8_S9_N2at6native12_GLOBAL__N_18offset_tEEE10hipError_tPvRmT1_PNSt15iterator_traitsISH_E10value_typeET2_T3_PNSI_ISN_E10value_typeET4_jRbjT5_ST_jjP12ihipStream_tbEUlT_E0_NS1_11comp_targetILNS1_3genE2ELNS1_11target_archE906ELNS1_3gpuE6ELNS1_3repE0EEENS1_60segmented_radix_sort_warp_sort_medium_config_static_selectorELNS0_4arch9wavefront6targetE0EEEvSH_.uses_vcc, 0
	.set _ZN7rocprim17ROCPRIM_400000_NS6detail17trampoline_kernelINS0_14default_configENS1_36segmented_radix_sort_config_selectorIllEEZNS1_25segmented_radix_sort_implIS3_Lb0EPKlPlS8_S9_N2at6native12_GLOBAL__N_18offset_tEEE10hipError_tPvRmT1_PNSt15iterator_traitsISH_E10value_typeET2_T3_PNSI_ISN_E10value_typeET4_jRbjT5_ST_jjP12ihipStream_tbEUlT_E0_NS1_11comp_targetILNS1_3genE2ELNS1_11target_archE906ELNS1_3gpuE6ELNS1_3repE0EEENS1_60segmented_radix_sort_warp_sort_medium_config_static_selectorELNS0_4arch9wavefront6targetE0EEEvSH_.uses_flat_scratch, 0
	.set _ZN7rocprim17ROCPRIM_400000_NS6detail17trampoline_kernelINS0_14default_configENS1_36segmented_radix_sort_config_selectorIllEEZNS1_25segmented_radix_sort_implIS3_Lb0EPKlPlS8_S9_N2at6native12_GLOBAL__N_18offset_tEEE10hipError_tPvRmT1_PNSt15iterator_traitsISH_E10value_typeET2_T3_PNSI_ISN_E10value_typeET4_jRbjT5_ST_jjP12ihipStream_tbEUlT_E0_NS1_11comp_targetILNS1_3genE2ELNS1_11target_archE906ELNS1_3gpuE6ELNS1_3repE0EEENS1_60segmented_radix_sort_warp_sort_medium_config_static_selectorELNS0_4arch9wavefront6targetE0EEEvSH_.has_dyn_sized_stack, 0
	.set _ZN7rocprim17ROCPRIM_400000_NS6detail17trampoline_kernelINS0_14default_configENS1_36segmented_radix_sort_config_selectorIllEEZNS1_25segmented_radix_sort_implIS3_Lb0EPKlPlS8_S9_N2at6native12_GLOBAL__N_18offset_tEEE10hipError_tPvRmT1_PNSt15iterator_traitsISH_E10value_typeET2_T3_PNSI_ISN_E10value_typeET4_jRbjT5_ST_jjP12ihipStream_tbEUlT_E0_NS1_11comp_targetILNS1_3genE2ELNS1_11target_archE906ELNS1_3gpuE6ELNS1_3repE0EEENS1_60segmented_radix_sort_warp_sort_medium_config_static_selectorELNS0_4arch9wavefront6targetE0EEEvSH_.has_recursion, 0
	.set _ZN7rocprim17ROCPRIM_400000_NS6detail17trampoline_kernelINS0_14default_configENS1_36segmented_radix_sort_config_selectorIllEEZNS1_25segmented_radix_sort_implIS3_Lb0EPKlPlS8_S9_N2at6native12_GLOBAL__N_18offset_tEEE10hipError_tPvRmT1_PNSt15iterator_traitsISH_E10value_typeET2_T3_PNSI_ISN_E10value_typeET4_jRbjT5_ST_jjP12ihipStream_tbEUlT_E0_NS1_11comp_targetILNS1_3genE2ELNS1_11target_archE906ELNS1_3gpuE6ELNS1_3repE0EEENS1_60segmented_radix_sort_warp_sort_medium_config_static_selectorELNS0_4arch9wavefront6targetE0EEEvSH_.has_indirect_call, 0
	.section	.AMDGPU.csdata,"",@progbits
; Kernel info:
; codeLenInByte = 0
; TotalNumSgprs: 0
; NumVgprs: 0
; ScratchSize: 0
; MemoryBound: 0
; FloatMode: 240
; IeeeMode: 1
; LDSByteSize: 0 bytes/workgroup (compile time only)
; SGPRBlocks: 0
; VGPRBlocks: 0
; NumSGPRsForWavesPerEU: 1
; NumVGPRsForWavesPerEU: 1
; NamedBarCnt: 0
; Occupancy: 16
; WaveLimiterHint : 0
; COMPUTE_PGM_RSRC2:SCRATCH_EN: 0
; COMPUTE_PGM_RSRC2:USER_SGPR: 2
; COMPUTE_PGM_RSRC2:TRAP_HANDLER: 0
; COMPUTE_PGM_RSRC2:TGID_X_EN: 1
; COMPUTE_PGM_RSRC2:TGID_Y_EN: 0
; COMPUTE_PGM_RSRC2:TGID_Z_EN: 0
; COMPUTE_PGM_RSRC2:TIDIG_COMP_CNT: 0
	.section	.text._ZN7rocprim17ROCPRIM_400000_NS6detail17trampoline_kernelINS0_14default_configENS1_36segmented_radix_sort_config_selectorIllEEZNS1_25segmented_radix_sort_implIS3_Lb0EPKlPlS8_S9_N2at6native12_GLOBAL__N_18offset_tEEE10hipError_tPvRmT1_PNSt15iterator_traitsISH_E10value_typeET2_T3_PNSI_ISN_E10value_typeET4_jRbjT5_ST_jjP12ihipStream_tbEUlT_E0_NS1_11comp_targetILNS1_3genE10ELNS1_11target_archE1201ELNS1_3gpuE5ELNS1_3repE0EEENS1_60segmented_radix_sort_warp_sort_medium_config_static_selectorELNS0_4arch9wavefront6targetE0EEEvSH_,"axG",@progbits,_ZN7rocprim17ROCPRIM_400000_NS6detail17trampoline_kernelINS0_14default_configENS1_36segmented_radix_sort_config_selectorIllEEZNS1_25segmented_radix_sort_implIS3_Lb0EPKlPlS8_S9_N2at6native12_GLOBAL__N_18offset_tEEE10hipError_tPvRmT1_PNSt15iterator_traitsISH_E10value_typeET2_T3_PNSI_ISN_E10value_typeET4_jRbjT5_ST_jjP12ihipStream_tbEUlT_E0_NS1_11comp_targetILNS1_3genE10ELNS1_11target_archE1201ELNS1_3gpuE5ELNS1_3repE0EEENS1_60segmented_radix_sort_warp_sort_medium_config_static_selectorELNS0_4arch9wavefront6targetE0EEEvSH_,comdat
	.globl	_ZN7rocprim17ROCPRIM_400000_NS6detail17trampoline_kernelINS0_14default_configENS1_36segmented_radix_sort_config_selectorIllEEZNS1_25segmented_radix_sort_implIS3_Lb0EPKlPlS8_S9_N2at6native12_GLOBAL__N_18offset_tEEE10hipError_tPvRmT1_PNSt15iterator_traitsISH_E10value_typeET2_T3_PNSI_ISN_E10value_typeET4_jRbjT5_ST_jjP12ihipStream_tbEUlT_E0_NS1_11comp_targetILNS1_3genE10ELNS1_11target_archE1201ELNS1_3gpuE5ELNS1_3repE0EEENS1_60segmented_radix_sort_warp_sort_medium_config_static_selectorELNS0_4arch9wavefront6targetE0EEEvSH_ ; -- Begin function _ZN7rocprim17ROCPRIM_400000_NS6detail17trampoline_kernelINS0_14default_configENS1_36segmented_radix_sort_config_selectorIllEEZNS1_25segmented_radix_sort_implIS3_Lb0EPKlPlS8_S9_N2at6native12_GLOBAL__N_18offset_tEEE10hipError_tPvRmT1_PNSt15iterator_traitsISH_E10value_typeET2_T3_PNSI_ISN_E10value_typeET4_jRbjT5_ST_jjP12ihipStream_tbEUlT_E0_NS1_11comp_targetILNS1_3genE10ELNS1_11target_archE1201ELNS1_3gpuE5ELNS1_3repE0EEENS1_60segmented_radix_sort_warp_sort_medium_config_static_selectorELNS0_4arch9wavefront6targetE0EEEvSH_
	.p2align	8
	.type	_ZN7rocprim17ROCPRIM_400000_NS6detail17trampoline_kernelINS0_14default_configENS1_36segmented_radix_sort_config_selectorIllEEZNS1_25segmented_radix_sort_implIS3_Lb0EPKlPlS8_S9_N2at6native12_GLOBAL__N_18offset_tEEE10hipError_tPvRmT1_PNSt15iterator_traitsISH_E10value_typeET2_T3_PNSI_ISN_E10value_typeET4_jRbjT5_ST_jjP12ihipStream_tbEUlT_E0_NS1_11comp_targetILNS1_3genE10ELNS1_11target_archE1201ELNS1_3gpuE5ELNS1_3repE0EEENS1_60segmented_radix_sort_warp_sort_medium_config_static_selectorELNS0_4arch9wavefront6targetE0EEEvSH_,@function
_ZN7rocprim17ROCPRIM_400000_NS6detail17trampoline_kernelINS0_14default_configENS1_36segmented_radix_sort_config_selectorIllEEZNS1_25segmented_radix_sort_implIS3_Lb0EPKlPlS8_S9_N2at6native12_GLOBAL__N_18offset_tEEE10hipError_tPvRmT1_PNSt15iterator_traitsISH_E10value_typeET2_T3_PNSI_ISN_E10value_typeET4_jRbjT5_ST_jjP12ihipStream_tbEUlT_E0_NS1_11comp_targetILNS1_3genE10ELNS1_11target_archE1201ELNS1_3gpuE5ELNS1_3repE0EEENS1_60segmented_radix_sort_warp_sort_medium_config_static_selectorELNS0_4arch9wavefront6targetE0EEEvSH_: ; @_ZN7rocprim17ROCPRIM_400000_NS6detail17trampoline_kernelINS0_14default_configENS1_36segmented_radix_sort_config_selectorIllEEZNS1_25segmented_radix_sort_implIS3_Lb0EPKlPlS8_S9_N2at6native12_GLOBAL__N_18offset_tEEE10hipError_tPvRmT1_PNSt15iterator_traitsISH_E10value_typeET2_T3_PNSI_ISN_E10value_typeET4_jRbjT5_ST_jjP12ihipStream_tbEUlT_E0_NS1_11comp_targetILNS1_3genE10ELNS1_11target_archE1201ELNS1_3gpuE5ELNS1_3repE0EEENS1_60segmented_radix_sort_warp_sort_medium_config_static_selectorELNS0_4arch9wavefront6targetE0EEEvSH_
; %bb.0:
	.section	.rodata,"a",@progbits
	.p2align	6, 0x0
	.amdhsa_kernel _ZN7rocprim17ROCPRIM_400000_NS6detail17trampoline_kernelINS0_14default_configENS1_36segmented_radix_sort_config_selectorIllEEZNS1_25segmented_radix_sort_implIS3_Lb0EPKlPlS8_S9_N2at6native12_GLOBAL__N_18offset_tEEE10hipError_tPvRmT1_PNSt15iterator_traitsISH_E10value_typeET2_T3_PNSI_ISN_E10value_typeET4_jRbjT5_ST_jjP12ihipStream_tbEUlT_E0_NS1_11comp_targetILNS1_3genE10ELNS1_11target_archE1201ELNS1_3gpuE5ELNS1_3repE0EEENS1_60segmented_radix_sort_warp_sort_medium_config_static_selectorELNS0_4arch9wavefront6targetE0EEEvSH_
		.amdhsa_group_segment_fixed_size 0
		.amdhsa_private_segment_fixed_size 0
		.amdhsa_kernarg_size 88
		.amdhsa_user_sgpr_count 2
		.amdhsa_user_sgpr_dispatch_ptr 0
		.amdhsa_user_sgpr_queue_ptr 0
		.amdhsa_user_sgpr_kernarg_segment_ptr 1
		.amdhsa_user_sgpr_dispatch_id 0
		.amdhsa_user_sgpr_kernarg_preload_length 0
		.amdhsa_user_sgpr_kernarg_preload_offset 0
		.amdhsa_user_sgpr_private_segment_size 0
		.amdhsa_wavefront_size32 1
		.amdhsa_uses_dynamic_stack 0
		.amdhsa_enable_private_segment 0
		.amdhsa_system_sgpr_workgroup_id_x 1
		.amdhsa_system_sgpr_workgroup_id_y 0
		.amdhsa_system_sgpr_workgroup_id_z 0
		.amdhsa_system_sgpr_workgroup_info 0
		.amdhsa_system_vgpr_workitem_id 0
		.amdhsa_next_free_vgpr 1
		.amdhsa_next_free_sgpr 1
		.amdhsa_named_barrier_count 0
		.amdhsa_reserve_vcc 0
		.amdhsa_float_round_mode_32 0
		.amdhsa_float_round_mode_16_64 0
		.amdhsa_float_denorm_mode_32 3
		.amdhsa_float_denorm_mode_16_64 3
		.amdhsa_fp16_overflow 0
		.amdhsa_memory_ordered 1
		.amdhsa_forward_progress 1
		.amdhsa_inst_pref_size 0
		.amdhsa_round_robin_scheduling 0
		.amdhsa_exception_fp_ieee_invalid_op 0
		.amdhsa_exception_fp_denorm_src 0
		.amdhsa_exception_fp_ieee_div_zero 0
		.amdhsa_exception_fp_ieee_overflow 0
		.amdhsa_exception_fp_ieee_underflow 0
		.amdhsa_exception_fp_ieee_inexact 0
		.amdhsa_exception_int_div_zero 0
	.end_amdhsa_kernel
	.section	.text._ZN7rocprim17ROCPRIM_400000_NS6detail17trampoline_kernelINS0_14default_configENS1_36segmented_radix_sort_config_selectorIllEEZNS1_25segmented_radix_sort_implIS3_Lb0EPKlPlS8_S9_N2at6native12_GLOBAL__N_18offset_tEEE10hipError_tPvRmT1_PNSt15iterator_traitsISH_E10value_typeET2_T3_PNSI_ISN_E10value_typeET4_jRbjT5_ST_jjP12ihipStream_tbEUlT_E0_NS1_11comp_targetILNS1_3genE10ELNS1_11target_archE1201ELNS1_3gpuE5ELNS1_3repE0EEENS1_60segmented_radix_sort_warp_sort_medium_config_static_selectorELNS0_4arch9wavefront6targetE0EEEvSH_,"axG",@progbits,_ZN7rocprim17ROCPRIM_400000_NS6detail17trampoline_kernelINS0_14default_configENS1_36segmented_radix_sort_config_selectorIllEEZNS1_25segmented_radix_sort_implIS3_Lb0EPKlPlS8_S9_N2at6native12_GLOBAL__N_18offset_tEEE10hipError_tPvRmT1_PNSt15iterator_traitsISH_E10value_typeET2_T3_PNSI_ISN_E10value_typeET4_jRbjT5_ST_jjP12ihipStream_tbEUlT_E0_NS1_11comp_targetILNS1_3genE10ELNS1_11target_archE1201ELNS1_3gpuE5ELNS1_3repE0EEENS1_60segmented_radix_sort_warp_sort_medium_config_static_selectorELNS0_4arch9wavefront6targetE0EEEvSH_,comdat
.Lfunc_end819:
	.size	_ZN7rocprim17ROCPRIM_400000_NS6detail17trampoline_kernelINS0_14default_configENS1_36segmented_radix_sort_config_selectorIllEEZNS1_25segmented_radix_sort_implIS3_Lb0EPKlPlS8_S9_N2at6native12_GLOBAL__N_18offset_tEEE10hipError_tPvRmT1_PNSt15iterator_traitsISH_E10value_typeET2_T3_PNSI_ISN_E10value_typeET4_jRbjT5_ST_jjP12ihipStream_tbEUlT_E0_NS1_11comp_targetILNS1_3genE10ELNS1_11target_archE1201ELNS1_3gpuE5ELNS1_3repE0EEENS1_60segmented_radix_sort_warp_sort_medium_config_static_selectorELNS0_4arch9wavefront6targetE0EEEvSH_, .Lfunc_end819-_ZN7rocprim17ROCPRIM_400000_NS6detail17trampoline_kernelINS0_14default_configENS1_36segmented_radix_sort_config_selectorIllEEZNS1_25segmented_radix_sort_implIS3_Lb0EPKlPlS8_S9_N2at6native12_GLOBAL__N_18offset_tEEE10hipError_tPvRmT1_PNSt15iterator_traitsISH_E10value_typeET2_T3_PNSI_ISN_E10value_typeET4_jRbjT5_ST_jjP12ihipStream_tbEUlT_E0_NS1_11comp_targetILNS1_3genE10ELNS1_11target_archE1201ELNS1_3gpuE5ELNS1_3repE0EEENS1_60segmented_radix_sort_warp_sort_medium_config_static_selectorELNS0_4arch9wavefront6targetE0EEEvSH_
                                        ; -- End function
	.set _ZN7rocprim17ROCPRIM_400000_NS6detail17trampoline_kernelINS0_14default_configENS1_36segmented_radix_sort_config_selectorIllEEZNS1_25segmented_radix_sort_implIS3_Lb0EPKlPlS8_S9_N2at6native12_GLOBAL__N_18offset_tEEE10hipError_tPvRmT1_PNSt15iterator_traitsISH_E10value_typeET2_T3_PNSI_ISN_E10value_typeET4_jRbjT5_ST_jjP12ihipStream_tbEUlT_E0_NS1_11comp_targetILNS1_3genE10ELNS1_11target_archE1201ELNS1_3gpuE5ELNS1_3repE0EEENS1_60segmented_radix_sort_warp_sort_medium_config_static_selectorELNS0_4arch9wavefront6targetE0EEEvSH_.num_vgpr, 0
	.set _ZN7rocprim17ROCPRIM_400000_NS6detail17trampoline_kernelINS0_14default_configENS1_36segmented_radix_sort_config_selectorIllEEZNS1_25segmented_radix_sort_implIS3_Lb0EPKlPlS8_S9_N2at6native12_GLOBAL__N_18offset_tEEE10hipError_tPvRmT1_PNSt15iterator_traitsISH_E10value_typeET2_T3_PNSI_ISN_E10value_typeET4_jRbjT5_ST_jjP12ihipStream_tbEUlT_E0_NS1_11comp_targetILNS1_3genE10ELNS1_11target_archE1201ELNS1_3gpuE5ELNS1_3repE0EEENS1_60segmented_radix_sort_warp_sort_medium_config_static_selectorELNS0_4arch9wavefront6targetE0EEEvSH_.num_agpr, 0
	.set _ZN7rocprim17ROCPRIM_400000_NS6detail17trampoline_kernelINS0_14default_configENS1_36segmented_radix_sort_config_selectorIllEEZNS1_25segmented_radix_sort_implIS3_Lb0EPKlPlS8_S9_N2at6native12_GLOBAL__N_18offset_tEEE10hipError_tPvRmT1_PNSt15iterator_traitsISH_E10value_typeET2_T3_PNSI_ISN_E10value_typeET4_jRbjT5_ST_jjP12ihipStream_tbEUlT_E0_NS1_11comp_targetILNS1_3genE10ELNS1_11target_archE1201ELNS1_3gpuE5ELNS1_3repE0EEENS1_60segmented_radix_sort_warp_sort_medium_config_static_selectorELNS0_4arch9wavefront6targetE0EEEvSH_.numbered_sgpr, 0
	.set _ZN7rocprim17ROCPRIM_400000_NS6detail17trampoline_kernelINS0_14default_configENS1_36segmented_radix_sort_config_selectorIllEEZNS1_25segmented_radix_sort_implIS3_Lb0EPKlPlS8_S9_N2at6native12_GLOBAL__N_18offset_tEEE10hipError_tPvRmT1_PNSt15iterator_traitsISH_E10value_typeET2_T3_PNSI_ISN_E10value_typeET4_jRbjT5_ST_jjP12ihipStream_tbEUlT_E0_NS1_11comp_targetILNS1_3genE10ELNS1_11target_archE1201ELNS1_3gpuE5ELNS1_3repE0EEENS1_60segmented_radix_sort_warp_sort_medium_config_static_selectorELNS0_4arch9wavefront6targetE0EEEvSH_.num_named_barrier, 0
	.set _ZN7rocprim17ROCPRIM_400000_NS6detail17trampoline_kernelINS0_14default_configENS1_36segmented_radix_sort_config_selectorIllEEZNS1_25segmented_radix_sort_implIS3_Lb0EPKlPlS8_S9_N2at6native12_GLOBAL__N_18offset_tEEE10hipError_tPvRmT1_PNSt15iterator_traitsISH_E10value_typeET2_T3_PNSI_ISN_E10value_typeET4_jRbjT5_ST_jjP12ihipStream_tbEUlT_E0_NS1_11comp_targetILNS1_3genE10ELNS1_11target_archE1201ELNS1_3gpuE5ELNS1_3repE0EEENS1_60segmented_radix_sort_warp_sort_medium_config_static_selectorELNS0_4arch9wavefront6targetE0EEEvSH_.private_seg_size, 0
	.set _ZN7rocprim17ROCPRIM_400000_NS6detail17trampoline_kernelINS0_14default_configENS1_36segmented_radix_sort_config_selectorIllEEZNS1_25segmented_radix_sort_implIS3_Lb0EPKlPlS8_S9_N2at6native12_GLOBAL__N_18offset_tEEE10hipError_tPvRmT1_PNSt15iterator_traitsISH_E10value_typeET2_T3_PNSI_ISN_E10value_typeET4_jRbjT5_ST_jjP12ihipStream_tbEUlT_E0_NS1_11comp_targetILNS1_3genE10ELNS1_11target_archE1201ELNS1_3gpuE5ELNS1_3repE0EEENS1_60segmented_radix_sort_warp_sort_medium_config_static_selectorELNS0_4arch9wavefront6targetE0EEEvSH_.uses_vcc, 0
	.set _ZN7rocprim17ROCPRIM_400000_NS6detail17trampoline_kernelINS0_14default_configENS1_36segmented_radix_sort_config_selectorIllEEZNS1_25segmented_radix_sort_implIS3_Lb0EPKlPlS8_S9_N2at6native12_GLOBAL__N_18offset_tEEE10hipError_tPvRmT1_PNSt15iterator_traitsISH_E10value_typeET2_T3_PNSI_ISN_E10value_typeET4_jRbjT5_ST_jjP12ihipStream_tbEUlT_E0_NS1_11comp_targetILNS1_3genE10ELNS1_11target_archE1201ELNS1_3gpuE5ELNS1_3repE0EEENS1_60segmented_radix_sort_warp_sort_medium_config_static_selectorELNS0_4arch9wavefront6targetE0EEEvSH_.uses_flat_scratch, 0
	.set _ZN7rocprim17ROCPRIM_400000_NS6detail17trampoline_kernelINS0_14default_configENS1_36segmented_radix_sort_config_selectorIllEEZNS1_25segmented_radix_sort_implIS3_Lb0EPKlPlS8_S9_N2at6native12_GLOBAL__N_18offset_tEEE10hipError_tPvRmT1_PNSt15iterator_traitsISH_E10value_typeET2_T3_PNSI_ISN_E10value_typeET4_jRbjT5_ST_jjP12ihipStream_tbEUlT_E0_NS1_11comp_targetILNS1_3genE10ELNS1_11target_archE1201ELNS1_3gpuE5ELNS1_3repE0EEENS1_60segmented_radix_sort_warp_sort_medium_config_static_selectorELNS0_4arch9wavefront6targetE0EEEvSH_.has_dyn_sized_stack, 0
	.set _ZN7rocprim17ROCPRIM_400000_NS6detail17trampoline_kernelINS0_14default_configENS1_36segmented_radix_sort_config_selectorIllEEZNS1_25segmented_radix_sort_implIS3_Lb0EPKlPlS8_S9_N2at6native12_GLOBAL__N_18offset_tEEE10hipError_tPvRmT1_PNSt15iterator_traitsISH_E10value_typeET2_T3_PNSI_ISN_E10value_typeET4_jRbjT5_ST_jjP12ihipStream_tbEUlT_E0_NS1_11comp_targetILNS1_3genE10ELNS1_11target_archE1201ELNS1_3gpuE5ELNS1_3repE0EEENS1_60segmented_radix_sort_warp_sort_medium_config_static_selectorELNS0_4arch9wavefront6targetE0EEEvSH_.has_recursion, 0
	.set _ZN7rocprim17ROCPRIM_400000_NS6detail17trampoline_kernelINS0_14default_configENS1_36segmented_radix_sort_config_selectorIllEEZNS1_25segmented_radix_sort_implIS3_Lb0EPKlPlS8_S9_N2at6native12_GLOBAL__N_18offset_tEEE10hipError_tPvRmT1_PNSt15iterator_traitsISH_E10value_typeET2_T3_PNSI_ISN_E10value_typeET4_jRbjT5_ST_jjP12ihipStream_tbEUlT_E0_NS1_11comp_targetILNS1_3genE10ELNS1_11target_archE1201ELNS1_3gpuE5ELNS1_3repE0EEENS1_60segmented_radix_sort_warp_sort_medium_config_static_selectorELNS0_4arch9wavefront6targetE0EEEvSH_.has_indirect_call, 0
	.section	.AMDGPU.csdata,"",@progbits
; Kernel info:
; codeLenInByte = 0
; TotalNumSgprs: 0
; NumVgprs: 0
; ScratchSize: 0
; MemoryBound: 0
; FloatMode: 240
; IeeeMode: 1
; LDSByteSize: 0 bytes/workgroup (compile time only)
; SGPRBlocks: 0
; VGPRBlocks: 0
; NumSGPRsForWavesPerEU: 1
; NumVGPRsForWavesPerEU: 1
; NamedBarCnt: 0
; Occupancy: 16
; WaveLimiterHint : 0
; COMPUTE_PGM_RSRC2:SCRATCH_EN: 0
; COMPUTE_PGM_RSRC2:USER_SGPR: 2
; COMPUTE_PGM_RSRC2:TRAP_HANDLER: 0
; COMPUTE_PGM_RSRC2:TGID_X_EN: 1
; COMPUTE_PGM_RSRC2:TGID_Y_EN: 0
; COMPUTE_PGM_RSRC2:TGID_Z_EN: 0
; COMPUTE_PGM_RSRC2:TIDIG_COMP_CNT: 0
	.section	.text._ZN7rocprim17ROCPRIM_400000_NS6detail17trampoline_kernelINS0_14default_configENS1_36segmented_radix_sort_config_selectorIllEEZNS1_25segmented_radix_sort_implIS3_Lb0EPKlPlS8_S9_N2at6native12_GLOBAL__N_18offset_tEEE10hipError_tPvRmT1_PNSt15iterator_traitsISH_E10value_typeET2_T3_PNSI_ISN_E10value_typeET4_jRbjT5_ST_jjP12ihipStream_tbEUlT_E0_NS1_11comp_targetILNS1_3genE10ELNS1_11target_archE1200ELNS1_3gpuE4ELNS1_3repE0EEENS1_60segmented_radix_sort_warp_sort_medium_config_static_selectorELNS0_4arch9wavefront6targetE0EEEvSH_,"axG",@progbits,_ZN7rocprim17ROCPRIM_400000_NS6detail17trampoline_kernelINS0_14default_configENS1_36segmented_radix_sort_config_selectorIllEEZNS1_25segmented_radix_sort_implIS3_Lb0EPKlPlS8_S9_N2at6native12_GLOBAL__N_18offset_tEEE10hipError_tPvRmT1_PNSt15iterator_traitsISH_E10value_typeET2_T3_PNSI_ISN_E10value_typeET4_jRbjT5_ST_jjP12ihipStream_tbEUlT_E0_NS1_11comp_targetILNS1_3genE10ELNS1_11target_archE1200ELNS1_3gpuE4ELNS1_3repE0EEENS1_60segmented_radix_sort_warp_sort_medium_config_static_selectorELNS0_4arch9wavefront6targetE0EEEvSH_,comdat
	.globl	_ZN7rocprim17ROCPRIM_400000_NS6detail17trampoline_kernelINS0_14default_configENS1_36segmented_radix_sort_config_selectorIllEEZNS1_25segmented_radix_sort_implIS3_Lb0EPKlPlS8_S9_N2at6native12_GLOBAL__N_18offset_tEEE10hipError_tPvRmT1_PNSt15iterator_traitsISH_E10value_typeET2_T3_PNSI_ISN_E10value_typeET4_jRbjT5_ST_jjP12ihipStream_tbEUlT_E0_NS1_11comp_targetILNS1_3genE10ELNS1_11target_archE1200ELNS1_3gpuE4ELNS1_3repE0EEENS1_60segmented_radix_sort_warp_sort_medium_config_static_selectorELNS0_4arch9wavefront6targetE0EEEvSH_ ; -- Begin function _ZN7rocprim17ROCPRIM_400000_NS6detail17trampoline_kernelINS0_14default_configENS1_36segmented_radix_sort_config_selectorIllEEZNS1_25segmented_radix_sort_implIS3_Lb0EPKlPlS8_S9_N2at6native12_GLOBAL__N_18offset_tEEE10hipError_tPvRmT1_PNSt15iterator_traitsISH_E10value_typeET2_T3_PNSI_ISN_E10value_typeET4_jRbjT5_ST_jjP12ihipStream_tbEUlT_E0_NS1_11comp_targetILNS1_3genE10ELNS1_11target_archE1200ELNS1_3gpuE4ELNS1_3repE0EEENS1_60segmented_radix_sort_warp_sort_medium_config_static_selectorELNS0_4arch9wavefront6targetE0EEEvSH_
	.p2align	8
	.type	_ZN7rocprim17ROCPRIM_400000_NS6detail17trampoline_kernelINS0_14default_configENS1_36segmented_radix_sort_config_selectorIllEEZNS1_25segmented_radix_sort_implIS3_Lb0EPKlPlS8_S9_N2at6native12_GLOBAL__N_18offset_tEEE10hipError_tPvRmT1_PNSt15iterator_traitsISH_E10value_typeET2_T3_PNSI_ISN_E10value_typeET4_jRbjT5_ST_jjP12ihipStream_tbEUlT_E0_NS1_11comp_targetILNS1_3genE10ELNS1_11target_archE1200ELNS1_3gpuE4ELNS1_3repE0EEENS1_60segmented_radix_sort_warp_sort_medium_config_static_selectorELNS0_4arch9wavefront6targetE0EEEvSH_,@function
_ZN7rocprim17ROCPRIM_400000_NS6detail17trampoline_kernelINS0_14default_configENS1_36segmented_radix_sort_config_selectorIllEEZNS1_25segmented_radix_sort_implIS3_Lb0EPKlPlS8_S9_N2at6native12_GLOBAL__N_18offset_tEEE10hipError_tPvRmT1_PNSt15iterator_traitsISH_E10value_typeET2_T3_PNSI_ISN_E10value_typeET4_jRbjT5_ST_jjP12ihipStream_tbEUlT_E0_NS1_11comp_targetILNS1_3genE10ELNS1_11target_archE1200ELNS1_3gpuE4ELNS1_3repE0EEENS1_60segmented_radix_sort_warp_sort_medium_config_static_selectorELNS0_4arch9wavefront6targetE0EEEvSH_: ; @_ZN7rocprim17ROCPRIM_400000_NS6detail17trampoline_kernelINS0_14default_configENS1_36segmented_radix_sort_config_selectorIllEEZNS1_25segmented_radix_sort_implIS3_Lb0EPKlPlS8_S9_N2at6native12_GLOBAL__N_18offset_tEEE10hipError_tPvRmT1_PNSt15iterator_traitsISH_E10value_typeET2_T3_PNSI_ISN_E10value_typeET4_jRbjT5_ST_jjP12ihipStream_tbEUlT_E0_NS1_11comp_targetILNS1_3genE10ELNS1_11target_archE1200ELNS1_3gpuE4ELNS1_3repE0EEENS1_60segmented_radix_sort_warp_sort_medium_config_static_selectorELNS0_4arch9wavefront6targetE0EEEvSH_
; %bb.0:
	.section	.rodata,"a",@progbits
	.p2align	6, 0x0
	.amdhsa_kernel _ZN7rocprim17ROCPRIM_400000_NS6detail17trampoline_kernelINS0_14default_configENS1_36segmented_radix_sort_config_selectorIllEEZNS1_25segmented_radix_sort_implIS3_Lb0EPKlPlS8_S9_N2at6native12_GLOBAL__N_18offset_tEEE10hipError_tPvRmT1_PNSt15iterator_traitsISH_E10value_typeET2_T3_PNSI_ISN_E10value_typeET4_jRbjT5_ST_jjP12ihipStream_tbEUlT_E0_NS1_11comp_targetILNS1_3genE10ELNS1_11target_archE1200ELNS1_3gpuE4ELNS1_3repE0EEENS1_60segmented_radix_sort_warp_sort_medium_config_static_selectorELNS0_4arch9wavefront6targetE0EEEvSH_
		.amdhsa_group_segment_fixed_size 0
		.amdhsa_private_segment_fixed_size 0
		.amdhsa_kernarg_size 88
		.amdhsa_user_sgpr_count 2
		.amdhsa_user_sgpr_dispatch_ptr 0
		.amdhsa_user_sgpr_queue_ptr 0
		.amdhsa_user_sgpr_kernarg_segment_ptr 1
		.amdhsa_user_sgpr_dispatch_id 0
		.amdhsa_user_sgpr_kernarg_preload_length 0
		.amdhsa_user_sgpr_kernarg_preload_offset 0
		.amdhsa_user_sgpr_private_segment_size 0
		.amdhsa_wavefront_size32 1
		.amdhsa_uses_dynamic_stack 0
		.amdhsa_enable_private_segment 0
		.amdhsa_system_sgpr_workgroup_id_x 1
		.amdhsa_system_sgpr_workgroup_id_y 0
		.amdhsa_system_sgpr_workgroup_id_z 0
		.amdhsa_system_sgpr_workgroup_info 0
		.amdhsa_system_vgpr_workitem_id 0
		.amdhsa_next_free_vgpr 1
		.amdhsa_next_free_sgpr 1
		.amdhsa_named_barrier_count 0
		.amdhsa_reserve_vcc 0
		.amdhsa_float_round_mode_32 0
		.amdhsa_float_round_mode_16_64 0
		.amdhsa_float_denorm_mode_32 3
		.amdhsa_float_denorm_mode_16_64 3
		.amdhsa_fp16_overflow 0
		.amdhsa_memory_ordered 1
		.amdhsa_forward_progress 1
		.amdhsa_inst_pref_size 0
		.amdhsa_round_robin_scheduling 0
		.amdhsa_exception_fp_ieee_invalid_op 0
		.amdhsa_exception_fp_denorm_src 0
		.amdhsa_exception_fp_ieee_div_zero 0
		.amdhsa_exception_fp_ieee_overflow 0
		.amdhsa_exception_fp_ieee_underflow 0
		.amdhsa_exception_fp_ieee_inexact 0
		.amdhsa_exception_int_div_zero 0
	.end_amdhsa_kernel
	.section	.text._ZN7rocprim17ROCPRIM_400000_NS6detail17trampoline_kernelINS0_14default_configENS1_36segmented_radix_sort_config_selectorIllEEZNS1_25segmented_radix_sort_implIS3_Lb0EPKlPlS8_S9_N2at6native12_GLOBAL__N_18offset_tEEE10hipError_tPvRmT1_PNSt15iterator_traitsISH_E10value_typeET2_T3_PNSI_ISN_E10value_typeET4_jRbjT5_ST_jjP12ihipStream_tbEUlT_E0_NS1_11comp_targetILNS1_3genE10ELNS1_11target_archE1200ELNS1_3gpuE4ELNS1_3repE0EEENS1_60segmented_radix_sort_warp_sort_medium_config_static_selectorELNS0_4arch9wavefront6targetE0EEEvSH_,"axG",@progbits,_ZN7rocprim17ROCPRIM_400000_NS6detail17trampoline_kernelINS0_14default_configENS1_36segmented_radix_sort_config_selectorIllEEZNS1_25segmented_radix_sort_implIS3_Lb0EPKlPlS8_S9_N2at6native12_GLOBAL__N_18offset_tEEE10hipError_tPvRmT1_PNSt15iterator_traitsISH_E10value_typeET2_T3_PNSI_ISN_E10value_typeET4_jRbjT5_ST_jjP12ihipStream_tbEUlT_E0_NS1_11comp_targetILNS1_3genE10ELNS1_11target_archE1200ELNS1_3gpuE4ELNS1_3repE0EEENS1_60segmented_radix_sort_warp_sort_medium_config_static_selectorELNS0_4arch9wavefront6targetE0EEEvSH_,comdat
.Lfunc_end820:
	.size	_ZN7rocprim17ROCPRIM_400000_NS6detail17trampoline_kernelINS0_14default_configENS1_36segmented_radix_sort_config_selectorIllEEZNS1_25segmented_radix_sort_implIS3_Lb0EPKlPlS8_S9_N2at6native12_GLOBAL__N_18offset_tEEE10hipError_tPvRmT1_PNSt15iterator_traitsISH_E10value_typeET2_T3_PNSI_ISN_E10value_typeET4_jRbjT5_ST_jjP12ihipStream_tbEUlT_E0_NS1_11comp_targetILNS1_3genE10ELNS1_11target_archE1200ELNS1_3gpuE4ELNS1_3repE0EEENS1_60segmented_radix_sort_warp_sort_medium_config_static_selectorELNS0_4arch9wavefront6targetE0EEEvSH_, .Lfunc_end820-_ZN7rocprim17ROCPRIM_400000_NS6detail17trampoline_kernelINS0_14default_configENS1_36segmented_radix_sort_config_selectorIllEEZNS1_25segmented_radix_sort_implIS3_Lb0EPKlPlS8_S9_N2at6native12_GLOBAL__N_18offset_tEEE10hipError_tPvRmT1_PNSt15iterator_traitsISH_E10value_typeET2_T3_PNSI_ISN_E10value_typeET4_jRbjT5_ST_jjP12ihipStream_tbEUlT_E0_NS1_11comp_targetILNS1_3genE10ELNS1_11target_archE1200ELNS1_3gpuE4ELNS1_3repE0EEENS1_60segmented_radix_sort_warp_sort_medium_config_static_selectorELNS0_4arch9wavefront6targetE0EEEvSH_
                                        ; -- End function
	.set _ZN7rocprim17ROCPRIM_400000_NS6detail17trampoline_kernelINS0_14default_configENS1_36segmented_radix_sort_config_selectorIllEEZNS1_25segmented_radix_sort_implIS3_Lb0EPKlPlS8_S9_N2at6native12_GLOBAL__N_18offset_tEEE10hipError_tPvRmT1_PNSt15iterator_traitsISH_E10value_typeET2_T3_PNSI_ISN_E10value_typeET4_jRbjT5_ST_jjP12ihipStream_tbEUlT_E0_NS1_11comp_targetILNS1_3genE10ELNS1_11target_archE1200ELNS1_3gpuE4ELNS1_3repE0EEENS1_60segmented_radix_sort_warp_sort_medium_config_static_selectorELNS0_4arch9wavefront6targetE0EEEvSH_.num_vgpr, 0
	.set _ZN7rocprim17ROCPRIM_400000_NS6detail17trampoline_kernelINS0_14default_configENS1_36segmented_radix_sort_config_selectorIllEEZNS1_25segmented_radix_sort_implIS3_Lb0EPKlPlS8_S9_N2at6native12_GLOBAL__N_18offset_tEEE10hipError_tPvRmT1_PNSt15iterator_traitsISH_E10value_typeET2_T3_PNSI_ISN_E10value_typeET4_jRbjT5_ST_jjP12ihipStream_tbEUlT_E0_NS1_11comp_targetILNS1_3genE10ELNS1_11target_archE1200ELNS1_3gpuE4ELNS1_3repE0EEENS1_60segmented_radix_sort_warp_sort_medium_config_static_selectorELNS0_4arch9wavefront6targetE0EEEvSH_.num_agpr, 0
	.set _ZN7rocprim17ROCPRIM_400000_NS6detail17trampoline_kernelINS0_14default_configENS1_36segmented_radix_sort_config_selectorIllEEZNS1_25segmented_radix_sort_implIS3_Lb0EPKlPlS8_S9_N2at6native12_GLOBAL__N_18offset_tEEE10hipError_tPvRmT1_PNSt15iterator_traitsISH_E10value_typeET2_T3_PNSI_ISN_E10value_typeET4_jRbjT5_ST_jjP12ihipStream_tbEUlT_E0_NS1_11comp_targetILNS1_3genE10ELNS1_11target_archE1200ELNS1_3gpuE4ELNS1_3repE0EEENS1_60segmented_radix_sort_warp_sort_medium_config_static_selectorELNS0_4arch9wavefront6targetE0EEEvSH_.numbered_sgpr, 0
	.set _ZN7rocprim17ROCPRIM_400000_NS6detail17trampoline_kernelINS0_14default_configENS1_36segmented_radix_sort_config_selectorIllEEZNS1_25segmented_radix_sort_implIS3_Lb0EPKlPlS8_S9_N2at6native12_GLOBAL__N_18offset_tEEE10hipError_tPvRmT1_PNSt15iterator_traitsISH_E10value_typeET2_T3_PNSI_ISN_E10value_typeET4_jRbjT5_ST_jjP12ihipStream_tbEUlT_E0_NS1_11comp_targetILNS1_3genE10ELNS1_11target_archE1200ELNS1_3gpuE4ELNS1_3repE0EEENS1_60segmented_radix_sort_warp_sort_medium_config_static_selectorELNS0_4arch9wavefront6targetE0EEEvSH_.num_named_barrier, 0
	.set _ZN7rocprim17ROCPRIM_400000_NS6detail17trampoline_kernelINS0_14default_configENS1_36segmented_radix_sort_config_selectorIllEEZNS1_25segmented_radix_sort_implIS3_Lb0EPKlPlS8_S9_N2at6native12_GLOBAL__N_18offset_tEEE10hipError_tPvRmT1_PNSt15iterator_traitsISH_E10value_typeET2_T3_PNSI_ISN_E10value_typeET4_jRbjT5_ST_jjP12ihipStream_tbEUlT_E0_NS1_11comp_targetILNS1_3genE10ELNS1_11target_archE1200ELNS1_3gpuE4ELNS1_3repE0EEENS1_60segmented_radix_sort_warp_sort_medium_config_static_selectorELNS0_4arch9wavefront6targetE0EEEvSH_.private_seg_size, 0
	.set _ZN7rocprim17ROCPRIM_400000_NS6detail17trampoline_kernelINS0_14default_configENS1_36segmented_radix_sort_config_selectorIllEEZNS1_25segmented_radix_sort_implIS3_Lb0EPKlPlS8_S9_N2at6native12_GLOBAL__N_18offset_tEEE10hipError_tPvRmT1_PNSt15iterator_traitsISH_E10value_typeET2_T3_PNSI_ISN_E10value_typeET4_jRbjT5_ST_jjP12ihipStream_tbEUlT_E0_NS1_11comp_targetILNS1_3genE10ELNS1_11target_archE1200ELNS1_3gpuE4ELNS1_3repE0EEENS1_60segmented_radix_sort_warp_sort_medium_config_static_selectorELNS0_4arch9wavefront6targetE0EEEvSH_.uses_vcc, 0
	.set _ZN7rocprim17ROCPRIM_400000_NS6detail17trampoline_kernelINS0_14default_configENS1_36segmented_radix_sort_config_selectorIllEEZNS1_25segmented_radix_sort_implIS3_Lb0EPKlPlS8_S9_N2at6native12_GLOBAL__N_18offset_tEEE10hipError_tPvRmT1_PNSt15iterator_traitsISH_E10value_typeET2_T3_PNSI_ISN_E10value_typeET4_jRbjT5_ST_jjP12ihipStream_tbEUlT_E0_NS1_11comp_targetILNS1_3genE10ELNS1_11target_archE1200ELNS1_3gpuE4ELNS1_3repE0EEENS1_60segmented_radix_sort_warp_sort_medium_config_static_selectorELNS0_4arch9wavefront6targetE0EEEvSH_.uses_flat_scratch, 0
	.set _ZN7rocprim17ROCPRIM_400000_NS6detail17trampoline_kernelINS0_14default_configENS1_36segmented_radix_sort_config_selectorIllEEZNS1_25segmented_radix_sort_implIS3_Lb0EPKlPlS8_S9_N2at6native12_GLOBAL__N_18offset_tEEE10hipError_tPvRmT1_PNSt15iterator_traitsISH_E10value_typeET2_T3_PNSI_ISN_E10value_typeET4_jRbjT5_ST_jjP12ihipStream_tbEUlT_E0_NS1_11comp_targetILNS1_3genE10ELNS1_11target_archE1200ELNS1_3gpuE4ELNS1_3repE0EEENS1_60segmented_radix_sort_warp_sort_medium_config_static_selectorELNS0_4arch9wavefront6targetE0EEEvSH_.has_dyn_sized_stack, 0
	.set _ZN7rocprim17ROCPRIM_400000_NS6detail17trampoline_kernelINS0_14default_configENS1_36segmented_radix_sort_config_selectorIllEEZNS1_25segmented_radix_sort_implIS3_Lb0EPKlPlS8_S9_N2at6native12_GLOBAL__N_18offset_tEEE10hipError_tPvRmT1_PNSt15iterator_traitsISH_E10value_typeET2_T3_PNSI_ISN_E10value_typeET4_jRbjT5_ST_jjP12ihipStream_tbEUlT_E0_NS1_11comp_targetILNS1_3genE10ELNS1_11target_archE1200ELNS1_3gpuE4ELNS1_3repE0EEENS1_60segmented_radix_sort_warp_sort_medium_config_static_selectorELNS0_4arch9wavefront6targetE0EEEvSH_.has_recursion, 0
	.set _ZN7rocprim17ROCPRIM_400000_NS6detail17trampoline_kernelINS0_14default_configENS1_36segmented_radix_sort_config_selectorIllEEZNS1_25segmented_radix_sort_implIS3_Lb0EPKlPlS8_S9_N2at6native12_GLOBAL__N_18offset_tEEE10hipError_tPvRmT1_PNSt15iterator_traitsISH_E10value_typeET2_T3_PNSI_ISN_E10value_typeET4_jRbjT5_ST_jjP12ihipStream_tbEUlT_E0_NS1_11comp_targetILNS1_3genE10ELNS1_11target_archE1200ELNS1_3gpuE4ELNS1_3repE0EEENS1_60segmented_radix_sort_warp_sort_medium_config_static_selectorELNS0_4arch9wavefront6targetE0EEEvSH_.has_indirect_call, 0
	.section	.AMDGPU.csdata,"",@progbits
; Kernel info:
; codeLenInByte = 0
; TotalNumSgprs: 0
; NumVgprs: 0
; ScratchSize: 0
; MemoryBound: 0
; FloatMode: 240
; IeeeMode: 1
; LDSByteSize: 0 bytes/workgroup (compile time only)
; SGPRBlocks: 0
; VGPRBlocks: 0
; NumSGPRsForWavesPerEU: 1
; NumVGPRsForWavesPerEU: 1
; NamedBarCnt: 0
; Occupancy: 16
; WaveLimiterHint : 0
; COMPUTE_PGM_RSRC2:SCRATCH_EN: 0
; COMPUTE_PGM_RSRC2:USER_SGPR: 2
; COMPUTE_PGM_RSRC2:TRAP_HANDLER: 0
; COMPUTE_PGM_RSRC2:TGID_X_EN: 1
; COMPUTE_PGM_RSRC2:TGID_Y_EN: 0
; COMPUTE_PGM_RSRC2:TGID_Z_EN: 0
; COMPUTE_PGM_RSRC2:TIDIG_COMP_CNT: 0
	.section	.text._ZN7rocprim17ROCPRIM_400000_NS6detail17trampoline_kernelINS0_14default_configENS1_36segmented_radix_sort_config_selectorIllEEZNS1_25segmented_radix_sort_implIS3_Lb0EPKlPlS8_S9_N2at6native12_GLOBAL__N_18offset_tEEE10hipError_tPvRmT1_PNSt15iterator_traitsISH_E10value_typeET2_T3_PNSI_ISN_E10value_typeET4_jRbjT5_ST_jjP12ihipStream_tbEUlT_E0_NS1_11comp_targetILNS1_3genE9ELNS1_11target_archE1100ELNS1_3gpuE3ELNS1_3repE0EEENS1_60segmented_radix_sort_warp_sort_medium_config_static_selectorELNS0_4arch9wavefront6targetE0EEEvSH_,"axG",@progbits,_ZN7rocprim17ROCPRIM_400000_NS6detail17trampoline_kernelINS0_14default_configENS1_36segmented_radix_sort_config_selectorIllEEZNS1_25segmented_radix_sort_implIS3_Lb0EPKlPlS8_S9_N2at6native12_GLOBAL__N_18offset_tEEE10hipError_tPvRmT1_PNSt15iterator_traitsISH_E10value_typeET2_T3_PNSI_ISN_E10value_typeET4_jRbjT5_ST_jjP12ihipStream_tbEUlT_E0_NS1_11comp_targetILNS1_3genE9ELNS1_11target_archE1100ELNS1_3gpuE3ELNS1_3repE0EEENS1_60segmented_radix_sort_warp_sort_medium_config_static_selectorELNS0_4arch9wavefront6targetE0EEEvSH_,comdat
	.globl	_ZN7rocprim17ROCPRIM_400000_NS6detail17trampoline_kernelINS0_14default_configENS1_36segmented_radix_sort_config_selectorIllEEZNS1_25segmented_radix_sort_implIS3_Lb0EPKlPlS8_S9_N2at6native12_GLOBAL__N_18offset_tEEE10hipError_tPvRmT1_PNSt15iterator_traitsISH_E10value_typeET2_T3_PNSI_ISN_E10value_typeET4_jRbjT5_ST_jjP12ihipStream_tbEUlT_E0_NS1_11comp_targetILNS1_3genE9ELNS1_11target_archE1100ELNS1_3gpuE3ELNS1_3repE0EEENS1_60segmented_radix_sort_warp_sort_medium_config_static_selectorELNS0_4arch9wavefront6targetE0EEEvSH_ ; -- Begin function _ZN7rocprim17ROCPRIM_400000_NS6detail17trampoline_kernelINS0_14default_configENS1_36segmented_radix_sort_config_selectorIllEEZNS1_25segmented_radix_sort_implIS3_Lb0EPKlPlS8_S9_N2at6native12_GLOBAL__N_18offset_tEEE10hipError_tPvRmT1_PNSt15iterator_traitsISH_E10value_typeET2_T3_PNSI_ISN_E10value_typeET4_jRbjT5_ST_jjP12ihipStream_tbEUlT_E0_NS1_11comp_targetILNS1_3genE9ELNS1_11target_archE1100ELNS1_3gpuE3ELNS1_3repE0EEENS1_60segmented_radix_sort_warp_sort_medium_config_static_selectorELNS0_4arch9wavefront6targetE0EEEvSH_
	.p2align	8
	.type	_ZN7rocprim17ROCPRIM_400000_NS6detail17trampoline_kernelINS0_14default_configENS1_36segmented_radix_sort_config_selectorIllEEZNS1_25segmented_radix_sort_implIS3_Lb0EPKlPlS8_S9_N2at6native12_GLOBAL__N_18offset_tEEE10hipError_tPvRmT1_PNSt15iterator_traitsISH_E10value_typeET2_T3_PNSI_ISN_E10value_typeET4_jRbjT5_ST_jjP12ihipStream_tbEUlT_E0_NS1_11comp_targetILNS1_3genE9ELNS1_11target_archE1100ELNS1_3gpuE3ELNS1_3repE0EEENS1_60segmented_radix_sort_warp_sort_medium_config_static_selectorELNS0_4arch9wavefront6targetE0EEEvSH_,@function
_ZN7rocprim17ROCPRIM_400000_NS6detail17trampoline_kernelINS0_14default_configENS1_36segmented_radix_sort_config_selectorIllEEZNS1_25segmented_radix_sort_implIS3_Lb0EPKlPlS8_S9_N2at6native12_GLOBAL__N_18offset_tEEE10hipError_tPvRmT1_PNSt15iterator_traitsISH_E10value_typeET2_T3_PNSI_ISN_E10value_typeET4_jRbjT5_ST_jjP12ihipStream_tbEUlT_E0_NS1_11comp_targetILNS1_3genE9ELNS1_11target_archE1100ELNS1_3gpuE3ELNS1_3repE0EEENS1_60segmented_radix_sort_warp_sort_medium_config_static_selectorELNS0_4arch9wavefront6targetE0EEEvSH_: ; @_ZN7rocprim17ROCPRIM_400000_NS6detail17trampoline_kernelINS0_14default_configENS1_36segmented_radix_sort_config_selectorIllEEZNS1_25segmented_radix_sort_implIS3_Lb0EPKlPlS8_S9_N2at6native12_GLOBAL__N_18offset_tEEE10hipError_tPvRmT1_PNSt15iterator_traitsISH_E10value_typeET2_T3_PNSI_ISN_E10value_typeET4_jRbjT5_ST_jjP12ihipStream_tbEUlT_E0_NS1_11comp_targetILNS1_3genE9ELNS1_11target_archE1100ELNS1_3gpuE3ELNS1_3repE0EEENS1_60segmented_radix_sort_warp_sort_medium_config_static_selectorELNS0_4arch9wavefront6targetE0EEEvSH_
; %bb.0:
	.section	.rodata,"a",@progbits
	.p2align	6, 0x0
	.amdhsa_kernel _ZN7rocprim17ROCPRIM_400000_NS6detail17trampoline_kernelINS0_14default_configENS1_36segmented_radix_sort_config_selectorIllEEZNS1_25segmented_radix_sort_implIS3_Lb0EPKlPlS8_S9_N2at6native12_GLOBAL__N_18offset_tEEE10hipError_tPvRmT1_PNSt15iterator_traitsISH_E10value_typeET2_T3_PNSI_ISN_E10value_typeET4_jRbjT5_ST_jjP12ihipStream_tbEUlT_E0_NS1_11comp_targetILNS1_3genE9ELNS1_11target_archE1100ELNS1_3gpuE3ELNS1_3repE0EEENS1_60segmented_radix_sort_warp_sort_medium_config_static_selectorELNS0_4arch9wavefront6targetE0EEEvSH_
		.amdhsa_group_segment_fixed_size 0
		.amdhsa_private_segment_fixed_size 0
		.amdhsa_kernarg_size 88
		.amdhsa_user_sgpr_count 2
		.amdhsa_user_sgpr_dispatch_ptr 0
		.amdhsa_user_sgpr_queue_ptr 0
		.amdhsa_user_sgpr_kernarg_segment_ptr 1
		.amdhsa_user_sgpr_dispatch_id 0
		.amdhsa_user_sgpr_kernarg_preload_length 0
		.amdhsa_user_sgpr_kernarg_preload_offset 0
		.amdhsa_user_sgpr_private_segment_size 0
		.amdhsa_wavefront_size32 1
		.amdhsa_uses_dynamic_stack 0
		.amdhsa_enable_private_segment 0
		.amdhsa_system_sgpr_workgroup_id_x 1
		.amdhsa_system_sgpr_workgroup_id_y 0
		.amdhsa_system_sgpr_workgroup_id_z 0
		.amdhsa_system_sgpr_workgroup_info 0
		.amdhsa_system_vgpr_workitem_id 0
		.amdhsa_next_free_vgpr 1
		.amdhsa_next_free_sgpr 1
		.amdhsa_named_barrier_count 0
		.amdhsa_reserve_vcc 0
		.amdhsa_float_round_mode_32 0
		.amdhsa_float_round_mode_16_64 0
		.amdhsa_float_denorm_mode_32 3
		.amdhsa_float_denorm_mode_16_64 3
		.amdhsa_fp16_overflow 0
		.amdhsa_memory_ordered 1
		.amdhsa_forward_progress 1
		.amdhsa_inst_pref_size 0
		.amdhsa_round_robin_scheduling 0
		.amdhsa_exception_fp_ieee_invalid_op 0
		.amdhsa_exception_fp_denorm_src 0
		.amdhsa_exception_fp_ieee_div_zero 0
		.amdhsa_exception_fp_ieee_overflow 0
		.amdhsa_exception_fp_ieee_underflow 0
		.amdhsa_exception_fp_ieee_inexact 0
		.amdhsa_exception_int_div_zero 0
	.end_amdhsa_kernel
	.section	.text._ZN7rocprim17ROCPRIM_400000_NS6detail17trampoline_kernelINS0_14default_configENS1_36segmented_radix_sort_config_selectorIllEEZNS1_25segmented_radix_sort_implIS3_Lb0EPKlPlS8_S9_N2at6native12_GLOBAL__N_18offset_tEEE10hipError_tPvRmT1_PNSt15iterator_traitsISH_E10value_typeET2_T3_PNSI_ISN_E10value_typeET4_jRbjT5_ST_jjP12ihipStream_tbEUlT_E0_NS1_11comp_targetILNS1_3genE9ELNS1_11target_archE1100ELNS1_3gpuE3ELNS1_3repE0EEENS1_60segmented_radix_sort_warp_sort_medium_config_static_selectorELNS0_4arch9wavefront6targetE0EEEvSH_,"axG",@progbits,_ZN7rocprim17ROCPRIM_400000_NS6detail17trampoline_kernelINS0_14default_configENS1_36segmented_radix_sort_config_selectorIllEEZNS1_25segmented_radix_sort_implIS3_Lb0EPKlPlS8_S9_N2at6native12_GLOBAL__N_18offset_tEEE10hipError_tPvRmT1_PNSt15iterator_traitsISH_E10value_typeET2_T3_PNSI_ISN_E10value_typeET4_jRbjT5_ST_jjP12ihipStream_tbEUlT_E0_NS1_11comp_targetILNS1_3genE9ELNS1_11target_archE1100ELNS1_3gpuE3ELNS1_3repE0EEENS1_60segmented_radix_sort_warp_sort_medium_config_static_selectorELNS0_4arch9wavefront6targetE0EEEvSH_,comdat
.Lfunc_end821:
	.size	_ZN7rocprim17ROCPRIM_400000_NS6detail17trampoline_kernelINS0_14default_configENS1_36segmented_radix_sort_config_selectorIllEEZNS1_25segmented_radix_sort_implIS3_Lb0EPKlPlS8_S9_N2at6native12_GLOBAL__N_18offset_tEEE10hipError_tPvRmT1_PNSt15iterator_traitsISH_E10value_typeET2_T3_PNSI_ISN_E10value_typeET4_jRbjT5_ST_jjP12ihipStream_tbEUlT_E0_NS1_11comp_targetILNS1_3genE9ELNS1_11target_archE1100ELNS1_3gpuE3ELNS1_3repE0EEENS1_60segmented_radix_sort_warp_sort_medium_config_static_selectorELNS0_4arch9wavefront6targetE0EEEvSH_, .Lfunc_end821-_ZN7rocprim17ROCPRIM_400000_NS6detail17trampoline_kernelINS0_14default_configENS1_36segmented_radix_sort_config_selectorIllEEZNS1_25segmented_radix_sort_implIS3_Lb0EPKlPlS8_S9_N2at6native12_GLOBAL__N_18offset_tEEE10hipError_tPvRmT1_PNSt15iterator_traitsISH_E10value_typeET2_T3_PNSI_ISN_E10value_typeET4_jRbjT5_ST_jjP12ihipStream_tbEUlT_E0_NS1_11comp_targetILNS1_3genE9ELNS1_11target_archE1100ELNS1_3gpuE3ELNS1_3repE0EEENS1_60segmented_radix_sort_warp_sort_medium_config_static_selectorELNS0_4arch9wavefront6targetE0EEEvSH_
                                        ; -- End function
	.set _ZN7rocprim17ROCPRIM_400000_NS6detail17trampoline_kernelINS0_14default_configENS1_36segmented_radix_sort_config_selectorIllEEZNS1_25segmented_radix_sort_implIS3_Lb0EPKlPlS8_S9_N2at6native12_GLOBAL__N_18offset_tEEE10hipError_tPvRmT1_PNSt15iterator_traitsISH_E10value_typeET2_T3_PNSI_ISN_E10value_typeET4_jRbjT5_ST_jjP12ihipStream_tbEUlT_E0_NS1_11comp_targetILNS1_3genE9ELNS1_11target_archE1100ELNS1_3gpuE3ELNS1_3repE0EEENS1_60segmented_radix_sort_warp_sort_medium_config_static_selectorELNS0_4arch9wavefront6targetE0EEEvSH_.num_vgpr, 0
	.set _ZN7rocprim17ROCPRIM_400000_NS6detail17trampoline_kernelINS0_14default_configENS1_36segmented_radix_sort_config_selectorIllEEZNS1_25segmented_radix_sort_implIS3_Lb0EPKlPlS8_S9_N2at6native12_GLOBAL__N_18offset_tEEE10hipError_tPvRmT1_PNSt15iterator_traitsISH_E10value_typeET2_T3_PNSI_ISN_E10value_typeET4_jRbjT5_ST_jjP12ihipStream_tbEUlT_E0_NS1_11comp_targetILNS1_3genE9ELNS1_11target_archE1100ELNS1_3gpuE3ELNS1_3repE0EEENS1_60segmented_radix_sort_warp_sort_medium_config_static_selectorELNS0_4arch9wavefront6targetE0EEEvSH_.num_agpr, 0
	.set _ZN7rocprim17ROCPRIM_400000_NS6detail17trampoline_kernelINS0_14default_configENS1_36segmented_radix_sort_config_selectorIllEEZNS1_25segmented_radix_sort_implIS3_Lb0EPKlPlS8_S9_N2at6native12_GLOBAL__N_18offset_tEEE10hipError_tPvRmT1_PNSt15iterator_traitsISH_E10value_typeET2_T3_PNSI_ISN_E10value_typeET4_jRbjT5_ST_jjP12ihipStream_tbEUlT_E0_NS1_11comp_targetILNS1_3genE9ELNS1_11target_archE1100ELNS1_3gpuE3ELNS1_3repE0EEENS1_60segmented_radix_sort_warp_sort_medium_config_static_selectorELNS0_4arch9wavefront6targetE0EEEvSH_.numbered_sgpr, 0
	.set _ZN7rocprim17ROCPRIM_400000_NS6detail17trampoline_kernelINS0_14default_configENS1_36segmented_radix_sort_config_selectorIllEEZNS1_25segmented_radix_sort_implIS3_Lb0EPKlPlS8_S9_N2at6native12_GLOBAL__N_18offset_tEEE10hipError_tPvRmT1_PNSt15iterator_traitsISH_E10value_typeET2_T3_PNSI_ISN_E10value_typeET4_jRbjT5_ST_jjP12ihipStream_tbEUlT_E0_NS1_11comp_targetILNS1_3genE9ELNS1_11target_archE1100ELNS1_3gpuE3ELNS1_3repE0EEENS1_60segmented_radix_sort_warp_sort_medium_config_static_selectorELNS0_4arch9wavefront6targetE0EEEvSH_.num_named_barrier, 0
	.set _ZN7rocprim17ROCPRIM_400000_NS6detail17trampoline_kernelINS0_14default_configENS1_36segmented_radix_sort_config_selectorIllEEZNS1_25segmented_radix_sort_implIS3_Lb0EPKlPlS8_S9_N2at6native12_GLOBAL__N_18offset_tEEE10hipError_tPvRmT1_PNSt15iterator_traitsISH_E10value_typeET2_T3_PNSI_ISN_E10value_typeET4_jRbjT5_ST_jjP12ihipStream_tbEUlT_E0_NS1_11comp_targetILNS1_3genE9ELNS1_11target_archE1100ELNS1_3gpuE3ELNS1_3repE0EEENS1_60segmented_radix_sort_warp_sort_medium_config_static_selectorELNS0_4arch9wavefront6targetE0EEEvSH_.private_seg_size, 0
	.set _ZN7rocprim17ROCPRIM_400000_NS6detail17trampoline_kernelINS0_14default_configENS1_36segmented_radix_sort_config_selectorIllEEZNS1_25segmented_radix_sort_implIS3_Lb0EPKlPlS8_S9_N2at6native12_GLOBAL__N_18offset_tEEE10hipError_tPvRmT1_PNSt15iterator_traitsISH_E10value_typeET2_T3_PNSI_ISN_E10value_typeET4_jRbjT5_ST_jjP12ihipStream_tbEUlT_E0_NS1_11comp_targetILNS1_3genE9ELNS1_11target_archE1100ELNS1_3gpuE3ELNS1_3repE0EEENS1_60segmented_radix_sort_warp_sort_medium_config_static_selectorELNS0_4arch9wavefront6targetE0EEEvSH_.uses_vcc, 0
	.set _ZN7rocprim17ROCPRIM_400000_NS6detail17trampoline_kernelINS0_14default_configENS1_36segmented_radix_sort_config_selectorIllEEZNS1_25segmented_radix_sort_implIS3_Lb0EPKlPlS8_S9_N2at6native12_GLOBAL__N_18offset_tEEE10hipError_tPvRmT1_PNSt15iterator_traitsISH_E10value_typeET2_T3_PNSI_ISN_E10value_typeET4_jRbjT5_ST_jjP12ihipStream_tbEUlT_E0_NS1_11comp_targetILNS1_3genE9ELNS1_11target_archE1100ELNS1_3gpuE3ELNS1_3repE0EEENS1_60segmented_radix_sort_warp_sort_medium_config_static_selectorELNS0_4arch9wavefront6targetE0EEEvSH_.uses_flat_scratch, 0
	.set _ZN7rocprim17ROCPRIM_400000_NS6detail17trampoline_kernelINS0_14default_configENS1_36segmented_radix_sort_config_selectorIllEEZNS1_25segmented_radix_sort_implIS3_Lb0EPKlPlS8_S9_N2at6native12_GLOBAL__N_18offset_tEEE10hipError_tPvRmT1_PNSt15iterator_traitsISH_E10value_typeET2_T3_PNSI_ISN_E10value_typeET4_jRbjT5_ST_jjP12ihipStream_tbEUlT_E0_NS1_11comp_targetILNS1_3genE9ELNS1_11target_archE1100ELNS1_3gpuE3ELNS1_3repE0EEENS1_60segmented_radix_sort_warp_sort_medium_config_static_selectorELNS0_4arch9wavefront6targetE0EEEvSH_.has_dyn_sized_stack, 0
	.set _ZN7rocprim17ROCPRIM_400000_NS6detail17trampoline_kernelINS0_14default_configENS1_36segmented_radix_sort_config_selectorIllEEZNS1_25segmented_radix_sort_implIS3_Lb0EPKlPlS8_S9_N2at6native12_GLOBAL__N_18offset_tEEE10hipError_tPvRmT1_PNSt15iterator_traitsISH_E10value_typeET2_T3_PNSI_ISN_E10value_typeET4_jRbjT5_ST_jjP12ihipStream_tbEUlT_E0_NS1_11comp_targetILNS1_3genE9ELNS1_11target_archE1100ELNS1_3gpuE3ELNS1_3repE0EEENS1_60segmented_radix_sort_warp_sort_medium_config_static_selectorELNS0_4arch9wavefront6targetE0EEEvSH_.has_recursion, 0
	.set _ZN7rocprim17ROCPRIM_400000_NS6detail17trampoline_kernelINS0_14default_configENS1_36segmented_radix_sort_config_selectorIllEEZNS1_25segmented_radix_sort_implIS3_Lb0EPKlPlS8_S9_N2at6native12_GLOBAL__N_18offset_tEEE10hipError_tPvRmT1_PNSt15iterator_traitsISH_E10value_typeET2_T3_PNSI_ISN_E10value_typeET4_jRbjT5_ST_jjP12ihipStream_tbEUlT_E0_NS1_11comp_targetILNS1_3genE9ELNS1_11target_archE1100ELNS1_3gpuE3ELNS1_3repE0EEENS1_60segmented_radix_sort_warp_sort_medium_config_static_selectorELNS0_4arch9wavefront6targetE0EEEvSH_.has_indirect_call, 0
	.section	.AMDGPU.csdata,"",@progbits
; Kernel info:
; codeLenInByte = 0
; TotalNumSgprs: 0
; NumVgprs: 0
; ScratchSize: 0
; MemoryBound: 0
; FloatMode: 240
; IeeeMode: 1
; LDSByteSize: 0 bytes/workgroup (compile time only)
; SGPRBlocks: 0
; VGPRBlocks: 0
; NumSGPRsForWavesPerEU: 1
; NumVGPRsForWavesPerEU: 1
; NamedBarCnt: 0
; Occupancy: 16
; WaveLimiterHint : 0
; COMPUTE_PGM_RSRC2:SCRATCH_EN: 0
; COMPUTE_PGM_RSRC2:USER_SGPR: 2
; COMPUTE_PGM_RSRC2:TRAP_HANDLER: 0
; COMPUTE_PGM_RSRC2:TGID_X_EN: 1
; COMPUTE_PGM_RSRC2:TGID_Y_EN: 0
; COMPUTE_PGM_RSRC2:TGID_Z_EN: 0
; COMPUTE_PGM_RSRC2:TIDIG_COMP_CNT: 0
	.section	.text._ZN7rocprim17ROCPRIM_400000_NS6detail17trampoline_kernelINS0_14default_configENS1_36segmented_radix_sort_config_selectorIllEEZNS1_25segmented_radix_sort_implIS3_Lb0EPKlPlS8_S9_N2at6native12_GLOBAL__N_18offset_tEEE10hipError_tPvRmT1_PNSt15iterator_traitsISH_E10value_typeET2_T3_PNSI_ISN_E10value_typeET4_jRbjT5_ST_jjP12ihipStream_tbEUlT_E0_NS1_11comp_targetILNS1_3genE8ELNS1_11target_archE1030ELNS1_3gpuE2ELNS1_3repE0EEENS1_60segmented_radix_sort_warp_sort_medium_config_static_selectorELNS0_4arch9wavefront6targetE0EEEvSH_,"axG",@progbits,_ZN7rocprim17ROCPRIM_400000_NS6detail17trampoline_kernelINS0_14default_configENS1_36segmented_radix_sort_config_selectorIllEEZNS1_25segmented_radix_sort_implIS3_Lb0EPKlPlS8_S9_N2at6native12_GLOBAL__N_18offset_tEEE10hipError_tPvRmT1_PNSt15iterator_traitsISH_E10value_typeET2_T3_PNSI_ISN_E10value_typeET4_jRbjT5_ST_jjP12ihipStream_tbEUlT_E0_NS1_11comp_targetILNS1_3genE8ELNS1_11target_archE1030ELNS1_3gpuE2ELNS1_3repE0EEENS1_60segmented_radix_sort_warp_sort_medium_config_static_selectorELNS0_4arch9wavefront6targetE0EEEvSH_,comdat
	.globl	_ZN7rocprim17ROCPRIM_400000_NS6detail17trampoline_kernelINS0_14default_configENS1_36segmented_radix_sort_config_selectorIllEEZNS1_25segmented_radix_sort_implIS3_Lb0EPKlPlS8_S9_N2at6native12_GLOBAL__N_18offset_tEEE10hipError_tPvRmT1_PNSt15iterator_traitsISH_E10value_typeET2_T3_PNSI_ISN_E10value_typeET4_jRbjT5_ST_jjP12ihipStream_tbEUlT_E0_NS1_11comp_targetILNS1_3genE8ELNS1_11target_archE1030ELNS1_3gpuE2ELNS1_3repE0EEENS1_60segmented_radix_sort_warp_sort_medium_config_static_selectorELNS0_4arch9wavefront6targetE0EEEvSH_ ; -- Begin function _ZN7rocprim17ROCPRIM_400000_NS6detail17trampoline_kernelINS0_14default_configENS1_36segmented_radix_sort_config_selectorIllEEZNS1_25segmented_radix_sort_implIS3_Lb0EPKlPlS8_S9_N2at6native12_GLOBAL__N_18offset_tEEE10hipError_tPvRmT1_PNSt15iterator_traitsISH_E10value_typeET2_T3_PNSI_ISN_E10value_typeET4_jRbjT5_ST_jjP12ihipStream_tbEUlT_E0_NS1_11comp_targetILNS1_3genE8ELNS1_11target_archE1030ELNS1_3gpuE2ELNS1_3repE0EEENS1_60segmented_radix_sort_warp_sort_medium_config_static_selectorELNS0_4arch9wavefront6targetE0EEEvSH_
	.p2align	8
	.type	_ZN7rocprim17ROCPRIM_400000_NS6detail17trampoline_kernelINS0_14default_configENS1_36segmented_radix_sort_config_selectorIllEEZNS1_25segmented_radix_sort_implIS3_Lb0EPKlPlS8_S9_N2at6native12_GLOBAL__N_18offset_tEEE10hipError_tPvRmT1_PNSt15iterator_traitsISH_E10value_typeET2_T3_PNSI_ISN_E10value_typeET4_jRbjT5_ST_jjP12ihipStream_tbEUlT_E0_NS1_11comp_targetILNS1_3genE8ELNS1_11target_archE1030ELNS1_3gpuE2ELNS1_3repE0EEENS1_60segmented_radix_sort_warp_sort_medium_config_static_selectorELNS0_4arch9wavefront6targetE0EEEvSH_,@function
_ZN7rocprim17ROCPRIM_400000_NS6detail17trampoline_kernelINS0_14default_configENS1_36segmented_radix_sort_config_selectorIllEEZNS1_25segmented_radix_sort_implIS3_Lb0EPKlPlS8_S9_N2at6native12_GLOBAL__N_18offset_tEEE10hipError_tPvRmT1_PNSt15iterator_traitsISH_E10value_typeET2_T3_PNSI_ISN_E10value_typeET4_jRbjT5_ST_jjP12ihipStream_tbEUlT_E0_NS1_11comp_targetILNS1_3genE8ELNS1_11target_archE1030ELNS1_3gpuE2ELNS1_3repE0EEENS1_60segmented_radix_sort_warp_sort_medium_config_static_selectorELNS0_4arch9wavefront6targetE0EEEvSH_: ; @_ZN7rocprim17ROCPRIM_400000_NS6detail17trampoline_kernelINS0_14default_configENS1_36segmented_radix_sort_config_selectorIllEEZNS1_25segmented_radix_sort_implIS3_Lb0EPKlPlS8_S9_N2at6native12_GLOBAL__N_18offset_tEEE10hipError_tPvRmT1_PNSt15iterator_traitsISH_E10value_typeET2_T3_PNSI_ISN_E10value_typeET4_jRbjT5_ST_jjP12ihipStream_tbEUlT_E0_NS1_11comp_targetILNS1_3genE8ELNS1_11target_archE1030ELNS1_3gpuE2ELNS1_3repE0EEENS1_60segmented_radix_sort_warp_sort_medium_config_static_selectorELNS0_4arch9wavefront6targetE0EEEvSH_
; %bb.0:
	.section	.rodata,"a",@progbits
	.p2align	6, 0x0
	.amdhsa_kernel _ZN7rocprim17ROCPRIM_400000_NS6detail17trampoline_kernelINS0_14default_configENS1_36segmented_radix_sort_config_selectorIllEEZNS1_25segmented_radix_sort_implIS3_Lb0EPKlPlS8_S9_N2at6native12_GLOBAL__N_18offset_tEEE10hipError_tPvRmT1_PNSt15iterator_traitsISH_E10value_typeET2_T3_PNSI_ISN_E10value_typeET4_jRbjT5_ST_jjP12ihipStream_tbEUlT_E0_NS1_11comp_targetILNS1_3genE8ELNS1_11target_archE1030ELNS1_3gpuE2ELNS1_3repE0EEENS1_60segmented_radix_sort_warp_sort_medium_config_static_selectorELNS0_4arch9wavefront6targetE0EEEvSH_
		.amdhsa_group_segment_fixed_size 0
		.amdhsa_private_segment_fixed_size 0
		.amdhsa_kernarg_size 88
		.amdhsa_user_sgpr_count 2
		.amdhsa_user_sgpr_dispatch_ptr 0
		.amdhsa_user_sgpr_queue_ptr 0
		.amdhsa_user_sgpr_kernarg_segment_ptr 1
		.amdhsa_user_sgpr_dispatch_id 0
		.amdhsa_user_sgpr_kernarg_preload_length 0
		.amdhsa_user_sgpr_kernarg_preload_offset 0
		.amdhsa_user_sgpr_private_segment_size 0
		.amdhsa_wavefront_size32 1
		.amdhsa_uses_dynamic_stack 0
		.amdhsa_enable_private_segment 0
		.amdhsa_system_sgpr_workgroup_id_x 1
		.amdhsa_system_sgpr_workgroup_id_y 0
		.amdhsa_system_sgpr_workgroup_id_z 0
		.amdhsa_system_sgpr_workgroup_info 0
		.amdhsa_system_vgpr_workitem_id 0
		.amdhsa_next_free_vgpr 1
		.amdhsa_next_free_sgpr 1
		.amdhsa_named_barrier_count 0
		.amdhsa_reserve_vcc 0
		.amdhsa_float_round_mode_32 0
		.amdhsa_float_round_mode_16_64 0
		.amdhsa_float_denorm_mode_32 3
		.amdhsa_float_denorm_mode_16_64 3
		.amdhsa_fp16_overflow 0
		.amdhsa_memory_ordered 1
		.amdhsa_forward_progress 1
		.amdhsa_inst_pref_size 0
		.amdhsa_round_robin_scheduling 0
		.amdhsa_exception_fp_ieee_invalid_op 0
		.amdhsa_exception_fp_denorm_src 0
		.amdhsa_exception_fp_ieee_div_zero 0
		.amdhsa_exception_fp_ieee_overflow 0
		.amdhsa_exception_fp_ieee_underflow 0
		.amdhsa_exception_fp_ieee_inexact 0
		.amdhsa_exception_int_div_zero 0
	.end_amdhsa_kernel
	.section	.text._ZN7rocprim17ROCPRIM_400000_NS6detail17trampoline_kernelINS0_14default_configENS1_36segmented_radix_sort_config_selectorIllEEZNS1_25segmented_radix_sort_implIS3_Lb0EPKlPlS8_S9_N2at6native12_GLOBAL__N_18offset_tEEE10hipError_tPvRmT1_PNSt15iterator_traitsISH_E10value_typeET2_T3_PNSI_ISN_E10value_typeET4_jRbjT5_ST_jjP12ihipStream_tbEUlT_E0_NS1_11comp_targetILNS1_3genE8ELNS1_11target_archE1030ELNS1_3gpuE2ELNS1_3repE0EEENS1_60segmented_radix_sort_warp_sort_medium_config_static_selectorELNS0_4arch9wavefront6targetE0EEEvSH_,"axG",@progbits,_ZN7rocprim17ROCPRIM_400000_NS6detail17trampoline_kernelINS0_14default_configENS1_36segmented_radix_sort_config_selectorIllEEZNS1_25segmented_radix_sort_implIS3_Lb0EPKlPlS8_S9_N2at6native12_GLOBAL__N_18offset_tEEE10hipError_tPvRmT1_PNSt15iterator_traitsISH_E10value_typeET2_T3_PNSI_ISN_E10value_typeET4_jRbjT5_ST_jjP12ihipStream_tbEUlT_E0_NS1_11comp_targetILNS1_3genE8ELNS1_11target_archE1030ELNS1_3gpuE2ELNS1_3repE0EEENS1_60segmented_radix_sort_warp_sort_medium_config_static_selectorELNS0_4arch9wavefront6targetE0EEEvSH_,comdat
.Lfunc_end822:
	.size	_ZN7rocprim17ROCPRIM_400000_NS6detail17trampoline_kernelINS0_14default_configENS1_36segmented_radix_sort_config_selectorIllEEZNS1_25segmented_radix_sort_implIS3_Lb0EPKlPlS8_S9_N2at6native12_GLOBAL__N_18offset_tEEE10hipError_tPvRmT1_PNSt15iterator_traitsISH_E10value_typeET2_T3_PNSI_ISN_E10value_typeET4_jRbjT5_ST_jjP12ihipStream_tbEUlT_E0_NS1_11comp_targetILNS1_3genE8ELNS1_11target_archE1030ELNS1_3gpuE2ELNS1_3repE0EEENS1_60segmented_radix_sort_warp_sort_medium_config_static_selectorELNS0_4arch9wavefront6targetE0EEEvSH_, .Lfunc_end822-_ZN7rocprim17ROCPRIM_400000_NS6detail17trampoline_kernelINS0_14default_configENS1_36segmented_radix_sort_config_selectorIllEEZNS1_25segmented_radix_sort_implIS3_Lb0EPKlPlS8_S9_N2at6native12_GLOBAL__N_18offset_tEEE10hipError_tPvRmT1_PNSt15iterator_traitsISH_E10value_typeET2_T3_PNSI_ISN_E10value_typeET4_jRbjT5_ST_jjP12ihipStream_tbEUlT_E0_NS1_11comp_targetILNS1_3genE8ELNS1_11target_archE1030ELNS1_3gpuE2ELNS1_3repE0EEENS1_60segmented_radix_sort_warp_sort_medium_config_static_selectorELNS0_4arch9wavefront6targetE0EEEvSH_
                                        ; -- End function
	.set _ZN7rocprim17ROCPRIM_400000_NS6detail17trampoline_kernelINS0_14default_configENS1_36segmented_radix_sort_config_selectorIllEEZNS1_25segmented_radix_sort_implIS3_Lb0EPKlPlS8_S9_N2at6native12_GLOBAL__N_18offset_tEEE10hipError_tPvRmT1_PNSt15iterator_traitsISH_E10value_typeET2_T3_PNSI_ISN_E10value_typeET4_jRbjT5_ST_jjP12ihipStream_tbEUlT_E0_NS1_11comp_targetILNS1_3genE8ELNS1_11target_archE1030ELNS1_3gpuE2ELNS1_3repE0EEENS1_60segmented_radix_sort_warp_sort_medium_config_static_selectorELNS0_4arch9wavefront6targetE0EEEvSH_.num_vgpr, 0
	.set _ZN7rocprim17ROCPRIM_400000_NS6detail17trampoline_kernelINS0_14default_configENS1_36segmented_radix_sort_config_selectorIllEEZNS1_25segmented_radix_sort_implIS3_Lb0EPKlPlS8_S9_N2at6native12_GLOBAL__N_18offset_tEEE10hipError_tPvRmT1_PNSt15iterator_traitsISH_E10value_typeET2_T3_PNSI_ISN_E10value_typeET4_jRbjT5_ST_jjP12ihipStream_tbEUlT_E0_NS1_11comp_targetILNS1_3genE8ELNS1_11target_archE1030ELNS1_3gpuE2ELNS1_3repE0EEENS1_60segmented_radix_sort_warp_sort_medium_config_static_selectorELNS0_4arch9wavefront6targetE0EEEvSH_.num_agpr, 0
	.set _ZN7rocprim17ROCPRIM_400000_NS6detail17trampoline_kernelINS0_14default_configENS1_36segmented_radix_sort_config_selectorIllEEZNS1_25segmented_radix_sort_implIS3_Lb0EPKlPlS8_S9_N2at6native12_GLOBAL__N_18offset_tEEE10hipError_tPvRmT1_PNSt15iterator_traitsISH_E10value_typeET2_T3_PNSI_ISN_E10value_typeET4_jRbjT5_ST_jjP12ihipStream_tbEUlT_E0_NS1_11comp_targetILNS1_3genE8ELNS1_11target_archE1030ELNS1_3gpuE2ELNS1_3repE0EEENS1_60segmented_radix_sort_warp_sort_medium_config_static_selectorELNS0_4arch9wavefront6targetE0EEEvSH_.numbered_sgpr, 0
	.set _ZN7rocprim17ROCPRIM_400000_NS6detail17trampoline_kernelINS0_14default_configENS1_36segmented_radix_sort_config_selectorIllEEZNS1_25segmented_radix_sort_implIS3_Lb0EPKlPlS8_S9_N2at6native12_GLOBAL__N_18offset_tEEE10hipError_tPvRmT1_PNSt15iterator_traitsISH_E10value_typeET2_T3_PNSI_ISN_E10value_typeET4_jRbjT5_ST_jjP12ihipStream_tbEUlT_E0_NS1_11comp_targetILNS1_3genE8ELNS1_11target_archE1030ELNS1_3gpuE2ELNS1_3repE0EEENS1_60segmented_radix_sort_warp_sort_medium_config_static_selectorELNS0_4arch9wavefront6targetE0EEEvSH_.num_named_barrier, 0
	.set _ZN7rocprim17ROCPRIM_400000_NS6detail17trampoline_kernelINS0_14default_configENS1_36segmented_radix_sort_config_selectorIllEEZNS1_25segmented_radix_sort_implIS3_Lb0EPKlPlS8_S9_N2at6native12_GLOBAL__N_18offset_tEEE10hipError_tPvRmT1_PNSt15iterator_traitsISH_E10value_typeET2_T3_PNSI_ISN_E10value_typeET4_jRbjT5_ST_jjP12ihipStream_tbEUlT_E0_NS1_11comp_targetILNS1_3genE8ELNS1_11target_archE1030ELNS1_3gpuE2ELNS1_3repE0EEENS1_60segmented_radix_sort_warp_sort_medium_config_static_selectorELNS0_4arch9wavefront6targetE0EEEvSH_.private_seg_size, 0
	.set _ZN7rocprim17ROCPRIM_400000_NS6detail17trampoline_kernelINS0_14default_configENS1_36segmented_radix_sort_config_selectorIllEEZNS1_25segmented_radix_sort_implIS3_Lb0EPKlPlS8_S9_N2at6native12_GLOBAL__N_18offset_tEEE10hipError_tPvRmT1_PNSt15iterator_traitsISH_E10value_typeET2_T3_PNSI_ISN_E10value_typeET4_jRbjT5_ST_jjP12ihipStream_tbEUlT_E0_NS1_11comp_targetILNS1_3genE8ELNS1_11target_archE1030ELNS1_3gpuE2ELNS1_3repE0EEENS1_60segmented_radix_sort_warp_sort_medium_config_static_selectorELNS0_4arch9wavefront6targetE0EEEvSH_.uses_vcc, 0
	.set _ZN7rocprim17ROCPRIM_400000_NS6detail17trampoline_kernelINS0_14default_configENS1_36segmented_radix_sort_config_selectorIllEEZNS1_25segmented_radix_sort_implIS3_Lb0EPKlPlS8_S9_N2at6native12_GLOBAL__N_18offset_tEEE10hipError_tPvRmT1_PNSt15iterator_traitsISH_E10value_typeET2_T3_PNSI_ISN_E10value_typeET4_jRbjT5_ST_jjP12ihipStream_tbEUlT_E0_NS1_11comp_targetILNS1_3genE8ELNS1_11target_archE1030ELNS1_3gpuE2ELNS1_3repE0EEENS1_60segmented_radix_sort_warp_sort_medium_config_static_selectorELNS0_4arch9wavefront6targetE0EEEvSH_.uses_flat_scratch, 0
	.set _ZN7rocprim17ROCPRIM_400000_NS6detail17trampoline_kernelINS0_14default_configENS1_36segmented_radix_sort_config_selectorIllEEZNS1_25segmented_radix_sort_implIS3_Lb0EPKlPlS8_S9_N2at6native12_GLOBAL__N_18offset_tEEE10hipError_tPvRmT1_PNSt15iterator_traitsISH_E10value_typeET2_T3_PNSI_ISN_E10value_typeET4_jRbjT5_ST_jjP12ihipStream_tbEUlT_E0_NS1_11comp_targetILNS1_3genE8ELNS1_11target_archE1030ELNS1_3gpuE2ELNS1_3repE0EEENS1_60segmented_radix_sort_warp_sort_medium_config_static_selectorELNS0_4arch9wavefront6targetE0EEEvSH_.has_dyn_sized_stack, 0
	.set _ZN7rocprim17ROCPRIM_400000_NS6detail17trampoline_kernelINS0_14default_configENS1_36segmented_radix_sort_config_selectorIllEEZNS1_25segmented_radix_sort_implIS3_Lb0EPKlPlS8_S9_N2at6native12_GLOBAL__N_18offset_tEEE10hipError_tPvRmT1_PNSt15iterator_traitsISH_E10value_typeET2_T3_PNSI_ISN_E10value_typeET4_jRbjT5_ST_jjP12ihipStream_tbEUlT_E0_NS1_11comp_targetILNS1_3genE8ELNS1_11target_archE1030ELNS1_3gpuE2ELNS1_3repE0EEENS1_60segmented_radix_sort_warp_sort_medium_config_static_selectorELNS0_4arch9wavefront6targetE0EEEvSH_.has_recursion, 0
	.set _ZN7rocprim17ROCPRIM_400000_NS6detail17trampoline_kernelINS0_14default_configENS1_36segmented_radix_sort_config_selectorIllEEZNS1_25segmented_radix_sort_implIS3_Lb0EPKlPlS8_S9_N2at6native12_GLOBAL__N_18offset_tEEE10hipError_tPvRmT1_PNSt15iterator_traitsISH_E10value_typeET2_T3_PNSI_ISN_E10value_typeET4_jRbjT5_ST_jjP12ihipStream_tbEUlT_E0_NS1_11comp_targetILNS1_3genE8ELNS1_11target_archE1030ELNS1_3gpuE2ELNS1_3repE0EEENS1_60segmented_radix_sort_warp_sort_medium_config_static_selectorELNS0_4arch9wavefront6targetE0EEEvSH_.has_indirect_call, 0
	.section	.AMDGPU.csdata,"",@progbits
; Kernel info:
; codeLenInByte = 0
; TotalNumSgprs: 0
; NumVgprs: 0
; ScratchSize: 0
; MemoryBound: 0
; FloatMode: 240
; IeeeMode: 1
; LDSByteSize: 0 bytes/workgroup (compile time only)
; SGPRBlocks: 0
; VGPRBlocks: 0
; NumSGPRsForWavesPerEU: 1
; NumVGPRsForWavesPerEU: 1
; NamedBarCnt: 0
; Occupancy: 16
; WaveLimiterHint : 0
; COMPUTE_PGM_RSRC2:SCRATCH_EN: 0
; COMPUTE_PGM_RSRC2:USER_SGPR: 2
; COMPUTE_PGM_RSRC2:TRAP_HANDLER: 0
; COMPUTE_PGM_RSRC2:TGID_X_EN: 1
; COMPUTE_PGM_RSRC2:TGID_Y_EN: 0
; COMPUTE_PGM_RSRC2:TGID_Z_EN: 0
; COMPUTE_PGM_RSRC2:TIDIG_COMP_CNT: 0
	.text
	.p2align	2                               ; -- Begin function _ZN7rocprim17ROCPRIM_400000_NS6detail26segmented_warp_sort_helperINS1_20WarpSortHelperConfigILj8ELj4ELj256EEEllLi256ELb0EvE4sortIPKlPlS8_S9_EEvT_T0_T1_T2_jjjjRNS5_12storage_typeE
	.type	_ZN7rocprim17ROCPRIM_400000_NS6detail26segmented_warp_sort_helperINS1_20WarpSortHelperConfigILj8ELj4ELj256EEEllLi256ELb0EvE4sortIPKlPlS8_S9_EEvT_T0_T1_T2_jjjjRNS5_12storage_typeE,@function
_ZN7rocprim17ROCPRIM_400000_NS6detail26segmented_warp_sort_helperINS1_20WarpSortHelperConfigILj8ELj4ELj256EEEllLi256ELb0EvE4sortIPKlPlS8_S9_EEvT_T0_T1_T2_jjjjRNS5_12storage_typeE: ; @_ZN7rocprim17ROCPRIM_400000_NS6detail26segmented_warp_sort_helperINS1_20WarpSortHelperConfigILj8ELj4ELj256EEEllLi256ELb0EvE4sortIPKlPlS8_S9_EEvT_T0_T1_T2_jjjjRNS5_12storage_typeE
; %bb.0:
	s_wait_loadcnt_dscnt 0x0
	s_wait_kmcnt 0x0
	v_mov_b32_e32 v14, v9
	v_mbcnt_lo_u32_b32 v9, -1, 0
	s_mov_b32 s0, -1
	s_delay_alu instid0(VALU_DEP_1) | instskip(NEXT) | instid1(VALU_DEP_3)
	v_dual_mov_b32 v9, 0 :: v_dual_lshlrev_b32 v52, 2, v9
	v_sub_nc_u32_e32 v26, v14, v8
	v_mov_b64_e32 v[14:15], 0x7fffffffffffffff
	s_delay_alu instid0(VALU_DEP_3) | instskip(NEXT) | instid1(VALU_DEP_4)
	v_and_b32_e32 v53, 28, v52
	v_lshl_add_u64 v[16:17], v[8:9], 3, v[0:1]
	s_delay_alu instid0(VALU_DEP_2) | instskip(SKIP_1) | instid1(VALU_DEP_2)
	v_dual_mov_b32 v1, v9 :: v_dual_lshlrev_b32 v0, 3, v53
	v_cmp_lt_u32_e32 vcc_lo, v53, v26
	v_add_nc_u64_e32 v[24:25], v[16:17], v[0:1]
	v_mov_b64_e32 v[16:17], 0x7fffffffffffffff
	s_and_saveexec_b32 s1, vcc_lo
	s_cbranch_execz .LBB823_2
; %bb.1:
	flat_load_b64 v[14:15], v[24:25]
.LBB823_2:
	s_wait_xcnt 0x0
	s_or_b32 exec_lo, exec_lo, s1
	v_dual_mov_b32 v36, s0 :: v_dual_bitop2_b32 v1, 1, v53 bitop3:0x54
	s_brev_b32 s1, -2
	s_delay_alu instid0(SALU_CYCLE_1)
	v_dual_mov_b32 v18, s0 :: v_dual_mov_b32 v19, s1
	v_dual_mov_b32 v37, s1 :: v_dual_mov_b32 v38, s0
	v_mov_b32_e32 v39, s1
	v_cmp_lt_u32_e64 s0, v1, v26
	s_and_saveexec_b32 s2, s0
	s_cbranch_execz .LBB823_4
; %bb.3:
	flat_load_b64 v[18:19], v[24:25] offset:8
	s_mov_b32 s3, -1
	s_delay_alu instid0(SALU_CYCLE_1)
	v_dual_mov_b32 v37, s1 :: v_dual_mov_b32 v36, s3
	v_dual_mov_b32 v38, s3 :: v_dual_mov_b32 v39, s1
	s_wait_loadcnt_dscnt 0x0
	v_mov_b64_e32 v[16:17], v[18:19]
.LBB823_4:
	s_wait_xcnt 0x0
	s_or_b32 exec_lo, exec_lo, s2
	v_or_b32_e32 v1, 2, v53
	v_mov_b64_e32 v[20:21], 0x7fffffffffffffff
	v_mov_b64_e32 v[22:23], 0x7fffffffffffffff
	s_delay_alu instid0(VALU_DEP_3)
	v_cmp_lt_u32_e64 s1, v1, v26
	s_and_saveexec_b32 s2, s1
	s_cbranch_execz .LBB823_6
; %bb.5:
	flat_load_b64 v[36:37], v[24:25] offset:16
	s_mov_b32 s3, -1
	s_brev_b32 s4, -2
	s_delay_alu instid0(SALU_CYCLE_1)
	v_dual_mov_b32 v38, s3 :: v_dual_mov_b32 v39, s4
	s_wait_loadcnt_dscnt 0x0
	v_mov_b64_e32 v[22:23], v[36:37]
.LBB823_6:
	s_wait_xcnt 0x0
	s_or_b32 exec_lo, exec_lo, s2
	v_or_b32_e32 v1, 3, v53
	s_delay_alu instid0(VALU_DEP_1)
	v_cmp_lt_u32_e64 s2, v1, v26
	s_and_saveexec_b32 s3, s2
	s_cbranch_execz .LBB823_8
; %bb.7:
	flat_load_b64 v[38:39], v[24:25] offset:24
	s_wait_loadcnt_dscnt 0x0
	v_mov_b64_e32 v[20:21], v[38:39]
.LBB823_8:
	s_wait_xcnt 0x0
	s_or_b32 exec_lo, exec_lo, s3
	v_lshl_add_u64 v[4:5], v[8:9], 3, v[4:5]
	v_mov_b32_e32 v1, 0
	; wave barrier
	s_delay_alu instid0(VALU_DEP_1)
	v_add_nc_u64_e32 v[24:25], v[4:5], v[0:1]
                                        ; implicit-def: $vgpr4_vgpr5
	s_and_saveexec_b32 s3, vcc_lo
	s_cbranch_execnz .LBB823_107
; %bb.9:
	s_or_b32 exec_lo, exec_lo, s3
                                        ; implicit-def: $vgpr34_vgpr35
	s_and_saveexec_b32 s3, s0
	s_cbranch_execnz .LBB823_108
.LBB823_10:
	s_or_b32 exec_lo, exec_lo, s3
                                        ; implicit-def: $vgpr28_vgpr29
	s_and_saveexec_b32 s3, s1
	s_cbranch_execnz .LBB823_109
.LBB823_11:
	s_or_b32 exec_lo, exec_lo, s3
                                        ; implicit-def: $vgpr32_vgpr33
	s_and_saveexec_b32 s3, s2
	s_cbranch_execz .LBB823_13
.LBB823_12:
	flat_load_b64 v[32:33], v[24:25] offset:24
.LBB823_13:
	s_wait_xcnt 0x0
	s_or_b32 exec_lo, exec_lo, s3
	v_cmp_ne_u32_e64 s3, 0, v10
	v_cmp_ne_u32_e64 s4, 64, v11
	v_bfe_u32 v24, v31, 10, 10
	v_bfe_u32 v25, v31, 20, 10
	v_and_b32_e32 v1, 0x3ff, v31
	s_mov_b32 s5, 0
	s_or_b32 s3, s3, s4
	s_getreg_b32 s11, hwreg(HW_REG_IB_STS2, 6, 4)
	; wave barrier
	s_and_saveexec_b32 s4, s3
	s_delay_alu instid0(SALU_CYCLE_1)
	s_xor_b32 s12, exec_lo, s4
	s_cbranch_execz .LBB823_55
; %bb.14:
	s_load_b64 s[6:7], s[8:9], 0x0
	s_bfe_u32 s4, ttmp6, 0x4000c
	s_bfe_u32 s13, ttmp6, 0x40010
	s_and_b32 s10, ttmp7, 0xffff
	s_add_co_i32 s4, s4, 1
	s_add_co_i32 s13, s13, 1
	s_and_b32 s3, ttmp6, 15
	s_bfe_u32 s14, ttmp6, 0x40004
	s_mul_i32 s4, ttmp9, s4
	s_mul_i32 s13, s10, s13
	s_add_co_i32 s3, s3, s4
	s_add_co_i32 s14, s14, s13
	s_cmp_eq_u32 s11, 0
	v_lshlrev_b64_e64 v[26:27], v10, -1
	s_cselect_b32 s3, ttmp9, s3
	s_cselect_b32 s10, s10, s14
	s_wait_kmcnt 0x0
	s_cmp_lt_u32 s3, s6
	s_cselect_b32 s4, 12, 18
	s_cmp_lt_u32 s10, s7
	s_mov_b32 s7, s5
	s_cselect_b32 s6, 14, 20
	s_add_nc_u64 s[4:5], s[8:9], s[4:5]
	s_add_nc_u64 s[6:7], s[8:9], s[6:7]
	s_clause 0x1
	s_load_u16 s4, s[4:5], 0x0
	s_nop 0
	s_load_u16 s3, s[6:7], 0x0
	s_wait_xcnt 0x0
	s_mov_b32 s6, exec_lo
	s_wait_kmcnt 0x0
	v_mad_u32_u24 v24, v25, s3, v24
	s_delay_alu instid0(VALU_DEP_1) | instskip(SKIP_1) | instid1(VALU_DEP_1)
	v_mul_lo_u32 v30, v24, s4
	v_lshlrev_b64_e64 v[24:25], v11, -1
	v_xor_b32_e32 v10, v24, v26
	s_delay_alu instid0(VALU_DEP_3) | instskip(NEXT) | instid1(VALU_DEP_3)
	v_add_lshl_u32 v11, v30, v1, 2
	v_xor_b32_e32 v1, v25, v27
	s_delay_alu instid0(VALU_DEP_2)
	v_cmpx_gt_u32_e32 0x400, v11
	s_cbranch_execz .LBB823_24
; %bb.15:
	s_delay_alu instid0(VALU_DEP_2)
	v_and_b32_e32 v17, v17, v1
	v_and_b32_e32 v16, v16, v10
	s_wait_loadcnt_dscnt 0x0
	v_and_b32_e32 v21, v15, v1
	v_and_b32_e32 v20, v14, v10
	v_mov_b64_e32 v[30:31], v[28:29]
	v_mov_b64_e32 v[26:27], v[36:37]
	s_mov_b32 s5, exec_lo
	s_delay_alu instid0(VALU_DEP_3) | instskip(SKIP_3) | instid1(VALU_DEP_4)
	v_cmp_gt_u64_e64 s3, v[20:21], v[16:17]
	v_and_b32_e32 v21, v39, v1
	v_and_b32_e32 v20, v38, v10
	;; [unrolled: 1-line block ×3, first 2 shown]
	v_dual_cndmask_b32 v25, v19, v15, s3 :: v_dual_bitop2_b32 v16, v36, v10 bitop3:0x40
	v_dual_cndmask_b32 v24, v18, v14, s3 :: v_dual_cndmask_b32 v23, v15, v19, s3
	v_cndmask_b32_e64 v22, v14, v18, s3
	s_delay_alu instid0(VALU_DEP_3)
	v_cmpx_gt_u64_e64 v[16:17], v[20:21]
	s_cbranch_execz .LBB823_17
; %bb.16:
	v_mov_b64_e32 v[14:15], v[36:37]
	v_mov_b64_e32 v[30:31], v[32:33]
	;; [unrolled: 1-line block ×7, first 2 shown]
.LBB823_17:
	s_or_b32 exec_lo, exec_lo, s5
	s_delay_alu instid0(VALU_DEP_1) | instskip(SKIP_1) | instid1(VALU_DEP_3)
	v_dual_mov_b32 v29, v39 :: v_dual_bitop2_b32 v49, v25, v1 bitop3:0x40
	v_dual_cndmask_b32 v50, v34, v4, s3 :: v_dual_bitop2_b32 v48, v24, v10 bitop3:0x40
	v_dual_cndmask_b32 v51, v35, v5, s3 :: v_dual_mov_b32 v28, v38
	s_delay_alu instid0(VALU_DEP_2)
	v_cmp_gt_u64_e64 s4, v[48:49], v[16:17]
	v_mov_b64_e32 v[14:15], v[22:23]
	v_mov_b64_e32 v[16:17], v[24:25]
	;; [unrolled: 1-line block ×5, first 2 shown]
	s_and_saveexec_b32 s5, s4
	s_delay_alu instid0(SALU_CYCLE_1)
	s_xor_b32 s4, exec_lo, s5
	s_cbranch_execz .LBB823_19
; %bb.18:
	v_mov_b64_e32 v[14:15], v[22:23]
	s_delay_alu instid0(VALU_DEP_2)
	v_mov_b64_e32 v[18:19], v[26:27]
	v_mov_b64_e32 v[16:17], v[24:25]
	;; [unrolled: 1-line block ×3, first 2 shown]
	v_dual_mov_b32 v18, v24 :: v_dual_mov_b32 v19, v25
	v_mov_b64_e32 v[26:27], v[30:31]
	v_mov_b64_e32 v[30:31], v[50:51]
	;; [unrolled: 1-line block ×3, first 2 shown]
	v_dual_mov_b32 v16, v36 :: v_dual_bitop2_b32 v49, v37, v1 bitop3:0x40
	v_dual_mov_b32 v17, v37 :: v_dual_bitop2_b32 v48, v36, v10 bitop3:0x40
	v_dual_mov_b32 v20, v38 :: v_dual_mov_b32 v21, v39
.LBB823_19:
	s_or_b32 exec_lo, exec_lo, s4
	v_and_b32_e32 v23, v23, v1
	v_and_b32_e32 v22, v22, v10
	v_mov_b64_e32 v[36:37], v[30:31]
	v_and_b32_e32 v29, v19, v1
	v_and_b32_e32 v28, v18, v10
	s_mov_b32 s7, exec_lo
	v_cmp_gt_u64_e64 s4, v[22:23], v[48:49]
	v_mov_b64_e32 v[22:23], v[18:19]
	v_and_b32_e32 v39, v21, v1
	s_delay_alu instid0(VALU_DEP_3) | instskip(SKIP_2) | instid1(VALU_DEP_3)
	v_dual_cndmask_b32 v17, v17, v15, s4 :: v_dual_bitop2_b32 v38, v20, v10 bitop3:0x40
	v_dual_cndmask_b32 v16, v16, v14, s4 :: v_dual_cndmask_b32 v15, v15, v25, s4
	v_cndmask_b32_e64 v14, v14, v24, s4
	v_cmpx_gt_u64_e64 v[28:29], v[38:39]
	s_cbranch_execz .LBB823_21
; %bb.20:
	v_mov_b64_e32 v[24:25], v[18:19]
	v_mov_b64_e32 v[36:37], v[32:33]
	;; [unrolled: 1-line block ×7, first 2 shown]
.LBB823_21:
	s_or_b32 exec_lo, exec_lo, s7
	v_dual_cndmask_b32 v30, v5, v35, s3 :: v_dual_cndmask_b32 v31, v4, v34, s3
	v_and_b32_e32 v25, v17, v1
	s_delay_alu instid0(VALU_DEP_2) | instskip(NEXT) | instid1(VALU_DEP_3)
	v_dual_cndmask_b32 v5, v30, v27, s4 :: v_dual_bitop2_b32 v24, v16, v10 bitop3:0x40
	v_dual_cndmask_b32 v34, v26, v31, s4 :: v_dual_cndmask_b32 v4, v31, v26, s4
	s_delay_alu instid0(VALU_DEP_2)
	v_cmp_gt_u64_e64 s3, v[24:25], v[28:29]
	v_mov_b64_e32 v[28:29], v[36:37]
	v_cndmask_b32_e64 v35, v27, v30, s4
	s_and_saveexec_b32 s4, s3
; %bb.22:
	v_mov_b64_e32 v[22:23], v[16:17]
	v_mov_b64_e32 v[16:17], v[18:19]
	s_delay_alu instid0(VALU_DEP_3)
	v_mov_b64_e32 v[28:29], v[34:35]
	v_mov_b64_e32 v[34:35], v[36:37]
; %bb.23:
	s_or_b32 exec_lo, exec_lo, s4
.LBB823_24:
	s_delay_alu instid0(SALU_CYCLE_1) | instskip(SKIP_4) | instid1(VALU_DEP_3)
	s_or_b32 exec_lo, exec_lo, s6
	v_and_b32_e32 v18, 0xffffff80, v11
	v_dual_mov_b32 v19, 0 :: v_dual_bitop2_b32 v24, 4, v52 bitop3:0x54
	v_and_b32_e32 v50, 0x78, v52
	s_mov_b32 s4, exec_lo
	v_sub_nc_u32_e64 v11, 0x400, v18 clamp
	s_delay_alu instid0(VALU_DEP_3) | instskip(NEXT) | instid1(VALU_DEP_2)
	v_lshl_add_u64 v[12:13], v[18:19], 3, v[12:13]
	v_min_u32_e32 v48, v11, v24
	v_and_b32_e32 v18, 4, v52
	s_delay_alu instid0(VALU_DEP_3) | instskip(NEXT) | instid1(VALU_DEP_3)
	v_lshl_add_u32 v26, v52, 3, v12
	v_add_min_u32_e64 v49, v48, 4, v11
	v_sub_nc_u32_e32 v24, v48, v50
	s_delay_alu instid0(VALU_DEP_4) | instskip(NEXT) | instid1(VALU_DEP_4)
	v_min_u32_e32 v51, v11, v18
	v_add_nc_u32_e32 v25, 0x2000, v26
	s_wait_loadcnt_dscnt 0x0
	ds_store_b64 v26, v[4:5] offset:8192
	ds_store_2addr_b64 v26, v[14:15], v[16:17] offset1:1
	ds_store_2addr_b64 v25, v[34:35], v[28:29] offset0:1 offset1:2
	ds_store_2addr_b64 v26, v[22:23], v[20:21] offset0:2 offset1:3
	ds_store_b64 v26, v[32:33] offset:8216
	v_sub_nc_u32_e32 v18, v49, v48
	v_min_u32_e32 v27, v51, v24
	; wave barrier
	s_delay_alu instid0(VALU_DEP_2) | instskip(NEXT) | instid1(VALU_DEP_1)
	v_sub_nc_u32_e64 v54, v51, v18 clamp
	v_cmpx_lt_u32_e64 v54, v27
	s_cbranch_execz .LBB823_28
; %bb.25:
	v_lshlrev_b32_e32 v18, 3, v50
	s_mov_b32 s5, 0
	s_delay_alu instid0(VALU_DEP_1) | instskip(SKIP_1) | instid1(VALU_DEP_1)
	v_add_nc_u64_e32 v[24:25], v[12:13], v[18:19]
	v_lshlrev_b32_e32 v18, 3, v48
	v_add_nc_u64_e32 v[18:19], v[12:13], v[18:19]
.LBB823_26:                             ; =>This Inner Loop Header: Depth=1
	v_add_nc_u32_e32 v19, v27, v54
	s_delay_alu instid0(VALU_DEP_1) | instskip(NEXT) | instid1(VALU_DEP_1)
	v_lshrrev_b32_e32 v19, 1, v19
	v_xad_u32 v25, v19, -1, v51
	v_lshl_add_u32 v30, v19, 3, v24
	s_delay_alu instid0(VALU_DEP_2)
	v_lshl_add_u32 v25, v25, 3, v18
	ds_load_b64 v[30:31], v30
	ds_load_b64 v[36:37], v25
	s_wait_dscnt 0x1
	v_and_b32_e32 v31, v31, v1
	v_dual_add_nc_u32 v25, 1, v19 :: v_dual_bitop2_b32 v30, v30, v10 bitop3:0x40
	s_wait_dscnt 0x0
	v_and_b32_e32 v37, v37, v1
	v_and_b32_e32 v36, v36, v10
	s_delay_alu instid0(VALU_DEP_1) | instskip(NEXT) | instid1(VALU_DEP_1)
	v_cmp_gt_u64_e64 s3, v[30:31], v[36:37]
	v_dual_cndmask_b32 v27, v27, v19, s3 :: v_dual_cndmask_b32 v54, v25, v54, s3
	s_delay_alu instid0(VALU_DEP_1) | instskip(SKIP_1) | instid1(SALU_CYCLE_1)
	v_cmp_ge_u32_e64 s3, v54, v27
	s_or_b32 s5, s3, s5
	s_and_not1_b32 exec_lo, exec_lo, s5
	s_cbranch_execnz .LBB823_26
; %bb.27:
	s_or_b32 exec_lo, exec_lo, s5
.LBB823_28:
	s_delay_alu instid0(SALU_CYCLE_1) | instskip(SKIP_4) | instid1(VALU_DEP_4)
	s_or_b32 exec_lo, exec_lo, s4
	v_dual_add_nc_u32 v27, 24, v26 :: v_dual_add_nc_u32 v19, v48, v51
	v_add_nc_u32_e32 v18, v54, v50
	v_add_nc_u32_e32 v39, 0x2000, v26
	v_dual_add_nc_u32 v31, 8, v26 :: v_dual_add_nc_u32 v37, 16, v26
	v_sub_nc_u32_e32 v19, v19, v54
	s_delay_alu instid0(VALU_DEP_4)
	v_cmp_le_u32_e64 s3, v18, v48
	v_add_nc_u32_e32 v36, 0x2008, v26
	v_add_nc_u32_e32 v38, 0x2010, v26
	;; [unrolled: 1-line block ×3, first 2 shown]
	v_cmp_le_u32_e64 s4, v19, v49
	s_or_b32 s3, s3, s4
	s_delay_alu instid0(SALU_CYCLE_1)
	s_and_saveexec_b32 s13, s3
	s_cbranch_execz .LBB823_34
; %bb.29:
	v_cmp_lt_u32_e64 s3, v18, v48
                                        ; implicit-def: $vgpr14_vgpr15
	s_and_saveexec_b32 s4, s3
; %bb.30:
	v_lshl_add_u32 v4, v18, 3, v12
	ds_load_b64 v[14:15], v4
; %bb.31:
	s_or_b32 exec_lo, exec_lo, s4
	v_cmp_ge_u32_e64 s4, v19, v49
	s_mov_b32 s6, exec_lo
                                        ; implicit-def: $vgpr16_vgpr17
	v_cmpx_lt_u32_e64 v19, v49
; %bb.32:
	v_lshl_add_u32 v4, v19, 3, v12
	ds_load_b64 v[16:17], v4
; %bb.33:
	s_or_b32 exec_lo, exec_lo, s6
	s_wait_dscnt 0x0
	v_and_b32_e32 v5, v17, v1
	v_and_b32_e32 v4, v16, v10
	;; [unrolled: 1-line block ×4, first 2 shown]
	s_delay_alu instid0(VALU_DEP_1) | instskip(SKIP_1) | instid1(SALU_CYCLE_1)
	v_cmp_le_u64_e64 s5, v[20:21], v[4:5]
	s_and_b32 s3, s3, s5
	s_or_b32 s3, s4, s3
	s_delay_alu instid0(SALU_CYCLE_1) | instskip(NEXT) | instid1(VALU_DEP_1)
	v_dual_cndmask_b32 v22, v19, v18, s3 :: v_dual_cndmask_b32 v4, v49, v48, s3
	v_add_nc_u32_e32 v23, 1, v22
	s_delay_alu instid0(VALU_DEP_1) | instskip(NEXT) | instid1(VALU_DEP_1)
	v_add_min_u32_e64 v4, v4, -1, v23
	v_lshl_add_u32 v4, v4, 3, v12
	ds_load_b64 v[4:5], v4
	s_wait_dscnt 0x0
	v_dual_cndmask_b32 v24, v5, v17, s3 :: v_dual_cndmask_b32 v25, v4, v16, s3
	v_dual_cndmask_b32 v50, v15, v5, s3 :: v_dual_cndmask_b32 v51, v14, v4, s3
	s_delay_alu instid0(VALU_DEP_2) | instskip(NEXT) | instid1(VALU_DEP_3)
	v_dual_cndmask_b32 v28, v18, v23, s3 :: v_dual_bitop2_b32 v5, v24, v1 bitop3:0x40
	v_and_b32_e32 v4, v25, v10
	s_delay_alu instid0(VALU_DEP_3) | instskip(NEXT) | instid1(VALU_DEP_4)
	v_dual_cndmask_b32 v23, v23, v19, s3 :: v_dual_bitop2_b32 v21, v50, v1 bitop3:0x40
	v_and_b32_e32 v20, v51, v10
	s_delay_alu instid0(VALU_DEP_4) | instskip(SKIP_1) | instid1(VALU_DEP_4)
	v_cmp_lt_u32_e64 s5, v28, v48
	v_cndmask_b32_e64 v14, v16, v14, s3
	v_cmp_ge_u32_e64 s6, v23, v49
	s_delay_alu instid0(VALU_DEP_4) | instskip(SKIP_1) | instid1(SALU_CYCLE_1)
	v_cmp_le_u64_e64 s4, v[20:21], v[4:5]
	s_and_b32 s4, s5, s4
	s_or_b32 s4, s6, s4
	s_delay_alu instid0(SALU_CYCLE_1) | instskip(SKIP_2) | instid1(VALU_DEP_2)
	v_dual_cndmask_b32 v15, v17, v15, s3 :: v_dual_cndmask_b32 v17, v24, v50, s4
	v_cndmask_b32_e64 v20, v23, v28, s4
	v_cndmask_b32_e64 v4, v49, v48, s4
	v_add_nc_u32_e32 v21, 1, v20
	s_delay_alu instid0(VALU_DEP_1) | instskip(NEXT) | instid1(VALU_DEP_1)
	v_add_min_u32_e64 v4, v4, -1, v21
	v_lshl_add_u32 v4, v4, 3, v12
	ds_load_b64 v[4:5], v4
	s_wait_dscnt 0x0
	v_dual_cndmask_b32 v55, v4, v25, s4 :: v_dual_cndmask_b32 v54, v5, v24, s4
	v_dual_cndmask_b32 v64, v50, v5, s4 :: v_dual_cndmask_b32 v65, v51, v4, s4
	s_delay_alu instid0(VALU_DEP_2) | instskip(NEXT) | instid1(VALU_DEP_3)
	v_dual_cndmask_b32 v28, v28, v21, s4 :: v_dual_bitop2_b32 v4, v55, v10 bitop3:0x40
	v_and_b32_e32 v5, v54, v1
	s_delay_alu instid0(VALU_DEP_3) | instskip(NEXT) | instid1(VALU_DEP_4)
	v_dual_cndmask_b32 v21, v21, v23, s4 :: v_dual_bitop2_b32 v19, v64, v1 bitop3:0x40
	v_and_b32_e32 v18, v65, v10
	s_delay_alu instid0(VALU_DEP_4) | instskip(NEXT) | instid1(VALU_DEP_3)
	v_cmp_lt_u32_e64 s6, v28, v48
	v_cmp_ge_u32_e64 s7, v21, v49
	s_delay_alu instid0(VALU_DEP_3) | instskip(SKIP_1) | instid1(SALU_CYCLE_1)
	v_cmp_le_u64_e64 s5, v[18:19], v[4:5]
	s_and_b32 s5, s6, s5
	s_or_b32 s5, s7, s5
	v_cndmask_b32_e64 v16, v25, v51, s4
	v_cndmask_b32_e64 v23, v21, v28, s5
	s_delay_alu instid0(VALU_DEP_1) | instskip(NEXT) | instid1(VALU_DEP_1)
	v_dual_cndmask_b32 v4, v49, v48, s5 :: v_dual_add_nc_u32 v29, 1, v23
	v_add_min_u32_e64 v4, v4, -1, v29
	v_cndmask_b32_e64 v21, v29, v21, s5
	v_cndmask_b32_e64 v28, v28, v29, s5
	s_delay_alu instid0(VALU_DEP_3) | instskip(NEXT) | instid1(VALU_DEP_3)
	v_lshl_add_u32 v4, v4, 3, v12
	v_cmp_ge_u32_e64 s10, v21, v49
	s_delay_alu instid0(VALU_DEP_3) | instskip(SKIP_4) | instid1(VALU_DEP_2)
	v_cmp_lt_u32_e64 s7, v28, v48
	ds_load_b64 v[4:5], v4
	s_wait_dscnt 0x0
	v_dual_cndmask_b32 v66, v5, v54, s5 :: v_dual_cndmask_b32 v68, v64, v5, s5
	v_dual_cndmask_b32 v67, v4, v55, s5 :: v_dual_cndmask_b32 v69, v65, v4, s5
	v_and_b32_e32 v5, v66, v1
	s_delay_alu instid0(VALU_DEP_3) | instskip(NEXT) | instid1(VALU_DEP_3)
	v_and_b32_e32 v19, v68, v1
	v_and_b32_e32 v4, v67, v10
	s_delay_alu instid0(VALU_DEP_4) | instskip(NEXT) | instid1(VALU_DEP_1)
	v_and_b32_e32 v18, v69, v10
	v_cmp_le_u64_e64 s6, v[18:19], v[4:5]
	v_lshl_add_u32 v5, v22, 3, v12
	v_lshl_add_u32 v18, v20, 3, v12
	;; [unrolled: 1-line block ×3, first 2 shown]
	v_dual_cndmask_b32 v23, v54, v64, s5 :: v_dual_cndmask_b32 v22, v55, v65, s5
	s_and_b32 s6, s7, s6
	s_delay_alu instid0(SALU_CYCLE_1) | instskip(NEXT) | instid1(SALU_CYCLE_1)
	s_or_b32 s6, s10, s6
	v_cndmask_b32_e64 v4, v21, v28, s6
	v_cndmask_b32_e64 v21, v66, v68, s6
	s_delay_alu instid0(VALU_DEP_2)
	v_lshl_add_u32 v20, v4, 3, v12
	ds_load_b64 v[4:5], v5 offset:8192
	ds_load_b64 v[34:35], v18 offset:8192
	;; [unrolled: 1-line block ×4, first 2 shown]
	v_cndmask_b32_e64 v20, v67, v69, s6
.LBB823_34:
	s_or_b32 exec_lo, exec_lo, s13
	v_and_b32_e32 v50, 0x70, v52
	s_mov_b32 s4, exec_lo
	; wave barrier
	ds_store_b64 v26, v[14:15]
	s_wait_dscnt 0x4
	ds_store_b64 v39, v[4:5]
	v_or_b32_e32 v18, 8, v50
	ds_store_b64 v31, v[16:17]
	s_wait_dscnt 0x5
	ds_store_b64 v36, v[34:35]
	ds_store_b64 v37, v[22:23]
	s_wait_dscnt 0x6
	ds_store_b64 v38, v[28:29]
	;; [unrolled: 3-line block ×3, first 2 shown]
	; wave barrier
	v_min_u32_e32 v48, v11, v18
	v_and_b32_e32 v18, 12, v52
	s_delay_alu instid0(VALU_DEP_2) | instskip(NEXT) | instid1(VALU_DEP_2)
	v_add_min_u32_e64 v49, v48, 8, v11
	v_min_u32_e32 v51, v11, v18
	s_delay_alu instid0(VALU_DEP_2) | instskip(NEXT) | instid1(VALU_DEP_1)
	v_dual_sub_nc_u32 v19, v48, v50 :: v_dual_sub_nc_u32 v18, v49, v48
	v_min_u32_e32 v55, v51, v19
	s_delay_alu instid0(VALU_DEP_2) | instskip(NEXT) | instid1(VALU_DEP_1)
	v_sub_nc_u32_e64 v54, v51, v18 clamp
	v_cmpx_lt_u32_e64 v54, v55
	s_cbranch_execz .LBB823_38
; %bb.35:
	v_dual_mov_b32 v25, 0 :: v_dual_lshlrev_b32 v24, 3, v50
	s_mov_b32 s5, 0
	s_delay_alu instid0(VALU_DEP_1) | instskip(SKIP_1) | instid1(VALU_DEP_1)
	v_add_nc_u64_e32 v[18:19], v[12:13], v[24:25]
	v_lshlrev_b32_e32 v24, 3, v48
	v_add_nc_u64_e32 v[24:25], v[12:13], v[24:25]
.LBB823_36:                             ; =>This Inner Loop Header: Depth=1
	v_add_nc_u32_e32 v19, v55, v54
	s_delay_alu instid0(VALU_DEP_1) | instskip(NEXT) | instid1(VALU_DEP_1)
	v_lshrrev_b32_e32 v19, 1, v19
	v_xad_u32 v25, v19, -1, v51
	v_lshl_add_u32 v64, v19, 3, v18
	s_delay_alu instid0(VALU_DEP_2)
	v_lshl_add_u32 v25, v25, 3, v24
	ds_load_b64 v[64:65], v64
	ds_load_b64 v[66:67], v25
	s_wait_dscnt 0x1
	v_and_b32_e32 v65, v65, v1
	v_and_b32_e32 v64, v64, v10
	s_wait_dscnt 0x0
	v_dual_add_nc_u32 v25, 1, v19 :: v_dual_bitop2_b32 v67, v67, v1 bitop3:0x40
	v_and_b32_e32 v66, v66, v10
	s_delay_alu instid0(VALU_DEP_1) | instskip(NEXT) | instid1(VALU_DEP_1)
	v_cmp_gt_u64_e64 s3, v[64:65], v[66:67]
	v_dual_cndmask_b32 v55, v55, v19, s3 :: v_dual_cndmask_b32 v54, v25, v54, s3
	s_delay_alu instid0(VALU_DEP_1) | instskip(SKIP_1) | instid1(SALU_CYCLE_1)
	v_cmp_ge_u32_e64 s3, v54, v55
	s_or_b32 s5, s3, s5
	s_and_not1_b32 exec_lo, exec_lo, s5
	s_cbranch_execnz .LBB823_36
; %bb.37:
	s_or_b32 exec_lo, exec_lo, s5
.LBB823_38:
	s_delay_alu instid0(SALU_CYCLE_1) | instskip(SKIP_1) | instid1(VALU_DEP_1)
	s_or_b32 exec_lo, exec_lo, s4
	v_dual_add_nc_u32 v19, v48, v51 :: v_dual_add_nc_u32 v18, v54, v50
	v_sub_nc_u32_e32 v19, v19, v54
	s_delay_alu instid0(VALU_DEP_2) | instskip(NEXT) | instid1(VALU_DEP_2)
	v_cmp_le_u32_e64 s3, v18, v48
	v_cmp_le_u32_e64 s4, v19, v49
	s_or_b32 s3, s3, s4
	s_delay_alu instid0(SALU_CYCLE_1)
	s_and_saveexec_b32 s13, s3
	s_cbranch_execz .LBB823_44
; %bb.39:
	v_cmp_lt_u32_e64 s3, v18, v48
                                        ; implicit-def: $vgpr14_vgpr15
	s_and_saveexec_b32 s4, s3
; %bb.40:
	v_lshl_add_u32 v4, v18, 3, v12
	ds_load_b64 v[14:15], v4
; %bb.41:
	s_or_b32 exec_lo, exec_lo, s4
	v_cmp_ge_u32_e64 s4, v19, v49
	s_mov_b32 s6, exec_lo
                                        ; implicit-def: $vgpr16_vgpr17
	v_cmpx_lt_u32_e64 v19, v49
; %bb.42:
	v_lshl_add_u32 v4, v19, 3, v12
	ds_load_b64 v[16:17], v4
; %bb.43:
	s_or_b32 exec_lo, exec_lo, s6
	s_wait_dscnt 0x0
	v_and_b32_e32 v5, v17, v1
	v_and_b32_e32 v4, v16, v10
	;; [unrolled: 1-line block ×4, first 2 shown]
	s_delay_alu instid0(VALU_DEP_1) | instskip(SKIP_1) | instid1(SALU_CYCLE_1)
	v_cmp_le_u64_e64 s5, v[20:21], v[4:5]
	s_and_b32 s3, s3, s5
	s_or_b32 s3, s4, s3
	s_delay_alu instid0(SALU_CYCLE_1) | instskip(NEXT) | instid1(VALU_DEP_1)
	v_dual_cndmask_b32 v22, v19, v18, s3 :: v_dual_cndmask_b32 v4, v49, v48, s3
	v_add_nc_u32_e32 v23, 1, v22
	s_delay_alu instid0(VALU_DEP_1) | instskip(NEXT) | instid1(VALU_DEP_1)
	v_add_min_u32_e64 v4, v4, -1, v23
	v_lshl_add_u32 v4, v4, 3, v12
	ds_load_b64 v[4:5], v4
	s_wait_dscnt 0x0
	v_dual_cndmask_b32 v24, v5, v17, s3 :: v_dual_cndmask_b32 v25, v4, v16, s3
	v_dual_cndmask_b32 v50, v15, v5, s3 :: v_dual_cndmask_b32 v51, v14, v4, s3
	s_delay_alu instid0(VALU_DEP_2) | instskip(NEXT) | instid1(VALU_DEP_3)
	v_dual_cndmask_b32 v28, v18, v23, s3 :: v_dual_bitop2_b32 v5, v24, v1 bitop3:0x40
	v_and_b32_e32 v4, v25, v10
	s_delay_alu instid0(VALU_DEP_3) | instskip(NEXT) | instid1(VALU_DEP_4)
	v_dual_cndmask_b32 v23, v23, v19, s3 :: v_dual_bitop2_b32 v21, v50, v1 bitop3:0x40
	v_and_b32_e32 v20, v51, v10
	s_delay_alu instid0(VALU_DEP_4) | instskip(SKIP_1) | instid1(VALU_DEP_4)
	v_cmp_lt_u32_e64 s5, v28, v48
	v_cndmask_b32_e64 v14, v16, v14, s3
	v_cmp_ge_u32_e64 s6, v23, v49
	s_delay_alu instid0(VALU_DEP_4) | instskip(SKIP_1) | instid1(SALU_CYCLE_1)
	v_cmp_le_u64_e64 s4, v[20:21], v[4:5]
	s_and_b32 s4, s5, s4
	s_or_b32 s4, s6, s4
	s_delay_alu instid0(SALU_CYCLE_1) | instskip(SKIP_2) | instid1(VALU_DEP_2)
	v_dual_cndmask_b32 v15, v17, v15, s3 :: v_dual_cndmask_b32 v17, v24, v50, s4
	v_cndmask_b32_e64 v20, v23, v28, s4
	v_cndmask_b32_e64 v4, v49, v48, s4
	v_add_nc_u32_e32 v21, 1, v20
	s_delay_alu instid0(VALU_DEP_1) | instskip(NEXT) | instid1(VALU_DEP_1)
	v_add_min_u32_e64 v4, v4, -1, v21
	v_lshl_add_u32 v4, v4, 3, v12
	ds_load_b64 v[4:5], v4
	s_wait_dscnt 0x0
	v_dual_cndmask_b32 v55, v4, v25, s4 :: v_dual_cndmask_b32 v54, v5, v24, s4
	v_dual_cndmask_b32 v64, v50, v5, s4 :: v_dual_cndmask_b32 v65, v51, v4, s4
	s_delay_alu instid0(VALU_DEP_2) | instskip(NEXT) | instid1(VALU_DEP_3)
	v_dual_cndmask_b32 v28, v28, v21, s4 :: v_dual_bitop2_b32 v4, v55, v10 bitop3:0x40
	v_and_b32_e32 v5, v54, v1
	s_delay_alu instid0(VALU_DEP_3) | instskip(NEXT) | instid1(VALU_DEP_4)
	v_dual_cndmask_b32 v21, v21, v23, s4 :: v_dual_bitop2_b32 v19, v64, v1 bitop3:0x40
	v_and_b32_e32 v18, v65, v10
	s_delay_alu instid0(VALU_DEP_4) | instskip(NEXT) | instid1(VALU_DEP_3)
	v_cmp_lt_u32_e64 s6, v28, v48
	v_cmp_ge_u32_e64 s7, v21, v49
	s_delay_alu instid0(VALU_DEP_3) | instskip(SKIP_1) | instid1(SALU_CYCLE_1)
	v_cmp_le_u64_e64 s5, v[18:19], v[4:5]
	s_and_b32 s5, s6, s5
	s_or_b32 s5, s7, s5
	v_cndmask_b32_e64 v16, v25, v51, s4
	v_cndmask_b32_e64 v23, v21, v28, s5
	s_delay_alu instid0(VALU_DEP_1) | instskip(NEXT) | instid1(VALU_DEP_1)
	v_dual_cndmask_b32 v4, v49, v48, s5 :: v_dual_add_nc_u32 v29, 1, v23
	v_add_min_u32_e64 v4, v4, -1, v29
	v_cndmask_b32_e64 v21, v29, v21, s5
	v_cndmask_b32_e64 v28, v28, v29, s5
	s_delay_alu instid0(VALU_DEP_3) | instskip(NEXT) | instid1(VALU_DEP_3)
	v_lshl_add_u32 v4, v4, 3, v12
	v_cmp_ge_u32_e64 s10, v21, v49
	s_delay_alu instid0(VALU_DEP_3) | instskip(SKIP_4) | instid1(VALU_DEP_2)
	v_cmp_lt_u32_e64 s7, v28, v48
	ds_load_b64 v[4:5], v4
	s_wait_dscnt 0x0
	v_dual_cndmask_b32 v66, v5, v54, s5 :: v_dual_cndmask_b32 v68, v64, v5, s5
	v_dual_cndmask_b32 v67, v4, v55, s5 :: v_dual_cndmask_b32 v69, v65, v4, s5
	v_and_b32_e32 v5, v66, v1
	s_delay_alu instid0(VALU_DEP_3) | instskip(NEXT) | instid1(VALU_DEP_3)
	v_and_b32_e32 v19, v68, v1
	v_and_b32_e32 v4, v67, v10
	s_delay_alu instid0(VALU_DEP_4) | instskip(NEXT) | instid1(VALU_DEP_1)
	v_and_b32_e32 v18, v69, v10
	v_cmp_le_u64_e64 s6, v[18:19], v[4:5]
	v_lshl_add_u32 v5, v22, 3, v12
	v_lshl_add_u32 v18, v20, 3, v12
	;; [unrolled: 1-line block ×3, first 2 shown]
	v_dual_cndmask_b32 v23, v54, v64, s5 :: v_dual_cndmask_b32 v22, v55, v65, s5
	s_and_b32 s6, s7, s6
	s_delay_alu instid0(SALU_CYCLE_1) | instskip(NEXT) | instid1(SALU_CYCLE_1)
	s_or_b32 s6, s10, s6
	v_cndmask_b32_e64 v4, v21, v28, s6
	v_cndmask_b32_e64 v21, v66, v68, s6
	s_delay_alu instid0(VALU_DEP_2)
	v_lshl_add_u32 v20, v4, 3, v12
	ds_load_b64 v[4:5], v5 offset:8192
	ds_load_b64 v[34:35], v18 offset:8192
	;; [unrolled: 1-line block ×4, first 2 shown]
	v_cndmask_b32_e64 v20, v67, v69, s6
.LBB823_44:
	s_or_b32 exec_lo, exec_lo, s13
	v_and_b32_e32 v50, 0x60, v52
	; wave barrier
	ds_store_b64 v26, v[14:15]
	s_wait_dscnt 0x4
	ds_store_b64 v39, v[4:5]
	s_mov_b32 s4, exec_lo
	v_or_b32_e32 v18, 16, v50
	ds_store_b64 v31, v[16:17]
	s_wait_dscnt 0x5
	ds_store_b64 v36, v[34:35]
	ds_store_b64 v37, v[22:23]
	s_wait_dscnt 0x6
	ds_store_b64 v38, v[28:29]
	;; [unrolled: 3-line block ×3, first 2 shown]
	; wave barrier
	v_min_u32_e32 v48, v11, v18
	s_delay_alu instid0(VALU_DEP_1) | instskip(SKIP_1) | instid1(VALU_DEP_2)
	v_add_min_u32_e64 v49, v48, 16, v11
	v_min_u32_e32 v11, v11, v53
	v_dual_sub_nc_u32 v19, v48, v50 :: v_dual_sub_nc_u32 v18, v49, v48
	s_delay_alu instid0(VALU_DEP_1) | instskip(NEXT) | instid1(VALU_DEP_2)
	v_min_u32_e32 v39, v11, v19
	v_sub_nc_u32_e64 v26, v11, v18 clamp
	s_delay_alu instid0(VALU_DEP_1)
	v_cmpx_lt_u32_e64 v26, v39
	s_cbranch_execz .LBB823_48
; %bb.45:
	v_dual_mov_b32 v25, 0 :: v_dual_lshlrev_b32 v24, 3, v50
	s_mov_b32 s5, 0
	s_delay_alu instid0(VALU_DEP_1) | instskip(SKIP_1) | instid1(VALU_DEP_1)
	v_add_nc_u64_e32 v[18:19], v[12:13], v[24:25]
	v_lshlrev_b32_e32 v24, 3, v48
	v_add_nc_u64_e32 v[24:25], v[12:13], v[24:25]
.LBB823_46:                             ; =>This Inner Loop Header: Depth=1
	v_add_nc_u32_e32 v13, v39, v26
	s_delay_alu instid0(VALU_DEP_1) | instskip(NEXT) | instid1(VALU_DEP_1)
	v_lshrrev_b32_e32 v13, 1, v13
	v_xad_u32 v19, v13, -1, v11
	v_lshl_add_u32 v25, v13, 3, v18
	s_delay_alu instid0(VALU_DEP_2)
	v_lshl_add_u32 v19, v19, 3, v24
	ds_load_b64 v[30:31], v25
	ds_load_b64 v[36:37], v19
	s_wait_dscnt 0x1
	v_and_b32_e32 v31, v31, v1
	v_and_b32_e32 v30, v30, v10
	s_wait_dscnt 0x0
	v_and_b32_e32 v37, v37, v1
	v_dual_add_nc_u32 v19, 1, v13 :: v_dual_bitop2_b32 v36, v36, v10 bitop3:0x40
	s_delay_alu instid0(VALU_DEP_1) | instskip(NEXT) | instid1(VALU_DEP_1)
	v_cmp_gt_u64_e64 s3, v[30:31], v[36:37]
	v_cndmask_b32_e64 v39, v39, v13, s3
	s_delay_alu instid0(VALU_DEP_3) | instskip(NEXT) | instid1(VALU_DEP_1)
	v_cndmask_b32_e64 v26, v19, v26, s3
	v_cmp_ge_u32_e64 s3, v26, v39
	s_or_b32 s5, s3, s5
	s_delay_alu instid0(SALU_CYCLE_1)
	s_and_not1_b32 exec_lo, exec_lo, s5
	s_cbranch_execnz .LBB823_46
; %bb.47:
	s_or_b32 exec_lo, exec_lo, s5
.LBB823_48:
	s_delay_alu instid0(SALU_CYCLE_1) | instskip(SKIP_1) | instid1(VALU_DEP_1)
	s_or_b32 exec_lo, exec_lo, s4
	v_dual_add_nc_u32 v13, v48, v11 :: v_dual_add_nc_u32 v11, v26, v50
	v_sub_nc_u32_e32 v13, v13, v26
	s_delay_alu instid0(VALU_DEP_2) | instskip(NEXT) | instid1(VALU_DEP_2)
	v_cmp_le_u32_e64 s3, v11, v48
	v_cmp_le_u32_e64 s4, v13, v49
	s_or_b32 s3, s3, s4
	s_delay_alu instid0(SALU_CYCLE_1)
	s_and_saveexec_b32 s13, s3
	s_cbranch_execz .LBB823_54
; %bb.49:
	v_cmp_lt_u32_e64 s3, v11, v48
                                        ; implicit-def: $vgpr14_vgpr15
	s_and_saveexec_b32 s4, s3
; %bb.50:
	v_lshl_add_u32 v4, v11, 3, v12
	ds_load_b64 v[14:15], v4
; %bb.51:
	s_or_b32 exec_lo, exec_lo, s4
	v_cmp_ge_u32_e64 s4, v13, v49
	s_mov_b32 s6, exec_lo
                                        ; implicit-def: $vgpr16_vgpr17
	v_cmpx_lt_u32_e64 v13, v49
; %bb.52:
	v_lshl_add_u32 v4, v13, 3, v12
	ds_load_b64 v[16:17], v4
; %bb.53:
	s_or_b32 exec_lo, exec_lo, s6
	s_wait_dscnt 0x0
	v_and_b32_e32 v5, v17, v1
	v_and_b32_e32 v4, v16, v10
	;; [unrolled: 1-line block ×4, first 2 shown]
	s_delay_alu instid0(VALU_DEP_1) | instskip(SKIP_1) | instid1(SALU_CYCLE_1)
	v_cmp_le_u64_e64 s5, v[18:19], v[4:5]
	s_and_b32 s3, s3, s5
	s_or_b32 s3, s4, s3
	s_delay_alu instid0(SALU_CYCLE_1) | instskip(SKIP_1) | instid1(VALU_DEP_2)
	v_cndmask_b32_e64 v20, v13, v11, s3
	v_cndmask_b32_e64 v4, v49, v48, s3
	v_add_nc_u32_e32 v21, 1, v20
	s_delay_alu instid0(VALU_DEP_1) | instskip(SKIP_1) | instid1(VALU_DEP_2)
	v_add_min_u32_e64 v4, v4, -1, v21
	v_cndmask_b32_e64 v11, v11, v21, s3
	v_lshl_add_u32 v4, v4, 3, v12
	s_delay_alu instid0(VALU_DEP_2)
	v_cmp_lt_u32_e64 s5, v11, v48
	ds_load_b64 v[4:5], v4
	s_wait_dscnt 0x0
	v_dual_cndmask_b32 v22, v5, v17, s3 :: v_dual_cndmask_b32 v23, v4, v16, s3
	v_dual_cndmask_b32 v24, v15, v5, s3 :: v_dual_cndmask_b32 v25, v14, v4, s3
	v_cndmask_b32_e64 v13, v21, v13, s3
	s_delay_alu instid0(VALU_DEP_3) | instskip(NEXT) | instid1(VALU_DEP_4)
	v_and_b32_e32 v5, v22, v1
	v_and_b32_e32 v4, v23, v10
	s_delay_alu instid0(VALU_DEP_4) | instskip(SKIP_3) | instid1(VALU_DEP_3)
	v_and_b32_e32 v19, v24, v1
	v_and_b32_e32 v18, v25, v10
	v_cmp_ge_u32_e64 s6, v13, v49
	v_dual_cndmask_b32 v14, v16, v14, s3 :: v_dual_cndmask_b32 v15, v17, v15, s3
	v_cmp_le_u64_e64 s4, v[18:19], v[4:5]
	s_and_b32 s4, s5, s4
	s_delay_alu instid0(SALU_CYCLE_1) | instskip(NEXT) | instid1(SALU_CYCLE_1)
	s_or_b32 s4, s6, s4
	v_cndmask_b32_e64 v21, v13, v11, s4
	v_cndmask_b32_e64 v4, v49, v48, s4
	v_dual_cndmask_b32 v17, v22, v24, s4 :: v_dual_cndmask_b32 v16, v23, v25, s4
	s_delay_alu instid0(VALU_DEP_3) | instskip(NEXT) | instid1(VALU_DEP_1)
	v_add_nc_u32_e32 v26, 1, v21
	v_add_min_u32_e64 v4, v4, -1, v26
	s_delay_alu instid0(VALU_DEP_1)
	v_lshl_add_u32 v4, v4, 3, v12
	ds_load_b64 v[4:5], v4
	s_wait_dscnt 0x0
	v_dual_cndmask_b32 v27, v5, v22, s4 :: v_dual_cndmask_b32 v30, v4, v23, s4
	v_dual_cndmask_b32 v31, v24, v5, s4 :: v_dual_cndmask_b32 v36, v25, v4, s4
	;; [unrolled: 1-line block ×3, first 2 shown]
	s_delay_alu instid0(VALU_DEP_3) | instskip(NEXT) | instid1(VALU_DEP_4)
	v_and_b32_e32 v5, v27, v1
	v_and_b32_e32 v4, v30, v10
	s_delay_alu instid0(VALU_DEP_4) | instskip(SKIP_3) | instid1(VALU_DEP_3)
	v_and_b32_e32 v19, v31, v1
	v_and_b32_e32 v18, v36, v10
	v_cmp_lt_u32_e64 s6, v28, v48
	v_cmp_ge_u32_e64 s7, v13, v49
	v_cmp_le_u64_e64 s5, v[18:19], v[4:5]
	s_and_b32 s5, s6, s5
	s_delay_alu instid0(SALU_CYCLE_1) | instskip(NEXT) | instid1(SALU_CYCLE_1)
	s_or_b32 s5, s7, s5
	v_cndmask_b32_e64 v18, v13, v28, s5
	v_dual_cndmask_b32 v4, v49, v48, s5 :: v_dual_cndmask_b32 v23, v27, v31, s5
	s_delay_alu instid0(VALU_DEP_2) | instskip(NEXT) | instid1(VALU_DEP_1)
	v_dual_cndmask_b32 v22, v30, v36, s5 :: v_dual_add_nc_u32 v19, 1, v18
	v_add_min_u32_e64 v4, v4, -1, v19
	s_delay_alu instid0(VALU_DEP_1)
	v_lshl_add_u32 v4, v4, 3, v12
	ds_load_b64 v[4:5], v4
	s_wait_dscnt 0x0
	v_dual_cndmask_b32 v26, v5, v27, s5 :: v_dual_cndmask_b32 v37, v4, v30, s5
	v_dual_cndmask_b32 v38, v31, v5, s5 :: v_dual_cndmask_b32 v39, v36, v4, s5
	v_cndmask_b32_e64 v13, v19, v13, s5
	s_delay_alu instid0(VALU_DEP_3) | instskip(NEXT) | instid1(VALU_DEP_4)
	v_and_b32_e32 v5, v26, v1
	v_and_b32_e32 v4, v37, v10
	s_delay_alu instid0(VALU_DEP_4) | instskip(SKIP_2) | instid1(VALU_DEP_2)
	v_and_b32_e32 v11, v38, v1
	v_dual_cndmask_b32 v1, v28, v19, s5 :: v_dual_bitop2_b32 v10, v39, v10 bitop3:0x40
	v_cmp_ge_u32_e64 s10, v13, v49
	v_cmp_le_u64_e64 s6, v[10:11], v[4:5]
	s_delay_alu instid0(VALU_DEP_3) | instskip(SKIP_4) | instid1(SALU_CYCLE_1)
	v_cmp_lt_u32_e64 s7, v1, v48
	v_lshl_add_u32 v4, v20, 3, v12
	v_lshl_add_u32 v10, v21, 3, v12
	;; [unrolled: 1-line block ×3, first 2 shown]
	s_and_b32 s6, s7, s6
	s_or_b32 s6, s10, s6
	s_delay_alu instid0(SALU_CYCLE_1) | instskip(SKIP_1) | instid1(VALU_DEP_2)
	v_dual_cndmask_b32 v1, v13, v1, s6 :: v_dual_cndmask_b32 v21, v26, v38, s6
	v_cndmask_b32_e64 v20, v37, v39, s6
	v_lshl_add_u32 v1, v1, 3, v12
	ds_load_b64 v[4:5], v4 offset:8192
	ds_load_b64 v[34:35], v10 offset:8192
	;; [unrolled: 1-line block ×4, first 2 shown]
.LBB823_54:
	s_or_b32 exec_lo, exec_lo, s13
	; wave barrier
	s_wait_storecnt_dscnt 0x0
	s_barrier_signal -1
	s_barrier_wait -1
                                        ; implicit-def: $vgpr52
                                        ; implicit-def: $vgpr53
                                        ; implicit-def: $vgpr12_vgpr13
                                        ; implicit-def: $vgpr24
                                        ; implicit-def: $vgpr25
                                        ; implicit-def: $vgpr1
                                        ; implicit-def: $vgpr38_vgpr39
                                        ; implicit-def: $vgpr36_vgpr37
                                        ; implicit-def: $vgpr18_vgpr19
.LBB823_55:
	s_and_not1_saveexec_b32 s10, s12
	s_cbranch_execz .LBB823_97
; %bb.56:
	s_load_b64 s[4:5], s[8:9], 0x0
	s_bfe_u32 s6, ttmp6, 0x4000c
	s_bfe_u32 s12, ttmp6, 0x40010
	s_and_b32 s7, ttmp7, 0xffff
	s_add_co_i32 s6, s6, 1
	s_add_co_i32 s12, s12, 1
	s_and_b32 s3, ttmp6, 15
	s_bfe_u32 s13, ttmp6, 0x40004
	s_mul_i32 s6, ttmp9, s6
	s_mul_i32 s12, s7, s12
	s_add_co_i32 s3, s3, s6
	s_add_co_i32 s13, s13, s12
	s_cmp_eq_u32 s11, 0
	s_cselect_b32 s3, ttmp9, s3
	s_cselect_b32 s6, s7, s13
	s_wait_kmcnt 0x0
	s_cmp_lt_u32 s3, s4
	s_cselect_b32 s4, 12, 18
	s_cmp_lt_u32 s6, s5
	s_mov_b32 s5, 0
	s_cselect_b32 s6, 14, 20
	s_mov_b32 s7, s5
	s_add_nc_u64 s[4:5], s[8:9], s[4:5]
	s_add_nc_u64 s[6:7], s[8:9], s[6:7]
	s_clause 0x1
	s_load_u16 s4, s[4:5], 0x0
	s_nop 0
	s_load_u16 s3, s[6:7], 0x0
	s_wait_xcnt 0x0
	s_mov_b32 s6, exec_lo
	s_wait_kmcnt 0x0
	v_mad_u32_u24 v10, v25, s3, v24
	s_delay_alu instid0(VALU_DEP_1) | instskip(NEXT) | instid1(VALU_DEP_1)
	v_mul_lo_u32 v10, v10, s4
	v_add_lshl_u32 v1, v10, v1, 2
	s_delay_alu instid0(VALU_DEP_1)
	v_cmpx_gt_u32_e32 0x400, v1
	s_cbranch_execz .LBB823_66
; %bb.57:
	s_wait_loadcnt_dscnt 0x0
	v_cmp_gt_i64_e64 s3, v[14:15], v[16:17]
	v_mov_b64_e32 v[10:11], v[28:29]
	v_mov_b64_e32 v[26:27], v[36:37]
	s_mov_b32 s5, exec_lo
	v_dual_cndmask_b32 v25, v19, v15, s3 :: v_dual_cndmask_b32 v24, v18, v14, s3
	v_dual_cndmask_b32 v23, v15, v19, s3 :: v_dual_cndmask_b32 v22, v14, v18, s3
	v_cmpx_gt_i64_e64 v[36:37], v[38:39]
	s_cbranch_execz .LBB823_59
; %bb.58:
	v_mov_b64_e32 v[14:15], v[36:37]
	v_mov_b64_e32 v[10:11], v[32:33]
	;; [unrolled: 1-line block ×6, first 2 shown]
.LBB823_59:
	s_or_b32 exec_lo, exec_lo, s5
	s_delay_alu instid0(VALU_DEP_1) | instskip(NEXT) | instid1(VALU_DEP_2)
	v_dual_cndmask_b32 v31, v35, v5, s3 :: v_dual_mov_b32 v28, v38
	v_dual_mov_b32 v29, v39 :: v_dual_cndmask_b32 v30, v34, v4, s3
	v_mov_b64_e32 v[14:15], v[22:23]
	v_cmp_gt_i64_e64 s4, v[24:25], v[36:37]
	v_mov_b64_e32 v[16:17], v[24:25]
	v_mov_b64_e32 v[18:19], v[26:27]
	v_mov_b64_e32 v[20:21], v[28:29]
	v_mov_b64_e32 v[26:27], v[30:31]
	s_and_saveexec_b32 s5, s4
	s_delay_alu instid0(SALU_CYCLE_1)
	s_xor_b32 s4, exec_lo, s5
	s_cbranch_execz .LBB823_61
; %bb.60:
	v_mov_b64_e32 v[14:15], v[22:23]
	s_delay_alu instid0(VALU_DEP_2)
	v_mov_b64_e32 v[18:19], v[26:27]
	v_mov_b64_e32 v[16:17], v[24:25]
	v_mov_b64_e32 v[20:21], v[28:29]
	v_dual_mov_b32 v18, v24 :: v_dual_mov_b32 v19, v25
	v_mov_b64_e32 v[26:27], v[10:11]
	v_mov_b64_e32 v[10:11], v[30:31]
	;; [unrolled: 1-line block ×3, first 2 shown]
	v_dual_mov_b32 v16, v36 :: v_dual_mov_b32 v17, v37
	v_dual_mov_b32 v20, v38 :: v_dual_mov_b32 v21, v39
.LBB823_61:
	s_or_b32 exec_lo, exec_lo, s4
	s_delay_alu instid0(VALU_DEP_3)
	v_cmp_gt_i64_e64 s4, v[22:23], v[24:25]
	v_mov_b64_e32 v[30:31], v[10:11]
	v_mov_b64_e32 v[22:23], v[18:19]
	s_mov_b32 s7, exec_lo
	v_dual_cndmask_b32 v17, v17, v15, s4 :: v_dual_cndmask_b32 v16, v16, v14, s4
	v_dual_cndmask_b32 v15, v15, v25, s4 :: v_dual_cndmask_b32 v14, v14, v24, s4
	v_cmpx_gt_i64_e64 v[18:19], v[20:21]
	s_cbranch_execz .LBB823_63
; %bb.62:
	v_mov_b64_e32 v[24:25], v[18:19]
	v_mov_b64_e32 v[30:31], v[32:33]
	;; [unrolled: 1-line block ×6, first 2 shown]
.LBB823_63:
	s_or_b32 exec_lo, exec_lo, s7
	v_dual_cndmask_b32 v10, v5, v35, s3 :: v_dual_cndmask_b32 v11, v4, v34, s3
	v_mov_b64_e32 v[28:29], v[30:31]
	s_delay_alu instid0(VALU_DEP_2)
	v_dual_cndmask_b32 v5, v10, v27, s4 :: v_dual_cndmask_b32 v4, v11, v26, s4
	v_dual_cndmask_b32 v35, v27, v10, s4 :: v_dual_cndmask_b32 v34, v26, v11, s4
	s_mov_b32 s4, exec_lo
	v_cmpx_gt_i64_e64 v[16:17], v[18:19]
; %bb.64:
	v_mov_b64_e32 v[22:23], v[16:17]
	v_mov_b64_e32 v[16:17], v[18:19]
	;; [unrolled: 1-line block ×4, first 2 shown]
; %bb.65:
	s_or_b32 exec_lo, exec_lo, s4
.LBB823_66:
	s_delay_alu instid0(SALU_CYCLE_1) | instskip(SKIP_4) | instid1(VALU_DEP_3)
	s_or_b32 exec_lo, exec_lo, s6
	v_and_b32_e32 v18, 0xffffff80, v1
	v_dual_mov_b32 v19, 0 :: v_dual_bitop2_b32 v10, 4, v52 bitop3:0x54
	v_and_b32_e32 v48, 0x78, v52
	s_mov_b32 s4, exec_lo
	v_sub_nc_u32_e64 v1, 0x400, v18 clamp
	s_delay_alu instid0(VALU_DEP_1) | instskip(SKIP_2) | instid1(VALU_DEP_3)
	v_min_u32_e32 v38, v1, v10
	v_lshl_add_u64 v[10:11], v[18:19], 3, v[12:13]
	v_and_b32_e32 v12, 4, v52
	v_add_min_u32_e64 v39, v38, 4, v1
	s_delay_alu instid0(VALU_DEP_3) | instskip(NEXT) | instid1(VALU_DEP_3)
	v_lshl_add_u32 v24, v52, 3, v10
	v_min_u32_e32 v49, v1, v12
	s_delay_alu instid0(VALU_DEP_3) | instskip(NEXT) | instid1(VALU_DEP_3)
	v_dual_sub_nc_u32 v13, v38, v48 :: v_dual_sub_nc_u32 v12, v39, v38
	v_add_nc_u32_e32 v18, 0x2000, v24
	s_wait_loadcnt_dscnt 0x0
	ds_store_b64 v24, v[4:5] offset:8192
	ds_store_2addr_b64 v24, v[14:15], v[16:17] offset1:1
	ds_store_2addr_b64 v18, v[34:35], v[28:29] offset0:1 offset1:2
	ds_store_2addr_b64 v24, v[22:23], v[20:21] offset0:2 offset1:3
	ds_store_b64 v24, v[32:33] offset:8216
	v_sub_nc_u32_e64 v50, v49, v12 clamp
	v_min_u32_e32 v25, v49, v13
	; wave barrier
	s_delay_alu instid0(VALU_DEP_1)
	v_cmpx_lt_u32_e64 v50, v25
	s_cbranch_execz .LBB823_70
; %bb.67:
	v_lshlrev_b32_e32 v18, 3, v48
	s_mov_b32 s5, 0
	s_delay_alu instid0(VALU_DEP_1) | instskip(SKIP_1) | instid1(VALU_DEP_1)
	v_add_nc_u64_e32 v[12:13], v[10:11], v[18:19]
	v_lshlrev_b32_e32 v18, 3, v38
	v_add_nc_u64_e32 v[18:19], v[10:11], v[18:19]
.LBB823_68:                             ; =>This Inner Loop Header: Depth=1
	v_add_nc_u32_e32 v13, v25, v50
	s_delay_alu instid0(VALU_DEP_1) | instskip(NEXT) | instid1(VALU_DEP_1)
	v_lshrrev_b32_e32 v13, 1, v13
	v_xad_u32 v19, v13, -1, v49
	v_lshl_add_u32 v26, v13, 3, v12
	s_delay_alu instid0(VALU_DEP_2) | instskip(SKIP_4) | instid1(VALU_DEP_1)
	v_lshl_add_u32 v19, v19, 3, v18
	ds_load_b64 v[26:27], v26
	ds_load_b64 v[30:31], v19
	s_wait_dscnt 0x0
	v_cmp_gt_i64_e64 s3, v[26:27], v[30:31]
	v_dual_add_nc_u32 v19, 1, v13 :: v_dual_cndmask_b32 v25, v25, v13, s3
	s_delay_alu instid0(VALU_DEP_1) | instskip(NEXT) | instid1(VALU_DEP_1)
	v_cndmask_b32_e64 v50, v19, v50, s3
	v_cmp_ge_u32_e64 s3, v50, v25
	s_or_b32 s5, s3, s5
	s_delay_alu instid0(SALU_CYCLE_1)
	s_and_not1_b32 exec_lo, exec_lo, s5
	s_cbranch_execnz .LBB823_68
; %bb.69:
	s_or_b32 exec_lo, exec_lo, s5
.LBB823_70:
	s_delay_alu instid0(SALU_CYCLE_1) | instskip(SKIP_4) | instid1(VALU_DEP_4)
	s_or_b32 exec_lo, exec_lo, s4
	v_dual_add_nc_u32 v25, 24, v24 :: v_dual_add_nc_u32 v12, v38, v49
	v_add_nc_u32_e32 v18, v50, v48
	v_add_nc_u32_e32 v37, 0x2000, v24
	v_dual_add_nc_u32 v27, 8, v24 :: v_dual_add_nc_u32 v31, 16, v24
	v_sub_nc_u32_e32 v19, v12, v50
	s_delay_alu instid0(VALU_DEP_4)
	v_cmp_le_u32_e64 s3, v18, v38
	v_add_nc_u32_e32 v30, 0x2008, v24
	v_add_nc_u32_e32 v36, 0x2010, v24
	;; [unrolled: 1-line block ×3, first 2 shown]
	v_cmp_le_u32_e64 s4, v19, v39
	s_or_b32 s3, s3, s4
	s_delay_alu instid0(SALU_CYCLE_1)
	s_and_saveexec_b32 s9, s3
	s_cbranch_execz .LBB823_76
; %bb.71:
	v_cmp_lt_u32_e64 s3, v18, v38
                                        ; implicit-def: $vgpr12_vgpr13
	s_and_saveexec_b32 s4, s3
; %bb.72:
	v_lshl_add_u32 v4, v18, 3, v10
	ds_load_b64 v[12:13], v4
; %bb.73:
	s_or_b32 exec_lo, exec_lo, s4
	v_cmp_ge_u32_e64 s4, v19, v39
	s_mov_b32 s6, exec_lo
                                        ; implicit-def: $vgpr14_vgpr15
	v_cmpx_lt_u32_e64 v19, v39
; %bb.74:
	v_lshl_add_u32 v4, v19, 3, v10
	ds_load_b64 v[14:15], v4
; %bb.75:
	s_or_b32 exec_lo, exec_lo, s6
	s_wait_dscnt 0x0
	v_cmp_le_i64_e64 s5, v[12:13], v[14:15]
	s_and_b32 s3, s3, s5
	s_delay_alu instid0(SALU_CYCLE_1) | instskip(NEXT) | instid1(SALU_CYCLE_1)
	s_or_b32 s3, s4, s3
	v_cndmask_b32_e64 v28, v19, v18, s3
	s_delay_alu instid0(VALU_DEP_1) | instskip(NEXT) | instid1(VALU_DEP_1)
	v_dual_cndmask_b32 v4, v39, v38, s3 :: v_dual_add_nc_u32 v22, 1, v28
	v_add_min_u32_e64 v4, v4, -1, v22
	v_cndmask_b32_e64 v32, v22, v19, s3
	v_cndmask_b32_e64 v29, v18, v22, s3
	s_delay_alu instid0(VALU_DEP_3) | instskip(NEXT) | instid1(VALU_DEP_3)
	v_lshl_add_u32 v4, v4, 3, v10
	v_cmp_ge_u32_e64 s6, v32, v39
	s_delay_alu instid0(VALU_DEP_3)
	v_cmp_lt_u32_e64 s5, v29, v38
	ds_load_b64 v[4:5], v4
	s_wait_dscnt 0x0
	v_dual_cndmask_b32 v17, v5, v15, s3 :: v_dual_cndmask_b32 v16, v4, v14, s3
	v_dual_cndmask_b32 v21, v13, v5, s3 :: v_dual_cndmask_b32 v20, v12, v4, s3
	v_cndmask_b32_e64 v15, v15, v13, s3
	s_delay_alu instid0(VALU_DEP_2) | instskip(SKIP_1) | instid1(SALU_CYCLE_1)
	v_cmp_le_i64_e64 s4, v[20:21], v[16:17]
	s_and_b32 s4, s5, s4
	s_or_b32 s4, s6, s4
	s_delay_alu instid0(SALU_CYCLE_1) | instskip(NEXT) | instid1(VALU_DEP_1)
	v_dual_cndmask_b32 v4, v39, v38, s4 :: v_dual_cndmask_b32 v33, v32, v29, s4
	v_add_nc_u32_e32 v34, 1, v33
	s_delay_alu instid0(VALU_DEP_1) | instskip(NEXT) | instid1(VALU_DEP_1)
	v_add_min_u32_e64 v4, v4, -1, v34
	v_lshl_add_u32 v4, v4, 3, v10
	ds_load_b64 v[4:5], v4
	s_wait_dscnt 0x0
	v_dual_cndmask_b32 v19, v5, v17, s4 :: v_dual_cndmask_b32 v22, v20, v4, s4
	v_dual_cndmask_b32 v18, v4, v16, s4 :: v_dual_cndmask_b32 v23, v21, v5, s4
	;; [unrolled: 1-line block ×3, first 2 shown]
	v_cndmask_b32_e64 v17, v17, v21, s4
	s_delay_alu instid0(VALU_DEP_3) | instskip(NEXT) | instid1(VALU_DEP_3)
	v_cmp_le_i64_e64 s5, v[22:23], v[18:19]
	v_cmp_ge_u32_e64 s7, v32, v39
	s_delay_alu instid0(VALU_DEP_4) | instskip(SKIP_1) | instid1(SALU_CYCLE_1)
	v_cmp_lt_u32_e64 s6, v29, v38
	s_and_b32 s5, s6, s5
	s_or_b32 s5, s7, s5
	s_delay_alu instid0(SALU_CYCLE_1) | instskip(SKIP_1) | instid1(VALU_DEP_2)
	v_dual_cndmask_b32 v14, v14, v12, s3 :: v_dual_cndmask_b32 v34, v32, v29, s5
	v_dual_cndmask_b32 v4, v39, v38, s5 :: v_dual_cndmask_b32 v16, v16, v20, s4
	v_add_nc_u32_e32 v35, 1, v34
	s_delay_alu instid0(VALU_DEP_1) | instskip(NEXT) | instid1(VALU_DEP_1)
	v_add_min_u32_e64 v4, v4, -1, v35
	v_lshl_add_u32 v4, v4, 3, v10
	ds_load_b64 v[4:5], v4
	s_wait_dscnt 0x0
	v_dual_cndmask_b32 v49, v5, v19, s5 :: v_dual_cndmask_b32 v48, v4, v18, s5
	v_dual_cndmask_b32 v51, v23, v5, s5 :: v_dual_cndmask_b32 v50, v22, v4, s5
	;; [unrolled: 1-line block ×3, first 2 shown]
	v_lshl_add_u32 v29, v34, 3, v10
	v_cndmask_b32_e64 v23, v19, v23, s5
	s_delay_alu instid0(VALU_DEP_4) | instskip(NEXT) | instid1(VALU_DEP_4)
	v_cmp_le_i64_e64 s6, v[50:51], v[48:49]
	v_cmp_lt_u32_e64 s7, v4, v38
	v_cmp_ge_u32_e64 s8, v5, v39
	v_cndmask_b32_e64 v22, v18, v22, s5
	s_and_b32 s6, s7, s6
	s_delay_alu instid0(SALU_CYCLE_1) | instskip(NEXT) | instid1(SALU_CYCLE_1)
	s_or_b32 s6, s8, s6
	v_cndmask_b32_e64 v4, v5, v4, s6
	v_lshl_add_u32 v5, v28, 3, v10
	v_lshl_add_u32 v28, v33, 3, v10
	v_dual_cndmask_b32 v21, v49, v51, s6 :: v_dual_cndmask_b32 v20, v48, v50, s6
	s_delay_alu instid0(VALU_DEP_4)
	v_lshl_add_u32 v32, v4, 3, v10
	ds_load_b64 v[4:5], v5 offset:8192
	ds_load_b64 v[34:35], v28 offset:8192
	;; [unrolled: 1-line block ×4, first 2 shown]
.LBB823_76:
	s_or_b32 exec_lo, exec_lo, s9
	v_and_b32_e32 v48, 0x70, v52
	s_mov_b32 s4, exec_lo
	; wave barrier
	ds_store_b64 v24, v[14:15]
	s_wait_dscnt 0x4
	ds_store_b64 v37, v[4:5]
	v_or_b32_e32 v12, 8, v48
	ds_store_b64 v27, v[16:17]
	s_wait_dscnt 0x5
	ds_store_b64 v30, v[34:35]
	ds_store_b64 v31, v[22:23]
	s_wait_dscnt 0x6
	ds_store_b64 v36, v[28:29]
	;; [unrolled: 3-line block ×3, first 2 shown]
	; wave barrier
	v_min_u32_e32 v38, v1, v12
	v_and_b32_e32 v12, 12, v52
	s_delay_alu instid0(VALU_DEP_2) | instskip(NEXT) | instid1(VALU_DEP_2)
	v_add_min_u32_e64 v39, v38, 8, v1
	v_min_u32_e32 v49, v1, v12
	s_delay_alu instid0(VALU_DEP_2) | instskip(NEXT) | instid1(VALU_DEP_1)
	v_dual_sub_nc_u32 v13, v38, v48 :: v_dual_sub_nc_u32 v12, v39, v38
	v_min_u32_e32 v51, v49, v13
	s_delay_alu instid0(VALU_DEP_2) | instskip(NEXT) | instid1(VALU_DEP_1)
	v_sub_nc_u32_e64 v50, v49, v12 clamp
	v_cmpx_lt_u32_e64 v50, v51
	s_cbranch_execz .LBB823_80
; %bb.77:
	v_dual_mov_b32 v19, 0 :: v_dual_lshlrev_b32 v18, 3, v48
	s_mov_b32 s5, 0
	s_delay_alu instid0(VALU_DEP_1) | instskip(SKIP_1) | instid1(VALU_DEP_1)
	v_add_nc_u64_e32 v[12:13], v[10:11], v[18:19]
	v_lshlrev_b32_e32 v18, 3, v38
	v_add_nc_u64_e32 v[18:19], v[10:11], v[18:19]
.LBB823_78:                             ; =>This Inner Loop Header: Depth=1
	v_add_nc_u32_e32 v13, v51, v50
	s_delay_alu instid0(VALU_DEP_1) | instskip(NEXT) | instid1(VALU_DEP_1)
	v_lshrrev_b32_e32 v13, 1, v13
	v_xad_u32 v19, v13, -1, v49
	v_lshl_add_u32 v54, v13, 3, v12
	s_delay_alu instid0(VALU_DEP_2)
	v_lshl_add_u32 v19, v19, 3, v18
	ds_load_b64 v[54:55], v54
	ds_load_b64 v[64:65], v19
	s_wait_dscnt 0x0
	v_cmp_gt_i64_e64 s3, v[54:55], v[64:65]
	v_add_nc_u32_e32 v19, 1, v13
	s_delay_alu instid0(VALU_DEP_1) | instskip(SKIP_1) | instid1(VALU_DEP_1)
	v_cndmask_b32_e64 v50, v19, v50, s3
	v_cndmask_b32_e64 v51, v51, v13, s3
	v_cmp_ge_u32_e64 s3, v50, v51
	s_or_b32 s5, s3, s5
	s_delay_alu instid0(SALU_CYCLE_1)
	s_and_not1_b32 exec_lo, exec_lo, s5
	s_cbranch_execnz .LBB823_78
; %bb.79:
	s_or_b32 exec_lo, exec_lo, s5
.LBB823_80:
	s_delay_alu instid0(SALU_CYCLE_1) | instskip(SKIP_1) | instid1(VALU_DEP_1)
	s_or_b32 exec_lo, exec_lo, s4
	v_add_nc_u32_e32 v12, v38, v49
	v_dual_add_nc_u32 v18, v50, v48 :: v_dual_sub_nc_u32 v19, v12, v50
	s_delay_alu instid0(VALU_DEP_1) | instskip(NEXT) | instid1(VALU_DEP_2)
	v_cmp_le_u32_e64 s3, v18, v38
	v_cmp_le_u32_e64 s4, v19, v39
	s_or_b32 s3, s3, s4
	s_delay_alu instid0(SALU_CYCLE_1)
	s_and_saveexec_b32 s9, s3
	s_cbranch_execz .LBB823_86
; %bb.81:
	v_cmp_lt_u32_e64 s3, v18, v38
                                        ; implicit-def: $vgpr12_vgpr13
	s_and_saveexec_b32 s4, s3
; %bb.82:
	v_lshl_add_u32 v4, v18, 3, v10
	ds_load_b64 v[12:13], v4
; %bb.83:
	s_or_b32 exec_lo, exec_lo, s4
	v_cmp_ge_u32_e64 s4, v19, v39
	s_mov_b32 s6, exec_lo
                                        ; implicit-def: $vgpr14_vgpr15
	v_cmpx_lt_u32_e64 v19, v39
; %bb.84:
	v_lshl_add_u32 v4, v19, 3, v10
	ds_load_b64 v[14:15], v4
; %bb.85:
	s_or_b32 exec_lo, exec_lo, s6
	s_wait_dscnt 0x0
	v_cmp_le_i64_e64 s5, v[12:13], v[14:15]
	s_and_b32 s3, s3, s5
	s_delay_alu instid0(SALU_CYCLE_1) | instskip(NEXT) | instid1(SALU_CYCLE_1)
	s_or_b32 s3, s4, s3
	v_cndmask_b32_e64 v28, v19, v18, s3
	s_delay_alu instid0(VALU_DEP_1) | instskip(NEXT) | instid1(VALU_DEP_1)
	v_dual_cndmask_b32 v4, v39, v38, s3 :: v_dual_add_nc_u32 v22, 1, v28
	v_add_min_u32_e64 v4, v4, -1, v22
	v_cndmask_b32_e64 v32, v22, v19, s3
	v_cndmask_b32_e64 v29, v18, v22, s3
	s_delay_alu instid0(VALU_DEP_3) | instskip(NEXT) | instid1(VALU_DEP_3)
	v_lshl_add_u32 v4, v4, 3, v10
	v_cmp_ge_u32_e64 s6, v32, v39
	s_delay_alu instid0(VALU_DEP_3)
	v_cmp_lt_u32_e64 s5, v29, v38
	ds_load_b64 v[4:5], v4
	s_wait_dscnt 0x0
	v_dual_cndmask_b32 v17, v5, v15, s3 :: v_dual_cndmask_b32 v16, v4, v14, s3
	v_dual_cndmask_b32 v21, v13, v5, s3 :: v_dual_cndmask_b32 v20, v12, v4, s3
	v_cndmask_b32_e64 v15, v15, v13, s3
	s_delay_alu instid0(VALU_DEP_2) | instskip(SKIP_1) | instid1(SALU_CYCLE_1)
	v_cmp_le_i64_e64 s4, v[20:21], v[16:17]
	s_and_b32 s4, s5, s4
	s_or_b32 s4, s6, s4
	s_delay_alu instid0(SALU_CYCLE_1) | instskip(NEXT) | instid1(VALU_DEP_1)
	v_dual_cndmask_b32 v4, v39, v38, s4 :: v_dual_cndmask_b32 v33, v32, v29, s4
	v_add_nc_u32_e32 v34, 1, v33
	s_delay_alu instid0(VALU_DEP_1) | instskip(NEXT) | instid1(VALU_DEP_1)
	v_add_min_u32_e64 v4, v4, -1, v34
	v_lshl_add_u32 v4, v4, 3, v10
	ds_load_b64 v[4:5], v4
	s_wait_dscnt 0x0
	v_dual_cndmask_b32 v19, v5, v17, s4 :: v_dual_cndmask_b32 v22, v20, v4, s4
	v_dual_cndmask_b32 v18, v4, v16, s4 :: v_dual_cndmask_b32 v23, v21, v5, s4
	v_dual_cndmask_b32 v32, v34, v32, s4 :: v_dual_cndmask_b32 v29, v29, v34, s4
	v_cndmask_b32_e64 v17, v17, v21, s4
	s_delay_alu instid0(VALU_DEP_3) | instskip(NEXT) | instid1(VALU_DEP_3)
	v_cmp_le_i64_e64 s5, v[22:23], v[18:19]
	v_cmp_ge_u32_e64 s7, v32, v39
	s_delay_alu instid0(VALU_DEP_4) | instskip(SKIP_1) | instid1(SALU_CYCLE_1)
	v_cmp_lt_u32_e64 s6, v29, v38
	s_and_b32 s5, s6, s5
	s_or_b32 s5, s7, s5
	s_delay_alu instid0(SALU_CYCLE_1) | instskip(SKIP_1) | instid1(VALU_DEP_2)
	v_dual_cndmask_b32 v14, v14, v12, s3 :: v_dual_cndmask_b32 v34, v32, v29, s5
	v_dual_cndmask_b32 v4, v39, v38, s5 :: v_dual_cndmask_b32 v16, v16, v20, s4
	v_add_nc_u32_e32 v35, 1, v34
	s_delay_alu instid0(VALU_DEP_1) | instskip(NEXT) | instid1(VALU_DEP_1)
	v_add_min_u32_e64 v4, v4, -1, v35
	v_lshl_add_u32 v4, v4, 3, v10
	ds_load_b64 v[4:5], v4
	s_wait_dscnt 0x0
	v_dual_cndmask_b32 v49, v5, v19, s5 :: v_dual_cndmask_b32 v48, v4, v18, s5
	v_dual_cndmask_b32 v51, v23, v5, s5 :: v_dual_cndmask_b32 v50, v22, v4, s5
	;; [unrolled: 1-line block ×3, first 2 shown]
	v_lshl_add_u32 v29, v34, 3, v10
	v_cndmask_b32_e64 v23, v19, v23, s5
	s_delay_alu instid0(VALU_DEP_4) | instskip(NEXT) | instid1(VALU_DEP_4)
	v_cmp_le_i64_e64 s6, v[50:51], v[48:49]
	v_cmp_lt_u32_e64 s7, v4, v38
	v_cmp_ge_u32_e64 s8, v5, v39
	v_cndmask_b32_e64 v22, v18, v22, s5
	s_and_b32 s6, s7, s6
	s_delay_alu instid0(SALU_CYCLE_1) | instskip(NEXT) | instid1(SALU_CYCLE_1)
	s_or_b32 s6, s8, s6
	v_cndmask_b32_e64 v4, v5, v4, s6
	v_lshl_add_u32 v5, v28, 3, v10
	v_lshl_add_u32 v28, v33, 3, v10
	v_dual_cndmask_b32 v21, v49, v51, s6 :: v_dual_cndmask_b32 v20, v48, v50, s6
	s_delay_alu instid0(VALU_DEP_4)
	v_lshl_add_u32 v32, v4, 3, v10
	ds_load_b64 v[4:5], v5 offset:8192
	ds_load_b64 v[34:35], v28 offset:8192
	;; [unrolled: 1-line block ×4, first 2 shown]
.LBB823_86:
	s_or_b32 exec_lo, exec_lo, s9
	v_and_b32_e32 v48, 0x60, v52
	; wave barrier
	ds_store_b64 v24, v[14:15]
	s_wait_dscnt 0x4
	ds_store_b64 v37, v[4:5]
	s_mov_b32 s4, exec_lo
	v_or_b32_e32 v12, 16, v48
	ds_store_b64 v27, v[16:17]
	s_wait_dscnt 0x5
	ds_store_b64 v30, v[34:35]
	ds_store_b64 v31, v[22:23]
	s_wait_dscnt 0x6
	ds_store_b64 v36, v[28:29]
	;; [unrolled: 3-line block ×3, first 2 shown]
	; wave barrier
	v_min_u32_e32 v38, v1, v12
	s_delay_alu instid0(VALU_DEP_1) | instskip(SKIP_1) | instid1(VALU_DEP_2)
	v_add_min_u32_e64 v39, v38, 16, v1
	v_min_u32_e32 v1, v1, v53
	v_dual_sub_nc_u32 v13, v38, v48 :: v_dual_sub_nc_u32 v12, v39, v38
	s_delay_alu instid0(VALU_DEP_1) | instskip(NEXT) | instid1(VALU_DEP_2)
	v_min_u32_e32 v37, v1, v13
	v_sub_nc_u32_e64 v24, v1, v12 clamp
	s_delay_alu instid0(VALU_DEP_1)
	v_cmpx_lt_u32_e64 v24, v37
	s_cbranch_execz .LBB823_90
; %bb.87:
	v_dual_mov_b32 v19, 0 :: v_dual_lshlrev_b32 v18, 3, v48
	s_mov_b32 s5, 0
	s_delay_alu instid0(VALU_DEP_1) | instskip(SKIP_1) | instid1(VALU_DEP_1)
	v_add_nc_u64_e32 v[12:13], v[10:11], v[18:19]
	v_lshlrev_b32_e32 v18, 3, v38
	v_add_nc_u64_e32 v[18:19], v[10:11], v[18:19]
.LBB823_88:                             ; =>This Inner Loop Header: Depth=1
	v_add_nc_u32_e32 v11, v37, v24
	s_delay_alu instid0(VALU_DEP_1) | instskip(NEXT) | instid1(VALU_DEP_1)
	v_lshrrev_b32_e32 v11, 1, v11
	v_xad_u32 v13, v11, -1, v1
	v_lshl_add_u32 v19, v11, 3, v12
	s_delay_alu instid0(VALU_DEP_2)
	v_lshl_add_u32 v13, v13, 3, v18
	ds_load_b64 v[26:27], v19
	ds_load_b64 v[30:31], v13
	s_wait_dscnt 0x0
	v_cmp_gt_i64_e64 s3, v[26:27], v[30:31]
	v_add_nc_u32_e32 v13, 1, v11
	s_delay_alu instid0(VALU_DEP_1) | instskip(SKIP_1) | instid1(VALU_DEP_1)
	v_cndmask_b32_e64 v24, v13, v24, s3
	v_cndmask_b32_e64 v37, v37, v11, s3
	v_cmp_ge_u32_e64 s3, v24, v37
	s_or_b32 s5, s3, s5
	s_delay_alu instid0(SALU_CYCLE_1)
	s_and_not1_b32 exec_lo, exec_lo, s5
	s_cbranch_execnz .LBB823_88
; %bb.89:
	s_or_b32 exec_lo, exec_lo, s5
.LBB823_90:
	s_delay_alu instid0(SALU_CYCLE_1) | instskip(SKIP_1) | instid1(VALU_DEP_1)
	s_or_b32 exec_lo, exec_lo, s4
	v_dual_add_nc_u32 v11, v38, v1 :: v_dual_add_nc_u32 v1, v24, v48
	v_sub_nc_u32_e32 v11, v11, v24
	s_delay_alu instid0(VALU_DEP_2) | instskip(NEXT) | instid1(VALU_DEP_2)
	v_cmp_le_u32_e64 s3, v1, v38
	v_cmp_le_u32_e64 s4, v11, v39
	s_or_b32 s3, s3, s4
	s_delay_alu instid0(SALU_CYCLE_1)
	s_and_saveexec_b32 s9, s3
	s_cbranch_execz .LBB823_96
; %bb.91:
	v_cmp_lt_u32_e64 s3, v1, v38
                                        ; implicit-def: $vgpr12_vgpr13
	s_and_saveexec_b32 s4, s3
; %bb.92:
	v_lshl_add_u32 v4, v1, 3, v10
	ds_load_b64 v[12:13], v4
; %bb.93:
	s_or_b32 exec_lo, exec_lo, s4
	v_cmp_ge_u32_e64 s4, v11, v39
	s_mov_b32 s6, exec_lo
                                        ; implicit-def: $vgpr14_vgpr15
	v_cmpx_lt_u32_e64 v11, v39
; %bb.94:
	v_lshl_add_u32 v4, v11, 3, v10
	ds_load_b64 v[14:15], v4
; %bb.95:
	s_or_b32 exec_lo, exec_lo, s6
	s_wait_dscnt 0x0
	v_cmp_le_i64_e64 s5, v[12:13], v[14:15]
	s_and_b32 s3, s3, s5
	s_delay_alu instid0(SALU_CYCLE_1) | instskip(NEXT) | instid1(SALU_CYCLE_1)
	s_or_b32 s3, s4, s3
	v_cndmask_b32_e64 v28, v11, v1, s3
	s_delay_alu instid0(VALU_DEP_1) | instskip(NEXT) | instid1(VALU_DEP_1)
	v_dual_cndmask_b32 v4, v39, v38, s3 :: v_dual_add_nc_u32 v20, 1, v28
	v_add_min_u32_e64 v4, v4, -1, v20
	v_dual_cndmask_b32 v1, v1, v20, s3 :: v_dual_cndmask_b32 v11, v20, v11, s3
	s_delay_alu instid0(VALU_DEP_2) | instskip(NEXT) | instid1(VALU_DEP_2)
	v_lshl_add_u32 v4, v4, 3, v10
	v_cmp_lt_u32_e64 s5, v1, v38
	s_delay_alu instid0(VALU_DEP_3)
	v_cmp_ge_u32_e64 s6, v11, v39
	ds_load_b64 v[4:5], v4
	s_wait_dscnt 0x0
	v_dual_cndmask_b32 v17, v5, v15, s3 :: v_dual_cndmask_b32 v16, v4, v14, s3
	v_dual_cndmask_b32 v19, v13, v5, s3 :: v_dual_cndmask_b32 v18, v12, v4, s3
	v_cndmask_b32_e64 v14, v14, v12, s3
	s_delay_alu instid0(VALU_DEP_2) | instskip(SKIP_1) | instid1(SALU_CYCLE_1)
	v_cmp_le_i64_e64 s4, v[18:19], v[16:17]
	s_and_b32 s4, s5, s4
	s_or_b32 s4, s6, s4
	s_delay_alu instid0(SALU_CYCLE_1) | instskip(SKIP_2) | instid1(VALU_DEP_3)
	v_cndmask_b32_e64 v29, v11, v1, s4
	v_cndmask_b32_e64 v4, v39, v38, s4
	;; [unrolled: 1-line block ×3, first 2 shown]
	v_add_nc_u32_e32 v24, 1, v29
	s_delay_alu instid0(VALU_DEP_1) | instskip(SKIP_1) | instid1(VALU_DEP_2)
	v_add_min_u32_e64 v4, v4, -1, v24
	v_dual_cndmask_b32 v1, v1, v24, s4 :: v_dual_cndmask_b32 v11, v24, v11, s4
	v_lshl_add_u32 v4, v4, 3, v10
	s_delay_alu instid0(VALU_DEP_2) | instskip(NEXT) | instid1(VALU_DEP_3)
	v_cmp_lt_u32_e64 s6, v1, v38
	v_cmp_ge_u32_e64 s7, v11, v39
	ds_load_b64 v[4:5], v4
	s_wait_dscnt 0x0
	v_dual_cndmask_b32 v21, v5, v17, s4 :: v_dual_cndmask_b32 v20, v4, v16, s4
	v_dual_cndmask_b32 v23, v19, v5, s4 :: v_dual_cndmask_b32 v22, v18, v4, s4
	;; [unrolled: 1-line block ×3, first 2 shown]
	s_delay_alu instid0(VALU_DEP_2) | instskip(SKIP_1) | instid1(SALU_CYCLE_1)
	v_cmp_le_i64_e64 s5, v[22:23], v[20:21]
	s_and_b32 s5, s6, s5
	s_or_b32 s5, s7, s5
	s_delay_alu instid0(SALU_CYCLE_1) | instskip(SKIP_1) | instid1(VALU_DEP_2)
	v_cndmask_b32_e64 v30, v11, v1, s5
	v_cndmask_b32_e64 v4, v39, v38, s5
	v_add_nc_u32_e32 v31, 1, v30
	s_delay_alu instid0(VALU_DEP_1) | instskip(NEXT) | instid1(VALU_DEP_1)
	v_add_min_u32_e64 v4, v4, -1, v31
	v_lshl_add_u32 v4, v4, 3, v10
	ds_load_b64 v[4:5], v4
	s_wait_dscnt 0x0
	v_dual_cndmask_b32 v25, v5, v21, s5 :: v_dual_cndmask_b32 v24, v4, v20, s5
	v_dual_cndmask_b32 v27, v23, v5, s5 :: v_dual_cndmask_b32 v26, v22, v4, s5
	v_cndmask_b32_e64 v1, v1, v31, s5
	v_cndmask_b32_e64 v4, v31, v11, s5
	v_lshl_add_u32 v11, v29, 3, v10
	v_dual_cndmask_b32 v23, v21, v23, s5 :: v_dual_cndmask_b32 v22, v20, v22, s5
	v_cmp_le_i64_e64 s6, v[26:27], v[24:25]
	v_cmp_lt_u32_e64 s7, v1, v38
	v_cmp_ge_u32_e64 s8, v4, v39
	s_and_b32 s6, s7, s6
	s_delay_alu instid0(SALU_CYCLE_1) | instskip(NEXT) | instid1(SALU_CYCLE_1)
	s_or_b32 s6, s8, s6
	v_cndmask_b32_e64 v1, v4, v1, s6
	v_lshl_add_u32 v4, v28, 3, v10
	v_lshl_add_u32 v28, v30, 3, v10
	v_dual_cndmask_b32 v21, v25, v27, s6 :: v_dual_cndmask_b32 v20, v24, v26, s6
	s_delay_alu instid0(VALU_DEP_4)
	v_lshl_add_u32 v1, v1, 3, v10
	ds_load_b64 v[4:5], v4 offset:8192
	ds_load_b64 v[34:35], v11 offset:8192
	;; [unrolled: 1-line block ×4, first 2 shown]
.LBB823_96:
	s_or_b32 exec_lo, exec_lo, s9
	; wave barrier
	s_wait_storecnt_dscnt 0x0
	s_barrier_signal -1
	s_barrier_wait -1
.LBB823_97:
	s_or_b32 exec_lo, exec_lo, s10
	v_lshl_add_u64 v[2:3], v[8:9], 3, v[2:3]
	v_mov_b32_e32 v1, 0
	s_wait_storecnt 0x0
	; wave barrier
	s_wait_loadcnt_dscnt 0x0
	s_delay_alu instid0(VALU_DEP_1)
	v_add_nc_u64_e32 v[2:3], v[2:3], v[0:1]
	s_and_saveexec_b32 s3, vcc_lo
	s_cbranch_execnz .LBB823_110
; %bb.98:
	s_or_b32 exec_lo, exec_lo, s3
	s_and_saveexec_b32 s3, s0
	s_cbranch_execnz .LBB823_111
.LBB823_99:
	s_or_b32 exec_lo, exec_lo, s3
	s_and_saveexec_b32 s3, s1
	s_cbranch_execnz .LBB823_112
.LBB823_100:
	s_or_b32 exec_lo, exec_lo, s3
	s_and_saveexec_b32 s3, s2
	s_cbranch_execz .LBB823_102
.LBB823_101:
	flat_store_b64 v[2:3], v[20:21] offset:24
.LBB823_102:
	s_wait_xcnt 0x0
	s_or_b32 exec_lo, exec_lo, s3
	v_lshl_add_u64 v[2:3], v[8:9], 3, v[6:7]
	v_mov_b32_e32 v1, 0
	; wave barrier
	s_delay_alu instid0(VALU_DEP_1)
	v_add_nc_u64_e32 v[0:1], v[2:3], v[0:1]
	s_and_saveexec_b32 s3, vcc_lo
	s_cbranch_execnz .LBB823_113
; %bb.103:
	s_or_b32 exec_lo, exec_lo, s3
	s_and_saveexec_b32 s3, s0
	s_cbranch_execnz .LBB823_114
.LBB823_104:
	s_or_b32 exec_lo, exec_lo, s3
	s_and_saveexec_b32 s0, s1
	s_cbranch_execnz .LBB823_115
.LBB823_105:
	s_or_b32 exec_lo, exec_lo, s0
	s_and_saveexec_b32 s0, s2
	s_cbranch_execnz .LBB823_116
.LBB823_106:
	s_or_b32 exec_lo, exec_lo, s0
	s_wait_dscnt 0x0
	s_set_pc_i64 s[30:31]
.LBB823_107:
	flat_load_b64 v[4:5], v[24:25]
	s_wait_xcnt 0x0
	s_or_b32 exec_lo, exec_lo, s3
                                        ; implicit-def: $vgpr34_vgpr35
	s_and_saveexec_b32 s3, s0
	s_cbranch_execz .LBB823_10
.LBB823_108:
	flat_load_b64 v[34:35], v[24:25] offset:8
	s_wait_xcnt 0x0
	s_or_b32 exec_lo, exec_lo, s3
                                        ; implicit-def: $vgpr28_vgpr29
	s_and_saveexec_b32 s3, s1
	s_cbranch_execz .LBB823_11
.LBB823_109:
	flat_load_b64 v[28:29], v[24:25] offset:16
	s_wait_xcnt 0x0
	s_or_b32 exec_lo, exec_lo, s3
                                        ; implicit-def: $vgpr32_vgpr33
	s_and_saveexec_b32 s3, s2
	s_cbranch_execnz .LBB823_12
	s_branch .LBB823_13
.LBB823_110:
	flat_store_b64 v[2:3], v[14:15]
	s_wait_xcnt 0x0
	s_or_b32 exec_lo, exec_lo, s3
	s_and_saveexec_b32 s3, s0
	s_cbranch_execz .LBB823_99
.LBB823_111:
	flat_store_b64 v[2:3], v[16:17] offset:8
	s_wait_xcnt 0x0
	s_or_b32 exec_lo, exec_lo, s3
	s_and_saveexec_b32 s3, s1
	s_cbranch_execz .LBB823_100
.LBB823_112:
	flat_store_b64 v[2:3], v[22:23] offset:16
	s_wait_xcnt 0x0
	s_or_b32 exec_lo, exec_lo, s3
	s_and_saveexec_b32 s3, s2
	s_cbranch_execnz .LBB823_101
	s_branch .LBB823_102
.LBB823_113:
	flat_store_b64 v[0:1], v[4:5]
	s_wait_xcnt 0x0
	s_or_b32 exec_lo, exec_lo, s3
	s_and_saveexec_b32 s3, s0
	s_cbranch_execz .LBB823_104
.LBB823_114:
	flat_store_b64 v[0:1], v[34:35] offset:8
	s_wait_xcnt 0x0
	s_or_b32 exec_lo, exec_lo, s3
	s_and_saveexec_b32 s0, s1
	s_cbranch_execz .LBB823_105
.LBB823_115:
	flat_store_b64 v[0:1], v[28:29] offset:16
	s_wait_xcnt 0x0
	s_or_b32 exec_lo, exec_lo, s0
	s_and_saveexec_b32 s0, s2
	s_cbranch_execz .LBB823_106
.LBB823_116:
	flat_store_b64 v[0:1], v[32:33] offset:24
	s_wait_xcnt 0x0
	s_or_b32 exec_lo, exec_lo, s0
	s_wait_dscnt 0x0
	s_set_pc_i64 s[30:31]
.Lfunc_end823:
	.size	_ZN7rocprim17ROCPRIM_400000_NS6detail26segmented_warp_sort_helperINS1_20WarpSortHelperConfigILj8ELj4ELj256EEEllLi256ELb0EvE4sortIPKlPlS8_S9_EEvT_T0_T1_T2_jjjjRNS5_12storage_typeE, .Lfunc_end823-_ZN7rocprim17ROCPRIM_400000_NS6detail26segmented_warp_sort_helperINS1_20WarpSortHelperConfigILj8ELj4ELj256EEEllLi256ELb0EvE4sortIPKlPlS8_S9_EEvT_T0_T1_T2_jjjjRNS5_12storage_typeE
                                        ; -- End function
	.set .L_ZN7rocprim17ROCPRIM_400000_NS6detail26segmented_warp_sort_helperINS1_20WarpSortHelperConfigILj8ELj4ELj256EEEllLi256ELb0EvE4sortIPKlPlS8_S9_EEvT_T0_T1_T2_jjjjRNS5_12storage_typeE.num_vgpr, 70
	.set .L_ZN7rocprim17ROCPRIM_400000_NS6detail26segmented_warp_sort_helperINS1_20WarpSortHelperConfigILj8ELj4ELj256EEEllLi256ELb0EvE4sortIPKlPlS8_S9_EEvT_T0_T1_T2_jjjjRNS5_12storage_typeE.num_agpr, 0
	.set .L_ZN7rocprim17ROCPRIM_400000_NS6detail26segmented_warp_sort_helperINS1_20WarpSortHelperConfigILj8ELj4ELj256EEEllLi256ELb0EvE4sortIPKlPlS8_S9_EEvT_T0_T1_T2_jjjjRNS5_12storage_typeE.numbered_sgpr, 32
	.set .L_ZN7rocprim17ROCPRIM_400000_NS6detail26segmented_warp_sort_helperINS1_20WarpSortHelperConfigILj8ELj4ELj256EEEllLi256ELb0EvE4sortIPKlPlS8_S9_EEvT_T0_T1_T2_jjjjRNS5_12storage_typeE.num_named_barrier, 0
	.set .L_ZN7rocprim17ROCPRIM_400000_NS6detail26segmented_warp_sort_helperINS1_20WarpSortHelperConfigILj8ELj4ELj256EEEllLi256ELb0EvE4sortIPKlPlS8_S9_EEvT_T0_T1_T2_jjjjRNS5_12storage_typeE.private_seg_size, 0
	.set .L_ZN7rocprim17ROCPRIM_400000_NS6detail26segmented_warp_sort_helperINS1_20WarpSortHelperConfigILj8ELj4ELj256EEEllLi256ELb0EvE4sortIPKlPlS8_S9_EEvT_T0_T1_T2_jjjjRNS5_12storage_typeE.uses_vcc, 1
	.set .L_ZN7rocprim17ROCPRIM_400000_NS6detail26segmented_warp_sort_helperINS1_20WarpSortHelperConfigILj8ELj4ELj256EEEllLi256ELb0EvE4sortIPKlPlS8_S9_EEvT_T0_T1_T2_jjjjRNS5_12storage_typeE.uses_flat_scratch, 0
	.set .L_ZN7rocprim17ROCPRIM_400000_NS6detail26segmented_warp_sort_helperINS1_20WarpSortHelperConfigILj8ELj4ELj256EEEllLi256ELb0EvE4sortIPKlPlS8_S9_EEvT_T0_T1_T2_jjjjRNS5_12storage_typeE.has_dyn_sized_stack, 0
	.set .L_ZN7rocprim17ROCPRIM_400000_NS6detail26segmented_warp_sort_helperINS1_20WarpSortHelperConfigILj8ELj4ELj256EEEllLi256ELb0EvE4sortIPKlPlS8_S9_EEvT_T0_T1_T2_jjjjRNS5_12storage_typeE.has_recursion, 0
	.set .L_ZN7rocprim17ROCPRIM_400000_NS6detail26segmented_warp_sort_helperINS1_20WarpSortHelperConfigILj8ELj4ELj256EEEllLi256ELb0EvE4sortIPKlPlS8_S9_EEvT_T0_T1_T2_jjjjRNS5_12storage_typeE.has_indirect_call, 0
	.section	.AMDGPU.csdata,"",@progbits
; Function info:
; codeLenInByte = 8808
; TotalNumSgprs: 34
; NumVgprs: 70
; ScratchSize: 0
; MemoryBound: 1
	.section	.text._ZN7rocprim17ROCPRIM_400000_NS6detail17trampoline_kernelINS0_14default_configENS1_36segmented_radix_sort_config_selectorIllEEZNS1_25segmented_radix_sort_implIS3_Lb0EPKlPlS8_S9_N2at6native12_GLOBAL__N_18offset_tEEE10hipError_tPvRmT1_PNSt15iterator_traitsISH_E10value_typeET2_T3_PNSI_ISN_E10value_typeET4_jRbjT5_ST_jjP12ihipStream_tbEUlT_E1_NS1_11comp_targetILNS1_3genE0ELNS1_11target_archE4294967295ELNS1_3gpuE0ELNS1_3repE0EEENS1_59segmented_radix_sort_warp_sort_small_config_static_selectorELNS0_4arch9wavefront6targetE0EEEvSH_,"axG",@progbits,_ZN7rocprim17ROCPRIM_400000_NS6detail17trampoline_kernelINS0_14default_configENS1_36segmented_radix_sort_config_selectorIllEEZNS1_25segmented_radix_sort_implIS3_Lb0EPKlPlS8_S9_N2at6native12_GLOBAL__N_18offset_tEEE10hipError_tPvRmT1_PNSt15iterator_traitsISH_E10value_typeET2_T3_PNSI_ISN_E10value_typeET4_jRbjT5_ST_jjP12ihipStream_tbEUlT_E1_NS1_11comp_targetILNS1_3genE0ELNS1_11target_archE4294967295ELNS1_3gpuE0ELNS1_3repE0EEENS1_59segmented_radix_sort_warp_sort_small_config_static_selectorELNS0_4arch9wavefront6targetE0EEEvSH_,comdat
	.globl	_ZN7rocprim17ROCPRIM_400000_NS6detail17trampoline_kernelINS0_14default_configENS1_36segmented_radix_sort_config_selectorIllEEZNS1_25segmented_radix_sort_implIS3_Lb0EPKlPlS8_S9_N2at6native12_GLOBAL__N_18offset_tEEE10hipError_tPvRmT1_PNSt15iterator_traitsISH_E10value_typeET2_T3_PNSI_ISN_E10value_typeET4_jRbjT5_ST_jjP12ihipStream_tbEUlT_E1_NS1_11comp_targetILNS1_3genE0ELNS1_11target_archE4294967295ELNS1_3gpuE0ELNS1_3repE0EEENS1_59segmented_radix_sort_warp_sort_small_config_static_selectorELNS0_4arch9wavefront6targetE0EEEvSH_ ; -- Begin function _ZN7rocprim17ROCPRIM_400000_NS6detail17trampoline_kernelINS0_14default_configENS1_36segmented_radix_sort_config_selectorIllEEZNS1_25segmented_radix_sort_implIS3_Lb0EPKlPlS8_S9_N2at6native12_GLOBAL__N_18offset_tEEE10hipError_tPvRmT1_PNSt15iterator_traitsISH_E10value_typeET2_T3_PNSI_ISN_E10value_typeET4_jRbjT5_ST_jjP12ihipStream_tbEUlT_E1_NS1_11comp_targetILNS1_3genE0ELNS1_11target_archE4294967295ELNS1_3gpuE0ELNS1_3repE0EEENS1_59segmented_radix_sort_warp_sort_small_config_static_selectorELNS0_4arch9wavefront6targetE0EEEvSH_
	.p2align	8
	.type	_ZN7rocprim17ROCPRIM_400000_NS6detail17trampoline_kernelINS0_14default_configENS1_36segmented_radix_sort_config_selectorIllEEZNS1_25segmented_radix_sort_implIS3_Lb0EPKlPlS8_S9_N2at6native12_GLOBAL__N_18offset_tEEE10hipError_tPvRmT1_PNSt15iterator_traitsISH_E10value_typeET2_T3_PNSI_ISN_E10value_typeET4_jRbjT5_ST_jjP12ihipStream_tbEUlT_E1_NS1_11comp_targetILNS1_3genE0ELNS1_11target_archE4294967295ELNS1_3gpuE0ELNS1_3repE0EEENS1_59segmented_radix_sort_warp_sort_small_config_static_selectorELNS0_4arch9wavefront6targetE0EEEvSH_,@function
_ZN7rocprim17ROCPRIM_400000_NS6detail17trampoline_kernelINS0_14default_configENS1_36segmented_radix_sort_config_selectorIllEEZNS1_25segmented_radix_sort_implIS3_Lb0EPKlPlS8_S9_N2at6native12_GLOBAL__N_18offset_tEEE10hipError_tPvRmT1_PNSt15iterator_traitsISH_E10value_typeET2_T3_PNSI_ISN_E10value_typeET4_jRbjT5_ST_jjP12ihipStream_tbEUlT_E1_NS1_11comp_targetILNS1_3genE0ELNS1_11target_archE4294967295ELNS1_3gpuE0ELNS1_3repE0EEENS1_59segmented_radix_sort_warp_sort_small_config_static_selectorELNS0_4arch9wavefront6targetE0EEEvSH_: ; @_ZN7rocprim17ROCPRIM_400000_NS6detail17trampoline_kernelINS0_14default_configENS1_36segmented_radix_sort_config_selectorIllEEZNS1_25segmented_radix_sort_implIS3_Lb0EPKlPlS8_S9_N2at6native12_GLOBAL__N_18offset_tEEE10hipError_tPvRmT1_PNSt15iterator_traitsISH_E10value_typeET2_T3_PNSI_ISN_E10value_typeET4_jRbjT5_ST_jjP12ihipStream_tbEUlT_E1_NS1_11comp_targetILNS1_3genE0ELNS1_11target_archE4294967295ELNS1_3gpuE0ELNS1_3repE0EEENS1_59segmented_radix_sort_warp_sort_small_config_static_selectorELNS0_4arch9wavefront6targetE0EEEvSH_
; %bb.0:
	s_load_b32 s4, s[2:3], 0x64
	v_bfe_u32 v1, v0, 10, 10
	v_bfe_u32 v2, v0, 20, 10
	v_and_b32_e32 v3, 0x3ff, v0
	s_and_b32 s6, ttmp6, 15
	s_getreg_b32 s7, hwreg(HW_REG_IB_STS2, 6, 4)
	s_mov_b32 s32, 0
	s_wait_kmcnt 0x0
	s_lshr_b32 s5, s4, 16
	s_and_b32 s4, s4, 0xffff
	v_mad_u32_u24 v1, v2, s5, v1
	s_bfe_u32 s5, ttmp6, 0x4000c
	s_delay_alu instid0(SALU_CYCLE_1) | instskip(NEXT) | instid1(SALU_CYCLE_1)
	s_add_co_i32 s5, s5, 1
	s_mul_i32 s5, ttmp9, s5
	s_delay_alu instid0(VALU_DEP_1) | instskip(SKIP_4) | instid1(VALU_DEP_1)
	v_mad_u32 v1, v1, s4, v3
	s_load_b32 s4, s[2:3], 0x34
	s_add_co_i32 s6, s6, s5
	s_cmp_eq_u32 s7, 0
	s_cselect_b32 s5, ttmp9, s6
	v_lshrrev_b32_e32 v1, 3, v1
	s_delay_alu instid0(VALU_DEP_1) | instskip(SKIP_1) | instid1(VALU_DEP_1)
	v_lshl_add_u32 v2, s5, 5, v1
	s_wait_kmcnt 0x0
	v_cmp_gt_u32_e32 vcc_lo, s4, v2
	s_and_saveexec_b32 s4, vcc_lo
	s_cbranch_execz .LBB824_6
; %bb.1:
	s_clause 0x1
	s_load_b64 s[8:9], s[2:3], 0x38
	s_load_b128 s[4:7], s[2:3], 0x40
	v_mov_b32_e32 v3, 0
	s_delay_alu instid0(VALU_DEP_1) | instskip(SKIP_1) | instid1(VALU_DEP_1)
	v_lshlrev_b64_e32 v[2:3], 2, v[2:3]
	s_wait_kmcnt 0x0
	v_sub_nc_u64_e32 v[2:3], s[8:9], v[2:3]
	global_load_b32 v1, v[2:3], off offset:-4
	s_wait_loadcnt 0x0
	v_dual_add_nc_u32 v2, s5, v1 :: v_dual_add_nc_u32 v1, s7, v1
	s_delay_alu instid0(VALU_DEP_1) | instskip(NEXT) | instid1(VALU_DEP_2)
	v_mul_lo_u32 v8, v2, s4
	v_mul_lo_u32 v40, v1, s6
	s_delay_alu instid0(VALU_DEP_1)
	v_cmp_gt_u32_e32 vcc_lo, v40, v8
	s_and_b32 exec_lo, exec_lo, vcc_lo
	s_cbranch_execz .LBB824_6
; %bb.2:
	s_clause 0x3
	s_load_b32 s4, s[2:3], 0x30
	s_load_b128 s[36:39], s[2:3], 0x20
	s_load_b256 s[20:27], s[2:3], 0x0
	s_load_b64 s[18:19], s[2:3], 0x50
	s_add_nc_u64 s[16:17], s[2:3], 0x58
	s_get_pc_i64 s[28:29]
	s_add_nc_u64 s[28:29], s[28:29], _ZN7rocprim17ROCPRIM_400000_NS6detail26segmented_warp_sort_helperINS1_20WarpSortHelperConfigILj8ELj4ELj256EEEllLi256ELb0EvE4sortIPKlPlS8_S9_EEvT_T0_T1_T2_jjjjRNS5_12storage_typeE@rel64+4
	s_wait_kmcnt 0x0
	s_bitcmp0_b32 s4, 0
	s_mov_b32 s4, -1
	s_cbranch_scc0 .LBB824_4
; %bb.3:
	s_mov_b64 s[2:3], src_shared_base
	v_dual_mov_b32 v31, v0 :: v_dual_mov_b32 v41, v0
	v_dual_mov_b32 v0, s20 :: v_dual_mov_b32 v1, s21
	;; [unrolled: 1-line block ×7, first 2 shown]
	v_mov_b32_e32 v13, s3
	s_mov_b64 s[6:7], s[0:1]
	s_mov_b64 s[8:9], s[16:17]
	;; [unrolled: 1-line block ×3, first 2 shown]
	s_swap_pc_i64 s[30:31], s[28:29]
	v_mov_b32_e32 v0, v41
	s_mov_b64 s[0:1], s[22:23]
	s_mov_b32 s4, 0
.LBB824_4:
	s_delay_alu instid0(SALU_CYCLE_1)
	s_and_not1_b32 vcc_lo, exec_lo, s4
	s_cbranch_vccnz .LBB824_6
; %bb.5:
	s_mov_b64 s[2:3], src_shared_base
	v_dual_mov_b32 v31, v0 :: v_dual_mov_b32 v0, s20
	v_dual_mov_b32 v1, s21 :: v_dual_mov_b32 v2, s24
	;; [unrolled: 1-line block ×7, first 2 shown]
	s_mov_b64 s[6:7], s[0:1]
	s_mov_b64 s[8:9], s[16:17]
	s_swap_pc_i64 s[30:31], s[28:29]
.LBB824_6:
	s_endpgm
	.section	.rodata,"a",@progbits
	.p2align	6, 0x0
	.amdhsa_kernel _ZN7rocprim17ROCPRIM_400000_NS6detail17trampoline_kernelINS0_14default_configENS1_36segmented_radix_sort_config_selectorIllEEZNS1_25segmented_radix_sort_implIS3_Lb0EPKlPlS8_S9_N2at6native12_GLOBAL__N_18offset_tEEE10hipError_tPvRmT1_PNSt15iterator_traitsISH_E10value_typeET2_T3_PNSI_ISN_E10value_typeET4_jRbjT5_ST_jjP12ihipStream_tbEUlT_E1_NS1_11comp_targetILNS1_3genE0ELNS1_11target_archE4294967295ELNS1_3gpuE0ELNS1_3repE0EEENS1_59segmented_radix_sort_warp_sort_small_config_static_selectorELNS0_4arch9wavefront6targetE0EEEvSH_
		.amdhsa_group_segment_fixed_size 16384
		.amdhsa_private_segment_fixed_size 0
		.amdhsa_kernarg_size 344
		.amdhsa_user_sgpr_count 4
		.amdhsa_user_sgpr_dispatch_ptr 0
		.amdhsa_user_sgpr_queue_ptr 1
		.amdhsa_user_sgpr_kernarg_segment_ptr 1
		.amdhsa_user_sgpr_dispatch_id 0
		.amdhsa_user_sgpr_kernarg_preload_length 0
		.amdhsa_user_sgpr_kernarg_preload_offset 0
		.amdhsa_user_sgpr_private_segment_size 0
		.amdhsa_wavefront_size32 1
		.amdhsa_uses_dynamic_stack 0
		.amdhsa_enable_private_segment 0
		.amdhsa_system_sgpr_workgroup_id_x 1
		.amdhsa_system_sgpr_workgroup_id_y 1
		.amdhsa_system_sgpr_workgroup_id_z 0
		.amdhsa_system_sgpr_workgroup_info 0
		.amdhsa_system_vgpr_workitem_id 2
		.amdhsa_next_free_vgpr 70
		.amdhsa_next_free_sgpr 40
		.amdhsa_named_barrier_count 0
		.amdhsa_reserve_vcc 1
		.amdhsa_float_round_mode_32 0
		.amdhsa_float_round_mode_16_64 0
		.amdhsa_float_denorm_mode_32 3
		.amdhsa_float_denorm_mode_16_64 3
		.amdhsa_fp16_overflow 0
		.amdhsa_memory_ordered 1
		.amdhsa_forward_progress 1
		.amdhsa_inst_pref_size 5
		.amdhsa_round_robin_scheduling 0
		.amdhsa_exception_fp_ieee_invalid_op 0
		.amdhsa_exception_fp_denorm_src 0
		.amdhsa_exception_fp_ieee_div_zero 0
		.amdhsa_exception_fp_ieee_overflow 0
		.amdhsa_exception_fp_ieee_underflow 0
		.amdhsa_exception_fp_ieee_inexact 0
		.amdhsa_exception_int_div_zero 0
	.end_amdhsa_kernel
	.section	.text._ZN7rocprim17ROCPRIM_400000_NS6detail17trampoline_kernelINS0_14default_configENS1_36segmented_radix_sort_config_selectorIllEEZNS1_25segmented_radix_sort_implIS3_Lb0EPKlPlS8_S9_N2at6native12_GLOBAL__N_18offset_tEEE10hipError_tPvRmT1_PNSt15iterator_traitsISH_E10value_typeET2_T3_PNSI_ISN_E10value_typeET4_jRbjT5_ST_jjP12ihipStream_tbEUlT_E1_NS1_11comp_targetILNS1_3genE0ELNS1_11target_archE4294967295ELNS1_3gpuE0ELNS1_3repE0EEENS1_59segmented_radix_sort_warp_sort_small_config_static_selectorELNS0_4arch9wavefront6targetE0EEEvSH_,"axG",@progbits,_ZN7rocprim17ROCPRIM_400000_NS6detail17trampoline_kernelINS0_14default_configENS1_36segmented_radix_sort_config_selectorIllEEZNS1_25segmented_radix_sort_implIS3_Lb0EPKlPlS8_S9_N2at6native12_GLOBAL__N_18offset_tEEE10hipError_tPvRmT1_PNSt15iterator_traitsISH_E10value_typeET2_T3_PNSI_ISN_E10value_typeET4_jRbjT5_ST_jjP12ihipStream_tbEUlT_E1_NS1_11comp_targetILNS1_3genE0ELNS1_11target_archE4294967295ELNS1_3gpuE0ELNS1_3repE0EEENS1_59segmented_radix_sort_warp_sort_small_config_static_selectorELNS0_4arch9wavefront6targetE0EEEvSH_,comdat
.Lfunc_end824:
	.size	_ZN7rocprim17ROCPRIM_400000_NS6detail17trampoline_kernelINS0_14default_configENS1_36segmented_radix_sort_config_selectorIllEEZNS1_25segmented_radix_sort_implIS3_Lb0EPKlPlS8_S9_N2at6native12_GLOBAL__N_18offset_tEEE10hipError_tPvRmT1_PNSt15iterator_traitsISH_E10value_typeET2_T3_PNSI_ISN_E10value_typeET4_jRbjT5_ST_jjP12ihipStream_tbEUlT_E1_NS1_11comp_targetILNS1_3genE0ELNS1_11target_archE4294967295ELNS1_3gpuE0ELNS1_3repE0EEENS1_59segmented_radix_sort_warp_sort_small_config_static_selectorELNS0_4arch9wavefront6targetE0EEEvSH_, .Lfunc_end824-_ZN7rocprim17ROCPRIM_400000_NS6detail17trampoline_kernelINS0_14default_configENS1_36segmented_radix_sort_config_selectorIllEEZNS1_25segmented_radix_sort_implIS3_Lb0EPKlPlS8_S9_N2at6native12_GLOBAL__N_18offset_tEEE10hipError_tPvRmT1_PNSt15iterator_traitsISH_E10value_typeET2_T3_PNSI_ISN_E10value_typeET4_jRbjT5_ST_jjP12ihipStream_tbEUlT_E1_NS1_11comp_targetILNS1_3genE0ELNS1_11target_archE4294967295ELNS1_3gpuE0ELNS1_3repE0EEENS1_59segmented_radix_sort_warp_sort_small_config_static_selectorELNS0_4arch9wavefront6targetE0EEEvSH_
                                        ; -- End function
	.set _ZN7rocprim17ROCPRIM_400000_NS6detail17trampoline_kernelINS0_14default_configENS1_36segmented_radix_sort_config_selectorIllEEZNS1_25segmented_radix_sort_implIS3_Lb0EPKlPlS8_S9_N2at6native12_GLOBAL__N_18offset_tEEE10hipError_tPvRmT1_PNSt15iterator_traitsISH_E10value_typeET2_T3_PNSI_ISN_E10value_typeET4_jRbjT5_ST_jjP12ihipStream_tbEUlT_E1_NS1_11comp_targetILNS1_3genE0ELNS1_11target_archE4294967295ELNS1_3gpuE0ELNS1_3repE0EEENS1_59segmented_radix_sort_warp_sort_small_config_static_selectorELNS0_4arch9wavefront6targetE0EEEvSH_.num_vgpr, max(42, .L_ZN7rocprim17ROCPRIM_400000_NS6detail26segmented_warp_sort_helperINS1_20WarpSortHelperConfigILj8ELj4ELj256EEEllLi256ELb0EvE4sortIPKlPlS8_S9_EEvT_T0_T1_T2_jjjjRNS5_12storage_typeE.num_vgpr)
	.set _ZN7rocprim17ROCPRIM_400000_NS6detail17trampoline_kernelINS0_14default_configENS1_36segmented_radix_sort_config_selectorIllEEZNS1_25segmented_radix_sort_implIS3_Lb0EPKlPlS8_S9_N2at6native12_GLOBAL__N_18offset_tEEE10hipError_tPvRmT1_PNSt15iterator_traitsISH_E10value_typeET2_T3_PNSI_ISN_E10value_typeET4_jRbjT5_ST_jjP12ihipStream_tbEUlT_E1_NS1_11comp_targetILNS1_3genE0ELNS1_11target_archE4294967295ELNS1_3gpuE0ELNS1_3repE0EEENS1_59segmented_radix_sort_warp_sort_small_config_static_selectorELNS0_4arch9wavefront6targetE0EEEvSH_.num_agpr, max(0, .L_ZN7rocprim17ROCPRIM_400000_NS6detail26segmented_warp_sort_helperINS1_20WarpSortHelperConfigILj8ELj4ELj256EEEllLi256ELb0EvE4sortIPKlPlS8_S9_EEvT_T0_T1_T2_jjjjRNS5_12storage_typeE.num_agpr)
	.set _ZN7rocprim17ROCPRIM_400000_NS6detail17trampoline_kernelINS0_14default_configENS1_36segmented_radix_sort_config_selectorIllEEZNS1_25segmented_radix_sort_implIS3_Lb0EPKlPlS8_S9_N2at6native12_GLOBAL__N_18offset_tEEE10hipError_tPvRmT1_PNSt15iterator_traitsISH_E10value_typeET2_T3_PNSI_ISN_E10value_typeET4_jRbjT5_ST_jjP12ihipStream_tbEUlT_E1_NS1_11comp_targetILNS1_3genE0ELNS1_11target_archE4294967295ELNS1_3gpuE0ELNS1_3repE0EEENS1_59segmented_radix_sort_warp_sort_small_config_static_selectorELNS0_4arch9wavefront6targetE0EEEvSH_.numbered_sgpr, max(40, .L_ZN7rocprim17ROCPRIM_400000_NS6detail26segmented_warp_sort_helperINS1_20WarpSortHelperConfigILj8ELj4ELj256EEEllLi256ELb0EvE4sortIPKlPlS8_S9_EEvT_T0_T1_T2_jjjjRNS5_12storage_typeE.numbered_sgpr)
	.set _ZN7rocprim17ROCPRIM_400000_NS6detail17trampoline_kernelINS0_14default_configENS1_36segmented_radix_sort_config_selectorIllEEZNS1_25segmented_radix_sort_implIS3_Lb0EPKlPlS8_S9_N2at6native12_GLOBAL__N_18offset_tEEE10hipError_tPvRmT1_PNSt15iterator_traitsISH_E10value_typeET2_T3_PNSI_ISN_E10value_typeET4_jRbjT5_ST_jjP12ihipStream_tbEUlT_E1_NS1_11comp_targetILNS1_3genE0ELNS1_11target_archE4294967295ELNS1_3gpuE0ELNS1_3repE0EEENS1_59segmented_radix_sort_warp_sort_small_config_static_selectorELNS0_4arch9wavefront6targetE0EEEvSH_.num_named_barrier, max(0, .L_ZN7rocprim17ROCPRIM_400000_NS6detail26segmented_warp_sort_helperINS1_20WarpSortHelperConfigILj8ELj4ELj256EEEllLi256ELb0EvE4sortIPKlPlS8_S9_EEvT_T0_T1_T2_jjjjRNS5_12storage_typeE.num_named_barrier)
	.set _ZN7rocprim17ROCPRIM_400000_NS6detail17trampoline_kernelINS0_14default_configENS1_36segmented_radix_sort_config_selectorIllEEZNS1_25segmented_radix_sort_implIS3_Lb0EPKlPlS8_S9_N2at6native12_GLOBAL__N_18offset_tEEE10hipError_tPvRmT1_PNSt15iterator_traitsISH_E10value_typeET2_T3_PNSI_ISN_E10value_typeET4_jRbjT5_ST_jjP12ihipStream_tbEUlT_E1_NS1_11comp_targetILNS1_3genE0ELNS1_11target_archE4294967295ELNS1_3gpuE0ELNS1_3repE0EEENS1_59segmented_radix_sort_warp_sort_small_config_static_selectorELNS0_4arch9wavefront6targetE0EEEvSH_.private_seg_size, 0+max(.L_ZN7rocprim17ROCPRIM_400000_NS6detail26segmented_warp_sort_helperINS1_20WarpSortHelperConfigILj8ELj4ELj256EEEllLi256ELb0EvE4sortIPKlPlS8_S9_EEvT_T0_T1_T2_jjjjRNS5_12storage_typeE.private_seg_size)
	.set _ZN7rocprim17ROCPRIM_400000_NS6detail17trampoline_kernelINS0_14default_configENS1_36segmented_radix_sort_config_selectorIllEEZNS1_25segmented_radix_sort_implIS3_Lb0EPKlPlS8_S9_N2at6native12_GLOBAL__N_18offset_tEEE10hipError_tPvRmT1_PNSt15iterator_traitsISH_E10value_typeET2_T3_PNSI_ISN_E10value_typeET4_jRbjT5_ST_jjP12ihipStream_tbEUlT_E1_NS1_11comp_targetILNS1_3genE0ELNS1_11target_archE4294967295ELNS1_3gpuE0ELNS1_3repE0EEENS1_59segmented_radix_sort_warp_sort_small_config_static_selectorELNS0_4arch9wavefront6targetE0EEEvSH_.uses_vcc, or(1, .L_ZN7rocprim17ROCPRIM_400000_NS6detail26segmented_warp_sort_helperINS1_20WarpSortHelperConfigILj8ELj4ELj256EEEllLi256ELb0EvE4sortIPKlPlS8_S9_EEvT_T0_T1_T2_jjjjRNS5_12storage_typeE.uses_vcc)
	.set _ZN7rocprim17ROCPRIM_400000_NS6detail17trampoline_kernelINS0_14default_configENS1_36segmented_radix_sort_config_selectorIllEEZNS1_25segmented_radix_sort_implIS3_Lb0EPKlPlS8_S9_N2at6native12_GLOBAL__N_18offset_tEEE10hipError_tPvRmT1_PNSt15iterator_traitsISH_E10value_typeET2_T3_PNSI_ISN_E10value_typeET4_jRbjT5_ST_jjP12ihipStream_tbEUlT_E1_NS1_11comp_targetILNS1_3genE0ELNS1_11target_archE4294967295ELNS1_3gpuE0ELNS1_3repE0EEENS1_59segmented_radix_sort_warp_sort_small_config_static_selectorELNS0_4arch9wavefront6targetE0EEEvSH_.uses_flat_scratch, or(0, .L_ZN7rocprim17ROCPRIM_400000_NS6detail26segmented_warp_sort_helperINS1_20WarpSortHelperConfigILj8ELj4ELj256EEEllLi256ELb0EvE4sortIPKlPlS8_S9_EEvT_T0_T1_T2_jjjjRNS5_12storage_typeE.uses_flat_scratch)
	.set _ZN7rocprim17ROCPRIM_400000_NS6detail17trampoline_kernelINS0_14default_configENS1_36segmented_radix_sort_config_selectorIllEEZNS1_25segmented_radix_sort_implIS3_Lb0EPKlPlS8_S9_N2at6native12_GLOBAL__N_18offset_tEEE10hipError_tPvRmT1_PNSt15iterator_traitsISH_E10value_typeET2_T3_PNSI_ISN_E10value_typeET4_jRbjT5_ST_jjP12ihipStream_tbEUlT_E1_NS1_11comp_targetILNS1_3genE0ELNS1_11target_archE4294967295ELNS1_3gpuE0ELNS1_3repE0EEENS1_59segmented_radix_sort_warp_sort_small_config_static_selectorELNS0_4arch9wavefront6targetE0EEEvSH_.has_dyn_sized_stack, or(0, .L_ZN7rocprim17ROCPRIM_400000_NS6detail26segmented_warp_sort_helperINS1_20WarpSortHelperConfigILj8ELj4ELj256EEEllLi256ELb0EvE4sortIPKlPlS8_S9_EEvT_T0_T1_T2_jjjjRNS5_12storage_typeE.has_dyn_sized_stack)
	.set _ZN7rocprim17ROCPRIM_400000_NS6detail17trampoline_kernelINS0_14default_configENS1_36segmented_radix_sort_config_selectorIllEEZNS1_25segmented_radix_sort_implIS3_Lb0EPKlPlS8_S9_N2at6native12_GLOBAL__N_18offset_tEEE10hipError_tPvRmT1_PNSt15iterator_traitsISH_E10value_typeET2_T3_PNSI_ISN_E10value_typeET4_jRbjT5_ST_jjP12ihipStream_tbEUlT_E1_NS1_11comp_targetILNS1_3genE0ELNS1_11target_archE4294967295ELNS1_3gpuE0ELNS1_3repE0EEENS1_59segmented_radix_sort_warp_sort_small_config_static_selectorELNS0_4arch9wavefront6targetE0EEEvSH_.has_recursion, or(0, .L_ZN7rocprim17ROCPRIM_400000_NS6detail26segmented_warp_sort_helperINS1_20WarpSortHelperConfigILj8ELj4ELj256EEEllLi256ELb0EvE4sortIPKlPlS8_S9_EEvT_T0_T1_T2_jjjjRNS5_12storage_typeE.has_recursion)
	.set _ZN7rocprim17ROCPRIM_400000_NS6detail17trampoline_kernelINS0_14default_configENS1_36segmented_radix_sort_config_selectorIllEEZNS1_25segmented_radix_sort_implIS3_Lb0EPKlPlS8_S9_N2at6native12_GLOBAL__N_18offset_tEEE10hipError_tPvRmT1_PNSt15iterator_traitsISH_E10value_typeET2_T3_PNSI_ISN_E10value_typeET4_jRbjT5_ST_jjP12ihipStream_tbEUlT_E1_NS1_11comp_targetILNS1_3genE0ELNS1_11target_archE4294967295ELNS1_3gpuE0ELNS1_3repE0EEENS1_59segmented_radix_sort_warp_sort_small_config_static_selectorELNS0_4arch9wavefront6targetE0EEEvSH_.has_indirect_call, or(0, .L_ZN7rocprim17ROCPRIM_400000_NS6detail26segmented_warp_sort_helperINS1_20WarpSortHelperConfigILj8ELj4ELj256EEEllLi256ELb0EvE4sortIPKlPlS8_S9_EEvT_T0_T1_T2_jjjjRNS5_12storage_typeE.has_indirect_call)
	.section	.AMDGPU.csdata,"",@progbits
; Kernel info:
; codeLenInByte = 520
; TotalNumSgprs: 42
; NumVgprs: 70
; ScratchSize: 0
; MemoryBound: 0
; FloatMode: 240
; IeeeMode: 1
; LDSByteSize: 16384 bytes/workgroup (compile time only)
; SGPRBlocks: 0
; VGPRBlocks: 4
; NumSGPRsForWavesPerEU: 42
; NumVGPRsForWavesPerEU: 70
; NamedBarCnt: 0
; Occupancy: 12
; WaveLimiterHint : 0
; COMPUTE_PGM_RSRC2:SCRATCH_EN: 0
; COMPUTE_PGM_RSRC2:USER_SGPR: 4
; COMPUTE_PGM_RSRC2:TRAP_HANDLER: 0
; COMPUTE_PGM_RSRC2:TGID_X_EN: 1
; COMPUTE_PGM_RSRC2:TGID_Y_EN: 1
; COMPUTE_PGM_RSRC2:TGID_Z_EN: 0
; COMPUTE_PGM_RSRC2:TIDIG_COMP_CNT: 2
	.section	.text._ZN7rocprim17ROCPRIM_400000_NS6detail17trampoline_kernelINS0_14default_configENS1_36segmented_radix_sort_config_selectorIllEEZNS1_25segmented_radix_sort_implIS3_Lb0EPKlPlS8_S9_N2at6native12_GLOBAL__N_18offset_tEEE10hipError_tPvRmT1_PNSt15iterator_traitsISH_E10value_typeET2_T3_PNSI_ISN_E10value_typeET4_jRbjT5_ST_jjP12ihipStream_tbEUlT_E1_NS1_11comp_targetILNS1_3genE5ELNS1_11target_archE942ELNS1_3gpuE9ELNS1_3repE0EEENS1_59segmented_radix_sort_warp_sort_small_config_static_selectorELNS0_4arch9wavefront6targetE0EEEvSH_,"axG",@progbits,_ZN7rocprim17ROCPRIM_400000_NS6detail17trampoline_kernelINS0_14default_configENS1_36segmented_radix_sort_config_selectorIllEEZNS1_25segmented_radix_sort_implIS3_Lb0EPKlPlS8_S9_N2at6native12_GLOBAL__N_18offset_tEEE10hipError_tPvRmT1_PNSt15iterator_traitsISH_E10value_typeET2_T3_PNSI_ISN_E10value_typeET4_jRbjT5_ST_jjP12ihipStream_tbEUlT_E1_NS1_11comp_targetILNS1_3genE5ELNS1_11target_archE942ELNS1_3gpuE9ELNS1_3repE0EEENS1_59segmented_radix_sort_warp_sort_small_config_static_selectorELNS0_4arch9wavefront6targetE0EEEvSH_,comdat
	.globl	_ZN7rocprim17ROCPRIM_400000_NS6detail17trampoline_kernelINS0_14default_configENS1_36segmented_radix_sort_config_selectorIllEEZNS1_25segmented_radix_sort_implIS3_Lb0EPKlPlS8_S9_N2at6native12_GLOBAL__N_18offset_tEEE10hipError_tPvRmT1_PNSt15iterator_traitsISH_E10value_typeET2_T3_PNSI_ISN_E10value_typeET4_jRbjT5_ST_jjP12ihipStream_tbEUlT_E1_NS1_11comp_targetILNS1_3genE5ELNS1_11target_archE942ELNS1_3gpuE9ELNS1_3repE0EEENS1_59segmented_radix_sort_warp_sort_small_config_static_selectorELNS0_4arch9wavefront6targetE0EEEvSH_ ; -- Begin function _ZN7rocprim17ROCPRIM_400000_NS6detail17trampoline_kernelINS0_14default_configENS1_36segmented_radix_sort_config_selectorIllEEZNS1_25segmented_radix_sort_implIS3_Lb0EPKlPlS8_S9_N2at6native12_GLOBAL__N_18offset_tEEE10hipError_tPvRmT1_PNSt15iterator_traitsISH_E10value_typeET2_T3_PNSI_ISN_E10value_typeET4_jRbjT5_ST_jjP12ihipStream_tbEUlT_E1_NS1_11comp_targetILNS1_3genE5ELNS1_11target_archE942ELNS1_3gpuE9ELNS1_3repE0EEENS1_59segmented_radix_sort_warp_sort_small_config_static_selectorELNS0_4arch9wavefront6targetE0EEEvSH_
	.p2align	8
	.type	_ZN7rocprim17ROCPRIM_400000_NS6detail17trampoline_kernelINS0_14default_configENS1_36segmented_radix_sort_config_selectorIllEEZNS1_25segmented_radix_sort_implIS3_Lb0EPKlPlS8_S9_N2at6native12_GLOBAL__N_18offset_tEEE10hipError_tPvRmT1_PNSt15iterator_traitsISH_E10value_typeET2_T3_PNSI_ISN_E10value_typeET4_jRbjT5_ST_jjP12ihipStream_tbEUlT_E1_NS1_11comp_targetILNS1_3genE5ELNS1_11target_archE942ELNS1_3gpuE9ELNS1_3repE0EEENS1_59segmented_radix_sort_warp_sort_small_config_static_selectorELNS0_4arch9wavefront6targetE0EEEvSH_,@function
_ZN7rocprim17ROCPRIM_400000_NS6detail17trampoline_kernelINS0_14default_configENS1_36segmented_radix_sort_config_selectorIllEEZNS1_25segmented_radix_sort_implIS3_Lb0EPKlPlS8_S9_N2at6native12_GLOBAL__N_18offset_tEEE10hipError_tPvRmT1_PNSt15iterator_traitsISH_E10value_typeET2_T3_PNSI_ISN_E10value_typeET4_jRbjT5_ST_jjP12ihipStream_tbEUlT_E1_NS1_11comp_targetILNS1_3genE5ELNS1_11target_archE942ELNS1_3gpuE9ELNS1_3repE0EEENS1_59segmented_radix_sort_warp_sort_small_config_static_selectorELNS0_4arch9wavefront6targetE0EEEvSH_: ; @_ZN7rocprim17ROCPRIM_400000_NS6detail17trampoline_kernelINS0_14default_configENS1_36segmented_radix_sort_config_selectorIllEEZNS1_25segmented_radix_sort_implIS3_Lb0EPKlPlS8_S9_N2at6native12_GLOBAL__N_18offset_tEEE10hipError_tPvRmT1_PNSt15iterator_traitsISH_E10value_typeET2_T3_PNSI_ISN_E10value_typeET4_jRbjT5_ST_jjP12ihipStream_tbEUlT_E1_NS1_11comp_targetILNS1_3genE5ELNS1_11target_archE942ELNS1_3gpuE9ELNS1_3repE0EEENS1_59segmented_radix_sort_warp_sort_small_config_static_selectorELNS0_4arch9wavefront6targetE0EEEvSH_
; %bb.0:
	.section	.rodata,"a",@progbits
	.p2align	6, 0x0
	.amdhsa_kernel _ZN7rocprim17ROCPRIM_400000_NS6detail17trampoline_kernelINS0_14default_configENS1_36segmented_radix_sort_config_selectorIllEEZNS1_25segmented_radix_sort_implIS3_Lb0EPKlPlS8_S9_N2at6native12_GLOBAL__N_18offset_tEEE10hipError_tPvRmT1_PNSt15iterator_traitsISH_E10value_typeET2_T3_PNSI_ISN_E10value_typeET4_jRbjT5_ST_jjP12ihipStream_tbEUlT_E1_NS1_11comp_targetILNS1_3genE5ELNS1_11target_archE942ELNS1_3gpuE9ELNS1_3repE0EEENS1_59segmented_radix_sort_warp_sort_small_config_static_selectorELNS0_4arch9wavefront6targetE0EEEvSH_
		.amdhsa_group_segment_fixed_size 0
		.amdhsa_private_segment_fixed_size 0
		.amdhsa_kernarg_size 88
		.amdhsa_user_sgpr_count 2
		.amdhsa_user_sgpr_dispatch_ptr 0
		.amdhsa_user_sgpr_queue_ptr 0
		.amdhsa_user_sgpr_kernarg_segment_ptr 1
		.amdhsa_user_sgpr_dispatch_id 0
		.amdhsa_user_sgpr_kernarg_preload_length 0
		.amdhsa_user_sgpr_kernarg_preload_offset 0
		.amdhsa_user_sgpr_private_segment_size 0
		.amdhsa_wavefront_size32 1
		.amdhsa_uses_dynamic_stack 0
		.amdhsa_enable_private_segment 0
		.amdhsa_system_sgpr_workgroup_id_x 1
		.amdhsa_system_sgpr_workgroup_id_y 0
		.amdhsa_system_sgpr_workgroup_id_z 0
		.amdhsa_system_sgpr_workgroup_info 0
		.amdhsa_system_vgpr_workitem_id 0
		.amdhsa_next_free_vgpr 1
		.amdhsa_next_free_sgpr 1
		.amdhsa_named_barrier_count 0
		.amdhsa_reserve_vcc 0
		.amdhsa_float_round_mode_32 0
		.amdhsa_float_round_mode_16_64 0
		.amdhsa_float_denorm_mode_32 3
		.amdhsa_float_denorm_mode_16_64 3
		.amdhsa_fp16_overflow 0
		.amdhsa_memory_ordered 1
		.amdhsa_forward_progress 1
		.amdhsa_inst_pref_size 0
		.amdhsa_round_robin_scheduling 0
		.amdhsa_exception_fp_ieee_invalid_op 0
		.amdhsa_exception_fp_denorm_src 0
		.amdhsa_exception_fp_ieee_div_zero 0
		.amdhsa_exception_fp_ieee_overflow 0
		.amdhsa_exception_fp_ieee_underflow 0
		.amdhsa_exception_fp_ieee_inexact 0
		.amdhsa_exception_int_div_zero 0
	.end_amdhsa_kernel
	.section	.text._ZN7rocprim17ROCPRIM_400000_NS6detail17trampoline_kernelINS0_14default_configENS1_36segmented_radix_sort_config_selectorIllEEZNS1_25segmented_radix_sort_implIS3_Lb0EPKlPlS8_S9_N2at6native12_GLOBAL__N_18offset_tEEE10hipError_tPvRmT1_PNSt15iterator_traitsISH_E10value_typeET2_T3_PNSI_ISN_E10value_typeET4_jRbjT5_ST_jjP12ihipStream_tbEUlT_E1_NS1_11comp_targetILNS1_3genE5ELNS1_11target_archE942ELNS1_3gpuE9ELNS1_3repE0EEENS1_59segmented_radix_sort_warp_sort_small_config_static_selectorELNS0_4arch9wavefront6targetE0EEEvSH_,"axG",@progbits,_ZN7rocprim17ROCPRIM_400000_NS6detail17trampoline_kernelINS0_14default_configENS1_36segmented_radix_sort_config_selectorIllEEZNS1_25segmented_radix_sort_implIS3_Lb0EPKlPlS8_S9_N2at6native12_GLOBAL__N_18offset_tEEE10hipError_tPvRmT1_PNSt15iterator_traitsISH_E10value_typeET2_T3_PNSI_ISN_E10value_typeET4_jRbjT5_ST_jjP12ihipStream_tbEUlT_E1_NS1_11comp_targetILNS1_3genE5ELNS1_11target_archE942ELNS1_3gpuE9ELNS1_3repE0EEENS1_59segmented_radix_sort_warp_sort_small_config_static_selectorELNS0_4arch9wavefront6targetE0EEEvSH_,comdat
.Lfunc_end825:
	.size	_ZN7rocprim17ROCPRIM_400000_NS6detail17trampoline_kernelINS0_14default_configENS1_36segmented_radix_sort_config_selectorIllEEZNS1_25segmented_radix_sort_implIS3_Lb0EPKlPlS8_S9_N2at6native12_GLOBAL__N_18offset_tEEE10hipError_tPvRmT1_PNSt15iterator_traitsISH_E10value_typeET2_T3_PNSI_ISN_E10value_typeET4_jRbjT5_ST_jjP12ihipStream_tbEUlT_E1_NS1_11comp_targetILNS1_3genE5ELNS1_11target_archE942ELNS1_3gpuE9ELNS1_3repE0EEENS1_59segmented_radix_sort_warp_sort_small_config_static_selectorELNS0_4arch9wavefront6targetE0EEEvSH_, .Lfunc_end825-_ZN7rocprim17ROCPRIM_400000_NS6detail17trampoline_kernelINS0_14default_configENS1_36segmented_radix_sort_config_selectorIllEEZNS1_25segmented_radix_sort_implIS3_Lb0EPKlPlS8_S9_N2at6native12_GLOBAL__N_18offset_tEEE10hipError_tPvRmT1_PNSt15iterator_traitsISH_E10value_typeET2_T3_PNSI_ISN_E10value_typeET4_jRbjT5_ST_jjP12ihipStream_tbEUlT_E1_NS1_11comp_targetILNS1_3genE5ELNS1_11target_archE942ELNS1_3gpuE9ELNS1_3repE0EEENS1_59segmented_radix_sort_warp_sort_small_config_static_selectorELNS0_4arch9wavefront6targetE0EEEvSH_
                                        ; -- End function
	.set _ZN7rocprim17ROCPRIM_400000_NS6detail17trampoline_kernelINS0_14default_configENS1_36segmented_radix_sort_config_selectorIllEEZNS1_25segmented_radix_sort_implIS3_Lb0EPKlPlS8_S9_N2at6native12_GLOBAL__N_18offset_tEEE10hipError_tPvRmT1_PNSt15iterator_traitsISH_E10value_typeET2_T3_PNSI_ISN_E10value_typeET4_jRbjT5_ST_jjP12ihipStream_tbEUlT_E1_NS1_11comp_targetILNS1_3genE5ELNS1_11target_archE942ELNS1_3gpuE9ELNS1_3repE0EEENS1_59segmented_radix_sort_warp_sort_small_config_static_selectorELNS0_4arch9wavefront6targetE0EEEvSH_.num_vgpr, 0
	.set _ZN7rocprim17ROCPRIM_400000_NS6detail17trampoline_kernelINS0_14default_configENS1_36segmented_radix_sort_config_selectorIllEEZNS1_25segmented_radix_sort_implIS3_Lb0EPKlPlS8_S9_N2at6native12_GLOBAL__N_18offset_tEEE10hipError_tPvRmT1_PNSt15iterator_traitsISH_E10value_typeET2_T3_PNSI_ISN_E10value_typeET4_jRbjT5_ST_jjP12ihipStream_tbEUlT_E1_NS1_11comp_targetILNS1_3genE5ELNS1_11target_archE942ELNS1_3gpuE9ELNS1_3repE0EEENS1_59segmented_radix_sort_warp_sort_small_config_static_selectorELNS0_4arch9wavefront6targetE0EEEvSH_.num_agpr, 0
	.set _ZN7rocprim17ROCPRIM_400000_NS6detail17trampoline_kernelINS0_14default_configENS1_36segmented_radix_sort_config_selectorIllEEZNS1_25segmented_radix_sort_implIS3_Lb0EPKlPlS8_S9_N2at6native12_GLOBAL__N_18offset_tEEE10hipError_tPvRmT1_PNSt15iterator_traitsISH_E10value_typeET2_T3_PNSI_ISN_E10value_typeET4_jRbjT5_ST_jjP12ihipStream_tbEUlT_E1_NS1_11comp_targetILNS1_3genE5ELNS1_11target_archE942ELNS1_3gpuE9ELNS1_3repE0EEENS1_59segmented_radix_sort_warp_sort_small_config_static_selectorELNS0_4arch9wavefront6targetE0EEEvSH_.numbered_sgpr, 0
	.set _ZN7rocprim17ROCPRIM_400000_NS6detail17trampoline_kernelINS0_14default_configENS1_36segmented_radix_sort_config_selectorIllEEZNS1_25segmented_radix_sort_implIS3_Lb0EPKlPlS8_S9_N2at6native12_GLOBAL__N_18offset_tEEE10hipError_tPvRmT1_PNSt15iterator_traitsISH_E10value_typeET2_T3_PNSI_ISN_E10value_typeET4_jRbjT5_ST_jjP12ihipStream_tbEUlT_E1_NS1_11comp_targetILNS1_3genE5ELNS1_11target_archE942ELNS1_3gpuE9ELNS1_3repE0EEENS1_59segmented_radix_sort_warp_sort_small_config_static_selectorELNS0_4arch9wavefront6targetE0EEEvSH_.num_named_barrier, 0
	.set _ZN7rocprim17ROCPRIM_400000_NS6detail17trampoline_kernelINS0_14default_configENS1_36segmented_radix_sort_config_selectorIllEEZNS1_25segmented_radix_sort_implIS3_Lb0EPKlPlS8_S9_N2at6native12_GLOBAL__N_18offset_tEEE10hipError_tPvRmT1_PNSt15iterator_traitsISH_E10value_typeET2_T3_PNSI_ISN_E10value_typeET4_jRbjT5_ST_jjP12ihipStream_tbEUlT_E1_NS1_11comp_targetILNS1_3genE5ELNS1_11target_archE942ELNS1_3gpuE9ELNS1_3repE0EEENS1_59segmented_radix_sort_warp_sort_small_config_static_selectorELNS0_4arch9wavefront6targetE0EEEvSH_.private_seg_size, 0
	.set _ZN7rocprim17ROCPRIM_400000_NS6detail17trampoline_kernelINS0_14default_configENS1_36segmented_radix_sort_config_selectorIllEEZNS1_25segmented_radix_sort_implIS3_Lb0EPKlPlS8_S9_N2at6native12_GLOBAL__N_18offset_tEEE10hipError_tPvRmT1_PNSt15iterator_traitsISH_E10value_typeET2_T3_PNSI_ISN_E10value_typeET4_jRbjT5_ST_jjP12ihipStream_tbEUlT_E1_NS1_11comp_targetILNS1_3genE5ELNS1_11target_archE942ELNS1_3gpuE9ELNS1_3repE0EEENS1_59segmented_radix_sort_warp_sort_small_config_static_selectorELNS0_4arch9wavefront6targetE0EEEvSH_.uses_vcc, 0
	.set _ZN7rocprim17ROCPRIM_400000_NS6detail17trampoline_kernelINS0_14default_configENS1_36segmented_radix_sort_config_selectorIllEEZNS1_25segmented_radix_sort_implIS3_Lb0EPKlPlS8_S9_N2at6native12_GLOBAL__N_18offset_tEEE10hipError_tPvRmT1_PNSt15iterator_traitsISH_E10value_typeET2_T3_PNSI_ISN_E10value_typeET4_jRbjT5_ST_jjP12ihipStream_tbEUlT_E1_NS1_11comp_targetILNS1_3genE5ELNS1_11target_archE942ELNS1_3gpuE9ELNS1_3repE0EEENS1_59segmented_radix_sort_warp_sort_small_config_static_selectorELNS0_4arch9wavefront6targetE0EEEvSH_.uses_flat_scratch, 0
	.set _ZN7rocprim17ROCPRIM_400000_NS6detail17trampoline_kernelINS0_14default_configENS1_36segmented_radix_sort_config_selectorIllEEZNS1_25segmented_radix_sort_implIS3_Lb0EPKlPlS8_S9_N2at6native12_GLOBAL__N_18offset_tEEE10hipError_tPvRmT1_PNSt15iterator_traitsISH_E10value_typeET2_T3_PNSI_ISN_E10value_typeET4_jRbjT5_ST_jjP12ihipStream_tbEUlT_E1_NS1_11comp_targetILNS1_3genE5ELNS1_11target_archE942ELNS1_3gpuE9ELNS1_3repE0EEENS1_59segmented_radix_sort_warp_sort_small_config_static_selectorELNS0_4arch9wavefront6targetE0EEEvSH_.has_dyn_sized_stack, 0
	.set _ZN7rocprim17ROCPRIM_400000_NS6detail17trampoline_kernelINS0_14default_configENS1_36segmented_radix_sort_config_selectorIllEEZNS1_25segmented_radix_sort_implIS3_Lb0EPKlPlS8_S9_N2at6native12_GLOBAL__N_18offset_tEEE10hipError_tPvRmT1_PNSt15iterator_traitsISH_E10value_typeET2_T3_PNSI_ISN_E10value_typeET4_jRbjT5_ST_jjP12ihipStream_tbEUlT_E1_NS1_11comp_targetILNS1_3genE5ELNS1_11target_archE942ELNS1_3gpuE9ELNS1_3repE0EEENS1_59segmented_radix_sort_warp_sort_small_config_static_selectorELNS0_4arch9wavefront6targetE0EEEvSH_.has_recursion, 0
	.set _ZN7rocprim17ROCPRIM_400000_NS6detail17trampoline_kernelINS0_14default_configENS1_36segmented_radix_sort_config_selectorIllEEZNS1_25segmented_radix_sort_implIS3_Lb0EPKlPlS8_S9_N2at6native12_GLOBAL__N_18offset_tEEE10hipError_tPvRmT1_PNSt15iterator_traitsISH_E10value_typeET2_T3_PNSI_ISN_E10value_typeET4_jRbjT5_ST_jjP12ihipStream_tbEUlT_E1_NS1_11comp_targetILNS1_3genE5ELNS1_11target_archE942ELNS1_3gpuE9ELNS1_3repE0EEENS1_59segmented_radix_sort_warp_sort_small_config_static_selectorELNS0_4arch9wavefront6targetE0EEEvSH_.has_indirect_call, 0
	.section	.AMDGPU.csdata,"",@progbits
; Kernel info:
; codeLenInByte = 0
; TotalNumSgprs: 0
; NumVgprs: 0
; ScratchSize: 0
; MemoryBound: 0
; FloatMode: 240
; IeeeMode: 1
; LDSByteSize: 0 bytes/workgroup (compile time only)
; SGPRBlocks: 0
; VGPRBlocks: 0
; NumSGPRsForWavesPerEU: 1
; NumVGPRsForWavesPerEU: 1
; NamedBarCnt: 0
; Occupancy: 16
; WaveLimiterHint : 0
; COMPUTE_PGM_RSRC2:SCRATCH_EN: 0
; COMPUTE_PGM_RSRC2:USER_SGPR: 2
; COMPUTE_PGM_RSRC2:TRAP_HANDLER: 0
; COMPUTE_PGM_RSRC2:TGID_X_EN: 1
; COMPUTE_PGM_RSRC2:TGID_Y_EN: 0
; COMPUTE_PGM_RSRC2:TGID_Z_EN: 0
; COMPUTE_PGM_RSRC2:TIDIG_COMP_CNT: 0
	.section	.text._ZN7rocprim17ROCPRIM_400000_NS6detail17trampoline_kernelINS0_14default_configENS1_36segmented_radix_sort_config_selectorIllEEZNS1_25segmented_radix_sort_implIS3_Lb0EPKlPlS8_S9_N2at6native12_GLOBAL__N_18offset_tEEE10hipError_tPvRmT1_PNSt15iterator_traitsISH_E10value_typeET2_T3_PNSI_ISN_E10value_typeET4_jRbjT5_ST_jjP12ihipStream_tbEUlT_E1_NS1_11comp_targetILNS1_3genE4ELNS1_11target_archE910ELNS1_3gpuE8ELNS1_3repE0EEENS1_59segmented_radix_sort_warp_sort_small_config_static_selectorELNS0_4arch9wavefront6targetE0EEEvSH_,"axG",@progbits,_ZN7rocprim17ROCPRIM_400000_NS6detail17trampoline_kernelINS0_14default_configENS1_36segmented_radix_sort_config_selectorIllEEZNS1_25segmented_radix_sort_implIS3_Lb0EPKlPlS8_S9_N2at6native12_GLOBAL__N_18offset_tEEE10hipError_tPvRmT1_PNSt15iterator_traitsISH_E10value_typeET2_T3_PNSI_ISN_E10value_typeET4_jRbjT5_ST_jjP12ihipStream_tbEUlT_E1_NS1_11comp_targetILNS1_3genE4ELNS1_11target_archE910ELNS1_3gpuE8ELNS1_3repE0EEENS1_59segmented_radix_sort_warp_sort_small_config_static_selectorELNS0_4arch9wavefront6targetE0EEEvSH_,comdat
	.globl	_ZN7rocprim17ROCPRIM_400000_NS6detail17trampoline_kernelINS0_14default_configENS1_36segmented_radix_sort_config_selectorIllEEZNS1_25segmented_radix_sort_implIS3_Lb0EPKlPlS8_S9_N2at6native12_GLOBAL__N_18offset_tEEE10hipError_tPvRmT1_PNSt15iterator_traitsISH_E10value_typeET2_T3_PNSI_ISN_E10value_typeET4_jRbjT5_ST_jjP12ihipStream_tbEUlT_E1_NS1_11comp_targetILNS1_3genE4ELNS1_11target_archE910ELNS1_3gpuE8ELNS1_3repE0EEENS1_59segmented_radix_sort_warp_sort_small_config_static_selectorELNS0_4arch9wavefront6targetE0EEEvSH_ ; -- Begin function _ZN7rocprim17ROCPRIM_400000_NS6detail17trampoline_kernelINS0_14default_configENS1_36segmented_radix_sort_config_selectorIllEEZNS1_25segmented_radix_sort_implIS3_Lb0EPKlPlS8_S9_N2at6native12_GLOBAL__N_18offset_tEEE10hipError_tPvRmT1_PNSt15iterator_traitsISH_E10value_typeET2_T3_PNSI_ISN_E10value_typeET4_jRbjT5_ST_jjP12ihipStream_tbEUlT_E1_NS1_11comp_targetILNS1_3genE4ELNS1_11target_archE910ELNS1_3gpuE8ELNS1_3repE0EEENS1_59segmented_radix_sort_warp_sort_small_config_static_selectorELNS0_4arch9wavefront6targetE0EEEvSH_
	.p2align	8
	.type	_ZN7rocprim17ROCPRIM_400000_NS6detail17trampoline_kernelINS0_14default_configENS1_36segmented_radix_sort_config_selectorIllEEZNS1_25segmented_radix_sort_implIS3_Lb0EPKlPlS8_S9_N2at6native12_GLOBAL__N_18offset_tEEE10hipError_tPvRmT1_PNSt15iterator_traitsISH_E10value_typeET2_T3_PNSI_ISN_E10value_typeET4_jRbjT5_ST_jjP12ihipStream_tbEUlT_E1_NS1_11comp_targetILNS1_3genE4ELNS1_11target_archE910ELNS1_3gpuE8ELNS1_3repE0EEENS1_59segmented_radix_sort_warp_sort_small_config_static_selectorELNS0_4arch9wavefront6targetE0EEEvSH_,@function
_ZN7rocprim17ROCPRIM_400000_NS6detail17trampoline_kernelINS0_14default_configENS1_36segmented_radix_sort_config_selectorIllEEZNS1_25segmented_radix_sort_implIS3_Lb0EPKlPlS8_S9_N2at6native12_GLOBAL__N_18offset_tEEE10hipError_tPvRmT1_PNSt15iterator_traitsISH_E10value_typeET2_T3_PNSI_ISN_E10value_typeET4_jRbjT5_ST_jjP12ihipStream_tbEUlT_E1_NS1_11comp_targetILNS1_3genE4ELNS1_11target_archE910ELNS1_3gpuE8ELNS1_3repE0EEENS1_59segmented_radix_sort_warp_sort_small_config_static_selectorELNS0_4arch9wavefront6targetE0EEEvSH_: ; @_ZN7rocprim17ROCPRIM_400000_NS6detail17trampoline_kernelINS0_14default_configENS1_36segmented_radix_sort_config_selectorIllEEZNS1_25segmented_radix_sort_implIS3_Lb0EPKlPlS8_S9_N2at6native12_GLOBAL__N_18offset_tEEE10hipError_tPvRmT1_PNSt15iterator_traitsISH_E10value_typeET2_T3_PNSI_ISN_E10value_typeET4_jRbjT5_ST_jjP12ihipStream_tbEUlT_E1_NS1_11comp_targetILNS1_3genE4ELNS1_11target_archE910ELNS1_3gpuE8ELNS1_3repE0EEENS1_59segmented_radix_sort_warp_sort_small_config_static_selectorELNS0_4arch9wavefront6targetE0EEEvSH_
; %bb.0:
	.section	.rodata,"a",@progbits
	.p2align	6, 0x0
	.amdhsa_kernel _ZN7rocprim17ROCPRIM_400000_NS6detail17trampoline_kernelINS0_14default_configENS1_36segmented_radix_sort_config_selectorIllEEZNS1_25segmented_radix_sort_implIS3_Lb0EPKlPlS8_S9_N2at6native12_GLOBAL__N_18offset_tEEE10hipError_tPvRmT1_PNSt15iterator_traitsISH_E10value_typeET2_T3_PNSI_ISN_E10value_typeET4_jRbjT5_ST_jjP12ihipStream_tbEUlT_E1_NS1_11comp_targetILNS1_3genE4ELNS1_11target_archE910ELNS1_3gpuE8ELNS1_3repE0EEENS1_59segmented_radix_sort_warp_sort_small_config_static_selectorELNS0_4arch9wavefront6targetE0EEEvSH_
		.amdhsa_group_segment_fixed_size 0
		.amdhsa_private_segment_fixed_size 0
		.amdhsa_kernarg_size 88
		.amdhsa_user_sgpr_count 2
		.amdhsa_user_sgpr_dispatch_ptr 0
		.amdhsa_user_sgpr_queue_ptr 0
		.amdhsa_user_sgpr_kernarg_segment_ptr 1
		.amdhsa_user_sgpr_dispatch_id 0
		.amdhsa_user_sgpr_kernarg_preload_length 0
		.amdhsa_user_sgpr_kernarg_preload_offset 0
		.amdhsa_user_sgpr_private_segment_size 0
		.amdhsa_wavefront_size32 1
		.amdhsa_uses_dynamic_stack 0
		.amdhsa_enable_private_segment 0
		.amdhsa_system_sgpr_workgroup_id_x 1
		.amdhsa_system_sgpr_workgroup_id_y 0
		.amdhsa_system_sgpr_workgroup_id_z 0
		.amdhsa_system_sgpr_workgroup_info 0
		.amdhsa_system_vgpr_workitem_id 0
		.amdhsa_next_free_vgpr 1
		.amdhsa_next_free_sgpr 1
		.amdhsa_named_barrier_count 0
		.amdhsa_reserve_vcc 0
		.amdhsa_float_round_mode_32 0
		.amdhsa_float_round_mode_16_64 0
		.amdhsa_float_denorm_mode_32 3
		.amdhsa_float_denorm_mode_16_64 3
		.amdhsa_fp16_overflow 0
		.amdhsa_memory_ordered 1
		.amdhsa_forward_progress 1
		.amdhsa_inst_pref_size 0
		.amdhsa_round_robin_scheduling 0
		.amdhsa_exception_fp_ieee_invalid_op 0
		.amdhsa_exception_fp_denorm_src 0
		.amdhsa_exception_fp_ieee_div_zero 0
		.amdhsa_exception_fp_ieee_overflow 0
		.amdhsa_exception_fp_ieee_underflow 0
		.amdhsa_exception_fp_ieee_inexact 0
		.amdhsa_exception_int_div_zero 0
	.end_amdhsa_kernel
	.section	.text._ZN7rocprim17ROCPRIM_400000_NS6detail17trampoline_kernelINS0_14default_configENS1_36segmented_radix_sort_config_selectorIllEEZNS1_25segmented_radix_sort_implIS3_Lb0EPKlPlS8_S9_N2at6native12_GLOBAL__N_18offset_tEEE10hipError_tPvRmT1_PNSt15iterator_traitsISH_E10value_typeET2_T3_PNSI_ISN_E10value_typeET4_jRbjT5_ST_jjP12ihipStream_tbEUlT_E1_NS1_11comp_targetILNS1_3genE4ELNS1_11target_archE910ELNS1_3gpuE8ELNS1_3repE0EEENS1_59segmented_radix_sort_warp_sort_small_config_static_selectorELNS0_4arch9wavefront6targetE0EEEvSH_,"axG",@progbits,_ZN7rocprim17ROCPRIM_400000_NS6detail17trampoline_kernelINS0_14default_configENS1_36segmented_radix_sort_config_selectorIllEEZNS1_25segmented_radix_sort_implIS3_Lb0EPKlPlS8_S9_N2at6native12_GLOBAL__N_18offset_tEEE10hipError_tPvRmT1_PNSt15iterator_traitsISH_E10value_typeET2_T3_PNSI_ISN_E10value_typeET4_jRbjT5_ST_jjP12ihipStream_tbEUlT_E1_NS1_11comp_targetILNS1_3genE4ELNS1_11target_archE910ELNS1_3gpuE8ELNS1_3repE0EEENS1_59segmented_radix_sort_warp_sort_small_config_static_selectorELNS0_4arch9wavefront6targetE0EEEvSH_,comdat
.Lfunc_end826:
	.size	_ZN7rocprim17ROCPRIM_400000_NS6detail17trampoline_kernelINS0_14default_configENS1_36segmented_radix_sort_config_selectorIllEEZNS1_25segmented_radix_sort_implIS3_Lb0EPKlPlS8_S9_N2at6native12_GLOBAL__N_18offset_tEEE10hipError_tPvRmT1_PNSt15iterator_traitsISH_E10value_typeET2_T3_PNSI_ISN_E10value_typeET4_jRbjT5_ST_jjP12ihipStream_tbEUlT_E1_NS1_11comp_targetILNS1_3genE4ELNS1_11target_archE910ELNS1_3gpuE8ELNS1_3repE0EEENS1_59segmented_radix_sort_warp_sort_small_config_static_selectorELNS0_4arch9wavefront6targetE0EEEvSH_, .Lfunc_end826-_ZN7rocprim17ROCPRIM_400000_NS6detail17trampoline_kernelINS0_14default_configENS1_36segmented_radix_sort_config_selectorIllEEZNS1_25segmented_radix_sort_implIS3_Lb0EPKlPlS8_S9_N2at6native12_GLOBAL__N_18offset_tEEE10hipError_tPvRmT1_PNSt15iterator_traitsISH_E10value_typeET2_T3_PNSI_ISN_E10value_typeET4_jRbjT5_ST_jjP12ihipStream_tbEUlT_E1_NS1_11comp_targetILNS1_3genE4ELNS1_11target_archE910ELNS1_3gpuE8ELNS1_3repE0EEENS1_59segmented_radix_sort_warp_sort_small_config_static_selectorELNS0_4arch9wavefront6targetE0EEEvSH_
                                        ; -- End function
	.set _ZN7rocprim17ROCPRIM_400000_NS6detail17trampoline_kernelINS0_14default_configENS1_36segmented_radix_sort_config_selectorIllEEZNS1_25segmented_radix_sort_implIS3_Lb0EPKlPlS8_S9_N2at6native12_GLOBAL__N_18offset_tEEE10hipError_tPvRmT1_PNSt15iterator_traitsISH_E10value_typeET2_T3_PNSI_ISN_E10value_typeET4_jRbjT5_ST_jjP12ihipStream_tbEUlT_E1_NS1_11comp_targetILNS1_3genE4ELNS1_11target_archE910ELNS1_3gpuE8ELNS1_3repE0EEENS1_59segmented_radix_sort_warp_sort_small_config_static_selectorELNS0_4arch9wavefront6targetE0EEEvSH_.num_vgpr, 0
	.set _ZN7rocprim17ROCPRIM_400000_NS6detail17trampoline_kernelINS0_14default_configENS1_36segmented_radix_sort_config_selectorIllEEZNS1_25segmented_radix_sort_implIS3_Lb0EPKlPlS8_S9_N2at6native12_GLOBAL__N_18offset_tEEE10hipError_tPvRmT1_PNSt15iterator_traitsISH_E10value_typeET2_T3_PNSI_ISN_E10value_typeET4_jRbjT5_ST_jjP12ihipStream_tbEUlT_E1_NS1_11comp_targetILNS1_3genE4ELNS1_11target_archE910ELNS1_3gpuE8ELNS1_3repE0EEENS1_59segmented_radix_sort_warp_sort_small_config_static_selectorELNS0_4arch9wavefront6targetE0EEEvSH_.num_agpr, 0
	.set _ZN7rocprim17ROCPRIM_400000_NS6detail17trampoline_kernelINS0_14default_configENS1_36segmented_radix_sort_config_selectorIllEEZNS1_25segmented_radix_sort_implIS3_Lb0EPKlPlS8_S9_N2at6native12_GLOBAL__N_18offset_tEEE10hipError_tPvRmT1_PNSt15iterator_traitsISH_E10value_typeET2_T3_PNSI_ISN_E10value_typeET4_jRbjT5_ST_jjP12ihipStream_tbEUlT_E1_NS1_11comp_targetILNS1_3genE4ELNS1_11target_archE910ELNS1_3gpuE8ELNS1_3repE0EEENS1_59segmented_radix_sort_warp_sort_small_config_static_selectorELNS0_4arch9wavefront6targetE0EEEvSH_.numbered_sgpr, 0
	.set _ZN7rocprim17ROCPRIM_400000_NS6detail17trampoline_kernelINS0_14default_configENS1_36segmented_radix_sort_config_selectorIllEEZNS1_25segmented_radix_sort_implIS3_Lb0EPKlPlS8_S9_N2at6native12_GLOBAL__N_18offset_tEEE10hipError_tPvRmT1_PNSt15iterator_traitsISH_E10value_typeET2_T3_PNSI_ISN_E10value_typeET4_jRbjT5_ST_jjP12ihipStream_tbEUlT_E1_NS1_11comp_targetILNS1_3genE4ELNS1_11target_archE910ELNS1_3gpuE8ELNS1_3repE0EEENS1_59segmented_radix_sort_warp_sort_small_config_static_selectorELNS0_4arch9wavefront6targetE0EEEvSH_.num_named_barrier, 0
	.set _ZN7rocprim17ROCPRIM_400000_NS6detail17trampoline_kernelINS0_14default_configENS1_36segmented_radix_sort_config_selectorIllEEZNS1_25segmented_radix_sort_implIS3_Lb0EPKlPlS8_S9_N2at6native12_GLOBAL__N_18offset_tEEE10hipError_tPvRmT1_PNSt15iterator_traitsISH_E10value_typeET2_T3_PNSI_ISN_E10value_typeET4_jRbjT5_ST_jjP12ihipStream_tbEUlT_E1_NS1_11comp_targetILNS1_3genE4ELNS1_11target_archE910ELNS1_3gpuE8ELNS1_3repE0EEENS1_59segmented_radix_sort_warp_sort_small_config_static_selectorELNS0_4arch9wavefront6targetE0EEEvSH_.private_seg_size, 0
	.set _ZN7rocprim17ROCPRIM_400000_NS6detail17trampoline_kernelINS0_14default_configENS1_36segmented_radix_sort_config_selectorIllEEZNS1_25segmented_radix_sort_implIS3_Lb0EPKlPlS8_S9_N2at6native12_GLOBAL__N_18offset_tEEE10hipError_tPvRmT1_PNSt15iterator_traitsISH_E10value_typeET2_T3_PNSI_ISN_E10value_typeET4_jRbjT5_ST_jjP12ihipStream_tbEUlT_E1_NS1_11comp_targetILNS1_3genE4ELNS1_11target_archE910ELNS1_3gpuE8ELNS1_3repE0EEENS1_59segmented_radix_sort_warp_sort_small_config_static_selectorELNS0_4arch9wavefront6targetE0EEEvSH_.uses_vcc, 0
	.set _ZN7rocprim17ROCPRIM_400000_NS6detail17trampoline_kernelINS0_14default_configENS1_36segmented_radix_sort_config_selectorIllEEZNS1_25segmented_radix_sort_implIS3_Lb0EPKlPlS8_S9_N2at6native12_GLOBAL__N_18offset_tEEE10hipError_tPvRmT1_PNSt15iterator_traitsISH_E10value_typeET2_T3_PNSI_ISN_E10value_typeET4_jRbjT5_ST_jjP12ihipStream_tbEUlT_E1_NS1_11comp_targetILNS1_3genE4ELNS1_11target_archE910ELNS1_3gpuE8ELNS1_3repE0EEENS1_59segmented_radix_sort_warp_sort_small_config_static_selectorELNS0_4arch9wavefront6targetE0EEEvSH_.uses_flat_scratch, 0
	.set _ZN7rocprim17ROCPRIM_400000_NS6detail17trampoline_kernelINS0_14default_configENS1_36segmented_radix_sort_config_selectorIllEEZNS1_25segmented_radix_sort_implIS3_Lb0EPKlPlS8_S9_N2at6native12_GLOBAL__N_18offset_tEEE10hipError_tPvRmT1_PNSt15iterator_traitsISH_E10value_typeET2_T3_PNSI_ISN_E10value_typeET4_jRbjT5_ST_jjP12ihipStream_tbEUlT_E1_NS1_11comp_targetILNS1_3genE4ELNS1_11target_archE910ELNS1_3gpuE8ELNS1_3repE0EEENS1_59segmented_radix_sort_warp_sort_small_config_static_selectorELNS0_4arch9wavefront6targetE0EEEvSH_.has_dyn_sized_stack, 0
	.set _ZN7rocprim17ROCPRIM_400000_NS6detail17trampoline_kernelINS0_14default_configENS1_36segmented_radix_sort_config_selectorIllEEZNS1_25segmented_radix_sort_implIS3_Lb0EPKlPlS8_S9_N2at6native12_GLOBAL__N_18offset_tEEE10hipError_tPvRmT1_PNSt15iterator_traitsISH_E10value_typeET2_T3_PNSI_ISN_E10value_typeET4_jRbjT5_ST_jjP12ihipStream_tbEUlT_E1_NS1_11comp_targetILNS1_3genE4ELNS1_11target_archE910ELNS1_3gpuE8ELNS1_3repE0EEENS1_59segmented_radix_sort_warp_sort_small_config_static_selectorELNS0_4arch9wavefront6targetE0EEEvSH_.has_recursion, 0
	.set _ZN7rocprim17ROCPRIM_400000_NS6detail17trampoline_kernelINS0_14default_configENS1_36segmented_radix_sort_config_selectorIllEEZNS1_25segmented_radix_sort_implIS3_Lb0EPKlPlS8_S9_N2at6native12_GLOBAL__N_18offset_tEEE10hipError_tPvRmT1_PNSt15iterator_traitsISH_E10value_typeET2_T3_PNSI_ISN_E10value_typeET4_jRbjT5_ST_jjP12ihipStream_tbEUlT_E1_NS1_11comp_targetILNS1_3genE4ELNS1_11target_archE910ELNS1_3gpuE8ELNS1_3repE0EEENS1_59segmented_radix_sort_warp_sort_small_config_static_selectorELNS0_4arch9wavefront6targetE0EEEvSH_.has_indirect_call, 0
	.section	.AMDGPU.csdata,"",@progbits
; Kernel info:
; codeLenInByte = 0
; TotalNumSgprs: 0
; NumVgprs: 0
; ScratchSize: 0
; MemoryBound: 0
; FloatMode: 240
; IeeeMode: 1
; LDSByteSize: 0 bytes/workgroup (compile time only)
; SGPRBlocks: 0
; VGPRBlocks: 0
; NumSGPRsForWavesPerEU: 1
; NumVGPRsForWavesPerEU: 1
; NamedBarCnt: 0
; Occupancy: 16
; WaveLimiterHint : 0
; COMPUTE_PGM_RSRC2:SCRATCH_EN: 0
; COMPUTE_PGM_RSRC2:USER_SGPR: 2
; COMPUTE_PGM_RSRC2:TRAP_HANDLER: 0
; COMPUTE_PGM_RSRC2:TGID_X_EN: 1
; COMPUTE_PGM_RSRC2:TGID_Y_EN: 0
; COMPUTE_PGM_RSRC2:TGID_Z_EN: 0
; COMPUTE_PGM_RSRC2:TIDIG_COMP_CNT: 0
	.section	.text._ZN7rocprim17ROCPRIM_400000_NS6detail17trampoline_kernelINS0_14default_configENS1_36segmented_radix_sort_config_selectorIllEEZNS1_25segmented_radix_sort_implIS3_Lb0EPKlPlS8_S9_N2at6native12_GLOBAL__N_18offset_tEEE10hipError_tPvRmT1_PNSt15iterator_traitsISH_E10value_typeET2_T3_PNSI_ISN_E10value_typeET4_jRbjT5_ST_jjP12ihipStream_tbEUlT_E1_NS1_11comp_targetILNS1_3genE3ELNS1_11target_archE908ELNS1_3gpuE7ELNS1_3repE0EEENS1_59segmented_radix_sort_warp_sort_small_config_static_selectorELNS0_4arch9wavefront6targetE0EEEvSH_,"axG",@progbits,_ZN7rocprim17ROCPRIM_400000_NS6detail17trampoline_kernelINS0_14default_configENS1_36segmented_radix_sort_config_selectorIllEEZNS1_25segmented_radix_sort_implIS3_Lb0EPKlPlS8_S9_N2at6native12_GLOBAL__N_18offset_tEEE10hipError_tPvRmT1_PNSt15iterator_traitsISH_E10value_typeET2_T3_PNSI_ISN_E10value_typeET4_jRbjT5_ST_jjP12ihipStream_tbEUlT_E1_NS1_11comp_targetILNS1_3genE3ELNS1_11target_archE908ELNS1_3gpuE7ELNS1_3repE0EEENS1_59segmented_radix_sort_warp_sort_small_config_static_selectorELNS0_4arch9wavefront6targetE0EEEvSH_,comdat
	.globl	_ZN7rocprim17ROCPRIM_400000_NS6detail17trampoline_kernelINS0_14default_configENS1_36segmented_radix_sort_config_selectorIllEEZNS1_25segmented_radix_sort_implIS3_Lb0EPKlPlS8_S9_N2at6native12_GLOBAL__N_18offset_tEEE10hipError_tPvRmT1_PNSt15iterator_traitsISH_E10value_typeET2_T3_PNSI_ISN_E10value_typeET4_jRbjT5_ST_jjP12ihipStream_tbEUlT_E1_NS1_11comp_targetILNS1_3genE3ELNS1_11target_archE908ELNS1_3gpuE7ELNS1_3repE0EEENS1_59segmented_radix_sort_warp_sort_small_config_static_selectorELNS0_4arch9wavefront6targetE0EEEvSH_ ; -- Begin function _ZN7rocprim17ROCPRIM_400000_NS6detail17trampoline_kernelINS0_14default_configENS1_36segmented_radix_sort_config_selectorIllEEZNS1_25segmented_radix_sort_implIS3_Lb0EPKlPlS8_S9_N2at6native12_GLOBAL__N_18offset_tEEE10hipError_tPvRmT1_PNSt15iterator_traitsISH_E10value_typeET2_T3_PNSI_ISN_E10value_typeET4_jRbjT5_ST_jjP12ihipStream_tbEUlT_E1_NS1_11comp_targetILNS1_3genE3ELNS1_11target_archE908ELNS1_3gpuE7ELNS1_3repE0EEENS1_59segmented_radix_sort_warp_sort_small_config_static_selectorELNS0_4arch9wavefront6targetE0EEEvSH_
	.p2align	8
	.type	_ZN7rocprim17ROCPRIM_400000_NS6detail17trampoline_kernelINS0_14default_configENS1_36segmented_radix_sort_config_selectorIllEEZNS1_25segmented_radix_sort_implIS3_Lb0EPKlPlS8_S9_N2at6native12_GLOBAL__N_18offset_tEEE10hipError_tPvRmT1_PNSt15iterator_traitsISH_E10value_typeET2_T3_PNSI_ISN_E10value_typeET4_jRbjT5_ST_jjP12ihipStream_tbEUlT_E1_NS1_11comp_targetILNS1_3genE3ELNS1_11target_archE908ELNS1_3gpuE7ELNS1_3repE0EEENS1_59segmented_radix_sort_warp_sort_small_config_static_selectorELNS0_4arch9wavefront6targetE0EEEvSH_,@function
_ZN7rocprim17ROCPRIM_400000_NS6detail17trampoline_kernelINS0_14default_configENS1_36segmented_radix_sort_config_selectorIllEEZNS1_25segmented_radix_sort_implIS3_Lb0EPKlPlS8_S9_N2at6native12_GLOBAL__N_18offset_tEEE10hipError_tPvRmT1_PNSt15iterator_traitsISH_E10value_typeET2_T3_PNSI_ISN_E10value_typeET4_jRbjT5_ST_jjP12ihipStream_tbEUlT_E1_NS1_11comp_targetILNS1_3genE3ELNS1_11target_archE908ELNS1_3gpuE7ELNS1_3repE0EEENS1_59segmented_radix_sort_warp_sort_small_config_static_selectorELNS0_4arch9wavefront6targetE0EEEvSH_: ; @_ZN7rocprim17ROCPRIM_400000_NS6detail17trampoline_kernelINS0_14default_configENS1_36segmented_radix_sort_config_selectorIllEEZNS1_25segmented_radix_sort_implIS3_Lb0EPKlPlS8_S9_N2at6native12_GLOBAL__N_18offset_tEEE10hipError_tPvRmT1_PNSt15iterator_traitsISH_E10value_typeET2_T3_PNSI_ISN_E10value_typeET4_jRbjT5_ST_jjP12ihipStream_tbEUlT_E1_NS1_11comp_targetILNS1_3genE3ELNS1_11target_archE908ELNS1_3gpuE7ELNS1_3repE0EEENS1_59segmented_radix_sort_warp_sort_small_config_static_selectorELNS0_4arch9wavefront6targetE0EEEvSH_
; %bb.0:
	.section	.rodata,"a",@progbits
	.p2align	6, 0x0
	.amdhsa_kernel _ZN7rocprim17ROCPRIM_400000_NS6detail17trampoline_kernelINS0_14default_configENS1_36segmented_radix_sort_config_selectorIllEEZNS1_25segmented_radix_sort_implIS3_Lb0EPKlPlS8_S9_N2at6native12_GLOBAL__N_18offset_tEEE10hipError_tPvRmT1_PNSt15iterator_traitsISH_E10value_typeET2_T3_PNSI_ISN_E10value_typeET4_jRbjT5_ST_jjP12ihipStream_tbEUlT_E1_NS1_11comp_targetILNS1_3genE3ELNS1_11target_archE908ELNS1_3gpuE7ELNS1_3repE0EEENS1_59segmented_radix_sort_warp_sort_small_config_static_selectorELNS0_4arch9wavefront6targetE0EEEvSH_
		.amdhsa_group_segment_fixed_size 0
		.amdhsa_private_segment_fixed_size 0
		.amdhsa_kernarg_size 88
		.amdhsa_user_sgpr_count 2
		.amdhsa_user_sgpr_dispatch_ptr 0
		.amdhsa_user_sgpr_queue_ptr 0
		.amdhsa_user_sgpr_kernarg_segment_ptr 1
		.amdhsa_user_sgpr_dispatch_id 0
		.amdhsa_user_sgpr_kernarg_preload_length 0
		.amdhsa_user_sgpr_kernarg_preload_offset 0
		.amdhsa_user_sgpr_private_segment_size 0
		.amdhsa_wavefront_size32 1
		.amdhsa_uses_dynamic_stack 0
		.amdhsa_enable_private_segment 0
		.amdhsa_system_sgpr_workgroup_id_x 1
		.amdhsa_system_sgpr_workgroup_id_y 0
		.amdhsa_system_sgpr_workgroup_id_z 0
		.amdhsa_system_sgpr_workgroup_info 0
		.amdhsa_system_vgpr_workitem_id 0
		.amdhsa_next_free_vgpr 1
		.amdhsa_next_free_sgpr 1
		.amdhsa_named_barrier_count 0
		.amdhsa_reserve_vcc 0
		.amdhsa_float_round_mode_32 0
		.amdhsa_float_round_mode_16_64 0
		.amdhsa_float_denorm_mode_32 3
		.amdhsa_float_denorm_mode_16_64 3
		.amdhsa_fp16_overflow 0
		.amdhsa_memory_ordered 1
		.amdhsa_forward_progress 1
		.amdhsa_inst_pref_size 0
		.amdhsa_round_robin_scheduling 0
		.amdhsa_exception_fp_ieee_invalid_op 0
		.amdhsa_exception_fp_denorm_src 0
		.amdhsa_exception_fp_ieee_div_zero 0
		.amdhsa_exception_fp_ieee_overflow 0
		.amdhsa_exception_fp_ieee_underflow 0
		.amdhsa_exception_fp_ieee_inexact 0
		.amdhsa_exception_int_div_zero 0
	.end_amdhsa_kernel
	.section	.text._ZN7rocprim17ROCPRIM_400000_NS6detail17trampoline_kernelINS0_14default_configENS1_36segmented_radix_sort_config_selectorIllEEZNS1_25segmented_radix_sort_implIS3_Lb0EPKlPlS8_S9_N2at6native12_GLOBAL__N_18offset_tEEE10hipError_tPvRmT1_PNSt15iterator_traitsISH_E10value_typeET2_T3_PNSI_ISN_E10value_typeET4_jRbjT5_ST_jjP12ihipStream_tbEUlT_E1_NS1_11comp_targetILNS1_3genE3ELNS1_11target_archE908ELNS1_3gpuE7ELNS1_3repE0EEENS1_59segmented_radix_sort_warp_sort_small_config_static_selectorELNS0_4arch9wavefront6targetE0EEEvSH_,"axG",@progbits,_ZN7rocprim17ROCPRIM_400000_NS6detail17trampoline_kernelINS0_14default_configENS1_36segmented_radix_sort_config_selectorIllEEZNS1_25segmented_radix_sort_implIS3_Lb0EPKlPlS8_S9_N2at6native12_GLOBAL__N_18offset_tEEE10hipError_tPvRmT1_PNSt15iterator_traitsISH_E10value_typeET2_T3_PNSI_ISN_E10value_typeET4_jRbjT5_ST_jjP12ihipStream_tbEUlT_E1_NS1_11comp_targetILNS1_3genE3ELNS1_11target_archE908ELNS1_3gpuE7ELNS1_3repE0EEENS1_59segmented_radix_sort_warp_sort_small_config_static_selectorELNS0_4arch9wavefront6targetE0EEEvSH_,comdat
.Lfunc_end827:
	.size	_ZN7rocprim17ROCPRIM_400000_NS6detail17trampoline_kernelINS0_14default_configENS1_36segmented_radix_sort_config_selectorIllEEZNS1_25segmented_radix_sort_implIS3_Lb0EPKlPlS8_S9_N2at6native12_GLOBAL__N_18offset_tEEE10hipError_tPvRmT1_PNSt15iterator_traitsISH_E10value_typeET2_T3_PNSI_ISN_E10value_typeET4_jRbjT5_ST_jjP12ihipStream_tbEUlT_E1_NS1_11comp_targetILNS1_3genE3ELNS1_11target_archE908ELNS1_3gpuE7ELNS1_3repE0EEENS1_59segmented_radix_sort_warp_sort_small_config_static_selectorELNS0_4arch9wavefront6targetE0EEEvSH_, .Lfunc_end827-_ZN7rocprim17ROCPRIM_400000_NS6detail17trampoline_kernelINS0_14default_configENS1_36segmented_radix_sort_config_selectorIllEEZNS1_25segmented_radix_sort_implIS3_Lb0EPKlPlS8_S9_N2at6native12_GLOBAL__N_18offset_tEEE10hipError_tPvRmT1_PNSt15iterator_traitsISH_E10value_typeET2_T3_PNSI_ISN_E10value_typeET4_jRbjT5_ST_jjP12ihipStream_tbEUlT_E1_NS1_11comp_targetILNS1_3genE3ELNS1_11target_archE908ELNS1_3gpuE7ELNS1_3repE0EEENS1_59segmented_radix_sort_warp_sort_small_config_static_selectorELNS0_4arch9wavefront6targetE0EEEvSH_
                                        ; -- End function
	.set _ZN7rocprim17ROCPRIM_400000_NS6detail17trampoline_kernelINS0_14default_configENS1_36segmented_radix_sort_config_selectorIllEEZNS1_25segmented_radix_sort_implIS3_Lb0EPKlPlS8_S9_N2at6native12_GLOBAL__N_18offset_tEEE10hipError_tPvRmT1_PNSt15iterator_traitsISH_E10value_typeET2_T3_PNSI_ISN_E10value_typeET4_jRbjT5_ST_jjP12ihipStream_tbEUlT_E1_NS1_11comp_targetILNS1_3genE3ELNS1_11target_archE908ELNS1_3gpuE7ELNS1_3repE0EEENS1_59segmented_radix_sort_warp_sort_small_config_static_selectorELNS0_4arch9wavefront6targetE0EEEvSH_.num_vgpr, 0
	.set _ZN7rocprim17ROCPRIM_400000_NS6detail17trampoline_kernelINS0_14default_configENS1_36segmented_radix_sort_config_selectorIllEEZNS1_25segmented_radix_sort_implIS3_Lb0EPKlPlS8_S9_N2at6native12_GLOBAL__N_18offset_tEEE10hipError_tPvRmT1_PNSt15iterator_traitsISH_E10value_typeET2_T3_PNSI_ISN_E10value_typeET4_jRbjT5_ST_jjP12ihipStream_tbEUlT_E1_NS1_11comp_targetILNS1_3genE3ELNS1_11target_archE908ELNS1_3gpuE7ELNS1_3repE0EEENS1_59segmented_radix_sort_warp_sort_small_config_static_selectorELNS0_4arch9wavefront6targetE0EEEvSH_.num_agpr, 0
	.set _ZN7rocprim17ROCPRIM_400000_NS6detail17trampoline_kernelINS0_14default_configENS1_36segmented_radix_sort_config_selectorIllEEZNS1_25segmented_radix_sort_implIS3_Lb0EPKlPlS8_S9_N2at6native12_GLOBAL__N_18offset_tEEE10hipError_tPvRmT1_PNSt15iterator_traitsISH_E10value_typeET2_T3_PNSI_ISN_E10value_typeET4_jRbjT5_ST_jjP12ihipStream_tbEUlT_E1_NS1_11comp_targetILNS1_3genE3ELNS1_11target_archE908ELNS1_3gpuE7ELNS1_3repE0EEENS1_59segmented_radix_sort_warp_sort_small_config_static_selectorELNS0_4arch9wavefront6targetE0EEEvSH_.numbered_sgpr, 0
	.set _ZN7rocprim17ROCPRIM_400000_NS6detail17trampoline_kernelINS0_14default_configENS1_36segmented_radix_sort_config_selectorIllEEZNS1_25segmented_radix_sort_implIS3_Lb0EPKlPlS8_S9_N2at6native12_GLOBAL__N_18offset_tEEE10hipError_tPvRmT1_PNSt15iterator_traitsISH_E10value_typeET2_T3_PNSI_ISN_E10value_typeET4_jRbjT5_ST_jjP12ihipStream_tbEUlT_E1_NS1_11comp_targetILNS1_3genE3ELNS1_11target_archE908ELNS1_3gpuE7ELNS1_3repE0EEENS1_59segmented_radix_sort_warp_sort_small_config_static_selectorELNS0_4arch9wavefront6targetE0EEEvSH_.num_named_barrier, 0
	.set _ZN7rocprim17ROCPRIM_400000_NS6detail17trampoline_kernelINS0_14default_configENS1_36segmented_radix_sort_config_selectorIllEEZNS1_25segmented_radix_sort_implIS3_Lb0EPKlPlS8_S9_N2at6native12_GLOBAL__N_18offset_tEEE10hipError_tPvRmT1_PNSt15iterator_traitsISH_E10value_typeET2_T3_PNSI_ISN_E10value_typeET4_jRbjT5_ST_jjP12ihipStream_tbEUlT_E1_NS1_11comp_targetILNS1_3genE3ELNS1_11target_archE908ELNS1_3gpuE7ELNS1_3repE0EEENS1_59segmented_radix_sort_warp_sort_small_config_static_selectorELNS0_4arch9wavefront6targetE0EEEvSH_.private_seg_size, 0
	.set _ZN7rocprim17ROCPRIM_400000_NS6detail17trampoline_kernelINS0_14default_configENS1_36segmented_radix_sort_config_selectorIllEEZNS1_25segmented_radix_sort_implIS3_Lb0EPKlPlS8_S9_N2at6native12_GLOBAL__N_18offset_tEEE10hipError_tPvRmT1_PNSt15iterator_traitsISH_E10value_typeET2_T3_PNSI_ISN_E10value_typeET4_jRbjT5_ST_jjP12ihipStream_tbEUlT_E1_NS1_11comp_targetILNS1_3genE3ELNS1_11target_archE908ELNS1_3gpuE7ELNS1_3repE0EEENS1_59segmented_radix_sort_warp_sort_small_config_static_selectorELNS0_4arch9wavefront6targetE0EEEvSH_.uses_vcc, 0
	.set _ZN7rocprim17ROCPRIM_400000_NS6detail17trampoline_kernelINS0_14default_configENS1_36segmented_radix_sort_config_selectorIllEEZNS1_25segmented_radix_sort_implIS3_Lb0EPKlPlS8_S9_N2at6native12_GLOBAL__N_18offset_tEEE10hipError_tPvRmT1_PNSt15iterator_traitsISH_E10value_typeET2_T3_PNSI_ISN_E10value_typeET4_jRbjT5_ST_jjP12ihipStream_tbEUlT_E1_NS1_11comp_targetILNS1_3genE3ELNS1_11target_archE908ELNS1_3gpuE7ELNS1_3repE0EEENS1_59segmented_radix_sort_warp_sort_small_config_static_selectorELNS0_4arch9wavefront6targetE0EEEvSH_.uses_flat_scratch, 0
	.set _ZN7rocprim17ROCPRIM_400000_NS6detail17trampoline_kernelINS0_14default_configENS1_36segmented_radix_sort_config_selectorIllEEZNS1_25segmented_radix_sort_implIS3_Lb0EPKlPlS8_S9_N2at6native12_GLOBAL__N_18offset_tEEE10hipError_tPvRmT1_PNSt15iterator_traitsISH_E10value_typeET2_T3_PNSI_ISN_E10value_typeET4_jRbjT5_ST_jjP12ihipStream_tbEUlT_E1_NS1_11comp_targetILNS1_3genE3ELNS1_11target_archE908ELNS1_3gpuE7ELNS1_3repE0EEENS1_59segmented_radix_sort_warp_sort_small_config_static_selectorELNS0_4arch9wavefront6targetE0EEEvSH_.has_dyn_sized_stack, 0
	.set _ZN7rocprim17ROCPRIM_400000_NS6detail17trampoline_kernelINS0_14default_configENS1_36segmented_radix_sort_config_selectorIllEEZNS1_25segmented_radix_sort_implIS3_Lb0EPKlPlS8_S9_N2at6native12_GLOBAL__N_18offset_tEEE10hipError_tPvRmT1_PNSt15iterator_traitsISH_E10value_typeET2_T3_PNSI_ISN_E10value_typeET4_jRbjT5_ST_jjP12ihipStream_tbEUlT_E1_NS1_11comp_targetILNS1_3genE3ELNS1_11target_archE908ELNS1_3gpuE7ELNS1_3repE0EEENS1_59segmented_radix_sort_warp_sort_small_config_static_selectorELNS0_4arch9wavefront6targetE0EEEvSH_.has_recursion, 0
	.set _ZN7rocprim17ROCPRIM_400000_NS6detail17trampoline_kernelINS0_14default_configENS1_36segmented_radix_sort_config_selectorIllEEZNS1_25segmented_radix_sort_implIS3_Lb0EPKlPlS8_S9_N2at6native12_GLOBAL__N_18offset_tEEE10hipError_tPvRmT1_PNSt15iterator_traitsISH_E10value_typeET2_T3_PNSI_ISN_E10value_typeET4_jRbjT5_ST_jjP12ihipStream_tbEUlT_E1_NS1_11comp_targetILNS1_3genE3ELNS1_11target_archE908ELNS1_3gpuE7ELNS1_3repE0EEENS1_59segmented_radix_sort_warp_sort_small_config_static_selectorELNS0_4arch9wavefront6targetE0EEEvSH_.has_indirect_call, 0
	.section	.AMDGPU.csdata,"",@progbits
; Kernel info:
; codeLenInByte = 0
; TotalNumSgprs: 0
; NumVgprs: 0
; ScratchSize: 0
; MemoryBound: 0
; FloatMode: 240
; IeeeMode: 1
; LDSByteSize: 0 bytes/workgroup (compile time only)
; SGPRBlocks: 0
; VGPRBlocks: 0
; NumSGPRsForWavesPerEU: 1
; NumVGPRsForWavesPerEU: 1
; NamedBarCnt: 0
; Occupancy: 16
; WaveLimiterHint : 0
; COMPUTE_PGM_RSRC2:SCRATCH_EN: 0
; COMPUTE_PGM_RSRC2:USER_SGPR: 2
; COMPUTE_PGM_RSRC2:TRAP_HANDLER: 0
; COMPUTE_PGM_RSRC2:TGID_X_EN: 1
; COMPUTE_PGM_RSRC2:TGID_Y_EN: 0
; COMPUTE_PGM_RSRC2:TGID_Z_EN: 0
; COMPUTE_PGM_RSRC2:TIDIG_COMP_CNT: 0
	.section	.text._ZN7rocprim17ROCPRIM_400000_NS6detail17trampoline_kernelINS0_14default_configENS1_36segmented_radix_sort_config_selectorIllEEZNS1_25segmented_radix_sort_implIS3_Lb0EPKlPlS8_S9_N2at6native12_GLOBAL__N_18offset_tEEE10hipError_tPvRmT1_PNSt15iterator_traitsISH_E10value_typeET2_T3_PNSI_ISN_E10value_typeET4_jRbjT5_ST_jjP12ihipStream_tbEUlT_E1_NS1_11comp_targetILNS1_3genE2ELNS1_11target_archE906ELNS1_3gpuE6ELNS1_3repE0EEENS1_59segmented_radix_sort_warp_sort_small_config_static_selectorELNS0_4arch9wavefront6targetE0EEEvSH_,"axG",@progbits,_ZN7rocprim17ROCPRIM_400000_NS6detail17trampoline_kernelINS0_14default_configENS1_36segmented_radix_sort_config_selectorIllEEZNS1_25segmented_radix_sort_implIS3_Lb0EPKlPlS8_S9_N2at6native12_GLOBAL__N_18offset_tEEE10hipError_tPvRmT1_PNSt15iterator_traitsISH_E10value_typeET2_T3_PNSI_ISN_E10value_typeET4_jRbjT5_ST_jjP12ihipStream_tbEUlT_E1_NS1_11comp_targetILNS1_3genE2ELNS1_11target_archE906ELNS1_3gpuE6ELNS1_3repE0EEENS1_59segmented_radix_sort_warp_sort_small_config_static_selectorELNS0_4arch9wavefront6targetE0EEEvSH_,comdat
	.globl	_ZN7rocprim17ROCPRIM_400000_NS6detail17trampoline_kernelINS0_14default_configENS1_36segmented_radix_sort_config_selectorIllEEZNS1_25segmented_radix_sort_implIS3_Lb0EPKlPlS8_S9_N2at6native12_GLOBAL__N_18offset_tEEE10hipError_tPvRmT1_PNSt15iterator_traitsISH_E10value_typeET2_T3_PNSI_ISN_E10value_typeET4_jRbjT5_ST_jjP12ihipStream_tbEUlT_E1_NS1_11comp_targetILNS1_3genE2ELNS1_11target_archE906ELNS1_3gpuE6ELNS1_3repE0EEENS1_59segmented_radix_sort_warp_sort_small_config_static_selectorELNS0_4arch9wavefront6targetE0EEEvSH_ ; -- Begin function _ZN7rocprim17ROCPRIM_400000_NS6detail17trampoline_kernelINS0_14default_configENS1_36segmented_radix_sort_config_selectorIllEEZNS1_25segmented_radix_sort_implIS3_Lb0EPKlPlS8_S9_N2at6native12_GLOBAL__N_18offset_tEEE10hipError_tPvRmT1_PNSt15iterator_traitsISH_E10value_typeET2_T3_PNSI_ISN_E10value_typeET4_jRbjT5_ST_jjP12ihipStream_tbEUlT_E1_NS1_11comp_targetILNS1_3genE2ELNS1_11target_archE906ELNS1_3gpuE6ELNS1_3repE0EEENS1_59segmented_radix_sort_warp_sort_small_config_static_selectorELNS0_4arch9wavefront6targetE0EEEvSH_
	.p2align	8
	.type	_ZN7rocprim17ROCPRIM_400000_NS6detail17trampoline_kernelINS0_14default_configENS1_36segmented_radix_sort_config_selectorIllEEZNS1_25segmented_radix_sort_implIS3_Lb0EPKlPlS8_S9_N2at6native12_GLOBAL__N_18offset_tEEE10hipError_tPvRmT1_PNSt15iterator_traitsISH_E10value_typeET2_T3_PNSI_ISN_E10value_typeET4_jRbjT5_ST_jjP12ihipStream_tbEUlT_E1_NS1_11comp_targetILNS1_3genE2ELNS1_11target_archE906ELNS1_3gpuE6ELNS1_3repE0EEENS1_59segmented_radix_sort_warp_sort_small_config_static_selectorELNS0_4arch9wavefront6targetE0EEEvSH_,@function
_ZN7rocprim17ROCPRIM_400000_NS6detail17trampoline_kernelINS0_14default_configENS1_36segmented_radix_sort_config_selectorIllEEZNS1_25segmented_radix_sort_implIS3_Lb0EPKlPlS8_S9_N2at6native12_GLOBAL__N_18offset_tEEE10hipError_tPvRmT1_PNSt15iterator_traitsISH_E10value_typeET2_T3_PNSI_ISN_E10value_typeET4_jRbjT5_ST_jjP12ihipStream_tbEUlT_E1_NS1_11comp_targetILNS1_3genE2ELNS1_11target_archE906ELNS1_3gpuE6ELNS1_3repE0EEENS1_59segmented_radix_sort_warp_sort_small_config_static_selectorELNS0_4arch9wavefront6targetE0EEEvSH_: ; @_ZN7rocprim17ROCPRIM_400000_NS6detail17trampoline_kernelINS0_14default_configENS1_36segmented_radix_sort_config_selectorIllEEZNS1_25segmented_radix_sort_implIS3_Lb0EPKlPlS8_S9_N2at6native12_GLOBAL__N_18offset_tEEE10hipError_tPvRmT1_PNSt15iterator_traitsISH_E10value_typeET2_T3_PNSI_ISN_E10value_typeET4_jRbjT5_ST_jjP12ihipStream_tbEUlT_E1_NS1_11comp_targetILNS1_3genE2ELNS1_11target_archE906ELNS1_3gpuE6ELNS1_3repE0EEENS1_59segmented_radix_sort_warp_sort_small_config_static_selectorELNS0_4arch9wavefront6targetE0EEEvSH_
; %bb.0:
	.section	.rodata,"a",@progbits
	.p2align	6, 0x0
	.amdhsa_kernel _ZN7rocprim17ROCPRIM_400000_NS6detail17trampoline_kernelINS0_14default_configENS1_36segmented_radix_sort_config_selectorIllEEZNS1_25segmented_radix_sort_implIS3_Lb0EPKlPlS8_S9_N2at6native12_GLOBAL__N_18offset_tEEE10hipError_tPvRmT1_PNSt15iterator_traitsISH_E10value_typeET2_T3_PNSI_ISN_E10value_typeET4_jRbjT5_ST_jjP12ihipStream_tbEUlT_E1_NS1_11comp_targetILNS1_3genE2ELNS1_11target_archE906ELNS1_3gpuE6ELNS1_3repE0EEENS1_59segmented_radix_sort_warp_sort_small_config_static_selectorELNS0_4arch9wavefront6targetE0EEEvSH_
		.amdhsa_group_segment_fixed_size 0
		.amdhsa_private_segment_fixed_size 0
		.amdhsa_kernarg_size 88
		.amdhsa_user_sgpr_count 2
		.amdhsa_user_sgpr_dispatch_ptr 0
		.amdhsa_user_sgpr_queue_ptr 0
		.amdhsa_user_sgpr_kernarg_segment_ptr 1
		.amdhsa_user_sgpr_dispatch_id 0
		.amdhsa_user_sgpr_kernarg_preload_length 0
		.amdhsa_user_sgpr_kernarg_preload_offset 0
		.amdhsa_user_sgpr_private_segment_size 0
		.amdhsa_wavefront_size32 1
		.amdhsa_uses_dynamic_stack 0
		.amdhsa_enable_private_segment 0
		.amdhsa_system_sgpr_workgroup_id_x 1
		.amdhsa_system_sgpr_workgroup_id_y 0
		.amdhsa_system_sgpr_workgroup_id_z 0
		.amdhsa_system_sgpr_workgroup_info 0
		.amdhsa_system_vgpr_workitem_id 0
		.amdhsa_next_free_vgpr 1
		.amdhsa_next_free_sgpr 1
		.amdhsa_named_barrier_count 0
		.amdhsa_reserve_vcc 0
		.amdhsa_float_round_mode_32 0
		.amdhsa_float_round_mode_16_64 0
		.amdhsa_float_denorm_mode_32 3
		.amdhsa_float_denorm_mode_16_64 3
		.amdhsa_fp16_overflow 0
		.amdhsa_memory_ordered 1
		.amdhsa_forward_progress 1
		.amdhsa_inst_pref_size 0
		.amdhsa_round_robin_scheduling 0
		.amdhsa_exception_fp_ieee_invalid_op 0
		.amdhsa_exception_fp_denorm_src 0
		.amdhsa_exception_fp_ieee_div_zero 0
		.amdhsa_exception_fp_ieee_overflow 0
		.amdhsa_exception_fp_ieee_underflow 0
		.amdhsa_exception_fp_ieee_inexact 0
		.amdhsa_exception_int_div_zero 0
	.end_amdhsa_kernel
	.section	.text._ZN7rocprim17ROCPRIM_400000_NS6detail17trampoline_kernelINS0_14default_configENS1_36segmented_radix_sort_config_selectorIllEEZNS1_25segmented_radix_sort_implIS3_Lb0EPKlPlS8_S9_N2at6native12_GLOBAL__N_18offset_tEEE10hipError_tPvRmT1_PNSt15iterator_traitsISH_E10value_typeET2_T3_PNSI_ISN_E10value_typeET4_jRbjT5_ST_jjP12ihipStream_tbEUlT_E1_NS1_11comp_targetILNS1_3genE2ELNS1_11target_archE906ELNS1_3gpuE6ELNS1_3repE0EEENS1_59segmented_radix_sort_warp_sort_small_config_static_selectorELNS0_4arch9wavefront6targetE0EEEvSH_,"axG",@progbits,_ZN7rocprim17ROCPRIM_400000_NS6detail17trampoline_kernelINS0_14default_configENS1_36segmented_radix_sort_config_selectorIllEEZNS1_25segmented_radix_sort_implIS3_Lb0EPKlPlS8_S9_N2at6native12_GLOBAL__N_18offset_tEEE10hipError_tPvRmT1_PNSt15iterator_traitsISH_E10value_typeET2_T3_PNSI_ISN_E10value_typeET4_jRbjT5_ST_jjP12ihipStream_tbEUlT_E1_NS1_11comp_targetILNS1_3genE2ELNS1_11target_archE906ELNS1_3gpuE6ELNS1_3repE0EEENS1_59segmented_radix_sort_warp_sort_small_config_static_selectorELNS0_4arch9wavefront6targetE0EEEvSH_,comdat
.Lfunc_end828:
	.size	_ZN7rocprim17ROCPRIM_400000_NS6detail17trampoline_kernelINS0_14default_configENS1_36segmented_radix_sort_config_selectorIllEEZNS1_25segmented_radix_sort_implIS3_Lb0EPKlPlS8_S9_N2at6native12_GLOBAL__N_18offset_tEEE10hipError_tPvRmT1_PNSt15iterator_traitsISH_E10value_typeET2_T3_PNSI_ISN_E10value_typeET4_jRbjT5_ST_jjP12ihipStream_tbEUlT_E1_NS1_11comp_targetILNS1_3genE2ELNS1_11target_archE906ELNS1_3gpuE6ELNS1_3repE0EEENS1_59segmented_radix_sort_warp_sort_small_config_static_selectorELNS0_4arch9wavefront6targetE0EEEvSH_, .Lfunc_end828-_ZN7rocprim17ROCPRIM_400000_NS6detail17trampoline_kernelINS0_14default_configENS1_36segmented_radix_sort_config_selectorIllEEZNS1_25segmented_radix_sort_implIS3_Lb0EPKlPlS8_S9_N2at6native12_GLOBAL__N_18offset_tEEE10hipError_tPvRmT1_PNSt15iterator_traitsISH_E10value_typeET2_T3_PNSI_ISN_E10value_typeET4_jRbjT5_ST_jjP12ihipStream_tbEUlT_E1_NS1_11comp_targetILNS1_3genE2ELNS1_11target_archE906ELNS1_3gpuE6ELNS1_3repE0EEENS1_59segmented_radix_sort_warp_sort_small_config_static_selectorELNS0_4arch9wavefront6targetE0EEEvSH_
                                        ; -- End function
	.set _ZN7rocprim17ROCPRIM_400000_NS6detail17trampoline_kernelINS0_14default_configENS1_36segmented_radix_sort_config_selectorIllEEZNS1_25segmented_radix_sort_implIS3_Lb0EPKlPlS8_S9_N2at6native12_GLOBAL__N_18offset_tEEE10hipError_tPvRmT1_PNSt15iterator_traitsISH_E10value_typeET2_T3_PNSI_ISN_E10value_typeET4_jRbjT5_ST_jjP12ihipStream_tbEUlT_E1_NS1_11comp_targetILNS1_3genE2ELNS1_11target_archE906ELNS1_3gpuE6ELNS1_3repE0EEENS1_59segmented_radix_sort_warp_sort_small_config_static_selectorELNS0_4arch9wavefront6targetE0EEEvSH_.num_vgpr, 0
	.set _ZN7rocprim17ROCPRIM_400000_NS6detail17trampoline_kernelINS0_14default_configENS1_36segmented_radix_sort_config_selectorIllEEZNS1_25segmented_radix_sort_implIS3_Lb0EPKlPlS8_S9_N2at6native12_GLOBAL__N_18offset_tEEE10hipError_tPvRmT1_PNSt15iterator_traitsISH_E10value_typeET2_T3_PNSI_ISN_E10value_typeET4_jRbjT5_ST_jjP12ihipStream_tbEUlT_E1_NS1_11comp_targetILNS1_3genE2ELNS1_11target_archE906ELNS1_3gpuE6ELNS1_3repE0EEENS1_59segmented_radix_sort_warp_sort_small_config_static_selectorELNS0_4arch9wavefront6targetE0EEEvSH_.num_agpr, 0
	.set _ZN7rocprim17ROCPRIM_400000_NS6detail17trampoline_kernelINS0_14default_configENS1_36segmented_radix_sort_config_selectorIllEEZNS1_25segmented_radix_sort_implIS3_Lb0EPKlPlS8_S9_N2at6native12_GLOBAL__N_18offset_tEEE10hipError_tPvRmT1_PNSt15iterator_traitsISH_E10value_typeET2_T3_PNSI_ISN_E10value_typeET4_jRbjT5_ST_jjP12ihipStream_tbEUlT_E1_NS1_11comp_targetILNS1_3genE2ELNS1_11target_archE906ELNS1_3gpuE6ELNS1_3repE0EEENS1_59segmented_radix_sort_warp_sort_small_config_static_selectorELNS0_4arch9wavefront6targetE0EEEvSH_.numbered_sgpr, 0
	.set _ZN7rocprim17ROCPRIM_400000_NS6detail17trampoline_kernelINS0_14default_configENS1_36segmented_radix_sort_config_selectorIllEEZNS1_25segmented_radix_sort_implIS3_Lb0EPKlPlS8_S9_N2at6native12_GLOBAL__N_18offset_tEEE10hipError_tPvRmT1_PNSt15iterator_traitsISH_E10value_typeET2_T3_PNSI_ISN_E10value_typeET4_jRbjT5_ST_jjP12ihipStream_tbEUlT_E1_NS1_11comp_targetILNS1_3genE2ELNS1_11target_archE906ELNS1_3gpuE6ELNS1_3repE0EEENS1_59segmented_radix_sort_warp_sort_small_config_static_selectorELNS0_4arch9wavefront6targetE0EEEvSH_.num_named_barrier, 0
	.set _ZN7rocprim17ROCPRIM_400000_NS6detail17trampoline_kernelINS0_14default_configENS1_36segmented_radix_sort_config_selectorIllEEZNS1_25segmented_radix_sort_implIS3_Lb0EPKlPlS8_S9_N2at6native12_GLOBAL__N_18offset_tEEE10hipError_tPvRmT1_PNSt15iterator_traitsISH_E10value_typeET2_T3_PNSI_ISN_E10value_typeET4_jRbjT5_ST_jjP12ihipStream_tbEUlT_E1_NS1_11comp_targetILNS1_3genE2ELNS1_11target_archE906ELNS1_3gpuE6ELNS1_3repE0EEENS1_59segmented_radix_sort_warp_sort_small_config_static_selectorELNS0_4arch9wavefront6targetE0EEEvSH_.private_seg_size, 0
	.set _ZN7rocprim17ROCPRIM_400000_NS6detail17trampoline_kernelINS0_14default_configENS1_36segmented_radix_sort_config_selectorIllEEZNS1_25segmented_radix_sort_implIS3_Lb0EPKlPlS8_S9_N2at6native12_GLOBAL__N_18offset_tEEE10hipError_tPvRmT1_PNSt15iterator_traitsISH_E10value_typeET2_T3_PNSI_ISN_E10value_typeET4_jRbjT5_ST_jjP12ihipStream_tbEUlT_E1_NS1_11comp_targetILNS1_3genE2ELNS1_11target_archE906ELNS1_3gpuE6ELNS1_3repE0EEENS1_59segmented_radix_sort_warp_sort_small_config_static_selectorELNS0_4arch9wavefront6targetE0EEEvSH_.uses_vcc, 0
	.set _ZN7rocprim17ROCPRIM_400000_NS6detail17trampoline_kernelINS0_14default_configENS1_36segmented_radix_sort_config_selectorIllEEZNS1_25segmented_radix_sort_implIS3_Lb0EPKlPlS8_S9_N2at6native12_GLOBAL__N_18offset_tEEE10hipError_tPvRmT1_PNSt15iterator_traitsISH_E10value_typeET2_T3_PNSI_ISN_E10value_typeET4_jRbjT5_ST_jjP12ihipStream_tbEUlT_E1_NS1_11comp_targetILNS1_3genE2ELNS1_11target_archE906ELNS1_3gpuE6ELNS1_3repE0EEENS1_59segmented_radix_sort_warp_sort_small_config_static_selectorELNS0_4arch9wavefront6targetE0EEEvSH_.uses_flat_scratch, 0
	.set _ZN7rocprim17ROCPRIM_400000_NS6detail17trampoline_kernelINS0_14default_configENS1_36segmented_radix_sort_config_selectorIllEEZNS1_25segmented_radix_sort_implIS3_Lb0EPKlPlS8_S9_N2at6native12_GLOBAL__N_18offset_tEEE10hipError_tPvRmT1_PNSt15iterator_traitsISH_E10value_typeET2_T3_PNSI_ISN_E10value_typeET4_jRbjT5_ST_jjP12ihipStream_tbEUlT_E1_NS1_11comp_targetILNS1_3genE2ELNS1_11target_archE906ELNS1_3gpuE6ELNS1_3repE0EEENS1_59segmented_radix_sort_warp_sort_small_config_static_selectorELNS0_4arch9wavefront6targetE0EEEvSH_.has_dyn_sized_stack, 0
	.set _ZN7rocprim17ROCPRIM_400000_NS6detail17trampoline_kernelINS0_14default_configENS1_36segmented_radix_sort_config_selectorIllEEZNS1_25segmented_radix_sort_implIS3_Lb0EPKlPlS8_S9_N2at6native12_GLOBAL__N_18offset_tEEE10hipError_tPvRmT1_PNSt15iterator_traitsISH_E10value_typeET2_T3_PNSI_ISN_E10value_typeET4_jRbjT5_ST_jjP12ihipStream_tbEUlT_E1_NS1_11comp_targetILNS1_3genE2ELNS1_11target_archE906ELNS1_3gpuE6ELNS1_3repE0EEENS1_59segmented_radix_sort_warp_sort_small_config_static_selectorELNS0_4arch9wavefront6targetE0EEEvSH_.has_recursion, 0
	.set _ZN7rocprim17ROCPRIM_400000_NS6detail17trampoline_kernelINS0_14default_configENS1_36segmented_radix_sort_config_selectorIllEEZNS1_25segmented_radix_sort_implIS3_Lb0EPKlPlS8_S9_N2at6native12_GLOBAL__N_18offset_tEEE10hipError_tPvRmT1_PNSt15iterator_traitsISH_E10value_typeET2_T3_PNSI_ISN_E10value_typeET4_jRbjT5_ST_jjP12ihipStream_tbEUlT_E1_NS1_11comp_targetILNS1_3genE2ELNS1_11target_archE906ELNS1_3gpuE6ELNS1_3repE0EEENS1_59segmented_radix_sort_warp_sort_small_config_static_selectorELNS0_4arch9wavefront6targetE0EEEvSH_.has_indirect_call, 0
	.section	.AMDGPU.csdata,"",@progbits
; Kernel info:
; codeLenInByte = 0
; TotalNumSgprs: 0
; NumVgprs: 0
; ScratchSize: 0
; MemoryBound: 0
; FloatMode: 240
; IeeeMode: 1
; LDSByteSize: 0 bytes/workgroup (compile time only)
; SGPRBlocks: 0
; VGPRBlocks: 0
; NumSGPRsForWavesPerEU: 1
; NumVGPRsForWavesPerEU: 1
; NamedBarCnt: 0
; Occupancy: 16
; WaveLimiterHint : 0
; COMPUTE_PGM_RSRC2:SCRATCH_EN: 0
; COMPUTE_PGM_RSRC2:USER_SGPR: 2
; COMPUTE_PGM_RSRC2:TRAP_HANDLER: 0
; COMPUTE_PGM_RSRC2:TGID_X_EN: 1
; COMPUTE_PGM_RSRC2:TGID_Y_EN: 0
; COMPUTE_PGM_RSRC2:TGID_Z_EN: 0
; COMPUTE_PGM_RSRC2:TIDIG_COMP_CNT: 0
	.section	.text._ZN7rocprim17ROCPRIM_400000_NS6detail17trampoline_kernelINS0_14default_configENS1_36segmented_radix_sort_config_selectorIllEEZNS1_25segmented_radix_sort_implIS3_Lb0EPKlPlS8_S9_N2at6native12_GLOBAL__N_18offset_tEEE10hipError_tPvRmT1_PNSt15iterator_traitsISH_E10value_typeET2_T3_PNSI_ISN_E10value_typeET4_jRbjT5_ST_jjP12ihipStream_tbEUlT_E1_NS1_11comp_targetILNS1_3genE10ELNS1_11target_archE1201ELNS1_3gpuE5ELNS1_3repE0EEENS1_59segmented_radix_sort_warp_sort_small_config_static_selectorELNS0_4arch9wavefront6targetE0EEEvSH_,"axG",@progbits,_ZN7rocprim17ROCPRIM_400000_NS6detail17trampoline_kernelINS0_14default_configENS1_36segmented_radix_sort_config_selectorIllEEZNS1_25segmented_radix_sort_implIS3_Lb0EPKlPlS8_S9_N2at6native12_GLOBAL__N_18offset_tEEE10hipError_tPvRmT1_PNSt15iterator_traitsISH_E10value_typeET2_T3_PNSI_ISN_E10value_typeET4_jRbjT5_ST_jjP12ihipStream_tbEUlT_E1_NS1_11comp_targetILNS1_3genE10ELNS1_11target_archE1201ELNS1_3gpuE5ELNS1_3repE0EEENS1_59segmented_radix_sort_warp_sort_small_config_static_selectorELNS0_4arch9wavefront6targetE0EEEvSH_,comdat
	.globl	_ZN7rocprim17ROCPRIM_400000_NS6detail17trampoline_kernelINS0_14default_configENS1_36segmented_radix_sort_config_selectorIllEEZNS1_25segmented_radix_sort_implIS3_Lb0EPKlPlS8_S9_N2at6native12_GLOBAL__N_18offset_tEEE10hipError_tPvRmT1_PNSt15iterator_traitsISH_E10value_typeET2_T3_PNSI_ISN_E10value_typeET4_jRbjT5_ST_jjP12ihipStream_tbEUlT_E1_NS1_11comp_targetILNS1_3genE10ELNS1_11target_archE1201ELNS1_3gpuE5ELNS1_3repE0EEENS1_59segmented_radix_sort_warp_sort_small_config_static_selectorELNS0_4arch9wavefront6targetE0EEEvSH_ ; -- Begin function _ZN7rocprim17ROCPRIM_400000_NS6detail17trampoline_kernelINS0_14default_configENS1_36segmented_radix_sort_config_selectorIllEEZNS1_25segmented_radix_sort_implIS3_Lb0EPKlPlS8_S9_N2at6native12_GLOBAL__N_18offset_tEEE10hipError_tPvRmT1_PNSt15iterator_traitsISH_E10value_typeET2_T3_PNSI_ISN_E10value_typeET4_jRbjT5_ST_jjP12ihipStream_tbEUlT_E1_NS1_11comp_targetILNS1_3genE10ELNS1_11target_archE1201ELNS1_3gpuE5ELNS1_3repE0EEENS1_59segmented_radix_sort_warp_sort_small_config_static_selectorELNS0_4arch9wavefront6targetE0EEEvSH_
	.p2align	8
	.type	_ZN7rocprim17ROCPRIM_400000_NS6detail17trampoline_kernelINS0_14default_configENS1_36segmented_radix_sort_config_selectorIllEEZNS1_25segmented_radix_sort_implIS3_Lb0EPKlPlS8_S9_N2at6native12_GLOBAL__N_18offset_tEEE10hipError_tPvRmT1_PNSt15iterator_traitsISH_E10value_typeET2_T3_PNSI_ISN_E10value_typeET4_jRbjT5_ST_jjP12ihipStream_tbEUlT_E1_NS1_11comp_targetILNS1_3genE10ELNS1_11target_archE1201ELNS1_3gpuE5ELNS1_3repE0EEENS1_59segmented_radix_sort_warp_sort_small_config_static_selectorELNS0_4arch9wavefront6targetE0EEEvSH_,@function
_ZN7rocprim17ROCPRIM_400000_NS6detail17trampoline_kernelINS0_14default_configENS1_36segmented_radix_sort_config_selectorIllEEZNS1_25segmented_radix_sort_implIS3_Lb0EPKlPlS8_S9_N2at6native12_GLOBAL__N_18offset_tEEE10hipError_tPvRmT1_PNSt15iterator_traitsISH_E10value_typeET2_T3_PNSI_ISN_E10value_typeET4_jRbjT5_ST_jjP12ihipStream_tbEUlT_E1_NS1_11comp_targetILNS1_3genE10ELNS1_11target_archE1201ELNS1_3gpuE5ELNS1_3repE0EEENS1_59segmented_radix_sort_warp_sort_small_config_static_selectorELNS0_4arch9wavefront6targetE0EEEvSH_: ; @_ZN7rocprim17ROCPRIM_400000_NS6detail17trampoline_kernelINS0_14default_configENS1_36segmented_radix_sort_config_selectorIllEEZNS1_25segmented_radix_sort_implIS3_Lb0EPKlPlS8_S9_N2at6native12_GLOBAL__N_18offset_tEEE10hipError_tPvRmT1_PNSt15iterator_traitsISH_E10value_typeET2_T3_PNSI_ISN_E10value_typeET4_jRbjT5_ST_jjP12ihipStream_tbEUlT_E1_NS1_11comp_targetILNS1_3genE10ELNS1_11target_archE1201ELNS1_3gpuE5ELNS1_3repE0EEENS1_59segmented_radix_sort_warp_sort_small_config_static_selectorELNS0_4arch9wavefront6targetE0EEEvSH_
; %bb.0:
	.section	.rodata,"a",@progbits
	.p2align	6, 0x0
	.amdhsa_kernel _ZN7rocprim17ROCPRIM_400000_NS6detail17trampoline_kernelINS0_14default_configENS1_36segmented_radix_sort_config_selectorIllEEZNS1_25segmented_radix_sort_implIS3_Lb0EPKlPlS8_S9_N2at6native12_GLOBAL__N_18offset_tEEE10hipError_tPvRmT1_PNSt15iterator_traitsISH_E10value_typeET2_T3_PNSI_ISN_E10value_typeET4_jRbjT5_ST_jjP12ihipStream_tbEUlT_E1_NS1_11comp_targetILNS1_3genE10ELNS1_11target_archE1201ELNS1_3gpuE5ELNS1_3repE0EEENS1_59segmented_radix_sort_warp_sort_small_config_static_selectorELNS0_4arch9wavefront6targetE0EEEvSH_
		.amdhsa_group_segment_fixed_size 0
		.amdhsa_private_segment_fixed_size 0
		.amdhsa_kernarg_size 88
		.amdhsa_user_sgpr_count 2
		.amdhsa_user_sgpr_dispatch_ptr 0
		.amdhsa_user_sgpr_queue_ptr 0
		.amdhsa_user_sgpr_kernarg_segment_ptr 1
		.amdhsa_user_sgpr_dispatch_id 0
		.amdhsa_user_sgpr_kernarg_preload_length 0
		.amdhsa_user_sgpr_kernarg_preload_offset 0
		.amdhsa_user_sgpr_private_segment_size 0
		.amdhsa_wavefront_size32 1
		.amdhsa_uses_dynamic_stack 0
		.amdhsa_enable_private_segment 0
		.amdhsa_system_sgpr_workgroup_id_x 1
		.amdhsa_system_sgpr_workgroup_id_y 0
		.amdhsa_system_sgpr_workgroup_id_z 0
		.amdhsa_system_sgpr_workgroup_info 0
		.amdhsa_system_vgpr_workitem_id 0
		.amdhsa_next_free_vgpr 1
		.amdhsa_next_free_sgpr 1
		.amdhsa_named_barrier_count 0
		.amdhsa_reserve_vcc 0
		.amdhsa_float_round_mode_32 0
		.amdhsa_float_round_mode_16_64 0
		.amdhsa_float_denorm_mode_32 3
		.amdhsa_float_denorm_mode_16_64 3
		.amdhsa_fp16_overflow 0
		.amdhsa_memory_ordered 1
		.amdhsa_forward_progress 1
		.amdhsa_inst_pref_size 0
		.amdhsa_round_robin_scheduling 0
		.amdhsa_exception_fp_ieee_invalid_op 0
		.amdhsa_exception_fp_denorm_src 0
		.amdhsa_exception_fp_ieee_div_zero 0
		.amdhsa_exception_fp_ieee_overflow 0
		.amdhsa_exception_fp_ieee_underflow 0
		.amdhsa_exception_fp_ieee_inexact 0
		.amdhsa_exception_int_div_zero 0
	.end_amdhsa_kernel
	.section	.text._ZN7rocprim17ROCPRIM_400000_NS6detail17trampoline_kernelINS0_14default_configENS1_36segmented_radix_sort_config_selectorIllEEZNS1_25segmented_radix_sort_implIS3_Lb0EPKlPlS8_S9_N2at6native12_GLOBAL__N_18offset_tEEE10hipError_tPvRmT1_PNSt15iterator_traitsISH_E10value_typeET2_T3_PNSI_ISN_E10value_typeET4_jRbjT5_ST_jjP12ihipStream_tbEUlT_E1_NS1_11comp_targetILNS1_3genE10ELNS1_11target_archE1201ELNS1_3gpuE5ELNS1_3repE0EEENS1_59segmented_radix_sort_warp_sort_small_config_static_selectorELNS0_4arch9wavefront6targetE0EEEvSH_,"axG",@progbits,_ZN7rocprim17ROCPRIM_400000_NS6detail17trampoline_kernelINS0_14default_configENS1_36segmented_radix_sort_config_selectorIllEEZNS1_25segmented_radix_sort_implIS3_Lb0EPKlPlS8_S9_N2at6native12_GLOBAL__N_18offset_tEEE10hipError_tPvRmT1_PNSt15iterator_traitsISH_E10value_typeET2_T3_PNSI_ISN_E10value_typeET4_jRbjT5_ST_jjP12ihipStream_tbEUlT_E1_NS1_11comp_targetILNS1_3genE10ELNS1_11target_archE1201ELNS1_3gpuE5ELNS1_3repE0EEENS1_59segmented_radix_sort_warp_sort_small_config_static_selectorELNS0_4arch9wavefront6targetE0EEEvSH_,comdat
.Lfunc_end829:
	.size	_ZN7rocprim17ROCPRIM_400000_NS6detail17trampoline_kernelINS0_14default_configENS1_36segmented_radix_sort_config_selectorIllEEZNS1_25segmented_radix_sort_implIS3_Lb0EPKlPlS8_S9_N2at6native12_GLOBAL__N_18offset_tEEE10hipError_tPvRmT1_PNSt15iterator_traitsISH_E10value_typeET2_T3_PNSI_ISN_E10value_typeET4_jRbjT5_ST_jjP12ihipStream_tbEUlT_E1_NS1_11comp_targetILNS1_3genE10ELNS1_11target_archE1201ELNS1_3gpuE5ELNS1_3repE0EEENS1_59segmented_radix_sort_warp_sort_small_config_static_selectorELNS0_4arch9wavefront6targetE0EEEvSH_, .Lfunc_end829-_ZN7rocprim17ROCPRIM_400000_NS6detail17trampoline_kernelINS0_14default_configENS1_36segmented_radix_sort_config_selectorIllEEZNS1_25segmented_radix_sort_implIS3_Lb0EPKlPlS8_S9_N2at6native12_GLOBAL__N_18offset_tEEE10hipError_tPvRmT1_PNSt15iterator_traitsISH_E10value_typeET2_T3_PNSI_ISN_E10value_typeET4_jRbjT5_ST_jjP12ihipStream_tbEUlT_E1_NS1_11comp_targetILNS1_3genE10ELNS1_11target_archE1201ELNS1_3gpuE5ELNS1_3repE0EEENS1_59segmented_radix_sort_warp_sort_small_config_static_selectorELNS0_4arch9wavefront6targetE0EEEvSH_
                                        ; -- End function
	.set _ZN7rocprim17ROCPRIM_400000_NS6detail17trampoline_kernelINS0_14default_configENS1_36segmented_radix_sort_config_selectorIllEEZNS1_25segmented_radix_sort_implIS3_Lb0EPKlPlS8_S9_N2at6native12_GLOBAL__N_18offset_tEEE10hipError_tPvRmT1_PNSt15iterator_traitsISH_E10value_typeET2_T3_PNSI_ISN_E10value_typeET4_jRbjT5_ST_jjP12ihipStream_tbEUlT_E1_NS1_11comp_targetILNS1_3genE10ELNS1_11target_archE1201ELNS1_3gpuE5ELNS1_3repE0EEENS1_59segmented_radix_sort_warp_sort_small_config_static_selectorELNS0_4arch9wavefront6targetE0EEEvSH_.num_vgpr, 0
	.set _ZN7rocprim17ROCPRIM_400000_NS6detail17trampoline_kernelINS0_14default_configENS1_36segmented_radix_sort_config_selectorIllEEZNS1_25segmented_radix_sort_implIS3_Lb0EPKlPlS8_S9_N2at6native12_GLOBAL__N_18offset_tEEE10hipError_tPvRmT1_PNSt15iterator_traitsISH_E10value_typeET2_T3_PNSI_ISN_E10value_typeET4_jRbjT5_ST_jjP12ihipStream_tbEUlT_E1_NS1_11comp_targetILNS1_3genE10ELNS1_11target_archE1201ELNS1_3gpuE5ELNS1_3repE0EEENS1_59segmented_radix_sort_warp_sort_small_config_static_selectorELNS0_4arch9wavefront6targetE0EEEvSH_.num_agpr, 0
	.set _ZN7rocprim17ROCPRIM_400000_NS6detail17trampoline_kernelINS0_14default_configENS1_36segmented_radix_sort_config_selectorIllEEZNS1_25segmented_radix_sort_implIS3_Lb0EPKlPlS8_S9_N2at6native12_GLOBAL__N_18offset_tEEE10hipError_tPvRmT1_PNSt15iterator_traitsISH_E10value_typeET2_T3_PNSI_ISN_E10value_typeET4_jRbjT5_ST_jjP12ihipStream_tbEUlT_E1_NS1_11comp_targetILNS1_3genE10ELNS1_11target_archE1201ELNS1_3gpuE5ELNS1_3repE0EEENS1_59segmented_radix_sort_warp_sort_small_config_static_selectorELNS0_4arch9wavefront6targetE0EEEvSH_.numbered_sgpr, 0
	.set _ZN7rocprim17ROCPRIM_400000_NS6detail17trampoline_kernelINS0_14default_configENS1_36segmented_radix_sort_config_selectorIllEEZNS1_25segmented_radix_sort_implIS3_Lb0EPKlPlS8_S9_N2at6native12_GLOBAL__N_18offset_tEEE10hipError_tPvRmT1_PNSt15iterator_traitsISH_E10value_typeET2_T3_PNSI_ISN_E10value_typeET4_jRbjT5_ST_jjP12ihipStream_tbEUlT_E1_NS1_11comp_targetILNS1_3genE10ELNS1_11target_archE1201ELNS1_3gpuE5ELNS1_3repE0EEENS1_59segmented_radix_sort_warp_sort_small_config_static_selectorELNS0_4arch9wavefront6targetE0EEEvSH_.num_named_barrier, 0
	.set _ZN7rocprim17ROCPRIM_400000_NS6detail17trampoline_kernelINS0_14default_configENS1_36segmented_radix_sort_config_selectorIllEEZNS1_25segmented_radix_sort_implIS3_Lb0EPKlPlS8_S9_N2at6native12_GLOBAL__N_18offset_tEEE10hipError_tPvRmT1_PNSt15iterator_traitsISH_E10value_typeET2_T3_PNSI_ISN_E10value_typeET4_jRbjT5_ST_jjP12ihipStream_tbEUlT_E1_NS1_11comp_targetILNS1_3genE10ELNS1_11target_archE1201ELNS1_3gpuE5ELNS1_3repE0EEENS1_59segmented_radix_sort_warp_sort_small_config_static_selectorELNS0_4arch9wavefront6targetE0EEEvSH_.private_seg_size, 0
	.set _ZN7rocprim17ROCPRIM_400000_NS6detail17trampoline_kernelINS0_14default_configENS1_36segmented_radix_sort_config_selectorIllEEZNS1_25segmented_radix_sort_implIS3_Lb0EPKlPlS8_S9_N2at6native12_GLOBAL__N_18offset_tEEE10hipError_tPvRmT1_PNSt15iterator_traitsISH_E10value_typeET2_T3_PNSI_ISN_E10value_typeET4_jRbjT5_ST_jjP12ihipStream_tbEUlT_E1_NS1_11comp_targetILNS1_3genE10ELNS1_11target_archE1201ELNS1_3gpuE5ELNS1_3repE0EEENS1_59segmented_radix_sort_warp_sort_small_config_static_selectorELNS0_4arch9wavefront6targetE0EEEvSH_.uses_vcc, 0
	.set _ZN7rocprim17ROCPRIM_400000_NS6detail17trampoline_kernelINS0_14default_configENS1_36segmented_radix_sort_config_selectorIllEEZNS1_25segmented_radix_sort_implIS3_Lb0EPKlPlS8_S9_N2at6native12_GLOBAL__N_18offset_tEEE10hipError_tPvRmT1_PNSt15iterator_traitsISH_E10value_typeET2_T3_PNSI_ISN_E10value_typeET4_jRbjT5_ST_jjP12ihipStream_tbEUlT_E1_NS1_11comp_targetILNS1_3genE10ELNS1_11target_archE1201ELNS1_3gpuE5ELNS1_3repE0EEENS1_59segmented_radix_sort_warp_sort_small_config_static_selectorELNS0_4arch9wavefront6targetE0EEEvSH_.uses_flat_scratch, 0
	.set _ZN7rocprim17ROCPRIM_400000_NS6detail17trampoline_kernelINS0_14default_configENS1_36segmented_radix_sort_config_selectorIllEEZNS1_25segmented_radix_sort_implIS3_Lb0EPKlPlS8_S9_N2at6native12_GLOBAL__N_18offset_tEEE10hipError_tPvRmT1_PNSt15iterator_traitsISH_E10value_typeET2_T3_PNSI_ISN_E10value_typeET4_jRbjT5_ST_jjP12ihipStream_tbEUlT_E1_NS1_11comp_targetILNS1_3genE10ELNS1_11target_archE1201ELNS1_3gpuE5ELNS1_3repE0EEENS1_59segmented_radix_sort_warp_sort_small_config_static_selectorELNS0_4arch9wavefront6targetE0EEEvSH_.has_dyn_sized_stack, 0
	.set _ZN7rocprim17ROCPRIM_400000_NS6detail17trampoline_kernelINS0_14default_configENS1_36segmented_radix_sort_config_selectorIllEEZNS1_25segmented_radix_sort_implIS3_Lb0EPKlPlS8_S9_N2at6native12_GLOBAL__N_18offset_tEEE10hipError_tPvRmT1_PNSt15iterator_traitsISH_E10value_typeET2_T3_PNSI_ISN_E10value_typeET4_jRbjT5_ST_jjP12ihipStream_tbEUlT_E1_NS1_11comp_targetILNS1_3genE10ELNS1_11target_archE1201ELNS1_3gpuE5ELNS1_3repE0EEENS1_59segmented_radix_sort_warp_sort_small_config_static_selectorELNS0_4arch9wavefront6targetE0EEEvSH_.has_recursion, 0
	.set _ZN7rocprim17ROCPRIM_400000_NS6detail17trampoline_kernelINS0_14default_configENS1_36segmented_radix_sort_config_selectorIllEEZNS1_25segmented_radix_sort_implIS3_Lb0EPKlPlS8_S9_N2at6native12_GLOBAL__N_18offset_tEEE10hipError_tPvRmT1_PNSt15iterator_traitsISH_E10value_typeET2_T3_PNSI_ISN_E10value_typeET4_jRbjT5_ST_jjP12ihipStream_tbEUlT_E1_NS1_11comp_targetILNS1_3genE10ELNS1_11target_archE1201ELNS1_3gpuE5ELNS1_3repE0EEENS1_59segmented_radix_sort_warp_sort_small_config_static_selectorELNS0_4arch9wavefront6targetE0EEEvSH_.has_indirect_call, 0
	.section	.AMDGPU.csdata,"",@progbits
; Kernel info:
; codeLenInByte = 0
; TotalNumSgprs: 0
; NumVgprs: 0
; ScratchSize: 0
; MemoryBound: 0
; FloatMode: 240
; IeeeMode: 1
; LDSByteSize: 0 bytes/workgroup (compile time only)
; SGPRBlocks: 0
; VGPRBlocks: 0
; NumSGPRsForWavesPerEU: 1
; NumVGPRsForWavesPerEU: 1
; NamedBarCnt: 0
; Occupancy: 16
; WaveLimiterHint : 0
; COMPUTE_PGM_RSRC2:SCRATCH_EN: 0
; COMPUTE_PGM_RSRC2:USER_SGPR: 2
; COMPUTE_PGM_RSRC2:TRAP_HANDLER: 0
; COMPUTE_PGM_RSRC2:TGID_X_EN: 1
; COMPUTE_PGM_RSRC2:TGID_Y_EN: 0
; COMPUTE_PGM_RSRC2:TGID_Z_EN: 0
; COMPUTE_PGM_RSRC2:TIDIG_COMP_CNT: 0
	.section	.text._ZN7rocprim17ROCPRIM_400000_NS6detail17trampoline_kernelINS0_14default_configENS1_36segmented_radix_sort_config_selectorIllEEZNS1_25segmented_radix_sort_implIS3_Lb0EPKlPlS8_S9_N2at6native12_GLOBAL__N_18offset_tEEE10hipError_tPvRmT1_PNSt15iterator_traitsISH_E10value_typeET2_T3_PNSI_ISN_E10value_typeET4_jRbjT5_ST_jjP12ihipStream_tbEUlT_E1_NS1_11comp_targetILNS1_3genE10ELNS1_11target_archE1200ELNS1_3gpuE4ELNS1_3repE0EEENS1_59segmented_radix_sort_warp_sort_small_config_static_selectorELNS0_4arch9wavefront6targetE0EEEvSH_,"axG",@progbits,_ZN7rocprim17ROCPRIM_400000_NS6detail17trampoline_kernelINS0_14default_configENS1_36segmented_radix_sort_config_selectorIllEEZNS1_25segmented_radix_sort_implIS3_Lb0EPKlPlS8_S9_N2at6native12_GLOBAL__N_18offset_tEEE10hipError_tPvRmT1_PNSt15iterator_traitsISH_E10value_typeET2_T3_PNSI_ISN_E10value_typeET4_jRbjT5_ST_jjP12ihipStream_tbEUlT_E1_NS1_11comp_targetILNS1_3genE10ELNS1_11target_archE1200ELNS1_3gpuE4ELNS1_3repE0EEENS1_59segmented_radix_sort_warp_sort_small_config_static_selectorELNS0_4arch9wavefront6targetE0EEEvSH_,comdat
	.globl	_ZN7rocprim17ROCPRIM_400000_NS6detail17trampoline_kernelINS0_14default_configENS1_36segmented_radix_sort_config_selectorIllEEZNS1_25segmented_radix_sort_implIS3_Lb0EPKlPlS8_S9_N2at6native12_GLOBAL__N_18offset_tEEE10hipError_tPvRmT1_PNSt15iterator_traitsISH_E10value_typeET2_T3_PNSI_ISN_E10value_typeET4_jRbjT5_ST_jjP12ihipStream_tbEUlT_E1_NS1_11comp_targetILNS1_3genE10ELNS1_11target_archE1200ELNS1_3gpuE4ELNS1_3repE0EEENS1_59segmented_radix_sort_warp_sort_small_config_static_selectorELNS0_4arch9wavefront6targetE0EEEvSH_ ; -- Begin function _ZN7rocprim17ROCPRIM_400000_NS6detail17trampoline_kernelINS0_14default_configENS1_36segmented_radix_sort_config_selectorIllEEZNS1_25segmented_radix_sort_implIS3_Lb0EPKlPlS8_S9_N2at6native12_GLOBAL__N_18offset_tEEE10hipError_tPvRmT1_PNSt15iterator_traitsISH_E10value_typeET2_T3_PNSI_ISN_E10value_typeET4_jRbjT5_ST_jjP12ihipStream_tbEUlT_E1_NS1_11comp_targetILNS1_3genE10ELNS1_11target_archE1200ELNS1_3gpuE4ELNS1_3repE0EEENS1_59segmented_radix_sort_warp_sort_small_config_static_selectorELNS0_4arch9wavefront6targetE0EEEvSH_
	.p2align	8
	.type	_ZN7rocprim17ROCPRIM_400000_NS6detail17trampoline_kernelINS0_14default_configENS1_36segmented_radix_sort_config_selectorIllEEZNS1_25segmented_radix_sort_implIS3_Lb0EPKlPlS8_S9_N2at6native12_GLOBAL__N_18offset_tEEE10hipError_tPvRmT1_PNSt15iterator_traitsISH_E10value_typeET2_T3_PNSI_ISN_E10value_typeET4_jRbjT5_ST_jjP12ihipStream_tbEUlT_E1_NS1_11comp_targetILNS1_3genE10ELNS1_11target_archE1200ELNS1_3gpuE4ELNS1_3repE0EEENS1_59segmented_radix_sort_warp_sort_small_config_static_selectorELNS0_4arch9wavefront6targetE0EEEvSH_,@function
_ZN7rocprim17ROCPRIM_400000_NS6detail17trampoline_kernelINS0_14default_configENS1_36segmented_radix_sort_config_selectorIllEEZNS1_25segmented_radix_sort_implIS3_Lb0EPKlPlS8_S9_N2at6native12_GLOBAL__N_18offset_tEEE10hipError_tPvRmT1_PNSt15iterator_traitsISH_E10value_typeET2_T3_PNSI_ISN_E10value_typeET4_jRbjT5_ST_jjP12ihipStream_tbEUlT_E1_NS1_11comp_targetILNS1_3genE10ELNS1_11target_archE1200ELNS1_3gpuE4ELNS1_3repE0EEENS1_59segmented_radix_sort_warp_sort_small_config_static_selectorELNS0_4arch9wavefront6targetE0EEEvSH_: ; @_ZN7rocprim17ROCPRIM_400000_NS6detail17trampoline_kernelINS0_14default_configENS1_36segmented_radix_sort_config_selectorIllEEZNS1_25segmented_radix_sort_implIS3_Lb0EPKlPlS8_S9_N2at6native12_GLOBAL__N_18offset_tEEE10hipError_tPvRmT1_PNSt15iterator_traitsISH_E10value_typeET2_T3_PNSI_ISN_E10value_typeET4_jRbjT5_ST_jjP12ihipStream_tbEUlT_E1_NS1_11comp_targetILNS1_3genE10ELNS1_11target_archE1200ELNS1_3gpuE4ELNS1_3repE0EEENS1_59segmented_radix_sort_warp_sort_small_config_static_selectorELNS0_4arch9wavefront6targetE0EEEvSH_
; %bb.0:
	.section	.rodata,"a",@progbits
	.p2align	6, 0x0
	.amdhsa_kernel _ZN7rocprim17ROCPRIM_400000_NS6detail17trampoline_kernelINS0_14default_configENS1_36segmented_radix_sort_config_selectorIllEEZNS1_25segmented_radix_sort_implIS3_Lb0EPKlPlS8_S9_N2at6native12_GLOBAL__N_18offset_tEEE10hipError_tPvRmT1_PNSt15iterator_traitsISH_E10value_typeET2_T3_PNSI_ISN_E10value_typeET4_jRbjT5_ST_jjP12ihipStream_tbEUlT_E1_NS1_11comp_targetILNS1_3genE10ELNS1_11target_archE1200ELNS1_3gpuE4ELNS1_3repE0EEENS1_59segmented_radix_sort_warp_sort_small_config_static_selectorELNS0_4arch9wavefront6targetE0EEEvSH_
		.amdhsa_group_segment_fixed_size 0
		.amdhsa_private_segment_fixed_size 0
		.amdhsa_kernarg_size 88
		.amdhsa_user_sgpr_count 2
		.amdhsa_user_sgpr_dispatch_ptr 0
		.amdhsa_user_sgpr_queue_ptr 0
		.amdhsa_user_sgpr_kernarg_segment_ptr 1
		.amdhsa_user_sgpr_dispatch_id 0
		.amdhsa_user_sgpr_kernarg_preload_length 0
		.amdhsa_user_sgpr_kernarg_preload_offset 0
		.amdhsa_user_sgpr_private_segment_size 0
		.amdhsa_wavefront_size32 1
		.amdhsa_uses_dynamic_stack 0
		.amdhsa_enable_private_segment 0
		.amdhsa_system_sgpr_workgroup_id_x 1
		.amdhsa_system_sgpr_workgroup_id_y 0
		.amdhsa_system_sgpr_workgroup_id_z 0
		.amdhsa_system_sgpr_workgroup_info 0
		.amdhsa_system_vgpr_workitem_id 0
		.amdhsa_next_free_vgpr 1
		.amdhsa_next_free_sgpr 1
		.amdhsa_named_barrier_count 0
		.amdhsa_reserve_vcc 0
		.amdhsa_float_round_mode_32 0
		.amdhsa_float_round_mode_16_64 0
		.amdhsa_float_denorm_mode_32 3
		.amdhsa_float_denorm_mode_16_64 3
		.amdhsa_fp16_overflow 0
		.amdhsa_memory_ordered 1
		.amdhsa_forward_progress 1
		.amdhsa_inst_pref_size 0
		.amdhsa_round_robin_scheduling 0
		.amdhsa_exception_fp_ieee_invalid_op 0
		.amdhsa_exception_fp_denorm_src 0
		.amdhsa_exception_fp_ieee_div_zero 0
		.amdhsa_exception_fp_ieee_overflow 0
		.amdhsa_exception_fp_ieee_underflow 0
		.amdhsa_exception_fp_ieee_inexact 0
		.amdhsa_exception_int_div_zero 0
	.end_amdhsa_kernel
	.section	.text._ZN7rocprim17ROCPRIM_400000_NS6detail17trampoline_kernelINS0_14default_configENS1_36segmented_radix_sort_config_selectorIllEEZNS1_25segmented_radix_sort_implIS3_Lb0EPKlPlS8_S9_N2at6native12_GLOBAL__N_18offset_tEEE10hipError_tPvRmT1_PNSt15iterator_traitsISH_E10value_typeET2_T3_PNSI_ISN_E10value_typeET4_jRbjT5_ST_jjP12ihipStream_tbEUlT_E1_NS1_11comp_targetILNS1_3genE10ELNS1_11target_archE1200ELNS1_3gpuE4ELNS1_3repE0EEENS1_59segmented_radix_sort_warp_sort_small_config_static_selectorELNS0_4arch9wavefront6targetE0EEEvSH_,"axG",@progbits,_ZN7rocprim17ROCPRIM_400000_NS6detail17trampoline_kernelINS0_14default_configENS1_36segmented_radix_sort_config_selectorIllEEZNS1_25segmented_radix_sort_implIS3_Lb0EPKlPlS8_S9_N2at6native12_GLOBAL__N_18offset_tEEE10hipError_tPvRmT1_PNSt15iterator_traitsISH_E10value_typeET2_T3_PNSI_ISN_E10value_typeET4_jRbjT5_ST_jjP12ihipStream_tbEUlT_E1_NS1_11comp_targetILNS1_3genE10ELNS1_11target_archE1200ELNS1_3gpuE4ELNS1_3repE0EEENS1_59segmented_radix_sort_warp_sort_small_config_static_selectorELNS0_4arch9wavefront6targetE0EEEvSH_,comdat
.Lfunc_end830:
	.size	_ZN7rocprim17ROCPRIM_400000_NS6detail17trampoline_kernelINS0_14default_configENS1_36segmented_radix_sort_config_selectorIllEEZNS1_25segmented_radix_sort_implIS3_Lb0EPKlPlS8_S9_N2at6native12_GLOBAL__N_18offset_tEEE10hipError_tPvRmT1_PNSt15iterator_traitsISH_E10value_typeET2_T3_PNSI_ISN_E10value_typeET4_jRbjT5_ST_jjP12ihipStream_tbEUlT_E1_NS1_11comp_targetILNS1_3genE10ELNS1_11target_archE1200ELNS1_3gpuE4ELNS1_3repE0EEENS1_59segmented_radix_sort_warp_sort_small_config_static_selectorELNS0_4arch9wavefront6targetE0EEEvSH_, .Lfunc_end830-_ZN7rocprim17ROCPRIM_400000_NS6detail17trampoline_kernelINS0_14default_configENS1_36segmented_radix_sort_config_selectorIllEEZNS1_25segmented_radix_sort_implIS3_Lb0EPKlPlS8_S9_N2at6native12_GLOBAL__N_18offset_tEEE10hipError_tPvRmT1_PNSt15iterator_traitsISH_E10value_typeET2_T3_PNSI_ISN_E10value_typeET4_jRbjT5_ST_jjP12ihipStream_tbEUlT_E1_NS1_11comp_targetILNS1_3genE10ELNS1_11target_archE1200ELNS1_3gpuE4ELNS1_3repE0EEENS1_59segmented_radix_sort_warp_sort_small_config_static_selectorELNS0_4arch9wavefront6targetE0EEEvSH_
                                        ; -- End function
	.set _ZN7rocprim17ROCPRIM_400000_NS6detail17trampoline_kernelINS0_14default_configENS1_36segmented_radix_sort_config_selectorIllEEZNS1_25segmented_radix_sort_implIS3_Lb0EPKlPlS8_S9_N2at6native12_GLOBAL__N_18offset_tEEE10hipError_tPvRmT1_PNSt15iterator_traitsISH_E10value_typeET2_T3_PNSI_ISN_E10value_typeET4_jRbjT5_ST_jjP12ihipStream_tbEUlT_E1_NS1_11comp_targetILNS1_3genE10ELNS1_11target_archE1200ELNS1_3gpuE4ELNS1_3repE0EEENS1_59segmented_radix_sort_warp_sort_small_config_static_selectorELNS0_4arch9wavefront6targetE0EEEvSH_.num_vgpr, 0
	.set _ZN7rocprim17ROCPRIM_400000_NS6detail17trampoline_kernelINS0_14default_configENS1_36segmented_radix_sort_config_selectorIllEEZNS1_25segmented_radix_sort_implIS3_Lb0EPKlPlS8_S9_N2at6native12_GLOBAL__N_18offset_tEEE10hipError_tPvRmT1_PNSt15iterator_traitsISH_E10value_typeET2_T3_PNSI_ISN_E10value_typeET4_jRbjT5_ST_jjP12ihipStream_tbEUlT_E1_NS1_11comp_targetILNS1_3genE10ELNS1_11target_archE1200ELNS1_3gpuE4ELNS1_3repE0EEENS1_59segmented_radix_sort_warp_sort_small_config_static_selectorELNS0_4arch9wavefront6targetE0EEEvSH_.num_agpr, 0
	.set _ZN7rocprim17ROCPRIM_400000_NS6detail17trampoline_kernelINS0_14default_configENS1_36segmented_radix_sort_config_selectorIllEEZNS1_25segmented_radix_sort_implIS3_Lb0EPKlPlS8_S9_N2at6native12_GLOBAL__N_18offset_tEEE10hipError_tPvRmT1_PNSt15iterator_traitsISH_E10value_typeET2_T3_PNSI_ISN_E10value_typeET4_jRbjT5_ST_jjP12ihipStream_tbEUlT_E1_NS1_11comp_targetILNS1_3genE10ELNS1_11target_archE1200ELNS1_3gpuE4ELNS1_3repE0EEENS1_59segmented_radix_sort_warp_sort_small_config_static_selectorELNS0_4arch9wavefront6targetE0EEEvSH_.numbered_sgpr, 0
	.set _ZN7rocprim17ROCPRIM_400000_NS6detail17trampoline_kernelINS0_14default_configENS1_36segmented_radix_sort_config_selectorIllEEZNS1_25segmented_radix_sort_implIS3_Lb0EPKlPlS8_S9_N2at6native12_GLOBAL__N_18offset_tEEE10hipError_tPvRmT1_PNSt15iterator_traitsISH_E10value_typeET2_T3_PNSI_ISN_E10value_typeET4_jRbjT5_ST_jjP12ihipStream_tbEUlT_E1_NS1_11comp_targetILNS1_3genE10ELNS1_11target_archE1200ELNS1_3gpuE4ELNS1_3repE0EEENS1_59segmented_radix_sort_warp_sort_small_config_static_selectorELNS0_4arch9wavefront6targetE0EEEvSH_.num_named_barrier, 0
	.set _ZN7rocprim17ROCPRIM_400000_NS6detail17trampoline_kernelINS0_14default_configENS1_36segmented_radix_sort_config_selectorIllEEZNS1_25segmented_radix_sort_implIS3_Lb0EPKlPlS8_S9_N2at6native12_GLOBAL__N_18offset_tEEE10hipError_tPvRmT1_PNSt15iterator_traitsISH_E10value_typeET2_T3_PNSI_ISN_E10value_typeET4_jRbjT5_ST_jjP12ihipStream_tbEUlT_E1_NS1_11comp_targetILNS1_3genE10ELNS1_11target_archE1200ELNS1_3gpuE4ELNS1_3repE0EEENS1_59segmented_radix_sort_warp_sort_small_config_static_selectorELNS0_4arch9wavefront6targetE0EEEvSH_.private_seg_size, 0
	.set _ZN7rocprim17ROCPRIM_400000_NS6detail17trampoline_kernelINS0_14default_configENS1_36segmented_radix_sort_config_selectorIllEEZNS1_25segmented_radix_sort_implIS3_Lb0EPKlPlS8_S9_N2at6native12_GLOBAL__N_18offset_tEEE10hipError_tPvRmT1_PNSt15iterator_traitsISH_E10value_typeET2_T3_PNSI_ISN_E10value_typeET4_jRbjT5_ST_jjP12ihipStream_tbEUlT_E1_NS1_11comp_targetILNS1_3genE10ELNS1_11target_archE1200ELNS1_3gpuE4ELNS1_3repE0EEENS1_59segmented_radix_sort_warp_sort_small_config_static_selectorELNS0_4arch9wavefront6targetE0EEEvSH_.uses_vcc, 0
	.set _ZN7rocprim17ROCPRIM_400000_NS6detail17trampoline_kernelINS0_14default_configENS1_36segmented_radix_sort_config_selectorIllEEZNS1_25segmented_radix_sort_implIS3_Lb0EPKlPlS8_S9_N2at6native12_GLOBAL__N_18offset_tEEE10hipError_tPvRmT1_PNSt15iterator_traitsISH_E10value_typeET2_T3_PNSI_ISN_E10value_typeET4_jRbjT5_ST_jjP12ihipStream_tbEUlT_E1_NS1_11comp_targetILNS1_3genE10ELNS1_11target_archE1200ELNS1_3gpuE4ELNS1_3repE0EEENS1_59segmented_radix_sort_warp_sort_small_config_static_selectorELNS0_4arch9wavefront6targetE0EEEvSH_.uses_flat_scratch, 0
	.set _ZN7rocprim17ROCPRIM_400000_NS6detail17trampoline_kernelINS0_14default_configENS1_36segmented_radix_sort_config_selectorIllEEZNS1_25segmented_radix_sort_implIS3_Lb0EPKlPlS8_S9_N2at6native12_GLOBAL__N_18offset_tEEE10hipError_tPvRmT1_PNSt15iterator_traitsISH_E10value_typeET2_T3_PNSI_ISN_E10value_typeET4_jRbjT5_ST_jjP12ihipStream_tbEUlT_E1_NS1_11comp_targetILNS1_3genE10ELNS1_11target_archE1200ELNS1_3gpuE4ELNS1_3repE0EEENS1_59segmented_radix_sort_warp_sort_small_config_static_selectorELNS0_4arch9wavefront6targetE0EEEvSH_.has_dyn_sized_stack, 0
	.set _ZN7rocprim17ROCPRIM_400000_NS6detail17trampoline_kernelINS0_14default_configENS1_36segmented_radix_sort_config_selectorIllEEZNS1_25segmented_radix_sort_implIS3_Lb0EPKlPlS8_S9_N2at6native12_GLOBAL__N_18offset_tEEE10hipError_tPvRmT1_PNSt15iterator_traitsISH_E10value_typeET2_T3_PNSI_ISN_E10value_typeET4_jRbjT5_ST_jjP12ihipStream_tbEUlT_E1_NS1_11comp_targetILNS1_3genE10ELNS1_11target_archE1200ELNS1_3gpuE4ELNS1_3repE0EEENS1_59segmented_radix_sort_warp_sort_small_config_static_selectorELNS0_4arch9wavefront6targetE0EEEvSH_.has_recursion, 0
	.set _ZN7rocprim17ROCPRIM_400000_NS6detail17trampoline_kernelINS0_14default_configENS1_36segmented_radix_sort_config_selectorIllEEZNS1_25segmented_radix_sort_implIS3_Lb0EPKlPlS8_S9_N2at6native12_GLOBAL__N_18offset_tEEE10hipError_tPvRmT1_PNSt15iterator_traitsISH_E10value_typeET2_T3_PNSI_ISN_E10value_typeET4_jRbjT5_ST_jjP12ihipStream_tbEUlT_E1_NS1_11comp_targetILNS1_3genE10ELNS1_11target_archE1200ELNS1_3gpuE4ELNS1_3repE0EEENS1_59segmented_radix_sort_warp_sort_small_config_static_selectorELNS0_4arch9wavefront6targetE0EEEvSH_.has_indirect_call, 0
	.section	.AMDGPU.csdata,"",@progbits
; Kernel info:
; codeLenInByte = 0
; TotalNumSgprs: 0
; NumVgprs: 0
; ScratchSize: 0
; MemoryBound: 0
; FloatMode: 240
; IeeeMode: 1
; LDSByteSize: 0 bytes/workgroup (compile time only)
; SGPRBlocks: 0
; VGPRBlocks: 0
; NumSGPRsForWavesPerEU: 1
; NumVGPRsForWavesPerEU: 1
; NamedBarCnt: 0
; Occupancy: 16
; WaveLimiterHint : 0
; COMPUTE_PGM_RSRC2:SCRATCH_EN: 0
; COMPUTE_PGM_RSRC2:USER_SGPR: 2
; COMPUTE_PGM_RSRC2:TRAP_HANDLER: 0
; COMPUTE_PGM_RSRC2:TGID_X_EN: 1
; COMPUTE_PGM_RSRC2:TGID_Y_EN: 0
; COMPUTE_PGM_RSRC2:TGID_Z_EN: 0
; COMPUTE_PGM_RSRC2:TIDIG_COMP_CNT: 0
	.section	.text._ZN7rocprim17ROCPRIM_400000_NS6detail17trampoline_kernelINS0_14default_configENS1_36segmented_radix_sort_config_selectorIllEEZNS1_25segmented_radix_sort_implIS3_Lb0EPKlPlS8_S9_N2at6native12_GLOBAL__N_18offset_tEEE10hipError_tPvRmT1_PNSt15iterator_traitsISH_E10value_typeET2_T3_PNSI_ISN_E10value_typeET4_jRbjT5_ST_jjP12ihipStream_tbEUlT_E1_NS1_11comp_targetILNS1_3genE9ELNS1_11target_archE1100ELNS1_3gpuE3ELNS1_3repE0EEENS1_59segmented_radix_sort_warp_sort_small_config_static_selectorELNS0_4arch9wavefront6targetE0EEEvSH_,"axG",@progbits,_ZN7rocprim17ROCPRIM_400000_NS6detail17trampoline_kernelINS0_14default_configENS1_36segmented_radix_sort_config_selectorIllEEZNS1_25segmented_radix_sort_implIS3_Lb0EPKlPlS8_S9_N2at6native12_GLOBAL__N_18offset_tEEE10hipError_tPvRmT1_PNSt15iterator_traitsISH_E10value_typeET2_T3_PNSI_ISN_E10value_typeET4_jRbjT5_ST_jjP12ihipStream_tbEUlT_E1_NS1_11comp_targetILNS1_3genE9ELNS1_11target_archE1100ELNS1_3gpuE3ELNS1_3repE0EEENS1_59segmented_radix_sort_warp_sort_small_config_static_selectorELNS0_4arch9wavefront6targetE0EEEvSH_,comdat
	.globl	_ZN7rocprim17ROCPRIM_400000_NS6detail17trampoline_kernelINS0_14default_configENS1_36segmented_radix_sort_config_selectorIllEEZNS1_25segmented_radix_sort_implIS3_Lb0EPKlPlS8_S9_N2at6native12_GLOBAL__N_18offset_tEEE10hipError_tPvRmT1_PNSt15iterator_traitsISH_E10value_typeET2_T3_PNSI_ISN_E10value_typeET4_jRbjT5_ST_jjP12ihipStream_tbEUlT_E1_NS1_11comp_targetILNS1_3genE9ELNS1_11target_archE1100ELNS1_3gpuE3ELNS1_3repE0EEENS1_59segmented_radix_sort_warp_sort_small_config_static_selectorELNS0_4arch9wavefront6targetE0EEEvSH_ ; -- Begin function _ZN7rocprim17ROCPRIM_400000_NS6detail17trampoline_kernelINS0_14default_configENS1_36segmented_radix_sort_config_selectorIllEEZNS1_25segmented_radix_sort_implIS3_Lb0EPKlPlS8_S9_N2at6native12_GLOBAL__N_18offset_tEEE10hipError_tPvRmT1_PNSt15iterator_traitsISH_E10value_typeET2_T3_PNSI_ISN_E10value_typeET4_jRbjT5_ST_jjP12ihipStream_tbEUlT_E1_NS1_11comp_targetILNS1_3genE9ELNS1_11target_archE1100ELNS1_3gpuE3ELNS1_3repE0EEENS1_59segmented_radix_sort_warp_sort_small_config_static_selectorELNS0_4arch9wavefront6targetE0EEEvSH_
	.p2align	8
	.type	_ZN7rocprim17ROCPRIM_400000_NS6detail17trampoline_kernelINS0_14default_configENS1_36segmented_radix_sort_config_selectorIllEEZNS1_25segmented_radix_sort_implIS3_Lb0EPKlPlS8_S9_N2at6native12_GLOBAL__N_18offset_tEEE10hipError_tPvRmT1_PNSt15iterator_traitsISH_E10value_typeET2_T3_PNSI_ISN_E10value_typeET4_jRbjT5_ST_jjP12ihipStream_tbEUlT_E1_NS1_11comp_targetILNS1_3genE9ELNS1_11target_archE1100ELNS1_3gpuE3ELNS1_3repE0EEENS1_59segmented_radix_sort_warp_sort_small_config_static_selectorELNS0_4arch9wavefront6targetE0EEEvSH_,@function
_ZN7rocprim17ROCPRIM_400000_NS6detail17trampoline_kernelINS0_14default_configENS1_36segmented_radix_sort_config_selectorIllEEZNS1_25segmented_radix_sort_implIS3_Lb0EPKlPlS8_S9_N2at6native12_GLOBAL__N_18offset_tEEE10hipError_tPvRmT1_PNSt15iterator_traitsISH_E10value_typeET2_T3_PNSI_ISN_E10value_typeET4_jRbjT5_ST_jjP12ihipStream_tbEUlT_E1_NS1_11comp_targetILNS1_3genE9ELNS1_11target_archE1100ELNS1_3gpuE3ELNS1_3repE0EEENS1_59segmented_radix_sort_warp_sort_small_config_static_selectorELNS0_4arch9wavefront6targetE0EEEvSH_: ; @_ZN7rocprim17ROCPRIM_400000_NS6detail17trampoline_kernelINS0_14default_configENS1_36segmented_radix_sort_config_selectorIllEEZNS1_25segmented_radix_sort_implIS3_Lb0EPKlPlS8_S9_N2at6native12_GLOBAL__N_18offset_tEEE10hipError_tPvRmT1_PNSt15iterator_traitsISH_E10value_typeET2_T3_PNSI_ISN_E10value_typeET4_jRbjT5_ST_jjP12ihipStream_tbEUlT_E1_NS1_11comp_targetILNS1_3genE9ELNS1_11target_archE1100ELNS1_3gpuE3ELNS1_3repE0EEENS1_59segmented_radix_sort_warp_sort_small_config_static_selectorELNS0_4arch9wavefront6targetE0EEEvSH_
; %bb.0:
	.section	.rodata,"a",@progbits
	.p2align	6, 0x0
	.amdhsa_kernel _ZN7rocprim17ROCPRIM_400000_NS6detail17trampoline_kernelINS0_14default_configENS1_36segmented_radix_sort_config_selectorIllEEZNS1_25segmented_radix_sort_implIS3_Lb0EPKlPlS8_S9_N2at6native12_GLOBAL__N_18offset_tEEE10hipError_tPvRmT1_PNSt15iterator_traitsISH_E10value_typeET2_T3_PNSI_ISN_E10value_typeET4_jRbjT5_ST_jjP12ihipStream_tbEUlT_E1_NS1_11comp_targetILNS1_3genE9ELNS1_11target_archE1100ELNS1_3gpuE3ELNS1_3repE0EEENS1_59segmented_radix_sort_warp_sort_small_config_static_selectorELNS0_4arch9wavefront6targetE0EEEvSH_
		.amdhsa_group_segment_fixed_size 0
		.amdhsa_private_segment_fixed_size 0
		.amdhsa_kernarg_size 88
		.amdhsa_user_sgpr_count 2
		.amdhsa_user_sgpr_dispatch_ptr 0
		.amdhsa_user_sgpr_queue_ptr 0
		.amdhsa_user_sgpr_kernarg_segment_ptr 1
		.amdhsa_user_sgpr_dispatch_id 0
		.amdhsa_user_sgpr_kernarg_preload_length 0
		.amdhsa_user_sgpr_kernarg_preload_offset 0
		.amdhsa_user_sgpr_private_segment_size 0
		.amdhsa_wavefront_size32 1
		.amdhsa_uses_dynamic_stack 0
		.amdhsa_enable_private_segment 0
		.amdhsa_system_sgpr_workgroup_id_x 1
		.amdhsa_system_sgpr_workgroup_id_y 0
		.amdhsa_system_sgpr_workgroup_id_z 0
		.amdhsa_system_sgpr_workgroup_info 0
		.amdhsa_system_vgpr_workitem_id 0
		.amdhsa_next_free_vgpr 1
		.amdhsa_next_free_sgpr 1
		.amdhsa_named_barrier_count 0
		.amdhsa_reserve_vcc 0
		.amdhsa_float_round_mode_32 0
		.amdhsa_float_round_mode_16_64 0
		.amdhsa_float_denorm_mode_32 3
		.amdhsa_float_denorm_mode_16_64 3
		.amdhsa_fp16_overflow 0
		.amdhsa_memory_ordered 1
		.amdhsa_forward_progress 1
		.amdhsa_inst_pref_size 0
		.amdhsa_round_robin_scheduling 0
		.amdhsa_exception_fp_ieee_invalid_op 0
		.amdhsa_exception_fp_denorm_src 0
		.amdhsa_exception_fp_ieee_div_zero 0
		.amdhsa_exception_fp_ieee_overflow 0
		.amdhsa_exception_fp_ieee_underflow 0
		.amdhsa_exception_fp_ieee_inexact 0
		.amdhsa_exception_int_div_zero 0
	.end_amdhsa_kernel
	.section	.text._ZN7rocprim17ROCPRIM_400000_NS6detail17trampoline_kernelINS0_14default_configENS1_36segmented_radix_sort_config_selectorIllEEZNS1_25segmented_radix_sort_implIS3_Lb0EPKlPlS8_S9_N2at6native12_GLOBAL__N_18offset_tEEE10hipError_tPvRmT1_PNSt15iterator_traitsISH_E10value_typeET2_T3_PNSI_ISN_E10value_typeET4_jRbjT5_ST_jjP12ihipStream_tbEUlT_E1_NS1_11comp_targetILNS1_3genE9ELNS1_11target_archE1100ELNS1_3gpuE3ELNS1_3repE0EEENS1_59segmented_radix_sort_warp_sort_small_config_static_selectorELNS0_4arch9wavefront6targetE0EEEvSH_,"axG",@progbits,_ZN7rocprim17ROCPRIM_400000_NS6detail17trampoline_kernelINS0_14default_configENS1_36segmented_radix_sort_config_selectorIllEEZNS1_25segmented_radix_sort_implIS3_Lb0EPKlPlS8_S9_N2at6native12_GLOBAL__N_18offset_tEEE10hipError_tPvRmT1_PNSt15iterator_traitsISH_E10value_typeET2_T3_PNSI_ISN_E10value_typeET4_jRbjT5_ST_jjP12ihipStream_tbEUlT_E1_NS1_11comp_targetILNS1_3genE9ELNS1_11target_archE1100ELNS1_3gpuE3ELNS1_3repE0EEENS1_59segmented_radix_sort_warp_sort_small_config_static_selectorELNS0_4arch9wavefront6targetE0EEEvSH_,comdat
.Lfunc_end831:
	.size	_ZN7rocprim17ROCPRIM_400000_NS6detail17trampoline_kernelINS0_14default_configENS1_36segmented_radix_sort_config_selectorIllEEZNS1_25segmented_radix_sort_implIS3_Lb0EPKlPlS8_S9_N2at6native12_GLOBAL__N_18offset_tEEE10hipError_tPvRmT1_PNSt15iterator_traitsISH_E10value_typeET2_T3_PNSI_ISN_E10value_typeET4_jRbjT5_ST_jjP12ihipStream_tbEUlT_E1_NS1_11comp_targetILNS1_3genE9ELNS1_11target_archE1100ELNS1_3gpuE3ELNS1_3repE0EEENS1_59segmented_radix_sort_warp_sort_small_config_static_selectorELNS0_4arch9wavefront6targetE0EEEvSH_, .Lfunc_end831-_ZN7rocprim17ROCPRIM_400000_NS6detail17trampoline_kernelINS0_14default_configENS1_36segmented_radix_sort_config_selectorIllEEZNS1_25segmented_radix_sort_implIS3_Lb0EPKlPlS8_S9_N2at6native12_GLOBAL__N_18offset_tEEE10hipError_tPvRmT1_PNSt15iterator_traitsISH_E10value_typeET2_T3_PNSI_ISN_E10value_typeET4_jRbjT5_ST_jjP12ihipStream_tbEUlT_E1_NS1_11comp_targetILNS1_3genE9ELNS1_11target_archE1100ELNS1_3gpuE3ELNS1_3repE0EEENS1_59segmented_radix_sort_warp_sort_small_config_static_selectorELNS0_4arch9wavefront6targetE0EEEvSH_
                                        ; -- End function
	.set _ZN7rocprim17ROCPRIM_400000_NS6detail17trampoline_kernelINS0_14default_configENS1_36segmented_radix_sort_config_selectorIllEEZNS1_25segmented_radix_sort_implIS3_Lb0EPKlPlS8_S9_N2at6native12_GLOBAL__N_18offset_tEEE10hipError_tPvRmT1_PNSt15iterator_traitsISH_E10value_typeET2_T3_PNSI_ISN_E10value_typeET4_jRbjT5_ST_jjP12ihipStream_tbEUlT_E1_NS1_11comp_targetILNS1_3genE9ELNS1_11target_archE1100ELNS1_3gpuE3ELNS1_3repE0EEENS1_59segmented_radix_sort_warp_sort_small_config_static_selectorELNS0_4arch9wavefront6targetE0EEEvSH_.num_vgpr, 0
	.set _ZN7rocprim17ROCPRIM_400000_NS6detail17trampoline_kernelINS0_14default_configENS1_36segmented_radix_sort_config_selectorIllEEZNS1_25segmented_radix_sort_implIS3_Lb0EPKlPlS8_S9_N2at6native12_GLOBAL__N_18offset_tEEE10hipError_tPvRmT1_PNSt15iterator_traitsISH_E10value_typeET2_T3_PNSI_ISN_E10value_typeET4_jRbjT5_ST_jjP12ihipStream_tbEUlT_E1_NS1_11comp_targetILNS1_3genE9ELNS1_11target_archE1100ELNS1_3gpuE3ELNS1_3repE0EEENS1_59segmented_radix_sort_warp_sort_small_config_static_selectorELNS0_4arch9wavefront6targetE0EEEvSH_.num_agpr, 0
	.set _ZN7rocprim17ROCPRIM_400000_NS6detail17trampoline_kernelINS0_14default_configENS1_36segmented_radix_sort_config_selectorIllEEZNS1_25segmented_radix_sort_implIS3_Lb0EPKlPlS8_S9_N2at6native12_GLOBAL__N_18offset_tEEE10hipError_tPvRmT1_PNSt15iterator_traitsISH_E10value_typeET2_T3_PNSI_ISN_E10value_typeET4_jRbjT5_ST_jjP12ihipStream_tbEUlT_E1_NS1_11comp_targetILNS1_3genE9ELNS1_11target_archE1100ELNS1_3gpuE3ELNS1_3repE0EEENS1_59segmented_radix_sort_warp_sort_small_config_static_selectorELNS0_4arch9wavefront6targetE0EEEvSH_.numbered_sgpr, 0
	.set _ZN7rocprim17ROCPRIM_400000_NS6detail17trampoline_kernelINS0_14default_configENS1_36segmented_radix_sort_config_selectorIllEEZNS1_25segmented_radix_sort_implIS3_Lb0EPKlPlS8_S9_N2at6native12_GLOBAL__N_18offset_tEEE10hipError_tPvRmT1_PNSt15iterator_traitsISH_E10value_typeET2_T3_PNSI_ISN_E10value_typeET4_jRbjT5_ST_jjP12ihipStream_tbEUlT_E1_NS1_11comp_targetILNS1_3genE9ELNS1_11target_archE1100ELNS1_3gpuE3ELNS1_3repE0EEENS1_59segmented_radix_sort_warp_sort_small_config_static_selectorELNS0_4arch9wavefront6targetE0EEEvSH_.num_named_barrier, 0
	.set _ZN7rocprim17ROCPRIM_400000_NS6detail17trampoline_kernelINS0_14default_configENS1_36segmented_radix_sort_config_selectorIllEEZNS1_25segmented_radix_sort_implIS3_Lb0EPKlPlS8_S9_N2at6native12_GLOBAL__N_18offset_tEEE10hipError_tPvRmT1_PNSt15iterator_traitsISH_E10value_typeET2_T3_PNSI_ISN_E10value_typeET4_jRbjT5_ST_jjP12ihipStream_tbEUlT_E1_NS1_11comp_targetILNS1_3genE9ELNS1_11target_archE1100ELNS1_3gpuE3ELNS1_3repE0EEENS1_59segmented_radix_sort_warp_sort_small_config_static_selectorELNS0_4arch9wavefront6targetE0EEEvSH_.private_seg_size, 0
	.set _ZN7rocprim17ROCPRIM_400000_NS6detail17trampoline_kernelINS0_14default_configENS1_36segmented_radix_sort_config_selectorIllEEZNS1_25segmented_radix_sort_implIS3_Lb0EPKlPlS8_S9_N2at6native12_GLOBAL__N_18offset_tEEE10hipError_tPvRmT1_PNSt15iterator_traitsISH_E10value_typeET2_T3_PNSI_ISN_E10value_typeET4_jRbjT5_ST_jjP12ihipStream_tbEUlT_E1_NS1_11comp_targetILNS1_3genE9ELNS1_11target_archE1100ELNS1_3gpuE3ELNS1_3repE0EEENS1_59segmented_radix_sort_warp_sort_small_config_static_selectorELNS0_4arch9wavefront6targetE0EEEvSH_.uses_vcc, 0
	.set _ZN7rocprim17ROCPRIM_400000_NS6detail17trampoline_kernelINS0_14default_configENS1_36segmented_radix_sort_config_selectorIllEEZNS1_25segmented_radix_sort_implIS3_Lb0EPKlPlS8_S9_N2at6native12_GLOBAL__N_18offset_tEEE10hipError_tPvRmT1_PNSt15iterator_traitsISH_E10value_typeET2_T3_PNSI_ISN_E10value_typeET4_jRbjT5_ST_jjP12ihipStream_tbEUlT_E1_NS1_11comp_targetILNS1_3genE9ELNS1_11target_archE1100ELNS1_3gpuE3ELNS1_3repE0EEENS1_59segmented_radix_sort_warp_sort_small_config_static_selectorELNS0_4arch9wavefront6targetE0EEEvSH_.uses_flat_scratch, 0
	.set _ZN7rocprim17ROCPRIM_400000_NS6detail17trampoline_kernelINS0_14default_configENS1_36segmented_radix_sort_config_selectorIllEEZNS1_25segmented_radix_sort_implIS3_Lb0EPKlPlS8_S9_N2at6native12_GLOBAL__N_18offset_tEEE10hipError_tPvRmT1_PNSt15iterator_traitsISH_E10value_typeET2_T3_PNSI_ISN_E10value_typeET4_jRbjT5_ST_jjP12ihipStream_tbEUlT_E1_NS1_11comp_targetILNS1_3genE9ELNS1_11target_archE1100ELNS1_3gpuE3ELNS1_3repE0EEENS1_59segmented_radix_sort_warp_sort_small_config_static_selectorELNS0_4arch9wavefront6targetE0EEEvSH_.has_dyn_sized_stack, 0
	.set _ZN7rocprim17ROCPRIM_400000_NS6detail17trampoline_kernelINS0_14default_configENS1_36segmented_radix_sort_config_selectorIllEEZNS1_25segmented_radix_sort_implIS3_Lb0EPKlPlS8_S9_N2at6native12_GLOBAL__N_18offset_tEEE10hipError_tPvRmT1_PNSt15iterator_traitsISH_E10value_typeET2_T3_PNSI_ISN_E10value_typeET4_jRbjT5_ST_jjP12ihipStream_tbEUlT_E1_NS1_11comp_targetILNS1_3genE9ELNS1_11target_archE1100ELNS1_3gpuE3ELNS1_3repE0EEENS1_59segmented_radix_sort_warp_sort_small_config_static_selectorELNS0_4arch9wavefront6targetE0EEEvSH_.has_recursion, 0
	.set _ZN7rocprim17ROCPRIM_400000_NS6detail17trampoline_kernelINS0_14default_configENS1_36segmented_radix_sort_config_selectorIllEEZNS1_25segmented_radix_sort_implIS3_Lb0EPKlPlS8_S9_N2at6native12_GLOBAL__N_18offset_tEEE10hipError_tPvRmT1_PNSt15iterator_traitsISH_E10value_typeET2_T3_PNSI_ISN_E10value_typeET4_jRbjT5_ST_jjP12ihipStream_tbEUlT_E1_NS1_11comp_targetILNS1_3genE9ELNS1_11target_archE1100ELNS1_3gpuE3ELNS1_3repE0EEENS1_59segmented_radix_sort_warp_sort_small_config_static_selectorELNS0_4arch9wavefront6targetE0EEEvSH_.has_indirect_call, 0
	.section	.AMDGPU.csdata,"",@progbits
; Kernel info:
; codeLenInByte = 0
; TotalNumSgprs: 0
; NumVgprs: 0
; ScratchSize: 0
; MemoryBound: 0
; FloatMode: 240
; IeeeMode: 1
; LDSByteSize: 0 bytes/workgroup (compile time only)
; SGPRBlocks: 0
; VGPRBlocks: 0
; NumSGPRsForWavesPerEU: 1
; NumVGPRsForWavesPerEU: 1
; NamedBarCnt: 0
; Occupancy: 16
; WaveLimiterHint : 0
; COMPUTE_PGM_RSRC2:SCRATCH_EN: 0
; COMPUTE_PGM_RSRC2:USER_SGPR: 2
; COMPUTE_PGM_RSRC2:TRAP_HANDLER: 0
; COMPUTE_PGM_RSRC2:TGID_X_EN: 1
; COMPUTE_PGM_RSRC2:TGID_Y_EN: 0
; COMPUTE_PGM_RSRC2:TGID_Z_EN: 0
; COMPUTE_PGM_RSRC2:TIDIG_COMP_CNT: 0
	.section	.text._ZN7rocprim17ROCPRIM_400000_NS6detail17trampoline_kernelINS0_14default_configENS1_36segmented_radix_sort_config_selectorIllEEZNS1_25segmented_radix_sort_implIS3_Lb0EPKlPlS8_S9_N2at6native12_GLOBAL__N_18offset_tEEE10hipError_tPvRmT1_PNSt15iterator_traitsISH_E10value_typeET2_T3_PNSI_ISN_E10value_typeET4_jRbjT5_ST_jjP12ihipStream_tbEUlT_E1_NS1_11comp_targetILNS1_3genE8ELNS1_11target_archE1030ELNS1_3gpuE2ELNS1_3repE0EEENS1_59segmented_radix_sort_warp_sort_small_config_static_selectorELNS0_4arch9wavefront6targetE0EEEvSH_,"axG",@progbits,_ZN7rocprim17ROCPRIM_400000_NS6detail17trampoline_kernelINS0_14default_configENS1_36segmented_radix_sort_config_selectorIllEEZNS1_25segmented_radix_sort_implIS3_Lb0EPKlPlS8_S9_N2at6native12_GLOBAL__N_18offset_tEEE10hipError_tPvRmT1_PNSt15iterator_traitsISH_E10value_typeET2_T3_PNSI_ISN_E10value_typeET4_jRbjT5_ST_jjP12ihipStream_tbEUlT_E1_NS1_11comp_targetILNS1_3genE8ELNS1_11target_archE1030ELNS1_3gpuE2ELNS1_3repE0EEENS1_59segmented_radix_sort_warp_sort_small_config_static_selectorELNS0_4arch9wavefront6targetE0EEEvSH_,comdat
	.globl	_ZN7rocprim17ROCPRIM_400000_NS6detail17trampoline_kernelINS0_14default_configENS1_36segmented_radix_sort_config_selectorIllEEZNS1_25segmented_radix_sort_implIS3_Lb0EPKlPlS8_S9_N2at6native12_GLOBAL__N_18offset_tEEE10hipError_tPvRmT1_PNSt15iterator_traitsISH_E10value_typeET2_T3_PNSI_ISN_E10value_typeET4_jRbjT5_ST_jjP12ihipStream_tbEUlT_E1_NS1_11comp_targetILNS1_3genE8ELNS1_11target_archE1030ELNS1_3gpuE2ELNS1_3repE0EEENS1_59segmented_radix_sort_warp_sort_small_config_static_selectorELNS0_4arch9wavefront6targetE0EEEvSH_ ; -- Begin function _ZN7rocprim17ROCPRIM_400000_NS6detail17trampoline_kernelINS0_14default_configENS1_36segmented_radix_sort_config_selectorIllEEZNS1_25segmented_radix_sort_implIS3_Lb0EPKlPlS8_S9_N2at6native12_GLOBAL__N_18offset_tEEE10hipError_tPvRmT1_PNSt15iterator_traitsISH_E10value_typeET2_T3_PNSI_ISN_E10value_typeET4_jRbjT5_ST_jjP12ihipStream_tbEUlT_E1_NS1_11comp_targetILNS1_3genE8ELNS1_11target_archE1030ELNS1_3gpuE2ELNS1_3repE0EEENS1_59segmented_radix_sort_warp_sort_small_config_static_selectorELNS0_4arch9wavefront6targetE0EEEvSH_
	.p2align	8
	.type	_ZN7rocprim17ROCPRIM_400000_NS6detail17trampoline_kernelINS0_14default_configENS1_36segmented_radix_sort_config_selectorIllEEZNS1_25segmented_radix_sort_implIS3_Lb0EPKlPlS8_S9_N2at6native12_GLOBAL__N_18offset_tEEE10hipError_tPvRmT1_PNSt15iterator_traitsISH_E10value_typeET2_T3_PNSI_ISN_E10value_typeET4_jRbjT5_ST_jjP12ihipStream_tbEUlT_E1_NS1_11comp_targetILNS1_3genE8ELNS1_11target_archE1030ELNS1_3gpuE2ELNS1_3repE0EEENS1_59segmented_radix_sort_warp_sort_small_config_static_selectorELNS0_4arch9wavefront6targetE0EEEvSH_,@function
_ZN7rocprim17ROCPRIM_400000_NS6detail17trampoline_kernelINS0_14default_configENS1_36segmented_radix_sort_config_selectorIllEEZNS1_25segmented_radix_sort_implIS3_Lb0EPKlPlS8_S9_N2at6native12_GLOBAL__N_18offset_tEEE10hipError_tPvRmT1_PNSt15iterator_traitsISH_E10value_typeET2_T3_PNSI_ISN_E10value_typeET4_jRbjT5_ST_jjP12ihipStream_tbEUlT_E1_NS1_11comp_targetILNS1_3genE8ELNS1_11target_archE1030ELNS1_3gpuE2ELNS1_3repE0EEENS1_59segmented_radix_sort_warp_sort_small_config_static_selectorELNS0_4arch9wavefront6targetE0EEEvSH_: ; @_ZN7rocprim17ROCPRIM_400000_NS6detail17trampoline_kernelINS0_14default_configENS1_36segmented_radix_sort_config_selectorIllEEZNS1_25segmented_radix_sort_implIS3_Lb0EPKlPlS8_S9_N2at6native12_GLOBAL__N_18offset_tEEE10hipError_tPvRmT1_PNSt15iterator_traitsISH_E10value_typeET2_T3_PNSI_ISN_E10value_typeET4_jRbjT5_ST_jjP12ihipStream_tbEUlT_E1_NS1_11comp_targetILNS1_3genE8ELNS1_11target_archE1030ELNS1_3gpuE2ELNS1_3repE0EEENS1_59segmented_radix_sort_warp_sort_small_config_static_selectorELNS0_4arch9wavefront6targetE0EEEvSH_
; %bb.0:
	.section	.rodata,"a",@progbits
	.p2align	6, 0x0
	.amdhsa_kernel _ZN7rocprim17ROCPRIM_400000_NS6detail17trampoline_kernelINS0_14default_configENS1_36segmented_radix_sort_config_selectorIllEEZNS1_25segmented_radix_sort_implIS3_Lb0EPKlPlS8_S9_N2at6native12_GLOBAL__N_18offset_tEEE10hipError_tPvRmT1_PNSt15iterator_traitsISH_E10value_typeET2_T3_PNSI_ISN_E10value_typeET4_jRbjT5_ST_jjP12ihipStream_tbEUlT_E1_NS1_11comp_targetILNS1_3genE8ELNS1_11target_archE1030ELNS1_3gpuE2ELNS1_3repE0EEENS1_59segmented_radix_sort_warp_sort_small_config_static_selectorELNS0_4arch9wavefront6targetE0EEEvSH_
		.amdhsa_group_segment_fixed_size 0
		.amdhsa_private_segment_fixed_size 0
		.amdhsa_kernarg_size 88
		.amdhsa_user_sgpr_count 2
		.amdhsa_user_sgpr_dispatch_ptr 0
		.amdhsa_user_sgpr_queue_ptr 0
		.amdhsa_user_sgpr_kernarg_segment_ptr 1
		.amdhsa_user_sgpr_dispatch_id 0
		.amdhsa_user_sgpr_kernarg_preload_length 0
		.amdhsa_user_sgpr_kernarg_preload_offset 0
		.amdhsa_user_sgpr_private_segment_size 0
		.amdhsa_wavefront_size32 1
		.amdhsa_uses_dynamic_stack 0
		.amdhsa_enable_private_segment 0
		.amdhsa_system_sgpr_workgroup_id_x 1
		.amdhsa_system_sgpr_workgroup_id_y 0
		.amdhsa_system_sgpr_workgroup_id_z 0
		.amdhsa_system_sgpr_workgroup_info 0
		.amdhsa_system_vgpr_workitem_id 0
		.amdhsa_next_free_vgpr 1
		.amdhsa_next_free_sgpr 1
		.amdhsa_named_barrier_count 0
		.amdhsa_reserve_vcc 0
		.amdhsa_float_round_mode_32 0
		.amdhsa_float_round_mode_16_64 0
		.amdhsa_float_denorm_mode_32 3
		.amdhsa_float_denorm_mode_16_64 3
		.amdhsa_fp16_overflow 0
		.amdhsa_memory_ordered 1
		.amdhsa_forward_progress 1
		.amdhsa_inst_pref_size 0
		.amdhsa_round_robin_scheduling 0
		.amdhsa_exception_fp_ieee_invalid_op 0
		.amdhsa_exception_fp_denorm_src 0
		.amdhsa_exception_fp_ieee_div_zero 0
		.amdhsa_exception_fp_ieee_overflow 0
		.amdhsa_exception_fp_ieee_underflow 0
		.amdhsa_exception_fp_ieee_inexact 0
		.amdhsa_exception_int_div_zero 0
	.end_amdhsa_kernel
	.section	.text._ZN7rocprim17ROCPRIM_400000_NS6detail17trampoline_kernelINS0_14default_configENS1_36segmented_radix_sort_config_selectorIllEEZNS1_25segmented_radix_sort_implIS3_Lb0EPKlPlS8_S9_N2at6native12_GLOBAL__N_18offset_tEEE10hipError_tPvRmT1_PNSt15iterator_traitsISH_E10value_typeET2_T3_PNSI_ISN_E10value_typeET4_jRbjT5_ST_jjP12ihipStream_tbEUlT_E1_NS1_11comp_targetILNS1_3genE8ELNS1_11target_archE1030ELNS1_3gpuE2ELNS1_3repE0EEENS1_59segmented_radix_sort_warp_sort_small_config_static_selectorELNS0_4arch9wavefront6targetE0EEEvSH_,"axG",@progbits,_ZN7rocprim17ROCPRIM_400000_NS6detail17trampoline_kernelINS0_14default_configENS1_36segmented_radix_sort_config_selectorIllEEZNS1_25segmented_radix_sort_implIS3_Lb0EPKlPlS8_S9_N2at6native12_GLOBAL__N_18offset_tEEE10hipError_tPvRmT1_PNSt15iterator_traitsISH_E10value_typeET2_T3_PNSI_ISN_E10value_typeET4_jRbjT5_ST_jjP12ihipStream_tbEUlT_E1_NS1_11comp_targetILNS1_3genE8ELNS1_11target_archE1030ELNS1_3gpuE2ELNS1_3repE0EEENS1_59segmented_radix_sort_warp_sort_small_config_static_selectorELNS0_4arch9wavefront6targetE0EEEvSH_,comdat
.Lfunc_end832:
	.size	_ZN7rocprim17ROCPRIM_400000_NS6detail17trampoline_kernelINS0_14default_configENS1_36segmented_radix_sort_config_selectorIllEEZNS1_25segmented_radix_sort_implIS3_Lb0EPKlPlS8_S9_N2at6native12_GLOBAL__N_18offset_tEEE10hipError_tPvRmT1_PNSt15iterator_traitsISH_E10value_typeET2_T3_PNSI_ISN_E10value_typeET4_jRbjT5_ST_jjP12ihipStream_tbEUlT_E1_NS1_11comp_targetILNS1_3genE8ELNS1_11target_archE1030ELNS1_3gpuE2ELNS1_3repE0EEENS1_59segmented_radix_sort_warp_sort_small_config_static_selectorELNS0_4arch9wavefront6targetE0EEEvSH_, .Lfunc_end832-_ZN7rocprim17ROCPRIM_400000_NS6detail17trampoline_kernelINS0_14default_configENS1_36segmented_radix_sort_config_selectorIllEEZNS1_25segmented_radix_sort_implIS3_Lb0EPKlPlS8_S9_N2at6native12_GLOBAL__N_18offset_tEEE10hipError_tPvRmT1_PNSt15iterator_traitsISH_E10value_typeET2_T3_PNSI_ISN_E10value_typeET4_jRbjT5_ST_jjP12ihipStream_tbEUlT_E1_NS1_11comp_targetILNS1_3genE8ELNS1_11target_archE1030ELNS1_3gpuE2ELNS1_3repE0EEENS1_59segmented_radix_sort_warp_sort_small_config_static_selectorELNS0_4arch9wavefront6targetE0EEEvSH_
                                        ; -- End function
	.set _ZN7rocprim17ROCPRIM_400000_NS6detail17trampoline_kernelINS0_14default_configENS1_36segmented_radix_sort_config_selectorIllEEZNS1_25segmented_radix_sort_implIS3_Lb0EPKlPlS8_S9_N2at6native12_GLOBAL__N_18offset_tEEE10hipError_tPvRmT1_PNSt15iterator_traitsISH_E10value_typeET2_T3_PNSI_ISN_E10value_typeET4_jRbjT5_ST_jjP12ihipStream_tbEUlT_E1_NS1_11comp_targetILNS1_3genE8ELNS1_11target_archE1030ELNS1_3gpuE2ELNS1_3repE0EEENS1_59segmented_radix_sort_warp_sort_small_config_static_selectorELNS0_4arch9wavefront6targetE0EEEvSH_.num_vgpr, 0
	.set _ZN7rocprim17ROCPRIM_400000_NS6detail17trampoline_kernelINS0_14default_configENS1_36segmented_radix_sort_config_selectorIllEEZNS1_25segmented_radix_sort_implIS3_Lb0EPKlPlS8_S9_N2at6native12_GLOBAL__N_18offset_tEEE10hipError_tPvRmT1_PNSt15iterator_traitsISH_E10value_typeET2_T3_PNSI_ISN_E10value_typeET4_jRbjT5_ST_jjP12ihipStream_tbEUlT_E1_NS1_11comp_targetILNS1_3genE8ELNS1_11target_archE1030ELNS1_3gpuE2ELNS1_3repE0EEENS1_59segmented_radix_sort_warp_sort_small_config_static_selectorELNS0_4arch9wavefront6targetE0EEEvSH_.num_agpr, 0
	.set _ZN7rocprim17ROCPRIM_400000_NS6detail17trampoline_kernelINS0_14default_configENS1_36segmented_radix_sort_config_selectorIllEEZNS1_25segmented_radix_sort_implIS3_Lb0EPKlPlS8_S9_N2at6native12_GLOBAL__N_18offset_tEEE10hipError_tPvRmT1_PNSt15iterator_traitsISH_E10value_typeET2_T3_PNSI_ISN_E10value_typeET4_jRbjT5_ST_jjP12ihipStream_tbEUlT_E1_NS1_11comp_targetILNS1_3genE8ELNS1_11target_archE1030ELNS1_3gpuE2ELNS1_3repE0EEENS1_59segmented_radix_sort_warp_sort_small_config_static_selectorELNS0_4arch9wavefront6targetE0EEEvSH_.numbered_sgpr, 0
	.set _ZN7rocprim17ROCPRIM_400000_NS6detail17trampoline_kernelINS0_14default_configENS1_36segmented_radix_sort_config_selectorIllEEZNS1_25segmented_radix_sort_implIS3_Lb0EPKlPlS8_S9_N2at6native12_GLOBAL__N_18offset_tEEE10hipError_tPvRmT1_PNSt15iterator_traitsISH_E10value_typeET2_T3_PNSI_ISN_E10value_typeET4_jRbjT5_ST_jjP12ihipStream_tbEUlT_E1_NS1_11comp_targetILNS1_3genE8ELNS1_11target_archE1030ELNS1_3gpuE2ELNS1_3repE0EEENS1_59segmented_radix_sort_warp_sort_small_config_static_selectorELNS0_4arch9wavefront6targetE0EEEvSH_.num_named_barrier, 0
	.set _ZN7rocprim17ROCPRIM_400000_NS6detail17trampoline_kernelINS0_14default_configENS1_36segmented_radix_sort_config_selectorIllEEZNS1_25segmented_radix_sort_implIS3_Lb0EPKlPlS8_S9_N2at6native12_GLOBAL__N_18offset_tEEE10hipError_tPvRmT1_PNSt15iterator_traitsISH_E10value_typeET2_T3_PNSI_ISN_E10value_typeET4_jRbjT5_ST_jjP12ihipStream_tbEUlT_E1_NS1_11comp_targetILNS1_3genE8ELNS1_11target_archE1030ELNS1_3gpuE2ELNS1_3repE0EEENS1_59segmented_radix_sort_warp_sort_small_config_static_selectorELNS0_4arch9wavefront6targetE0EEEvSH_.private_seg_size, 0
	.set _ZN7rocprim17ROCPRIM_400000_NS6detail17trampoline_kernelINS0_14default_configENS1_36segmented_radix_sort_config_selectorIllEEZNS1_25segmented_radix_sort_implIS3_Lb0EPKlPlS8_S9_N2at6native12_GLOBAL__N_18offset_tEEE10hipError_tPvRmT1_PNSt15iterator_traitsISH_E10value_typeET2_T3_PNSI_ISN_E10value_typeET4_jRbjT5_ST_jjP12ihipStream_tbEUlT_E1_NS1_11comp_targetILNS1_3genE8ELNS1_11target_archE1030ELNS1_3gpuE2ELNS1_3repE0EEENS1_59segmented_radix_sort_warp_sort_small_config_static_selectorELNS0_4arch9wavefront6targetE0EEEvSH_.uses_vcc, 0
	.set _ZN7rocprim17ROCPRIM_400000_NS6detail17trampoline_kernelINS0_14default_configENS1_36segmented_radix_sort_config_selectorIllEEZNS1_25segmented_radix_sort_implIS3_Lb0EPKlPlS8_S9_N2at6native12_GLOBAL__N_18offset_tEEE10hipError_tPvRmT1_PNSt15iterator_traitsISH_E10value_typeET2_T3_PNSI_ISN_E10value_typeET4_jRbjT5_ST_jjP12ihipStream_tbEUlT_E1_NS1_11comp_targetILNS1_3genE8ELNS1_11target_archE1030ELNS1_3gpuE2ELNS1_3repE0EEENS1_59segmented_radix_sort_warp_sort_small_config_static_selectorELNS0_4arch9wavefront6targetE0EEEvSH_.uses_flat_scratch, 0
	.set _ZN7rocprim17ROCPRIM_400000_NS6detail17trampoline_kernelINS0_14default_configENS1_36segmented_radix_sort_config_selectorIllEEZNS1_25segmented_radix_sort_implIS3_Lb0EPKlPlS8_S9_N2at6native12_GLOBAL__N_18offset_tEEE10hipError_tPvRmT1_PNSt15iterator_traitsISH_E10value_typeET2_T3_PNSI_ISN_E10value_typeET4_jRbjT5_ST_jjP12ihipStream_tbEUlT_E1_NS1_11comp_targetILNS1_3genE8ELNS1_11target_archE1030ELNS1_3gpuE2ELNS1_3repE0EEENS1_59segmented_radix_sort_warp_sort_small_config_static_selectorELNS0_4arch9wavefront6targetE0EEEvSH_.has_dyn_sized_stack, 0
	.set _ZN7rocprim17ROCPRIM_400000_NS6detail17trampoline_kernelINS0_14default_configENS1_36segmented_radix_sort_config_selectorIllEEZNS1_25segmented_radix_sort_implIS3_Lb0EPKlPlS8_S9_N2at6native12_GLOBAL__N_18offset_tEEE10hipError_tPvRmT1_PNSt15iterator_traitsISH_E10value_typeET2_T3_PNSI_ISN_E10value_typeET4_jRbjT5_ST_jjP12ihipStream_tbEUlT_E1_NS1_11comp_targetILNS1_3genE8ELNS1_11target_archE1030ELNS1_3gpuE2ELNS1_3repE0EEENS1_59segmented_radix_sort_warp_sort_small_config_static_selectorELNS0_4arch9wavefront6targetE0EEEvSH_.has_recursion, 0
	.set _ZN7rocprim17ROCPRIM_400000_NS6detail17trampoline_kernelINS0_14default_configENS1_36segmented_radix_sort_config_selectorIllEEZNS1_25segmented_radix_sort_implIS3_Lb0EPKlPlS8_S9_N2at6native12_GLOBAL__N_18offset_tEEE10hipError_tPvRmT1_PNSt15iterator_traitsISH_E10value_typeET2_T3_PNSI_ISN_E10value_typeET4_jRbjT5_ST_jjP12ihipStream_tbEUlT_E1_NS1_11comp_targetILNS1_3genE8ELNS1_11target_archE1030ELNS1_3gpuE2ELNS1_3repE0EEENS1_59segmented_radix_sort_warp_sort_small_config_static_selectorELNS0_4arch9wavefront6targetE0EEEvSH_.has_indirect_call, 0
	.section	.AMDGPU.csdata,"",@progbits
; Kernel info:
; codeLenInByte = 0
; TotalNumSgprs: 0
; NumVgprs: 0
; ScratchSize: 0
; MemoryBound: 0
; FloatMode: 240
; IeeeMode: 1
; LDSByteSize: 0 bytes/workgroup (compile time only)
; SGPRBlocks: 0
; VGPRBlocks: 0
; NumSGPRsForWavesPerEU: 1
; NumVGPRsForWavesPerEU: 1
; NamedBarCnt: 0
; Occupancy: 16
; WaveLimiterHint : 0
; COMPUTE_PGM_RSRC2:SCRATCH_EN: 0
; COMPUTE_PGM_RSRC2:USER_SGPR: 2
; COMPUTE_PGM_RSRC2:TRAP_HANDLER: 0
; COMPUTE_PGM_RSRC2:TGID_X_EN: 1
; COMPUTE_PGM_RSRC2:TGID_Y_EN: 0
; COMPUTE_PGM_RSRC2:TGID_Z_EN: 0
; COMPUTE_PGM_RSRC2:TIDIG_COMP_CNT: 0
	.section	.text._ZN7rocprim17ROCPRIM_400000_NS6detail17trampoline_kernelINS0_14default_configENS1_36segmented_radix_sort_config_selectorIllEEZNS1_25segmented_radix_sort_implIS3_Lb0EPKlPlS8_S9_N2at6native12_GLOBAL__N_18offset_tEEE10hipError_tPvRmT1_PNSt15iterator_traitsISH_E10value_typeET2_T3_PNSI_ISN_E10value_typeET4_jRbjT5_ST_jjP12ihipStream_tbEUlT_E2_NS1_11comp_targetILNS1_3genE0ELNS1_11target_archE4294967295ELNS1_3gpuE0ELNS1_3repE0EEENS1_30default_config_static_selectorELNS0_4arch9wavefront6targetE0EEEvSH_,"axG",@progbits,_ZN7rocprim17ROCPRIM_400000_NS6detail17trampoline_kernelINS0_14default_configENS1_36segmented_radix_sort_config_selectorIllEEZNS1_25segmented_radix_sort_implIS3_Lb0EPKlPlS8_S9_N2at6native12_GLOBAL__N_18offset_tEEE10hipError_tPvRmT1_PNSt15iterator_traitsISH_E10value_typeET2_T3_PNSI_ISN_E10value_typeET4_jRbjT5_ST_jjP12ihipStream_tbEUlT_E2_NS1_11comp_targetILNS1_3genE0ELNS1_11target_archE4294967295ELNS1_3gpuE0ELNS1_3repE0EEENS1_30default_config_static_selectorELNS0_4arch9wavefront6targetE0EEEvSH_,comdat
	.globl	_ZN7rocprim17ROCPRIM_400000_NS6detail17trampoline_kernelINS0_14default_configENS1_36segmented_radix_sort_config_selectorIllEEZNS1_25segmented_radix_sort_implIS3_Lb0EPKlPlS8_S9_N2at6native12_GLOBAL__N_18offset_tEEE10hipError_tPvRmT1_PNSt15iterator_traitsISH_E10value_typeET2_T3_PNSI_ISN_E10value_typeET4_jRbjT5_ST_jjP12ihipStream_tbEUlT_E2_NS1_11comp_targetILNS1_3genE0ELNS1_11target_archE4294967295ELNS1_3gpuE0ELNS1_3repE0EEENS1_30default_config_static_selectorELNS0_4arch9wavefront6targetE0EEEvSH_ ; -- Begin function _ZN7rocprim17ROCPRIM_400000_NS6detail17trampoline_kernelINS0_14default_configENS1_36segmented_radix_sort_config_selectorIllEEZNS1_25segmented_radix_sort_implIS3_Lb0EPKlPlS8_S9_N2at6native12_GLOBAL__N_18offset_tEEE10hipError_tPvRmT1_PNSt15iterator_traitsISH_E10value_typeET2_T3_PNSI_ISN_E10value_typeET4_jRbjT5_ST_jjP12ihipStream_tbEUlT_E2_NS1_11comp_targetILNS1_3genE0ELNS1_11target_archE4294967295ELNS1_3gpuE0ELNS1_3repE0EEENS1_30default_config_static_selectorELNS0_4arch9wavefront6targetE0EEEvSH_
	.p2align	8
	.type	_ZN7rocprim17ROCPRIM_400000_NS6detail17trampoline_kernelINS0_14default_configENS1_36segmented_radix_sort_config_selectorIllEEZNS1_25segmented_radix_sort_implIS3_Lb0EPKlPlS8_S9_N2at6native12_GLOBAL__N_18offset_tEEE10hipError_tPvRmT1_PNSt15iterator_traitsISH_E10value_typeET2_T3_PNSI_ISN_E10value_typeET4_jRbjT5_ST_jjP12ihipStream_tbEUlT_E2_NS1_11comp_targetILNS1_3genE0ELNS1_11target_archE4294967295ELNS1_3gpuE0ELNS1_3repE0EEENS1_30default_config_static_selectorELNS0_4arch9wavefront6targetE0EEEvSH_,@function
_ZN7rocprim17ROCPRIM_400000_NS6detail17trampoline_kernelINS0_14default_configENS1_36segmented_radix_sort_config_selectorIllEEZNS1_25segmented_radix_sort_implIS3_Lb0EPKlPlS8_S9_N2at6native12_GLOBAL__N_18offset_tEEE10hipError_tPvRmT1_PNSt15iterator_traitsISH_E10value_typeET2_T3_PNSI_ISN_E10value_typeET4_jRbjT5_ST_jjP12ihipStream_tbEUlT_E2_NS1_11comp_targetILNS1_3genE0ELNS1_11target_archE4294967295ELNS1_3gpuE0ELNS1_3repE0EEENS1_30default_config_static_selectorELNS0_4arch9wavefront6targetE0EEEvSH_: ; @_ZN7rocprim17ROCPRIM_400000_NS6detail17trampoline_kernelINS0_14default_configENS1_36segmented_radix_sort_config_selectorIllEEZNS1_25segmented_radix_sort_implIS3_Lb0EPKlPlS8_S9_N2at6native12_GLOBAL__N_18offset_tEEE10hipError_tPvRmT1_PNSt15iterator_traitsISH_E10value_typeET2_T3_PNSI_ISN_E10value_typeET4_jRbjT5_ST_jjP12ihipStream_tbEUlT_E2_NS1_11comp_targetILNS1_3genE0ELNS1_11target_archE4294967295ELNS1_3gpuE0ELNS1_3repE0EEENS1_30default_config_static_selectorELNS0_4arch9wavefront6targetE0EEEvSH_
; %bb.0:
	s_load_b128 s[4:7], s[2:3], 0x34
	s_bfe_u32 s8, ttmp6, 0x4000c
	s_and_b32 s9, ttmp6, 15
	s_add_co_i32 s8, s8, 1
	s_getreg_b32 s25, hwreg(HW_REG_IB_STS2, 6, 4)
	s_mul_i32 s8, ttmp9, s8
	s_mov_b32 s32, 0
	s_add_co_i32 s9, s9, s8
	s_cmp_eq_u32 s25, 0
	s_cselect_b32 s33, ttmp9, s9
	s_wait_kmcnt 0x0
	s_add_co_i32 s51, s7, s33
	s_add_co_i32 s52, s5, s33
	s_mul_i32 s51, s51, s6
	s_mul_i32 s52, s52, s4
	s_delay_alu instid0(SALU_CYCLE_1)
	s_cmp_le_u32 s51, s52
	s_cbranch_scc1 .LBB833_1190
; %bb.1:
	s_clause 0x3
	s_load_b32 s4, s[2:3], 0x30
	s_load_b128 s[44:47], s[2:3], 0x20
	s_load_b96 s[48:50], s[2:3], 0x44
	s_load_b256 s[36:43], s[2:3], 0x0
	s_wait_kmcnt 0x0
	s_bitcmp1_b32 s4, 0
	s_mov_b32 s4, -1
	s_cselect_b32 s53, -1, 0
	s_sub_co_i32 s54, s51, s52
	s_delay_alu instid0(SALU_CYCLE_1)
	s_cmp_lt_u32 s54, 0x1001
	s_cbranch_scc0 .LBB833_15
; %bb.2:
	s_cmp_lt_u32 s54, 33
	s_cbranch_scc0 .LBB833_9
; %bb.3:
	s_load_b32 s4, s[2:3], 0x5c
	v_bfe_u32 v1, v0, 10, 10
	v_bfe_u32 v2, v0, 20, 10
	s_mov_b32 s15, exec_lo
	s_wait_kmcnt 0x0
	s_lshr_b32 s5, s4, 16
	s_and_b32 s4, s4, 0xffff
	v_mad_u32_u24 v1, v2, s5, v1
	v_and_b32_e32 v2, 0x3ff, v0
	s_delay_alu instid0(VALU_DEP_1) | instskip(NEXT) | instid1(VALU_DEP_1)
	v_mad_u32 v1, v1, s4, v2
	v_cmpx_gt_u32_e32 8, v1
	s_cbranch_execz .LBB833_8
; %bb.4:
	v_cndmask_b32_e64 v1, 0, 1, s53
	s_and_b32 s4, s48, 1
	s_get_pc_i64 s[16:17]
	s_add_nc_u64 s[16:17], s[16:17], _ZN7rocprim17ROCPRIM_400000_NS6detail26segmented_warp_sort_helperINS1_20WarpSortHelperConfigILj8ELj4ELj256EEEllLi256ELb0EvE4sortIPKlPlS8_S9_EEvT_T0_T1_T2_jjjjRNS5_12storage_typeE@rel64+4
	s_delay_alu instid0(VALU_DEP_1)
	v_cmp_ne_u32_e32 vcc_lo, s4, v1
	s_mov_b32 s4, -1
	s_cbranch_vccnz .LBB833_6
; %bb.5:
	s_mov_b64 s[4:5], src_shared_base
	v_dual_mov_b32 v31, v0 :: v_dual_mov_b32 v40, v0
	v_dual_mov_b32 v0, s36 :: v_dual_mov_b32 v1, s37
	;; [unrolled: 1-line block ×8, first 2 shown]
	s_add_nc_u64 s[8:9], s[2:3], 0x50
	s_mov_b64 s[6:7], s[0:1]
	s_mov_b64 s[18:19], s[2:3]
	;; [unrolled: 1-line block ×3, first 2 shown]
	s_swap_pc_i64 s[30:31], s[16:17]
	v_mov_b32_e32 v0, v40
	s_mov_b64 s[0:1], s[20:21]
	s_mov_b64 s[2:3], s[18:19]
	s_mov_b32 s4, 0
.LBB833_6:
	s_delay_alu instid0(SALU_CYCLE_1)
	s_and_not1_b32 vcc_lo, exec_lo, s4
	s_cbranch_vccnz .LBB833_8
; %bb.7:
	s_mov_b64 s[4:5], src_shared_base
	v_dual_mov_b32 v31, v0 :: v_dual_mov_b32 v40, v0
	v_dual_mov_b32 v0, s36 :: v_dual_mov_b32 v1, s37
	;; [unrolled: 1-line block ×8, first 2 shown]
	s_add_nc_u64 s[8:9], s[2:3], 0x50
	s_mov_b64 s[6:7], s[0:1]
	s_mov_b64 s[18:19], s[2:3]
	;; [unrolled: 1-line block ×3, first 2 shown]
	s_swap_pc_i64 s[30:31], s[16:17]
	v_mov_b32_e32 v0, v40
	s_mov_b64 s[0:1], s[20:21]
	s_mov_b64 s[2:3], s[18:19]
.LBB833_8:
	s_or_b32 exec_lo, exec_lo, s15
	s_mov_b32 s4, 0
.LBB833_9:
	s_delay_alu instid0(SALU_CYCLE_1)
	s_and_not1_b32 vcc_lo, exec_lo, s4
	s_cbranch_vccnz .LBB833_14
; %bb.10:
	v_cndmask_b32_e64 v1, 0, 1, s53
	s_and_b32 s4, s48, 1
	s_get_pc_i64 s[26:27]
	s_add_nc_u64 s[26:27], s[26:27], _ZN7rocprim17ROCPRIM_400000_NS6detail40segmented_radix_sort_single_block_helperIllLj256ELj16ELb0EE4sortIPKlPlS6_S7_EEbT_T0_T1_T2_jjjjRNS3_12storage_typeE@rel64+4
	s_delay_alu instid0(VALU_DEP_1)
	v_cmp_ne_u32_e32 vcc_lo, s4, v1
	s_mov_b32 s4, -1
	s_cbranch_vccnz .LBB833_12
; %bb.11:
	s_mov_b64 s[4:5], src_shared_base
	v_dual_mov_b32 v31, v0 :: v_dual_mov_b32 v40, v0
	v_dual_mov_b32 v0, s36 :: v_dual_mov_b32 v1, s37
	;; [unrolled: 1-line block ×8, first 2 shown]
	s_add_nc_u64 s[8:9], s[2:3], 0x50
	s_mov_b64 s[6:7], s[0:1]
	s_mov_b64 s[28:29], s[2:3]
	;; [unrolled: 1-line block ×3, first 2 shown]
	s_swap_pc_i64 s[30:31], s[26:27]
	v_mov_b32_e32 v0, v40
	s_mov_b64 s[0:1], s[34:35]
	s_mov_b64 s[2:3], s[28:29]
	s_mov_b32 s4, 0
.LBB833_12:
	s_delay_alu instid0(SALU_CYCLE_1)
	s_and_not1_b32 vcc_lo, exec_lo, s4
	s_cbranch_vccnz .LBB833_14
; %bb.13:
	s_mov_b64 s[4:5], src_shared_base
	v_dual_mov_b32 v31, v0 :: v_dual_mov_b32 v40, v0
	v_dual_mov_b32 v0, s36 :: v_dual_mov_b32 v1, s37
	;; [unrolled: 1-line block ×8, first 2 shown]
	s_add_nc_u64 s[8:9], s[2:3], 0x50
	s_mov_b64 s[6:7], s[0:1]
	s_mov_b64 s[28:29], s[2:3]
	s_swap_pc_i64 s[30:31], s[26:27]
	v_mov_b32_e32 v0, v40
	s_mov_b64 s[2:3], s[28:29]
.LBB833_14:
	s_mov_b32 s4, 0
.LBB833_15:
	s_delay_alu instid0(SALU_CYCLE_1)
	s_and_not1_b32 vcc_lo, exec_lo, s4
	s_cbranch_vccnz .LBB833_1190
; %bb.16:
	s_cmp_ge_u32 s49, s50
	s_cbranch_scc1 .LBB833_1190
; %bb.17:
	v_and_b32_e32 v2, 0x3ff, v0
	v_dual_mov_b32 v5, 0 :: v_dual_bitop2_b32 v1, 3, v0 bitop3:0x40
	v_lshrrev_b32_e32 v8, 3, v0
	v_mbcnt_lo_u32_b32 v124, -1, 0
	s_delay_alu instid0(VALU_DEP_4) | instskip(NEXT) | instid1(VALU_DEP_4)
	v_dual_lshlrev_b32 v3, 2, v2 :: v_dual_lshlrev_b32 v4, 3, v2
	v_dual_lshlrev_b32 v113, 2, v1 :: v_dual_bitop2_b32 v1, 31, v2 bitop3:0x54
	s_delay_alu instid0(VALU_DEP_4) | instskip(NEXT) | instid1(VALU_DEP_3)
	v_dual_lshlrev_b32 v8, 4, v2 :: v_dual_bitop2_b32 v114, 28, v8 bitop3:0x40
	v_mad_u32_u24 v115, v2, 12, v3
	v_mov_b32_e32 v21, v5
	s_delay_alu instid0(VALU_DEP_4)
	v_cmp_eq_u32_e64 s1, v2, v1
	v_lshlrev_b32_e32 v1, 5, v2
	v_and_b32_e32 v22, 0xe00, v8
	v_mad_u32_u24 v120, v2, 20, v115
	v_add_nc_u32_e32 v118, 0x83fc, v114
	s_bfe_u32 s6, ttmp6, 0x40010
	v_add_nc_u64_e32 v[6:7], s[40:41], v[4:5]
	s_delay_alu instid0(VALU_DEP_3)
	v_dual_lshlrev_b32 v20, 3, v22 :: v_dual_sub_nc_u32 v122, v120, v1
	v_or_b32_e32 v129, v124, v22
	s_add_co_i32 s6, s6, 1
	v_bfe_u32 v119, v0, 20, 10
	s_mul_i32 s6, ttmp7, s6
	s_bfe_u32 s7, ttmp6, 0x40004
	v_bfe_u32 v121, v0, 10, 10
	v_add_nc_u64_e32 v[0:1], s[46:47], v[20:21]
	v_add_nc_u64_e32 v[8:9], s[40:41], v[20:21]
	;; [unrolled: 1-line block ×8, first 2 shown]
	v_or_b32_e32 v98, 0x100, v2
	v_or_b32_e32 v99, 0x200, v2
	;; [unrolled: 1-line block ×15, first 2 shown]
	v_cmp_gt_u32_e64 s0, 0x100, v2
	v_or_b32_e32 v116, 0x8400, v114
	v_cmp_gt_u32_e64 s4, 8, v2
	v_add_nc_u32_e32 v117, 0x8400, v3
	v_cmp_lt_u32_e64 s5, 31, v2
	s_add_nc_u64 s[34:35], s[2:3], 0x50
	s_add_co_i32 s7, s7, s6
	v_cmp_eq_u32_e64 s2, 0, v2
	v_cmp_ne_u32_e64 s3, 0xff, v2
	v_dual_add_nc_u32 v123, v122, v3 :: v_dual_mov_b32 v125, 1
	v_dual_lshlrev_b32 v4, 3, v124 :: v_dual_bitop2_b32 v126, 15, v124 bitop3:0x40
	v_bfe_i32 v127, v124, 4, 1
	v_and_b32_e32 v128, 16, v124
	v_and_b32_e32 v130, 7, v124
	v_sub_co_u32 v131, s6, v124, 1
	v_or_b32_e32 v132, 32, v129
	v_or_b32_e32 v133, 64, v129
	;; [unrolled: 1-line block ×15, first 2 shown]
	s_cmp_eq_u32 s25, 0
	s_mov_b32 s31, 0
	s_cselect_b32 s42, ttmp7, s7
	s_mov_b32 s43, s49
	s_mov_b32 s48, s49
	s_branch .LBB833_20
.LBB833_18:                             ;   in Loop: Header=BB833_20 Depth=1
	s_wait_dscnt 0x0
	s_barrier_signal -1
	s_barrier_wait -1
.LBB833_19:                             ;   in Loop: Header=BB833_20 Depth=1
	s_add_co_i32 s48, s48, 8
	s_delay_alu instid0(SALU_CYCLE_1)
	s_cmp_ge_u32 s48, s50
	s_cbranch_scc1 .LBB833_1190
.LBB833_20:                             ; =>This Loop Header: Depth=1
                                        ;     Child Loop BB833_24 Depth 2
                                        ;     Child Loop BB833_104 Depth 2
	;; [unrolled: 1-line block ×8, first 2 shown]
	s_sub_co_i32 s7, s50, s48
	s_xor_b32 s53, s53, -1
	s_min_u32 s55, s7, 8
	s_cmp_lg_u32 s48, s49
	s_mov_b32 s7, -1
	ds_store_2addr_stride64_b32 v3, v5, v5 offset1:4
	ds_store_2addr_stride64_b32 v3, v5, v5 offset0:8 offset1:12
	s_wait_storecnt_dscnt 0x0
	s_cbranch_scc0 .LBB833_606
; %bb.21:                               ;   in Loop: Header=BB833_20 Depth=1
	s_lshl_b32 s7, -1, s55
	s_and_b32 vcc_lo, exec_lo, s53
	s_not_b32 s56, s7
	s_mov_b32 s7, -1
	s_cbranch_vccz .LBB833_313
; %bb.22:                               ;   in Loop: Header=BB833_20 Depth=1
	s_mov_b32 s7, s54
	s_mov_b32 s30, s52
	s_barrier_signal -1
	s_barrier_wait -1
                                        ; implicit-def: $vgpr22_vgpr23
                                        ; implicit-def: $vgpr24_vgpr25
                                        ; implicit-def: $vgpr26_vgpr27
                                        ; implicit-def: $vgpr28_vgpr29
                                        ; implicit-def: $vgpr30_vgpr31
                                        ; implicit-def: $vgpr32_vgpr33
                                        ; implicit-def: $vgpr34_vgpr35
                                        ; implicit-def: $vgpr36_vgpr37
                                        ; implicit-def: $vgpr38_vgpr39
                                        ; implicit-def: $vgpr40_vgpr41
                                        ; implicit-def: $vgpr42_vgpr43
                                        ; implicit-def: $vgpr44_vgpr45
                                        ; implicit-def: $vgpr46_vgpr47
                                        ; implicit-def: $vgpr48_vgpr49
                                        ; implicit-def: $vgpr50_vgpr51
                                        ; implicit-def: $vgpr52_vgpr53
	s_branch .LBB833_24
.LBB833_23:                             ;   in Loop: Header=BB833_24 Depth=2
	s_or_b32 exec_lo, exec_lo, s8
	s_addk_co_i32 s7, 0xf000
	s_cmp_ge_u32 s10, s51
	s_mov_b32 s30, s10
	s_cbranch_scc1 .LBB833_92
.LBB833_24:                             ;   Parent Loop BB833_20 Depth=1
                                        ; =>  This Inner Loop Header: Depth=2
	s_add_co_i32 s10, s30, 0x1000
	s_mov_b32 s8, -1
	s_cmp_gt_u32 s10, s51
                                        ; implicit-def: $vgpr54_vgpr55
                                        ; implicit-def: $vgpr56_vgpr57
                                        ; implicit-def: $vgpr58_vgpr59
                                        ; implicit-def: $vgpr60_vgpr61
                                        ; implicit-def: $vgpr62_vgpr63
                                        ; implicit-def: $vgpr64_vgpr65
                                        ; implicit-def: $vgpr66_vgpr67
                                        ; implicit-def: $vgpr68_vgpr69
                                        ; implicit-def: $vgpr70_vgpr71
                                        ; implicit-def: $vgpr72_vgpr73
                                        ; implicit-def: $vgpr74_vgpr75
                                        ; implicit-def: $vgpr76_vgpr77
                                        ; implicit-def: $vgpr78_vgpr79
                                        ; implicit-def: $vgpr80_vgpr81
                                        ; implicit-def: $vgpr82_vgpr83
                                        ; implicit-def: $vgpr84_vgpr85
	s_cbranch_scc1 .LBB833_26
; %bb.25:                               ;   in Loop: Header=BB833_24 Depth=2
	v_lshl_add_u64 v[84:85], s[30:31], 3, v[6:7]
	s_mov_b32 s8, 0
	s_clause 0xf
	global_load_b64 v[54:55], v[84:85], off
	global_load_b64 v[56:57], v[84:85], off offset:2048
	global_load_b64 v[58:59], v[84:85], off offset:4096
	;; [unrolled: 1-line block ×15, first 2 shown]
.LBB833_26:                             ;   in Loop: Header=BB833_24 Depth=2
	s_and_not1_b32 vcc_lo, exec_lo, s8
	s_movk_i32 s8, 0x1000
	s_cbranch_vccnz .LBB833_45
; %bb.27:                               ;   in Loop: Header=BB833_24 Depth=2
	s_lshl_b64 s[8:9], s[30:31], 3
	s_mov_b32 s11, exec_lo
	s_add_nc_u64 s[8:9], s[40:41], s[8:9]
	s_wait_xcnt 0x0
	v_cmpx_gt_u32_e64 s7, v2
	s_cbranch_execnz .LBB833_77
; %bb.28:                               ;   in Loop: Header=BB833_24 Depth=2
	s_or_b32 exec_lo, exec_lo, s11
	s_delay_alu instid0(SALU_CYCLE_1)
	s_mov_b32 s11, exec_lo
	v_cmpx_gt_u32_e64 s7, v98
	s_cbranch_execnz .LBB833_78
.LBB833_29:                             ;   in Loop: Header=BB833_24 Depth=2
	s_or_b32 exec_lo, exec_lo, s11
	s_delay_alu instid0(SALU_CYCLE_1)
	s_mov_b32 s11, exec_lo
	v_cmpx_gt_u32_e64 s7, v99
	s_cbranch_execnz .LBB833_79
.LBB833_30:                             ;   in Loop: Header=BB833_24 Depth=2
	s_or_b32 exec_lo, exec_lo, s11
	s_delay_alu instid0(SALU_CYCLE_1)
	s_mov_b32 s11, exec_lo
	v_cmpx_gt_u32_e64 s7, v100
	s_cbranch_execnz .LBB833_80
.LBB833_31:                             ;   in Loop: Header=BB833_24 Depth=2
	s_or_b32 exec_lo, exec_lo, s11
	s_delay_alu instid0(SALU_CYCLE_1)
	s_mov_b32 s11, exec_lo
	v_cmpx_gt_u32_e64 s7, v101
	s_cbranch_execnz .LBB833_81
.LBB833_32:                             ;   in Loop: Header=BB833_24 Depth=2
	s_or_b32 exec_lo, exec_lo, s11
	s_delay_alu instid0(SALU_CYCLE_1)
	s_mov_b32 s11, exec_lo
	v_cmpx_gt_u32_e64 s7, v102
	s_cbranch_execnz .LBB833_82
.LBB833_33:                             ;   in Loop: Header=BB833_24 Depth=2
	s_or_b32 exec_lo, exec_lo, s11
	s_delay_alu instid0(SALU_CYCLE_1)
	s_mov_b32 s11, exec_lo
	v_cmpx_gt_u32_e64 s7, v103
	s_cbranch_execnz .LBB833_83
.LBB833_34:                             ;   in Loop: Header=BB833_24 Depth=2
	s_or_b32 exec_lo, exec_lo, s11
	s_delay_alu instid0(SALU_CYCLE_1)
	s_mov_b32 s11, exec_lo
	v_cmpx_gt_u32_e64 s7, v104
	s_cbranch_execnz .LBB833_84
.LBB833_35:                             ;   in Loop: Header=BB833_24 Depth=2
	s_or_b32 exec_lo, exec_lo, s11
	s_delay_alu instid0(SALU_CYCLE_1)
	s_mov_b32 s11, exec_lo
	v_cmpx_gt_u32_e64 s7, v105
	s_cbranch_execnz .LBB833_85
.LBB833_36:                             ;   in Loop: Header=BB833_24 Depth=2
	s_or_b32 exec_lo, exec_lo, s11
	s_delay_alu instid0(SALU_CYCLE_1)
	s_mov_b32 s11, exec_lo
	v_cmpx_gt_u32_e64 s7, v106
	s_cbranch_execnz .LBB833_86
.LBB833_37:                             ;   in Loop: Header=BB833_24 Depth=2
	s_or_b32 exec_lo, exec_lo, s11
	s_delay_alu instid0(SALU_CYCLE_1)
	s_mov_b32 s11, exec_lo
	v_cmpx_gt_u32_e64 s7, v107
	s_cbranch_execnz .LBB833_87
.LBB833_38:                             ;   in Loop: Header=BB833_24 Depth=2
	s_or_b32 exec_lo, exec_lo, s11
	s_delay_alu instid0(SALU_CYCLE_1)
	s_mov_b32 s11, exec_lo
	v_cmpx_gt_u32_e64 s7, v108
	s_cbranch_execnz .LBB833_88
.LBB833_39:                             ;   in Loop: Header=BB833_24 Depth=2
	s_or_b32 exec_lo, exec_lo, s11
	s_delay_alu instid0(SALU_CYCLE_1)
	s_mov_b32 s11, exec_lo
	v_cmpx_gt_u32_e64 s7, v109
	s_cbranch_execnz .LBB833_89
.LBB833_40:                             ;   in Loop: Header=BB833_24 Depth=2
	s_or_b32 exec_lo, exec_lo, s11
	s_delay_alu instid0(SALU_CYCLE_1)
	s_mov_b32 s11, exec_lo
	v_cmpx_gt_u32_e64 s7, v110
	s_cbranch_execnz .LBB833_90
.LBB833_41:                             ;   in Loop: Header=BB833_24 Depth=2
	s_or_b32 exec_lo, exec_lo, s11
	s_delay_alu instid0(SALU_CYCLE_1)
	s_mov_b32 s11, exec_lo
	v_cmpx_gt_u32_e64 s7, v111
	s_cbranch_execnz .LBB833_91
.LBB833_42:                             ;   in Loop: Header=BB833_24 Depth=2
	s_or_b32 exec_lo, exec_lo, s11
	s_delay_alu instid0(SALU_CYCLE_1)
	s_mov_b32 s11, exec_lo
	v_cmpx_gt_u32_e64 s7, v112
	s_cbranch_execz .LBB833_44
.LBB833_43:                             ;   in Loop: Header=BB833_24 Depth=2
	global_load_b64 v[22:23], v2, s[8:9] offset:30720 scale_offset
.LBB833_44:                             ;   in Loop: Header=BB833_24 Depth=2
	s_wait_xcnt 0x0
	s_or_b32 exec_lo, exec_lo, s11
	s_wait_loadcnt 0x0
	v_mov_b64_e32 v[54:55], v[52:53]
	v_mov_b64_e32 v[56:57], v[50:51]
	;; [unrolled: 1-line block ×16, first 2 shown]
	s_mov_b32 s8, s7
.LBB833_45:                             ;   in Loop: Header=BB833_24 Depth=2
	s_wait_loadcnt 0x0
	s_delay_alu instid0(VALU_DEP_1) | instskip(NEXT) | instid1(VALU_DEP_3)
	v_mov_b64_e32 v[22:23], v[84:85]
	v_mov_b64_e32 v[24:25], v[82:83]
	;; [unrolled: 1-line block ×16, first 2 shown]
	s_mov_b32 s9, exec_lo
	s_wait_xcnt 0x0
	v_cmpx_gt_u32_e64 s8, v2
	s_cbranch_execnz .LBB833_61
; %bb.46:                               ;   in Loop: Header=BB833_24 Depth=2
	s_or_b32 exec_lo, exec_lo, s9
	s_delay_alu instid0(SALU_CYCLE_1)
	s_mov_b32 s9, exec_lo
	v_cmpx_gt_u32_e64 s8, v98
	s_cbranch_execnz .LBB833_62
.LBB833_47:                             ;   in Loop: Header=BB833_24 Depth=2
	s_or_b32 exec_lo, exec_lo, s9
	s_delay_alu instid0(SALU_CYCLE_1)
	s_mov_b32 s9, exec_lo
	v_cmpx_gt_u32_e64 s8, v99
	s_cbranch_execnz .LBB833_63
.LBB833_48:                             ;   in Loop: Header=BB833_24 Depth=2
	s_or_b32 exec_lo, exec_lo, s9
	s_delay_alu instid0(SALU_CYCLE_1)
	s_mov_b32 s9, exec_lo
	v_cmpx_gt_u32_e64 s8, v100
	s_cbranch_execnz .LBB833_64
.LBB833_49:                             ;   in Loop: Header=BB833_24 Depth=2
	s_or_b32 exec_lo, exec_lo, s9
	s_delay_alu instid0(SALU_CYCLE_1)
	s_mov_b32 s9, exec_lo
	v_cmpx_gt_u32_e64 s8, v101
	s_cbranch_execnz .LBB833_65
.LBB833_50:                             ;   in Loop: Header=BB833_24 Depth=2
	s_or_b32 exec_lo, exec_lo, s9
	s_delay_alu instid0(SALU_CYCLE_1)
	s_mov_b32 s9, exec_lo
	v_cmpx_gt_u32_e64 s8, v102
	s_cbranch_execnz .LBB833_66
.LBB833_51:                             ;   in Loop: Header=BB833_24 Depth=2
	s_or_b32 exec_lo, exec_lo, s9
	s_delay_alu instid0(SALU_CYCLE_1)
	s_mov_b32 s9, exec_lo
	v_cmpx_gt_u32_e64 s8, v103
	s_cbranch_execnz .LBB833_67
.LBB833_52:                             ;   in Loop: Header=BB833_24 Depth=2
	s_or_b32 exec_lo, exec_lo, s9
	s_delay_alu instid0(SALU_CYCLE_1)
	s_mov_b32 s9, exec_lo
	v_cmpx_gt_u32_e64 s8, v104
	s_cbranch_execnz .LBB833_68
.LBB833_53:                             ;   in Loop: Header=BB833_24 Depth=2
	s_or_b32 exec_lo, exec_lo, s9
	s_delay_alu instid0(SALU_CYCLE_1)
	s_mov_b32 s9, exec_lo
	v_cmpx_gt_u32_e64 s8, v105
	s_cbranch_execnz .LBB833_69
.LBB833_54:                             ;   in Loop: Header=BB833_24 Depth=2
	s_or_b32 exec_lo, exec_lo, s9
	s_delay_alu instid0(SALU_CYCLE_1)
	s_mov_b32 s9, exec_lo
	v_cmpx_gt_u32_e64 s8, v106
	s_cbranch_execnz .LBB833_70
.LBB833_55:                             ;   in Loop: Header=BB833_24 Depth=2
	s_or_b32 exec_lo, exec_lo, s9
	s_delay_alu instid0(SALU_CYCLE_1)
	s_mov_b32 s9, exec_lo
	v_cmpx_gt_u32_e64 s8, v107
	s_cbranch_execnz .LBB833_71
.LBB833_56:                             ;   in Loop: Header=BB833_24 Depth=2
	s_or_b32 exec_lo, exec_lo, s9
	s_delay_alu instid0(SALU_CYCLE_1)
	s_mov_b32 s9, exec_lo
	v_cmpx_gt_u32_e64 s8, v108
	s_cbranch_execnz .LBB833_72
.LBB833_57:                             ;   in Loop: Header=BB833_24 Depth=2
	s_or_b32 exec_lo, exec_lo, s9
	s_delay_alu instid0(SALU_CYCLE_1)
	s_mov_b32 s9, exec_lo
	v_cmpx_gt_u32_e64 s8, v109
	s_cbranch_execnz .LBB833_73
.LBB833_58:                             ;   in Loop: Header=BB833_24 Depth=2
	s_or_b32 exec_lo, exec_lo, s9
	s_delay_alu instid0(SALU_CYCLE_1)
	s_mov_b32 s9, exec_lo
	v_cmpx_gt_u32_e64 s8, v110
	s_cbranch_execnz .LBB833_74
.LBB833_59:                             ;   in Loop: Header=BB833_24 Depth=2
	s_or_b32 exec_lo, exec_lo, s9
	s_delay_alu instid0(SALU_CYCLE_1)
	s_mov_b32 s9, exec_lo
	v_cmpx_gt_u32_e64 s8, v111
	s_cbranch_execnz .LBB833_75
.LBB833_60:                             ;   in Loop: Header=BB833_24 Depth=2
	s_or_b32 exec_lo, exec_lo, s9
	v_cmp_gt_u32_e32 vcc_lo, s8, v112
	s_and_saveexec_b32 s8, vcc_lo
	s_cbranch_execz .LBB833_23
	s_branch .LBB833_76
.LBB833_61:                             ;   in Loop: Header=BB833_24 Depth=2
	s_delay_alu instid0(VALU_DEP_2) | instskip(NEXT) | instid1(VALU_DEP_3)
	v_xor_b32_e32 v55, 0x80000000, v53
	v_mov_b32_e32 v54, v52
	s_delay_alu instid0(VALU_DEP_1) | instskip(NEXT) | instid1(VALU_DEP_1)
	v_lshrrev_b64 v[54:55], s48, v[54:55]
	v_and_b32_e32 v54, s56, v54
	s_delay_alu instid0(VALU_DEP_1) | instskip(SKIP_2) | instid1(SALU_CYCLE_1)
	v_lshl_or_b32 v54, v54, 4, v113
	ds_add_u32 v54, v125
	s_or_b32 exec_lo, exec_lo, s9
	s_mov_b32 s9, exec_lo
	v_cmpx_gt_u32_e64 s8, v98
	s_cbranch_execz .LBB833_47
.LBB833_62:                             ;   in Loop: Header=BB833_24 Depth=2
	v_xor_b32_e32 v55, 0x80000000, v51
	v_mov_b32_e32 v54, v50
	s_delay_alu instid0(VALU_DEP_1) | instskip(NEXT) | instid1(VALU_DEP_1)
	v_lshrrev_b64 v[54:55], s48, v[54:55]
	v_and_b32_e32 v54, s56, v54
	s_delay_alu instid0(VALU_DEP_1) | instskip(SKIP_2) | instid1(SALU_CYCLE_1)
	v_lshl_or_b32 v54, v54, 4, v113
	ds_add_u32 v54, v125
	s_or_b32 exec_lo, exec_lo, s9
	s_mov_b32 s9, exec_lo
	v_cmpx_gt_u32_e64 s8, v99
	s_cbranch_execz .LBB833_48
.LBB833_63:                             ;   in Loop: Header=BB833_24 Depth=2
	v_xor_b32_e32 v55, 0x80000000, v49
	v_mov_b32_e32 v54, v48
	s_delay_alu instid0(VALU_DEP_1) | instskip(NEXT) | instid1(VALU_DEP_1)
	v_lshrrev_b64 v[54:55], s48, v[54:55]
	v_and_b32_e32 v54, s56, v54
	s_delay_alu instid0(VALU_DEP_1) | instskip(SKIP_2) | instid1(SALU_CYCLE_1)
	v_lshl_or_b32 v54, v54, 4, v113
	ds_add_u32 v54, v125
	s_or_b32 exec_lo, exec_lo, s9
	s_mov_b32 s9, exec_lo
	v_cmpx_gt_u32_e64 s8, v100
	s_cbranch_execz .LBB833_49
.LBB833_64:                             ;   in Loop: Header=BB833_24 Depth=2
	v_xor_b32_e32 v55, 0x80000000, v47
	v_mov_b32_e32 v54, v46
	s_delay_alu instid0(VALU_DEP_1) | instskip(NEXT) | instid1(VALU_DEP_1)
	v_lshrrev_b64 v[54:55], s48, v[54:55]
	v_and_b32_e32 v54, s56, v54
	s_delay_alu instid0(VALU_DEP_1) | instskip(SKIP_2) | instid1(SALU_CYCLE_1)
	v_lshl_or_b32 v54, v54, 4, v113
	ds_add_u32 v54, v125
	s_or_b32 exec_lo, exec_lo, s9
	s_mov_b32 s9, exec_lo
	v_cmpx_gt_u32_e64 s8, v101
	s_cbranch_execz .LBB833_50
.LBB833_65:                             ;   in Loop: Header=BB833_24 Depth=2
	v_xor_b32_e32 v55, 0x80000000, v45
	v_mov_b32_e32 v54, v44
	s_delay_alu instid0(VALU_DEP_1) | instskip(NEXT) | instid1(VALU_DEP_1)
	v_lshrrev_b64 v[54:55], s48, v[54:55]
	v_and_b32_e32 v54, s56, v54
	s_delay_alu instid0(VALU_DEP_1) | instskip(SKIP_2) | instid1(SALU_CYCLE_1)
	v_lshl_or_b32 v54, v54, 4, v113
	ds_add_u32 v54, v125
	s_or_b32 exec_lo, exec_lo, s9
	s_mov_b32 s9, exec_lo
	v_cmpx_gt_u32_e64 s8, v102
	s_cbranch_execz .LBB833_51
.LBB833_66:                             ;   in Loop: Header=BB833_24 Depth=2
	v_xor_b32_e32 v55, 0x80000000, v43
	v_mov_b32_e32 v54, v42
	s_delay_alu instid0(VALU_DEP_1) | instskip(NEXT) | instid1(VALU_DEP_1)
	v_lshrrev_b64 v[54:55], s48, v[54:55]
	v_and_b32_e32 v54, s56, v54
	s_delay_alu instid0(VALU_DEP_1) | instskip(SKIP_2) | instid1(SALU_CYCLE_1)
	v_lshl_or_b32 v54, v54, 4, v113
	ds_add_u32 v54, v125
	s_or_b32 exec_lo, exec_lo, s9
	s_mov_b32 s9, exec_lo
	v_cmpx_gt_u32_e64 s8, v103
	s_cbranch_execz .LBB833_52
.LBB833_67:                             ;   in Loop: Header=BB833_24 Depth=2
	v_xor_b32_e32 v55, 0x80000000, v41
	v_mov_b32_e32 v54, v40
	s_delay_alu instid0(VALU_DEP_1) | instskip(NEXT) | instid1(VALU_DEP_1)
	v_lshrrev_b64 v[54:55], s48, v[54:55]
	v_and_b32_e32 v54, s56, v54
	s_delay_alu instid0(VALU_DEP_1) | instskip(SKIP_2) | instid1(SALU_CYCLE_1)
	v_lshl_or_b32 v54, v54, 4, v113
	ds_add_u32 v54, v125
	s_or_b32 exec_lo, exec_lo, s9
	s_mov_b32 s9, exec_lo
	v_cmpx_gt_u32_e64 s8, v104
	s_cbranch_execz .LBB833_53
.LBB833_68:                             ;   in Loop: Header=BB833_24 Depth=2
	v_xor_b32_e32 v55, 0x80000000, v39
	v_mov_b32_e32 v54, v38
	s_delay_alu instid0(VALU_DEP_1) | instskip(NEXT) | instid1(VALU_DEP_1)
	v_lshrrev_b64 v[54:55], s48, v[54:55]
	v_and_b32_e32 v54, s56, v54
	s_delay_alu instid0(VALU_DEP_1) | instskip(SKIP_2) | instid1(SALU_CYCLE_1)
	v_lshl_or_b32 v54, v54, 4, v113
	ds_add_u32 v54, v125
	s_or_b32 exec_lo, exec_lo, s9
	s_mov_b32 s9, exec_lo
	v_cmpx_gt_u32_e64 s8, v105
	s_cbranch_execz .LBB833_54
.LBB833_69:                             ;   in Loop: Header=BB833_24 Depth=2
	v_xor_b32_e32 v55, 0x80000000, v37
	v_mov_b32_e32 v54, v36
	s_delay_alu instid0(VALU_DEP_1) | instskip(NEXT) | instid1(VALU_DEP_1)
	v_lshrrev_b64 v[54:55], s48, v[54:55]
	v_and_b32_e32 v54, s56, v54
	s_delay_alu instid0(VALU_DEP_1) | instskip(SKIP_2) | instid1(SALU_CYCLE_1)
	v_lshl_or_b32 v54, v54, 4, v113
	ds_add_u32 v54, v125
	s_or_b32 exec_lo, exec_lo, s9
	s_mov_b32 s9, exec_lo
	v_cmpx_gt_u32_e64 s8, v106
	s_cbranch_execz .LBB833_55
.LBB833_70:                             ;   in Loop: Header=BB833_24 Depth=2
	v_xor_b32_e32 v55, 0x80000000, v35
	v_mov_b32_e32 v54, v34
	s_delay_alu instid0(VALU_DEP_1) | instskip(NEXT) | instid1(VALU_DEP_1)
	v_lshrrev_b64 v[54:55], s48, v[54:55]
	v_and_b32_e32 v54, s56, v54
	s_delay_alu instid0(VALU_DEP_1) | instskip(SKIP_2) | instid1(SALU_CYCLE_1)
	v_lshl_or_b32 v54, v54, 4, v113
	ds_add_u32 v54, v125
	s_or_b32 exec_lo, exec_lo, s9
	s_mov_b32 s9, exec_lo
	v_cmpx_gt_u32_e64 s8, v107
	s_cbranch_execz .LBB833_56
.LBB833_71:                             ;   in Loop: Header=BB833_24 Depth=2
	v_xor_b32_e32 v55, 0x80000000, v33
	v_mov_b32_e32 v54, v32
	s_delay_alu instid0(VALU_DEP_1) | instskip(NEXT) | instid1(VALU_DEP_1)
	v_lshrrev_b64 v[54:55], s48, v[54:55]
	v_and_b32_e32 v54, s56, v54
	s_delay_alu instid0(VALU_DEP_1) | instskip(SKIP_2) | instid1(SALU_CYCLE_1)
	v_lshl_or_b32 v54, v54, 4, v113
	ds_add_u32 v54, v125
	s_or_b32 exec_lo, exec_lo, s9
	s_mov_b32 s9, exec_lo
	v_cmpx_gt_u32_e64 s8, v108
	s_cbranch_execz .LBB833_57
.LBB833_72:                             ;   in Loop: Header=BB833_24 Depth=2
	v_xor_b32_e32 v55, 0x80000000, v31
	v_mov_b32_e32 v54, v30
	s_delay_alu instid0(VALU_DEP_1) | instskip(NEXT) | instid1(VALU_DEP_1)
	v_lshrrev_b64 v[54:55], s48, v[54:55]
	v_and_b32_e32 v54, s56, v54
	s_delay_alu instid0(VALU_DEP_1) | instskip(SKIP_2) | instid1(SALU_CYCLE_1)
	v_lshl_or_b32 v54, v54, 4, v113
	ds_add_u32 v54, v125
	s_or_b32 exec_lo, exec_lo, s9
	s_mov_b32 s9, exec_lo
	v_cmpx_gt_u32_e64 s8, v109
	s_cbranch_execz .LBB833_58
.LBB833_73:                             ;   in Loop: Header=BB833_24 Depth=2
	v_xor_b32_e32 v55, 0x80000000, v29
	v_mov_b32_e32 v54, v28
	s_delay_alu instid0(VALU_DEP_1) | instskip(NEXT) | instid1(VALU_DEP_1)
	v_lshrrev_b64 v[54:55], s48, v[54:55]
	v_and_b32_e32 v54, s56, v54
	s_delay_alu instid0(VALU_DEP_1) | instskip(SKIP_2) | instid1(SALU_CYCLE_1)
	v_lshl_or_b32 v54, v54, 4, v113
	ds_add_u32 v54, v125
	s_or_b32 exec_lo, exec_lo, s9
	s_mov_b32 s9, exec_lo
	v_cmpx_gt_u32_e64 s8, v110
	s_cbranch_execz .LBB833_59
.LBB833_74:                             ;   in Loop: Header=BB833_24 Depth=2
	v_xor_b32_e32 v55, 0x80000000, v27
	v_mov_b32_e32 v54, v26
	s_delay_alu instid0(VALU_DEP_1) | instskip(NEXT) | instid1(VALU_DEP_1)
	v_lshrrev_b64 v[54:55], s48, v[54:55]
	v_and_b32_e32 v54, s56, v54
	s_delay_alu instid0(VALU_DEP_1) | instskip(SKIP_2) | instid1(SALU_CYCLE_1)
	v_lshl_or_b32 v54, v54, 4, v113
	ds_add_u32 v54, v125
	s_or_b32 exec_lo, exec_lo, s9
	s_mov_b32 s9, exec_lo
	v_cmpx_gt_u32_e64 s8, v111
	s_cbranch_execz .LBB833_60
.LBB833_75:                             ;   in Loop: Header=BB833_24 Depth=2
	v_xor_b32_e32 v55, 0x80000000, v25
	v_mov_b32_e32 v54, v24
	s_delay_alu instid0(VALU_DEP_1) | instskip(NEXT) | instid1(VALU_DEP_1)
	v_lshrrev_b64 v[54:55], s48, v[54:55]
	v_and_b32_e32 v54, s56, v54
	s_delay_alu instid0(VALU_DEP_1)
	v_lshl_or_b32 v54, v54, 4, v113
	ds_add_u32 v54, v125
	s_or_b32 exec_lo, exec_lo, s9
	v_cmp_gt_u32_e32 vcc_lo, s8, v112
	s_and_saveexec_b32 s8, vcc_lo
	s_cbranch_execz .LBB833_23
.LBB833_76:                             ;   in Loop: Header=BB833_24 Depth=2
	v_xor_b32_e32 v55, 0x80000000, v23
	v_mov_b32_e32 v54, v22
	s_delay_alu instid0(VALU_DEP_1) | instskip(NEXT) | instid1(VALU_DEP_1)
	v_lshrrev_b64 v[54:55], s48, v[54:55]
	v_and_b32_e32 v54, s56, v54
	s_delay_alu instid0(VALU_DEP_1)
	v_lshl_or_b32 v54, v54, 4, v113
	ds_add_u32 v54, v125
	s_branch .LBB833_23
.LBB833_77:                             ;   in Loop: Header=BB833_24 Depth=2
	global_load_b64 v[52:53], v2, s[8:9] scale_offset
	s_wait_xcnt 0x0
	s_or_b32 exec_lo, exec_lo, s11
	s_delay_alu instid0(SALU_CYCLE_1)
	s_mov_b32 s11, exec_lo
	v_cmpx_gt_u32_e64 s7, v98
	s_cbranch_execz .LBB833_29
.LBB833_78:                             ;   in Loop: Header=BB833_24 Depth=2
	global_load_b64 v[50:51], v2, s[8:9] offset:2048 scale_offset
	s_wait_xcnt 0x0
	s_or_b32 exec_lo, exec_lo, s11
	s_delay_alu instid0(SALU_CYCLE_1)
	s_mov_b32 s11, exec_lo
	v_cmpx_gt_u32_e64 s7, v99
	s_cbranch_execz .LBB833_30
.LBB833_79:                             ;   in Loop: Header=BB833_24 Depth=2
	global_load_b64 v[48:49], v2, s[8:9] offset:4096 scale_offset
	s_wait_xcnt 0x0
	s_or_b32 exec_lo, exec_lo, s11
	s_delay_alu instid0(SALU_CYCLE_1)
	s_mov_b32 s11, exec_lo
	v_cmpx_gt_u32_e64 s7, v100
	s_cbranch_execz .LBB833_31
.LBB833_80:                             ;   in Loop: Header=BB833_24 Depth=2
	global_load_b64 v[46:47], v2, s[8:9] offset:6144 scale_offset
	s_wait_xcnt 0x0
	s_or_b32 exec_lo, exec_lo, s11
	s_delay_alu instid0(SALU_CYCLE_1)
	s_mov_b32 s11, exec_lo
	v_cmpx_gt_u32_e64 s7, v101
	s_cbranch_execz .LBB833_32
.LBB833_81:                             ;   in Loop: Header=BB833_24 Depth=2
	global_load_b64 v[44:45], v2, s[8:9] offset:8192 scale_offset
	s_wait_xcnt 0x0
	s_or_b32 exec_lo, exec_lo, s11
	s_delay_alu instid0(SALU_CYCLE_1)
	s_mov_b32 s11, exec_lo
	v_cmpx_gt_u32_e64 s7, v102
	s_cbranch_execz .LBB833_33
.LBB833_82:                             ;   in Loop: Header=BB833_24 Depth=2
	global_load_b64 v[42:43], v2, s[8:9] offset:10240 scale_offset
	s_wait_xcnt 0x0
	s_or_b32 exec_lo, exec_lo, s11
	s_delay_alu instid0(SALU_CYCLE_1)
	s_mov_b32 s11, exec_lo
	v_cmpx_gt_u32_e64 s7, v103
	s_cbranch_execz .LBB833_34
.LBB833_83:                             ;   in Loop: Header=BB833_24 Depth=2
	global_load_b64 v[40:41], v2, s[8:9] offset:12288 scale_offset
	s_wait_xcnt 0x0
	s_or_b32 exec_lo, exec_lo, s11
	s_delay_alu instid0(SALU_CYCLE_1)
	s_mov_b32 s11, exec_lo
	v_cmpx_gt_u32_e64 s7, v104
	s_cbranch_execz .LBB833_35
.LBB833_84:                             ;   in Loop: Header=BB833_24 Depth=2
	global_load_b64 v[38:39], v2, s[8:9] offset:14336 scale_offset
	s_wait_xcnt 0x0
	s_or_b32 exec_lo, exec_lo, s11
	s_delay_alu instid0(SALU_CYCLE_1)
	s_mov_b32 s11, exec_lo
	v_cmpx_gt_u32_e64 s7, v105
	s_cbranch_execz .LBB833_36
.LBB833_85:                             ;   in Loop: Header=BB833_24 Depth=2
	global_load_b64 v[36:37], v2, s[8:9] offset:16384 scale_offset
	s_wait_xcnt 0x0
	s_or_b32 exec_lo, exec_lo, s11
	s_delay_alu instid0(SALU_CYCLE_1)
	s_mov_b32 s11, exec_lo
	v_cmpx_gt_u32_e64 s7, v106
	s_cbranch_execz .LBB833_37
.LBB833_86:                             ;   in Loop: Header=BB833_24 Depth=2
	global_load_b64 v[34:35], v2, s[8:9] offset:18432 scale_offset
	s_wait_xcnt 0x0
	s_or_b32 exec_lo, exec_lo, s11
	s_delay_alu instid0(SALU_CYCLE_1)
	s_mov_b32 s11, exec_lo
	v_cmpx_gt_u32_e64 s7, v107
	s_cbranch_execz .LBB833_38
.LBB833_87:                             ;   in Loop: Header=BB833_24 Depth=2
	global_load_b64 v[32:33], v2, s[8:9] offset:20480 scale_offset
	s_wait_xcnt 0x0
	s_or_b32 exec_lo, exec_lo, s11
	s_delay_alu instid0(SALU_CYCLE_1)
	s_mov_b32 s11, exec_lo
	v_cmpx_gt_u32_e64 s7, v108
	s_cbranch_execz .LBB833_39
.LBB833_88:                             ;   in Loop: Header=BB833_24 Depth=2
	global_load_b64 v[30:31], v2, s[8:9] offset:22528 scale_offset
	s_wait_xcnt 0x0
	s_or_b32 exec_lo, exec_lo, s11
	s_delay_alu instid0(SALU_CYCLE_1)
	s_mov_b32 s11, exec_lo
	v_cmpx_gt_u32_e64 s7, v109
	s_cbranch_execz .LBB833_40
.LBB833_89:                             ;   in Loop: Header=BB833_24 Depth=2
	global_load_b64 v[28:29], v2, s[8:9] offset:24576 scale_offset
	s_wait_xcnt 0x0
	s_or_b32 exec_lo, exec_lo, s11
	s_delay_alu instid0(SALU_CYCLE_1)
	s_mov_b32 s11, exec_lo
	v_cmpx_gt_u32_e64 s7, v110
	s_cbranch_execz .LBB833_41
.LBB833_90:                             ;   in Loop: Header=BB833_24 Depth=2
	global_load_b64 v[26:27], v2, s[8:9] offset:26624 scale_offset
	s_wait_xcnt 0x0
	s_or_b32 exec_lo, exec_lo, s11
	s_delay_alu instid0(SALU_CYCLE_1)
	s_mov_b32 s11, exec_lo
	v_cmpx_gt_u32_e64 s7, v111
	s_cbranch_execz .LBB833_42
.LBB833_91:                             ;   in Loop: Header=BB833_24 Depth=2
	global_load_b64 v[24:25], v2, s[8:9] offset:28672 scale_offset
	s_wait_xcnt 0x0
	s_or_b32 exec_lo, exec_lo, s11
	s_delay_alu instid0(SALU_CYCLE_1)
	s_mov_b32 s11, exec_lo
	v_cmpx_gt_u32_e64 s7, v112
	s_cbranch_execnz .LBB833_43
	s_branch .LBB833_44
.LBB833_92:                             ;   in Loop: Header=BB833_20 Depth=1
	v_mov_b32_e32 v22, 0
	s_wait_dscnt 0x0
	s_barrier_signal -1
	s_barrier_wait -1
	s_and_saveexec_b32 s7, s0
	s_cbranch_execz .LBB833_94
; %bb.93:                               ;   in Loop: Header=BB833_20 Depth=1
	ds_load_2addr_b64 v[22:25], v115 offset1:1
	s_wait_dscnt 0x0
	v_add_nc_u32_e32 v22, v23, v22
	s_delay_alu instid0(VALU_DEP_1)
	v_add3_u32 v22, v22, v24, v25
.LBB833_94:                             ;   in Loop: Header=BB833_20 Depth=1
	s_or_b32 exec_lo, exec_lo, s7
	s_delay_alu instid0(VALU_DEP_1)
	v_mov_b32_dpp v23, v22 row_shr:1 row_mask:0xf bank_mask:0xf
	v_cmp_eq_u32_e64 s7, 0, v126
	v_cmp_lt_u32_e64 s8, 1, v126
	v_cmp_lt_u32_e64 s9, 3, v126
	;; [unrolled: 1-line block ×3, first 2 shown]
	v_cmp_eq_u32_e64 s11, 0, v128
	v_cndmask_b32_e64 v23, v23, 0, s7
	s_delay_alu instid0(VALU_DEP_1) | instskip(NEXT) | instid1(VALU_DEP_1)
	v_add_nc_u32_e32 v22, v23, v22
	v_mov_b32_dpp v23, v22 row_shr:2 row_mask:0xf bank_mask:0xf
	s_delay_alu instid0(VALU_DEP_1) | instskip(NEXT) | instid1(VALU_DEP_1)
	v_cndmask_b32_e64 v23, 0, v23, s8
	v_add_nc_u32_e32 v22, v22, v23
	s_delay_alu instid0(VALU_DEP_1) | instskip(NEXT) | instid1(VALU_DEP_1)
	v_mov_b32_dpp v23, v22 row_shr:4 row_mask:0xf bank_mask:0xf
	v_cndmask_b32_e64 v23, 0, v23, s9
	s_delay_alu instid0(VALU_DEP_1) | instskip(NEXT) | instid1(VALU_DEP_1)
	v_add_nc_u32_e32 v22, v22, v23
	v_mov_b32_dpp v23, v22 row_shr:8 row_mask:0xf bank_mask:0xf
	s_delay_alu instid0(VALU_DEP_1) | instskip(NEXT) | instid1(VALU_DEP_1)
	v_cndmask_b32_e64 v23, 0, v23, s10
	v_add_nc_u32_e32 v22, v22, v23
	ds_swizzle_b32 v23, v22 offset:swizzle(BROADCAST,32,15)
	s_wait_dscnt 0x0
	v_and_b32_e32 v23, v127, v23
	s_delay_alu instid0(VALU_DEP_1)
	v_add_nc_u32_e32 v22, v22, v23
	s_and_saveexec_b32 s12, s1
; %bb.95:                               ;   in Loop: Header=BB833_20 Depth=1
	ds_store_b32 v116, v22
; %bb.96:                               ;   in Loop: Header=BB833_20 Depth=1
	s_or_b32 exec_lo, exec_lo, s12
	s_wait_dscnt 0x0
	s_barrier_signal -1
	s_barrier_wait -1
	s_and_saveexec_b32 s12, s4
	s_cbranch_execz .LBB833_98
; %bb.97:                               ;   in Loop: Header=BB833_20 Depth=1
	ds_load_b32 v23, v117
	v_cmp_ne_u32_e32 vcc_lo, 0, v130
	s_wait_dscnt 0x0
	v_mov_b32_dpp v24, v23 row_shr:1 row_mask:0xf bank_mask:0xf
	s_delay_alu instid0(VALU_DEP_1) | instskip(SKIP_1) | instid1(VALU_DEP_2)
	v_cndmask_b32_e32 v24, 0, v24, vcc_lo
	v_cmp_lt_u32_e32 vcc_lo, 1, v130
	v_add_nc_u32_e32 v23, v24, v23
	s_delay_alu instid0(VALU_DEP_1) | instskip(NEXT) | instid1(VALU_DEP_1)
	v_mov_b32_dpp v24, v23 row_shr:2 row_mask:0xf bank_mask:0xf
	v_cndmask_b32_e32 v24, 0, v24, vcc_lo
	v_cmp_lt_u32_e32 vcc_lo, 3, v130
	s_delay_alu instid0(VALU_DEP_2) | instskip(NEXT) | instid1(VALU_DEP_1)
	v_add_nc_u32_e32 v23, v23, v24
	v_mov_b32_dpp v24, v23 row_shr:4 row_mask:0xf bank_mask:0xf
	s_delay_alu instid0(VALU_DEP_1) | instskip(NEXT) | instid1(VALU_DEP_1)
	v_cndmask_b32_e32 v24, 0, v24, vcc_lo
	v_add_nc_u32_e32 v23, v23, v24
	ds_store_b32 v117, v23
.LBB833_98:                             ;   in Loop: Header=BB833_20 Depth=1
	s_or_b32 exec_lo, exec_lo, s12
	v_mov_b32_e32 v23, 0
	s_wait_dscnt 0x0
	s_barrier_signal -1
	s_barrier_wait -1
	s_and_saveexec_b32 s12, s5
; %bb.99:                               ;   in Loop: Header=BB833_20 Depth=1
	ds_load_b32 v23, v118
; %bb.100:                              ;   in Loop: Header=BB833_20 Depth=1
	s_or_b32 exec_lo, exec_lo, s12
	v_cmp_gt_i32_e32 vcc_lo, 0, v131
	s_wait_dscnt 0x0
	s_barrier_signal -1
	s_barrier_wait -1
	v_cndmask_b32_e32 v24, v131, v124, vcc_lo
	s_delay_alu instid0(VALU_DEP_1)
	v_dual_add_nc_u32 v22, v23, v22 :: v_dual_lshlrev_b32 v147, 2, v24
	ds_bpermute_b32 v22, v147, v22
	s_and_saveexec_b32 s12, s0
	s_cbranch_execz .LBB833_102
; %bb.101:                              ;   in Loop: Header=BB833_20 Depth=1
	s_wait_dscnt 0x0
	v_cndmask_b32_e64 v22, v22, v23, s6
	s_delay_alu instid0(VALU_DEP_1)
	v_add_nc_u32_e32 v22, s52, v22
	ds_store_b32 v3, v22
.LBB833_102:                            ;   in Loop: Header=BB833_20 Depth=1
	s_or_b32 exec_lo, exec_lo, s12
	s_clause 0x1
	s_load_b32 s12, s[34:35], 0x4
	s_load_b32 s14, s[34:35], 0xc
	v_add_nc_u64_e32 v[24:25], v[8:9], v[4:5]
	s_mov_b32 s57, s54
                                        ; implicit-def: $vgpr28_vgpr29
                                        ; implicit-def: $vgpr30_vgpr31
                                        ; implicit-def: $vgpr32_vgpr33
                                        ; implicit-def: $vgpr34_vgpr35
                                        ; implicit-def: $vgpr36_vgpr37
                                        ; implicit-def: $vgpr38_vgpr39
                                        ; implicit-def: $vgpr40_vgpr41
                                        ; implicit-def: $vgpr42_vgpr43
                                        ; implicit-def: $vgpr44_vgpr45
                                        ; implicit-def: $vgpr46_vgpr47
                                        ; implicit-def: $vgpr48_vgpr49
                                        ; implicit-def: $vgpr50_vgpr51
                                        ; implicit-def: $vgpr52_vgpr53
                                        ; implicit-def: $vgpr54_vgpr55
                                        ; implicit-def: $vgpr56_vgpr57
                                        ; implicit-def: $vgpr149
                                        ; implicit-def: $vgpr150
                                        ; implicit-def: $vgpr151
                                        ; implicit-def: $vgpr152
                                        ; implicit-def: $vgpr153
                                        ; implicit-def: $vgpr154
                                        ; implicit-def: $vgpr155
                                        ; implicit-def: $vgpr156
                                        ; implicit-def: $vgpr157
                                        ; implicit-def: $vgpr158
                                        ; implicit-def: $vgpr159
                                        ; implicit-def: $vgpr160
                                        ; implicit-def: $vgpr161
                                        ; implicit-def: $vgpr162
                                        ; implicit-def: $vgpr163
                                        ; implicit-def: $vgpr164
	s_wait_kmcnt 0x0
	s_cmp_lt_u32 s42, s12
	s_cselect_b32 s30, 14, 20
	s_delay_alu instid0(SALU_CYCLE_1)
	s_add_nc_u64 s[12:13], s[34:35], s[30:31]
	s_mov_b32 s30, s52
	s_load_u16 s12, s[12:13], 0x0
	s_wait_xcnt 0x0
	v_cmp_lt_u32_e64 s13, 1, v130
	s_wait_dscnt 0x0
	s_wait_kmcnt 0x0
	v_mad_u32_u24 v22, v119, s12, v121
	s_and_b32 s12, s14, 0xffff
	v_cmp_lt_u32_e64 s14, 3, v130
	s_delay_alu instid0(VALU_DEP_2) | instskip(SKIP_1) | instid1(VALU_DEP_2)
	v_mad_u32 v22, v22, s12, v2
	v_cmp_eq_u32_e64 s12, 0, v130
	v_lshrrev_b32_e32 v26, 3, v22
	v_add_nc_u64_e32 v[22:23], v[0:1], v[4:5]
	s_delay_alu instid0(VALU_DEP_2)
	v_and_b32_e32 v148, 0x1ffffffc, v26
                                        ; implicit-def: $vgpr26_vgpr27
	s_branch .LBB833_104
.LBB833_103:                            ;   in Loop: Header=BB833_104 Depth=2
	s_or_b32 exec_lo, exec_lo, s15
	s_addk_co_i32 s57, 0xf000
	s_cmp_lt_u32 s58, s51
	s_mov_b32 s30, s58
	s_cbranch_scc0 .LBB833_312
.LBB833_104:                            ;   Parent Loop BB833_20 Depth=1
                                        ; =>  This Inner Loop Header: Depth=2
	s_add_co_i32 s58, s30, 0x1000
	s_delay_alu instid0(SALU_CYCLE_1)
	s_cmp_gt_u32 s58, s51
	s_cbranch_scc1 .LBB833_106
; %bb.105:                              ;   in Loop: Header=BB833_104 Depth=2
	v_lshl_add_u64 v[88:89], s[30:31], 3, v[24:25]
	s_mov_b32 s15, -1
	s_clause 0xe
	global_load_b64 v[60:61], v[88:89], off
	global_load_b64 v[58:59], v[88:89], off offset:256
	global_load_b64 v[64:65], v[88:89], off offset:512
	global_load_b64 v[62:63], v[88:89], off offset:768
	global_load_b64 v[68:69], v[88:89], off offset:1024
	global_load_b64 v[66:67], v[88:89], off offset:1280
	global_load_b64 v[72:73], v[88:89], off offset:1536
	global_load_b64 v[70:71], v[88:89], off offset:1792
	global_load_b64 v[76:77], v[88:89], off offset:2048
	global_load_b64 v[74:75], v[88:89], off offset:2304
	global_load_b64 v[80:81], v[88:89], off offset:2560
	global_load_b64 v[78:79], v[88:89], off offset:2816
	global_load_b64 v[84:85], v[88:89], off offset:3072
	global_load_b64 v[82:83], v[88:89], off offset:3328
	global_load_b64 v[86:87], v[88:89], off offset:3584
	s_movk_i32 s16, 0x1000
	s_cbranch_execz .LBB833_107
	s_branch .LBB833_138
.LBB833_106:                            ;   in Loop: Header=BB833_104 Depth=2
	s_mov_b32 s15, 0
                                        ; implicit-def: $vgpr60_vgpr61
                                        ; implicit-def: $vgpr58_vgpr59
                                        ; implicit-def: $vgpr64_vgpr65
                                        ; implicit-def: $vgpr62_vgpr63
                                        ; implicit-def: $vgpr68_vgpr69
                                        ; implicit-def: $vgpr66_vgpr67
                                        ; implicit-def: $vgpr72_vgpr73
                                        ; implicit-def: $vgpr70_vgpr71
                                        ; implicit-def: $vgpr76_vgpr77
                                        ; implicit-def: $vgpr74_vgpr75
                                        ; implicit-def: $vgpr80_vgpr81
                                        ; implicit-def: $vgpr78_vgpr79
                                        ; implicit-def: $vgpr84_vgpr85
                                        ; implicit-def: $vgpr82_vgpr83
                                        ; implicit-def: $vgpr86_vgpr87
	s_movk_i32 s16, 0x1000
.LBB833_107:                            ;   in Loop: Header=BB833_104 Depth=2
	s_wait_loadcnt 0xd
	v_mov_b64_e32 v[58:59], 0x7fffffffffffffff
	v_mov_b64_e32 v[60:61], 0x7fffffffffffffff
	s_wait_xcnt 0x0
	v_lshl_add_u64 v[88:89], s[30:31], 3, v[24:25]
	s_mov_b32 s15, exec_lo
	v_cmpx_gt_u32_e64 s57, v129
	s_cbranch_execz .LBB833_109
; %bb.108:                              ;   in Loop: Header=BB833_104 Depth=2
	global_load_b64 v[60:61], v[88:89], off
.LBB833_109:                            ;   in Loop: Header=BB833_104 Depth=2
	s_wait_xcnt 0x0
	s_or_b32 exec_lo, exec_lo, s15
	s_delay_alu instid0(SALU_CYCLE_1)
	s_mov_b32 s15, exec_lo
	v_cmpx_gt_u32_e64 s57, v132
	s_cbranch_execz .LBB833_111
; %bb.110:                              ;   in Loop: Header=BB833_104 Depth=2
	global_load_b64 v[58:59], v[88:89], off offset:256
.LBB833_111:                            ;   in Loop: Header=BB833_104 Depth=2
	s_wait_xcnt 0x0
	s_or_b32 exec_lo, exec_lo, s15
	s_wait_loadcnt 0xb
	v_mov_b64_e32 v[62:63], 0x7fffffffffffffff
	v_mov_b64_e32 v[64:65], 0x7fffffffffffffff
	s_mov_b32 s15, exec_lo
	v_cmpx_gt_u32_e64 s57, v133
	s_cbranch_execz .LBB833_113
; %bb.112:                              ;   in Loop: Header=BB833_104 Depth=2
	global_load_b64 v[64:65], v[88:89], off offset:512
.LBB833_113:                            ;   in Loop: Header=BB833_104 Depth=2
	s_wait_xcnt 0x0
	s_or_b32 exec_lo, exec_lo, s15
	s_delay_alu instid0(SALU_CYCLE_1)
	s_mov_b32 s15, exec_lo
	v_cmpx_gt_u32_e64 s57, v134
	s_cbranch_execz .LBB833_115
; %bb.114:                              ;   in Loop: Header=BB833_104 Depth=2
	global_load_b64 v[62:63], v[88:89], off offset:768
.LBB833_115:                            ;   in Loop: Header=BB833_104 Depth=2
	s_wait_xcnt 0x0
	s_or_b32 exec_lo, exec_lo, s15
	s_wait_loadcnt 0x9
	v_mov_b64_e32 v[66:67], 0x7fffffffffffffff
	v_mov_b64_e32 v[68:69], 0x7fffffffffffffff
	s_mov_b32 s15, exec_lo
	v_cmpx_gt_u32_e64 s57, v135
	s_cbranch_execz .LBB833_117
; %bb.116:                              ;   in Loop: Header=BB833_104 Depth=2
	global_load_b64 v[68:69], v[88:89], off offset:1024
.LBB833_117:                            ;   in Loop: Header=BB833_104 Depth=2
	;; [unrolled: 20-line block ×6, first 2 shown]
	s_wait_xcnt 0x0
	s_or_b32 exec_lo, exec_lo, s15
	s_delay_alu instid0(SALU_CYCLE_1)
	s_mov_b32 s15, exec_lo
	v_cmpx_gt_u32_e64 s57, v144
	s_cbranch_execz .LBB833_135
; %bb.134:                              ;   in Loop: Header=BB833_104 Depth=2
	global_load_b64 v[82:83], v[88:89], off offset:3328
.LBB833_135:                            ;   in Loop: Header=BB833_104 Depth=2
	s_wait_xcnt 0x0
	s_or_b32 exec_lo, exec_lo, s15
	s_wait_loadcnt 0x0
	v_mov_b64_e32 v[86:87], 0x7fffffffffffffff
	s_mov_b32 s15, exec_lo
	v_cmpx_gt_u32_e64 s57, v145
	s_cbranch_execz .LBB833_137
; %bb.136:                              ;   in Loop: Header=BB833_104 Depth=2
	global_load_b64 v[86:87], v[88:89], off offset:3584
.LBB833_137:                            ;   in Loop: Header=BB833_104 Depth=2
	s_wait_xcnt 0x0
	s_or_b32 exec_lo, exec_lo, s15
	v_cmp_gt_u32_e64 s15, s57, v146
	s_sub_co_i32 s16, s51, s30
.LBB833_138:                            ;   in Loop: Header=BB833_104 Depth=2
	s_wait_xcnt 0x0
	v_mov_b64_e32 v[88:89], -1
	v_mov_b32_e32 v165, s57
	s_and_saveexec_b32 s17, s15
	s_cbranch_execz .LBB833_140
; %bb.139:                              ;   in Loop: Header=BB833_104 Depth=2
	v_lshl_add_u64 v[88:89], s[30:31], 3, v[24:25]
	v_mov_b32_e32 v165, s16
	global_load_b64 v[88:89], v[88:89], off offset:3840
	s_wait_loadcnt 0x0
	s_wait_xcnt 0x0
	v_xor_b32_e32 v89, 0x80000000, v89
.LBB833_140:                            ;   in Loop: Header=BB833_104 Depth=2
	s_or_b32 exec_lo, exec_lo, s17
	s_wait_loadcnt 0xe
	v_xor_b32_e32 v61, 0x80000000, v61
	v_add_nc_u32_e32 v169, 0x428, v120
	v_add_nc_u32_e32 v170, 0x430, v120
	s_delay_alu instid0(VALU_DEP_3) | instskip(NEXT) | instid1(VALU_DEP_1)
	v_lshrrev_b64 v[90:91], s48, v[60:61]
	v_bitop3_b32 v91, v90, 1, s56 bitop3:0x80
	v_and_b32_e32 v92, s56, v90
	s_delay_alu instid0(VALU_DEP_2) | instskip(NEXT) | instid1(VALU_DEP_1)
	v_add_co_u32 v90, s15, v91, -1
	v_cndmask_b32_e64 v91, 0, 1, s15
	s_delay_alu instid0(VALU_DEP_3) | instskip(NEXT) | instid1(VALU_DEP_2)
	v_lshlrev_b32_e32 v93, 30, v92
	v_cmp_ne_u32_e32 vcc_lo, 0, v91
	s_delay_alu instid0(VALU_DEP_2) | instskip(NEXT) | instid1(VALU_DEP_1)
	v_not_b32_e32 v91, v93
	v_dual_ashrrev_i32 v91, 31, v91 :: v_dual_bitop2_b32 v90, vcc_lo, v90 bitop3:0x14
	v_dual_lshlrev_b32 v94, 29, v92 :: v_dual_lshlrev_b32 v95, 28, v92
	v_dual_lshlrev_b32 v96, 27, v92 :: v_dual_lshlrev_b32 v97, 26, v92
	v_lshlrev_b32_e32 v166, 25, v92
	v_cmp_gt_i32_e64 s15, 0, v93
	s_delay_alu instid0(VALU_DEP_4)
	v_cmp_gt_i32_e64 s16, 0, v94
	v_not_b32_e32 v93, v94
	v_not_b32_e32 v94, v95
	v_lshlrev_b32_e32 v167, 24, v92
	v_cmp_gt_i32_e64 s17, 0, v95
	v_cmp_gt_i32_e64 s18, 0, v96
	v_not_b32_e32 v95, v96
	v_cmp_gt_i32_e64 s19, 0, v97
	v_not_b32_e32 v96, v97
	v_not_b32_e32 v97, v166
	v_dual_ashrrev_i32 v93, 31, v93 :: v_dual_ashrrev_i32 v94, 31, v94
	v_xor_b32_e32 v91, s15, v91
	v_not_b32_e32 v168, v167
	v_dual_ashrrev_i32 v95, 31, v95 :: v_dual_ashrrev_i32 v96, 31, v96
	s_delay_alu instid0(VALU_DEP_4) | instskip(SKIP_2) | instid1(VALU_DEP_4)
	v_xor_b32_e32 v93, s16, v93
	v_xor_b32_e32 v94, s17, v94
	v_bitop3_b32 v90, v90, v91, exec_lo bitop3:0x80
	v_xor_b32_e32 v95, s18, v95
	v_xor_b32_e32 v91, s19, v96
	v_cmp_gt_i32_e32 vcc_lo, 0, v166
	v_ashrrev_i32_e32 v96, 31, v97
	v_cmp_gt_i32_e64 s15, 0, v167
	v_ashrrev_i32_e32 v97, 31, v168
	v_bitop3_b32 v90, v90, v94, v93 bitop3:0x80
	v_add_nc_u32_e32 v167, 0x438, v120
	v_xor_b32_e32 v93, vcc_lo, v96
	v_add_nc_u32_e32 v168, 0x420, v120
	v_xor_b32_e32 v94, s15, v97
	v_bitop3_b32 v90, v90, v91, v95 bitop3:0x80
	v_mul_u32_u24_e32 v91, 36, v92
	ds_store_2addr_b32 v167, v5, v5 offset1:1
	ds_store_2addr_b32 v168, v5, v5 offset1:1
	;; [unrolled: 1-line block ×4, first 2 shown]
	ds_store_b32 v120, v5 offset:1088
	s_wait_loadcnt_dscnt 0x0
	v_bitop3_b32 v90, v90, v94, v93 bitop3:0x80
	v_add_nc_u32_e32 v171, v148, v91
	s_barrier_signal -1
	s_barrier_wait -1
	s_delay_alu instid0(VALU_DEP_2) | instskip(SKIP_1) | instid1(VALU_DEP_2)
	v_mbcnt_lo_u32_b32 v166, v90, 0
	v_cmp_ne_u32_e64 s15, 0, v90
	; wave barrier
	v_cmp_eq_u32_e32 vcc_lo, 0, v166
	s_and_b32 s16, s15, vcc_lo
	s_delay_alu instid0(SALU_CYCLE_1)
	s_and_saveexec_b32 s15, s16
; %bb.141:                              ;   in Loop: Header=BB833_104 Depth=2
	v_bcnt_u32_b32 v90, v90, 0
	ds_store_b32 v171, v90 offset:1056
; %bb.142:                              ;   in Loop: Header=BB833_104 Depth=2
	s_or_b32 exec_lo, exec_lo, s15
	v_xor_b32_e32 v59, 0x80000000, v59
	; wave barrier
	s_delay_alu instid0(VALU_DEP_1) | instskip(NEXT) | instid1(VALU_DEP_1)
	v_lshrrev_b64 v[90:91], s48, v[58:59]
	v_bitop3_b32 v91, v90, 1, s56 bitop3:0x80
	v_and_b32_e32 v92, s56, v90
	s_delay_alu instid0(VALU_DEP_2) | instskip(NEXT) | instid1(VALU_DEP_1)
	v_add_co_u32 v90, s15, v91, -1
	v_cndmask_b32_e64 v91, 0, 1, s15
	s_delay_alu instid0(VALU_DEP_3) | instskip(NEXT) | instid1(VALU_DEP_2)
	v_lshlrev_b32_e32 v93, 30, v92
	v_cmp_ne_u32_e32 vcc_lo, 0, v91
	s_delay_alu instid0(VALU_DEP_2) | instskip(NEXT) | instid1(VALU_DEP_1)
	v_not_b32_e32 v91, v93
	v_dual_ashrrev_i32 v91, 31, v91 :: v_dual_bitop2_b32 v90, vcc_lo, v90 bitop3:0x14
	v_dual_lshlrev_b32 v94, 29, v92 :: v_dual_lshlrev_b32 v95, 28, v92
	v_dual_lshlrev_b32 v96, 27, v92 :: v_dual_lshlrev_b32 v97, 26, v92
	v_lshlrev_b32_e32 v172, 25, v92
	v_cmp_gt_i32_e64 s15, 0, v93
	s_delay_alu instid0(VALU_DEP_4)
	v_cmp_gt_i32_e64 s16, 0, v94
	v_not_b32_e32 v93, v94
	v_not_b32_e32 v94, v95
	v_lshlrev_b32_e32 v173, 24, v92
	v_cmp_gt_i32_e64 s17, 0, v95
	v_cmp_gt_i32_e64 s18, 0, v96
	v_not_b32_e32 v95, v96
	v_cmp_gt_i32_e64 s19, 0, v97
	v_not_b32_e32 v96, v97
	v_not_b32_e32 v97, v172
	v_dual_ashrrev_i32 v93, 31, v93 :: v_dual_ashrrev_i32 v94, 31, v94
	v_xor_b32_e32 v91, s15, v91
	v_not_b32_e32 v174, v173
	v_dual_ashrrev_i32 v95, 31, v95 :: v_dual_ashrrev_i32 v96, 31, v96
	s_delay_alu instid0(VALU_DEP_4) | instskip(SKIP_2) | instid1(VALU_DEP_4)
	v_xor_b32_e32 v93, s16, v93
	v_xor_b32_e32 v94, s17, v94
	v_bitop3_b32 v90, v90, v91, exec_lo bitop3:0x80
	v_xor_b32_e32 v95, s18, v95
	v_xor_b32_e32 v91, s19, v96
	v_cmp_gt_i32_e32 vcc_lo, 0, v172
	v_ashrrev_i32_e32 v96, 31, v97
	v_cmp_gt_i32_e64 s15, 0, v173
	v_ashrrev_i32_e32 v97, 31, v174
	v_bitop3_b32 v90, v90, v94, v93 bitop3:0x80
	v_mad_u32_u24 v93, v92, 36, v148
	v_xor_b32_e32 v94, vcc_lo, v96
	s_delay_alu instid0(VALU_DEP_4) | instskip(NEXT) | instid1(VALU_DEP_4)
	v_xor_b32_e32 v96, s15, v97
	v_bitop3_b32 v90, v90, v91, v95 bitop3:0x80
	ds_load_b32 v172, v93 offset:1056
	v_mul_u32_u24_e32 v91, 36, v92
	; wave barrier
	v_bitop3_b32 v90, v90, v96, v94 bitop3:0x80
	s_delay_alu instid0(VALU_DEP_2) | instskip(NEXT) | instid1(VALU_DEP_2)
	v_add_nc_u32_e32 v174, v148, v91
	v_mbcnt_lo_u32_b32 v173, v90, 0
	v_cmp_ne_u32_e64 s15, 0, v90
	s_delay_alu instid0(VALU_DEP_2) | instskip(SKIP_1) | instid1(SALU_CYCLE_1)
	v_cmp_eq_u32_e32 vcc_lo, 0, v173
	s_and_b32 s16, s15, vcc_lo
	s_and_saveexec_b32 s15, s16
	s_cbranch_execz .LBB833_144
; %bb.143:                              ;   in Loop: Header=BB833_104 Depth=2
	s_wait_dscnt 0x0
	v_bcnt_u32_b32 v90, v90, v172
	ds_store_b32 v174, v90 offset:1056
.LBB833_144:                            ;   in Loop: Header=BB833_104 Depth=2
	s_or_b32 exec_lo, exec_lo, s15
	v_xor_b32_e32 v65, 0x80000000, v65
	; wave barrier
	s_delay_alu instid0(VALU_DEP_1) | instskip(NEXT) | instid1(VALU_DEP_1)
	v_lshrrev_b64 v[90:91], s48, v[64:65]
	v_bitop3_b32 v91, v90, 1, s56 bitop3:0x80
	v_and_b32_e32 v92, s56, v90
	s_delay_alu instid0(VALU_DEP_2) | instskip(NEXT) | instid1(VALU_DEP_1)
	v_add_co_u32 v90, s15, v91, -1
	v_cndmask_b32_e64 v91, 0, 1, s15
	s_delay_alu instid0(VALU_DEP_3) | instskip(NEXT) | instid1(VALU_DEP_2)
	v_lshlrev_b32_e32 v93, 30, v92
	v_cmp_ne_u32_e32 vcc_lo, 0, v91
	s_delay_alu instid0(VALU_DEP_2) | instskip(NEXT) | instid1(VALU_DEP_1)
	v_not_b32_e32 v91, v93
	v_dual_ashrrev_i32 v91, 31, v91 :: v_dual_bitop2_b32 v90, vcc_lo, v90 bitop3:0x14
	v_dual_lshlrev_b32 v94, 29, v92 :: v_dual_lshlrev_b32 v95, 28, v92
	v_dual_lshlrev_b32 v96, 27, v92 :: v_dual_lshlrev_b32 v97, 26, v92
	v_lshlrev_b32_e32 v175, 25, v92
	v_cmp_gt_i32_e64 s15, 0, v93
	s_delay_alu instid0(VALU_DEP_4)
	v_cmp_gt_i32_e64 s16, 0, v94
	v_not_b32_e32 v93, v94
	v_not_b32_e32 v94, v95
	v_lshlrev_b32_e32 v176, 24, v92
	v_cmp_gt_i32_e64 s17, 0, v95
	v_cmp_gt_i32_e64 s18, 0, v96
	v_not_b32_e32 v95, v96
	v_cmp_gt_i32_e64 s19, 0, v97
	v_not_b32_e32 v96, v97
	v_not_b32_e32 v97, v175
	v_dual_ashrrev_i32 v93, 31, v93 :: v_dual_ashrrev_i32 v94, 31, v94
	v_xor_b32_e32 v91, s15, v91
	v_not_b32_e32 v177, v176
	v_dual_ashrrev_i32 v95, 31, v95 :: v_dual_ashrrev_i32 v96, 31, v96
	s_delay_alu instid0(VALU_DEP_4) | instskip(SKIP_2) | instid1(VALU_DEP_4)
	v_xor_b32_e32 v93, s16, v93
	v_xor_b32_e32 v94, s17, v94
	v_bitop3_b32 v90, v90, v91, exec_lo bitop3:0x80
	v_xor_b32_e32 v95, s18, v95
	v_xor_b32_e32 v91, s19, v96
	v_cmp_gt_i32_e32 vcc_lo, 0, v175
	v_ashrrev_i32_e32 v96, 31, v97
	v_cmp_gt_i32_e64 s15, 0, v176
	v_ashrrev_i32_e32 v97, 31, v177
	v_bitop3_b32 v90, v90, v94, v93 bitop3:0x80
	v_mad_u32_u24 v93, v92, 36, v148
	v_xor_b32_e32 v94, vcc_lo, v96
	s_delay_alu instid0(VALU_DEP_4) | instskip(NEXT) | instid1(VALU_DEP_4)
	v_xor_b32_e32 v96, s15, v97
	v_bitop3_b32 v90, v90, v91, v95 bitop3:0x80
	ds_load_b32 v175, v93 offset:1056
	v_mul_u32_u24_e32 v91, 36, v92
	; wave barrier
	v_bitop3_b32 v90, v90, v96, v94 bitop3:0x80
	s_delay_alu instid0(VALU_DEP_2) | instskip(NEXT) | instid1(VALU_DEP_2)
	v_add_nc_u32_e32 v177, v148, v91
	v_mbcnt_lo_u32_b32 v176, v90, 0
	v_cmp_ne_u32_e64 s15, 0, v90
	s_delay_alu instid0(VALU_DEP_2) | instskip(SKIP_1) | instid1(SALU_CYCLE_1)
	v_cmp_eq_u32_e32 vcc_lo, 0, v176
	s_and_b32 s16, s15, vcc_lo
	s_and_saveexec_b32 s15, s16
	s_cbranch_execz .LBB833_146
; %bb.145:                              ;   in Loop: Header=BB833_104 Depth=2
	s_wait_dscnt 0x0
	v_bcnt_u32_b32 v90, v90, v175
	ds_store_b32 v177, v90 offset:1056
.LBB833_146:                            ;   in Loop: Header=BB833_104 Depth=2
	s_or_b32 exec_lo, exec_lo, s15
	v_xor_b32_e32 v63, 0x80000000, v63
	; wave barrier
	s_delay_alu instid0(VALU_DEP_1) | instskip(NEXT) | instid1(VALU_DEP_1)
	v_lshrrev_b64 v[90:91], s48, v[62:63]
	v_bitop3_b32 v91, v90, 1, s56 bitop3:0x80
	v_and_b32_e32 v92, s56, v90
	s_delay_alu instid0(VALU_DEP_2) | instskip(NEXT) | instid1(VALU_DEP_1)
	v_add_co_u32 v90, s15, v91, -1
	v_cndmask_b32_e64 v91, 0, 1, s15
	s_delay_alu instid0(VALU_DEP_3) | instskip(NEXT) | instid1(VALU_DEP_2)
	v_lshlrev_b32_e32 v93, 30, v92
	v_cmp_ne_u32_e32 vcc_lo, 0, v91
	s_delay_alu instid0(VALU_DEP_2) | instskip(NEXT) | instid1(VALU_DEP_1)
	v_not_b32_e32 v91, v93
	v_dual_ashrrev_i32 v91, 31, v91 :: v_dual_bitop2_b32 v90, vcc_lo, v90 bitop3:0x14
	v_dual_lshlrev_b32 v94, 29, v92 :: v_dual_lshlrev_b32 v95, 28, v92
	v_dual_lshlrev_b32 v96, 27, v92 :: v_dual_lshlrev_b32 v97, 26, v92
	v_lshlrev_b32_e32 v178, 25, v92
	v_cmp_gt_i32_e64 s15, 0, v93
	s_delay_alu instid0(VALU_DEP_4)
	v_cmp_gt_i32_e64 s16, 0, v94
	v_not_b32_e32 v93, v94
	v_not_b32_e32 v94, v95
	v_lshlrev_b32_e32 v179, 24, v92
	v_cmp_gt_i32_e64 s17, 0, v95
	v_cmp_gt_i32_e64 s18, 0, v96
	v_not_b32_e32 v95, v96
	v_cmp_gt_i32_e64 s19, 0, v97
	v_not_b32_e32 v96, v97
	v_not_b32_e32 v97, v178
	v_dual_ashrrev_i32 v93, 31, v93 :: v_dual_ashrrev_i32 v94, 31, v94
	v_xor_b32_e32 v91, s15, v91
	v_not_b32_e32 v180, v179
	v_dual_ashrrev_i32 v95, 31, v95 :: v_dual_ashrrev_i32 v96, 31, v96
	s_delay_alu instid0(VALU_DEP_4) | instskip(SKIP_2) | instid1(VALU_DEP_4)
	v_xor_b32_e32 v93, s16, v93
	v_xor_b32_e32 v94, s17, v94
	v_bitop3_b32 v90, v90, v91, exec_lo bitop3:0x80
	v_xor_b32_e32 v95, s18, v95
	v_xor_b32_e32 v91, s19, v96
	v_cmp_gt_i32_e32 vcc_lo, 0, v178
	v_ashrrev_i32_e32 v96, 31, v97
	v_cmp_gt_i32_e64 s15, 0, v179
	v_ashrrev_i32_e32 v97, 31, v180
	v_bitop3_b32 v90, v90, v94, v93 bitop3:0x80
	v_mad_u32_u24 v93, v92, 36, v148
	v_xor_b32_e32 v94, vcc_lo, v96
	s_delay_alu instid0(VALU_DEP_4) | instskip(NEXT) | instid1(VALU_DEP_4)
	v_xor_b32_e32 v96, s15, v97
	v_bitop3_b32 v90, v90, v91, v95 bitop3:0x80
	ds_load_b32 v178, v93 offset:1056
	v_mul_u32_u24_e32 v91, 36, v92
	; wave barrier
	v_bitop3_b32 v90, v90, v96, v94 bitop3:0x80
	s_delay_alu instid0(VALU_DEP_2) | instskip(NEXT) | instid1(VALU_DEP_2)
	v_add_nc_u32_e32 v180, v148, v91
	v_mbcnt_lo_u32_b32 v179, v90, 0
	v_cmp_ne_u32_e64 s15, 0, v90
	s_delay_alu instid0(VALU_DEP_2) | instskip(SKIP_1) | instid1(SALU_CYCLE_1)
	v_cmp_eq_u32_e32 vcc_lo, 0, v179
	s_and_b32 s16, s15, vcc_lo
	s_and_saveexec_b32 s15, s16
	s_cbranch_execz .LBB833_148
; %bb.147:                              ;   in Loop: Header=BB833_104 Depth=2
	s_wait_dscnt 0x0
	v_bcnt_u32_b32 v90, v90, v178
	ds_store_b32 v180, v90 offset:1056
.LBB833_148:                            ;   in Loop: Header=BB833_104 Depth=2
	s_or_b32 exec_lo, exec_lo, s15
	v_xor_b32_e32 v69, 0x80000000, v69
	; wave barrier
	s_delay_alu instid0(VALU_DEP_1) | instskip(NEXT) | instid1(VALU_DEP_1)
	v_lshrrev_b64 v[90:91], s48, v[68:69]
	v_bitop3_b32 v91, v90, 1, s56 bitop3:0x80
	v_and_b32_e32 v92, s56, v90
	s_delay_alu instid0(VALU_DEP_2) | instskip(NEXT) | instid1(VALU_DEP_1)
	v_add_co_u32 v90, s15, v91, -1
	v_cndmask_b32_e64 v91, 0, 1, s15
	s_delay_alu instid0(VALU_DEP_3) | instskip(NEXT) | instid1(VALU_DEP_2)
	v_lshlrev_b32_e32 v93, 30, v92
	v_cmp_ne_u32_e32 vcc_lo, 0, v91
	s_delay_alu instid0(VALU_DEP_2) | instskip(NEXT) | instid1(VALU_DEP_1)
	v_not_b32_e32 v91, v93
	v_dual_ashrrev_i32 v91, 31, v91 :: v_dual_bitop2_b32 v90, vcc_lo, v90 bitop3:0x14
	v_dual_lshlrev_b32 v94, 29, v92 :: v_dual_lshlrev_b32 v95, 28, v92
	v_dual_lshlrev_b32 v96, 27, v92 :: v_dual_lshlrev_b32 v97, 26, v92
	v_lshlrev_b32_e32 v181, 25, v92
	v_cmp_gt_i32_e64 s15, 0, v93
	s_delay_alu instid0(VALU_DEP_4)
	v_cmp_gt_i32_e64 s16, 0, v94
	v_not_b32_e32 v93, v94
	v_not_b32_e32 v94, v95
	v_lshlrev_b32_e32 v182, 24, v92
	v_cmp_gt_i32_e64 s17, 0, v95
	v_cmp_gt_i32_e64 s18, 0, v96
	v_not_b32_e32 v95, v96
	v_cmp_gt_i32_e64 s19, 0, v97
	v_not_b32_e32 v96, v97
	v_not_b32_e32 v97, v181
	v_dual_ashrrev_i32 v93, 31, v93 :: v_dual_ashrrev_i32 v94, 31, v94
	v_xor_b32_e32 v91, s15, v91
	v_not_b32_e32 v183, v182
	v_dual_ashrrev_i32 v95, 31, v95 :: v_dual_ashrrev_i32 v96, 31, v96
	s_delay_alu instid0(VALU_DEP_4) | instskip(SKIP_2) | instid1(VALU_DEP_4)
	v_xor_b32_e32 v93, s16, v93
	v_xor_b32_e32 v94, s17, v94
	v_bitop3_b32 v90, v90, v91, exec_lo bitop3:0x80
	v_xor_b32_e32 v95, s18, v95
	v_xor_b32_e32 v91, s19, v96
	v_cmp_gt_i32_e32 vcc_lo, 0, v181
	v_ashrrev_i32_e32 v96, 31, v97
	v_cmp_gt_i32_e64 s15, 0, v182
	v_ashrrev_i32_e32 v97, 31, v183
	v_bitop3_b32 v90, v90, v94, v93 bitop3:0x80
	v_mad_u32_u24 v93, v92, 36, v148
	v_xor_b32_e32 v94, vcc_lo, v96
	s_delay_alu instid0(VALU_DEP_4) | instskip(NEXT) | instid1(VALU_DEP_4)
	v_xor_b32_e32 v96, s15, v97
	v_bitop3_b32 v90, v90, v91, v95 bitop3:0x80
	ds_load_b32 v181, v93 offset:1056
	v_mul_u32_u24_e32 v91, 36, v92
	; wave barrier
	v_bitop3_b32 v90, v90, v96, v94 bitop3:0x80
	s_delay_alu instid0(VALU_DEP_2) | instskip(NEXT) | instid1(VALU_DEP_2)
	v_add_nc_u32_e32 v183, v148, v91
	v_mbcnt_lo_u32_b32 v182, v90, 0
	v_cmp_ne_u32_e64 s15, 0, v90
	s_delay_alu instid0(VALU_DEP_2) | instskip(SKIP_1) | instid1(SALU_CYCLE_1)
	v_cmp_eq_u32_e32 vcc_lo, 0, v182
	s_and_b32 s16, s15, vcc_lo
	s_and_saveexec_b32 s15, s16
	s_cbranch_execz .LBB833_150
; %bb.149:                              ;   in Loop: Header=BB833_104 Depth=2
	s_wait_dscnt 0x0
	v_bcnt_u32_b32 v90, v90, v181
	ds_store_b32 v183, v90 offset:1056
.LBB833_150:                            ;   in Loop: Header=BB833_104 Depth=2
	s_or_b32 exec_lo, exec_lo, s15
	v_xor_b32_e32 v67, 0x80000000, v67
	; wave barrier
	s_delay_alu instid0(VALU_DEP_1) | instskip(NEXT) | instid1(VALU_DEP_1)
	v_lshrrev_b64 v[90:91], s48, v[66:67]
	v_bitop3_b32 v91, v90, 1, s56 bitop3:0x80
	v_and_b32_e32 v92, s56, v90
	s_delay_alu instid0(VALU_DEP_2) | instskip(NEXT) | instid1(VALU_DEP_1)
	v_add_co_u32 v90, s15, v91, -1
	v_cndmask_b32_e64 v91, 0, 1, s15
	s_delay_alu instid0(VALU_DEP_3) | instskip(NEXT) | instid1(VALU_DEP_2)
	v_lshlrev_b32_e32 v93, 30, v92
	v_cmp_ne_u32_e32 vcc_lo, 0, v91
	s_delay_alu instid0(VALU_DEP_2) | instskip(NEXT) | instid1(VALU_DEP_1)
	v_not_b32_e32 v91, v93
	v_dual_ashrrev_i32 v91, 31, v91 :: v_dual_bitop2_b32 v90, vcc_lo, v90 bitop3:0x14
	v_dual_lshlrev_b32 v94, 29, v92 :: v_dual_lshlrev_b32 v95, 28, v92
	v_dual_lshlrev_b32 v96, 27, v92 :: v_dual_lshlrev_b32 v97, 26, v92
	v_lshlrev_b32_e32 v184, 25, v92
	v_cmp_gt_i32_e64 s15, 0, v93
	s_delay_alu instid0(VALU_DEP_4)
	v_cmp_gt_i32_e64 s16, 0, v94
	v_not_b32_e32 v93, v94
	v_not_b32_e32 v94, v95
	v_lshlrev_b32_e32 v185, 24, v92
	v_cmp_gt_i32_e64 s17, 0, v95
	v_cmp_gt_i32_e64 s18, 0, v96
	v_not_b32_e32 v95, v96
	v_cmp_gt_i32_e64 s19, 0, v97
	v_not_b32_e32 v96, v97
	v_not_b32_e32 v97, v184
	v_dual_ashrrev_i32 v93, 31, v93 :: v_dual_ashrrev_i32 v94, 31, v94
	v_xor_b32_e32 v91, s15, v91
	v_not_b32_e32 v186, v185
	v_dual_ashrrev_i32 v95, 31, v95 :: v_dual_ashrrev_i32 v96, 31, v96
	s_delay_alu instid0(VALU_DEP_4) | instskip(SKIP_2) | instid1(VALU_DEP_4)
	v_xor_b32_e32 v93, s16, v93
	v_xor_b32_e32 v94, s17, v94
	v_bitop3_b32 v90, v90, v91, exec_lo bitop3:0x80
	v_xor_b32_e32 v95, s18, v95
	v_xor_b32_e32 v91, s19, v96
	v_cmp_gt_i32_e32 vcc_lo, 0, v184
	v_ashrrev_i32_e32 v96, 31, v97
	v_cmp_gt_i32_e64 s15, 0, v185
	v_ashrrev_i32_e32 v97, 31, v186
	v_bitop3_b32 v90, v90, v94, v93 bitop3:0x80
	v_mad_u32_u24 v93, v92, 36, v148
	v_xor_b32_e32 v94, vcc_lo, v96
	s_delay_alu instid0(VALU_DEP_4) | instskip(NEXT) | instid1(VALU_DEP_4)
	v_xor_b32_e32 v96, s15, v97
	v_bitop3_b32 v90, v90, v91, v95 bitop3:0x80
	ds_load_b32 v184, v93 offset:1056
	v_mul_u32_u24_e32 v91, 36, v92
	; wave barrier
	v_bitop3_b32 v90, v90, v96, v94 bitop3:0x80
	s_delay_alu instid0(VALU_DEP_2) | instskip(NEXT) | instid1(VALU_DEP_2)
	v_add_nc_u32_e32 v186, v148, v91
	v_mbcnt_lo_u32_b32 v185, v90, 0
	v_cmp_ne_u32_e64 s15, 0, v90
	s_delay_alu instid0(VALU_DEP_2) | instskip(SKIP_1) | instid1(SALU_CYCLE_1)
	v_cmp_eq_u32_e32 vcc_lo, 0, v185
	s_and_b32 s16, s15, vcc_lo
	s_and_saveexec_b32 s15, s16
	s_cbranch_execz .LBB833_152
; %bb.151:                              ;   in Loop: Header=BB833_104 Depth=2
	s_wait_dscnt 0x0
	v_bcnt_u32_b32 v90, v90, v184
	ds_store_b32 v186, v90 offset:1056
.LBB833_152:                            ;   in Loop: Header=BB833_104 Depth=2
	s_or_b32 exec_lo, exec_lo, s15
	v_xor_b32_e32 v73, 0x80000000, v73
	; wave barrier
	s_delay_alu instid0(VALU_DEP_1) | instskip(NEXT) | instid1(VALU_DEP_1)
	v_lshrrev_b64 v[90:91], s48, v[72:73]
	v_bitop3_b32 v91, v90, 1, s56 bitop3:0x80
	v_and_b32_e32 v92, s56, v90
	s_delay_alu instid0(VALU_DEP_2) | instskip(NEXT) | instid1(VALU_DEP_1)
	v_add_co_u32 v90, s15, v91, -1
	v_cndmask_b32_e64 v91, 0, 1, s15
	s_delay_alu instid0(VALU_DEP_3) | instskip(NEXT) | instid1(VALU_DEP_2)
	v_lshlrev_b32_e32 v93, 30, v92
	v_cmp_ne_u32_e32 vcc_lo, 0, v91
	s_delay_alu instid0(VALU_DEP_2) | instskip(NEXT) | instid1(VALU_DEP_1)
	v_not_b32_e32 v91, v93
	v_dual_ashrrev_i32 v91, 31, v91 :: v_dual_bitop2_b32 v90, vcc_lo, v90 bitop3:0x14
	v_dual_lshlrev_b32 v94, 29, v92 :: v_dual_lshlrev_b32 v95, 28, v92
	v_dual_lshlrev_b32 v96, 27, v92 :: v_dual_lshlrev_b32 v97, 26, v92
	v_lshlrev_b32_e32 v187, 25, v92
	v_cmp_gt_i32_e64 s15, 0, v93
	s_delay_alu instid0(VALU_DEP_4)
	v_cmp_gt_i32_e64 s16, 0, v94
	v_not_b32_e32 v93, v94
	v_not_b32_e32 v94, v95
	v_lshlrev_b32_e32 v188, 24, v92
	v_cmp_gt_i32_e64 s17, 0, v95
	v_cmp_gt_i32_e64 s18, 0, v96
	v_not_b32_e32 v95, v96
	v_cmp_gt_i32_e64 s19, 0, v97
	v_not_b32_e32 v96, v97
	v_not_b32_e32 v97, v187
	v_dual_ashrrev_i32 v93, 31, v93 :: v_dual_ashrrev_i32 v94, 31, v94
	v_xor_b32_e32 v91, s15, v91
	v_not_b32_e32 v189, v188
	v_dual_ashrrev_i32 v95, 31, v95 :: v_dual_ashrrev_i32 v96, 31, v96
	s_delay_alu instid0(VALU_DEP_4) | instskip(SKIP_2) | instid1(VALU_DEP_4)
	v_xor_b32_e32 v93, s16, v93
	v_xor_b32_e32 v94, s17, v94
	v_bitop3_b32 v90, v90, v91, exec_lo bitop3:0x80
	v_xor_b32_e32 v95, s18, v95
	v_xor_b32_e32 v91, s19, v96
	v_cmp_gt_i32_e32 vcc_lo, 0, v187
	v_ashrrev_i32_e32 v96, 31, v97
	v_cmp_gt_i32_e64 s15, 0, v188
	v_ashrrev_i32_e32 v97, 31, v189
	v_bitop3_b32 v90, v90, v94, v93 bitop3:0x80
	v_mad_u32_u24 v93, v92, 36, v148
	v_xor_b32_e32 v94, vcc_lo, v96
	s_delay_alu instid0(VALU_DEP_4) | instskip(NEXT) | instid1(VALU_DEP_4)
	v_xor_b32_e32 v96, s15, v97
	v_bitop3_b32 v90, v90, v91, v95 bitop3:0x80
	ds_load_b32 v187, v93 offset:1056
	v_mul_u32_u24_e32 v91, 36, v92
	; wave barrier
	v_bitop3_b32 v90, v90, v96, v94 bitop3:0x80
	s_delay_alu instid0(VALU_DEP_2) | instskip(NEXT) | instid1(VALU_DEP_2)
	v_add_nc_u32_e32 v189, v148, v91
	v_mbcnt_lo_u32_b32 v188, v90, 0
	v_cmp_ne_u32_e64 s15, 0, v90
	s_delay_alu instid0(VALU_DEP_2) | instskip(SKIP_1) | instid1(SALU_CYCLE_1)
	v_cmp_eq_u32_e32 vcc_lo, 0, v188
	s_and_b32 s16, s15, vcc_lo
	s_and_saveexec_b32 s15, s16
	s_cbranch_execz .LBB833_154
; %bb.153:                              ;   in Loop: Header=BB833_104 Depth=2
	s_wait_dscnt 0x0
	v_bcnt_u32_b32 v90, v90, v187
	ds_store_b32 v189, v90 offset:1056
.LBB833_154:                            ;   in Loop: Header=BB833_104 Depth=2
	s_or_b32 exec_lo, exec_lo, s15
	v_xor_b32_e32 v71, 0x80000000, v71
	; wave barrier
	s_delay_alu instid0(VALU_DEP_1) | instskip(NEXT) | instid1(VALU_DEP_1)
	v_lshrrev_b64 v[90:91], s48, v[70:71]
	v_bitop3_b32 v91, v90, 1, s56 bitop3:0x80
	v_and_b32_e32 v92, s56, v90
	s_delay_alu instid0(VALU_DEP_2) | instskip(NEXT) | instid1(VALU_DEP_1)
	v_add_co_u32 v90, s15, v91, -1
	v_cndmask_b32_e64 v91, 0, 1, s15
	s_delay_alu instid0(VALU_DEP_3) | instskip(NEXT) | instid1(VALU_DEP_2)
	v_lshlrev_b32_e32 v93, 30, v92
	v_cmp_ne_u32_e32 vcc_lo, 0, v91
	s_delay_alu instid0(VALU_DEP_2) | instskip(NEXT) | instid1(VALU_DEP_1)
	v_not_b32_e32 v91, v93
	v_dual_ashrrev_i32 v91, 31, v91 :: v_dual_bitop2_b32 v90, vcc_lo, v90 bitop3:0x14
	v_dual_lshlrev_b32 v94, 29, v92 :: v_dual_lshlrev_b32 v95, 28, v92
	v_dual_lshlrev_b32 v96, 27, v92 :: v_dual_lshlrev_b32 v97, 26, v92
	v_lshlrev_b32_e32 v190, 25, v92
	v_cmp_gt_i32_e64 s15, 0, v93
	s_delay_alu instid0(VALU_DEP_4)
	v_cmp_gt_i32_e64 s16, 0, v94
	v_not_b32_e32 v93, v94
	v_not_b32_e32 v94, v95
	v_lshlrev_b32_e32 v191, 24, v92
	v_cmp_gt_i32_e64 s17, 0, v95
	v_cmp_gt_i32_e64 s18, 0, v96
	v_not_b32_e32 v95, v96
	v_cmp_gt_i32_e64 s19, 0, v97
	v_not_b32_e32 v96, v97
	v_not_b32_e32 v97, v190
	v_dual_ashrrev_i32 v93, 31, v93 :: v_dual_ashrrev_i32 v94, 31, v94
	v_xor_b32_e32 v91, s15, v91
	v_not_b32_e32 v192, v191
	v_dual_ashrrev_i32 v95, 31, v95 :: v_dual_ashrrev_i32 v96, 31, v96
	s_delay_alu instid0(VALU_DEP_4) | instskip(SKIP_2) | instid1(VALU_DEP_4)
	v_xor_b32_e32 v93, s16, v93
	v_xor_b32_e32 v94, s17, v94
	v_bitop3_b32 v90, v90, v91, exec_lo bitop3:0x80
	v_xor_b32_e32 v95, s18, v95
	v_xor_b32_e32 v91, s19, v96
	v_cmp_gt_i32_e32 vcc_lo, 0, v190
	v_ashrrev_i32_e32 v96, 31, v97
	v_cmp_gt_i32_e64 s15, 0, v191
	v_ashrrev_i32_e32 v97, 31, v192
	v_bitop3_b32 v90, v90, v94, v93 bitop3:0x80
	v_mad_u32_u24 v93, v92, 36, v148
	v_xor_b32_e32 v94, vcc_lo, v96
	s_delay_alu instid0(VALU_DEP_4) | instskip(NEXT) | instid1(VALU_DEP_4)
	v_xor_b32_e32 v96, s15, v97
	v_bitop3_b32 v90, v90, v91, v95 bitop3:0x80
	ds_load_b32 v190, v93 offset:1056
	v_mul_u32_u24_e32 v91, 36, v92
	; wave barrier
	v_bitop3_b32 v90, v90, v96, v94 bitop3:0x80
	s_delay_alu instid0(VALU_DEP_2) | instskip(NEXT) | instid1(VALU_DEP_2)
	v_add_nc_u32_e32 v192, v148, v91
	v_mbcnt_lo_u32_b32 v191, v90, 0
	v_cmp_ne_u32_e64 s15, 0, v90
	s_delay_alu instid0(VALU_DEP_2) | instskip(SKIP_1) | instid1(SALU_CYCLE_1)
	v_cmp_eq_u32_e32 vcc_lo, 0, v191
	s_and_b32 s16, s15, vcc_lo
	s_and_saveexec_b32 s15, s16
	s_cbranch_execz .LBB833_156
; %bb.155:                              ;   in Loop: Header=BB833_104 Depth=2
	s_wait_dscnt 0x0
	v_bcnt_u32_b32 v90, v90, v190
	ds_store_b32 v192, v90 offset:1056
.LBB833_156:                            ;   in Loop: Header=BB833_104 Depth=2
	s_or_b32 exec_lo, exec_lo, s15
	v_xor_b32_e32 v77, 0x80000000, v77
	; wave barrier
	s_delay_alu instid0(VALU_DEP_1) | instskip(NEXT) | instid1(VALU_DEP_1)
	v_lshrrev_b64 v[90:91], s48, v[76:77]
	v_bitop3_b32 v91, v90, 1, s56 bitop3:0x80
	v_and_b32_e32 v92, s56, v90
	s_delay_alu instid0(VALU_DEP_2) | instskip(NEXT) | instid1(VALU_DEP_1)
	v_add_co_u32 v90, s15, v91, -1
	v_cndmask_b32_e64 v91, 0, 1, s15
	s_delay_alu instid0(VALU_DEP_3) | instskip(NEXT) | instid1(VALU_DEP_2)
	v_lshlrev_b32_e32 v93, 30, v92
	v_cmp_ne_u32_e32 vcc_lo, 0, v91
	s_delay_alu instid0(VALU_DEP_2) | instskip(NEXT) | instid1(VALU_DEP_1)
	v_not_b32_e32 v91, v93
	v_dual_ashrrev_i32 v91, 31, v91 :: v_dual_bitop2_b32 v90, vcc_lo, v90 bitop3:0x14
	v_dual_lshlrev_b32 v94, 29, v92 :: v_dual_lshlrev_b32 v95, 28, v92
	v_dual_lshlrev_b32 v96, 27, v92 :: v_dual_lshlrev_b32 v97, 26, v92
	v_lshlrev_b32_e32 v193, 25, v92
	v_cmp_gt_i32_e64 s15, 0, v93
	s_delay_alu instid0(VALU_DEP_4)
	v_cmp_gt_i32_e64 s16, 0, v94
	v_not_b32_e32 v93, v94
	v_not_b32_e32 v94, v95
	v_lshlrev_b32_e32 v194, 24, v92
	v_cmp_gt_i32_e64 s17, 0, v95
	v_cmp_gt_i32_e64 s18, 0, v96
	v_not_b32_e32 v95, v96
	v_cmp_gt_i32_e64 s19, 0, v97
	v_not_b32_e32 v96, v97
	v_not_b32_e32 v97, v193
	v_dual_ashrrev_i32 v93, 31, v93 :: v_dual_ashrrev_i32 v94, 31, v94
	v_xor_b32_e32 v91, s15, v91
	v_not_b32_e32 v195, v194
	v_dual_ashrrev_i32 v95, 31, v95 :: v_dual_ashrrev_i32 v96, 31, v96
	s_delay_alu instid0(VALU_DEP_4) | instskip(SKIP_2) | instid1(VALU_DEP_4)
	v_xor_b32_e32 v93, s16, v93
	v_xor_b32_e32 v94, s17, v94
	v_bitop3_b32 v90, v90, v91, exec_lo bitop3:0x80
	v_xor_b32_e32 v95, s18, v95
	v_xor_b32_e32 v91, s19, v96
	v_cmp_gt_i32_e32 vcc_lo, 0, v193
	v_ashrrev_i32_e32 v96, 31, v97
	v_cmp_gt_i32_e64 s15, 0, v194
	v_ashrrev_i32_e32 v97, 31, v195
	v_bitop3_b32 v90, v90, v94, v93 bitop3:0x80
	v_mad_u32_u24 v93, v92, 36, v148
	v_xor_b32_e32 v94, vcc_lo, v96
	s_delay_alu instid0(VALU_DEP_4) | instskip(NEXT) | instid1(VALU_DEP_4)
	v_xor_b32_e32 v96, s15, v97
	v_bitop3_b32 v90, v90, v91, v95 bitop3:0x80
	ds_load_b32 v193, v93 offset:1056
	v_mul_u32_u24_e32 v91, 36, v92
	; wave barrier
	v_bitop3_b32 v90, v90, v96, v94 bitop3:0x80
	s_delay_alu instid0(VALU_DEP_2) | instskip(NEXT) | instid1(VALU_DEP_2)
	v_add_nc_u32_e32 v195, v148, v91
	v_mbcnt_lo_u32_b32 v194, v90, 0
	v_cmp_ne_u32_e64 s15, 0, v90
	s_delay_alu instid0(VALU_DEP_2) | instskip(SKIP_1) | instid1(SALU_CYCLE_1)
	v_cmp_eq_u32_e32 vcc_lo, 0, v194
	s_and_b32 s16, s15, vcc_lo
	s_and_saveexec_b32 s15, s16
	s_cbranch_execz .LBB833_158
; %bb.157:                              ;   in Loop: Header=BB833_104 Depth=2
	s_wait_dscnt 0x0
	v_bcnt_u32_b32 v90, v90, v193
	ds_store_b32 v195, v90 offset:1056
.LBB833_158:                            ;   in Loop: Header=BB833_104 Depth=2
	s_or_b32 exec_lo, exec_lo, s15
	v_xor_b32_e32 v75, 0x80000000, v75
	; wave barrier
	s_delay_alu instid0(VALU_DEP_1) | instskip(NEXT) | instid1(VALU_DEP_1)
	v_lshrrev_b64 v[90:91], s48, v[74:75]
	v_bitop3_b32 v91, v90, 1, s56 bitop3:0x80
	v_and_b32_e32 v92, s56, v90
	s_delay_alu instid0(VALU_DEP_2) | instskip(NEXT) | instid1(VALU_DEP_1)
	v_add_co_u32 v90, s15, v91, -1
	v_cndmask_b32_e64 v91, 0, 1, s15
	s_delay_alu instid0(VALU_DEP_3) | instskip(NEXT) | instid1(VALU_DEP_2)
	v_lshlrev_b32_e32 v93, 30, v92
	v_cmp_ne_u32_e32 vcc_lo, 0, v91
	s_delay_alu instid0(VALU_DEP_2) | instskip(NEXT) | instid1(VALU_DEP_1)
	v_not_b32_e32 v91, v93
	v_dual_ashrrev_i32 v91, 31, v91 :: v_dual_bitop2_b32 v90, vcc_lo, v90 bitop3:0x14
	v_dual_lshlrev_b32 v94, 29, v92 :: v_dual_lshlrev_b32 v95, 28, v92
	v_dual_lshlrev_b32 v96, 27, v92 :: v_dual_lshlrev_b32 v97, 26, v92
	v_lshlrev_b32_e32 v196, 25, v92
	v_cmp_gt_i32_e64 s15, 0, v93
	s_delay_alu instid0(VALU_DEP_4)
	v_cmp_gt_i32_e64 s16, 0, v94
	v_not_b32_e32 v93, v94
	v_not_b32_e32 v94, v95
	v_lshlrev_b32_e32 v197, 24, v92
	v_cmp_gt_i32_e64 s17, 0, v95
	v_cmp_gt_i32_e64 s18, 0, v96
	v_not_b32_e32 v95, v96
	v_cmp_gt_i32_e64 s19, 0, v97
	v_not_b32_e32 v96, v97
	v_not_b32_e32 v97, v196
	v_dual_ashrrev_i32 v93, 31, v93 :: v_dual_ashrrev_i32 v94, 31, v94
	v_xor_b32_e32 v91, s15, v91
	v_not_b32_e32 v198, v197
	v_dual_ashrrev_i32 v95, 31, v95 :: v_dual_ashrrev_i32 v96, 31, v96
	s_delay_alu instid0(VALU_DEP_4) | instskip(SKIP_2) | instid1(VALU_DEP_4)
	v_xor_b32_e32 v93, s16, v93
	v_xor_b32_e32 v94, s17, v94
	v_bitop3_b32 v90, v90, v91, exec_lo bitop3:0x80
	v_xor_b32_e32 v95, s18, v95
	v_xor_b32_e32 v91, s19, v96
	v_cmp_gt_i32_e32 vcc_lo, 0, v196
	v_ashrrev_i32_e32 v96, 31, v97
	v_cmp_gt_i32_e64 s15, 0, v197
	v_ashrrev_i32_e32 v97, 31, v198
	v_bitop3_b32 v90, v90, v94, v93 bitop3:0x80
	v_mad_u32_u24 v93, v92, 36, v148
	v_xor_b32_e32 v94, vcc_lo, v96
	s_delay_alu instid0(VALU_DEP_4) | instskip(NEXT) | instid1(VALU_DEP_4)
	v_xor_b32_e32 v96, s15, v97
	v_bitop3_b32 v90, v90, v91, v95 bitop3:0x80
	ds_load_b32 v196, v93 offset:1056
	v_mul_u32_u24_e32 v91, 36, v92
	; wave barrier
	v_bitop3_b32 v90, v90, v96, v94 bitop3:0x80
	s_delay_alu instid0(VALU_DEP_2) | instskip(NEXT) | instid1(VALU_DEP_2)
	v_add_nc_u32_e32 v198, v148, v91
	v_mbcnt_lo_u32_b32 v197, v90, 0
	v_cmp_ne_u32_e64 s15, 0, v90
	s_delay_alu instid0(VALU_DEP_2) | instskip(SKIP_1) | instid1(SALU_CYCLE_1)
	v_cmp_eq_u32_e32 vcc_lo, 0, v197
	s_and_b32 s16, s15, vcc_lo
	s_and_saveexec_b32 s15, s16
	s_cbranch_execz .LBB833_160
; %bb.159:                              ;   in Loop: Header=BB833_104 Depth=2
	s_wait_dscnt 0x0
	v_bcnt_u32_b32 v90, v90, v196
	ds_store_b32 v198, v90 offset:1056
.LBB833_160:                            ;   in Loop: Header=BB833_104 Depth=2
	s_or_b32 exec_lo, exec_lo, s15
	v_xor_b32_e32 v81, 0x80000000, v81
	; wave barrier
	s_delay_alu instid0(VALU_DEP_1) | instskip(NEXT) | instid1(VALU_DEP_1)
	v_lshrrev_b64 v[90:91], s48, v[80:81]
	v_bitop3_b32 v91, v90, 1, s56 bitop3:0x80
	v_and_b32_e32 v92, s56, v90
	s_delay_alu instid0(VALU_DEP_2) | instskip(NEXT) | instid1(VALU_DEP_1)
	v_add_co_u32 v90, s15, v91, -1
	v_cndmask_b32_e64 v91, 0, 1, s15
	s_delay_alu instid0(VALU_DEP_3) | instskip(NEXT) | instid1(VALU_DEP_2)
	v_lshlrev_b32_e32 v93, 30, v92
	v_cmp_ne_u32_e32 vcc_lo, 0, v91
	s_delay_alu instid0(VALU_DEP_2) | instskip(NEXT) | instid1(VALU_DEP_1)
	v_not_b32_e32 v91, v93
	v_dual_ashrrev_i32 v91, 31, v91 :: v_dual_bitop2_b32 v90, vcc_lo, v90 bitop3:0x14
	v_dual_lshlrev_b32 v94, 29, v92 :: v_dual_lshlrev_b32 v95, 28, v92
	v_dual_lshlrev_b32 v96, 27, v92 :: v_dual_lshlrev_b32 v97, 26, v92
	v_lshlrev_b32_e32 v199, 25, v92
	v_cmp_gt_i32_e64 s15, 0, v93
	s_delay_alu instid0(VALU_DEP_4)
	v_cmp_gt_i32_e64 s16, 0, v94
	v_not_b32_e32 v93, v94
	v_not_b32_e32 v94, v95
	v_lshlrev_b32_e32 v200, 24, v92
	v_cmp_gt_i32_e64 s17, 0, v95
	v_cmp_gt_i32_e64 s18, 0, v96
	v_not_b32_e32 v95, v96
	v_cmp_gt_i32_e64 s19, 0, v97
	v_not_b32_e32 v96, v97
	v_not_b32_e32 v97, v199
	v_dual_ashrrev_i32 v93, 31, v93 :: v_dual_ashrrev_i32 v94, 31, v94
	v_xor_b32_e32 v91, s15, v91
	v_not_b32_e32 v201, v200
	v_dual_ashrrev_i32 v95, 31, v95 :: v_dual_ashrrev_i32 v96, 31, v96
	s_delay_alu instid0(VALU_DEP_4) | instskip(SKIP_2) | instid1(VALU_DEP_4)
	v_xor_b32_e32 v93, s16, v93
	v_xor_b32_e32 v94, s17, v94
	v_bitop3_b32 v90, v90, v91, exec_lo bitop3:0x80
	v_xor_b32_e32 v95, s18, v95
	v_xor_b32_e32 v91, s19, v96
	v_cmp_gt_i32_e32 vcc_lo, 0, v199
	v_ashrrev_i32_e32 v96, 31, v97
	v_cmp_gt_i32_e64 s15, 0, v200
	v_ashrrev_i32_e32 v97, 31, v201
	v_bitop3_b32 v90, v90, v94, v93 bitop3:0x80
	v_mad_u32_u24 v93, v92, 36, v148
	v_xor_b32_e32 v94, vcc_lo, v96
	s_delay_alu instid0(VALU_DEP_4) | instskip(NEXT) | instid1(VALU_DEP_4)
	v_xor_b32_e32 v96, s15, v97
	v_bitop3_b32 v90, v90, v91, v95 bitop3:0x80
	ds_load_b32 v199, v93 offset:1056
	v_mul_u32_u24_e32 v91, 36, v92
	; wave barrier
	v_bitop3_b32 v90, v90, v96, v94 bitop3:0x80
	s_delay_alu instid0(VALU_DEP_2) | instskip(NEXT) | instid1(VALU_DEP_2)
	v_add_nc_u32_e32 v202, v148, v91
	v_mbcnt_lo_u32_b32 v200, v90, 0
	v_cmp_ne_u32_e64 s15, 0, v90
	s_delay_alu instid0(VALU_DEP_2) | instskip(SKIP_1) | instid1(SALU_CYCLE_1)
	v_cmp_eq_u32_e32 vcc_lo, 0, v200
	s_and_b32 s16, s15, vcc_lo
	s_and_saveexec_b32 s15, s16
	s_cbranch_execz .LBB833_162
; %bb.161:                              ;   in Loop: Header=BB833_104 Depth=2
	s_wait_dscnt 0x0
	v_bcnt_u32_b32 v90, v90, v199
	ds_store_b32 v202, v90 offset:1056
.LBB833_162:                            ;   in Loop: Header=BB833_104 Depth=2
	s_or_b32 exec_lo, exec_lo, s15
	v_xor_b32_e32 v79, 0x80000000, v79
	; wave barrier
	s_delay_alu instid0(VALU_DEP_1) | instskip(NEXT) | instid1(VALU_DEP_1)
	v_lshrrev_b64 v[90:91], s48, v[78:79]
	v_bitop3_b32 v91, v90, 1, s56 bitop3:0x80
	v_and_b32_e32 v92, s56, v90
	s_delay_alu instid0(VALU_DEP_2) | instskip(NEXT) | instid1(VALU_DEP_1)
	v_add_co_u32 v90, s15, v91, -1
	v_cndmask_b32_e64 v91, 0, 1, s15
	s_delay_alu instid0(VALU_DEP_3) | instskip(NEXT) | instid1(VALU_DEP_2)
	v_lshlrev_b32_e32 v93, 30, v92
	v_cmp_ne_u32_e32 vcc_lo, 0, v91
	s_delay_alu instid0(VALU_DEP_2) | instskip(NEXT) | instid1(VALU_DEP_1)
	v_not_b32_e32 v91, v93
	v_dual_ashrrev_i32 v91, 31, v91 :: v_dual_bitop2_b32 v90, vcc_lo, v90 bitop3:0x14
	v_dual_lshlrev_b32 v94, 29, v92 :: v_dual_lshlrev_b32 v95, 28, v92
	v_dual_lshlrev_b32 v96, 27, v92 :: v_dual_lshlrev_b32 v97, 26, v92
	v_lshlrev_b32_e32 v201, 25, v92
	v_cmp_gt_i32_e64 s15, 0, v93
	s_delay_alu instid0(VALU_DEP_4)
	v_cmp_gt_i32_e64 s16, 0, v94
	v_not_b32_e32 v93, v94
	v_not_b32_e32 v94, v95
	v_lshlrev_b32_e32 v203, 24, v92
	v_cmp_gt_i32_e64 s17, 0, v95
	v_cmp_gt_i32_e64 s18, 0, v96
	v_not_b32_e32 v95, v96
	v_cmp_gt_i32_e64 s19, 0, v97
	v_not_b32_e32 v96, v97
	v_not_b32_e32 v97, v201
	v_dual_ashrrev_i32 v93, 31, v93 :: v_dual_ashrrev_i32 v94, 31, v94
	v_xor_b32_e32 v91, s15, v91
	v_not_b32_e32 v204, v203
	v_dual_ashrrev_i32 v95, 31, v95 :: v_dual_ashrrev_i32 v96, 31, v96
	s_delay_alu instid0(VALU_DEP_4) | instskip(SKIP_2) | instid1(VALU_DEP_4)
	v_xor_b32_e32 v93, s16, v93
	v_xor_b32_e32 v94, s17, v94
	v_bitop3_b32 v90, v90, v91, exec_lo bitop3:0x80
	v_xor_b32_e32 v95, s18, v95
	v_xor_b32_e32 v91, s19, v96
	v_cmp_gt_i32_e32 vcc_lo, 0, v201
	v_ashrrev_i32_e32 v96, 31, v97
	v_cmp_gt_i32_e64 s15, 0, v203
	v_ashrrev_i32_e32 v97, 31, v204
	v_bitop3_b32 v90, v90, v94, v93 bitop3:0x80
	v_mad_u32_u24 v93, v92, 36, v148
	v_xor_b32_e32 v94, vcc_lo, v96
	s_delay_alu instid0(VALU_DEP_4) | instskip(NEXT) | instid1(VALU_DEP_4)
	v_xor_b32_e32 v96, s15, v97
	v_bitop3_b32 v90, v90, v91, v95 bitop3:0x80
	ds_load_b32 v201, v93 offset:1056
	v_mul_u32_u24_e32 v91, 36, v92
	; wave barrier
	v_bitop3_b32 v90, v90, v96, v94 bitop3:0x80
	s_delay_alu instid0(VALU_DEP_2) | instskip(NEXT) | instid1(VALU_DEP_2)
	v_add_nc_u32_e32 v206, v148, v91
	v_mbcnt_lo_u32_b32 v203, v90, 0
	v_cmp_ne_u32_e64 s15, 0, v90
	s_delay_alu instid0(VALU_DEP_2) | instskip(SKIP_1) | instid1(SALU_CYCLE_1)
	v_cmp_eq_u32_e32 vcc_lo, 0, v203
	s_and_b32 s16, s15, vcc_lo
	s_and_saveexec_b32 s15, s16
	s_cbranch_execz .LBB833_164
; %bb.163:                              ;   in Loop: Header=BB833_104 Depth=2
	s_wait_dscnt 0x0
	v_bcnt_u32_b32 v90, v90, v201
	ds_store_b32 v206, v90 offset:1056
.LBB833_164:                            ;   in Loop: Header=BB833_104 Depth=2
	s_or_b32 exec_lo, exec_lo, s15
	v_xor_b32_e32 v85, 0x80000000, v85
	; wave barrier
	s_delay_alu instid0(VALU_DEP_1) | instskip(NEXT) | instid1(VALU_DEP_1)
	v_lshrrev_b64 v[90:91], s48, v[84:85]
	v_bitop3_b32 v91, v90, 1, s56 bitop3:0x80
	v_and_b32_e32 v92, s56, v90
	s_delay_alu instid0(VALU_DEP_2) | instskip(NEXT) | instid1(VALU_DEP_1)
	v_add_co_u32 v90, s15, v91, -1
	v_cndmask_b32_e64 v91, 0, 1, s15
	s_delay_alu instid0(VALU_DEP_3) | instskip(NEXT) | instid1(VALU_DEP_2)
	v_lshlrev_b32_e32 v93, 30, v92
	v_cmp_ne_u32_e32 vcc_lo, 0, v91
	s_delay_alu instid0(VALU_DEP_2) | instskip(NEXT) | instid1(VALU_DEP_1)
	v_not_b32_e32 v91, v93
	v_dual_ashrrev_i32 v91, 31, v91 :: v_dual_bitop2_b32 v90, vcc_lo, v90 bitop3:0x14
	v_dual_lshlrev_b32 v94, 29, v92 :: v_dual_lshlrev_b32 v95, 28, v92
	v_dual_lshlrev_b32 v96, 27, v92 :: v_dual_lshlrev_b32 v97, 26, v92
	v_lshlrev_b32_e32 v204, 25, v92
	v_cmp_gt_i32_e64 s15, 0, v93
	s_delay_alu instid0(VALU_DEP_4)
	v_cmp_gt_i32_e64 s16, 0, v94
	v_not_b32_e32 v93, v94
	v_not_b32_e32 v94, v95
	v_lshlrev_b32_e32 v205, 24, v92
	v_cmp_gt_i32_e64 s17, 0, v95
	v_cmp_gt_i32_e64 s18, 0, v96
	v_not_b32_e32 v95, v96
	v_cmp_gt_i32_e64 s19, 0, v97
	v_not_b32_e32 v96, v97
	v_not_b32_e32 v97, v204
	v_dual_ashrrev_i32 v93, 31, v93 :: v_dual_ashrrev_i32 v94, 31, v94
	v_xor_b32_e32 v91, s15, v91
	v_not_b32_e32 v207, v205
	v_dual_ashrrev_i32 v95, 31, v95 :: v_dual_ashrrev_i32 v96, 31, v96
	s_delay_alu instid0(VALU_DEP_4) | instskip(SKIP_2) | instid1(VALU_DEP_4)
	v_xor_b32_e32 v93, s16, v93
	v_xor_b32_e32 v94, s17, v94
	v_bitop3_b32 v90, v90, v91, exec_lo bitop3:0x80
	v_xor_b32_e32 v95, s18, v95
	v_xor_b32_e32 v91, s19, v96
	v_cmp_gt_i32_e32 vcc_lo, 0, v204
	v_ashrrev_i32_e32 v96, 31, v97
	v_cmp_gt_i32_e64 s15, 0, v205
	v_ashrrev_i32_e32 v97, 31, v207
	v_bitop3_b32 v90, v90, v94, v93 bitop3:0x80
	v_mad_u32_u24 v93, v92, 36, v148
	v_xor_b32_e32 v94, vcc_lo, v96
	s_delay_alu instid0(VALU_DEP_4) | instskip(NEXT) | instid1(VALU_DEP_4)
	v_xor_b32_e32 v96, s15, v97
	v_bitop3_b32 v90, v90, v91, v95 bitop3:0x80
	ds_load_b32 v204, v93 offset:1056
	v_mul_u32_u24_e32 v91, 36, v92
	; wave barrier
	v_bitop3_b32 v90, v90, v96, v94 bitop3:0x80
	s_delay_alu instid0(VALU_DEP_2) | instskip(NEXT) | instid1(VALU_DEP_2)
	v_add_nc_u32_e32 v209, v148, v91
	v_mbcnt_lo_u32_b32 v205, v90, 0
	v_cmp_ne_u32_e64 s15, 0, v90
	s_delay_alu instid0(VALU_DEP_2) | instskip(SKIP_1) | instid1(SALU_CYCLE_1)
	v_cmp_eq_u32_e32 vcc_lo, 0, v205
	s_and_b32 s16, s15, vcc_lo
	s_and_saveexec_b32 s15, s16
	s_cbranch_execz .LBB833_166
; %bb.165:                              ;   in Loop: Header=BB833_104 Depth=2
	s_wait_dscnt 0x0
	v_bcnt_u32_b32 v90, v90, v204
	ds_store_b32 v209, v90 offset:1056
.LBB833_166:                            ;   in Loop: Header=BB833_104 Depth=2
	s_or_b32 exec_lo, exec_lo, s15
	v_xor_b32_e32 v83, 0x80000000, v83
	; wave barrier
	s_delay_alu instid0(VALU_DEP_1) | instskip(NEXT) | instid1(VALU_DEP_1)
	v_lshrrev_b64 v[90:91], s48, v[82:83]
	v_bitop3_b32 v91, v90, 1, s56 bitop3:0x80
	v_and_b32_e32 v92, s56, v90
	s_delay_alu instid0(VALU_DEP_2) | instskip(NEXT) | instid1(VALU_DEP_1)
	v_add_co_u32 v90, s15, v91, -1
	v_cndmask_b32_e64 v91, 0, 1, s15
	s_delay_alu instid0(VALU_DEP_3) | instskip(NEXT) | instid1(VALU_DEP_2)
	v_lshlrev_b32_e32 v93, 30, v92
	v_cmp_ne_u32_e32 vcc_lo, 0, v91
	s_delay_alu instid0(VALU_DEP_2) | instskip(NEXT) | instid1(VALU_DEP_1)
	v_not_b32_e32 v91, v93
	v_dual_ashrrev_i32 v91, 31, v91 :: v_dual_bitop2_b32 v90, vcc_lo, v90 bitop3:0x14
	v_dual_lshlrev_b32 v94, 29, v92 :: v_dual_lshlrev_b32 v95, 28, v92
	v_dual_lshlrev_b32 v96, 27, v92 :: v_dual_lshlrev_b32 v97, 26, v92
	v_lshlrev_b32_e32 v207, 25, v92
	v_cmp_gt_i32_e64 s15, 0, v93
	s_delay_alu instid0(VALU_DEP_4)
	v_cmp_gt_i32_e64 s16, 0, v94
	v_not_b32_e32 v93, v94
	v_not_b32_e32 v94, v95
	v_lshlrev_b32_e32 v208, 24, v92
	v_cmp_gt_i32_e64 s17, 0, v95
	v_cmp_gt_i32_e64 s18, 0, v96
	v_not_b32_e32 v95, v96
	v_cmp_gt_i32_e64 s19, 0, v97
	v_not_b32_e32 v96, v97
	v_not_b32_e32 v97, v207
	v_dual_ashrrev_i32 v93, 31, v93 :: v_dual_ashrrev_i32 v94, 31, v94
	v_xor_b32_e32 v91, s15, v91
	v_not_b32_e32 v210, v208
	v_dual_ashrrev_i32 v95, 31, v95 :: v_dual_ashrrev_i32 v96, 31, v96
	s_delay_alu instid0(VALU_DEP_4) | instskip(SKIP_2) | instid1(VALU_DEP_4)
	v_xor_b32_e32 v93, s16, v93
	v_xor_b32_e32 v94, s17, v94
	v_bitop3_b32 v90, v90, v91, exec_lo bitop3:0x80
	v_xor_b32_e32 v95, s18, v95
	v_xor_b32_e32 v91, s19, v96
	v_cmp_gt_i32_e32 vcc_lo, 0, v207
	v_ashrrev_i32_e32 v96, 31, v97
	v_cmp_gt_i32_e64 s15, 0, v208
	v_ashrrev_i32_e32 v97, 31, v210
	v_bitop3_b32 v90, v90, v94, v93 bitop3:0x80
	v_mad_u32_u24 v93, v92, 36, v148
	v_xor_b32_e32 v94, vcc_lo, v96
	s_delay_alu instid0(VALU_DEP_4) | instskip(NEXT) | instid1(VALU_DEP_4)
	v_xor_b32_e32 v96, s15, v97
	v_bitop3_b32 v90, v90, v91, v95 bitop3:0x80
	ds_load_b32 v207, v93 offset:1056
	v_mul_u32_u24_e32 v91, 36, v92
	; wave barrier
	v_bitop3_b32 v90, v90, v96, v94 bitop3:0x80
	s_delay_alu instid0(VALU_DEP_2) | instskip(NEXT) | instid1(VALU_DEP_2)
	v_add_nc_u32_e32 v212, v148, v91
	v_mbcnt_lo_u32_b32 v208, v90, 0
	v_cmp_ne_u32_e64 s15, 0, v90
	s_delay_alu instid0(VALU_DEP_2) | instskip(SKIP_1) | instid1(SALU_CYCLE_1)
	v_cmp_eq_u32_e32 vcc_lo, 0, v208
	s_and_b32 s16, s15, vcc_lo
	s_and_saveexec_b32 s15, s16
	s_cbranch_execz .LBB833_168
; %bb.167:                              ;   in Loop: Header=BB833_104 Depth=2
	s_wait_dscnt 0x0
	v_bcnt_u32_b32 v90, v90, v207
	ds_store_b32 v212, v90 offset:1056
.LBB833_168:                            ;   in Loop: Header=BB833_104 Depth=2
	s_or_b32 exec_lo, exec_lo, s15
	v_xor_b32_e32 v87, 0x80000000, v87
	; wave barrier
	s_delay_alu instid0(VALU_DEP_1) | instskip(NEXT) | instid1(VALU_DEP_1)
	v_lshrrev_b64 v[90:91], s48, v[86:87]
	v_bitop3_b32 v91, v90, 1, s56 bitop3:0x80
	v_and_b32_e32 v92, s56, v90
	s_delay_alu instid0(VALU_DEP_2) | instskip(NEXT) | instid1(VALU_DEP_1)
	v_add_co_u32 v90, s15, v91, -1
	v_cndmask_b32_e64 v91, 0, 1, s15
	s_delay_alu instid0(VALU_DEP_3) | instskip(NEXT) | instid1(VALU_DEP_2)
	v_lshlrev_b32_e32 v93, 30, v92
	v_cmp_ne_u32_e32 vcc_lo, 0, v91
	s_delay_alu instid0(VALU_DEP_2) | instskip(NEXT) | instid1(VALU_DEP_1)
	v_not_b32_e32 v91, v93
	v_dual_ashrrev_i32 v91, 31, v91 :: v_dual_bitop2_b32 v90, vcc_lo, v90 bitop3:0x14
	v_dual_lshlrev_b32 v94, 29, v92 :: v_dual_lshlrev_b32 v95, 28, v92
	v_dual_lshlrev_b32 v96, 27, v92 :: v_dual_lshlrev_b32 v97, 26, v92
	v_lshlrev_b32_e32 v210, 25, v92
	v_cmp_gt_i32_e64 s15, 0, v93
	s_delay_alu instid0(VALU_DEP_4)
	v_cmp_gt_i32_e64 s16, 0, v94
	v_not_b32_e32 v93, v94
	v_not_b32_e32 v94, v95
	v_lshlrev_b32_e32 v211, 24, v92
	v_cmp_gt_i32_e64 s17, 0, v95
	v_cmp_gt_i32_e64 s18, 0, v96
	v_not_b32_e32 v95, v96
	v_cmp_gt_i32_e64 s19, 0, v97
	v_not_b32_e32 v96, v97
	v_not_b32_e32 v97, v210
	v_dual_ashrrev_i32 v93, 31, v93 :: v_dual_ashrrev_i32 v94, 31, v94
	v_xor_b32_e32 v91, s15, v91
	v_not_b32_e32 v213, v211
	v_dual_ashrrev_i32 v95, 31, v95 :: v_dual_ashrrev_i32 v96, 31, v96
	s_delay_alu instid0(VALU_DEP_4) | instskip(SKIP_2) | instid1(VALU_DEP_4)
	v_xor_b32_e32 v93, s16, v93
	v_xor_b32_e32 v94, s17, v94
	v_bitop3_b32 v90, v90, v91, exec_lo bitop3:0x80
	v_xor_b32_e32 v95, s18, v95
	v_xor_b32_e32 v91, s19, v96
	v_cmp_gt_i32_e32 vcc_lo, 0, v210
	v_ashrrev_i32_e32 v96, 31, v97
	v_cmp_gt_i32_e64 s15, 0, v211
	v_ashrrev_i32_e32 v97, 31, v213
	v_bitop3_b32 v90, v90, v94, v93 bitop3:0x80
	v_mad_u32_u24 v93, v92, 36, v148
	v_xor_b32_e32 v94, vcc_lo, v96
	s_delay_alu instid0(VALU_DEP_4) | instskip(NEXT) | instid1(VALU_DEP_4)
	v_xor_b32_e32 v96, s15, v97
	v_bitop3_b32 v90, v90, v91, v95 bitop3:0x80
	ds_load_b32 v210, v93 offset:1056
	v_mul_u32_u24_e32 v91, 36, v92
	; wave barrier
	v_bitop3_b32 v90, v90, v96, v94 bitop3:0x80
	s_delay_alu instid0(VALU_DEP_2) | instskip(NEXT) | instid1(VALU_DEP_2)
	v_add_nc_u32_e32 v215, v148, v91
	v_mbcnt_lo_u32_b32 v211, v90, 0
	v_cmp_ne_u32_e64 s15, 0, v90
	s_delay_alu instid0(VALU_DEP_2) | instskip(SKIP_1) | instid1(SALU_CYCLE_1)
	v_cmp_eq_u32_e32 vcc_lo, 0, v211
	s_and_b32 s16, s15, vcc_lo
	s_and_saveexec_b32 s15, s16
	s_cbranch_execz .LBB833_170
; %bb.169:                              ;   in Loop: Header=BB833_104 Depth=2
	s_wait_dscnt 0x0
	v_bcnt_u32_b32 v90, v90, v210
	ds_store_b32 v215, v90 offset:1056
.LBB833_170:                            ;   in Loop: Header=BB833_104 Depth=2
	s_or_b32 exec_lo, exec_lo, s15
	v_lshrrev_b64 v[90:91], s48, v[88:89]
	; wave barrier
	s_delay_alu instid0(VALU_DEP_1) | instskip(SKIP_1) | instid1(VALU_DEP_2)
	v_bitop3_b32 v91, v90, 1, s56 bitop3:0x80
	v_and_b32_e32 v92, s56, v90
	v_add_co_u32 v90, s15, v91, -1
	s_delay_alu instid0(VALU_DEP_1) | instskip(NEXT) | instid1(VALU_DEP_3)
	v_cndmask_b32_e64 v91, 0, 1, s15
	v_lshlrev_b32_e32 v93, 30, v92
	s_delay_alu instid0(VALU_DEP_2) | instskip(NEXT) | instid1(VALU_DEP_2)
	v_cmp_ne_u32_e32 vcc_lo, 0, v91
	v_not_b32_e32 v91, v93
	s_delay_alu instid0(VALU_DEP_1) | instskip(SKIP_4) | instid1(VALU_DEP_4)
	v_dual_ashrrev_i32 v91, 31, v91 :: v_dual_bitop2_b32 v90, vcc_lo, v90 bitop3:0x14
	v_dual_lshlrev_b32 v94, 29, v92 :: v_dual_lshlrev_b32 v95, 28, v92
	v_dual_lshlrev_b32 v96, 27, v92 :: v_dual_lshlrev_b32 v97, 26, v92
	v_lshlrev_b32_e32 v213, 25, v92
	v_cmp_gt_i32_e64 s15, 0, v93
	v_cmp_gt_i32_e64 s16, 0, v94
	v_not_b32_e32 v93, v94
	v_not_b32_e32 v94, v95
	v_lshlrev_b32_e32 v214, 24, v92
	v_cmp_gt_i32_e64 s17, 0, v95
	v_cmp_gt_i32_e64 s18, 0, v96
	v_not_b32_e32 v95, v96
	v_dual_ashrrev_i32 v93, 31, v93 :: v_dual_ashrrev_i32 v94, 31, v94
	v_xor_b32_e32 v91, s15, v91
	v_not_b32_e32 v96, v97
	v_cmp_gt_i32_e64 s19, 0, v97
	s_delay_alu instid0(VALU_DEP_4)
	v_dual_ashrrev_i32 v95, 31, v95 :: v_dual_bitop2_b32 v93, s16, v93 bitop3:0x14
	v_xor_b32_e32 v94, s17, v94
	v_bitop3_b32 v90, v90, v91, exec_lo bitop3:0x80
	v_ashrrev_i32_e32 v91, 31, v96
	v_not_b32_e32 v96, v213
	v_not_b32_e32 v97, v214
	v_xor_b32_e32 v95, s18, v95
	v_bitop3_b32 v90, v90, v94, v93 bitop3:0x80
	v_xor_b32_e32 v91, s19, v91
	v_cmp_gt_i32_e32 vcc_lo, 0, v213
	v_ashrrev_i32_e32 v93, 31, v96
	v_cmp_gt_i32_e64 s15, 0, v214
	v_ashrrev_i32_e32 v94, 31, v97
	v_mad_u32_u24 v96, v92, 36, v148
	v_bitop3_b32 v90, v90, v91, v95 bitop3:0x80
	v_xor_b32_e32 v91, vcc_lo, v93
	s_delay_alu instid0(VALU_DEP_4) | instskip(SKIP_3) | instid1(VALU_DEP_2)
	v_xor_b32_e32 v93, s15, v94
	ds_load_b32 v213, v96 offset:1056
	; wave barrier
	v_bitop3_b32 v90, v90, v93, v91 bitop3:0x80
	v_mul_u32_u24_e32 v91, 36, v92
	v_mbcnt_lo_u32_b32 v214, v90, 0
	v_cmp_ne_u32_e64 s15, 0, v90
	s_delay_alu instid0(VALU_DEP_3) | instskip(NEXT) | instid1(VALU_DEP_3)
	v_add_nc_u32_e32 v216, v148, v91
	v_cmp_eq_u32_e32 vcc_lo, 0, v214
	s_and_b32 s16, s15, vcc_lo
	s_delay_alu instid0(SALU_CYCLE_1)
	s_and_saveexec_b32 s15, s16
	s_cbranch_execz .LBB833_172
; %bb.171:                              ;   in Loop: Header=BB833_104 Depth=2
	s_wait_dscnt 0x0
	v_bcnt_u32_b32 v90, v90, v213
	ds_store_b32 v216, v90 offset:1056
.LBB833_172:                            ;   in Loop: Header=BB833_104 Depth=2
	s_or_b32 exec_lo, exec_lo, s15
	; wave barrier
	s_wait_dscnt 0x0
	s_barrier_signal -1
	s_barrier_wait -1
	ds_load_2addr_b32 v[96:97], v168 offset1:1
	ds_load_2addr_b32 v[94:95], v169 offset1:1
	;; [unrolled: 1-line block ×4, first 2 shown]
	ds_load_b32 v217, v120 offset:1088
	s_wait_dscnt 0x3
	v_add3_u32 v218, v97, v96, v94
	s_wait_dscnt 0x2
	s_delay_alu instid0(VALU_DEP_1) | instskip(SKIP_1) | instid1(VALU_DEP_1)
	v_add3_u32 v218, v218, v95, v92
	s_wait_dscnt 0x1
	v_add3_u32 v218, v218, v93, v90
	s_wait_dscnt 0x0
	s_delay_alu instid0(VALU_DEP_1) | instskip(NEXT) | instid1(VALU_DEP_1)
	v_add3_u32 v217, v218, v91, v217
	v_mov_b32_dpp v218, v217 row_shr:1 row_mask:0xf bank_mask:0xf
	s_delay_alu instid0(VALU_DEP_1) | instskip(NEXT) | instid1(VALU_DEP_1)
	v_cndmask_b32_e64 v218, v218, 0, s7
	v_add_nc_u32_e32 v217, v218, v217
	s_delay_alu instid0(VALU_DEP_1) | instskip(NEXT) | instid1(VALU_DEP_1)
	v_mov_b32_dpp v218, v217 row_shr:2 row_mask:0xf bank_mask:0xf
	v_cndmask_b32_e64 v218, 0, v218, s8
	s_delay_alu instid0(VALU_DEP_1) | instskip(NEXT) | instid1(VALU_DEP_1)
	v_add_nc_u32_e32 v217, v217, v218
	v_mov_b32_dpp v218, v217 row_shr:4 row_mask:0xf bank_mask:0xf
	s_delay_alu instid0(VALU_DEP_1) | instskip(NEXT) | instid1(VALU_DEP_1)
	v_cndmask_b32_e64 v218, 0, v218, s9
	v_add_nc_u32_e32 v217, v217, v218
	s_delay_alu instid0(VALU_DEP_1) | instskip(NEXT) | instid1(VALU_DEP_1)
	v_mov_b32_dpp v218, v217 row_shr:8 row_mask:0xf bank_mask:0xf
	v_cndmask_b32_e64 v218, 0, v218, s10
	s_delay_alu instid0(VALU_DEP_1) | instskip(SKIP_3) | instid1(VALU_DEP_1)
	v_add_nc_u32_e32 v217, v217, v218
	ds_swizzle_b32 v218, v217 offset:swizzle(BROADCAST,32,15)
	s_wait_dscnt 0x0
	v_cndmask_b32_e64 v218, v218, 0, s11
	v_add_nc_u32_e32 v217, v217, v218
	s_and_saveexec_b32 s15, s1
; %bb.173:                              ;   in Loop: Header=BB833_104 Depth=2
	ds_store_b32 v114, v217 offset:1024
; %bb.174:                              ;   in Loop: Header=BB833_104 Depth=2
	s_or_b32 exec_lo, exec_lo, s15
	s_wait_dscnt 0x0
	s_barrier_signal -1
	s_barrier_wait -1
	s_and_saveexec_b32 s15, s4
	s_cbranch_execz .LBB833_176
; %bb.175:                              ;   in Loop: Header=BB833_104 Depth=2
	ds_load_b32 v218, v122 offset:1024
	s_wait_dscnt 0x0
	v_mov_b32_dpp v219, v218 row_shr:1 row_mask:0xf bank_mask:0xf
	s_delay_alu instid0(VALU_DEP_1) | instskip(NEXT) | instid1(VALU_DEP_1)
	v_cndmask_b32_e64 v219, v219, 0, s12
	v_add_nc_u32_e32 v218, v219, v218
	s_delay_alu instid0(VALU_DEP_1) | instskip(NEXT) | instid1(VALU_DEP_1)
	v_mov_b32_dpp v219, v218 row_shr:2 row_mask:0xf bank_mask:0xf
	v_cndmask_b32_e64 v219, 0, v219, s13
	s_delay_alu instid0(VALU_DEP_1) | instskip(NEXT) | instid1(VALU_DEP_1)
	v_add_nc_u32_e32 v218, v218, v219
	v_mov_b32_dpp v219, v218 row_shr:4 row_mask:0xf bank_mask:0xf
	s_delay_alu instid0(VALU_DEP_1) | instskip(NEXT) | instid1(VALU_DEP_1)
	v_cndmask_b32_e64 v219, 0, v219, s14
	v_add_nc_u32_e32 v218, v218, v219
	ds_store_b32 v122, v218 offset:1024
.LBB833_176:                            ;   in Loop: Header=BB833_104 Depth=2
	s_or_b32 exec_lo, exec_lo, s15
	v_mov_b32_e32 v218, 0
	s_wait_dscnt 0x0
	s_barrier_signal -1
	s_barrier_wait -1
	s_and_saveexec_b32 s15, s5
; %bb.177:                              ;   in Loop: Header=BB833_104 Depth=2
	ds_load_b32 v218, v114 offset:1020
; %bb.178:                              ;   in Loop: Header=BB833_104 Depth=2
	s_or_b32 exec_lo, exec_lo, s15
	s_wait_dscnt 0x0
	v_add_nc_u32_e32 v217, v218, v217
	ds_bpermute_b32 v217, v147, v217
	s_wait_dscnt 0x0
	v_cndmask_b32_e64 v217, v217, v218, s6
	s_delay_alu instid0(VALU_DEP_1) | instskip(NEXT) | instid1(VALU_DEP_1)
	v_cndmask_b32_e64 v217, v217, 0, s2
	v_add_nc_u32_e32 v96, v217, v96
	s_delay_alu instid0(VALU_DEP_1) | instskip(NEXT) | instid1(VALU_DEP_1)
	v_add_nc_u32_e32 v97, v96, v97
	v_add_nc_u32_e32 v94, v97, v94
	s_delay_alu instid0(VALU_DEP_1) | instskip(NEXT) | instid1(VALU_DEP_1)
	v_add_nc_u32_e32 v95, v94, v95
	;; [unrolled: 3-line block ×3, first 2 shown]
	v_add_nc_u32_e32 v90, v93, v90
	s_delay_alu instid0(VALU_DEP_1)
	v_add_nc_u32_e32 v91, v90, v91
	ds_store_2addr_b32 v167, v93, v90 offset1:1
	ds_store_2addr_b32 v168, v217, v96 offset1:1
	;; [unrolled: 1-line block ×4, first 2 shown]
	ds_store_b32 v120, v91 offset:1088
	s_wait_dscnt 0x0
	s_barrier_signal -1
	s_barrier_wait -1
	ds_load_b32 v91, v171 offset:1056
	ds_load_b32 v218, v174 offset:1056
	;; [unrolled: 1-line block ×17, first 2 shown]
	v_mov_b32_e32 v90, 0x1000
	s_and_saveexec_b32 s15, s3
; %bb.179:                              ;   in Loop: Header=BB833_104 Depth=2
	ds_load_b32 v90, v120 offset:1092
; %bb.180:                              ;   in Loop: Header=BB833_104 Depth=2
	s_or_b32 exec_lo, exec_lo, s15
	s_wait_dscnt 0x0
	s_barrier_signal -1
	s_barrier_wait -1
	s_and_saveexec_b32 s15, s0
	s_cbranch_execz .LBB833_182
; %bb.181:                              ;   in Loop: Header=BB833_104 Depth=2
	ds_load_b32 v183, v3
	s_wait_dscnt 0x0
	v_sub_nc_u32_e32 v180, v183, v180
	ds_store_b32 v3, v180
.LBB833_182:                            ;   in Loop: Header=BB833_104 Depth=2
	s_or_b32 exec_lo, exec_lo, s15
	v_dual_lshlrev_b32 v166, 3, v166 :: v_dual_lshlrev_b32 v173, 3, v173
	v_dual_lshlrev_b32 v172, 3, v172 :: v_dual_lshlrev_b32 v180, 3, v218
	v_lshlrev_b32_e32 v176, 3, v176
	s_delay_alu instid0(VALU_DEP_3)
	v_lshl_add_u32 v91, v91, 3, v166
	v_dual_lshlrev_b32 v166, 3, v175 :: v_dual_lshlrev_b32 v175, 3, v217
	v_dual_lshlrev_b32 v179, 3, v179 :: v_dual_lshlrev_b32 v178, 3, v178
	;; [unrolled: 1-line block ×5, first 2 shown]
	v_lshlrev_b32_e32 v185, 3, v92
	ds_store_b64 v91, v[60:61] offset:1024
	v_add3_u32 v60, v173, v172, v180
	v_add3_u32 v61, v176, v166, v175
	;; [unrolled: 1-line block ×5, first 2 shown]
	ds_store_b64 v60, v[58:59] offset:1024
	ds_store_b64 v61, v[64:65] offset:1024
	ds_store_b64 v92, v[62:63] offset:1024
	ds_store_b64 v93, v[68:69] offset:1024
	ds_store_b64 v94, v[66:67] offset:1024
	v_dual_lshlrev_b32 v58, 3, v188 :: v_dual_lshlrev_b32 v63, 3, v191
	v_dual_lshlrev_b32 v59, 3, v187 :: v_dual_lshlrev_b32 v62, 3, v177
	;; [unrolled: 1-line block ×7, first 2 shown]
	v_lshlrev_b32_e32 v169, 3, v169
	v_add3_u32 v62, v58, v59, v62
	v_add3_u32 v63, v63, v64, v65
	;; [unrolled: 1-line block ×4, first 2 shown]
	v_lshlrev_b32_e32 v58, 3, v203
	v_add3_u32 v66, v171, v172, v169
	ds_store_b64 v62, v[72:73] offset:1024
	ds_store_b64 v63, v[70:71] offset:1024
	ds_store_b64 v64, v[76:77] offset:1024
	ds_store_b64 v65, v[74:75] offset:1024
	ds_store_b64 v66, v[80:81] offset:1024
	v_dual_lshlrev_b32 v59, 3, v201 :: v_dual_lshlrev_b32 v67, 3, v168
	v_dual_lshlrev_b32 v68, 3, v205 :: v_dual_lshlrev_b32 v69, 3, v204
	;; [unrolled: 1-line block ×7, first 2 shown]
	v_add3_u32 v67, v58, v59, v67
	v_add3_u32 v68, v68, v69, v70
	;; [unrolled: 1-line block ×5, first 2 shown]
	v_cmp_lt_u32_e32 vcc_lo, v2, v165
	ds_store_b64 v67, v[78:79] offset:1024
	ds_store_b64 v68, v[84:85] offset:1024
	;; [unrolled: 1-line block ×5, first 2 shown]
	s_wait_dscnt 0x0
	s_barrier_signal -1
	s_barrier_wait -1
	s_and_saveexec_b32 s15, vcc_lo
	s_cbranch_execnz .LBB833_251
; %bb.183:                              ;   in Loop: Header=BB833_104 Depth=2
	s_or_b32 exec_lo, exec_lo, s15
	v_cmp_lt_u32_e64 s15, v98, v165
	s_and_saveexec_b32 s16, s15
	s_cbranch_execnz .LBB833_252
.LBB833_184:                            ;   in Loop: Header=BB833_104 Depth=2
	s_or_b32 exec_lo, exec_lo, s16
	v_cmp_lt_u32_e64 s16, v99, v165
	s_and_saveexec_b32 s17, s16
	s_cbranch_execnz .LBB833_253
.LBB833_185:                            ;   in Loop: Header=BB833_104 Depth=2
	s_or_b32 exec_lo, exec_lo, s17
	v_cmp_lt_u32_e64 s17, v100, v165
	s_and_saveexec_b32 s18, s17
	s_cbranch_execnz .LBB833_254
.LBB833_186:                            ;   in Loop: Header=BB833_104 Depth=2
	s_or_b32 exec_lo, exec_lo, s18
	v_cmp_lt_u32_e64 s18, v101, v165
	s_and_saveexec_b32 s19, s18
	s_cbranch_execnz .LBB833_255
.LBB833_187:                            ;   in Loop: Header=BB833_104 Depth=2
	s_or_b32 exec_lo, exec_lo, s19
	v_cmp_lt_u32_e64 s19, v102, v165
	s_and_saveexec_b32 s20, s19
	s_cbranch_execnz .LBB833_256
.LBB833_188:                            ;   in Loop: Header=BB833_104 Depth=2
	s_or_b32 exec_lo, exec_lo, s20
	v_cmp_lt_u32_e64 s20, v103, v165
	s_and_saveexec_b32 s21, s20
	s_cbranch_execnz .LBB833_257
.LBB833_189:                            ;   in Loop: Header=BB833_104 Depth=2
	s_or_b32 exec_lo, exec_lo, s21
	v_cmp_lt_u32_e64 s21, v104, v165
	s_and_saveexec_b32 s22, s21
	s_cbranch_execnz .LBB833_258
.LBB833_190:                            ;   in Loop: Header=BB833_104 Depth=2
	s_or_b32 exec_lo, exec_lo, s22
	v_cmp_lt_u32_e64 s22, v105, v165
	s_and_saveexec_b32 s23, s22
	s_cbranch_execnz .LBB833_259
.LBB833_191:                            ;   in Loop: Header=BB833_104 Depth=2
	s_or_b32 exec_lo, exec_lo, s23
	v_cmp_lt_u32_e64 s23, v106, v165
	s_and_saveexec_b32 s24, s23
	s_cbranch_execnz .LBB833_260
.LBB833_192:                            ;   in Loop: Header=BB833_104 Depth=2
	s_or_b32 exec_lo, exec_lo, s24
	v_cmp_lt_u32_e64 s24, v107, v165
	s_and_saveexec_b32 s25, s24
	s_cbranch_execnz .LBB833_261
.LBB833_193:                            ;   in Loop: Header=BB833_104 Depth=2
	s_or_b32 exec_lo, exec_lo, s25
	v_cmp_lt_u32_e64 s25, v108, v165
	s_and_saveexec_b32 s26, s25
	s_cbranch_execnz .LBB833_262
.LBB833_194:                            ;   in Loop: Header=BB833_104 Depth=2
	s_or_b32 exec_lo, exec_lo, s26
	v_cmp_lt_u32_e64 s26, v109, v165
	s_and_saveexec_b32 s27, s26
	s_cbranch_execnz .LBB833_263
.LBB833_195:                            ;   in Loop: Header=BB833_104 Depth=2
	s_or_b32 exec_lo, exec_lo, s27
	v_cmp_lt_u32_e64 s27, v110, v165
	s_and_saveexec_b32 s28, s27
	s_cbranch_execnz .LBB833_264
.LBB833_196:                            ;   in Loop: Header=BB833_104 Depth=2
	s_or_b32 exec_lo, exec_lo, s28
	v_cmp_lt_u32_e64 s28, v111, v165
	s_and_saveexec_b32 s29, s28
	s_cbranch_execnz .LBB833_265
.LBB833_197:                            ;   in Loop: Header=BB833_104 Depth=2
	s_or_b32 exec_lo, exec_lo, s29
	v_cmp_lt_u32_e64 s29, v112, v165
	s_and_saveexec_b32 s59, s29
	s_cbranch_execz .LBB833_199
.LBB833_198:                            ;   in Loop: Header=BB833_104 Depth=2
	ds_load_b64 v[58:59], v123 offset:31744
	s_wait_dscnt 0x0
	v_lshrrev_b64 v[72:73], s48, v[58:59]
	v_xor_b32_e32 v59, 0x80000000, v59
	s_delay_alu instid0(VALU_DEP_2) | instskip(NEXT) | instid1(VALU_DEP_1)
	v_and_b32_e32 v72, s56, v72
	v_lshlrev_b32_e32 v72, 2, v72
	ds_load_b32 v72, v72
	s_wait_dscnt 0x0
	v_add_nc_u32_e32 v72, v72, v112
	global_store_b64 v72, v[58:59], s[38:39] scale_offset
.LBB833_199:                            ;   in Loop: Header=BB833_104 Depth=2
	s_wait_xcnt 0x0
	s_or_b32 exec_lo, exec_lo, s59
	v_lshl_add_u64 v[58:59], s[30:31], 3, v[22:23]
	v_cmp_lt_u32_e64 s30, v129, v165
	s_and_saveexec_b32 s59, s30
	s_delay_alu instid0(SALU_CYCLE_1)
	s_xor_b32 s30, exec_lo, s59
	s_cbranch_execnz .LBB833_266
; %bb.200:                              ;   in Loop: Header=BB833_104 Depth=2
	s_or_b32 exec_lo, exec_lo, s30
	s_delay_alu instid0(SALU_CYCLE_1)
	s_mov_b32 s59, exec_lo
	v_cmpx_lt_u32_e64 v132, v165
	s_cbranch_execnz .LBB833_267
.LBB833_201:                            ;   in Loop: Header=BB833_104 Depth=2
	s_or_b32 exec_lo, exec_lo, s59
	s_delay_alu instid0(SALU_CYCLE_1)
	s_mov_b32 s59, exec_lo
	v_cmpx_lt_u32_e64 v133, v165
	s_cbranch_execnz .LBB833_268
.LBB833_202:                            ;   in Loop: Header=BB833_104 Depth=2
	s_or_b32 exec_lo, exec_lo, s59
	s_delay_alu instid0(SALU_CYCLE_1)
	s_mov_b32 s59, exec_lo
	v_cmpx_lt_u32_e64 v134, v165
	s_cbranch_execnz .LBB833_269
.LBB833_203:                            ;   in Loop: Header=BB833_104 Depth=2
	s_or_b32 exec_lo, exec_lo, s59
	s_delay_alu instid0(SALU_CYCLE_1)
	s_mov_b32 s59, exec_lo
	v_cmpx_lt_u32_e64 v135, v165
	s_cbranch_execnz .LBB833_270
.LBB833_204:                            ;   in Loop: Header=BB833_104 Depth=2
	s_or_b32 exec_lo, exec_lo, s59
	s_delay_alu instid0(SALU_CYCLE_1)
	s_mov_b32 s59, exec_lo
	v_cmpx_lt_u32_e64 v136, v165
	s_cbranch_execnz .LBB833_271
.LBB833_205:                            ;   in Loop: Header=BB833_104 Depth=2
	s_or_b32 exec_lo, exec_lo, s59
	s_delay_alu instid0(SALU_CYCLE_1)
	s_mov_b32 s59, exec_lo
	v_cmpx_lt_u32_e64 v137, v165
	s_cbranch_execnz .LBB833_272
.LBB833_206:                            ;   in Loop: Header=BB833_104 Depth=2
	s_or_b32 exec_lo, exec_lo, s59
	s_delay_alu instid0(SALU_CYCLE_1)
	s_mov_b32 s59, exec_lo
	v_cmpx_lt_u32_e64 v138, v165
	s_cbranch_execnz .LBB833_273
.LBB833_207:                            ;   in Loop: Header=BB833_104 Depth=2
	s_or_b32 exec_lo, exec_lo, s59
	s_delay_alu instid0(SALU_CYCLE_1)
	s_mov_b32 s59, exec_lo
	v_cmpx_lt_u32_e64 v139, v165
	s_cbranch_execnz .LBB833_274
.LBB833_208:                            ;   in Loop: Header=BB833_104 Depth=2
	s_or_b32 exec_lo, exec_lo, s59
	s_delay_alu instid0(SALU_CYCLE_1)
	s_mov_b32 s59, exec_lo
	v_cmpx_lt_u32_e64 v140, v165
	s_cbranch_execnz .LBB833_275
.LBB833_209:                            ;   in Loop: Header=BB833_104 Depth=2
	s_or_b32 exec_lo, exec_lo, s59
	s_delay_alu instid0(SALU_CYCLE_1)
	s_mov_b32 s59, exec_lo
	v_cmpx_lt_u32_e64 v141, v165
	s_cbranch_execnz .LBB833_276
.LBB833_210:                            ;   in Loop: Header=BB833_104 Depth=2
	s_or_b32 exec_lo, exec_lo, s59
	s_delay_alu instid0(SALU_CYCLE_1)
	s_mov_b32 s59, exec_lo
	v_cmpx_lt_u32_e64 v142, v165
	s_cbranch_execnz .LBB833_277
.LBB833_211:                            ;   in Loop: Header=BB833_104 Depth=2
	s_or_b32 exec_lo, exec_lo, s59
	s_delay_alu instid0(SALU_CYCLE_1)
	s_mov_b32 s59, exec_lo
	v_cmpx_lt_u32_e64 v143, v165
	s_cbranch_execnz .LBB833_278
.LBB833_212:                            ;   in Loop: Header=BB833_104 Depth=2
	s_or_b32 exec_lo, exec_lo, s59
	s_delay_alu instid0(SALU_CYCLE_1)
	s_mov_b32 s59, exec_lo
	v_cmpx_lt_u32_e64 v144, v165
	s_cbranch_execnz .LBB833_279
.LBB833_213:                            ;   in Loop: Header=BB833_104 Depth=2
	s_or_b32 exec_lo, exec_lo, s59
	s_delay_alu instid0(SALU_CYCLE_1)
	s_mov_b32 s59, exec_lo
	v_cmpx_lt_u32_e64 v145, v165
	s_cbranch_execnz .LBB833_280
.LBB833_214:                            ;   in Loop: Header=BB833_104 Depth=2
	s_or_b32 exec_lo, exec_lo, s59
	s_delay_alu instid0(SALU_CYCLE_1)
	s_mov_b32 s59, exec_lo
	v_cmpx_lt_u32_e64 v146, v165
	s_cbranch_execnz .LBB833_281
.LBB833_215:                            ;   in Loop: Header=BB833_104 Depth=2
	s_or_b32 exec_lo, exec_lo, s59
	s_and_saveexec_b32 s30, vcc_lo
	s_cbranch_execnz .LBB833_282
.LBB833_216:                            ;   in Loop: Header=BB833_104 Depth=2
	s_or_b32 exec_lo, exec_lo, s30
	s_and_saveexec_b32 s30, s15
	s_cbranch_execnz .LBB833_283
.LBB833_217:                            ;   in Loop: Header=BB833_104 Depth=2
	s_or_b32 exec_lo, exec_lo, s30
	s_and_saveexec_b32 s30, s16
	s_cbranch_execnz .LBB833_284
.LBB833_218:                            ;   in Loop: Header=BB833_104 Depth=2
	s_or_b32 exec_lo, exec_lo, s30
	s_and_saveexec_b32 s30, s17
	s_cbranch_execnz .LBB833_285
.LBB833_219:                            ;   in Loop: Header=BB833_104 Depth=2
	s_or_b32 exec_lo, exec_lo, s30
	s_and_saveexec_b32 s30, s18
	s_cbranch_execnz .LBB833_286
.LBB833_220:                            ;   in Loop: Header=BB833_104 Depth=2
	s_or_b32 exec_lo, exec_lo, s30
	s_and_saveexec_b32 s30, s19
	s_cbranch_execnz .LBB833_287
.LBB833_221:                            ;   in Loop: Header=BB833_104 Depth=2
	s_or_b32 exec_lo, exec_lo, s30
	s_and_saveexec_b32 s30, s20
	s_cbranch_execnz .LBB833_288
.LBB833_222:                            ;   in Loop: Header=BB833_104 Depth=2
	s_or_b32 exec_lo, exec_lo, s30
	s_and_saveexec_b32 s30, s21
	s_cbranch_execnz .LBB833_289
.LBB833_223:                            ;   in Loop: Header=BB833_104 Depth=2
	s_or_b32 exec_lo, exec_lo, s30
	s_and_saveexec_b32 s30, s22
	s_cbranch_execnz .LBB833_290
.LBB833_224:                            ;   in Loop: Header=BB833_104 Depth=2
	s_or_b32 exec_lo, exec_lo, s30
	s_and_saveexec_b32 s30, s23
	s_cbranch_execnz .LBB833_291
.LBB833_225:                            ;   in Loop: Header=BB833_104 Depth=2
	s_or_b32 exec_lo, exec_lo, s30
	s_and_saveexec_b32 s30, s24
	s_cbranch_execnz .LBB833_292
.LBB833_226:                            ;   in Loop: Header=BB833_104 Depth=2
	s_or_b32 exec_lo, exec_lo, s30
	s_and_saveexec_b32 s30, s25
	s_cbranch_execnz .LBB833_293
.LBB833_227:                            ;   in Loop: Header=BB833_104 Depth=2
	s_or_b32 exec_lo, exec_lo, s30
	s_and_saveexec_b32 s30, s26
	s_cbranch_execnz .LBB833_294
.LBB833_228:                            ;   in Loop: Header=BB833_104 Depth=2
	s_or_b32 exec_lo, exec_lo, s30
	s_and_saveexec_b32 s30, s27
	s_cbranch_execnz .LBB833_295
.LBB833_229:                            ;   in Loop: Header=BB833_104 Depth=2
	s_or_b32 exec_lo, exec_lo, s30
	s_and_saveexec_b32 s30, s28
	s_cbranch_execnz .LBB833_296
.LBB833_230:                            ;   in Loop: Header=BB833_104 Depth=2
	s_or_b32 exec_lo, exec_lo, s30
	s_and_saveexec_b32 s30, s29
	s_cbranch_execz .LBB833_232
.LBB833_231:                            ;   in Loop: Header=BB833_104 Depth=2
	ds_load_b64 v[58:59], v123 offset:31744
	s_wait_dscnt 0x0
	v_lshrrev_b64 v[58:59], s48, v[58:59]
	s_delay_alu instid0(VALU_DEP_1)
	v_and_b32_e32 v149, s56, v58
.LBB833_232:                            ;   in Loop: Header=BB833_104 Depth=2
	s_or_b32 exec_lo, exec_lo, s30
	s_wait_loadcnt 0x0
	s_wait_storecnt 0x0
	s_barrier_signal -1
	s_barrier_wait -1
	ds_store_b64 v91, v[56:57] offset:1024
	ds_store_b64 v60, v[54:55] offset:1024
	;; [unrolled: 1-line block ×16, first 2 shown]
	s_wait_dscnt 0x0
	s_barrier_signal -1
	s_barrier_wait -1
	s_and_saveexec_b32 s30, vcc_lo
	s_cbranch_execnz .LBB833_297
; %bb.233:                              ;   in Loop: Header=BB833_104 Depth=2
	s_or_b32 exec_lo, exec_lo, s30
	s_and_saveexec_b32 s30, s15
	s_cbranch_execnz .LBB833_298
.LBB833_234:                            ;   in Loop: Header=BB833_104 Depth=2
	s_or_b32 exec_lo, exec_lo, s30
	s_and_saveexec_b32 s15, s16
	s_cbranch_execnz .LBB833_299
.LBB833_235:                            ;   in Loop: Header=BB833_104 Depth=2
	s_or_b32 exec_lo, exec_lo, s15
	s_and_saveexec_b32 s15, s17
	s_cbranch_execnz .LBB833_300
.LBB833_236:                            ;   in Loop: Header=BB833_104 Depth=2
	s_or_b32 exec_lo, exec_lo, s15
	s_and_saveexec_b32 s15, s18
	s_cbranch_execnz .LBB833_301
.LBB833_237:                            ;   in Loop: Header=BB833_104 Depth=2
	s_or_b32 exec_lo, exec_lo, s15
	s_and_saveexec_b32 s15, s19
	s_cbranch_execnz .LBB833_302
.LBB833_238:                            ;   in Loop: Header=BB833_104 Depth=2
	s_or_b32 exec_lo, exec_lo, s15
	s_and_saveexec_b32 s15, s20
	s_cbranch_execnz .LBB833_303
.LBB833_239:                            ;   in Loop: Header=BB833_104 Depth=2
	s_or_b32 exec_lo, exec_lo, s15
	s_and_saveexec_b32 s15, s21
	s_cbranch_execnz .LBB833_304
.LBB833_240:                            ;   in Loop: Header=BB833_104 Depth=2
	s_or_b32 exec_lo, exec_lo, s15
	s_and_saveexec_b32 s15, s22
	s_cbranch_execnz .LBB833_305
.LBB833_241:                            ;   in Loop: Header=BB833_104 Depth=2
	s_or_b32 exec_lo, exec_lo, s15
	s_and_saveexec_b32 s15, s23
	s_cbranch_execnz .LBB833_306
.LBB833_242:                            ;   in Loop: Header=BB833_104 Depth=2
	s_or_b32 exec_lo, exec_lo, s15
	s_and_saveexec_b32 s15, s24
	s_cbranch_execnz .LBB833_307
.LBB833_243:                            ;   in Loop: Header=BB833_104 Depth=2
	s_or_b32 exec_lo, exec_lo, s15
	s_and_saveexec_b32 s15, s25
	s_cbranch_execnz .LBB833_308
.LBB833_244:                            ;   in Loop: Header=BB833_104 Depth=2
	s_or_b32 exec_lo, exec_lo, s15
	s_and_saveexec_b32 s15, s26
	s_cbranch_execnz .LBB833_309
.LBB833_245:                            ;   in Loop: Header=BB833_104 Depth=2
	s_or_b32 exec_lo, exec_lo, s15
	s_and_saveexec_b32 s15, s27
	s_cbranch_execnz .LBB833_310
.LBB833_246:                            ;   in Loop: Header=BB833_104 Depth=2
	s_or_b32 exec_lo, exec_lo, s15
	s_and_saveexec_b32 s15, s28
	s_cbranch_execnz .LBB833_311
.LBB833_247:                            ;   in Loop: Header=BB833_104 Depth=2
	s_or_b32 exec_lo, exec_lo, s15
	s_and_saveexec_b32 s15, s29
	s_cbranch_execz .LBB833_249
.LBB833_248:                            ;   in Loop: Header=BB833_104 Depth=2
	v_lshlrev_b32_e32 v58, 2, v149
	ds_load_b32 v60, v58
	ds_load_b64 v[58:59], v123 offset:31744
	s_wait_dscnt 0x1
	v_add_nc_u32_e32 v60, v60, v112
	s_wait_dscnt 0x0
	global_store_b64 v60, v[58:59], s[44:45] scale_offset
.LBB833_249:                            ;   in Loop: Header=BB833_104 Depth=2
	s_wait_xcnt 0x0
	s_or_b32 exec_lo, exec_lo, s15
	s_wait_storecnt 0x0
	s_barrier_signal -1
	s_barrier_wait -1
	s_and_saveexec_b32 s15, s0
	s_cbranch_execz .LBB833_103
; %bb.250:                              ;   in Loop: Header=BB833_104 Depth=2
	ds_load_b32 v58, v3
	s_wait_dscnt 0x0
	v_add_nc_u32_e32 v58, v58, v90
	ds_store_b32 v3, v58
	s_branch .LBB833_103
.LBB833_251:                            ;   in Loop: Header=BB833_104 Depth=2
	ds_load_b64 v[58:59], v123 offset:1024
	s_wait_dscnt 0x0
	v_lshrrev_b64 v[72:73], s48, v[58:59]
	v_xor_b32_e32 v59, 0x80000000, v59
	s_delay_alu instid0(VALU_DEP_2) | instskip(NEXT) | instid1(VALU_DEP_1)
	v_and_b32_e32 v72, s56, v72
	v_lshlrev_b32_e32 v72, 2, v72
	ds_load_b32 v72, v72
	s_wait_dscnt 0x0
	v_add_nc_u32_e32 v72, v72, v2
	global_store_b64 v72, v[58:59], s[38:39] scale_offset
	s_wait_xcnt 0x0
	s_or_b32 exec_lo, exec_lo, s15
	v_cmp_lt_u32_e64 s15, v98, v165
	s_and_saveexec_b32 s16, s15
	s_cbranch_execz .LBB833_184
.LBB833_252:                            ;   in Loop: Header=BB833_104 Depth=2
	ds_load_b64 v[58:59], v123 offset:3072
	s_wait_dscnt 0x0
	v_lshrrev_b64 v[72:73], s48, v[58:59]
	v_xor_b32_e32 v59, 0x80000000, v59
	s_delay_alu instid0(VALU_DEP_2) | instskip(NEXT) | instid1(VALU_DEP_1)
	v_and_b32_e32 v72, s56, v72
	v_lshlrev_b32_e32 v72, 2, v72
	ds_load_b32 v72, v72
	s_wait_dscnt 0x0
	v_add_nc_u32_e32 v72, v72, v98
	global_store_b64 v72, v[58:59], s[38:39] scale_offset
	s_wait_xcnt 0x0
	s_or_b32 exec_lo, exec_lo, s16
	v_cmp_lt_u32_e64 s16, v99, v165
	s_and_saveexec_b32 s17, s16
	s_cbranch_execz .LBB833_185
.LBB833_253:                            ;   in Loop: Header=BB833_104 Depth=2
	ds_load_b64 v[58:59], v123 offset:5120
	s_wait_dscnt 0x0
	v_lshrrev_b64 v[72:73], s48, v[58:59]
	v_xor_b32_e32 v59, 0x80000000, v59
	s_delay_alu instid0(VALU_DEP_2) | instskip(NEXT) | instid1(VALU_DEP_1)
	v_and_b32_e32 v72, s56, v72
	v_lshlrev_b32_e32 v72, 2, v72
	ds_load_b32 v72, v72
	s_wait_dscnt 0x0
	v_add_nc_u32_e32 v72, v72, v99
	global_store_b64 v72, v[58:59], s[38:39] scale_offset
	s_wait_xcnt 0x0
	s_or_b32 exec_lo, exec_lo, s17
	v_cmp_lt_u32_e64 s17, v100, v165
	s_and_saveexec_b32 s18, s17
	s_cbranch_execz .LBB833_186
.LBB833_254:                            ;   in Loop: Header=BB833_104 Depth=2
	ds_load_b64 v[58:59], v123 offset:7168
	s_wait_dscnt 0x0
	v_lshrrev_b64 v[72:73], s48, v[58:59]
	v_xor_b32_e32 v59, 0x80000000, v59
	s_delay_alu instid0(VALU_DEP_2) | instskip(NEXT) | instid1(VALU_DEP_1)
	v_and_b32_e32 v72, s56, v72
	v_lshlrev_b32_e32 v72, 2, v72
	ds_load_b32 v72, v72
	s_wait_dscnt 0x0
	v_add_nc_u32_e32 v72, v72, v100
	global_store_b64 v72, v[58:59], s[38:39] scale_offset
	s_wait_xcnt 0x0
	s_or_b32 exec_lo, exec_lo, s18
	v_cmp_lt_u32_e64 s18, v101, v165
	s_and_saveexec_b32 s19, s18
	s_cbranch_execz .LBB833_187
.LBB833_255:                            ;   in Loop: Header=BB833_104 Depth=2
	ds_load_b64 v[58:59], v123 offset:9216
	s_wait_dscnt 0x0
	v_lshrrev_b64 v[72:73], s48, v[58:59]
	v_xor_b32_e32 v59, 0x80000000, v59
	s_delay_alu instid0(VALU_DEP_2) | instskip(NEXT) | instid1(VALU_DEP_1)
	v_and_b32_e32 v72, s56, v72
	v_lshlrev_b32_e32 v72, 2, v72
	ds_load_b32 v72, v72
	s_wait_dscnt 0x0
	v_add_nc_u32_e32 v72, v72, v101
	global_store_b64 v72, v[58:59], s[38:39] scale_offset
	s_wait_xcnt 0x0
	s_or_b32 exec_lo, exec_lo, s19
	v_cmp_lt_u32_e64 s19, v102, v165
	s_and_saveexec_b32 s20, s19
	s_cbranch_execz .LBB833_188
.LBB833_256:                            ;   in Loop: Header=BB833_104 Depth=2
	ds_load_b64 v[58:59], v123 offset:11264
	s_wait_dscnt 0x0
	v_lshrrev_b64 v[72:73], s48, v[58:59]
	v_xor_b32_e32 v59, 0x80000000, v59
	s_delay_alu instid0(VALU_DEP_2) | instskip(NEXT) | instid1(VALU_DEP_1)
	v_and_b32_e32 v72, s56, v72
	v_lshlrev_b32_e32 v72, 2, v72
	ds_load_b32 v72, v72
	s_wait_dscnt 0x0
	v_add_nc_u32_e32 v72, v72, v102
	global_store_b64 v72, v[58:59], s[38:39] scale_offset
	s_wait_xcnt 0x0
	s_or_b32 exec_lo, exec_lo, s20
	v_cmp_lt_u32_e64 s20, v103, v165
	s_and_saveexec_b32 s21, s20
	s_cbranch_execz .LBB833_189
.LBB833_257:                            ;   in Loop: Header=BB833_104 Depth=2
	ds_load_b64 v[58:59], v123 offset:13312
	s_wait_dscnt 0x0
	v_lshrrev_b64 v[72:73], s48, v[58:59]
	v_xor_b32_e32 v59, 0x80000000, v59
	s_delay_alu instid0(VALU_DEP_2) | instskip(NEXT) | instid1(VALU_DEP_1)
	v_and_b32_e32 v72, s56, v72
	v_lshlrev_b32_e32 v72, 2, v72
	ds_load_b32 v72, v72
	s_wait_dscnt 0x0
	v_add_nc_u32_e32 v72, v72, v103
	global_store_b64 v72, v[58:59], s[38:39] scale_offset
	s_wait_xcnt 0x0
	s_or_b32 exec_lo, exec_lo, s21
	v_cmp_lt_u32_e64 s21, v104, v165
	s_and_saveexec_b32 s22, s21
	s_cbranch_execz .LBB833_190
.LBB833_258:                            ;   in Loop: Header=BB833_104 Depth=2
	ds_load_b64 v[58:59], v123 offset:15360
	s_wait_dscnt 0x0
	v_lshrrev_b64 v[72:73], s48, v[58:59]
	v_xor_b32_e32 v59, 0x80000000, v59
	s_delay_alu instid0(VALU_DEP_2) | instskip(NEXT) | instid1(VALU_DEP_1)
	v_and_b32_e32 v72, s56, v72
	v_lshlrev_b32_e32 v72, 2, v72
	ds_load_b32 v72, v72
	s_wait_dscnt 0x0
	v_add_nc_u32_e32 v72, v72, v104
	global_store_b64 v72, v[58:59], s[38:39] scale_offset
	s_wait_xcnt 0x0
	s_or_b32 exec_lo, exec_lo, s22
	v_cmp_lt_u32_e64 s22, v105, v165
	s_and_saveexec_b32 s23, s22
	s_cbranch_execz .LBB833_191
.LBB833_259:                            ;   in Loop: Header=BB833_104 Depth=2
	ds_load_b64 v[58:59], v123 offset:17408
	s_wait_dscnt 0x0
	v_lshrrev_b64 v[72:73], s48, v[58:59]
	v_xor_b32_e32 v59, 0x80000000, v59
	s_delay_alu instid0(VALU_DEP_2) | instskip(NEXT) | instid1(VALU_DEP_1)
	v_and_b32_e32 v72, s56, v72
	v_lshlrev_b32_e32 v72, 2, v72
	ds_load_b32 v72, v72
	s_wait_dscnt 0x0
	v_add_nc_u32_e32 v72, v72, v105
	global_store_b64 v72, v[58:59], s[38:39] scale_offset
	s_wait_xcnt 0x0
	s_or_b32 exec_lo, exec_lo, s23
	v_cmp_lt_u32_e64 s23, v106, v165
	s_and_saveexec_b32 s24, s23
	s_cbranch_execz .LBB833_192
.LBB833_260:                            ;   in Loop: Header=BB833_104 Depth=2
	ds_load_b64 v[58:59], v123 offset:19456
	s_wait_dscnt 0x0
	v_lshrrev_b64 v[72:73], s48, v[58:59]
	v_xor_b32_e32 v59, 0x80000000, v59
	s_delay_alu instid0(VALU_DEP_2) | instskip(NEXT) | instid1(VALU_DEP_1)
	v_and_b32_e32 v72, s56, v72
	v_lshlrev_b32_e32 v72, 2, v72
	ds_load_b32 v72, v72
	s_wait_dscnt 0x0
	v_add_nc_u32_e32 v72, v72, v106
	global_store_b64 v72, v[58:59], s[38:39] scale_offset
	s_wait_xcnt 0x0
	s_or_b32 exec_lo, exec_lo, s24
	v_cmp_lt_u32_e64 s24, v107, v165
	s_and_saveexec_b32 s25, s24
	s_cbranch_execz .LBB833_193
.LBB833_261:                            ;   in Loop: Header=BB833_104 Depth=2
	ds_load_b64 v[58:59], v123 offset:21504
	s_wait_dscnt 0x0
	v_lshrrev_b64 v[72:73], s48, v[58:59]
	v_xor_b32_e32 v59, 0x80000000, v59
	s_delay_alu instid0(VALU_DEP_2) | instskip(NEXT) | instid1(VALU_DEP_1)
	v_and_b32_e32 v72, s56, v72
	v_lshlrev_b32_e32 v72, 2, v72
	ds_load_b32 v72, v72
	s_wait_dscnt 0x0
	v_add_nc_u32_e32 v72, v72, v107
	global_store_b64 v72, v[58:59], s[38:39] scale_offset
	s_wait_xcnt 0x0
	s_or_b32 exec_lo, exec_lo, s25
	v_cmp_lt_u32_e64 s25, v108, v165
	s_and_saveexec_b32 s26, s25
	s_cbranch_execz .LBB833_194
.LBB833_262:                            ;   in Loop: Header=BB833_104 Depth=2
	ds_load_b64 v[58:59], v123 offset:23552
	s_wait_dscnt 0x0
	v_lshrrev_b64 v[72:73], s48, v[58:59]
	v_xor_b32_e32 v59, 0x80000000, v59
	s_delay_alu instid0(VALU_DEP_2) | instskip(NEXT) | instid1(VALU_DEP_1)
	v_and_b32_e32 v72, s56, v72
	v_lshlrev_b32_e32 v72, 2, v72
	ds_load_b32 v72, v72
	s_wait_dscnt 0x0
	v_add_nc_u32_e32 v72, v72, v108
	global_store_b64 v72, v[58:59], s[38:39] scale_offset
	s_wait_xcnt 0x0
	s_or_b32 exec_lo, exec_lo, s26
	v_cmp_lt_u32_e64 s26, v109, v165
	s_and_saveexec_b32 s27, s26
	s_cbranch_execz .LBB833_195
.LBB833_263:                            ;   in Loop: Header=BB833_104 Depth=2
	ds_load_b64 v[58:59], v123 offset:25600
	s_wait_dscnt 0x0
	v_lshrrev_b64 v[72:73], s48, v[58:59]
	v_xor_b32_e32 v59, 0x80000000, v59
	s_delay_alu instid0(VALU_DEP_2) | instskip(NEXT) | instid1(VALU_DEP_1)
	v_and_b32_e32 v72, s56, v72
	v_lshlrev_b32_e32 v72, 2, v72
	ds_load_b32 v72, v72
	s_wait_dscnt 0x0
	v_add_nc_u32_e32 v72, v72, v109
	global_store_b64 v72, v[58:59], s[38:39] scale_offset
	s_wait_xcnt 0x0
	s_or_b32 exec_lo, exec_lo, s27
	v_cmp_lt_u32_e64 s27, v110, v165
	s_and_saveexec_b32 s28, s27
	s_cbranch_execz .LBB833_196
.LBB833_264:                            ;   in Loop: Header=BB833_104 Depth=2
	ds_load_b64 v[58:59], v123 offset:27648
	s_wait_dscnt 0x0
	v_lshrrev_b64 v[72:73], s48, v[58:59]
	v_xor_b32_e32 v59, 0x80000000, v59
	s_delay_alu instid0(VALU_DEP_2) | instskip(NEXT) | instid1(VALU_DEP_1)
	v_and_b32_e32 v72, s56, v72
	v_lshlrev_b32_e32 v72, 2, v72
	ds_load_b32 v72, v72
	s_wait_dscnt 0x0
	v_add_nc_u32_e32 v72, v72, v110
	global_store_b64 v72, v[58:59], s[38:39] scale_offset
	s_wait_xcnt 0x0
	s_or_b32 exec_lo, exec_lo, s28
	v_cmp_lt_u32_e64 s28, v111, v165
	s_and_saveexec_b32 s29, s28
	s_cbranch_execz .LBB833_197
.LBB833_265:                            ;   in Loop: Header=BB833_104 Depth=2
	ds_load_b64 v[58:59], v123 offset:29696
	s_wait_dscnt 0x0
	v_lshrrev_b64 v[72:73], s48, v[58:59]
	v_xor_b32_e32 v59, 0x80000000, v59
	s_delay_alu instid0(VALU_DEP_2) | instskip(NEXT) | instid1(VALU_DEP_1)
	v_and_b32_e32 v72, s56, v72
	v_lshlrev_b32_e32 v72, 2, v72
	ds_load_b32 v72, v72
	s_wait_dscnt 0x0
	v_add_nc_u32_e32 v72, v72, v111
	global_store_b64 v72, v[58:59], s[38:39] scale_offset
	s_wait_xcnt 0x0
	s_or_b32 exec_lo, exec_lo, s29
	v_cmp_lt_u32_e64 s29, v112, v165
	s_and_saveexec_b32 s59, s29
	s_cbranch_execnz .LBB833_198
	s_branch .LBB833_199
.LBB833_266:                            ;   in Loop: Header=BB833_104 Depth=2
	global_load_b64 v[56:57], v[58:59], off
	s_wait_xcnt 0x0
	s_or_b32 exec_lo, exec_lo, s30
	s_delay_alu instid0(SALU_CYCLE_1)
	s_mov_b32 s59, exec_lo
	v_cmpx_lt_u32_e64 v132, v165
	s_cbranch_execz .LBB833_201
.LBB833_267:                            ;   in Loop: Header=BB833_104 Depth=2
	global_load_b64 v[54:55], v[58:59], off offset:256
	s_wait_xcnt 0x0
	s_or_b32 exec_lo, exec_lo, s59
	s_delay_alu instid0(SALU_CYCLE_1)
	s_mov_b32 s59, exec_lo
	v_cmpx_lt_u32_e64 v133, v165
	s_cbranch_execz .LBB833_202
.LBB833_268:                            ;   in Loop: Header=BB833_104 Depth=2
	global_load_b64 v[52:53], v[58:59], off offset:512
	s_wait_xcnt 0x0
	s_or_b32 exec_lo, exec_lo, s59
	s_delay_alu instid0(SALU_CYCLE_1)
	s_mov_b32 s59, exec_lo
	v_cmpx_lt_u32_e64 v134, v165
	s_cbranch_execz .LBB833_203
.LBB833_269:                            ;   in Loop: Header=BB833_104 Depth=2
	global_load_b64 v[50:51], v[58:59], off offset:768
	s_wait_xcnt 0x0
	s_or_b32 exec_lo, exec_lo, s59
	s_delay_alu instid0(SALU_CYCLE_1)
	s_mov_b32 s59, exec_lo
	v_cmpx_lt_u32_e64 v135, v165
	s_cbranch_execz .LBB833_204
.LBB833_270:                            ;   in Loop: Header=BB833_104 Depth=2
	global_load_b64 v[48:49], v[58:59], off offset:1024
	s_wait_xcnt 0x0
	s_or_b32 exec_lo, exec_lo, s59
	s_delay_alu instid0(SALU_CYCLE_1)
	s_mov_b32 s59, exec_lo
	v_cmpx_lt_u32_e64 v136, v165
	s_cbranch_execz .LBB833_205
.LBB833_271:                            ;   in Loop: Header=BB833_104 Depth=2
	global_load_b64 v[46:47], v[58:59], off offset:1280
	s_wait_xcnt 0x0
	s_or_b32 exec_lo, exec_lo, s59
	s_delay_alu instid0(SALU_CYCLE_1)
	s_mov_b32 s59, exec_lo
	v_cmpx_lt_u32_e64 v137, v165
	s_cbranch_execz .LBB833_206
.LBB833_272:                            ;   in Loop: Header=BB833_104 Depth=2
	global_load_b64 v[44:45], v[58:59], off offset:1536
	s_wait_xcnt 0x0
	s_or_b32 exec_lo, exec_lo, s59
	s_delay_alu instid0(SALU_CYCLE_1)
	s_mov_b32 s59, exec_lo
	v_cmpx_lt_u32_e64 v138, v165
	s_cbranch_execz .LBB833_207
.LBB833_273:                            ;   in Loop: Header=BB833_104 Depth=2
	global_load_b64 v[42:43], v[58:59], off offset:1792
	s_wait_xcnt 0x0
	s_or_b32 exec_lo, exec_lo, s59
	s_delay_alu instid0(SALU_CYCLE_1)
	s_mov_b32 s59, exec_lo
	v_cmpx_lt_u32_e64 v139, v165
	s_cbranch_execz .LBB833_208
.LBB833_274:                            ;   in Loop: Header=BB833_104 Depth=2
	global_load_b64 v[40:41], v[58:59], off offset:2048
	s_wait_xcnt 0x0
	s_or_b32 exec_lo, exec_lo, s59
	s_delay_alu instid0(SALU_CYCLE_1)
	s_mov_b32 s59, exec_lo
	v_cmpx_lt_u32_e64 v140, v165
	s_cbranch_execz .LBB833_209
.LBB833_275:                            ;   in Loop: Header=BB833_104 Depth=2
	global_load_b64 v[38:39], v[58:59], off offset:2304
	s_wait_xcnt 0x0
	s_or_b32 exec_lo, exec_lo, s59
	s_delay_alu instid0(SALU_CYCLE_1)
	s_mov_b32 s59, exec_lo
	v_cmpx_lt_u32_e64 v141, v165
	s_cbranch_execz .LBB833_210
.LBB833_276:                            ;   in Loop: Header=BB833_104 Depth=2
	global_load_b64 v[36:37], v[58:59], off offset:2560
	s_wait_xcnt 0x0
	s_or_b32 exec_lo, exec_lo, s59
	s_delay_alu instid0(SALU_CYCLE_1)
	s_mov_b32 s59, exec_lo
	v_cmpx_lt_u32_e64 v142, v165
	s_cbranch_execz .LBB833_211
.LBB833_277:                            ;   in Loop: Header=BB833_104 Depth=2
	global_load_b64 v[34:35], v[58:59], off offset:2816
	s_wait_xcnt 0x0
	s_or_b32 exec_lo, exec_lo, s59
	s_delay_alu instid0(SALU_CYCLE_1)
	s_mov_b32 s59, exec_lo
	v_cmpx_lt_u32_e64 v143, v165
	s_cbranch_execz .LBB833_212
.LBB833_278:                            ;   in Loop: Header=BB833_104 Depth=2
	global_load_b64 v[32:33], v[58:59], off offset:3072
	s_wait_xcnt 0x0
	s_or_b32 exec_lo, exec_lo, s59
	s_delay_alu instid0(SALU_CYCLE_1)
	s_mov_b32 s59, exec_lo
	v_cmpx_lt_u32_e64 v144, v165
	s_cbranch_execz .LBB833_213
.LBB833_279:                            ;   in Loop: Header=BB833_104 Depth=2
	global_load_b64 v[30:31], v[58:59], off offset:3328
	s_wait_xcnt 0x0
	s_or_b32 exec_lo, exec_lo, s59
	s_delay_alu instid0(SALU_CYCLE_1)
	s_mov_b32 s59, exec_lo
	v_cmpx_lt_u32_e64 v145, v165
	s_cbranch_execz .LBB833_214
.LBB833_280:                            ;   in Loop: Header=BB833_104 Depth=2
	global_load_b64 v[28:29], v[58:59], off offset:3584
	s_wait_xcnt 0x0
	s_or_b32 exec_lo, exec_lo, s59
	s_delay_alu instid0(SALU_CYCLE_1)
	s_mov_b32 s59, exec_lo
	v_cmpx_lt_u32_e64 v146, v165
	s_cbranch_execz .LBB833_215
.LBB833_281:                            ;   in Loop: Header=BB833_104 Depth=2
	global_load_b64 v[26:27], v[58:59], off offset:3840
	s_wait_xcnt 0x0
	s_or_b32 exec_lo, exec_lo, s59
	s_and_saveexec_b32 s30, vcc_lo
	s_cbranch_execz .LBB833_216
.LBB833_282:                            ;   in Loop: Header=BB833_104 Depth=2
	ds_load_b64 v[58:59], v123 offset:1024
	s_wait_dscnt 0x0
	v_lshrrev_b64 v[58:59], s48, v[58:59]
	s_delay_alu instid0(VALU_DEP_1)
	v_and_b32_e32 v164, s56, v58
	s_or_b32 exec_lo, exec_lo, s30
	s_and_saveexec_b32 s30, s15
	s_cbranch_execz .LBB833_217
.LBB833_283:                            ;   in Loop: Header=BB833_104 Depth=2
	ds_load_b64 v[58:59], v123 offset:3072
	s_wait_dscnt 0x0
	v_lshrrev_b64 v[58:59], s48, v[58:59]
	s_delay_alu instid0(VALU_DEP_1)
	v_and_b32_e32 v163, s56, v58
	s_or_b32 exec_lo, exec_lo, s30
	s_and_saveexec_b32 s30, s16
	s_cbranch_execz .LBB833_218
.LBB833_284:                            ;   in Loop: Header=BB833_104 Depth=2
	ds_load_b64 v[58:59], v123 offset:5120
	s_wait_dscnt 0x0
	v_lshrrev_b64 v[58:59], s48, v[58:59]
	s_delay_alu instid0(VALU_DEP_1)
	v_and_b32_e32 v162, s56, v58
	s_or_b32 exec_lo, exec_lo, s30
	s_and_saveexec_b32 s30, s17
	s_cbranch_execz .LBB833_219
.LBB833_285:                            ;   in Loop: Header=BB833_104 Depth=2
	ds_load_b64 v[58:59], v123 offset:7168
	s_wait_dscnt 0x0
	v_lshrrev_b64 v[58:59], s48, v[58:59]
	s_delay_alu instid0(VALU_DEP_1)
	v_and_b32_e32 v161, s56, v58
	s_or_b32 exec_lo, exec_lo, s30
	s_and_saveexec_b32 s30, s18
	s_cbranch_execz .LBB833_220
.LBB833_286:                            ;   in Loop: Header=BB833_104 Depth=2
	ds_load_b64 v[58:59], v123 offset:9216
	s_wait_dscnt 0x0
	v_lshrrev_b64 v[58:59], s48, v[58:59]
	s_delay_alu instid0(VALU_DEP_1)
	v_and_b32_e32 v160, s56, v58
	s_or_b32 exec_lo, exec_lo, s30
	s_and_saveexec_b32 s30, s19
	s_cbranch_execz .LBB833_221
.LBB833_287:                            ;   in Loop: Header=BB833_104 Depth=2
	ds_load_b64 v[58:59], v123 offset:11264
	s_wait_dscnt 0x0
	v_lshrrev_b64 v[58:59], s48, v[58:59]
	s_delay_alu instid0(VALU_DEP_1)
	v_and_b32_e32 v159, s56, v58
	s_or_b32 exec_lo, exec_lo, s30
	s_and_saveexec_b32 s30, s20
	s_cbranch_execz .LBB833_222
.LBB833_288:                            ;   in Loop: Header=BB833_104 Depth=2
	ds_load_b64 v[58:59], v123 offset:13312
	s_wait_dscnt 0x0
	v_lshrrev_b64 v[58:59], s48, v[58:59]
	s_delay_alu instid0(VALU_DEP_1)
	v_and_b32_e32 v158, s56, v58
	s_or_b32 exec_lo, exec_lo, s30
	s_and_saveexec_b32 s30, s21
	s_cbranch_execz .LBB833_223
.LBB833_289:                            ;   in Loop: Header=BB833_104 Depth=2
	ds_load_b64 v[58:59], v123 offset:15360
	s_wait_dscnt 0x0
	v_lshrrev_b64 v[58:59], s48, v[58:59]
	s_delay_alu instid0(VALU_DEP_1)
	v_and_b32_e32 v157, s56, v58
	s_or_b32 exec_lo, exec_lo, s30
	s_and_saveexec_b32 s30, s22
	s_cbranch_execz .LBB833_224
.LBB833_290:                            ;   in Loop: Header=BB833_104 Depth=2
	ds_load_b64 v[58:59], v123 offset:17408
	s_wait_dscnt 0x0
	v_lshrrev_b64 v[58:59], s48, v[58:59]
	s_delay_alu instid0(VALU_DEP_1)
	v_and_b32_e32 v156, s56, v58
	s_or_b32 exec_lo, exec_lo, s30
	s_and_saveexec_b32 s30, s23
	s_cbranch_execz .LBB833_225
.LBB833_291:                            ;   in Loop: Header=BB833_104 Depth=2
	ds_load_b64 v[58:59], v123 offset:19456
	s_wait_dscnt 0x0
	v_lshrrev_b64 v[58:59], s48, v[58:59]
	s_delay_alu instid0(VALU_DEP_1)
	v_and_b32_e32 v155, s56, v58
	s_or_b32 exec_lo, exec_lo, s30
	s_and_saveexec_b32 s30, s24
	s_cbranch_execz .LBB833_226
.LBB833_292:                            ;   in Loop: Header=BB833_104 Depth=2
	ds_load_b64 v[58:59], v123 offset:21504
	s_wait_dscnt 0x0
	v_lshrrev_b64 v[58:59], s48, v[58:59]
	s_delay_alu instid0(VALU_DEP_1)
	v_and_b32_e32 v154, s56, v58
	s_or_b32 exec_lo, exec_lo, s30
	s_and_saveexec_b32 s30, s25
	s_cbranch_execz .LBB833_227
.LBB833_293:                            ;   in Loop: Header=BB833_104 Depth=2
	ds_load_b64 v[58:59], v123 offset:23552
	s_wait_dscnt 0x0
	v_lshrrev_b64 v[58:59], s48, v[58:59]
	s_delay_alu instid0(VALU_DEP_1)
	v_and_b32_e32 v153, s56, v58
	s_or_b32 exec_lo, exec_lo, s30
	s_and_saveexec_b32 s30, s26
	s_cbranch_execz .LBB833_228
.LBB833_294:                            ;   in Loop: Header=BB833_104 Depth=2
	ds_load_b64 v[58:59], v123 offset:25600
	s_wait_dscnt 0x0
	v_lshrrev_b64 v[58:59], s48, v[58:59]
	s_delay_alu instid0(VALU_DEP_1)
	v_and_b32_e32 v152, s56, v58
	s_or_b32 exec_lo, exec_lo, s30
	s_and_saveexec_b32 s30, s27
	s_cbranch_execz .LBB833_229
.LBB833_295:                            ;   in Loop: Header=BB833_104 Depth=2
	ds_load_b64 v[58:59], v123 offset:27648
	s_wait_dscnt 0x0
	v_lshrrev_b64 v[58:59], s48, v[58:59]
	s_delay_alu instid0(VALU_DEP_1)
	v_and_b32_e32 v151, s56, v58
	s_or_b32 exec_lo, exec_lo, s30
	s_and_saveexec_b32 s30, s28
	s_cbranch_execz .LBB833_230
.LBB833_296:                            ;   in Loop: Header=BB833_104 Depth=2
	ds_load_b64 v[58:59], v123 offset:29696
	s_wait_dscnt 0x0
	v_lshrrev_b64 v[58:59], s48, v[58:59]
	s_delay_alu instid0(VALU_DEP_1)
	v_and_b32_e32 v150, s56, v58
	s_or_b32 exec_lo, exec_lo, s30
	s_and_saveexec_b32 s30, s29
	s_cbranch_execnz .LBB833_231
	s_branch .LBB833_232
.LBB833_297:                            ;   in Loop: Header=BB833_104 Depth=2
	v_lshlrev_b32_e32 v58, 2, v164
	ds_load_b32 v60, v58
	ds_load_b64 v[58:59], v123 offset:1024
	s_wait_dscnt 0x1
	v_add_nc_u32_e32 v60, v60, v2
	s_wait_dscnt 0x0
	global_store_b64 v60, v[58:59], s[44:45] scale_offset
	s_wait_xcnt 0x0
	s_or_b32 exec_lo, exec_lo, s30
	s_and_saveexec_b32 s30, s15
	s_cbranch_execz .LBB833_234
.LBB833_298:                            ;   in Loop: Header=BB833_104 Depth=2
	v_lshlrev_b32_e32 v58, 2, v163
	ds_load_b32 v60, v58
	ds_load_b64 v[58:59], v123 offset:3072
	s_wait_dscnt 0x1
	v_add_nc_u32_e32 v60, v60, v98
	s_wait_dscnt 0x0
	global_store_b64 v60, v[58:59], s[44:45] scale_offset
	s_wait_xcnt 0x0
	s_or_b32 exec_lo, exec_lo, s30
	s_and_saveexec_b32 s15, s16
	s_cbranch_execz .LBB833_235
.LBB833_299:                            ;   in Loop: Header=BB833_104 Depth=2
	v_lshlrev_b32_e32 v58, 2, v162
	ds_load_b32 v60, v58
	ds_load_b64 v[58:59], v123 offset:5120
	s_wait_dscnt 0x1
	v_add_nc_u32_e32 v60, v60, v99
	s_wait_dscnt 0x0
	global_store_b64 v60, v[58:59], s[44:45] scale_offset
	s_wait_xcnt 0x0
	s_or_b32 exec_lo, exec_lo, s15
	s_and_saveexec_b32 s15, s17
	s_cbranch_execz .LBB833_236
.LBB833_300:                            ;   in Loop: Header=BB833_104 Depth=2
	v_lshlrev_b32_e32 v58, 2, v161
	ds_load_b32 v60, v58
	ds_load_b64 v[58:59], v123 offset:7168
	s_wait_dscnt 0x1
	v_add_nc_u32_e32 v60, v60, v100
	s_wait_dscnt 0x0
	global_store_b64 v60, v[58:59], s[44:45] scale_offset
	s_wait_xcnt 0x0
	s_or_b32 exec_lo, exec_lo, s15
	s_and_saveexec_b32 s15, s18
	s_cbranch_execz .LBB833_237
.LBB833_301:                            ;   in Loop: Header=BB833_104 Depth=2
	v_lshlrev_b32_e32 v58, 2, v160
	ds_load_b32 v60, v58
	ds_load_b64 v[58:59], v123 offset:9216
	s_wait_dscnt 0x1
	v_add_nc_u32_e32 v60, v60, v101
	s_wait_dscnt 0x0
	global_store_b64 v60, v[58:59], s[44:45] scale_offset
	s_wait_xcnt 0x0
	s_or_b32 exec_lo, exec_lo, s15
	s_and_saveexec_b32 s15, s19
	s_cbranch_execz .LBB833_238
.LBB833_302:                            ;   in Loop: Header=BB833_104 Depth=2
	v_lshlrev_b32_e32 v58, 2, v159
	ds_load_b32 v60, v58
	ds_load_b64 v[58:59], v123 offset:11264
	s_wait_dscnt 0x1
	v_add_nc_u32_e32 v60, v60, v102
	s_wait_dscnt 0x0
	global_store_b64 v60, v[58:59], s[44:45] scale_offset
	s_wait_xcnt 0x0
	s_or_b32 exec_lo, exec_lo, s15
	s_and_saveexec_b32 s15, s20
	s_cbranch_execz .LBB833_239
.LBB833_303:                            ;   in Loop: Header=BB833_104 Depth=2
	v_lshlrev_b32_e32 v58, 2, v158
	ds_load_b32 v60, v58
	ds_load_b64 v[58:59], v123 offset:13312
	s_wait_dscnt 0x1
	v_add_nc_u32_e32 v60, v60, v103
	s_wait_dscnt 0x0
	global_store_b64 v60, v[58:59], s[44:45] scale_offset
	s_wait_xcnt 0x0
	s_or_b32 exec_lo, exec_lo, s15
	s_and_saveexec_b32 s15, s21
	s_cbranch_execz .LBB833_240
.LBB833_304:                            ;   in Loop: Header=BB833_104 Depth=2
	v_lshlrev_b32_e32 v58, 2, v157
	ds_load_b32 v60, v58
	ds_load_b64 v[58:59], v123 offset:15360
	s_wait_dscnt 0x1
	v_add_nc_u32_e32 v60, v60, v104
	s_wait_dscnt 0x0
	global_store_b64 v60, v[58:59], s[44:45] scale_offset
	s_wait_xcnt 0x0
	s_or_b32 exec_lo, exec_lo, s15
	s_and_saveexec_b32 s15, s22
	s_cbranch_execz .LBB833_241
.LBB833_305:                            ;   in Loop: Header=BB833_104 Depth=2
	v_lshlrev_b32_e32 v58, 2, v156
	ds_load_b32 v60, v58
	ds_load_b64 v[58:59], v123 offset:17408
	s_wait_dscnt 0x1
	v_add_nc_u32_e32 v60, v60, v105
	s_wait_dscnt 0x0
	global_store_b64 v60, v[58:59], s[44:45] scale_offset
	s_wait_xcnt 0x0
	s_or_b32 exec_lo, exec_lo, s15
	s_and_saveexec_b32 s15, s23
	s_cbranch_execz .LBB833_242
.LBB833_306:                            ;   in Loop: Header=BB833_104 Depth=2
	v_lshlrev_b32_e32 v58, 2, v155
	ds_load_b32 v60, v58
	ds_load_b64 v[58:59], v123 offset:19456
	s_wait_dscnt 0x1
	v_add_nc_u32_e32 v60, v60, v106
	s_wait_dscnt 0x0
	global_store_b64 v60, v[58:59], s[44:45] scale_offset
	s_wait_xcnt 0x0
	s_or_b32 exec_lo, exec_lo, s15
	s_and_saveexec_b32 s15, s24
	s_cbranch_execz .LBB833_243
.LBB833_307:                            ;   in Loop: Header=BB833_104 Depth=2
	v_lshlrev_b32_e32 v58, 2, v154
	ds_load_b32 v60, v58
	ds_load_b64 v[58:59], v123 offset:21504
	s_wait_dscnt 0x1
	v_add_nc_u32_e32 v60, v60, v107
	s_wait_dscnt 0x0
	global_store_b64 v60, v[58:59], s[44:45] scale_offset
	s_wait_xcnt 0x0
	s_or_b32 exec_lo, exec_lo, s15
	s_and_saveexec_b32 s15, s25
	s_cbranch_execz .LBB833_244
.LBB833_308:                            ;   in Loop: Header=BB833_104 Depth=2
	v_lshlrev_b32_e32 v58, 2, v153
	ds_load_b32 v60, v58
	ds_load_b64 v[58:59], v123 offset:23552
	s_wait_dscnt 0x1
	v_add_nc_u32_e32 v60, v60, v108
	s_wait_dscnt 0x0
	global_store_b64 v60, v[58:59], s[44:45] scale_offset
	s_wait_xcnt 0x0
	s_or_b32 exec_lo, exec_lo, s15
	s_and_saveexec_b32 s15, s26
	s_cbranch_execz .LBB833_245
.LBB833_309:                            ;   in Loop: Header=BB833_104 Depth=2
	v_lshlrev_b32_e32 v58, 2, v152
	ds_load_b32 v60, v58
	ds_load_b64 v[58:59], v123 offset:25600
	s_wait_dscnt 0x1
	v_add_nc_u32_e32 v60, v60, v109
	s_wait_dscnt 0x0
	global_store_b64 v60, v[58:59], s[44:45] scale_offset
	s_wait_xcnt 0x0
	s_or_b32 exec_lo, exec_lo, s15
	s_and_saveexec_b32 s15, s27
	s_cbranch_execz .LBB833_246
.LBB833_310:                            ;   in Loop: Header=BB833_104 Depth=2
	v_lshlrev_b32_e32 v58, 2, v151
	ds_load_b32 v60, v58
	ds_load_b64 v[58:59], v123 offset:27648
	s_wait_dscnt 0x1
	v_add_nc_u32_e32 v60, v60, v110
	s_wait_dscnt 0x0
	global_store_b64 v60, v[58:59], s[44:45] scale_offset
	s_wait_xcnt 0x0
	s_or_b32 exec_lo, exec_lo, s15
	s_and_saveexec_b32 s15, s28
	s_cbranch_execz .LBB833_247
.LBB833_311:                            ;   in Loop: Header=BB833_104 Depth=2
	v_lshlrev_b32_e32 v58, 2, v150
	ds_load_b32 v60, v58
	ds_load_b64 v[58:59], v123 offset:29696
	s_wait_dscnt 0x1
	v_add_nc_u32_e32 v60, v60, v111
	s_wait_dscnt 0x0
	global_store_b64 v60, v[58:59], s[44:45] scale_offset
	s_wait_xcnt 0x0
	s_or_b32 exec_lo, exec_lo, s15
	s_and_saveexec_b32 s15, s29
	s_cbranch_execnz .LBB833_248
	s_branch .LBB833_249
.LBB833_312:                            ;   in Loop: Header=BB833_20 Depth=1
	s_wait_dscnt 0x0
	s_barrier_signal -1
	s_mov_b32 s7, 0
	s_barrier_wait -1
.LBB833_313:                            ;   in Loop: Header=BB833_20 Depth=1
	s_and_b32 vcc_lo, exec_lo, s7
	s_cbranch_vccz .LBB833_605
; %bb.314:                              ;   in Loop: Header=BB833_20 Depth=1
	s_mov_b32 s7, s54
	s_mov_b32 s30, s52
	s_barrier_signal -1
	s_barrier_wait -1
                                        ; implicit-def: $vgpr22_vgpr23
                                        ; implicit-def: $vgpr24_vgpr25
                                        ; implicit-def: $vgpr26_vgpr27
                                        ; implicit-def: $vgpr28_vgpr29
                                        ; implicit-def: $vgpr30_vgpr31
                                        ; implicit-def: $vgpr32_vgpr33
                                        ; implicit-def: $vgpr34_vgpr35
                                        ; implicit-def: $vgpr36_vgpr37
                                        ; implicit-def: $vgpr38_vgpr39
                                        ; implicit-def: $vgpr40_vgpr41
                                        ; implicit-def: $vgpr42_vgpr43
                                        ; implicit-def: $vgpr44_vgpr45
                                        ; implicit-def: $vgpr46_vgpr47
                                        ; implicit-def: $vgpr48_vgpr49
                                        ; implicit-def: $vgpr50_vgpr51
                                        ; implicit-def: $vgpr52_vgpr53
	s_branch .LBB833_316
.LBB833_315:                            ;   in Loop: Header=BB833_316 Depth=2
	s_or_b32 exec_lo, exec_lo, s8
	s_addk_co_i32 s7, 0xf000
	s_cmp_ge_u32 s10, s51
	s_mov_b32 s30, s10
	s_cbranch_scc1 .LBB833_384
.LBB833_316:                            ;   Parent Loop BB833_20 Depth=1
                                        ; =>  This Inner Loop Header: Depth=2
	s_add_co_i32 s10, s30, 0x1000
	s_mov_b32 s8, -1
	s_cmp_gt_u32 s10, s51
                                        ; implicit-def: $vgpr54_vgpr55
                                        ; implicit-def: $vgpr56_vgpr57
                                        ; implicit-def: $vgpr58_vgpr59
                                        ; implicit-def: $vgpr60_vgpr61
                                        ; implicit-def: $vgpr62_vgpr63
                                        ; implicit-def: $vgpr64_vgpr65
                                        ; implicit-def: $vgpr66_vgpr67
                                        ; implicit-def: $vgpr68_vgpr69
                                        ; implicit-def: $vgpr70_vgpr71
                                        ; implicit-def: $vgpr72_vgpr73
                                        ; implicit-def: $vgpr74_vgpr75
                                        ; implicit-def: $vgpr76_vgpr77
                                        ; implicit-def: $vgpr78_vgpr79
                                        ; implicit-def: $vgpr80_vgpr81
                                        ; implicit-def: $vgpr82_vgpr83
                                        ; implicit-def: $vgpr84_vgpr85
	s_cbranch_scc1 .LBB833_318
; %bb.317:                              ;   in Loop: Header=BB833_316 Depth=2
	v_lshl_add_u64 v[84:85], s[30:31], 3, v[10:11]
	s_mov_b32 s8, 0
	s_clause 0xf
	global_load_b64 v[54:55], v[84:85], off
	global_load_b64 v[56:57], v[84:85], off offset:2048
	global_load_b64 v[58:59], v[84:85], off offset:4096
	;; [unrolled: 1-line block ×15, first 2 shown]
.LBB833_318:                            ;   in Loop: Header=BB833_316 Depth=2
	s_and_not1_b32 vcc_lo, exec_lo, s8
	s_movk_i32 s8, 0x1000
	s_cbranch_vccnz .LBB833_337
; %bb.319:                              ;   in Loop: Header=BB833_316 Depth=2
	s_lshl_b64 s[8:9], s[30:31], 3
	s_mov_b32 s11, exec_lo
	s_add_nc_u64 s[8:9], s[38:39], s[8:9]
	s_wait_xcnt 0x0
	v_cmpx_gt_u32_e64 s7, v2
	s_cbranch_execnz .LBB833_369
; %bb.320:                              ;   in Loop: Header=BB833_316 Depth=2
	s_or_b32 exec_lo, exec_lo, s11
	s_delay_alu instid0(SALU_CYCLE_1)
	s_mov_b32 s11, exec_lo
	v_cmpx_gt_u32_e64 s7, v98
	s_cbranch_execnz .LBB833_370
.LBB833_321:                            ;   in Loop: Header=BB833_316 Depth=2
	s_or_b32 exec_lo, exec_lo, s11
	s_delay_alu instid0(SALU_CYCLE_1)
	s_mov_b32 s11, exec_lo
	v_cmpx_gt_u32_e64 s7, v99
	s_cbranch_execnz .LBB833_371
.LBB833_322:                            ;   in Loop: Header=BB833_316 Depth=2
	s_or_b32 exec_lo, exec_lo, s11
	s_delay_alu instid0(SALU_CYCLE_1)
	s_mov_b32 s11, exec_lo
	v_cmpx_gt_u32_e64 s7, v100
	s_cbranch_execnz .LBB833_372
.LBB833_323:                            ;   in Loop: Header=BB833_316 Depth=2
	s_or_b32 exec_lo, exec_lo, s11
	s_delay_alu instid0(SALU_CYCLE_1)
	s_mov_b32 s11, exec_lo
	v_cmpx_gt_u32_e64 s7, v101
	s_cbranch_execnz .LBB833_373
.LBB833_324:                            ;   in Loop: Header=BB833_316 Depth=2
	s_or_b32 exec_lo, exec_lo, s11
	s_delay_alu instid0(SALU_CYCLE_1)
	s_mov_b32 s11, exec_lo
	v_cmpx_gt_u32_e64 s7, v102
	s_cbranch_execnz .LBB833_374
.LBB833_325:                            ;   in Loop: Header=BB833_316 Depth=2
	s_or_b32 exec_lo, exec_lo, s11
	s_delay_alu instid0(SALU_CYCLE_1)
	s_mov_b32 s11, exec_lo
	v_cmpx_gt_u32_e64 s7, v103
	s_cbranch_execnz .LBB833_375
.LBB833_326:                            ;   in Loop: Header=BB833_316 Depth=2
	s_or_b32 exec_lo, exec_lo, s11
	s_delay_alu instid0(SALU_CYCLE_1)
	s_mov_b32 s11, exec_lo
	v_cmpx_gt_u32_e64 s7, v104
	s_cbranch_execnz .LBB833_376
.LBB833_327:                            ;   in Loop: Header=BB833_316 Depth=2
	s_or_b32 exec_lo, exec_lo, s11
	s_delay_alu instid0(SALU_CYCLE_1)
	s_mov_b32 s11, exec_lo
	v_cmpx_gt_u32_e64 s7, v105
	s_cbranch_execnz .LBB833_377
.LBB833_328:                            ;   in Loop: Header=BB833_316 Depth=2
	s_or_b32 exec_lo, exec_lo, s11
	s_delay_alu instid0(SALU_CYCLE_1)
	s_mov_b32 s11, exec_lo
	v_cmpx_gt_u32_e64 s7, v106
	s_cbranch_execnz .LBB833_378
.LBB833_329:                            ;   in Loop: Header=BB833_316 Depth=2
	s_or_b32 exec_lo, exec_lo, s11
	s_delay_alu instid0(SALU_CYCLE_1)
	s_mov_b32 s11, exec_lo
	v_cmpx_gt_u32_e64 s7, v107
	s_cbranch_execnz .LBB833_379
.LBB833_330:                            ;   in Loop: Header=BB833_316 Depth=2
	s_or_b32 exec_lo, exec_lo, s11
	s_delay_alu instid0(SALU_CYCLE_1)
	s_mov_b32 s11, exec_lo
	v_cmpx_gt_u32_e64 s7, v108
	s_cbranch_execnz .LBB833_380
.LBB833_331:                            ;   in Loop: Header=BB833_316 Depth=2
	s_or_b32 exec_lo, exec_lo, s11
	s_delay_alu instid0(SALU_CYCLE_1)
	s_mov_b32 s11, exec_lo
	v_cmpx_gt_u32_e64 s7, v109
	s_cbranch_execnz .LBB833_381
.LBB833_332:                            ;   in Loop: Header=BB833_316 Depth=2
	s_or_b32 exec_lo, exec_lo, s11
	s_delay_alu instid0(SALU_CYCLE_1)
	s_mov_b32 s11, exec_lo
	v_cmpx_gt_u32_e64 s7, v110
	s_cbranch_execnz .LBB833_382
.LBB833_333:                            ;   in Loop: Header=BB833_316 Depth=2
	s_or_b32 exec_lo, exec_lo, s11
	s_delay_alu instid0(SALU_CYCLE_1)
	s_mov_b32 s11, exec_lo
	v_cmpx_gt_u32_e64 s7, v111
	s_cbranch_execnz .LBB833_383
.LBB833_334:                            ;   in Loop: Header=BB833_316 Depth=2
	s_or_b32 exec_lo, exec_lo, s11
	s_delay_alu instid0(SALU_CYCLE_1)
	s_mov_b32 s11, exec_lo
	v_cmpx_gt_u32_e64 s7, v112
	s_cbranch_execz .LBB833_336
.LBB833_335:                            ;   in Loop: Header=BB833_316 Depth=2
	global_load_b64 v[22:23], v2, s[8:9] offset:30720 scale_offset
.LBB833_336:                            ;   in Loop: Header=BB833_316 Depth=2
	s_wait_xcnt 0x0
	s_or_b32 exec_lo, exec_lo, s11
	s_wait_loadcnt 0x0
	v_mov_b64_e32 v[54:55], v[52:53]
	v_mov_b64_e32 v[56:57], v[50:51]
	;; [unrolled: 1-line block ×16, first 2 shown]
	s_mov_b32 s8, s7
.LBB833_337:                            ;   in Loop: Header=BB833_316 Depth=2
	s_wait_loadcnt 0x0
	s_delay_alu instid0(VALU_DEP_1) | instskip(NEXT) | instid1(VALU_DEP_3)
	v_mov_b64_e32 v[22:23], v[84:85]
	v_mov_b64_e32 v[24:25], v[82:83]
	;; [unrolled: 1-line block ×16, first 2 shown]
	s_mov_b32 s9, exec_lo
	s_wait_xcnt 0x0
	v_cmpx_gt_u32_e64 s8, v2
	s_cbranch_execnz .LBB833_353
; %bb.338:                              ;   in Loop: Header=BB833_316 Depth=2
	s_or_b32 exec_lo, exec_lo, s9
	s_delay_alu instid0(SALU_CYCLE_1)
	s_mov_b32 s9, exec_lo
	v_cmpx_gt_u32_e64 s8, v98
	s_cbranch_execnz .LBB833_354
.LBB833_339:                            ;   in Loop: Header=BB833_316 Depth=2
	s_or_b32 exec_lo, exec_lo, s9
	s_delay_alu instid0(SALU_CYCLE_1)
	s_mov_b32 s9, exec_lo
	v_cmpx_gt_u32_e64 s8, v99
	s_cbranch_execnz .LBB833_355
.LBB833_340:                            ;   in Loop: Header=BB833_316 Depth=2
	s_or_b32 exec_lo, exec_lo, s9
	s_delay_alu instid0(SALU_CYCLE_1)
	s_mov_b32 s9, exec_lo
	v_cmpx_gt_u32_e64 s8, v100
	s_cbranch_execnz .LBB833_356
.LBB833_341:                            ;   in Loop: Header=BB833_316 Depth=2
	s_or_b32 exec_lo, exec_lo, s9
	s_delay_alu instid0(SALU_CYCLE_1)
	s_mov_b32 s9, exec_lo
	v_cmpx_gt_u32_e64 s8, v101
	s_cbranch_execnz .LBB833_357
.LBB833_342:                            ;   in Loop: Header=BB833_316 Depth=2
	s_or_b32 exec_lo, exec_lo, s9
	s_delay_alu instid0(SALU_CYCLE_1)
	s_mov_b32 s9, exec_lo
	v_cmpx_gt_u32_e64 s8, v102
	s_cbranch_execnz .LBB833_358
.LBB833_343:                            ;   in Loop: Header=BB833_316 Depth=2
	s_or_b32 exec_lo, exec_lo, s9
	s_delay_alu instid0(SALU_CYCLE_1)
	s_mov_b32 s9, exec_lo
	v_cmpx_gt_u32_e64 s8, v103
	s_cbranch_execnz .LBB833_359
.LBB833_344:                            ;   in Loop: Header=BB833_316 Depth=2
	s_or_b32 exec_lo, exec_lo, s9
	s_delay_alu instid0(SALU_CYCLE_1)
	s_mov_b32 s9, exec_lo
	v_cmpx_gt_u32_e64 s8, v104
	s_cbranch_execnz .LBB833_360
.LBB833_345:                            ;   in Loop: Header=BB833_316 Depth=2
	s_or_b32 exec_lo, exec_lo, s9
	s_delay_alu instid0(SALU_CYCLE_1)
	s_mov_b32 s9, exec_lo
	v_cmpx_gt_u32_e64 s8, v105
	s_cbranch_execnz .LBB833_361
.LBB833_346:                            ;   in Loop: Header=BB833_316 Depth=2
	s_or_b32 exec_lo, exec_lo, s9
	s_delay_alu instid0(SALU_CYCLE_1)
	s_mov_b32 s9, exec_lo
	v_cmpx_gt_u32_e64 s8, v106
	s_cbranch_execnz .LBB833_362
.LBB833_347:                            ;   in Loop: Header=BB833_316 Depth=2
	s_or_b32 exec_lo, exec_lo, s9
	s_delay_alu instid0(SALU_CYCLE_1)
	s_mov_b32 s9, exec_lo
	v_cmpx_gt_u32_e64 s8, v107
	s_cbranch_execnz .LBB833_363
.LBB833_348:                            ;   in Loop: Header=BB833_316 Depth=2
	s_or_b32 exec_lo, exec_lo, s9
	s_delay_alu instid0(SALU_CYCLE_1)
	s_mov_b32 s9, exec_lo
	v_cmpx_gt_u32_e64 s8, v108
	s_cbranch_execnz .LBB833_364
.LBB833_349:                            ;   in Loop: Header=BB833_316 Depth=2
	s_or_b32 exec_lo, exec_lo, s9
	s_delay_alu instid0(SALU_CYCLE_1)
	s_mov_b32 s9, exec_lo
	v_cmpx_gt_u32_e64 s8, v109
	s_cbranch_execnz .LBB833_365
.LBB833_350:                            ;   in Loop: Header=BB833_316 Depth=2
	s_or_b32 exec_lo, exec_lo, s9
	s_delay_alu instid0(SALU_CYCLE_1)
	s_mov_b32 s9, exec_lo
	v_cmpx_gt_u32_e64 s8, v110
	s_cbranch_execnz .LBB833_366
.LBB833_351:                            ;   in Loop: Header=BB833_316 Depth=2
	s_or_b32 exec_lo, exec_lo, s9
	s_delay_alu instid0(SALU_CYCLE_1)
	s_mov_b32 s9, exec_lo
	v_cmpx_gt_u32_e64 s8, v111
	s_cbranch_execnz .LBB833_367
.LBB833_352:                            ;   in Loop: Header=BB833_316 Depth=2
	s_or_b32 exec_lo, exec_lo, s9
	v_cmp_gt_u32_e32 vcc_lo, s8, v112
	s_and_saveexec_b32 s8, vcc_lo
	s_cbranch_execz .LBB833_315
	s_branch .LBB833_368
.LBB833_353:                            ;   in Loop: Header=BB833_316 Depth=2
	s_delay_alu instid0(VALU_DEP_2) | instskip(NEXT) | instid1(VALU_DEP_3)
	v_xor_b32_e32 v55, 0x80000000, v53
	v_mov_b32_e32 v54, v52
	s_delay_alu instid0(VALU_DEP_1) | instskip(NEXT) | instid1(VALU_DEP_1)
	v_lshrrev_b64 v[54:55], s48, v[54:55]
	v_and_b32_e32 v54, s56, v54
	s_delay_alu instid0(VALU_DEP_1) | instskip(SKIP_2) | instid1(SALU_CYCLE_1)
	v_lshl_or_b32 v54, v54, 4, v113
	ds_add_u32 v54, v125
	s_or_b32 exec_lo, exec_lo, s9
	s_mov_b32 s9, exec_lo
	v_cmpx_gt_u32_e64 s8, v98
	s_cbranch_execz .LBB833_339
.LBB833_354:                            ;   in Loop: Header=BB833_316 Depth=2
	v_xor_b32_e32 v55, 0x80000000, v51
	v_mov_b32_e32 v54, v50
	s_delay_alu instid0(VALU_DEP_1) | instskip(NEXT) | instid1(VALU_DEP_1)
	v_lshrrev_b64 v[54:55], s48, v[54:55]
	v_and_b32_e32 v54, s56, v54
	s_delay_alu instid0(VALU_DEP_1) | instskip(SKIP_2) | instid1(SALU_CYCLE_1)
	v_lshl_or_b32 v54, v54, 4, v113
	ds_add_u32 v54, v125
	s_or_b32 exec_lo, exec_lo, s9
	s_mov_b32 s9, exec_lo
	v_cmpx_gt_u32_e64 s8, v99
	s_cbranch_execz .LBB833_340
.LBB833_355:                            ;   in Loop: Header=BB833_316 Depth=2
	v_xor_b32_e32 v55, 0x80000000, v49
	v_mov_b32_e32 v54, v48
	s_delay_alu instid0(VALU_DEP_1) | instskip(NEXT) | instid1(VALU_DEP_1)
	v_lshrrev_b64 v[54:55], s48, v[54:55]
	v_and_b32_e32 v54, s56, v54
	s_delay_alu instid0(VALU_DEP_1) | instskip(SKIP_2) | instid1(SALU_CYCLE_1)
	v_lshl_or_b32 v54, v54, 4, v113
	ds_add_u32 v54, v125
	s_or_b32 exec_lo, exec_lo, s9
	s_mov_b32 s9, exec_lo
	v_cmpx_gt_u32_e64 s8, v100
	s_cbranch_execz .LBB833_341
.LBB833_356:                            ;   in Loop: Header=BB833_316 Depth=2
	v_xor_b32_e32 v55, 0x80000000, v47
	v_mov_b32_e32 v54, v46
	s_delay_alu instid0(VALU_DEP_1) | instskip(NEXT) | instid1(VALU_DEP_1)
	v_lshrrev_b64 v[54:55], s48, v[54:55]
	v_and_b32_e32 v54, s56, v54
	s_delay_alu instid0(VALU_DEP_1) | instskip(SKIP_2) | instid1(SALU_CYCLE_1)
	v_lshl_or_b32 v54, v54, 4, v113
	ds_add_u32 v54, v125
	s_or_b32 exec_lo, exec_lo, s9
	s_mov_b32 s9, exec_lo
	v_cmpx_gt_u32_e64 s8, v101
	s_cbranch_execz .LBB833_342
.LBB833_357:                            ;   in Loop: Header=BB833_316 Depth=2
	v_xor_b32_e32 v55, 0x80000000, v45
	v_mov_b32_e32 v54, v44
	s_delay_alu instid0(VALU_DEP_1) | instskip(NEXT) | instid1(VALU_DEP_1)
	v_lshrrev_b64 v[54:55], s48, v[54:55]
	v_and_b32_e32 v54, s56, v54
	s_delay_alu instid0(VALU_DEP_1) | instskip(SKIP_2) | instid1(SALU_CYCLE_1)
	v_lshl_or_b32 v54, v54, 4, v113
	ds_add_u32 v54, v125
	s_or_b32 exec_lo, exec_lo, s9
	s_mov_b32 s9, exec_lo
	v_cmpx_gt_u32_e64 s8, v102
	s_cbranch_execz .LBB833_343
.LBB833_358:                            ;   in Loop: Header=BB833_316 Depth=2
	v_xor_b32_e32 v55, 0x80000000, v43
	v_mov_b32_e32 v54, v42
	s_delay_alu instid0(VALU_DEP_1) | instskip(NEXT) | instid1(VALU_DEP_1)
	v_lshrrev_b64 v[54:55], s48, v[54:55]
	v_and_b32_e32 v54, s56, v54
	s_delay_alu instid0(VALU_DEP_1) | instskip(SKIP_2) | instid1(SALU_CYCLE_1)
	v_lshl_or_b32 v54, v54, 4, v113
	ds_add_u32 v54, v125
	s_or_b32 exec_lo, exec_lo, s9
	s_mov_b32 s9, exec_lo
	v_cmpx_gt_u32_e64 s8, v103
	s_cbranch_execz .LBB833_344
.LBB833_359:                            ;   in Loop: Header=BB833_316 Depth=2
	v_xor_b32_e32 v55, 0x80000000, v41
	v_mov_b32_e32 v54, v40
	s_delay_alu instid0(VALU_DEP_1) | instskip(NEXT) | instid1(VALU_DEP_1)
	v_lshrrev_b64 v[54:55], s48, v[54:55]
	v_and_b32_e32 v54, s56, v54
	s_delay_alu instid0(VALU_DEP_1) | instskip(SKIP_2) | instid1(SALU_CYCLE_1)
	v_lshl_or_b32 v54, v54, 4, v113
	ds_add_u32 v54, v125
	s_or_b32 exec_lo, exec_lo, s9
	s_mov_b32 s9, exec_lo
	v_cmpx_gt_u32_e64 s8, v104
	s_cbranch_execz .LBB833_345
.LBB833_360:                            ;   in Loop: Header=BB833_316 Depth=2
	v_xor_b32_e32 v55, 0x80000000, v39
	v_mov_b32_e32 v54, v38
	s_delay_alu instid0(VALU_DEP_1) | instskip(NEXT) | instid1(VALU_DEP_1)
	v_lshrrev_b64 v[54:55], s48, v[54:55]
	v_and_b32_e32 v54, s56, v54
	s_delay_alu instid0(VALU_DEP_1) | instskip(SKIP_2) | instid1(SALU_CYCLE_1)
	v_lshl_or_b32 v54, v54, 4, v113
	ds_add_u32 v54, v125
	s_or_b32 exec_lo, exec_lo, s9
	s_mov_b32 s9, exec_lo
	v_cmpx_gt_u32_e64 s8, v105
	s_cbranch_execz .LBB833_346
.LBB833_361:                            ;   in Loop: Header=BB833_316 Depth=2
	v_xor_b32_e32 v55, 0x80000000, v37
	v_mov_b32_e32 v54, v36
	s_delay_alu instid0(VALU_DEP_1) | instskip(NEXT) | instid1(VALU_DEP_1)
	v_lshrrev_b64 v[54:55], s48, v[54:55]
	v_and_b32_e32 v54, s56, v54
	s_delay_alu instid0(VALU_DEP_1) | instskip(SKIP_2) | instid1(SALU_CYCLE_1)
	v_lshl_or_b32 v54, v54, 4, v113
	ds_add_u32 v54, v125
	s_or_b32 exec_lo, exec_lo, s9
	s_mov_b32 s9, exec_lo
	v_cmpx_gt_u32_e64 s8, v106
	s_cbranch_execz .LBB833_347
.LBB833_362:                            ;   in Loop: Header=BB833_316 Depth=2
	v_xor_b32_e32 v55, 0x80000000, v35
	v_mov_b32_e32 v54, v34
	s_delay_alu instid0(VALU_DEP_1) | instskip(NEXT) | instid1(VALU_DEP_1)
	v_lshrrev_b64 v[54:55], s48, v[54:55]
	v_and_b32_e32 v54, s56, v54
	s_delay_alu instid0(VALU_DEP_1) | instskip(SKIP_2) | instid1(SALU_CYCLE_1)
	v_lshl_or_b32 v54, v54, 4, v113
	ds_add_u32 v54, v125
	s_or_b32 exec_lo, exec_lo, s9
	s_mov_b32 s9, exec_lo
	v_cmpx_gt_u32_e64 s8, v107
	s_cbranch_execz .LBB833_348
.LBB833_363:                            ;   in Loop: Header=BB833_316 Depth=2
	v_xor_b32_e32 v55, 0x80000000, v33
	v_mov_b32_e32 v54, v32
	s_delay_alu instid0(VALU_DEP_1) | instskip(NEXT) | instid1(VALU_DEP_1)
	v_lshrrev_b64 v[54:55], s48, v[54:55]
	v_and_b32_e32 v54, s56, v54
	s_delay_alu instid0(VALU_DEP_1) | instskip(SKIP_2) | instid1(SALU_CYCLE_1)
	v_lshl_or_b32 v54, v54, 4, v113
	ds_add_u32 v54, v125
	s_or_b32 exec_lo, exec_lo, s9
	s_mov_b32 s9, exec_lo
	v_cmpx_gt_u32_e64 s8, v108
	s_cbranch_execz .LBB833_349
.LBB833_364:                            ;   in Loop: Header=BB833_316 Depth=2
	v_xor_b32_e32 v55, 0x80000000, v31
	v_mov_b32_e32 v54, v30
	s_delay_alu instid0(VALU_DEP_1) | instskip(NEXT) | instid1(VALU_DEP_1)
	v_lshrrev_b64 v[54:55], s48, v[54:55]
	v_and_b32_e32 v54, s56, v54
	s_delay_alu instid0(VALU_DEP_1) | instskip(SKIP_2) | instid1(SALU_CYCLE_1)
	v_lshl_or_b32 v54, v54, 4, v113
	ds_add_u32 v54, v125
	s_or_b32 exec_lo, exec_lo, s9
	s_mov_b32 s9, exec_lo
	v_cmpx_gt_u32_e64 s8, v109
	s_cbranch_execz .LBB833_350
.LBB833_365:                            ;   in Loop: Header=BB833_316 Depth=2
	v_xor_b32_e32 v55, 0x80000000, v29
	v_mov_b32_e32 v54, v28
	s_delay_alu instid0(VALU_DEP_1) | instskip(NEXT) | instid1(VALU_DEP_1)
	v_lshrrev_b64 v[54:55], s48, v[54:55]
	v_and_b32_e32 v54, s56, v54
	s_delay_alu instid0(VALU_DEP_1) | instskip(SKIP_2) | instid1(SALU_CYCLE_1)
	v_lshl_or_b32 v54, v54, 4, v113
	ds_add_u32 v54, v125
	s_or_b32 exec_lo, exec_lo, s9
	s_mov_b32 s9, exec_lo
	v_cmpx_gt_u32_e64 s8, v110
	s_cbranch_execz .LBB833_351
.LBB833_366:                            ;   in Loop: Header=BB833_316 Depth=2
	v_xor_b32_e32 v55, 0x80000000, v27
	v_mov_b32_e32 v54, v26
	s_delay_alu instid0(VALU_DEP_1) | instskip(NEXT) | instid1(VALU_DEP_1)
	v_lshrrev_b64 v[54:55], s48, v[54:55]
	v_and_b32_e32 v54, s56, v54
	s_delay_alu instid0(VALU_DEP_1) | instskip(SKIP_2) | instid1(SALU_CYCLE_1)
	v_lshl_or_b32 v54, v54, 4, v113
	ds_add_u32 v54, v125
	s_or_b32 exec_lo, exec_lo, s9
	s_mov_b32 s9, exec_lo
	v_cmpx_gt_u32_e64 s8, v111
	s_cbranch_execz .LBB833_352
.LBB833_367:                            ;   in Loop: Header=BB833_316 Depth=2
	v_xor_b32_e32 v55, 0x80000000, v25
	v_mov_b32_e32 v54, v24
	s_delay_alu instid0(VALU_DEP_1) | instskip(NEXT) | instid1(VALU_DEP_1)
	v_lshrrev_b64 v[54:55], s48, v[54:55]
	v_and_b32_e32 v54, s56, v54
	s_delay_alu instid0(VALU_DEP_1)
	v_lshl_or_b32 v54, v54, 4, v113
	ds_add_u32 v54, v125
	s_or_b32 exec_lo, exec_lo, s9
	v_cmp_gt_u32_e32 vcc_lo, s8, v112
	s_and_saveexec_b32 s8, vcc_lo
	s_cbranch_execz .LBB833_315
.LBB833_368:                            ;   in Loop: Header=BB833_316 Depth=2
	v_xor_b32_e32 v55, 0x80000000, v23
	v_mov_b32_e32 v54, v22
	s_delay_alu instid0(VALU_DEP_1) | instskip(NEXT) | instid1(VALU_DEP_1)
	v_lshrrev_b64 v[54:55], s48, v[54:55]
	v_and_b32_e32 v54, s56, v54
	s_delay_alu instid0(VALU_DEP_1)
	v_lshl_or_b32 v54, v54, 4, v113
	ds_add_u32 v54, v125
	s_branch .LBB833_315
.LBB833_369:                            ;   in Loop: Header=BB833_316 Depth=2
	global_load_b64 v[52:53], v2, s[8:9] scale_offset
	s_wait_xcnt 0x0
	s_or_b32 exec_lo, exec_lo, s11
	s_delay_alu instid0(SALU_CYCLE_1)
	s_mov_b32 s11, exec_lo
	v_cmpx_gt_u32_e64 s7, v98
	s_cbranch_execz .LBB833_321
.LBB833_370:                            ;   in Loop: Header=BB833_316 Depth=2
	global_load_b64 v[50:51], v2, s[8:9] offset:2048 scale_offset
	s_wait_xcnt 0x0
	s_or_b32 exec_lo, exec_lo, s11
	s_delay_alu instid0(SALU_CYCLE_1)
	s_mov_b32 s11, exec_lo
	v_cmpx_gt_u32_e64 s7, v99
	s_cbranch_execz .LBB833_322
.LBB833_371:                            ;   in Loop: Header=BB833_316 Depth=2
	global_load_b64 v[48:49], v2, s[8:9] offset:4096 scale_offset
	s_wait_xcnt 0x0
	s_or_b32 exec_lo, exec_lo, s11
	s_delay_alu instid0(SALU_CYCLE_1)
	s_mov_b32 s11, exec_lo
	v_cmpx_gt_u32_e64 s7, v100
	s_cbranch_execz .LBB833_323
.LBB833_372:                            ;   in Loop: Header=BB833_316 Depth=2
	global_load_b64 v[46:47], v2, s[8:9] offset:6144 scale_offset
	s_wait_xcnt 0x0
	s_or_b32 exec_lo, exec_lo, s11
	s_delay_alu instid0(SALU_CYCLE_1)
	s_mov_b32 s11, exec_lo
	v_cmpx_gt_u32_e64 s7, v101
	s_cbranch_execz .LBB833_324
.LBB833_373:                            ;   in Loop: Header=BB833_316 Depth=2
	global_load_b64 v[44:45], v2, s[8:9] offset:8192 scale_offset
	s_wait_xcnt 0x0
	s_or_b32 exec_lo, exec_lo, s11
	s_delay_alu instid0(SALU_CYCLE_1)
	s_mov_b32 s11, exec_lo
	v_cmpx_gt_u32_e64 s7, v102
	s_cbranch_execz .LBB833_325
.LBB833_374:                            ;   in Loop: Header=BB833_316 Depth=2
	global_load_b64 v[42:43], v2, s[8:9] offset:10240 scale_offset
	s_wait_xcnt 0x0
	s_or_b32 exec_lo, exec_lo, s11
	s_delay_alu instid0(SALU_CYCLE_1)
	s_mov_b32 s11, exec_lo
	v_cmpx_gt_u32_e64 s7, v103
	s_cbranch_execz .LBB833_326
.LBB833_375:                            ;   in Loop: Header=BB833_316 Depth=2
	global_load_b64 v[40:41], v2, s[8:9] offset:12288 scale_offset
	s_wait_xcnt 0x0
	s_or_b32 exec_lo, exec_lo, s11
	s_delay_alu instid0(SALU_CYCLE_1)
	s_mov_b32 s11, exec_lo
	v_cmpx_gt_u32_e64 s7, v104
	s_cbranch_execz .LBB833_327
.LBB833_376:                            ;   in Loop: Header=BB833_316 Depth=2
	global_load_b64 v[38:39], v2, s[8:9] offset:14336 scale_offset
	s_wait_xcnt 0x0
	s_or_b32 exec_lo, exec_lo, s11
	s_delay_alu instid0(SALU_CYCLE_1)
	s_mov_b32 s11, exec_lo
	v_cmpx_gt_u32_e64 s7, v105
	s_cbranch_execz .LBB833_328
.LBB833_377:                            ;   in Loop: Header=BB833_316 Depth=2
	global_load_b64 v[36:37], v2, s[8:9] offset:16384 scale_offset
	s_wait_xcnt 0x0
	s_or_b32 exec_lo, exec_lo, s11
	s_delay_alu instid0(SALU_CYCLE_1)
	s_mov_b32 s11, exec_lo
	v_cmpx_gt_u32_e64 s7, v106
	s_cbranch_execz .LBB833_329
.LBB833_378:                            ;   in Loop: Header=BB833_316 Depth=2
	global_load_b64 v[34:35], v2, s[8:9] offset:18432 scale_offset
	s_wait_xcnt 0x0
	s_or_b32 exec_lo, exec_lo, s11
	s_delay_alu instid0(SALU_CYCLE_1)
	s_mov_b32 s11, exec_lo
	v_cmpx_gt_u32_e64 s7, v107
	s_cbranch_execz .LBB833_330
.LBB833_379:                            ;   in Loop: Header=BB833_316 Depth=2
	global_load_b64 v[32:33], v2, s[8:9] offset:20480 scale_offset
	s_wait_xcnt 0x0
	s_or_b32 exec_lo, exec_lo, s11
	s_delay_alu instid0(SALU_CYCLE_1)
	s_mov_b32 s11, exec_lo
	v_cmpx_gt_u32_e64 s7, v108
	s_cbranch_execz .LBB833_331
.LBB833_380:                            ;   in Loop: Header=BB833_316 Depth=2
	global_load_b64 v[30:31], v2, s[8:9] offset:22528 scale_offset
	s_wait_xcnt 0x0
	s_or_b32 exec_lo, exec_lo, s11
	s_delay_alu instid0(SALU_CYCLE_1)
	s_mov_b32 s11, exec_lo
	v_cmpx_gt_u32_e64 s7, v109
	s_cbranch_execz .LBB833_332
.LBB833_381:                            ;   in Loop: Header=BB833_316 Depth=2
	global_load_b64 v[28:29], v2, s[8:9] offset:24576 scale_offset
	s_wait_xcnt 0x0
	s_or_b32 exec_lo, exec_lo, s11
	s_delay_alu instid0(SALU_CYCLE_1)
	s_mov_b32 s11, exec_lo
	v_cmpx_gt_u32_e64 s7, v110
	s_cbranch_execz .LBB833_333
.LBB833_382:                            ;   in Loop: Header=BB833_316 Depth=2
	global_load_b64 v[26:27], v2, s[8:9] offset:26624 scale_offset
	s_wait_xcnt 0x0
	s_or_b32 exec_lo, exec_lo, s11
	s_delay_alu instid0(SALU_CYCLE_1)
	s_mov_b32 s11, exec_lo
	v_cmpx_gt_u32_e64 s7, v111
	s_cbranch_execz .LBB833_334
.LBB833_383:                            ;   in Loop: Header=BB833_316 Depth=2
	global_load_b64 v[24:25], v2, s[8:9] offset:28672 scale_offset
	s_wait_xcnt 0x0
	s_or_b32 exec_lo, exec_lo, s11
	s_delay_alu instid0(SALU_CYCLE_1)
	s_mov_b32 s11, exec_lo
	v_cmpx_gt_u32_e64 s7, v112
	s_cbranch_execnz .LBB833_335
	s_branch .LBB833_336
.LBB833_384:                            ;   in Loop: Header=BB833_20 Depth=1
	v_mov_b32_e32 v22, 0
	s_wait_dscnt 0x0
	s_barrier_signal -1
	s_barrier_wait -1
	s_and_saveexec_b32 s7, s0
	s_cbranch_execz .LBB833_386
; %bb.385:                              ;   in Loop: Header=BB833_20 Depth=1
	ds_load_2addr_b64 v[22:25], v115 offset1:1
	s_wait_dscnt 0x0
	v_add_nc_u32_e32 v22, v23, v22
	s_delay_alu instid0(VALU_DEP_1)
	v_add3_u32 v22, v22, v24, v25
.LBB833_386:                            ;   in Loop: Header=BB833_20 Depth=1
	s_or_b32 exec_lo, exec_lo, s7
	s_delay_alu instid0(VALU_DEP_1)
	v_mov_b32_dpp v23, v22 row_shr:1 row_mask:0xf bank_mask:0xf
	v_cmp_eq_u32_e64 s7, 0, v126
	v_cmp_lt_u32_e64 s8, 1, v126
	v_cmp_lt_u32_e64 s9, 3, v126
	v_cmp_lt_u32_e64 s10, 7, v126
	v_cmp_eq_u32_e64 s11, 0, v128
	v_cndmask_b32_e64 v23, v23, 0, s7
	s_delay_alu instid0(VALU_DEP_1) | instskip(NEXT) | instid1(VALU_DEP_1)
	v_add_nc_u32_e32 v22, v23, v22
	v_mov_b32_dpp v23, v22 row_shr:2 row_mask:0xf bank_mask:0xf
	s_delay_alu instid0(VALU_DEP_1) | instskip(NEXT) | instid1(VALU_DEP_1)
	v_cndmask_b32_e64 v23, 0, v23, s8
	v_add_nc_u32_e32 v22, v22, v23
	s_delay_alu instid0(VALU_DEP_1) | instskip(NEXT) | instid1(VALU_DEP_1)
	v_mov_b32_dpp v23, v22 row_shr:4 row_mask:0xf bank_mask:0xf
	v_cndmask_b32_e64 v23, 0, v23, s9
	s_delay_alu instid0(VALU_DEP_1) | instskip(NEXT) | instid1(VALU_DEP_1)
	v_add_nc_u32_e32 v22, v22, v23
	v_mov_b32_dpp v23, v22 row_shr:8 row_mask:0xf bank_mask:0xf
	s_delay_alu instid0(VALU_DEP_1) | instskip(NEXT) | instid1(VALU_DEP_1)
	v_cndmask_b32_e64 v23, 0, v23, s10
	v_add_nc_u32_e32 v22, v22, v23
	ds_swizzle_b32 v23, v22 offset:swizzle(BROADCAST,32,15)
	s_wait_dscnt 0x0
	v_and_b32_e32 v23, v127, v23
	s_delay_alu instid0(VALU_DEP_1)
	v_add_nc_u32_e32 v22, v22, v23
	s_and_saveexec_b32 s12, s1
; %bb.387:                              ;   in Loop: Header=BB833_20 Depth=1
	ds_store_b32 v116, v22
; %bb.388:                              ;   in Loop: Header=BB833_20 Depth=1
	s_or_b32 exec_lo, exec_lo, s12
	s_wait_dscnt 0x0
	s_barrier_signal -1
	s_barrier_wait -1
	s_and_saveexec_b32 s12, s4
	s_cbranch_execz .LBB833_390
; %bb.389:                              ;   in Loop: Header=BB833_20 Depth=1
	ds_load_b32 v23, v117
	v_cmp_ne_u32_e32 vcc_lo, 0, v130
	s_wait_dscnt 0x0
	v_mov_b32_dpp v24, v23 row_shr:1 row_mask:0xf bank_mask:0xf
	s_delay_alu instid0(VALU_DEP_1) | instskip(SKIP_1) | instid1(VALU_DEP_2)
	v_cndmask_b32_e32 v24, 0, v24, vcc_lo
	v_cmp_lt_u32_e32 vcc_lo, 1, v130
	v_add_nc_u32_e32 v23, v24, v23
	s_delay_alu instid0(VALU_DEP_1) | instskip(NEXT) | instid1(VALU_DEP_1)
	v_mov_b32_dpp v24, v23 row_shr:2 row_mask:0xf bank_mask:0xf
	v_cndmask_b32_e32 v24, 0, v24, vcc_lo
	v_cmp_lt_u32_e32 vcc_lo, 3, v130
	s_delay_alu instid0(VALU_DEP_2) | instskip(NEXT) | instid1(VALU_DEP_1)
	v_add_nc_u32_e32 v23, v23, v24
	v_mov_b32_dpp v24, v23 row_shr:4 row_mask:0xf bank_mask:0xf
	s_delay_alu instid0(VALU_DEP_1) | instskip(NEXT) | instid1(VALU_DEP_1)
	v_cndmask_b32_e32 v24, 0, v24, vcc_lo
	v_add_nc_u32_e32 v23, v23, v24
	ds_store_b32 v117, v23
.LBB833_390:                            ;   in Loop: Header=BB833_20 Depth=1
	s_or_b32 exec_lo, exec_lo, s12
	v_mov_b32_e32 v23, 0
	s_wait_dscnt 0x0
	s_barrier_signal -1
	s_barrier_wait -1
	s_and_saveexec_b32 s12, s5
; %bb.391:                              ;   in Loop: Header=BB833_20 Depth=1
	ds_load_b32 v23, v118
; %bb.392:                              ;   in Loop: Header=BB833_20 Depth=1
	s_or_b32 exec_lo, exec_lo, s12
	v_cmp_gt_i32_e32 vcc_lo, 0, v131
	s_wait_dscnt 0x0
	s_barrier_signal -1
	s_barrier_wait -1
	v_cndmask_b32_e32 v24, v131, v124, vcc_lo
	s_delay_alu instid0(VALU_DEP_1)
	v_dual_add_nc_u32 v22, v23, v22 :: v_dual_lshlrev_b32 v147, 2, v24
	ds_bpermute_b32 v22, v147, v22
	s_and_saveexec_b32 s12, s0
	s_cbranch_execz .LBB833_394
; %bb.393:                              ;   in Loop: Header=BB833_20 Depth=1
	s_wait_dscnt 0x0
	v_cndmask_b32_e64 v22, v22, v23, s6
	s_delay_alu instid0(VALU_DEP_1)
	v_add_nc_u32_e32 v22, s52, v22
	ds_store_b32 v3, v22
.LBB833_394:                            ;   in Loop: Header=BB833_20 Depth=1
	s_or_b32 exec_lo, exec_lo, s12
	s_load_b64 s[12:13], s[34:35], 0x0
	v_add_nc_u64_e32 v[24:25], v[14:15], v[4:5]
	s_mov_b32 s57, s54
                                        ; implicit-def: $vgpr28_vgpr29
                                        ; implicit-def: $vgpr30_vgpr31
                                        ; implicit-def: $vgpr32_vgpr33
                                        ; implicit-def: $vgpr34_vgpr35
                                        ; implicit-def: $vgpr36_vgpr37
                                        ; implicit-def: $vgpr38_vgpr39
                                        ; implicit-def: $vgpr40_vgpr41
                                        ; implicit-def: $vgpr42_vgpr43
                                        ; implicit-def: $vgpr44_vgpr45
                                        ; implicit-def: $vgpr46_vgpr47
                                        ; implicit-def: $vgpr48_vgpr49
                                        ; implicit-def: $vgpr50_vgpr51
                                        ; implicit-def: $vgpr52_vgpr53
                                        ; implicit-def: $vgpr54_vgpr55
                                        ; implicit-def: $vgpr56_vgpr57
                                        ; implicit-def: $vgpr149
                                        ; implicit-def: $vgpr150
                                        ; implicit-def: $vgpr151
                                        ; implicit-def: $vgpr152
                                        ; implicit-def: $vgpr153
                                        ; implicit-def: $vgpr154
                                        ; implicit-def: $vgpr155
                                        ; implicit-def: $vgpr156
                                        ; implicit-def: $vgpr157
                                        ; implicit-def: $vgpr158
                                        ; implicit-def: $vgpr159
                                        ; implicit-def: $vgpr160
                                        ; implicit-def: $vgpr161
                                        ; implicit-def: $vgpr162
                                        ; implicit-def: $vgpr163
                                        ; implicit-def: $vgpr164
	s_wait_kmcnt 0x0
	s_cmp_lt_u32 s33, s12
	s_cselect_b32 s30, 12, 18
	s_cmp_lt_u32 s42, s13
	s_mov_b32 s13, s31
	s_cselect_b32 s12, 14, 20
	s_delay_alu instid0(SALU_CYCLE_1)
	s_add_nc_u64 s[12:13], s[34:35], s[12:13]
	s_load_u16 s14, s[12:13], 0x0
	s_wait_xcnt 0x0
	s_add_nc_u64 s[12:13], s[34:35], s[30:31]
	s_mov_b32 s30, s52
	s_load_u16 s12, s[12:13], 0x0
	s_wait_xcnt 0x0
	v_cmp_lt_u32_e64 s13, 1, v130
	s_wait_dscnt 0x0
	s_wait_kmcnt 0x0
	v_mad_u32_u24 v22, v119, s14, v121
	v_cmp_lt_u32_e64 s14, 3, v130
	s_delay_alu instid0(VALU_DEP_2) | instskip(SKIP_1) | instid1(VALU_DEP_2)
	v_mad_u32 v22, v22, s12, v2
	v_cmp_eq_u32_e64 s12, 0, v130
	v_lshrrev_b32_e32 v26, 3, v22
	v_add_nc_u64_e32 v[22:23], v[12:13], v[4:5]
	s_delay_alu instid0(VALU_DEP_2)
	v_and_b32_e32 v148, 0x1ffffffc, v26
                                        ; implicit-def: $vgpr26_vgpr27
	s_branch .LBB833_396
.LBB833_395:                            ;   in Loop: Header=BB833_396 Depth=2
	s_or_b32 exec_lo, exec_lo, s15
	s_addk_co_i32 s57, 0xf000
	s_cmp_lt_u32 s58, s51
	s_mov_b32 s30, s58
	s_cbranch_scc0 .LBB833_604
.LBB833_396:                            ;   Parent Loop BB833_20 Depth=1
                                        ; =>  This Inner Loop Header: Depth=2
	s_add_co_i32 s58, s30, 0x1000
	s_delay_alu instid0(SALU_CYCLE_1)
	s_cmp_gt_u32 s58, s51
	s_cbranch_scc1 .LBB833_398
; %bb.397:                              ;   in Loop: Header=BB833_396 Depth=2
	v_lshl_add_u64 v[88:89], s[30:31], 3, v[24:25]
	s_mov_b32 s15, -1
	s_clause 0xe
	global_load_b64 v[60:61], v[88:89], off
	global_load_b64 v[58:59], v[88:89], off offset:256
	global_load_b64 v[64:65], v[88:89], off offset:512
	;; [unrolled: 1-line block ×14, first 2 shown]
	s_movk_i32 s16, 0x1000
	s_cbranch_execz .LBB833_399
	s_branch .LBB833_430
.LBB833_398:                            ;   in Loop: Header=BB833_396 Depth=2
	s_mov_b32 s15, 0
                                        ; implicit-def: $vgpr60_vgpr61
                                        ; implicit-def: $vgpr58_vgpr59
                                        ; implicit-def: $vgpr64_vgpr65
                                        ; implicit-def: $vgpr62_vgpr63
                                        ; implicit-def: $vgpr68_vgpr69
                                        ; implicit-def: $vgpr66_vgpr67
                                        ; implicit-def: $vgpr72_vgpr73
                                        ; implicit-def: $vgpr70_vgpr71
                                        ; implicit-def: $vgpr76_vgpr77
                                        ; implicit-def: $vgpr74_vgpr75
                                        ; implicit-def: $vgpr80_vgpr81
                                        ; implicit-def: $vgpr78_vgpr79
                                        ; implicit-def: $vgpr84_vgpr85
                                        ; implicit-def: $vgpr82_vgpr83
                                        ; implicit-def: $vgpr86_vgpr87
	s_movk_i32 s16, 0x1000
.LBB833_399:                            ;   in Loop: Header=BB833_396 Depth=2
	s_wait_loadcnt 0xd
	v_mov_b64_e32 v[58:59], 0x7fffffffffffffff
	v_mov_b64_e32 v[60:61], 0x7fffffffffffffff
	s_wait_xcnt 0x0
	v_lshl_add_u64 v[88:89], s[30:31], 3, v[24:25]
	s_mov_b32 s15, exec_lo
	v_cmpx_gt_u32_e64 s57, v129
	s_cbranch_execz .LBB833_401
; %bb.400:                              ;   in Loop: Header=BB833_396 Depth=2
	global_load_b64 v[60:61], v[88:89], off
.LBB833_401:                            ;   in Loop: Header=BB833_396 Depth=2
	s_wait_xcnt 0x0
	s_or_b32 exec_lo, exec_lo, s15
	s_delay_alu instid0(SALU_CYCLE_1)
	s_mov_b32 s15, exec_lo
	v_cmpx_gt_u32_e64 s57, v132
	s_cbranch_execz .LBB833_403
; %bb.402:                              ;   in Loop: Header=BB833_396 Depth=2
	global_load_b64 v[58:59], v[88:89], off offset:256
.LBB833_403:                            ;   in Loop: Header=BB833_396 Depth=2
	s_wait_xcnt 0x0
	s_or_b32 exec_lo, exec_lo, s15
	s_wait_loadcnt 0xb
	v_mov_b64_e32 v[62:63], 0x7fffffffffffffff
	v_mov_b64_e32 v[64:65], 0x7fffffffffffffff
	s_mov_b32 s15, exec_lo
	v_cmpx_gt_u32_e64 s57, v133
	s_cbranch_execz .LBB833_405
; %bb.404:                              ;   in Loop: Header=BB833_396 Depth=2
	global_load_b64 v[64:65], v[88:89], off offset:512
.LBB833_405:                            ;   in Loop: Header=BB833_396 Depth=2
	s_wait_xcnt 0x0
	s_or_b32 exec_lo, exec_lo, s15
	s_delay_alu instid0(SALU_CYCLE_1)
	s_mov_b32 s15, exec_lo
	v_cmpx_gt_u32_e64 s57, v134
	s_cbranch_execz .LBB833_407
; %bb.406:                              ;   in Loop: Header=BB833_396 Depth=2
	global_load_b64 v[62:63], v[88:89], off offset:768
.LBB833_407:                            ;   in Loop: Header=BB833_396 Depth=2
	s_wait_xcnt 0x0
	s_or_b32 exec_lo, exec_lo, s15
	s_wait_loadcnt 0x9
	v_mov_b64_e32 v[66:67], 0x7fffffffffffffff
	v_mov_b64_e32 v[68:69], 0x7fffffffffffffff
	s_mov_b32 s15, exec_lo
	v_cmpx_gt_u32_e64 s57, v135
	s_cbranch_execz .LBB833_409
; %bb.408:                              ;   in Loop: Header=BB833_396 Depth=2
	global_load_b64 v[68:69], v[88:89], off offset:1024
.LBB833_409:                            ;   in Loop: Header=BB833_396 Depth=2
	;; [unrolled: 20-line block ×6, first 2 shown]
	s_wait_xcnt 0x0
	s_or_b32 exec_lo, exec_lo, s15
	s_delay_alu instid0(SALU_CYCLE_1)
	s_mov_b32 s15, exec_lo
	v_cmpx_gt_u32_e64 s57, v144
	s_cbranch_execz .LBB833_427
; %bb.426:                              ;   in Loop: Header=BB833_396 Depth=2
	global_load_b64 v[82:83], v[88:89], off offset:3328
.LBB833_427:                            ;   in Loop: Header=BB833_396 Depth=2
	s_wait_xcnt 0x0
	s_or_b32 exec_lo, exec_lo, s15
	s_wait_loadcnt 0x0
	v_mov_b64_e32 v[86:87], 0x7fffffffffffffff
	s_mov_b32 s15, exec_lo
	v_cmpx_gt_u32_e64 s57, v145
	s_cbranch_execz .LBB833_429
; %bb.428:                              ;   in Loop: Header=BB833_396 Depth=2
	global_load_b64 v[86:87], v[88:89], off offset:3584
.LBB833_429:                            ;   in Loop: Header=BB833_396 Depth=2
	s_wait_xcnt 0x0
	s_or_b32 exec_lo, exec_lo, s15
	v_cmp_gt_u32_e64 s15, s57, v146
	s_sub_co_i32 s16, s51, s30
.LBB833_430:                            ;   in Loop: Header=BB833_396 Depth=2
	s_wait_xcnt 0x0
	v_mov_b64_e32 v[88:89], -1
	v_mov_b32_e32 v165, s57
	s_and_saveexec_b32 s17, s15
	s_cbranch_execz .LBB833_432
; %bb.431:                              ;   in Loop: Header=BB833_396 Depth=2
	v_lshl_add_u64 v[88:89], s[30:31], 3, v[24:25]
	v_mov_b32_e32 v165, s16
	global_load_b64 v[88:89], v[88:89], off offset:3840
	s_wait_loadcnt 0x0
	s_wait_xcnt 0x0
	v_xor_b32_e32 v89, 0x80000000, v89
.LBB833_432:                            ;   in Loop: Header=BB833_396 Depth=2
	s_or_b32 exec_lo, exec_lo, s17
	s_wait_loadcnt 0xe
	v_xor_b32_e32 v61, 0x80000000, v61
	v_add_nc_u32_e32 v169, 0x428, v120
	v_add_nc_u32_e32 v170, 0x430, v120
	s_delay_alu instid0(VALU_DEP_3) | instskip(NEXT) | instid1(VALU_DEP_1)
	v_lshrrev_b64 v[90:91], s48, v[60:61]
	v_bitop3_b32 v91, v90, 1, s56 bitop3:0x80
	v_and_b32_e32 v92, s56, v90
	s_delay_alu instid0(VALU_DEP_2) | instskip(NEXT) | instid1(VALU_DEP_1)
	v_add_co_u32 v90, s15, v91, -1
	v_cndmask_b32_e64 v91, 0, 1, s15
	s_delay_alu instid0(VALU_DEP_3) | instskip(NEXT) | instid1(VALU_DEP_2)
	v_lshlrev_b32_e32 v93, 30, v92
	v_cmp_ne_u32_e32 vcc_lo, 0, v91
	s_delay_alu instid0(VALU_DEP_2) | instskip(NEXT) | instid1(VALU_DEP_1)
	v_not_b32_e32 v91, v93
	v_dual_ashrrev_i32 v91, 31, v91 :: v_dual_bitop2_b32 v90, vcc_lo, v90 bitop3:0x14
	v_dual_lshlrev_b32 v94, 29, v92 :: v_dual_lshlrev_b32 v95, 28, v92
	v_dual_lshlrev_b32 v96, 27, v92 :: v_dual_lshlrev_b32 v97, 26, v92
	v_lshlrev_b32_e32 v166, 25, v92
	v_cmp_gt_i32_e64 s15, 0, v93
	s_delay_alu instid0(VALU_DEP_4)
	v_cmp_gt_i32_e64 s16, 0, v94
	v_not_b32_e32 v93, v94
	v_not_b32_e32 v94, v95
	v_lshlrev_b32_e32 v167, 24, v92
	v_cmp_gt_i32_e64 s17, 0, v95
	v_cmp_gt_i32_e64 s18, 0, v96
	v_not_b32_e32 v95, v96
	v_cmp_gt_i32_e64 s19, 0, v97
	v_not_b32_e32 v96, v97
	v_not_b32_e32 v97, v166
	v_dual_ashrrev_i32 v93, 31, v93 :: v_dual_ashrrev_i32 v94, 31, v94
	v_xor_b32_e32 v91, s15, v91
	v_not_b32_e32 v168, v167
	v_dual_ashrrev_i32 v95, 31, v95 :: v_dual_ashrrev_i32 v96, 31, v96
	s_delay_alu instid0(VALU_DEP_4) | instskip(SKIP_2) | instid1(VALU_DEP_4)
	v_xor_b32_e32 v93, s16, v93
	v_xor_b32_e32 v94, s17, v94
	v_bitop3_b32 v90, v90, v91, exec_lo bitop3:0x80
	v_xor_b32_e32 v95, s18, v95
	v_xor_b32_e32 v91, s19, v96
	v_cmp_gt_i32_e32 vcc_lo, 0, v166
	v_ashrrev_i32_e32 v96, 31, v97
	v_cmp_gt_i32_e64 s15, 0, v167
	v_ashrrev_i32_e32 v97, 31, v168
	v_bitop3_b32 v90, v90, v94, v93 bitop3:0x80
	v_add_nc_u32_e32 v167, 0x438, v120
	v_xor_b32_e32 v93, vcc_lo, v96
	v_add_nc_u32_e32 v168, 0x420, v120
	v_xor_b32_e32 v94, s15, v97
	v_bitop3_b32 v90, v90, v91, v95 bitop3:0x80
	v_mul_u32_u24_e32 v91, 36, v92
	ds_store_2addr_b32 v167, v5, v5 offset1:1
	ds_store_2addr_b32 v168, v5, v5 offset1:1
	;; [unrolled: 1-line block ×4, first 2 shown]
	ds_store_b32 v120, v5 offset:1088
	s_wait_loadcnt_dscnt 0x0
	v_bitop3_b32 v90, v90, v94, v93 bitop3:0x80
	v_add_nc_u32_e32 v171, v148, v91
	s_barrier_signal -1
	s_barrier_wait -1
	s_delay_alu instid0(VALU_DEP_2) | instskip(SKIP_1) | instid1(VALU_DEP_2)
	v_mbcnt_lo_u32_b32 v166, v90, 0
	v_cmp_ne_u32_e64 s15, 0, v90
	; wave barrier
	v_cmp_eq_u32_e32 vcc_lo, 0, v166
	s_and_b32 s16, s15, vcc_lo
	s_delay_alu instid0(SALU_CYCLE_1)
	s_and_saveexec_b32 s15, s16
; %bb.433:                              ;   in Loop: Header=BB833_396 Depth=2
	v_bcnt_u32_b32 v90, v90, 0
	ds_store_b32 v171, v90 offset:1056
; %bb.434:                              ;   in Loop: Header=BB833_396 Depth=2
	s_or_b32 exec_lo, exec_lo, s15
	v_xor_b32_e32 v59, 0x80000000, v59
	; wave barrier
	s_delay_alu instid0(VALU_DEP_1) | instskip(NEXT) | instid1(VALU_DEP_1)
	v_lshrrev_b64 v[90:91], s48, v[58:59]
	v_bitop3_b32 v91, v90, 1, s56 bitop3:0x80
	v_and_b32_e32 v92, s56, v90
	s_delay_alu instid0(VALU_DEP_2) | instskip(NEXT) | instid1(VALU_DEP_1)
	v_add_co_u32 v90, s15, v91, -1
	v_cndmask_b32_e64 v91, 0, 1, s15
	s_delay_alu instid0(VALU_DEP_3) | instskip(NEXT) | instid1(VALU_DEP_2)
	v_lshlrev_b32_e32 v93, 30, v92
	v_cmp_ne_u32_e32 vcc_lo, 0, v91
	s_delay_alu instid0(VALU_DEP_2) | instskip(NEXT) | instid1(VALU_DEP_1)
	v_not_b32_e32 v91, v93
	v_dual_ashrrev_i32 v91, 31, v91 :: v_dual_bitop2_b32 v90, vcc_lo, v90 bitop3:0x14
	v_dual_lshlrev_b32 v94, 29, v92 :: v_dual_lshlrev_b32 v95, 28, v92
	v_dual_lshlrev_b32 v96, 27, v92 :: v_dual_lshlrev_b32 v97, 26, v92
	v_lshlrev_b32_e32 v172, 25, v92
	v_cmp_gt_i32_e64 s15, 0, v93
	s_delay_alu instid0(VALU_DEP_4)
	v_cmp_gt_i32_e64 s16, 0, v94
	v_not_b32_e32 v93, v94
	v_not_b32_e32 v94, v95
	v_lshlrev_b32_e32 v173, 24, v92
	v_cmp_gt_i32_e64 s17, 0, v95
	v_cmp_gt_i32_e64 s18, 0, v96
	v_not_b32_e32 v95, v96
	v_cmp_gt_i32_e64 s19, 0, v97
	v_not_b32_e32 v96, v97
	v_not_b32_e32 v97, v172
	v_dual_ashrrev_i32 v93, 31, v93 :: v_dual_ashrrev_i32 v94, 31, v94
	v_xor_b32_e32 v91, s15, v91
	v_not_b32_e32 v174, v173
	v_dual_ashrrev_i32 v95, 31, v95 :: v_dual_ashrrev_i32 v96, 31, v96
	s_delay_alu instid0(VALU_DEP_4) | instskip(SKIP_2) | instid1(VALU_DEP_4)
	v_xor_b32_e32 v93, s16, v93
	v_xor_b32_e32 v94, s17, v94
	v_bitop3_b32 v90, v90, v91, exec_lo bitop3:0x80
	v_xor_b32_e32 v95, s18, v95
	v_xor_b32_e32 v91, s19, v96
	v_cmp_gt_i32_e32 vcc_lo, 0, v172
	v_ashrrev_i32_e32 v96, 31, v97
	v_cmp_gt_i32_e64 s15, 0, v173
	v_ashrrev_i32_e32 v97, 31, v174
	v_bitop3_b32 v90, v90, v94, v93 bitop3:0x80
	v_mad_u32_u24 v93, v92, 36, v148
	v_xor_b32_e32 v94, vcc_lo, v96
	s_delay_alu instid0(VALU_DEP_4) | instskip(NEXT) | instid1(VALU_DEP_4)
	v_xor_b32_e32 v96, s15, v97
	v_bitop3_b32 v90, v90, v91, v95 bitop3:0x80
	ds_load_b32 v172, v93 offset:1056
	v_mul_u32_u24_e32 v91, 36, v92
	; wave barrier
	v_bitop3_b32 v90, v90, v96, v94 bitop3:0x80
	s_delay_alu instid0(VALU_DEP_2) | instskip(NEXT) | instid1(VALU_DEP_2)
	v_add_nc_u32_e32 v174, v148, v91
	v_mbcnt_lo_u32_b32 v173, v90, 0
	v_cmp_ne_u32_e64 s15, 0, v90
	s_delay_alu instid0(VALU_DEP_2) | instskip(SKIP_1) | instid1(SALU_CYCLE_1)
	v_cmp_eq_u32_e32 vcc_lo, 0, v173
	s_and_b32 s16, s15, vcc_lo
	s_and_saveexec_b32 s15, s16
	s_cbranch_execz .LBB833_436
; %bb.435:                              ;   in Loop: Header=BB833_396 Depth=2
	s_wait_dscnt 0x0
	v_bcnt_u32_b32 v90, v90, v172
	ds_store_b32 v174, v90 offset:1056
.LBB833_436:                            ;   in Loop: Header=BB833_396 Depth=2
	s_or_b32 exec_lo, exec_lo, s15
	v_xor_b32_e32 v65, 0x80000000, v65
	; wave barrier
	s_delay_alu instid0(VALU_DEP_1) | instskip(NEXT) | instid1(VALU_DEP_1)
	v_lshrrev_b64 v[90:91], s48, v[64:65]
	v_bitop3_b32 v91, v90, 1, s56 bitop3:0x80
	v_and_b32_e32 v92, s56, v90
	s_delay_alu instid0(VALU_DEP_2) | instskip(NEXT) | instid1(VALU_DEP_1)
	v_add_co_u32 v90, s15, v91, -1
	v_cndmask_b32_e64 v91, 0, 1, s15
	s_delay_alu instid0(VALU_DEP_3) | instskip(NEXT) | instid1(VALU_DEP_2)
	v_lshlrev_b32_e32 v93, 30, v92
	v_cmp_ne_u32_e32 vcc_lo, 0, v91
	s_delay_alu instid0(VALU_DEP_2) | instskip(NEXT) | instid1(VALU_DEP_1)
	v_not_b32_e32 v91, v93
	v_dual_ashrrev_i32 v91, 31, v91 :: v_dual_bitop2_b32 v90, vcc_lo, v90 bitop3:0x14
	v_dual_lshlrev_b32 v94, 29, v92 :: v_dual_lshlrev_b32 v95, 28, v92
	v_dual_lshlrev_b32 v96, 27, v92 :: v_dual_lshlrev_b32 v97, 26, v92
	v_lshlrev_b32_e32 v175, 25, v92
	v_cmp_gt_i32_e64 s15, 0, v93
	s_delay_alu instid0(VALU_DEP_4)
	v_cmp_gt_i32_e64 s16, 0, v94
	v_not_b32_e32 v93, v94
	v_not_b32_e32 v94, v95
	v_lshlrev_b32_e32 v176, 24, v92
	v_cmp_gt_i32_e64 s17, 0, v95
	v_cmp_gt_i32_e64 s18, 0, v96
	v_not_b32_e32 v95, v96
	v_cmp_gt_i32_e64 s19, 0, v97
	v_not_b32_e32 v96, v97
	v_not_b32_e32 v97, v175
	v_dual_ashrrev_i32 v93, 31, v93 :: v_dual_ashrrev_i32 v94, 31, v94
	v_xor_b32_e32 v91, s15, v91
	v_not_b32_e32 v177, v176
	v_dual_ashrrev_i32 v95, 31, v95 :: v_dual_ashrrev_i32 v96, 31, v96
	s_delay_alu instid0(VALU_DEP_4) | instskip(SKIP_2) | instid1(VALU_DEP_4)
	v_xor_b32_e32 v93, s16, v93
	v_xor_b32_e32 v94, s17, v94
	v_bitop3_b32 v90, v90, v91, exec_lo bitop3:0x80
	v_xor_b32_e32 v95, s18, v95
	v_xor_b32_e32 v91, s19, v96
	v_cmp_gt_i32_e32 vcc_lo, 0, v175
	v_ashrrev_i32_e32 v96, 31, v97
	v_cmp_gt_i32_e64 s15, 0, v176
	v_ashrrev_i32_e32 v97, 31, v177
	v_bitop3_b32 v90, v90, v94, v93 bitop3:0x80
	v_mad_u32_u24 v93, v92, 36, v148
	v_xor_b32_e32 v94, vcc_lo, v96
	s_delay_alu instid0(VALU_DEP_4) | instskip(NEXT) | instid1(VALU_DEP_4)
	v_xor_b32_e32 v96, s15, v97
	v_bitop3_b32 v90, v90, v91, v95 bitop3:0x80
	ds_load_b32 v175, v93 offset:1056
	v_mul_u32_u24_e32 v91, 36, v92
	; wave barrier
	v_bitop3_b32 v90, v90, v96, v94 bitop3:0x80
	s_delay_alu instid0(VALU_DEP_2) | instskip(NEXT) | instid1(VALU_DEP_2)
	v_add_nc_u32_e32 v177, v148, v91
	v_mbcnt_lo_u32_b32 v176, v90, 0
	v_cmp_ne_u32_e64 s15, 0, v90
	s_delay_alu instid0(VALU_DEP_2) | instskip(SKIP_1) | instid1(SALU_CYCLE_1)
	v_cmp_eq_u32_e32 vcc_lo, 0, v176
	s_and_b32 s16, s15, vcc_lo
	s_and_saveexec_b32 s15, s16
	s_cbranch_execz .LBB833_438
; %bb.437:                              ;   in Loop: Header=BB833_396 Depth=2
	s_wait_dscnt 0x0
	v_bcnt_u32_b32 v90, v90, v175
	ds_store_b32 v177, v90 offset:1056
.LBB833_438:                            ;   in Loop: Header=BB833_396 Depth=2
	s_or_b32 exec_lo, exec_lo, s15
	v_xor_b32_e32 v63, 0x80000000, v63
	; wave barrier
	s_delay_alu instid0(VALU_DEP_1) | instskip(NEXT) | instid1(VALU_DEP_1)
	v_lshrrev_b64 v[90:91], s48, v[62:63]
	v_bitop3_b32 v91, v90, 1, s56 bitop3:0x80
	v_and_b32_e32 v92, s56, v90
	s_delay_alu instid0(VALU_DEP_2) | instskip(NEXT) | instid1(VALU_DEP_1)
	v_add_co_u32 v90, s15, v91, -1
	v_cndmask_b32_e64 v91, 0, 1, s15
	s_delay_alu instid0(VALU_DEP_3) | instskip(NEXT) | instid1(VALU_DEP_2)
	v_lshlrev_b32_e32 v93, 30, v92
	v_cmp_ne_u32_e32 vcc_lo, 0, v91
	s_delay_alu instid0(VALU_DEP_2) | instskip(NEXT) | instid1(VALU_DEP_1)
	v_not_b32_e32 v91, v93
	v_dual_ashrrev_i32 v91, 31, v91 :: v_dual_bitop2_b32 v90, vcc_lo, v90 bitop3:0x14
	v_dual_lshlrev_b32 v94, 29, v92 :: v_dual_lshlrev_b32 v95, 28, v92
	v_dual_lshlrev_b32 v96, 27, v92 :: v_dual_lshlrev_b32 v97, 26, v92
	v_lshlrev_b32_e32 v178, 25, v92
	v_cmp_gt_i32_e64 s15, 0, v93
	s_delay_alu instid0(VALU_DEP_4)
	v_cmp_gt_i32_e64 s16, 0, v94
	v_not_b32_e32 v93, v94
	v_not_b32_e32 v94, v95
	v_lshlrev_b32_e32 v179, 24, v92
	v_cmp_gt_i32_e64 s17, 0, v95
	v_cmp_gt_i32_e64 s18, 0, v96
	v_not_b32_e32 v95, v96
	v_cmp_gt_i32_e64 s19, 0, v97
	v_not_b32_e32 v96, v97
	v_not_b32_e32 v97, v178
	v_dual_ashrrev_i32 v93, 31, v93 :: v_dual_ashrrev_i32 v94, 31, v94
	v_xor_b32_e32 v91, s15, v91
	v_not_b32_e32 v180, v179
	v_dual_ashrrev_i32 v95, 31, v95 :: v_dual_ashrrev_i32 v96, 31, v96
	s_delay_alu instid0(VALU_DEP_4) | instskip(SKIP_2) | instid1(VALU_DEP_4)
	v_xor_b32_e32 v93, s16, v93
	v_xor_b32_e32 v94, s17, v94
	v_bitop3_b32 v90, v90, v91, exec_lo bitop3:0x80
	v_xor_b32_e32 v95, s18, v95
	v_xor_b32_e32 v91, s19, v96
	v_cmp_gt_i32_e32 vcc_lo, 0, v178
	v_ashrrev_i32_e32 v96, 31, v97
	v_cmp_gt_i32_e64 s15, 0, v179
	v_ashrrev_i32_e32 v97, 31, v180
	v_bitop3_b32 v90, v90, v94, v93 bitop3:0x80
	v_mad_u32_u24 v93, v92, 36, v148
	v_xor_b32_e32 v94, vcc_lo, v96
	s_delay_alu instid0(VALU_DEP_4) | instskip(NEXT) | instid1(VALU_DEP_4)
	v_xor_b32_e32 v96, s15, v97
	v_bitop3_b32 v90, v90, v91, v95 bitop3:0x80
	ds_load_b32 v178, v93 offset:1056
	v_mul_u32_u24_e32 v91, 36, v92
	; wave barrier
	v_bitop3_b32 v90, v90, v96, v94 bitop3:0x80
	s_delay_alu instid0(VALU_DEP_2) | instskip(NEXT) | instid1(VALU_DEP_2)
	v_add_nc_u32_e32 v180, v148, v91
	v_mbcnt_lo_u32_b32 v179, v90, 0
	v_cmp_ne_u32_e64 s15, 0, v90
	s_delay_alu instid0(VALU_DEP_2) | instskip(SKIP_1) | instid1(SALU_CYCLE_1)
	v_cmp_eq_u32_e32 vcc_lo, 0, v179
	s_and_b32 s16, s15, vcc_lo
	s_and_saveexec_b32 s15, s16
	s_cbranch_execz .LBB833_440
; %bb.439:                              ;   in Loop: Header=BB833_396 Depth=2
	s_wait_dscnt 0x0
	v_bcnt_u32_b32 v90, v90, v178
	ds_store_b32 v180, v90 offset:1056
.LBB833_440:                            ;   in Loop: Header=BB833_396 Depth=2
	s_or_b32 exec_lo, exec_lo, s15
	v_xor_b32_e32 v69, 0x80000000, v69
	; wave barrier
	s_delay_alu instid0(VALU_DEP_1) | instskip(NEXT) | instid1(VALU_DEP_1)
	v_lshrrev_b64 v[90:91], s48, v[68:69]
	v_bitop3_b32 v91, v90, 1, s56 bitop3:0x80
	v_and_b32_e32 v92, s56, v90
	s_delay_alu instid0(VALU_DEP_2) | instskip(NEXT) | instid1(VALU_DEP_1)
	v_add_co_u32 v90, s15, v91, -1
	v_cndmask_b32_e64 v91, 0, 1, s15
	s_delay_alu instid0(VALU_DEP_3) | instskip(NEXT) | instid1(VALU_DEP_2)
	v_lshlrev_b32_e32 v93, 30, v92
	v_cmp_ne_u32_e32 vcc_lo, 0, v91
	s_delay_alu instid0(VALU_DEP_2) | instskip(NEXT) | instid1(VALU_DEP_1)
	v_not_b32_e32 v91, v93
	v_dual_ashrrev_i32 v91, 31, v91 :: v_dual_bitop2_b32 v90, vcc_lo, v90 bitop3:0x14
	v_dual_lshlrev_b32 v94, 29, v92 :: v_dual_lshlrev_b32 v95, 28, v92
	v_dual_lshlrev_b32 v96, 27, v92 :: v_dual_lshlrev_b32 v97, 26, v92
	v_lshlrev_b32_e32 v181, 25, v92
	v_cmp_gt_i32_e64 s15, 0, v93
	s_delay_alu instid0(VALU_DEP_4)
	v_cmp_gt_i32_e64 s16, 0, v94
	v_not_b32_e32 v93, v94
	v_not_b32_e32 v94, v95
	v_lshlrev_b32_e32 v182, 24, v92
	v_cmp_gt_i32_e64 s17, 0, v95
	v_cmp_gt_i32_e64 s18, 0, v96
	v_not_b32_e32 v95, v96
	v_cmp_gt_i32_e64 s19, 0, v97
	v_not_b32_e32 v96, v97
	v_not_b32_e32 v97, v181
	v_dual_ashrrev_i32 v93, 31, v93 :: v_dual_ashrrev_i32 v94, 31, v94
	v_xor_b32_e32 v91, s15, v91
	v_not_b32_e32 v183, v182
	v_dual_ashrrev_i32 v95, 31, v95 :: v_dual_ashrrev_i32 v96, 31, v96
	s_delay_alu instid0(VALU_DEP_4) | instskip(SKIP_2) | instid1(VALU_DEP_4)
	v_xor_b32_e32 v93, s16, v93
	v_xor_b32_e32 v94, s17, v94
	v_bitop3_b32 v90, v90, v91, exec_lo bitop3:0x80
	v_xor_b32_e32 v95, s18, v95
	v_xor_b32_e32 v91, s19, v96
	v_cmp_gt_i32_e32 vcc_lo, 0, v181
	v_ashrrev_i32_e32 v96, 31, v97
	v_cmp_gt_i32_e64 s15, 0, v182
	v_ashrrev_i32_e32 v97, 31, v183
	v_bitop3_b32 v90, v90, v94, v93 bitop3:0x80
	v_mad_u32_u24 v93, v92, 36, v148
	v_xor_b32_e32 v94, vcc_lo, v96
	s_delay_alu instid0(VALU_DEP_4) | instskip(NEXT) | instid1(VALU_DEP_4)
	v_xor_b32_e32 v96, s15, v97
	v_bitop3_b32 v90, v90, v91, v95 bitop3:0x80
	ds_load_b32 v181, v93 offset:1056
	v_mul_u32_u24_e32 v91, 36, v92
	; wave barrier
	v_bitop3_b32 v90, v90, v96, v94 bitop3:0x80
	s_delay_alu instid0(VALU_DEP_2) | instskip(NEXT) | instid1(VALU_DEP_2)
	v_add_nc_u32_e32 v183, v148, v91
	v_mbcnt_lo_u32_b32 v182, v90, 0
	v_cmp_ne_u32_e64 s15, 0, v90
	s_delay_alu instid0(VALU_DEP_2) | instskip(SKIP_1) | instid1(SALU_CYCLE_1)
	v_cmp_eq_u32_e32 vcc_lo, 0, v182
	s_and_b32 s16, s15, vcc_lo
	s_and_saveexec_b32 s15, s16
	s_cbranch_execz .LBB833_442
; %bb.441:                              ;   in Loop: Header=BB833_396 Depth=2
	s_wait_dscnt 0x0
	v_bcnt_u32_b32 v90, v90, v181
	ds_store_b32 v183, v90 offset:1056
.LBB833_442:                            ;   in Loop: Header=BB833_396 Depth=2
	s_or_b32 exec_lo, exec_lo, s15
	v_xor_b32_e32 v67, 0x80000000, v67
	; wave barrier
	s_delay_alu instid0(VALU_DEP_1) | instskip(NEXT) | instid1(VALU_DEP_1)
	v_lshrrev_b64 v[90:91], s48, v[66:67]
	v_bitop3_b32 v91, v90, 1, s56 bitop3:0x80
	v_and_b32_e32 v92, s56, v90
	s_delay_alu instid0(VALU_DEP_2) | instskip(NEXT) | instid1(VALU_DEP_1)
	v_add_co_u32 v90, s15, v91, -1
	v_cndmask_b32_e64 v91, 0, 1, s15
	s_delay_alu instid0(VALU_DEP_3) | instskip(NEXT) | instid1(VALU_DEP_2)
	v_lshlrev_b32_e32 v93, 30, v92
	v_cmp_ne_u32_e32 vcc_lo, 0, v91
	s_delay_alu instid0(VALU_DEP_2) | instskip(NEXT) | instid1(VALU_DEP_1)
	v_not_b32_e32 v91, v93
	v_dual_ashrrev_i32 v91, 31, v91 :: v_dual_bitop2_b32 v90, vcc_lo, v90 bitop3:0x14
	v_dual_lshlrev_b32 v94, 29, v92 :: v_dual_lshlrev_b32 v95, 28, v92
	v_dual_lshlrev_b32 v96, 27, v92 :: v_dual_lshlrev_b32 v97, 26, v92
	v_lshlrev_b32_e32 v184, 25, v92
	v_cmp_gt_i32_e64 s15, 0, v93
	s_delay_alu instid0(VALU_DEP_4)
	v_cmp_gt_i32_e64 s16, 0, v94
	v_not_b32_e32 v93, v94
	v_not_b32_e32 v94, v95
	v_lshlrev_b32_e32 v185, 24, v92
	v_cmp_gt_i32_e64 s17, 0, v95
	v_cmp_gt_i32_e64 s18, 0, v96
	v_not_b32_e32 v95, v96
	v_cmp_gt_i32_e64 s19, 0, v97
	v_not_b32_e32 v96, v97
	v_not_b32_e32 v97, v184
	v_dual_ashrrev_i32 v93, 31, v93 :: v_dual_ashrrev_i32 v94, 31, v94
	v_xor_b32_e32 v91, s15, v91
	v_not_b32_e32 v186, v185
	v_dual_ashrrev_i32 v95, 31, v95 :: v_dual_ashrrev_i32 v96, 31, v96
	s_delay_alu instid0(VALU_DEP_4) | instskip(SKIP_2) | instid1(VALU_DEP_4)
	v_xor_b32_e32 v93, s16, v93
	v_xor_b32_e32 v94, s17, v94
	v_bitop3_b32 v90, v90, v91, exec_lo bitop3:0x80
	v_xor_b32_e32 v95, s18, v95
	v_xor_b32_e32 v91, s19, v96
	v_cmp_gt_i32_e32 vcc_lo, 0, v184
	v_ashrrev_i32_e32 v96, 31, v97
	v_cmp_gt_i32_e64 s15, 0, v185
	v_ashrrev_i32_e32 v97, 31, v186
	v_bitop3_b32 v90, v90, v94, v93 bitop3:0x80
	v_mad_u32_u24 v93, v92, 36, v148
	v_xor_b32_e32 v94, vcc_lo, v96
	s_delay_alu instid0(VALU_DEP_4) | instskip(NEXT) | instid1(VALU_DEP_4)
	v_xor_b32_e32 v96, s15, v97
	v_bitop3_b32 v90, v90, v91, v95 bitop3:0x80
	ds_load_b32 v184, v93 offset:1056
	v_mul_u32_u24_e32 v91, 36, v92
	; wave barrier
	v_bitop3_b32 v90, v90, v96, v94 bitop3:0x80
	s_delay_alu instid0(VALU_DEP_2) | instskip(NEXT) | instid1(VALU_DEP_2)
	v_add_nc_u32_e32 v186, v148, v91
	v_mbcnt_lo_u32_b32 v185, v90, 0
	v_cmp_ne_u32_e64 s15, 0, v90
	s_delay_alu instid0(VALU_DEP_2) | instskip(SKIP_1) | instid1(SALU_CYCLE_1)
	v_cmp_eq_u32_e32 vcc_lo, 0, v185
	s_and_b32 s16, s15, vcc_lo
	s_and_saveexec_b32 s15, s16
	s_cbranch_execz .LBB833_444
; %bb.443:                              ;   in Loop: Header=BB833_396 Depth=2
	s_wait_dscnt 0x0
	v_bcnt_u32_b32 v90, v90, v184
	ds_store_b32 v186, v90 offset:1056
.LBB833_444:                            ;   in Loop: Header=BB833_396 Depth=2
	s_or_b32 exec_lo, exec_lo, s15
	v_xor_b32_e32 v73, 0x80000000, v73
	; wave barrier
	s_delay_alu instid0(VALU_DEP_1) | instskip(NEXT) | instid1(VALU_DEP_1)
	v_lshrrev_b64 v[90:91], s48, v[72:73]
	v_bitop3_b32 v91, v90, 1, s56 bitop3:0x80
	v_and_b32_e32 v92, s56, v90
	s_delay_alu instid0(VALU_DEP_2) | instskip(NEXT) | instid1(VALU_DEP_1)
	v_add_co_u32 v90, s15, v91, -1
	v_cndmask_b32_e64 v91, 0, 1, s15
	s_delay_alu instid0(VALU_DEP_3) | instskip(NEXT) | instid1(VALU_DEP_2)
	v_lshlrev_b32_e32 v93, 30, v92
	v_cmp_ne_u32_e32 vcc_lo, 0, v91
	s_delay_alu instid0(VALU_DEP_2) | instskip(NEXT) | instid1(VALU_DEP_1)
	v_not_b32_e32 v91, v93
	v_dual_ashrrev_i32 v91, 31, v91 :: v_dual_bitop2_b32 v90, vcc_lo, v90 bitop3:0x14
	v_dual_lshlrev_b32 v94, 29, v92 :: v_dual_lshlrev_b32 v95, 28, v92
	v_dual_lshlrev_b32 v96, 27, v92 :: v_dual_lshlrev_b32 v97, 26, v92
	v_lshlrev_b32_e32 v187, 25, v92
	v_cmp_gt_i32_e64 s15, 0, v93
	s_delay_alu instid0(VALU_DEP_4)
	v_cmp_gt_i32_e64 s16, 0, v94
	v_not_b32_e32 v93, v94
	v_not_b32_e32 v94, v95
	v_lshlrev_b32_e32 v188, 24, v92
	v_cmp_gt_i32_e64 s17, 0, v95
	v_cmp_gt_i32_e64 s18, 0, v96
	v_not_b32_e32 v95, v96
	v_cmp_gt_i32_e64 s19, 0, v97
	v_not_b32_e32 v96, v97
	v_not_b32_e32 v97, v187
	v_dual_ashrrev_i32 v93, 31, v93 :: v_dual_ashrrev_i32 v94, 31, v94
	v_xor_b32_e32 v91, s15, v91
	v_not_b32_e32 v189, v188
	v_dual_ashrrev_i32 v95, 31, v95 :: v_dual_ashrrev_i32 v96, 31, v96
	s_delay_alu instid0(VALU_DEP_4) | instskip(SKIP_2) | instid1(VALU_DEP_4)
	v_xor_b32_e32 v93, s16, v93
	v_xor_b32_e32 v94, s17, v94
	v_bitop3_b32 v90, v90, v91, exec_lo bitop3:0x80
	v_xor_b32_e32 v95, s18, v95
	v_xor_b32_e32 v91, s19, v96
	v_cmp_gt_i32_e32 vcc_lo, 0, v187
	v_ashrrev_i32_e32 v96, 31, v97
	v_cmp_gt_i32_e64 s15, 0, v188
	v_ashrrev_i32_e32 v97, 31, v189
	v_bitop3_b32 v90, v90, v94, v93 bitop3:0x80
	v_mad_u32_u24 v93, v92, 36, v148
	v_xor_b32_e32 v94, vcc_lo, v96
	s_delay_alu instid0(VALU_DEP_4) | instskip(NEXT) | instid1(VALU_DEP_4)
	v_xor_b32_e32 v96, s15, v97
	v_bitop3_b32 v90, v90, v91, v95 bitop3:0x80
	ds_load_b32 v187, v93 offset:1056
	v_mul_u32_u24_e32 v91, 36, v92
	; wave barrier
	v_bitop3_b32 v90, v90, v96, v94 bitop3:0x80
	s_delay_alu instid0(VALU_DEP_2) | instskip(NEXT) | instid1(VALU_DEP_2)
	v_add_nc_u32_e32 v189, v148, v91
	v_mbcnt_lo_u32_b32 v188, v90, 0
	v_cmp_ne_u32_e64 s15, 0, v90
	s_delay_alu instid0(VALU_DEP_2) | instskip(SKIP_1) | instid1(SALU_CYCLE_1)
	v_cmp_eq_u32_e32 vcc_lo, 0, v188
	s_and_b32 s16, s15, vcc_lo
	s_and_saveexec_b32 s15, s16
	s_cbranch_execz .LBB833_446
; %bb.445:                              ;   in Loop: Header=BB833_396 Depth=2
	s_wait_dscnt 0x0
	v_bcnt_u32_b32 v90, v90, v187
	ds_store_b32 v189, v90 offset:1056
.LBB833_446:                            ;   in Loop: Header=BB833_396 Depth=2
	s_or_b32 exec_lo, exec_lo, s15
	v_xor_b32_e32 v71, 0x80000000, v71
	; wave barrier
	s_delay_alu instid0(VALU_DEP_1) | instskip(NEXT) | instid1(VALU_DEP_1)
	v_lshrrev_b64 v[90:91], s48, v[70:71]
	v_bitop3_b32 v91, v90, 1, s56 bitop3:0x80
	v_and_b32_e32 v92, s56, v90
	s_delay_alu instid0(VALU_DEP_2) | instskip(NEXT) | instid1(VALU_DEP_1)
	v_add_co_u32 v90, s15, v91, -1
	v_cndmask_b32_e64 v91, 0, 1, s15
	s_delay_alu instid0(VALU_DEP_3) | instskip(NEXT) | instid1(VALU_DEP_2)
	v_lshlrev_b32_e32 v93, 30, v92
	v_cmp_ne_u32_e32 vcc_lo, 0, v91
	s_delay_alu instid0(VALU_DEP_2) | instskip(NEXT) | instid1(VALU_DEP_1)
	v_not_b32_e32 v91, v93
	v_dual_ashrrev_i32 v91, 31, v91 :: v_dual_bitop2_b32 v90, vcc_lo, v90 bitop3:0x14
	v_dual_lshlrev_b32 v94, 29, v92 :: v_dual_lshlrev_b32 v95, 28, v92
	v_dual_lshlrev_b32 v96, 27, v92 :: v_dual_lshlrev_b32 v97, 26, v92
	v_lshlrev_b32_e32 v190, 25, v92
	v_cmp_gt_i32_e64 s15, 0, v93
	s_delay_alu instid0(VALU_DEP_4)
	v_cmp_gt_i32_e64 s16, 0, v94
	v_not_b32_e32 v93, v94
	v_not_b32_e32 v94, v95
	v_lshlrev_b32_e32 v191, 24, v92
	v_cmp_gt_i32_e64 s17, 0, v95
	v_cmp_gt_i32_e64 s18, 0, v96
	v_not_b32_e32 v95, v96
	v_cmp_gt_i32_e64 s19, 0, v97
	v_not_b32_e32 v96, v97
	v_not_b32_e32 v97, v190
	v_dual_ashrrev_i32 v93, 31, v93 :: v_dual_ashrrev_i32 v94, 31, v94
	v_xor_b32_e32 v91, s15, v91
	v_not_b32_e32 v192, v191
	v_dual_ashrrev_i32 v95, 31, v95 :: v_dual_ashrrev_i32 v96, 31, v96
	s_delay_alu instid0(VALU_DEP_4) | instskip(SKIP_2) | instid1(VALU_DEP_4)
	v_xor_b32_e32 v93, s16, v93
	v_xor_b32_e32 v94, s17, v94
	v_bitop3_b32 v90, v90, v91, exec_lo bitop3:0x80
	v_xor_b32_e32 v95, s18, v95
	v_xor_b32_e32 v91, s19, v96
	v_cmp_gt_i32_e32 vcc_lo, 0, v190
	v_ashrrev_i32_e32 v96, 31, v97
	v_cmp_gt_i32_e64 s15, 0, v191
	v_ashrrev_i32_e32 v97, 31, v192
	v_bitop3_b32 v90, v90, v94, v93 bitop3:0x80
	v_mad_u32_u24 v93, v92, 36, v148
	v_xor_b32_e32 v94, vcc_lo, v96
	s_delay_alu instid0(VALU_DEP_4) | instskip(NEXT) | instid1(VALU_DEP_4)
	v_xor_b32_e32 v96, s15, v97
	v_bitop3_b32 v90, v90, v91, v95 bitop3:0x80
	ds_load_b32 v190, v93 offset:1056
	v_mul_u32_u24_e32 v91, 36, v92
	; wave barrier
	v_bitop3_b32 v90, v90, v96, v94 bitop3:0x80
	s_delay_alu instid0(VALU_DEP_2) | instskip(NEXT) | instid1(VALU_DEP_2)
	v_add_nc_u32_e32 v192, v148, v91
	v_mbcnt_lo_u32_b32 v191, v90, 0
	v_cmp_ne_u32_e64 s15, 0, v90
	s_delay_alu instid0(VALU_DEP_2) | instskip(SKIP_1) | instid1(SALU_CYCLE_1)
	v_cmp_eq_u32_e32 vcc_lo, 0, v191
	s_and_b32 s16, s15, vcc_lo
	s_and_saveexec_b32 s15, s16
	s_cbranch_execz .LBB833_448
; %bb.447:                              ;   in Loop: Header=BB833_396 Depth=2
	s_wait_dscnt 0x0
	v_bcnt_u32_b32 v90, v90, v190
	ds_store_b32 v192, v90 offset:1056
.LBB833_448:                            ;   in Loop: Header=BB833_396 Depth=2
	s_or_b32 exec_lo, exec_lo, s15
	v_xor_b32_e32 v77, 0x80000000, v77
	; wave barrier
	s_delay_alu instid0(VALU_DEP_1) | instskip(NEXT) | instid1(VALU_DEP_1)
	v_lshrrev_b64 v[90:91], s48, v[76:77]
	v_bitop3_b32 v91, v90, 1, s56 bitop3:0x80
	v_and_b32_e32 v92, s56, v90
	s_delay_alu instid0(VALU_DEP_2) | instskip(NEXT) | instid1(VALU_DEP_1)
	v_add_co_u32 v90, s15, v91, -1
	v_cndmask_b32_e64 v91, 0, 1, s15
	s_delay_alu instid0(VALU_DEP_3) | instskip(NEXT) | instid1(VALU_DEP_2)
	v_lshlrev_b32_e32 v93, 30, v92
	v_cmp_ne_u32_e32 vcc_lo, 0, v91
	s_delay_alu instid0(VALU_DEP_2) | instskip(NEXT) | instid1(VALU_DEP_1)
	v_not_b32_e32 v91, v93
	v_dual_ashrrev_i32 v91, 31, v91 :: v_dual_bitop2_b32 v90, vcc_lo, v90 bitop3:0x14
	v_dual_lshlrev_b32 v94, 29, v92 :: v_dual_lshlrev_b32 v95, 28, v92
	v_dual_lshlrev_b32 v96, 27, v92 :: v_dual_lshlrev_b32 v97, 26, v92
	v_lshlrev_b32_e32 v193, 25, v92
	v_cmp_gt_i32_e64 s15, 0, v93
	s_delay_alu instid0(VALU_DEP_4)
	v_cmp_gt_i32_e64 s16, 0, v94
	v_not_b32_e32 v93, v94
	v_not_b32_e32 v94, v95
	v_lshlrev_b32_e32 v194, 24, v92
	v_cmp_gt_i32_e64 s17, 0, v95
	v_cmp_gt_i32_e64 s18, 0, v96
	v_not_b32_e32 v95, v96
	v_cmp_gt_i32_e64 s19, 0, v97
	v_not_b32_e32 v96, v97
	v_not_b32_e32 v97, v193
	v_dual_ashrrev_i32 v93, 31, v93 :: v_dual_ashrrev_i32 v94, 31, v94
	v_xor_b32_e32 v91, s15, v91
	v_not_b32_e32 v195, v194
	v_dual_ashrrev_i32 v95, 31, v95 :: v_dual_ashrrev_i32 v96, 31, v96
	s_delay_alu instid0(VALU_DEP_4) | instskip(SKIP_2) | instid1(VALU_DEP_4)
	v_xor_b32_e32 v93, s16, v93
	v_xor_b32_e32 v94, s17, v94
	v_bitop3_b32 v90, v90, v91, exec_lo bitop3:0x80
	v_xor_b32_e32 v95, s18, v95
	v_xor_b32_e32 v91, s19, v96
	v_cmp_gt_i32_e32 vcc_lo, 0, v193
	v_ashrrev_i32_e32 v96, 31, v97
	v_cmp_gt_i32_e64 s15, 0, v194
	v_ashrrev_i32_e32 v97, 31, v195
	v_bitop3_b32 v90, v90, v94, v93 bitop3:0x80
	v_mad_u32_u24 v93, v92, 36, v148
	v_xor_b32_e32 v94, vcc_lo, v96
	s_delay_alu instid0(VALU_DEP_4) | instskip(NEXT) | instid1(VALU_DEP_4)
	v_xor_b32_e32 v96, s15, v97
	v_bitop3_b32 v90, v90, v91, v95 bitop3:0x80
	ds_load_b32 v193, v93 offset:1056
	v_mul_u32_u24_e32 v91, 36, v92
	; wave barrier
	v_bitop3_b32 v90, v90, v96, v94 bitop3:0x80
	s_delay_alu instid0(VALU_DEP_2) | instskip(NEXT) | instid1(VALU_DEP_2)
	v_add_nc_u32_e32 v195, v148, v91
	v_mbcnt_lo_u32_b32 v194, v90, 0
	v_cmp_ne_u32_e64 s15, 0, v90
	s_delay_alu instid0(VALU_DEP_2) | instskip(SKIP_1) | instid1(SALU_CYCLE_1)
	v_cmp_eq_u32_e32 vcc_lo, 0, v194
	s_and_b32 s16, s15, vcc_lo
	s_and_saveexec_b32 s15, s16
	s_cbranch_execz .LBB833_450
; %bb.449:                              ;   in Loop: Header=BB833_396 Depth=2
	s_wait_dscnt 0x0
	v_bcnt_u32_b32 v90, v90, v193
	ds_store_b32 v195, v90 offset:1056
.LBB833_450:                            ;   in Loop: Header=BB833_396 Depth=2
	s_or_b32 exec_lo, exec_lo, s15
	v_xor_b32_e32 v75, 0x80000000, v75
	; wave barrier
	s_delay_alu instid0(VALU_DEP_1) | instskip(NEXT) | instid1(VALU_DEP_1)
	v_lshrrev_b64 v[90:91], s48, v[74:75]
	v_bitop3_b32 v91, v90, 1, s56 bitop3:0x80
	v_and_b32_e32 v92, s56, v90
	s_delay_alu instid0(VALU_DEP_2) | instskip(NEXT) | instid1(VALU_DEP_1)
	v_add_co_u32 v90, s15, v91, -1
	v_cndmask_b32_e64 v91, 0, 1, s15
	s_delay_alu instid0(VALU_DEP_3) | instskip(NEXT) | instid1(VALU_DEP_2)
	v_lshlrev_b32_e32 v93, 30, v92
	v_cmp_ne_u32_e32 vcc_lo, 0, v91
	s_delay_alu instid0(VALU_DEP_2) | instskip(NEXT) | instid1(VALU_DEP_1)
	v_not_b32_e32 v91, v93
	v_dual_ashrrev_i32 v91, 31, v91 :: v_dual_bitop2_b32 v90, vcc_lo, v90 bitop3:0x14
	v_dual_lshlrev_b32 v94, 29, v92 :: v_dual_lshlrev_b32 v95, 28, v92
	v_dual_lshlrev_b32 v96, 27, v92 :: v_dual_lshlrev_b32 v97, 26, v92
	v_lshlrev_b32_e32 v196, 25, v92
	v_cmp_gt_i32_e64 s15, 0, v93
	s_delay_alu instid0(VALU_DEP_4)
	v_cmp_gt_i32_e64 s16, 0, v94
	v_not_b32_e32 v93, v94
	v_not_b32_e32 v94, v95
	v_lshlrev_b32_e32 v197, 24, v92
	v_cmp_gt_i32_e64 s17, 0, v95
	v_cmp_gt_i32_e64 s18, 0, v96
	v_not_b32_e32 v95, v96
	v_cmp_gt_i32_e64 s19, 0, v97
	v_not_b32_e32 v96, v97
	v_not_b32_e32 v97, v196
	v_dual_ashrrev_i32 v93, 31, v93 :: v_dual_ashrrev_i32 v94, 31, v94
	v_xor_b32_e32 v91, s15, v91
	v_not_b32_e32 v198, v197
	v_dual_ashrrev_i32 v95, 31, v95 :: v_dual_ashrrev_i32 v96, 31, v96
	s_delay_alu instid0(VALU_DEP_4) | instskip(SKIP_2) | instid1(VALU_DEP_4)
	v_xor_b32_e32 v93, s16, v93
	v_xor_b32_e32 v94, s17, v94
	v_bitop3_b32 v90, v90, v91, exec_lo bitop3:0x80
	v_xor_b32_e32 v95, s18, v95
	v_xor_b32_e32 v91, s19, v96
	v_cmp_gt_i32_e32 vcc_lo, 0, v196
	v_ashrrev_i32_e32 v96, 31, v97
	v_cmp_gt_i32_e64 s15, 0, v197
	v_ashrrev_i32_e32 v97, 31, v198
	v_bitop3_b32 v90, v90, v94, v93 bitop3:0x80
	v_mad_u32_u24 v93, v92, 36, v148
	v_xor_b32_e32 v94, vcc_lo, v96
	s_delay_alu instid0(VALU_DEP_4) | instskip(NEXT) | instid1(VALU_DEP_4)
	v_xor_b32_e32 v96, s15, v97
	v_bitop3_b32 v90, v90, v91, v95 bitop3:0x80
	ds_load_b32 v196, v93 offset:1056
	v_mul_u32_u24_e32 v91, 36, v92
	; wave barrier
	v_bitop3_b32 v90, v90, v96, v94 bitop3:0x80
	s_delay_alu instid0(VALU_DEP_2) | instskip(NEXT) | instid1(VALU_DEP_2)
	v_add_nc_u32_e32 v198, v148, v91
	v_mbcnt_lo_u32_b32 v197, v90, 0
	v_cmp_ne_u32_e64 s15, 0, v90
	s_delay_alu instid0(VALU_DEP_2) | instskip(SKIP_1) | instid1(SALU_CYCLE_1)
	v_cmp_eq_u32_e32 vcc_lo, 0, v197
	s_and_b32 s16, s15, vcc_lo
	s_and_saveexec_b32 s15, s16
	s_cbranch_execz .LBB833_452
; %bb.451:                              ;   in Loop: Header=BB833_396 Depth=2
	s_wait_dscnt 0x0
	v_bcnt_u32_b32 v90, v90, v196
	ds_store_b32 v198, v90 offset:1056
.LBB833_452:                            ;   in Loop: Header=BB833_396 Depth=2
	s_or_b32 exec_lo, exec_lo, s15
	v_xor_b32_e32 v81, 0x80000000, v81
	; wave barrier
	s_delay_alu instid0(VALU_DEP_1) | instskip(NEXT) | instid1(VALU_DEP_1)
	v_lshrrev_b64 v[90:91], s48, v[80:81]
	v_bitop3_b32 v91, v90, 1, s56 bitop3:0x80
	v_and_b32_e32 v92, s56, v90
	s_delay_alu instid0(VALU_DEP_2) | instskip(NEXT) | instid1(VALU_DEP_1)
	v_add_co_u32 v90, s15, v91, -1
	v_cndmask_b32_e64 v91, 0, 1, s15
	s_delay_alu instid0(VALU_DEP_3) | instskip(NEXT) | instid1(VALU_DEP_2)
	v_lshlrev_b32_e32 v93, 30, v92
	v_cmp_ne_u32_e32 vcc_lo, 0, v91
	s_delay_alu instid0(VALU_DEP_2) | instskip(NEXT) | instid1(VALU_DEP_1)
	v_not_b32_e32 v91, v93
	v_dual_ashrrev_i32 v91, 31, v91 :: v_dual_bitop2_b32 v90, vcc_lo, v90 bitop3:0x14
	v_dual_lshlrev_b32 v94, 29, v92 :: v_dual_lshlrev_b32 v95, 28, v92
	v_dual_lshlrev_b32 v96, 27, v92 :: v_dual_lshlrev_b32 v97, 26, v92
	v_lshlrev_b32_e32 v199, 25, v92
	v_cmp_gt_i32_e64 s15, 0, v93
	s_delay_alu instid0(VALU_DEP_4)
	v_cmp_gt_i32_e64 s16, 0, v94
	v_not_b32_e32 v93, v94
	v_not_b32_e32 v94, v95
	v_lshlrev_b32_e32 v200, 24, v92
	v_cmp_gt_i32_e64 s17, 0, v95
	v_cmp_gt_i32_e64 s18, 0, v96
	v_not_b32_e32 v95, v96
	v_cmp_gt_i32_e64 s19, 0, v97
	v_not_b32_e32 v96, v97
	v_not_b32_e32 v97, v199
	v_dual_ashrrev_i32 v93, 31, v93 :: v_dual_ashrrev_i32 v94, 31, v94
	v_xor_b32_e32 v91, s15, v91
	v_not_b32_e32 v201, v200
	v_dual_ashrrev_i32 v95, 31, v95 :: v_dual_ashrrev_i32 v96, 31, v96
	s_delay_alu instid0(VALU_DEP_4) | instskip(SKIP_2) | instid1(VALU_DEP_4)
	v_xor_b32_e32 v93, s16, v93
	v_xor_b32_e32 v94, s17, v94
	v_bitop3_b32 v90, v90, v91, exec_lo bitop3:0x80
	v_xor_b32_e32 v95, s18, v95
	v_xor_b32_e32 v91, s19, v96
	v_cmp_gt_i32_e32 vcc_lo, 0, v199
	v_ashrrev_i32_e32 v96, 31, v97
	v_cmp_gt_i32_e64 s15, 0, v200
	v_ashrrev_i32_e32 v97, 31, v201
	v_bitop3_b32 v90, v90, v94, v93 bitop3:0x80
	v_mad_u32_u24 v93, v92, 36, v148
	v_xor_b32_e32 v94, vcc_lo, v96
	s_delay_alu instid0(VALU_DEP_4) | instskip(NEXT) | instid1(VALU_DEP_4)
	v_xor_b32_e32 v96, s15, v97
	v_bitop3_b32 v90, v90, v91, v95 bitop3:0x80
	ds_load_b32 v199, v93 offset:1056
	v_mul_u32_u24_e32 v91, 36, v92
	; wave barrier
	v_bitop3_b32 v90, v90, v96, v94 bitop3:0x80
	s_delay_alu instid0(VALU_DEP_2) | instskip(NEXT) | instid1(VALU_DEP_2)
	v_add_nc_u32_e32 v202, v148, v91
	v_mbcnt_lo_u32_b32 v200, v90, 0
	v_cmp_ne_u32_e64 s15, 0, v90
	s_delay_alu instid0(VALU_DEP_2) | instskip(SKIP_1) | instid1(SALU_CYCLE_1)
	v_cmp_eq_u32_e32 vcc_lo, 0, v200
	s_and_b32 s16, s15, vcc_lo
	s_and_saveexec_b32 s15, s16
	s_cbranch_execz .LBB833_454
; %bb.453:                              ;   in Loop: Header=BB833_396 Depth=2
	s_wait_dscnt 0x0
	v_bcnt_u32_b32 v90, v90, v199
	ds_store_b32 v202, v90 offset:1056
.LBB833_454:                            ;   in Loop: Header=BB833_396 Depth=2
	s_or_b32 exec_lo, exec_lo, s15
	v_xor_b32_e32 v79, 0x80000000, v79
	; wave barrier
	s_delay_alu instid0(VALU_DEP_1) | instskip(NEXT) | instid1(VALU_DEP_1)
	v_lshrrev_b64 v[90:91], s48, v[78:79]
	v_bitop3_b32 v91, v90, 1, s56 bitop3:0x80
	v_and_b32_e32 v92, s56, v90
	s_delay_alu instid0(VALU_DEP_2) | instskip(NEXT) | instid1(VALU_DEP_1)
	v_add_co_u32 v90, s15, v91, -1
	v_cndmask_b32_e64 v91, 0, 1, s15
	s_delay_alu instid0(VALU_DEP_3) | instskip(NEXT) | instid1(VALU_DEP_2)
	v_lshlrev_b32_e32 v93, 30, v92
	v_cmp_ne_u32_e32 vcc_lo, 0, v91
	s_delay_alu instid0(VALU_DEP_2) | instskip(NEXT) | instid1(VALU_DEP_1)
	v_not_b32_e32 v91, v93
	v_dual_ashrrev_i32 v91, 31, v91 :: v_dual_bitop2_b32 v90, vcc_lo, v90 bitop3:0x14
	v_dual_lshlrev_b32 v94, 29, v92 :: v_dual_lshlrev_b32 v95, 28, v92
	v_dual_lshlrev_b32 v96, 27, v92 :: v_dual_lshlrev_b32 v97, 26, v92
	v_lshlrev_b32_e32 v201, 25, v92
	v_cmp_gt_i32_e64 s15, 0, v93
	s_delay_alu instid0(VALU_DEP_4)
	v_cmp_gt_i32_e64 s16, 0, v94
	v_not_b32_e32 v93, v94
	v_not_b32_e32 v94, v95
	v_lshlrev_b32_e32 v203, 24, v92
	v_cmp_gt_i32_e64 s17, 0, v95
	v_cmp_gt_i32_e64 s18, 0, v96
	v_not_b32_e32 v95, v96
	v_cmp_gt_i32_e64 s19, 0, v97
	v_not_b32_e32 v96, v97
	v_not_b32_e32 v97, v201
	v_dual_ashrrev_i32 v93, 31, v93 :: v_dual_ashrrev_i32 v94, 31, v94
	v_xor_b32_e32 v91, s15, v91
	v_not_b32_e32 v204, v203
	v_dual_ashrrev_i32 v95, 31, v95 :: v_dual_ashrrev_i32 v96, 31, v96
	s_delay_alu instid0(VALU_DEP_4) | instskip(SKIP_2) | instid1(VALU_DEP_4)
	v_xor_b32_e32 v93, s16, v93
	v_xor_b32_e32 v94, s17, v94
	v_bitop3_b32 v90, v90, v91, exec_lo bitop3:0x80
	v_xor_b32_e32 v95, s18, v95
	v_xor_b32_e32 v91, s19, v96
	v_cmp_gt_i32_e32 vcc_lo, 0, v201
	v_ashrrev_i32_e32 v96, 31, v97
	v_cmp_gt_i32_e64 s15, 0, v203
	v_ashrrev_i32_e32 v97, 31, v204
	v_bitop3_b32 v90, v90, v94, v93 bitop3:0x80
	v_mad_u32_u24 v93, v92, 36, v148
	v_xor_b32_e32 v94, vcc_lo, v96
	s_delay_alu instid0(VALU_DEP_4) | instskip(NEXT) | instid1(VALU_DEP_4)
	v_xor_b32_e32 v96, s15, v97
	v_bitop3_b32 v90, v90, v91, v95 bitop3:0x80
	ds_load_b32 v201, v93 offset:1056
	v_mul_u32_u24_e32 v91, 36, v92
	; wave barrier
	v_bitop3_b32 v90, v90, v96, v94 bitop3:0x80
	s_delay_alu instid0(VALU_DEP_2) | instskip(NEXT) | instid1(VALU_DEP_2)
	v_add_nc_u32_e32 v206, v148, v91
	v_mbcnt_lo_u32_b32 v203, v90, 0
	v_cmp_ne_u32_e64 s15, 0, v90
	s_delay_alu instid0(VALU_DEP_2) | instskip(SKIP_1) | instid1(SALU_CYCLE_1)
	v_cmp_eq_u32_e32 vcc_lo, 0, v203
	s_and_b32 s16, s15, vcc_lo
	s_and_saveexec_b32 s15, s16
	s_cbranch_execz .LBB833_456
; %bb.455:                              ;   in Loop: Header=BB833_396 Depth=2
	s_wait_dscnt 0x0
	v_bcnt_u32_b32 v90, v90, v201
	ds_store_b32 v206, v90 offset:1056
.LBB833_456:                            ;   in Loop: Header=BB833_396 Depth=2
	s_or_b32 exec_lo, exec_lo, s15
	v_xor_b32_e32 v85, 0x80000000, v85
	; wave barrier
	s_delay_alu instid0(VALU_DEP_1) | instskip(NEXT) | instid1(VALU_DEP_1)
	v_lshrrev_b64 v[90:91], s48, v[84:85]
	v_bitop3_b32 v91, v90, 1, s56 bitop3:0x80
	v_and_b32_e32 v92, s56, v90
	s_delay_alu instid0(VALU_DEP_2) | instskip(NEXT) | instid1(VALU_DEP_1)
	v_add_co_u32 v90, s15, v91, -1
	v_cndmask_b32_e64 v91, 0, 1, s15
	s_delay_alu instid0(VALU_DEP_3) | instskip(NEXT) | instid1(VALU_DEP_2)
	v_lshlrev_b32_e32 v93, 30, v92
	v_cmp_ne_u32_e32 vcc_lo, 0, v91
	s_delay_alu instid0(VALU_DEP_2) | instskip(NEXT) | instid1(VALU_DEP_1)
	v_not_b32_e32 v91, v93
	v_dual_ashrrev_i32 v91, 31, v91 :: v_dual_bitop2_b32 v90, vcc_lo, v90 bitop3:0x14
	v_dual_lshlrev_b32 v94, 29, v92 :: v_dual_lshlrev_b32 v95, 28, v92
	v_dual_lshlrev_b32 v96, 27, v92 :: v_dual_lshlrev_b32 v97, 26, v92
	v_lshlrev_b32_e32 v204, 25, v92
	v_cmp_gt_i32_e64 s15, 0, v93
	s_delay_alu instid0(VALU_DEP_4)
	v_cmp_gt_i32_e64 s16, 0, v94
	v_not_b32_e32 v93, v94
	v_not_b32_e32 v94, v95
	v_lshlrev_b32_e32 v205, 24, v92
	v_cmp_gt_i32_e64 s17, 0, v95
	v_cmp_gt_i32_e64 s18, 0, v96
	v_not_b32_e32 v95, v96
	v_cmp_gt_i32_e64 s19, 0, v97
	v_not_b32_e32 v96, v97
	v_not_b32_e32 v97, v204
	v_dual_ashrrev_i32 v93, 31, v93 :: v_dual_ashrrev_i32 v94, 31, v94
	v_xor_b32_e32 v91, s15, v91
	v_not_b32_e32 v207, v205
	v_dual_ashrrev_i32 v95, 31, v95 :: v_dual_ashrrev_i32 v96, 31, v96
	s_delay_alu instid0(VALU_DEP_4) | instskip(SKIP_2) | instid1(VALU_DEP_4)
	v_xor_b32_e32 v93, s16, v93
	v_xor_b32_e32 v94, s17, v94
	v_bitop3_b32 v90, v90, v91, exec_lo bitop3:0x80
	v_xor_b32_e32 v95, s18, v95
	v_xor_b32_e32 v91, s19, v96
	v_cmp_gt_i32_e32 vcc_lo, 0, v204
	v_ashrrev_i32_e32 v96, 31, v97
	v_cmp_gt_i32_e64 s15, 0, v205
	v_ashrrev_i32_e32 v97, 31, v207
	v_bitop3_b32 v90, v90, v94, v93 bitop3:0x80
	v_mad_u32_u24 v93, v92, 36, v148
	v_xor_b32_e32 v94, vcc_lo, v96
	s_delay_alu instid0(VALU_DEP_4) | instskip(NEXT) | instid1(VALU_DEP_4)
	v_xor_b32_e32 v96, s15, v97
	v_bitop3_b32 v90, v90, v91, v95 bitop3:0x80
	ds_load_b32 v204, v93 offset:1056
	v_mul_u32_u24_e32 v91, 36, v92
	; wave barrier
	v_bitop3_b32 v90, v90, v96, v94 bitop3:0x80
	s_delay_alu instid0(VALU_DEP_2) | instskip(NEXT) | instid1(VALU_DEP_2)
	v_add_nc_u32_e32 v209, v148, v91
	v_mbcnt_lo_u32_b32 v205, v90, 0
	v_cmp_ne_u32_e64 s15, 0, v90
	s_delay_alu instid0(VALU_DEP_2) | instskip(SKIP_1) | instid1(SALU_CYCLE_1)
	v_cmp_eq_u32_e32 vcc_lo, 0, v205
	s_and_b32 s16, s15, vcc_lo
	s_and_saveexec_b32 s15, s16
	s_cbranch_execz .LBB833_458
; %bb.457:                              ;   in Loop: Header=BB833_396 Depth=2
	s_wait_dscnt 0x0
	v_bcnt_u32_b32 v90, v90, v204
	ds_store_b32 v209, v90 offset:1056
.LBB833_458:                            ;   in Loop: Header=BB833_396 Depth=2
	s_or_b32 exec_lo, exec_lo, s15
	v_xor_b32_e32 v83, 0x80000000, v83
	; wave barrier
	s_delay_alu instid0(VALU_DEP_1) | instskip(NEXT) | instid1(VALU_DEP_1)
	v_lshrrev_b64 v[90:91], s48, v[82:83]
	v_bitop3_b32 v91, v90, 1, s56 bitop3:0x80
	v_and_b32_e32 v92, s56, v90
	s_delay_alu instid0(VALU_DEP_2) | instskip(NEXT) | instid1(VALU_DEP_1)
	v_add_co_u32 v90, s15, v91, -1
	v_cndmask_b32_e64 v91, 0, 1, s15
	s_delay_alu instid0(VALU_DEP_3) | instskip(NEXT) | instid1(VALU_DEP_2)
	v_lshlrev_b32_e32 v93, 30, v92
	v_cmp_ne_u32_e32 vcc_lo, 0, v91
	s_delay_alu instid0(VALU_DEP_2) | instskip(NEXT) | instid1(VALU_DEP_1)
	v_not_b32_e32 v91, v93
	v_dual_ashrrev_i32 v91, 31, v91 :: v_dual_bitop2_b32 v90, vcc_lo, v90 bitop3:0x14
	v_dual_lshlrev_b32 v94, 29, v92 :: v_dual_lshlrev_b32 v95, 28, v92
	v_dual_lshlrev_b32 v96, 27, v92 :: v_dual_lshlrev_b32 v97, 26, v92
	v_lshlrev_b32_e32 v207, 25, v92
	v_cmp_gt_i32_e64 s15, 0, v93
	s_delay_alu instid0(VALU_DEP_4)
	v_cmp_gt_i32_e64 s16, 0, v94
	v_not_b32_e32 v93, v94
	v_not_b32_e32 v94, v95
	v_lshlrev_b32_e32 v208, 24, v92
	v_cmp_gt_i32_e64 s17, 0, v95
	v_cmp_gt_i32_e64 s18, 0, v96
	v_not_b32_e32 v95, v96
	v_cmp_gt_i32_e64 s19, 0, v97
	v_not_b32_e32 v96, v97
	v_not_b32_e32 v97, v207
	v_dual_ashrrev_i32 v93, 31, v93 :: v_dual_ashrrev_i32 v94, 31, v94
	v_xor_b32_e32 v91, s15, v91
	v_not_b32_e32 v210, v208
	v_dual_ashrrev_i32 v95, 31, v95 :: v_dual_ashrrev_i32 v96, 31, v96
	s_delay_alu instid0(VALU_DEP_4) | instskip(SKIP_2) | instid1(VALU_DEP_4)
	v_xor_b32_e32 v93, s16, v93
	v_xor_b32_e32 v94, s17, v94
	v_bitop3_b32 v90, v90, v91, exec_lo bitop3:0x80
	v_xor_b32_e32 v95, s18, v95
	v_xor_b32_e32 v91, s19, v96
	v_cmp_gt_i32_e32 vcc_lo, 0, v207
	v_ashrrev_i32_e32 v96, 31, v97
	v_cmp_gt_i32_e64 s15, 0, v208
	v_ashrrev_i32_e32 v97, 31, v210
	v_bitop3_b32 v90, v90, v94, v93 bitop3:0x80
	v_mad_u32_u24 v93, v92, 36, v148
	v_xor_b32_e32 v94, vcc_lo, v96
	s_delay_alu instid0(VALU_DEP_4) | instskip(NEXT) | instid1(VALU_DEP_4)
	v_xor_b32_e32 v96, s15, v97
	v_bitop3_b32 v90, v90, v91, v95 bitop3:0x80
	ds_load_b32 v207, v93 offset:1056
	v_mul_u32_u24_e32 v91, 36, v92
	; wave barrier
	v_bitop3_b32 v90, v90, v96, v94 bitop3:0x80
	s_delay_alu instid0(VALU_DEP_2) | instskip(NEXT) | instid1(VALU_DEP_2)
	v_add_nc_u32_e32 v212, v148, v91
	v_mbcnt_lo_u32_b32 v208, v90, 0
	v_cmp_ne_u32_e64 s15, 0, v90
	s_delay_alu instid0(VALU_DEP_2) | instskip(SKIP_1) | instid1(SALU_CYCLE_1)
	v_cmp_eq_u32_e32 vcc_lo, 0, v208
	s_and_b32 s16, s15, vcc_lo
	s_and_saveexec_b32 s15, s16
	s_cbranch_execz .LBB833_460
; %bb.459:                              ;   in Loop: Header=BB833_396 Depth=2
	s_wait_dscnt 0x0
	v_bcnt_u32_b32 v90, v90, v207
	ds_store_b32 v212, v90 offset:1056
.LBB833_460:                            ;   in Loop: Header=BB833_396 Depth=2
	s_or_b32 exec_lo, exec_lo, s15
	v_xor_b32_e32 v87, 0x80000000, v87
	; wave barrier
	s_delay_alu instid0(VALU_DEP_1) | instskip(NEXT) | instid1(VALU_DEP_1)
	v_lshrrev_b64 v[90:91], s48, v[86:87]
	v_bitop3_b32 v91, v90, 1, s56 bitop3:0x80
	v_and_b32_e32 v92, s56, v90
	s_delay_alu instid0(VALU_DEP_2) | instskip(NEXT) | instid1(VALU_DEP_1)
	v_add_co_u32 v90, s15, v91, -1
	v_cndmask_b32_e64 v91, 0, 1, s15
	s_delay_alu instid0(VALU_DEP_3) | instskip(NEXT) | instid1(VALU_DEP_2)
	v_lshlrev_b32_e32 v93, 30, v92
	v_cmp_ne_u32_e32 vcc_lo, 0, v91
	s_delay_alu instid0(VALU_DEP_2) | instskip(NEXT) | instid1(VALU_DEP_1)
	v_not_b32_e32 v91, v93
	v_dual_ashrrev_i32 v91, 31, v91 :: v_dual_bitop2_b32 v90, vcc_lo, v90 bitop3:0x14
	v_dual_lshlrev_b32 v94, 29, v92 :: v_dual_lshlrev_b32 v95, 28, v92
	v_dual_lshlrev_b32 v96, 27, v92 :: v_dual_lshlrev_b32 v97, 26, v92
	v_lshlrev_b32_e32 v210, 25, v92
	v_cmp_gt_i32_e64 s15, 0, v93
	s_delay_alu instid0(VALU_DEP_4)
	v_cmp_gt_i32_e64 s16, 0, v94
	v_not_b32_e32 v93, v94
	v_not_b32_e32 v94, v95
	v_lshlrev_b32_e32 v211, 24, v92
	v_cmp_gt_i32_e64 s17, 0, v95
	v_cmp_gt_i32_e64 s18, 0, v96
	v_not_b32_e32 v95, v96
	v_cmp_gt_i32_e64 s19, 0, v97
	v_not_b32_e32 v96, v97
	v_not_b32_e32 v97, v210
	v_dual_ashrrev_i32 v93, 31, v93 :: v_dual_ashrrev_i32 v94, 31, v94
	v_xor_b32_e32 v91, s15, v91
	v_not_b32_e32 v213, v211
	v_dual_ashrrev_i32 v95, 31, v95 :: v_dual_ashrrev_i32 v96, 31, v96
	s_delay_alu instid0(VALU_DEP_4) | instskip(SKIP_2) | instid1(VALU_DEP_4)
	v_xor_b32_e32 v93, s16, v93
	v_xor_b32_e32 v94, s17, v94
	v_bitop3_b32 v90, v90, v91, exec_lo bitop3:0x80
	v_xor_b32_e32 v95, s18, v95
	v_xor_b32_e32 v91, s19, v96
	v_cmp_gt_i32_e32 vcc_lo, 0, v210
	v_ashrrev_i32_e32 v96, 31, v97
	v_cmp_gt_i32_e64 s15, 0, v211
	v_ashrrev_i32_e32 v97, 31, v213
	v_bitop3_b32 v90, v90, v94, v93 bitop3:0x80
	v_mad_u32_u24 v93, v92, 36, v148
	v_xor_b32_e32 v94, vcc_lo, v96
	s_delay_alu instid0(VALU_DEP_4) | instskip(NEXT) | instid1(VALU_DEP_4)
	v_xor_b32_e32 v96, s15, v97
	v_bitop3_b32 v90, v90, v91, v95 bitop3:0x80
	ds_load_b32 v210, v93 offset:1056
	v_mul_u32_u24_e32 v91, 36, v92
	; wave barrier
	v_bitop3_b32 v90, v90, v96, v94 bitop3:0x80
	s_delay_alu instid0(VALU_DEP_2) | instskip(NEXT) | instid1(VALU_DEP_2)
	v_add_nc_u32_e32 v215, v148, v91
	v_mbcnt_lo_u32_b32 v211, v90, 0
	v_cmp_ne_u32_e64 s15, 0, v90
	s_delay_alu instid0(VALU_DEP_2) | instskip(SKIP_1) | instid1(SALU_CYCLE_1)
	v_cmp_eq_u32_e32 vcc_lo, 0, v211
	s_and_b32 s16, s15, vcc_lo
	s_and_saveexec_b32 s15, s16
	s_cbranch_execz .LBB833_462
; %bb.461:                              ;   in Loop: Header=BB833_396 Depth=2
	s_wait_dscnt 0x0
	v_bcnt_u32_b32 v90, v90, v210
	ds_store_b32 v215, v90 offset:1056
.LBB833_462:                            ;   in Loop: Header=BB833_396 Depth=2
	s_or_b32 exec_lo, exec_lo, s15
	v_lshrrev_b64 v[90:91], s48, v[88:89]
	; wave barrier
	s_delay_alu instid0(VALU_DEP_1) | instskip(SKIP_1) | instid1(VALU_DEP_2)
	v_bitop3_b32 v91, v90, 1, s56 bitop3:0x80
	v_and_b32_e32 v92, s56, v90
	v_add_co_u32 v90, s15, v91, -1
	s_delay_alu instid0(VALU_DEP_1) | instskip(NEXT) | instid1(VALU_DEP_3)
	v_cndmask_b32_e64 v91, 0, 1, s15
	v_lshlrev_b32_e32 v93, 30, v92
	s_delay_alu instid0(VALU_DEP_2) | instskip(NEXT) | instid1(VALU_DEP_2)
	v_cmp_ne_u32_e32 vcc_lo, 0, v91
	v_not_b32_e32 v91, v93
	s_delay_alu instid0(VALU_DEP_1) | instskip(SKIP_4) | instid1(VALU_DEP_4)
	v_dual_ashrrev_i32 v91, 31, v91 :: v_dual_bitop2_b32 v90, vcc_lo, v90 bitop3:0x14
	v_dual_lshlrev_b32 v94, 29, v92 :: v_dual_lshlrev_b32 v95, 28, v92
	v_dual_lshlrev_b32 v96, 27, v92 :: v_dual_lshlrev_b32 v97, 26, v92
	v_lshlrev_b32_e32 v213, 25, v92
	v_cmp_gt_i32_e64 s15, 0, v93
	v_cmp_gt_i32_e64 s16, 0, v94
	v_not_b32_e32 v93, v94
	v_not_b32_e32 v94, v95
	v_lshlrev_b32_e32 v214, 24, v92
	v_cmp_gt_i32_e64 s17, 0, v95
	v_cmp_gt_i32_e64 s18, 0, v96
	v_not_b32_e32 v95, v96
	v_dual_ashrrev_i32 v93, 31, v93 :: v_dual_ashrrev_i32 v94, 31, v94
	v_xor_b32_e32 v91, s15, v91
	v_not_b32_e32 v96, v97
	v_cmp_gt_i32_e64 s19, 0, v97
	s_delay_alu instid0(VALU_DEP_4)
	v_dual_ashrrev_i32 v95, 31, v95 :: v_dual_bitop2_b32 v93, s16, v93 bitop3:0x14
	v_xor_b32_e32 v94, s17, v94
	v_bitop3_b32 v90, v90, v91, exec_lo bitop3:0x80
	v_ashrrev_i32_e32 v91, 31, v96
	v_not_b32_e32 v96, v213
	v_not_b32_e32 v97, v214
	v_xor_b32_e32 v95, s18, v95
	v_bitop3_b32 v90, v90, v94, v93 bitop3:0x80
	v_xor_b32_e32 v91, s19, v91
	v_cmp_gt_i32_e32 vcc_lo, 0, v213
	v_ashrrev_i32_e32 v93, 31, v96
	v_cmp_gt_i32_e64 s15, 0, v214
	v_ashrrev_i32_e32 v94, 31, v97
	v_mad_u32_u24 v96, v92, 36, v148
	v_bitop3_b32 v90, v90, v91, v95 bitop3:0x80
	v_xor_b32_e32 v91, vcc_lo, v93
	s_delay_alu instid0(VALU_DEP_4) | instskip(SKIP_3) | instid1(VALU_DEP_2)
	v_xor_b32_e32 v93, s15, v94
	ds_load_b32 v213, v96 offset:1056
	; wave barrier
	v_bitop3_b32 v90, v90, v93, v91 bitop3:0x80
	v_mul_u32_u24_e32 v91, 36, v92
	v_mbcnt_lo_u32_b32 v214, v90, 0
	v_cmp_ne_u32_e64 s15, 0, v90
	s_delay_alu instid0(VALU_DEP_3) | instskip(NEXT) | instid1(VALU_DEP_3)
	v_add_nc_u32_e32 v216, v148, v91
	v_cmp_eq_u32_e32 vcc_lo, 0, v214
	s_and_b32 s16, s15, vcc_lo
	s_delay_alu instid0(SALU_CYCLE_1)
	s_and_saveexec_b32 s15, s16
	s_cbranch_execz .LBB833_464
; %bb.463:                              ;   in Loop: Header=BB833_396 Depth=2
	s_wait_dscnt 0x0
	v_bcnt_u32_b32 v90, v90, v213
	ds_store_b32 v216, v90 offset:1056
.LBB833_464:                            ;   in Loop: Header=BB833_396 Depth=2
	s_or_b32 exec_lo, exec_lo, s15
	; wave barrier
	s_wait_dscnt 0x0
	s_barrier_signal -1
	s_barrier_wait -1
	ds_load_2addr_b32 v[96:97], v168 offset1:1
	ds_load_2addr_b32 v[94:95], v169 offset1:1
	;; [unrolled: 1-line block ×4, first 2 shown]
	ds_load_b32 v217, v120 offset:1088
	s_wait_dscnt 0x3
	v_add3_u32 v218, v97, v96, v94
	s_wait_dscnt 0x2
	s_delay_alu instid0(VALU_DEP_1) | instskip(SKIP_1) | instid1(VALU_DEP_1)
	v_add3_u32 v218, v218, v95, v92
	s_wait_dscnt 0x1
	v_add3_u32 v218, v218, v93, v90
	s_wait_dscnt 0x0
	s_delay_alu instid0(VALU_DEP_1) | instskip(NEXT) | instid1(VALU_DEP_1)
	v_add3_u32 v217, v218, v91, v217
	v_mov_b32_dpp v218, v217 row_shr:1 row_mask:0xf bank_mask:0xf
	s_delay_alu instid0(VALU_DEP_1) | instskip(NEXT) | instid1(VALU_DEP_1)
	v_cndmask_b32_e64 v218, v218, 0, s7
	v_add_nc_u32_e32 v217, v218, v217
	s_delay_alu instid0(VALU_DEP_1) | instskip(NEXT) | instid1(VALU_DEP_1)
	v_mov_b32_dpp v218, v217 row_shr:2 row_mask:0xf bank_mask:0xf
	v_cndmask_b32_e64 v218, 0, v218, s8
	s_delay_alu instid0(VALU_DEP_1) | instskip(NEXT) | instid1(VALU_DEP_1)
	v_add_nc_u32_e32 v217, v217, v218
	v_mov_b32_dpp v218, v217 row_shr:4 row_mask:0xf bank_mask:0xf
	s_delay_alu instid0(VALU_DEP_1) | instskip(NEXT) | instid1(VALU_DEP_1)
	v_cndmask_b32_e64 v218, 0, v218, s9
	v_add_nc_u32_e32 v217, v217, v218
	s_delay_alu instid0(VALU_DEP_1) | instskip(NEXT) | instid1(VALU_DEP_1)
	v_mov_b32_dpp v218, v217 row_shr:8 row_mask:0xf bank_mask:0xf
	v_cndmask_b32_e64 v218, 0, v218, s10
	s_delay_alu instid0(VALU_DEP_1) | instskip(SKIP_3) | instid1(VALU_DEP_1)
	v_add_nc_u32_e32 v217, v217, v218
	ds_swizzle_b32 v218, v217 offset:swizzle(BROADCAST,32,15)
	s_wait_dscnt 0x0
	v_cndmask_b32_e64 v218, v218, 0, s11
	v_add_nc_u32_e32 v217, v217, v218
	s_and_saveexec_b32 s15, s1
; %bb.465:                              ;   in Loop: Header=BB833_396 Depth=2
	ds_store_b32 v114, v217 offset:1024
; %bb.466:                              ;   in Loop: Header=BB833_396 Depth=2
	s_or_b32 exec_lo, exec_lo, s15
	s_wait_dscnt 0x0
	s_barrier_signal -1
	s_barrier_wait -1
	s_and_saveexec_b32 s15, s4
	s_cbranch_execz .LBB833_468
; %bb.467:                              ;   in Loop: Header=BB833_396 Depth=2
	ds_load_b32 v218, v122 offset:1024
	s_wait_dscnt 0x0
	v_mov_b32_dpp v219, v218 row_shr:1 row_mask:0xf bank_mask:0xf
	s_delay_alu instid0(VALU_DEP_1) | instskip(NEXT) | instid1(VALU_DEP_1)
	v_cndmask_b32_e64 v219, v219, 0, s12
	v_add_nc_u32_e32 v218, v219, v218
	s_delay_alu instid0(VALU_DEP_1) | instskip(NEXT) | instid1(VALU_DEP_1)
	v_mov_b32_dpp v219, v218 row_shr:2 row_mask:0xf bank_mask:0xf
	v_cndmask_b32_e64 v219, 0, v219, s13
	s_delay_alu instid0(VALU_DEP_1) | instskip(NEXT) | instid1(VALU_DEP_1)
	v_add_nc_u32_e32 v218, v218, v219
	v_mov_b32_dpp v219, v218 row_shr:4 row_mask:0xf bank_mask:0xf
	s_delay_alu instid0(VALU_DEP_1) | instskip(NEXT) | instid1(VALU_DEP_1)
	v_cndmask_b32_e64 v219, 0, v219, s14
	v_add_nc_u32_e32 v218, v218, v219
	ds_store_b32 v122, v218 offset:1024
.LBB833_468:                            ;   in Loop: Header=BB833_396 Depth=2
	s_or_b32 exec_lo, exec_lo, s15
	v_mov_b32_e32 v218, 0
	s_wait_dscnt 0x0
	s_barrier_signal -1
	s_barrier_wait -1
	s_and_saveexec_b32 s15, s5
; %bb.469:                              ;   in Loop: Header=BB833_396 Depth=2
	ds_load_b32 v218, v114 offset:1020
; %bb.470:                              ;   in Loop: Header=BB833_396 Depth=2
	s_or_b32 exec_lo, exec_lo, s15
	s_wait_dscnt 0x0
	v_add_nc_u32_e32 v217, v218, v217
	ds_bpermute_b32 v217, v147, v217
	s_wait_dscnt 0x0
	v_cndmask_b32_e64 v217, v217, v218, s6
	s_delay_alu instid0(VALU_DEP_1) | instskip(NEXT) | instid1(VALU_DEP_1)
	v_cndmask_b32_e64 v217, v217, 0, s2
	v_add_nc_u32_e32 v96, v217, v96
	s_delay_alu instid0(VALU_DEP_1) | instskip(NEXT) | instid1(VALU_DEP_1)
	v_add_nc_u32_e32 v97, v96, v97
	v_add_nc_u32_e32 v94, v97, v94
	s_delay_alu instid0(VALU_DEP_1) | instskip(NEXT) | instid1(VALU_DEP_1)
	v_add_nc_u32_e32 v95, v94, v95
	;; [unrolled: 3-line block ×3, first 2 shown]
	v_add_nc_u32_e32 v90, v93, v90
	s_delay_alu instid0(VALU_DEP_1)
	v_add_nc_u32_e32 v91, v90, v91
	ds_store_2addr_b32 v167, v93, v90 offset1:1
	ds_store_2addr_b32 v168, v217, v96 offset1:1
	;; [unrolled: 1-line block ×4, first 2 shown]
	ds_store_b32 v120, v91 offset:1088
	s_wait_dscnt 0x0
	s_barrier_signal -1
	s_barrier_wait -1
	ds_load_b32 v91, v171 offset:1056
	ds_load_b32 v218, v174 offset:1056
	;; [unrolled: 1-line block ×17, first 2 shown]
	v_mov_b32_e32 v90, 0x1000
	s_and_saveexec_b32 s15, s3
; %bb.471:                              ;   in Loop: Header=BB833_396 Depth=2
	ds_load_b32 v90, v120 offset:1092
; %bb.472:                              ;   in Loop: Header=BB833_396 Depth=2
	s_or_b32 exec_lo, exec_lo, s15
	s_wait_dscnt 0x0
	s_barrier_signal -1
	s_barrier_wait -1
	s_and_saveexec_b32 s15, s0
	s_cbranch_execz .LBB833_474
; %bb.473:                              ;   in Loop: Header=BB833_396 Depth=2
	ds_load_b32 v183, v3
	s_wait_dscnt 0x0
	v_sub_nc_u32_e32 v180, v183, v180
	ds_store_b32 v3, v180
.LBB833_474:                            ;   in Loop: Header=BB833_396 Depth=2
	s_or_b32 exec_lo, exec_lo, s15
	v_dual_lshlrev_b32 v166, 3, v166 :: v_dual_lshlrev_b32 v173, 3, v173
	v_dual_lshlrev_b32 v172, 3, v172 :: v_dual_lshlrev_b32 v180, 3, v218
	v_lshlrev_b32_e32 v176, 3, v176
	s_delay_alu instid0(VALU_DEP_3)
	v_lshl_add_u32 v91, v91, 3, v166
	v_dual_lshlrev_b32 v166, 3, v175 :: v_dual_lshlrev_b32 v175, 3, v217
	v_dual_lshlrev_b32 v179, 3, v179 :: v_dual_lshlrev_b32 v178, 3, v178
	v_dual_lshlrev_b32 v181, 3, v181 :: v_dual_lshlrev_b32 v94, 3, v94
	v_dual_lshlrev_b32 v93, 3, v93 :: v_dual_lshlrev_b32 v182, 3, v182
	v_dual_lshlrev_b32 v183, 3, v185 :: v_dual_lshlrev_b32 v184, 3, v184
	v_lshlrev_b32_e32 v185, 3, v92
	ds_store_b64 v91, v[60:61] offset:1024
	v_add3_u32 v60, v173, v172, v180
	v_add3_u32 v61, v176, v166, v175
	;; [unrolled: 1-line block ×5, first 2 shown]
	ds_store_b64 v60, v[58:59] offset:1024
	ds_store_b64 v61, v[64:65] offset:1024
	ds_store_b64 v92, v[62:63] offset:1024
	ds_store_b64 v93, v[68:69] offset:1024
	ds_store_b64 v94, v[66:67] offset:1024
	v_dual_lshlrev_b32 v58, 3, v188 :: v_dual_lshlrev_b32 v63, 3, v191
	v_dual_lshlrev_b32 v59, 3, v187 :: v_dual_lshlrev_b32 v62, 3, v177
	;; [unrolled: 1-line block ×7, first 2 shown]
	v_lshlrev_b32_e32 v169, 3, v169
	v_add3_u32 v62, v58, v59, v62
	v_add3_u32 v63, v63, v64, v65
	;; [unrolled: 1-line block ×4, first 2 shown]
	v_lshlrev_b32_e32 v58, 3, v203
	v_add3_u32 v66, v171, v172, v169
	ds_store_b64 v62, v[72:73] offset:1024
	ds_store_b64 v63, v[70:71] offset:1024
	;; [unrolled: 1-line block ×5, first 2 shown]
	v_dual_lshlrev_b32 v59, 3, v201 :: v_dual_lshlrev_b32 v67, 3, v168
	v_dual_lshlrev_b32 v68, 3, v205 :: v_dual_lshlrev_b32 v69, 3, v204
	;; [unrolled: 1-line block ×7, first 2 shown]
	v_add3_u32 v67, v58, v59, v67
	v_add3_u32 v68, v68, v69, v70
	;; [unrolled: 1-line block ×5, first 2 shown]
	v_cmp_lt_u32_e32 vcc_lo, v2, v165
	ds_store_b64 v67, v[78:79] offset:1024
	ds_store_b64 v68, v[84:85] offset:1024
	;; [unrolled: 1-line block ×5, first 2 shown]
	s_wait_dscnt 0x0
	s_barrier_signal -1
	s_barrier_wait -1
	s_and_saveexec_b32 s15, vcc_lo
	s_cbranch_execnz .LBB833_543
; %bb.475:                              ;   in Loop: Header=BB833_396 Depth=2
	s_or_b32 exec_lo, exec_lo, s15
	v_cmp_lt_u32_e64 s15, v98, v165
	s_and_saveexec_b32 s16, s15
	s_cbranch_execnz .LBB833_544
.LBB833_476:                            ;   in Loop: Header=BB833_396 Depth=2
	s_or_b32 exec_lo, exec_lo, s16
	v_cmp_lt_u32_e64 s16, v99, v165
	s_and_saveexec_b32 s17, s16
	s_cbranch_execnz .LBB833_545
.LBB833_477:                            ;   in Loop: Header=BB833_396 Depth=2
	s_or_b32 exec_lo, exec_lo, s17
	v_cmp_lt_u32_e64 s17, v100, v165
	s_and_saveexec_b32 s18, s17
	s_cbranch_execnz .LBB833_546
.LBB833_478:                            ;   in Loop: Header=BB833_396 Depth=2
	s_or_b32 exec_lo, exec_lo, s18
	v_cmp_lt_u32_e64 s18, v101, v165
	s_and_saveexec_b32 s19, s18
	s_cbranch_execnz .LBB833_547
.LBB833_479:                            ;   in Loop: Header=BB833_396 Depth=2
	s_or_b32 exec_lo, exec_lo, s19
	v_cmp_lt_u32_e64 s19, v102, v165
	s_and_saveexec_b32 s20, s19
	s_cbranch_execnz .LBB833_548
.LBB833_480:                            ;   in Loop: Header=BB833_396 Depth=2
	s_or_b32 exec_lo, exec_lo, s20
	v_cmp_lt_u32_e64 s20, v103, v165
	s_and_saveexec_b32 s21, s20
	s_cbranch_execnz .LBB833_549
.LBB833_481:                            ;   in Loop: Header=BB833_396 Depth=2
	s_or_b32 exec_lo, exec_lo, s21
	v_cmp_lt_u32_e64 s21, v104, v165
	s_and_saveexec_b32 s22, s21
	s_cbranch_execnz .LBB833_550
.LBB833_482:                            ;   in Loop: Header=BB833_396 Depth=2
	s_or_b32 exec_lo, exec_lo, s22
	v_cmp_lt_u32_e64 s22, v105, v165
	s_and_saveexec_b32 s23, s22
	s_cbranch_execnz .LBB833_551
.LBB833_483:                            ;   in Loop: Header=BB833_396 Depth=2
	s_or_b32 exec_lo, exec_lo, s23
	v_cmp_lt_u32_e64 s23, v106, v165
	s_and_saveexec_b32 s24, s23
	s_cbranch_execnz .LBB833_552
.LBB833_484:                            ;   in Loop: Header=BB833_396 Depth=2
	s_or_b32 exec_lo, exec_lo, s24
	v_cmp_lt_u32_e64 s24, v107, v165
	s_and_saveexec_b32 s25, s24
	s_cbranch_execnz .LBB833_553
.LBB833_485:                            ;   in Loop: Header=BB833_396 Depth=2
	s_or_b32 exec_lo, exec_lo, s25
	v_cmp_lt_u32_e64 s25, v108, v165
	s_and_saveexec_b32 s26, s25
	s_cbranch_execnz .LBB833_554
.LBB833_486:                            ;   in Loop: Header=BB833_396 Depth=2
	s_or_b32 exec_lo, exec_lo, s26
	v_cmp_lt_u32_e64 s26, v109, v165
	s_and_saveexec_b32 s27, s26
	s_cbranch_execnz .LBB833_555
.LBB833_487:                            ;   in Loop: Header=BB833_396 Depth=2
	s_or_b32 exec_lo, exec_lo, s27
	v_cmp_lt_u32_e64 s27, v110, v165
	s_and_saveexec_b32 s28, s27
	s_cbranch_execnz .LBB833_556
.LBB833_488:                            ;   in Loop: Header=BB833_396 Depth=2
	s_or_b32 exec_lo, exec_lo, s28
	v_cmp_lt_u32_e64 s28, v111, v165
	s_and_saveexec_b32 s29, s28
	s_cbranch_execnz .LBB833_557
.LBB833_489:                            ;   in Loop: Header=BB833_396 Depth=2
	s_or_b32 exec_lo, exec_lo, s29
	v_cmp_lt_u32_e64 s29, v112, v165
	s_and_saveexec_b32 s59, s29
	s_cbranch_execz .LBB833_491
.LBB833_490:                            ;   in Loop: Header=BB833_396 Depth=2
	ds_load_b64 v[58:59], v123 offset:31744
	s_wait_dscnt 0x0
	v_lshrrev_b64 v[72:73], s48, v[58:59]
	v_xor_b32_e32 v59, 0x80000000, v59
	s_delay_alu instid0(VALU_DEP_2) | instskip(NEXT) | instid1(VALU_DEP_1)
	v_and_b32_e32 v72, s56, v72
	v_lshlrev_b32_e32 v72, 2, v72
	ds_load_b32 v72, v72
	s_wait_dscnt 0x0
	v_add_nc_u32_e32 v72, v72, v112
	global_store_b64 v72, v[58:59], s[40:41] scale_offset
.LBB833_491:                            ;   in Loop: Header=BB833_396 Depth=2
	s_wait_xcnt 0x0
	s_or_b32 exec_lo, exec_lo, s59
	v_lshl_add_u64 v[58:59], s[30:31], 3, v[22:23]
	v_cmp_lt_u32_e64 s30, v129, v165
	s_and_saveexec_b32 s59, s30
	s_delay_alu instid0(SALU_CYCLE_1)
	s_xor_b32 s30, exec_lo, s59
	s_cbranch_execnz .LBB833_558
; %bb.492:                              ;   in Loop: Header=BB833_396 Depth=2
	s_or_b32 exec_lo, exec_lo, s30
	s_delay_alu instid0(SALU_CYCLE_1)
	s_mov_b32 s59, exec_lo
	v_cmpx_lt_u32_e64 v132, v165
	s_cbranch_execnz .LBB833_559
.LBB833_493:                            ;   in Loop: Header=BB833_396 Depth=2
	s_or_b32 exec_lo, exec_lo, s59
	s_delay_alu instid0(SALU_CYCLE_1)
	s_mov_b32 s59, exec_lo
	v_cmpx_lt_u32_e64 v133, v165
	s_cbranch_execnz .LBB833_560
.LBB833_494:                            ;   in Loop: Header=BB833_396 Depth=2
	s_or_b32 exec_lo, exec_lo, s59
	s_delay_alu instid0(SALU_CYCLE_1)
	s_mov_b32 s59, exec_lo
	v_cmpx_lt_u32_e64 v134, v165
	s_cbranch_execnz .LBB833_561
.LBB833_495:                            ;   in Loop: Header=BB833_396 Depth=2
	s_or_b32 exec_lo, exec_lo, s59
	s_delay_alu instid0(SALU_CYCLE_1)
	s_mov_b32 s59, exec_lo
	v_cmpx_lt_u32_e64 v135, v165
	s_cbranch_execnz .LBB833_562
.LBB833_496:                            ;   in Loop: Header=BB833_396 Depth=2
	s_or_b32 exec_lo, exec_lo, s59
	s_delay_alu instid0(SALU_CYCLE_1)
	s_mov_b32 s59, exec_lo
	v_cmpx_lt_u32_e64 v136, v165
	s_cbranch_execnz .LBB833_563
.LBB833_497:                            ;   in Loop: Header=BB833_396 Depth=2
	s_or_b32 exec_lo, exec_lo, s59
	s_delay_alu instid0(SALU_CYCLE_1)
	s_mov_b32 s59, exec_lo
	v_cmpx_lt_u32_e64 v137, v165
	s_cbranch_execnz .LBB833_564
.LBB833_498:                            ;   in Loop: Header=BB833_396 Depth=2
	s_or_b32 exec_lo, exec_lo, s59
	s_delay_alu instid0(SALU_CYCLE_1)
	s_mov_b32 s59, exec_lo
	v_cmpx_lt_u32_e64 v138, v165
	s_cbranch_execnz .LBB833_565
.LBB833_499:                            ;   in Loop: Header=BB833_396 Depth=2
	s_or_b32 exec_lo, exec_lo, s59
	s_delay_alu instid0(SALU_CYCLE_1)
	s_mov_b32 s59, exec_lo
	v_cmpx_lt_u32_e64 v139, v165
	s_cbranch_execnz .LBB833_566
.LBB833_500:                            ;   in Loop: Header=BB833_396 Depth=2
	s_or_b32 exec_lo, exec_lo, s59
	s_delay_alu instid0(SALU_CYCLE_1)
	s_mov_b32 s59, exec_lo
	v_cmpx_lt_u32_e64 v140, v165
	s_cbranch_execnz .LBB833_567
.LBB833_501:                            ;   in Loop: Header=BB833_396 Depth=2
	s_or_b32 exec_lo, exec_lo, s59
	s_delay_alu instid0(SALU_CYCLE_1)
	s_mov_b32 s59, exec_lo
	v_cmpx_lt_u32_e64 v141, v165
	s_cbranch_execnz .LBB833_568
.LBB833_502:                            ;   in Loop: Header=BB833_396 Depth=2
	s_or_b32 exec_lo, exec_lo, s59
	s_delay_alu instid0(SALU_CYCLE_1)
	s_mov_b32 s59, exec_lo
	v_cmpx_lt_u32_e64 v142, v165
	s_cbranch_execnz .LBB833_569
.LBB833_503:                            ;   in Loop: Header=BB833_396 Depth=2
	s_or_b32 exec_lo, exec_lo, s59
	s_delay_alu instid0(SALU_CYCLE_1)
	s_mov_b32 s59, exec_lo
	v_cmpx_lt_u32_e64 v143, v165
	s_cbranch_execnz .LBB833_570
.LBB833_504:                            ;   in Loop: Header=BB833_396 Depth=2
	s_or_b32 exec_lo, exec_lo, s59
	s_delay_alu instid0(SALU_CYCLE_1)
	s_mov_b32 s59, exec_lo
	v_cmpx_lt_u32_e64 v144, v165
	s_cbranch_execnz .LBB833_571
.LBB833_505:                            ;   in Loop: Header=BB833_396 Depth=2
	s_or_b32 exec_lo, exec_lo, s59
	s_delay_alu instid0(SALU_CYCLE_1)
	s_mov_b32 s59, exec_lo
	v_cmpx_lt_u32_e64 v145, v165
	s_cbranch_execnz .LBB833_572
.LBB833_506:                            ;   in Loop: Header=BB833_396 Depth=2
	s_or_b32 exec_lo, exec_lo, s59
	s_delay_alu instid0(SALU_CYCLE_1)
	s_mov_b32 s59, exec_lo
	v_cmpx_lt_u32_e64 v146, v165
	s_cbranch_execnz .LBB833_573
.LBB833_507:                            ;   in Loop: Header=BB833_396 Depth=2
	s_or_b32 exec_lo, exec_lo, s59
	s_and_saveexec_b32 s30, vcc_lo
	s_cbranch_execnz .LBB833_574
.LBB833_508:                            ;   in Loop: Header=BB833_396 Depth=2
	s_or_b32 exec_lo, exec_lo, s30
	s_and_saveexec_b32 s30, s15
	s_cbranch_execnz .LBB833_575
.LBB833_509:                            ;   in Loop: Header=BB833_396 Depth=2
	s_or_b32 exec_lo, exec_lo, s30
	s_and_saveexec_b32 s30, s16
	s_cbranch_execnz .LBB833_576
.LBB833_510:                            ;   in Loop: Header=BB833_396 Depth=2
	s_or_b32 exec_lo, exec_lo, s30
	s_and_saveexec_b32 s30, s17
	s_cbranch_execnz .LBB833_577
.LBB833_511:                            ;   in Loop: Header=BB833_396 Depth=2
	s_or_b32 exec_lo, exec_lo, s30
	s_and_saveexec_b32 s30, s18
	s_cbranch_execnz .LBB833_578
.LBB833_512:                            ;   in Loop: Header=BB833_396 Depth=2
	s_or_b32 exec_lo, exec_lo, s30
	s_and_saveexec_b32 s30, s19
	s_cbranch_execnz .LBB833_579
.LBB833_513:                            ;   in Loop: Header=BB833_396 Depth=2
	s_or_b32 exec_lo, exec_lo, s30
	s_and_saveexec_b32 s30, s20
	s_cbranch_execnz .LBB833_580
.LBB833_514:                            ;   in Loop: Header=BB833_396 Depth=2
	s_or_b32 exec_lo, exec_lo, s30
	s_and_saveexec_b32 s30, s21
	s_cbranch_execnz .LBB833_581
.LBB833_515:                            ;   in Loop: Header=BB833_396 Depth=2
	s_or_b32 exec_lo, exec_lo, s30
	s_and_saveexec_b32 s30, s22
	s_cbranch_execnz .LBB833_582
.LBB833_516:                            ;   in Loop: Header=BB833_396 Depth=2
	s_or_b32 exec_lo, exec_lo, s30
	s_and_saveexec_b32 s30, s23
	s_cbranch_execnz .LBB833_583
.LBB833_517:                            ;   in Loop: Header=BB833_396 Depth=2
	s_or_b32 exec_lo, exec_lo, s30
	s_and_saveexec_b32 s30, s24
	s_cbranch_execnz .LBB833_584
.LBB833_518:                            ;   in Loop: Header=BB833_396 Depth=2
	s_or_b32 exec_lo, exec_lo, s30
	s_and_saveexec_b32 s30, s25
	s_cbranch_execnz .LBB833_585
.LBB833_519:                            ;   in Loop: Header=BB833_396 Depth=2
	s_or_b32 exec_lo, exec_lo, s30
	s_and_saveexec_b32 s30, s26
	s_cbranch_execnz .LBB833_586
.LBB833_520:                            ;   in Loop: Header=BB833_396 Depth=2
	s_or_b32 exec_lo, exec_lo, s30
	s_and_saveexec_b32 s30, s27
	s_cbranch_execnz .LBB833_587
.LBB833_521:                            ;   in Loop: Header=BB833_396 Depth=2
	s_or_b32 exec_lo, exec_lo, s30
	s_and_saveexec_b32 s30, s28
	s_cbranch_execnz .LBB833_588
.LBB833_522:                            ;   in Loop: Header=BB833_396 Depth=2
	s_or_b32 exec_lo, exec_lo, s30
	s_and_saveexec_b32 s30, s29
	s_cbranch_execz .LBB833_524
.LBB833_523:                            ;   in Loop: Header=BB833_396 Depth=2
	ds_load_b64 v[58:59], v123 offset:31744
	s_wait_dscnt 0x0
	v_lshrrev_b64 v[58:59], s48, v[58:59]
	s_delay_alu instid0(VALU_DEP_1)
	v_and_b32_e32 v149, s56, v58
.LBB833_524:                            ;   in Loop: Header=BB833_396 Depth=2
	s_or_b32 exec_lo, exec_lo, s30
	s_wait_loadcnt 0x0
	s_wait_storecnt 0x0
	s_barrier_signal -1
	s_barrier_wait -1
	ds_store_b64 v91, v[56:57] offset:1024
	ds_store_b64 v60, v[54:55] offset:1024
	;; [unrolled: 1-line block ×16, first 2 shown]
	s_wait_dscnt 0x0
	s_barrier_signal -1
	s_barrier_wait -1
	s_and_saveexec_b32 s30, vcc_lo
	s_cbranch_execnz .LBB833_589
; %bb.525:                              ;   in Loop: Header=BB833_396 Depth=2
	s_or_b32 exec_lo, exec_lo, s30
	s_and_saveexec_b32 s30, s15
	s_cbranch_execnz .LBB833_590
.LBB833_526:                            ;   in Loop: Header=BB833_396 Depth=2
	s_or_b32 exec_lo, exec_lo, s30
	s_and_saveexec_b32 s15, s16
	s_cbranch_execnz .LBB833_591
.LBB833_527:                            ;   in Loop: Header=BB833_396 Depth=2
	s_or_b32 exec_lo, exec_lo, s15
	s_and_saveexec_b32 s15, s17
	s_cbranch_execnz .LBB833_592
.LBB833_528:                            ;   in Loop: Header=BB833_396 Depth=2
	s_or_b32 exec_lo, exec_lo, s15
	s_and_saveexec_b32 s15, s18
	s_cbranch_execnz .LBB833_593
.LBB833_529:                            ;   in Loop: Header=BB833_396 Depth=2
	s_or_b32 exec_lo, exec_lo, s15
	s_and_saveexec_b32 s15, s19
	s_cbranch_execnz .LBB833_594
.LBB833_530:                            ;   in Loop: Header=BB833_396 Depth=2
	s_or_b32 exec_lo, exec_lo, s15
	s_and_saveexec_b32 s15, s20
	s_cbranch_execnz .LBB833_595
.LBB833_531:                            ;   in Loop: Header=BB833_396 Depth=2
	s_or_b32 exec_lo, exec_lo, s15
	s_and_saveexec_b32 s15, s21
	s_cbranch_execnz .LBB833_596
.LBB833_532:                            ;   in Loop: Header=BB833_396 Depth=2
	s_or_b32 exec_lo, exec_lo, s15
	s_and_saveexec_b32 s15, s22
	s_cbranch_execnz .LBB833_597
.LBB833_533:                            ;   in Loop: Header=BB833_396 Depth=2
	s_or_b32 exec_lo, exec_lo, s15
	s_and_saveexec_b32 s15, s23
	s_cbranch_execnz .LBB833_598
.LBB833_534:                            ;   in Loop: Header=BB833_396 Depth=2
	s_or_b32 exec_lo, exec_lo, s15
	s_and_saveexec_b32 s15, s24
	s_cbranch_execnz .LBB833_599
.LBB833_535:                            ;   in Loop: Header=BB833_396 Depth=2
	s_or_b32 exec_lo, exec_lo, s15
	s_and_saveexec_b32 s15, s25
	s_cbranch_execnz .LBB833_600
.LBB833_536:                            ;   in Loop: Header=BB833_396 Depth=2
	s_or_b32 exec_lo, exec_lo, s15
	s_and_saveexec_b32 s15, s26
	s_cbranch_execnz .LBB833_601
.LBB833_537:                            ;   in Loop: Header=BB833_396 Depth=2
	s_or_b32 exec_lo, exec_lo, s15
	s_and_saveexec_b32 s15, s27
	s_cbranch_execnz .LBB833_602
.LBB833_538:                            ;   in Loop: Header=BB833_396 Depth=2
	s_or_b32 exec_lo, exec_lo, s15
	s_and_saveexec_b32 s15, s28
	s_cbranch_execnz .LBB833_603
.LBB833_539:                            ;   in Loop: Header=BB833_396 Depth=2
	s_or_b32 exec_lo, exec_lo, s15
	s_and_saveexec_b32 s15, s29
	s_cbranch_execz .LBB833_541
.LBB833_540:                            ;   in Loop: Header=BB833_396 Depth=2
	v_lshlrev_b32_e32 v58, 2, v149
	ds_load_b32 v60, v58
	ds_load_b64 v[58:59], v123 offset:31744
	s_wait_dscnt 0x1
	v_add_nc_u32_e32 v60, v60, v112
	s_wait_dscnt 0x0
	global_store_b64 v60, v[58:59], s[46:47] scale_offset
.LBB833_541:                            ;   in Loop: Header=BB833_396 Depth=2
	s_wait_xcnt 0x0
	s_or_b32 exec_lo, exec_lo, s15
	s_wait_storecnt 0x0
	s_barrier_signal -1
	s_barrier_wait -1
	s_and_saveexec_b32 s15, s0
	s_cbranch_execz .LBB833_395
; %bb.542:                              ;   in Loop: Header=BB833_396 Depth=2
	ds_load_b32 v58, v3
	s_wait_dscnt 0x0
	v_add_nc_u32_e32 v58, v58, v90
	ds_store_b32 v3, v58
	s_branch .LBB833_395
.LBB833_543:                            ;   in Loop: Header=BB833_396 Depth=2
	ds_load_b64 v[58:59], v123 offset:1024
	s_wait_dscnt 0x0
	v_lshrrev_b64 v[72:73], s48, v[58:59]
	v_xor_b32_e32 v59, 0x80000000, v59
	s_delay_alu instid0(VALU_DEP_2) | instskip(NEXT) | instid1(VALU_DEP_1)
	v_and_b32_e32 v72, s56, v72
	v_lshlrev_b32_e32 v72, 2, v72
	ds_load_b32 v72, v72
	s_wait_dscnt 0x0
	v_add_nc_u32_e32 v72, v72, v2
	global_store_b64 v72, v[58:59], s[40:41] scale_offset
	s_wait_xcnt 0x0
	s_or_b32 exec_lo, exec_lo, s15
	v_cmp_lt_u32_e64 s15, v98, v165
	s_and_saveexec_b32 s16, s15
	s_cbranch_execz .LBB833_476
.LBB833_544:                            ;   in Loop: Header=BB833_396 Depth=2
	ds_load_b64 v[58:59], v123 offset:3072
	s_wait_dscnt 0x0
	v_lshrrev_b64 v[72:73], s48, v[58:59]
	v_xor_b32_e32 v59, 0x80000000, v59
	s_delay_alu instid0(VALU_DEP_2) | instskip(NEXT) | instid1(VALU_DEP_1)
	v_and_b32_e32 v72, s56, v72
	v_lshlrev_b32_e32 v72, 2, v72
	ds_load_b32 v72, v72
	s_wait_dscnt 0x0
	v_add_nc_u32_e32 v72, v72, v98
	global_store_b64 v72, v[58:59], s[40:41] scale_offset
	s_wait_xcnt 0x0
	s_or_b32 exec_lo, exec_lo, s16
	v_cmp_lt_u32_e64 s16, v99, v165
	s_and_saveexec_b32 s17, s16
	s_cbranch_execz .LBB833_477
.LBB833_545:                            ;   in Loop: Header=BB833_396 Depth=2
	ds_load_b64 v[58:59], v123 offset:5120
	s_wait_dscnt 0x0
	v_lshrrev_b64 v[72:73], s48, v[58:59]
	v_xor_b32_e32 v59, 0x80000000, v59
	s_delay_alu instid0(VALU_DEP_2) | instskip(NEXT) | instid1(VALU_DEP_1)
	v_and_b32_e32 v72, s56, v72
	v_lshlrev_b32_e32 v72, 2, v72
	ds_load_b32 v72, v72
	s_wait_dscnt 0x0
	v_add_nc_u32_e32 v72, v72, v99
	global_store_b64 v72, v[58:59], s[40:41] scale_offset
	s_wait_xcnt 0x0
	s_or_b32 exec_lo, exec_lo, s17
	v_cmp_lt_u32_e64 s17, v100, v165
	s_and_saveexec_b32 s18, s17
	s_cbranch_execz .LBB833_478
.LBB833_546:                            ;   in Loop: Header=BB833_396 Depth=2
	ds_load_b64 v[58:59], v123 offset:7168
	s_wait_dscnt 0x0
	v_lshrrev_b64 v[72:73], s48, v[58:59]
	v_xor_b32_e32 v59, 0x80000000, v59
	s_delay_alu instid0(VALU_DEP_2) | instskip(NEXT) | instid1(VALU_DEP_1)
	v_and_b32_e32 v72, s56, v72
	v_lshlrev_b32_e32 v72, 2, v72
	ds_load_b32 v72, v72
	s_wait_dscnt 0x0
	v_add_nc_u32_e32 v72, v72, v100
	global_store_b64 v72, v[58:59], s[40:41] scale_offset
	s_wait_xcnt 0x0
	s_or_b32 exec_lo, exec_lo, s18
	v_cmp_lt_u32_e64 s18, v101, v165
	s_and_saveexec_b32 s19, s18
	s_cbranch_execz .LBB833_479
.LBB833_547:                            ;   in Loop: Header=BB833_396 Depth=2
	ds_load_b64 v[58:59], v123 offset:9216
	s_wait_dscnt 0x0
	v_lshrrev_b64 v[72:73], s48, v[58:59]
	v_xor_b32_e32 v59, 0x80000000, v59
	s_delay_alu instid0(VALU_DEP_2) | instskip(NEXT) | instid1(VALU_DEP_1)
	v_and_b32_e32 v72, s56, v72
	v_lshlrev_b32_e32 v72, 2, v72
	ds_load_b32 v72, v72
	s_wait_dscnt 0x0
	v_add_nc_u32_e32 v72, v72, v101
	global_store_b64 v72, v[58:59], s[40:41] scale_offset
	s_wait_xcnt 0x0
	s_or_b32 exec_lo, exec_lo, s19
	v_cmp_lt_u32_e64 s19, v102, v165
	s_and_saveexec_b32 s20, s19
	s_cbranch_execz .LBB833_480
.LBB833_548:                            ;   in Loop: Header=BB833_396 Depth=2
	ds_load_b64 v[58:59], v123 offset:11264
	s_wait_dscnt 0x0
	v_lshrrev_b64 v[72:73], s48, v[58:59]
	v_xor_b32_e32 v59, 0x80000000, v59
	s_delay_alu instid0(VALU_DEP_2) | instskip(NEXT) | instid1(VALU_DEP_1)
	v_and_b32_e32 v72, s56, v72
	v_lshlrev_b32_e32 v72, 2, v72
	ds_load_b32 v72, v72
	s_wait_dscnt 0x0
	v_add_nc_u32_e32 v72, v72, v102
	global_store_b64 v72, v[58:59], s[40:41] scale_offset
	s_wait_xcnt 0x0
	s_or_b32 exec_lo, exec_lo, s20
	v_cmp_lt_u32_e64 s20, v103, v165
	s_and_saveexec_b32 s21, s20
	s_cbranch_execz .LBB833_481
.LBB833_549:                            ;   in Loop: Header=BB833_396 Depth=2
	ds_load_b64 v[58:59], v123 offset:13312
	s_wait_dscnt 0x0
	v_lshrrev_b64 v[72:73], s48, v[58:59]
	v_xor_b32_e32 v59, 0x80000000, v59
	s_delay_alu instid0(VALU_DEP_2) | instskip(NEXT) | instid1(VALU_DEP_1)
	v_and_b32_e32 v72, s56, v72
	v_lshlrev_b32_e32 v72, 2, v72
	ds_load_b32 v72, v72
	s_wait_dscnt 0x0
	v_add_nc_u32_e32 v72, v72, v103
	global_store_b64 v72, v[58:59], s[40:41] scale_offset
	s_wait_xcnt 0x0
	s_or_b32 exec_lo, exec_lo, s21
	v_cmp_lt_u32_e64 s21, v104, v165
	s_and_saveexec_b32 s22, s21
	s_cbranch_execz .LBB833_482
.LBB833_550:                            ;   in Loop: Header=BB833_396 Depth=2
	ds_load_b64 v[58:59], v123 offset:15360
	s_wait_dscnt 0x0
	v_lshrrev_b64 v[72:73], s48, v[58:59]
	v_xor_b32_e32 v59, 0x80000000, v59
	s_delay_alu instid0(VALU_DEP_2) | instskip(NEXT) | instid1(VALU_DEP_1)
	v_and_b32_e32 v72, s56, v72
	v_lshlrev_b32_e32 v72, 2, v72
	ds_load_b32 v72, v72
	s_wait_dscnt 0x0
	v_add_nc_u32_e32 v72, v72, v104
	global_store_b64 v72, v[58:59], s[40:41] scale_offset
	s_wait_xcnt 0x0
	s_or_b32 exec_lo, exec_lo, s22
	v_cmp_lt_u32_e64 s22, v105, v165
	s_and_saveexec_b32 s23, s22
	s_cbranch_execz .LBB833_483
.LBB833_551:                            ;   in Loop: Header=BB833_396 Depth=2
	ds_load_b64 v[58:59], v123 offset:17408
	s_wait_dscnt 0x0
	v_lshrrev_b64 v[72:73], s48, v[58:59]
	v_xor_b32_e32 v59, 0x80000000, v59
	s_delay_alu instid0(VALU_DEP_2) | instskip(NEXT) | instid1(VALU_DEP_1)
	v_and_b32_e32 v72, s56, v72
	v_lshlrev_b32_e32 v72, 2, v72
	ds_load_b32 v72, v72
	s_wait_dscnt 0x0
	v_add_nc_u32_e32 v72, v72, v105
	global_store_b64 v72, v[58:59], s[40:41] scale_offset
	s_wait_xcnt 0x0
	s_or_b32 exec_lo, exec_lo, s23
	v_cmp_lt_u32_e64 s23, v106, v165
	s_and_saveexec_b32 s24, s23
	s_cbranch_execz .LBB833_484
.LBB833_552:                            ;   in Loop: Header=BB833_396 Depth=2
	ds_load_b64 v[58:59], v123 offset:19456
	s_wait_dscnt 0x0
	v_lshrrev_b64 v[72:73], s48, v[58:59]
	v_xor_b32_e32 v59, 0x80000000, v59
	s_delay_alu instid0(VALU_DEP_2) | instskip(NEXT) | instid1(VALU_DEP_1)
	v_and_b32_e32 v72, s56, v72
	v_lshlrev_b32_e32 v72, 2, v72
	ds_load_b32 v72, v72
	s_wait_dscnt 0x0
	v_add_nc_u32_e32 v72, v72, v106
	global_store_b64 v72, v[58:59], s[40:41] scale_offset
	s_wait_xcnt 0x0
	s_or_b32 exec_lo, exec_lo, s24
	v_cmp_lt_u32_e64 s24, v107, v165
	s_and_saveexec_b32 s25, s24
	s_cbranch_execz .LBB833_485
.LBB833_553:                            ;   in Loop: Header=BB833_396 Depth=2
	ds_load_b64 v[58:59], v123 offset:21504
	s_wait_dscnt 0x0
	v_lshrrev_b64 v[72:73], s48, v[58:59]
	v_xor_b32_e32 v59, 0x80000000, v59
	s_delay_alu instid0(VALU_DEP_2) | instskip(NEXT) | instid1(VALU_DEP_1)
	v_and_b32_e32 v72, s56, v72
	v_lshlrev_b32_e32 v72, 2, v72
	ds_load_b32 v72, v72
	s_wait_dscnt 0x0
	v_add_nc_u32_e32 v72, v72, v107
	global_store_b64 v72, v[58:59], s[40:41] scale_offset
	s_wait_xcnt 0x0
	s_or_b32 exec_lo, exec_lo, s25
	v_cmp_lt_u32_e64 s25, v108, v165
	s_and_saveexec_b32 s26, s25
	s_cbranch_execz .LBB833_486
.LBB833_554:                            ;   in Loop: Header=BB833_396 Depth=2
	ds_load_b64 v[58:59], v123 offset:23552
	s_wait_dscnt 0x0
	v_lshrrev_b64 v[72:73], s48, v[58:59]
	v_xor_b32_e32 v59, 0x80000000, v59
	s_delay_alu instid0(VALU_DEP_2) | instskip(NEXT) | instid1(VALU_DEP_1)
	v_and_b32_e32 v72, s56, v72
	v_lshlrev_b32_e32 v72, 2, v72
	ds_load_b32 v72, v72
	s_wait_dscnt 0x0
	v_add_nc_u32_e32 v72, v72, v108
	global_store_b64 v72, v[58:59], s[40:41] scale_offset
	s_wait_xcnt 0x0
	s_or_b32 exec_lo, exec_lo, s26
	v_cmp_lt_u32_e64 s26, v109, v165
	s_and_saveexec_b32 s27, s26
	s_cbranch_execz .LBB833_487
.LBB833_555:                            ;   in Loop: Header=BB833_396 Depth=2
	ds_load_b64 v[58:59], v123 offset:25600
	s_wait_dscnt 0x0
	v_lshrrev_b64 v[72:73], s48, v[58:59]
	v_xor_b32_e32 v59, 0x80000000, v59
	s_delay_alu instid0(VALU_DEP_2) | instskip(NEXT) | instid1(VALU_DEP_1)
	v_and_b32_e32 v72, s56, v72
	v_lshlrev_b32_e32 v72, 2, v72
	ds_load_b32 v72, v72
	s_wait_dscnt 0x0
	v_add_nc_u32_e32 v72, v72, v109
	global_store_b64 v72, v[58:59], s[40:41] scale_offset
	s_wait_xcnt 0x0
	s_or_b32 exec_lo, exec_lo, s27
	v_cmp_lt_u32_e64 s27, v110, v165
	s_and_saveexec_b32 s28, s27
	s_cbranch_execz .LBB833_488
.LBB833_556:                            ;   in Loop: Header=BB833_396 Depth=2
	ds_load_b64 v[58:59], v123 offset:27648
	s_wait_dscnt 0x0
	v_lshrrev_b64 v[72:73], s48, v[58:59]
	v_xor_b32_e32 v59, 0x80000000, v59
	s_delay_alu instid0(VALU_DEP_2) | instskip(NEXT) | instid1(VALU_DEP_1)
	v_and_b32_e32 v72, s56, v72
	v_lshlrev_b32_e32 v72, 2, v72
	ds_load_b32 v72, v72
	s_wait_dscnt 0x0
	v_add_nc_u32_e32 v72, v72, v110
	global_store_b64 v72, v[58:59], s[40:41] scale_offset
	s_wait_xcnt 0x0
	s_or_b32 exec_lo, exec_lo, s28
	v_cmp_lt_u32_e64 s28, v111, v165
	s_and_saveexec_b32 s29, s28
	s_cbranch_execz .LBB833_489
.LBB833_557:                            ;   in Loop: Header=BB833_396 Depth=2
	ds_load_b64 v[58:59], v123 offset:29696
	s_wait_dscnt 0x0
	v_lshrrev_b64 v[72:73], s48, v[58:59]
	v_xor_b32_e32 v59, 0x80000000, v59
	s_delay_alu instid0(VALU_DEP_2) | instskip(NEXT) | instid1(VALU_DEP_1)
	v_and_b32_e32 v72, s56, v72
	v_lshlrev_b32_e32 v72, 2, v72
	ds_load_b32 v72, v72
	s_wait_dscnt 0x0
	v_add_nc_u32_e32 v72, v72, v111
	global_store_b64 v72, v[58:59], s[40:41] scale_offset
	s_wait_xcnt 0x0
	s_or_b32 exec_lo, exec_lo, s29
	v_cmp_lt_u32_e64 s29, v112, v165
	s_and_saveexec_b32 s59, s29
	s_cbranch_execnz .LBB833_490
	s_branch .LBB833_491
.LBB833_558:                            ;   in Loop: Header=BB833_396 Depth=2
	global_load_b64 v[56:57], v[58:59], off
	s_wait_xcnt 0x0
	s_or_b32 exec_lo, exec_lo, s30
	s_delay_alu instid0(SALU_CYCLE_1)
	s_mov_b32 s59, exec_lo
	v_cmpx_lt_u32_e64 v132, v165
	s_cbranch_execz .LBB833_493
.LBB833_559:                            ;   in Loop: Header=BB833_396 Depth=2
	global_load_b64 v[54:55], v[58:59], off offset:256
	s_wait_xcnt 0x0
	s_or_b32 exec_lo, exec_lo, s59
	s_delay_alu instid0(SALU_CYCLE_1)
	s_mov_b32 s59, exec_lo
	v_cmpx_lt_u32_e64 v133, v165
	s_cbranch_execz .LBB833_494
.LBB833_560:                            ;   in Loop: Header=BB833_396 Depth=2
	global_load_b64 v[52:53], v[58:59], off offset:512
	s_wait_xcnt 0x0
	s_or_b32 exec_lo, exec_lo, s59
	s_delay_alu instid0(SALU_CYCLE_1)
	s_mov_b32 s59, exec_lo
	v_cmpx_lt_u32_e64 v134, v165
	s_cbranch_execz .LBB833_495
.LBB833_561:                            ;   in Loop: Header=BB833_396 Depth=2
	global_load_b64 v[50:51], v[58:59], off offset:768
	s_wait_xcnt 0x0
	s_or_b32 exec_lo, exec_lo, s59
	s_delay_alu instid0(SALU_CYCLE_1)
	s_mov_b32 s59, exec_lo
	v_cmpx_lt_u32_e64 v135, v165
	s_cbranch_execz .LBB833_496
.LBB833_562:                            ;   in Loop: Header=BB833_396 Depth=2
	global_load_b64 v[48:49], v[58:59], off offset:1024
	s_wait_xcnt 0x0
	s_or_b32 exec_lo, exec_lo, s59
	s_delay_alu instid0(SALU_CYCLE_1)
	s_mov_b32 s59, exec_lo
	v_cmpx_lt_u32_e64 v136, v165
	s_cbranch_execz .LBB833_497
.LBB833_563:                            ;   in Loop: Header=BB833_396 Depth=2
	global_load_b64 v[46:47], v[58:59], off offset:1280
	s_wait_xcnt 0x0
	s_or_b32 exec_lo, exec_lo, s59
	s_delay_alu instid0(SALU_CYCLE_1)
	s_mov_b32 s59, exec_lo
	v_cmpx_lt_u32_e64 v137, v165
	s_cbranch_execz .LBB833_498
.LBB833_564:                            ;   in Loop: Header=BB833_396 Depth=2
	global_load_b64 v[44:45], v[58:59], off offset:1536
	s_wait_xcnt 0x0
	s_or_b32 exec_lo, exec_lo, s59
	s_delay_alu instid0(SALU_CYCLE_1)
	s_mov_b32 s59, exec_lo
	v_cmpx_lt_u32_e64 v138, v165
	s_cbranch_execz .LBB833_499
.LBB833_565:                            ;   in Loop: Header=BB833_396 Depth=2
	global_load_b64 v[42:43], v[58:59], off offset:1792
	s_wait_xcnt 0x0
	s_or_b32 exec_lo, exec_lo, s59
	s_delay_alu instid0(SALU_CYCLE_1)
	s_mov_b32 s59, exec_lo
	v_cmpx_lt_u32_e64 v139, v165
	s_cbranch_execz .LBB833_500
.LBB833_566:                            ;   in Loop: Header=BB833_396 Depth=2
	global_load_b64 v[40:41], v[58:59], off offset:2048
	s_wait_xcnt 0x0
	s_or_b32 exec_lo, exec_lo, s59
	s_delay_alu instid0(SALU_CYCLE_1)
	s_mov_b32 s59, exec_lo
	v_cmpx_lt_u32_e64 v140, v165
	s_cbranch_execz .LBB833_501
.LBB833_567:                            ;   in Loop: Header=BB833_396 Depth=2
	global_load_b64 v[38:39], v[58:59], off offset:2304
	s_wait_xcnt 0x0
	s_or_b32 exec_lo, exec_lo, s59
	s_delay_alu instid0(SALU_CYCLE_1)
	s_mov_b32 s59, exec_lo
	v_cmpx_lt_u32_e64 v141, v165
	s_cbranch_execz .LBB833_502
.LBB833_568:                            ;   in Loop: Header=BB833_396 Depth=2
	global_load_b64 v[36:37], v[58:59], off offset:2560
	s_wait_xcnt 0x0
	s_or_b32 exec_lo, exec_lo, s59
	s_delay_alu instid0(SALU_CYCLE_1)
	s_mov_b32 s59, exec_lo
	v_cmpx_lt_u32_e64 v142, v165
	s_cbranch_execz .LBB833_503
.LBB833_569:                            ;   in Loop: Header=BB833_396 Depth=2
	global_load_b64 v[34:35], v[58:59], off offset:2816
	s_wait_xcnt 0x0
	s_or_b32 exec_lo, exec_lo, s59
	s_delay_alu instid0(SALU_CYCLE_1)
	s_mov_b32 s59, exec_lo
	v_cmpx_lt_u32_e64 v143, v165
	s_cbranch_execz .LBB833_504
.LBB833_570:                            ;   in Loop: Header=BB833_396 Depth=2
	global_load_b64 v[32:33], v[58:59], off offset:3072
	s_wait_xcnt 0x0
	s_or_b32 exec_lo, exec_lo, s59
	s_delay_alu instid0(SALU_CYCLE_1)
	s_mov_b32 s59, exec_lo
	v_cmpx_lt_u32_e64 v144, v165
	s_cbranch_execz .LBB833_505
.LBB833_571:                            ;   in Loop: Header=BB833_396 Depth=2
	global_load_b64 v[30:31], v[58:59], off offset:3328
	s_wait_xcnt 0x0
	s_or_b32 exec_lo, exec_lo, s59
	s_delay_alu instid0(SALU_CYCLE_1)
	s_mov_b32 s59, exec_lo
	v_cmpx_lt_u32_e64 v145, v165
	s_cbranch_execz .LBB833_506
.LBB833_572:                            ;   in Loop: Header=BB833_396 Depth=2
	global_load_b64 v[28:29], v[58:59], off offset:3584
	s_wait_xcnt 0x0
	s_or_b32 exec_lo, exec_lo, s59
	s_delay_alu instid0(SALU_CYCLE_1)
	s_mov_b32 s59, exec_lo
	v_cmpx_lt_u32_e64 v146, v165
	s_cbranch_execz .LBB833_507
.LBB833_573:                            ;   in Loop: Header=BB833_396 Depth=2
	global_load_b64 v[26:27], v[58:59], off offset:3840
	s_wait_xcnt 0x0
	s_or_b32 exec_lo, exec_lo, s59
	s_and_saveexec_b32 s30, vcc_lo
	s_cbranch_execz .LBB833_508
.LBB833_574:                            ;   in Loop: Header=BB833_396 Depth=2
	ds_load_b64 v[58:59], v123 offset:1024
	s_wait_dscnt 0x0
	v_lshrrev_b64 v[58:59], s48, v[58:59]
	s_delay_alu instid0(VALU_DEP_1)
	v_and_b32_e32 v164, s56, v58
	s_or_b32 exec_lo, exec_lo, s30
	s_and_saveexec_b32 s30, s15
	s_cbranch_execz .LBB833_509
.LBB833_575:                            ;   in Loop: Header=BB833_396 Depth=2
	ds_load_b64 v[58:59], v123 offset:3072
	s_wait_dscnt 0x0
	v_lshrrev_b64 v[58:59], s48, v[58:59]
	s_delay_alu instid0(VALU_DEP_1)
	v_and_b32_e32 v163, s56, v58
	s_or_b32 exec_lo, exec_lo, s30
	s_and_saveexec_b32 s30, s16
	s_cbranch_execz .LBB833_510
.LBB833_576:                            ;   in Loop: Header=BB833_396 Depth=2
	ds_load_b64 v[58:59], v123 offset:5120
	s_wait_dscnt 0x0
	v_lshrrev_b64 v[58:59], s48, v[58:59]
	s_delay_alu instid0(VALU_DEP_1)
	v_and_b32_e32 v162, s56, v58
	s_or_b32 exec_lo, exec_lo, s30
	s_and_saveexec_b32 s30, s17
	s_cbranch_execz .LBB833_511
.LBB833_577:                            ;   in Loop: Header=BB833_396 Depth=2
	ds_load_b64 v[58:59], v123 offset:7168
	s_wait_dscnt 0x0
	v_lshrrev_b64 v[58:59], s48, v[58:59]
	s_delay_alu instid0(VALU_DEP_1)
	v_and_b32_e32 v161, s56, v58
	s_or_b32 exec_lo, exec_lo, s30
	s_and_saveexec_b32 s30, s18
	s_cbranch_execz .LBB833_512
.LBB833_578:                            ;   in Loop: Header=BB833_396 Depth=2
	ds_load_b64 v[58:59], v123 offset:9216
	s_wait_dscnt 0x0
	v_lshrrev_b64 v[58:59], s48, v[58:59]
	s_delay_alu instid0(VALU_DEP_1)
	v_and_b32_e32 v160, s56, v58
	s_or_b32 exec_lo, exec_lo, s30
	s_and_saveexec_b32 s30, s19
	s_cbranch_execz .LBB833_513
.LBB833_579:                            ;   in Loop: Header=BB833_396 Depth=2
	ds_load_b64 v[58:59], v123 offset:11264
	s_wait_dscnt 0x0
	v_lshrrev_b64 v[58:59], s48, v[58:59]
	s_delay_alu instid0(VALU_DEP_1)
	v_and_b32_e32 v159, s56, v58
	s_or_b32 exec_lo, exec_lo, s30
	s_and_saveexec_b32 s30, s20
	s_cbranch_execz .LBB833_514
.LBB833_580:                            ;   in Loop: Header=BB833_396 Depth=2
	ds_load_b64 v[58:59], v123 offset:13312
	s_wait_dscnt 0x0
	v_lshrrev_b64 v[58:59], s48, v[58:59]
	s_delay_alu instid0(VALU_DEP_1)
	v_and_b32_e32 v158, s56, v58
	s_or_b32 exec_lo, exec_lo, s30
	s_and_saveexec_b32 s30, s21
	s_cbranch_execz .LBB833_515
.LBB833_581:                            ;   in Loop: Header=BB833_396 Depth=2
	ds_load_b64 v[58:59], v123 offset:15360
	s_wait_dscnt 0x0
	v_lshrrev_b64 v[58:59], s48, v[58:59]
	s_delay_alu instid0(VALU_DEP_1)
	v_and_b32_e32 v157, s56, v58
	s_or_b32 exec_lo, exec_lo, s30
	s_and_saveexec_b32 s30, s22
	s_cbranch_execz .LBB833_516
.LBB833_582:                            ;   in Loop: Header=BB833_396 Depth=2
	ds_load_b64 v[58:59], v123 offset:17408
	s_wait_dscnt 0x0
	v_lshrrev_b64 v[58:59], s48, v[58:59]
	s_delay_alu instid0(VALU_DEP_1)
	v_and_b32_e32 v156, s56, v58
	s_or_b32 exec_lo, exec_lo, s30
	s_and_saveexec_b32 s30, s23
	s_cbranch_execz .LBB833_517
.LBB833_583:                            ;   in Loop: Header=BB833_396 Depth=2
	ds_load_b64 v[58:59], v123 offset:19456
	s_wait_dscnt 0x0
	v_lshrrev_b64 v[58:59], s48, v[58:59]
	s_delay_alu instid0(VALU_DEP_1)
	v_and_b32_e32 v155, s56, v58
	s_or_b32 exec_lo, exec_lo, s30
	s_and_saveexec_b32 s30, s24
	s_cbranch_execz .LBB833_518
.LBB833_584:                            ;   in Loop: Header=BB833_396 Depth=2
	ds_load_b64 v[58:59], v123 offset:21504
	s_wait_dscnt 0x0
	v_lshrrev_b64 v[58:59], s48, v[58:59]
	s_delay_alu instid0(VALU_DEP_1)
	v_and_b32_e32 v154, s56, v58
	s_or_b32 exec_lo, exec_lo, s30
	s_and_saveexec_b32 s30, s25
	s_cbranch_execz .LBB833_519
.LBB833_585:                            ;   in Loop: Header=BB833_396 Depth=2
	ds_load_b64 v[58:59], v123 offset:23552
	s_wait_dscnt 0x0
	v_lshrrev_b64 v[58:59], s48, v[58:59]
	s_delay_alu instid0(VALU_DEP_1)
	v_and_b32_e32 v153, s56, v58
	s_or_b32 exec_lo, exec_lo, s30
	s_and_saveexec_b32 s30, s26
	s_cbranch_execz .LBB833_520
.LBB833_586:                            ;   in Loop: Header=BB833_396 Depth=2
	ds_load_b64 v[58:59], v123 offset:25600
	s_wait_dscnt 0x0
	v_lshrrev_b64 v[58:59], s48, v[58:59]
	s_delay_alu instid0(VALU_DEP_1)
	v_and_b32_e32 v152, s56, v58
	s_or_b32 exec_lo, exec_lo, s30
	s_and_saveexec_b32 s30, s27
	s_cbranch_execz .LBB833_521
.LBB833_587:                            ;   in Loop: Header=BB833_396 Depth=2
	ds_load_b64 v[58:59], v123 offset:27648
	s_wait_dscnt 0x0
	v_lshrrev_b64 v[58:59], s48, v[58:59]
	s_delay_alu instid0(VALU_DEP_1)
	v_and_b32_e32 v151, s56, v58
	s_or_b32 exec_lo, exec_lo, s30
	s_and_saveexec_b32 s30, s28
	s_cbranch_execz .LBB833_522
.LBB833_588:                            ;   in Loop: Header=BB833_396 Depth=2
	ds_load_b64 v[58:59], v123 offset:29696
	s_wait_dscnt 0x0
	v_lshrrev_b64 v[58:59], s48, v[58:59]
	s_delay_alu instid0(VALU_DEP_1)
	v_and_b32_e32 v150, s56, v58
	s_or_b32 exec_lo, exec_lo, s30
	s_and_saveexec_b32 s30, s29
	s_cbranch_execnz .LBB833_523
	s_branch .LBB833_524
.LBB833_589:                            ;   in Loop: Header=BB833_396 Depth=2
	v_lshlrev_b32_e32 v58, 2, v164
	ds_load_b32 v60, v58
	ds_load_b64 v[58:59], v123 offset:1024
	s_wait_dscnt 0x1
	v_add_nc_u32_e32 v60, v60, v2
	s_wait_dscnt 0x0
	global_store_b64 v60, v[58:59], s[46:47] scale_offset
	s_wait_xcnt 0x0
	s_or_b32 exec_lo, exec_lo, s30
	s_and_saveexec_b32 s30, s15
	s_cbranch_execz .LBB833_526
.LBB833_590:                            ;   in Loop: Header=BB833_396 Depth=2
	v_lshlrev_b32_e32 v58, 2, v163
	ds_load_b32 v60, v58
	ds_load_b64 v[58:59], v123 offset:3072
	s_wait_dscnt 0x1
	v_add_nc_u32_e32 v60, v60, v98
	s_wait_dscnt 0x0
	global_store_b64 v60, v[58:59], s[46:47] scale_offset
	s_wait_xcnt 0x0
	s_or_b32 exec_lo, exec_lo, s30
	s_and_saveexec_b32 s15, s16
	s_cbranch_execz .LBB833_527
.LBB833_591:                            ;   in Loop: Header=BB833_396 Depth=2
	v_lshlrev_b32_e32 v58, 2, v162
	ds_load_b32 v60, v58
	ds_load_b64 v[58:59], v123 offset:5120
	s_wait_dscnt 0x1
	v_add_nc_u32_e32 v60, v60, v99
	s_wait_dscnt 0x0
	global_store_b64 v60, v[58:59], s[46:47] scale_offset
	s_wait_xcnt 0x0
	s_or_b32 exec_lo, exec_lo, s15
	s_and_saveexec_b32 s15, s17
	s_cbranch_execz .LBB833_528
.LBB833_592:                            ;   in Loop: Header=BB833_396 Depth=2
	v_lshlrev_b32_e32 v58, 2, v161
	ds_load_b32 v60, v58
	ds_load_b64 v[58:59], v123 offset:7168
	s_wait_dscnt 0x1
	v_add_nc_u32_e32 v60, v60, v100
	s_wait_dscnt 0x0
	global_store_b64 v60, v[58:59], s[46:47] scale_offset
	s_wait_xcnt 0x0
	s_or_b32 exec_lo, exec_lo, s15
	s_and_saveexec_b32 s15, s18
	s_cbranch_execz .LBB833_529
.LBB833_593:                            ;   in Loop: Header=BB833_396 Depth=2
	v_lshlrev_b32_e32 v58, 2, v160
	ds_load_b32 v60, v58
	ds_load_b64 v[58:59], v123 offset:9216
	s_wait_dscnt 0x1
	v_add_nc_u32_e32 v60, v60, v101
	s_wait_dscnt 0x0
	global_store_b64 v60, v[58:59], s[46:47] scale_offset
	s_wait_xcnt 0x0
	s_or_b32 exec_lo, exec_lo, s15
	s_and_saveexec_b32 s15, s19
	s_cbranch_execz .LBB833_530
.LBB833_594:                            ;   in Loop: Header=BB833_396 Depth=2
	v_lshlrev_b32_e32 v58, 2, v159
	ds_load_b32 v60, v58
	ds_load_b64 v[58:59], v123 offset:11264
	s_wait_dscnt 0x1
	v_add_nc_u32_e32 v60, v60, v102
	s_wait_dscnt 0x0
	global_store_b64 v60, v[58:59], s[46:47] scale_offset
	s_wait_xcnt 0x0
	s_or_b32 exec_lo, exec_lo, s15
	s_and_saveexec_b32 s15, s20
	s_cbranch_execz .LBB833_531
.LBB833_595:                            ;   in Loop: Header=BB833_396 Depth=2
	v_lshlrev_b32_e32 v58, 2, v158
	ds_load_b32 v60, v58
	ds_load_b64 v[58:59], v123 offset:13312
	s_wait_dscnt 0x1
	v_add_nc_u32_e32 v60, v60, v103
	s_wait_dscnt 0x0
	global_store_b64 v60, v[58:59], s[46:47] scale_offset
	s_wait_xcnt 0x0
	s_or_b32 exec_lo, exec_lo, s15
	s_and_saveexec_b32 s15, s21
	s_cbranch_execz .LBB833_532
.LBB833_596:                            ;   in Loop: Header=BB833_396 Depth=2
	v_lshlrev_b32_e32 v58, 2, v157
	ds_load_b32 v60, v58
	ds_load_b64 v[58:59], v123 offset:15360
	s_wait_dscnt 0x1
	v_add_nc_u32_e32 v60, v60, v104
	s_wait_dscnt 0x0
	global_store_b64 v60, v[58:59], s[46:47] scale_offset
	s_wait_xcnt 0x0
	s_or_b32 exec_lo, exec_lo, s15
	s_and_saveexec_b32 s15, s22
	s_cbranch_execz .LBB833_533
.LBB833_597:                            ;   in Loop: Header=BB833_396 Depth=2
	v_lshlrev_b32_e32 v58, 2, v156
	ds_load_b32 v60, v58
	ds_load_b64 v[58:59], v123 offset:17408
	s_wait_dscnt 0x1
	v_add_nc_u32_e32 v60, v60, v105
	s_wait_dscnt 0x0
	global_store_b64 v60, v[58:59], s[46:47] scale_offset
	s_wait_xcnt 0x0
	s_or_b32 exec_lo, exec_lo, s15
	s_and_saveexec_b32 s15, s23
	s_cbranch_execz .LBB833_534
.LBB833_598:                            ;   in Loop: Header=BB833_396 Depth=2
	v_lshlrev_b32_e32 v58, 2, v155
	ds_load_b32 v60, v58
	ds_load_b64 v[58:59], v123 offset:19456
	s_wait_dscnt 0x1
	v_add_nc_u32_e32 v60, v60, v106
	s_wait_dscnt 0x0
	global_store_b64 v60, v[58:59], s[46:47] scale_offset
	s_wait_xcnt 0x0
	s_or_b32 exec_lo, exec_lo, s15
	s_and_saveexec_b32 s15, s24
	s_cbranch_execz .LBB833_535
.LBB833_599:                            ;   in Loop: Header=BB833_396 Depth=2
	v_lshlrev_b32_e32 v58, 2, v154
	ds_load_b32 v60, v58
	ds_load_b64 v[58:59], v123 offset:21504
	s_wait_dscnt 0x1
	v_add_nc_u32_e32 v60, v60, v107
	s_wait_dscnt 0x0
	global_store_b64 v60, v[58:59], s[46:47] scale_offset
	s_wait_xcnt 0x0
	s_or_b32 exec_lo, exec_lo, s15
	s_and_saveexec_b32 s15, s25
	s_cbranch_execz .LBB833_536
.LBB833_600:                            ;   in Loop: Header=BB833_396 Depth=2
	v_lshlrev_b32_e32 v58, 2, v153
	ds_load_b32 v60, v58
	ds_load_b64 v[58:59], v123 offset:23552
	s_wait_dscnt 0x1
	v_add_nc_u32_e32 v60, v60, v108
	s_wait_dscnt 0x0
	global_store_b64 v60, v[58:59], s[46:47] scale_offset
	s_wait_xcnt 0x0
	s_or_b32 exec_lo, exec_lo, s15
	s_and_saveexec_b32 s15, s26
	s_cbranch_execz .LBB833_537
.LBB833_601:                            ;   in Loop: Header=BB833_396 Depth=2
	v_lshlrev_b32_e32 v58, 2, v152
	ds_load_b32 v60, v58
	ds_load_b64 v[58:59], v123 offset:25600
	s_wait_dscnt 0x1
	v_add_nc_u32_e32 v60, v60, v109
	s_wait_dscnt 0x0
	global_store_b64 v60, v[58:59], s[46:47] scale_offset
	s_wait_xcnt 0x0
	s_or_b32 exec_lo, exec_lo, s15
	s_and_saveexec_b32 s15, s27
	s_cbranch_execz .LBB833_538
.LBB833_602:                            ;   in Loop: Header=BB833_396 Depth=2
	v_lshlrev_b32_e32 v58, 2, v151
	ds_load_b32 v60, v58
	ds_load_b64 v[58:59], v123 offset:27648
	s_wait_dscnt 0x1
	v_add_nc_u32_e32 v60, v60, v110
	s_wait_dscnt 0x0
	global_store_b64 v60, v[58:59], s[46:47] scale_offset
	s_wait_xcnt 0x0
	s_or_b32 exec_lo, exec_lo, s15
	s_and_saveexec_b32 s15, s28
	s_cbranch_execz .LBB833_539
.LBB833_603:                            ;   in Loop: Header=BB833_396 Depth=2
	v_lshlrev_b32_e32 v58, 2, v150
	ds_load_b32 v60, v58
	ds_load_b64 v[58:59], v123 offset:29696
	s_wait_dscnt 0x1
	v_add_nc_u32_e32 v60, v60, v111
	s_wait_dscnt 0x0
	global_store_b64 v60, v[58:59], s[46:47] scale_offset
	s_wait_xcnt 0x0
	s_or_b32 exec_lo, exec_lo, s15
	s_and_saveexec_b32 s15, s29
	s_cbranch_execnz .LBB833_540
	s_branch .LBB833_541
.LBB833_604:                            ;   in Loop: Header=BB833_20 Depth=1
	s_wait_dscnt 0x0
	s_barrier_signal -1
	s_barrier_wait -1
.LBB833_605:                            ;   in Loop: Header=BB833_20 Depth=1
	s_mov_b32 s7, 0
.LBB833_606:                            ;   in Loop: Header=BB833_20 Depth=1
	s_delay_alu instid0(SALU_CYCLE_1)
	s_and_not1_b32 vcc_lo, exec_lo, s7
	s_cbranch_vccnz .LBB833_19
; %bb.607:                              ;   in Loop: Header=BB833_20 Depth=1
	s_lshl_b32 s7, -1, s55
	s_and_b32 vcc_lo, exec_lo, s53
	s_not_b32 s55, s7
	s_mov_b32 s7, -1
	s_cbranch_vccz .LBB833_899
; %bb.608:                              ;   in Loop: Header=BB833_20 Depth=1
	s_mov_b32 s7, s54
	s_mov_b32 s30, s52
	s_barrier_signal -1
	s_barrier_wait -1
                                        ; implicit-def: $vgpr22_vgpr23
                                        ; implicit-def: $vgpr24_vgpr25
                                        ; implicit-def: $vgpr26_vgpr27
                                        ; implicit-def: $vgpr28_vgpr29
                                        ; implicit-def: $vgpr30_vgpr31
                                        ; implicit-def: $vgpr32_vgpr33
                                        ; implicit-def: $vgpr34_vgpr35
                                        ; implicit-def: $vgpr36_vgpr37
                                        ; implicit-def: $vgpr38_vgpr39
                                        ; implicit-def: $vgpr40_vgpr41
                                        ; implicit-def: $vgpr42_vgpr43
                                        ; implicit-def: $vgpr44_vgpr45
                                        ; implicit-def: $vgpr46_vgpr47
                                        ; implicit-def: $vgpr48_vgpr49
                                        ; implicit-def: $vgpr50_vgpr51
                                        ; implicit-def: $vgpr52_vgpr53
	s_branch .LBB833_610
.LBB833_609:                            ;   in Loop: Header=BB833_610 Depth=2
	s_or_b32 exec_lo, exec_lo, s8
	s_addk_co_i32 s7, 0xf000
	s_cmp_ge_u32 s10, s51
	s_mov_b32 s30, s10
	s_cbranch_scc1 .LBB833_678
.LBB833_610:                            ;   Parent Loop BB833_20 Depth=1
                                        ; =>  This Inner Loop Header: Depth=2
	s_add_co_i32 s10, s30, 0x1000
	s_mov_b32 s8, -1
	s_cmp_gt_u32 s10, s51
                                        ; implicit-def: $vgpr54_vgpr55
                                        ; implicit-def: $vgpr56_vgpr57
                                        ; implicit-def: $vgpr58_vgpr59
                                        ; implicit-def: $vgpr60_vgpr61
                                        ; implicit-def: $vgpr62_vgpr63
                                        ; implicit-def: $vgpr64_vgpr65
                                        ; implicit-def: $vgpr66_vgpr67
                                        ; implicit-def: $vgpr68_vgpr69
                                        ; implicit-def: $vgpr70_vgpr71
                                        ; implicit-def: $vgpr72_vgpr73
                                        ; implicit-def: $vgpr74_vgpr75
                                        ; implicit-def: $vgpr76_vgpr77
                                        ; implicit-def: $vgpr78_vgpr79
                                        ; implicit-def: $vgpr80_vgpr81
                                        ; implicit-def: $vgpr82_vgpr83
                                        ; implicit-def: $vgpr84_vgpr85
	s_cbranch_scc1 .LBB833_612
; %bb.611:                              ;   in Loop: Header=BB833_610 Depth=2
	v_lshl_add_u64 v[84:85], s[30:31], 3, v[16:17]
	s_mov_b32 s8, 0
	s_clause 0xf
	global_load_b64 v[54:55], v[84:85], off
	global_load_b64 v[56:57], v[84:85], off offset:2048
	global_load_b64 v[58:59], v[84:85], off offset:4096
	;; [unrolled: 1-line block ×15, first 2 shown]
.LBB833_612:                            ;   in Loop: Header=BB833_610 Depth=2
	s_and_not1_b32 vcc_lo, exec_lo, s8
	s_movk_i32 s8, 0x1000
	s_cbranch_vccnz .LBB833_631
; %bb.613:                              ;   in Loop: Header=BB833_610 Depth=2
	s_lshl_b64 s[8:9], s[30:31], 3
	s_mov_b32 s11, exec_lo
	s_add_nc_u64 s[8:9], s[36:37], s[8:9]
	s_wait_xcnt 0x0
	v_cmpx_gt_u32_e64 s7, v2
	s_cbranch_execnz .LBB833_663
; %bb.614:                              ;   in Loop: Header=BB833_610 Depth=2
	s_or_b32 exec_lo, exec_lo, s11
	s_delay_alu instid0(SALU_CYCLE_1)
	s_mov_b32 s11, exec_lo
	v_cmpx_gt_u32_e64 s7, v98
	s_cbranch_execnz .LBB833_664
.LBB833_615:                            ;   in Loop: Header=BB833_610 Depth=2
	s_or_b32 exec_lo, exec_lo, s11
	s_delay_alu instid0(SALU_CYCLE_1)
	s_mov_b32 s11, exec_lo
	v_cmpx_gt_u32_e64 s7, v99
	s_cbranch_execnz .LBB833_665
.LBB833_616:                            ;   in Loop: Header=BB833_610 Depth=2
	s_or_b32 exec_lo, exec_lo, s11
	s_delay_alu instid0(SALU_CYCLE_1)
	s_mov_b32 s11, exec_lo
	v_cmpx_gt_u32_e64 s7, v100
	s_cbranch_execnz .LBB833_666
.LBB833_617:                            ;   in Loop: Header=BB833_610 Depth=2
	s_or_b32 exec_lo, exec_lo, s11
	s_delay_alu instid0(SALU_CYCLE_1)
	s_mov_b32 s11, exec_lo
	v_cmpx_gt_u32_e64 s7, v101
	s_cbranch_execnz .LBB833_667
.LBB833_618:                            ;   in Loop: Header=BB833_610 Depth=2
	s_or_b32 exec_lo, exec_lo, s11
	s_delay_alu instid0(SALU_CYCLE_1)
	s_mov_b32 s11, exec_lo
	v_cmpx_gt_u32_e64 s7, v102
	s_cbranch_execnz .LBB833_668
.LBB833_619:                            ;   in Loop: Header=BB833_610 Depth=2
	s_or_b32 exec_lo, exec_lo, s11
	s_delay_alu instid0(SALU_CYCLE_1)
	s_mov_b32 s11, exec_lo
	v_cmpx_gt_u32_e64 s7, v103
	s_cbranch_execnz .LBB833_669
.LBB833_620:                            ;   in Loop: Header=BB833_610 Depth=2
	s_or_b32 exec_lo, exec_lo, s11
	s_delay_alu instid0(SALU_CYCLE_1)
	s_mov_b32 s11, exec_lo
	v_cmpx_gt_u32_e64 s7, v104
	s_cbranch_execnz .LBB833_670
.LBB833_621:                            ;   in Loop: Header=BB833_610 Depth=2
	s_or_b32 exec_lo, exec_lo, s11
	s_delay_alu instid0(SALU_CYCLE_1)
	s_mov_b32 s11, exec_lo
	v_cmpx_gt_u32_e64 s7, v105
	s_cbranch_execnz .LBB833_671
.LBB833_622:                            ;   in Loop: Header=BB833_610 Depth=2
	s_or_b32 exec_lo, exec_lo, s11
	s_delay_alu instid0(SALU_CYCLE_1)
	s_mov_b32 s11, exec_lo
	v_cmpx_gt_u32_e64 s7, v106
	s_cbranch_execnz .LBB833_672
.LBB833_623:                            ;   in Loop: Header=BB833_610 Depth=2
	s_or_b32 exec_lo, exec_lo, s11
	s_delay_alu instid0(SALU_CYCLE_1)
	s_mov_b32 s11, exec_lo
	v_cmpx_gt_u32_e64 s7, v107
	s_cbranch_execnz .LBB833_673
.LBB833_624:                            ;   in Loop: Header=BB833_610 Depth=2
	s_or_b32 exec_lo, exec_lo, s11
	s_delay_alu instid0(SALU_CYCLE_1)
	s_mov_b32 s11, exec_lo
	v_cmpx_gt_u32_e64 s7, v108
	s_cbranch_execnz .LBB833_674
.LBB833_625:                            ;   in Loop: Header=BB833_610 Depth=2
	s_or_b32 exec_lo, exec_lo, s11
	s_delay_alu instid0(SALU_CYCLE_1)
	s_mov_b32 s11, exec_lo
	v_cmpx_gt_u32_e64 s7, v109
	s_cbranch_execnz .LBB833_675
.LBB833_626:                            ;   in Loop: Header=BB833_610 Depth=2
	s_or_b32 exec_lo, exec_lo, s11
	s_delay_alu instid0(SALU_CYCLE_1)
	s_mov_b32 s11, exec_lo
	v_cmpx_gt_u32_e64 s7, v110
	s_cbranch_execnz .LBB833_676
.LBB833_627:                            ;   in Loop: Header=BB833_610 Depth=2
	s_or_b32 exec_lo, exec_lo, s11
	s_delay_alu instid0(SALU_CYCLE_1)
	s_mov_b32 s11, exec_lo
	v_cmpx_gt_u32_e64 s7, v111
	s_cbranch_execnz .LBB833_677
.LBB833_628:                            ;   in Loop: Header=BB833_610 Depth=2
	s_or_b32 exec_lo, exec_lo, s11
	s_delay_alu instid0(SALU_CYCLE_1)
	s_mov_b32 s11, exec_lo
	v_cmpx_gt_u32_e64 s7, v112
	s_cbranch_execz .LBB833_630
.LBB833_629:                            ;   in Loop: Header=BB833_610 Depth=2
	global_load_b64 v[22:23], v2, s[8:9] offset:30720 scale_offset
.LBB833_630:                            ;   in Loop: Header=BB833_610 Depth=2
	s_wait_xcnt 0x0
	s_or_b32 exec_lo, exec_lo, s11
	s_wait_loadcnt 0x0
	v_mov_b64_e32 v[54:55], v[52:53]
	v_mov_b64_e32 v[56:57], v[50:51]
	v_mov_b64_e32 v[58:59], v[48:49]
	v_mov_b64_e32 v[60:61], v[46:47]
	v_mov_b64_e32 v[62:63], v[44:45]
	v_mov_b64_e32 v[64:65], v[42:43]
	v_mov_b64_e32 v[66:67], v[40:41]
	v_mov_b64_e32 v[68:69], v[38:39]
	v_mov_b64_e32 v[70:71], v[36:37]
	v_mov_b64_e32 v[72:73], v[34:35]
	v_mov_b64_e32 v[74:75], v[32:33]
	v_mov_b64_e32 v[76:77], v[30:31]
	v_mov_b64_e32 v[78:79], v[28:29]
	v_mov_b64_e32 v[80:81], v[26:27]
	v_mov_b64_e32 v[82:83], v[24:25]
	v_mov_b64_e32 v[84:85], v[22:23]
	s_mov_b32 s8, s7
.LBB833_631:                            ;   in Loop: Header=BB833_610 Depth=2
	s_wait_loadcnt 0x0
	s_delay_alu instid0(VALU_DEP_1) | instskip(NEXT) | instid1(VALU_DEP_3)
	v_mov_b64_e32 v[22:23], v[84:85]
	v_mov_b64_e32 v[24:25], v[82:83]
	;; [unrolled: 1-line block ×16, first 2 shown]
	s_mov_b32 s9, exec_lo
	s_wait_xcnt 0x0
	v_cmpx_gt_u32_e64 s8, v2
	s_cbranch_execnz .LBB833_647
; %bb.632:                              ;   in Loop: Header=BB833_610 Depth=2
	s_or_b32 exec_lo, exec_lo, s9
	s_delay_alu instid0(SALU_CYCLE_1)
	s_mov_b32 s9, exec_lo
	v_cmpx_gt_u32_e64 s8, v98
	s_cbranch_execnz .LBB833_648
.LBB833_633:                            ;   in Loop: Header=BB833_610 Depth=2
	s_or_b32 exec_lo, exec_lo, s9
	s_delay_alu instid0(SALU_CYCLE_1)
	s_mov_b32 s9, exec_lo
	v_cmpx_gt_u32_e64 s8, v99
	s_cbranch_execnz .LBB833_649
.LBB833_634:                            ;   in Loop: Header=BB833_610 Depth=2
	s_or_b32 exec_lo, exec_lo, s9
	s_delay_alu instid0(SALU_CYCLE_1)
	s_mov_b32 s9, exec_lo
	v_cmpx_gt_u32_e64 s8, v100
	s_cbranch_execnz .LBB833_650
.LBB833_635:                            ;   in Loop: Header=BB833_610 Depth=2
	s_or_b32 exec_lo, exec_lo, s9
	s_delay_alu instid0(SALU_CYCLE_1)
	s_mov_b32 s9, exec_lo
	v_cmpx_gt_u32_e64 s8, v101
	s_cbranch_execnz .LBB833_651
.LBB833_636:                            ;   in Loop: Header=BB833_610 Depth=2
	s_or_b32 exec_lo, exec_lo, s9
	s_delay_alu instid0(SALU_CYCLE_1)
	s_mov_b32 s9, exec_lo
	v_cmpx_gt_u32_e64 s8, v102
	s_cbranch_execnz .LBB833_652
.LBB833_637:                            ;   in Loop: Header=BB833_610 Depth=2
	s_or_b32 exec_lo, exec_lo, s9
	s_delay_alu instid0(SALU_CYCLE_1)
	s_mov_b32 s9, exec_lo
	v_cmpx_gt_u32_e64 s8, v103
	s_cbranch_execnz .LBB833_653
.LBB833_638:                            ;   in Loop: Header=BB833_610 Depth=2
	s_or_b32 exec_lo, exec_lo, s9
	s_delay_alu instid0(SALU_CYCLE_1)
	s_mov_b32 s9, exec_lo
	v_cmpx_gt_u32_e64 s8, v104
	s_cbranch_execnz .LBB833_654
.LBB833_639:                            ;   in Loop: Header=BB833_610 Depth=2
	s_or_b32 exec_lo, exec_lo, s9
	s_delay_alu instid0(SALU_CYCLE_1)
	s_mov_b32 s9, exec_lo
	v_cmpx_gt_u32_e64 s8, v105
	s_cbranch_execnz .LBB833_655
.LBB833_640:                            ;   in Loop: Header=BB833_610 Depth=2
	s_or_b32 exec_lo, exec_lo, s9
	s_delay_alu instid0(SALU_CYCLE_1)
	s_mov_b32 s9, exec_lo
	v_cmpx_gt_u32_e64 s8, v106
	s_cbranch_execnz .LBB833_656
.LBB833_641:                            ;   in Loop: Header=BB833_610 Depth=2
	s_or_b32 exec_lo, exec_lo, s9
	s_delay_alu instid0(SALU_CYCLE_1)
	s_mov_b32 s9, exec_lo
	v_cmpx_gt_u32_e64 s8, v107
	s_cbranch_execnz .LBB833_657
.LBB833_642:                            ;   in Loop: Header=BB833_610 Depth=2
	s_or_b32 exec_lo, exec_lo, s9
	s_delay_alu instid0(SALU_CYCLE_1)
	s_mov_b32 s9, exec_lo
	v_cmpx_gt_u32_e64 s8, v108
	s_cbranch_execnz .LBB833_658
.LBB833_643:                            ;   in Loop: Header=BB833_610 Depth=2
	s_or_b32 exec_lo, exec_lo, s9
	s_delay_alu instid0(SALU_CYCLE_1)
	s_mov_b32 s9, exec_lo
	v_cmpx_gt_u32_e64 s8, v109
	s_cbranch_execnz .LBB833_659
.LBB833_644:                            ;   in Loop: Header=BB833_610 Depth=2
	s_or_b32 exec_lo, exec_lo, s9
	s_delay_alu instid0(SALU_CYCLE_1)
	s_mov_b32 s9, exec_lo
	v_cmpx_gt_u32_e64 s8, v110
	s_cbranch_execnz .LBB833_660
.LBB833_645:                            ;   in Loop: Header=BB833_610 Depth=2
	s_or_b32 exec_lo, exec_lo, s9
	s_delay_alu instid0(SALU_CYCLE_1)
	s_mov_b32 s9, exec_lo
	v_cmpx_gt_u32_e64 s8, v111
	s_cbranch_execnz .LBB833_661
.LBB833_646:                            ;   in Loop: Header=BB833_610 Depth=2
	s_or_b32 exec_lo, exec_lo, s9
	v_cmp_gt_u32_e32 vcc_lo, s8, v112
	s_and_saveexec_b32 s8, vcc_lo
	s_cbranch_execz .LBB833_609
	s_branch .LBB833_662
.LBB833_647:                            ;   in Loop: Header=BB833_610 Depth=2
	s_delay_alu instid0(VALU_DEP_2) | instskip(NEXT) | instid1(VALU_DEP_3)
	v_xor_b32_e32 v55, 0x80000000, v53
	v_mov_b32_e32 v54, v52
	s_delay_alu instid0(VALU_DEP_1) | instskip(NEXT) | instid1(VALU_DEP_1)
	v_lshrrev_b64 v[54:55], s43, v[54:55]
	v_and_b32_e32 v54, s55, v54
	s_delay_alu instid0(VALU_DEP_1) | instskip(SKIP_2) | instid1(SALU_CYCLE_1)
	v_lshl_or_b32 v54, v54, 4, v113
	ds_add_u32 v54, v125
	s_or_b32 exec_lo, exec_lo, s9
	s_mov_b32 s9, exec_lo
	v_cmpx_gt_u32_e64 s8, v98
	s_cbranch_execz .LBB833_633
.LBB833_648:                            ;   in Loop: Header=BB833_610 Depth=2
	v_xor_b32_e32 v55, 0x80000000, v51
	v_mov_b32_e32 v54, v50
	s_delay_alu instid0(VALU_DEP_1) | instskip(NEXT) | instid1(VALU_DEP_1)
	v_lshrrev_b64 v[54:55], s43, v[54:55]
	v_and_b32_e32 v54, s55, v54
	s_delay_alu instid0(VALU_DEP_1) | instskip(SKIP_2) | instid1(SALU_CYCLE_1)
	v_lshl_or_b32 v54, v54, 4, v113
	ds_add_u32 v54, v125
	s_or_b32 exec_lo, exec_lo, s9
	s_mov_b32 s9, exec_lo
	v_cmpx_gt_u32_e64 s8, v99
	s_cbranch_execz .LBB833_634
.LBB833_649:                            ;   in Loop: Header=BB833_610 Depth=2
	v_xor_b32_e32 v55, 0x80000000, v49
	v_mov_b32_e32 v54, v48
	s_delay_alu instid0(VALU_DEP_1) | instskip(NEXT) | instid1(VALU_DEP_1)
	v_lshrrev_b64 v[54:55], s43, v[54:55]
	v_and_b32_e32 v54, s55, v54
	s_delay_alu instid0(VALU_DEP_1) | instskip(SKIP_2) | instid1(SALU_CYCLE_1)
	v_lshl_or_b32 v54, v54, 4, v113
	ds_add_u32 v54, v125
	s_or_b32 exec_lo, exec_lo, s9
	s_mov_b32 s9, exec_lo
	v_cmpx_gt_u32_e64 s8, v100
	s_cbranch_execz .LBB833_635
.LBB833_650:                            ;   in Loop: Header=BB833_610 Depth=2
	v_xor_b32_e32 v55, 0x80000000, v47
	v_mov_b32_e32 v54, v46
	s_delay_alu instid0(VALU_DEP_1) | instskip(NEXT) | instid1(VALU_DEP_1)
	v_lshrrev_b64 v[54:55], s43, v[54:55]
	v_and_b32_e32 v54, s55, v54
	s_delay_alu instid0(VALU_DEP_1) | instskip(SKIP_2) | instid1(SALU_CYCLE_1)
	v_lshl_or_b32 v54, v54, 4, v113
	ds_add_u32 v54, v125
	s_or_b32 exec_lo, exec_lo, s9
	s_mov_b32 s9, exec_lo
	v_cmpx_gt_u32_e64 s8, v101
	s_cbranch_execz .LBB833_636
.LBB833_651:                            ;   in Loop: Header=BB833_610 Depth=2
	v_xor_b32_e32 v55, 0x80000000, v45
	v_mov_b32_e32 v54, v44
	s_delay_alu instid0(VALU_DEP_1) | instskip(NEXT) | instid1(VALU_DEP_1)
	v_lshrrev_b64 v[54:55], s43, v[54:55]
	v_and_b32_e32 v54, s55, v54
	s_delay_alu instid0(VALU_DEP_1) | instskip(SKIP_2) | instid1(SALU_CYCLE_1)
	v_lshl_or_b32 v54, v54, 4, v113
	ds_add_u32 v54, v125
	s_or_b32 exec_lo, exec_lo, s9
	s_mov_b32 s9, exec_lo
	v_cmpx_gt_u32_e64 s8, v102
	s_cbranch_execz .LBB833_637
.LBB833_652:                            ;   in Loop: Header=BB833_610 Depth=2
	v_xor_b32_e32 v55, 0x80000000, v43
	v_mov_b32_e32 v54, v42
	s_delay_alu instid0(VALU_DEP_1) | instskip(NEXT) | instid1(VALU_DEP_1)
	v_lshrrev_b64 v[54:55], s43, v[54:55]
	v_and_b32_e32 v54, s55, v54
	s_delay_alu instid0(VALU_DEP_1) | instskip(SKIP_2) | instid1(SALU_CYCLE_1)
	v_lshl_or_b32 v54, v54, 4, v113
	ds_add_u32 v54, v125
	s_or_b32 exec_lo, exec_lo, s9
	s_mov_b32 s9, exec_lo
	v_cmpx_gt_u32_e64 s8, v103
	s_cbranch_execz .LBB833_638
.LBB833_653:                            ;   in Loop: Header=BB833_610 Depth=2
	v_xor_b32_e32 v55, 0x80000000, v41
	v_mov_b32_e32 v54, v40
	s_delay_alu instid0(VALU_DEP_1) | instskip(NEXT) | instid1(VALU_DEP_1)
	v_lshrrev_b64 v[54:55], s43, v[54:55]
	v_and_b32_e32 v54, s55, v54
	s_delay_alu instid0(VALU_DEP_1) | instskip(SKIP_2) | instid1(SALU_CYCLE_1)
	v_lshl_or_b32 v54, v54, 4, v113
	ds_add_u32 v54, v125
	s_or_b32 exec_lo, exec_lo, s9
	s_mov_b32 s9, exec_lo
	v_cmpx_gt_u32_e64 s8, v104
	s_cbranch_execz .LBB833_639
.LBB833_654:                            ;   in Loop: Header=BB833_610 Depth=2
	v_xor_b32_e32 v55, 0x80000000, v39
	v_mov_b32_e32 v54, v38
	s_delay_alu instid0(VALU_DEP_1) | instskip(NEXT) | instid1(VALU_DEP_1)
	v_lshrrev_b64 v[54:55], s43, v[54:55]
	v_and_b32_e32 v54, s55, v54
	s_delay_alu instid0(VALU_DEP_1) | instskip(SKIP_2) | instid1(SALU_CYCLE_1)
	v_lshl_or_b32 v54, v54, 4, v113
	ds_add_u32 v54, v125
	s_or_b32 exec_lo, exec_lo, s9
	s_mov_b32 s9, exec_lo
	v_cmpx_gt_u32_e64 s8, v105
	s_cbranch_execz .LBB833_640
.LBB833_655:                            ;   in Loop: Header=BB833_610 Depth=2
	v_xor_b32_e32 v55, 0x80000000, v37
	v_mov_b32_e32 v54, v36
	s_delay_alu instid0(VALU_DEP_1) | instskip(NEXT) | instid1(VALU_DEP_1)
	v_lshrrev_b64 v[54:55], s43, v[54:55]
	v_and_b32_e32 v54, s55, v54
	s_delay_alu instid0(VALU_DEP_1) | instskip(SKIP_2) | instid1(SALU_CYCLE_1)
	v_lshl_or_b32 v54, v54, 4, v113
	ds_add_u32 v54, v125
	s_or_b32 exec_lo, exec_lo, s9
	s_mov_b32 s9, exec_lo
	v_cmpx_gt_u32_e64 s8, v106
	s_cbranch_execz .LBB833_641
.LBB833_656:                            ;   in Loop: Header=BB833_610 Depth=2
	v_xor_b32_e32 v55, 0x80000000, v35
	v_mov_b32_e32 v54, v34
	s_delay_alu instid0(VALU_DEP_1) | instskip(NEXT) | instid1(VALU_DEP_1)
	v_lshrrev_b64 v[54:55], s43, v[54:55]
	v_and_b32_e32 v54, s55, v54
	s_delay_alu instid0(VALU_DEP_1) | instskip(SKIP_2) | instid1(SALU_CYCLE_1)
	v_lshl_or_b32 v54, v54, 4, v113
	ds_add_u32 v54, v125
	s_or_b32 exec_lo, exec_lo, s9
	s_mov_b32 s9, exec_lo
	v_cmpx_gt_u32_e64 s8, v107
	s_cbranch_execz .LBB833_642
.LBB833_657:                            ;   in Loop: Header=BB833_610 Depth=2
	v_xor_b32_e32 v55, 0x80000000, v33
	v_mov_b32_e32 v54, v32
	s_delay_alu instid0(VALU_DEP_1) | instskip(NEXT) | instid1(VALU_DEP_1)
	v_lshrrev_b64 v[54:55], s43, v[54:55]
	v_and_b32_e32 v54, s55, v54
	s_delay_alu instid0(VALU_DEP_1) | instskip(SKIP_2) | instid1(SALU_CYCLE_1)
	v_lshl_or_b32 v54, v54, 4, v113
	ds_add_u32 v54, v125
	s_or_b32 exec_lo, exec_lo, s9
	s_mov_b32 s9, exec_lo
	v_cmpx_gt_u32_e64 s8, v108
	s_cbranch_execz .LBB833_643
.LBB833_658:                            ;   in Loop: Header=BB833_610 Depth=2
	v_xor_b32_e32 v55, 0x80000000, v31
	v_mov_b32_e32 v54, v30
	s_delay_alu instid0(VALU_DEP_1) | instskip(NEXT) | instid1(VALU_DEP_1)
	v_lshrrev_b64 v[54:55], s43, v[54:55]
	v_and_b32_e32 v54, s55, v54
	s_delay_alu instid0(VALU_DEP_1) | instskip(SKIP_2) | instid1(SALU_CYCLE_1)
	v_lshl_or_b32 v54, v54, 4, v113
	ds_add_u32 v54, v125
	s_or_b32 exec_lo, exec_lo, s9
	s_mov_b32 s9, exec_lo
	v_cmpx_gt_u32_e64 s8, v109
	s_cbranch_execz .LBB833_644
.LBB833_659:                            ;   in Loop: Header=BB833_610 Depth=2
	v_xor_b32_e32 v55, 0x80000000, v29
	v_mov_b32_e32 v54, v28
	s_delay_alu instid0(VALU_DEP_1) | instskip(NEXT) | instid1(VALU_DEP_1)
	v_lshrrev_b64 v[54:55], s43, v[54:55]
	v_and_b32_e32 v54, s55, v54
	s_delay_alu instid0(VALU_DEP_1) | instskip(SKIP_2) | instid1(SALU_CYCLE_1)
	v_lshl_or_b32 v54, v54, 4, v113
	ds_add_u32 v54, v125
	s_or_b32 exec_lo, exec_lo, s9
	s_mov_b32 s9, exec_lo
	v_cmpx_gt_u32_e64 s8, v110
	s_cbranch_execz .LBB833_645
.LBB833_660:                            ;   in Loop: Header=BB833_610 Depth=2
	v_xor_b32_e32 v55, 0x80000000, v27
	v_mov_b32_e32 v54, v26
	s_delay_alu instid0(VALU_DEP_1) | instskip(NEXT) | instid1(VALU_DEP_1)
	v_lshrrev_b64 v[54:55], s43, v[54:55]
	v_and_b32_e32 v54, s55, v54
	s_delay_alu instid0(VALU_DEP_1) | instskip(SKIP_2) | instid1(SALU_CYCLE_1)
	v_lshl_or_b32 v54, v54, 4, v113
	ds_add_u32 v54, v125
	s_or_b32 exec_lo, exec_lo, s9
	s_mov_b32 s9, exec_lo
	v_cmpx_gt_u32_e64 s8, v111
	s_cbranch_execz .LBB833_646
.LBB833_661:                            ;   in Loop: Header=BB833_610 Depth=2
	v_xor_b32_e32 v55, 0x80000000, v25
	v_mov_b32_e32 v54, v24
	s_delay_alu instid0(VALU_DEP_1) | instskip(NEXT) | instid1(VALU_DEP_1)
	v_lshrrev_b64 v[54:55], s43, v[54:55]
	v_and_b32_e32 v54, s55, v54
	s_delay_alu instid0(VALU_DEP_1)
	v_lshl_or_b32 v54, v54, 4, v113
	ds_add_u32 v54, v125
	s_or_b32 exec_lo, exec_lo, s9
	v_cmp_gt_u32_e32 vcc_lo, s8, v112
	s_and_saveexec_b32 s8, vcc_lo
	s_cbranch_execz .LBB833_609
.LBB833_662:                            ;   in Loop: Header=BB833_610 Depth=2
	v_xor_b32_e32 v55, 0x80000000, v23
	v_mov_b32_e32 v54, v22
	s_delay_alu instid0(VALU_DEP_1) | instskip(NEXT) | instid1(VALU_DEP_1)
	v_lshrrev_b64 v[54:55], s43, v[54:55]
	v_and_b32_e32 v54, s55, v54
	s_delay_alu instid0(VALU_DEP_1)
	v_lshl_or_b32 v54, v54, 4, v113
	ds_add_u32 v54, v125
	s_branch .LBB833_609
.LBB833_663:                            ;   in Loop: Header=BB833_610 Depth=2
	global_load_b64 v[52:53], v2, s[8:9] scale_offset
	s_wait_xcnt 0x0
	s_or_b32 exec_lo, exec_lo, s11
	s_delay_alu instid0(SALU_CYCLE_1)
	s_mov_b32 s11, exec_lo
	v_cmpx_gt_u32_e64 s7, v98
	s_cbranch_execz .LBB833_615
.LBB833_664:                            ;   in Loop: Header=BB833_610 Depth=2
	global_load_b64 v[50:51], v2, s[8:9] offset:2048 scale_offset
	s_wait_xcnt 0x0
	s_or_b32 exec_lo, exec_lo, s11
	s_delay_alu instid0(SALU_CYCLE_1)
	s_mov_b32 s11, exec_lo
	v_cmpx_gt_u32_e64 s7, v99
	s_cbranch_execz .LBB833_616
.LBB833_665:                            ;   in Loop: Header=BB833_610 Depth=2
	global_load_b64 v[48:49], v2, s[8:9] offset:4096 scale_offset
	s_wait_xcnt 0x0
	s_or_b32 exec_lo, exec_lo, s11
	s_delay_alu instid0(SALU_CYCLE_1)
	s_mov_b32 s11, exec_lo
	v_cmpx_gt_u32_e64 s7, v100
	s_cbranch_execz .LBB833_617
.LBB833_666:                            ;   in Loop: Header=BB833_610 Depth=2
	global_load_b64 v[46:47], v2, s[8:9] offset:6144 scale_offset
	s_wait_xcnt 0x0
	s_or_b32 exec_lo, exec_lo, s11
	s_delay_alu instid0(SALU_CYCLE_1)
	s_mov_b32 s11, exec_lo
	v_cmpx_gt_u32_e64 s7, v101
	s_cbranch_execz .LBB833_618
.LBB833_667:                            ;   in Loop: Header=BB833_610 Depth=2
	global_load_b64 v[44:45], v2, s[8:9] offset:8192 scale_offset
	s_wait_xcnt 0x0
	s_or_b32 exec_lo, exec_lo, s11
	s_delay_alu instid0(SALU_CYCLE_1)
	s_mov_b32 s11, exec_lo
	v_cmpx_gt_u32_e64 s7, v102
	s_cbranch_execz .LBB833_619
.LBB833_668:                            ;   in Loop: Header=BB833_610 Depth=2
	global_load_b64 v[42:43], v2, s[8:9] offset:10240 scale_offset
	s_wait_xcnt 0x0
	s_or_b32 exec_lo, exec_lo, s11
	s_delay_alu instid0(SALU_CYCLE_1)
	s_mov_b32 s11, exec_lo
	v_cmpx_gt_u32_e64 s7, v103
	s_cbranch_execz .LBB833_620
.LBB833_669:                            ;   in Loop: Header=BB833_610 Depth=2
	global_load_b64 v[40:41], v2, s[8:9] offset:12288 scale_offset
	s_wait_xcnt 0x0
	s_or_b32 exec_lo, exec_lo, s11
	s_delay_alu instid0(SALU_CYCLE_1)
	s_mov_b32 s11, exec_lo
	v_cmpx_gt_u32_e64 s7, v104
	s_cbranch_execz .LBB833_621
.LBB833_670:                            ;   in Loop: Header=BB833_610 Depth=2
	global_load_b64 v[38:39], v2, s[8:9] offset:14336 scale_offset
	s_wait_xcnt 0x0
	s_or_b32 exec_lo, exec_lo, s11
	s_delay_alu instid0(SALU_CYCLE_1)
	s_mov_b32 s11, exec_lo
	v_cmpx_gt_u32_e64 s7, v105
	s_cbranch_execz .LBB833_622
.LBB833_671:                            ;   in Loop: Header=BB833_610 Depth=2
	global_load_b64 v[36:37], v2, s[8:9] offset:16384 scale_offset
	s_wait_xcnt 0x0
	s_or_b32 exec_lo, exec_lo, s11
	s_delay_alu instid0(SALU_CYCLE_1)
	s_mov_b32 s11, exec_lo
	v_cmpx_gt_u32_e64 s7, v106
	s_cbranch_execz .LBB833_623
.LBB833_672:                            ;   in Loop: Header=BB833_610 Depth=2
	global_load_b64 v[34:35], v2, s[8:9] offset:18432 scale_offset
	s_wait_xcnt 0x0
	s_or_b32 exec_lo, exec_lo, s11
	s_delay_alu instid0(SALU_CYCLE_1)
	s_mov_b32 s11, exec_lo
	v_cmpx_gt_u32_e64 s7, v107
	s_cbranch_execz .LBB833_624
.LBB833_673:                            ;   in Loop: Header=BB833_610 Depth=2
	global_load_b64 v[32:33], v2, s[8:9] offset:20480 scale_offset
	s_wait_xcnt 0x0
	s_or_b32 exec_lo, exec_lo, s11
	s_delay_alu instid0(SALU_CYCLE_1)
	s_mov_b32 s11, exec_lo
	v_cmpx_gt_u32_e64 s7, v108
	s_cbranch_execz .LBB833_625
.LBB833_674:                            ;   in Loop: Header=BB833_610 Depth=2
	global_load_b64 v[30:31], v2, s[8:9] offset:22528 scale_offset
	s_wait_xcnt 0x0
	s_or_b32 exec_lo, exec_lo, s11
	s_delay_alu instid0(SALU_CYCLE_1)
	s_mov_b32 s11, exec_lo
	v_cmpx_gt_u32_e64 s7, v109
	s_cbranch_execz .LBB833_626
.LBB833_675:                            ;   in Loop: Header=BB833_610 Depth=2
	global_load_b64 v[28:29], v2, s[8:9] offset:24576 scale_offset
	s_wait_xcnt 0x0
	s_or_b32 exec_lo, exec_lo, s11
	s_delay_alu instid0(SALU_CYCLE_1)
	s_mov_b32 s11, exec_lo
	v_cmpx_gt_u32_e64 s7, v110
	s_cbranch_execz .LBB833_627
.LBB833_676:                            ;   in Loop: Header=BB833_610 Depth=2
	global_load_b64 v[26:27], v2, s[8:9] offset:26624 scale_offset
	s_wait_xcnt 0x0
	s_or_b32 exec_lo, exec_lo, s11
	s_delay_alu instid0(SALU_CYCLE_1)
	s_mov_b32 s11, exec_lo
	v_cmpx_gt_u32_e64 s7, v111
	s_cbranch_execz .LBB833_628
.LBB833_677:                            ;   in Loop: Header=BB833_610 Depth=2
	global_load_b64 v[24:25], v2, s[8:9] offset:28672 scale_offset
	s_wait_xcnt 0x0
	s_or_b32 exec_lo, exec_lo, s11
	s_delay_alu instid0(SALU_CYCLE_1)
	s_mov_b32 s11, exec_lo
	v_cmpx_gt_u32_e64 s7, v112
	s_cbranch_execnz .LBB833_629
	s_branch .LBB833_630
.LBB833_678:                            ;   in Loop: Header=BB833_20 Depth=1
	v_mov_b32_e32 v22, 0
	s_wait_dscnt 0x0
	s_barrier_signal -1
	s_barrier_wait -1
	s_and_saveexec_b32 s7, s0
	s_cbranch_execz .LBB833_680
; %bb.679:                              ;   in Loop: Header=BB833_20 Depth=1
	ds_load_2addr_b64 v[22:25], v115 offset1:1
	s_wait_dscnt 0x0
	v_add_nc_u32_e32 v22, v23, v22
	s_delay_alu instid0(VALU_DEP_1)
	v_add3_u32 v22, v22, v24, v25
.LBB833_680:                            ;   in Loop: Header=BB833_20 Depth=1
	s_or_b32 exec_lo, exec_lo, s7
	s_delay_alu instid0(VALU_DEP_1)
	v_mov_b32_dpp v23, v22 row_shr:1 row_mask:0xf bank_mask:0xf
	v_cmp_eq_u32_e64 s7, 0, v126
	v_cmp_lt_u32_e64 s8, 1, v126
	v_cmp_lt_u32_e64 s9, 3, v126
	;; [unrolled: 1-line block ×3, first 2 shown]
	v_cmp_eq_u32_e64 s11, 0, v128
	v_cndmask_b32_e64 v23, v23, 0, s7
	s_delay_alu instid0(VALU_DEP_1) | instskip(NEXT) | instid1(VALU_DEP_1)
	v_add_nc_u32_e32 v22, v23, v22
	v_mov_b32_dpp v23, v22 row_shr:2 row_mask:0xf bank_mask:0xf
	s_delay_alu instid0(VALU_DEP_1) | instskip(NEXT) | instid1(VALU_DEP_1)
	v_cndmask_b32_e64 v23, 0, v23, s8
	v_add_nc_u32_e32 v22, v22, v23
	s_delay_alu instid0(VALU_DEP_1) | instskip(NEXT) | instid1(VALU_DEP_1)
	v_mov_b32_dpp v23, v22 row_shr:4 row_mask:0xf bank_mask:0xf
	v_cndmask_b32_e64 v23, 0, v23, s9
	s_delay_alu instid0(VALU_DEP_1) | instskip(NEXT) | instid1(VALU_DEP_1)
	v_add_nc_u32_e32 v22, v22, v23
	v_mov_b32_dpp v23, v22 row_shr:8 row_mask:0xf bank_mask:0xf
	s_delay_alu instid0(VALU_DEP_1) | instskip(NEXT) | instid1(VALU_DEP_1)
	v_cndmask_b32_e64 v23, 0, v23, s10
	v_add_nc_u32_e32 v22, v22, v23
	ds_swizzle_b32 v23, v22 offset:swizzle(BROADCAST,32,15)
	s_wait_dscnt 0x0
	v_and_b32_e32 v23, v127, v23
	s_delay_alu instid0(VALU_DEP_1)
	v_add_nc_u32_e32 v22, v22, v23
	s_and_saveexec_b32 s12, s1
; %bb.681:                              ;   in Loop: Header=BB833_20 Depth=1
	ds_store_b32 v116, v22
; %bb.682:                              ;   in Loop: Header=BB833_20 Depth=1
	s_or_b32 exec_lo, exec_lo, s12
	s_wait_dscnt 0x0
	s_barrier_signal -1
	s_barrier_wait -1
	s_and_saveexec_b32 s12, s4
	s_cbranch_execz .LBB833_684
; %bb.683:                              ;   in Loop: Header=BB833_20 Depth=1
	ds_load_b32 v23, v117
	v_cmp_ne_u32_e32 vcc_lo, 0, v130
	s_wait_dscnt 0x0
	v_mov_b32_dpp v24, v23 row_shr:1 row_mask:0xf bank_mask:0xf
	s_delay_alu instid0(VALU_DEP_1) | instskip(SKIP_1) | instid1(VALU_DEP_2)
	v_cndmask_b32_e32 v24, 0, v24, vcc_lo
	v_cmp_lt_u32_e32 vcc_lo, 1, v130
	v_add_nc_u32_e32 v23, v24, v23
	s_delay_alu instid0(VALU_DEP_1) | instskip(NEXT) | instid1(VALU_DEP_1)
	v_mov_b32_dpp v24, v23 row_shr:2 row_mask:0xf bank_mask:0xf
	v_cndmask_b32_e32 v24, 0, v24, vcc_lo
	v_cmp_lt_u32_e32 vcc_lo, 3, v130
	s_delay_alu instid0(VALU_DEP_2) | instskip(NEXT) | instid1(VALU_DEP_1)
	v_add_nc_u32_e32 v23, v23, v24
	v_mov_b32_dpp v24, v23 row_shr:4 row_mask:0xf bank_mask:0xf
	s_delay_alu instid0(VALU_DEP_1) | instskip(NEXT) | instid1(VALU_DEP_1)
	v_cndmask_b32_e32 v24, 0, v24, vcc_lo
	v_add_nc_u32_e32 v23, v23, v24
	ds_store_b32 v117, v23
.LBB833_684:                            ;   in Loop: Header=BB833_20 Depth=1
	s_or_b32 exec_lo, exec_lo, s12
	v_mov_b32_e32 v23, 0
	s_wait_dscnt 0x0
	s_barrier_signal -1
	s_barrier_wait -1
	s_and_saveexec_b32 s12, s5
; %bb.685:                              ;   in Loop: Header=BB833_20 Depth=1
	ds_load_b32 v23, v118
; %bb.686:                              ;   in Loop: Header=BB833_20 Depth=1
	s_or_b32 exec_lo, exec_lo, s12
	v_cmp_gt_i32_e32 vcc_lo, 0, v131
	s_wait_dscnt 0x0
	s_barrier_signal -1
	s_barrier_wait -1
	v_cndmask_b32_e32 v24, v131, v124, vcc_lo
	s_delay_alu instid0(VALU_DEP_1)
	v_dual_add_nc_u32 v22, v23, v22 :: v_dual_lshlrev_b32 v147, 2, v24
	ds_bpermute_b32 v22, v147, v22
	s_and_saveexec_b32 s12, s0
	s_cbranch_execz .LBB833_688
; %bb.687:                              ;   in Loop: Header=BB833_20 Depth=1
	s_wait_dscnt 0x0
	v_cndmask_b32_e64 v22, v22, v23, s6
	s_delay_alu instid0(VALU_DEP_1)
	v_add_nc_u32_e32 v22, s52, v22
	ds_store_b32 v3, v22
.LBB833_688:                            ;   in Loop: Header=BB833_20 Depth=1
	s_or_b32 exec_lo, exec_lo, s12
	s_load_b64 s[12:13], s[34:35], 0x0
	v_add_nc_u64_e32 v[24:25], v[20:21], v[4:5]
	s_mov_b32 s56, s54
                                        ; implicit-def: $vgpr28_vgpr29
                                        ; implicit-def: $vgpr30_vgpr31
                                        ; implicit-def: $vgpr32_vgpr33
                                        ; implicit-def: $vgpr34_vgpr35
                                        ; implicit-def: $vgpr36_vgpr37
                                        ; implicit-def: $vgpr38_vgpr39
                                        ; implicit-def: $vgpr40_vgpr41
                                        ; implicit-def: $vgpr42_vgpr43
                                        ; implicit-def: $vgpr44_vgpr45
                                        ; implicit-def: $vgpr46_vgpr47
                                        ; implicit-def: $vgpr48_vgpr49
                                        ; implicit-def: $vgpr50_vgpr51
                                        ; implicit-def: $vgpr52_vgpr53
                                        ; implicit-def: $vgpr54_vgpr55
                                        ; implicit-def: $vgpr56_vgpr57
                                        ; implicit-def: $vgpr149
                                        ; implicit-def: $vgpr150
                                        ; implicit-def: $vgpr151
                                        ; implicit-def: $vgpr152
                                        ; implicit-def: $vgpr153
                                        ; implicit-def: $vgpr154
                                        ; implicit-def: $vgpr155
                                        ; implicit-def: $vgpr156
                                        ; implicit-def: $vgpr157
                                        ; implicit-def: $vgpr158
                                        ; implicit-def: $vgpr159
                                        ; implicit-def: $vgpr160
                                        ; implicit-def: $vgpr161
                                        ; implicit-def: $vgpr162
                                        ; implicit-def: $vgpr163
                                        ; implicit-def: $vgpr164
	s_wait_kmcnt 0x0
	s_cmp_lt_u32 s33, s12
	s_cselect_b32 s30, 12, 18
	s_cmp_lt_u32 s42, s13
	s_mov_b32 s13, s31
	s_cselect_b32 s12, 14, 20
	s_delay_alu instid0(SALU_CYCLE_1)
	s_add_nc_u64 s[12:13], s[34:35], s[12:13]
	s_load_u16 s14, s[12:13], 0x0
	s_wait_xcnt 0x0
	s_add_nc_u64 s[12:13], s[34:35], s[30:31]
	s_mov_b32 s30, s52
	s_load_u16 s12, s[12:13], 0x0
	s_wait_xcnt 0x0
	v_cmp_lt_u32_e64 s13, 1, v130
	s_wait_dscnt 0x0
	s_wait_kmcnt 0x0
	v_mad_u32_u24 v22, v119, s14, v121
	v_cmp_lt_u32_e64 s14, 3, v130
	s_delay_alu instid0(VALU_DEP_2) | instskip(SKIP_1) | instid1(VALU_DEP_2)
	v_mad_u32 v22, v22, s12, v2
	v_cmp_eq_u32_e64 s12, 0, v130
	v_lshrrev_b32_e32 v26, 3, v22
	v_add_nc_u64_e32 v[22:23], v[18:19], v[4:5]
	s_delay_alu instid0(VALU_DEP_2)
	v_and_b32_e32 v148, 0x1ffffffc, v26
                                        ; implicit-def: $vgpr26_vgpr27
	s_branch .LBB833_690
.LBB833_689:                            ;   in Loop: Header=BB833_690 Depth=2
	s_or_b32 exec_lo, exec_lo, s15
	s_addk_co_i32 s56, 0xf000
	s_cmp_lt_u32 s57, s51
	s_mov_b32 s30, s57
	s_cbranch_scc0 .LBB833_898
.LBB833_690:                            ;   Parent Loop BB833_20 Depth=1
                                        ; =>  This Inner Loop Header: Depth=2
	s_add_co_i32 s57, s30, 0x1000
	s_delay_alu instid0(SALU_CYCLE_1)
	s_cmp_gt_u32 s57, s51
	s_cbranch_scc1 .LBB833_692
; %bb.691:                              ;   in Loop: Header=BB833_690 Depth=2
	v_lshl_add_u64 v[88:89], s[30:31], 3, v[24:25]
	s_mov_b32 s15, -1
	s_clause 0xe
	global_load_b64 v[60:61], v[88:89], off
	global_load_b64 v[58:59], v[88:89], off offset:256
	global_load_b64 v[64:65], v[88:89], off offset:512
	;; [unrolled: 1-line block ×14, first 2 shown]
	s_movk_i32 s16, 0x1000
	s_cbranch_execz .LBB833_693
	s_branch .LBB833_724
.LBB833_692:                            ;   in Loop: Header=BB833_690 Depth=2
	s_mov_b32 s15, 0
                                        ; implicit-def: $vgpr60_vgpr61
                                        ; implicit-def: $vgpr58_vgpr59
                                        ; implicit-def: $vgpr64_vgpr65
                                        ; implicit-def: $vgpr62_vgpr63
                                        ; implicit-def: $vgpr68_vgpr69
                                        ; implicit-def: $vgpr66_vgpr67
                                        ; implicit-def: $vgpr72_vgpr73
                                        ; implicit-def: $vgpr70_vgpr71
                                        ; implicit-def: $vgpr76_vgpr77
                                        ; implicit-def: $vgpr74_vgpr75
                                        ; implicit-def: $vgpr80_vgpr81
                                        ; implicit-def: $vgpr78_vgpr79
                                        ; implicit-def: $vgpr84_vgpr85
                                        ; implicit-def: $vgpr82_vgpr83
                                        ; implicit-def: $vgpr86_vgpr87
	s_movk_i32 s16, 0x1000
.LBB833_693:                            ;   in Loop: Header=BB833_690 Depth=2
	s_wait_loadcnt 0xd
	v_mov_b64_e32 v[58:59], 0x7fffffffffffffff
	v_mov_b64_e32 v[60:61], 0x7fffffffffffffff
	s_wait_xcnt 0x0
	v_lshl_add_u64 v[88:89], s[30:31], 3, v[24:25]
	s_mov_b32 s15, exec_lo
	v_cmpx_gt_u32_e64 s56, v129
	s_cbranch_execz .LBB833_695
; %bb.694:                              ;   in Loop: Header=BB833_690 Depth=2
	global_load_b64 v[60:61], v[88:89], off
.LBB833_695:                            ;   in Loop: Header=BB833_690 Depth=2
	s_wait_xcnt 0x0
	s_or_b32 exec_lo, exec_lo, s15
	s_delay_alu instid0(SALU_CYCLE_1)
	s_mov_b32 s15, exec_lo
	v_cmpx_gt_u32_e64 s56, v132
	s_cbranch_execz .LBB833_697
; %bb.696:                              ;   in Loop: Header=BB833_690 Depth=2
	global_load_b64 v[58:59], v[88:89], off offset:256
.LBB833_697:                            ;   in Loop: Header=BB833_690 Depth=2
	s_wait_xcnt 0x0
	s_or_b32 exec_lo, exec_lo, s15
	s_wait_loadcnt 0xb
	v_mov_b64_e32 v[62:63], 0x7fffffffffffffff
	v_mov_b64_e32 v[64:65], 0x7fffffffffffffff
	s_mov_b32 s15, exec_lo
	v_cmpx_gt_u32_e64 s56, v133
	s_cbranch_execz .LBB833_699
; %bb.698:                              ;   in Loop: Header=BB833_690 Depth=2
	global_load_b64 v[64:65], v[88:89], off offset:512
.LBB833_699:                            ;   in Loop: Header=BB833_690 Depth=2
	s_wait_xcnt 0x0
	s_or_b32 exec_lo, exec_lo, s15
	s_delay_alu instid0(SALU_CYCLE_1)
	s_mov_b32 s15, exec_lo
	v_cmpx_gt_u32_e64 s56, v134
	s_cbranch_execz .LBB833_701
; %bb.700:                              ;   in Loop: Header=BB833_690 Depth=2
	global_load_b64 v[62:63], v[88:89], off offset:768
.LBB833_701:                            ;   in Loop: Header=BB833_690 Depth=2
	s_wait_xcnt 0x0
	s_or_b32 exec_lo, exec_lo, s15
	s_wait_loadcnt 0x9
	v_mov_b64_e32 v[66:67], 0x7fffffffffffffff
	v_mov_b64_e32 v[68:69], 0x7fffffffffffffff
	s_mov_b32 s15, exec_lo
	v_cmpx_gt_u32_e64 s56, v135
	s_cbranch_execz .LBB833_703
; %bb.702:                              ;   in Loop: Header=BB833_690 Depth=2
	global_load_b64 v[68:69], v[88:89], off offset:1024
.LBB833_703:                            ;   in Loop: Header=BB833_690 Depth=2
	;; [unrolled: 20-line block ×6, first 2 shown]
	s_wait_xcnt 0x0
	s_or_b32 exec_lo, exec_lo, s15
	s_delay_alu instid0(SALU_CYCLE_1)
	s_mov_b32 s15, exec_lo
	v_cmpx_gt_u32_e64 s56, v144
	s_cbranch_execz .LBB833_721
; %bb.720:                              ;   in Loop: Header=BB833_690 Depth=2
	global_load_b64 v[82:83], v[88:89], off offset:3328
.LBB833_721:                            ;   in Loop: Header=BB833_690 Depth=2
	s_wait_xcnt 0x0
	s_or_b32 exec_lo, exec_lo, s15
	s_wait_loadcnt 0x0
	v_mov_b64_e32 v[86:87], 0x7fffffffffffffff
	s_mov_b32 s15, exec_lo
	v_cmpx_gt_u32_e64 s56, v145
	s_cbranch_execz .LBB833_723
; %bb.722:                              ;   in Loop: Header=BB833_690 Depth=2
	global_load_b64 v[86:87], v[88:89], off offset:3584
.LBB833_723:                            ;   in Loop: Header=BB833_690 Depth=2
	s_wait_xcnt 0x0
	s_or_b32 exec_lo, exec_lo, s15
	v_cmp_gt_u32_e64 s15, s56, v146
	s_sub_co_i32 s16, s51, s30
.LBB833_724:                            ;   in Loop: Header=BB833_690 Depth=2
	s_wait_xcnt 0x0
	v_mov_b64_e32 v[88:89], -1
	v_mov_b32_e32 v165, s56
	s_and_saveexec_b32 s17, s15
	s_cbranch_execz .LBB833_726
; %bb.725:                              ;   in Loop: Header=BB833_690 Depth=2
	v_lshl_add_u64 v[88:89], s[30:31], 3, v[24:25]
	v_mov_b32_e32 v165, s16
	global_load_b64 v[88:89], v[88:89], off offset:3840
	s_wait_loadcnt 0x0
	s_wait_xcnt 0x0
	v_xor_b32_e32 v89, 0x80000000, v89
.LBB833_726:                            ;   in Loop: Header=BB833_690 Depth=2
	s_or_b32 exec_lo, exec_lo, s17
	s_wait_loadcnt 0xe
	v_xor_b32_e32 v61, 0x80000000, v61
	v_add_nc_u32_e32 v169, 0x428, v120
	v_add_nc_u32_e32 v170, 0x430, v120
	s_delay_alu instid0(VALU_DEP_3) | instskip(NEXT) | instid1(VALU_DEP_1)
	v_lshrrev_b64 v[90:91], s43, v[60:61]
	v_bitop3_b32 v91, v90, 1, s55 bitop3:0x80
	v_and_b32_e32 v92, s55, v90
	s_delay_alu instid0(VALU_DEP_2) | instskip(NEXT) | instid1(VALU_DEP_1)
	v_add_co_u32 v90, s15, v91, -1
	v_cndmask_b32_e64 v91, 0, 1, s15
	s_delay_alu instid0(VALU_DEP_3) | instskip(NEXT) | instid1(VALU_DEP_2)
	v_lshlrev_b32_e32 v93, 30, v92
	v_cmp_ne_u32_e32 vcc_lo, 0, v91
	s_delay_alu instid0(VALU_DEP_2) | instskip(NEXT) | instid1(VALU_DEP_1)
	v_not_b32_e32 v91, v93
	v_dual_ashrrev_i32 v91, 31, v91 :: v_dual_bitop2_b32 v90, vcc_lo, v90 bitop3:0x14
	v_dual_lshlrev_b32 v94, 29, v92 :: v_dual_lshlrev_b32 v95, 28, v92
	v_dual_lshlrev_b32 v96, 27, v92 :: v_dual_lshlrev_b32 v97, 26, v92
	v_lshlrev_b32_e32 v166, 25, v92
	v_cmp_gt_i32_e64 s15, 0, v93
	s_delay_alu instid0(VALU_DEP_4)
	v_cmp_gt_i32_e64 s16, 0, v94
	v_not_b32_e32 v93, v94
	v_not_b32_e32 v94, v95
	v_lshlrev_b32_e32 v167, 24, v92
	v_cmp_gt_i32_e64 s17, 0, v95
	v_cmp_gt_i32_e64 s18, 0, v96
	v_not_b32_e32 v95, v96
	v_cmp_gt_i32_e64 s19, 0, v97
	v_not_b32_e32 v96, v97
	v_not_b32_e32 v97, v166
	v_dual_ashrrev_i32 v93, 31, v93 :: v_dual_ashrrev_i32 v94, 31, v94
	v_xor_b32_e32 v91, s15, v91
	v_not_b32_e32 v168, v167
	v_dual_ashrrev_i32 v95, 31, v95 :: v_dual_ashrrev_i32 v96, 31, v96
	s_delay_alu instid0(VALU_DEP_4) | instskip(SKIP_2) | instid1(VALU_DEP_4)
	v_xor_b32_e32 v93, s16, v93
	v_xor_b32_e32 v94, s17, v94
	v_bitop3_b32 v90, v90, v91, exec_lo bitop3:0x80
	v_xor_b32_e32 v95, s18, v95
	v_xor_b32_e32 v91, s19, v96
	v_cmp_gt_i32_e32 vcc_lo, 0, v166
	v_ashrrev_i32_e32 v96, 31, v97
	v_cmp_gt_i32_e64 s15, 0, v167
	v_ashrrev_i32_e32 v97, 31, v168
	v_bitop3_b32 v90, v90, v94, v93 bitop3:0x80
	v_add_nc_u32_e32 v167, 0x438, v120
	v_xor_b32_e32 v93, vcc_lo, v96
	v_add_nc_u32_e32 v168, 0x420, v120
	v_xor_b32_e32 v94, s15, v97
	v_bitop3_b32 v90, v90, v91, v95 bitop3:0x80
	v_mul_u32_u24_e32 v91, 36, v92
	ds_store_2addr_b32 v167, v5, v5 offset1:1
	ds_store_2addr_b32 v168, v5, v5 offset1:1
	;; [unrolled: 1-line block ×4, first 2 shown]
	ds_store_b32 v120, v5 offset:1088
	s_wait_loadcnt_dscnt 0x0
	v_bitop3_b32 v90, v90, v94, v93 bitop3:0x80
	v_add_nc_u32_e32 v171, v148, v91
	s_barrier_signal -1
	s_barrier_wait -1
	s_delay_alu instid0(VALU_DEP_2) | instskip(SKIP_1) | instid1(VALU_DEP_2)
	v_mbcnt_lo_u32_b32 v166, v90, 0
	v_cmp_ne_u32_e64 s15, 0, v90
	; wave barrier
	v_cmp_eq_u32_e32 vcc_lo, 0, v166
	s_and_b32 s16, s15, vcc_lo
	s_delay_alu instid0(SALU_CYCLE_1)
	s_and_saveexec_b32 s15, s16
; %bb.727:                              ;   in Loop: Header=BB833_690 Depth=2
	v_bcnt_u32_b32 v90, v90, 0
	ds_store_b32 v171, v90 offset:1056
; %bb.728:                              ;   in Loop: Header=BB833_690 Depth=2
	s_or_b32 exec_lo, exec_lo, s15
	v_xor_b32_e32 v59, 0x80000000, v59
	; wave barrier
	s_delay_alu instid0(VALU_DEP_1) | instskip(NEXT) | instid1(VALU_DEP_1)
	v_lshrrev_b64 v[90:91], s43, v[58:59]
	v_bitop3_b32 v91, v90, 1, s55 bitop3:0x80
	v_and_b32_e32 v92, s55, v90
	s_delay_alu instid0(VALU_DEP_2) | instskip(NEXT) | instid1(VALU_DEP_1)
	v_add_co_u32 v90, s15, v91, -1
	v_cndmask_b32_e64 v91, 0, 1, s15
	s_delay_alu instid0(VALU_DEP_3) | instskip(NEXT) | instid1(VALU_DEP_2)
	v_lshlrev_b32_e32 v93, 30, v92
	v_cmp_ne_u32_e32 vcc_lo, 0, v91
	s_delay_alu instid0(VALU_DEP_2) | instskip(NEXT) | instid1(VALU_DEP_1)
	v_not_b32_e32 v91, v93
	v_dual_ashrrev_i32 v91, 31, v91 :: v_dual_bitop2_b32 v90, vcc_lo, v90 bitop3:0x14
	v_dual_lshlrev_b32 v94, 29, v92 :: v_dual_lshlrev_b32 v95, 28, v92
	v_dual_lshlrev_b32 v96, 27, v92 :: v_dual_lshlrev_b32 v97, 26, v92
	v_lshlrev_b32_e32 v172, 25, v92
	v_cmp_gt_i32_e64 s15, 0, v93
	s_delay_alu instid0(VALU_DEP_4)
	v_cmp_gt_i32_e64 s16, 0, v94
	v_not_b32_e32 v93, v94
	v_not_b32_e32 v94, v95
	v_lshlrev_b32_e32 v173, 24, v92
	v_cmp_gt_i32_e64 s17, 0, v95
	v_cmp_gt_i32_e64 s18, 0, v96
	v_not_b32_e32 v95, v96
	v_cmp_gt_i32_e64 s19, 0, v97
	v_not_b32_e32 v96, v97
	v_not_b32_e32 v97, v172
	v_dual_ashrrev_i32 v93, 31, v93 :: v_dual_ashrrev_i32 v94, 31, v94
	v_xor_b32_e32 v91, s15, v91
	v_not_b32_e32 v174, v173
	v_dual_ashrrev_i32 v95, 31, v95 :: v_dual_ashrrev_i32 v96, 31, v96
	s_delay_alu instid0(VALU_DEP_4) | instskip(SKIP_2) | instid1(VALU_DEP_4)
	v_xor_b32_e32 v93, s16, v93
	v_xor_b32_e32 v94, s17, v94
	v_bitop3_b32 v90, v90, v91, exec_lo bitop3:0x80
	v_xor_b32_e32 v95, s18, v95
	v_xor_b32_e32 v91, s19, v96
	v_cmp_gt_i32_e32 vcc_lo, 0, v172
	v_ashrrev_i32_e32 v96, 31, v97
	v_cmp_gt_i32_e64 s15, 0, v173
	v_ashrrev_i32_e32 v97, 31, v174
	v_bitop3_b32 v90, v90, v94, v93 bitop3:0x80
	v_mad_u32_u24 v93, v92, 36, v148
	v_xor_b32_e32 v94, vcc_lo, v96
	s_delay_alu instid0(VALU_DEP_4) | instskip(NEXT) | instid1(VALU_DEP_4)
	v_xor_b32_e32 v96, s15, v97
	v_bitop3_b32 v90, v90, v91, v95 bitop3:0x80
	ds_load_b32 v172, v93 offset:1056
	v_mul_u32_u24_e32 v91, 36, v92
	; wave barrier
	v_bitop3_b32 v90, v90, v96, v94 bitop3:0x80
	s_delay_alu instid0(VALU_DEP_2) | instskip(NEXT) | instid1(VALU_DEP_2)
	v_add_nc_u32_e32 v174, v148, v91
	v_mbcnt_lo_u32_b32 v173, v90, 0
	v_cmp_ne_u32_e64 s15, 0, v90
	s_delay_alu instid0(VALU_DEP_2) | instskip(SKIP_1) | instid1(SALU_CYCLE_1)
	v_cmp_eq_u32_e32 vcc_lo, 0, v173
	s_and_b32 s16, s15, vcc_lo
	s_and_saveexec_b32 s15, s16
	s_cbranch_execz .LBB833_730
; %bb.729:                              ;   in Loop: Header=BB833_690 Depth=2
	s_wait_dscnt 0x0
	v_bcnt_u32_b32 v90, v90, v172
	ds_store_b32 v174, v90 offset:1056
.LBB833_730:                            ;   in Loop: Header=BB833_690 Depth=2
	s_or_b32 exec_lo, exec_lo, s15
	v_xor_b32_e32 v65, 0x80000000, v65
	; wave barrier
	s_delay_alu instid0(VALU_DEP_1) | instskip(NEXT) | instid1(VALU_DEP_1)
	v_lshrrev_b64 v[90:91], s43, v[64:65]
	v_bitop3_b32 v91, v90, 1, s55 bitop3:0x80
	v_and_b32_e32 v92, s55, v90
	s_delay_alu instid0(VALU_DEP_2) | instskip(NEXT) | instid1(VALU_DEP_1)
	v_add_co_u32 v90, s15, v91, -1
	v_cndmask_b32_e64 v91, 0, 1, s15
	s_delay_alu instid0(VALU_DEP_3) | instskip(NEXT) | instid1(VALU_DEP_2)
	v_lshlrev_b32_e32 v93, 30, v92
	v_cmp_ne_u32_e32 vcc_lo, 0, v91
	s_delay_alu instid0(VALU_DEP_2) | instskip(NEXT) | instid1(VALU_DEP_1)
	v_not_b32_e32 v91, v93
	v_dual_ashrrev_i32 v91, 31, v91 :: v_dual_bitop2_b32 v90, vcc_lo, v90 bitop3:0x14
	v_dual_lshlrev_b32 v94, 29, v92 :: v_dual_lshlrev_b32 v95, 28, v92
	v_dual_lshlrev_b32 v96, 27, v92 :: v_dual_lshlrev_b32 v97, 26, v92
	v_lshlrev_b32_e32 v175, 25, v92
	v_cmp_gt_i32_e64 s15, 0, v93
	s_delay_alu instid0(VALU_DEP_4)
	v_cmp_gt_i32_e64 s16, 0, v94
	v_not_b32_e32 v93, v94
	v_not_b32_e32 v94, v95
	v_lshlrev_b32_e32 v176, 24, v92
	v_cmp_gt_i32_e64 s17, 0, v95
	v_cmp_gt_i32_e64 s18, 0, v96
	v_not_b32_e32 v95, v96
	v_cmp_gt_i32_e64 s19, 0, v97
	v_not_b32_e32 v96, v97
	v_not_b32_e32 v97, v175
	v_dual_ashrrev_i32 v93, 31, v93 :: v_dual_ashrrev_i32 v94, 31, v94
	v_xor_b32_e32 v91, s15, v91
	v_not_b32_e32 v177, v176
	v_dual_ashrrev_i32 v95, 31, v95 :: v_dual_ashrrev_i32 v96, 31, v96
	s_delay_alu instid0(VALU_DEP_4) | instskip(SKIP_2) | instid1(VALU_DEP_4)
	v_xor_b32_e32 v93, s16, v93
	v_xor_b32_e32 v94, s17, v94
	v_bitop3_b32 v90, v90, v91, exec_lo bitop3:0x80
	v_xor_b32_e32 v95, s18, v95
	v_xor_b32_e32 v91, s19, v96
	v_cmp_gt_i32_e32 vcc_lo, 0, v175
	v_ashrrev_i32_e32 v96, 31, v97
	v_cmp_gt_i32_e64 s15, 0, v176
	v_ashrrev_i32_e32 v97, 31, v177
	v_bitop3_b32 v90, v90, v94, v93 bitop3:0x80
	v_mad_u32_u24 v93, v92, 36, v148
	v_xor_b32_e32 v94, vcc_lo, v96
	s_delay_alu instid0(VALU_DEP_4) | instskip(NEXT) | instid1(VALU_DEP_4)
	v_xor_b32_e32 v96, s15, v97
	v_bitop3_b32 v90, v90, v91, v95 bitop3:0x80
	ds_load_b32 v175, v93 offset:1056
	v_mul_u32_u24_e32 v91, 36, v92
	; wave barrier
	v_bitop3_b32 v90, v90, v96, v94 bitop3:0x80
	s_delay_alu instid0(VALU_DEP_2) | instskip(NEXT) | instid1(VALU_DEP_2)
	v_add_nc_u32_e32 v177, v148, v91
	v_mbcnt_lo_u32_b32 v176, v90, 0
	v_cmp_ne_u32_e64 s15, 0, v90
	s_delay_alu instid0(VALU_DEP_2) | instskip(SKIP_1) | instid1(SALU_CYCLE_1)
	v_cmp_eq_u32_e32 vcc_lo, 0, v176
	s_and_b32 s16, s15, vcc_lo
	s_and_saveexec_b32 s15, s16
	s_cbranch_execz .LBB833_732
; %bb.731:                              ;   in Loop: Header=BB833_690 Depth=2
	s_wait_dscnt 0x0
	v_bcnt_u32_b32 v90, v90, v175
	ds_store_b32 v177, v90 offset:1056
.LBB833_732:                            ;   in Loop: Header=BB833_690 Depth=2
	s_or_b32 exec_lo, exec_lo, s15
	v_xor_b32_e32 v63, 0x80000000, v63
	; wave barrier
	s_delay_alu instid0(VALU_DEP_1) | instskip(NEXT) | instid1(VALU_DEP_1)
	v_lshrrev_b64 v[90:91], s43, v[62:63]
	v_bitop3_b32 v91, v90, 1, s55 bitop3:0x80
	v_and_b32_e32 v92, s55, v90
	s_delay_alu instid0(VALU_DEP_2) | instskip(NEXT) | instid1(VALU_DEP_1)
	v_add_co_u32 v90, s15, v91, -1
	v_cndmask_b32_e64 v91, 0, 1, s15
	s_delay_alu instid0(VALU_DEP_3) | instskip(NEXT) | instid1(VALU_DEP_2)
	v_lshlrev_b32_e32 v93, 30, v92
	v_cmp_ne_u32_e32 vcc_lo, 0, v91
	s_delay_alu instid0(VALU_DEP_2) | instskip(NEXT) | instid1(VALU_DEP_1)
	v_not_b32_e32 v91, v93
	v_dual_ashrrev_i32 v91, 31, v91 :: v_dual_bitop2_b32 v90, vcc_lo, v90 bitop3:0x14
	v_dual_lshlrev_b32 v94, 29, v92 :: v_dual_lshlrev_b32 v95, 28, v92
	v_dual_lshlrev_b32 v96, 27, v92 :: v_dual_lshlrev_b32 v97, 26, v92
	v_lshlrev_b32_e32 v178, 25, v92
	v_cmp_gt_i32_e64 s15, 0, v93
	s_delay_alu instid0(VALU_DEP_4)
	v_cmp_gt_i32_e64 s16, 0, v94
	v_not_b32_e32 v93, v94
	v_not_b32_e32 v94, v95
	v_lshlrev_b32_e32 v179, 24, v92
	v_cmp_gt_i32_e64 s17, 0, v95
	v_cmp_gt_i32_e64 s18, 0, v96
	v_not_b32_e32 v95, v96
	v_cmp_gt_i32_e64 s19, 0, v97
	v_not_b32_e32 v96, v97
	v_not_b32_e32 v97, v178
	v_dual_ashrrev_i32 v93, 31, v93 :: v_dual_ashrrev_i32 v94, 31, v94
	v_xor_b32_e32 v91, s15, v91
	v_not_b32_e32 v180, v179
	v_dual_ashrrev_i32 v95, 31, v95 :: v_dual_ashrrev_i32 v96, 31, v96
	s_delay_alu instid0(VALU_DEP_4) | instskip(SKIP_2) | instid1(VALU_DEP_4)
	v_xor_b32_e32 v93, s16, v93
	v_xor_b32_e32 v94, s17, v94
	v_bitop3_b32 v90, v90, v91, exec_lo bitop3:0x80
	v_xor_b32_e32 v95, s18, v95
	v_xor_b32_e32 v91, s19, v96
	v_cmp_gt_i32_e32 vcc_lo, 0, v178
	v_ashrrev_i32_e32 v96, 31, v97
	v_cmp_gt_i32_e64 s15, 0, v179
	v_ashrrev_i32_e32 v97, 31, v180
	v_bitop3_b32 v90, v90, v94, v93 bitop3:0x80
	v_mad_u32_u24 v93, v92, 36, v148
	v_xor_b32_e32 v94, vcc_lo, v96
	s_delay_alu instid0(VALU_DEP_4) | instskip(NEXT) | instid1(VALU_DEP_4)
	v_xor_b32_e32 v96, s15, v97
	v_bitop3_b32 v90, v90, v91, v95 bitop3:0x80
	ds_load_b32 v178, v93 offset:1056
	v_mul_u32_u24_e32 v91, 36, v92
	; wave barrier
	v_bitop3_b32 v90, v90, v96, v94 bitop3:0x80
	s_delay_alu instid0(VALU_DEP_2) | instskip(NEXT) | instid1(VALU_DEP_2)
	v_add_nc_u32_e32 v180, v148, v91
	v_mbcnt_lo_u32_b32 v179, v90, 0
	v_cmp_ne_u32_e64 s15, 0, v90
	s_delay_alu instid0(VALU_DEP_2) | instskip(SKIP_1) | instid1(SALU_CYCLE_1)
	v_cmp_eq_u32_e32 vcc_lo, 0, v179
	s_and_b32 s16, s15, vcc_lo
	s_and_saveexec_b32 s15, s16
	s_cbranch_execz .LBB833_734
; %bb.733:                              ;   in Loop: Header=BB833_690 Depth=2
	s_wait_dscnt 0x0
	v_bcnt_u32_b32 v90, v90, v178
	ds_store_b32 v180, v90 offset:1056
.LBB833_734:                            ;   in Loop: Header=BB833_690 Depth=2
	s_or_b32 exec_lo, exec_lo, s15
	v_xor_b32_e32 v69, 0x80000000, v69
	; wave barrier
	s_delay_alu instid0(VALU_DEP_1) | instskip(NEXT) | instid1(VALU_DEP_1)
	v_lshrrev_b64 v[90:91], s43, v[68:69]
	v_bitop3_b32 v91, v90, 1, s55 bitop3:0x80
	v_and_b32_e32 v92, s55, v90
	s_delay_alu instid0(VALU_DEP_2) | instskip(NEXT) | instid1(VALU_DEP_1)
	v_add_co_u32 v90, s15, v91, -1
	v_cndmask_b32_e64 v91, 0, 1, s15
	s_delay_alu instid0(VALU_DEP_3) | instskip(NEXT) | instid1(VALU_DEP_2)
	v_lshlrev_b32_e32 v93, 30, v92
	v_cmp_ne_u32_e32 vcc_lo, 0, v91
	s_delay_alu instid0(VALU_DEP_2) | instskip(NEXT) | instid1(VALU_DEP_1)
	v_not_b32_e32 v91, v93
	v_dual_ashrrev_i32 v91, 31, v91 :: v_dual_bitop2_b32 v90, vcc_lo, v90 bitop3:0x14
	v_dual_lshlrev_b32 v94, 29, v92 :: v_dual_lshlrev_b32 v95, 28, v92
	v_dual_lshlrev_b32 v96, 27, v92 :: v_dual_lshlrev_b32 v97, 26, v92
	v_lshlrev_b32_e32 v181, 25, v92
	v_cmp_gt_i32_e64 s15, 0, v93
	s_delay_alu instid0(VALU_DEP_4)
	v_cmp_gt_i32_e64 s16, 0, v94
	v_not_b32_e32 v93, v94
	v_not_b32_e32 v94, v95
	v_lshlrev_b32_e32 v182, 24, v92
	v_cmp_gt_i32_e64 s17, 0, v95
	v_cmp_gt_i32_e64 s18, 0, v96
	v_not_b32_e32 v95, v96
	v_cmp_gt_i32_e64 s19, 0, v97
	v_not_b32_e32 v96, v97
	v_not_b32_e32 v97, v181
	v_dual_ashrrev_i32 v93, 31, v93 :: v_dual_ashrrev_i32 v94, 31, v94
	v_xor_b32_e32 v91, s15, v91
	v_not_b32_e32 v183, v182
	v_dual_ashrrev_i32 v95, 31, v95 :: v_dual_ashrrev_i32 v96, 31, v96
	s_delay_alu instid0(VALU_DEP_4) | instskip(SKIP_2) | instid1(VALU_DEP_4)
	v_xor_b32_e32 v93, s16, v93
	v_xor_b32_e32 v94, s17, v94
	v_bitop3_b32 v90, v90, v91, exec_lo bitop3:0x80
	v_xor_b32_e32 v95, s18, v95
	v_xor_b32_e32 v91, s19, v96
	v_cmp_gt_i32_e32 vcc_lo, 0, v181
	v_ashrrev_i32_e32 v96, 31, v97
	v_cmp_gt_i32_e64 s15, 0, v182
	v_ashrrev_i32_e32 v97, 31, v183
	v_bitop3_b32 v90, v90, v94, v93 bitop3:0x80
	v_mad_u32_u24 v93, v92, 36, v148
	v_xor_b32_e32 v94, vcc_lo, v96
	s_delay_alu instid0(VALU_DEP_4) | instskip(NEXT) | instid1(VALU_DEP_4)
	v_xor_b32_e32 v96, s15, v97
	v_bitop3_b32 v90, v90, v91, v95 bitop3:0x80
	ds_load_b32 v181, v93 offset:1056
	v_mul_u32_u24_e32 v91, 36, v92
	; wave barrier
	v_bitop3_b32 v90, v90, v96, v94 bitop3:0x80
	s_delay_alu instid0(VALU_DEP_2) | instskip(NEXT) | instid1(VALU_DEP_2)
	v_add_nc_u32_e32 v183, v148, v91
	v_mbcnt_lo_u32_b32 v182, v90, 0
	v_cmp_ne_u32_e64 s15, 0, v90
	s_delay_alu instid0(VALU_DEP_2) | instskip(SKIP_1) | instid1(SALU_CYCLE_1)
	v_cmp_eq_u32_e32 vcc_lo, 0, v182
	s_and_b32 s16, s15, vcc_lo
	s_and_saveexec_b32 s15, s16
	s_cbranch_execz .LBB833_736
; %bb.735:                              ;   in Loop: Header=BB833_690 Depth=2
	s_wait_dscnt 0x0
	v_bcnt_u32_b32 v90, v90, v181
	ds_store_b32 v183, v90 offset:1056
.LBB833_736:                            ;   in Loop: Header=BB833_690 Depth=2
	s_or_b32 exec_lo, exec_lo, s15
	v_xor_b32_e32 v67, 0x80000000, v67
	; wave barrier
	s_delay_alu instid0(VALU_DEP_1) | instskip(NEXT) | instid1(VALU_DEP_1)
	v_lshrrev_b64 v[90:91], s43, v[66:67]
	v_bitop3_b32 v91, v90, 1, s55 bitop3:0x80
	v_and_b32_e32 v92, s55, v90
	s_delay_alu instid0(VALU_DEP_2) | instskip(NEXT) | instid1(VALU_DEP_1)
	v_add_co_u32 v90, s15, v91, -1
	v_cndmask_b32_e64 v91, 0, 1, s15
	s_delay_alu instid0(VALU_DEP_3) | instskip(NEXT) | instid1(VALU_DEP_2)
	v_lshlrev_b32_e32 v93, 30, v92
	v_cmp_ne_u32_e32 vcc_lo, 0, v91
	s_delay_alu instid0(VALU_DEP_2) | instskip(NEXT) | instid1(VALU_DEP_1)
	v_not_b32_e32 v91, v93
	v_dual_ashrrev_i32 v91, 31, v91 :: v_dual_bitop2_b32 v90, vcc_lo, v90 bitop3:0x14
	v_dual_lshlrev_b32 v94, 29, v92 :: v_dual_lshlrev_b32 v95, 28, v92
	v_dual_lshlrev_b32 v96, 27, v92 :: v_dual_lshlrev_b32 v97, 26, v92
	v_lshlrev_b32_e32 v184, 25, v92
	v_cmp_gt_i32_e64 s15, 0, v93
	s_delay_alu instid0(VALU_DEP_4)
	v_cmp_gt_i32_e64 s16, 0, v94
	v_not_b32_e32 v93, v94
	v_not_b32_e32 v94, v95
	v_lshlrev_b32_e32 v185, 24, v92
	v_cmp_gt_i32_e64 s17, 0, v95
	v_cmp_gt_i32_e64 s18, 0, v96
	v_not_b32_e32 v95, v96
	v_cmp_gt_i32_e64 s19, 0, v97
	v_not_b32_e32 v96, v97
	v_not_b32_e32 v97, v184
	v_dual_ashrrev_i32 v93, 31, v93 :: v_dual_ashrrev_i32 v94, 31, v94
	v_xor_b32_e32 v91, s15, v91
	v_not_b32_e32 v186, v185
	v_dual_ashrrev_i32 v95, 31, v95 :: v_dual_ashrrev_i32 v96, 31, v96
	s_delay_alu instid0(VALU_DEP_4) | instskip(SKIP_2) | instid1(VALU_DEP_4)
	v_xor_b32_e32 v93, s16, v93
	v_xor_b32_e32 v94, s17, v94
	v_bitop3_b32 v90, v90, v91, exec_lo bitop3:0x80
	v_xor_b32_e32 v95, s18, v95
	v_xor_b32_e32 v91, s19, v96
	v_cmp_gt_i32_e32 vcc_lo, 0, v184
	v_ashrrev_i32_e32 v96, 31, v97
	v_cmp_gt_i32_e64 s15, 0, v185
	v_ashrrev_i32_e32 v97, 31, v186
	v_bitop3_b32 v90, v90, v94, v93 bitop3:0x80
	v_mad_u32_u24 v93, v92, 36, v148
	v_xor_b32_e32 v94, vcc_lo, v96
	s_delay_alu instid0(VALU_DEP_4) | instskip(NEXT) | instid1(VALU_DEP_4)
	v_xor_b32_e32 v96, s15, v97
	v_bitop3_b32 v90, v90, v91, v95 bitop3:0x80
	ds_load_b32 v184, v93 offset:1056
	v_mul_u32_u24_e32 v91, 36, v92
	; wave barrier
	v_bitop3_b32 v90, v90, v96, v94 bitop3:0x80
	s_delay_alu instid0(VALU_DEP_2) | instskip(NEXT) | instid1(VALU_DEP_2)
	v_add_nc_u32_e32 v186, v148, v91
	v_mbcnt_lo_u32_b32 v185, v90, 0
	v_cmp_ne_u32_e64 s15, 0, v90
	s_delay_alu instid0(VALU_DEP_2) | instskip(SKIP_1) | instid1(SALU_CYCLE_1)
	v_cmp_eq_u32_e32 vcc_lo, 0, v185
	s_and_b32 s16, s15, vcc_lo
	s_and_saveexec_b32 s15, s16
	s_cbranch_execz .LBB833_738
; %bb.737:                              ;   in Loop: Header=BB833_690 Depth=2
	s_wait_dscnt 0x0
	v_bcnt_u32_b32 v90, v90, v184
	ds_store_b32 v186, v90 offset:1056
.LBB833_738:                            ;   in Loop: Header=BB833_690 Depth=2
	s_or_b32 exec_lo, exec_lo, s15
	v_xor_b32_e32 v73, 0x80000000, v73
	; wave barrier
	s_delay_alu instid0(VALU_DEP_1) | instskip(NEXT) | instid1(VALU_DEP_1)
	v_lshrrev_b64 v[90:91], s43, v[72:73]
	v_bitop3_b32 v91, v90, 1, s55 bitop3:0x80
	v_and_b32_e32 v92, s55, v90
	s_delay_alu instid0(VALU_DEP_2) | instskip(NEXT) | instid1(VALU_DEP_1)
	v_add_co_u32 v90, s15, v91, -1
	v_cndmask_b32_e64 v91, 0, 1, s15
	s_delay_alu instid0(VALU_DEP_3) | instskip(NEXT) | instid1(VALU_DEP_2)
	v_lshlrev_b32_e32 v93, 30, v92
	v_cmp_ne_u32_e32 vcc_lo, 0, v91
	s_delay_alu instid0(VALU_DEP_2) | instskip(NEXT) | instid1(VALU_DEP_1)
	v_not_b32_e32 v91, v93
	v_dual_ashrrev_i32 v91, 31, v91 :: v_dual_bitop2_b32 v90, vcc_lo, v90 bitop3:0x14
	v_dual_lshlrev_b32 v94, 29, v92 :: v_dual_lshlrev_b32 v95, 28, v92
	v_dual_lshlrev_b32 v96, 27, v92 :: v_dual_lshlrev_b32 v97, 26, v92
	v_lshlrev_b32_e32 v187, 25, v92
	v_cmp_gt_i32_e64 s15, 0, v93
	s_delay_alu instid0(VALU_DEP_4)
	v_cmp_gt_i32_e64 s16, 0, v94
	v_not_b32_e32 v93, v94
	v_not_b32_e32 v94, v95
	v_lshlrev_b32_e32 v188, 24, v92
	v_cmp_gt_i32_e64 s17, 0, v95
	v_cmp_gt_i32_e64 s18, 0, v96
	v_not_b32_e32 v95, v96
	v_cmp_gt_i32_e64 s19, 0, v97
	v_not_b32_e32 v96, v97
	v_not_b32_e32 v97, v187
	v_dual_ashrrev_i32 v93, 31, v93 :: v_dual_ashrrev_i32 v94, 31, v94
	v_xor_b32_e32 v91, s15, v91
	v_not_b32_e32 v189, v188
	v_dual_ashrrev_i32 v95, 31, v95 :: v_dual_ashrrev_i32 v96, 31, v96
	s_delay_alu instid0(VALU_DEP_4) | instskip(SKIP_2) | instid1(VALU_DEP_4)
	v_xor_b32_e32 v93, s16, v93
	v_xor_b32_e32 v94, s17, v94
	v_bitop3_b32 v90, v90, v91, exec_lo bitop3:0x80
	v_xor_b32_e32 v95, s18, v95
	v_xor_b32_e32 v91, s19, v96
	v_cmp_gt_i32_e32 vcc_lo, 0, v187
	v_ashrrev_i32_e32 v96, 31, v97
	v_cmp_gt_i32_e64 s15, 0, v188
	v_ashrrev_i32_e32 v97, 31, v189
	v_bitop3_b32 v90, v90, v94, v93 bitop3:0x80
	v_mad_u32_u24 v93, v92, 36, v148
	v_xor_b32_e32 v94, vcc_lo, v96
	s_delay_alu instid0(VALU_DEP_4) | instskip(NEXT) | instid1(VALU_DEP_4)
	v_xor_b32_e32 v96, s15, v97
	v_bitop3_b32 v90, v90, v91, v95 bitop3:0x80
	ds_load_b32 v187, v93 offset:1056
	v_mul_u32_u24_e32 v91, 36, v92
	; wave barrier
	v_bitop3_b32 v90, v90, v96, v94 bitop3:0x80
	s_delay_alu instid0(VALU_DEP_2) | instskip(NEXT) | instid1(VALU_DEP_2)
	v_add_nc_u32_e32 v189, v148, v91
	v_mbcnt_lo_u32_b32 v188, v90, 0
	v_cmp_ne_u32_e64 s15, 0, v90
	s_delay_alu instid0(VALU_DEP_2) | instskip(SKIP_1) | instid1(SALU_CYCLE_1)
	v_cmp_eq_u32_e32 vcc_lo, 0, v188
	s_and_b32 s16, s15, vcc_lo
	s_and_saveexec_b32 s15, s16
	s_cbranch_execz .LBB833_740
; %bb.739:                              ;   in Loop: Header=BB833_690 Depth=2
	s_wait_dscnt 0x0
	v_bcnt_u32_b32 v90, v90, v187
	ds_store_b32 v189, v90 offset:1056
.LBB833_740:                            ;   in Loop: Header=BB833_690 Depth=2
	s_or_b32 exec_lo, exec_lo, s15
	v_xor_b32_e32 v71, 0x80000000, v71
	; wave barrier
	s_delay_alu instid0(VALU_DEP_1) | instskip(NEXT) | instid1(VALU_DEP_1)
	v_lshrrev_b64 v[90:91], s43, v[70:71]
	v_bitop3_b32 v91, v90, 1, s55 bitop3:0x80
	v_and_b32_e32 v92, s55, v90
	s_delay_alu instid0(VALU_DEP_2) | instskip(NEXT) | instid1(VALU_DEP_1)
	v_add_co_u32 v90, s15, v91, -1
	v_cndmask_b32_e64 v91, 0, 1, s15
	s_delay_alu instid0(VALU_DEP_3) | instskip(NEXT) | instid1(VALU_DEP_2)
	v_lshlrev_b32_e32 v93, 30, v92
	v_cmp_ne_u32_e32 vcc_lo, 0, v91
	s_delay_alu instid0(VALU_DEP_2) | instskip(NEXT) | instid1(VALU_DEP_1)
	v_not_b32_e32 v91, v93
	v_dual_ashrrev_i32 v91, 31, v91 :: v_dual_bitop2_b32 v90, vcc_lo, v90 bitop3:0x14
	v_dual_lshlrev_b32 v94, 29, v92 :: v_dual_lshlrev_b32 v95, 28, v92
	v_dual_lshlrev_b32 v96, 27, v92 :: v_dual_lshlrev_b32 v97, 26, v92
	v_lshlrev_b32_e32 v190, 25, v92
	v_cmp_gt_i32_e64 s15, 0, v93
	s_delay_alu instid0(VALU_DEP_4)
	v_cmp_gt_i32_e64 s16, 0, v94
	v_not_b32_e32 v93, v94
	v_not_b32_e32 v94, v95
	v_lshlrev_b32_e32 v191, 24, v92
	v_cmp_gt_i32_e64 s17, 0, v95
	v_cmp_gt_i32_e64 s18, 0, v96
	v_not_b32_e32 v95, v96
	v_cmp_gt_i32_e64 s19, 0, v97
	v_not_b32_e32 v96, v97
	v_not_b32_e32 v97, v190
	v_dual_ashrrev_i32 v93, 31, v93 :: v_dual_ashrrev_i32 v94, 31, v94
	v_xor_b32_e32 v91, s15, v91
	v_not_b32_e32 v192, v191
	v_dual_ashrrev_i32 v95, 31, v95 :: v_dual_ashrrev_i32 v96, 31, v96
	s_delay_alu instid0(VALU_DEP_4) | instskip(SKIP_2) | instid1(VALU_DEP_4)
	v_xor_b32_e32 v93, s16, v93
	v_xor_b32_e32 v94, s17, v94
	v_bitop3_b32 v90, v90, v91, exec_lo bitop3:0x80
	v_xor_b32_e32 v95, s18, v95
	v_xor_b32_e32 v91, s19, v96
	v_cmp_gt_i32_e32 vcc_lo, 0, v190
	v_ashrrev_i32_e32 v96, 31, v97
	v_cmp_gt_i32_e64 s15, 0, v191
	v_ashrrev_i32_e32 v97, 31, v192
	v_bitop3_b32 v90, v90, v94, v93 bitop3:0x80
	v_mad_u32_u24 v93, v92, 36, v148
	v_xor_b32_e32 v94, vcc_lo, v96
	s_delay_alu instid0(VALU_DEP_4) | instskip(NEXT) | instid1(VALU_DEP_4)
	v_xor_b32_e32 v96, s15, v97
	v_bitop3_b32 v90, v90, v91, v95 bitop3:0x80
	ds_load_b32 v190, v93 offset:1056
	v_mul_u32_u24_e32 v91, 36, v92
	; wave barrier
	v_bitop3_b32 v90, v90, v96, v94 bitop3:0x80
	s_delay_alu instid0(VALU_DEP_2) | instskip(NEXT) | instid1(VALU_DEP_2)
	v_add_nc_u32_e32 v192, v148, v91
	v_mbcnt_lo_u32_b32 v191, v90, 0
	v_cmp_ne_u32_e64 s15, 0, v90
	s_delay_alu instid0(VALU_DEP_2) | instskip(SKIP_1) | instid1(SALU_CYCLE_1)
	v_cmp_eq_u32_e32 vcc_lo, 0, v191
	s_and_b32 s16, s15, vcc_lo
	s_and_saveexec_b32 s15, s16
	s_cbranch_execz .LBB833_742
; %bb.741:                              ;   in Loop: Header=BB833_690 Depth=2
	s_wait_dscnt 0x0
	v_bcnt_u32_b32 v90, v90, v190
	ds_store_b32 v192, v90 offset:1056
.LBB833_742:                            ;   in Loop: Header=BB833_690 Depth=2
	s_or_b32 exec_lo, exec_lo, s15
	v_xor_b32_e32 v77, 0x80000000, v77
	; wave barrier
	s_delay_alu instid0(VALU_DEP_1) | instskip(NEXT) | instid1(VALU_DEP_1)
	v_lshrrev_b64 v[90:91], s43, v[76:77]
	v_bitop3_b32 v91, v90, 1, s55 bitop3:0x80
	v_and_b32_e32 v92, s55, v90
	s_delay_alu instid0(VALU_DEP_2) | instskip(NEXT) | instid1(VALU_DEP_1)
	v_add_co_u32 v90, s15, v91, -1
	v_cndmask_b32_e64 v91, 0, 1, s15
	s_delay_alu instid0(VALU_DEP_3) | instskip(NEXT) | instid1(VALU_DEP_2)
	v_lshlrev_b32_e32 v93, 30, v92
	v_cmp_ne_u32_e32 vcc_lo, 0, v91
	s_delay_alu instid0(VALU_DEP_2) | instskip(NEXT) | instid1(VALU_DEP_1)
	v_not_b32_e32 v91, v93
	v_dual_ashrrev_i32 v91, 31, v91 :: v_dual_bitop2_b32 v90, vcc_lo, v90 bitop3:0x14
	v_dual_lshlrev_b32 v94, 29, v92 :: v_dual_lshlrev_b32 v95, 28, v92
	v_dual_lshlrev_b32 v96, 27, v92 :: v_dual_lshlrev_b32 v97, 26, v92
	v_lshlrev_b32_e32 v193, 25, v92
	v_cmp_gt_i32_e64 s15, 0, v93
	s_delay_alu instid0(VALU_DEP_4)
	v_cmp_gt_i32_e64 s16, 0, v94
	v_not_b32_e32 v93, v94
	v_not_b32_e32 v94, v95
	v_lshlrev_b32_e32 v194, 24, v92
	v_cmp_gt_i32_e64 s17, 0, v95
	v_cmp_gt_i32_e64 s18, 0, v96
	v_not_b32_e32 v95, v96
	v_cmp_gt_i32_e64 s19, 0, v97
	v_not_b32_e32 v96, v97
	v_not_b32_e32 v97, v193
	v_dual_ashrrev_i32 v93, 31, v93 :: v_dual_ashrrev_i32 v94, 31, v94
	v_xor_b32_e32 v91, s15, v91
	v_not_b32_e32 v195, v194
	v_dual_ashrrev_i32 v95, 31, v95 :: v_dual_ashrrev_i32 v96, 31, v96
	s_delay_alu instid0(VALU_DEP_4) | instskip(SKIP_2) | instid1(VALU_DEP_4)
	v_xor_b32_e32 v93, s16, v93
	v_xor_b32_e32 v94, s17, v94
	v_bitop3_b32 v90, v90, v91, exec_lo bitop3:0x80
	v_xor_b32_e32 v95, s18, v95
	v_xor_b32_e32 v91, s19, v96
	v_cmp_gt_i32_e32 vcc_lo, 0, v193
	v_ashrrev_i32_e32 v96, 31, v97
	v_cmp_gt_i32_e64 s15, 0, v194
	v_ashrrev_i32_e32 v97, 31, v195
	v_bitop3_b32 v90, v90, v94, v93 bitop3:0x80
	v_mad_u32_u24 v93, v92, 36, v148
	v_xor_b32_e32 v94, vcc_lo, v96
	s_delay_alu instid0(VALU_DEP_4) | instskip(NEXT) | instid1(VALU_DEP_4)
	v_xor_b32_e32 v96, s15, v97
	v_bitop3_b32 v90, v90, v91, v95 bitop3:0x80
	ds_load_b32 v193, v93 offset:1056
	v_mul_u32_u24_e32 v91, 36, v92
	; wave barrier
	v_bitop3_b32 v90, v90, v96, v94 bitop3:0x80
	s_delay_alu instid0(VALU_DEP_2) | instskip(NEXT) | instid1(VALU_DEP_2)
	v_add_nc_u32_e32 v195, v148, v91
	v_mbcnt_lo_u32_b32 v194, v90, 0
	v_cmp_ne_u32_e64 s15, 0, v90
	s_delay_alu instid0(VALU_DEP_2) | instskip(SKIP_1) | instid1(SALU_CYCLE_1)
	v_cmp_eq_u32_e32 vcc_lo, 0, v194
	s_and_b32 s16, s15, vcc_lo
	s_and_saveexec_b32 s15, s16
	s_cbranch_execz .LBB833_744
; %bb.743:                              ;   in Loop: Header=BB833_690 Depth=2
	s_wait_dscnt 0x0
	v_bcnt_u32_b32 v90, v90, v193
	ds_store_b32 v195, v90 offset:1056
.LBB833_744:                            ;   in Loop: Header=BB833_690 Depth=2
	s_or_b32 exec_lo, exec_lo, s15
	v_xor_b32_e32 v75, 0x80000000, v75
	; wave barrier
	s_delay_alu instid0(VALU_DEP_1) | instskip(NEXT) | instid1(VALU_DEP_1)
	v_lshrrev_b64 v[90:91], s43, v[74:75]
	v_bitop3_b32 v91, v90, 1, s55 bitop3:0x80
	v_and_b32_e32 v92, s55, v90
	s_delay_alu instid0(VALU_DEP_2) | instskip(NEXT) | instid1(VALU_DEP_1)
	v_add_co_u32 v90, s15, v91, -1
	v_cndmask_b32_e64 v91, 0, 1, s15
	s_delay_alu instid0(VALU_DEP_3) | instskip(NEXT) | instid1(VALU_DEP_2)
	v_lshlrev_b32_e32 v93, 30, v92
	v_cmp_ne_u32_e32 vcc_lo, 0, v91
	s_delay_alu instid0(VALU_DEP_2) | instskip(NEXT) | instid1(VALU_DEP_1)
	v_not_b32_e32 v91, v93
	v_dual_ashrrev_i32 v91, 31, v91 :: v_dual_bitop2_b32 v90, vcc_lo, v90 bitop3:0x14
	v_dual_lshlrev_b32 v94, 29, v92 :: v_dual_lshlrev_b32 v95, 28, v92
	v_dual_lshlrev_b32 v96, 27, v92 :: v_dual_lshlrev_b32 v97, 26, v92
	v_lshlrev_b32_e32 v196, 25, v92
	v_cmp_gt_i32_e64 s15, 0, v93
	s_delay_alu instid0(VALU_DEP_4)
	v_cmp_gt_i32_e64 s16, 0, v94
	v_not_b32_e32 v93, v94
	v_not_b32_e32 v94, v95
	v_lshlrev_b32_e32 v197, 24, v92
	v_cmp_gt_i32_e64 s17, 0, v95
	v_cmp_gt_i32_e64 s18, 0, v96
	v_not_b32_e32 v95, v96
	v_cmp_gt_i32_e64 s19, 0, v97
	v_not_b32_e32 v96, v97
	v_not_b32_e32 v97, v196
	v_dual_ashrrev_i32 v93, 31, v93 :: v_dual_ashrrev_i32 v94, 31, v94
	v_xor_b32_e32 v91, s15, v91
	v_not_b32_e32 v198, v197
	v_dual_ashrrev_i32 v95, 31, v95 :: v_dual_ashrrev_i32 v96, 31, v96
	s_delay_alu instid0(VALU_DEP_4) | instskip(SKIP_2) | instid1(VALU_DEP_4)
	v_xor_b32_e32 v93, s16, v93
	v_xor_b32_e32 v94, s17, v94
	v_bitop3_b32 v90, v90, v91, exec_lo bitop3:0x80
	v_xor_b32_e32 v95, s18, v95
	v_xor_b32_e32 v91, s19, v96
	v_cmp_gt_i32_e32 vcc_lo, 0, v196
	v_ashrrev_i32_e32 v96, 31, v97
	v_cmp_gt_i32_e64 s15, 0, v197
	v_ashrrev_i32_e32 v97, 31, v198
	v_bitop3_b32 v90, v90, v94, v93 bitop3:0x80
	v_mad_u32_u24 v93, v92, 36, v148
	v_xor_b32_e32 v94, vcc_lo, v96
	s_delay_alu instid0(VALU_DEP_4) | instskip(NEXT) | instid1(VALU_DEP_4)
	v_xor_b32_e32 v96, s15, v97
	v_bitop3_b32 v90, v90, v91, v95 bitop3:0x80
	ds_load_b32 v196, v93 offset:1056
	v_mul_u32_u24_e32 v91, 36, v92
	; wave barrier
	v_bitop3_b32 v90, v90, v96, v94 bitop3:0x80
	s_delay_alu instid0(VALU_DEP_2) | instskip(NEXT) | instid1(VALU_DEP_2)
	v_add_nc_u32_e32 v198, v148, v91
	v_mbcnt_lo_u32_b32 v197, v90, 0
	v_cmp_ne_u32_e64 s15, 0, v90
	s_delay_alu instid0(VALU_DEP_2) | instskip(SKIP_1) | instid1(SALU_CYCLE_1)
	v_cmp_eq_u32_e32 vcc_lo, 0, v197
	s_and_b32 s16, s15, vcc_lo
	s_and_saveexec_b32 s15, s16
	s_cbranch_execz .LBB833_746
; %bb.745:                              ;   in Loop: Header=BB833_690 Depth=2
	s_wait_dscnt 0x0
	v_bcnt_u32_b32 v90, v90, v196
	ds_store_b32 v198, v90 offset:1056
.LBB833_746:                            ;   in Loop: Header=BB833_690 Depth=2
	s_or_b32 exec_lo, exec_lo, s15
	v_xor_b32_e32 v81, 0x80000000, v81
	; wave barrier
	s_delay_alu instid0(VALU_DEP_1) | instskip(NEXT) | instid1(VALU_DEP_1)
	v_lshrrev_b64 v[90:91], s43, v[80:81]
	v_bitop3_b32 v91, v90, 1, s55 bitop3:0x80
	v_and_b32_e32 v92, s55, v90
	s_delay_alu instid0(VALU_DEP_2) | instskip(NEXT) | instid1(VALU_DEP_1)
	v_add_co_u32 v90, s15, v91, -1
	v_cndmask_b32_e64 v91, 0, 1, s15
	s_delay_alu instid0(VALU_DEP_3) | instskip(NEXT) | instid1(VALU_DEP_2)
	v_lshlrev_b32_e32 v93, 30, v92
	v_cmp_ne_u32_e32 vcc_lo, 0, v91
	s_delay_alu instid0(VALU_DEP_2) | instskip(NEXT) | instid1(VALU_DEP_1)
	v_not_b32_e32 v91, v93
	v_dual_ashrrev_i32 v91, 31, v91 :: v_dual_bitop2_b32 v90, vcc_lo, v90 bitop3:0x14
	v_dual_lshlrev_b32 v94, 29, v92 :: v_dual_lshlrev_b32 v95, 28, v92
	v_dual_lshlrev_b32 v96, 27, v92 :: v_dual_lshlrev_b32 v97, 26, v92
	v_lshlrev_b32_e32 v199, 25, v92
	v_cmp_gt_i32_e64 s15, 0, v93
	s_delay_alu instid0(VALU_DEP_4)
	v_cmp_gt_i32_e64 s16, 0, v94
	v_not_b32_e32 v93, v94
	v_not_b32_e32 v94, v95
	v_lshlrev_b32_e32 v200, 24, v92
	v_cmp_gt_i32_e64 s17, 0, v95
	v_cmp_gt_i32_e64 s18, 0, v96
	v_not_b32_e32 v95, v96
	v_cmp_gt_i32_e64 s19, 0, v97
	v_not_b32_e32 v96, v97
	v_not_b32_e32 v97, v199
	v_dual_ashrrev_i32 v93, 31, v93 :: v_dual_ashrrev_i32 v94, 31, v94
	v_xor_b32_e32 v91, s15, v91
	v_not_b32_e32 v201, v200
	v_dual_ashrrev_i32 v95, 31, v95 :: v_dual_ashrrev_i32 v96, 31, v96
	s_delay_alu instid0(VALU_DEP_4) | instskip(SKIP_2) | instid1(VALU_DEP_4)
	v_xor_b32_e32 v93, s16, v93
	v_xor_b32_e32 v94, s17, v94
	v_bitop3_b32 v90, v90, v91, exec_lo bitop3:0x80
	v_xor_b32_e32 v95, s18, v95
	v_xor_b32_e32 v91, s19, v96
	v_cmp_gt_i32_e32 vcc_lo, 0, v199
	v_ashrrev_i32_e32 v96, 31, v97
	v_cmp_gt_i32_e64 s15, 0, v200
	v_ashrrev_i32_e32 v97, 31, v201
	v_bitop3_b32 v90, v90, v94, v93 bitop3:0x80
	v_mad_u32_u24 v93, v92, 36, v148
	v_xor_b32_e32 v94, vcc_lo, v96
	s_delay_alu instid0(VALU_DEP_4) | instskip(NEXT) | instid1(VALU_DEP_4)
	v_xor_b32_e32 v96, s15, v97
	v_bitop3_b32 v90, v90, v91, v95 bitop3:0x80
	ds_load_b32 v199, v93 offset:1056
	v_mul_u32_u24_e32 v91, 36, v92
	; wave barrier
	v_bitop3_b32 v90, v90, v96, v94 bitop3:0x80
	s_delay_alu instid0(VALU_DEP_2) | instskip(NEXT) | instid1(VALU_DEP_2)
	v_add_nc_u32_e32 v202, v148, v91
	v_mbcnt_lo_u32_b32 v200, v90, 0
	v_cmp_ne_u32_e64 s15, 0, v90
	s_delay_alu instid0(VALU_DEP_2) | instskip(SKIP_1) | instid1(SALU_CYCLE_1)
	v_cmp_eq_u32_e32 vcc_lo, 0, v200
	s_and_b32 s16, s15, vcc_lo
	s_and_saveexec_b32 s15, s16
	s_cbranch_execz .LBB833_748
; %bb.747:                              ;   in Loop: Header=BB833_690 Depth=2
	s_wait_dscnt 0x0
	v_bcnt_u32_b32 v90, v90, v199
	ds_store_b32 v202, v90 offset:1056
.LBB833_748:                            ;   in Loop: Header=BB833_690 Depth=2
	s_or_b32 exec_lo, exec_lo, s15
	v_xor_b32_e32 v79, 0x80000000, v79
	; wave barrier
	s_delay_alu instid0(VALU_DEP_1) | instskip(NEXT) | instid1(VALU_DEP_1)
	v_lshrrev_b64 v[90:91], s43, v[78:79]
	v_bitop3_b32 v91, v90, 1, s55 bitop3:0x80
	v_and_b32_e32 v92, s55, v90
	s_delay_alu instid0(VALU_DEP_2) | instskip(NEXT) | instid1(VALU_DEP_1)
	v_add_co_u32 v90, s15, v91, -1
	v_cndmask_b32_e64 v91, 0, 1, s15
	s_delay_alu instid0(VALU_DEP_3) | instskip(NEXT) | instid1(VALU_DEP_2)
	v_lshlrev_b32_e32 v93, 30, v92
	v_cmp_ne_u32_e32 vcc_lo, 0, v91
	s_delay_alu instid0(VALU_DEP_2) | instskip(NEXT) | instid1(VALU_DEP_1)
	v_not_b32_e32 v91, v93
	v_dual_ashrrev_i32 v91, 31, v91 :: v_dual_bitop2_b32 v90, vcc_lo, v90 bitop3:0x14
	v_dual_lshlrev_b32 v94, 29, v92 :: v_dual_lshlrev_b32 v95, 28, v92
	v_dual_lshlrev_b32 v96, 27, v92 :: v_dual_lshlrev_b32 v97, 26, v92
	v_lshlrev_b32_e32 v201, 25, v92
	v_cmp_gt_i32_e64 s15, 0, v93
	s_delay_alu instid0(VALU_DEP_4)
	v_cmp_gt_i32_e64 s16, 0, v94
	v_not_b32_e32 v93, v94
	v_not_b32_e32 v94, v95
	v_lshlrev_b32_e32 v203, 24, v92
	v_cmp_gt_i32_e64 s17, 0, v95
	v_cmp_gt_i32_e64 s18, 0, v96
	v_not_b32_e32 v95, v96
	v_cmp_gt_i32_e64 s19, 0, v97
	v_not_b32_e32 v96, v97
	v_not_b32_e32 v97, v201
	v_dual_ashrrev_i32 v93, 31, v93 :: v_dual_ashrrev_i32 v94, 31, v94
	v_xor_b32_e32 v91, s15, v91
	v_not_b32_e32 v204, v203
	v_dual_ashrrev_i32 v95, 31, v95 :: v_dual_ashrrev_i32 v96, 31, v96
	s_delay_alu instid0(VALU_DEP_4) | instskip(SKIP_2) | instid1(VALU_DEP_4)
	v_xor_b32_e32 v93, s16, v93
	v_xor_b32_e32 v94, s17, v94
	v_bitop3_b32 v90, v90, v91, exec_lo bitop3:0x80
	v_xor_b32_e32 v95, s18, v95
	v_xor_b32_e32 v91, s19, v96
	v_cmp_gt_i32_e32 vcc_lo, 0, v201
	v_ashrrev_i32_e32 v96, 31, v97
	v_cmp_gt_i32_e64 s15, 0, v203
	v_ashrrev_i32_e32 v97, 31, v204
	v_bitop3_b32 v90, v90, v94, v93 bitop3:0x80
	v_mad_u32_u24 v93, v92, 36, v148
	v_xor_b32_e32 v94, vcc_lo, v96
	s_delay_alu instid0(VALU_DEP_4) | instskip(NEXT) | instid1(VALU_DEP_4)
	v_xor_b32_e32 v96, s15, v97
	v_bitop3_b32 v90, v90, v91, v95 bitop3:0x80
	ds_load_b32 v201, v93 offset:1056
	v_mul_u32_u24_e32 v91, 36, v92
	; wave barrier
	v_bitop3_b32 v90, v90, v96, v94 bitop3:0x80
	s_delay_alu instid0(VALU_DEP_2) | instskip(NEXT) | instid1(VALU_DEP_2)
	v_add_nc_u32_e32 v206, v148, v91
	v_mbcnt_lo_u32_b32 v203, v90, 0
	v_cmp_ne_u32_e64 s15, 0, v90
	s_delay_alu instid0(VALU_DEP_2) | instskip(SKIP_1) | instid1(SALU_CYCLE_1)
	v_cmp_eq_u32_e32 vcc_lo, 0, v203
	s_and_b32 s16, s15, vcc_lo
	s_and_saveexec_b32 s15, s16
	s_cbranch_execz .LBB833_750
; %bb.749:                              ;   in Loop: Header=BB833_690 Depth=2
	s_wait_dscnt 0x0
	v_bcnt_u32_b32 v90, v90, v201
	ds_store_b32 v206, v90 offset:1056
.LBB833_750:                            ;   in Loop: Header=BB833_690 Depth=2
	s_or_b32 exec_lo, exec_lo, s15
	v_xor_b32_e32 v85, 0x80000000, v85
	; wave barrier
	s_delay_alu instid0(VALU_DEP_1) | instskip(NEXT) | instid1(VALU_DEP_1)
	v_lshrrev_b64 v[90:91], s43, v[84:85]
	v_bitop3_b32 v91, v90, 1, s55 bitop3:0x80
	v_and_b32_e32 v92, s55, v90
	s_delay_alu instid0(VALU_DEP_2) | instskip(NEXT) | instid1(VALU_DEP_1)
	v_add_co_u32 v90, s15, v91, -1
	v_cndmask_b32_e64 v91, 0, 1, s15
	s_delay_alu instid0(VALU_DEP_3) | instskip(NEXT) | instid1(VALU_DEP_2)
	v_lshlrev_b32_e32 v93, 30, v92
	v_cmp_ne_u32_e32 vcc_lo, 0, v91
	s_delay_alu instid0(VALU_DEP_2) | instskip(NEXT) | instid1(VALU_DEP_1)
	v_not_b32_e32 v91, v93
	v_dual_ashrrev_i32 v91, 31, v91 :: v_dual_bitop2_b32 v90, vcc_lo, v90 bitop3:0x14
	v_dual_lshlrev_b32 v94, 29, v92 :: v_dual_lshlrev_b32 v95, 28, v92
	v_dual_lshlrev_b32 v96, 27, v92 :: v_dual_lshlrev_b32 v97, 26, v92
	v_lshlrev_b32_e32 v204, 25, v92
	v_cmp_gt_i32_e64 s15, 0, v93
	s_delay_alu instid0(VALU_DEP_4)
	v_cmp_gt_i32_e64 s16, 0, v94
	v_not_b32_e32 v93, v94
	v_not_b32_e32 v94, v95
	v_lshlrev_b32_e32 v205, 24, v92
	v_cmp_gt_i32_e64 s17, 0, v95
	v_cmp_gt_i32_e64 s18, 0, v96
	v_not_b32_e32 v95, v96
	v_cmp_gt_i32_e64 s19, 0, v97
	v_not_b32_e32 v96, v97
	v_not_b32_e32 v97, v204
	v_dual_ashrrev_i32 v93, 31, v93 :: v_dual_ashrrev_i32 v94, 31, v94
	v_xor_b32_e32 v91, s15, v91
	v_not_b32_e32 v207, v205
	v_dual_ashrrev_i32 v95, 31, v95 :: v_dual_ashrrev_i32 v96, 31, v96
	s_delay_alu instid0(VALU_DEP_4) | instskip(SKIP_2) | instid1(VALU_DEP_4)
	v_xor_b32_e32 v93, s16, v93
	v_xor_b32_e32 v94, s17, v94
	v_bitop3_b32 v90, v90, v91, exec_lo bitop3:0x80
	v_xor_b32_e32 v95, s18, v95
	v_xor_b32_e32 v91, s19, v96
	v_cmp_gt_i32_e32 vcc_lo, 0, v204
	v_ashrrev_i32_e32 v96, 31, v97
	v_cmp_gt_i32_e64 s15, 0, v205
	v_ashrrev_i32_e32 v97, 31, v207
	v_bitop3_b32 v90, v90, v94, v93 bitop3:0x80
	v_mad_u32_u24 v93, v92, 36, v148
	v_xor_b32_e32 v94, vcc_lo, v96
	s_delay_alu instid0(VALU_DEP_4) | instskip(NEXT) | instid1(VALU_DEP_4)
	v_xor_b32_e32 v96, s15, v97
	v_bitop3_b32 v90, v90, v91, v95 bitop3:0x80
	ds_load_b32 v204, v93 offset:1056
	v_mul_u32_u24_e32 v91, 36, v92
	; wave barrier
	v_bitop3_b32 v90, v90, v96, v94 bitop3:0x80
	s_delay_alu instid0(VALU_DEP_2) | instskip(NEXT) | instid1(VALU_DEP_2)
	v_add_nc_u32_e32 v209, v148, v91
	v_mbcnt_lo_u32_b32 v205, v90, 0
	v_cmp_ne_u32_e64 s15, 0, v90
	s_delay_alu instid0(VALU_DEP_2) | instskip(SKIP_1) | instid1(SALU_CYCLE_1)
	v_cmp_eq_u32_e32 vcc_lo, 0, v205
	s_and_b32 s16, s15, vcc_lo
	s_and_saveexec_b32 s15, s16
	s_cbranch_execz .LBB833_752
; %bb.751:                              ;   in Loop: Header=BB833_690 Depth=2
	s_wait_dscnt 0x0
	v_bcnt_u32_b32 v90, v90, v204
	ds_store_b32 v209, v90 offset:1056
.LBB833_752:                            ;   in Loop: Header=BB833_690 Depth=2
	s_or_b32 exec_lo, exec_lo, s15
	v_xor_b32_e32 v83, 0x80000000, v83
	; wave barrier
	s_delay_alu instid0(VALU_DEP_1) | instskip(NEXT) | instid1(VALU_DEP_1)
	v_lshrrev_b64 v[90:91], s43, v[82:83]
	v_bitop3_b32 v91, v90, 1, s55 bitop3:0x80
	v_and_b32_e32 v92, s55, v90
	s_delay_alu instid0(VALU_DEP_2) | instskip(NEXT) | instid1(VALU_DEP_1)
	v_add_co_u32 v90, s15, v91, -1
	v_cndmask_b32_e64 v91, 0, 1, s15
	s_delay_alu instid0(VALU_DEP_3) | instskip(NEXT) | instid1(VALU_DEP_2)
	v_lshlrev_b32_e32 v93, 30, v92
	v_cmp_ne_u32_e32 vcc_lo, 0, v91
	s_delay_alu instid0(VALU_DEP_2) | instskip(NEXT) | instid1(VALU_DEP_1)
	v_not_b32_e32 v91, v93
	v_dual_ashrrev_i32 v91, 31, v91 :: v_dual_bitop2_b32 v90, vcc_lo, v90 bitop3:0x14
	v_dual_lshlrev_b32 v94, 29, v92 :: v_dual_lshlrev_b32 v95, 28, v92
	v_dual_lshlrev_b32 v96, 27, v92 :: v_dual_lshlrev_b32 v97, 26, v92
	v_lshlrev_b32_e32 v207, 25, v92
	v_cmp_gt_i32_e64 s15, 0, v93
	s_delay_alu instid0(VALU_DEP_4)
	v_cmp_gt_i32_e64 s16, 0, v94
	v_not_b32_e32 v93, v94
	v_not_b32_e32 v94, v95
	v_lshlrev_b32_e32 v208, 24, v92
	v_cmp_gt_i32_e64 s17, 0, v95
	v_cmp_gt_i32_e64 s18, 0, v96
	v_not_b32_e32 v95, v96
	v_cmp_gt_i32_e64 s19, 0, v97
	v_not_b32_e32 v96, v97
	v_not_b32_e32 v97, v207
	v_dual_ashrrev_i32 v93, 31, v93 :: v_dual_ashrrev_i32 v94, 31, v94
	v_xor_b32_e32 v91, s15, v91
	v_not_b32_e32 v210, v208
	v_dual_ashrrev_i32 v95, 31, v95 :: v_dual_ashrrev_i32 v96, 31, v96
	s_delay_alu instid0(VALU_DEP_4) | instskip(SKIP_2) | instid1(VALU_DEP_4)
	v_xor_b32_e32 v93, s16, v93
	v_xor_b32_e32 v94, s17, v94
	v_bitop3_b32 v90, v90, v91, exec_lo bitop3:0x80
	v_xor_b32_e32 v95, s18, v95
	v_xor_b32_e32 v91, s19, v96
	v_cmp_gt_i32_e32 vcc_lo, 0, v207
	v_ashrrev_i32_e32 v96, 31, v97
	v_cmp_gt_i32_e64 s15, 0, v208
	v_ashrrev_i32_e32 v97, 31, v210
	v_bitop3_b32 v90, v90, v94, v93 bitop3:0x80
	v_mad_u32_u24 v93, v92, 36, v148
	v_xor_b32_e32 v94, vcc_lo, v96
	s_delay_alu instid0(VALU_DEP_4) | instskip(NEXT) | instid1(VALU_DEP_4)
	v_xor_b32_e32 v96, s15, v97
	v_bitop3_b32 v90, v90, v91, v95 bitop3:0x80
	ds_load_b32 v207, v93 offset:1056
	v_mul_u32_u24_e32 v91, 36, v92
	; wave barrier
	v_bitop3_b32 v90, v90, v96, v94 bitop3:0x80
	s_delay_alu instid0(VALU_DEP_2) | instskip(NEXT) | instid1(VALU_DEP_2)
	v_add_nc_u32_e32 v212, v148, v91
	v_mbcnt_lo_u32_b32 v208, v90, 0
	v_cmp_ne_u32_e64 s15, 0, v90
	s_delay_alu instid0(VALU_DEP_2) | instskip(SKIP_1) | instid1(SALU_CYCLE_1)
	v_cmp_eq_u32_e32 vcc_lo, 0, v208
	s_and_b32 s16, s15, vcc_lo
	s_and_saveexec_b32 s15, s16
	s_cbranch_execz .LBB833_754
; %bb.753:                              ;   in Loop: Header=BB833_690 Depth=2
	s_wait_dscnt 0x0
	v_bcnt_u32_b32 v90, v90, v207
	ds_store_b32 v212, v90 offset:1056
.LBB833_754:                            ;   in Loop: Header=BB833_690 Depth=2
	s_or_b32 exec_lo, exec_lo, s15
	v_xor_b32_e32 v87, 0x80000000, v87
	; wave barrier
	s_delay_alu instid0(VALU_DEP_1) | instskip(NEXT) | instid1(VALU_DEP_1)
	v_lshrrev_b64 v[90:91], s43, v[86:87]
	v_bitop3_b32 v91, v90, 1, s55 bitop3:0x80
	v_and_b32_e32 v92, s55, v90
	s_delay_alu instid0(VALU_DEP_2) | instskip(NEXT) | instid1(VALU_DEP_1)
	v_add_co_u32 v90, s15, v91, -1
	v_cndmask_b32_e64 v91, 0, 1, s15
	s_delay_alu instid0(VALU_DEP_3) | instskip(NEXT) | instid1(VALU_DEP_2)
	v_lshlrev_b32_e32 v93, 30, v92
	v_cmp_ne_u32_e32 vcc_lo, 0, v91
	s_delay_alu instid0(VALU_DEP_2) | instskip(NEXT) | instid1(VALU_DEP_1)
	v_not_b32_e32 v91, v93
	v_dual_ashrrev_i32 v91, 31, v91 :: v_dual_bitop2_b32 v90, vcc_lo, v90 bitop3:0x14
	v_dual_lshlrev_b32 v94, 29, v92 :: v_dual_lshlrev_b32 v95, 28, v92
	v_dual_lshlrev_b32 v96, 27, v92 :: v_dual_lshlrev_b32 v97, 26, v92
	v_lshlrev_b32_e32 v210, 25, v92
	v_cmp_gt_i32_e64 s15, 0, v93
	s_delay_alu instid0(VALU_DEP_4)
	v_cmp_gt_i32_e64 s16, 0, v94
	v_not_b32_e32 v93, v94
	v_not_b32_e32 v94, v95
	v_lshlrev_b32_e32 v211, 24, v92
	v_cmp_gt_i32_e64 s17, 0, v95
	v_cmp_gt_i32_e64 s18, 0, v96
	v_not_b32_e32 v95, v96
	v_cmp_gt_i32_e64 s19, 0, v97
	v_not_b32_e32 v96, v97
	v_not_b32_e32 v97, v210
	v_dual_ashrrev_i32 v93, 31, v93 :: v_dual_ashrrev_i32 v94, 31, v94
	v_xor_b32_e32 v91, s15, v91
	v_not_b32_e32 v213, v211
	v_dual_ashrrev_i32 v95, 31, v95 :: v_dual_ashrrev_i32 v96, 31, v96
	s_delay_alu instid0(VALU_DEP_4) | instskip(SKIP_2) | instid1(VALU_DEP_4)
	v_xor_b32_e32 v93, s16, v93
	v_xor_b32_e32 v94, s17, v94
	v_bitop3_b32 v90, v90, v91, exec_lo bitop3:0x80
	v_xor_b32_e32 v95, s18, v95
	v_xor_b32_e32 v91, s19, v96
	v_cmp_gt_i32_e32 vcc_lo, 0, v210
	v_ashrrev_i32_e32 v96, 31, v97
	v_cmp_gt_i32_e64 s15, 0, v211
	v_ashrrev_i32_e32 v97, 31, v213
	v_bitop3_b32 v90, v90, v94, v93 bitop3:0x80
	v_mad_u32_u24 v93, v92, 36, v148
	v_xor_b32_e32 v94, vcc_lo, v96
	s_delay_alu instid0(VALU_DEP_4) | instskip(NEXT) | instid1(VALU_DEP_4)
	v_xor_b32_e32 v96, s15, v97
	v_bitop3_b32 v90, v90, v91, v95 bitop3:0x80
	ds_load_b32 v210, v93 offset:1056
	v_mul_u32_u24_e32 v91, 36, v92
	; wave barrier
	v_bitop3_b32 v90, v90, v96, v94 bitop3:0x80
	s_delay_alu instid0(VALU_DEP_2) | instskip(NEXT) | instid1(VALU_DEP_2)
	v_add_nc_u32_e32 v215, v148, v91
	v_mbcnt_lo_u32_b32 v211, v90, 0
	v_cmp_ne_u32_e64 s15, 0, v90
	s_delay_alu instid0(VALU_DEP_2) | instskip(SKIP_1) | instid1(SALU_CYCLE_1)
	v_cmp_eq_u32_e32 vcc_lo, 0, v211
	s_and_b32 s16, s15, vcc_lo
	s_and_saveexec_b32 s15, s16
	s_cbranch_execz .LBB833_756
; %bb.755:                              ;   in Loop: Header=BB833_690 Depth=2
	s_wait_dscnt 0x0
	v_bcnt_u32_b32 v90, v90, v210
	ds_store_b32 v215, v90 offset:1056
.LBB833_756:                            ;   in Loop: Header=BB833_690 Depth=2
	s_or_b32 exec_lo, exec_lo, s15
	v_lshrrev_b64 v[90:91], s43, v[88:89]
	; wave barrier
	s_delay_alu instid0(VALU_DEP_1) | instskip(SKIP_1) | instid1(VALU_DEP_2)
	v_bitop3_b32 v91, v90, 1, s55 bitop3:0x80
	v_and_b32_e32 v92, s55, v90
	v_add_co_u32 v90, s15, v91, -1
	s_delay_alu instid0(VALU_DEP_1) | instskip(NEXT) | instid1(VALU_DEP_3)
	v_cndmask_b32_e64 v91, 0, 1, s15
	v_lshlrev_b32_e32 v93, 30, v92
	s_delay_alu instid0(VALU_DEP_2) | instskip(NEXT) | instid1(VALU_DEP_2)
	v_cmp_ne_u32_e32 vcc_lo, 0, v91
	v_not_b32_e32 v91, v93
	s_delay_alu instid0(VALU_DEP_1) | instskip(SKIP_4) | instid1(VALU_DEP_4)
	v_dual_ashrrev_i32 v91, 31, v91 :: v_dual_bitop2_b32 v90, vcc_lo, v90 bitop3:0x14
	v_dual_lshlrev_b32 v94, 29, v92 :: v_dual_lshlrev_b32 v95, 28, v92
	v_dual_lshlrev_b32 v96, 27, v92 :: v_dual_lshlrev_b32 v97, 26, v92
	v_lshlrev_b32_e32 v213, 25, v92
	v_cmp_gt_i32_e64 s15, 0, v93
	v_cmp_gt_i32_e64 s16, 0, v94
	v_not_b32_e32 v93, v94
	v_not_b32_e32 v94, v95
	v_lshlrev_b32_e32 v214, 24, v92
	v_cmp_gt_i32_e64 s17, 0, v95
	v_cmp_gt_i32_e64 s18, 0, v96
	v_not_b32_e32 v95, v96
	v_dual_ashrrev_i32 v93, 31, v93 :: v_dual_ashrrev_i32 v94, 31, v94
	v_xor_b32_e32 v91, s15, v91
	v_not_b32_e32 v96, v97
	v_cmp_gt_i32_e64 s19, 0, v97
	s_delay_alu instid0(VALU_DEP_4)
	v_dual_ashrrev_i32 v95, 31, v95 :: v_dual_bitop2_b32 v93, s16, v93 bitop3:0x14
	v_xor_b32_e32 v94, s17, v94
	v_bitop3_b32 v90, v90, v91, exec_lo bitop3:0x80
	v_ashrrev_i32_e32 v91, 31, v96
	v_not_b32_e32 v96, v213
	v_not_b32_e32 v97, v214
	v_xor_b32_e32 v95, s18, v95
	v_bitop3_b32 v90, v90, v94, v93 bitop3:0x80
	v_xor_b32_e32 v91, s19, v91
	v_cmp_gt_i32_e32 vcc_lo, 0, v213
	v_ashrrev_i32_e32 v93, 31, v96
	v_cmp_gt_i32_e64 s15, 0, v214
	v_ashrrev_i32_e32 v94, 31, v97
	v_mad_u32_u24 v96, v92, 36, v148
	v_bitop3_b32 v90, v90, v91, v95 bitop3:0x80
	v_xor_b32_e32 v91, vcc_lo, v93
	s_delay_alu instid0(VALU_DEP_4) | instskip(SKIP_3) | instid1(VALU_DEP_2)
	v_xor_b32_e32 v93, s15, v94
	ds_load_b32 v213, v96 offset:1056
	; wave barrier
	v_bitop3_b32 v90, v90, v93, v91 bitop3:0x80
	v_mul_u32_u24_e32 v91, 36, v92
	v_mbcnt_lo_u32_b32 v214, v90, 0
	v_cmp_ne_u32_e64 s15, 0, v90
	s_delay_alu instid0(VALU_DEP_3) | instskip(NEXT) | instid1(VALU_DEP_3)
	v_add_nc_u32_e32 v216, v148, v91
	v_cmp_eq_u32_e32 vcc_lo, 0, v214
	s_and_b32 s16, s15, vcc_lo
	s_delay_alu instid0(SALU_CYCLE_1)
	s_and_saveexec_b32 s15, s16
	s_cbranch_execz .LBB833_758
; %bb.757:                              ;   in Loop: Header=BB833_690 Depth=2
	s_wait_dscnt 0x0
	v_bcnt_u32_b32 v90, v90, v213
	ds_store_b32 v216, v90 offset:1056
.LBB833_758:                            ;   in Loop: Header=BB833_690 Depth=2
	s_or_b32 exec_lo, exec_lo, s15
	; wave barrier
	s_wait_dscnt 0x0
	s_barrier_signal -1
	s_barrier_wait -1
	ds_load_2addr_b32 v[96:97], v168 offset1:1
	ds_load_2addr_b32 v[94:95], v169 offset1:1
	ds_load_2addr_b32 v[92:93], v170 offset1:1
	ds_load_2addr_b32 v[90:91], v167 offset1:1
	ds_load_b32 v217, v120 offset:1088
	s_wait_dscnt 0x3
	v_add3_u32 v218, v97, v96, v94
	s_wait_dscnt 0x2
	s_delay_alu instid0(VALU_DEP_1) | instskip(SKIP_1) | instid1(VALU_DEP_1)
	v_add3_u32 v218, v218, v95, v92
	s_wait_dscnt 0x1
	v_add3_u32 v218, v218, v93, v90
	s_wait_dscnt 0x0
	s_delay_alu instid0(VALU_DEP_1) | instskip(NEXT) | instid1(VALU_DEP_1)
	v_add3_u32 v217, v218, v91, v217
	v_mov_b32_dpp v218, v217 row_shr:1 row_mask:0xf bank_mask:0xf
	s_delay_alu instid0(VALU_DEP_1) | instskip(NEXT) | instid1(VALU_DEP_1)
	v_cndmask_b32_e64 v218, v218, 0, s7
	v_add_nc_u32_e32 v217, v218, v217
	s_delay_alu instid0(VALU_DEP_1) | instskip(NEXT) | instid1(VALU_DEP_1)
	v_mov_b32_dpp v218, v217 row_shr:2 row_mask:0xf bank_mask:0xf
	v_cndmask_b32_e64 v218, 0, v218, s8
	s_delay_alu instid0(VALU_DEP_1) | instskip(NEXT) | instid1(VALU_DEP_1)
	v_add_nc_u32_e32 v217, v217, v218
	v_mov_b32_dpp v218, v217 row_shr:4 row_mask:0xf bank_mask:0xf
	s_delay_alu instid0(VALU_DEP_1) | instskip(NEXT) | instid1(VALU_DEP_1)
	v_cndmask_b32_e64 v218, 0, v218, s9
	v_add_nc_u32_e32 v217, v217, v218
	s_delay_alu instid0(VALU_DEP_1) | instskip(NEXT) | instid1(VALU_DEP_1)
	v_mov_b32_dpp v218, v217 row_shr:8 row_mask:0xf bank_mask:0xf
	v_cndmask_b32_e64 v218, 0, v218, s10
	s_delay_alu instid0(VALU_DEP_1) | instskip(SKIP_3) | instid1(VALU_DEP_1)
	v_add_nc_u32_e32 v217, v217, v218
	ds_swizzle_b32 v218, v217 offset:swizzle(BROADCAST,32,15)
	s_wait_dscnt 0x0
	v_cndmask_b32_e64 v218, v218, 0, s11
	v_add_nc_u32_e32 v217, v217, v218
	s_and_saveexec_b32 s15, s1
; %bb.759:                              ;   in Loop: Header=BB833_690 Depth=2
	ds_store_b32 v114, v217 offset:1024
; %bb.760:                              ;   in Loop: Header=BB833_690 Depth=2
	s_or_b32 exec_lo, exec_lo, s15
	s_wait_dscnt 0x0
	s_barrier_signal -1
	s_barrier_wait -1
	s_and_saveexec_b32 s15, s4
	s_cbranch_execz .LBB833_762
; %bb.761:                              ;   in Loop: Header=BB833_690 Depth=2
	ds_load_b32 v218, v122 offset:1024
	s_wait_dscnt 0x0
	v_mov_b32_dpp v219, v218 row_shr:1 row_mask:0xf bank_mask:0xf
	s_delay_alu instid0(VALU_DEP_1) | instskip(NEXT) | instid1(VALU_DEP_1)
	v_cndmask_b32_e64 v219, v219, 0, s12
	v_add_nc_u32_e32 v218, v219, v218
	s_delay_alu instid0(VALU_DEP_1) | instskip(NEXT) | instid1(VALU_DEP_1)
	v_mov_b32_dpp v219, v218 row_shr:2 row_mask:0xf bank_mask:0xf
	v_cndmask_b32_e64 v219, 0, v219, s13
	s_delay_alu instid0(VALU_DEP_1) | instskip(NEXT) | instid1(VALU_DEP_1)
	v_add_nc_u32_e32 v218, v218, v219
	v_mov_b32_dpp v219, v218 row_shr:4 row_mask:0xf bank_mask:0xf
	s_delay_alu instid0(VALU_DEP_1) | instskip(NEXT) | instid1(VALU_DEP_1)
	v_cndmask_b32_e64 v219, 0, v219, s14
	v_add_nc_u32_e32 v218, v218, v219
	ds_store_b32 v122, v218 offset:1024
.LBB833_762:                            ;   in Loop: Header=BB833_690 Depth=2
	s_or_b32 exec_lo, exec_lo, s15
	v_mov_b32_e32 v218, 0
	s_wait_dscnt 0x0
	s_barrier_signal -1
	s_barrier_wait -1
	s_and_saveexec_b32 s15, s5
; %bb.763:                              ;   in Loop: Header=BB833_690 Depth=2
	ds_load_b32 v218, v114 offset:1020
; %bb.764:                              ;   in Loop: Header=BB833_690 Depth=2
	s_or_b32 exec_lo, exec_lo, s15
	s_wait_dscnt 0x0
	v_add_nc_u32_e32 v217, v218, v217
	ds_bpermute_b32 v217, v147, v217
	s_wait_dscnt 0x0
	v_cndmask_b32_e64 v217, v217, v218, s6
	s_delay_alu instid0(VALU_DEP_1) | instskip(NEXT) | instid1(VALU_DEP_1)
	v_cndmask_b32_e64 v217, v217, 0, s2
	v_add_nc_u32_e32 v96, v217, v96
	s_delay_alu instid0(VALU_DEP_1) | instskip(NEXT) | instid1(VALU_DEP_1)
	v_add_nc_u32_e32 v97, v96, v97
	v_add_nc_u32_e32 v94, v97, v94
	s_delay_alu instid0(VALU_DEP_1) | instskip(NEXT) | instid1(VALU_DEP_1)
	v_add_nc_u32_e32 v95, v94, v95
	;; [unrolled: 3-line block ×3, first 2 shown]
	v_add_nc_u32_e32 v90, v93, v90
	s_delay_alu instid0(VALU_DEP_1)
	v_add_nc_u32_e32 v91, v90, v91
	ds_store_2addr_b32 v167, v93, v90 offset1:1
	ds_store_2addr_b32 v168, v217, v96 offset1:1
	;; [unrolled: 1-line block ×4, first 2 shown]
	ds_store_b32 v120, v91 offset:1088
	s_wait_dscnt 0x0
	s_barrier_signal -1
	s_barrier_wait -1
	ds_load_b32 v91, v171 offset:1056
	ds_load_b32 v218, v174 offset:1056
	;; [unrolled: 1-line block ×17, first 2 shown]
	v_mov_b32_e32 v90, 0x1000
	s_and_saveexec_b32 s15, s3
; %bb.765:                              ;   in Loop: Header=BB833_690 Depth=2
	ds_load_b32 v90, v120 offset:1092
; %bb.766:                              ;   in Loop: Header=BB833_690 Depth=2
	s_or_b32 exec_lo, exec_lo, s15
	s_wait_dscnt 0x0
	s_barrier_signal -1
	s_barrier_wait -1
	s_and_saveexec_b32 s15, s0
	s_cbranch_execz .LBB833_768
; %bb.767:                              ;   in Loop: Header=BB833_690 Depth=2
	ds_load_b32 v183, v3
	s_wait_dscnt 0x0
	v_sub_nc_u32_e32 v180, v183, v180
	ds_store_b32 v3, v180
.LBB833_768:                            ;   in Loop: Header=BB833_690 Depth=2
	s_or_b32 exec_lo, exec_lo, s15
	v_dual_lshlrev_b32 v166, 3, v166 :: v_dual_lshlrev_b32 v173, 3, v173
	v_dual_lshlrev_b32 v172, 3, v172 :: v_dual_lshlrev_b32 v180, 3, v218
	v_lshlrev_b32_e32 v176, 3, v176
	s_delay_alu instid0(VALU_DEP_3)
	v_lshl_add_u32 v91, v91, 3, v166
	v_dual_lshlrev_b32 v166, 3, v175 :: v_dual_lshlrev_b32 v175, 3, v217
	v_dual_lshlrev_b32 v179, 3, v179 :: v_dual_lshlrev_b32 v178, 3, v178
	;; [unrolled: 1-line block ×5, first 2 shown]
	v_lshlrev_b32_e32 v185, 3, v92
	ds_store_b64 v91, v[60:61] offset:1024
	v_add3_u32 v60, v173, v172, v180
	v_add3_u32 v61, v176, v166, v175
	v_add3_u32 v92, v179, v178, v94
	v_add3_u32 v93, v182, v181, v93
	v_add3_u32 v94, v183, v184, v185
	ds_store_b64 v60, v[58:59] offset:1024
	ds_store_b64 v61, v[64:65] offset:1024
	;; [unrolled: 1-line block ×5, first 2 shown]
	v_dual_lshlrev_b32 v58, 3, v188 :: v_dual_lshlrev_b32 v63, 3, v191
	v_dual_lshlrev_b32 v59, 3, v187 :: v_dual_lshlrev_b32 v62, 3, v177
	;; [unrolled: 1-line block ×7, first 2 shown]
	v_lshlrev_b32_e32 v169, 3, v169
	v_add3_u32 v62, v58, v59, v62
	v_add3_u32 v63, v63, v64, v65
	;; [unrolled: 1-line block ×4, first 2 shown]
	v_lshlrev_b32_e32 v58, 3, v203
	v_add3_u32 v66, v171, v172, v169
	ds_store_b64 v62, v[72:73] offset:1024
	ds_store_b64 v63, v[70:71] offset:1024
	;; [unrolled: 1-line block ×5, first 2 shown]
	v_dual_lshlrev_b32 v59, 3, v201 :: v_dual_lshlrev_b32 v67, 3, v168
	v_dual_lshlrev_b32 v68, 3, v205 :: v_dual_lshlrev_b32 v69, 3, v204
	;; [unrolled: 1-line block ×7, first 2 shown]
	v_add3_u32 v67, v58, v59, v67
	v_add3_u32 v68, v68, v69, v70
	;; [unrolled: 1-line block ×5, first 2 shown]
	v_cmp_lt_u32_e32 vcc_lo, v2, v165
	ds_store_b64 v67, v[78:79] offset:1024
	ds_store_b64 v68, v[84:85] offset:1024
	;; [unrolled: 1-line block ×5, first 2 shown]
	s_wait_dscnt 0x0
	s_barrier_signal -1
	s_barrier_wait -1
	s_and_saveexec_b32 s15, vcc_lo
	s_cbranch_execnz .LBB833_837
; %bb.769:                              ;   in Loop: Header=BB833_690 Depth=2
	s_or_b32 exec_lo, exec_lo, s15
	v_cmp_lt_u32_e64 s15, v98, v165
	s_and_saveexec_b32 s16, s15
	s_cbranch_execnz .LBB833_838
.LBB833_770:                            ;   in Loop: Header=BB833_690 Depth=2
	s_or_b32 exec_lo, exec_lo, s16
	v_cmp_lt_u32_e64 s16, v99, v165
	s_and_saveexec_b32 s17, s16
	s_cbranch_execnz .LBB833_839
.LBB833_771:                            ;   in Loop: Header=BB833_690 Depth=2
	s_or_b32 exec_lo, exec_lo, s17
	v_cmp_lt_u32_e64 s17, v100, v165
	s_and_saveexec_b32 s18, s17
	s_cbranch_execnz .LBB833_840
.LBB833_772:                            ;   in Loop: Header=BB833_690 Depth=2
	s_or_b32 exec_lo, exec_lo, s18
	v_cmp_lt_u32_e64 s18, v101, v165
	s_and_saveexec_b32 s19, s18
	s_cbranch_execnz .LBB833_841
.LBB833_773:                            ;   in Loop: Header=BB833_690 Depth=2
	s_or_b32 exec_lo, exec_lo, s19
	v_cmp_lt_u32_e64 s19, v102, v165
	s_and_saveexec_b32 s20, s19
	s_cbranch_execnz .LBB833_842
.LBB833_774:                            ;   in Loop: Header=BB833_690 Depth=2
	s_or_b32 exec_lo, exec_lo, s20
	v_cmp_lt_u32_e64 s20, v103, v165
	s_and_saveexec_b32 s21, s20
	s_cbranch_execnz .LBB833_843
.LBB833_775:                            ;   in Loop: Header=BB833_690 Depth=2
	s_or_b32 exec_lo, exec_lo, s21
	v_cmp_lt_u32_e64 s21, v104, v165
	s_and_saveexec_b32 s22, s21
	s_cbranch_execnz .LBB833_844
.LBB833_776:                            ;   in Loop: Header=BB833_690 Depth=2
	s_or_b32 exec_lo, exec_lo, s22
	v_cmp_lt_u32_e64 s22, v105, v165
	s_and_saveexec_b32 s23, s22
	s_cbranch_execnz .LBB833_845
.LBB833_777:                            ;   in Loop: Header=BB833_690 Depth=2
	s_or_b32 exec_lo, exec_lo, s23
	v_cmp_lt_u32_e64 s23, v106, v165
	s_and_saveexec_b32 s24, s23
	s_cbranch_execnz .LBB833_846
.LBB833_778:                            ;   in Loop: Header=BB833_690 Depth=2
	s_or_b32 exec_lo, exec_lo, s24
	v_cmp_lt_u32_e64 s24, v107, v165
	s_and_saveexec_b32 s25, s24
	s_cbranch_execnz .LBB833_847
.LBB833_779:                            ;   in Loop: Header=BB833_690 Depth=2
	s_or_b32 exec_lo, exec_lo, s25
	v_cmp_lt_u32_e64 s25, v108, v165
	s_and_saveexec_b32 s26, s25
	s_cbranch_execnz .LBB833_848
.LBB833_780:                            ;   in Loop: Header=BB833_690 Depth=2
	s_or_b32 exec_lo, exec_lo, s26
	v_cmp_lt_u32_e64 s26, v109, v165
	s_and_saveexec_b32 s27, s26
	s_cbranch_execnz .LBB833_849
.LBB833_781:                            ;   in Loop: Header=BB833_690 Depth=2
	s_or_b32 exec_lo, exec_lo, s27
	v_cmp_lt_u32_e64 s27, v110, v165
	s_and_saveexec_b32 s28, s27
	s_cbranch_execnz .LBB833_850
.LBB833_782:                            ;   in Loop: Header=BB833_690 Depth=2
	s_or_b32 exec_lo, exec_lo, s28
	v_cmp_lt_u32_e64 s28, v111, v165
	s_and_saveexec_b32 s29, s28
	s_cbranch_execnz .LBB833_851
.LBB833_783:                            ;   in Loop: Header=BB833_690 Depth=2
	s_or_b32 exec_lo, exec_lo, s29
	v_cmp_lt_u32_e64 s29, v112, v165
	s_and_saveexec_b32 s58, s29
	s_cbranch_execz .LBB833_785
.LBB833_784:                            ;   in Loop: Header=BB833_690 Depth=2
	ds_load_b64 v[58:59], v123 offset:31744
	s_wait_dscnt 0x0
	v_lshrrev_b64 v[72:73], s43, v[58:59]
	v_xor_b32_e32 v59, 0x80000000, v59
	s_delay_alu instid0(VALU_DEP_2) | instskip(NEXT) | instid1(VALU_DEP_1)
	v_and_b32_e32 v72, s55, v72
	v_lshlrev_b32_e32 v72, 2, v72
	ds_load_b32 v72, v72
	s_wait_dscnt 0x0
	v_add_nc_u32_e32 v72, v72, v112
	global_store_b64 v72, v[58:59], s[38:39] scale_offset
.LBB833_785:                            ;   in Loop: Header=BB833_690 Depth=2
	s_wait_xcnt 0x0
	s_or_b32 exec_lo, exec_lo, s58
	v_lshl_add_u64 v[58:59], s[30:31], 3, v[22:23]
	v_cmp_lt_u32_e64 s30, v129, v165
	s_and_saveexec_b32 s58, s30
	s_delay_alu instid0(SALU_CYCLE_1)
	s_xor_b32 s30, exec_lo, s58
	s_cbranch_execnz .LBB833_852
; %bb.786:                              ;   in Loop: Header=BB833_690 Depth=2
	s_or_b32 exec_lo, exec_lo, s30
	s_delay_alu instid0(SALU_CYCLE_1)
	s_mov_b32 s58, exec_lo
	v_cmpx_lt_u32_e64 v132, v165
	s_cbranch_execnz .LBB833_853
.LBB833_787:                            ;   in Loop: Header=BB833_690 Depth=2
	s_or_b32 exec_lo, exec_lo, s58
	s_delay_alu instid0(SALU_CYCLE_1)
	s_mov_b32 s58, exec_lo
	v_cmpx_lt_u32_e64 v133, v165
	s_cbranch_execnz .LBB833_854
.LBB833_788:                            ;   in Loop: Header=BB833_690 Depth=2
	s_or_b32 exec_lo, exec_lo, s58
	s_delay_alu instid0(SALU_CYCLE_1)
	s_mov_b32 s58, exec_lo
	v_cmpx_lt_u32_e64 v134, v165
	s_cbranch_execnz .LBB833_855
.LBB833_789:                            ;   in Loop: Header=BB833_690 Depth=2
	s_or_b32 exec_lo, exec_lo, s58
	s_delay_alu instid0(SALU_CYCLE_1)
	s_mov_b32 s58, exec_lo
	v_cmpx_lt_u32_e64 v135, v165
	s_cbranch_execnz .LBB833_856
.LBB833_790:                            ;   in Loop: Header=BB833_690 Depth=2
	s_or_b32 exec_lo, exec_lo, s58
	s_delay_alu instid0(SALU_CYCLE_1)
	s_mov_b32 s58, exec_lo
	v_cmpx_lt_u32_e64 v136, v165
	s_cbranch_execnz .LBB833_857
.LBB833_791:                            ;   in Loop: Header=BB833_690 Depth=2
	s_or_b32 exec_lo, exec_lo, s58
	s_delay_alu instid0(SALU_CYCLE_1)
	s_mov_b32 s58, exec_lo
	v_cmpx_lt_u32_e64 v137, v165
	s_cbranch_execnz .LBB833_858
.LBB833_792:                            ;   in Loop: Header=BB833_690 Depth=2
	s_or_b32 exec_lo, exec_lo, s58
	s_delay_alu instid0(SALU_CYCLE_1)
	s_mov_b32 s58, exec_lo
	v_cmpx_lt_u32_e64 v138, v165
	s_cbranch_execnz .LBB833_859
.LBB833_793:                            ;   in Loop: Header=BB833_690 Depth=2
	s_or_b32 exec_lo, exec_lo, s58
	s_delay_alu instid0(SALU_CYCLE_1)
	s_mov_b32 s58, exec_lo
	v_cmpx_lt_u32_e64 v139, v165
	s_cbranch_execnz .LBB833_860
.LBB833_794:                            ;   in Loop: Header=BB833_690 Depth=2
	s_or_b32 exec_lo, exec_lo, s58
	s_delay_alu instid0(SALU_CYCLE_1)
	s_mov_b32 s58, exec_lo
	v_cmpx_lt_u32_e64 v140, v165
	s_cbranch_execnz .LBB833_861
.LBB833_795:                            ;   in Loop: Header=BB833_690 Depth=2
	s_or_b32 exec_lo, exec_lo, s58
	s_delay_alu instid0(SALU_CYCLE_1)
	s_mov_b32 s58, exec_lo
	v_cmpx_lt_u32_e64 v141, v165
	s_cbranch_execnz .LBB833_862
.LBB833_796:                            ;   in Loop: Header=BB833_690 Depth=2
	s_or_b32 exec_lo, exec_lo, s58
	s_delay_alu instid0(SALU_CYCLE_1)
	s_mov_b32 s58, exec_lo
	v_cmpx_lt_u32_e64 v142, v165
	s_cbranch_execnz .LBB833_863
.LBB833_797:                            ;   in Loop: Header=BB833_690 Depth=2
	s_or_b32 exec_lo, exec_lo, s58
	s_delay_alu instid0(SALU_CYCLE_1)
	s_mov_b32 s58, exec_lo
	v_cmpx_lt_u32_e64 v143, v165
	s_cbranch_execnz .LBB833_864
.LBB833_798:                            ;   in Loop: Header=BB833_690 Depth=2
	s_or_b32 exec_lo, exec_lo, s58
	s_delay_alu instid0(SALU_CYCLE_1)
	s_mov_b32 s58, exec_lo
	v_cmpx_lt_u32_e64 v144, v165
	s_cbranch_execnz .LBB833_865
.LBB833_799:                            ;   in Loop: Header=BB833_690 Depth=2
	s_or_b32 exec_lo, exec_lo, s58
	s_delay_alu instid0(SALU_CYCLE_1)
	s_mov_b32 s58, exec_lo
	v_cmpx_lt_u32_e64 v145, v165
	s_cbranch_execnz .LBB833_866
.LBB833_800:                            ;   in Loop: Header=BB833_690 Depth=2
	s_or_b32 exec_lo, exec_lo, s58
	s_delay_alu instid0(SALU_CYCLE_1)
	s_mov_b32 s58, exec_lo
	v_cmpx_lt_u32_e64 v146, v165
	s_cbranch_execnz .LBB833_867
.LBB833_801:                            ;   in Loop: Header=BB833_690 Depth=2
	s_or_b32 exec_lo, exec_lo, s58
	s_and_saveexec_b32 s30, vcc_lo
	s_cbranch_execnz .LBB833_868
.LBB833_802:                            ;   in Loop: Header=BB833_690 Depth=2
	s_or_b32 exec_lo, exec_lo, s30
	s_and_saveexec_b32 s30, s15
	s_cbranch_execnz .LBB833_869
.LBB833_803:                            ;   in Loop: Header=BB833_690 Depth=2
	s_or_b32 exec_lo, exec_lo, s30
	s_and_saveexec_b32 s30, s16
	s_cbranch_execnz .LBB833_870
.LBB833_804:                            ;   in Loop: Header=BB833_690 Depth=2
	s_or_b32 exec_lo, exec_lo, s30
	s_and_saveexec_b32 s30, s17
	s_cbranch_execnz .LBB833_871
.LBB833_805:                            ;   in Loop: Header=BB833_690 Depth=2
	s_or_b32 exec_lo, exec_lo, s30
	s_and_saveexec_b32 s30, s18
	s_cbranch_execnz .LBB833_872
.LBB833_806:                            ;   in Loop: Header=BB833_690 Depth=2
	s_or_b32 exec_lo, exec_lo, s30
	s_and_saveexec_b32 s30, s19
	s_cbranch_execnz .LBB833_873
.LBB833_807:                            ;   in Loop: Header=BB833_690 Depth=2
	s_or_b32 exec_lo, exec_lo, s30
	s_and_saveexec_b32 s30, s20
	s_cbranch_execnz .LBB833_874
.LBB833_808:                            ;   in Loop: Header=BB833_690 Depth=2
	s_or_b32 exec_lo, exec_lo, s30
	s_and_saveexec_b32 s30, s21
	s_cbranch_execnz .LBB833_875
.LBB833_809:                            ;   in Loop: Header=BB833_690 Depth=2
	s_or_b32 exec_lo, exec_lo, s30
	s_and_saveexec_b32 s30, s22
	s_cbranch_execnz .LBB833_876
.LBB833_810:                            ;   in Loop: Header=BB833_690 Depth=2
	s_or_b32 exec_lo, exec_lo, s30
	s_and_saveexec_b32 s30, s23
	s_cbranch_execnz .LBB833_877
.LBB833_811:                            ;   in Loop: Header=BB833_690 Depth=2
	s_or_b32 exec_lo, exec_lo, s30
	s_and_saveexec_b32 s30, s24
	s_cbranch_execnz .LBB833_878
.LBB833_812:                            ;   in Loop: Header=BB833_690 Depth=2
	s_or_b32 exec_lo, exec_lo, s30
	s_and_saveexec_b32 s30, s25
	s_cbranch_execnz .LBB833_879
.LBB833_813:                            ;   in Loop: Header=BB833_690 Depth=2
	s_or_b32 exec_lo, exec_lo, s30
	s_and_saveexec_b32 s30, s26
	s_cbranch_execnz .LBB833_880
.LBB833_814:                            ;   in Loop: Header=BB833_690 Depth=2
	s_or_b32 exec_lo, exec_lo, s30
	s_and_saveexec_b32 s30, s27
	s_cbranch_execnz .LBB833_881
.LBB833_815:                            ;   in Loop: Header=BB833_690 Depth=2
	s_or_b32 exec_lo, exec_lo, s30
	s_and_saveexec_b32 s30, s28
	s_cbranch_execnz .LBB833_882
.LBB833_816:                            ;   in Loop: Header=BB833_690 Depth=2
	s_or_b32 exec_lo, exec_lo, s30
	s_and_saveexec_b32 s30, s29
	s_cbranch_execz .LBB833_818
.LBB833_817:                            ;   in Loop: Header=BB833_690 Depth=2
	ds_load_b64 v[58:59], v123 offset:31744
	s_wait_dscnt 0x0
	v_lshrrev_b64 v[58:59], s43, v[58:59]
	s_delay_alu instid0(VALU_DEP_1)
	v_and_b32_e32 v149, s55, v58
.LBB833_818:                            ;   in Loop: Header=BB833_690 Depth=2
	s_or_b32 exec_lo, exec_lo, s30
	s_wait_loadcnt 0x0
	s_wait_storecnt 0x0
	s_barrier_signal -1
	s_barrier_wait -1
	ds_store_b64 v91, v[56:57] offset:1024
	ds_store_b64 v60, v[54:55] offset:1024
	;; [unrolled: 1-line block ×16, first 2 shown]
	s_wait_dscnt 0x0
	s_barrier_signal -1
	s_barrier_wait -1
	s_and_saveexec_b32 s30, vcc_lo
	s_cbranch_execnz .LBB833_883
; %bb.819:                              ;   in Loop: Header=BB833_690 Depth=2
	s_or_b32 exec_lo, exec_lo, s30
	s_and_saveexec_b32 s30, s15
	s_cbranch_execnz .LBB833_884
.LBB833_820:                            ;   in Loop: Header=BB833_690 Depth=2
	s_or_b32 exec_lo, exec_lo, s30
	s_and_saveexec_b32 s15, s16
	s_cbranch_execnz .LBB833_885
.LBB833_821:                            ;   in Loop: Header=BB833_690 Depth=2
	s_or_b32 exec_lo, exec_lo, s15
	s_and_saveexec_b32 s15, s17
	s_cbranch_execnz .LBB833_886
.LBB833_822:                            ;   in Loop: Header=BB833_690 Depth=2
	s_or_b32 exec_lo, exec_lo, s15
	s_and_saveexec_b32 s15, s18
	s_cbranch_execnz .LBB833_887
.LBB833_823:                            ;   in Loop: Header=BB833_690 Depth=2
	s_or_b32 exec_lo, exec_lo, s15
	s_and_saveexec_b32 s15, s19
	s_cbranch_execnz .LBB833_888
.LBB833_824:                            ;   in Loop: Header=BB833_690 Depth=2
	s_or_b32 exec_lo, exec_lo, s15
	s_and_saveexec_b32 s15, s20
	s_cbranch_execnz .LBB833_889
.LBB833_825:                            ;   in Loop: Header=BB833_690 Depth=2
	s_or_b32 exec_lo, exec_lo, s15
	s_and_saveexec_b32 s15, s21
	s_cbranch_execnz .LBB833_890
.LBB833_826:                            ;   in Loop: Header=BB833_690 Depth=2
	s_or_b32 exec_lo, exec_lo, s15
	s_and_saveexec_b32 s15, s22
	s_cbranch_execnz .LBB833_891
.LBB833_827:                            ;   in Loop: Header=BB833_690 Depth=2
	s_or_b32 exec_lo, exec_lo, s15
	s_and_saveexec_b32 s15, s23
	s_cbranch_execnz .LBB833_892
.LBB833_828:                            ;   in Loop: Header=BB833_690 Depth=2
	s_or_b32 exec_lo, exec_lo, s15
	s_and_saveexec_b32 s15, s24
	s_cbranch_execnz .LBB833_893
.LBB833_829:                            ;   in Loop: Header=BB833_690 Depth=2
	s_or_b32 exec_lo, exec_lo, s15
	s_and_saveexec_b32 s15, s25
	s_cbranch_execnz .LBB833_894
.LBB833_830:                            ;   in Loop: Header=BB833_690 Depth=2
	s_or_b32 exec_lo, exec_lo, s15
	s_and_saveexec_b32 s15, s26
	s_cbranch_execnz .LBB833_895
.LBB833_831:                            ;   in Loop: Header=BB833_690 Depth=2
	s_or_b32 exec_lo, exec_lo, s15
	s_and_saveexec_b32 s15, s27
	s_cbranch_execnz .LBB833_896
.LBB833_832:                            ;   in Loop: Header=BB833_690 Depth=2
	s_or_b32 exec_lo, exec_lo, s15
	s_and_saveexec_b32 s15, s28
	s_cbranch_execnz .LBB833_897
.LBB833_833:                            ;   in Loop: Header=BB833_690 Depth=2
	s_or_b32 exec_lo, exec_lo, s15
	s_and_saveexec_b32 s15, s29
	s_cbranch_execz .LBB833_835
.LBB833_834:                            ;   in Loop: Header=BB833_690 Depth=2
	v_lshlrev_b32_e32 v58, 2, v149
	ds_load_b32 v60, v58
	ds_load_b64 v[58:59], v123 offset:31744
	s_wait_dscnt 0x1
	v_add_nc_u32_e32 v60, v60, v112
	s_wait_dscnt 0x0
	global_store_b64 v60, v[58:59], s[44:45] scale_offset
.LBB833_835:                            ;   in Loop: Header=BB833_690 Depth=2
	s_wait_xcnt 0x0
	s_or_b32 exec_lo, exec_lo, s15
	s_wait_storecnt 0x0
	s_barrier_signal -1
	s_barrier_wait -1
	s_and_saveexec_b32 s15, s0
	s_cbranch_execz .LBB833_689
; %bb.836:                              ;   in Loop: Header=BB833_690 Depth=2
	ds_load_b32 v58, v3
	s_wait_dscnt 0x0
	v_add_nc_u32_e32 v58, v58, v90
	ds_store_b32 v3, v58
	s_branch .LBB833_689
.LBB833_837:                            ;   in Loop: Header=BB833_690 Depth=2
	ds_load_b64 v[58:59], v123 offset:1024
	s_wait_dscnt 0x0
	v_lshrrev_b64 v[72:73], s43, v[58:59]
	v_xor_b32_e32 v59, 0x80000000, v59
	s_delay_alu instid0(VALU_DEP_2) | instskip(NEXT) | instid1(VALU_DEP_1)
	v_and_b32_e32 v72, s55, v72
	v_lshlrev_b32_e32 v72, 2, v72
	ds_load_b32 v72, v72
	s_wait_dscnt 0x0
	v_add_nc_u32_e32 v72, v72, v2
	global_store_b64 v72, v[58:59], s[38:39] scale_offset
	s_wait_xcnt 0x0
	s_or_b32 exec_lo, exec_lo, s15
	v_cmp_lt_u32_e64 s15, v98, v165
	s_and_saveexec_b32 s16, s15
	s_cbranch_execz .LBB833_770
.LBB833_838:                            ;   in Loop: Header=BB833_690 Depth=2
	ds_load_b64 v[58:59], v123 offset:3072
	s_wait_dscnt 0x0
	v_lshrrev_b64 v[72:73], s43, v[58:59]
	v_xor_b32_e32 v59, 0x80000000, v59
	s_delay_alu instid0(VALU_DEP_2) | instskip(NEXT) | instid1(VALU_DEP_1)
	v_and_b32_e32 v72, s55, v72
	v_lshlrev_b32_e32 v72, 2, v72
	ds_load_b32 v72, v72
	s_wait_dscnt 0x0
	v_add_nc_u32_e32 v72, v72, v98
	global_store_b64 v72, v[58:59], s[38:39] scale_offset
	s_wait_xcnt 0x0
	s_or_b32 exec_lo, exec_lo, s16
	v_cmp_lt_u32_e64 s16, v99, v165
	s_and_saveexec_b32 s17, s16
	s_cbranch_execz .LBB833_771
.LBB833_839:                            ;   in Loop: Header=BB833_690 Depth=2
	ds_load_b64 v[58:59], v123 offset:5120
	s_wait_dscnt 0x0
	v_lshrrev_b64 v[72:73], s43, v[58:59]
	v_xor_b32_e32 v59, 0x80000000, v59
	s_delay_alu instid0(VALU_DEP_2) | instskip(NEXT) | instid1(VALU_DEP_1)
	v_and_b32_e32 v72, s55, v72
	v_lshlrev_b32_e32 v72, 2, v72
	ds_load_b32 v72, v72
	s_wait_dscnt 0x0
	v_add_nc_u32_e32 v72, v72, v99
	global_store_b64 v72, v[58:59], s[38:39] scale_offset
	s_wait_xcnt 0x0
	s_or_b32 exec_lo, exec_lo, s17
	v_cmp_lt_u32_e64 s17, v100, v165
	s_and_saveexec_b32 s18, s17
	s_cbranch_execz .LBB833_772
.LBB833_840:                            ;   in Loop: Header=BB833_690 Depth=2
	ds_load_b64 v[58:59], v123 offset:7168
	s_wait_dscnt 0x0
	v_lshrrev_b64 v[72:73], s43, v[58:59]
	v_xor_b32_e32 v59, 0x80000000, v59
	s_delay_alu instid0(VALU_DEP_2) | instskip(NEXT) | instid1(VALU_DEP_1)
	v_and_b32_e32 v72, s55, v72
	v_lshlrev_b32_e32 v72, 2, v72
	ds_load_b32 v72, v72
	s_wait_dscnt 0x0
	v_add_nc_u32_e32 v72, v72, v100
	global_store_b64 v72, v[58:59], s[38:39] scale_offset
	s_wait_xcnt 0x0
	s_or_b32 exec_lo, exec_lo, s18
	v_cmp_lt_u32_e64 s18, v101, v165
	s_and_saveexec_b32 s19, s18
	s_cbranch_execz .LBB833_773
.LBB833_841:                            ;   in Loop: Header=BB833_690 Depth=2
	ds_load_b64 v[58:59], v123 offset:9216
	s_wait_dscnt 0x0
	v_lshrrev_b64 v[72:73], s43, v[58:59]
	v_xor_b32_e32 v59, 0x80000000, v59
	s_delay_alu instid0(VALU_DEP_2) | instskip(NEXT) | instid1(VALU_DEP_1)
	v_and_b32_e32 v72, s55, v72
	v_lshlrev_b32_e32 v72, 2, v72
	ds_load_b32 v72, v72
	s_wait_dscnt 0x0
	v_add_nc_u32_e32 v72, v72, v101
	global_store_b64 v72, v[58:59], s[38:39] scale_offset
	s_wait_xcnt 0x0
	s_or_b32 exec_lo, exec_lo, s19
	v_cmp_lt_u32_e64 s19, v102, v165
	s_and_saveexec_b32 s20, s19
	s_cbranch_execz .LBB833_774
.LBB833_842:                            ;   in Loop: Header=BB833_690 Depth=2
	ds_load_b64 v[58:59], v123 offset:11264
	s_wait_dscnt 0x0
	v_lshrrev_b64 v[72:73], s43, v[58:59]
	v_xor_b32_e32 v59, 0x80000000, v59
	s_delay_alu instid0(VALU_DEP_2) | instskip(NEXT) | instid1(VALU_DEP_1)
	v_and_b32_e32 v72, s55, v72
	v_lshlrev_b32_e32 v72, 2, v72
	ds_load_b32 v72, v72
	s_wait_dscnt 0x0
	v_add_nc_u32_e32 v72, v72, v102
	global_store_b64 v72, v[58:59], s[38:39] scale_offset
	s_wait_xcnt 0x0
	s_or_b32 exec_lo, exec_lo, s20
	v_cmp_lt_u32_e64 s20, v103, v165
	s_and_saveexec_b32 s21, s20
	s_cbranch_execz .LBB833_775
.LBB833_843:                            ;   in Loop: Header=BB833_690 Depth=2
	ds_load_b64 v[58:59], v123 offset:13312
	s_wait_dscnt 0x0
	v_lshrrev_b64 v[72:73], s43, v[58:59]
	v_xor_b32_e32 v59, 0x80000000, v59
	s_delay_alu instid0(VALU_DEP_2) | instskip(NEXT) | instid1(VALU_DEP_1)
	v_and_b32_e32 v72, s55, v72
	v_lshlrev_b32_e32 v72, 2, v72
	ds_load_b32 v72, v72
	s_wait_dscnt 0x0
	v_add_nc_u32_e32 v72, v72, v103
	global_store_b64 v72, v[58:59], s[38:39] scale_offset
	s_wait_xcnt 0x0
	s_or_b32 exec_lo, exec_lo, s21
	v_cmp_lt_u32_e64 s21, v104, v165
	s_and_saveexec_b32 s22, s21
	s_cbranch_execz .LBB833_776
.LBB833_844:                            ;   in Loop: Header=BB833_690 Depth=2
	ds_load_b64 v[58:59], v123 offset:15360
	s_wait_dscnt 0x0
	v_lshrrev_b64 v[72:73], s43, v[58:59]
	v_xor_b32_e32 v59, 0x80000000, v59
	s_delay_alu instid0(VALU_DEP_2) | instskip(NEXT) | instid1(VALU_DEP_1)
	v_and_b32_e32 v72, s55, v72
	v_lshlrev_b32_e32 v72, 2, v72
	ds_load_b32 v72, v72
	s_wait_dscnt 0x0
	v_add_nc_u32_e32 v72, v72, v104
	global_store_b64 v72, v[58:59], s[38:39] scale_offset
	s_wait_xcnt 0x0
	s_or_b32 exec_lo, exec_lo, s22
	v_cmp_lt_u32_e64 s22, v105, v165
	s_and_saveexec_b32 s23, s22
	s_cbranch_execz .LBB833_777
.LBB833_845:                            ;   in Loop: Header=BB833_690 Depth=2
	ds_load_b64 v[58:59], v123 offset:17408
	s_wait_dscnt 0x0
	v_lshrrev_b64 v[72:73], s43, v[58:59]
	v_xor_b32_e32 v59, 0x80000000, v59
	s_delay_alu instid0(VALU_DEP_2) | instskip(NEXT) | instid1(VALU_DEP_1)
	v_and_b32_e32 v72, s55, v72
	v_lshlrev_b32_e32 v72, 2, v72
	ds_load_b32 v72, v72
	s_wait_dscnt 0x0
	v_add_nc_u32_e32 v72, v72, v105
	global_store_b64 v72, v[58:59], s[38:39] scale_offset
	s_wait_xcnt 0x0
	s_or_b32 exec_lo, exec_lo, s23
	v_cmp_lt_u32_e64 s23, v106, v165
	s_and_saveexec_b32 s24, s23
	s_cbranch_execz .LBB833_778
.LBB833_846:                            ;   in Loop: Header=BB833_690 Depth=2
	ds_load_b64 v[58:59], v123 offset:19456
	s_wait_dscnt 0x0
	v_lshrrev_b64 v[72:73], s43, v[58:59]
	v_xor_b32_e32 v59, 0x80000000, v59
	s_delay_alu instid0(VALU_DEP_2) | instskip(NEXT) | instid1(VALU_DEP_1)
	v_and_b32_e32 v72, s55, v72
	v_lshlrev_b32_e32 v72, 2, v72
	ds_load_b32 v72, v72
	s_wait_dscnt 0x0
	v_add_nc_u32_e32 v72, v72, v106
	global_store_b64 v72, v[58:59], s[38:39] scale_offset
	s_wait_xcnt 0x0
	s_or_b32 exec_lo, exec_lo, s24
	v_cmp_lt_u32_e64 s24, v107, v165
	s_and_saveexec_b32 s25, s24
	s_cbranch_execz .LBB833_779
.LBB833_847:                            ;   in Loop: Header=BB833_690 Depth=2
	ds_load_b64 v[58:59], v123 offset:21504
	s_wait_dscnt 0x0
	v_lshrrev_b64 v[72:73], s43, v[58:59]
	v_xor_b32_e32 v59, 0x80000000, v59
	s_delay_alu instid0(VALU_DEP_2) | instskip(NEXT) | instid1(VALU_DEP_1)
	v_and_b32_e32 v72, s55, v72
	v_lshlrev_b32_e32 v72, 2, v72
	ds_load_b32 v72, v72
	s_wait_dscnt 0x0
	v_add_nc_u32_e32 v72, v72, v107
	global_store_b64 v72, v[58:59], s[38:39] scale_offset
	s_wait_xcnt 0x0
	s_or_b32 exec_lo, exec_lo, s25
	v_cmp_lt_u32_e64 s25, v108, v165
	s_and_saveexec_b32 s26, s25
	s_cbranch_execz .LBB833_780
.LBB833_848:                            ;   in Loop: Header=BB833_690 Depth=2
	ds_load_b64 v[58:59], v123 offset:23552
	s_wait_dscnt 0x0
	v_lshrrev_b64 v[72:73], s43, v[58:59]
	v_xor_b32_e32 v59, 0x80000000, v59
	s_delay_alu instid0(VALU_DEP_2) | instskip(NEXT) | instid1(VALU_DEP_1)
	v_and_b32_e32 v72, s55, v72
	v_lshlrev_b32_e32 v72, 2, v72
	ds_load_b32 v72, v72
	s_wait_dscnt 0x0
	v_add_nc_u32_e32 v72, v72, v108
	global_store_b64 v72, v[58:59], s[38:39] scale_offset
	s_wait_xcnt 0x0
	s_or_b32 exec_lo, exec_lo, s26
	v_cmp_lt_u32_e64 s26, v109, v165
	s_and_saveexec_b32 s27, s26
	s_cbranch_execz .LBB833_781
.LBB833_849:                            ;   in Loop: Header=BB833_690 Depth=2
	ds_load_b64 v[58:59], v123 offset:25600
	s_wait_dscnt 0x0
	v_lshrrev_b64 v[72:73], s43, v[58:59]
	v_xor_b32_e32 v59, 0x80000000, v59
	s_delay_alu instid0(VALU_DEP_2) | instskip(NEXT) | instid1(VALU_DEP_1)
	v_and_b32_e32 v72, s55, v72
	v_lshlrev_b32_e32 v72, 2, v72
	ds_load_b32 v72, v72
	s_wait_dscnt 0x0
	v_add_nc_u32_e32 v72, v72, v109
	global_store_b64 v72, v[58:59], s[38:39] scale_offset
	s_wait_xcnt 0x0
	s_or_b32 exec_lo, exec_lo, s27
	v_cmp_lt_u32_e64 s27, v110, v165
	s_and_saveexec_b32 s28, s27
	s_cbranch_execz .LBB833_782
.LBB833_850:                            ;   in Loop: Header=BB833_690 Depth=2
	ds_load_b64 v[58:59], v123 offset:27648
	s_wait_dscnt 0x0
	v_lshrrev_b64 v[72:73], s43, v[58:59]
	v_xor_b32_e32 v59, 0x80000000, v59
	s_delay_alu instid0(VALU_DEP_2) | instskip(NEXT) | instid1(VALU_DEP_1)
	v_and_b32_e32 v72, s55, v72
	v_lshlrev_b32_e32 v72, 2, v72
	ds_load_b32 v72, v72
	s_wait_dscnt 0x0
	v_add_nc_u32_e32 v72, v72, v110
	global_store_b64 v72, v[58:59], s[38:39] scale_offset
	s_wait_xcnt 0x0
	s_or_b32 exec_lo, exec_lo, s28
	v_cmp_lt_u32_e64 s28, v111, v165
	s_and_saveexec_b32 s29, s28
	s_cbranch_execz .LBB833_783
.LBB833_851:                            ;   in Loop: Header=BB833_690 Depth=2
	ds_load_b64 v[58:59], v123 offset:29696
	s_wait_dscnt 0x0
	v_lshrrev_b64 v[72:73], s43, v[58:59]
	v_xor_b32_e32 v59, 0x80000000, v59
	s_delay_alu instid0(VALU_DEP_2) | instskip(NEXT) | instid1(VALU_DEP_1)
	v_and_b32_e32 v72, s55, v72
	v_lshlrev_b32_e32 v72, 2, v72
	ds_load_b32 v72, v72
	s_wait_dscnt 0x0
	v_add_nc_u32_e32 v72, v72, v111
	global_store_b64 v72, v[58:59], s[38:39] scale_offset
	s_wait_xcnt 0x0
	s_or_b32 exec_lo, exec_lo, s29
	v_cmp_lt_u32_e64 s29, v112, v165
	s_and_saveexec_b32 s58, s29
	s_cbranch_execnz .LBB833_784
	s_branch .LBB833_785
.LBB833_852:                            ;   in Loop: Header=BB833_690 Depth=2
	global_load_b64 v[56:57], v[58:59], off
	s_wait_xcnt 0x0
	s_or_b32 exec_lo, exec_lo, s30
	s_delay_alu instid0(SALU_CYCLE_1)
	s_mov_b32 s58, exec_lo
	v_cmpx_lt_u32_e64 v132, v165
	s_cbranch_execz .LBB833_787
.LBB833_853:                            ;   in Loop: Header=BB833_690 Depth=2
	global_load_b64 v[54:55], v[58:59], off offset:256
	s_wait_xcnt 0x0
	s_or_b32 exec_lo, exec_lo, s58
	s_delay_alu instid0(SALU_CYCLE_1)
	s_mov_b32 s58, exec_lo
	v_cmpx_lt_u32_e64 v133, v165
	s_cbranch_execz .LBB833_788
.LBB833_854:                            ;   in Loop: Header=BB833_690 Depth=2
	global_load_b64 v[52:53], v[58:59], off offset:512
	s_wait_xcnt 0x0
	s_or_b32 exec_lo, exec_lo, s58
	s_delay_alu instid0(SALU_CYCLE_1)
	s_mov_b32 s58, exec_lo
	v_cmpx_lt_u32_e64 v134, v165
	s_cbranch_execz .LBB833_789
.LBB833_855:                            ;   in Loop: Header=BB833_690 Depth=2
	global_load_b64 v[50:51], v[58:59], off offset:768
	s_wait_xcnt 0x0
	s_or_b32 exec_lo, exec_lo, s58
	s_delay_alu instid0(SALU_CYCLE_1)
	s_mov_b32 s58, exec_lo
	v_cmpx_lt_u32_e64 v135, v165
	s_cbranch_execz .LBB833_790
.LBB833_856:                            ;   in Loop: Header=BB833_690 Depth=2
	global_load_b64 v[48:49], v[58:59], off offset:1024
	s_wait_xcnt 0x0
	s_or_b32 exec_lo, exec_lo, s58
	s_delay_alu instid0(SALU_CYCLE_1)
	s_mov_b32 s58, exec_lo
	v_cmpx_lt_u32_e64 v136, v165
	s_cbranch_execz .LBB833_791
.LBB833_857:                            ;   in Loop: Header=BB833_690 Depth=2
	global_load_b64 v[46:47], v[58:59], off offset:1280
	s_wait_xcnt 0x0
	s_or_b32 exec_lo, exec_lo, s58
	s_delay_alu instid0(SALU_CYCLE_1)
	s_mov_b32 s58, exec_lo
	v_cmpx_lt_u32_e64 v137, v165
	s_cbranch_execz .LBB833_792
.LBB833_858:                            ;   in Loop: Header=BB833_690 Depth=2
	global_load_b64 v[44:45], v[58:59], off offset:1536
	s_wait_xcnt 0x0
	s_or_b32 exec_lo, exec_lo, s58
	s_delay_alu instid0(SALU_CYCLE_1)
	s_mov_b32 s58, exec_lo
	v_cmpx_lt_u32_e64 v138, v165
	s_cbranch_execz .LBB833_793
.LBB833_859:                            ;   in Loop: Header=BB833_690 Depth=2
	global_load_b64 v[42:43], v[58:59], off offset:1792
	s_wait_xcnt 0x0
	s_or_b32 exec_lo, exec_lo, s58
	s_delay_alu instid0(SALU_CYCLE_1)
	s_mov_b32 s58, exec_lo
	v_cmpx_lt_u32_e64 v139, v165
	s_cbranch_execz .LBB833_794
.LBB833_860:                            ;   in Loop: Header=BB833_690 Depth=2
	global_load_b64 v[40:41], v[58:59], off offset:2048
	s_wait_xcnt 0x0
	s_or_b32 exec_lo, exec_lo, s58
	s_delay_alu instid0(SALU_CYCLE_1)
	s_mov_b32 s58, exec_lo
	v_cmpx_lt_u32_e64 v140, v165
	s_cbranch_execz .LBB833_795
.LBB833_861:                            ;   in Loop: Header=BB833_690 Depth=2
	global_load_b64 v[38:39], v[58:59], off offset:2304
	s_wait_xcnt 0x0
	s_or_b32 exec_lo, exec_lo, s58
	s_delay_alu instid0(SALU_CYCLE_1)
	s_mov_b32 s58, exec_lo
	v_cmpx_lt_u32_e64 v141, v165
	s_cbranch_execz .LBB833_796
.LBB833_862:                            ;   in Loop: Header=BB833_690 Depth=2
	global_load_b64 v[36:37], v[58:59], off offset:2560
	s_wait_xcnt 0x0
	s_or_b32 exec_lo, exec_lo, s58
	s_delay_alu instid0(SALU_CYCLE_1)
	s_mov_b32 s58, exec_lo
	v_cmpx_lt_u32_e64 v142, v165
	s_cbranch_execz .LBB833_797
.LBB833_863:                            ;   in Loop: Header=BB833_690 Depth=2
	global_load_b64 v[34:35], v[58:59], off offset:2816
	s_wait_xcnt 0x0
	s_or_b32 exec_lo, exec_lo, s58
	s_delay_alu instid0(SALU_CYCLE_1)
	s_mov_b32 s58, exec_lo
	v_cmpx_lt_u32_e64 v143, v165
	s_cbranch_execz .LBB833_798
.LBB833_864:                            ;   in Loop: Header=BB833_690 Depth=2
	global_load_b64 v[32:33], v[58:59], off offset:3072
	s_wait_xcnt 0x0
	s_or_b32 exec_lo, exec_lo, s58
	s_delay_alu instid0(SALU_CYCLE_1)
	s_mov_b32 s58, exec_lo
	v_cmpx_lt_u32_e64 v144, v165
	s_cbranch_execz .LBB833_799
.LBB833_865:                            ;   in Loop: Header=BB833_690 Depth=2
	global_load_b64 v[30:31], v[58:59], off offset:3328
	s_wait_xcnt 0x0
	s_or_b32 exec_lo, exec_lo, s58
	s_delay_alu instid0(SALU_CYCLE_1)
	s_mov_b32 s58, exec_lo
	v_cmpx_lt_u32_e64 v145, v165
	s_cbranch_execz .LBB833_800
.LBB833_866:                            ;   in Loop: Header=BB833_690 Depth=2
	global_load_b64 v[28:29], v[58:59], off offset:3584
	s_wait_xcnt 0x0
	s_or_b32 exec_lo, exec_lo, s58
	s_delay_alu instid0(SALU_CYCLE_1)
	s_mov_b32 s58, exec_lo
	v_cmpx_lt_u32_e64 v146, v165
	s_cbranch_execz .LBB833_801
.LBB833_867:                            ;   in Loop: Header=BB833_690 Depth=2
	global_load_b64 v[26:27], v[58:59], off offset:3840
	s_wait_xcnt 0x0
	s_or_b32 exec_lo, exec_lo, s58
	s_and_saveexec_b32 s30, vcc_lo
	s_cbranch_execz .LBB833_802
.LBB833_868:                            ;   in Loop: Header=BB833_690 Depth=2
	ds_load_b64 v[58:59], v123 offset:1024
	s_wait_dscnt 0x0
	v_lshrrev_b64 v[58:59], s43, v[58:59]
	s_delay_alu instid0(VALU_DEP_1)
	v_and_b32_e32 v164, s55, v58
	s_or_b32 exec_lo, exec_lo, s30
	s_and_saveexec_b32 s30, s15
	s_cbranch_execz .LBB833_803
.LBB833_869:                            ;   in Loop: Header=BB833_690 Depth=2
	ds_load_b64 v[58:59], v123 offset:3072
	s_wait_dscnt 0x0
	v_lshrrev_b64 v[58:59], s43, v[58:59]
	s_delay_alu instid0(VALU_DEP_1)
	v_and_b32_e32 v163, s55, v58
	s_or_b32 exec_lo, exec_lo, s30
	s_and_saveexec_b32 s30, s16
	s_cbranch_execz .LBB833_804
.LBB833_870:                            ;   in Loop: Header=BB833_690 Depth=2
	ds_load_b64 v[58:59], v123 offset:5120
	s_wait_dscnt 0x0
	v_lshrrev_b64 v[58:59], s43, v[58:59]
	s_delay_alu instid0(VALU_DEP_1)
	v_and_b32_e32 v162, s55, v58
	s_or_b32 exec_lo, exec_lo, s30
	s_and_saveexec_b32 s30, s17
	s_cbranch_execz .LBB833_805
.LBB833_871:                            ;   in Loop: Header=BB833_690 Depth=2
	ds_load_b64 v[58:59], v123 offset:7168
	s_wait_dscnt 0x0
	v_lshrrev_b64 v[58:59], s43, v[58:59]
	s_delay_alu instid0(VALU_DEP_1)
	v_and_b32_e32 v161, s55, v58
	s_or_b32 exec_lo, exec_lo, s30
	s_and_saveexec_b32 s30, s18
	s_cbranch_execz .LBB833_806
.LBB833_872:                            ;   in Loop: Header=BB833_690 Depth=2
	ds_load_b64 v[58:59], v123 offset:9216
	s_wait_dscnt 0x0
	v_lshrrev_b64 v[58:59], s43, v[58:59]
	s_delay_alu instid0(VALU_DEP_1)
	v_and_b32_e32 v160, s55, v58
	s_or_b32 exec_lo, exec_lo, s30
	s_and_saveexec_b32 s30, s19
	s_cbranch_execz .LBB833_807
.LBB833_873:                            ;   in Loop: Header=BB833_690 Depth=2
	ds_load_b64 v[58:59], v123 offset:11264
	s_wait_dscnt 0x0
	v_lshrrev_b64 v[58:59], s43, v[58:59]
	s_delay_alu instid0(VALU_DEP_1)
	v_and_b32_e32 v159, s55, v58
	s_or_b32 exec_lo, exec_lo, s30
	s_and_saveexec_b32 s30, s20
	s_cbranch_execz .LBB833_808
.LBB833_874:                            ;   in Loop: Header=BB833_690 Depth=2
	ds_load_b64 v[58:59], v123 offset:13312
	s_wait_dscnt 0x0
	v_lshrrev_b64 v[58:59], s43, v[58:59]
	s_delay_alu instid0(VALU_DEP_1)
	v_and_b32_e32 v158, s55, v58
	s_or_b32 exec_lo, exec_lo, s30
	s_and_saveexec_b32 s30, s21
	s_cbranch_execz .LBB833_809
.LBB833_875:                            ;   in Loop: Header=BB833_690 Depth=2
	ds_load_b64 v[58:59], v123 offset:15360
	s_wait_dscnt 0x0
	v_lshrrev_b64 v[58:59], s43, v[58:59]
	s_delay_alu instid0(VALU_DEP_1)
	v_and_b32_e32 v157, s55, v58
	s_or_b32 exec_lo, exec_lo, s30
	s_and_saveexec_b32 s30, s22
	s_cbranch_execz .LBB833_810
.LBB833_876:                            ;   in Loop: Header=BB833_690 Depth=2
	ds_load_b64 v[58:59], v123 offset:17408
	s_wait_dscnt 0x0
	v_lshrrev_b64 v[58:59], s43, v[58:59]
	s_delay_alu instid0(VALU_DEP_1)
	v_and_b32_e32 v156, s55, v58
	s_or_b32 exec_lo, exec_lo, s30
	s_and_saveexec_b32 s30, s23
	s_cbranch_execz .LBB833_811
.LBB833_877:                            ;   in Loop: Header=BB833_690 Depth=2
	ds_load_b64 v[58:59], v123 offset:19456
	s_wait_dscnt 0x0
	v_lshrrev_b64 v[58:59], s43, v[58:59]
	s_delay_alu instid0(VALU_DEP_1)
	v_and_b32_e32 v155, s55, v58
	s_or_b32 exec_lo, exec_lo, s30
	s_and_saveexec_b32 s30, s24
	s_cbranch_execz .LBB833_812
.LBB833_878:                            ;   in Loop: Header=BB833_690 Depth=2
	ds_load_b64 v[58:59], v123 offset:21504
	s_wait_dscnt 0x0
	v_lshrrev_b64 v[58:59], s43, v[58:59]
	s_delay_alu instid0(VALU_DEP_1)
	v_and_b32_e32 v154, s55, v58
	s_or_b32 exec_lo, exec_lo, s30
	s_and_saveexec_b32 s30, s25
	s_cbranch_execz .LBB833_813
.LBB833_879:                            ;   in Loop: Header=BB833_690 Depth=2
	ds_load_b64 v[58:59], v123 offset:23552
	s_wait_dscnt 0x0
	v_lshrrev_b64 v[58:59], s43, v[58:59]
	s_delay_alu instid0(VALU_DEP_1)
	v_and_b32_e32 v153, s55, v58
	s_or_b32 exec_lo, exec_lo, s30
	s_and_saveexec_b32 s30, s26
	s_cbranch_execz .LBB833_814
.LBB833_880:                            ;   in Loop: Header=BB833_690 Depth=2
	ds_load_b64 v[58:59], v123 offset:25600
	s_wait_dscnt 0x0
	v_lshrrev_b64 v[58:59], s43, v[58:59]
	s_delay_alu instid0(VALU_DEP_1)
	v_and_b32_e32 v152, s55, v58
	s_or_b32 exec_lo, exec_lo, s30
	s_and_saveexec_b32 s30, s27
	s_cbranch_execz .LBB833_815
.LBB833_881:                            ;   in Loop: Header=BB833_690 Depth=2
	ds_load_b64 v[58:59], v123 offset:27648
	s_wait_dscnt 0x0
	v_lshrrev_b64 v[58:59], s43, v[58:59]
	s_delay_alu instid0(VALU_DEP_1)
	v_and_b32_e32 v151, s55, v58
	s_or_b32 exec_lo, exec_lo, s30
	s_and_saveexec_b32 s30, s28
	s_cbranch_execz .LBB833_816
.LBB833_882:                            ;   in Loop: Header=BB833_690 Depth=2
	ds_load_b64 v[58:59], v123 offset:29696
	s_wait_dscnt 0x0
	v_lshrrev_b64 v[58:59], s43, v[58:59]
	s_delay_alu instid0(VALU_DEP_1)
	v_and_b32_e32 v150, s55, v58
	s_or_b32 exec_lo, exec_lo, s30
	s_and_saveexec_b32 s30, s29
	s_cbranch_execnz .LBB833_817
	s_branch .LBB833_818
.LBB833_883:                            ;   in Loop: Header=BB833_690 Depth=2
	v_lshlrev_b32_e32 v58, 2, v164
	ds_load_b32 v60, v58
	ds_load_b64 v[58:59], v123 offset:1024
	s_wait_dscnt 0x1
	v_add_nc_u32_e32 v60, v60, v2
	s_wait_dscnt 0x0
	global_store_b64 v60, v[58:59], s[44:45] scale_offset
	s_wait_xcnt 0x0
	s_or_b32 exec_lo, exec_lo, s30
	s_and_saveexec_b32 s30, s15
	s_cbranch_execz .LBB833_820
.LBB833_884:                            ;   in Loop: Header=BB833_690 Depth=2
	v_lshlrev_b32_e32 v58, 2, v163
	ds_load_b32 v60, v58
	ds_load_b64 v[58:59], v123 offset:3072
	s_wait_dscnt 0x1
	v_add_nc_u32_e32 v60, v60, v98
	s_wait_dscnt 0x0
	global_store_b64 v60, v[58:59], s[44:45] scale_offset
	s_wait_xcnt 0x0
	s_or_b32 exec_lo, exec_lo, s30
	s_and_saveexec_b32 s15, s16
	s_cbranch_execz .LBB833_821
.LBB833_885:                            ;   in Loop: Header=BB833_690 Depth=2
	v_lshlrev_b32_e32 v58, 2, v162
	ds_load_b32 v60, v58
	ds_load_b64 v[58:59], v123 offset:5120
	s_wait_dscnt 0x1
	v_add_nc_u32_e32 v60, v60, v99
	s_wait_dscnt 0x0
	global_store_b64 v60, v[58:59], s[44:45] scale_offset
	s_wait_xcnt 0x0
	s_or_b32 exec_lo, exec_lo, s15
	s_and_saveexec_b32 s15, s17
	s_cbranch_execz .LBB833_822
.LBB833_886:                            ;   in Loop: Header=BB833_690 Depth=2
	v_lshlrev_b32_e32 v58, 2, v161
	ds_load_b32 v60, v58
	ds_load_b64 v[58:59], v123 offset:7168
	s_wait_dscnt 0x1
	v_add_nc_u32_e32 v60, v60, v100
	s_wait_dscnt 0x0
	global_store_b64 v60, v[58:59], s[44:45] scale_offset
	s_wait_xcnt 0x0
	s_or_b32 exec_lo, exec_lo, s15
	s_and_saveexec_b32 s15, s18
	s_cbranch_execz .LBB833_823
.LBB833_887:                            ;   in Loop: Header=BB833_690 Depth=2
	v_lshlrev_b32_e32 v58, 2, v160
	ds_load_b32 v60, v58
	ds_load_b64 v[58:59], v123 offset:9216
	s_wait_dscnt 0x1
	v_add_nc_u32_e32 v60, v60, v101
	s_wait_dscnt 0x0
	global_store_b64 v60, v[58:59], s[44:45] scale_offset
	s_wait_xcnt 0x0
	s_or_b32 exec_lo, exec_lo, s15
	s_and_saveexec_b32 s15, s19
	s_cbranch_execz .LBB833_824
.LBB833_888:                            ;   in Loop: Header=BB833_690 Depth=2
	v_lshlrev_b32_e32 v58, 2, v159
	ds_load_b32 v60, v58
	ds_load_b64 v[58:59], v123 offset:11264
	s_wait_dscnt 0x1
	v_add_nc_u32_e32 v60, v60, v102
	s_wait_dscnt 0x0
	global_store_b64 v60, v[58:59], s[44:45] scale_offset
	s_wait_xcnt 0x0
	s_or_b32 exec_lo, exec_lo, s15
	s_and_saveexec_b32 s15, s20
	s_cbranch_execz .LBB833_825
.LBB833_889:                            ;   in Loop: Header=BB833_690 Depth=2
	v_lshlrev_b32_e32 v58, 2, v158
	ds_load_b32 v60, v58
	ds_load_b64 v[58:59], v123 offset:13312
	s_wait_dscnt 0x1
	v_add_nc_u32_e32 v60, v60, v103
	s_wait_dscnt 0x0
	global_store_b64 v60, v[58:59], s[44:45] scale_offset
	s_wait_xcnt 0x0
	s_or_b32 exec_lo, exec_lo, s15
	s_and_saveexec_b32 s15, s21
	s_cbranch_execz .LBB833_826
.LBB833_890:                            ;   in Loop: Header=BB833_690 Depth=2
	v_lshlrev_b32_e32 v58, 2, v157
	ds_load_b32 v60, v58
	ds_load_b64 v[58:59], v123 offset:15360
	s_wait_dscnt 0x1
	v_add_nc_u32_e32 v60, v60, v104
	s_wait_dscnt 0x0
	global_store_b64 v60, v[58:59], s[44:45] scale_offset
	s_wait_xcnt 0x0
	s_or_b32 exec_lo, exec_lo, s15
	s_and_saveexec_b32 s15, s22
	s_cbranch_execz .LBB833_827
.LBB833_891:                            ;   in Loop: Header=BB833_690 Depth=2
	v_lshlrev_b32_e32 v58, 2, v156
	ds_load_b32 v60, v58
	ds_load_b64 v[58:59], v123 offset:17408
	s_wait_dscnt 0x1
	v_add_nc_u32_e32 v60, v60, v105
	s_wait_dscnt 0x0
	global_store_b64 v60, v[58:59], s[44:45] scale_offset
	s_wait_xcnt 0x0
	s_or_b32 exec_lo, exec_lo, s15
	s_and_saveexec_b32 s15, s23
	s_cbranch_execz .LBB833_828
.LBB833_892:                            ;   in Loop: Header=BB833_690 Depth=2
	v_lshlrev_b32_e32 v58, 2, v155
	ds_load_b32 v60, v58
	ds_load_b64 v[58:59], v123 offset:19456
	s_wait_dscnt 0x1
	v_add_nc_u32_e32 v60, v60, v106
	s_wait_dscnt 0x0
	global_store_b64 v60, v[58:59], s[44:45] scale_offset
	s_wait_xcnt 0x0
	s_or_b32 exec_lo, exec_lo, s15
	s_and_saveexec_b32 s15, s24
	s_cbranch_execz .LBB833_829
.LBB833_893:                            ;   in Loop: Header=BB833_690 Depth=2
	v_lshlrev_b32_e32 v58, 2, v154
	ds_load_b32 v60, v58
	ds_load_b64 v[58:59], v123 offset:21504
	s_wait_dscnt 0x1
	v_add_nc_u32_e32 v60, v60, v107
	s_wait_dscnt 0x0
	global_store_b64 v60, v[58:59], s[44:45] scale_offset
	s_wait_xcnt 0x0
	s_or_b32 exec_lo, exec_lo, s15
	s_and_saveexec_b32 s15, s25
	s_cbranch_execz .LBB833_830
.LBB833_894:                            ;   in Loop: Header=BB833_690 Depth=2
	v_lshlrev_b32_e32 v58, 2, v153
	ds_load_b32 v60, v58
	ds_load_b64 v[58:59], v123 offset:23552
	s_wait_dscnt 0x1
	v_add_nc_u32_e32 v60, v60, v108
	s_wait_dscnt 0x0
	global_store_b64 v60, v[58:59], s[44:45] scale_offset
	s_wait_xcnt 0x0
	s_or_b32 exec_lo, exec_lo, s15
	s_and_saveexec_b32 s15, s26
	s_cbranch_execz .LBB833_831
.LBB833_895:                            ;   in Loop: Header=BB833_690 Depth=2
	v_lshlrev_b32_e32 v58, 2, v152
	ds_load_b32 v60, v58
	ds_load_b64 v[58:59], v123 offset:25600
	s_wait_dscnt 0x1
	v_add_nc_u32_e32 v60, v60, v109
	s_wait_dscnt 0x0
	global_store_b64 v60, v[58:59], s[44:45] scale_offset
	s_wait_xcnt 0x0
	s_or_b32 exec_lo, exec_lo, s15
	s_and_saveexec_b32 s15, s27
	s_cbranch_execz .LBB833_832
.LBB833_896:                            ;   in Loop: Header=BB833_690 Depth=2
	v_lshlrev_b32_e32 v58, 2, v151
	ds_load_b32 v60, v58
	ds_load_b64 v[58:59], v123 offset:27648
	s_wait_dscnt 0x1
	v_add_nc_u32_e32 v60, v60, v110
	s_wait_dscnt 0x0
	global_store_b64 v60, v[58:59], s[44:45] scale_offset
	s_wait_xcnt 0x0
	s_or_b32 exec_lo, exec_lo, s15
	s_and_saveexec_b32 s15, s28
	s_cbranch_execz .LBB833_833
.LBB833_897:                            ;   in Loop: Header=BB833_690 Depth=2
	v_lshlrev_b32_e32 v58, 2, v150
	ds_load_b32 v60, v58
	ds_load_b64 v[58:59], v123 offset:29696
	s_wait_dscnt 0x1
	v_add_nc_u32_e32 v60, v60, v111
	s_wait_dscnt 0x0
	global_store_b64 v60, v[58:59], s[44:45] scale_offset
	s_wait_xcnt 0x0
	s_or_b32 exec_lo, exec_lo, s15
	s_and_saveexec_b32 s15, s29
	s_cbranch_execnz .LBB833_834
	s_branch .LBB833_835
.LBB833_898:                            ;   in Loop: Header=BB833_20 Depth=1
	s_wait_dscnt 0x0
	s_barrier_signal -1
	s_mov_b32 s7, 0
	s_barrier_wait -1
.LBB833_899:                            ;   in Loop: Header=BB833_20 Depth=1
	s_and_b32 vcc_lo, exec_lo, s7
	s_cbranch_vccz .LBB833_19
; %bb.900:                              ;   in Loop: Header=BB833_20 Depth=1
	s_mov_b32 s7, s54
	s_mov_b32 s30, s52
	s_barrier_signal -1
	s_barrier_wait -1
                                        ; implicit-def: $vgpr22_vgpr23
                                        ; implicit-def: $vgpr24_vgpr25
                                        ; implicit-def: $vgpr26_vgpr27
                                        ; implicit-def: $vgpr28_vgpr29
                                        ; implicit-def: $vgpr30_vgpr31
                                        ; implicit-def: $vgpr32_vgpr33
                                        ; implicit-def: $vgpr34_vgpr35
                                        ; implicit-def: $vgpr36_vgpr37
                                        ; implicit-def: $vgpr38_vgpr39
                                        ; implicit-def: $vgpr40_vgpr41
                                        ; implicit-def: $vgpr42_vgpr43
                                        ; implicit-def: $vgpr44_vgpr45
                                        ; implicit-def: $vgpr46_vgpr47
                                        ; implicit-def: $vgpr48_vgpr49
                                        ; implicit-def: $vgpr50_vgpr51
                                        ; implicit-def: $vgpr52_vgpr53
	s_branch .LBB833_902
.LBB833_901:                            ;   in Loop: Header=BB833_902 Depth=2
	s_or_b32 exec_lo, exec_lo, s8
	s_addk_co_i32 s7, 0xf000
	s_cmp_ge_u32 s10, s51
	s_mov_b32 s30, s10
	s_cbranch_scc1 .LBB833_970
.LBB833_902:                            ;   Parent Loop BB833_20 Depth=1
                                        ; =>  This Inner Loop Header: Depth=2
	s_add_co_i32 s10, s30, 0x1000
	s_mov_b32 s8, -1
	s_cmp_gt_u32 s10, s51
                                        ; implicit-def: $vgpr54_vgpr55
                                        ; implicit-def: $vgpr56_vgpr57
                                        ; implicit-def: $vgpr58_vgpr59
                                        ; implicit-def: $vgpr60_vgpr61
                                        ; implicit-def: $vgpr62_vgpr63
                                        ; implicit-def: $vgpr64_vgpr65
                                        ; implicit-def: $vgpr66_vgpr67
                                        ; implicit-def: $vgpr68_vgpr69
                                        ; implicit-def: $vgpr70_vgpr71
                                        ; implicit-def: $vgpr72_vgpr73
                                        ; implicit-def: $vgpr74_vgpr75
                                        ; implicit-def: $vgpr76_vgpr77
                                        ; implicit-def: $vgpr78_vgpr79
                                        ; implicit-def: $vgpr80_vgpr81
                                        ; implicit-def: $vgpr82_vgpr83
                                        ; implicit-def: $vgpr84_vgpr85
	s_cbranch_scc1 .LBB833_904
; %bb.903:                              ;   in Loop: Header=BB833_902 Depth=2
	v_lshl_add_u64 v[84:85], s[30:31], 3, v[16:17]
	s_mov_b32 s8, 0
	s_clause 0xf
	global_load_b64 v[54:55], v[84:85], off
	global_load_b64 v[56:57], v[84:85], off offset:2048
	global_load_b64 v[58:59], v[84:85], off offset:4096
	;; [unrolled: 1-line block ×15, first 2 shown]
.LBB833_904:                            ;   in Loop: Header=BB833_902 Depth=2
	s_and_not1_b32 vcc_lo, exec_lo, s8
	s_movk_i32 s8, 0x1000
	s_cbranch_vccnz .LBB833_923
; %bb.905:                              ;   in Loop: Header=BB833_902 Depth=2
	s_lshl_b64 s[8:9], s[30:31], 3
	s_mov_b32 s11, exec_lo
	s_add_nc_u64 s[8:9], s[36:37], s[8:9]
	s_wait_xcnt 0x0
	v_cmpx_gt_u32_e64 s7, v2
	s_cbranch_execnz .LBB833_955
; %bb.906:                              ;   in Loop: Header=BB833_902 Depth=2
	s_or_b32 exec_lo, exec_lo, s11
	s_delay_alu instid0(SALU_CYCLE_1)
	s_mov_b32 s11, exec_lo
	v_cmpx_gt_u32_e64 s7, v98
	s_cbranch_execnz .LBB833_956
.LBB833_907:                            ;   in Loop: Header=BB833_902 Depth=2
	s_or_b32 exec_lo, exec_lo, s11
	s_delay_alu instid0(SALU_CYCLE_1)
	s_mov_b32 s11, exec_lo
	v_cmpx_gt_u32_e64 s7, v99
	s_cbranch_execnz .LBB833_957
.LBB833_908:                            ;   in Loop: Header=BB833_902 Depth=2
	s_or_b32 exec_lo, exec_lo, s11
	s_delay_alu instid0(SALU_CYCLE_1)
	s_mov_b32 s11, exec_lo
	v_cmpx_gt_u32_e64 s7, v100
	s_cbranch_execnz .LBB833_958
.LBB833_909:                            ;   in Loop: Header=BB833_902 Depth=2
	s_or_b32 exec_lo, exec_lo, s11
	s_delay_alu instid0(SALU_CYCLE_1)
	s_mov_b32 s11, exec_lo
	v_cmpx_gt_u32_e64 s7, v101
	s_cbranch_execnz .LBB833_959
.LBB833_910:                            ;   in Loop: Header=BB833_902 Depth=2
	s_or_b32 exec_lo, exec_lo, s11
	s_delay_alu instid0(SALU_CYCLE_1)
	s_mov_b32 s11, exec_lo
	v_cmpx_gt_u32_e64 s7, v102
	s_cbranch_execnz .LBB833_960
.LBB833_911:                            ;   in Loop: Header=BB833_902 Depth=2
	s_or_b32 exec_lo, exec_lo, s11
	s_delay_alu instid0(SALU_CYCLE_1)
	s_mov_b32 s11, exec_lo
	v_cmpx_gt_u32_e64 s7, v103
	s_cbranch_execnz .LBB833_961
.LBB833_912:                            ;   in Loop: Header=BB833_902 Depth=2
	s_or_b32 exec_lo, exec_lo, s11
	s_delay_alu instid0(SALU_CYCLE_1)
	s_mov_b32 s11, exec_lo
	v_cmpx_gt_u32_e64 s7, v104
	s_cbranch_execnz .LBB833_962
.LBB833_913:                            ;   in Loop: Header=BB833_902 Depth=2
	s_or_b32 exec_lo, exec_lo, s11
	s_delay_alu instid0(SALU_CYCLE_1)
	s_mov_b32 s11, exec_lo
	v_cmpx_gt_u32_e64 s7, v105
	s_cbranch_execnz .LBB833_963
.LBB833_914:                            ;   in Loop: Header=BB833_902 Depth=2
	s_or_b32 exec_lo, exec_lo, s11
	s_delay_alu instid0(SALU_CYCLE_1)
	s_mov_b32 s11, exec_lo
	v_cmpx_gt_u32_e64 s7, v106
	s_cbranch_execnz .LBB833_964
.LBB833_915:                            ;   in Loop: Header=BB833_902 Depth=2
	s_or_b32 exec_lo, exec_lo, s11
	s_delay_alu instid0(SALU_CYCLE_1)
	s_mov_b32 s11, exec_lo
	v_cmpx_gt_u32_e64 s7, v107
	s_cbranch_execnz .LBB833_965
.LBB833_916:                            ;   in Loop: Header=BB833_902 Depth=2
	s_or_b32 exec_lo, exec_lo, s11
	s_delay_alu instid0(SALU_CYCLE_1)
	s_mov_b32 s11, exec_lo
	v_cmpx_gt_u32_e64 s7, v108
	s_cbranch_execnz .LBB833_966
.LBB833_917:                            ;   in Loop: Header=BB833_902 Depth=2
	s_or_b32 exec_lo, exec_lo, s11
	s_delay_alu instid0(SALU_CYCLE_1)
	s_mov_b32 s11, exec_lo
	v_cmpx_gt_u32_e64 s7, v109
	s_cbranch_execnz .LBB833_967
.LBB833_918:                            ;   in Loop: Header=BB833_902 Depth=2
	s_or_b32 exec_lo, exec_lo, s11
	s_delay_alu instid0(SALU_CYCLE_1)
	s_mov_b32 s11, exec_lo
	v_cmpx_gt_u32_e64 s7, v110
	s_cbranch_execnz .LBB833_968
.LBB833_919:                            ;   in Loop: Header=BB833_902 Depth=2
	s_or_b32 exec_lo, exec_lo, s11
	s_delay_alu instid0(SALU_CYCLE_1)
	s_mov_b32 s11, exec_lo
	v_cmpx_gt_u32_e64 s7, v111
	s_cbranch_execnz .LBB833_969
.LBB833_920:                            ;   in Loop: Header=BB833_902 Depth=2
	s_or_b32 exec_lo, exec_lo, s11
	s_delay_alu instid0(SALU_CYCLE_1)
	s_mov_b32 s11, exec_lo
	v_cmpx_gt_u32_e64 s7, v112
	s_cbranch_execz .LBB833_922
.LBB833_921:                            ;   in Loop: Header=BB833_902 Depth=2
	global_load_b64 v[22:23], v2, s[8:9] offset:30720 scale_offset
.LBB833_922:                            ;   in Loop: Header=BB833_902 Depth=2
	s_wait_xcnt 0x0
	s_or_b32 exec_lo, exec_lo, s11
	s_wait_loadcnt 0x0
	v_mov_b64_e32 v[54:55], v[52:53]
	v_mov_b64_e32 v[56:57], v[50:51]
	;; [unrolled: 1-line block ×16, first 2 shown]
	s_mov_b32 s8, s7
.LBB833_923:                            ;   in Loop: Header=BB833_902 Depth=2
	s_wait_loadcnt 0x0
	s_delay_alu instid0(VALU_DEP_1) | instskip(NEXT) | instid1(VALU_DEP_3)
	v_mov_b64_e32 v[22:23], v[84:85]
	v_mov_b64_e32 v[24:25], v[82:83]
	;; [unrolled: 1-line block ×16, first 2 shown]
	s_mov_b32 s9, exec_lo
	s_wait_xcnt 0x0
	v_cmpx_gt_u32_e64 s8, v2
	s_cbranch_execnz .LBB833_939
; %bb.924:                              ;   in Loop: Header=BB833_902 Depth=2
	s_or_b32 exec_lo, exec_lo, s9
	s_delay_alu instid0(SALU_CYCLE_1)
	s_mov_b32 s9, exec_lo
	v_cmpx_gt_u32_e64 s8, v98
	s_cbranch_execnz .LBB833_940
.LBB833_925:                            ;   in Loop: Header=BB833_902 Depth=2
	s_or_b32 exec_lo, exec_lo, s9
	s_delay_alu instid0(SALU_CYCLE_1)
	s_mov_b32 s9, exec_lo
	v_cmpx_gt_u32_e64 s8, v99
	s_cbranch_execnz .LBB833_941
.LBB833_926:                            ;   in Loop: Header=BB833_902 Depth=2
	s_or_b32 exec_lo, exec_lo, s9
	s_delay_alu instid0(SALU_CYCLE_1)
	s_mov_b32 s9, exec_lo
	v_cmpx_gt_u32_e64 s8, v100
	s_cbranch_execnz .LBB833_942
.LBB833_927:                            ;   in Loop: Header=BB833_902 Depth=2
	s_or_b32 exec_lo, exec_lo, s9
	s_delay_alu instid0(SALU_CYCLE_1)
	s_mov_b32 s9, exec_lo
	v_cmpx_gt_u32_e64 s8, v101
	s_cbranch_execnz .LBB833_943
.LBB833_928:                            ;   in Loop: Header=BB833_902 Depth=2
	s_or_b32 exec_lo, exec_lo, s9
	s_delay_alu instid0(SALU_CYCLE_1)
	s_mov_b32 s9, exec_lo
	v_cmpx_gt_u32_e64 s8, v102
	s_cbranch_execnz .LBB833_944
.LBB833_929:                            ;   in Loop: Header=BB833_902 Depth=2
	s_or_b32 exec_lo, exec_lo, s9
	s_delay_alu instid0(SALU_CYCLE_1)
	s_mov_b32 s9, exec_lo
	v_cmpx_gt_u32_e64 s8, v103
	s_cbranch_execnz .LBB833_945
.LBB833_930:                            ;   in Loop: Header=BB833_902 Depth=2
	s_or_b32 exec_lo, exec_lo, s9
	s_delay_alu instid0(SALU_CYCLE_1)
	s_mov_b32 s9, exec_lo
	v_cmpx_gt_u32_e64 s8, v104
	s_cbranch_execnz .LBB833_946
.LBB833_931:                            ;   in Loop: Header=BB833_902 Depth=2
	s_or_b32 exec_lo, exec_lo, s9
	s_delay_alu instid0(SALU_CYCLE_1)
	s_mov_b32 s9, exec_lo
	v_cmpx_gt_u32_e64 s8, v105
	s_cbranch_execnz .LBB833_947
.LBB833_932:                            ;   in Loop: Header=BB833_902 Depth=2
	s_or_b32 exec_lo, exec_lo, s9
	s_delay_alu instid0(SALU_CYCLE_1)
	s_mov_b32 s9, exec_lo
	v_cmpx_gt_u32_e64 s8, v106
	s_cbranch_execnz .LBB833_948
.LBB833_933:                            ;   in Loop: Header=BB833_902 Depth=2
	s_or_b32 exec_lo, exec_lo, s9
	s_delay_alu instid0(SALU_CYCLE_1)
	s_mov_b32 s9, exec_lo
	v_cmpx_gt_u32_e64 s8, v107
	s_cbranch_execnz .LBB833_949
.LBB833_934:                            ;   in Loop: Header=BB833_902 Depth=2
	s_or_b32 exec_lo, exec_lo, s9
	s_delay_alu instid0(SALU_CYCLE_1)
	s_mov_b32 s9, exec_lo
	v_cmpx_gt_u32_e64 s8, v108
	s_cbranch_execnz .LBB833_950
.LBB833_935:                            ;   in Loop: Header=BB833_902 Depth=2
	s_or_b32 exec_lo, exec_lo, s9
	s_delay_alu instid0(SALU_CYCLE_1)
	s_mov_b32 s9, exec_lo
	v_cmpx_gt_u32_e64 s8, v109
	s_cbranch_execnz .LBB833_951
.LBB833_936:                            ;   in Loop: Header=BB833_902 Depth=2
	s_or_b32 exec_lo, exec_lo, s9
	s_delay_alu instid0(SALU_CYCLE_1)
	s_mov_b32 s9, exec_lo
	v_cmpx_gt_u32_e64 s8, v110
	s_cbranch_execnz .LBB833_952
.LBB833_937:                            ;   in Loop: Header=BB833_902 Depth=2
	s_or_b32 exec_lo, exec_lo, s9
	s_delay_alu instid0(SALU_CYCLE_1)
	s_mov_b32 s9, exec_lo
	v_cmpx_gt_u32_e64 s8, v111
	s_cbranch_execnz .LBB833_953
.LBB833_938:                            ;   in Loop: Header=BB833_902 Depth=2
	s_or_b32 exec_lo, exec_lo, s9
	v_cmp_gt_u32_e32 vcc_lo, s8, v112
	s_and_saveexec_b32 s8, vcc_lo
	s_cbranch_execz .LBB833_901
	s_branch .LBB833_954
.LBB833_939:                            ;   in Loop: Header=BB833_902 Depth=2
	s_delay_alu instid0(VALU_DEP_2) | instskip(NEXT) | instid1(VALU_DEP_3)
	v_xor_b32_e32 v55, 0x80000000, v53
	v_mov_b32_e32 v54, v52
	s_delay_alu instid0(VALU_DEP_1) | instskip(NEXT) | instid1(VALU_DEP_1)
	v_lshrrev_b64 v[54:55], s43, v[54:55]
	v_and_b32_e32 v54, s55, v54
	s_delay_alu instid0(VALU_DEP_1) | instskip(SKIP_2) | instid1(SALU_CYCLE_1)
	v_lshl_or_b32 v54, v54, 4, v113
	ds_add_u32 v54, v125
	s_or_b32 exec_lo, exec_lo, s9
	s_mov_b32 s9, exec_lo
	v_cmpx_gt_u32_e64 s8, v98
	s_cbranch_execz .LBB833_925
.LBB833_940:                            ;   in Loop: Header=BB833_902 Depth=2
	v_xor_b32_e32 v55, 0x80000000, v51
	v_mov_b32_e32 v54, v50
	s_delay_alu instid0(VALU_DEP_1) | instskip(NEXT) | instid1(VALU_DEP_1)
	v_lshrrev_b64 v[54:55], s43, v[54:55]
	v_and_b32_e32 v54, s55, v54
	s_delay_alu instid0(VALU_DEP_1) | instskip(SKIP_2) | instid1(SALU_CYCLE_1)
	v_lshl_or_b32 v54, v54, 4, v113
	ds_add_u32 v54, v125
	s_or_b32 exec_lo, exec_lo, s9
	s_mov_b32 s9, exec_lo
	v_cmpx_gt_u32_e64 s8, v99
	s_cbranch_execz .LBB833_926
.LBB833_941:                            ;   in Loop: Header=BB833_902 Depth=2
	v_xor_b32_e32 v55, 0x80000000, v49
	v_mov_b32_e32 v54, v48
	s_delay_alu instid0(VALU_DEP_1) | instskip(NEXT) | instid1(VALU_DEP_1)
	v_lshrrev_b64 v[54:55], s43, v[54:55]
	v_and_b32_e32 v54, s55, v54
	s_delay_alu instid0(VALU_DEP_1) | instskip(SKIP_2) | instid1(SALU_CYCLE_1)
	v_lshl_or_b32 v54, v54, 4, v113
	ds_add_u32 v54, v125
	s_or_b32 exec_lo, exec_lo, s9
	s_mov_b32 s9, exec_lo
	v_cmpx_gt_u32_e64 s8, v100
	s_cbranch_execz .LBB833_927
.LBB833_942:                            ;   in Loop: Header=BB833_902 Depth=2
	v_xor_b32_e32 v55, 0x80000000, v47
	v_mov_b32_e32 v54, v46
	s_delay_alu instid0(VALU_DEP_1) | instskip(NEXT) | instid1(VALU_DEP_1)
	v_lshrrev_b64 v[54:55], s43, v[54:55]
	v_and_b32_e32 v54, s55, v54
	s_delay_alu instid0(VALU_DEP_1) | instskip(SKIP_2) | instid1(SALU_CYCLE_1)
	v_lshl_or_b32 v54, v54, 4, v113
	ds_add_u32 v54, v125
	s_or_b32 exec_lo, exec_lo, s9
	s_mov_b32 s9, exec_lo
	v_cmpx_gt_u32_e64 s8, v101
	s_cbranch_execz .LBB833_928
.LBB833_943:                            ;   in Loop: Header=BB833_902 Depth=2
	v_xor_b32_e32 v55, 0x80000000, v45
	v_mov_b32_e32 v54, v44
	s_delay_alu instid0(VALU_DEP_1) | instskip(NEXT) | instid1(VALU_DEP_1)
	v_lshrrev_b64 v[54:55], s43, v[54:55]
	v_and_b32_e32 v54, s55, v54
	s_delay_alu instid0(VALU_DEP_1) | instskip(SKIP_2) | instid1(SALU_CYCLE_1)
	v_lshl_or_b32 v54, v54, 4, v113
	ds_add_u32 v54, v125
	s_or_b32 exec_lo, exec_lo, s9
	s_mov_b32 s9, exec_lo
	v_cmpx_gt_u32_e64 s8, v102
	s_cbranch_execz .LBB833_929
.LBB833_944:                            ;   in Loop: Header=BB833_902 Depth=2
	v_xor_b32_e32 v55, 0x80000000, v43
	v_mov_b32_e32 v54, v42
	s_delay_alu instid0(VALU_DEP_1) | instskip(NEXT) | instid1(VALU_DEP_1)
	v_lshrrev_b64 v[54:55], s43, v[54:55]
	v_and_b32_e32 v54, s55, v54
	s_delay_alu instid0(VALU_DEP_1) | instskip(SKIP_2) | instid1(SALU_CYCLE_1)
	v_lshl_or_b32 v54, v54, 4, v113
	ds_add_u32 v54, v125
	s_or_b32 exec_lo, exec_lo, s9
	s_mov_b32 s9, exec_lo
	v_cmpx_gt_u32_e64 s8, v103
	s_cbranch_execz .LBB833_930
.LBB833_945:                            ;   in Loop: Header=BB833_902 Depth=2
	v_xor_b32_e32 v55, 0x80000000, v41
	v_mov_b32_e32 v54, v40
	s_delay_alu instid0(VALU_DEP_1) | instskip(NEXT) | instid1(VALU_DEP_1)
	v_lshrrev_b64 v[54:55], s43, v[54:55]
	v_and_b32_e32 v54, s55, v54
	s_delay_alu instid0(VALU_DEP_1) | instskip(SKIP_2) | instid1(SALU_CYCLE_1)
	v_lshl_or_b32 v54, v54, 4, v113
	ds_add_u32 v54, v125
	s_or_b32 exec_lo, exec_lo, s9
	s_mov_b32 s9, exec_lo
	v_cmpx_gt_u32_e64 s8, v104
	s_cbranch_execz .LBB833_931
.LBB833_946:                            ;   in Loop: Header=BB833_902 Depth=2
	v_xor_b32_e32 v55, 0x80000000, v39
	v_mov_b32_e32 v54, v38
	s_delay_alu instid0(VALU_DEP_1) | instskip(NEXT) | instid1(VALU_DEP_1)
	v_lshrrev_b64 v[54:55], s43, v[54:55]
	v_and_b32_e32 v54, s55, v54
	s_delay_alu instid0(VALU_DEP_1) | instskip(SKIP_2) | instid1(SALU_CYCLE_1)
	v_lshl_or_b32 v54, v54, 4, v113
	ds_add_u32 v54, v125
	s_or_b32 exec_lo, exec_lo, s9
	s_mov_b32 s9, exec_lo
	v_cmpx_gt_u32_e64 s8, v105
	s_cbranch_execz .LBB833_932
.LBB833_947:                            ;   in Loop: Header=BB833_902 Depth=2
	v_xor_b32_e32 v55, 0x80000000, v37
	v_mov_b32_e32 v54, v36
	s_delay_alu instid0(VALU_DEP_1) | instskip(NEXT) | instid1(VALU_DEP_1)
	v_lshrrev_b64 v[54:55], s43, v[54:55]
	v_and_b32_e32 v54, s55, v54
	s_delay_alu instid0(VALU_DEP_1) | instskip(SKIP_2) | instid1(SALU_CYCLE_1)
	v_lshl_or_b32 v54, v54, 4, v113
	ds_add_u32 v54, v125
	s_or_b32 exec_lo, exec_lo, s9
	s_mov_b32 s9, exec_lo
	v_cmpx_gt_u32_e64 s8, v106
	s_cbranch_execz .LBB833_933
.LBB833_948:                            ;   in Loop: Header=BB833_902 Depth=2
	v_xor_b32_e32 v55, 0x80000000, v35
	v_mov_b32_e32 v54, v34
	s_delay_alu instid0(VALU_DEP_1) | instskip(NEXT) | instid1(VALU_DEP_1)
	v_lshrrev_b64 v[54:55], s43, v[54:55]
	v_and_b32_e32 v54, s55, v54
	s_delay_alu instid0(VALU_DEP_1) | instskip(SKIP_2) | instid1(SALU_CYCLE_1)
	v_lshl_or_b32 v54, v54, 4, v113
	ds_add_u32 v54, v125
	s_or_b32 exec_lo, exec_lo, s9
	s_mov_b32 s9, exec_lo
	v_cmpx_gt_u32_e64 s8, v107
	s_cbranch_execz .LBB833_934
.LBB833_949:                            ;   in Loop: Header=BB833_902 Depth=2
	v_xor_b32_e32 v55, 0x80000000, v33
	v_mov_b32_e32 v54, v32
	s_delay_alu instid0(VALU_DEP_1) | instskip(NEXT) | instid1(VALU_DEP_1)
	v_lshrrev_b64 v[54:55], s43, v[54:55]
	v_and_b32_e32 v54, s55, v54
	s_delay_alu instid0(VALU_DEP_1) | instskip(SKIP_2) | instid1(SALU_CYCLE_1)
	v_lshl_or_b32 v54, v54, 4, v113
	ds_add_u32 v54, v125
	s_or_b32 exec_lo, exec_lo, s9
	s_mov_b32 s9, exec_lo
	v_cmpx_gt_u32_e64 s8, v108
	s_cbranch_execz .LBB833_935
.LBB833_950:                            ;   in Loop: Header=BB833_902 Depth=2
	v_xor_b32_e32 v55, 0x80000000, v31
	v_mov_b32_e32 v54, v30
	s_delay_alu instid0(VALU_DEP_1) | instskip(NEXT) | instid1(VALU_DEP_1)
	v_lshrrev_b64 v[54:55], s43, v[54:55]
	v_and_b32_e32 v54, s55, v54
	s_delay_alu instid0(VALU_DEP_1) | instskip(SKIP_2) | instid1(SALU_CYCLE_1)
	v_lshl_or_b32 v54, v54, 4, v113
	ds_add_u32 v54, v125
	s_or_b32 exec_lo, exec_lo, s9
	s_mov_b32 s9, exec_lo
	v_cmpx_gt_u32_e64 s8, v109
	s_cbranch_execz .LBB833_936
.LBB833_951:                            ;   in Loop: Header=BB833_902 Depth=2
	v_xor_b32_e32 v55, 0x80000000, v29
	v_mov_b32_e32 v54, v28
	s_delay_alu instid0(VALU_DEP_1) | instskip(NEXT) | instid1(VALU_DEP_1)
	v_lshrrev_b64 v[54:55], s43, v[54:55]
	v_and_b32_e32 v54, s55, v54
	s_delay_alu instid0(VALU_DEP_1) | instskip(SKIP_2) | instid1(SALU_CYCLE_1)
	v_lshl_or_b32 v54, v54, 4, v113
	ds_add_u32 v54, v125
	s_or_b32 exec_lo, exec_lo, s9
	s_mov_b32 s9, exec_lo
	v_cmpx_gt_u32_e64 s8, v110
	s_cbranch_execz .LBB833_937
.LBB833_952:                            ;   in Loop: Header=BB833_902 Depth=2
	v_xor_b32_e32 v55, 0x80000000, v27
	v_mov_b32_e32 v54, v26
	s_delay_alu instid0(VALU_DEP_1) | instskip(NEXT) | instid1(VALU_DEP_1)
	v_lshrrev_b64 v[54:55], s43, v[54:55]
	v_and_b32_e32 v54, s55, v54
	s_delay_alu instid0(VALU_DEP_1) | instskip(SKIP_2) | instid1(SALU_CYCLE_1)
	v_lshl_or_b32 v54, v54, 4, v113
	ds_add_u32 v54, v125
	s_or_b32 exec_lo, exec_lo, s9
	s_mov_b32 s9, exec_lo
	v_cmpx_gt_u32_e64 s8, v111
	s_cbranch_execz .LBB833_938
.LBB833_953:                            ;   in Loop: Header=BB833_902 Depth=2
	v_xor_b32_e32 v55, 0x80000000, v25
	v_mov_b32_e32 v54, v24
	s_delay_alu instid0(VALU_DEP_1) | instskip(NEXT) | instid1(VALU_DEP_1)
	v_lshrrev_b64 v[54:55], s43, v[54:55]
	v_and_b32_e32 v54, s55, v54
	s_delay_alu instid0(VALU_DEP_1)
	v_lshl_or_b32 v54, v54, 4, v113
	ds_add_u32 v54, v125
	s_or_b32 exec_lo, exec_lo, s9
	v_cmp_gt_u32_e32 vcc_lo, s8, v112
	s_and_saveexec_b32 s8, vcc_lo
	s_cbranch_execz .LBB833_901
.LBB833_954:                            ;   in Loop: Header=BB833_902 Depth=2
	v_xor_b32_e32 v55, 0x80000000, v23
	v_mov_b32_e32 v54, v22
	s_delay_alu instid0(VALU_DEP_1) | instskip(NEXT) | instid1(VALU_DEP_1)
	v_lshrrev_b64 v[54:55], s43, v[54:55]
	v_and_b32_e32 v54, s55, v54
	s_delay_alu instid0(VALU_DEP_1)
	v_lshl_or_b32 v54, v54, 4, v113
	ds_add_u32 v54, v125
	s_branch .LBB833_901
.LBB833_955:                            ;   in Loop: Header=BB833_902 Depth=2
	global_load_b64 v[52:53], v2, s[8:9] scale_offset
	s_wait_xcnt 0x0
	s_or_b32 exec_lo, exec_lo, s11
	s_delay_alu instid0(SALU_CYCLE_1)
	s_mov_b32 s11, exec_lo
	v_cmpx_gt_u32_e64 s7, v98
	s_cbranch_execz .LBB833_907
.LBB833_956:                            ;   in Loop: Header=BB833_902 Depth=2
	global_load_b64 v[50:51], v2, s[8:9] offset:2048 scale_offset
	s_wait_xcnt 0x0
	s_or_b32 exec_lo, exec_lo, s11
	s_delay_alu instid0(SALU_CYCLE_1)
	s_mov_b32 s11, exec_lo
	v_cmpx_gt_u32_e64 s7, v99
	s_cbranch_execz .LBB833_908
.LBB833_957:                            ;   in Loop: Header=BB833_902 Depth=2
	global_load_b64 v[48:49], v2, s[8:9] offset:4096 scale_offset
	s_wait_xcnt 0x0
	s_or_b32 exec_lo, exec_lo, s11
	s_delay_alu instid0(SALU_CYCLE_1)
	s_mov_b32 s11, exec_lo
	v_cmpx_gt_u32_e64 s7, v100
	s_cbranch_execz .LBB833_909
.LBB833_958:                            ;   in Loop: Header=BB833_902 Depth=2
	global_load_b64 v[46:47], v2, s[8:9] offset:6144 scale_offset
	s_wait_xcnt 0x0
	s_or_b32 exec_lo, exec_lo, s11
	s_delay_alu instid0(SALU_CYCLE_1)
	s_mov_b32 s11, exec_lo
	v_cmpx_gt_u32_e64 s7, v101
	s_cbranch_execz .LBB833_910
.LBB833_959:                            ;   in Loop: Header=BB833_902 Depth=2
	global_load_b64 v[44:45], v2, s[8:9] offset:8192 scale_offset
	s_wait_xcnt 0x0
	s_or_b32 exec_lo, exec_lo, s11
	s_delay_alu instid0(SALU_CYCLE_1)
	s_mov_b32 s11, exec_lo
	v_cmpx_gt_u32_e64 s7, v102
	s_cbranch_execz .LBB833_911
.LBB833_960:                            ;   in Loop: Header=BB833_902 Depth=2
	global_load_b64 v[42:43], v2, s[8:9] offset:10240 scale_offset
	s_wait_xcnt 0x0
	s_or_b32 exec_lo, exec_lo, s11
	s_delay_alu instid0(SALU_CYCLE_1)
	s_mov_b32 s11, exec_lo
	v_cmpx_gt_u32_e64 s7, v103
	s_cbranch_execz .LBB833_912
.LBB833_961:                            ;   in Loop: Header=BB833_902 Depth=2
	global_load_b64 v[40:41], v2, s[8:9] offset:12288 scale_offset
	s_wait_xcnt 0x0
	s_or_b32 exec_lo, exec_lo, s11
	s_delay_alu instid0(SALU_CYCLE_1)
	s_mov_b32 s11, exec_lo
	v_cmpx_gt_u32_e64 s7, v104
	s_cbranch_execz .LBB833_913
.LBB833_962:                            ;   in Loop: Header=BB833_902 Depth=2
	global_load_b64 v[38:39], v2, s[8:9] offset:14336 scale_offset
	s_wait_xcnt 0x0
	s_or_b32 exec_lo, exec_lo, s11
	s_delay_alu instid0(SALU_CYCLE_1)
	s_mov_b32 s11, exec_lo
	v_cmpx_gt_u32_e64 s7, v105
	s_cbranch_execz .LBB833_914
.LBB833_963:                            ;   in Loop: Header=BB833_902 Depth=2
	global_load_b64 v[36:37], v2, s[8:9] offset:16384 scale_offset
	s_wait_xcnt 0x0
	s_or_b32 exec_lo, exec_lo, s11
	s_delay_alu instid0(SALU_CYCLE_1)
	s_mov_b32 s11, exec_lo
	v_cmpx_gt_u32_e64 s7, v106
	s_cbranch_execz .LBB833_915
.LBB833_964:                            ;   in Loop: Header=BB833_902 Depth=2
	global_load_b64 v[34:35], v2, s[8:9] offset:18432 scale_offset
	s_wait_xcnt 0x0
	s_or_b32 exec_lo, exec_lo, s11
	s_delay_alu instid0(SALU_CYCLE_1)
	s_mov_b32 s11, exec_lo
	v_cmpx_gt_u32_e64 s7, v107
	s_cbranch_execz .LBB833_916
.LBB833_965:                            ;   in Loop: Header=BB833_902 Depth=2
	global_load_b64 v[32:33], v2, s[8:9] offset:20480 scale_offset
	s_wait_xcnt 0x0
	s_or_b32 exec_lo, exec_lo, s11
	s_delay_alu instid0(SALU_CYCLE_1)
	s_mov_b32 s11, exec_lo
	v_cmpx_gt_u32_e64 s7, v108
	s_cbranch_execz .LBB833_917
.LBB833_966:                            ;   in Loop: Header=BB833_902 Depth=2
	global_load_b64 v[30:31], v2, s[8:9] offset:22528 scale_offset
	s_wait_xcnt 0x0
	s_or_b32 exec_lo, exec_lo, s11
	s_delay_alu instid0(SALU_CYCLE_1)
	s_mov_b32 s11, exec_lo
	v_cmpx_gt_u32_e64 s7, v109
	s_cbranch_execz .LBB833_918
.LBB833_967:                            ;   in Loop: Header=BB833_902 Depth=2
	global_load_b64 v[28:29], v2, s[8:9] offset:24576 scale_offset
	s_wait_xcnt 0x0
	s_or_b32 exec_lo, exec_lo, s11
	s_delay_alu instid0(SALU_CYCLE_1)
	s_mov_b32 s11, exec_lo
	v_cmpx_gt_u32_e64 s7, v110
	s_cbranch_execz .LBB833_919
.LBB833_968:                            ;   in Loop: Header=BB833_902 Depth=2
	global_load_b64 v[26:27], v2, s[8:9] offset:26624 scale_offset
	s_wait_xcnt 0x0
	s_or_b32 exec_lo, exec_lo, s11
	s_delay_alu instid0(SALU_CYCLE_1)
	s_mov_b32 s11, exec_lo
	v_cmpx_gt_u32_e64 s7, v111
	s_cbranch_execz .LBB833_920
.LBB833_969:                            ;   in Loop: Header=BB833_902 Depth=2
	global_load_b64 v[24:25], v2, s[8:9] offset:28672 scale_offset
	s_wait_xcnt 0x0
	s_or_b32 exec_lo, exec_lo, s11
	s_delay_alu instid0(SALU_CYCLE_1)
	s_mov_b32 s11, exec_lo
	v_cmpx_gt_u32_e64 s7, v112
	s_cbranch_execnz .LBB833_921
	s_branch .LBB833_922
.LBB833_970:                            ;   in Loop: Header=BB833_20 Depth=1
	v_mov_b32_e32 v22, 0
	s_wait_dscnt 0x0
	s_barrier_signal -1
	s_barrier_wait -1
	s_and_saveexec_b32 s7, s0
	s_cbranch_execz .LBB833_972
; %bb.971:                              ;   in Loop: Header=BB833_20 Depth=1
	ds_load_2addr_b64 v[22:25], v115 offset1:1
	s_wait_dscnt 0x0
	v_add_nc_u32_e32 v22, v23, v22
	s_delay_alu instid0(VALU_DEP_1)
	v_add3_u32 v22, v22, v24, v25
.LBB833_972:                            ;   in Loop: Header=BB833_20 Depth=1
	s_or_b32 exec_lo, exec_lo, s7
	s_delay_alu instid0(VALU_DEP_1)
	v_mov_b32_dpp v23, v22 row_shr:1 row_mask:0xf bank_mask:0xf
	v_cmp_eq_u32_e64 s7, 0, v126
	v_cmp_lt_u32_e64 s8, 1, v126
	v_cmp_lt_u32_e64 s9, 3, v126
	;; [unrolled: 1-line block ×3, first 2 shown]
	v_cmp_eq_u32_e64 s11, 0, v128
	v_cndmask_b32_e64 v23, v23, 0, s7
	s_delay_alu instid0(VALU_DEP_1) | instskip(NEXT) | instid1(VALU_DEP_1)
	v_add_nc_u32_e32 v22, v23, v22
	v_mov_b32_dpp v23, v22 row_shr:2 row_mask:0xf bank_mask:0xf
	s_delay_alu instid0(VALU_DEP_1) | instskip(NEXT) | instid1(VALU_DEP_1)
	v_cndmask_b32_e64 v23, 0, v23, s8
	v_add_nc_u32_e32 v22, v22, v23
	s_delay_alu instid0(VALU_DEP_1) | instskip(NEXT) | instid1(VALU_DEP_1)
	v_mov_b32_dpp v23, v22 row_shr:4 row_mask:0xf bank_mask:0xf
	v_cndmask_b32_e64 v23, 0, v23, s9
	s_delay_alu instid0(VALU_DEP_1) | instskip(NEXT) | instid1(VALU_DEP_1)
	v_add_nc_u32_e32 v22, v22, v23
	v_mov_b32_dpp v23, v22 row_shr:8 row_mask:0xf bank_mask:0xf
	s_delay_alu instid0(VALU_DEP_1) | instskip(NEXT) | instid1(VALU_DEP_1)
	v_cndmask_b32_e64 v23, 0, v23, s10
	v_add_nc_u32_e32 v22, v22, v23
	ds_swizzle_b32 v23, v22 offset:swizzle(BROADCAST,32,15)
	s_wait_dscnt 0x0
	v_and_b32_e32 v23, v127, v23
	s_delay_alu instid0(VALU_DEP_1)
	v_add_nc_u32_e32 v22, v22, v23
	s_and_saveexec_b32 s12, s1
; %bb.973:                              ;   in Loop: Header=BB833_20 Depth=1
	ds_store_b32 v116, v22
; %bb.974:                              ;   in Loop: Header=BB833_20 Depth=1
	s_or_b32 exec_lo, exec_lo, s12
	s_wait_dscnt 0x0
	s_barrier_signal -1
	s_barrier_wait -1
	s_and_saveexec_b32 s12, s4
	s_cbranch_execz .LBB833_976
; %bb.975:                              ;   in Loop: Header=BB833_20 Depth=1
	ds_load_b32 v23, v117
	v_cmp_ne_u32_e32 vcc_lo, 0, v130
	s_wait_dscnt 0x0
	v_mov_b32_dpp v24, v23 row_shr:1 row_mask:0xf bank_mask:0xf
	s_delay_alu instid0(VALU_DEP_1) | instskip(SKIP_1) | instid1(VALU_DEP_2)
	v_cndmask_b32_e32 v24, 0, v24, vcc_lo
	v_cmp_lt_u32_e32 vcc_lo, 1, v130
	v_add_nc_u32_e32 v23, v24, v23
	s_delay_alu instid0(VALU_DEP_1) | instskip(NEXT) | instid1(VALU_DEP_1)
	v_mov_b32_dpp v24, v23 row_shr:2 row_mask:0xf bank_mask:0xf
	v_cndmask_b32_e32 v24, 0, v24, vcc_lo
	v_cmp_lt_u32_e32 vcc_lo, 3, v130
	s_delay_alu instid0(VALU_DEP_2) | instskip(NEXT) | instid1(VALU_DEP_1)
	v_add_nc_u32_e32 v23, v23, v24
	v_mov_b32_dpp v24, v23 row_shr:4 row_mask:0xf bank_mask:0xf
	s_delay_alu instid0(VALU_DEP_1) | instskip(NEXT) | instid1(VALU_DEP_1)
	v_cndmask_b32_e32 v24, 0, v24, vcc_lo
	v_add_nc_u32_e32 v23, v23, v24
	ds_store_b32 v117, v23
.LBB833_976:                            ;   in Loop: Header=BB833_20 Depth=1
	s_or_b32 exec_lo, exec_lo, s12
	v_mov_b32_e32 v23, 0
	s_wait_dscnt 0x0
	s_barrier_signal -1
	s_barrier_wait -1
	s_and_saveexec_b32 s12, s5
; %bb.977:                              ;   in Loop: Header=BB833_20 Depth=1
	ds_load_b32 v23, v118
; %bb.978:                              ;   in Loop: Header=BB833_20 Depth=1
	s_or_b32 exec_lo, exec_lo, s12
	v_cmp_gt_i32_e32 vcc_lo, 0, v131
	s_wait_dscnt 0x0
	s_barrier_signal -1
	s_barrier_wait -1
	v_cndmask_b32_e32 v24, v131, v124, vcc_lo
	s_delay_alu instid0(VALU_DEP_1)
	v_dual_add_nc_u32 v22, v23, v22 :: v_dual_lshlrev_b32 v147, 2, v24
	ds_bpermute_b32 v22, v147, v22
	s_and_saveexec_b32 s12, s0
	s_cbranch_execz .LBB833_980
; %bb.979:                              ;   in Loop: Header=BB833_20 Depth=1
	s_wait_dscnt 0x0
	v_cndmask_b32_e64 v22, v22, v23, s6
	s_delay_alu instid0(VALU_DEP_1)
	v_add_nc_u32_e32 v22, s52, v22
	ds_store_b32 v3, v22
.LBB833_980:                            ;   in Loop: Header=BB833_20 Depth=1
	s_or_b32 exec_lo, exec_lo, s12
	s_load_b64 s[12:13], s[34:35], 0x0
	v_add_nc_u64_e32 v[24:25], v[20:21], v[4:5]
	s_mov_b32 s56, s54
                                        ; implicit-def: $vgpr28_vgpr29
                                        ; implicit-def: $vgpr30_vgpr31
                                        ; implicit-def: $vgpr32_vgpr33
                                        ; implicit-def: $vgpr34_vgpr35
                                        ; implicit-def: $vgpr36_vgpr37
                                        ; implicit-def: $vgpr38_vgpr39
                                        ; implicit-def: $vgpr40_vgpr41
                                        ; implicit-def: $vgpr42_vgpr43
                                        ; implicit-def: $vgpr44_vgpr45
                                        ; implicit-def: $vgpr46_vgpr47
                                        ; implicit-def: $vgpr48_vgpr49
                                        ; implicit-def: $vgpr50_vgpr51
                                        ; implicit-def: $vgpr52_vgpr53
                                        ; implicit-def: $vgpr54_vgpr55
                                        ; implicit-def: $vgpr56_vgpr57
                                        ; implicit-def: $vgpr149
                                        ; implicit-def: $vgpr150
                                        ; implicit-def: $vgpr151
                                        ; implicit-def: $vgpr152
                                        ; implicit-def: $vgpr153
                                        ; implicit-def: $vgpr154
                                        ; implicit-def: $vgpr155
                                        ; implicit-def: $vgpr156
                                        ; implicit-def: $vgpr157
                                        ; implicit-def: $vgpr158
                                        ; implicit-def: $vgpr159
                                        ; implicit-def: $vgpr160
                                        ; implicit-def: $vgpr161
                                        ; implicit-def: $vgpr162
                                        ; implicit-def: $vgpr163
                                        ; implicit-def: $vgpr164
	s_wait_kmcnt 0x0
	s_cmp_lt_u32 s33, s12
	s_cselect_b32 s30, 12, 18
	s_cmp_lt_u32 s42, s13
	s_mov_b32 s13, s31
	s_cselect_b32 s12, 14, 20
	s_delay_alu instid0(SALU_CYCLE_1)
	s_add_nc_u64 s[12:13], s[34:35], s[12:13]
	s_load_u16 s14, s[12:13], 0x0
	s_wait_xcnt 0x0
	s_add_nc_u64 s[12:13], s[34:35], s[30:31]
	s_mov_b32 s30, s52
	s_load_u16 s12, s[12:13], 0x0
	s_wait_xcnt 0x0
	v_cmp_lt_u32_e64 s13, 1, v130
	s_wait_dscnt 0x0
	s_wait_kmcnt 0x0
	v_mad_u32_u24 v22, v119, s14, v121
	v_cmp_lt_u32_e64 s14, 3, v130
	s_delay_alu instid0(VALU_DEP_2) | instskip(SKIP_1) | instid1(VALU_DEP_2)
	v_mad_u32 v22, v22, s12, v2
	v_cmp_eq_u32_e64 s12, 0, v130
	v_lshrrev_b32_e32 v26, 3, v22
	v_add_nc_u64_e32 v[22:23], v[18:19], v[4:5]
	s_delay_alu instid0(VALU_DEP_2)
	v_and_b32_e32 v148, 0x1ffffffc, v26
                                        ; implicit-def: $vgpr26_vgpr27
	s_branch .LBB833_982
.LBB833_981:                            ;   in Loop: Header=BB833_982 Depth=2
	s_or_b32 exec_lo, exec_lo, s15
	s_addk_co_i32 s56, 0xf000
	s_cmp_lt_u32 s57, s51
	s_mov_b32 s30, s57
	s_cbranch_scc0 .LBB833_18
.LBB833_982:                            ;   Parent Loop BB833_20 Depth=1
                                        ; =>  This Inner Loop Header: Depth=2
	s_add_co_i32 s57, s30, 0x1000
	s_delay_alu instid0(SALU_CYCLE_1)
	s_cmp_gt_u32 s57, s51
	s_cbranch_scc1 .LBB833_984
; %bb.983:                              ;   in Loop: Header=BB833_982 Depth=2
	v_lshl_add_u64 v[88:89], s[30:31], 3, v[24:25]
	s_mov_b32 s15, -1
	s_clause 0xe
	global_load_b64 v[60:61], v[88:89], off
	global_load_b64 v[58:59], v[88:89], off offset:256
	global_load_b64 v[64:65], v[88:89], off offset:512
	;; [unrolled: 1-line block ×14, first 2 shown]
	s_movk_i32 s16, 0x1000
	s_cbranch_execz .LBB833_985
	s_branch .LBB833_1016
.LBB833_984:                            ;   in Loop: Header=BB833_982 Depth=2
	s_mov_b32 s15, 0
                                        ; implicit-def: $vgpr60_vgpr61
                                        ; implicit-def: $vgpr58_vgpr59
                                        ; implicit-def: $vgpr64_vgpr65
                                        ; implicit-def: $vgpr62_vgpr63
                                        ; implicit-def: $vgpr68_vgpr69
                                        ; implicit-def: $vgpr66_vgpr67
                                        ; implicit-def: $vgpr72_vgpr73
                                        ; implicit-def: $vgpr70_vgpr71
                                        ; implicit-def: $vgpr76_vgpr77
                                        ; implicit-def: $vgpr74_vgpr75
                                        ; implicit-def: $vgpr80_vgpr81
                                        ; implicit-def: $vgpr78_vgpr79
                                        ; implicit-def: $vgpr84_vgpr85
                                        ; implicit-def: $vgpr82_vgpr83
                                        ; implicit-def: $vgpr86_vgpr87
	s_movk_i32 s16, 0x1000
.LBB833_985:                            ;   in Loop: Header=BB833_982 Depth=2
	s_wait_loadcnt 0xd
	v_mov_b64_e32 v[58:59], 0x7fffffffffffffff
	v_mov_b64_e32 v[60:61], 0x7fffffffffffffff
	s_wait_xcnt 0x0
	v_lshl_add_u64 v[88:89], s[30:31], 3, v[24:25]
	s_mov_b32 s15, exec_lo
	v_cmpx_gt_u32_e64 s56, v129
	s_cbranch_execz .LBB833_987
; %bb.986:                              ;   in Loop: Header=BB833_982 Depth=2
	global_load_b64 v[60:61], v[88:89], off
.LBB833_987:                            ;   in Loop: Header=BB833_982 Depth=2
	s_wait_xcnt 0x0
	s_or_b32 exec_lo, exec_lo, s15
	s_delay_alu instid0(SALU_CYCLE_1)
	s_mov_b32 s15, exec_lo
	v_cmpx_gt_u32_e64 s56, v132
	s_cbranch_execz .LBB833_989
; %bb.988:                              ;   in Loop: Header=BB833_982 Depth=2
	global_load_b64 v[58:59], v[88:89], off offset:256
.LBB833_989:                            ;   in Loop: Header=BB833_982 Depth=2
	s_wait_xcnt 0x0
	s_or_b32 exec_lo, exec_lo, s15
	s_wait_loadcnt 0xb
	v_mov_b64_e32 v[62:63], 0x7fffffffffffffff
	v_mov_b64_e32 v[64:65], 0x7fffffffffffffff
	s_mov_b32 s15, exec_lo
	v_cmpx_gt_u32_e64 s56, v133
	s_cbranch_execz .LBB833_991
; %bb.990:                              ;   in Loop: Header=BB833_982 Depth=2
	global_load_b64 v[64:65], v[88:89], off offset:512
.LBB833_991:                            ;   in Loop: Header=BB833_982 Depth=2
	s_wait_xcnt 0x0
	s_or_b32 exec_lo, exec_lo, s15
	s_delay_alu instid0(SALU_CYCLE_1)
	s_mov_b32 s15, exec_lo
	v_cmpx_gt_u32_e64 s56, v134
	s_cbranch_execz .LBB833_993
; %bb.992:                              ;   in Loop: Header=BB833_982 Depth=2
	global_load_b64 v[62:63], v[88:89], off offset:768
.LBB833_993:                            ;   in Loop: Header=BB833_982 Depth=2
	s_wait_xcnt 0x0
	s_or_b32 exec_lo, exec_lo, s15
	s_wait_loadcnt 0x9
	v_mov_b64_e32 v[66:67], 0x7fffffffffffffff
	v_mov_b64_e32 v[68:69], 0x7fffffffffffffff
	s_mov_b32 s15, exec_lo
	v_cmpx_gt_u32_e64 s56, v135
	s_cbranch_execz .LBB833_995
; %bb.994:                              ;   in Loop: Header=BB833_982 Depth=2
	global_load_b64 v[68:69], v[88:89], off offset:1024
.LBB833_995:                            ;   in Loop: Header=BB833_982 Depth=2
	;; [unrolled: 20-line block ×3, first 2 shown]
	s_wait_xcnt 0x0
	s_or_b32 exec_lo, exec_lo, s15
	s_delay_alu instid0(SALU_CYCLE_1)
	s_mov_b32 s15, exec_lo
	v_cmpx_gt_u32_e64 s56, v138
	s_cbranch_execz .LBB833_1001
; %bb.1000:                             ;   in Loop: Header=BB833_982 Depth=2
	global_load_b64 v[70:71], v[88:89], off offset:1792
.LBB833_1001:                           ;   in Loop: Header=BB833_982 Depth=2
	s_wait_xcnt 0x0
	s_or_b32 exec_lo, exec_lo, s15
	s_wait_loadcnt 0x5
	v_mov_b64_e32 v[74:75], 0x7fffffffffffffff
	v_mov_b64_e32 v[76:77], 0x7fffffffffffffff
	s_mov_b32 s15, exec_lo
	v_cmpx_gt_u32_e64 s56, v139
	s_cbranch_execz .LBB833_1003
; %bb.1002:                             ;   in Loop: Header=BB833_982 Depth=2
	global_load_b64 v[76:77], v[88:89], off offset:2048
.LBB833_1003:                           ;   in Loop: Header=BB833_982 Depth=2
	s_wait_xcnt 0x0
	s_or_b32 exec_lo, exec_lo, s15
	s_delay_alu instid0(SALU_CYCLE_1)
	s_mov_b32 s15, exec_lo
	v_cmpx_gt_u32_e64 s56, v140
	s_cbranch_execz .LBB833_1005
; %bb.1004:                             ;   in Loop: Header=BB833_982 Depth=2
	global_load_b64 v[74:75], v[88:89], off offset:2304
.LBB833_1005:                           ;   in Loop: Header=BB833_982 Depth=2
	s_wait_xcnt 0x0
	s_or_b32 exec_lo, exec_lo, s15
	s_wait_loadcnt 0x3
	v_mov_b64_e32 v[78:79], 0x7fffffffffffffff
	v_mov_b64_e32 v[80:81], 0x7fffffffffffffff
	s_mov_b32 s15, exec_lo
	v_cmpx_gt_u32_e64 s56, v141
	s_cbranch_execz .LBB833_1007
; %bb.1006:                             ;   in Loop: Header=BB833_982 Depth=2
	global_load_b64 v[80:81], v[88:89], off offset:2560
.LBB833_1007:                           ;   in Loop: Header=BB833_982 Depth=2
	;; [unrolled: 20-line block ×3, first 2 shown]
	s_wait_xcnt 0x0
	s_or_b32 exec_lo, exec_lo, s15
	s_delay_alu instid0(SALU_CYCLE_1)
	s_mov_b32 s15, exec_lo
	v_cmpx_gt_u32_e64 s56, v144
	s_cbranch_execz .LBB833_1013
; %bb.1012:                             ;   in Loop: Header=BB833_982 Depth=2
	global_load_b64 v[82:83], v[88:89], off offset:3328
.LBB833_1013:                           ;   in Loop: Header=BB833_982 Depth=2
	s_wait_xcnt 0x0
	s_or_b32 exec_lo, exec_lo, s15
	s_wait_loadcnt 0x0
	v_mov_b64_e32 v[86:87], 0x7fffffffffffffff
	s_mov_b32 s15, exec_lo
	v_cmpx_gt_u32_e64 s56, v145
	s_cbranch_execz .LBB833_1015
; %bb.1014:                             ;   in Loop: Header=BB833_982 Depth=2
	global_load_b64 v[86:87], v[88:89], off offset:3584
.LBB833_1015:                           ;   in Loop: Header=BB833_982 Depth=2
	s_wait_xcnt 0x0
	s_or_b32 exec_lo, exec_lo, s15
	v_cmp_gt_u32_e64 s15, s56, v146
	s_sub_co_i32 s16, s51, s30
.LBB833_1016:                           ;   in Loop: Header=BB833_982 Depth=2
	s_wait_xcnt 0x0
	v_mov_b64_e32 v[88:89], -1
	v_mov_b32_e32 v165, s56
	s_and_saveexec_b32 s17, s15
	s_cbranch_execz .LBB833_1018
; %bb.1017:                             ;   in Loop: Header=BB833_982 Depth=2
	v_lshl_add_u64 v[88:89], s[30:31], 3, v[24:25]
	v_mov_b32_e32 v165, s16
	global_load_b64 v[88:89], v[88:89], off offset:3840
	s_wait_loadcnt 0x0
	s_wait_xcnt 0x0
	v_xor_b32_e32 v89, 0x80000000, v89
.LBB833_1018:                           ;   in Loop: Header=BB833_982 Depth=2
	s_or_b32 exec_lo, exec_lo, s17
	s_wait_loadcnt 0xe
	v_xor_b32_e32 v61, 0x80000000, v61
	v_add_nc_u32_e32 v169, 0x428, v120
	v_add_nc_u32_e32 v170, 0x430, v120
	s_delay_alu instid0(VALU_DEP_3) | instskip(NEXT) | instid1(VALU_DEP_1)
	v_lshrrev_b64 v[90:91], s43, v[60:61]
	v_bitop3_b32 v91, v90, 1, s55 bitop3:0x80
	v_and_b32_e32 v92, s55, v90
	s_delay_alu instid0(VALU_DEP_2) | instskip(NEXT) | instid1(VALU_DEP_1)
	v_add_co_u32 v90, s15, v91, -1
	v_cndmask_b32_e64 v91, 0, 1, s15
	s_delay_alu instid0(VALU_DEP_3) | instskip(NEXT) | instid1(VALU_DEP_2)
	v_lshlrev_b32_e32 v93, 30, v92
	v_cmp_ne_u32_e32 vcc_lo, 0, v91
	s_delay_alu instid0(VALU_DEP_2) | instskip(NEXT) | instid1(VALU_DEP_1)
	v_not_b32_e32 v91, v93
	v_dual_ashrrev_i32 v91, 31, v91 :: v_dual_bitop2_b32 v90, vcc_lo, v90 bitop3:0x14
	v_dual_lshlrev_b32 v94, 29, v92 :: v_dual_lshlrev_b32 v95, 28, v92
	v_dual_lshlrev_b32 v96, 27, v92 :: v_dual_lshlrev_b32 v97, 26, v92
	v_lshlrev_b32_e32 v166, 25, v92
	v_cmp_gt_i32_e64 s15, 0, v93
	s_delay_alu instid0(VALU_DEP_4)
	v_cmp_gt_i32_e64 s16, 0, v94
	v_not_b32_e32 v93, v94
	v_not_b32_e32 v94, v95
	v_lshlrev_b32_e32 v167, 24, v92
	v_cmp_gt_i32_e64 s17, 0, v95
	v_cmp_gt_i32_e64 s18, 0, v96
	v_not_b32_e32 v95, v96
	v_cmp_gt_i32_e64 s19, 0, v97
	v_not_b32_e32 v96, v97
	v_not_b32_e32 v97, v166
	v_dual_ashrrev_i32 v93, 31, v93 :: v_dual_ashrrev_i32 v94, 31, v94
	v_xor_b32_e32 v91, s15, v91
	v_not_b32_e32 v168, v167
	v_dual_ashrrev_i32 v95, 31, v95 :: v_dual_ashrrev_i32 v96, 31, v96
	s_delay_alu instid0(VALU_DEP_4) | instskip(SKIP_2) | instid1(VALU_DEP_4)
	v_xor_b32_e32 v93, s16, v93
	v_xor_b32_e32 v94, s17, v94
	v_bitop3_b32 v90, v90, v91, exec_lo bitop3:0x80
	v_xor_b32_e32 v95, s18, v95
	v_xor_b32_e32 v91, s19, v96
	v_cmp_gt_i32_e32 vcc_lo, 0, v166
	v_ashrrev_i32_e32 v96, 31, v97
	v_cmp_gt_i32_e64 s15, 0, v167
	v_ashrrev_i32_e32 v97, 31, v168
	v_bitop3_b32 v90, v90, v94, v93 bitop3:0x80
	v_add_nc_u32_e32 v167, 0x438, v120
	v_xor_b32_e32 v93, vcc_lo, v96
	v_add_nc_u32_e32 v168, 0x420, v120
	v_xor_b32_e32 v94, s15, v97
	v_bitop3_b32 v90, v90, v91, v95 bitop3:0x80
	v_mul_u32_u24_e32 v91, 36, v92
	ds_store_2addr_b32 v167, v5, v5 offset1:1
	ds_store_2addr_b32 v168, v5, v5 offset1:1
	;; [unrolled: 1-line block ×4, first 2 shown]
	ds_store_b32 v120, v5 offset:1088
	s_wait_loadcnt_dscnt 0x0
	v_bitop3_b32 v90, v90, v94, v93 bitop3:0x80
	v_add_nc_u32_e32 v171, v148, v91
	s_barrier_signal -1
	s_barrier_wait -1
	s_delay_alu instid0(VALU_DEP_2) | instskip(SKIP_1) | instid1(VALU_DEP_2)
	v_mbcnt_lo_u32_b32 v166, v90, 0
	v_cmp_ne_u32_e64 s15, 0, v90
	; wave barrier
	v_cmp_eq_u32_e32 vcc_lo, 0, v166
	s_and_b32 s16, s15, vcc_lo
	s_delay_alu instid0(SALU_CYCLE_1)
	s_and_saveexec_b32 s15, s16
; %bb.1019:                             ;   in Loop: Header=BB833_982 Depth=2
	v_bcnt_u32_b32 v90, v90, 0
	ds_store_b32 v171, v90 offset:1056
; %bb.1020:                             ;   in Loop: Header=BB833_982 Depth=2
	s_or_b32 exec_lo, exec_lo, s15
	v_xor_b32_e32 v59, 0x80000000, v59
	; wave barrier
	s_delay_alu instid0(VALU_DEP_1) | instskip(NEXT) | instid1(VALU_DEP_1)
	v_lshrrev_b64 v[90:91], s43, v[58:59]
	v_bitop3_b32 v91, v90, 1, s55 bitop3:0x80
	v_and_b32_e32 v92, s55, v90
	s_delay_alu instid0(VALU_DEP_2) | instskip(NEXT) | instid1(VALU_DEP_1)
	v_add_co_u32 v90, s15, v91, -1
	v_cndmask_b32_e64 v91, 0, 1, s15
	s_delay_alu instid0(VALU_DEP_3) | instskip(NEXT) | instid1(VALU_DEP_2)
	v_lshlrev_b32_e32 v93, 30, v92
	v_cmp_ne_u32_e32 vcc_lo, 0, v91
	s_delay_alu instid0(VALU_DEP_2) | instskip(NEXT) | instid1(VALU_DEP_1)
	v_not_b32_e32 v91, v93
	v_dual_ashrrev_i32 v91, 31, v91 :: v_dual_bitop2_b32 v90, vcc_lo, v90 bitop3:0x14
	v_dual_lshlrev_b32 v94, 29, v92 :: v_dual_lshlrev_b32 v95, 28, v92
	v_dual_lshlrev_b32 v96, 27, v92 :: v_dual_lshlrev_b32 v97, 26, v92
	v_lshlrev_b32_e32 v172, 25, v92
	v_cmp_gt_i32_e64 s15, 0, v93
	s_delay_alu instid0(VALU_DEP_4)
	v_cmp_gt_i32_e64 s16, 0, v94
	v_not_b32_e32 v93, v94
	v_not_b32_e32 v94, v95
	v_lshlrev_b32_e32 v173, 24, v92
	v_cmp_gt_i32_e64 s17, 0, v95
	v_cmp_gt_i32_e64 s18, 0, v96
	v_not_b32_e32 v95, v96
	v_cmp_gt_i32_e64 s19, 0, v97
	v_not_b32_e32 v96, v97
	v_not_b32_e32 v97, v172
	v_dual_ashrrev_i32 v93, 31, v93 :: v_dual_ashrrev_i32 v94, 31, v94
	v_xor_b32_e32 v91, s15, v91
	v_not_b32_e32 v174, v173
	v_dual_ashrrev_i32 v95, 31, v95 :: v_dual_ashrrev_i32 v96, 31, v96
	s_delay_alu instid0(VALU_DEP_4) | instskip(SKIP_2) | instid1(VALU_DEP_4)
	v_xor_b32_e32 v93, s16, v93
	v_xor_b32_e32 v94, s17, v94
	v_bitop3_b32 v90, v90, v91, exec_lo bitop3:0x80
	v_xor_b32_e32 v95, s18, v95
	v_xor_b32_e32 v91, s19, v96
	v_cmp_gt_i32_e32 vcc_lo, 0, v172
	v_ashrrev_i32_e32 v96, 31, v97
	v_cmp_gt_i32_e64 s15, 0, v173
	v_ashrrev_i32_e32 v97, 31, v174
	v_bitop3_b32 v90, v90, v94, v93 bitop3:0x80
	v_mad_u32_u24 v93, v92, 36, v148
	v_xor_b32_e32 v94, vcc_lo, v96
	s_delay_alu instid0(VALU_DEP_4) | instskip(NEXT) | instid1(VALU_DEP_4)
	v_xor_b32_e32 v96, s15, v97
	v_bitop3_b32 v90, v90, v91, v95 bitop3:0x80
	ds_load_b32 v172, v93 offset:1056
	v_mul_u32_u24_e32 v91, 36, v92
	; wave barrier
	v_bitop3_b32 v90, v90, v96, v94 bitop3:0x80
	s_delay_alu instid0(VALU_DEP_2) | instskip(NEXT) | instid1(VALU_DEP_2)
	v_add_nc_u32_e32 v174, v148, v91
	v_mbcnt_lo_u32_b32 v173, v90, 0
	v_cmp_ne_u32_e64 s15, 0, v90
	s_delay_alu instid0(VALU_DEP_2) | instskip(SKIP_1) | instid1(SALU_CYCLE_1)
	v_cmp_eq_u32_e32 vcc_lo, 0, v173
	s_and_b32 s16, s15, vcc_lo
	s_and_saveexec_b32 s15, s16
	s_cbranch_execz .LBB833_1022
; %bb.1021:                             ;   in Loop: Header=BB833_982 Depth=2
	s_wait_dscnt 0x0
	v_bcnt_u32_b32 v90, v90, v172
	ds_store_b32 v174, v90 offset:1056
.LBB833_1022:                           ;   in Loop: Header=BB833_982 Depth=2
	s_or_b32 exec_lo, exec_lo, s15
	v_xor_b32_e32 v65, 0x80000000, v65
	; wave barrier
	s_delay_alu instid0(VALU_DEP_1) | instskip(NEXT) | instid1(VALU_DEP_1)
	v_lshrrev_b64 v[90:91], s43, v[64:65]
	v_bitop3_b32 v91, v90, 1, s55 bitop3:0x80
	v_and_b32_e32 v92, s55, v90
	s_delay_alu instid0(VALU_DEP_2) | instskip(NEXT) | instid1(VALU_DEP_1)
	v_add_co_u32 v90, s15, v91, -1
	v_cndmask_b32_e64 v91, 0, 1, s15
	s_delay_alu instid0(VALU_DEP_3) | instskip(NEXT) | instid1(VALU_DEP_2)
	v_lshlrev_b32_e32 v93, 30, v92
	v_cmp_ne_u32_e32 vcc_lo, 0, v91
	s_delay_alu instid0(VALU_DEP_2) | instskip(NEXT) | instid1(VALU_DEP_1)
	v_not_b32_e32 v91, v93
	v_dual_ashrrev_i32 v91, 31, v91 :: v_dual_bitop2_b32 v90, vcc_lo, v90 bitop3:0x14
	v_dual_lshlrev_b32 v94, 29, v92 :: v_dual_lshlrev_b32 v95, 28, v92
	v_dual_lshlrev_b32 v96, 27, v92 :: v_dual_lshlrev_b32 v97, 26, v92
	v_lshlrev_b32_e32 v175, 25, v92
	v_cmp_gt_i32_e64 s15, 0, v93
	s_delay_alu instid0(VALU_DEP_4)
	v_cmp_gt_i32_e64 s16, 0, v94
	v_not_b32_e32 v93, v94
	v_not_b32_e32 v94, v95
	v_lshlrev_b32_e32 v176, 24, v92
	v_cmp_gt_i32_e64 s17, 0, v95
	v_cmp_gt_i32_e64 s18, 0, v96
	v_not_b32_e32 v95, v96
	v_cmp_gt_i32_e64 s19, 0, v97
	v_not_b32_e32 v96, v97
	v_not_b32_e32 v97, v175
	v_dual_ashrrev_i32 v93, 31, v93 :: v_dual_ashrrev_i32 v94, 31, v94
	v_xor_b32_e32 v91, s15, v91
	v_not_b32_e32 v177, v176
	v_dual_ashrrev_i32 v95, 31, v95 :: v_dual_ashrrev_i32 v96, 31, v96
	s_delay_alu instid0(VALU_DEP_4) | instskip(SKIP_2) | instid1(VALU_DEP_4)
	v_xor_b32_e32 v93, s16, v93
	v_xor_b32_e32 v94, s17, v94
	v_bitop3_b32 v90, v90, v91, exec_lo bitop3:0x80
	v_xor_b32_e32 v95, s18, v95
	v_xor_b32_e32 v91, s19, v96
	v_cmp_gt_i32_e32 vcc_lo, 0, v175
	v_ashrrev_i32_e32 v96, 31, v97
	v_cmp_gt_i32_e64 s15, 0, v176
	v_ashrrev_i32_e32 v97, 31, v177
	v_bitop3_b32 v90, v90, v94, v93 bitop3:0x80
	v_mad_u32_u24 v93, v92, 36, v148
	v_xor_b32_e32 v94, vcc_lo, v96
	s_delay_alu instid0(VALU_DEP_4) | instskip(NEXT) | instid1(VALU_DEP_4)
	v_xor_b32_e32 v96, s15, v97
	v_bitop3_b32 v90, v90, v91, v95 bitop3:0x80
	ds_load_b32 v175, v93 offset:1056
	v_mul_u32_u24_e32 v91, 36, v92
	; wave barrier
	v_bitop3_b32 v90, v90, v96, v94 bitop3:0x80
	s_delay_alu instid0(VALU_DEP_2) | instskip(NEXT) | instid1(VALU_DEP_2)
	v_add_nc_u32_e32 v177, v148, v91
	v_mbcnt_lo_u32_b32 v176, v90, 0
	v_cmp_ne_u32_e64 s15, 0, v90
	s_delay_alu instid0(VALU_DEP_2) | instskip(SKIP_1) | instid1(SALU_CYCLE_1)
	v_cmp_eq_u32_e32 vcc_lo, 0, v176
	s_and_b32 s16, s15, vcc_lo
	s_and_saveexec_b32 s15, s16
	s_cbranch_execz .LBB833_1024
; %bb.1023:                             ;   in Loop: Header=BB833_982 Depth=2
	s_wait_dscnt 0x0
	v_bcnt_u32_b32 v90, v90, v175
	ds_store_b32 v177, v90 offset:1056
.LBB833_1024:                           ;   in Loop: Header=BB833_982 Depth=2
	s_or_b32 exec_lo, exec_lo, s15
	v_xor_b32_e32 v63, 0x80000000, v63
	; wave barrier
	s_delay_alu instid0(VALU_DEP_1) | instskip(NEXT) | instid1(VALU_DEP_1)
	v_lshrrev_b64 v[90:91], s43, v[62:63]
	v_bitop3_b32 v91, v90, 1, s55 bitop3:0x80
	v_and_b32_e32 v92, s55, v90
	s_delay_alu instid0(VALU_DEP_2) | instskip(NEXT) | instid1(VALU_DEP_1)
	v_add_co_u32 v90, s15, v91, -1
	v_cndmask_b32_e64 v91, 0, 1, s15
	s_delay_alu instid0(VALU_DEP_3) | instskip(NEXT) | instid1(VALU_DEP_2)
	v_lshlrev_b32_e32 v93, 30, v92
	v_cmp_ne_u32_e32 vcc_lo, 0, v91
	s_delay_alu instid0(VALU_DEP_2) | instskip(NEXT) | instid1(VALU_DEP_1)
	v_not_b32_e32 v91, v93
	v_dual_ashrrev_i32 v91, 31, v91 :: v_dual_bitop2_b32 v90, vcc_lo, v90 bitop3:0x14
	v_dual_lshlrev_b32 v94, 29, v92 :: v_dual_lshlrev_b32 v95, 28, v92
	v_dual_lshlrev_b32 v96, 27, v92 :: v_dual_lshlrev_b32 v97, 26, v92
	v_lshlrev_b32_e32 v178, 25, v92
	v_cmp_gt_i32_e64 s15, 0, v93
	s_delay_alu instid0(VALU_DEP_4)
	v_cmp_gt_i32_e64 s16, 0, v94
	v_not_b32_e32 v93, v94
	v_not_b32_e32 v94, v95
	v_lshlrev_b32_e32 v179, 24, v92
	v_cmp_gt_i32_e64 s17, 0, v95
	v_cmp_gt_i32_e64 s18, 0, v96
	v_not_b32_e32 v95, v96
	v_cmp_gt_i32_e64 s19, 0, v97
	v_not_b32_e32 v96, v97
	v_not_b32_e32 v97, v178
	v_dual_ashrrev_i32 v93, 31, v93 :: v_dual_ashrrev_i32 v94, 31, v94
	v_xor_b32_e32 v91, s15, v91
	v_not_b32_e32 v180, v179
	v_dual_ashrrev_i32 v95, 31, v95 :: v_dual_ashrrev_i32 v96, 31, v96
	s_delay_alu instid0(VALU_DEP_4) | instskip(SKIP_2) | instid1(VALU_DEP_4)
	v_xor_b32_e32 v93, s16, v93
	v_xor_b32_e32 v94, s17, v94
	v_bitop3_b32 v90, v90, v91, exec_lo bitop3:0x80
	v_xor_b32_e32 v95, s18, v95
	v_xor_b32_e32 v91, s19, v96
	v_cmp_gt_i32_e32 vcc_lo, 0, v178
	v_ashrrev_i32_e32 v96, 31, v97
	v_cmp_gt_i32_e64 s15, 0, v179
	v_ashrrev_i32_e32 v97, 31, v180
	v_bitop3_b32 v90, v90, v94, v93 bitop3:0x80
	v_mad_u32_u24 v93, v92, 36, v148
	v_xor_b32_e32 v94, vcc_lo, v96
	s_delay_alu instid0(VALU_DEP_4) | instskip(NEXT) | instid1(VALU_DEP_4)
	v_xor_b32_e32 v96, s15, v97
	v_bitop3_b32 v90, v90, v91, v95 bitop3:0x80
	ds_load_b32 v178, v93 offset:1056
	v_mul_u32_u24_e32 v91, 36, v92
	; wave barrier
	v_bitop3_b32 v90, v90, v96, v94 bitop3:0x80
	s_delay_alu instid0(VALU_DEP_2) | instskip(NEXT) | instid1(VALU_DEP_2)
	v_add_nc_u32_e32 v180, v148, v91
	v_mbcnt_lo_u32_b32 v179, v90, 0
	v_cmp_ne_u32_e64 s15, 0, v90
	s_delay_alu instid0(VALU_DEP_2) | instskip(SKIP_1) | instid1(SALU_CYCLE_1)
	v_cmp_eq_u32_e32 vcc_lo, 0, v179
	s_and_b32 s16, s15, vcc_lo
	s_and_saveexec_b32 s15, s16
	s_cbranch_execz .LBB833_1026
; %bb.1025:                             ;   in Loop: Header=BB833_982 Depth=2
	s_wait_dscnt 0x0
	v_bcnt_u32_b32 v90, v90, v178
	ds_store_b32 v180, v90 offset:1056
.LBB833_1026:                           ;   in Loop: Header=BB833_982 Depth=2
	s_or_b32 exec_lo, exec_lo, s15
	v_xor_b32_e32 v69, 0x80000000, v69
	; wave barrier
	s_delay_alu instid0(VALU_DEP_1) | instskip(NEXT) | instid1(VALU_DEP_1)
	v_lshrrev_b64 v[90:91], s43, v[68:69]
	v_bitop3_b32 v91, v90, 1, s55 bitop3:0x80
	v_and_b32_e32 v92, s55, v90
	s_delay_alu instid0(VALU_DEP_2) | instskip(NEXT) | instid1(VALU_DEP_1)
	v_add_co_u32 v90, s15, v91, -1
	v_cndmask_b32_e64 v91, 0, 1, s15
	s_delay_alu instid0(VALU_DEP_3) | instskip(NEXT) | instid1(VALU_DEP_2)
	v_lshlrev_b32_e32 v93, 30, v92
	v_cmp_ne_u32_e32 vcc_lo, 0, v91
	s_delay_alu instid0(VALU_DEP_2) | instskip(NEXT) | instid1(VALU_DEP_1)
	v_not_b32_e32 v91, v93
	v_dual_ashrrev_i32 v91, 31, v91 :: v_dual_bitop2_b32 v90, vcc_lo, v90 bitop3:0x14
	v_dual_lshlrev_b32 v94, 29, v92 :: v_dual_lshlrev_b32 v95, 28, v92
	v_dual_lshlrev_b32 v96, 27, v92 :: v_dual_lshlrev_b32 v97, 26, v92
	v_lshlrev_b32_e32 v181, 25, v92
	v_cmp_gt_i32_e64 s15, 0, v93
	s_delay_alu instid0(VALU_DEP_4)
	v_cmp_gt_i32_e64 s16, 0, v94
	v_not_b32_e32 v93, v94
	v_not_b32_e32 v94, v95
	v_lshlrev_b32_e32 v182, 24, v92
	v_cmp_gt_i32_e64 s17, 0, v95
	v_cmp_gt_i32_e64 s18, 0, v96
	v_not_b32_e32 v95, v96
	v_cmp_gt_i32_e64 s19, 0, v97
	v_not_b32_e32 v96, v97
	v_not_b32_e32 v97, v181
	v_dual_ashrrev_i32 v93, 31, v93 :: v_dual_ashrrev_i32 v94, 31, v94
	v_xor_b32_e32 v91, s15, v91
	v_not_b32_e32 v183, v182
	v_dual_ashrrev_i32 v95, 31, v95 :: v_dual_ashrrev_i32 v96, 31, v96
	s_delay_alu instid0(VALU_DEP_4) | instskip(SKIP_2) | instid1(VALU_DEP_4)
	v_xor_b32_e32 v93, s16, v93
	v_xor_b32_e32 v94, s17, v94
	v_bitop3_b32 v90, v90, v91, exec_lo bitop3:0x80
	v_xor_b32_e32 v95, s18, v95
	v_xor_b32_e32 v91, s19, v96
	v_cmp_gt_i32_e32 vcc_lo, 0, v181
	v_ashrrev_i32_e32 v96, 31, v97
	v_cmp_gt_i32_e64 s15, 0, v182
	v_ashrrev_i32_e32 v97, 31, v183
	v_bitop3_b32 v90, v90, v94, v93 bitop3:0x80
	v_mad_u32_u24 v93, v92, 36, v148
	v_xor_b32_e32 v94, vcc_lo, v96
	s_delay_alu instid0(VALU_DEP_4) | instskip(NEXT) | instid1(VALU_DEP_4)
	v_xor_b32_e32 v96, s15, v97
	v_bitop3_b32 v90, v90, v91, v95 bitop3:0x80
	ds_load_b32 v181, v93 offset:1056
	v_mul_u32_u24_e32 v91, 36, v92
	; wave barrier
	v_bitop3_b32 v90, v90, v96, v94 bitop3:0x80
	s_delay_alu instid0(VALU_DEP_2) | instskip(NEXT) | instid1(VALU_DEP_2)
	v_add_nc_u32_e32 v183, v148, v91
	v_mbcnt_lo_u32_b32 v182, v90, 0
	v_cmp_ne_u32_e64 s15, 0, v90
	s_delay_alu instid0(VALU_DEP_2) | instskip(SKIP_1) | instid1(SALU_CYCLE_1)
	v_cmp_eq_u32_e32 vcc_lo, 0, v182
	s_and_b32 s16, s15, vcc_lo
	s_and_saveexec_b32 s15, s16
	s_cbranch_execz .LBB833_1028
; %bb.1027:                             ;   in Loop: Header=BB833_982 Depth=2
	s_wait_dscnt 0x0
	v_bcnt_u32_b32 v90, v90, v181
	ds_store_b32 v183, v90 offset:1056
.LBB833_1028:                           ;   in Loop: Header=BB833_982 Depth=2
	s_or_b32 exec_lo, exec_lo, s15
	v_xor_b32_e32 v67, 0x80000000, v67
	; wave barrier
	s_delay_alu instid0(VALU_DEP_1) | instskip(NEXT) | instid1(VALU_DEP_1)
	v_lshrrev_b64 v[90:91], s43, v[66:67]
	v_bitop3_b32 v91, v90, 1, s55 bitop3:0x80
	v_and_b32_e32 v92, s55, v90
	s_delay_alu instid0(VALU_DEP_2) | instskip(NEXT) | instid1(VALU_DEP_1)
	v_add_co_u32 v90, s15, v91, -1
	v_cndmask_b32_e64 v91, 0, 1, s15
	s_delay_alu instid0(VALU_DEP_3) | instskip(NEXT) | instid1(VALU_DEP_2)
	v_lshlrev_b32_e32 v93, 30, v92
	v_cmp_ne_u32_e32 vcc_lo, 0, v91
	s_delay_alu instid0(VALU_DEP_2) | instskip(NEXT) | instid1(VALU_DEP_1)
	v_not_b32_e32 v91, v93
	v_dual_ashrrev_i32 v91, 31, v91 :: v_dual_bitop2_b32 v90, vcc_lo, v90 bitop3:0x14
	v_dual_lshlrev_b32 v94, 29, v92 :: v_dual_lshlrev_b32 v95, 28, v92
	v_dual_lshlrev_b32 v96, 27, v92 :: v_dual_lshlrev_b32 v97, 26, v92
	v_lshlrev_b32_e32 v184, 25, v92
	v_cmp_gt_i32_e64 s15, 0, v93
	s_delay_alu instid0(VALU_DEP_4)
	v_cmp_gt_i32_e64 s16, 0, v94
	v_not_b32_e32 v93, v94
	v_not_b32_e32 v94, v95
	v_lshlrev_b32_e32 v185, 24, v92
	v_cmp_gt_i32_e64 s17, 0, v95
	v_cmp_gt_i32_e64 s18, 0, v96
	v_not_b32_e32 v95, v96
	v_cmp_gt_i32_e64 s19, 0, v97
	v_not_b32_e32 v96, v97
	v_not_b32_e32 v97, v184
	v_dual_ashrrev_i32 v93, 31, v93 :: v_dual_ashrrev_i32 v94, 31, v94
	v_xor_b32_e32 v91, s15, v91
	v_not_b32_e32 v186, v185
	v_dual_ashrrev_i32 v95, 31, v95 :: v_dual_ashrrev_i32 v96, 31, v96
	s_delay_alu instid0(VALU_DEP_4) | instskip(SKIP_2) | instid1(VALU_DEP_4)
	v_xor_b32_e32 v93, s16, v93
	v_xor_b32_e32 v94, s17, v94
	v_bitop3_b32 v90, v90, v91, exec_lo bitop3:0x80
	v_xor_b32_e32 v95, s18, v95
	v_xor_b32_e32 v91, s19, v96
	v_cmp_gt_i32_e32 vcc_lo, 0, v184
	v_ashrrev_i32_e32 v96, 31, v97
	v_cmp_gt_i32_e64 s15, 0, v185
	v_ashrrev_i32_e32 v97, 31, v186
	v_bitop3_b32 v90, v90, v94, v93 bitop3:0x80
	v_mad_u32_u24 v93, v92, 36, v148
	v_xor_b32_e32 v94, vcc_lo, v96
	s_delay_alu instid0(VALU_DEP_4) | instskip(NEXT) | instid1(VALU_DEP_4)
	v_xor_b32_e32 v96, s15, v97
	v_bitop3_b32 v90, v90, v91, v95 bitop3:0x80
	ds_load_b32 v184, v93 offset:1056
	v_mul_u32_u24_e32 v91, 36, v92
	; wave barrier
	v_bitop3_b32 v90, v90, v96, v94 bitop3:0x80
	s_delay_alu instid0(VALU_DEP_2) | instskip(NEXT) | instid1(VALU_DEP_2)
	v_add_nc_u32_e32 v186, v148, v91
	v_mbcnt_lo_u32_b32 v185, v90, 0
	v_cmp_ne_u32_e64 s15, 0, v90
	s_delay_alu instid0(VALU_DEP_2) | instskip(SKIP_1) | instid1(SALU_CYCLE_1)
	v_cmp_eq_u32_e32 vcc_lo, 0, v185
	s_and_b32 s16, s15, vcc_lo
	s_and_saveexec_b32 s15, s16
	s_cbranch_execz .LBB833_1030
; %bb.1029:                             ;   in Loop: Header=BB833_982 Depth=2
	s_wait_dscnt 0x0
	v_bcnt_u32_b32 v90, v90, v184
	ds_store_b32 v186, v90 offset:1056
.LBB833_1030:                           ;   in Loop: Header=BB833_982 Depth=2
	s_or_b32 exec_lo, exec_lo, s15
	v_xor_b32_e32 v73, 0x80000000, v73
	; wave barrier
	s_delay_alu instid0(VALU_DEP_1) | instskip(NEXT) | instid1(VALU_DEP_1)
	v_lshrrev_b64 v[90:91], s43, v[72:73]
	v_bitop3_b32 v91, v90, 1, s55 bitop3:0x80
	v_and_b32_e32 v92, s55, v90
	s_delay_alu instid0(VALU_DEP_2) | instskip(NEXT) | instid1(VALU_DEP_1)
	v_add_co_u32 v90, s15, v91, -1
	v_cndmask_b32_e64 v91, 0, 1, s15
	s_delay_alu instid0(VALU_DEP_3) | instskip(NEXT) | instid1(VALU_DEP_2)
	v_lshlrev_b32_e32 v93, 30, v92
	v_cmp_ne_u32_e32 vcc_lo, 0, v91
	s_delay_alu instid0(VALU_DEP_2) | instskip(NEXT) | instid1(VALU_DEP_1)
	v_not_b32_e32 v91, v93
	v_dual_ashrrev_i32 v91, 31, v91 :: v_dual_bitop2_b32 v90, vcc_lo, v90 bitop3:0x14
	v_dual_lshlrev_b32 v94, 29, v92 :: v_dual_lshlrev_b32 v95, 28, v92
	v_dual_lshlrev_b32 v96, 27, v92 :: v_dual_lshlrev_b32 v97, 26, v92
	v_lshlrev_b32_e32 v187, 25, v92
	v_cmp_gt_i32_e64 s15, 0, v93
	s_delay_alu instid0(VALU_DEP_4)
	v_cmp_gt_i32_e64 s16, 0, v94
	v_not_b32_e32 v93, v94
	v_not_b32_e32 v94, v95
	v_lshlrev_b32_e32 v188, 24, v92
	v_cmp_gt_i32_e64 s17, 0, v95
	v_cmp_gt_i32_e64 s18, 0, v96
	v_not_b32_e32 v95, v96
	v_cmp_gt_i32_e64 s19, 0, v97
	v_not_b32_e32 v96, v97
	v_not_b32_e32 v97, v187
	v_dual_ashrrev_i32 v93, 31, v93 :: v_dual_ashrrev_i32 v94, 31, v94
	v_xor_b32_e32 v91, s15, v91
	v_not_b32_e32 v189, v188
	v_dual_ashrrev_i32 v95, 31, v95 :: v_dual_ashrrev_i32 v96, 31, v96
	s_delay_alu instid0(VALU_DEP_4) | instskip(SKIP_2) | instid1(VALU_DEP_4)
	v_xor_b32_e32 v93, s16, v93
	v_xor_b32_e32 v94, s17, v94
	v_bitop3_b32 v90, v90, v91, exec_lo bitop3:0x80
	v_xor_b32_e32 v95, s18, v95
	v_xor_b32_e32 v91, s19, v96
	v_cmp_gt_i32_e32 vcc_lo, 0, v187
	v_ashrrev_i32_e32 v96, 31, v97
	v_cmp_gt_i32_e64 s15, 0, v188
	v_ashrrev_i32_e32 v97, 31, v189
	v_bitop3_b32 v90, v90, v94, v93 bitop3:0x80
	v_mad_u32_u24 v93, v92, 36, v148
	v_xor_b32_e32 v94, vcc_lo, v96
	s_delay_alu instid0(VALU_DEP_4) | instskip(NEXT) | instid1(VALU_DEP_4)
	v_xor_b32_e32 v96, s15, v97
	v_bitop3_b32 v90, v90, v91, v95 bitop3:0x80
	ds_load_b32 v187, v93 offset:1056
	v_mul_u32_u24_e32 v91, 36, v92
	; wave barrier
	v_bitop3_b32 v90, v90, v96, v94 bitop3:0x80
	s_delay_alu instid0(VALU_DEP_2) | instskip(NEXT) | instid1(VALU_DEP_2)
	v_add_nc_u32_e32 v189, v148, v91
	v_mbcnt_lo_u32_b32 v188, v90, 0
	v_cmp_ne_u32_e64 s15, 0, v90
	s_delay_alu instid0(VALU_DEP_2) | instskip(SKIP_1) | instid1(SALU_CYCLE_1)
	v_cmp_eq_u32_e32 vcc_lo, 0, v188
	s_and_b32 s16, s15, vcc_lo
	s_and_saveexec_b32 s15, s16
	s_cbranch_execz .LBB833_1032
; %bb.1031:                             ;   in Loop: Header=BB833_982 Depth=2
	s_wait_dscnt 0x0
	v_bcnt_u32_b32 v90, v90, v187
	ds_store_b32 v189, v90 offset:1056
.LBB833_1032:                           ;   in Loop: Header=BB833_982 Depth=2
	s_or_b32 exec_lo, exec_lo, s15
	v_xor_b32_e32 v71, 0x80000000, v71
	; wave barrier
	s_delay_alu instid0(VALU_DEP_1) | instskip(NEXT) | instid1(VALU_DEP_1)
	v_lshrrev_b64 v[90:91], s43, v[70:71]
	v_bitop3_b32 v91, v90, 1, s55 bitop3:0x80
	v_and_b32_e32 v92, s55, v90
	s_delay_alu instid0(VALU_DEP_2) | instskip(NEXT) | instid1(VALU_DEP_2)
	v_add_co_u32 v90, s15, v91, -1
	v_lshlrev_b32_e32 v91, 30, v92
	v_cndmask_b32_e64 v191, 0, 1, s15
	s_delay_alu instid0(VALU_DEP_2) | instskip(SKIP_1) | instid1(VALU_DEP_3)
	v_cmp_gt_i32_e32 vcc_lo, 0, v91
	v_not_b32_e32 v91, v91
	v_cmp_ne_u32_e64 s19, 0, v191
	s_delay_alu instid0(VALU_DEP_2) | instskip(SKIP_2) | instid1(VALU_DEP_3)
	v_dual_ashrrev_i32 v91, 31, v91 :: v_dual_lshlrev_b32 v93, 29, v92
	v_dual_lshlrev_b32 v94, 28, v92 :: v_dual_lshlrev_b32 v95, 27, v92
	v_dual_lshlrev_b32 v96, 26, v92 :: v_dual_lshlrev_b32 v97, 25, v92
	v_cmp_gt_i32_e64 s15, 0, v93
	v_not_b32_e32 v93, v93
	s_delay_alu instid0(VALU_DEP_4)
	v_cmp_gt_i32_e64 s16, 0, v94
	v_not_b32_e32 v94, v94
	v_lshlrev_b32_e32 v190, 24, v92
	v_cmp_gt_i32_e64 s17, 0, v95
	v_not_b32_e32 v95, v95
	v_cmp_gt_i32_e64 s18, 0, v96
	v_not_b32_e32 v96, v96
	v_not_b32_e32 v192, v97
	v_dual_ashrrev_i32 v93, 31, v93 :: v_dual_ashrrev_i32 v94, 31, v94
	v_dual_ashrrev_i32 v95, 31, v95 :: v_dual_bitop2_b32 v90, s19, v90 bitop3:0x14
	s_delay_alu instid0(VALU_DEP_4) | instskip(SKIP_1) | instid1(VALU_DEP_4)
	v_dual_ashrrev_i32 v96, 31, v96 :: v_dual_bitop2_b32 v91, vcc_lo, v91 bitop3:0x14
	v_not_b32_e32 v193, v190
	v_xor_b32_e32 v93, s15, v93
	v_xor_b32_e32 v94, s16, v94
	;; [unrolled: 1-line block ×3, first 2 shown]
	v_bitop3_b32 v90, v90, v91, exec_lo bitop3:0x80
	v_xor_b32_e32 v91, s18, v96
	v_cmp_gt_i32_e32 vcc_lo, 0, v97
	v_ashrrev_i32_e32 v96, 31, v192
	v_cmp_gt_i32_e64 s15, 0, v190
	v_ashrrev_i32_e32 v97, 31, v193
	v_bitop3_b32 v90, v90, v94, v93 bitop3:0x80
	v_mad_u32_u24 v93, v92, 36, v148
	v_xor_b32_e32 v94, vcc_lo, v96
	s_delay_alu instid0(VALU_DEP_4) | instskip(NEXT) | instid1(VALU_DEP_4)
	v_xor_b32_e32 v96, s15, v97
	v_bitop3_b32 v90, v90, v91, v95 bitop3:0x80
	ds_load_b32 v190, v93 offset:1056
	v_mul_u32_u24_e32 v91, 36, v92
	; wave barrier
	v_bitop3_b32 v90, v90, v96, v94 bitop3:0x80
	s_delay_alu instid0(VALU_DEP_2) | instskip(NEXT) | instid1(VALU_DEP_2)
	v_add_nc_u32_e32 v192, v148, v91
	v_mbcnt_lo_u32_b32 v191, v90, 0
	v_cmp_ne_u32_e64 s15, 0, v90
	s_delay_alu instid0(VALU_DEP_2) | instskip(SKIP_1) | instid1(SALU_CYCLE_1)
	v_cmp_eq_u32_e32 vcc_lo, 0, v191
	s_and_b32 s16, s15, vcc_lo
	s_and_saveexec_b32 s15, s16
	s_cbranch_execz .LBB833_1034
; %bb.1033:                             ;   in Loop: Header=BB833_982 Depth=2
	s_wait_dscnt 0x0
	v_bcnt_u32_b32 v90, v90, v190
	ds_store_b32 v192, v90 offset:1056
.LBB833_1034:                           ;   in Loop: Header=BB833_982 Depth=2
	s_or_b32 exec_lo, exec_lo, s15
	v_xor_b32_e32 v77, 0x80000000, v77
	; wave barrier
	s_delay_alu instid0(VALU_DEP_1) | instskip(NEXT) | instid1(VALU_DEP_1)
	v_lshrrev_b64 v[90:91], s43, v[76:77]
	v_bitop3_b32 v91, v90, 1, s55 bitop3:0x80
	v_and_b32_e32 v92, s55, v90
	s_delay_alu instid0(VALU_DEP_2) | instskip(NEXT) | instid1(VALU_DEP_1)
	v_add_co_u32 v90, s15, v91, -1
	v_cndmask_b32_e64 v91, 0, 1, s15
	s_delay_alu instid0(VALU_DEP_3) | instskip(NEXT) | instid1(VALU_DEP_2)
	v_lshlrev_b32_e32 v93, 30, v92
	v_cmp_ne_u32_e32 vcc_lo, 0, v91
	s_delay_alu instid0(VALU_DEP_2) | instskip(NEXT) | instid1(VALU_DEP_1)
	v_not_b32_e32 v91, v93
	v_dual_ashrrev_i32 v91, 31, v91 :: v_dual_bitop2_b32 v90, vcc_lo, v90 bitop3:0x14
	v_dual_lshlrev_b32 v94, 29, v92 :: v_dual_lshlrev_b32 v95, 28, v92
	v_dual_lshlrev_b32 v96, 27, v92 :: v_dual_lshlrev_b32 v97, 26, v92
	v_lshlrev_b32_e32 v193, 25, v92
	v_cmp_gt_i32_e64 s15, 0, v93
	s_delay_alu instid0(VALU_DEP_4)
	v_cmp_gt_i32_e64 s16, 0, v94
	v_not_b32_e32 v93, v94
	v_not_b32_e32 v94, v95
	v_lshlrev_b32_e32 v194, 24, v92
	v_cmp_gt_i32_e64 s17, 0, v95
	v_cmp_gt_i32_e64 s18, 0, v96
	v_not_b32_e32 v95, v96
	v_cmp_gt_i32_e64 s19, 0, v97
	v_not_b32_e32 v96, v97
	v_not_b32_e32 v97, v193
	v_dual_ashrrev_i32 v93, 31, v93 :: v_dual_ashrrev_i32 v94, 31, v94
	v_xor_b32_e32 v91, s15, v91
	v_not_b32_e32 v195, v194
	v_dual_ashrrev_i32 v95, 31, v95 :: v_dual_ashrrev_i32 v96, 31, v96
	s_delay_alu instid0(VALU_DEP_4) | instskip(SKIP_2) | instid1(VALU_DEP_4)
	v_xor_b32_e32 v93, s16, v93
	v_xor_b32_e32 v94, s17, v94
	v_bitop3_b32 v90, v90, v91, exec_lo bitop3:0x80
	v_xor_b32_e32 v95, s18, v95
	v_xor_b32_e32 v91, s19, v96
	v_cmp_gt_i32_e32 vcc_lo, 0, v193
	v_ashrrev_i32_e32 v96, 31, v97
	v_cmp_gt_i32_e64 s15, 0, v194
	v_ashrrev_i32_e32 v97, 31, v195
	v_bitop3_b32 v90, v90, v94, v93 bitop3:0x80
	v_mad_u32_u24 v93, v92, 36, v148
	v_xor_b32_e32 v94, vcc_lo, v96
	s_delay_alu instid0(VALU_DEP_4) | instskip(NEXT) | instid1(VALU_DEP_4)
	v_xor_b32_e32 v96, s15, v97
	v_bitop3_b32 v90, v90, v91, v95 bitop3:0x80
	ds_load_b32 v193, v93 offset:1056
	v_mul_u32_u24_e32 v91, 36, v92
	; wave barrier
	v_bitop3_b32 v90, v90, v96, v94 bitop3:0x80
	s_delay_alu instid0(VALU_DEP_2) | instskip(NEXT) | instid1(VALU_DEP_2)
	v_add_nc_u32_e32 v195, v148, v91
	v_mbcnt_lo_u32_b32 v194, v90, 0
	v_cmp_ne_u32_e64 s15, 0, v90
	s_delay_alu instid0(VALU_DEP_2) | instskip(SKIP_1) | instid1(SALU_CYCLE_1)
	v_cmp_eq_u32_e32 vcc_lo, 0, v194
	s_and_b32 s16, s15, vcc_lo
	s_and_saveexec_b32 s15, s16
	s_cbranch_execz .LBB833_1036
; %bb.1035:                             ;   in Loop: Header=BB833_982 Depth=2
	s_wait_dscnt 0x0
	v_bcnt_u32_b32 v90, v90, v193
	ds_store_b32 v195, v90 offset:1056
.LBB833_1036:                           ;   in Loop: Header=BB833_982 Depth=2
	s_or_b32 exec_lo, exec_lo, s15
	v_xor_b32_e32 v75, 0x80000000, v75
	; wave barrier
	s_delay_alu instid0(VALU_DEP_1) | instskip(NEXT) | instid1(VALU_DEP_1)
	v_lshrrev_b64 v[90:91], s43, v[74:75]
	v_bitop3_b32 v91, v90, 1, s55 bitop3:0x80
	v_and_b32_e32 v92, s55, v90
	s_delay_alu instid0(VALU_DEP_2) | instskip(NEXT) | instid1(VALU_DEP_1)
	v_add_co_u32 v90, s15, v91, -1
	v_cndmask_b32_e64 v91, 0, 1, s15
	s_delay_alu instid0(VALU_DEP_3) | instskip(NEXT) | instid1(VALU_DEP_2)
	v_lshlrev_b32_e32 v93, 30, v92
	v_cmp_ne_u32_e32 vcc_lo, 0, v91
	s_delay_alu instid0(VALU_DEP_2) | instskip(NEXT) | instid1(VALU_DEP_1)
	v_not_b32_e32 v91, v93
	v_dual_ashrrev_i32 v91, 31, v91 :: v_dual_bitop2_b32 v90, vcc_lo, v90 bitop3:0x14
	v_dual_lshlrev_b32 v94, 29, v92 :: v_dual_lshlrev_b32 v95, 28, v92
	v_dual_lshlrev_b32 v96, 27, v92 :: v_dual_lshlrev_b32 v97, 26, v92
	v_lshlrev_b32_e32 v196, 25, v92
	v_cmp_gt_i32_e64 s15, 0, v93
	s_delay_alu instid0(VALU_DEP_4)
	v_cmp_gt_i32_e64 s16, 0, v94
	v_not_b32_e32 v93, v94
	v_not_b32_e32 v94, v95
	v_lshlrev_b32_e32 v197, 24, v92
	v_cmp_gt_i32_e64 s17, 0, v95
	v_cmp_gt_i32_e64 s18, 0, v96
	v_not_b32_e32 v95, v96
	v_cmp_gt_i32_e64 s19, 0, v97
	v_not_b32_e32 v96, v97
	v_not_b32_e32 v97, v196
	v_dual_ashrrev_i32 v93, 31, v93 :: v_dual_ashrrev_i32 v94, 31, v94
	v_xor_b32_e32 v91, s15, v91
	v_not_b32_e32 v198, v197
	v_dual_ashrrev_i32 v95, 31, v95 :: v_dual_ashrrev_i32 v96, 31, v96
	s_delay_alu instid0(VALU_DEP_4) | instskip(SKIP_2) | instid1(VALU_DEP_4)
	v_xor_b32_e32 v93, s16, v93
	v_xor_b32_e32 v94, s17, v94
	v_bitop3_b32 v90, v90, v91, exec_lo bitop3:0x80
	v_xor_b32_e32 v95, s18, v95
	v_xor_b32_e32 v91, s19, v96
	v_cmp_gt_i32_e32 vcc_lo, 0, v196
	v_ashrrev_i32_e32 v96, 31, v97
	v_cmp_gt_i32_e64 s15, 0, v197
	v_ashrrev_i32_e32 v97, 31, v198
	v_bitop3_b32 v90, v90, v94, v93 bitop3:0x80
	v_mad_u32_u24 v93, v92, 36, v148
	v_xor_b32_e32 v94, vcc_lo, v96
	s_delay_alu instid0(VALU_DEP_4) | instskip(NEXT) | instid1(VALU_DEP_4)
	v_xor_b32_e32 v96, s15, v97
	v_bitop3_b32 v90, v90, v91, v95 bitop3:0x80
	ds_load_b32 v196, v93 offset:1056
	v_mul_u32_u24_e32 v91, 36, v92
	; wave barrier
	v_bitop3_b32 v90, v90, v96, v94 bitop3:0x80
	s_delay_alu instid0(VALU_DEP_2) | instskip(NEXT) | instid1(VALU_DEP_2)
	v_add_nc_u32_e32 v198, v148, v91
	v_mbcnt_lo_u32_b32 v197, v90, 0
	v_cmp_ne_u32_e64 s15, 0, v90
	s_delay_alu instid0(VALU_DEP_2) | instskip(SKIP_1) | instid1(SALU_CYCLE_1)
	v_cmp_eq_u32_e32 vcc_lo, 0, v197
	s_and_b32 s16, s15, vcc_lo
	s_and_saveexec_b32 s15, s16
	s_cbranch_execz .LBB833_1038
; %bb.1037:                             ;   in Loop: Header=BB833_982 Depth=2
	s_wait_dscnt 0x0
	v_bcnt_u32_b32 v90, v90, v196
	ds_store_b32 v198, v90 offset:1056
.LBB833_1038:                           ;   in Loop: Header=BB833_982 Depth=2
	s_or_b32 exec_lo, exec_lo, s15
	v_xor_b32_e32 v81, 0x80000000, v81
	; wave barrier
	s_delay_alu instid0(VALU_DEP_1) | instskip(NEXT) | instid1(VALU_DEP_1)
	v_lshrrev_b64 v[90:91], s43, v[80:81]
	v_bitop3_b32 v91, v90, 1, s55 bitop3:0x80
	v_and_b32_e32 v92, s55, v90
	s_delay_alu instid0(VALU_DEP_2) | instskip(NEXT) | instid1(VALU_DEP_1)
	v_add_co_u32 v90, s15, v91, -1
	v_cndmask_b32_e64 v91, 0, 1, s15
	s_delay_alu instid0(VALU_DEP_3) | instskip(NEXT) | instid1(VALU_DEP_2)
	v_lshlrev_b32_e32 v93, 30, v92
	v_cmp_ne_u32_e32 vcc_lo, 0, v91
	s_delay_alu instid0(VALU_DEP_2) | instskip(NEXT) | instid1(VALU_DEP_1)
	v_not_b32_e32 v91, v93
	v_dual_ashrrev_i32 v91, 31, v91 :: v_dual_bitop2_b32 v90, vcc_lo, v90 bitop3:0x14
	v_dual_lshlrev_b32 v94, 29, v92 :: v_dual_lshlrev_b32 v95, 28, v92
	v_dual_lshlrev_b32 v96, 27, v92 :: v_dual_lshlrev_b32 v97, 26, v92
	v_lshlrev_b32_e32 v199, 25, v92
	v_cmp_gt_i32_e64 s15, 0, v93
	s_delay_alu instid0(VALU_DEP_4)
	v_cmp_gt_i32_e64 s16, 0, v94
	v_not_b32_e32 v93, v94
	v_not_b32_e32 v94, v95
	v_lshlrev_b32_e32 v200, 24, v92
	v_cmp_gt_i32_e64 s17, 0, v95
	v_cmp_gt_i32_e64 s18, 0, v96
	v_not_b32_e32 v95, v96
	v_cmp_gt_i32_e64 s19, 0, v97
	v_not_b32_e32 v96, v97
	v_not_b32_e32 v97, v199
	v_dual_ashrrev_i32 v93, 31, v93 :: v_dual_ashrrev_i32 v94, 31, v94
	v_xor_b32_e32 v91, s15, v91
	v_not_b32_e32 v201, v200
	v_dual_ashrrev_i32 v95, 31, v95 :: v_dual_ashrrev_i32 v96, 31, v96
	s_delay_alu instid0(VALU_DEP_4) | instskip(SKIP_2) | instid1(VALU_DEP_4)
	v_xor_b32_e32 v93, s16, v93
	v_xor_b32_e32 v94, s17, v94
	v_bitop3_b32 v90, v90, v91, exec_lo bitop3:0x80
	v_xor_b32_e32 v95, s18, v95
	v_xor_b32_e32 v91, s19, v96
	v_cmp_gt_i32_e32 vcc_lo, 0, v199
	v_ashrrev_i32_e32 v96, 31, v97
	v_cmp_gt_i32_e64 s15, 0, v200
	v_ashrrev_i32_e32 v97, 31, v201
	v_bitop3_b32 v90, v90, v94, v93 bitop3:0x80
	v_mad_u32_u24 v93, v92, 36, v148
	v_xor_b32_e32 v94, vcc_lo, v96
	s_delay_alu instid0(VALU_DEP_4) | instskip(NEXT) | instid1(VALU_DEP_4)
	v_xor_b32_e32 v96, s15, v97
	v_bitop3_b32 v90, v90, v91, v95 bitop3:0x80
	ds_load_b32 v199, v93 offset:1056
	v_mul_u32_u24_e32 v91, 36, v92
	; wave barrier
	v_bitop3_b32 v90, v90, v96, v94 bitop3:0x80
	s_delay_alu instid0(VALU_DEP_2) | instskip(NEXT) | instid1(VALU_DEP_2)
	v_add_nc_u32_e32 v202, v148, v91
	v_mbcnt_lo_u32_b32 v200, v90, 0
	v_cmp_ne_u32_e64 s15, 0, v90
	s_delay_alu instid0(VALU_DEP_2) | instskip(SKIP_1) | instid1(SALU_CYCLE_1)
	v_cmp_eq_u32_e32 vcc_lo, 0, v200
	s_and_b32 s16, s15, vcc_lo
	s_and_saveexec_b32 s15, s16
	s_cbranch_execz .LBB833_1040
; %bb.1039:                             ;   in Loop: Header=BB833_982 Depth=2
	s_wait_dscnt 0x0
	v_bcnt_u32_b32 v90, v90, v199
	ds_store_b32 v202, v90 offset:1056
.LBB833_1040:                           ;   in Loop: Header=BB833_982 Depth=2
	s_or_b32 exec_lo, exec_lo, s15
	v_xor_b32_e32 v79, 0x80000000, v79
	; wave barrier
	s_delay_alu instid0(VALU_DEP_1) | instskip(NEXT) | instid1(VALU_DEP_1)
	v_lshrrev_b64 v[90:91], s43, v[78:79]
	v_bitop3_b32 v91, v90, 1, s55 bitop3:0x80
	v_and_b32_e32 v92, s55, v90
	s_delay_alu instid0(VALU_DEP_2) | instskip(NEXT) | instid1(VALU_DEP_1)
	v_add_co_u32 v90, s15, v91, -1
	v_cndmask_b32_e64 v91, 0, 1, s15
	s_delay_alu instid0(VALU_DEP_3) | instskip(NEXT) | instid1(VALU_DEP_2)
	v_lshlrev_b32_e32 v93, 30, v92
	v_cmp_ne_u32_e32 vcc_lo, 0, v91
	s_delay_alu instid0(VALU_DEP_2) | instskip(NEXT) | instid1(VALU_DEP_1)
	v_not_b32_e32 v91, v93
	v_dual_ashrrev_i32 v91, 31, v91 :: v_dual_bitop2_b32 v90, vcc_lo, v90 bitop3:0x14
	v_dual_lshlrev_b32 v94, 29, v92 :: v_dual_lshlrev_b32 v95, 28, v92
	v_dual_lshlrev_b32 v96, 27, v92 :: v_dual_lshlrev_b32 v97, 26, v92
	v_lshlrev_b32_e32 v201, 25, v92
	v_cmp_gt_i32_e64 s15, 0, v93
	s_delay_alu instid0(VALU_DEP_4)
	v_cmp_gt_i32_e64 s16, 0, v94
	v_not_b32_e32 v93, v94
	v_not_b32_e32 v94, v95
	v_lshlrev_b32_e32 v203, 24, v92
	v_cmp_gt_i32_e64 s17, 0, v95
	v_cmp_gt_i32_e64 s18, 0, v96
	v_not_b32_e32 v95, v96
	v_cmp_gt_i32_e64 s19, 0, v97
	v_not_b32_e32 v96, v97
	v_not_b32_e32 v97, v201
	v_dual_ashrrev_i32 v93, 31, v93 :: v_dual_ashrrev_i32 v94, 31, v94
	v_xor_b32_e32 v91, s15, v91
	v_not_b32_e32 v204, v203
	v_dual_ashrrev_i32 v95, 31, v95 :: v_dual_ashrrev_i32 v96, 31, v96
	s_delay_alu instid0(VALU_DEP_4) | instskip(SKIP_2) | instid1(VALU_DEP_4)
	v_xor_b32_e32 v93, s16, v93
	v_xor_b32_e32 v94, s17, v94
	v_bitop3_b32 v90, v90, v91, exec_lo bitop3:0x80
	v_xor_b32_e32 v95, s18, v95
	v_xor_b32_e32 v91, s19, v96
	v_cmp_gt_i32_e32 vcc_lo, 0, v201
	v_ashrrev_i32_e32 v96, 31, v97
	v_cmp_gt_i32_e64 s15, 0, v203
	v_ashrrev_i32_e32 v97, 31, v204
	v_bitop3_b32 v90, v90, v94, v93 bitop3:0x80
	v_mad_u32_u24 v93, v92, 36, v148
	v_xor_b32_e32 v94, vcc_lo, v96
	s_delay_alu instid0(VALU_DEP_4) | instskip(NEXT) | instid1(VALU_DEP_4)
	v_xor_b32_e32 v96, s15, v97
	v_bitop3_b32 v90, v90, v91, v95 bitop3:0x80
	ds_load_b32 v201, v93 offset:1056
	v_mul_u32_u24_e32 v91, 36, v92
	; wave barrier
	v_bitop3_b32 v90, v90, v96, v94 bitop3:0x80
	s_delay_alu instid0(VALU_DEP_2) | instskip(NEXT) | instid1(VALU_DEP_2)
	v_add_nc_u32_e32 v206, v148, v91
	v_mbcnt_lo_u32_b32 v203, v90, 0
	v_cmp_ne_u32_e64 s15, 0, v90
	s_delay_alu instid0(VALU_DEP_2) | instskip(SKIP_1) | instid1(SALU_CYCLE_1)
	v_cmp_eq_u32_e32 vcc_lo, 0, v203
	s_and_b32 s16, s15, vcc_lo
	s_and_saveexec_b32 s15, s16
	s_cbranch_execz .LBB833_1042
; %bb.1041:                             ;   in Loop: Header=BB833_982 Depth=2
	s_wait_dscnt 0x0
	v_bcnt_u32_b32 v90, v90, v201
	ds_store_b32 v206, v90 offset:1056
.LBB833_1042:                           ;   in Loop: Header=BB833_982 Depth=2
	s_or_b32 exec_lo, exec_lo, s15
	v_xor_b32_e32 v85, 0x80000000, v85
	; wave barrier
	s_delay_alu instid0(VALU_DEP_1) | instskip(NEXT) | instid1(VALU_DEP_1)
	v_lshrrev_b64 v[90:91], s43, v[84:85]
	v_bitop3_b32 v91, v90, 1, s55 bitop3:0x80
	v_and_b32_e32 v92, s55, v90
	s_delay_alu instid0(VALU_DEP_2) | instskip(NEXT) | instid1(VALU_DEP_1)
	v_add_co_u32 v90, s15, v91, -1
	v_cndmask_b32_e64 v91, 0, 1, s15
	s_delay_alu instid0(VALU_DEP_3) | instskip(NEXT) | instid1(VALU_DEP_2)
	v_lshlrev_b32_e32 v93, 30, v92
	v_cmp_ne_u32_e32 vcc_lo, 0, v91
	s_delay_alu instid0(VALU_DEP_2) | instskip(NEXT) | instid1(VALU_DEP_1)
	v_not_b32_e32 v91, v93
	v_dual_ashrrev_i32 v91, 31, v91 :: v_dual_bitop2_b32 v90, vcc_lo, v90 bitop3:0x14
	v_dual_lshlrev_b32 v94, 29, v92 :: v_dual_lshlrev_b32 v95, 28, v92
	v_dual_lshlrev_b32 v96, 27, v92 :: v_dual_lshlrev_b32 v97, 26, v92
	v_lshlrev_b32_e32 v204, 25, v92
	v_cmp_gt_i32_e64 s15, 0, v93
	s_delay_alu instid0(VALU_DEP_4)
	v_cmp_gt_i32_e64 s16, 0, v94
	v_not_b32_e32 v93, v94
	v_not_b32_e32 v94, v95
	v_lshlrev_b32_e32 v205, 24, v92
	v_cmp_gt_i32_e64 s17, 0, v95
	v_cmp_gt_i32_e64 s18, 0, v96
	v_not_b32_e32 v95, v96
	v_cmp_gt_i32_e64 s19, 0, v97
	v_not_b32_e32 v96, v97
	v_not_b32_e32 v97, v204
	v_dual_ashrrev_i32 v93, 31, v93 :: v_dual_ashrrev_i32 v94, 31, v94
	v_xor_b32_e32 v91, s15, v91
	v_not_b32_e32 v207, v205
	v_dual_ashrrev_i32 v95, 31, v95 :: v_dual_ashrrev_i32 v96, 31, v96
	s_delay_alu instid0(VALU_DEP_4) | instskip(SKIP_2) | instid1(VALU_DEP_4)
	v_xor_b32_e32 v93, s16, v93
	v_xor_b32_e32 v94, s17, v94
	v_bitop3_b32 v90, v90, v91, exec_lo bitop3:0x80
	v_xor_b32_e32 v95, s18, v95
	v_xor_b32_e32 v91, s19, v96
	v_cmp_gt_i32_e32 vcc_lo, 0, v204
	v_ashrrev_i32_e32 v96, 31, v97
	v_cmp_gt_i32_e64 s15, 0, v205
	v_ashrrev_i32_e32 v97, 31, v207
	v_bitop3_b32 v90, v90, v94, v93 bitop3:0x80
	v_mad_u32_u24 v93, v92, 36, v148
	v_xor_b32_e32 v94, vcc_lo, v96
	s_delay_alu instid0(VALU_DEP_4) | instskip(NEXT) | instid1(VALU_DEP_4)
	v_xor_b32_e32 v96, s15, v97
	v_bitop3_b32 v90, v90, v91, v95 bitop3:0x80
	ds_load_b32 v204, v93 offset:1056
	v_mul_u32_u24_e32 v91, 36, v92
	; wave barrier
	v_bitop3_b32 v90, v90, v96, v94 bitop3:0x80
	s_delay_alu instid0(VALU_DEP_2) | instskip(NEXT) | instid1(VALU_DEP_2)
	v_add_nc_u32_e32 v209, v148, v91
	v_mbcnt_lo_u32_b32 v205, v90, 0
	v_cmp_ne_u32_e64 s15, 0, v90
	s_delay_alu instid0(VALU_DEP_2) | instskip(SKIP_1) | instid1(SALU_CYCLE_1)
	v_cmp_eq_u32_e32 vcc_lo, 0, v205
	s_and_b32 s16, s15, vcc_lo
	s_and_saveexec_b32 s15, s16
	s_cbranch_execz .LBB833_1044
; %bb.1043:                             ;   in Loop: Header=BB833_982 Depth=2
	s_wait_dscnt 0x0
	v_bcnt_u32_b32 v90, v90, v204
	ds_store_b32 v209, v90 offset:1056
.LBB833_1044:                           ;   in Loop: Header=BB833_982 Depth=2
	s_or_b32 exec_lo, exec_lo, s15
	v_xor_b32_e32 v83, 0x80000000, v83
	; wave barrier
	s_delay_alu instid0(VALU_DEP_1) | instskip(NEXT) | instid1(VALU_DEP_1)
	v_lshrrev_b64 v[90:91], s43, v[82:83]
	v_bitop3_b32 v91, v90, 1, s55 bitop3:0x80
	v_and_b32_e32 v92, s55, v90
	s_delay_alu instid0(VALU_DEP_2) | instskip(NEXT) | instid1(VALU_DEP_1)
	v_add_co_u32 v90, s15, v91, -1
	v_cndmask_b32_e64 v91, 0, 1, s15
	s_delay_alu instid0(VALU_DEP_3) | instskip(NEXT) | instid1(VALU_DEP_2)
	v_lshlrev_b32_e32 v93, 30, v92
	v_cmp_ne_u32_e32 vcc_lo, 0, v91
	s_delay_alu instid0(VALU_DEP_2) | instskip(NEXT) | instid1(VALU_DEP_1)
	v_not_b32_e32 v91, v93
	v_dual_ashrrev_i32 v91, 31, v91 :: v_dual_bitop2_b32 v90, vcc_lo, v90 bitop3:0x14
	v_dual_lshlrev_b32 v94, 29, v92 :: v_dual_lshlrev_b32 v95, 28, v92
	v_dual_lshlrev_b32 v96, 27, v92 :: v_dual_lshlrev_b32 v97, 26, v92
	v_lshlrev_b32_e32 v207, 25, v92
	v_cmp_gt_i32_e64 s15, 0, v93
	s_delay_alu instid0(VALU_DEP_4)
	v_cmp_gt_i32_e64 s16, 0, v94
	v_not_b32_e32 v93, v94
	v_not_b32_e32 v94, v95
	v_lshlrev_b32_e32 v208, 24, v92
	v_cmp_gt_i32_e64 s17, 0, v95
	v_cmp_gt_i32_e64 s18, 0, v96
	v_not_b32_e32 v95, v96
	v_cmp_gt_i32_e64 s19, 0, v97
	v_not_b32_e32 v96, v97
	v_not_b32_e32 v97, v207
	v_dual_ashrrev_i32 v93, 31, v93 :: v_dual_ashrrev_i32 v94, 31, v94
	v_xor_b32_e32 v91, s15, v91
	v_not_b32_e32 v210, v208
	v_dual_ashrrev_i32 v95, 31, v95 :: v_dual_ashrrev_i32 v96, 31, v96
	s_delay_alu instid0(VALU_DEP_4) | instskip(SKIP_2) | instid1(VALU_DEP_4)
	v_xor_b32_e32 v93, s16, v93
	v_xor_b32_e32 v94, s17, v94
	v_bitop3_b32 v90, v90, v91, exec_lo bitop3:0x80
	v_xor_b32_e32 v95, s18, v95
	v_xor_b32_e32 v91, s19, v96
	v_cmp_gt_i32_e32 vcc_lo, 0, v207
	v_ashrrev_i32_e32 v96, 31, v97
	v_cmp_gt_i32_e64 s15, 0, v208
	v_ashrrev_i32_e32 v97, 31, v210
	v_bitop3_b32 v90, v90, v94, v93 bitop3:0x80
	v_mad_u32_u24 v93, v92, 36, v148
	v_xor_b32_e32 v94, vcc_lo, v96
	s_delay_alu instid0(VALU_DEP_4) | instskip(NEXT) | instid1(VALU_DEP_4)
	v_xor_b32_e32 v96, s15, v97
	v_bitop3_b32 v90, v90, v91, v95 bitop3:0x80
	ds_load_b32 v207, v93 offset:1056
	v_mul_u32_u24_e32 v91, 36, v92
	; wave barrier
	v_bitop3_b32 v90, v90, v96, v94 bitop3:0x80
	s_delay_alu instid0(VALU_DEP_2) | instskip(NEXT) | instid1(VALU_DEP_2)
	v_add_nc_u32_e32 v212, v148, v91
	v_mbcnt_lo_u32_b32 v208, v90, 0
	v_cmp_ne_u32_e64 s15, 0, v90
	s_delay_alu instid0(VALU_DEP_2) | instskip(SKIP_1) | instid1(SALU_CYCLE_1)
	v_cmp_eq_u32_e32 vcc_lo, 0, v208
	s_and_b32 s16, s15, vcc_lo
	s_and_saveexec_b32 s15, s16
	s_cbranch_execz .LBB833_1046
; %bb.1045:                             ;   in Loop: Header=BB833_982 Depth=2
	s_wait_dscnt 0x0
	v_bcnt_u32_b32 v90, v90, v207
	ds_store_b32 v212, v90 offset:1056
.LBB833_1046:                           ;   in Loop: Header=BB833_982 Depth=2
	s_or_b32 exec_lo, exec_lo, s15
	v_xor_b32_e32 v87, 0x80000000, v87
	; wave barrier
	s_delay_alu instid0(VALU_DEP_1) | instskip(NEXT) | instid1(VALU_DEP_1)
	v_lshrrev_b64 v[90:91], s43, v[86:87]
	v_bitop3_b32 v91, v90, 1, s55 bitop3:0x80
	v_and_b32_e32 v92, s55, v90
	s_delay_alu instid0(VALU_DEP_2) | instskip(NEXT) | instid1(VALU_DEP_1)
	v_add_co_u32 v90, s15, v91, -1
	v_cndmask_b32_e64 v91, 0, 1, s15
	s_delay_alu instid0(VALU_DEP_3) | instskip(NEXT) | instid1(VALU_DEP_2)
	v_lshlrev_b32_e32 v93, 30, v92
	v_cmp_ne_u32_e32 vcc_lo, 0, v91
	s_delay_alu instid0(VALU_DEP_2) | instskip(NEXT) | instid1(VALU_DEP_1)
	v_not_b32_e32 v91, v93
	v_dual_ashrrev_i32 v91, 31, v91 :: v_dual_bitop2_b32 v90, vcc_lo, v90 bitop3:0x14
	v_dual_lshlrev_b32 v94, 29, v92 :: v_dual_lshlrev_b32 v95, 28, v92
	v_dual_lshlrev_b32 v96, 27, v92 :: v_dual_lshlrev_b32 v97, 26, v92
	v_lshlrev_b32_e32 v210, 25, v92
	v_cmp_gt_i32_e64 s15, 0, v93
	s_delay_alu instid0(VALU_DEP_4)
	v_cmp_gt_i32_e64 s16, 0, v94
	v_not_b32_e32 v93, v94
	v_not_b32_e32 v94, v95
	v_lshlrev_b32_e32 v211, 24, v92
	v_cmp_gt_i32_e64 s17, 0, v95
	v_cmp_gt_i32_e64 s18, 0, v96
	v_not_b32_e32 v95, v96
	v_cmp_gt_i32_e64 s19, 0, v97
	v_not_b32_e32 v96, v97
	v_not_b32_e32 v97, v210
	v_dual_ashrrev_i32 v93, 31, v93 :: v_dual_ashrrev_i32 v94, 31, v94
	v_xor_b32_e32 v91, s15, v91
	v_not_b32_e32 v213, v211
	v_dual_ashrrev_i32 v95, 31, v95 :: v_dual_ashrrev_i32 v96, 31, v96
	s_delay_alu instid0(VALU_DEP_4) | instskip(SKIP_2) | instid1(VALU_DEP_4)
	v_xor_b32_e32 v93, s16, v93
	v_xor_b32_e32 v94, s17, v94
	v_bitop3_b32 v90, v90, v91, exec_lo bitop3:0x80
	v_xor_b32_e32 v95, s18, v95
	v_xor_b32_e32 v91, s19, v96
	v_cmp_gt_i32_e32 vcc_lo, 0, v210
	v_ashrrev_i32_e32 v96, 31, v97
	v_cmp_gt_i32_e64 s15, 0, v211
	v_ashrrev_i32_e32 v97, 31, v213
	v_bitop3_b32 v90, v90, v94, v93 bitop3:0x80
	v_mad_u32_u24 v93, v92, 36, v148
	v_xor_b32_e32 v94, vcc_lo, v96
	s_delay_alu instid0(VALU_DEP_4) | instskip(NEXT) | instid1(VALU_DEP_4)
	v_xor_b32_e32 v96, s15, v97
	v_bitop3_b32 v90, v90, v91, v95 bitop3:0x80
	ds_load_b32 v210, v93 offset:1056
	v_mul_u32_u24_e32 v91, 36, v92
	; wave barrier
	v_bitop3_b32 v90, v90, v96, v94 bitop3:0x80
	s_delay_alu instid0(VALU_DEP_2) | instskip(NEXT) | instid1(VALU_DEP_2)
	v_add_nc_u32_e32 v215, v148, v91
	v_mbcnt_lo_u32_b32 v211, v90, 0
	v_cmp_ne_u32_e64 s15, 0, v90
	s_delay_alu instid0(VALU_DEP_2) | instskip(SKIP_1) | instid1(SALU_CYCLE_1)
	v_cmp_eq_u32_e32 vcc_lo, 0, v211
	s_and_b32 s16, s15, vcc_lo
	s_and_saveexec_b32 s15, s16
	s_cbranch_execz .LBB833_1048
; %bb.1047:                             ;   in Loop: Header=BB833_982 Depth=2
	s_wait_dscnt 0x0
	v_bcnt_u32_b32 v90, v90, v210
	ds_store_b32 v215, v90 offset:1056
.LBB833_1048:                           ;   in Loop: Header=BB833_982 Depth=2
	s_or_b32 exec_lo, exec_lo, s15
	v_lshrrev_b64 v[90:91], s43, v[88:89]
	; wave barrier
	s_delay_alu instid0(VALU_DEP_1) | instskip(SKIP_1) | instid1(VALU_DEP_2)
	v_bitop3_b32 v91, v90, 1, s55 bitop3:0x80
	v_and_b32_e32 v92, s55, v90
	v_add_co_u32 v90, s15, v91, -1
	s_delay_alu instid0(VALU_DEP_1) | instskip(NEXT) | instid1(VALU_DEP_3)
	v_cndmask_b32_e64 v91, 0, 1, s15
	v_lshlrev_b32_e32 v93, 30, v92
	s_delay_alu instid0(VALU_DEP_2) | instskip(NEXT) | instid1(VALU_DEP_2)
	v_cmp_ne_u32_e32 vcc_lo, 0, v91
	v_not_b32_e32 v91, v93
	s_delay_alu instid0(VALU_DEP_1) | instskip(SKIP_4) | instid1(VALU_DEP_4)
	v_dual_ashrrev_i32 v91, 31, v91 :: v_dual_bitop2_b32 v90, vcc_lo, v90 bitop3:0x14
	v_dual_lshlrev_b32 v94, 29, v92 :: v_dual_lshlrev_b32 v95, 28, v92
	v_dual_lshlrev_b32 v96, 27, v92 :: v_dual_lshlrev_b32 v97, 26, v92
	v_lshlrev_b32_e32 v213, 25, v92
	v_cmp_gt_i32_e64 s15, 0, v93
	v_cmp_gt_i32_e64 s16, 0, v94
	v_not_b32_e32 v93, v94
	v_not_b32_e32 v94, v95
	v_lshlrev_b32_e32 v214, 24, v92
	v_cmp_gt_i32_e64 s17, 0, v95
	v_cmp_gt_i32_e64 s18, 0, v96
	v_not_b32_e32 v95, v96
	v_dual_ashrrev_i32 v93, 31, v93 :: v_dual_ashrrev_i32 v94, 31, v94
	v_xor_b32_e32 v91, s15, v91
	v_not_b32_e32 v96, v97
	v_cmp_gt_i32_e64 s19, 0, v97
	s_delay_alu instid0(VALU_DEP_4)
	v_dual_ashrrev_i32 v95, 31, v95 :: v_dual_bitop2_b32 v93, s16, v93 bitop3:0x14
	v_xor_b32_e32 v94, s17, v94
	v_bitop3_b32 v90, v90, v91, exec_lo bitop3:0x80
	v_ashrrev_i32_e32 v91, 31, v96
	v_not_b32_e32 v96, v213
	v_not_b32_e32 v97, v214
	v_xor_b32_e32 v95, s18, v95
	v_bitop3_b32 v90, v90, v94, v93 bitop3:0x80
	v_xor_b32_e32 v91, s19, v91
	v_cmp_gt_i32_e32 vcc_lo, 0, v213
	v_ashrrev_i32_e32 v93, 31, v96
	v_cmp_gt_i32_e64 s15, 0, v214
	v_ashrrev_i32_e32 v94, 31, v97
	v_mad_u32_u24 v96, v92, 36, v148
	v_bitop3_b32 v90, v90, v91, v95 bitop3:0x80
	v_xor_b32_e32 v91, vcc_lo, v93
	s_delay_alu instid0(VALU_DEP_4) | instskip(SKIP_3) | instid1(VALU_DEP_2)
	v_xor_b32_e32 v93, s15, v94
	ds_load_b32 v213, v96 offset:1056
	; wave barrier
	v_bitop3_b32 v90, v90, v93, v91 bitop3:0x80
	v_mul_u32_u24_e32 v91, 36, v92
	v_mbcnt_lo_u32_b32 v214, v90, 0
	v_cmp_ne_u32_e64 s15, 0, v90
	s_delay_alu instid0(VALU_DEP_3) | instskip(NEXT) | instid1(VALU_DEP_3)
	v_add_nc_u32_e32 v216, v148, v91
	v_cmp_eq_u32_e32 vcc_lo, 0, v214
	s_and_b32 s16, s15, vcc_lo
	s_delay_alu instid0(SALU_CYCLE_1)
	s_and_saveexec_b32 s15, s16
	s_cbranch_execz .LBB833_1050
; %bb.1049:                             ;   in Loop: Header=BB833_982 Depth=2
	s_wait_dscnt 0x0
	v_bcnt_u32_b32 v90, v90, v213
	ds_store_b32 v216, v90 offset:1056
.LBB833_1050:                           ;   in Loop: Header=BB833_982 Depth=2
	s_or_b32 exec_lo, exec_lo, s15
	; wave barrier
	s_wait_dscnt 0x0
	s_barrier_signal -1
	s_barrier_wait -1
	ds_load_2addr_b32 v[96:97], v168 offset1:1
	ds_load_2addr_b32 v[94:95], v169 offset1:1
	;; [unrolled: 1-line block ×4, first 2 shown]
	ds_load_b32 v217, v120 offset:1088
	s_wait_dscnt 0x3
	v_add3_u32 v218, v97, v96, v94
	s_wait_dscnt 0x2
	s_delay_alu instid0(VALU_DEP_1) | instskip(SKIP_1) | instid1(VALU_DEP_1)
	v_add3_u32 v218, v218, v95, v92
	s_wait_dscnt 0x1
	v_add3_u32 v218, v218, v93, v90
	s_wait_dscnt 0x0
	s_delay_alu instid0(VALU_DEP_1) | instskip(NEXT) | instid1(VALU_DEP_1)
	v_add3_u32 v217, v218, v91, v217
	v_mov_b32_dpp v218, v217 row_shr:1 row_mask:0xf bank_mask:0xf
	s_delay_alu instid0(VALU_DEP_1) | instskip(NEXT) | instid1(VALU_DEP_1)
	v_cndmask_b32_e64 v218, v218, 0, s7
	v_add_nc_u32_e32 v217, v218, v217
	s_delay_alu instid0(VALU_DEP_1) | instskip(NEXT) | instid1(VALU_DEP_1)
	v_mov_b32_dpp v218, v217 row_shr:2 row_mask:0xf bank_mask:0xf
	v_cndmask_b32_e64 v218, 0, v218, s8
	s_delay_alu instid0(VALU_DEP_1) | instskip(NEXT) | instid1(VALU_DEP_1)
	v_add_nc_u32_e32 v217, v217, v218
	v_mov_b32_dpp v218, v217 row_shr:4 row_mask:0xf bank_mask:0xf
	s_delay_alu instid0(VALU_DEP_1) | instskip(NEXT) | instid1(VALU_DEP_1)
	v_cndmask_b32_e64 v218, 0, v218, s9
	v_add_nc_u32_e32 v217, v217, v218
	s_delay_alu instid0(VALU_DEP_1) | instskip(NEXT) | instid1(VALU_DEP_1)
	v_mov_b32_dpp v218, v217 row_shr:8 row_mask:0xf bank_mask:0xf
	v_cndmask_b32_e64 v218, 0, v218, s10
	s_delay_alu instid0(VALU_DEP_1) | instskip(SKIP_3) | instid1(VALU_DEP_1)
	v_add_nc_u32_e32 v217, v217, v218
	ds_swizzle_b32 v218, v217 offset:swizzle(BROADCAST,32,15)
	s_wait_dscnt 0x0
	v_cndmask_b32_e64 v218, v218, 0, s11
	v_add_nc_u32_e32 v217, v217, v218
	s_and_saveexec_b32 s15, s1
; %bb.1051:                             ;   in Loop: Header=BB833_982 Depth=2
	ds_store_b32 v114, v217 offset:1024
; %bb.1052:                             ;   in Loop: Header=BB833_982 Depth=2
	s_or_b32 exec_lo, exec_lo, s15
	s_wait_dscnt 0x0
	s_barrier_signal -1
	s_barrier_wait -1
	s_and_saveexec_b32 s15, s4
	s_cbranch_execz .LBB833_1054
; %bb.1053:                             ;   in Loop: Header=BB833_982 Depth=2
	ds_load_b32 v218, v122 offset:1024
	s_wait_dscnt 0x0
	v_mov_b32_dpp v219, v218 row_shr:1 row_mask:0xf bank_mask:0xf
	s_delay_alu instid0(VALU_DEP_1) | instskip(NEXT) | instid1(VALU_DEP_1)
	v_cndmask_b32_e64 v219, v219, 0, s12
	v_add_nc_u32_e32 v218, v219, v218
	s_delay_alu instid0(VALU_DEP_1) | instskip(NEXT) | instid1(VALU_DEP_1)
	v_mov_b32_dpp v219, v218 row_shr:2 row_mask:0xf bank_mask:0xf
	v_cndmask_b32_e64 v219, 0, v219, s13
	s_delay_alu instid0(VALU_DEP_1) | instskip(NEXT) | instid1(VALU_DEP_1)
	v_add_nc_u32_e32 v218, v218, v219
	v_mov_b32_dpp v219, v218 row_shr:4 row_mask:0xf bank_mask:0xf
	s_delay_alu instid0(VALU_DEP_1) | instskip(NEXT) | instid1(VALU_DEP_1)
	v_cndmask_b32_e64 v219, 0, v219, s14
	v_add_nc_u32_e32 v218, v218, v219
	ds_store_b32 v122, v218 offset:1024
.LBB833_1054:                           ;   in Loop: Header=BB833_982 Depth=2
	s_or_b32 exec_lo, exec_lo, s15
	v_mov_b32_e32 v218, 0
	s_wait_dscnt 0x0
	s_barrier_signal -1
	s_barrier_wait -1
	s_and_saveexec_b32 s15, s5
; %bb.1055:                             ;   in Loop: Header=BB833_982 Depth=2
	ds_load_b32 v218, v114 offset:1020
; %bb.1056:                             ;   in Loop: Header=BB833_982 Depth=2
	s_or_b32 exec_lo, exec_lo, s15
	s_wait_dscnt 0x0
	v_add_nc_u32_e32 v217, v218, v217
	ds_bpermute_b32 v217, v147, v217
	s_wait_dscnt 0x0
	v_cndmask_b32_e64 v217, v217, v218, s6
	s_delay_alu instid0(VALU_DEP_1) | instskip(NEXT) | instid1(VALU_DEP_1)
	v_cndmask_b32_e64 v217, v217, 0, s2
	v_add_nc_u32_e32 v96, v217, v96
	s_delay_alu instid0(VALU_DEP_1) | instskip(NEXT) | instid1(VALU_DEP_1)
	v_add_nc_u32_e32 v97, v96, v97
	v_add_nc_u32_e32 v94, v97, v94
	s_delay_alu instid0(VALU_DEP_1) | instskip(NEXT) | instid1(VALU_DEP_1)
	v_add_nc_u32_e32 v95, v94, v95
	;; [unrolled: 3-line block ×3, first 2 shown]
	v_add_nc_u32_e32 v90, v93, v90
	s_delay_alu instid0(VALU_DEP_1)
	v_add_nc_u32_e32 v91, v90, v91
	ds_store_2addr_b32 v167, v93, v90 offset1:1
	ds_store_2addr_b32 v168, v217, v96 offset1:1
	;; [unrolled: 1-line block ×4, first 2 shown]
	ds_store_b32 v120, v91 offset:1088
	s_wait_dscnt 0x0
	s_barrier_signal -1
	s_barrier_wait -1
	ds_load_b32 v91, v171 offset:1056
	ds_load_b32 v218, v174 offset:1056
	;; [unrolled: 1-line block ×17, first 2 shown]
	v_mov_b32_e32 v90, 0x1000
	s_and_saveexec_b32 s15, s3
; %bb.1057:                             ;   in Loop: Header=BB833_982 Depth=2
	ds_load_b32 v90, v120 offset:1092
; %bb.1058:                             ;   in Loop: Header=BB833_982 Depth=2
	s_or_b32 exec_lo, exec_lo, s15
	s_wait_dscnt 0x0
	s_barrier_signal -1
	s_barrier_wait -1
	s_and_saveexec_b32 s15, s0
	s_cbranch_execz .LBB833_1060
; %bb.1059:                             ;   in Loop: Header=BB833_982 Depth=2
	ds_load_b32 v183, v3
	s_wait_dscnt 0x0
	v_sub_nc_u32_e32 v180, v183, v180
	ds_store_b32 v3, v180
.LBB833_1060:                           ;   in Loop: Header=BB833_982 Depth=2
	s_or_b32 exec_lo, exec_lo, s15
	v_dual_lshlrev_b32 v166, 3, v166 :: v_dual_lshlrev_b32 v173, 3, v173
	v_dual_lshlrev_b32 v172, 3, v172 :: v_dual_lshlrev_b32 v180, 3, v218
	v_lshlrev_b32_e32 v176, 3, v176
	s_delay_alu instid0(VALU_DEP_3)
	v_lshl_add_u32 v91, v91, 3, v166
	v_dual_lshlrev_b32 v166, 3, v175 :: v_dual_lshlrev_b32 v175, 3, v217
	v_dual_lshlrev_b32 v179, 3, v179 :: v_dual_lshlrev_b32 v178, 3, v178
	v_dual_lshlrev_b32 v181, 3, v181 :: v_dual_lshlrev_b32 v94, 3, v94
	v_dual_lshlrev_b32 v93, 3, v93 :: v_dual_lshlrev_b32 v182, 3, v182
	v_dual_lshlrev_b32 v183, 3, v185 :: v_dual_lshlrev_b32 v184, 3, v184
	v_lshlrev_b32_e32 v185, 3, v92
	ds_store_b64 v91, v[60:61] offset:1024
	v_add3_u32 v60, v173, v172, v180
	v_add3_u32 v61, v176, v166, v175
	;; [unrolled: 1-line block ×5, first 2 shown]
	ds_store_b64 v60, v[58:59] offset:1024
	ds_store_b64 v61, v[64:65] offset:1024
	;; [unrolled: 1-line block ×5, first 2 shown]
	v_dual_lshlrev_b32 v58, 3, v188 :: v_dual_lshlrev_b32 v63, 3, v191
	v_dual_lshlrev_b32 v59, 3, v187 :: v_dual_lshlrev_b32 v62, 3, v177
	;; [unrolled: 1-line block ×7, first 2 shown]
	v_lshlrev_b32_e32 v169, 3, v169
	v_add3_u32 v62, v58, v59, v62
	v_add3_u32 v63, v63, v64, v65
	;; [unrolled: 1-line block ×4, first 2 shown]
	v_lshlrev_b32_e32 v58, 3, v203
	v_add3_u32 v66, v171, v172, v169
	ds_store_b64 v62, v[72:73] offset:1024
	ds_store_b64 v63, v[70:71] offset:1024
	;; [unrolled: 1-line block ×5, first 2 shown]
	v_dual_lshlrev_b32 v59, 3, v201 :: v_dual_lshlrev_b32 v67, 3, v168
	v_dual_lshlrev_b32 v68, 3, v205 :: v_dual_lshlrev_b32 v69, 3, v204
	;; [unrolled: 1-line block ×7, first 2 shown]
	v_add3_u32 v67, v58, v59, v67
	v_add3_u32 v68, v68, v69, v70
	;; [unrolled: 1-line block ×5, first 2 shown]
	v_cmp_lt_u32_e32 vcc_lo, v2, v165
	ds_store_b64 v67, v[78:79] offset:1024
	ds_store_b64 v68, v[84:85] offset:1024
	;; [unrolled: 1-line block ×5, first 2 shown]
	s_wait_dscnt 0x0
	s_barrier_signal -1
	s_barrier_wait -1
	s_and_saveexec_b32 s15, vcc_lo
	s_cbranch_execnz .LBB833_1129
; %bb.1061:                             ;   in Loop: Header=BB833_982 Depth=2
	s_or_b32 exec_lo, exec_lo, s15
	v_cmp_lt_u32_e64 s15, v98, v165
	s_and_saveexec_b32 s16, s15
	s_cbranch_execnz .LBB833_1130
.LBB833_1062:                           ;   in Loop: Header=BB833_982 Depth=2
	s_or_b32 exec_lo, exec_lo, s16
	v_cmp_lt_u32_e64 s16, v99, v165
	s_and_saveexec_b32 s17, s16
	s_cbranch_execnz .LBB833_1131
.LBB833_1063:                           ;   in Loop: Header=BB833_982 Depth=2
	s_or_b32 exec_lo, exec_lo, s17
	v_cmp_lt_u32_e64 s17, v100, v165
	s_and_saveexec_b32 s18, s17
	s_cbranch_execnz .LBB833_1132
.LBB833_1064:                           ;   in Loop: Header=BB833_982 Depth=2
	s_or_b32 exec_lo, exec_lo, s18
	v_cmp_lt_u32_e64 s18, v101, v165
	s_and_saveexec_b32 s19, s18
	s_cbranch_execnz .LBB833_1133
.LBB833_1065:                           ;   in Loop: Header=BB833_982 Depth=2
	s_or_b32 exec_lo, exec_lo, s19
	v_cmp_lt_u32_e64 s19, v102, v165
	s_and_saveexec_b32 s20, s19
	s_cbranch_execnz .LBB833_1134
.LBB833_1066:                           ;   in Loop: Header=BB833_982 Depth=2
	s_or_b32 exec_lo, exec_lo, s20
	v_cmp_lt_u32_e64 s20, v103, v165
	s_and_saveexec_b32 s21, s20
	s_cbranch_execnz .LBB833_1135
.LBB833_1067:                           ;   in Loop: Header=BB833_982 Depth=2
	s_or_b32 exec_lo, exec_lo, s21
	v_cmp_lt_u32_e64 s21, v104, v165
	s_and_saveexec_b32 s22, s21
	s_cbranch_execnz .LBB833_1136
.LBB833_1068:                           ;   in Loop: Header=BB833_982 Depth=2
	s_or_b32 exec_lo, exec_lo, s22
	v_cmp_lt_u32_e64 s22, v105, v165
	s_and_saveexec_b32 s23, s22
	s_cbranch_execnz .LBB833_1137
.LBB833_1069:                           ;   in Loop: Header=BB833_982 Depth=2
	s_or_b32 exec_lo, exec_lo, s23
	v_cmp_lt_u32_e64 s23, v106, v165
	s_and_saveexec_b32 s24, s23
	s_cbranch_execnz .LBB833_1138
.LBB833_1070:                           ;   in Loop: Header=BB833_982 Depth=2
	s_or_b32 exec_lo, exec_lo, s24
	v_cmp_lt_u32_e64 s24, v107, v165
	s_and_saveexec_b32 s25, s24
	s_cbranch_execnz .LBB833_1139
.LBB833_1071:                           ;   in Loop: Header=BB833_982 Depth=2
	s_or_b32 exec_lo, exec_lo, s25
	v_cmp_lt_u32_e64 s25, v108, v165
	s_and_saveexec_b32 s26, s25
	s_cbranch_execnz .LBB833_1140
.LBB833_1072:                           ;   in Loop: Header=BB833_982 Depth=2
	s_or_b32 exec_lo, exec_lo, s26
	v_cmp_lt_u32_e64 s26, v109, v165
	s_and_saveexec_b32 s27, s26
	s_cbranch_execnz .LBB833_1141
.LBB833_1073:                           ;   in Loop: Header=BB833_982 Depth=2
	s_or_b32 exec_lo, exec_lo, s27
	v_cmp_lt_u32_e64 s27, v110, v165
	s_and_saveexec_b32 s28, s27
	s_cbranch_execnz .LBB833_1142
.LBB833_1074:                           ;   in Loop: Header=BB833_982 Depth=2
	s_or_b32 exec_lo, exec_lo, s28
	v_cmp_lt_u32_e64 s28, v111, v165
	s_and_saveexec_b32 s29, s28
	s_cbranch_execnz .LBB833_1143
.LBB833_1075:                           ;   in Loop: Header=BB833_982 Depth=2
	s_or_b32 exec_lo, exec_lo, s29
	v_cmp_lt_u32_e64 s29, v112, v165
	s_and_saveexec_b32 s58, s29
	s_cbranch_execz .LBB833_1077
.LBB833_1076:                           ;   in Loop: Header=BB833_982 Depth=2
	ds_load_b64 v[58:59], v123 offset:31744
	s_wait_dscnt 0x0
	v_lshrrev_b64 v[72:73], s43, v[58:59]
	v_xor_b32_e32 v59, 0x80000000, v59
	s_delay_alu instid0(VALU_DEP_2) | instskip(NEXT) | instid1(VALU_DEP_1)
	v_and_b32_e32 v72, s55, v72
	v_lshlrev_b32_e32 v72, 2, v72
	ds_load_b32 v72, v72
	s_wait_dscnt 0x0
	v_add_nc_u32_e32 v72, v72, v112
	global_store_b64 v72, v[58:59], s[40:41] scale_offset
.LBB833_1077:                           ;   in Loop: Header=BB833_982 Depth=2
	s_wait_xcnt 0x0
	s_or_b32 exec_lo, exec_lo, s58
	v_lshl_add_u64 v[58:59], s[30:31], 3, v[22:23]
	v_cmp_lt_u32_e64 s30, v129, v165
	s_and_saveexec_b32 s58, s30
	s_delay_alu instid0(SALU_CYCLE_1)
	s_xor_b32 s30, exec_lo, s58
	s_cbranch_execnz .LBB833_1144
; %bb.1078:                             ;   in Loop: Header=BB833_982 Depth=2
	s_or_b32 exec_lo, exec_lo, s30
	s_delay_alu instid0(SALU_CYCLE_1)
	s_mov_b32 s58, exec_lo
	v_cmpx_lt_u32_e64 v132, v165
	s_cbranch_execnz .LBB833_1145
.LBB833_1079:                           ;   in Loop: Header=BB833_982 Depth=2
	s_or_b32 exec_lo, exec_lo, s58
	s_delay_alu instid0(SALU_CYCLE_1)
	s_mov_b32 s58, exec_lo
	v_cmpx_lt_u32_e64 v133, v165
	s_cbranch_execnz .LBB833_1146
.LBB833_1080:                           ;   in Loop: Header=BB833_982 Depth=2
	s_or_b32 exec_lo, exec_lo, s58
	s_delay_alu instid0(SALU_CYCLE_1)
	s_mov_b32 s58, exec_lo
	v_cmpx_lt_u32_e64 v134, v165
	s_cbranch_execnz .LBB833_1147
.LBB833_1081:                           ;   in Loop: Header=BB833_982 Depth=2
	s_or_b32 exec_lo, exec_lo, s58
	s_delay_alu instid0(SALU_CYCLE_1)
	s_mov_b32 s58, exec_lo
	v_cmpx_lt_u32_e64 v135, v165
	s_cbranch_execnz .LBB833_1148
.LBB833_1082:                           ;   in Loop: Header=BB833_982 Depth=2
	s_or_b32 exec_lo, exec_lo, s58
	s_delay_alu instid0(SALU_CYCLE_1)
	s_mov_b32 s58, exec_lo
	v_cmpx_lt_u32_e64 v136, v165
	s_cbranch_execnz .LBB833_1149
.LBB833_1083:                           ;   in Loop: Header=BB833_982 Depth=2
	s_or_b32 exec_lo, exec_lo, s58
	s_delay_alu instid0(SALU_CYCLE_1)
	s_mov_b32 s58, exec_lo
	v_cmpx_lt_u32_e64 v137, v165
	s_cbranch_execnz .LBB833_1150
.LBB833_1084:                           ;   in Loop: Header=BB833_982 Depth=2
	s_or_b32 exec_lo, exec_lo, s58
	s_delay_alu instid0(SALU_CYCLE_1)
	s_mov_b32 s58, exec_lo
	v_cmpx_lt_u32_e64 v138, v165
	s_cbranch_execnz .LBB833_1151
.LBB833_1085:                           ;   in Loop: Header=BB833_982 Depth=2
	s_or_b32 exec_lo, exec_lo, s58
	s_delay_alu instid0(SALU_CYCLE_1)
	s_mov_b32 s58, exec_lo
	v_cmpx_lt_u32_e64 v139, v165
	s_cbranch_execnz .LBB833_1152
.LBB833_1086:                           ;   in Loop: Header=BB833_982 Depth=2
	s_or_b32 exec_lo, exec_lo, s58
	s_delay_alu instid0(SALU_CYCLE_1)
	s_mov_b32 s58, exec_lo
	v_cmpx_lt_u32_e64 v140, v165
	s_cbranch_execnz .LBB833_1153
.LBB833_1087:                           ;   in Loop: Header=BB833_982 Depth=2
	s_or_b32 exec_lo, exec_lo, s58
	s_delay_alu instid0(SALU_CYCLE_1)
	s_mov_b32 s58, exec_lo
	v_cmpx_lt_u32_e64 v141, v165
	s_cbranch_execnz .LBB833_1154
.LBB833_1088:                           ;   in Loop: Header=BB833_982 Depth=2
	s_or_b32 exec_lo, exec_lo, s58
	s_delay_alu instid0(SALU_CYCLE_1)
	s_mov_b32 s58, exec_lo
	v_cmpx_lt_u32_e64 v142, v165
	s_cbranch_execnz .LBB833_1155
.LBB833_1089:                           ;   in Loop: Header=BB833_982 Depth=2
	s_or_b32 exec_lo, exec_lo, s58
	s_delay_alu instid0(SALU_CYCLE_1)
	s_mov_b32 s58, exec_lo
	v_cmpx_lt_u32_e64 v143, v165
	s_cbranch_execnz .LBB833_1156
.LBB833_1090:                           ;   in Loop: Header=BB833_982 Depth=2
	s_or_b32 exec_lo, exec_lo, s58
	s_delay_alu instid0(SALU_CYCLE_1)
	s_mov_b32 s58, exec_lo
	v_cmpx_lt_u32_e64 v144, v165
	s_cbranch_execnz .LBB833_1157
.LBB833_1091:                           ;   in Loop: Header=BB833_982 Depth=2
	s_or_b32 exec_lo, exec_lo, s58
	s_delay_alu instid0(SALU_CYCLE_1)
	s_mov_b32 s58, exec_lo
	v_cmpx_lt_u32_e64 v145, v165
	s_cbranch_execnz .LBB833_1158
.LBB833_1092:                           ;   in Loop: Header=BB833_982 Depth=2
	s_or_b32 exec_lo, exec_lo, s58
	s_delay_alu instid0(SALU_CYCLE_1)
	s_mov_b32 s58, exec_lo
	v_cmpx_lt_u32_e64 v146, v165
	s_cbranch_execnz .LBB833_1159
.LBB833_1093:                           ;   in Loop: Header=BB833_982 Depth=2
	s_or_b32 exec_lo, exec_lo, s58
	s_and_saveexec_b32 s30, vcc_lo
	s_cbranch_execnz .LBB833_1160
.LBB833_1094:                           ;   in Loop: Header=BB833_982 Depth=2
	s_or_b32 exec_lo, exec_lo, s30
	s_and_saveexec_b32 s30, s15
	s_cbranch_execnz .LBB833_1161
.LBB833_1095:                           ;   in Loop: Header=BB833_982 Depth=2
	s_or_b32 exec_lo, exec_lo, s30
	s_and_saveexec_b32 s30, s16
	s_cbranch_execnz .LBB833_1162
.LBB833_1096:                           ;   in Loop: Header=BB833_982 Depth=2
	s_or_b32 exec_lo, exec_lo, s30
	s_and_saveexec_b32 s30, s17
	s_cbranch_execnz .LBB833_1163
.LBB833_1097:                           ;   in Loop: Header=BB833_982 Depth=2
	s_or_b32 exec_lo, exec_lo, s30
	s_and_saveexec_b32 s30, s18
	s_cbranch_execnz .LBB833_1164
.LBB833_1098:                           ;   in Loop: Header=BB833_982 Depth=2
	s_or_b32 exec_lo, exec_lo, s30
	s_and_saveexec_b32 s30, s19
	s_cbranch_execnz .LBB833_1165
.LBB833_1099:                           ;   in Loop: Header=BB833_982 Depth=2
	s_or_b32 exec_lo, exec_lo, s30
	s_and_saveexec_b32 s30, s20
	s_cbranch_execnz .LBB833_1166
.LBB833_1100:                           ;   in Loop: Header=BB833_982 Depth=2
	s_or_b32 exec_lo, exec_lo, s30
	s_and_saveexec_b32 s30, s21
	s_cbranch_execnz .LBB833_1167
.LBB833_1101:                           ;   in Loop: Header=BB833_982 Depth=2
	s_or_b32 exec_lo, exec_lo, s30
	s_and_saveexec_b32 s30, s22
	s_cbranch_execnz .LBB833_1168
.LBB833_1102:                           ;   in Loop: Header=BB833_982 Depth=2
	s_or_b32 exec_lo, exec_lo, s30
	s_and_saveexec_b32 s30, s23
	s_cbranch_execnz .LBB833_1169
.LBB833_1103:                           ;   in Loop: Header=BB833_982 Depth=2
	s_or_b32 exec_lo, exec_lo, s30
	s_and_saveexec_b32 s30, s24
	s_cbranch_execnz .LBB833_1170
.LBB833_1104:                           ;   in Loop: Header=BB833_982 Depth=2
	s_or_b32 exec_lo, exec_lo, s30
	s_and_saveexec_b32 s30, s25
	s_cbranch_execnz .LBB833_1171
.LBB833_1105:                           ;   in Loop: Header=BB833_982 Depth=2
	s_or_b32 exec_lo, exec_lo, s30
	s_and_saveexec_b32 s30, s26
	s_cbranch_execnz .LBB833_1172
.LBB833_1106:                           ;   in Loop: Header=BB833_982 Depth=2
	s_or_b32 exec_lo, exec_lo, s30
	s_and_saveexec_b32 s30, s27
	s_cbranch_execnz .LBB833_1173
.LBB833_1107:                           ;   in Loop: Header=BB833_982 Depth=2
	s_or_b32 exec_lo, exec_lo, s30
	s_and_saveexec_b32 s30, s28
	s_cbranch_execnz .LBB833_1174
.LBB833_1108:                           ;   in Loop: Header=BB833_982 Depth=2
	s_or_b32 exec_lo, exec_lo, s30
	s_and_saveexec_b32 s30, s29
	s_cbranch_execz .LBB833_1110
.LBB833_1109:                           ;   in Loop: Header=BB833_982 Depth=2
	ds_load_b64 v[58:59], v123 offset:31744
	s_wait_dscnt 0x0
	v_lshrrev_b64 v[58:59], s43, v[58:59]
	s_delay_alu instid0(VALU_DEP_1)
	v_and_b32_e32 v149, s55, v58
.LBB833_1110:                           ;   in Loop: Header=BB833_982 Depth=2
	s_or_b32 exec_lo, exec_lo, s30
	s_wait_loadcnt 0x0
	s_wait_storecnt 0x0
	s_barrier_signal -1
	s_barrier_wait -1
	ds_store_b64 v91, v[56:57] offset:1024
	ds_store_b64 v60, v[54:55] offset:1024
	;; [unrolled: 1-line block ×16, first 2 shown]
	s_wait_dscnt 0x0
	s_barrier_signal -1
	s_barrier_wait -1
	s_and_saveexec_b32 s30, vcc_lo
	s_cbranch_execnz .LBB833_1175
; %bb.1111:                             ;   in Loop: Header=BB833_982 Depth=2
	s_or_b32 exec_lo, exec_lo, s30
	s_and_saveexec_b32 s30, s15
	s_cbranch_execnz .LBB833_1176
.LBB833_1112:                           ;   in Loop: Header=BB833_982 Depth=2
	s_or_b32 exec_lo, exec_lo, s30
	s_and_saveexec_b32 s15, s16
	s_cbranch_execnz .LBB833_1177
.LBB833_1113:                           ;   in Loop: Header=BB833_982 Depth=2
	s_or_b32 exec_lo, exec_lo, s15
	s_and_saveexec_b32 s15, s17
	s_cbranch_execnz .LBB833_1178
.LBB833_1114:                           ;   in Loop: Header=BB833_982 Depth=2
	s_or_b32 exec_lo, exec_lo, s15
	s_and_saveexec_b32 s15, s18
	s_cbranch_execnz .LBB833_1179
.LBB833_1115:                           ;   in Loop: Header=BB833_982 Depth=2
	s_or_b32 exec_lo, exec_lo, s15
	s_and_saveexec_b32 s15, s19
	s_cbranch_execnz .LBB833_1180
.LBB833_1116:                           ;   in Loop: Header=BB833_982 Depth=2
	s_or_b32 exec_lo, exec_lo, s15
	s_and_saveexec_b32 s15, s20
	s_cbranch_execnz .LBB833_1181
.LBB833_1117:                           ;   in Loop: Header=BB833_982 Depth=2
	s_or_b32 exec_lo, exec_lo, s15
	s_and_saveexec_b32 s15, s21
	s_cbranch_execnz .LBB833_1182
.LBB833_1118:                           ;   in Loop: Header=BB833_982 Depth=2
	s_or_b32 exec_lo, exec_lo, s15
	s_and_saveexec_b32 s15, s22
	s_cbranch_execnz .LBB833_1183
.LBB833_1119:                           ;   in Loop: Header=BB833_982 Depth=2
	s_or_b32 exec_lo, exec_lo, s15
	s_and_saveexec_b32 s15, s23
	s_cbranch_execnz .LBB833_1184
.LBB833_1120:                           ;   in Loop: Header=BB833_982 Depth=2
	s_or_b32 exec_lo, exec_lo, s15
	s_and_saveexec_b32 s15, s24
	s_cbranch_execnz .LBB833_1185
.LBB833_1121:                           ;   in Loop: Header=BB833_982 Depth=2
	s_or_b32 exec_lo, exec_lo, s15
	s_and_saveexec_b32 s15, s25
	s_cbranch_execnz .LBB833_1186
.LBB833_1122:                           ;   in Loop: Header=BB833_982 Depth=2
	s_or_b32 exec_lo, exec_lo, s15
	s_and_saveexec_b32 s15, s26
	s_cbranch_execnz .LBB833_1187
.LBB833_1123:                           ;   in Loop: Header=BB833_982 Depth=2
	s_or_b32 exec_lo, exec_lo, s15
	s_and_saveexec_b32 s15, s27
	s_cbranch_execnz .LBB833_1188
.LBB833_1124:                           ;   in Loop: Header=BB833_982 Depth=2
	s_or_b32 exec_lo, exec_lo, s15
	s_and_saveexec_b32 s15, s28
	s_cbranch_execnz .LBB833_1189
.LBB833_1125:                           ;   in Loop: Header=BB833_982 Depth=2
	s_or_b32 exec_lo, exec_lo, s15
	s_and_saveexec_b32 s15, s29
	s_cbranch_execz .LBB833_1127
.LBB833_1126:                           ;   in Loop: Header=BB833_982 Depth=2
	v_lshlrev_b32_e32 v58, 2, v149
	ds_load_b32 v60, v58
	ds_load_b64 v[58:59], v123 offset:31744
	s_wait_dscnt 0x1
	v_add_nc_u32_e32 v60, v60, v112
	s_wait_dscnt 0x0
	global_store_b64 v60, v[58:59], s[46:47] scale_offset
.LBB833_1127:                           ;   in Loop: Header=BB833_982 Depth=2
	s_wait_xcnt 0x0
	s_or_b32 exec_lo, exec_lo, s15
	s_wait_storecnt 0x0
	s_barrier_signal -1
	s_barrier_wait -1
	s_and_saveexec_b32 s15, s0
	s_cbranch_execz .LBB833_981
; %bb.1128:                             ;   in Loop: Header=BB833_982 Depth=2
	ds_load_b32 v58, v3
	s_wait_dscnt 0x0
	v_add_nc_u32_e32 v58, v58, v90
	ds_store_b32 v3, v58
	s_branch .LBB833_981
.LBB833_1129:                           ;   in Loop: Header=BB833_982 Depth=2
	ds_load_b64 v[58:59], v123 offset:1024
	s_wait_dscnt 0x0
	v_lshrrev_b64 v[72:73], s43, v[58:59]
	v_xor_b32_e32 v59, 0x80000000, v59
	s_delay_alu instid0(VALU_DEP_2) | instskip(NEXT) | instid1(VALU_DEP_1)
	v_and_b32_e32 v72, s55, v72
	v_lshlrev_b32_e32 v72, 2, v72
	ds_load_b32 v72, v72
	s_wait_dscnt 0x0
	v_add_nc_u32_e32 v72, v72, v2
	global_store_b64 v72, v[58:59], s[40:41] scale_offset
	s_wait_xcnt 0x0
	s_or_b32 exec_lo, exec_lo, s15
	v_cmp_lt_u32_e64 s15, v98, v165
	s_and_saveexec_b32 s16, s15
	s_cbranch_execz .LBB833_1062
.LBB833_1130:                           ;   in Loop: Header=BB833_982 Depth=2
	ds_load_b64 v[58:59], v123 offset:3072
	s_wait_dscnt 0x0
	v_lshrrev_b64 v[72:73], s43, v[58:59]
	v_xor_b32_e32 v59, 0x80000000, v59
	s_delay_alu instid0(VALU_DEP_2) | instskip(NEXT) | instid1(VALU_DEP_1)
	v_and_b32_e32 v72, s55, v72
	v_lshlrev_b32_e32 v72, 2, v72
	ds_load_b32 v72, v72
	s_wait_dscnt 0x0
	v_add_nc_u32_e32 v72, v72, v98
	global_store_b64 v72, v[58:59], s[40:41] scale_offset
	s_wait_xcnt 0x0
	s_or_b32 exec_lo, exec_lo, s16
	v_cmp_lt_u32_e64 s16, v99, v165
	s_and_saveexec_b32 s17, s16
	s_cbranch_execz .LBB833_1063
.LBB833_1131:                           ;   in Loop: Header=BB833_982 Depth=2
	ds_load_b64 v[58:59], v123 offset:5120
	s_wait_dscnt 0x0
	v_lshrrev_b64 v[72:73], s43, v[58:59]
	v_xor_b32_e32 v59, 0x80000000, v59
	s_delay_alu instid0(VALU_DEP_2) | instskip(NEXT) | instid1(VALU_DEP_1)
	v_and_b32_e32 v72, s55, v72
	v_lshlrev_b32_e32 v72, 2, v72
	ds_load_b32 v72, v72
	s_wait_dscnt 0x0
	v_add_nc_u32_e32 v72, v72, v99
	global_store_b64 v72, v[58:59], s[40:41] scale_offset
	s_wait_xcnt 0x0
	s_or_b32 exec_lo, exec_lo, s17
	v_cmp_lt_u32_e64 s17, v100, v165
	s_and_saveexec_b32 s18, s17
	s_cbranch_execz .LBB833_1064
.LBB833_1132:                           ;   in Loop: Header=BB833_982 Depth=2
	ds_load_b64 v[58:59], v123 offset:7168
	s_wait_dscnt 0x0
	v_lshrrev_b64 v[72:73], s43, v[58:59]
	v_xor_b32_e32 v59, 0x80000000, v59
	s_delay_alu instid0(VALU_DEP_2) | instskip(NEXT) | instid1(VALU_DEP_1)
	v_and_b32_e32 v72, s55, v72
	v_lshlrev_b32_e32 v72, 2, v72
	ds_load_b32 v72, v72
	s_wait_dscnt 0x0
	v_add_nc_u32_e32 v72, v72, v100
	global_store_b64 v72, v[58:59], s[40:41] scale_offset
	s_wait_xcnt 0x0
	s_or_b32 exec_lo, exec_lo, s18
	v_cmp_lt_u32_e64 s18, v101, v165
	s_and_saveexec_b32 s19, s18
	s_cbranch_execz .LBB833_1065
.LBB833_1133:                           ;   in Loop: Header=BB833_982 Depth=2
	ds_load_b64 v[58:59], v123 offset:9216
	s_wait_dscnt 0x0
	v_lshrrev_b64 v[72:73], s43, v[58:59]
	v_xor_b32_e32 v59, 0x80000000, v59
	s_delay_alu instid0(VALU_DEP_2) | instskip(NEXT) | instid1(VALU_DEP_1)
	v_and_b32_e32 v72, s55, v72
	v_lshlrev_b32_e32 v72, 2, v72
	ds_load_b32 v72, v72
	s_wait_dscnt 0x0
	v_add_nc_u32_e32 v72, v72, v101
	global_store_b64 v72, v[58:59], s[40:41] scale_offset
	s_wait_xcnt 0x0
	s_or_b32 exec_lo, exec_lo, s19
	v_cmp_lt_u32_e64 s19, v102, v165
	s_and_saveexec_b32 s20, s19
	s_cbranch_execz .LBB833_1066
.LBB833_1134:                           ;   in Loop: Header=BB833_982 Depth=2
	ds_load_b64 v[58:59], v123 offset:11264
	s_wait_dscnt 0x0
	v_lshrrev_b64 v[72:73], s43, v[58:59]
	v_xor_b32_e32 v59, 0x80000000, v59
	s_delay_alu instid0(VALU_DEP_2) | instskip(NEXT) | instid1(VALU_DEP_1)
	v_and_b32_e32 v72, s55, v72
	v_lshlrev_b32_e32 v72, 2, v72
	ds_load_b32 v72, v72
	s_wait_dscnt 0x0
	v_add_nc_u32_e32 v72, v72, v102
	global_store_b64 v72, v[58:59], s[40:41] scale_offset
	s_wait_xcnt 0x0
	s_or_b32 exec_lo, exec_lo, s20
	v_cmp_lt_u32_e64 s20, v103, v165
	s_and_saveexec_b32 s21, s20
	s_cbranch_execz .LBB833_1067
.LBB833_1135:                           ;   in Loop: Header=BB833_982 Depth=2
	ds_load_b64 v[58:59], v123 offset:13312
	s_wait_dscnt 0x0
	v_lshrrev_b64 v[72:73], s43, v[58:59]
	v_xor_b32_e32 v59, 0x80000000, v59
	s_delay_alu instid0(VALU_DEP_2) | instskip(NEXT) | instid1(VALU_DEP_1)
	v_and_b32_e32 v72, s55, v72
	v_lshlrev_b32_e32 v72, 2, v72
	ds_load_b32 v72, v72
	s_wait_dscnt 0x0
	v_add_nc_u32_e32 v72, v72, v103
	global_store_b64 v72, v[58:59], s[40:41] scale_offset
	s_wait_xcnt 0x0
	s_or_b32 exec_lo, exec_lo, s21
	v_cmp_lt_u32_e64 s21, v104, v165
	s_and_saveexec_b32 s22, s21
	s_cbranch_execz .LBB833_1068
.LBB833_1136:                           ;   in Loop: Header=BB833_982 Depth=2
	ds_load_b64 v[58:59], v123 offset:15360
	s_wait_dscnt 0x0
	v_lshrrev_b64 v[72:73], s43, v[58:59]
	v_xor_b32_e32 v59, 0x80000000, v59
	s_delay_alu instid0(VALU_DEP_2) | instskip(NEXT) | instid1(VALU_DEP_1)
	v_and_b32_e32 v72, s55, v72
	v_lshlrev_b32_e32 v72, 2, v72
	ds_load_b32 v72, v72
	s_wait_dscnt 0x0
	v_add_nc_u32_e32 v72, v72, v104
	global_store_b64 v72, v[58:59], s[40:41] scale_offset
	s_wait_xcnt 0x0
	s_or_b32 exec_lo, exec_lo, s22
	v_cmp_lt_u32_e64 s22, v105, v165
	s_and_saveexec_b32 s23, s22
	s_cbranch_execz .LBB833_1069
.LBB833_1137:                           ;   in Loop: Header=BB833_982 Depth=2
	ds_load_b64 v[58:59], v123 offset:17408
	s_wait_dscnt 0x0
	v_lshrrev_b64 v[72:73], s43, v[58:59]
	v_xor_b32_e32 v59, 0x80000000, v59
	s_delay_alu instid0(VALU_DEP_2) | instskip(NEXT) | instid1(VALU_DEP_1)
	v_and_b32_e32 v72, s55, v72
	v_lshlrev_b32_e32 v72, 2, v72
	ds_load_b32 v72, v72
	s_wait_dscnt 0x0
	v_add_nc_u32_e32 v72, v72, v105
	global_store_b64 v72, v[58:59], s[40:41] scale_offset
	s_wait_xcnt 0x0
	s_or_b32 exec_lo, exec_lo, s23
	v_cmp_lt_u32_e64 s23, v106, v165
	s_and_saveexec_b32 s24, s23
	s_cbranch_execz .LBB833_1070
.LBB833_1138:                           ;   in Loop: Header=BB833_982 Depth=2
	ds_load_b64 v[58:59], v123 offset:19456
	s_wait_dscnt 0x0
	v_lshrrev_b64 v[72:73], s43, v[58:59]
	v_xor_b32_e32 v59, 0x80000000, v59
	s_delay_alu instid0(VALU_DEP_2) | instskip(NEXT) | instid1(VALU_DEP_1)
	v_and_b32_e32 v72, s55, v72
	v_lshlrev_b32_e32 v72, 2, v72
	ds_load_b32 v72, v72
	s_wait_dscnt 0x0
	v_add_nc_u32_e32 v72, v72, v106
	global_store_b64 v72, v[58:59], s[40:41] scale_offset
	s_wait_xcnt 0x0
	s_or_b32 exec_lo, exec_lo, s24
	v_cmp_lt_u32_e64 s24, v107, v165
	s_and_saveexec_b32 s25, s24
	s_cbranch_execz .LBB833_1071
.LBB833_1139:                           ;   in Loop: Header=BB833_982 Depth=2
	ds_load_b64 v[58:59], v123 offset:21504
	s_wait_dscnt 0x0
	v_lshrrev_b64 v[72:73], s43, v[58:59]
	v_xor_b32_e32 v59, 0x80000000, v59
	s_delay_alu instid0(VALU_DEP_2) | instskip(NEXT) | instid1(VALU_DEP_1)
	v_and_b32_e32 v72, s55, v72
	v_lshlrev_b32_e32 v72, 2, v72
	ds_load_b32 v72, v72
	s_wait_dscnt 0x0
	v_add_nc_u32_e32 v72, v72, v107
	global_store_b64 v72, v[58:59], s[40:41] scale_offset
	s_wait_xcnt 0x0
	s_or_b32 exec_lo, exec_lo, s25
	v_cmp_lt_u32_e64 s25, v108, v165
	s_and_saveexec_b32 s26, s25
	s_cbranch_execz .LBB833_1072
.LBB833_1140:                           ;   in Loop: Header=BB833_982 Depth=2
	ds_load_b64 v[58:59], v123 offset:23552
	s_wait_dscnt 0x0
	v_lshrrev_b64 v[72:73], s43, v[58:59]
	v_xor_b32_e32 v59, 0x80000000, v59
	s_delay_alu instid0(VALU_DEP_2) | instskip(NEXT) | instid1(VALU_DEP_1)
	v_and_b32_e32 v72, s55, v72
	v_lshlrev_b32_e32 v72, 2, v72
	ds_load_b32 v72, v72
	s_wait_dscnt 0x0
	v_add_nc_u32_e32 v72, v72, v108
	global_store_b64 v72, v[58:59], s[40:41] scale_offset
	s_wait_xcnt 0x0
	s_or_b32 exec_lo, exec_lo, s26
	v_cmp_lt_u32_e64 s26, v109, v165
	s_and_saveexec_b32 s27, s26
	s_cbranch_execz .LBB833_1073
.LBB833_1141:                           ;   in Loop: Header=BB833_982 Depth=2
	ds_load_b64 v[58:59], v123 offset:25600
	s_wait_dscnt 0x0
	v_lshrrev_b64 v[72:73], s43, v[58:59]
	v_xor_b32_e32 v59, 0x80000000, v59
	s_delay_alu instid0(VALU_DEP_2) | instskip(NEXT) | instid1(VALU_DEP_1)
	v_and_b32_e32 v72, s55, v72
	v_lshlrev_b32_e32 v72, 2, v72
	ds_load_b32 v72, v72
	s_wait_dscnt 0x0
	v_add_nc_u32_e32 v72, v72, v109
	global_store_b64 v72, v[58:59], s[40:41] scale_offset
	s_wait_xcnt 0x0
	s_or_b32 exec_lo, exec_lo, s27
	v_cmp_lt_u32_e64 s27, v110, v165
	s_and_saveexec_b32 s28, s27
	s_cbranch_execz .LBB833_1074
.LBB833_1142:                           ;   in Loop: Header=BB833_982 Depth=2
	ds_load_b64 v[58:59], v123 offset:27648
	s_wait_dscnt 0x0
	v_lshrrev_b64 v[72:73], s43, v[58:59]
	v_xor_b32_e32 v59, 0x80000000, v59
	s_delay_alu instid0(VALU_DEP_2) | instskip(NEXT) | instid1(VALU_DEP_1)
	v_and_b32_e32 v72, s55, v72
	v_lshlrev_b32_e32 v72, 2, v72
	ds_load_b32 v72, v72
	s_wait_dscnt 0x0
	v_add_nc_u32_e32 v72, v72, v110
	global_store_b64 v72, v[58:59], s[40:41] scale_offset
	s_wait_xcnt 0x0
	s_or_b32 exec_lo, exec_lo, s28
	v_cmp_lt_u32_e64 s28, v111, v165
	s_and_saveexec_b32 s29, s28
	s_cbranch_execz .LBB833_1075
.LBB833_1143:                           ;   in Loop: Header=BB833_982 Depth=2
	ds_load_b64 v[58:59], v123 offset:29696
	s_wait_dscnt 0x0
	v_lshrrev_b64 v[72:73], s43, v[58:59]
	v_xor_b32_e32 v59, 0x80000000, v59
	s_delay_alu instid0(VALU_DEP_2) | instskip(NEXT) | instid1(VALU_DEP_1)
	v_and_b32_e32 v72, s55, v72
	v_lshlrev_b32_e32 v72, 2, v72
	ds_load_b32 v72, v72
	s_wait_dscnt 0x0
	v_add_nc_u32_e32 v72, v72, v111
	global_store_b64 v72, v[58:59], s[40:41] scale_offset
	s_wait_xcnt 0x0
	s_or_b32 exec_lo, exec_lo, s29
	v_cmp_lt_u32_e64 s29, v112, v165
	s_and_saveexec_b32 s58, s29
	s_cbranch_execnz .LBB833_1076
	s_branch .LBB833_1077
.LBB833_1144:                           ;   in Loop: Header=BB833_982 Depth=2
	global_load_b64 v[56:57], v[58:59], off
	s_wait_xcnt 0x0
	s_or_b32 exec_lo, exec_lo, s30
	s_delay_alu instid0(SALU_CYCLE_1)
	s_mov_b32 s58, exec_lo
	v_cmpx_lt_u32_e64 v132, v165
	s_cbranch_execz .LBB833_1079
.LBB833_1145:                           ;   in Loop: Header=BB833_982 Depth=2
	global_load_b64 v[54:55], v[58:59], off offset:256
	s_wait_xcnt 0x0
	s_or_b32 exec_lo, exec_lo, s58
	s_delay_alu instid0(SALU_CYCLE_1)
	s_mov_b32 s58, exec_lo
	v_cmpx_lt_u32_e64 v133, v165
	s_cbranch_execz .LBB833_1080
.LBB833_1146:                           ;   in Loop: Header=BB833_982 Depth=2
	global_load_b64 v[52:53], v[58:59], off offset:512
	s_wait_xcnt 0x0
	s_or_b32 exec_lo, exec_lo, s58
	s_delay_alu instid0(SALU_CYCLE_1)
	s_mov_b32 s58, exec_lo
	v_cmpx_lt_u32_e64 v134, v165
	s_cbranch_execz .LBB833_1081
.LBB833_1147:                           ;   in Loop: Header=BB833_982 Depth=2
	global_load_b64 v[50:51], v[58:59], off offset:768
	s_wait_xcnt 0x0
	s_or_b32 exec_lo, exec_lo, s58
	s_delay_alu instid0(SALU_CYCLE_1)
	s_mov_b32 s58, exec_lo
	v_cmpx_lt_u32_e64 v135, v165
	s_cbranch_execz .LBB833_1082
.LBB833_1148:                           ;   in Loop: Header=BB833_982 Depth=2
	global_load_b64 v[48:49], v[58:59], off offset:1024
	s_wait_xcnt 0x0
	s_or_b32 exec_lo, exec_lo, s58
	s_delay_alu instid0(SALU_CYCLE_1)
	s_mov_b32 s58, exec_lo
	v_cmpx_lt_u32_e64 v136, v165
	s_cbranch_execz .LBB833_1083
.LBB833_1149:                           ;   in Loop: Header=BB833_982 Depth=2
	global_load_b64 v[46:47], v[58:59], off offset:1280
	s_wait_xcnt 0x0
	s_or_b32 exec_lo, exec_lo, s58
	s_delay_alu instid0(SALU_CYCLE_1)
	s_mov_b32 s58, exec_lo
	v_cmpx_lt_u32_e64 v137, v165
	s_cbranch_execz .LBB833_1084
.LBB833_1150:                           ;   in Loop: Header=BB833_982 Depth=2
	global_load_b64 v[44:45], v[58:59], off offset:1536
	s_wait_xcnt 0x0
	s_or_b32 exec_lo, exec_lo, s58
	s_delay_alu instid0(SALU_CYCLE_1)
	s_mov_b32 s58, exec_lo
	v_cmpx_lt_u32_e64 v138, v165
	s_cbranch_execz .LBB833_1085
.LBB833_1151:                           ;   in Loop: Header=BB833_982 Depth=2
	global_load_b64 v[42:43], v[58:59], off offset:1792
	s_wait_xcnt 0x0
	s_or_b32 exec_lo, exec_lo, s58
	s_delay_alu instid0(SALU_CYCLE_1)
	s_mov_b32 s58, exec_lo
	v_cmpx_lt_u32_e64 v139, v165
	s_cbranch_execz .LBB833_1086
.LBB833_1152:                           ;   in Loop: Header=BB833_982 Depth=2
	global_load_b64 v[40:41], v[58:59], off offset:2048
	s_wait_xcnt 0x0
	s_or_b32 exec_lo, exec_lo, s58
	s_delay_alu instid0(SALU_CYCLE_1)
	s_mov_b32 s58, exec_lo
	v_cmpx_lt_u32_e64 v140, v165
	s_cbranch_execz .LBB833_1087
.LBB833_1153:                           ;   in Loop: Header=BB833_982 Depth=2
	global_load_b64 v[38:39], v[58:59], off offset:2304
	s_wait_xcnt 0x0
	s_or_b32 exec_lo, exec_lo, s58
	s_delay_alu instid0(SALU_CYCLE_1)
	s_mov_b32 s58, exec_lo
	v_cmpx_lt_u32_e64 v141, v165
	s_cbranch_execz .LBB833_1088
.LBB833_1154:                           ;   in Loop: Header=BB833_982 Depth=2
	global_load_b64 v[36:37], v[58:59], off offset:2560
	s_wait_xcnt 0x0
	s_or_b32 exec_lo, exec_lo, s58
	s_delay_alu instid0(SALU_CYCLE_1)
	s_mov_b32 s58, exec_lo
	v_cmpx_lt_u32_e64 v142, v165
	s_cbranch_execz .LBB833_1089
.LBB833_1155:                           ;   in Loop: Header=BB833_982 Depth=2
	global_load_b64 v[34:35], v[58:59], off offset:2816
	s_wait_xcnt 0x0
	s_or_b32 exec_lo, exec_lo, s58
	s_delay_alu instid0(SALU_CYCLE_1)
	s_mov_b32 s58, exec_lo
	v_cmpx_lt_u32_e64 v143, v165
	s_cbranch_execz .LBB833_1090
.LBB833_1156:                           ;   in Loop: Header=BB833_982 Depth=2
	global_load_b64 v[32:33], v[58:59], off offset:3072
	s_wait_xcnt 0x0
	s_or_b32 exec_lo, exec_lo, s58
	s_delay_alu instid0(SALU_CYCLE_1)
	s_mov_b32 s58, exec_lo
	v_cmpx_lt_u32_e64 v144, v165
	s_cbranch_execz .LBB833_1091
.LBB833_1157:                           ;   in Loop: Header=BB833_982 Depth=2
	global_load_b64 v[30:31], v[58:59], off offset:3328
	s_wait_xcnt 0x0
	s_or_b32 exec_lo, exec_lo, s58
	s_delay_alu instid0(SALU_CYCLE_1)
	s_mov_b32 s58, exec_lo
	v_cmpx_lt_u32_e64 v145, v165
	s_cbranch_execz .LBB833_1092
.LBB833_1158:                           ;   in Loop: Header=BB833_982 Depth=2
	global_load_b64 v[28:29], v[58:59], off offset:3584
	s_wait_xcnt 0x0
	s_or_b32 exec_lo, exec_lo, s58
	s_delay_alu instid0(SALU_CYCLE_1)
	s_mov_b32 s58, exec_lo
	v_cmpx_lt_u32_e64 v146, v165
	s_cbranch_execz .LBB833_1093
.LBB833_1159:                           ;   in Loop: Header=BB833_982 Depth=2
	global_load_b64 v[26:27], v[58:59], off offset:3840
	s_wait_xcnt 0x0
	s_or_b32 exec_lo, exec_lo, s58
	s_and_saveexec_b32 s30, vcc_lo
	s_cbranch_execz .LBB833_1094
.LBB833_1160:                           ;   in Loop: Header=BB833_982 Depth=2
	ds_load_b64 v[58:59], v123 offset:1024
	s_wait_dscnt 0x0
	v_lshrrev_b64 v[58:59], s43, v[58:59]
	s_delay_alu instid0(VALU_DEP_1)
	v_and_b32_e32 v164, s55, v58
	s_or_b32 exec_lo, exec_lo, s30
	s_and_saveexec_b32 s30, s15
	s_cbranch_execz .LBB833_1095
.LBB833_1161:                           ;   in Loop: Header=BB833_982 Depth=2
	ds_load_b64 v[58:59], v123 offset:3072
	s_wait_dscnt 0x0
	v_lshrrev_b64 v[58:59], s43, v[58:59]
	s_delay_alu instid0(VALU_DEP_1)
	v_and_b32_e32 v163, s55, v58
	s_or_b32 exec_lo, exec_lo, s30
	s_and_saveexec_b32 s30, s16
	s_cbranch_execz .LBB833_1096
.LBB833_1162:                           ;   in Loop: Header=BB833_982 Depth=2
	ds_load_b64 v[58:59], v123 offset:5120
	s_wait_dscnt 0x0
	v_lshrrev_b64 v[58:59], s43, v[58:59]
	s_delay_alu instid0(VALU_DEP_1)
	v_and_b32_e32 v162, s55, v58
	s_or_b32 exec_lo, exec_lo, s30
	s_and_saveexec_b32 s30, s17
	s_cbranch_execz .LBB833_1097
.LBB833_1163:                           ;   in Loop: Header=BB833_982 Depth=2
	ds_load_b64 v[58:59], v123 offset:7168
	s_wait_dscnt 0x0
	v_lshrrev_b64 v[58:59], s43, v[58:59]
	s_delay_alu instid0(VALU_DEP_1)
	v_and_b32_e32 v161, s55, v58
	s_or_b32 exec_lo, exec_lo, s30
	s_and_saveexec_b32 s30, s18
	s_cbranch_execz .LBB833_1098
.LBB833_1164:                           ;   in Loop: Header=BB833_982 Depth=2
	ds_load_b64 v[58:59], v123 offset:9216
	s_wait_dscnt 0x0
	v_lshrrev_b64 v[58:59], s43, v[58:59]
	s_delay_alu instid0(VALU_DEP_1)
	v_and_b32_e32 v160, s55, v58
	s_or_b32 exec_lo, exec_lo, s30
	s_and_saveexec_b32 s30, s19
	s_cbranch_execz .LBB833_1099
.LBB833_1165:                           ;   in Loop: Header=BB833_982 Depth=2
	ds_load_b64 v[58:59], v123 offset:11264
	s_wait_dscnt 0x0
	v_lshrrev_b64 v[58:59], s43, v[58:59]
	s_delay_alu instid0(VALU_DEP_1)
	v_and_b32_e32 v159, s55, v58
	s_or_b32 exec_lo, exec_lo, s30
	s_and_saveexec_b32 s30, s20
	s_cbranch_execz .LBB833_1100
.LBB833_1166:                           ;   in Loop: Header=BB833_982 Depth=2
	ds_load_b64 v[58:59], v123 offset:13312
	s_wait_dscnt 0x0
	v_lshrrev_b64 v[58:59], s43, v[58:59]
	s_delay_alu instid0(VALU_DEP_1)
	v_and_b32_e32 v158, s55, v58
	s_or_b32 exec_lo, exec_lo, s30
	s_and_saveexec_b32 s30, s21
	s_cbranch_execz .LBB833_1101
.LBB833_1167:                           ;   in Loop: Header=BB833_982 Depth=2
	ds_load_b64 v[58:59], v123 offset:15360
	s_wait_dscnt 0x0
	v_lshrrev_b64 v[58:59], s43, v[58:59]
	s_delay_alu instid0(VALU_DEP_1)
	v_and_b32_e32 v157, s55, v58
	s_or_b32 exec_lo, exec_lo, s30
	s_and_saveexec_b32 s30, s22
	s_cbranch_execz .LBB833_1102
.LBB833_1168:                           ;   in Loop: Header=BB833_982 Depth=2
	ds_load_b64 v[58:59], v123 offset:17408
	s_wait_dscnt 0x0
	v_lshrrev_b64 v[58:59], s43, v[58:59]
	s_delay_alu instid0(VALU_DEP_1)
	v_and_b32_e32 v156, s55, v58
	s_or_b32 exec_lo, exec_lo, s30
	s_and_saveexec_b32 s30, s23
	s_cbranch_execz .LBB833_1103
.LBB833_1169:                           ;   in Loop: Header=BB833_982 Depth=2
	ds_load_b64 v[58:59], v123 offset:19456
	s_wait_dscnt 0x0
	v_lshrrev_b64 v[58:59], s43, v[58:59]
	s_delay_alu instid0(VALU_DEP_1)
	v_and_b32_e32 v155, s55, v58
	s_or_b32 exec_lo, exec_lo, s30
	s_and_saveexec_b32 s30, s24
	s_cbranch_execz .LBB833_1104
.LBB833_1170:                           ;   in Loop: Header=BB833_982 Depth=2
	ds_load_b64 v[58:59], v123 offset:21504
	s_wait_dscnt 0x0
	v_lshrrev_b64 v[58:59], s43, v[58:59]
	s_delay_alu instid0(VALU_DEP_1)
	v_and_b32_e32 v154, s55, v58
	s_or_b32 exec_lo, exec_lo, s30
	s_and_saveexec_b32 s30, s25
	s_cbranch_execz .LBB833_1105
.LBB833_1171:                           ;   in Loop: Header=BB833_982 Depth=2
	ds_load_b64 v[58:59], v123 offset:23552
	s_wait_dscnt 0x0
	v_lshrrev_b64 v[58:59], s43, v[58:59]
	s_delay_alu instid0(VALU_DEP_1)
	v_and_b32_e32 v153, s55, v58
	s_or_b32 exec_lo, exec_lo, s30
	s_and_saveexec_b32 s30, s26
	s_cbranch_execz .LBB833_1106
.LBB833_1172:                           ;   in Loop: Header=BB833_982 Depth=2
	ds_load_b64 v[58:59], v123 offset:25600
	s_wait_dscnt 0x0
	v_lshrrev_b64 v[58:59], s43, v[58:59]
	s_delay_alu instid0(VALU_DEP_1)
	v_and_b32_e32 v152, s55, v58
	s_or_b32 exec_lo, exec_lo, s30
	s_and_saveexec_b32 s30, s27
	s_cbranch_execz .LBB833_1107
.LBB833_1173:                           ;   in Loop: Header=BB833_982 Depth=2
	ds_load_b64 v[58:59], v123 offset:27648
	s_wait_dscnt 0x0
	v_lshrrev_b64 v[58:59], s43, v[58:59]
	s_delay_alu instid0(VALU_DEP_1)
	v_and_b32_e32 v151, s55, v58
	s_or_b32 exec_lo, exec_lo, s30
	s_and_saveexec_b32 s30, s28
	s_cbranch_execz .LBB833_1108
.LBB833_1174:                           ;   in Loop: Header=BB833_982 Depth=2
	ds_load_b64 v[58:59], v123 offset:29696
	s_wait_dscnt 0x0
	v_lshrrev_b64 v[58:59], s43, v[58:59]
	s_delay_alu instid0(VALU_DEP_1)
	v_and_b32_e32 v150, s55, v58
	s_or_b32 exec_lo, exec_lo, s30
	s_and_saveexec_b32 s30, s29
	s_cbranch_execnz .LBB833_1109
	s_branch .LBB833_1110
.LBB833_1175:                           ;   in Loop: Header=BB833_982 Depth=2
	v_lshlrev_b32_e32 v58, 2, v164
	ds_load_b32 v60, v58
	ds_load_b64 v[58:59], v123 offset:1024
	s_wait_dscnt 0x1
	v_add_nc_u32_e32 v60, v60, v2
	s_wait_dscnt 0x0
	global_store_b64 v60, v[58:59], s[46:47] scale_offset
	s_wait_xcnt 0x0
	s_or_b32 exec_lo, exec_lo, s30
	s_and_saveexec_b32 s30, s15
	s_cbranch_execz .LBB833_1112
.LBB833_1176:                           ;   in Loop: Header=BB833_982 Depth=2
	v_lshlrev_b32_e32 v58, 2, v163
	ds_load_b32 v60, v58
	ds_load_b64 v[58:59], v123 offset:3072
	s_wait_dscnt 0x1
	v_add_nc_u32_e32 v60, v60, v98
	s_wait_dscnt 0x0
	global_store_b64 v60, v[58:59], s[46:47] scale_offset
	s_wait_xcnt 0x0
	s_or_b32 exec_lo, exec_lo, s30
	s_and_saveexec_b32 s15, s16
	s_cbranch_execz .LBB833_1113
.LBB833_1177:                           ;   in Loop: Header=BB833_982 Depth=2
	v_lshlrev_b32_e32 v58, 2, v162
	ds_load_b32 v60, v58
	ds_load_b64 v[58:59], v123 offset:5120
	s_wait_dscnt 0x1
	v_add_nc_u32_e32 v60, v60, v99
	s_wait_dscnt 0x0
	global_store_b64 v60, v[58:59], s[46:47] scale_offset
	s_wait_xcnt 0x0
	s_or_b32 exec_lo, exec_lo, s15
	s_and_saveexec_b32 s15, s17
	s_cbranch_execz .LBB833_1114
.LBB833_1178:                           ;   in Loop: Header=BB833_982 Depth=2
	v_lshlrev_b32_e32 v58, 2, v161
	ds_load_b32 v60, v58
	ds_load_b64 v[58:59], v123 offset:7168
	s_wait_dscnt 0x1
	v_add_nc_u32_e32 v60, v60, v100
	s_wait_dscnt 0x0
	global_store_b64 v60, v[58:59], s[46:47] scale_offset
	s_wait_xcnt 0x0
	s_or_b32 exec_lo, exec_lo, s15
	s_and_saveexec_b32 s15, s18
	s_cbranch_execz .LBB833_1115
.LBB833_1179:                           ;   in Loop: Header=BB833_982 Depth=2
	v_lshlrev_b32_e32 v58, 2, v160
	ds_load_b32 v60, v58
	ds_load_b64 v[58:59], v123 offset:9216
	s_wait_dscnt 0x1
	v_add_nc_u32_e32 v60, v60, v101
	s_wait_dscnt 0x0
	global_store_b64 v60, v[58:59], s[46:47] scale_offset
	s_wait_xcnt 0x0
	s_or_b32 exec_lo, exec_lo, s15
	s_and_saveexec_b32 s15, s19
	s_cbranch_execz .LBB833_1116
.LBB833_1180:                           ;   in Loop: Header=BB833_982 Depth=2
	v_lshlrev_b32_e32 v58, 2, v159
	ds_load_b32 v60, v58
	ds_load_b64 v[58:59], v123 offset:11264
	s_wait_dscnt 0x1
	v_add_nc_u32_e32 v60, v60, v102
	s_wait_dscnt 0x0
	global_store_b64 v60, v[58:59], s[46:47] scale_offset
	s_wait_xcnt 0x0
	s_or_b32 exec_lo, exec_lo, s15
	s_and_saveexec_b32 s15, s20
	s_cbranch_execz .LBB833_1117
.LBB833_1181:                           ;   in Loop: Header=BB833_982 Depth=2
	v_lshlrev_b32_e32 v58, 2, v158
	ds_load_b32 v60, v58
	ds_load_b64 v[58:59], v123 offset:13312
	s_wait_dscnt 0x1
	v_add_nc_u32_e32 v60, v60, v103
	s_wait_dscnt 0x0
	global_store_b64 v60, v[58:59], s[46:47] scale_offset
	s_wait_xcnt 0x0
	s_or_b32 exec_lo, exec_lo, s15
	s_and_saveexec_b32 s15, s21
	s_cbranch_execz .LBB833_1118
.LBB833_1182:                           ;   in Loop: Header=BB833_982 Depth=2
	v_lshlrev_b32_e32 v58, 2, v157
	ds_load_b32 v60, v58
	ds_load_b64 v[58:59], v123 offset:15360
	s_wait_dscnt 0x1
	v_add_nc_u32_e32 v60, v60, v104
	s_wait_dscnt 0x0
	global_store_b64 v60, v[58:59], s[46:47] scale_offset
	s_wait_xcnt 0x0
	s_or_b32 exec_lo, exec_lo, s15
	s_and_saveexec_b32 s15, s22
	s_cbranch_execz .LBB833_1119
.LBB833_1183:                           ;   in Loop: Header=BB833_982 Depth=2
	v_lshlrev_b32_e32 v58, 2, v156
	ds_load_b32 v60, v58
	ds_load_b64 v[58:59], v123 offset:17408
	s_wait_dscnt 0x1
	v_add_nc_u32_e32 v60, v60, v105
	s_wait_dscnt 0x0
	global_store_b64 v60, v[58:59], s[46:47] scale_offset
	s_wait_xcnt 0x0
	s_or_b32 exec_lo, exec_lo, s15
	s_and_saveexec_b32 s15, s23
	s_cbranch_execz .LBB833_1120
.LBB833_1184:                           ;   in Loop: Header=BB833_982 Depth=2
	v_lshlrev_b32_e32 v58, 2, v155
	ds_load_b32 v60, v58
	ds_load_b64 v[58:59], v123 offset:19456
	s_wait_dscnt 0x1
	v_add_nc_u32_e32 v60, v60, v106
	s_wait_dscnt 0x0
	global_store_b64 v60, v[58:59], s[46:47] scale_offset
	s_wait_xcnt 0x0
	s_or_b32 exec_lo, exec_lo, s15
	s_and_saveexec_b32 s15, s24
	s_cbranch_execz .LBB833_1121
.LBB833_1185:                           ;   in Loop: Header=BB833_982 Depth=2
	v_lshlrev_b32_e32 v58, 2, v154
	ds_load_b32 v60, v58
	ds_load_b64 v[58:59], v123 offset:21504
	s_wait_dscnt 0x1
	v_add_nc_u32_e32 v60, v60, v107
	s_wait_dscnt 0x0
	global_store_b64 v60, v[58:59], s[46:47] scale_offset
	s_wait_xcnt 0x0
	s_or_b32 exec_lo, exec_lo, s15
	s_and_saveexec_b32 s15, s25
	s_cbranch_execz .LBB833_1122
.LBB833_1186:                           ;   in Loop: Header=BB833_982 Depth=2
	v_lshlrev_b32_e32 v58, 2, v153
	ds_load_b32 v60, v58
	ds_load_b64 v[58:59], v123 offset:23552
	s_wait_dscnt 0x1
	v_add_nc_u32_e32 v60, v60, v108
	s_wait_dscnt 0x0
	global_store_b64 v60, v[58:59], s[46:47] scale_offset
	s_wait_xcnt 0x0
	s_or_b32 exec_lo, exec_lo, s15
	s_and_saveexec_b32 s15, s26
	s_cbranch_execz .LBB833_1123
.LBB833_1187:                           ;   in Loop: Header=BB833_982 Depth=2
	v_lshlrev_b32_e32 v58, 2, v152
	ds_load_b32 v60, v58
	ds_load_b64 v[58:59], v123 offset:25600
	s_wait_dscnt 0x1
	v_add_nc_u32_e32 v60, v60, v109
	s_wait_dscnt 0x0
	global_store_b64 v60, v[58:59], s[46:47] scale_offset
	s_wait_xcnt 0x0
	s_or_b32 exec_lo, exec_lo, s15
	s_and_saveexec_b32 s15, s27
	s_cbranch_execz .LBB833_1124
.LBB833_1188:                           ;   in Loop: Header=BB833_982 Depth=2
	v_lshlrev_b32_e32 v58, 2, v151
	ds_load_b32 v60, v58
	ds_load_b64 v[58:59], v123 offset:27648
	s_wait_dscnt 0x1
	v_add_nc_u32_e32 v60, v60, v110
	s_wait_dscnt 0x0
	global_store_b64 v60, v[58:59], s[46:47] scale_offset
	s_wait_xcnt 0x0
	s_or_b32 exec_lo, exec_lo, s15
	s_and_saveexec_b32 s15, s28
	s_cbranch_execz .LBB833_1125
.LBB833_1189:                           ;   in Loop: Header=BB833_982 Depth=2
	v_lshlrev_b32_e32 v58, 2, v150
	ds_load_b32 v60, v58
	ds_load_b64 v[58:59], v123 offset:29696
	s_wait_dscnt 0x1
	v_add_nc_u32_e32 v60, v60, v111
	s_wait_dscnt 0x0
	global_store_b64 v60, v[58:59], s[46:47] scale_offset
	s_wait_xcnt 0x0
	s_or_b32 exec_lo, exec_lo, s15
	s_and_saveexec_b32 s15, s29
	s_cbranch_execnz .LBB833_1126
	s_branch .LBB833_1127
.LBB833_1190:
	s_endpgm
	.section	.rodata,"a",@progbits
	.p2align	6, 0x0
	.amdhsa_kernel _ZN7rocprim17ROCPRIM_400000_NS6detail17trampoline_kernelINS0_14default_configENS1_36segmented_radix_sort_config_selectorIllEEZNS1_25segmented_radix_sort_implIS3_Lb0EPKlPlS8_S9_N2at6native12_GLOBAL__N_18offset_tEEE10hipError_tPvRmT1_PNSt15iterator_traitsISH_E10value_typeET2_T3_PNSI_ISN_E10value_typeET4_jRbjT5_ST_jjP12ihipStream_tbEUlT_E2_NS1_11comp_targetILNS1_3genE0ELNS1_11target_archE4294967295ELNS1_3gpuE0ELNS1_3repE0EEENS1_30default_config_static_selectorELNS0_4arch9wavefront6targetE0EEEvSH_
		.amdhsa_group_segment_fixed_size 33824
		.amdhsa_private_segment_fixed_size 0
		.amdhsa_kernarg_size 336
		.amdhsa_user_sgpr_count 4
		.amdhsa_user_sgpr_dispatch_ptr 0
		.amdhsa_user_sgpr_queue_ptr 1
		.amdhsa_user_sgpr_kernarg_segment_ptr 1
		.amdhsa_user_sgpr_dispatch_id 0
		.amdhsa_user_sgpr_kernarg_preload_length 0
		.amdhsa_user_sgpr_kernarg_preload_offset 0
		.amdhsa_user_sgpr_private_segment_size 0
		.amdhsa_wavefront_size32 1
		.amdhsa_uses_dynamic_stack 0
		.amdhsa_enable_private_segment 0
		.amdhsa_system_sgpr_workgroup_id_x 1
		.amdhsa_system_sgpr_workgroup_id_y 1
		.amdhsa_system_sgpr_workgroup_id_z 0
		.amdhsa_system_sgpr_workgroup_info 0
		.amdhsa_system_vgpr_workitem_id 2
		.amdhsa_next_free_vgpr 319
		.amdhsa_next_free_sgpr 60
		.amdhsa_named_barrier_count 0
		.amdhsa_reserve_vcc 1
		.amdhsa_float_round_mode_32 0
		.amdhsa_float_round_mode_16_64 0
		.amdhsa_float_denorm_mode_32 3
		.amdhsa_float_denorm_mode_16_64 3
		.amdhsa_fp16_overflow 0
		.amdhsa_memory_ordered 1
		.amdhsa_forward_progress 1
		.amdhsa_inst_pref_size 255
		.amdhsa_round_robin_scheduling 0
		.amdhsa_exception_fp_ieee_invalid_op 0
		.amdhsa_exception_fp_denorm_src 0
		.amdhsa_exception_fp_ieee_div_zero 0
		.amdhsa_exception_fp_ieee_overflow 0
		.amdhsa_exception_fp_ieee_underflow 0
		.amdhsa_exception_fp_ieee_inexact 0
		.amdhsa_exception_int_div_zero 0
	.end_amdhsa_kernel
	.section	.text._ZN7rocprim17ROCPRIM_400000_NS6detail17trampoline_kernelINS0_14default_configENS1_36segmented_radix_sort_config_selectorIllEEZNS1_25segmented_radix_sort_implIS3_Lb0EPKlPlS8_S9_N2at6native12_GLOBAL__N_18offset_tEEE10hipError_tPvRmT1_PNSt15iterator_traitsISH_E10value_typeET2_T3_PNSI_ISN_E10value_typeET4_jRbjT5_ST_jjP12ihipStream_tbEUlT_E2_NS1_11comp_targetILNS1_3genE0ELNS1_11target_archE4294967295ELNS1_3gpuE0ELNS1_3repE0EEENS1_30default_config_static_selectorELNS0_4arch9wavefront6targetE0EEEvSH_,"axG",@progbits,_ZN7rocprim17ROCPRIM_400000_NS6detail17trampoline_kernelINS0_14default_configENS1_36segmented_radix_sort_config_selectorIllEEZNS1_25segmented_radix_sort_implIS3_Lb0EPKlPlS8_S9_N2at6native12_GLOBAL__N_18offset_tEEE10hipError_tPvRmT1_PNSt15iterator_traitsISH_E10value_typeET2_T3_PNSI_ISN_E10value_typeET4_jRbjT5_ST_jjP12ihipStream_tbEUlT_E2_NS1_11comp_targetILNS1_3genE0ELNS1_11target_archE4294967295ELNS1_3gpuE0ELNS1_3repE0EEENS1_30default_config_static_selectorELNS0_4arch9wavefront6targetE0EEEvSH_,comdat
.Lfunc_end833:
	.size	_ZN7rocprim17ROCPRIM_400000_NS6detail17trampoline_kernelINS0_14default_configENS1_36segmented_radix_sort_config_selectorIllEEZNS1_25segmented_radix_sort_implIS3_Lb0EPKlPlS8_S9_N2at6native12_GLOBAL__N_18offset_tEEE10hipError_tPvRmT1_PNSt15iterator_traitsISH_E10value_typeET2_T3_PNSI_ISN_E10value_typeET4_jRbjT5_ST_jjP12ihipStream_tbEUlT_E2_NS1_11comp_targetILNS1_3genE0ELNS1_11target_archE4294967295ELNS1_3gpuE0ELNS1_3repE0EEENS1_30default_config_static_selectorELNS0_4arch9wavefront6targetE0EEEvSH_, .Lfunc_end833-_ZN7rocprim17ROCPRIM_400000_NS6detail17trampoline_kernelINS0_14default_configENS1_36segmented_radix_sort_config_selectorIllEEZNS1_25segmented_radix_sort_implIS3_Lb0EPKlPlS8_S9_N2at6native12_GLOBAL__N_18offset_tEEE10hipError_tPvRmT1_PNSt15iterator_traitsISH_E10value_typeET2_T3_PNSI_ISN_E10value_typeET4_jRbjT5_ST_jjP12ihipStream_tbEUlT_E2_NS1_11comp_targetILNS1_3genE0ELNS1_11target_archE4294967295ELNS1_3gpuE0ELNS1_3repE0EEENS1_30default_config_static_selectorELNS0_4arch9wavefront6targetE0EEEvSH_
                                        ; -- End function
	.set _ZN7rocprim17ROCPRIM_400000_NS6detail17trampoline_kernelINS0_14default_configENS1_36segmented_radix_sort_config_selectorIllEEZNS1_25segmented_radix_sort_implIS3_Lb0EPKlPlS8_S9_N2at6native12_GLOBAL__N_18offset_tEEE10hipError_tPvRmT1_PNSt15iterator_traitsISH_E10value_typeET2_T3_PNSI_ISN_E10value_typeET4_jRbjT5_ST_jjP12ihipStream_tbEUlT_E2_NS1_11comp_targetILNS1_3genE0ELNS1_11target_archE4294967295ELNS1_3gpuE0ELNS1_3repE0EEENS1_30default_config_static_selectorELNS0_4arch9wavefront6targetE0EEEvSH_.num_vgpr, max(220, .L_ZN7rocprim17ROCPRIM_400000_NS6detail26segmented_warp_sort_helperINS1_20WarpSortHelperConfigILj8ELj4ELj256EEEllLi256ELb0EvE4sortIPKlPlS8_S9_EEvT_T0_T1_T2_jjjjRNS5_12storage_typeE.num_vgpr, .L_ZN7rocprim17ROCPRIM_400000_NS6detail40segmented_radix_sort_single_block_helperIllLj256ELj16ELb0EE4sortIPKlPlS6_S7_EEbT_T0_T1_T2_jjjjRNS3_12storage_typeE.num_vgpr)
	.set _ZN7rocprim17ROCPRIM_400000_NS6detail17trampoline_kernelINS0_14default_configENS1_36segmented_radix_sort_config_selectorIllEEZNS1_25segmented_radix_sort_implIS3_Lb0EPKlPlS8_S9_N2at6native12_GLOBAL__N_18offset_tEEE10hipError_tPvRmT1_PNSt15iterator_traitsISH_E10value_typeET2_T3_PNSI_ISN_E10value_typeET4_jRbjT5_ST_jjP12ihipStream_tbEUlT_E2_NS1_11comp_targetILNS1_3genE0ELNS1_11target_archE4294967295ELNS1_3gpuE0ELNS1_3repE0EEENS1_30default_config_static_selectorELNS0_4arch9wavefront6targetE0EEEvSH_.num_agpr, max(0, .L_ZN7rocprim17ROCPRIM_400000_NS6detail26segmented_warp_sort_helperINS1_20WarpSortHelperConfigILj8ELj4ELj256EEEllLi256ELb0EvE4sortIPKlPlS8_S9_EEvT_T0_T1_T2_jjjjRNS5_12storage_typeE.num_agpr, .L_ZN7rocprim17ROCPRIM_400000_NS6detail40segmented_radix_sort_single_block_helperIllLj256ELj16ELb0EE4sortIPKlPlS6_S7_EEbT_T0_T1_T2_jjjjRNS3_12storage_typeE.num_agpr)
	.set _ZN7rocprim17ROCPRIM_400000_NS6detail17trampoline_kernelINS0_14default_configENS1_36segmented_radix_sort_config_selectorIllEEZNS1_25segmented_radix_sort_implIS3_Lb0EPKlPlS8_S9_N2at6native12_GLOBAL__N_18offset_tEEE10hipError_tPvRmT1_PNSt15iterator_traitsISH_E10value_typeET2_T3_PNSI_ISN_E10value_typeET4_jRbjT5_ST_jjP12ihipStream_tbEUlT_E2_NS1_11comp_targetILNS1_3genE0ELNS1_11target_archE4294967295ELNS1_3gpuE0ELNS1_3repE0EEENS1_30default_config_static_selectorELNS0_4arch9wavefront6targetE0EEEvSH_.numbered_sgpr, max(60, .L_ZN7rocprim17ROCPRIM_400000_NS6detail26segmented_warp_sort_helperINS1_20WarpSortHelperConfigILj8ELj4ELj256EEEllLi256ELb0EvE4sortIPKlPlS8_S9_EEvT_T0_T1_T2_jjjjRNS5_12storage_typeE.numbered_sgpr, .L_ZN7rocprim17ROCPRIM_400000_NS6detail40segmented_radix_sort_single_block_helperIllLj256ELj16ELb0EE4sortIPKlPlS6_S7_EEbT_T0_T1_T2_jjjjRNS3_12storage_typeE.numbered_sgpr)
	.set _ZN7rocprim17ROCPRIM_400000_NS6detail17trampoline_kernelINS0_14default_configENS1_36segmented_radix_sort_config_selectorIllEEZNS1_25segmented_radix_sort_implIS3_Lb0EPKlPlS8_S9_N2at6native12_GLOBAL__N_18offset_tEEE10hipError_tPvRmT1_PNSt15iterator_traitsISH_E10value_typeET2_T3_PNSI_ISN_E10value_typeET4_jRbjT5_ST_jjP12ihipStream_tbEUlT_E2_NS1_11comp_targetILNS1_3genE0ELNS1_11target_archE4294967295ELNS1_3gpuE0ELNS1_3repE0EEENS1_30default_config_static_selectorELNS0_4arch9wavefront6targetE0EEEvSH_.num_named_barrier, max(0, .L_ZN7rocprim17ROCPRIM_400000_NS6detail26segmented_warp_sort_helperINS1_20WarpSortHelperConfigILj8ELj4ELj256EEEllLi256ELb0EvE4sortIPKlPlS8_S9_EEvT_T0_T1_T2_jjjjRNS5_12storage_typeE.num_named_barrier, .L_ZN7rocprim17ROCPRIM_400000_NS6detail40segmented_radix_sort_single_block_helperIllLj256ELj16ELb0EE4sortIPKlPlS6_S7_EEbT_T0_T1_T2_jjjjRNS3_12storage_typeE.num_named_barrier)
	.set _ZN7rocprim17ROCPRIM_400000_NS6detail17trampoline_kernelINS0_14default_configENS1_36segmented_radix_sort_config_selectorIllEEZNS1_25segmented_radix_sort_implIS3_Lb0EPKlPlS8_S9_N2at6native12_GLOBAL__N_18offset_tEEE10hipError_tPvRmT1_PNSt15iterator_traitsISH_E10value_typeET2_T3_PNSI_ISN_E10value_typeET4_jRbjT5_ST_jjP12ihipStream_tbEUlT_E2_NS1_11comp_targetILNS1_3genE0ELNS1_11target_archE4294967295ELNS1_3gpuE0ELNS1_3repE0EEENS1_30default_config_static_selectorELNS0_4arch9wavefront6targetE0EEEvSH_.private_seg_size, 0+max(.L_ZN7rocprim17ROCPRIM_400000_NS6detail26segmented_warp_sort_helperINS1_20WarpSortHelperConfigILj8ELj4ELj256EEEllLi256ELb0EvE4sortIPKlPlS8_S9_EEvT_T0_T1_T2_jjjjRNS5_12storage_typeE.private_seg_size, .L_ZN7rocprim17ROCPRIM_400000_NS6detail40segmented_radix_sort_single_block_helperIllLj256ELj16ELb0EE4sortIPKlPlS6_S7_EEbT_T0_T1_T2_jjjjRNS3_12storage_typeE.private_seg_size)
	.set _ZN7rocprim17ROCPRIM_400000_NS6detail17trampoline_kernelINS0_14default_configENS1_36segmented_radix_sort_config_selectorIllEEZNS1_25segmented_radix_sort_implIS3_Lb0EPKlPlS8_S9_N2at6native12_GLOBAL__N_18offset_tEEE10hipError_tPvRmT1_PNSt15iterator_traitsISH_E10value_typeET2_T3_PNSI_ISN_E10value_typeET4_jRbjT5_ST_jjP12ihipStream_tbEUlT_E2_NS1_11comp_targetILNS1_3genE0ELNS1_11target_archE4294967295ELNS1_3gpuE0ELNS1_3repE0EEENS1_30default_config_static_selectorELNS0_4arch9wavefront6targetE0EEEvSH_.uses_vcc, or(1, .L_ZN7rocprim17ROCPRIM_400000_NS6detail26segmented_warp_sort_helperINS1_20WarpSortHelperConfigILj8ELj4ELj256EEEllLi256ELb0EvE4sortIPKlPlS8_S9_EEvT_T0_T1_T2_jjjjRNS5_12storage_typeE.uses_vcc, .L_ZN7rocprim17ROCPRIM_400000_NS6detail40segmented_radix_sort_single_block_helperIllLj256ELj16ELb0EE4sortIPKlPlS6_S7_EEbT_T0_T1_T2_jjjjRNS3_12storage_typeE.uses_vcc)
	.set _ZN7rocprim17ROCPRIM_400000_NS6detail17trampoline_kernelINS0_14default_configENS1_36segmented_radix_sort_config_selectorIllEEZNS1_25segmented_radix_sort_implIS3_Lb0EPKlPlS8_S9_N2at6native12_GLOBAL__N_18offset_tEEE10hipError_tPvRmT1_PNSt15iterator_traitsISH_E10value_typeET2_T3_PNSI_ISN_E10value_typeET4_jRbjT5_ST_jjP12ihipStream_tbEUlT_E2_NS1_11comp_targetILNS1_3genE0ELNS1_11target_archE4294967295ELNS1_3gpuE0ELNS1_3repE0EEENS1_30default_config_static_selectorELNS0_4arch9wavefront6targetE0EEEvSH_.uses_flat_scratch, or(0, .L_ZN7rocprim17ROCPRIM_400000_NS6detail26segmented_warp_sort_helperINS1_20WarpSortHelperConfigILj8ELj4ELj256EEEllLi256ELb0EvE4sortIPKlPlS8_S9_EEvT_T0_T1_T2_jjjjRNS5_12storage_typeE.uses_flat_scratch, .L_ZN7rocprim17ROCPRIM_400000_NS6detail40segmented_radix_sort_single_block_helperIllLj256ELj16ELb0EE4sortIPKlPlS6_S7_EEbT_T0_T1_T2_jjjjRNS3_12storage_typeE.uses_flat_scratch)
	.set _ZN7rocprim17ROCPRIM_400000_NS6detail17trampoline_kernelINS0_14default_configENS1_36segmented_radix_sort_config_selectorIllEEZNS1_25segmented_radix_sort_implIS3_Lb0EPKlPlS8_S9_N2at6native12_GLOBAL__N_18offset_tEEE10hipError_tPvRmT1_PNSt15iterator_traitsISH_E10value_typeET2_T3_PNSI_ISN_E10value_typeET4_jRbjT5_ST_jjP12ihipStream_tbEUlT_E2_NS1_11comp_targetILNS1_3genE0ELNS1_11target_archE4294967295ELNS1_3gpuE0ELNS1_3repE0EEENS1_30default_config_static_selectorELNS0_4arch9wavefront6targetE0EEEvSH_.has_dyn_sized_stack, or(0, .L_ZN7rocprim17ROCPRIM_400000_NS6detail26segmented_warp_sort_helperINS1_20WarpSortHelperConfigILj8ELj4ELj256EEEllLi256ELb0EvE4sortIPKlPlS8_S9_EEvT_T0_T1_T2_jjjjRNS5_12storage_typeE.has_dyn_sized_stack, .L_ZN7rocprim17ROCPRIM_400000_NS6detail40segmented_radix_sort_single_block_helperIllLj256ELj16ELb0EE4sortIPKlPlS6_S7_EEbT_T0_T1_T2_jjjjRNS3_12storage_typeE.has_dyn_sized_stack)
	.set _ZN7rocprim17ROCPRIM_400000_NS6detail17trampoline_kernelINS0_14default_configENS1_36segmented_radix_sort_config_selectorIllEEZNS1_25segmented_radix_sort_implIS3_Lb0EPKlPlS8_S9_N2at6native12_GLOBAL__N_18offset_tEEE10hipError_tPvRmT1_PNSt15iterator_traitsISH_E10value_typeET2_T3_PNSI_ISN_E10value_typeET4_jRbjT5_ST_jjP12ihipStream_tbEUlT_E2_NS1_11comp_targetILNS1_3genE0ELNS1_11target_archE4294967295ELNS1_3gpuE0ELNS1_3repE0EEENS1_30default_config_static_selectorELNS0_4arch9wavefront6targetE0EEEvSH_.has_recursion, or(0, .L_ZN7rocprim17ROCPRIM_400000_NS6detail26segmented_warp_sort_helperINS1_20WarpSortHelperConfigILj8ELj4ELj256EEEllLi256ELb0EvE4sortIPKlPlS8_S9_EEvT_T0_T1_T2_jjjjRNS5_12storage_typeE.has_recursion, .L_ZN7rocprim17ROCPRIM_400000_NS6detail40segmented_radix_sort_single_block_helperIllLj256ELj16ELb0EE4sortIPKlPlS6_S7_EEbT_T0_T1_T2_jjjjRNS3_12storage_typeE.has_recursion)
	.set _ZN7rocprim17ROCPRIM_400000_NS6detail17trampoline_kernelINS0_14default_configENS1_36segmented_radix_sort_config_selectorIllEEZNS1_25segmented_radix_sort_implIS3_Lb0EPKlPlS8_S9_N2at6native12_GLOBAL__N_18offset_tEEE10hipError_tPvRmT1_PNSt15iterator_traitsISH_E10value_typeET2_T3_PNSI_ISN_E10value_typeET4_jRbjT5_ST_jjP12ihipStream_tbEUlT_E2_NS1_11comp_targetILNS1_3genE0ELNS1_11target_archE4294967295ELNS1_3gpuE0ELNS1_3repE0EEENS1_30default_config_static_selectorELNS0_4arch9wavefront6targetE0EEEvSH_.has_indirect_call, or(0, .L_ZN7rocprim17ROCPRIM_400000_NS6detail26segmented_warp_sort_helperINS1_20WarpSortHelperConfigILj8ELj4ELj256EEEllLi256ELb0EvE4sortIPKlPlS8_S9_EEvT_T0_T1_T2_jjjjRNS5_12storage_typeE.has_indirect_call, .L_ZN7rocprim17ROCPRIM_400000_NS6detail40segmented_radix_sort_single_block_helperIllLj256ELj16ELb0EE4sortIPKlPlS6_S7_EEbT_T0_T1_T2_jjjjRNS3_12storage_typeE.has_indirect_call)
	.section	.AMDGPU.csdata,"",@progbits
; Kernel info:
; codeLenInByte = 69972
; TotalNumSgprs: 62
; NumVgprs: 319
; ScratchSize: 0
; MemoryBound: 0
; FloatMode: 240
; IeeeMode: 1
; LDSByteSize: 33824 bytes/workgroup (compile time only)
; SGPRBlocks: 0
; VGPRBlocks: 19
; NumSGPRsForWavesPerEU: 62
; NumVGPRsForWavesPerEU: 319
; NamedBarCnt: 0
; Occupancy: 3
; WaveLimiterHint : 1
; COMPUTE_PGM_RSRC2:SCRATCH_EN: 0
; COMPUTE_PGM_RSRC2:USER_SGPR: 4
; COMPUTE_PGM_RSRC2:TRAP_HANDLER: 0
; COMPUTE_PGM_RSRC2:TGID_X_EN: 1
; COMPUTE_PGM_RSRC2:TGID_Y_EN: 1
; COMPUTE_PGM_RSRC2:TGID_Z_EN: 0
; COMPUTE_PGM_RSRC2:TIDIG_COMP_CNT: 2
	.section	.text._ZN7rocprim17ROCPRIM_400000_NS6detail17trampoline_kernelINS0_14default_configENS1_36segmented_radix_sort_config_selectorIllEEZNS1_25segmented_radix_sort_implIS3_Lb0EPKlPlS8_S9_N2at6native12_GLOBAL__N_18offset_tEEE10hipError_tPvRmT1_PNSt15iterator_traitsISH_E10value_typeET2_T3_PNSI_ISN_E10value_typeET4_jRbjT5_ST_jjP12ihipStream_tbEUlT_E2_NS1_11comp_targetILNS1_3genE5ELNS1_11target_archE942ELNS1_3gpuE9ELNS1_3repE0EEENS1_30default_config_static_selectorELNS0_4arch9wavefront6targetE0EEEvSH_,"axG",@progbits,_ZN7rocprim17ROCPRIM_400000_NS6detail17trampoline_kernelINS0_14default_configENS1_36segmented_radix_sort_config_selectorIllEEZNS1_25segmented_radix_sort_implIS3_Lb0EPKlPlS8_S9_N2at6native12_GLOBAL__N_18offset_tEEE10hipError_tPvRmT1_PNSt15iterator_traitsISH_E10value_typeET2_T3_PNSI_ISN_E10value_typeET4_jRbjT5_ST_jjP12ihipStream_tbEUlT_E2_NS1_11comp_targetILNS1_3genE5ELNS1_11target_archE942ELNS1_3gpuE9ELNS1_3repE0EEENS1_30default_config_static_selectorELNS0_4arch9wavefront6targetE0EEEvSH_,comdat
	.globl	_ZN7rocprim17ROCPRIM_400000_NS6detail17trampoline_kernelINS0_14default_configENS1_36segmented_radix_sort_config_selectorIllEEZNS1_25segmented_radix_sort_implIS3_Lb0EPKlPlS8_S9_N2at6native12_GLOBAL__N_18offset_tEEE10hipError_tPvRmT1_PNSt15iterator_traitsISH_E10value_typeET2_T3_PNSI_ISN_E10value_typeET4_jRbjT5_ST_jjP12ihipStream_tbEUlT_E2_NS1_11comp_targetILNS1_3genE5ELNS1_11target_archE942ELNS1_3gpuE9ELNS1_3repE0EEENS1_30default_config_static_selectorELNS0_4arch9wavefront6targetE0EEEvSH_ ; -- Begin function _ZN7rocprim17ROCPRIM_400000_NS6detail17trampoline_kernelINS0_14default_configENS1_36segmented_radix_sort_config_selectorIllEEZNS1_25segmented_radix_sort_implIS3_Lb0EPKlPlS8_S9_N2at6native12_GLOBAL__N_18offset_tEEE10hipError_tPvRmT1_PNSt15iterator_traitsISH_E10value_typeET2_T3_PNSI_ISN_E10value_typeET4_jRbjT5_ST_jjP12ihipStream_tbEUlT_E2_NS1_11comp_targetILNS1_3genE5ELNS1_11target_archE942ELNS1_3gpuE9ELNS1_3repE0EEENS1_30default_config_static_selectorELNS0_4arch9wavefront6targetE0EEEvSH_
	.p2align	8
	.type	_ZN7rocprim17ROCPRIM_400000_NS6detail17trampoline_kernelINS0_14default_configENS1_36segmented_radix_sort_config_selectorIllEEZNS1_25segmented_radix_sort_implIS3_Lb0EPKlPlS8_S9_N2at6native12_GLOBAL__N_18offset_tEEE10hipError_tPvRmT1_PNSt15iterator_traitsISH_E10value_typeET2_T3_PNSI_ISN_E10value_typeET4_jRbjT5_ST_jjP12ihipStream_tbEUlT_E2_NS1_11comp_targetILNS1_3genE5ELNS1_11target_archE942ELNS1_3gpuE9ELNS1_3repE0EEENS1_30default_config_static_selectorELNS0_4arch9wavefront6targetE0EEEvSH_,@function
_ZN7rocprim17ROCPRIM_400000_NS6detail17trampoline_kernelINS0_14default_configENS1_36segmented_radix_sort_config_selectorIllEEZNS1_25segmented_radix_sort_implIS3_Lb0EPKlPlS8_S9_N2at6native12_GLOBAL__N_18offset_tEEE10hipError_tPvRmT1_PNSt15iterator_traitsISH_E10value_typeET2_T3_PNSI_ISN_E10value_typeET4_jRbjT5_ST_jjP12ihipStream_tbEUlT_E2_NS1_11comp_targetILNS1_3genE5ELNS1_11target_archE942ELNS1_3gpuE9ELNS1_3repE0EEENS1_30default_config_static_selectorELNS0_4arch9wavefront6targetE0EEEvSH_: ; @_ZN7rocprim17ROCPRIM_400000_NS6detail17trampoline_kernelINS0_14default_configENS1_36segmented_radix_sort_config_selectorIllEEZNS1_25segmented_radix_sort_implIS3_Lb0EPKlPlS8_S9_N2at6native12_GLOBAL__N_18offset_tEEE10hipError_tPvRmT1_PNSt15iterator_traitsISH_E10value_typeET2_T3_PNSI_ISN_E10value_typeET4_jRbjT5_ST_jjP12ihipStream_tbEUlT_E2_NS1_11comp_targetILNS1_3genE5ELNS1_11target_archE942ELNS1_3gpuE9ELNS1_3repE0EEENS1_30default_config_static_selectorELNS0_4arch9wavefront6targetE0EEEvSH_
; %bb.0:
	.section	.rodata,"a",@progbits
	.p2align	6, 0x0
	.amdhsa_kernel _ZN7rocprim17ROCPRIM_400000_NS6detail17trampoline_kernelINS0_14default_configENS1_36segmented_radix_sort_config_selectorIllEEZNS1_25segmented_radix_sort_implIS3_Lb0EPKlPlS8_S9_N2at6native12_GLOBAL__N_18offset_tEEE10hipError_tPvRmT1_PNSt15iterator_traitsISH_E10value_typeET2_T3_PNSI_ISN_E10value_typeET4_jRbjT5_ST_jjP12ihipStream_tbEUlT_E2_NS1_11comp_targetILNS1_3genE5ELNS1_11target_archE942ELNS1_3gpuE9ELNS1_3repE0EEENS1_30default_config_static_selectorELNS0_4arch9wavefront6targetE0EEEvSH_
		.amdhsa_group_segment_fixed_size 0
		.amdhsa_private_segment_fixed_size 0
		.amdhsa_kernarg_size 80
		.amdhsa_user_sgpr_count 2
		.amdhsa_user_sgpr_dispatch_ptr 0
		.amdhsa_user_sgpr_queue_ptr 0
		.amdhsa_user_sgpr_kernarg_segment_ptr 1
		.amdhsa_user_sgpr_dispatch_id 0
		.amdhsa_user_sgpr_kernarg_preload_length 0
		.amdhsa_user_sgpr_kernarg_preload_offset 0
		.amdhsa_user_sgpr_private_segment_size 0
		.amdhsa_wavefront_size32 1
		.amdhsa_uses_dynamic_stack 0
		.amdhsa_enable_private_segment 0
		.amdhsa_system_sgpr_workgroup_id_x 1
		.amdhsa_system_sgpr_workgroup_id_y 0
		.amdhsa_system_sgpr_workgroup_id_z 0
		.amdhsa_system_sgpr_workgroup_info 0
		.amdhsa_system_vgpr_workitem_id 0
		.amdhsa_next_free_vgpr 1
		.amdhsa_next_free_sgpr 1
		.amdhsa_named_barrier_count 0
		.amdhsa_reserve_vcc 0
		.amdhsa_float_round_mode_32 0
		.amdhsa_float_round_mode_16_64 0
		.amdhsa_float_denorm_mode_32 3
		.amdhsa_float_denorm_mode_16_64 3
		.amdhsa_fp16_overflow 0
		.amdhsa_memory_ordered 1
		.amdhsa_forward_progress 1
		.amdhsa_inst_pref_size 0
		.amdhsa_round_robin_scheduling 0
		.amdhsa_exception_fp_ieee_invalid_op 0
		.amdhsa_exception_fp_denorm_src 0
		.amdhsa_exception_fp_ieee_div_zero 0
		.amdhsa_exception_fp_ieee_overflow 0
		.amdhsa_exception_fp_ieee_underflow 0
		.amdhsa_exception_fp_ieee_inexact 0
		.amdhsa_exception_int_div_zero 0
	.end_amdhsa_kernel
	.section	.text._ZN7rocprim17ROCPRIM_400000_NS6detail17trampoline_kernelINS0_14default_configENS1_36segmented_radix_sort_config_selectorIllEEZNS1_25segmented_radix_sort_implIS3_Lb0EPKlPlS8_S9_N2at6native12_GLOBAL__N_18offset_tEEE10hipError_tPvRmT1_PNSt15iterator_traitsISH_E10value_typeET2_T3_PNSI_ISN_E10value_typeET4_jRbjT5_ST_jjP12ihipStream_tbEUlT_E2_NS1_11comp_targetILNS1_3genE5ELNS1_11target_archE942ELNS1_3gpuE9ELNS1_3repE0EEENS1_30default_config_static_selectorELNS0_4arch9wavefront6targetE0EEEvSH_,"axG",@progbits,_ZN7rocprim17ROCPRIM_400000_NS6detail17trampoline_kernelINS0_14default_configENS1_36segmented_radix_sort_config_selectorIllEEZNS1_25segmented_radix_sort_implIS3_Lb0EPKlPlS8_S9_N2at6native12_GLOBAL__N_18offset_tEEE10hipError_tPvRmT1_PNSt15iterator_traitsISH_E10value_typeET2_T3_PNSI_ISN_E10value_typeET4_jRbjT5_ST_jjP12ihipStream_tbEUlT_E2_NS1_11comp_targetILNS1_3genE5ELNS1_11target_archE942ELNS1_3gpuE9ELNS1_3repE0EEENS1_30default_config_static_selectorELNS0_4arch9wavefront6targetE0EEEvSH_,comdat
.Lfunc_end834:
	.size	_ZN7rocprim17ROCPRIM_400000_NS6detail17trampoline_kernelINS0_14default_configENS1_36segmented_radix_sort_config_selectorIllEEZNS1_25segmented_radix_sort_implIS3_Lb0EPKlPlS8_S9_N2at6native12_GLOBAL__N_18offset_tEEE10hipError_tPvRmT1_PNSt15iterator_traitsISH_E10value_typeET2_T3_PNSI_ISN_E10value_typeET4_jRbjT5_ST_jjP12ihipStream_tbEUlT_E2_NS1_11comp_targetILNS1_3genE5ELNS1_11target_archE942ELNS1_3gpuE9ELNS1_3repE0EEENS1_30default_config_static_selectorELNS0_4arch9wavefront6targetE0EEEvSH_, .Lfunc_end834-_ZN7rocprim17ROCPRIM_400000_NS6detail17trampoline_kernelINS0_14default_configENS1_36segmented_radix_sort_config_selectorIllEEZNS1_25segmented_radix_sort_implIS3_Lb0EPKlPlS8_S9_N2at6native12_GLOBAL__N_18offset_tEEE10hipError_tPvRmT1_PNSt15iterator_traitsISH_E10value_typeET2_T3_PNSI_ISN_E10value_typeET4_jRbjT5_ST_jjP12ihipStream_tbEUlT_E2_NS1_11comp_targetILNS1_3genE5ELNS1_11target_archE942ELNS1_3gpuE9ELNS1_3repE0EEENS1_30default_config_static_selectorELNS0_4arch9wavefront6targetE0EEEvSH_
                                        ; -- End function
	.set _ZN7rocprim17ROCPRIM_400000_NS6detail17trampoline_kernelINS0_14default_configENS1_36segmented_radix_sort_config_selectorIllEEZNS1_25segmented_radix_sort_implIS3_Lb0EPKlPlS8_S9_N2at6native12_GLOBAL__N_18offset_tEEE10hipError_tPvRmT1_PNSt15iterator_traitsISH_E10value_typeET2_T3_PNSI_ISN_E10value_typeET4_jRbjT5_ST_jjP12ihipStream_tbEUlT_E2_NS1_11comp_targetILNS1_3genE5ELNS1_11target_archE942ELNS1_3gpuE9ELNS1_3repE0EEENS1_30default_config_static_selectorELNS0_4arch9wavefront6targetE0EEEvSH_.num_vgpr, 0
	.set _ZN7rocprim17ROCPRIM_400000_NS6detail17trampoline_kernelINS0_14default_configENS1_36segmented_radix_sort_config_selectorIllEEZNS1_25segmented_radix_sort_implIS3_Lb0EPKlPlS8_S9_N2at6native12_GLOBAL__N_18offset_tEEE10hipError_tPvRmT1_PNSt15iterator_traitsISH_E10value_typeET2_T3_PNSI_ISN_E10value_typeET4_jRbjT5_ST_jjP12ihipStream_tbEUlT_E2_NS1_11comp_targetILNS1_3genE5ELNS1_11target_archE942ELNS1_3gpuE9ELNS1_3repE0EEENS1_30default_config_static_selectorELNS0_4arch9wavefront6targetE0EEEvSH_.num_agpr, 0
	.set _ZN7rocprim17ROCPRIM_400000_NS6detail17trampoline_kernelINS0_14default_configENS1_36segmented_radix_sort_config_selectorIllEEZNS1_25segmented_radix_sort_implIS3_Lb0EPKlPlS8_S9_N2at6native12_GLOBAL__N_18offset_tEEE10hipError_tPvRmT1_PNSt15iterator_traitsISH_E10value_typeET2_T3_PNSI_ISN_E10value_typeET4_jRbjT5_ST_jjP12ihipStream_tbEUlT_E2_NS1_11comp_targetILNS1_3genE5ELNS1_11target_archE942ELNS1_3gpuE9ELNS1_3repE0EEENS1_30default_config_static_selectorELNS0_4arch9wavefront6targetE0EEEvSH_.numbered_sgpr, 0
	.set _ZN7rocprim17ROCPRIM_400000_NS6detail17trampoline_kernelINS0_14default_configENS1_36segmented_radix_sort_config_selectorIllEEZNS1_25segmented_radix_sort_implIS3_Lb0EPKlPlS8_S9_N2at6native12_GLOBAL__N_18offset_tEEE10hipError_tPvRmT1_PNSt15iterator_traitsISH_E10value_typeET2_T3_PNSI_ISN_E10value_typeET4_jRbjT5_ST_jjP12ihipStream_tbEUlT_E2_NS1_11comp_targetILNS1_3genE5ELNS1_11target_archE942ELNS1_3gpuE9ELNS1_3repE0EEENS1_30default_config_static_selectorELNS0_4arch9wavefront6targetE0EEEvSH_.num_named_barrier, 0
	.set _ZN7rocprim17ROCPRIM_400000_NS6detail17trampoline_kernelINS0_14default_configENS1_36segmented_radix_sort_config_selectorIllEEZNS1_25segmented_radix_sort_implIS3_Lb0EPKlPlS8_S9_N2at6native12_GLOBAL__N_18offset_tEEE10hipError_tPvRmT1_PNSt15iterator_traitsISH_E10value_typeET2_T3_PNSI_ISN_E10value_typeET4_jRbjT5_ST_jjP12ihipStream_tbEUlT_E2_NS1_11comp_targetILNS1_3genE5ELNS1_11target_archE942ELNS1_3gpuE9ELNS1_3repE0EEENS1_30default_config_static_selectorELNS0_4arch9wavefront6targetE0EEEvSH_.private_seg_size, 0
	.set _ZN7rocprim17ROCPRIM_400000_NS6detail17trampoline_kernelINS0_14default_configENS1_36segmented_radix_sort_config_selectorIllEEZNS1_25segmented_radix_sort_implIS3_Lb0EPKlPlS8_S9_N2at6native12_GLOBAL__N_18offset_tEEE10hipError_tPvRmT1_PNSt15iterator_traitsISH_E10value_typeET2_T3_PNSI_ISN_E10value_typeET4_jRbjT5_ST_jjP12ihipStream_tbEUlT_E2_NS1_11comp_targetILNS1_3genE5ELNS1_11target_archE942ELNS1_3gpuE9ELNS1_3repE0EEENS1_30default_config_static_selectorELNS0_4arch9wavefront6targetE0EEEvSH_.uses_vcc, 0
	.set _ZN7rocprim17ROCPRIM_400000_NS6detail17trampoline_kernelINS0_14default_configENS1_36segmented_radix_sort_config_selectorIllEEZNS1_25segmented_radix_sort_implIS3_Lb0EPKlPlS8_S9_N2at6native12_GLOBAL__N_18offset_tEEE10hipError_tPvRmT1_PNSt15iterator_traitsISH_E10value_typeET2_T3_PNSI_ISN_E10value_typeET4_jRbjT5_ST_jjP12ihipStream_tbEUlT_E2_NS1_11comp_targetILNS1_3genE5ELNS1_11target_archE942ELNS1_3gpuE9ELNS1_3repE0EEENS1_30default_config_static_selectorELNS0_4arch9wavefront6targetE0EEEvSH_.uses_flat_scratch, 0
	.set _ZN7rocprim17ROCPRIM_400000_NS6detail17trampoline_kernelINS0_14default_configENS1_36segmented_radix_sort_config_selectorIllEEZNS1_25segmented_radix_sort_implIS3_Lb0EPKlPlS8_S9_N2at6native12_GLOBAL__N_18offset_tEEE10hipError_tPvRmT1_PNSt15iterator_traitsISH_E10value_typeET2_T3_PNSI_ISN_E10value_typeET4_jRbjT5_ST_jjP12ihipStream_tbEUlT_E2_NS1_11comp_targetILNS1_3genE5ELNS1_11target_archE942ELNS1_3gpuE9ELNS1_3repE0EEENS1_30default_config_static_selectorELNS0_4arch9wavefront6targetE0EEEvSH_.has_dyn_sized_stack, 0
	.set _ZN7rocprim17ROCPRIM_400000_NS6detail17trampoline_kernelINS0_14default_configENS1_36segmented_radix_sort_config_selectorIllEEZNS1_25segmented_radix_sort_implIS3_Lb0EPKlPlS8_S9_N2at6native12_GLOBAL__N_18offset_tEEE10hipError_tPvRmT1_PNSt15iterator_traitsISH_E10value_typeET2_T3_PNSI_ISN_E10value_typeET4_jRbjT5_ST_jjP12ihipStream_tbEUlT_E2_NS1_11comp_targetILNS1_3genE5ELNS1_11target_archE942ELNS1_3gpuE9ELNS1_3repE0EEENS1_30default_config_static_selectorELNS0_4arch9wavefront6targetE0EEEvSH_.has_recursion, 0
	.set _ZN7rocprim17ROCPRIM_400000_NS6detail17trampoline_kernelINS0_14default_configENS1_36segmented_radix_sort_config_selectorIllEEZNS1_25segmented_radix_sort_implIS3_Lb0EPKlPlS8_S9_N2at6native12_GLOBAL__N_18offset_tEEE10hipError_tPvRmT1_PNSt15iterator_traitsISH_E10value_typeET2_T3_PNSI_ISN_E10value_typeET4_jRbjT5_ST_jjP12ihipStream_tbEUlT_E2_NS1_11comp_targetILNS1_3genE5ELNS1_11target_archE942ELNS1_3gpuE9ELNS1_3repE0EEENS1_30default_config_static_selectorELNS0_4arch9wavefront6targetE0EEEvSH_.has_indirect_call, 0
	.section	.AMDGPU.csdata,"",@progbits
; Kernel info:
; codeLenInByte = 0
; TotalNumSgprs: 0
; NumVgprs: 0
; ScratchSize: 0
; MemoryBound: 0
; FloatMode: 240
; IeeeMode: 1
; LDSByteSize: 0 bytes/workgroup (compile time only)
; SGPRBlocks: 0
; VGPRBlocks: 0
; NumSGPRsForWavesPerEU: 1
; NumVGPRsForWavesPerEU: 1
; NamedBarCnt: 0
; Occupancy: 16
; WaveLimiterHint : 0
; COMPUTE_PGM_RSRC2:SCRATCH_EN: 0
; COMPUTE_PGM_RSRC2:USER_SGPR: 2
; COMPUTE_PGM_RSRC2:TRAP_HANDLER: 0
; COMPUTE_PGM_RSRC2:TGID_X_EN: 1
; COMPUTE_PGM_RSRC2:TGID_Y_EN: 0
; COMPUTE_PGM_RSRC2:TGID_Z_EN: 0
; COMPUTE_PGM_RSRC2:TIDIG_COMP_CNT: 0
	.section	.text._ZN7rocprim17ROCPRIM_400000_NS6detail17trampoline_kernelINS0_14default_configENS1_36segmented_radix_sort_config_selectorIllEEZNS1_25segmented_radix_sort_implIS3_Lb0EPKlPlS8_S9_N2at6native12_GLOBAL__N_18offset_tEEE10hipError_tPvRmT1_PNSt15iterator_traitsISH_E10value_typeET2_T3_PNSI_ISN_E10value_typeET4_jRbjT5_ST_jjP12ihipStream_tbEUlT_E2_NS1_11comp_targetILNS1_3genE4ELNS1_11target_archE910ELNS1_3gpuE8ELNS1_3repE0EEENS1_30default_config_static_selectorELNS0_4arch9wavefront6targetE0EEEvSH_,"axG",@progbits,_ZN7rocprim17ROCPRIM_400000_NS6detail17trampoline_kernelINS0_14default_configENS1_36segmented_radix_sort_config_selectorIllEEZNS1_25segmented_radix_sort_implIS3_Lb0EPKlPlS8_S9_N2at6native12_GLOBAL__N_18offset_tEEE10hipError_tPvRmT1_PNSt15iterator_traitsISH_E10value_typeET2_T3_PNSI_ISN_E10value_typeET4_jRbjT5_ST_jjP12ihipStream_tbEUlT_E2_NS1_11comp_targetILNS1_3genE4ELNS1_11target_archE910ELNS1_3gpuE8ELNS1_3repE0EEENS1_30default_config_static_selectorELNS0_4arch9wavefront6targetE0EEEvSH_,comdat
	.globl	_ZN7rocprim17ROCPRIM_400000_NS6detail17trampoline_kernelINS0_14default_configENS1_36segmented_radix_sort_config_selectorIllEEZNS1_25segmented_radix_sort_implIS3_Lb0EPKlPlS8_S9_N2at6native12_GLOBAL__N_18offset_tEEE10hipError_tPvRmT1_PNSt15iterator_traitsISH_E10value_typeET2_T3_PNSI_ISN_E10value_typeET4_jRbjT5_ST_jjP12ihipStream_tbEUlT_E2_NS1_11comp_targetILNS1_3genE4ELNS1_11target_archE910ELNS1_3gpuE8ELNS1_3repE0EEENS1_30default_config_static_selectorELNS0_4arch9wavefront6targetE0EEEvSH_ ; -- Begin function _ZN7rocprim17ROCPRIM_400000_NS6detail17trampoline_kernelINS0_14default_configENS1_36segmented_radix_sort_config_selectorIllEEZNS1_25segmented_radix_sort_implIS3_Lb0EPKlPlS8_S9_N2at6native12_GLOBAL__N_18offset_tEEE10hipError_tPvRmT1_PNSt15iterator_traitsISH_E10value_typeET2_T3_PNSI_ISN_E10value_typeET4_jRbjT5_ST_jjP12ihipStream_tbEUlT_E2_NS1_11comp_targetILNS1_3genE4ELNS1_11target_archE910ELNS1_3gpuE8ELNS1_3repE0EEENS1_30default_config_static_selectorELNS0_4arch9wavefront6targetE0EEEvSH_
	.p2align	8
	.type	_ZN7rocprim17ROCPRIM_400000_NS6detail17trampoline_kernelINS0_14default_configENS1_36segmented_radix_sort_config_selectorIllEEZNS1_25segmented_radix_sort_implIS3_Lb0EPKlPlS8_S9_N2at6native12_GLOBAL__N_18offset_tEEE10hipError_tPvRmT1_PNSt15iterator_traitsISH_E10value_typeET2_T3_PNSI_ISN_E10value_typeET4_jRbjT5_ST_jjP12ihipStream_tbEUlT_E2_NS1_11comp_targetILNS1_3genE4ELNS1_11target_archE910ELNS1_3gpuE8ELNS1_3repE0EEENS1_30default_config_static_selectorELNS0_4arch9wavefront6targetE0EEEvSH_,@function
_ZN7rocprim17ROCPRIM_400000_NS6detail17trampoline_kernelINS0_14default_configENS1_36segmented_radix_sort_config_selectorIllEEZNS1_25segmented_radix_sort_implIS3_Lb0EPKlPlS8_S9_N2at6native12_GLOBAL__N_18offset_tEEE10hipError_tPvRmT1_PNSt15iterator_traitsISH_E10value_typeET2_T3_PNSI_ISN_E10value_typeET4_jRbjT5_ST_jjP12ihipStream_tbEUlT_E2_NS1_11comp_targetILNS1_3genE4ELNS1_11target_archE910ELNS1_3gpuE8ELNS1_3repE0EEENS1_30default_config_static_selectorELNS0_4arch9wavefront6targetE0EEEvSH_: ; @_ZN7rocprim17ROCPRIM_400000_NS6detail17trampoline_kernelINS0_14default_configENS1_36segmented_radix_sort_config_selectorIllEEZNS1_25segmented_radix_sort_implIS3_Lb0EPKlPlS8_S9_N2at6native12_GLOBAL__N_18offset_tEEE10hipError_tPvRmT1_PNSt15iterator_traitsISH_E10value_typeET2_T3_PNSI_ISN_E10value_typeET4_jRbjT5_ST_jjP12ihipStream_tbEUlT_E2_NS1_11comp_targetILNS1_3genE4ELNS1_11target_archE910ELNS1_3gpuE8ELNS1_3repE0EEENS1_30default_config_static_selectorELNS0_4arch9wavefront6targetE0EEEvSH_
; %bb.0:
	.section	.rodata,"a",@progbits
	.p2align	6, 0x0
	.amdhsa_kernel _ZN7rocprim17ROCPRIM_400000_NS6detail17trampoline_kernelINS0_14default_configENS1_36segmented_radix_sort_config_selectorIllEEZNS1_25segmented_radix_sort_implIS3_Lb0EPKlPlS8_S9_N2at6native12_GLOBAL__N_18offset_tEEE10hipError_tPvRmT1_PNSt15iterator_traitsISH_E10value_typeET2_T3_PNSI_ISN_E10value_typeET4_jRbjT5_ST_jjP12ihipStream_tbEUlT_E2_NS1_11comp_targetILNS1_3genE4ELNS1_11target_archE910ELNS1_3gpuE8ELNS1_3repE0EEENS1_30default_config_static_selectorELNS0_4arch9wavefront6targetE0EEEvSH_
		.amdhsa_group_segment_fixed_size 0
		.amdhsa_private_segment_fixed_size 0
		.amdhsa_kernarg_size 80
		.amdhsa_user_sgpr_count 2
		.amdhsa_user_sgpr_dispatch_ptr 0
		.amdhsa_user_sgpr_queue_ptr 0
		.amdhsa_user_sgpr_kernarg_segment_ptr 1
		.amdhsa_user_sgpr_dispatch_id 0
		.amdhsa_user_sgpr_kernarg_preload_length 0
		.amdhsa_user_sgpr_kernarg_preload_offset 0
		.amdhsa_user_sgpr_private_segment_size 0
		.amdhsa_wavefront_size32 1
		.amdhsa_uses_dynamic_stack 0
		.amdhsa_enable_private_segment 0
		.amdhsa_system_sgpr_workgroup_id_x 1
		.amdhsa_system_sgpr_workgroup_id_y 0
		.amdhsa_system_sgpr_workgroup_id_z 0
		.amdhsa_system_sgpr_workgroup_info 0
		.amdhsa_system_vgpr_workitem_id 0
		.amdhsa_next_free_vgpr 1
		.amdhsa_next_free_sgpr 1
		.amdhsa_named_barrier_count 0
		.amdhsa_reserve_vcc 0
		.amdhsa_float_round_mode_32 0
		.amdhsa_float_round_mode_16_64 0
		.amdhsa_float_denorm_mode_32 3
		.amdhsa_float_denorm_mode_16_64 3
		.amdhsa_fp16_overflow 0
		.amdhsa_memory_ordered 1
		.amdhsa_forward_progress 1
		.amdhsa_inst_pref_size 0
		.amdhsa_round_robin_scheduling 0
		.amdhsa_exception_fp_ieee_invalid_op 0
		.amdhsa_exception_fp_denorm_src 0
		.amdhsa_exception_fp_ieee_div_zero 0
		.amdhsa_exception_fp_ieee_overflow 0
		.amdhsa_exception_fp_ieee_underflow 0
		.amdhsa_exception_fp_ieee_inexact 0
		.amdhsa_exception_int_div_zero 0
	.end_amdhsa_kernel
	.section	.text._ZN7rocprim17ROCPRIM_400000_NS6detail17trampoline_kernelINS0_14default_configENS1_36segmented_radix_sort_config_selectorIllEEZNS1_25segmented_radix_sort_implIS3_Lb0EPKlPlS8_S9_N2at6native12_GLOBAL__N_18offset_tEEE10hipError_tPvRmT1_PNSt15iterator_traitsISH_E10value_typeET2_T3_PNSI_ISN_E10value_typeET4_jRbjT5_ST_jjP12ihipStream_tbEUlT_E2_NS1_11comp_targetILNS1_3genE4ELNS1_11target_archE910ELNS1_3gpuE8ELNS1_3repE0EEENS1_30default_config_static_selectorELNS0_4arch9wavefront6targetE0EEEvSH_,"axG",@progbits,_ZN7rocprim17ROCPRIM_400000_NS6detail17trampoline_kernelINS0_14default_configENS1_36segmented_radix_sort_config_selectorIllEEZNS1_25segmented_radix_sort_implIS3_Lb0EPKlPlS8_S9_N2at6native12_GLOBAL__N_18offset_tEEE10hipError_tPvRmT1_PNSt15iterator_traitsISH_E10value_typeET2_T3_PNSI_ISN_E10value_typeET4_jRbjT5_ST_jjP12ihipStream_tbEUlT_E2_NS1_11comp_targetILNS1_3genE4ELNS1_11target_archE910ELNS1_3gpuE8ELNS1_3repE0EEENS1_30default_config_static_selectorELNS0_4arch9wavefront6targetE0EEEvSH_,comdat
.Lfunc_end835:
	.size	_ZN7rocprim17ROCPRIM_400000_NS6detail17trampoline_kernelINS0_14default_configENS1_36segmented_radix_sort_config_selectorIllEEZNS1_25segmented_radix_sort_implIS3_Lb0EPKlPlS8_S9_N2at6native12_GLOBAL__N_18offset_tEEE10hipError_tPvRmT1_PNSt15iterator_traitsISH_E10value_typeET2_T3_PNSI_ISN_E10value_typeET4_jRbjT5_ST_jjP12ihipStream_tbEUlT_E2_NS1_11comp_targetILNS1_3genE4ELNS1_11target_archE910ELNS1_3gpuE8ELNS1_3repE0EEENS1_30default_config_static_selectorELNS0_4arch9wavefront6targetE0EEEvSH_, .Lfunc_end835-_ZN7rocprim17ROCPRIM_400000_NS6detail17trampoline_kernelINS0_14default_configENS1_36segmented_radix_sort_config_selectorIllEEZNS1_25segmented_radix_sort_implIS3_Lb0EPKlPlS8_S9_N2at6native12_GLOBAL__N_18offset_tEEE10hipError_tPvRmT1_PNSt15iterator_traitsISH_E10value_typeET2_T3_PNSI_ISN_E10value_typeET4_jRbjT5_ST_jjP12ihipStream_tbEUlT_E2_NS1_11comp_targetILNS1_3genE4ELNS1_11target_archE910ELNS1_3gpuE8ELNS1_3repE0EEENS1_30default_config_static_selectorELNS0_4arch9wavefront6targetE0EEEvSH_
                                        ; -- End function
	.set _ZN7rocprim17ROCPRIM_400000_NS6detail17trampoline_kernelINS0_14default_configENS1_36segmented_radix_sort_config_selectorIllEEZNS1_25segmented_radix_sort_implIS3_Lb0EPKlPlS8_S9_N2at6native12_GLOBAL__N_18offset_tEEE10hipError_tPvRmT1_PNSt15iterator_traitsISH_E10value_typeET2_T3_PNSI_ISN_E10value_typeET4_jRbjT5_ST_jjP12ihipStream_tbEUlT_E2_NS1_11comp_targetILNS1_3genE4ELNS1_11target_archE910ELNS1_3gpuE8ELNS1_3repE0EEENS1_30default_config_static_selectorELNS0_4arch9wavefront6targetE0EEEvSH_.num_vgpr, 0
	.set _ZN7rocprim17ROCPRIM_400000_NS6detail17trampoline_kernelINS0_14default_configENS1_36segmented_radix_sort_config_selectorIllEEZNS1_25segmented_radix_sort_implIS3_Lb0EPKlPlS8_S9_N2at6native12_GLOBAL__N_18offset_tEEE10hipError_tPvRmT1_PNSt15iterator_traitsISH_E10value_typeET2_T3_PNSI_ISN_E10value_typeET4_jRbjT5_ST_jjP12ihipStream_tbEUlT_E2_NS1_11comp_targetILNS1_3genE4ELNS1_11target_archE910ELNS1_3gpuE8ELNS1_3repE0EEENS1_30default_config_static_selectorELNS0_4arch9wavefront6targetE0EEEvSH_.num_agpr, 0
	.set _ZN7rocprim17ROCPRIM_400000_NS6detail17trampoline_kernelINS0_14default_configENS1_36segmented_radix_sort_config_selectorIllEEZNS1_25segmented_radix_sort_implIS3_Lb0EPKlPlS8_S9_N2at6native12_GLOBAL__N_18offset_tEEE10hipError_tPvRmT1_PNSt15iterator_traitsISH_E10value_typeET2_T3_PNSI_ISN_E10value_typeET4_jRbjT5_ST_jjP12ihipStream_tbEUlT_E2_NS1_11comp_targetILNS1_3genE4ELNS1_11target_archE910ELNS1_3gpuE8ELNS1_3repE0EEENS1_30default_config_static_selectorELNS0_4arch9wavefront6targetE0EEEvSH_.numbered_sgpr, 0
	.set _ZN7rocprim17ROCPRIM_400000_NS6detail17trampoline_kernelINS0_14default_configENS1_36segmented_radix_sort_config_selectorIllEEZNS1_25segmented_radix_sort_implIS3_Lb0EPKlPlS8_S9_N2at6native12_GLOBAL__N_18offset_tEEE10hipError_tPvRmT1_PNSt15iterator_traitsISH_E10value_typeET2_T3_PNSI_ISN_E10value_typeET4_jRbjT5_ST_jjP12ihipStream_tbEUlT_E2_NS1_11comp_targetILNS1_3genE4ELNS1_11target_archE910ELNS1_3gpuE8ELNS1_3repE0EEENS1_30default_config_static_selectorELNS0_4arch9wavefront6targetE0EEEvSH_.num_named_barrier, 0
	.set _ZN7rocprim17ROCPRIM_400000_NS6detail17trampoline_kernelINS0_14default_configENS1_36segmented_radix_sort_config_selectorIllEEZNS1_25segmented_radix_sort_implIS3_Lb0EPKlPlS8_S9_N2at6native12_GLOBAL__N_18offset_tEEE10hipError_tPvRmT1_PNSt15iterator_traitsISH_E10value_typeET2_T3_PNSI_ISN_E10value_typeET4_jRbjT5_ST_jjP12ihipStream_tbEUlT_E2_NS1_11comp_targetILNS1_3genE4ELNS1_11target_archE910ELNS1_3gpuE8ELNS1_3repE0EEENS1_30default_config_static_selectorELNS0_4arch9wavefront6targetE0EEEvSH_.private_seg_size, 0
	.set _ZN7rocprim17ROCPRIM_400000_NS6detail17trampoline_kernelINS0_14default_configENS1_36segmented_radix_sort_config_selectorIllEEZNS1_25segmented_radix_sort_implIS3_Lb0EPKlPlS8_S9_N2at6native12_GLOBAL__N_18offset_tEEE10hipError_tPvRmT1_PNSt15iterator_traitsISH_E10value_typeET2_T3_PNSI_ISN_E10value_typeET4_jRbjT5_ST_jjP12ihipStream_tbEUlT_E2_NS1_11comp_targetILNS1_3genE4ELNS1_11target_archE910ELNS1_3gpuE8ELNS1_3repE0EEENS1_30default_config_static_selectorELNS0_4arch9wavefront6targetE0EEEvSH_.uses_vcc, 0
	.set _ZN7rocprim17ROCPRIM_400000_NS6detail17trampoline_kernelINS0_14default_configENS1_36segmented_radix_sort_config_selectorIllEEZNS1_25segmented_radix_sort_implIS3_Lb0EPKlPlS8_S9_N2at6native12_GLOBAL__N_18offset_tEEE10hipError_tPvRmT1_PNSt15iterator_traitsISH_E10value_typeET2_T3_PNSI_ISN_E10value_typeET4_jRbjT5_ST_jjP12ihipStream_tbEUlT_E2_NS1_11comp_targetILNS1_3genE4ELNS1_11target_archE910ELNS1_3gpuE8ELNS1_3repE0EEENS1_30default_config_static_selectorELNS0_4arch9wavefront6targetE0EEEvSH_.uses_flat_scratch, 0
	.set _ZN7rocprim17ROCPRIM_400000_NS6detail17trampoline_kernelINS0_14default_configENS1_36segmented_radix_sort_config_selectorIllEEZNS1_25segmented_radix_sort_implIS3_Lb0EPKlPlS8_S9_N2at6native12_GLOBAL__N_18offset_tEEE10hipError_tPvRmT1_PNSt15iterator_traitsISH_E10value_typeET2_T3_PNSI_ISN_E10value_typeET4_jRbjT5_ST_jjP12ihipStream_tbEUlT_E2_NS1_11comp_targetILNS1_3genE4ELNS1_11target_archE910ELNS1_3gpuE8ELNS1_3repE0EEENS1_30default_config_static_selectorELNS0_4arch9wavefront6targetE0EEEvSH_.has_dyn_sized_stack, 0
	.set _ZN7rocprim17ROCPRIM_400000_NS6detail17trampoline_kernelINS0_14default_configENS1_36segmented_radix_sort_config_selectorIllEEZNS1_25segmented_radix_sort_implIS3_Lb0EPKlPlS8_S9_N2at6native12_GLOBAL__N_18offset_tEEE10hipError_tPvRmT1_PNSt15iterator_traitsISH_E10value_typeET2_T3_PNSI_ISN_E10value_typeET4_jRbjT5_ST_jjP12ihipStream_tbEUlT_E2_NS1_11comp_targetILNS1_3genE4ELNS1_11target_archE910ELNS1_3gpuE8ELNS1_3repE0EEENS1_30default_config_static_selectorELNS0_4arch9wavefront6targetE0EEEvSH_.has_recursion, 0
	.set _ZN7rocprim17ROCPRIM_400000_NS6detail17trampoline_kernelINS0_14default_configENS1_36segmented_radix_sort_config_selectorIllEEZNS1_25segmented_radix_sort_implIS3_Lb0EPKlPlS8_S9_N2at6native12_GLOBAL__N_18offset_tEEE10hipError_tPvRmT1_PNSt15iterator_traitsISH_E10value_typeET2_T3_PNSI_ISN_E10value_typeET4_jRbjT5_ST_jjP12ihipStream_tbEUlT_E2_NS1_11comp_targetILNS1_3genE4ELNS1_11target_archE910ELNS1_3gpuE8ELNS1_3repE0EEENS1_30default_config_static_selectorELNS0_4arch9wavefront6targetE0EEEvSH_.has_indirect_call, 0
	.section	.AMDGPU.csdata,"",@progbits
; Kernel info:
; codeLenInByte = 0
; TotalNumSgprs: 0
; NumVgprs: 0
; ScratchSize: 0
; MemoryBound: 0
; FloatMode: 240
; IeeeMode: 1
; LDSByteSize: 0 bytes/workgroup (compile time only)
; SGPRBlocks: 0
; VGPRBlocks: 0
; NumSGPRsForWavesPerEU: 1
; NumVGPRsForWavesPerEU: 1
; NamedBarCnt: 0
; Occupancy: 16
; WaveLimiterHint : 0
; COMPUTE_PGM_RSRC2:SCRATCH_EN: 0
; COMPUTE_PGM_RSRC2:USER_SGPR: 2
; COMPUTE_PGM_RSRC2:TRAP_HANDLER: 0
; COMPUTE_PGM_RSRC2:TGID_X_EN: 1
; COMPUTE_PGM_RSRC2:TGID_Y_EN: 0
; COMPUTE_PGM_RSRC2:TGID_Z_EN: 0
; COMPUTE_PGM_RSRC2:TIDIG_COMP_CNT: 0
	.section	.text._ZN7rocprim17ROCPRIM_400000_NS6detail17trampoline_kernelINS0_14default_configENS1_36segmented_radix_sort_config_selectorIllEEZNS1_25segmented_radix_sort_implIS3_Lb0EPKlPlS8_S9_N2at6native12_GLOBAL__N_18offset_tEEE10hipError_tPvRmT1_PNSt15iterator_traitsISH_E10value_typeET2_T3_PNSI_ISN_E10value_typeET4_jRbjT5_ST_jjP12ihipStream_tbEUlT_E2_NS1_11comp_targetILNS1_3genE3ELNS1_11target_archE908ELNS1_3gpuE7ELNS1_3repE0EEENS1_30default_config_static_selectorELNS0_4arch9wavefront6targetE0EEEvSH_,"axG",@progbits,_ZN7rocprim17ROCPRIM_400000_NS6detail17trampoline_kernelINS0_14default_configENS1_36segmented_radix_sort_config_selectorIllEEZNS1_25segmented_radix_sort_implIS3_Lb0EPKlPlS8_S9_N2at6native12_GLOBAL__N_18offset_tEEE10hipError_tPvRmT1_PNSt15iterator_traitsISH_E10value_typeET2_T3_PNSI_ISN_E10value_typeET4_jRbjT5_ST_jjP12ihipStream_tbEUlT_E2_NS1_11comp_targetILNS1_3genE3ELNS1_11target_archE908ELNS1_3gpuE7ELNS1_3repE0EEENS1_30default_config_static_selectorELNS0_4arch9wavefront6targetE0EEEvSH_,comdat
	.globl	_ZN7rocprim17ROCPRIM_400000_NS6detail17trampoline_kernelINS0_14default_configENS1_36segmented_radix_sort_config_selectorIllEEZNS1_25segmented_radix_sort_implIS3_Lb0EPKlPlS8_S9_N2at6native12_GLOBAL__N_18offset_tEEE10hipError_tPvRmT1_PNSt15iterator_traitsISH_E10value_typeET2_T3_PNSI_ISN_E10value_typeET4_jRbjT5_ST_jjP12ihipStream_tbEUlT_E2_NS1_11comp_targetILNS1_3genE3ELNS1_11target_archE908ELNS1_3gpuE7ELNS1_3repE0EEENS1_30default_config_static_selectorELNS0_4arch9wavefront6targetE0EEEvSH_ ; -- Begin function _ZN7rocprim17ROCPRIM_400000_NS6detail17trampoline_kernelINS0_14default_configENS1_36segmented_radix_sort_config_selectorIllEEZNS1_25segmented_radix_sort_implIS3_Lb0EPKlPlS8_S9_N2at6native12_GLOBAL__N_18offset_tEEE10hipError_tPvRmT1_PNSt15iterator_traitsISH_E10value_typeET2_T3_PNSI_ISN_E10value_typeET4_jRbjT5_ST_jjP12ihipStream_tbEUlT_E2_NS1_11comp_targetILNS1_3genE3ELNS1_11target_archE908ELNS1_3gpuE7ELNS1_3repE0EEENS1_30default_config_static_selectorELNS0_4arch9wavefront6targetE0EEEvSH_
	.p2align	8
	.type	_ZN7rocprim17ROCPRIM_400000_NS6detail17trampoline_kernelINS0_14default_configENS1_36segmented_radix_sort_config_selectorIllEEZNS1_25segmented_radix_sort_implIS3_Lb0EPKlPlS8_S9_N2at6native12_GLOBAL__N_18offset_tEEE10hipError_tPvRmT1_PNSt15iterator_traitsISH_E10value_typeET2_T3_PNSI_ISN_E10value_typeET4_jRbjT5_ST_jjP12ihipStream_tbEUlT_E2_NS1_11comp_targetILNS1_3genE3ELNS1_11target_archE908ELNS1_3gpuE7ELNS1_3repE0EEENS1_30default_config_static_selectorELNS0_4arch9wavefront6targetE0EEEvSH_,@function
_ZN7rocprim17ROCPRIM_400000_NS6detail17trampoline_kernelINS0_14default_configENS1_36segmented_radix_sort_config_selectorIllEEZNS1_25segmented_radix_sort_implIS3_Lb0EPKlPlS8_S9_N2at6native12_GLOBAL__N_18offset_tEEE10hipError_tPvRmT1_PNSt15iterator_traitsISH_E10value_typeET2_T3_PNSI_ISN_E10value_typeET4_jRbjT5_ST_jjP12ihipStream_tbEUlT_E2_NS1_11comp_targetILNS1_3genE3ELNS1_11target_archE908ELNS1_3gpuE7ELNS1_3repE0EEENS1_30default_config_static_selectorELNS0_4arch9wavefront6targetE0EEEvSH_: ; @_ZN7rocprim17ROCPRIM_400000_NS6detail17trampoline_kernelINS0_14default_configENS1_36segmented_radix_sort_config_selectorIllEEZNS1_25segmented_radix_sort_implIS3_Lb0EPKlPlS8_S9_N2at6native12_GLOBAL__N_18offset_tEEE10hipError_tPvRmT1_PNSt15iterator_traitsISH_E10value_typeET2_T3_PNSI_ISN_E10value_typeET4_jRbjT5_ST_jjP12ihipStream_tbEUlT_E2_NS1_11comp_targetILNS1_3genE3ELNS1_11target_archE908ELNS1_3gpuE7ELNS1_3repE0EEENS1_30default_config_static_selectorELNS0_4arch9wavefront6targetE0EEEvSH_
; %bb.0:
	.section	.rodata,"a",@progbits
	.p2align	6, 0x0
	.amdhsa_kernel _ZN7rocprim17ROCPRIM_400000_NS6detail17trampoline_kernelINS0_14default_configENS1_36segmented_radix_sort_config_selectorIllEEZNS1_25segmented_radix_sort_implIS3_Lb0EPKlPlS8_S9_N2at6native12_GLOBAL__N_18offset_tEEE10hipError_tPvRmT1_PNSt15iterator_traitsISH_E10value_typeET2_T3_PNSI_ISN_E10value_typeET4_jRbjT5_ST_jjP12ihipStream_tbEUlT_E2_NS1_11comp_targetILNS1_3genE3ELNS1_11target_archE908ELNS1_3gpuE7ELNS1_3repE0EEENS1_30default_config_static_selectorELNS0_4arch9wavefront6targetE0EEEvSH_
		.amdhsa_group_segment_fixed_size 0
		.amdhsa_private_segment_fixed_size 0
		.amdhsa_kernarg_size 80
		.amdhsa_user_sgpr_count 2
		.amdhsa_user_sgpr_dispatch_ptr 0
		.amdhsa_user_sgpr_queue_ptr 0
		.amdhsa_user_sgpr_kernarg_segment_ptr 1
		.amdhsa_user_sgpr_dispatch_id 0
		.amdhsa_user_sgpr_kernarg_preload_length 0
		.amdhsa_user_sgpr_kernarg_preload_offset 0
		.amdhsa_user_sgpr_private_segment_size 0
		.amdhsa_wavefront_size32 1
		.amdhsa_uses_dynamic_stack 0
		.amdhsa_enable_private_segment 0
		.amdhsa_system_sgpr_workgroup_id_x 1
		.amdhsa_system_sgpr_workgroup_id_y 0
		.amdhsa_system_sgpr_workgroup_id_z 0
		.amdhsa_system_sgpr_workgroup_info 0
		.amdhsa_system_vgpr_workitem_id 0
		.amdhsa_next_free_vgpr 1
		.amdhsa_next_free_sgpr 1
		.amdhsa_named_barrier_count 0
		.amdhsa_reserve_vcc 0
		.amdhsa_float_round_mode_32 0
		.amdhsa_float_round_mode_16_64 0
		.amdhsa_float_denorm_mode_32 3
		.amdhsa_float_denorm_mode_16_64 3
		.amdhsa_fp16_overflow 0
		.amdhsa_memory_ordered 1
		.amdhsa_forward_progress 1
		.amdhsa_inst_pref_size 0
		.amdhsa_round_robin_scheduling 0
		.amdhsa_exception_fp_ieee_invalid_op 0
		.amdhsa_exception_fp_denorm_src 0
		.amdhsa_exception_fp_ieee_div_zero 0
		.amdhsa_exception_fp_ieee_overflow 0
		.amdhsa_exception_fp_ieee_underflow 0
		.amdhsa_exception_fp_ieee_inexact 0
		.amdhsa_exception_int_div_zero 0
	.end_amdhsa_kernel
	.section	.text._ZN7rocprim17ROCPRIM_400000_NS6detail17trampoline_kernelINS0_14default_configENS1_36segmented_radix_sort_config_selectorIllEEZNS1_25segmented_radix_sort_implIS3_Lb0EPKlPlS8_S9_N2at6native12_GLOBAL__N_18offset_tEEE10hipError_tPvRmT1_PNSt15iterator_traitsISH_E10value_typeET2_T3_PNSI_ISN_E10value_typeET4_jRbjT5_ST_jjP12ihipStream_tbEUlT_E2_NS1_11comp_targetILNS1_3genE3ELNS1_11target_archE908ELNS1_3gpuE7ELNS1_3repE0EEENS1_30default_config_static_selectorELNS0_4arch9wavefront6targetE0EEEvSH_,"axG",@progbits,_ZN7rocprim17ROCPRIM_400000_NS6detail17trampoline_kernelINS0_14default_configENS1_36segmented_radix_sort_config_selectorIllEEZNS1_25segmented_radix_sort_implIS3_Lb0EPKlPlS8_S9_N2at6native12_GLOBAL__N_18offset_tEEE10hipError_tPvRmT1_PNSt15iterator_traitsISH_E10value_typeET2_T3_PNSI_ISN_E10value_typeET4_jRbjT5_ST_jjP12ihipStream_tbEUlT_E2_NS1_11comp_targetILNS1_3genE3ELNS1_11target_archE908ELNS1_3gpuE7ELNS1_3repE0EEENS1_30default_config_static_selectorELNS0_4arch9wavefront6targetE0EEEvSH_,comdat
.Lfunc_end836:
	.size	_ZN7rocprim17ROCPRIM_400000_NS6detail17trampoline_kernelINS0_14default_configENS1_36segmented_radix_sort_config_selectorIllEEZNS1_25segmented_radix_sort_implIS3_Lb0EPKlPlS8_S9_N2at6native12_GLOBAL__N_18offset_tEEE10hipError_tPvRmT1_PNSt15iterator_traitsISH_E10value_typeET2_T3_PNSI_ISN_E10value_typeET4_jRbjT5_ST_jjP12ihipStream_tbEUlT_E2_NS1_11comp_targetILNS1_3genE3ELNS1_11target_archE908ELNS1_3gpuE7ELNS1_3repE0EEENS1_30default_config_static_selectorELNS0_4arch9wavefront6targetE0EEEvSH_, .Lfunc_end836-_ZN7rocprim17ROCPRIM_400000_NS6detail17trampoline_kernelINS0_14default_configENS1_36segmented_radix_sort_config_selectorIllEEZNS1_25segmented_radix_sort_implIS3_Lb0EPKlPlS8_S9_N2at6native12_GLOBAL__N_18offset_tEEE10hipError_tPvRmT1_PNSt15iterator_traitsISH_E10value_typeET2_T3_PNSI_ISN_E10value_typeET4_jRbjT5_ST_jjP12ihipStream_tbEUlT_E2_NS1_11comp_targetILNS1_3genE3ELNS1_11target_archE908ELNS1_3gpuE7ELNS1_3repE0EEENS1_30default_config_static_selectorELNS0_4arch9wavefront6targetE0EEEvSH_
                                        ; -- End function
	.set _ZN7rocprim17ROCPRIM_400000_NS6detail17trampoline_kernelINS0_14default_configENS1_36segmented_radix_sort_config_selectorIllEEZNS1_25segmented_radix_sort_implIS3_Lb0EPKlPlS8_S9_N2at6native12_GLOBAL__N_18offset_tEEE10hipError_tPvRmT1_PNSt15iterator_traitsISH_E10value_typeET2_T3_PNSI_ISN_E10value_typeET4_jRbjT5_ST_jjP12ihipStream_tbEUlT_E2_NS1_11comp_targetILNS1_3genE3ELNS1_11target_archE908ELNS1_3gpuE7ELNS1_3repE0EEENS1_30default_config_static_selectorELNS0_4arch9wavefront6targetE0EEEvSH_.num_vgpr, 0
	.set _ZN7rocprim17ROCPRIM_400000_NS6detail17trampoline_kernelINS0_14default_configENS1_36segmented_radix_sort_config_selectorIllEEZNS1_25segmented_radix_sort_implIS3_Lb0EPKlPlS8_S9_N2at6native12_GLOBAL__N_18offset_tEEE10hipError_tPvRmT1_PNSt15iterator_traitsISH_E10value_typeET2_T3_PNSI_ISN_E10value_typeET4_jRbjT5_ST_jjP12ihipStream_tbEUlT_E2_NS1_11comp_targetILNS1_3genE3ELNS1_11target_archE908ELNS1_3gpuE7ELNS1_3repE0EEENS1_30default_config_static_selectorELNS0_4arch9wavefront6targetE0EEEvSH_.num_agpr, 0
	.set _ZN7rocprim17ROCPRIM_400000_NS6detail17trampoline_kernelINS0_14default_configENS1_36segmented_radix_sort_config_selectorIllEEZNS1_25segmented_radix_sort_implIS3_Lb0EPKlPlS8_S9_N2at6native12_GLOBAL__N_18offset_tEEE10hipError_tPvRmT1_PNSt15iterator_traitsISH_E10value_typeET2_T3_PNSI_ISN_E10value_typeET4_jRbjT5_ST_jjP12ihipStream_tbEUlT_E2_NS1_11comp_targetILNS1_3genE3ELNS1_11target_archE908ELNS1_3gpuE7ELNS1_3repE0EEENS1_30default_config_static_selectorELNS0_4arch9wavefront6targetE0EEEvSH_.numbered_sgpr, 0
	.set _ZN7rocprim17ROCPRIM_400000_NS6detail17trampoline_kernelINS0_14default_configENS1_36segmented_radix_sort_config_selectorIllEEZNS1_25segmented_radix_sort_implIS3_Lb0EPKlPlS8_S9_N2at6native12_GLOBAL__N_18offset_tEEE10hipError_tPvRmT1_PNSt15iterator_traitsISH_E10value_typeET2_T3_PNSI_ISN_E10value_typeET4_jRbjT5_ST_jjP12ihipStream_tbEUlT_E2_NS1_11comp_targetILNS1_3genE3ELNS1_11target_archE908ELNS1_3gpuE7ELNS1_3repE0EEENS1_30default_config_static_selectorELNS0_4arch9wavefront6targetE0EEEvSH_.num_named_barrier, 0
	.set _ZN7rocprim17ROCPRIM_400000_NS6detail17trampoline_kernelINS0_14default_configENS1_36segmented_radix_sort_config_selectorIllEEZNS1_25segmented_radix_sort_implIS3_Lb0EPKlPlS8_S9_N2at6native12_GLOBAL__N_18offset_tEEE10hipError_tPvRmT1_PNSt15iterator_traitsISH_E10value_typeET2_T3_PNSI_ISN_E10value_typeET4_jRbjT5_ST_jjP12ihipStream_tbEUlT_E2_NS1_11comp_targetILNS1_3genE3ELNS1_11target_archE908ELNS1_3gpuE7ELNS1_3repE0EEENS1_30default_config_static_selectorELNS0_4arch9wavefront6targetE0EEEvSH_.private_seg_size, 0
	.set _ZN7rocprim17ROCPRIM_400000_NS6detail17trampoline_kernelINS0_14default_configENS1_36segmented_radix_sort_config_selectorIllEEZNS1_25segmented_radix_sort_implIS3_Lb0EPKlPlS8_S9_N2at6native12_GLOBAL__N_18offset_tEEE10hipError_tPvRmT1_PNSt15iterator_traitsISH_E10value_typeET2_T3_PNSI_ISN_E10value_typeET4_jRbjT5_ST_jjP12ihipStream_tbEUlT_E2_NS1_11comp_targetILNS1_3genE3ELNS1_11target_archE908ELNS1_3gpuE7ELNS1_3repE0EEENS1_30default_config_static_selectorELNS0_4arch9wavefront6targetE0EEEvSH_.uses_vcc, 0
	.set _ZN7rocprim17ROCPRIM_400000_NS6detail17trampoline_kernelINS0_14default_configENS1_36segmented_radix_sort_config_selectorIllEEZNS1_25segmented_radix_sort_implIS3_Lb0EPKlPlS8_S9_N2at6native12_GLOBAL__N_18offset_tEEE10hipError_tPvRmT1_PNSt15iterator_traitsISH_E10value_typeET2_T3_PNSI_ISN_E10value_typeET4_jRbjT5_ST_jjP12ihipStream_tbEUlT_E2_NS1_11comp_targetILNS1_3genE3ELNS1_11target_archE908ELNS1_3gpuE7ELNS1_3repE0EEENS1_30default_config_static_selectorELNS0_4arch9wavefront6targetE0EEEvSH_.uses_flat_scratch, 0
	.set _ZN7rocprim17ROCPRIM_400000_NS6detail17trampoline_kernelINS0_14default_configENS1_36segmented_radix_sort_config_selectorIllEEZNS1_25segmented_radix_sort_implIS3_Lb0EPKlPlS8_S9_N2at6native12_GLOBAL__N_18offset_tEEE10hipError_tPvRmT1_PNSt15iterator_traitsISH_E10value_typeET2_T3_PNSI_ISN_E10value_typeET4_jRbjT5_ST_jjP12ihipStream_tbEUlT_E2_NS1_11comp_targetILNS1_3genE3ELNS1_11target_archE908ELNS1_3gpuE7ELNS1_3repE0EEENS1_30default_config_static_selectorELNS0_4arch9wavefront6targetE0EEEvSH_.has_dyn_sized_stack, 0
	.set _ZN7rocprim17ROCPRIM_400000_NS6detail17trampoline_kernelINS0_14default_configENS1_36segmented_radix_sort_config_selectorIllEEZNS1_25segmented_radix_sort_implIS3_Lb0EPKlPlS8_S9_N2at6native12_GLOBAL__N_18offset_tEEE10hipError_tPvRmT1_PNSt15iterator_traitsISH_E10value_typeET2_T3_PNSI_ISN_E10value_typeET4_jRbjT5_ST_jjP12ihipStream_tbEUlT_E2_NS1_11comp_targetILNS1_3genE3ELNS1_11target_archE908ELNS1_3gpuE7ELNS1_3repE0EEENS1_30default_config_static_selectorELNS0_4arch9wavefront6targetE0EEEvSH_.has_recursion, 0
	.set _ZN7rocprim17ROCPRIM_400000_NS6detail17trampoline_kernelINS0_14default_configENS1_36segmented_radix_sort_config_selectorIllEEZNS1_25segmented_radix_sort_implIS3_Lb0EPKlPlS8_S9_N2at6native12_GLOBAL__N_18offset_tEEE10hipError_tPvRmT1_PNSt15iterator_traitsISH_E10value_typeET2_T3_PNSI_ISN_E10value_typeET4_jRbjT5_ST_jjP12ihipStream_tbEUlT_E2_NS1_11comp_targetILNS1_3genE3ELNS1_11target_archE908ELNS1_3gpuE7ELNS1_3repE0EEENS1_30default_config_static_selectorELNS0_4arch9wavefront6targetE0EEEvSH_.has_indirect_call, 0
	.section	.AMDGPU.csdata,"",@progbits
; Kernel info:
; codeLenInByte = 0
; TotalNumSgprs: 0
; NumVgprs: 0
; ScratchSize: 0
; MemoryBound: 0
; FloatMode: 240
; IeeeMode: 1
; LDSByteSize: 0 bytes/workgroup (compile time only)
; SGPRBlocks: 0
; VGPRBlocks: 0
; NumSGPRsForWavesPerEU: 1
; NumVGPRsForWavesPerEU: 1
; NamedBarCnt: 0
; Occupancy: 16
; WaveLimiterHint : 0
; COMPUTE_PGM_RSRC2:SCRATCH_EN: 0
; COMPUTE_PGM_RSRC2:USER_SGPR: 2
; COMPUTE_PGM_RSRC2:TRAP_HANDLER: 0
; COMPUTE_PGM_RSRC2:TGID_X_EN: 1
; COMPUTE_PGM_RSRC2:TGID_Y_EN: 0
; COMPUTE_PGM_RSRC2:TGID_Z_EN: 0
; COMPUTE_PGM_RSRC2:TIDIG_COMP_CNT: 0
	.section	.text._ZN7rocprim17ROCPRIM_400000_NS6detail17trampoline_kernelINS0_14default_configENS1_36segmented_radix_sort_config_selectorIllEEZNS1_25segmented_radix_sort_implIS3_Lb0EPKlPlS8_S9_N2at6native12_GLOBAL__N_18offset_tEEE10hipError_tPvRmT1_PNSt15iterator_traitsISH_E10value_typeET2_T3_PNSI_ISN_E10value_typeET4_jRbjT5_ST_jjP12ihipStream_tbEUlT_E2_NS1_11comp_targetILNS1_3genE2ELNS1_11target_archE906ELNS1_3gpuE6ELNS1_3repE0EEENS1_30default_config_static_selectorELNS0_4arch9wavefront6targetE0EEEvSH_,"axG",@progbits,_ZN7rocprim17ROCPRIM_400000_NS6detail17trampoline_kernelINS0_14default_configENS1_36segmented_radix_sort_config_selectorIllEEZNS1_25segmented_radix_sort_implIS3_Lb0EPKlPlS8_S9_N2at6native12_GLOBAL__N_18offset_tEEE10hipError_tPvRmT1_PNSt15iterator_traitsISH_E10value_typeET2_T3_PNSI_ISN_E10value_typeET4_jRbjT5_ST_jjP12ihipStream_tbEUlT_E2_NS1_11comp_targetILNS1_3genE2ELNS1_11target_archE906ELNS1_3gpuE6ELNS1_3repE0EEENS1_30default_config_static_selectorELNS0_4arch9wavefront6targetE0EEEvSH_,comdat
	.globl	_ZN7rocprim17ROCPRIM_400000_NS6detail17trampoline_kernelINS0_14default_configENS1_36segmented_radix_sort_config_selectorIllEEZNS1_25segmented_radix_sort_implIS3_Lb0EPKlPlS8_S9_N2at6native12_GLOBAL__N_18offset_tEEE10hipError_tPvRmT1_PNSt15iterator_traitsISH_E10value_typeET2_T3_PNSI_ISN_E10value_typeET4_jRbjT5_ST_jjP12ihipStream_tbEUlT_E2_NS1_11comp_targetILNS1_3genE2ELNS1_11target_archE906ELNS1_3gpuE6ELNS1_3repE0EEENS1_30default_config_static_selectorELNS0_4arch9wavefront6targetE0EEEvSH_ ; -- Begin function _ZN7rocprim17ROCPRIM_400000_NS6detail17trampoline_kernelINS0_14default_configENS1_36segmented_radix_sort_config_selectorIllEEZNS1_25segmented_radix_sort_implIS3_Lb0EPKlPlS8_S9_N2at6native12_GLOBAL__N_18offset_tEEE10hipError_tPvRmT1_PNSt15iterator_traitsISH_E10value_typeET2_T3_PNSI_ISN_E10value_typeET4_jRbjT5_ST_jjP12ihipStream_tbEUlT_E2_NS1_11comp_targetILNS1_3genE2ELNS1_11target_archE906ELNS1_3gpuE6ELNS1_3repE0EEENS1_30default_config_static_selectorELNS0_4arch9wavefront6targetE0EEEvSH_
	.p2align	8
	.type	_ZN7rocprim17ROCPRIM_400000_NS6detail17trampoline_kernelINS0_14default_configENS1_36segmented_radix_sort_config_selectorIllEEZNS1_25segmented_radix_sort_implIS3_Lb0EPKlPlS8_S9_N2at6native12_GLOBAL__N_18offset_tEEE10hipError_tPvRmT1_PNSt15iterator_traitsISH_E10value_typeET2_T3_PNSI_ISN_E10value_typeET4_jRbjT5_ST_jjP12ihipStream_tbEUlT_E2_NS1_11comp_targetILNS1_3genE2ELNS1_11target_archE906ELNS1_3gpuE6ELNS1_3repE0EEENS1_30default_config_static_selectorELNS0_4arch9wavefront6targetE0EEEvSH_,@function
_ZN7rocprim17ROCPRIM_400000_NS6detail17trampoline_kernelINS0_14default_configENS1_36segmented_radix_sort_config_selectorIllEEZNS1_25segmented_radix_sort_implIS3_Lb0EPKlPlS8_S9_N2at6native12_GLOBAL__N_18offset_tEEE10hipError_tPvRmT1_PNSt15iterator_traitsISH_E10value_typeET2_T3_PNSI_ISN_E10value_typeET4_jRbjT5_ST_jjP12ihipStream_tbEUlT_E2_NS1_11comp_targetILNS1_3genE2ELNS1_11target_archE906ELNS1_3gpuE6ELNS1_3repE0EEENS1_30default_config_static_selectorELNS0_4arch9wavefront6targetE0EEEvSH_: ; @_ZN7rocprim17ROCPRIM_400000_NS6detail17trampoline_kernelINS0_14default_configENS1_36segmented_radix_sort_config_selectorIllEEZNS1_25segmented_radix_sort_implIS3_Lb0EPKlPlS8_S9_N2at6native12_GLOBAL__N_18offset_tEEE10hipError_tPvRmT1_PNSt15iterator_traitsISH_E10value_typeET2_T3_PNSI_ISN_E10value_typeET4_jRbjT5_ST_jjP12ihipStream_tbEUlT_E2_NS1_11comp_targetILNS1_3genE2ELNS1_11target_archE906ELNS1_3gpuE6ELNS1_3repE0EEENS1_30default_config_static_selectorELNS0_4arch9wavefront6targetE0EEEvSH_
; %bb.0:
	.section	.rodata,"a",@progbits
	.p2align	6, 0x0
	.amdhsa_kernel _ZN7rocprim17ROCPRIM_400000_NS6detail17trampoline_kernelINS0_14default_configENS1_36segmented_radix_sort_config_selectorIllEEZNS1_25segmented_radix_sort_implIS3_Lb0EPKlPlS8_S9_N2at6native12_GLOBAL__N_18offset_tEEE10hipError_tPvRmT1_PNSt15iterator_traitsISH_E10value_typeET2_T3_PNSI_ISN_E10value_typeET4_jRbjT5_ST_jjP12ihipStream_tbEUlT_E2_NS1_11comp_targetILNS1_3genE2ELNS1_11target_archE906ELNS1_3gpuE6ELNS1_3repE0EEENS1_30default_config_static_selectorELNS0_4arch9wavefront6targetE0EEEvSH_
		.amdhsa_group_segment_fixed_size 0
		.amdhsa_private_segment_fixed_size 0
		.amdhsa_kernarg_size 80
		.amdhsa_user_sgpr_count 2
		.amdhsa_user_sgpr_dispatch_ptr 0
		.amdhsa_user_sgpr_queue_ptr 0
		.amdhsa_user_sgpr_kernarg_segment_ptr 1
		.amdhsa_user_sgpr_dispatch_id 0
		.amdhsa_user_sgpr_kernarg_preload_length 0
		.amdhsa_user_sgpr_kernarg_preload_offset 0
		.amdhsa_user_sgpr_private_segment_size 0
		.amdhsa_wavefront_size32 1
		.amdhsa_uses_dynamic_stack 0
		.amdhsa_enable_private_segment 0
		.amdhsa_system_sgpr_workgroup_id_x 1
		.amdhsa_system_sgpr_workgroup_id_y 0
		.amdhsa_system_sgpr_workgroup_id_z 0
		.amdhsa_system_sgpr_workgroup_info 0
		.amdhsa_system_vgpr_workitem_id 0
		.amdhsa_next_free_vgpr 1
		.amdhsa_next_free_sgpr 1
		.amdhsa_named_barrier_count 0
		.amdhsa_reserve_vcc 0
		.amdhsa_float_round_mode_32 0
		.amdhsa_float_round_mode_16_64 0
		.amdhsa_float_denorm_mode_32 3
		.amdhsa_float_denorm_mode_16_64 3
		.amdhsa_fp16_overflow 0
		.amdhsa_memory_ordered 1
		.amdhsa_forward_progress 1
		.amdhsa_inst_pref_size 0
		.amdhsa_round_robin_scheduling 0
		.amdhsa_exception_fp_ieee_invalid_op 0
		.amdhsa_exception_fp_denorm_src 0
		.amdhsa_exception_fp_ieee_div_zero 0
		.amdhsa_exception_fp_ieee_overflow 0
		.amdhsa_exception_fp_ieee_underflow 0
		.amdhsa_exception_fp_ieee_inexact 0
		.amdhsa_exception_int_div_zero 0
	.end_amdhsa_kernel
	.section	.text._ZN7rocprim17ROCPRIM_400000_NS6detail17trampoline_kernelINS0_14default_configENS1_36segmented_radix_sort_config_selectorIllEEZNS1_25segmented_radix_sort_implIS3_Lb0EPKlPlS8_S9_N2at6native12_GLOBAL__N_18offset_tEEE10hipError_tPvRmT1_PNSt15iterator_traitsISH_E10value_typeET2_T3_PNSI_ISN_E10value_typeET4_jRbjT5_ST_jjP12ihipStream_tbEUlT_E2_NS1_11comp_targetILNS1_3genE2ELNS1_11target_archE906ELNS1_3gpuE6ELNS1_3repE0EEENS1_30default_config_static_selectorELNS0_4arch9wavefront6targetE0EEEvSH_,"axG",@progbits,_ZN7rocprim17ROCPRIM_400000_NS6detail17trampoline_kernelINS0_14default_configENS1_36segmented_radix_sort_config_selectorIllEEZNS1_25segmented_radix_sort_implIS3_Lb0EPKlPlS8_S9_N2at6native12_GLOBAL__N_18offset_tEEE10hipError_tPvRmT1_PNSt15iterator_traitsISH_E10value_typeET2_T3_PNSI_ISN_E10value_typeET4_jRbjT5_ST_jjP12ihipStream_tbEUlT_E2_NS1_11comp_targetILNS1_3genE2ELNS1_11target_archE906ELNS1_3gpuE6ELNS1_3repE0EEENS1_30default_config_static_selectorELNS0_4arch9wavefront6targetE0EEEvSH_,comdat
.Lfunc_end837:
	.size	_ZN7rocprim17ROCPRIM_400000_NS6detail17trampoline_kernelINS0_14default_configENS1_36segmented_radix_sort_config_selectorIllEEZNS1_25segmented_radix_sort_implIS3_Lb0EPKlPlS8_S9_N2at6native12_GLOBAL__N_18offset_tEEE10hipError_tPvRmT1_PNSt15iterator_traitsISH_E10value_typeET2_T3_PNSI_ISN_E10value_typeET4_jRbjT5_ST_jjP12ihipStream_tbEUlT_E2_NS1_11comp_targetILNS1_3genE2ELNS1_11target_archE906ELNS1_3gpuE6ELNS1_3repE0EEENS1_30default_config_static_selectorELNS0_4arch9wavefront6targetE0EEEvSH_, .Lfunc_end837-_ZN7rocprim17ROCPRIM_400000_NS6detail17trampoline_kernelINS0_14default_configENS1_36segmented_radix_sort_config_selectorIllEEZNS1_25segmented_radix_sort_implIS3_Lb0EPKlPlS8_S9_N2at6native12_GLOBAL__N_18offset_tEEE10hipError_tPvRmT1_PNSt15iterator_traitsISH_E10value_typeET2_T3_PNSI_ISN_E10value_typeET4_jRbjT5_ST_jjP12ihipStream_tbEUlT_E2_NS1_11comp_targetILNS1_3genE2ELNS1_11target_archE906ELNS1_3gpuE6ELNS1_3repE0EEENS1_30default_config_static_selectorELNS0_4arch9wavefront6targetE0EEEvSH_
                                        ; -- End function
	.set _ZN7rocprim17ROCPRIM_400000_NS6detail17trampoline_kernelINS0_14default_configENS1_36segmented_radix_sort_config_selectorIllEEZNS1_25segmented_radix_sort_implIS3_Lb0EPKlPlS8_S9_N2at6native12_GLOBAL__N_18offset_tEEE10hipError_tPvRmT1_PNSt15iterator_traitsISH_E10value_typeET2_T3_PNSI_ISN_E10value_typeET4_jRbjT5_ST_jjP12ihipStream_tbEUlT_E2_NS1_11comp_targetILNS1_3genE2ELNS1_11target_archE906ELNS1_3gpuE6ELNS1_3repE0EEENS1_30default_config_static_selectorELNS0_4arch9wavefront6targetE0EEEvSH_.num_vgpr, 0
	.set _ZN7rocprim17ROCPRIM_400000_NS6detail17trampoline_kernelINS0_14default_configENS1_36segmented_radix_sort_config_selectorIllEEZNS1_25segmented_radix_sort_implIS3_Lb0EPKlPlS8_S9_N2at6native12_GLOBAL__N_18offset_tEEE10hipError_tPvRmT1_PNSt15iterator_traitsISH_E10value_typeET2_T3_PNSI_ISN_E10value_typeET4_jRbjT5_ST_jjP12ihipStream_tbEUlT_E2_NS1_11comp_targetILNS1_3genE2ELNS1_11target_archE906ELNS1_3gpuE6ELNS1_3repE0EEENS1_30default_config_static_selectorELNS0_4arch9wavefront6targetE0EEEvSH_.num_agpr, 0
	.set _ZN7rocprim17ROCPRIM_400000_NS6detail17trampoline_kernelINS0_14default_configENS1_36segmented_radix_sort_config_selectorIllEEZNS1_25segmented_radix_sort_implIS3_Lb0EPKlPlS8_S9_N2at6native12_GLOBAL__N_18offset_tEEE10hipError_tPvRmT1_PNSt15iterator_traitsISH_E10value_typeET2_T3_PNSI_ISN_E10value_typeET4_jRbjT5_ST_jjP12ihipStream_tbEUlT_E2_NS1_11comp_targetILNS1_3genE2ELNS1_11target_archE906ELNS1_3gpuE6ELNS1_3repE0EEENS1_30default_config_static_selectorELNS0_4arch9wavefront6targetE0EEEvSH_.numbered_sgpr, 0
	.set _ZN7rocprim17ROCPRIM_400000_NS6detail17trampoline_kernelINS0_14default_configENS1_36segmented_radix_sort_config_selectorIllEEZNS1_25segmented_radix_sort_implIS3_Lb0EPKlPlS8_S9_N2at6native12_GLOBAL__N_18offset_tEEE10hipError_tPvRmT1_PNSt15iterator_traitsISH_E10value_typeET2_T3_PNSI_ISN_E10value_typeET4_jRbjT5_ST_jjP12ihipStream_tbEUlT_E2_NS1_11comp_targetILNS1_3genE2ELNS1_11target_archE906ELNS1_3gpuE6ELNS1_3repE0EEENS1_30default_config_static_selectorELNS0_4arch9wavefront6targetE0EEEvSH_.num_named_barrier, 0
	.set _ZN7rocprim17ROCPRIM_400000_NS6detail17trampoline_kernelINS0_14default_configENS1_36segmented_radix_sort_config_selectorIllEEZNS1_25segmented_radix_sort_implIS3_Lb0EPKlPlS8_S9_N2at6native12_GLOBAL__N_18offset_tEEE10hipError_tPvRmT1_PNSt15iterator_traitsISH_E10value_typeET2_T3_PNSI_ISN_E10value_typeET4_jRbjT5_ST_jjP12ihipStream_tbEUlT_E2_NS1_11comp_targetILNS1_3genE2ELNS1_11target_archE906ELNS1_3gpuE6ELNS1_3repE0EEENS1_30default_config_static_selectorELNS0_4arch9wavefront6targetE0EEEvSH_.private_seg_size, 0
	.set _ZN7rocprim17ROCPRIM_400000_NS6detail17trampoline_kernelINS0_14default_configENS1_36segmented_radix_sort_config_selectorIllEEZNS1_25segmented_radix_sort_implIS3_Lb0EPKlPlS8_S9_N2at6native12_GLOBAL__N_18offset_tEEE10hipError_tPvRmT1_PNSt15iterator_traitsISH_E10value_typeET2_T3_PNSI_ISN_E10value_typeET4_jRbjT5_ST_jjP12ihipStream_tbEUlT_E2_NS1_11comp_targetILNS1_3genE2ELNS1_11target_archE906ELNS1_3gpuE6ELNS1_3repE0EEENS1_30default_config_static_selectorELNS0_4arch9wavefront6targetE0EEEvSH_.uses_vcc, 0
	.set _ZN7rocprim17ROCPRIM_400000_NS6detail17trampoline_kernelINS0_14default_configENS1_36segmented_radix_sort_config_selectorIllEEZNS1_25segmented_radix_sort_implIS3_Lb0EPKlPlS8_S9_N2at6native12_GLOBAL__N_18offset_tEEE10hipError_tPvRmT1_PNSt15iterator_traitsISH_E10value_typeET2_T3_PNSI_ISN_E10value_typeET4_jRbjT5_ST_jjP12ihipStream_tbEUlT_E2_NS1_11comp_targetILNS1_3genE2ELNS1_11target_archE906ELNS1_3gpuE6ELNS1_3repE0EEENS1_30default_config_static_selectorELNS0_4arch9wavefront6targetE0EEEvSH_.uses_flat_scratch, 0
	.set _ZN7rocprim17ROCPRIM_400000_NS6detail17trampoline_kernelINS0_14default_configENS1_36segmented_radix_sort_config_selectorIllEEZNS1_25segmented_radix_sort_implIS3_Lb0EPKlPlS8_S9_N2at6native12_GLOBAL__N_18offset_tEEE10hipError_tPvRmT1_PNSt15iterator_traitsISH_E10value_typeET2_T3_PNSI_ISN_E10value_typeET4_jRbjT5_ST_jjP12ihipStream_tbEUlT_E2_NS1_11comp_targetILNS1_3genE2ELNS1_11target_archE906ELNS1_3gpuE6ELNS1_3repE0EEENS1_30default_config_static_selectorELNS0_4arch9wavefront6targetE0EEEvSH_.has_dyn_sized_stack, 0
	.set _ZN7rocprim17ROCPRIM_400000_NS6detail17trampoline_kernelINS0_14default_configENS1_36segmented_radix_sort_config_selectorIllEEZNS1_25segmented_radix_sort_implIS3_Lb0EPKlPlS8_S9_N2at6native12_GLOBAL__N_18offset_tEEE10hipError_tPvRmT1_PNSt15iterator_traitsISH_E10value_typeET2_T3_PNSI_ISN_E10value_typeET4_jRbjT5_ST_jjP12ihipStream_tbEUlT_E2_NS1_11comp_targetILNS1_3genE2ELNS1_11target_archE906ELNS1_3gpuE6ELNS1_3repE0EEENS1_30default_config_static_selectorELNS0_4arch9wavefront6targetE0EEEvSH_.has_recursion, 0
	.set _ZN7rocprim17ROCPRIM_400000_NS6detail17trampoline_kernelINS0_14default_configENS1_36segmented_radix_sort_config_selectorIllEEZNS1_25segmented_radix_sort_implIS3_Lb0EPKlPlS8_S9_N2at6native12_GLOBAL__N_18offset_tEEE10hipError_tPvRmT1_PNSt15iterator_traitsISH_E10value_typeET2_T3_PNSI_ISN_E10value_typeET4_jRbjT5_ST_jjP12ihipStream_tbEUlT_E2_NS1_11comp_targetILNS1_3genE2ELNS1_11target_archE906ELNS1_3gpuE6ELNS1_3repE0EEENS1_30default_config_static_selectorELNS0_4arch9wavefront6targetE0EEEvSH_.has_indirect_call, 0
	.section	.AMDGPU.csdata,"",@progbits
; Kernel info:
; codeLenInByte = 0
; TotalNumSgprs: 0
; NumVgprs: 0
; ScratchSize: 0
; MemoryBound: 0
; FloatMode: 240
; IeeeMode: 1
; LDSByteSize: 0 bytes/workgroup (compile time only)
; SGPRBlocks: 0
; VGPRBlocks: 0
; NumSGPRsForWavesPerEU: 1
; NumVGPRsForWavesPerEU: 1
; NamedBarCnt: 0
; Occupancy: 16
; WaveLimiterHint : 0
; COMPUTE_PGM_RSRC2:SCRATCH_EN: 0
; COMPUTE_PGM_RSRC2:USER_SGPR: 2
; COMPUTE_PGM_RSRC2:TRAP_HANDLER: 0
; COMPUTE_PGM_RSRC2:TGID_X_EN: 1
; COMPUTE_PGM_RSRC2:TGID_Y_EN: 0
; COMPUTE_PGM_RSRC2:TGID_Z_EN: 0
; COMPUTE_PGM_RSRC2:TIDIG_COMP_CNT: 0
	.section	.text._ZN7rocprim17ROCPRIM_400000_NS6detail17trampoline_kernelINS0_14default_configENS1_36segmented_radix_sort_config_selectorIllEEZNS1_25segmented_radix_sort_implIS3_Lb0EPKlPlS8_S9_N2at6native12_GLOBAL__N_18offset_tEEE10hipError_tPvRmT1_PNSt15iterator_traitsISH_E10value_typeET2_T3_PNSI_ISN_E10value_typeET4_jRbjT5_ST_jjP12ihipStream_tbEUlT_E2_NS1_11comp_targetILNS1_3genE10ELNS1_11target_archE1201ELNS1_3gpuE5ELNS1_3repE0EEENS1_30default_config_static_selectorELNS0_4arch9wavefront6targetE0EEEvSH_,"axG",@progbits,_ZN7rocprim17ROCPRIM_400000_NS6detail17trampoline_kernelINS0_14default_configENS1_36segmented_radix_sort_config_selectorIllEEZNS1_25segmented_radix_sort_implIS3_Lb0EPKlPlS8_S9_N2at6native12_GLOBAL__N_18offset_tEEE10hipError_tPvRmT1_PNSt15iterator_traitsISH_E10value_typeET2_T3_PNSI_ISN_E10value_typeET4_jRbjT5_ST_jjP12ihipStream_tbEUlT_E2_NS1_11comp_targetILNS1_3genE10ELNS1_11target_archE1201ELNS1_3gpuE5ELNS1_3repE0EEENS1_30default_config_static_selectorELNS0_4arch9wavefront6targetE0EEEvSH_,comdat
	.globl	_ZN7rocprim17ROCPRIM_400000_NS6detail17trampoline_kernelINS0_14default_configENS1_36segmented_radix_sort_config_selectorIllEEZNS1_25segmented_radix_sort_implIS3_Lb0EPKlPlS8_S9_N2at6native12_GLOBAL__N_18offset_tEEE10hipError_tPvRmT1_PNSt15iterator_traitsISH_E10value_typeET2_T3_PNSI_ISN_E10value_typeET4_jRbjT5_ST_jjP12ihipStream_tbEUlT_E2_NS1_11comp_targetILNS1_3genE10ELNS1_11target_archE1201ELNS1_3gpuE5ELNS1_3repE0EEENS1_30default_config_static_selectorELNS0_4arch9wavefront6targetE0EEEvSH_ ; -- Begin function _ZN7rocprim17ROCPRIM_400000_NS6detail17trampoline_kernelINS0_14default_configENS1_36segmented_radix_sort_config_selectorIllEEZNS1_25segmented_radix_sort_implIS3_Lb0EPKlPlS8_S9_N2at6native12_GLOBAL__N_18offset_tEEE10hipError_tPvRmT1_PNSt15iterator_traitsISH_E10value_typeET2_T3_PNSI_ISN_E10value_typeET4_jRbjT5_ST_jjP12ihipStream_tbEUlT_E2_NS1_11comp_targetILNS1_3genE10ELNS1_11target_archE1201ELNS1_3gpuE5ELNS1_3repE0EEENS1_30default_config_static_selectorELNS0_4arch9wavefront6targetE0EEEvSH_
	.p2align	8
	.type	_ZN7rocprim17ROCPRIM_400000_NS6detail17trampoline_kernelINS0_14default_configENS1_36segmented_radix_sort_config_selectorIllEEZNS1_25segmented_radix_sort_implIS3_Lb0EPKlPlS8_S9_N2at6native12_GLOBAL__N_18offset_tEEE10hipError_tPvRmT1_PNSt15iterator_traitsISH_E10value_typeET2_T3_PNSI_ISN_E10value_typeET4_jRbjT5_ST_jjP12ihipStream_tbEUlT_E2_NS1_11comp_targetILNS1_3genE10ELNS1_11target_archE1201ELNS1_3gpuE5ELNS1_3repE0EEENS1_30default_config_static_selectorELNS0_4arch9wavefront6targetE0EEEvSH_,@function
_ZN7rocprim17ROCPRIM_400000_NS6detail17trampoline_kernelINS0_14default_configENS1_36segmented_radix_sort_config_selectorIllEEZNS1_25segmented_radix_sort_implIS3_Lb0EPKlPlS8_S9_N2at6native12_GLOBAL__N_18offset_tEEE10hipError_tPvRmT1_PNSt15iterator_traitsISH_E10value_typeET2_T3_PNSI_ISN_E10value_typeET4_jRbjT5_ST_jjP12ihipStream_tbEUlT_E2_NS1_11comp_targetILNS1_3genE10ELNS1_11target_archE1201ELNS1_3gpuE5ELNS1_3repE0EEENS1_30default_config_static_selectorELNS0_4arch9wavefront6targetE0EEEvSH_: ; @_ZN7rocprim17ROCPRIM_400000_NS6detail17trampoline_kernelINS0_14default_configENS1_36segmented_radix_sort_config_selectorIllEEZNS1_25segmented_radix_sort_implIS3_Lb0EPKlPlS8_S9_N2at6native12_GLOBAL__N_18offset_tEEE10hipError_tPvRmT1_PNSt15iterator_traitsISH_E10value_typeET2_T3_PNSI_ISN_E10value_typeET4_jRbjT5_ST_jjP12ihipStream_tbEUlT_E2_NS1_11comp_targetILNS1_3genE10ELNS1_11target_archE1201ELNS1_3gpuE5ELNS1_3repE0EEENS1_30default_config_static_selectorELNS0_4arch9wavefront6targetE0EEEvSH_
; %bb.0:
	.section	.rodata,"a",@progbits
	.p2align	6, 0x0
	.amdhsa_kernel _ZN7rocprim17ROCPRIM_400000_NS6detail17trampoline_kernelINS0_14default_configENS1_36segmented_radix_sort_config_selectorIllEEZNS1_25segmented_radix_sort_implIS3_Lb0EPKlPlS8_S9_N2at6native12_GLOBAL__N_18offset_tEEE10hipError_tPvRmT1_PNSt15iterator_traitsISH_E10value_typeET2_T3_PNSI_ISN_E10value_typeET4_jRbjT5_ST_jjP12ihipStream_tbEUlT_E2_NS1_11comp_targetILNS1_3genE10ELNS1_11target_archE1201ELNS1_3gpuE5ELNS1_3repE0EEENS1_30default_config_static_selectorELNS0_4arch9wavefront6targetE0EEEvSH_
		.amdhsa_group_segment_fixed_size 0
		.amdhsa_private_segment_fixed_size 0
		.amdhsa_kernarg_size 80
		.amdhsa_user_sgpr_count 2
		.amdhsa_user_sgpr_dispatch_ptr 0
		.amdhsa_user_sgpr_queue_ptr 0
		.amdhsa_user_sgpr_kernarg_segment_ptr 1
		.amdhsa_user_sgpr_dispatch_id 0
		.amdhsa_user_sgpr_kernarg_preload_length 0
		.amdhsa_user_sgpr_kernarg_preload_offset 0
		.amdhsa_user_sgpr_private_segment_size 0
		.amdhsa_wavefront_size32 1
		.amdhsa_uses_dynamic_stack 0
		.amdhsa_enable_private_segment 0
		.amdhsa_system_sgpr_workgroup_id_x 1
		.amdhsa_system_sgpr_workgroup_id_y 0
		.amdhsa_system_sgpr_workgroup_id_z 0
		.amdhsa_system_sgpr_workgroup_info 0
		.amdhsa_system_vgpr_workitem_id 0
		.amdhsa_next_free_vgpr 1
		.amdhsa_next_free_sgpr 1
		.amdhsa_named_barrier_count 0
		.amdhsa_reserve_vcc 0
		.amdhsa_float_round_mode_32 0
		.amdhsa_float_round_mode_16_64 0
		.amdhsa_float_denorm_mode_32 3
		.amdhsa_float_denorm_mode_16_64 3
		.amdhsa_fp16_overflow 0
		.amdhsa_memory_ordered 1
		.amdhsa_forward_progress 1
		.amdhsa_inst_pref_size 0
		.amdhsa_round_robin_scheduling 0
		.amdhsa_exception_fp_ieee_invalid_op 0
		.amdhsa_exception_fp_denorm_src 0
		.amdhsa_exception_fp_ieee_div_zero 0
		.amdhsa_exception_fp_ieee_overflow 0
		.amdhsa_exception_fp_ieee_underflow 0
		.amdhsa_exception_fp_ieee_inexact 0
		.amdhsa_exception_int_div_zero 0
	.end_amdhsa_kernel
	.section	.text._ZN7rocprim17ROCPRIM_400000_NS6detail17trampoline_kernelINS0_14default_configENS1_36segmented_radix_sort_config_selectorIllEEZNS1_25segmented_radix_sort_implIS3_Lb0EPKlPlS8_S9_N2at6native12_GLOBAL__N_18offset_tEEE10hipError_tPvRmT1_PNSt15iterator_traitsISH_E10value_typeET2_T3_PNSI_ISN_E10value_typeET4_jRbjT5_ST_jjP12ihipStream_tbEUlT_E2_NS1_11comp_targetILNS1_3genE10ELNS1_11target_archE1201ELNS1_3gpuE5ELNS1_3repE0EEENS1_30default_config_static_selectorELNS0_4arch9wavefront6targetE0EEEvSH_,"axG",@progbits,_ZN7rocprim17ROCPRIM_400000_NS6detail17trampoline_kernelINS0_14default_configENS1_36segmented_radix_sort_config_selectorIllEEZNS1_25segmented_radix_sort_implIS3_Lb0EPKlPlS8_S9_N2at6native12_GLOBAL__N_18offset_tEEE10hipError_tPvRmT1_PNSt15iterator_traitsISH_E10value_typeET2_T3_PNSI_ISN_E10value_typeET4_jRbjT5_ST_jjP12ihipStream_tbEUlT_E2_NS1_11comp_targetILNS1_3genE10ELNS1_11target_archE1201ELNS1_3gpuE5ELNS1_3repE0EEENS1_30default_config_static_selectorELNS0_4arch9wavefront6targetE0EEEvSH_,comdat
.Lfunc_end838:
	.size	_ZN7rocprim17ROCPRIM_400000_NS6detail17trampoline_kernelINS0_14default_configENS1_36segmented_radix_sort_config_selectorIllEEZNS1_25segmented_radix_sort_implIS3_Lb0EPKlPlS8_S9_N2at6native12_GLOBAL__N_18offset_tEEE10hipError_tPvRmT1_PNSt15iterator_traitsISH_E10value_typeET2_T3_PNSI_ISN_E10value_typeET4_jRbjT5_ST_jjP12ihipStream_tbEUlT_E2_NS1_11comp_targetILNS1_3genE10ELNS1_11target_archE1201ELNS1_3gpuE5ELNS1_3repE0EEENS1_30default_config_static_selectorELNS0_4arch9wavefront6targetE0EEEvSH_, .Lfunc_end838-_ZN7rocprim17ROCPRIM_400000_NS6detail17trampoline_kernelINS0_14default_configENS1_36segmented_radix_sort_config_selectorIllEEZNS1_25segmented_radix_sort_implIS3_Lb0EPKlPlS8_S9_N2at6native12_GLOBAL__N_18offset_tEEE10hipError_tPvRmT1_PNSt15iterator_traitsISH_E10value_typeET2_T3_PNSI_ISN_E10value_typeET4_jRbjT5_ST_jjP12ihipStream_tbEUlT_E2_NS1_11comp_targetILNS1_3genE10ELNS1_11target_archE1201ELNS1_3gpuE5ELNS1_3repE0EEENS1_30default_config_static_selectorELNS0_4arch9wavefront6targetE0EEEvSH_
                                        ; -- End function
	.set _ZN7rocprim17ROCPRIM_400000_NS6detail17trampoline_kernelINS0_14default_configENS1_36segmented_radix_sort_config_selectorIllEEZNS1_25segmented_radix_sort_implIS3_Lb0EPKlPlS8_S9_N2at6native12_GLOBAL__N_18offset_tEEE10hipError_tPvRmT1_PNSt15iterator_traitsISH_E10value_typeET2_T3_PNSI_ISN_E10value_typeET4_jRbjT5_ST_jjP12ihipStream_tbEUlT_E2_NS1_11comp_targetILNS1_3genE10ELNS1_11target_archE1201ELNS1_3gpuE5ELNS1_3repE0EEENS1_30default_config_static_selectorELNS0_4arch9wavefront6targetE0EEEvSH_.num_vgpr, 0
	.set _ZN7rocprim17ROCPRIM_400000_NS6detail17trampoline_kernelINS0_14default_configENS1_36segmented_radix_sort_config_selectorIllEEZNS1_25segmented_radix_sort_implIS3_Lb0EPKlPlS8_S9_N2at6native12_GLOBAL__N_18offset_tEEE10hipError_tPvRmT1_PNSt15iterator_traitsISH_E10value_typeET2_T3_PNSI_ISN_E10value_typeET4_jRbjT5_ST_jjP12ihipStream_tbEUlT_E2_NS1_11comp_targetILNS1_3genE10ELNS1_11target_archE1201ELNS1_3gpuE5ELNS1_3repE0EEENS1_30default_config_static_selectorELNS0_4arch9wavefront6targetE0EEEvSH_.num_agpr, 0
	.set _ZN7rocprim17ROCPRIM_400000_NS6detail17trampoline_kernelINS0_14default_configENS1_36segmented_radix_sort_config_selectorIllEEZNS1_25segmented_radix_sort_implIS3_Lb0EPKlPlS8_S9_N2at6native12_GLOBAL__N_18offset_tEEE10hipError_tPvRmT1_PNSt15iterator_traitsISH_E10value_typeET2_T3_PNSI_ISN_E10value_typeET4_jRbjT5_ST_jjP12ihipStream_tbEUlT_E2_NS1_11comp_targetILNS1_3genE10ELNS1_11target_archE1201ELNS1_3gpuE5ELNS1_3repE0EEENS1_30default_config_static_selectorELNS0_4arch9wavefront6targetE0EEEvSH_.numbered_sgpr, 0
	.set _ZN7rocprim17ROCPRIM_400000_NS6detail17trampoline_kernelINS0_14default_configENS1_36segmented_radix_sort_config_selectorIllEEZNS1_25segmented_radix_sort_implIS3_Lb0EPKlPlS8_S9_N2at6native12_GLOBAL__N_18offset_tEEE10hipError_tPvRmT1_PNSt15iterator_traitsISH_E10value_typeET2_T3_PNSI_ISN_E10value_typeET4_jRbjT5_ST_jjP12ihipStream_tbEUlT_E2_NS1_11comp_targetILNS1_3genE10ELNS1_11target_archE1201ELNS1_3gpuE5ELNS1_3repE0EEENS1_30default_config_static_selectorELNS0_4arch9wavefront6targetE0EEEvSH_.num_named_barrier, 0
	.set _ZN7rocprim17ROCPRIM_400000_NS6detail17trampoline_kernelINS0_14default_configENS1_36segmented_radix_sort_config_selectorIllEEZNS1_25segmented_radix_sort_implIS3_Lb0EPKlPlS8_S9_N2at6native12_GLOBAL__N_18offset_tEEE10hipError_tPvRmT1_PNSt15iterator_traitsISH_E10value_typeET2_T3_PNSI_ISN_E10value_typeET4_jRbjT5_ST_jjP12ihipStream_tbEUlT_E2_NS1_11comp_targetILNS1_3genE10ELNS1_11target_archE1201ELNS1_3gpuE5ELNS1_3repE0EEENS1_30default_config_static_selectorELNS0_4arch9wavefront6targetE0EEEvSH_.private_seg_size, 0
	.set _ZN7rocprim17ROCPRIM_400000_NS6detail17trampoline_kernelINS0_14default_configENS1_36segmented_radix_sort_config_selectorIllEEZNS1_25segmented_radix_sort_implIS3_Lb0EPKlPlS8_S9_N2at6native12_GLOBAL__N_18offset_tEEE10hipError_tPvRmT1_PNSt15iterator_traitsISH_E10value_typeET2_T3_PNSI_ISN_E10value_typeET4_jRbjT5_ST_jjP12ihipStream_tbEUlT_E2_NS1_11comp_targetILNS1_3genE10ELNS1_11target_archE1201ELNS1_3gpuE5ELNS1_3repE0EEENS1_30default_config_static_selectorELNS0_4arch9wavefront6targetE0EEEvSH_.uses_vcc, 0
	.set _ZN7rocprim17ROCPRIM_400000_NS6detail17trampoline_kernelINS0_14default_configENS1_36segmented_radix_sort_config_selectorIllEEZNS1_25segmented_radix_sort_implIS3_Lb0EPKlPlS8_S9_N2at6native12_GLOBAL__N_18offset_tEEE10hipError_tPvRmT1_PNSt15iterator_traitsISH_E10value_typeET2_T3_PNSI_ISN_E10value_typeET4_jRbjT5_ST_jjP12ihipStream_tbEUlT_E2_NS1_11comp_targetILNS1_3genE10ELNS1_11target_archE1201ELNS1_3gpuE5ELNS1_3repE0EEENS1_30default_config_static_selectorELNS0_4arch9wavefront6targetE0EEEvSH_.uses_flat_scratch, 0
	.set _ZN7rocprim17ROCPRIM_400000_NS6detail17trampoline_kernelINS0_14default_configENS1_36segmented_radix_sort_config_selectorIllEEZNS1_25segmented_radix_sort_implIS3_Lb0EPKlPlS8_S9_N2at6native12_GLOBAL__N_18offset_tEEE10hipError_tPvRmT1_PNSt15iterator_traitsISH_E10value_typeET2_T3_PNSI_ISN_E10value_typeET4_jRbjT5_ST_jjP12ihipStream_tbEUlT_E2_NS1_11comp_targetILNS1_3genE10ELNS1_11target_archE1201ELNS1_3gpuE5ELNS1_3repE0EEENS1_30default_config_static_selectorELNS0_4arch9wavefront6targetE0EEEvSH_.has_dyn_sized_stack, 0
	.set _ZN7rocprim17ROCPRIM_400000_NS6detail17trampoline_kernelINS0_14default_configENS1_36segmented_radix_sort_config_selectorIllEEZNS1_25segmented_radix_sort_implIS3_Lb0EPKlPlS8_S9_N2at6native12_GLOBAL__N_18offset_tEEE10hipError_tPvRmT1_PNSt15iterator_traitsISH_E10value_typeET2_T3_PNSI_ISN_E10value_typeET4_jRbjT5_ST_jjP12ihipStream_tbEUlT_E2_NS1_11comp_targetILNS1_3genE10ELNS1_11target_archE1201ELNS1_3gpuE5ELNS1_3repE0EEENS1_30default_config_static_selectorELNS0_4arch9wavefront6targetE0EEEvSH_.has_recursion, 0
	.set _ZN7rocprim17ROCPRIM_400000_NS6detail17trampoline_kernelINS0_14default_configENS1_36segmented_radix_sort_config_selectorIllEEZNS1_25segmented_radix_sort_implIS3_Lb0EPKlPlS8_S9_N2at6native12_GLOBAL__N_18offset_tEEE10hipError_tPvRmT1_PNSt15iterator_traitsISH_E10value_typeET2_T3_PNSI_ISN_E10value_typeET4_jRbjT5_ST_jjP12ihipStream_tbEUlT_E2_NS1_11comp_targetILNS1_3genE10ELNS1_11target_archE1201ELNS1_3gpuE5ELNS1_3repE0EEENS1_30default_config_static_selectorELNS0_4arch9wavefront6targetE0EEEvSH_.has_indirect_call, 0
	.section	.AMDGPU.csdata,"",@progbits
; Kernel info:
; codeLenInByte = 0
; TotalNumSgprs: 0
; NumVgprs: 0
; ScratchSize: 0
; MemoryBound: 0
; FloatMode: 240
; IeeeMode: 1
; LDSByteSize: 0 bytes/workgroup (compile time only)
; SGPRBlocks: 0
; VGPRBlocks: 0
; NumSGPRsForWavesPerEU: 1
; NumVGPRsForWavesPerEU: 1
; NamedBarCnt: 0
; Occupancy: 16
; WaveLimiterHint : 0
; COMPUTE_PGM_RSRC2:SCRATCH_EN: 0
; COMPUTE_PGM_RSRC2:USER_SGPR: 2
; COMPUTE_PGM_RSRC2:TRAP_HANDLER: 0
; COMPUTE_PGM_RSRC2:TGID_X_EN: 1
; COMPUTE_PGM_RSRC2:TGID_Y_EN: 0
; COMPUTE_PGM_RSRC2:TGID_Z_EN: 0
; COMPUTE_PGM_RSRC2:TIDIG_COMP_CNT: 0
	.section	.text._ZN7rocprim17ROCPRIM_400000_NS6detail17trampoline_kernelINS0_14default_configENS1_36segmented_radix_sort_config_selectorIllEEZNS1_25segmented_radix_sort_implIS3_Lb0EPKlPlS8_S9_N2at6native12_GLOBAL__N_18offset_tEEE10hipError_tPvRmT1_PNSt15iterator_traitsISH_E10value_typeET2_T3_PNSI_ISN_E10value_typeET4_jRbjT5_ST_jjP12ihipStream_tbEUlT_E2_NS1_11comp_targetILNS1_3genE10ELNS1_11target_archE1200ELNS1_3gpuE4ELNS1_3repE0EEENS1_30default_config_static_selectorELNS0_4arch9wavefront6targetE0EEEvSH_,"axG",@progbits,_ZN7rocprim17ROCPRIM_400000_NS6detail17trampoline_kernelINS0_14default_configENS1_36segmented_radix_sort_config_selectorIllEEZNS1_25segmented_radix_sort_implIS3_Lb0EPKlPlS8_S9_N2at6native12_GLOBAL__N_18offset_tEEE10hipError_tPvRmT1_PNSt15iterator_traitsISH_E10value_typeET2_T3_PNSI_ISN_E10value_typeET4_jRbjT5_ST_jjP12ihipStream_tbEUlT_E2_NS1_11comp_targetILNS1_3genE10ELNS1_11target_archE1200ELNS1_3gpuE4ELNS1_3repE0EEENS1_30default_config_static_selectorELNS0_4arch9wavefront6targetE0EEEvSH_,comdat
	.globl	_ZN7rocprim17ROCPRIM_400000_NS6detail17trampoline_kernelINS0_14default_configENS1_36segmented_radix_sort_config_selectorIllEEZNS1_25segmented_radix_sort_implIS3_Lb0EPKlPlS8_S9_N2at6native12_GLOBAL__N_18offset_tEEE10hipError_tPvRmT1_PNSt15iterator_traitsISH_E10value_typeET2_T3_PNSI_ISN_E10value_typeET4_jRbjT5_ST_jjP12ihipStream_tbEUlT_E2_NS1_11comp_targetILNS1_3genE10ELNS1_11target_archE1200ELNS1_3gpuE4ELNS1_3repE0EEENS1_30default_config_static_selectorELNS0_4arch9wavefront6targetE0EEEvSH_ ; -- Begin function _ZN7rocprim17ROCPRIM_400000_NS6detail17trampoline_kernelINS0_14default_configENS1_36segmented_radix_sort_config_selectorIllEEZNS1_25segmented_radix_sort_implIS3_Lb0EPKlPlS8_S9_N2at6native12_GLOBAL__N_18offset_tEEE10hipError_tPvRmT1_PNSt15iterator_traitsISH_E10value_typeET2_T3_PNSI_ISN_E10value_typeET4_jRbjT5_ST_jjP12ihipStream_tbEUlT_E2_NS1_11comp_targetILNS1_3genE10ELNS1_11target_archE1200ELNS1_3gpuE4ELNS1_3repE0EEENS1_30default_config_static_selectorELNS0_4arch9wavefront6targetE0EEEvSH_
	.p2align	8
	.type	_ZN7rocprim17ROCPRIM_400000_NS6detail17trampoline_kernelINS0_14default_configENS1_36segmented_radix_sort_config_selectorIllEEZNS1_25segmented_radix_sort_implIS3_Lb0EPKlPlS8_S9_N2at6native12_GLOBAL__N_18offset_tEEE10hipError_tPvRmT1_PNSt15iterator_traitsISH_E10value_typeET2_T3_PNSI_ISN_E10value_typeET4_jRbjT5_ST_jjP12ihipStream_tbEUlT_E2_NS1_11comp_targetILNS1_3genE10ELNS1_11target_archE1200ELNS1_3gpuE4ELNS1_3repE0EEENS1_30default_config_static_selectorELNS0_4arch9wavefront6targetE0EEEvSH_,@function
_ZN7rocprim17ROCPRIM_400000_NS6detail17trampoline_kernelINS0_14default_configENS1_36segmented_radix_sort_config_selectorIllEEZNS1_25segmented_radix_sort_implIS3_Lb0EPKlPlS8_S9_N2at6native12_GLOBAL__N_18offset_tEEE10hipError_tPvRmT1_PNSt15iterator_traitsISH_E10value_typeET2_T3_PNSI_ISN_E10value_typeET4_jRbjT5_ST_jjP12ihipStream_tbEUlT_E2_NS1_11comp_targetILNS1_3genE10ELNS1_11target_archE1200ELNS1_3gpuE4ELNS1_3repE0EEENS1_30default_config_static_selectorELNS0_4arch9wavefront6targetE0EEEvSH_: ; @_ZN7rocprim17ROCPRIM_400000_NS6detail17trampoline_kernelINS0_14default_configENS1_36segmented_radix_sort_config_selectorIllEEZNS1_25segmented_radix_sort_implIS3_Lb0EPKlPlS8_S9_N2at6native12_GLOBAL__N_18offset_tEEE10hipError_tPvRmT1_PNSt15iterator_traitsISH_E10value_typeET2_T3_PNSI_ISN_E10value_typeET4_jRbjT5_ST_jjP12ihipStream_tbEUlT_E2_NS1_11comp_targetILNS1_3genE10ELNS1_11target_archE1200ELNS1_3gpuE4ELNS1_3repE0EEENS1_30default_config_static_selectorELNS0_4arch9wavefront6targetE0EEEvSH_
; %bb.0:
	.section	.rodata,"a",@progbits
	.p2align	6, 0x0
	.amdhsa_kernel _ZN7rocprim17ROCPRIM_400000_NS6detail17trampoline_kernelINS0_14default_configENS1_36segmented_radix_sort_config_selectorIllEEZNS1_25segmented_radix_sort_implIS3_Lb0EPKlPlS8_S9_N2at6native12_GLOBAL__N_18offset_tEEE10hipError_tPvRmT1_PNSt15iterator_traitsISH_E10value_typeET2_T3_PNSI_ISN_E10value_typeET4_jRbjT5_ST_jjP12ihipStream_tbEUlT_E2_NS1_11comp_targetILNS1_3genE10ELNS1_11target_archE1200ELNS1_3gpuE4ELNS1_3repE0EEENS1_30default_config_static_selectorELNS0_4arch9wavefront6targetE0EEEvSH_
		.amdhsa_group_segment_fixed_size 0
		.amdhsa_private_segment_fixed_size 0
		.amdhsa_kernarg_size 80
		.amdhsa_user_sgpr_count 2
		.amdhsa_user_sgpr_dispatch_ptr 0
		.amdhsa_user_sgpr_queue_ptr 0
		.amdhsa_user_sgpr_kernarg_segment_ptr 1
		.amdhsa_user_sgpr_dispatch_id 0
		.amdhsa_user_sgpr_kernarg_preload_length 0
		.amdhsa_user_sgpr_kernarg_preload_offset 0
		.amdhsa_user_sgpr_private_segment_size 0
		.amdhsa_wavefront_size32 1
		.amdhsa_uses_dynamic_stack 0
		.amdhsa_enable_private_segment 0
		.amdhsa_system_sgpr_workgroup_id_x 1
		.amdhsa_system_sgpr_workgroup_id_y 0
		.amdhsa_system_sgpr_workgroup_id_z 0
		.amdhsa_system_sgpr_workgroup_info 0
		.amdhsa_system_vgpr_workitem_id 0
		.amdhsa_next_free_vgpr 1
		.amdhsa_next_free_sgpr 1
		.amdhsa_named_barrier_count 0
		.amdhsa_reserve_vcc 0
		.amdhsa_float_round_mode_32 0
		.amdhsa_float_round_mode_16_64 0
		.amdhsa_float_denorm_mode_32 3
		.amdhsa_float_denorm_mode_16_64 3
		.amdhsa_fp16_overflow 0
		.amdhsa_memory_ordered 1
		.amdhsa_forward_progress 1
		.amdhsa_inst_pref_size 0
		.amdhsa_round_robin_scheduling 0
		.amdhsa_exception_fp_ieee_invalid_op 0
		.amdhsa_exception_fp_denorm_src 0
		.amdhsa_exception_fp_ieee_div_zero 0
		.amdhsa_exception_fp_ieee_overflow 0
		.amdhsa_exception_fp_ieee_underflow 0
		.amdhsa_exception_fp_ieee_inexact 0
		.amdhsa_exception_int_div_zero 0
	.end_amdhsa_kernel
	.section	.text._ZN7rocprim17ROCPRIM_400000_NS6detail17trampoline_kernelINS0_14default_configENS1_36segmented_radix_sort_config_selectorIllEEZNS1_25segmented_radix_sort_implIS3_Lb0EPKlPlS8_S9_N2at6native12_GLOBAL__N_18offset_tEEE10hipError_tPvRmT1_PNSt15iterator_traitsISH_E10value_typeET2_T3_PNSI_ISN_E10value_typeET4_jRbjT5_ST_jjP12ihipStream_tbEUlT_E2_NS1_11comp_targetILNS1_3genE10ELNS1_11target_archE1200ELNS1_3gpuE4ELNS1_3repE0EEENS1_30default_config_static_selectorELNS0_4arch9wavefront6targetE0EEEvSH_,"axG",@progbits,_ZN7rocprim17ROCPRIM_400000_NS6detail17trampoline_kernelINS0_14default_configENS1_36segmented_radix_sort_config_selectorIllEEZNS1_25segmented_radix_sort_implIS3_Lb0EPKlPlS8_S9_N2at6native12_GLOBAL__N_18offset_tEEE10hipError_tPvRmT1_PNSt15iterator_traitsISH_E10value_typeET2_T3_PNSI_ISN_E10value_typeET4_jRbjT5_ST_jjP12ihipStream_tbEUlT_E2_NS1_11comp_targetILNS1_3genE10ELNS1_11target_archE1200ELNS1_3gpuE4ELNS1_3repE0EEENS1_30default_config_static_selectorELNS0_4arch9wavefront6targetE0EEEvSH_,comdat
.Lfunc_end839:
	.size	_ZN7rocprim17ROCPRIM_400000_NS6detail17trampoline_kernelINS0_14default_configENS1_36segmented_radix_sort_config_selectorIllEEZNS1_25segmented_radix_sort_implIS3_Lb0EPKlPlS8_S9_N2at6native12_GLOBAL__N_18offset_tEEE10hipError_tPvRmT1_PNSt15iterator_traitsISH_E10value_typeET2_T3_PNSI_ISN_E10value_typeET4_jRbjT5_ST_jjP12ihipStream_tbEUlT_E2_NS1_11comp_targetILNS1_3genE10ELNS1_11target_archE1200ELNS1_3gpuE4ELNS1_3repE0EEENS1_30default_config_static_selectorELNS0_4arch9wavefront6targetE0EEEvSH_, .Lfunc_end839-_ZN7rocprim17ROCPRIM_400000_NS6detail17trampoline_kernelINS0_14default_configENS1_36segmented_radix_sort_config_selectorIllEEZNS1_25segmented_radix_sort_implIS3_Lb0EPKlPlS8_S9_N2at6native12_GLOBAL__N_18offset_tEEE10hipError_tPvRmT1_PNSt15iterator_traitsISH_E10value_typeET2_T3_PNSI_ISN_E10value_typeET4_jRbjT5_ST_jjP12ihipStream_tbEUlT_E2_NS1_11comp_targetILNS1_3genE10ELNS1_11target_archE1200ELNS1_3gpuE4ELNS1_3repE0EEENS1_30default_config_static_selectorELNS0_4arch9wavefront6targetE0EEEvSH_
                                        ; -- End function
	.set _ZN7rocprim17ROCPRIM_400000_NS6detail17trampoline_kernelINS0_14default_configENS1_36segmented_radix_sort_config_selectorIllEEZNS1_25segmented_radix_sort_implIS3_Lb0EPKlPlS8_S9_N2at6native12_GLOBAL__N_18offset_tEEE10hipError_tPvRmT1_PNSt15iterator_traitsISH_E10value_typeET2_T3_PNSI_ISN_E10value_typeET4_jRbjT5_ST_jjP12ihipStream_tbEUlT_E2_NS1_11comp_targetILNS1_3genE10ELNS1_11target_archE1200ELNS1_3gpuE4ELNS1_3repE0EEENS1_30default_config_static_selectorELNS0_4arch9wavefront6targetE0EEEvSH_.num_vgpr, 0
	.set _ZN7rocprim17ROCPRIM_400000_NS6detail17trampoline_kernelINS0_14default_configENS1_36segmented_radix_sort_config_selectorIllEEZNS1_25segmented_radix_sort_implIS3_Lb0EPKlPlS8_S9_N2at6native12_GLOBAL__N_18offset_tEEE10hipError_tPvRmT1_PNSt15iterator_traitsISH_E10value_typeET2_T3_PNSI_ISN_E10value_typeET4_jRbjT5_ST_jjP12ihipStream_tbEUlT_E2_NS1_11comp_targetILNS1_3genE10ELNS1_11target_archE1200ELNS1_3gpuE4ELNS1_3repE0EEENS1_30default_config_static_selectorELNS0_4arch9wavefront6targetE0EEEvSH_.num_agpr, 0
	.set _ZN7rocprim17ROCPRIM_400000_NS6detail17trampoline_kernelINS0_14default_configENS1_36segmented_radix_sort_config_selectorIllEEZNS1_25segmented_radix_sort_implIS3_Lb0EPKlPlS8_S9_N2at6native12_GLOBAL__N_18offset_tEEE10hipError_tPvRmT1_PNSt15iterator_traitsISH_E10value_typeET2_T3_PNSI_ISN_E10value_typeET4_jRbjT5_ST_jjP12ihipStream_tbEUlT_E2_NS1_11comp_targetILNS1_3genE10ELNS1_11target_archE1200ELNS1_3gpuE4ELNS1_3repE0EEENS1_30default_config_static_selectorELNS0_4arch9wavefront6targetE0EEEvSH_.numbered_sgpr, 0
	.set _ZN7rocprim17ROCPRIM_400000_NS6detail17trampoline_kernelINS0_14default_configENS1_36segmented_radix_sort_config_selectorIllEEZNS1_25segmented_radix_sort_implIS3_Lb0EPKlPlS8_S9_N2at6native12_GLOBAL__N_18offset_tEEE10hipError_tPvRmT1_PNSt15iterator_traitsISH_E10value_typeET2_T3_PNSI_ISN_E10value_typeET4_jRbjT5_ST_jjP12ihipStream_tbEUlT_E2_NS1_11comp_targetILNS1_3genE10ELNS1_11target_archE1200ELNS1_3gpuE4ELNS1_3repE0EEENS1_30default_config_static_selectorELNS0_4arch9wavefront6targetE0EEEvSH_.num_named_barrier, 0
	.set _ZN7rocprim17ROCPRIM_400000_NS6detail17trampoline_kernelINS0_14default_configENS1_36segmented_radix_sort_config_selectorIllEEZNS1_25segmented_radix_sort_implIS3_Lb0EPKlPlS8_S9_N2at6native12_GLOBAL__N_18offset_tEEE10hipError_tPvRmT1_PNSt15iterator_traitsISH_E10value_typeET2_T3_PNSI_ISN_E10value_typeET4_jRbjT5_ST_jjP12ihipStream_tbEUlT_E2_NS1_11comp_targetILNS1_3genE10ELNS1_11target_archE1200ELNS1_3gpuE4ELNS1_3repE0EEENS1_30default_config_static_selectorELNS0_4arch9wavefront6targetE0EEEvSH_.private_seg_size, 0
	.set _ZN7rocprim17ROCPRIM_400000_NS6detail17trampoline_kernelINS0_14default_configENS1_36segmented_radix_sort_config_selectorIllEEZNS1_25segmented_radix_sort_implIS3_Lb0EPKlPlS8_S9_N2at6native12_GLOBAL__N_18offset_tEEE10hipError_tPvRmT1_PNSt15iterator_traitsISH_E10value_typeET2_T3_PNSI_ISN_E10value_typeET4_jRbjT5_ST_jjP12ihipStream_tbEUlT_E2_NS1_11comp_targetILNS1_3genE10ELNS1_11target_archE1200ELNS1_3gpuE4ELNS1_3repE0EEENS1_30default_config_static_selectorELNS0_4arch9wavefront6targetE0EEEvSH_.uses_vcc, 0
	.set _ZN7rocprim17ROCPRIM_400000_NS6detail17trampoline_kernelINS0_14default_configENS1_36segmented_radix_sort_config_selectorIllEEZNS1_25segmented_radix_sort_implIS3_Lb0EPKlPlS8_S9_N2at6native12_GLOBAL__N_18offset_tEEE10hipError_tPvRmT1_PNSt15iterator_traitsISH_E10value_typeET2_T3_PNSI_ISN_E10value_typeET4_jRbjT5_ST_jjP12ihipStream_tbEUlT_E2_NS1_11comp_targetILNS1_3genE10ELNS1_11target_archE1200ELNS1_3gpuE4ELNS1_3repE0EEENS1_30default_config_static_selectorELNS0_4arch9wavefront6targetE0EEEvSH_.uses_flat_scratch, 0
	.set _ZN7rocprim17ROCPRIM_400000_NS6detail17trampoline_kernelINS0_14default_configENS1_36segmented_radix_sort_config_selectorIllEEZNS1_25segmented_radix_sort_implIS3_Lb0EPKlPlS8_S9_N2at6native12_GLOBAL__N_18offset_tEEE10hipError_tPvRmT1_PNSt15iterator_traitsISH_E10value_typeET2_T3_PNSI_ISN_E10value_typeET4_jRbjT5_ST_jjP12ihipStream_tbEUlT_E2_NS1_11comp_targetILNS1_3genE10ELNS1_11target_archE1200ELNS1_3gpuE4ELNS1_3repE0EEENS1_30default_config_static_selectorELNS0_4arch9wavefront6targetE0EEEvSH_.has_dyn_sized_stack, 0
	.set _ZN7rocprim17ROCPRIM_400000_NS6detail17trampoline_kernelINS0_14default_configENS1_36segmented_radix_sort_config_selectorIllEEZNS1_25segmented_radix_sort_implIS3_Lb0EPKlPlS8_S9_N2at6native12_GLOBAL__N_18offset_tEEE10hipError_tPvRmT1_PNSt15iterator_traitsISH_E10value_typeET2_T3_PNSI_ISN_E10value_typeET4_jRbjT5_ST_jjP12ihipStream_tbEUlT_E2_NS1_11comp_targetILNS1_3genE10ELNS1_11target_archE1200ELNS1_3gpuE4ELNS1_3repE0EEENS1_30default_config_static_selectorELNS0_4arch9wavefront6targetE0EEEvSH_.has_recursion, 0
	.set _ZN7rocprim17ROCPRIM_400000_NS6detail17trampoline_kernelINS0_14default_configENS1_36segmented_radix_sort_config_selectorIllEEZNS1_25segmented_radix_sort_implIS3_Lb0EPKlPlS8_S9_N2at6native12_GLOBAL__N_18offset_tEEE10hipError_tPvRmT1_PNSt15iterator_traitsISH_E10value_typeET2_T3_PNSI_ISN_E10value_typeET4_jRbjT5_ST_jjP12ihipStream_tbEUlT_E2_NS1_11comp_targetILNS1_3genE10ELNS1_11target_archE1200ELNS1_3gpuE4ELNS1_3repE0EEENS1_30default_config_static_selectorELNS0_4arch9wavefront6targetE0EEEvSH_.has_indirect_call, 0
	.section	.AMDGPU.csdata,"",@progbits
; Kernel info:
; codeLenInByte = 0
; TotalNumSgprs: 0
; NumVgprs: 0
; ScratchSize: 0
; MemoryBound: 0
; FloatMode: 240
; IeeeMode: 1
; LDSByteSize: 0 bytes/workgroup (compile time only)
; SGPRBlocks: 0
; VGPRBlocks: 0
; NumSGPRsForWavesPerEU: 1
; NumVGPRsForWavesPerEU: 1
; NamedBarCnt: 0
; Occupancy: 16
; WaveLimiterHint : 0
; COMPUTE_PGM_RSRC2:SCRATCH_EN: 0
; COMPUTE_PGM_RSRC2:USER_SGPR: 2
; COMPUTE_PGM_RSRC2:TRAP_HANDLER: 0
; COMPUTE_PGM_RSRC2:TGID_X_EN: 1
; COMPUTE_PGM_RSRC2:TGID_Y_EN: 0
; COMPUTE_PGM_RSRC2:TGID_Z_EN: 0
; COMPUTE_PGM_RSRC2:TIDIG_COMP_CNT: 0
	.section	.text._ZN7rocprim17ROCPRIM_400000_NS6detail17trampoline_kernelINS0_14default_configENS1_36segmented_radix_sort_config_selectorIllEEZNS1_25segmented_radix_sort_implIS3_Lb0EPKlPlS8_S9_N2at6native12_GLOBAL__N_18offset_tEEE10hipError_tPvRmT1_PNSt15iterator_traitsISH_E10value_typeET2_T3_PNSI_ISN_E10value_typeET4_jRbjT5_ST_jjP12ihipStream_tbEUlT_E2_NS1_11comp_targetILNS1_3genE9ELNS1_11target_archE1100ELNS1_3gpuE3ELNS1_3repE0EEENS1_30default_config_static_selectorELNS0_4arch9wavefront6targetE0EEEvSH_,"axG",@progbits,_ZN7rocprim17ROCPRIM_400000_NS6detail17trampoline_kernelINS0_14default_configENS1_36segmented_radix_sort_config_selectorIllEEZNS1_25segmented_radix_sort_implIS3_Lb0EPKlPlS8_S9_N2at6native12_GLOBAL__N_18offset_tEEE10hipError_tPvRmT1_PNSt15iterator_traitsISH_E10value_typeET2_T3_PNSI_ISN_E10value_typeET4_jRbjT5_ST_jjP12ihipStream_tbEUlT_E2_NS1_11comp_targetILNS1_3genE9ELNS1_11target_archE1100ELNS1_3gpuE3ELNS1_3repE0EEENS1_30default_config_static_selectorELNS0_4arch9wavefront6targetE0EEEvSH_,comdat
	.globl	_ZN7rocprim17ROCPRIM_400000_NS6detail17trampoline_kernelINS0_14default_configENS1_36segmented_radix_sort_config_selectorIllEEZNS1_25segmented_radix_sort_implIS3_Lb0EPKlPlS8_S9_N2at6native12_GLOBAL__N_18offset_tEEE10hipError_tPvRmT1_PNSt15iterator_traitsISH_E10value_typeET2_T3_PNSI_ISN_E10value_typeET4_jRbjT5_ST_jjP12ihipStream_tbEUlT_E2_NS1_11comp_targetILNS1_3genE9ELNS1_11target_archE1100ELNS1_3gpuE3ELNS1_3repE0EEENS1_30default_config_static_selectorELNS0_4arch9wavefront6targetE0EEEvSH_ ; -- Begin function _ZN7rocprim17ROCPRIM_400000_NS6detail17trampoline_kernelINS0_14default_configENS1_36segmented_radix_sort_config_selectorIllEEZNS1_25segmented_radix_sort_implIS3_Lb0EPKlPlS8_S9_N2at6native12_GLOBAL__N_18offset_tEEE10hipError_tPvRmT1_PNSt15iterator_traitsISH_E10value_typeET2_T3_PNSI_ISN_E10value_typeET4_jRbjT5_ST_jjP12ihipStream_tbEUlT_E2_NS1_11comp_targetILNS1_3genE9ELNS1_11target_archE1100ELNS1_3gpuE3ELNS1_3repE0EEENS1_30default_config_static_selectorELNS0_4arch9wavefront6targetE0EEEvSH_
	.p2align	8
	.type	_ZN7rocprim17ROCPRIM_400000_NS6detail17trampoline_kernelINS0_14default_configENS1_36segmented_radix_sort_config_selectorIllEEZNS1_25segmented_radix_sort_implIS3_Lb0EPKlPlS8_S9_N2at6native12_GLOBAL__N_18offset_tEEE10hipError_tPvRmT1_PNSt15iterator_traitsISH_E10value_typeET2_T3_PNSI_ISN_E10value_typeET4_jRbjT5_ST_jjP12ihipStream_tbEUlT_E2_NS1_11comp_targetILNS1_3genE9ELNS1_11target_archE1100ELNS1_3gpuE3ELNS1_3repE0EEENS1_30default_config_static_selectorELNS0_4arch9wavefront6targetE0EEEvSH_,@function
_ZN7rocprim17ROCPRIM_400000_NS6detail17trampoline_kernelINS0_14default_configENS1_36segmented_radix_sort_config_selectorIllEEZNS1_25segmented_radix_sort_implIS3_Lb0EPKlPlS8_S9_N2at6native12_GLOBAL__N_18offset_tEEE10hipError_tPvRmT1_PNSt15iterator_traitsISH_E10value_typeET2_T3_PNSI_ISN_E10value_typeET4_jRbjT5_ST_jjP12ihipStream_tbEUlT_E2_NS1_11comp_targetILNS1_3genE9ELNS1_11target_archE1100ELNS1_3gpuE3ELNS1_3repE0EEENS1_30default_config_static_selectorELNS0_4arch9wavefront6targetE0EEEvSH_: ; @_ZN7rocprim17ROCPRIM_400000_NS6detail17trampoline_kernelINS0_14default_configENS1_36segmented_radix_sort_config_selectorIllEEZNS1_25segmented_radix_sort_implIS3_Lb0EPKlPlS8_S9_N2at6native12_GLOBAL__N_18offset_tEEE10hipError_tPvRmT1_PNSt15iterator_traitsISH_E10value_typeET2_T3_PNSI_ISN_E10value_typeET4_jRbjT5_ST_jjP12ihipStream_tbEUlT_E2_NS1_11comp_targetILNS1_3genE9ELNS1_11target_archE1100ELNS1_3gpuE3ELNS1_3repE0EEENS1_30default_config_static_selectorELNS0_4arch9wavefront6targetE0EEEvSH_
; %bb.0:
	.section	.rodata,"a",@progbits
	.p2align	6, 0x0
	.amdhsa_kernel _ZN7rocprim17ROCPRIM_400000_NS6detail17trampoline_kernelINS0_14default_configENS1_36segmented_radix_sort_config_selectorIllEEZNS1_25segmented_radix_sort_implIS3_Lb0EPKlPlS8_S9_N2at6native12_GLOBAL__N_18offset_tEEE10hipError_tPvRmT1_PNSt15iterator_traitsISH_E10value_typeET2_T3_PNSI_ISN_E10value_typeET4_jRbjT5_ST_jjP12ihipStream_tbEUlT_E2_NS1_11comp_targetILNS1_3genE9ELNS1_11target_archE1100ELNS1_3gpuE3ELNS1_3repE0EEENS1_30default_config_static_selectorELNS0_4arch9wavefront6targetE0EEEvSH_
		.amdhsa_group_segment_fixed_size 0
		.amdhsa_private_segment_fixed_size 0
		.amdhsa_kernarg_size 80
		.amdhsa_user_sgpr_count 2
		.amdhsa_user_sgpr_dispatch_ptr 0
		.amdhsa_user_sgpr_queue_ptr 0
		.amdhsa_user_sgpr_kernarg_segment_ptr 1
		.amdhsa_user_sgpr_dispatch_id 0
		.amdhsa_user_sgpr_kernarg_preload_length 0
		.amdhsa_user_sgpr_kernarg_preload_offset 0
		.amdhsa_user_sgpr_private_segment_size 0
		.amdhsa_wavefront_size32 1
		.amdhsa_uses_dynamic_stack 0
		.amdhsa_enable_private_segment 0
		.amdhsa_system_sgpr_workgroup_id_x 1
		.amdhsa_system_sgpr_workgroup_id_y 0
		.amdhsa_system_sgpr_workgroup_id_z 0
		.amdhsa_system_sgpr_workgroup_info 0
		.amdhsa_system_vgpr_workitem_id 0
		.amdhsa_next_free_vgpr 1
		.amdhsa_next_free_sgpr 1
		.amdhsa_named_barrier_count 0
		.amdhsa_reserve_vcc 0
		.amdhsa_float_round_mode_32 0
		.amdhsa_float_round_mode_16_64 0
		.amdhsa_float_denorm_mode_32 3
		.amdhsa_float_denorm_mode_16_64 3
		.amdhsa_fp16_overflow 0
		.amdhsa_memory_ordered 1
		.amdhsa_forward_progress 1
		.amdhsa_inst_pref_size 0
		.amdhsa_round_robin_scheduling 0
		.amdhsa_exception_fp_ieee_invalid_op 0
		.amdhsa_exception_fp_denorm_src 0
		.amdhsa_exception_fp_ieee_div_zero 0
		.amdhsa_exception_fp_ieee_overflow 0
		.amdhsa_exception_fp_ieee_underflow 0
		.amdhsa_exception_fp_ieee_inexact 0
		.amdhsa_exception_int_div_zero 0
	.end_amdhsa_kernel
	.section	.text._ZN7rocprim17ROCPRIM_400000_NS6detail17trampoline_kernelINS0_14default_configENS1_36segmented_radix_sort_config_selectorIllEEZNS1_25segmented_radix_sort_implIS3_Lb0EPKlPlS8_S9_N2at6native12_GLOBAL__N_18offset_tEEE10hipError_tPvRmT1_PNSt15iterator_traitsISH_E10value_typeET2_T3_PNSI_ISN_E10value_typeET4_jRbjT5_ST_jjP12ihipStream_tbEUlT_E2_NS1_11comp_targetILNS1_3genE9ELNS1_11target_archE1100ELNS1_3gpuE3ELNS1_3repE0EEENS1_30default_config_static_selectorELNS0_4arch9wavefront6targetE0EEEvSH_,"axG",@progbits,_ZN7rocprim17ROCPRIM_400000_NS6detail17trampoline_kernelINS0_14default_configENS1_36segmented_radix_sort_config_selectorIllEEZNS1_25segmented_radix_sort_implIS3_Lb0EPKlPlS8_S9_N2at6native12_GLOBAL__N_18offset_tEEE10hipError_tPvRmT1_PNSt15iterator_traitsISH_E10value_typeET2_T3_PNSI_ISN_E10value_typeET4_jRbjT5_ST_jjP12ihipStream_tbEUlT_E2_NS1_11comp_targetILNS1_3genE9ELNS1_11target_archE1100ELNS1_3gpuE3ELNS1_3repE0EEENS1_30default_config_static_selectorELNS0_4arch9wavefront6targetE0EEEvSH_,comdat
.Lfunc_end840:
	.size	_ZN7rocprim17ROCPRIM_400000_NS6detail17trampoline_kernelINS0_14default_configENS1_36segmented_radix_sort_config_selectorIllEEZNS1_25segmented_radix_sort_implIS3_Lb0EPKlPlS8_S9_N2at6native12_GLOBAL__N_18offset_tEEE10hipError_tPvRmT1_PNSt15iterator_traitsISH_E10value_typeET2_T3_PNSI_ISN_E10value_typeET4_jRbjT5_ST_jjP12ihipStream_tbEUlT_E2_NS1_11comp_targetILNS1_3genE9ELNS1_11target_archE1100ELNS1_3gpuE3ELNS1_3repE0EEENS1_30default_config_static_selectorELNS0_4arch9wavefront6targetE0EEEvSH_, .Lfunc_end840-_ZN7rocprim17ROCPRIM_400000_NS6detail17trampoline_kernelINS0_14default_configENS1_36segmented_radix_sort_config_selectorIllEEZNS1_25segmented_radix_sort_implIS3_Lb0EPKlPlS8_S9_N2at6native12_GLOBAL__N_18offset_tEEE10hipError_tPvRmT1_PNSt15iterator_traitsISH_E10value_typeET2_T3_PNSI_ISN_E10value_typeET4_jRbjT5_ST_jjP12ihipStream_tbEUlT_E2_NS1_11comp_targetILNS1_3genE9ELNS1_11target_archE1100ELNS1_3gpuE3ELNS1_3repE0EEENS1_30default_config_static_selectorELNS0_4arch9wavefront6targetE0EEEvSH_
                                        ; -- End function
	.set _ZN7rocprim17ROCPRIM_400000_NS6detail17trampoline_kernelINS0_14default_configENS1_36segmented_radix_sort_config_selectorIllEEZNS1_25segmented_radix_sort_implIS3_Lb0EPKlPlS8_S9_N2at6native12_GLOBAL__N_18offset_tEEE10hipError_tPvRmT1_PNSt15iterator_traitsISH_E10value_typeET2_T3_PNSI_ISN_E10value_typeET4_jRbjT5_ST_jjP12ihipStream_tbEUlT_E2_NS1_11comp_targetILNS1_3genE9ELNS1_11target_archE1100ELNS1_3gpuE3ELNS1_3repE0EEENS1_30default_config_static_selectorELNS0_4arch9wavefront6targetE0EEEvSH_.num_vgpr, 0
	.set _ZN7rocprim17ROCPRIM_400000_NS6detail17trampoline_kernelINS0_14default_configENS1_36segmented_radix_sort_config_selectorIllEEZNS1_25segmented_radix_sort_implIS3_Lb0EPKlPlS8_S9_N2at6native12_GLOBAL__N_18offset_tEEE10hipError_tPvRmT1_PNSt15iterator_traitsISH_E10value_typeET2_T3_PNSI_ISN_E10value_typeET4_jRbjT5_ST_jjP12ihipStream_tbEUlT_E2_NS1_11comp_targetILNS1_3genE9ELNS1_11target_archE1100ELNS1_3gpuE3ELNS1_3repE0EEENS1_30default_config_static_selectorELNS0_4arch9wavefront6targetE0EEEvSH_.num_agpr, 0
	.set _ZN7rocprim17ROCPRIM_400000_NS6detail17trampoline_kernelINS0_14default_configENS1_36segmented_radix_sort_config_selectorIllEEZNS1_25segmented_radix_sort_implIS3_Lb0EPKlPlS8_S9_N2at6native12_GLOBAL__N_18offset_tEEE10hipError_tPvRmT1_PNSt15iterator_traitsISH_E10value_typeET2_T3_PNSI_ISN_E10value_typeET4_jRbjT5_ST_jjP12ihipStream_tbEUlT_E2_NS1_11comp_targetILNS1_3genE9ELNS1_11target_archE1100ELNS1_3gpuE3ELNS1_3repE0EEENS1_30default_config_static_selectorELNS0_4arch9wavefront6targetE0EEEvSH_.numbered_sgpr, 0
	.set _ZN7rocprim17ROCPRIM_400000_NS6detail17trampoline_kernelINS0_14default_configENS1_36segmented_radix_sort_config_selectorIllEEZNS1_25segmented_radix_sort_implIS3_Lb0EPKlPlS8_S9_N2at6native12_GLOBAL__N_18offset_tEEE10hipError_tPvRmT1_PNSt15iterator_traitsISH_E10value_typeET2_T3_PNSI_ISN_E10value_typeET4_jRbjT5_ST_jjP12ihipStream_tbEUlT_E2_NS1_11comp_targetILNS1_3genE9ELNS1_11target_archE1100ELNS1_3gpuE3ELNS1_3repE0EEENS1_30default_config_static_selectorELNS0_4arch9wavefront6targetE0EEEvSH_.num_named_barrier, 0
	.set _ZN7rocprim17ROCPRIM_400000_NS6detail17trampoline_kernelINS0_14default_configENS1_36segmented_radix_sort_config_selectorIllEEZNS1_25segmented_radix_sort_implIS3_Lb0EPKlPlS8_S9_N2at6native12_GLOBAL__N_18offset_tEEE10hipError_tPvRmT1_PNSt15iterator_traitsISH_E10value_typeET2_T3_PNSI_ISN_E10value_typeET4_jRbjT5_ST_jjP12ihipStream_tbEUlT_E2_NS1_11comp_targetILNS1_3genE9ELNS1_11target_archE1100ELNS1_3gpuE3ELNS1_3repE0EEENS1_30default_config_static_selectorELNS0_4arch9wavefront6targetE0EEEvSH_.private_seg_size, 0
	.set _ZN7rocprim17ROCPRIM_400000_NS6detail17trampoline_kernelINS0_14default_configENS1_36segmented_radix_sort_config_selectorIllEEZNS1_25segmented_radix_sort_implIS3_Lb0EPKlPlS8_S9_N2at6native12_GLOBAL__N_18offset_tEEE10hipError_tPvRmT1_PNSt15iterator_traitsISH_E10value_typeET2_T3_PNSI_ISN_E10value_typeET4_jRbjT5_ST_jjP12ihipStream_tbEUlT_E2_NS1_11comp_targetILNS1_3genE9ELNS1_11target_archE1100ELNS1_3gpuE3ELNS1_3repE0EEENS1_30default_config_static_selectorELNS0_4arch9wavefront6targetE0EEEvSH_.uses_vcc, 0
	.set _ZN7rocprim17ROCPRIM_400000_NS6detail17trampoline_kernelINS0_14default_configENS1_36segmented_radix_sort_config_selectorIllEEZNS1_25segmented_radix_sort_implIS3_Lb0EPKlPlS8_S9_N2at6native12_GLOBAL__N_18offset_tEEE10hipError_tPvRmT1_PNSt15iterator_traitsISH_E10value_typeET2_T3_PNSI_ISN_E10value_typeET4_jRbjT5_ST_jjP12ihipStream_tbEUlT_E2_NS1_11comp_targetILNS1_3genE9ELNS1_11target_archE1100ELNS1_3gpuE3ELNS1_3repE0EEENS1_30default_config_static_selectorELNS0_4arch9wavefront6targetE0EEEvSH_.uses_flat_scratch, 0
	.set _ZN7rocprim17ROCPRIM_400000_NS6detail17trampoline_kernelINS0_14default_configENS1_36segmented_radix_sort_config_selectorIllEEZNS1_25segmented_radix_sort_implIS3_Lb0EPKlPlS8_S9_N2at6native12_GLOBAL__N_18offset_tEEE10hipError_tPvRmT1_PNSt15iterator_traitsISH_E10value_typeET2_T3_PNSI_ISN_E10value_typeET4_jRbjT5_ST_jjP12ihipStream_tbEUlT_E2_NS1_11comp_targetILNS1_3genE9ELNS1_11target_archE1100ELNS1_3gpuE3ELNS1_3repE0EEENS1_30default_config_static_selectorELNS0_4arch9wavefront6targetE0EEEvSH_.has_dyn_sized_stack, 0
	.set _ZN7rocprim17ROCPRIM_400000_NS6detail17trampoline_kernelINS0_14default_configENS1_36segmented_radix_sort_config_selectorIllEEZNS1_25segmented_radix_sort_implIS3_Lb0EPKlPlS8_S9_N2at6native12_GLOBAL__N_18offset_tEEE10hipError_tPvRmT1_PNSt15iterator_traitsISH_E10value_typeET2_T3_PNSI_ISN_E10value_typeET4_jRbjT5_ST_jjP12ihipStream_tbEUlT_E2_NS1_11comp_targetILNS1_3genE9ELNS1_11target_archE1100ELNS1_3gpuE3ELNS1_3repE0EEENS1_30default_config_static_selectorELNS0_4arch9wavefront6targetE0EEEvSH_.has_recursion, 0
	.set _ZN7rocprim17ROCPRIM_400000_NS6detail17trampoline_kernelINS0_14default_configENS1_36segmented_radix_sort_config_selectorIllEEZNS1_25segmented_radix_sort_implIS3_Lb0EPKlPlS8_S9_N2at6native12_GLOBAL__N_18offset_tEEE10hipError_tPvRmT1_PNSt15iterator_traitsISH_E10value_typeET2_T3_PNSI_ISN_E10value_typeET4_jRbjT5_ST_jjP12ihipStream_tbEUlT_E2_NS1_11comp_targetILNS1_3genE9ELNS1_11target_archE1100ELNS1_3gpuE3ELNS1_3repE0EEENS1_30default_config_static_selectorELNS0_4arch9wavefront6targetE0EEEvSH_.has_indirect_call, 0
	.section	.AMDGPU.csdata,"",@progbits
; Kernel info:
; codeLenInByte = 0
; TotalNumSgprs: 0
; NumVgprs: 0
; ScratchSize: 0
; MemoryBound: 0
; FloatMode: 240
; IeeeMode: 1
; LDSByteSize: 0 bytes/workgroup (compile time only)
; SGPRBlocks: 0
; VGPRBlocks: 0
; NumSGPRsForWavesPerEU: 1
; NumVGPRsForWavesPerEU: 1
; NamedBarCnt: 0
; Occupancy: 16
; WaveLimiterHint : 0
; COMPUTE_PGM_RSRC2:SCRATCH_EN: 0
; COMPUTE_PGM_RSRC2:USER_SGPR: 2
; COMPUTE_PGM_RSRC2:TRAP_HANDLER: 0
; COMPUTE_PGM_RSRC2:TGID_X_EN: 1
; COMPUTE_PGM_RSRC2:TGID_Y_EN: 0
; COMPUTE_PGM_RSRC2:TGID_Z_EN: 0
; COMPUTE_PGM_RSRC2:TIDIG_COMP_CNT: 0
	.section	.text._ZN7rocprim17ROCPRIM_400000_NS6detail17trampoline_kernelINS0_14default_configENS1_36segmented_radix_sort_config_selectorIllEEZNS1_25segmented_radix_sort_implIS3_Lb0EPKlPlS8_S9_N2at6native12_GLOBAL__N_18offset_tEEE10hipError_tPvRmT1_PNSt15iterator_traitsISH_E10value_typeET2_T3_PNSI_ISN_E10value_typeET4_jRbjT5_ST_jjP12ihipStream_tbEUlT_E2_NS1_11comp_targetILNS1_3genE8ELNS1_11target_archE1030ELNS1_3gpuE2ELNS1_3repE0EEENS1_30default_config_static_selectorELNS0_4arch9wavefront6targetE0EEEvSH_,"axG",@progbits,_ZN7rocprim17ROCPRIM_400000_NS6detail17trampoline_kernelINS0_14default_configENS1_36segmented_radix_sort_config_selectorIllEEZNS1_25segmented_radix_sort_implIS3_Lb0EPKlPlS8_S9_N2at6native12_GLOBAL__N_18offset_tEEE10hipError_tPvRmT1_PNSt15iterator_traitsISH_E10value_typeET2_T3_PNSI_ISN_E10value_typeET4_jRbjT5_ST_jjP12ihipStream_tbEUlT_E2_NS1_11comp_targetILNS1_3genE8ELNS1_11target_archE1030ELNS1_3gpuE2ELNS1_3repE0EEENS1_30default_config_static_selectorELNS0_4arch9wavefront6targetE0EEEvSH_,comdat
	.globl	_ZN7rocprim17ROCPRIM_400000_NS6detail17trampoline_kernelINS0_14default_configENS1_36segmented_radix_sort_config_selectorIllEEZNS1_25segmented_radix_sort_implIS3_Lb0EPKlPlS8_S9_N2at6native12_GLOBAL__N_18offset_tEEE10hipError_tPvRmT1_PNSt15iterator_traitsISH_E10value_typeET2_T3_PNSI_ISN_E10value_typeET4_jRbjT5_ST_jjP12ihipStream_tbEUlT_E2_NS1_11comp_targetILNS1_3genE8ELNS1_11target_archE1030ELNS1_3gpuE2ELNS1_3repE0EEENS1_30default_config_static_selectorELNS0_4arch9wavefront6targetE0EEEvSH_ ; -- Begin function _ZN7rocprim17ROCPRIM_400000_NS6detail17trampoline_kernelINS0_14default_configENS1_36segmented_radix_sort_config_selectorIllEEZNS1_25segmented_radix_sort_implIS3_Lb0EPKlPlS8_S9_N2at6native12_GLOBAL__N_18offset_tEEE10hipError_tPvRmT1_PNSt15iterator_traitsISH_E10value_typeET2_T3_PNSI_ISN_E10value_typeET4_jRbjT5_ST_jjP12ihipStream_tbEUlT_E2_NS1_11comp_targetILNS1_3genE8ELNS1_11target_archE1030ELNS1_3gpuE2ELNS1_3repE0EEENS1_30default_config_static_selectorELNS0_4arch9wavefront6targetE0EEEvSH_
	.p2align	8
	.type	_ZN7rocprim17ROCPRIM_400000_NS6detail17trampoline_kernelINS0_14default_configENS1_36segmented_radix_sort_config_selectorIllEEZNS1_25segmented_radix_sort_implIS3_Lb0EPKlPlS8_S9_N2at6native12_GLOBAL__N_18offset_tEEE10hipError_tPvRmT1_PNSt15iterator_traitsISH_E10value_typeET2_T3_PNSI_ISN_E10value_typeET4_jRbjT5_ST_jjP12ihipStream_tbEUlT_E2_NS1_11comp_targetILNS1_3genE8ELNS1_11target_archE1030ELNS1_3gpuE2ELNS1_3repE0EEENS1_30default_config_static_selectorELNS0_4arch9wavefront6targetE0EEEvSH_,@function
_ZN7rocprim17ROCPRIM_400000_NS6detail17trampoline_kernelINS0_14default_configENS1_36segmented_radix_sort_config_selectorIllEEZNS1_25segmented_radix_sort_implIS3_Lb0EPKlPlS8_S9_N2at6native12_GLOBAL__N_18offset_tEEE10hipError_tPvRmT1_PNSt15iterator_traitsISH_E10value_typeET2_T3_PNSI_ISN_E10value_typeET4_jRbjT5_ST_jjP12ihipStream_tbEUlT_E2_NS1_11comp_targetILNS1_3genE8ELNS1_11target_archE1030ELNS1_3gpuE2ELNS1_3repE0EEENS1_30default_config_static_selectorELNS0_4arch9wavefront6targetE0EEEvSH_: ; @_ZN7rocprim17ROCPRIM_400000_NS6detail17trampoline_kernelINS0_14default_configENS1_36segmented_radix_sort_config_selectorIllEEZNS1_25segmented_radix_sort_implIS3_Lb0EPKlPlS8_S9_N2at6native12_GLOBAL__N_18offset_tEEE10hipError_tPvRmT1_PNSt15iterator_traitsISH_E10value_typeET2_T3_PNSI_ISN_E10value_typeET4_jRbjT5_ST_jjP12ihipStream_tbEUlT_E2_NS1_11comp_targetILNS1_3genE8ELNS1_11target_archE1030ELNS1_3gpuE2ELNS1_3repE0EEENS1_30default_config_static_selectorELNS0_4arch9wavefront6targetE0EEEvSH_
; %bb.0:
	.section	.rodata,"a",@progbits
	.p2align	6, 0x0
	.amdhsa_kernel _ZN7rocprim17ROCPRIM_400000_NS6detail17trampoline_kernelINS0_14default_configENS1_36segmented_radix_sort_config_selectorIllEEZNS1_25segmented_radix_sort_implIS3_Lb0EPKlPlS8_S9_N2at6native12_GLOBAL__N_18offset_tEEE10hipError_tPvRmT1_PNSt15iterator_traitsISH_E10value_typeET2_T3_PNSI_ISN_E10value_typeET4_jRbjT5_ST_jjP12ihipStream_tbEUlT_E2_NS1_11comp_targetILNS1_3genE8ELNS1_11target_archE1030ELNS1_3gpuE2ELNS1_3repE0EEENS1_30default_config_static_selectorELNS0_4arch9wavefront6targetE0EEEvSH_
		.amdhsa_group_segment_fixed_size 0
		.amdhsa_private_segment_fixed_size 0
		.amdhsa_kernarg_size 80
		.amdhsa_user_sgpr_count 2
		.amdhsa_user_sgpr_dispatch_ptr 0
		.amdhsa_user_sgpr_queue_ptr 0
		.amdhsa_user_sgpr_kernarg_segment_ptr 1
		.amdhsa_user_sgpr_dispatch_id 0
		.amdhsa_user_sgpr_kernarg_preload_length 0
		.amdhsa_user_sgpr_kernarg_preload_offset 0
		.amdhsa_user_sgpr_private_segment_size 0
		.amdhsa_wavefront_size32 1
		.amdhsa_uses_dynamic_stack 0
		.amdhsa_enable_private_segment 0
		.amdhsa_system_sgpr_workgroup_id_x 1
		.amdhsa_system_sgpr_workgroup_id_y 0
		.amdhsa_system_sgpr_workgroup_id_z 0
		.amdhsa_system_sgpr_workgroup_info 0
		.amdhsa_system_vgpr_workitem_id 0
		.amdhsa_next_free_vgpr 1
		.amdhsa_next_free_sgpr 1
		.amdhsa_named_barrier_count 0
		.amdhsa_reserve_vcc 0
		.amdhsa_float_round_mode_32 0
		.amdhsa_float_round_mode_16_64 0
		.amdhsa_float_denorm_mode_32 3
		.amdhsa_float_denorm_mode_16_64 3
		.amdhsa_fp16_overflow 0
		.amdhsa_memory_ordered 1
		.amdhsa_forward_progress 1
		.amdhsa_inst_pref_size 0
		.amdhsa_round_robin_scheduling 0
		.amdhsa_exception_fp_ieee_invalid_op 0
		.amdhsa_exception_fp_denorm_src 0
		.amdhsa_exception_fp_ieee_div_zero 0
		.amdhsa_exception_fp_ieee_overflow 0
		.amdhsa_exception_fp_ieee_underflow 0
		.amdhsa_exception_fp_ieee_inexact 0
		.amdhsa_exception_int_div_zero 0
	.end_amdhsa_kernel
	.section	.text._ZN7rocprim17ROCPRIM_400000_NS6detail17trampoline_kernelINS0_14default_configENS1_36segmented_radix_sort_config_selectorIllEEZNS1_25segmented_radix_sort_implIS3_Lb0EPKlPlS8_S9_N2at6native12_GLOBAL__N_18offset_tEEE10hipError_tPvRmT1_PNSt15iterator_traitsISH_E10value_typeET2_T3_PNSI_ISN_E10value_typeET4_jRbjT5_ST_jjP12ihipStream_tbEUlT_E2_NS1_11comp_targetILNS1_3genE8ELNS1_11target_archE1030ELNS1_3gpuE2ELNS1_3repE0EEENS1_30default_config_static_selectorELNS0_4arch9wavefront6targetE0EEEvSH_,"axG",@progbits,_ZN7rocprim17ROCPRIM_400000_NS6detail17trampoline_kernelINS0_14default_configENS1_36segmented_radix_sort_config_selectorIllEEZNS1_25segmented_radix_sort_implIS3_Lb0EPKlPlS8_S9_N2at6native12_GLOBAL__N_18offset_tEEE10hipError_tPvRmT1_PNSt15iterator_traitsISH_E10value_typeET2_T3_PNSI_ISN_E10value_typeET4_jRbjT5_ST_jjP12ihipStream_tbEUlT_E2_NS1_11comp_targetILNS1_3genE8ELNS1_11target_archE1030ELNS1_3gpuE2ELNS1_3repE0EEENS1_30default_config_static_selectorELNS0_4arch9wavefront6targetE0EEEvSH_,comdat
.Lfunc_end841:
	.size	_ZN7rocprim17ROCPRIM_400000_NS6detail17trampoline_kernelINS0_14default_configENS1_36segmented_radix_sort_config_selectorIllEEZNS1_25segmented_radix_sort_implIS3_Lb0EPKlPlS8_S9_N2at6native12_GLOBAL__N_18offset_tEEE10hipError_tPvRmT1_PNSt15iterator_traitsISH_E10value_typeET2_T3_PNSI_ISN_E10value_typeET4_jRbjT5_ST_jjP12ihipStream_tbEUlT_E2_NS1_11comp_targetILNS1_3genE8ELNS1_11target_archE1030ELNS1_3gpuE2ELNS1_3repE0EEENS1_30default_config_static_selectorELNS0_4arch9wavefront6targetE0EEEvSH_, .Lfunc_end841-_ZN7rocprim17ROCPRIM_400000_NS6detail17trampoline_kernelINS0_14default_configENS1_36segmented_radix_sort_config_selectorIllEEZNS1_25segmented_radix_sort_implIS3_Lb0EPKlPlS8_S9_N2at6native12_GLOBAL__N_18offset_tEEE10hipError_tPvRmT1_PNSt15iterator_traitsISH_E10value_typeET2_T3_PNSI_ISN_E10value_typeET4_jRbjT5_ST_jjP12ihipStream_tbEUlT_E2_NS1_11comp_targetILNS1_3genE8ELNS1_11target_archE1030ELNS1_3gpuE2ELNS1_3repE0EEENS1_30default_config_static_selectorELNS0_4arch9wavefront6targetE0EEEvSH_
                                        ; -- End function
	.set _ZN7rocprim17ROCPRIM_400000_NS6detail17trampoline_kernelINS0_14default_configENS1_36segmented_radix_sort_config_selectorIllEEZNS1_25segmented_radix_sort_implIS3_Lb0EPKlPlS8_S9_N2at6native12_GLOBAL__N_18offset_tEEE10hipError_tPvRmT1_PNSt15iterator_traitsISH_E10value_typeET2_T3_PNSI_ISN_E10value_typeET4_jRbjT5_ST_jjP12ihipStream_tbEUlT_E2_NS1_11comp_targetILNS1_3genE8ELNS1_11target_archE1030ELNS1_3gpuE2ELNS1_3repE0EEENS1_30default_config_static_selectorELNS0_4arch9wavefront6targetE0EEEvSH_.num_vgpr, 0
	.set _ZN7rocprim17ROCPRIM_400000_NS6detail17trampoline_kernelINS0_14default_configENS1_36segmented_radix_sort_config_selectorIllEEZNS1_25segmented_radix_sort_implIS3_Lb0EPKlPlS8_S9_N2at6native12_GLOBAL__N_18offset_tEEE10hipError_tPvRmT1_PNSt15iterator_traitsISH_E10value_typeET2_T3_PNSI_ISN_E10value_typeET4_jRbjT5_ST_jjP12ihipStream_tbEUlT_E2_NS1_11comp_targetILNS1_3genE8ELNS1_11target_archE1030ELNS1_3gpuE2ELNS1_3repE0EEENS1_30default_config_static_selectorELNS0_4arch9wavefront6targetE0EEEvSH_.num_agpr, 0
	.set _ZN7rocprim17ROCPRIM_400000_NS6detail17trampoline_kernelINS0_14default_configENS1_36segmented_radix_sort_config_selectorIllEEZNS1_25segmented_radix_sort_implIS3_Lb0EPKlPlS8_S9_N2at6native12_GLOBAL__N_18offset_tEEE10hipError_tPvRmT1_PNSt15iterator_traitsISH_E10value_typeET2_T3_PNSI_ISN_E10value_typeET4_jRbjT5_ST_jjP12ihipStream_tbEUlT_E2_NS1_11comp_targetILNS1_3genE8ELNS1_11target_archE1030ELNS1_3gpuE2ELNS1_3repE0EEENS1_30default_config_static_selectorELNS0_4arch9wavefront6targetE0EEEvSH_.numbered_sgpr, 0
	.set _ZN7rocprim17ROCPRIM_400000_NS6detail17trampoline_kernelINS0_14default_configENS1_36segmented_radix_sort_config_selectorIllEEZNS1_25segmented_radix_sort_implIS3_Lb0EPKlPlS8_S9_N2at6native12_GLOBAL__N_18offset_tEEE10hipError_tPvRmT1_PNSt15iterator_traitsISH_E10value_typeET2_T3_PNSI_ISN_E10value_typeET4_jRbjT5_ST_jjP12ihipStream_tbEUlT_E2_NS1_11comp_targetILNS1_3genE8ELNS1_11target_archE1030ELNS1_3gpuE2ELNS1_3repE0EEENS1_30default_config_static_selectorELNS0_4arch9wavefront6targetE0EEEvSH_.num_named_barrier, 0
	.set _ZN7rocprim17ROCPRIM_400000_NS6detail17trampoline_kernelINS0_14default_configENS1_36segmented_radix_sort_config_selectorIllEEZNS1_25segmented_radix_sort_implIS3_Lb0EPKlPlS8_S9_N2at6native12_GLOBAL__N_18offset_tEEE10hipError_tPvRmT1_PNSt15iterator_traitsISH_E10value_typeET2_T3_PNSI_ISN_E10value_typeET4_jRbjT5_ST_jjP12ihipStream_tbEUlT_E2_NS1_11comp_targetILNS1_3genE8ELNS1_11target_archE1030ELNS1_3gpuE2ELNS1_3repE0EEENS1_30default_config_static_selectorELNS0_4arch9wavefront6targetE0EEEvSH_.private_seg_size, 0
	.set _ZN7rocprim17ROCPRIM_400000_NS6detail17trampoline_kernelINS0_14default_configENS1_36segmented_radix_sort_config_selectorIllEEZNS1_25segmented_radix_sort_implIS3_Lb0EPKlPlS8_S9_N2at6native12_GLOBAL__N_18offset_tEEE10hipError_tPvRmT1_PNSt15iterator_traitsISH_E10value_typeET2_T3_PNSI_ISN_E10value_typeET4_jRbjT5_ST_jjP12ihipStream_tbEUlT_E2_NS1_11comp_targetILNS1_3genE8ELNS1_11target_archE1030ELNS1_3gpuE2ELNS1_3repE0EEENS1_30default_config_static_selectorELNS0_4arch9wavefront6targetE0EEEvSH_.uses_vcc, 0
	.set _ZN7rocprim17ROCPRIM_400000_NS6detail17trampoline_kernelINS0_14default_configENS1_36segmented_radix_sort_config_selectorIllEEZNS1_25segmented_radix_sort_implIS3_Lb0EPKlPlS8_S9_N2at6native12_GLOBAL__N_18offset_tEEE10hipError_tPvRmT1_PNSt15iterator_traitsISH_E10value_typeET2_T3_PNSI_ISN_E10value_typeET4_jRbjT5_ST_jjP12ihipStream_tbEUlT_E2_NS1_11comp_targetILNS1_3genE8ELNS1_11target_archE1030ELNS1_3gpuE2ELNS1_3repE0EEENS1_30default_config_static_selectorELNS0_4arch9wavefront6targetE0EEEvSH_.uses_flat_scratch, 0
	.set _ZN7rocprim17ROCPRIM_400000_NS6detail17trampoline_kernelINS0_14default_configENS1_36segmented_radix_sort_config_selectorIllEEZNS1_25segmented_radix_sort_implIS3_Lb0EPKlPlS8_S9_N2at6native12_GLOBAL__N_18offset_tEEE10hipError_tPvRmT1_PNSt15iterator_traitsISH_E10value_typeET2_T3_PNSI_ISN_E10value_typeET4_jRbjT5_ST_jjP12ihipStream_tbEUlT_E2_NS1_11comp_targetILNS1_3genE8ELNS1_11target_archE1030ELNS1_3gpuE2ELNS1_3repE0EEENS1_30default_config_static_selectorELNS0_4arch9wavefront6targetE0EEEvSH_.has_dyn_sized_stack, 0
	.set _ZN7rocprim17ROCPRIM_400000_NS6detail17trampoline_kernelINS0_14default_configENS1_36segmented_radix_sort_config_selectorIllEEZNS1_25segmented_radix_sort_implIS3_Lb0EPKlPlS8_S9_N2at6native12_GLOBAL__N_18offset_tEEE10hipError_tPvRmT1_PNSt15iterator_traitsISH_E10value_typeET2_T3_PNSI_ISN_E10value_typeET4_jRbjT5_ST_jjP12ihipStream_tbEUlT_E2_NS1_11comp_targetILNS1_3genE8ELNS1_11target_archE1030ELNS1_3gpuE2ELNS1_3repE0EEENS1_30default_config_static_selectorELNS0_4arch9wavefront6targetE0EEEvSH_.has_recursion, 0
	.set _ZN7rocprim17ROCPRIM_400000_NS6detail17trampoline_kernelINS0_14default_configENS1_36segmented_radix_sort_config_selectorIllEEZNS1_25segmented_radix_sort_implIS3_Lb0EPKlPlS8_S9_N2at6native12_GLOBAL__N_18offset_tEEE10hipError_tPvRmT1_PNSt15iterator_traitsISH_E10value_typeET2_T3_PNSI_ISN_E10value_typeET4_jRbjT5_ST_jjP12ihipStream_tbEUlT_E2_NS1_11comp_targetILNS1_3genE8ELNS1_11target_archE1030ELNS1_3gpuE2ELNS1_3repE0EEENS1_30default_config_static_selectorELNS0_4arch9wavefront6targetE0EEEvSH_.has_indirect_call, 0
	.section	.AMDGPU.csdata,"",@progbits
; Kernel info:
; codeLenInByte = 0
; TotalNumSgprs: 0
; NumVgprs: 0
; ScratchSize: 0
; MemoryBound: 0
; FloatMode: 240
; IeeeMode: 1
; LDSByteSize: 0 bytes/workgroup (compile time only)
; SGPRBlocks: 0
; VGPRBlocks: 0
; NumSGPRsForWavesPerEU: 1
; NumVGPRsForWavesPerEU: 1
; NamedBarCnt: 0
; Occupancy: 16
; WaveLimiterHint : 0
; COMPUTE_PGM_RSRC2:SCRATCH_EN: 0
; COMPUTE_PGM_RSRC2:USER_SGPR: 2
; COMPUTE_PGM_RSRC2:TRAP_HANDLER: 0
; COMPUTE_PGM_RSRC2:TGID_X_EN: 1
; COMPUTE_PGM_RSRC2:TGID_Y_EN: 0
; COMPUTE_PGM_RSRC2:TGID_Z_EN: 0
; COMPUTE_PGM_RSRC2:TIDIG_COMP_CNT: 0
	.section	.text._ZN2at6native12_GLOBAL__N_123sort_postprocess_kernelIsEEvPKT_PS3_PlPK15HIP_vector_typeIiLj2EEii,"axG",@progbits,_ZN2at6native12_GLOBAL__N_123sort_postprocess_kernelIsEEvPKT_PS3_PlPK15HIP_vector_typeIiLj2EEii,comdat
	.globl	_ZN2at6native12_GLOBAL__N_123sort_postprocess_kernelIsEEvPKT_PS3_PlPK15HIP_vector_typeIiLj2EEii ; -- Begin function _ZN2at6native12_GLOBAL__N_123sort_postprocess_kernelIsEEvPKT_PS3_PlPK15HIP_vector_typeIiLj2EEii
	.p2align	8
	.type	_ZN2at6native12_GLOBAL__N_123sort_postprocess_kernelIsEEvPKT_PS3_PlPK15HIP_vector_typeIiLj2EEii,@function
_ZN2at6native12_GLOBAL__N_123sort_postprocess_kernelIsEEvPKT_PS3_PlPK15HIP_vector_typeIiLj2EEii: ; @_ZN2at6native12_GLOBAL__N_123sort_postprocess_kernelIsEEvPKT_PS3_PlPK15HIP_vector_typeIiLj2EEii
; %bb.0:
	s_clause 0x1
	s_load_b32 s2, s[0:1], 0x34
	s_load_b64 s[4:5], s[0:1], 0x20
	s_bfe_u32 s7, ttmp6, 0x4000c
	s_and_b32 s6, ttmp6, 15
	s_add_co_i32 s7, s7, 1
	s_getreg_b32 s8, hwreg(HW_REG_IB_STS2, 6, 4)
	s_mul_i32 s7, ttmp9, s7
	s_mov_b32 s3, 0
	s_add_co_i32 s6, s6, s7
	s_cmp_eq_u32 s8, 0
	v_mov_b32_e32 v1, 0
	s_mov_b32 s19, s3
	s_cselect_b32 s18, ttmp9, s6
	s_mov_b32 s17, s3
	s_wait_kmcnt 0x0
	s_and_b32 s16, s2, 0xffff
	s_mul_i32 s14, s5, s4
	s_mul_u64 s[12:13], s[16:17], s[18:19]
	s_ashr_i32 s15, s14, 31
	v_add_nc_u64_e32 v[2:3], s[12:13], v[0:1]
	s_mov_b32 s2, exec_lo
	s_delay_alu instid0(VALU_DEP_1)
	v_cmpx_gt_i64_e64 s[14:15], v[2:3]
	s_cbranch_execz .LBB842_3
; %bb.1:
	s_abs_i32 s17, s5
	s_add_nc_u64 s[20:21], s[0:1], 40
	s_cvt_f32_u32 s2, s17
	s_sub_co_i32 s19, 0, s17
	s_mul_i32 s18, s18, s16
	s_delay_alu instid0(SALU_CYCLE_1)
	v_rcp_iflag_f32_e32 v2, s2
	s_load_b32 s2, s[20:21], 0x0
	s_load_b256 s[4:11], s[0:1], 0x0
	s_wait_xcnt 0x0
	s_mov_b32 s1, s3
	v_nop
	s_delay_alu instid0(TRANS32_DEP_1) | instskip(SKIP_2) | instid1(SALU_CYCLE_3)
	v_readfirstlane_b32 s0, v2
	v_mov_b64_e32 v[2:3], v[0:1]
	s_mul_f32 s0, s0, 0x4f7ffffe
	s_cvt_u32_f32 s0, s0
	s_wait_kmcnt 0x0
	s_mul_i32 s2, s2, s16
	s_delay_alu instid0(SALU_CYCLE_1) | instskip(SKIP_2) | instid1(SALU_CYCLE_1)
	s_mul_i32 s19, s19, s0
	s_mov_b32 s16, s3
	s_mul_hi_u32 s19, s0, s19
	s_add_co_i32 s0, s0, s19
.LBB842_2:                              ; =>This Inner Loop Header: Depth=1
	v_add_nc_u32_e32 v6, s18, v2
	v_add_nc_u64_e32 v[2:3], s[2:3], v[2:3]
	s_delay_alu instid0(VALU_DEP_2) | instskip(NEXT) | instid1(VALU_DEP_1)
	v_sub_nc_u32_e32 v0, 0, v6
	v_max_i32_e32 v0, v6, v0
	s_delay_alu instid0(VALU_DEP_1) | instskip(NEXT) | instid1(VALU_DEP_1)
	v_mul_u64_e32 v[4:5], s[0:1], v[0:1]
	v_mul_lo_u32 v4, v5, s17
	s_delay_alu instid0(VALU_DEP_1) | instskip(NEXT) | instid1(VALU_DEP_1)
	v_dual_sub_nc_u32 v0, v0, v4 :: v_dual_ashrrev_i32 v7, 31, v6
	v_subrev_nc_u32_e32 v4, s17, v0
	v_cmp_le_u32_e32 vcc_lo, s17, v0
	s_delay_alu instid0(VALU_DEP_2) | instskip(NEXT) | instid1(VALU_DEP_1)
	v_cndmask_b32_e32 v0, v0, v4, vcc_lo
	v_subrev_nc_u32_e32 v4, s17, v0
	v_cmp_le_u32_e32 vcc_lo, s17, v0
	s_delay_alu instid0(VALU_DEP_2) | instskip(NEXT) | instid1(VALU_DEP_1)
	v_dual_cndmask_b32 v0, v0, v4, vcc_lo :: v_dual_add_nc_u32 v4, v6, v7
	v_xor_b32_e32 v0, v0, v7
	s_delay_alu instid0(VALU_DEP_1) | instskip(NEXT) | instid1(VALU_DEP_1)
	v_sub_nc_u32_e32 v4, v4, v0
	v_dual_sub_nc_u32 v6, v0, v7 :: v_dual_ashrrev_i32 v5, 31, v4
	s_delay_alu instid0(VALU_DEP_1) | instskip(NEXT) | instid1(VALU_DEP_2)
	v_ashrrev_i32_e32 v7, 31, v6
	v_lshlrev_b64_e32 v[8:9], 3, v[4:5]
	s_delay_alu instid0(VALU_DEP_2) | instskip(SKIP_1) | instid1(VALU_DEP_3)
	v_lshlrev_b64_e32 v[10:11], 3, v[6:7]
	v_lshlrev_b64_e32 v[4:5], 1, v[4:5]
	v_add_nc_u64_e32 v[12:13], s[10:11], v[8:9]
	v_add_nc_u64_e32 v[8:9], s[8:9], v[8:9]
	s_delay_alu instid0(VALU_DEP_3) | instskip(SKIP_1) | instid1(VALU_DEP_4)
	v_add_nc_u64_e32 v[14:15], s[4:5], v[4:5]
	v_add_nc_u64_e32 v[4:5], s[6:7], v[4:5]
	;; [unrolled: 1-line block ×3, first 2 shown]
	s_delay_alu instid0(VALU_DEP_4) | instskip(NEXT) | instid1(VALU_DEP_3)
	v_add_nc_u64_e32 v[8:9], v[8:9], v[10:11]
	v_lshl_add_u64 v[4:5], v[6:7], 1, v[4:5]
	global_load_b32 v12, v[12:13], off offset:4
	s_wait_loadcnt 0x0
	s_wait_xcnt 0x0
	v_ashrrev_i32_e32 v13, 31, v12
	s_delay_alu instid0(VALU_DEP_1)
	v_lshl_add_u64 v[14:15], v[12:13], 1, v[14:15]
	global_load_u16 v0, v[14:15], off
	s_wait_xcnt 0x0
	v_add_nc_u64_e32 v[14:15], s[12:13], v[2:3]
	global_store_b64 v[8:9], v[12:13], off
	s_wait_loadcnt 0x0
	global_store_b16 v[4:5], v0, off
	v_cmp_le_i64_e32 vcc_lo, s[14:15], v[14:15]
	s_or_b32 s16, vcc_lo, s16
	s_wait_xcnt 0x0
	s_and_not1_b32 exec_lo, exec_lo, s16
	s_cbranch_execnz .LBB842_2
.LBB842_3:
	s_endpgm
	.section	.rodata,"a",@progbits
	.p2align	6, 0x0
	.amdhsa_kernel _ZN2at6native12_GLOBAL__N_123sort_postprocess_kernelIsEEvPKT_PS3_PlPK15HIP_vector_typeIiLj2EEii
		.amdhsa_group_segment_fixed_size 0
		.amdhsa_private_segment_fixed_size 0
		.amdhsa_kernarg_size 296
		.amdhsa_user_sgpr_count 2
		.amdhsa_user_sgpr_dispatch_ptr 0
		.amdhsa_user_sgpr_queue_ptr 0
		.amdhsa_user_sgpr_kernarg_segment_ptr 1
		.amdhsa_user_sgpr_dispatch_id 0
		.amdhsa_user_sgpr_kernarg_preload_length 0
		.amdhsa_user_sgpr_kernarg_preload_offset 0
		.amdhsa_user_sgpr_private_segment_size 0
		.amdhsa_wavefront_size32 1
		.amdhsa_uses_dynamic_stack 0
		.amdhsa_enable_private_segment 0
		.amdhsa_system_sgpr_workgroup_id_x 1
		.amdhsa_system_sgpr_workgroup_id_y 0
		.amdhsa_system_sgpr_workgroup_id_z 0
		.amdhsa_system_sgpr_workgroup_info 0
		.amdhsa_system_vgpr_workitem_id 0
		.amdhsa_next_free_vgpr 16
		.amdhsa_next_free_sgpr 22
		.amdhsa_named_barrier_count 0
		.amdhsa_reserve_vcc 1
		.amdhsa_float_round_mode_32 0
		.amdhsa_float_round_mode_16_64 0
		.amdhsa_float_denorm_mode_32 3
		.amdhsa_float_denorm_mode_16_64 3
		.amdhsa_fp16_overflow 0
		.amdhsa_memory_ordered 1
		.amdhsa_forward_progress 1
		.amdhsa_inst_pref_size 5
		.amdhsa_round_robin_scheduling 0
		.amdhsa_exception_fp_ieee_invalid_op 0
		.amdhsa_exception_fp_denorm_src 0
		.amdhsa_exception_fp_ieee_div_zero 0
		.amdhsa_exception_fp_ieee_overflow 0
		.amdhsa_exception_fp_ieee_underflow 0
		.amdhsa_exception_fp_ieee_inexact 0
		.amdhsa_exception_int_div_zero 0
	.end_amdhsa_kernel
	.section	.text._ZN2at6native12_GLOBAL__N_123sort_postprocess_kernelIsEEvPKT_PS3_PlPK15HIP_vector_typeIiLj2EEii,"axG",@progbits,_ZN2at6native12_GLOBAL__N_123sort_postprocess_kernelIsEEvPKT_PS3_PlPK15HIP_vector_typeIiLj2EEii,comdat
.Lfunc_end842:
	.size	_ZN2at6native12_GLOBAL__N_123sort_postprocess_kernelIsEEvPKT_PS3_PlPK15HIP_vector_typeIiLj2EEii, .Lfunc_end842-_ZN2at6native12_GLOBAL__N_123sort_postprocess_kernelIsEEvPKT_PS3_PlPK15HIP_vector_typeIiLj2EEii
                                        ; -- End function
	.set _ZN2at6native12_GLOBAL__N_123sort_postprocess_kernelIsEEvPKT_PS3_PlPK15HIP_vector_typeIiLj2EEii.num_vgpr, 16
	.set _ZN2at6native12_GLOBAL__N_123sort_postprocess_kernelIsEEvPKT_PS3_PlPK15HIP_vector_typeIiLj2EEii.num_agpr, 0
	.set _ZN2at6native12_GLOBAL__N_123sort_postprocess_kernelIsEEvPKT_PS3_PlPK15HIP_vector_typeIiLj2EEii.numbered_sgpr, 22
	.set _ZN2at6native12_GLOBAL__N_123sort_postprocess_kernelIsEEvPKT_PS3_PlPK15HIP_vector_typeIiLj2EEii.num_named_barrier, 0
	.set _ZN2at6native12_GLOBAL__N_123sort_postprocess_kernelIsEEvPKT_PS3_PlPK15HIP_vector_typeIiLj2EEii.private_seg_size, 0
	.set _ZN2at6native12_GLOBAL__N_123sort_postprocess_kernelIsEEvPKT_PS3_PlPK15HIP_vector_typeIiLj2EEii.uses_vcc, 1
	.set _ZN2at6native12_GLOBAL__N_123sort_postprocess_kernelIsEEvPKT_PS3_PlPK15HIP_vector_typeIiLj2EEii.uses_flat_scratch, 0
	.set _ZN2at6native12_GLOBAL__N_123sort_postprocess_kernelIsEEvPKT_PS3_PlPK15HIP_vector_typeIiLj2EEii.has_dyn_sized_stack, 0
	.set _ZN2at6native12_GLOBAL__N_123sort_postprocess_kernelIsEEvPKT_PS3_PlPK15HIP_vector_typeIiLj2EEii.has_recursion, 0
	.set _ZN2at6native12_GLOBAL__N_123sort_postprocess_kernelIsEEvPKT_PS3_PlPK15HIP_vector_typeIiLj2EEii.has_indirect_call, 0
	.section	.AMDGPU.csdata,"",@progbits
; Kernel info:
; codeLenInByte = 516
; TotalNumSgprs: 24
; NumVgprs: 16
; ScratchSize: 0
; MemoryBound: 0
; FloatMode: 240
; IeeeMode: 1
; LDSByteSize: 0 bytes/workgroup (compile time only)
; SGPRBlocks: 0
; VGPRBlocks: 0
; NumSGPRsForWavesPerEU: 24
; NumVGPRsForWavesPerEU: 16
; NamedBarCnt: 0
; Occupancy: 16
; WaveLimiterHint : 1
; COMPUTE_PGM_RSRC2:SCRATCH_EN: 0
; COMPUTE_PGM_RSRC2:USER_SGPR: 2
; COMPUTE_PGM_RSRC2:TRAP_HANDLER: 0
; COMPUTE_PGM_RSRC2:TGID_X_EN: 1
; COMPUTE_PGM_RSRC2:TGID_Y_EN: 0
; COMPUTE_PGM_RSRC2:TGID_Z_EN: 0
; COMPUTE_PGM_RSRC2:TIDIG_COMP_CNT: 0
	.section	.text._ZN7rocprim17ROCPRIM_400000_NS6detail17trampoline_kernelINS0_13select_configILj256ELj13ELNS0_17block_load_methodE3ELS4_3ELS4_3ELNS0_20block_scan_algorithmE0ELj4294967295EEENS1_25partition_config_selectorILNS1_17partition_subalgoE4EjNS0_10empty_typeEbEEZZNS1_14partition_implILS8_4ELb0ES6_15HIP_vector_typeIjLj2EENS0_17counting_iteratorIjlEEPS9_SG_NS0_5tupleIJPjSI_NS0_16reverse_iteratorISI_EEEEENSH_IJSG_SG_SG_EEES9_SI_JZNS1_25segmented_radix_sort_implINS0_14default_configELb1EPKsPsPKlPlN2at6native12_GLOBAL__N_18offset_tEEE10hipError_tPvRmT1_PNSt15iterator_traitsIS12_E10value_typeET2_T3_PNS13_IS18_E10value_typeET4_jRbjT5_S1E_jjP12ihipStream_tbEUljE_ZNSN_ISO_Lb1ESQ_SR_ST_SU_SY_EESZ_S10_S11_S12_S16_S17_S18_S1B_S1C_jS1D_jS1E_S1E_jjS1G_bEUljE0_EEESZ_S10_S11_S18_S1C_S1E_T6_T7_T9_mT8_S1G_bDpT10_ENKUlT_T0_E_clISt17integral_constantIbLb0EES1U_EEDaS1P_S1Q_EUlS1P_E_NS1_11comp_targetILNS1_3genE0ELNS1_11target_archE4294967295ELNS1_3gpuE0ELNS1_3repE0EEENS1_30default_config_static_selectorELNS0_4arch9wavefront6targetE0EEEvS12_,"axG",@progbits,_ZN7rocprim17ROCPRIM_400000_NS6detail17trampoline_kernelINS0_13select_configILj256ELj13ELNS0_17block_load_methodE3ELS4_3ELS4_3ELNS0_20block_scan_algorithmE0ELj4294967295EEENS1_25partition_config_selectorILNS1_17partition_subalgoE4EjNS0_10empty_typeEbEEZZNS1_14partition_implILS8_4ELb0ES6_15HIP_vector_typeIjLj2EENS0_17counting_iteratorIjlEEPS9_SG_NS0_5tupleIJPjSI_NS0_16reverse_iteratorISI_EEEEENSH_IJSG_SG_SG_EEES9_SI_JZNS1_25segmented_radix_sort_implINS0_14default_configELb1EPKsPsPKlPlN2at6native12_GLOBAL__N_18offset_tEEE10hipError_tPvRmT1_PNSt15iterator_traitsIS12_E10value_typeET2_T3_PNS13_IS18_E10value_typeET4_jRbjT5_S1E_jjP12ihipStream_tbEUljE_ZNSN_ISO_Lb1ESQ_SR_ST_SU_SY_EESZ_S10_S11_S12_S16_S17_S18_S1B_S1C_jS1D_jS1E_S1E_jjS1G_bEUljE0_EEESZ_S10_S11_S18_S1C_S1E_T6_T7_T9_mT8_S1G_bDpT10_ENKUlT_T0_E_clISt17integral_constantIbLb0EES1U_EEDaS1P_S1Q_EUlS1P_E_NS1_11comp_targetILNS1_3genE0ELNS1_11target_archE4294967295ELNS1_3gpuE0ELNS1_3repE0EEENS1_30default_config_static_selectorELNS0_4arch9wavefront6targetE0EEEvS12_,comdat
	.globl	_ZN7rocprim17ROCPRIM_400000_NS6detail17trampoline_kernelINS0_13select_configILj256ELj13ELNS0_17block_load_methodE3ELS4_3ELS4_3ELNS0_20block_scan_algorithmE0ELj4294967295EEENS1_25partition_config_selectorILNS1_17partition_subalgoE4EjNS0_10empty_typeEbEEZZNS1_14partition_implILS8_4ELb0ES6_15HIP_vector_typeIjLj2EENS0_17counting_iteratorIjlEEPS9_SG_NS0_5tupleIJPjSI_NS0_16reverse_iteratorISI_EEEEENSH_IJSG_SG_SG_EEES9_SI_JZNS1_25segmented_radix_sort_implINS0_14default_configELb1EPKsPsPKlPlN2at6native12_GLOBAL__N_18offset_tEEE10hipError_tPvRmT1_PNSt15iterator_traitsIS12_E10value_typeET2_T3_PNS13_IS18_E10value_typeET4_jRbjT5_S1E_jjP12ihipStream_tbEUljE_ZNSN_ISO_Lb1ESQ_SR_ST_SU_SY_EESZ_S10_S11_S12_S16_S17_S18_S1B_S1C_jS1D_jS1E_S1E_jjS1G_bEUljE0_EEESZ_S10_S11_S18_S1C_S1E_T6_T7_T9_mT8_S1G_bDpT10_ENKUlT_T0_E_clISt17integral_constantIbLb0EES1U_EEDaS1P_S1Q_EUlS1P_E_NS1_11comp_targetILNS1_3genE0ELNS1_11target_archE4294967295ELNS1_3gpuE0ELNS1_3repE0EEENS1_30default_config_static_selectorELNS0_4arch9wavefront6targetE0EEEvS12_ ; -- Begin function _ZN7rocprim17ROCPRIM_400000_NS6detail17trampoline_kernelINS0_13select_configILj256ELj13ELNS0_17block_load_methodE3ELS4_3ELS4_3ELNS0_20block_scan_algorithmE0ELj4294967295EEENS1_25partition_config_selectorILNS1_17partition_subalgoE4EjNS0_10empty_typeEbEEZZNS1_14partition_implILS8_4ELb0ES6_15HIP_vector_typeIjLj2EENS0_17counting_iteratorIjlEEPS9_SG_NS0_5tupleIJPjSI_NS0_16reverse_iteratorISI_EEEEENSH_IJSG_SG_SG_EEES9_SI_JZNS1_25segmented_radix_sort_implINS0_14default_configELb1EPKsPsPKlPlN2at6native12_GLOBAL__N_18offset_tEEE10hipError_tPvRmT1_PNSt15iterator_traitsIS12_E10value_typeET2_T3_PNS13_IS18_E10value_typeET4_jRbjT5_S1E_jjP12ihipStream_tbEUljE_ZNSN_ISO_Lb1ESQ_SR_ST_SU_SY_EESZ_S10_S11_S12_S16_S17_S18_S1B_S1C_jS1D_jS1E_S1E_jjS1G_bEUljE0_EEESZ_S10_S11_S18_S1C_S1E_T6_T7_T9_mT8_S1G_bDpT10_ENKUlT_T0_E_clISt17integral_constantIbLb0EES1U_EEDaS1P_S1Q_EUlS1P_E_NS1_11comp_targetILNS1_3genE0ELNS1_11target_archE4294967295ELNS1_3gpuE0ELNS1_3repE0EEENS1_30default_config_static_selectorELNS0_4arch9wavefront6targetE0EEEvS12_
	.p2align	8
	.type	_ZN7rocprim17ROCPRIM_400000_NS6detail17trampoline_kernelINS0_13select_configILj256ELj13ELNS0_17block_load_methodE3ELS4_3ELS4_3ELNS0_20block_scan_algorithmE0ELj4294967295EEENS1_25partition_config_selectorILNS1_17partition_subalgoE4EjNS0_10empty_typeEbEEZZNS1_14partition_implILS8_4ELb0ES6_15HIP_vector_typeIjLj2EENS0_17counting_iteratorIjlEEPS9_SG_NS0_5tupleIJPjSI_NS0_16reverse_iteratorISI_EEEEENSH_IJSG_SG_SG_EEES9_SI_JZNS1_25segmented_radix_sort_implINS0_14default_configELb1EPKsPsPKlPlN2at6native12_GLOBAL__N_18offset_tEEE10hipError_tPvRmT1_PNSt15iterator_traitsIS12_E10value_typeET2_T3_PNS13_IS18_E10value_typeET4_jRbjT5_S1E_jjP12ihipStream_tbEUljE_ZNSN_ISO_Lb1ESQ_SR_ST_SU_SY_EESZ_S10_S11_S12_S16_S17_S18_S1B_S1C_jS1D_jS1E_S1E_jjS1G_bEUljE0_EEESZ_S10_S11_S18_S1C_S1E_T6_T7_T9_mT8_S1G_bDpT10_ENKUlT_T0_E_clISt17integral_constantIbLb0EES1U_EEDaS1P_S1Q_EUlS1P_E_NS1_11comp_targetILNS1_3genE0ELNS1_11target_archE4294967295ELNS1_3gpuE0ELNS1_3repE0EEENS1_30default_config_static_selectorELNS0_4arch9wavefront6targetE0EEEvS12_,@function
_ZN7rocprim17ROCPRIM_400000_NS6detail17trampoline_kernelINS0_13select_configILj256ELj13ELNS0_17block_load_methodE3ELS4_3ELS4_3ELNS0_20block_scan_algorithmE0ELj4294967295EEENS1_25partition_config_selectorILNS1_17partition_subalgoE4EjNS0_10empty_typeEbEEZZNS1_14partition_implILS8_4ELb0ES6_15HIP_vector_typeIjLj2EENS0_17counting_iteratorIjlEEPS9_SG_NS0_5tupleIJPjSI_NS0_16reverse_iteratorISI_EEEEENSH_IJSG_SG_SG_EEES9_SI_JZNS1_25segmented_radix_sort_implINS0_14default_configELb1EPKsPsPKlPlN2at6native12_GLOBAL__N_18offset_tEEE10hipError_tPvRmT1_PNSt15iterator_traitsIS12_E10value_typeET2_T3_PNS13_IS18_E10value_typeET4_jRbjT5_S1E_jjP12ihipStream_tbEUljE_ZNSN_ISO_Lb1ESQ_SR_ST_SU_SY_EESZ_S10_S11_S12_S16_S17_S18_S1B_S1C_jS1D_jS1E_S1E_jjS1G_bEUljE0_EEESZ_S10_S11_S18_S1C_S1E_T6_T7_T9_mT8_S1G_bDpT10_ENKUlT_T0_E_clISt17integral_constantIbLb0EES1U_EEDaS1P_S1Q_EUlS1P_E_NS1_11comp_targetILNS1_3genE0ELNS1_11target_archE4294967295ELNS1_3gpuE0ELNS1_3repE0EEENS1_30default_config_static_selectorELNS0_4arch9wavefront6targetE0EEEvS12_: ; @_ZN7rocprim17ROCPRIM_400000_NS6detail17trampoline_kernelINS0_13select_configILj256ELj13ELNS0_17block_load_methodE3ELS4_3ELS4_3ELNS0_20block_scan_algorithmE0ELj4294967295EEENS1_25partition_config_selectorILNS1_17partition_subalgoE4EjNS0_10empty_typeEbEEZZNS1_14partition_implILS8_4ELb0ES6_15HIP_vector_typeIjLj2EENS0_17counting_iteratorIjlEEPS9_SG_NS0_5tupleIJPjSI_NS0_16reverse_iteratorISI_EEEEENSH_IJSG_SG_SG_EEES9_SI_JZNS1_25segmented_radix_sort_implINS0_14default_configELb1EPKsPsPKlPlN2at6native12_GLOBAL__N_18offset_tEEE10hipError_tPvRmT1_PNSt15iterator_traitsIS12_E10value_typeET2_T3_PNS13_IS18_E10value_typeET4_jRbjT5_S1E_jjP12ihipStream_tbEUljE_ZNSN_ISO_Lb1ESQ_SR_ST_SU_SY_EESZ_S10_S11_S12_S16_S17_S18_S1B_S1C_jS1D_jS1E_S1E_jjS1G_bEUljE0_EEESZ_S10_S11_S18_S1C_S1E_T6_T7_T9_mT8_S1G_bDpT10_ENKUlT_T0_E_clISt17integral_constantIbLb0EES1U_EEDaS1P_S1Q_EUlS1P_E_NS1_11comp_targetILNS1_3genE0ELNS1_11target_archE4294967295ELNS1_3gpuE0ELNS1_3repE0EEENS1_30default_config_static_selectorELNS0_4arch9wavefront6targetE0EEEvS12_
; %bb.0:
	s_clause 0x4
	s_load_b128 s[24:27], s[0:1], 0x58
	s_load_b32 s4, s[0:1], 0x80
	s_load_b64 s[34:35], s[0:1], 0x10
	s_load_b64 s[2:3], s[0:1], 0x68
	s_load_b32 s8, s[0:1], 0x8
	s_bfe_u32 s5, ttmp6, 0x4000c
	s_and_b32 s6, ttmp6, 15
	s_add_co_i32 s5, s5, 1
	s_getreg_b32 s7, hwreg(HW_REG_IB_STS2, 6, 4)
	s_mul_i32 s5, ttmp9, s5
	s_load_b64 s[42:43], s[0:1], 0xa8
	s_add_co_i32 s6, s6, s5
	s_cmp_eq_u32 s7, 0
	s_load_b256 s[16:23], s[0:1], 0x88
	s_cselect_b32 s33, ttmp9, s6
	s_mov_b32 s5, 0
	s_mul_i32 s40, s33, 0xd00
	s_wait_kmcnt 0x0
	s_add_co_i32 s9, s4, -1
	s_mulk_i32 s4, 0xd00
	s_load_b128 s[28:31], s[26:27], 0x0
	s_cmp_eq_u32 s33, s9
	s_add_nc_u64 s[6:7], s[34:35], s[4:5]
	s_cselect_b32 s15, -1, 0
	s_cmp_lg_u32 s33, s9
	v_cmp_gt_u64_e64 s3, s[2:3], s[6:7]
	s_cselect_b32 s5, -1, 0
	s_add_co_i32 s6, s8, s40
	s_delay_alu instid0(SALU_CYCLE_1) | instskip(NEXT) | instid1(SALU_CYCLE_1)
	s_add_co_i32 s6, s6, s34
	v_add_nc_u32_e32 v1, s6, v0
	s_or_b32 s3, s5, s3
	s_mov_b32 s5, -1
	s_and_b32 vcc_lo, exec_lo, s3
	s_delay_alu instid0(VALU_DEP_1)
	v_add_nc_u32_e32 v2, 0x100, v1
	v_add_nc_u32_e32 v3, 0x200, v1
	;; [unrolled: 1-line block ×12, first 2 shown]
	s_cbranch_vccz .LBB843_2
; %bb.1:
	v_lshlrev_b32_e32 v14, 2, v0
	s_mov_b32 s5, 0
	ds_store_2addr_stride64_b32 v14, v1, v2 offset1:4
	ds_store_2addr_stride64_b32 v14, v3, v4 offset0:8 offset1:12
	ds_store_2addr_stride64_b32 v14, v5, v6 offset0:16 offset1:20
	;; [unrolled: 1-line block ×5, first 2 shown]
	ds_store_b32 v14, v13 offset:12288
	s_wait_dscnt 0x0
	s_barrier_signal -1
	s_barrier_wait -1
.LBB843_2:
	s_and_not1_b32 vcc_lo, exec_lo, s5
	s_add_co_i32 s4, s4, s34
	s_cbranch_vccnz .LBB843_4
; %bb.3:
	v_lshlrev_b32_e32 v14, 2, v0
	ds_store_2addr_stride64_b32 v14, v1, v2 offset1:4
	ds_store_2addr_stride64_b32 v14, v3, v4 offset0:8 offset1:12
	ds_store_2addr_stride64_b32 v14, v5, v6 offset0:16 offset1:20
	ds_store_2addr_stride64_b32 v14, v7, v8 offset0:24 offset1:28
	ds_store_2addr_stride64_b32 v14, v9, v10 offset0:32 offset1:36
	ds_store_2addr_stride64_b32 v14, v11, v12 offset0:40 offset1:44
	ds_store_b32 v14, v13 offset:12288
	s_wait_dscnt 0x0
	s_barrier_signal -1
	s_barrier_wait -1
.LBB843_4:
	v_mul_u32_u24_e32 v30, 13, v0
	s_load_b128 s[36:39], s[0:1], 0x28
	s_wait_xcnt 0x0
	s_load_b64 s[26:27], s[0:1], 0x38
	v_cndmask_b32_e64 v29, 0, 1, s3
	s_sub_co_i32 s41, s2, s4
	v_lshlrev_b32_e32 v1, 2, v30
	s_and_not1_b32 vcc_lo, exec_lo, s3
	ds_load_b32 v28, v1 offset:48
	ds_load_2addr_b32 v[10:11], v1 offset0:10 offset1:11
	ds_load_2addr_b32 v[12:13], v1 offset0:8 offset1:9
	;; [unrolled: 1-line block ×4, first 2 shown]
	ds_load_2addr_b32 v[20:21], v1 offset1:1
	ds_load_2addr_b32 v[18:19], v1 offset0:2 offset1:3
	s_wait_dscnt 0x0
	s_barrier_signal -1
	s_barrier_wait -1
	s_cbranch_vccnz .LBB843_32
; %bb.5:
	v_dual_add_nc_u32 v1, s17, v20 :: v_dual_add_nc_u32 v2, s19, v20
	s_mov_b32 s45, 0
	s_mov_b32 s44, 0
	s_mov_b32 s3, exec_lo
	s_delay_alu instid0(VALU_DEP_1) | instskip(SKIP_1) | instid1(VALU_DEP_1)
	v_mul_lo_u32 v1, v1, s16
	v_mul_lo_u32 v2, v2, s18
	v_sub_nc_u32_e32 v1, v1, v2
	s_delay_alu instid0(VALU_DEP_1)
	v_cmp_lt_u32_e32 vcc_lo, s20, v1
	v_cmpx_ge_u32_e64 s20, v1
	s_cbranch_execz .LBB843_7
; %bb.6:
	v_dual_add_nc_u32 v1, s22, v20 :: v_dual_add_nc_u32 v2, s42, v20
	s_delay_alu instid0(VALU_DEP_1) | instskip(NEXT) | instid1(VALU_DEP_2)
	v_mul_lo_u32 v1, v1, s21
	v_mul_lo_u32 v2, v2, s23
	s_delay_alu instid0(VALU_DEP_1) | instskip(NEXT) | instid1(VALU_DEP_1)
	v_sub_nc_u32_e32 v1, v1, v2
	v_cmp_lt_u32_e64 s2, s43, v1
	s_and_b32 s44, s2, exec_lo
.LBB843_7:
	s_or_b32 exec_lo, exec_lo, s3
	v_dual_add_nc_u32 v1, s17, v21 :: v_dual_add_nc_u32 v2, s19, v21
	s_mov_b32 s4, exec_lo
	s_delay_alu instid0(VALU_DEP_1) | instskip(NEXT) | instid1(VALU_DEP_2)
	v_mul_lo_u32 v1, v1, s16
	v_mul_lo_u32 v2, v2, s18
	s_delay_alu instid0(VALU_DEP_1) | instskip(NEXT) | instid1(VALU_DEP_1)
	v_sub_nc_u32_e32 v1, v1, v2
	v_cmp_lt_u32_e64 s2, s20, v1
	v_cmpx_ge_u32_e64 s20, v1
	s_cbranch_execz .LBB843_9
; %bb.8:
	v_dual_add_nc_u32 v1, s22, v21 :: v_dual_add_nc_u32 v2, s42, v21
	s_delay_alu instid0(VALU_DEP_1) | instskip(NEXT) | instid1(VALU_DEP_2)
	v_mul_lo_u32 v1, v1, s21
	v_mul_lo_u32 v2, v2, s23
	s_delay_alu instid0(VALU_DEP_1) | instskip(NEXT) | instid1(VALU_DEP_1)
	v_sub_nc_u32_e32 v1, v1, v2
	v_cmp_lt_u32_e64 s3, s43, v1
	s_and_b32 s45, s3, exec_lo
.LBB843_9:
	s_or_b32 exec_lo, exec_lo, s4
	v_dual_add_nc_u32 v1, s17, v18 :: v_dual_add_nc_u32 v2, s19, v18
	s_mov_b32 s47, 0
	s_mov_b32 s46, 0
	s_mov_b32 s5, exec_lo
	s_delay_alu instid0(VALU_DEP_1) | instskip(SKIP_1) | instid1(VALU_DEP_1)
	v_mul_lo_u32 v1, v1, s16
	v_mul_lo_u32 v2, v2, s18
	v_sub_nc_u32_e32 v1, v1, v2
	s_delay_alu instid0(VALU_DEP_1)
	v_cmp_lt_u32_e64 s3, s20, v1
	v_cmpx_ge_u32_e64 s20, v1
	s_cbranch_execz .LBB843_11
; %bb.10:
	v_dual_add_nc_u32 v1, s22, v18 :: v_dual_add_nc_u32 v2, s42, v18
	s_delay_alu instid0(VALU_DEP_1) | instskip(NEXT) | instid1(VALU_DEP_2)
	v_mul_lo_u32 v1, v1, s21
	v_mul_lo_u32 v2, v2, s23
	s_delay_alu instid0(VALU_DEP_1) | instskip(NEXT) | instid1(VALU_DEP_1)
	v_sub_nc_u32_e32 v1, v1, v2
	v_cmp_lt_u32_e64 s4, s43, v1
	s_and_b32 s46, s4, exec_lo
.LBB843_11:
	s_or_b32 exec_lo, exec_lo, s5
	v_dual_add_nc_u32 v1, s17, v19 :: v_dual_add_nc_u32 v2, s19, v19
	s_mov_b32 s6, exec_lo
	s_delay_alu instid0(VALU_DEP_1) | instskip(NEXT) | instid1(VALU_DEP_2)
	v_mul_lo_u32 v1, v1, s16
	v_mul_lo_u32 v2, v2, s18
	s_delay_alu instid0(VALU_DEP_1) | instskip(NEXT) | instid1(VALU_DEP_1)
	v_sub_nc_u32_e32 v1, v1, v2
	v_cmp_lt_u32_e64 s4, s20, v1
	v_cmpx_ge_u32_e64 s20, v1
	s_cbranch_execz .LBB843_13
; %bb.12:
	v_dual_add_nc_u32 v1, s22, v19 :: v_dual_add_nc_u32 v2, s42, v19
	s_delay_alu instid0(VALU_DEP_1) | instskip(NEXT) | instid1(VALU_DEP_2)
	v_mul_lo_u32 v1, v1, s21
	v_mul_lo_u32 v2, v2, s23
	s_delay_alu instid0(VALU_DEP_1) | instskip(NEXT) | instid1(VALU_DEP_1)
	v_sub_nc_u32_e32 v1, v1, v2
	v_cmp_lt_u32_e64 s5, s43, v1
	s_and_b32 s47, s5, exec_lo
.LBB843_13:
	s_or_b32 exec_lo, exec_lo, s6
	v_dual_add_nc_u32 v1, s17, v16 :: v_dual_add_nc_u32 v2, s19, v16
	s_mov_b32 s49, 0
	s_mov_b32 s48, 0
	s_mov_b32 s7, exec_lo
	s_delay_alu instid0(VALU_DEP_1) | instskip(SKIP_1) | instid1(VALU_DEP_1)
	v_mul_lo_u32 v1, v1, s16
	v_mul_lo_u32 v2, v2, s18
	v_sub_nc_u32_e32 v1, v1, v2
	s_delay_alu instid0(VALU_DEP_1)
	v_cmp_lt_u32_e64 s5, s20, v1
	;; [unrolled: 44-line block ×6, first 2 shown]
	v_cmpx_ge_u32_e64 s20, v1
	s_cbranch_execz .LBB843_31
; %bb.30:
	v_dual_add_nc_u32 v1, s22, v28 :: v_dual_add_nc_u32 v2, s42, v28
	s_delay_alu instid0(VALU_DEP_1) | instskip(NEXT) | instid1(VALU_DEP_2)
	v_mul_lo_u32 v1, v1, s21
	v_mul_lo_u32 v2, v2, s23
	s_delay_alu instid0(VALU_DEP_1) | instskip(NEXT) | instid1(VALU_DEP_1)
	v_sub_nc_u32_e32 v1, v1, v2
	v_cmp_lt_u32_e64 s14, s43, v1
	s_and_b32 s57, s14, exec_lo
.LBB843_31:
	s_or_b32 exec_lo, exec_lo, s58
	v_cndmask_b32_e64 v2, 0, 1, s2
	v_cndmask_b32_e64 v4, 0, 1, s4
	v_cndmask_b32_e64 v1, 0, 1, vcc_lo
	v_cndmask_b32_e64 v3, 0, 1, s3
	v_cndmask_b32_e64 v6, 0, 1, s6
	v_lshlrev_b16 v2, 8, v2
	v_lshlrev_b16 v4, 8, v4
	v_cndmask_b32_e64 v8, 0, 1, s8
	v_cndmask_b32_e64 v22, 0, 1, s10
	;; [unrolled: 1-line block ×3, first 2 shown]
	v_or_b32_e32 v1, v1, v2
	v_or_b32_e32 v2, v3, v4
	v_cndmask_b32_e64 v4, 0, 1, s46
	v_cndmask_b32_e64 v5, 0, 1, s5
	;; [unrolled: 1-line block ×4, first 2 shown]
	v_lshlrev_b32_e32 v2, 16, v2
	v_and_b32_e32 v1, 0xffff, v1
	v_cndmask_b32_e64 v33, 0, 1, s50
	v_cndmask_b32_e64 v36, 0, 1, s48
	;; [unrolled: 1-line block ×4, first 2 shown]
	v_or_b32_e32 v31, v1, v2
	v_lshlrev_b16 v1, 8, v6
	v_lshlrev_b16 v2, 8, v8
	;; [unrolled: 1-line block ×5, first 2 shown]
	v_cndmask_b32_e64 v7, 0, 1, s7
	v_cndmask_b32_e64 v24, 0, 1, s56
	;; [unrolled: 1-line block ×6, first 2 shown]
	v_lshlrev_b16 v22, 8, v39
	v_or_b32_e32 v4, v37, v4
	v_or_b32_e32 v1, v5, v1
	;; [unrolled: 1-line block ×4, first 2 shown]
	v_lshlrev_b16 v8, 8, v36
	v_lshlrev_b16 v9, 8, v33
	v_cndmask_b32_e64 v26, 0, 1, s54
	v_cndmask_b32_e64 v32, 0, 1, s51
	v_lshlrev_b16 v23, 8, v24
	v_or_b32_e32 v3, v3, v8
	v_or_b32_e32 v8, v35, v9
	;; [unrolled: 1-line block ×4, first 2 shown]
	v_lshlrev_b16 v22, 8, v27
	v_and_b32_e32 v5, 0xffff, v5
	v_lshlrev_b32_e32 v4, 16, v4
	v_and_b32_e32 v1, 0xffff, v1
	v_and_b32_e32 v7, 0xffff, v7
	v_or_b32_e32 v9, v32, v22
	v_or_b32_e32 v22, v26, v23
	v_and_b32_e32 v3, 0xffff, v3
	v_dual_lshlrev_b32 v8, 16, v8 :: v_dual_lshlrev_b32 v2, 16, v2
	s_delay_alu instid0(VALU_DEP_4) | instskip(NEXT) | instid1(VALU_DEP_4)
	v_and_b32_e32 v9, 0xffff, v9
	v_lshlrev_b32_e32 v22, 16, v22
	v_lshlrev_b32_e32 v6, 16, v6
	v_cndmask_b32_e64 v34, 0, 1, s55
	v_cndmask_b32_e64 v38, 0, 1, s57
	v_or_b32_e32 v33, v1, v2
	v_or_b32_e32 v37, v7, v4
	;; [unrolled: 1-line block ×5, first 2 shown]
	s_load_b64 s[4:5], s[0:1], 0x78
	s_and_b32 vcc_lo, exec_lo, s52
	s_add_co_i32 s6, s41, 0xd00
	s_cbranch_vccnz .LBB843_33
	s_branch .LBB843_110
.LBB843_32:
                                        ; implicit-def: $vgpr38
                                        ; implicit-def: $vgpr34
                                        ; implicit-def: $vgpr35
                                        ; implicit-def: $vgpr32
                                        ; implicit-def: $vgpr37
                                        ; implicit-def: $vgpr36
                                        ; implicit-def: $vgpr33
                                        ; implicit-def: $vgpr31
	s_load_b64 s[4:5], s[0:1], 0x78
	s_add_co_i32 s6, s41, 0xd00
	s_cbranch_execz .LBB843_110
.LBB843_33:
	v_dual_mov_b32 v2, 0 :: v_dual_mov_b32 v1, 0
	s_wait_xcnt 0x0
	s_mov_b32 s1, exec_lo
	v_cmpx_gt_u32_e64 s6, v30
	s_cbranch_execz .LBB843_37
; %bb.34:
	v_dual_add_nc_u32 v1, s17, v20 :: v_dual_add_nc_u32 v2, s19, v20
	s_mov_b32 s3, 0
	s_mov_b32 s2, exec_lo
	s_delay_alu instid0(VALU_DEP_1) | instskip(NEXT) | instid1(VALU_DEP_2)
	v_mul_lo_u32 v1, v1, s16
	v_mul_lo_u32 v2, v2, s18
	s_delay_alu instid0(VALU_DEP_1) | instskip(NEXT) | instid1(VALU_DEP_1)
	v_sub_nc_u32_e32 v1, v1, v2
	v_cmp_lt_u32_e32 vcc_lo, s20, v1
	v_cmpx_ge_u32_e64 s20, v1
	s_cbranch_execz .LBB843_36
; %bb.35:
	v_dual_add_nc_u32 v1, s22, v20 :: v_dual_add_nc_u32 v2, s42, v20
	s_delay_alu instid0(VALU_DEP_1) | instskip(NEXT) | instid1(VALU_DEP_2)
	v_mul_lo_u32 v1, v1, s21
	v_mul_lo_u32 v2, v2, s23
	s_delay_alu instid0(VALU_DEP_1) | instskip(NEXT) | instid1(VALU_DEP_1)
	v_sub_nc_u32_e32 v1, v1, v2
	v_cmp_lt_u32_e64 s0, s43, v1
	s_and_b32 s3, s0, exec_lo
.LBB843_36:
	s_or_b32 exec_lo, exec_lo, s2
	v_cndmask_b32_e64 v2, 0, 1, s3
	v_cndmask_b32_e64 v1, 0, 1, vcc_lo
.LBB843_37:
	s_or_b32 exec_lo, exec_lo, s1
	s_delay_alu instid0(VALU_DEP_2) | instskip(SKIP_2) | instid1(VALU_DEP_3)
	v_lshlrev_b16 v2, 8, v2
	v_add_nc_u32_e32 v3, 1, v30
	v_lshlrev_b16 v9, 8, 0
                                        ; implicit-def: $vgpr5
                                        ; implicit-def: $vgpr7
                                        ; implicit-def: $vgpr4
                                        ; implicit-def: $vgpr8
	v_and_b32_e32 v6, 0xffff, v2
	s_delay_alu instid0(VALU_DEP_3) | instskip(NEXT) | instid1(VALU_DEP_2)
	v_cmp_le_u32_e32 vcc_lo, s6, v3
                                        ; implicit-def: $vgpr3
                                        ; implicit-def: $vgpr2
	v_lshrrev_b32_e32 v22, 8, v6
	s_and_saveexec_b32 s0, vcc_lo
	s_delay_alu instid0(SALU_CYCLE_1)
	s_xor_b32 s0, exec_lo, s0
	s_cbranch_execz .LBB843_39
; %bb.38:
	s_delay_alu instid0(VALU_DEP_1) | instskip(SKIP_3) | instid1(VALU_DEP_4)
	v_lshlrev_b16 v2, 8, v22
	v_bitop3_b16 v3, 0, v9, 0xff bitop3:0xec
	v_and_b32_e32 v8, 0xff, v1
                                        ; implicit-def: $vgpr1
                                        ; implicit-def: $vgpr9
                                        ; implicit-def: $vgpr22
	v_mov_b32_e32 v5, 0
	v_bitop3_b16 v6, v6, v2, 0xff bitop3:0xec
	v_mov_b32_e32 v2, 0
	v_and_b32_e32 v4, 0xffff, v3
	v_and_b32_e32 v3, 0xffff, v3
	s_delay_alu instid0(VALU_DEP_4)
	v_and_b32_e32 v7, 0xffff, v6
                                        ; implicit-def: $vgpr6
.LBB843_39:
	s_and_not1_saveexec_b32 s1, s0
	s_cbranch_execz .LBB843_43
; %bb.40:
	v_dual_add_nc_u32 v2, s17, v21 :: v_dual_add_nc_u32 v3, s19, v21
	s_mov_b32 s2, 0
	s_mov_b32 s3, exec_lo
	s_delay_alu instid0(VALU_DEP_1) | instskip(NEXT) | instid1(VALU_DEP_2)
	v_mul_lo_u32 v2, v2, s16
	v_mul_lo_u32 v3, v3, s18
	s_delay_alu instid0(VALU_DEP_1) | instskip(NEXT) | instid1(VALU_DEP_1)
	v_sub_nc_u32_e32 v2, v2, v3
	v_cmp_lt_u32_e32 vcc_lo, s20, v2
	v_cmpx_ge_u32_e64 s20, v2
	s_cbranch_execz .LBB843_42
; %bb.41:
	v_dual_add_nc_u32 v2, s22, v21 :: v_dual_add_nc_u32 v3, s42, v21
	s_delay_alu instid0(VALU_DEP_1) | instskip(NEXT) | instid1(VALU_DEP_2)
	v_mul_lo_u32 v2, v2, s21
	v_mul_lo_u32 v3, v3, s23
	s_delay_alu instid0(VALU_DEP_1) | instskip(NEXT) | instid1(VALU_DEP_1)
	v_sub_nc_u32_e32 v2, v2, v3
	v_cmp_lt_u32_e64 s0, s43, v2
	s_and_b32 s2, s0, exec_lo
.LBB843_42:
	s_or_b32 exec_lo, exec_lo, s3
	v_cndmask_b32_e64 v2, 0, 1, vcc_lo
	v_lshlrev_b16 v3, 8, v22
	v_cndmask_b32_e64 v7, 0, 1, s2
	v_mov_b32_e32 v5, 0
	s_delay_alu instid0(VALU_DEP_4) | instskip(NEXT) | instid1(VALU_DEP_4)
	v_lshlrev_b16 v2, 8, v2
	v_bitop3_b16 v3, v6, v3, 0xff bitop3:0xec
	v_bitop3_b16 v6, 0, v9, 0xff bitop3:0xec
	s_delay_alu instid0(VALU_DEP_3) | instskip(NEXT) | instid1(VALU_DEP_3)
	v_bitop3_b16 v1, v1, v2, 0xff bitop3:0xec
	v_and_b32_e32 v3, 0xffff, v3
	v_mov_b32_e32 v2, 0
	s_delay_alu instid0(VALU_DEP_4) | instskip(NEXT) | instid1(VALU_DEP_4)
	v_and_b32_e32 v4, 0xffff, v6
	v_and_b32_e32 v8, 0xffff, v1
	s_delay_alu instid0(VALU_DEP_4)
	v_lshl_or_b32 v7, v7, 16, v3
	v_and_b32_e32 v3, 0xffff, v6
.LBB843_43:
	s_or_b32 exec_lo, exec_lo, s1
	s_delay_alu instid0(VALU_DEP_3) | instskip(NEXT) | instid1(VALU_DEP_1)
	v_dual_add_nc_u32 v1, 2, v30 :: v_dual_lshrrev_b32 v9, 8, v8
                                        ; implicit-def: $vgpr6
	v_cmp_le_u32_e32 vcc_lo, s6, v1
                                        ; implicit-def: $vgpr1
	s_and_saveexec_b32 s0, vcc_lo
	s_delay_alu instid0(SALU_CYCLE_1)
	s_xor_b32 s0, exec_lo, s0
	s_cbranch_execz .LBB843_45
; %bb.44:
	v_lshlrev_b16 v1, 8, v9
	v_and_b32_e32 v9, 0xff0000, v7
	v_perm_b32 v4, v4, v4, 0x3060504
	s_delay_alu instid0(VALU_DEP_3) | instskip(NEXT) | instid1(VALU_DEP_1)
	v_bitop3_b16 v1, v8, v1, 0xff bitop3:0xec
	v_and_b32_e32 v1, 0xffff, v1
	s_delay_alu instid0(VALU_DEP_1)
	v_and_or_b32 v6, 0xff000000, v8, v1
	v_perm_b32 v1, v7, v9, 0x3020504
                                        ; implicit-def: $vgpr9
                                        ; implicit-def: $vgpr8
                                        ; implicit-def: $vgpr7
.LBB843_45:
	s_and_not1_saveexec_b32 s1, s0
	s_cbranch_execz .LBB843_49
; %bb.46:
	v_dual_add_nc_u32 v1, s17, v18 :: v_dual_add_nc_u32 v6, s19, v18
	s_mov_b32 s2, 0
	s_mov_b32 s3, exec_lo
	s_delay_alu instid0(VALU_DEP_1) | instskip(NEXT) | instid1(VALU_DEP_2)
	v_mul_lo_u32 v1, v1, s16
	v_mul_lo_u32 v6, v6, s18
	s_delay_alu instid0(VALU_DEP_1) | instskip(NEXT) | instid1(VALU_DEP_1)
	v_sub_nc_u32_e32 v1, v1, v6
	v_cmp_lt_u32_e32 vcc_lo, s20, v1
	v_cmpx_ge_u32_e64 s20, v1
	s_cbranch_execz .LBB843_48
; %bb.47:
	v_dual_add_nc_u32 v1, s22, v18 :: v_dual_add_nc_u32 v6, s42, v18
	s_delay_alu instid0(VALU_DEP_1) | instskip(NEXT) | instid1(VALU_DEP_2)
	v_mul_lo_u32 v1, v1, s21
	v_mul_lo_u32 v6, v6, s23
	s_delay_alu instid0(VALU_DEP_1) | instskip(NEXT) | instid1(VALU_DEP_1)
	v_sub_nc_u32_e32 v1, v1, v6
	v_cmp_lt_u32_e64 s0, s43, v1
	s_and_b32 s2, s0, exec_lo
.LBB843_48:
	s_or_b32 exec_lo, exec_lo, s3
	v_dual_lshrrev_b32 v1, 24, v8 :: v_dual_lshrrev_b32 v23, 8, v7
	v_cndmask_b32_e64 v6, 0, 1, s2
	v_cndmask_b32_e64 v22, 0, 1, vcc_lo
	v_lshlrev_b16 v9, 8, v9
	s_delay_alu instid0(VALU_DEP_4)
	v_lshlrev_b16 v1, 8, v1
	v_lshrrev_b32_e32 v24, 16, v7
	v_lshlrev_b16 v6, 8, v6
	v_lshlrev_b16 v23, 8, v23
	v_bitop3_b16 v8, v8, v9, 0xff bitop3:0xec
	v_or_b32_e32 v1, v22, v1
	s_delay_alu instid0(VALU_DEP_4) | instskip(NEXT) | instid1(VALU_DEP_4)
	v_bitop3_b16 v6, v24, v6, 0xff bitop3:0xec
	v_bitop3_b16 v7, v7, v23, 0xff bitop3:0xec
	s_delay_alu instid0(VALU_DEP_4) | instskip(NEXT) | instid1(VALU_DEP_3)
	v_and_b32_e32 v8, 0xffff, v8
	v_dual_lshlrev_b32 v1, 16, v1 :: v_dual_lshlrev_b32 v9, 16, v6
	s_delay_alu instid0(VALU_DEP_3) | instskip(NEXT) | instid1(VALU_DEP_2)
	v_and_b32_e32 v7, 0xffff, v7
	v_or_b32_e32 v6, v8, v1
	s_delay_alu instid0(VALU_DEP_2)
	v_or_b32_e32 v1, v7, v9
.LBB843_49:
	s_or_b32 exec_lo, exec_lo, s1
	v_dual_add_nc_u32 v8, 3, v30 :: v_dual_lshrrev_b32 v9, 24, v5
	v_lshrrev_b32_e32 v7, 16, v5
                                        ; implicit-def: $vgpr31
	s_delay_alu instid0(VALU_DEP_2) | instskip(SKIP_2) | instid1(SALU_CYCLE_1)
	v_cmp_le_u32_e32 vcc_lo, s6, v8
	v_lshrrev_b32_e32 v8, 8, v5
                                        ; implicit-def: $vgpr5
	s_and_saveexec_b32 s0, vcc_lo
	s_xor_b32 s0, exec_lo, s0
	s_cbranch_execz .LBB843_51
; %bb.50:
	v_lshlrev_b16 v5, 8, v9
	v_lshlrev_b16 v8, 8, v8
	v_perm_b32 v4, v4, v4, 0x3060504
	v_perm_b32 v3, v3, v3, 0x3060504
                                        ; implicit-def: $vgpr9
	s_delay_alu instid0(VALU_DEP_4) | instskip(SKIP_2) | instid1(VALU_DEP_3)
	v_bitop3_b16 v5, v7, v5, 0xff bitop3:0xec
	v_and_b32_e32 v7, 0xff0000, v6
	v_and_b32_e32 v8, 0xffff, v8
	v_lshlrev_b32_e32 v5, 16, v5
	s_delay_alu instid0(VALU_DEP_3) | instskip(NEXT) | instid1(VALU_DEP_2)
	v_perm_b32 v31, v6, v7, 0x3020504
                                        ; implicit-def: $vgpr6
                                        ; implicit-def: $vgpr7
	v_or_b32_e32 v5, v8, v5
                                        ; implicit-def: $vgpr8
.LBB843_51:
	s_and_not1_saveexec_b32 s1, s0
	s_cbranch_execz .LBB843_55
; %bb.52:
	v_dual_add_nc_u32 v5, s17, v19 :: v_dual_add_nc_u32 v22, s19, v19
	s_mov_b32 s2, 0
	s_mov_b32 s3, exec_lo
	s_delay_alu instid0(VALU_DEP_1) | instskip(NEXT) | instid1(VALU_DEP_2)
	v_mul_lo_u32 v5, v5, s16
	v_mul_lo_u32 v22, v22, s18
	s_delay_alu instid0(VALU_DEP_1) | instskip(NEXT) | instid1(VALU_DEP_1)
	v_sub_nc_u32_e32 v5, v5, v22
	v_cmp_lt_u32_e32 vcc_lo, s20, v5
	v_cmpx_ge_u32_e64 s20, v5
	s_cbranch_execz .LBB843_54
; %bb.53:
	v_dual_add_nc_u32 v5, s22, v19 :: v_dual_add_nc_u32 v22, s42, v19
	s_delay_alu instid0(VALU_DEP_1) | instskip(NEXT) | instid1(VALU_DEP_2)
	v_mul_lo_u32 v5, v5, s21
	v_mul_lo_u32 v22, v22, s23
	s_delay_alu instid0(VALU_DEP_1) | instskip(NEXT) | instid1(VALU_DEP_1)
	v_sub_nc_u32_e32 v5, v5, v22
	v_cmp_lt_u32_e64 s0, s43, v5
	s_and_b32 s2, s0, exec_lo
.LBB843_54:
	s_or_b32 exec_lo, exec_lo, s3
	v_cndmask_b32_e64 v5, 0, 1, vcc_lo
	v_dual_lshrrev_b32 v22, 8, v6 :: v_dual_lshrrev_b32 v24, 16, v6
	v_cndmask_b32_e64 v23, 0, 1, s2
	v_lshlrev_b16 v9, 8, v9
	s_delay_alu instid0(VALU_DEP_4) | instskip(NEXT) | instid1(VALU_DEP_4)
	v_lshlrev_b16 v5, 8, v5
	v_lshlrev_b16 v22, 8, v22
	;; [unrolled: 1-line block ×3, first 2 shown]
	s_delay_alu instid0(VALU_DEP_4) | instskip(NEXT) | instid1(VALU_DEP_4)
	v_bitop3_b16 v7, v7, v9, 0xff bitop3:0xec
	v_bitop3_b16 v5, v24, v5, 0xff bitop3:0xec
	s_delay_alu instid0(VALU_DEP_4) | instskip(NEXT) | instid1(VALU_DEP_3)
	v_bitop3_b16 v6, v6, v22, 0xff bitop3:0xec
	v_dual_lshlrev_b32 v7, 16, v7 :: v_dual_bitop2_b32 v8, v23, v8 bitop3:0x54
	s_delay_alu instid0(VALU_DEP_3) | instskip(NEXT) | instid1(VALU_DEP_3)
	v_lshlrev_b32_e32 v5, 16, v5
	v_and_b32_e32 v6, 0xffff, v6
	s_delay_alu instid0(VALU_DEP_3) | instskip(NEXT) | instid1(VALU_DEP_2)
	v_and_b32_e32 v8, 0xffff, v8
	v_or_b32_e32 v31, v6, v5
	s_delay_alu instid0(VALU_DEP_2)
	v_or_b32_e32 v5, v8, v7
.LBB843_55:
	s_or_b32 exec_lo, exec_lo, s1
	v_dual_add_nc_u32 v6, 4, v30 :: v_dual_lshrrev_b32 v22, 8, v4
	v_dual_lshrrev_b32 v7, 16, v4 :: v_dual_lshrrev_b32 v23, 24, v4
	s_delay_alu instid0(VALU_DEP_3) | instskip(NEXT) | instid1(VALU_DEP_3)
	v_dual_lshrrev_b32 v9, 24, v5 :: v_dual_lshrrev_b32 v8, 16, v5
	v_cmp_le_u32_e32 vcc_lo, s6, v6
                                        ; implicit-def: $vgpr4
                                        ; implicit-def: $vgpr6
	s_and_saveexec_b32 s0, vcc_lo
	s_delay_alu instid0(SALU_CYCLE_1)
	s_xor_b32 s0, exec_lo, s0
	s_cbranch_execz .LBB843_57
; %bb.56:
	v_lshlrev_b16 v4, 8, v23
	v_lshlrev_b16 v6, 8, v22
	;; [unrolled: 1-line block ×3, first 2 shown]
	v_perm_b32 v3, v3, v3, 0x3060504
                                        ; implicit-def: $vgpr22
                                        ; implicit-def: $vgpr23
	s_delay_alu instid0(VALU_DEP_4) | instskip(NEXT) | instid1(VALU_DEP_4)
	v_bitop3_b16 v4, v7, v4, 0xff bitop3:0xec
	v_and_b32_e32 v6, 0xffff, v6
	s_delay_alu instid0(VALU_DEP_4) | instskip(NEXT) | instid1(VALU_DEP_3)
	v_bitop3_b16 v7, v8, v9, 0xff bitop3:0xec
                                        ; implicit-def: $vgpr9
	v_lshlrev_b32_e32 v8, 16, v4
	s_delay_alu instid0(VALU_DEP_2) | instskip(NEXT) | instid1(VALU_DEP_2)
	v_perm_b32 v4, v7, v5, 0x5040c00
                                        ; implicit-def: $vgpr5
                                        ; implicit-def: $vgpr7
	v_or_b32_e32 v6, v6, v8
                                        ; implicit-def: $vgpr8
.LBB843_57:
	s_and_not1_saveexec_b32 s1, s0
	s_cbranch_execz .LBB843_61
; %bb.58:
	v_dual_add_nc_u32 v4, s17, v16 :: v_dual_add_nc_u32 v6, s19, v16
	s_mov_b32 s2, 0
	s_mov_b32 s3, exec_lo
	s_delay_alu instid0(VALU_DEP_1) | instskip(NEXT) | instid1(VALU_DEP_2)
	v_mul_lo_u32 v4, v4, s16
	v_mul_lo_u32 v6, v6, s18
	s_delay_alu instid0(VALU_DEP_1) | instskip(NEXT) | instid1(VALU_DEP_1)
	v_sub_nc_u32_e32 v4, v4, v6
	v_cmp_lt_u32_e32 vcc_lo, s20, v4
	v_cmpx_ge_u32_e64 s20, v4
	s_cbranch_execz .LBB843_60
; %bb.59:
	v_dual_add_nc_u32 v4, s22, v16 :: v_dual_add_nc_u32 v6, s42, v16
	s_delay_alu instid0(VALU_DEP_1) | instskip(NEXT) | instid1(VALU_DEP_2)
	v_mul_lo_u32 v4, v4, s21
	v_mul_lo_u32 v6, v6, s23
	s_delay_alu instid0(VALU_DEP_1) | instskip(NEXT) | instid1(VALU_DEP_1)
	v_sub_nc_u32_e32 v4, v4, v6
	v_cmp_lt_u32_e64 s0, s43, v4
	s_and_b32 s2, s0, exec_lo
.LBB843_60:
	s_or_b32 exec_lo, exec_lo, s3
	v_cndmask_b32_e64 v4, 0, 1, s2
	v_cndmask_b32_e64 v6, 0, 1, vcc_lo
	v_lshlrev_b16 v23, 8, v23
	v_lshlrev_b16 v22, 8, v22
	;; [unrolled: 1-line block ×4, first 2 shown]
	s_delay_alu instid0(VALU_DEP_4) | instskip(NEXT) | instid1(VALU_DEP_4)
	v_bitop3_b16 v7, v7, v23, 0xff bitop3:0xec
	v_or_b32_e32 v6, v6, v22
	s_delay_alu instid0(VALU_DEP_4) | instskip(NEXT) | instid1(VALU_DEP_4)
	v_bitop3_b16 v8, v8, v9, 0xff bitop3:0xec
	v_bitop3_b16 v4, v5, v4, 0xff bitop3:0xec
	s_delay_alu instid0(VALU_DEP_4) | instskip(NEXT) | instid1(VALU_DEP_4)
	v_lshlrev_b32_e32 v5, 16, v7
	v_and_b32_e32 v6, 0xffff, v6
	s_delay_alu instid0(VALU_DEP_4) | instskip(NEXT) | instid1(VALU_DEP_4)
	v_lshlrev_b32_e32 v7, 16, v8
	v_and_b32_e32 v4, 0xffff, v4
	s_delay_alu instid0(VALU_DEP_3) | instskip(NEXT) | instid1(VALU_DEP_2)
	v_or_b32_e32 v6, v6, v5
	v_or_b32_e32 v4, v4, v7
.LBB843_61:
	s_or_b32 exec_lo, exec_lo, s1
	s_delay_alu instid0(VALU_DEP_1) | instskip(NEXT) | instid1(VALU_DEP_2)
	v_dual_add_nc_u32 v5, 5, v30 :: v_dual_lshrrev_b32 v22, 8, v4
	v_dual_lshrrev_b32 v8, 16, v6 :: v_dual_lshrrev_b32 v9, 24, v6
                                        ; implicit-def: $vgpr7
	s_delay_alu instid0(VALU_DEP_2) | instskip(SKIP_1) | instid1(SALU_CYCLE_1)
	v_cmp_le_u32_e32 vcc_lo, s6, v5
                                        ; implicit-def: $vgpr5
	s_and_saveexec_b32 s0, vcc_lo
	s_xor_b32 s0, exec_lo, s0
	s_cbranch_execz .LBB843_63
; %bb.62:
	v_lshlrev_b16 v5, 8, v22
	v_lshlrev_b16 v7, 8, v9
	v_perm_b32 v3, v3, v3, 0x3060504
                                        ; implicit-def: $vgpr9
                                        ; implicit-def: $vgpr22
	s_delay_alu instid0(VALU_DEP_3) | instskip(NEXT) | instid1(VALU_DEP_3)
	v_bitop3_b16 v5, v4, v5, 0xff bitop3:0xec
	v_bitop3_b16 v7, v8, v7, 0xff bitop3:0xec
                                        ; implicit-def: $vgpr8
	s_delay_alu instid0(VALU_DEP_2) | instskip(NEXT) | instid1(VALU_DEP_2)
	v_and_b32_e32 v5, 0xffff, v5
	v_perm_b32 v7, v7, v6, 0x5040c00
                                        ; implicit-def: $vgpr6
	s_delay_alu instid0(VALU_DEP_2)
	v_and_or_b32 v5, 0xff000000, v4, v5
                                        ; implicit-def: $vgpr4
.LBB843_63:
	s_and_not1_saveexec_b32 s1, s0
	s_cbranch_execz .LBB843_67
; %bb.64:
	v_dual_add_nc_u32 v5, s17, v17 :: v_dual_add_nc_u32 v7, s19, v17
	s_mov_b32 s2, 0
	s_mov_b32 s3, exec_lo
	s_delay_alu instid0(VALU_DEP_1) | instskip(NEXT) | instid1(VALU_DEP_2)
	v_mul_lo_u32 v5, v5, s16
	v_mul_lo_u32 v7, v7, s18
	s_delay_alu instid0(VALU_DEP_1) | instskip(NEXT) | instid1(VALU_DEP_1)
	v_sub_nc_u32_e32 v5, v5, v7
	v_cmp_lt_u32_e32 vcc_lo, s20, v5
	v_cmpx_ge_u32_e64 s20, v5
	s_cbranch_execz .LBB843_66
; %bb.65:
	v_dual_add_nc_u32 v5, s22, v17 :: v_dual_add_nc_u32 v7, s42, v17
	s_delay_alu instid0(VALU_DEP_1) | instskip(NEXT) | instid1(VALU_DEP_2)
	v_mul_lo_u32 v5, v5, s21
	v_mul_lo_u32 v7, v7, s23
	s_delay_alu instid0(VALU_DEP_1) | instskip(NEXT) | instid1(VALU_DEP_1)
	v_sub_nc_u32_e32 v5, v5, v7
	v_cmp_lt_u32_e64 s0, s43, v5
	s_and_b32 s2, s0, exec_lo
.LBB843_66:
	s_or_b32 exec_lo, exec_lo, s3
	v_cndmask_b32_e64 v5, 0, 1, vcc_lo
	v_lshrrev_b32_e32 v7, 24, v4
	v_cndmask_b32_e64 v23, 0, 1, s2
	v_lshlrev_b16 v9, 8, v9
	v_lshlrev_b16 v22, 8, v22
	;; [unrolled: 1-line block ×4, first 2 shown]
	s_delay_alu instid0(VALU_DEP_4) | instskip(NEXT) | instid1(VALU_DEP_4)
	v_bitop3_b16 v8, v8, v9, 0xff bitop3:0xec
	v_bitop3_b16 v4, v4, v22, 0xff bitop3:0xec
	s_delay_alu instid0(VALU_DEP_4) | instskip(NEXT) | instid1(VALU_DEP_3)
	v_bitop3_b16 v5, v6, v5, 0xff bitop3:0xec
	v_dual_lshlrev_b32 v7, 16, v8 :: v_dual_bitop2_b32 v6, v23, v7 bitop3:0x54
	s_delay_alu instid0(VALU_DEP_3) | instskip(NEXT) | instid1(VALU_DEP_3)
	v_and_b32_e32 v4, 0xffff, v4
	v_and_b32_e32 v5, 0xffff, v5
	s_delay_alu instid0(VALU_DEP_1) | instskip(NEXT) | instid1(VALU_DEP_1)
	v_dual_lshlrev_b32 v6, 16, v6 :: v_dual_bitop2_b32 v7, v5, v7 bitop3:0x54
	v_or_b32_e32 v5, v4, v6
.LBB843_67:
	s_or_b32 exec_lo, exec_lo, s1
	s_delay_alu instid0(VALU_DEP_2) | instskip(NEXT) | instid1(VALU_DEP_1)
	v_dual_add_nc_u32 v4, 6, v30 :: v_dual_lshrrev_b32 v6, 8, v7
                                        ; implicit-def: $vgpr32
	v_cmp_le_u32_e32 vcc_lo, s6, v4
                                        ; implicit-def: $vgpr4
	s_and_saveexec_b32 s0, vcc_lo
	s_delay_alu instid0(SALU_CYCLE_1)
	s_xor_b32 s0, exec_lo, s0
	s_cbranch_execz .LBB843_69
; %bb.68:
	v_lshlrev_b16 v4, 8, v6
	v_and_b32_e32 v6, 0xff0000, v5
	v_perm_b32 v3, v3, v3, 0x3060504
	s_delay_alu instid0(VALU_DEP_3) | instskip(NEXT) | instid1(VALU_DEP_3)
	v_bitop3_b16 v4, v7, v4, 0xff bitop3:0xec
	v_perm_b32 v32, v5, v6, 0x3020504
                                        ; implicit-def: $vgpr6
                                        ; implicit-def: $vgpr5
	s_delay_alu instid0(VALU_DEP_2) | instskip(NEXT) | instid1(VALU_DEP_1)
	v_and_b32_e32 v4, 0xffff, v4
	v_and_or_b32 v4, 0xff000000, v7, v4
                                        ; implicit-def: $vgpr7
.LBB843_69:
	s_and_not1_saveexec_b32 s1, s0
	s_cbranch_execz .LBB843_73
; %bb.70:
	v_dual_add_nc_u32 v4, s17, v14 :: v_dual_add_nc_u32 v8, s19, v14
	s_mov_b32 s2, 0
	s_mov_b32 s3, exec_lo
	s_delay_alu instid0(VALU_DEP_1) | instskip(NEXT) | instid1(VALU_DEP_2)
	v_mul_lo_u32 v4, v4, s16
	v_mul_lo_u32 v8, v8, s18
	s_delay_alu instid0(VALU_DEP_1) | instskip(NEXT) | instid1(VALU_DEP_1)
	v_sub_nc_u32_e32 v4, v4, v8
	v_cmp_lt_u32_e32 vcc_lo, s20, v4
	v_cmpx_ge_u32_e64 s20, v4
	s_cbranch_execz .LBB843_72
; %bb.71:
	v_dual_add_nc_u32 v4, s22, v14 :: v_dual_add_nc_u32 v8, s42, v14
	s_delay_alu instid0(VALU_DEP_1) | instskip(NEXT) | instid1(VALU_DEP_2)
	v_mul_lo_u32 v4, v4, s21
	v_mul_lo_u32 v8, v8, s23
	s_delay_alu instid0(VALU_DEP_1) | instskip(NEXT) | instid1(VALU_DEP_1)
	v_sub_nc_u32_e32 v4, v4, v8
	v_cmp_lt_u32_e64 s0, s43, v4
	s_and_b32 s2, s0, exec_lo
.LBB843_72:
	s_or_b32 exec_lo, exec_lo, s3
	v_dual_lshrrev_b32 v4, 24, v7 :: v_dual_lshrrev_b32 v22, 8, v5
	v_cndmask_b32_e64 v8, 0, 1, s2
	v_cndmask_b32_e64 v9, 0, 1, vcc_lo
	v_lshlrev_b16 v6, 8, v6
	s_delay_alu instid0(VALU_DEP_4)
	v_lshlrev_b16 v4, 8, v4
	v_lshrrev_b32_e32 v23, 16, v5
	v_lshlrev_b16 v8, 8, v8
	v_lshlrev_b16 v22, 8, v22
	v_bitop3_b16 v6, v7, v6, 0xff bitop3:0xec
	v_or_b32_e32 v4, v9, v4
	s_delay_alu instid0(VALU_DEP_4) | instskip(NEXT) | instid1(VALU_DEP_4)
	v_bitop3_b16 v7, v23, v8, 0xff bitop3:0xec
	v_bitop3_b16 v5, v5, v22, 0xff bitop3:0xec
	s_delay_alu instid0(VALU_DEP_4) | instskip(NEXT) | instid1(VALU_DEP_3)
	v_and_b32_e32 v6, 0xffff, v6
	v_dual_lshlrev_b32 v4, 16, v4 :: v_dual_lshlrev_b32 v7, 16, v7
	s_delay_alu instid0(VALU_DEP_3) | instskip(NEXT) | instid1(VALU_DEP_2)
	v_and_b32_e32 v5, 0xffff, v5
	v_or_b32_e32 v4, v6, v4
	s_delay_alu instid0(VALU_DEP_2)
	v_or_b32_e32 v32, v5, v7
.LBB843_73:
	s_or_b32 exec_lo, exec_lo, s1
	v_dual_add_nc_u32 v7, 7, v30 :: v_dual_lshrrev_b32 v5, 8, v3
	v_lshrrev_b32_e32 v6, 16, v3
                                        ; implicit-def: $vgpr33
	s_delay_alu instid0(VALU_DEP_2) | instskip(SKIP_2) | instid1(SALU_CYCLE_1)
	v_cmp_le_u32_e32 vcc_lo, s6, v7
	v_lshrrev_b32_e32 v7, 24, v3
                                        ; implicit-def: $vgpr3
	s_and_saveexec_b32 s0, vcc_lo
	s_xor_b32 s0, exec_lo, s0
	s_cbranch_execz .LBB843_75
; %bb.74:
	s_delay_alu instid0(VALU_DEP_1) | instskip(SKIP_1) | instid1(VALU_DEP_2)
	v_lshlrev_b16 v3, 8, v7
	v_lshlrev_b16 v5, 8, v5
                                        ; implicit-def: $vgpr7
	v_bitop3_b16 v3, v6, v3, 0xff bitop3:0xec
	v_and_b32_e32 v6, 0xff0000, v4
	s_delay_alu instid0(VALU_DEP_3) | instskip(NEXT) | instid1(VALU_DEP_3)
	v_and_b32_e32 v5, 0xffff, v5
	v_lshlrev_b32_e32 v3, 16, v3
	s_delay_alu instid0(VALU_DEP_3) | instskip(NEXT) | instid1(VALU_DEP_2)
	v_perm_b32 v33, v4, v6, 0x3020504
                                        ; implicit-def: $vgpr4
                                        ; implicit-def: $vgpr6
	v_or_b32_e32 v3, v5, v3
                                        ; implicit-def: $vgpr5
.LBB843_75:
	s_and_not1_saveexec_b32 s1, s0
	s_cbranch_execz .LBB843_79
; %bb.76:
	v_dual_add_nc_u32 v3, s17, v15 :: v_dual_add_nc_u32 v8, s19, v15
	s_mov_b32 s2, 0
	s_mov_b32 s3, exec_lo
	s_delay_alu instid0(VALU_DEP_1) | instskip(NEXT) | instid1(VALU_DEP_2)
	v_mul_lo_u32 v3, v3, s16
	v_mul_lo_u32 v8, v8, s18
	s_delay_alu instid0(VALU_DEP_1) | instskip(NEXT) | instid1(VALU_DEP_1)
	v_sub_nc_u32_e32 v3, v3, v8
	v_cmp_lt_u32_e32 vcc_lo, s20, v3
	v_cmpx_ge_u32_e64 s20, v3
	s_cbranch_execz .LBB843_78
; %bb.77:
	v_dual_add_nc_u32 v3, s22, v15 :: v_dual_add_nc_u32 v8, s42, v15
	s_delay_alu instid0(VALU_DEP_1) | instskip(NEXT) | instid1(VALU_DEP_2)
	v_mul_lo_u32 v3, v3, s21
	v_mul_lo_u32 v8, v8, s23
	s_delay_alu instid0(VALU_DEP_1) | instskip(NEXT) | instid1(VALU_DEP_1)
	v_sub_nc_u32_e32 v3, v3, v8
	v_cmp_lt_u32_e64 s0, s43, v3
	s_and_b32 s2, s0, exec_lo
.LBB843_78:
	s_or_b32 exec_lo, exec_lo, s3
	v_cndmask_b32_e64 v3, 0, 1, vcc_lo
	v_dual_lshrrev_b32 v8, 8, v4 :: v_dual_lshrrev_b32 v22, 16, v4
	v_cndmask_b32_e64 v9, 0, 1, s2
	v_lshlrev_b16 v7, 8, v7
	s_delay_alu instid0(VALU_DEP_4) | instskip(NEXT) | instid1(VALU_DEP_4)
	v_lshlrev_b16 v3, 8, v3
	v_lshlrev_b16 v8, 8, v8
	v_lshlrev_b16 v5, 8, v5
	s_delay_alu instid0(VALU_DEP_4) | instskip(NEXT) | instid1(VALU_DEP_4)
	v_bitop3_b16 v6, v6, v7, 0xff bitop3:0xec
	v_bitop3_b16 v3, v22, v3, 0xff bitop3:0xec
	s_delay_alu instid0(VALU_DEP_4) | instskip(NEXT) | instid1(VALU_DEP_3)
	v_bitop3_b16 v4, v4, v8, 0xff bitop3:0xec
	v_dual_lshlrev_b32 v6, 16, v6 :: v_dual_bitop2_b32 v5, v9, v5 bitop3:0x54
	s_delay_alu instid0(VALU_DEP_3) | instskip(NEXT) | instid1(VALU_DEP_3)
	v_lshlrev_b32_e32 v3, 16, v3
	v_and_b32_e32 v4, 0xffff, v4
	s_delay_alu instid0(VALU_DEP_3) | instskip(NEXT) | instid1(VALU_DEP_2)
	v_and_b32_e32 v5, 0xffff, v5
	v_or_b32_e32 v33, v4, v3
	s_delay_alu instid0(VALU_DEP_2)
	v_or_b32_e32 v3, v5, v6
.LBB843_79:
	s_or_b32 exec_lo, exec_lo, s1
	s_delay_alu instid0(VALU_DEP_1) | instskip(SKIP_2) | instid1(VALU_DEP_3)
	v_dual_add_nc_u32 v4, 8, v30 :: v_dual_lshrrev_b32 v5, 16, v3
	v_dual_lshrrev_b32 v6, 24, v3 :: v_dual_lshrrev_b32 v9, 24, v2
	v_dual_lshrrev_b32 v7, 16, v2 :: v_dual_lshrrev_b32 v8, 8, v2
	v_cmp_le_u32_e32 vcc_lo, s6, v4
                                        ; implicit-def: $vgpr2
                                        ; implicit-def: $vgpr4
	s_and_saveexec_b32 s0, vcc_lo
	s_delay_alu instid0(SALU_CYCLE_1)
	s_xor_b32 s0, exec_lo, s0
	s_cbranch_execz .LBB843_81
; %bb.80:
	v_lshlrev_b16 v2, 8, v9
	v_lshlrev_b16 v4, 8, v8
	;; [unrolled: 1-line block ×3, first 2 shown]
	v_perm_b32 v1, v1, v1, 0x3060504
                                        ; implicit-def: $vgpr9
                                        ; implicit-def: $vgpr8
	s_delay_alu instid0(VALU_DEP_4) | instskip(NEXT) | instid1(VALU_DEP_4)
	v_bitop3_b16 v2, v7, v2, 0xff bitop3:0xec
	v_and_b32_e32 v4, 0xffff, v4
	s_delay_alu instid0(VALU_DEP_4) | instskip(NEXT) | instid1(VALU_DEP_3)
	v_bitop3_b16 v5, v5, v6, 0xff bitop3:0xec
                                        ; implicit-def: $vgpr6
                                        ; implicit-def: $vgpr7
	v_lshlrev_b32_e32 v2, 16, v2
	s_delay_alu instid0(VALU_DEP_1) | instskip(NEXT) | instid1(VALU_DEP_3)
	v_or_b32_e32 v4, v4, v2
	v_perm_b32 v2, v5, v3, 0x5040c00
                                        ; implicit-def: $vgpr3
                                        ; implicit-def: $vgpr5
.LBB843_81:
	s_and_not1_saveexec_b32 s1, s0
	s_cbranch_execz .LBB843_85
; %bb.82:
	v_dual_add_nc_u32 v2, s17, v12 :: v_dual_add_nc_u32 v4, s19, v12
	s_mov_b32 s2, 0
	s_mov_b32 s3, exec_lo
	s_delay_alu instid0(VALU_DEP_1) | instskip(NEXT) | instid1(VALU_DEP_2)
	v_mul_lo_u32 v2, v2, s16
	v_mul_lo_u32 v4, v4, s18
	s_delay_alu instid0(VALU_DEP_1) | instskip(NEXT) | instid1(VALU_DEP_1)
	v_sub_nc_u32_e32 v2, v2, v4
	v_cmp_lt_u32_e32 vcc_lo, s20, v2
	v_cmpx_ge_u32_e64 s20, v2
	s_cbranch_execz .LBB843_84
; %bb.83:
	v_dual_add_nc_u32 v2, s22, v12 :: v_dual_add_nc_u32 v4, s42, v12
	s_delay_alu instid0(VALU_DEP_1) | instskip(NEXT) | instid1(VALU_DEP_2)
	v_mul_lo_u32 v2, v2, s21
	v_mul_lo_u32 v4, v4, s23
	s_delay_alu instid0(VALU_DEP_1) | instskip(NEXT) | instid1(VALU_DEP_1)
	v_sub_nc_u32_e32 v2, v2, v4
	v_cmp_lt_u32_e64 s0, s43, v2
	s_and_b32 s2, s0, exec_lo
.LBB843_84:
	s_or_b32 exec_lo, exec_lo, s3
	v_cndmask_b32_e64 v2, 0, 1, s2
	v_cndmask_b32_e64 v4, 0, 1, vcc_lo
	v_lshlrev_b16 v9, 8, v9
	v_lshlrev_b16 v8, 8, v8
	;; [unrolled: 1-line block ×4, first 2 shown]
	s_delay_alu instid0(VALU_DEP_4) | instskip(NEXT) | instid1(VALU_DEP_4)
	v_bitop3_b16 v7, v7, v9, 0xff bitop3:0xec
	v_or_b32_e32 v4, v4, v8
	s_delay_alu instid0(VALU_DEP_4) | instskip(NEXT) | instid1(VALU_DEP_4)
	v_bitop3_b16 v5, v5, v6, 0xff bitop3:0xec
	v_bitop3_b16 v2, v3, v2, 0xff bitop3:0xec
	s_delay_alu instid0(VALU_DEP_4) | instskip(NEXT) | instid1(VALU_DEP_4)
	v_lshlrev_b32_e32 v3, 16, v7
	v_and_b32_e32 v4, 0xffff, v4
	s_delay_alu instid0(VALU_DEP_4) | instskip(NEXT) | instid1(VALU_DEP_4)
	v_lshlrev_b32_e32 v5, 16, v5
	v_and_b32_e32 v2, 0xffff, v2
	s_delay_alu instid0(VALU_DEP_3) | instskip(NEXT) | instid1(VALU_DEP_2)
	v_or_b32_e32 v4, v4, v3
	v_or_b32_e32 v2, v2, v5
.LBB843_85:
	s_or_b32 exec_lo, exec_lo, s1
	s_delay_alu instid0(VALU_DEP_2) | instskip(NEXT) | instid1(VALU_DEP_2)
	v_dual_add_nc_u32 v3, 9, v30 :: v_dual_lshrrev_b32 v8, 24, v4
	v_dual_lshrrev_b32 v7, 8, v2 :: v_dual_lshrrev_b32 v6, 16, v4
                                        ; implicit-def: $vgpr5
	s_delay_alu instid0(VALU_DEP_2) | instskip(SKIP_1) | instid1(SALU_CYCLE_1)
	v_cmp_le_u32_e32 vcc_lo, s6, v3
                                        ; implicit-def: $vgpr3
	s_and_saveexec_b32 s0, vcc_lo
	s_xor_b32 s0, exec_lo, s0
	s_cbranch_execz .LBB843_87
; %bb.86:
	v_lshlrev_b16 v3, 8, v7
	v_lshlrev_b16 v5, 8, v8
	v_perm_b32 v1, v1, v1, 0x3060504
                                        ; implicit-def: $vgpr7
                                        ; implicit-def: $vgpr8
	s_delay_alu instid0(VALU_DEP_3) | instskip(NEXT) | instid1(VALU_DEP_3)
	v_bitop3_b16 v3, v2, v3, 0xff bitop3:0xec
	v_bitop3_b16 v5, v6, v5, 0xff bitop3:0xec
                                        ; implicit-def: $vgpr6
	s_delay_alu instid0(VALU_DEP_2) | instskip(NEXT) | instid1(VALU_DEP_2)
	v_and_b32_e32 v3, 0xffff, v3
	v_perm_b32 v5, v5, v4, 0x5040c00
                                        ; implicit-def: $vgpr4
	s_delay_alu instid0(VALU_DEP_2)
	v_and_or_b32 v3, 0xff000000, v2, v3
                                        ; implicit-def: $vgpr2
.LBB843_87:
	s_and_not1_saveexec_b32 s1, s0
	s_cbranch_execz .LBB843_91
; %bb.88:
	v_dual_add_nc_u32 v3, s17, v13 :: v_dual_add_nc_u32 v5, s19, v13
	s_mov_b32 s2, 0
	s_mov_b32 s3, exec_lo
	s_delay_alu instid0(VALU_DEP_1) | instskip(NEXT) | instid1(VALU_DEP_2)
	v_mul_lo_u32 v3, v3, s16
	v_mul_lo_u32 v5, v5, s18
	s_delay_alu instid0(VALU_DEP_1) | instskip(NEXT) | instid1(VALU_DEP_1)
	v_sub_nc_u32_e32 v3, v3, v5
	v_cmp_lt_u32_e32 vcc_lo, s20, v3
	v_cmpx_ge_u32_e64 s20, v3
	s_cbranch_execz .LBB843_90
; %bb.89:
	v_dual_add_nc_u32 v3, s22, v13 :: v_dual_add_nc_u32 v5, s42, v13
	s_delay_alu instid0(VALU_DEP_1) | instskip(NEXT) | instid1(VALU_DEP_2)
	v_mul_lo_u32 v3, v3, s21
	v_mul_lo_u32 v5, v5, s23
	s_delay_alu instid0(VALU_DEP_1) | instskip(NEXT) | instid1(VALU_DEP_1)
	v_sub_nc_u32_e32 v3, v3, v5
	v_cmp_lt_u32_e64 s0, s43, v3
	s_and_b32 s2, s0, exec_lo
.LBB843_90:
	s_or_b32 exec_lo, exec_lo, s3
	v_cndmask_b32_e64 v3, 0, 1, vcc_lo
	v_lshrrev_b32_e32 v5, 24, v2
	v_cndmask_b32_e64 v9, 0, 1, s2
	v_lshlrev_b16 v8, 8, v8
	v_lshlrev_b16 v7, 8, v7
	;; [unrolled: 1-line block ×4, first 2 shown]
	s_delay_alu instid0(VALU_DEP_4) | instskip(NEXT) | instid1(VALU_DEP_4)
	v_bitop3_b16 v6, v6, v8, 0xff bitop3:0xec
	v_bitop3_b16 v2, v2, v7, 0xff bitop3:0xec
	s_delay_alu instid0(VALU_DEP_4) | instskip(NEXT) | instid1(VALU_DEP_3)
	v_bitop3_b16 v3, v4, v3, 0xff bitop3:0xec
	v_dual_lshlrev_b32 v5, 16, v6 :: v_dual_bitop2_b32 v4, v9, v5 bitop3:0x54
	s_delay_alu instid0(VALU_DEP_3) | instskip(NEXT) | instid1(VALU_DEP_3)
	v_and_b32_e32 v2, 0xffff, v2
	v_and_b32_e32 v3, 0xffff, v3
	s_delay_alu instid0(VALU_DEP_1) | instskip(NEXT) | instid1(VALU_DEP_1)
	v_dual_lshlrev_b32 v4, 16, v4 :: v_dual_bitop2_b32 v5, v3, v5 bitop3:0x54
	v_or_b32_e32 v3, v2, v4
.LBB843_91:
	s_or_b32 exec_lo, exec_lo, s1
	s_delay_alu instid0(VALU_DEP_2) | instskip(NEXT) | instid1(VALU_DEP_1)
	v_dual_add_nc_u32 v2, 10, v30 :: v_dual_lshrrev_b32 v4, 8, v5
                                        ; implicit-def: $vgpr35
	v_cmp_le_u32_e32 vcc_lo, s6, v2
                                        ; implicit-def: $vgpr2
	s_and_saveexec_b32 s0, vcc_lo
	s_delay_alu instid0(SALU_CYCLE_1)
	s_xor_b32 s0, exec_lo, s0
	s_cbranch_execz .LBB843_93
; %bb.92:
	v_lshlrev_b16 v2, 8, v4
	v_and_b32_e32 v4, 0xff0000, v3
	v_perm_b32 v1, v1, v1, 0x3060504
	s_delay_alu instid0(VALU_DEP_3) | instskip(NEXT) | instid1(VALU_DEP_3)
	v_bitop3_b16 v2, v5, v2, 0xff bitop3:0xec
	v_perm_b32 v35, v3, v4, 0x3020504
                                        ; implicit-def: $vgpr4
                                        ; implicit-def: $vgpr3
	s_delay_alu instid0(VALU_DEP_2) | instskip(NEXT) | instid1(VALU_DEP_1)
	v_and_b32_e32 v2, 0xffff, v2
	v_and_or_b32 v2, 0xff000000, v5, v2
                                        ; implicit-def: $vgpr5
.LBB843_93:
	s_and_not1_saveexec_b32 s1, s0
	s_cbranch_execz .LBB843_97
; %bb.94:
	v_dual_add_nc_u32 v2, s17, v10 :: v_dual_add_nc_u32 v6, s19, v10
	s_mov_b32 s2, 0
	s_mov_b32 s3, exec_lo
	s_delay_alu instid0(VALU_DEP_1) | instskip(NEXT) | instid1(VALU_DEP_2)
	v_mul_lo_u32 v2, v2, s16
	v_mul_lo_u32 v6, v6, s18
	s_delay_alu instid0(VALU_DEP_1) | instskip(NEXT) | instid1(VALU_DEP_1)
	v_sub_nc_u32_e32 v2, v2, v6
	v_cmp_lt_u32_e32 vcc_lo, s20, v2
	v_cmpx_ge_u32_e64 s20, v2
	s_cbranch_execz .LBB843_96
; %bb.95:
	v_dual_add_nc_u32 v2, s22, v10 :: v_dual_add_nc_u32 v6, s42, v10
	s_delay_alu instid0(VALU_DEP_1) | instskip(NEXT) | instid1(VALU_DEP_2)
	v_mul_lo_u32 v2, v2, s21
	v_mul_lo_u32 v6, v6, s23
	s_delay_alu instid0(VALU_DEP_1) | instskip(NEXT) | instid1(VALU_DEP_1)
	v_sub_nc_u32_e32 v2, v2, v6
	v_cmp_lt_u32_e64 s0, s43, v2
	s_and_b32 s2, s0, exec_lo
.LBB843_96:
	s_or_b32 exec_lo, exec_lo, s3
	v_dual_lshrrev_b32 v2, 24, v5 :: v_dual_lshrrev_b32 v8, 8, v3
	v_cndmask_b32_e64 v6, 0, 1, s2
	v_cndmask_b32_e64 v7, 0, 1, vcc_lo
	v_lshlrev_b16 v4, 8, v4
	s_delay_alu instid0(VALU_DEP_4)
	v_lshlrev_b16 v2, 8, v2
	v_lshrrev_b32_e32 v9, 16, v3
	v_lshlrev_b16 v6, 8, v6
	v_lshlrev_b16 v8, 8, v8
	v_bitop3_b16 v4, v5, v4, 0xff bitop3:0xec
	v_or_b32_e32 v2, v7, v2
	s_delay_alu instid0(VALU_DEP_4) | instskip(NEXT) | instid1(VALU_DEP_4)
	v_bitop3_b16 v5, v9, v6, 0xff bitop3:0xec
	v_bitop3_b16 v3, v3, v8, 0xff bitop3:0xec
	s_delay_alu instid0(VALU_DEP_4) | instskip(NEXT) | instid1(VALU_DEP_3)
	v_and_b32_e32 v4, 0xffff, v4
	v_dual_lshlrev_b32 v2, 16, v2 :: v_dual_lshlrev_b32 v5, 16, v5
	s_delay_alu instid0(VALU_DEP_3) | instskip(NEXT) | instid1(VALU_DEP_2)
	v_and_b32_e32 v3, 0xffff, v3
	v_or_b32_e32 v2, v4, v2
	s_delay_alu instid0(VALU_DEP_2)
	v_or_b32_e32 v35, v3, v5
.LBB843_97:
	s_or_b32 exec_lo, exec_lo, s1
	v_dual_mov_b32 v34, 0 :: v_dual_add_nc_u32 v3, 11, v30
	s_mov_b32 s0, exec_lo
                                        ; implicit-def: $vgpr36
	s_delay_alu instid0(VALU_DEP_1)
	v_cmpx_le_u32_e64 s6, v3
	s_xor_b32 s0, exec_lo, s0
; %bb.98:
	v_and_b32_e32 v3, 0xff0000, v2
	v_perm_b32 v1, v1, v1, 0x3060504
	s_delay_alu instid0(VALU_DEP_2)
	v_perm_b32 v36, v2, v3, 0x3020504
                                        ; implicit-def: $vgpr2
; %bb.99:
	s_and_not1_saveexec_b32 s1, s0
	s_cbranch_execz .LBB843_103
; %bb.100:
	v_dual_add_nc_u32 v3, s17, v11 :: v_dual_add_nc_u32 v4, s19, v11
	s_mov_b32 s2, 0
	s_mov_b32 s3, exec_lo
	s_delay_alu instid0(VALU_DEP_1) | instskip(NEXT) | instid1(VALU_DEP_2)
	v_mul_lo_u32 v3, v3, s16
	v_mul_lo_u32 v4, v4, s18
	s_delay_alu instid0(VALU_DEP_1) | instskip(NEXT) | instid1(VALU_DEP_1)
	v_sub_nc_u32_e32 v3, v3, v4
	v_cmp_lt_u32_e32 vcc_lo, s20, v3
	v_cmpx_ge_u32_e64 s20, v3
	s_cbranch_execz .LBB843_102
; %bb.101:
	v_dual_add_nc_u32 v3, s22, v11 :: v_dual_add_nc_u32 v4, s42, v11
	s_delay_alu instid0(VALU_DEP_1) | instskip(NEXT) | instid1(VALU_DEP_2)
	v_mul_lo_u32 v3, v3, s21
	v_mul_lo_u32 v4, v4, s23
	s_delay_alu instid0(VALU_DEP_1) | instskip(NEXT) | instid1(VALU_DEP_1)
	v_sub_nc_u32_e32 v3, v3, v4
	v_cmp_lt_u32_e64 s0, s43, v3
	s_and_b32 s2, s0, exec_lo
.LBB843_102:
	s_or_b32 exec_lo, exec_lo, s3
	v_cndmask_b32_e64 v3, 0, 1, vcc_lo
	v_dual_lshrrev_b32 v4, 8, v2 :: v_dual_lshrrev_b32 v5, 16, v2
	v_cndmask_b32_e64 v34, 0, 1, s2
	s_delay_alu instid0(VALU_DEP_3) | instskip(NEXT) | instid1(VALU_DEP_3)
	v_lshlrev_b16 v3, 8, v3
	v_lshlrev_b16 v4, 8, v4
	s_delay_alu instid0(VALU_DEP_2) | instskip(NEXT) | instid1(VALU_DEP_2)
	v_bitop3_b16 v3, v5, v3, 0xff bitop3:0xec
	v_bitop3_b16 v2, v2, v4, 0xff bitop3:0xec
	s_delay_alu instid0(VALU_DEP_2) | instskip(NEXT) | instid1(VALU_DEP_2)
	v_lshlrev_b32_e32 v3, 16, v3
	v_and_b32_e32 v2, 0xffff, v2
	s_delay_alu instid0(VALU_DEP_1)
	v_or_b32_e32 v36, v2, v3
.LBB843_103:
	s_or_b32 exec_lo, exec_lo, s1
	v_dual_add_nc_u32 v4, 12, v30 :: v_dual_lshrrev_b32 v2, 8, v1
	v_dual_lshrrev_b32 v3, 16, v1 :: v_dual_lshrrev_b32 v1, 24, v1
	s_mov_b32 s0, exec_lo
                                        ; implicit-def: $vgpr37
	s_delay_alu instid0(VALU_DEP_2)
	v_cmpx_le_u32_e64 s6, v4
	s_xor_b32 s0, exec_lo, s0
; %bb.104:
	s_delay_alu instid0(VALU_DEP_2) | instskip(SKIP_1) | instid1(VALU_DEP_2)
	v_lshlrev_b16 v1, 8, v1
	v_lshlrev_b16 v2, 8, v2
	v_bitop3_b16 v1, v3, v1, 0xff bitop3:0xec
	s_delay_alu instid0(VALU_DEP_2) | instskip(NEXT) | instid1(VALU_DEP_2)
	v_and_b32_e32 v2, 0xffff, v2
                                        ; implicit-def: $vgpr3
	v_lshlrev_b32_e32 v1, 16, v1
	s_delay_alu instid0(VALU_DEP_1)
	v_or_b32_e32 v37, v2, v1
                                        ; implicit-def: $vgpr1
                                        ; implicit-def: $vgpr2
; %bb.105:
	s_or_saveexec_b32 s1, s0
	v_mov_b32_e32 v38, 0
	s_xor_b32 exec_lo, exec_lo, s1
	s_cbranch_execz .LBB843_109
; %bb.106:
	v_dual_add_nc_u32 v4, s19, v28 :: v_dual_add_nc_u32 v5, s17, v28
	s_mov_b32 s2, 0
	s_mov_b32 s3, exec_lo
	s_delay_alu instid0(VALU_DEP_1) | instskip(NEXT) | instid1(VALU_DEP_2)
	v_mul_lo_u32 v4, v4, s18
	v_mul_lo_u32 v5, v5, s16
	s_delay_alu instid0(VALU_DEP_1) | instskip(NEXT) | instid1(VALU_DEP_1)
	v_sub_nc_u32_e32 v4, v5, v4
	v_cmp_lt_u32_e32 vcc_lo, s20, v4
	v_cmpx_ge_u32_e64 s20, v4
	s_cbranch_execz .LBB843_108
; %bb.107:
	v_dual_add_nc_u32 v4, s42, v28 :: v_dual_add_nc_u32 v5, s22, v28
	s_delay_alu instid0(VALU_DEP_1) | instskip(NEXT) | instid1(VALU_DEP_2)
	v_mul_lo_u32 v4, v4, s23
	v_mul_lo_u32 v5, v5, s21
	s_delay_alu instid0(VALU_DEP_1) | instskip(NEXT) | instid1(VALU_DEP_1)
	v_sub_nc_u32_e32 v4, v5, v4
	v_cmp_lt_u32_e64 s0, s43, v4
	s_and_b32 s2, s0, exec_lo
.LBB843_108:
	s_or_b32 exec_lo, exec_lo, s3
	v_cndmask_b32_e64 v4, 0, 1, vcc_lo
	v_lshlrev_b16 v1, 8, v1
	v_lshlrev_b16 v2, 8, v2
	v_cndmask_b32_e64 v38, 0, 1, s2
	s_delay_alu instid0(VALU_DEP_3) | instskip(NEXT) | instid1(VALU_DEP_1)
	v_bitop3_b16 v1, v3, v1, 0xff bitop3:0xec
	v_dual_lshlrev_b32 v1, 16, v1 :: v_dual_bitop2_b32 v2, v4, v2 bitop3:0x54
	s_delay_alu instid0(VALU_DEP_1) | instskip(NEXT) | instid1(VALU_DEP_1)
	v_and_b32_e32 v2, 0xffff, v2
	v_or_b32_e32 v37, v2, v1
.LBB843_109:
	s_or_b32 exec_lo, exec_lo, s1
.LBB843_110:
	v_and_b32_e32 v61, 0xff, v31
	s_delay_alu instid0(VALU_DEP_2)
	v_bfe_u32 v62, v37, 8, 8
	v_bfe_u32 v59, v31, 8, 8
	;; [unrolled: 1-line block ×4, first 2 shown]
	v_dual_lshrrev_b32 v44, 24, v37 :: v_dual_lshrrev_b32 v43, 24, v31
	v_and_b32_e32 v57, 0xff, v32
	v_and_b32_e32 v55, 0xff, v33
	v_bfe_u32 v56, v32, 8, 8
	v_add3_u32 v1, v59, v61, v58
	v_add3_u32 v2, v60, v62, v44
	v_bfe_u32 v53, v33, 8, 8
	v_bfe_u32 v54, v32, 16, 8
	;; [unrolled: 1-line block ×3, first 2 shown]
	v_dual_lshrrev_b32 v42, 24, v32 :: v_dual_lshrrev_b32 v41, 24, v33
	v_add3_u32 v1, v1, v43, v55
	v_add3_u32 v2, v2, v57, v56
	v_and_b32_e32 v52, 0xff, v35
	v_and_b32_e32 v48, 0xff, v36
	v_bfe_u32 v50, v35, 8, 8
	v_add3_u32 v1, v1, v53, v51
	v_add3_u32 v2, v2, v54, v42
	v_bfe_u32 v47, v36, 8, 8
	v_bfe_u32 v49, v35, 16, 8
	v_bfe_u32 v46, v36, 16, 8
	v_dual_lshrrev_b32 v40, 24, v35 :: v_dual_lshrrev_b32 v39, 24, v36
	v_add3_u32 v1, v1, v41, v48
	v_add3_u32 v2, v2, v52, v50
	v_mbcnt_lo_u32_b32 v63, -1, 0
	v_and_b32_e32 v45, 0xff, v34
	v_and_b32_e32 v3, 0xff, v37
	;; [unrolled: 1-line block ×3, first 2 shown]
	v_add3_u32 v1, v1, v47, v46
	v_add3_u32 v2, v2, v49, v40
	v_dual_lshrrev_b32 v64, 5, v0 :: v_dual_bitop2_b32 v65, 15, v63 bitop3:0x40
	v_and_b32_e32 v67, 16, v63
	s_delay_alu instid0(VALU_DEP_4) | instskip(NEXT) | instid1(VALU_DEP_4)
	v_add3_u32 v68, v1, v39, v3
	v_add3_u32 v69, v2, v45, v4
	s_wait_xcnt 0x0
	v_cmp_eq_u32_e64 s1, 0, v65
	v_cmp_lt_u32_e64 s0, 1, v65
	v_cmp_lt_u32_e64 s2, 3, v65
	v_or_b32_e32 v66, 31, v0
	s_cmp_lg_u32 s33, 0
	s_mov_b32 s3, -1
	v_cmp_lt_u32_e32 vcc_lo, 7, v65
	s_cbranch_scc0 .LBB843_131
; %bb.111:
	v_mov_b32_dpp v1, v69 row_shr:1 row_mask:0xf bank_mask:0xf
	v_mov_b32_dpp v2, v68 row_shr:1 row_mask:0xf bank_mask:0xf
	s_mov_b32 s3, exec_lo
	s_delay_alu instid0(VALU_DEP_1) | instskip(NEXT) | instid1(VALU_DEP_1)
	v_dual_add_nc_u32 v1, v1, v69 :: v_dual_add_nc_u32 v2, v2, v68
	v_dual_cndmask_b32 v1, v1, v69, s1 :: v_dual_cndmask_b32 v2, v2, v68, s1
	s_delay_alu instid0(VALU_DEP_1) | instskip(NEXT) | instid1(VALU_DEP_2)
	v_mov_b32_dpp v3, v1 row_shr:2 row_mask:0xf bank_mask:0xf
	v_mov_b32_dpp v4, v2 row_shr:2 row_mask:0xf bank_mask:0xf
	s_delay_alu instid0(VALU_DEP_1) | instskip(NEXT) | instid1(VALU_DEP_1)
	v_dual_add_nc_u32 v3, v1, v3 :: v_dual_add_nc_u32 v4, v2, v4
	v_dual_cndmask_b32 v1, v1, v3, s0 :: v_dual_cndmask_b32 v2, v2, v4, s0
	s_delay_alu instid0(VALU_DEP_1) | instskip(NEXT) | instid1(VALU_DEP_2)
	v_mov_b32_dpp v3, v1 row_shr:4 row_mask:0xf bank_mask:0xf
	v_mov_b32_dpp v4, v2 row_shr:4 row_mask:0xf bank_mask:0xf
	;; [unrolled: 6-line block ×3, first 2 shown]
	s_delay_alu instid0(VALU_DEP_1) | instskip(NEXT) | instid1(VALU_DEP_1)
	v_dual_add_nc_u32 v3, v1, v3 :: v_dual_add_nc_u32 v4, v2, v4
	v_dual_cndmask_b32 v1, v1, v3 :: v_dual_cndmask_b32 v2, v2, v4
	v_cmp_eq_u32_e32 vcc_lo, 0, v67
	ds_swizzle_b32 v3, v1 offset:swizzle(BROADCAST,32,15)
	ds_swizzle_b32 v4, v2 offset:swizzle(BROADCAST,32,15)
	s_wait_dscnt 0x0
	v_dual_add_nc_u32 v3, v1, v3 :: v_dual_add_nc_u32 v4, v2, v4
	v_cmpx_eq_u32_e64 v0, v66
; %bb.112:
	s_delay_alu instid0(VALU_DEP_2) | instskip(NEXT) | instid1(VALU_DEP_3)
	v_dual_lshlrev_b32 v5, 3, v64 :: v_dual_cndmask_b32 v7, v3, v1, vcc_lo
	v_cndmask_b32_e32 v6, v4, v2, vcc_lo
	ds_store_b64 v5, v[6:7]
; %bb.113:
	s_or_b32 exec_lo, exec_lo, s3
	s_delay_alu instid0(SALU_CYCLE_1)
	s_mov_b32 s3, exec_lo
	s_wait_dscnt 0x0
	s_barrier_signal -1
	s_barrier_wait -1
	v_cmpx_gt_u32_e32 8, v0
	s_cbranch_execz .LBB843_115
; %bb.114:
	v_dual_lshlrev_b32 v5, 3, v0 :: v_dual_bitop2_b32 v22, 7, v63 bitop3:0x40
	ds_load_b64 v[6:7], v5
	v_cmp_eq_u32_e64 s2, 0, v22
	s_wait_dscnt 0x0
	v_mov_b32_dpp v8, v6 row_shr:1 row_mask:0xf bank_mask:0xf
	v_mov_b32_dpp v9, v7 row_shr:1 row_mask:0xf bank_mask:0xf
	s_delay_alu instid0(VALU_DEP_1) | instskip(NEXT) | instid1(VALU_DEP_1)
	v_dual_add_nc_u32 v8, v8, v6 :: v_dual_add_nc_u32 v9, v9, v7
	v_dual_cndmask_b32 v6, v8, v6, s2 :: v_dual_cndmask_b32 v7, v9, v7, s2
	v_cmp_lt_u32_e64 s2, 1, v22
	s_delay_alu instid0(VALU_DEP_2) | instskip(NEXT) | instid1(VALU_DEP_3)
	v_mov_b32_dpp v8, v6 row_shr:2 row_mask:0xf bank_mask:0xf
	v_mov_b32_dpp v9, v7 row_shr:2 row_mask:0xf bank_mask:0xf
	s_delay_alu instid0(VALU_DEP_1) | instskip(NEXT) | instid1(VALU_DEP_1)
	v_dual_add_nc_u32 v8, v6, v8 :: v_dual_add_nc_u32 v9, v7, v9
	v_dual_cndmask_b32 v6, v6, v8, s2 :: v_dual_cndmask_b32 v7, v7, v9, s2
	v_cmp_lt_u32_e64 s2, 3, v22
	s_delay_alu instid0(VALU_DEP_2) | instskip(NEXT) | instid1(VALU_DEP_3)
	v_mov_b32_dpp v8, v6 row_shr:4 row_mask:0xf bank_mask:0xf
	v_mov_b32_dpp v9, v7 row_shr:4 row_mask:0xf bank_mask:0xf
	s_delay_alu instid0(VALU_DEP_1) | instskip(NEXT) | instid1(VALU_DEP_1)
	v_dual_cndmask_b32 v8, 0, v8, s2 :: v_dual_cndmask_b32 v9, 0, v9, s2
	v_dual_add_nc_u32 v6, v8, v6 :: v_dual_add_nc_u32 v7, v9, v7
	ds_store_b64 v5, v[6:7]
.LBB843_115:
	s_or_b32 exec_lo, exec_lo, s3
	v_dual_cndmask_b32 v1, v3, v1 :: v_dual_cndmask_b32 v2, v4, v2
	s_mov_b32 s3, exec_lo
	v_cmp_gt_u32_e32 vcc_lo, 32, v0
	s_wait_dscnt 0x0
	s_barrier_signal -1
	s_barrier_wait -1
                                        ; implicit-def: $vgpr22
	v_cmpx_lt_u32_e32 31, v0
	s_cbranch_execz .LBB843_117
; %bb.116:
	v_lshl_add_u32 v3, v64, 3, -8
	ds_load_b64 v[22:23], v3
	s_wait_dscnt 0x0
	v_dual_add_nc_u32 v1, v23, v1 :: v_dual_add_nc_u32 v2, v22, v2
.LBB843_117:
	s_or_b32 exec_lo, exec_lo, s3
	v_sub_co_u32 v3, s2, v63, 1
	s_delay_alu instid0(VALU_DEP_1) | instskip(NEXT) | instid1(VALU_DEP_1)
	v_cmp_gt_i32_e64 s3, 0, v3
	v_cndmask_b32_e64 v3, v3, v63, s3
	s_delay_alu instid0(VALU_DEP_1)
	v_lshlrev_b32_e32 v3, 2, v3
	ds_bpermute_b32 v70, v3, v2
	ds_bpermute_b32 v1, v3, v1
	s_and_saveexec_b32 s3, vcc_lo
	s_cbranch_execz .LBB843_136
; %bb.118:
	v_mov_b32_e32 v5, 0
	ds_load_b64 v[2:3], v5 offset:56
	s_and_saveexec_b32 s7, s2
	s_cbranch_execz .LBB843_120
; %bb.119:
	s_add_co_i32 s8, s33, 32
	s_mov_b32 s9, 0
	v_mov_b32_e32 v4, 1
	s_lshl_b64 s[8:9], s[8:9], 4
	s_wait_kmcnt 0x0
	s_add_nc_u64 s[8:9], s[4:5], s[8:9]
	s_delay_alu instid0(SALU_CYCLE_1)
	v_mov_b64_e32 v[6:7], s[8:9]
	s_wait_dscnt 0x0
	;;#ASMSTART
	global_store_b128 v[6:7], v[2:5] off scope:SCOPE_DEV	
s_wait_storecnt 0x0
	;;#ASMEND
.LBB843_120:
	s_or_b32 exec_lo, exec_lo, s7
	v_xad_u32 v24, v63, -1, s33
	s_mov_b32 s8, 0
	s_mov_b32 s7, exec_lo
	s_delay_alu instid0(VALU_DEP_1) | instskip(SKIP_1) | instid1(VALU_DEP_1)
	v_add_nc_u32_e32 v4, 32, v24
	s_wait_kmcnt 0x0
	v_lshl_add_u64 v[4:5], v[4:5], 4, s[4:5]
	;;#ASMSTART
	global_load_b128 v[6:9], v[4:5] off scope:SCOPE_DEV	
s_wait_loadcnt 0x0
	;;#ASMEND
	v_and_b32_e32 v9, 0xff, v8
	s_delay_alu instid0(VALU_DEP_1)
	v_cmpx_eq_u16_e32 0, v9
	s_cbranch_execz .LBB843_123
.LBB843_121:                            ; =>This Inner Loop Header: Depth=1
	;;#ASMSTART
	global_load_b128 v[6:9], v[4:5] off scope:SCOPE_DEV	
s_wait_loadcnt 0x0
	;;#ASMEND
	v_and_b32_e32 v9, 0xff, v8
	s_delay_alu instid0(VALU_DEP_1) | instskip(SKIP_1) | instid1(SALU_CYCLE_1)
	v_cmp_ne_u16_e32 vcc_lo, 0, v9
	s_or_b32 s8, vcc_lo, s8
	s_and_not1_b32 exec_lo, exec_lo, s8
	s_cbranch_execnz .LBB843_121
; %bb.122:
	s_or_b32 exec_lo, exec_lo, s8
.LBB843_123:
	s_delay_alu instid0(SALU_CYCLE_1)
	s_or_b32 exec_lo, exec_lo, s7
	v_cmp_ne_u32_e32 vcc_lo, 31, v63
	v_lshlrev_b32_e64 v72, v63, -1
	v_lshl_or_b32 v79, v63, 2, 64
	v_dual_add_nc_u32 v76, 4, v63 :: v_dual_add_nc_u32 v80, 16, v63
	v_add_co_ci_u32_e64 v4, null, 0, v63, vcc_lo
	s_delay_alu instid0(VALU_DEP_1)
	v_lshlrev_b32_e32 v71, 2, v4
	v_and_b32_e32 v4, 0xff, v8
	ds_bpermute_b32 v5, v71, v7
	v_cmp_eq_u16_e32 vcc_lo, 2, v4
	s_wait_dscnt 0x0
	v_add_nc_u32_e32 v5, v5, v7
	ds_bpermute_b32 v4, v71, v6
	v_and_b32_e32 v9, vcc_lo, v72
	v_cmp_gt_u32_e32 vcc_lo, 30, v63
	v_cndmask_b32_e64 v25, 0, 2, vcc_lo
	s_delay_alu instid0(VALU_DEP_1) | instskip(SKIP_3) | instid1(VALU_DEP_1)
	v_add_lshl_u32 v73, v25, v63, 2
	s_wait_dscnt 0x0
	v_add_nc_u32_e32 v4, v4, v6
	v_or_b32_e32 v9, 0x80000000, v9
	v_ctz_i32_b32_e32 v9, v9
	s_delay_alu instid0(VALU_DEP_1) | instskip(NEXT) | instid1(VALU_DEP_4)
	v_cmp_lt_u32_e32 vcc_lo, v63, v9
	v_dual_cndmask_b32 v5, v7, v5 :: v_dual_cndmask_b32 v4, v6, v4
	v_cmp_gt_u32_e32 vcc_lo, 28, v63
	ds_bpermute_b32 v6, v73, v5
	ds_bpermute_b32 v7, v73, v4
	v_add_nc_u32_e32 v74, 2, v63
	v_cndmask_b32_e64 v25, 0, 4, vcc_lo
	s_delay_alu instid0(VALU_DEP_1) | instskip(SKIP_4) | instid1(VALU_DEP_2)
	v_add_lshl_u32 v75, v25, v63, 2
	s_wait_dscnt 0x1
	v_add_nc_u32_e32 v6, v5, v6
	v_cmp_gt_u32_e32 vcc_lo, v74, v9
	s_wait_dscnt 0x0
	v_dual_add_nc_u32 v7, v4, v7 :: v_dual_cndmask_b32 v5, v6, v5, vcc_lo
	s_delay_alu instid0(VALU_DEP_1)
	v_cndmask_b32_e32 v4, v7, v4, vcc_lo
	v_cmp_gt_u32_e32 vcc_lo, 24, v63
	ds_bpermute_b32 v6, v75, v5
	ds_bpermute_b32 v7, v75, v4
	v_cndmask_b32_e64 v25, 0, 8, vcc_lo
	v_cmp_gt_u32_e32 vcc_lo, v76, v9
	s_delay_alu instid0(VALU_DEP_2) | instskip(SKIP_3) | instid1(VALU_DEP_1)
	v_add_lshl_u32 v77, v25, v63, 2
	s_wait_dscnt 0x1
	v_dual_mov_b32 v25, 0 :: v_dual_add_nc_u32 v6, v5, v6
	s_wait_dscnt 0x0
	v_dual_add_nc_u32 v7, v4, v7 :: v_dual_cndmask_b32 v5, v6, v5, vcc_lo
	s_delay_alu instid0(VALU_DEP_1) | instskip(SKIP_4) | instid1(VALU_DEP_1)
	v_cndmask_b32_e32 v4, v7, v4, vcc_lo
	ds_bpermute_b32 v6, v77, v5
	ds_bpermute_b32 v7, v77, v4
	s_wait_dscnt 0x1
	v_dual_add_nc_u32 v78, 8, v63 :: v_dual_add_nc_u32 v6, v5, v6
	v_cmp_gt_u32_e32 vcc_lo, v78, v9
	s_wait_dscnt 0x0
	s_delay_alu instid0(VALU_DEP_2) | instskip(NEXT) | instid1(VALU_DEP_1)
	v_dual_add_nc_u32 v7, v4, v7 :: v_dual_cndmask_b32 v5, v6, v5, vcc_lo
	v_cndmask_b32_e32 v4, v7, v4, vcc_lo
	v_cmp_le_u32_e32 vcc_lo, v80, v9
	ds_bpermute_b32 v7, v79, v5
	ds_bpermute_b32 v6, v79, v4
	s_wait_dscnt 0x0
	v_dual_cndmask_b32 v7, 0, v7 :: v_dual_cndmask_b32 v6, 0, v6
	s_delay_alu instid0(VALU_DEP_1)
	v_dual_add_nc_u32 v7, v7, v5 :: v_dual_add_nc_u32 v6, v6, v4
	s_branch .LBB843_127
.LBB843_124:                            ;   in Loop: Header=BB843_127 Depth=1
	s_or_b32 exec_lo, exec_lo, s8
.LBB843_125:                            ;   in Loop: Header=BB843_127 Depth=1
	s_delay_alu instid0(SALU_CYCLE_1)
	s_or_b32 exec_lo, exec_lo, s7
	ds_bpermute_b32 v9, v71, v6
	ds_bpermute_b32 v26, v71, v7
	v_and_b32_e32 v27, 0xff, v8
	v_subrev_nc_u32_e32 v24, 32, v24
	s_mov_b32 s7, 0
	s_delay_alu instid0(VALU_DEP_2) | instskip(SKIP_1) | instid1(VALU_DEP_1)
	v_cmp_eq_u16_e32 vcc_lo, 2, v27
	v_and_or_b32 v27, vcc_lo, v72, 0x80000000
	v_ctz_i32_b32_e32 v27, v27
	s_wait_dscnt 0x0
	v_dual_add_nc_u32 v9, v9, v6 :: v_dual_add_nc_u32 v26, v26, v7
	s_delay_alu instid0(VALU_DEP_2) | instskip(NEXT) | instid1(VALU_DEP_2)
	v_cmp_lt_u32_e32 vcc_lo, v63, v27
	v_dual_cndmask_b32 v7, v7, v26 :: v_dual_cndmask_b32 v6, v6, v9
	v_cmp_gt_u32_e32 vcc_lo, v74, v27
	ds_bpermute_b32 v26, v73, v7
	ds_bpermute_b32 v9, v73, v6
	s_wait_dscnt 0x0
	v_dual_add_nc_u32 v26, v7, v26 :: v_dual_add_nc_u32 v9, v6, v9
	s_delay_alu instid0(VALU_DEP_1)
	v_dual_cndmask_b32 v7, v26, v7 :: v_dual_cndmask_b32 v6, v9, v6
	v_cmp_gt_u32_e32 vcc_lo, v76, v27
	ds_bpermute_b32 v26, v75, v7
	ds_bpermute_b32 v9, v75, v6
	s_wait_dscnt 0x0
	v_dual_add_nc_u32 v26, v7, v26 :: v_dual_add_nc_u32 v9, v6, v9
	s_delay_alu instid0(VALU_DEP_1)
	;; [unrolled: 7-line block ×3, first 2 shown]
	v_dual_cndmask_b32 v7, v26, v7 :: v_dual_cndmask_b32 v6, v9, v6
	v_cmp_le_u32_e32 vcc_lo, v80, v27
	ds_bpermute_b32 v26, v79, v7
	ds_bpermute_b32 v9, v79, v6
	s_wait_dscnt 0x0
	v_dual_cndmask_b32 v26, 0, v26 :: v_dual_cndmask_b32 v9, 0, v9
	s_delay_alu instid0(VALU_DEP_1) | instskip(NEXT) | instid1(VALU_DEP_2)
	v_add3_u32 v7, v7, v5, v26
	v_add3_u32 v6, v6, v4, v9
.LBB843_126:                            ;   in Loop: Header=BB843_127 Depth=1
	s_and_b32 vcc_lo, exec_lo, s7
	s_cbranch_vccnz .LBB843_132
.LBB843_127:                            ; =>This Loop Header: Depth=1
                                        ;     Child Loop BB843_130 Depth 2
	v_and_b32_e32 v4, 0xff, v8
	s_mov_b32 s7, -1
                                        ; implicit-def: $vgpr8
	s_delay_alu instid0(VALU_DEP_1)
	v_cmp_ne_u16_e32 vcc_lo, 2, v4
	v_mov_b64_e32 v[4:5], v[6:7]
                                        ; implicit-def: $vgpr6_vgpr7
	s_cmp_lg_u32 vcc_lo, exec_lo
	s_cbranch_scc1 .LBB843_126
; %bb.128:                              ;   in Loop: Header=BB843_127 Depth=1
	v_lshl_add_u64 v[26:27], v[24:25], 4, s[4:5]
	;;#ASMSTART
	global_load_b128 v[6:9], v[26:27] off scope:SCOPE_DEV	
s_wait_loadcnt 0x0
	;;#ASMEND
	v_and_b32_e32 v9, 0xff, v8
	s_mov_b32 s7, exec_lo
	s_delay_alu instid0(VALU_DEP_1)
	v_cmpx_eq_u16_e32 0, v9
	s_cbranch_execz .LBB843_125
; %bb.129:                              ;   in Loop: Header=BB843_127 Depth=1
	s_mov_b32 s8, 0
.LBB843_130:                            ;   Parent Loop BB843_127 Depth=1
                                        ; =>  This Inner Loop Header: Depth=2
	;;#ASMSTART
	global_load_b128 v[6:9], v[26:27] off scope:SCOPE_DEV	
s_wait_loadcnt 0x0
	;;#ASMEND
	v_and_b32_e32 v9, 0xff, v8
	s_delay_alu instid0(VALU_DEP_1) | instskip(SKIP_1) | instid1(SALU_CYCLE_1)
	v_cmp_ne_u16_e32 vcc_lo, 0, v9
	s_or_b32 s8, vcc_lo, s8
	s_and_not1_b32 exec_lo, exec_lo, s8
	s_cbranch_execnz .LBB843_130
	s_branch .LBB843_124
.LBB843_131:
                                        ; implicit-def: $vgpr1
                                        ; implicit-def: $vgpr4
                                        ; implicit-def: $vgpr6
                                        ; implicit-def: $vgpr8
                                        ; implicit-def: $vgpr22
	s_and_b32 vcc_lo, exec_lo, s3
	s_cbranch_vccnz .LBB843_137
	s_branch .LBB843_146
.LBB843_132:
	s_and_saveexec_b32 s7, s2
	s_cbranch_execz .LBB843_134
; %bb.133:
	s_add_co_i32 s8, s33, 32
	s_mov_b32 s9, 0
	v_dual_mov_b32 v8, 2 :: v_dual_mov_b32 v9, 0
	s_lshl_b64 s[8:9], s[8:9], 4
	v_dual_add_nc_u32 v7, v5, v3 :: v_dual_add_nc_u32 v6, v4, v2
	s_add_nc_u64 s[8:9], s[4:5], s[8:9]
	s_delay_alu instid0(SALU_CYCLE_1)
	v_mov_b64_e32 v[24:25], s[8:9]
	;;#ASMSTART
	global_store_b128 v[24:25], v[6:9] off scope:SCOPE_DEV	
s_wait_storecnt 0x0
	;;#ASMEND
	ds_store_b128 v9, v[2:5] offset:13312
.LBB843_134:
	s_or_b32 exec_lo, exec_lo, s7
	v_cmp_eq_u32_e32 vcc_lo, 0, v0
	s_and_b32 exec_lo, exec_lo, vcc_lo
; %bb.135:
	v_mov_b32_e32 v2, 0
	ds_store_b64 v2, v[4:5] offset:56
.LBB843_136:
	s_or_b32 exec_lo, exec_lo, s3
	s_wait_dscnt 0x0
	v_dual_mov_b32 v2, 0 :: v_dual_cndmask_b32 v1, v1, v23, s2
	s_barrier_signal -1
	s_barrier_wait -1
	ds_load_b64 v[8:9], v2 offset:56
	s_wait_dscnt 0x0
	s_barrier_signal -1
	s_barrier_wait -1
	ds_load_b128 v[2:5], v2 offset:13312
	v_cndmask_b32_e64 v6, v70, v22, s2
	v_cmp_eq_u32_e32 vcc_lo, 0, v0
	s_delay_alu instid0(VALU_DEP_2) | instskip(SKIP_2) | instid1(VALU_DEP_2)
	v_dual_add_nc_u32 v1, v9, v1 :: v_dual_add_nc_u32 v7, v8, v6
	s_wait_dscnt 0x0
	v_mov_b32_e32 v6, v5
	v_dual_cndmask_b32 v1, v1, v9 :: v_dual_cndmask_b32 v22, v7, v8
	v_mov_b32_e32 v8, v3
	s_branch .LBB843_146
.LBB843_137:
	v_mov_b32_dpp v1, v68 row_shr:1 row_mask:0xf bank_mask:0xf
	v_mov_b32_dpp v2, v69 row_shr:1 row_mask:0xf bank_mask:0xf
	v_cmp_lt_u32_e32 vcc_lo, 3, v65
	s_delay_alu instid0(VALU_DEP_2) | instskip(NEXT) | instid1(VALU_DEP_1)
	v_dual_add_nc_u32 v1, v1, v68 :: v_dual_add_nc_u32 v2, v2, v69
	v_dual_cndmask_b32 v1, v1, v68, s1 :: v_dual_cndmask_b32 v2, v2, v69, s1
	s_mov_b32 s1, exec_lo
	s_delay_alu instid0(VALU_DEP_1) | instskip(NEXT) | instid1(VALU_DEP_2)
	v_mov_b32_dpp v3, v1 row_shr:2 row_mask:0xf bank_mask:0xf
	v_mov_b32_dpp v4, v2 row_shr:2 row_mask:0xf bank_mask:0xf
	s_delay_alu instid0(VALU_DEP_1) | instskip(NEXT) | instid1(VALU_DEP_1)
	v_dual_add_nc_u32 v3, v1, v3 :: v_dual_add_nc_u32 v4, v2, v4
	v_dual_cndmask_b32 v1, v1, v3, s0 :: v_dual_cndmask_b32 v2, v2, v4, s0
	s_delay_alu instid0(VALU_DEP_1) | instskip(NEXT) | instid1(VALU_DEP_2)
	v_mov_b32_dpp v3, v1 row_shr:4 row_mask:0xf bank_mask:0xf
	v_mov_b32_dpp v4, v2 row_shr:4 row_mask:0xf bank_mask:0xf
	s_delay_alu instid0(VALU_DEP_1) | instskip(NEXT) | instid1(VALU_DEP_1)
	v_dual_add_nc_u32 v3, v1, v3 :: v_dual_add_nc_u32 v4, v2, v4
	v_dual_cndmask_b32 v3, v1, v3 :: v_dual_cndmask_b32 v2, v2, v4
	v_cmp_lt_u32_e32 vcc_lo, 7, v65
	s_delay_alu instid0(VALU_DEP_2) | instskip(NEXT) | instid1(VALU_DEP_3)
	v_mov_b32_dpp v1, v3 row_shr:8 row_mask:0xf bank_mask:0xf
	v_mov_b32_dpp v4, v2 row_shr:8 row_mask:0xf bank_mask:0xf
	s_delay_alu instid0(VALU_DEP_1) | instskip(NEXT) | instid1(VALU_DEP_1)
	v_dual_add_nc_u32 v5, v3, v1 :: v_dual_add_nc_u32 v1, v2, v4
	v_cndmask_b32_e32 v1, v2, v1, vcc_lo
	s_delay_alu instid0(VALU_DEP_2)
	v_cndmask_b32_e32 v2, v3, v5, vcc_lo
	v_cmp_eq_u32_e32 vcc_lo, 0, v67
	ds_swizzle_b32 v4, v2 offset:swizzle(BROADCAST,32,15)
	s_wait_dscnt 0x0
	v_add_nc_u32_e32 v4, v2, v4
	ds_swizzle_b32 v3, v1 offset:swizzle(BROADCAST,32,15)
	s_wait_dscnt 0x0
	v_add_nc_u32_e32 v3, v1, v3
	v_cmpx_eq_u32_e64 v0, v66
; %bb.138:
	s_delay_alu instid0(VALU_DEP_2)
	v_dual_cndmask_b32 v6, v4, v2 :: v_dual_cndmask_b32 v7, v3, v1
	v_lshlrev_b32_e32 v5, 3, v64
	ds_store_b64 v5, v[6:7]
; %bb.139:
	s_or_b32 exec_lo, exec_lo, s1
	s_delay_alu instid0(SALU_CYCLE_1)
	s_mov_b32 s1, exec_lo
	s_wait_dscnt 0x0
	s_barrier_signal -1
	s_barrier_wait -1
	v_cmpx_gt_u32_e32 8, v0
	s_cbranch_execz .LBB843_141
; %bb.140:
	v_dual_lshlrev_b32 v5, 3, v0 :: v_dual_bitop2_b32 v22, 7, v63 bitop3:0x40
	ds_load_b64 v[6:7], v5
	v_cmp_eq_u32_e64 s0, 0, v22
	s_wait_dscnt 0x0
	v_mov_b32_dpp v8, v6 row_shr:1 row_mask:0xf bank_mask:0xf
	v_mov_b32_dpp v9, v7 row_shr:1 row_mask:0xf bank_mask:0xf
	s_delay_alu instid0(VALU_DEP_1) | instskip(NEXT) | instid1(VALU_DEP_1)
	v_dual_add_nc_u32 v8, v8, v6 :: v_dual_add_nc_u32 v9, v9, v7
	v_dual_cndmask_b32 v6, v8, v6, s0 :: v_dual_cndmask_b32 v7, v9, v7, s0
	v_cmp_lt_u32_e64 s0, 1, v22
	s_delay_alu instid0(VALU_DEP_2) | instskip(NEXT) | instid1(VALU_DEP_3)
	v_mov_b32_dpp v8, v6 row_shr:2 row_mask:0xf bank_mask:0xf
	v_mov_b32_dpp v9, v7 row_shr:2 row_mask:0xf bank_mask:0xf
	s_delay_alu instid0(VALU_DEP_1) | instskip(NEXT) | instid1(VALU_DEP_1)
	v_dual_add_nc_u32 v8, v6, v8 :: v_dual_add_nc_u32 v9, v7, v9
	v_dual_cndmask_b32 v6, v6, v8, s0 :: v_dual_cndmask_b32 v7, v7, v9, s0
	v_cmp_lt_u32_e64 s0, 3, v22
	s_delay_alu instid0(VALU_DEP_2) | instskip(NEXT) | instid1(VALU_DEP_3)
	v_mov_b32_dpp v8, v6 row_shr:4 row_mask:0xf bank_mask:0xf
	v_mov_b32_dpp v9, v7 row_shr:4 row_mask:0xf bank_mask:0xf
	s_delay_alu instid0(VALU_DEP_1) | instskip(NEXT) | instid1(VALU_DEP_1)
	v_dual_cndmask_b32 v8, 0, v8, s0 :: v_dual_cndmask_b32 v9, 0, v9, s0
	v_dual_add_nc_u32 v6, v8, v6 :: v_dual_add_nc_u32 v7, v9, v7
	ds_store_b64 v5, v[6:7]
.LBB843_141:
	s_or_b32 exec_lo, exec_lo, s1
	v_dual_mov_b32 v5, 0 :: v_dual_mov_b32 v6, 0
	v_mov_b32_e32 v7, 0
	s_mov_b32 s1, exec_lo
	s_wait_dscnt 0x0
	s_barrier_signal -1
	s_barrier_wait -1
	v_cmpx_lt_u32_e32 31, v0
; %bb.142:
	v_lshl_add_u32 v6, v64, 3, -8
	ds_load_b64 v[6:7], v6
; %bb.143:
	s_or_b32 exec_lo, exec_lo, s1
	v_sub_co_u32 v8, s0, v63, 1
	v_dual_cndmask_b32 v2, v4, v2 :: v_dual_cndmask_b32 v1, v3, v1
	v_cmp_eq_u32_e32 vcc_lo, 0, v0
	s_delay_alu instid0(VALU_DEP_3) | instskip(SKIP_1) | instid1(VALU_DEP_1)
	v_cmp_gt_i32_e64 s1, 0, v8
	s_wait_dscnt 0x0
	v_dual_add_nc_u32 v2, v6, v2 :: v_dual_cndmask_b32 v4, v8, v63, s1
	s_delay_alu instid0(VALU_DEP_1)
	v_dual_lshlrev_b32 v3, 2, v4 :: v_dual_add_nc_u32 v4, v7, v1
	ds_bpermute_b32 v1, v3, v2
	ds_bpermute_b32 v8, v3, v4
	ds_load_b64 v[2:3], v5 offset:56
	s_and_saveexec_b32 s1, vcc_lo
	s_cbranch_execz .LBB843_145
; %bb.144:
	s_wait_kmcnt 0x0
	s_add_nc_u64 s[2:3], s[4:5], 0x200
	v_dual_mov_b32 v4, 2 :: v_dual_mov_b32 v5, 0
	v_mov_b64_e32 v[22:23], s[2:3]
	s_wait_dscnt 0x0
	;;#ASMSTART
	global_store_b128 v[22:23], v[2:5] off scope:SCOPE_DEV	
s_wait_storecnt 0x0
	;;#ASMEND
.LBB843_145:
	s_or_b32 exec_lo, exec_lo, s1
	s_wait_dscnt 0x1
	v_dual_cndmask_b32 v5, v8, v7, s0 :: v_dual_cndmask_b32 v7, v1, v6, s0
	v_dual_mov_b32 v6, 0 :: v_dual_mov_b32 v4, 0
	s_wait_dscnt 0x0
	v_mov_b32_e32 v8, v3
	s_delay_alu instid0(VALU_DEP_3)
	v_cndmask_b32_e64 v1, v5, 0, vcc_lo
	v_cndmask_b32_e64 v22, v7, 0, vcc_lo
	s_barrier_signal -1
	s_barrier_wait -1
.LBB843_146:
	s_delay_alu instid0(VALU_DEP_1) | instskip(SKIP_1) | instid1(VALU_DEP_2)
	v_dual_add_nc_u32 v62, v1, v62 :: v_dual_add_nc_u32 v70, v22, v61
	v_dual_mov_b32 v5, 0 :: v_dual_lshrrev_b32 v68, 16, v37
	v_dual_lshrrev_b32 v3, 8, v37 :: v_dual_add_nc_u32 v71, v62, v60
	s_delay_alu instid0(VALU_DEP_3) | instskip(SKIP_1) | instid1(VALU_DEP_3)
	v_dual_add_nc_u32 v59, v70, v59 :: v_dual_lshlrev_b32 v60, 1, v2
	v_dual_sub_nc_u32 v72, v22, v4 :: v_dual_sub_nc_u32 v1, v1, v6
	v_dual_add_nc_u32 v73, v71, v44 :: v_dual_bitop2_b32 v74, 1, v31 bitop3:0x40
	s_delay_alu instid0(VALU_DEP_3) | instskip(NEXT) | instid1(VALU_DEP_3)
	v_dual_add_nc_u32 v58, v59, v58 :: v_dual_bitop2_b32 v75, 1, v3 bitop3:0x40
	v_dual_add_nc_u32 v1, v1, v2 :: v_dual_sub_nc_u32 v70, v70, v4
	s_delay_alu instid0(VALU_DEP_2)
	v_dual_add_nc_u32 v57, v73, v57 :: v_dual_add_nc_u32 v76, v58, v43
	v_mov_b32_e32 v61, v5
	s_wait_kmcnt 0x0
	v_add_nc_u64_e32 v[22:23], s[28:29], v[4:5]
	v_dual_mov_b32 v3, v5 :: v_dual_mov_b32 v7, v5
	v_dual_add_nc_u32 v55, v76, v55 :: v_dual_add_nc_u32 v56, v57, v56
	v_cmp_eq_u32_e32 vcc_lo, 1, v75
	v_dual_lshrrev_b32 v69, 8, v31 :: v_dual_lshrrev_b32 v67, 16, v31
	s_delay_alu instid0(VALU_DEP_3) | instskip(NEXT) | instid1(VALU_DEP_4)
	v_dual_add_nc_u32 v53, v55, v53 :: v_dual_mov_b32 v9, v5
	v_add_nc_u32_e32 v54, v56, v54
	v_add3_u32 v5, v60, v8, v30
	s_delay_alu instid0(VALU_DEP_3) | instskip(NEXT) | instid1(VALU_DEP_3)
	v_dual_sub_nc_u32 v62, v62, v6 :: v_dual_add_nc_u32 v51, v53, v51
	v_dual_add_nc_u32 v78, v72, v1 :: v_dual_add_nc_u32 v77, v54, v42
	s_delay_alu instid0(VALU_DEP_2) | instskip(NEXT) | instid1(VALU_DEP_2)
	v_dual_sub_nc_u32 v59, v59, v4 :: v_dual_add_nc_u32 v62, v62, v2
	v_dual_add_nc_u32 v79, v51, v41 :: v_dual_sub_nc_u32 v78, v5, v78
	s_delay_alu instid0(VALU_DEP_3) | instskip(SKIP_1) | instid1(VALU_DEP_3)
	v_add_nc_u32_e32 v52, v77, v52
	v_dual_sub_nc_u32 v73, v73, v6 :: v_dual_sub_nc_u32 v58, v58, v4
	v_add_nc_u32_e32 v48, v79, v48
	s_delay_alu instid0(VALU_DEP_4) | instskip(SKIP_2) | instid1(VALU_DEP_4)
	v_dual_sub_nc_u32 v71, v71, v6 :: v_dual_cndmask_b32 v1, v78, v1, vcc_lo
	v_cmp_eq_u32_e32 vcc_lo, 1, v74
	v_add_nc_u32_e32 v50, v52, v50
	v_dual_add_nc_u32 v80, v62, v70 :: v_dual_add_nc_u32 v47, v48, v47
	v_dual_lshrrev_b32 v66, 8, v32 :: v_dual_lshrrev_b32 v65, 16, v32
	v_dual_cndmask_b32 v1, v1, v72, vcc_lo :: v_dual_add_nc_u32 v71, v71, v2
	s_delay_alu instid0(VALU_DEP_3) | instskip(NEXT) | instid1(VALU_DEP_4)
	v_dual_add_nc_u32 v49, v50, v49 :: v_dual_add_nc_u32 v46, v47, v46
	v_sub_nc_u32_e32 v74, v5, v80
	s_delay_alu instid0(VALU_DEP_3) | instskip(NEXT) | instid1(VALU_DEP_3)
	v_dual_add_nc_u32 v75, v71, v59 :: v_dual_bitop2_b32 v68, 1, v68 bitop3:0x40
	v_dual_add_nc_u32 v72, v49, v40 :: v_dual_bitop2_b32 v69, 1, v69 bitop3:0x40
	s_delay_alu instid0(VALU_DEP_3) | instskip(NEXT) | instid1(VALU_DEP_3)
	v_add_nc_u32_e32 v74, 1, v74
	v_cmp_eq_u32_e32 vcc_lo, 1, v68
	s_delay_alu instid0(VALU_DEP_3) | instskip(SKIP_1) | instid1(VALU_DEP_4)
	v_dual_sub_nc_u32 v75, v5, v75 :: v_dual_add_nc_u32 v45, v72, v45
	v_dual_add_nc_u32 v68, v73, v2 :: v_dual_bitop2_b32 v44, 1, v44 bitop3:0x40
	v_cndmask_b32_e32 v62, v74, v62, vcc_lo
	v_cmp_eq_u32_e32 vcc_lo, 1, v69
	s_delay_alu instid0(VALU_DEP_3)
	v_dual_add_nc_u32 v73, 2, v75 :: v_dual_add_nc_u32 v69, v58, v68
	v_dual_lshlrev_b32 v1, 2, v1 :: v_dual_bitop2_b32 v67, 1, v67 bitop3:0x40
	v_add_nc_u32_e32 v78, v46, v39
	v_cndmask_b32_e32 v62, v62, v70, vcc_lo
	v_cmp_eq_u32_e32 vcc_lo, 1, v44
	v_dual_sub_nc_u32 v57, v57, v6 :: v_dual_bitop2_b32 v43, 1, v43 bitop3:0x40
	ds_store_b32 v1, v20
	v_dual_lshlrev_b32 v20, 2, v62 :: v_dual_cndmask_b32 v44, v73, v71, vcc_lo
	v_cmp_eq_u32_e32 vcc_lo, 1, v67
	v_sub_nc_u32_e32 v1, v5, v69
	v_dual_lshrrev_b32 v63, 16, v33 :: v_dual_lshrrev_b32 v64, 8, v33
	ds_store_b32 v20, v21
	v_dual_cndmask_b32 v44, v44, v59, vcc_lo :: v_dual_bitop2_b32 v32, 1, v32 bitop3:0x40
	v_dual_add_nc_u32 v1, 3, v1 :: v_dual_add_nc_u32 v57, v57, v2
	v_dual_sub_nc_u32 v54, v54, v6 :: v_dual_lshrrev_b32 v25, 16, v35
	v_lshrrev_b32_e32 v27, 8, v35
	s_delay_alu instid0(VALU_DEP_4)
	v_cmp_eq_u32_e32 vcc_lo, 1, v32
	v_sub_nc_u32_e32 v56, v56, v6
	v_sub_nc_u32_e32 v32, v76, v4
	v_dual_lshrrev_b32 v26, 8, v36 :: v_dual_lshrrev_b32 v24, 16, v36
	v_cndmask_b32_e32 v1, v1, v68, vcc_lo
	v_cmp_eq_u32_e32 vcc_lo, 1, v43
	v_dual_sub_nc_u32 v55, v55, v4 :: v_dual_add_nc_u32 v56, v56, v2
	v_dual_add_nc_u32 v43, v32, v57 :: v_dual_lshlrev_b32 v21, 2, v44
	s_delay_alu instid0(VALU_DEP_4) | instskip(NEXT) | instid1(VALU_DEP_2)
	v_dual_cndmask_b32 v1, v1, v58, vcc_lo :: v_dual_bitop2_b32 v58, 1, v65 bitop3:0x40
	v_dual_add_nc_u32 v20, v55, v56 :: v_dual_sub_nc_u32 v43, v5, v43
	s_delay_alu instid0(VALU_DEP_2) | instskip(NEXT) | instid1(VALU_DEP_2)
	v_dual_lshlrev_b32 v1, 2, v1 :: v_dual_bitop2_b32 v44, 1, v66 bitop3:0x40
	v_dual_sub_nc_u32 v20, v5, v20 :: v_dual_bitop2_b32 v33, 1, v33 bitop3:0x40
	s_delay_alu instid0(VALU_DEP_3) | instskip(NEXT) | instid1(VALU_DEP_3)
	v_add_nc_u32_e32 v43, 4, v43
	v_cmp_eq_u32_e32 vcc_lo, 1, v44
	v_dual_sub_nc_u32 v53, v53, v4 :: v_dual_add_nc_u32 v54, v54, v2
	s_delay_alu instid0(VALU_DEP_4)
	v_add_nc_u32_e32 v20, 5, v20
	ds_store_b32 v21, v18
	v_cndmask_b32_e32 v43, v43, v57, vcc_lo
	v_cmp_eq_u32_e32 vcc_lo, 1, v58
	v_and_b32_e32 v44, 1, v64
	ds_store_b32 v1, v19
	v_and_b32_e32 v21, 1, v63
	v_sub_nc_u64_e32 v[30:31], s[30:31], v[2:3]
	v_dual_cndmask_b32 v20, v20, v56, vcc_lo :: v_dual_add_nc_u32 v56, v53, v54
	v_cmp_eq_u32_e32 vcc_lo, 1, v33
	v_sub_nc_u32_e32 v33, v52, v6
	s_mov_b32 s41, 0
	s_delay_alu instid0(VALU_DEP_3)
	v_dual_sub_nc_u32 v18, v5, v56 :: v_dual_bitop2_b32 v27, 1, v27 bitop3:0x40
	v_cndmask_b32_e32 v32, v43, v32, vcc_lo
	v_cmp_eq_u32_e32 vcc_lo, 1, v44
	v_add_nc_u64_e32 v[30:31], v[30:31], v[6:7]
	s_add_nc_u64 s[0:1], s[34:35], s[40:41]
	v_dual_add_nc_u32 v18, 6, v18 :: v_dual_cndmask_b32 v20, v20, v55, vcc_lo
	v_dual_lshlrev_b32 v1, 2, v32 :: v_dual_sub_nc_u32 v32, v77, v6
	s_delay_alu instid0(VALU_DEP_2)
	v_dual_lshlrev_b32 v19, 2, v20 :: v_dual_bitop2_b32 v20, 1, v42 bitop3:0x40
	v_sub_nc_u32_e32 v42, v79, v4
	ds_store_b32 v1, v16
	ds_store_b32 v19, v17
	v_cmp_eq_u32_e32 vcc_lo, 1, v20
	v_dual_sub_nc_u32 v20, v51, v4 :: v_dual_add_nc_u32 v32, v32, v2
	v_dual_add_nc_u32 v33, v33, v2 :: v_dual_bitop2_b32 v19, 1, v35 bitop3:0x40
	v_cndmask_b32_e32 v18, v18, v54, vcc_lo
	v_cmp_eq_u32_e32 vcc_lo, 1, v21
	s_delay_alu instid0(VALU_DEP_4) | instskip(NEXT) | instid1(VALU_DEP_3)
	v_add_nc_u32_e32 v21, v20, v32
	v_dual_cndmask_b32 v18, v18, v53 :: v_dual_sub_nc_u32 v35, v48, v4
	v_add_nc_u32_e32 v1, v42, v33
	s_delay_alu instid0(VALU_DEP_3) | instskip(SKIP_1) | instid1(VALU_DEP_4)
	v_dual_sub_nc_u32 v17, v5, v21 :: v_dual_sub_nc_u32 v21, v50, v6
	v_cmp_eq_u32_e32 vcc_lo, 1, v19
	v_dual_lshlrev_b32 v16, 2, v18 :: v_dual_bitop2_b32 v18, 1, v41 bitop3:0x40
	s_delay_alu instid0(VALU_DEP_4) | instskip(NEXT) | instid1(VALU_DEP_4)
	v_sub_nc_u32_e32 v1, v5, v1
	v_dual_add_nc_u32 v17, 7, v17 :: v_dual_add_nc_u32 v21, v21, v2
	ds_store_b32 v16, v14
	v_dual_add_nc_u32 v1, 8, v1 :: v_dual_cndmask_b32 v17, v17, v32, vcc_lo
	v_cmp_eq_u32_e32 vcc_lo, 1, v27
	v_dual_add_nc_u32 v27, v35, v21 :: v_dual_bitop2_b32 v19, 1, v36 bitop3:0x40
	s_delay_alu instid0(VALU_DEP_3) | instskip(SKIP_1) | instid1(VALU_DEP_3)
	v_cndmask_b32_e32 v1, v1, v33, vcc_lo
	v_cmp_eq_u32_e32 vcc_lo, 1, v18
	v_dual_sub_nc_u32 v14, v5, v27 :: v_dual_bitop2_b32 v18, 1, v25 bitop3:0x40
	v_cndmask_b32_e32 v17, v17, v20, vcc_lo
	v_cmp_eq_u32_e32 vcc_lo, 1, v19
	v_dual_sub_nc_u32 v19, v47, v4 :: v_dual_cndmask_b32 v1, v1, v42, vcc_lo
	s_delay_alu instid0(VALU_DEP_4) | instskip(NEXT) | instid1(VALU_DEP_2)
	v_cmp_eq_u32_e32 vcc_lo, 1, v18
	v_lshlrev_b32_e32 v1, 2, v1
	v_dual_lshlrev_b32 v16, 2, v17 :: v_dual_sub_nc_u32 v17, v49, v6
	ds_store_b32 v16, v15
	v_add_nc_u32_e32 v17, v17, v2
	v_add_nc_u32_e32 v14, 9, v14
	ds_store_b32 v1, v12
	v_dual_sub_nc_u32 v16, v45, v6 :: v_dual_add_nc_u32 v15, v19, v17
	v_dual_cndmask_b32 v14, v14, v21, vcc_lo :: v_dual_bitop2_b32 v20, 1, v26 bitop3:0x40
	v_sub_nc_u32_e32 v12, v72, v6
	s_delay_alu instid0(VALU_DEP_3) | instskip(NEXT) | instid1(VALU_DEP_3)
	v_add_nc_u32_e32 v16, v16, v2
	v_cmp_eq_u32_e32 vcc_lo, 1, v20
	v_sub_nc_u32_e32 v20, v78, v4
	v_cndmask_b32_e32 v1, v14, v35, vcc_lo
	v_dual_sub_nc_u32 v14, v5, v15 :: v_dual_bitop2_b32 v15, 1, v40 bitop3:0x40
	v_dual_sub_nc_u32 v18, v46, v4 :: v_dual_add_nc_u32 v12, v12, v2
	s_delay_alu instid0(VALU_DEP_2) | instskip(NEXT) | instid1(VALU_DEP_3)
	v_dual_add_nc_u32 v14, 10, v14 :: v_dual_bitop2_b32 v4, 1, v24 bitop3:0x40
	v_cmp_eq_u32_e32 vcc_lo, 1, v15
	v_add_nc_u32_e32 v15, v20, v16
	s_delay_alu instid0(VALU_DEP_4) | instskip(NEXT) | instid1(VALU_DEP_4)
	v_dual_add_nc_u32 v21, v18, v12 :: v_dual_lshlrev_b32 v1, 2, v1
	v_cndmask_b32_e32 v14, v14, v17, vcc_lo
	v_cmp_eq_u32_e32 vcc_lo, 1, v4
	s_delay_alu instid0(VALU_DEP_3) | instskip(SKIP_4) | instid1(VALU_DEP_3)
	v_dual_sub_nc_u32 v17, v5, v21 :: v_dual_sub_nc_u32 v4, v5, v15
	ds_store_b32 v1, v13
	v_dual_cndmask_b32 v14, v14, v19, vcc_lo :: v_dual_bitop2_b32 v19, 1, v34 bitop3:0x40
	v_dual_add_nc_u32 v17, 11, v17 :: v_dual_bitop2_b32 v15, 1, v39 bitop3:0x40
	v_dual_add_nc_u32 v24, 12, v4 :: v_dual_bitop2_b32 v21, 1, v38 bitop3:0x40
	v_cmp_eq_u32_e32 vcc_lo, 1, v19
	v_add_nc_u64_e32 v[4:5], v[8:9], v[60:61]
	s_delay_alu instid0(VALU_DEP_4) | instskip(SKIP_2) | instid1(VALU_DEP_4)
	v_dual_lshlrev_b32 v14, 2, v14 :: v_dual_cndmask_b32 v12, v17, v12, vcc_lo
	v_and_b32_e32 v17, 1, v37
	v_cmp_eq_u32_e32 vcc_lo, 1, v21
	v_add_nc_u64_e32 v[4:5], v[4:5], v[30:31]
	ds_store_b32 v14, v10
	v_cndmask_b32_e32 v16, v24, v16, vcc_lo
	v_cmp_eq_u32_e32 vcc_lo, 1, v15
	v_add_nc_u64_e32 v[4:5], v[4:5], v[22:23]
	v_cndmask_b32_e32 v12, v12, v18, vcc_lo
	v_cmp_eq_u32_e32 vcc_lo, 1, v17
	v_cndmask_b32_e32 v15, v16, v20, vcc_lo
	v_cmp_ne_u32_e32 vcc_lo, 1, v29
	s_delay_alu instid0(VALU_DEP_2)
	v_dual_lshlrev_b32 v10, 2, v15 :: v_dual_lshlrev_b32 v1, 2, v12
	v_lshlrev_b64_e32 v[12:13], 2, v[30:31]
	v_lshlrev_b64_e32 v[14:15], 2, v[22:23]
	s_and_b32 vcc_lo, exec_lo, vcc_lo
	ds_store_b32 v1, v11
	ds_store_b32 v10, v28
	v_sub_nc_u64_e32 v[10:11], s[0:1], v[4:5]
	v_add_nc_u64_e32 v[4:5], s[38:39], v[12:13]
	v_add_nc_u64_e32 v[12:13], s[36:37], v[14:15]
	v_add_nc_u32_e32 v14, v2, v8
	s_mov_b32 s0, -1
	s_wait_dscnt 0x0
	s_barrier_signal -1
	s_barrier_wait -1
	s_cbranch_vccz .LBB843_150
; %bb.147:
	s_and_b32 vcc_lo, exec_lo, s0
	s_cbranch_vccnz .LBB843_255
.LBB843_148:
	v_cmp_eq_u32_e32 vcc_lo, 0, v0
	s_and_b32 s0, vcc_lo, s15
	s_delay_alu instid0(SALU_CYCLE_1)
	s_and_saveexec_b32 s1, s0
	s_cbranch_execnz .LBB843_373
.LBB843_149:
	s_sendmsg sendmsg(MSG_DEALLOC_VGPRS)
	s_endpgm
.LBB843_150:
	s_mov_b32 s0, exec_lo
	v_cmpx_ge_u32_e64 v0, v2
	s_xor_b32 s0, exec_lo, s0
	s_cbranch_execz .LBB843_156
; %bb.151:
	v_mov_b32_e32 v1, 0
	s_mov_b32 s1, exec_lo
	v_cmpx_ge_u32_e64 v0, v14
	s_xor_b32 s1, exec_lo, s1
	s_cbranch_execz .LBB843_153
; %bb.152:
	v_lshlrev_b32_e32 v15, 2, v0
	v_add_nc_u64_e32 v[16:17], v[10:11], v[0:1]
	ds_load_b32 v1, v15
	v_lshlrev_b64_e32 v[16:17], 2, v[16:17]
	s_delay_alu instid0(VALU_DEP_1)
	v_sub_nc_u64_e32 v[16:17], s[26:27], v[16:17]
	s_wait_dscnt 0x0
	global_store_b32 v[16:17], v1, off offset:-4
.LBB843_153:
	s_wait_xcnt 0x0
	s_and_not1_saveexec_b32 s1, s1
	s_cbranch_execz .LBB843_155
; %bb.154:
	v_lshlrev_b32_e32 v1, 2, v0
	v_readfirstlane_b32 s2, v4
	v_readfirstlane_b32 s3, v5
	ds_load_b32 v1, v1
	s_wait_dscnt 0x0
	global_store_b32 v0, v1, s[2:3] scale_offset
.LBB843_155:
	s_wait_xcnt 0x0
	s_or_b32 exec_lo, exec_lo, s1
.LBB843_156:
	s_and_not1_saveexec_b32 s0, s0
	s_cbranch_execz .LBB843_158
; %bb.157:
	v_lshlrev_b32_e32 v1, 2, v0
	v_readfirstlane_b32 s2, v12
	v_readfirstlane_b32 s3, v13
	ds_load_b32 v1, v1
	s_wait_dscnt 0x0
	global_store_b32 v0, v1, s[2:3] scale_offset
.LBB843_158:
	s_wait_xcnt 0x0
	s_or_b32 exec_lo, exec_lo, s0
	v_or_b32_e32 v1, 0x100, v0
	s_mov_b32 s0, exec_lo
	s_delay_alu instid0(VALU_DEP_1)
	v_cmpx_ge_u32_e64 v1, v2
	s_xor_b32 s0, exec_lo, s0
	s_cbranch_execz .LBB843_164
; %bb.159:
	s_mov_b32 s1, exec_lo
	v_cmpx_ge_u32_e64 v1, v14
	s_xor_b32 s1, exec_lo, s1
	s_cbranch_execz .LBB843_161
; %bb.160:
	v_dual_mov_b32 v1, 0 :: v_dual_lshlrev_b32 v15, 2, v0
	s_delay_alu instid0(VALU_DEP_1) | instskip(SKIP_2) | instid1(VALU_DEP_1)
	v_add_nc_u64_e32 v[16:17], v[10:11], v[0:1]
	ds_load_b32 v1, v15 offset:1024
	v_lshlrev_b64_e32 v[16:17], 2, v[16:17]
	v_sub_nc_u64_e32 v[16:17], s[26:27], v[16:17]
	s_wait_dscnt 0x0
	global_store_b32 v[16:17], v1, off offset:-1028
.LBB843_161:
	s_wait_xcnt 0x0
	s_and_not1_saveexec_b32 s1, s1
	s_cbranch_execz .LBB843_163
; %bb.162:
	v_lshlrev_b32_e32 v1, 2, v0
	v_readfirstlane_b32 s2, v4
	v_readfirstlane_b32 s3, v5
	ds_load_b32 v1, v1 offset:1024
	s_wait_dscnt 0x0
	global_store_b32 v0, v1, s[2:3] offset:1024 scale_offset
.LBB843_163:
	s_wait_xcnt 0x0
	s_or_b32 exec_lo, exec_lo, s1
.LBB843_164:
	s_and_not1_saveexec_b32 s0, s0
	s_cbranch_execz .LBB843_166
; %bb.165:
	v_lshlrev_b32_e32 v1, 2, v0
	v_readfirstlane_b32 s2, v12
	v_readfirstlane_b32 s3, v13
	ds_load_b32 v1, v1 offset:1024
	s_wait_dscnt 0x0
	global_store_b32 v0, v1, s[2:3] offset:1024 scale_offset
.LBB843_166:
	s_wait_xcnt 0x0
	s_or_b32 exec_lo, exec_lo, s0
	v_or_b32_e32 v1, 0x200, v0
	s_mov_b32 s0, exec_lo
	s_delay_alu instid0(VALU_DEP_1)
	v_cmpx_ge_u32_e64 v1, v2
	s_xor_b32 s0, exec_lo, s0
	s_cbranch_execz .LBB843_172
; %bb.167:
	s_mov_b32 s1, exec_lo
	v_cmpx_ge_u32_e64 v1, v14
	s_xor_b32 s1, exec_lo, s1
	s_cbranch_execz .LBB843_169
; %bb.168:
	v_dual_mov_b32 v1, 0 :: v_dual_lshlrev_b32 v15, 2, v0
	s_delay_alu instid0(VALU_DEP_1) | instskip(SKIP_2) | instid1(VALU_DEP_1)
	v_add_nc_u64_e32 v[16:17], v[10:11], v[0:1]
	ds_load_b32 v1, v15 offset:2048
	v_lshlrev_b64_e32 v[16:17], 2, v[16:17]
	v_sub_nc_u64_e32 v[16:17], s[26:27], v[16:17]
	s_wait_dscnt 0x0
	global_store_b32 v[16:17], v1, off offset:-2052
.LBB843_169:
	s_wait_xcnt 0x0
	s_and_not1_saveexec_b32 s1, s1
	s_cbranch_execz .LBB843_171
; %bb.170:
	v_lshlrev_b32_e32 v1, 2, v0
	v_readfirstlane_b32 s2, v4
	v_readfirstlane_b32 s3, v5
	ds_load_b32 v1, v1 offset:2048
	s_wait_dscnt 0x0
	global_store_b32 v0, v1, s[2:3] offset:2048 scale_offset
.LBB843_171:
	s_wait_xcnt 0x0
	s_or_b32 exec_lo, exec_lo, s1
.LBB843_172:
	s_and_not1_saveexec_b32 s0, s0
	s_cbranch_execz .LBB843_174
; %bb.173:
	v_lshlrev_b32_e32 v1, 2, v0
	v_readfirstlane_b32 s2, v12
	v_readfirstlane_b32 s3, v13
	ds_load_b32 v1, v1 offset:2048
	s_wait_dscnt 0x0
	global_store_b32 v0, v1, s[2:3] offset:2048 scale_offset
.LBB843_174:
	;; [unrolled: 47-line block ×12, first 2 shown]
	s_wait_xcnt 0x0
	s_or_b32 exec_lo, exec_lo, s0
	s_branch .LBB843_148
.LBB843_255:
	s_mov_b32 s0, exec_lo
	v_cmpx_gt_u32_e64 s6, v0
	s_cbranch_execz .LBB843_264
; %bb.256:
	s_mov_b32 s1, exec_lo
	v_cmpx_ge_u32_e64 v0, v2
	s_xor_b32 s1, exec_lo, s1
	s_cbranch_execz .LBB843_262
; %bb.257:
	v_mov_b32_e32 v1, 0
	s_mov_b32 s2, exec_lo
	v_cmpx_ge_u32_e64 v0, v14
	s_xor_b32 s2, exec_lo, s2
	s_cbranch_execz .LBB843_259
; %bb.258:
	v_lshlrev_b32_e32 v15, 2, v0
	v_add_nc_u64_e32 v[16:17], v[10:11], v[0:1]
	ds_load_b32 v1, v15
	v_lshlrev_b64_e32 v[16:17], 2, v[16:17]
	s_delay_alu instid0(VALU_DEP_1)
	v_sub_nc_u64_e32 v[16:17], s[26:27], v[16:17]
	s_wait_dscnt 0x0
	global_store_b32 v[16:17], v1, off offset:-4
.LBB843_259:
	s_wait_xcnt 0x0
	s_and_not1_saveexec_b32 s2, s2
	s_cbranch_execz .LBB843_261
; %bb.260:
	v_lshlrev_b32_e32 v1, 2, v0
	v_readfirstlane_b32 s4, v4
	v_readfirstlane_b32 s5, v5
	ds_load_b32 v1, v1
	s_wait_dscnt 0x0
	global_store_b32 v0, v1, s[4:5] scale_offset
.LBB843_261:
	s_wait_xcnt 0x0
	s_or_b32 exec_lo, exec_lo, s2
.LBB843_262:
	s_and_not1_saveexec_b32 s1, s1
	s_cbranch_execz .LBB843_264
; %bb.263:
	v_lshlrev_b32_e32 v1, 2, v0
	v_readfirstlane_b32 s2, v12
	v_readfirstlane_b32 s3, v13
	ds_load_b32 v1, v1
	s_wait_dscnt 0x0
	global_store_b32 v0, v1, s[2:3] scale_offset
.LBB843_264:
	s_wait_xcnt 0x0
	s_or_b32 exec_lo, exec_lo, s0
	v_or_b32_e32 v1, 0x100, v0
	s_mov_b32 s0, exec_lo
	s_delay_alu instid0(VALU_DEP_1)
	v_cmpx_gt_u32_e64 s6, v1
	s_cbranch_execz .LBB843_273
; %bb.265:
	s_mov_b32 s1, exec_lo
	v_cmpx_ge_u32_e64 v1, v2
	s_xor_b32 s1, exec_lo, s1
	s_cbranch_execz .LBB843_271
; %bb.266:
	s_mov_b32 s2, exec_lo
	v_cmpx_ge_u32_e64 v1, v14
	s_xor_b32 s2, exec_lo, s2
	s_cbranch_execz .LBB843_268
; %bb.267:
	v_dual_mov_b32 v1, 0 :: v_dual_lshlrev_b32 v15, 2, v0
	s_delay_alu instid0(VALU_DEP_1) | instskip(SKIP_2) | instid1(VALU_DEP_1)
	v_add_nc_u64_e32 v[16:17], v[10:11], v[0:1]
	ds_load_b32 v1, v15 offset:1024
	v_lshlrev_b64_e32 v[16:17], 2, v[16:17]
	v_sub_nc_u64_e32 v[16:17], s[26:27], v[16:17]
	s_wait_dscnt 0x0
	global_store_b32 v[16:17], v1, off offset:-1028
.LBB843_268:
	s_wait_xcnt 0x0
	s_and_not1_saveexec_b32 s2, s2
	s_cbranch_execz .LBB843_270
; %bb.269:
	v_lshlrev_b32_e32 v1, 2, v0
	v_readfirstlane_b32 s4, v4
	v_readfirstlane_b32 s5, v5
	ds_load_b32 v1, v1 offset:1024
	s_wait_dscnt 0x0
	global_store_b32 v0, v1, s[4:5] offset:1024 scale_offset
.LBB843_270:
	s_wait_xcnt 0x0
	s_or_b32 exec_lo, exec_lo, s2
.LBB843_271:
	s_and_not1_saveexec_b32 s1, s1
	s_cbranch_execz .LBB843_273
; %bb.272:
	v_lshlrev_b32_e32 v1, 2, v0
	v_readfirstlane_b32 s2, v12
	v_readfirstlane_b32 s3, v13
	ds_load_b32 v1, v1 offset:1024
	s_wait_dscnt 0x0
	global_store_b32 v0, v1, s[2:3] offset:1024 scale_offset
.LBB843_273:
	s_wait_xcnt 0x0
	s_or_b32 exec_lo, exec_lo, s0
	v_or_b32_e32 v1, 0x200, v0
	s_mov_b32 s0, exec_lo
	s_delay_alu instid0(VALU_DEP_1)
	v_cmpx_gt_u32_e64 s6, v1
	s_cbranch_execz .LBB843_282
; %bb.274:
	s_mov_b32 s1, exec_lo
	v_cmpx_ge_u32_e64 v1, v2
	s_xor_b32 s1, exec_lo, s1
	s_cbranch_execz .LBB843_280
; %bb.275:
	s_mov_b32 s2, exec_lo
	v_cmpx_ge_u32_e64 v1, v14
	s_xor_b32 s2, exec_lo, s2
	s_cbranch_execz .LBB843_277
; %bb.276:
	v_dual_mov_b32 v1, 0 :: v_dual_lshlrev_b32 v15, 2, v0
	s_delay_alu instid0(VALU_DEP_1) | instskip(SKIP_2) | instid1(VALU_DEP_1)
	v_add_nc_u64_e32 v[16:17], v[10:11], v[0:1]
	ds_load_b32 v1, v15 offset:2048
	v_lshlrev_b64_e32 v[16:17], 2, v[16:17]
	v_sub_nc_u64_e32 v[16:17], s[26:27], v[16:17]
	s_wait_dscnt 0x0
	global_store_b32 v[16:17], v1, off offset:-2052
.LBB843_277:
	s_wait_xcnt 0x0
	s_and_not1_saveexec_b32 s2, s2
	s_cbranch_execz .LBB843_279
; %bb.278:
	v_lshlrev_b32_e32 v1, 2, v0
	v_readfirstlane_b32 s4, v4
	v_readfirstlane_b32 s5, v5
	ds_load_b32 v1, v1 offset:2048
	s_wait_dscnt 0x0
	global_store_b32 v0, v1, s[4:5] offset:2048 scale_offset
.LBB843_279:
	s_wait_xcnt 0x0
	s_or_b32 exec_lo, exec_lo, s2
.LBB843_280:
	s_and_not1_saveexec_b32 s1, s1
	s_cbranch_execz .LBB843_282
; %bb.281:
	v_lshlrev_b32_e32 v1, 2, v0
	v_readfirstlane_b32 s2, v12
	v_readfirstlane_b32 s3, v13
	ds_load_b32 v1, v1 offset:2048
	s_wait_dscnt 0x0
	global_store_b32 v0, v1, s[2:3] offset:2048 scale_offset
.LBB843_282:
	;; [unrolled: 51-line block ×11, first 2 shown]
	s_wait_xcnt 0x0
	s_or_b32 exec_lo, exec_lo, s0
	v_or_b32_e32 v1, 0xc00, v0
	s_mov_b32 s0, exec_lo
	s_delay_alu instid0(VALU_DEP_1)
	v_cmpx_gt_u32_e64 s6, v1
	s_cbranch_execz .LBB843_372
; %bb.364:
	s_mov_b32 s1, exec_lo
	v_cmpx_ge_u32_e64 v1, v2
	s_xor_b32 s1, exec_lo, s1
	s_cbranch_execz .LBB843_370
; %bb.365:
	s_mov_b32 s2, exec_lo
	v_cmpx_ge_u32_e64 v1, v14
	s_xor_b32 s2, exec_lo, s2
	s_cbranch_execz .LBB843_367
; %bb.366:
	v_dual_mov_b32 v1, 0 :: v_dual_lshlrev_b32 v12, 2, v0
	s_delay_alu instid0(VALU_DEP_1) | instskip(SKIP_2) | instid1(VALU_DEP_1)
	v_add_nc_u64_e32 v[4:5], v[10:11], v[0:1]
	ds_load_b32 v1, v12 offset:12288
	v_lshlrev_b64_e32 v[4:5], 2, v[4:5]
	v_sub_nc_u64_e32 v[4:5], s[26:27], v[4:5]
	s_wait_dscnt 0x0
	global_store_b32 v[4:5], v1, off offset:-12292
                                        ; implicit-def: $vgpr4_vgpr5
.LBB843_367:
	s_wait_xcnt 0x0
	s_and_not1_saveexec_b32 s2, s2
	s_cbranch_execz .LBB843_369
; %bb.368:
	v_lshlrev_b32_e32 v1, 2, v0
	v_readfirstlane_b32 s4, v4
	v_readfirstlane_b32 s5, v5
	ds_load_b32 v1, v1 offset:12288
	s_wait_dscnt 0x0
	global_store_b32 v0, v1, s[4:5] offset:12288 scale_offset
.LBB843_369:
	s_wait_xcnt 0x0
	s_or_b32 exec_lo, exec_lo, s2
                                        ; implicit-def: $vgpr12_vgpr13
.LBB843_370:
	s_and_not1_saveexec_b32 s1, s1
	s_cbranch_execz .LBB843_372
; %bb.371:
	v_lshlrev_b32_e32 v1, 2, v0
	v_readfirstlane_b32 s2, v12
	v_readfirstlane_b32 s3, v13
	ds_load_b32 v1, v1 offset:12288
	s_wait_dscnt 0x0
	global_store_b32 v0, v1, s[2:3] offset:12288 scale_offset
.LBB843_372:
	s_wait_xcnt 0x0
	s_or_b32 exec_lo, exec_lo, s0
	v_cmp_eq_u32_e32 vcc_lo, 0, v0
	s_and_b32 s0, vcc_lo, s15
	s_delay_alu instid0(SALU_CYCLE_1)
	s_and_saveexec_b32 s1, s0
	s_cbranch_execz .LBB843_149
.LBB843_373:
	v_add_nc_u64_e32 v[0:1], s[30:31], v[8:9]
	v_add_nc_u64_e32 v[2:3], v[22:23], v[2:3]
	s_delay_alu instid0(VALU_DEP_2)
	v_add_nc_u64_e32 v[4:5], v[0:1], v[6:7]
	v_mov_b32_e32 v0, 0
	global_store_b128 v0, v[2:5], s[24:25]
	s_sendmsg sendmsg(MSG_DEALLOC_VGPRS)
	s_endpgm
	.section	.rodata,"a",@progbits
	.p2align	6, 0x0
	.amdhsa_kernel _ZN7rocprim17ROCPRIM_400000_NS6detail17trampoline_kernelINS0_13select_configILj256ELj13ELNS0_17block_load_methodE3ELS4_3ELS4_3ELNS0_20block_scan_algorithmE0ELj4294967295EEENS1_25partition_config_selectorILNS1_17partition_subalgoE4EjNS0_10empty_typeEbEEZZNS1_14partition_implILS8_4ELb0ES6_15HIP_vector_typeIjLj2EENS0_17counting_iteratorIjlEEPS9_SG_NS0_5tupleIJPjSI_NS0_16reverse_iteratorISI_EEEEENSH_IJSG_SG_SG_EEES9_SI_JZNS1_25segmented_radix_sort_implINS0_14default_configELb1EPKsPsPKlPlN2at6native12_GLOBAL__N_18offset_tEEE10hipError_tPvRmT1_PNSt15iterator_traitsIS12_E10value_typeET2_T3_PNS13_IS18_E10value_typeET4_jRbjT5_S1E_jjP12ihipStream_tbEUljE_ZNSN_ISO_Lb1ESQ_SR_ST_SU_SY_EESZ_S10_S11_S12_S16_S17_S18_S1B_S1C_jS1D_jS1E_S1E_jjS1G_bEUljE0_EEESZ_S10_S11_S18_S1C_S1E_T6_T7_T9_mT8_S1G_bDpT10_ENKUlT_T0_E_clISt17integral_constantIbLb0EES1U_EEDaS1P_S1Q_EUlS1P_E_NS1_11comp_targetILNS1_3genE0ELNS1_11target_archE4294967295ELNS1_3gpuE0ELNS1_3repE0EEENS1_30default_config_static_selectorELNS0_4arch9wavefront6targetE0EEEvS12_
		.amdhsa_group_segment_fixed_size 13328
		.amdhsa_private_segment_fixed_size 0
		.amdhsa_kernarg_size 176
		.amdhsa_user_sgpr_count 2
		.amdhsa_user_sgpr_dispatch_ptr 0
		.amdhsa_user_sgpr_queue_ptr 0
		.amdhsa_user_sgpr_kernarg_segment_ptr 1
		.amdhsa_user_sgpr_dispatch_id 0
		.amdhsa_user_sgpr_kernarg_preload_length 0
		.amdhsa_user_sgpr_kernarg_preload_offset 0
		.amdhsa_user_sgpr_private_segment_size 0
		.amdhsa_wavefront_size32 1
		.amdhsa_uses_dynamic_stack 0
		.amdhsa_enable_private_segment 0
		.amdhsa_system_sgpr_workgroup_id_x 1
		.amdhsa_system_sgpr_workgroup_id_y 0
		.amdhsa_system_sgpr_workgroup_id_z 0
		.amdhsa_system_sgpr_workgroup_info 0
		.amdhsa_system_vgpr_workitem_id 0
		.amdhsa_next_free_vgpr 81
		.amdhsa_next_free_sgpr 59
		.amdhsa_named_barrier_count 0
		.amdhsa_reserve_vcc 1
		.amdhsa_float_round_mode_32 0
		.amdhsa_float_round_mode_16_64 0
		.amdhsa_float_denorm_mode_32 3
		.amdhsa_float_denorm_mode_16_64 3
		.amdhsa_fp16_overflow 0
		.amdhsa_memory_ordered 1
		.amdhsa_forward_progress 1
		.amdhsa_inst_pref_size 139
		.amdhsa_round_robin_scheduling 0
		.amdhsa_exception_fp_ieee_invalid_op 0
		.amdhsa_exception_fp_denorm_src 0
		.amdhsa_exception_fp_ieee_div_zero 0
		.amdhsa_exception_fp_ieee_overflow 0
		.amdhsa_exception_fp_ieee_underflow 0
		.amdhsa_exception_fp_ieee_inexact 0
		.amdhsa_exception_int_div_zero 0
	.end_amdhsa_kernel
	.section	.text._ZN7rocprim17ROCPRIM_400000_NS6detail17trampoline_kernelINS0_13select_configILj256ELj13ELNS0_17block_load_methodE3ELS4_3ELS4_3ELNS0_20block_scan_algorithmE0ELj4294967295EEENS1_25partition_config_selectorILNS1_17partition_subalgoE4EjNS0_10empty_typeEbEEZZNS1_14partition_implILS8_4ELb0ES6_15HIP_vector_typeIjLj2EENS0_17counting_iteratorIjlEEPS9_SG_NS0_5tupleIJPjSI_NS0_16reverse_iteratorISI_EEEEENSH_IJSG_SG_SG_EEES9_SI_JZNS1_25segmented_radix_sort_implINS0_14default_configELb1EPKsPsPKlPlN2at6native12_GLOBAL__N_18offset_tEEE10hipError_tPvRmT1_PNSt15iterator_traitsIS12_E10value_typeET2_T3_PNS13_IS18_E10value_typeET4_jRbjT5_S1E_jjP12ihipStream_tbEUljE_ZNSN_ISO_Lb1ESQ_SR_ST_SU_SY_EESZ_S10_S11_S12_S16_S17_S18_S1B_S1C_jS1D_jS1E_S1E_jjS1G_bEUljE0_EEESZ_S10_S11_S18_S1C_S1E_T6_T7_T9_mT8_S1G_bDpT10_ENKUlT_T0_E_clISt17integral_constantIbLb0EES1U_EEDaS1P_S1Q_EUlS1P_E_NS1_11comp_targetILNS1_3genE0ELNS1_11target_archE4294967295ELNS1_3gpuE0ELNS1_3repE0EEENS1_30default_config_static_selectorELNS0_4arch9wavefront6targetE0EEEvS12_,"axG",@progbits,_ZN7rocprim17ROCPRIM_400000_NS6detail17trampoline_kernelINS0_13select_configILj256ELj13ELNS0_17block_load_methodE3ELS4_3ELS4_3ELNS0_20block_scan_algorithmE0ELj4294967295EEENS1_25partition_config_selectorILNS1_17partition_subalgoE4EjNS0_10empty_typeEbEEZZNS1_14partition_implILS8_4ELb0ES6_15HIP_vector_typeIjLj2EENS0_17counting_iteratorIjlEEPS9_SG_NS0_5tupleIJPjSI_NS0_16reverse_iteratorISI_EEEEENSH_IJSG_SG_SG_EEES9_SI_JZNS1_25segmented_radix_sort_implINS0_14default_configELb1EPKsPsPKlPlN2at6native12_GLOBAL__N_18offset_tEEE10hipError_tPvRmT1_PNSt15iterator_traitsIS12_E10value_typeET2_T3_PNS13_IS18_E10value_typeET4_jRbjT5_S1E_jjP12ihipStream_tbEUljE_ZNSN_ISO_Lb1ESQ_SR_ST_SU_SY_EESZ_S10_S11_S12_S16_S17_S18_S1B_S1C_jS1D_jS1E_S1E_jjS1G_bEUljE0_EEESZ_S10_S11_S18_S1C_S1E_T6_T7_T9_mT8_S1G_bDpT10_ENKUlT_T0_E_clISt17integral_constantIbLb0EES1U_EEDaS1P_S1Q_EUlS1P_E_NS1_11comp_targetILNS1_3genE0ELNS1_11target_archE4294967295ELNS1_3gpuE0ELNS1_3repE0EEENS1_30default_config_static_selectorELNS0_4arch9wavefront6targetE0EEEvS12_,comdat
.Lfunc_end843:
	.size	_ZN7rocprim17ROCPRIM_400000_NS6detail17trampoline_kernelINS0_13select_configILj256ELj13ELNS0_17block_load_methodE3ELS4_3ELS4_3ELNS0_20block_scan_algorithmE0ELj4294967295EEENS1_25partition_config_selectorILNS1_17partition_subalgoE4EjNS0_10empty_typeEbEEZZNS1_14partition_implILS8_4ELb0ES6_15HIP_vector_typeIjLj2EENS0_17counting_iteratorIjlEEPS9_SG_NS0_5tupleIJPjSI_NS0_16reverse_iteratorISI_EEEEENSH_IJSG_SG_SG_EEES9_SI_JZNS1_25segmented_radix_sort_implINS0_14default_configELb1EPKsPsPKlPlN2at6native12_GLOBAL__N_18offset_tEEE10hipError_tPvRmT1_PNSt15iterator_traitsIS12_E10value_typeET2_T3_PNS13_IS18_E10value_typeET4_jRbjT5_S1E_jjP12ihipStream_tbEUljE_ZNSN_ISO_Lb1ESQ_SR_ST_SU_SY_EESZ_S10_S11_S12_S16_S17_S18_S1B_S1C_jS1D_jS1E_S1E_jjS1G_bEUljE0_EEESZ_S10_S11_S18_S1C_S1E_T6_T7_T9_mT8_S1G_bDpT10_ENKUlT_T0_E_clISt17integral_constantIbLb0EES1U_EEDaS1P_S1Q_EUlS1P_E_NS1_11comp_targetILNS1_3genE0ELNS1_11target_archE4294967295ELNS1_3gpuE0ELNS1_3repE0EEENS1_30default_config_static_selectorELNS0_4arch9wavefront6targetE0EEEvS12_, .Lfunc_end843-_ZN7rocprim17ROCPRIM_400000_NS6detail17trampoline_kernelINS0_13select_configILj256ELj13ELNS0_17block_load_methodE3ELS4_3ELS4_3ELNS0_20block_scan_algorithmE0ELj4294967295EEENS1_25partition_config_selectorILNS1_17partition_subalgoE4EjNS0_10empty_typeEbEEZZNS1_14partition_implILS8_4ELb0ES6_15HIP_vector_typeIjLj2EENS0_17counting_iteratorIjlEEPS9_SG_NS0_5tupleIJPjSI_NS0_16reverse_iteratorISI_EEEEENSH_IJSG_SG_SG_EEES9_SI_JZNS1_25segmented_radix_sort_implINS0_14default_configELb1EPKsPsPKlPlN2at6native12_GLOBAL__N_18offset_tEEE10hipError_tPvRmT1_PNSt15iterator_traitsIS12_E10value_typeET2_T3_PNS13_IS18_E10value_typeET4_jRbjT5_S1E_jjP12ihipStream_tbEUljE_ZNSN_ISO_Lb1ESQ_SR_ST_SU_SY_EESZ_S10_S11_S12_S16_S17_S18_S1B_S1C_jS1D_jS1E_S1E_jjS1G_bEUljE0_EEESZ_S10_S11_S18_S1C_S1E_T6_T7_T9_mT8_S1G_bDpT10_ENKUlT_T0_E_clISt17integral_constantIbLb0EES1U_EEDaS1P_S1Q_EUlS1P_E_NS1_11comp_targetILNS1_3genE0ELNS1_11target_archE4294967295ELNS1_3gpuE0ELNS1_3repE0EEENS1_30default_config_static_selectorELNS0_4arch9wavefront6targetE0EEEvS12_
                                        ; -- End function
	.set _ZN7rocprim17ROCPRIM_400000_NS6detail17trampoline_kernelINS0_13select_configILj256ELj13ELNS0_17block_load_methodE3ELS4_3ELS4_3ELNS0_20block_scan_algorithmE0ELj4294967295EEENS1_25partition_config_selectorILNS1_17partition_subalgoE4EjNS0_10empty_typeEbEEZZNS1_14partition_implILS8_4ELb0ES6_15HIP_vector_typeIjLj2EENS0_17counting_iteratorIjlEEPS9_SG_NS0_5tupleIJPjSI_NS0_16reverse_iteratorISI_EEEEENSH_IJSG_SG_SG_EEES9_SI_JZNS1_25segmented_radix_sort_implINS0_14default_configELb1EPKsPsPKlPlN2at6native12_GLOBAL__N_18offset_tEEE10hipError_tPvRmT1_PNSt15iterator_traitsIS12_E10value_typeET2_T3_PNS13_IS18_E10value_typeET4_jRbjT5_S1E_jjP12ihipStream_tbEUljE_ZNSN_ISO_Lb1ESQ_SR_ST_SU_SY_EESZ_S10_S11_S12_S16_S17_S18_S1B_S1C_jS1D_jS1E_S1E_jjS1G_bEUljE0_EEESZ_S10_S11_S18_S1C_S1E_T6_T7_T9_mT8_S1G_bDpT10_ENKUlT_T0_E_clISt17integral_constantIbLb0EES1U_EEDaS1P_S1Q_EUlS1P_E_NS1_11comp_targetILNS1_3genE0ELNS1_11target_archE4294967295ELNS1_3gpuE0ELNS1_3repE0EEENS1_30default_config_static_selectorELNS0_4arch9wavefront6targetE0EEEvS12_.num_vgpr, 81
	.set _ZN7rocprim17ROCPRIM_400000_NS6detail17trampoline_kernelINS0_13select_configILj256ELj13ELNS0_17block_load_methodE3ELS4_3ELS4_3ELNS0_20block_scan_algorithmE0ELj4294967295EEENS1_25partition_config_selectorILNS1_17partition_subalgoE4EjNS0_10empty_typeEbEEZZNS1_14partition_implILS8_4ELb0ES6_15HIP_vector_typeIjLj2EENS0_17counting_iteratorIjlEEPS9_SG_NS0_5tupleIJPjSI_NS0_16reverse_iteratorISI_EEEEENSH_IJSG_SG_SG_EEES9_SI_JZNS1_25segmented_radix_sort_implINS0_14default_configELb1EPKsPsPKlPlN2at6native12_GLOBAL__N_18offset_tEEE10hipError_tPvRmT1_PNSt15iterator_traitsIS12_E10value_typeET2_T3_PNS13_IS18_E10value_typeET4_jRbjT5_S1E_jjP12ihipStream_tbEUljE_ZNSN_ISO_Lb1ESQ_SR_ST_SU_SY_EESZ_S10_S11_S12_S16_S17_S18_S1B_S1C_jS1D_jS1E_S1E_jjS1G_bEUljE0_EEESZ_S10_S11_S18_S1C_S1E_T6_T7_T9_mT8_S1G_bDpT10_ENKUlT_T0_E_clISt17integral_constantIbLb0EES1U_EEDaS1P_S1Q_EUlS1P_E_NS1_11comp_targetILNS1_3genE0ELNS1_11target_archE4294967295ELNS1_3gpuE0ELNS1_3repE0EEENS1_30default_config_static_selectorELNS0_4arch9wavefront6targetE0EEEvS12_.num_agpr, 0
	.set _ZN7rocprim17ROCPRIM_400000_NS6detail17trampoline_kernelINS0_13select_configILj256ELj13ELNS0_17block_load_methodE3ELS4_3ELS4_3ELNS0_20block_scan_algorithmE0ELj4294967295EEENS1_25partition_config_selectorILNS1_17partition_subalgoE4EjNS0_10empty_typeEbEEZZNS1_14partition_implILS8_4ELb0ES6_15HIP_vector_typeIjLj2EENS0_17counting_iteratorIjlEEPS9_SG_NS0_5tupleIJPjSI_NS0_16reverse_iteratorISI_EEEEENSH_IJSG_SG_SG_EEES9_SI_JZNS1_25segmented_radix_sort_implINS0_14default_configELb1EPKsPsPKlPlN2at6native12_GLOBAL__N_18offset_tEEE10hipError_tPvRmT1_PNSt15iterator_traitsIS12_E10value_typeET2_T3_PNS13_IS18_E10value_typeET4_jRbjT5_S1E_jjP12ihipStream_tbEUljE_ZNSN_ISO_Lb1ESQ_SR_ST_SU_SY_EESZ_S10_S11_S12_S16_S17_S18_S1B_S1C_jS1D_jS1E_S1E_jjS1G_bEUljE0_EEESZ_S10_S11_S18_S1C_S1E_T6_T7_T9_mT8_S1G_bDpT10_ENKUlT_T0_E_clISt17integral_constantIbLb0EES1U_EEDaS1P_S1Q_EUlS1P_E_NS1_11comp_targetILNS1_3genE0ELNS1_11target_archE4294967295ELNS1_3gpuE0ELNS1_3repE0EEENS1_30default_config_static_selectorELNS0_4arch9wavefront6targetE0EEEvS12_.numbered_sgpr, 59
	.set _ZN7rocprim17ROCPRIM_400000_NS6detail17trampoline_kernelINS0_13select_configILj256ELj13ELNS0_17block_load_methodE3ELS4_3ELS4_3ELNS0_20block_scan_algorithmE0ELj4294967295EEENS1_25partition_config_selectorILNS1_17partition_subalgoE4EjNS0_10empty_typeEbEEZZNS1_14partition_implILS8_4ELb0ES6_15HIP_vector_typeIjLj2EENS0_17counting_iteratorIjlEEPS9_SG_NS0_5tupleIJPjSI_NS0_16reverse_iteratorISI_EEEEENSH_IJSG_SG_SG_EEES9_SI_JZNS1_25segmented_radix_sort_implINS0_14default_configELb1EPKsPsPKlPlN2at6native12_GLOBAL__N_18offset_tEEE10hipError_tPvRmT1_PNSt15iterator_traitsIS12_E10value_typeET2_T3_PNS13_IS18_E10value_typeET4_jRbjT5_S1E_jjP12ihipStream_tbEUljE_ZNSN_ISO_Lb1ESQ_SR_ST_SU_SY_EESZ_S10_S11_S12_S16_S17_S18_S1B_S1C_jS1D_jS1E_S1E_jjS1G_bEUljE0_EEESZ_S10_S11_S18_S1C_S1E_T6_T7_T9_mT8_S1G_bDpT10_ENKUlT_T0_E_clISt17integral_constantIbLb0EES1U_EEDaS1P_S1Q_EUlS1P_E_NS1_11comp_targetILNS1_3genE0ELNS1_11target_archE4294967295ELNS1_3gpuE0ELNS1_3repE0EEENS1_30default_config_static_selectorELNS0_4arch9wavefront6targetE0EEEvS12_.num_named_barrier, 0
	.set _ZN7rocprim17ROCPRIM_400000_NS6detail17trampoline_kernelINS0_13select_configILj256ELj13ELNS0_17block_load_methodE3ELS4_3ELS4_3ELNS0_20block_scan_algorithmE0ELj4294967295EEENS1_25partition_config_selectorILNS1_17partition_subalgoE4EjNS0_10empty_typeEbEEZZNS1_14partition_implILS8_4ELb0ES6_15HIP_vector_typeIjLj2EENS0_17counting_iteratorIjlEEPS9_SG_NS0_5tupleIJPjSI_NS0_16reverse_iteratorISI_EEEEENSH_IJSG_SG_SG_EEES9_SI_JZNS1_25segmented_radix_sort_implINS0_14default_configELb1EPKsPsPKlPlN2at6native12_GLOBAL__N_18offset_tEEE10hipError_tPvRmT1_PNSt15iterator_traitsIS12_E10value_typeET2_T3_PNS13_IS18_E10value_typeET4_jRbjT5_S1E_jjP12ihipStream_tbEUljE_ZNSN_ISO_Lb1ESQ_SR_ST_SU_SY_EESZ_S10_S11_S12_S16_S17_S18_S1B_S1C_jS1D_jS1E_S1E_jjS1G_bEUljE0_EEESZ_S10_S11_S18_S1C_S1E_T6_T7_T9_mT8_S1G_bDpT10_ENKUlT_T0_E_clISt17integral_constantIbLb0EES1U_EEDaS1P_S1Q_EUlS1P_E_NS1_11comp_targetILNS1_3genE0ELNS1_11target_archE4294967295ELNS1_3gpuE0ELNS1_3repE0EEENS1_30default_config_static_selectorELNS0_4arch9wavefront6targetE0EEEvS12_.private_seg_size, 0
	.set _ZN7rocprim17ROCPRIM_400000_NS6detail17trampoline_kernelINS0_13select_configILj256ELj13ELNS0_17block_load_methodE3ELS4_3ELS4_3ELNS0_20block_scan_algorithmE0ELj4294967295EEENS1_25partition_config_selectorILNS1_17partition_subalgoE4EjNS0_10empty_typeEbEEZZNS1_14partition_implILS8_4ELb0ES6_15HIP_vector_typeIjLj2EENS0_17counting_iteratorIjlEEPS9_SG_NS0_5tupleIJPjSI_NS0_16reverse_iteratorISI_EEEEENSH_IJSG_SG_SG_EEES9_SI_JZNS1_25segmented_radix_sort_implINS0_14default_configELb1EPKsPsPKlPlN2at6native12_GLOBAL__N_18offset_tEEE10hipError_tPvRmT1_PNSt15iterator_traitsIS12_E10value_typeET2_T3_PNS13_IS18_E10value_typeET4_jRbjT5_S1E_jjP12ihipStream_tbEUljE_ZNSN_ISO_Lb1ESQ_SR_ST_SU_SY_EESZ_S10_S11_S12_S16_S17_S18_S1B_S1C_jS1D_jS1E_S1E_jjS1G_bEUljE0_EEESZ_S10_S11_S18_S1C_S1E_T6_T7_T9_mT8_S1G_bDpT10_ENKUlT_T0_E_clISt17integral_constantIbLb0EES1U_EEDaS1P_S1Q_EUlS1P_E_NS1_11comp_targetILNS1_3genE0ELNS1_11target_archE4294967295ELNS1_3gpuE0ELNS1_3repE0EEENS1_30default_config_static_selectorELNS0_4arch9wavefront6targetE0EEEvS12_.uses_vcc, 1
	.set _ZN7rocprim17ROCPRIM_400000_NS6detail17trampoline_kernelINS0_13select_configILj256ELj13ELNS0_17block_load_methodE3ELS4_3ELS4_3ELNS0_20block_scan_algorithmE0ELj4294967295EEENS1_25partition_config_selectorILNS1_17partition_subalgoE4EjNS0_10empty_typeEbEEZZNS1_14partition_implILS8_4ELb0ES6_15HIP_vector_typeIjLj2EENS0_17counting_iteratorIjlEEPS9_SG_NS0_5tupleIJPjSI_NS0_16reverse_iteratorISI_EEEEENSH_IJSG_SG_SG_EEES9_SI_JZNS1_25segmented_radix_sort_implINS0_14default_configELb1EPKsPsPKlPlN2at6native12_GLOBAL__N_18offset_tEEE10hipError_tPvRmT1_PNSt15iterator_traitsIS12_E10value_typeET2_T3_PNS13_IS18_E10value_typeET4_jRbjT5_S1E_jjP12ihipStream_tbEUljE_ZNSN_ISO_Lb1ESQ_SR_ST_SU_SY_EESZ_S10_S11_S12_S16_S17_S18_S1B_S1C_jS1D_jS1E_S1E_jjS1G_bEUljE0_EEESZ_S10_S11_S18_S1C_S1E_T6_T7_T9_mT8_S1G_bDpT10_ENKUlT_T0_E_clISt17integral_constantIbLb0EES1U_EEDaS1P_S1Q_EUlS1P_E_NS1_11comp_targetILNS1_3genE0ELNS1_11target_archE4294967295ELNS1_3gpuE0ELNS1_3repE0EEENS1_30default_config_static_selectorELNS0_4arch9wavefront6targetE0EEEvS12_.uses_flat_scratch, 0
	.set _ZN7rocprim17ROCPRIM_400000_NS6detail17trampoline_kernelINS0_13select_configILj256ELj13ELNS0_17block_load_methodE3ELS4_3ELS4_3ELNS0_20block_scan_algorithmE0ELj4294967295EEENS1_25partition_config_selectorILNS1_17partition_subalgoE4EjNS0_10empty_typeEbEEZZNS1_14partition_implILS8_4ELb0ES6_15HIP_vector_typeIjLj2EENS0_17counting_iteratorIjlEEPS9_SG_NS0_5tupleIJPjSI_NS0_16reverse_iteratorISI_EEEEENSH_IJSG_SG_SG_EEES9_SI_JZNS1_25segmented_radix_sort_implINS0_14default_configELb1EPKsPsPKlPlN2at6native12_GLOBAL__N_18offset_tEEE10hipError_tPvRmT1_PNSt15iterator_traitsIS12_E10value_typeET2_T3_PNS13_IS18_E10value_typeET4_jRbjT5_S1E_jjP12ihipStream_tbEUljE_ZNSN_ISO_Lb1ESQ_SR_ST_SU_SY_EESZ_S10_S11_S12_S16_S17_S18_S1B_S1C_jS1D_jS1E_S1E_jjS1G_bEUljE0_EEESZ_S10_S11_S18_S1C_S1E_T6_T7_T9_mT8_S1G_bDpT10_ENKUlT_T0_E_clISt17integral_constantIbLb0EES1U_EEDaS1P_S1Q_EUlS1P_E_NS1_11comp_targetILNS1_3genE0ELNS1_11target_archE4294967295ELNS1_3gpuE0ELNS1_3repE0EEENS1_30default_config_static_selectorELNS0_4arch9wavefront6targetE0EEEvS12_.has_dyn_sized_stack, 0
	.set _ZN7rocprim17ROCPRIM_400000_NS6detail17trampoline_kernelINS0_13select_configILj256ELj13ELNS0_17block_load_methodE3ELS4_3ELS4_3ELNS0_20block_scan_algorithmE0ELj4294967295EEENS1_25partition_config_selectorILNS1_17partition_subalgoE4EjNS0_10empty_typeEbEEZZNS1_14partition_implILS8_4ELb0ES6_15HIP_vector_typeIjLj2EENS0_17counting_iteratorIjlEEPS9_SG_NS0_5tupleIJPjSI_NS0_16reverse_iteratorISI_EEEEENSH_IJSG_SG_SG_EEES9_SI_JZNS1_25segmented_radix_sort_implINS0_14default_configELb1EPKsPsPKlPlN2at6native12_GLOBAL__N_18offset_tEEE10hipError_tPvRmT1_PNSt15iterator_traitsIS12_E10value_typeET2_T3_PNS13_IS18_E10value_typeET4_jRbjT5_S1E_jjP12ihipStream_tbEUljE_ZNSN_ISO_Lb1ESQ_SR_ST_SU_SY_EESZ_S10_S11_S12_S16_S17_S18_S1B_S1C_jS1D_jS1E_S1E_jjS1G_bEUljE0_EEESZ_S10_S11_S18_S1C_S1E_T6_T7_T9_mT8_S1G_bDpT10_ENKUlT_T0_E_clISt17integral_constantIbLb0EES1U_EEDaS1P_S1Q_EUlS1P_E_NS1_11comp_targetILNS1_3genE0ELNS1_11target_archE4294967295ELNS1_3gpuE0ELNS1_3repE0EEENS1_30default_config_static_selectorELNS0_4arch9wavefront6targetE0EEEvS12_.has_recursion, 0
	.set _ZN7rocprim17ROCPRIM_400000_NS6detail17trampoline_kernelINS0_13select_configILj256ELj13ELNS0_17block_load_methodE3ELS4_3ELS4_3ELNS0_20block_scan_algorithmE0ELj4294967295EEENS1_25partition_config_selectorILNS1_17partition_subalgoE4EjNS0_10empty_typeEbEEZZNS1_14partition_implILS8_4ELb0ES6_15HIP_vector_typeIjLj2EENS0_17counting_iteratorIjlEEPS9_SG_NS0_5tupleIJPjSI_NS0_16reverse_iteratorISI_EEEEENSH_IJSG_SG_SG_EEES9_SI_JZNS1_25segmented_radix_sort_implINS0_14default_configELb1EPKsPsPKlPlN2at6native12_GLOBAL__N_18offset_tEEE10hipError_tPvRmT1_PNSt15iterator_traitsIS12_E10value_typeET2_T3_PNS13_IS18_E10value_typeET4_jRbjT5_S1E_jjP12ihipStream_tbEUljE_ZNSN_ISO_Lb1ESQ_SR_ST_SU_SY_EESZ_S10_S11_S12_S16_S17_S18_S1B_S1C_jS1D_jS1E_S1E_jjS1G_bEUljE0_EEESZ_S10_S11_S18_S1C_S1E_T6_T7_T9_mT8_S1G_bDpT10_ENKUlT_T0_E_clISt17integral_constantIbLb0EES1U_EEDaS1P_S1Q_EUlS1P_E_NS1_11comp_targetILNS1_3genE0ELNS1_11target_archE4294967295ELNS1_3gpuE0ELNS1_3repE0EEENS1_30default_config_static_selectorELNS0_4arch9wavefront6targetE0EEEvS12_.has_indirect_call, 0
	.section	.AMDGPU.csdata,"",@progbits
; Kernel info:
; codeLenInByte = 17784
; TotalNumSgprs: 61
; NumVgprs: 81
; ScratchSize: 0
; MemoryBound: 0
; FloatMode: 240
; IeeeMode: 1
; LDSByteSize: 13328 bytes/workgroup (compile time only)
; SGPRBlocks: 0
; VGPRBlocks: 5
; NumSGPRsForWavesPerEU: 61
; NumVGPRsForWavesPerEU: 81
; NamedBarCnt: 0
; Occupancy: 10
; WaveLimiterHint : 1
; COMPUTE_PGM_RSRC2:SCRATCH_EN: 0
; COMPUTE_PGM_RSRC2:USER_SGPR: 2
; COMPUTE_PGM_RSRC2:TRAP_HANDLER: 0
; COMPUTE_PGM_RSRC2:TGID_X_EN: 1
; COMPUTE_PGM_RSRC2:TGID_Y_EN: 0
; COMPUTE_PGM_RSRC2:TGID_Z_EN: 0
; COMPUTE_PGM_RSRC2:TIDIG_COMP_CNT: 0
	.section	.text._ZN7rocprim17ROCPRIM_400000_NS6detail17trampoline_kernelINS0_13select_configILj256ELj13ELNS0_17block_load_methodE3ELS4_3ELS4_3ELNS0_20block_scan_algorithmE0ELj4294967295EEENS1_25partition_config_selectorILNS1_17partition_subalgoE4EjNS0_10empty_typeEbEEZZNS1_14partition_implILS8_4ELb0ES6_15HIP_vector_typeIjLj2EENS0_17counting_iteratorIjlEEPS9_SG_NS0_5tupleIJPjSI_NS0_16reverse_iteratorISI_EEEEENSH_IJSG_SG_SG_EEES9_SI_JZNS1_25segmented_radix_sort_implINS0_14default_configELb1EPKsPsPKlPlN2at6native12_GLOBAL__N_18offset_tEEE10hipError_tPvRmT1_PNSt15iterator_traitsIS12_E10value_typeET2_T3_PNS13_IS18_E10value_typeET4_jRbjT5_S1E_jjP12ihipStream_tbEUljE_ZNSN_ISO_Lb1ESQ_SR_ST_SU_SY_EESZ_S10_S11_S12_S16_S17_S18_S1B_S1C_jS1D_jS1E_S1E_jjS1G_bEUljE0_EEESZ_S10_S11_S18_S1C_S1E_T6_T7_T9_mT8_S1G_bDpT10_ENKUlT_T0_E_clISt17integral_constantIbLb0EES1U_EEDaS1P_S1Q_EUlS1P_E_NS1_11comp_targetILNS1_3genE5ELNS1_11target_archE942ELNS1_3gpuE9ELNS1_3repE0EEENS1_30default_config_static_selectorELNS0_4arch9wavefront6targetE0EEEvS12_,"axG",@progbits,_ZN7rocprim17ROCPRIM_400000_NS6detail17trampoline_kernelINS0_13select_configILj256ELj13ELNS0_17block_load_methodE3ELS4_3ELS4_3ELNS0_20block_scan_algorithmE0ELj4294967295EEENS1_25partition_config_selectorILNS1_17partition_subalgoE4EjNS0_10empty_typeEbEEZZNS1_14partition_implILS8_4ELb0ES6_15HIP_vector_typeIjLj2EENS0_17counting_iteratorIjlEEPS9_SG_NS0_5tupleIJPjSI_NS0_16reverse_iteratorISI_EEEEENSH_IJSG_SG_SG_EEES9_SI_JZNS1_25segmented_radix_sort_implINS0_14default_configELb1EPKsPsPKlPlN2at6native12_GLOBAL__N_18offset_tEEE10hipError_tPvRmT1_PNSt15iterator_traitsIS12_E10value_typeET2_T3_PNS13_IS18_E10value_typeET4_jRbjT5_S1E_jjP12ihipStream_tbEUljE_ZNSN_ISO_Lb1ESQ_SR_ST_SU_SY_EESZ_S10_S11_S12_S16_S17_S18_S1B_S1C_jS1D_jS1E_S1E_jjS1G_bEUljE0_EEESZ_S10_S11_S18_S1C_S1E_T6_T7_T9_mT8_S1G_bDpT10_ENKUlT_T0_E_clISt17integral_constantIbLb0EES1U_EEDaS1P_S1Q_EUlS1P_E_NS1_11comp_targetILNS1_3genE5ELNS1_11target_archE942ELNS1_3gpuE9ELNS1_3repE0EEENS1_30default_config_static_selectorELNS0_4arch9wavefront6targetE0EEEvS12_,comdat
	.globl	_ZN7rocprim17ROCPRIM_400000_NS6detail17trampoline_kernelINS0_13select_configILj256ELj13ELNS0_17block_load_methodE3ELS4_3ELS4_3ELNS0_20block_scan_algorithmE0ELj4294967295EEENS1_25partition_config_selectorILNS1_17partition_subalgoE4EjNS0_10empty_typeEbEEZZNS1_14partition_implILS8_4ELb0ES6_15HIP_vector_typeIjLj2EENS0_17counting_iteratorIjlEEPS9_SG_NS0_5tupleIJPjSI_NS0_16reverse_iteratorISI_EEEEENSH_IJSG_SG_SG_EEES9_SI_JZNS1_25segmented_radix_sort_implINS0_14default_configELb1EPKsPsPKlPlN2at6native12_GLOBAL__N_18offset_tEEE10hipError_tPvRmT1_PNSt15iterator_traitsIS12_E10value_typeET2_T3_PNS13_IS18_E10value_typeET4_jRbjT5_S1E_jjP12ihipStream_tbEUljE_ZNSN_ISO_Lb1ESQ_SR_ST_SU_SY_EESZ_S10_S11_S12_S16_S17_S18_S1B_S1C_jS1D_jS1E_S1E_jjS1G_bEUljE0_EEESZ_S10_S11_S18_S1C_S1E_T6_T7_T9_mT8_S1G_bDpT10_ENKUlT_T0_E_clISt17integral_constantIbLb0EES1U_EEDaS1P_S1Q_EUlS1P_E_NS1_11comp_targetILNS1_3genE5ELNS1_11target_archE942ELNS1_3gpuE9ELNS1_3repE0EEENS1_30default_config_static_selectorELNS0_4arch9wavefront6targetE0EEEvS12_ ; -- Begin function _ZN7rocprim17ROCPRIM_400000_NS6detail17trampoline_kernelINS0_13select_configILj256ELj13ELNS0_17block_load_methodE3ELS4_3ELS4_3ELNS0_20block_scan_algorithmE0ELj4294967295EEENS1_25partition_config_selectorILNS1_17partition_subalgoE4EjNS0_10empty_typeEbEEZZNS1_14partition_implILS8_4ELb0ES6_15HIP_vector_typeIjLj2EENS0_17counting_iteratorIjlEEPS9_SG_NS0_5tupleIJPjSI_NS0_16reverse_iteratorISI_EEEEENSH_IJSG_SG_SG_EEES9_SI_JZNS1_25segmented_radix_sort_implINS0_14default_configELb1EPKsPsPKlPlN2at6native12_GLOBAL__N_18offset_tEEE10hipError_tPvRmT1_PNSt15iterator_traitsIS12_E10value_typeET2_T3_PNS13_IS18_E10value_typeET4_jRbjT5_S1E_jjP12ihipStream_tbEUljE_ZNSN_ISO_Lb1ESQ_SR_ST_SU_SY_EESZ_S10_S11_S12_S16_S17_S18_S1B_S1C_jS1D_jS1E_S1E_jjS1G_bEUljE0_EEESZ_S10_S11_S18_S1C_S1E_T6_T7_T9_mT8_S1G_bDpT10_ENKUlT_T0_E_clISt17integral_constantIbLb0EES1U_EEDaS1P_S1Q_EUlS1P_E_NS1_11comp_targetILNS1_3genE5ELNS1_11target_archE942ELNS1_3gpuE9ELNS1_3repE0EEENS1_30default_config_static_selectorELNS0_4arch9wavefront6targetE0EEEvS12_
	.p2align	8
	.type	_ZN7rocprim17ROCPRIM_400000_NS6detail17trampoline_kernelINS0_13select_configILj256ELj13ELNS0_17block_load_methodE3ELS4_3ELS4_3ELNS0_20block_scan_algorithmE0ELj4294967295EEENS1_25partition_config_selectorILNS1_17partition_subalgoE4EjNS0_10empty_typeEbEEZZNS1_14partition_implILS8_4ELb0ES6_15HIP_vector_typeIjLj2EENS0_17counting_iteratorIjlEEPS9_SG_NS0_5tupleIJPjSI_NS0_16reverse_iteratorISI_EEEEENSH_IJSG_SG_SG_EEES9_SI_JZNS1_25segmented_radix_sort_implINS0_14default_configELb1EPKsPsPKlPlN2at6native12_GLOBAL__N_18offset_tEEE10hipError_tPvRmT1_PNSt15iterator_traitsIS12_E10value_typeET2_T3_PNS13_IS18_E10value_typeET4_jRbjT5_S1E_jjP12ihipStream_tbEUljE_ZNSN_ISO_Lb1ESQ_SR_ST_SU_SY_EESZ_S10_S11_S12_S16_S17_S18_S1B_S1C_jS1D_jS1E_S1E_jjS1G_bEUljE0_EEESZ_S10_S11_S18_S1C_S1E_T6_T7_T9_mT8_S1G_bDpT10_ENKUlT_T0_E_clISt17integral_constantIbLb0EES1U_EEDaS1P_S1Q_EUlS1P_E_NS1_11comp_targetILNS1_3genE5ELNS1_11target_archE942ELNS1_3gpuE9ELNS1_3repE0EEENS1_30default_config_static_selectorELNS0_4arch9wavefront6targetE0EEEvS12_,@function
_ZN7rocprim17ROCPRIM_400000_NS6detail17trampoline_kernelINS0_13select_configILj256ELj13ELNS0_17block_load_methodE3ELS4_3ELS4_3ELNS0_20block_scan_algorithmE0ELj4294967295EEENS1_25partition_config_selectorILNS1_17partition_subalgoE4EjNS0_10empty_typeEbEEZZNS1_14partition_implILS8_4ELb0ES6_15HIP_vector_typeIjLj2EENS0_17counting_iteratorIjlEEPS9_SG_NS0_5tupleIJPjSI_NS0_16reverse_iteratorISI_EEEEENSH_IJSG_SG_SG_EEES9_SI_JZNS1_25segmented_radix_sort_implINS0_14default_configELb1EPKsPsPKlPlN2at6native12_GLOBAL__N_18offset_tEEE10hipError_tPvRmT1_PNSt15iterator_traitsIS12_E10value_typeET2_T3_PNS13_IS18_E10value_typeET4_jRbjT5_S1E_jjP12ihipStream_tbEUljE_ZNSN_ISO_Lb1ESQ_SR_ST_SU_SY_EESZ_S10_S11_S12_S16_S17_S18_S1B_S1C_jS1D_jS1E_S1E_jjS1G_bEUljE0_EEESZ_S10_S11_S18_S1C_S1E_T6_T7_T9_mT8_S1G_bDpT10_ENKUlT_T0_E_clISt17integral_constantIbLb0EES1U_EEDaS1P_S1Q_EUlS1P_E_NS1_11comp_targetILNS1_3genE5ELNS1_11target_archE942ELNS1_3gpuE9ELNS1_3repE0EEENS1_30default_config_static_selectorELNS0_4arch9wavefront6targetE0EEEvS12_: ; @_ZN7rocprim17ROCPRIM_400000_NS6detail17trampoline_kernelINS0_13select_configILj256ELj13ELNS0_17block_load_methodE3ELS4_3ELS4_3ELNS0_20block_scan_algorithmE0ELj4294967295EEENS1_25partition_config_selectorILNS1_17partition_subalgoE4EjNS0_10empty_typeEbEEZZNS1_14partition_implILS8_4ELb0ES6_15HIP_vector_typeIjLj2EENS0_17counting_iteratorIjlEEPS9_SG_NS0_5tupleIJPjSI_NS0_16reverse_iteratorISI_EEEEENSH_IJSG_SG_SG_EEES9_SI_JZNS1_25segmented_radix_sort_implINS0_14default_configELb1EPKsPsPKlPlN2at6native12_GLOBAL__N_18offset_tEEE10hipError_tPvRmT1_PNSt15iterator_traitsIS12_E10value_typeET2_T3_PNS13_IS18_E10value_typeET4_jRbjT5_S1E_jjP12ihipStream_tbEUljE_ZNSN_ISO_Lb1ESQ_SR_ST_SU_SY_EESZ_S10_S11_S12_S16_S17_S18_S1B_S1C_jS1D_jS1E_S1E_jjS1G_bEUljE0_EEESZ_S10_S11_S18_S1C_S1E_T6_T7_T9_mT8_S1G_bDpT10_ENKUlT_T0_E_clISt17integral_constantIbLb0EES1U_EEDaS1P_S1Q_EUlS1P_E_NS1_11comp_targetILNS1_3genE5ELNS1_11target_archE942ELNS1_3gpuE9ELNS1_3repE0EEENS1_30default_config_static_selectorELNS0_4arch9wavefront6targetE0EEEvS12_
; %bb.0:
	.section	.rodata,"a",@progbits
	.p2align	6, 0x0
	.amdhsa_kernel _ZN7rocprim17ROCPRIM_400000_NS6detail17trampoline_kernelINS0_13select_configILj256ELj13ELNS0_17block_load_methodE3ELS4_3ELS4_3ELNS0_20block_scan_algorithmE0ELj4294967295EEENS1_25partition_config_selectorILNS1_17partition_subalgoE4EjNS0_10empty_typeEbEEZZNS1_14partition_implILS8_4ELb0ES6_15HIP_vector_typeIjLj2EENS0_17counting_iteratorIjlEEPS9_SG_NS0_5tupleIJPjSI_NS0_16reverse_iteratorISI_EEEEENSH_IJSG_SG_SG_EEES9_SI_JZNS1_25segmented_radix_sort_implINS0_14default_configELb1EPKsPsPKlPlN2at6native12_GLOBAL__N_18offset_tEEE10hipError_tPvRmT1_PNSt15iterator_traitsIS12_E10value_typeET2_T3_PNS13_IS18_E10value_typeET4_jRbjT5_S1E_jjP12ihipStream_tbEUljE_ZNSN_ISO_Lb1ESQ_SR_ST_SU_SY_EESZ_S10_S11_S12_S16_S17_S18_S1B_S1C_jS1D_jS1E_S1E_jjS1G_bEUljE0_EEESZ_S10_S11_S18_S1C_S1E_T6_T7_T9_mT8_S1G_bDpT10_ENKUlT_T0_E_clISt17integral_constantIbLb0EES1U_EEDaS1P_S1Q_EUlS1P_E_NS1_11comp_targetILNS1_3genE5ELNS1_11target_archE942ELNS1_3gpuE9ELNS1_3repE0EEENS1_30default_config_static_selectorELNS0_4arch9wavefront6targetE0EEEvS12_
		.amdhsa_group_segment_fixed_size 0
		.amdhsa_private_segment_fixed_size 0
		.amdhsa_kernarg_size 176
		.amdhsa_user_sgpr_count 2
		.amdhsa_user_sgpr_dispatch_ptr 0
		.amdhsa_user_sgpr_queue_ptr 0
		.amdhsa_user_sgpr_kernarg_segment_ptr 1
		.amdhsa_user_sgpr_dispatch_id 0
		.amdhsa_user_sgpr_kernarg_preload_length 0
		.amdhsa_user_sgpr_kernarg_preload_offset 0
		.amdhsa_user_sgpr_private_segment_size 0
		.amdhsa_wavefront_size32 1
		.amdhsa_uses_dynamic_stack 0
		.amdhsa_enable_private_segment 0
		.amdhsa_system_sgpr_workgroup_id_x 1
		.amdhsa_system_sgpr_workgroup_id_y 0
		.amdhsa_system_sgpr_workgroup_id_z 0
		.amdhsa_system_sgpr_workgroup_info 0
		.amdhsa_system_vgpr_workitem_id 0
		.amdhsa_next_free_vgpr 1
		.amdhsa_next_free_sgpr 1
		.amdhsa_named_barrier_count 0
		.amdhsa_reserve_vcc 0
		.amdhsa_float_round_mode_32 0
		.amdhsa_float_round_mode_16_64 0
		.amdhsa_float_denorm_mode_32 3
		.amdhsa_float_denorm_mode_16_64 3
		.amdhsa_fp16_overflow 0
		.amdhsa_memory_ordered 1
		.amdhsa_forward_progress 1
		.amdhsa_inst_pref_size 0
		.amdhsa_round_robin_scheduling 0
		.amdhsa_exception_fp_ieee_invalid_op 0
		.amdhsa_exception_fp_denorm_src 0
		.amdhsa_exception_fp_ieee_div_zero 0
		.amdhsa_exception_fp_ieee_overflow 0
		.amdhsa_exception_fp_ieee_underflow 0
		.amdhsa_exception_fp_ieee_inexact 0
		.amdhsa_exception_int_div_zero 0
	.end_amdhsa_kernel
	.section	.text._ZN7rocprim17ROCPRIM_400000_NS6detail17trampoline_kernelINS0_13select_configILj256ELj13ELNS0_17block_load_methodE3ELS4_3ELS4_3ELNS0_20block_scan_algorithmE0ELj4294967295EEENS1_25partition_config_selectorILNS1_17partition_subalgoE4EjNS0_10empty_typeEbEEZZNS1_14partition_implILS8_4ELb0ES6_15HIP_vector_typeIjLj2EENS0_17counting_iteratorIjlEEPS9_SG_NS0_5tupleIJPjSI_NS0_16reverse_iteratorISI_EEEEENSH_IJSG_SG_SG_EEES9_SI_JZNS1_25segmented_radix_sort_implINS0_14default_configELb1EPKsPsPKlPlN2at6native12_GLOBAL__N_18offset_tEEE10hipError_tPvRmT1_PNSt15iterator_traitsIS12_E10value_typeET2_T3_PNS13_IS18_E10value_typeET4_jRbjT5_S1E_jjP12ihipStream_tbEUljE_ZNSN_ISO_Lb1ESQ_SR_ST_SU_SY_EESZ_S10_S11_S12_S16_S17_S18_S1B_S1C_jS1D_jS1E_S1E_jjS1G_bEUljE0_EEESZ_S10_S11_S18_S1C_S1E_T6_T7_T9_mT8_S1G_bDpT10_ENKUlT_T0_E_clISt17integral_constantIbLb0EES1U_EEDaS1P_S1Q_EUlS1P_E_NS1_11comp_targetILNS1_3genE5ELNS1_11target_archE942ELNS1_3gpuE9ELNS1_3repE0EEENS1_30default_config_static_selectorELNS0_4arch9wavefront6targetE0EEEvS12_,"axG",@progbits,_ZN7rocprim17ROCPRIM_400000_NS6detail17trampoline_kernelINS0_13select_configILj256ELj13ELNS0_17block_load_methodE3ELS4_3ELS4_3ELNS0_20block_scan_algorithmE0ELj4294967295EEENS1_25partition_config_selectorILNS1_17partition_subalgoE4EjNS0_10empty_typeEbEEZZNS1_14partition_implILS8_4ELb0ES6_15HIP_vector_typeIjLj2EENS0_17counting_iteratorIjlEEPS9_SG_NS0_5tupleIJPjSI_NS0_16reverse_iteratorISI_EEEEENSH_IJSG_SG_SG_EEES9_SI_JZNS1_25segmented_radix_sort_implINS0_14default_configELb1EPKsPsPKlPlN2at6native12_GLOBAL__N_18offset_tEEE10hipError_tPvRmT1_PNSt15iterator_traitsIS12_E10value_typeET2_T3_PNS13_IS18_E10value_typeET4_jRbjT5_S1E_jjP12ihipStream_tbEUljE_ZNSN_ISO_Lb1ESQ_SR_ST_SU_SY_EESZ_S10_S11_S12_S16_S17_S18_S1B_S1C_jS1D_jS1E_S1E_jjS1G_bEUljE0_EEESZ_S10_S11_S18_S1C_S1E_T6_T7_T9_mT8_S1G_bDpT10_ENKUlT_T0_E_clISt17integral_constantIbLb0EES1U_EEDaS1P_S1Q_EUlS1P_E_NS1_11comp_targetILNS1_3genE5ELNS1_11target_archE942ELNS1_3gpuE9ELNS1_3repE0EEENS1_30default_config_static_selectorELNS0_4arch9wavefront6targetE0EEEvS12_,comdat
.Lfunc_end844:
	.size	_ZN7rocprim17ROCPRIM_400000_NS6detail17trampoline_kernelINS0_13select_configILj256ELj13ELNS0_17block_load_methodE3ELS4_3ELS4_3ELNS0_20block_scan_algorithmE0ELj4294967295EEENS1_25partition_config_selectorILNS1_17partition_subalgoE4EjNS0_10empty_typeEbEEZZNS1_14partition_implILS8_4ELb0ES6_15HIP_vector_typeIjLj2EENS0_17counting_iteratorIjlEEPS9_SG_NS0_5tupleIJPjSI_NS0_16reverse_iteratorISI_EEEEENSH_IJSG_SG_SG_EEES9_SI_JZNS1_25segmented_radix_sort_implINS0_14default_configELb1EPKsPsPKlPlN2at6native12_GLOBAL__N_18offset_tEEE10hipError_tPvRmT1_PNSt15iterator_traitsIS12_E10value_typeET2_T3_PNS13_IS18_E10value_typeET4_jRbjT5_S1E_jjP12ihipStream_tbEUljE_ZNSN_ISO_Lb1ESQ_SR_ST_SU_SY_EESZ_S10_S11_S12_S16_S17_S18_S1B_S1C_jS1D_jS1E_S1E_jjS1G_bEUljE0_EEESZ_S10_S11_S18_S1C_S1E_T6_T7_T9_mT8_S1G_bDpT10_ENKUlT_T0_E_clISt17integral_constantIbLb0EES1U_EEDaS1P_S1Q_EUlS1P_E_NS1_11comp_targetILNS1_3genE5ELNS1_11target_archE942ELNS1_3gpuE9ELNS1_3repE0EEENS1_30default_config_static_selectorELNS0_4arch9wavefront6targetE0EEEvS12_, .Lfunc_end844-_ZN7rocprim17ROCPRIM_400000_NS6detail17trampoline_kernelINS0_13select_configILj256ELj13ELNS0_17block_load_methodE3ELS4_3ELS4_3ELNS0_20block_scan_algorithmE0ELj4294967295EEENS1_25partition_config_selectorILNS1_17partition_subalgoE4EjNS0_10empty_typeEbEEZZNS1_14partition_implILS8_4ELb0ES6_15HIP_vector_typeIjLj2EENS0_17counting_iteratorIjlEEPS9_SG_NS0_5tupleIJPjSI_NS0_16reverse_iteratorISI_EEEEENSH_IJSG_SG_SG_EEES9_SI_JZNS1_25segmented_radix_sort_implINS0_14default_configELb1EPKsPsPKlPlN2at6native12_GLOBAL__N_18offset_tEEE10hipError_tPvRmT1_PNSt15iterator_traitsIS12_E10value_typeET2_T3_PNS13_IS18_E10value_typeET4_jRbjT5_S1E_jjP12ihipStream_tbEUljE_ZNSN_ISO_Lb1ESQ_SR_ST_SU_SY_EESZ_S10_S11_S12_S16_S17_S18_S1B_S1C_jS1D_jS1E_S1E_jjS1G_bEUljE0_EEESZ_S10_S11_S18_S1C_S1E_T6_T7_T9_mT8_S1G_bDpT10_ENKUlT_T0_E_clISt17integral_constantIbLb0EES1U_EEDaS1P_S1Q_EUlS1P_E_NS1_11comp_targetILNS1_3genE5ELNS1_11target_archE942ELNS1_3gpuE9ELNS1_3repE0EEENS1_30default_config_static_selectorELNS0_4arch9wavefront6targetE0EEEvS12_
                                        ; -- End function
	.set _ZN7rocprim17ROCPRIM_400000_NS6detail17trampoline_kernelINS0_13select_configILj256ELj13ELNS0_17block_load_methodE3ELS4_3ELS4_3ELNS0_20block_scan_algorithmE0ELj4294967295EEENS1_25partition_config_selectorILNS1_17partition_subalgoE4EjNS0_10empty_typeEbEEZZNS1_14partition_implILS8_4ELb0ES6_15HIP_vector_typeIjLj2EENS0_17counting_iteratorIjlEEPS9_SG_NS0_5tupleIJPjSI_NS0_16reverse_iteratorISI_EEEEENSH_IJSG_SG_SG_EEES9_SI_JZNS1_25segmented_radix_sort_implINS0_14default_configELb1EPKsPsPKlPlN2at6native12_GLOBAL__N_18offset_tEEE10hipError_tPvRmT1_PNSt15iterator_traitsIS12_E10value_typeET2_T3_PNS13_IS18_E10value_typeET4_jRbjT5_S1E_jjP12ihipStream_tbEUljE_ZNSN_ISO_Lb1ESQ_SR_ST_SU_SY_EESZ_S10_S11_S12_S16_S17_S18_S1B_S1C_jS1D_jS1E_S1E_jjS1G_bEUljE0_EEESZ_S10_S11_S18_S1C_S1E_T6_T7_T9_mT8_S1G_bDpT10_ENKUlT_T0_E_clISt17integral_constantIbLb0EES1U_EEDaS1P_S1Q_EUlS1P_E_NS1_11comp_targetILNS1_3genE5ELNS1_11target_archE942ELNS1_3gpuE9ELNS1_3repE0EEENS1_30default_config_static_selectorELNS0_4arch9wavefront6targetE0EEEvS12_.num_vgpr, 0
	.set _ZN7rocprim17ROCPRIM_400000_NS6detail17trampoline_kernelINS0_13select_configILj256ELj13ELNS0_17block_load_methodE3ELS4_3ELS4_3ELNS0_20block_scan_algorithmE0ELj4294967295EEENS1_25partition_config_selectorILNS1_17partition_subalgoE4EjNS0_10empty_typeEbEEZZNS1_14partition_implILS8_4ELb0ES6_15HIP_vector_typeIjLj2EENS0_17counting_iteratorIjlEEPS9_SG_NS0_5tupleIJPjSI_NS0_16reverse_iteratorISI_EEEEENSH_IJSG_SG_SG_EEES9_SI_JZNS1_25segmented_radix_sort_implINS0_14default_configELb1EPKsPsPKlPlN2at6native12_GLOBAL__N_18offset_tEEE10hipError_tPvRmT1_PNSt15iterator_traitsIS12_E10value_typeET2_T3_PNS13_IS18_E10value_typeET4_jRbjT5_S1E_jjP12ihipStream_tbEUljE_ZNSN_ISO_Lb1ESQ_SR_ST_SU_SY_EESZ_S10_S11_S12_S16_S17_S18_S1B_S1C_jS1D_jS1E_S1E_jjS1G_bEUljE0_EEESZ_S10_S11_S18_S1C_S1E_T6_T7_T9_mT8_S1G_bDpT10_ENKUlT_T0_E_clISt17integral_constantIbLb0EES1U_EEDaS1P_S1Q_EUlS1P_E_NS1_11comp_targetILNS1_3genE5ELNS1_11target_archE942ELNS1_3gpuE9ELNS1_3repE0EEENS1_30default_config_static_selectorELNS0_4arch9wavefront6targetE0EEEvS12_.num_agpr, 0
	.set _ZN7rocprim17ROCPRIM_400000_NS6detail17trampoline_kernelINS0_13select_configILj256ELj13ELNS0_17block_load_methodE3ELS4_3ELS4_3ELNS0_20block_scan_algorithmE0ELj4294967295EEENS1_25partition_config_selectorILNS1_17partition_subalgoE4EjNS0_10empty_typeEbEEZZNS1_14partition_implILS8_4ELb0ES6_15HIP_vector_typeIjLj2EENS0_17counting_iteratorIjlEEPS9_SG_NS0_5tupleIJPjSI_NS0_16reverse_iteratorISI_EEEEENSH_IJSG_SG_SG_EEES9_SI_JZNS1_25segmented_radix_sort_implINS0_14default_configELb1EPKsPsPKlPlN2at6native12_GLOBAL__N_18offset_tEEE10hipError_tPvRmT1_PNSt15iterator_traitsIS12_E10value_typeET2_T3_PNS13_IS18_E10value_typeET4_jRbjT5_S1E_jjP12ihipStream_tbEUljE_ZNSN_ISO_Lb1ESQ_SR_ST_SU_SY_EESZ_S10_S11_S12_S16_S17_S18_S1B_S1C_jS1D_jS1E_S1E_jjS1G_bEUljE0_EEESZ_S10_S11_S18_S1C_S1E_T6_T7_T9_mT8_S1G_bDpT10_ENKUlT_T0_E_clISt17integral_constantIbLb0EES1U_EEDaS1P_S1Q_EUlS1P_E_NS1_11comp_targetILNS1_3genE5ELNS1_11target_archE942ELNS1_3gpuE9ELNS1_3repE0EEENS1_30default_config_static_selectorELNS0_4arch9wavefront6targetE0EEEvS12_.numbered_sgpr, 0
	.set _ZN7rocprim17ROCPRIM_400000_NS6detail17trampoline_kernelINS0_13select_configILj256ELj13ELNS0_17block_load_methodE3ELS4_3ELS4_3ELNS0_20block_scan_algorithmE0ELj4294967295EEENS1_25partition_config_selectorILNS1_17partition_subalgoE4EjNS0_10empty_typeEbEEZZNS1_14partition_implILS8_4ELb0ES6_15HIP_vector_typeIjLj2EENS0_17counting_iteratorIjlEEPS9_SG_NS0_5tupleIJPjSI_NS0_16reverse_iteratorISI_EEEEENSH_IJSG_SG_SG_EEES9_SI_JZNS1_25segmented_radix_sort_implINS0_14default_configELb1EPKsPsPKlPlN2at6native12_GLOBAL__N_18offset_tEEE10hipError_tPvRmT1_PNSt15iterator_traitsIS12_E10value_typeET2_T3_PNS13_IS18_E10value_typeET4_jRbjT5_S1E_jjP12ihipStream_tbEUljE_ZNSN_ISO_Lb1ESQ_SR_ST_SU_SY_EESZ_S10_S11_S12_S16_S17_S18_S1B_S1C_jS1D_jS1E_S1E_jjS1G_bEUljE0_EEESZ_S10_S11_S18_S1C_S1E_T6_T7_T9_mT8_S1G_bDpT10_ENKUlT_T0_E_clISt17integral_constantIbLb0EES1U_EEDaS1P_S1Q_EUlS1P_E_NS1_11comp_targetILNS1_3genE5ELNS1_11target_archE942ELNS1_3gpuE9ELNS1_3repE0EEENS1_30default_config_static_selectorELNS0_4arch9wavefront6targetE0EEEvS12_.num_named_barrier, 0
	.set _ZN7rocprim17ROCPRIM_400000_NS6detail17trampoline_kernelINS0_13select_configILj256ELj13ELNS0_17block_load_methodE3ELS4_3ELS4_3ELNS0_20block_scan_algorithmE0ELj4294967295EEENS1_25partition_config_selectorILNS1_17partition_subalgoE4EjNS0_10empty_typeEbEEZZNS1_14partition_implILS8_4ELb0ES6_15HIP_vector_typeIjLj2EENS0_17counting_iteratorIjlEEPS9_SG_NS0_5tupleIJPjSI_NS0_16reverse_iteratorISI_EEEEENSH_IJSG_SG_SG_EEES9_SI_JZNS1_25segmented_radix_sort_implINS0_14default_configELb1EPKsPsPKlPlN2at6native12_GLOBAL__N_18offset_tEEE10hipError_tPvRmT1_PNSt15iterator_traitsIS12_E10value_typeET2_T3_PNS13_IS18_E10value_typeET4_jRbjT5_S1E_jjP12ihipStream_tbEUljE_ZNSN_ISO_Lb1ESQ_SR_ST_SU_SY_EESZ_S10_S11_S12_S16_S17_S18_S1B_S1C_jS1D_jS1E_S1E_jjS1G_bEUljE0_EEESZ_S10_S11_S18_S1C_S1E_T6_T7_T9_mT8_S1G_bDpT10_ENKUlT_T0_E_clISt17integral_constantIbLb0EES1U_EEDaS1P_S1Q_EUlS1P_E_NS1_11comp_targetILNS1_3genE5ELNS1_11target_archE942ELNS1_3gpuE9ELNS1_3repE0EEENS1_30default_config_static_selectorELNS0_4arch9wavefront6targetE0EEEvS12_.private_seg_size, 0
	.set _ZN7rocprim17ROCPRIM_400000_NS6detail17trampoline_kernelINS0_13select_configILj256ELj13ELNS0_17block_load_methodE3ELS4_3ELS4_3ELNS0_20block_scan_algorithmE0ELj4294967295EEENS1_25partition_config_selectorILNS1_17partition_subalgoE4EjNS0_10empty_typeEbEEZZNS1_14partition_implILS8_4ELb0ES6_15HIP_vector_typeIjLj2EENS0_17counting_iteratorIjlEEPS9_SG_NS0_5tupleIJPjSI_NS0_16reverse_iteratorISI_EEEEENSH_IJSG_SG_SG_EEES9_SI_JZNS1_25segmented_radix_sort_implINS0_14default_configELb1EPKsPsPKlPlN2at6native12_GLOBAL__N_18offset_tEEE10hipError_tPvRmT1_PNSt15iterator_traitsIS12_E10value_typeET2_T3_PNS13_IS18_E10value_typeET4_jRbjT5_S1E_jjP12ihipStream_tbEUljE_ZNSN_ISO_Lb1ESQ_SR_ST_SU_SY_EESZ_S10_S11_S12_S16_S17_S18_S1B_S1C_jS1D_jS1E_S1E_jjS1G_bEUljE0_EEESZ_S10_S11_S18_S1C_S1E_T6_T7_T9_mT8_S1G_bDpT10_ENKUlT_T0_E_clISt17integral_constantIbLb0EES1U_EEDaS1P_S1Q_EUlS1P_E_NS1_11comp_targetILNS1_3genE5ELNS1_11target_archE942ELNS1_3gpuE9ELNS1_3repE0EEENS1_30default_config_static_selectorELNS0_4arch9wavefront6targetE0EEEvS12_.uses_vcc, 0
	.set _ZN7rocprim17ROCPRIM_400000_NS6detail17trampoline_kernelINS0_13select_configILj256ELj13ELNS0_17block_load_methodE3ELS4_3ELS4_3ELNS0_20block_scan_algorithmE0ELj4294967295EEENS1_25partition_config_selectorILNS1_17partition_subalgoE4EjNS0_10empty_typeEbEEZZNS1_14partition_implILS8_4ELb0ES6_15HIP_vector_typeIjLj2EENS0_17counting_iteratorIjlEEPS9_SG_NS0_5tupleIJPjSI_NS0_16reverse_iteratorISI_EEEEENSH_IJSG_SG_SG_EEES9_SI_JZNS1_25segmented_radix_sort_implINS0_14default_configELb1EPKsPsPKlPlN2at6native12_GLOBAL__N_18offset_tEEE10hipError_tPvRmT1_PNSt15iterator_traitsIS12_E10value_typeET2_T3_PNS13_IS18_E10value_typeET4_jRbjT5_S1E_jjP12ihipStream_tbEUljE_ZNSN_ISO_Lb1ESQ_SR_ST_SU_SY_EESZ_S10_S11_S12_S16_S17_S18_S1B_S1C_jS1D_jS1E_S1E_jjS1G_bEUljE0_EEESZ_S10_S11_S18_S1C_S1E_T6_T7_T9_mT8_S1G_bDpT10_ENKUlT_T0_E_clISt17integral_constantIbLb0EES1U_EEDaS1P_S1Q_EUlS1P_E_NS1_11comp_targetILNS1_3genE5ELNS1_11target_archE942ELNS1_3gpuE9ELNS1_3repE0EEENS1_30default_config_static_selectorELNS0_4arch9wavefront6targetE0EEEvS12_.uses_flat_scratch, 0
	.set _ZN7rocprim17ROCPRIM_400000_NS6detail17trampoline_kernelINS0_13select_configILj256ELj13ELNS0_17block_load_methodE3ELS4_3ELS4_3ELNS0_20block_scan_algorithmE0ELj4294967295EEENS1_25partition_config_selectorILNS1_17partition_subalgoE4EjNS0_10empty_typeEbEEZZNS1_14partition_implILS8_4ELb0ES6_15HIP_vector_typeIjLj2EENS0_17counting_iteratorIjlEEPS9_SG_NS0_5tupleIJPjSI_NS0_16reverse_iteratorISI_EEEEENSH_IJSG_SG_SG_EEES9_SI_JZNS1_25segmented_radix_sort_implINS0_14default_configELb1EPKsPsPKlPlN2at6native12_GLOBAL__N_18offset_tEEE10hipError_tPvRmT1_PNSt15iterator_traitsIS12_E10value_typeET2_T3_PNS13_IS18_E10value_typeET4_jRbjT5_S1E_jjP12ihipStream_tbEUljE_ZNSN_ISO_Lb1ESQ_SR_ST_SU_SY_EESZ_S10_S11_S12_S16_S17_S18_S1B_S1C_jS1D_jS1E_S1E_jjS1G_bEUljE0_EEESZ_S10_S11_S18_S1C_S1E_T6_T7_T9_mT8_S1G_bDpT10_ENKUlT_T0_E_clISt17integral_constantIbLb0EES1U_EEDaS1P_S1Q_EUlS1P_E_NS1_11comp_targetILNS1_3genE5ELNS1_11target_archE942ELNS1_3gpuE9ELNS1_3repE0EEENS1_30default_config_static_selectorELNS0_4arch9wavefront6targetE0EEEvS12_.has_dyn_sized_stack, 0
	.set _ZN7rocprim17ROCPRIM_400000_NS6detail17trampoline_kernelINS0_13select_configILj256ELj13ELNS0_17block_load_methodE3ELS4_3ELS4_3ELNS0_20block_scan_algorithmE0ELj4294967295EEENS1_25partition_config_selectorILNS1_17partition_subalgoE4EjNS0_10empty_typeEbEEZZNS1_14partition_implILS8_4ELb0ES6_15HIP_vector_typeIjLj2EENS0_17counting_iteratorIjlEEPS9_SG_NS0_5tupleIJPjSI_NS0_16reverse_iteratorISI_EEEEENSH_IJSG_SG_SG_EEES9_SI_JZNS1_25segmented_radix_sort_implINS0_14default_configELb1EPKsPsPKlPlN2at6native12_GLOBAL__N_18offset_tEEE10hipError_tPvRmT1_PNSt15iterator_traitsIS12_E10value_typeET2_T3_PNS13_IS18_E10value_typeET4_jRbjT5_S1E_jjP12ihipStream_tbEUljE_ZNSN_ISO_Lb1ESQ_SR_ST_SU_SY_EESZ_S10_S11_S12_S16_S17_S18_S1B_S1C_jS1D_jS1E_S1E_jjS1G_bEUljE0_EEESZ_S10_S11_S18_S1C_S1E_T6_T7_T9_mT8_S1G_bDpT10_ENKUlT_T0_E_clISt17integral_constantIbLb0EES1U_EEDaS1P_S1Q_EUlS1P_E_NS1_11comp_targetILNS1_3genE5ELNS1_11target_archE942ELNS1_3gpuE9ELNS1_3repE0EEENS1_30default_config_static_selectorELNS0_4arch9wavefront6targetE0EEEvS12_.has_recursion, 0
	.set _ZN7rocprim17ROCPRIM_400000_NS6detail17trampoline_kernelINS0_13select_configILj256ELj13ELNS0_17block_load_methodE3ELS4_3ELS4_3ELNS0_20block_scan_algorithmE0ELj4294967295EEENS1_25partition_config_selectorILNS1_17partition_subalgoE4EjNS0_10empty_typeEbEEZZNS1_14partition_implILS8_4ELb0ES6_15HIP_vector_typeIjLj2EENS0_17counting_iteratorIjlEEPS9_SG_NS0_5tupleIJPjSI_NS0_16reverse_iteratorISI_EEEEENSH_IJSG_SG_SG_EEES9_SI_JZNS1_25segmented_radix_sort_implINS0_14default_configELb1EPKsPsPKlPlN2at6native12_GLOBAL__N_18offset_tEEE10hipError_tPvRmT1_PNSt15iterator_traitsIS12_E10value_typeET2_T3_PNS13_IS18_E10value_typeET4_jRbjT5_S1E_jjP12ihipStream_tbEUljE_ZNSN_ISO_Lb1ESQ_SR_ST_SU_SY_EESZ_S10_S11_S12_S16_S17_S18_S1B_S1C_jS1D_jS1E_S1E_jjS1G_bEUljE0_EEESZ_S10_S11_S18_S1C_S1E_T6_T7_T9_mT8_S1G_bDpT10_ENKUlT_T0_E_clISt17integral_constantIbLb0EES1U_EEDaS1P_S1Q_EUlS1P_E_NS1_11comp_targetILNS1_3genE5ELNS1_11target_archE942ELNS1_3gpuE9ELNS1_3repE0EEENS1_30default_config_static_selectorELNS0_4arch9wavefront6targetE0EEEvS12_.has_indirect_call, 0
	.section	.AMDGPU.csdata,"",@progbits
; Kernel info:
; codeLenInByte = 0
; TotalNumSgprs: 0
; NumVgprs: 0
; ScratchSize: 0
; MemoryBound: 0
; FloatMode: 240
; IeeeMode: 1
; LDSByteSize: 0 bytes/workgroup (compile time only)
; SGPRBlocks: 0
; VGPRBlocks: 0
; NumSGPRsForWavesPerEU: 1
; NumVGPRsForWavesPerEU: 1
; NamedBarCnt: 0
; Occupancy: 16
; WaveLimiterHint : 0
; COMPUTE_PGM_RSRC2:SCRATCH_EN: 0
; COMPUTE_PGM_RSRC2:USER_SGPR: 2
; COMPUTE_PGM_RSRC2:TRAP_HANDLER: 0
; COMPUTE_PGM_RSRC2:TGID_X_EN: 1
; COMPUTE_PGM_RSRC2:TGID_Y_EN: 0
; COMPUTE_PGM_RSRC2:TGID_Z_EN: 0
; COMPUTE_PGM_RSRC2:TIDIG_COMP_CNT: 0
	.section	.text._ZN7rocprim17ROCPRIM_400000_NS6detail17trampoline_kernelINS0_13select_configILj256ELj13ELNS0_17block_load_methodE3ELS4_3ELS4_3ELNS0_20block_scan_algorithmE0ELj4294967295EEENS1_25partition_config_selectorILNS1_17partition_subalgoE4EjNS0_10empty_typeEbEEZZNS1_14partition_implILS8_4ELb0ES6_15HIP_vector_typeIjLj2EENS0_17counting_iteratorIjlEEPS9_SG_NS0_5tupleIJPjSI_NS0_16reverse_iteratorISI_EEEEENSH_IJSG_SG_SG_EEES9_SI_JZNS1_25segmented_radix_sort_implINS0_14default_configELb1EPKsPsPKlPlN2at6native12_GLOBAL__N_18offset_tEEE10hipError_tPvRmT1_PNSt15iterator_traitsIS12_E10value_typeET2_T3_PNS13_IS18_E10value_typeET4_jRbjT5_S1E_jjP12ihipStream_tbEUljE_ZNSN_ISO_Lb1ESQ_SR_ST_SU_SY_EESZ_S10_S11_S12_S16_S17_S18_S1B_S1C_jS1D_jS1E_S1E_jjS1G_bEUljE0_EEESZ_S10_S11_S18_S1C_S1E_T6_T7_T9_mT8_S1G_bDpT10_ENKUlT_T0_E_clISt17integral_constantIbLb0EES1U_EEDaS1P_S1Q_EUlS1P_E_NS1_11comp_targetILNS1_3genE4ELNS1_11target_archE910ELNS1_3gpuE8ELNS1_3repE0EEENS1_30default_config_static_selectorELNS0_4arch9wavefront6targetE0EEEvS12_,"axG",@progbits,_ZN7rocprim17ROCPRIM_400000_NS6detail17trampoline_kernelINS0_13select_configILj256ELj13ELNS0_17block_load_methodE3ELS4_3ELS4_3ELNS0_20block_scan_algorithmE0ELj4294967295EEENS1_25partition_config_selectorILNS1_17partition_subalgoE4EjNS0_10empty_typeEbEEZZNS1_14partition_implILS8_4ELb0ES6_15HIP_vector_typeIjLj2EENS0_17counting_iteratorIjlEEPS9_SG_NS0_5tupleIJPjSI_NS0_16reverse_iteratorISI_EEEEENSH_IJSG_SG_SG_EEES9_SI_JZNS1_25segmented_radix_sort_implINS0_14default_configELb1EPKsPsPKlPlN2at6native12_GLOBAL__N_18offset_tEEE10hipError_tPvRmT1_PNSt15iterator_traitsIS12_E10value_typeET2_T3_PNS13_IS18_E10value_typeET4_jRbjT5_S1E_jjP12ihipStream_tbEUljE_ZNSN_ISO_Lb1ESQ_SR_ST_SU_SY_EESZ_S10_S11_S12_S16_S17_S18_S1B_S1C_jS1D_jS1E_S1E_jjS1G_bEUljE0_EEESZ_S10_S11_S18_S1C_S1E_T6_T7_T9_mT8_S1G_bDpT10_ENKUlT_T0_E_clISt17integral_constantIbLb0EES1U_EEDaS1P_S1Q_EUlS1P_E_NS1_11comp_targetILNS1_3genE4ELNS1_11target_archE910ELNS1_3gpuE8ELNS1_3repE0EEENS1_30default_config_static_selectorELNS0_4arch9wavefront6targetE0EEEvS12_,comdat
	.globl	_ZN7rocprim17ROCPRIM_400000_NS6detail17trampoline_kernelINS0_13select_configILj256ELj13ELNS0_17block_load_methodE3ELS4_3ELS4_3ELNS0_20block_scan_algorithmE0ELj4294967295EEENS1_25partition_config_selectorILNS1_17partition_subalgoE4EjNS0_10empty_typeEbEEZZNS1_14partition_implILS8_4ELb0ES6_15HIP_vector_typeIjLj2EENS0_17counting_iteratorIjlEEPS9_SG_NS0_5tupleIJPjSI_NS0_16reverse_iteratorISI_EEEEENSH_IJSG_SG_SG_EEES9_SI_JZNS1_25segmented_radix_sort_implINS0_14default_configELb1EPKsPsPKlPlN2at6native12_GLOBAL__N_18offset_tEEE10hipError_tPvRmT1_PNSt15iterator_traitsIS12_E10value_typeET2_T3_PNS13_IS18_E10value_typeET4_jRbjT5_S1E_jjP12ihipStream_tbEUljE_ZNSN_ISO_Lb1ESQ_SR_ST_SU_SY_EESZ_S10_S11_S12_S16_S17_S18_S1B_S1C_jS1D_jS1E_S1E_jjS1G_bEUljE0_EEESZ_S10_S11_S18_S1C_S1E_T6_T7_T9_mT8_S1G_bDpT10_ENKUlT_T0_E_clISt17integral_constantIbLb0EES1U_EEDaS1P_S1Q_EUlS1P_E_NS1_11comp_targetILNS1_3genE4ELNS1_11target_archE910ELNS1_3gpuE8ELNS1_3repE0EEENS1_30default_config_static_selectorELNS0_4arch9wavefront6targetE0EEEvS12_ ; -- Begin function _ZN7rocprim17ROCPRIM_400000_NS6detail17trampoline_kernelINS0_13select_configILj256ELj13ELNS0_17block_load_methodE3ELS4_3ELS4_3ELNS0_20block_scan_algorithmE0ELj4294967295EEENS1_25partition_config_selectorILNS1_17partition_subalgoE4EjNS0_10empty_typeEbEEZZNS1_14partition_implILS8_4ELb0ES6_15HIP_vector_typeIjLj2EENS0_17counting_iteratorIjlEEPS9_SG_NS0_5tupleIJPjSI_NS0_16reverse_iteratorISI_EEEEENSH_IJSG_SG_SG_EEES9_SI_JZNS1_25segmented_radix_sort_implINS0_14default_configELb1EPKsPsPKlPlN2at6native12_GLOBAL__N_18offset_tEEE10hipError_tPvRmT1_PNSt15iterator_traitsIS12_E10value_typeET2_T3_PNS13_IS18_E10value_typeET4_jRbjT5_S1E_jjP12ihipStream_tbEUljE_ZNSN_ISO_Lb1ESQ_SR_ST_SU_SY_EESZ_S10_S11_S12_S16_S17_S18_S1B_S1C_jS1D_jS1E_S1E_jjS1G_bEUljE0_EEESZ_S10_S11_S18_S1C_S1E_T6_T7_T9_mT8_S1G_bDpT10_ENKUlT_T0_E_clISt17integral_constantIbLb0EES1U_EEDaS1P_S1Q_EUlS1P_E_NS1_11comp_targetILNS1_3genE4ELNS1_11target_archE910ELNS1_3gpuE8ELNS1_3repE0EEENS1_30default_config_static_selectorELNS0_4arch9wavefront6targetE0EEEvS12_
	.p2align	8
	.type	_ZN7rocprim17ROCPRIM_400000_NS6detail17trampoline_kernelINS0_13select_configILj256ELj13ELNS0_17block_load_methodE3ELS4_3ELS4_3ELNS0_20block_scan_algorithmE0ELj4294967295EEENS1_25partition_config_selectorILNS1_17partition_subalgoE4EjNS0_10empty_typeEbEEZZNS1_14partition_implILS8_4ELb0ES6_15HIP_vector_typeIjLj2EENS0_17counting_iteratorIjlEEPS9_SG_NS0_5tupleIJPjSI_NS0_16reverse_iteratorISI_EEEEENSH_IJSG_SG_SG_EEES9_SI_JZNS1_25segmented_radix_sort_implINS0_14default_configELb1EPKsPsPKlPlN2at6native12_GLOBAL__N_18offset_tEEE10hipError_tPvRmT1_PNSt15iterator_traitsIS12_E10value_typeET2_T3_PNS13_IS18_E10value_typeET4_jRbjT5_S1E_jjP12ihipStream_tbEUljE_ZNSN_ISO_Lb1ESQ_SR_ST_SU_SY_EESZ_S10_S11_S12_S16_S17_S18_S1B_S1C_jS1D_jS1E_S1E_jjS1G_bEUljE0_EEESZ_S10_S11_S18_S1C_S1E_T6_T7_T9_mT8_S1G_bDpT10_ENKUlT_T0_E_clISt17integral_constantIbLb0EES1U_EEDaS1P_S1Q_EUlS1P_E_NS1_11comp_targetILNS1_3genE4ELNS1_11target_archE910ELNS1_3gpuE8ELNS1_3repE0EEENS1_30default_config_static_selectorELNS0_4arch9wavefront6targetE0EEEvS12_,@function
_ZN7rocprim17ROCPRIM_400000_NS6detail17trampoline_kernelINS0_13select_configILj256ELj13ELNS0_17block_load_methodE3ELS4_3ELS4_3ELNS0_20block_scan_algorithmE0ELj4294967295EEENS1_25partition_config_selectorILNS1_17partition_subalgoE4EjNS0_10empty_typeEbEEZZNS1_14partition_implILS8_4ELb0ES6_15HIP_vector_typeIjLj2EENS0_17counting_iteratorIjlEEPS9_SG_NS0_5tupleIJPjSI_NS0_16reverse_iteratorISI_EEEEENSH_IJSG_SG_SG_EEES9_SI_JZNS1_25segmented_radix_sort_implINS0_14default_configELb1EPKsPsPKlPlN2at6native12_GLOBAL__N_18offset_tEEE10hipError_tPvRmT1_PNSt15iterator_traitsIS12_E10value_typeET2_T3_PNS13_IS18_E10value_typeET4_jRbjT5_S1E_jjP12ihipStream_tbEUljE_ZNSN_ISO_Lb1ESQ_SR_ST_SU_SY_EESZ_S10_S11_S12_S16_S17_S18_S1B_S1C_jS1D_jS1E_S1E_jjS1G_bEUljE0_EEESZ_S10_S11_S18_S1C_S1E_T6_T7_T9_mT8_S1G_bDpT10_ENKUlT_T0_E_clISt17integral_constantIbLb0EES1U_EEDaS1P_S1Q_EUlS1P_E_NS1_11comp_targetILNS1_3genE4ELNS1_11target_archE910ELNS1_3gpuE8ELNS1_3repE0EEENS1_30default_config_static_selectorELNS0_4arch9wavefront6targetE0EEEvS12_: ; @_ZN7rocprim17ROCPRIM_400000_NS6detail17trampoline_kernelINS0_13select_configILj256ELj13ELNS0_17block_load_methodE3ELS4_3ELS4_3ELNS0_20block_scan_algorithmE0ELj4294967295EEENS1_25partition_config_selectorILNS1_17partition_subalgoE4EjNS0_10empty_typeEbEEZZNS1_14partition_implILS8_4ELb0ES6_15HIP_vector_typeIjLj2EENS0_17counting_iteratorIjlEEPS9_SG_NS0_5tupleIJPjSI_NS0_16reverse_iteratorISI_EEEEENSH_IJSG_SG_SG_EEES9_SI_JZNS1_25segmented_radix_sort_implINS0_14default_configELb1EPKsPsPKlPlN2at6native12_GLOBAL__N_18offset_tEEE10hipError_tPvRmT1_PNSt15iterator_traitsIS12_E10value_typeET2_T3_PNS13_IS18_E10value_typeET4_jRbjT5_S1E_jjP12ihipStream_tbEUljE_ZNSN_ISO_Lb1ESQ_SR_ST_SU_SY_EESZ_S10_S11_S12_S16_S17_S18_S1B_S1C_jS1D_jS1E_S1E_jjS1G_bEUljE0_EEESZ_S10_S11_S18_S1C_S1E_T6_T7_T9_mT8_S1G_bDpT10_ENKUlT_T0_E_clISt17integral_constantIbLb0EES1U_EEDaS1P_S1Q_EUlS1P_E_NS1_11comp_targetILNS1_3genE4ELNS1_11target_archE910ELNS1_3gpuE8ELNS1_3repE0EEENS1_30default_config_static_selectorELNS0_4arch9wavefront6targetE0EEEvS12_
; %bb.0:
	.section	.rodata,"a",@progbits
	.p2align	6, 0x0
	.amdhsa_kernel _ZN7rocprim17ROCPRIM_400000_NS6detail17trampoline_kernelINS0_13select_configILj256ELj13ELNS0_17block_load_methodE3ELS4_3ELS4_3ELNS0_20block_scan_algorithmE0ELj4294967295EEENS1_25partition_config_selectorILNS1_17partition_subalgoE4EjNS0_10empty_typeEbEEZZNS1_14partition_implILS8_4ELb0ES6_15HIP_vector_typeIjLj2EENS0_17counting_iteratorIjlEEPS9_SG_NS0_5tupleIJPjSI_NS0_16reverse_iteratorISI_EEEEENSH_IJSG_SG_SG_EEES9_SI_JZNS1_25segmented_radix_sort_implINS0_14default_configELb1EPKsPsPKlPlN2at6native12_GLOBAL__N_18offset_tEEE10hipError_tPvRmT1_PNSt15iterator_traitsIS12_E10value_typeET2_T3_PNS13_IS18_E10value_typeET4_jRbjT5_S1E_jjP12ihipStream_tbEUljE_ZNSN_ISO_Lb1ESQ_SR_ST_SU_SY_EESZ_S10_S11_S12_S16_S17_S18_S1B_S1C_jS1D_jS1E_S1E_jjS1G_bEUljE0_EEESZ_S10_S11_S18_S1C_S1E_T6_T7_T9_mT8_S1G_bDpT10_ENKUlT_T0_E_clISt17integral_constantIbLb0EES1U_EEDaS1P_S1Q_EUlS1P_E_NS1_11comp_targetILNS1_3genE4ELNS1_11target_archE910ELNS1_3gpuE8ELNS1_3repE0EEENS1_30default_config_static_selectorELNS0_4arch9wavefront6targetE0EEEvS12_
		.amdhsa_group_segment_fixed_size 0
		.amdhsa_private_segment_fixed_size 0
		.amdhsa_kernarg_size 176
		.amdhsa_user_sgpr_count 2
		.amdhsa_user_sgpr_dispatch_ptr 0
		.amdhsa_user_sgpr_queue_ptr 0
		.amdhsa_user_sgpr_kernarg_segment_ptr 1
		.amdhsa_user_sgpr_dispatch_id 0
		.amdhsa_user_sgpr_kernarg_preload_length 0
		.amdhsa_user_sgpr_kernarg_preload_offset 0
		.amdhsa_user_sgpr_private_segment_size 0
		.amdhsa_wavefront_size32 1
		.amdhsa_uses_dynamic_stack 0
		.amdhsa_enable_private_segment 0
		.amdhsa_system_sgpr_workgroup_id_x 1
		.amdhsa_system_sgpr_workgroup_id_y 0
		.amdhsa_system_sgpr_workgroup_id_z 0
		.amdhsa_system_sgpr_workgroup_info 0
		.amdhsa_system_vgpr_workitem_id 0
		.amdhsa_next_free_vgpr 1
		.amdhsa_next_free_sgpr 1
		.amdhsa_named_barrier_count 0
		.amdhsa_reserve_vcc 0
		.amdhsa_float_round_mode_32 0
		.amdhsa_float_round_mode_16_64 0
		.amdhsa_float_denorm_mode_32 3
		.amdhsa_float_denorm_mode_16_64 3
		.amdhsa_fp16_overflow 0
		.amdhsa_memory_ordered 1
		.amdhsa_forward_progress 1
		.amdhsa_inst_pref_size 0
		.amdhsa_round_robin_scheduling 0
		.amdhsa_exception_fp_ieee_invalid_op 0
		.amdhsa_exception_fp_denorm_src 0
		.amdhsa_exception_fp_ieee_div_zero 0
		.amdhsa_exception_fp_ieee_overflow 0
		.amdhsa_exception_fp_ieee_underflow 0
		.amdhsa_exception_fp_ieee_inexact 0
		.amdhsa_exception_int_div_zero 0
	.end_amdhsa_kernel
	.section	.text._ZN7rocprim17ROCPRIM_400000_NS6detail17trampoline_kernelINS0_13select_configILj256ELj13ELNS0_17block_load_methodE3ELS4_3ELS4_3ELNS0_20block_scan_algorithmE0ELj4294967295EEENS1_25partition_config_selectorILNS1_17partition_subalgoE4EjNS0_10empty_typeEbEEZZNS1_14partition_implILS8_4ELb0ES6_15HIP_vector_typeIjLj2EENS0_17counting_iteratorIjlEEPS9_SG_NS0_5tupleIJPjSI_NS0_16reverse_iteratorISI_EEEEENSH_IJSG_SG_SG_EEES9_SI_JZNS1_25segmented_radix_sort_implINS0_14default_configELb1EPKsPsPKlPlN2at6native12_GLOBAL__N_18offset_tEEE10hipError_tPvRmT1_PNSt15iterator_traitsIS12_E10value_typeET2_T3_PNS13_IS18_E10value_typeET4_jRbjT5_S1E_jjP12ihipStream_tbEUljE_ZNSN_ISO_Lb1ESQ_SR_ST_SU_SY_EESZ_S10_S11_S12_S16_S17_S18_S1B_S1C_jS1D_jS1E_S1E_jjS1G_bEUljE0_EEESZ_S10_S11_S18_S1C_S1E_T6_T7_T9_mT8_S1G_bDpT10_ENKUlT_T0_E_clISt17integral_constantIbLb0EES1U_EEDaS1P_S1Q_EUlS1P_E_NS1_11comp_targetILNS1_3genE4ELNS1_11target_archE910ELNS1_3gpuE8ELNS1_3repE0EEENS1_30default_config_static_selectorELNS0_4arch9wavefront6targetE0EEEvS12_,"axG",@progbits,_ZN7rocprim17ROCPRIM_400000_NS6detail17trampoline_kernelINS0_13select_configILj256ELj13ELNS0_17block_load_methodE3ELS4_3ELS4_3ELNS0_20block_scan_algorithmE0ELj4294967295EEENS1_25partition_config_selectorILNS1_17partition_subalgoE4EjNS0_10empty_typeEbEEZZNS1_14partition_implILS8_4ELb0ES6_15HIP_vector_typeIjLj2EENS0_17counting_iteratorIjlEEPS9_SG_NS0_5tupleIJPjSI_NS0_16reverse_iteratorISI_EEEEENSH_IJSG_SG_SG_EEES9_SI_JZNS1_25segmented_radix_sort_implINS0_14default_configELb1EPKsPsPKlPlN2at6native12_GLOBAL__N_18offset_tEEE10hipError_tPvRmT1_PNSt15iterator_traitsIS12_E10value_typeET2_T3_PNS13_IS18_E10value_typeET4_jRbjT5_S1E_jjP12ihipStream_tbEUljE_ZNSN_ISO_Lb1ESQ_SR_ST_SU_SY_EESZ_S10_S11_S12_S16_S17_S18_S1B_S1C_jS1D_jS1E_S1E_jjS1G_bEUljE0_EEESZ_S10_S11_S18_S1C_S1E_T6_T7_T9_mT8_S1G_bDpT10_ENKUlT_T0_E_clISt17integral_constantIbLb0EES1U_EEDaS1P_S1Q_EUlS1P_E_NS1_11comp_targetILNS1_3genE4ELNS1_11target_archE910ELNS1_3gpuE8ELNS1_3repE0EEENS1_30default_config_static_selectorELNS0_4arch9wavefront6targetE0EEEvS12_,comdat
.Lfunc_end845:
	.size	_ZN7rocprim17ROCPRIM_400000_NS6detail17trampoline_kernelINS0_13select_configILj256ELj13ELNS0_17block_load_methodE3ELS4_3ELS4_3ELNS0_20block_scan_algorithmE0ELj4294967295EEENS1_25partition_config_selectorILNS1_17partition_subalgoE4EjNS0_10empty_typeEbEEZZNS1_14partition_implILS8_4ELb0ES6_15HIP_vector_typeIjLj2EENS0_17counting_iteratorIjlEEPS9_SG_NS0_5tupleIJPjSI_NS0_16reverse_iteratorISI_EEEEENSH_IJSG_SG_SG_EEES9_SI_JZNS1_25segmented_radix_sort_implINS0_14default_configELb1EPKsPsPKlPlN2at6native12_GLOBAL__N_18offset_tEEE10hipError_tPvRmT1_PNSt15iterator_traitsIS12_E10value_typeET2_T3_PNS13_IS18_E10value_typeET4_jRbjT5_S1E_jjP12ihipStream_tbEUljE_ZNSN_ISO_Lb1ESQ_SR_ST_SU_SY_EESZ_S10_S11_S12_S16_S17_S18_S1B_S1C_jS1D_jS1E_S1E_jjS1G_bEUljE0_EEESZ_S10_S11_S18_S1C_S1E_T6_T7_T9_mT8_S1G_bDpT10_ENKUlT_T0_E_clISt17integral_constantIbLb0EES1U_EEDaS1P_S1Q_EUlS1P_E_NS1_11comp_targetILNS1_3genE4ELNS1_11target_archE910ELNS1_3gpuE8ELNS1_3repE0EEENS1_30default_config_static_selectorELNS0_4arch9wavefront6targetE0EEEvS12_, .Lfunc_end845-_ZN7rocprim17ROCPRIM_400000_NS6detail17trampoline_kernelINS0_13select_configILj256ELj13ELNS0_17block_load_methodE3ELS4_3ELS4_3ELNS0_20block_scan_algorithmE0ELj4294967295EEENS1_25partition_config_selectorILNS1_17partition_subalgoE4EjNS0_10empty_typeEbEEZZNS1_14partition_implILS8_4ELb0ES6_15HIP_vector_typeIjLj2EENS0_17counting_iteratorIjlEEPS9_SG_NS0_5tupleIJPjSI_NS0_16reverse_iteratorISI_EEEEENSH_IJSG_SG_SG_EEES9_SI_JZNS1_25segmented_radix_sort_implINS0_14default_configELb1EPKsPsPKlPlN2at6native12_GLOBAL__N_18offset_tEEE10hipError_tPvRmT1_PNSt15iterator_traitsIS12_E10value_typeET2_T3_PNS13_IS18_E10value_typeET4_jRbjT5_S1E_jjP12ihipStream_tbEUljE_ZNSN_ISO_Lb1ESQ_SR_ST_SU_SY_EESZ_S10_S11_S12_S16_S17_S18_S1B_S1C_jS1D_jS1E_S1E_jjS1G_bEUljE0_EEESZ_S10_S11_S18_S1C_S1E_T6_T7_T9_mT8_S1G_bDpT10_ENKUlT_T0_E_clISt17integral_constantIbLb0EES1U_EEDaS1P_S1Q_EUlS1P_E_NS1_11comp_targetILNS1_3genE4ELNS1_11target_archE910ELNS1_3gpuE8ELNS1_3repE0EEENS1_30default_config_static_selectorELNS0_4arch9wavefront6targetE0EEEvS12_
                                        ; -- End function
	.set _ZN7rocprim17ROCPRIM_400000_NS6detail17trampoline_kernelINS0_13select_configILj256ELj13ELNS0_17block_load_methodE3ELS4_3ELS4_3ELNS0_20block_scan_algorithmE0ELj4294967295EEENS1_25partition_config_selectorILNS1_17partition_subalgoE4EjNS0_10empty_typeEbEEZZNS1_14partition_implILS8_4ELb0ES6_15HIP_vector_typeIjLj2EENS0_17counting_iteratorIjlEEPS9_SG_NS0_5tupleIJPjSI_NS0_16reverse_iteratorISI_EEEEENSH_IJSG_SG_SG_EEES9_SI_JZNS1_25segmented_radix_sort_implINS0_14default_configELb1EPKsPsPKlPlN2at6native12_GLOBAL__N_18offset_tEEE10hipError_tPvRmT1_PNSt15iterator_traitsIS12_E10value_typeET2_T3_PNS13_IS18_E10value_typeET4_jRbjT5_S1E_jjP12ihipStream_tbEUljE_ZNSN_ISO_Lb1ESQ_SR_ST_SU_SY_EESZ_S10_S11_S12_S16_S17_S18_S1B_S1C_jS1D_jS1E_S1E_jjS1G_bEUljE0_EEESZ_S10_S11_S18_S1C_S1E_T6_T7_T9_mT8_S1G_bDpT10_ENKUlT_T0_E_clISt17integral_constantIbLb0EES1U_EEDaS1P_S1Q_EUlS1P_E_NS1_11comp_targetILNS1_3genE4ELNS1_11target_archE910ELNS1_3gpuE8ELNS1_3repE0EEENS1_30default_config_static_selectorELNS0_4arch9wavefront6targetE0EEEvS12_.num_vgpr, 0
	.set _ZN7rocprim17ROCPRIM_400000_NS6detail17trampoline_kernelINS0_13select_configILj256ELj13ELNS0_17block_load_methodE3ELS4_3ELS4_3ELNS0_20block_scan_algorithmE0ELj4294967295EEENS1_25partition_config_selectorILNS1_17partition_subalgoE4EjNS0_10empty_typeEbEEZZNS1_14partition_implILS8_4ELb0ES6_15HIP_vector_typeIjLj2EENS0_17counting_iteratorIjlEEPS9_SG_NS0_5tupleIJPjSI_NS0_16reverse_iteratorISI_EEEEENSH_IJSG_SG_SG_EEES9_SI_JZNS1_25segmented_radix_sort_implINS0_14default_configELb1EPKsPsPKlPlN2at6native12_GLOBAL__N_18offset_tEEE10hipError_tPvRmT1_PNSt15iterator_traitsIS12_E10value_typeET2_T3_PNS13_IS18_E10value_typeET4_jRbjT5_S1E_jjP12ihipStream_tbEUljE_ZNSN_ISO_Lb1ESQ_SR_ST_SU_SY_EESZ_S10_S11_S12_S16_S17_S18_S1B_S1C_jS1D_jS1E_S1E_jjS1G_bEUljE0_EEESZ_S10_S11_S18_S1C_S1E_T6_T7_T9_mT8_S1G_bDpT10_ENKUlT_T0_E_clISt17integral_constantIbLb0EES1U_EEDaS1P_S1Q_EUlS1P_E_NS1_11comp_targetILNS1_3genE4ELNS1_11target_archE910ELNS1_3gpuE8ELNS1_3repE0EEENS1_30default_config_static_selectorELNS0_4arch9wavefront6targetE0EEEvS12_.num_agpr, 0
	.set _ZN7rocprim17ROCPRIM_400000_NS6detail17trampoline_kernelINS0_13select_configILj256ELj13ELNS0_17block_load_methodE3ELS4_3ELS4_3ELNS0_20block_scan_algorithmE0ELj4294967295EEENS1_25partition_config_selectorILNS1_17partition_subalgoE4EjNS0_10empty_typeEbEEZZNS1_14partition_implILS8_4ELb0ES6_15HIP_vector_typeIjLj2EENS0_17counting_iteratorIjlEEPS9_SG_NS0_5tupleIJPjSI_NS0_16reverse_iteratorISI_EEEEENSH_IJSG_SG_SG_EEES9_SI_JZNS1_25segmented_radix_sort_implINS0_14default_configELb1EPKsPsPKlPlN2at6native12_GLOBAL__N_18offset_tEEE10hipError_tPvRmT1_PNSt15iterator_traitsIS12_E10value_typeET2_T3_PNS13_IS18_E10value_typeET4_jRbjT5_S1E_jjP12ihipStream_tbEUljE_ZNSN_ISO_Lb1ESQ_SR_ST_SU_SY_EESZ_S10_S11_S12_S16_S17_S18_S1B_S1C_jS1D_jS1E_S1E_jjS1G_bEUljE0_EEESZ_S10_S11_S18_S1C_S1E_T6_T7_T9_mT8_S1G_bDpT10_ENKUlT_T0_E_clISt17integral_constantIbLb0EES1U_EEDaS1P_S1Q_EUlS1P_E_NS1_11comp_targetILNS1_3genE4ELNS1_11target_archE910ELNS1_3gpuE8ELNS1_3repE0EEENS1_30default_config_static_selectorELNS0_4arch9wavefront6targetE0EEEvS12_.numbered_sgpr, 0
	.set _ZN7rocprim17ROCPRIM_400000_NS6detail17trampoline_kernelINS0_13select_configILj256ELj13ELNS0_17block_load_methodE3ELS4_3ELS4_3ELNS0_20block_scan_algorithmE0ELj4294967295EEENS1_25partition_config_selectorILNS1_17partition_subalgoE4EjNS0_10empty_typeEbEEZZNS1_14partition_implILS8_4ELb0ES6_15HIP_vector_typeIjLj2EENS0_17counting_iteratorIjlEEPS9_SG_NS0_5tupleIJPjSI_NS0_16reverse_iteratorISI_EEEEENSH_IJSG_SG_SG_EEES9_SI_JZNS1_25segmented_radix_sort_implINS0_14default_configELb1EPKsPsPKlPlN2at6native12_GLOBAL__N_18offset_tEEE10hipError_tPvRmT1_PNSt15iterator_traitsIS12_E10value_typeET2_T3_PNS13_IS18_E10value_typeET4_jRbjT5_S1E_jjP12ihipStream_tbEUljE_ZNSN_ISO_Lb1ESQ_SR_ST_SU_SY_EESZ_S10_S11_S12_S16_S17_S18_S1B_S1C_jS1D_jS1E_S1E_jjS1G_bEUljE0_EEESZ_S10_S11_S18_S1C_S1E_T6_T7_T9_mT8_S1G_bDpT10_ENKUlT_T0_E_clISt17integral_constantIbLb0EES1U_EEDaS1P_S1Q_EUlS1P_E_NS1_11comp_targetILNS1_3genE4ELNS1_11target_archE910ELNS1_3gpuE8ELNS1_3repE0EEENS1_30default_config_static_selectorELNS0_4arch9wavefront6targetE0EEEvS12_.num_named_barrier, 0
	.set _ZN7rocprim17ROCPRIM_400000_NS6detail17trampoline_kernelINS0_13select_configILj256ELj13ELNS0_17block_load_methodE3ELS4_3ELS4_3ELNS0_20block_scan_algorithmE0ELj4294967295EEENS1_25partition_config_selectorILNS1_17partition_subalgoE4EjNS0_10empty_typeEbEEZZNS1_14partition_implILS8_4ELb0ES6_15HIP_vector_typeIjLj2EENS0_17counting_iteratorIjlEEPS9_SG_NS0_5tupleIJPjSI_NS0_16reverse_iteratorISI_EEEEENSH_IJSG_SG_SG_EEES9_SI_JZNS1_25segmented_radix_sort_implINS0_14default_configELb1EPKsPsPKlPlN2at6native12_GLOBAL__N_18offset_tEEE10hipError_tPvRmT1_PNSt15iterator_traitsIS12_E10value_typeET2_T3_PNS13_IS18_E10value_typeET4_jRbjT5_S1E_jjP12ihipStream_tbEUljE_ZNSN_ISO_Lb1ESQ_SR_ST_SU_SY_EESZ_S10_S11_S12_S16_S17_S18_S1B_S1C_jS1D_jS1E_S1E_jjS1G_bEUljE0_EEESZ_S10_S11_S18_S1C_S1E_T6_T7_T9_mT8_S1G_bDpT10_ENKUlT_T0_E_clISt17integral_constantIbLb0EES1U_EEDaS1P_S1Q_EUlS1P_E_NS1_11comp_targetILNS1_3genE4ELNS1_11target_archE910ELNS1_3gpuE8ELNS1_3repE0EEENS1_30default_config_static_selectorELNS0_4arch9wavefront6targetE0EEEvS12_.private_seg_size, 0
	.set _ZN7rocprim17ROCPRIM_400000_NS6detail17trampoline_kernelINS0_13select_configILj256ELj13ELNS0_17block_load_methodE3ELS4_3ELS4_3ELNS0_20block_scan_algorithmE0ELj4294967295EEENS1_25partition_config_selectorILNS1_17partition_subalgoE4EjNS0_10empty_typeEbEEZZNS1_14partition_implILS8_4ELb0ES6_15HIP_vector_typeIjLj2EENS0_17counting_iteratorIjlEEPS9_SG_NS0_5tupleIJPjSI_NS0_16reverse_iteratorISI_EEEEENSH_IJSG_SG_SG_EEES9_SI_JZNS1_25segmented_radix_sort_implINS0_14default_configELb1EPKsPsPKlPlN2at6native12_GLOBAL__N_18offset_tEEE10hipError_tPvRmT1_PNSt15iterator_traitsIS12_E10value_typeET2_T3_PNS13_IS18_E10value_typeET4_jRbjT5_S1E_jjP12ihipStream_tbEUljE_ZNSN_ISO_Lb1ESQ_SR_ST_SU_SY_EESZ_S10_S11_S12_S16_S17_S18_S1B_S1C_jS1D_jS1E_S1E_jjS1G_bEUljE0_EEESZ_S10_S11_S18_S1C_S1E_T6_T7_T9_mT8_S1G_bDpT10_ENKUlT_T0_E_clISt17integral_constantIbLb0EES1U_EEDaS1P_S1Q_EUlS1P_E_NS1_11comp_targetILNS1_3genE4ELNS1_11target_archE910ELNS1_3gpuE8ELNS1_3repE0EEENS1_30default_config_static_selectorELNS0_4arch9wavefront6targetE0EEEvS12_.uses_vcc, 0
	.set _ZN7rocprim17ROCPRIM_400000_NS6detail17trampoline_kernelINS0_13select_configILj256ELj13ELNS0_17block_load_methodE3ELS4_3ELS4_3ELNS0_20block_scan_algorithmE0ELj4294967295EEENS1_25partition_config_selectorILNS1_17partition_subalgoE4EjNS0_10empty_typeEbEEZZNS1_14partition_implILS8_4ELb0ES6_15HIP_vector_typeIjLj2EENS0_17counting_iteratorIjlEEPS9_SG_NS0_5tupleIJPjSI_NS0_16reverse_iteratorISI_EEEEENSH_IJSG_SG_SG_EEES9_SI_JZNS1_25segmented_radix_sort_implINS0_14default_configELb1EPKsPsPKlPlN2at6native12_GLOBAL__N_18offset_tEEE10hipError_tPvRmT1_PNSt15iterator_traitsIS12_E10value_typeET2_T3_PNS13_IS18_E10value_typeET4_jRbjT5_S1E_jjP12ihipStream_tbEUljE_ZNSN_ISO_Lb1ESQ_SR_ST_SU_SY_EESZ_S10_S11_S12_S16_S17_S18_S1B_S1C_jS1D_jS1E_S1E_jjS1G_bEUljE0_EEESZ_S10_S11_S18_S1C_S1E_T6_T7_T9_mT8_S1G_bDpT10_ENKUlT_T0_E_clISt17integral_constantIbLb0EES1U_EEDaS1P_S1Q_EUlS1P_E_NS1_11comp_targetILNS1_3genE4ELNS1_11target_archE910ELNS1_3gpuE8ELNS1_3repE0EEENS1_30default_config_static_selectorELNS0_4arch9wavefront6targetE0EEEvS12_.uses_flat_scratch, 0
	.set _ZN7rocprim17ROCPRIM_400000_NS6detail17trampoline_kernelINS0_13select_configILj256ELj13ELNS0_17block_load_methodE3ELS4_3ELS4_3ELNS0_20block_scan_algorithmE0ELj4294967295EEENS1_25partition_config_selectorILNS1_17partition_subalgoE4EjNS0_10empty_typeEbEEZZNS1_14partition_implILS8_4ELb0ES6_15HIP_vector_typeIjLj2EENS0_17counting_iteratorIjlEEPS9_SG_NS0_5tupleIJPjSI_NS0_16reverse_iteratorISI_EEEEENSH_IJSG_SG_SG_EEES9_SI_JZNS1_25segmented_radix_sort_implINS0_14default_configELb1EPKsPsPKlPlN2at6native12_GLOBAL__N_18offset_tEEE10hipError_tPvRmT1_PNSt15iterator_traitsIS12_E10value_typeET2_T3_PNS13_IS18_E10value_typeET4_jRbjT5_S1E_jjP12ihipStream_tbEUljE_ZNSN_ISO_Lb1ESQ_SR_ST_SU_SY_EESZ_S10_S11_S12_S16_S17_S18_S1B_S1C_jS1D_jS1E_S1E_jjS1G_bEUljE0_EEESZ_S10_S11_S18_S1C_S1E_T6_T7_T9_mT8_S1G_bDpT10_ENKUlT_T0_E_clISt17integral_constantIbLb0EES1U_EEDaS1P_S1Q_EUlS1P_E_NS1_11comp_targetILNS1_3genE4ELNS1_11target_archE910ELNS1_3gpuE8ELNS1_3repE0EEENS1_30default_config_static_selectorELNS0_4arch9wavefront6targetE0EEEvS12_.has_dyn_sized_stack, 0
	.set _ZN7rocprim17ROCPRIM_400000_NS6detail17trampoline_kernelINS0_13select_configILj256ELj13ELNS0_17block_load_methodE3ELS4_3ELS4_3ELNS0_20block_scan_algorithmE0ELj4294967295EEENS1_25partition_config_selectorILNS1_17partition_subalgoE4EjNS0_10empty_typeEbEEZZNS1_14partition_implILS8_4ELb0ES6_15HIP_vector_typeIjLj2EENS0_17counting_iteratorIjlEEPS9_SG_NS0_5tupleIJPjSI_NS0_16reverse_iteratorISI_EEEEENSH_IJSG_SG_SG_EEES9_SI_JZNS1_25segmented_radix_sort_implINS0_14default_configELb1EPKsPsPKlPlN2at6native12_GLOBAL__N_18offset_tEEE10hipError_tPvRmT1_PNSt15iterator_traitsIS12_E10value_typeET2_T3_PNS13_IS18_E10value_typeET4_jRbjT5_S1E_jjP12ihipStream_tbEUljE_ZNSN_ISO_Lb1ESQ_SR_ST_SU_SY_EESZ_S10_S11_S12_S16_S17_S18_S1B_S1C_jS1D_jS1E_S1E_jjS1G_bEUljE0_EEESZ_S10_S11_S18_S1C_S1E_T6_T7_T9_mT8_S1G_bDpT10_ENKUlT_T0_E_clISt17integral_constantIbLb0EES1U_EEDaS1P_S1Q_EUlS1P_E_NS1_11comp_targetILNS1_3genE4ELNS1_11target_archE910ELNS1_3gpuE8ELNS1_3repE0EEENS1_30default_config_static_selectorELNS0_4arch9wavefront6targetE0EEEvS12_.has_recursion, 0
	.set _ZN7rocprim17ROCPRIM_400000_NS6detail17trampoline_kernelINS0_13select_configILj256ELj13ELNS0_17block_load_methodE3ELS4_3ELS4_3ELNS0_20block_scan_algorithmE0ELj4294967295EEENS1_25partition_config_selectorILNS1_17partition_subalgoE4EjNS0_10empty_typeEbEEZZNS1_14partition_implILS8_4ELb0ES6_15HIP_vector_typeIjLj2EENS0_17counting_iteratorIjlEEPS9_SG_NS0_5tupleIJPjSI_NS0_16reverse_iteratorISI_EEEEENSH_IJSG_SG_SG_EEES9_SI_JZNS1_25segmented_radix_sort_implINS0_14default_configELb1EPKsPsPKlPlN2at6native12_GLOBAL__N_18offset_tEEE10hipError_tPvRmT1_PNSt15iterator_traitsIS12_E10value_typeET2_T3_PNS13_IS18_E10value_typeET4_jRbjT5_S1E_jjP12ihipStream_tbEUljE_ZNSN_ISO_Lb1ESQ_SR_ST_SU_SY_EESZ_S10_S11_S12_S16_S17_S18_S1B_S1C_jS1D_jS1E_S1E_jjS1G_bEUljE0_EEESZ_S10_S11_S18_S1C_S1E_T6_T7_T9_mT8_S1G_bDpT10_ENKUlT_T0_E_clISt17integral_constantIbLb0EES1U_EEDaS1P_S1Q_EUlS1P_E_NS1_11comp_targetILNS1_3genE4ELNS1_11target_archE910ELNS1_3gpuE8ELNS1_3repE0EEENS1_30default_config_static_selectorELNS0_4arch9wavefront6targetE0EEEvS12_.has_indirect_call, 0
	.section	.AMDGPU.csdata,"",@progbits
; Kernel info:
; codeLenInByte = 0
; TotalNumSgprs: 0
; NumVgprs: 0
; ScratchSize: 0
; MemoryBound: 0
; FloatMode: 240
; IeeeMode: 1
; LDSByteSize: 0 bytes/workgroup (compile time only)
; SGPRBlocks: 0
; VGPRBlocks: 0
; NumSGPRsForWavesPerEU: 1
; NumVGPRsForWavesPerEU: 1
; NamedBarCnt: 0
; Occupancy: 16
; WaveLimiterHint : 0
; COMPUTE_PGM_RSRC2:SCRATCH_EN: 0
; COMPUTE_PGM_RSRC2:USER_SGPR: 2
; COMPUTE_PGM_RSRC2:TRAP_HANDLER: 0
; COMPUTE_PGM_RSRC2:TGID_X_EN: 1
; COMPUTE_PGM_RSRC2:TGID_Y_EN: 0
; COMPUTE_PGM_RSRC2:TGID_Z_EN: 0
; COMPUTE_PGM_RSRC2:TIDIG_COMP_CNT: 0
	.section	.text._ZN7rocprim17ROCPRIM_400000_NS6detail17trampoline_kernelINS0_13select_configILj256ELj13ELNS0_17block_load_methodE3ELS4_3ELS4_3ELNS0_20block_scan_algorithmE0ELj4294967295EEENS1_25partition_config_selectorILNS1_17partition_subalgoE4EjNS0_10empty_typeEbEEZZNS1_14partition_implILS8_4ELb0ES6_15HIP_vector_typeIjLj2EENS0_17counting_iteratorIjlEEPS9_SG_NS0_5tupleIJPjSI_NS0_16reverse_iteratorISI_EEEEENSH_IJSG_SG_SG_EEES9_SI_JZNS1_25segmented_radix_sort_implINS0_14default_configELb1EPKsPsPKlPlN2at6native12_GLOBAL__N_18offset_tEEE10hipError_tPvRmT1_PNSt15iterator_traitsIS12_E10value_typeET2_T3_PNS13_IS18_E10value_typeET4_jRbjT5_S1E_jjP12ihipStream_tbEUljE_ZNSN_ISO_Lb1ESQ_SR_ST_SU_SY_EESZ_S10_S11_S12_S16_S17_S18_S1B_S1C_jS1D_jS1E_S1E_jjS1G_bEUljE0_EEESZ_S10_S11_S18_S1C_S1E_T6_T7_T9_mT8_S1G_bDpT10_ENKUlT_T0_E_clISt17integral_constantIbLb0EES1U_EEDaS1P_S1Q_EUlS1P_E_NS1_11comp_targetILNS1_3genE3ELNS1_11target_archE908ELNS1_3gpuE7ELNS1_3repE0EEENS1_30default_config_static_selectorELNS0_4arch9wavefront6targetE0EEEvS12_,"axG",@progbits,_ZN7rocprim17ROCPRIM_400000_NS6detail17trampoline_kernelINS0_13select_configILj256ELj13ELNS0_17block_load_methodE3ELS4_3ELS4_3ELNS0_20block_scan_algorithmE0ELj4294967295EEENS1_25partition_config_selectorILNS1_17partition_subalgoE4EjNS0_10empty_typeEbEEZZNS1_14partition_implILS8_4ELb0ES6_15HIP_vector_typeIjLj2EENS0_17counting_iteratorIjlEEPS9_SG_NS0_5tupleIJPjSI_NS0_16reverse_iteratorISI_EEEEENSH_IJSG_SG_SG_EEES9_SI_JZNS1_25segmented_radix_sort_implINS0_14default_configELb1EPKsPsPKlPlN2at6native12_GLOBAL__N_18offset_tEEE10hipError_tPvRmT1_PNSt15iterator_traitsIS12_E10value_typeET2_T3_PNS13_IS18_E10value_typeET4_jRbjT5_S1E_jjP12ihipStream_tbEUljE_ZNSN_ISO_Lb1ESQ_SR_ST_SU_SY_EESZ_S10_S11_S12_S16_S17_S18_S1B_S1C_jS1D_jS1E_S1E_jjS1G_bEUljE0_EEESZ_S10_S11_S18_S1C_S1E_T6_T7_T9_mT8_S1G_bDpT10_ENKUlT_T0_E_clISt17integral_constantIbLb0EES1U_EEDaS1P_S1Q_EUlS1P_E_NS1_11comp_targetILNS1_3genE3ELNS1_11target_archE908ELNS1_3gpuE7ELNS1_3repE0EEENS1_30default_config_static_selectorELNS0_4arch9wavefront6targetE0EEEvS12_,comdat
	.globl	_ZN7rocprim17ROCPRIM_400000_NS6detail17trampoline_kernelINS0_13select_configILj256ELj13ELNS0_17block_load_methodE3ELS4_3ELS4_3ELNS0_20block_scan_algorithmE0ELj4294967295EEENS1_25partition_config_selectorILNS1_17partition_subalgoE4EjNS0_10empty_typeEbEEZZNS1_14partition_implILS8_4ELb0ES6_15HIP_vector_typeIjLj2EENS0_17counting_iteratorIjlEEPS9_SG_NS0_5tupleIJPjSI_NS0_16reverse_iteratorISI_EEEEENSH_IJSG_SG_SG_EEES9_SI_JZNS1_25segmented_radix_sort_implINS0_14default_configELb1EPKsPsPKlPlN2at6native12_GLOBAL__N_18offset_tEEE10hipError_tPvRmT1_PNSt15iterator_traitsIS12_E10value_typeET2_T3_PNS13_IS18_E10value_typeET4_jRbjT5_S1E_jjP12ihipStream_tbEUljE_ZNSN_ISO_Lb1ESQ_SR_ST_SU_SY_EESZ_S10_S11_S12_S16_S17_S18_S1B_S1C_jS1D_jS1E_S1E_jjS1G_bEUljE0_EEESZ_S10_S11_S18_S1C_S1E_T6_T7_T9_mT8_S1G_bDpT10_ENKUlT_T0_E_clISt17integral_constantIbLb0EES1U_EEDaS1P_S1Q_EUlS1P_E_NS1_11comp_targetILNS1_3genE3ELNS1_11target_archE908ELNS1_3gpuE7ELNS1_3repE0EEENS1_30default_config_static_selectorELNS0_4arch9wavefront6targetE0EEEvS12_ ; -- Begin function _ZN7rocprim17ROCPRIM_400000_NS6detail17trampoline_kernelINS0_13select_configILj256ELj13ELNS0_17block_load_methodE3ELS4_3ELS4_3ELNS0_20block_scan_algorithmE0ELj4294967295EEENS1_25partition_config_selectorILNS1_17partition_subalgoE4EjNS0_10empty_typeEbEEZZNS1_14partition_implILS8_4ELb0ES6_15HIP_vector_typeIjLj2EENS0_17counting_iteratorIjlEEPS9_SG_NS0_5tupleIJPjSI_NS0_16reverse_iteratorISI_EEEEENSH_IJSG_SG_SG_EEES9_SI_JZNS1_25segmented_radix_sort_implINS0_14default_configELb1EPKsPsPKlPlN2at6native12_GLOBAL__N_18offset_tEEE10hipError_tPvRmT1_PNSt15iterator_traitsIS12_E10value_typeET2_T3_PNS13_IS18_E10value_typeET4_jRbjT5_S1E_jjP12ihipStream_tbEUljE_ZNSN_ISO_Lb1ESQ_SR_ST_SU_SY_EESZ_S10_S11_S12_S16_S17_S18_S1B_S1C_jS1D_jS1E_S1E_jjS1G_bEUljE0_EEESZ_S10_S11_S18_S1C_S1E_T6_T7_T9_mT8_S1G_bDpT10_ENKUlT_T0_E_clISt17integral_constantIbLb0EES1U_EEDaS1P_S1Q_EUlS1P_E_NS1_11comp_targetILNS1_3genE3ELNS1_11target_archE908ELNS1_3gpuE7ELNS1_3repE0EEENS1_30default_config_static_selectorELNS0_4arch9wavefront6targetE0EEEvS12_
	.p2align	8
	.type	_ZN7rocprim17ROCPRIM_400000_NS6detail17trampoline_kernelINS0_13select_configILj256ELj13ELNS0_17block_load_methodE3ELS4_3ELS4_3ELNS0_20block_scan_algorithmE0ELj4294967295EEENS1_25partition_config_selectorILNS1_17partition_subalgoE4EjNS0_10empty_typeEbEEZZNS1_14partition_implILS8_4ELb0ES6_15HIP_vector_typeIjLj2EENS0_17counting_iteratorIjlEEPS9_SG_NS0_5tupleIJPjSI_NS0_16reverse_iteratorISI_EEEEENSH_IJSG_SG_SG_EEES9_SI_JZNS1_25segmented_radix_sort_implINS0_14default_configELb1EPKsPsPKlPlN2at6native12_GLOBAL__N_18offset_tEEE10hipError_tPvRmT1_PNSt15iterator_traitsIS12_E10value_typeET2_T3_PNS13_IS18_E10value_typeET4_jRbjT5_S1E_jjP12ihipStream_tbEUljE_ZNSN_ISO_Lb1ESQ_SR_ST_SU_SY_EESZ_S10_S11_S12_S16_S17_S18_S1B_S1C_jS1D_jS1E_S1E_jjS1G_bEUljE0_EEESZ_S10_S11_S18_S1C_S1E_T6_T7_T9_mT8_S1G_bDpT10_ENKUlT_T0_E_clISt17integral_constantIbLb0EES1U_EEDaS1P_S1Q_EUlS1P_E_NS1_11comp_targetILNS1_3genE3ELNS1_11target_archE908ELNS1_3gpuE7ELNS1_3repE0EEENS1_30default_config_static_selectorELNS0_4arch9wavefront6targetE0EEEvS12_,@function
_ZN7rocprim17ROCPRIM_400000_NS6detail17trampoline_kernelINS0_13select_configILj256ELj13ELNS0_17block_load_methodE3ELS4_3ELS4_3ELNS0_20block_scan_algorithmE0ELj4294967295EEENS1_25partition_config_selectorILNS1_17partition_subalgoE4EjNS0_10empty_typeEbEEZZNS1_14partition_implILS8_4ELb0ES6_15HIP_vector_typeIjLj2EENS0_17counting_iteratorIjlEEPS9_SG_NS0_5tupleIJPjSI_NS0_16reverse_iteratorISI_EEEEENSH_IJSG_SG_SG_EEES9_SI_JZNS1_25segmented_radix_sort_implINS0_14default_configELb1EPKsPsPKlPlN2at6native12_GLOBAL__N_18offset_tEEE10hipError_tPvRmT1_PNSt15iterator_traitsIS12_E10value_typeET2_T3_PNS13_IS18_E10value_typeET4_jRbjT5_S1E_jjP12ihipStream_tbEUljE_ZNSN_ISO_Lb1ESQ_SR_ST_SU_SY_EESZ_S10_S11_S12_S16_S17_S18_S1B_S1C_jS1D_jS1E_S1E_jjS1G_bEUljE0_EEESZ_S10_S11_S18_S1C_S1E_T6_T7_T9_mT8_S1G_bDpT10_ENKUlT_T0_E_clISt17integral_constantIbLb0EES1U_EEDaS1P_S1Q_EUlS1P_E_NS1_11comp_targetILNS1_3genE3ELNS1_11target_archE908ELNS1_3gpuE7ELNS1_3repE0EEENS1_30default_config_static_selectorELNS0_4arch9wavefront6targetE0EEEvS12_: ; @_ZN7rocprim17ROCPRIM_400000_NS6detail17trampoline_kernelINS0_13select_configILj256ELj13ELNS0_17block_load_methodE3ELS4_3ELS4_3ELNS0_20block_scan_algorithmE0ELj4294967295EEENS1_25partition_config_selectorILNS1_17partition_subalgoE4EjNS0_10empty_typeEbEEZZNS1_14partition_implILS8_4ELb0ES6_15HIP_vector_typeIjLj2EENS0_17counting_iteratorIjlEEPS9_SG_NS0_5tupleIJPjSI_NS0_16reverse_iteratorISI_EEEEENSH_IJSG_SG_SG_EEES9_SI_JZNS1_25segmented_radix_sort_implINS0_14default_configELb1EPKsPsPKlPlN2at6native12_GLOBAL__N_18offset_tEEE10hipError_tPvRmT1_PNSt15iterator_traitsIS12_E10value_typeET2_T3_PNS13_IS18_E10value_typeET4_jRbjT5_S1E_jjP12ihipStream_tbEUljE_ZNSN_ISO_Lb1ESQ_SR_ST_SU_SY_EESZ_S10_S11_S12_S16_S17_S18_S1B_S1C_jS1D_jS1E_S1E_jjS1G_bEUljE0_EEESZ_S10_S11_S18_S1C_S1E_T6_T7_T9_mT8_S1G_bDpT10_ENKUlT_T0_E_clISt17integral_constantIbLb0EES1U_EEDaS1P_S1Q_EUlS1P_E_NS1_11comp_targetILNS1_3genE3ELNS1_11target_archE908ELNS1_3gpuE7ELNS1_3repE0EEENS1_30default_config_static_selectorELNS0_4arch9wavefront6targetE0EEEvS12_
; %bb.0:
	.section	.rodata,"a",@progbits
	.p2align	6, 0x0
	.amdhsa_kernel _ZN7rocprim17ROCPRIM_400000_NS6detail17trampoline_kernelINS0_13select_configILj256ELj13ELNS0_17block_load_methodE3ELS4_3ELS4_3ELNS0_20block_scan_algorithmE0ELj4294967295EEENS1_25partition_config_selectorILNS1_17partition_subalgoE4EjNS0_10empty_typeEbEEZZNS1_14partition_implILS8_4ELb0ES6_15HIP_vector_typeIjLj2EENS0_17counting_iteratorIjlEEPS9_SG_NS0_5tupleIJPjSI_NS0_16reverse_iteratorISI_EEEEENSH_IJSG_SG_SG_EEES9_SI_JZNS1_25segmented_radix_sort_implINS0_14default_configELb1EPKsPsPKlPlN2at6native12_GLOBAL__N_18offset_tEEE10hipError_tPvRmT1_PNSt15iterator_traitsIS12_E10value_typeET2_T3_PNS13_IS18_E10value_typeET4_jRbjT5_S1E_jjP12ihipStream_tbEUljE_ZNSN_ISO_Lb1ESQ_SR_ST_SU_SY_EESZ_S10_S11_S12_S16_S17_S18_S1B_S1C_jS1D_jS1E_S1E_jjS1G_bEUljE0_EEESZ_S10_S11_S18_S1C_S1E_T6_T7_T9_mT8_S1G_bDpT10_ENKUlT_T0_E_clISt17integral_constantIbLb0EES1U_EEDaS1P_S1Q_EUlS1P_E_NS1_11comp_targetILNS1_3genE3ELNS1_11target_archE908ELNS1_3gpuE7ELNS1_3repE0EEENS1_30default_config_static_selectorELNS0_4arch9wavefront6targetE0EEEvS12_
		.amdhsa_group_segment_fixed_size 0
		.amdhsa_private_segment_fixed_size 0
		.amdhsa_kernarg_size 176
		.amdhsa_user_sgpr_count 2
		.amdhsa_user_sgpr_dispatch_ptr 0
		.amdhsa_user_sgpr_queue_ptr 0
		.amdhsa_user_sgpr_kernarg_segment_ptr 1
		.amdhsa_user_sgpr_dispatch_id 0
		.amdhsa_user_sgpr_kernarg_preload_length 0
		.amdhsa_user_sgpr_kernarg_preload_offset 0
		.amdhsa_user_sgpr_private_segment_size 0
		.amdhsa_wavefront_size32 1
		.amdhsa_uses_dynamic_stack 0
		.amdhsa_enable_private_segment 0
		.amdhsa_system_sgpr_workgroup_id_x 1
		.amdhsa_system_sgpr_workgroup_id_y 0
		.amdhsa_system_sgpr_workgroup_id_z 0
		.amdhsa_system_sgpr_workgroup_info 0
		.amdhsa_system_vgpr_workitem_id 0
		.amdhsa_next_free_vgpr 1
		.amdhsa_next_free_sgpr 1
		.amdhsa_named_barrier_count 0
		.amdhsa_reserve_vcc 0
		.amdhsa_float_round_mode_32 0
		.amdhsa_float_round_mode_16_64 0
		.amdhsa_float_denorm_mode_32 3
		.amdhsa_float_denorm_mode_16_64 3
		.amdhsa_fp16_overflow 0
		.amdhsa_memory_ordered 1
		.amdhsa_forward_progress 1
		.amdhsa_inst_pref_size 0
		.amdhsa_round_robin_scheduling 0
		.amdhsa_exception_fp_ieee_invalid_op 0
		.amdhsa_exception_fp_denorm_src 0
		.amdhsa_exception_fp_ieee_div_zero 0
		.amdhsa_exception_fp_ieee_overflow 0
		.amdhsa_exception_fp_ieee_underflow 0
		.amdhsa_exception_fp_ieee_inexact 0
		.amdhsa_exception_int_div_zero 0
	.end_amdhsa_kernel
	.section	.text._ZN7rocprim17ROCPRIM_400000_NS6detail17trampoline_kernelINS0_13select_configILj256ELj13ELNS0_17block_load_methodE3ELS4_3ELS4_3ELNS0_20block_scan_algorithmE0ELj4294967295EEENS1_25partition_config_selectorILNS1_17partition_subalgoE4EjNS0_10empty_typeEbEEZZNS1_14partition_implILS8_4ELb0ES6_15HIP_vector_typeIjLj2EENS0_17counting_iteratorIjlEEPS9_SG_NS0_5tupleIJPjSI_NS0_16reverse_iteratorISI_EEEEENSH_IJSG_SG_SG_EEES9_SI_JZNS1_25segmented_radix_sort_implINS0_14default_configELb1EPKsPsPKlPlN2at6native12_GLOBAL__N_18offset_tEEE10hipError_tPvRmT1_PNSt15iterator_traitsIS12_E10value_typeET2_T3_PNS13_IS18_E10value_typeET4_jRbjT5_S1E_jjP12ihipStream_tbEUljE_ZNSN_ISO_Lb1ESQ_SR_ST_SU_SY_EESZ_S10_S11_S12_S16_S17_S18_S1B_S1C_jS1D_jS1E_S1E_jjS1G_bEUljE0_EEESZ_S10_S11_S18_S1C_S1E_T6_T7_T9_mT8_S1G_bDpT10_ENKUlT_T0_E_clISt17integral_constantIbLb0EES1U_EEDaS1P_S1Q_EUlS1P_E_NS1_11comp_targetILNS1_3genE3ELNS1_11target_archE908ELNS1_3gpuE7ELNS1_3repE0EEENS1_30default_config_static_selectorELNS0_4arch9wavefront6targetE0EEEvS12_,"axG",@progbits,_ZN7rocprim17ROCPRIM_400000_NS6detail17trampoline_kernelINS0_13select_configILj256ELj13ELNS0_17block_load_methodE3ELS4_3ELS4_3ELNS0_20block_scan_algorithmE0ELj4294967295EEENS1_25partition_config_selectorILNS1_17partition_subalgoE4EjNS0_10empty_typeEbEEZZNS1_14partition_implILS8_4ELb0ES6_15HIP_vector_typeIjLj2EENS0_17counting_iteratorIjlEEPS9_SG_NS0_5tupleIJPjSI_NS0_16reverse_iteratorISI_EEEEENSH_IJSG_SG_SG_EEES9_SI_JZNS1_25segmented_radix_sort_implINS0_14default_configELb1EPKsPsPKlPlN2at6native12_GLOBAL__N_18offset_tEEE10hipError_tPvRmT1_PNSt15iterator_traitsIS12_E10value_typeET2_T3_PNS13_IS18_E10value_typeET4_jRbjT5_S1E_jjP12ihipStream_tbEUljE_ZNSN_ISO_Lb1ESQ_SR_ST_SU_SY_EESZ_S10_S11_S12_S16_S17_S18_S1B_S1C_jS1D_jS1E_S1E_jjS1G_bEUljE0_EEESZ_S10_S11_S18_S1C_S1E_T6_T7_T9_mT8_S1G_bDpT10_ENKUlT_T0_E_clISt17integral_constantIbLb0EES1U_EEDaS1P_S1Q_EUlS1P_E_NS1_11comp_targetILNS1_3genE3ELNS1_11target_archE908ELNS1_3gpuE7ELNS1_3repE0EEENS1_30default_config_static_selectorELNS0_4arch9wavefront6targetE0EEEvS12_,comdat
.Lfunc_end846:
	.size	_ZN7rocprim17ROCPRIM_400000_NS6detail17trampoline_kernelINS0_13select_configILj256ELj13ELNS0_17block_load_methodE3ELS4_3ELS4_3ELNS0_20block_scan_algorithmE0ELj4294967295EEENS1_25partition_config_selectorILNS1_17partition_subalgoE4EjNS0_10empty_typeEbEEZZNS1_14partition_implILS8_4ELb0ES6_15HIP_vector_typeIjLj2EENS0_17counting_iteratorIjlEEPS9_SG_NS0_5tupleIJPjSI_NS0_16reverse_iteratorISI_EEEEENSH_IJSG_SG_SG_EEES9_SI_JZNS1_25segmented_radix_sort_implINS0_14default_configELb1EPKsPsPKlPlN2at6native12_GLOBAL__N_18offset_tEEE10hipError_tPvRmT1_PNSt15iterator_traitsIS12_E10value_typeET2_T3_PNS13_IS18_E10value_typeET4_jRbjT5_S1E_jjP12ihipStream_tbEUljE_ZNSN_ISO_Lb1ESQ_SR_ST_SU_SY_EESZ_S10_S11_S12_S16_S17_S18_S1B_S1C_jS1D_jS1E_S1E_jjS1G_bEUljE0_EEESZ_S10_S11_S18_S1C_S1E_T6_T7_T9_mT8_S1G_bDpT10_ENKUlT_T0_E_clISt17integral_constantIbLb0EES1U_EEDaS1P_S1Q_EUlS1P_E_NS1_11comp_targetILNS1_3genE3ELNS1_11target_archE908ELNS1_3gpuE7ELNS1_3repE0EEENS1_30default_config_static_selectorELNS0_4arch9wavefront6targetE0EEEvS12_, .Lfunc_end846-_ZN7rocprim17ROCPRIM_400000_NS6detail17trampoline_kernelINS0_13select_configILj256ELj13ELNS0_17block_load_methodE3ELS4_3ELS4_3ELNS0_20block_scan_algorithmE0ELj4294967295EEENS1_25partition_config_selectorILNS1_17partition_subalgoE4EjNS0_10empty_typeEbEEZZNS1_14partition_implILS8_4ELb0ES6_15HIP_vector_typeIjLj2EENS0_17counting_iteratorIjlEEPS9_SG_NS0_5tupleIJPjSI_NS0_16reverse_iteratorISI_EEEEENSH_IJSG_SG_SG_EEES9_SI_JZNS1_25segmented_radix_sort_implINS0_14default_configELb1EPKsPsPKlPlN2at6native12_GLOBAL__N_18offset_tEEE10hipError_tPvRmT1_PNSt15iterator_traitsIS12_E10value_typeET2_T3_PNS13_IS18_E10value_typeET4_jRbjT5_S1E_jjP12ihipStream_tbEUljE_ZNSN_ISO_Lb1ESQ_SR_ST_SU_SY_EESZ_S10_S11_S12_S16_S17_S18_S1B_S1C_jS1D_jS1E_S1E_jjS1G_bEUljE0_EEESZ_S10_S11_S18_S1C_S1E_T6_T7_T9_mT8_S1G_bDpT10_ENKUlT_T0_E_clISt17integral_constantIbLb0EES1U_EEDaS1P_S1Q_EUlS1P_E_NS1_11comp_targetILNS1_3genE3ELNS1_11target_archE908ELNS1_3gpuE7ELNS1_3repE0EEENS1_30default_config_static_selectorELNS0_4arch9wavefront6targetE0EEEvS12_
                                        ; -- End function
	.set _ZN7rocprim17ROCPRIM_400000_NS6detail17trampoline_kernelINS0_13select_configILj256ELj13ELNS0_17block_load_methodE3ELS4_3ELS4_3ELNS0_20block_scan_algorithmE0ELj4294967295EEENS1_25partition_config_selectorILNS1_17partition_subalgoE4EjNS0_10empty_typeEbEEZZNS1_14partition_implILS8_4ELb0ES6_15HIP_vector_typeIjLj2EENS0_17counting_iteratorIjlEEPS9_SG_NS0_5tupleIJPjSI_NS0_16reverse_iteratorISI_EEEEENSH_IJSG_SG_SG_EEES9_SI_JZNS1_25segmented_radix_sort_implINS0_14default_configELb1EPKsPsPKlPlN2at6native12_GLOBAL__N_18offset_tEEE10hipError_tPvRmT1_PNSt15iterator_traitsIS12_E10value_typeET2_T3_PNS13_IS18_E10value_typeET4_jRbjT5_S1E_jjP12ihipStream_tbEUljE_ZNSN_ISO_Lb1ESQ_SR_ST_SU_SY_EESZ_S10_S11_S12_S16_S17_S18_S1B_S1C_jS1D_jS1E_S1E_jjS1G_bEUljE0_EEESZ_S10_S11_S18_S1C_S1E_T6_T7_T9_mT8_S1G_bDpT10_ENKUlT_T0_E_clISt17integral_constantIbLb0EES1U_EEDaS1P_S1Q_EUlS1P_E_NS1_11comp_targetILNS1_3genE3ELNS1_11target_archE908ELNS1_3gpuE7ELNS1_3repE0EEENS1_30default_config_static_selectorELNS0_4arch9wavefront6targetE0EEEvS12_.num_vgpr, 0
	.set _ZN7rocprim17ROCPRIM_400000_NS6detail17trampoline_kernelINS0_13select_configILj256ELj13ELNS0_17block_load_methodE3ELS4_3ELS4_3ELNS0_20block_scan_algorithmE0ELj4294967295EEENS1_25partition_config_selectorILNS1_17partition_subalgoE4EjNS0_10empty_typeEbEEZZNS1_14partition_implILS8_4ELb0ES6_15HIP_vector_typeIjLj2EENS0_17counting_iteratorIjlEEPS9_SG_NS0_5tupleIJPjSI_NS0_16reverse_iteratorISI_EEEEENSH_IJSG_SG_SG_EEES9_SI_JZNS1_25segmented_radix_sort_implINS0_14default_configELb1EPKsPsPKlPlN2at6native12_GLOBAL__N_18offset_tEEE10hipError_tPvRmT1_PNSt15iterator_traitsIS12_E10value_typeET2_T3_PNS13_IS18_E10value_typeET4_jRbjT5_S1E_jjP12ihipStream_tbEUljE_ZNSN_ISO_Lb1ESQ_SR_ST_SU_SY_EESZ_S10_S11_S12_S16_S17_S18_S1B_S1C_jS1D_jS1E_S1E_jjS1G_bEUljE0_EEESZ_S10_S11_S18_S1C_S1E_T6_T7_T9_mT8_S1G_bDpT10_ENKUlT_T0_E_clISt17integral_constantIbLb0EES1U_EEDaS1P_S1Q_EUlS1P_E_NS1_11comp_targetILNS1_3genE3ELNS1_11target_archE908ELNS1_3gpuE7ELNS1_3repE0EEENS1_30default_config_static_selectorELNS0_4arch9wavefront6targetE0EEEvS12_.num_agpr, 0
	.set _ZN7rocprim17ROCPRIM_400000_NS6detail17trampoline_kernelINS0_13select_configILj256ELj13ELNS0_17block_load_methodE3ELS4_3ELS4_3ELNS0_20block_scan_algorithmE0ELj4294967295EEENS1_25partition_config_selectorILNS1_17partition_subalgoE4EjNS0_10empty_typeEbEEZZNS1_14partition_implILS8_4ELb0ES6_15HIP_vector_typeIjLj2EENS0_17counting_iteratorIjlEEPS9_SG_NS0_5tupleIJPjSI_NS0_16reverse_iteratorISI_EEEEENSH_IJSG_SG_SG_EEES9_SI_JZNS1_25segmented_radix_sort_implINS0_14default_configELb1EPKsPsPKlPlN2at6native12_GLOBAL__N_18offset_tEEE10hipError_tPvRmT1_PNSt15iterator_traitsIS12_E10value_typeET2_T3_PNS13_IS18_E10value_typeET4_jRbjT5_S1E_jjP12ihipStream_tbEUljE_ZNSN_ISO_Lb1ESQ_SR_ST_SU_SY_EESZ_S10_S11_S12_S16_S17_S18_S1B_S1C_jS1D_jS1E_S1E_jjS1G_bEUljE0_EEESZ_S10_S11_S18_S1C_S1E_T6_T7_T9_mT8_S1G_bDpT10_ENKUlT_T0_E_clISt17integral_constantIbLb0EES1U_EEDaS1P_S1Q_EUlS1P_E_NS1_11comp_targetILNS1_3genE3ELNS1_11target_archE908ELNS1_3gpuE7ELNS1_3repE0EEENS1_30default_config_static_selectorELNS0_4arch9wavefront6targetE0EEEvS12_.numbered_sgpr, 0
	.set _ZN7rocprim17ROCPRIM_400000_NS6detail17trampoline_kernelINS0_13select_configILj256ELj13ELNS0_17block_load_methodE3ELS4_3ELS4_3ELNS0_20block_scan_algorithmE0ELj4294967295EEENS1_25partition_config_selectorILNS1_17partition_subalgoE4EjNS0_10empty_typeEbEEZZNS1_14partition_implILS8_4ELb0ES6_15HIP_vector_typeIjLj2EENS0_17counting_iteratorIjlEEPS9_SG_NS0_5tupleIJPjSI_NS0_16reverse_iteratorISI_EEEEENSH_IJSG_SG_SG_EEES9_SI_JZNS1_25segmented_radix_sort_implINS0_14default_configELb1EPKsPsPKlPlN2at6native12_GLOBAL__N_18offset_tEEE10hipError_tPvRmT1_PNSt15iterator_traitsIS12_E10value_typeET2_T3_PNS13_IS18_E10value_typeET4_jRbjT5_S1E_jjP12ihipStream_tbEUljE_ZNSN_ISO_Lb1ESQ_SR_ST_SU_SY_EESZ_S10_S11_S12_S16_S17_S18_S1B_S1C_jS1D_jS1E_S1E_jjS1G_bEUljE0_EEESZ_S10_S11_S18_S1C_S1E_T6_T7_T9_mT8_S1G_bDpT10_ENKUlT_T0_E_clISt17integral_constantIbLb0EES1U_EEDaS1P_S1Q_EUlS1P_E_NS1_11comp_targetILNS1_3genE3ELNS1_11target_archE908ELNS1_3gpuE7ELNS1_3repE0EEENS1_30default_config_static_selectorELNS0_4arch9wavefront6targetE0EEEvS12_.num_named_barrier, 0
	.set _ZN7rocprim17ROCPRIM_400000_NS6detail17trampoline_kernelINS0_13select_configILj256ELj13ELNS0_17block_load_methodE3ELS4_3ELS4_3ELNS0_20block_scan_algorithmE0ELj4294967295EEENS1_25partition_config_selectorILNS1_17partition_subalgoE4EjNS0_10empty_typeEbEEZZNS1_14partition_implILS8_4ELb0ES6_15HIP_vector_typeIjLj2EENS0_17counting_iteratorIjlEEPS9_SG_NS0_5tupleIJPjSI_NS0_16reverse_iteratorISI_EEEEENSH_IJSG_SG_SG_EEES9_SI_JZNS1_25segmented_radix_sort_implINS0_14default_configELb1EPKsPsPKlPlN2at6native12_GLOBAL__N_18offset_tEEE10hipError_tPvRmT1_PNSt15iterator_traitsIS12_E10value_typeET2_T3_PNS13_IS18_E10value_typeET4_jRbjT5_S1E_jjP12ihipStream_tbEUljE_ZNSN_ISO_Lb1ESQ_SR_ST_SU_SY_EESZ_S10_S11_S12_S16_S17_S18_S1B_S1C_jS1D_jS1E_S1E_jjS1G_bEUljE0_EEESZ_S10_S11_S18_S1C_S1E_T6_T7_T9_mT8_S1G_bDpT10_ENKUlT_T0_E_clISt17integral_constantIbLb0EES1U_EEDaS1P_S1Q_EUlS1P_E_NS1_11comp_targetILNS1_3genE3ELNS1_11target_archE908ELNS1_3gpuE7ELNS1_3repE0EEENS1_30default_config_static_selectorELNS0_4arch9wavefront6targetE0EEEvS12_.private_seg_size, 0
	.set _ZN7rocprim17ROCPRIM_400000_NS6detail17trampoline_kernelINS0_13select_configILj256ELj13ELNS0_17block_load_methodE3ELS4_3ELS4_3ELNS0_20block_scan_algorithmE0ELj4294967295EEENS1_25partition_config_selectorILNS1_17partition_subalgoE4EjNS0_10empty_typeEbEEZZNS1_14partition_implILS8_4ELb0ES6_15HIP_vector_typeIjLj2EENS0_17counting_iteratorIjlEEPS9_SG_NS0_5tupleIJPjSI_NS0_16reverse_iteratorISI_EEEEENSH_IJSG_SG_SG_EEES9_SI_JZNS1_25segmented_radix_sort_implINS0_14default_configELb1EPKsPsPKlPlN2at6native12_GLOBAL__N_18offset_tEEE10hipError_tPvRmT1_PNSt15iterator_traitsIS12_E10value_typeET2_T3_PNS13_IS18_E10value_typeET4_jRbjT5_S1E_jjP12ihipStream_tbEUljE_ZNSN_ISO_Lb1ESQ_SR_ST_SU_SY_EESZ_S10_S11_S12_S16_S17_S18_S1B_S1C_jS1D_jS1E_S1E_jjS1G_bEUljE0_EEESZ_S10_S11_S18_S1C_S1E_T6_T7_T9_mT8_S1G_bDpT10_ENKUlT_T0_E_clISt17integral_constantIbLb0EES1U_EEDaS1P_S1Q_EUlS1P_E_NS1_11comp_targetILNS1_3genE3ELNS1_11target_archE908ELNS1_3gpuE7ELNS1_3repE0EEENS1_30default_config_static_selectorELNS0_4arch9wavefront6targetE0EEEvS12_.uses_vcc, 0
	.set _ZN7rocprim17ROCPRIM_400000_NS6detail17trampoline_kernelINS0_13select_configILj256ELj13ELNS0_17block_load_methodE3ELS4_3ELS4_3ELNS0_20block_scan_algorithmE0ELj4294967295EEENS1_25partition_config_selectorILNS1_17partition_subalgoE4EjNS0_10empty_typeEbEEZZNS1_14partition_implILS8_4ELb0ES6_15HIP_vector_typeIjLj2EENS0_17counting_iteratorIjlEEPS9_SG_NS0_5tupleIJPjSI_NS0_16reverse_iteratorISI_EEEEENSH_IJSG_SG_SG_EEES9_SI_JZNS1_25segmented_radix_sort_implINS0_14default_configELb1EPKsPsPKlPlN2at6native12_GLOBAL__N_18offset_tEEE10hipError_tPvRmT1_PNSt15iterator_traitsIS12_E10value_typeET2_T3_PNS13_IS18_E10value_typeET4_jRbjT5_S1E_jjP12ihipStream_tbEUljE_ZNSN_ISO_Lb1ESQ_SR_ST_SU_SY_EESZ_S10_S11_S12_S16_S17_S18_S1B_S1C_jS1D_jS1E_S1E_jjS1G_bEUljE0_EEESZ_S10_S11_S18_S1C_S1E_T6_T7_T9_mT8_S1G_bDpT10_ENKUlT_T0_E_clISt17integral_constantIbLb0EES1U_EEDaS1P_S1Q_EUlS1P_E_NS1_11comp_targetILNS1_3genE3ELNS1_11target_archE908ELNS1_3gpuE7ELNS1_3repE0EEENS1_30default_config_static_selectorELNS0_4arch9wavefront6targetE0EEEvS12_.uses_flat_scratch, 0
	.set _ZN7rocprim17ROCPRIM_400000_NS6detail17trampoline_kernelINS0_13select_configILj256ELj13ELNS0_17block_load_methodE3ELS4_3ELS4_3ELNS0_20block_scan_algorithmE0ELj4294967295EEENS1_25partition_config_selectorILNS1_17partition_subalgoE4EjNS0_10empty_typeEbEEZZNS1_14partition_implILS8_4ELb0ES6_15HIP_vector_typeIjLj2EENS0_17counting_iteratorIjlEEPS9_SG_NS0_5tupleIJPjSI_NS0_16reverse_iteratorISI_EEEEENSH_IJSG_SG_SG_EEES9_SI_JZNS1_25segmented_radix_sort_implINS0_14default_configELb1EPKsPsPKlPlN2at6native12_GLOBAL__N_18offset_tEEE10hipError_tPvRmT1_PNSt15iterator_traitsIS12_E10value_typeET2_T3_PNS13_IS18_E10value_typeET4_jRbjT5_S1E_jjP12ihipStream_tbEUljE_ZNSN_ISO_Lb1ESQ_SR_ST_SU_SY_EESZ_S10_S11_S12_S16_S17_S18_S1B_S1C_jS1D_jS1E_S1E_jjS1G_bEUljE0_EEESZ_S10_S11_S18_S1C_S1E_T6_T7_T9_mT8_S1G_bDpT10_ENKUlT_T0_E_clISt17integral_constantIbLb0EES1U_EEDaS1P_S1Q_EUlS1P_E_NS1_11comp_targetILNS1_3genE3ELNS1_11target_archE908ELNS1_3gpuE7ELNS1_3repE0EEENS1_30default_config_static_selectorELNS0_4arch9wavefront6targetE0EEEvS12_.has_dyn_sized_stack, 0
	.set _ZN7rocprim17ROCPRIM_400000_NS6detail17trampoline_kernelINS0_13select_configILj256ELj13ELNS0_17block_load_methodE3ELS4_3ELS4_3ELNS0_20block_scan_algorithmE0ELj4294967295EEENS1_25partition_config_selectorILNS1_17partition_subalgoE4EjNS0_10empty_typeEbEEZZNS1_14partition_implILS8_4ELb0ES6_15HIP_vector_typeIjLj2EENS0_17counting_iteratorIjlEEPS9_SG_NS0_5tupleIJPjSI_NS0_16reverse_iteratorISI_EEEEENSH_IJSG_SG_SG_EEES9_SI_JZNS1_25segmented_radix_sort_implINS0_14default_configELb1EPKsPsPKlPlN2at6native12_GLOBAL__N_18offset_tEEE10hipError_tPvRmT1_PNSt15iterator_traitsIS12_E10value_typeET2_T3_PNS13_IS18_E10value_typeET4_jRbjT5_S1E_jjP12ihipStream_tbEUljE_ZNSN_ISO_Lb1ESQ_SR_ST_SU_SY_EESZ_S10_S11_S12_S16_S17_S18_S1B_S1C_jS1D_jS1E_S1E_jjS1G_bEUljE0_EEESZ_S10_S11_S18_S1C_S1E_T6_T7_T9_mT8_S1G_bDpT10_ENKUlT_T0_E_clISt17integral_constantIbLb0EES1U_EEDaS1P_S1Q_EUlS1P_E_NS1_11comp_targetILNS1_3genE3ELNS1_11target_archE908ELNS1_3gpuE7ELNS1_3repE0EEENS1_30default_config_static_selectorELNS0_4arch9wavefront6targetE0EEEvS12_.has_recursion, 0
	.set _ZN7rocprim17ROCPRIM_400000_NS6detail17trampoline_kernelINS0_13select_configILj256ELj13ELNS0_17block_load_methodE3ELS4_3ELS4_3ELNS0_20block_scan_algorithmE0ELj4294967295EEENS1_25partition_config_selectorILNS1_17partition_subalgoE4EjNS0_10empty_typeEbEEZZNS1_14partition_implILS8_4ELb0ES6_15HIP_vector_typeIjLj2EENS0_17counting_iteratorIjlEEPS9_SG_NS0_5tupleIJPjSI_NS0_16reverse_iteratorISI_EEEEENSH_IJSG_SG_SG_EEES9_SI_JZNS1_25segmented_radix_sort_implINS0_14default_configELb1EPKsPsPKlPlN2at6native12_GLOBAL__N_18offset_tEEE10hipError_tPvRmT1_PNSt15iterator_traitsIS12_E10value_typeET2_T3_PNS13_IS18_E10value_typeET4_jRbjT5_S1E_jjP12ihipStream_tbEUljE_ZNSN_ISO_Lb1ESQ_SR_ST_SU_SY_EESZ_S10_S11_S12_S16_S17_S18_S1B_S1C_jS1D_jS1E_S1E_jjS1G_bEUljE0_EEESZ_S10_S11_S18_S1C_S1E_T6_T7_T9_mT8_S1G_bDpT10_ENKUlT_T0_E_clISt17integral_constantIbLb0EES1U_EEDaS1P_S1Q_EUlS1P_E_NS1_11comp_targetILNS1_3genE3ELNS1_11target_archE908ELNS1_3gpuE7ELNS1_3repE0EEENS1_30default_config_static_selectorELNS0_4arch9wavefront6targetE0EEEvS12_.has_indirect_call, 0
	.section	.AMDGPU.csdata,"",@progbits
; Kernel info:
; codeLenInByte = 0
; TotalNumSgprs: 0
; NumVgprs: 0
; ScratchSize: 0
; MemoryBound: 0
; FloatMode: 240
; IeeeMode: 1
; LDSByteSize: 0 bytes/workgroup (compile time only)
; SGPRBlocks: 0
; VGPRBlocks: 0
; NumSGPRsForWavesPerEU: 1
; NumVGPRsForWavesPerEU: 1
; NamedBarCnt: 0
; Occupancy: 16
; WaveLimiterHint : 0
; COMPUTE_PGM_RSRC2:SCRATCH_EN: 0
; COMPUTE_PGM_RSRC2:USER_SGPR: 2
; COMPUTE_PGM_RSRC2:TRAP_HANDLER: 0
; COMPUTE_PGM_RSRC2:TGID_X_EN: 1
; COMPUTE_PGM_RSRC2:TGID_Y_EN: 0
; COMPUTE_PGM_RSRC2:TGID_Z_EN: 0
; COMPUTE_PGM_RSRC2:TIDIG_COMP_CNT: 0
	.section	.text._ZN7rocprim17ROCPRIM_400000_NS6detail17trampoline_kernelINS0_13select_configILj256ELj13ELNS0_17block_load_methodE3ELS4_3ELS4_3ELNS0_20block_scan_algorithmE0ELj4294967295EEENS1_25partition_config_selectorILNS1_17partition_subalgoE4EjNS0_10empty_typeEbEEZZNS1_14partition_implILS8_4ELb0ES6_15HIP_vector_typeIjLj2EENS0_17counting_iteratorIjlEEPS9_SG_NS0_5tupleIJPjSI_NS0_16reverse_iteratorISI_EEEEENSH_IJSG_SG_SG_EEES9_SI_JZNS1_25segmented_radix_sort_implINS0_14default_configELb1EPKsPsPKlPlN2at6native12_GLOBAL__N_18offset_tEEE10hipError_tPvRmT1_PNSt15iterator_traitsIS12_E10value_typeET2_T3_PNS13_IS18_E10value_typeET4_jRbjT5_S1E_jjP12ihipStream_tbEUljE_ZNSN_ISO_Lb1ESQ_SR_ST_SU_SY_EESZ_S10_S11_S12_S16_S17_S18_S1B_S1C_jS1D_jS1E_S1E_jjS1G_bEUljE0_EEESZ_S10_S11_S18_S1C_S1E_T6_T7_T9_mT8_S1G_bDpT10_ENKUlT_T0_E_clISt17integral_constantIbLb0EES1U_EEDaS1P_S1Q_EUlS1P_E_NS1_11comp_targetILNS1_3genE2ELNS1_11target_archE906ELNS1_3gpuE6ELNS1_3repE0EEENS1_30default_config_static_selectorELNS0_4arch9wavefront6targetE0EEEvS12_,"axG",@progbits,_ZN7rocprim17ROCPRIM_400000_NS6detail17trampoline_kernelINS0_13select_configILj256ELj13ELNS0_17block_load_methodE3ELS4_3ELS4_3ELNS0_20block_scan_algorithmE0ELj4294967295EEENS1_25partition_config_selectorILNS1_17partition_subalgoE4EjNS0_10empty_typeEbEEZZNS1_14partition_implILS8_4ELb0ES6_15HIP_vector_typeIjLj2EENS0_17counting_iteratorIjlEEPS9_SG_NS0_5tupleIJPjSI_NS0_16reverse_iteratorISI_EEEEENSH_IJSG_SG_SG_EEES9_SI_JZNS1_25segmented_radix_sort_implINS0_14default_configELb1EPKsPsPKlPlN2at6native12_GLOBAL__N_18offset_tEEE10hipError_tPvRmT1_PNSt15iterator_traitsIS12_E10value_typeET2_T3_PNS13_IS18_E10value_typeET4_jRbjT5_S1E_jjP12ihipStream_tbEUljE_ZNSN_ISO_Lb1ESQ_SR_ST_SU_SY_EESZ_S10_S11_S12_S16_S17_S18_S1B_S1C_jS1D_jS1E_S1E_jjS1G_bEUljE0_EEESZ_S10_S11_S18_S1C_S1E_T6_T7_T9_mT8_S1G_bDpT10_ENKUlT_T0_E_clISt17integral_constantIbLb0EES1U_EEDaS1P_S1Q_EUlS1P_E_NS1_11comp_targetILNS1_3genE2ELNS1_11target_archE906ELNS1_3gpuE6ELNS1_3repE0EEENS1_30default_config_static_selectorELNS0_4arch9wavefront6targetE0EEEvS12_,comdat
	.globl	_ZN7rocprim17ROCPRIM_400000_NS6detail17trampoline_kernelINS0_13select_configILj256ELj13ELNS0_17block_load_methodE3ELS4_3ELS4_3ELNS0_20block_scan_algorithmE0ELj4294967295EEENS1_25partition_config_selectorILNS1_17partition_subalgoE4EjNS0_10empty_typeEbEEZZNS1_14partition_implILS8_4ELb0ES6_15HIP_vector_typeIjLj2EENS0_17counting_iteratorIjlEEPS9_SG_NS0_5tupleIJPjSI_NS0_16reverse_iteratorISI_EEEEENSH_IJSG_SG_SG_EEES9_SI_JZNS1_25segmented_radix_sort_implINS0_14default_configELb1EPKsPsPKlPlN2at6native12_GLOBAL__N_18offset_tEEE10hipError_tPvRmT1_PNSt15iterator_traitsIS12_E10value_typeET2_T3_PNS13_IS18_E10value_typeET4_jRbjT5_S1E_jjP12ihipStream_tbEUljE_ZNSN_ISO_Lb1ESQ_SR_ST_SU_SY_EESZ_S10_S11_S12_S16_S17_S18_S1B_S1C_jS1D_jS1E_S1E_jjS1G_bEUljE0_EEESZ_S10_S11_S18_S1C_S1E_T6_T7_T9_mT8_S1G_bDpT10_ENKUlT_T0_E_clISt17integral_constantIbLb0EES1U_EEDaS1P_S1Q_EUlS1P_E_NS1_11comp_targetILNS1_3genE2ELNS1_11target_archE906ELNS1_3gpuE6ELNS1_3repE0EEENS1_30default_config_static_selectorELNS0_4arch9wavefront6targetE0EEEvS12_ ; -- Begin function _ZN7rocprim17ROCPRIM_400000_NS6detail17trampoline_kernelINS0_13select_configILj256ELj13ELNS0_17block_load_methodE3ELS4_3ELS4_3ELNS0_20block_scan_algorithmE0ELj4294967295EEENS1_25partition_config_selectorILNS1_17partition_subalgoE4EjNS0_10empty_typeEbEEZZNS1_14partition_implILS8_4ELb0ES6_15HIP_vector_typeIjLj2EENS0_17counting_iteratorIjlEEPS9_SG_NS0_5tupleIJPjSI_NS0_16reverse_iteratorISI_EEEEENSH_IJSG_SG_SG_EEES9_SI_JZNS1_25segmented_radix_sort_implINS0_14default_configELb1EPKsPsPKlPlN2at6native12_GLOBAL__N_18offset_tEEE10hipError_tPvRmT1_PNSt15iterator_traitsIS12_E10value_typeET2_T3_PNS13_IS18_E10value_typeET4_jRbjT5_S1E_jjP12ihipStream_tbEUljE_ZNSN_ISO_Lb1ESQ_SR_ST_SU_SY_EESZ_S10_S11_S12_S16_S17_S18_S1B_S1C_jS1D_jS1E_S1E_jjS1G_bEUljE0_EEESZ_S10_S11_S18_S1C_S1E_T6_T7_T9_mT8_S1G_bDpT10_ENKUlT_T0_E_clISt17integral_constantIbLb0EES1U_EEDaS1P_S1Q_EUlS1P_E_NS1_11comp_targetILNS1_3genE2ELNS1_11target_archE906ELNS1_3gpuE6ELNS1_3repE0EEENS1_30default_config_static_selectorELNS0_4arch9wavefront6targetE0EEEvS12_
	.p2align	8
	.type	_ZN7rocprim17ROCPRIM_400000_NS6detail17trampoline_kernelINS0_13select_configILj256ELj13ELNS0_17block_load_methodE3ELS4_3ELS4_3ELNS0_20block_scan_algorithmE0ELj4294967295EEENS1_25partition_config_selectorILNS1_17partition_subalgoE4EjNS0_10empty_typeEbEEZZNS1_14partition_implILS8_4ELb0ES6_15HIP_vector_typeIjLj2EENS0_17counting_iteratorIjlEEPS9_SG_NS0_5tupleIJPjSI_NS0_16reverse_iteratorISI_EEEEENSH_IJSG_SG_SG_EEES9_SI_JZNS1_25segmented_radix_sort_implINS0_14default_configELb1EPKsPsPKlPlN2at6native12_GLOBAL__N_18offset_tEEE10hipError_tPvRmT1_PNSt15iterator_traitsIS12_E10value_typeET2_T3_PNS13_IS18_E10value_typeET4_jRbjT5_S1E_jjP12ihipStream_tbEUljE_ZNSN_ISO_Lb1ESQ_SR_ST_SU_SY_EESZ_S10_S11_S12_S16_S17_S18_S1B_S1C_jS1D_jS1E_S1E_jjS1G_bEUljE0_EEESZ_S10_S11_S18_S1C_S1E_T6_T7_T9_mT8_S1G_bDpT10_ENKUlT_T0_E_clISt17integral_constantIbLb0EES1U_EEDaS1P_S1Q_EUlS1P_E_NS1_11comp_targetILNS1_3genE2ELNS1_11target_archE906ELNS1_3gpuE6ELNS1_3repE0EEENS1_30default_config_static_selectorELNS0_4arch9wavefront6targetE0EEEvS12_,@function
_ZN7rocprim17ROCPRIM_400000_NS6detail17trampoline_kernelINS0_13select_configILj256ELj13ELNS0_17block_load_methodE3ELS4_3ELS4_3ELNS0_20block_scan_algorithmE0ELj4294967295EEENS1_25partition_config_selectorILNS1_17partition_subalgoE4EjNS0_10empty_typeEbEEZZNS1_14partition_implILS8_4ELb0ES6_15HIP_vector_typeIjLj2EENS0_17counting_iteratorIjlEEPS9_SG_NS0_5tupleIJPjSI_NS0_16reverse_iteratorISI_EEEEENSH_IJSG_SG_SG_EEES9_SI_JZNS1_25segmented_radix_sort_implINS0_14default_configELb1EPKsPsPKlPlN2at6native12_GLOBAL__N_18offset_tEEE10hipError_tPvRmT1_PNSt15iterator_traitsIS12_E10value_typeET2_T3_PNS13_IS18_E10value_typeET4_jRbjT5_S1E_jjP12ihipStream_tbEUljE_ZNSN_ISO_Lb1ESQ_SR_ST_SU_SY_EESZ_S10_S11_S12_S16_S17_S18_S1B_S1C_jS1D_jS1E_S1E_jjS1G_bEUljE0_EEESZ_S10_S11_S18_S1C_S1E_T6_T7_T9_mT8_S1G_bDpT10_ENKUlT_T0_E_clISt17integral_constantIbLb0EES1U_EEDaS1P_S1Q_EUlS1P_E_NS1_11comp_targetILNS1_3genE2ELNS1_11target_archE906ELNS1_3gpuE6ELNS1_3repE0EEENS1_30default_config_static_selectorELNS0_4arch9wavefront6targetE0EEEvS12_: ; @_ZN7rocprim17ROCPRIM_400000_NS6detail17trampoline_kernelINS0_13select_configILj256ELj13ELNS0_17block_load_methodE3ELS4_3ELS4_3ELNS0_20block_scan_algorithmE0ELj4294967295EEENS1_25partition_config_selectorILNS1_17partition_subalgoE4EjNS0_10empty_typeEbEEZZNS1_14partition_implILS8_4ELb0ES6_15HIP_vector_typeIjLj2EENS0_17counting_iteratorIjlEEPS9_SG_NS0_5tupleIJPjSI_NS0_16reverse_iteratorISI_EEEEENSH_IJSG_SG_SG_EEES9_SI_JZNS1_25segmented_radix_sort_implINS0_14default_configELb1EPKsPsPKlPlN2at6native12_GLOBAL__N_18offset_tEEE10hipError_tPvRmT1_PNSt15iterator_traitsIS12_E10value_typeET2_T3_PNS13_IS18_E10value_typeET4_jRbjT5_S1E_jjP12ihipStream_tbEUljE_ZNSN_ISO_Lb1ESQ_SR_ST_SU_SY_EESZ_S10_S11_S12_S16_S17_S18_S1B_S1C_jS1D_jS1E_S1E_jjS1G_bEUljE0_EEESZ_S10_S11_S18_S1C_S1E_T6_T7_T9_mT8_S1G_bDpT10_ENKUlT_T0_E_clISt17integral_constantIbLb0EES1U_EEDaS1P_S1Q_EUlS1P_E_NS1_11comp_targetILNS1_3genE2ELNS1_11target_archE906ELNS1_3gpuE6ELNS1_3repE0EEENS1_30default_config_static_selectorELNS0_4arch9wavefront6targetE0EEEvS12_
; %bb.0:
	.section	.rodata,"a",@progbits
	.p2align	6, 0x0
	.amdhsa_kernel _ZN7rocprim17ROCPRIM_400000_NS6detail17trampoline_kernelINS0_13select_configILj256ELj13ELNS0_17block_load_methodE3ELS4_3ELS4_3ELNS0_20block_scan_algorithmE0ELj4294967295EEENS1_25partition_config_selectorILNS1_17partition_subalgoE4EjNS0_10empty_typeEbEEZZNS1_14partition_implILS8_4ELb0ES6_15HIP_vector_typeIjLj2EENS0_17counting_iteratorIjlEEPS9_SG_NS0_5tupleIJPjSI_NS0_16reverse_iteratorISI_EEEEENSH_IJSG_SG_SG_EEES9_SI_JZNS1_25segmented_radix_sort_implINS0_14default_configELb1EPKsPsPKlPlN2at6native12_GLOBAL__N_18offset_tEEE10hipError_tPvRmT1_PNSt15iterator_traitsIS12_E10value_typeET2_T3_PNS13_IS18_E10value_typeET4_jRbjT5_S1E_jjP12ihipStream_tbEUljE_ZNSN_ISO_Lb1ESQ_SR_ST_SU_SY_EESZ_S10_S11_S12_S16_S17_S18_S1B_S1C_jS1D_jS1E_S1E_jjS1G_bEUljE0_EEESZ_S10_S11_S18_S1C_S1E_T6_T7_T9_mT8_S1G_bDpT10_ENKUlT_T0_E_clISt17integral_constantIbLb0EES1U_EEDaS1P_S1Q_EUlS1P_E_NS1_11comp_targetILNS1_3genE2ELNS1_11target_archE906ELNS1_3gpuE6ELNS1_3repE0EEENS1_30default_config_static_selectorELNS0_4arch9wavefront6targetE0EEEvS12_
		.amdhsa_group_segment_fixed_size 0
		.amdhsa_private_segment_fixed_size 0
		.amdhsa_kernarg_size 176
		.amdhsa_user_sgpr_count 2
		.amdhsa_user_sgpr_dispatch_ptr 0
		.amdhsa_user_sgpr_queue_ptr 0
		.amdhsa_user_sgpr_kernarg_segment_ptr 1
		.amdhsa_user_sgpr_dispatch_id 0
		.amdhsa_user_sgpr_kernarg_preload_length 0
		.amdhsa_user_sgpr_kernarg_preload_offset 0
		.amdhsa_user_sgpr_private_segment_size 0
		.amdhsa_wavefront_size32 1
		.amdhsa_uses_dynamic_stack 0
		.amdhsa_enable_private_segment 0
		.amdhsa_system_sgpr_workgroup_id_x 1
		.amdhsa_system_sgpr_workgroup_id_y 0
		.amdhsa_system_sgpr_workgroup_id_z 0
		.amdhsa_system_sgpr_workgroup_info 0
		.amdhsa_system_vgpr_workitem_id 0
		.amdhsa_next_free_vgpr 1
		.amdhsa_next_free_sgpr 1
		.amdhsa_named_barrier_count 0
		.amdhsa_reserve_vcc 0
		.amdhsa_float_round_mode_32 0
		.amdhsa_float_round_mode_16_64 0
		.amdhsa_float_denorm_mode_32 3
		.amdhsa_float_denorm_mode_16_64 3
		.amdhsa_fp16_overflow 0
		.amdhsa_memory_ordered 1
		.amdhsa_forward_progress 1
		.amdhsa_inst_pref_size 0
		.amdhsa_round_robin_scheduling 0
		.amdhsa_exception_fp_ieee_invalid_op 0
		.amdhsa_exception_fp_denorm_src 0
		.amdhsa_exception_fp_ieee_div_zero 0
		.amdhsa_exception_fp_ieee_overflow 0
		.amdhsa_exception_fp_ieee_underflow 0
		.amdhsa_exception_fp_ieee_inexact 0
		.amdhsa_exception_int_div_zero 0
	.end_amdhsa_kernel
	.section	.text._ZN7rocprim17ROCPRIM_400000_NS6detail17trampoline_kernelINS0_13select_configILj256ELj13ELNS0_17block_load_methodE3ELS4_3ELS4_3ELNS0_20block_scan_algorithmE0ELj4294967295EEENS1_25partition_config_selectorILNS1_17partition_subalgoE4EjNS0_10empty_typeEbEEZZNS1_14partition_implILS8_4ELb0ES6_15HIP_vector_typeIjLj2EENS0_17counting_iteratorIjlEEPS9_SG_NS0_5tupleIJPjSI_NS0_16reverse_iteratorISI_EEEEENSH_IJSG_SG_SG_EEES9_SI_JZNS1_25segmented_radix_sort_implINS0_14default_configELb1EPKsPsPKlPlN2at6native12_GLOBAL__N_18offset_tEEE10hipError_tPvRmT1_PNSt15iterator_traitsIS12_E10value_typeET2_T3_PNS13_IS18_E10value_typeET4_jRbjT5_S1E_jjP12ihipStream_tbEUljE_ZNSN_ISO_Lb1ESQ_SR_ST_SU_SY_EESZ_S10_S11_S12_S16_S17_S18_S1B_S1C_jS1D_jS1E_S1E_jjS1G_bEUljE0_EEESZ_S10_S11_S18_S1C_S1E_T6_T7_T9_mT8_S1G_bDpT10_ENKUlT_T0_E_clISt17integral_constantIbLb0EES1U_EEDaS1P_S1Q_EUlS1P_E_NS1_11comp_targetILNS1_3genE2ELNS1_11target_archE906ELNS1_3gpuE6ELNS1_3repE0EEENS1_30default_config_static_selectorELNS0_4arch9wavefront6targetE0EEEvS12_,"axG",@progbits,_ZN7rocprim17ROCPRIM_400000_NS6detail17trampoline_kernelINS0_13select_configILj256ELj13ELNS0_17block_load_methodE3ELS4_3ELS4_3ELNS0_20block_scan_algorithmE0ELj4294967295EEENS1_25partition_config_selectorILNS1_17partition_subalgoE4EjNS0_10empty_typeEbEEZZNS1_14partition_implILS8_4ELb0ES6_15HIP_vector_typeIjLj2EENS0_17counting_iteratorIjlEEPS9_SG_NS0_5tupleIJPjSI_NS0_16reverse_iteratorISI_EEEEENSH_IJSG_SG_SG_EEES9_SI_JZNS1_25segmented_radix_sort_implINS0_14default_configELb1EPKsPsPKlPlN2at6native12_GLOBAL__N_18offset_tEEE10hipError_tPvRmT1_PNSt15iterator_traitsIS12_E10value_typeET2_T3_PNS13_IS18_E10value_typeET4_jRbjT5_S1E_jjP12ihipStream_tbEUljE_ZNSN_ISO_Lb1ESQ_SR_ST_SU_SY_EESZ_S10_S11_S12_S16_S17_S18_S1B_S1C_jS1D_jS1E_S1E_jjS1G_bEUljE0_EEESZ_S10_S11_S18_S1C_S1E_T6_T7_T9_mT8_S1G_bDpT10_ENKUlT_T0_E_clISt17integral_constantIbLb0EES1U_EEDaS1P_S1Q_EUlS1P_E_NS1_11comp_targetILNS1_3genE2ELNS1_11target_archE906ELNS1_3gpuE6ELNS1_3repE0EEENS1_30default_config_static_selectorELNS0_4arch9wavefront6targetE0EEEvS12_,comdat
.Lfunc_end847:
	.size	_ZN7rocprim17ROCPRIM_400000_NS6detail17trampoline_kernelINS0_13select_configILj256ELj13ELNS0_17block_load_methodE3ELS4_3ELS4_3ELNS0_20block_scan_algorithmE0ELj4294967295EEENS1_25partition_config_selectorILNS1_17partition_subalgoE4EjNS0_10empty_typeEbEEZZNS1_14partition_implILS8_4ELb0ES6_15HIP_vector_typeIjLj2EENS0_17counting_iteratorIjlEEPS9_SG_NS0_5tupleIJPjSI_NS0_16reverse_iteratorISI_EEEEENSH_IJSG_SG_SG_EEES9_SI_JZNS1_25segmented_radix_sort_implINS0_14default_configELb1EPKsPsPKlPlN2at6native12_GLOBAL__N_18offset_tEEE10hipError_tPvRmT1_PNSt15iterator_traitsIS12_E10value_typeET2_T3_PNS13_IS18_E10value_typeET4_jRbjT5_S1E_jjP12ihipStream_tbEUljE_ZNSN_ISO_Lb1ESQ_SR_ST_SU_SY_EESZ_S10_S11_S12_S16_S17_S18_S1B_S1C_jS1D_jS1E_S1E_jjS1G_bEUljE0_EEESZ_S10_S11_S18_S1C_S1E_T6_T7_T9_mT8_S1G_bDpT10_ENKUlT_T0_E_clISt17integral_constantIbLb0EES1U_EEDaS1P_S1Q_EUlS1P_E_NS1_11comp_targetILNS1_3genE2ELNS1_11target_archE906ELNS1_3gpuE6ELNS1_3repE0EEENS1_30default_config_static_selectorELNS0_4arch9wavefront6targetE0EEEvS12_, .Lfunc_end847-_ZN7rocprim17ROCPRIM_400000_NS6detail17trampoline_kernelINS0_13select_configILj256ELj13ELNS0_17block_load_methodE3ELS4_3ELS4_3ELNS0_20block_scan_algorithmE0ELj4294967295EEENS1_25partition_config_selectorILNS1_17partition_subalgoE4EjNS0_10empty_typeEbEEZZNS1_14partition_implILS8_4ELb0ES6_15HIP_vector_typeIjLj2EENS0_17counting_iteratorIjlEEPS9_SG_NS0_5tupleIJPjSI_NS0_16reverse_iteratorISI_EEEEENSH_IJSG_SG_SG_EEES9_SI_JZNS1_25segmented_radix_sort_implINS0_14default_configELb1EPKsPsPKlPlN2at6native12_GLOBAL__N_18offset_tEEE10hipError_tPvRmT1_PNSt15iterator_traitsIS12_E10value_typeET2_T3_PNS13_IS18_E10value_typeET4_jRbjT5_S1E_jjP12ihipStream_tbEUljE_ZNSN_ISO_Lb1ESQ_SR_ST_SU_SY_EESZ_S10_S11_S12_S16_S17_S18_S1B_S1C_jS1D_jS1E_S1E_jjS1G_bEUljE0_EEESZ_S10_S11_S18_S1C_S1E_T6_T7_T9_mT8_S1G_bDpT10_ENKUlT_T0_E_clISt17integral_constantIbLb0EES1U_EEDaS1P_S1Q_EUlS1P_E_NS1_11comp_targetILNS1_3genE2ELNS1_11target_archE906ELNS1_3gpuE6ELNS1_3repE0EEENS1_30default_config_static_selectorELNS0_4arch9wavefront6targetE0EEEvS12_
                                        ; -- End function
	.set _ZN7rocprim17ROCPRIM_400000_NS6detail17trampoline_kernelINS0_13select_configILj256ELj13ELNS0_17block_load_methodE3ELS4_3ELS4_3ELNS0_20block_scan_algorithmE0ELj4294967295EEENS1_25partition_config_selectorILNS1_17partition_subalgoE4EjNS0_10empty_typeEbEEZZNS1_14partition_implILS8_4ELb0ES6_15HIP_vector_typeIjLj2EENS0_17counting_iteratorIjlEEPS9_SG_NS0_5tupleIJPjSI_NS0_16reverse_iteratorISI_EEEEENSH_IJSG_SG_SG_EEES9_SI_JZNS1_25segmented_radix_sort_implINS0_14default_configELb1EPKsPsPKlPlN2at6native12_GLOBAL__N_18offset_tEEE10hipError_tPvRmT1_PNSt15iterator_traitsIS12_E10value_typeET2_T3_PNS13_IS18_E10value_typeET4_jRbjT5_S1E_jjP12ihipStream_tbEUljE_ZNSN_ISO_Lb1ESQ_SR_ST_SU_SY_EESZ_S10_S11_S12_S16_S17_S18_S1B_S1C_jS1D_jS1E_S1E_jjS1G_bEUljE0_EEESZ_S10_S11_S18_S1C_S1E_T6_T7_T9_mT8_S1G_bDpT10_ENKUlT_T0_E_clISt17integral_constantIbLb0EES1U_EEDaS1P_S1Q_EUlS1P_E_NS1_11comp_targetILNS1_3genE2ELNS1_11target_archE906ELNS1_3gpuE6ELNS1_3repE0EEENS1_30default_config_static_selectorELNS0_4arch9wavefront6targetE0EEEvS12_.num_vgpr, 0
	.set _ZN7rocprim17ROCPRIM_400000_NS6detail17trampoline_kernelINS0_13select_configILj256ELj13ELNS0_17block_load_methodE3ELS4_3ELS4_3ELNS0_20block_scan_algorithmE0ELj4294967295EEENS1_25partition_config_selectorILNS1_17partition_subalgoE4EjNS0_10empty_typeEbEEZZNS1_14partition_implILS8_4ELb0ES6_15HIP_vector_typeIjLj2EENS0_17counting_iteratorIjlEEPS9_SG_NS0_5tupleIJPjSI_NS0_16reverse_iteratorISI_EEEEENSH_IJSG_SG_SG_EEES9_SI_JZNS1_25segmented_radix_sort_implINS0_14default_configELb1EPKsPsPKlPlN2at6native12_GLOBAL__N_18offset_tEEE10hipError_tPvRmT1_PNSt15iterator_traitsIS12_E10value_typeET2_T3_PNS13_IS18_E10value_typeET4_jRbjT5_S1E_jjP12ihipStream_tbEUljE_ZNSN_ISO_Lb1ESQ_SR_ST_SU_SY_EESZ_S10_S11_S12_S16_S17_S18_S1B_S1C_jS1D_jS1E_S1E_jjS1G_bEUljE0_EEESZ_S10_S11_S18_S1C_S1E_T6_T7_T9_mT8_S1G_bDpT10_ENKUlT_T0_E_clISt17integral_constantIbLb0EES1U_EEDaS1P_S1Q_EUlS1P_E_NS1_11comp_targetILNS1_3genE2ELNS1_11target_archE906ELNS1_3gpuE6ELNS1_3repE0EEENS1_30default_config_static_selectorELNS0_4arch9wavefront6targetE0EEEvS12_.num_agpr, 0
	.set _ZN7rocprim17ROCPRIM_400000_NS6detail17trampoline_kernelINS0_13select_configILj256ELj13ELNS0_17block_load_methodE3ELS4_3ELS4_3ELNS0_20block_scan_algorithmE0ELj4294967295EEENS1_25partition_config_selectorILNS1_17partition_subalgoE4EjNS0_10empty_typeEbEEZZNS1_14partition_implILS8_4ELb0ES6_15HIP_vector_typeIjLj2EENS0_17counting_iteratorIjlEEPS9_SG_NS0_5tupleIJPjSI_NS0_16reverse_iteratorISI_EEEEENSH_IJSG_SG_SG_EEES9_SI_JZNS1_25segmented_radix_sort_implINS0_14default_configELb1EPKsPsPKlPlN2at6native12_GLOBAL__N_18offset_tEEE10hipError_tPvRmT1_PNSt15iterator_traitsIS12_E10value_typeET2_T3_PNS13_IS18_E10value_typeET4_jRbjT5_S1E_jjP12ihipStream_tbEUljE_ZNSN_ISO_Lb1ESQ_SR_ST_SU_SY_EESZ_S10_S11_S12_S16_S17_S18_S1B_S1C_jS1D_jS1E_S1E_jjS1G_bEUljE0_EEESZ_S10_S11_S18_S1C_S1E_T6_T7_T9_mT8_S1G_bDpT10_ENKUlT_T0_E_clISt17integral_constantIbLb0EES1U_EEDaS1P_S1Q_EUlS1P_E_NS1_11comp_targetILNS1_3genE2ELNS1_11target_archE906ELNS1_3gpuE6ELNS1_3repE0EEENS1_30default_config_static_selectorELNS0_4arch9wavefront6targetE0EEEvS12_.numbered_sgpr, 0
	.set _ZN7rocprim17ROCPRIM_400000_NS6detail17trampoline_kernelINS0_13select_configILj256ELj13ELNS0_17block_load_methodE3ELS4_3ELS4_3ELNS0_20block_scan_algorithmE0ELj4294967295EEENS1_25partition_config_selectorILNS1_17partition_subalgoE4EjNS0_10empty_typeEbEEZZNS1_14partition_implILS8_4ELb0ES6_15HIP_vector_typeIjLj2EENS0_17counting_iteratorIjlEEPS9_SG_NS0_5tupleIJPjSI_NS0_16reverse_iteratorISI_EEEEENSH_IJSG_SG_SG_EEES9_SI_JZNS1_25segmented_radix_sort_implINS0_14default_configELb1EPKsPsPKlPlN2at6native12_GLOBAL__N_18offset_tEEE10hipError_tPvRmT1_PNSt15iterator_traitsIS12_E10value_typeET2_T3_PNS13_IS18_E10value_typeET4_jRbjT5_S1E_jjP12ihipStream_tbEUljE_ZNSN_ISO_Lb1ESQ_SR_ST_SU_SY_EESZ_S10_S11_S12_S16_S17_S18_S1B_S1C_jS1D_jS1E_S1E_jjS1G_bEUljE0_EEESZ_S10_S11_S18_S1C_S1E_T6_T7_T9_mT8_S1G_bDpT10_ENKUlT_T0_E_clISt17integral_constantIbLb0EES1U_EEDaS1P_S1Q_EUlS1P_E_NS1_11comp_targetILNS1_3genE2ELNS1_11target_archE906ELNS1_3gpuE6ELNS1_3repE0EEENS1_30default_config_static_selectorELNS0_4arch9wavefront6targetE0EEEvS12_.num_named_barrier, 0
	.set _ZN7rocprim17ROCPRIM_400000_NS6detail17trampoline_kernelINS0_13select_configILj256ELj13ELNS0_17block_load_methodE3ELS4_3ELS4_3ELNS0_20block_scan_algorithmE0ELj4294967295EEENS1_25partition_config_selectorILNS1_17partition_subalgoE4EjNS0_10empty_typeEbEEZZNS1_14partition_implILS8_4ELb0ES6_15HIP_vector_typeIjLj2EENS0_17counting_iteratorIjlEEPS9_SG_NS0_5tupleIJPjSI_NS0_16reverse_iteratorISI_EEEEENSH_IJSG_SG_SG_EEES9_SI_JZNS1_25segmented_radix_sort_implINS0_14default_configELb1EPKsPsPKlPlN2at6native12_GLOBAL__N_18offset_tEEE10hipError_tPvRmT1_PNSt15iterator_traitsIS12_E10value_typeET2_T3_PNS13_IS18_E10value_typeET4_jRbjT5_S1E_jjP12ihipStream_tbEUljE_ZNSN_ISO_Lb1ESQ_SR_ST_SU_SY_EESZ_S10_S11_S12_S16_S17_S18_S1B_S1C_jS1D_jS1E_S1E_jjS1G_bEUljE0_EEESZ_S10_S11_S18_S1C_S1E_T6_T7_T9_mT8_S1G_bDpT10_ENKUlT_T0_E_clISt17integral_constantIbLb0EES1U_EEDaS1P_S1Q_EUlS1P_E_NS1_11comp_targetILNS1_3genE2ELNS1_11target_archE906ELNS1_3gpuE6ELNS1_3repE0EEENS1_30default_config_static_selectorELNS0_4arch9wavefront6targetE0EEEvS12_.private_seg_size, 0
	.set _ZN7rocprim17ROCPRIM_400000_NS6detail17trampoline_kernelINS0_13select_configILj256ELj13ELNS0_17block_load_methodE3ELS4_3ELS4_3ELNS0_20block_scan_algorithmE0ELj4294967295EEENS1_25partition_config_selectorILNS1_17partition_subalgoE4EjNS0_10empty_typeEbEEZZNS1_14partition_implILS8_4ELb0ES6_15HIP_vector_typeIjLj2EENS0_17counting_iteratorIjlEEPS9_SG_NS0_5tupleIJPjSI_NS0_16reverse_iteratorISI_EEEEENSH_IJSG_SG_SG_EEES9_SI_JZNS1_25segmented_radix_sort_implINS0_14default_configELb1EPKsPsPKlPlN2at6native12_GLOBAL__N_18offset_tEEE10hipError_tPvRmT1_PNSt15iterator_traitsIS12_E10value_typeET2_T3_PNS13_IS18_E10value_typeET4_jRbjT5_S1E_jjP12ihipStream_tbEUljE_ZNSN_ISO_Lb1ESQ_SR_ST_SU_SY_EESZ_S10_S11_S12_S16_S17_S18_S1B_S1C_jS1D_jS1E_S1E_jjS1G_bEUljE0_EEESZ_S10_S11_S18_S1C_S1E_T6_T7_T9_mT8_S1G_bDpT10_ENKUlT_T0_E_clISt17integral_constantIbLb0EES1U_EEDaS1P_S1Q_EUlS1P_E_NS1_11comp_targetILNS1_3genE2ELNS1_11target_archE906ELNS1_3gpuE6ELNS1_3repE0EEENS1_30default_config_static_selectorELNS0_4arch9wavefront6targetE0EEEvS12_.uses_vcc, 0
	.set _ZN7rocprim17ROCPRIM_400000_NS6detail17trampoline_kernelINS0_13select_configILj256ELj13ELNS0_17block_load_methodE3ELS4_3ELS4_3ELNS0_20block_scan_algorithmE0ELj4294967295EEENS1_25partition_config_selectorILNS1_17partition_subalgoE4EjNS0_10empty_typeEbEEZZNS1_14partition_implILS8_4ELb0ES6_15HIP_vector_typeIjLj2EENS0_17counting_iteratorIjlEEPS9_SG_NS0_5tupleIJPjSI_NS0_16reverse_iteratorISI_EEEEENSH_IJSG_SG_SG_EEES9_SI_JZNS1_25segmented_radix_sort_implINS0_14default_configELb1EPKsPsPKlPlN2at6native12_GLOBAL__N_18offset_tEEE10hipError_tPvRmT1_PNSt15iterator_traitsIS12_E10value_typeET2_T3_PNS13_IS18_E10value_typeET4_jRbjT5_S1E_jjP12ihipStream_tbEUljE_ZNSN_ISO_Lb1ESQ_SR_ST_SU_SY_EESZ_S10_S11_S12_S16_S17_S18_S1B_S1C_jS1D_jS1E_S1E_jjS1G_bEUljE0_EEESZ_S10_S11_S18_S1C_S1E_T6_T7_T9_mT8_S1G_bDpT10_ENKUlT_T0_E_clISt17integral_constantIbLb0EES1U_EEDaS1P_S1Q_EUlS1P_E_NS1_11comp_targetILNS1_3genE2ELNS1_11target_archE906ELNS1_3gpuE6ELNS1_3repE0EEENS1_30default_config_static_selectorELNS0_4arch9wavefront6targetE0EEEvS12_.uses_flat_scratch, 0
	.set _ZN7rocprim17ROCPRIM_400000_NS6detail17trampoline_kernelINS0_13select_configILj256ELj13ELNS0_17block_load_methodE3ELS4_3ELS4_3ELNS0_20block_scan_algorithmE0ELj4294967295EEENS1_25partition_config_selectorILNS1_17partition_subalgoE4EjNS0_10empty_typeEbEEZZNS1_14partition_implILS8_4ELb0ES6_15HIP_vector_typeIjLj2EENS0_17counting_iteratorIjlEEPS9_SG_NS0_5tupleIJPjSI_NS0_16reverse_iteratorISI_EEEEENSH_IJSG_SG_SG_EEES9_SI_JZNS1_25segmented_radix_sort_implINS0_14default_configELb1EPKsPsPKlPlN2at6native12_GLOBAL__N_18offset_tEEE10hipError_tPvRmT1_PNSt15iterator_traitsIS12_E10value_typeET2_T3_PNS13_IS18_E10value_typeET4_jRbjT5_S1E_jjP12ihipStream_tbEUljE_ZNSN_ISO_Lb1ESQ_SR_ST_SU_SY_EESZ_S10_S11_S12_S16_S17_S18_S1B_S1C_jS1D_jS1E_S1E_jjS1G_bEUljE0_EEESZ_S10_S11_S18_S1C_S1E_T6_T7_T9_mT8_S1G_bDpT10_ENKUlT_T0_E_clISt17integral_constantIbLb0EES1U_EEDaS1P_S1Q_EUlS1P_E_NS1_11comp_targetILNS1_3genE2ELNS1_11target_archE906ELNS1_3gpuE6ELNS1_3repE0EEENS1_30default_config_static_selectorELNS0_4arch9wavefront6targetE0EEEvS12_.has_dyn_sized_stack, 0
	.set _ZN7rocprim17ROCPRIM_400000_NS6detail17trampoline_kernelINS0_13select_configILj256ELj13ELNS0_17block_load_methodE3ELS4_3ELS4_3ELNS0_20block_scan_algorithmE0ELj4294967295EEENS1_25partition_config_selectorILNS1_17partition_subalgoE4EjNS0_10empty_typeEbEEZZNS1_14partition_implILS8_4ELb0ES6_15HIP_vector_typeIjLj2EENS0_17counting_iteratorIjlEEPS9_SG_NS0_5tupleIJPjSI_NS0_16reverse_iteratorISI_EEEEENSH_IJSG_SG_SG_EEES9_SI_JZNS1_25segmented_radix_sort_implINS0_14default_configELb1EPKsPsPKlPlN2at6native12_GLOBAL__N_18offset_tEEE10hipError_tPvRmT1_PNSt15iterator_traitsIS12_E10value_typeET2_T3_PNS13_IS18_E10value_typeET4_jRbjT5_S1E_jjP12ihipStream_tbEUljE_ZNSN_ISO_Lb1ESQ_SR_ST_SU_SY_EESZ_S10_S11_S12_S16_S17_S18_S1B_S1C_jS1D_jS1E_S1E_jjS1G_bEUljE0_EEESZ_S10_S11_S18_S1C_S1E_T6_T7_T9_mT8_S1G_bDpT10_ENKUlT_T0_E_clISt17integral_constantIbLb0EES1U_EEDaS1P_S1Q_EUlS1P_E_NS1_11comp_targetILNS1_3genE2ELNS1_11target_archE906ELNS1_3gpuE6ELNS1_3repE0EEENS1_30default_config_static_selectorELNS0_4arch9wavefront6targetE0EEEvS12_.has_recursion, 0
	.set _ZN7rocprim17ROCPRIM_400000_NS6detail17trampoline_kernelINS0_13select_configILj256ELj13ELNS0_17block_load_methodE3ELS4_3ELS4_3ELNS0_20block_scan_algorithmE0ELj4294967295EEENS1_25partition_config_selectorILNS1_17partition_subalgoE4EjNS0_10empty_typeEbEEZZNS1_14partition_implILS8_4ELb0ES6_15HIP_vector_typeIjLj2EENS0_17counting_iteratorIjlEEPS9_SG_NS0_5tupleIJPjSI_NS0_16reverse_iteratorISI_EEEEENSH_IJSG_SG_SG_EEES9_SI_JZNS1_25segmented_radix_sort_implINS0_14default_configELb1EPKsPsPKlPlN2at6native12_GLOBAL__N_18offset_tEEE10hipError_tPvRmT1_PNSt15iterator_traitsIS12_E10value_typeET2_T3_PNS13_IS18_E10value_typeET4_jRbjT5_S1E_jjP12ihipStream_tbEUljE_ZNSN_ISO_Lb1ESQ_SR_ST_SU_SY_EESZ_S10_S11_S12_S16_S17_S18_S1B_S1C_jS1D_jS1E_S1E_jjS1G_bEUljE0_EEESZ_S10_S11_S18_S1C_S1E_T6_T7_T9_mT8_S1G_bDpT10_ENKUlT_T0_E_clISt17integral_constantIbLb0EES1U_EEDaS1P_S1Q_EUlS1P_E_NS1_11comp_targetILNS1_3genE2ELNS1_11target_archE906ELNS1_3gpuE6ELNS1_3repE0EEENS1_30default_config_static_selectorELNS0_4arch9wavefront6targetE0EEEvS12_.has_indirect_call, 0
	.section	.AMDGPU.csdata,"",@progbits
; Kernel info:
; codeLenInByte = 0
; TotalNumSgprs: 0
; NumVgprs: 0
; ScratchSize: 0
; MemoryBound: 0
; FloatMode: 240
; IeeeMode: 1
; LDSByteSize: 0 bytes/workgroup (compile time only)
; SGPRBlocks: 0
; VGPRBlocks: 0
; NumSGPRsForWavesPerEU: 1
; NumVGPRsForWavesPerEU: 1
; NamedBarCnt: 0
; Occupancy: 16
; WaveLimiterHint : 0
; COMPUTE_PGM_RSRC2:SCRATCH_EN: 0
; COMPUTE_PGM_RSRC2:USER_SGPR: 2
; COMPUTE_PGM_RSRC2:TRAP_HANDLER: 0
; COMPUTE_PGM_RSRC2:TGID_X_EN: 1
; COMPUTE_PGM_RSRC2:TGID_Y_EN: 0
; COMPUTE_PGM_RSRC2:TGID_Z_EN: 0
; COMPUTE_PGM_RSRC2:TIDIG_COMP_CNT: 0
	.section	.text._ZN7rocprim17ROCPRIM_400000_NS6detail17trampoline_kernelINS0_13select_configILj256ELj13ELNS0_17block_load_methodE3ELS4_3ELS4_3ELNS0_20block_scan_algorithmE0ELj4294967295EEENS1_25partition_config_selectorILNS1_17partition_subalgoE4EjNS0_10empty_typeEbEEZZNS1_14partition_implILS8_4ELb0ES6_15HIP_vector_typeIjLj2EENS0_17counting_iteratorIjlEEPS9_SG_NS0_5tupleIJPjSI_NS0_16reverse_iteratorISI_EEEEENSH_IJSG_SG_SG_EEES9_SI_JZNS1_25segmented_radix_sort_implINS0_14default_configELb1EPKsPsPKlPlN2at6native12_GLOBAL__N_18offset_tEEE10hipError_tPvRmT1_PNSt15iterator_traitsIS12_E10value_typeET2_T3_PNS13_IS18_E10value_typeET4_jRbjT5_S1E_jjP12ihipStream_tbEUljE_ZNSN_ISO_Lb1ESQ_SR_ST_SU_SY_EESZ_S10_S11_S12_S16_S17_S18_S1B_S1C_jS1D_jS1E_S1E_jjS1G_bEUljE0_EEESZ_S10_S11_S18_S1C_S1E_T6_T7_T9_mT8_S1G_bDpT10_ENKUlT_T0_E_clISt17integral_constantIbLb0EES1U_EEDaS1P_S1Q_EUlS1P_E_NS1_11comp_targetILNS1_3genE10ELNS1_11target_archE1200ELNS1_3gpuE4ELNS1_3repE0EEENS1_30default_config_static_selectorELNS0_4arch9wavefront6targetE0EEEvS12_,"axG",@progbits,_ZN7rocprim17ROCPRIM_400000_NS6detail17trampoline_kernelINS0_13select_configILj256ELj13ELNS0_17block_load_methodE3ELS4_3ELS4_3ELNS0_20block_scan_algorithmE0ELj4294967295EEENS1_25partition_config_selectorILNS1_17partition_subalgoE4EjNS0_10empty_typeEbEEZZNS1_14partition_implILS8_4ELb0ES6_15HIP_vector_typeIjLj2EENS0_17counting_iteratorIjlEEPS9_SG_NS0_5tupleIJPjSI_NS0_16reverse_iteratorISI_EEEEENSH_IJSG_SG_SG_EEES9_SI_JZNS1_25segmented_radix_sort_implINS0_14default_configELb1EPKsPsPKlPlN2at6native12_GLOBAL__N_18offset_tEEE10hipError_tPvRmT1_PNSt15iterator_traitsIS12_E10value_typeET2_T3_PNS13_IS18_E10value_typeET4_jRbjT5_S1E_jjP12ihipStream_tbEUljE_ZNSN_ISO_Lb1ESQ_SR_ST_SU_SY_EESZ_S10_S11_S12_S16_S17_S18_S1B_S1C_jS1D_jS1E_S1E_jjS1G_bEUljE0_EEESZ_S10_S11_S18_S1C_S1E_T6_T7_T9_mT8_S1G_bDpT10_ENKUlT_T0_E_clISt17integral_constantIbLb0EES1U_EEDaS1P_S1Q_EUlS1P_E_NS1_11comp_targetILNS1_3genE10ELNS1_11target_archE1200ELNS1_3gpuE4ELNS1_3repE0EEENS1_30default_config_static_selectorELNS0_4arch9wavefront6targetE0EEEvS12_,comdat
	.globl	_ZN7rocprim17ROCPRIM_400000_NS6detail17trampoline_kernelINS0_13select_configILj256ELj13ELNS0_17block_load_methodE3ELS4_3ELS4_3ELNS0_20block_scan_algorithmE0ELj4294967295EEENS1_25partition_config_selectorILNS1_17partition_subalgoE4EjNS0_10empty_typeEbEEZZNS1_14partition_implILS8_4ELb0ES6_15HIP_vector_typeIjLj2EENS0_17counting_iteratorIjlEEPS9_SG_NS0_5tupleIJPjSI_NS0_16reverse_iteratorISI_EEEEENSH_IJSG_SG_SG_EEES9_SI_JZNS1_25segmented_radix_sort_implINS0_14default_configELb1EPKsPsPKlPlN2at6native12_GLOBAL__N_18offset_tEEE10hipError_tPvRmT1_PNSt15iterator_traitsIS12_E10value_typeET2_T3_PNS13_IS18_E10value_typeET4_jRbjT5_S1E_jjP12ihipStream_tbEUljE_ZNSN_ISO_Lb1ESQ_SR_ST_SU_SY_EESZ_S10_S11_S12_S16_S17_S18_S1B_S1C_jS1D_jS1E_S1E_jjS1G_bEUljE0_EEESZ_S10_S11_S18_S1C_S1E_T6_T7_T9_mT8_S1G_bDpT10_ENKUlT_T0_E_clISt17integral_constantIbLb0EES1U_EEDaS1P_S1Q_EUlS1P_E_NS1_11comp_targetILNS1_3genE10ELNS1_11target_archE1200ELNS1_3gpuE4ELNS1_3repE0EEENS1_30default_config_static_selectorELNS0_4arch9wavefront6targetE0EEEvS12_ ; -- Begin function _ZN7rocprim17ROCPRIM_400000_NS6detail17trampoline_kernelINS0_13select_configILj256ELj13ELNS0_17block_load_methodE3ELS4_3ELS4_3ELNS0_20block_scan_algorithmE0ELj4294967295EEENS1_25partition_config_selectorILNS1_17partition_subalgoE4EjNS0_10empty_typeEbEEZZNS1_14partition_implILS8_4ELb0ES6_15HIP_vector_typeIjLj2EENS0_17counting_iteratorIjlEEPS9_SG_NS0_5tupleIJPjSI_NS0_16reverse_iteratorISI_EEEEENSH_IJSG_SG_SG_EEES9_SI_JZNS1_25segmented_radix_sort_implINS0_14default_configELb1EPKsPsPKlPlN2at6native12_GLOBAL__N_18offset_tEEE10hipError_tPvRmT1_PNSt15iterator_traitsIS12_E10value_typeET2_T3_PNS13_IS18_E10value_typeET4_jRbjT5_S1E_jjP12ihipStream_tbEUljE_ZNSN_ISO_Lb1ESQ_SR_ST_SU_SY_EESZ_S10_S11_S12_S16_S17_S18_S1B_S1C_jS1D_jS1E_S1E_jjS1G_bEUljE0_EEESZ_S10_S11_S18_S1C_S1E_T6_T7_T9_mT8_S1G_bDpT10_ENKUlT_T0_E_clISt17integral_constantIbLb0EES1U_EEDaS1P_S1Q_EUlS1P_E_NS1_11comp_targetILNS1_3genE10ELNS1_11target_archE1200ELNS1_3gpuE4ELNS1_3repE0EEENS1_30default_config_static_selectorELNS0_4arch9wavefront6targetE0EEEvS12_
	.p2align	8
	.type	_ZN7rocprim17ROCPRIM_400000_NS6detail17trampoline_kernelINS0_13select_configILj256ELj13ELNS0_17block_load_methodE3ELS4_3ELS4_3ELNS0_20block_scan_algorithmE0ELj4294967295EEENS1_25partition_config_selectorILNS1_17partition_subalgoE4EjNS0_10empty_typeEbEEZZNS1_14partition_implILS8_4ELb0ES6_15HIP_vector_typeIjLj2EENS0_17counting_iteratorIjlEEPS9_SG_NS0_5tupleIJPjSI_NS0_16reverse_iteratorISI_EEEEENSH_IJSG_SG_SG_EEES9_SI_JZNS1_25segmented_radix_sort_implINS0_14default_configELb1EPKsPsPKlPlN2at6native12_GLOBAL__N_18offset_tEEE10hipError_tPvRmT1_PNSt15iterator_traitsIS12_E10value_typeET2_T3_PNS13_IS18_E10value_typeET4_jRbjT5_S1E_jjP12ihipStream_tbEUljE_ZNSN_ISO_Lb1ESQ_SR_ST_SU_SY_EESZ_S10_S11_S12_S16_S17_S18_S1B_S1C_jS1D_jS1E_S1E_jjS1G_bEUljE0_EEESZ_S10_S11_S18_S1C_S1E_T6_T7_T9_mT8_S1G_bDpT10_ENKUlT_T0_E_clISt17integral_constantIbLb0EES1U_EEDaS1P_S1Q_EUlS1P_E_NS1_11comp_targetILNS1_3genE10ELNS1_11target_archE1200ELNS1_3gpuE4ELNS1_3repE0EEENS1_30default_config_static_selectorELNS0_4arch9wavefront6targetE0EEEvS12_,@function
_ZN7rocprim17ROCPRIM_400000_NS6detail17trampoline_kernelINS0_13select_configILj256ELj13ELNS0_17block_load_methodE3ELS4_3ELS4_3ELNS0_20block_scan_algorithmE0ELj4294967295EEENS1_25partition_config_selectorILNS1_17partition_subalgoE4EjNS0_10empty_typeEbEEZZNS1_14partition_implILS8_4ELb0ES6_15HIP_vector_typeIjLj2EENS0_17counting_iteratorIjlEEPS9_SG_NS0_5tupleIJPjSI_NS0_16reverse_iteratorISI_EEEEENSH_IJSG_SG_SG_EEES9_SI_JZNS1_25segmented_radix_sort_implINS0_14default_configELb1EPKsPsPKlPlN2at6native12_GLOBAL__N_18offset_tEEE10hipError_tPvRmT1_PNSt15iterator_traitsIS12_E10value_typeET2_T3_PNS13_IS18_E10value_typeET4_jRbjT5_S1E_jjP12ihipStream_tbEUljE_ZNSN_ISO_Lb1ESQ_SR_ST_SU_SY_EESZ_S10_S11_S12_S16_S17_S18_S1B_S1C_jS1D_jS1E_S1E_jjS1G_bEUljE0_EEESZ_S10_S11_S18_S1C_S1E_T6_T7_T9_mT8_S1G_bDpT10_ENKUlT_T0_E_clISt17integral_constantIbLb0EES1U_EEDaS1P_S1Q_EUlS1P_E_NS1_11comp_targetILNS1_3genE10ELNS1_11target_archE1200ELNS1_3gpuE4ELNS1_3repE0EEENS1_30default_config_static_selectorELNS0_4arch9wavefront6targetE0EEEvS12_: ; @_ZN7rocprim17ROCPRIM_400000_NS6detail17trampoline_kernelINS0_13select_configILj256ELj13ELNS0_17block_load_methodE3ELS4_3ELS4_3ELNS0_20block_scan_algorithmE0ELj4294967295EEENS1_25partition_config_selectorILNS1_17partition_subalgoE4EjNS0_10empty_typeEbEEZZNS1_14partition_implILS8_4ELb0ES6_15HIP_vector_typeIjLj2EENS0_17counting_iteratorIjlEEPS9_SG_NS0_5tupleIJPjSI_NS0_16reverse_iteratorISI_EEEEENSH_IJSG_SG_SG_EEES9_SI_JZNS1_25segmented_radix_sort_implINS0_14default_configELb1EPKsPsPKlPlN2at6native12_GLOBAL__N_18offset_tEEE10hipError_tPvRmT1_PNSt15iterator_traitsIS12_E10value_typeET2_T3_PNS13_IS18_E10value_typeET4_jRbjT5_S1E_jjP12ihipStream_tbEUljE_ZNSN_ISO_Lb1ESQ_SR_ST_SU_SY_EESZ_S10_S11_S12_S16_S17_S18_S1B_S1C_jS1D_jS1E_S1E_jjS1G_bEUljE0_EEESZ_S10_S11_S18_S1C_S1E_T6_T7_T9_mT8_S1G_bDpT10_ENKUlT_T0_E_clISt17integral_constantIbLb0EES1U_EEDaS1P_S1Q_EUlS1P_E_NS1_11comp_targetILNS1_3genE10ELNS1_11target_archE1200ELNS1_3gpuE4ELNS1_3repE0EEENS1_30default_config_static_selectorELNS0_4arch9wavefront6targetE0EEEvS12_
; %bb.0:
	.section	.rodata,"a",@progbits
	.p2align	6, 0x0
	.amdhsa_kernel _ZN7rocprim17ROCPRIM_400000_NS6detail17trampoline_kernelINS0_13select_configILj256ELj13ELNS0_17block_load_methodE3ELS4_3ELS4_3ELNS0_20block_scan_algorithmE0ELj4294967295EEENS1_25partition_config_selectorILNS1_17partition_subalgoE4EjNS0_10empty_typeEbEEZZNS1_14partition_implILS8_4ELb0ES6_15HIP_vector_typeIjLj2EENS0_17counting_iteratorIjlEEPS9_SG_NS0_5tupleIJPjSI_NS0_16reverse_iteratorISI_EEEEENSH_IJSG_SG_SG_EEES9_SI_JZNS1_25segmented_radix_sort_implINS0_14default_configELb1EPKsPsPKlPlN2at6native12_GLOBAL__N_18offset_tEEE10hipError_tPvRmT1_PNSt15iterator_traitsIS12_E10value_typeET2_T3_PNS13_IS18_E10value_typeET4_jRbjT5_S1E_jjP12ihipStream_tbEUljE_ZNSN_ISO_Lb1ESQ_SR_ST_SU_SY_EESZ_S10_S11_S12_S16_S17_S18_S1B_S1C_jS1D_jS1E_S1E_jjS1G_bEUljE0_EEESZ_S10_S11_S18_S1C_S1E_T6_T7_T9_mT8_S1G_bDpT10_ENKUlT_T0_E_clISt17integral_constantIbLb0EES1U_EEDaS1P_S1Q_EUlS1P_E_NS1_11comp_targetILNS1_3genE10ELNS1_11target_archE1200ELNS1_3gpuE4ELNS1_3repE0EEENS1_30default_config_static_selectorELNS0_4arch9wavefront6targetE0EEEvS12_
		.amdhsa_group_segment_fixed_size 0
		.amdhsa_private_segment_fixed_size 0
		.amdhsa_kernarg_size 176
		.amdhsa_user_sgpr_count 2
		.amdhsa_user_sgpr_dispatch_ptr 0
		.amdhsa_user_sgpr_queue_ptr 0
		.amdhsa_user_sgpr_kernarg_segment_ptr 1
		.amdhsa_user_sgpr_dispatch_id 0
		.amdhsa_user_sgpr_kernarg_preload_length 0
		.amdhsa_user_sgpr_kernarg_preload_offset 0
		.amdhsa_user_sgpr_private_segment_size 0
		.amdhsa_wavefront_size32 1
		.amdhsa_uses_dynamic_stack 0
		.amdhsa_enable_private_segment 0
		.amdhsa_system_sgpr_workgroup_id_x 1
		.amdhsa_system_sgpr_workgroup_id_y 0
		.amdhsa_system_sgpr_workgroup_id_z 0
		.amdhsa_system_sgpr_workgroup_info 0
		.amdhsa_system_vgpr_workitem_id 0
		.amdhsa_next_free_vgpr 1
		.amdhsa_next_free_sgpr 1
		.amdhsa_named_barrier_count 0
		.amdhsa_reserve_vcc 0
		.amdhsa_float_round_mode_32 0
		.amdhsa_float_round_mode_16_64 0
		.amdhsa_float_denorm_mode_32 3
		.amdhsa_float_denorm_mode_16_64 3
		.amdhsa_fp16_overflow 0
		.amdhsa_memory_ordered 1
		.amdhsa_forward_progress 1
		.amdhsa_inst_pref_size 0
		.amdhsa_round_robin_scheduling 0
		.amdhsa_exception_fp_ieee_invalid_op 0
		.amdhsa_exception_fp_denorm_src 0
		.amdhsa_exception_fp_ieee_div_zero 0
		.amdhsa_exception_fp_ieee_overflow 0
		.amdhsa_exception_fp_ieee_underflow 0
		.amdhsa_exception_fp_ieee_inexact 0
		.amdhsa_exception_int_div_zero 0
	.end_amdhsa_kernel
	.section	.text._ZN7rocprim17ROCPRIM_400000_NS6detail17trampoline_kernelINS0_13select_configILj256ELj13ELNS0_17block_load_methodE3ELS4_3ELS4_3ELNS0_20block_scan_algorithmE0ELj4294967295EEENS1_25partition_config_selectorILNS1_17partition_subalgoE4EjNS0_10empty_typeEbEEZZNS1_14partition_implILS8_4ELb0ES6_15HIP_vector_typeIjLj2EENS0_17counting_iteratorIjlEEPS9_SG_NS0_5tupleIJPjSI_NS0_16reverse_iteratorISI_EEEEENSH_IJSG_SG_SG_EEES9_SI_JZNS1_25segmented_radix_sort_implINS0_14default_configELb1EPKsPsPKlPlN2at6native12_GLOBAL__N_18offset_tEEE10hipError_tPvRmT1_PNSt15iterator_traitsIS12_E10value_typeET2_T3_PNS13_IS18_E10value_typeET4_jRbjT5_S1E_jjP12ihipStream_tbEUljE_ZNSN_ISO_Lb1ESQ_SR_ST_SU_SY_EESZ_S10_S11_S12_S16_S17_S18_S1B_S1C_jS1D_jS1E_S1E_jjS1G_bEUljE0_EEESZ_S10_S11_S18_S1C_S1E_T6_T7_T9_mT8_S1G_bDpT10_ENKUlT_T0_E_clISt17integral_constantIbLb0EES1U_EEDaS1P_S1Q_EUlS1P_E_NS1_11comp_targetILNS1_3genE10ELNS1_11target_archE1200ELNS1_3gpuE4ELNS1_3repE0EEENS1_30default_config_static_selectorELNS0_4arch9wavefront6targetE0EEEvS12_,"axG",@progbits,_ZN7rocprim17ROCPRIM_400000_NS6detail17trampoline_kernelINS0_13select_configILj256ELj13ELNS0_17block_load_methodE3ELS4_3ELS4_3ELNS0_20block_scan_algorithmE0ELj4294967295EEENS1_25partition_config_selectorILNS1_17partition_subalgoE4EjNS0_10empty_typeEbEEZZNS1_14partition_implILS8_4ELb0ES6_15HIP_vector_typeIjLj2EENS0_17counting_iteratorIjlEEPS9_SG_NS0_5tupleIJPjSI_NS0_16reverse_iteratorISI_EEEEENSH_IJSG_SG_SG_EEES9_SI_JZNS1_25segmented_radix_sort_implINS0_14default_configELb1EPKsPsPKlPlN2at6native12_GLOBAL__N_18offset_tEEE10hipError_tPvRmT1_PNSt15iterator_traitsIS12_E10value_typeET2_T3_PNS13_IS18_E10value_typeET4_jRbjT5_S1E_jjP12ihipStream_tbEUljE_ZNSN_ISO_Lb1ESQ_SR_ST_SU_SY_EESZ_S10_S11_S12_S16_S17_S18_S1B_S1C_jS1D_jS1E_S1E_jjS1G_bEUljE0_EEESZ_S10_S11_S18_S1C_S1E_T6_T7_T9_mT8_S1G_bDpT10_ENKUlT_T0_E_clISt17integral_constantIbLb0EES1U_EEDaS1P_S1Q_EUlS1P_E_NS1_11comp_targetILNS1_3genE10ELNS1_11target_archE1200ELNS1_3gpuE4ELNS1_3repE0EEENS1_30default_config_static_selectorELNS0_4arch9wavefront6targetE0EEEvS12_,comdat
.Lfunc_end848:
	.size	_ZN7rocprim17ROCPRIM_400000_NS6detail17trampoline_kernelINS0_13select_configILj256ELj13ELNS0_17block_load_methodE3ELS4_3ELS4_3ELNS0_20block_scan_algorithmE0ELj4294967295EEENS1_25partition_config_selectorILNS1_17partition_subalgoE4EjNS0_10empty_typeEbEEZZNS1_14partition_implILS8_4ELb0ES6_15HIP_vector_typeIjLj2EENS0_17counting_iteratorIjlEEPS9_SG_NS0_5tupleIJPjSI_NS0_16reverse_iteratorISI_EEEEENSH_IJSG_SG_SG_EEES9_SI_JZNS1_25segmented_radix_sort_implINS0_14default_configELb1EPKsPsPKlPlN2at6native12_GLOBAL__N_18offset_tEEE10hipError_tPvRmT1_PNSt15iterator_traitsIS12_E10value_typeET2_T3_PNS13_IS18_E10value_typeET4_jRbjT5_S1E_jjP12ihipStream_tbEUljE_ZNSN_ISO_Lb1ESQ_SR_ST_SU_SY_EESZ_S10_S11_S12_S16_S17_S18_S1B_S1C_jS1D_jS1E_S1E_jjS1G_bEUljE0_EEESZ_S10_S11_S18_S1C_S1E_T6_T7_T9_mT8_S1G_bDpT10_ENKUlT_T0_E_clISt17integral_constantIbLb0EES1U_EEDaS1P_S1Q_EUlS1P_E_NS1_11comp_targetILNS1_3genE10ELNS1_11target_archE1200ELNS1_3gpuE4ELNS1_3repE0EEENS1_30default_config_static_selectorELNS0_4arch9wavefront6targetE0EEEvS12_, .Lfunc_end848-_ZN7rocprim17ROCPRIM_400000_NS6detail17trampoline_kernelINS0_13select_configILj256ELj13ELNS0_17block_load_methodE3ELS4_3ELS4_3ELNS0_20block_scan_algorithmE0ELj4294967295EEENS1_25partition_config_selectorILNS1_17partition_subalgoE4EjNS0_10empty_typeEbEEZZNS1_14partition_implILS8_4ELb0ES6_15HIP_vector_typeIjLj2EENS0_17counting_iteratorIjlEEPS9_SG_NS0_5tupleIJPjSI_NS0_16reverse_iteratorISI_EEEEENSH_IJSG_SG_SG_EEES9_SI_JZNS1_25segmented_radix_sort_implINS0_14default_configELb1EPKsPsPKlPlN2at6native12_GLOBAL__N_18offset_tEEE10hipError_tPvRmT1_PNSt15iterator_traitsIS12_E10value_typeET2_T3_PNS13_IS18_E10value_typeET4_jRbjT5_S1E_jjP12ihipStream_tbEUljE_ZNSN_ISO_Lb1ESQ_SR_ST_SU_SY_EESZ_S10_S11_S12_S16_S17_S18_S1B_S1C_jS1D_jS1E_S1E_jjS1G_bEUljE0_EEESZ_S10_S11_S18_S1C_S1E_T6_T7_T9_mT8_S1G_bDpT10_ENKUlT_T0_E_clISt17integral_constantIbLb0EES1U_EEDaS1P_S1Q_EUlS1P_E_NS1_11comp_targetILNS1_3genE10ELNS1_11target_archE1200ELNS1_3gpuE4ELNS1_3repE0EEENS1_30default_config_static_selectorELNS0_4arch9wavefront6targetE0EEEvS12_
                                        ; -- End function
	.set _ZN7rocprim17ROCPRIM_400000_NS6detail17trampoline_kernelINS0_13select_configILj256ELj13ELNS0_17block_load_methodE3ELS4_3ELS4_3ELNS0_20block_scan_algorithmE0ELj4294967295EEENS1_25partition_config_selectorILNS1_17partition_subalgoE4EjNS0_10empty_typeEbEEZZNS1_14partition_implILS8_4ELb0ES6_15HIP_vector_typeIjLj2EENS0_17counting_iteratorIjlEEPS9_SG_NS0_5tupleIJPjSI_NS0_16reverse_iteratorISI_EEEEENSH_IJSG_SG_SG_EEES9_SI_JZNS1_25segmented_radix_sort_implINS0_14default_configELb1EPKsPsPKlPlN2at6native12_GLOBAL__N_18offset_tEEE10hipError_tPvRmT1_PNSt15iterator_traitsIS12_E10value_typeET2_T3_PNS13_IS18_E10value_typeET4_jRbjT5_S1E_jjP12ihipStream_tbEUljE_ZNSN_ISO_Lb1ESQ_SR_ST_SU_SY_EESZ_S10_S11_S12_S16_S17_S18_S1B_S1C_jS1D_jS1E_S1E_jjS1G_bEUljE0_EEESZ_S10_S11_S18_S1C_S1E_T6_T7_T9_mT8_S1G_bDpT10_ENKUlT_T0_E_clISt17integral_constantIbLb0EES1U_EEDaS1P_S1Q_EUlS1P_E_NS1_11comp_targetILNS1_3genE10ELNS1_11target_archE1200ELNS1_3gpuE4ELNS1_3repE0EEENS1_30default_config_static_selectorELNS0_4arch9wavefront6targetE0EEEvS12_.num_vgpr, 0
	.set _ZN7rocprim17ROCPRIM_400000_NS6detail17trampoline_kernelINS0_13select_configILj256ELj13ELNS0_17block_load_methodE3ELS4_3ELS4_3ELNS0_20block_scan_algorithmE0ELj4294967295EEENS1_25partition_config_selectorILNS1_17partition_subalgoE4EjNS0_10empty_typeEbEEZZNS1_14partition_implILS8_4ELb0ES6_15HIP_vector_typeIjLj2EENS0_17counting_iteratorIjlEEPS9_SG_NS0_5tupleIJPjSI_NS0_16reverse_iteratorISI_EEEEENSH_IJSG_SG_SG_EEES9_SI_JZNS1_25segmented_radix_sort_implINS0_14default_configELb1EPKsPsPKlPlN2at6native12_GLOBAL__N_18offset_tEEE10hipError_tPvRmT1_PNSt15iterator_traitsIS12_E10value_typeET2_T3_PNS13_IS18_E10value_typeET4_jRbjT5_S1E_jjP12ihipStream_tbEUljE_ZNSN_ISO_Lb1ESQ_SR_ST_SU_SY_EESZ_S10_S11_S12_S16_S17_S18_S1B_S1C_jS1D_jS1E_S1E_jjS1G_bEUljE0_EEESZ_S10_S11_S18_S1C_S1E_T6_T7_T9_mT8_S1G_bDpT10_ENKUlT_T0_E_clISt17integral_constantIbLb0EES1U_EEDaS1P_S1Q_EUlS1P_E_NS1_11comp_targetILNS1_3genE10ELNS1_11target_archE1200ELNS1_3gpuE4ELNS1_3repE0EEENS1_30default_config_static_selectorELNS0_4arch9wavefront6targetE0EEEvS12_.num_agpr, 0
	.set _ZN7rocprim17ROCPRIM_400000_NS6detail17trampoline_kernelINS0_13select_configILj256ELj13ELNS0_17block_load_methodE3ELS4_3ELS4_3ELNS0_20block_scan_algorithmE0ELj4294967295EEENS1_25partition_config_selectorILNS1_17partition_subalgoE4EjNS0_10empty_typeEbEEZZNS1_14partition_implILS8_4ELb0ES6_15HIP_vector_typeIjLj2EENS0_17counting_iteratorIjlEEPS9_SG_NS0_5tupleIJPjSI_NS0_16reverse_iteratorISI_EEEEENSH_IJSG_SG_SG_EEES9_SI_JZNS1_25segmented_radix_sort_implINS0_14default_configELb1EPKsPsPKlPlN2at6native12_GLOBAL__N_18offset_tEEE10hipError_tPvRmT1_PNSt15iterator_traitsIS12_E10value_typeET2_T3_PNS13_IS18_E10value_typeET4_jRbjT5_S1E_jjP12ihipStream_tbEUljE_ZNSN_ISO_Lb1ESQ_SR_ST_SU_SY_EESZ_S10_S11_S12_S16_S17_S18_S1B_S1C_jS1D_jS1E_S1E_jjS1G_bEUljE0_EEESZ_S10_S11_S18_S1C_S1E_T6_T7_T9_mT8_S1G_bDpT10_ENKUlT_T0_E_clISt17integral_constantIbLb0EES1U_EEDaS1P_S1Q_EUlS1P_E_NS1_11comp_targetILNS1_3genE10ELNS1_11target_archE1200ELNS1_3gpuE4ELNS1_3repE0EEENS1_30default_config_static_selectorELNS0_4arch9wavefront6targetE0EEEvS12_.numbered_sgpr, 0
	.set _ZN7rocprim17ROCPRIM_400000_NS6detail17trampoline_kernelINS0_13select_configILj256ELj13ELNS0_17block_load_methodE3ELS4_3ELS4_3ELNS0_20block_scan_algorithmE0ELj4294967295EEENS1_25partition_config_selectorILNS1_17partition_subalgoE4EjNS0_10empty_typeEbEEZZNS1_14partition_implILS8_4ELb0ES6_15HIP_vector_typeIjLj2EENS0_17counting_iteratorIjlEEPS9_SG_NS0_5tupleIJPjSI_NS0_16reverse_iteratorISI_EEEEENSH_IJSG_SG_SG_EEES9_SI_JZNS1_25segmented_radix_sort_implINS0_14default_configELb1EPKsPsPKlPlN2at6native12_GLOBAL__N_18offset_tEEE10hipError_tPvRmT1_PNSt15iterator_traitsIS12_E10value_typeET2_T3_PNS13_IS18_E10value_typeET4_jRbjT5_S1E_jjP12ihipStream_tbEUljE_ZNSN_ISO_Lb1ESQ_SR_ST_SU_SY_EESZ_S10_S11_S12_S16_S17_S18_S1B_S1C_jS1D_jS1E_S1E_jjS1G_bEUljE0_EEESZ_S10_S11_S18_S1C_S1E_T6_T7_T9_mT8_S1G_bDpT10_ENKUlT_T0_E_clISt17integral_constantIbLb0EES1U_EEDaS1P_S1Q_EUlS1P_E_NS1_11comp_targetILNS1_3genE10ELNS1_11target_archE1200ELNS1_3gpuE4ELNS1_3repE0EEENS1_30default_config_static_selectorELNS0_4arch9wavefront6targetE0EEEvS12_.num_named_barrier, 0
	.set _ZN7rocprim17ROCPRIM_400000_NS6detail17trampoline_kernelINS0_13select_configILj256ELj13ELNS0_17block_load_methodE3ELS4_3ELS4_3ELNS0_20block_scan_algorithmE0ELj4294967295EEENS1_25partition_config_selectorILNS1_17partition_subalgoE4EjNS0_10empty_typeEbEEZZNS1_14partition_implILS8_4ELb0ES6_15HIP_vector_typeIjLj2EENS0_17counting_iteratorIjlEEPS9_SG_NS0_5tupleIJPjSI_NS0_16reverse_iteratorISI_EEEEENSH_IJSG_SG_SG_EEES9_SI_JZNS1_25segmented_radix_sort_implINS0_14default_configELb1EPKsPsPKlPlN2at6native12_GLOBAL__N_18offset_tEEE10hipError_tPvRmT1_PNSt15iterator_traitsIS12_E10value_typeET2_T3_PNS13_IS18_E10value_typeET4_jRbjT5_S1E_jjP12ihipStream_tbEUljE_ZNSN_ISO_Lb1ESQ_SR_ST_SU_SY_EESZ_S10_S11_S12_S16_S17_S18_S1B_S1C_jS1D_jS1E_S1E_jjS1G_bEUljE0_EEESZ_S10_S11_S18_S1C_S1E_T6_T7_T9_mT8_S1G_bDpT10_ENKUlT_T0_E_clISt17integral_constantIbLb0EES1U_EEDaS1P_S1Q_EUlS1P_E_NS1_11comp_targetILNS1_3genE10ELNS1_11target_archE1200ELNS1_3gpuE4ELNS1_3repE0EEENS1_30default_config_static_selectorELNS0_4arch9wavefront6targetE0EEEvS12_.private_seg_size, 0
	.set _ZN7rocprim17ROCPRIM_400000_NS6detail17trampoline_kernelINS0_13select_configILj256ELj13ELNS0_17block_load_methodE3ELS4_3ELS4_3ELNS0_20block_scan_algorithmE0ELj4294967295EEENS1_25partition_config_selectorILNS1_17partition_subalgoE4EjNS0_10empty_typeEbEEZZNS1_14partition_implILS8_4ELb0ES6_15HIP_vector_typeIjLj2EENS0_17counting_iteratorIjlEEPS9_SG_NS0_5tupleIJPjSI_NS0_16reverse_iteratorISI_EEEEENSH_IJSG_SG_SG_EEES9_SI_JZNS1_25segmented_radix_sort_implINS0_14default_configELb1EPKsPsPKlPlN2at6native12_GLOBAL__N_18offset_tEEE10hipError_tPvRmT1_PNSt15iterator_traitsIS12_E10value_typeET2_T3_PNS13_IS18_E10value_typeET4_jRbjT5_S1E_jjP12ihipStream_tbEUljE_ZNSN_ISO_Lb1ESQ_SR_ST_SU_SY_EESZ_S10_S11_S12_S16_S17_S18_S1B_S1C_jS1D_jS1E_S1E_jjS1G_bEUljE0_EEESZ_S10_S11_S18_S1C_S1E_T6_T7_T9_mT8_S1G_bDpT10_ENKUlT_T0_E_clISt17integral_constantIbLb0EES1U_EEDaS1P_S1Q_EUlS1P_E_NS1_11comp_targetILNS1_3genE10ELNS1_11target_archE1200ELNS1_3gpuE4ELNS1_3repE0EEENS1_30default_config_static_selectorELNS0_4arch9wavefront6targetE0EEEvS12_.uses_vcc, 0
	.set _ZN7rocprim17ROCPRIM_400000_NS6detail17trampoline_kernelINS0_13select_configILj256ELj13ELNS0_17block_load_methodE3ELS4_3ELS4_3ELNS0_20block_scan_algorithmE0ELj4294967295EEENS1_25partition_config_selectorILNS1_17partition_subalgoE4EjNS0_10empty_typeEbEEZZNS1_14partition_implILS8_4ELb0ES6_15HIP_vector_typeIjLj2EENS0_17counting_iteratorIjlEEPS9_SG_NS0_5tupleIJPjSI_NS0_16reverse_iteratorISI_EEEEENSH_IJSG_SG_SG_EEES9_SI_JZNS1_25segmented_radix_sort_implINS0_14default_configELb1EPKsPsPKlPlN2at6native12_GLOBAL__N_18offset_tEEE10hipError_tPvRmT1_PNSt15iterator_traitsIS12_E10value_typeET2_T3_PNS13_IS18_E10value_typeET4_jRbjT5_S1E_jjP12ihipStream_tbEUljE_ZNSN_ISO_Lb1ESQ_SR_ST_SU_SY_EESZ_S10_S11_S12_S16_S17_S18_S1B_S1C_jS1D_jS1E_S1E_jjS1G_bEUljE0_EEESZ_S10_S11_S18_S1C_S1E_T6_T7_T9_mT8_S1G_bDpT10_ENKUlT_T0_E_clISt17integral_constantIbLb0EES1U_EEDaS1P_S1Q_EUlS1P_E_NS1_11comp_targetILNS1_3genE10ELNS1_11target_archE1200ELNS1_3gpuE4ELNS1_3repE0EEENS1_30default_config_static_selectorELNS0_4arch9wavefront6targetE0EEEvS12_.uses_flat_scratch, 0
	.set _ZN7rocprim17ROCPRIM_400000_NS6detail17trampoline_kernelINS0_13select_configILj256ELj13ELNS0_17block_load_methodE3ELS4_3ELS4_3ELNS0_20block_scan_algorithmE0ELj4294967295EEENS1_25partition_config_selectorILNS1_17partition_subalgoE4EjNS0_10empty_typeEbEEZZNS1_14partition_implILS8_4ELb0ES6_15HIP_vector_typeIjLj2EENS0_17counting_iteratorIjlEEPS9_SG_NS0_5tupleIJPjSI_NS0_16reverse_iteratorISI_EEEEENSH_IJSG_SG_SG_EEES9_SI_JZNS1_25segmented_radix_sort_implINS0_14default_configELb1EPKsPsPKlPlN2at6native12_GLOBAL__N_18offset_tEEE10hipError_tPvRmT1_PNSt15iterator_traitsIS12_E10value_typeET2_T3_PNS13_IS18_E10value_typeET4_jRbjT5_S1E_jjP12ihipStream_tbEUljE_ZNSN_ISO_Lb1ESQ_SR_ST_SU_SY_EESZ_S10_S11_S12_S16_S17_S18_S1B_S1C_jS1D_jS1E_S1E_jjS1G_bEUljE0_EEESZ_S10_S11_S18_S1C_S1E_T6_T7_T9_mT8_S1G_bDpT10_ENKUlT_T0_E_clISt17integral_constantIbLb0EES1U_EEDaS1P_S1Q_EUlS1P_E_NS1_11comp_targetILNS1_3genE10ELNS1_11target_archE1200ELNS1_3gpuE4ELNS1_3repE0EEENS1_30default_config_static_selectorELNS0_4arch9wavefront6targetE0EEEvS12_.has_dyn_sized_stack, 0
	.set _ZN7rocprim17ROCPRIM_400000_NS6detail17trampoline_kernelINS0_13select_configILj256ELj13ELNS0_17block_load_methodE3ELS4_3ELS4_3ELNS0_20block_scan_algorithmE0ELj4294967295EEENS1_25partition_config_selectorILNS1_17partition_subalgoE4EjNS0_10empty_typeEbEEZZNS1_14partition_implILS8_4ELb0ES6_15HIP_vector_typeIjLj2EENS0_17counting_iteratorIjlEEPS9_SG_NS0_5tupleIJPjSI_NS0_16reverse_iteratorISI_EEEEENSH_IJSG_SG_SG_EEES9_SI_JZNS1_25segmented_radix_sort_implINS0_14default_configELb1EPKsPsPKlPlN2at6native12_GLOBAL__N_18offset_tEEE10hipError_tPvRmT1_PNSt15iterator_traitsIS12_E10value_typeET2_T3_PNS13_IS18_E10value_typeET4_jRbjT5_S1E_jjP12ihipStream_tbEUljE_ZNSN_ISO_Lb1ESQ_SR_ST_SU_SY_EESZ_S10_S11_S12_S16_S17_S18_S1B_S1C_jS1D_jS1E_S1E_jjS1G_bEUljE0_EEESZ_S10_S11_S18_S1C_S1E_T6_T7_T9_mT8_S1G_bDpT10_ENKUlT_T0_E_clISt17integral_constantIbLb0EES1U_EEDaS1P_S1Q_EUlS1P_E_NS1_11comp_targetILNS1_3genE10ELNS1_11target_archE1200ELNS1_3gpuE4ELNS1_3repE0EEENS1_30default_config_static_selectorELNS0_4arch9wavefront6targetE0EEEvS12_.has_recursion, 0
	.set _ZN7rocprim17ROCPRIM_400000_NS6detail17trampoline_kernelINS0_13select_configILj256ELj13ELNS0_17block_load_methodE3ELS4_3ELS4_3ELNS0_20block_scan_algorithmE0ELj4294967295EEENS1_25partition_config_selectorILNS1_17partition_subalgoE4EjNS0_10empty_typeEbEEZZNS1_14partition_implILS8_4ELb0ES6_15HIP_vector_typeIjLj2EENS0_17counting_iteratorIjlEEPS9_SG_NS0_5tupleIJPjSI_NS0_16reverse_iteratorISI_EEEEENSH_IJSG_SG_SG_EEES9_SI_JZNS1_25segmented_radix_sort_implINS0_14default_configELb1EPKsPsPKlPlN2at6native12_GLOBAL__N_18offset_tEEE10hipError_tPvRmT1_PNSt15iterator_traitsIS12_E10value_typeET2_T3_PNS13_IS18_E10value_typeET4_jRbjT5_S1E_jjP12ihipStream_tbEUljE_ZNSN_ISO_Lb1ESQ_SR_ST_SU_SY_EESZ_S10_S11_S12_S16_S17_S18_S1B_S1C_jS1D_jS1E_S1E_jjS1G_bEUljE0_EEESZ_S10_S11_S18_S1C_S1E_T6_T7_T9_mT8_S1G_bDpT10_ENKUlT_T0_E_clISt17integral_constantIbLb0EES1U_EEDaS1P_S1Q_EUlS1P_E_NS1_11comp_targetILNS1_3genE10ELNS1_11target_archE1200ELNS1_3gpuE4ELNS1_3repE0EEENS1_30default_config_static_selectorELNS0_4arch9wavefront6targetE0EEEvS12_.has_indirect_call, 0
	.section	.AMDGPU.csdata,"",@progbits
; Kernel info:
; codeLenInByte = 0
; TotalNumSgprs: 0
; NumVgprs: 0
; ScratchSize: 0
; MemoryBound: 0
; FloatMode: 240
; IeeeMode: 1
; LDSByteSize: 0 bytes/workgroup (compile time only)
; SGPRBlocks: 0
; VGPRBlocks: 0
; NumSGPRsForWavesPerEU: 1
; NumVGPRsForWavesPerEU: 1
; NamedBarCnt: 0
; Occupancy: 16
; WaveLimiterHint : 0
; COMPUTE_PGM_RSRC2:SCRATCH_EN: 0
; COMPUTE_PGM_RSRC2:USER_SGPR: 2
; COMPUTE_PGM_RSRC2:TRAP_HANDLER: 0
; COMPUTE_PGM_RSRC2:TGID_X_EN: 1
; COMPUTE_PGM_RSRC2:TGID_Y_EN: 0
; COMPUTE_PGM_RSRC2:TGID_Z_EN: 0
; COMPUTE_PGM_RSRC2:TIDIG_COMP_CNT: 0
	.section	.text._ZN7rocprim17ROCPRIM_400000_NS6detail17trampoline_kernelINS0_13select_configILj256ELj13ELNS0_17block_load_methodE3ELS4_3ELS4_3ELNS0_20block_scan_algorithmE0ELj4294967295EEENS1_25partition_config_selectorILNS1_17partition_subalgoE4EjNS0_10empty_typeEbEEZZNS1_14partition_implILS8_4ELb0ES6_15HIP_vector_typeIjLj2EENS0_17counting_iteratorIjlEEPS9_SG_NS0_5tupleIJPjSI_NS0_16reverse_iteratorISI_EEEEENSH_IJSG_SG_SG_EEES9_SI_JZNS1_25segmented_radix_sort_implINS0_14default_configELb1EPKsPsPKlPlN2at6native12_GLOBAL__N_18offset_tEEE10hipError_tPvRmT1_PNSt15iterator_traitsIS12_E10value_typeET2_T3_PNS13_IS18_E10value_typeET4_jRbjT5_S1E_jjP12ihipStream_tbEUljE_ZNSN_ISO_Lb1ESQ_SR_ST_SU_SY_EESZ_S10_S11_S12_S16_S17_S18_S1B_S1C_jS1D_jS1E_S1E_jjS1G_bEUljE0_EEESZ_S10_S11_S18_S1C_S1E_T6_T7_T9_mT8_S1G_bDpT10_ENKUlT_T0_E_clISt17integral_constantIbLb0EES1U_EEDaS1P_S1Q_EUlS1P_E_NS1_11comp_targetILNS1_3genE9ELNS1_11target_archE1100ELNS1_3gpuE3ELNS1_3repE0EEENS1_30default_config_static_selectorELNS0_4arch9wavefront6targetE0EEEvS12_,"axG",@progbits,_ZN7rocprim17ROCPRIM_400000_NS6detail17trampoline_kernelINS0_13select_configILj256ELj13ELNS0_17block_load_methodE3ELS4_3ELS4_3ELNS0_20block_scan_algorithmE0ELj4294967295EEENS1_25partition_config_selectorILNS1_17partition_subalgoE4EjNS0_10empty_typeEbEEZZNS1_14partition_implILS8_4ELb0ES6_15HIP_vector_typeIjLj2EENS0_17counting_iteratorIjlEEPS9_SG_NS0_5tupleIJPjSI_NS0_16reverse_iteratorISI_EEEEENSH_IJSG_SG_SG_EEES9_SI_JZNS1_25segmented_radix_sort_implINS0_14default_configELb1EPKsPsPKlPlN2at6native12_GLOBAL__N_18offset_tEEE10hipError_tPvRmT1_PNSt15iterator_traitsIS12_E10value_typeET2_T3_PNS13_IS18_E10value_typeET4_jRbjT5_S1E_jjP12ihipStream_tbEUljE_ZNSN_ISO_Lb1ESQ_SR_ST_SU_SY_EESZ_S10_S11_S12_S16_S17_S18_S1B_S1C_jS1D_jS1E_S1E_jjS1G_bEUljE0_EEESZ_S10_S11_S18_S1C_S1E_T6_T7_T9_mT8_S1G_bDpT10_ENKUlT_T0_E_clISt17integral_constantIbLb0EES1U_EEDaS1P_S1Q_EUlS1P_E_NS1_11comp_targetILNS1_3genE9ELNS1_11target_archE1100ELNS1_3gpuE3ELNS1_3repE0EEENS1_30default_config_static_selectorELNS0_4arch9wavefront6targetE0EEEvS12_,comdat
	.globl	_ZN7rocprim17ROCPRIM_400000_NS6detail17trampoline_kernelINS0_13select_configILj256ELj13ELNS0_17block_load_methodE3ELS4_3ELS4_3ELNS0_20block_scan_algorithmE0ELj4294967295EEENS1_25partition_config_selectorILNS1_17partition_subalgoE4EjNS0_10empty_typeEbEEZZNS1_14partition_implILS8_4ELb0ES6_15HIP_vector_typeIjLj2EENS0_17counting_iteratorIjlEEPS9_SG_NS0_5tupleIJPjSI_NS0_16reverse_iteratorISI_EEEEENSH_IJSG_SG_SG_EEES9_SI_JZNS1_25segmented_radix_sort_implINS0_14default_configELb1EPKsPsPKlPlN2at6native12_GLOBAL__N_18offset_tEEE10hipError_tPvRmT1_PNSt15iterator_traitsIS12_E10value_typeET2_T3_PNS13_IS18_E10value_typeET4_jRbjT5_S1E_jjP12ihipStream_tbEUljE_ZNSN_ISO_Lb1ESQ_SR_ST_SU_SY_EESZ_S10_S11_S12_S16_S17_S18_S1B_S1C_jS1D_jS1E_S1E_jjS1G_bEUljE0_EEESZ_S10_S11_S18_S1C_S1E_T6_T7_T9_mT8_S1G_bDpT10_ENKUlT_T0_E_clISt17integral_constantIbLb0EES1U_EEDaS1P_S1Q_EUlS1P_E_NS1_11comp_targetILNS1_3genE9ELNS1_11target_archE1100ELNS1_3gpuE3ELNS1_3repE0EEENS1_30default_config_static_selectorELNS0_4arch9wavefront6targetE0EEEvS12_ ; -- Begin function _ZN7rocprim17ROCPRIM_400000_NS6detail17trampoline_kernelINS0_13select_configILj256ELj13ELNS0_17block_load_methodE3ELS4_3ELS4_3ELNS0_20block_scan_algorithmE0ELj4294967295EEENS1_25partition_config_selectorILNS1_17partition_subalgoE4EjNS0_10empty_typeEbEEZZNS1_14partition_implILS8_4ELb0ES6_15HIP_vector_typeIjLj2EENS0_17counting_iteratorIjlEEPS9_SG_NS0_5tupleIJPjSI_NS0_16reverse_iteratorISI_EEEEENSH_IJSG_SG_SG_EEES9_SI_JZNS1_25segmented_radix_sort_implINS0_14default_configELb1EPKsPsPKlPlN2at6native12_GLOBAL__N_18offset_tEEE10hipError_tPvRmT1_PNSt15iterator_traitsIS12_E10value_typeET2_T3_PNS13_IS18_E10value_typeET4_jRbjT5_S1E_jjP12ihipStream_tbEUljE_ZNSN_ISO_Lb1ESQ_SR_ST_SU_SY_EESZ_S10_S11_S12_S16_S17_S18_S1B_S1C_jS1D_jS1E_S1E_jjS1G_bEUljE0_EEESZ_S10_S11_S18_S1C_S1E_T6_T7_T9_mT8_S1G_bDpT10_ENKUlT_T0_E_clISt17integral_constantIbLb0EES1U_EEDaS1P_S1Q_EUlS1P_E_NS1_11comp_targetILNS1_3genE9ELNS1_11target_archE1100ELNS1_3gpuE3ELNS1_3repE0EEENS1_30default_config_static_selectorELNS0_4arch9wavefront6targetE0EEEvS12_
	.p2align	8
	.type	_ZN7rocprim17ROCPRIM_400000_NS6detail17trampoline_kernelINS0_13select_configILj256ELj13ELNS0_17block_load_methodE3ELS4_3ELS4_3ELNS0_20block_scan_algorithmE0ELj4294967295EEENS1_25partition_config_selectorILNS1_17partition_subalgoE4EjNS0_10empty_typeEbEEZZNS1_14partition_implILS8_4ELb0ES6_15HIP_vector_typeIjLj2EENS0_17counting_iteratorIjlEEPS9_SG_NS0_5tupleIJPjSI_NS0_16reverse_iteratorISI_EEEEENSH_IJSG_SG_SG_EEES9_SI_JZNS1_25segmented_radix_sort_implINS0_14default_configELb1EPKsPsPKlPlN2at6native12_GLOBAL__N_18offset_tEEE10hipError_tPvRmT1_PNSt15iterator_traitsIS12_E10value_typeET2_T3_PNS13_IS18_E10value_typeET4_jRbjT5_S1E_jjP12ihipStream_tbEUljE_ZNSN_ISO_Lb1ESQ_SR_ST_SU_SY_EESZ_S10_S11_S12_S16_S17_S18_S1B_S1C_jS1D_jS1E_S1E_jjS1G_bEUljE0_EEESZ_S10_S11_S18_S1C_S1E_T6_T7_T9_mT8_S1G_bDpT10_ENKUlT_T0_E_clISt17integral_constantIbLb0EES1U_EEDaS1P_S1Q_EUlS1P_E_NS1_11comp_targetILNS1_3genE9ELNS1_11target_archE1100ELNS1_3gpuE3ELNS1_3repE0EEENS1_30default_config_static_selectorELNS0_4arch9wavefront6targetE0EEEvS12_,@function
_ZN7rocprim17ROCPRIM_400000_NS6detail17trampoline_kernelINS0_13select_configILj256ELj13ELNS0_17block_load_methodE3ELS4_3ELS4_3ELNS0_20block_scan_algorithmE0ELj4294967295EEENS1_25partition_config_selectorILNS1_17partition_subalgoE4EjNS0_10empty_typeEbEEZZNS1_14partition_implILS8_4ELb0ES6_15HIP_vector_typeIjLj2EENS0_17counting_iteratorIjlEEPS9_SG_NS0_5tupleIJPjSI_NS0_16reverse_iteratorISI_EEEEENSH_IJSG_SG_SG_EEES9_SI_JZNS1_25segmented_radix_sort_implINS0_14default_configELb1EPKsPsPKlPlN2at6native12_GLOBAL__N_18offset_tEEE10hipError_tPvRmT1_PNSt15iterator_traitsIS12_E10value_typeET2_T3_PNS13_IS18_E10value_typeET4_jRbjT5_S1E_jjP12ihipStream_tbEUljE_ZNSN_ISO_Lb1ESQ_SR_ST_SU_SY_EESZ_S10_S11_S12_S16_S17_S18_S1B_S1C_jS1D_jS1E_S1E_jjS1G_bEUljE0_EEESZ_S10_S11_S18_S1C_S1E_T6_T7_T9_mT8_S1G_bDpT10_ENKUlT_T0_E_clISt17integral_constantIbLb0EES1U_EEDaS1P_S1Q_EUlS1P_E_NS1_11comp_targetILNS1_3genE9ELNS1_11target_archE1100ELNS1_3gpuE3ELNS1_3repE0EEENS1_30default_config_static_selectorELNS0_4arch9wavefront6targetE0EEEvS12_: ; @_ZN7rocprim17ROCPRIM_400000_NS6detail17trampoline_kernelINS0_13select_configILj256ELj13ELNS0_17block_load_methodE3ELS4_3ELS4_3ELNS0_20block_scan_algorithmE0ELj4294967295EEENS1_25partition_config_selectorILNS1_17partition_subalgoE4EjNS0_10empty_typeEbEEZZNS1_14partition_implILS8_4ELb0ES6_15HIP_vector_typeIjLj2EENS0_17counting_iteratorIjlEEPS9_SG_NS0_5tupleIJPjSI_NS0_16reverse_iteratorISI_EEEEENSH_IJSG_SG_SG_EEES9_SI_JZNS1_25segmented_radix_sort_implINS0_14default_configELb1EPKsPsPKlPlN2at6native12_GLOBAL__N_18offset_tEEE10hipError_tPvRmT1_PNSt15iterator_traitsIS12_E10value_typeET2_T3_PNS13_IS18_E10value_typeET4_jRbjT5_S1E_jjP12ihipStream_tbEUljE_ZNSN_ISO_Lb1ESQ_SR_ST_SU_SY_EESZ_S10_S11_S12_S16_S17_S18_S1B_S1C_jS1D_jS1E_S1E_jjS1G_bEUljE0_EEESZ_S10_S11_S18_S1C_S1E_T6_T7_T9_mT8_S1G_bDpT10_ENKUlT_T0_E_clISt17integral_constantIbLb0EES1U_EEDaS1P_S1Q_EUlS1P_E_NS1_11comp_targetILNS1_3genE9ELNS1_11target_archE1100ELNS1_3gpuE3ELNS1_3repE0EEENS1_30default_config_static_selectorELNS0_4arch9wavefront6targetE0EEEvS12_
; %bb.0:
	.section	.rodata,"a",@progbits
	.p2align	6, 0x0
	.amdhsa_kernel _ZN7rocprim17ROCPRIM_400000_NS6detail17trampoline_kernelINS0_13select_configILj256ELj13ELNS0_17block_load_methodE3ELS4_3ELS4_3ELNS0_20block_scan_algorithmE0ELj4294967295EEENS1_25partition_config_selectorILNS1_17partition_subalgoE4EjNS0_10empty_typeEbEEZZNS1_14partition_implILS8_4ELb0ES6_15HIP_vector_typeIjLj2EENS0_17counting_iteratorIjlEEPS9_SG_NS0_5tupleIJPjSI_NS0_16reverse_iteratorISI_EEEEENSH_IJSG_SG_SG_EEES9_SI_JZNS1_25segmented_radix_sort_implINS0_14default_configELb1EPKsPsPKlPlN2at6native12_GLOBAL__N_18offset_tEEE10hipError_tPvRmT1_PNSt15iterator_traitsIS12_E10value_typeET2_T3_PNS13_IS18_E10value_typeET4_jRbjT5_S1E_jjP12ihipStream_tbEUljE_ZNSN_ISO_Lb1ESQ_SR_ST_SU_SY_EESZ_S10_S11_S12_S16_S17_S18_S1B_S1C_jS1D_jS1E_S1E_jjS1G_bEUljE0_EEESZ_S10_S11_S18_S1C_S1E_T6_T7_T9_mT8_S1G_bDpT10_ENKUlT_T0_E_clISt17integral_constantIbLb0EES1U_EEDaS1P_S1Q_EUlS1P_E_NS1_11comp_targetILNS1_3genE9ELNS1_11target_archE1100ELNS1_3gpuE3ELNS1_3repE0EEENS1_30default_config_static_selectorELNS0_4arch9wavefront6targetE0EEEvS12_
		.amdhsa_group_segment_fixed_size 0
		.amdhsa_private_segment_fixed_size 0
		.amdhsa_kernarg_size 176
		.amdhsa_user_sgpr_count 2
		.amdhsa_user_sgpr_dispatch_ptr 0
		.amdhsa_user_sgpr_queue_ptr 0
		.amdhsa_user_sgpr_kernarg_segment_ptr 1
		.amdhsa_user_sgpr_dispatch_id 0
		.amdhsa_user_sgpr_kernarg_preload_length 0
		.amdhsa_user_sgpr_kernarg_preload_offset 0
		.amdhsa_user_sgpr_private_segment_size 0
		.amdhsa_wavefront_size32 1
		.amdhsa_uses_dynamic_stack 0
		.amdhsa_enable_private_segment 0
		.amdhsa_system_sgpr_workgroup_id_x 1
		.amdhsa_system_sgpr_workgroup_id_y 0
		.amdhsa_system_sgpr_workgroup_id_z 0
		.amdhsa_system_sgpr_workgroup_info 0
		.amdhsa_system_vgpr_workitem_id 0
		.amdhsa_next_free_vgpr 1
		.amdhsa_next_free_sgpr 1
		.amdhsa_named_barrier_count 0
		.amdhsa_reserve_vcc 0
		.amdhsa_float_round_mode_32 0
		.amdhsa_float_round_mode_16_64 0
		.amdhsa_float_denorm_mode_32 3
		.amdhsa_float_denorm_mode_16_64 3
		.amdhsa_fp16_overflow 0
		.amdhsa_memory_ordered 1
		.amdhsa_forward_progress 1
		.amdhsa_inst_pref_size 0
		.amdhsa_round_robin_scheduling 0
		.amdhsa_exception_fp_ieee_invalid_op 0
		.amdhsa_exception_fp_denorm_src 0
		.amdhsa_exception_fp_ieee_div_zero 0
		.amdhsa_exception_fp_ieee_overflow 0
		.amdhsa_exception_fp_ieee_underflow 0
		.amdhsa_exception_fp_ieee_inexact 0
		.amdhsa_exception_int_div_zero 0
	.end_amdhsa_kernel
	.section	.text._ZN7rocprim17ROCPRIM_400000_NS6detail17trampoline_kernelINS0_13select_configILj256ELj13ELNS0_17block_load_methodE3ELS4_3ELS4_3ELNS0_20block_scan_algorithmE0ELj4294967295EEENS1_25partition_config_selectorILNS1_17partition_subalgoE4EjNS0_10empty_typeEbEEZZNS1_14partition_implILS8_4ELb0ES6_15HIP_vector_typeIjLj2EENS0_17counting_iteratorIjlEEPS9_SG_NS0_5tupleIJPjSI_NS0_16reverse_iteratorISI_EEEEENSH_IJSG_SG_SG_EEES9_SI_JZNS1_25segmented_radix_sort_implINS0_14default_configELb1EPKsPsPKlPlN2at6native12_GLOBAL__N_18offset_tEEE10hipError_tPvRmT1_PNSt15iterator_traitsIS12_E10value_typeET2_T3_PNS13_IS18_E10value_typeET4_jRbjT5_S1E_jjP12ihipStream_tbEUljE_ZNSN_ISO_Lb1ESQ_SR_ST_SU_SY_EESZ_S10_S11_S12_S16_S17_S18_S1B_S1C_jS1D_jS1E_S1E_jjS1G_bEUljE0_EEESZ_S10_S11_S18_S1C_S1E_T6_T7_T9_mT8_S1G_bDpT10_ENKUlT_T0_E_clISt17integral_constantIbLb0EES1U_EEDaS1P_S1Q_EUlS1P_E_NS1_11comp_targetILNS1_3genE9ELNS1_11target_archE1100ELNS1_3gpuE3ELNS1_3repE0EEENS1_30default_config_static_selectorELNS0_4arch9wavefront6targetE0EEEvS12_,"axG",@progbits,_ZN7rocprim17ROCPRIM_400000_NS6detail17trampoline_kernelINS0_13select_configILj256ELj13ELNS0_17block_load_methodE3ELS4_3ELS4_3ELNS0_20block_scan_algorithmE0ELj4294967295EEENS1_25partition_config_selectorILNS1_17partition_subalgoE4EjNS0_10empty_typeEbEEZZNS1_14partition_implILS8_4ELb0ES6_15HIP_vector_typeIjLj2EENS0_17counting_iteratorIjlEEPS9_SG_NS0_5tupleIJPjSI_NS0_16reverse_iteratorISI_EEEEENSH_IJSG_SG_SG_EEES9_SI_JZNS1_25segmented_radix_sort_implINS0_14default_configELb1EPKsPsPKlPlN2at6native12_GLOBAL__N_18offset_tEEE10hipError_tPvRmT1_PNSt15iterator_traitsIS12_E10value_typeET2_T3_PNS13_IS18_E10value_typeET4_jRbjT5_S1E_jjP12ihipStream_tbEUljE_ZNSN_ISO_Lb1ESQ_SR_ST_SU_SY_EESZ_S10_S11_S12_S16_S17_S18_S1B_S1C_jS1D_jS1E_S1E_jjS1G_bEUljE0_EEESZ_S10_S11_S18_S1C_S1E_T6_T7_T9_mT8_S1G_bDpT10_ENKUlT_T0_E_clISt17integral_constantIbLb0EES1U_EEDaS1P_S1Q_EUlS1P_E_NS1_11comp_targetILNS1_3genE9ELNS1_11target_archE1100ELNS1_3gpuE3ELNS1_3repE0EEENS1_30default_config_static_selectorELNS0_4arch9wavefront6targetE0EEEvS12_,comdat
.Lfunc_end849:
	.size	_ZN7rocprim17ROCPRIM_400000_NS6detail17trampoline_kernelINS0_13select_configILj256ELj13ELNS0_17block_load_methodE3ELS4_3ELS4_3ELNS0_20block_scan_algorithmE0ELj4294967295EEENS1_25partition_config_selectorILNS1_17partition_subalgoE4EjNS0_10empty_typeEbEEZZNS1_14partition_implILS8_4ELb0ES6_15HIP_vector_typeIjLj2EENS0_17counting_iteratorIjlEEPS9_SG_NS0_5tupleIJPjSI_NS0_16reverse_iteratorISI_EEEEENSH_IJSG_SG_SG_EEES9_SI_JZNS1_25segmented_radix_sort_implINS0_14default_configELb1EPKsPsPKlPlN2at6native12_GLOBAL__N_18offset_tEEE10hipError_tPvRmT1_PNSt15iterator_traitsIS12_E10value_typeET2_T3_PNS13_IS18_E10value_typeET4_jRbjT5_S1E_jjP12ihipStream_tbEUljE_ZNSN_ISO_Lb1ESQ_SR_ST_SU_SY_EESZ_S10_S11_S12_S16_S17_S18_S1B_S1C_jS1D_jS1E_S1E_jjS1G_bEUljE0_EEESZ_S10_S11_S18_S1C_S1E_T6_T7_T9_mT8_S1G_bDpT10_ENKUlT_T0_E_clISt17integral_constantIbLb0EES1U_EEDaS1P_S1Q_EUlS1P_E_NS1_11comp_targetILNS1_3genE9ELNS1_11target_archE1100ELNS1_3gpuE3ELNS1_3repE0EEENS1_30default_config_static_selectorELNS0_4arch9wavefront6targetE0EEEvS12_, .Lfunc_end849-_ZN7rocprim17ROCPRIM_400000_NS6detail17trampoline_kernelINS0_13select_configILj256ELj13ELNS0_17block_load_methodE3ELS4_3ELS4_3ELNS0_20block_scan_algorithmE0ELj4294967295EEENS1_25partition_config_selectorILNS1_17partition_subalgoE4EjNS0_10empty_typeEbEEZZNS1_14partition_implILS8_4ELb0ES6_15HIP_vector_typeIjLj2EENS0_17counting_iteratorIjlEEPS9_SG_NS0_5tupleIJPjSI_NS0_16reverse_iteratorISI_EEEEENSH_IJSG_SG_SG_EEES9_SI_JZNS1_25segmented_radix_sort_implINS0_14default_configELb1EPKsPsPKlPlN2at6native12_GLOBAL__N_18offset_tEEE10hipError_tPvRmT1_PNSt15iterator_traitsIS12_E10value_typeET2_T3_PNS13_IS18_E10value_typeET4_jRbjT5_S1E_jjP12ihipStream_tbEUljE_ZNSN_ISO_Lb1ESQ_SR_ST_SU_SY_EESZ_S10_S11_S12_S16_S17_S18_S1B_S1C_jS1D_jS1E_S1E_jjS1G_bEUljE0_EEESZ_S10_S11_S18_S1C_S1E_T6_T7_T9_mT8_S1G_bDpT10_ENKUlT_T0_E_clISt17integral_constantIbLb0EES1U_EEDaS1P_S1Q_EUlS1P_E_NS1_11comp_targetILNS1_3genE9ELNS1_11target_archE1100ELNS1_3gpuE3ELNS1_3repE0EEENS1_30default_config_static_selectorELNS0_4arch9wavefront6targetE0EEEvS12_
                                        ; -- End function
	.set _ZN7rocprim17ROCPRIM_400000_NS6detail17trampoline_kernelINS0_13select_configILj256ELj13ELNS0_17block_load_methodE3ELS4_3ELS4_3ELNS0_20block_scan_algorithmE0ELj4294967295EEENS1_25partition_config_selectorILNS1_17partition_subalgoE4EjNS0_10empty_typeEbEEZZNS1_14partition_implILS8_4ELb0ES6_15HIP_vector_typeIjLj2EENS0_17counting_iteratorIjlEEPS9_SG_NS0_5tupleIJPjSI_NS0_16reverse_iteratorISI_EEEEENSH_IJSG_SG_SG_EEES9_SI_JZNS1_25segmented_radix_sort_implINS0_14default_configELb1EPKsPsPKlPlN2at6native12_GLOBAL__N_18offset_tEEE10hipError_tPvRmT1_PNSt15iterator_traitsIS12_E10value_typeET2_T3_PNS13_IS18_E10value_typeET4_jRbjT5_S1E_jjP12ihipStream_tbEUljE_ZNSN_ISO_Lb1ESQ_SR_ST_SU_SY_EESZ_S10_S11_S12_S16_S17_S18_S1B_S1C_jS1D_jS1E_S1E_jjS1G_bEUljE0_EEESZ_S10_S11_S18_S1C_S1E_T6_T7_T9_mT8_S1G_bDpT10_ENKUlT_T0_E_clISt17integral_constantIbLb0EES1U_EEDaS1P_S1Q_EUlS1P_E_NS1_11comp_targetILNS1_3genE9ELNS1_11target_archE1100ELNS1_3gpuE3ELNS1_3repE0EEENS1_30default_config_static_selectorELNS0_4arch9wavefront6targetE0EEEvS12_.num_vgpr, 0
	.set _ZN7rocprim17ROCPRIM_400000_NS6detail17trampoline_kernelINS0_13select_configILj256ELj13ELNS0_17block_load_methodE3ELS4_3ELS4_3ELNS0_20block_scan_algorithmE0ELj4294967295EEENS1_25partition_config_selectorILNS1_17partition_subalgoE4EjNS0_10empty_typeEbEEZZNS1_14partition_implILS8_4ELb0ES6_15HIP_vector_typeIjLj2EENS0_17counting_iteratorIjlEEPS9_SG_NS0_5tupleIJPjSI_NS0_16reverse_iteratorISI_EEEEENSH_IJSG_SG_SG_EEES9_SI_JZNS1_25segmented_radix_sort_implINS0_14default_configELb1EPKsPsPKlPlN2at6native12_GLOBAL__N_18offset_tEEE10hipError_tPvRmT1_PNSt15iterator_traitsIS12_E10value_typeET2_T3_PNS13_IS18_E10value_typeET4_jRbjT5_S1E_jjP12ihipStream_tbEUljE_ZNSN_ISO_Lb1ESQ_SR_ST_SU_SY_EESZ_S10_S11_S12_S16_S17_S18_S1B_S1C_jS1D_jS1E_S1E_jjS1G_bEUljE0_EEESZ_S10_S11_S18_S1C_S1E_T6_T7_T9_mT8_S1G_bDpT10_ENKUlT_T0_E_clISt17integral_constantIbLb0EES1U_EEDaS1P_S1Q_EUlS1P_E_NS1_11comp_targetILNS1_3genE9ELNS1_11target_archE1100ELNS1_3gpuE3ELNS1_3repE0EEENS1_30default_config_static_selectorELNS0_4arch9wavefront6targetE0EEEvS12_.num_agpr, 0
	.set _ZN7rocprim17ROCPRIM_400000_NS6detail17trampoline_kernelINS0_13select_configILj256ELj13ELNS0_17block_load_methodE3ELS4_3ELS4_3ELNS0_20block_scan_algorithmE0ELj4294967295EEENS1_25partition_config_selectorILNS1_17partition_subalgoE4EjNS0_10empty_typeEbEEZZNS1_14partition_implILS8_4ELb0ES6_15HIP_vector_typeIjLj2EENS0_17counting_iteratorIjlEEPS9_SG_NS0_5tupleIJPjSI_NS0_16reverse_iteratorISI_EEEEENSH_IJSG_SG_SG_EEES9_SI_JZNS1_25segmented_radix_sort_implINS0_14default_configELb1EPKsPsPKlPlN2at6native12_GLOBAL__N_18offset_tEEE10hipError_tPvRmT1_PNSt15iterator_traitsIS12_E10value_typeET2_T3_PNS13_IS18_E10value_typeET4_jRbjT5_S1E_jjP12ihipStream_tbEUljE_ZNSN_ISO_Lb1ESQ_SR_ST_SU_SY_EESZ_S10_S11_S12_S16_S17_S18_S1B_S1C_jS1D_jS1E_S1E_jjS1G_bEUljE0_EEESZ_S10_S11_S18_S1C_S1E_T6_T7_T9_mT8_S1G_bDpT10_ENKUlT_T0_E_clISt17integral_constantIbLb0EES1U_EEDaS1P_S1Q_EUlS1P_E_NS1_11comp_targetILNS1_3genE9ELNS1_11target_archE1100ELNS1_3gpuE3ELNS1_3repE0EEENS1_30default_config_static_selectorELNS0_4arch9wavefront6targetE0EEEvS12_.numbered_sgpr, 0
	.set _ZN7rocprim17ROCPRIM_400000_NS6detail17trampoline_kernelINS0_13select_configILj256ELj13ELNS0_17block_load_methodE3ELS4_3ELS4_3ELNS0_20block_scan_algorithmE0ELj4294967295EEENS1_25partition_config_selectorILNS1_17partition_subalgoE4EjNS0_10empty_typeEbEEZZNS1_14partition_implILS8_4ELb0ES6_15HIP_vector_typeIjLj2EENS0_17counting_iteratorIjlEEPS9_SG_NS0_5tupleIJPjSI_NS0_16reverse_iteratorISI_EEEEENSH_IJSG_SG_SG_EEES9_SI_JZNS1_25segmented_radix_sort_implINS0_14default_configELb1EPKsPsPKlPlN2at6native12_GLOBAL__N_18offset_tEEE10hipError_tPvRmT1_PNSt15iterator_traitsIS12_E10value_typeET2_T3_PNS13_IS18_E10value_typeET4_jRbjT5_S1E_jjP12ihipStream_tbEUljE_ZNSN_ISO_Lb1ESQ_SR_ST_SU_SY_EESZ_S10_S11_S12_S16_S17_S18_S1B_S1C_jS1D_jS1E_S1E_jjS1G_bEUljE0_EEESZ_S10_S11_S18_S1C_S1E_T6_T7_T9_mT8_S1G_bDpT10_ENKUlT_T0_E_clISt17integral_constantIbLb0EES1U_EEDaS1P_S1Q_EUlS1P_E_NS1_11comp_targetILNS1_3genE9ELNS1_11target_archE1100ELNS1_3gpuE3ELNS1_3repE0EEENS1_30default_config_static_selectorELNS0_4arch9wavefront6targetE0EEEvS12_.num_named_barrier, 0
	.set _ZN7rocprim17ROCPRIM_400000_NS6detail17trampoline_kernelINS0_13select_configILj256ELj13ELNS0_17block_load_methodE3ELS4_3ELS4_3ELNS0_20block_scan_algorithmE0ELj4294967295EEENS1_25partition_config_selectorILNS1_17partition_subalgoE4EjNS0_10empty_typeEbEEZZNS1_14partition_implILS8_4ELb0ES6_15HIP_vector_typeIjLj2EENS0_17counting_iteratorIjlEEPS9_SG_NS0_5tupleIJPjSI_NS0_16reverse_iteratorISI_EEEEENSH_IJSG_SG_SG_EEES9_SI_JZNS1_25segmented_radix_sort_implINS0_14default_configELb1EPKsPsPKlPlN2at6native12_GLOBAL__N_18offset_tEEE10hipError_tPvRmT1_PNSt15iterator_traitsIS12_E10value_typeET2_T3_PNS13_IS18_E10value_typeET4_jRbjT5_S1E_jjP12ihipStream_tbEUljE_ZNSN_ISO_Lb1ESQ_SR_ST_SU_SY_EESZ_S10_S11_S12_S16_S17_S18_S1B_S1C_jS1D_jS1E_S1E_jjS1G_bEUljE0_EEESZ_S10_S11_S18_S1C_S1E_T6_T7_T9_mT8_S1G_bDpT10_ENKUlT_T0_E_clISt17integral_constantIbLb0EES1U_EEDaS1P_S1Q_EUlS1P_E_NS1_11comp_targetILNS1_3genE9ELNS1_11target_archE1100ELNS1_3gpuE3ELNS1_3repE0EEENS1_30default_config_static_selectorELNS0_4arch9wavefront6targetE0EEEvS12_.private_seg_size, 0
	.set _ZN7rocprim17ROCPRIM_400000_NS6detail17trampoline_kernelINS0_13select_configILj256ELj13ELNS0_17block_load_methodE3ELS4_3ELS4_3ELNS0_20block_scan_algorithmE0ELj4294967295EEENS1_25partition_config_selectorILNS1_17partition_subalgoE4EjNS0_10empty_typeEbEEZZNS1_14partition_implILS8_4ELb0ES6_15HIP_vector_typeIjLj2EENS0_17counting_iteratorIjlEEPS9_SG_NS0_5tupleIJPjSI_NS0_16reverse_iteratorISI_EEEEENSH_IJSG_SG_SG_EEES9_SI_JZNS1_25segmented_radix_sort_implINS0_14default_configELb1EPKsPsPKlPlN2at6native12_GLOBAL__N_18offset_tEEE10hipError_tPvRmT1_PNSt15iterator_traitsIS12_E10value_typeET2_T3_PNS13_IS18_E10value_typeET4_jRbjT5_S1E_jjP12ihipStream_tbEUljE_ZNSN_ISO_Lb1ESQ_SR_ST_SU_SY_EESZ_S10_S11_S12_S16_S17_S18_S1B_S1C_jS1D_jS1E_S1E_jjS1G_bEUljE0_EEESZ_S10_S11_S18_S1C_S1E_T6_T7_T9_mT8_S1G_bDpT10_ENKUlT_T0_E_clISt17integral_constantIbLb0EES1U_EEDaS1P_S1Q_EUlS1P_E_NS1_11comp_targetILNS1_3genE9ELNS1_11target_archE1100ELNS1_3gpuE3ELNS1_3repE0EEENS1_30default_config_static_selectorELNS0_4arch9wavefront6targetE0EEEvS12_.uses_vcc, 0
	.set _ZN7rocprim17ROCPRIM_400000_NS6detail17trampoline_kernelINS0_13select_configILj256ELj13ELNS0_17block_load_methodE3ELS4_3ELS4_3ELNS0_20block_scan_algorithmE0ELj4294967295EEENS1_25partition_config_selectorILNS1_17partition_subalgoE4EjNS0_10empty_typeEbEEZZNS1_14partition_implILS8_4ELb0ES6_15HIP_vector_typeIjLj2EENS0_17counting_iteratorIjlEEPS9_SG_NS0_5tupleIJPjSI_NS0_16reverse_iteratorISI_EEEEENSH_IJSG_SG_SG_EEES9_SI_JZNS1_25segmented_radix_sort_implINS0_14default_configELb1EPKsPsPKlPlN2at6native12_GLOBAL__N_18offset_tEEE10hipError_tPvRmT1_PNSt15iterator_traitsIS12_E10value_typeET2_T3_PNS13_IS18_E10value_typeET4_jRbjT5_S1E_jjP12ihipStream_tbEUljE_ZNSN_ISO_Lb1ESQ_SR_ST_SU_SY_EESZ_S10_S11_S12_S16_S17_S18_S1B_S1C_jS1D_jS1E_S1E_jjS1G_bEUljE0_EEESZ_S10_S11_S18_S1C_S1E_T6_T7_T9_mT8_S1G_bDpT10_ENKUlT_T0_E_clISt17integral_constantIbLb0EES1U_EEDaS1P_S1Q_EUlS1P_E_NS1_11comp_targetILNS1_3genE9ELNS1_11target_archE1100ELNS1_3gpuE3ELNS1_3repE0EEENS1_30default_config_static_selectorELNS0_4arch9wavefront6targetE0EEEvS12_.uses_flat_scratch, 0
	.set _ZN7rocprim17ROCPRIM_400000_NS6detail17trampoline_kernelINS0_13select_configILj256ELj13ELNS0_17block_load_methodE3ELS4_3ELS4_3ELNS0_20block_scan_algorithmE0ELj4294967295EEENS1_25partition_config_selectorILNS1_17partition_subalgoE4EjNS0_10empty_typeEbEEZZNS1_14partition_implILS8_4ELb0ES6_15HIP_vector_typeIjLj2EENS0_17counting_iteratorIjlEEPS9_SG_NS0_5tupleIJPjSI_NS0_16reverse_iteratorISI_EEEEENSH_IJSG_SG_SG_EEES9_SI_JZNS1_25segmented_radix_sort_implINS0_14default_configELb1EPKsPsPKlPlN2at6native12_GLOBAL__N_18offset_tEEE10hipError_tPvRmT1_PNSt15iterator_traitsIS12_E10value_typeET2_T3_PNS13_IS18_E10value_typeET4_jRbjT5_S1E_jjP12ihipStream_tbEUljE_ZNSN_ISO_Lb1ESQ_SR_ST_SU_SY_EESZ_S10_S11_S12_S16_S17_S18_S1B_S1C_jS1D_jS1E_S1E_jjS1G_bEUljE0_EEESZ_S10_S11_S18_S1C_S1E_T6_T7_T9_mT8_S1G_bDpT10_ENKUlT_T0_E_clISt17integral_constantIbLb0EES1U_EEDaS1P_S1Q_EUlS1P_E_NS1_11comp_targetILNS1_3genE9ELNS1_11target_archE1100ELNS1_3gpuE3ELNS1_3repE0EEENS1_30default_config_static_selectorELNS0_4arch9wavefront6targetE0EEEvS12_.has_dyn_sized_stack, 0
	.set _ZN7rocprim17ROCPRIM_400000_NS6detail17trampoline_kernelINS0_13select_configILj256ELj13ELNS0_17block_load_methodE3ELS4_3ELS4_3ELNS0_20block_scan_algorithmE0ELj4294967295EEENS1_25partition_config_selectorILNS1_17partition_subalgoE4EjNS0_10empty_typeEbEEZZNS1_14partition_implILS8_4ELb0ES6_15HIP_vector_typeIjLj2EENS0_17counting_iteratorIjlEEPS9_SG_NS0_5tupleIJPjSI_NS0_16reverse_iteratorISI_EEEEENSH_IJSG_SG_SG_EEES9_SI_JZNS1_25segmented_radix_sort_implINS0_14default_configELb1EPKsPsPKlPlN2at6native12_GLOBAL__N_18offset_tEEE10hipError_tPvRmT1_PNSt15iterator_traitsIS12_E10value_typeET2_T3_PNS13_IS18_E10value_typeET4_jRbjT5_S1E_jjP12ihipStream_tbEUljE_ZNSN_ISO_Lb1ESQ_SR_ST_SU_SY_EESZ_S10_S11_S12_S16_S17_S18_S1B_S1C_jS1D_jS1E_S1E_jjS1G_bEUljE0_EEESZ_S10_S11_S18_S1C_S1E_T6_T7_T9_mT8_S1G_bDpT10_ENKUlT_T0_E_clISt17integral_constantIbLb0EES1U_EEDaS1P_S1Q_EUlS1P_E_NS1_11comp_targetILNS1_3genE9ELNS1_11target_archE1100ELNS1_3gpuE3ELNS1_3repE0EEENS1_30default_config_static_selectorELNS0_4arch9wavefront6targetE0EEEvS12_.has_recursion, 0
	.set _ZN7rocprim17ROCPRIM_400000_NS6detail17trampoline_kernelINS0_13select_configILj256ELj13ELNS0_17block_load_methodE3ELS4_3ELS4_3ELNS0_20block_scan_algorithmE0ELj4294967295EEENS1_25partition_config_selectorILNS1_17partition_subalgoE4EjNS0_10empty_typeEbEEZZNS1_14partition_implILS8_4ELb0ES6_15HIP_vector_typeIjLj2EENS0_17counting_iteratorIjlEEPS9_SG_NS0_5tupleIJPjSI_NS0_16reverse_iteratorISI_EEEEENSH_IJSG_SG_SG_EEES9_SI_JZNS1_25segmented_radix_sort_implINS0_14default_configELb1EPKsPsPKlPlN2at6native12_GLOBAL__N_18offset_tEEE10hipError_tPvRmT1_PNSt15iterator_traitsIS12_E10value_typeET2_T3_PNS13_IS18_E10value_typeET4_jRbjT5_S1E_jjP12ihipStream_tbEUljE_ZNSN_ISO_Lb1ESQ_SR_ST_SU_SY_EESZ_S10_S11_S12_S16_S17_S18_S1B_S1C_jS1D_jS1E_S1E_jjS1G_bEUljE0_EEESZ_S10_S11_S18_S1C_S1E_T6_T7_T9_mT8_S1G_bDpT10_ENKUlT_T0_E_clISt17integral_constantIbLb0EES1U_EEDaS1P_S1Q_EUlS1P_E_NS1_11comp_targetILNS1_3genE9ELNS1_11target_archE1100ELNS1_3gpuE3ELNS1_3repE0EEENS1_30default_config_static_selectorELNS0_4arch9wavefront6targetE0EEEvS12_.has_indirect_call, 0
	.section	.AMDGPU.csdata,"",@progbits
; Kernel info:
; codeLenInByte = 0
; TotalNumSgprs: 0
; NumVgprs: 0
; ScratchSize: 0
; MemoryBound: 0
; FloatMode: 240
; IeeeMode: 1
; LDSByteSize: 0 bytes/workgroup (compile time only)
; SGPRBlocks: 0
; VGPRBlocks: 0
; NumSGPRsForWavesPerEU: 1
; NumVGPRsForWavesPerEU: 1
; NamedBarCnt: 0
; Occupancy: 16
; WaveLimiterHint : 0
; COMPUTE_PGM_RSRC2:SCRATCH_EN: 0
; COMPUTE_PGM_RSRC2:USER_SGPR: 2
; COMPUTE_PGM_RSRC2:TRAP_HANDLER: 0
; COMPUTE_PGM_RSRC2:TGID_X_EN: 1
; COMPUTE_PGM_RSRC2:TGID_Y_EN: 0
; COMPUTE_PGM_RSRC2:TGID_Z_EN: 0
; COMPUTE_PGM_RSRC2:TIDIG_COMP_CNT: 0
	.section	.text._ZN7rocprim17ROCPRIM_400000_NS6detail17trampoline_kernelINS0_13select_configILj256ELj13ELNS0_17block_load_methodE3ELS4_3ELS4_3ELNS0_20block_scan_algorithmE0ELj4294967295EEENS1_25partition_config_selectorILNS1_17partition_subalgoE4EjNS0_10empty_typeEbEEZZNS1_14partition_implILS8_4ELb0ES6_15HIP_vector_typeIjLj2EENS0_17counting_iteratorIjlEEPS9_SG_NS0_5tupleIJPjSI_NS0_16reverse_iteratorISI_EEEEENSH_IJSG_SG_SG_EEES9_SI_JZNS1_25segmented_radix_sort_implINS0_14default_configELb1EPKsPsPKlPlN2at6native12_GLOBAL__N_18offset_tEEE10hipError_tPvRmT1_PNSt15iterator_traitsIS12_E10value_typeET2_T3_PNS13_IS18_E10value_typeET4_jRbjT5_S1E_jjP12ihipStream_tbEUljE_ZNSN_ISO_Lb1ESQ_SR_ST_SU_SY_EESZ_S10_S11_S12_S16_S17_S18_S1B_S1C_jS1D_jS1E_S1E_jjS1G_bEUljE0_EEESZ_S10_S11_S18_S1C_S1E_T6_T7_T9_mT8_S1G_bDpT10_ENKUlT_T0_E_clISt17integral_constantIbLb0EES1U_EEDaS1P_S1Q_EUlS1P_E_NS1_11comp_targetILNS1_3genE8ELNS1_11target_archE1030ELNS1_3gpuE2ELNS1_3repE0EEENS1_30default_config_static_selectorELNS0_4arch9wavefront6targetE0EEEvS12_,"axG",@progbits,_ZN7rocprim17ROCPRIM_400000_NS6detail17trampoline_kernelINS0_13select_configILj256ELj13ELNS0_17block_load_methodE3ELS4_3ELS4_3ELNS0_20block_scan_algorithmE0ELj4294967295EEENS1_25partition_config_selectorILNS1_17partition_subalgoE4EjNS0_10empty_typeEbEEZZNS1_14partition_implILS8_4ELb0ES6_15HIP_vector_typeIjLj2EENS0_17counting_iteratorIjlEEPS9_SG_NS0_5tupleIJPjSI_NS0_16reverse_iteratorISI_EEEEENSH_IJSG_SG_SG_EEES9_SI_JZNS1_25segmented_radix_sort_implINS0_14default_configELb1EPKsPsPKlPlN2at6native12_GLOBAL__N_18offset_tEEE10hipError_tPvRmT1_PNSt15iterator_traitsIS12_E10value_typeET2_T3_PNS13_IS18_E10value_typeET4_jRbjT5_S1E_jjP12ihipStream_tbEUljE_ZNSN_ISO_Lb1ESQ_SR_ST_SU_SY_EESZ_S10_S11_S12_S16_S17_S18_S1B_S1C_jS1D_jS1E_S1E_jjS1G_bEUljE0_EEESZ_S10_S11_S18_S1C_S1E_T6_T7_T9_mT8_S1G_bDpT10_ENKUlT_T0_E_clISt17integral_constantIbLb0EES1U_EEDaS1P_S1Q_EUlS1P_E_NS1_11comp_targetILNS1_3genE8ELNS1_11target_archE1030ELNS1_3gpuE2ELNS1_3repE0EEENS1_30default_config_static_selectorELNS0_4arch9wavefront6targetE0EEEvS12_,comdat
	.globl	_ZN7rocprim17ROCPRIM_400000_NS6detail17trampoline_kernelINS0_13select_configILj256ELj13ELNS0_17block_load_methodE3ELS4_3ELS4_3ELNS0_20block_scan_algorithmE0ELj4294967295EEENS1_25partition_config_selectorILNS1_17partition_subalgoE4EjNS0_10empty_typeEbEEZZNS1_14partition_implILS8_4ELb0ES6_15HIP_vector_typeIjLj2EENS0_17counting_iteratorIjlEEPS9_SG_NS0_5tupleIJPjSI_NS0_16reverse_iteratorISI_EEEEENSH_IJSG_SG_SG_EEES9_SI_JZNS1_25segmented_radix_sort_implINS0_14default_configELb1EPKsPsPKlPlN2at6native12_GLOBAL__N_18offset_tEEE10hipError_tPvRmT1_PNSt15iterator_traitsIS12_E10value_typeET2_T3_PNS13_IS18_E10value_typeET4_jRbjT5_S1E_jjP12ihipStream_tbEUljE_ZNSN_ISO_Lb1ESQ_SR_ST_SU_SY_EESZ_S10_S11_S12_S16_S17_S18_S1B_S1C_jS1D_jS1E_S1E_jjS1G_bEUljE0_EEESZ_S10_S11_S18_S1C_S1E_T6_T7_T9_mT8_S1G_bDpT10_ENKUlT_T0_E_clISt17integral_constantIbLb0EES1U_EEDaS1P_S1Q_EUlS1P_E_NS1_11comp_targetILNS1_3genE8ELNS1_11target_archE1030ELNS1_3gpuE2ELNS1_3repE0EEENS1_30default_config_static_selectorELNS0_4arch9wavefront6targetE0EEEvS12_ ; -- Begin function _ZN7rocprim17ROCPRIM_400000_NS6detail17trampoline_kernelINS0_13select_configILj256ELj13ELNS0_17block_load_methodE3ELS4_3ELS4_3ELNS0_20block_scan_algorithmE0ELj4294967295EEENS1_25partition_config_selectorILNS1_17partition_subalgoE4EjNS0_10empty_typeEbEEZZNS1_14partition_implILS8_4ELb0ES6_15HIP_vector_typeIjLj2EENS0_17counting_iteratorIjlEEPS9_SG_NS0_5tupleIJPjSI_NS0_16reverse_iteratorISI_EEEEENSH_IJSG_SG_SG_EEES9_SI_JZNS1_25segmented_radix_sort_implINS0_14default_configELb1EPKsPsPKlPlN2at6native12_GLOBAL__N_18offset_tEEE10hipError_tPvRmT1_PNSt15iterator_traitsIS12_E10value_typeET2_T3_PNS13_IS18_E10value_typeET4_jRbjT5_S1E_jjP12ihipStream_tbEUljE_ZNSN_ISO_Lb1ESQ_SR_ST_SU_SY_EESZ_S10_S11_S12_S16_S17_S18_S1B_S1C_jS1D_jS1E_S1E_jjS1G_bEUljE0_EEESZ_S10_S11_S18_S1C_S1E_T6_T7_T9_mT8_S1G_bDpT10_ENKUlT_T0_E_clISt17integral_constantIbLb0EES1U_EEDaS1P_S1Q_EUlS1P_E_NS1_11comp_targetILNS1_3genE8ELNS1_11target_archE1030ELNS1_3gpuE2ELNS1_3repE0EEENS1_30default_config_static_selectorELNS0_4arch9wavefront6targetE0EEEvS12_
	.p2align	8
	.type	_ZN7rocprim17ROCPRIM_400000_NS6detail17trampoline_kernelINS0_13select_configILj256ELj13ELNS0_17block_load_methodE3ELS4_3ELS4_3ELNS0_20block_scan_algorithmE0ELj4294967295EEENS1_25partition_config_selectorILNS1_17partition_subalgoE4EjNS0_10empty_typeEbEEZZNS1_14partition_implILS8_4ELb0ES6_15HIP_vector_typeIjLj2EENS0_17counting_iteratorIjlEEPS9_SG_NS0_5tupleIJPjSI_NS0_16reverse_iteratorISI_EEEEENSH_IJSG_SG_SG_EEES9_SI_JZNS1_25segmented_radix_sort_implINS0_14default_configELb1EPKsPsPKlPlN2at6native12_GLOBAL__N_18offset_tEEE10hipError_tPvRmT1_PNSt15iterator_traitsIS12_E10value_typeET2_T3_PNS13_IS18_E10value_typeET4_jRbjT5_S1E_jjP12ihipStream_tbEUljE_ZNSN_ISO_Lb1ESQ_SR_ST_SU_SY_EESZ_S10_S11_S12_S16_S17_S18_S1B_S1C_jS1D_jS1E_S1E_jjS1G_bEUljE0_EEESZ_S10_S11_S18_S1C_S1E_T6_T7_T9_mT8_S1G_bDpT10_ENKUlT_T0_E_clISt17integral_constantIbLb0EES1U_EEDaS1P_S1Q_EUlS1P_E_NS1_11comp_targetILNS1_3genE8ELNS1_11target_archE1030ELNS1_3gpuE2ELNS1_3repE0EEENS1_30default_config_static_selectorELNS0_4arch9wavefront6targetE0EEEvS12_,@function
_ZN7rocprim17ROCPRIM_400000_NS6detail17trampoline_kernelINS0_13select_configILj256ELj13ELNS0_17block_load_methodE3ELS4_3ELS4_3ELNS0_20block_scan_algorithmE0ELj4294967295EEENS1_25partition_config_selectorILNS1_17partition_subalgoE4EjNS0_10empty_typeEbEEZZNS1_14partition_implILS8_4ELb0ES6_15HIP_vector_typeIjLj2EENS0_17counting_iteratorIjlEEPS9_SG_NS0_5tupleIJPjSI_NS0_16reverse_iteratorISI_EEEEENSH_IJSG_SG_SG_EEES9_SI_JZNS1_25segmented_radix_sort_implINS0_14default_configELb1EPKsPsPKlPlN2at6native12_GLOBAL__N_18offset_tEEE10hipError_tPvRmT1_PNSt15iterator_traitsIS12_E10value_typeET2_T3_PNS13_IS18_E10value_typeET4_jRbjT5_S1E_jjP12ihipStream_tbEUljE_ZNSN_ISO_Lb1ESQ_SR_ST_SU_SY_EESZ_S10_S11_S12_S16_S17_S18_S1B_S1C_jS1D_jS1E_S1E_jjS1G_bEUljE0_EEESZ_S10_S11_S18_S1C_S1E_T6_T7_T9_mT8_S1G_bDpT10_ENKUlT_T0_E_clISt17integral_constantIbLb0EES1U_EEDaS1P_S1Q_EUlS1P_E_NS1_11comp_targetILNS1_3genE8ELNS1_11target_archE1030ELNS1_3gpuE2ELNS1_3repE0EEENS1_30default_config_static_selectorELNS0_4arch9wavefront6targetE0EEEvS12_: ; @_ZN7rocprim17ROCPRIM_400000_NS6detail17trampoline_kernelINS0_13select_configILj256ELj13ELNS0_17block_load_methodE3ELS4_3ELS4_3ELNS0_20block_scan_algorithmE0ELj4294967295EEENS1_25partition_config_selectorILNS1_17partition_subalgoE4EjNS0_10empty_typeEbEEZZNS1_14partition_implILS8_4ELb0ES6_15HIP_vector_typeIjLj2EENS0_17counting_iteratorIjlEEPS9_SG_NS0_5tupleIJPjSI_NS0_16reverse_iteratorISI_EEEEENSH_IJSG_SG_SG_EEES9_SI_JZNS1_25segmented_radix_sort_implINS0_14default_configELb1EPKsPsPKlPlN2at6native12_GLOBAL__N_18offset_tEEE10hipError_tPvRmT1_PNSt15iterator_traitsIS12_E10value_typeET2_T3_PNS13_IS18_E10value_typeET4_jRbjT5_S1E_jjP12ihipStream_tbEUljE_ZNSN_ISO_Lb1ESQ_SR_ST_SU_SY_EESZ_S10_S11_S12_S16_S17_S18_S1B_S1C_jS1D_jS1E_S1E_jjS1G_bEUljE0_EEESZ_S10_S11_S18_S1C_S1E_T6_T7_T9_mT8_S1G_bDpT10_ENKUlT_T0_E_clISt17integral_constantIbLb0EES1U_EEDaS1P_S1Q_EUlS1P_E_NS1_11comp_targetILNS1_3genE8ELNS1_11target_archE1030ELNS1_3gpuE2ELNS1_3repE0EEENS1_30default_config_static_selectorELNS0_4arch9wavefront6targetE0EEEvS12_
; %bb.0:
	.section	.rodata,"a",@progbits
	.p2align	6, 0x0
	.amdhsa_kernel _ZN7rocprim17ROCPRIM_400000_NS6detail17trampoline_kernelINS0_13select_configILj256ELj13ELNS0_17block_load_methodE3ELS4_3ELS4_3ELNS0_20block_scan_algorithmE0ELj4294967295EEENS1_25partition_config_selectorILNS1_17partition_subalgoE4EjNS0_10empty_typeEbEEZZNS1_14partition_implILS8_4ELb0ES6_15HIP_vector_typeIjLj2EENS0_17counting_iteratorIjlEEPS9_SG_NS0_5tupleIJPjSI_NS0_16reverse_iteratorISI_EEEEENSH_IJSG_SG_SG_EEES9_SI_JZNS1_25segmented_radix_sort_implINS0_14default_configELb1EPKsPsPKlPlN2at6native12_GLOBAL__N_18offset_tEEE10hipError_tPvRmT1_PNSt15iterator_traitsIS12_E10value_typeET2_T3_PNS13_IS18_E10value_typeET4_jRbjT5_S1E_jjP12ihipStream_tbEUljE_ZNSN_ISO_Lb1ESQ_SR_ST_SU_SY_EESZ_S10_S11_S12_S16_S17_S18_S1B_S1C_jS1D_jS1E_S1E_jjS1G_bEUljE0_EEESZ_S10_S11_S18_S1C_S1E_T6_T7_T9_mT8_S1G_bDpT10_ENKUlT_T0_E_clISt17integral_constantIbLb0EES1U_EEDaS1P_S1Q_EUlS1P_E_NS1_11comp_targetILNS1_3genE8ELNS1_11target_archE1030ELNS1_3gpuE2ELNS1_3repE0EEENS1_30default_config_static_selectorELNS0_4arch9wavefront6targetE0EEEvS12_
		.amdhsa_group_segment_fixed_size 0
		.amdhsa_private_segment_fixed_size 0
		.amdhsa_kernarg_size 176
		.amdhsa_user_sgpr_count 2
		.amdhsa_user_sgpr_dispatch_ptr 0
		.amdhsa_user_sgpr_queue_ptr 0
		.amdhsa_user_sgpr_kernarg_segment_ptr 1
		.amdhsa_user_sgpr_dispatch_id 0
		.amdhsa_user_sgpr_kernarg_preload_length 0
		.amdhsa_user_sgpr_kernarg_preload_offset 0
		.amdhsa_user_sgpr_private_segment_size 0
		.amdhsa_wavefront_size32 1
		.amdhsa_uses_dynamic_stack 0
		.amdhsa_enable_private_segment 0
		.amdhsa_system_sgpr_workgroup_id_x 1
		.amdhsa_system_sgpr_workgroup_id_y 0
		.amdhsa_system_sgpr_workgroup_id_z 0
		.amdhsa_system_sgpr_workgroup_info 0
		.amdhsa_system_vgpr_workitem_id 0
		.amdhsa_next_free_vgpr 1
		.amdhsa_next_free_sgpr 1
		.amdhsa_named_barrier_count 0
		.amdhsa_reserve_vcc 0
		.amdhsa_float_round_mode_32 0
		.amdhsa_float_round_mode_16_64 0
		.amdhsa_float_denorm_mode_32 3
		.amdhsa_float_denorm_mode_16_64 3
		.amdhsa_fp16_overflow 0
		.amdhsa_memory_ordered 1
		.amdhsa_forward_progress 1
		.amdhsa_inst_pref_size 0
		.amdhsa_round_robin_scheduling 0
		.amdhsa_exception_fp_ieee_invalid_op 0
		.amdhsa_exception_fp_denorm_src 0
		.amdhsa_exception_fp_ieee_div_zero 0
		.amdhsa_exception_fp_ieee_overflow 0
		.amdhsa_exception_fp_ieee_underflow 0
		.amdhsa_exception_fp_ieee_inexact 0
		.amdhsa_exception_int_div_zero 0
	.end_amdhsa_kernel
	.section	.text._ZN7rocprim17ROCPRIM_400000_NS6detail17trampoline_kernelINS0_13select_configILj256ELj13ELNS0_17block_load_methodE3ELS4_3ELS4_3ELNS0_20block_scan_algorithmE0ELj4294967295EEENS1_25partition_config_selectorILNS1_17partition_subalgoE4EjNS0_10empty_typeEbEEZZNS1_14partition_implILS8_4ELb0ES6_15HIP_vector_typeIjLj2EENS0_17counting_iteratorIjlEEPS9_SG_NS0_5tupleIJPjSI_NS0_16reverse_iteratorISI_EEEEENSH_IJSG_SG_SG_EEES9_SI_JZNS1_25segmented_radix_sort_implINS0_14default_configELb1EPKsPsPKlPlN2at6native12_GLOBAL__N_18offset_tEEE10hipError_tPvRmT1_PNSt15iterator_traitsIS12_E10value_typeET2_T3_PNS13_IS18_E10value_typeET4_jRbjT5_S1E_jjP12ihipStream_tbEUljE_ZNSN_ISO_Lb1ESQ_SR_ST_SU_SY_EESZ_S10_S11_S12_S16_S17_S18_S1B_S1C_jS1D_jS1E_S1E_jjS1G_bEUljE0_EEESZ_S10_S11_S18_S1C_S1E_T6_T7_T9_mT8_S1G_bDpT10_ENKUlT_T0_E_clISt17integral_constantIbLb0EES1U_EEDaS1P_S1Q_EUlS1P_E_NS1_11comp_targetILNS1_3genE8ELNS1_11target_archE1030ELNS1_3gpuE2ELNS1_3repE0EEENS1_30default_config_static_selectorELNS0_4arch9wavefront6targetE0EEEvS12_,"axG",@progbits,_ZN7rocprim17ROCPRIM_400000_NS6detail17trampoline_kernelINS0_13select_configILj256ELj13ELNS0_17block_load_methodE3ELS4_3ELS4_3ELNS0_20block_scan_algorithmE0ELj4294967295EEENS1_25partition_config_selectorILNS1_17partition_subalgoE4EjNS0_10empty_typeEbEEZZNS1_14partition_implILS8_4ELb0ES6_15HIP_vector_typeIjLj2EENS0_17counting_iteratorIjlEEPS9_SG_NS0_5tupleIJPjSI_NS0_16reverse_iteratorISI_EEEEENSH_IJSG_SG_SG_EEES9_SI_JZNS1_25segmented_radix_sort_implINS0_14default_configELb1EPKsPsPKlPlN2at6native12_GLOBAL__N_18offset_tEEE10hipError_tPvRmT1_PNSt15iterator_traitsIS12_E10value_typeET2_T3_PNS13_IS18_E10value_typeET4_jRbjT5_S1E_jjP12ihipStream_tbEUljE_ZNSN_ISO_Lb1ESQ_SR_ST_SU_SY_EESZ_S10_S11_S12_S16_S17_S18_S1B_S1C_jS1D_jS1E_S1E_jjS1G_bEUljE0_EEESZ_S10_S11_S18_S1C_S1E_T6_T7_T9_mT8_S1G_bDpT10_ENKUlT_T0_E_clISt17integral_constantIbLb0EES1U_EEDaS1P_S1Q_EUlS1P_E_NS1_11comp_targetILNS1_3genE8ELNS1_11target_archE1030ELNS1_3gpuE2ELNS1_3repE0EEENS1_30default_config_static_selectorELNS0_4arch9wavefront6targetE0EEEvS12_,comdat
.Lfunc_end850:
	.size	_ZN7rocprim17ROCPRIM_400000_NS6detail17trampoline_kernelINS0_13select_configILj256ELj13ELNS0_17block_load_methodE3ELS4_3ELS4_3ELNS0_20block_scan_algorithmE0ELj4294967295EEENS1_25partition_config_selectorILNS1_17partition_subalgoE4EjNS0_10empty_typeEbEEZZNS1_14partition_implILS8_4ELb0ES6_15HIP_vector_typeIjLj2EENS0_17counting_iteratorIjlEEPS9_SG_NS0_5tupleIJPjSI_NS0_16reverse_iteratorISI_EEEEENSH_IJSG_SG_SG_EEES9_SI_JZNS1_25segmented_radix_sort_implINS0_14default_configELb1EPKsPsPKlPlN2at6native12_GLOBAL__N_18offset_tEEE10hipError_tPvRmT1_PNSt15iterator_traitsIS12_E10value_typeET2_T3_PNS13_IS18_E10value_typeET4_jRbjT5_S1E_jjP12ihipStream_tbEUljE_ZNSN_ISO_Lb1ESQ_SR_ST_SU_SY_EESZ_S10_S11_S12_S16_S17_S18_S1B_S1C_jS1D_jS1E_S1E_jjS1G_bEUljE0_EEESZ_S10_S11_S18_S1C_S1E_T6_T7_T9_mT8_S1G_bDpT10_ENKUlT_T0_E_clISt17integral_constantIbLb0EES1U_EEDaS1P_S1Q_EUlS1P_E_NS1_11comp_targetILNS1_3genE8ELNS1_11target_archE1030ELNS1_3gpuE2ELNS1_3repE0EEENS1_30default_config_static_selectorELNS0_4arch9wavefront6targetE0EEEvS12_, .Lfunc_end850-_ZN7rocprim17ROCPRIM_400000_NS6detail17trampoline_kernelINS0_13select_configILj256ELj13ELNS0_17block_load_methodE3ELS4_3ELS4_3ELNS0_20block_scan_algorithmE0ELj4294967295EEENS1_25partition_config_selectorILNS1_17partition_subalgoE4EjNS0_10empty_typeEbEEZZNS1_14partition_implILS8_4ELb0ES6_15HIP_vector_typeIjLj2EENS0_17counting_iteratorIjlEEPS9_SG_NS0_5tupleIJPjSI_NS0_16reverse_iteratorISI_EEEEENSH_IJSG_SG_SG_EEES9_SI_JZNS1_25segmented_radix_sort_implINS0_14default_configELb1EPKsPsPKlPlN2at6native12_GLOBAL__N_18offset_tEEE10hipError_tPvRmT1_PNSt15iterator_traitsIS12_E10value_typeET2_T3_PNS13_IS18_E10value_typeET4_jRbjT5_S1E_jjP12ihipStream_tbEUljE_ZNSN_ISO_Lb1ESQ_SR_ST_SU_SY_EESZ_S10_S11_S12_S16_S17_S18_S1B_S1C_jS1D_jS1E_S1E_jjS1G_bEUljE0_EEESZ_S10_S11_S18_S1C_S1E_T6_T7_T9_mT8_S1G_bDpT10_ENKUlT_T0_E_clISt17integral_constantIbLb0EES1U_EEDaS1P_S1Q_EUlS1P_E_NS1_11comp_targetILNS1_3genE8ELNS1_11target_archE1030ELNS1_3gpuE2ELNS1_3repE0EEENS1_30default_config_static_selectorELNS0_4arch9wavefront6targetE0EEEvS12_
                                        ; -- End function
	.set _ZN7rocprim17ROCPRIM_400000_NS6detail17trampoline_kernelINS0_13select_configILj256ELj13ELNS0_17block_load_methodE3ELS4_3ELS4_3ELNS0_20block_scan_algorithmE0ELj4294967295EEENS1_25partition_config_selectorILNS1_17partition_subalgoE4EjNS0_10empty_typeEbEEZZNS1_14partition_implILS8_4ELb0ES6_15HIP_vector_typeIjLj2EENS0_17counting_iteratorIjlEEPS9_SG_NS0_5tupleIJPjSI_NS0_16reverse_iteratorISI_EEEEENSH_IJSG_SG_SG_EEES9_SI_JZNS1_25segmented_radix_sort_implINS0_14default_configELb1EPKsPsPKlPlN2at6native12_GLOBAL__N_18offset_tEEE10hipError_tPvRmT1_PNSt15iterator_traitsIS12_E10value_typeET2_T3_PNS13_IS18_E10value_typeET4_jRbjT5_S1E_jjP12ihipStream_tbEUljE_ZNSN_ISO_Lb1ESQ_SR_ST_SU_SY_EESZ_S10_S11_S12_S16_S17_S18_S1B_S1C_jS1D_jS1E_S1E_jjS1G_bEUljE0_EEESZ_S10_S11_S18_S1C_S1E_T6_T7_T9_mT8_S1G_bDpT10_ENKUlT_T0_E_clISt17integral_constantIbLb0EES1U_EEDaS1P_S1Q_EUlS1P_E_NS1_11comp_targetILNS1_3genE8ELNS1_11target_archE1030ELNS1_3gpuE2ELNS1_3repE0EEENS1_30default_config_static_selectorELNS0_4arch9wavefront6targetE0EEEvS12_.num_vgpr, 0
	.set _ZN7rocprim17ROCPRIM_400000_NS6detail17trampoline_kernelINS0_13select_configILj256ELj13ELNS0_17block_load_methodE3ELS4_3ELS4_3ELNS0_20block_scan_algorithmE0ELj4294967295EEENS1_25partition_config_selectorILNS1_17partition_subalgoE4EjNS0_10empty_typeEbEEZZNS1_14partition_implILS8_4ELb0ES6_15HIP_vector_typeIjLj2EENS0_17counting_iteratorIjlEEPS9_SG_NS0_5tupleIJPjSI_NS0_16reverse_iteratorISI_EEEEENSH_IJSG_SG_SG_EEES9_SI_JZNS1_25segmented_radix_sort_implINS0_14default_configELb1EPKsPsPKlPlN2at6native12_GLOBAL__N_18offset_tEEE10hipError_tPvRmT1_PNSt15iterator_traitsIS12_E10value_typeET2_T3_PNS13_IS18_E10value_typeET4_jRbjT5_S1E_jjP12ihipStream_tbEUljE_ZNSN_ISO_Lb1ESQ_SR_ST_SU_SY_EESZ_S10_S11_S12_S16_S17_S18_S1B_S1C_jS1D_jS1E_S1E_jjS1G_bEUljE0_EEESZ_S10_S11_S18_S1C_S1E_T6_T7_T9_mT8_S1G_bDpT10_ENKUlT_T0_E_clISt17integral_constantIbLb0EES1U_EEDaS1P_S1Q_EUlS1P_E_NS1_11comp_targetILNS1_3genE8ELNS1_11target_archE1030ELNS1_3gpuE2ELNS1_3repE0EEENS1_30default_config_static_selectorELNS0_4arch9wavefront6targetE0EEEvS12_.num_agpr, 0
	.set _ZN7rocprim17ROCPRIM_400000_NS6detail17trampoline_kernelINS0_13select_configILj256ELj13ELNS0_17block_load_methodE3ELS4_3ELS4_3ELNS0_20block_scan_algorithmE0ELj4294967295EEENS1_25partition_config_selectorILNS1_17partition_subalgoE4EjNS0_10empty_typeEbEEZZNS1_14partition_implILS8_4ELb0ES6_15HIP_vector_typeIjLj2EENS0_17counting_iteratorIjlEEPS9_SG_NS0_5tupleIJPjSI_NS0_16reverse_iteratorISI_EEEEENSH_IJSG_SG_SG_EEES9_SI_JZNS1_25segmented_radix_sort_implINS0_14default_configELb1EPKsPsPKlPlN2at6native12_GLOBAL__N_18offset_tEEE10hipError_tPvRmT1_PNSt15iterator_traitsIS12_E10value_typeET2_T3_PNS13_IS18_E10value_typeET4_jRbjT5_S1E_jjP12ihipStream_tbEUljE_ZNSN_ISO_Lb1ESQ_SR_ST_SU_SY_EESZ_S10_S11_S12_S16_S17_S18_S1B_S1C_jS1D_jS1E_S1E_jjS1G_bEUljE0_EEESZ_S10_S11_S18_S1C_S1E_T6_T7_T9_mT8_S1G_bDpT10_ENKUlT_T0_E_clISt17integral_constantIbLb0EES1U_EEDaS1P_S1Q_EUlS1P_E_NS1_11comp_targetILNS1_3genE8ELNS1_11target_archE1030ELNS1_3gpuE2ELNS1_3repE0EEENS1_30default_config_static_selectorELNS0_4arch9wavefront6targetE0EEEvS12_.numbered_sgpr, 0
	.set _ZN7rocprim17ROCPRIM_400000_NS6detail17trampoline_kernelINS0_13select_configILj256ELj13ELNS0_17block_load_methodE3ELS4_3ELS4_3ELNS0_20block_scan_algorithmE0ELj4294967295EEENS1_25partition_config_selectorILNS1_17partition_subalgoE4EjNS0_10empty_typeEbEEZZNS1_14partition_implILS8_4ELb0ES6_15HIP_vector_typeIjLj2EENS0_17counting_iteratorIjlEEPS9_SG_NS0_5tupleIJPjSI_NS0_16reverse_iteratorISI_EEEEENSH_IJSG_SG_SG_EEES9_SI_JZNS1_25segmented_radix_sort_implINS0_14default_configELb1EPKsPsPKlPlN2at6native12_GLOBAL__N_18offset_tEEE10hipError_tPvRmT1_PNSt15iterator_traitsIS12_E10value_typeET2_T3_PNS13_IS18_E10value_typeET4_jRbjT5_S1E_jjP12ihipStream_tbEUljE_ZNSN_ISO_Lb1ESQ_SR_ST_SU_SY_EESZ_S10_S11_S12_S16_S17_S18_S1B_S1C_jS1D_jS1E_S1E_jjS1G_bEUljE0_EEESZ_S10_S11_S18_S1C_S1E_T6_T7_T9_mT8_S1G_bDpT10_ENKUlT_T0_E_clISt17integral_constantIbLb0EES1U_EEDaS1P_S1Q_EUlS1P_E_NS1_11comp_targetILNS1_3genE8ELNS1_11target_archE1030ELNS1_3gpuE2ELNS1_3repE0EEENS1_30default_config_static_selectorELNS0_4arch9wavefront6targetE0EEEvS12_.num_named_barrier, 0
	.set _ZN7rocprim17ROCPRIM_400000_NS6detail17trampoline_kernelINS0_13select_configILj256ELj13ELNS0_17block_load_methodE3ELS4_3ELS4_3ELNS0_20block_scan_algorithmE0ELj4294967295EEENS1_25partition_config_selectorILNS1_17partition_subalgoE4EjNS0_10empty_typeEbEEZZNS1_14partition_implILS8_4ELb0ES6_15HIP_vector_typeIjLj2EENS0_17counting_iteratorIjlEEPS9_SG_NS0_5tupleIJPjSI_NS0_16reverse_iteratorISI_EEEEENSH_IJSG_SG_SG_EEES9_SI_JZNS1_25segmented_radix_sort_implINS0_14default_configELb1EPKsPsPKlPlN2at6native12_GLOBAL__N_18offset_tEEE10hipError_tPvRmT1_PNSt15iterator_traitsIS12_E10value_typeET2_T3_PNS13_IS18_E10value_typeET4_jRbjT5_S1E_jjP12ihipStream_tbEUljE_ZNSN_ISO_Lb1ESQ_SR_ST_SU_SY_EESZ_S10_S11_S12_S16_S17_S18_S1B_S1C_jS1D_jS1E_S1E_jjS1G_bEUljE0_EEESZ_S10_S11_S18_S1C_S1E_T6_T7_T9_mT8_S1G_bDpT10_ENKUlT_T0_E_clISt17integral_constantIbLb0EES1U_EEDaS1P_S1Q_EUlS1P_E_NS1_11comp_targetILNS1_3genE8ELNS1_11target_archE1030ELNS1_3gpuE2ELNS1_3repE0EEENS1_30default_config_static_selectorELNS0_4arch9wavefront6targetE0EEEvS12_.private_seg_size, 0
	.set _ZN7rocprim17ROCPRIM_400000_NS6detail17trampoline_kernelINS0_13select_configILj256ELj13ELNS0_17block_load_methodE3ELS4_3ELS4_3ELNS0_20block_scan_algorithmE0ELj4294967295EEENS1_25partition_config_selectorILNS1_17partition_subalgoE4EjNS0_10empty_typeEbEEZZNS1_14partition_implILS8_4ELb0ES6_15HIP_vector_typeIjLj2EENS0_17counting_iteratorIjlEEPS9_SG_NS0_5tupleIJPjSI_NS0_16reverse_iteratorISI_EEEEENSH_IJSG_SG_SG_EEES9_SI_JZNS1_25segmented_radix_sort_implINS0_14default_configELb1EPKsPsPKlPlN2at6native12_GLOBAL__N_18offset_tEEE10hipError_tPvRmT1_PNSt15iterator_traitsIS12_E10value_typeET2_T3_PNS13_IS18_E10value_typeET4_jRbjT5_S1E_jjP12ihipStream_tbEUljE_ZNSN_ISO_Lb1ESQ_SR_ST_SU_SY_EESZ_S10_S11_S12_S16_S17_S18_S1B_S1C_jS1D_jS1E_S1E_jjS1G_bEUljE0_EEESZ_S10_S11_S18_S1C_S1E_T6_T7_T9_mT8_S1G_bDpT10_ENKUlT_T0_E_clISt17integral_constantIbLb0EES1U_EEDaS1P_S1Q_EUlS1P_E_NS1_11comp_targetILNS1_3genE8ELNS1_11target_archE1030ELNS1_3gpuE2ELNS1_3repE0EEENS1_30default_config_static_selectorELNS0_4arch9wavefront6targetE0EEEvS12_.uses_vcc, 0
	.set _ZN7rocprim17ROCPRIM_400000_NS6detail17trampoline_kernelINS0_13select_configILj256ELj13ELNS0_17block_load_methodE3ELS4_3ELS4_3ELNS0_20block_scan_algorithmE0ELj4294967295EEENS1_25partition_config_selectorILNS1_17partition_subalgoE4EjNS0_10empty_typeEbEEZZNS1_14partition_implILS8_4ELb0ES6_15HIP_vector_typeIjLj2EENS0_17counting_iteratorIjlEEPS9_SG_NS0_5tupleIJPjSI_NS0_16reverse_iteratorISI_EEEEENSH_IJSG_SG_SG_EEES9_SI_JZNS1_25segmented_radix_sort_implINS0_14default_configELb1EPKsPsPKlPlN2at6native12_GLOBAL__N_18offset_tEEE10hipError_tPvRmT1_PNSt15iterator_traitsIS12_E10value_typeET2_T3_PNS13_IS18_E10value_typeET4_jRbjT5_S1E_jjP12ihipStream_tbEUljE_ZNSN_ISO_Lb1ESQ_SR_ST_SU_SY_EESZ_S10_S11_S12_S16_S17_S18_S1B_S1C_jS1D_jS1E_S1E_jjS1G_bEUljE0_EEESZ_S10_S11_S18_S1C_S1E_T6_T7_T9_mT8_S1G_bDpT10_ENKUlT_T0_E_clISt17integral_constantIbLb0EES1U_EEDaS1P_S1Q_EUlS1P_E_NS1_11comp_targetILNS1_3genE8ELNS1_11target_archE1030ELNS1_3gpuE2ELNS1_3repE0EEENS1_30default_config_static_selectorELNS0_4arch9wavefront6targetE0EEEvS12_.uses_flat_scratch, 0
	.set _ZN7rocprim17ROCPRIM_400000_NS6detail17trampoline_kernelINS0_13select_configILj256ELj13ELNS0_17block_load_methodE3ELS4_3ELS4_3ELNS0_20block_scan_algorithmE0ELj4294967295EEENS1_25partition_config_selectorILNS1_17partition_subalgoE4EjNS0_10empty_typeEbEEZZNS1_14partition_implILS8_4ELb0ES6_15HIP_vector_typeIjLj2EENS0_17counting_iteratorIjlEEPS9_SG_NS0_5tupleIJPjSI_NS0_16reverse_iteratorISI_EEEEENSH_IJSG_SG_SG_EEES9_SI_JZNS1_25segmented_radix_sort_implINS0_14default_configELb1EPKsPsPKlPlN2at6native12_GLOBAL__N_18offset_tEEE10hipError_tPvRmT1_PNSt15iterator_traitsIS12_E10value_typeET2_T3_PNS13_IS18_E10value_typeET4_jRbjT5_S1E_jjP12ihipStream_tbEUljE_ZNSN_ISO_Lb1ESQ_SR_ST_SU_SY_EESZ_S10_S11_S12_S16_S17_S18_S1B_S1C_jS1D_jS1E_S1E_jjS1G_bEUljE0_EEESZ_S10_S11_S18_S1C_S1E_T6_T7_T9_mT8_S1G_bDpT10_ENKUlT_T0_E_clISt17integral_constantIbLb0EES1U_EEDaS1P_S1Q_EUlS1P_E_NS1_11comp_targetILNS1_3genE8ELNS1_11target_archE1030ELNS1_3gpuE2ELNS1_3repE0EEENS1_30default_config_static_selectorELNS0_4arch9wavefront6targetE0EEEvS12_.has_dyn_sized_stack, 0
	.set _ZN7rocprim17ROCPRIM_400000_NS6detail17trampoline_kernelINS0_13select_configILj256ELj13ELNS0_17block_load_methodE3ELS4_3ELS4_3ELNS0_20block_scan_algorithmE0ELj4294967295EEENS1_25partition_config_selectorILNS1_17partition_subalgoE4EjNS0_10empty_typeEbEEZZNS1_14partition_implILS8_4ELb0ES6_15HIP_vector_typeIjLj2EENS0_17counting_iteratorIjlEEPS9_SG_NS0_5tupleIJPjSI_NS0_16reverse_iteratorISI_EEEEENSH_IJSG_SG_SG_EEES9_SI_JZNS1_25segmented_radix_sort_implINS0_14default_configELb1EPKsPsPKlPlN2at6native12_GLOBAL__N_18offset_tEEE10hipError_tPvRmT1_PNSt15iterator_traitsIS12_E10value_typeET2_T3_PNS13_IS18_E10value_typeET4_jRbjT5_S1E_jjP12ihipStream_tbEUljE_ZNSN_ISO_Lb1ESQ_SR_ST_SU_SY_EESZ_S10_S11_S12_S16_S17_S18_S1B_S1C_jS1D_jS1E_S1E_jjS1G_bEUljE0_EEESZ_S10_S11_S18_S1C_S1E_T6_T7_T9_mT8_S1G_bDpT10_ENKUlT_T0_E_clISt17integral_constantIbLb0EES1U_EEDaS1P_S1Q_EUlS1P_E_NS1_11comp_targetILNS1_3genE8ELNS1_11target_archE1030ELNS1_3gpuE2ELNS1_3repE0EEENS1_30default_config_static_selectorELNS0_4arch9wavefront6targetE0EEEvS12_.has_recursion, 0
	.set _ZN7rocprim17ROCPRIM_400000_NS6detail17trampoline_kernelINS0_13select_configILj256ELj13ELNS0_17block_load_methodE3ELS4_3ELS4_3ELNS0_20block_scan_algorithmE0ELj4294967295EEENS1_25partition_config_selectorILNS1_17partition_subalgoE4EjNS0_10empty_typeEbEEZZNS1_14partition_implILS8_4ELb0ES6_15HIP_vector_typeIjLj2EENS0_17counting_iteratorIjlEEPS9_SG_NS0_5tupleIJPjSI_NS0_16reverse_iteratorISI_EEEEENSH_IJSG_SG_SG_EEES9_SI_JZNS1_25segmented_radix_sort_implINS0_14default_configELb1EPKsPsPKlPlN2at6native12_GLOBAL__N_18offset_tEEE10hipError_tPvRmT1_PNSt15iterator_traitsIS12_E10value_typeET2_T3_PNS13_IS18_E10value_typeET4_jRbjT5_S1E_jjP12ihipStream_tbEUljE_ZNSN_ISO_Lb1ESQ_SR_ST_SU_SY_EESZ_S10_S11_S12_S16_S17_S18_S1B_S1C_jS1D_jS1E_S1E_jjS1G_bEUljE0_EEESZ_S10_S11_S18_S1C_S1E_T6_T7_T9_mT8_S1G_bDpT10_ENKUlT_T0_E_clISt17integral_constantIbLb0EES1U_EEDaS1P_S1Q_EUlS1P_E_NS1_11comp_targetILNS1_3genE8ELNS1_11target_archE1030ELNS1_3gpuE2ELNS1_3repE0EEENS1_30default_config_static_selectorELNS0_4arch9wavefront6targetE0EEEvS12_.has_indirect_call, 0
	.section	.AMDGPU.csdata,"",@progbits
; Kernel info:
; codeLenInByte = 0
; TotalNumSgprs: 0
; NumVgprs: 0
; ScratchSize: 0
; MemoryBound: 0
; FloatMode: 240
; IeeeMode: 1
; LDSByteSize: 0 bytes/workgroup (compile time only)
; SGPRBlocks: 0
; VGPRBlocks: 0
; NumSGPRsForWavesPerEU: 1
; NumVGPRsForWavesPerEU: 1
; NamedBarCnt: 0
; Occupancy: 16
; WaveLimiterHint : 0
; COMPUTE_PGM_RSRC2:SCRATCH_EN: 0
; COMPUTE_PGM_RSRC2:USER_SGPR: 2
; COMPUTE_PGM_RSRC2:TRAP_HANDLER: 0
; COMPUTE_PGM_RSRC2:TGID_X_EN: 1
; COMPUTE_PGM_RSRC2:TGID_Y_EN: 0
; COMPUTE_PGM_RSRC2:TGID_Z_EN: 0
; COMPUTE_PGM_RSRC2:TIDIG_COMP_CNT: 0
	.section	.text._ZN7rocprim17ROCPRIM_400000_NS6detail17trampoline_kernelINS0_13select_configILj256ELj13ELNS0_17block_load_methodE3ELS4_3ELS4_3ELNS0_20block_scan_algorithmE0ELj4294967295EEENS1_25partition_config_selectorILNS1_17partition_subalgoE4EjNS0_10empty_typeEbEEZZNS1_14partition_implILS8_4ELb0ES6_15HIP_vector_typeIjLj2EENS0_17counting_iteratorIjlEEPS9_SG_NS0_5tupleIJPjSI_NS0_16reverse_iteratorISI_EEEEENSH_IJSG_SG_SG_EEES9_SI_JZNS1_25segmented_radix_sort_implINS0_14default_configELb1EPKsPsPKlPlN2at6native12_GLOBAL__N_18offset_tEEE10hipError_tPvRmT1_PNSt15iterator_traitsIS12_E10value_typeET2_T3_PNS13_IS18_E10value_typeET4_jRbjT5_S1E_jjP12ihipStream_tbEUljE_ZNSN_ISO_Lb1ESQ_SR_ST_SU_SY_EESZ_S10_S11_S12_S16_S17_S18_S1B_S1C_jS1D_jS1E_S1E_jjS1G_bEUljE0_EEESZ_S10_S11_S18_S1C_S1E_T6_T7_T9_mT8_S1G_bDpT10_ENKUlT_T0_E_clISt17integral_constantIbLb1EES1U_EEDaS1P_S1Q_EUlS1P_E_NS1_11comp_targetILNS1_3genE0ELNS1_11target_archE4294967295ELNS1_3gpuE0ELNS1_3repE0EEENS1_30default_config_static_selectorELNS0_4arch9wavefront6targetE0EEEvS12_,"axG",@progbits,_ZN7rocprim17ROCPRIM_400000_NS6detail17trampoline_kernelINS0_13select_configILj256ELj13ELNS0_17block_load_methodE3ELS4_3ELS4_3ELNS0_20block_scan_algorithmE0ELj4294967295EEENS1_25partition_config_selectorILNS1_17partition_subalgoE4EjNS0_10empty_typeEbEEZZNS1_14partition_implILS8_4ELb0ES6_15HIP_vector_typeIjLj2EENS0_17counting_iteratorIjlEEPS9_SG_NS0_5tupleIJPjSI_NS0_16reverse_iteratorISI_EEEEENSH_IJSG_SG_SG_EEES9_SI_JZNS1_25segmented_radix_sort_implINS0_14default_configELb1EPKsPsPKlPlN2at6native12_GLOBAL__N_18offset_tEEE10hipError_tPvRmT1_PNSt15iterator_traitsIS12_E10value_typeET2_T3_PNS13_IS18_E10value_typeET4_jRbjT5_S1E_jjP12ihipStream_tbEUljE_ZNSN_ISO_Lb1ESQ_SR_ST_SU_SY_EESZ_S10_S11_S12_S16_S17_S18_S1B_S1C_jS1D_jS1E_S1E_jjS1G_bEUljE0_EEESZ_S10_S11_S18_S1C_S1E_T6_T7_T9_mT8_S1G_bDpT10_ENKUlT_T0_E_clISt17integral_constantIbLb1EES1U_EEDaS1P_S1Q_EUlS1P_E_NS1_11comp_targetILNS1_3genE0ELNS1_11target_archE4294967295ELNS1_3gpuE0ELNS1_3repE0EEENS1_30default_config_static_selectorELNS0_4arch9wavefront6targetE0EEEvS12_,comdat
	.globl	_ZN7rocprim17ROCPRIM_400000_NS6detail17trampoline_kernelINS0_13select_configILj256ELj13ELNS0_17block_load_methodE3ELS4_3ELS4_3ELNS0_20block_scan_algorithmE0ELj4294967295EEENS1_25partition_config_selectorILNS1_17partition_subalgoE4EjNS0_10empty_typeEbEEZZNS1_14partition_implILS8_4ELb0ES6_15HIP_vector_typeIjLj2EENS0_17counting_iteratorIjlEEPS9_SG_NS0_5tupleIJPjSI_NS0_16reverse_iteratorISI_EEEEENSH_IJSG_SG_SG_EEES9_SI_JZNS1_25segmented_radix_sort_implINS0_14default_configELb1EPKsPsPKlPlN2at6native12_GLOBAL__N_18offset_tEEE10hipError_tPvRmT1_PNSt15iterator_traitsIS12_E10value_typeET2_T3_PNS13_IS18_E10value_typeET4_jRbjT5_S1E_jjP12ihipStream_tbEUljE_ZNSN_ISO_Lb1ESQ_SR_ST_SU_SY_EESZ_S10_S11_S12_S16_S17_S18_S1B_S1C_jS1D_jS1E_S1E_jjS1G_bEUljE0_EEESZ_S10_S11_S18_S1C_S1E_T6_T7_T9_mT8_S1G_bDpT10_ENKUlT_T0_E_clISt17integral_constantIbLb1EES1U_EEDaS1P_S1Q_EUlS1P_E_NS1_11comp_targetILNS1_3genE0ELNS1_11target_archE4294967295ELNS1_3gpuE0ELNS1_3repE0EEENS1_30default_config_static_selectorELNS0_4arch9wavefront6targetE0EEEvS12_ ; -- Begin function _ZN7rocprim17ROCPRIM_400000_NS6detail17trampoline_kernelINS0_13select_configILj256ELj13ELNS0_17block_load_methodE3ELS4_3ELS4_3ELNS0_20block_scan_algorithmE0ELj4294967295EEENS1_25partition_config_selectorILNS1_17partition_subalgoE4EjNS0_10empty_typeEbEEZZNS1_14partition_implILS8_4ELb0ES6_15HIP_vector_typeIjLj2EENS0_17counting_iteratorIjlEEPS9_SG_NS0_5tupleIJPjSI_NS0_16reverse_iteratorISI_EEEEENSH_IJSG_SG_SG_EEES9_SI_JZNS1_25segmented_radix_sort_implINS0_14default_configELb1EPKsPsPKlPlN2at6native12_GLOBAL__N_18offset_tEEE10hipError_tPvRmT1_PNSt15iterator_traitsIS12_E10value_typeET2_T3_PNS13_IS18_E10value_typeET4_jRbjT5_S1E_jjP12ihipStream_tbEUljE_ZNSN_ISO_Lb1ESQ_SR_ST_SU_SY_EESZ_S10_S11_S12_S16_S17_S18_S1B_S1C_jS1D_jS1E_S1E_jjS1G_bEUljE0_EEESZ_S10_S11_S18_S1C_S1E_T6_T7_T9_mT8_S1G_bDpT10_ENKUlT_T0_E_clISt17integral_constantIbLb1EES1U_EEDaS1P_S1Q_EUlS1P_E_NS1_11comp_targetILNS1_3genE0ELNS1_11target_archE4294967295ELNS1_3gpuE0ELNS1_3repE0EEENS1_30default_config_static_selectorELNS0_4arch9wavefront6targetE0EEEvS12_
	.p2align	8
	.type	_ZN7rocprim17ROCPRIM_400000_NS6detail17trampoline_kernelINS0_13select_configILj256ELj13ELNS0_17block_load_methodE3ELS4_3ELS4_3ELNS0_20block_scan_algorithmE0ELj4294967295EEENS1_25partition_config_selectorILNS1_17partition_subalgoE4EjNS0_10empty_typeEbEEZZNS1_14partition_implILS8_4ELb0ES6_15HIP_vector_typeIjLj2EENS0_17counting_iteratorIjlEEPS9_SG_NS0_5tupleIJPjSI_NS0_16reverse_iteratorISI_EEEEENSH_IJSG_SG_SG_EEES9_SI_JZNS1_25segmented_radix_sort_implINS0_14default_configELb1EPKsPsPKlPlN2at6native12_GLOBAL__N_18offset_tEEE10hipError_tPvRmT1_PNSt15iterator_traitsIS12_E10value_typeET2_T3_PNS13_IS18_E10value_typeET4_jRbjT5_S1E_jjP12ihipStream_tbEUljE_ZNSN_ISO_Lb1ESQ_SR_ST_SU_SY_EESZ_S10_S11_S12_S16_S17_S18_S1B_S1C_jS1D_jS1E_S1E_jjS1G_bEUljE0_EEESZ_S10_S11_S18_S1C_S1E_T6_T7_T9_mT8_S1G_bDpT10_ENKUlT_T0_E_clISt17integral_constantIbLb1EES1U_EEDaS1P_S1Q_EUlS1P_E_NS1_11comp_targetILNS1_3genE0ELNS1_11target_archE4294967295ELNS1_3gpuE0ELNS1_3repE0EEENS1_30default_config_static_selectorELNS0_4arch9wavefront6targetE0EEEvS12_,@function
_ZN7rocprim17ROCPRIM_400000_NS6detail17trampoline_kernelINS0_13select_configILj256ELj13ELNS0_17block_load_methodE3ELS4_3ELS4_3ELNS0_20block_scan_algorithmE0ELj4294967295EEENS1_25partition_config_selectorILNS1_17partition_subalgoE4EjNS0_10empty_typeEbEEZZNS1_14partition_implILS8_4ELb0ES6_15HIP_vector_typeIjLj2EENS0_17counting_iteratorIjlEEPS9_SG_NS0_5tupleIJPjSI_NS0_16reverse_iteratorISI_EEEEENSH_IJSG_SG_SG_EEES9_SI_JZNS1_25segmented_radix_sort_implINS0_14default_configELb1EPKsPsPKlPlN2at6native12_GLOBAL__N_18offset_tEEE10hipError_tPvRmT1_PNSt15iterator_traitsIS12_E10value_typeET2_T3_PNS13_IS18_E10value_typeET4_jRbjT5_S1E_jjP12ihipStream_tbEUljE_ZNSN_ISO_Lb1ESQ_SR_ST_SU_SY_EESZ_S10_S11_S12_S16_S17_S18_S1B_S1C_jS1D_jS1E_S1E_jjS1G_bEUljE0_EEESZ_S10_S11_S18_S1C_S1E_T6_T7_T9_mT8_S1G_bDpT10_ENKUlT_T0_E_clISt17integral_constantIbLb1EES1U_EEDaS1P_S1Q_EUlS1P_E_NS1_11comp_targetILNS1_3genE0ELNS1_11target_archE4294967295ELNS1_3gpuE0ELNS1_3repE0EEENS1_30default_config_static_selectorELNS0_4arch9wavefront6targetE0EEEvS12_: ; @_ZN7rocprim17ROCPRIM_400000_NS6detail17trampoline_kernelINS0_13select_configILj256ELj13ELNS0_17block_load_methodE3ELS4_3ELS4_3ELNS0_20block_scan_algorithmE0ELj4294967295EEENS1_25partition_config_selectorILNS1_17partition_subalgoE4EjNS0_10empty_typeEbEEZZNS1_14partition_implILS8_4ELb0ES6_15HIP_vector_typeIjLj2EENS0_17counting_iteratorIjlEEPS9_SG_NS0_5tupleIJPjSI_NS0_16reverse_iteratorISI_EEEEENSH_IJSG_SG_SG_EEES9_SI_JZNS1_25segmented_radix_sort_implINS0_14default_configELb1EPKsPsPKlPlN2at6native12_GLOBAL__N_18offset_tEEE10hipError_tPvRmT1_PNSt15iterator_traitsIS12_E10value_typeET2_T3_PNS13_IS18_E10value_typeET4_jRbjT5_S1E_jjP12ihipStream_tbEUljE_ZNSN_ISO_Lb1ESQ_SR_ST_SU_SY_EESZ_S10_S11_S12_S16_S17_S18_S1B_S1C_jS1D_jS1E_S1E_jjS1G_bEUljE0_EEESZ_S10_S11_S18_S1C_S1E_T6_T7_T9_mT8_S1G_bDpT10_ENKUlT_T0_E_clISt17integral_constantIbLb1EES1U_EEDaS1P_S1Q_EUlS1P_E_NS1_11comp_targetILNS1_3genE0ELNS1_11target_archE4294967295ELNS1_3gpuE0ELNS1_3repE0EEENS1_30default_config_static_selectorELNS0_4arch9wavefront6targetE0EEEvS12_
; %bb.0:
	s_endpgm
	.section	.rodata,"a",@progbits
	.p2align	6, 0x0
	.amdhsa_kernel _ZN7rocprim17ROCPRIM_400000_NS6detail17trampoline_kernelINS0_13select_configILj256ELj13ELNS0_17block_load_methodE3ELS4_3ELS4_3ELNS0_20block_scan_algorithmE0ELj4294967295EEENS1_25partition_config_selectorILNS1_17partition_subalgoE4EjNS0_10empty_typeEbEEZZNS1_14partition_implILS8_4ELb0ES6_15HIP_vector_typeIjLj2EENS0_17counting_iteratorIjlEEPS9_SG_NS0_5tupleIJPjSI_NS0_16reverse_iteratorISI_EEEEENSH_IJSG_SG_SG_EEES9_SI_JZNS1_25segmented_radix_sort_implINS0_14default_configELb1EPKsPsPKlPlN2at6native12_GLOBAL__N_18offset_tEEE10hipError_tPvRmT1_PNSt15iterator_traitsIS12_E10value_typeET2_T3_PNS13_IS18_E10value_typeET4_jRbjT5_S1E_jjP12ihipStream_tbEUljE_ZNSN_ISO_Lb1ESQ_SR_ST_SU_SY_EESZ_S10_S11_S12_S16_S17_S18_S1B_S1C_jS1D_jS1E_S1E_jjS1G_bEUljE0_EEESZ_S10_S11_S18_S1C_S1E_T6_T7_T9_mT8_S1G_bDpT10_ENKUlT_T0_E_clISt17integral_constantIbLb1EES1U_EEDaS1P_S1Q_EUlS1P_E_NS1_11comp_targetILNS1_3genE0ELNS1_11target_archE4294967295ELNS1_3gpuE0ELNS1_3repE0EEENS1_30default_config_static_selectorELNS0_4arch9wavefront6targetE0EEEvS12_
		.amdhsa_group_segment_fixed_size 0
		.amdhsa_private_segment_fixed_size 0
		.amdhsa_kernarg_size 184
		.amdhsa_user_sgpr_count 2
		.amdhsa_user_sgpr_dispatch_ptr 0
		.amdhsa_user_sgpr_queue_ptr 0
		.amdhsa_user_sgpr_kernarg_segment_ptr 1
		.amdhsa_user_sgpr_dispatch_id 0
		.amdhsa_user_sgpr_kernarg_preload_length 0
		.amdhsa_user_sgpr_kernarg_preload_offset 0
		.amdhsa_user_sgpr_private_segment_size 0
		.amdhsa_wavefront_size32 1
		.amdhsa_uses_dynamic_stack 0
		.amdhsa_enable_private_segment 0
		.amdhsa_system_sgpr_workgroup_id_x 1
		.amdhsa_system_sgpr_workgroup_id_y 0
		.amdhsa_system_sgpr_workgroup_id_z 0
		.amdhsa_system_sgpr_workgroup_info 0
		.amdhsa_system_vgpr_workitem_id 0
		.amdhsa_next_free_vgpr 1
		.amdhsa_next_free_sgpr 1
		.amdhsa_named_barrier_count 0
		.amdhsa_reserve_vcc 0
		.amdhsa_float_round_mode_32 0
		.amdhsa_float_round_mode_16_64 0
		.amdhsa_float_denorm_mode_32 3
		.amdhsa_float_denorm_mode_16_64 3
		.amdhsa_fp16_overflow 0
		.amdhsa_memory_ordered 1
		.amdhsa_forward_progress 1
		.amdhsa_inst_pref_size 1
		.amdhsa_round_robin_scheduling 0
		.amdhsa_exception_fp_ieee_invalid_op 0
		.amdhsa_exception_fp_denorm_src 0
		.amdhsa_exception_fp_ieee_div_zero 0
		.amdhsa_exception_fp_ieee_overflow 0
		.amdhsa_exception_fp_ieee_underflow 0
		.amdhsa_exception_fp_ieee_inexact 0
		.amdhsa_exception_int_div_zero 0
	.end_amdhsa_kernel
	.section	.text._ZN7rocprim17ROCPRIM_400000_NS6detail17trampoline_kernelINS0_13select_configILj256ELj13ELNS0_17block_load_methodE3ELS4_3ELS4_3ELNS0_20block_scan_algorithmE0ELj4294967295EEENS1_25partition_config_selectorILNS1_17partition_subalgoE4EjNS0_10empty_typeEbEEZZNS1_14partition_implILS8_4ELb0ES6_15HIP_vector_typeIjLj2EENS0_17counting_iteratorIjlEEPS9_SG_NS0_5tupleIJPjSI_NS0_16reverse_iteratorISI_EEEEENSH_IJSG_SG_SG_EEES9_SI_JZNS1_25segmented_radix_sort_implINS0_14default_configELb1EPKsPsPKlPlN2at6native12_GLOBAL__N_18offset_tEEE10hipError_tPvRmT1_PNSt15iterator_traitsIS12_E10value_typeET2_T3_PNS13_IS18_E10value_typeET4_jRbjT5_S1E_jjP12ihipStream_tbEUljE_ZNSN_ISO_Lb1ESQ_SR_ST_SU_SY_EESZ_S10_S11_S12_S16_S17_S18_S1B_S1C_jS1D_jS1E_S1E_jjS1G_bEUljE0_EEESZ_S10_S11_S18_S1C_S1E_T6_T7_T9_mT8_S1G_bDpT10_ENKUlT_T0_E_clISt17integral_constantIbLb1EES1U_EEDaS1P_S1Q_EUlS1P_E_NS1_11comp_targetILNS1_3genE0ELNS1_11target_archE4294967295ELNS1_3gpuE0ELNS1_3repE0EEENS1_30default_config_static_selectorELNS0_4arch9wavefront6targetE0EEEvS12_,"axG",@progbits,_ZN7rocprim17ROCPRIM_400000_NS6detail17trampoline_kernelINS0_13select_configILj256ELj13ELNS0_17block_load_methodE3ELS4_3ELS4_3ELNS0_20block_scan_algorithmE0ELj4294967295EEENS1_25partition_config_selectorILNS1_17partition_subalgoE4EjNS0_10empty_typeEbEEZZNS1_14partition_implILS8_4ELb0ES6_15HIP_vector_typeIjLj2EENS0_17counting_iteratorIjlEEPS9_SG_NS0_5tupleIJPjSI_NS0_16reverse_iteratorISI_EEEEENSH_IJSG_SG_SG_EEES9_SI_JZNS1_25segmented_radix_sort_implINS0_14default_configELb1EPKsPsPKlPlN2at6native12_GLOBAL__N_18offset_tEEE10hipError_tPvRmT1_PNSt15iterator_traitsIS12_E10value_typeET2_T3_PNS13_IS18_E10value_typeET4_jRbjT5_S1E_jjP12ihipStream_tbEUljE_ZNSN_ISO_Lb1ESQ_SR_ST_SU_SY_EESZ_S10_S11_S12_S16_S17_S18_S1B_S1C_jS1D_jS1E_S1E_jjS1G_bEUljE0_EEESZ_S10_S11_S18_S1C_S1E_T6_T7_T9_mT8_S1G_bDpT10_ENKUlT_T0_E_clISt17integral_constantIbLb1EES1U_EEDaS1P_S1Q_EUlS1P_E_NS1_11comp_targetILNS1_3genE0ELNS1_11target_archE4294967295ELNS1_3gpuE0ELNS1_3repE0EEENS1_30default_config_static_selectorELNS0_4arch9wavefront6targetE0EEEvS12_,comdat
.Lfunc_end851:
	.size	_ZN7rocprim17ROCPRIM_400000_NS6detail17trampoline_kernelINS0_13select_configILj256ELj13ELNS0_17block_load_methodE3ELS4_3ELS4_3ELNS0_20block_scan_algorithmE0ELj4294967295EEENS1_25partition_config_selectorILNS1_17partition_subalgoE4EjNS0_10empty_typeEbEEZZNS1_14partition_implILS8_4ELb0ES6_15HIP_vector_typeIjLj2EENS0_17counting_iteratorIjlEEPS9_SG_NS0_5tupleIJPjSI_NS0_16reverse_iteratorISI_EEEEENSH_IJSG_SG_SG_EEES9_SI_JZNS1_25segmented_radix_sort_implINS0_14default_configELb1EPKsPsPKlPlN2at6native12_GLOBAL__N_18offset_tEEE10hipError_tPvRmT1_PNSt15iterator_traitsIS12_E10value_typeET2_T3_PNS13_IS18_E10value_typeET4_jRbjT5_S1E_jjP12ihipStream_tbEUljE_ZNSN_ISO_Lb1ESQ_SR_ST_SU_SY_EESZ_S10_S11_S12_S16_S17_S18_S1B_S1C_jS1D_jS1E_S1E_jjS1G_bEUljE0_EEESZ_S10_S11_S18_S1C_S1E_T6_T7_T9_mT8_S1G_bDpT10_ENKUlT_T0_E_clISt17integral_constantIbLb1EES1U_EEDaS1P_S1Q_EUlS1P_E_NS1_11comp_targetILNS1_3genE0ELNS1_11target_archE4294967295ELNS1_3gpuE0ELNS1_3repE0EEENS1_30default_config_static_selectorELNS0_4arch9wavefront6targetE0EEEvS12_, .Lfunc_end851-_ZN7rocprim17ROCPRIM_400000_NS6detail17trampoline_kernelINS0_13select_configILj256ELj13ELNS0_17block_load_methodE3ELS4_3ELS4_3ELNS0_20block_scan_algorithmE0ELj4294967295EEENS1_25partition_config_selectorILNS1_17partition_subalgoE4EjNS0_10empty_typeEbEEZZNS1_14partition_implILS8_4ELb0ES6_15HIP_vector_typeIjLj2EENS0_17counting_iteratorIjlEEPS9_SG_NS0_5tupleIJPjSI_NS0_16reverse_iteratorISI_EEEEENSH_IJSG_SG_SG_EEES9_SI_JZNS1_25segmented_radix_sort_implINS0_14default_configELb1EPKsPsPKlPlN2at6native12_GLOBAL__N_18offset_tEEE10hipError_tPvRmT1_PNSt15iterator_traitsIS12_E10value_typeET2_T3_PNS13_IS18_E10value_typeET4_jRbjT5_S1E_jjP12ihipStream_tbEUljE_ZNSN_ISO_Lb1ESQ_SR_ST_SU_SY_EESZ_S10_S11_S12_S16_S17_S18_S1B_S1C_jS1D_jS1E_S1E_jjS1G_bEUljE0_EEESZ_S10_S11_S18_S1C_S1E_T6_T7_T9_mT8_S1G_bDpT10_ENKUlT_T0_E_clISt17integral_constantIbLb1EES1U_EEDaS1P_S1Q_EUlS1P_E_NS1_11comp_targetILNS1_3genE0ELNS1_11target_archE4294967295ELNS1_3gpuE0ELNS1_3repE0EEENS1_30default_config_static_selectorELNS0_4arch9wavefront6targetE0EEEvS12_
                                        ; -- End function
	.set _ZN7rocprim17ROCPRIM_400000_NS6detail17trampoline_kernelINS0_13select_configILj256ELj13ELNS0_17block_load_methodE3ELS4_3ELS4_3ELNS0_20block_scan_algorithmE0ELj4294967295EEENS1_25partition_config_selectorILNS1_17partition_subalgoE4EjNS0_10empty_typeEbEEZZNS1_14partition_implILS8_4ELb0ES6_15HIP_vector_typeIjLj2EENS0_17counting_iteratorIjlEEPS9_SG_NS0_5tupleIJPjSI_NS0_16reverse_iteratorISI_EEEEENSH_IJSG_SG_SG_EEES9_SI_JZNS1_25segmented_radix_sort_implINS0_14default_configELb1EPKsPsPKlPlN2at6native12_GLOBAL__N_18offset_tEEE10hipError_tPvRmT1_PNSt15iterator_traitsIS12_E10value_typeET2_T3_PNS13_IS18_E10value_typeET4_jRbjT5_S1E_jjP12ihipStream_tbEUljE_ZNSN_ISO_Lb1ESQ_SR_ST_SU_SY_EESZ_S10_S11_S12_S16_S17_S18_S1B_S1C_jS1D_jS1E_S1E_jjS1G_bEUljE0_EEESZ_S10_S11_S18_S1C_S1E_T6_T7_T9_mT8_S1G_bDpT10_ENKUlT_T0_E_clISt17integral_constantIbLb1EES1U_EEDaS1P_S1Q_EUlS1P_E_NS1_11comp_targetILNS1_3genE0ELNS1_11target_archE4294967295ELNS1_3gpuE0ELNS1_3repE0EEENS1_30default_config_static_selectorELNS0_4arch9wavefront6targetE0EEEvS12_.num_vgpr, 0
	.set _ZN7rocprim17ROCPRIM_400000_NS6detail17trampoline_kernelINS0_13select_configILj256ELj13ELNS0_17block_load_methodE3ELS4_3ELS4_3ELNS0_20block_scan_algorithmE0ELj4294967295EEENS1_25partition_config_selectorILNS1_17partition_subalgoE4EjNS0_10empty_typeEbEEZZNS1_14partition_implILS8_4ELb0ES6_15HIP_vector_typeIjLj2EENS0_17counting_iteratorIjlEEPS9_SG_NS0_5tupleIJPjSI_NS0_16reverse_iteratorISI_EEEEENSH_IJSG_SG_SG_EEES9_SI_JZNS1_25segmented_radix_sort_implINS0_14default_configELb1EPKsPsPKlPlN2at6native12_GLOBAL__N_18offset_tEEE10hipError_tPvRmT1_PNSt15iterator_traitsIS12_E10value_typeET2_T3_PNS13_IS18_E10value_typeET4_jRbjT5_S1E_jjP12ihipStream_tbEUljE_ZNSN_ISO_Lb1ESQ_SR_ST_SU_SY_EESZ_S10_S11_S12_S16_S17_S18_S1B_S1C_jS1D_jS1E_S1E_jjS1G_bEUljE0_EEESZ_S10_S11_S18_S1C_S1E_T6_T7_T9_mT8_S1G_bDpT10_ENKUlT_T0_E_clISt17integral_constantIbLb1EES1U_EEDaS1P_S1Q_EUlS1P_E_NS1_11comp_targetILNS1_3genE0ELNS1_11target_archE4294967295ELNS1_3gpuE0ELNS1_3repE0EEENS1_30default_config_static_selectorELNS0_4arch9wavefront6targetE0EEEvS12_.num_agpr, 0
	.set _ZN7rocprim17ROCPRIM_400000_NS6detail17trampoline_kernelINS0_13select_configILj256ELj13ELNS0_17block_load_methodE3ELS4_3ELS4_3ELNS0_20block_scan_algorithmE0ELj4294967295EEENS1_25partition_config_selectorILNS1_17partition_subalgoE4EjNS0_10empty_typeEbEEZZNS1_14partition_implILS8_4ELb0ES6_15HIP_vector_typeIjLj2EENS0_17counting_iteratorIjlEEPS9_SG_NS0_5tupleIJPjSI_NS0_16reverse_iteratorISI_EEEEENSH_IJSG_SG_SG_EEES9_SI_JZNS1_25segmented_radix_sort_implINS0_14default_configELb1EPKsPsPKlPlN2at6native12_GLOBAL__N_18offset_tEEE10hipError_tPvRmT1_PNSt15iterator_traitsIS12_E10value_typeET2_T3_PNS13_IS18_E10value_typeET4_jRbjT5_S1E_jjP12ihipStream_tbEUljE_ZNSN_ISO_Lb1ESQ_SR_ST_SU_SY_EESZ_S10_S11_S12_S16_S17_S18_S1B_S1C_jS1D_jS1E_S1E_jjS1G_bEUljE0_EEESZ_S10_S11_S18_S1C_S1E_T6_T7_T9_mT8_S1G_bDpT10_ENKUlT_T0_E_clISt17integral_constantIbLb1EES1U_EEDaS1P_S1Q_EUlS1P_E_NS1_11comp_targetILNS1_3genE0ELNS1_11target_archE4294967295ELNS1_3gpuE0ELNS1_3repE0EEENS1_30default_config_static_selectorELNS0_4arch9wavefront6targetE0EEEvS12_.numbered_sgpr, 0
	.set _ZN7rocprim17ROCPRIM_400000_NS6detail17trampoline_kernelINS0_13select_configILj256ELj13ELNS0_17block_load_methodE3ELS4_3ELS4_3ELNS0_20block_scan_algorithmE0ELj4294967295EEENS1_25partition_config_selectorILNS1_17partition_subalgoE4EjNS0_10empty_typeEbEEZZNS1_14partition_implILS8_4ELb0ES6_15HIP_vector_typeIjLj2EENS0_17counting_iteratorIjlEEPS9_SG_NS0_5tupleIJPjSI_NS0_16reverse_iteratorISI_EEEEENSH_IJSG_SG_SG_EEES9_SI_JZNS1_25segmented_radix_sort_implINS0_14default_configELb1EPKsPsPKlPlN2at6native12_GLOBAL__N_18offset_tEEE10hipError_tPvRmT1_PNSt15iterator_traitsIS12_E10value_typeET2_T3_PNS13_IS18_E10value_typeET4_jRbjT5_S1E_jjP12ihipStream_tbEUljE_ZNSN_ISO_Lb1ESQ_SR_ST_SU_SY_EESZ_S10_S11_S12_S16_S17_S18_S1B_S1C_jS1D_jS1E_S1E_jjS1G_bEUljE0_EEESZ_S10_S11_S18_S1C_S1E_T6_T7_T9_mT8_S1G_bDpT10_ENKUlT_T0_E_clISt17integral_constantIbLb1EES1U_EEDaS1P_S1Q_EUlS1P_E_NS1_11comp_targetILNS1_3genE0ELNS1_11target_archE4294967295ELNS1_3gpuE0ELNS1_3repE0EEENS1_30default_config_static_selectorELNS0_4arch9wavefront6targetE0EEEvS12_.num_named_barrier, 0
	.set _ZN7rocprim17ROCPRIM_400000_NS6detail17trampoline_kernelINS0_13select_configILj256ELj13ELNS0_17block_load_methodE3ELS4_3ELS4_3ELNS0_20block_scan_algorithmE0ELj4294967295EEENS1_25partition_config_selectorILNS1_17partition_subalgoE4EjNS0_10empty_typeEbEEZZNS1_14partition_implILS8_4ELb0ES6_15HIP_vector_typeIjLj2EENS0_17counting_iteratorIjlEEPS9_SG_NS0_5tupleIJPjSI_NS0_16reverse_iteratorISI_EEEEENSH_IJSG_SG_SG_EEES9_SI_JZNS1_25segmented_radix_sort_implINS0_14default_configELb1EPKsPsPKlPlN2at6native12_GLOBAL__N_18offset_tEEE10hipError_tPvRmT1_PNSt15iterator_traitsIS12_E10value_typeET2_T3_PNS13_IS18_E10value_typeET4_jRbjT5_S1E_jjP12ihipStream_tbEUljE_ZNSN_ISO_Lb1ESQ_SR_ST_SU_SY_EESZ_S10_S11_S12_S16_S17_S18_S1B_S1C_jS1D_jS1E_S1E_jjS1G_bEUljE0_EEESZ_S10_S11_S18_S1C_S1E_T6_T7_T9_mT8_S1G_bDpT10_ENKUlT_T0_E_clISt17integral_constantIbLb1EES1U_EEDaS1P_S1Q_EUlS1P_E_NS1_11comp_targetILNS1_3genE0ELNS1_11target_archE4294967295ELNS1_3gpuE0ELNS1_3repE0EEENS1_30default_config_static_selectorELNS0_4arch9wavefront6targetE0EEEvS12_.private_seg_size, 0
	.set _ZN7rocprim17ROCPRIM_400000_NS6detail17trampoline_kernelINS0_13select_configILj256ELj13ELNS0_17block_load_methodE3ELS4_3ELS4_3ELNS0_20block_scan_algorithmE0ELj4294967295EEENS1_25partition_config_selectorILNS1_17partition_subalgoE4EjNS0_10empty_typeEbEEZZNS1_14partition_implILS8_4ELb0ES6_15HIP_vector_typeIjLj2EENS0_17counting_iteratorIjlEEPS9_SG_NS0_5tupleIJPjSI_NS0_16reverse_iteratorISI_EEEEENSH_IJSG_SG_SG_EEES9_SI_JZNS1_25segmented_radix_sort_implINS0_14default_configELb1EPKsPsPKlPlN2at6native12_GLOBAL__N_18offset_tEEE10hipError_tPvRmT1_PNSt15iterator_traitsIS12_E10value_typeET2_T3_PNS13_IS18_E10value_typeET4_jRbjT5_S1E_jjP12ihipStream_tbEUljE_ZNSN_ISO_Lb1ESQ_SR_ST_SU_SY_EESZ_S10_S11_S12_S16_S17_S18_S1B_S1C_jS1D_jS1E_S1E_jjS1G_bEUljE0_EEESZ_S10_S11_S18_S1C_S1E_T6_T7_T9_mT8_S1G_bDpT10_ENKUlT_T0_E_clISt17integral_constantIbLb1EES1U_EEDaS1P_S1Q_EUlS1P_E_NS1_11comp_targetILNS1_3genE0ELNS1_11target_archE4294967295ELNS1_3gpuE0ELNS1_3repE0EEENS1_30default_config_static_selectorELNS0_4arch9wavefront6targetE0EEEvS12_.uses_vcc, 0
	.set _ZN7rocprim17ROCPRIM_400000_NS6detail17trampoline_kernelINS0_13select_configILj256ELj13ELNS0_17block_load_methodE3ELS4_3ELS4_3ELNS0_20block_scan_algorithmE0ELj4294967295EEENS1_25partition_config_selectorILNS1_17partition_subalgoE4EjNS0_10empty_typeEbEEZZNS1_14partition_implILS8_4ELb0ES6_15HIP_vector_typeIjLj2EENS0_17counting_iteratorIjlEEPS9_SG_NS0_5tupleIJPjSI_NS0_16reverse_iteratorISI_EEEEENSH_IJSG_SG_SG_EEES9_SI_JZNS1_25segmented_radix_sort_implINS0_14default_configELb1EPKsPsPKlPlN2at6native12_GLOBAL__N_18offset_tEEE10hipError_tPvRmT1_PNSt15iterator_traitsIS12_E10value_typeET2_T3_PNS13_IS18_E10value_typeET4_jRbjT5_S1E_jjP12ihipStream_tbEUljE_ZNSN_ISO_Lb1ESQ_SR_ST_SU_SY_EESZ_S10_S11_S12_S16_S17_S18_S1B_S1C_jS1D_jS1E_S1E_jjS1G_bEUljE0_EEESZ_S10_S11_S18_S1C_S1E_T6_T7_T9_mT8_S1G_bDpT10_ENKUlT_T0_E_clISt17integral_constantIbLb1EES1U_EEDaS1P_S1Q_EUlS1P_E_NS1_11comp_targetILNS1_3genE0ELNS1_11target_archE4294967295ELNS1_3gpuE0ELNS1_3repE0EEENS1_30default_config_static_selectorELNS0_4arch9wavefront6targetE0EEEvS12_.uses_flat_scratch, 0
	.set _ZN7rocprim17ROCPRIM_400000_NS6detail17trampoline_kernelINS0_13select_configILj256ELj13ELNS0_17block_load_methodE3ELS4_3ELS4_3ELNS0_20block_scan_algorithmE0ELj4294967295EEENS1_25partition_config_selectorILNS1_17partition_subalgoE4EjNS0_10empty_typeEbEEZZNS1_14partition_implILS8_4ELb0ES6_15HIP_vector_typeIjLj2EENS0_17counting_iteratorIjlEEPS9_SG_NS0_5tupleIJPjSI_NS0_16reverse_iteratorISI_EEEEENSH_IJSG_SG_SG_EEES9_SI_JZNS1_25segmented_radix_sort_implINS0_14default_configELb1EPKsPsPKlPlN2at6native12_GLOBAL__N_18offset_tEEE10hipError_tPvRmT1_PNSt15iterator_traitsIS12_E10value_typeET2_T3_PNS13_IS18_E10value_typeET4_jRbjT5_S1E_jjP12ihipStream_tbEUljE_ZNSN_ISO_Lb1ESQ_SR_ST_SU_SY_EESZ_S10_S11_S12_S16_S17_S18_S1B_S1C_jS1D_jS1E_S1E_jjS1G_bEUljE0_EEESZ_S10_S11_S18_S1C_S1E_T6_T7_T9_mT8_S1G_bDpT10_ENKUlT_T0_E_clISt17integral_constantIbLb1EES1U_EEDaS1P_S1Q_EUlS1P_E_NS1_11comp_targetILNS1_3genE0ELNS1_11target_archE4294967295ELNS1_3gpuE0ELNS1_3repE0EEENS1_30default_config_static_selectorELNS0_4arch9wavefront6targetE0EEEvS12_.has_dyn_sized_stack, 0
	.set _ZN7rocprim17ROCPRIM_400000_NS6detail17trampoline_kernelINS0_13select_configILj256ELj13ELNS0_17block_load_methodE3ELS4_3ELS4_3ELNS0_20block_scan_algorithmE0ELj4294967295EEENS1_25partition_config_selectorILNS1_17partition_subalgoE4EjNS0_10empty_typeEbEEZZNS1_14partition_implILS8_4ELb0ES6_15HIP_vector_typeIjLj2EENS0_17counting_iteratorIjlEEPS9_SG_NS0_5tupleIJPjSI_NS0_16reverse_iteratorISI_EEEEENSH_IJSG_SG_SG_EEES9_SI_JZNS1_25segmented_radix_sort_implINS0_14default_configELb1EPKsPsPKlPlN2at6native12_GLOBAL__N_18offset_tEEE10hipError_tPvRmT1_PNSt15iterator_traitsIS12_E10value_typeET2_T3_PNS13_IS18_E10value_typeET4_jRbjT5_S1E_jjP12ihipStream_tbEUljE_ZNSN_ISO_Lb1ESQ_SR_ST_SU_SY_EESZ_S10_S11_S12_S16_S17_S18_S1B_S1C_jS1D_jS1E_S1E_jjS1G_bEUljE0_EEESZ_S10_S11_S18_S1C_S1E_T6_T7_T9_mT8_S1G_bDpT10_ENKUlT_T0_E_clISt17integral_constantIbLb1EES1U_EEDaS1P_S1Q_EUlS1P_E_NS1_11comp_targetILNS1_3genE0ELNS1_11target_archE4294967295ELNS1_3gpuE0ELNS1_3repE0EEENS1_30default_config_static_selectorELNS0_4arch9wavefront6targetE0EEEvS12_.has_recursion, 0
	.set _ZN7rocprim17ROCPRIM_400000_NS6detail17trampoline_kernelINS0_13select_configILj256ELj13ELNS0_17block_load_methodE3ELS4_3ELS4_3ELNS0_20block_scan_algorithmE0ELj4294967295EEENS1_25partition_config_selectorILNS1_17partition_subalgoE4EjNS0_10empty_typeEbEEZZNS1_14partition_implILS8_4ELb0ES6_15HIP_vector_typeIjLj2EENS0_17counting_iteratorIjlEEPS9_SG_NS0_5tupleIJPjSI_NS0_16reverse_iteratorISI_EEEEENSH_IJSG_SG_SG_EEES9_SI_JZNS1_25segmented_radix_sort_implINS0_14default_configELb1EPKsPsPKlPlN2at6native12_GLOBAL__N_18offset_tEEE10hipError_tPvRmT1_PNSt15iterator_traitsIS12_E10value_typeET2_T3_PNS13_IS18_E10value_typeET4_jRbjT5_S1E_jjP12ihipStream_tbEUljE_ZNSN_ISO_Lb1ESQ_SR_ST_SU_SY_EESZ_S10_S11_S12_S16_S17_S18_S1B_S1C_jS1D_jS1E_S1E_jjS1G_bEUljE0_EEESZ_S10_S11_S18_S1C_S1E_T6_T7_T9_mT8_S1G_bDpT10_ENKUlT_T0_E_clISt17integral_constantIbLb1EES1U_EEDaS1P_S1Q_EUlS1P_E_NS1_11comp_targetILNS1_3genE0ELNS1_11target_archE4294967295ELNS1_3gpuE0ELNS1_3repE0EEENS1_30default_config_static_selectorELNS0_4arch9wavefront6targetE0EEEvS12_.has_indirect_call, 0
	.section	.AMDGPU.csdata,"",@progbits
; Kernel info:
; codeLenInByte = 4
; TotalNumSgprs: 0
; NumVgprs: 0
; ScratchSize: 0
; MemoryBound: 0
; FloatMode: 240
; IeeeMode: 1
; LDSByteSize: 0 bytes/workgroup (compile time only)
; SGPRBlocks: 0
; VGPRBlocks: 0
; NumSGPRsForWavesPerEU: 1
; NumVGPRsForWavesPerEU: 1
; NamedBarCnt: 0
; Occupancy: 16
; WaveLimiterHint : 0
; COMPUTE_PGM_RSRC2:SCRATCH_EN: 0
; COMPUTE_PGM_RSRC2:USER_SGPR: 2
; COMPUTE_PGM_RSRC2:TRAP_HANDLER: 0
; COMPUTE_PGM_RSRC2:TGID_X_EN: 1
; COMPUTE_PGM_RSRC2:TGID_Y_EN: 0
; COMPUTE_PGM_RSRC2:TGID_Z_EN: 0
; COMPUTE_PGM_RSRC2:TIDIG_COMP_CNT: 0
	.section	.text._ZN7rocprim17ROCPRIM_400000_NS6detail17trampoline_kernelINS0_13select_configILj256ELj13ELNS0_17block_load_methodE3ELS4_3ELS4_3ELNS0_20block_scan_algorithmE0ELj4294967295EEENS1_25partition_config_selectorILNS1_17partition_subalgoE4EjNS0_10empty_typeEbEEZZNS1_14partition_implILS8_4ELb0ES6_15HIP_vector_typeIjLj2EENS0_17counting_iteratorIjlEEPS9_SG_NS0_5tupleIJPjSI_NS0_16reverse_iteratorISI_EEEEENSH_IJSG_SG_SG_EEES9_SI_JZNS1_25segmented_radix_sort_implINS0_14default_configELb1EPKsPsPKlPlN2at6native12_GLOBAL__N_18offset_tEEE10hipError_tPvRmT1_PNSt15iterator_traitsIS12_E10value_typeET2_T3_PNS13_IS18_E10value_typeET4_jRbjT5_S1E_jjP12ihipStream_tbEUljE_ZNSN_ISO_Lb1ESQ_SR_ST_SU_SY_EESZ_S10_S11_S12_S16_S17_S18_S1B_S1C_jS1D_jS1E_S1E_jjS1G_bEUljE0_EEESZ_S10_S11_S18_S1C_S1E_T6_T7_T9_mT8_S1G_bDpT10_ENKUlT_T0_E_clISt17integral_constantIbLb1EES1U_EEDaS1P_S1Q_EUlS1P_E_NS1_11comp_targetILNS1_3genE5ELNS1_11target_archE942ELNS1_3gpuE9ELNS1_3repE0EEENS1_30default_config_static_selectorELNS0_4arch9wavefront6targetE0EEEvS12_,"axG",@progbits,_ZN7rocprim17ROCPRIM_400000_NS6detail17trampoline_kernelINS0_13select_configILj256ELj13ELNS0_17block_load_methodE3ELS4_3ELS4_3ELNS0_20block_scan_algorithmE0ELj4294967295EEENS1_25partition_config_selectorILNS1_17partition_subalgoE4EjNS0_10empty_typeEbEEZZNS1_14partition_implILS8_4ELb0ES6_15HIP_vector_typeIjLj2EENS0_17counting_iteratorIjlEEPS9_SG_NS0_5tupleIJPjSI_NS0_16reverse_iteratorISI_EEEEENSH_IJSG_SG_SG_EEES9_SI_JZNS1_25segmented_radix_sort_implINS0_14default_configELb1EPKsPsPKlPlN2at6native12_GLOBAL__N_18offset_tEEE10hipError_tPvRmT1_PNSt15iterator_traitsIS12_E10value_typeET2_T3_PNS13_IS18_E10value_typeET4_jRbjT5_S1E_jjP12ihipStream_tbEUljE_ZNSN_ISO_Lb1ESQ_SR_ST_SU_SY_EESZ_S10_S11_S12_S16_S17_S18_S1B_S1C_jS1D_jS1E_S1E_jjS1G_bEUljE0_EEESZ_S10_S11_S18_S1C_S1E_T6_T7_T9_mT8_S1G_bDpT10_ENKUlT_T0_E_clISt17integral_constantIbLb1EES1U_EEDaS1P_S1Q_EUlS1P_E_NS1_11comp_targetILNS1_3genE5ELNS1_11target_archE942ELNS1_3gpuE9ELNS1_3repE0EEENS1_30default_config_static_selectorELNS0_4arch9wavefront6targetE0EEEvS12_,comdat
	.globl	_ZN7rocprim17ROCPRIM_400000_NS6detail17trampoline_kernelINS0_13select_configILj256ELj13ELNS0_17block_load_methodE3ELS4_3ELS4_3ELNS0_20block_scan_algorithmE0ELj4294967295EEENS1_25partition_config_selectorILNS1_17partition_subalgoE4EjNS0_10empty_typeEbEEZZNS1_14partition_implILS8_4ELb0ES6_15HIP_vector_typeIjLj2EENS0_17counting_iteratorIjlEEPS9_SG_NS0_5tupleIJPjSI_NS0_16reverse_iteratorISI_EEEEENSH_IJSG_SG_SG_EEES9_SI_JZNS1_25segmented_radix_sort_implINS0_14default_configELb1EPKsPsPKlPlN2at6native12_GLOBAL__N_18offset_tEEE10hipError_tPvRmT1_PNSt15iterator_traitsIS12_E10value_typeET2_T3_PNS13_IS18_E10value_typeET4_jRbjT5_S1E_jjP12ihipStream_tbEUljE_ZNSN_ISO_Lb1ESQ_SR_ST_SU_SY_EESZ_S10_S11_S12_S16_S17_S18_S1B_S1C_jS1D_jS1E_S1E_jjS1G_bEUljE0_EEESZ_S10_S11_S18_S1C_S1E_T6_T7_T9_mT8_S1G_bDpT10_ENKUlT_T0_E_clISt17integral_constantIbLb1EES1U_EEDaS1P_S1Q_EUlS1P_E_NS1_11comp_targetILNS1_3genE5ELNS1_11target_archE942ELNS1_3gpuE9ELNS1_3repE0EEENS1_30default_config_static_selectorELNS0_4arch9wavefront6targetE0EEEvS12_ ; -- Begin function _ZN7rocprim17ROCPRIM_400000_NS6detail17trampoline_kernelINS0_13select_configILj256ELj13ELNS0_17block_load_methodE3ELS4_3ELS4_3ELNS0_20block_scan_algorithmE0ELj4294967295EEENS1_25partition_config_selectorILNS1_17partition_subalgoE4EjNS0_10empty_typeEbEEZZNS1_14partition_implILS8_4ELb0ES6_15HIP_vector_typeIjLj2EENS0_17counting_iteratorIjlEEPS9_SG_NS0_5tupleIJPjSI_NS0_16reverse_iteratorISI_EEEEENSH_IJSG_SG_SG_EEES9_SI_JZNS1_25segmented_radix_sort_implINS0_14default_configELb1EPKsPsPKlPlN2at6native12_GLOBAL__N_18offset_tEEE10hipError_tPvRmT1_PNSt15iterator_traitsIS12_E10value_typeET2_T3_PNS13_IS18_E10value_typeET4_jRbjT5_S1E_jjP12ihipStream_tbEUljE_ZNSN_ISO_Lb1ESQ_SR_ST_SU_SY_EESZ_S10_S11_S12_S16_S17_S18_S1B_S1C_jS1D_jS1E_S1E_jjS1G_bEUljE0_EEESZ_S10_S11_S18_S1C_S1E_T6_T7_T9_mT8_S1G_bDpT10_ENKUlT_T0_E_clISt17integral_constantIbLb1EES1U_EEDaS1P_S1Q_EUlS1P_E_NS1_11comp_targetILNS1_3genE5ELNS1_11target_archE942ELNS1_3gpuE9ELNS1_3repE0EEENS1_30default_config_static_selectorELNS0_4arch9wavefront6targetE0EEEvS12_
	.p2align	8
	.type	_ZN7rocprim17ROCPRIM_400000_NS6detail17trampoline_kernelINS0_13select_configILj256ELj13ELNS0_17block_load_methodE3ELS4_3ELS4_3ELNS0_20block_scan_algorithmE0ELj4294967295EEENS1_25partition_config_selectorILNS1_17partition_subalgoE4EjNS0_10empty_typeEbEEZZNS1_14partition_implILS8_4ELb0ES6_15HIP_vector_typeIjLj2EENS0_17counting_iteratorIjlEEPS9_SG_NS0_5tupleIJPjSI_NS0_16reverse_iteratorISI_EEEEENSH_IJSG_SG_SG_EEES9_SI_JZNS1_25segmented_radix_sort_implINS0_14default_configELb1EPKsPsPKlPlN2at6native12_GLOBAL__N_18offset_tEEE10hipError_tPvRmT1_PNSt15iterator_traitsIS12_E10value_typeET2_T3_PNS13_IS18_E10value_typeET4_jRbjT5_S1E_jjP12ihipStream_tbEUljE_ZNSN_ISO_Lb1ESQ_SR_ST_SU_SY_EESZ_S10_S11_S12_S16_S17_S18_S1B_S1C_jS1D_jS1E_S1E_jjS1G_bEUljE0_EEESZ_S10_S11_S18_S1C_S1E_T6_T7_T9_mT8_S1G_bDpT10_ENKUlT_T0_E_clISt17integral_constantIbLb1EES1U_EEDaS1P_S1Q_EUlS1P_E_NS1_11comp_targetILNS1_3genE5ELNS1_11target_archE942ELNS1_3gpuE9ELNS1_3repE0EEENS1_30default_config_static_selectorELNS0_4arch9wavefront6targetE0EEEvS12_,@function
_ZN7rocprim17ROCPRIM_400000_NS6detail17trampoline_kernelINS0_13select_configILj256ELj13ELNS0_17block_load_methodE3ELS4_3ELS4_3ELNS0_20block_scan_algorithmE0ELj4294967295EEENS1_25partition_config_selectorILNS1_17partition_subalgoE4EjNS0_10empty_typeEbEEZZNS1_14partition_implILS8_4ELb0ES6_15HIP_vector_typeIjLj2EENS0_17counting_iteratorIjlEEPS9_SG_NS0_5tupleIJPjSI_NS0_16reverse_iteratorISI_EEEEENSH_IJSG_SG_SG_EEES9_SI_JZNS1_25segmented_radix_sort_implINS0_14default_configELb1EPKsPsPKlPlN2at6native12_GLOBAL__N_18offset_tEEE10hipError_tPvRmT1_PNSt15iterator_traitsIS12_E10value_typeET2_T3_PNS13_IS18_E10value_typeET4_jRbjT5_S1E_jjP12ihipStream_tbEUljE_ZNSN_ISO_Lb1ESQ_SR_ST_SU_SY_EESZ_S10_S11_S12_S16_S17_S18_S1B_S1C_jS1D_jS1E_S1E_jjS1G_bEUljE0_EEESZ_S10_S11_S18_S1C_S1E_T6_T7_T9_mT8_S1G_bDpT10_ENKUlT_T0_E_clISt17integral_constantIbLb1EES1U_EEDaS1P_S1Q_EUlS1P_E_NS1_11comp_targetILNS1_3genE5ELNS1_11target_archE942ELNS1_3gpuE9ELNS1_3repE0EEENS1_30default_config_static_selectorELNS0_4arch9wavefront6targetE0EEEvS12_: ; @_ZN7rocprim17ROCPRIM_400000_NS6detail17trampoline_kernelINS0_13select_configILj256ELj13ELNS0_17block_load_methodE3ELS4_3ELS4_3ELNS0_20block_scan_algorithmE0ELj4294967295EEENS1_25partition_config_selectorILNS1_17partition_subalgoE4EjNS0_10empty_typeEbEEZZNS1_14partition_implILS8_4ELb0ES6_15HIP_vector_typeIjLj2EENS0_17counting_iteratorIjlEEPS9_SG_NS0_5tupleIJPjSI_NS0_16reverse_iteratorISI_EEEEENSH_IJSG_SG_SG_EEES9_SI_JZNS1_25segmented_radix_sort_implINS0_14default_configELb1EPKsPsPKlPlN2at6native12_GLOBAL__N_18offset_tEEE10hipError_tPvRmT1_PNSt15iterator_traitsIS12_E10value_typeET2_T3_PNS13_IS18_E10value_typeET4_jRbjT5_S1E_jjP12ihipStream_tbEUljE_ZNSN_ISO_Lb1ESQ_SR_ST_SU_SY_EESZ_S10_S11_S12_S16_S17_S18_S1B_S1C_jS1D_jS1E_S1E_jjS1G_bEUljE0_EEESZ_S10_S11_S18_S1C_S1E_T6_T7_T9_mT8_S1G_bDpT10_ENKUlT_T0_E_clISt17integral_constantIbLb1EES1U_EEDaS1P_S1Q_EUlS1P_E_NS1_11comp_targetILNS1_3genE5ELNS1_11target_archE942ELNS1_3gpuE9ELNS1_3repE0EEENS1_30default_config_static_selectorELNS0_4arch9wavefront6targetE0EEEvS12_
; %bb.0:
	.section	.rodata,"a",@progbits
	.p2align	6, 0x0
	.amdhsa_kernel _ZN7rocprim17ROCPRIM_400000_NS6detail17trampoline_kernelINS0_13select_configILj256ELj13ELNS0_17block_load_methodE3ELS4_3ELS4_3ELNS0_20block_scan_algorithmE0ELj4294967295EEENS1_25partition_config_selectorILNS1_17partition_subalgoE4EjNS0_10empty_typeEbEEZZNS1_14partition_implILS8_4ELb0ES6_15HIP_vector_typeIjLj2EENS0_17counting_iteratorIjlEEPS9_SG_NS0_5tupleIJPjSI_NS0_16reverse_iteratorISI_EEEEENSH_IJSG_SG_SG_EEES9_SI_JZNS1_25segmented_radix_sort_implINS0_14default_configELb1EPKsPsPKlPlN2at6native12_GLOBAL__N_18offset_tEEE10hipError_tPvRmT1_PNSt15iterator_traitsIS12_E10value_typeET2_T3_PNS13_IS18_E10value_typeET4_jRbjT5_S1E_jjP12ihipStream_tbEUljE_ZNSN_ISO_Lb1ESQ_SR_ST_SU_SY_EESZ_S10_S11_S12_S16_S17_S18_S1B_S1C_jS1D_jS1E_S1E_jjS1G_bEUljE0_EEESZ_S10_S11_S18_S1C_S1E_T6_T7_T9_mT8_S1G_bDpT10_ENKUlT_T0_E_clISt17integral_constantIbLb1EES1U_EEDaS1P_S1Q_EUlS1P_E_NS1_11comp_targetILNS1_3genE5ELNS1_11target_archE942ELNS1_3gpuE9ELNS1_3repE0EEENS1_30default_config_static_selectorELNS0_4arch9wavefront6targetE0EEEvS12_
		.amdhsa_group_segment_fixed_size 0
		.amdhsa_private_segment_fixed_size 0
		.amdhsa_kernarg_size 184
		.amdhsa_user_sgpr_count 2
		.amdhsa_user_sgpr_dispatch_ptr 0
		.amdhsa_user_sgpr_queue_ptr 0
		.amdhsa_user_sgpr_kernarg_segment_ptr 1
		.amdhsa_user_sgpr_dispatch_id 0
		.amdhsa_user_sgpr_kernarg_preload_length 0
		.amdhsa_user_sgpr_kernarg_preload_offset 0
		.amdhsa_user_sgpr_private_segment_size 0
		.amdhsa_wavefront_size32 1
		.amdhsa_uses_dynamic_stack 0
		.amdhsa_enable_private_segment 0
		.amdhsa_system_sgpr_workgroup_id_x 1
		.amdhsa_system_sgpr_workgroup_id_y 0
		.amdhsa_system_sgpr_workgroup_id_z 0
		.amdhsa_system_sgpr_workgroup_info 0
		.amdhsa_system_vgpr_workitem_id 0
		.amdhsa_next_free_vgpr 1
		.amdhsa_next_free_sgpr 1
		.amdhsa_named_barrier_count 0
		.amdhsa_reserve_vcc 0
		.amdhsa_float_round_mode_32 0
		.amdhsa_float_round_mode_16_64 0
		.amdhsa_float_denorm_mode_32 3
		.amdhsa_float_denorm_mode_16_64 3
		.amdhsa_fp16_overflow 0
		.amdhsa_memory_ordered 1
		.amdhsa_forward_progress 1
		.amdhsa_inst_pref_size 0
		.amdhsa_round_robin_scheduling 0
		.amdhsa_exception_fp_ieee_invalid_op 0
		.amdhsa_exception_fp_denorm_src 0
		.amdhsa_exception_fp_ieee_div_zero 0
		.amdhsa_exception_fp_ieee_overflow 0
		.amdhsa_exception_fp_ieee_underflow 0
		.amdhsa_exception_fp_ieee_inexact 0
		.amdhsa_exception_int_div_zero 0
	.end_amdhsa_kernel
	.section	.text._ZN7rocprim17ROCPRIM_400000_NS6detail17trampoline_kernelINS0_13select_configILj256ELj13ELNS0_17block_load_methodE3ELS4_3ELS4_3ELNS0_20block_scan_algorithmE0ELj4294967295EEENS1_25partition_config_selectorILNS1_17partition_subalgoE4EjNS0_10empty_typeEbEEZZNS1_14partition_implILS8_4ELb0ES6_15HIP_vector_typeIjLj2EENS0_17counting_iteratorIjlEEPS9_SG_NS0_5tupleIJPjSI_NS0_16reverse_iteratorISI_EEEEENSH_IJSG_SG_SG_EEES9_SI_JZNS1_25segmented_radix_sort_implINS0_14default_configELb1EPKsPsPKlPlN2at6native12_GLOBAL__N_18offset_tEEE10hipError_tPvRmT1_PNSt15iterator_traitsIS12_E10value_typeET2_T3_PNS13_IS18_E10value_typeET4_jRbjT5_S1E_jjP12ihipStream_tbEUljE_ZNSN_ISO_Lb1ESQ_SR_ST_SU_SY_EESZ_S10_S11_S12_S16_S17_S18_S1B_S1C_jS1D_jS1E_S1E_jjS1G_bEUljE0_EEESZ_S10_S11_S18_S1C_S1E_T6_T7_T9_mT8_S1G_bDpT10_ENKUlT_T0_E_clISt17integral_constantIbLb1EES1U_EEDaS1P_S1Q_EUlS1P_E_NS1_11comp_targetILNS1_3genE5ELNS1_11target_archE942ELNS1_3gpuE9ELNS1_3repE0EEENS1_30default_config_static_selectorELNS0_4arch9wavefront6targetE0EEEvS12_,"axG",@progbits,_ZN7rocprim17ROCPRIM_400000_NS6detail17trampoline_kernelINS0_13select_configILj256ELj13ELNS0_17block_load_methodE3ELS4_3ELS4_3ELNS0_20block_scan_algorithmE0ELj4294967295EEENS1_25partition_config_selectorILNS1_17partition_subalgoE4EjNS0_10empty_typeEbEEZZNS1_14partition_implILS8_4ELb0ES6_15HIP_vector_typeIjLj2EENS0_17counting_iteratorIjlEEPS9_SG_NS0_5tupleIJPjSI_NS0_16reverse_iteratorISI_EEEEENSH_IJSG_SG_SG_EEES9_SI_JZNS1_25segmented_radix_sort_implINS0_14default_configELb1EPKsPsPKlPlN2at6native12_GLOBAL__N_18offset_tEEE10hipError_tPvRmT1_PNSt15iterator_traitsIS12_E10value_typeET2_T3_PNS13_IS18_E10value_typeET4_jRbjT5_S1E_jjP12ihipStream_tbEUljE_ZNSN_ISO_Lb1ESQ_SR_ST_SU_SY_EESZ_S10_S11_S12_S16_S17_S18_S1B_S1C_jS1D_jS1E_S1E_jjS1G_bEUljE0_EEESZ_S10_S11_S18_S1C_S1E_T6_T7_T9_mT8_S1G_bDpT10_ENKUlT_T0_E_clISt17integral_constantIbLb1EES1U_EEDaS1P_S1Q_EUlS1P_E_NS1_11comp_targetILNS1_3genE5ELNS1_11target_archE942ELNS1_3gpuE9ELNS1_3repE0EEENS1_30default_config_static_selectorELNS0_4arch9wavefront6targetE0EEEvS12_,comdat
.Lfunc_end852:
	.size	_ZN7rocprim17ROCPRIM_400000_NS6detail17trampoline_kernelINS0_13select_configILj256ELj13ELNS0_17block_load_methodE3ELS4_3ELS4_3ELNS0_20block_scan_algorithmE0ELj4294967295EEENS1_25partition_config_selectorILNS1_17partition_subalgoE4EjNS0_10empty_typeEbEEZZNS1_14partition_implILS8_4ELb0ES6_15HIP_vector_typeIjLj2EENS0_17counting_iteratorIjlEEPS9_SG_NS0_5tupleIJPjSI_NS0_16reverse_iteratorISI_EEEEENSH_IJSG_SG_SG_EEES9_SI_JZNS1_25segmented_radix_sort_implINS0_14default_configELb1EPKsPsPKlPlN2at6native12_GLOBAL__N_18offset_tEEE10hipError_tPvRmT1_PNSt15iterator_traitsIS12_E10value_typeET2_T3_PNS13_IS18_E10value_typeET4_jRbjT5_S1E_jjP12ihipStream_tbEUljE_ZNSN_ISO_Lb1ESQ_SR_ST_SU_SY_EESZ_S10_S11_S12_S16_S17_S18_S1B_S1C_jS1D_jS1E_S1E_jjS1G_bEUljE0_EEESZ_S10_S11_S18_S1C_S1E_T6_T7_T9_mT8_S1G_bDpT10_ENKUlT_T0_E_clISt17integral_constantIbLb1EES1U_EEDaS1P_S1Q_EUlS1P_E_NS1_11comp_targetILNS1_3genE5ELNS1_11target_archE942ELNS1_3gpuE9ELNS1_3repE0EEENS1_30default_config_static_selectorELNS0_4arch9wavefront6targetE0EEEvS12_, .Lfunc_end852-_ZN7rocprim17ROCPRIM_400000_NS6detail17trampoline_kernelINS0_13select_configILj256ELj13ELNS0_17block_load_methodE3ELS4_3ELS4_3ELNS0_20block_scan_algorithmE0ELj4294967295EEENS1_25partition_config_selectorILNS1_17partition_subalgoE4EjNS0_10empty_typeEbEEZZNS1_14partition_implILS8_4ELb0ES6_15HIP_vector_typeIjLj2EENS0_17counting_iteratorIjlEEPS9_SG_NS0_5tupleIJPjSI_NS0_16reverse_iteratorISI_EEEEENSH_IJSG_SG_SG_EEES9_SI_JZNS1_25segmented_radix_sort_implINS0_14default_configELb1EPKsPsPKlPlN2at6native12_GLOBAL__N_18offset_tEEE10hipError_tPvRmT1_PNSt15iterator_traitsIS12_E10value_typeET2_T3_PNS13_IS18_E10value_typeET4_jRbjT5_S1E_jjP12ihipStream_tbEUljE_ZNSN_ISO_Lb1ESQ_SR_ST_SU_SY_EESZ_S10_S11_S12_S16_S17_S18_S1B_S1C_jS1D_jS1E_S1E_jjS1G_bEUljE0_EEESZ_S10_S11_S18_S1C_S1E_T6_T7_T9_mT8_S1G_bDpT10_ENKUlT_T0_E_clISt17integral_constantIbLb1EES1U_EEDaS1P_S1Q_EUlS1P_E_NS1_11comp_targetILNS1_3genE5ELNS1_11target_archE942ELNS1_3gpuE9ELNS1_3repE0EEENS1_30default_config_static_selectorELNS0_4arch9wavefront6targetE0EEEvS12_
                                        ; -- End function
	.set _ZN7rocprim17ROCPRIM_400000_NS6detail17trampoline_kernelINS0_13select_configILj256ELj13ELNS0_17block_load_methodE3ELS4_3ELS4_3ELNS0_20block_scan_algorithmE0ELj4294967295EEENS1_25partition_config_selectorILNS1_17partition_subalgoE4EjNS0_10empty_typeEbEEZZNS1_14partition_implILS8_4ELb0ES6_15HIP_vector_typeIjLj2EENS0_17counting_iteratorIjlEEPS9_SG_NS0_5tupleIJPjSI_NS0_16reverse_iteratorISI_EEEEENSH_IJSG_SG_SG_EEES9_SI_JZNS1_25segmented_radix_sort_implINS0_14default_configELb1EPKsPsPKlPlN2at6native12_GLOBAL__N_18offset_tEEE10hipError_tPvRmT1_PNSt15iterator_traitsIS12_E10value_typeET2_T3_PNS13_IS18_E10value_typeET4_jRbjT5_S1E_jjP12ihipStream_tbEUljE_ZNSN_ISO_Lb1ESQ_SR_ST_SU_SY_EESZ_S10_S11_S12_S16_S17_S18_S1B_S1C_jS1D_jS1E_S1E_jjS1G_bEUljE0_EEESZ_S10_S11_S18_S1C_S1E_T6_T7_T9_mT8_S1G_bDpT10_ENKUlT_T0_E_clISt17integral_constantIbLb1EES1U_EEDaS1P_S1Q_EUlS1P_E_NS1_11comp_targetILNS1_3genE5ELNS1_11target_archE942ELNS1_3gpuE9ELNS1_3repE0EEENS1_30default_config_static_selectorELNS0_4arch9wavefront6targetE0EEEvS12_.num_vgpr, 0
	.set _ZN7rocprim17ROCPRIM_400000_NS6detail17trampoline_kernelINS0_13select_configILj256ELj13ELNS0_17block_load_methodE3ELS4_3ELS4_3ELNS0_20block_scan_algorithmE0ELj4294967295EEENS1_25partition_config_selectorILNS1_17partition_subalgoE4EjNS0_10empty_typeEbEEZZNS1_14partition_implILS8_4ELb0ES6_15HIP_vector_typeIjLj2EENS0_17counting_iteratorIjlEEPS9_SG_NS0_5tupleIJPjSI_NS0_16reverse_iteratorISI_EEEEENSH_IJSG_SG_SG_EEES9_SI_JZNS1_25segmented_radix_sort_implINS0_14default_configELb1EPKsPsPKlPlN2at6native12_GLOBAL__N_18offset_tEEE10hipError_tPvRmT1_PNSt15iterator_traitsIS12_E10value_typeET2_T3_PNS13_IS18_E10value_typeET4_jRbjT5_S1E_jjP12ihipStream_tbEUljE_ZNSN_ISO_Lb1ESQ_SR_ST_SU_SY_EESZ_S10_S11_S12_S16_S17_S18_S1B_S1C_jS1D_jS1E_S1E_jjS1G_bEUljE0_EEESZ_S10_S11_S18_S1C_S1E_T6_T7_T9_mT8_S1G_bDpT10_ENKUlT_T0_E_clISt17integral_constantIbLb1EES1U_EEDaS1P_S1Q_EUlS1P_E_NS1_11comp_targetILNS1_3genE5ELNS1_11target_archE942ELNS1_3gpuE9ELNS1_3repE0EEENS1_30default_config_static_selectorELNS0_4arch9wavefront6targetE0EEEvS12_.num_agpr, 0
	.set _ZN7rocprim17ROCPRIM_400000_NS6detail17trampoline_kernelINS0_13select_configILj256ELj13ELNS0_17block_load_methodE3ELS4_3ELS4_3ELNS0_20block_scan_algorithmE0ELj4294967295EEENS1_25partition_config_selectorILNS1_17partition_subalgoE4EjNS0_10empty_typeEbEEZZNS1_14partition_implILS8_4ELb0ES6_15HIP_vector_typeIjLj2EENS0_17counting_iteratorIjlEEPS9_SG_NS0_5tupleIJPjSI_NS0_16reverse_iteratorISI_EEEEENSH_IJSG_SG_SG_EEES9_SI_JZNS1_25segmented_radix_sort_implINS0_14default_configELb1EPKsPsPKlPlN2at6native12_GLOBAL__N_18offset_tEEE10hipError_tPvRmT1_PNSt15iterator_traitsIS12_E10value_typeET2_T3_PNS13_IS18_E10value_typeET4_jRbjT5_S1E_jjP12ihipStream_tbEUljE_ZNSN_ISO_Lb1ESQ_SR_ST_SU_SY_EESZ_S10_S11_S12_S16_S17_S18_S1B_S1C_jS1D_jS1E_S1E_jjS1G_bEUljE0_EEESZ_S10_S11_S18_S1C_S1E_T6_T7_T9_mT8_S1G_bDpT10_ENKUlT_T0_E_clISt17integral_constantIbLb1EES1U_EEDaS1P_S1Q_EUlS1P_E_NS1_11comp_targetILNS1_3genE5ELNS1_11target_archE942ELNS1_3gpuE9ELNS1_3repE0EEENS1_30default_config_static_selectorELNS0_4arch9wavefront6targetE0EEEvS12_.numbered_sgpr, 0
	.set _ZN7rocprim17ROCPRIM_400000_NS6detail17trampoline_kernelINS0_13select_configILj256ELj13ELNS0_17block_load_methodE3ELS4_3ELS4_3ELNS0_20block_scan_algorithmE0ELj4294967295EEENS1_25partition_config_selectorILNS1_17partition_subalgoE4EjNS0_10empty_typeEbEEZZNS1_14partition_implILS8_4ELb0ES6_15HIP_vector_typeIjLj2EENS0_17counting_iteratorIjlEEPS9_SG_NS0_5tupleIJPjSI_NS0_16reverse_iteratorISI_EEEEENSH_IJSG_SG_SG_EEES9_SI_JZNS1_25segmented_radix_sort_implINS0_14default_configELb1EPKsPsPKlPlN2at6native12_GLOBAL__N_18offset_tEEE10hipError_tPvRmT1_PNSt15iterator_traitsIS12_E10value_typeET2_T3_PNS13_IS18_E10value_typeET4_jRbjT5_S1E_jjP12ihipStream_tbEUljE_ZNSN_ISO_Lb1ESQ_SR_ST_SU_SY_EESZ_S10_S11_S12_S16_S17_S18_S1B_S1C_jS1D_jS1E_S1E_jjS1G_bEUljE0_EEESZ_S10_S11_S18_S1C_S1E_T6_T7_T9_mT8_S1G_bDpT10_ENKUlT_T0_E_clISt17integral_constantIbLb1EES1U_EEDaS1P_S1Q_EUlS1P_E_NS1_11comp_targetILNS1_3genE5ELNS1_11target_archE942ELNS1_3gpuE9ELNS1_3repE0EEENS1_30default_config_static_selectorELNS0_4arch9wavefront6targetE0EEEvS12_.num_named_barrier, 0
	.set _ZN7rocprim17ROCPRIM_400000_NS6detail17trampoline_kernelINS0_13select_configILj256ELj13ELNS0_17block_load_methodE3ELS4_3ELS4_3ELNS0_20block_scan_algorithmE0ELj4294967295EEENS1_25partition_config_selectorILNS1_17partition_subalgoE4EjNS0_10empty_typeEbEEZZNS1_14partition_implILS8_4ELb0ES6_15HIP_vector_typeIjLj2EENS0_17counting_iteratorIjlEEPS9_SG_NS0_5tupleIJPjSI_NS0_16reverse_iteratorISI_EEEEENSH_IJSG_SG_SG_EEES9_SI_JZNS1_25segmented_radix_sort_implINS0_14default_configELb1EPKsPsPKlPlN2at6native12_GLOBAL__N_18offset_tEEE10hipError_tPvRmT1_PNSt15iterator_traitsIS12_E10value_typeET2_T3_PNS13_IS18_E10value_typeET4_jRbjT5_S1E_jjP12ihipStream_tbEUljE_ZNSN_ISO_Lb1ESQ_SR_ST_SU_SY_EESZ_S10_S11_S12_S16_S17_S18_S1B_S1C_jS1D_jS1E_S1E_jjS1G_bEUljE0_EEESZ_S10_S11_S18_S1C_S1E_T6_T7_T9_mT8_S1G_bDpT10_ENKUlT_T0_E_clISt17integral_constantIbLb1EES1U_EEDaS1P_S1Q_EUlS1P_E_NS1_11comp_targetILNS1_3genE5ELNS1_11target_archE942ELNS1_3gpuE9ELNS1_3repE0EEENS1_30default_config_static_selectorELNS0_4arch9wavefront6targetE0EEEvS12_.private_seg_size, 0
	.set _ZN7rocprim17ROCPRIM_400000_NS6detail17trampoline_kernelINS0_13select_configILj256ELj13ELNS0_17block_load_methodE3ELS4_3ELS4_3ELNS0_20block_scan_algorithmE0ELj4294967295EEENS1_25partition_config_selectorILNS1_17partition_subalgoE4EjNS0_10empty_typeEbEEZZNS1_14partition_implILS8_4ELb0ES6_15HIP_vector_typeIjLj2EENS0_17counting_iteratorIjlEEPS9_SG_NS0_5tupleIJPjSI_NS0_16reverse_iteratorISI_EEEEENSH_IJSG_SG_SG_EEES9_SI_JZNS1_25segmented_radix_sort_implINS0_14default_configELb1EPKsPsPKlPlN2at6native12_GLOBAL__N_18offset_tEEE10hipError_tPvRmT1_PNSt15iterator_traitsIS12_E10value_typeET2_T3_PNS13_IS18_E10value_typeET4_jRbjT5_S1E_jjP12ihipStream_tbEUljE_ZNSN_ISO_Lb1ESQ_SR_ST_SU_SY_EESZ_S10_S11_S12_S16_S17_S18_S1B_S1C_jS1D_jS1E_S1E_jjS1G_bEUljE0_EEESZ_S10_S11_S18_S1C_S1E_T6_T7_T9_mT8_S1G_bDpT10_ENKUlT_T0_E_clISt17integral_constantIbLb1EES1U_EEDaS1P_S1Q_EUlS1P_E_NS1_11comp_targetILNS1_3genE5ELNS1_11target_archE942ELNS1_3gpuE9ELNS1_3repE0EEENS1_30default_config_static_selectorELNS0_4arch9wavefront6targetE0EEEvS12_.uses_vcc, 0
	.set _ZN7rocprim17ROCPRIM_400000_NS6detail17trampoline_kernelINS0_13select_configILj256ELj13ELNS0_17block_load_methodE3ELS4_3ELS4_3ELNS0_20block_scan_algorithmE0ELj4294967295EEENS1_25partition_config_selectorILNS1_17partition_subalgoE4EjNS0_10empty_typeEbEEZZNS1_14partition_implILS8_4ELb0ES6_15HIP_vector_typeIjLj2EENS0_17counting_iteratorIjlEEPS9_SG_NS0_5tupleIJPjSI_NS0_16reverse_iteratorISI_EEEEENSH_IJSG_SG_SG_EEES9_SI_JZNS1_25segmented_radix_sort_implINS0_14default_configELb1EPKsPsPKlPlN2at6native12_GLOBAL__N_18offset_tEEE10hipError_tPvRmT1_PNSt15iterator_traitsIS12_E10value_typeET2_T3_PNS13_IS18_E10value_typeET4_jRbjT5_S1E_jjP12ihipStream_tbEUljE_ZNSN_ISO_Lb1ESQ_SR_ST_SU_SY_EESZ_S10_S11_S12_S16_S17_S18_S1B_S1C_jS1D_jS1E_S1E_jjS1G_bEUljE0_EEESZ_S10_S11_S18_S1C_S1E_T6_T7_T9_mT8_S1G_bDpT10_ENKUlT_T0_E_clISt17integral_constantIbLb1EES1U_EEDaS1P_S1Q_EUlS1P_E_NS1_11comp_targetILNS1_3genE5ELNS1_11target_archE942ELNS1_3gpuE9ELNS1_3repE0EEENS1_30default_config_static_selectorELNS0_4arch9wavefront6targetE0EEEvS12_.uses_flat_scratch, 0
	.set _ZN7rocprim17ROCPRIM_400000_NS6detail17trampoline_kernelINS0_13select_configILj256ELj13ELNS0_17block_load_methodE3ELS4_3ELS4_3ELNS0_20block_scan_algorithmE0ELj4294967295EEENS1_25partition_config_selectorILNS1_17partition_subalgoE4EjNS0_10empty_typeEbEEZZNS1_14partition_implILS8_4ELb0ES6_15HIP_vector_typeIjLj2EENS0_17counting_iteratorIjlEEPS9_SG_NS0_5tupleIJPjSI_NS0_16reverse_iteratorISI_EEEEENSH_IJSG_SG_SG_EEES9_SI_JZNS1_25segmented_radix_sort_implINS0_14default_configELb1EPKsPsPKlPlN2at6native12_GLOBAL__N_18offset_tEEE10hipError_tPvRmT1_PNSt15iterator_traitsIS12_E10value_typeET2_T3_PNS13_IS18_E10value_typeET4_jRbjT5_S1E_jjP12ihipStream_tbEUljE_ZNSN_ISO_Lb1ESQ_SR_ST_SU_SY_EESZ_S10_S11_S12_S16_S17_S18_S1B_S1C_jS1D_jS1E_S1E_jjS1G_bEUljE0_EEESZ_S10_S11_S18_S1C_S1E_T6_T7_T9_mT8_S1G_bDpT10_ENKUlT_T0_E_clISt17integral_constantIbLb1EES1U_EEDaS1P_S1Q_EUlS1P_E_NS1_11comp_targetILNS1_3genE5ELNS1_11target_archE942ELNS1_3gpuE9ELNS1_3repE0EEENS1_30default_config_static_selectorELNS0_4arch9wavefront6targetE0EEEvS12_.has_dyn_sized_stack, 0
	.set _ZN7rocprim17ROCPRIM_400000_NS6detail17trampoline_kernelINS0_13select_configILj256ELj13ELNS0_17block_load_methodE3ELS4_3ELS4_3ELNS0_20block_scan_algorithmE0ELj4294967295EEENS1_25partition_config_selectorILNS1_17partition_subalgoE4EjNS0_10empty_typeEbEEZZNS1_14partition_implILS8_4ELb0ES6_15HIP_vector_typeIjLj2EENS0_17counting_iteratorIjlEEPS9_SG_NS0_5tupleIJPjSI_NS0_16reverse_iteratorISI_EEEEENSH_IJSG_SG_SG_EEES9_SI_JZNS1_25segmented_radix_sort_implINS0_14default_configELb1EPKsPsPKlPlN2at6native12_GLOBAL__N_18offset_tEEE10hipError_tPvRmT1_PNSt15iterator_traitsIS12_E10value_typeET2_T3_PNS13_IS18_E10value_typeET4_jRbjT5_S1E_jjP12ihipStream_tbEUljE_ZNSN_ISO_Lb1ESQ_SR_ST_SU_SY_EESZ_S10_S11_S12_S16_S17_S18_S1B_S1C_jS1D_jS1E_S1E_jjS1G_bEUljE0_EEESZ_S10_S11_S18_S1C_S1E_T6_T7_T9_mT8_S1G_bDpT10_ENKUlT_T0_E_clISt17integral_constantIbLb1EES1U_EEDaS1P_S1Q_EUlS1P_E_NS1_11comp_targetILNS1_3genE5ELNS1_11target_archE942ELNS1_3gpuE9ELNS1_3repE0EEENS1_30default_config_static_selectorELNS0_4arch9wavefront6targetE0EEEvS12_.has_recursion, 0
	.set _ZN7rocprim17ROCPRIM_400000_NS6detail17trampoline_kernelINS0_13select_configILj256ELj13ELNS0_17block_load_methodE3ELS4_3ELS4_3ELNS0_20block_scan_algorithmE0ELj4294967295EEENS1_25partition_config_selectorILNS1_17partition_subalgoE4EjNS0_10empty_typeEbEEZZNS1_14partition_implILS8_4ELb0ES6_15HIP_vector_typeIjLj2EENS0_17counting_iteratorIjlEEPS9_SG_NS0_5tupleIJPjSI_NS0_16reverse_iteratorISI_EEEEENSH_IJSG_SG_SG_EEES9_SI_JZNS1_25segmented_radix_sort_implINS0_14default_configELb1EPKsPsPKlPlN2at6native12_GLOBAL__N_18offset_tEEE10hipError_tPvRmT1_PNSt15iterator_traitsIS12_E10value_typeET2_T3_PNS13_IS18_E10value_typeET4_jRbjT5_S1E_jjP12ihipStream_tbEUljE_ZNSN_ISO_Lb1ESQ_SR_ST_SU_SY_EESZ_S10_S11_S12_S16_S17_S18_S1B_S1C_jS1D_jS1E_S1E_jjS1G_bEUljE0_EEESZ_S10_S11_S18_S1C_S1E_T6_T7_T9_mT8_S1G_bDpT10_ENKUlT_T0_E_clISt17integral_constantIbLb1EES1U_EEDaS1P_S1Q_EUlS1P_E_NS1_11comp_targetILNS1_3genE5ELNS1_11target_archE942ELNS1_3gpuE9ELNS1_3repE0EEENS1_30default_config_static_selectorELNS0_4arch9wavefront6targetE0EEEvS12_.has_indirect_call, 0
	.section	.AMDGPU.csdata,"",@progbits
; Kernel info:
; codeLenInByte = 0
; TotalNumSgprs: 0
; NumVgprs: 0
; ScratchSize: 0
; MemoryBound: 0
; FloatMode: 240
; IeeeMode: 1
; LDSByteSize: 0 bytes/workgroup (compile time only)
; SGPRBlocks: 0
; VGPRBlocks: 0
; NumSGPRsForWavesPerEU: 1
; NumVGPRsForWavesPerEU: 1
; NamedBarCnt: 0
; Occupancy: 16
; WaveLimiterHint : 0
; COMPUTE_PGM_RSRC2:SCRATCH_EN: 0
; COMPUTE_PGM_RSRC2:USER_SGPR: 2
; COMPUTE_PGM_RSRC2:TRAP_HANDLER: 0
; COMPUTE_PGM_RSRC2:TGID_X_EN: 1
; COMPUTE_PGM_RSRC2:TGID_Y_EN: 0
; COMPUTE_PGM_RSRC2:TGID_Z_EN: 0
; COMPUTE_PGM_RSRC2:TIDIG_COMP_CNT: 0
	.section	.text._ZN7rocprim17ROCPRIM_400000_NS6detail17trampoline_kernelINS0_13select_configILj256ELj13ELNS0_17block_load_methodE3ELS4_3ELS4_3ELNS0_20block_scan_algorithmE0ELj4294967295EEENS1_25partition_config_selectorILNS1_17partition_subalgoE4EjNS0_10empty_typeEbEEZZNS1_14partition_implILS8_4ELb0ES6_15HIP_vector_typeIjLj2EENS0_17counting_iteratorIjlEEPS9_SG_NS0_5tupleIJPjSI_NS0_16reverse_iteratorISI_EEEEENSH_IJSG_SG_SG_EEES9_SI_JZNS1_25segmented_radix_sort_implINS0_14default_configELb1EPKsPsPKlPlN2at6native12_GLOBAL__N_18offset_tEEE10hipError_tPvRmT1_PNSt15iterator_traitsIS12_E10value_typeET2_T3_PNS13_IS18_E10value_typeET4_jRbjT5_S1E_jjP12ihipStream_tbEUljE_ZNSN_ISO_Lb1ESQ_SR_ST_SU_SY_EESZ_S10_S11_S12_S16_S17_S18_S1B_S1C_jS1D_jS1E_S1E_jjS1G_bEUljE0_EEESZ_S10_S11_S18_S1C_S1E_T6_T7_T9_mT8_S1G_bDpT10_ENKUlT_T0_E_clISt17integral_constantIbLb1EES1U_EEDaS1P_S1Q_EUlS1P_E_NS1_11comp_targetILNS1_3genE4ELNS1_11target_archE910ELNS1_3gpuE8ELNS1_3repE0EEENS1_30default_config_static_selectorELNS0_4arch9wavefront6targetE0EEEvS12_,"axG",@progbits,_ZN7rocprim17ROCPRIM_400000_NS6detail17trampoline_kernelINS0_13select_configILj256ELj13ELNS0_17block_load_methodE3ELS4_3ELS4_3ELNS0_20block_scan_algorithmE0ELj4294967295EEENS1_25partition_config_selectorILNS1_17partition_subalgoE4EjNS0_10empty_typeEbEEZZNS1_14partition_implILS8_4ELb0ES6_15HIP_vector_typeIjLj2EENS0_17counting_iteratorIjlEEPS9_SG_NS0_5tupleIJPjSI_NS0_16reverse_iteratorISI_EEEEENSH_IJSG_SG_SG_EEES9_SI_JZNS1_25segmented_radix_sort_implINS0_14default_configELb1EPKsPsPKlPlN2at6native12_GLOBAL__N_18offset_tEEE10hipError_tPvRmT1_PNSt15iterator_traitsIS12_E10value_typeET2_T3_PNS13_IS18_E10value_typeET4_jRbjT5_S1E_jjP12ihipStream_tbEUljE_ZNSN_ISO_Lb1ESQ_SR_ST_SU_SY_EESZ_S10_S11_S12_S16_S17_S18_S1B_S1C_jS1D_jS1E_S1E_jjS1G_bEUljE0_EEESZ_S10_S11_S18_S1C_S1E_T6_T7_T9_mT8_S1G_bDpT10_ENKUlT_T0_E_clISt17integral_constantIbLb1EES1U_EEDaS1P_S1Q_EUlS1P_E_NS1_11comp_targetILNS1_3genE4ELNS1_11target_archE910ELNS1_3gpuE8ELNS1_3repE0EEENS1_30default_config_static_selectorELNS0_4arch9wavefront6targetE0EEEvS12_,comdat
	.globl	_ZN7rocprim17ROCPRIM_400000_NS6detail17trampoline_kernelINS0_13select_configILj256ELj13ELNS0_17block_load_methodE3ELS4_3ELS4_3ELNS0_20block_scan_algorithmE0ELj4294967295EEENS1_25partition_config_selectorILNS1_17partition_subalgoE4EjNS0_10empty_typeEbEEZZNS1_14partition_implILS8_4ELb0ES6_15HIP_vector_typeIjLj2EENS0_17counting_iteratorIjlEEPS9_SG_NS0_5tupleIJPjSI_NS0_16reverse_iteratorISI_EEEEENSH_IJSG_SG_SG_EEES9_SI_JZNS1_25segmented_radix_sort_implINS0_14default_configELb1EPKsPsPKlPlN2at6native12_GLOBAL__N_18offset_tEEE10hipError_tPvRmT1_PNSt15iterator_traitsIS12_E10value_typeET2_T3_PNS13_IS18_E10value_typeET4_jRbjT5_S1E_jjP12ihipStream_tbEUljE_ZNSN_ISO_Lb1ESQ_SR_ST_SU_SY_EESZ_S10_S11_S12_S16_S17_S18_S1B_S1C_jS1D_jS1E_S1E_jjS1G_bEUljE0_EEESZ_S10_S11_S18_S1C_S1E_T6_T7_T9_mT8_S1G_bDpT10_ENKUlT_T0_E_clISt17integral_constantIbLb1EES1U_EEDaS1P_S1Q_EUlS1P_E_NS1_11comp_targetILNS1_3genE4ELNS1_11target_archE910ELNS1_3gpuE8ELNS1_3repE0EEENS1_30default_config_static_selectorELNS0_4arch9wavefront6targetE0EEEvS12_ ; -- Begin function _ZN7rocprim17ROCPRIM_400000_NS6detail17trampoline_kernelINS0_13select_configILj256ELj13ELNS0_17block_load_methodE3ELS4_3ELS4_3ELNS0_20block_scan_algorithmE0ELj4294967295EEENS1_25partition_config_selectorILNS1_17partition_subalgoE4EjNS0_10empty_typeEbEEZZNS1_14partition_implILS8_4ELb0ES6_15HIP_vector_typeIjLj2EENS0_17counting_iteratorIjlEEPS9_SG_NS0_5tupleIJPjSI_NS0_16reverse_iteratorISI_EEEEENSH_IJSG_SG_SG_EEES9_SI_JZNS1_25segmented_radix_sort_implINS0_14default_configELb1EPKsPsPKlPlN2at6native12_GLOBAL__N_18offset_tEEE10hipError_tPvRmT1_PNSt15iterator_traitsIS12_E10value_typeET2_T3_PNS13_IS18_E10value_typeET4_jRbjT5_S1E_jjP12ihipStream_tbEUljE_ZNSN_ISO_Lb1ESQ_SR_ST_SU_SY_EESZ_S10_S11_S12_S16_S17_S18_S1B_S1C_jS1D_jS1E_S1E_jjS1G_bEUljE0_EEESZ_S10_S11_S18_S1C_S1E_T6_T7_T9_mT8_S1G_bDpT10_ENKUlT_T0_E_clISt17integral_constantIbLb1EES1U_EEDaS1P_S1Q_EUlS1P_E_NS1_11comp_targetILNS1_3genE4ELNS1_11target_archE910ELNS1_3gpuE8ELNS1_3repE0EEENS1_30default_config_static_selectorELNS0_4arch9wavefront6targetE0EEEvS12_
	.p2align	8
	.type	_ZN7rocprim17ROCPRIM_400000_NS6detail17trampoline_kernelINS0_13select_configILj256ELj13ELNS0_17block_load_methodE3ELS4_3ELS4_3ELNS0_20block_scan_algorithmE0ELj4294967295EEENS1_25partition_config_selectorILNS1_17partition_subalgoE4EjNS0_10empty_typeEbEEZZNS1_14partition_implILS8_4ELb0ES6_15HIP_vector_typeIjLj2EENS0_17counting_iteratorIjlEEPS9_SG_NS0_5tupleIJPjSI_NS0_16reverse_iteratorISI_EEEEENSH_IJSG_SG_SG_EEES9_SI_JZNS1_25segmented_radix_sort_implINS0_14default_configELb1EPKsPsPKlPlN2at6native12_GLOBAL__N_18offset_tEEE10hipError_tPvRmT1_PNSt15iterator_traitsIS12_E10value_typeET2_T3_PNS13_IS18_E10value_typeET4_jRbjT5_S1E_jjP12ihipStream_tbEUljE_ZNSN_ISO_Lb1ESQ_SR_ST_SU_SY_EESZ_S10_S11_S12_S16_S17_S18_S1B_S1C_jS1D_jS1E_S1E_jjS1G_bEUljE0_EEESZ_S10_S11_S18_S1C_S1E_T6_T7_T9_mT8_S1G_bDpT10_ENKUlT_T0_E_clISt17integral_constantIbLb1EES1U_EEDaS1P_S1Q_EUlS1P_E_NS1_11comp_targetILNS1_3genE4ELNS1_11target_archE910ELNS1_3gpuE8ELNS1_3repE0EEENS1_30default_config_static_selectorELNS0_4arch9wavefront6targetE0EEEvS12_,@function
_ZN7rocprim17ROCPRIM_400000_NS6detail17trampoline_kernelINS0_13select_configILj256ELj13ELNS0_17block_load_methodE3ELS4_3ELS4_3ELNS0_20block_scan_algorithmE0ELj4294967295EEENS1_25partition_config_selectorILNS1_17partition_subalgoE4EjNS0_10empty_typeEbEEZZNS1_14partition_implILS8_4ELb0ES6_15HIP_vector_typeIjLj2EENS0_17counting_iteratorIjlEEPS9_SG_NS0_5tupleIJPjSI_NS0_16reverse_iteratorISI_EEEEENSH_IJSG_SG_SG_EEES9_SI_JZNS1_25segmented_radix_sort_implINS0_14default_configELb1EPKsPsPKlPlN2at6native12_GLOBAL__N_18offset_tEEE10hipError_tPvRmT1_PNSt15iterator_traitsIS12_E10value_typeET2_T3_PNS13_IS18_E10value_typeET4_jRbjT5_S1E_jjP12ihipStream_tbEUljE_ZNSN_ISO_Lb1ESQ_SR_ST_SU_SY_EESZ_S10_S11_S12_S16_S17_S18_S1B_S1C_jS1D_jS1E_S1E_jjS1G_bEUljE0_EEESZ_S10_S11_S18_S1C_S1E_T6_T7_T9_mT8_S1G_bDpT10_ENKUlT_T0_E_clISt17integral_constantIbLb1EES1U_EEDaS1P_S1Q_EUlS1P_E_NS1_11comp_targetILNS1_3genE4ELNS1_11target_archE910ELNS1_3gpuE8ELNS1_3repE0EEENS1_30default_config_static_selectorELNS0_4arch9wavefront6targetE0EEEvS12_: ; @_ZN7rocprim17ROCPRIM_400000_NS6detail17trampoline_kernelINS0_13select_configILj256ELj13ELNS0_17block_load_methodE3ELS4_3ELS4_3ELNS0_20block_scan_algorithmE0ELj4294967295EEENS1_25partition_config_selectorILNS1_17partition_subalgoE4EjNS0_10empty_typeEbEEZZNS1_14partition_implILS8_4ELb0ES6_15HIP_vector_typeIjLj2EENS0_17counting_iteratorIjlEEPS9_SG_NS0_5tupleIJPjSI_NS0_16reverse_iteratorISI_EEEEENSH_IJSG_SG_SG_EEES9_SI_JZNS1_25segmented_radix_sort_implINS0_14default_configELb1EPKsPsPKlPlN2at6native12_GLOBAL__N_18offset_tEEE10hipError_tPvRmT1_PNSt15iterator_traitsIS12_E10value_typeET2_T3_PNS13_IS18_E10value_typeET4_jRbjT5_S1E_jjP12ihipStream_tbEUljE_ZNSN_ISO_Lb1ESQ_SR_ST_SU_SY_EESZ_S10_S11_S12_S16_S17_S18_S1B_S1C_jS1D_jS1E_S1E_jjS1G_bEUljE0_EEESZ_S10_S11_S18_S1C_S1E_T6_T7_T9_mT8_S1G_bDpT10_ENKUlT_T0_E_clISt17integral_constantIbLb1EES1U_EEDaS1P_S1Q_EUlS1P_E_NS1_11comp_targetILNS1_3genE4ELNS1_11target_archE910ELNS1_3gpuE8ELNS1_3repE0EEENS1_30default_config_static_selectorELNS0_4arch9wavefront6targetE0EEEvS12_
; %bb.0:
	.section	.rodata,"a",@progbits
	.p2align	6, 0x0
	.amdhsa_kernel _ZN7rocprim17ROCPRIM_400000_NS6detail17trampoline_kernelINS0_13select_configILj256ELj13ELNS0_17block_load_methodE3ELS4_3ELS4_3ELNS0_20block_scan_algorithmE0ELj4294967295EEENS1_25partition_config_selectorILNS1_17partition_subalgoE4EjNS0_10empty_typeEbEEZZNS1_14partition_implILS8_4ELb0ES6_15HIP_vector_typeIjLj2EENS0_17counting_iteratorIjlEEPS9_SG_NS0_5tupleIJPjSI_NS0_16reverse_iteratorISI_EEEEENSH_IJSG_SG_SG_EEES9_SI_JZNS1_25segmented_radix_sort_implINS0_14default_configELb1EPKsPsPKlPlN2at6native12_GLOBAL__N_18offset_tEEE10hipError_tPvRmT1_PNSt15iterator_traitsIS12_E10value_typeET2_T3_PNS13_IS18_E10value_typeET4_jRbjT5_S1E_jjP12ihipStream_tbEUljE_ZNSN_ISO_Lb1ESQ_SR_ST_SU_SY_EESZ_S10_S11_S12_S16_S17_S18_S1B_S1C_jS1D_jS1E_S1E_jjS1G_bEUljE0_EEESZ_S10_S11_S18_S1C_S1E_T6_T7_T9_mT8_S1G_bDpT10_ENKUlT_T0_E_clISt17integral_constantIbLb1EES1U_EEDaS1P_S1Q_EUlS1P_E_NS1_11comp_targetILNS1_3genE4ELNS1_11target_archE910ELNS1_3gpuE8ELNS1_3repE0EEENS1_30default_config_static_selectorELNS0_4arch9wavefront6targetE0EEEvS12_
		.amdhsa_group_segment_fixed_size 0
		.amdhsa_private_segment_fixed_size 0
		.amdhsa_kernarg_size 184
		.amdhsa_user_sgpr_count 2
		.amdhsa_user_sgpr_dispatch_ptr 0
		.amdhsa_user_sgpr_queue_ptr 0
		.amdhsa_user_sgpr_kernarg_segment_ptr 1
		.amdhsa_user_sgpr_dispatch_id 0
		.amdhsa_user_sgpr_kernarg_preload_length 0
		.amdhsa_user_sgpr_kernarg_preload_offset 0
		.amdhsa_user_sgpr_private_segment_size 0
		.amdhsa_wavefront_size32 1
		.amdhsa_uses_dynamic_stack 0
		.amdhsa_enable_private_segment 0
		.amdhsa_system_sgpr_workgroup_id_x 1
		.amdhsa_system_sgpr_workgroup_id_y 0
		.amdhsa_system_sgpr_workgroup_id_z 0
		.amdhsa_system_sgpr_workgroup_info 0
		.amdhsa_system_vgpr_workitem_id 0
		.amdhsa_next_free_vgpr 1
		.amdhsa_next_free_sgpr 1
		.amdhsa_named_barrier_count 0
		.amdhsa_reserve_vcc 0
		.amdhsa_float_round_mode_32 0
		.amdhsa_float_round_mode_16_64 0
		.amdhsa_float_denorm_mode_32 3
		.amdhsa_float_denorm_mode_16_64 3
		.amdhsa_fp16_overflow 0
		.amdhsa_memory_ordered 1
		.amdhsa_forward_progress 1
		.amdhsa_inst_pref_size 0
		.amdhsa_round_robin_scheduling 0
		.amdhsa_exception_fp_ieee_invalid_op 0
		.amdhsa_exception_fp_denorm_src 0
		.amdhsa_exception_fp_ieee_div_zero 0
		.amdhsa_exception_fp_ieee_overflow 0
		.amdhsa_exception_fp_ieee_underflow 0
		.amdhsa_exception_fp_ieee_inexact 0
		.amdhsa_exception_int_div_zero 0
	.end_amdhsa_kernel
	.section	.text._ZN7rocprim17ROCPRIM_400000_NS6detail17trampoline_kernelINS0_13select_configILj256ELj13ELNS0_17block_load_methodE3ELS4_3ELS4_3ELNS0_20block_scan_algorithmE0ELj4294967295EEENS1_25partition_config_selectorILNS1_17partition_subalgoE4EjNS0_10empty_typeEbEEZZNS1_14partition_implILS8_4ELb0ES6_15HIP_vector_typeIjLj2EENS0_17counting_iteratorIjlEEPS9_SG_NS0_5tupleIJPjSI_NS0_16reverse_iteratorISI_EEEEENSH_IJSG_SG_SG_EEES9_SI_JZNS1_25segmented_radix_sort_implINS0_14default_configELb1EPKsPsPKlPlN2at6native12_GLOBAL__N_18offset_tEEE10hipError_tPvRmT1_PNSt15iterator_traitsIS12_E10value_typeET2_T3_PNS13_IS18_E10value_typeET4_jRbjT5_S1E_jjP12ihipStream_tbEUljE_ZNSN_ISO_Lb1ESQ_SR_ST_SU_SY_EESZ_S10_S11_S12_S16_S17_S18_S1B_S1C_jS1D_jS1E_S1E_jjS1G_bEUljE0_EEESZ_S10_S11_S18_S1C_S1E_T6_T7_T9_mT8_S1G_bDpT10_ENKUlT_T0_E_clISt17integral_constantIbLb1EES1U_EEDaS1P_S1Q_EUlS1P_E_NS1_11comp_targetILNS1_3genE4ELNS1_11target_archE910ELNS1_3gpuE8ELNS1_3repE0EEENS1_30default_config_static_selectorELNS0_4arch9wavefront6targetE0EEEvS12_,"axG",@progbits,_ZN7rocprim17ROCPRIM_400000_NS6detail17trampoline_kernelINS0_13select_configILj256ELj13ELNS0_17block_load_methodE3ELS4_3ELS4_3ELNS0_20block_scan_algorithmE0ELj4294967295EEENS1_25partition_config_selectorILNS1_17partition_subalgoE4EjNS0_10empty_typeEbEEZZNS1_14partition_implILS8_4ELb0ES6_15HIP_vector_typeIjLj2EENS0_17counting_iteratorIjlEEPS9_SG_NS0_5tupleIJPjSI_NS0_16reverse_iteratorISI_EEEEENSH_IJSG_SG_SG_EEES9_SI_JZNS1_25segmented_radix_sort_implINS0_14default_configELb1EPKsPsPKlPlN2at6native12_GLOBAL__N_18offset_tEEE10hipError_tPvRmT1_PNSt15iterator_traitsIS12_E10value_typeET2_T3_PNS13_IS18_E10value_typeET4_jRbjT5_S1E_jjP12ihipStream_tbEUljE_ZNSN_ISO_Lb1ESQ_SR_ST_SU_SY_EESZ_S10_S11_S12_S16_S17_S18_S1B_S1C_jS1D_jS1E_S1E_jjS1G_bEUljE0_EEESZ_S10_S11_S18_S1C_S1E_T6_T7_T9_mT8_S1G_bDpT10_ENKUlT_T0_E_clISt17integral_constantIbLb1EES1U_EEDaS1P_S1Q_EUlS1P_E_NS1_11comp_targetILNS1_3genE4ELNS1_11target_archE910ELNS1_3gpuE8ELNS1_3repE0EEENS1_30default_config_static_selectorELNS0_4arch9wavefront6targetE0EEEvS12_,comdat
.Lfunc_end853:
	.size	_ZN7rocprim17ROCPRIM_400000_NS6detail17trampoline_kernelINS0_13select_configILj256ELj13ELNS0_17block_load_methodE3ELS4_3ELS4_3ELNS0_20block_scan_algorithmE0ELj4294967295EEENS1_25partition_config_selectorILNS1_17partition_subalgoE4EjNS0_10empty_typeEbEEZZNS1_14partition_implILS8_4ELb0ES6_15HIP_vector_typeIjLj2EENS0_17counting_iteratorIjlEEPS9_SG_NS0_5tupleIJPjSI_NS0_16reverse_iteratorISI_EEEEENSH_IJSG_SG_SG_EEES9_SI_JZNS1_25segmented_radix_sort_implINS0_14default_configELb1EPKsPsPKlPlN2at6native12_GLOBAL__N_18offset_tEEE10hipError_tPvRmT1_PNSt15iterator_traitsIS12_E10value_typeET2_T3_PNS13_IS18_E10value_typeET4_jRbjT5_S1E_jjP12ihipStream_tbEUljE_ZNSN_ISO_Lb1ESQ_SR_ST_SU_SY_EESZ_S10_S11_S12_S16_S17_S18_S1B_S1C_jS1D_jS1E_S1E_jjS1G_bEUljE0_EEESZ_S10_S11_S18_S1C_S1E_T6_T7_T9_mT8_S1G_bDpT10_ENKUlT_T0_E_clISt17integral_constantIbLb1EES1U_EEDaS1P_S1Q_EUlS1P_E_NS1_11comp_targetILNS1_3genE4ELNS1_11target_archE910ELNS1_3gpuE8ELNS1_3repE0EEENS1_30default_config_static_selectorELNS0_4arch9wavefront6targetE0EEEvS12_, .Lfunc_end853-_ZN7rocprim17ROCPRIM_400000_NS6detail17trampoline_kernelINS0_13select_configILj256ELj13ELNS0_17block_load_methodE3ELS4_3ELS4_3ELNS0_20block_scan_algorithmE0ELj4294967295EEENS1_25partition_config_selectorILNS1_17partition_subalgoE4EjNS0_10empty_typeEbEEZZNS1_14partition_implILS8_4ELb0ES6_15HIP_vector_typeIjLj2EENS0_17counting_iteratorIjlEEPS9_SG_NS0_5tupleIJPjSI_NS0_16reverse_iteratorISI_EEEEENSH_IJSG_SG_SG_EEES9_SI_JZNS1_25segmented_radix_sort_implINS0_14default_configELb1EPKsPsPKlPlN2at6native12_GLOBAL__N_18offset_tEEE10hipError_tPvRmT1_PNSt15iterator_traitsIS12_E10value_typeET2_T3_PNS13_IS18_E10value_typeET4_jRbjT5_S1E_jjP12ihipStream_tbEUljE_ZNSN_ISO_Lb1ESQ_SR_ST_SU_SY_EESZ_S10_S11_S12_S16_S17_S18_S1B_S1C_jS1D_jS1E_S1E_jjS1G_bEUljE0_EEESZ_S10_S11_S18_S1C_S1E_T6_T7_T9_mT8_S1G_bDpT10_ENKUlT_T0_E_clISt17integral_constantIbLb1EES1U_EEDaS1P_S1Q_EUlS1P_E_NS1_11comp_targetILNS1_3genE4ELNS1_11target_archE910ELNS1_3gpuE8ELNS1_3repE0EEENS1_30default_config_static_selectorELNS0_4arch9wavefront6targetE0EEEvS12_
                                        ; -- End function
	.set _ZN7rocprim17ROCPRIM_400000_NS6detail17trampoline_kernelINS0_13select_configILj256ELj13ELNS0_17block_load_methodE3ELS4_3ELS4_3ELNS0_20block_scan_algorithmE0ELj4294967295EEENS1_25partition_config_selectorILNS1_17partition_subalgoE4EjNS0_10empty_typeEbEEZZNS1_14partition_implILS8_4ELb0ES6_15HIP_vector_typeIjLj2EENS0_17counting_iteratorIjlEEPS9_SG_NS0_5tupleIJPjSI_NS0_16reverse_iteratorISI_EEEEENSH_IJSG_SG_SG_EEES9_SI_JZNS1_25segmented_radix_sort_implINS0_14default_configELb1EPKsPsPKlPlN2at6native12_GLOBAL__N_18offset_tEEE10hipError_tPvRmT1_PNSt15iterator_traitsIS12_E10value_typeET2_T3_PNS13_IS18_E10value_typeET4_jRbjT5_S1E_jjP12ihipStream_tbEUljE_ZNSN_ISO_Lb1ESQ_SR_ST_SU_SY_EESZ_S10_S11_S12_S16_S17_S18_S1B_S1C_jS1D_jS1E_S1E_jjS1G_bEUljE0_EEESZ_S10_S11_S18_S1C_S1E_T6_T7_T9_mT8_S1G_bDpT10_ENKUlT_T0_E_clISt17integral_constantIbLb1EES1U_EEDaS1P_S1Q_EUlS1P_E_NS1_11comp_targetILNS1_3genE4ELNS1_11target_archE910ELNS1_3gpuE8ELNS1_3repE0EEENS1_30default_config_static_selectorELNS0_4arch9wavefront6targetE0EEEvS12_.num_vgpr, 0
	.set _ZN7rocprim17ROCPRIM_400000_NS6detail17trampoline_kernelINS0_13select_configILj256ELj13ELNS0_17block_load_methodE3ELS4_3ELS4_3ELNS0_20block_scan_algorithmE0ELj4294967295EEENS1_25partition_config_selectorILNS1_17partition_subalgoE4EjNS0_10empty_typeEbEEZZNS1_14partition_implILS8_4ELb0ES6_15HIP_vector_typeIjLj2EENS0_17counting_iteratorIjlEEPS9_SG_NS0_5tupleIJPjSI_NS0_16reverse_iteratorISI_EEEEENSH_IJSG_SG_SG_EEES9_SI_JZNS1_25segmented_radix_sort_implINS0_14default_configELb1EPKsPsPKlPlN2at6native12_GLOBAL__N_18offset_tEEE10hipError_tPvRmT1_PNSt15iterator_traitsIS12_E10value_typeET2_T3_PNS13_IS18_E10value_typeET4_jRbjT5_S1E_jjP12ihipStream_tbEUljE_ZNSN_ISO_Lb1ESQ_SR_ST_SU_SY_EESZ_S10_S11_S12_S16_S17_S18_S1B_S1C_jS1D_jS1E_S1E_jjS1G_bEUljE0_EEESZ_S10_S11_S18_S1C_S1E_T6_T7_T9_mT8_S1G_bDpT10_ENKUlT_T0_E_clISt17integral_constantIbLb1EES1U_EEDaS1P_S1Q_EUlS1P_E_NS1_11comp_targetILNS1_3genE4ELNS1_11target_archE910ELNS1_3gpuE8ELNS1_3repE0EEENS1_30default_config_static_selectorELNS0_4arch9wavefront6targetE0EEEvS12_.num_agpr, 0
	.set _ZN7rocprim17ROCPRIM_400000_NS6detail17trampoline_kernelINS0_13select_configILj256ELj13ELNS0_17block_load_methodE3ELS4_3ELS4_3ELNS0_20block_scan_algorithmE0ELj4294967295EEENS1_25partition_config_selectorILNS1_17partition_subalgoE4EjNS0_10empty_typeEbEEZZNS1_14partition_implILS8_4ELb0ES6_15HIP_vector_typeIjLj2EENS0_17counting_iteratorIjlEEPS9_SG_NS0_5tupleIJPjSI_NS0_16reverse_iteratorISI_EEEEENSH_IJSG_SG_SG_EEES9_SI_JZNS1_25segmented_radix_sort_implINS0_14default_configELb1EPKsPsPKlPlN2at6native12_GLOBAL__N_18offset_tEEE10hipError_tPvRmT1_PNSt15iterator_traitsIS12_E10value_typeET2_T3_PNS13_IS18_E10value_typeET4_jRbjT5_S1E_jjP12ihipStream_tbEUljE_ZNSN_ISO_Lb1ESQ_SR_ST_SU_SY_EESZ_S10_S11_S12_S16_S17_S18_S1B_S1C_jS1D_jS1E_S1E_jjS1G_bEUljE0_EEESZ_S10_S11_S18_S1C_S1E_T6_T7_T9_mT8_S1G_bDpT10_ENKUlT_T0_E_clISt17integral_constantIbLb1EES1U_EEDaS1P_S1Q_EUlS1P_E_NS1_11comp_targetILNS1_3genE4ELNS1_11target_archE910ELNS1_3gpuE8ELNS1_3repE0EEENS1_30default_config_static_selectorELNS0_4arch9wavefront6targetE0EEEvS12_.numbered_sgpr, 0
	.set _ZN7rocprim17ROCPRIM_400000_NS6detail17trampoline_kernelINS0_13select_configILj256ELj13ELNS0_17block_load_methodE3ELS4_3ELS4_3ELNS0_20block_scan_algorithmE0ELj4294967295EEENS1_25partition_config_selectorILNS1_17partition_subalgoE4EjNS0_10empty_typeEbEEZZNS1_14partition_implILS8_4ELb0ES6_15HIP_vector_typeIjLj2EENS0_17counting_iteratorIjlEEPS9_SG_NS0_5tupleIJPjSI_NS0_16reverse_iteratorISI_EEEEENSH_IJSG_SG_SG_EEES9_SI_JZNS1_25segmented_radix_sort_implINS0_14default_configELb1EPKsPsPKlPlN2at6native12_GLOBAL__N_18offset_tEEE10hipError_tPvRmT1_PNSt15iterator_traitsIS12_E10value_typeET2_T3_PNS13_IS18_E10value_typeET4_jRbjT5_S1E_jjP12ihipStream_tbEUljE_ZNSN_ISO_Lb1ESQ_SR_ST_SU_SY_EESZ_S10_S11_S12_S16_S17_S18_S1B_S1C_jS1D_jS1E_S1E_jjS1G_bEUljE0_EEESZ_S10_S11_S18_S1C_S1E_T6_T7_T9_mT8_S1G_bDpT10_ENKUlT_T0_E_clISt17integral_constantIbLb1EES1U_EEDaS1P_S1Q_EUlS1P_E_NS1_11comp_targetILNS1_3genE4ELNS1_11target_archE910ELNS1_3gpuE8ELNS1_3repE0EEENS1_30default_config_static_selectorELNS0_4arch9wavefront6targetE0EEEvS12_.num_named_barrier, 0
	.set _ZN7rocprim17ROCPRIM_400000_NS6detail17trampoline_kernelINS0_13select_configILj256ELj13ELNS0_17block_load_methodE3ELS4_3ELS4_3ELNS0_20block_scan_algorithmE0ELj4294967295EEENS1_25partition_config_selectorILNS1_17partition_subalgoE4EjNS0_10empty_typeEbEEZZNS1_14partition_implILS8_4ELb0ES6_15HIP_vector_typeIjLj2EENS0_17counting_iteratorIjlEEPS9_SG_NS0_5tupleIJPjSI_NS0_16reverse_iteratorISI_EEEEENSH_IJSG_SG_SG_EEES9_SI_JZNS1_25segmented_radix_sort_implINS0_14default_configELb1EPKsPsPKlPlN2at6native12_GLOBAL__N_18offset_tEEE10hipError_tPvRmT1_PNSt15iterator_traitsIS12_E10value_typeET2_T3_PNS13_IS18_E10value_typeET4_jRbjT5_S1E_jjP12ihipStream_tbEUljE_ZNSN_ISO_Lb1ESQ_SR_ST_SU_SY_EESZ_S10_S11_S12_S16_S17_S18_S1B_S1C_jS1D_jS1E_S1E_jjS1G_bEUljE0_EEESZ_S10_S11_S18_S1C_S1E_T6_T7_T9_mT8_S1G_bDpT10_ENKUlT_T0_E_clISt17integral_constantIbLb1EES1U_EEDaS1P_S1Q_EUlS1P_E_NS1_11comp_targetILNS1_3genE4ELNS1_11target_archE910ELNS1_3gpuE8ELNS1_3repE0EEENS1_30default_config_static_selectorELNS0_4arch9wavefront6targetE0EEEvS12_.private_seg_size, 0
	.set _ZN7rocprim17ROCPRIM_400000_NS6detail17trampoline_kernelINS0_13select_configILj256ELj13ELNS0_17block_load_methodE3ELS4_3ELS4_3ELNS0_20block_scan_algorithmE0ELj4294967295EEENS1_25partition_config_selectorILNS1_17partition_subalgoE4EjNS0_10empty_typeEbEEZZNS1_14partition_implILS8_4ELb0ES6_15HIP_vector_typeIjLj2EENS0_17counting_iteratorIjlEEPS9_SG_NS0_5tupleIJPjSI_NS0_16reverse_iteratorISI_EEEEENSH_IJSG_SG_SG_EEES9_SI_JZNS1_25segmented_radix_sort_implINS0_14default_configELb1EPKsPsPKlPlN2at6native12_GLOBAL__N_18offset_tEEE10hipError_tPvRmT1_PNSt15iterator_traitsIS12_E10value_typeET2_T3_PNS13_IS18_E10value_typeET4_jRbjT5_S1E_jjP12ihipStream_tbEUljE_ZNSN_ISO_Lb1ESQ_SR_ST_SU_SY_EESZ_S10_S11_S12_S16_S17_S18_S1B_S1C_jS1D_jS1E_S1E_jjS1G_bEUljE0_EEESZ_S10_S11_S18_S1C_S1E_T6_T7_T9_mT8_S1G_bDpT10_ENKUlT_T0_E_clISt17integral_constantIbLb1EES1U_EEDaS1P_S1Q_EUlS1P_E_NS1_11comp_targetILNS1_3genE4ELNS1_11target_archE910ELNS1_3gpuE8ELNS1_3repE0EEENS1_30default_config_static_selectorELNS0_4arch9wavefront6targetE0EEEvS12_.uses_vcc, 0
	.set _ZN7rocprim17ROCPRIM_400000_NS6detail17trampoline_kernelINS0_13select_configILj256ELj13ELNS0_17block_load_methodE3ELS4_3ELS4_3ELNS0_20block_scan_algorithmE0ELj4294967295EEENS1_25partition_config_selectorILNS1_17partition_subalgoE4EjNS0_10empty_typeEbEEZZNS1_14partition_implILS8_4ELb0ES6_15HIP_vector_typeIjLj2EENS0_17counting_iteratorIjlEEPS9_SG_NS0_5tupleIJPjSI_NS0_16reverse_iteratorISI_EEEEENSH_IJSG_SG_SG_EEES9_SI_JZNS1_25segmented_radix_sort_implINS0_14default_configELb1EPKsPsPKlPlN2at6native12_GLOBAL__N_18offset_tEEE10hipError_tPvRmT1_PNSt15iterator_traitsIS12_E10value_typeET2_T3_PNS13_IS18_E10value_typeET4_jRbjT5_S1E_jjP12ihipStream_tbEUljE_ZNSN_ISO_Lb1ESQ_SR_ST_SU_SY_EESZ_S10_S11_S12_S16_S17_S18_S1B_S1C_jS1D_jS1E_S1E_jjS1G_bEUljE0_EEESZ_S10_S11_S18_S1C_S1E_T6_T7_T9_mT8_S1G_bDpT10_ENKUlT_T0_E_clISt17integral_constantIbLb1EES1U_EEDaS1P_S1Q_EUlS1P_E_NS1_11comp_targetILNS1_3genE4ELNS1_11target_archE910ELNS1_3gpuE8ELNS1_3repE0EEENS1_30default_config_static_selectorELNS0_4arch9wavefront6targetE0EEEvS12_.uses_flat_scratch, 0
	.set _ZN7rocprim17ROCPRIM_400000_NS6detail17trampoline_kernelINS0_13select_configILj256ELj13ELNS0_17block_load_methodE3ELS4_3ELS4_3ELNS0_20block_scan_algorithmE0ELj4294967295EEENS1_25partition_config_selectorILNS1_17partition_subalgoE4EjNS0_10empty_typeEbEEZZNS1_14partition_implILS8_4ELb0ES6_15HIP_vector_typeIjLj2EENS0_17counting_iteratorIjlEEPS9_SG_NS0_5tupleIJPjSI_NS0_16reverse_iteratorISI_EEEEENSH_IJSG_SG_SG_EEES9_SI_JZNS1_25segmented_radix_sort_implINS0_14default_configELb1EPKsPsPKlPlN2at6native12_GLOBAL__N_18offset_tEEE10hipError_tPvRmT1_PNSt15iterator_traitsIS12_E10value_typeET2_T3_PNS13_IS18_E10value_typeET4_jRbjT5_S1E_jjP12ihipStream_tbEUljE_ZNSN_ISO_Lb1ESQ_SR_ST_SU_SY_EESZ_S10_S11_S12_S16_S17_S18_S1B_S1C_jS1D_jS1E_S1E_jjS1G_bEUljE0_EEESZ_S10_S11_S18_S1C_S1E_T6_T7_T9_mT8_S1G_bDpT10_ENKUlT_T0_E_clISt17integral_constantIbLb1EES1U_EEDaS1P_S1Q_EUlS1P_E_NS1_11comp_targetILNS1_3genE4ELNS1_11target_archE910ELNS1_3gpuE8ELNS1_3repE0EEENS1_30default_config_static_selectorELNS0_4arch9wavefront6targetE0EEEvS12_.has_dyn_sized_stack, 0
	.set _ZN7rocprim17ROCPRIM_400000_NS6detail17trampoline_kernelINS0_13select_configILj256ELj13ELNS0_17block_load_methodE3ELS4_3ELS4_3ELNS0_20block_scan_algorithmE0ELj4294967295EEENS1_25partition_config_selectorILNS1_17partition_subalgoE4EjNS0_10empty_typeEbEEZZNS1_14partition_implILS8_4ELb0ES6_15HIP_vector_typeIjLj2EENS0_17counting_iteratorIjlEEPS9_SG_NS0_5tupleIJPjSI_NS0_16reverse_iteratorISI_EEEEENSH_IJSG_SG_SG_EEES9_SI_JZNS1_25segmented_radix_sort_implINS0_14default_configELb1EPKsPsPKlPlN2at6native12_GLOBAL__N_18offset_tEEE10hipError_tPvRmT1_PNSt15iterator_traitsIS12_E10value_typeET2_T3_PNS13_IS18_E10value_typeET4_jRbjT5_S1E_jjP12ihipStream_tbEUljE_ZNSN_ISO_Lb1ESQ_SR_ST_SU_SY_EESZ_S10_S11_S12_S16_S17_S18_S1B_S1C_jS1D_jS1E_S1E_jjS1G_bEUljE0_EEESZ_S10_S11_S18_S1C_S1E_T6_T7_T9_mT8_S1G_bDpT10_ENKUlT_T0_E_clISt17integral_constantIbLb1EES1U_EEDaS1P_S1Q_EUlS1P_E_NS1_11comp_targetILNS1_3genE4ELNS1_11target_archE910ELNS1_3gpuE8ELNS1_3repE0EEENS1_30default_config_static_selectorELNS0_4arch9wavefront6targetE0EEEvS12_.has_recursion, 0
	.set _ZN7rocprim17ROCPRIM_400000_NS6detail17trampoline_kernelINS0_13select_configILj256ELj13ELNS0_17block_load_methodE3ELS4_3ELS4_3ELNS0_20block_scan_algorithmE0ELj4294967295EEENS1_25partition_config_selectorILNS1_17partition_subalgoE4EjNS0_10empty_typeEbEEZZNS1_14partition_implILS8_4ELb0ES6_15HIP_vector_typeIjLj2EENS0_17counting_iteratorIjlEEPS9_SG_NS0_5tupleIJPjSI_NS0_16reverse_iteratorISI_EEEEENSH_IJSG_SG_SG_EEES9_SI_JZNS1_25segmented_radix_sort_implINS0_14default_configELb1EPKsPsPKlPlN2at6native12_GLOBAL__N_18offset_tEEE10hipError_tPvRmT1_PNSt15iterator_traitsIS12_E10value_typeET2_T3_PNS13_IS18_E10value_typeET4_jRbjT5_S1E_jjP12ihipStream_tbEUljE_ZNSN_ISO_Lb1ESQ_SR_ST_SU_SY_EESZ_S10_S11_S12_S16_S17_S18_S1B_S1C_jS1D_jS1E_S1E_jjS1G_bEUljE0_EEESZ_S10_S11_S18_S1C_S1E_T6_T7_T9_mT8_S1G_bDpT10_ENKUlT_T0_E_clISt17integral_constantIbLb1EES1U_EEDaS1P_S1Q_EUlS1P_E_NS1_11comp_targetILNS1_3genE4ELNS1_11target_archE910ELNS1_3gpuE8ELNS1_3repE0EEENS1_30default_config_static_selectorELNS0_4arch9wavefront6targetE0EEEvS12_.has_indirect_call, 0
	.section	.AMDGPU.csdata,"",@progbits
; Kernel info:
; codeLenInByte = 0
; TotalNumSgprs: 0
; NumVgprs: 0
; ScratchSize: 0
; MemoryBound: 0
; FloatMode: 240
; IeeeMode: 1
; LDSByteSize: 0 bytes/workgroup (compile time only)
; SGPRBlocks: 0
; VGPRBlocks: 0
; NumSGPRsForWavesPerEU: 1
; NumVGPRsForWavesPerEU: 1
; NamedBarCnt: 0
; Occupancy: 16
; WaveLimiterHint : 0
; COMPUTE_PGM_RSRC2:SCRATCH_EN: 0
; COMPUTE_PGM_RSRC2:USER_SGPR: 2
; COMPUTE_PGM_RSRC2:TRAP_HANDLER: 0
; COMPUTE_PGM_RSRC2:TGID_X_EN: 1
; COMPUTE_PGM_RSRC2:TGID_Y_EN: 0
; COMPUTE_PGM_RSRC2:TGID_Z_EN: 0
; COMPUTE_PGM_RSRC2:TIDIG_COMP_CNT: 0
	.section	.text._ZN7rocprim17ROCPRIM_400000_NS6detail17trampoline_kernelINS0_13select_configILj256ELj13ELNS0_17block_load_methodE3ELS4_3ELS4_3ELNS0_20block_scan_algorithmE0ELj4294967295EEENS1_25partition_config_selectorILNS1_17partition_subalgoE4EjNS0_10empty_typeEbEEZZNS1_14partition_implILS8_4ELb0ES6_15HIP_vector_typeIjLj2EENS0_17counting_iteratorIjlEEPS9_SG_NS0_5tupleIJPjSI_NS0_16reverse_iteratorISI_EEEEENSH_IJSG_SG_SG_EEES9_SI_JZNS1_25segmented_radix_sort_implINS0_14default_configELb1EPKsPsPKlPlN2at6native12_GLOBAL__N_18offset_tEEE10hipError_tPvRmT1_PNSt15iterator_traitsIS12_E10value_typeET2_T3_PNS13_IS18_E10value_typeET4_jRbjT5_S1E_jjP12ihipStream_tbEUljE_ZNSN_ISO_Lb1ESQ_SR_ST_SU_SY_EESZ_S10_S11_S12_S16_S17_S18_S1B_S1C_jS1D_jS1E_S1E_jjS1G_bEUljE0_EEESZ_S10_S11_S18_S1C_S1E_T6_T7_T9_mT8_S1G_bDpT10_ENKUlT_T0_E_clISt17integral_constantIbLb1EES1U_EEDaS1P_S1Q_EUlS1P_E_NS1_11comp_targetILNS1_3genE3ELNS1_11target_archE908ELNS1_3gpuE7ELNS1_3repE0EEENS1_30default_config_static_selectorELNS0_4arch9wavefront6targetE0EEEvS12_,"axG",@progbits,_ZN7rocprim17ROCPRIM_400000_NS6detail17trampoline_kernelINS0_13select_configILj256ELj13ELNS0_17block_load_methodE3ELS4_3ELS4_3ELNS0_20block_scan_algorithmE0ELj4294967295EEENS1_25partition_config_selectorILNS1_17partition_subalgoE4EjNS0_10empty_typeEbEEZZNS1_14partition_implILS8_4ELb0ES6_15HIP_vector_typeIjLj2EENS0_17counting_iteratorIjlEEPS9_SG_NS0_5tupleIJPjSI_NS0_16reverse_iteratorISI_EEEEENSH_IJSG_SG_SG_EEES9_SI_JZNS1_25segmented_radix_sort_implINS0_14default_configELb1EPKsPsPKlPlN2at6native12_GLOBAL__N_18offset_tEEE10hipError_tPvRmT1_PNSt15iterator_traitsIS12_E10value_typeET2_T3_PNS13_IS18_E10value_typeET4_jRbjT5_S1E_jjP12ihipStream_tbEUljE_ZNSN_ISO_Lb1ESQ_SR_ST_SU_SY_EESZ_S10_S11_S12_S16_S17_S18_S1B_S1C_jS1D_jS1E_S1E_jjS1G_bEUljE0_EEESZ_S10_S11_S18_S1C_S1E_T6_T7_T9_mT8_S1G_bDpT10_ENKUlT_T0_E_clISt17integral_constantIbLb1EES1U_EEDaS1P_S1Q_EUlS1P_E_NS1_11comp_targetILNS1_3genE3ELNS1_11target_archE908ELNS1_3gpuE7ELNS1_3repE0EEENS1_30default_config_static_selectorELNS0_4arch9wavefront6targetE0EEEvS12_,comdat
	.globl	_ZN7rocprim17ROCPRIM_400000_NS6detail17trampoline_kernelINS0_13select_configILj256ELj13ELNS0_17block_load_methodE3ELS4_3ELS4_3ELNS0_20block_scan_algorithmE0ELj4294967295EEENS1_25partition_config_selectorILNS1_17partition_subalgoE4EjNS0_10empty_typeEbEEZZNS1_14partition_implILS8_4ELb0ES6_15HIP_vector_typeIjLj2EENS0_17counting_iteratorIjlEEPS9_SG_NS0_5tupleIJPjSI_NS0_16reverse_iteratorISI_EEEEENSH_IJSG_SG_SG_EEES9_SI_JZNS1_25segmented_radix_sort_implINS0_14default_configELb1EPKsPsPKlPlN2at6native12_GLOBAL__N_18offset_tEEE10hipError_tPvRmT1_PNSt15iterator_traitsIS12_E10value_typeET2_T3_PNS13_IS18_E10value_typeET4_jRbjT5_S1E_jjP12ihipStream_tbEUljE_ZNSN_ISO_Lb1ESQ_SR_ST_SU_SY_EESZ_S10_S11_S12_S16_S17_S18_S1B_S1C_jS1D_jS1E_S1E_jjS1G_bEUljE0_EEESZ_S10_S11_S18_S1C_S1E_T6_T7_T9_mT8_S1G_bDpT10_ENKUlT_T0_E_clISt17integral_constantIbLb1EES1U_EEDaS1P_S1Q_EUlS1P_E_NS1_11comp_targetILNS1_3genE3ELNS1_11target_archE908ELNS1_3gpuE7ELNS1_3repE0EEENS1_30default_config_static_selectorELNS0_4arch9wavefront6targetE0EEEvS12_ ; -- Begin function _ZN7rocprim17ROCPRIM_400000_NS6detail17trampoline_kernelINS0_13select_configILj256ELj13ELNS0_17block_load_methodE3ELS4_3ELS4_3ELNS0_20block_scan_algorithmE0ELj4294967295EEENS1_25partition_config_selectorILNS1_17partition_subalgoE4EjNS0_10empty_typeEbEEZZNS1_14partition_implILS8_4ELb0ES6_15HIP_vector_typeIjLj2EENS0_17counting_iteratorIjlEEPS9_SG_NS0_5tupleIJPjSI_NS0_16reverse_iteratorISI_EEEEENSH_IJSG_SG_SG_EEES9_SI_JZNS1_25segmented_radix_sort_implINS0_14default_configELb1EPKsPsPKlPlN2at6native12_GLOBAL__N_18offset_tEEE10hipError_tPvRmT1_PNSt15iterator_traitsIS12_E10value_typeET2_T3_PNS13_IS18_E10value_typeET4_jRbjT5_S1E_jjP12ihipStream_tbEUljE_ZNSN_ISO_Lb1ESQ_SR_ST_SU_SY_EESZ_S10_S11_S12_S16_S17_S18_S1B_S1C_jS1D_jS1E_S1E_jjS1G_bEUljE0_EEESZ_S10_S11_S18_S1C_S1E_T6_T7_T9_mT8_S1G_bDpT10_ENKUlT_T0_E_clISt17integral_constantIbLb1EES1U_EEDaS1P_S1Q_EUlS1P_E_NS1_11comp_targetILNS1_3genE3ELNS1_11target_archE908ELNS1_3gpuE7ELNS1_3repE0EEENS1_30default_config_static_selectorELNS0_4arch9wavefront6targetE0EEEvS12_
	.p2align	8
	.type	_ZN7rocprim17ROCPRIM_400000_NS6detail17trampoline_kernelINS0_13select_configILj256ELj13ELNS0_17block_load_methodE3ELS4_3ELS4_3ELNS0_20block_scan_algorithmE0ELj4294967295EEENS1_25partition_config_selectorILNS1_17partition_subalgoE4EjNS0_10empty_typeEbEEZZNS1_14partition_implILS8_4ELb0ES6_15HIP_vector_typeIjLj2EENS0_17counting_iteratorIjlEEPS9_SG_NS0_5tupleIJPjSI_NS0_16reverse_iteratorISI_EEEEENSH_IJSG_SG_SG_EEES9_SI_JZNS1_25segmented_radix_sort_implINS0_14default_configELb1EPKsPsPKlPlN2at6native12_GLOBAL__N_18offset_tEEE10hipError_tPvRmT1_PNSt15iterator_traitsIS12_E10value_typeET2_T3_PNS13_IS18_E10value_typeET4_jRbjT5_S1E_jjP12ihipStream_tbEUljE_ZNSN_ISO_Lb1ESQ_SR_ST_SU_SY_EESZ_S10_S11_S12_S16_S17_S18_S1B_S1C_jS1D_jS1E_S1E_jjS1G_bEUljE0_EEESZ_S10_S11_S18_S1C_S1E_T6_T7_T9_mT8_S1G_bDpT10_ENKUlT_T0_E_clISt17integral_constantIbLb1EES1U_EEDaS1P_S1Q_EUlS1P_E_NS1_11comp_targetILNS1_3genE3ELNS1_11target_archE908ELNS1_3gpuE7ELNS1_3repE0EEENS1_30default_config_static_selectorELNS0_4arch9wavefront6targetE0EEEvS12_,@function
_ZN7rocprim17ROCPRIM_400000_NS6detail17trampoline_kernelINS0_13select_configILj256ELj13ELNS0_17block_load_methodE3ELS4_3ELS4_3ELNS0_20block_scan_algorithmE0ELj4294967295EEENS1_25partition_config_selectorILNS1_17partition_subalgoE4EjNS0_10empty_typeEbEEZZNS1_14partition_implILS8_4ELb0ES6_15HIP_vector_typeIjLj2EENS0_17counting_iteratorIjlEEPS9_SG_NS0_5tupleIJPjSI_NS0_16reverse_iteratorISI_EEEEENSH_IJSG_SG_SG_EEES9_SI_JZNS1_25segmented_radix_sort_implINS0_14default_configELb1EPKsPsPKlPlN2at6native12_GLOBAL__N_18offset_tEEE10hipError_tPvRmT1_PNSt15iterator_traitsIS12_E10value_typeET2_T3_PNS13_IS18_E10value_typeET4_jRbjT5_S1E_jjP12ihipStream_tbEUljE_ZNSN_ISO_Lb1ESQ_SR_ST_SU_SY_EESZ_S10_S11_S12_S16_S17_S18_S1B_S1C_jS1D_jS1E_S1E_jjS1G_bEUljE0_EEESZ_S10_S11_S18_S1C_S1E_T6_T7_T9_mT8_S1G_bDpT10_ENKUlT_T0_E_clISt17integral_constantIbLb1EES1U_EEDaS1P_S1Q_EUlS1P_E_NS1_11comp_targetILNS1_3genE3ELNS1_11target_archE908ELNS1_3gpuE7ELNS1_3repE0EEENS1_30default_config_static_selectorELNS0_4arch9wavefront6targetE0EEEvS12_: ; @_ZN7rocprim17ROCPRIM_400000_NS6detail17trampoline_kernelINS0_13select_configILj256ELj13ELNS0_17block_load_methodE3ELS4_3ELS4_3ELNS0_20block_scan_algorithmE0ELj4294967295EEENS1_25partition_config_selectorILNS1_17partition_subalgoE4EjNS0_10empty_typeEbEEZZNS1_14partition_implILS8_4ELb0ES6_15HIP_vector_typeIjLj2EENS0_17counting_iteratorIjlEEPS9_SG_NS0_5tupleIJPjSI_NS0_16reverse_iteratorISI_EEEEENSH_IJSG_SG_SG_EEES9_SI_JZNS1_25segmented_radix_sort_implINS0_14default_configELb1EPKsPsPKlPlN2at6native12_GLOBAL__N_18offset_tEEE10hipError_tPvRmT1_PNSt15iterator_traitsIS12_E10value_typeET2_T3_PNS13_IS18_E10value_typeET4_jRbjT5_S1E_jjP12ihipStream_tbEUljE_ZNSN_ISO_Lb1ESQ_SR_ST_SU_SY_EESZ_S10_S11_S12_S16_S17_S18_S1B_S1C_jS1D_jS1E_S1E_jjS1G_bEUljE0_EEESZ_S10_S11_S18_S1C_S1E_T6_T7_T9_mT8_S1G_bDpT10_ENKUlT_T0_E_clISt17integral_constantIbLb1EES1U_EEDaS1P_S1Q_EUlS1P_E_NS1_11comp_targetILNS1_3genE3ELNS1_11target_archE908ELNS1_3gpuE7ELNS1_3repE0EEENS1_30default_config_static_selectorELNS0_4arch9wavefront6targetE0EEEvS12_
; %bb.0:
	.section	.rodata,"a",@progbits
	.p2align	6, 0x0
	.amdhsa_kernel _ZN7rocprim17ROCPRIM_400000_NS6detail17trampoline_kernelINS0_13select_configILj256ELj13ELNS0_17block_load_methodE3ELS4_3ELS4_3ELNS0_20block_scan_algorithmE0ELj4294967295EEENS1_25partition_config_selectorILNS1_17partition_subalgoE4EjNS0_10empty_typeEbEEZZNS1_14partition_implILS8_4ELb0ES6_15HIP_vector_typeIjLj2EENS0_17counting_iteratorIjlEEPS9_SG_NS0_5tupleIJPjSI_NS0_16reverse_iteratorISI_EEEEENSH_IJSG_SG_SG_EEES9_SI_JZNS1_25segmented_radix_sort_implINS0_14default_configELb1EPKsPsPKlPlN2at6native12_GLOBAL__N_18offset_tEEE10hipError_tPvRmT1_PNSt15iterator_traitsIS12_E10value_typeET2_T3_PNS13_IS18_E10value_typeET4_jRbjT5_S1E_jjP12ihipStream_tbEUljE_ZNSN_ISO_Lb1ESQ_SR_ST_SU_SY_EESZ_S10_S11_S12_S16_S17_S18_S1B_S1C_jS1D_jS1E_S1E_jjS1G_bEUljE0_EEESZ_S10_S11_S18_S1C_S1E_T6_T7_T9_mT8_S1G_bDpT10_ENKUlT_T0_E_clISt17integral_constantIbLb1EES1U_EEDaS1P_S1Q_EUlS1P_E_NS1_11comp_targetILNS1_3genE3ELNS1_11target_archE908ELNS1_3gpuE7ELNS1_3repE0EEENS1_30default_config_static_selectorELNS0_4arch9wavefront6targetE0EEEvS12_
		.amdhsa_group_segment_fixed_size 0
		.amdhsa_private_segment_fixed_size 0
		.amdhsa_kernarg_size 184
		.amdhsa_user_sgpr_count 2
		.amdhsa_user_sgpr_dispatch_ptr 0
		.amdhsa_user_sgpr_queue_ptr 0
		.amdhsa_user_sgpr_kernarg_segment_ptr 1
		.amdhsa_user_sgpr_dispatch_id 0
		.amdhsa_user_sgpr_kernarg_preload_length 0
		.amdhsa_user_sgpr_kernarg_preload_offset 0
		.amdhsa_user_sgpr_private_segment_size 0
		.amdhsa_wavefront_size32 1
		.amdhsa_uses_dynamic_stack 0
		.amdhsa_enable_private_segment 0
		.amdhsa_system_sgpr_workgroup_id_x 1
		.amdhsa_system_sgpr_workgroup_id_y 0
		.amdhsa_system_sgpr_workgroup_id_z 0
		.amdhsa_system_sgpr_workgroup_info 0
		.amdhsa_system_vgpr_workitem_id 0
		.amdhsa_next_free_vgpr 1
		.amdhsa_next_free_sgpr 1
		.amdhsa_named_barrier_count 0
		.amdhsa_reserve_vcc 0
		.amdhsa_float_round_mode_32 0
		.amdhsa_float_round_mode_16_64 0
		.amdhsa_float_denorm_mode_32 3
		.amdhsa_float_denorm_mode_16_64 3
		.amdhsa_fp16_overflow 0
		.amdhsa_memory_ordered 1
		.amdhsa_forward_progress 1
		.amdhsa_inst_pref_size 0
		.amdhsa_round_robin_scheduling 0
		.amdhsa_exception_fp_ieee_invalid_op 0
		.amdhsa_exception_fp_denorm_src 0
		.amdhsa_exception_fp_ieee_div_zero 0
		.amdhsa_exception_fp_ieee_overflow 0
		.amdhsa_exception_fp_ieee_underflow 0
		.amdhsa_exception_fp_ieee_inexact 0
		.amdhsa_exception_int_div_zero 0
	.end_amdhsa_kernel
	.section	.text._ZN7rocprim17ROCPRIM_400000_NS6detail17trampoline_kernelINS0_13select_configILj256ELj13ELNS0_17block_load_methodE3ELS4_3ELS4_3ELNS0_20block_scan_algorithmE0ELj4294967295EEENS1_25partition_config_selectorILNS1_17partition_subalgoE4EjNS0_10empty_typeEbEEZZNS1_14partition_implILS8_4ELb0ES6_15HIP_vector_typeIjLj2EENS0_17counting_iteratorIjlEEPS9_SG_NS0_5tupleIJPjSI_NS0_16reverse_iteratorISI_EEEEENSH_IJSG_SG_SG_EEES9_SI_JZNS1_25segmented_radix_sort_implINS0_14default_configELb1EPKsPsPKlPlN2at6native12_GLOBAL__N_18offset_tEEE10hipError_tPvRmT1_PNSt15iterator_traitsIS12_E10value_typeET2_T3_PNS13_IS18_E10value_typeET4_jRbjT5_S1E_jjP12ihipStream_tbEUljE_ZNSN_ISO_Lb1ESQ_SR_ST_SU_SY_EESZ_S10_S11_S12_S16_S17_S18_S1B_S1C_jS1D_jS1E_S1E_jjS1G_bEUljE0_EEESZ_S10_S11_S18_S1C_S1E_T6_T7_T9_mT8_S1G_bDpT10_ENKUlT_T0_E_clISt17integral_constantIbLb1EES1U_EEDaS1P_S1Q_EUlS1P_E_NS1_11comp_targetILNS1_3genE3ELNS1_11target_archE908ELNS1_3gpuE7ELNS1_3repE0EEENS1_30default_config_static_selectorELNS0_4arch9wavefront6targetE0EEEvS12_,"axG",@progbits,_ZN7rocprim17ROCPRIM_400000_NS6detail17trampoline_kernelINS0_13select_configILj256ELj13ELNS0_17block_load_methodE3ELS4_3ELS4_3ELNS0_20block_scan_algorithmE0ELj4294967295EEENS1_25partition_config_selectorILNS1_17partition_subalgoE4EjNS0_10empty_typeEbEEZZNS1_14partition_implILS8_4ELb0ES6_15HIP_vector_typeIjLj2EENS0_17counting_iteratorIjlEEPS9_SG_NS0_5tupleIJPjSI_NS0_16reverse_iteratorISI_EEEEENSH_IJSG_SG_SG_EEES9_SI_JZNS1_25segmented_radix_sort_implINS0_14default_configELb1EPKsPsPKlPlN2at6native12_GLOBAL__N_18offset_tEEE10hipError_tPvRmT1_PNSt15iterator_traitsIS12_E10value_typeET2_T3_PNS13_IS18_E10value_typeET4_jRbjT5_S1E_jjP12ihipStream_tbEUljE_ZNSN_ISO_Lb1ESQ_SR_ST_SU_SY_EESZ_S10_S11_S12_S16_S17_S18_S1B_S1C_jS1D_jS1E_S1E_jjS1G_bEUljE0_EEESZ_S10_S11_S18_S1C_S1E_T6_T7_T9_mT8_S1G_bDpT10_ENKUlT_T0_E_clISt17integral_constantIbLb1EES1U_EEDaS1P_S1Q_EUlS1P_E_NS1_11comp_targetILNS1_3genE3ELNS1_11target_archE908ELNS1_3gpuE7ELNS1_3repE0EEENS1_30default_config_static_selectorELNS0_4arch9wavefront6targetE0EEEvS12_,comdat
.Lfunc_end854:
	.size	_ZN7rocprim17ROCPRIM_400000_NS6detail17trampoline_kernelINS0_13select_configILj256ELj13ELNS0_17block_load_methodE3ELS4_3ELS4_3ELNS0_20block_scan_algorithmE0ELj4294967295EEENS1_25partition_config_selectorILNS1_17partition_subalgoE4EjNS0_10empty_typeEbEEZZNS1_14partition_implILS8_4ELb0ES6_15HIP_vector_typeIjLj2EENS0_17counting_iteratorIjlEEPS9_SG_NS0_5tupleIJPjSI_NS0_16reverse_iteratorISI_EEEEENSH_IJSG_SG_SG_EEES9_SI_JZNS1_25segmented_radix_sort_implINS0_14default_configELb1EPKsPsPKlPlN2at6native12_GLOBAL__N_18offset_tEEE10hipError_tPvRmT1_PNSt15iterator_traitsIS12_E10value_typeET2_T3_PNS13_IS18_E10value_typeET4_jRbjT5_S1E_jjP12ihipStream_tbEUljE_ZNSN_ISO_Lb1ESQ_SR_ST_SU_SY_EESZ_S10_S11_S12_S16_S17_S18_S1B_S1C_jS1D_jS1E_S1E_jjS1G_bEUljE0_EEESZ_S10_S11_S18_S1C_S1E_T6_T7_T9_mT8_S1G_bDpT10_ENKUlT_T0_E_clISt17integral_constantIbLb1EES1U_EEDaS1P_S1Q_EUlS1P_E_NS1_11comp_targetILNS1_3genE3ELNS1_11target_archE908ELNS1_3gpuE7ELNS1_3repE0EEENS1_30default_config_static_selectorELNS0_4arch9wavefront6targetE0EEEvS12_, .Lfunc_end854-_ZN7rocprim17ROCPRIM_400000_NS6detail17trampoline_kernelINS0_13select_configILj256ELj13ELNS0_17block_load_methodE3ELS4_3ELS4_3ELNS0_20block_scan_algorithmE0ELj4294967295EEENS1_25partition_config_selectorILNS1_17partition_subalgoE4EjNS0_10empty_typeEbEEZZNS1_14partition_implILS8_4ELb0ES6_15HIP_vector_typeIjLj2EENS0_17counting_iteratorIjlEEPS9_SG_NS0_5tupleIJPjSI_NS0_16reverse_iteratorISI_EEEEENSH_IJSG_SG_SG_EEES9_SI_JZNS1_25segmented_radix_sort_implINS0_14default_configELb1EPKsPsPKlPlN2at6native12_GLOBAL__N_18offset_tEEE10hipError_tPvRmT1_PNSt15iterator_traitsIS12_E10value_typeET2_T3_PNS13_IS18_E10value_typeET4_jRbjT5_S1E_jjP12ihipStream_tbEUljE_ZNSN_ISO_Lb1ESQ_SR_ST_SU_SY_EESZ_S10_S11_S12_S16_S17_S18_S1B_S1C_jS1D_jS1E_S1E_jjS1G_bEUljE0_EEESZ_S10_S11_S18_S1C_S1E_T6_T7_T9_mT8_S1G_bDpT10_ENKUlT_T0_E_clISt17integral_constantIbLb1EES1U_EEDaS1P_S1Q_EUlS1P_E_NS1_11comp_targetILNS1_3genE3ELNS1_11target_archE908ELNS1_3gpuE7ELNS1_3repE0EEENS1_30default_config_static_selectorELNS0_4arch9wavefront6targetE0EEEvS12_
                                        ; -- End function
	.set _ZN7rocprim17ROCPRIM_400000_NS6detail17trampoline_kernelINS0_13select_configILj256ELj13ELNS0_17block_load_methodE3ELS4_3ELS4_3ELNS0_20block_scan_algorithmE0ELj4294967295EEENS1_25partition_config_selectorILNS1_17partition_subalgoE4EjNS0_10empty_typeEbEEZZNS1_14partition_implILS8_4ELb0ES6_15HIP_vector_typeIjLj2EENS0_17counting_iteratorIjlEEPS9_SG_NS0_5tupleIJPjSI_NS0_16reverse_iteratorISI_EEEEENSH_IJSG_SG_SG_EEES9_SI_JZNS1_25segmented_radix_sort_implINS0_14default_configELb1EPKsPsPKlPlN2at6native12_GLOBAL__N_18offset_tEEE10hipError_tPvRmT1_PNSt15iterator_traitsIS12_E10value_typeET2_T3_PNS13_IS18_E10value_typeET4_jRbjT5_S1E_jjP12ihipStream_tbEUljE_ZNSN_ISO_Lb1ESQ_SR_ST_SU_SY_EESZ_S10_S11_S12_S16_S17_S18_S1B_S1C_jS1D_jS1E_S1E_jjS1G_bEUljE0_EEESZ_S10_S11_S18_S1C_S1E_T6_T7_T9_mT8_S1G_bDpT10_ENKUlT_T0_E_clISt17integral_constantIbLb1EES1U_EEDaS1P_S1Q_EUlS1P_E_NS1_11comp_targetILNS1_3genE3ELNS1_11target_archE908ELNS1_3gpuE7ELNS1_3repE0EEENS1_30default_config_static_selectorELNS0_4arch9wavefront6targetE0EEEvS12_.num_vgpr, 0
	.set _ZN7rocprim17ROCPRIM_400000_NS6detail17trampoline_kernelINS0_13select_configILj256ELj13ELNS0_17block_load_methodE3ELS4_3ELS4_3ELNS0_20block_scan_algorithmE0ELj4294967295EEENS1_25partition_config_selectorILNS1_17partition_subalgoE4EjNS0_10empty_typeEbEEZZNS1_14partition_implILS8_4ELb0ES6_15HIP_vector_typeIjLj2EENS0_17counting_iteratorIjlEEPS9_SG_NS0_5tupleIJPjSI_NS0_16reverse_iteratorISI_EEEEENSH_IJSG_SG_SG_EEES9_SI_JZNS1_25segmented_radix_sort_implINS0_14default_configELb1EPKsPsPKlPlN2at6native12_GLOBAL__N_18offset_tEEE10hipError_tPvRmT1_PNSt15iterator_traitsIS12_E10value_typeET2_T3_PNS13_IS18_E10value_typeET4_jRbjT5_S1E_jjP12ihipStream_tbEUljE_ZNSN_ISO_Lb1ESQ_SR_ST_SU_SY_EESZ_S10_S11_S12_S16_S17_S18_S1B_S1C_jS1D_jS1E_S1E_jjS1G_bEUljE0_EEESZ_S10_S11_S18_S1C_S1E_T6_T7_T9_mT8_S1G_bDpT10_ENKUlT_T0_E_clISt17integral_constantIbLb1EES1U_EEDaS1P_S1Q_EUlS1P_E_NS1_11comp_targetILNS1_3genE3ELNS1_11target_archE908ELNS1_3gpuE7ELNS1_3repE0EEENS1_30default_config_static_selectorELNS0_4arch9wavefront6targetE0EEEvS12_.num_agpr, 0
	.set _ZN7rocprim17ROCPRIM_400000_NS6detail17trampoline_kernelINS0_13select_configILj256ELj13ELNS0_17block_load_methodE3ELS4_3ELS4_3ELNS0_20block_scan_algorithmE0ELj4294967295EEENS1_25partition_config_selectorILNS1_17partition_subalgoE4EjNS0_10empty_typeEbEEZZNS1_14partition_implILS8_4ELb0ES6_15HIP_vector_typeIjLj2EENS0_17counting_iteratorIjlEEPS9_SG_NS0_5tupleIJPjSI_NS0_16reverse_iteratorISI_EEEEENSH_IJSG_SG_SG_EEES9_SI_JZNS1_25segmented_radix_sort_implINS0_14default_configELb1EPKsPsPKlPlN2at6native12_GLOBAL__N_18offset_tEEE10hipError_tPvRmT1_PNSt15iterator_traitsIS12_E10value_typeET2_T3_PNS13_IS18_E10value_typeET4_jRbjT5_S1E_jjP12ihipStream_tbEUljE_ZNSN_ISO_Lb1ESQ_SR_ST_SU_SY_EESZ_S10_S11_S12_S16_S17_S18_S1B_S1C_jS1D_jS1E_S1E_jjS1G_bEUljE0_EEESZ_S10_S11_S18_S1C_S1E_T6_T7_T9_mT8_S1G_bDpT10_ENKUlT_T0_E_clISt17integral_constantIbLb1EES1U_EEDaS1P_S1Q_EUlS1P_E_NS1_11comp_targetILNS1_3genE3ELNS1_11target_archE908ELNS1_3gpuE7ELNS1_3repE0EEENS1_30default_config_static_selectorELNS0_4arch9wavefront6targetE0EEEvS12_.numbered_sgpr, 0
	.set _ZN7rocprim17ROCPRIM_400000_NS6detail17trampoline_kernelINS0_13select_configILj256ELj13ELNS0_17block_load_methodE3ELS4_3ELS4_3ELNS0_20block_scan_algorithmE0ELj4294967295EEENS1_25partition_config_selectorILNS1_17partition_subalgoE4EjNS0_10empty_typeEbEEZZNS1_14partition_implILS8_4ELb0ES6_15HIP_vector_typeIjLj2EENS0_17counting_iteratorIjlEEPS9_SG_NS0_5tupleIJPjSI_NS0_16reverse_iteratorISI_EEEEENSH_IJSG_SG_SG_EEES9_SI_JZNS1_25segmented_radix_sort_implINS0_14default_configELb1EPKsPsPKlPlN2at6native12_GLOBAL__N_18offset_tEEE10hipError_tPvRmT1_PNSt15iterator_traitsIS12_E10value_typeET2_T3_PNS13_IS18_E10value_typeET4_jRbjT5_S1E_jjP12ihipStream_tbEUljE_ZNSN_ISO_Lb1ESQ_SR_ST_SU_SY_EESZ_S10_S11_S12_S16_S17_S18_S1B_S1C_jS1D_jS1E_S1E_jjS1G_bEUljE0_EEESZ_S10_S11_S18_S1C_S1E_T6_T7_T9_mT8_S1G_bDpT10_ENKUlT_T0_E_clISt17integral_constantIbLb1EES1U_EEDaS1P_S1Q_EUlS1P_E_NS1_11comp_targetILNS1_3genE3ELNS1_11target_archE908ELNS1_3gpuE7ELNS1_3repE0EEENS1_30default_config_static_selectorELNS0_4arch9wavefront6targetE0EEEvS12_.num_named_barrier, 0
	.set _ZN7rocprim17ROCPRIM_400000_NS6detail17trampoline_kernelINS0_13select_configILj256ELj13ELNS0_17block_load_methodE3ELS4_3ELS4_3ELNS0_20block_scan_algorithmE0ELj4294967295EEENS1_25partition_config_selectorILNS1_17partition_subalgoE4EjNS0_10empty_typeEbEEZZNS1_14partition_implILS8_4ELb0ES6_15HIP_vector_typeIjLj2EENS0_17counting_iteratorIjlEEPS9_SG_NS0_5tupleIJPjSI_NS0_16reverse_iteratorISI_EEEEENSH_IJSG_SG_SG_EEES9_SI_JZNS1_25segmented_radix_sort_implINS0_14default_configELb1EPKsPsPKlPlN2at6native12_GLOBAL__N_18offset_tEEE10hipError_tPvRmT1_PNSt15iterator_traitsIS12_E10value_typeET2_T3_PNS13_IS18_E10value_typeET4_jRbjT5_S1E_jjP12ihipStream_tbEUljE_ZNSN_ISO_Lb1ESQ_SR_ST_SU_SY_EESZ_S10_S11_S12_S16_S17_S18_S1B_S1C_jS1D_jS1E_S1E_jjS1G_bEUljE0_EEESZ_S10_S11_S18_S1C_S1E_T6_T7_T9_mT8_S1G_bDpT10_ENKUlT_T0_E_clISt17integral_constantIbLb1EES1U_EEDaS1P_S1Q_EUlS1P_E_NS1_11comp_targetILNS1_3genE3ELNS1_11target_archE908ELNS1_3gpuE7ELNS1_3repE0EEENS1_30default_config_static_selectorELNS0_4arch9wavefront6targetE0EEEvS12_.private_seg_size, 0
	.set _ZN7rocprim17ROCPRIM_400000_NS6detail17trampoline_kernelINS0_13select_configILj256ELj13ELNS0_17block_load_methodE3ELS4_3ELS4_3ELNS0_20block_scan_algorithmE0ELj4294967295EEENS1_25partition_config_selectorILNS1_17partition_subalgoE4EjNS0_10empty_typeEbEEZZNS1_14partition_implILS8_4ELb0ES6_15HIP_vector_typeIjLj2EENS0_17counting_iteratorIjlEEPS9_SG_NS0_5tupleIJPjSI_NS0_16reverse_iteratorISI_EEEEENSH_IJSG_SG_SG_EEES9_SI_JZNS1_25segmented_radix_sort_implINS0_14default_configELb1EPKsPsPKlPlN2at6native12_GLOBAL__N_18offset_tEEE10hipError_tPvRmT1_PNSt15iterator_traitsIS12_E10value_typeET2_T3_PNS13_IS18_E10value_typeET4_jRbjT5_S1E_jjP12ihipStream_tbEUljE_ZNSN_ISO_Lb1ESQ_SR_ST_SU_SY_EESZ_S10_S11_S12_S16_S17_S18_S1B_S1C_jS1D_jS1E_S1E_jjS1G_bEUljE0_EEESZ_S10_S11_S18_S1C_S1E_T6_T7_T9_mT8_S1G_bDpT10_ENKUlT_T0_E_clISt17integral_constantIbLb1EES1U_EEDaS1P_S1Q_EUlS1P_E_NS1_11comp_targetILNS1_3genE3ELNS1_11target_archE908ELNS1_3gpuE7ELNS1_3repE0EEENS1_30default_config_static_selectorELNS0_4arch9wavefront6targetE0EEEvS12_.uses_vcc, 0
	.set _ZN7rocprim17ROCPRIM_400000_NS6detail17trampoline_kernelINS0_13select_configILj256ELj13ELNS0_17block_load_methodE3ELS4_3ELS4_3ELNS0_20block_scan_algorithmE0ELj4294967295EEENS1_25partition_config_selectorILNS1_17partition_subalgoE4EjNS0_10empty_typeEbEEZZNS1_14partition_implILS8_4ELb0ES6_15HIP_vector_typeIjLj2EENS0_17counting_iteratorIjlEEPS9_SG_NS0_5tupleIJPjSI_NS0_16reverse_iteratorISI_EEEEENSH_IJSG_SG_SG_EEES9_SI_JZNS1_25segmented_radix_sort_implINS0_14default_configELb1EPKsPsPKlPlN2at6native12_GLOBAL__N_18offset_tEEE10hipError_tPvRmT1_PNSt15iterator_traitsIS12_E10value_typeET2_T3_PNS13_IS18_E10value_typeET4_jRbjT5_S1E_jjP12ihipStream_tbEUljE_ZNSN_ISO_Lb1ESQ_SR_ST_SU_SY_EESZ_S10_S11_S12_S16_S17_S18_S1B_S1C_jS1D_jS1E_S1E_jjS1G_bEUljE0_EEESZ_S10_S11_S18_S1C_S1E_T6_T7_T9_mT8_S1G_bDpT10_ENKUlT_T0_E_clISt17integral_constantIbLb1EES1U_EEDaS1P_S1Q_EUlS1P_E_NS1_11comp_targetILNS1_3genE3ELNS1_11target_archE908ELNS1_3gpuE7ELNS1_3repE0EEENS1_30default_config_static_selectorELNS0_4arch9wavefront6targetE0EEEvS12_.uses_flat_scratch, 0
	.set _ZN7rocprim17ROCPRIM_400000_NS6detail17trampoline_kernelINS0_13select_configILj256ELj13ELNS0_17block_load_methodE3ELS4_3ELS4_3ELNS0_20block_scan_algorithmE0ELj4294967295EEENS1_25partition_config_selectorILNS1_17partition_subalgoE4EjNS0_10empty_typeEbEEZZNS1_14partition_implILS8_4ELb0ES6_15HIP_vector_typeIjLj2EENS0_17counting_iteratorIjlEEPS9_SG_NS0_5tupleIJPjSI_NS0_16reverse_iteratorISI_EEEEENSH_IJSG_SG_SG_EEES9_SI_JZNS1_25segmented_radix_sort_implINS0_14default_configELb1EPKsPsPKlPlN2at6native12_GLOBAL__N_18offset_tEEE10hipError_tPvRmT1_PNSt15iterator_traitsIS12_E10value_typeET2_T3_PNS13_IS18_E10value_typeET4_jRbjT5_S1E_jjP12ihipStream_tbEUljE_ZNSN_ISO_Lb1ESQ_SR_ST_SU_SY_EESZ_S10_S11_S12_S16_S17_S18_S1B_S1C_jS1D_jS1E_S1E_jjS1G_bEUljE0_EEESZ_S10_S11_S18_S1C_S1E_T6_T7_T9_mT8_S1G_bDpT10_ENKUlT_T0_E_clISt17integral_constantIbLb1EES1U_EEDaS1P_S1Q_EUlS1P_E_NS1_11comp_targetILNS1_3genE3ELNS1_11target_archE908ELNS1_3gpuE7ELNS1_3repE0EEENS1_30default_config_static_selectorELNS0_4arch9wavefront6targetE0EEEvS12_.has_dyn_sized_stack, 0
	.set _ZN7rocprim17ROCPRIM_400000_NS6detail17trampoline_kernelINS0_13select_configILj256ELj13ELNS0_17block_load_methodE3ELS4_3ELS4_3ELNS0_20block_scan_algorithmE0ELj4294967295EEENS1_25partition_config_selectorILNS1_17partition_subalgoE4EjNS0_10empty_typeEbEEZZNS1_14partition_implILS8_4ELb0ES6_15HIP_vector_typeIjLj2EENS0_17counting_iteratorIjlEEPS9_SG_NS0_5tupleIJPjSI_NS0_16reverse_iteratorISI_EEEEENSH_IJSG_SG_SG_EEES9_SI_JZNS1_25segmented_radix_sort_implINS0_14default_configELb1EPKsPsPKlPlN2at6native12_GLOBAL__N_18offset_tEEE10hipError_tPvRmT1_PNSt15iterator_traitsIS12_E10value_typeET2_T3_PNS13_IS18_E10value_typeET4_jRbjT5_S1E_jjP12ihipStream_tbEUljE_ZNSN_ISO_Lb1ESQ_SR_ST_SU_SY_EESZ_S10_S11_S12_S16_S17_S18_S1B_S1C_jS1D_jS1E_S1E_jjS1G_bEUljE0_EEESZ_S10_S11_S18_S1C_S1E_T6_T7_T9_mT8_S1G_bDpT10_ENKUlT_T0_E_clISt17integral_constantIbLb1EES1U_EEDaS1P_S1Q_EUlS1P_E_NS1_11comp_targetILNS1_3genE3ELNS1_11target_archE908ELNS1_3gpuE7ELNS1_3repE0EEENS1_30default_config_static_selectorELNS0_4arch9wavefront6targetE0EEEvS12_.has_recursion, 0
	.set _ZN7rocprim17ROCPRIM_400000_NS6detail17trampoline_kernelINS0_13select_configILj256ELj13ELNS0_17block_load_methodE3ELS4_3ELS4_3ELNS0_20block_scan_algorithmE0ELj4294967295EEENS1_25partition_config_selectorILNS1_17partition_subalgoE4EjNS0_10empty_typeEbEEZZNS1_14partition_implILS8_4ELb0ES6_15HIP_vector_typeIjLj2EENS0_17counting_iteratorIjlEEPS9_SG_NS0_5tupleIJPjSI_NS0_16reverse_iteratorISI_EEEEENSH_IJSG_SG_SG_EEES9_SI_JZNS1_25segmented_radix_sort_implINS0_14default_configELb1EPKsPsPKlPlN2at6native12_GLOBAL__N_18offset_tEEE10hipError_tPvRmT1_PNSt15iterator_traitsIS12_E10value_typeET2_T3_PNS13_IS18_E10value_typeET4_jRbjT5_S1E_jjP12ihipStream_tbEUljE_ZNSN_ISO_Lb1ESQ_SR_ST_SU_SY_EESZ_S10_S11_S12_S16_S17_S18_S1B_S1C_jS1D_jS1E_S1E_jjS1G_bEUljE0_EEESZ_S10_S11_S18_S1C_S1E_T6_T7_T9_mT8_S1G_bDpT10_ENKUlT_T0_E_clISt17integral_constantIbLb1EES1U_EEDaS1P_S1Q_EUlS1P_E_NS1_11comp_targetILNS1_3genE3ELNS1_11target_archE908ELNS1_3gpuE7ELNS1_3repE0EEENS1_30default_config_static_selectorELNS0_4arch9wavefront6targetE0EEEvS12_.has_indirect_call, 0
	.section	.AMDGPU.csdata,"",@progbits
; Kernel info:
; codeLenInByte = 0
; TotalNumSgprs: 0
; NumVgprs: 0
; ScratchSize: 0
; MemoryBound: 0
; FloatMode: 240
; IeeeMode: 1
; LDSByteSize: 0 bytes/workgroup (compile time only)
; SGPRBlocks: 0
; VGPRBlocks: 0
; NumSGPRsForWavesPerEU: 1
; NumVGPRsForWavesPerEU: 1
; NamedBarCnt: 0
; Occupancy: 16
; WaveLimiterHint : 0
; COMPUTE_PGM_RSRC2:SCRATCH_EN: 0
; COMPUTE_PGM_RSRC2:USER_SGPR: 2
; COMPUTE_PGM_RSRC2:TRAP_HANDLER: 0
; COMPUTE_PGM_RSRC2:TGID_X_EN: 1
; COMPUTE_PGM_RSRC2:TGID_Y_EN: 0
; COMPUTE_PGM_RSRC2:TGID_Z_EN: 0
; COMPUTE_PGM_RSRC2:TIDIG_COMP_CNT: 0
	.section	.text._ZN7rocprim17ROCPRIM_400000_NS6detail17trampoline_kernelINS0_13select_configILj256ELj13ELNS0_17block_load_methodE3ELS4_3ELS4_3ELNS0_20block_scan_algorithmE0ELj4294967295EEENS1_25partition_config_selectorILNS1_17partition_subalgoE4EjNS0_10empty_typeEbEEZZNS1_14partition_implILS8_4ELb0ES6_15HIP_vector_typeIjLj2EENS0_17counting_iteratorIjlEEPS9_SG_NS0_5tupleIJPjSI_NS0_16reverse_iteratorISI_EEEEENSH_IJSG_SG_SG_EEES9_SI_JZNS1_25segmented_radix_sort_implINS0_14default_configELb1EPKsPsPKlPlN2at6native12_GLOBAL__N_18offset_tEEE10hipError_tPvRmT1_PNSt15iterator_traitsIS12_E10value_typeET2_T3_PNS13_IS18_E10value_typeET4_jRbjT5_S1E_jjP12ihipStream_tbEUljE_ZNSN_ISO_Lb1ESQ_SR_ST_SU_SY_EESZ_S10_S11_S12_S16_S17_S18_S1B_S1C_jS1D_jS1E_S1E_jjS1G_bEUljE0_EEESZ_S10_S11_S18_S1C_S1E_T6_T7_T9_mT8_S1G_bDpT10_ENKUlT_T0_E_clISt17integral_constantIbLb1EES1U_EEDaS1P_S1Q_EUlS1P_E_NS1_11comp_targetILNS1_3genE2ELNS1_11target_archE906ELNS1_3gpuE6ELNS1_3repE0EEENS1_30default_config_static_selectorELNS0_4arch9wavefront6targetE0EEEvS12_,"axG",@progbits,_ZN7rocprim17ROCPRIM_400000_NS6detail17trampoline_kernelINS0_13select_configILj256ELj13ELNS0_17block_load_methodE3ELS4_3ELS4_3ELNS0_20block_scan_algorithmE0ELj4294967295EEENS1_25partition_config_selectorILNS1_17partition_subalgoE4EjNS0_10empty_typeEbEEZZNS1_14partition_implILS8_4ELb0ES6_15HIP_vector_typeIjLj2EENS0_17counting_iteratorIjlEEPS9_SG_NS0_5tupleIJPjSI_NS0_16reverse_iteratorISI_EEEEENSH_IJSG_SG_SG_EEES9_SI_JZNS1_25segmented_radix_sort_implINS0_14default_configELb1EPKsPsPKlPlN2at6native12_GLOBAL__N_18offset_tEEE10hipError_tPvRmT1_PNSt15iterator_traitsIS12_E10value_typeET2_T3_PNS13_IS18_E10value_typeET4_jRbjT5_S1E_jjP12ihipStream_tbEUljE_ZNSN_ISO_Lb1ESQ_SR_ST_SU_SY_EESZ_S10_S11_S12_S16_S17_S18_S1B_S1C_jS1D_jS1E_S1E_jjS1G_bEUljE0_EEESZ_S10_S11_S18_S1C_S1E_T6_T7_T9_mT8_S1G_bDpT10_ENKUlT_T0_E_clISt17integral_constantIbLb1EES1U_EEDaS1P_S1Q_EUlS1P_E_NS1_11comp_targetILNS1_3genE2ELNS1_11target_archE906ELNS1_3gpuE6ELNS1_3repE0EEENS1_30default_config_static_selectorELNS0_4arch9wavefront6targetE0EEEvS12_,comdat
	.globl	_ZN7rocprim17ROCPRIM_400000_NS6detail17trampoline_kernelINS0_13select_configILj256ELj13ELNS0_17block_load_methodE3ELS4_3ELS4_3ELNS0_20block_scan_algorithmE0ELj4294967295EEENS1_25partition_config_selectorILNS1_17partition_subalgoE4EjNS0_10empty_typeEbEEZZNS1_14partition_implILS8_4ELb0ES6_15HIP_vector_typeIjLj2EENS0_17counting_iteratorIjlEEPS9_SG_NS0_5tupleIJPjSI_NS0_16reverse_iteratorISI_EEEEENSH_IJSG_SG_SG_EEES9_SI_JZNS1_25segmented_radix_sort_implINS0_14default_configELb1EPKsPsPKlPlN2at6native12_GLOBAL__N_18offset_tEEE10hipError_tPvRmT1_PNSt15iterator_traitsIS12_E10value_typeET2_T3_PNS13_IS18_E10value_typeET4_jRbjT5_S1E_jjP12ihipStream_tbEUljE_ZNSN_ISO_Lb1ESQ_SR_ST_SU_SY_EESZ_S10_S11_S12_S16_S17_S18_S1B_S1C_jS1D_jS1E_S1E_jjS1G_bEUljE0_EEESZ_S10_S11_S18_S1C_S1E_T6_T7_T9_mT8_S1G_bDpT10_ENKUlT_T0_E_clISt17integral_constantIbLb1EES1U_EEDaS1P_S1Q_EUlS1P_E_NS1_11comp_targetILNS1_3genE2ELNS1_11target_archE906ELNS1_3gpuE6ELNS1_3repE0EEENS1_30default_config_static_selectorELNS0_4arch9wavefront6targetE0EEEvS12_ ; -- Begin function _ZN7rocprim17ROCPRIM_400000_NS6detail17trampoline_kernelINS0_13select_configILj256ELj13ELNS0_17block_load_methodE3ELS4_3ELS4_3ELNS0_20block_scan_algorithmE0ELj4294967295EEENS1_25partition_config_selectorILNS1_17partition_subalgoE4EjNS0_10empty_typeEbEEZZNS1_14partition_implILS8_4ELb0ES6_15HIP_vector_typeIjLj2EENS0_17counting_iteratorIjlEEPS9_SG_NS0_5tupleIJPjSI_NS0_16reverse_iteratorISI_EEEEENSH_IJSG_SG_SG_EEES9_SI_JZNS1_25segmented_radix_sort_implINS0_14default_configELb1EPKsPsPKlPlN2at6native12_GLOBAL__N_18offset_tEEE10hipError_tPvRmT1_PNSt15iterator_traitsIS12_E10value_typeET2_T3_PNS13_IS18_E10value_typeET4_jRbjT5_S1E_jjP12ihipStream_tbEUljE_ZNSN_ISO_Lb1ESQ_SR_ST_SU_SY_EESZ_S10_S11_S12_S16_S17_S18_S1B_S1C_jS1D_jS1E_S1E_jjS1G_bEUljE0_EEESZ_S10_S11_S18_S1C_S1E_T6_T7_T9_mT8_S1G_bDpT10_ENKUlT_T0_E_clISt17integral_constantIbLb1EES1U_EEDaS1P_S1Q_EUlS1P_E_NS1_11comp_targetILNS1_3genE2ELNS1_11target_archE906ELNS1_3gpuE6ELNS1_3repE0EEENS1_30default_config_static_selectorELNS0_4arch9wavefront6targetE0EEEvS12_
	.p2align	8
	.type	_ZN7rocprim17ROCPRIM_400000_NS6detail17trampoline_kernelINS0_13select_configILj256ELj13ELNS0_17block_load_methodE3ELS4_3ELS4_3ELNS0_20block_scan_algorithmE0ELj4294967295EEENS1_25partition_config_selectorILNS1_17partition_subalgoE4EjNS0_10empty_typeEbEEZZNS1_14partition_implILS8_4ELb0ES6_15HIP_vector_typeIjLj2EENS0_17counting_iteratorIjlEEPS9_SG_NS0_5tupleIJPjSI_NS0_16reverse_iteratorISI_EEEEENSH_IJSG_SG_SG_EEES9_SI_JZNS1_25segmented_radix_sort_implINS0_14default_configELb1EPKsPsPKlPlN2at6native12_GLOBAL__N_18offset_tEEE10hipError_tPvRmT1_PNSt15iterator_traitsIS12_E10value_typeET2_T3_PNS13_IS18_E10value_typeET4_jRbjT5_S1E_jjP12ihipStream_tbEUljE_ZNSN_ISO_Lb1ESQ_SR_ST_SU_SY_EESZ_S10_S11_S12_S16_S17_S18_S1B_S1C_jS1D_jS1E_S1E_jjS1G_bEUljE0_EEESZ_S10_S11_S18_S1C_S1E_T6_T7_T9_mT8_S1G_bDpT10_ENKUlT_T0_E_clISt17integral_constantIbLb1EES1U_EEDaS1P_S1Q_EUlS1P_E_NS1_11comp_targetILNS1_3genE2ELNS1_11target_archE906ELNS1_3gpuE6ELNS1_3repE0EEENS1_30default_config_static_selectorELNS0_4arch9wavefront6targetE0EEEvS12_,@function
_ZN7rocprim17ROCPRIM_400000_NS6detail17trampoline_kernelINS0_13select_configILj256ELj13ELNS0_17block_load_methodE3ELS4_3ELS4_3ELNS0_20block_scan_algorithmE0ELj4294967295EEENS1_25partition_config_selectorILNS1_17partition_subalgoE4EjNS0_10empty_typeEbEEZZNS1_14partition_implILS8_4ELb0ES6_15HIP_vector_typeIjLj2EENS0_17counting_iteratorIjlEEPS9_SG_NS0_5tupleIJPjSI_NS0_16reverse_iteratorISI_EEEEENSH_IJSG_SG_SG_EEES9_SI_JZNS1_25segmented_radix_sort_implINS0_14default_configELb1EPKsPsPKlPlN2at6native12_GLOBAL__N_18offset_tEEE10hipError_tPvRmT1_PNSt15iterator_traitsIS12_E10value_typeET2_T3_PNS13_IS18_E10value_typeET4_jRbjT5_S1E_jjP12ihipStream_tbEUljE_ZNSN_ISO_Lb1ESQ_SR_ST_SU_SY_EESZ_S10_S11_S12_S16_S17_S18_S1B_S1C_jS1D_jS1E_S1E_jjS1G_bEUljE0_EEESZ_S10_S11_S18_S1C_S1E_T6_T7_T9_mT8_S1G_bDpT10_ENKUlT_T0_E_clISt17integral_constantIbLb1EES1U_EEDaS1P_S1Q_EUlS1P_E_NS1_11comp_targetILNS1_3genE2ELNS1_11target_archE906ELNS1_3gpuE6ELNS1_3repE0EEENS1_30default_config_static_selectorELNS0_4arch9wavefront6targetE0EEEvS12_: ; @_ZN7rocprim17ROCPRIM_400000_NS6detail17trampoline_kernelINS0_13select_configILj256ELj13ELNS0_17block_load_methodE3ELS4_3ELS4_3ELNS0_20block_scan_algorithmE0ELj4294967295EEENS1_25partition_config_selectorILNS1_17partition_subalgoE4EjNS0_10empty_typeEbEEZZNS1_14partition_implILS8_4ELb0ES6_15HIP_vector_typeIjLj2EENS0_17counting_iteratorIjlEEPS9_SG_NS0_5tupleIJPjSI_NS0_16reverse_iteratorISI_EEEEENSH_IJSG_SG_SG_EEES9_SI_JZNS1_25segmented_radix_sort_implINS0_14default_configELb1EPKsPsPKlPlN2at6native12_GLOBAL__N_18offset_tEEE10hipError_tPvRmT1_PNSt15iterator_traitsIS12_E10value_typeET2_T3_PNS13_IS18_E10value_typeET4_jRbjT5_S1E_jjP12ihipStream_tbEUljE_ZNSN_ISO_Lb1ESQ_SR_ST_SU_SY_EESZ_S10_S11_S12_S16_S17_S18_S1B_S1C_jS1D_jS1E_S1E_jjS1G_bEUljE0_EEESZ_S10_S11_S18_S1C_S1E_T6_T7_T9_mT8_S1G_bDpT10_ENKUlT_T0_E_clISt17integral_constantIbLb1EES1U_EEDaS1P_S1Q_EUlS1P_E_NS1_11comp_targetILNS1_3genE2ELNS1_11target_archE906ELNS1_3gpuE6ELNS1_3repE0EEENS1_30default_config_static_selectorELNS0_4arch9wavefront6targetE0EEEvS12_
; %bb.0:
	.section	.rodata,"a",@progbits
	.p2align	6, 0x0
	.amdhsa_kernel _ZN7rocprim17ROCPRIM_400000_NS6detail17trampoline_kernelINS0_13select_configILj256ELj13ELNS0_17block_load_methodE3ELS4_3ELS4_3ELNS0_20block_scan_algorithmE0ELj4294967295EEENS1_25partition_config_selectorILNS1_17partition_subalgoE4EjNS0_10empty_typeEbEEZZNS1_14partition_implILS8_4ELb0ES6_15HIP_vector_typeIjLj2EENS0_17counting_iteratorIjlEEPS9_SG_NS0_5tupleIJPjSI_NS0_16reverse_iteratorISI_EEEEENSH_IJSG_SG_SG_EEES9_SI_JZNS1_25segmented_radix_sort_implINS0_14default_configELb1EPKsPsPKlPlN2at6native12_GLOBAL__N_18offset_tEEE10hipError_tPvRmT1_PNSt15iterator_traitsIS12_E10value_typeET2_T3_PNS13_IS18_E10value_typeET4_jRbjT5_S1E_jjP12ihipStream_tbEUljE_ZNSN_ISO_Lb1ESQ_SR_ST_SU_SY_EESZ_S10_S11_S12_S16_S17_S18_S1B_S1C_jS1D_jS1E_S1E_jjS1G_bEUljE0_EEESZ_S10_S11_S18_S1C_S1E_T6_T7_T9_mT8_S1G_bDpT10_ENKUlT_T0_E_clISt17integral_constantIbLb1EES1U_EEDaS1P_S1Q_EUlS1P_E_NS1_11comp_targetILNS1_3genE2ELNS1_11target_archE906ELNS1_3gpuE6ELNS1_3repE0EEENS1_30default_config_static_selectorELNS0_4arch9wavefront6targetE0EEEvS12_
		.amdhsa_group_segment_fixed_size 0
		.amdhsa_private_segment_fixed_size 0
		.amdhsa_kernarg_size 184
		.amdhsa_user_sgpr_count 2
		.amdhsa_user_sgpr_dispatch_ptr 0
		.amdhsa_user_sgpr_queue_ptr 0
		.amdhsa_user_sgpr_kernarg_segment_ptr 1
		.amdhsa_user_sgpr_dispatch_id 0
		.amdhsa_user_sgpr_kernarg_preload_length 0
		.amdhsa_user_sgpr_kernarg_preload_offset 0
		.amdhsa_user_sgpr_private_segment_size 0
		.amdhsa_wavefront_size32 1
		.amdhsa_uses_dynamic_stack 0
		.amdhsa_enable_private_segment 0
		.amdhsa_system_sgpr_workgroup_id_x 1
		.amdhsa_system_sgpr_workgroup_id_y 0
		.amdhsa_system_sgpr_workgroup_id_z 0
		.amdhsa_system_sgpr_workgroup_info 0
		.amdhsa_system_vgpr_workitem_id 0
		.amdhsa_next_free_vgpr 1
		.amdhsa_next_free_sgpr 1
		.amdhsa_named_barrier_count 0
		.amdhsa_reserve_vcc 0
		.amdhsa_float_round_mode_32 0
		.amdhsa_float_round_mode_16_64 0
		.amdhsa_float_denorm_mode_32 3
		.amdhsa_float_denorm_mode_16_64 3
		.amdhsa_fp16_overflow 0
		.amdhsa_memory_ordered 1
		.amdhsa_forward_progress 1
		.amdhsa_inst_pref_size 0
		.amdhsa_round_robin_scheduling 0
		.amdhsa_exception_fp_ieee_invalid_op 0
		.amdhsa_exception_fp_denorm_src 0
		.amdhsa_exception_fp_ieee_div_zero 0
		.amdhsa_exception_fp_ieee_overflow 0
		.amdhsa_exception_fp_ieee_underflow 0
		.amdhsa_exception_fp_ieee_inexact 0
		.amdhsa_exception_int_div_zero 0
	.end_amdhsa_kernel
	.section	.text._ZN7rocprim17ROCPRIM_400000_NS6detail17trampoline_kernelINS0_13select_configILj256ELj13ELNS0_17block_load_methodE3ELS4_3ELS4_3ELNS0_20block_scan_algorithmE0ELj4294967295EEENS1_25partition_config_selectorILNS1_17partition_subalgoE4EjNS0_10empty_typeEbEEZZNS1_14partition_implILS8_4ELb0ES6_15HIP_vector_typeIjLj2EENS0_17counting_iteratorIjlEEPS9_SG_NS0_5tupleIJPjSI_NS0_16reverse_iteratorISI_EEEEENSH_IJSG_SG_SG_EEES9_SI_JZNS1_25segmented_radix_sort_implINS0_14default_configELb1EPKsPsPKlPlN2at6native12_GLOBAL__N_18offset_tEEE10hipError_tPvRmT1_PNSt15iterator_traitsIS12_E10value_typeET2_T3_PNS13_IS18_E10value_typeET4_jRbjT5_S1E_jjP12ihipStream_tbEUljE_ZNSN_ISO_Lb1ESQ_SR_ST_SU_SY_EESZ_S10_S11_S12_S16_S17_S18_S1B_S1C_jS1D_jS1E_S1E_jjS1G_bEUljE0_EEESZ_S10_S11_S18_S1C_S1E_T6_T7_T9_mT8_S1G_bDpT10_ENKUlT_T0_E_clISt17integral_constantIbLb1EES1U_EEDaS1P_S1Q_EUlS1P_E_NS1_11comp_targetILNS1_3genE2ELNS1_11target_archE906ELNS1_3gpuE6ELNS1_3repE0EEENS1_30default_config_static_selectorELNS0_4arch9wavefront6targetE0EEEvS12_,"axG",@progbits,_ZN7rocprim17ROCPRIM_400000_NS6detail17trampoline_kernelINS0_13select_configILj256ELj13ELNS0_17block_load_methodE3ELS4_3ELS4_3ELNS0_20block_scan_algorithmE0ELj4294967295EEENS1_25partition_config_selectorILNS1_17partition_subalgoE4EjNS0_10empty_typeEbEEZZNS1_14partition_implILS8_4ELb0ES6_15HIP_vector_typeIjLj2EENS0_17counting_iteratorIjlEEPS9_SG_NS0_5tupleIJPjSI_NS0_16reverse_iteratorISI_EEEEENSH_IJSG_SG_SG_EEES9_SI_JZNS1_25segmented_radix_sort_implINS0_14default_configELb1EPKsPsPKlPlN2at6native12_GLOBAL__N_18offset_tEEE10hipError_tPvRmT1_PNSt15iterator_traitsIS12_E10value_typeET2_T3_PNS13_IS18_E10value_typeET4_jRbjT5_S1E_jjP12ihipStream_tbEUljE_ZNSN_ISO_Lb1ESQ_SR_ST_SU_SY_EESZ_S10_S11_S12_S16_S17_S18_S1B_S1C_jS1D_jS1E_S1E_jjS1G_bEUljE0_EEESZ_S10_S11_S18_S1C_S1E_T6_T7_T9_mT8_S1G_bDpT10_ENKUlT_T0_E_clISt17integral_constantIbLb1EES1U_EEDaS1P_S1Q_EUlS1P_E_NS1_11comp_targetILNS1_3genE2ELNS1_11target_archE906ELNS1_3gpuE6ELNS1_3repE0EEENS1_30default_config_static_selectorELNS0_4arch9wavefront6targetE0EEEvS12_,comdat
.Lfunc_end855:
	.size	_ZN7rocprim17ROCPRIM_400000_NS6detail17trampoline_kernelINS0_13select_configILj256ELj13ELNS0_17block_load_methodE3ELS4_3ELS4_3ELNS0_20block_scan_algorithmE0ELj4294967295EEENS1_25partition_config_selectorILNS1_17partition_subalgoE4EjNS0_10empty_typeEbEEZZNS1_14partition_implILS8_4ELb0ES6_15HIP_vector_typeIjLj2EENS0_17counting_iteratorIjlEEPS9_SG_NS0_5tupleIJPjSI_NS0_16reverse_iteratorISI_EEEEENSH_IJSG_SG_SG_EEES9_SI_JZNS1_25segmented_radix_sort_implINS0_14default_configELb1EPKsPsPKlPlN2at6native12_GLOBAL__N_18offset_tEEE10hipError_tPvRmT1_PNSt15iterator_traitsIS12_E10value_typeET2_T3_PNS13_IS18_E10value_typeET4_jRbjT5_S1E_jjP12ihipStream_tbEUljE_ZNSN_ISO_Lb1ESQ_SR_ST_SU_SY_EESZ_S10_S11_S12_S16_S17_S18_S1B_S1C_jS1D_jS1E_S1E_jjS1G_bEUljE0_EEESZ_S10_S11_S18_S1C_S1E_T6_T7_T9_mT8_S1G_bDpT10_ENKUlT_T0_E_clISt17integral_constantIbLb1EES1U_EEDaS1P_S1Q_EUlS1P_E_NS1_11comp_targetILNS1_3genE2ELNS1_11target_archE906ELNS1_3gpuE6ELNS1_3repE0EEENS1_30default_config_static_selectorELNS0_4arch9wavefront6targetE0EEEvS12_, .Lfunc_end855-_ZN7rocprim17ROCPRIM_400000_NS6detail17trampoline_kernelINS0_13select_configILj256ELj13ELNS0_17block_load_methodE3ELS4_3ELS4_3ELNS0_20block_scan_algorithmE0ELj4294967295EEENS1_25partition_config_selectorILNS1_17partition_subalgoE4EjNS0_10empty_typeEbEEZZNS1_14partition_implILS8_4ELb0ES6_15HIP_vector_typeIjLj2EENS0_17counting_iteratorIjlEEPS9_SG_NS0_5tupleIJPjSI_NS0_16reverse_iteratorISI_EEEEENSH_IJSG_SG_SG_EEES9_SI_JZNS1_25segmented_radix_sort_implINS0_14default_configELb1EPKsPsPKlPlN2at6native12_GLOBAL__N_18offset_tEEE10hipError_tPvRmT1_PNSt15iterator_traitsIS12_E10value_typeET2_T3_PNS13_IS18_E10value_typeET4_jRbjT5_S1E_jjP12ihipStream_tbEUljE_ZNSN_ISO_Lb1ESQ_SR_ST_SU_SY_EESZ_S10_S11_S12_S16_S17_S18_S1B_S1C_jS1D_jS1E_S1E_jjS1G_bEUljE0_EEESZ_S10_S11_S18_S1C_S1E_T6_T7_T9_mT8_S1G_bDpT10_ENKUlT_T0_E_clISt17integral_constantIbLb1EES1U_EEDaS1P_S1Q_EUlS1P_E_NS1_11comp_targetILNS1_3genE2ELNS1_11target_archE906ELNS1_3gpuE6ELNS1_3repE0EEENS1_30default_config_static_selectorELNS0_4arch9wavefront6targetE0EEEvS12_
                                        ; -- End function
	.set _ZN7rocprim17ROCPRIM_400000_NS6detail17trampoline_kernelINS0_13select_configILj256ELj13ELNS0_17block_load_methodE3ELS4_3ELS4_3ELNS0_20block_scan_algorithmE0ELj4294967295EEENS1_25partition_config_selectorILNS1_17partition_subalgoE4EjNS0_10empty_typeEbEEZZNS1_14partition_implILS8_4ELb0ES6_15HIP_vector_typeIjLj2EENS0_17counting_iteratorIjlEEPS9_SG_NS0_5tupleIJPjSI_NS0_16reverse_iteratorISI_EEEEENSH_IJSG_SG_SG_EEES9_SI_JZNS1_25segmented_radix_sort_implINS0_14default_configELb1EPKsPsPKlPlN2at6native12_GLOBAL__N_18offset_tEEE10hipError_tPvRmT1_PNSt15iterator_traitsIS12_E10value_typeET2_T3_PNS13_IS18_E10value_typeET4_jRbjT5_S1E_jjP12ihipStream_tbEUljE_ZNSN_ISO_Lb1ESQ_SR_ST_SU_SY_EESZ_S10_S11_S12_S16_S17_S18_S1B_S1C_jS1D_jS1E_S1E_jjS1G_bEUljE0_EEESZ_S10_S11_S18_S1C_S1E_T6_T7_T9_mT8_S1G_bDpT10_ENKUlT_T0_E_clISt17integral_constantIbLb1EES1U_EEDaS1P_S1Q_EUlS1P_E_NS1_11comp_targetILNS1_3genE2ELNS1_11target_archE906ELNS1_3gpuE6ELNS1_3repE0EEENS1_30default_config_static_selectorELNS0_4arch9wavefront6targetE0EEEvS12_.num_vgpr, 0
	.set _ZN7rocprim17ROCPRIM_400000_NS6detail17trampoline_kernelINS0_13select_configILj256ELj13ELNS0_17block_load_methodE3ELS4_3ELS4_3ELNS0_20block_scan_algorithmE0ELj4294967295EEENS1_25partition_config_selectorILNS1_17partition_subalgoE4EjNS0_10empty_typeEbEEZZNS1_14partition_implILS8_4ELb0ES6_15HIP_vector_typeIjLj2EENS0_17counting_iteratorIjlEEPS9_SG_NS0_5tupleIJPjSI_NS0_16reverse_iteratorISI_EEEEENSH_IJSG_SG_SG_EEES9_SI_JZNS1_25segmented_radix_sort_implINS0_14default_configELb1EPKsPsPKlPlN2at6native12_GLOBAL__N_18offset_tEEE10hipError_tPvRmT1_PNSt15iterator_traitsIS12_E10value_typeET2_T3_PNS13_IS18_E10value_typeET4_jRbjT5_S1E_jjP12ihipStream_tbEUljE_ZNSN_ISO_Lb1ESQ_SR_ST_SU_SY_EESZ_S10_S11_S12_S16_S17_S18_S1B_S1C_jS1D_jS1E_S1E_jjS1G_bEUljE0_EEESZ_S10_S11_S18_S1C_S1E_T6_T7_T9_mT8_S1G_bDpT10_ENKUlT_T0_E_clISt17integral_constantIbLb1EES1U_EEDaS1P_S1Q_EUlS1P_E_NS1_11comp_targetILNS1_3genE2ELNS1_11target_archE906ELNS1_3gpuE6ELNS1_3repE0EEENS1_30default_config_static_selectorELNS0_4arch9wavefront6targetE0EEEvS12_.num_agpr, 0
	.set _ZN7rocprim17ROCPRIM_400000_NS6detail17trampoline_kernelINS0_13select_configILj256ELj13ELNS0_17block_load_methodE3ELS4_3ELS4_3ELNS0_20block_scan_algorithmE0ELj4294967295EEENS1_25partition_config_selectorILNS1_17partition_subalgoE4EjNS0_10empty_typeEbEEZZNS1_14partition_implILS8_4ELb0ES6_15HIP_vector_typeIjLj2EENS0_17counting_iteratorIjlEEPS9_SG_NS0_5tupleIJPjSI_NS0_16reverse_iteratorISI_EEEEENSH_IJSG_SG_SG_EEES9_SI_JZNS1_25segmented_radix_sort_implINS0_14default_configELb1EPKsPsPKlPlN2at6native12_GLOBAL__N_18offset_tEEE10hipError_tPvRmT1_PNSt15iterator_traitsIS12_E10value_typeET2_T3_PNS13_IS18_E10value_typeET4_jRbjT5_S1E_jjP12ihipStream_tbEUljE_ZNSN_ISO_Lb1ESQ_SR_ST_SU_SY_EESZ_S10_S11_S12_S16_S17_S18_S1B_S1C_jS1D_jS1E_S1E_jjS1G_bEUljE0_EEESZ_S10_S11_S18_S1C_S1E_T6_T7_T9_mT8_S1G_bDpT10_ENKUlT_T0_E_clISt17integral_constantIbLb1EES1U_EEDaS1P_S1Q_EUlS1P_E_NS1_11comp_targetILNS1_3genE2ELNS1_11target_archE906ELNS1_3gpuE6ELNS1_3repE0EEENS1_30default_config_static_selectorELNS0_4arch9wavefront6targetE0EEEvS12_.numbered_sgpr, 0
	.set _ZN7rocprim17ROCPRIM_400000_NS6detail17trampoline_kernelINS0_13select_configILj256ELj13ELNS0_17block_load_methodE3ELS4_3ELS4_3ELNS0_20block_scan_algorithmE0ELj4294967295EEENS1_25partition_config_selectorILNS1_17partition_subalgoE4EjNS0_10empty_typeEbEEZZNS1_14partition_implILS8_4ELb0ES6_15HIP_vector_typeIjLj2EENS0_17counting_iteratorIjlEEPS9_SG_NS0_5tupleIJPjSI_NS0_16reverse_iteratorISI_EEEEENSH_IJSG_SG_SG_EEES9_SI_JZNS1_25segmented_radix_sort_implINS0_14default_configELb1EPKsPsPKlPlN2at6native12_GLOBAL__N_18offset_tEEE10hipError_tPvRmT1_PNSt15iterator_traitsIS12_E10value_typeET2_T3_PNS13_IS18_E10value_typeET4_jRbjT5_S1E_jjP12ihipStream_tbEUljE_ZNSN_ISO_Lb1ESQ_SR_ST_SU_SY_EESZ_S10_S11_S12_S16_S17_S18_S1B_S1C_jS1D_jS1E_S1E_jjS1G_bEUljE0_EEESZ_S10_S11_S18_S1C_S1E_T6_T7_T9_mT8_S1G_bDpT10_ENKUlT_T0_E_clISt17integral_constantIbLb1EES1U_EEDaS1P_S1Q_EUlS1P_E_NS1_11comp_targetILNS1_3genE2ELNS1_11target_archE906ELNS1_3gpuE6ELNS1_3repE0EEENS1_30default_config_static_selectorELNS0_4arch9wavefront6targetE0EEEvS12_.num_named_barrier, 0
	.set _ZN7rocprim17ROCPRIM_400000_NS6detail17trampoline_kernelINS0_13select_configILj256ELj13ELNS0_17block_load_methodE3ELS4_3ELS4_3ELNS0_20block_scan_algorithmE0ELj4294967295EEENS1_25partition_config_selectorILNS1_17partition_subalgoE4EjNS0_10empty_typeEbEEZZNS1_14partition_implILS8_4ELb0ES6_15HIP_vector_typeIjLj2EENS0_17counting_iteratorIjlEEPS9_SG_NS0_5tupleIJPjSI_NS0_16reverse_iteratorISI_EEEEENSH_IJSG_SG_SG_EEES9_SI_JZNS1_25segmented_radix_sort_implINS0_14default_configELb1EPKsPsPKlPlN2at6native12_GLOBAL__N_18offset_tEEE10hipError_tPvRmT1_PNSt15iterator_traitsIS12_E10value_typeET2_T3_PNS13_IS18_E10value_typeET4_jRbjT5_S1E_jjP12ihipStream_tbEUljE_ZNSN_ISO_Lb1ESQ_SR_ST_SU_SY_EESZ_S10_S11_S12_S16_S17_S18_S1B_S1C_jS1D_jS1E_S1E_jjS1G_bEUljE0_EEESZ_S10_S11_S18_S1C_S1E_T6_T7_T9_mT8_S1G_bDpT10_ENKUlT_T0_E_clISt17integral_constantIbLb1EES1U_EEDaS1P_S1Q_EUlS1P_E_NS1_11comp_targetILNS1_3genE2ELNS1_11target_archE906ELNS1_3gpuE6ELNS1_3repE0EEENS1_30default_config_static_selectorELNS0_4arch9wavefront6targetE0EEEvS12_.private_seg_size, 0
	.set _ZN7rocprim17ROCPRIM_400000_NS6detail17trampoline_kernelINS0_13select_configILj256ELj13ELNS0_17block_load_methodE3ELS4_3ELS4_3ELNS0_20block_scan_algorithmE0ELj4294967295EEENS1_25partition_config_selectorILNS1_17partition_subalgoE4EjNS0_10empty_typeEbEEZZNS1_14partition_implILS8_4ELb0ES6_15HIP_vector_typeIjLj2EENS0_17counting_iteratorIjlEEPS9_SG_NS0_5tupleIJPjSI_NS0_16reverse_iteratorISI_EEEEENSH_IJSG_SG_SG_EEES9_SI_JZNS1_25segmented_radix_sort_implINS0_14default_configELb1EPKsPsPKlPlN2at6native12_GLOBAL__N_18offset_tEEE10hipError_tPvRmT1_PNSt15iterator_traitsIS12_E10value_typeET2_T3_PNS13_IS18_E10value_typeET4_jRbjT5_S1E_jjP12ihipStream_tbEUljE_ZNSN_ISO_Lb1ESQ_SR_ST_SU_SY_EESZ_S10_S11_S12_S16_S17_S18_S1B_S1C_jS1D_jS1E_S1E_jjS1G_bEUljE0_EEESZ_S10_S11_S18_S1C_S1E_T6_T7_T9_mT8_S1G_bDpT10_ENKUlT_T0_E_clISt17integral_constantIbLb1EES1U_EEDaS1P_S1Q_EUlS1P_E_NS1_11comp_targetILNS1_3genE2ELNS1_11target_archE906ELNS1_3gpuE6ELNS1_3repE0EEENS1_30default_config_static_selectorELNS0_4arch9wavefront6targetE0EEEvS12_.uses_vcc, 0
	.set _ZN7rocprim17ROCPRIM_400000_NS6detail17trampoline_kernelINS0_13select_configILj256ELj13ELNS0_17block_load_methodE3ELS4_3ELS4_3ELNS0_20block_scan_algorithmE0ELj4294967295EEENS1_25partition_config_selectorILNS1_17partition_subalgoE4EjNS0_10empty_typeEbEEZZNS1_14partition_implILS8_4ELb0ES6_15HIP_vector_typeIjLj2EENS0_17counting_iteratorIjlEEPS9_SG_NS0_5tupleIJPjSI_NS0_16reverse_iteratorISI_EEEEENSH_IJSG_SG_SG_EEES9_SI_JZNS1_25segmented_radix_sort_implINS0_14default_configELb1EPKsPsPKlPlN2at6native12_GLOBAL__N_18offset_tEEE10hipError_tPvRmT1_PNSt15iterator_traitsIS12_E10value_typeET2_T3_PNS13_IS18_E10value_typeET4_jRbjT5_S1E_jjP12ihipStream_tbEUljE_ZNSN_ISO_Lb1ESQ_SR_ST_SU_SY_EESZ_S10_S11_S12_S16_S17_S18_S1B_S1C_jS1D_jS1E_S1E_jjS1G_bEUljE0_EEESZ_S10_S11_S18_S1C_S1E_T6_T7_T9_mT8_S1G_bDpT10_ENKUlT_T0_E_clISt17integral_constantIbLb1EES1U_EEDaS1P_S1Q_EUlS1P_E_NS1_11comp_targetILNS1_3genE2ELNS1_11target_archE906ELNS1_3gpuE6ELNS1_3repE0EEENS1_30default_config_static_selectorELNS0_4arch9wavefront6targetE0EEEvS12_.uses_flat_scratch, 0
	.set _ZN7rocprim17ROCPRIM_400000_NS6detail17trampoline_kernelINS0_13select_configILj256ELj13ELNS0_17block_load_methodE3ELS4_3ELS4_3ELNS0_20block_scan_algorithmE0ELj4294967295EEENS1_25partition_config_selectorILNS1_17partition_subalgoE4EjNS0_10empty_typeEbEEZZNS1_14partition_implILS8_4ELb0ES6_15HIP_vector_typeIjLj2EENS0_17counting_iteratorIjlEEPS9_SG_NS0_5tupleIJPjSI_NS0_16reverse_iteratorISI_EEEEENSH_IJSG_SG_SG_EEES9_SI_JZNS1_25segmented_radix_sort_implINS0_14default_configELb1EPKsPsPKlPlN2at6native12_GLOBAL__N_18offset_tEEE10hipError_tPvRmT1_PNSt15iterator_traitsIS12_E10value_typeET2_T3_PNS13_IS18_E10value_typeET4_jRbjT5_S1E_jjP12ihipStream_tbEUljE_ZNSN_ISO_Lb1ESQ_SR_ST_SU_SY_EESZ_S10_S11_S12_S16_S17_S18_S1B_S1C_jS1D_jS1E_S1E_jjS1G_bEUljE0_EEESZ_S10_S11_S18_S1C_S1E_T6_T7_T9_mT8_S1G_bDpT10_ENKUlT_T0_E_clISt17integral_constantIbLb1EES1U_EEDaS1P_S1Q_EUlS1P_E_NS1_11comp_targetILNS1_3genE2ELNS1_11target_archE906ELNS1_3gpuE6ELNS1_3repE0EEENS1_30default_config_static_selectorELNS0_4arch9wavefront6targetE0EEEvS12_.has_dyn_sized_stack, 0
	.set _ZN7rocprim17ROCPRIM_400000_NS6detail17trampoline_kernelINS0_13select_configILj256ELj13ELNS0_17block_load_methodE3ELS4_3ELS4_3ELNS0_20block_scan_algorithmE0ELj4294967295EEENS1_25partition_config_selectorILNS1_17partition_subalgoE4EjNS0_10empty_typeEbEEZZNS1_14partition_implILS8_4ELb0ES6_15HIP_vector_typeIjLj2EENS0_17counting_iteratorIjlEEPS9_SG_NS0_5tupleIJPjSI_NS0_16reverse_iteratorISI_EEEEENSH_IJSG_SG_SG_EEES9_SI_JZNS1_25segmented_radix_sort_implINS0_14default_configELb1EPKsPsPKlPlN2at6native12_GLOBAL__N_18offset_tEEE10hipError_tPvRmT1_PNSt15iterator_traitsIS12_E10value_typeET2_T3_PNS13_IS18_E10value_typeET4_jRbjT5_S1E_jjP12ihipStream_tbEUljE_ZNSN_ISO_Lb1ESQ_SR_ST_SU_SY_EESZ_S10_S11_S12_S16_S17_S18_S1B_S1C_jS1D_jS1E_S1E_jjS1G_bEUljE0_EEESZ_S10_S11_S18_S1C_S1E_T6_T7_T9_mT8_S1G_bDpT10_ENKUlT_T0_E_clISt17integral_constantIbLb1EES1U_EEDaS1P_S1Q_EUlS1P_E_NS1_11comp_targetILNS1_3genE2ELNS1_11target_archE906ELNS1_3gpuE6ELNS1_3repE0EEENS1_30default_config_static_selectorELNS0_4arch9wavefront6targetE0EEEvS12_.has_recursion, 0
	.set _ZN7rocprim17ROCPRIM_400000_NS6detail17trampoline_kernelINS0_13select_configILj256ELj13ELNS0_17block_load_methodE3ELS4_3ELS4_3ELNS0_20block_scan_algorithmE0ELj4294967295EEENS1_25partition_config_selectorILNS1_17partition_subalgoE4EjNS0_10empty_typeEbEEZZNS1_14partition_implILS8_4ELb0ES6_15HIP_vector_typeIjLj2EENS0_17counting_iteratorIjlEEPS9_SG_NS0_5tupleIJPjSI_NS0_16reverse_iteratorISI_EEEEENSH_IJSG_SG_SG_EEES9_SI_JZNS1_25segmented_radix_sort_implINS0_14default_configELb1EPKsPsPKlPlN2at6native12_GLOBAL__N_18offset_tEEE10hipError_tPvRmT1_PNSt15iterator_traitsIS12_E10value_typeET2_T3_PNS13_IS18_E10value_typeET4_jRbjT5_S1E_jjP12ihipStream_tbEUljE_ZNSN_ISO_Lb1ESQ_SR_ST_SU_SY_EESZ_S10_S11_S12_S16_S17_S18_S1B_S1C_jS1D_jS1E_S1E_jjS1G_bEUljE0_EEESZ_S10_S11_S18_S1C_S1E_T6_T7_T9_mT8_S1G_bDpT10_ENKUlT_T0_E_clISt17integral_constantIbLb1EES1U_EEDaS1P_S1Q_EUlS1P_E_NS1_11comp_targetILNS1_3genE2ELNS1_11target_archE906ELNS1_3gpuE6ELNS1_3repE0EEENS1_30default_config_static_selectorELNS0_4arch9wavefront6targetE0EEEvS12_.has_indirect_call, 0
	.section	.AMDGPU.csdata,"",@progbits
; Kernel info:
; codeLenInByte = 0
; TotalNumSgprs: 0
; NumVgprs: 0
; ScratchSize: 0
; MemoryBound: 0
; FloatMode: 240
; IeeeMode: 1
; LDSByteSize: 0 bytes/workgroup (compile time only)
; SGPRBlocks: 0
; VGPRBlocks: 0
; NumSGPRsForWavesPerEU: 1
; NumVGPRsForWavesPerEU: 1
; NamedBarCnt: 0
; Occupancy: 16
; WaveLimiterHint : 0
; COMPUTE_PGM_RSRC2:SCRATCH_EN: 0
; COMPUTE_PGM_RSRC2:USER_SGPR: 2
; COMPUTE_PGM_RSRC2:TRAP_HANDLER: 0
; COMPUTE_PGM_RSRC2:TGID_X_EN: 1
; COMPUTE_PGM_RSRC2:TGID_Y_EN: 0
; COMPUTE_PGM_RSRC2:TGID_Z_EN: 0
; COMPUTE_PGM_RSRC2:TIDIG_COMP_CNT: 0
	.section	.text._ZN7rocprim17ROCPRIM_400000_NS6detail17trampoline_kernelINS0_13select_configILj256ELj13ELNS0_17block_load_methodE3ELS4_3ELS4_3ELNS0_20block_scan_algorithmE0ELj4294967295EEENS1_25partition_config_selectorILNS1_17partition_subalgoE4EjNS0_10empty_typeEbEEZZNS1_14partition_implILS8_4ELb0ES6_15HIP_vector_typeIjLj2EENS0_17counting_iteratorIjlEEPS9_SG_NS0_5tupleIJPjSI_NS0_16reverse_iteratorISI_EEEEENSH_IJSG_SG_SG_EEES9_SI_JZNS1_25segmented_radix_sort_implINS0_14default_configELb1EPKsPsPKlPlN2at6native12_GLOBAL__N_18offset_tEEE10hipError_tPvRmT1_PNSt15iterator_traitsIS12_E10value_typeET2_T3_PNS13_IS18_E10value_typeET4_jRbjT5_S1E_jjP12ihipStream_tbEUljE_ZNSN_ISO_Lb1ESQ_SR_ST_SU_SY_EESZ_S10_S11_S12_S16_S17_S18_S1B_S1C_jS1D_jS1E_S1E_jjS1G_bEUljE0_EEESZ_S10_S11_S18_S1C_S1E_T6_T7_T9_mT8_S1G_bDpT10_ENKUlT_T0_E_clISt17integral_constantIbLb1EES1U_EEDaS1P_S1Q_EUlS1P_E_NS1_11comp_targetILNS1_3genE10ELNS1_11target_archE1200ELNS1_3gpuE4ELNS1_3repE0EEENS1_30default_config_static_selectorELNS0_4arch9wavefront6targetE0EEEvS12_,"axG",@progbits,_ZN7rocprim17ROCPRIM_400000_NS6detail17trampoline_kernelINS0_13select_configILj256ELj13ELNS0_17block_load_methodE3ELS4_3ELS4_3ELNS0_20block_scan_algorithmE0ELj4294967295EEENS1_25partition_config_selectorILNS1_17partition_subalgoE4EjNS0_10empty_typeEbEEZZNS1_14partition_implILS8_4ELb0ES6_15HIP_vector_typeIjLj2EENS0_17counting_iteratorIjlEEPS9_SG_NS0_5tupleIJPjSI_NS0_16reverse_iteratorISI_EEEEENSH_IJSG_SG_SG_EEES9_SI_JZNS1_25segmented_radix_sort_implINS0_14default_configELb1EPKsPsPKlPlN2at6native12_GLOBAL__N_18offset_tEEE10hipError_tPvRmT1_PNSt15iterator_traitsIS12_E10value_typeET2_T3_PNS13_IS18_E10value_typeET4_jRbjT5_S1E_jjP12ihipStream_tbEUljE_ZNSN_ISO_Lb1ESQ_SR_ST_SU_SY_EESZ_S10_S11_S12_S16_S17_S18_S1B_S1C_jS1D_jS1E_S1E_jjS1G_bEUljE0_EEESZ_S10_S11_S18_S1C_S1E_T6_T7_T9_mT8_S1G_bDpT10_ENKUlT_T0_E_clISt17integral_constantIbLb1EES1U_EEDaS1P_S1Q_EUlS1P_E_NS1_11comp_targetILNS1_3genE10ELNS1_11target_archE1200ELNS1_3gpuE4ELNS1_3repE0EEENS1_30default_config_static_selectorELNS0_4arch9wavefront6targetE0EEEvS12_,comdat
	.globl	_ZN7rocprim17ROCPRIM_400000_NS6detail17trampoline_kernelINS0_13select_configILj256ELj13ELNS0_17block_load_methodE3ELS4_3ELS4_3ELNS0_20block_scan_algorithmE0ELj4294967295EEENS1_25partition_config_selectorILNS1_17partition_subalgoE4EjNS0_10empty_typeEbEEZZNS1_14partition_implILS8_4ELb0ES6_15HIP_vector_typeIjLj2EENS0_17counting_iteratorIjlEEPS9_SG_NS0_5tupleIJPjSI_NS0_16reverse_iteratorISI_EEEEENSH_IJSG_SG_SG_EEES9_SI_JZNS1_25segmented_radix_sort_implINS0_14default_configELb1EPKsPsPKlPlN2at6native12_GLOBAL__N_18offset_tEEE10hipError_tPvRmT1_PNSt15iterator_traitsIS12_E10value_typeET2_T3_PNS13_IS18_E10value_typeET4_jRbjT5_S1E_jjP12ihipStream_tbEUljE_ZNSN_ISO_Lb1ESQ_SR_ST_SU_SY_EESZ_S10_S11_S12_S16_S17_S18_S1B_S1C_jS1D_jS1E_S1E_jjS1G_bEUljE0_EEESZ_S10_S11_S18_S1C_S1E_T6_T7_T9_mT8_S1G_bDpT10_ENKUlT_T0_E_clISt17integral_constantIbLb1EES1U_EEDaS1P_S1Q_EUlS1P_E_NS1_11comp_targetILNS1_3genE10ELNS1_11target_archE1200ELNS1_3gpuE4ELNS1_3repE0EEENS1_30default_config_static_selectorELNS0_4arch9wavefront6targetE0EEEvS12_ ; -- Begin function _ZN7rocprim17ROCPRIM_400000_NS6detail17trampoline_kernelINS0_13select_configILj256ELj13ELNS0_17block_load_methodE3ELS4_3ELS4_3ELNS0_20block_scan_algorithmE0ELj4294967295EEENS1_25partition_config_selectorILNS1_17partition_subalgoE4EjNS0_10empty_typeEbEEZZNS1_14partition_implILS8_4ELb0ES6_15HIP_vector_typeIjLj2EENS0_17counting_iteratorIjlEEPS9_SG_NS0_5tupleIJPjSI_NS0_16reverse_iteratorISI_EEEEENSH_IJSG_SG_SG_EEES9_SI_JZNS1_25segmented_radix_sort_implINS0_14default_configELb1EPKsPsPKlPlN2at6native12_GLOBAL__N_18offset_tEEE10hipError_tPvRmT1_PNSt15iterator_traitsIS12_E10value_typeET2_T3_PNS13_IS18_E10value_typeET4_jRbjT5_S1E_jjP12ihipStream_tbEUljE_ZNSN_ISO_Lb1ESQ_SR_ST_SU_SY_EESZ_S10_S11_S12_S16_S17_S18_S1B_S1C_jS1D_jS1E_S1E_jjS1G_bEUljE0_EEESZ_S10_S11_S18_S1C_S1E_T6_T7_T9_mT8_S1G_bDpT10_ENKUlT_T0_E_clISt17integral_constantIbLb1EES1U_EEDaS1P_S1Q_EUlS1P_E_NS1_11comp_targetILNS1_3genE10ELNS1_11target_archE1200ELNS1_3gpuE4ELNS1_3repE0EEENS1_30default_config_static_selectorELNS0_4arch9wavefront6targetE0EEEvS12_
	.p2align	8
	.type	_ZN7rocprim17ROCPRIM_400000_NS6detail17trampoline_kernelINS0_13select_configILj256ELj13ELNS0_17block_load_methodE3ELS4_3ELS4_3ELNS0_20block_scan_algorithmE0ELj4294967295EEENS1_25partition_config_selectorILNS1_17partition_subalgoE4EjNS0_10empty_typeEbEEZZNS1_14partition_implILS8_4ELb0ES6_15HIP_vector_typeIjLj2EENS0_17counting_iteratorIjlEEPS9_SG_NS0_5tupleIJPjSI_NS0_16reverse_iteratorISI_EEEEENSH_IJSG_SG_SG_EEES9_SI_JZNS1_25segmented_radix_sort_implINS0_14default_configELb1EPKsPsPKlPlN2at6native12_GLOBAL__N_18offset_tEEE10hipError_tPvRmT1_PNSt15iterator_traitsIS12_E10value_typeET2_T3_PNS13_IS18_E10value_typeET4_jRbjT5_S1E_jjP12ihipStream_tbEUljE_ZNSN_ISO_Lb1ESQ_SR_ST_SU_SY_EESZ_S10_S11_S12_S16_S17_S18_S1B_S1C_jS1D_jS1E_S1E_jjS1G_bEUljE0_EEESZ_S10_S11_S18_S1C_S1E_T6_T7_T9_mT8_S1G_bDpT10_ENKUlT_T0_E_clISt17integral_constantIbLb1EES1U_EEDaS1P_S1Q_EUlS1P_E_NS1_11comp_targetILNS1_3genE10ELNS1_11target_archE1200ELNS1_3gpuE4ELNS1_3repE0EEENS1_30default_config_static_selectorELNS0_4arch9wavefront6targetE0EEEvS12_,@function
_ZN7rocprim17ROCPRIM_400000_NS6detail17trampoline_kernelINS0_13select_configILj256ELj13ELNS0_17block_load_methodE3ELS4_3ELS4_3ELNS0_20block_scan_algorithmE0ELj4294967295EEENS1_25partition_config_selectorILNS1_17partition_subalgoE4EjNS0_10empty_typeEbEEZZNS1_14partition_implILS8_4ELb0ES6_15HIP_vector_typeIjLj2EENS0_17counting_iteratorIjlEEPS9_SG_NS0_5tupleIJPjSI_NS0_16reverse_iteratorISI_EEEEENSH_IJSG_SG_SG_EEES9_SI_JZNS1_25segmented_radix_sort_implINS0_14default_configELb1EPKsPsPKlPlN2at6native12_GLOBAL__N_18offset_tEEE10hipError_tPvRmT1_PNSt15iterator_traitsIS12_E10value_typeET2_T3_PNS13_IS18_E10value_typeET4_jRbjT5_S1E_jjP12ihipStream_tbEUljE_ZNSN_ISO_Lb1ESQ_SR_ST_SU_SY_EESZ_S10_S11_S12_S16_S17_S18_S1B_S1C_jS1D_jS1E_S1E_jjS1G_bEUljE0_EEESZ_S10_S11_S18_S1C_S1E_T6_T7_T9_mT8_S1G_bDpT10_ENKUlT_T0_E_clISt17integral_constantIbLb1EES1U_EEDaS1P_S1Q_EUlS1P_E_NS1_11comp_targetILNS1_3genE10ELNS1_11target_archE1200ELNS1_3gpuE4ELNS1_3repE0EEENS1_30default_config_static_selectorELNS0_4arch9wavefront6targetE0EEEvS12_: ; @_ZN7rocprim17ROCPRIM_400000_NS6detail17trampoline_kernelINS0_13select_configILj256ELj13ELNS0_17block_load_methodE3ELS4_3ELS4_3ELNS0_20block_scan_algorithmE0ELj4294967295EEENS1_25partition_config_selectorILNS1_17partition_subalgoE4EjNS0_10empty_typeEbEEZZNS1_14partition_implILS8_4ELb0ES6_15HIP_vector_typeIjLj2EENS0_17counting_iteratorIjlEEPS9_SG_NS0_5tupleIJPjSI_NS0_16reverse_iteratorISI_EEEEENSH_IJSG_SG_SG_EEES9_SI_JZNS1_25segmented_radix_sort_implINS0_14default_configELb1EPKsPsPKlPlN2at6native12_GLOBAL__N_18offset_tEEE10hipError_tPvRmT1_PNSt15iterator_traitsIS12_E10value_typeET2_T3_PNS13_IS18_E10value_typeET4_jRbjT5_S1E_jjP12ihipStream_tbEUljE_ZNSN_ISO_Lb1ESQ_SR_ST_SU_SY_EESZ_S10_S11_S12_S16_S17_S18_S1B_S1C_jS1D_jS1E_S1E_jjS1G_bEUljE0_EEESZ_S10_S11_S18_S1C_S1E_T6_T7_T9_mT8_S1G_bDpT10_ENKUlT_T0_E_clISt17integral_constantIbLb1EES1U_EEDaS1P_S1Q_EUlS1P_E_NS1_11comp_targetILNS1_3genE10ELNS1_11target_archE1200ELNS1_3gpuE4ELNS1_3repE0EEENS1_30default_config_static_selectorELNS0_4arch9wavefront6targetE0EEEvS12_
; %bb.0:
	.section	.rodata,"a",@progbits
	.p2align	6, 0x0
	.amdhsa_kernel _ZN7rocprim17ROCPRIM_400000_NS6detail17trampoline_kernelINS0_13select_configILj256ELj13ELNS0_17block_load_methodE3ELS4_3ELS4_3ELNS0_20block_scan_algorithmE0ELj4294967295EEENS1_25partition_config_selectorILNS1_17partition_subalgoE4EjNS0_10empty_typeEbEEZZNS1_14partition_implILS8_4ELb0ES6_15HIP_vector_typeIjLj2EENS0_17counting_iteratorIjlEEPS9_SG_NS0_5tupleIJPjSI_NS0_16reverse_iteratorISI_EEEEENSH_IJSG_SG_SG_EEES9_SI_JZNS1_25segmented_radix_sort_implINS0_14default_configELb1EPKsPsPKlPlN2at6native12_GLOBAL__N_18offset_tEEE10hipError_tPvRmT1_PNSt15iterator_traitsIS12_E10value_typeET2_T3_PNS13_IS18_E10value_typeET4_jRbjT5_S1E_jjP12ihipStream_tbEUljE_ZNSN_ISO_Lb1ESQ_SR_ST_SU_SY_EESZ_S10_S11_S12_S16_S17_S18_S1B_S1C_jS1D_jS1E_S1E_jjS1G_bEUljE0_EEESZ_S10_S11_S18_S1C_S1E_T6_T7_T9_mT8_S1G_bDpT10_ENKUlT_T0_E_clISt17integral_constantIbLb1EES1U_EEDaS1P_S1Q_EUlS1P_E_NS1_11comp_targetILNS1_3genE10ELNS1_11target_archE1200ELNS1_3gpuE4ELNS1_3repE0EEENS1_30default_config_static_selectorELNS0_4arch9wavefront6targetE0EEEvS12_
		.amdhsa_group_segment_fixed_size 0
		.amdhsa_private_segment_fixed_size 0
		.amdhsa_kernarg_size 184
		.amdhsa_user_sgpr_count 2
		.amdhsa_user_sgpr_dispatch_ptr 0
		.amdhsa_user_sgpr_queue_ptr 0
		.amdhsa_user_sgpr_kernarg_segment_ptr 1
		.amdhsa_user_sgpr_dispatch_id 0
		.amdhsa_user_sgpr_kernarg_preload_length 0
		.amdhsa_user_sgpr_kernarg_preload_offset 0
		.amdhsa_user_sgpr_private_segment_size 0
		.amdhsa_wavefront_size32 1
		.amdhsa_uses_dynamic_stack 0
		.amdhsa_enable_private_segment 0
		.amdhsa_system_sgpr_workgroup_id_x 1
		.amdhsa_system_sgpr_workgroup_id_y 0
		.amdhsa_system_sgpr_workgroup_id_z 0
		.amdhsa_system_sgpr_workgroup_info 0
		.amdhsa_system_vgpr_workitem_id 0
		.amdhsa_next_free_vgpr 1
		.amdhsa_next_free_sgpr 1
		.amdhsa_named_barrier_count 0
		.amdhsa_reserve_vcc 0
		.amdhsa_float_round_mode_32 0
		.amdhsa_float_round_mode_16_64 0
		.amdhsa_float_denorm_mode_32 3
		.amdhsa_float_denorm_mode_16_64 3
		.amdhsa_fp16_overflow 0
		.amdhsa_memory_ordered 1
		.amdhsa_forward_progress 1
		.amdhsa_inst_pref_size 0
		.amdhsa_round_robin_scheduling 0
		.amdhsa_exception_fp_ieee_invalid_op 0
		.amdhsa_exception_fp_denorm_src 0
		.amdhsa_exception_fp_ieee_div_zero 0
		.amdhsa_exception_fp_ieee_overflow 0
		.amdhsa_exception_fp_ieee_underflow 0
		.amdhsa_exception_fp_ieee_inexact 0
		.amdhsa_exception_int_div_zero 0
	.end_amdhsa_kernel
	.section	.text._ZN7rocprim17ROCPRIM_400000_NS6detail17trampoline_kernelINS0_13select_configILj256ELj13ELNS0_17block_load_methodE3ELS4_3ELS4_3ELNS0_20block_scan_algorithmE0ELj4294967295EEENS1_25partition_config_selectorILNS1_17partition_subalgoE4EjNS0_10empty_typeEbEEZZNS1_14partition_implILS8_4ELb0ES6_15HIP_vector_typeIjLj2EENS0_17counting_iteratorIjlEEPS9_SG_NS0_5tupleIJPjSI_NS0_16reverse_iteratorISI_EEEEENSH_IJSG_SG_SG_EEES9_SI_JZNS1_25segmented_radix_sort_implINS0_14default_configELb1EPKsPsPKlPlN2at6native12_GLOBAL__N_18offset_tEEE10hipError_tPvRmT1_PNSt15iterator_traitsIS12_E10value_typeET2_T3_PNS13_IS18_E10value_typeET4_jRbjT5_S1E_jjP12ihipStream_tbEUljE_ZNSN_ISO_Lb1ESQ_SR_ST_SU_SY_EESZ_S10_S11_S12_S16_S17_S18_S1B_S1C_jS1D_jS1E_S1E_jjS1G_bEUljE0_EEESZ_S10_S11_S18_S1C_S1E_T6_T7_T9_mT8_S1G_bDpT10_ENKUlT_T0_E_clISt17integral_constantIbLb1EES1U_EEDaS1P_S1Q_EUlS1P_E_NS1_11comp_targetILNS1_3genE10ELNS1_11target_archE1200ELNS1_3gpuE4ELNS1_3repE0EEENS1_30default_config_static_selectorELNS0_4arch9wavefront6targetE0EEEvS12_,"axG",@progbits,_ZN7rocprim17ROCPRIM_400000_NS6detail17trampoline_kernelINS0_13select_configILj256ELj13ELNS0_17block_load_methodE3ELS4_3ELS4_3ELNS0_20block_scan_algorithmE0ELj4294967295EEENS1_25partition_config_selectorILNS1_17partition_subalgoE4EjNS0_10empty_typeEbEEZZNS1_14partition_implILS8_4ELb0ES6_15HIP_vector_typeIjLj2EENS0_17counting_iteratorIjlEEPS9_SG_NS0_5tupleIJPjSI_NS0_16reverse_iteratorISI_EEEEENSH_IJSG_SG_SG_EEES9_SI_JZNS1_25segmented_radix_sort_implINS0_14default_configELb1EPKsPsPKlPlN2at6native12_GLOBAL__N_18offset_tEEE10hipError_tPvRmT1_PNSt15iterator_traitsIS12_E10value_typeET2_T3_PNS13_IS18_E10value_typeET4_jRbjT5_S1E_jjP12ihipStream_tbEUljE_ZNSN_ISO_Lb1ESQ_SR_ST_SU_SY_EESZ_S10_S11_S12_S16_S17_S18_S1B_S1C_jS1D_jS1E_S1E_jjS1G_bEUljE0_EEESZ_S10_S11_S18_S1C_S1E_T6_T7_T9_mT8_S1G_bDpT10_ENKUlT_T0_E_clISt17integral_constantIbLb1EES1U_EEDaS1P_S1Q_EUlS1P_E_NS1_11comp_targetILNS1_3genE10ELNS1_11target_archE1200ELNS1_3gpuE4ELNS1_3repE0EEENS1_30default_config_static_selectorELNS0_4arch9wavefront6targetE0EEEvS12_,comdat
.Lfunc_end856:
	.size	_ZN7rocprim17ROCPRIM_400000_NS6detail17trampoline_kernelINS0_13select_configILj256ELj13ELNS0_17block_load_methodE3ELS4_3ELS4_3ELNS0_20block_scan_algorithmE0ELj4294967295EEENS1_25partition_config_selectorILNS1_17partition_subalgoE4EjNS0_10empty_typeEbEEZZNS1_14partition_implILS8_4ELb0ES6_15HIP_vector_typeIjLj2EENS0_17counting_iteratorIjlEEPS9_SG_NS0_5tupleIJPjSI_NS0_16reverse_iteratorISI_EEEEENSH_IJSG_SG_SG_EEES9_SI_JZNS1_25segmented_radix_sort_implINS0_14default_configELb1EPKsPsPKlPlN2at6native12_GLOBAL__N_18offset_tEEE10hipError_tPvRmT1_PNSt15iterator_traitsIS12_E10value_typeET2_T3_PNS13_IS18_E10value_typeET4_jRbjT5_S1E_jjP12ihipStream_tbEUljE_ZNSN_ISO_Lb1ESQ_SR_ST_SU_SY_EESZ_S10_S11_S12_S16_S17_S18_S1B_S1C_jS1D_jS1E_S1E_jjS1G_bEUljE0_EEESZ_S10_S11_S18_S1C_S1E_T6_T7_T9_mT8_S1G_bDpT10_ENKUlT_T0_E_clISt17integral_constantIbLb1EES1U_EEDaS1P_S1Q_EUlS1P_E_NS1_11comp_targetILNS1_3genE10ELNS1_11target_archE1200ELNS1_3gpuE4ELNS1_3repE0EEENS1_30default_config_static_selectorELNS0_4arch9wavefront6targetE0EEEvS12_, .Lfunc_end856-_ZN7rocprim17ROCPRIM_400000_NS6detail17trampoline_kernelINS0_13select_configILj256ELj13ELNS0_17block_load_methodE3ELS4_3ELS4_3ELNS0_20block_scan_algorithmE0ELj4294967295EEENS1_25partition_config_selectorILNS1_17partition_subalgoE4EjNS0_10empty_typeEbEEZZNS1_14partition_implILS8_4ELb0ES6_15HIP_vector_typeIjLj2EENS0_17counting_iteratorIjlEEPS9_SG_NS0_5tupleIJPjSI_NS0_16reverse_iteratorISI_EEEEENSH_IJSG_SG_SG_EEES9_SI_JZNS1_25segmented_radix_sort_implINS0_14default_configELb1EPKsPsPKlPlN2at6native12_GLOBAL__N_18offset_tEEE10hipError_tPvRmT1_PNSt15iterator_traitsIS12_E10value_typeET2_T3_PNS13_IS18_E10value_typeET4_jRbjT5_S1E_jjP12ihipStream_tbEUljE_ZNSN_ISO_Lb1ESQ_SR_ST_SU_SY_EESZ_S10_S11_S12_S16_S17_S18_S1B_S1C_jS1D_jS1E_S1E_jjS1G_bEUljE0_EEESZ_S10_S11_S18_S1C_S1E_T6_T7_T9_mT8_S1G_bDpT10_ENKUlT_T0_E_clISt17integral_constantIbLb1EES1U_EEDaS1P_S1Q_EUlS1P_E_NS1_11comp_targetILNS1_3genE10ELNS1_11target_archE1200ELNS1_3gpuE4ELNS1_3repE0EEENS1_30default_config_static_selectorELNS0_4arch9wavefront6targetE0EEEvS12_
                                        ; -- End function
	.set _ZN7rocprim17ROCPRIM_400000_NS6detail17trampoline_kernelINS0_13select_configILj256ELj13ELNS0_17block_load_methodE3ELS4_3ELS4_3ELNS0_20block_scan_algorithmE0ELj4294967295EEENS1_25partition_config_selectorILNS1_17partition_subalgoE4EjNS0_10empty_typeEbEEZZNS1_14partition_implILS8_4ELb0ES6_15HIP_vector_typeIjLj2EENS0_17counting_iteratorIjlEEPS9_SG_NS0_5tupleIJPjSI_NS0_16reverse_iteratorISI_EEEEENSH_IJSG_SG_SG_EEES9_SI_JZNS1_25segmented_radix_sort_implINS0_14default_configELb1EPKsPsPKlPlN2at6native12_GLOBAL__N_18offset_tEEE10hipError_tPvRmT1_PNSt15iterator_traitsIS12_E10value_typeET2_T3_PNS13_IS18_E10value_typeET4_jRbjT5_S1E_jjP12ihipStream_tbEUljE_ZNSN_ISO_Lb1ESQ_SR_ST_SU_SY_EESZ_S10_S11_S12_S16_S17_S18_S1B_S1C_jS1D_jS1E_S1E_jjS1G_bEUljE0_EEESZ_S10_S11_S18_S1C_S1E_T6_T7_T9_mT8_S1G_bDpT10_ENKUlT_T0_E_clISt17integral_constantIbLb1EES1U_EEDaS1P_S1Q_EUlS1P_E_NS1_11comp_targetILNS1_3genE10ELNS1_11target_archE1200ELNS1_3gpuE4ELNS1_3repE0EEENS1_30default_config_static_selectorELNS0_4arch9wavefront6targetE0EEEvS12_.num_vgpr, 0
	.set _ZN7rocprim17ROCPRIM_400000_NS6detail17trampoline_kernelINS0_13select_configILj256ELj13ELNS0_17block_load_methodE3ELS4_3ELS4_3ELNS0_20block_scan_algorithmE0ELj4294967295EEENS1_25partition_config_selectorILNS1_17partition_subalgoE4EjNS0_10empty_typeEbEEZZNS1_14partition_implILS8_4ELb0ES6_15HIP_vector_typeIjLj2EENS0_17counting_iteratorIjlEEPS9_SG_NS0_5tupleIJPjSI_NS0_16reverse_iteratorISI_EEEEENSH_IJSG_SG_SG_EEES9_SI_JZNS1_25segmented_radix_sort_implINS0_14default_configELb1EPKsPsPKlPlN2at6native12_GLOBAL__N_18offset_tEEE10hipError_tPvRmT1_PNSt15iterator_traitsIS12_E10value_typeET2_T3_PNS13_IS18_E10value_typeET4_jRbjT5_S1E_jjP12ihipStream_tbEUljE_ZNSN_ISO_Lb1ESQ_SR_ST_SU_SY_EESZ_S10_S11_S12_S16_S17_S18_S1B_S1C_jS1D_jS1E_S1E_jjS1G_bEUljE0_EEESZ_S10_S11_S18_S1C_S1E_T6_T7_T9_mT8_S1G_bDpT10_ENKUlT_T0_E_clISt17integral_constantIbLb1EES1U_EEDaS1P_S1Q_EUlS1P_E_NS1_11comp_targetILNS1_3genE10ELNS1_11target_archE1200ELNS1_3gpuE4ELNS1_3repE0EEENS1_30default_config_static_selectorELNS0_4arch9wavefront6targetE0EEEvS12_.num_agpr, 0
	.set _ZN7rocprim17ROCPRIM_400000_NS6detail17trampoline_kernelINS0_13select_configILj256ELj13ELNS0_17block_load_methodE3ELS4_3ELS4_3ELNS0_20block_scan_algorithmE0ELj4294967295EEENS1_25partition_config_selectorILNS1_17partition_subalgoE4EjNS0_10empty_typeEbEEZZNS1_14partition_implILS8_4ELb0ES6_15HIP_vector_typeIjLj2EENS0_17counting_iteratorIjlEEPS9_SG_NS0_5tupleIJPjSI_NS0_16reverse_iteratorISI_EEEEENSH_IJSG_SG_SG_EEES9_SI_JZNS1_25segmented_radix_sort_implINS0_14default_configELb1EPKsPsPKlPlN2at6native12_GLOBAL__N_18offset_tEEE10hipError_tPvRmT1_PNSt15iterator_traitsIS12_E10value_typeET2_T3_PNS13_IS18_E10value_typeET4_jRbjT5_S1E_jjP12ihipStream_tbEUljE_ZNSN_ISO_Lb1ESQ_SR_ST_SU_SY_EESZ_S10_S11_S12_S16_S17_S18_S1B_S1C_jS1D_jS1E_S1E_jjS1G_bEUljE0_EEESZ_S10_S11_S18_S1C_S1E_T6_T7_T9_mT8_S1G_bDpT10_ENKUlT_T0_E_clISt17integral_constantIbLb1EES1U_EEDaS1P_S1Q_EUlS1P_E_NS1_11comp_targetILNS1_3genE10ELNS1_11target_archE1200ELNS1_3gpuE4ELNS1_3repE0EEENS1_30default_config_static_selectorELNS0_4arch9wavefront6targetE0EEEvS12_.numbered_sgpr, 0
	.set _ZN7rocprim17ROCPRIM_400000_NS6detail17trampoline_kernelINS0_13select_configILj256ELj13ELNS0_17block_load_methodE3ELS4_3ELS4_3ELNS0_20block_scan_algorithmE0ELj4294967295EEENS1_25partition_config_selectorILNS1_17partition_subalgoE4EjNS0_10empty_typeEbEEZZNS1_14partition_implILS8_4ELb0ES6_15HIP_vector_typeIjLj2EENS0_17counting_iteratorIjlEEPS9_SG_NS0_5tupleIJPjSI_NS0_16reverse_iteratorISI_EEEEENSH_IJSG_SG_SG_EEES9_SI_JZNS1_25segmented_radix_sort_implINS0_14default_configELb1EPKsPsPKlPlN2at6native12_GLOBAL__N_18offset_tEEE10hipError_tPvRmT1_PNSt15iterator_traitsIS12_E10value_typeET2_T3_PNS13_IS18_E10value_typeET4_jRbjT5_S1E_jjP12ihipStream_tbEUljE_ZNSN_ISO_Lb1ESQ_SR_ST_SU_SY_EESZ_S10_S11_S12_S16_S17_S18_S1B_S1C_jS1D_jS1E_S1E_jjS1G_bEUljE0_EEESZ_S10_S11_S18_S1C_S1E_T6_T7_T9_mT8_S1G_bDpT10_ENKUlT_T0_E_clISt17integral_constantIbLb1EES1U_EEDaS1P_S1Q_EUlS1P_E_NS1_11comp_targetILNS1_3genE10ELNS1_11target_archE1200ELNS1_3gpuE4ELNS1_3repE0EEENS1_30default_config_static_selectorELNS0_4arch9wavefront6targetE0EEEvS12_.num_named_barrier, 0
	.set _ZN7rocprim17ROCPRIM_400000_NS6detail17trampoline_kernelINS0_13select_configILj256ELj13ELNS0_17block_load_methodE3ELS4_3ELS4_3ELNS0_20block_scan_algorithmE0ELj4294967295EEENS1_25partition_config_selectorILNS1_17partition_subalgoE4EjNS0_10empty_typeEbEEZZNS1_14partition_implILS8_4ELb0ES6_15HIP_vector_typeIjLj2EENS0_17counting_iteratorIjlEEPS9_SG_NS0_5tupleIJPjSI_NS0_16reverse_iteratorISI_EEEEENSH_IJSG_SG_SG_EEES9_SI_JZNS1_25segmented_radix_sort_implINS0_14default_configELb1EPKsPsPKlPlN2at6native12_GLOBAL__N_18offset_tEEE10hipError_tPvRmT1_PNSt15iterator_traitsIS12_E10value_typeET2_T3_PNS13_IS18_E10value_typeET4_jRbjT5_S1E_jjP12ihipStream_tbEUljE_ZNSN_ISO_Lb1ESQ_SR_ST_SU_SY_EESZ_S10_S11_S12_S16_S17_S18_S1B_S1C_jS1D_jS1E_S1E_jjS1G_bEUljE0_EEESZ_S10_S11_S18_S1C_S1E_T6_T7_T9_mT8_S1G_bDpT10_ENKUlT_T0_E_clISt17integral_constantIbLb1EES1U_EEDaS1P_S1Q_EUlS1P_E_NS1_11comp_targetILNS1_3genE10ELNS1_11target_archE1200ELNS1_3gpuE4ELNS1_3repE0EEENS1_30default_config_static_selectorELNS0_4arch9wavefront6targetE0EEEvS12_.private_seg_size, 0
	.set _ZN7rocprim17ROCPRIM_400000_NS6detail17trampoline_kernelINS0_13select_configILj256ELj13ELNS0_17block_load_methodE3ELS4_3ELS4_3ELNS0_20block_scan_algorithmE0ELj4294967295EEENS1_25partition_config_selectorILNS1_17partition_subalgoE4EjNS0_10empty_typeEbEEZZNS1_14partition_implILS8_4ELb0ES6_15HIP_vector_typeIjLj2EENS0_17counting_iteratorIjlEEPS9_SG_NS0_5tupleIJPjSI_NS0_16reverse_iteratorISI_EEEEENSH_IJSG_SG_SG_EEES9_SI_JZNS1_25segmented_radix_sort_implINS0_14default_configELb1EPKsPsPKlPlN2at6native12_GLOBAL__N_18offset_tEEE10hipError_tPvRmT1_PNSt15iterator_traitsIS12_E10value_typeET2_T3_PNS13_IS18_E10value_typeET4_jRbjT5_S1E_jjP12ihipStream_tbEUljE_ZNSN_ISO_Lb1ESQ_SR_ST_SU_SY_EESZ_S10_S11_S12_S16_S17_S18_S1B_S1C_jS1D_jS1E_S1E_jjS1G_bEUljE0_EEESZ_S10_S11_S18_S1C_S1E_T6_T7_T9_mT8_S1G_bDpT10_ENKUlT_T0_E_clISt17integral_constantIbLb1EES1U_EEDaS1P_S1Q_EUlS1P_E_NS1_11comp_targetILNS1_3genE10ELNS1_11target_archE1200ELNS1_3gpuE4ELNS1_3repE0EEENS1_30default_config_static_selectorELNS0_4arch9wavefront6targetE0EEEvS12_.uses_vcc, 0
	.set _ZN7rocprim17ROCPRIM_400000_NS6detail17trampoline_kernelINS0_13select_configILj256ELj13ELNS0_17block_load_methodE3ELS4_3ELS4_3ELNS0_20block_scan_algorithmE0ELj4294967295EEENS1_25partition_config_selectorILNS1_17partition_subalgoE4EjNS0_10empty_typeEbEEZZNS1_14partition_implILS8_4ELb0ES6_15HIP_vector_typeIjLj2EENS0_17counting_iteratorIjlEEPS9_SG_NS0_5tupleIJPjSI_NS0_16reverse_iteratorISI_EEEEENSH_IJSG_SG_SG_EEES9_SI_JZNS1_25segmented_radix_sort_implINS0_14default_configELb1EPKsPsPKlPlN2at6native12_GLOBAL__N_18offset_tEEE10hipError_tPvRmT1_PNSt15iterator_traitsIS12_E10value_typeET2_T3_PNS13_IS18_E10value_typeET4_jRbjT5_S1E_jjP12ihipStream_tbEUljE_ZNSN_ISO_Lb1ESQ_SR_ST_SU_SY_EESZ_S10_S11_S12_S16_S17_S18_S1B_S1C_jS1D_jS1E_S1E_jjS1G_bEUljE0_EEESZ_S10_S11_S18_S1C_S1E_T6_T7_T9_mT8_S1G_bDpT10_ENKUlT_T0_E_clISt17integral_constantIbLb1EES1U_EEDaS1P_S1Q_EUlS1P_E_NS1_11comp_targetILNS1_3genE10ELNS1_11target_archE1200ELNS1_3gpuE4ELNS1_3repE0EEENS1_30default_config_static_selectorELNS0_4arch9wavefront6targetE0EEEvS12_.uses_flat_scratch, 0
	.set _ZN7rocprim17ROCPRIM_400000_NS6detail17trampoline_kernelINS0_13select_configILj256ELj13ELNS0_17block_load_methodE3ELS4_3ELS4_3ELNS0_20block_scan_algorithmE0ELj4294967295EEENS1_25partition_config_selectorILNS1_17partition_subalgoE4EjNS0_10empty_typeEbEEZZNS1_14partition_implILS8_4ELb0ES6_15HIP_vector_typeIjLj2EENS0_17counting_iteratorIjlEEPS9_SG_NS0_5tupleIJPjSI_NS0_16reverse_iteratorISI_EEEEENSH_IJSG_SG_SG_EEES9_SI_JZNS1_25segmented_radix_sort_implINS0_14default_configELb1EPKsPsPKlPlN2at6native12_GLOBAL__N_18offset_tEEE10hipError_tPvRmT1_PNSt15iterator_traitsIS12_E10value_typeET2_T3_PNS13_IS18_E10value_typeET4_jRbjT5_S1E_jjP12ihipStream_tbEUljE_ZNSN_ISO_Lb1ESQ_SR_ST_SU_SY_EESZ_S10_S11_S12_S16_S17_S18_S1B_S1C_jS1D_jS1E_S1E_jjS1G_bEUljE0_EEESZ_S10_S11_S18_S1C_S1E_T6_T7_T9_mT8_S1G_bDpT10_ENKUlT_T0_E_clISt17integral_constantIbLb1EES1U_EEDaS1P_S1Q_EUlS1P_E_NS1_11comp_targetILNS1_3genE10ELNS1_11target_archE1200ELNS1_3gpuE4ELNS1_3repE0EEENS1_30default_config_static_selectorELNS0_4arch9wavefront6targetE0EEEvS12_.has_dyn_sized_stack, 0
	.set _ZN7rocprim17ROCPRIM_400000_NS6detail17trampoline_kernelINS0_13select_configILj256ELj13ELNS0_17block_load_methodE3ELS4_3ELS4_3ELNS0_20block_scan_algorithmE0ELj4294967295EEENS1_25partition_config_selectorILNS1_17partition_subalgoE4EjNS0_10empty_typeEbEEZZNS1_14partition_implILS8_4ELb0ES6_15HIP_vector_typeIjLj2EENS0_17counting_iteratorIjlEEPS9_SG_NS0_5tupleIJPjSI_NS0_16reverse_iteratorISI_EEEEENSH_IJSG_SG_SG_EEES9_SI_JZNS1_25segmented_radix_sort_implINS0_14default_configELb1EPKsPsPKlPlN2at6native12_GLOBAL__N_18offset_tEEE10hipError_tPvRmT1_PNSt15iterator_traitsIS12_E10value_typeET2_T3_PNS13_IS18_E10value_typeET4_jRbjT5_S1E_jjP12ihipStream_tbEUljE_ZNSN_ISO_Lb1ESQ_SR_ST_SU_SY_EESZ_S10_S11_S12_S16_S17_S18_S1B_S1C_jS1D_jS1E_S1E_jjS1G_bEUljE0_EEESZ_S10_S11_S18_S1C_S1E_T6_T7_T9_mT8_S1G_bDpT10_ENKUlT_T0_E_clISt17integral_constantIbLb1EES1U_EEDaS1P_S1Q_EUlS1P_E_NS1_11comp_targetILNS1_3genE10ELNS1_11target_archE1200ELNS1_3gpuE4ELNS1_3repE0EEENS1_30default_config_static_selectorELNS0_4arch9wavefront6targetE0EEEvS12_.has_recursion, 0
	.set _ZN7rocprim17ROCPRIM_400000_NS6detail17trampoline_kernelINS0_13select_configILj256ELj13ELNS0_17block_load_methodE3ELS4_3ELS4_3ELNS0_20block_scan_algorithmE0ELj4294967295EEENS1_25partition_config_selectorILNS1_17partition_subalgoE4EjNS0_10empty_typeEbEEZZNS1_14partition_implILS8_4ELb0ES6_15HIP_vector_typeIjLj2EENS0_17counting_iteratorIjlEEPS9_SG_NS0_5tupleIJPjSI_NS0_16reverse_iteratorISI_EEEEENSH_IJSG_SG_SG_EEES9_SI_JZNS1_25segmented_radix_sort_implINS0_14default_configELb1EPKsPsPKlPlN2at6native12_GLOBAL__N_18offset_tEEE10hipError_tPvRmT1_PNSt15iterator_traitsIS12_E10value_typeET2_T3_PNS13_IS18_E10value_typeET4_jRbjT5_S1E_jjP12ihipStream_tbEUljE_ZNSN_ISO_Lb1ESQ_SR_ST_SU_SY_EESZ_S10_S11_S12_S16_S17_S18_S1B_S1C_jS1D_jS1E_S1E_jjS1G_bEUljE0_EEESZ_S10_S11_S18_S1C_S1E_T6_T7_T9_mT8_S1G_bDpT10_ENKUlT_T0_E_clISt17integral_constantIbLb1EES1U_EEDaS1P_S1Q_EUlS1P_E_NS1_11comp_targetILNS1_3genE10ELNS1_11target_archE1200ELNS1_3gpuE4ELNS1_3repE0EEENS1_30default_config_static_selectorELNS0_4arch9wavefront6targetE0EEEvS12_.has_indirect_call, 0
	.section	.AMDGPU.csdata,"",@progbits
; Kernel info:
; codeLenInByte = 0
; TotalNumSgprs: 0
; NumVgprs: 0
; ScratchSize: 0
; MemoryBound: 0
; FloatMode: 240
; IeeeMode: 1
; LDSByteSize: 0 bytes/workgroup (compile time only)
; SGPRBlocks: 0
; VGPRBlocks: 0
; NumSGPRsForWavesPerEU: 1
; NumVGPRsForWavesPerEU: 1
; NamedBarCnt: 0
; Occupancy: 16
; WaveLimiterHint : 0
; COMPUTE_PGM_RSRC2:SCRATCH_EN: 0
; COMPUTE_PGM_RSRC2:USER_SGPR: 2
; COMPUTE_PGM_RSRC2:TRAP_HANDLER: 0
; COMPUTE_PGM_RSRC2:TGID_X_EN: 1
; COMPUTE_PGM_RSRC2:TGID_Y_EN: 0
; COMPUTE_PGM_RSRC2:TGID_Z_EN: 0
; COMPUTE_PGM_RSRC2:TIDIG_COMP_CNT: 0
	.section	.text._ZN7rocprim17ROCPRIM_400000_NS6detail17trampoline_kernelINS0_13select_configILj256ELj13ELNS0_17block_load_methodE3ELS4_3ELS4_3ELNS0_20block_scan_algorithmE0ELj4294967295EEENS1_25partition_config_selectorILNS1_17partition_subalgoE4EjNS0_10empty_typeEbEEZZNS1_14partition_implILS8_4ELb0ES6_15HIP_vector_typeIjLj2EENS0_17counting_iteratorIjlEEPS9_SG_NS0_5tupleIJPjSI_NS0_16reverse_iteratorISI_EEEEENSH_IJSG_SG_SG_EEES9_SI_JZNS1_25segmented_radix_sort_implINS0_14default_configELb1EPKsPsPKlPlN2at6native12_GLOBAL__N_18offset_tEEE10hipError_tPvRmT1_PNSt15iterator_traitsIS12_E10value_typeET2_T3_PNS13_IS18_E10value_typeET4_jRbjT5_S1E_jjP12ihipStream_tbEUljE_ZNSN_ISO_Lb1ESQ_SR_ST_SU_SY_EESZ_S10_S11_S12_S16_S17_S18_S1B_S1C_jS1D_jS1E_S1E_jjS1G_bEUljE0_EEESZ_S10_S11_S18_S1C_S1E_T6_T7_T9_mT8_S1G_bDpT10_ENKUlT_T0_E_clISt17integral_constantIbLb1EES1U_EEDaS1P_S1Q_EUlS1P_E_NS1_11comp_targetILNS1_3genE9ELNS1_11target_archE1100ELNS1_3gpuE3ELNS1_3repE0EEENS1_30default_config_static_selectorELNS0_4arch9wavefront6targetE0EEEvS12_,"axG",@progbits,_ZN7rocprim17ROCPRIM_400000_NS6detail17trampoline_kernelINS0_13select_configILj256ELj13ELNS0_17block_load_methodE3ELS4_3ELS4_3ELNS0_20block_scan_algorithmE0ELj4294967295EEENS1_25partition_config_selectorILNS1_17partition_subalgoE4EjNS0_10empty_typeEbEEZZNS1_14partition_implILS8_4ELb0ES6_15HIP_vector_typeIjLj2EENS0_17counting_iteratorIjlEEPS9_SG_NS0_5tupleIJPjSI_NS0_16reverse_iteratorISI_EEEEENSH_IJSG_SG_SG_EEES9_SI_JZNS1_25segmented_radix_sort_implINS0_14default_configELb1EPKsPsPKlPlN2at6native12_GLOBAL__N_18offset_tEEE10hipError_tPvRmT1_PNSt15iterator_traitsIS12_E10value_typeET2_T3_PNS13_IS18_E10value_typeET4_jRbjT5_S1E_jjP12ihipStream_tbEUljE_ZNSN_ISO_Lb1ESQ_SR_ST_SU_SY_EESZ_S10_S11_S12_S16_S17_S18_S1B_S1C_jS1D_jS1E_S1E_jjS1G_bEUljE0_EEESZ_S10_S11_S18_S1C_S1E_T6_T7_T9_mT8_S1G_bDpT10_ENKUlT_T0_E_clISt17integral_constantIbLb1EES1U_EEDaS1P_S1Q_EUlS1P_E_NS1_11comp_targetILNS1_3genE9ELNS1_11target_archE1100ELNS1_3gpuE3ELNS1_3repE0EEENS1_30default_config_static_selectorELNS0_4arch9wavefront6targetE0EEEvS12_,comdat
	.globl	_ZN7rocprim17ROCPRIM_400000_NS6detail17trampoline_kernelINS0_13select_configILj256ELj13ELNS0_17block_load_methodE3ELS4_3ELS4_3ELNS0_20block_scan_algorithmE0ELj4294967295EEENS1_25partition_config_selectorILNS1_17partition_subalgoE4EjNS0_10empty_typeEbEEZZNS1_14partition_implILS8_4ELb0ES6_15HIP_vector_typeIjLj2EENS0_17counting_iteratorIjlEEPS9_SG_NS0_5tupleIJPjSI_NS0_16reverse_iteratorISI_EEEEENSH_IJSG_SG_SG_EEES9_SI_JZNS1_25segmented_radix_sort_implINS0_14default_configELb1EPKsPsPKlPlN2at6native12_GLOBAL__N_18offset_tEEE10hipError_tPvRmT1_PNSt15iterator_traitsIS12_E10value_typeET2_T3_PNS13_IS18_E10value_typeET4_jRbjT5_S1E_jjP12ihipStream_tbEUljE_ZNSN_ISO_Lb1ESQ_SR_ST_SU_SY_EESZ_S10_S11_S12_S16_S17_S18_S1B_S1C_jS1D_jS1E_S1E_jjS1G_bEUljE0_EEESZ_S10_S11_S18_S1C_S1E_T6_T7_T9_mT8_S1G_bDpT10_ENKUlT_T0_E_clISt17integral_constantIbLb1EES1U_EEDaS1P_S1Q_EUlS1P_E_NS1_11comp_targetILNS1_3genE9ELNS1_11target_archE1100ELNS1_3gpuE3ELNS1_3repE0EEENS1_30default_config_static_selectorELNS0_4arch9wavefront6targetE0EEEvS12_ ; -- Begin function _ZN7rocprim17ROCPRIM_400000_NS6detail17trampoline_kernelINS0_13select_configILj256ELj13ELNS0_17block_load_methodE3ELS4_3ELS4_3ELNS0_20block_scan_algorithmE0ELj4294967295EEENS1_25partition_config_selectorILNS1_17partition_subalgoE4EjNS0_10empty_typeEbEEZZNS1_14partition_implILS8_4ELb0ES6_15HIP_vector_typeIjLj2EENS0_17counting_iteratorIjlEEPS9_SG_NS0_5tupleIJPjSI_NS0_16reverse_iteratorISI_EEEEENSH_IJSG_SG_SG_EEES9_SI_JZNS1_25segmented_radix_sort_implINS0_14default_configELb1EPKsPsPKlPlN2at6native12_GLOBAL__N_18offset_tEEE10hipError_tPvRmT1_PNSt15iterator_traitsIS12_E10value_typeET2_T3_PNS13_IS18_E10value_typeET4_jRbjT5_S1E_jjP12ihipStream_tbEUljE_ZNSN_ISO_Lb1ESQ_SR_ST_SU_SY_EESZ_S10_S11_S12_S16_S17_S18_S1B_S1C_jS1D_jS1E_S1E_jjS1G_bEUljE0_EEESZ_S10_S11_S18_S1C_S1E_T6_T7_T9_mT8_S1G_bDpT10_ENKUlT_T0_E_clISt17integral_constantIbLb1EES1U_EEDaS1P_S1Q_EUlS1P_E_NS1_11comp_targetILNS1_3genE9ELNS1_11target_archE1100ELNS1_3gpuE3ELNS1_3repE0EEENS1_30default_config_static_selectorELNS0_4arch9wavefront6targetE0EEEvS12_
	.p2align	8
	.type	_ZN7rocprim17ROCPRIM_400000_NS6detail17trampoline_kernelINS0_13select_configILj256ELj13ELNS0_17block_load_methodE3ELS4_3ELS4_3ELNS0_20block_scan_algorithmE0ELj4294967295EEENS1_25partition_config_selectorILNS1_17partition_subalgoE4EjNS0_10empty_typeEbEEZZNS1_14partition_implILS8_4ELb0ES6_15HIP_vector_typeIjLj2EENS0_17counting_iteratorIjlEEPS9_SG_NS0_5tupleIJPjSI_NS0_16reverse_iteratorISI_EEEEENSH_IJSG_SG_SG_EEES9_SI_JZNS1_25segmented_radix_sort_implINS0_14default_configELb1EPKsPsPKlPlN2at6native12_GLOBAL__N_18offset_tEEE10hipError_tPvRmT1_PNSt15iterator_traitsIS12_E10value_typeET2_T3_PNS13_IS18_E10value_typeET4_jRbjT5_S1E_jjP12ihipStream_tbEUljE_ZNSN_ISO_Lb1ESQ_SR_ST_SU_SY_EESZ_S10_S11_S12_S16_S17_S18_S1B_S1C_jS1D_jS1E_S1E_jjS1G_bEUljE0_EEESZ_S10_S11_S18_S1C_S1E_T6_T7_T9_mT8_S1G_bDpT10_ENKUlT_T0_E_clISt17integral_constantIbLb1EES1U_EEDaS1P_S1Q_EUlS1P_E_NS1_11comp_targetILNS1_3genE9ELNS1_11target_archE1100ELNS1_3gpuE3ELNS1_3repE0EEENS1_30default_config_static_selectorELNS0_4arch9wavefront6targetE0EEEvS12_,@function
_ZN7rocprim17ROCPRIM_400000_NS6detail17trampoline_kernelINS0_13select_configILj256ELj13ELNS0_17block_load_methodE3ELS4_3ELS4_3ELNS0_20block_scan_algorithmE0ELj4294967295EEENS1_25partition_config_selectorILNS1_17partition_subalgoE4EjNS0_10empty_typeEbEEZZNS1_14partition_implILS8_4ELb0ES6_15HIP_vector_typeIjLj2EENS0_17counting_iteratorIjlEEPS9_SG_NS0_5tupleIJPjSI_NS0_16reverse_iteratorISI_EEEEENSH_IJSG_SG_SG_EEES9_SI_JZNS1_25segmented_radix_sort_implINS0_14default_configELb1EPKsPsPKlPlN2at6native12_GLOBAL__N_18offset_tEEE10hipError_tPvRmT1_PNSt15iterator_traitsIS12_E10value_typeET2_T3_PNS13_IS18_E10value_typeET4_jRbjT5_S1E_jjP12ihipStream_tbEUljE_ZNSN_ISO_Lb1ESQ_SR_ST_SU_SY_EESZ_S10_S11_S12_S16_S17_S18_S1B_S1C_jS1D_jS1E_S1E_jjS1G_bEUljE0_EEESZ_S10_S11_S18_S1C_S1E_T6_T7_T9_mT8_S1G_bDpT10_ENKUlT_T0_E_clISt17integral_constantIbLb1EES1U_EEDaS1P_S1Q_EUlS1P_E_NS1_11comp_targetILNS1_3genE9ELNS1_11target_archE1100ELNS1_3gpuE3ELNS1_3repE0EEENS1_30default_config_static_selectorELNS0_4arch9wavefront6targetE0EEEvS12_: ; @_ZN7rocprim17ROCPRIM_400000_NS6detail17trampoline_kernelINS0_13select_configILj256ELj13ELNS0_17block_load_methodE3ELS4_3ELS4_3ELNS0_20block_scan_algorithmE0ELj4294967295EEENS1_25partition_config_selectorILNS1_17partition_subalgoE4EjNS0_10empty_typeEbEEZZNS1_14partition_implILS8_4ELb0ES6_15HIP_vector_typeIjLj2EENS0_17counting_iteratorIjlEEPS9_SG_NS0_5tupleIJPjSI_NS0_16reverse_iteratorISI_EEEEENSH_IJSG_SG_SG_EEES9_SI_JZNS1_25segmented_radix_sort_implINS0_14default_configELb1EPKsPsPKlPlN2at6native12_GLOBAL__N_18offset_tEEE10hipError_tPvRmT1_PNSt15iterator_traitsIS12_E10value_typeET2_T3_PNS13_IS18_E10value_typeET4_jRbjT5_S1E_jjP12ihipStream_tbEUljE_ZNSN_ISO_Lb1ESQ_SR_ST_SU_SY_EESZ_S10_S11_S12_S16_S17_S18_S1B_S1C_jS1D_jS1E_S1E_jjS1G_bEUljE0_EEESZ_S10_S11_S18_S1C_S1E_T6_T7_T9_mT8_S1G_bDpT10_ENKUlT_T0_E_clISt17integral_constantIbLb1EES1U_EEDaS1P_S1Q_EUlS1P_E_NS1_11comp_targetILNS1_3genE9ELNS1_11target_archE1100ELNS1_3gpuE3ELNS1_3repE0EEENS1_30default_config_static_selectorELNS0_4arch9wavefront6targetE0EEEvS12_
; %bb.0:
	.section	.rodata,"a",@progbits
	.p2align	6, 0x0
	.amdhsa_kernel _ZN7rocprim17ROCPRIM_400000_NS6detail17trampoline_kernelINS0_13select_configILj256ELj13ELNS0_17block_load_methodE3ELS4_3ELS4_3ELNS0_20block_scan_algorithmE0ELj4294967295EEENS1_25partition_config_selectorILNS1_17partition_subalgoE4EjNS0_10empty_typeEbEEZZNS1_14partition_implILS8_4ELb0ES6_15HIP_vector_typeIjLj2EENS0_17counting_iteratorIjlEEPS9_SG_NS0_5tupleIJPjSI_NS0_16reverse_iteratorISI_EEEEENSH_IJSG_SG_SG_EEES9_SI_JZNS1_25segmented_radix_sort_implINS0_14default_configELb1EPKsPsPKlPlN2at6native12_GLOBAL__N_18offset_tEEE10hipError_tPvRmT1_PNSt15iterator_traitsIS12_E10value_typeET2_T3_PNS13_IS18_E10value_typeET4_jRbjT5_S1E_jjP12ihipStream_tbEUljE_ZNSN_ISO_Lb1ESQ_SR_ST_SU_SY_EESZ_S10_S11_S12_S16_S17_S18_S1B_S1C_jS1D_jS1E_S1E_jjS1G_bEUljE0_EEESZ_S10_S11_S18_S1C_S1E_T6_T7_T9_mT8_S1G_bDpT10_ENKUlT_T0_E_clISt17integral_constantIbLb1EES1U_EEDaS1P_S1Q_EUlS1P_E_NS1_11comp_targetILNS1_3genE9ELNS1_11target_archE1100ELNS1_3gpuE3ELNS1_3repE0EEENS1_30default_config_static_selectorELNS0_4arch9wavefront6targetE0EEEvS12_
		.amdhsa_group_segment_fixed_size 0
		.amdhsa_private_segment_fixed_size 0
		.amdhsa_kernarg_size 184
		.amdhsa_user_sgpr_count 2
		.amdhsa_user_sgpr_dispatch_ptr 0
		.amdhsa_user_sgpr_queue_ptr 0
		.amdhsa_user_sgpr_kernarg_segment_ptr 1
		.amdhsa_user_sgpr_dispatch_id 0
		.amdhsa_user_sgpr_kernarg_preload_length 0
		.amdhsa_user_sgpr_kernarg_preload_offset 0
		.amdhsa_user_sgpr_private_segment_size 0
		.amdhsa_wavefront_size32 1
		.amdhsa_uses_dynamic_stack 0
		.amdhsa_enable_private_segment 0
		.amdhsa_system_sgpr_workgroup_id_x 1
		.amdhsa_system_sgpr_workgroup_id_y 0
		.amdhsa_system_sgpr_workgroup_id_z 0
		.amdhsa_system_sgpr_workgroup_info 0
		.amdhsa_system_vgpr_workitem_id 0
		.amdhsa_next_free_vgpr 1
		.amdhsa_next_free_sgpr 1
		.amdhsa_named_barrier_count 0
		.amdhsa_reserve_vcc 0
		.amdhsa_float_round_mode_32 0
		.amdhsa_float_round_mode_16_64 0
		.amdhsa_float_denorm_mode_32 3
		.amdhsa_float_denorm_mode_16_64 3
		.amdhsa_fp16_overflow 0
		.amdhsa_memory_ordered 1
		.amdhsa_forward_progress 1
		.amdhsa_inst_pref_size 0
		.amdhsa_round_robin_scheduling 0
		.amdhsa_exception_fp_ieee_invalid_op 0
		.amdhsa_exception_fp_denorm_src 0
		.amdhsa_exception_fp_ieee_div_zero 0
		.amdhsa_exception_fp_ieee_overflow 0
		.amdhsa_exception_fp_ieee_underflow 0
		.amdhsa_exception_fp_ieee_inexact 0
		.amdhsa_exception_int_div_zero 0
	.end_amdhsa_kernel
	.section	.text._ZN7rocprim17ROCPRIM_400000_NS6detail17trampoline_kernelINS0_13select_configILj256ELj13ELNS0_17block_load_methodE3ELS4_3ELS4_3ELNS0_20block_scan_algorithmE0ELj4294967295EEENS1_25partition_config_selectorILNS1_17partition_subalgoE4EjNS0_10empty_typeEbEEZZNS1_14partition_implILS8_4ELb0ES6_15HIP_vector_typeIjLj2EENS0_17counting_iteratorIjlEEPS9_SG_NS0_5tupleIJPjSI_NS0_16reverse_iteratorISI_EEEEENSH_IJSG_SG_SG_EEES9_SI_JZNS1_25segmented_radix_sort_implINS0_14default_configELb1EPKsPsPKlPlN2at6native12_GLOBAL__N_18offset_tEEE10hipError_tPvRmT1_PNSt15iterator_traitsIS12_E10value_typeET2_T3_PNS13_IS18_E10value_typeET4_jRbjT5_S1E_jjP12ihipStream_tbEUljE_ZNSN_ISO_Lb1ESQ_SR_ST_SU_SY_EESZ_S10_S11_S12_S16_S17_S18_S1B_S1C_jS1D_jS1E_S1E_jjS1G_bEUljE0_EEESZ_S10_S11_S18_S1C_S1E_T6_T7_T9_mT8_S1G_bDpT10_ENKUlT_T0_E_clISt17integral_constantIbLb1EES1U_EEDaS1P_S1Q_EUlS1P_E_NS1_11comp_targetILNS1_3genE9ELNS1_11target_archE1100ELNS1_3gpuE3ELNS1_3repE0EEENS1_30default_config_static_selectorELNS0_4arch9wavefront6targetE0EEEvS12_,"axG",@progbits,_ZN7rocprim17ROCPRIM_400000_NS6detail17trampoline_kernelINS0_13select_configILj256ELj13ELNS0_17block_load_methodE3ELS4_3ELS4_3ELNS0_20block_scan_algorithmE0ELj4294967295EEENS1_25partition_config_selectorILNS1_17partition_subalgoE4EjNS0_10empty_typeEbEEZZNS1_14partition_implILS8_4ELb0ES6_15HIP_vector_typeIjLj2EENS0_17counting_iteratorIjlEEPS9_SG_NS0_5tupleIJPjSI_NS0_16reverse_iteratorISI_EEEEENSH_IJSG_SG_SG_EEES9_SI_JZNS1_25segmented_radix_sort_implINS0_14default_configELb1EPKsPsPKlPlN2at6native12_GLOBAL__N_18offset_tEEE10hipError_tPvRmT1_PNSt15iterator_traitsIS12_E10value_typeET2_T3_PNS13_IS18_E10value_typeET4_jRbjT5_S1E_jjP12ihipStream_tbEUljE_ZNSN_ISO_Lb1ESQ_SR_ST_SU_SY_EESZ_S10_S11_S12_S16_S17_S18_S1B_S1C_jS1D_jS1E_S1E_jjS1G_bEUljE0_EEESZ_S10_S11_S18_S1C_S1E_T6_T7_T9_mT8_S1G_bDpT10_ENKUlT_T0_E_clISt17integral_constantIbLb1EES1U_EEDaS1P_S1Q_EUlS1P_E_NS1_11comp_targetILNS1_3genE9ELNS1_11target_archE1100ELNS1_3gpuE3ELNS1_3repE0EEENS1_30default_config_static_selectorELNS0_4arch9wavefront6targetE0EEEvS12_,comdat
.Lfunc_end857:
	.size	_ZN7rocprim17ROCPRIM_400000_NS6detail17trampoline_kernelINS0_13select_configILj256ELj13ELNS0_17block_load_methodE3ELS4_3ELS4_3ELNS0_20block_scan_algorithmE0ELj4294967295EEENS1_25partition_config_selectorILNS1_17partition_subalgoE4EjNS0_10empty_typeEbEEZZNS1_14partition_implILS8_4ELb0ES6_15HIP_vector_typeIjLj2EENS0_17counting_iteratorIjlEEPS9_SG_NS0_5tupleIJPjSI_NS0_16reverse_iteratorISI_EEEEENSH_IJSG_SG_SG_EEES9_SI_JZNS1_25segmented_radix_sort_implINS0_14default_configELb1EPKsPsPKlPlN2at6native12_GLOBAL__N_18offset_tEEE10hipError_tPvRmT1_PNSt15iterator_traitsIS12_E10value_typeET2_T3_PNS13_IS18_E10value_typeET4_jRbjT5_S1E_jjP12ihipStream_tbEUljE_ZNSN_ISO_Lb1ESQ_SR_ST_SU_SY_EESZ_S10_S11_S12_S16_S17_S18_S1B_S1C_jS1D_jS1E_S1E_jjS1G_bEUljE0_EEESZ_S10_S11_S18_S1C_S1E_T6_T7_T9_mT8_S1G_bDpT10_ENKUlT_T0_E_clISt17integral_constantIbLb1EES1U_EEDaS1P_S1Q_EUlS1P_E_NS1_11comp_targetILNS1_3genE9ELNS1_11target_archE1100ELNS1_3gpuE3ELNS1_3repE0EEENS1_30default_config_static_selectorELNS0_4arch9wavefront6targetE0EEEvS12_, .Lfunc_end857-_ZN7rocprim17ROCPRIM_400000_NS6detail17trampoline_kernelINS0_13select_configILj256ELj13ELNS0_17block_load_methodE3ELS4_3ELS4_3ELNS0_20block_scan_algorithmE0ELj4294967295EEENS1_25partition_config_selectorILNS1_17partition_subalgoE4EjNS0_10empty_typeEbEEZZNS1_14partition_implILS8_4ELb0ES6_15HIP_vector_typeIjLj2EENS0_17counting_iteratorIjlEEPS9_SG_NS0_5tupleIJPjSI_NS0_16reverse_iteratorISI_EEEEENSH_IJSG_SG_SG_EEES9_SI_JZNS1_25segmented_radix_sort_implINS0_14default_configELb1EPKsPsPKlPlN2at6native12_GLOBAL__N_18offset_tEEE10hipError_tPvRmT1_PNSt15iterator_traitsIS12_E10value_typeET2_T3_PNS13_IS18_E10value_typeET4_jRbjT5_S1E_jjP12ihipStream_tbEUljE_ZNSN_ISO_Lb1ESQ_SR_ST_SU_SY_EESZ_S10_S11_S12_S16_S17_S18_S1B_S1C_jS1D_jS1E_S1E_jjS1G_bEUljE0_EEESZ_S10_S11_S18_S1C_S1E_T6_T7_T9_mT8_S1G_bDpT10_ENKUlT_T0_E_clISt17integral_constantIbLb1EES1U_EEDaS1P_S1Q_EUlS1P_E_NS1_11comp_targetILNS1_3genE9ELNS1_11target_archE1100ELNS1_3gpuE3ELNS1_3repE0EEENS1_30default_config_static_selectorELNS0_4arch9wavefront6targetE0EEEvS12_
                                        ; -- End function
	.set _ZN7rocprim17ROCPRIM_400000_NS6detail17trampoline_kernelINS0_13select_configILj256ELj13ELNS0_17block_load_methodE3ELS4_3ELS4_3ELNS0_20block_scan_algorithmE0ELj4294967295EEENS1_25partition_config_selectorILNS1_17partition_subalgoE4EjNS0_10empty_typeEbEEZZNS1_14partition_implILS8_4ELb0ES6_15HIP_vector_typeIjLj2EENS0_17counting_iteratorIjlEEPS9_SG_NS0_5tupleIJPjSI_NS0_16reverse_iteratorISI_EEEEENSH_IJSG_SG_SG_EEES9_SI_JZNS1_25segmented_radix_sort_implINS0_14default_configELb1EPKsPsPKlPlN2at6native12_GLOBAL__N_18offset_tEEE10hipError_tPvRmT1_PNSt15iterator_traitsIS12_E10value_typeET2_T3_PNS13_IS18_E10value_typeET4_jRbjT5_S1E_jjP12ihipStream_tbEUljE_ZNSN_ISO_Lb1ESQ_SR_ST_SU_SY_EESZ_S10_S11_S12_S16_S17_S18_S1B_S1C_jS1D_jS1E_S1E_jjS1G_bEUljE0_EEESZ_S10_S11_S18_S1C_S1E_T6_T7_T9_mT8_S1G_bDpT10_ENKUlT_T0_E_clISt17integral_constantIbLb1EES1U_EEDaS1P_S1Q_EUlS1P_E_NS1_11comp_targetILNS1_3genE9ELNS1_11target_archE1100ELNS1_3gpuE3ELNS1_3repE0EEENS1_30default_config_static_selectorELNS0_4arch9wavefront6targetE0EEEvS12_.num_vgpr, 0
	.set _ZN7rocprim17ROCPRIM_400000_NS6detail17trampoline_kernelINS0_13select_configILj256ELj13ELNS0_17block_load_methodE3ELS4_3ELS4_3ELNS0_20block_scan_algorithmE0ELj4294967295EEENS1_25partition_config_selectorILNS1_17partition_subalgoE4EjNS0_10empty_typeEbEEZZNS1_14partition_implILS8_4ELb0ES6_15HIP_vector_typeIjLj2EENS0_17counting_iteratorIjlEEPS9_SG_NS0_5tupleIJPjSI_NS0_16reverse_iteratorISI_EEEEENSH_IJSG_SG_SG_EEES9_SI_JZNS1_25segmented_radix_sort_implINS0_14default_configELb1EPKsPsPKlPlN2at6native12_GLOBAL__N_18offset_tEEE10hipError_tPvRmT1_PNSt15iterator_traitsIS12_E10value_typeET2_T3_PNS13_IS18_E10value_typeET4_jRbjT5_S1E_jjP12ihipStream_tbEUljE_ZNSN_ISO_Lb1ESQ_SR_ST_SU_SY_EESZ_S10_S11_S12_S16_S17_S18_S1B_S1C_jS1D_jS1E_S1E_jjS1G_bEUljE0_EEESZ_S10_S11_S18_S1C_S1E_T6_T7_T9_mT8_S1G_bDpT10_ENKUlT_T0_E_clISt17integral_constantIbLb1EES1U_EEDaS1P_S1Q_EUlS1P_E_NS1_11comp_targetILNS1_3genE9ELNS1_11target_archE1100ELNS1_3gpuE3ELNS1_3repE0EEENS1_30default_config_static_selectorELNS0_4arch9wavefront6targetE0EEEvS12_.num_agpr, 0
	.set _ZN7rocprim17ROCPRIM_400000_NS6detail17trampoline_kernelINS0_13select_configILj256ELj13ELNS0_17block_load_methodE3ELS4_3ELS4_3ELNS0_20block_scan_algorithmE0ELj4294967295EEENS1_25partition_config_selectorILNS1_17partition_subalgoE4EjNS0_10empty_typeEbEEZZNS1_14partition_implILS8_4ELb0ES6_15HIP_vector_typeIjLj2EENS0_17counting_iteratorIjlEEPS9_SG_NS0_5tupleIJPjSI_NS0_16reverse_iteratorISI_EEEEENSH_IJSG_SG_SG_EEES9_SI_JZNS1_25segmented_radix_sort_implINS0_14default_configELb1EPKsPsPKlPlN2at6native12_GLOBAL__N_18offset_tEEE10hipError_tPvRmT1_PNSt15iterator_traitsIS12_E10value_typeET2_T3_PNS13_IS18_E10value_typeET4_jRbjT5_S1E_jjP12ihipStream_tbEUljE_ZNSN_ISO_Lb1ESQ_SR_ST_SU_SY_EESZ_S10_S11_S12_S16_S17_S18_S1B_S1C_jS1D_jS1E_S1E_jjS1G_bEUljE0_EEESZ_S10_S11_S18_S1C_S1E_T6_T7_T9_mT8_S1G_bDpT10_ENKUlT_T0_E_clISt17integral_constantIbLb1EES1U_EEDaS1P_S1Q_EUlS1P_E_NS1_11comp_targetILNS1_3genE9ELNS1_11target_archE1100ELNS1_3gpuE3ELNS1_3repE0EEENS1_30default_config_static_selectorELNS0_4arch9wavefront6targetE0EEEvS12_.numbered_sgpr, 0
	.set _ZN7rocprim17ROCPRIM_400000_NS6detail17trampoline_kernelINS0_13select_configILj256ELj13ELNS0_17block_load_methodE3ELS4_3ELS4_3ELNS0_20block_scan_algorithmE0ELj4294967295EEENS1_25partition_config_selectorILNS1_17partition_subalgoE4EjNS0_10empty_typeEbEEZZNS1_14partition_implILS8_4ELb0ES6_15HIP_vector_typeIjLj2EENS0_17counting_iteratorIjlEEPS9_SG_NS0_5tupleIJPjSI_NS0_16reverse_iteratorISI_EEEEENSH_IJSG_SG_SG_EEES9_SI_JZNS1_25segmented_radix_sort_implINS0_14default_configELb1EPKsPsPKlPlN2at6native12_GLOBAL__N_18offset_tEEE10hipError_tPvRmT1_PNSt15iterator_traitsIS12_E10value_typeET2_T3_PNS13_IS18_E10value_typeET4_jRbjT5_S1E_jjP12ihipStream_tbEUljE_ZNSN_ISO_Lb1ESQ_SR_ST_SU_SY_EESZ_S10_S11_S12_S16_S17_S18_S1B_S1C_jS1D_jS1E_S1E_jjS1G_bEUljE0_EEESZ_S10_S11_S18_S1C_S1E_T6_T7_T9_mT8_S1G_bDpT10_ENKUlT_T0_E_clISt17integral_constantIbLb1EES1U_EEDaS1P_S1Q_EUlS1P_E_NS1_11comp_targetILNS1_3genE9ELNS1_11target_archE1100ELNS1_3gpuE3ELNS1_3repE0EEENS1_30default_config_static_selectorELNS0_4arch9wavefront6targetE0EEEvS12_.num_named_barrier, 0
	.set _ZN7rocprim17ROCPRIM_400000_NS6detail17trampoline_kernelINS0_13select_configILj256ELj13ELNS0_17block_load_methodE3ELS4_3ELS4_3ELNS0_20block_scan_algorithmE0ELj4294967295EEENS1_25partition_config_selectorILNS1_17partition_subalgoE4EjNS0_10empty_typeEbEEZZNS1_14partition_implILS8_4ELb0ES6_15HIP_vector_typeIjLj2EENS0_17counting_iteratorIjlEEPS9_SG_NS0_5tupleIJPjSI_NS0_16reverse_iteratorISI_EEEEENSH_IJSG_SG_SG_EEES9_SI_JZNS1_25segmented_radix_sort_implINS0_14default_configELb1EPKsPsPKlPlN2at6native12_GLOBAL__N_18offset_tEEE10hipError_tPvRmT1_PNSt15iterator_traitsIS12_E10value_typeET2_T3_PNS13_IS18_E10value_typeET4_jRbjT5_S1E_jjP12ihipStream_tbEUljE_ZNSN_ISO_Lb1ESQ_SR_ST_SU_SY_EESZ_S10_S11_S12_S16_S17_S18_S1B_S1C_jS1D_jS1E_S1E_jjS1G_bEUljE0_EEESZ_S10_S11_S18_S1C_S1E_T6_T7_T9_mT8_S1G_bDpT10_ENKUlT_T0_E_clISt17integral_constantIbLb1EES1U_EEDaS1P_S1Q_EUlS1P_E_NS1_11comp_targetILNS1_3genE9ELNS1_11target_archE1100ELNS1_3gpuE3ELNS1_3repE0EEENS1_30default_config_static_selectorELNS0_4arch9wavefront6targetE0EEEvS12_.private_seg_size, 0
	.set _ZN7rocprim17ROCPRIM_400000_NS6detail17trampoline_kernelINS0_13select_configILj256ELj13ELNS0_17block_load_methodE3ELS4_3ELS4_3ELNS0_20block_scan_algorithmE0ELj4294967295EEENS1_25partition_config_selectorILNS1_17partition_subalgoE4EjNS0_10empty_typeEbEEZZNS1_14partition_implILS8_4ELb0ES6_15HIP_vector_typeIjLj2EENS0_17counting_iteratorIjlEEPS9_SG_NS0_5tupleIJPjSI_NS0_16reverse_iteratorISI_EEEEENSH_IJSG_SG_SG_EEES9_SI_JZNS1_25segmented_radix_sort_implINS0_14default_configELb1EPKsPsPKlPlN2at6native12_GLOBAL__N_18offset_tEEE10hipError_tPvRmT1_PNSt15iterator_traitsIS12_E10value_typeET2_T3_PNS13_IS18_E10value_typeET4_jRbjT5_S1E_jjP12ihipStream_tbEUljE_ZNSN_ISO_Lb1ESQ_SR_ST_SU_SY_EESZ_S10_S11_S12_S16_S17_S18_S1B_S1C_jS1D_jS1E_S1E_jjS1G_bEUljE0_EEESZ_S10_S11_S18_S1C_S1E_T6_T7_T9_mT8_S1G_bDpT10_ENKUlT_T0_E_clISt17integral_constantIbLb1EES1U_EEDaS1P_S1Q_EUlS1P_E_NS1_11comp_targetILNS1_3genE9ELNS1_11target_archE1100ELNS1_3gpuE3ELNS1_3repE0EEENS1_30default_config_static_selectorELNS0_4arch9wavefront6targetE0EEEvS12_.uses_vcc, 0
	.set _ZN7rocprim17ROCPRIM_400000_NS6detail17trampoline_kernelINS0_13select_configILj256ELj13ELNS0_17block_load_methodE3ELS4_3ELS4_3ELNS0_20block_scan_algorithmE0ELj4294967295EEENS1_25partition_config_selectorILNS1_17partition_subalgoE4EjNS0_10empty_typeEbEEZZNS1_14partition_implILS8_4ELb0ES6_15HIP_vector_typeIjLj2EENS0_17counting_iteratorIjlEEPS9_SG_NS0_5tupleIJPjSI_NS0_16reverse_iteratorISI_EEEEENSH_IJSG_SG_SG_EEES9_SI_JZNS1_25segmented_radix_sort_implINS0_14default_configELb1EPKsPsPKlPlN2at6native12_GLOBAL__N_18offset_tEEE10hipError_tPvRmT1_PNSt15iterator_traitsIS12_E10value_typeET2_T3_PNS13_IS18_E10value_typeET4_jRbjT5_S1E_jjP12ihipStream_tbEUljE_ZNSN_ISO_Lb1ESQ_SR_ST_SU_SY_EESZ_S10_S11_S12_S16_S17_S18_S1B_S1C_jS1D_jS1E_S1E_jjS1G_bEUljE0_EEESZ_S10_S11_S18_S1C_S1E_T6_T7_T9_mT8_S1G_bDpT10_ENKUlT_T0_E_clISt17integral_constantIbLb1EES1U_EEDaS1P_S1Q_EUlS1P_E_NS1_11comp_targetILNS1_3genE9ELNS1_11target_archE1100ELNS1_3gpuE3ELNS1_3repE0EEENS1_30default_config_static_selectorELNS0_4arch9wavefront6targetE0EEEvS12_.uses_flat_scratch, 0
	.set _ZN7rocprim17ROCPRIM_400000_NS6detail17trampoline_kernelINS0_13select_configILj256ELj13ELNS0_17block_load_methodE3ELS4_3ELS4_3ELNS0_20block_scan_algorithmE0ELj4294967295EEENS1_25partition_config_selectorILNS1_17partition_subalgoE4EjNS0_10empty_typeEbEEZZNS1_14partition_implILS8_4ELb0ES6_15HIP_vector_typeIjLj2EENS0_17counting_iteratorIjlEEPS9_SG_NS0_5tupleIJPjSI_NS0_16reverse_iteratorISI_EEEEENSH_IJSG_SG_SG_EEES9_SI_JZNS1_25segmented_radix_sort_implINS0_14default_configELb1EPKsPsPKlPlN2at6native12_GLOBAL__N_18offset_tEEE10hipError_tPvRmT1_PNSt15iterator_traitsIS12_E10value_typeET2_T3_PNS13_IS18_E10value_typeET4_jRbjT5_S1E_jjP12ihipStream_tbEUljE_ZNSN_ISO_Lb1ESQ_SR_ST_SU_SY_EESZ_S10_S11_S12_S16_S17_S18_S1B_S1C_jS1D_jS1E_S1E_jjS1G_bEUljE0_EEESZ_S10_S11_S18_S1C_S1E_T6_T7_T9_mT8_S1G_bDpT10_ENKUlT_T0_E_clISt17integral_constantIbLb1EES1U_EEDaS1P_S1Q_EUlS1P_E_NS1_11comp_targetILNS1_3genE9ELNS1_11target_archE1100ELNS1_3gpuE3ELNS1_3repE0EEENS1_30default_config_static_selectorELNS0_4arch9wavefront6targetE0EEEvS12_.has_dyn_sized_stack, 0
	.set _ZN7rocprim17ROCPRIM_400000_NS6detail17trampoline_kernelINS0_13select_configILj256ELj13ELNS0_17block_load_methodE3ELS4_3ELS4_3ELNS0_20block_scan_algorithmE0ELj4294967295EEENS1_25partition_config_selectorILNS1_17partition_subalgoE4EjNS0_10empty_typeEbEEZZNS1_14partition_implILS8_4ELb0ES6_15HIP_vector_typeIjLj2EENS0_17counting_iteratorIjlEEPS9_SG_NS0_5tupleIJPjSI_NS0_16reverse_iteratorISI_EEEEENSH_IJSG_SG_SG_EEES9_SI_JZNS1_25segmented_radix_sort_implINS0_14default_configELb1EPKsPsPKlPlN2at6native12_GLOBAL__N_18offset_tEEE10hipError_tPvRmT1_PNSt15iterator_traitsIS12_E10value_typeET2_T3_PNS13_IS18_E10value_typeET4_jRbjT5_S1E_jjP12ihipStream_tbEUljE_ZNSN_ISO_Lb1ESQ_SR_ST_SU_SY_EESZ_S10_S11_S12_S16_S17_S18_S1B_S1C_jS1D_jS1E_S1E_jjS1G_bEUljE0_EEESZ_S10_S11_S18_S1C_S1E_T6_T7_T9_mT8_S1G_bDpT10_ENKUlT_T0_E_clISt17integral_constantIbLb1EES1U_EEDaS1P_S1Q_EUlS1P_E_NS1_11comp_targetILNS1_3genE9ELNS1_11target_archE1100ELNS1_3gpuE3ELNS1_3repE0EEENS1_30default_config_static_selectorELNS0_4arch9wavefront6targetE0EEEvS12_.has_recursion, 0
	.set _ZN7rocprim17ROCPRIM_400000_NS6detail17trampoline_kernelINS0_13select_configILj256ELj13ELNS0_17block_load_methodE3ELS4_3ELS4_3ELNS0_20block_scan_algorithmE0ELj4294967295EEENS1_25partition_config_selectorILNS1_17partition_subalgoE4EjNS0_10empty_typeEbEEZZNS1_14partition_implILS8_4ELb0ES6_15HIP_vector_typeIjLj2EENS0_17counting_iteratorIjlEEPS9_SG_NS0_5tupleIJPjSI_NS0_16reverse_iteratorISI_EEEEENSH_IJSG_SG_SG_EEES9_SI_JZNS1_25segmented_radix_sort_implINS0_14default_configELb1EPKsPsPKlPlN2at6native12_GLOBAL__N_18offset_tEEE10hipError_tPvRmT1_PNSt15iterator_traitsIS12_E10value_typeET2_T3_PNS13_IS18_E10value_typeET4_jRbjT5_S1E_jjP12ihipStream_tbEUljE_ZNSN_ISO_Lb1ESQ_SR_ST_SU_SY_EESZ_S10_S11_S12_S16_S17_S18_S1B_S1C_jS1D_jS1E_S1E_jjS1G_bEUljE0_EEESZ_S10_S11_S18_S1C_S1E_T6_T7_T9_mT8_S1G_bDpT10_ENKUlT_T0_E_clISt17integral_constantIbLb1EES1U_EEDaS1P_S1Q_EUlS1P_E_NS1_11comp_targetILNS1_3genE9ELNS1_11target_archE1100ELNS1_3gpuE3ELNS1_3repE0EEENS1_30default_config_static_selectorELNS0_4arch9wavefront6targetE0EEEvS12_.has_indirect_call, 0
	.section	.AMDGPU.csdata,"",@progbits
; Kernel info:
; codeLenInByte = 0
; TotalNumSgprs: 0
; NumVgprs: 0
; ScratchSize: 0
; MemoryBound: 0
; FloatMode: 240
; IeeeMode: 1
; LDSByteSize: 0 bytes/workgroup (compile time only)
; SGPRBlocks: 0
; VGPRBlocks: 0
; NumSGPRsForWavesPerEU: 1
; NumVGPRsForWavesPerEU: 1
; NamedBarCnt: 0
; Occupancy: 16
; WaveLimiterHint : 0
; COMPUTE_PGM_RSRC2:SCRATCH_EN: 0
; COMPUTE_PGM_RSRC2:USER_SGPR: 2
; COMPUTE_PGM_RSRC2:TRAP_HANDLER: 0
; COMPUTE_PGM_RSRC2:TGID_X_EN: 1
; COMPUTE_PGM_RSRC2:TGID_Y_EN: 0
; COMPUTE_PGM_RSRC2:TGID_Z_EN: 0
; COMPUTE_PGM_RSRC2:TIDIG_COMP_CNT: 0
	.section	.text._ZN7rocprim17ROCPRIM_400000_NS6detail17trampoline_kernelINS0_13select_configILj256ELj13ELNS0_17block_load_methodE3ELS4_3ELS4_3ELNS0_20block_scan_algorithmE0ELj4294967295EEENS1_25partition_config_selectorILNS1_17partition_subalgoE4EjNS0_10empty_typeEbEEZZNS1_14partition_implILS8_4ELb0ES6_15HIP_vector_typeIjLj2EENS0_17counting_iteratorIjlEEPS9_SG_NS0_5tupleIJPjSI_NS0_16reverse_iteratorISI_EEEEENSH_IJSG_SG_SG_EEES9_SI_JZNS1_25segmented_radix_sort_implINS0_14default_configELb1EPKsPsPKlPlN2at6native12_GLOBAL__N_18offset_tEEE10hipError_tPvRmT1_PNSt15iterator_traitsIS12_E10value_typeET2_T3_PNS13_IS18_E10value_typeET4_jRbjT5_S1E_jjP12ihipStream_tbEUljE_ZNSN_ISO_Lb1ESQ_SR_ST_SU_SY_EESZ_S10_S11_S12_S16_S17_S18_S1B_S1C_jS1D_jS1E_S1E_jjS1G_bEUljE0_EEESZ_S10_S11_S18_S1C_S1E_T6_T7_T9_mT8_S1G_bDpT10_ENKUlT_T0_E_clISt17integral_constantIbLb1EES1U_EEDaS1P_S1Q_EUlS1P_E_NS1_11comp_targetILNS1_3genE8ELNS1_11target_archE1030ELNS1_3gpuE2ELNS1_3repE0EEENS1_30default_config_static_selectorELNS0_4arch9wavefront6targetE0EEEvS12_,"axG",@progbits,_ZN7rocprim17ROCPRIM_400000_NS6detail17trampoline_kernelINS0_13select_configILj256ELj13ELNS0_17block_load_methodE3ELS4_3ELS4_3ELNS0_20block_scan_algorithmE0ELj4294967295EEENS1_25partition_config_selectorILNS1_17partition_subalgoE4EjNS0_10empty_typeEbEEZZNS1_14partition_implILS8_4ELb0ES6_15HIP_vector_typeIjLj2EENS0_17counting_iteratorIjlEEPS9_SG_NS0_5tupleIJPjSI_NS0_16reverse_iteratorISI_EEEEENSH_IJSG_SG_SG_EEES9_SI_JZNS1_25segmented_radix_sort_implINS0_14default_configELb1EPKsPsPKlPlN2at6native12_GLOBAL__N_18offset_tEEE10hipError_tPvRmT1_PNSt15iterator_traitsIS12_E10value_typeET2_T3_PNS13_IS18_E10value_typeET4_jRbjT5_S1E_jjP12ihipStream_tbEUljE_ZNSN_ISO_Lb1ESQ_SR_ST_SU_SY_EESZ_S10_S11_S12_S16_S17_S18_S1B_S1C_jS1D_jS1E_S1E_jjS1G_bEUljE0_EEESZ_S10_S11_S18_S1C_S1E_T6_T7_T9_mT8_S1G_bDpT10_ENKUlT_T0_E_clISt17integral_constantIbLb1EES1U_EEDaS1P_S1Q_EUlS1P_E_NS1_11comp_targetILNS1_3genE8ELNS1_11target_archE1030ELNS1_3gpuE2ELNS1_3repE0EEENS1_30default_config_static_selectorELNS0_4arch9wavefront6targetE0EEEvS12_,comdat
	.globl	_ZN7rocprim17ROCPRIM_400000_NS6detail17trampoline_kernelINS0_13select_configILj256ELj13ELNS0_17block_load_methodE3ELS4_3ELS4_3ELNS0_20block_scan_algorithmE0ELj4294967295EEENS1_25partition_config_selectorILNS1_17partition_subalgoE4EjNS0_10empty_typeEbEEZZNS1_14partition_implILS8_4ELb0ES6_15HIP_vector_typeIjLj2EENS0_17counting_iteratorIjlEEPS9_SG_NS0_5tupleIJPjSI_NS0_16reverse_iteratorISI_EEEEENSH_IJSG_SG_SG_EEES9_SI_JZNS1_25segmented_radix_sort_implINS0_14default_configELb1EPKsPsPKlPlN2at6native12_GLOBAL__N_18offset_tEEE10hipError_tPvRmT1_PNSt15iterator_traitsIS12_E10value_typeET2_T3_PNS13_IS18_E10value_typeET4_jRbjT5_S1E_jjP12ihipStream_tbEUljE_ZNSN_ISO_Lb1ESQ_SR_ST_SU_SY_EESZ_S10_S11_S12_S16_S17_S18_S1B_S1C_jS1D_jS1E_S1E_jjS1G_bEUljE0_EEESZ_S10_S11_S18_S1C_S1E_T6_T7_T9_mT8_S1G_bDpT10_ENKUlT_T0_E_clISt17integral_constantIbLb1EES1U_EEDaS1P_S1Q_EUlS1P_E_NS1_11comp_targetILNS1_3genE8ELNS1_11target_archE1030ELNS1_3gpuE2ELNS1_3repE0EEENS1_30default_config_static_selectorELNS0_4arch9wavefront6targetE0EEEvS12_ ; -- Begin function _ZN7rocprim17ROCPRIM_400000_NS6detail17trampoline_kernelINS0_13select_configILj256ELj13ELNS0_17block_load_methodE3ELS4_3ELS4_3ELNS0_20block_scan_algorithmE0ELj4294967295EEENS1_25partition_config_selectorILNS1_17partition_subalgoE4EjNS0_10empty_typeEbEEZZNS1_14partition_implILS8_4ELb0ES6_15HIP_vector_typeIjLj2EENS0_17counting_iteratorIjlEEPS9_SG_NS0_5tupleIJPjSI_NS0_16reverse_iteratorISI_EEEEENSH_IJSG_SG_SG_EEES9_SI_JZNS1_25segmented_radix_sort_implINS0_14default_configELb1EPKsPsPKlPlN2at6native12_GLOBAL__N_18offset_tEEE10hipError_tPvRmT1_PNSt15iterator_traitsIS12_E10value_typeET2_T3_PNS13_IS18_E10value_typeET4_jRbjT5_S1E_jjP12ihipStream_tbEUljE_ZNSN_ISO_Lb1ESQ_SR_ST_SU_SY_EESZ_S10_S11_S12_S16_S17_S18_S1B_S1C_jS1D_jS1E_S1E_jjS1G_bEUljE0_EEESZ_S10_S11_S18_S1C_S1E_T6_T7_T9_mT8_S1G_bDpT10_ENKUlT_T0_E_clISt17integral_constantIbLb1EES1U_EEDaS1P_S1Q_EUlS1P_E_NS1_11comp_targetILNS1_3genE8ELNS1_11target_archE1030ELNS1_3gpuE2ELNS1_3repE0EEENS1_30default_config_static_selectorELNS0_4arch9wavefront6targetE0EEEvS12_
	.p2align	8
	.type	_ZN7rocprim17ROCPRIM_400000_NS6detail17trampoline_kernelINS0_13select_configILj256ELj13ELNS0_17block_load_methodE3ELS4_3ELS4_3ELNS0_20block_scan_algorithmE0ELj4294967295EEENS1_25partition_config_selectorILNS1_17partition_subalgoE4EjNS0_10empty_typeEbEEZZNS1_14partition_implILS8_4ELb0ES6_15HIP_vector_typeIjLj2EENS0_17counting_iteratorIjlEEPS9_SG_NS0_5tupleIJPjSI_NS0_16reverse_iteratorISI_EEEEENSH_IJSG_SG_SG_EEES9_SI_JZNS1_25segmented_radix_sort_implINS0_14default_configELb1EPKsPsPKlPlN2at6native12_GLOBAL__N_18offset_tEEE10hipError_tPvRmT1_PNSt15iterator_traitsIS12_E10value_typeET2_T3_PNS13_IS18_E10value_typeET4_jRbjT5_S1E_jjP12ihipStream_tbEUljE_ZNSN_ISO_Lb1ESQ_SR_ST_SU_SY_EESZ_S10_S11_S12_S16_S17_S18_S1B_S1C_jS1D_jS1E_S1E_jjS1G_bEUljE0_EEESZ_S10_S11_S18_S1C_S1E_T6_T7_T9_mT8_S1G_bDpT10_ENKUlT_T0_E_clISt17integral_constantIbLb1EES1U_EEDaS1P_S1Q_EUlS1P_E_NS1_11comp_targetILNS1_3genE8ELNS1_11target_archE1030ELNS1_3gpuE2ELNS1_3repE0EEENS1_30default_config_static_selectorELNS0_4arch9wavefront6targetE0EEEvS12_,@function
_ZN7rocprim17ROCPRIM_400000_NS6detail17trampoline_kernelINS0_13select_configILj256ELj13ELNS0_17block_load_methodE3ELS4_3ELS4_3ELNS0_20block_scan_algorithmE0ELj4294967295EEENS1_25partition_config_selectorILNS1_17partition_subalgoE4EjNS0_10empty_typeEbEEZZNS1_14partition_implILS8_4ELb0ES6_15HIP_vector_typeIjLj2EENS0_17counting_iteratorIjlEEPS9_SG_NS0_5tupleIJPjSI_NS0_16reverse_iteratorISI_EEEEENSH_IJSG_SG_SG_EEES9_SI_JZNS1_25segmented_radix_sort_implINS0_14default_configELb1EPKsPsPKlPlN2at6native12_GLOBAL__N_18offset_tEEE10hipError_tPvRmT1_PNSt15iterator_traitsIS12_E10value_typeET2_T3_PNS13_IS18_E10value_typeET4_jRbjT5_S1E_jjP12ihipStream_tbEUljE_ZNSN_ISO_Lb1ESQ_SR_ST_SU_SY_EESZ_S10_S11_S12_S16_S17_S18_S1B_S1C_jS1D_jS1E_S1E_jjS1G_bEUljE0_EEESZ_S10_S11_S18_S1C_S1E_T6_T7_T9_mT8_S1G_bDpT10_ENKUlT_T0_E_clISt17integral_constantIbLb1EES1U_EEDaS1P_S1Q_EUlS1P_E_NS1_11comp_targetILNS1_3genE8ELNS1_11target_archE1030ELNS1_3gpuE2ELNS1_3repE0EEENS1_30default_config_static_selectorELNS0_4arch9wavefront6targetE0EEEvS12_: ; @_ZN7rocprim17ROCPRIM_400000_NS6detail17trampoline_kernelINS0_13select_configILj256ELj13ELNS0_17block_load_methodE3ELS4_3ELS4_3ELNS0_20block_scan_algorithmE0ELj4294967295EEENS1_25partition_config_selectorILNS1_17partition_subalgoE4EjNS0_10empty_typeEbEEZZNS1_14partition_implILS8_4ELb0ES6_15HIP_vector_typeIjLj2EENS0_17counting_iteratorIjlEEPS9_SG_NS0_5tupleIJPjSI_NS0_16reverse_iteratorISI_EEEEENSH_IJSG_SG_SG_EEES9_SI_JZNS1_25segmented_radix_sort_implINS0_14default_configELb1EPKsPsPKlPlN2at6native12_GLOBAL__N_18offset_tEEE10hipError_tPvRmT1_PNSt15iterator_traitsIS12_E10value_typeET2_T3_PNS13_IS18_E10value_typeET4_jRbjT5_S1E_jjP12ihipStream_tbEUljE_ZNSN_ISO_Lb1ESQ_SR_ST_SU_SY_EESZ_S10_S11_S12_S16_S17_S18_S1B_S1C_jS1D_jS1E_S1E_jjS1G_bEUljE0_EEESZ_S10_S11_S18_S1C_S1E_T6_T7_T9_mT8_S1G_bDpT10_ENKUlT_T0_E_clISt17integral_constantIbLb1EES1U_EEDaS1P_S1Q_EUlS1P_E_NS1_11comp_targetILNS1_3genE8ELNS1_11target_archE1030ELNS1_3gpuE2ELNS1_3repE0EEENS1_30default_config_static_selectorELNS0_4arch9wavefront6targetE0EEEvS12_
; %bb.0:
	.section	.rodata,"a",@progbits
	.p2align	6, 0x0
	.amdhsa_kernel _ZN7rocprim17ROCPRIM_400000_NS6detail17trampoline_kernelINS0_13select_configILj256ELj13ELNS0_17block_load_methodE3ELS4_3ELS4_3ELNS0_20block_scan_algorithmE0ELj4294967295EEENS1_25partition_config_selectorILNS1_17partition_subalgoE4EjNS0_10empty_typeEbEEZZNS1_14partition_implILS8_4ELb0ES6_15HIP_vector_typeIjLj2EENS0_17counting_iteratorIjlEEPS9_SG_NS0_5tupleIJPjSI_NS0_16reverse_iteratorISI_EEEEENSH_IJSG_SG_SG_EEES9_SI_JZNS1_25segmented_radix_sort_implINS0_14default_configELb1EPKsPsPKlPlN2at6native12_GLOBAL__N_18offset_tEEE10hipError_tPvRmT1_PNSt15iterator_traitsIS12_E10value_typeET2_T3_PNS13_IS18_E10value_typeET4_jRbjT5_S1E_jjP12ihipStream_tbEUljE_ZNSN_ISO_Lb1ESQ_SR_ST_SU_SY_EESZ_S10_S11_S12_S16_S17_S18_S1B_S1C_jS1D_jS1E_S1E_jjS1G_bEUljE0_EEESZ_S10_S11_S18_S1C_S1E_T6_T7_T9_mT8_S1G_bDpT10_ENKUlT_T0_E_clISt17integral_constantIbLb1EES1U_EEDaS1P_S1Q_EUlS1P_E_NS1_11comp_targetILNS1_3genE8ELNS1_11target_archE1030ELNS1_3gpuE2ELNS1_3repE0EEENS1_30default_config_static_selectorELNS0_4arch9wavefront6targetE0EEEvS12_
		.amdhsa_group_segment_fixed_size 0
		.amdhsa_private_segment_fixed_size 0
		.amdhsa_kernarg_size 184
		.amdhsa_user_sgpr_count 2
		.amdhsa_user_sgpr_dispatch_ptr 0
		.amdhsa_user_sgpr_queue_ptr 0
		.amdhsa_user_sgpr_kernarg_segment_ptr 1
		.amdhsa_user_sgpr_dispatch_id 0
		.amdhsa_user_sgpr_kernarg_preload_length 0
		.amdhsa_user_sgpr_kernarg_preload_offset 0
		.amdhsa_user_sgpr_private_segment_size 0
		.amdhsa_wavefront_size32 1
		.amdhsa_uses_dynamic_stack 0
		.amdhsa_enable_private_segment 0
		.amdhsa_system_sgpr_workgroup_id_x 1
		.amdhsa_system_sgpr_workgroup_id_y 0
		.amdhsa_system_sgpr_workgroup_id_z 0
		.amdhsa_system_sgpr_workgroup_info 0
		.amdhsa_system_vgpr_workitem_id 0
		.amdhsa_next_free_vgpr 1
		.amdhsa_next_free_sgpr 1
		.amdhsa_named_barrier_count 0
		.amdhsa_reserve_vcc 0
		.amdhsa_float_round_mode_32 0
		.amdhsa_float_round_mode_16_64 0
		.amdhsa_float_denorm_mode_32 3
		.amdhsa_float_denorm_mode_16_64 3
		.amdhsa_fp16_overflow 0
		.amdhsa_memory_ordered 1
		.amdhsa_forward_progress 1
		.amdhsa_inst_pref_size 0
		.amdhsa_round_robin_scheduling 0
		.amdhsa_exception_fp_ieee_invalid_op 0
		.amdhsa_exception_fp_denorm_src 0
		.amdhsa_exception_fp_ieee_div_zero 0
		.amdhsa_exception_fp_ieee_overflow 0
		.amdhsa_exception_fp_ieee_underflow 0
		.amdhsa_exception_fp_ieee_inexact 0
		.amdhsa_exception_int_div_zero 0
	.end_amdhsa_kernel
	.section	.text._ZN7rocprim17ROCPRIM_400000_NS6detail17trampoline_kernelINS0_13select_configILj256ELj13ELNS0_17block_load_methodE3ELS4_3ELS4_3ELNS0_20block_scan_algorithmE0ELj4294967295EEENS1_25partition_config_selectorILNS1_17partition_subalgoE4EjNS0_10empty_typeEbEEZZNS1_14partition_implILS8_4ELb0ES6_15HIP_vector_typeIjLj2EENS0_17counting_iteratorIjlEEPS9_SG_NS0_5tupleIJPjSI_NS0_16reverse_iteratorISI_EEEEENSH_IJSG_SG_SG_EEES9_SI_JZNS1_25segmented_radix_sort_implINS0_14default_configELb1EPKsPsPKlPlN2at6native12_GLOBAL__N_18offset_tEEE10hipError_tPvRmT1_PNSt15iterator_traitsIS12_E10value_typeET2_T3_PNS13_IS18_E10value_typeET4_jRbjT5_S1E_jjP12ihipStream_tbEUljE_ZNSN_ISO_Lb1ESQ_SR_ST_SU_SY_EESZ_S10_S11_S12_S16_S17_S18_S1B_S1C_jS1D_jS1E_S1E_jjS1G_bEUljE0_EEESZ_S10_S11_S18_S1C_S1E_T6_T7_T9_mT8_S1G_bDpT10_ENKUlT_T0_E_clISt17integral_constantIbLb1EES1U_EEDaS1P_S1Q_EUlS1P_E_NS1_11comp_targetILNS1_3genE8ELNS1_11target_archE1030ELNS1_3gpuE2ELNS1_3repE0EEENS1_30default_config_static_selectorELNS0_4arch9wavefront6targetE0EEEvS12_,"axG",@progbits,_ZN7rocprim17ROCPRIM_400000_NS6detail17trampoline_kernelINS0_13select_configILj256ELj13ELNS0_17block_load_methodE3ELS4_3ELS4_3ELNS0_20block_scan_algorithmE0ELj4294967295EEENS1_25partition_config_selectorILNS1_17partition_subalgoE4EjNS0_10empty_typeEbEEZZNS1_14partition_implILS8_4ELb0ES6_15HIP_vector_typeIjLj2EENS0_17counting_iteratorIjlEEPS9_SG_NS0_5tupleIJPjSI_NS0_16reverse_iteratorISI_EEEEENSH_IJSG_SG_SG_EEES9_SI_JZNS1_25segmented_radix_sort_implINS0_14default_configELb1EPKsPsPKlPlN2at6native12_GLOBAL__N_18offset_tEEE10hipError_tPvRmT1_PNSt15iterator_traitsIS12_E10value_typeET2_T3_PNS13_IS18_E10value_typeET4_jRbjT5_S1E_jjP12ihipStream_tbEUljE_ZNSN_ISO_Lb1ESQ_SR_ST_SU_SY_EESZ_S10_S11_S12_S16_S17_S18_S1B_S1C_jS1D_jS1E_S1E_jjS1G_bEUljE0_EEESZ_S10_S11_S18_S1C_S1E_T6_T7_T9_mT8_S1G_bDpT10_ENKUlT_T0_E_clISt17integral_constantIbLb1EES1U_EEDaS1P_S1Q_EUlS1P_E_NS1_11comp_targetILNS1_3genE8ELNS1_11target_archE1030ELNS1_3gpuE2ELNS1_3repE0EEENS1_30default_config_static_selectorELNS0_4arch9wavefront6targetE0EEEvS12_,comdat
.Lfunc_end858:
	.size	_ZN7rocprim17ROCPRIM_400000_NS6detail17trampoline_kernelINS0_13select_configILj256ELj13ELNS0_17block_load_methodE3ELS4_3ELS4_3ELNS0_20block_scan_algorithmE0ELj4294967295EEENS1_25partition_config_selectorILNS1_17partition_subalgoE4EjNS0_10empty_typeEbEEZZNS1_14partition_implILS8_4ELb0ES6_15HIP_vector_typeIjLj2EENS0_17counting_iteratorIjlEEPS9_SG_NS0_5tupleIJPjSI_NS0_16reverse_iteratorISI_EEEEENSH_IJSG_SG_SG_EEES9_SI_JZNS1_25segmented_radix_sort_implINS0_14default_configELb1EPKsPsPKlPlN2at6native12_GLOBAL__N_18offset_tEEE10hipError_tPvRmT1_PNSt15iterator_traitsIS12_E10value_typeET2_T3_PNS13_IS18_E10value_typeET4_jRbjT5_S1E_jjP12ihipStream_tbEUljE_ZNSN_ISO_Lb1ESQ_SR_ST_SU_SY_EESZ_S10_S11_S12_S16_S17_S18_S1B_S1C_jS1D_jS1E_S1E_jjS1G_bEUljE0_EEESZ_S10_S11_S18_S1C_S1E_T6_T7_T9_mT8_S1G_bDpT10_ENKUlT_T0_E_clISt17integral_constantIbLb1EES1U_EEDaS1P_S1Q_EUlS1P_E_NS1_11comp_targetILNS1_3genE8ELNS1_11target_archE1030ELNS1_3gpuE2ELNS1_3repE0EEENS1_30default_config_static_selectorELNS0_4arch9wavefront6targetE0EEEvS12_, .Lfunc_end858-_ZN7rocprim17ROCPRIM_400000_NS6detail17trampoline_kernelINS0_13select_configILj256ELj13ELNS0_17block_load_methodE3ELS4_3ELS4_3ELNS0_20block_scan_algorithmE0ELj4294967295EEENS1_25partition_config_selectorILNS1_17partition_subalgoE4EjNS0_10empty_typeEbEEZZNS1_14partition_implILS8_4ELb0ES6_15HIP_vector_typeIjLj2EENS0_17counting_iteratorIjlEEPS9_SG_NS0_5tupleIJPjSI_NS0_16reverse_iteratorISI_EEEEENSH_IJSG_SG_SG_EEES9_SI_JZNS1_25segmented_radix_sort_implINS0_14default_configELb1EPKsPsPKlPlN2at6native12_GLOBAL__N_18offset_tEEE10hipError_tPvRmT1_PNSt15iterator_traitsIS12_E10value_typeET2_T3_PNS13_IS18_E10value_typeET4_jRbjT5_S1E_jjP12ihipStream_tbEUljE_ZNSN_ISO_Lb1ESQ_SR_ST_SU_SY_EESZ_S10_S11_S12_S16_S17_S18_S1B_S1C_jS1D_jS1E_S1E_jjS1G_bEUljE0_EEESZ_S10_S11_S18_S1C_S1E_T6_T7_T9_mT8_S1G_bDpT10_ENKUlT_T0_E_clISt17integral_constantIbLb1EES1U_EEDaS1P_S1Q_EUlS1P_E_NS1_11comp_targetILNS1_3genE8ELNS1_11target_archE1030ELNS1_3gpuE2ELNS1_3repE0EEENS1_30default_config_static_selectorELNS0_4arch9wavefront6targetE0EEEvS12_
                                        ; -- End function
	.set _ZN7rocprim17ROCPRIM_400000_NS6detail17trampoline_kernelINS0_13select_configILj256ELj13ELNS0_17block_load_methodE3ELS4_3ELS4_3ELNS0_20block_scan_algorithmE0ELj4294967295EEENS1_25partition_config_selectorILNS1_17partition_subalgoE4EjNS0_10empty_typeEbEEZZNS1_14partition_implILS8_4ELb0ES6_15HIP_vector_typeIjLj2EENS0_17counting_iteratorIjlEEPS9_SG_NS0_5tupleIJPjSI_NS0_16reverse_iteratorISI_EEEEENSH_IJSG_SG_SG_EEES9_SI_JZNS1_25segmented_radix_sort_implINS0_14default_configELb1EPKsPsPKlPlN2at6native12_GLOBAL__N_18offset_tEEE10hipError_tPvRmT1_PNSt15iterator_traitsIS12_E10value_typeET2_T3_PNS13_IS18_E10value_typeET4_jRbjT5_S1E_jjP12ihipStream_tbEUljE_ZNSN_ISO_Lb1ESQ_SR_ST_SU_SY_EESZ_S10_S11_S12_S16_S17_S18_S1B_S1C_jS1D_jS1E_S1E_jjS1G_bEUljE0_EEESZ_S10_S11_S18_S1C_S1E_T6_T7_T9_mT8_S1G_bDpT10_ENKUlT_T0_E_clISt17integral_constantIbLb1EES1U_EEDaS1P_S1Q_EUlS1P_E_NS1_11comp_targetILNS1_3genE8ELNS1_11target_archE1030ELNS1_3gpuE2ELNS1_3repE0EEENS1_30default_config_static_selectorELNS0_4arch9wavefront6targetE0EEEvS12_.num_vgpr, 0
	.set _ZN7rocprim17ROCPRIM_400000_NS6detail17trampoline_kernelINS0_13select_configILj256ELj13ELNS0_17block_load_methodE3ELS4_3ELS4_3ELNS0_20block_scan_algorithmE0ELj4294967295EEENS1_25partition_config_selectorILNS1_17partition_subalgoE4EjNS0_10empty_typeEbEEZZNS1_14partition_implILS8_4ELb0ES6_15HIP_vector_typeIjLj2EENS0_17counting_iteratorIjlEEPS9_SG_NS0_5tupleIJPjSI_NS0_16reverse_iteratorISI_EEEEENSH_IJSG_SG_SG_EEES9_SI_JZNS1_25segmented_radix_sort_implINS0_14default_configELb1EPKsPsPKlPlN2at6native12_GLOBAL__N_18offset_tEEE10hipError_tPvRmT1_PNSt15iterator_traitsIS12_E10value_typeET2_T3_PNS13_IS18_E10value_typeET4_jRbjT5_S1E_jjP12ihipStream_tbEUljE_ZNSN_ISO_Lb1ESQ_SR_ST_SU_SY_EESZ_S10_S11_S12_S16_S17_S18_S1B_S1C_jS1D_jS1E_S1E_jjS1G_bEUljE0_EEESZ_S10_S11_S18_S1C_S1E_T6_T7_T9_mT8_S1G_bDpT10_ENKUlT_T0_E_clISt17integral_constantIbLb1EES1U_EEDaS1P_S1Q_EUlS1P_E_NS1_11comp_targetILNS1_3genE8ELNS1_11target_archE1030ELNS1_3gpuE2ELNS1_3repE0EEENS1_30default_config_static_selectorELNS0_4arch9wavefront6targetE0EEEvS12_.num_agpr, 0
	.set _ZN7rocprim17ROCPRIM_400000_NS6detail17trampoline_kernelINS0_13select_configILj256ELj13ELNS0_17block_load_methodE3ELS4_3ELS4_3ELNS0_20block_scan_algorithmE0ELj4294967295EEENS1_25partition_config_selectorILNS1_17partition_subalgoE4EjNS0_10empty_typeEbEEZZNS1_14partition_implILS8_4ELb0ES6_15HIP_vector_typeIjLj2EENS0_17counting_iteratorIjlEEPS9_SG_NS0_5tupleIJPjSI_NS0_16reverse_iteratorISI_EEEEENSH_IJSG_SG_SG_EEES9_SI_JZNS1_25segmented_radix_sort_implINS0_14default_configELb1EPKsPsPKlPlN2at6native12_GLOBAL__N_18offset_tEEE10hipError_tPvRmT1_PNSt15iterator_traitsIS12_E10value_typeET2_T3_PNS13_IS18_E10value_typeET4_jRbjT5_S1E_jjP12ihipStream_tbEUljE_ZNSN_ISO_Lb1ESQ_SR_ST_SU_SY_EESZ_S10_S11_S12_S16_S17_S18_S1B_S1C_jS1D_jS1E_S1E_jjS1G_bEUljE0_EEESZ_S10_S11_S18_S1C_S1E_T6_T7_T9_mT8_S1G_bDpT10_ENKUlT_T0_E_clISt17integral_constantIbLb1EES1U_EEDaS1P_S1Q_EUlS1P_E_NS1_11comp_targetILNS1_3genE8ELNS1_11target_archE1030ELNS1_3gpuE2ELNS1_3repE0EEENS1_30default_config_static_selectorELNS0_4arch9wavefront6targetE0EEEvS12_.numbered_sgpr, 0
	.set _ZN7rocprim17ROCPRIM_400000_NS6detail17trampoline_kernelINS0_13select_configILj256ELj13ELNS0_17block_load_methodE3ELS4_3ELS4_3ELNS0_20block_scan_algorithmE0ELj4294967295EEENS1_25partition_config_selectorILNS1_17partition_subalgoE4EjNS0_10empty_typeEbEEZZNS1_14partition_implILS8_4ELb0ES6_15HIP_vector_typeIjLj2EENS0_17counting_iteratorIjlEEPS9_SG_NS0_5tupleIJPjSI_NS0_16reverse_iteratorISI_EEEEENSH_IJSG_SG_SG_EEES9_SI_JZNS1_25segmented_radix_sort_implINS0_14default_configELb1EPKsPsPKlPlN2at6native12_GLOBAL__N_18offset_tEEE10hipError_tPvRmT1_PNSt15iterator_traitsIS12_E10value_typeET2_T3_PNS13_IS18_E10value_typeET4_jRbjT5_S1E_jjP12ihipStream_tbEUljE_ZNSN_ISO_Lb1ESQ_SR_ST_SU_SY_EESZ_S10_S11_S12_S16_S17_S18_S1B_S1C_jS1D_jS1E_S1E_jjS1G_bEUljE0_EEESZ_S10_S11_S18_S1C_S1E_T6_T7_T9_mT8_S1G_bDpT10_ENKUlT_T0_E_clISt17integral_constantIbLb1EES1U_EEDaS1P_S1Q_EUlS1P_E_NS1_11comp_targetILNS1_3genE8ELNS1_11target_archE1030ELNS1_3gpuE2ELNS1_3repE0EEENS1_30default_config_static_selectorELNS0_4arch9wavefront6targetE0EEEvS12_.num_named_barrier, 0
	.set _ZN7rocprim17ROCPRIM_400000_NS6detail17trampoline_kernelINS0_13select_configILj256ELj13ELNS0_17block_load_methodE3ELS4_3ELS4_3ELNS0_20block_scan_algorithmE0ELj4294967295EEENS1_25partition_config_selectorILNS1_17partition_subalgoE4EjNS0_10empty_typeEbEEZZNS1_14partition_implILS8_4ELb0ES6_15HIP_vector_typeIjLj2EENS0_17counting_iteratorIjlEEPS9_SG_NS0_5tupleIJPjSI_NS0_16reverse_iteratorISI_EEEEENSH_IJSG_SG_SG_EEES9_SI_JZNS1_25segmented_radix_sort_implINS0_14default_configELb1EPKsPsPKlPlN2at6native12_GLOBAL__N_18offset_tEEE10hipError_tPvRmT1_PNSt15iterator_traitsIS12_E10value_typeET2_T3_PNS13_IS18_E10value_typeET4_jRbjT5_S1E_jjP12ihipStream_tbEUljE_ZNSN_ISO_Lb1ESQ_SR_ST_SU_SY_EESZ_S10_S11_S12_S16_S17_S18_S1B_S1C_jS1D_jS1E_S1E_jjS1G_bEUljE0_EEESZ_S10_S11_S18_S1C_S1E_T6_T7_T9_mT8_S1G_bDpT10_ENKUlT_T0_E_clISt17integral_constantIbLb1EES1U_EEDaS1P_S1Q_EUlS1P_E_NS1_11comp_targetILNS1_3genE8ELNS1_11target_archE1030ELNS1_3gpuE2ELNS1_3repE0EEENS1_30default_config_static_selectorELNS0_4arch9wavefront6targetE0EEEvS12_.private_seg_size, 0
	.set _ZN7rocprim17ROCPRIM_400000_NS6detail17trampoline_kernelINS0_13select_configILj256ELj13ELNS0_17block_load_methodE3ELS4_3ELS4_3ELNS0_20block_scan_algorithmE0ELj4294967295EEENS1_25partition_config_selectorILNS1_17partition_subalgoE4EjNS0_10empty_typeEbEEZZNS1_14partition_implILS8_4ELb0ES6_15HIP_vector_typeIjLj2EENS0_17counting_iteratorIjlEEPS9_SG_NS0_5tupleIJPjSI_NS0_16reverse_iteratorISI_EEEEENSH_IJSG_SG_SG_EEES9_SI_JZNS1_25segmented_radix_sort_implINS0_14default_configELb1EPKsPsPKlPlN2at6native12_GLOBAL__N_18offset_tEEE10hipError_tPvRmT1_PNSt15iterator_traitsIS12_E10value_typeET2_T3_PNS13_IS18_E10value_typeET4_jRbjT5_S1E_jjP12ihipStream_tbEUljE_ZNSN_ISO_Lb1ESQ_SR_ST_SU_SY_EESZ_S10_S11_S12_S16_S17_S18_S1B_S1C_jS1D_jS1E_S1E_jjS1G_bEUljE0_EEESZ_S10_S11_S18_S1C_S1E_T6_T7_T9_mT8_S1G_bDpT10_ENKUlT_T0_E_clISt17integral_constantIbLb1EES1U_EEDaS1P_S1Q_EUlS1P_E_NS1_11comp_targetILNS1_3genE8ELNS1_11target_archE1030ELNS1_3gpuE2ELNS1_3repE0EEENS1_30default_config_static_selectorELNS0_4arch9wavefront6targetE0EEEvS12_.uses_vcc, 0
	.set _ZN7rocprim17ROCPRIM_400000_NS6detail17trampoline_kernelINS0_13select_configILj256ELj13ELNS0_17block_load_methodE3ELS4_3ELS4_3ELNS0_20block_scan_algorithmE0ELj4294967295EEENS1_25partition_config_selectorILNS1_17partition_subalgoE4EjNS0_10empty_typeEbEEZZNS1_14partition_implILS8_4ELb0ES6_15HIP_vector_typeIjLj2EENS0_17counting_iteratorIjlEEPS9_SG_NS0_5tupleIJPjSI_NS0_16reverse_iteratorISI_EEEEENSH_IJSG_SG_SG_EEES9_SI_JZNS1_25segmented_radix_sort_implINS0_14default_configELb1EPKsPsPKlPlN2at6native12_GLOBAL__N_18offset_tEEE10hipError_tPvRmT1_PNSt15iterator_traitsIS12_E10value_typeET2_T3_PNS13_IS18_E10value_typeET4_jRbjT5_S1E_jjP12ihipStream_tbEUljE_ZNSN_ISO_Lb1ESQ_SR_ST_SU_SY_EESZ_S10_S11_S12_S16_S17_S18_S1B_S1C_jS1D_jS1E_S1E_jjS1G_bEUljE0_EEESZ_S10_S11_S18_S1C_S1E_T6_T7_T9_mT8_S1G_bDpT10_ENKUlT_T0_E_clISt17integral_constantIbLb1EES1U_EEDaS1P_S1Q_EUlS1P_E_NS1_11comp_targetILNS1_3genE8ELNS1_11target_archE1030ELNS1_3gpuE2ELNS1_3repE0EEENS1_30default_config_static_selectorELNS0_4arch9wavefront6targetE0EEEvS12_.uses_flat_scratch, 0
	.set _ZN7rocprim17ROCPRIM_400000_NS6detail17trampoline_kernelINS0_13select_configILj256ELj13ELNS0_17block_load_methodE3ELS4_3ELS4_3ELNS0_20block_scan_algorithmE0ELj4294967295EEENS1_25partition_config_selectorILNS1_17partition_subalgoE4EjNS0_10empty_typeEbEEZZNS1_14partition_implILS8_4ELb0ES6_15HIP_vector_typeIjLj2EENS0_17counting_iteratorIjlEEPS9_SG_NS0_5tupleIJPjSI_NS0_16reverse_iteratorISI_EEEEENSH_IJSG_SG_SG_EEES9_SI_JZNS1_25segmented_radix_sort_implINS0_14default_configELb1EPKsPsPKlPlN2at6native12_GLOBAL__N_18offset_tEEE10hipError_tPvRmT1_PNSt15iterator_traitsIS12_E10value_typeET2_T3_PNS13_IS18_E10value_typeET4_jRbjT5_S1E_jjP12ihipStream_tbEUljE_ZNSN_ISO_Lb1ESQ_SR_ST_SU_SY_EESZ_S10_S11_S12_S16_S17_S18_S1B_S1C_jS1D_jS1E_S1E_jjS1G_bEUljE0_EEESZ_S10_S11_S18_S1C_S1E_T6_T7_T9_mT8_S1G_bDpT10_ENKUlT_T0_E_clISt17integral_constantIbLb1EES1U_EEDaS1P_S1Q_EUlS1P_E_NS1_11comp_targetILNS1_3genE8ELNS1_11target_archE1030ELNS1_3gpuE2ELNS1_3repE0EEENS1_30default_config_static_selectorELNS0_4arch9wavefront6targetE0EEEvS12_.has_dyn_sized_stack, 0
	.set _ZN7rocprim17ROCPRIM_400000_NS6detail17trampoline_kernelINS0_13select_configILj256ELj13ELNS0_17block_load_methodE3ELS4_3ELS4_3ELNS0_20block_scan_algorithmE0ELj4294967295EEENS1_25partition_config_selectorILNS1_17partition_subalgoE4EjNS0_10empty_typeEbEEZZNS1_14partition_implILS8_4ELb0ES6_15HIP_vector_typeIjLj2EENS0_17counting_iteratorIjlEEPS9_SG_NS0_5tupleIJPjSI_NS0_16reverse_iteratorISI_EEEEENSH_IJSG_SG_SG_EEES9_SI_JZNS1_25segmented_radix_sort_implINS0_14default_configELb1EPKsPsPKlPlN2at6native12_GLOBAL__N_18offset_tEEE10hipError_tPvRmT1_PNSt15iterator_traitsIS12_E10value_typeET2_T3_PNS13_IS18_E10value_typeET4_jRbjT5_S1E_jjP12ihipStream_tbEUljE_ZNSN_ISO_Lb1ESQ_SR_ST_SU_SY_EESZ_S10_S11_S12_S16_S17_S18_S1B_S1C_jS1D_jS1E_S1E_jjS1G_bEUljE0_EEESZ_S10_S11_S18_S1C_S1E_T6_T7_T9_mT8_S1G_bDpT10_ENKUlT_T0_E_clISt17integral_constantIbLb1EES1U_EEDaS1P_S1Q_EUlS1P_E_NS1_11comp_targetILNS1_3genE8ELNS1_11target_archE1030ELNS1_3gpuE2ELNS1_3repE0EEENS1_30default_config_static_selectorELNS0_4arch9wavefront6targetE0EEEvS12_.has_recursion, 0
	.set _ZN7rocprim17ROCPRIM_400000_NS6detail17trampoline_kernelINS0_13select_configILj256ELj13ELNS0_17block_load_methodE3ELS4_3ELS4_3ELNS0_20block_scan_algorithmE0ELj4294967295EEENS1_25partition_config_selectorILNS1_17partition_subalgoE4EjNS0_10empty_typeEbEEZZNS1_14partition_implILS8_4ELb0ES6_15HIP_vector_typeIjLj2EENS0_17counting_iteratorIjlEEPS9_SG_NS0_5tupleIJPjSI_NS0_16reverse_iteratorISI_EEEEENSH_IJSG_SG_SG_EEES9_SI_JZNS1_25segmented_radix_sort_implINS0_14default_configELb1EPKsPsPKlPlN2at6native12_GLOBAL__N_18offset_tEEE10hipError_tPvRmT1_PNSt15iterator_traitsIS12_E10value_typeET2_T3_PNS13_IS18_E10value_typeET4_jRbjT5_S1E_jjP12ihipStream_tbEUljE_ZNSN_ISO_Lb1ESQ_SR_ST_SU_SY_EESZ_S10_S11_S12_S16_S17_S18_S1B_S1C_jS1D_jS1E_S1E_jjS1G_bEUljE0_EEESZ_S10_S11_S18_S1C_S1E_T6_T7_T9_mT8_S1G_bDpT10_ENKUlT_T0_E_clISt17integral_constantIbLb1EES1U_EEDaS1P_S1Q_EUlS1P_E_NS1_11comp_targetILNS1_3genE8ELNS1_11target_archE1030ELNS1_3gpuE2ELNS1_3repE0EEENS1_30default_config_static_selectorELNS0_4arch9wavefront6targetE0EEEvS12_.has_indirect_call, 0
	.section	.AMDGPU.csdata,"",@progbits
; Kernel info:
; codeLenInByte = 0
; TotalNumSgprs: 0
; NumVgprs: 0
; ScratchSize: 0
; MemoryBound: 0
; FloatMode: 240
; IeeeMode: 1
; LDSByteSize: 0 bytes/workgroup (compile time only)
; SGPRBlocks: 0
; VGPRBlocks: 0
; NumSGPRsForWavesPerEU: 1
; NumVGPRsForWavesPerEU: 1
; NamedBarCnt: 0
; Occupancy: 16
; WaveLimiterHint : 0
; COMPUTE_PGM_RSRC2:SCRATCH_EN: 0
; COMPUTE_PGM_RSRC2:USER_SGPR: 2
; COMPUTE_PGM_RSRC2:TRAP_HANDLER: 0
; COMPUTE_PGM_RSRC2:TGID_X_EN: 1
; COMPUTE_PGM_RSRC2:TGID_Y_EN: 0
; COMPUTE_PGM_RSRC2:TGID_Z_EN: 0
; COMPUTE_PGM_RSRC2:TIDIG_COMP_CNT: 0
	.section	.text._ZN7rocprim17ROCPRIM_400000_NS6detail17trampoline_kernelINS0_13select_configILj256ELj13ELNS0_17block_load_methodE3ELS4_3ELS4_3ELNS0_20block_scan_algorithmE0ELj4294967295EEENS1_25partition_config_selectorILNS1_17partition_subalgoE4EjNS0_10empty_typeEbEEZZNS1_14partition_implILS8_4ELb0ES6_15HIP_vector_typeIjLj2EENS0_17counting_iteratorIjlEEPS9_SG_NS0_5tupleIJPjSI_NS0_16reverse_iteratorISI_EEEEENSH_IJSG_SG_SG_EEES9_SI_JZNS1_25segmented_radix_sort_implINS0_14default_configELb1EPKsPsPKlPlN2at6native12_GLOBAL__N_18offset_tEEE10hipError_tPvRmT1_PNSt15iterator_traitsIS12_E10value_typeET2_T3_PNS13_IS18_E10value_typeET4_jRbjT5_S1E_jjP12ihipStream_tbEUljE_ZNSN_ISO_Lb1ESQ_SR_ST_SU_SY_EESZ_S10_S11_S12_S16_S17_S18_S1B_S1C_jS1D_jS1E_S1E_jjS1G_bEUljE0_EEESZ_S10_S11_S18_S1C_S1E_T6_T7_T9_mT8_S1G_bDpT10_ENKUlT_T0_E_clISt17integral_constantIbLb1EES1T_IbLb0EEEEDaS1P_S1Q_EUlS1P_E_NS1_11comp_targetILNS1_3genE0ELNS1_11target_archE4294967295ELNS1_3gpuE0ELNS1_3repE0EEENS1_30default_config_static_selectorELNS0_4arch9wavefront6targetE0EEEvS12_,"axG",@progbits,_ZN7rocprim17ROCPRIM_400000_NS6detail17trampoline_kernelINS0_13select_configILj256ELj13ELNS0_17block_load_methodE3ELS4_3ELS4_3ELNS0_20block_scan_algorithmE0ELj4294967295EEENS1_25partition_config_selectorILNS1_17partition_subalgoE4EjNS0_10empty_typeEbEEZZNS1_14partition_implILS8_4ELb0ES6_15HIP_vector_typeIjLj2EENS0_17counting_iteratorIjlEEPS9_SG_NS0_5tupleIJPjSI_NS0_16reverse_iteratorISI_EEEEENSH_IJSG_SG_SG_EEES9_SI_JZNS1_25segmented_radix_sort_implINS0_14default_configELb1EPKsPsPKlPlN2at6native12_GLOBAL__N_18offset_tEEE10hipError_tPvRmT1_PNSt15iterator_traitsIS12_E10value_typeET2_T3_PNS13_IS18_E10value_typeET4_jRbjT5_S1E_jjP12ihipStream_tbEUljE_ZNSN_ISO_Lb1ESQ_SR_ST_SU_SY_EESZ_S10_S11_S12_S16_S17_S18_S1B_S1C_jS1D_jS1E_S1E_jjS1G_bEUljE0_EEESZ_S10_S11_S18_S1C_S1E_T6_T7_T9_mT8_S1G_bDpT10_ENKUlT_T0_E_clISt17integral_constantIbLb1EES1T_IbLb0EEEEDaS1P_S1Q_EUlS1P_E_NS1_11comp_targetILNS1_3genE0ELNS1_11target_archE4294967295ELNS1_3gpuE0ELNS1_3repE0EEENS1_30default_config_static_selectorELNS0_4arch9wavefront6targetE0EEEvS12_,comdat
	.globl	_ZN7rocprim17ROCPRIM_400000_NS6detail17trampoline_kernelINS0_13select_configILj256ELj13ELNS0_17block_load_methodE3ELS4_3ELS4_3ELNS0_20block_scan_algorithmE0ELj4294967295EEENS1_25partition_config_selectorILNS1_17partition_subalgoE4EjNS0_10empty_typeEbEEZZNS1_14partition_implILS8_4ELb0ES6_15HIP_vector_typeIjLj2EENS0_17counting_iteratorIjlEEPS9_SG_NS0_5tupleIJPjSI_NS0_16reverse_iteratorISI_EEEEENSH_IJSG_SG_SG_EEES9_SI_JZNS1_25segmented_radix_sort_implINS0_14default_configELb1EPKsPsPKlPlN2at6native12_GLOBAL__N_18offset_tEEE10hipError_tPvRmT1_PNSt15iterator_traitsIS12_E10value_typeET2_T3_PNS13_IS18_E10value_typeET4_jRbjT5_S1E_jjP12ihipStream_tbEUljE_ZNSN_ISO_Lb1ESQ_SR_ST_SU_SY_EESZ_S10_S11_S12_S16_S17_S18_S1B_S1C_jS1D_jS1E_S1E_jjS1G_bEUljE0_EEESZ_S10_S11_S18_S1C_S1E_T6_T7_T9_mT8_S1G_bDpT10_ENKUlT_T0_E_clISt17integral_constantIbLb1EES1T_IbLb0EEEEDaS1P_S1Q_EUlS1P_E_NS1_11comp_targetILNS1_3genE0ELNS1_11target_archE4294967295ELNS1_3gpuE0ELNS1_3repE0EEENS1_30default_config_static_selectorELNS0_4arch9wavefront6targetE0EEEvS12_ ; -- Begin function _ZN7rocprim17ROCPRIM_400000_NS6detail17trampoline_kernelINS0_13select_configILj256ELj13ELNS0_17block_load_methodE3ELS4_3ELS4_3ELNS0_20block_scan_algorithmE0ELj4294967295EEENS1_25partition_config_selectorILNS1_17partition_subalgoE4EjNS0_10empty_typeEbEEZZNS1_14partition_implILS8_4ELb0ES6_15HIP_vector_typeIjLj2EENS0_17counting_iteratorIjlEEPS9_SG_NS0_5tupleIJPjSI_NS0_16reverse_iteratorISI_EEEEENSH_IJSG_SG_SG_EEES9_SI_JZNS1_25segmented_radix_sort_implINS0_14default_configELb1EPKsPsPKlPlN2at6native12_GLOBAL__N_18offset_tEEE10hipError_tPvRmT1_PNSt15iterator_traitsIS12_E10value_typeET2_T3_PNS13_IS18_E10value_typeET4_jRbjT5_S1E_jjP12ihipStream_tbEUljE_ZNSN_ISO_Lb1ESQ_SR_ST_SU_SY_EESZ_S10_S11_S12_S16_S17_S18_S1B_S1C_jS1D_jS1E_S1E_jjS1G_bEUljE0_EEESZ_S10_S11_S18_S1C_S1E_T6_T7_T9_mT8_S1G_bDpT10_ENKUlT_T0_E_clISt17integral_constantIbLb1EES1T_IbLb0EEEEDaS1P_S1Q_EUlS1P_E_NS1_11comp_targetILNS1_3genE0ELNS1_11target_archE4294967295ELNS1_3gpuE0ELNS1_3repE0EEENS1_30default_config_static_selectorELNS0_4arch9wavefront6targetE0EEEvS12_
	.p2align	8
	.type	_ZN7rocprim17ROCPRIM_400000_NS6detail17trampoline_kernelINS0_13select_configILj256ELj13ELNS0_17block_load_methodE3ELS4_3ELS4_3ELNS0_20block_scan_algorithmE0ELj4294967295EEENS1_25partition_config_selectorILNS1_17partition_subalgoE4EjNS0_10empty_typeEbEEZZNS1_14partition_implILS8_4ELb0ES6_15HIP_vector_typeIjLj2EENS0_17counting_iteratorIjlEEPS9_SG_NS0_5tupleIJPjSI_NS0_16reverse_iteratorISI_EEEEENSH_IJSG_SG_SG_EEES9_SI_JZNS1_25segmented_radix_sort_implINS0_14default_configELb1EPKsPsPKlPlN2at6native12_GLOBAL__N_18offset_tEEE10hipError_tPvRmT1_PNSt15iterator_traitsIS12_E10value_typeET2_T3_PNS13_IS18_E10value_typeET4_jRbjT5_S1E_jjP12ihipStream_tbEUljE_ZNSN_ISO_Lb1ESQ_SR_ST_SU_SY_EESZ_S10_S11_S12_S16_S17_S18_S1B_S1C_jS1D_jS1E_S1E_jjS1G_bEUljE0_EEESZ_S10_S11_S18_S1C_S1E_T6_T7_T9_mT8_S1G_bDpT10_ENKUlT_T0_E_clISt17integral_constantIbLb1EES1T_IbLb0EEEEDaS1P_S1Q_EUlS1P_E_NS1_11comp_targetILNS1_3genE0ELNS1_11target_archE4294967295ELNS1_3gpuE0ELNS1_3repE0EEENS1_30default_config_static_selectorELNS0_4arch9wavefront6targetE0EEEvS12_,@function
_ZN7rocprim17ROCPRIM_400000_NS6detail17trampoline_kernelINS0_13select_configILj256ELj13ELNS0_17block_load_methodE3ELS4_3ELS4_3ELNS0_20block_scan_algorithmE0ELj4294967295EEENS1_25partition_config_selectorILNS1_17partition_subalgoE4EjNS0_10empty_typeEbEEZZNS1_14partition_implILS8_4ELb0ES6_15HIP_vector_typeIjLj2EENS0_17counting_iteratorIjlEEPS9_SG_NS0_5tupleIJPjSI_NS0_16reverse_iteratorISI_EEEEENSH_IJSG_SG_SG_EEES9_SI_JZNS1_25segmented_radix_sort_implINS0_14default_configELb1EPKsPsPKlPlN2at6native12_GLOBAL__N_18offset_tEEE10hipError_tPvRmT1_PNSt15iterator_traitsIS12_E10value_typeET2_T3_PNS13_IS18_E10value_typeET4_jRbjT5_S1E_jjP12ihipStream_tbEUljE_ZNSN_ISO_Lb1ESQ_SR_ST_SU_SY_EESZ_S10_S11_S12_S16_S17_S18_S1B_S1C_jS1D_jS1E_S1E_jjS1G_bEUljE0_EEESZ_S10_S11_S18_S1C_S1E_T6_T7_T9_mT8_S1G_bDpT10_ENKUlT_T0_E_clISt17integral_constantIbLb1EES1T_IbLb0EEEEDaS1P_S1Q_EUlS1P_E_NS1_11comp_targetILNS1_3genE0ELNS1_11target_archE4294967295ELNS1_3gpuE0ELNS1_3repE0EEENS1_30default_config_static_selectorELNS0_4arch9wavefront6targetE0EEEvS12_: ; @_ZN7rocprim17ROCPRIM_400000_NS6detail17trampoline_kernelINS0_13select_configILj256ELj13ELNS0_17block_load_methodE3ELS4_3ELS4_3ELNS0_20block_scan_algorithmE0ELj4294967295EEENS1_25partition_config_selectorILNS1_17partition_subalgoE4EjNS0_10empty_typeEbEEZZNS1_14partition_implILS8_4ELb0ES6_15HIP_vector_typeIjLj2EENS0_17counting_iteratorIjlEEPS9_SG_NS0_5tupleIJPjSI_NS0_16reverse_iteratorISI_EEEEENSH_IJSG_SG_SG_EEES9_SI_JZNS1_25segmented_radix_sort_implINS0_14default_configELb1EPKsPsPKlPlN2at6native12_GLOBAL__N_18offset_tEEE10hipError_tPvRmT1_PNSt15iterator_traitsIS12_E10value_typeET2_T3_PNS13_IS18_E10value_typeET4_jRbjT5_S1E_jjP12ihipStream_tbEUljE_ZNSN_ISO_Lb1ESQ_SR_ST_SU_SY_EESZ_S10_S11_S12_S16_S17_S18_S1B_S1C_jS1D_jS1E_S1E_jjS1G_bEUljE0_EEESZ_S10_S11_S18_S1C_S1E_T6_T7_T9_mT8_S1G_bDpT10_ENKUlT_T0_E_clISt17integral_constantIbLb1EES1T_IbLb0EEEEDaS1P_S1Q_EUlS1P_E_NS1_11comp_targetILNS1_3genE0ELNS1_11target_archE4294967295ELNS1_3gpuE0ELNS1_3repE0EEENS1_30default_config_static_selectorELNS0_4arch9wavefront6targetE0EEEvS12_
; %bb.0:
	s_endpgm
	.section	.rodata,"a",@progbits
	.p2align	6, 0x0
	.amdhsa_kernel _ZN7rocprim17ROCPRIM_400000_NS6detail17trampoline_kernelINS0_13select_configILj256ELj13ELNS0_17block_load_methodE3ELS4_3ELS4_3ELNS0_20block_scan_algorithmE0ELj4294967295EEENS1_25partition_config_selectorILNS1_17partition_subalgoE4EjNS0_10empty_typeEbEEZZNS1_14partition_implILS8_4ELb0ES6_15HIP_vector_typeIjLj2EENS0_17counting_iteratorIjlEEPS9_SG_NS0_5tupleIJPjSI_NS0_16reverse_iteratorISI_EEEEENSH_IJSG_SG_SG_EEES9_SI_JZNS1_25segmented_radix_sort_implINS0_14default_configELb1EPKsPsPKlPlN2at6native12_GLOBAL__N_18offset_tEEE10hipError_tPvRmT1_PNSt15iterator_traitsIS12_E10value_typeET2_T3_PNS13_IS18_E10value_typeET4_jRbjT5_S1E_jjP12ihipStream_tbEUljE_ZNSN_ISO_Lb1ESQ_SR_ST_SU_SY_EESZ_S10_S11_S12_S16_S17_S18_S1B_S1C_jS1D_jS1E_S1E_jjS1G_bEUljE0_EEESZ_S10_S11_S18_S1C_S1E_T6_T7_T9_mT8_S1G_bDpT10_ENKUlT_T0_E_clISt17integral_constantIbLb1EES1T_IbLb0EEEEDaS1P_S1Q_EUlS1P_E_NS1_11comp_targetILNS1_3genE0ELNS1_11target_archE4294967295ELNS1_3gpuE0ELNS1_3repE0EEENS1_30default_config_static_selectorELNS0_4arch9wavefront6targetE0EEEvS12_
		.amdhsa_group_segment_fixed_size 0
		.amdhsa_private_segment_fixed_size 0
		.amdhsa_kernarg_size 176
		.amdhsa_user_sgpr_count 2
		.amdhsa_user_sgpr_dispatch_ptr 0
		.amdhsa_user_sgpr_queue_ptr 0
		.amdhsa_user_sgpr_kernarg_segment_ptr 1
		.amdhsa_user_sgpr_dispatch_id 0
		.amdhsa_user_sgpr_kernarg_preload_length 0
		.amdhsa_user_sgpr_kernarg_preload_offset 0
		.amdhsa_user_sgpr_private_segment_size 0
		.amdhsa_wavefront_size32 1
		.amdhsa_uses_dynamic_stack 0
		.amdhsa_enable_private_segment 0
		.amdhsa_system_sgpr_workgroup_id_x 1
		.amdhsa_system_sgpr_workgroup_id_y 0
		.amdhsa_system_sgpr_workgroup_id_z 0
		.amdhsa_system_sgpr_workgroup_info 0
		.amdhsa_system_vgpr_workitem_id 0
		.amdhsa_next_free_vgpr 1
		.amdhsa_next_free_sgpr 1
		.amdhsa_named_barrier_count 0
		.amdhsa_reserve_vcc 0
		.amdhsa_float_round_mode_32 0
		.amdhsa_float_round_mode_16_64 0
		.amdhsa_float_denorm_mode_32 3
		.amdhsa_float_denorm_mode_16_64 3
		.amdhsa_fp16_overflow 0
		.amdhsa_memory_ordered 1
		.amdhsa_forward_progress 1
		.amdhsa_inst_pref_size 1
		.amdhsa_round_robin_scheduling 0
		.amdhsa_exception_fp_ieee_invalid_op 0
		.amdhsa_exception_fp_denorm_src 0
		.amdhsa_exception_fp_ieee_div_zero 0
		.amdhsa_exception_fp_ieee_overflow 0
		.amdhsa_exception_fp_ieee_underflow 0
		.amdhsa_exception_fp_ieee_inexact 0
		.amdhsa_exception_int_div_zero 0
	.end_amdhsa_kernel
	.section	.text._ZN7rocprim17ROCPRIM_400000_NS6detail17trampoline_kernelINS0_13select_configILj256ELj13ELNS0_17block_load_methodE3ELS4_3ELS4_3ELNS0_20block_scan_algorithmE0ELj4294967295EEENS1_25partition_config_selectorILNS1_17partition_subalgoE4EjNS0_10empty_typeEbEEZZNS1_14partition_implILS8_4ELb0ES6_15HIP_vector_typeIjLj2EENS0_17counting_iteratorIjlEEPS9_SG_NS0_5tupleIJPjSI_NS0_16reverse_iteratorISI_EEEEENSH_IJSG_SG_SG_EEES9_SI_JZNS1_25segmented_radix_sort_implINS0_14default_configELb1EPKsPsPKlPlN2at6native12_GLOBAL__N_18offset_tEEE10hipError_tPvRmT1_PNSt15iterator_traitsIS12_E10value_typeET2_T3_PNS13_IS18_E10value_typeET4_jRbjT5_S1E_jjP12ihipStream_tbEUljE_ZNSN_ISO_Lb1ESQ_SR_ST_SU_SY_EESZ_S10_S11_S12_S16_S17_S18_S1B_S1C_jS1D_jS1E_S1E_jjS1G_bEUljE0_EEESZ_S10_S11_S18_S1C_S1E_T6_T7_T9_mT8_S1G_bDpT10_ENKUlT_T0_E_clISt17integral_constantIbLb1EES1T_IbLb0EEEEDaS1P_S1Q_EUlS1P_E_NS1_11comp_targetILNS1_3genE0ELNS1_11target_archE4294967295ELNS1_3gpuE0ELNS1_3repE0EEENS1_30default_config_static_selectorELNS0_4arch9wavefront6targetE0EEEvS12_,"axG",@progbits,_ZN7rocprim17ROCPRIM_400000_NS6detail17trampoline_kernelINS0_13select_configILj256ELj13ELNS0_17block_load_methodE3ELS4_3ELS4_3ELNS0_20block_scan_algorithmE0ELj4294967295EEENS1_25partition_config_selectorILNS1_17partition_subalgoE4EjNS0_10empty_typeEbEEZZNS1_14partition_implILS8_4ELb0ES6_15HIP_vector_typeIjLj2EENS0_17counting_iteratorIjlEEPS9_SG_NS0_5tupleIJPjSI_NS0_16reverse_iteratorISI_EEEEENSH_IJSG_SG_SG_EEES9_SI_JZNS1_25segmented_radix_sort_implINS0_14default_configELb1EPKsPsPKlPlN2at6native12_GLOBAL__N_18offset_tEEE10hipError_tPvRmT1_PNSt15iterator_traitsIS12_E10value_typeET2_T3_PNS13_IS18_E10value_typeET4_jRbjT5_S1E_jjP12ihipStream_tbEUljE_ZNSN_ISO_Lb1ESQ_SR_ST_SU_SY_EESZ_S10_S11_S12_S16_S17_S18_S1B_S1C_jS1D_jS1E_S1E_jjS1G_bEUljE0_EEESZ_S10_S11_S18_S1C_S1E_T6_T7_T9_mT8_S1G_bDpT10_ENKUlT_T0_E_clISt17integral_constantIbLb1EES1T_IbLb0EEEEDaS1P_S1Q_EUlS1P_E_NS1_11comp_targetILNS1_3genE0ELNS1_11target_archE4294967295ELNS1_3gpuE0ELNS1_3repE0EEENS1_30default_config_static_selectorELNS0_4arch9wavefront6targetE0EEEvS12_,comdat
.Lfunc_end859:
	.size	_ZN7rocprim17ROCPRIM_400000_NS6detail17trampoline_kernelINS0_13select_configILj256ELj13ELNS0_17block_load_methodE3ELS4_3ELS4_3ELNS0_20block_scan_algorithmE0ELj4294967295EEENS1_25partition_config_selectorILNS1_17partition_subalgoE4EjNS0_10empty_typeEbEEZZNS1_14partition_implILS8_4ELb0ES6_15HIP_vector_typeIjLj2EENS0_17counting_iteratorIjlEEPS9_SG_NS0_5tupleIJPjSI_NS0_16reverse_iteratorISI_EEEEENSH_IJSG_SG_SG_EEES9_SI_JZNS1_25segmented_radix_sort_implINS0_14default_configELb1EPKsPsPKlPlN2at6native12_GLOBAL__N_18offset_tEEE10hipError_tPvRmT1_PNSt15iterator_traitsIS12_E10value_typeET2_T3_PNS13_IS18_E10value_typeET4_jRbjT5_S1E_jjP12ihipStream_tbEUljE_ZNSN_ISO_Lb1ESQ_SR_ST_SU_SY_EESZ_S10_S11_S12_S16_S17_S18_S1B_S1C_jS1D_jS1E_S1E_jjS1G_bEUljE0_EEESZ_S10_S11_S18_S1C_S1E_T6_T7_T9_mT8_S1G_bDpT10_ENKUlT_T0_E_clISt17integral_constantIbLb1EES1T_IbLb0EEEEDaS1P_S1Q_EUlS1P_E_NS1_11comp_targetILNS1_3genE0ELNS1_11target_archE4294967295ELNS1_3gpuE0ELNS1_3repE0EEENS1_30default_config_static_selectorELNS0_4arch9wavefront6targetE0EEEvS12_, .Lfunc_end859-_ZN7rocprim17ROCPRIM_400000_NS6detail17trampoline_kernelINS0_13select_configILj256ELj13ELNS0_17block_load_methodE3ELS4_3ELS4_3ELNS0_20block_scan_algorithmE0ELj4294967295EEENS1_25partition_config_selectorILNS1_17partition_subalgoE4EjNS0_10empty_typeEbEEZZNS1_14partition_implILS8_4ELb0ES6_15HIP_vector_typeIjLj2EENS0_17counting_iteratorIjlEEPS9_SG_NS0_5tupleIJPjSI_NS0_16reverse_iteratorISI_EEEEENSH_IJSG_SG_SG_EEES9_SI_JZNS1_25segmented_radix_sort_implINS0_14default_configELb1EPKsPsPKlPlN2at6native12_GLOBAL__N_18offset_tEEE10hipError_tPvRmT1_PNSt15iterator_traitsIS12_E10value_typeET2_T3_PNS13_IS18_E10value_typeET4_jRbjT5_S1E_jjP12ihipStream_tbEUljE_ZNSN_ISO_Lb1ESQ_SR_ST_SU_SY_EESZ_S10_S11_S12_S16_S17_S18_S1B_S1C_jS1D_jS1E_S1E_jjS1G_bEUljE0_EEESZ_S10_S11_S18_S1C_S1E_T6_T7_T9_mT8_S1G_bDpT10_ENKUlT_T0_E_clISt17integral_constantIbLb1EES1T_IbLb0EEEEDaS1P_S1Q_EUlS1P_E_NS1_11comp_targetILNS1_3genE0ELNS1_11target_archE4294967295ELNS1_3gpuE0ELNS1_3repE0EEENS1_30default_config_static_selectorELNS0_4arch9wavefront6targetE0EEEvS12_
                                        ; -- End function
	.set _ZN7rocprim17ROCPRIM_400000_NS6detail17trampoline_kernelINS0_13select_configILj256ELj13ELNS0_17block_load_methodE3ELS4_3ELS4_3ELNS0_20block_scan_algorithmE0ELj4294967295EEENS1_25partition_config_selectorILNS1_17partition_subalgoE4EjNS0_10empty_typeEbEEZZNS1_14partition_implILS8_4ELb0ES6_15HIP_vector_typeIjLj2EENS0_17counting_iteratorIjlEEPS9_SG_NS0_5tupleIJPjSI_NS0_16reverse_iteratorISI_EEEEENSH_IJSG_SG_SG_EEES9_SI_JZNS1_25segmented_radix_sort_implINS0_14default_configELb1EPKsPsPKlPlN2at6native12_GLOBAL__N_18offset_tEEE10hipError_tPvRmT1_PNSt15iterator_traitsIS12_E10value_typeET2_T3_PNS13_IS18_E10value_typeET4_jRbjT5_S1E_jjP12ihipStream_tbEUljE_ZNSN_ISO_Lb1ESQ_SR_ST_SU_SY_EESZ_S10_S11_S12_S16_S17_S18_S1B_S1C_jS1D_jS1E_S1E_jjS1G_bEUljE0_EEESZ_S10_S11_S18_S1C_S1E_T6_T7_T9_mT8_S1G_bDpT10_ENKUlT_T0_E_clISt17integral_constantIbLb1EES1T_IbLb0EEEEDaS1P_S1Q_EUlS1P_E_NS1_11comp_targetILNS1_3genE0ELNS1_11target_archE4294967295ELNS1_3gpuE0ELNS1_3repE0EEENS1_30default_config_static_selectorELNS0_4arch9wavefront6targetE0EEEvS12_.num_vgpr, 0
	.set _ZN7rocprim17ROCPRIM_400000_NS6detail17trampoline_kernelINS0_13select_configILj256ELj13ELNS0_17block_load_methodE3ELS4_3ELS4_3ELNS0_20block_scan_algorithmE0ELj4294967295EEENS1_25partition_config_selectorILNS1_17partition_subalgoE4EjNS0_10empty_typeEbEEZZNS1_14partition_implILS8_4ELb0ES6_15HIP_vector_typeIjLj2EENS0_17counting_iteratorIjlEEPS9_SG_NS0_5tupleIJPjSI_NS0_16reverse_iteratorISI_EEEEENSH_IJSG_SG_SG_EEES9_SI_JZNS1_25segmented_radix_sort_implINS0_14default_configELb1EPKsPsPKlPlN2at6native12_GLOBAL__N_18offset_tEEE10hipError_tPvRmT1_PNSt15iterator_traitsIS12_E10value_typeET2_T3_PNS13_IS18_E10value_typeET4_jRbjT5_S1E_jjP12ihipStream_tbEUljE_ZNSN_ISO_Lb1ESQ_SR_ST_SU_SY_EESZ_S10_S11_S12_S16_S17_S18_S1B_S1C_jS1D_jS1E_S1E_jjS1G_bEUljE0_EEESZ_S10_S11_S18_S1C_S1E_T6_T7_T9_mT8_S1G_bDpT10_ENKUlT_T0_E_clISt17integral_constantIbLb1EES1T_IbLb0EEEEDaS1P_S1Q_EUlS1P_E_NS1_11comp_targetILNS1_3genE0ELNS1_11target_archE4294967295ELNS1_3gpuE0ELNS1_3repE0EEENS1_30default_config_static_selectorELNS0_4arch9wavefront6targetE0EEEvS12_.num_agpr, 0
	.set _ZN7rocprim17ROCPRIM_400000_NS6detail17trampoline_kernelINS0_13select_configILj256ELj13ELNS0_17block_load_methodE3ELS4_3ELS4_3ELNS0_20block_scan_algorithmE0ELj4294967295EEENS1_25partition_config_selectorILNS1_17partition_subalgoE4EjNS0_10empty_typeEbEEZZNS1_14partition_implILS8_4ELb0ES6_15HIP_vector_typeIjLj2EENS0_17counting_iteratorIjlEEPS9_SG_NS0_5tupleIJPjSI_NS0_16reverse_iteratorISI_EEEEENSH_IJSG_SG_SG_EEES9_SI_JZNS1_25segmented_radix_sort_implINS0_14default_configELb1EPKsPsPKlPlN2at6native12_GLOBAL__N_18offset_tEEE10hipError_tPvRmT1_PNSt15iterator_traitsIS12_E10value_typeET2_T3_PNS13_IS18_E10value_typeET4_jRbjT5_S1E_jjP12ihipStream_tbEUljE_ZNSN_ISO_Lb1ESQ_SR_ST_SU_SY_EESZ_S10_S11_S12_S16_S17_S18_S1B_S1C_jS1D_jS1E_S1E_jjS1G_bEUljE0_EEESZ_S10_S11_S18_S1C_S1E_T6_T7_T9_mT8_S1G_bDpT10_ENKUlT_T0_E_clISt17integral_constantIbLb1EES1T_IbLb0EEEEDaS1P_S1Q_EUlS1P_E_NS1_11comp_targetILNS1_3genE0ELNS1_11target_archE4294967295ELNS1_3gpuE0ELNS1_3repE0EEENS1_30default_config_static_selectorELNS0_4arch9wavefront6targetE0EEEvS12_.numbered_sgpr, 0
	.set _ZN7rocprim17ROCPRIM_400000_NS6detail17trampoline_kernelINS0_13select_configILj256ELj13ELNS0_17block_load_methodE3ELS4_3ELS4_3ELNS0_20block_scan_algorithmE0ELj4294967295EEENS1_25partition_config_selectorILNS1_17partition_subalgoE4EjNS0_10empty_typeEbEEZZNS1_14partition_implILS8_4ELb0ES6_15HIP_vector_typeIjLj2EENS0_17counting_iteratorIjlEEPS9_SG_NS0_5tupleIJPjSI_NS0_16reverse_iteratorISI_EEEEENSH_IJSG_SG_SG_EEES9_SI_JZNS1_25segmented_radix_sort_implINS0_14default_configELb1EPKsPsPKlPlN2at6native12_GLOBAL__N_18offset_tEEE10hipError_tPvRmT1_PNSt15iterator_traitsIS12_E10value_typeET2_T3_PNS13_IS18_E10value_typeET4_jRbjT5_S1E_jjP12ihipStream_tbEUljE_ZNSN_ISO_Lb1ESQ_SR_ST_SU_SY_EESZ_S10_S11_S12_S16_S17_S18_S1B_S1C_jS1D_jS1E_S1E_jjS1G_bEUljE0_EEESZ_S10_S11_S18_S1C_S1E_T6_T7_T9_mT8_S1G_bDpT10_ENKUlT_T0_E_clISt17integral_constantIbLb1EES1T_IbLb0EEEEDaS1P_S1Q_EUlS1P_E_NS1_11comp_targetILNS1_3genE0ELNS1_11target_archE4294967295ELNS1_3gpuE0ELNS1_3repE0EEENS1_30default_config_static_selectorELNS0_4arch9wavefront6targetE0EEEvS12_.num_named_barrier, 0
	.set _ZN7rocprim17ROCPRIM_400000_NS6detail17trampoline_kernelINS0_13select_configILj256ELj13ELNS0_17block_load_methodE3ELS4_3ELS4_3ELNS0_20block_scan_algorithmE0ELj4294967295EEENS1_25partition_config_selectorILNS1_17partition_subalgoE4EjNS0_10empty_typeEbEEZZNS1_14partition_implILS8_4ELb0ES6_15HIP_vector_typeIjLj2EENS0_17counting_iteratorIjlEEPS9_SG_NS0_5tupleIJPjSI_NS0_16reverse_iteratorISI_EEEEENSH_IJSG_SG_SG_EEES9_SI_JZNS1_25segmented_radix_sort_implINS0_14default_configELb1EPKsPsPKlPlN2at6native12_GLOBAL__N_18offset_tEEE10hipError_tPvRmT1_PNSt15iterator_traitsIS12_E10value_typeET2_T3_PNS13_IS18_E10value_typeET4_jRbjT5_S1E_jjP12ihipStream_tbEUljE_ZNSN_ISO_Lb1ESQ_SR_ST_SU_SY_EESZ_S10_S11_S12_S16_S17_S18_S1B_S1C_jS1D_jS1E_S1E_jjS1G_bEUljE0_EEESZ_S10_S11_S18_S1C_S1E_T6_T7_T9_mT8_S1G_bDpT10_ENKUlT_T0_E_clISt17integral_constantIbLb1EES1T_IbLb0EEEEDaS1P_S1Q_EUlS1P_E_NS1_11comp_targetILNS1_3genE0ELNS1_11target_archE4294967295ELNS1_3gpuE0ELNS1_3repE0EEENS1_30default_config_static_selectorELNS0_4arch9wavefront6targetE0EEEvS12_.private_seg_size, 0
	.set _ZN7rocprim17ROCPRIM_400000_NS6detail17trampoline_kernelINS0_13select_configILj256ELj13ELNS0_17block_load_methodE3ELS4_3ELS4_3ELNS0_20block_scan_algorithmE0ELj4294967295EEENS1_25partition_config_selectorILNS1_17partition_subalgoE4EjNS0_10empty_typeEbEEZZNS1_14partition_implILS8_4ELb0ES6_15HIP_vector_typeIjLj2EENS0_17counting_iteratorIjlEEPS9_SG_NS0_5tupleIJPjSI_NS0_16reverse_iteratorISI_EEEEENSH_IJSG_SG_SG_EEES9_SI_JZNS1_25segmented_radix_sort_implINS0_14default_configELb1EPKsPsPKlPlN2at6native12_GLOBAL__N_18offset_tEEE10hipError_tPvRmT1_PNSt15iterator_traitsIS12_E10value_typeET2_T3_PNS13_IS18_E10value_typeET4_jRbjT5_S1E_jjP12ihipStream_tbEUljE_ZNSN_ISO_Lb1ESQ_SR_ST_SU_SY_EESZ_S10_S11_S12_S16_S17_S18_S1B_S1C_jS1D_jS1E_S1E_jjS1G_bEUljE0_EEESZ_S10_S11_S18_S1C_S1E_T6_T7_T9_mT8_S1G_bDpT10_ENKUlT_T0_E_clISt17integral_constantIbLb1EES1T_IbLb0EEEEDaS1P_S1Q_EUlS1P_E_NS1_11comp_targetILNS1_3genE0ELNS1_11target_archE4294967295ELNS1_3gpuE0ELNS1_3repE0EEENS1_30default_config_static_selectorELNS0_4arch9wavefront6targetE0EEEvS12_.uses_vcc, 0
	.set _ZN7rocprim17ROCPRIM_400000_NS6detail17trampoline_kernelINS0_13select_configILj256ELj13ELNS0_17block_load_methodE3ELS4_3ELS4_3ELNS0_20block_scan_algorithmE0ELj4294967295EEENS1_25partition_config_selectorILNS1_17partition_subalgoE4EjNS0_10empty_typeEbEEZZNS1_14partition_implILS8_4ELb0ES6_15HIP_vector_typeIjLj2EENS0_17counting_iteratorIjlEEPS9_SG_NS0_5tupleIJPjSI_NS0_16reverse_iteratorISI_EEEEENSH_IJSG_SG_SG_EEES9_SI_JZNS1_25segmented_radix_sort_implINS0_14default_configELb1EPKsPsPKlPlN2at6native12_GLOBAL__N_18offset_tEEE10hipError_tPvRmT1_PNSt15iterator_traitsIS12_E10value_typeET2_T3_PNS13_IS18_E10value_typeET4_jRbjT5_S1E_jjP12ihipStream_tbEUljE_ZNSN_ISO_Lb1ESQ_SR_ST_SU_SY_EESZ_S10_S11_S12_S16_S17_S18_S1B_S1C_jS1D_jS1E_S1E_jjS1G_bEUljE0_EEESZ_S10_S11_S18_S1C_S1E_T6_T7_T9_mT8_S1G_bDpT10_ENKUlT_T0_E_clISt17integral_constantIbLb1EES1T_IbLb0EEEEDaS1P_S1Q_EUlS1P_E_NS1_11comp_targetILNS1_3genE0ELNS1_11target_archE4294967295ELNS1_3gpuE0ELNS1_3repE0EEENS1_30default_config_static_selectorELNS0_4arch9wavefront6targetE0EEEvS12_.uses_flat_scratch, 0
	.set _ZN7rocprim17ROCPRIM_400000_NS6detail17trampoline_kernelINS0_13select_configILj256ELj13ELNS0_17block_load_methodE3ELS4_3ELS4_3ELNS0_20block_scan_algorithmE0ELj4294967295EEENS1_25partition_config_selectorILNS1_17partition_subalgoE4EjNS0_10empty_typeEbEEZZNS1_14partition_implILS8_4ELb0ES6_15HIP_vector_typeIjLj2EENS0_17counting_iteratorIjlEEPS9_SG_NS0_5tupleIJPjSI_NS0_16reverse_iteratorISI_EEEEENSH_IJSG_SG_SG_EEES9_SI_JZNS1_25segmented_radix_sort_implINS0_14default_configELb1EPKsPsPKlPlN2at6native12_GLOBAL__N_18offset_tEEE10hipError_tPvRmT1_PNSt15iterator_traitsIS12_E10value_typeET2_T3_PNS13_IS18_E10value_typeET4_jRbjT5_S1E_jjP12ihipStream_tbEUljE_ZNSN_ISO_Lb1ESQ_SR_ST_SU_SY_EESZ_S10_S11_S12_S16_S17_S18_S1B_S1C_jS1D_jS1E_S1E_jjS1G_bEUljE0_EEESZ_S10_S11_S18_S1C_S1E_T6_T7_T9_mT8_S1G_bDpT10_ENKUlT_T0_E_clISt17integral_constantIbLb1EES1T_IbLb0EEEEDaS1P_S1Q_EUlS1P_E_NS1_11comp_targetILNS1_3genE0ELNS1_11target_archE4294967295ELNS1_3gpuE0ELNS1_3repE0EEENS1_30default_config_static_selectorELNS0_4arch9wavefront6targetE0EEEvS12_.has_dyn_sized_stack, 0
	.set _ZN7rocprim17ROCPRIM_400000_NS6detail17trampoline_kernelINS0_13select_configILj256ELj13ELNS0_17block_load_methodE3ELS4_3ELS4_3ELNS0_20block_scan_algorithmE0ELj4294967295EEENS1_25partition_config_selectorILNS1_17partition_subalgoE4EjNS0_10empty_typeEbEEZZNS1_14partition_implILS8_4ELb0ES6_15HIP_vector_typeIjLj2EENS0_17counting_iteratorIjlEEPS9_SG_NS0_5tupleIJPjSI_NS0_16reverse_iteratorISI_EEEEENSH_IJSG_SG_SG_EEES9_SI_JZNS1_25segmented_radix_sort_implINS0_14default_configELb1EPKsPsPKlPlN2at6native12_GLOBAL__N_18offset_tEEE10hipError_tPvRmT1_PNSt15iterator_traitsIS12_E10value_typeET2_T3_PNS13_IS18_E10value_typeET4_jRbjT5_S1E_jjP12ihipStream_tbEUljE_ZNSN_ISO_Lb1ESQ_SR_ST_SU_SY_EESZ_S10_S11_S12_S16_S17_S18_S1B_S1C_jS1D_jS1E_S1E_jjS1G_bEUljE0_EEESZ_S10_S11_S18_S1C_S1E_T6_T7_T9_mT8_S1G_bDpT10_ENKUlT_T0_E_clISt17integral_constantIbLb1EES1T_IbLb0EEEEDaS1P_S1Q_EUlS1P_E_NS1_11comp_targetILNS1_3genE0ELNS1_11target_archE4294967295ELNS1_3gpuE0ELNS1_3repE0EEENS1_30default_config_static_selectorELNS0_4arch9wavefront6targetE0EEEvS12_.has_recursion, 0
	.set _ZN7rocprim17ROCPRIM_400000_NS6detail17trampoline_kernelINS0_13select_configILj256ELj13ELNS0_17block_load_methodE3ELS4_3ELS4_3ELNS0_20block_scan_algorithmE0ELj4294967295EEENS1_25partition_config_selectorILNS1_17partition_subalgoE4EjNS0_10empty_typeEbEEZZNS1_14partition_implILS8_4ELb0ES6_15HIP_vector_typeIjLj2EENS0_17counting_iteratorIjlEEPS9_SG_NS0_5tupleIJPjSI_NS0_16reverse_iteratorISI_EEEEENSH_IJSG_SG_SG_EEES9_SI_JZNS1_25segmented_radix_sort_implINS0_14default_configELb1EPKsPsPKlPlN2at6native12_GLOBAL__N_18offset_tEEE10hipError_tPvRmT1_PNSt15iterator_traitsIS12_E10value_typeET2_T3_PNS13_IS18_E10value_typeET4_jRbjT5_S1E_jjP12ihipStream_tbEUljE_ZNSN_ISO_Lb1ESQ_SR_ST_SU_SY_EESZ_S10_S11_S12_S16_S17_S18_S1B_S1C_jS1D_jS1E_S1E_jjS1G_bEUljE0_EEESZ_S10_S11_S18_S1C_S1E_T6_T7_T9_mT8_S1G_bDpT10_ENKUlT_T0_E_clISt17integral_constantIbLb1EES1T_IbLb0EEEEDaS1P_S1Q_EUlS1P_E_NS1_11comp_targetILNS1_3genE0ELNS1_11target_archE4294967295ELNS1_3gpuE0ELNS1_3repE0EEENS1_30default_config_static_selectorELNS0_4arch9wavefront6targetE0EEEvS12_.has_indirect_call, 0
	.section	.AMDGPU.csdata,"",@progbits
; Kernel info:
; codeLenInByte = 4
; TotalNumSgprs: 0
; NumVgprs: 0
; ScratchSize: 0
; MemoryBound: 0
; FloatMode: 240
; IeeeMode: 1
; LDSByteSize: 0 bytes/workgroup (compile time only)
; SGPRBlocks: 0
; VGPRBlocks: 0
; NumSGPRsForWavesPerEU: 1
; NumVGPRsForWavesPerEU: 1
; NamedBarCnt: 0
; Occupancy: 16
; WaveLimiterHint : 0
; COMPUTE_PGM_RSRC2:SCRATCH_EN: 0
; COMPUTE_PGM_RSRC2:USER_SGPR: 2
; COMPUTE_PGM_RSRC2:TRAP_HANDLER: 0
; COMPUTE_PGM_RSRC2:TGID_X_EN: 1
; COMPUTE_PGM_RSRC2:TGID_Y_EN: 0
; COMPUTE_PGM_RSRC2:TGID_Z_EN: 0
; COMPUTE_PGM_RSRC2:TIDIG_COMP_CNT: 0
	.section	.text._ZN7rocprim17ROCPRIM_400000_NS6detail17trampoline_kernelINS0_13select_configILj256ELj13ELNS0_17block_load_methodE3ELS4_3ELS4_3ELNS0_20block_scan_algorithmE0ELj4294967295EEENS1_25partition_config_selectorILNS1_17partition_subalgoE4EjNS0_10empty_typeEbEEZZNS1_14partition_implILS8_4ELb0ES6_15HIP_vector_typeIjLj2EENS0_17counting_iteratorIjlEEPS9_SG_NS0_5tupleIJPjSI_NS0_16reverse_iteratorISI_EEEEENSH_IJSG_SG_SG_EEES9_SI_JZNS1_25segmented_radix_sort_implINS0_14default_configELb1EPKsPsPKlPlN2at6native12_GLOBAL__N_18offset_tEEE10hipError_tPvRmT1_PNSt15iterator_traitsIS12_E10value_typeET2_T3_PNS13_IS18_E10value_typeET4_jRbjT5_S1E_jjP12ihipStream_tbEUljE_ZNSN_ISO_Lb1ESQ_SR_ST_SU_SY_EESZ_S10_S11_S12_S16_S17_S18_S1B_S1C_jS1D_jS1E_S1E_jjS1G_bEUljE0_EEESZ_S10_S11_S18_S1C_S1E_T6_T7_T9_mT8_S1G_bDpT10_ENKUlT_T0_E_clISt17integral_constantIbLb1EES1T_IbLb0EEEEDaS1P_S1Q_EUlS1P_E_NS1_11comp_targetILNS1_3genE5ELNS1_11target_archE942ELNS1_3gpuE9ELNS1_3repE0EEENS1_30default_config_static_selectorELNS0_4arch9wavefront6targetE0EEEvS12_,"axG",@progbits,_ZN7rocprim17ROCPRIM_400000_NS6detail17trampoline_kernelINS0_13select_configILj256ELj13ELNS0_17block_load_methodE3ELS4_3ELS4_3ELNS0_20block_scan_algorithmE0ELj4294967295EEENS1_25partition_config_selectorILNS1_17partition_subalgoE4EjNS0_10empty_typeEbEEZZNS1_14partition_implILS8_4ELb0ES6_15HIP_vector_typeIjLj2EENS0_17counting_iteratorIjlEEPS9_SG_NS0_5tupleIJPjSI_NS0_16reverse_iteratorISI_EEEEENSH_IJSG_SG_SG_EEES9_SI_JZNS1_25segmented_radix_sort_implINS0_14default_configELb1EPKsPsPKlPlN2at6native12_GLOBAL__N_18offset_tEEE10hipError_tPvRmT1_PNSt15iterator_traitsIS12_E10value_typeET2_T3_PNS13_IS18_E10value_typeET4_jRbjT5_S1E_jjP12ihipStream_tbEUljE_ZNSN_ISO_Lb1ESQ_SR_ST_SU_SY_EESZ_S10_S11_S12_S16_S17_S18_S1B_S1C_jS1D_jS1E_S1E_jjS1G_bEUljE0_EEESZ_S10_S11_S18_S1C_S1E_T6_T7_T9_mT8_S1G_bDpT10_ENKUlT_T0_E_clISt17integral_constantIbLb1EES1T_IbLb0EEEEDaS1P_S1Q_EUlS1P_E_NS1_11comp_targetILNS1_3genE5ELNS1_11target_archE942ELNS1_3gpuE9ELNS1_3repE0EEENS1_30default_config_static_selectorELNS0_4arch9wavefront6targetE0EEEvS12_,comdat
	.globl	_ZN7rocprim17ROCPRIM_400000_NS6detail17trampoline_kernelINS0_13select_configILj256ELj13ELNS0_17block_load_methodE3ELS4_3ELS4_3ELNS0_20block_scan_algorithmE0ELj4294967295EEENS1_25partition_config_selectorILNS1_17partition_subalgoE4EjNS0_10empty_typeEbEEZZNS1_14partition_implILS8_4ELb0ES6_15HIP_vector_typeIjLj2EENS0_17counting_iteratorIjlEEPS9_SG_NS0_5tupleIJPjSI_NS0_16reverse_iteratorISI_EEEEENSH_IJSG_SG_SG_EEES9_SI_JZNS1_25segmented_radix_sort_implINS0_14default_configELb1EPKsPsPKlPlN2at6native12_GLOBAL__N_18offset_tEEE10hipError_tPvRmT1_PNSt15iterator_traitsIS12_E10value_typeET2_T3_PNS13_IS18_E10value_typeET4_jRbjT5_S1E_jjP12ihipStream_tbEUljE_ZNSN_ISO_Lb1ESQ_SR_ST_SU_SY_EESZ_S10_S11_S12_S16_S17_S18_S1B_S1C_jS1D_jS1E_S1E_jjS1G_bEUljE0_EEESZ_S10_S11_S18_S1C_S1E_T6_T7_T9_mT8_S1G_bDpT10_ENKUlT_T0_E_clISt17integral_constantIbLb1EES1T_IbLb0EEEEDaS1P_S1Q_EUlS1P_E_NS1_11comp_targetILNS1_3genE5ELNS1_11target_archE942ELNS1_3gpuE9ELNS1_3repE0EEENS1_30default_config_static_selectorELNS0_4arch9wavefront6targetE0EEEvS12_ ; -- Begin function _ZN7rocprim17ROCPRIM_400000_NS6detail17trampoline_kernelINS0_13select_configILj256ELj13ELNS0_17block_load_methodE3ELS4_3ELS4_3ELNS0_20block_scan_algorithmE0ELj4294967295EEENS1_25partition_config_selectorILNS1_17partition_subalgoE4EjNS0_10empty_typeEbEEZZNS1_14partition_implILS8_4ELb0ES6_15HIP_vector_typeIjLj2EENS0_17counting_iteratorIjlEEPS9_SG_NS0_5tupleIJPjSI_NS0_16reverse_iteratorISI_EEEEENSH_IJSG_SG_SG_EEES9_SI_JZNS1_25segmented_radix_sort_implINS0_14default_configELb1EPKsPsPKlPlN2at6native12_GLOBAL__N_18offset_tEEE10hipError_tPvRmT1_PNSt15iterator_traitsIS12_E10value_typeET2_T3_PNS13_IS18_E10value_typeET4_jRbjT5_S1E_jjP12ihipStream_tbEUljE_ZNSN_ISO_Lb1ESQ_SR_ST_SU_SY_EESZ_S10_S11_S12_S16_S17_S18_S1B_S1C_jS1D_jS1E_S1E_jjS1G_bEUljE0_EEESZ_S10_S11_S18_S1C_S1E_T6_T7_T9_mT8_S1G_bDpT10_ENKUlT_T0_E_clISt17integral_constantIbLb1EES1T_IbLb0EEEEDaS1P_S1Q_EUlS1P_E_NS1_11comp_targetILNS1_3genE5ELNS1_11target_archE942ELNS1_3gpuE9ELNS1_3repE0EEENS1_30default_config_static_selectorELNS0_4arch9wavefront6targetE0EEEvS12_
	.p2align	8
	.type	_ZN7rocprim17ROCPRIM_400000_NS6detail17trampoline_kernelINS0_13select_configILj256ELj13ELNS0_17block_load_methodE3ELS4_3ELS4_3ELNS0_20block_scan_algorithmE0ELj4294967295EEENS1_25partition_config_selectorILNS1_17partition_subalgoE4EjNS0_10empty_typeEbEEZZNS1_14partition_implILS8_4ELb0ES6_15HIP_vector_typeIjLj2EENS0_17counting_iteratorIjlEEPS9_SG_NS0_5tupleIJPjSI_NS0_16reverse_iteratorISI_EEEEENSH_IJSG_SG_SG_EEES9_SI_JZNS1_25segmented_radix_sort_implINS0_14default_configELb1EPKsPsPKlPlN2at6native12_GLOBAL__N_18offset_tEEE10hipError_tPvRmT1_PNSt15iterator_traitsIS12_E10value_typeET2_T3_PNS13_IS18_E10value_typeET4_jRbjT5_S1E_jjP12ihipStream_tbEUljE_ZNSN_ISO_Lb1ESQ_SR_ST_SU_SY_EESZ_S10_S11_S12_S16_S17_S18_S1B_S1C_jS1D_jS1E_S1E_jjS1G_bEUljE0_EEESZ_S10_S11_S18_S1C_S1E_T6_T7_T9_mT8_S1G_bDpT10_ENKUlT_T0_E_clISt17integral_constantIbLb1EES1T_IbLb0EEEEDaS1P_S1Q_EUlS1P_E_NS1_11comp_targetILNS1_3genE5ELNS1_11target_archE942ELNS1_3gpuE9ELNS1_3repE0EEENS1_30default_config_static_selectorELNS0_4arch9wavefront6targetE0EEEvS12_,@function
_ZN7rocprim17ROCPRIM_400000_NS6detail17trampoline_kernelINS0_13select_configILj256ELj13ELNS0_17block_load_methodE3ELS4_3ELS4_3ELNS0_20block_scan_algorithmE0ELj4294967295EEENS1_25partition_config_selectorILNS1_17partition_subalgoE4EjNS0_10empty_typeEbEEZZNS1_14partition_implILS8_4ELb0ES6_15HIP_vector_typeIjLj2EENS0_17counting_iteratorIjlEEPS9_SG_NS0_5tupleIJPjSI_NS0_16reverse_iteratorISI_EEEEENSH_IJSG_SG_SG_EEES9_SI_JZNS1_25segmented_radix_sort_implINS0_14default_configELb1EPKsPsPKlPlN2at6native12_GLOBAL__N_18offset_tEEE10hipError_tPvRmT1_PNSt15iterator_traitsIS12_E10value_typeET2_T3_PNS13_IS18_E10value_typeET4_jRbjT5_S1E_jjP12ihipStream_tbEUljE_ZNSN_ISO_Lb1ESQ_SR_ST_SU_SY_EESZ_S10_S11_S12_S16_S17_S18_S1B_S1C_jS1D_jS1E_S1E_jjS1G_bEUljE0_EEESZ_S10_S11_S18_S1C_S1E_T6_T7_T9_mT8_S1G_bDpT10_ENKUlT_T0_E_clISt17integral_constantIbLb1EES1T_IbLb0EEEEDaS1P_S1Q_EUlS1P_E_NS1_11comp_targetILNS1_3genE5ELNS1_11target_archE942ELNS1_3gpuE9ELNS1_3repE0EEENS1_30default_config_static_selectorELNS0_4arch9wavefront6targetE0EEEvS12_: ; @_ZN7rocprim17ROCPRIM_400000_NS6detail17trampoline_kernelINS0_13select_configILj256ELj13ELNS0_17block_load_methodE3ELS4_3ELS4_3ELNS0_20block_scan_algorithmE0ELj4294967295EEENS1_25partition_config_selectorILNS1_17partition_subalgoE4EjNS0_10empty_typeEbEEZZNS1_14partition_implILS8_4ELb0ES6_15HIP_vector_typeIjLj2EENS0_17counting_iteratorIjlEEPS9_SG_NS0_5tupleIJPjSI_NS0_16reverse_iteratorISI_EEEEENSH_IJSG_SG_SG_EEES9_SI_JZNS1_25segmented_radix_sort_implINS0_14default_configELb1EPKsPsPKlPlN2at6native12_GLOBAL__N_18offset_tEEE10hipError_tPvRmT1_PNSt15iterator_traitsIS12_E10value_typeET2_T3_PNS13_IS18_E10value_typeET4_jRbjT5_S1E_jjP12ihipStream_tbEUljE_ZNSN_ISO_Lb1ESQ_SR_ST_SU_SY_EESZ_S10_S11_S12_S16_S17_S18_S1B_S1C_jS1D_jS1E_S1E_jjS1G_bEUljE0_EEESZ_S10_S11_S18_S1C_S1E_T6_T7_T9_mT8_S1G_bDpT10_ENKUlT_T0_E_clISt17integral_constantIbLb1EES1T_IbLb0EEEEDaS1P_S1Q_EUlS1P_E_NS1_11comp_targetILNS1_3genE5ELNS1_11target_archE942ELNS1_3gpuE9ELNS1_3repE0EEENS1_30default_config_static_selectorELNS0_4arch9wavefront6targetE0EEEvS12_
; %bb.0:
	.section	.rodata,"a",@progbits
	.p2align	6, 0x0
	.amdhsa_kernel _ZN7rocprim17ROCPRIM_400000_NS6detail17trampoline_kernelINS0_13select_configILj256ELj13ELNS0_17block_load_methodE3ELS4_3ELS4_3ELNS0_20block_scan_algorithmE0ELj4294967295EEENS1_25partition_config_selectorILNS1_17partition_subalgoE4EjNS0_10empty_typeEbEEZZNS1_14partition_implILS8_4ELb0ES6_15HIP_vector_typeIjLj2EENS0_17counting_iteratorIjlEEPS9_SG_NS0_5tupleIJPjSI_NS0_16reverse_iteratorISI_EEEEENSH_IJSG_SG_SG_EEES9_SI_JZNS1_25segmented_radix_sort_implINS0_14default_configELb1EPKsPsPKlPlN2at6native12_GLOBAL__N_18offset_tEEE10hipError_tPvRmT1_PNSt15iterator_traitsIS12_E10value_typeET2_T3_PNS13_IS18_E10value_typeET4_jRbjT5_S1E_jjP12ihipStream_tbEUljE_ZNSN_ISO_Lb1ESQ_SR_ST_SU_SY_EESZ_S10_S11_S12_S16_S17_S18_S1B_S1C_jS1D_jS1E_S1E_jjS1G_bEUljE0_EEESZ_S10_S11_S18_S1C_S1E_T6_T7_T9_mT8_S1G_bDpT10_ENKUlT_T0_E_clISt17integral_constantIbLb1EES1T_IbLb0EEEEDaS1P_S1Q_EUlS1P_E_NS1_11comp_targetILNS1_3genE5ELNS1_11target_archE942ELNS1_3gpuE9ELNS1_3repE0EEENS1_30default_config_static_selectorELNS0_4arch9wavefront6targetE0EEEvS12_
		.amdhsa_group_segment_fixed_size 0
		.amdhsa_private_segment_fixed_size 0
		.amdhsa_kernarg_size 176
		.amdhsa_user_sgpr_count 2
		.amdhsa_user_sgpr_dispatch_ptr 0
		.amdhsa_user_sgpr_queue_ptr 0
		.amdhsa_user_sgpr_kernarg_segment_ptr 1
		.amdhsa_user_sgpr_dispatch_id 0
		.amdhsa_user_sgpr_kernarg_preload_length 0
		.amdhsa_user_sgpr_kernarg_preload_offset 0
		.amdhsa_user_sgpr_private_segment_size 0
		.amdhsa_wavefront_size32 1
		.amdhsa_uses_dynamic_stack 0
		.amdhsa_enable_private_segment 0
		.amdhsa_system_sgpr_workgroup_id_x 1
		.amdhsa_system_sgpr_workgroup_id_y 0
		.amdhsa_system_sgpr_workgroup_id_z 0
		.amdhsa_system_sgpr_workgroup_info 0
		.amdhsa_system_vgpr_workitem_id 0
		.amdhsa_next_free_vgpr 1
		.amdhsa_next_free_sgpr 1
		.amdhsa_named_barrier_count 0
		.amdhsa_reserve_vcc 0
		.amdhsa_float_round_mode_32 0
		.amdhsa_float_round_mode_16_64 0
		.amdhsa_float_denorm_mode_32 3
		.amdhsa_float_denorm_mode_16_64 3
		.amdhsa_fp16_overflow 0
		.amdhsa_memory_ordered 1
		.amdhsa_forward_progress 1
		.amdhsa_inst_pref_size 0
		.amdhsa_round_robin_scheduling 0
		.amdhsa_exception_fp_ieee_invalid_op 0
		.amdhsa_exception_fp_denorm_src 0
		.amdhsa_exception_fp_ieee_div_zero 0
		.amdhsa_exception_fp_ieee_overflow 0
		.amdhsa_exception_fp_ieee_underflow 0
		.amdhsa_exception_fp_ieee_inexact 0
		.amdhsa_exception_int_div_zero 0
	.end_amdhsa_kernel
	.section	.text._ZN7rocprim17ROCPRIM_400000_NS6detail17trampoline_kernelINS0_13select_configILj256ELj13ELNS0_17block_load_methodE3ELS4_3ELS4_3ELNS0_20block_scan_algorithmE0ELj4294967295EEENS1_25partition_config_selectorILNS1_17partition_subalgoE4EjNS0_10empty_typeEbEEZZNS1_14partition_implILS8_4ELb0ES6_15HIP_vector_typeIjLj2EENS0_17counting_iteratorIjlEEPS9_SG_NS0_5tupleIJPjSI_NS0_16reverse_iteratorISI_EEEEENSH_IJSG_SG_SG_EEES9_SI_JZNS1_25segmented_radix_sort_implINS0_14default_configELb1EPKsPsPKlPlN2at6native12_GLOBAL__N_18offset_tEEE10hipError_tPvRmT1_PNSt15iterator_traitsIS12_E10value_typeET2_T3_PNS13_IS18_E10value_typeET4_jRbjT5_S1E_jjP12ihipStream_tbEUljE_ZNSN_ISO_Lb1ESQ_SR_ST_SU_SY_EESZ_S10_S11_S12_S16_S17_S18_S1B_S1C_jS1D_jS1E_S1E_jjS1G_bEUljE0_EEESZ_S10_S11_S18_S1C_S1E_T6_T7_T9_mT8_S1G_bDpT10_ENKUlT_T0_E_clISt17integral_constantIbLb1EES1T_IbLb0EEEEDaS1P_S1Q_EUlS1P_E_NS1_11comp_targetILNS1_3genE5ELNS1_11target_archE942ELNS1_3gpuE9ELNS1_3repE0EEENS1_30default_config_static_selectorELNS0_4arch9wavefront6targetE0EEEvS12_,"axG",@progbits,_ZN7rocprim17ROCPRIM_400000_NS6detail17trampoline_kernelINS0_13select_configILj256ELj13ELNS0_17block_load_methodE3ELS4_3ELS4_3ELNS0_20block_scan_algorithmE0ELj4294967295EEENS1_25partition_config_selectorILNS1_17partition_subalgoE4EjNS0_10empty_typeEbEEZZNS1_14partition_implILS8_4ELb0ES6_15HIP_vector_typeIjLj2EENS0_17counting_iteratorIjlEEPS9_SG_NS0_5tupleIJPjSI_NS0_16reverse_iteratorISI_EEEEENSH_IJSG_SG_SG_EEES9_SI_JZNS1_25segmented_radix_sort_implINS0_14default_configELb1EPKsPsPKlPlN2at6native12_GLOBAL__N_18offset_tEEE10hipError_tPvRmT1_PNSt15iterator_traitsIS12_E10value_typeET2_T3_PNS13_IS18_E10value_typeET4_jRbjT5_S1E_jjP12ihipStream_tbEUljE_ZNSN_ISO_Lb1ESQ_SR_ST_SU_SY_EESZ_S10_S11_S12_S16_S17_S18_S1B_S1C_jS1D_jS1E_S1E_jjS1G_bEUljE0_EEESZ_S10_S11_S18_S1C_S1E_T6_T7_T9_mT8_S1G_bDpT10_ENKUlT_T0_E_clISt17integral_constantIbLb1EES1T_IbLb0EEEEDaS1P_S1Q_EUlS1P_E_NS1_11comp_targetILNS1_3genE5ELNS1_11target_archE942ELNS1_3gpuE9ELNS1_3repE0EEENS1_30default_config_static_selectorELNS0_4arch9wavefront6targetE0EEEvS12_,comdat
.Lfunc_end860:
	.size	_ZN7rocprim17ROCPRIM_400000_NS6detail17trampoline_kernelINS0_13select_configILj256ELj13ELNS0_17block_load_methodE3ELS4_3ELS4_3ELNS0_20block_scan_algorithmE0ELj4294967295EEENS1_25partition_config_selectorILNS1_17partition_subalgoE4EjNS0_10empty_typeEbEEZZNS1_14partition_implILS8_4ELb0ES6_15HIP_vector_typeIjLj2EENS0_17counting_iteratorIjlEEPS9_SG_NS0_5tupleIJPjSI_NS0_16reverse_iteratorISI_EEEEENSH_IJSG_SG_SG_EEES9_SI_JZNS1_25segmented_radix_sort_implINS0_14default_configELb1EPKsPsPKlPlN2at6native12_GLOBAL__N_18offset_tEEE10hipError_tPvRmT1_PNSt15iterator_traitsIS12_E10value_typeET2_T3_PNS13_IS18_E10value_typeET4_jRbjT5_S1E_jjP12ihipStream_tbEUljE_ZNSN_ISO_Lb1ESQ_SR_ST_SU_SY_EESZ_S10_S11_S12_S16_S17_S18_S1B_S1C_jS1D_jS1E_S1E_jjS1G_bEUljE0_EEESZ_S10_S11_S18_S1C_S1E_T6_T7_T9_mT8_S1G_bDpT10_ENKUlT_T0_E_clISt17integral_constantIbLb1EES1T_IbLb0EEEEDaS1P_S1Q_EUlS1P_E_NS1_11comp_targetILNS1_3genE5ELNS1_11target_archE942ELNS1_3gpuE9ELNS1_3repE0EEENS1_30default_config_static_selectorELNS0_4arch9wavefront6targetE0EEEvS12_, .Lfunc_end860-_ZN7rocprim17ROCPRIM_400000_NS6detail17trampoline_kernelINS0_13select_configILj256ELj13ELNS0_17block_load_methodE3ELS4_3ELS4_3ELNS0_20block_scan_algorithmE0ELj4294967295EEENS1_25partition_config_selectorILNS1_17partition_subalgoE4EjNS0_10empty_typeEbEEZZNS1_14partition_implILS8_4ELb0ES6_15HIP_vector_typeIjLj2EENS0_17counting_iteratorIjlEEPS9_SG_NS0_5tupleIJPjSI_NS0_16reverse_iteratorISI_EEEEENSH_IJSG_SG_SG_EEES9_SI_JZNS1_25segmented_radix_sort_implINS0_14default_configELb1EPKsPsPKlPlN2at6native12_GLOBAL__N_18offset_tEEE10hipError_tPvRmT1_PNSt15iterator_traitsIS12_E10value_typeET2_T3_PNS13_IS18_E10value_typeET4_jRbjT5_S1E_jjP12ihipStream_tbEUljE_ZNSN_ISO_Lb1ESQ_SR_ST_SU_SY_EESZ_S10_S11_S12_S16_S17_S18_S1B_S1C_jS1D_jS1E_S1E_jjS1G_bEUljE0_EEESZ_S10_S11_S18_S1C_S1E_T6_T7_T9_mT8_S1G_bDpT10_ENKUlT_T0_E_clISt17integral_constantIbLb1EES1T_IbLb0EEEEDaS1P_S1Q_EUlS1P_E_NS1_11comp_targetILNS1_3genE5ELNS1_11target_archE942ELNS1_3gpuE9ELNS1_3repE0EEENS1_30default_config_static_selectorELNS0_4arch9wavefront6targetE0EEEvS12_
                                        ; -- End function
	.set _ZN7rocprim17ROCPRIM_400000_NS6detail17trampoline_kernelINS0_13select_configILj256ELj13ELNS0_17block_load_methodE3ELS4_3ELS4_3ELNS0_20block_scan_algorithmE0ELj4294967295EEENS1_25partition_config_selectorILNS1_17partition_subalgoE4EjNS0_10empty_typeEbEEZZNS1_14partition_implILS8_4ELb0ES6_15HIP_vector_typeIjLj2EENS0_17counting_iteratorIjlEEPS9_SG_NS0_5tupleIJPjSI_NS0_16reverse_iteratorISI_EEEEENSH_IJSG_SG_SG_EEES9_SI_JZNS1_25segmented_radix_sort_implINS0_14default_configELb1EPKsPsPKlPlN2at6native12_GLOBAL__N_18offset_tEEE10hipError_tPvRmT1_PNSt15iterator_traitsIS12_E10value_typeET2_T3_PNS13_IS18_E10value_typeET4_jRbjT5_S1E_jjP12ihipStream_tbEUljE_ZNSN_ISO_Lb1ESQ_SR_ST_SU_SY_EESZ_S10_S11_S12_S16_S17_S18_S1B_S1C_jS1D_jS1E_S1E_jjS1G_bEUljE0_EEESZ_S10_S11_S18_S1C_S1E_T6_T7_T9_mT8_S1G_bDpT10_ENKUlT_T0_E_clISt17integral_constantIbLb1EES1T_IbLb0EEEEDaS1P_S1Q_EUlS1P_E_NS1_11comp_targetILNS1_3genE5ELNS1_11target_archE942ELNS1_3gpuE9ELNS1_3repE0EEENS1_30default_config_static_selectorELNS0_4arch9wavefront6targetE0EEEvS12_.num_vgpr, 0
	.set _ZN7rocprim17ROCPRIM_400000_NS6detail17trampoline_kernelINS0_13select_configILj256ELj13ELNS0_17block_load_methodE3ELS4_3ELS4_3ELNS0_20block_scan_algorithmE0ELj4294967295EEENS1_25partition_config_selectorILNS1_17partition_subalgoE4EjNS0_10empty_typeEbEEZZNS1_14partition_implILS8_4ELb0ES6_15HIP_vector_typeIjLj2EENS0_17counting_iteratorIjlEEPS9_SG_NS0_5tupleIJPjSI_NS0_16reverse_iteratorISI_EEEEENSH_IJSG_SG_SG_EEES9_SI_JZNS1_25segmented_radix_sort_implINS0_14default_configELb1EPKsPsPKlPlN2at6native12_GLOBAL__N_18offset_tEEE10hipError_tPvRmT1_PNSt15iterator_traitsIS12_E10value_typeET2_T3_PNS13_IS18_E10value_typeET4_jRbjT5_S1E_jjP12ihipStream_tbEUljE_ZNSN_ISO_Lb1ESQ_SR_ST_SU_SY_EESZ_S10_S11_S12_S16_S17_S18_S1B_S1C_jS1D_jS1E_S1E_jjS1G_bEUljE0_EEESZ_S10_S11_S18_S1C_S1E_T6_T7_T9_mT8_S1G_bDpT10_ENKUlT_T0_E_clISt17integral_constantIbLb1EES1T_IbLb0EEEEDaS1P_S1Q_EUlS1P_E_NS1_11comp_targetILNS1_3genE5ELNS1_11target_archE942ELNS1_3gpuE9ELNS1_3repE0EEENS1_30default_config_static_selectorELNS0_4arch9wavefront6targetE0EEEvS12_.num_agpr, 0
	.set _ZN7rocprim17ROCPRIM_400000_NS6detail17trampoline_kernelINS0_13select_configILj256ELj13ELNS0_17block_load_methodE3ELS4_3ELS4_3ELNS0_20block_scan_algorithmE0ELj4294967295EEENS1_25partition_config_selectorILNS1_17partition_subalgoE4EjNS0_10empty_typeEbEEZZNS1_14partition_implILS8_4ELb0ES6_15HIP_vector_typeIjLj2EENS0_17counting_iteratorIjlEEPS9_SG_NS0_5tupleIJPjSI_NS0_16reverse_iteratorISI_EEEEENSH_IJSG_SG_SG_EEES9_SI_JZNS1_25segmented_radix_sort_implINS0_14default_configELb1EPKsPsPKlPlN2at6native12_GLOBAL__N_18offset_tEEE10hipError_tPvRmT1_PNSt15iterator_traitsIS12_E10value_typeET2_T3_PNS13_IS18_E10value_typeET4_jRbjT5_S1E_jjP12ihipStream_tbEUljE_ZNSN_ISO_Lb1ESQ_SR_ST_SU_SY_EESZ_S10_S11_S12_S16_S17_S18_S1B_S1C_jS1D_jS1E_S1E_jjS1G_bEUljE0_EEESZ_S10_S11_S18_S1C_S1E_T6_T7_T9_mT8_S1G_bDpT10_ENKUlT_T0_E_clISt17integral_constantIbLb1EES1T_IbLb0EEEEDaS1P_S1Q_EUlS1P_E_NS1_11comp_targetILNS1_3genE5ELNS1_11target_archE942ELNS1_3gpuE9ELNS1_3repE0EEENS1_30default_config_static_selectorELNS0_4arch9wavefront6targetE0EEEvS12_.numbered_sgpr, 0
	.set _ZN7rocprim17ROCPRIM_400000_NS6detail17trampoline_kernelINS0_13select_configILj256ELj13ELNS0_17block_load_methodE3ELS4_3ELS4_3ELNS0_20block_scan_algorithmE0ELj4294967295EEENS1_25partition_config_selectorILNS1_17partition_subalgoE4EjNS0_10empty_typeEbEEZZNS1_14partition_implILS8_4ELb0ES6_15HIP_vector_typeIjLj2EENS0_17counting_iteratorIjlEEPS9_SG_NS0_5tupleIJPjSI_NS0_16reverse_iteratorISI_EEEEENSH_IJSG_SG_SG_EEES9_SI_JZNS1_25segmented_radix_sort_implINS0_14default_configELb1EPKsPsPKlPlN2at6native12_GLOBAL__N_18offset_tEEE10hipError_tPvRmT1_PNSt15iterator_traitsIS12_E10value_typeET2_T3_PNS13_IS18_E10value_typeET4_jRbjT5_S1E_jjP12ihipStream_tbEUljE_ZNSN_ISO_Lb1ESQ_SR_ST_SU_SY_EESZ_S10_S11_S12_S16_S17_S18_S1B_S1C_jS1D_jS1E_S1E_jjS1G_bEUljE0_EEESZ_S10_S11_S18_S1C_S1E_T6_T7_T9_mT8_S1G_bDpT10_ENKUlT_T0_E_clISt17integral_constantIbLb1EES1T_IbLb0EEEEDaS1P_S1Q_EUlS1P_E_NS1_11comp_targetILNS1_3genE5ELNS1_11target_archE942ELNS1_3gpuE9ELNS1_3repE0EEENS1_30default_config_static_selectorELNS0_4arch9wavefront6targetE0EEEvS12_.num_named_barrier, 0
	.set _ZN7rocprim17ROCPRIM_400000_NS6detail17trampoline_kernelINS0_13select_configILj256ELj13ELNS0_17block_load_methodE3ELS4_3ELS4_3ELNS0_20block_scan_algorithmE0ELj4294967295EEENS1_25partition_config_selectorILNS1_17partition_subalgoE4EjNS0_10empty_typeEbEEZZNS1_14partition_implILS8_4ELb0ES6_15HIP_vector_typeIjLj2EENS0_17counting_iteratorIjlEEPS9_SG_NS0_5tupleIJPjSI_NS0_16reverse_iteratorISI_EEEEENSH_IJSG_SG_SG_EEES9_SI_JZNS1_25segmented_radix_sort_implINS0_14default_configELb1EPKsPsPKlPlN2at6native12_GLOBAL__N_18offset_tEEE10hipError_tPvRmT1_PNSt15iterator_traitsIS12_E10value_typeET2_T3_PNS13_IS18_E10value_typeET4_jRbjT5_S1E_jjP12ihipStream_tbEUljE_ZNSN_ISO_Lb1ESQ_SR_ST_SU_SY_EESZ_S10_S11_S12_S16_S17_S18_S1B_S1C_jS1D_jS1E_S1E_jjS1G_bEUljE0_EEESZ_S10_S11_S18_S1C_S1E_T6_T7_T9_mT8_S1G_bDpT10_ENKUlT_T0_E_clISt17integral_constantIbLb1EES1T_IbLb0EEEEDaS1P_S1Q_EUlS1P_E_NS1_11comp_targetILNS1_3genE5ELNS1_11target_archE942ELNS1_3gpuE9ELNS1_3repE0EEENS1_30default_config_static_selectorELNS0_4arch9wavefront6targetE0EEEvS12_.private_seg_size, 0
	.set _ZN7rocprim17ROCPRIM_400000_NS6detail17trampoline_kernelINS0_13select_configILj256ELj13ELNS0_17block_load_methodE3ELS4_3ELS4_3ELNS0_20block_scan_algorithmE0ELj4294967295EEENS1_25partition_config_selectorILNS1_17partition_subalgoE4EjNS0_10empty_typeEbEEZZNS1_14partition_implILS8_4ELb0ES6_15HIP_vector_typeIjLj2EENS0_17counting_iteratorIjlEEPS9_SG_NS0_5tupleIJPjSI_NS0_16reverse_iteratorISI_EEEEENSH_IJSG_SG_SG_EEES9_SI_JZNS1_25segmented_radix_sort_implINS0_14default_configELb1EPKsPsPKlPlN2at6native12_GLOBAL__N_18offset_tEEE10hipError_tPvRmT1_PNSt15iterator_traitsIS12_E10value_typeET2_T3_PNS13_IS18_E10value_typeET4_jRbjT5_S1E_jjP12ihipStream_tbEUljE_ZNSN_ISO_Lb1ESQ_SR_ST_SU_SY_EESZ_S10_S11_S12_S16_S17_S18_S1B_S1C_jS1D_jS1E_S1E_jjS1G_bEUljE0_EEESZ_S10_S11_S18_S1C_S1E_T6_T7_T9_mT8_S1G_bDpT10_ENKUlT_T0_E_clISt17integral_constantIbLb1EES1T_IbLb0EEEEDaS1P_S1Q_EUlS1P_E_NS1_11comp_targetILNS1_3genE5ELNS1_11target_archE942ELNS1_3gpuE9ELNS1_3repE0EEENS1_30default_config_static_selectorELNS0_4arch9wavefront6targetE0EEEvS12_.uses_vcc, 0
	.set _ZN7rocprim17ROCPRIM_400000_NS6detail17trampoline_kernelINS0_13select_configILj256ELj13ELNS0_17block_load_methodE3ELS4_3ELS4_3ELNS0_20block_scan_algorithmE0ELj4294967295EEENS1_25partition_config_selectorILNS1_17partition_subalgoE4EjNS0_10empty_typeEbEEZZNS1_14partition_implILS8_4ELb0ES6_15HIP_vector_typeIjLj2EENS0_17counting_iteratorIjlEEPS9_SG_NS0_5tupleIJPjSI_NS0_16reverse_iteratorISI_EEEEENSH_IJSG_SG_SG_EEES9_SI_JZNS1_25segmented_radix_sort_implINS0_14default_configELb1EPKsPsPKlPlN2at6native12_GLOBAL__N_18offset_tEEE10hipError_tPvRmT1_PNSt15iterator_traitsIS12_E10value_typeET2_T3_PNS13_IS18_E10value_typeET4_jRbjT5_S1E_jjP12ihipStream_tbEUljE_ZNSN_ISO_Lb1ESQ_SR_ST_SU_SY_EESZ_S10_S11_S12_S16_S17_S18_S1B_S1C_jS1D_jS1E_S1E_jjS1G_bEUljE0_EEESZ_S10_S11_S18_S1C_S1E_T6_T7_T9_mT8_S1G_bDpT10_ENKUlT_T0_E_clISt17integral_constantIbLb1EES1T_IbLb0EEEEDaS1P_S1Q_EUlS1P_E_NS1_11comp_targetILNS1_3genE5ELNS1_11target_archE942ELNS1_3gpuE9ELNS1_3repE0EEENS1_30default_config_static_selectorELNS0_4arch9wavefront6targetE0EEEvS12_.uses_flat_scratch, 0
	.set _ZN7rocprim17ROCPRIM_400000_NS6detail17trampoline_kernelINS0_13select_configILj256ELj13ELNS0_17block_load_methodE3ELS4_3ELS4_3ELNS0_20block_scan_algorithmE0ELj4294967295EEENS1_25partition_config_selectorILNS1_17partition_subalgoE4EjNS0_10empty_typeEbEEZZNS1_14partition_implILS8_4ELb0ES6_15HIP_vector_typeIjLj2EENS0_17counting_iteratorIjlEEPS9_SG_NS0_5tupleIJPjSI_NS0_16reverse_iteratorISI_EEEEENSH_IJSG_SG_SG_EEES9_SI_JZNS1_25segmented_radix_sort_implINS0_14default_configELb1EPKsPsPKlPlN2at6native12_GLOBAL__N_18offset_tEEE10hipError_tPvRmT1_PNSt15iterator_traitsIS12_E10value_typeET2_T3_PNS13_IS18_E10value_typeET4_jRbjT5_S1E_jjP12ihipStream_tbEUljE_ZNSN_ISO_Lb1ESQ_SR_ST_SU_SY_EESZ_S10_S11_S12_S16_S17_S18_S1B_S1C_jS1D_jS1E_S1E_jjS1G_bEUljE0_EEESZ_S10_S11_S18_S1C_S1E_T6_T7_T9_mT8_S1G_bDpT10_ENKUlT_T0_E_clISt17integral_constantIbLb1EES1T_IbLb0EEEEDaS1P_S1Q_EUlS1P_E_NS1_11comp_targetILNS1_3genE5ELNS1_11target_archE942ELNS1_3gpuE9ELNS1_3repE0EEENS1_30default_config_static_selectorELNS0_4arch9wavefront6targetE0EEEvS12_.has_dyn_sized_stack, 0
	.set _ZN7rocprim17ROCPRIM_400000_NS6detail17trampoline_kernelINS0_13select_configILj256ELj13ELNS0_17block_load_methodE3ELS4_3ELS4_3ELNS0_20block_scan_algorithmE0ELj4294967295EEENS1_25partition_config_selectorILNS1_17partition_subalgoE4EjNS0_10empty_typeEbEEZZNS1_14partition_implILS8_4ELb0ES6_15HIP_vector_typeIjLj2EENS0_17counting_iteratorIjlEEPS9_SG_NS0_5tupleIJPjSI_NS0_16reverse_iteratorISI_EEEEENSH_IJSG_SG_SG_EEES9_SI_JZNS1_25segmented_radix_sort_implINS0_14default_configELb1EPKsPsPKlPlN2at6native12_GLOBAL__N_18offset_tEEE10hipError_tPvRmT1_PNSt15iterator_traitsIS12_E10value_typeET2_T3_PNS13_IS18_E10value_typeET4_jRbjT5_S1E_jjP12ihipStream_tbEUljE_ZNSN_ISO_Lb1ESQ_SR_ST_SU_SY_EESZ_S10_S11_S12_S16_S17_S18_S1B_S1C_jS1D_jS1E_S1E_jjS1G_bEUljE0_EEESZ_S10_S11_S18_S1C_S1E_T6_T7_T9_mT8_S1G_bDpT10_ENKUlT_T0_E_clISt17integral_constantIbLb1EES1T_IbLb0EEEEDaS1P_S1Q_EUlS1P_E_NS1_11comp_targetILNS1_3genE5ELNS1_11target_archE942ELNS1_3gpuE9ELNS1_3repE0EEENS1_30default_config_static_selectorELNS0_4arch9wavefront6targetE0EEEvS12_.has_recursion, 0
	.set _ZN7rocprim17ROCPRIM_400000_NS6detail17trampoline_kernelINS0_13select_configILj256ELj13ELNS0_17block_load_methodE3ELS4_3ELS4_3ELNS0_20block_scan_algorithmE0ELj4294967295EEENS1_25partition_config_selectorILNS1_17partition_subalgoE4EjNS0_10empty_typeEbEEZZNS1_14partition_implILS8_4ELb0ES6_15HIP_vector_typeIjLj2EENS0_17counting_iteratorIjlEEPS9_SG_NS0_5tupleIJPjSI_NS0_16reverse_iteratorISI_EEEEENSH_IJSG_SG_SG_EEES9_SI_JZNS1_25segmented_radix_sort_implINS0_14default_configELb1EPKsPsPKlPlN2at6native12_GLOBAL__N_18offset_tEEE10hipError_tPvRmT1_PNSt15iterator_traitsIS12_E10value_typeET2_T3_PNS13_IS18_E10value_typeET4_jRbjT5_S1E_jjP12ihipStream_tbEUljE_ZNSN_ISO_Lb1ESQ_SR_ST_SU_SY_EESZ_S10_S11_S12_S16_S17_S18_S1B_S1C_jS1D_jS1E_S1E_jjS1G_bEUljE0_EEESZ_S10_S11_S18_S1C_S1E_T6_T7_T9_mT8_S1G_bDpT10_ENKUlT_T0_E_clISt17integral_constantIbLb1EES1T_IbLb0EEEEDaS1P_S1Q_EUlS1P_E_NS1_11comp_targetILNS1_3genE5ELNS1_11target_archE942ELNS1_3gpuE9ELNS1_3repE0EEENS1_30default_config_static_selectorELNS0_4arch9wavefront6targetE0EEEvS12_.has_indirect_call, 0
	.section	.AMDGPU.csdata,"",@progbits
; Kernel info:
; codeLenInByte = 0
; TotalNumSgprs: 0
; NumVgprs: 0
; ScratchSize: 0
; MemoryBound: 0
; FloatMode: 240
; IeeeMode: 1
; LDSByteSize: 0 bytes/workgroup (compile time only)
; SGPRBlocks: 0
; VGPRBlocks: 0
; NumSGPRsForWavesPerEU: 1
; NumVGPRsForWavesPerEU: 1
; NamedBarCnt: 0
; Occupancy: 16
; WaveLimiterHint : 0
; COMPUTE_PGM_RSRC2:SCRATCH_EN: 0
; COMPUTE_PGM_RSRC2:USER_SGPR: 2
; COMPUTE_PGM_RSRC2:TRAP_HANDLER: 0
; COMPUTE_PGM_RSRC2:TGID_X_EN: 1
; COMPUTE_PGM_RSRC2:TGID_Y_EN: 0
; COMPUTE_PGM_RSRC2:TGID_Z_EN: 0
; COMPUTE_PGM_RSRC2:TIDIG_COMP_CNT: 0
	.section	.text._ZN7rocprim17ROCPRIM_400000_NS6detail17trampoline_kernelINS0_13select_configILj256ELj13ELNS0_17block_load_methodE3ELS4_3ELS4_3ELNS0_20block_scan_algorithmE0ELj4294967295EEENS1_25partition_config_selectorILNS1_17partition_subalgoE4EjNS0_10empty_typeEbEEZZNS1_14partition_implILS8_4ELb0ES6_15HIP_vector_typeIjLj2EENS0_17counting_iteratorIjlEEPS9_SG_NS0_5tupleIJPjSI_NS0_16reverse_iteratorISI_EEEEENSH_IJSG_SG_SG_EEES9_SI_JZNS1_25segmented_radix_sort_implINS0_14default_configELb1EPKsPsPKlPlN2at6native12_GLOBAL__N_18offset_tEEE10hipError_tPvRmT1_PNSt15iterator_traitsIS12_E10value_typeET2_T3_PNS13_IS18_E10value_typeET4_jRbjT5_S1E_jjP12ihipStream_tbEUljE_ZNSN_ISO_Lb1ESQ_SR_ST_SU_SY_EESZ_S10_S11_S12_S16_S17_S18_S1B_S1C_jS1D_jS1E_S1E_jjS1G_bEUljE0_EEESZ_S10_S11_S18_S1C_S1E_T6_T7_T9_mT8_S1G_bDpT10_ENKUlT_T0_E_clISt17integral_constantIbLb1EES1T_IbLb0EEEEDaS1P_S1Q_EUlS1P_E_NS1_11comp_targetILNS1_3genE4ELNS1_11target_archE910ELNS1_3gpuE8ELNS1_3repE0EEENS1_30default_config_static_selectorELNS0_4arch9wavefront6targetE0EEEvS12_,"axG",@progbits,_ZN7rocprim17ROCPRIM_400000_NS6detail17trampoline_kernelINS0_13select_configILj256ELj13ELNS0_17block_load_methodE3ELS4_3ELS4_3ELNS0_20block_scan_algorithmE0ELj4294967295EEENS1_25partition_config_selectorILNS1_17partition_subalgoE4EjNS0_10empty_typeEbEEZZNS1_14partition_implILS8_4ELb0ES6_15HIP_vector_typeIjLj2EENS0_17counting_iteratorIjlEEPS9_SG_NS0_5tupleIJPjSI_NS0_16reverse_iteratorISI_EEEEENSH_IJSG_SG_SG_EEES9_SI_JZNS1_25segmented_radix_sort_implINS0_14default_configELb1EPKsPsPKlPlN2at6native12_GLOBAL__N_18offset_tEEE10hipError_tPvRmT1_PNSt15iterator_traitsIS12_E10value_typeET2_T3_PNS13_IS18_E10value_typeET4_jRbjT5_S1E_jjP12ihipStream_tbEUljE_ZNSN_ISO_Lb1ESQ_SR_ST_SU_SY_EESZ_S10_S11_S12_S16_S17_S18_S1B_S1C_jS1D_jS1E_S1E_jjS1G_bEUljE0_EEESZ_S10_S11_S18_S1C_S1E_T6_T7_T9_mT8_S1G_bDpT10_ENKUlT_T0_E_clISt17integral_constantIbLb1EES1T_IbLb0EEEEDaS1P_S1Q_EUlS1P_E_NS1_11comp_targetILNS1_3genE4ELNS1_11target_archE910ELNS1_3gpuE8ELNS1_3repE0EEENS1_30default_config_static_selectorELNS0_4arch9wavefront6targetE0EEEvS12_,comdat
	.globl	_ZN7rocprim17ROCPRIM_400000_NS6detail17trampoline_kernelINS0_13select_configILj256ELj13ELNS0_17block_load_methodE3ELS4_3ELS4_3ELNS0_20block_scan_algorithmE0ELj4294967295EEENS1_25partition_config_selectorILNS1_17partition_subalgoE4EjNS0_10empty_typeEbEEZZNS1_14partition_implILS8_4ELb0ES6_15HIP_vector_typeIjLj2EENS0_17counting_iteratorIjlEEPS9_SG_NS0_5tupleIJPjSI_NS0_16reverse_iteratorISI_EEEEENSH_IJSG_SG_SG_EEES9_SI_JZNS1_25segmented_radix_sort_implINS0_14default_configELb1EPKsPsPKlPlN2at6native12_GLOBAL__N_18offset_tEEE10hipError_tPvRmT1_PNSt15iterator_traitsIS12_E10value_typeET2_T3_PNS13_IS18_E10value_typeET4_jRbjT5_S1E_jjP12ihipStream_tbEUljE_ZNSN_ISO_Lb1ESQ_SR_ST_SU_SY_EESZ_S10_S11_S12_S16_S17_S18_S1B_S1C_jS1D_jS1E_S1E_jjS1G_bEUljE0_EEESZ_S10_S11_S18_S1C_S1E_T6_T7_T9_mT8_S1G_bDpT10_ENKUlT_T0_E_clISt17integral_constantIbLb1EES1T_IbLb0EEEEDaS1P_S1Q_EUlS1P_E_NS1_11comp_targetILNS1_3genE4ELNS1_11target_archE910ELNS1_3gpuE8ELNS1_3repE0EEENS1_30default_config_static_selectorELNS0_4arch9wavefront6targetE0EEEvS12_ ; -- Begin function _ZN7rocprim17ROCPRIM_400000_NS6detail17trampoline_kernelINS0_13select_configILj256ELj13ELNS0_17block_load_methodE3ELS4_3ELS4_3ELNS0_20block_scan_algorithmE0ELj4294967295EEENS1_25partition_config_selectorILNS1_17partition_subalgoE4EjNS0_10empty_typeEbEEZZNS1_14partition_implILS8_4ELb0ES6_15HIP_vector_typeIjLj2EENS0_17counting_iteratorIjlEEPS9_SG_NS0_5tupleIJPjSI_NS0_16reverse_iteratorISI_EEEEENSH_IJSG_SG_SG_EEES9_SI_JZNS1_25segmented_radix_sort_implINS0_14default_configELb1EPKsPsPKlPlN2at6native12_GLOBAL__N_18offset_tEEE10hipError_tPvRmT1_PNSt15iterator_traitsIS12_E10value_typeET2_T3_PNS13_IS18_E10value_typeET4_jRbjT5_S1E_jjP12ihipStream_tbEUljE_ZNSN_ISO_Lb1ESQ_SR_ST_SU_SY_EESZ_S10_S11_S12_S16_S17_S18_S1B_S1C_jS1D_jS1E_S1E_jjS1G_bEUljE0_EEESZ_S10_S11_S18_S1C_S1E_T6_T7_T9_mT8_S1G_bDpT10_ENKUlT_T0_E_clISt17integral_constantIbLb1EES1T_IbLb0EEEEDaS1P_S1Q_EUlS1P_E_NS1_11comp_targetILNS1_3genE4ELNS1_11target_archE910ELNS1_3gpuE8ELNS1_3repE0EEENS1_30default_config_static_selectorELNS0_4arch9wavefront6targetE0EEEvS12_
	.p2align	8
	.type	_ZN7rocprim17ROCPRIM_400000_NS6detail17trampoline_kernelINS0_13select_configILj256ELj13ELNS0_17block_load_methodE3ELS4_3ELS4_3ELNS0_20block_scan_algorithmE0ELj4294967295EEENS1_25partition_config_selectorILNS1_17partition_subalgoE4EjNS0_10empty_typeEbEEZZNS1_14partition_implILS8_4ELb0ES6_15HIP_vector_typeIjLj2EENS0_17counting_iteratorIjlEEPS9_SG_NS0_5tupleIJPjSI_NS0_16reverse_iteratorISI_EEEEENSH_IJSG_SG_SG_EEES9_SI_JZNS1_25segmented_radix_sort_implINS0_14default_configELb1EPKsPsPKlPlN2at6native12_GLOBAL__N_18offset_tEEE10hipError_tPvRmT1_PNSt15iterator_traitsIS12_E10value_typeET2_T3_PNS13_IS18_E10value_typeET4_jRbjT5_S1E_jjP12ihipStream_tbEUljE_ZNSN_ISO_Lb1ESQ_SR_ST_SU_SY_EESZ_S10_S11_S12_S16_S17_S18_S1B_S1C_jS1D_jS1E_S1E_jjS1G_bEUljE0_EEESZ_S10_S11_S18_S1C_S1E_T6_T7_T9_mT8_S1G_bDpT10_ENKUlT_T0_E_clISt17integral_constantIbLb1EES1T_IbLb0EEEEDaS1P_S1Q_EUlS1P_E_NS1_11comp_targetILNS1_3genE4ELNS1_11target_archE910ELNS1_3gpuE8ELNS1_3repE0EEENS1_30default_config_static_selectorELNS0_4arch9wavefront6targetE0EEEvS12_,@function
_ZN7rocprim17ROCPRIM_400000_NS6detail17trampoline_kernelINS0_13select_configILj256ELj13ELNS0_17block_load_methodE3ELS4_3ELS4_3ELNS0_20block_scan_algorithmE0ELj4294967295EEENS1_25partition_config_selectorILNS1_17partition_subalgoE4EjNS0_10empty_typeEbEEZZNS1_14partition_implILS8_4ELb0ES6_15HIP_vector_typeIjLj2EENS0_17counting_iteratorIjlEEPS9_SG_NS0_5tupleIJPjSI_NS0_16reverse_iteratorISI_EEEEENSH_IJSG_SG_SG_EEES9_SI_JZNS1_25segmented_radix_sort_implINS0_14default_configELb1EPKsPsPKlPlN2at6native12_GLOBAL__N_18offset_tEEE10hipError_tPvRmT1_PNSt15iterator_traitsIS12_E10value_typeET2_T3_PNS13_IS18_E10value_typeET4_jRbjT5_S1E_jjP12ihipStream_tbEUljE_ZNSN_ISO_Lb1ESQ_SR_ST_SU_SY_EESZ_S10_S11_S12_S16_S17_S18_S1B_S1C_jS1D_jS1E_S1E_jjS1G_bEUljE0_EEESZ_S10_S11_S18_S1C_S1E_T6_T7_T9_mT8_S1G_bDpT10_ENKUlT_T0_E_clISt17integral_constantIbLb1EES1T_IbLb0EEEEDaS1P_S1Q_EUlS1P_E_NS1_11comp_targetILNS1_3genE4ELNS1_11target_archE910ELNS1_3gpuE8ELNS1_3repE0EEENS1_30default_config_static_selectorELNS0_4arch9wavefront6targetE0EEEvS12_: ; @_ZN7rocprim17ROCPRIM_400000_NS6detail17trampoline_kernelINS0_13select_configILj256ELj13ELNS0_17block_load_methodE3ELS4_3ELS4_3ELNS0_20block_scan_algorithmE0ELj4294967295EEENS1_25partition_config_selectorILNS1_17partition_subalgoE4EjNS0_10empty_typeEbEEZZNS1_14partition_implILS8_4ELb0ES6_15HIP_vector_typeIjLj2EENS0_17counting_iteratorIjlEEPS9_SG_NS0_5tupleIJPjSI_NS0_16reverse_iteratorISI_EEEEENSH_IJSG_SG_SG_EEES9_SI_JZNS1_25segmented_radix_sort_implINS0_14default_configELb1EPKsPsPKlPlN2at6native12_GLOBAL__N_18offset_tEEE10hipError_tPvRmT1_PNSt15iterator_traitsIS12_E10value_typeET2_T3_PNS13_IS18_E10value_typeET4_jRbjT5_S1E_jjP12ihipStream_tbEUljE_ZNSN_ISO_Lb1ESQ_SR_ST_SU_SY_EESZ_S10_S11_S12_S16_S17_S18_S1B_S1C_jS1D_jS1E_S1E_jjS1G_bEUljE0_EEESZ_S10_S11_S18_S1C_S1E_T6_T7_T9_mT8_S1G_bDpT10_ENKUlT_T0_E_clISt17integral_constantIbLb1EES1T_IbLb0EEEEDaS1P_S1Q_EUlS1P_E_NS1_11comp_targetILNS1_3genE4ELNS1_11target_archE910ELNS1_3gpuE8ELNS1_3repE0EEENS1_30default_config_static_selectorELNS0_4arch9wavefront6targetE0EEEvS12_
; %bb.0:
	.section	.rodata,"a",@progbits
	.p2align	6, 0x0
	.amdhsa_kernel _ZN7rocprim17ROCPRIM_400000_NS6detail17trampoline_kernelINS0_13select_configILj256ELj13ELNS0_17block_load_methodE3ELS4_3ELS4_3ELNS0_20block_scan_algorithmE0ELj4294967295EEENS1_25partition_config_selectorILNS1_17partition_subalgoE4EjNS0_10empty_typeEbEEZZNS1_14partition_implILS8_4ELb0ES6_15HIP_vector_typeIjLj2EENS0_17counting_iteratorIjlEEPS9_SG_NS0_5tupleIJPjSI_NS0_16reverse_iteratorISI_EEEEENSH_IJSG_SG_SG_EEES9_SI_JZNS1_25segmented_radix_sort_implINS0_14default_configELb1EPKsPsPKlPlN2at6native12_GLOBAL__N_18offset_tEEE10hipError_tPvRmT1_PNSt15iterator_traitsIS12_E10value_typeET2_T3_PNS13_IS18_E10value_typeET4_jRbjT5_S1E_jjP12ihipStream_tbEUljE_ZNSN_ISO_Lb1ESQ_SR_ST_SU_SY_EESZ_S10_S11_S12_S16_S17_S18_S1B_S1C_jS1D_jS1E_S1E_jjS1G_bEUljE0_EEESZ_S10_S11_S18_S1C_S1E_T6_T7_T9_mT8_S1G_bDpT10_ENKUlT_T0_E_clISt17integral_constantIbLb1EES1T_IbLb0EEEEDaS1P_S1Q_EUlS1P_E_NS1_11comp_targetILNS1_3genE4ELNS1_11target_archE910ELNS1_3gpuE8ELNS1_3repE0EEENS1_30default_config_static_selectorELNS0_4arch9wavefront6targetE0EEEvS12_
		.amdhsa_group_segment_fixed_size 0
		.amdhsa_private_segment_fixed_size 0
		.amdhsa_kernarg_size 176
		.amdhsa_user_sgpr_count 2
		.amdhsa_user_sgpr_dispatch_ptr 0
		.amdhsa_user_sgpr_queue_ptr 0
		.amdhsa_user_sgpr_kernarg_segment_ptr 1
		.amdhsa_user_sgpr_dispatch_id 0
		.amdhsa_user_sgpr_kernarg_preload_length 0
		.amdhsa_user_sgpr_kernarg_preload_offset 0
		.amdhsa_user_sgpr_private_segment_size 0
		.amdhsa_wavefront_size32 1
		.amdhsa_uses_dynamic_stack 0
		.amdhsa_enable_private_segment 0
		.amdhsa_system_sgpr_workgroup_id_x 1
		.amdhsa_system_sgpr_workgroup_id_y 0
		.amdhsa_system_sgpr_workgroup_id_z 0
		.amdhsa_system_sgpr_workgroup_info 0
		.amdhsa_system_vgpr_workitem_id 0
		.amdhsa_next_free_vgpr 1
		.amdhsa_next_free_sgpr 1
		.amdhsa_named_barrier_count 0
		.amdhsa_reserve_vcc 0
		.amdhsa_float_round_mode_32 0
		.amdhsa_float_round_mode_16_64 0
		.amdhsa_float_denorm_mode_32 3
		.amdhsa_float_denorm_mode_16_64 3
		.amdhsa_fp16_overflow 0
		.amdhsa_memory_ordered 1
		.amdhsa_forward_progress 1
		.amdhsa_inst_pref_size 0
		.amdhsa_round_robin_scheduling 0
		.amdhsa_exception_fp_ieee_invalid_op 0
		.amdhsa_exception_fp_denorm_src 0
		.amdhsa_exception_fp_ieee_div_zero 0
		.amdhsa_exception_fp_ieee_overflow 0
		.amdhsa_exception_fp_ieee_underflow 0
		.amdhsa_exception_fp_ieee_inexact 0
		.amdhsa_exception_int_div_zero 0
	.end_amdhsa_kernel
	.section	.text._ZN7rocprim17ROCPRIM_400000_NS6detail17trampoline_kernelINS0_13select_configILj256ELj13ELNS0_17block_load_methodE3ELS4_3ELS4_3ELNS0_20block_scan_algorithmE0ELj4294967295EEENS1_25partition_config_selectorILNS1_17partition_subalgoE4EjNS0_10empty_typeEbEEZZNS1_14partition_implILS8_4ELb0ES6_15HIP_vector_typeIjLj2EENS0_17counting_iteratorIjlEEPS9_SG_NS0_5tupleIJPjSI_NS0_16reverse_iteratorISI_EEEEENSH_IJSG_SG_SG_EEES9_SI_JZNS1_25segmented_radix_sort_implINS0_14default_configELb1EPKsPsPKlPlN2at6native12_GLOBAL__N_18offset_tEEE10hipError_tPvRmT1_PNSt15iterator_traitsIS12_E10value_typeET2_T3_PNS13_IS18_E10value_typeET4_jRbjT5_S1E_jjP12ihipStream_tbEUljE_ZNSN_ISO_Lb1ESQ_SR_ST_SU_SY_EESZ_S10_S11_S12_S16_S17_S18_S1B_S1C_jS1D_jS1E_S1E_jjS1G_bEUljE0_EEESZ_S10_S11_S18_S1C_S1E_T6_T7_T9_mT8_S1G_bDpT10_ENKUlT_T0_E_clISt17integral_constantIbLb1EES1T_IbLb0EEEEDaS1P_S1Q_EUlS1P_E_NS1_11comp_targetILNS1_3genE4ELNS1_11target_archE910ELNS1_3gpuE8ELNS1_3repE0EEENS1_30default_config_static_selectorELNS0_4arch9wavefront6targetE0EEEvS12_,"axG",@progbits,_ZN7rocprim17ROCPRIM_400000_NS6detail17trampoline_kernelINS0_13select_configILj256ELj13ELNS0_17block_load_methodE3ELS4_3ELS4_3ELNS0_20block_scan_algorithmE0ELj4294967295EEENS1_25partition_config_selectorILNS1_17partition_subalgoE4EjNS0_10empty_typeEbEEZZNS1_14partition_implILS8_4ELb0ES6_15HIP_vector_typeIjLj2EENS0_17counting_iteratorIjlEEPS9_SG_NS0_5tupleIJPjSI_NS0_16reverse_iteratorISI_EEEEENSH_IJSG_SG_SG_EEES9_SI_JZNS1_25segmented_radix_sort_implINS0_14default_configELb1EPKsPsPKlPlN2at6native12_GLOBAL__N_18offset_tEEE10hipError_tPvRmT1_PNSt15iterator_traitsIS12_E10value_typeET2_T3_PNS13_IS18_E10value_typeET4_jRbjT5_S1E_jjP12ihipStream_tbEUljE_ZNSN_ISO_Lb1ESQ_SR_ST_SU_SY_EESZ_S10_S11_S12_S16_S17_S18_S1B_S1C_jS1D_jS1E_S1E_jjS1G_bEUljE0_EEESZ_S10_S11_S18_S1C_S1E_T6_T7_T9_mT8_S1G_bDpT10_ENKUlT_T0_E_clISt17integral_constantIbLb1EES1T_IbLb0EEEEDaS1P_S1Q_EUlS1P_E_NS1_11comp_targetILNS1_3genE4ELNS1_11target_archE910ELNS1_3gpuE8ELNS1_3repE0EEENS1_30default_config_static_selectorELNS0_4arch9wavefront6targetE0EEEvS12_,comdat
.Lfunc_end861:
	.size	_ZN7rocprim17ROCPRIM_400000_NS6detail17trampoline_kernelINS0_13select_configILj256ELj13ELNS0_17block_load_methodE3ELS4_3ELS4_3ELNS0_20block_scan_algorithmE0ELj4294967295EEENS1_25partition_config_selectorILNS1_17partition_subalgoE4EjNS0_10empty_typeEbEEZZNS1_14partition_implILS8_4ELb0ES6_15HIP_vector_typeIjLj2EENS0_17counting_iteratorIjlEEPS9_SG_NS0_5tupleIJPjSI_NS0_16reverse_iteratorISI_EEEEENSH_IJSG_SG_SG_EEES9_SI_JZNS1_25segmented_radix_sort_implINS0_14default_configELb1EPKsPsPKlPlN2at6native12_GLOBAL__N_18offset_tEEE10hipError_tPvRmT1_PNSt15iterator_traitsIS12_E10value_typeET2_T3_PNS13_IS18_E10value_typeET4_jRbjT5_S1E_jjP12ihipStream_tbEUljE_ZNSN_ISO_Lb1ESQ_SR_ST_SU_SY_EESZ_S10_S11_S12_S16_S17_S18_S1B_S1C_jS1D_jS1E_S1E_jjS1G_bEUljE0_EEESZ_S10_S11_S18_S1C_S1E_T6_T7_T9_mT8_S1G_bDpT10_ENKUlT_T0_E_clISt17integral_constantIbLb1EES1T_IbLb0EEEEDaS1P_S1Q_EUlS1P_E_NS1_11comp_targetILNS1_3genE4ELNS1_11target_archE910ELNS1_3gpuE8ELNS1_3repE0EEENS1_30default_config_static_selectorELNS0_4arch9wavefront6targetE0EEEvS12_, .Lfunc_end861-_ZN7rocprim17ROCPRIM_400000_NS6detail17trampoline_kernelINS0_13select_configILj256ELj13ELNS0_17block_load_methodE3ELS4_3ELS4_3ELNS0_20block_scan_algorithmE0ELj4294967295EEENS1_25partition_config_selectorILNS1_17partition_subalgoE4EjNS0_10empty_typeEbEEZZNS1_14partition_implILS8_4ELb0ES6_15HIP_vector_typeIjLj2EENS0_17counting_iteratorIjlEEPS9_SG_NS0_5tupleIJPjSI_NS0_16reverse_iteratorISI_EEEEENSH_IJSG_SG_SG_EEES9_SI_JZNS1_25segmented_radix_sort_implINS0_14default_configELb1EPKsPsPKlPlN2at6native12_GLOBAL__N_18offset_tEEE10hipError_tPvRmT1_PNSt15iterator_traitsIS12_E10value_typeET2_T3_PNS13_IS18_E10value_typeET4_jRbjT5_S1E_jjP12ihipStream_tbEUljE_ZNSN_ISO_Lb1ESQ_SR_ST_SU_SY_EESZ_S10_S11_S12_S16_S17_S18_S1B_S1C_jS1D_jS1E_S1E_jjS1G_bEUljE0_EEESZ_S10_S11_S18_S1C_S1E_T6_T7_T9_mT8_S1G_bDpT10_ENKUlT_T0_E_clISt17integral_constantIbLb1EES1T_IbLb0EEEEDaS1P_S1Q_EUlS1P_E_NS1_11comp_targetILNS1_3genE4ELNS1_11target_archE910ELNS1_3gpuE8ELNS1_3repE0EEENS1_30default_config_static_selectorELNS0_4arch9wavefront6targetE0EEEvS12_
                                        ; -- End function
	.set _ZN7rocprim17ROCPRIM_400000_NS6detail17trampoline_kernelINS0_13select_configILj256ELj13ELNS0_17block_load_methodE3ELS4_3ELS4_3ELNS0_20block_scan_algorithmE0ELj4294967295EEENS1_25partition_config_selectorILNS1_17partition_subalgoE4EjNS0_10empty_typeEbEEZZNS1_14partition_implILS8_4ELb0ES6_15HIP_vector_typeIjLj2EENS0_17counting_iteratorIjlEEPS9_SG_NS0_5tupleIJPjSI_NS0_16reverse_iteratorISI_EEEEENSH_IJSG_SG_SG_EEES9_SI_JZNS1_25segmented_radix_sort_implINS0_14default_configELb1EPKsPsPKlPlN2at6native12_GLOBAL__N_18offset_tEEE10hipError_tPvRmT1_PNSt15iterator_traitsIS12_E10value_typeET2_T3_PNS13_IS18_E10value_typeET4_jRbjT5_S1E_jjP12ihipStream_tbEUljE_ZNSN_ISO_Lb1ESQ_SR_ST_SU_SY_EESZ_S10_S11_S12_S16_S17_S18_S1B_S1C_jS1D_jS1E_S1E_jjS1G_bEUljE0_EEESZ_S10_S11_S18_S1C_S1E_T6_T7_T9_mT8_S1G_bDpT10_ENKUlT_T0_E_clISt17integral_constantIbLb1EES1T_IbLb0EEEEDaS1P_S1Q_EUlS1P_E_NS1_11comp_targetILNS1_3genE4ELNS1_11target_archE910ELNS1_3gpuE8ELNS1_3repE0EEENS1_30default_config_static_selectorELNS0_4arch9wavefront6targetE0EEEvS12_.num_vgpr, 0
	.set _ZN7rocprim17ROCPRIM_400000_NS6detail17trampoline_kernelINS0_13select_configILj256ELj13ELNS0_17block_load_methodE3ELS4_3ELS4_3ELNS0_20block_scan_algorithmE0ELj4294967295EEENS1_25partition_config_selectorILNS1_17partition_subalgoE4EjNS0_10empty_typeEbEEZZNS1_14partition_implILS8_4ELb0ES6_15HIP_vector_typeIjLj2EENS0_17counting_iteratorIjlEEPS9_SG_NS0_5tupleIJPjSI_NS0_16reverse_iteratorISI_EEEEENSH_IJSG_SG_SG_EEES9_SI_JZNS1_25segmented_radix_sort_implINS0_14default_configELb1EPKsPsPKlPlN2at6native12_GLOBAL__N_18offset_tEEE10hipError_tPvRmT1_PNSt15iterator_traitsIS12_E10value_typeET2_T3_PNS13_IS18_E10value_typeET4_jRbjT5_S1E_jjP12ihipStream_tbEUljE_ZNSN_ISO_Lb1ESQ_SR_ST_SU_SY_EESZ_S10_S11_S12_S16_S17_S18_S1B_S1C_jS1D_jS1E_S1E_jjS1G_bEUljE0_EEESZ_S10_S11_S18_S1C_S1E_T6_T7_T9_mT8_S1G_bDpT10_ENKUlT_T0_E_clISt17integral_constantIbLb1EES1T_IbLb0EEEEDaS1P_S1Q_EUlS1P_E_NS1_11comp_targetILNS1_3genE4ELNS1_11target_archE910ELNS1_3gpuE8ELNS1_3repE0EEENS1_30default_config_static_selectorELNS0_4arch9wavefront6targetE0EEEvS12_.num_agpr, 0
	.set _ZN7rocprim17ROCPRIM_400000_NS6detail17trampoline_kernelINS0_13select_configILj256ELj13ELNS0_17block_load_methodE3ELS4_3ELS4_3ELNS0_20block_scan_algorithmE0ELj4294967295EEENS1_25partition_config_selectorILNS1_17partition_subalgoE4EjNS0_10empty_typeEbEEZZNS1_14partition_implILS8_4ELb0ES6_15HIP_vector_typeIjLj2EENS0_17counting_iteratorIjlEEPS9_SG_NS0_5tupleIJPjSI_NS0_16reverse_iteratorISI_EEEEENSH_IJSG_SG_SG_EEES9_SI_JZNS1_25segmented_radix_sort_implINS0_14default_configELb1EPKsPsPKlPlN2at6native12_GLOBAL__N_18offset_tEEE10hipError_tPvRmT1_PNSt15iterator_traitsIS12_E10value_typeET2_T3_PNS13_IS18_E10value_typeET4_jRbjT5_S1E_jjP12ihipStream_tbEUljE_ZNSN_ISO_Lb1ESQ_SR_ST_SU_SY_EESZ_S10_S11_S12_S16_S17_S18_S1B_S1C_jS1D_jS1E_S1E_jjS1G_bEUljE0_EEESZ_S10_S11_S18_S1C_S1E_T6_T7_T9_mT8_S1G_bDpT10_ENKUlT_T0_E_clISt17integral_constantIbLb1EES1T_IbLb0EEEEDaS1P_S1Q_EUlS1P_E_NS1_11comp_targetILNS1_3genE4ELNS1_11target_archE910ELNS1_3gpuE8ELNS1_3repE0EEENS1_30default_config_static_selectorELNS0_4arch9wavefront6targetE0EEEvS12_.numbered_sgpr, 0
	.set _ZN7rocprim17ROCPRIM_400000_NS6detail17trampoline_kernelINS0_13select_configILj256ELj13ELNS0_17block_load_methodE3ELS4_3ELS4_3ELNS0_20block_scan_algorithmE0ELj4294967295EEENS1_25partition_config_selectorILNS1_17partition_subalgoE4EjNS0_10empty_typeEbEEZZNS1_14partition_implILS8_4ELb0ES6_15HIP_vector_typeIjLj2EENS0_17counting_iteratorIjlEEPS9_SG_NS0_5tupleIJPjSI_NS0_16reverse_iteratorISI_EEEEENSH_IJSG_SG_SG_EEES9_SI_JZNS1_25segmented_radix_sort_implINS0_14default_configELb1EPKsPsPKlPlN2at6native12_GLOBAL__N_18offset_tEEE10hipError_tPvRmT1_PNSt15iterator_traitsIS12_E10value_typeET2_T3_PNS13_IS18_E10value_typeET4_jRbjT5_S1E_jjP12ihipStream_tbEUljE_ZNSN_ISO_Lb1ESQ_SR_ST_SU_SY_EESZ_S10_S11_S12_S16_S17_S18_S1B_S1C_jS1D_jS1E_S1E_jjS1G_bEUljE0_EEESZ_S10_S11_S18_S1C_S1E_T6_T7_T9_mT8_S1G_bDpT10_ENKUlT_T0_E_clISt17integral_constantIbLb1EES1T_IbLb0EEEEDaS1P_S1Q_EUlS1P_E_NS1_11comp_targetILNS1_3genE4ELNS1_11target_archE910ELNS1_3gpuE8ELNS1_3repE0EEENS1_30default_config_static_selectorELNS0_4arch9wavefront6targetE0EEEvS12_.num_named_barrier, 0
	.set _ZN7rocprim17ROCPRIM_400000_NS6detail17trampoline_kernelINS0_13select_configILj256ELj13ELNS0_17block_load_methodE3ELS4_3ELS4_3ELNS0_20block_scan_algorithmE0ELj4294967295EEENS1_25partition_config_selectorILNS1_17partition_subalgoE4EjNS0_10empty_typeEbEEZZNS1_14partition_implILS8_4ELb0ES6_15HIP_vector_typeIjLj2EENS0_17counting_iteratorIjlEEPS9_SG_NS0_5tupleIJPjSI_NS0_16reverse_iteratorISI_EEEEENSH_IJSG_SG_SG_EEES9_SI_JZNS1_25segmented_radix_sort_implINS0_14default_configELb1EPKsPsPKlPlN2at6native12_GLOBAL__N_18offset_tEEE10hipError_tPvRmT1_PNSt15iterator_traitsIS12_E10value_typeET2_T3_PNS13_IS18_E10value_typeET4_jRbjT5_S1E_jjP12ihipStream_tbEUljE_ZNSN_ISO_Lb1ESQ_SR_ST_SU_SY_EESZ_S10_S11_S12_S16_S17_S18_S1B_S1C_jS1D_jS1E_S1E_jjS1G_bEUljE0_EEESZ_S10_S11_S18_S1C_S1E_T6_T7_T9_mT8_S1G_bDpT10_ENKUlT_T0_E_clISt17integral_constantIbLb1EES1T_IbLb0EEEEDaS1P_S1Q_EUlS1P_E_NS1_11comp_targetILNS1_3genE4ELNS1_11target_archE910ELNS1_3gpuE8ELNS1_3repE0EEENS1_30default_config_static_selectorELNS0_4arch9wavefront6targetE0EEEvS12_.private_seg_size, 0
	.set _ZN7rocprim17ROCPRIM_400000_NS6detail17trampoline_kernelINS0_13select_configILj256ELj13ELNS0_17block_load_methodE3ELS4_3ELS4_3ELNS0_20block_scan_algorithmE0ELj4294967295EEENS1_25partition_config_selectorILNS1_17partition_subalgoE4EjNS0_10empty_typeEbEEZZNS1_14partition_implILS8_4ELb0ES6_15HIP_vector_typeIjLj2EENS0_17counting_iteratorIjlEEPS9_SG_NS0_5tupleIJPjSI_NS0_16reverse_iteratorISI_EEEEENSH_IJSG_SG_SG_EEES9_SI_JZNS1_25segmented_radix_sort_implINS0_14default_configELb1EPKsPsPKlPlN2at6native12_GLOBAL__N_18offset_tEEE10hipError_tPvRmT1_PNSt15iterator_traitsIS12_E10value_typeET2_T3_PNS13_IS18_E10value_typeET4_jRbjT5_S1E_jjP12ihipStream_tbEUljE_ZNSN_ISO_Lb1ESQ_SR_ST_SU_SY_EESZ_S10_S11_S12_S16_S17_S18_S1B_S1C_jS1D_jS1E_S1E_jjS1G_bEUljE0_EEESZ_S10_S11_S18_S1C_S1E_T6_T7_T9_mT8_S1G_bDpT10_ENKUlT_T0_E_clISt17integral_constantIbLb1EES1T_IbLb0EEEEDaS1P_S1Q_EUlS1P_E_NS1_11comp_targetILNS1_3genE4ELNS1_11target_archE910ELNS1_3gpuE8ELNS1_3repE0EEENS1_30default_config_static_selectorELNS0_4arch9wavefront6targetE0EEEvS12_.uses_vcc, 0
	.set _ZN7rocprim17ROCPRIM_400000_NS6detail17trampoline_kernelINS0_13select_configILj256ELj13ELNS0_17block_load_methodE3ELS4_3ELS4_3ELNS0_20block_scan_algorithmE0ELj4294967295EEENS1_25partition_config_selectorILNS1_17partition_subalgoE4EjNS0_10empty_typeEbEEZZNS1_14partition_implILS8_4ELb0ES6_15HIP_vector_typeIjLj2EENS0_17counting_iteratorIjlEEPS9_SG_NS0_5tupleIJPjSI_NS0_16reverse_iteratorISI_EEEEENSH_IJSG_SG_SG_EEES9_SI_JZNS1_25segmented_radix_sort_implINS0_14default_configELb1EPKsPsPKlPlN2at6native12_GLOBAL__N_18offset_tEEE10hipError_tPvRmT1_PNSt15iterator_traitsIS12_E10value_typeET2_T3_PNS13_IS18_E10value_typeET4_jRbjT5_S1E_jjP12ihipStream_tbEUljE_ZNSN_ISO_Lb1ESQ_SR_ST_SU_SY_EESZ_S10_S11_S12_S16_S17_S18_S1B_S1C_jS1D_jS1E_S1E_jjS1G_bEUljE0_EEESZ_S10_S11_S18_S1C_S1E_T6_T7_T9_mT8_S1G_bDpT10_ENKUlT_T0_E_clISt17integral_constantIbLb1EES1T_IbLb0EEEEDaS1P_S1Q_EUlS1P_E_NS1_11comp_targetILNS1_3genE4ELNS1_11target_archE910ELNS1_3gpuE8ELNS1_3repE0EEENS1_30default_config_static_selectorELNS0_4arch9wavefront6targetE0EEEvS12_.uses_flat_scratch, 0
	.set _ZN7rocprim17ROCPRIM_400000_NS6detail17trampoline_kernelINS0_13select_configILj256ELj13ELNS0_17block_load_methodE3ELS4_3ELS4_3ELNS0_20block_scan_algorithmE0ELj4294967295EEENS1_25partition_config_selectorILNS1_17partition_subalgoE4EjNS0_10empty_typeEbEEZZNS1_14partition_implILS8_4ELb0ES6_15HIP_vector_typeIjLj2EENS0_17counting_iteratorIjlEEPS9_SG_NS0_5tupleIJPjSI_NS0_16reverse_iteratorISI_EEEEENSH_IJSG_SG_SG_EEES9_SI_JZNS1_25segmented_radix_sort_implINS0_14default_configELb1EPKsPsPKlPlN2at6native12_GLOBAL__N_18offset_tEEE10hipError_tPvRmT1_PNSt15iterator_traitsIS12_E10value_typeET2_T3_PNS13_IS18_E10value_typeET4_jRbjT5_S1E_jjP12ihipStream_tbEUljE_ZNSN_ISO_Lb1ESQ_SR_ST_SU_SY_EESZ_S10_S11_S12_S16_S17_S18_S1B_S1C_jS1D_jS1E_S1E_jjS1G_bEUljE0_EEESZ_S10_S11_S18_S1C_S1E_T6_T7_T9_mT8_S1G_bDpT10_ENKUlT_T0_E_clISt17integral_constantIbLb1EES1T_IbLb0EEEEDaS1P_S1Q_EUlS1P_E_NS1_11comp_targetILNS1_3genE4ELNS1_11target_archE910ELNS1_3gpuE8ELNS1_3repE0EEENS1_30default_config_static_selectorELNS0_4arch9wavefront6targetE0EEEvS12_.has_dyn_sized_stack, 0
	.set _ZN7rocprim17ROCPRIM_400000_NS6detail17trampoline_kernelINS0_13select_configILj256ELj13ELNS0_17block_load_methodE3ELS4_3ELS4_3ELNS0_20block_scan_algorithmE0ELj4294967295EEENS1_25partition_config_selectorILNS1_17partition_subalgoE4EjNS0_10empty_typeEbEEZZNS1_14partition_implILS8_4ELb0ES6_15HIP_vector_typeIjLj2EENS0_17counting_iteratorIjlEEPS9_SG_NS0_5tupleIJPjSI_NS0_16reverse_iteratorISI_EEEEENSH_IJSG_SG_SG_EEES9_SI_JZNS1_25segmented_radix_sort_implINS0_14default_configELb1EPKsPsPKlPlN2at6native12_GLOBAL__N_18offset_tEEE10hipError_tPvRmT1_PNSt15iterator_traitsIS12_E10value_typeET2_T3_PNS13_IS18_E10value_typeET4_jRbjT5_S1E_jjP12ihipStream_tbEUljE_ZNSN_ISO_Lb1ESQ_SR_ST_SU_SY_EESZ_S10_S11_S12_S16_S17_S18_S1B_S1C_jS1D_jS1E_S1E_jjS1G_bEUljE0_EEESZ_S10_S11_S18_S1C_S1E_T6_T7_T9_mT8_S1G_bDpT10_ENKUlT_T0_E_clISt17integral_constantIbLb1EES1T_IbLb0EEEEDaS1P_S1Q_EUlS1P_E_NS1_11comp_targetILNS1_3genE4ELNS1_11target_archE910ELNS1_3gpuE8ELNS1_3repE0EEENS1_30default_config_static_selectorELNS0_4arch9wavefront6targetE0EEEvS12_.has_recursion, 0
	.set _ZN7rocprim17ROCPRIM_400000_NS6detail17trampoline_kernelINS0_13select_configILj256ELj13ELNS0_17block_load_methodE3ELS4_3ELS4_3ELNS0_20block_scan_algorithmE0ELj4294967295EEENS1_25partition_config_selectorILNS1_17partition_subalgoE4EjNS0_10empty_typeEbEEZZNS1_14partition_implILS8_4ELb0ES6_15HIP_vector_typeIjLj2EENS0_17counting_iteratorIjlEEPS9_SG_NS0_5tupleIJPjSI_NS0_16reverse_iteratorISI_EEEEENSH_IJSG_SG_SG_EEES9_SI_JZNS1_25segmented_radix_sort_implINS0_14default_configELb1EPKsPsPKlPlN2at6native12_GLOBAL__N_18offset_tEEE10hipError_tPvRmT1_PNSt15iterator_traitsIS12_E10value_typeET2_T3_PNS13_IS18_E10value_typeET4_jRbjT5_S1E_jjP12ihipStream_tbEUljE_ZNSN_ISO_Lb1ESQ_SR_ST_SU_SY_EESZ_S10_S11_S12_S16_S17_S18_S1B_S1C_jS1D_jS1E_S1E_jjS1G_bEUljE0_EEESZ_S10_S11_S18_S1C_S1E_T6_T7_T9_mT8_S1G_bDpT10_ENKUlT_T0_E_clISt17integral_constantIbLb1EES1T_IbLb0EEEEDaS1P_S1Q_EUlS1P_E_NS1_11comp_targetILNS1_3genE4ELNS1_11target_archE910ELNS1_3gpuE8ELNS1_3repE0EEENS1_30default_config_static_selectorELNS0_4arch9wavefront6targetE0EEEvS12_.has_indirect_call, 0
	.section	.AMDGPU.csdata,"",@progbits
; Kernel info:
; codeLenInByte = 0
; TotalNumSgprs: 0
; NumVgprs: 0
; ScratchSize: 0
; MemoryBound: 0
; FloatMode: 240
; IeeeMode: 1
; LDSByteSize: 0 bytes/workgroup (compile time only)
; SGPRBlocks: 0
; VGPRBlocks: 0
; NumSGPRsForWavesPerEU: 1
; NumVGPRsForWavesPerEU: 1
; NamedBarCnt: 0
; Occupancy: 16
; WaveLimiterHint : 0
; COMPUTE_PGM_RSRC2:SCRATCH_EN: 0
; COMPUTE_PGM_RSRC2:USER_SGPR: 2
; COMPUTE_PGM_RSRC2:TRAP_HANDLER: 0
; COMPUTE_PGM_RSRC2:TGID_X_EN: 1
; COMPUTE_PGM_RSRC2:TGID_Y_EN: 0
; COMPUTE_PGM_RSRC2:TGID_Z_EN: 0
; COMPUTE_PGM_RSRC2:TIDIG_COMP_CNT: 0
	.section	.text._ZN7rocprim17ROCPRIM_400000_NS6detail17trampoline_kernelINS0_13select_configILj256ELj13ELNS0_17block_load_methodE3ELS4_3ELS4_3ELNS0_20block_scan_algorithmE0ELj4294967295EEENS1_25partition_config_selectorILNS1_17partition_subalgoE4EjNS0_10empty_typeEbEEZZNS1_14partition_implILS8_4ELb0ES6_15HIP_vector_typeIjLj2EENS0_17counting_iteratorIjlEEPS9_SG_NS0_5tupleIJPjSI_NS0_16reverse_iteratorISI_EEEEENSH_IJSG_SG_SG_EEES9_SI_JZNS1_25segmented_radix_sort_implINS0_14default_configELb1EPKsPsPKlPlN2at6native12_GLOBAL__N_18offset_tEEE10hipError_tPvRmT1_PNSt15iterator_traitsIS12_E10value_typeET2_T3_PNS13_IS18_E10value_typeET4_jRbjT5_S1E_jjP12ihipStream_tbEUljE_ZNSN_ISO_Lb1ESQ_SR_ST_SU_SY_EESZ_S10_S11_S12_S16_S17_S18_S1B_S1C_jS1D_jS1E_S1E_jjS1G_bEUljE0_EEESZ_S10_S11_S18_S1C_S1E_T6_T7_T9_mT8_S1G_bDpT10_ENKUlT_T0_E_clISt17integral_constantIbLb1EES1T_IbLb0EEEEDaS1P_S1Q_EUlS1P_E_NS1_11comp_targetILNS1_3genE3ELNS1_11target_archE908ELNS1_3gpuE7ELNS1_3repE0EEENS1_30default_config_static_selectorELNS0_4arch9wavefront6targetE0EEEvS12_,"axG",@progbits,_ZN7rocprim17ROCPRIM_400000_NS6detail17trampoline_kernelINS0_13select_configILj256ELj13ELNS0_17block_load_methodE3ELS4_3ELS4_3ELNS0_20block_scan_algorithmE0ELj4294967295EEENS1_25partition_config_selectorILNS1_17partition_subalgoE4EjNS0_10empty_typeEbEEZZNS1_14partition_implILS8_4ELb0ES6_15HIP_vector_typeIjLj2EENS0_17counting_iteratorIjlEEPS9_SG_NS0_5tupleIJPjSI_NS0_16reverse_iteratorISI_EEEEENSH_IJSG_SG_SG_EEES9_SI_JZNS1_25segmented_radix_sort_implINS0_14default_configELb1EPKsPsPKlPlN2at6native12_GLOBAL__N_18offset_tEEE10hipError_tPvRmT1_PNSt15iterator_traitsIS12_E10value_typeET2_T3_PNS13_IS18_E10value_typeET4_jRbjT5_S1E_jjP12ihipStream_tbEUljE_ZNSN_ISO_Lb1ESQ_SR_ST_SU_SY_EESZ_S10_S11_S12_S16_S17_S18_S1B_S1C_jS1D_jS1E_S1E_jjS1G_bEUljE0_EEESZ_S10_S11_S18_S1C_S1E_T6_T7_T9_mT8_S1G_bDpT10_ENKUlT_T0_E_clISt17integral_constantIbLb1EES1T_IbLb0EEEEDaS1P_S1Q_EUlS1P_E_NS1_11comp_targetILNS1_3genE3ELNS1_11target_archE908ELNS1_3gpuE7ELNS1_3repE0EEENS1_30default_config_static_selectorELNS0_4arch9wavefront6targetE0EEEvS12_,comdat
	.globl	_ZN7rocprim17ROCPRIM_400000_NS6detail17trampoline_kernelINS0_13select_configILj256ELj13ELNS0_17block_load_methodE3ELS4_3ELS4_3ELNS0_20block_scan_algorithmE0ELj4294967295EEENS1_25partition_config_selectorILNS1_17partition_subalgoE4EjNS0_10empty_typeEbEEZZNS1_14partition_implILS8_4ELb0ES6_15HIP_vector_typeIjLj2EENS0_17counting_iteratorIjlEEPS9_SG_NS0_5tupleIJPjSI_NS0_16reverse_iteratorISI_EEEEENSH_IJSG_SG_SG_EEES9_SI_JZNS1_25segmented_radix_sort_implINS0_14default_configELb1EPKsPsPKlPlN2at6native12_GLOBAL__N_18offset_tEEE10hipError_tPvRmT1_PNSt15iterator_traitsIS12_E10value_typeET2_T3_PNS13_IS18_E10value_typeET4_jRbjT5_S1E_jjP12ihipStream_tbEUljE_ZNSN_ISO_Lb1ESQ_SR_ST_SU_SY_EESZ_S10_S11_S12_S16_S17_S18_S1B_S1C_jS1D_jS1E_S1E_jjS1G_bEUljE0_EEESZ_S10_S11_S18_S1C_S1E_T6_T7_T9_mT8_S1G_bDpT10_ENKUlT_T0_E_clISt17integral_constantIbLb1EES1T_IbLb0EEEEDaS1P_S1Q_EUlS1P_E_NS1_11comp_targetILNS1_3genE3ELNS1_11target_archE908ELNS1_3gpuE7ELNS1_3repE0EEENS1_30default_config_static_selectorELNS0_4arch9wavefront6targetE0EEEvS12_ ; -- Begin function _ZN7rocprim17ROCPRIM_400000_NS6detail17trampoline_kernelINS0_13select_configILj256ELj13ELNS0_17block_load_methodE3ELS4_3ELS4_3ELNS0_20block_scan_algorithmE0ELj4294967295EEENS1_25partition_config_selectorILNS1_17partition_subalgoE4EjNS0_10empty_typeEbEEZZNS1_14partition_implILS8_4ELb0ES6_15HIP_vector_typeIjLj2EENS0_17counting_iteratorIjlEEPS9_SG_NS0_5tupleIJPjSI_NS0_16reverse_iteratorISI_EEEEENSH_IJSG_SG_SG_EEES9_SI_JZNS1_25segmented_radix_sort_implINS0_14default_configELb1EPKsPsPKlPlN2at6native12_GLOBAL__N_18offset_tEEE10hipError_tPvRmT1_PNSt15iterator_traitsIS12_E10value_typeET2_T3_PNS13_IS18_E10value_typeET4_jRbjT5_S1E_jjP12ihipStream_tbEUljE_ZNSN_ISO_Lb1ESQ_SR_ST_SU_SY_EESZ_S10_S11_S12_S16_S17_S18_S1B_S1C_jS1D_jS1E_S1E_jjS1G_bEUljE0_EEESZ_S10_S11_S18_S1C_S1E_T6_T7_T9_mT8_S1G_bDpT10_ENKUlT_T0_E_clISt17integral_constantIbLb1EES1T_IbLb0EEEEDaS1P_S1Q_EUlS1P_E_NS1_11comp_targetILNS1_3genE3ELNS1_11target_archE908ELNS1_3gpuE7ELNS1_3repE0EEENS1_30default_config_static_selectorELNS0_4arch9wavefront6targetE0EEEvS12_
	.p2align	8
	.type	_ZN7rocprim17ROCPRIM_400000_NS6detail17trampoline_kernelINS0_13select_configILj256ELj13ELNS0_17block_load_methodE3ELS4_3ELS4_3ELNS0_20block_scan_algorithmE0ELj4294967295EEENS1_25partition_config_selectorILNS1_17partition_subalgoE4EjNS0_10empty_typeEbEEZZNS1_14partition_implILS8_4ELb0ES6_15HIP_vector_typeIjLj2EENS0_17counting_iteratorIjlEEPS9_SG_NS0_5tupleIJPjSI_NS0_16reverse_iteratorISI_EEEEENSH_IJSG_SG_SG_EEES9_SI_JZNS1_25segmented_radix_sort_implINS0_14default_configELb1EPKsPsPKlPlN2at6native12_GLOBAL__N_18offset_tEEE10hipError_tPvRmT1_PNSt15iterator_traitsIS12_E10value_typeET2_T3_PNS13_IS18_E10value_typeET4_jRbjT5_S1E_jjP12ihipStream_tbEUljE_ZNSN_ISO_Lb1ESQ_SR_ST_SU_SY_EESZ_S10_S11_S12_S16_S17_S18_S1B_S1C_jS1D_jS1E_S1E_jjS1G_bEUljE0_EEESZ_S10_S11_S18_S1C_S1E_T6_T7_T9_mT8_S1G_bDpT10_ENKUlT_T0_E_clISt17integral_constantIbLb1EES1T_IbLb0EEEEDaS1P_S1Q_EUlS1P_E_NS1_11comp_targetILNS1_3genE3ELNS1_11target_archE908ELNS1_3gpuE7ELNS1_3repE0EEENS1_30default_config_static_selectorELNS0_4arch9wavefront6targetE0EEEvS12_,@function
_ZN7rocprim17ROCPRIM_400000_NS6detail17trampoline_kernelINS0_13select_configILj256ELj13ELNS0_17block_load_methodE3ELS4_3ELS4_3ELNS0_20block_scan_algorithmE0ELj4294967295EEENS1_25partition_config_selectorILNS1_17partition_subalgoE4EjNS0_10empty_typeEbEEZZNS1_14partition_implILS8_4ELb0ES6_15HIP_vector_typeIjLj2EENS0_17counting_iteratorIjlEEPS9_SG_NS0_5tupleIJPjSI_NS0_16reverse_iteratorISI_EEEEENSH_IJSG_SG_SG_EEES9_SI_JZNS1_25segmented_radix_sort_implINS0_14default_configELb1EPKsPsPKlPlN2at6native12_GLOBAL__N_18offset_tEEE10hipError_tPvRmT1_PNSt15iterator_traitsIS12_E10value_typeET2_T3_PNS13_IS18_E10value_typeET4_jRbjT5_S1E_jjP12ihipStream_tbEUljE_ZNSN_ISO_Lb1ESQ_SR_ST_SU_SY_EESZ_S10_S11_S12_S16_S17_S18_S1B_S1C_jS1D_jS1E_S1E_jjS1G_bEUljE0_EEESZ_S10_S11_S18_S1C_S1E_T6_T7_T9_mT8_S1G_bDpT10_ENKUlT_T0_E_clISt17integral_constantIbLb1EES1T_IbLb0EEEEDaS1P_S1Q_EUlS1P_E_NS1_11comp_targetILNS1_3genE3ELNS1_11target_archE908ELNS1_3gpuE7ELNS1_3repE0EEENS1_30default_config_static_selectorELNS0_4arch9wavefront6targetE0EEEvS12_: ; @_ZN7rocprim17ROCPRIM_400000_NS6detail17trampoline_kernelINS0_13select_configILj256ELj13ELNS0_17block_load_methodE3ELS4_3ELS4_3ELNS0_20block_scan_algorithmE0ELj4294967295EEENS1_25partition_config_selectorILNS1_17partition_subalgoE4EjNS0_10empty_typeEbEEZZNS1_14partition_implILS8_4ELb0ES6_15HIP_vector_typeIjLj2EENS0_17counting_iteratorIjlEEPS9_SG_NS0_5tupleIJPjSI_NS0_16reverse_iteratorISI_EEEEENSH_IJSG_SG_SG_EEES9_SI_JZNS1_25segmented_radix_sort_implINS0_14default_configELb1EPKsPsPKlPlN2at6native12_GLOBAL__N_18offset_tEEE10hipError_tPvRmT1_PNSt15iterator_traitsIS12_E10value_typeET2_T3_PNS13_IS18_E10value_typeET4_jRbjT5_S1E_jjP12ihipStream_tbEUljE_ZNSN_ISO_Lb1ESQ_SR_ST_SU_SY_EESZ_S10_S11_S12_S16_S17_S18_S1B_S1C_jS1D_jS1E_S1E_jjS1G_bEUljE0_EEESZ_S10_S11_S18_S1C_S1E_T6_T7_T9_mT8_S1G_bDpT10_ENKUlT_T0_E_clISt17integral_constantIbLb1EES1T_IbLb0EEEEDaS1P_S1Q_EUlS1P_E_NS1_11comp_targetILNS1_3genE3ELNS1_11target_archE908ELNS1_3gpuE7ELNS1_3repE0EEENS1_30default_config_static_selectorELNS0_4arch9wavefront6targetE0EEEvS12_
; %bb.0:
	.section	.rodata,"a",@progbits
	.p2align	6, 0x0
	.amdhsa_kernel _ZN7rocprim17ROCPRIM_400000_NS6detail17trampoline_kernelINS0_13select_configILj256ELj13ELNS0_17block_load_methodE3ELS4_3ELS4_3ELNS0_20block_scan_algorithmE0ELj4294967295EEENS1_25partition_config_selectorILNS1_17partition_subalgoE4EjNS0_10empty_typeEbEEZZNS1_14partition_implILS8_4ELb0ES6_15HIP_vector_typeIjLj2EENS0_17counting_iteratorIjlEEPS9_SG_NS0_5tupleIJPjSI_NS0_16reverse_iteratorISI_EEEEENSH_IJSG_SG_SG_EEES9_SI_JZNS1_25segmented_radix_sort_implINS0_14default_configELb1EPKsPsPKlPlN2at6native12_GLOBAL__N_18offset_tEEE10hipError_tPvRmT1_PNSt15iterator_traitsIS12_E10value_typeET2_T3_PNS13_IS18_E10value_typeET4_jRbjT5_S1E_jjP12ihipStream_tbEUljE_ZNSN_ISO_Lb1ESQ_SR_ST_SU_SY_EESZ_S10_S11_S12_S16_S17_S18_S1B_S1C_jS1D_jS1E_S1E_jjS1G_bEUljE0_EEESZ_S10_S11_S18_S1C_S1E_T6_T7_T9_mT8_S1G_bDpT10_ENKUlT_T0_E_clISt17integral_constantIbLb1EES1T_IbLb0EEEEDaS1P_S1Q_EUlS1P_E_NS1_11comp_targetILNS1_3genE3ELNS1_11target_archE908ELNS1_3gpuE7ELNS1_3repE0EEENS1_30default_config_static_selectorELNS0_4arch9wavefront6targetE0EEEvS12_
		.amdhsa_group_segment_fixed_size 0
		.amdhsa_private_segment_fixed_size 0
		.amdhsa_kernarg_size 176
		.amdhsa_user_sgpr_count 2
		.amdhsa_user_sgpr_dispatch_ptr 0
		.amdhsa_user_sgpr_queue_ptr 0
		.amdhsa_user_sgpr_kernarg_segment_ptr 1
		.amdhsa_user_sgpr_dispatch_id 0
		.amdhsa_user_sgpr_kernarg_preload_length 0
		.amdhsa_user_sgpr_kernarg_preload_offset 0
		.amdhsa_user_sgpr_private_segment_size 0
		.amdhsa_wavefront_size32 1
		.amdhsa_uses_dynamic_stack 0
		.amdhsa_enable_private_segment 0
		.amdhsa_system_sgpr_workgroup_id_x 1
		.amdhsa_system_sgpr_workgroup_id_y 0
		.amdhsa_system_sgpr_workgroup_id_z 0
		.amdhsa_system_sgpr_workgroup_info 0
		.amdhsa_system_vgpr_workitem_id 0
		.amdhsa_next_free_vgpr 1
		.amdhsa_next_free_sgpr 1
		.amdhsa_named_barrier_count 0
		.amdhsa_reserve_vcc 0
		.amdhsa_float_round_mode_32 0
		.amdhsa_float_round_mode_16_64 0
		.amdhsa_float_denorm_mode_32 3
		.amdhsa_float_denorm_mode_16_64 3
		.amdhsa_fp16_overflow 0
		.amdhsa_memory_ordered 1
		.amdhsa_forward_progress 1
		.amdhsa_inst_pref_size 0
		.amdhsa_round_robin_scheduling 0
		.amdhsa_exception_fp_ieee_invalid_op 0
		.amdhsa_exception_fp_denorm_src 0
		.amdhsa_exception_fp_ieee_div_zero 0
		.amdhsa_exception_fp_ieee_overflow 0
		.amdhsa_exception_fp_ieee_underflow 0
		.amdhsa_exception_fp_ieee_inexact 0
		.amdhsa_exception_int_div_zero 0
	.end_amdhsa_kernel
	.section	.text._ZN7rocprim17ROCPRIM_400000_NS6detail17trampoline_kernelINS0_13select_configILj256ELj13ELNS0_17block_load_methodE3ELS4_3ELS4_3ELNS0_20block_scan_algorithmE0ELj4294967295EEENS1_25partition_config_selectorILNS1_17partition_subalgoE4EjNS0_10empty_typeEbEEZZNS1_14partition_implILS8_4ELb0ES6_15HIP_vector_typeIjLj2EENS0_17counting_iteratorIjlEEPS9_SG_NS0_5tupleIJPjSI_NS0_16reverse_iteratorISI_EEEEENSH_IJSG_SG_SG_EEES9_SI_JZNS1_25segmented_radix_sort_implINS0_14default_configELb1EPKsPsPKlPlN2at6native12_GLOBAL__N_18offset_tEEE10hipError_tPvRmT1_PNSt15iterator_traitsIS12_E10value_typeET2_T3_PNS13_IS18_E10value_typeET4_jRbjT5_S1E_jjP12ihipStream_tbEUljE_ZNSN_ISO_Lb1ESQ_SR_ST_SU_SY_EESZ_S10_S11_S12_S16_S17_S18_S1B_S1C_jS1D_jS1E_S1E_jjS1G_bEUljE0_EEESZ_S10_S11_S18_S1C_S1E_T6_T7_T9_mT8_S1G_bDpT10_ENKUlT_T0_E_clISt17integral_constantIbLb1EES1T_IbLb0EEEEDaS1P_S1Q_EUlS1P_E_NS1_11comp_targetILNS1_3genE3ELNS1_11target_archE908ELNS1_3gpuE7ELNS1_3repE0EEENS1_30default_config_static_selectorELNS0_4arch9wavefront6targetE0EEEvS12_,"axG",@progbits,_ZN7rocprim17ROCPRIM_400000_NS6detail17trampoline_kernelINS0_13select_configILj256ELj13ELNS0_17block_load_methodE3ELS4_3ELS4_3ELNS0_20block_scan_algorithmE0ELj4294967295EEENS1_25partition_config_selectorILNS1_17partition_subalgoE4EjNS0_10empty_typeEbEEZZNS1_14partition_implILS8_4ELb0ES6_15HIP_vector_typeIjLj2EENS0_17counting_iteratorIjlEEPS9_SG_NS0_5tupleIJPjSI_NS0_16reverse_iteratorISI_EEEEENSH_IJSG_SG_SG_EEES9_SI_JZNS1_25segmented_radix_sort_implINS0_14default_configELb1EPKsPsPKlPlN2at6native12_GLOBAL__N_18offset_tEEE10hipError_tPvRmT1_PNSt15iterator_traitsIS12_E10value_typeET2_T3_PNS13_IS18_E10value_typeET4_jRbjT5_S1E_jjP12ihipStream_tbEUljE_ZNSN_ISO_Lb1ESQ_SR_ST_SU_SY_EESZ_S10_S11_S12_S16_S17_S18_S1B_S1C_jS1D_jS1E_S1E_jjS1G_bEUljE0_EEESZ_S10_S11_S18_S1C_S1E_T6_T7_T9_mT8_S1G_bDpT10_ENKUlT_T0_E_clISt17integral_constantIbLb1EES1T_IbLb0EEEEDaS1P_S1Q_EUlS1P_E_NS1_11comp_targetILNS1_3genE3ELNS1_11target_archE908ELNS1_3gpuE7ELNS1_3repE0EEENS1_30default_config_static_selectorELNS0_4arch9wavefront6targetE0EEEvS12_,comdat
.Lfunc_end862:
	.size	_ZN7rocprim17ROCPRIM_400000_NS6detail17trampoline_kernelINS0_13select_configILj256ELj13ELNS0_17block_load_methodE3ELS4_3ELS4_3ELNS0_20block_scan_algorithmE0ELj4294967295EEENS1_25partition_config_selectorILNS1_17partition_subalgoE4EjNS0_10empty_typeEbEEZZNS1_14partition_implILS8_4ELb0ES6_15HIP_vector_typeIjLj2EENS0_17counting_iteratorIjlEEPS9_SG_NS0_5tupleIJPjSI_NS0_16reverse_iteratorISI_EEEEENSH_IJSG_SG_SG_EEES9_SI_JZNS1_25segmented_radix_sort_implINS0_14default_configELb1EPKsPsPKlPlN2at6native12_GLOBAL__N_18offset_tEEE10hipError_tPvRmT1_PNSt15iterator_traitsIS12_E10value_typeET2_T3_PNS13_IS18_E10value_typeET4_jRbjT5_S1E_jjP12ihipStream_tbEUljE_ZNSN_ISO_Lb1ESQ_SR_ST_SU_SY_EESZ_S10_S11_S12_S16_S17_S18_S1B_S1C_jS1D_jS1E_S1E_jjS1G_bEUljE0_EEESZ_S10_S11_S18_S1C_S1E_T6_T7_T9_mT8_S1G_bDpT10_ENKUlT_T0_E_clISt17integral_constantIbLb1EES1T_IbLb0EEEEDaS1P_S1Q_EUlS1P_E_NS1_11comp_targetILNS1_3genE3ELNS1_11target_archE908ELNS1_3gpuE7ELNS1_3repE0EEENS1_30default_config_static_selectorELNS0_4arch9wavefront6targetE0EEEvS12_, .Lfunc_end862-_ZN7rocprim17ROCPRIM_400000_NS6detail17trampoline_kernelINS0_13select_configILj256ELj13ELNS0_17block_load_methodE3ELS4_3ELS4_3ELNS0_20block_scan_algorithmE0ELj4294967295EEENS1_25partition_config_selectorILNS1_17partition_subalgoE4EjNS0_10empty_typeEbEEZZNS1_14partition_implILS8_4ELb0ES6_15HIP_vector_typeIjLj2EENS0_17counting_iteratorIjlEEPS9_SG_NS0_5tupleIJPjSI_NS0_16reverse_iteratorISI_EEEEENSH_IJSG_SG_SG_EEES9_SI_JZNS1_25segmented_radix_sort_implINS0_14default_configELb1EPKsPsPKlPlN2at6native12_GLOBAL__N_18offset_tEEE10hipError_tPvRmT1_PNSt15iterator_traitsIS12_E10value_typeET2_T3_PNS13_IS18_E10value_typeET4_jRbjT5_S1E_jjP12ihipStream_tbEUljE_ZNSN_ISO_Lb1ESQ_SR_ST_SU_SY_EESZ_S10_S11_S12_S16_S17_S18_S1B_S1C_jS1D_jS1E_S1E_jjS1G_bEUljE0_EEESZ_S10_S11_S18_S1C_S1E_T6_T7_T9_mT8_S1G_bDpT10_ENKUlT_T0_E_clISt17integral_constantIbLb1EES1T_IbLb0EEEEDaS1P_S1Q_EUlS1P_E_NS1_11comp_targetILNS1_3genE3ELNS1_11target_archE908ELNS1_3gpuE7ELNS1_3repE0EEENS1_30default_config_static_selectorELNS0_4arch9wavefront6targetE0EEEvS12_
                                        ; -- End function
	.set _ZN7rocprim17ROCPRIM_400000_NS6detail17trampoline_kernelINS0_13select_configILj256ELj13ELNS0_17block_load_methodE3ELS4_3ELS4_3ELNS0_20block_scan_algorithmE0ELj4294967295EEENS1_25partition_config_selectorILNS1_17partition_subalgoE4EjNS0_10empty_typeEbEEZZNS1_14partition_implILS8_4ELb0ES6_15HIP_vector_typeIjLj2EENS0_17counting_iteratorIjlEEPS9_SG_NS0_5tupleIJPjSI_NS0_16reverse_iteratorISI_EEEEENSH_IJSG_SG_SG_EEES9_SI_JZNS1_25segmented_radix_sort_implINS0_14default_configELb1EPKsPsPKlPlN2at6native12_GLOBAL__N_18offset_tEEE10hipError_tPvRmT1_PNSt15iterator_traitsIS12_E10value_typeET2_T3_PNS13_IS18_E10value_typeET4_jRbjT5_S1E_jjP12ihipStream_tbEUljE_ZNSN_ISO_Lb1ESQ_SR_ST_SU_SY_EESZ_S10_S11_S12_S16_S17_S18_S1B_S1C_jS1D_jS1E_S1E_jjS1G_bEUljE0_EEESZ_S10_S11_S18_S1C_S1E_T6_T7_T9_mT8_S1G_bDpT10_ENKUlT_T0_E_clISt17integral_constantIbLb1EES1T_IbLb0EEEEDaS1P_S1Q_EUlS1P_E_NS1_11comp_targetILNS1_3genE3ELNS1_11target_archE908ELNS1_3gpuE7ELNS1_3repE0EEENS1_30default_config_static_selectorELNS0_4arch9wavefront6targetE0EEEvS12_.num_vgpr, 0
	.set _ZN7rocprim17ROCPRIM_400000_NS6detail17trampoline_kernelINS0_13select_configILj256ELj13ELNS0_17block_load_methodE3ELS4_3ELS4_3ELNS0_20block_scan_algorithmE0ELj4294967295EEENS1_25partition_config_selectorILNS1_17partition_subalgoE4EjNS0_10empty_typeEbEEZZNS1_14partition_implILS8_4ELb0ES6_15HIP_vector_typeIjLj2EENS0_17counting_iteratorIjlEEPS9_SG_NS0_5tupleIJPjSI_NS0_16reverse_iteratorISI_EEEEENSH_IJSG_SG_SG_EEES9_SI_JZNS1_25segmented_radix_sort_implINS0_14default_configELb1EPKsPsPKlPlN2at6native12_GLOBAL__N_18offset_tEEE10hipError_tPvRmT1_PNSt15iterator_traitsIS12_E10value_typeET2_T3_PNS13_IS18_E10value_typeET4_jRbjT5_S1E_jjP12ihipStream_tbEUljE_ZNSN_ISO_Lb1ESQ_SR_ST_SU_SY_EESZ_S10_S11_S12_S16_S17_S18_S1B_S1C_jS1D_jS1E_S1E_jjS1G_bEUljE0_EEESZ_S10_S11_S18_S1C_S1E_T6_T7_T9_mT8_S1G_bDpT10_ENKUlT_T0_E_clISt17integral_constantIbLb1EES1T_IbLb0EEEEDaS1P_S1Q_EUlS1P_E_NS1_11comp_targetILNS1_3genE3ELNS1_11target_archE908ELNS1_3gpuE7ELNS1_3repE0EEENS1_30default_config_static_selectorELNS0_4arch9wavefront6targetE0EEEvS12_.num_agpr, 0
	.set _ZN7rocprim17ROCPRIM_400000_NS6detail17trampoline_kernelINS0_13select_configILj256ELj13ELNS0_17block_load_methodE3ELS4_3ELS4_3ELNS0_20block_scan_algorithmE0ELj4294967295EEENS1_25partition_config_selectorILNS1_17partition_subalgoE4EjNS0_10empty_typeEbEEZZNS1_14partition_implILS8_4ELb0ES6_15HIP_vector_typeIjLj2EENS0_17counting_iteratorIjlEEPS9_SG_NS0_5tupleIJPjSI_NS0_16reverse_iteratorISI_EEEEENSH_IJSG_SG_SG_EEES9_SI_JZNS1_25segmented_radix_sort_implINS0_14default_configELb1EPKsPsPKlPlN2at6native12_GLOBAL__N_18offset_tEEE10hipError_tPvRmT1_PNSt15iterator_traitsIS12_E10value_typeET2_T3_PNS13_IS18_E10value_typeET4_jRbjT5_S1E_jjP12ihipStream_tbEUljE_ZNSN_ISO_Lb1ESQ_SR_ST_SU_SY_EESZ_S10_S11_S12_S16_S17_S18_S1B_S1C_jS1D_jS1E_S1E_jjS1G_bEUljE0_EEESZ_S10_S11_S18_S1C_S1E_T6_T7_T9_mT8_S1G_bDpT10_ENKUlT_T0_E_clISt17integral_constantIbLb1EES1T_IbLb0EEEEDaS1P_S1Q_EUlS1P_E_NS1_11comp_targetILNS1_3genE3ELNS1_11target_archE908ELNS1_3gpuE7ELNS1_3repE0EEENS1_30default_config_static_selectorELNS0_4arch9wavefront6targetE0EEEvS12_.numbered_sgpr, 0
	.set _ZN7rocprim17ROCPRIM_400000_NS6detail17trampoline_kernelINS0_13select_configILj256ELj13ELNS0_17block_load_methodE3ELS4_3ELS4_3ELNS0_20block_scan_algorithmE0ELj4294967295EEENS1_25partition_config_selectorILNS1_17partition_subalgoE4EjNS0_10empty_typeEbEEZZNS1_14partition_implILS8_4ELb0ES6_15HIP_vector_typeIjLj2EENS0_17counting_iteratorIjlEEPS9_SG_NS0_5tupleIJPjSI_NS0_16reverse_iteratorISI_EEEEENSH_IJSG_SG_SG_EEES9_SI_JZNS1_25segmented_radix_sort_implINS0_14default_configELb1EPKsPsPKlPlN2at6native12_GLOBAL__N_18offset_tEEE10hipError_tPvRmT1_PNSt15iterator_traitsIS12_E10value_typeET2_T3_PNS13_IS18_E10value_typeET4_jRbjT5_S1E_jjP12ihipStream_tbEUljE_ZNSN_ISO_Lb1ESQ_SR_ST_SU_SY_EESZ_S10_S11_S12_S16_S17_S18_S1B_S1C_jS1D_jS1E_S1E_jjS1G_bEUljE0_EEESZ_S10_S11_S18_S1C_S1E_T6_T7_T9_mT8_S1G_bDpT10_ENKUlT_T0_E_clISt17integral_constantIbLb1EES1T_IbLb0EEEEDaS1P_S1Q_EUlS1P_E_NS1_11comp_targetILNS1_3genE3ELNS1_11target_archE908ELNS1_3gpuE7ELNS1_3repE0EEENS1_30default_config_static_selectorELNS0_4arch9wavefront6targetE0EEEvS12_.num_named_barrier, 0
	.set _ZN7rocprim17ROCPRIM_400000_NS6detail17trampoline_kernelINS0_13select_configILj256ELj13ELNS0_17block_load_methodE3ELS4_3ELS4_3ELNS0_20block_scan_algorithmE0ELj4294967295EEENS1_25partition_config_selectorILNS1_17partition_subalgoE4EjNS0_10empty_typeEbEEZZNS1_14partition_implILS8_4ELb0ES6_15HIP_vector_typeIjLj2EENS0_17counting_iteratorIjlEEPS9_SG_NS0_5tupleIJPjSI_NS0_16reverse_iteratorISI_EEEEENSH_IJSG_SG_SG_EEES9_SI_JZNS1_25segmented_radix_sort_implINS0_14default_configELb1EPKsPsPKlPlN2at6native12_GLOBAL__N_18offset_tEEE10hipError_tPvRmT1_PNSt15iterator_traitsIS12_E10value_typeET2_T3_PNS13_IS18_E10value_typeET4_jRbjT5_S1E_jjP12ihipStream_tbEUljE_ZNSN_ISO_Lb1ESQ_SR_ST_SU_SY_EESZ_S10_S11_S12_S16_S17_S18_S1B_S1C_jS1D_jS1E_S1E_jjS1G_bEUljE0_EEESZ_S10_S11_S18_S1C_S1E_T6_T7_T9_mT8_S1G_bDpT10_ENKUlT_T0_E_clISt17integral_constantIbLb1EES1T_IbLb0EEEEDaS1P_S1Q_EUlS1P_E_NS1_11comp_targetILNS1_3genE3ELNS1_11target_archE908ELNS1_3gpuE7ELNS1_3repE0EEENS1_30default_config_static_selectorELNS0_4arch9wavefront6targetE0EEEvS12_.private_seg_size, 0
	.set _ZN7rocprim17ROCPRIM_400000_NS6detail17trampoline_kernelINS0_13select_configILj256ELj13ELNS0_17block_load_methodE3ELS4_3ELS4_3ELNS0_20block_scan_algorithmE0ELj4294967295EEENS1_25partition_config_selectorILNS1_17partition_subalgoE4EjNS0_10empty_typeEbEEZZNS1_14partition_implILS8_4ELb0ES6_15HIP_vector_typeIjLj2EENS0_17counting_iteratorIjlEEPS9_SG_NS0_5tupleIJPjSI_NS0_16reverse_iteratorISI_EEEEENSH_IJSG_SG_SG_EEES9_SI_JZNS1_25segmented_radix_sort_implINS0_14default_configELb1EPKsPsPKlPlN2at6native12_GLOBAL__N_18offset_tEEE10hipError_tPvRmT1_PNSt15iterator_traitsIS12_E10value_typeET2_T3_PNS13_IS18_E10value_typeET4_jRbjT5_S1E_jjP12ihipStream_tbEUljE_ZNSN_ISO_Lb1ESQ_SR_ST_SU_SY_EESZ_S10_S11_S12_S16_S17_S18_S1B_S1C_jS1D_jS1E_S1E_jjS1G_bEUljE0_EEESZ_S10_S11_S18_S1C_S1E_T6_T7_T9_mT8_S1G_bDpT10_ENKUlT_T0_E_clISt17integral_constantIbLb1EES1T_IbLb0EEEEDaS1P_S1Q_EUlS1P_E_NS1_11comp_targetILNS1_3genE3ELNS1_11target_archE908ELNS1_3gpuE7ELNS1_3repE0EEENS1_30default_config_static_selectorELNS0_4arch9wavefront6targetE0EEEvS12_.uses_vcc, 0
	.set _ZN7rocprim17ROCPRIM_400000_NS6detail17trampoline_kernelINS0_13select_configILj256ELj13ELNS0_17block_load_methodE3ELS4_3ELS4_3ELNS0_20block_scan_algorithmE0ELj4294967295EEENS1_25partition_config_selectorILNS1_17partition_subalgoE4EjNS0_10empty_typeEbEEZZNS1_14partition_implILS8_4ELb0ES6_15HIP_vector_typeIjLj2EENS0_17counting_iteratorIjlEEPS9_SG_NS0_5tupleIJPjSI_NS0_16reverse_iteratorISI_EEEEENSH_IJSG_SG_SG_EEES9_SI_JZNS1_25segmented_radix_sort_implINS0_14default_configELb1EPKsPsPKlPlN2at6native12_GLOBAL__N_18offset_tEEE10hipError_tPvRmT1_PNSt15iterator_traitsIS12_E10value_typeET2_T3_PNS13_IS18_E10value_typeET4_jRbjT5_S1E_jjP12ihipStream_tbEUljE_ZNSN_ISO_Lb1ESQ_SR_ST_SU_SY_EESZ_S10_S11_S12_S16_S17_S18_S1B_S1C_jS1D_jS1E_S1E_jjS1G_bEUljE0_EEESZ_S10_S11_S18_S1C_S1E_T6_T7_T9_mT8_S1G_bDpT10_ENKUlT_T0_E_clISt17integral_constantIbLb1EES1T_IbLb0EEEEDaS1P_S1Q_EUlS1P_E_NS1_11comp_targetILNS1_3genE3ELNS1_11target_archE908ELNS1_3gpuE7ELNS1_3repE0EEENS1_30default_config_static_selectorELNS0_4arch9wavefront6targetE0EEEvS12_.uses_flat_scratch, 0
	.set _ZN7rocprim17ROCPRIM_400000_NS6detail17trampoline_kernelINS0_13select_configILj256ELj13ELNS0_17block_load_methodE3ELS4_3ELS4_3ELNS0_20block_scan_algorithmE0ELj4294967295EEENS1_25partition_config_selectorILNS1_17partition_subalgoE4EjNS0_10empty_typeEbEEZZNS1_14partition_implILS8_4ELb0ES6_15HIP_vector_typeIjLj2EENS0_17counting_iteratorIjlEEPS9_SG_NS0_5tupleIJPjSI_NS0_16reverse_iteratorISI_EEEEENSH_IJSG_SG_SG_EEES9_SI_JZNS1_25segmented_radix_sort_implINS0_14default_configELb1EPKsPsPKlPlN2at6native12_GLOBAL__N_18offset_tEEE10hipError_tPvRmT1_PNSt15iterator_traitsIS12_E10value_typeET2_T3_PNS13_IS18_E10value_typeET4_jRbjT5_S1E_jjP12ihipStream_tbEUljE_ZNSN_ISO_Lb1ESQ_SR_ST_SU_SY_EESZ_S10_S11_S12_S16_S17_S18_S1B_S1C_jS1D_jS1E_S1E_jjS1G_bEUljE0_EEESZ_S10_S11_S18_S1C_S1E_T6_T7_T9_mT8_S1G_bDpT10_ENKUlT_T0_E_clISt17integral_constantIbLb1EES1T_IbLb0EEEEDaS1P_S1Q_EUlS1P_E_NS1_11comp_targetILNS1_3genE3ELNS1_11target_archE908ELNS1_3gpuE7ELNS1_3repE0EEENS1_30default_config_static_selectorELNS0_4arch9wavefront6targetE0EEEvS12_.has_dyn_sized_stack, 0
	.set _ZN7rocprim17ROCPRIM_400000_NS6detail17trampoline_kernelINS0_13select_configILj256ELj13ELNS0_17block_load_methodE3ELS4_3ELS4_3ELNS0_20block_scan_algorithmE0ELj4294967295EEENS1_25partition_config_selectorILNS1_17partition_subalgoE4EjNS0_10empty_typeEbEEZZNS1_14partition_implILS8_4ELb0ES6_15HIP_vector_typeIjLj2EENS0_17counting_iteratorIjlEEPS9_SG_NS0_5tupleIJPjSI_NS0_16reverse_iteratorISI_EEEEENSH_IJSG_SG_SG_EEES9_SI_JZNS1_25segmented_radix_sort_implINS0_14default_configELb1EPKsPsPKlPlN2at6native12_GLOBAL__N_18offset_tEEE10hipError_tPvRmT1_PNSt15iterator_traitsIS12_E10value_typeET2_T3_PNS13_IS18_E10value_typeET4_jRbjT5_S1E_jjP12ihipStream_tbEUljE_ZNSN_ISO_Lb1ESQ_SR_ST_SU_SY_EESZ_S10_S11_S12_S16_S17_S18_S1B_S1C_jS1D_jS1E_S1E_jjS1G_bEUljE0_EEESZ_S10_S11_S18_S1C_S1E_T6_T7_T9_mT8_S1G_bDpT10_ENKUlT_T0_E_clISt17integral_constantIbLb1EES1T_IbLb0EEEEDaS1P_S1Q_EUlS1P_E_NS1_11comp_targetILNS1_3genE3ELNS1_11target_archE908ELNS1_3gpuE7ELNS1_3repE0EEENS1_30default_config_static_selectorELNS0_4arch9wavefront6targetE0EEEvS12_.has_recursion, 0
	.set _ZN7rocprim17ROCPRIM_400000_NS6detail17trampoline_kernelINS0_13select_configILj256ELj13ELNS0_17block_load_methodE3ELS4_3ELS4_3ELNS0_20block_scan_algorithmE0ELj4294967295EEENS1_25partition_config_selectorILNS1_17partition_subalgoE4EjNS0_10empty_typeEbEEZZNS1_14partition_implILS8_4ELb0ES6_15HIP_vector_typeIjLj2EENS0_17counting_iteratorIjlEEPS9_SG_NS0_5tupleIJPjSI_NS0_16reverse_iteratorISI_EEEEENSH_IJSG_SG_SG_EEES9_SI_JZNS1_25segmented_radix_sort_implINS0_14default_configELb1EPKsPsPKlPlN2at6native12_GLOBAL__N_18offset_tEEE10hipError_tPvRmT1_PNSt15iterator_traitsIS12_E10value_typeET2_T3_PNS13_IS18_E10value_typeET4_jRbjT5_S1E_jjP12ihipStream_tbEUljE_ZNSN_ISO_Lb1ESQ_SR_ST_SU_SY_EESZ_S10_S11_S12_S16_S17_S18_S1B_S1C_jS1D_jS1E_S1E_jjS1G_bEUljE0_EEESZ_S10_S11_S18_S1C_S1E_T6_T7_T9_mT8_S1G_bDpT10_ENKUlT_T0_E_clISt17integral_constantIbLb1EES1T_IbLb0EEEEDaS1P_S1Q_EUlS1P_E_NS1_11comp_targetILNS1_3genE3ELNS1_11target_archE908ELNS1_3gpuE7ELNS1_3repE0EEENS1_30default_config_static_selectorELNS0_4arch9wavefront6targetE0EEEvS12_.has_indirect_call, 0
	.section	.AMDGPU.csdata,"",@progbits
; Kernel info:
; codeLenInByte = 0
; TotalNumSgprs: 0
; NumVgprs: 0
; ScratchSize: 0
; MemoryBound: 0
; FloatMode: 240
; IeeeMode: 1
; LDSByteSize: 0 bytes/workgroup (compile time only)
; SGPRBlocks: 0
; VGPRBlocks: 0
; NumSGPRsForWavesPerEU: 1
; NumVGPRsForWavesPerEU: 1
; NamedBarCnt: 0
; Occupancy: 16
; WaveLimiterHint : 0
; COMPUTE_PGM_RSRC2:SCRATCH_EN: 0
; COMPUTE_PGM_RSRC2:USER_SGPR: 2
; COMPUTE_PGM_RSRC2:TRAP_HANDLER: 0
; COMPUTE_PGM_RSRC2:TGID_X_EN: 1
; COMPUTE_PGM_RSRC2:TGID_Y_EN: 0
; COMPUTE_PGM_RSRC2:TGID_Z_EN: 0
; COMPUTE_PGM_RSRC2:TIDIG_COMP_CNT: 0
	.section	.text._ZN7rocprim17ROCPRIM_400000_NS6detail17trampoline_kernelINS0_13select_configILj256ELj13ELNS0_17block_load_methodE3ELS4_3ELS4_3ELNS0_20block_scan_algorithmE0ELj4294967295EEENS1_25partition_config_selectorILNS1_17partition_subalgoE4EjNS0_10empty_typeEbEEZZNS1_14partition_implILS8_4ELb0ES6_15HIP_vector_typeIjLj2EENS0_17counting_iteratorIjlEEPS9_SG_NS0_5tupleIJPjSI_NS0_16reverse_iteratorISI_EEEEENSH_IJSG_SG_SG_EEES9_SI_JZNS1_25segmented_radix_sort_implINS0_14default_configELb1EPKsPsPKlPlN2at6native12_GLOBAL__N_18offset_tEEE10hipError_tPvRmT1_PNSt15iterator_traitsIS12_E10value_typeET2_T3_PNS13_IS18_E10value_typeET4_jRbjT5_S1E_jjP12ihipStream_tbEUljE_ZNSN_ISO_Lb1ESQ_SR_ST_SU_SY_EESZ_S10_S11_S12_S16_S17_S18_S1B_S1C_jS1D_jS1E_S1E_jjS1G_bEUljE0_EEESZ_S10_S11_S18_S1C_S1E_T6_T7_T9_mT8_S1G_bDpT10_ENKUlT_T0_E_clISt17integral_constantIbLb1EES1T_IbLb0EEEEDaS1P_S1Q_EUlS1P_E_NS1_11comp_targetILNS1_3genE2ELNS1_11target_archE906ELNS1_3gpuE6ELNS1_3repE0EEENS1_30default_config_static_selectorELNS0_4arch9wavefront6targetE0EEEvS12_,"axG",@progbits,_ZN7rocprim17ROCPRIM_400000_NS6detail17trampoline_kernelINS0_13select_configILj256ELj13ELNS0_17block_load_methodE3ELS4_3ELS4_3ELNS0_20block_scan_algorithmE0ELj4294967295EEENS1_25partition_config_selectorILNS1_17partition_subalgoE4EjNS0_10empty_typeEbEEZZNS1_14partition_implILS8_4ELb0ES6_15HIP_vector_typeIjLj2EENS0_17counting_iteratorIjlEEPS9_SG_NS0_5tupleIJPjSI_NS0_16reverse_iteratorISI_EEEEENSH_IJSG_SG_SG_EEES9_SI_JZNS1_25segmented_radix_sort_implINS0_14default_configELb1EPKsPsPKlPlN2at6native12_GLOBAL__N_18offset_tEEE10hipError_tPvRmT1_PNSt15iterator_traitsIS12_E10value_typeET2_T3_PNS13_IS18_E10value_typeET4_jRbjT5_S1E_jjP12ihipStream_tbEUljE_ZNSN_ISO_Lb1ESQ_SR_ST_SU_SY_EESZ_S10_S11_S12_S16_S17_S18_S1B_S1C_jS1D_jS1E_S1E_jjS1G_bEUljE0_EEESZ_S10_S11_S18_S1C_S1E_T6_T7_T9_mT8_S1G_bDpT10_ENKUlT_T0_E_clISt17integral_constantIbLb1EES1T_IbLb0EEEEDaS1P_S1Q_EUlS1P_E_NS1_11comp_targetILNS1_3genE2ELNS1_11target_archE906ELNS1_3gpuE6ELNS1_3repE0EEENS1_30default_config_static_selectorELNS0_4arch9wavefront6targetE0EEEvS12_,comdat
	.globl	_ZN7rocprim17ROCPRIM_400000_NS6detail17trampoline_kernelINS0_13select_configILj256ELj13ELNS0_17block_load_methodE3ELS4_3ELS4_3ELNS0_20block_scan_algorithmE0ELj4294967295EEENS1_25partition_config_selectorILNS1_17partition_subalgoE4EjNS0_10empty_typeEbEEZZNS1_14partition_implILS8_4ELb0ES6_15HIP_vector_typeIjLj2EENS0_17counting_iteratorIjlEEPS9_SG_NS0_5tupleIJPjSI_NS0_16reverse_iteratorISI_EEEEENSH_IJSG_SG_SG_EEES9_SI_JZNS1_25segmented_radix_sort_implINS0_14default_configELb1EPKsPsPKlPlN2at6native12_GLOBAL__N_18offset_tEEE10hipError_tPvRmT1_PNSt15iterator_traitsIS12_E10value_typeET2_T3_PNS13_IS18_E10value_typeET4_jRbjT5_S1E_jjP12ihipStream_tbEUljE_ZNSN_ISO_Lb1ESQ_SR_ST_SU_SY_EESZ_S10_S11_S12_S16_S17_S18_S1B_S1C_jS1D_jS1E_S1E_jjS1G_bEUljE0_EEESZ_S10_S11_S18_S1C_S1E_T6_T7_T9_mT8_S1G_bDpT10_ENKUlT_T0_E_clISt17integral_constantIbLb1EES1T_IbLb0EEEEDaS1P_S1Q_EUlS1P_E_NS1_11comp_targetILNS1_3genE2ELNS1_11target_archE906ELNS1_3gpuE6ELNS1_3repE0EEENS1_30default_config_static_selectorELNS0_4arch9wavefront6targetE0EEEvS12_ ; -- Begin function _ZN7rocprim17ROCPRIM_400000_NS6detail17trampoline_kernelINS0_13select_configILj256ELj13ELNS0_17block_load_methodE3ELS4_3ELS4_3ELNS0_20block_scan_algorithmE0ELj4294967295EEENS1_25partition_config_selectorILNS1_17partition_subalgoE4EjNS0_10empty_typeEbEEZZNS1_14partition_implILS8_4ELb0ES6_15HIP_vector_typeIjLj2EENS0_17counting_iteratorIjlEEPS9_SG_NS0_5tupleIJPjSI_NS0_16reverse_iteratorISI_EEEEENSH_IJSG_SG_SG_EEES9_SI_JZNS1_25segmented_radix_sort_implINS0_14default_configELb1EPKsPsPKlPlN2at6native12_GLOBAL__N_18offset_tEEE10hipError_tPvRmT1_PNSt15iterator_traitsIS12_E10value_typeET2_T3_PNS13_IS18_E10value_typeET4_jRbjT5_S1E_jjP12ihipStream_tbEUljE_ZNSN_ISO_Lb1ESQ_SR_ST_SU_SY_EESZ_S10_S11_S12_S16_S17_S18_S1B_S1C_jS1D_jS1E_S1E_jjS1G_bEUljE0_EEESZ_S10_S11_S18_S1C_S1E_T6_T7_T9_mT8_S1G_bDpT10_ENKUlT_T0_E_clISt17integral_constantIbLb1EES1T_IbLb0EEEEDaS1P_S1Q_EUlS1P_E_NS1_11comp_targetILNS1_3genE2ELNS1_11target_archE906ELNS1_3gpuE6ELNS1_3repE0EEENS1_30default_config_static_selectorELNS0_4arch9wavefront6targetE0EEEvS12_
	.p2align	8
	.type	_ZN7rocprim17ROCPRIM_400000_NS6detail17trampoline_kernelINS0_13select_configILj256ELj13ELNS0_17block_load_methodE3ELS4_3ELS4_3ELNS0_20block_scan_algorithmE0ELj4294967295EEENS1_25partition_config_selectorILNS1_17partition_subalgoE4EjNS0_10empty_typeEbEEZZNS1_14partition_implILS8_4ELb0ES6_15HIP_vector_typeIjLj2EENS0_17counting_iteratorIjlEEPS9_SG_NS0_5tupleIJPjSI_NS0_16reverse_iteratorISI_EEEEENSH_IJSG_SG_SG_EEES9_SI_JZNS1_25segmented_radix_sort_implINS0_14default_configELb1EPKsPsPKlPlN2at6native12_GLOBAL__N_18offset_tEEE10hipError_tPvRmT1_PNSt15iterator_traitsIS12_E10value_typeET2_T3_PNS13_IS18_E10value_typeET4_jRbjT5_S1E_jjP12ihipStream_tbEUljE_ZNSN_ISO_Lb1ESQ_SR_ST_SU_SY_EESZ_S10_S11_S12_S16_S17_S18_S1B_S1C_jS1D_jS1E_S1E_jjS1G_bEUljE0_EEESZ_S10_S11_S18_S1C_S1E_T6_T7_T9_mT8_S1G_bDpT10_ENKUlT_T0_E_clISt17integral_constantIbLb1EES1T_IbLb0EEEEDaS1P_S1Q_EUlS1P_E_NS1_11comp_targetILNS1_3genE2ELNS1_11target_archE906ELNS1_3gpuE6ELNS1_3repE0EEENS1_30default_config_static_selectorELNS0_4arch9wavefront6targetE0EEEvS12_,@function
_ZN7rocprim17ROCPRIM_400000_NS6detail17trampoline_kernelINS0_13select_configILj256ELj13ELNS0_17block_load_methodE3ELS4_3ELS4_3ELNS0_20block_scan_algorithmE0ELj4294967295EEENS1_25partition_config_selectorILNS1_17partition_subalgoE4EjNS0_10empty_typeEbEEZZNS1_14partition_implILS8_4ELb0ES6_15HIP_vector_typeIjLj2EENS0_17counting_iteratorIjlEEPS9_SG_NS0_5tupleIJPjSI_NS0_16reverse_iteratorISI_EEEEENSH_IJSG_SG_SG_EEES9_SI_JZNS1_25segmented_radix_sort_implINS0_14default_configELb1EPKsPsPKlPlN2at6native12_GLOBAL__N_18offset_tEEE10hipError_tPvRmT1_PNSt15iterator_traitsIS12_E10value_typeET2_T3_PNS13_IS18_E10value_typeET4_jRbjT5_S1E_jjP12ihipStream_tbEUljE_ZNSN_ISO_Lb1ESQ_SR_ST_SU_SY_EESZ_S10_S11_S12_S16_S17_S18_S1B_S1C_jS1D_jS1E_S1E_jjS1G_bEUljE0_EEESZ_S10_S11_S18_S1C_S1E_T6_T7_T9_mT8_S1G_bDpT10_ENKUlT_T0_E_clISt17integral_constantIbLb1EES1T_IbLb0EEEEDaS1P_S1Q_EUlS1P_E_NS1_11comp_targetILNS1_3genE2ELNS1_11target_archE906ELNS1_3gpuE6ELNS1_3repE0EEENS1_30default_config_static_selectorELNS0_4arch9wavefront6targetE0EEEvS12_: ; @_ZN7rocprim17ROCPRIM_400000_NS6detail17trampoline_kernelINS0_13select_configILj256ELj13ELNS0_17block_load_methodE3ELS4_3ELS4_3ELNS0_20block_scan_algorithmE0ELj4294967295EEENS1_25partition_config_selectorILNS1_17partition_subalgoE4EjNS0_10empty_typeEbEEZZNS1_14partition_implILS8_4ELb0ES6_15HIP_vector_typeIjLj2EENS0_17counting_iteratorIjlEEPS9_SG_NS0_5tupleIJPjSI_NS0_16reverse_iteratorISI_EEEEENSH_IJSG_SG_SG_EEES9_SI_JZNS1_25segmented_radix_sort_implINS0_14default_configELb1EPKsPsPKlPlN2at6native12_GLOBAL__N_18offset_tEEE10hipError_tPvRmT1_PNSt15iterator_traitsIS12_E10value_typeET2_T3_PNS13_IS18_E10value_typeET4_jRbjT5_S1E_jjP12ihipStream_tbEUljE_ZNSN_ISO_Lb1ESQ_SR_ST_SU_SY_EESZ_S10_S11_S12_S16_S17_S18_S1B_S1C_jS1D_jS1E_S1E_jjS1G_bEUljE0_EEESZ_S10_S11_S18_S1C_S1E_T6_T7_T9_mT8_S1G_bDpT10_ENKUlT_T0_E_clISt17integral_constantIbLb1EES1T_IbLb0EEEEDaS1P_S1Q_EUlS1P_E_NS1_11comp_targetILNS1_3genE2ELNS1_11target_archE906ELNS1_3gpuE6ELNS1_3repE0EEENS1_30default_config_static_selectorELNS0_4arch9wavefront6targetE0EEEvS12_
; %bb.0:
	.section	.rodata,"a",@progbits
	.p2align	6, 0x0
	.amdhsa_kernel _ZN7rocprim17ROCPRIM_400000_NS6detail17trampoline_kernelINS0_13select_configILj256ELj13ELNS0_17block_load_methodE3ELS4_3ELS4_3ELNS0_20block_scan_algorithmE0ELj4294967295EEENS1_25partition_config_selectorILNS1_17partition_subalgoE4EjNS0_10empty_typeEbEEZZNS1_14partition_implILS8_4ELb0ES6_15HIP_vector_typeIjLj2EENS0_17counting_iteratorIjlEEPS9_SG_NS0_5tupleIJPjSI_NS0_16reverse_iteratorISI_EEEEENSH_IJSG_SG_SG_EEES9_SI_JZNS1_25segmented_radix_sort_implINS0_14default_configELb1EPKsPsPKlPlN2at6native12_GLOBAL__N_18offset_tEEE10hipError_tPvRmT1_PNSt15iterator_traitsIS12_E10value_typeET2_T3_PNS13_IS18_E10value_typeET4_jRbjT5_S1E_jjP12ihipStream_tbEUljE_ZNSN_ISO_Lb1ESQ_SR_ST_SU_SY_EESZ_S10_S11_S12_S16_S17_S18_S1B_S1C_jS1D_jS1E_S1E_jjS1G_bEUljE0_EEESZ_S10_S11_S18_S1C_S1E_T6_T7_T9_mT8_S1G_bDpT10_ENKUlT_T0_E_clISt17integral_constantIbLb1EES1T_IbLb0EEEEDaS1P_S1Q_EUlS1P_E_NS1_11comp_targetILNS1_3genE2ELNS1_11target_archE906ELNS1_3gpuE6ELNS1_3repE0EEENS1_30default_config_static_selectorELNS0_4arch9wavefront6targetE0EEEvS12_
		.amdhsa_group_segment_fixed_size 0
		.amdhsa_private_segment_fixed_size 0
		.amdhsa_kernarg_size 176
		.amdhsa_user_sgpr_count 2
		.amdhsa_user_sgpr_dispatch_ptr 0
		.amdhsa_user_sgpr_queue_ptr 0
		.amdhsa_user_sgpr_kernarg_segment_ptr 1
		.amdhsa_user_sgpr_dispatch_id 0
		.amdhsa_user_sgpr_kernarg_preload_length 0
		.amdhsa_user_sgpr_kernarg_preload_offset 0
		.amdhsa_user_sgpr_private_segment_size 0
		.amdhsa_wavefront_size32 1
		.amdhsa_uses_dynamic_stack 0
		.amdhsa_enable_private_segment 0
		.amdhsa_system_sgpr_workgroup_id_x 1
		.amdhsa_system_sgpr_workgroup_id_y 0
		.amdhsa_system_sgpr_workgroup_id_z 0
		.amdhsa_system_sgpr_workgroup_info 0
		.amdhsa_system_vgpr_workitem_id 0
		.amdhsa_next_free_vgpr 1
		.amdhsa_next_free_sgpr 1
		.amdhsa_named_barrier_count 0
		.amdhsa_reserve_vcc 0
		.amdhsa_float_round_mode_32 0
		.amdhsa_float_round_mode_16_64 0
		.amdhsa_float_denorm_mode_32 3
		.amdhsa_float_denorm_mode_16_64 3
		.amdhsa_fp16_overflow 0
		.amdhsa_memory_ordered 1
		.amdhsa_forward_progress 1
		.amdhsa_inst_pref_size 0
		.amdhsa_round_robin_scheduling 0
		.amdhsa_exception_fp_ieee_invalid_op 0
		.amdhsa_exception_fp_denorm_src 0
		.amdhsa_exception_fp_ieee_div_zero 0
		.amdhsa_exception_fp_ieee_overflow 0
		.amdhsa_exception_fp_ieee_underflow 0
		.amdhsa_exception_fp_ieee_inexact 0
		.amdhsa_exception_int_div_zero 0
	.end_amdhsa_kernel
	.section	.text._ZN7rocprim17ROCPRIM_400000_NS6detail17trampoline_kernelINS0_13select_configILj256ELj13ELNS0_17block_load_methodE3ELS4_3ELS4_3ELNS0_20block_scan_algorithmE0ELj4294967295EEENS1_25partition_config_selectorILNS1_17partition_subalgoE4EjNS0_10empty_typeEbEEZZNS1_14partition_implILS8_4ELb0ES6_15HIP_vector_typeIjLj2EENS0_17counting_iteratorIjlEEPS9_SG_NS0_5tupleIJPjSI_NS0_16reverse_iteratorISI_EEEEENSH_IJSG_SG_SG_EEES9_SI_JZNS1_25segmented_radix_sort_implINS0_14default_configELb1EPKsPsPKlPlN2at6native12_GLOBAL__N_18offset_tEEE10hipError_tPvRmT1_PNSt15iterator_traitsIS12_E10value_typeET2_T3_PNS13_IS18_E10value_typeET4_jRbjT5_S1E_jjP12ihipStream_tbEUljE_ZNSN_ISO_Lb1ESQ_SR_ST_SU_SY_EESZ_S10_S11_S12_S16_S17_S18_S1B_S1C_jS1D_jS1E_S1E_jjS1G_bEUljE0_EEESZ_S10_S11_S18_S1C_S1E_T6_T7_T9_mT8_S1G_bDpT10_ENKUlT_T0_E_clISt17integral_constantIbLb1EES1T_IbLb0EEEEDaS1P_S1Q_EUlS1P_E_NS1_11comp_targetILNS1_3genE2ELNS1_11target_archE906ELNS1_3gpuE6ELNS1_3repE0EEENS1_30default_config_static_selectorELNS0_4arch9wavefront6targetE0EEEvS12_,"axG",@progbits,_ZN7rocprim17ROCPRIM_400000_NS6detail17trampoline_kernelINS0_13select_configILj256ELj13ELNS0_17block_load_methodE3ELS4_3ELS4_3ELNS0_20block_scan_algorithmE0ELj4294967295EEENS1_25partition_config_selectorILNS1_17partition_subalgoE4EjNS0_10empty_typeEbEEZZNS1_14partition_implILS8_4ELb0ES6_15HIP_vector_typeIjLj2EENS0_17counting_iteratorIjlEEPS9_SG_NS0_5tupleIJPjSI_NS0_16reverse_iteratorISI_EEEEENSH_IJSG_SG_SG_EEES9_SI_JZNS1_25segmented_radix_sort_implINS0_14default_configELb1EPKsPsPKlPlN2at6native12_GLOBAL__N_18offset_tEEE10hipError_tPvRmT1_PNSt15iterator_traitsIS12_E10value_typeET2_T3_PNS13_IS18_E10value_typeET4_jRbjT5_S1E_jjP12ihipStream_tbEUljE_ZNSN_ISO_Lb1ESQ_SR_ST_SU_SY_EESZ_S10_S11_S12_S16_S17_S18_S1B_S1C_jS1D_jS1E_S1E_jjS1G_bEUljE0_EEESZ_S10_S11_S18_S1C_S1E_T6_T7_T9_mT8_S1G_bDpT10_ENKUlT_T0_E_clISt17integral_constantIbLb1EES1T_IbLb0EEEEDaS1P_S1Q_EUlS1P_E_NS1_11comp_targetILNS1_3genE2ELNS1_11target_archE906ELNS1_3gpuE6ELNS1_3repE0EEENS1_30default_config_static_selectorELNS0_4arch9wavefront6targetE0EEEvS12_,comdat
.Lfunc_end863:
	.size	_ZN7rocprim17ROCPRIM_400000_NS6detail17trampoline_kernelINS0_13select_configILj256ELj13ELNS0_17block_load_methodE3ELS4_3ELS4_3ELNS0_20block_scan_algorithmE0ELj4294967295EEENS1_25partition_config_selectorILNS1_17partition_subalgoE4EjNS0_10empty_typeEbEEZZNS1_14partition_implILS8_4ELb0ES6_15HIP_vector_typeIjLj2EENS0_17counting_iteratorIjlEEPS9_SG_NS0_5tupleIJPjSI_NS0_16reverse_iteratorISI_EEEEENSH_IJSG_SG_SG_EEES9_SI_JZNS1_25segmented_radix_sort_implINS0_14default_configELb1EPKsPsPKlPlN2at6native12_GLOBAL__N_18offset_tEEE10hipError_tPvRmT1_PNSt15iterator_traitsIS12_E10value_typeET2_T3_PNS13_IS18_E10value_typeET4_jRbjT5_S1E_jjP12ihipStream_tbEUljE_ZNSN_ISO_Lb1ESQ_SR_ST_SU_SY_EESZ_S10_S11_S12_S16_S17_S18_S1B_S1C_jS1D_jS1E_S1E_jjS1G_bEUljE0_EEESZ_S10_S11_S18_S1C_S1E_T6_T7_T9_mT8_S1G_bDpT10_ENKUlT_T0_E_clISt17integral_constantIbLb1EES1T_IbLb0EEEEDaS1P_S1Q_EUlS1P_E_NS1_11comp_targetILNS1_3genE2ELNS1_11target_archE906ELNS1_3gpuE6ELNS1_3repE0EEENS1_30default_config_static_selectorELNS0_4arch9wavefront6targetE0EEEvS12_, .Lfunc_end863-_ZN7rocprim17ROCPRIM_400000_NS6detail17trampoline_kernelINS0_13select_configILj256ELj13ELNS0_17block_load_methodE3ELS4_3ELS4_3ELNS0_20block_scan_algorithmE0ELj4294967295EEENS1_25partition_config_selectorILNS1_17partition_subalgoE4EjNS0_10empty_typeEbEEZZNS1_14partition_implILS8_4ELb0ES6_15HIP_vector_typeIjLj2EENS0_17counting_iteratorIjlEEPS9_SG_NS0_5tupleIJPjSI_NS0_16reverse_iteratorISI_EEEEENSH_IJSG_SG_SG_EEES9_SI_JZNS1_25segmented_radix_sort_implINS0_14default_configELb1EPKsPsPKlPlN2at6native12_GLOBAL__N_18offset_tEEE10hipError_tPvRmT1_PNSt15iterator_traitsIS12_E10value_typeET2_T3_PNS13_IS18_E10value_typeET4_jRbjT5_S1E_jjP12ihipStream_tbEUljE_ZNSN_ISO_Lb1ESQ_SR_ST_SU_SY_EESZ_S10_S11_S12_S16_S17_S18_S1B_S1C_jS1D_jS1E_S1E_jjS1G_bEUljE0_EEESZ_S10_S11_S18_S1C_S1E_T6_T7_T9_mT8_S1G_bDpT10_ENKUlT_T0_E_clISt17integral_constantIbLb1EES1T_IbLb0EEEEDaS1P_S1Q_EUlS1P_E_NS1_11comp_targetILNS1_3genE2ELNS1_11target_archE906ELNS1_3gpuE6ELNS1_3repE0EEENS1_30default_config_static_selectorELNS0_4arch9wavefront6targetE0EEEvS12_
                                        ; -- End function
	.set _ZN7rocprim17ROCPRIM_400000_NS6detail17trampoline_kernelINS0_13select_configILj256ELj13ELNS0_17block_load_methodE3ELS4_3ELS4_3ELNS0_20block_scan_algorithmE0ELj4294967295EEENS1_25partition_config_selectorILNS1_17partition_subalgoE4EjNS0_10empty_typeEbEEZZNS1_14partition_implILS8_4ELb0ES6_15HIP_vector_typeIjLj2EENS0_17counting_iteratorIjlEEPS9_SG_NS0_5tupleIJPjSI_NS0_16reverse_iteratorISI_EEEEENSH_IJSG_SG_SG_EEES9_SI_JZNS1_25segmented_radix_sort_implINS0_14default_configELb1EPKsPsPKlPlN2at6native12_GLOBAL__N_18offset_tEEE10hipError_tPvRmT1_PNSt15iterator_traitsIS12_E10value_typeET2_T3_PNS13_IS18_E10value_typeET4_jRbjT5_S1E_jjP12ihipStream_tbEUljE_ZNSN_ISO_Lb1ESQ_SR_ST_SU_SY_EESZ_S10_S11_S12_S16_S17_S18_S1B_S1C_jS1D_jS1E_S1E_jjS1G_bEUljE0_EEESZ_S10_S11_S18_S1C_S1E_T6_T7_T9_mT8_S1G_bDpT10_ENKUlT_T0_E_clISt17integral_constantIbLb1EES1T_IbLb0EEEEDaS1P_S1Q_EUlS1P_E_NS1_11comp_targetILNS1_3genE2ELNS1_11target_archE906ELNS1_3gpuE6ELNS1_3repE0EEENS1_30default_config_static_selectorELNS0_4arch9wavefront6targetE0EEEvS12_.num_vgpr, 0
	.set _ZN7rocprim17ROCPRIM_400000_NS6detail17trampoline_kernelINS0_13select_configILj256ELj13ELNS0_17block_load_methodE3ELS4_3ELS4_3ELNS0_20block_scan_algorithmE0ELj4294967295EEENS1_25partition_config_selectorILNS1_17partition_subalgoE4EjNS0_10empty_typeEbEEZZNS1_14partition_implILS8_4ELb0ES6_15HIP_vector_typeIjLj2EENS0_17counting_iteratorIjlEEPS9_SG_NS0_5tupleIJPjSI_NS0_16reverse_iteratorISI_EEEEENSH_IJSG_SG_SG_EEES9_SI_JZNS1_25segmented_radix_sort_implINS0_14default_configELb1EPKsPsPKlPlN2at6native12_GLOBAL__N_18offset_tEEE10hipError_tPvRmT1_PNSt15iterator_traitsIS12_E10value_typeET2_T3_PNS13_IS18_E10value_typeET4_jRbjT5_S1E_jjP12ihipStream_tbEUljE_ZNSN_ISO_Lb1ESQ_SR_ST_SU_SY_EESZ_S10_S11_S12_S16_S17_S18_S1B_S1C_jS1D_jS1E_S1E_jjS1G_bEUljE0_EEESZ_S10_S11_S18_S1C_S1E_T6_T7_T9_mT8_S1G_bDpT10_ENKUlT_T0_E_clISt17integral_constantIbLb1EES1T_IbLb0EEEEDaS1P_S1Q_EUlS1P_E_NS1_11comp_targetILNS1_3genE2ELNS1_11target_archE906ELNS1_3gpuE6ELNS1_3repE0EEENS1_30default_config_static_selectorELNS0_4arch9wavefront6targetE0EEEvS12_.num_agpr, 0
	.set _ZN7rocprim17ROCPRIM_400000_NS6detail17trampoline_kernelINS0_13select_configILj256ELj13ELNS0_17block_load_methodE3ELS4_3ELS4_3ELNS0_20block_scan_algorithmE0ELj4294967295EEENS1_25partition_config_selectorILNS1_17partition_subalgoE4EjNS0_10empty_typeEbEEZZNS1_14partition_implILS8_4ELb0ES6_15HIP_vector_typeIjLj2EENS0_17counting_iteratorIjlEEPS9_SG_NS0_5tupleIJPjSI_NS0_16reverse_iteratorISI_EEEEENSH_IJSG_SG_SG_EEES9_SI_JZNS1_25segmented_radix_sort_implINS0_14default_configELb1EPKsPsPKlPlN2at6native12_GLOBAL__N_18offset_tEEE10hipError_tPvRmT1_PNSt15iterator_traitsIS12_E10value_typeET2_T3_PNS13_IS18_E10value_typeET4_jRbjT5_S1E_jjP12ihipStream_tbEUljE_ZNSN_ISO_Lb1ESQ_SR_ST_SU_SY_EESZ_S10_S11_S12_S16_S17_S18_S1B_S1C_jS1D_jS1E_S1E_jjS1G_bEUljE0_EEESZ_S10_S11_S18_S1C_S1E_T6_T7_T9_mT8_S1G_bDpT10_ENKUlT_T0_E_clISt17integral_constantIbLb1EES1T_IbLb0EEEEDaS1P_S1Q_EUlS1P_E_NS1_11comp_targetILNS1_3genE2ELNS1_11target_archE906ELNS1_3gpuE6ELNS1_3repE0EEENS1_30default_config_static_selectorELNS0_4arch9wavefront6targetE0EEEvS12_.numbered_sgpr, 0
	.set _ZN7rocprim17ROCPRIM_400000_NS6detail17trampoline_kernelINS0_13select_configILj256ELj13ELNS0_17block_load_methodE3ELS4_3ELS4_3ELNS0_20block_scan_algorithmE0ELj4294967295EEENS1_25partition_config_selectorILNS1_17partition_subalgoE4EjNS0_10empty_typeEbEEZZNS1_14partition_implILS8_4ELb0ES6_15HIP_vector_typeIjLj2EENS0_17counting_iteratorIjlEEPS9_SG_NS0_5tupleIJPjSI_NS0_16reverse_iteratorISI_EEEEENSH_IJSG_SG_SG_EEES9_SI_JZNS1_25segmented_radix_sort_implINS0_14default_configELb1EPKsPsPKlPlN2at6native12_GLOBAL__N_18offset_tEEE10hipError_tPvRmT1_PNSt15iterator_traitsIS12_E10value_typeET2_T3_PNS13_IS18_E10value_typeET4_jRbjT5_S1E_jjP12ihipStream_tbEUljE_ZNSN_ISO_Lb1ESQ_SR_ST_SU_SY_EESZ_S10_S11_S12_S16_S17_S18_S1B_S1C_jS1D_jS1E_S1E_jjS1G_bEUljE0_EEESZ_S10_S11_S18_S1C_S1E_T6_T7_T9_mT8_S1G_bDpT10_ENKUlT_T0_E_clISt17integral_constantIbLb1EES1T_IbLb0EEEEDaS1P_S1Q_EUlS1P_E_NS1_11comp_targetILNS1_3genE2ELNS1_11target_archE906ELNS1_3gpuE6ELNS1_3repE0EEENS1_30default_config_static_selectorELNS0_4arch9wavefront6targetE0EEEvS12_.num_named_barrier, 0
	.set _ZN7rocprim17ROCPRIM_400000_NS6detail17trampoline_kernelINS0_13select_configILj256ELj13ELNS0_17block_load_methodE3ELS4_3ELS4_3ELNS0_20block_scan_algorithmE0ELj4294967295EEENS1_25partition_config_selectorILNS1_17partition_subalgoE4EjNS0_10empty_typeEbEEZZNS1_14partition_implILS8_4ELb0ES6_15HIP_vector_typeIjLj2EENS0_17counting_iteratorIjlEEPS9_SG_NS0_5tupleIJPjSI_NS0_16reverse_iteratorISI_EEEEENSH_IJSG_SG_SG_EEES9_SI_JZNS1_25segmented_radix_sort_implINS0_14default_configELb1EPKsPsPKlPlN2at6native12_GLOBAL__N_18offset_tEEE10hipError_tPvRmT1_PNSt15iterator_traitsIS12_E10value_typeET2_T3_PNS13_IS18_E10value_typeET4_jRbjT5_S1E_jjP12ihipStream_tbEUljE_ZNSN_ISO_Lb1ESQ_SR_ST_SU_SY_EESZ_S10_S11_S12_S16_S17_S18_S1B_S1C_jS1D_jS1E_S1E_jjS1G_bEUljE0_EEESZ_S10_S11_S18_S1C_S1E_T6_T7_T9_mT8_S1G_bDpT10_ENKUlT_T0_E_clISt17integral_constantIbLb1EES1T_IbLb0EEEEDaS1P_S1Q_EUlS1P_E_NS1_11comp_targetILNS1_3genE2ELNS1_11target_archE906ELNS1_3gpuE6ELNS1_3repE0EEENS1_30default_config_static_selectorELNS0_4arch9wavefront6targetE0EEEvS12_.private_seg_size, 0
	.set _ZN7rocprim17ROCPRIM_400000_NS6detail17trampoline_kernelINS0_13select_configILj256ELj13ELNS0_17block_load_methodE3ELS4_3ELS4_3ELNS0_20block_scan_algorithmE0ELj4294967295EEENS1_25partition_config_selectorILNS1_17partition_subalgoE4EjNS0_10empty_typeEbEEZZNS1_14partition_implILS8_4ELb0ES6_15HIP_vector_typeIjLj2EENS0_17counting_iteratorIjlEEPS9_SG_NS0_5tupleIJPjSI_NS0_16reverse_iteratorISI_EEEEENSH_IJSG_SG_SG_EEES9_SI_JZNS1_25segmented_radix_sort_implINS0_14default_configELb1EPKsPsPKlPlN2at6native12_GLOBAL__N_18offset_tEEE10hipError_tPvRmT1_PNSt15iterator_traitsIS12_E10value_typeET2_T3_PNS13_IS18_E10value_typeET4_jRbjT5_S1E_jjP12ihipStream_tbEUljE_ZNSN_ISO_Lb1ESQ_SR_ST_SU_SY_EESZ_S10_S11_S12_S16_S17_S18_S1B_S1C_jS1D_jS1E_S1E_jjS1G_bEUljE0_EEESZ_S10_S11_S18_S1C_S1E_T6_T7_T9_mT8_S1G_bDpT10_ENKUlT_T0_E_clISt17integral_constantIbLb1EES1T_IbLb0EEEEDaS1P_S1Q_EUlS1P_E_NS1_11comp_targetILNS1_3genE2ELNS1_11target_archE906ELNS1_3gpuE6ELNS1_3repE0EEENS1_30default_config_static_selectorELNS0_4arch9wavefront6targetE0EEEvS12_.uses_vcc, 0
	.set _ZN7rocprim17ROCPRIM_400000_NS6detail17trampoline_kernelINS0_13select_configILj256ELj13ELNS0_17block_load_methodE3ELS4_3ELS4_3ELNS0_20block_scan_algorithmE0ELj4294967295EEENS1_25partition_config_selectorILNS1_17partition_subalgoE4EjNS0_10empty_typeEbEEZZNS1_14partition_implILS8_4ELb0ES6_15HIP_vector_typeIjLj2EENS0_17counting_iteratorIjlEEPS9_SG_NS0_5tupleIJPjSI_NS0_16reverse_iteratorISI_EEEEENSH_IJSG_SG_SG_EEES9_SI_JZNS1_25segmented_radix_sort_implINS0_14default_configELb1EPKsPsPKlPlN2at6native12_GLOBAL__N_18offset_tEEE10hipError_tPvRmT1_PNSt15iterator_traitsIS12_E10value_typeET2_T3_PNS13_IS18_E10value_typeET4_jRbjT5_S1E_jjP12ihipStream_tbEUljE_ZNSN_ISO_Lb1ESQ_SR_ST_SU_SY_EESZ_S10_S11_S12_S16_S17_S18_S1B_S1C_jS1D_jS1E_S1E_jjS1G_bEUljE0_EEESZ_S10_S11_S18_S1C_S1E_T6_T7_T9_mT8_S1G_bDpT10_ENKUlT_T0_E_clISt17integral_constantIbLb1EES1T_IbLb0EEEEDaS1P_S1Q_EUlS1P_E_NS1_11comp_targetILNS1_3genE2ELNS1_11target_archE906ELNS1_3gpuE6ELNS1_3repE0EEENS1_30default_config_static_selectorELNS0_4arch9wavefront6targetE0EEEvS12_.uses_flat_scratch, 0
	.set _ZN7rocprim17ROCPRIM_400000_NS6detail17trampoline_kernelINS0_13select_configILj256ELj13ELNS0_17block_load_methodE3ELS4_3ELS4_3ELNS0_20block_scan_algorithmE0ELj4294967295EEENS1_25partition_config_selectorILNS1_17partition_subalgoE4EjNS0_10empty_typeEbEEZZNS1_14partition_implILS8_4ELb0ES6_15HIP_vector_typeIjLj2EENS0_17counting_iteratorIjlEEPS9_SG_NS0_5tupleIJPjSI_NS0_16reverse_iteratorISI_EEEEENSH_IJSG_SG_SG_EEES9_SI_JZNS1_25segmented_radix_sort_implINS0_14default_configELb1EPKsPsPKlPlN2at6native12_GLOBAL__N_18offset_tEEE10hipError_tPvRmT1_PNSt15iterator_traitsIS12_E10value_typeET2_T3_PNS13_IS18_E10value_typeET4_jRbjT5_S1E_jjP12ihipStream_tbEUljE_ZNSN_ISO_Lb1ESQ_SR_ST_SU_SY_EESZ_S10_S11_S12_S16_S17_S18_S1B_S1C_jS1D_jS1E_S1E_jjS1G_bEUljE0_EEESZ_S10_S11_S18_S1C_S1E_T6_T7_T9_mT8_S1G_bDpT10_ENKUlT_T0_E_clISt17integral_constantIbLb1EES1T_IbLb0EEEEDaS1P_S1Q_EUlS1P_E_NS1_11comp_targetILNS1_3genE2ELNS1_11target_archE906ELNS1_3gpuE6ELNS1_3repE0EEENS1_30default_config_static_selectorELNS0_4arch9wavefront6targetE0EEEvS12_.has_dyn_sized_stack, 0
	.set _ZN7rocprim17ROCPRIM_400000_NS6detail17trampoline_kernelINS0_13select_configILj256ELj13ELNS0_17block_load_methodE3ELS4_3ELS4_3ELNS0_20block_scan_algorithmE0ELj4294967295EEENS1_25partition_config_selectorILNS1_17partition_subalgoE4EjNS0_10empty_typeEbEEZZNS1_14partition_implILS8_4ELb0ES6_15HIP_vector_typeIjLj2EENS0_17counting_iteratorIjlEEPS9_SG_NS0_5tupleIJPjSI_NS0_16reverse_iteratorISI_EEEEENSH_IJSG_SG_SG_EEES9_SI_JZNS1_25segmented_radix_sort_implINS0_14default_configELb1EPKsPsPKlPlN2at6native12_GLOBAL__N_18offset_tEEE10hipError_tPvRmT1_PNSt15iterator_traitsIS12_E10value_typeET2_T3_PNS13_IS18_E10value_typeET4_jRbjT5_S1E_jjP12ihipStream_tbEUljE_ZNSN_ISO_Lb1ESQ_SR_ST_SU_SY_EESZ_S10_S11_S12_S16_S17_S18_S1B_S1C_jS1D_jS1E_S1E_jjS1G_bEUljE0_EEESZ_S10_S11_S18_S1C_S1E_T6_T7_T9_mT8_S1G_bDpT10_ENKUlT_T0_E_clISt17integral_constantIbLb1EES1T_IbLb0EEEEDaS1P_S1Q_EUlS1P_E_NS1_11comp_targetILNS1_3genE2ELNS1_11target_archE906ELNS1_3gpuE6ELNS1_3repE0EEENS1_30default_config_static_selectorELNS0_4arch9wavefront6targetE0EEEvS12_.has_recursion, 0
	.set _ZN7rocprim17ROCPRIM_400000_NS6detail17trampoline_kernelINS0_13select_configILj256ELj13ELNS0_17block_load_methodE3ELS4_3ELS4_3ELNS0_20block_scan_algorithmE0ELj4294967295EEENS1_25partition_config_selectorILNS1_17partition_subalgoE4EjNS0_10empty_typeEbEEZZNS1_14partition_implILS8_4ELb0ES6_15HIP_vector_typeIjLj2EENS0_17counting_iteratorIjlEEPS9_SG_NS0_5tupleIJPjSI_NS0_16reverse_iteratorISI_EEEEENSH_IJSG_SG_SG_EEES9_SI_JZNS1_25segmented_radix_sort_implINS0_14default_configELb1EPKsPsPKlPlN2at6native12_GLOBAL__N_18offset_tEEE10hipError_tPvRmT1_PNSt15iterator_traitsIS12_E10value_typeET2_T3_PNS13_IS18_E10value_typeET4_jRbjT5_S1E_jjP12ihipStream_tbEUljE_ZNSN_ISO_Lb1ESQ_SR_ST_SU_SY_EESZ_S10_S11_S12_S16_S17_S18_S1B_S1C_jS1D_jS1E_S1E_jjS1G_bEUljE0_EEESZ_S10_S11_S18_S1C_S1E_T6_T7_T9_mT8_S1G_bDpT10_ENKUlT_T0_E_clISt17integral_constantIbLb1EES1T_IbLb0EEEEDaS1P_S1Q_EUlS1P_E_NS1_11comp_targetILNS1_3genE2ELNS1_11target_archE906ELNS1_3gpuE6ELNS1_3repE0EEENS1_30default_config_static_selectorELNS0_4arch9wavefront6targetE0EEEvS12_.has_indirect_call, 0
	.section	.AMDGPU.csdata,"",@progbits
; Kernel info:
; codeLenInByte = 0
; TotalNumSgprs: 0
; NumVgprs: 0
; ScratchSize: 0
; MemoryBound: 0
; FloatMode: 240
; IeeeMode: 1
; LDSByteSize: 0 bytes/workgroup (compile time only)
; SGPRBlocks: 0
; VGPRBlocks: 0
; NumSGPRsForWavesPerEU: 1
; NumVGPRsForWavesPerEU: 1
; NamedBarCnt: 0
; Occupancy: 16
; WaveLimiterHint : 0
; COMPUTE_PGM_RSRC2:SCRATCH_EN: 0
; COMPUTE_PGM_RSRC2:USER_SGPR: 2
; COMPUTE_PGM_RSRC2:TRAP_HANDLER: 0
; COMPUTE_PGM_RSRC2:TGID_X_EN: 1
; COMPUTE_PGM_RSRC2:TGID_Y_EN: 0
; COMPUTE_PGM_RSRC2:TGID_Z_EN: 0
; COMPUTE_PGM_RSRC2:TIDIG_COMP_CNT: 0
	.section	.text._ZN7rocprim17ROCPRIM_400000_NS6detail17trampoline_kernelINS0_13select_configILj256ELj13ELNS0_17block_load_methodE3ELS4_3ELS4_3ELNS0_20block_scan_algorithmE0ELj4294967295EEENS1_25partition_config_selectorILNS1_17partition_subalgoE4EjNS0_10empty_typeEbEEZZNS1_14partition_implILS8_4ELb0ES6_15HIP_vector_typeIjLj2EENS0_17counting_iteratorIjlEEPS9_SG_NS0_5tupleIJPjSI_NS0_16reverse_iteratorISI_EEEEENSH_IJSG_SG_SG_EEES9_SI_JZNS1_25segmented_radix_sort_implINS0_14default_configELb1EPKsPsPKlPlN2at6native12_GLOBAL__N_18offset_tEEE10hipError_tPvRmT1_PNSt15iterator_traitsIS12_E10value_typeET2_T3_PNS13_IS18_E10value_typeET4_jRbjT5_S1E_jjP12ihipStream_tbEUljE_ZNSN_ISO_Lb1ESQ_SR_ST_SU_SY_EESZ_S10_S11_S12_S16_S17_S18_S1B_S1C_jS1D_jS1E_S1E_jjS1G_bEUljE0_EEESZ_S10_S11_S18_S1C_S1E_T6_T7_T9_mT8_S1G_bDpT10_ENKUlT_T0_E_clISt17integral_constantIbLb1EES1T_IbLb0EEEEDaS1P_S1Q_EUlS1P_E_NS1_11comp_targetILNS1_3genE10ELNS1_11target_archE1200ELNS1_3gpuE4ELNS1_3repE0EEENS1_30default_config_static_selectorELNS0_4arch9wavefront6targetE0EEEvS12_,"axG",@progbits,_ZN7rocprim17ROCPRIM_400000_NS6detail17trampoline_kernelINS0_13select_configILj256ELj13ELNS0_17block_load_methodE3ELS4_3ELS4_3ELNS0_20block_scan_algorithmE0ELj4294967295EEENS1_25partition_config_selectorILNS1_17partition_subalgoE4EjNS0_10empty_typeEbEEZZNS1_14partition_implILS8_4ELb0ES6_15HIP_vector_typeIjLj2EENS0_17counting_iteratorIjlEEPS9_SG_NS0_5tupleIJPjSI_NS0_16reverse_iteratorISI_EEEEENSH_IJSG_SG_SG_EEES9_SI_JZNS1_25segmented_radix_sort_implINS0_14default_configELb1EPKsPsPKlPlN2at6native12_GLOBAL__N_18offset_tEEE10hipError_tPvRmT1_PNSt15iterator_traitsIS12_E10value_typeET2_T3_PNS13_IS18_E10value_typeET4_jRbjT5_S1E_jjP12ihipStream_tbEUljE_ZNSN_ISO_Lb1ESQ_SR_ST_SU_SY_EESZ_S10_S11_S12_S16_S17_S18_S1B_S1C_jS1D_jS1E_S1E_jjS1G_bEUljE0_EEESZ_S10_S11_S18_S1C_S1E_T6_T7_T9_mT8_S1G_bDpT10_ENKUlT_T0_E_clISt17integral_constantIbLb1EES1T_IbLb0EEEEDaS1P_S1Q_EUlS1P_E_NS1_11comp_targetILNS1_3genE10ELNS1_11target_archE1200ELNS1_3gpuE4ELNS1_3repE0EEENS1_30default_config_static_selectorELNS0_4arch9wavefront6targetE0EEEvS12_,comdat
	.globl	_ZN7rocprim17ROCPRIM_400000_NS6detail17trampoline_kernelINS0_13select_configILj256ELj13ELNS0_17block_load_methodE3ELS4_3ELS4_3ELNS0_20block_scan_algorithmE0ELj4294967295EEENS1_25partition_config_selectorILNS1_17partition_subalgoE4EjNS0_10empty_typeEbEEZZNS1_14partition_implILS8_4ELb0ES6_15HIP_vector_typeIjLj2EENS0_17counting_iteratorIjlEEPS9_SG_NS0_5tupleIJPjSI_NS0_16reverse_iteratorISI_EEEEENSH_IJSG_SG_SG_EEES9_SI_JZNS1_25segmented_radix_sort_implINS0_14default_configELb1EPKsPsPKlPlN2at6native12_GLOBAL__N_18offset_tEEE10hipError_tPvRmT1_PNSt15iterator_traitsIS12_E10value_typeET2_T3_PNS13_IS18_E10value_typeET4_jRbjT5_S1E_jjP12ihipStream_tbEUljE_ZNSN_ISO_Lb1ESQ_SR_ST_SU_SY_EESZ_S10_S11_S12_S16_S17_S18_S1B_S1C_jS1D_jS1E_S1E_jjS1G_bEUljE0_EEESZ_S10_S11_S18_S1C_S1E_T6_T7_T9_mT8_S1G_bDpT10_ENKUlT_T0_E_clISt17integral_constantIbLb1EES1T_IbLb0EEEEDaS1P_S1Q_EUlS1P_E_NS1_11comp_targetILNS1_3genE10ELNS1_11target_archE1200ELNS1_3gpuE4ELNS1_3repE0EEENS1_30default_config_static_selectorELNS0_4arch9wavefront6targetE0EEEvS12_ ; -- Begin function _ZN7rocprim17ROCPRIM_400000_NS6detail17trampoline_kernelINS0_13select_configILj256ELj13ELNS0_17block_load_methodE3ELS4_3ELS4_3ELNS0_20block_scan_algorithmE0ELj4294967295EEENS1_25partition_config_selectorILNS1_17partition_subalgoE4EjNS0_10empty_typeEbEEZZNS1_14partition_implILS8_4ELb0ES6_15HIP_vector_typeIjLj2EENS0_17counting_iteratorIjlEEPS9_SG_NS0_5tupleIJPjSI_NS0_16reverse_iteratorISI_EEEEENSH_IJSG_SG_SG_EEES9_SI_JZNS1_25segmented_radix_sort_implINS0_14default_configELb1EPKsPsPKlPlN2at6native12_GLOBAL__N_18offset_tEEE10hipError_tPvRmT1_PNSt15iterator_traitsIS12_E10value_typeET2_T3_PNS13_IS18_E10value_typeET4_jRbjT5_S1E_jjP12ihipStream_tbEUljE_ZNSN_ISO_Lb1ESQ_SR_ST_SU_SY_EESZ_S10_S11_S12_S16_S17_S18_S1B_S1C_jS1D_jS1E_S1E_jjS1G_bEUljE0_EEESZ_S10_S11_S18_S1C_S1E_T6_T7_T9_mT8_S1G_bDpT10_ENKUlT_T0_E_clISt17integral_constantIbLb1EES1T_IbLb0EEEEDaS1P_S1Q_EUlS1P_E_NS1_11comp_targetILNS1_3genE10ELNS1_11target_archE1200ELNS1_3gpuE4ELNS1_3repE0EEENS1_30default_config_static_selectorELNS0_4arch9wavefront6targetE0EEEvS12_
	.p2align	8
	.type	_ZN7rocprim17ROCPRIM_400000_NS6detail17trampoline_kernelINS0_13select_configILj256ELj13ELNS0_17block_load_methodE3ELS4_3ELS4_3ELNS0_20block_scan_algorithmE0ELj4294967295EEENS1_25partition_config_selectorILNS1_17partition_subalgoE4EjNS0_10empty_typeEbEEZZNS1_14partition_implILS8_4ELb0ES6_15HIP_vector_typeIjLj2EENS0_17counting_iteratorIjlEEPS9_SG_NS0_5tupleIJPjSI_NS0_16reverse_iteratorISI_EEEEENSH_IJSG_SG_SG_EEES9_SI_JZNS1_25segmented_radix_sort_implINS0_14default_configELb1EPKsPsPKlPlN2at6native12_GLOBAL__N_18offset_tEEE10hipError_tPvRmT1_PNSt15iterator_traitsIS12_E10value_typeET2_T3_PNS13_IS18_E10value_typeET4_jRbjT5_S1E_jjP12ihipStream_tbEUljE_ZNSN_ISO_Lb1ESQ_SR_ST_SU_SY_EESZ_S10_S11_S12_S16_S17_S18_S1B_S1C_jS1D_jS1E_S1E_jjS1G_bEUljE0_EEESZ_S10_S11_S18_S1C_S1E_T6_T7_T9_mT8_S1G_bDpT10_ENKUlT_T0_E_clISt17integral_constantIbLb1EES1T_IbLb0EEEEDaS1P_S1Q_EUlS1P_E_NS1_11comp_targetILNS1_3genE10ELNS1_11target_archE1200ELNS1_3gpuE4ELNS1_3repE0EEENS1_30default_config_static_selectorELNS0_4arch9wavefront6targetE0EEEvS12_,@function
_ZN7rocprim17ROCPRIM_400000_NS6detail17trampoline_kernelINS0_13select_configILj256ELj13ELNS0_17block_load_methodE3ELS4_3ELS4_3ELNS0_20block_scan_algorithmE0ELj4294967295EEENS1_25partition_config_selectorILNS1_17partition_subalgoE4EjNS0_10empty_typeEbEEZZNS1_14partition_implILS8_4ELb0ES6_15HIP_vector_typeIjLj2EENS0_17counting_iteratorIjlEEPS9_SG_NS0_5tupleIJPjSI_NS0_16reverse_iteratorISI_EEEEENSH_IJSG_SG_SG_EEES9_SI_JZNS1_25segmented_radix_sort_implINS0_14default_configELb1EPKsPsPKlPlN2at6native12_GLOBAL__N_18offset_tEEE10hipError_tPvRmT1_PNSt15iterator_traitsIS12_E10value_typeET2_T3_PNS13_IS18_E10value_typeET4_jRbjT5_S1E_jjP12ihipStream_tbEUljE_ZNSN_ISO_Lb1ESQ_SR_ST_SU_SY_EESZ_S10_S11_S12_S16_S17_S18_S1B_S1C_jS1D_jS1E_S1E_jjS1G_bEUljE0_EEESZ_S10_S11_S18_S1C_S1E_T6_T7_T9_mT8_S1G_bDpT10_ENKUlT_T0_E_clISt17integral_constantIbLb1EES1T_IbLb0EEEEDaS1P_S1Q_EUlS1P_E_NS1_11comp_targetILNS1_3genE10ELNS1_11target_archE1200ELNS1_3gpuE4ELNS1_3repE0EEENS1_30default_config_static_selectorELNS0_4arch9wavefront6targetE0EEEvS12_: ; @_ZN7rocprim17ROCPRIM_400000_NS6detail17trampoline_kernelINS0_13select_configILj256ELj13ELNS0_17block_load_methodE3ELS4_3ELS4_3ELNS0_20block_scan_algorithmE0ELj4294967295EEENS1_25partition_config_selectorILNS1_17partition_subalgoE4EjNS0_10empty_typeEbEEZZNS1_14partition_implILS8_4ELb0ES6_15HIP_vector_typeIjLj2EENS0_17counting_iteratorIjlEEPS9_SG_NS0_5tupleIJPjSI_NS0_16reverse_iteratorISI_EEEEENSH_IJSG_SG_SG_EEES9_SI_JZNS1_25segmented_radix_sort_implINS0_14default_configELb1EPKsPsPKlPlN2at6native12_GLOBAL__N_18offset_tEEE10hipError_tPvRmT1_PNSt15iterator_traitsIS12_E10value_typeET2_T3_PNS13_IS18_E10value_typeET4_jRbjT5_S1E_jjP12ihipStream_tbEUljE_ZNSN_ISO_Lb1ESQ_SR_ST_SU_SY_EESZ_S10_S11_S12_S16_S17_S18_S1B_S1C_jS1D_jS1E_S1E_jjS1G_bEUljE0_EEESZ_S10_S11_S18_S1C_S1E_T6_T7_T9_mT8_S1G_bDpT10_ENKUlT_T0_E_clISt17integral_constantIbLb1EES1T_IbLb0EEEEDaS1P_S1Q_EUlS1P_E_NS1_11comp_targetILNS1_3genE10ELNS1_11target_archE1200ELNS1_3gpuE4ELNS1_3repE0EEENS1_30default_config_static_selectorELNS0_4arch9wavefront6targetE0EEEvS12_
; %bb.0:
	.section	.rodata,"a",@progbits
	.p2align	6, 0x0
	.amdhsa_kernel _ZN7rocprim17ROCPRIM_400000_NS6detail17trampoline_kernelINS0_13select_configILj256ELj13ELNS0_17block_load_methodE3ELS4_3ELS4_3ELNS0_20block_scan_algorithmE0ELj4294967295EEENS1_25partition_config_selectorILNS1_17partition_subalgoE4EjNS0_10empty_typeEbEEZZNS1_14partition_implILS8_4ELb0ES6_15HIP_vector_typeIjLj2EENS0_17counting_iteratorIjlEEPS9_SG_NS0_5tupleIJPjSI_NS0_16reverse_iteratorISI_EEEEENSH_IJSG_SG_SG_EEES9_SI_JZNS1_25segmented_radix_sort_implINS0_14default_configELb1EPKsPsPKlPlN2at6native12_GLOBAL__N_18offset_tEEE10hipError_tPvRmT1_PNSt15iterator_traitsIS12_E10value_typeET2_T3_PNS13_IS18_E10value_typeET4_jRbjT5_S1E_jjP12ihipStream_tbEUljE_ZNSN_ISO_Lb1ESQ_SR_ST_SU_SY_EESZ_S10_S11_S12_S16_S17_S18_S1B_S1C_jS1D_jS1E_S1E_jjS1G_bEUljE0_EEESZ_S10_S11_S18_S1C_S1E_T6_T7_T9_mT8_S1G_bDpT10_ENKUlT_T0_E_clISt17integral_constantIbLb1EES1T_IbLb0EEEEDaS1P_S1Q_EUlS1P_E_NS1_11comp_targetILNS1_3genE10ELNS1_11target_archE1200ELNS1_3gpuE4ELNS1_3repE0EEENS1_30default_config_static_selectorELNS0_4arch9wavefront6targetE0EEEvS12_
		.amdhsa_group_segment_fixed_size 0
		.amdhsa_private_segment_fixed_size 0
		.amdhsa_kernarg_size 176
		.amdhsa_user_sgpr_count 2
		.amdhsa_user_sgpr_dispatch_ptr 0
		.amdhsa_user_sgpr_queue_ptr 0
		.amdhsa_user_sgpr_kernarg_segment_ptr 1
		.amdhsa_user_sgpr_dispatch_id 0
		.amdhsa_user_sgpr_kernarg_preload_length 0
		.amdhsa_user_sgpr_kernarg_preload_offset 0
		.amdhsa_user_sgpr_private_segment_size 0
		.amdhsa_wavefront_size32 1
		.amdhsa_uses_dynamic_stack 0
		.amdhsa_enable_private_segment 0
		.amdhsa_system_sgpr_workgroup_id_x 1
		.amdhsa_system_sgpr_workgroup_id_y 0
		.amdhsa_system_sgpr_workgroup_id_z 0
		.amdhsa_system_sgpr_workgroup_info 0
		.amdhsa_system_vgpr_workitem_id 0
		.amdhsa_next_free_vgpr 1
		.amdhsa_next_free_sgpr 1
		.amdhsa_named_barrier_count 0
		.amdhsa_reserve_vcc 0
		.amdhsa_float_round_mode_32 0
		.amdhsa_float_round_mode_16_64 0
		.amdhsa_float_denorm_mode_32 3
		.amdhsa_float_denorm_mode_16_64 3
		.amdhsa_fp16_overflow 0
		.amdhsa_memory_ordered 1
		.amdhsa_forward_progress 1
		.amdhsa_inst_pref_size 0
		.amdhsa_round_robin_scheduling 0
		.amdhsa_exception_fp_ieee_invalid_op 0
		.amdhsa_exception_fp_denorm_src 0
		.amdhsa_exception_fp_ieee_div_zero 0
		.amdhsa_exception_fp_ieee_overflow 0
		.amdhsa_exception_fp_ieee_underflow 0
		.amdhsa_exception_fp_ieee_inexact 0
		.amdhsa_exception_int_div_zero 0
	.end_amdhsa_kernel
	.section	.text._ZN7rocprim17ROCPRIM_400000_NS6detail17trampoline_kernelINS0_13select_configILj256ELj13ELNS0_17block_load_methodE3ELS4_3ELS4_3ELNS0_20block_scan_algorithmE0ELj4294967295EEENS1_25partition_config_selectorILNS1_17partition_subalgoE4EjNS0_10empty_typeEbEEZZNS1_14partition_implILS8_4ELb0ES6_15HIP_vector_typeIjLj2EENS0_17counting_iteratorIjlEEPS9_SG_NS0_5tupleIJPjSI_NS0_16reverse_iteratorISI_EEEEENSH_IJSG_SG_SG_EEES9_SI_JZNS1_25segmented_radix_sort_implINS0_14default_configELb1EPKsPsPKlPlN2at6native12_GLOBAL__N_18offset_tEEE10hipError_tPvRmT1_PNSt15iterator_traitsIS12_E10value_typeET2_T3_PNS13_IS18_E10value_typeET4_jRbjT5_S1E_jjP12ihipStream_tbEUljE_ZNSN_ISO_Lb1ESQ_SR_ST_SU_SY_EESZ_S10_S11_S12_S16_S17_S18_S1B_S1C_jS1D_jS1E_S1E_jjS1G_bEUljE0_EEESZ_S10_S11_S18_S1C_S1E_T6_T7_T9_mT8_S1G_bDpT10_ENKUlT_T0_E_clISt17integral_constantIbLb1EES1T_IbLb0EEEEDaS1P_S1Q_EUlS1P_E_NS1_11comp_targetILNS1_3genE10ELNS1_11target_archE1200ELNS1_3gpuE4ELNS1_3repE0EEENS1_30default_config_static_selectorELNS0_4arch9wavefront6targetE0EEEvS12_,"axG",@progbits,_ZN7rocprim17ROCPRIM_400000_NS6detail17trampoline_kernelINS0_13select_configILj256ELj13ELNS0_17block_load_methodE3ELS4_3ELS4_3ELNS0_20block_scan_algorithmE0ELj4294967295EEENS1_25partition_config_selectorILNS1_17partition_subalgoE4EjNS0_10empty_typeEbEEZZNS1_14partition_implILS8_4ELb0ES6_15HIP_vector_typeIjLj2EENS0_17counting_iteratorIjlEEPS9_SG_NS0_5tupleIJPjSI_NS0_16reverse_iteratorISI_EEEEENSH_IJSG_SG_SG_EEES9_SI_JZNS1_25segmented_radix_sort_implINS0_14default_configELb1EPKsPsPKlPlN2at6native12_GLOBAL__N_18offset_tEEE10hipError_tPvRmT1_PNSt15iterator_traitsIS12_E10value_typeET2_T3_PNS13_IS18_E10value_typeET4_jRbjT5_S1E_jjP12ihipStream_tbEUljE_ZNSN_ISO_Lb1ESQ_SR_ST_SU_SY_EESZ_S10_S11_S12_S16_S17_S18_S1B_S1C_jS1D_jS1E_S1E_jjS1G_bEUljE0_EEESZ_S10_S11_S18_S1C_S1E_T6_T7_T9_mT8_S1G_bDpT10_ENKUlT_T0_E_clISt17integral_constantIbLb1EES1T_IbLb0EEEEDaS1P_S1Q_EUlS1P_E_NS1_11comp_targetILNS1_3genE10ELNS1_11target_archE1200ELNS1_3gpuE4ELNS1_3repE0EEENS1_30default_config_static_selectorELNS0_4arch9wavefront6targetE0EEEvS12_,comdat
.Lfunc_end864:
	.size	_ZN7rocprim17ROCPRIM_400000_NS6detail17trampoline_kernelINS0_13select_configILj256ELj13ELNS0_17block_load_methodE3ELS4_3ELS4_3ELNS0_20block_scan_algorithmE0ELj4294967295EEENS1_25partition_config_selectorILNS1_17partition_subalgoE4EjNS0_10empty_typeEbEEZZNS1_14partition_implILS8_4ELb0ES6_15HIP_vector_typeIjLj2EENS0_17counting_iteratorIjlEEPS9_SG_NS0_5tupleIJPjSI_NS0_16reverse_iteratorISI_EEEEENSH_IJSG_SG_SG_EEES9_SI_JZNS1_25segmented_radix_sort_implINS0_14default_configELb1EPKsPsPKlPlN2at6native12_GLOBAL__N_18offset_tEEE10hipError_tPvRmT1_PNSt15iterator_traitsIS12_E10value_typeET2_T3_PNS13_IS18_E10value_typeET4_jRbjT5_S1E_jjP12ihipStream_tbEUljE_ZNSN_ISO_Lb1ESQ_SR_ST_SU_SY_EESZ_S10_S11_S12_S16_S17_S18_S1B_S1C_jS1D_jS1E_S1E_jjS1G_bEUljE0_EEESZ_S10_S11_S18_S1C_S1E_T6_T7_T9_mT8_S1G_bDpT10_ENKUlT_T0_E_clISt17integral_constantIbLb1EES1T_IbLb0EEEEDaS1P_S1Q_EUlS1P_E_NS1_11comp_targetILNS1_3genE10ELNS1_11target_archE1200ELNS1_3gpuE4ELNS1_3repE0EEENS1_30default_config_static_selectorELNS0_4arch9wavefront6targetE0EEEvS12_, .Lfunc_end864-_ZN7rocprim17ROCPRIM_400000_NS6detail17trampoline_kernelINS0_13select_configILj256ELj13ELNS0_17block_load_methodE3ELS4_3ELS4_3ELNS0_20block_scan_algorithmE0ELj4294967295EEENS1_25partition_config_selectorILNS1_17partition_subalgoE4EjNS0_10empty_typeEbEEZZNS1_14partition_implILS8_4ELb0ES6_15HIP_vector_typeIjLj2EENS0_17counting_iteratorIjlEEPS9_SG_NS0_5tupleIJPjSI_NS0_16reverse_iteratorISI_EEEEENSH_IJSG_SG_SG_EEES9_SI_JZNS1_25segmented_radix_sort_implINS0_14default_configELb1EPKsPsPKlPlN2at6native12_GLOBAL__N_18offset_tEEE10hipError_tPvRmT1_PNSt15iterator_traitsIS12_E10value_typeET2_T3_PNS13_IS18_E10value_typeET4_jRbjT5_S1E_jjP12ihipStream_tbEUljE_ZNSN_ISO_Lb1ESQ_SR_ST_SU_SY_EESZ_S10_S11_S12_S16_S17_S18_S1B_S1C_jS1D_jS1E_S1E_jjS1G_bEUljE0_EEESZ_S10_S11_S18_S1C_S1E_T6_T7_T9_mT8_S1G_bDpT10_ENKUlT_T0_E_clISt17integral_constantIbLb1EES1T_IbLb0EEEEDaS1P_S1Q_EUlS1P_E_NS1_11comp_targetILNS1_3genE10ELNS1_11target_archE1200ELNS1_3gpuE4ELNS1_3repE0EEENS1_30default_config_static_selectorELNS0_4arch9wavefront6targetE0EEEvS12_
                                        ; -- End function
	.set _ZN7rocprim17ROCPRIM_400000_NS6detail17trampoline_kernelINS0_13select_configILj256ELj13ELNS0_17block_load_methodE3ELS4_3ELS4_3ELNS0_20block_scan_algorithmE0ELj4294967295EEENS1_25partition_config_selectorILNS1_17partition_subalgoE4EjNS0_10empty_typeEbEEZZNS1_14partition_implILS8_4ELb0ES6_15HIP_vector_typeIjLj2EENS0_17counting_iteratorIjlEEPS9_SG_NS0_5tupleIJPjSI_NS0_16reverse_iteratorISI_EEEEENSH_IJSG_SG_SG_EEES9_SI_JZNS1_25segmented_radix_sort_implINS0_14default_configELb1EPKsPsPKlPlN2at6native12_GLOBAL__N_18offset_tEEE10hipError_tPvRmT1_PNSt15iterator_traitsIS12_E10value_typeET2_T3_PNS13_IS18_E10value_typeET4_jRbjT5_S1E_jjP12ihipStream_tbEUljE_ZNSN_ISO_Lb1ESQ_SR_ST_SU_SY_EESZ_S10_S11_S12_S16_S17_S18_S1B_S1C_jS1D_jS1E_S1E_jjS1G_bEUljE0_EEESZ_S10_S11_S18_S1C_S1E_T6_T7_T9_mT8_S1G_bDpT10_ENKUlT_T0_E_clISt17integral_constantIbLb1EES1T_IbLb0EEEEDaS1P_S1Q_EUlS1P_E_NS1_11comp_targetILNS1_3genE10ELNS1_11target_archE1200ELNS1_3gpuE4ELNS1_3repE0EEENS1_30default_config_static_selectorELNS0_4arch9wavefront6targetE0EEEvS12_.num_vgpr, 0
	.set _ZN7rocprim17ROCPRIM_400000_NS6detail17trampoline_kernelINS0_13select_configILj256ELj13ELNS0_17block_load_methodE3ELS4_3ELS4_3ELNS0_20block_scan_algorithmE0ELj4294967295EEENS1_25partition_config_selectorILNS1_17partition_subalgoE4EjNS0_10empty_typeEbEEZZNS1_14partition_implILS8_4ELb0ES6_15HIP_vector_typeIjLj2EENS0_17counting_iteratorIjlEEPS9_SG_NS0_5tupleIJPjSI_NS0_16reverse_iteratorISI_EEEEENSH_IJSG_SG_SG_EEES9_SI_JZNS1_25segmented_radix_sort_implINS0_14default_configELb1EPKsPsPKlPlN2at6native12_GLOBAL__N_18offset_tEEE10hipError_tPvRmT1_PNSt15iterator_traitsIS12_E10value_typeET2_T3_PNS13_IS18_E10value_typeET4_jRbjT5_S1E_jjP12ihipStream_tbEUljE_ZNSN_ISO_Lb1ESQ_SR_ST_SU_SY_EESZ_S10_S11_S12_S16_S17_S18_S1B_S1C_jS1D_jS1E_S1E_jjS1G_bEUljE0_EEESZ_S10_S11_S18_S1C_S1E_T6_T7_T9_mT8_S1G_bDpT10_ENKUlT_T0_E_clISt17integral_constantIbLb1EES1T_IbLb0EEEEDaS1P_S1Q_EUlS1P_E_NS1_11comp_targetILNS1_3genE10ELNS1_11target_archE1200ELNS1_3gpuE4ELNS1_3repE0EEENS1_30default_config_static_selectorELNS0_4arch9wavefront6targetE0EEEvS12_.num_agpr, 0
	.set _ZN7rocprim17ROCPRIM_400000_NS6detail17trampoline_kernelINS0_13select_configILj256ELj13ELNS0_17block_load_methodE3ELS4_3ELS4_3ELNS0_20block_scan_algorithmE0ELj4294967295EEENS1_25partition_config_selectorILNS1_17partition_subalgoE4EjNS0_10empty_typeEbEEZZNS1_14partition_implILS8_4ELb0ES6_15HIP_vector_typeIjLj2EENS0_17counting_iteratorIjlEEPS9_SG_NS0_5tupleIJPjSI_NS0_16reverse_iteratorISI_EEEEENSH_IJSG_SG_SG_EEES9_SI_JZNS1_25segmented_radix_sort_implINS0_14default_configELb1EPKsPsPKlPlN2at6native12_GLOBAL__N_18offset_tEEE10hipError_tPvRmT1_PNSt15iterator_traitsIS12_E10value_typeET2_T3_PNS13_IS18_E10value_typeET4_jRbjT5_S1E_jjP12ihipStream_tbEUljE_ZNSN_ISO_Lb1ESQ_SR_ST_SU_SY_EESZ_S10_S11_S12_S16_S17_S18_S1B_S1C_jS1D_jS1E_S1E_jjS1G_bEUljE0_EEESZ_S10_S11_S18_S1C_S1E_T6_T7_T9_mT8_S1G_bDpT10_ENKUlT_T0_E_clISt17integral_constantIbLb1EES1T_IbLb0EEEEDaS1P_S1Q_EUlS1P_E_NS1_11comp_targetILNS1_3genE10ELNS1_11target_archE1200ELNS1_3gpuE4ELNS1_3repE0EEENS1_30default_config_static_selectorELNS0_4arch9wavefront6targetE0EEEvS12_.numbered_sgpr, 0
	.set _ZN7rocprim17ROCPRIM_400000_NS6detail17trampoline_kernelINS0_13select_configILj256ELj13ELNS0_17block_load_methodE3ELS4_3ELS4_3ELNS0_20block_scan_algorithmE0ELj4294967295EEENS1_25partition_config_selectorILNS1_17partition_subalgoE4EjNS0_10empty_typeEbEEZZNS1_14partition_implILS8_4ELb0ES6_15HIP_vector_typeIjLj2EENS0_17counting_iteratorIjlEEPS9_SG_NS0_5tupleIJPjSI_NS0_16reverse_iteratorISI_EEEEENSH_IJSG_SG_SG_EEES9_SI_JZNS1_25segmented_radix_sort_implINS0_14default_configELb1EPKsPsPKlPlN2at6native12_GLOBAL__N_18offset_tEEE10hipError_tPvRmT1_PNSt15iterator_traitsIS12_E10value_typeET2_T3_PNS13_IS18_E10value_typeET4_jRbjT5_S1E_jjP12ihipStream_tbEUljE_ZNSN_ISO_Lb1ESQ_SR_ST_SU_SY_EESZ_S10_S11_S12_S16_S17_S18_S1B_S1C_jS1D_jS1E_S1E_jjS1G_bEUljE0_EEESZ_S10_S11_S18_S1C_S1E_T6_T7_T9_mT8_S1G_bDpT10_ENKUlT_T0_E_clISt17integral_constantIbLb1EES1T_IbLb0EEEEDaS1P_S1Q_EUlS1P_E_NS1_11comp_targetILNS1_3genE10ELNS1_11target_archE1200ELNS1_3gpuE4ELNS1_3repE0EEENS1_30default_config_static_selectorELNS0_4arch9wavefront6targetE0EEEvS12_.num_named_barrier, 0
	.set _ZN7rocprim17ROCPRIM_400000_NS6detail17trampoline_kernelINS0_13select_configILj256ELj13ELNS0_17block_load_methodE3ELS4_3ELS4_3ELNS0_20block_scan_algorithmE0ELj4294967295EEENS1_25partition_config_selectorILNS1_17partition_subalgoE4EjNS0_10empty_typeEbEEZZNS1_14partition_implILS8_4ELb0ES6_15HIP_vector_typeIjLj2EENS0_17counting_iteratorIjlEEPS9_SG_NS0_5tupleIJPjSI_NS0_16reverse_iteratorISI_EEEEENSH_IJSG_SG_SG_EEES9_SI_JZNS1_25segmented_radix_sort_implINS0_14default_configELb1EPKsPsPKlPlN2at6native12_GLOBAL__N_18offset_tEEE10hipError_tPvRmT1_PNSt15iterator_traitsIS12_E10value_typeET2_T3_PNS13_IS18_E10value_typeET4_jRbjT5_S1E_jjP12ihipStream_tbEUljE_ZNSN_ISO_Lb1ESQ_SR_ST_SU_SY_EESZ_S10_S11_S12_S16_S17_S18_S1B_S1C_jS1D_jS1E_S1E_jjS1G_bEUljE0_EEESZ_S10_S11_S18_S1C_S1E_T6_T7_T9_mT8_S1G_bDpT10_ENKUlT_T0_E_clISt17integral_constantIbLb1EES1T_IbLb0EEEEDaS1P_S1Q_EUlS1P_E_NS1_11comp_targetILNS1_3genE10ELNS1_11target_archE1200ELNS1_3gpuE4ELNS1_3repE0EEENS1_30default_config_static_selectorELNS0_4arch9wavefront6targetE0EEEvS12_.private_seg_size, 0
	.set _ZN7rocprim17ROCPRIM_400000_NS6detail17trampoline_kernelINS0_13select_configILj256ELj13ELNS0_17block_load_methodE3ELS4_3ELS4_3ELNS0_20block_scan_algorithmE0ELj4294967295EEENS1_25partition_config_selectorILNS1_17partition_subalgoE4EjNS0_10empty_typeEbEEZZNS1_14partition_implILS8_4ELb0ES6_15HIP_vector_typeIjLj2EENS0_17counting_iteratorIjlEEPS9_SG_NS0_5tupleIJPjSI_NS0_16reverse_iteratorISI_EEEEENSH_IJSG_SG_SG_EEES9_SI_JZNS1_25segmented_radix_sort_implINS0_14default_configELb1EPKsPsPKlPlN2at6native12_GLOBAL__N_18offset_tEEE10hipError_tPvRmT1_PNSt15iterator_traitsIS12_E10value_typeET2_T3_PNS13_IS18_E10value_typeET4_jRbjT5_S1E_jjP12ihipStream_tbEUljE_ZNSN_ISO_Lb1ESQ_SR_ST_SU_SY_EESZ_S10_S11_S12_S16_S17_S18_S1B_S1C_jS1D_jS1E_S1E_jjS1G_bEUljE0_EEESZ_S10_S11_S18_S1C_S1E_T6_T7_T9_mT8_S1G_bDpT10_ENKUlT_T0_E_clISt17integral_constantIbLb1EES1T_IbLb0EEEEDaS1P_S1Q_EUlS1P_E_NS1_11comp_targetILNS1_3genE10ELNS1_11target_archE1200ELNS1_3gpuE4ELNS1_3repE0EEENS1_30default_config_static_selectorELNS0_4arch9wavefront6targetE0EEEvS12_.uses_vcc, 0
	.set _ZN7rocprim17ROCPRIM_400000_NS6detail17trampoline_kernelINS0_13select_configILj256ELj13ELNS0_17block_load_methodE3ELS4_3ELS4_3ELNS0_20block_scan_algorithmE0ELj4294967295EEENS1_25partition_config_selectorILNS1_17partition_subalgoE4EjNS0_10empty_typeEbEEZZNS1_14partition_implILS8_4ELb0ES6_15HIP_vector_typeIjLj2EENS0_17counting_iteratorIjlEEPS9_SG_NS0_5tupleIJPjSI_NS0_16reverse_iteratorISI_EEEEENSH_IJSG_SG_SG_EEES9_SI_JZNS1_25segmented_radix_sort_implINS0_14default_configELb1EPKsPsPKlPlN2at6native12_GLOBAL__N_18offset_tEEE10hipError_tPvRmT1_PNSt15iterator_traitsIS12_E10value_typeET2_T3_PNS13_IS18_E10value_typeET4_jRbjT5_S1E_jjP12ihipStream_tbEUljE_ZNSN_ISO_Lb1ESQ_SR_ST_SU_SY_EESZ_S10_S11_S12_S16_S17_S18_S1B_S1C_jS1D_jS1E_S1E_jjS1G_bEUljE0_EEESZ_S10_S11_S18_S1C_S1E_T6_T7_T9_mT8_S1G_bDpT10_ENKUlT_T0_E_clISt17integral_constantIbLb1EES1T_IbLb0EEEEDaS1P_S1Q_EUlS1P_E_NS1_11comp_targetILNS1_3genE10ELNS1_11target_archE1200ELNS1_3gpuE4ELNS1_3repE0EEENS1_30default_config_static_selectorELNS0_4arch9wavefront6targetE0EEEvS12_.uses_flat_scratch, 0
	.set _ZN7rocprim17ROCPRIM_400000_NS6detail17trampoline_kernelINS0_13select_configILj256ELj13ELNS0_17block_load_methodE3ELS4_3ELS4_3ELNS0_20block_scan_algorithmE0ELj4294967295EEENS1_25partition_config_selectorILNS1_17partition_subalgoE4EjNS0_10empty_typeEbEEZZNS1_14partition_implILS8_4ELb0ES6_15HIP_vector_typeIjLj2EENS0_17counting_iteratorIjlEEPS9_SG_NS0_5tupleIJPjSI_NS0_16reverse_iteratorISI_EEEEENSH_IJSG_SG_SG_EEES9_SI_JZNS1_25segmented_radix_sort_implINS0_14default_configELb1EPKsPsPKlPlN2at6native12_GLOBAL__N_18offset_tEEE10hipError_tPvRmT1_PNSt15iterator_traitsIS12_E10value_typeET2_T3_PNS13_IS18_E10value_typeET4_jRbjT5_S1E_jjP12ihipStream_tbEUljE_ZNSN_ISO_Lb1ESQ_SR_ST_SU_SY_EESZ_S10_S11_S12_S16_S17_S18_S1B_S1C_jS1D_jS1E_S1E_jjS1G_bEUljE0_EEESZ_S10_S11_S18_S1C_S1E_T6_T7_T9_mT8_S1G_bDpT10_ENKUlT_T0_E_clISt17integral_constantIbLb1EES1T_IbLb0EEEEDaS1P_S1Q_EUlS1P_E_NS1_11comp_targetILNS1_3genE10ELNS1_11target_archE1200ELNS1_3gpuE4ELNS1_3repE0EEENS1_30default_config_static_selectorELNS0_4arch9wavefront6targetE0EEEvS12_.has_dyn_sized_stack, 0
	.set _ZN7rocprim17ROCPRIM_400000_NS6detail17trampoline_kernelINS0_13select_configILj256ELj13ELNS0_17block_load_methodE3ELS4_3ELS4_3ELNS0_20block_scan_algorithmE0ELj4294967295EEENS1_25partition_config_selectorILNS1_17partition_subalgoE4EjNS0_10empty_typeEbEEZZNS1_14partition_implILS8_4ELb0ES6_15HIP_vector_typeIjLj2EENS0_17counting_iteratorIjlEEPS9_SG_NS0_5tupleIJPjSI_NS0_16reverse_iteratorISI_EEEEENSH_IJSG_SG_SG_EEES9_SI_JZNS1_25segmented_radix_sort_implINS0_14default_configELb1EPKsPsPKlPlN2at6native12_GLOBAL__N_18offset_tEEE10hipError_tPvRmT1_PNSt15iterator_traitsIS12_E10value_typeET2_T3_PNS13_IS18_E10value_typeET4_jRbjT5_S1E_jjP12ihipStream_tbEUljE_ZNSN_ISO_Lb1ESQ_SR_ST_SU_SY_EESZ_S10_S11_S12_S16_S17_S18_S1B_S1C_jS1D_jS1E_S1E_jjS1G_bEUljE0_EEESZ_S10_S11_S18_S1C_S1E_T6_T7_T9_mT8_S1G_bDpT10_ENKUlT_T0_E_clISt17integral_constantIbLb1EES1T_IbLb0EEEEDaS1P_S1Q_EUlS1P_E_NS1_11comp_targetILNS1_3genE10ELNS1_11target_archE1200ELNS1_3gpuE4ELNS1_3repE0EEENS1_30default_config_static_selectorELNS0_4arch9wavefront6targetE0EEEvS12_.has_recursion, 0
	.set _ZN7rocprim17ROCPRIM_400000_NS6detail17trampoline_kernelINS0_13select_configILj256ELj13ELNS0_17block_load_methodE3ELS4_3ELS4_3ELNS0_20block_scan_algorithmE0ELj4294967295EEENS1_25partition_config_selectorILNS1_17partition_subalgoE4EjNS0_10empty_typeEbEEZZNS1_14partition_implILS8_4ELb0ES6_15HIP_vector_typeIjLj2EENS0_17counting_iteratorIjlEEPS9_SG_NS0_5tupleIJPjSI_NS0_16reverse_iteratorISI_EEEEENSH_IJSG_SG_SG_EEES9_SI_JZNS1_25segmented_radix_sort_implINS0_14default_configELb1EPKsPsPKlPlN2at6native12_GLOBAL__N_18offset_tEEE10hipError_tPvRmT1_PNSt15iterator_traitsIS12_E10value_typeET2_T3_PNS13_IS18_E10value_typeET4_jRbjT5_S1E_jjP12ihipStream_tbEUljE_ZNSN_ISO_Lb1ESQ_SR_ST_SU_SY_EESZ_S10_S11_S12_S16_S17_S18_S1B_S1C_jS1D_jS1E_S1E_jjS1G_bEUljE0_EEESZ_S10_S11_S18_S1C_S1E_T6_T7_T9_mT8_S1G_bDpT10_ENKUlT_T0_E_clISt17integral_constantIbLb1EES1T_IbLb0EEEEDaS1P_S1Q_EUlS1P_E_NS1_11comp_targetILNS1_3genE10ELNS1_11target_archE1200ELNS1_3gpuE4ELNS1_3repE0EEENS1_30default_config_static_selectorELNS0_4arch9wavefront6targetE0EEEvS12_.has_indirect_call, 0
	.section	.AMDGPU.csdata,"",@progbits
; Kernel info:
; codeLenInByte = 0
; TotalNumSgprs: 0
; NumVgprs: 0
; ScratchSize: 0
; MemoryBound: 0
; FloatMode: 240
; IeeeMode: 1
; LDSByteSize: 0 bytes/workgroup (compile time only)
; SGPRBlocks: 0
; VGPRBlocks: 0
; NumSGPRsForWavesPerEU: 1
; NumVGPRsForWavesPerEU: 1
; NamedBarCnt: 0
; Occupancy: 16
; WaveLimiterHint : 0
; COMPUTE_PGM_RSRC2:SCRATCH_EN: 0
; COMPUTE_PGM_RSRC2:USER_SGPR: 2
; COMPUTE_PGM_RSRC2:TRAP_HANDLER: 0
; COMPUTE_PGM_RSRC2:TGID_X_EN: 1
; COMPUTE_PGM_RSRC2:TGID_Y_EN: 0
; COMPUTE_PGM_RSRC2:TGID_Z_EN: 0
; COMPUTE_PGM_RSRC2:TIDIG_COMP_CNT: 0
	.section	.text._ZN7rocprim17ROCPRIM_400000_NS6detail17trampoline_kernelINS0_13select_configILj256ELj13ELNS0_17block_load_methodE3ELS4_3ELS4_3ELNS0_20block_scan_algorithmE0ELj4294967295EEENS1_25partition_config_selectorILNS1_17partition_subalgoE4EjNS0_10empty_typeEbEEZZNS1_14partition_implILS8_4ELb0ES6_15HIP_vector_typeIjLj2EENS0_17counting_iteratorIjlEEPS9_SG_NS0_5tupleIJPjSI_NS0_16reverse_iteratorISI_EEEEENSH_IJSG_SG_SG_EEES9_SI_JZNS1_25segmented_radix_sort_implINS0_14default_configELb1EPKsPsPKlPlN2at6native12_GLOBAL__N_18offset_tEEE10hipError_tPvRmT1_PNSt15iterator_traitsIS12_E10value_typeET2_T3_PNS13_IS18_E10value_typeET4_jRbjT5_S1E_jjP12ihipStream_tbEUljE_ZNSN_ISO_Lb1ESQ_SR_ST_SU_SY_EESZ_S10_S11_S12_S16_S17_S18_S1B_S1C_jS1D_jS1E_S1E_jjS1G_bEUljE0_EEESZ_S10_S11_S18_S1C_S1E_T6_T7_T9_mT8_S1G_bDpT10_ENKUlT_T0_E_clISt17integral_constantIbLb1EES1T_IbLb0EEEEDaS1P_S1Q_EUlS1P_E_NS1_11comp_targetILNS1_3genE9ELNS1_11target_archE1100ELNS1_3gpuE3ELNS1_3repE0EEENS1_30default_config_static_selectorELNS0_4arch9wavefront6targetE0EEEvS12_,"axG",@progbits,_ZN7rocprim17ROCPRIM_400000_NS6detail17trampoline_kernelINS0_13select_configILj256ELj13ELNS0_17block_load_methodE3ELS4_3ELS4_3ELNS0_20block_scan_algorithmE0ELj4294967295EEENS1_25partition_config_selectorILNS1_17partition_subalgoE4EjNS0_10empty_typeEbEEZZNS1_14partition_implILS8_4ELb0ES6_15HIP_vector_typeIjLj2EENS0_17counting_iteratorIjlEEPS9_SG_NS0_5tupleIJPjSI_NS0_16reverse_iteratorISI_EEEEENSH_IJSG_SG_SG_EEES9_SI_JZNS1_25segmented_radix_sort_implINS0_14default_configELb1EPKsPsPKlPlN2at6native12_GLOBAL__N_18offset_tEEE10hipError_tPvRmT1_PNSt15iterator_traitsIS12_E10value_typeET2_T3_PNS13_IS18_E10value_typeET4_jRbjT5_S1E_jjP12ihipStream_tbEUljE_ZNSN_ISO_Lb1ESQ_SR_ST_SU_SY_EESZ_S10_S11_S12_S16_S17_S18_S1B_S1C_jS1D_jS1E_S1E_jjS1G_bEUljE0_EEESZ_S10_S11_S18_S1C_S1E_T6_T7_T9_mT8_S1G_bDpT10_ENKUlT_T0_E_clISt17integral_constantIbLb1EES1T_IbLb0EEEEDaS1P_S1Q_EUlS1P_E_NS1_11comp_targetILNS1_3genE9ELNS1_11target_archE1100ELNS1_3gpuE3ELNS1_3repE0EEENS1_30default_config_static_selectorELNS0_4arch9wavefront6targetE0EEEvS12_,comdat
	.globl	_ZN7rocprim17ROCPRIM_400000_NS6detail17trampoline_kernelINS0_13select_configILj256ELj13ELNS0_17block_load_methodE3ELS4_3ELS4_3ELNS0_20block_scan_algorithmE0ELj4294967295EEENS1_25partition_config_selectorILNS1_17partition_subalgoE4EjNS0_10empty_typeEbEEZZNS1_14partition_implILS8_4ELb0ES6_15HIP_vector_typeIjLj2EENS0_17counting_iteratorIjlEEPS9_SG_NS0_5tupleIJPjSI_NS0_16reverse_iteratorISI_EEEEENSH_IJSG_SG_SG_EEES9_SI_JZNS1_25segmented_radix_sort_implINS0_14default_configELb1EPKsPsPKlPlN2at6native12_GLOBAL__N_18offset_tEEE10hipError_tPvRmT1_PNSt15iterator_traitsIS12_E10value_typeET2_T3_PNS13_IS18_E10value_typeET4_jRbjT5_S1E_jjP12ihipStream_tbEUljE_ZNSN_ISO_Lb1ESQ_SR_ST_SU_SY_EESZ_S10_S11_S12_S16_S17_S18_S1B_S1C_jS1D_jS1E_S1E_jjS1G_bEUljE0_EEESZ_S10_S11_S18_S1C_S1E_T6_T7_T9_mT8_S1G_bDpT10_ENKUlT_T0_E_clISt17integral_constantIbLb1EES1T_IbLb0EEEEDaS1P_S1Q_EUlS1P_E_NS1_11comp_targetILNS1_3genE9ELNS1_11target_archE1100ELNS1_3gpuE3ELNS1_3repE0EEENS1_30default_config_static_selectorELNS0_4arch9wavefront6targetE0EEEvS12_ ; -- Begin function _ZN7rocprim17ROCPRIM_400000_NS6detail17trampoline_kernelINS0_13select_configILj256ELj13ELNS0_17block_load_methodE3ELS4_3ELS4_3ELNS0_20block_scan_algorithmE0ELj4294967295EEENS1_25partition_config_selectorILNS1_17partition_subalgoE4EjNS0_10empty_typeEbEEZZNS1_14partition_implILS8_4ELb0ES6_15HIP_vector_typeIjLj2EENS0_17counting_iteratorIjlEEPS9_SG_NS0_5tupleIJPjSI_NS0_16reverse_iteratorISI_EEEEENSH_IJSG_SG_SG_EEES9_SI_JZNS1_25segmented_radix_sort_implINS0_14default_configELb1EPKsPsPKlPlN2at6native12_GLOBAL__N_18offset_tEEE10hipError_tPvRmT1_PNSt15iterator_traitsIS12_E10value_typeET2_T3_PNS13_IS18_E10value_typeET4_jRbjT5_S1E_jjP12ihipStream_tbEUljE_ZNSN_ISO_Lb1ESQ_SR_ST_SU_SY_EESZ_S10_S11_S12_S16_S17_S18_S1B_S1C_jS1D_jS1E_S1E_jjS1G_bEUljE0_EEESZ_S10_S11_S18_S1C_S1E_T6_T7_T9_mT8_S1G_bDpT10_ENKUlT_T0_E_clISt17integral_constantIbLb1EES1T_IbLb0EEEEDaS1P_S1Q_EUlS1P_E_NS1_11comp_targetILNS1_3genE9ELNS1_11target_archE1100ELNS1_3gpuE3ELNS1_3repE0EEENS1_30default_config_static_selectorELNS0_4arch9wavefront6targetE0EEEvS12_
	.p2align	8
	.type	_ZN7rocprim17ROCPRIM_400000_NS6detail17trampoline_kernelINS0_13select_configILj256ELj13ELNS0_17block_load_methodE3ELS4_3ELS4_3ELNS0_20block_scan_algorithmE0ELj4294967295EEENS1_25partition_config_selectorILNS1_17partition_subalgoE4EjNS0_10empty_typeEbEEZZNS1_14partition_implILS8_4ELb0ES6_15HIP_vector_typeIjLj2EENS0_17counting_iteratorIjlEEPS9_SG_NS0_5tupleIJPjSI_NS0_16reverse_iteratorISI_EEEEENSH_IJSG_SG_SG_EEES9_SI_JZNS1_25segmented_radix_sort_implINS0_14default_configELb1EPKsPsPKlPlN2at6native12_GLOBAL__N_18offset_tEEE10hipError_tPvRmT1_PNSt15iterator_traitsIS12_E10value_typeET2_T3_PNS13_IS18_E10value_typeET4_jRbjT5_S1E_jjP12ihipStream_tbEUljE_ZNSN_ISO_Lb1ESQ_SR_ST_SU_SY_EESZ_S10_S11_S12_S16_S17_S18_S1B_S1C_jS1D_jS1E_S1E_jjS1G_bEUljE0_EEESZ_S10_S11_S18_S1C_S1E_T6_T7_T9_mT8_S1G_bDpT10_ENKUlT_T0_E_clISt17integral_constantIbLb1EES1T_IbLb0EEEEDaS1P_S1Q_EUlS1P_E_NS1_11comp_targetILNS1_3genE9ELNS1_11target_archE1100ELNS1_3gpuE3ELNS1_3repE0EEENS1_30default_config_static_selectorELNS0_4arch9wavefront6targetE0EEEvS12_,@function
_ZN7rocprim17ROCPRIM_400000_NS6detail17trampoline_kernelINS0_13select_configILj256ELj13ELNS0_17block_load_methodE3ELS4_3ELS4_3ELNS0_20block_scan_algorithmE0ELj4294967295EEENS1_25partition_config_selectorILNS1_17partition_subalgoE4EjNS0_10empty_typeEbEEZZNS1_14partition_implILS8_4ELb0ES6_15HIP_vector_typeIjLj2EENS0_17counting_iteratorIjlEEPS9_SG_NS0_5tupleIJPjSI_NS0_16reverse_iteratorISI_EEEEENSH_IJSG_SG_SG_EEES9_SI_JZNS1_25segmented_radix_sort_implINS0_14default_configELb1EPKsPsPKlPlN2at6native12_GLOBAL__N_18offset_tEEE10hipError_tPvRmT1_PNSt15iterator_traitsIS12_E10value_typeET2_T3_PNS13_IS18_E10value_typeET4_jRbjT5_S1E_jjP12ihipStream_tbEUljE_ZNSN_ISO_Lb1ESQ_SR_ST_SU_SY_EESZ_S10_S11_S12_S16_S17_S18_S1B_S1C_jS1D_jS1E_S1E_jjS1G_bEUljE0_EEESZ_S10_S11_S18_S1C_S1E_T6_T7_T9_mT8_S1G_bDpT10_ENKUlT_T0_E_clISt17integral_constantIbLb1EES1T_IbLb0EEEEDaS1P_S1Q_EUlS1P_E_NS1_11comp_targetILNS1_3genE9ELNS1_11target_archE1100ELNS1_3gpuE3ELNS1_3repE0EEENS1_30default_config_static_selectorELNS0_4arch9wavefront6targetE0EEEvS12_: ; @_ZN7rocprim17ROCPRIM_400000_NS6detail17trampoline_kernelINS0_13select_configILj256ELj13ELNS0_17block_load_methodE3ELS4_3ELS4_3ELNS0_20block_scan_algorithmE0ELj4294967295EEENS1_25partition_config_selectorILNS1_17partition_subalgoE4EjNS0_10empty_typeEbEEZZNS1_14partition_implILS8_4ELb0ES6_15HIP_vector_typeIjLj2EENS0_17counting_iteratorIjlEEPS9_SG_NS0_5tupleIJPjSI_NS0_16reverse_iteratorISI_EEEEENSH_IJSG_SG_SG_EEES9_SI_JZNS1_25segmented_radix_sort_implINS0_14default_configELb1EPKsPsPKlPlN2at6native12_GLOBAL__N_18offset_tEEE10hipError_tPvRmT1_PNSt15iterator_traitsIS12_E10value_typeET2_T3_PNS13_IS18_E10value_typeET4_jRbjT5_S1E_jjP12ihipStream_tbEUljE_ZNSN_ISO_Lb1ESQ_SR_ST_SU_SY_EESZ_S10_S11_S12_S16_S17_S18_S1B_S1C_jS1D_jS1E_S1E_jjS1G_bEUljE0_EEESZ_S10_S11_S18_S1C_S1E_T6_T7_T9_mT8_S1G_bDpT10_ENKUlT_T0_E_clISt17integral_constantIbLb1EES1T_IbLb0EEEEDaS1P_S1Q_EUlS1P_E_NS1_11comp_targetILNS1_3genE9ELNS1_11target_archE1100ELNS1_3gpuE3ELNS1_3repE0EEENS1_30default_config_static_selectorELNS0_4arch9wavefront6targetE0EEEvS12_
; %bb.0:
	.section	.rodata,"a",@progbits
	.p2align	6, 0x0
	.amdhsa_kernel _ZN7rocprim17ROCPRIM_400000_NS6detail17trampoline_kernelINS0_13select_configILj256ELj13ELNS0_17block_load_methodE3ELS4_3ELS4_3ELNS0_20block_scan_algorithmE0ELj4294967295EEENS1_25partition_config_selectorILNS1_17partition_subalgoE4EjNS0_10empty_typeEbEEZZNS1_14partition_implILS8_4ELb0ES6_15HIP_vector_typeIjLj2EENS0_17counting_iteratorIjlEEPS9_SG_NS0_5tupleIJPjSI_NS0_16reverse_iteratorISI_EEEEENSH_IJSG_SG_SG_EEES9_SI_JZNS1_25segmented_radix_sort_implINS0_14default_configELb1EPKsPsPKlPlN2at6native12_GLOBAL__N_18offset_tEEE10hipError_tPvRmT1_PNSt15iterator_traitsIS12_E10value_typeET2_T3_PNS13_IS18_E10value_typeET4_jRbjT5_S1E_jjP12ihipStream_tbEUljE_ZNSN_ISO_Lb1ESQ_SR_ST_SU_SY_EESZ_S10_S11_S12_S16_S17_S18_S1B_S1C_jS1D_jS1E_S1E_jjS1G_bEUljE0_EEESZ_S10_S11_S18_S1C_S1E_T6_T7_T9_mT8_S1G_bDpT10_ENKUlT_T0_E_clISt17integral_constantIbLb1EES1T_IbLb0EEEEDaS1P_S1Q_EUlS1P_E_NS1_11comp_targetILNS1_3genE9ELNS1_11target_archE1100ELNS1_3gpuE3ELNS1_3repE0EEENS1_30default_config_static_selectorELNS0_4arch9wavefront6targetE0EEEvS12_
		.amdhsa_group_segment_fixed_size 0
		.amdhsa_private_segment_fixed_size 0
		.amdhsa_kernarg_size 176
		.amdhsa_user_sgpr_count 2
		.amdhsa_user_sgpr_dispatch_ptr 0
		.amdhsa_user_sgpr_queue_ptr 0
		.amdhsa_user_sgpr_kernarg_segment_ptr 1
		.amdhsa_user_sgpr_dispatch_id 0
		.amdhsa_user_sgpr_kernarg_preload_length 0
		.amdhsa_user_sgpr_kernarg_preload_offset 0
		.amdhsa_user_sgpr_private_segment_size 0
		.amdhsa_wavefront_size32 1
		.amdhsa_uses_dynamic_stack 0
		.amdhsa_enable_private_segment 0
		.amdhsa_system_sgpr_workgroup_id_x 1
		.amdhsa_system_sgpr_workgroup_id_y 0
		.amdhsa_system_sgpr_workgroup_id_z 0
		.amdhsa_system_sgpr_workgroup_info 0
		.amdhsa_system_vgpr_workitem_id 0
		.amdhsa_next_free_vgpr 1
		.amdhsa_next_free_sgpr 1
		.amdhsa_named_barrier_count 0
		.amdhsa_reserve_vcc 0
		.amdhsa_float_round_mode_32 0
		.amdhsa_float_round_mode_16_64 0
		.amdhsa_float_denorm_mode_32 3
		.amdhsa_float_denorm_mode_16_64 3
		.amdhsa_fp16_overflow 0
		.amdhsa_memory_ordered 1
		.amdhsa_forward_progress 1
		.amdhsa_inst_pref_size 0
		.amdhsa_round_robin_scheduling 0
		.amdhsa_exception_fp_ieee_invalid_op 0
		.amdhsa_exception_fp_denorm_src 0
		.amdhsa_exception_fp_ieee_div_zero 0
		.amdhsa_exception_fp_ieee_overflow 0
		.amdhsa_exception_fp_ieee_underflow 0
		.amdhsa_exception_fp_ieee_inexact 0
		.amdhsa_exception_int_div_zero 0
	.end_amdhsa_kernel
	.section	.text._ZN7rocprim17ROCPRIM_400000_NS6detail17trampoline_kernelINS0_13select_configILj256ELj13ELNS0_17block_load_methodE3ELS4_3ELS4_3ELNS0_20block_scan_algorithmE0ELj4294967295EEENS1_25partition_config_selectorILNS1_17partition_subalgoE4EjNS0_10empty_typeEbEEZZNS1_14partition_implILS8_4ELb0ES6_15HIP_vector_typeIjLj2EENS0_17counting_iteratorIjlEEPS9_SG_NS0_5tupleIJPjSI_NS0_16reverse_iteratorISI_EEEEENSH_IJSG_SG_SG_EEES9_SI_JZNS1_25segmented_radix_sort_implINS0_14default_configELb1EPKsPsPKlPlN2at6native12_GLOBAL__N_18offset_tEEE10hipError_tPvRmT1_PNSt15iterator_traitsIS12_E10value_typeET2_T3_PNS13_IS18_E10value_typeET4_jRbjT5_S1E_jjP12ihipStream_tbEUljE_ZNSN_ISO_Lb1ESQ_SR_ST_SU_SY_EESZ_S10_S11_S12_S16_S17_S18_S1B_S1C_jS1D_jS1E_S1E_jjS1G_bEUljE0_EEESZ_S10_S11_S18_S1C_S1E_T6_T7_T9_mT8_S1G_bDpT10_ENKUlT_T0_E_clISt17integral_constantIbLb1EES1T_IbLb0EEEEDaS1P_S1Q_EUlS1P_E_NS1_11comp_targetILNS1_3genE9ELNS1_11target_archE1100ELNS1_3gpuE3ELNS1_3repE0EEENS1_30default_config_static_selectorELNS0_4arch9wavefront6targetE0EEEvS12_,"axG",@progbits,_ZN7rocprim17ROCPRIM_400000_NS6detail17trampoline_kernelINS0_13select_configILj256ELj13ELNS0_17block_load_methodE3ELS4_3ELS4_3ELNS0_20block_scan_algorithmE0ELj4294967295EEENS1_25partition_config_selectorILNS1_17partition_subalgoE4EjNS0_10empty_typeEbEEZZNS1_14partition_implILS8_4ELb0ES6_15HIP_vector_typeIjLj2EENS0_17counting_iteratorIjlEEPS9_SG_NS0_5tupleIJPjSI_NS0_16reverse_iteratorISI_EEEEENSH_IJSG_SG_SG_EEES9_SI_JZNS1_25segmented_radix_sort_implINS0_14default_configELb1EPKsPsPKlPlN2at6native12_GLOBAL__N_18offset_tEEE10hipError_tPvRmT1_PNSt15iterator_traitsIS12_E10value_typeET2_T3_PNS13_IS18_E10value_typeET4_jRbjT5_S1E_jjP12ihipStream_tbEUljE_ZNSN_ISO_Lb1ESQ_SR_ST_SU_SY_EESZ_S10_S11_S12_S16_S17_S18_S1B_S1C_jS1D_jS1E_S1E_jjS1G_bEUljE0_EEESZ_S10_S11_S18_S1C_S1E_T6_T7_T9_mT8_S1G_bDpT10_ENKUlT_T0_E_clISt17integral_constantIbLb1EES1T_IbLb0EEEEDaS1P_S1Q_EUlS1P_E_NS1_11comp_targetILNS1_3genE9ELNS1_11target_archE1100ELNS1_3gpuE3ELNS1_3repE0EEENS1_30default_config_static_selectorELNS0_4arch9wavefront6targetE0EEEvS12_,comdat
.Lfunc_end865:
	.size	_ZN7rocprim17ROCPRIM_400000_NS6detail17trampoline_kernelINS0_13select_configILj256ELj13ELNS0_17block_load_methodE3ELS4_3ELS4_3ELNS0_20block_scan_algorithmE0ELj4294967295EEENS1_25partition_config_selectorILNS1_17partition_subalgoE4EjNS0_10empty_typeEbEEZZNS1_14partition_implILS8_4ELb0ES6_15HIP_vector_typeIjLj2EENS0_17counting_iteratorIjlEEPS9_SG_NS0_5tupleIJPjSI_NS0_16reverse_iteratorISI_EEEEENSH_IJSG_SG_SG_EEES9_SI_JZNS1_25segmented_radix_sort_implINS0_14default_configELb1EPKsPsPKlPlN2at6native12_GLOBAL__N_18offset_tEEE10hipError_tPvRmT1_PNSt15iterator_traitsIS12_E10value_typeET2_T3_PNS13_IS18_E10value_typeET4_jRbjT5_S1E_jjP12ihipStream_tbEUljE_ZNSN_ISO_Lb1ESQ_SR_ST_SU_SY_EESZ_S10_S11_S12_S16_S17_S18_S1B_S1C_jS1D_jS1E_S1E_jjS1G_bEUljE0_EEESZ_S10_S11_S18_S1C_S1E_T6_T7_T9_mT8_S1G_bDpT10_ENKUlT_T0_E_clISt17integral_constantIbLb1EES1T_IbLb0EEEEDaS1P_S1Q_EUlS1P_E_NS1_11comp_targetILNS1_3genE9ELNS1_11target_archE1100ELNS1_3gpuE3ELNS1_3repE0EEENS1_30default_config_static_selectorELNS0_4arch9wavefront6targetE0EEEvS12_, .Lfunc_end865-_ZN7rocprim17ROCPRIM_400000_NS6detail17trampoline_kernelINS0_13select_configILj256ELj13ELNS0_17block_load_methodE3ELS4_3ELS4_3ELNS0_20block_scan_algorithmE0ELj4294967295EEENS1_25partition_config_selectorILNS1_17partition_subalgoE4EjNS0_10empty_typeEbEEZZNS1_14partition_implILS8_4ELb0ES6_15HIP_vector_typeIjLj2EENS0_17counting_iteratorIjlEEPS9_SG_NS0_5tupleIJPjSI_NS0_16reverse_iteratorISI_EEEEENSH_IJSG_SG_SG_EEES9_SI_JZNS1_25segmented_radix_sort_implINS0_14default_configELb1EPKsPsPKlPlN2at6native12_GLOBAL__N_18offset_tEEE10hipError_tPvRmT1_PNSt15iterator_traitsIS12_E10value_typeET2_T3_PNS13_IS18_E10value_typeET4_jRbjT5_S1E_jjP12ihipStream_tbEUljE_ZNSN_ISO_Lb1ESQ_SR_ST_SU_SY_EESZ_S10_S11_S12_S16_S17_S18_S1B_S1C_jS1D_jS1E_S1E_jjS1G_bEUljE0_EEESZ_S10_S11_S18_S1C_S1E_T6_T7_T9_mT8_S1G_bDpT10_ENKUlT_T0_E_clISt17integral_constantIbLb1EES1T_IbLb0EEEEDaS1P_S1Q_EUlS1P_E_NS1_11comp_targetILNS1_3genE9ELNS1_11target_archE1100ELNS1_3gpuE3ELNS1_3repE0EEENS1_30default_config_static_selectorELNS0_4arch9wavefront6targetE0EEEvS12_
                                        ; -- End function
	.set _ZN7rocprim17ROCPRIM_400000_NS6detail17trampoline_kernelINS0_13select_configILj256ELj13ELNS0_17block_load_methodE3ELS4_3ELS4_3ELNS0_20block_scan_algorithmE0ELj4294967295EEENS1_25partition_config_selectorILNS1_17partition_subalgoE4EjNS0_10empty_typeEbEEZZNS1_14partition_implILS8_4ELb0ES6_15HIP_vector_typeIjLj2EENS0_17counting_iteratorIjlEEPS9_SG_NS0_5tupleIJPjSI_NS0_16reverse_iteratorISI_EEEEENSH_IJSG_SG_SG_EEES9_SI_JZNS1_25segmented_radix_sort_implINS0_14default_configELb1EPKsPsPKlPlN2at6native12_GLOBAL__N_18offset_tEEE10hipError_tPvRmT1_PNSt15iterator_traitsIS12_E10value_typeET2_T3_PNS13_IS18_E10value_typeET4_jRbjT5_S1E_jjP12ihipStream_tbEUljE_ZNSN_ISO_Lb1ESQ_SR_ST_SU_SY_EESZ_S10_S11_S12_S16_S17_S18_S1B_S1C_jS1D_jS1E_S1E_jjS1G_bEUljE0_EEESZ_S10_S11_S18_S1C_S1E_T6_T7_T9_mT8_S1G_bDpT10_ENKUlT_T0_E_clISt17integral_constantIbLb1EES1T_IbLb0EEEEDaS1P_S1Q_EUlS1P_E_NS1_11comp_targetILNS1_3genE9ELNS1_11target_archE1100ELNS1_3gpuE3ELNS1_3repE0EEENS1_30default_config_static_selectorELNS0_4arch9wavefront6targetE0EEEvS12_.num_vgpr, 0
	.set _ZN7rocprim17ROCPRIM_400000_NS6detail17trampoline_kernelINS0_13select_configILj256ELj13ELNS0_17block_load_methodE3ELS4_3ELS4_3ELNS0_20block_scan_algorithmE0ELj4294967295EEENS1_25partition_config_selectorILNS1_17partition_subalgoE4EjNS0_10empty_typeEbEEZZNS1_14partition_implILS8_4ELb0ES6_15HIP_vector_typeIjLj2EENS0_17counting_iteratorIjlEEPS9_SG_NS0_5tupleIJPjSI_NS0_16reverse_iteratorISI_EEEEENSH_IJSG_SG_SG_EEES9_SI_JZNS1_25segmented_radix_sort_implINS0_14default_configELb1EPKsPsPKlPlN2at6native12_GLOBAL__N_18offset_tEEE10hipError_tPvRmT1_PNSt15iterator_traitsIS12_E10value_typeET2_T3_PNS13_IS18_E10value_typeET4_jRbjT5_S1E_jjP12ihipStream_tbEUljE_ZNSN_ISO_Lb1ESQ_SR_ST_SU_SY_EESZ_S10_S11_S12_S16_S17_S18_S1B_S1C_jS1D_jS1E_S1E_jjS1G_bEUljE0_EEESZ_S10_S11_S18_S1C_S1E_T6_T7_T9_mT8_S1G_bDpT10_ENKUlT_T0_E_clISt17integral_constantIbLb1EES1T_IbLb0EEEEDaS1P_S1Q_EUlS1P_E_NS1_11comp_targetILNS1_3genE9ELNS1_11target_archE1100ELNS1_3gpuE3ELNS1_3repE0EEENS1_30default_config_static_selectorELNS0_4arch9wavefront6targetE0EEEvS12_.num_agpr, 0
	.set _ZN7rocprim17ROCPRIM_400000_NS6detail17trampoline_kernelINS0_13select_configILj256ELj13ELNS0_17block_load_methodE3ELS4_3ELS4_3ELNS0_20block_scan_algorithmE0ELj4294967295EEENS1_25partition_config_selectorILNS1_17partition_subalgoE4EjNS0_10empty_typeEbEEZZNS1_14partition_implILS8_4ELb0ES6_15HIP_vector_typeIjLj2EENS0_17counting_iteratorIjlEEPS9_SG_NS0_5tupleIJPjSI_NS0_16reverse_iteratorISI_EEEEENSH_IJSG_SG_SG_EEES9_SI_JZNS1_25segmented_radix_sort_implINS0_14default_configELb1EPKsPsPKlPlN2at6native12_GLOBAL__N_18offset_tEEE10hipError_tPvRmT1_PNSt15iterator_traitsIS12_E10value_typeET2_T3_PNS13_IS18_E10value_typeET4_jRbjT5_S1E_jjP12ihipStream_tbEUljE_ZNSN_ISO_Lb1ESQ_SR_ST_SU_SY_EESZ_S10_S11_S12_S16_S17_S18_S1B_S1C_jS1D_jS1E_S1E_jjS1G_bEUljE0_EEESZ_S10_S11_S18_S1C_S1E_T6_T7_T9_mT8_S1G_bDpT10_ENKUlT_T0_E_clISt17integral_constantIbLb1EES1T_IbLb0EEEEDaS1P_S1Q_EUlS1P_E_NS1_11comp_targetILNS1_3genE9ELNS1_11target_archE1100ELNS1_3gpuE3ELNS1_3repE0EEENS1_30default_config_static_selectorELNS0_4arch9wavefront6targetE0EEEvS12_.numbered_sgpr, 0
	.set _ZN7rocprim17ROCPRIM_400000_NS6detail17trampoline_kernelINS0_13select_configILj256ELj13ELNS0_17block_load_methodE3ELS4_3ELS4_3ELNS0_20block_scan_algorithmE0ELj4294967295EEENS1_25partition_config_selectorILNS1_17partition_subalgoE4EjNS0_10empty_typeEbEEZZNS1_14partition_implILS8_4ELb0ES6_15HIP_vector_typeIjLj2EENS0_17counting_iteratorIjlEEPS9_SG_NS0_5tupleIJPjSI_NS0_16reverse_iteratorISI_EEEEENSH_IJSG_SG_SG_EEES9_SI_JZNS1_25segmented_radix_sort_implINS0_14default_configELb1EPKsPsPKlPlN2at6native12_GLOBAL__N_18offset_tEEE10hipError_tPvRmT1_PNSt15iterator_traitsIS12_E10value_typeET2_T3_PNS13_IS18_E10value_typeET4_jRbjT5_S1E_jjP12ihipStream_tbEUljE_ZNSN_ISO_Lb1ESQ_SR_ST_SU_SY_EESZ_S10_S11_S12_S16_S17_S18_S1B_S1C_jS1D_jS1E_S1E_jjS1G_bEUljE0_EEESZ_S10_S11_S18_S1C_S1E_T6_T7_T9_mT8_S1G_bDpT10_ENKUlT_T0_E_clISt17integral_constantIbLb1EES1T_IbLb0EEEEDaS1P_S1Q_EUlS1P_E_NS1_11comp_targetILNS1_3genE9ELNS1_11target_archE1100ELNS1_3gpuE3ELNS1_3repE0EEENS1_30default_config_static_selectorELNS0_4arch9wavefront6targetE0EEEvS12_.num_named_barrier, 0
	.set _ZN7rocprim17ROCPRIM_400000_NS6detail17trampoline_kernelINS0_13select_configILj256ELj13ELNS0_17block_load_methodE3ELS4_3ELS4_3ELNS0_20block_scan_algorithmE0ELj4294967295EEENS1_25partition_config_selectorILNS1_17partition_subalgoE4EjNS0_10empty_typeEbEEZZNS1_14partition_implILS8_4ELb0ES6_15HIP_vector_typeIjLj2EENS0_17counting_iteratorIjlEEPS9_SG_NS0_5tupleIJPjSI_NS0_16reverse_iteratorISI_EEEEENSH_IJSG_SG_SG_EEES9_SI_JZNS1_25segmented_radix_sort_implINS0_14default_configELb1EPKsPsPKlPlN2at6native12_GLOBAL__N_18offset_tEEE10hipError_tPvRmT1_PNSt15iterator_traitsIS12_E10value_typeET2_T3_PNS13_IS18_E10value_typeET4_jRbjT5_S1E_jjP12ihipStream_tbEUljE_ZNSN_ISO_Lb1ESQ_SR_ST_SU_SY_EESZ_S10_S11_S12_S16_S17_S18_S1B_S1C_jS1D_jS1E_S1E_jjS1G_bEUljE0_EEESZ_S10_S11_S18_S1C_S1E_T6_T7_T9_mT8_S1G_bDpT10_ENKUlT_T0_E_clISt17integral_constantIbLb1EES1T_IbLb0EEEEDaS1P_S1Q_EUlS1P_E_NS1_11comp_targetILNS1_3genE9ELNS1_11target_archE1100ELNS1_3gpuE3ELNS1_3repE0EEENS1_30default_config_static_selectorELNS0_4arch9wavefront6targetE0EEEvS12_.private_seg_size, 0
	.set _ZN7rocprim17ROCPRIM_400000_NS6detail17trampoline_kernelINS0_13select_configILj256ELj13ELNS0_17block_load_methodE3ELS4_3ELS4_3ELNS0_20block_scan_algorithmE0ELj4294967295EEENS1_25partition_config_selectorILNS1_17partition_subalgoE4EjNS0_10empty_typeEbEEZZNS1_14partition_implILS8_4ELb0ES6_15HIP_vector_typeIjLj2EENS0_17counting_iteratorIjlEEPS9_SG_NS0_5tupleIJPjSI_NS0_16reverse_iteratorISI_EEEEENSH_IJSG_SG_SG_EEES9_SI_JZNS1_25segmented_radix_sort_implINS0_14default_configELb1EPKsPsPKlPlN2at6native12_GLOBAL__N_18offset_tEEE10hipError_tPvRmT1_PNSt15iterator_traitsIS12_E10value_typeET2_T3_PNS13_IS18_E10value_typeET4_jRbjT5_S1E_jjP12ihipStream_tbEUljE_ZNSN_ISO_Lb1ESQ_SR_ST_SU_SY_EESZ_S10_S11_S12_S16_S17_S18_S1B_S1C_jS1D_jS1E_S1E_jjS1G_bEUljE0_EEESZ_S10_S11_S18_S1C_S1E_T6_T7_T9_mT8_S1G_bDpT10_ENKUlT_T0_E_clISt17integral_constantIbLb1EES1T_IbLb0EEEEDaS1P_S1Q_EUlS1P_E_NS1_11comp_targetILNS1_3genE9ELNS1_11target_archE1100ELNS1_3gpuE3ELNS1_3repE0EEENS1_30default_config_static_selectorELNS0_4arch9wavefront6targetE0EEEvS12_.uses_vcc, 0
	.set _ZN7rocprim17ROCPRIM_400000_NS6detail17trampoline_kernelINS0_13select_configILj256ELj13ELNS0_17block_load_methodE3ELS4_3ELS4_3ELNS0_20block_scan_algorithmE0ELj4294967295EEENS1_25partition_config_selectorILNS1_17partition_subalgoE4EjNS0_10empty_typeEbEEZZNS1_14partition_implILS8_4ELb0ES6_15HIP_vector_typeIjLj2EENS0_17counting_iteratorIjlEEPS9_SG_NS0_5tupleIJPjSI_NS0_16reverse_iteratorISI_EEEEENSH_IJSG_SG_SG_EEES9_SI_JZNS1_25segmented_radix_sort_implINS0_14default_configELb1EPKsPsPKlPlN2at6native12_GLOBAL__N_18offset_tEEE10hipError_tPvRmT1_PNSt15iterator_traitsIS12_E10value_typeET2_T3_PNS13_IS18_E10value_typeET4_jRbjT5_S1E_jjP12ihipStream_tbEUljE_ZNSN_ISO_Lb1ESQ_SR_ST_SU_SY_EESZ_S10_S11_S12_S16_S17_S18_S1B_S1C_jS1D_jS1E_S1E_jjS1G_bEUljE0_EEESZ_S10_S11_S18_S1C_S1E_T6_T7_T9_mT8_S1G_bDpT10_ENKUlT_T0_E_clISt17integral_constantIbLb1EES1T_IbLb0EEEEDaS1P_S1Q_EUlS1P_E_NS1_11comp_targetILNS1_3genE9ELNS1_11target_archE1100ELNS1_3gpuE3ELNS1_3repE0EEENS1_30default_config_static_selectorELNS0_4arch9wavefront6targetE0EEEvS12_.uses_flat_scratch, 0
	.set _ZN7rocprim17ROCPRIM_400000_NS6detail17trampoline_kernelINS0_13select_configILj256ELj13ELNS0_17block_load_methodE3ELS4_3ELS4_3ELNS0_20block_scan_algorithmE0ELj4294967295EEENS1_25partition_config_selectorILNS1_17partition_subalgoE4EjNS0_10empty_typeEbEEZZNS1_14partition_implILS8_4ELb0ES6_15HIP_vector_typeIjLj2EENS0_17counting_iteratorIjlEEPS9_SG_NS0_5tupleIJPjSI_NS0_16reverse_iteratorISI_EEEEENSH_IJSG_SG_SG_EEES9_SI_JZNS1_25segmented_radix_sort_implINS0_14default_configELb1EPKsPsPKlPlN2at6native12_GLOBAL__N_18offset_tEEE10hipError_tPvRmT1_PNSt15iterator_traitsIS12_E10value_typeET2_T3_PNS13_IS18_E10value_typeET4_jRbjT5_S1E_jjP12ihipStream_tbEUljE_ZNSN_ISO_Lb1ESQ_SR_ST_SU_SY_EESZ_S10_S11_S12_S16_S17_S18_S1B_S1C_jS1D_jS1E_S1E_jjS1G_bEUljE0_EEESZ_S10_S11_S18_S1C_S1E_T6_T7_T9_mT8_S1G_bDpT10_ENKUlT_T0_E_clISt17integral_constantIbLb1EES1T_IbLb0EEEEDaS1P_S1Q_EUlS1P_E_NS1_11comp_targetILNS1_3genE9ELNS1_11target_archE1100ELNS1_3gpuE3ELNS1_3repE0EEENS1_30default_config_static_selectorELNS0_4arch9wavefront6targetE0EEEvS12_.has_dyn_sized_stack, 0
	.set _ZN7rocprim17ROCPRIM_400000_NS6detail17trampoline_kernelINS0_13select_configILj256ELj13ELNS0_17block_load_methodE3ELS4_3ELS4_3ELNS0_20block_scan_algorithmE0ELj4294967295EEENS1_25partition_config_selectorILNS1_17partition_subalgoE4EjNS0_10empty_typeEbEEZZNS1_14partition_implILS8_4ELb0ES6_15HIP_vector_typeIjLj2EENS0_17counting_iteratorIjlEEPS9_SG_NS0_5tupleIJPjSI_NS0_16reverse_iteratorISI_EEEEENSH_IJSG_SG_SG_EEES9_SI_JZNS1_25segmented_radix_sort_implINS0_14default_configELb1EPKsPsPKlPlN2at6native12_GLOBAL__N_18offset_tEEE10hipError_tPvRmT1_PNSt15iterator_traitsIS12_E10value_typeET2_T3_PNS13_IS18_E10value_typeET4_jRbjT5_S1E_jjP12ihipStream_tbEUljE_ZNSN_ISO_Lb1ESQ_SR_ST_SU_SY_EESZ_S10_S11_S12_S16_S17_S18_S1B_S1C_jS1D_jS1E_S1E_jjS1G_bEUljE0_EEESZ_S10_S11_S18_S1C_S1E_T6_T7_T9_mT8_S1G_bDpT10_ENKUlT_T0_E_clISt17integral_constantIbLb1EES1T_IbLb0EEEEDaS1P_S1Q_EUlS1P_E_NS1_11comp_targetILNS1_3genE9ELNS1_11target_archE1100ELNS1_3gpuE3ELNS1_3repE0EEENS1_30default_config_static_selectorELNS0_4arch9wavefront6targetE0EEEvS12_.has_recursion, 0
	.set _ZN7rocprim17ROCPRIM_400000_NS6detail17trampoline_kernelINS0_13select_configILj256ELj13ELNS0_17block_load_methodE3ELS4_3ELS4_3ELNS0_20block_scan_algorithmE0ELj4294967295EEENS1_25partition_config_selectorILNS1_17partition_subalgoE4EjNS0_10empty_typeEbEEZZNS1_14partition_implILS8_4ELb0ES6_15HIP_vector_typeIjLj2EENS0_17counting_iteratorIjlEEPS9_SG_NS0_5tupleIJPjSI_NS0_16reverse_iteratorISI_EEEEENSH_IJSG_SG_SG_EEES9_SI_JZNS1_25segmented_radix_sort_implINS0_14default_configELb1EPKsPsPKlPlN2at6native12_GLOBAL__N_18offset_tEEE10hipError_tPvRmT1_PNSt15iterator_traitsIS12_E10value_typeET2_T3_PNS13_IS18_E10value_typeET4_jRbjT5_S1E_jjP12ihipStream_tbEUljE_ZNSN_ISO_Lb1ESQ_SR_ST_SU_SY_EESZ_S10_S11_S12_S16_S17_S18_S1B_S1C_jS1D_jS1E_S1E_jjS1G_bEUljE0_EEESZ_S10_S11_S18_S1C_S1E_T6_T7_T9_mT8_S1G_bDpT10_ENKUlT_T0_E_clISt17integral_constantIbLb1EES1T_IbLb0EEEEDaS1P_S1Q_EUlS1P_E_NS1_11comp_targetILNS1_3genE9ELNS1_11target_archE1100ELNS1_3gpuE3ELNS1_3repE0EEENS1_30default_config_static_selectorELNS0_4arch9wavefront6targetE0EEEvS12_.has_indirect_call, 0
	.section	.AMDGPU.csdata,"",@progbits
; Kernel info:
; codeLenInByte = 0
; TotalNumSgprs: 0
; NumVgprs: 0
; ScratchSize: 0
; MemoryBound: 0
; FloatMode: 240
; IeeeMode: 1
; LDSByteSize: 0 bytes/workgroup (compile time only)
; SGPRBlocks: 0
; VGPRBlocks: 0
; NumSGPRsForWavesPerEU: 1
; NumVGPRsForWavesPerEU: 1
; NamedBarCnt: 0
; Occupancy: 16
; WaveLimiterHint : 0
; COMPUTE_PGM_RSRC2:SCRATCH_EN: 0
; COMPUTE_PGM_RSRC2:USER_SGPR: 2
; COMPUTE_PGM_RSRC2:TRAP_HANDLER: 0
; COMPUTE_PGM_RSRC2:TGID_X_EN: 1
; COMPUTE_PGM_RSRC2:TGID_Y_EN: 0
; COMPUTE_PGM_RSRC2:TGID_Z_EN: 0
; COMPUTE_PGM_RSRC2:TIDIG_COMP_CNT: 0
	.section	.text._ZN7rocprim17ROCPRIM_400000_NS6detail17trampoline_kernelINS0_13select_configILj256ELj13ELNS0_17block_load_methodE3ELS4_3ELS4_3ELNS0_20block_scan_algorithmE0ELj4294967295EEENS1_25partition_config_selectorILNS1_17partition_subalgoE4EjNS0_10empty_typeEbEEZZNS1_14partition_implILS8_4ELb0ES6_15HIP_vector_typeIjLj2EENS0_17counting_iteratorIjlEEPS9_SG_NS0_5tupleIJPjSI_NS0_16reverse_iteratorISI_EEEEENSH_IJSG_SG_SG_EEES9_SI_JZNS1_25segmented_radix_sort_implINS0_14default_configELb1EPKsPsPKlPlN2at6native12_GLOBAL__N_18offset_tEEE10hipError_tPvRmT1_PNSt15iterator_traitsIS12_E10value_typeET2_T3_PNS13_IS18_E10value_typeET4_jRbjT5_S1E_jjP12ihipStream_tbEUljE_ZNSN_ISO_Lb1ESQ_SR_ST_SU_SY_EESZ_S10_S11_S12_S16_S17_S18_S1B_S1C_jS1D_jS1E_S1E_jjS1G_bEUljE0_EEESZ_S10_S11_S18_S1C_S1E_T6_T7_T9_mT8_S1G_bDpT10_ENKUlT_T0_E_clISt17integral_constantIbLb1EES1T_IbLb0EEEEDaS1P_S1Q_EUlS1P_E_NS1_11comp_targetILNS1_3genE8ELNS1_11target_archE1030ELNS1_3gpuE2ELNS1_3repE0EEENS1_30default_config_static_selectorELNS0_4arch9wavefront6targetE0EEEvS12_,"axG",@progbits,_ZN7rocprim17ROCPRIM_400000_NS6detail17trampoline_kernelINS0_13select_configILj256ELj13ELNS0_17block_load_methodE3ELS4_3ELS4_3ELNS0_20block_scan_algorithmE0ELj4294967295EEENS1_25partition_config_selectorILNS1_17partition_subalgoE4EjNS0_10empty_typeEbEEZZNS1_14partition_implILS8_4ELb0ES6_15HIP_vector_typeIjLj2EENS0_17counting_iteratorIjlEEPS9_SG_NS0_5tupleIJPjSI_NS0_16reverse_iteratorISI_EEEEENSH_IJSG_SG_SG_EEES9_SI_JZNS1_25segmented_radix_sort_implINS0_14default_configELb1EPKsPsPKlPlN2at6native12_GLOBAL__N_18offset_tEEE10hipError_tPvRmT1_PNSt15iterator_traitsIS12_E10value_typeET2_T3_PNS13_IS18_E10value_typeET4_jRbjT5_S1E_jjP12ihipStream_tbEUljE_ZNSN_ISO_Lb1ESQ_SR_ST_SU_SY_EESZ_S10_S11_S12_S16_S17_S18_S1B_S1C_jS1D_jS1E_S1E_jjS1G_bEUljE0_EEESZ_S10_S11_S18_S1C_S1E_T6_T7_T9_mT8_S1G_bDpT10_ENKUlT_T0_E_clISt17integral_constantIbLb1EES1T_IbLb0EEEEDaS1P_S1Q_EUlS1P_E_NS1_11comp_targetILNS1_3genE8ELNS1_11target_archE1030ELNS1_3gpuE2ELNS1_3repE0EEENS1_30default_config_static_selectorELNS0_4arch9wavefront6targetE0EEEvS12_,comdat
	.globl	_ZN7rocprim17ROCPRIM_400000_NS6detail17trampoline_kernelINS0_13select_configILj256ELj13ELNS0_17block_load_methodE3ELS4_3ELS4_3ELNS0_20block_scan_algorithmE0ELj4294967295EEENS1_25partition_config_selectorILNS1_17partition_subalgoE4EjNS0_10empty_typeEbEEZZNS1_14partition_implILS8_4ELb0ES6_15HIP_vector_typeIjLj2EENS0_17counting_iteratorIjlEEPS9_SG_NS0_5tupleIJPjSI_NS0_16reverse_iteratorISI_EEEEENSH_IJSG_SG_SG_EEES9_SI_JZNS1_25segmented_radix_sort_implINS0_14default_configELb1EPKsPsPKlPlN2at6native12_GLOBAL__N_18offset_tEEE10hipError_tPvRmT1_PNSt15iterator_traitsIS12_E10value_typeET2_T3_PNS13_IS18_E10value_typeET4_jRbjT5_S1E_jjP12ihipStream_tbEUljE_ZNSN_ISO_Lb1ESQ_SR_ST_SU_SY_EESZ_S10_S11_S12_S16_S17_S18_S1B_S1C_jS1D_jS1E_S1E_jjS1G_bEUljE0_EEESZ_S10_S11_S18_S1C_S1E_T6_T7_T9_mT8_S1G_bDpT10_ENKUlT_T0_E_clISt17integral_constantIbLb1EES1T_IbLb0EEEEDaS1P_S1Q_EUlS1P_E_NS1_11comp_targetILNS1_3genE8ELNS1_11target_archE1030ELNS1_3gpuE2ELNS1_3repE0EEENS1_30default_config_static_selectorELNS0_4arch9wavefront6targetE0EEEvS12_ ; -- Begin function _ZN7rocprim17ROCPRIM_400000_NS6detail17trampoline_kernelINS0_13select_configILj256ELj13ELNS0_17block_load_methodE3ELS4_3ELS4_3ELNS0_20block_scan_algorithmE0ELj4294967295EEENS1_25partition_config_selectorILNS1_17partition_subalgoE4EjNS0_10empty_typeEbEEZZNS1_14partition_implILS8_4ELb0ES6_15HIP_vector_typeIjLj2EENS0_17counting_iteratorIjlEEPS9_SG_NS0_5tupleIJPjSI_NS0_16reverse_iteratorISI_EEEEENSH_IJSG_SG_SG_EEES9_SI_JZNS1_25segmented_radix_sort_implINS0_14default_configELb1EPKsPsPKlPlN2at6native12_GLOBAL__N_18offset_tEEE10hipError_tPvRmT1_PNSt15iterator_traitsIS12_E10value_typeET2_T3_PNS13_IS18_E10value_typeET4_jRbjT5_S1E_jjP12ihipStream_tbEUljE_ZNSN_ISO_Lb1ESQ_SR_ST_SU_SY_EESZ_S10_S11_S12_S16_S17_S18_S1B_S1C_jS1D_jS1E_S1E_jjS1G_bEUljE0_EEESZ_S10_S11_S18_S1C_S1E_T6_T7_T9_mT8_S1G_bDpT10_ENKUlT_T0_E_clISt17integral_constantIbLb1EES1T_IbLb0EEEEDaS1P_S1Q_EUlS1P_E_NS1_11comp_targetILNS1_3genE8ELNS1_11target_archE1030ELNS1_3gpuE2ELNS1_3repE0EEENS1_30default_config_static_selectorELNS0_4arch9wavefront6targetE0EEEvS12_
	.p2align	8
	.type	_ZN7rocprim17ROCPRIM_400000_NS6detail17trampoline_kernelINS0_13select_configILj256ELj13ELNS0_17block_load_methodE3ELS4_3ELS4_3ELNS0_20block_scan_algorithmE0ELj4294967295EEENS1_25partition_config_selectorILNS1_17partition_subalgoE4EjNS0_10empty_typeEbEEZZNS1_14partition_implILS8_4ELb0ES6_15HIP_vector_typeIjLj2EENS0_17counting_iteratorIjlEEPS9_SG_NS0_5tupleIJPjSI_NS0_16reverse_iteratorISI_EEEEENSH_IJSG_SG_SG_EEES9_SI_JZNS1_25segmented_radix_sort_implINS0_14default_configELb1EPKsPsPKlPlN2at6native12_GLOBAL__N_18offset_tEEE10hipError_tPvRmT1_PNSt15iterator_traitsIS12_E10value_typeET2_T3_PNS13_IS18_E10value_typeET4_jRbjT5_S1E_jjP12ihipStream_tbEUljE_ZNSN_ISO_Lb1ESQ_SR_ST_SU_SY_EESZ_S10_S11_S12_S16_S17_S18_S1B_S1C_jS1D_jS1E_S1E_jjS1G_bEUljE0_EEESZ_S10_S11_S18_S1C_S1E_T6_T7_T9_mT8_S1G_bDpT10_ENKUlT_T0_E_clISt17integral_constantIbLb1EES1T_IbLb0EEEEDaS1P_S1Q_EUlS1P_E_NS1_11comp_targetILNS1_3genE8ELNS1_11target_archE1030ELNS1_3gpuE2ELNS1_3repE0EEENS1_30default_config_static_selectorELNS0_4arch9wavefront6targetE0EEEvS12_,@function
_ZN7rocprim17ROCPRIM_400000_NS6detail17trampoline_kernelINS0_13select_configILj256ELj13ELNS0_17block_load_methodE3ELS4_3ELS4_3ELNS0_20block_scan_algorithmE0ELj4294967295EEENS1_25partition_config_selectorILNS1_17partition_subalgoE4EjNS0_10empty_typeEbEEZZNS1_14partition_implILS8_4ELb0ES6_15HIP_vector_typeIjLj2EENS0_17counting_iteratorIjlEEPS9_SG_NS0_5tupleIJPjSI_NS0_16reverse_iteratorISI_EEEEENSH_IJSG_SG_SG_EEES9_SI_JZNS1_25segmented_radix_sort_implINS0_14default_configELb1EPKsPsPKlPlN2at6native12_GLOBAL__N_18offset_tEEE10hipError_tPvRmT1_PNSt15iterator_traitsIS12_E10value_typeET2_T3_PNS13_IS18_E10value_typeET4_jRbjT5_S1E_jjP12ihipStream_tbEUljE_ZNSN_ISO_Lb1ESQ_SR_ST_SU_SY_EESZ_S10_S11_S12_S16_S17_S18_S1B_S1C_jS1D_jS1E_S1E_jjS1G_bEUljE0_EEESZ_S10_S11_S18_S1C_S1E_T6_T7_T9_mT8_S1G_bDpT10_ENKUlT_T0_E_clISt17integral_constantIbLb1EES1T_IbLb0EEEEDaS1P_S1Q_EUlS1P_E_NS1_11comp_targetILNS1_3genE8ELNS1_11target_archE1030ELNS1_3gpuE2ELNS1_3repE0EEENS1_30default_config_static_selectorELNS0_4arch9wavefront6targetE0EEEvS12_: ; @_ZN7rocprim17ROCPRIM_400000_NS6detail17trampoline_kernelINS0_13select_configILj256ELj13ELNS0_17block_load_methodE3ELS4_3ELS4_3ELNS0_20block_scan_algorithmE0ELj4294967295EEENS1_25partition_config_selectorILNS1_17partition_subalgoE4EjNS0_10empty_typeEbEEZZNS1_14partition_implILS8_4ELb0ES6_15HIP_vector_typeIjLj2EENS0_17counting_iteratorIjlEEPS9_SG_NS0_5tupleIJPjSI_NS0_16reverse_iteratorISI_EEEEENSH_IJSG_SG_SG_EEES9_SI_JZNS1_25segmented_radix_sort_implINS0_14default_configELb1EPKsPsPKlPlN2at6native12_GLOBAL__N_18offset_tEEE10hipError_tPvRmT1_PNSt15iterator_traitsIS12_E10value_typeET2_T3_PNS13_IS18_E10value_typeET4_jRbjT5_S1E_jjP12ihipStream_tbEUljE_ZNSN_ISO_Lb1ESQ_SR_ST_SU_SY_EESZ_S10_S11_S12_S16_S17_S18_S1B_S1C_jS1D_jS1E_S1E_jjS1G_bEUljE0_EEESZ_S10_S11_S18_S1C_S1E_T6_T7_T9_mT8_S1G_bDpT10_ENKUlT_T0_E_clISt17integral_constantIbLb1EES1T_IbLb0EEEEDaS1P_S1Q_EUlS1P_E_NS1_11comp_targetILNS1_3genE8ELNS1_11target_archE1030ELNS1_3gpuE2ELNS1_3repE0EEENS1_30default_config_static_selectorELNS0_4arch9wavefront6targetE0EEEvS12_
; %bb.0:
	.section	.rodata,"a",@progbits
	.p2align	6, 0x0
	.amdhsa_kernel _ZN7rocprim17ROCPRIM_400000_NS6detail17trampoline_kernelINS0_13select_configILj256ELj13ELNS0_17block_load_methodE3ELS4_3ELS4_3ELNS0_20block_scan_algorithmE0ELj4294967295EEENS1_25partition_config_selectorILNS1_17partition_subalgoE4EjNS0_10empty_typeEbEEZZNS1_14partition_implILS8_4ELb0ES6_15HIP_vector_typeIjLj2EENS0_17counting_iteratorIjlEEPS9_SG_NS0_5tupleIJPjSI_NS0_16reverse_iteratorISI_EEEEENSH_IJSG_SG_SG_EEES9_SI_JZNS1_25segmented_radix_sort_implINS0_14default_configELb1EPKsPsPKlPlN2at6native12_GLOBAL__N_18offset_tEEE10hipError_tPvRmT1_PNSt15iterator_traitsIS12_E10value_typeET2_T3_PNS13_IS18_E10value_typeET4_jRbjT5_S1E_jjP12ihipStream_tbEUljE_ZNSN_ISO_Lb1ESQ_SR_ST_SU_SY_EESZ_S10_S11_S12_S16_S17_S18_S1B_S1C_jS1D_jS1E_S1E_jjS1G_bEUljE0_EEESZ_S10_S11_S18_S1C_S1E_T6_T7_T9_mT8_S1G_bDpT10_ENKUlT_T0_E_clISt17integral_constantIbLb1EES1T_IbLb0EEEEDaS1P_S1Q_EUlS1P_E_NS1_11comp_targetILNS1_3genE8ELNS1_11target_archE1030ELNS1_3gpuE2ELNS1_3repE0EEENS1_30default_config_static_selectorELNS0_4arch9wavefront6targetE0EEEvS12_
		.amdhsa_group_segment_fixed_size 0
		.amdhsa_private_segment_fixed_size 0
		.amdhsa_kernarg_size 176
		.amdhsa_user_sgpr_count 2
		.amdhsa_user_sgpr_dispatch_ptr 0
		.amdhsa_user_sgpr_queue_ptr 0
		.amdhsa_user_sgpr_kernarg_segment_ptr 1
		.amdhsa_user_sgpr_dispatch_id 0
		.amdhsa_user_sgpr_kernarg_preload_length 0
		.amdhsa_user_sgpr_kernarg_preload_offset 0
		.amdhsa_user_sgpr_private_segment_size 0
		.amdhsa_wavefront_size32 1
		.amdhsa_uses_dynamic_stack 0
		.amdhsa_enable_private_segment 0
		.amdhsa_system_sgpr_workgroup_id_x 1
		.amdhsa_system_sgpr_workgroup_id_y 0
		.amdhsa_system_sgpr_workgroup_id_z 0
		.amdhsa_system_sgpr_workgroup_info 0
		.amdhsa_system_vgpr_workitem_id 0
		.amdhsa_next_free_vgpr 1
		.amdhsa_next_free_sgpr 1
		.amdhsa_named_barrier_count 0
		.amdhsa_reserve_vcc 0
		.amdhsa_float_round_mode_32 0
		.amdhsa_float_round_mode_16_64 0
		.amdhsa_float_denorm_mode_32 3
		.amdhsa_float_denorm_mode_16_64 3
		.amdhsa_fp16_overflow 0
		.amdhsa_memory_ordered 1
		.amdhsa_forward_progress 1
		.amdhsa_inst_pref_size 0
		.amdhsa_round_robin_scheduling 0
		.amdhsa_exception_fp_ieee_invalid_op 0
		.amdhsa_exception_fp_denorm_src 0
		.amdhsa_exception_fp_ieee_div_zero 0
		.amdhsa_exception_fp_ieee_overflow 0
		.amdhsa_exception_fp_ieee_underflow 0
		.amdhsa_exception_fp_ieee_inexact 0
		.amdhsa_exception_int_div_zero 0
	.end_amdhsa_kernel
	.section	.text._ZN7rocprim17ROCPRIM_400000_NS6detail17trampoline_kernelINS0_13select_configILj256ELj13ELNS0_17block_load_methodE3ELS4_3ELS4_3ELNS0_20block_scan_algorithmE0ELj4294967295EEENS1_25partition_config_selectorILNS1_17partition_subalgoE4EjNS0_10empty_typeEbEEZZNS1_14partition_implILS8_4ELb0ES6_15HIP_vector_typeIjLj2EENS0_17counting_iteratorIjlEEPS9_SG_NS0_5tupleIJPjSI_NS0_16reverse_iteratorISI_EEEEENSH_IJSG_SG_SG_EEES9_SI_JZNS1_25segmented_radix_sort_implINS0_14default_configELb1EPKsPsPKlPlN2at6native12_GLOBAL__N_18offset_tEEE10hipError_tPvRmT1_PNSt15iterator_traitsIS12_E10value_typeET2_T3_PNS13_IS18_E10value_typeET4_jRbjT5_S1E_jjP12ihipStream_tbEUljE_ZNSN_ISO_Lb1ESQ_SR_ST_SU_SY_EESZ_S10_S11_S12_S16_S17_S18_S1B_S1C_jS1D_jS1E_S1E_jjS1G_bEUljE0_EEESZ_S10_S11_S18_S1C_S1E_T6_T7_T9_mT8_S1G_bDpT10_ENKUlT_T0_E_clISt17integral_constantIbLb1EES1T_IbLb0EEEEDaS1P_S1Q_EUlS1P_E_NS1_11comp_targetILNS1_3genE8ELNS1_11target_archE1030ELNS1_3gpuE2ELNS1_3repE0EEENS1_30default_config_static_selectorELNS0_4arch9wavefront6targetE0EEEvS12_,"axG",@progbits,_ZN7rocprim17ROCPRIM_400000_NS6detail17trampoline_kernelINS0_13select_configILj256ELj13ELNS0_17block_load_methodE3ELS4_3ELS4_3ELNS0_20block_scan_algorithmE0ELj4294967295EEENS1_25partition_config_selectorILNS1_17partition_subalgoE4EjNS0_10empty_typeEbEEZZNS1_14partition_implILS8_4ELb0ES6_15HIP_vector_typeIjLj2EENS0_17counting_iteratorIjlEEPS9_SG_NS0_5tupleIJPjSI_NS0_16reverse_iteratorISI_EEEEENSH_IJSG_SG_SG_EEES9_SI_JZNS1_25segmented_radix_sort_implINS0_14default_configELb1EPKsPsPKlPlN2at6native12_GLOBAL__N_18offset_tEEE10hipError_tPvRmT1_PNSt15iterator_traitsIS12_E10value_typeET2_T3_PNS13_IS18_E10value_typeET4_jRbjT5_S1E_jjP12ihipStream_tbEUljE_ZNSN_ISO_Lb1ESQ_SR_ST_SU_SY_EESZ_S10_S11_S12_S16_S17_S18_S1B_S1C_jS1D_jS1E_S1E_jjS1G_bEUljE0_EEESZ_S10_S11_S18_S1C_S1E_T6_T7_T9_mT8_S1G_bDpT10_ENKUlT_T0_E_clISt17integral_constantIbLb1EES1T_IbLb0EEEEDaS1P_S1Q_EUlS1P_E_NS1_11comp_targetILNS1_3genE8ELNS1_11target_archE1030ELNS1_3gpuE2ELNS1_3repE0EEENS1_30default_config_static_selectorELNS0_4arch9wavefront6targetE0EEEvS12_,comdat
.Lfunc_end866:
	.size	_ZN7rocprim17ROCPRIM_400000_NS6detail17trampoline_kernelINS0_13select_configILj256ELj13ELNS0_17block_load_methodE3ELS4_3ELS4_3ELNS0_20block_scan_algorithmE0ELj4294967295EEENS1_25partition_config_selectorILNS1_17partition_subalgoE4EjNS0_10empty_typeEbEEZZNS1_14partition_implILS8_4ELb0ES6_15HIP_vector_typeIjLj2EENS0_17counting_iteratorIjlEEPS9_SG_NS0_5tupleIJPjSI_NS0_16reverse_iteratorISI_EEEEENSH_IJSG_SG_SG_EEES9_SI_JZNS1_25segmented_radix_sort_implINS0_14default_configELb1EPKsPsPKlPlN2at6native12_GLOBAL__N_18offset_tEEE10hipError_tPvRmT1_PNSt15iterator_traitsIS12_E10value_typeET2_T3_PNS13_IS18_E10value_typeET4_jRbjT5_S1E_jjP12ihipStream_tbEUljE_ZNSN_ISO_Lb1ESQ_SR_ST_SU_SY_EESZ_S10_S11_S12_S16_S17_S18_S1B_S1C_jS1D_jS1E_S1E_jjS1G_bEUljE0_EEESZ_S10_S11_S18_S1C_S1E_T6_T7_T9_mT8_S1G_bDpT10_ENKUlT_T0_E_clISt17integral_constantIbLb1EES1T_IbLb0EEEEDaS1P_S1Q_EUlS1P_E_NS1_11comp_targetILNS1_3genE8ELNS1_11target_archE1030ELNS1_3gpuE2ELNS1_3repE0EEENS1_30default_config_static_selectorELNS0_4arch9wavefront6targetE0EEEvS12_, .Lfunc_end866-_ZN7rocprim17ROCPRIM_400000_NS6detail17trampoline_kernelINS0_13select_configILj256ELj13ELNS0_17block_load_methodE3ELS4_3ELS4_3ELNS0_20block_scan_algorithmE0ELj4294967295EEENS1_25partition_config_selectorILNS1_17partition_subalgoE4EjNS0_10empty_typeEbEEZZNS1_14partition_implILS8_4ELb0ES6_15HIP_vector_typeIjLj2EENS0_17counting_iteratorIjlEEPS9_SG_NS0_5tupleIJPjSI_NS0_16reverse_iteratorISI_EEEEENSH_IJSG_SG_SG_EEES9_SI_JZNS1_25segmented_radix_sort_implINS0_14default_configELb1EPKsPsPKlPlN2at6native12_GLOBAL__N_18offset_tEEE10hipError_tPvRmT1_PNSt15iterator_traitsIS12_E10value_typeET2_T3_PNS13_IS18_E10value_typeET4_jRbjT5_S1E_jjP12ihipStream_tbEUljE_ZNSN_ISO_Lb1ESQ_SR_ST_SU_SY_EESZ_S10_S11_S12_S16_S17_S18_S1B_S1C_jS1D_jS1E_S1E_jjS1G_bEUljE0_EEESZ_S10_S11_S18_S1C_S1E_T6_T7_T9_mT8_S1G_bDpT10_ENKUlT_T0_E_clISt17integral_constantIbLb1EES1T_IbLb0EEEEDaS1P_S1Q_EUlS1P_E_NS1_11comp_targetILNS1_3genE8ELNS1_11target_archE1030ELNS1_3gpuE2ELNS1_3repE0EEENS1_30default_config_static_selectorELNS0_4arch9wavefront6targetE0EEEvS12_
                                        ; -- End function
	.set _ZN7rocprim17ROCPRIM_400000_NS6detail17trampoline_kernelINS0_13select_configILj256ELj13ELNS0_17block_load_methodE3ELS4_3ELS4_3ELNS0_20block_scan_algorithmE0ELj4294967295EEENS1_25partition_config_selectorILNS1_17partition_subalgoE4EjNS0_10empty_typeEbEEZZNS1_14partition_implILS8_4ELb0ES6_15HIP_vector_typeIjLj2EENS0_17counting_iteratorIjlEEPS9_SG_NS0_5tupleIJPjSI_NS0_16reverse_iteratorISI_EEEEENSH_IJSG_SG_SG_EEES9_SI_JZNS1_25segmented_radix_sort_implINS0_14default_configELb1EPKsPsPKlPlN2at6native12_GLOBAL__N_18offset_tEEE10hipError_tPvRmT1_PNSt15iterator_traitsIS12_E10value_typeET2_T3_PNS13_IS18_E10value_typeET4_jRbjT5_S1E_jjP12ihipStream_tbEUljE_ZNSN_ISO_Lb1ESQ_SR_ST_SU_SY_EESZ_S10_S11_S12_S16_S17_S18_S1B_S1C_jS1D_jS1E_S1E_jjS1G_bEUljE0_EEESZ_S10_S11_S18_S1C_S1E_T6_T7_T9_mT8_S1G_bDpT10_ENKUlT_T0_E_clISt17integral_constantIbLb1EES1T_IbLb0EEEEDaS1P_S1Q_EUlS1P_E_NS1_11comp_targetILNS1_3genE8ELNS1_11target_archE1030ELNS1_3gpuE2ELNS1_3repE0EEENS1_30default_config_static_selectorELNS0_4arch9wavefront6targetE0EEEvS12_.num_vgpr, 0
	.set _ZN7rocprim17ROCPRIM_400000_NS6detail17trampoline_kernelINS0_13select_configILj256ELj13ELNS0_17block_load_methodE3ELS4_3ELS4_3ELNS0_20block_scan_algorithmE0ELj4294967295EEENS1_25partition_config_selectorILNS1_17partition_subalgoE4EjNS0_10empty_typeEbEEZZNS1_14partition_implILS8_4ELb0ES6_15HIP_vector_typeIjLj2EENS0_17counting_iteratorIjlEEPS9_SG_NS0_5tupleIJPjSI_NS0_16reverse_iteratorISI_EEEEENSH_IJSG_SG_SG_EEES9_SI_JZNS1_25segmented_radix_sort_implINS0_14default_configELb1EPKsPsPKlPlN2at6native12_GLOBAL__N_18offset_tEEE10hipError_tPvRmT1_PNSt15iterator_traitsIS12_E10value_typeET2_T3_PNS13_IS18_E10value_typeET4_jRbjT5_S1E_jjP12ihipStream_tbEUljE_ZNSN_ISO_Lb1ESQ_SR_ST_SU_SY_EESZ_S10_S11_S12_S16_S17_S18_S1B_S1C_jS1D_jS1E_S1E_jjS1G_bEUljE0_EEESZ_S10_S11_S18_S1C_S1E_T6_T7_T9_mT8_S1G_bDpT10_ENKUlT_T0_E_clISt17integral_constantIbLb1EES1T_IbLb0EEEEDaS1P_S1Q_EUlS1P_E_NS1_11comp_targetILNS1_3genE8ELNS1_11target_archE1030ELNS1_3gpuE2ELNS1_3repE0EEENS1_30default_config_static_selectorELNS0_4arch9wavefront6targetE0EEEvS12_.num_agpr, 0
	.set _ZN7rocprim17ROCPRIM_400000_NS6detail17trampoline_kernelINS0_13select_configILj256ELj13ELNS0_17block_load_methodE3ELS4_3ELS4_3ELNS0_20block_scan_algorithmE0ELj4294967295EEENS1_25partition_config_selectorILNS1_17partition_subalgoE4EjNS0_10empty_typeEbEEZZNS1_14partition_implILS8_4ELb0ES6_15HIP_vector_typeIjLj2EENS0_17counting_iteratorIjlEEPS9_SG_NS0_5tupleIJPjSI_NS0_16reverse_iteratorISI_EEEEENSH_IJSG_SG_SG_EEES9_SI_JZNS1_25segmented_radix_sort_implINS0_14default_configELb1EPKsPsPKlPlN2at6native12_GLOBAL__N_18offset_tEEE10hipError_tPvRmT1_PNSt15iterator_traitsIS12_E10value_typeET2_T3_PNS13_IS18_E10value_typeET4_jRbjT5_S1E_jjP12ihipStream_tbEUljE_ZNSN_ISO_Lb1ESQ_SR_ST_SU_SY_EESZ_S10_S11_S12_S16_S17_S18_S1B_S1C_jS1D_jS1E_S1E_jjS1G_bEUljE0_EEESZ_S10_S11_S18_S1C_S1E_T6_T7_T9_mT8_S1G_bDpT10_ENKUlT_T0_E_clISt17integral_constantIbLb1EES1T_IbLb0EEEEDaS1P_S1Q_EUlS1P_E_NS1_11comp_targetILNS1_3genE8ELNS1_11target_archE1030ELNS1_3gpuE2ELNS1_3repE0EEENS1_30default_config_static_selectorELNS0_4arch9wavefront6targetE0EEEvS12_.numbered_sgpr, 0
	.set _ZN7rocprim17ROCPRIM_400000_NS6detail17trampoline_kernelINS0_13select_configILj256ELj13ELNS0_17block_load_methodE3ELS4_3ELS4_3ELNS0_20block_scan_algorithmE0ELj4294967295EEENS1_25partition_config_selectorILNS1_17partition_subalgoE4EjNS0_10empty_typeEbEEZZNS1_14partition_implILS8_4ELb0ES6_15HIP_vector_typeIjLj2EENS0_17counting_iteratorIjlEEPS9_SG_NS0_5tupleIJPjSI_NS0_16reverse_iteratorISI_EEEEENSH_IJSG_SG_SG_EEES9_SI_JZNS1_25segmented_radix_sort_implINS0_14default_configELb1EPKsPsPKlPlN2at6native12_GLOBAL__N_18offset_tEEE10hipError_tPvRmT1_PNSt15iterator_traitsIS12_E10value_typeET2_T3_PNS13_IS18_E10value_typeET4_jRbjT5_S1E_jjP12ihipStream_tbEUljE_ZNSN_ISO_Lb1ESQ_SR_ST_SU_SY_EESZ_S10_S11_S12_S16_S17_S18_S1B_S1C_jS1D_jS1E_S1E_jjS1G_bEUljE0_EEESZ_S10_S11_S18_S1C_S1E_T6_T7_T9_mT8_S1G_bDpT10_ENKUlT_T0_E_clISt17integral_constantIbLb1EES1T_IbLb0EEEEDaS1P_S1Q_EUlS1P_E_NS1_11comp_targetILNS1_3genE8ELNS1_11target_archE1030ELNS1_3gpuE2ELNS1_3repE0EEENS1_30default_config_static_selectorELNS0_4arch9wavefront6targetE0EEEvS12_.num_named_barrier, 0
	.set _ZN7rocprim17ROCPRIM_400000_NS6detail17trampoline_kernelINS0_13select_configILj256ELj13ELNS0_17block_load_methodE3ELS4_3ELS4_3ELNS0_20block_scan_algorithmE0ELj4294967295EEENS1_25partition_config_selectorILNS1_17partition_subalgoE4EjNS0_10empty_typeEbEEZZNS1_14partition_implILS8_4ELb0ES6_15HIP_vector_typeIjLj2EENS0_17counting_iteratorIjlEEPS9_SG_NS0_5tupleIJPjSI_NS0_16reverse_iteratorISI_EEEEENSH_IJSG_SG_SG_EEES9_SI_JZNS1_25segmented_radix_sort_implINS0_14default_configELb1EPKsPsPKlPlN2at6native12_GLOBAL__N_18offset_tEEE10hipError_tPvRmT1_PNSt15iterator_traitsIS12_E10value_typeET2_T3_PNS13_IS18_E10value_typeET4_jRbjT5_S1E_jjP12ihipStream_tbEUljE_ZNSN_ISO_Lb1ESQ_SR_ST_SU_SY_EESZ_S10_S11_S12_S16_S17_S18_S1B_S1C_jS1D_jS1E_S1E_jjS1G_bEUljE0_EEESZ_S10_S11_S18_S1C_S1E_T6_T7_T9_mT8_S1G_bDpT10_ENKUlT_T0_E_clISt17integral_constantIbLb1EES1T_IbLb0EEEEDaS1P_S1Q_EUlS1P_E_NS1_11comp_targetILNS1_3genE8ELNS1_11target_archE1030ELNS1_3gpuE2ELNS1_3repE0EEENS1_30default_config_static_selectorELNS0_4arch9wavefront6targetE0EEEvS12_.private_seg_size, 0
	.set _ZN7rocprim17ROCPRIM_400000_NS6detail17trampoline_kernelINS0_13select_configILj256ELj13ELNS0_17block_load_methodE3ELS4_3ELS4_3ELNS0_20block_scan_algorithmE0ELj4294967295EEENS1_25partition_config_selectorILNS1_17partition_subalgoE4EjNS0_10empty_typeEbEEZZNS1_14partition_implILS8_4ELb0ES6_15HIP_vector_typeIjLj2EENS0_17counting_iteratorIjlEEPS9_SG_NS0_5tupleIJPjSI_NS0_16reverse_iteratorISI_EEEEENSH_IJSG_SG_SG_EEES9_SI_JZNS1_25segmented_radix_sort_implINS0_14default_configELb1EPKsPsPKlPlN2at6native12_GLOBAL__N_18offset_tEEE10hipError_tPvRmT1_PNSt15iterator_traitsIS12_E10value_typeET2_T3_PNS13_IS18_E10value_typeET4_jRbjT5_S1E_jjP12ihipStream_tbEUljE_ZNSN_ISO_Lb1ESQ_SR_ST_SU_SY_EESZ_S10_S11_S12_S16_S17_S18_S1B_S1C_jS1D_jS1E_S1E_jjS1G_bEUljE0_EEESZ_S10_S11_S18_S1C_S1E_T6_T7_T9_mT8_S1G_bDpT10_ENKUlT_T0_E_clISt17integral_constantIbLb1EES1T_IbLb0EEEEDaS1P_S1Q_EUlS1P_E_NS1_11comp_targetILNS1_3genE8ELNS1_11target_archE1030ELNS1_3gpuE2ELNS1_3repE0EEENS1_30default_config_static_selectorELNS0_4arch9wavefront6targetE0EEEvS12_.uses_vcc, 0
	.set _ZN7rocprim17ROCPRIM_400000_NS6detail17trampoline_kernelINS0_13select_configILj256ELj13ELNS0_17block_load_methodE3ELS4_3ELS4_3ELNS0_20block_scan_algorithmE0ELj4294967295EEENS1_25partition_config_selectorILNS1_17partition_subalgoE4EjNS0_10empty_typeEbEEZZNS1_14partition_implILS8_4ELb0ES6_15HIP_vector_typeIjLj2EENS0_17counting_iteratorIjlEEPS9_SG_NS0_5tupleIJPjSI_NS0_16reverse_iteratorISI_EEEEENSH_IJSG_SG_SG_EEES9_SI_JZNS1_25segmented_radix_sort_implINS0_14default_configELb1EPKsPsPKlPlN2at6native12_GLOBAL__N_18offset_tEEE10hipError_tPvRmT1_PNSt15iterator_traitsIS12_E10value_typeET2_T3_PNS13_IS18_E10value_typeET4_jRbjT5_S1E_jjP12ihipStream_tbEUljE_ZNSN_ISO_Lb1ESQ_SR_ST_SU_SY_EESZ_S10_S11_S12_S16_S17_S18_S1B_S1C_jS1D_jS1E_S1E_jjS1G_bEUljE0_EEESZ_S10_S11_S18_S1C_S1E_T6_T7_T9_mT8_S1G_bDpT10_ENKUlT_T0_E_clISt17integral_constantIbLb1EES1T_IbLb0EEEEDaS1P_S1Q_EUlS1P_E_NS1_11comp_targetILNS1_3genE8ELNS1_11target_archE1030ELNS1_3gpuE2ELNS1_3repE0EEENS1_30default_config_static_selectorELNS0_4arch9wavefront6targetE0EEEvS12_.uses_flat_scratch, 0
	.set _ZN7rocprim17ROCPRIM_400000_NS6detail17trampoline_kernelINS0_13select_configILj256ELj13ELNS0_17block_load_methodE3ELS4_3ELS4_3ELNS0_20block_scan_algorithmE0ELj4294967295EEENS1_25partition_config_selectorILNS1_17partition_subalgoE4EjNS0_10empty_typeEbEEZZNS1_14partition_implILS8_4ELb0ES6_15HIP_vector_typeIjLj2EENS0_17counting_iteratorIjlEEPS9_SG_NS0_5tupleIJPjSI_NS0_16reverse_iteratorISI_EEEEENSH_IJSG_SG_SG_EEES9_SI_JZNS1_25segmented_radix_sort_implINS0_14default_configELb1EPKsPsPKlPlN2at6native12_GLOBAL__N_18offset_tEEE10hipError_tPvRmT1_PNSt15iterator_traitsIS12_E10value_typeET2_T3_PNS13_IS18_E10value_typeET4_jRbjT5_S1E_jjP12ihipStream_tbEUljE_ZNSN_ISO_Lb1ESQ_SR_ST_SU_SY_EESZ_S10_S11_S12_S16_S17_S18_S1B_S1C_jS1D_jS1E_S1E_jjS1G_bEUljE0_EEESZ_S10_S11_S18_S1C_S1E_T6_T7_T9_mT8_S1G_bDpT10_ENKUlT_T0_E_clISt17integral_constantIbLb1EES1T_IbLb0EEEEDaS1P_S1Q_EUlS1P_E_NS1_11comp_targetILNS1_3genE8ELNS1_11target_archE1030ELNS1_3gpuE2ELNS1_3repE0EEENS1_30default_config_static_selectorELNS0_4arch9wavefront6targetE0EEEvS12_.has_dyn_sized_stack, 0
	.set _ZN7rocprim17ROCPRIM_400000_NS6detail17trampoline_kernelINS0_13select_configILj256ELj13ELNS0_17block_load_methodE3ELS4_3ELS4_3ELNS0_20block_scan_algorithmE0ELj4294967295EEENS1_25partition_config_selectorILNS1_17partition_subalgoE4EjNS0_10empty_typeEbEEZZNS1_14partition_implILS8_4ELb0ES6_15HIP_vector_typeIjLj2EENS0_17counting_iteratorIjlEEPS9_SG_NS0_5tupleIJPjSI_NS0_16reverse_iteratorISI_EEEEENSH_IJSG_SG_SG_EEES9_SI_JZNS1_25segmented_radix_sort_implINS0_14default_configELb1EPKsPsPKlPlN2at6native12_GLOBAL__N_18offset_tEEE10hipError_tPvRmT1_PNSt15iterator_traitsIS12_E10value_typeET2_T3_PNS13_IS18_E10value_typeET4_jRbjT5_S1E_jjP12ihipStream_tbEUljE_ZNSN_ISO_Lb1ESQ_SR_ST_SU_SY_EESZ_S10_S11_S12_S16_S17_S18_S1B_S1C_jS1D_jS1E_S1E_jjS1G_bEUljE0_EEESZ_S10_S11_S18_S1C_S1E_T6_T7_T9_mT8_S1G_bDpT10_ENKUlT_T0_E_clISt17integral_constantIbLb1EES1T_IbLb0EEEEDaS1P_S1Q_EUlS1P_E_NS1_11comp_targetILNS1_3genE8ELNS1_11target_archE1030ELNS1_3gpuE2ELNS1_3repE0EEENS1_30default_config_static_selectorELNS0_4arch9wavefront6targetE0EEEvS12_.has_recursion, 0
	.set _ZN7rocprim17ROCPRIM_400000_NS6detail17trampoline_kernelINS0_13select_configILj256ELj13ELNS0_17block_load_methodE3ELS4_3ELS4_3ELNS0_20block_scan_algorithmE0ELj4294967295EEENS1_25partition_config_selectorILNS1_17partition_subalgoE4EjNS0_10empty_typeEbEEZZNS1_14partition_implILS8_4ELb0ES6_15HIP_vector_typeIjLj2EENS0_17counting_iteratorIjlEEPS9_SG_NS0_5tupleIJPjSI_NS0_16reverse_iteratorISI_EEEEENSH_IJSG_SG_SG_EEES9_SI_JZNS1_25segmented_radix_sort_implINS0_14default_configELb1EPKsPsPKlPlN2at6native12_GLOBAL__N_18offset_tEEE10hipError_tPvRmT1_PNSt15iterator_traitsIS12_E10value_typeET2_T3_PNS13_IS18_E10value_typeET4_jRbjT5_S1E_jjP12ihipStream_tbEUljE_ZNSN_ISO_Lb1ESQ_SR_ST_SU_SY_EESZ_S10_S11_S12_S16_S17_S18_S1B_S1C_jS1D_jS1E_S1E_jjS1G_bEUljE0_EEESZ_S10_S11_S18_S1C_S1E_T6_T7_T9_mT8_S1G_bDpT10_ENKUlT_T0_E_clISt17integral_constantIbLb1EES1T_IbLb0EEEEDaS1P_S1Q_EUlS1P_E_NS1_11comp_targetILNS1_3genE8ELNS1_11target_archE1030ELNS1_3gpuE2ELNS1_3repE0EEENS1_30default_config_static_selectorELNS0_4arch9wavefront6targetE0EEEvS12_.has_indirect_call, 0
	.section	.AMDGPU.csdata,"",@progbits
; Kernel info:
; codeLenInByte = 0
; TotalNumSgprs: 0
; NumVgprs: 0
; ScratchSize: 0
; MemoryBound: 0
; FloatMode: 240
; IeeeMode: 1
; LDSByteSize: 0 bytes/workgroup (compile time only)
; SGPRBlocks: 0
; VGPRBlocks: 0
; NumSGPRsForWavesPerEU: 1
; NumVGPRsForWavesPerEU: 1
; NamedBarCnt: 0
; Occupancy: 16
; WaveLimiterHint : 0
; COMPUTE_PGM_RSRC2:SCRATCH_EN: 0
; COMPUTE_PGM_RSRC2:USER_SGPR: 2
; COMPUTE_PGM_RSRC2:TRAP_HANDLER: 0
; COMPUTE_PGM_RSRC2:TGID_X_EN: 1
; COMPUTE_PGM_RSRC2:TGID_Y_EN: 0
; COMPUTE_PGM_RSRC2:TGID_Z_EN: 0
; COMPUTE_PGM_RSRC2:TIDIG_COMP_CNT: 0
	.section	.text._ZN7rocprim17ROCPRIM_400000_NS6detail17trampoline_kernelINS0_13select_configILj256ELj13ELNS0_17block_load_methodE3ELS4_3ELS4_3ELNS0_20block_scan_algorithmE0ELj4294967295EEENS1_25partition_config_selectorILNS1_17partition_subalgoE4EjNS0_10empty_typeEbEEZZNS1_14partition_implILS8_4ELb0ES6_15HIP_vector_typeIjLj2EENS0_17counting_iteratorIjlEEPS9_SG_NS0_5tupleIJPjSI_NS0_16reverse_iteratorISI_EEEEENSH_IJSG_SG_SG_EEES9_SI_JZNS1_25segmented_radix_sort_implINS0_14default_configELb1EPKsPsPKlPlN2at6native12_GLOBAL__N_18offset_tEEE10hipError_tPvRmT1_PNSt15iterator_traitsIS12_E10value_typeET2_T3_PNS13_IS18_E10value_typeET4_jRbjT5_S1E_jjP12ihipStream_tbEUljE_ZNSN_ISO_Lb1ESQ_SR_ST_SU_SY_EESZ_S10_S11_S12_S16_S17_S18_S1B_S1C_jS1D_jS1E_S1E_jjS1G_bEUljE0_EEESZ_S10_S11_S18_S1C_S1E_T6_T7_T9_mT8_S1G_bDpT10_ENKUlT_T0_E_clISt17integral_constantIbLb0EES1T_IbLb1EEEEDaS1P_S1Q_EUlS1P_E_NS1_11comp_targetILNS1_3genE0ELNS1_11target_archE4294967295ELNS1_3gpuE0ELNS1_3repE0EEENS1_30default_config_static_selectorELNS0_4arch9wavefront6targetE0EEEvS12_,"axG",@progbits,_ZN7rocprim17ROCPRIM_400000_NS6detail17trampoline_kernelINS0_13select_configILj256ELj13ELNS0_17block_load_methodE3ELS4_3ELS4_3ELNS0_20block_scan_algorithmE0ELj4294967295EEENS1_25partition_config_selectorILNS1_17partition_subalgoE4EjNS0_10empty_typeEbEEZZNS1_14partition_implILS8_4ELb0ES6_15HIP_vector_typeIjLj2EENS0_17counting_iteratorIjlEEPS9_SG_NS0_5tupleIJPjSI_NS0_16reverse_iteratorISI_EEEEENSH_IJSG_SG_SG_EEES9_SI_JZNS1_25segmented_radix_sort_implINS0_14default_configELb1EPKsPsPKlPlN2at6native12_GLOBAL__N_18offset_tEEE10hipError_tPvRmT1_PNSt15iterator_traitsIS12_E10value_typeET2_T3_PNS13_IS18_E10value_typeET4_jRbjT5_S1E_jjP12ihipStream_tbEUljE_ZNSN_ISO_Lb1ESQ_SR_ST_SU_SY_EESZ_S10_S11_S12_S16_S17_S18_S1B_S1C_jS1D_jS1E_S1E_jjS1G_bEUljE0_EEESZ_S10_S11_S18_S1C_S1E_T6_T7_T9_mT8_S1G_bDpT10_ENKUlT_T0_E_clISt17integral_constantIbLb0EES1T_IbLb1EEEEDaS1P_S1Q_EUlS1P_E_NS1_11comp_targetILNS1_3genE0ELNS1_11target_archE4294967295ELNS1_3gpuE0ELNS1_3repE0EEENS1_30default_config_static_selectorELNS0_4arch9wavefront6targetE0EEEvS12_,comdat
	.globl	_ZN7rocprim17ROCPRIM_400000_NS6detail17trampoline_kernelINS0_13select_configILj256ELj13ELNS0_17block_load_methodE3ELS4_3ELS4_3ELNS0_20block_scan_algorithmE0ELj4294967295EEENS1_25partition_config_selectorILNS1_17partition_subalgoE4EjNS0_10empty_typeEbEEZZNS1_14partition_implILS8_4ELb0ES6_15HIP_vector_typeIjLj2EENS0_17counting_iteratorIjlEEPS9_SG_NS0_5tupleIJPjSI_NS0_16reverse_iteratorISI_EEEEENSH_IJSG_SG_SG_EEES9_SI_JZNS1_25segmented_radix_sort_implINS0_14default_configELb1EPKsPsPKlPlN2at6native12_GLOBAL__N_18offset_tEEE10hipError_tPvRmT1_PNSt15iterator_traitsIS12_E10value_typeET2_T3_PNS13_IS18_E10value_typeET4_jRbjT5_S1E_jjP12ihipStream_tbEUljE_ZNSN_ISO_Lb1ESQ_SR_ST_SU_SY_EESZ_S10_S11_S12_S16_S17_S18_S1B_S1C_jS1D_jS1E_S1E_jjS1G_bEUljE0_EEESZ_S10_S11_S18_S1C_S1E_T6_T7_T9_mT8_S1G_bDpT10_ENKUlT_T0_E_clISt17integral_constantIbLb0EES1T_IbLb1EEEEDaS1P_S1Q_EUlS1P_E_NS1_11comp_targetILNS1_3genE0ELNS1_11target_archE4294967295ELNS1_3gpuE0ELNS1_3repE0EEENS1_30default_config_static_selectorELNS0_4arch9wavefront6targetE0EEEvS12_ ; -- Begin function _ZN7rocprim17ROCPRIM_400000_NS6detail17trampoline_kernelINS0_13select_configILj256ELj13ELNS0_17block_load_methodE3ELS4_3ELS4_3ELNS0_20block_scan_algorithmE0ELj4294967295EEENS1_25partition_config_selectorILNS1_17partition_subalgoE4EjNS0_10empty_typeEbEEZZNS1_14partition_implILS8_4ELb0ES6_15HIP_vector_typeIjLj2EENS0_17counting_iteratorIjlEEPS9_SG_NS0_5tupleIJPjSI_NS0_16reverse_iteratorISI_EEEEENSH_IJSG_SG_SG_EEES9_SI_JZNS1_25segmented_radix_sort_implINS0_14default_configELb1EPKsPsPKlPlN2at6native12_GLOBAL__N_18offset_tEEE10hipError_tPvRmT1_PNSt15iterator_traitsIS12_E10value_typeET2_T3_PNS13_IS18_E10value_typeET4_jRbjT5_S1E_jjP12ihipStream_tbEUljE_ZNSN_ISO_Lb1ESQ_SR_ST_SU_SY_EESZ_S10_S11_S12_S16_S17_S18_S1B_S1C_jS1D_jS1E_S1E_jjS1G_bEUljE0_EEESZ_S10_S11_S18_S1C_S1E_T6_T7_T9_mT8_S1G_bDpT10_ENKUlT_T0_E_clISt17integral_constantIbLb0EES1T_IbLb1EEEEDaS1P_S1Q_EUlS1P_E_NS1_11comp_targetILNS1_3genE0ELNS1_11target_archE4294967295ELNS1_3gpuE0ELNS1_3repE0EEENS1_30default_config_static_selectorELNS0_4arch9wavefront6targetE0EEEvS12_
	.p2align	8
	.type	_ZN7rocprim17ROCPRIM_400000_NS6detail17trampoline_kernelINS0_13select_configILj256ELj13ELNS0_17block_load_methodE3ELS4_3ELS4_3ELNS0_20block_scan_algorithmE0ELj4294967295EEENS1_25partition_config_selectorILNS1_17partition_subalgoE4EjNS0_10empty_typeEbEEZZNS1_14partition_implILS8_4ELb0ES6_15HIP_vector_typeIjLj2EENS0_17counting_iteratorIjlEEPS9_SG_NS0_5tupleIJPjSI_NS0_16reverse_iteratorISI_EEEEENSH_IJSG_SG_SG_EEES9_SI_JZNS1_25segmented_radix_sort_implINS0_14default_configELb1EPKsPsPKlPlN2at6native12_GLOBAL__N_18offset_tEEE10hipError_tPvRmT1_PNSt15iterator_traitsIS12_E10value_typeET2_T3_PNS13_IS18_E10value_typeET4_jRbjT5_S1E_jjP12ihipStream_tbEUljE_ZNSN_ISO_Lb1ESQ_SR_ST_SU_SY_EESZ_S10_S11_S12_S16_S17_S18_S1B_S1C_jS1D_jS1E_S1E_jjS1G_bEUljE0_EEESZ_S10_S11_S18_S1C_S1E_T6_T7_T9_mT8_S1G_bDpT10_ENKUlT_T0_E_clISt17integral_constantIbLb0EES1T_IbLb1EEEEDaS1P_S1Q_EUlS1P_E_NS1_11comp_targetILNS1_3genE0ELNS1_11target_archE4294967295ELNS1_3gpuE0ELNS1_3repE0EEENS1_30default_config_static_selectorELNS0_4arch9wavefront6targetE0EEEvS12_,@function
_ZN7rocprim17ROCPRIM_400000_NS6detail17trampoline_kernelINS0_13select_configILj256ELj13ELNS0_17block_load_methodE3ELS4_3ELS4_3ELNS0_20block_scan_algorithmE0ELj4294967295EEENS1_25partition_config_selectorILNS1_17partition_subalgoE4EjNS0_10empty_typeEbEEZZNS1_14partition_implILS8_4ELb0ES6_15HIP_vector_typeIjLj2EENS0_17counting_iteratorIjlEEPS9_SG_NS0_5tupleIJPjSI_NS0_16reverse_iteratorISI_EEEEENSH_IJSG_SG_SG_EEES9_SI_JZNS1_25segmented_radix_sort_implINS0_14default_configELb1EPKsPsPKlPlN2at6native12_GLOBAL__N_18offset_tEEE10hipError_tPvRmT1_PNSt15iterator_traitsIS12_E10value_typeET2_T3_PNS13_IS18_E10value_typeET4_jRbjT5_S1E_jjP12ihipStream_tbEUljE_ZNSN_ISO_Lb1ESQ_SR_ST_SU_SY_EESZ_S10_S11_S12_S16_S17_S18_S1B_S1C_jS1D_jS1E_S1E_jjS1G_bEUljE0_EEESZ_S10_S11_S18_S1C_S1E_T6_T7_T9_mT8_S1G_bDpT10_ENKUlT_T0_E_clISt17integral_constantIbLb0EES1T_IbLb1EEEEDaS1P_S1Q_EUlS1P_E_NS1_11comp_targetILNS1_3genE0ELNS1_11target_archE4294967295ELNS1_3gpuE0ELNS1_3repE0EEENS1_30default_config_static_selectorELNS0_4arch9wavefront6targetE0EEEvS12_: ; @_ZN7rocprim17ROCPRIM_400000_NS6detail17trampoline_kernelINS0_13select_configILj256ELj13ELNS0_17block_load_methodE3ELS4_3ELS4_3ELNS0_20block_scan_algorithmE0ELj4294967295EEENS1_25partition_config_selectorILNS1_17partition_subalgoE4EjNS0_10empty_typeEbEEZZNS1_14partition_implILS8_4ELb0ES6_15HIP_vector_typeIjLj2EENS0_17counting_iteratorIjlEEPS9_SG_NS0_5tupleIJPjSI_NS0_16reverse_iteratorISI_EEEEENSH_IJSG_SG_SG_EEES9_SI_JZNS1_25segmented_radix_sort_implINS0_14default_configELb1EPKsPsPKlPlN2at6native12_GLOBAL__N_18offset_tEEE10hipError_tPvRmT1_PNSt15iterator_traitsIS12_E10value_typeET2_T3_PNS13_IS18_E10value_typeET4_jRbjT5_S1E_jjP12ihipStream_tbEUljE_ZNSN_ISO_Lb1ESQ_SR_ST_SU_SY_EESZ_S10_S11_S12_S16_S17_S18_S1B_S1C_jS1D_jS1E_S1E_jjS1G_bEUljE0_EEESZ_S10_S11_S18_S1C_S1E_T6_T7_T9_mT8_S1G_bDpT10_ENKUlT_T0_E_clISt17integral_constantIbLb0EES1T_IbLb1EEEEDaS1P_S1Q_EUlS1P_E_NS1_11comp_targetILNS1_3genE0ELNS1_11target_archE4294967295ELNS1_3gpuE0ELNS1_3repE0EEENS1_30default_config_static_selectorELNS0_4arch9wavefront6targetE0EEEvS12_
; %bb.0:
	s_clause 0x7
	s_load_b64 s[34:35], s[0:1], 0x10
	s_load_b128 s[28:31], s[0:1], 0x28
	s_load_b64 s[14:15], s[0:1], 0x38
	s_load_b128 s[24:27], s[0:1], 0x58
	s_load_b64 s[4:5], s[0:1], 0x68
	s_load_b64 s[36:37], s[0:1], 0x78
	;; [unrolled: 1-line block ×3, first 2 shown]
	s_load_b256 s[16:23], s[0:1], 0x90
	v_cmp_eq_u32_e64 s2, 0, v0
	s_and_saveexec_b32 s3, s2
	s_cbranch_execz .LBB867_4
; %bb.1:
	s_mov_b32 s7, exec_lo
	s_mov_b32 s6, exec_lo
	v_mbcnt_lo_u32_b32 v1, s7, 0
                                        ; implicit-def: $vgpr2
	s_delay_alu instid0(VALU_DEP_1)
	v_cmpx_eq_u32_e32 0, v1
	s_cbranch_execz .LBB867_3
; %bb.2:
	s_load_b64 s[8:9], s[0:1], 0x88
	s_bcnt1_i32_b32 s7, s7
	s_delay_alu instid0(SALU_CYCLE_1)
	v_dual_mov_b32 v2, 0 :: v_dual_mov_b32 v3, s7
	s_wait_xcnt 0x0
	s_wait_kmcnt 0x0
	global_atomic_add_u32 v2, v2, v3, s[8:9] th:TH_ATOMIC_RETURN scope:SCOPE_DEV
.LBB867_3:
	s_wait_xcnt 0x0
	s_or_b32 exec_lo, exec_lo, s6
	s_wait_loadcnt 0x0
	v_readfirstlane_b32 s6, v2
	s_delay_alu instid0(VALU_DEP_1)
	v_dual_mov_b32 v2, 0 :: v_dual_add_nc_u32 v1, s6, v1
	ds_store_b32 v2, v1
.LBB867_4:
	s_or_b32 exec_lo, exec_lo, s3
	v_mov_b32_e32 v1, 0
	s_clause 0x1
	s_load_b32 s3, s[0:1], 0x8
	s_load_b32 s6, s[0:1], 0x80
	s_wait_dscnt 0x0
	s_barrier_signal -1
	s_barrier_wait -1
	ds_load_b32 v6, v1
	s_wait_dscnt 0x0
	s_barrier_signal -1
	s_barrier_wait -1
	s_wait_kmcnt 0x0
	global_load_b128 v[2:5], v1, s[26:27]
	s_mov_b32 s1, 0
	s_add_co_i32 s3, s3, s34
	s_mul_i32 s0, s6, 0xd00
	s_add_co_i32 s6, s6, -1
	s_add_nc_u64 s[8:9], s[34:35], s[0:1]
	s_delay_alu instid0(SALU_CYCLE_1)
	v_cmp_gt_u64_e64 s1, s[4:5], s[8:9]
	v_mul_lo_u32 v14, 0xd00, v6
	s_wait_xcnt 0x0
	v_readfirstlane_b32 s27, v6
	v_cmp_ne_u32_e32 vcc_lo, s6, v6
	s_cmp_eq_u32 s27, s6
	s_cselect_b32 s26, -1, 0
	s_or_b32 s1, s1, vcc_lo
	v_add3_u32 v1, v14, s3, v0
	s_and_b32 vcc_lo, exec_lo, s1
	s_mov_b32 s3, -1
	s_delay_alu instid0(VALU_DEP_1)
	v_add_nc_u32_e32 v6, 0x100, v1
	v_add_nc_u32_e32 v7, 0x200, v1
	;; [unrolled: 1-line block ×12, first 2 shown]
	s_cbranch_vccz .LBB867_6
; %bb.5:
	v_lshlrev_b32_e32 v19, 2, v0
	s_mov_b32 s3, 0
	ds_store_2addr_stride64_b32 v19, v1, v6 offset1:4
	ds_store_2addr_stride64_b32 v19, v7, v8 offset0:8 offset1:12
	ds_store_2addr_stride64_b32 v19, v9, v10 offset0:16 offset1:20
	;; [unrolled: 1-line block ×5, first 2 shown]
	ds_store_b32 v19, v18 offset:12288
	s_wait_loadcnt_dscnt 0x0
	s_barrier_signal -1
	s_barrier_wait -1
.LBB867_6:
	s_and_not1_b32 vcc_lo, exec_lo, s3
	s_add_co_i32 s0, s0, s34
	s_cbranch_vccnz .LBB867_8
; %bb.7:
	v_lshlrev_b32_e32 v19, 2, v0
	ds_store_2addr_stride64_b32 v19, v1, v6 offset1:4
	ds_store_2addr_stride64_b32 v19, v7, v8 offset0:8 offset1:12
	ds_store_2addr_stride64_b32 v19, v9, v10 offset0:16 offset1:20
	;; [unrolled: 1-line block ×5, first 2 shown]
	ds_store_b32 v19, v18 offset:12288
	s_wait_loadcnt_dscnt 0x0
	s_barrier_signal -1
	s_barrier_wait -1
.LBB867_8:
	v_mul_u32_u24_e32 v15, 13, v0
	s_wait_loadcnt 0x0
	v_cndmask_b32_e64 v35, 0, 1, s1
	s_sub_co_i32 s33, s4, s0
	s_and_not1_b32 vcc_lo, exec_lo, s1
	v_lshlrev_b32_e32 v1, 2, v15
	ds_load_b32 v34, v1 offset:48
	ds_load_2addr_b32 v[16:17], v1 offset0:10 offset1:11
	ds_load_2addr_b32 v[18:19], v1 offset0:8 offset1:9
	;; [unrolled: 1-line block ×4, first 2 shown]
	ds_load_2addr_b32 v[26:27], v1 offset1:1
	ds_load_2addr_b32 v[24:25], v1 offset0:2 offset1:3
	s_wait_dscnt 0x0
	s_barrier_signal -1
	s_barrier_wait -1
	s_cbranch_vccnz .LBB867_36
; %bb.9:
	v_dual_add_nc_u32 v1, s17, v26 :: v_dual_add_nc_u32 v6, s19, v26
	s_mov_b32 s41, 0
	s_mov_b32 s40, 0
	s_mov_b32 s1, exec_lo
	s_delay_alu instid0(VALU_DEP_1) | instskip(SKIP_1) | instid1(VALU_DEP_1)
	v_mul_lo_u32 v1, v1, s16
	v_mul_lo_u32 v6, v6, s18
	v_sub_nc_u32_e32 v1, v1, v6
	s_delay_alu instid0(VALU_DEP_1)
	v_cmp_lt_u32_e32 vcc_lo, s20, v1
	v_cmpx_ge_u32_e64 s20, v1
	s_cbranch_execz .LBB867_11
; %bb.10:
	v_dual_add_nc_u32 v1, s22, v26 :: v_dual_add_nc_u32 v6, s38, v26
	s_delay_alu instid0(VALU_DEP_1) | instskip(NEXT) | instid1(VALU_DEP_2)
	v_mul_lo_u32 v1, v1, s21
	v_mul_lo_u32 v6, v6, s23
	s_delay_alu instid0(VALU_DEP_1) | instskip(NEXT) | instid1(VALU_DEP_1)
	v_sub_nc_u32_e32 v1, v1, v6
	v_cmp_lt_u32_e64 s0, s39, v1
	s_and_b32 s40, s0, exec_lo
.LBB867_11:
	s_or_b32 exec_lo, exec_lo, s1
	v_dual_add_nc_u32 v1, s17, v27 :: v_dual_add_nc_u32 v6, s19, v27
	s_mov_b32 s3, exec_lo
	s_delay_alu instid0(VALU_DEP_1) | instskip(NEXT) | instid1(VALU_DEP_2)
	v_mul_lo_u32 v1, v1, s16
	v_mul_lo_u32 v6, v6, s18
	s_delay_alu instid0(VALU_DEP_1) | instskip(NEXT) | instid1(VALU_DEP_1)
	v_sub_nc_u32_e32 v1, v1, v6
	v_cmp_lt_u32_e64 s0, s20, v1
	v_cmpx_ge_u32_e64 s20, v1
	s_cbranch_execz .LBB867_13
; %bb.12:
	v_dual_add_nc_u32 v1, s22, v27 :: v_dual_add_nc_u32 v6, s38, v27
	s_delay_alu instid0(VALU_DEP_1) | instskip(NEXT) | instid1(VALU_DEP_2)
	v_mul_lo_u32 v1, v1, s21
	v_mul_lo_u32 v6, v6, s23
	s_delay_alu instid0(VALU_DEP_1) | instskip(NEXT) | instid1(VALU_DEP_1)
	v_sub_nc_u32_e32 v1, v1, v6
	v_cmp_lt_u32_e64 s1, s39, v1
	s_and_b32 s41, s1, exec_lo
.LBB867_13:
	s_or_b32 exec_lo, exec_lo, s3
	v_dual_add_nc_u32 v1, s17, v24 :: v_dual_add_nc_u32 v6, s19, v24
	s_mov_b32 s43, 0
	s_mov_b32 s42, 0
	s_mov_b32 s4, exec_lo
	s_delay_alu instid0(VALU_DEP_1) | instskip(SKIP_1) | instid1(VALU_DEP_1)
	v_mul_lo_u32 v1, v1, s16
	v_mul_lo_u32 v6, v6, s18
	v_sub_nc_u32_e32 v1, v1, v6
	s_delay_alu instid0(VALU_DEP_1)
	v_cmp_lt_u32_e64 s1, s20, v1
	v_cmpx_ge_u32_e64 s20, v1
	s_cbranch_execz .LBB867_15
; %bb.14:
	v_dual_add_nc_u32 v1, s22, v24 :: v_dual_add_nc_u32 v6, s38, v24
	s_delay_alu instid0(VALU_DEP_1) | instskip(NEXT) | instid1(VALU_DEP_2)
	v_mul_lo_u32 v1, v1, s21
	v_mul_lo_u32 v6, v6, s23
	s_delay_alu instid0(VALU_DEP_1) | instskip(NEXT) | instid1(VALU_DEP_1)
	v_sub_nc_u32_e32 v1, v1, v6
	v_cmp_lt_u32_e64 s3, s39, v1
	s_and_b32 s42, s3, exec_lo
.LBB867_15:
	s_or_b32 exec_lo, exec_lo, s4
	v_dual_add_nc_u32 v1, s17, v25 :: v_dual_add_nc_u32 v6, s19, v25
	s_mov_b32 s5, exec_lo
	s_delay_alu instid0(VALU_DEP_1) | instskip(NEXT) | instid1(VALU_DEP_2)
	v_mul_lo_u32 v1, v1, s16
	v_mul_lo_u32 v6, v6, s18
	s_delay_alu instid0(VALU_DEP_1) | instskip(NEXT) | instid1(VALU_DEP_1)
	v_sub_nc_u32_e32 v1, v1, v6
	v_cmp_lt_u32_e64 s3, s20, v1
	v_cmpx_ge_u32_e64 s20, v1
	s_cbranch_execz .LBB867_17
; %bb.16:
	v_dual_add_nc_u32 v1, s22, v25 :: v_dual_add_nc_u32 v6, s38, v25
	s_delay_alu instid0(VALU_DEP_1) | instskip(NEXT) | instid1(VALU_DEP_2)
	v_mul_lo_u32 v1, v1, s21
	v_mul_lo_u32 v6, v6, s23
	s_delay_alu instid0(VALU_DEP_1) | instskip(NEXT) | instid1(VALU_DEP_1)
	v_sub_nc_u32_e32 v1, v1, v6
	v_cmp_lt_u32_e64 s4, s39, v1
	s_and_b32 s43, s4, exec_lo
.LBB867_17:
	s_or_b32 exec_lo, exec_lo, s5
	v_dual_add_nc_u32 v1, s17, v22 :: v_dual_add_nc_u32 v6, s19, v22
	s_mov_b32 s45, 0
	s_mov_b32 s44, 0
	s_mov_b32 s6, exec_lo
	s_delay_alu instid0(VALU_DEP_1) | instskip(SKIP_1) | instid1(VALU_DEP_1)
	v_mul_lo_u32 v1, v1, s16
	v_mul_lo_u32 v6, v6, s18
	v_sub_nc_u32_e32 v1, v1, v6
	s_delay_alu instid0(VALU_DEP_1)
	v_cmp_lt_u32_e64 s4, s20, v1
	;; [unrolled: 44-line block ×6, first 2 shown]
	v_cmpx_ge_u32_e64 s20, v1
	s_cbranch_execz .LBB867_35
; %bb.34:
	v_dual_add_nc_u32 v1, s22, v34 :: v_dual_add_nc_u32 v6, s38, v34
	s_delay_alu instid0(VALU_DEP_1) | instskip(NEXT) | instid1(VALU_DEP_2)
	v_mul_lo_u32 v1, v1, s21
	v_mul_lo_u32 v6, v6, s23
	s_delay_alu instid0(VALU_DEP_1) | instskip(NEXT) | instid1(VALU_DEP_1)
	v_sub_nc_u32_e32 v1, v1, v6
	v_cmp_lt_u32_e64 s13, s39, v1
	s_and_b32 s53, s13, exec_lo
.LBB867_35:
	s_or_b32 exec_lo, exec_lo, s54
	v_cndmask_b32_e64 v6, 0, 1, s0
	v_cndmask_b32_e64 v8, 0, 1, s3
	v_cndmask_b32_e64 v1, 0, 1, vcc_lo
	v_cndmask_b32_e64 v7, 0, 1, s1
	v_cndmask_b32_e64 v10, 0, 1, s5
	v_lshlrev_b16 v6, 8, v6
	v_lshlrev_b16 v8, 8, v8
	v_cndmask_b32_e64 v12, 0, 1, s7
	v_cndmask_b32_e64 v28, 0, 1, s9
	;; [unrolled: 1-line block ×3, first 2 shown]
	v_or_b32_e32 v1, v1, v6
	v_or_b32_e32 v6, v7, v8
	v_cndmask_b32_e64 v8, 0, 1, s42
	v_cndmask_b32_e64 v9, 0, 1, s4
	;; [unrolled: 1-line block ×4, first 2 shown]
	v_lshlrev_b32_e32 v6, 16, v6
	v_and_b32_e32 v1, 0xffff, v1
	v_cndmask_b32_e64 v38, 0, 1, s46
	v_cndmask_b32_e64 v41, 0, 1, s44
	;; [unrolled: 1-line block ×4, first 2 shown]
	v_or_b32_e32 v36, v1, v6
	v_lshlrev_b16 v1, 8, v10
	v_lshlrev_b16 v6, 8, v12
	;; [unrolled: 1-line block ×5, first 2 shown]
	v_cndmask_b32_e64 v11, 0, 1, s6
	v_cndmask_b32_e64 v30, 0, 1, s52
	;; [unrolled: 1-line block ×6, first 2 shown]
	v_lshlrev_b16 v28, 8, v44
	v_or_b32_e32 v8, v42, v8
	v_or_b32_e32 v1, v9, v1
	;; [unrolled: 1-line block ×4, first 2 shown]
	v_lshlrev_b16 v12, 8, v41
	v_lshlrev_b16 v13, 8, v38
	v_cndmask_b32_e64 v32, 0, 1, s50
	v_cndmask_b32_e64 v37, 0, 1, s47
	v_lshlrev_b16 v29, 8, v30
	v_or_b32_e32 v7, v7, v12
	v_or_b32_e32 v12, v40, v13
	;; [unrolled: 1-line block ×4, first 2 shown]
	v_lshlrev_b16 v28, 8, v33
	v_dual_lshlrev_b32 v10, 16, v10 :: v_dual_lshlrev_b32 v8, 16, v8
	v_and_b32_e32 v1, 0xffff, v1
	s_delay_alu instid0(VALU_DEP_4) | instskip(NEXT) | instid1(VALU_DEP_4)
	v_and_b32_e32 v11, 0xffff, v11
	v_or_b32_e32 v13, v37, v28
	v_or_b32_e32 v28, v32, v29
	v_and_b32_e32 v7, 0xffff, v7
	v_dual_lshlrev_b32 v12, 16, v12 :: v_dual_lshlrev_b32 v6, 16, v6
	s_delay_alu instid0(VALU_DEP_4) | instskip(NEXT) | instid1(VALU_DEP_4)
	v_and_b32_e32 v13, 0xffff, v13
	v_lshlrev_b32_e32 v28, 16, v28
	v_and_b32_e32 v9, 0xffff, v9
	v_cndmask_b32_e64 v39, 0, 1, s51
	v_cndmask_b32_e64 v43, 0, 1, s53
	v_or_b32_e32 v38, v1, v6
	v_or_b32_e32 v42, v11, v8
	;; [unrolled: 1-line block ×5, first 2 shown]
	s_and_b32 vcc_lo, exec_lo, s48
	s_add_co_i32 s5, s33, 0xd00
	s_cbranch_vccnz .LBB867_37
	s_branch .LBB867_114
.LBB867_36:
                                        ; implicit-def: $vgpr43
                                        ; implicit-def: $vgpr39
                                        ; implicit-def: $vgpr40
                                        ; implicit-def: $vgpr37
                                        ; implicit-def: $vgpr42
                                        ; implicit-def: $vgpr41
                                        ; implicit-def: $vgpr38
                                        ; implicit-def: $vgpr36
	s_add_co_i32 s5, s33, 0xd00
	s_cbranch_execz .LBB867_114
.LBB867_37:
	v_dual_mov_b32 v6, 0 :: v_dual_mov_b32 v1, 0
	s_mov_b32 s1, exec_lo
	v_cmpx_gt_u32_e64 s5, v15
	s_cbranch_execz .LBB867_41
; %bb.38:
	v_dual_add_nc_u32 v1, s17, v26 :: v_dual_add_nc_u32 v6, s19, v26
	s_mov_b32 s4, 0
	s_mov_b32 s3, exec_lo
	s_delay_alu instid0(VALU_DEP_1) | instskip(NEXT) | instid1(VALU_DEP_2)
	v_mul_lo_u32 v1, v1, s16
	v_mul_lo_u32 v6, v6, s18
	s_delay_alu instid0(VALU_DEP_1) | instskip(NEXT) | instid1(VALU_DEP_1)
	v_sub_nc_u32_e32 v1, v1, v6
	v_cmp_lt_u32_e32 vcc_lo, s20, v1
	v_cmpx_ge_u32_e64 s20, v1
	s_cbranch_execz .LBB867_40
; %bb.39:
	v_dual_add_nc_u32 v1, s22, v26 :: v_dual_add_nc_u32 v6, s38, v26
	s_delay_alu instid0(VALU_DEP_1) | instskip(NEXT) | instid1(VALU_DEP_2)
	v_mul_lo_u32 v1, v1, s21
	v_mul_lo_u32 v6, v6, s23
	s_delay_alu instid0(VALU_DEP_1) | instskip(NEXT) | instid1(VALU_DEP_1)
	v_sub_nc_u32_e32 v1, v1, v6
	v_cmp_lt_u32_e64 s0, s39, v1
	s_and_b32 s4, s0, exec_lo
.LBB867_40:
	s_or_b32 exec_lo, exec_lo, s3
	v_cndmask_b32_e64 v6, 0, 1, s4
	v_cndmask_b32_e64 v1, 0, 1, vcc_lo
.LBB867_41:
	s_or_b32 exec_lo, exec_lo, s1
	s_delay_alu instid0(VALU_DEP_2) | instskip(SKIP_1) | instid1(VALU_DEP_2)
	v_lshlrev_b16 v6, 8, v6
	v_lshlrev_b16 v13, 8, 0
                                        ; implicit-def: $vgpr9
                                        ; implicit-def: $vgpr11
                                        ; implicit-def: $vgpr8
                                        ; implicit-def: $vgpr12
	v_and_b32_e32 v10, 0xffff, v6
	v_add_nc_u32_e32 v7, 1, v15
                                        ; implicit-def: $vgpr6
	s_delay_alu instid0(VALU_DEP_2) | instskip(NEXT) | instid1(VALU_DEP_2)
	v_lshrrev_b32_e32 v28, 8, v10
	v_cmp_le_u32_e32 vcc_lo, s5, v7
                                        ; implicit-def: $vgpr7
	s_and_saveexec_b32 s0, vcc_lo
	s_delay_alu instid0(SALU_CYCLE_1)
	s_xor_b32 s0, exec_lo, s0
	s_cbranch_execz .LBB867_43
; %bb.42:
	v_lshlrev_b16 v6, 8, v28
	v_bitop3_b16 v7, 0, v13, 0xff bitop3:0xec
	v_and_b32_e32 v12, 0xff, v1
                                        ; implicit-def: $vgpr1
                                        ; implicit-def: $vgpr13
                                        ; implicit-def: $vgpr28
	v_mov_b32_e32 v9, 0
	s_delay_alu instid0(VALU_DEP_4) | instskip(SKIP_3) | instid1(VALU_DEP_4)
	v_bitop3_b16 v10, v10, v6, 0xff bitop3:0xec
	v_mov_b32_e32 v6, 0
	v_and_b32_e32 v8, 0xffff, v7
	v_and_b32_e32 v7, 0xffff, v7
	;; [unrolled: 1-line block ×3, first 2 shown]
                                        ; implicit-def: $vgpr10
.LBB867_43:
	s_and_not1_saveexec_b32 s1, s0
	s_cbranch_execz .LBB867_47
; %bb.44:
	v_dual_add_nc_u32 v6, s17, v27 :: v_dual_add_nc_u32 v7, s19, v27
	s_mov_b32 s3, 0
	s_mov_b32 s4, exec_lo
	s_delay_alu instid0(VALU_DEP_1) | instskip(NEXT) | instid1(VALU_DEP_2)
	v_mul_lo_u32 v6, v6, s16
	v_mul_lo_u32 v7, v7, s18
	s_delay_alu instid0(VALU_DEP_1) | instskip(NEXT) | instid1(VALU_DEP_1)
	v_sub_nc_u32_e32 v6, v6, v7
	v_cmp_lt_u32_e32 vcc_lo, s20, v6
	v_cmpx_ge_u32_e64 s20, v6
	s_cbranch_execz .LBB867_46
; %bb.45:
	v_dual_add_nc_u32 v6, s22, v27 :: v_dual_add_nc_u32 v7, s38, v27
	s_delay_alu instid0(VALU_DEP_1) | instskip(NEXT) | instid1(VALU_DEP_2)
	v_mul_lo_u32 v6, v6, s21
	v_mul_lo_u32 v7, v7, s23
	s_delay_alu instid0(VALU_DEP_1) | instskip(NEXT) | instid1(VALU_DEP_1)
	v_sub_nc_u32_e32 v6, v6, v7
	v_cmp_lt_u32_e64 s0, s39, v6
	s_and_b32 s3, s0, exec_lo
.LBB867_46:
	s_or_b32 exec_lo, exec_lo, s4
	v_cndmask_b32_e64 v6, 0, 1, vcc_lo
	v_lshlrev_b16 v7, 8, v28
	v_cndmask_b32_e64 v11, 0, 1, s3
	v_mov_b32_e32 v9, 0
	s_delay_alu instid0(VALU_DEP_4) | instskip(NEXT) | instid1(VALU_DEP_4)
	v_lshlrev_b16 v6, 8, v6
	v_bitop3_b16 v7, v10, v7, 0xff bitop3:0xec
	v_bitop3_b16 v10, 0, v13, 0xff bitop3:0xec
	s_delay_alu instid0(VALU_DEP_3) | instskip(NEXT) | instid1(VALU_DEP_3)
	v_bitop3_b16 v1, v1, v6, 0xff bitop3:0xec
	v_and_b32_e32 v7, 0xffff, v7
	v_mov_b32_e32 v6, 0
	s_delay_alu instid0(VALU_DEP_4) | instskip(NEXT) | instid1(VALU_DEP_4)
	v_and_b32_e32 v8, 0xffff, v10
	v_and_b32_e32 v12, 0xffff, v1
	s_delay_alu instid0(VALU_DEP_4)
	v_lshl_or_b32 v11, v11, 16, v7
	v_and_b32_e32 v7, 0xffff, v10
.LBB867_47:
	s_or_b32 exec_lo, exec_lo, s1
	s_delay_alu instid0(VALU_DEP_3) | instskip(NEXT) | instid1(VALU_DEP_1)
	v_dual_add_nc_u32 v1, 2, v15 :: v_dual_lshrrev_b32 v13, 8, v12
                                        ; implicit-def: $vgpr10
	v_cmp_le_u32_e32 vcc_lo, s5, v1
                                        ; implicit-def: $vgpr1
	s_and_saveexec_b32 s0, vcc_lo
	s_delay_alu instid0(SALU_CYCLE_1)
	s_xor_b32 s0, exec_lo, s0
	s_cbranch_execz .LBB867_49
; %bb.48:
	v_lshlrev_b16 v1, 8, v13
	v_and_b32_e32 v13, 0xff0000, v11
	v_perm_b32 v8, v8, v8, 0x3060504
	s_delay_alu instid0(VALU_DEP_3) | instskip(NEXT) | instid1(VALU_DEP_1)
	v_bitop3_b16 v1, v12, v1, 0xff bitop3:0xec
	v_and_b32_e32 v1, 0xffff, v1
	s_delay_alu instid0(VALU_DEP_1)
	v_and_or_b32 v10, 0xff000000, v12, v1
	v_perm_b32 v1, v11, v13, 0x3020504
                                        ; implicit-def: $vgpr13
                                        ; implicit-def: $vgpr12
                                        ; implicit-def: $vgpr11
.LBB867_49:
	s_and_not1_saveexec_b32 s1, s0
	s_cbranch_execz .LBB867_53
; %bb.50:
	v_dual_add_nc_u32 v1, s17, v24 :: v_dual_add_nc_u32 v10, s19, v24
	s_mov_b32 s3, 0
	s_mov_b32 s4, exec_lo
	s_delay_alu instid0(VALU_DEP_1) | instskip(NEXT) | instid1(VALU_DEP_2)
	v_mul_lo_u32 v1, v1, s16
	v_mul_lo_u32 v10, v10, s18
	s_delay_alu instid0(VALU_DEP_1) | instskip(NEXT) | instid1(VALU_DEP_1)
	v_sub_nc_u32_e32 v1, v1, v10
	v_cmp_lt_u32_e32 vcc_lo, s20, v1
	v_cmpx_ge_u32_e64 s20, v1
	s_cbranch_execz .LBB867_52
; %bb.51:
	v_dual_add_nc_u32 v1, s22, v24 :: v_dual_add_nc_u32 v10, s38, v24
	s_delay_alu instid0(VALU_DEP_1) | instskip(NEXT) | instid1(VALU_DEP_2)
	v_mul_lo_u32 v1, v1, s21
	v_mul_lo_u32 v10, v10, s23
	s_delay_alu instid0(VALU_DEP_1) | instskip(NEXT) | instid1(VALU_DEP_1)
	v_sub_nc_u32_e32 v1, v1, v10
	v_cmp_lt_u32_e64 s0, s39, v1
	s_and_b32 s3, s0, exec_lo
.LBB867_52:
	s_or_b32 exec_lo, exec_lo, s4
	v_dual_lshrrev_b32 v1, 24, v12 :: v_dual_lshrrev_b32 v29, 8, v11
	v_cndmask_b32_e64 v10, 0, 1, s3
	v_cndmask_b32_e64 v28, 0, 1, vcc_lo
	v_lshlrev_b16 v13, 8, v13
	s_delay_alu instid0(VALU_DEP_4)
	v_lshlrev_b16 v1, 8, v1
	v_lshrrev_b32_e32 v30, 16, v11
	v_lshlrev_b16 v10, 8, v10
	v_lshlrev_b16 v29, 8, v29
	v_bitop3_b16 v12, v12, v13, 0xff bitop3:0xec
	v_or_b32_e32 v1, v28, v1
	s_delay_alu instid0(VALU_DEP_4) | instskip(NEXT) | instid1(VALU_DEP_4)
	v_bitop3_b16 v10, v30, v10, 0xff bitop3:0xec
	v_bitop3_b16 v11, v11, v29, 0xff bitop3:0xec
	s_delay_alu instid0(VALU_DEP_4) | instskip(NEXT) | instid1(VALU_DEP_3)
	v_and_b32_e32 v12, 0xffff, v12
	v_dual_lshlrev_b32 v1, 16, v1 :: v_dual_lshlrev_b32 v13, 16, v10
	s_delay_alu instid0(VALU_DEP_3) | instskip(NEXT) | instid1(VALU_DEP_2)
	v_and_b32_e32 v11, 0xffff, v11
	v_or_b32_e32 v10, v12, v1
	s_delay_alu instid0(VALU_DEP_2)
	v_or_b32_e32 v1, v11, v13
.LBB867_53:
	s_or_b32 exec_lo, exec_lo, s1
	v_dual_add_nc_u32 v12, 3, v15 :: v_dual_lshrrev_b32 v13, 24, v9
	v_lshrrev_b32_e32 v11, 16, v9
                                        ; implicit-def: $vgpr36
	s_delay_alu instid0(VALU_DEP_2) | instskip(SKIP_2) | instid1(SALU_CYCLE_1)
	v_cmp_le_u32_e32 vcc_lo, s5, v12
	v_lshrrev_b32_e32 v12, 8, v9
                                        ; implicit-def: $vgpr9
	s_and_saveexec_b32 s0, vcc_lo
	s_xor_b32 s0, exec_lo, s0
	s_cbranch_execz .LBB867_55
; %bb.54:
	v_lshlrev_b16 v9, 8, v13
	v_lshlrev_b16 v12, 8, v12
	v_perm_b32 v8, v8, v8, 0x3060504
	v_perm_b32 v7, v7, v7, 0x3060504
                                        ; implicit-def: $vgpr13
	s_delay_alu instid0(VALU_DEP_4) | instskip(SKIP_2) | instid1(VALU_DEP_3)
	v_bitop3_b16 v9, v11, v9, 0xff bitop3:0xec
	v_and_b32_e32 v11, 0xff0000, v10
	v_and_b32_e32 v12, 0xffff, v12
	v_lshlrev_b32_e32 v9, 16, v9
	s_delay_alu instid0(VALU_DEP_3) | instskip(NEXT) | instid1(VALU_DEP_2)
	v_perm_b32 v36, v10, v11, 0x3020504
                                        ; implicit-def: $vgpr10
                                        ; implicit-def: $vgpr11
	v_or_b32_e32 v9, v12, v9
                                        ; implicit-def: $vgpr12
.LBB867_55:
	s_and_not1_saveexec_b32 s1, s0
	s_cbranch_execz .LBB867_59
; %bb.56:
	v_dual_add_nc_u32 v9, s17, v25 :: v_dual_add_nc_u32 v28, s19, v25
	s_mov_b32 s3, 0
	s_mov_b32 s4, exec_lo
	s_delay_alu instid0(VALU_DEP_1) | instskip(NEXT) | instid1(VALU_DEP_2)
	v_mul_lo_u32 v9, v9, s16
	v_mul_lo_u32 v28, v28, s18
	s_delay_alu instid0(VALU_DEP_1) | instskip(NEXT) | instid1(VALU_DEP_1)
	v_sub_nc_u32_e32 v9, v9, v28
	v_cmp_lt_u32_e32 vcc_lo, s20, v9
	v_cmpx_ge_u32_e64 s20, v9
	s_cbranch_execz .LBB867_58
; %bb.57:
	v_dual_add_nc_u32 v9, s22, v25 :: v_dual_add_nc_u32 v28, s38, v25
	s_delay_alu instid0(VALU_DEP_1) | instskip(NEXT) | instid1(VALU_DEP_2)
	v_mul_lo_u32 v9, v9, s21
	v_mul_lo_u32 v28, v28, s23
	s_delay_alu instid0(VALU_DEP_1) | instskip(NEXT) | instid1(VALU_DEP_1)
	v_sub_nc_u32_e32 v9, v9, v28
	v_cmp_lt_u32_e64 s0, s39, v9
	s_and_b32 s3, s0, exec_lo
.LBB867_58:
	s_or_b32 exec_lo, exec_lo, s4
	v_cndmask_b32_e64 v9, 0, 1, vcc_lo
	v_dual_lshrrev_b32 v28, 8, v10 :: v_dual_lshrrev_b32 v30, 16, v10
	v_cndmask_b32_e64 v29, 0, 1, s3
	v_lshlrev_b16 v13, 8, v13
	s_delay_alu instid0(VALU_DEP_4) | instskip(NEXT) | instid1(VALU_DEP_4)
	v_lshlrev_b16 v9, 8, v9
	v_lshlrev_b16 v28, 8, v28
	;; [unrolled: 1-line block ×3, first 2 shown]
	s_delay_alu instid0(VALU_DEP_4) | instskip(NEXT) | instid1(VALU_DEP_4)
	v_bitop3_b16 v11, v11, v13, 0xff bitop3:0xec
	v_bitop3_b16 v9, v30, v9, 0xff bitop3:0xec
	s_delay_alu instid0(VALU_DEP_4) | instskip(NEXT) | instid1(VALU_DEP_3)
	v_bitop3_b16 v10, v10, v28, 0xff bitop3:0xec
	v_dual_lshlrev_b32 v11, 16, v11 :: v_dual_bitop2_b32 v12, v29, v12 bitop3:0x54
	s_delay_alu instid0(VALU_DEP_3) | instskip(NEXT) | instid1(VALU_DEP_3)
	v_lshlrev_b32_e32 v9, 16, v9
	v_and_b32_e32 v10, 0xffff, v10
	s_delay_alu instid0(VALU_DEP_3) | instskip(NEXT) | instid1(VALU_DEP_2)
	v_and_b32_e32 v12, 0xffff, v12
	v_or_b32_e32 v36, v10, v9
	s_delay_alu instid0(VALU_DEP_2)
	v_or_b32_e32 v9, v12, v11
.LBB867_59:
	s_or_b32 exec_lo, exec_lo, s1
	v_dual_add_nc_u32 v10, 4, v15 :: v_dual_lshrrev_b32 v28, 8, v8
	v_dual_lshrrev_b32 v11, 16, v8 :: v_dual_lshrrev_b32 v29, 24, v8
	s_delay_alu instid0(VALU_DEP_3) | instskip(NEXT) | instid1(VALU_DEP_3)
	v_dual_lshrrev_b32 v13, 24, v9 :: v_dual_lshrrev_b32 v12, 16, v9
	v_cmp_le_u32_e32 vcc_lo, s5, v10
                                        ; implicit-def: $vgpr8
                                        ; implicit-def: $vgpr10
	s_and_saveexec_b32 s0, vcc_lo
	s_delay_alu instid0(SALU_CYCLE_1)
	s_xor_b32 s0, exec_lo, s0
	s_cbranch_execz .LBB867_61
; %bb.60:
	v_lshlrev_b16 v8, 8, v29
	v_lshlrev_b16 v10, 8, v28
	;; [unrolled: 1-line block ×3, first 2 shown]
	v_perm_b32 v7, v7, v7, 0x3060504
                                        ; implicit-def: $vgpr28
                                        ; implicit-def: $vgpr29
	s_delay_alu instid0(VALU_DEP_4) | instskip(NEXT) | instid1(VALU_DEP_4)
	v_bitop3_b16 v8, v11, v8, 0xff bitop3:0xec
	v_and_b32_e32 v10, 0xffff, v10
	s_delay_alu instid0(VALU_DEP_4) | instskip(NEXT) | instid1(VALU_DEP_3)
	v_bitop3_b16 v11, v12, v13, 0xff bitop3:0xec
                                        ; implicit-def: $vgpr13
	v_lshlrev_b32_e32 v12, 16, v8
	s_delay_alu instid0(VALU_DEP_2) | instskip(NEXT) | instid1(VALU_DEP_2)
	v_perm_b32 v8, v11, v9, 0x5040c00
                                        ; implicit-def: $vgpr9
                                        ; implicit-def: $vgpr11
	v_or_b32_e32 v10, v10, v12
                                        ; implicit-def: $vgpr12
.LBB867_61:
	s_and_not1_saveexec_b32 s1, s0
	s_cbranch_execz .LBB867_65
; %bb.62:
	v_dual_add_nc_u32 v8, s17, v22 :: v_dual_add_nc_u32 v10, s19, v22
	s_mov_b32 s3, 0
	s_mov_b32 s4, exec_lo
	s_delay_alu instid0(VALU_DEP_1) | instskip(NEXT) | instid1(VALU_DEP_2)
	v_mul_lo_u32 v8, v8, s16
	v_mul_lo_u32 v10, v10, s18
	s_delay_alu instid0(VALU_DEP_1) | instskip(NEXT) | instid1(VALU_DEP_1)
	v_sub_nc_u32_e32 v8, v8, v10
	v_cmp_lt_u32_e32 vcc_lo, s20, v8
	v_cmpx_ge_u32_e64 s20, v8
	s_cbranch_execz .LBB867_64
; %bb.63:
	v_dual_add_nc_u32 v8, s22, v22 :: v_dual_add_nc_u32 v10, s38, v22
	s_delay_alu instid0(VALU_DEP_1) | instskip(NEXT) | instid1(VALU_DEP_2)
	v_mul_lo_u32 v8, v8, s21
	v_mul_lo_u32 v10, v10, s23
	s_delay_alu instid0(VALU_DEP_1) | instskip(NEXT) | instid1(VALU_DEP_1)
	v_sub_nc_u32_e32 v8, v8, v10
	v_cmp_lt_u32_e64 s0, s39, v8
	s_and_b32 s3, s0, exec_lo
.LBB867_64:
	s_or_b32 exec_lo, exec_lo, s4
	v_cndmask_b32_e64 v8, 0, 1, s3
	v_cndmask_b32_e64 v10, 0, 1, vcc_lo
	v_lshlrev_b16 v29, 8, v29
	v_lshlrev_b16 v28, 8, v28
	;; [unrolled: 1-line block ×4, first 2 shown]
	s_delay_alu instid0(VALU_DEP_4) | instskip(NEXT) | instid1(VALU_DEP_4)
	v_bitop3_b16 v11, v11, v29, 0xff bitop3:0xec
	v_or_b32_e32 v10, v10, v28
	s_delay_alu instid0(VALU_DEP_4) | instskip(NEXT) | instid1(VALU_DEP_4)
	v_bitop3_b16 v12, v12, v13, 0xff bitop3:0xec
	v_bitop3_b16 v8, v9, v8, 0xff bitop3:0xec
	s_delay_alu instid0(VALU_DEP_4) | instskip(NEXT) | instid1(VALU_DEP_4)
	v_lshlrev_b32_e32 v9, 16, v11
	v_and_b32_e32 v10, 0xffff, v10
	s_delay_alu instid0(VALU_DEP_4) | instskip(NEXT) | instid1(VALU_DEP_4)
	v_lshlrev_b32_e32 v11, 16, v12
	v_and_b32_e32 v8, 0xffff, v8
	s_delay_alu instid0(VALU_DEP_3) | instskip(NEXT) | instid1(VALU_DEP_2)
	v_or_b32_e32 v10, v10, v9
	v_or_b32_e32 v8, v8, v11
.LBB867_65:
	s_or_b32 exec_lo, exec_lo, s1
	s_delay_alu instid0(VALU_DEP_1) | instskip(NEXT) | instid1(VALU_DEP_2)
	v_dual_add_nc_u32 v9, 5, v15 :: v_dual_lshrrev_b32 v12, 16, v10
	v_dual_lshrrev_b32 v13, 24, v10 :: v_dual_lshrrev_b32 v28, 8, v8
                                        ; implicit-def: $vgpr11
	s_delay_alu instid0(VALU_DEP_2) | instskip(SKIP_1) | instid1(SALU_CYCLE_1)
	v_cmp_le_u32_e32 vcc_lo, s5, v9
                                        ; implicit-def: $vgpr9
	s_and_saveexec_b32 s0, vcc_lo
	s_xor_b32 s0, exec_lo, s0
	s_cbranch_execz .LBB867_67
; %bb.66:
	v_lshlrev_b16 v9, 8, v28
	v_lshlrev_b16 v11, 8, v13
	v_perm_b32 v7, v7, v7, 0x3060504
                                        ; implicit-def: $vgpr13
                                        ; implicit-def: $vgpr28
	s_delay_alu instid0(VALU_DEP_3) | instskip(NEXT) | instid1(VALU_DEP_3)
	v_bitop3_b16 v9, v8, v9, 0xff bitop3:0xec
	v_bitop3_b16 v11, v12, v11, 0xff bitop3:0xec
                                        ; implicit-def: $vgpr12
	s_delay_alu instid0(VALU_DEP_2) | instskip(NEXT) | instid1(VALU_DEP_2)
	v_and_b32_e32 v9, 0xffff, v9
	v_perm_b32 v11, v11, v10, 0x5040c00
                                        ; implicit-def: $vgpr10
	s_delay_alu instid0(VALU_DEP_2)
	v_and_or_b32 v9, 0xff000000, v8, v9
                                        ; implicit-def: $vgpr8
.LBB867_67:
	s_and_not1_saveexec_b32 s1, s0
	s_cbranch_execz .LBB867_71
; %bb.68:
	v_dual_add_nc_u32 v9, s17, v23 :: v_dual_add_nc_u32 v11, s19, v23
	s_mov_b32 s3, 0
	s_mov_b32 s4, exec_lo
	s_delay_alu instid0(VALU_DEP_1) | instskip(NEXT) | instid1(VALU_DEP_2)
	v_mul_lo_u32 v9, v9, s16
	v_mul_lo_u32 v11, v11, s18
	s_delay_alu instid0(VALU_DEP_1) | instskip(NEXT) | instid1(VALU_DEP_1)
	v_sub_nc_u32_e32 v9, v9, v11
	v_cmp_lt_u32_e32 vcc_lo, s20, v9
	v_cmpx_ge_u32_e64 s20, v9
	s_cbranch_execz .LBB867_70
; %bb.69:
	v_dual_add_nc_u32 v9, s22, v23 :: v_dual_add_nc_u32 v11, s38, v23
	s_delay_alu instid0(VALU_DEP_1) | instskip(NEXT) | instid1(VALU_DEP_2)
	v_mul_lo_u32 v9, v9, s21
	v_mul_lo_u32 v11, v11, s23
	s_delay_alu instid0(VALU_DEP_1) | instskip(NEXT) | instid1(VALU_DEP_1)
	v_sub_nc_u32_e32 v9, v9, v11
	v_cmp_lt_u32_e64 s0, s39, v9
	s_and_b32 s3, s0, exec_lo
.LBB867_70:
	s_or_b32 exec_lo, exec_lo, s4
	v_cndmask_b32_e64 v9, 0, 1, vcc_lo
	v_lshrrev_b32_e32 v11, 24, v8
	v_cndmask_b32_e64 v29, 0, 1, s3
	v_lshlrev_b16 v13, 8, v13
	v_lshlrev_b16 v28, 8, v28
	;; [unrolled: 1-line block ×4, first 2 shown]
	s_delay_alu instid0(VALU_DEP_4) | instskip(NEXT) | instid1(VALU_DEP_4)
	v_bitop3_b16 v12, v12, v13, 0xff bitop3:0xec
	v_bitop3_b16 v8, v8, v28, 0xff bitop3:0xec
	s_delay_alu instid0(VALU_DEP_4) | instskip(NEXT) | instid1(VALU_DEP_3)
	v_bitop3_b16 v9, v10, v9, 0xff bitop3:0xec
	v_dual_lshlrev_b32 v11, 16, v12 :: v_dual_bitop2_b32 v10, v29, v11 bitop3:0x54
	s_delay_alu instid0(VALU_DEP_3) | instskip(NEXT) | instid1(VALU_DEP_3)
	v_and_b32_e32 v8, 0xffff, v8
	v_and_b32_e32 v9, 0xffff, v9
	s_delay_alu instid0(VALU_DEP_1) | instskip(NEXT) | instid1(VALU_DEP_1)
	v_dual_lshlrev_b32 v10, 16, v10 :: v_dual_bitop2_b32 v11, v9, v11 bitop3:0x54
	v_or_b32_e32 v9, v8, v10
.LBB867_71:
	s_or_b32 exec_lo, exec_lo, s1
	v_add_nc_u32_e32 v8, 6, v15
	s_delay_alu instid0(VALU_DEP_3) | instskip(NEXT) | instid1(VALU_DEP_2)
	v_lshrrev_b32_e32 v10, 8, v11
                                        ; implicit-def: $vgpr37
	v_cmp_le_u32_e32 vcc_lo, s5, v8
                                        ; implicit-def: $vgpr8
	s_and_saveexec_b32 s0, vcc_lo
	s_delay_alu instid0(SALU_CYCLE_1)
	s_xor_b32 s0, exec_lo, s0
	s_cbranch_execz .LBB867_73
; %bb.72:
	v_lshlrev_b16 v8, 8, v10
	v_and_b32_e32 v10, 0xff0000, v9
	v_perm_b32 v7, v7, v7, 0x3060504
	s_delay_alu instid0(VALU_DEP_3) | instskip(NEXT) | instid1(VALU_DEP_3)
	v_bitop3_b16 v8, v11, v8, 0xff bitop3:0xec
	v_perm_b32 v37, v9, v10, 0x3020504
                                        ; implicit-def: $vgpr10
                                        ; implicit-def: $vgpr9
	s_delay_alu instid0(VALU_DEP_2) | instskip(NEXT) | instid1(VALU_DEP_1)
	v_and_b32_e32 v8, 0xffff, v8
	v_and_or_b32 v8, 0xff000000, v11, v8
                                        ; implicit-def: $vgpr11
.LBB867_73:
	s_and_not1_saveexec_b32 s1, s0
	s_cbranch_execz .LBB867_77
; %bb.74:
	v_dual_add_nc_u32 v8, s17, v20 :: v_dual_add_nc_u32 v12, s19, v20
	s_mov_b32 s3, 0
	s_mov_b32 s4, exec_lo
	s_delay_alu instid0(VALU_DEP_1) | instskip(NEXT) | instid1(VALU_DEP_2)
	v_mul_lo_u32 v8, v8, s16
	v_mul_lo_u32 v12, v12, s18
	s_delay_alu instid0(VALU_DEP_1) | instskip(NEXT) | instid1(VALU_DEP_1)
	v_sub_nc_u32_e32 v8, v8, v12
	v_cmp_lt_u32_e32 vcc_lo, s20, v8
	v_cmpx_ge_u32_e64 s20, v8
	s_cbranch_execz .LBB867_76
; %bb.75:
	v_dual_add_nc_u32 v8, s22, v20 :: v_dual_add_nc_u32 v12, s38, v20
	s_delay_alu instid0(VALU_DEP_1) | instskip(NEXT) | instid1(VALU_DEP_2)
	v_mul_lo_u32 v8, v8, s21
	v_mul_lo_u32 v12, v12, s23
	s_delay_alu instid0(VALU_DEP_1) | instskip(NEXT) | instid1(VALU_DEP_1)
	v_sub_nc_u32_e32 v8, v8, v12
	v_cmp_lt_u32_e64 s0, s39, v8
	s_and_b32 s3, s0, exec_lo
.LBB867_76:
	s_or_b32 exec_lo, exec_lo, s4
	v_dual_lshrrev_b32 v8, 24, v11 :: v_dual_lshrrev_b32 v28, 8, v9
	v_cndmask_b32_e64 v12, 0, 1, s3
	v_cndmask_b32_e64 v13, 0, 1, vcc_lo
	v_lshlrev_b16 v10, 8, v10
	s_delay_alu instid0(VALU_DEP_4)
	v_lshlrev_b16 v8, 8, v8
	v_lshrrev_b32_e32 v29, 16, v9
	v_lshlrev_b16 v12, 8, v12
	v_lshlrev_b16 v28, 8, v28
	v_bitop3_b16 v10, v11, v10, 0xff bitop3:0xec
	v_or_b32_e32 v8, v13, v8
	s_delay_alu instid0(VALU_DEP_4) | instskip(NEXT) | instid1(VALU_DEP_4)
	v_bitop3_b16 v11, v29, v12, 0xff bitop3:0xec
	v_bitop3_b16 v9, v9, v28, 0xff bitop3:0xec
	s_delay_alu instid0(VALU_DEP_4) | instskip(NEXT) | instid1(VALU_DEP_3)
	v_and_b32_e32 v10, 0xffff, v10
	v_dual_lshlrev_b32 v8, 16, v8 :: v_dual_lshlrev_b32 v11, 16, v11
	s_delay_alu instid0(VALU_DEP_3) | instskip(NEXT) | instid1(VALU_DEP_2)
	v_and_b32_e32 v9, 0xffff, v9
	v_or_b32_e32 v8, v10, v8
	s_delay_alu instid0(VALU_DEP_2)
	v_or_b32_e32 v37, v9, v11
.LBB867_77:
	s_or_b32 exec_lo, exec_lo, s1
	v_add_nc_u32_e32 v11, 7, v15
	v_dual_lshrrev_b32 v9, 8, v7 :: v_dual_lshrrev_b32 v10, 16, v7
                                        ; implicit-def: $vgpr38
	s_delay_alu instid0(VALU_DEP_2) | instskip(SKIP_2) | instid1(SALU_CYCLE_1)
	v_cmp_le_u32_e32 vcc_lo, s5, v11
	v_lshrrev_b32_e32 v11, 24, v7
                                        ; implicit-def: $vgpr7
	s_and_saveexec_b32 s0, vcc_lo
	s_xor_b32 s0, exec_lo, s0
	s_cbranch_execz .LBB867_79
; %bb.78:
	s_delay_alu instid0(VALU_DEP_1) | instskip(SKIP_1) | instid1(VALU_DEP_2)
	v_lshlrev_b16 v7, 8, v11
	v_lshlrev_b16 v9, 8, v9
                                        ; implicit-def: $vgpr11
	v_bitop3_b16 v7, v10, v7, 0xff bitop3:0xec
	v_and_b32_e32 v10, 0xff0000, v8
	s_delay_alu instid0(VALU_DEP_3) | instskip(NEXT) | instid1(VALU_DEP_3)
	v_and_b32_e32 v9, 0xffff, v9
	v_lshlrev_b32_e32 v7, 16, v7
	s_delay_alu instid0(VALU_DEP_3) | instskip(NEXT) | instid1(VALU_DEP_2)
	v_perm_b32 v38, v8, v10, 0x3020504
                                        ; implicit-def: $vgpr8
                                        ; implicit-def: $vgpr10
	v_or_b32_e32 v7, v9, v7
                                        ; implicit-def: $vgpr9
.LBB867_79:
	s_and_not1_saveexec_b32 s1, s0
	s_cbranch_execz .LBB867_83
; %bb.80:
	v_dual_add_nc_u32 v7, s17, v21 :: v_dual_add_nc_u32 v12, s19, v21
	s_mov_b32 s3, 0
	s_mov_b32 s4, exec_lo
	s_delay_alu instid0(VALU_DEP_1) | instskip(NEXT) | instid1(VALU_DEP_2)
	v_mul_lo_u32 v7, v7, s16
	v_mul_lo_u32 v12, v12, s18
	s_delay_alu instid0(VALU_DEP_1) | instskip(NEXT) | instid1(VALU_DEP_1)
	v_sub_nc_u32_e32 v7, v7, v12
	v_cmp_lt_u32_e32 vcc_lo, s20, v7
	v_cmpx_ge_u32_e64 s20, v7
	s_cbranch_execz .LBB867_82
; %bb.81:
	v_dual_add_nc_u32 v7, s22, v21 :: v_dual_add_nc_u32 v12, s38, v21
	s_delay_alu instid0(VALU_DEP_1) | instskip(NEXT) | instid1(VALU_DEP_2)
	v_mul_lo_u32 v7, v7, s21
	v_mul_lo_u32 v12, v12, s23
	s_delay_alu instid0(VALU_DEP_1) | instskip(NEXT) | instid1(VALU_DEP_1)
	v_sub_nc_u32_e32 v7, v7, v12
	v_cmp_lt_u32_e64 s0, s39, v7
	s_and_b32 s3, s0, exec_lo
.LBB867_82:
	s_or_b32 exec_lo, exec_lo, s4
	v_cndmask_b32_e64 v7, 0, 1, vcc_lo
	v_dual_lshrrev_b32 v12, 8, v8 :: v_dual_lshrrev_b32 v28, 16, v8
	v_cndmask_b32_e64 v13, 0, 1, s3
	v_lshlrev_b16 v11, 8, v11
	s_delay_alu instid0(VALU_DEP_4) | instskip(NEXT) | instid1(VALU_DEP_4)
	v_lshlrev_b16 v7, 8, v7
	v_lshlrev_b16 v12, 8, v12
	;; [unrolled: 1-line block ×3, first 2 shown]
	s_delay_alu instid0(VALU_DEP_4) | instskip(NEXT) | instid1(VALU_DEP_4)
	v_bitop3_b16 v10, v10, v11, 0xff bitop3:0xec
	v_bitop3_b16 v7, v28, v7, 0xff bitop3:0xec
	s_delay_alu instid0(VALU_DEP_4) | instskip(NEXT) | instid1(VALU_DEP_3)
	v_bitop3_b16 v8, v8, v12, 0xff bitop3:0xec
	v_dual_lshlrev_b32 v10, 16, v10 :: v_dual_bitop2_b32 v9, v13, v9 bitop3:0x54
	s_delay_alu instid0(VALU_DEP_3) | instskip(NEXT) | instid1(VALU_DEP_3)
	v_lshlrev_b32_e32 v7, 16, v7
	v_and_b32_e32 v8, 0xffff, v8
	s_delay_alu instid0(VALU_DEP_3) | instskip(NEXT) | instid1(VALU_DEP_2)
	v_and_b32_e32 v9, 0xffff, v9
	v_or_b32_e32 v38, v8, v7
	s_delay_alu instid0(VALU_DEP_2)
	v_or_b32_e32 v7, v9, v10
.LBB867_83:
	s_or_b32 exec_lo, exec_lo, s1
	v_dual_add_nc_u32 v8, 8, v15 :: v_dual_lshrrev_b32 v13, 24, v6
	s_delay_alu instid0(VALU_DEP_2) | instskip(SKIP_1) | instid1(VALU_DEP_3)
	v_dual_lshrrev_b32 v9, 16, v7 :: v_dual_lshrrev_b32 v10, 24, v7
	v_dual_lshrrev_b32 v11, 16, v6 :: v_dual_lshrrev_b32 v12, 8, v6
	v_cmp_le_u32_e32 vcc_lo, s5, v8
                                        ; implicit-def: $vgpr6
                                        ; implicit-def: $vgpr8
	s_and_saveexec_b32 s0, vcc_lo
	s_delay_alu instid0(SALU_CYCLE_1)
	s_xor_b32 s0, exec_lo, s0
	s_cbranch_execz .LBB867_85
; %bb.84:
	v_lshlrev_b16 v6, 8, v13
	v_lshlrev_b16 v8, 8, v12
	;; [unrolled: 1-line block ×3, first 2 shown]
	v_perm_b32 v1, v1, v1, 0x3060504
                                        ; implicit-def: $vgpr13
                                        ; implicit-def: $vgpr12
	s_delay_alu instid0(VALU_DEP_4) | instskip(NEXT) | instid1(VALU_DEP_4)
	v_bitop3_b16 v6, v11, v6, 0xff bitop3:0xec
	v_and_b32_e32 v8, 0xffff, v8
	s_delay_alu instid0(VALU_DEP_4) | instskip(NEXT) | instid1(VALU_DEP_3)
	v_bitop3_b16 v9, v9, v10, 0xff bitop3:0xec
                                        ; implicit-def: $vgpr10
                                        ; implicit-def: $vgpr11
	v_lshlrev_b32_e32 v6, 16, v6
	s_delay_alu instid0(VALU_DEP_1) | instskip(NEXT) | instid1(VALU_DEP_3)
	v_or_b32_e32 v8, v8, v6
	v_perm_b32 v6, v9, v7, 0x5040c00
                                        ; implicit-def: $vgpr7
                                        ; implicit-def: $vgpr9
.LBB867_85:
	s_and_not1_saveexec_b32 s1, s0
	s_cbranch_execz .LBB867_89
; %bb.86:
	v_dual_add_nc_u32 v6, s17, v18 :: v_dual_add_nc_u32 v8, s19, v18
	s_mov_b32 s3, 0
	s_mov_b32 s4, exec_lo
	s_delay_alu instid0(VALU_DEP_1) | instskip(NEXT) | instid1(VALU_DEP_2)
	v_mul_lo_u32 v6, v6, s16
	v_mul_lo_u32 v8, v8, s18
	s_delay_alu instid0(VALU_DEP_1) | instskip(NEXT) | instid1(VALU_DEP_1)
	v_sub_nc_u32_e32 v6, v6, v8
	v_cmp_lt_u32_e32 vcc_lo, s20, v6
	v_cmpx_ge_u32_e64 s20, v6
	s_cbranch_execz .LBB867_88
; %bb.87:
	v_dual_add_nc_u32 v6, s22, v18 :: v_dual_add_nc_u32 v8, s38, v18
	s_delay_alu instid0(VALU_DEP_1) | instskip(NEXT) | instid1(VALU_DEP_2)
	v_mul_lo_u32 v6, v6, s21
	v_mul_lo_u32 v8, v8, s23
	s_delay_alu instid0(VALU_DEP_1) | instskip(NEXT) | instid1(VALU_DEP_1)
	v_sub_nc_u32_e32 v6, v6, v8
	v_cmp_lt_u32_e64 s0, s39, v6
	s_and_b32 s3, s0, exec_lo
.LBB867_88:
	s_or_b32 exec_lo, exec_lo, s4
	v_cndmask_b32_e64 v6, 0, 1, s3
	v_cndmask_b32_e64 v8, 0, 1, vcc_lo
	v_lshlrev_b16 v13, 8, v13
	v_lshlrev_b16 v12, 8, v12
	;; [unrolled: 1-line block ×4, first 2 shown]
	s_delay_alu instid0(VALU_DEP_4) | instskip(NEXT) | instid1(VALU_DEP_4)
	v_bitop3_b16 v11, v11, v13, 0xff bitop3:0xec
	v_or_b32_e32 v8, v8, v12
	s_delay_alu instid0(VALU_DEP_4) | instskip(NEXT) | instid1(VALU_DEP_4)
	v_bitop3_b16 v9, v9, v10, 0xff bitop3:0xec
	v_bitop3_b16 v6, v7, v6, 0xff bitop3:0xec
	s_delay_alu instid0(VALU_DEP_4) | instskip(NEXT) | instid1(VALU_DEP_4)
	v_lshlrev_b32_e32 v7, 16, v11
	v_and_b32_e32 v8, 0xffff, v8
	s_delay_alu instid0(VALU_DEP_4) | instskip(NEXT) | instid1(VALU_DEP_4)
	v_lshlrev_b32_e32 v9, 16, v9
	v_and_b32_e32 v6, 0xffff, v6
	s_delay_alu instid0(VALU_DEP_3) | instskip(NEXT) | instid1(VALU_DEP_2)
	v_or_b32_e32 v8, v8, v7
	v_or_b32_e32 v6, v6, v9
.LBB867_89:
	s_or_b32 exec_lo, exec_lo, s1
	s_delay_alu instid0(VALU_DEP_1) | instskip(NEXT) | instid1(VALU_DEP_3)
	v_dual_add_nc_u32 v7, 9, v15 :: v_dual_lshrrev_b32 v11, 8, v6
	v_dual_lshrrev_b32 v12, 24, v8 :: v_dual_lshrrev_b32 v10, 16, v8
                                        ; implicit-def: $vgpr9
	s_delay_alu instid0(VALU_DEP_2) | instskip(SKIP_1) | instid1(SALU_CYCLE_1)
	v_cmp_le_u32_e32 vcc_lo, s5, v7
                                        ; implicit-def: $vgpr7
	s_and_saveexec_b32 s0, vcc_lo
	s_xor_b32 s0, exec_lo, s0
	s_cbranch_execz .LBB867_91
; %bb.90:
	v_lshlrev_b16 v7, 8, v11
	v_lshlrev_b16 v9, 8, v12
	v_perm_b32 v1, v1, v1, 0x3060504
                                        ; implicit-def: $vgpr11
                                        ; implicit-def: $vgpr12
	s_delay_alu instid0(VALU_DEP_3) | instskip(NEXT) | instid1(VALU_DEP_3)
	v_bitop3_b16 v7, v6, v7, 0xff bitop3:0xec
	v_bitop3_b16 v9, v10, v9, 0xff bitop3:0xec
                                        ; implicit-def: $vgpr10
	s_delay_alu instid0(VALU_DEP_2) | instskip(NEXT) | instid1(VALU_DEP_2)
	v_and_b32_e32 v7, 0xffff, v7
	v_perm_b32 v9, v9, v8, 0x5040c00
                                        ; implicit-def: $vgpr8
	s_delay_alu instid0(VALU_DEP_2)
	v_and_or_b32 v7, 0xff000000, v6, v7
                                        ; implicit-def: $vgpr6
.LBB867_91:
	s_and_not1_saveexec_b32 s1, s0
	s_cbranch_execz .LBB867_95
; %bb.92:
	v_dual_add_nc_u32 v7, s17, v19 :: v_dual_add_nc_u32 v9, s19, v19
	s_mov_b32 s3, 0
	s_mov_b32 s4, exec_lo
	s_delay_alu instid0(VALU_DEP_1) | instskip(NEXT) | instid1(VALU_DEP_2)
	v_mul_lo_u32 v7, v7, s16
	v_mul_lo_u32 v9, v9, s18
	s_delay_alu instid0(VALU_DEP_1) | instskip(NEXT) | instid1(VALU_DEP_1)
	v_sub_nc_u32_e32 v7, v7, v9
	v_cmp_lt_u32_e32 vcc_lo, s20, v7
	v_cmpx_ge_u32_e64 s20, v7
	s_cbranch_execz .LBB867_94
; %bb.93:
	v_dual_add_nc_u32 v7, s22, v19 :: v_dual_add_nc_u32 v9, s38, v19
	s_delay_alu instid0(VALU_DEP_1) | instskip(NEXT) | instid1(VALU_DEP_2)
	v_mul_lo_u32 v7, v7, s21
	v_mul_lo_u32 v9, v9, s23
	s_delay_alu instid0(VALU_DEP_1) | instskip(NEXT) | instid1(VALU_DEP_1)
	v_sub_nc_u32_e32 v7, v7, v9
	v_cmp_lt_u32_e64 s0, s39, v7
	s_and_b32 s3, s0, exec_lo
.LBB867_94:
	s_or_b32 exec_lo, exec_lo, s4
	v_cndmask_b32_e64 v7, 0, 1, vcc_lo
	v_lshrrev_b32_e32 v9, 24, v6
	v_cndmask_b32_e64 v13, 0, 1, s3
	v_lshlrev_b16 v12, 8, v12
	v_lshlrev_b16 v11, 8, v11
	;; [unrolled: 1-line block ×4, first 2 shown]
	s_delay_alu instid0(VALU_DEP_4) | instskip(NEXT) | instid1(VALU_DEP_4)
	v_bitop3_b16 v10, v10, v12, 0xff bitop3:0xec
	v_bitop3_b16 v6, v6, v11, 0xff bitop3:0xec
	s_delay_alu instid0(VALU_DEP_4) | instskip(NEXT) | instid1(VALU_DEP_3)
	v_bitop3_b16 v7, v8, v7, 0xff bitop3:0xec
	v_dual_lshlrev_b32 v9, 16, v10 :: v_dual_bitop2_b32 v8, v13, v9 bitop3:0x54
	s_delay_alu instid0(VALU_DEP_3) | instskip(NEXT) | instid1(VALU_DEP_3)
	v_and_b32_e32 v6, 0xffff, v6
	v_and_b32_e32 v7, 0xffff, v7
	s_delay_alu instid0(VALU_DEP_1) | instskip(NEXT) | instid1(VALU_DEP_1)
	v_dual_lshlrev_b32 v8, 16, v8 :: v_dual_bitop2_b32 v9, v7, v9 bitop3:0x54
	v_or_b32_e32 v7, v6, v8
.LBB867_95:
	s_or_b32 exec_lo, exec_lo, s1
	s_delay_alu instid0(VALU_DEP_2) | instskip(NEXT) | instid1(VALU_DEP_1)
	v_dual_add_nc_u32 v6, 10, v15 :: v_dual_lshrrev_b32 v8, 8, v9
                                        ; implicit-def: $vgpr40
	v_cmp_le_u32_e32 vcc_lo, s5, v6
                                        ; implicit-def: $vgpr6
	s_and_saveexec_b32 s0, vcc_lo
	s_delay_alu instid0(SALU_CYCLE_1)
	s_xor_b32 s0, exec_lo, s0
	s_cbranch_execz .LBB867_97
; %bb.96:
	v_lshlrev_b16 v6, 8, v8
	v_and_b32_e32 v8, 0xff0000, v7
	v_perm_b32 v1, v1, v1, 0x3060504
	s_delay_alu instid0(VALU_DEP_3) | instskip(NEXT) | instid1(VALU_DEP_3)
	v_bitop3_b16 v6, v9, v6, 0xff bitop3:0xec
	v_perm_b32 v40, v7, v8, 0x3020504
                                        ; implicit-def: $vgpr8
                                        ; implicit-def: $vgpr7
	s_delay_alu instid0(VALU_DEP_2) | instskip(NEXT) | instid1(VALU_DEP_1)
	v_and_b32_e32 v6, 0xffff, v6
	v_and_or_b32 v6, 0xff000000, v9, v6
                                        ; implicit-def: $vgpr9
.LBB867_97:
	s_and_not1_saveexec_b32 s1, s0
	s_cbranch_execz .LBB867_101
; %bb.98:
	v_dual_add_nc_u32 v6, s17, v16 :: v_dual_add_nc_u32 v10, s19, v16
	s_mov_b32 s3, 0
	s_mov_b32 s4, exec_lo
	s_delay_alu instid0(VALU_DEP_1) | instskip(NEXT) | instid1(VALU_DEP_2)
	v_mul_lo_u32 v6, v6, s16
	v_mul_lo_u32 v10, v10, s18
	s_delay_alu instid0(VALU_DEP_1) | instskip(NEXT) | instid1(VALU_DEP_1)
	v_sub_nc_u32_e32 v6, v6, v10
	v_cmp_lt_u32_e32 vcc_lo, s20, v6
	v_cmpx_ge_u32_e64 s20, v6
	s_cbranch_execz .LBB867_100
; %bb.99:
	v_dual_add_nc_u32 v6, s22, v16 :: v_dual_add_nc_u32 v10, s38, v16
	s_delay_alu instid0(VALU_DEP_1) | instskip(NEXT) | instid1(VALU_DEP_2)
	v_mul_lo_u32 v6, v6, s21
	v_mul_lo_u32 v10, v10, s23
	s_delay_alu instid0(VALU_DEP_1) | instskip(NEXT) | instid1(VALU_DEP_1)
	v_sub_nc_u32_e32 v6, v6, v10
	v_cmp_lt_u32_e64 s0, s39, v6
	s_and_b32 s3, s0, exec_lo
.LBB867_100:
	s_or_b32 exec_lo, exec_lo, s4
	v_dual_lshrrev_b32 v6, 24, v9 :: v_dual_lshrrev_b32 v12, 8, v7
	v_cndmask_b32_e64 v10, 0, 1, s3
	v_cndmask_b32_e64 v11, 0, 1, vcc_lo
	v_lshlrev_b16 v8, 8, v8
	s_delay_alu instid0(VALU_DEP_4)
	v_lshlrev_b16 v6, 8, v6
	v_lshrrev_b32_e32 v13, 16, v7
	v_lshlrev_b16 v10, 8, v10
	v_lshlrev_b16 v12, 8, v12
	v_bitop3_b16 v8, v9, v8, 0xff bitop3:0xec
	v_or_b32_e32 v6, v11, v6
	s_delay_alu instid0(VALU_DEP_4) | instskip(NEXT) | instid1(VALU_DEP_4)
	v_bitop3_b16 v9, v13, v10, 0xff bitop3:0xec
	v_bitop3_b16 v7, v7, v12, 0xff bitop3:0xec
	s_delay_alu instid0(VALU_DEP_4) | instskip(NEXT) | instid1(VALU_DEP_3)
	v_and_b32_e32 v8, 0xffff, v8
	v_dual_lshlrev_b32 v6, 16, v6 :: v_dual_lshlrev_b32 v9, 16, v9
	s_delay_alu instid0(VALU_DEP_3) | instskip(NEXT) | instid1(VALU_DEP_2)
	v_and_b32_e32 v7, 0xffff, v7
	v_or_b32_e32 v6, v8, v6
	s_delay_alu instid0(VALU_DEP_2)
	v_or_b32_e32 v40, v7, v9
.LBB867_101:
	s_or_b32 exec_lo, exec_lo, s1
	v_dual_add_nc_u32 v7, 11, v15 :: v_dual_mov_b32 v39, 0
	s_mov_b32 s0, exec_lo
                                        ; implicit-def: $vgpr41
	s_delay_alu instid0(VALU_DEP_1)
	v_cmpx_le_u32_e64 s5, v7
	s_xor_b32 s0, exec_lo, s0
; %bb.102:
	v_and_b32_e32 v7, 0xff0000, v6
	v_perm_b32 v1, v1, v1, 0x3060504
	s_delay_alu instid0(VALU_DEP_2)
	v_perm_b32 v41, v6, v7, 0x3020504
                                        ; implicit-def: $vgpr6
; %bb.103:
	s_and_not1_saveexec_b32 s1, s0
	s_cbranch_execz .LBB867_107
; %bb.104:
	v_dual_add_nc_u32 v7, s17, v17 :: v_dual_add_nc_u32 v8, s19, v17
	s_mov_b32 s3, 0
	s_mov_b32 s4, exec_lo
	s_delay_alu instid0(VALU_DEP_1) | instskip(NEXT) | instid1(VALU_DEP_2)
	v_mul_lo_u32 v7, v7, s16
	v_mul_lo_u32 v8, v8, s18
	s_delay_alu instid0(VALU_DEP_1) | instskip(NEXT) | instid1(VALU_DEP_1)
	v_sub_nc_u32_e32 v7, v7, v8
	v_cmp_lt_u32_e32 vcc_lo, s20, v7
	v_cmpx_ge_u32_e64 s20, v7
	s_cbranch_execz .LBB867_106
; %bb.105:
	v_dual_add_nc_u32 v7, s22, v17 :: v_dual_add_nc_u32 v8, s38, v17
	s_delay_alu instid0(VALU_DEP_1) | instskip(NEXT) | instid1(VALU_DEP_2)
	v_mul_lo_u32 v7, v7, s21
	v_mul_lo_u32 v8, v8, s23
	s_delay_alu instid0(VALU_DEP_1) | instskip(NEXT) | instid1(VALU_DEP_1)
	v_sub_nc_u32_e32 v7, v7, v8
	v_cmp_lt_u32_e64 s0, s39, v7
	s_and_b32 s3, s0, exec_lo
.LBB867_106:
	s_or_b32 exec_lo, exec_lo, s4
	v_cndmask_b32_e64 v7, 0, 1, vcc_lo
	v_dual_lshrrev_b32 v8, 8, v6 :: v_dual_lshrrev_b32 v9, 16, v6
	v_cndmask_b32_e64 v39, 0, 1, s3
	s_delay_alu instid0(VALU_DEP_3) | instskip(NEXT) | instid1(VALU_DEP_3)
	v_lshlrev_b16 v7, 8, v7
	v_lshlrev_b16 v8, 8, v8
	s_delay_alu instid0(VALU_DEP_2) | instskip(NEXT) | instid1(VALU_DEP_2)
	v_bitop3_b16 v7, v9, v7, 0xff bitop3:0xec
	v_bitop3_b16 v6, v6, v8, 0xff bitop3:0xec
	s_delay_alu instid0(VALU_DEP_2) | instskip(NEXT) | instid1(VALU_DEP_2)
	v_lshlrev_b32_e32 v7, 16, v7
	v_and_b32_e32 v6, 0xffff, v6
	s_delay_alu instid0(VALU_DEP_1)
	v_or_b32_e32 v41, v6, v7
.LBB867_107:
	s_or_b32 exec_lo, exec_lo, s1
	v_dual_add_nc_u32 v8, 12, v15 :: v_dual_lshrrev_b32 v6, 8, v1
	v_dual_lshrrev_b32 v7, 16, v1 :: v_dual_lshrrev_b32 v1, 24, v1
	s_mov_b32 s0, exec_lo
                                        ; implicit-def: $vgpr42
	s_delay_alu instid0(VALU_DEP_2)
	v_cmpx_le_u32_e64 s5, v8
	s_xor_b32 s0, exec_lo, s0
; %bb.108:
	s_delay_alu instid0(VALU_DEP_2) | instskip(SKIP_1) | instid1(VALU_DEP_2)
	v_lshlrev_b16 v1, 8, v1
	v_lshlrev_b16 v6, 8, v6
	v_bitop3_b16 v1, v7, v1, 0xff bitop3:0xec
	s_delay_alu instid0(VALU_DEP_2) | instskip(NEXT) | instid1(VALU_DEP_2)
	v_and_b32_e32 v6, 0xffff, v6
                                        ; implicit-def: $vgpr7
	v_lshlrev_b32_e32 v1, 16, v1
	s_delay_alu instid0(VALU_DEP_1)
	v_or_b32_e32 v42, v6, v1
                                        ; implicit-def: $vgpr1
                                        ; implicit-def: $vgpr6
; %bb.109:
	s_or_saveexec_b32 s1, s0
	v_mov_b32_e32 v43, 0
	s_xor_b32 exec_lo, exec_lo, s1
	s_cbranch_execz .LBB867_113
; %bb.110:
	v_dual_add_nc_u32 v8, s19, v34 :: v_dual_add_nc_u32 v9, s17, v34
	s_mov_b32 s3, 0
	s_mov_b32 s4, exec_lo
	s_delay_alu instid0(VALU_DEP_1) | instskip(NEXT) | instid1(VALU_DEP_2)
	v_mul_lo_u32 v8, v8, s18
	v_mul_lo_u32 v9, v9, s16
	s_delay_alu instid0(VALU_DEP_1) | instskip(NEXT) | instid1(VALU_DEP_1)
	v_sub_nc_u32_e32 v8, v9, v8
	v_cmp_lt_u32_e32 vcc_lo, s20, v8
	v_cmpx_ge_u32_e64 s20, v8
	s_cbranch_execz .LBB867_112
; %bb.111:
	v_dual_add_nc_u32 v8, s38, v34 :: v_dual_add_nc_u32 v9, s22, v34
	s_delay_alu instid0(VALU_DEP_1) | instskip(NEXT) | instid1(VALU_DEP_2)
	v_mul_lo_u32 v8, v8, s23
	v_mul_lo_u32 v9, v9, s21
	s_delay_alu instid0(VALU_DEP_1) | instskip(NEXT) | instid1(VALU_DEP_1)
	v_sub_nc_u32_e32 v8, v9, v8
	v_cmp_lt_u32_e64 s0, s39, v8
	s_and_b32 s3, s0, exec_lo
.LBB867_112:
	s_or_b32 exec_lo, exec_lo, s4
	v_cndmask_b32_e64 v8, 0, 1, vcc_lo
	v_lshlrev_b16 v1, 8, v1
	v_lshlrev_b16 v6, 8, v6
	v_cndmask_b32_e64 v43, 0, 1, s3
	s_delay_alu instid0(VALU_DEP_3) | instskip(NEXT) | instid1(VALU_DEP_1)
	v_bitop3_b16 v1, v7, v1, 0xff bitop3:0xec
	v_dual_lshlrev_b32 v1, 16, v1 :: v_dual_bitop2_b32 v6, v8, v6 bitop3:0x54
	s_delay_alu instid0(VALU_DEP_1) | instskip(NEXT) | instid1(VALU_DEP_1)
	v_and_b32_e32 v6, 0xffff, v6
	v_or_b32_e32 v42, v6, v1
.LBB867_113:
	s_or_b32 exec_lo, exec_lo, s1
.LBB867_114:
	v_and_b32_e32 v66, 0xff, v36
	s_delay_alu instid0(VALU_DEP_2)
	v_bfe_u32 v67, v42, 8, 8
	v_bfe_u32 v64, v36, 8, 8
	;; [unrolled: 1-line block ×4, first 2 shown]
	v_dual_lshrrev_b32 v49, 24, v42 :: v_dual_lshrrev_b32 v48, 24, v36
	v_and_b32_e32 v62, 0xff, v37
	v_and_b32_e32 v60, 0xff, v38
	v_bfe_u32 v61, v37, 8, 8
	v_add3_u32 v1, v64, v66, v63
	v_add3_u32 v6, v65, v67, v49
	v_bfe_u32 v58, v38, 8, 8
	v_bfe_u32 v59, v37, 16, 8
	;; [unrolled: 1-line block ×3, first 2 shown]
	v_dual_lshrrev_b32 v47, 24, v37 :: v_dual_lshrrev_b32 v46, 24, v38
	v_add3_u32 v1, v1, v48, v60
	v_add3_u32 v6, v6, v62, v61
	v_and_b32_e32 v57, 0xff, v40
	v_and_b32_e32 v53, 0xff, v41
	v_bfe_u32 v55, v40, 8, 8
	v_add3_u32 v1, v1, v58, v56
	v_add3_u32 v6, v6, v59, v47
	v_bfe_u32 v52, v41, 8, 8
	v_bfe_u32 v54, v40, 16, 8
	;; [unrolled: 1-line block ×3, first 2 shown]
	v_dual_lshrrev_b32 v45, 24, v40 :: v_dual_lshrrev_b32 v44, 24, v41
	v_add3_u32 v1, v1, v46, v53
	v_add3_u32 v6, v6, v57, v55
	v_mbcnt_lo_u32_b32 v68, -1, 0
	v_and_b32_e32 v50, 0xff, v39
	v_and_b32_e32 v7, 0xff, v42
	;; [unrolled: 1-line block ×3, first 2 shown]
	v_add3_u32 v1, v1, v52, v51
	v_add3_u32 v6, v6, v54, v45
	v_and_b32_e32 v70, 15, v68
	v_and_b32_e32 v72, 16, v68
	v_dual_lshrrev_b32 v69, 5, v0 :: v_dual_bitop2_b32 v71, 31, v0 bitop3:0x54
	v_add3_u32 v73, v1, v44, v7
	v_add3_u32 v74, v6, v50, v8
	v_cmp_eq_u32_e64 s1, 0, v70
	v_cmp_lt_u32_e64 s0, 1, v70
	v_cmp_lt_u32_e64 s3, 3, v70
	s_cmp_lg_u32 s27, 0
	s_mov_b32 s4, -1
	v_cmp_lt_u32_e32 vcc_lo, 7, v70
	s_cbranch_scc0 .LBB867_135
; %bb.115:
	v_mov_b32_dpp v1, v74 row_shr:1 row_mask:0xf bank_mask:0xf
	v_mov_b32_dpp v6, v73 row_shr:1 row_mask:0xf bank_mask:0xf
	s_mov_b32 s4, exec_lo
	s_delay_alu instid0(VALU_DEP_1) | instskip(NEXT) | instid1(VALU_DEP_1)
	v_dual_add_nc_u32 v1, v1, v74 :: v_dual_add_nc_u32 v6, v6, v73
	v_dual_cndmask_b32 v1, v1, v74, s1 :: v_dual_cndmask_b32 v6, v6, v73, s1
	s_delay_alu instid0(VALU_DEP_1) | instskip(NEXT) | instid1(VALU_DEP_2)
	v_mov_b32_dpp v7, v1 row_shr:2 row_mask:0xf bank_mask:0xf
	v_mov_b32_dpp v8, v6 row_shr:2 row_mask:0xf bank_mask:0xf
	s_delay_alu instid0(VALU_DEP_1) | instskip(NEXT) | instid1(VALU_DEP_1)
	v_dual_add_nc_u32 v7, v1, v7 :: v_dual_add_nc_u32 v8, v6, v8
	v_dual_cndmask_b32 v1, v1, v7, s0 :: v_dual_cndmask_b32 v6, v6, v8, s0
	s_delay_alu instid0(VALU_DEP_1) | instskip(NEXT) | instid1(VALU_DEP_2)
	v_mov_b32_dpp v7, v1 row_shr:4 row_mask:0xf bank_mask:0xf
	v_mov_b32_dpp v8, v6 row_shr:4 row_mask:0xf bank_mask:0xf
	s_delay_alu instid0(VALU_DEP_1) | instskip(NEXT) | instid1(VALU_DEP_1)
	v_dual_add_nc_u32 v7, v1, v7 :: v_dual_add_nc_u32 v8, v6, v8
	v_dual_cndmask_b32 v1, v1, v7, s3 :: v_dual_cndmask_b32 v6, v6, v8, s3
	s_delay_alu instid0(VALU_DEP_1) | instskip(NEXT) | instid1(VALU_DEP_2)
	v_mov_b32_dpp v7, v1 row_shr:8 row_mask:0xf bank_mask:0xf
	v_mov_b32_dpp v8, v6 row_shr:8 row_mask:0xf bank_mask:0xf
	s_delay_alu instid0(VALU_DEP_1) | instskip(NEXT) | instid1(VALU_DEP_1)
	v_dual_add_nc_u32 v7, v1, v7 :: v_dual_add_nc_u32 v8, v6, v8
	v_dual_cndmask_b32 v1, v1, v7 :: v_dual_cndmask_b32 v6, v6, v8
	v_cmp_eq_u32_e32 vcc_lo, 0, v72
	ds_swizzle_b32 v7, v1 offset:swizzle(BROADCAST,32,15)
	ds_swizzle_b32 v8, v6 offset:swizzle(BROADCAST,32,15)
	s_wait_dscnt 0x0
	v_dual_add_nc_u32 v7, v1, v7 :: v_dual_add_nc_u32 v8, v6, v8
	v_cmpx_eq_u32_e64 v0, v71
; %bb.116:
	s_delay_alu instid0(VALU_DEP_2) | instskip(NEXT) | instid1(VALU_DEP_3)
	v_dual_cndmask_b32 v10, v8, v6 :: v_dual_lshlrev_b32 v9, 3, v69
	v_cndmask_b32_e32 v11, v7, v1, vcc_lo
	ds_store_b64 v9, v[10:11]
; %bb.117:
	s_or_b32 exec_lo, exec_lo, s4
	s_delay_alu instid0(SALU_CYCLE_1)
	s_mov_b32 s4, exec_lo
	s_wait_dscnt 0x0
	s_barrier_signal -1
	s_barrier_wait -1
	v_cmpx_gt_u32_e32 8, v0
	s_cbranch_execz .LBB867_119
; %bb.118:
	v_lshlrev_b32_e32 v9, 3, v0
	ds_load_b64 v[10:11], v9
	s_wait_dscnt 0x0
	v_mov_b32_dpp v12, v10 row_shr:1 row_mask:0xf bank_mask:0xf
	v_mov_b32_dpp v13, v11 row_shr:1 row_mask:0xf bank_mask:0xf
	s_delay_alu instid0(VALU_DEP_2) | instskip(NEXT) | instid1(VALU_DEP_2)
	v_dual_add_nc_u32 v12, v12, v10 :: v_dual_bitop2_b32 v28, 7, v68 bitop3:0x40
	v_add_nc_u32_e32 v13, v13, v11
	s_delay_alu instid0(VALU_DEP_2) | instskip(NEXT) | instid1(VALU_DEP_1)
	v_cmp_eq_u32_e64 s3, 0, v28
	v_dual_cndmask_b32 v11, v13, v11, s3 :: v_dual_cndmask_b32 v10, v12, v10, s3
	v_cmp_lt_u32_e64 s3, 1, v28
	s_delay_alu instid0(VALU_DEP_2) | instskip(NEXT) | instid1(VALU_DEP_3)
	v_mov_b32_dpp v13, v11 row_shr:2 row_mask:0xf bank_mask:0xf
	v_mov_b32_dpp v12, v10 row_shr:2 row_mask:0xf bank_mask:0xf
	s_delay_alu instid0(VALU_DEP_1) | instskip(NEXT) | instid1(VALU_DEP_1)
	v_dual_add_nc_u32 v13, v11, v13 :: v_dual_add_nc_u32 v12, v10, v12
	v_dual_cndmask_b32 v11, v11, v13, s3 :: v_dual_cndmask_b32 v10, v10, v12, s3
	v_cmp_lt_u32_e64 s3, 3, v28
	s_delay_alu instid0(VALU_DEP_2) | instskip(NEXT) | instid1(VALU_DEP_3)
	v_mov_b32_dpp v13, v11 row_shr:4 row_mask:0xf bank_mask:0xf
	v_mov_b32_dpp v12, v10 row_shr:4 row_mask:0xf bank_mask:0xf
	s_delay_alu instid0(VALU_DEP_1) | instskip(NEXT) | instid1(VALU_DEP_1)
	v_dual_cndmask_b32 v13, 0, v13, s3 :: v_dual_cndmask_b32 v12, 0, v12, s3
	v_dual_add_nc_u32 v11, v13, v11 :: v_dual_add_nc_u32 v10, v12, v10
	ds_store_b64 v9, v[10:11]
.LBB867_119:
	s_or_b32 exec_lo, exec_lo, s4
	v_dual_cndmask_b32 v1, v7, v1 :: v_dual_cndmask_b32 v6, v8, v6
	s_mov_b32 s4, exec_lo
	v_cmp_gt_u32_e32 vcc_lo, 32, v0
	s_wait_dscnt 0x0
	s_barrier_signal -1
	s_barrier_wait -1
                                        ; implicit-def: $vgpr28
	v_cmpx_lt_u32_e32 31, v0
	s_cbranch_execz .LBB867_121
; %bb.120:
	v_lshl_add_u32 v7, v69, 3, -8
	ds_load_b64 v[28:29], v7
	s_wait_dscnt 0x0
	v_dual_add_nc_u32 v1, v29, v1 :: v_dual_add_nc_u32 v6, v28, v6
.LBB867_121:
	s_or_b32 exec_lo, exec_lo, s4
	v_sub_co_u32 v7, s3, v68, 1
	s_delay_alu instid0(VALU_DEP_1) | instskip(NEXT) | instid1(VALU_DEP_1)
	v_cmp_gt_i32_e64 s4, 0, v7
	v_cndmask_b32_e64 v7, v7, v68, s4
	s_delay_alu instid0(VALU_DEP_1)
	v_lshlrev_b32_e32 v7, 2, v7
	ds_bpermute_b32 v75, v7, v6
	ds_bpermute_b32 v1, v7, v1
	s_and_saveexec_b32 s4, vcc_lo
	s_cbranch_execz .LBB867_140
; %bb.122:
	v_mov_b32_e32 v9, 0
	ds_load_b64 v[6:7], v9 offset:56
	s_and_saveexec_b32 s6, s3
	s_cbranch_execz .LBB867_124
; %bb.123:
	s_add_co_i32 s8, s27, 32
	s_mov_b32 s9, 0
	v_mov_b32_e32 v8, 1
	s_lshl_b64 s[8:9], s[8:9], 4
	s_delay_alu instid0(SALU_CYCLE_1) | instskip(NEXT) | instid1(SALU_CYCLE_1)
	s_add_nc_u64 s[8:9], s[36:37], s[8:9]
	v_mov_b64_e32 v[10:11], s[8:9]
	s_wait_dscnt 0x0
	;;#ASMSTART
	global_store_b128 v[10:11], v[6:9] off scope:SCOPE_DEV	
s_wait_storecnt 0x0
	;;#ASMEND
.LBB867_124:
	s_or_b32 exec_lo, exec_lo, s6
	v_xad_u32 v30, v68, -1, s27
	s_mov_b32 s7, 0
	s_mov_b32 s6, exec_lo
	s_delay_alu instid0(VALU_DEP_1) | instskip(NEXT) | instid1(VALU_DEP_1)
	v_add_nc_u32_e32 v8, 32, v30
	v_lshl_add_u64 v[8:9], v[8:9], 4, s[36:37]
	;;#ASMSTART
	global_load_b128 v[10:13], v[8:9] off scope:SCOPE_DEV	
s_wait_loadcnt 0x0
	;;#ASMEND
	v_and_b32_e32 v13, 0xff, v12
	s_delay_alu instid0(VALU_DEP_1)
	v_cmpx_eq_u16_e32 0, v13
	s_cbranch_execz .LBB867_127
.LBB867_125:                            ; =>This Inner Loop Header: Depth=1
	;;#ASMSTART
	global_load_b128 v[10:13], v[8:9] off scope:SCOPE_DEV	
s_wait_loadcnt 0x0
	;;#ASMEND
	v_and_b32_e32 v13, 0xff, v12
	s_delay_alu instid0(VALU_DEP_1) | instskip(SKIP_1) | instid1(SALU_CYCLE_1)
	v_cmp_ne_u16_e32 vcc_lo, 0, v13
	s_or_b32 s7, vcc_lo, s7
	s_and_not1_b32 exec_lo, exec_lo, s7
	s_cbranch_execnz .LBB867_125
; %bb.126:
	s_or_b32 exec_lo, exec_lo, s7
.LBB867_127:
	s_delay_alu instid0(SALU_CYCLE_1) | instskip(SKIP_4) | instid1(VALU_DEP_1)
	s_or_b32 exec_lo, exec_lo, s6
	v_cmp_ne_u32_e32 vcc_lo, 31, v68
	v_lshlrev_b32_e64 v77, v68, -1
	v_lshl_or_b32 v84, v68, 2, 64
	v_add_co_ci_u32_e64 v8, null, 0, v68, vcc_lo
	v_lshlrev_b32_e32 v76, 2, v8
	v_and_b32_e32 v8, 0xff, v12
	s_delay_alu instid0(VALU_DEP_1)
	v_cmp_eq_u16_e32 vcc_lo, 2, v8
	v_and_b32_e32 v13, vcc_lo, v77
	ds_bpermute_b32 v9, v76, v11
	ds_bpermute_b32 v8, v76, v10
	v_cmp_gt_u32_e32 vcc_lo, 30, v68
	v_or_b32_e32 v13, 0x80000000, v13
	v_cndmask_b32_e64 v31, 0, 2, vcc_lo
	s_delay_alu instid0(VALU_DEP_2) | instskip(NEXT) | instid1(VALU_DEP_2)
	v_ctz_i32_b32_e32 v13, v13
	v_add_lshl_u32 v78, v31, v68, 2
	s_delay_alu instid0(VALU_DEP_2) | instskip(SKIP_2) | instid1(VALU_DEP_1)
	v_cmp_lt_u32_e32 vcc_lo, v68, v13
	s_wait_dscnt 0x0
	v_dual_add_nc_u32 v9, v9, v11 :: v_dual_add_nc_u32 v8, v8, v10
	v_dual_cndmask_b32 v9, v11, v9 :: v_dual_cndmask_b32 v8, v10, v8
	v_cmp_gt_u32_e32 vcc_lo, 28, v68
	ds_bpermute_b32 v10, v78, v9
	ds_bpermute_b32 v11, v78, v8
	v_add_nc_u32_e32 v79, 2, v68
	v_cndmask_b32_e64 v31, 0, 4, vcc_lo
	s_delay_alu instid0(VALU_DEP_1) | instskip(SKIP_4) | instid1(VALU_DEP_2)
	v_add_lshl_u32 v80, v31, v68, 2
	s_wait_dscnt 0x1
	v_add_nc_u32_e32 v10, v9, v10
	v_cmp_gt_u32_e32 vcc_lo, v79, v13
	s_wait_dscnt 0x0
	v_dual_add_nc_u32 v11, v8, v11 :: v_dual_cndmask_b32 v9, v10, v9, vcc_lo
	ds_bpermute_b32 v10, v80, v9
	v_cndmask_b32_e32 v8, v11, v8, vcc_lo
	v_cmp_gt_u32_e32 vcc_lo, 24, v68
	v_cndmask_b32_e64 v31, 0, 8, vcc_lo
	s_delay_alu instid0(VALU_DEP_1)
	v_add_lshl_u32 v82, v31, v68, 2
	s_wait_dscnt 0x0
	v_dual_mov_b32 v31, 0 :: v_dual_add_nc_u32 v10, v9, v10
	ds_bpermute_b32 v11, v80, v8
	s_wait_dscnt 0x0
	v_dual_add_nc_u32 v81, 4, v68 :: v_dual_add_nc_u32 v11, v8, v11
	s_delay_alu instid0(VALU_DEP_1) | instskip(NEXT) | instid1(VALU_DEP_2)
	v_cmp_gt_u32_e32 vcc_lo, v81, v13
	v_dual_cndmask_b32 v9, v10, v9 :: v_dual_cndmask_b32 v8, v11, v8
	ds_bpermute_b32 v10, v82, v9
	ds_bpermute_b32 v11, v82, v8
	s_wait_dscnt 0x1
	v_dual_add_nc_u32 v83, 8, v68 :: v_dual_add_nc_u32 v10, v9, v10
	s_delay_alu instid0(VALU_DEP_1) | instskip(SKIP_1) | instid1(VALU_DEP_2)
	v_cmp_gt_u32_e32 vcc_lo, v83, v13
	s_wait_dscnt 0x0
	v_dual_add_nc_u32 v11, v8, v11 :: v_dual_cndmask_b32 v9, v10, v9, vcc_lo
	s_delay_alu instid0(VALU_DEP_1) | instskip(SKIP_3) | instid1(VALU_DEP_1)
	v_cndmask_b32_e32 v8, v11, v8, vcc_lo
	ds_bpermute_b32 v11, v84, v9
	ds_bpermute_b32 v10, v84, v8
	v_add_nc_u32_e32 v85, 16, v68
	v_cmp_le_u32_e32 vcc_lo, v85, v13
	s_wait_dscnt 0x0
	v_dual_cndmask_b32 v11, 0, v11 :: v_dual_cndmask_b32 v10, 0, v10
	s_delay_alu instid0(VALU_DEP_1)
	v_dual_add_nc_u32 v11, v11, v9 :: v_dual_add_nc_u32 v10, v10, v8
	s_branch .LBB867_131
.LBB867_128:                            ;   in Loop: Header=BB867_131 Depth=1
	s_or_b32 exec_lo, exec_lo, s7
.LBB867_129:                            ;   in Loop: Header=BB867_131 Depth=1
	s_delay_alu instid0(SALU_CYCLE_1)
	s_or_b32 exec_lo, exec_lo, s6
	ds_bpermute_b32 v13, v76, v10
	ds_bpermute_b32 v32, v76, v11
	v_and_b32_e32 v33, 0xff, v12
	v_subrev_nc_u32_e32 v30, 32, v30
	s_mov_b32 s6, 0
	s_delay_alu instid0(VALU_DEP_2) | instskip(SKIP_1) | instid1(VALU_DEP_1)
	v_cmp_eq_u16_e32 vcc_lo, 2, v33
	v_and_or_b32 v33, vcc_lo, v77, 0x80000000
	v_ctz_i32_b32_e32 v33, v33
	s_wait_dscnt 0x0
	v_dual_add_nc_u32 v13, v13, v10 :: v_dual_add_nc_u32 v32, v32, v11
	s_delay_alu instid0(VALU_DEP_2) | instskip(NEXT) | instid1(VALU_DEP_2)
	v_cmp_lt_u32_e32 vcc_lo, v68, v33
	v_dual_cndmask_b32 v11, v11, v32 :: v_dual_cndmask_b32 v10, v10, v13
	v_cmp_gt_u32_e32 vcc_lo, v79, v33
	ds_bpermute_b32 v32, v78, v11
	ds_bpermute_b32 v13, v78, v10
	s_wait_dscnt 0x0
	v_dual_add_nc_u32 v32, v11, v32 :: v_dual_add_nc_u32 v13, v10, v13
	s_delay_alu instid0(VALU_DEP_1)
	v_dual_cndmask_b32 v11, v32, v11 :: v_dual_cndmask_b32 v10, v13, v10
	v_cmp_gt_u32_e32 vcc_lo, v81, v33
	ds_bpermute_b32 v32, v80, v11
	ds_bpermute_b32 v13, v80, v10
	s_wait_dscnt 0x0
	v_dual_add_nc_u32 v32, v11, v32 :: v_dual_add_nc_u32 v13, v10, v13
	s_delay_alu instid0(VALU_DEP_1)
	;; [unrolled: 7-line block ×3, first 2 shown]
	v_dual_cndmask_b32 v11, v32, v11 :: v_dual_cndmask_b32 v10, v13, v10
	v_cmp_le_u32_e32 vcc_lo, v85, v33
	ds_bpermute_b32 v32, v84, v11
	ds_bpermute_b32 v13, v84, v10
	s_wait_dscnt 0x0
	v_dual_cndmask_b32 v32, 0, v32 :: v_dual_cndmask_b32 v13, 0, v13
	s_delay_alu instid0(VALU_DEP_1) | instskip(NEXT) | instid1(VALU_DEP_2)
	v_add3_u32 v11, v11, v9, v32
	v_add3_u32 v10, v10, v8, v13
.LBB867_130:                            ;   in Loop: Header=BB867_131 Depth=1
	s_and_b32 vcc_lo, exec_lo, s6
	s_cbranch_vccnz .LBB867_136
.LBB867_131:                            ; =>This Loop Header: Depth=1
                                        ;     Child Loop BB867_134 Depth 2
	v_and_b32_e32 v8, 0xff, v12
	s_mov_b32 s6, -1
                                        ; implicit-def: $vgpr12
	s_delay_alu instid0(VALU_DEP_1)
	v_cmp_ne_u16_e32 vcc_lo, 2, v8
	v_mov_b64_e32 v[8:9], v[10:11]
                                        ; implicit-def: $vgpr10_vgpr11
	s_cmp_lg_u32 vcc_lo, exec_lo
	s_cbranch_scc1 .LBB867_130
; %bb.132:                              ;   in Loop: Header=BB867_131 Depth=1
	v_lshl_add_u64 v[32:33], v[30:31], 4, s[36:37]
	;;#ASMSTART
	global_load_b128 v[10:13], v[32:33] off scope:SCOPE_DEV	
s_wait_loadcnt 0x0
	;;#ASMEND
	v_and_b32_e32 v13, 0xff, v12
	s_mov_b32 s6, exec_lo
	s_delay_alu instid0(VALU_DEP_1)
	v_cmpx_eq_u16_e32 0, v13
	s_cbranch_execz .LBB867_129
; %bb.133:                              ;   in Loop: Header=BB867_131 Depth=1
	s_mov_b32 s7, 0
.LBB867_134:                            ;   Parent Loop BB867_131 Depth=1
                                        ; =>  This Inner Loop Header: Depth=2
	;;#ASMSTART
	global_load_b128 v[10:13], v[32:33] off scope:SCOPE_DEV	
s_wait_loadcnt 0x0
	;;#ASMEND
	v_and_b32_e32 v13, 0xff, v12
	s_delay_alu instid0(VALU_DEP_1) | instskip(SKIP_1) | instid1(SALU_CYCLE_1)
	v_cmp_ne_u16_e32 vcc_lo, 0, v13
	s_or_b32 s7, vcc_lo, s7
	s_and_not1_b32 exec_lo, exec_lo, s7
	s_cbranch_execnz .LBB867_134
	s_branch .LBB867_128
.LBB867_135:
                                        ; implicit-def: $vgpr1
                                        ; implicit-def: $vgpr8
                                        ; implicit-def: $vgpr10
                                        ; implicit-def: $vgpr12
                                        ; implicit-def: $vgpr28
	s_and_b32 vcc_lo, exec_lo, s4
	s_cbranch_vccnz .LBB867_141
	s_branch .LBB867_150
.LBB867_136:
	s_and_saveexec_b32 s6, s3
	s_cbranch_execz .LBB867_138
; %bb.137:
	s_add_co_i32 s8, s27, 32
	s_mov_b32 s9, 0
	v_dual_mov_b32 v12, 2 :: v_dual_mov_b32 v13, 0
	s_lshl_b64 s[8:9], s[8:9], 4
	v_dual_add_nc_u32 v11, v9, v7 :: v_dual_add_nc_u32 v10, v8, v6
	s_add_nc_u64 s[8:9], s[36:37], s[8:9]
	s_delay_alu instid0(SALU_CYCLE_1)
	v_mov_b64_e32 v[30:31], s[8:9]
	;;#ASMSTART
	global_store_b128 v[30:31], v[10:13] off scope:SCOPE_DEV	
s_wait_storecnt 0x0
	;;#ASMEND
	ds_store_b128 v13, v[6:9] offset:13312
.LBB867_138:
	s_or_b32 exec_lo, exec_lo, s6
	s_delay_alu instid0(SALU_CYCLE_1)
	s_and_b32 exec_lo, exec_lo, s2
; %bb.139:
	v_mov_b32_e32 v6, 0
	ds_store_b64 v6, v[8:9] offset:56
.LBB867_140:
	s_or_b32 exec_lo, exec_lo, s4
	s_wait_dscnt 0x0
	v_dual_mov_b32 v6, 0 :: v_dual_cndmask_b32 v1, v1, v29, s3
	s_barrier_signal -1
	s_barrier_wait -1
	ds_load_b64 v[12:13], v6 offset:56
	s_wait_dscnt 0x0
	s_barrier_signal -1
	s_barrier_wait -1
	ds_load_b128 v[6:9], v6 offset:13312
	v_cndmask_b32_e64 v10, v75, v28, s3
	s_delay_alu instid0(VALU_DEP_1) | instskip(SKIP_2) | instid1(VALU_DEP_2)
	v_dual_add_nc_u32 v1, v13, v1 :: v_dual_add_nc_u32 v11, v12, v10
	s_wait_dscnt 0x0
	v_mov_b32_e32 v10, v9
	v_dual_cndmask_b32 v1, v1, v13, s2 :: v_dual_cndmask_b32 v28, v11, v12, s2
	v_mov_b32_e32 v12, v7
	s_branch .LBB867_150
.LBB867_141:
	v_mov_b32_dpp v1, v73 row_shr:1 row_mask:0xf bank_mask:0xf
	v_mov_b32_dpp v6, v74 row_shr:1 row_mask:0xf bank_mask:0xf
	v_cmp_lt_u32_e32 vcc_lo, 3, v70
	s_delay_alu instid0(VALU_DEP_2) | instskip(NEXT) | instid1(VALU_DEP_1)
	v_dual_add_nc_u32 v1, v1, v73 :: v_dual_add_nc_u32 v6, v6, v74
	v_dual_cndmask_b32 v1, v1, v73, s1 :: v_dual_cndmask_b32 v6, v6, v74, s1
	s_mov_b32 s1, exec_lo
	s_delay_alu instid0(VALU_DEP_1) | instskip(NEXT) | instid1(VALU_DEP_2)
	v_mov_b32_dpp v7, v1 row_shr:2 row_mask:0xf bank_mask:0xf
	v_mov_b32_dpp v8, v6 row_shr:2 row_mask:0xf bank_mask:0xf
	s_delay_alu instid0(VALU_DEP_1) | instskip(NEXT) | instid1(VALU_DEP_1)
	v_dual_add_nc_u32 v7, v1, v7 :: v_dual_add_nc_u32 v8, v6, v8
	v_dual_cndmask_b32 v1, v1, v7, s0 :: v_dual_cndmask_b32 v6, v6, v8, s0
	s_delay_alu instid0(VALU_DEP_1) | instskip(NEXT) | instid1(VALU_DEP_2)
	v_mov_b32_dpp v7, v1 row_shr:4 row_mask:0xf bank_mask:0xf
	v_mov_b32_dpp v8, v6 row_shr:4 row_mask:0xf bank_mask:0xf
	s_delay_alu instid0(VALU_DEP_1) | instskip(NEXT) | instid1(VALU_DEP_1)
	v_dual_add_nc_u32 v7, v1, v7 :: v_dual_add_nc_u32 v8, v6, v8
	v_dual_cndmask_b32 v7, v1, v7 :: v_dual_cndmask_b32 v6, v6, v8
	v_cmp_lt_u32_e32 vcc_lo, 7, v70
	s_delay_alu instid0(VALU_DEP_2) | instskip(NEXT) | instid1(VALU_DEP_3)
	v_mov_b32_dpp v1, v7 row_shr:8 row_mask:0xf bank_mask:0xf
	v_mov_b32_dpp v8, v6 row_shr:8 row_mask:0xf bank_mask:0xf
	s_delay_alu instid0(VALU_DEP_1) | instskip(NEXT) | instid1(VALU_DEP_1)
	v_dual_add_nc_u32 v9, v7, v1 :: v_dual_add_nc_u32 v1, v6, v8
	v_cndmask_b32_e32 v1, v6, v1, vcc_lo
	s_delay_alu instid0(VALU_DEP_2)
	v_cndmask_b32_e32 v6, v7, v9, vcc_lo
	v_cmp_eq_u32_e32 vcc_lo, 0, v72
	ds_swizzle_b32 v8, v6 offset:swizzle(BROADCAST,32,15)
	s_wait_dscnt 0x0
	v_add_nc_u32_e32 v8, v6, v8
	ds_swizzle_b32 v7, v1 offset:swizzle(BROADCAST,32,15)
	s_wait_dscnt 0x0
	v_add_nc_u32_e32 v7, v1, v7
	v_cmpx_eq_u32_e64 v0, v71
; %bb.142:
	s_delay_alu instid0(VALU_DEP_2)
	v_dual_cndmask_b32 v10, v8, v6 :: v_dual_cndmask_b32 v11, v7, v1
	v_lshlrev_b32_e32 v9, 3, v69
	ds_store_b64 v9, v[10:11]
; %bb.143:
	s_or_b32 exec_lo, exec_lo, s1
	s_delay_alu instid0(SALU_CYCLE_1)
	s_mov_b32 s1, exec_lo
	s_wait_dscnt 0x0
	s_barrier_signal -1
	s_barrier_wait -1
	v_cmpx_gt_u32_e32 8, v0
	s_cbranch_execz .LBB867_145
; %bb.144:
	v_lshlrev_b32_e32 v9, 3, v0
	ds_load_b64 v[10:11], v9
	s_wait_dscnt 0x0
	v_mov_b32_dpp v12, v10 row_shr:1 row_mask:0xf bank_mask:0xf
	v_mov_b32_dpp v13, v11 row_shr:1 row_mask:0xf bank_mask:0xf
	s_delay_alu instid0(VALU_DEP_2) | instskip(NEXT) | instid1(VALU_DEP_2)
	v_dual_add_nc_u32 v12, v12, v10 :: v_dual_bitop2_b32 v28, 7, v68 bitop3:0x40
	v_add_nc_u32_e32 v13, v13, v11
	s_delay_alu instid0(VALU_DEP_2) | instskip(NEXT) | instid1(VALU_DEP_1)
	v_cmp_eq_u32_e64 s0, 0, v28
	v_dual_cndmask_b32 v11, v13, v11, s0 :: v_dual_cndmask_b32 v10, v12, v10, s0
	v_cmp_lt_u32_e64 s0, 1, v28
	s_delay_alu instid0(VALU_DEP_2) | instskip(NEXT) | instid1(VALU_DEP_3)
	v_mov_b32_dpp v13, v11 row_shr:2 row_mask:0xf bank_mask:0xf
	v_mov_b32_dpp v12, v10 row_shr:2 row_mask:0xf bank_mask:0xf
	s_delay_alu instid0(VALU_DEP_1) | instskip(NEXT) | instid1(VALU_DEP_1)
	v_dual_add_nc_u32 v13, v11, v13 :: v_dual_add_nc_u32 v12, v10, v12
	v_dual_cndmask_b32 v11, v11, v13, s0 :: v_dual_cndmask_b32 v10, v10, v12, s0
	v_cmp_lt_u32_e64 s0, 3, v28
	s_delay_alu instid0(VALU_DEP_2) | instskip(NEXT) | instid1(VALU_DEP_3)
	v_mov_b32_dpp v13, v11 row_shr:4 row_mask:0xf bank_mask:0xf
	v_mov_b32_dpp v12, v10 row_shr:4 row_mask:0xf bank_mask:0xf
	s_delay_alu instid0(VALU_DEP_1) | instskip(NEXT) | instid1(VALU_DEP_1)
	v_dual_cndmask_b32 v13, 0, v13, s0 :: v_dual_cndmask_b32 v12, 0, v12, s0
	v_dual_add_nc_u32 v11, v13, v11 :: v_dual_add_nc_u32 v10, v12, v10
	ds_store_b64 v9, v[10:11]
.LBB867_145:
	s_or_b32 exec_lo, exec_lo, s1
	v_dual_mov_b32 v9, 0 :: v_dual_mov_b32 v10, 0
	v_mov_b32_e32 v11, 0
	s_mov_b32 s1, exec_lo
	s_wait_dscnt 0x0
	s_barrier_signal -1
	s_barrier_wait -1
	v_cmpx_lt_u32_e32 31, v0
; %bb.146:
	v_lshl_add_u32 v10, v69, 3, -8
	ds_load_b64 v[10:11], v10
; %bb.147:
	s_or_b32 exec_lo, exec_lo, s1
	v_sub_co_u32 v12, s0, v68, 1
	v_dual_cndmask_b32 v6, v8, v6 :: v_dual_cndmask_b32 v1, v7, v1
	s_delay_alu instid0(VALU_DEP_2) | instskip(SKIP_1) | instid1(VALU_DEP_1)
	v_cmp_gt_i32_e64 s1, 0, v12
	s_wait_dscnt 0x0
	v_dual_add_nc_u32 v6, v10, v6 :: v_dual_cndmask_b32 v8, v12, v68, s1
	s_delay_alu instid0(VALU_DEP_1)
	v_dual_lshlrev_b32 v7, 2, v8 :: v_dual_add_nc_u32 v8, v11, v1
	ds_bpermute_b32 v1, v7, v6
	ds_bpermute_b32 v12, v7, v8
	ds_load_b64 v[6:7], v9 offset:56
	s_and_saveexec_b32 s1, s2
	s_cbranch_execz .LBB867_149
; %bb.148:
	s_add_nc_u64 s[6:7], s[36:37], 0x200
	v_dual_mov_b32 v8, 2 :: v_dual_mov_b32 v9, 0
	v_mov_b64_e32 v[28:29], s[6:7]
	s_wait_dscnt 0x0
	;;#ASMSTART
	global_store_b128 v[28:29], v[6:9] off scope:SCOPE_DEV	
s_wait_storecnt 0x0
	;;#ASMEND
.LBB867_149:
	s_or_b32 exec_lo, exec_lo, s1
	s_wait_dscnt 0x1
	v_dual_cndmask_b32 v9, v12, v11, s0 :: v_dual_cndmask_b32 v11, v1, v10, s0
	v_dual_mov_b32 v10, 0 :: v_dual_mov_b32 v8, 0
	s_wait_dscnt 0x0
	v_mov_b32_e32 v12, v7
	s_delay_alu instid0(VALU_DEP_3)
	v_cndmask_b32_e64 v1, v9, 0, s2
	v_cndmask_b32_e64 v28, v11, 0, s2
	s_barrier_signal -1
	s_barrier_wait -1
.LBB867_150:
	s_delay_alu instid0(VALU_DEP_1) | instskip(SKIP_2) | instid1(VALU_DEP_3)
	v_dual_add_nc_u32 v74, v1, v67 :: v_dual_add_nc_u32 v75, v28, v66
	v_dual_lshrrev_b32 v72, 16, v42 :: v_dual_lshrrev_b32 v7, 8, v42
	v_dual_lshrrev_b32 v73, 8, v36 :: v_dual_lshrrev_b32 v71, 16, v36
	v_dual_add_nc_u32 v65, v74, v65 :: v_dual_add_nc_u32 v64, v75, v64
	v_dual_mov_b32 v9, 0 :: v_dual_lshlrev_b32 v66, 1, v6
	s_delay_alu instid0(VALU_DEP_2) | instskip(NEXT) | instid1(VALU_DEP_3)
	v_dual_add_nc_u32 v76, v65, v49 :: v_dual_bitop2_b32 v36, 1, v36 bitop3:0x40
	v_add_nc_u32_e32 v63, v64, v63
	v_dual_sub_nc_u32 v28, v28, v8 :: v_dual_sub_nc_u32 v1, v1, v10
	s_delay_alu instid0(VALU_DEP_3) | instskip(NEXT) | instid1(VALU_DEP_3)
	v_dual_add_nc_u32 v62, v76, v62 :: v_dual_bitop2_b32 v77, 1, v7 bitop3:0x40
	v_dual_mov_b32 v7, v9 :: v_dual_add_nc_u32 v78, v63, v48
	v_mov_b32_e32 v11, v9
	s_delay_alu instid0(VALU_DEP_3) | instskip(SKIP_1) | instid1(VALU_DEP_4)
	v_dual_add_nc_u32 v1, v1, v6 :: v_dual_add_nc_u32 v61, v62, v61
	v_add3_u32 v15, v66, v12, v15
	v_add_nc_u32_e32 v60, v78, v60
	s_delay_alu instid0(VALU_DEP_3) | instskip(NEXT) | instid1(VALU_DEP_4)
	v_dual_sub_nc_u32 v74, v74, v10 :: v_dual_add_nc_u32 v81, v28, v1
	v_dual_add_nc_u32 v79, v61, v59 :: v_dual_sub_nc_u32 v75, v75, v8
	s_delay_alu instid0(VALU_DEP_3) | instskip(SKIP_1) | instid1(VALU_DEP_4)
	v_add_nc_u32_e32 v80, v60, v58
	v_cmp_eq_u32_e32 vcc_lo, 1, v77
	v_dual_add_nc_u32 v74, v74, v6 :: v_dual_sub_nc_u32 v64, v64, v8
	s_delay_alu instid0(VALU_DEP_3) | instskip(SKIP_2) | instid1(VALU_DEP_3)
	v_dual_add_nc_u32 v82, v79, v47 :: v_dual_add_nc_u32 v56, v80, v56
	v_dual_sub_nc_u32 v81, v15, v81 :: v_dual_sub_nc_u32 v65, v65, v10
	v_sub_nc_u64_e32 v[58:59], v[4:5], v[6:7]
	v_dual_add_nc_u32 v57, v82, v57 :: v_dual_add_nc_u32 v83, v56, v46
	s_delay_alu instid0(VALU_DEP_3) | instskip(SKIP_1) | instid1(VALU_DEP_3)
	v_dual_cndmask_b32 v1, v81, v1, vcc_lo :: v_dual_add_nc_u32 v81, v74, v75
	v_cmp_eq_u32_e32 vcc_lo, 1, v36
	v_dual_add_nc_u32 v55, v57, v55 :: v_dual_add_nc_u32 v77, v83, v53
	v_and_b32_e32 v72, 1, v72
	v_dual_sub_nc_u32 v63, v63, v8 :: v_dual_bitop2_b32 v49, 1, v49 bitop3:0x40
	s_delay_alu instid0(VALU_DEP_3) | instskip(NEXT) | instid1(VALU_DEP_4)
	v_dual_cndmask_b32 v1, v1, v28 :: v_dual_add_nc_u32 v28, v55, v54
	v_add_nc_u32_e32 v36, v77, v52
	v_add_nc_u32_e32 v54, v65, v6
	v_add_nc_u64_e32 v[52:53], v[58:59], v[10:11]
	s_delay_alu instid0(VALU_DEP_4)
	v_lshlrev_b32_e32 v1, 2, v1
	v_add_nc_u32_e32 v58, v28, v45
	v_dual_add_nc_u32 v51, v36, v51 :: v_dual_sub_nc_u32 v59, v15, v81
	v_add_nc_u32_e32 v65, v54, v64
	ds_store_b32 v1, v26
	v_dual_add_nc_u32 v1, v58, v50 :: v_dual_add_nc_u32 v26, v51, v44
	v_dual_sub_nc_u32 v73, v76, v10 :: v_dual_bitop2_b32 v50, 1, v73 bitop3:0x40
	v_dual_sub_nc_u32 v65, v15, v65 :: v_dual_add_nc_u32 v59, 1, v59
	v_cmp_eq_u32_e32 vcc_lo, 1, v72
	s_delay_alu instid0(VALU_DEP_3) | instskip(NEXT) | instid1(VALU_DEP_3)
	v_dual_add_nc_u32 v73, v73, v6 :: v_dual_bitop2_b32 v71, 1, v71 bitop3:0x40
	v_add_nc_u32_e32 v65, 2, v65
	v_dual_lshrrev_b32 v70, 8, v37 :: v_dual_lshrrev_b32 v69, 16, v37
	v_cndmask_b32_e32 v59, v59, v74, vcc_lo
	v_cmp_eq_u32_e32 vcc_lo, 1, v49
	v_dual_add_nc_u32 v72, v63, v73 :: v_dual_lshrrev_b32 v33, 16, v38
	v_dual_lshrrev_b32 v68, 8, v38 :: v_dual_lshrrev_b32 v31, 16, v40
	v_dual_cndmask_b32 v49, v65, v54 :: v_dual_lshrrev_b32 v32, 8, v40
	v_cmp_eq_u32_e32 vcc_lo, 1, v50
	s_delay_alu instid0(VALU_DEP_4)
	v_dual_sub_nc_u32 v54, v15, v72 :: v_dual_lshrrev_b32 v30, 8, v41
	v_dual_lshrrev_b32 v29, 16, v41 :: v_dual_sub_nc_u32 v1, v1, v10
	v_cndmask_b32_e32 v50, v59, v75, vcc_lo
	v_cmp_eq_u32_e32 vcc_lo, 1, v71
	v_dual_sub_nc_u32 v59, v62, v10 :: v_dual_bitop2_b32 v37, 1, v37 bitop3:0x40
	v_dual_add_nc_u32 v54, 3, v54 :: v_dual_bitop2_b32 v48, 1, v48 bitop3:0x40
	v_cndmask_b32_e32 v49, v49, v64, vcc_lo
	v_dual_sub_nc_u32 v62, v78, v8 :: v_dual_lshlrev_b32 v50, 2, v50
	s_delay_alu instid0(VALU_DEP_4) | instskip(SKIP_1) | instid1(VALU_DEP_4)
	v_add_nc_u32_e32 v59, v59, v6
	v_cmp_eq_u32_e32 vcc_lo, 1, v37
	v_lshlrev_b32_e32 v49, 2, v49
	v_add_nc_u64_e32 v[2:3], v[2:3], v[8:9]
	ds_store_b32 v50, v27
	v_dual_sub_nc_u32 v27, v61, v10 :: v_dual_cndmask_b32 v37, v54, v73, vcc_lo
	v_add_nc_u32_e32 v54, v62, v59
	v_cmp_eq_u32_e32 vcc_lo, 1, v48
	ds_store_b32 v49, v24
	v_dual_sub_nc_u32 v48, v60, v8 :: v_dual_sub_nc_u32 v50, v79, v10
	v_dual_cndmask_b32 v37, v37, v63 :: v_dual_sub_nc_u32 v24, v15, v54
	v_dual_add_nc_u32 v27, v27, v6 :: v_dual_mov_b32 v67, v9
	s_delay_alu instid0(VALU_DEP_2) | instskip(NEXT) | instid1(VALU_DEP_3)
	v_dual_mov_b32 v13, v9 :: v_dual_add_nc_u32 v24, 4, v24
	v_dual_lshlrev_b32 v37, 2, v37 :: v_dual_bitop2_b32 v49, 1, v70 bitop3:0x40
	s_delay_alu instid0(VALU_DEP_3)
	v_add_nc_u32_e32 v54, v48, v27
	s_mov_b32 s0, -1
	v_and_b32_e32 v40, 1, v40
	ds_store_b32 v37, v25
	v_cmp_eq_u32_e32 vcc_lo, 1, v49
	v_dual_sub_nc_u32 v49, v80, v8 :: v_dual_bitop2_b32 v38, 1, v38 bitop3:0x40
	v_dual_add_nc_u32 v50, v50, v6 :: v_dual_bitop2_b32 v37, 1, v69 bitop3:0x40
	v_cndmask_b32_e32 v24, v24, v59, vcc_lo
	s_delay_alu instid0(VALU_DEP_3) | instskip(SKIP_1) | instid1(VALU_DEP_3)
	v_cmp_eq_u32_e32 vcc_lo, 1, v38
	v_and_b32_e32 v32, 1, v32
	v_dual_cndmask_b32 v24, v24, v62, vcc_lo :: v_dual_bitop2_b32 v31, 1, v31 bitop3:0x40
	v_sub_nc_u32_e32 v54, v15, v54
	v_cmp_eq_u32_e32 vcc_lo, 1, v37
	s_delay_alu instid0(VALU_DEP_3) | instskip(NEXT) | instid1(VALU_DEP_3)
	v_dual_sub_nc_u32 v37, v57, v10 :: v_dual_lshlrev_b32 v24, 2, v24
	v_add_nc_u32_e32 v38, 5, v54
	v_dual_add_nc_u32 v25, v49, v50 :: v_dual_bitop2_b32 v54, 1, v68 bitop3:0x40
	ds_store_b32 v24, v22
	v_dual_cndmask_b32 v27, v38, v27, vcc_lo :: v_dual_sub_nc_u32 v25, v15, v25
	v_and_b32_e32 v22, 1, v47
	v_cmp_eq_u32_e32 vcc_lo, 1, v54
	v_dual_sub_nc_u32 v38, v55, v10 :: v_dual_sub_nc_u32 v47, v77, v8
	s_delay_alu instid0(VALU_DEP_4) | instskip(SKIP_3) | instid1(VALU_DEP_3)
	v_dual_cndmask_b32 v25, v27, v48 :: v_dual_add_nc_u32 v24, 6, v25
	v_sub_nc_u32_e32 v27, v82, v10
	v_cmp_eq_u32_e32 vcc_lo, 1, v22
	v_and_b32_e32 v33, 1, v33
	v_dual_lshlrev_b32 v25, 2, v25 :: v_dual_add_nc_u32 v27, v27, v6
	v_cndmask_b32_e32 v22, v24, v50, vcc_lo
	v_sub_nc_u32_e32 v24, v56, v8
	s_delay_alu instid0(VALU_DEP_4)
	v_cmp_eq_u32_e32 vcc_lo, 1, v33
	ds_store_b32 v25, v23
	v_dual_sub_nc_u32 v23, v83, v8 :: v_dual_add_nc_u32 v25, v37, v6
	v_dual_cndmask_b32 v22, v22, v49 :: v_dual_add_nc_u32 v33, v24, v27
	v_and_b32_e32 v37, 1, v46
	v_cmp_eq_u32_e32 vcc_lo, 1, v40
	s_delay_alu instid0(VALU_DEP_4) | instskip(NEXT) | instid1(VALU_DEP_4)
	v_add_nc_u32_e32 v46, v23, v25
	v_dual_sub_nc_u32 v33, v15, v33 :: v_dual_lshlrev_b32 v22, 2, v22
	s_delay_alu instid0(VALU_DEP_1)
	v_dual_sub_nc_u32 v46, v15, v46 :: v_dual_add_nc_u32 v33, 7, v33
	v_add_nc_u32_e32 v38, v38, v6
	ds_store_b32 v22, v20
	v_dual_cndmask_b32 v27, v33, v27, vcc_lo :: v_dual_bitop2_b32 v22, 1, v45 bitop3:0x40
	v_cmp_eq_u32_e32 vcc_lo, 1, v37
	v_add_nc_u32_e32 v33, v47, v38
	s_delay_alu instid0(VALU_DEP_3) | instskip(SKIP_2) | instid1(VALU_DEP_3)
	v_dual_add_nc_u32 v40, 8, v46 :: v_dual_cndmask_b32 v24, v27, v24, vcc_lo
	v_and_b32_e32 v27, 1, v41
	v_cmp_eq_u32_e32 vcc_lo, 1, v32
	v_dual_sub_nc_u32 v33, v15, v33 :: v_dual_lshlrev_b32 v24, 2, v24
	s_delay_alu instid0(VALU_DEP_4) | instskip(NEXT) | instid1(VALU_DEP_4)
	v_cndmask_b32_e32 v25, v40, v25, vcc_lo
	v_cmp_eq_u32_e32 vcc_lo, 1, v27
	s_delay_alu instid0(VALU_DEP_3) | instskip(NEXT) | instid1(VALU_DEP_3)
	v_dual_add_nc_u32 v32, 9, v33 :: v_dual_bitop2_b32 v27, 1, v30 bitop3:0x40
	v_dual_cndmask_b32 v23, v25, v23 :: v_dual_sub_nc_u32 v30, v36, v8
	v_sub_nc_u32_e32 v25, v28, v10
	v_cmp_eq_u32_e32 vcc_lo, 1, v31
	s_delay_alu instid0(VALU_DEP_2)
	v_dual_lshlrev_b32 v23, 2, v23 :: v_dual_add_nc_u32 v25, v25, v6
	v_cndmask_b32_e32 v28, v32, v38, vcc_lo
	v_cmp_eq_u32_e32 vcc_lo, 1, v27
	ds_store_b32 v24, v21
	ds_store_b32 v23, v18
	v_sub_nc_u32_e32 v21, v58, v10
	v_dual_add_nc_u32 v20, v30, v25 :: v_dual_sub_nc_u32 v23, v51, v8
	v_dual_cndmask_b32 v27, v28, v47 :: v_dual_sub_nc_u32 v8, v26, v8
	s_delay_alu instid0(VALU_DEP_2) | instskip(NEXT) | instid1(VALU_DEP_2)
	v_dual_add_nc_u32 v1, v1, v6 :: v_dual_sub_nc_u32 v20, v15, v20
	v_dual_add_nc_u32 v21, v21, v6 :: v_dual_lshlrev_b32 v18, 2, v27
	v_cmp_eq_u32_e32 vcc_lo, 1, v22
	s_delay_alu instid0(VALU_DEP_3) | instskip(SKIP_3) | instid1(VALU_DEP_1)
	v_dual_add_nc_u32 v22, v8, v1 :: v_dual_add_nc_u32 v20, 10, v20
	ds_store_b32 v18, v19
	v_cndmask_b32_e32 v20, v20, v25, vcc_lo
	v_add_nc_u32_e32 v26, v23, v21
	v_dual_sub_nc_u32 v18, v15, v26 :: v_dual_bitop2_b32 v24, 1, v29 bitop3:0x40
	s_delay_alu instid0(VALU_DEP_1) | instskip(SKIP_1) | instid1(VALU_DEP_3)
	v_cmp_eq_u32_e32 vcc_lo, 1, v24
	v_dual_sub_nc_u32 v15, v15, v22 :: v_dual_bitop2_b32 v24, 1, v39 bitop3:0x40
	v_dual_add_nc_u32 v25, 11, v18 :: v_dual_bitop2_b32 v22, 1, v44 bitop3:0x40
	v_cndmask_b32_e32 v20, v20, v30, vcc_lo
	s_delay_alu instid0(VALU_DEP_3) | instskip(SKIP_4) | instid1(VALU_DEP_4)
	v_cmp_eq_u32_e32 vcc_lo, 1, v24
	v_and_b32_e32 v26, 1, v43
	v_dual_add_nc_u32 v15, 12, v15 :: v_dual_bitop2_b32 v24, 1, v42 bitop3:0x40
	v_add_nc_u64_e32 v[18:19], v[12:13], v[66:67]
	v_cndmask_b32_e32 v21, v25, v21, vcc_lo
	v_cmp_eq_u32_e32 vcc_lo, 1, v26
	s_delay_alu instid0(VALU_DEP_4)
	v_dual_cndmask_b32 v1, v15, v1 :: v_dual_lshlrev_b32 v20, 2, v20
	v_cmp_eq_u32_e32 vcc_lo, 1, v22
	v_add_nc_u64_e32 v[18:19], v[18:19], v[52:53]
	v_mov_b32_e32 v15, v9
	ds_store_b32 v20, v16
	v_cndmask_b32_e32 v21, v21, v23, vcc_lo
	v_cmp_eq_u32_e32 vcc_lo, 1, v24
	s_delay_alu instid0(VALU_DEP_2)
	v_dual_cndmask_b32 v1, v1, v8 :: v_dual_lshlrev_b32 v22, 2, v21
	v_add_nc_u64_e32 v[8:9], s[34:35], v[14:15]
	v_add_nc_u64_e32 v[14:15], v[18:19], v[2:3]
	v_lshlrev_b64_e32 v[18:19], 2, v[52:53]
	v_lshlrev_b64_e32 v[20:21], 2, v[2:3]
	v_lshlrev_b32_e32 v1, 2, v1
	v_cmp_ne_u32_e32 vcc_lo, 1, v35
	v_sub_nc_u64_e32 v[14:15], v[8:9], v[14:15]
	v_add_nc_u64_e32 v[8:9], s[30:31], v[18:19]
	v_add_nc_u32_e32 v18, v6, v12
	ds_store_b32 v22, v17
	ds_store_b32 v1, v34
	v_add_nc_u64_e32 v[16:17], s[28:29], v[20:21]
	s_wait_dscnt 0x0
	s_barrier_signal -1
	s_barrier_wait -1
	s_cbranch_vccz .LBB867_154
; %bb.151:
	s_and_b32 vcc_lo, exec_lo, s0
	s_cbranch_vccnz .LBB867_259
.LBB867_152:
	s_and_b32 s0, s2, s26
	s_delay_alu instid0(SALU_CYCLE_1)
	s_and_saveexec_b32 s1, s0
	s_cbranch_execnz .LBB867_377
.LBB867_153:
	s_sendmsg sendmsg(MSG_DEALLOC_VGPRS)
	s_endpgm
.LBB867_154:
	s_mov_b32 s0, exec_lo
	v_cmpx_ge_u32_e64 v0, v6
	s_xor_b32 s0, exec_lo, s0
	s_cbranch_execz .LBB867_160
; %bb.155:
	v_mov_b32_e32 v1, 0
	s_mov_b32 s1, exec_lo
	v_cmpx_ge_u32_e64 v0, v18
	s_xor_b32 s1, exec_lo, s1
	s_cbranch_execz .LBB867_157
; %bb.156:
	v_lshlrev_b32_e32 v19, 2, v0
	v_add_nc_u64_e32 v[20:21], v[14:15], v[0:1]
	ds_load_b32 v1, v19
	v_lshlrev_b64_e32 v[20:21], 2, v[20:21]
	s_delay_alu instid0(VALU_DEP_1)
	v_sub_nc_u64_e32 v[20:21], s[14:15], v[20:21]
	s_wait_dscnt 0x0
	global_store_b32 v[20:21], v1, off offset:-4
.LBB867_157:
	s_wait_xcnt 0x0
	s_and_not1_saveexec_b32 s1, s1
	s_cbranch_execz .LBB867_159
; %bb.158:
	v_lshlrev_b32_e32 v1, 2, v0
	v_readfirstlane_b32 s6, v8
	v_readfirstlane_b32 s7, v9
	ds_load_b32 v1, v1
	s_wait_dscnt 0x0
	global_store_b32 v0, v1, s[6:7] scale_offset
.LBB867_159:
	s_wait_xcnt 0x0
	s_or_b32 exec_lo, exec_lo, s1
.LBB867_160:
	s_and_not1_saveexec_b32 s0, s0
	s_cbranch_execz .LBB867_162
; %bb.161:
	v_lshlrev_b32_e32 v1, 2, v0
	v_readfirstlane_b32 s6, v16
	v_readfirstlane_b32 s7, v17
	ds_load_b32 v1, v1
	s_wait_dscnt 0x0
	global_store_b32 v0, v1, s[6:7] scale_offset
.LBB867_162:
	s_wait_xcnt 0x0
	s_or_b32 exec_lo, exec_lo, s0
	v_or_b32_e32 v1, 0x100, v0
	s_mov_b32 s0, exec_lo
	s_delay_alu instid0(VALU_DEP_1)
	v_cmpx_ge_u32_e64 v1, v6
	s_xor_b32 s0, exec_lo, s0
	s_cbranch_execz .LBB867_168
; %bb.163:
	s_mov_b32 s1, exec_lo
	v_cmpx_ge_u32_e64 v1, v18
	s_xor_b32 s1, exec_lo, s1
	s_cbranch_execz .LBB867_165
; %bb.164:
	v_dual_mov_b32 v1, 0 :: v_dual_lshlrev_b32 v19, 2, v0
	s_delay_alu instid0(VALU_DEP_1) | instskip(SKIP_2) | instid1(VALU_DEP_1)
	v_add_nc_u64_e32 v[20:21], v[14:15], v[0:1]
	ds_load_b32 v1, v19 offset:1024
	v_lshlrev_b64_e32 v[20:21], 2, v[20:21]
	v_sub_nc_u64_e32 v[20:21], s[14:15], v[20:21]
	s_wait_dscnt 0x0
	global_store_b32 v[20:21], v1, off offset:-1028
.LBB867_165:
	s_wait_xcnt 0x0
	s_and_not1_saveexec_b32 s1, s1
	s_cbranch_execz .LBB867_167
; %bb.166:
	v_lshlrev_b32_e32 v1, 2, v0
	v_readfirstlane_b32 s6, v8
	v_readfirstlane_b32 s7, v9
	ds_load_b32 v1, v1 offset:1024
	s_wait_dscnt 0x0
	global_store_b32 v0, v1, s[6:7] offset:1024 scale_offset
.LBB867_167:
	s_wait_xcnt 0x0
	s_or_b32 exec_lo, exec_lo, s1
.LBB867_168:
	s_and_not1_saveexec_b32 s0, s0
	s_cbranch_execz .LBB867_170
; %bb.169:
	v_lshlrev_b32_e32 v1, 2, v0
	v_readfirstlane_b32 s6, v16
	v_readfirstlane_b32 s7, v17
	ds_load_b32 v1, v1 offset:1024
	s_wait_dscnt 0x0
	global_store_b32 v0, v1, s[6:7] offset:1024 scale_offset
.LBB867_170:
	s_wait_xcnt 0x0
	s_or_b32 exec_lo, exec_lo, s0
	v_or_b32_e32 v1, 0x200, v0
	s_mov_b32 s0, exec_lo
	s_delay_alu instid0(VALU_DEP_1)
	v_cmpx_ge_u32_e64 v1, v6
	s_xor_b32 s0, exec_lo, s0
	s_cbranch_execz .LBB867_176
; %bb.171:
	s_mov_b32 s1, exec_lo
	v_cmpx_ge_u32_e64 v1, v18
	s_xor_b32 s1, exec_lo, s1
	s_cbranch_execz .LBB867_173
; %bb.172:
	v_dual_mov_b32 v1, 0 :: v_dual_lshlrev_b32 v19, 2, v0
	s_delay_alu instid0(VALU_DEP_1) | instskip(SKIP_2) | instid1(VALU_DEP_1)
	v_add_nc_u64_e32 v[20:21], v[14:15], v[0:1]
	ds_load_b32 v1, v19 offset:2048
	v_lshlrev_b64_e32 v[20:21], 2, v[20:21]
	v_sub_nc_u64_e32 v[20:21], s[14:15], v[20:21]
	s_wait_dscnt 0x0
	global_store_b32 v[20:21], v1, off offset:-2052
.LBB867_173:
	s_wait_xcnt 0x0
	s_and_not1_saveexec_b32 s1, s1
	s_cbranch_execz .LBB867_175
; %bb.174:
	v_lshlrev_b32_e32 v1, 2, v0
	v_readfirstlane_b32 s6, v8
	v_readfirstlane_b32 s7, v9
	ds_load_b32 v1, v1 offset:2048
	s_wait_dscnt 0x0
	global_store_b32 v0, v1, s[6:7] offset:2048 scale_offset
.LBB867_175:
	s_wait_xcnt 0x0
	s_or_b32 exec_lo, exec_lo, s1
.LBB867_176:
	s_and_not1_saveexec_b32 s0, s0
	s_cbranch_execz .LBB867_178
; %bb.177:
	v_lshlrev_b32_e32 v1, 2, v0
	v_readfirstlane_b32 s6, v16
	v_readfirstlane_b32 s7, v17
	ds_load_b32 v1, v1 offset:2048
	s_wait_dscnt 0x0
	global_store_b32 v0, v1, s[6:7] offset:2048 scale_offset
.LBB867_178:
	;; [unrolled: 47-line block ×12, first 2 shown]
	s_wait_xcnt 0x0
	s_or_b32 exec_lo, exec_lo, s0
	s_branch .LBB867_152
.LBB867_259:
	s_mov_b32 s0, exec_lo
	v_cmpx_gt_u32_e64 s5, v0
	s_cbranch_execz .LBB867_268
; %bb.260:
	s_mov_b32 s1, exec_lo
	v_cmpx_ge_u32_e64 v0, v6
	s_xor_b32 s1, exec_lo, s1
	s_cbranch_execz .LBB867_266
; %bb.261:
	v_mov_b32_e32 v1, 0
	s_mov_b32 s3, exec_lo
	v_cmpx_ge_u32_e64 v0, v18
	s_xor_b32 s3, exec_lo, s3
	s_cbranch_execz .LBB867_263
; %bb.262:
	v_lshlrev_b32_e32 v19, 2, v0
	v_add_nc_u64_e32 v[20:21], v[14:15], v[0:1]
	ds_load_b32 v1, v19
	v_lshlrev_b64_e32 v[20:21], 2, v[20:21]
	s_delay_alu instid0(VALU_DEP_1)
	v_sub_nc_u64_e32 v[20:21], s[14:15], v[20:21]
	s_wait_dscnt 0x0
	global_store_b32 v[20:21], v1, off offset:-4
.LBB867_263:
	s_wait_xcnt 0x0
	s_and_not1_saveexec_b32 s3, s3
	s_cbranch_execz .LBB867_265
; %bb.264:
	v_lshlrev_b32_e32 v1, 2, v0
	v_readfirstlane_b32 s6, v8
	v_readfirstlane_b32 s7, v9
	ds_load_b32 v1, v1
	s_wait_dscnt 0x0
	global_store_b32 v0, v1, s[6:7] scale_offset
.LBB867_265:
	s_wait_xcnt 0x0
	s_or_b32 exec_lo, exec_lo, s3
.LBB867_266:
	s_and_not1_saveexec_b32 s1, s1
	s_cbranch_execz .LBB867_268
; %bb.267:
	v_lshlrev_b32_e32 v1, 2, v0
	v_readfirstlane_b32 s6, v16
	v_readfirstlane_b32 s7, v17
	ds_load_b32 v1, v1
	s_wait_dscnt 0x0
	global_store_b32 v0, v1, s[6:7] scale_offset
.LBB867_268:
	s_wait_xcnt 0x0
	s_or_b32 exec_lo, exec_lo, s0
	v_or_b32_e32 v1, 0x100, v0
	s_mov_b32 s0, exec_lo
	s_delay_alu instid0(VALU_DEP_1)
	v_cmpx_gt_u32_e64 s5, v1
	s_cbranch_execz .LBB867_277
; %bb.269:
	s_mov_b32 s1, exec_lo
	v_cmpx_ge_u32_e64 v1, v6
	s_xor_b32 s1, exec_lo, s1
	s_cbranch_execz .LBB867_275
; %bb.270:
	s_mov_b32 s3, exec_lo
	v_cmpx_ge_u32_e64 v1, v18
	s_xor_b32 s3, exec_lo, s3
	s_cbranch_execz .LBB867_272
; %bb.271:
	v_dual_mov_b32 v1, 0 :: v_dual_lshlrev_b32 v19, 2, v0
	s_delay_alu instid0(VALU_DEP_1) | instskip(SKIP_2) | instid1(VALU_DEP_1)
	v_add_nc_u64_e32 v[20:21], v[14:15], v[0:1]
	ds_load_b32 v1, v19 offset:1024
	v_lshlrev_b64_e32 v[20:21], 2, v[20:21]
	v_sub_nc_u64_e32 v[20:21], s[14:15], v[20:21]
	s_wait_dscnt 0x0
	global_store_b32 v[20:21], v1, off offset:-1028
.LBB867_272:
	s_wait_xcnt 0x0
	s_and_not1_saveexec_b32 s3, s3
	s_cbranch_execz .LBB867_274
; %bb.273:
	v_lshlrev_b32_e32 v1, 2, v0
	v_readfirstlane_b32 s6, v8
	v_readfirstlane_b32 s7, v9
	ds_load_b32 v1, v1 offset:1024
	s_wait_dscnt 0x0
	global_store_b32 v0, v1, s[6:7] offset:1024 scale_offset
.LBB867_274:
	s_wait_xcnt 0x0
	s_or_b32 exec_lo, exec_lo, s3
.LBB867_275:
	s_and_not1_saveexec_b32 s1, s1
	s_cbranch_execz .LBB867_277
; %bb.276:
	v_lshlrev_b32_e32 v1, 2, v0
	v_readfirstlane_b32 s6, v16
	v_readfirstlane_b32 s7, v17
	ds_load_b32 v1, v1 offset:1024
	s_wait_dscnt 0x0
	global_store_b32 v0, v1, s[6:7] offset:1024 scale_offset
.LBB867_277:
	s_wait_xcnt 0x0
	s_or_b32 exec_lo, exec_lo, s0
	v_or_b32_e32 v1, 0x200, v0
	s_mov_b32 s0, exec_lo
	s_delay_alu instid0(VALU_DEP_1)
	v_cmpx_gt_u32_e64 s5, v1
	s_cbranch_execz .LBB867_286
; %bb.278:
	s_mov_b32 s1, exec_lo
	v_cmpx_ge_u32_e64 v1, v6
	s_xor_b32 s1, exec_lo, s1
	s_cbranch_execz .LBB867_284
; %bb.279:
	s_mov_b32 s3, exec_lo
	v_cmpx_ge_u32_e64 v1, v18
	s_xor_b32 s3, exec_lo, s3
	s_cbranch_execz .LBB867_281
; %bb.280:
	v_dual_mov_b32 v1, 0 :: v_dual_lshlrev_b32 v19, 2, v0
	s_delay_alu instid0(VALU_DEP_1) | instskip(SKIP_2) | instid1(VALU_DEP_1)
	v_add_nc_u64_e32 v[20:21], v[14:15], v[0:1]
	ds_load_b32 v1, v19 offset:2048
	v_lshlrev_b64_e32 v[20:21], 2, v[20:21]
	v_sub_nc_u64_e32 v[20:21], s[14:15], v[20:21]
	s_wait_dscnt 0x0
	global_store_b32 v[20:21], v1, off offset:-2052
.LBB867_281:
	s_wait_xcnt 0x0
	s_and_not1_saveexec_b32 s3, s3
	s_cbranch_execz .LBB867_283
; %bb.282:
	v_lshlrev_b32_e32 v1, 2, v0
	v_readfirstlane_b32 s6, v8
	v_readfirstlane_b32 s7, v9
	ds_load_b32 v1, v1 offset:2048
	s_wait_dscnt 0x0
	global_store_b32 v0, v1, s[6:7] offset:2048 scale_offset
.LBB867_283:
	s_wait_xcnt 0x0
	s_or_b32 exec_lo, exec_lo, s3
.LBB867_284:
	s_and_not1_saveexec_b32 s1, s1
	s_cbranch_execz .LBB867_286
; %bb.285:
	v_lshlrev_b32_e32 v1, 2, v0
	v_readfirstlane_b32 s6, v16
	v_readfirstlane_b32 s7, v17
	ds_load_b32 v1, v1 offset:2048
	s_wait_dscnt 0x0
	global_store_b32 v0, v1, s[6:7] offset:2048 scale_offset
.LBB867_286:
	s_wait_xcnt 0x0
	s_or_b32 exec_lo, exec_lo, s0
	v_or_b32_e32 v1, 0x300, v0
	s_mov_b32 s0, exec_lo
	s_delay_alu instid0(VALU_DEP_1)
	v_cmpx_gt_u32_e64 s5, v1
	s_cbranch_execz .LBB867_295
; %bb.287:
	s_mov_b32 s1, exec_lo
	v_cmpx_ge_u32_e64 v1, v6
	s_xor_b32 s1, exec_lo, s1
	s_cbranch_execz .LBB867_293
; %bb.288:
	s_mov_b32 s3, exec_lo
	v_cmpx_ge_u32_e64 v1, v18
	s_xor_b32 s3, exec_lo, s3
	s_cbranch_execz .LBB867_290
; %bb.289:
	v_dual_mov_b32 v1, 0 :: v_dual_lshlrev_b32 v19, 2, v0
	s_delay_alu instid0(VALU_DEP_1) | instskip(SKIP_2) | instid1(VALU_DEP_1)
	v_add_nc_u64_e32 v[20:21], v[14:15], v[0:1]
	ds_load_b32 v1, v19 offset:3072
	v_lshlrev_b64_e32 v[20:21], 2, v[20:21]
	v_sub_nc_u64_e32 v[20:21], s[14:15], v[20:21]
	s_wait_dscnt 0x0
	global_store_b32 v[20:21], v1, off offset:-3076
.LBB867_290:
	s_wait_xcnt 0x0
	s_and_not1_saveexec_b32 s3, s3
	s_cbranch_execz .LBB867_292
; %bb.291:
	v_lshlrev_b32_e32 v1, 2, v0
	v_readfirstlane_b32 s6, v8
	v_readfirstlane_b32 s7, v9
	ds_load_b32 v1, v1 offset:3072
	s_wait_dscnt 0x0
	global_store_b32 v0, v1, s[6:7] offset:3072 scale_offset
.LBB867_292:
	s_wait_xcnt 0x0
	s_or_b32 exec_lo, exec_lo, s3
.LBB867_293:
	s_and_not1_saveexec_b32 s1, s1
	s_cbranch_execz .LBB867_295
; %bb.294:
	v_lshlrev_b32_e32 v1, 2, v0
	v_readfirstlane_b32 s6, v16
	v_readfirstlane_b32 s7, v17
	ds_load_b32 v1, v1 offset:3072
	s_wait_dscnt 0x0
	global_store_b32 v0, v1, s[6:7] offset:3072 scale_offset
.LBB867_295:
	s_wait_xcnt 0x0
	s_or_b32 exec_lo, exec_lo, s0
	v_or_b32_e32 v1, 0x400, v0
	s_mov_b32 s0, exec_lo
	s_delay_alu instid0(VALU_DEP_1)
	v_cmpx_gt_u32_e64 s5, v1
	s_cbranch_execz .LBB867_304
; %bb.296:
	s_mov_b32 s1, exec_lo
	v_cmpx_ge_u32_e64 v1, v6
	s_xor_b32 s1, exec_lo, s1
	s_cbranch_execz .LBB867_302
; %bb.297:
	s_mov_b32 s3, exec_lo
	v_cmpx_ge_u32_e64 v1, v18
	s_xor_b32 s3, exec_lo, s3
	s_cbranch_execz .LBB867_299
; %bb.298:
	v_dual_mov_b32 v1, 0 :: v_dual_lshlrev_b32 v19, 2, v0
	s_delay_alu instid0(VALU_DEP_1) | instskip(SKIP_2) | instid1(VALU_DEP_1)
	v_add_nc_u64_e32 v[20:21], v[14:15], v[0:1]
	ds_load_b32 v1, v19 offset:4096
	v_lshlrev_b64_e32 v[20:21], 2, v[20:21]
	v_sub_nc_u64_e32 v[20:21], s[14:15], v[20:21]
	s_wait_dscnt 0x0
	global_store_b32 v[20:21], v1, off offset:-4100
.LBB867_299:
	s_wait_xcnt 0x0
	s_and_not1_saveexec_b32 s3, s3
	s_cbranch_execz .LBB867_301
; %bb.300:
	v_lshlrev_b32_e32 v1, 2, v0
	v_readfirstlane_b32 s6, v8
	v_readfirstlane_b32 s7, v9
	ds_load_b32 v1, v1 offset:4096
	s_wait_dscnt 0x0
	global_store_b32 v0, v1, s[6:7] offset:4096 scale_offset
.LBB867_301:
	s_wait_xcnt 0x0
	s_or_b32 exec_lo, exec_lo, s3
.LBB867_302:
	s_and_not1_saveexec_b32 s1, s1
	s_cbranch_execz .LBB867_304
; %bb.303:
	v_lshlrev_b32_e32 v1, 2, v0
	v_readfirstlane_b32 s6, v16
	v_readfirstlane_b32 s7, v17
	ds_load_b32 v1, v1 offset:4096
	s_wait_dscnt 0x0
	global_store_b32 v0, v1, s[6:7] offset:4096 scale_offset
.LBB867_304:
	s_wait_xcnt 0x0
	s_or_b32 exec_lo, exec_lo, s0
	v_or_b32_e32 v1, 0x500, v0
	s_mov_b32 s0, exec_lo
	s_delay_alu instid0(VALU_DEP_1)
	v_cmpx_gt_u32_e64 s5, v1
	s_cbranch_execz .LBB867_313
; %bb.305:
	s_mov_b32 s1, exec_lo
	v_cmpx_ge_u32_e64 v1, v6
	s_xor_b32 s1, exec_lo, s1
	s_cbranch_execz .LBB867_311
; %bb.306:
	s_mov_b32 s3, exec_lo
	v_cmpx_ge_u32_e64 v1, v18
	s_xor_b32 s3, exec_lo, s3
	s_cbranch_execz .LBB867_308
; %bb.307:
	v_dual_mov_b32 v1, 0 :: v_dual_lshlrev_b32 v19, 2, v0
	s_delay_alu instid0(VALU_DEP_1) | instskip(SKIP_2) | instid1(VALU_DEP_1)
	v_add_nc_u64_e32 v[20:21], v[14:15], v[0:1]
	ds_load_b32 v1, v19 offset:5120
	v_lshlrev_b64_e32 v[20:21], 2, v[20:21]
	v_sub_nc_u64_e32 v[20:21], s[14:15], v[20:21]
	s_wait_dscnt 0x0
	global_store_b32 v[20:21], v1, off offset:-5124
.LBB867_308:
	s_wait_xcnt 0x0
	s_and_not1_saveexec_b32 s3, s3
	s_cbranch_execz .LBB867_310
; %bb.309:
	v_lshlrev_b32_e32 v1, 2, v0
	v_readfirstlane_b32 s6, v8
	v_readfirstlane_b32 s7, v9
	ds_load_b32 v1, v1 offset:5120
	s_wait_dscnt 0x0
	global_store_b32 v0, v1, s[6:7] offset:5120 scale_offset
.LBB867_310:
	s_wait_xcnt 0x0
	s_or_b32 exec_lo, exec_lo, s3
.LBB867_311:
	s_and_not1_saveexec_b32 s1, s1
	s_cbranch_execz .LBB867_313
; %bb.312:
	v_lshlrev_b32_e32 v1, 2, v0
	v_readfirstlane_b32 s6, v16
	v_readfirstlane_b32 s7, v17
	ds_load_b32 v1, v1 offset:5120
	s_wait_dscnt 0x0
	global_store_b32 v0, v1, s[6:7] offset:5120 scale_offset
.LBB867_313:
	s_wait_xcnt 0x0
	s_or_b32 exec_lo, exec_lo, s0
	v_or_b32_e32 v1, 0x600, v0
	s_mov_b32 s0, exec_lo
	s_delay_alu instid0(VALU_DEP_1)
	v_cmpx_gt_u32_e64 s5, v1
	s_cbranch_execz .LBB867_322
; %bb.314:
	s_mov_b32 s1, exec_lo
	v_cmpx_ge_u32_e64 v1, v6
	s_xor_b32 s1, exec_lo, s1
	s_cbranch_execz .LBB867_320
; %bb.315:
	s_mov_b32 s3, exec_lo
	v_cmpx_ge_u32_e64 v1, v18
	s_xor_b32 s3, exec_lo, s3
	s_cbranch_execz .LBB867_317
; %bb.316:
	v_dual_mov_b32 v1, 0 :: v_dual_lshlrev_b32 v19, 2, v0
	s_delay_alu instid0(VALU_DEP_1) | instskip(SKIP_2) | instid1(VALU_DEP_1)
	v_add_nc_u64_e32 v[20:21], v[14:15], v[0:1]
	ds_load_b32 v1, v19 offset:6144
	v_lshlrev_b64_e32 v[20:21], 2, v[20:21]
	v_sub_nc_u64_e32 v[20:21], s[14:15], v[20:21]
	s_wait_dscnt 0x0
	global_store_b32 v[20:21], v1, off offset:-6148
.LBB867_317:
	s_wait_xcnt 0x0
	s_and_not1_saveexec_b32 s3, s3
	s_cbranch_execz .LBB867_319
; %bb.318:
	v_lshlrev_b32_e32 v1, 2, v0
	v_readfirstlane_b32 s6, v8
	v_readfirstlane_b32 s7, v9
	ds_load_b32 v1, v1 offset:6144
	s_wait_dscnt 0x0
	global_store_b32 v0, v1, s[6:7] offset:6144 scale_offset
.LBB867_319:
	s_wait_xcnt 0x0
	s_or_b32 exec_lo, exec_lo, s3
.LBB867_320:
	s_and_not1_saveexec_b32 s1, s1
	s_cbranch_execz .LBB867_322
; %bb.321:
	v_lshlrev_b32_e32 v1, 2, v0
	v_readfirstlane_b32 s6, v16
	v_readfirstlane_b32 s7, v17
	ds_load_b32 v1, v1 offset:6144
	s_wait_dscnt 0x0
	global_store_b32 v0, v1, s[6:7] offset:6144 scale_offset
.LBB867_322:
	s_wait_xcnt 0x0
	s_or_b32 exec_lo, exec_lo, s0
	v_or_b32_e32 v1, 0x700, v0
	s_mov_b32 s0, exec_lo
	s_delay_alu instid0(VALU_DEP_1)
	v_cmpx_gt_u32_e64 s5, v1
	s_cbranch_execz .LBB867_331
; %bb.323:
	s_mov_b32 s1, exec_lo
	v_cmpx_ge_u32_e64 v1, v6
	s_xor_b32 s1, exec_lo, s1
	s_cbranch_execz .LBB867_329
; %bb.324:
	s_mov_b32 s3, exec_lo
	v_cmpx_ge_u32_e64 v1, v18
	s_xor_b32 s3, exec_lo, s3
	s_cbranch_execz .LBB867_326
; %bb.325:
	v_dual_mov_b32 v1, 0 :: v_dual_lshlrev_b32 v19, 2, v0
	s_delay_alu instid0(VALU_DEP_1) | instskip(SKIP_2) | instid1(VALU_DEP_1)
	v_add_nc_u64_e32 v[20:21], v[14:15], v[0:1]
	ds_load_b32 v1, v19 offset:7168
	v_lshlrev_b64_e32 v[20:21], 2, v[20:21]
	v_sub_nc_u64_e32 v[20:21], s[14:15], v[20:21]
	s_wait_dscnt 0x0
	global_store_b32 v[20:21], v1, off offset:-7172
.LBB867_326:
	s_wait_xcnt 0x0
	s_and_not1_saveexec_b32 s3, s3
	s_cbranch_execz .LBB867_328
; %bb.327:
	v_lshlrev_b32_e32 v1, 2, v0
	v_readfirstlane_b32 s6, v8
	v_readfirstlane_b32 s7, v9
	ds_load_b32 v1, v1 offset:7168
	s_wait_dscnt 0x0
	global_store_b32 v0, v1, s[6:7] offset:7168 scale_offset
.LBB867_328:
	s_wait_xcnt 0x0
	s_or_b32 exec_lo, exec_lo, s3
.LBB867_329:
	s_and_not1_saveexec_b32 s1, s1
	s_cbranch_execz .LBB867_331
; %bb.330:
	v_lshlrev_b32_e32 v1, 2, v0
	v_readfirstlane_b32 s6, v16
	v_readfirstlane_b32 s7, v17
	ds_load_b32 v1, v1 offset:7168
	s_wait_dscnt 0x0
	global_store_b32 v0, v1, s[6:7] offset:7168 scale_offset
.LBB867_331:
	s_wait_xcnt 0x0
	s_or_b32 exec_lo, exec_lo, s0
	v_or_b32_e32 v1, 0x800, v0
	s_mov_b32 s0, exec_lo
	s_delay_alu instid0(VALU_DEP_1)
	v_cmpx_gt_u32_e64 s5, v1
	s_cbranch_execz .LBB867_340
; %bb.332:
	s_mov_b32 s1, exec_lo
	v_cmpx_ge_u32_e64 v1, v6
	s_xor_b32 s1, exec_lo, s1
	s_cbranch_execz .LBB867_338
; %bb.333:
	s_mov_b32 s3, exec_lo
	v_cmpx_ge_u32_e64 v1, v18
	s_xor_b32 s3, exec_lo, s3
	s_cbranch_execz .LBB867_335
; %bb.334:
	v_dual_mov_b32 v1, 0 :: v_dual_lshlrev_b32 v19, 2, v0
	s_delay_alu instid0(VALU_DEP_1) | instskip(SKIP_2) | instid1(VALU_DEP_1)
	v_add_nc_u64_e32 v[20:21], v[14:15], v[0:1]
	ds_load_b32 v1, v19 offset:8192
	v_lshlrev_b64_e32 v[20:21], 2, v[20:21]
	v_sub_nc_u64_e32 v[20:21], s[14:15], v[20:21]
	s_wait_dscnt 0x0
	global_store_b32 v[20:21], v1, off offset:-8196
.LBB867_335:
	s_wait_xcnt 0x0
	s_and_not1_saveexec_b32 s3, s3
	s_cbranch_execz .LBB867_337
; %bb.336:
	v_lshlrev_b32_e32 v1, 2, v0
	v_readfirstlane_b32 s6, v8
	v_readfirstlane_b32 s7, v9
	ds_load_b32 v1, v1 offset:8192
	s_wait_dscnt 0x0
	global_store_b32 v0, v1, s[6:7] offset:8192 scale_offset
.LBB867_337:
	s_wait_xcnt 0x0
	s_or_b32 exec_lo, exec_lo, s3
.LBB867_338:
	s_and_not1_saveexec_b32 s1, s1
	s_cbranch_execz .LBB867_340
; %bb.339:
	v_lshlrev_b32_e32 v1, 2, v0
	v_readfirstlane_b32 s6, v16
	v_readfirstlane_b32 s7, v17
	ds_load_b32 v1, v1 offset:8192
	s_wait_dscnt 0x0
	global_store_b32 v0, v1, s[6:7] offset:8192 scale_offset
.LBB867_340:
	s_wait_xcnt 0x0
	s_or_b32 exec_lo, exec_lo, s0
	v_or_b32_e32 v1, 0x900, v0
	s_mov_b32 s0, exec_lo
	s_delay_alu instid0(VALU_DEP_1)
	v_cmpx_gt_u32_e64 s5, v1
	s_cbranch_execz .LBB867_349
; %bb.341:
	s_mov_b32 s1, exec_lo
	v_cmpx_ge_u32_e64 v1, v6
	s_xor_b32 s1, exec_lo, s1
	s_cbranch_execz .LBB867_347
; %bb.342:
	s_mov_b32 s3, exec_lo
	v_cmpx_ge_u32_e64 v1, v18
	s_xor_b32 s3, exec_lo, s3
	s_cbranch_execz .LBB867_344
; %bb.343:
	v_dual_mov_b32 v1, 0 :: v_dual_lshlrev_b32 v19, 2, v0
	s_delay_alu instid0(VALU_DEP_1) | instskip(SKIP_2) | instid1(VALU_DEP_1)
	v_add_nc_u64_e32 v[20:21], v[14:15], v[0:1]
	ds_load_b32 v1, v19 offset:9216
	v_lshlrev_b64_e32 v[20:21], 2, v[20:21]
	v_sub_nc_u64_e32 v[20:21], s[14:15], v[20:21]
	s_wait_dscnt 0x0
	global_store_b32 v[20:21], v1, off offset:-9220
.LBB867_344:
	s_wait_xcnt 0x0
	s_and_not1_saveexec_b32 s3, s3
	s_cbranch_execz .LBB867_346
; %bb.345:
	v_lshlrev_b32_e32 v1, 2, v0
	v_readfirstlane_b32 s6, v8
	v_readfirstlane_b32 s7, v9
	ds_load_b32 v1, v1 offset:9216
	s_wait_dscnt 0x0
	global_store_b32 v0, v1, s[6:7] offset:9216 scale_offset
.LBB867_346:
	s_wait_xcnt 0x0
	s_or_b32 exec_lo, exec_lo, s3
.LBB867_347:
	s_and_not1_saveexec_b32 s1, s1
	s_cbranch_execz .LBB867_349
; %bb.348:
	v_lshlrev_b32_e32 v1, 2, v0
	v_readfirstlane_b32 s6, v16
	v_readfirstlane_b32 s7, v17
	ds_load_b32 v1, v1 offset:9216
	s_wait_dscnt 0x0
	global_store_b32 v0, v1, s[6:7] offset:9216 scale_offset
.LBB867_349:
	s_wait_xcnt 0x0
	s_or_b32 exec_lo, exec_lo, s0
	v_or_b32_e32 v1, 0xa00, v0
	s_mov_b32 s0, exec_lo
	s_delay_alu instid0(VALU_DEP_1)
	v_cmpx_gt_u32_e64 s5, v1
	s_cbranch_execz .LBB867_358
; %bb.350:
	s_mov_b32 s1, exec_lo
	v_cmpx_ge_u32_e64 v1, v6
	s_xor_b32 s1, exec_lo, s1
	s_cbranch_execz .LBB867_356
; %bb.351:
	s_mov_b32 s3, exec_lo
	v_cmpx_ge_u32_e64 v1, v18
	s_xor_b32 s3, exec_lo, s3
	s_cbranch_execz .LBB867_353
; %bb.352:
	v_dual_mov_b32 v1, 0 :: v_dual_lshlrev_b32 v19, 2, v0
	s_delay_alu instid0(VALU_DEP_1) | instskip(SKIP_2) | instid1(VALU_DEP_1)
	v_add_nc_u64_e32 v[20:21], v[14:15], v[0:1]
	ds_load_b32 v1, v19 offset:10240
	v_lshlrev_b64_e32 v[20:21], 2, v[20:21]
	v_sub_nc_u64_e32 v[20:21], s[14:15], v[20:21]
	s_wait_dscnt 0x0
	global_store_b32 v[20:21], v1, off offset:-10244
.LBB867_353:
	s_wait_xcnt 0x0
	s_and_not1_saveexec_b32 s3, s3
	s_cbranch_execz .LBB867_355
; %bb.354:
	v_lshlrev_b32_e32 v1, 2, v0
	v_readfirstlane_b32 s6, v8
	v_readfirstlane_b32 s7, v9
	ds_load_b32 v1, v1 offset:10240
	s_wait_dscnt 0x0
	global_store_b32 v0, v1, s[6:7] offset:10240 scale_offset
.LBB867_355:
	s_wait_xcnt 0x0
	s_or_b32 exec_lo, exec_lo, s3
.LBB867_356:
	s_and_not1_saveexec_b32 s1, s1
	s_cbranch_execz .LBB867_358
; %bb.357:
	v_lshlrev_b32_e32 v1, 2, v0
	v_readfirstlane_b32 s6, v16
	v_readfirstlane_b32 s7, v17
	ds_load_b32 v1, v1 offset:10240
	s_wait_dscnt 0x0
	global_store_b32 v0, v1, s[6:7] offset:10240 scale_offset
.LBB867_358:
	s_wait_xcnt 0x0
	s_or_b32 exec_lo, exec_lo, s0
	v_or_b32_e32 v1, 0xb00, v0
	s_mov_b32 s0, exec_lo
	s_delay_alu instid0(VALU_DEP_1)
	v_cmpx_gt_u32_e64 s5, v1
	s_cbranch_execz .LBB867_367
; %bb.359:
	s_mov_b32 s1, exec_lo
	v_cmpx_ge_u32_e64 v1, v6
	s_xor_b32 s1, exec_lo, s1
	s_cbranch_execz .LBB867_365
; %bb.360:
	s_mov_b32 s3, exec_lo
	v_cmpx_ge_u32_e64 v1, v18
	s_xor_b32 s3, exec_lo, s3
	s_cbranch_execz .LBB867_362
; %bb.361:
	v_dual_mov_b32 v1, 0 :: v_dual_lshlrev_b32 v19, 2, v0
	s_delay_alu instid0(VALU_DEP_1) | instskip(SKIP_2) | instid1(VALU_DEP_1)
	v_add_nc_u64_e32 v[20:21], v[14:15], v[0:1]
	ds_load_b32 v1, v19 offset:11264
	v_lshlrev_b64_e32 v[20:21], 2, v[20:21]
	v_sub_nc_u64_e32 v[20:21], s[14:15], v[20:21]
	s_wait_dscnt 0x0
	global_store_b32 v[20:21], v1, off offset:-11268
.LBB867_362:
	s_wait_xcnt 0x0
	s_and_not1_saveexec_b32 s3, s3
	s_cbranch_execz .LBB867_364
; %bb.363:
	v_lshlrev_b32_e32 v1, 2, v0
	v_readfirstlane_b32 s6, v8
	v_readfirstlane_b32 s7, v9
	ds_load_b32 v1, v1 offset:11264
	s_wait_dscnt 0x0
	global_store_b32 v0, v1, s[6:7] offset:11264 scale_offset
.LBB867_364:
	s_wait_xcnt 0x0
	s_or_b32 exec_lo, exec_lo, s3
.LBB867_365:
	s_and_not1_saveexec_b32 s1, s1
	s_cbranch_execz .LBB867_367
; %bb.366:
	v_lshlrev_b32_e32 v1, 2, v0
	v_readfirstlane_b32 s6, v16
	v_readfirstlane_b32 s7, v17
	ds_load_b32 v1, v1 offset:11264
	s_wait_dscnt 0x0
	global_store_b32 v0, v1, s[6:7] offset:11264 scale_offset
.LBB867_367:
	s_wait_xcnt 0x0
	s_or_b32 exec_lo, exec_lo, s0
	v_or_b32_e32 v1, 0xc00, v0
	s_mov_b32 s0, exec_lo
	s_delay_alu instid0(VALU_DEP_1)
	v_cmpx_gt_u32_e64 s5, v1
	s_cbranch_execz .LBB867_376
; %bb.368:
	s_mov_b32 s1, exec_lo
	v_cmpx_ge_u32_e64 v1, v6
	s_xor_b32 s1, exec_lo, s1
	s_cbranch_execz .LBB867_374
; %bb.369:
	s_mov_b32 s3, exec_lo
	v_cmpx_ge_u32_e64 v1, v18
	s_xor_b32 s3, exec_lo, s3
	s_cbranch_execz .LBB867_371
; %bb.370:
	v_dual_mov_b32 v1, 0 :: v_dual_lshlrev_b32 v8, 2, v0
	s_delay_alu instid0(VALU_DEP_1) | instskip(SKIP_2) | instid1(VALU_DEP_1)
	v_add_nc_u64_e32 v[0:1], v[14:15], v[0:1]
	ds_load_b32 v8, v8 offset:12288
	v_lshlrev_b64_e32 v[0:1], 2, v[0:1]
	v_sub_nc_u64_e32 v[0:1], s[14:15], v[0:1]
	s_wait_dscnt 0x0
	global_store_b32 v[0:1], v8, off offset:-12292
                                        ; implicit-def: $vgpr0
                                        ; implicit-def: $vgpr8_vgpr9
.LBB867_371:
	s_wait_xcnt 0x0
	s_and_not1_saveexec_b32 s3, s3
	s_cbranch_execz .LBB867_373
; %bb.372:
	v_lshlrev_b32_e32 v1, 2, v0
	v_readfirstlane_b32 s4, v8
	v_readfirstlane_b32 s5, v9
	ds_load_b32 v1, v1 offset:12288
	s_wait_dscnt 0x0
	global_store_b32 v0, v1, s[4:5] offset:12288 scale_offset
.LBB867_373:
	s_wait_xcnt 0x0
	s_or_b32 exec_lo, exec_lo, s3
                                        ; implicit-def: $vgpr0
                                        ; implicit-def: $vgpr16_vgpr17
.LBB867_374:
	s_and_not1_saveexec_b32 s1, s1
	s_cbranch_execz .LBB867_376
; %bb.375:
	v_lshlrev_b32_e32 v1, 2, v0
	v_readfirstlane_b32 s4, v16
	v_readfirstlane_b32 s5, v17
	ds_load_b32 v1, v1 offset:12288
	s_wait_dscnt 0x0
	global_store_b32 v0, v1, s[4:5] offset:12288 scale_offset
.LBB867_376:
	s_wait_xcnt 0x0
	s_or_b32 exec_lo, exec_lo, s0
	s_and_b32 s0, s2, s26
	s_delay_alu instid0(SALU_CYCLE_1)
	s_and_saveexec_b32 s1, s0
	s_cbranch_execz .LBB867_153
.LBB867_377:
	v_add_nc_u64_e32 v[0:1], v[4:5], v[12:13]
	v_add_nc_u64_e32 v[2:3], v[2:3], v[6:7]
	s_delay_alu instid0(VALU_DEP_2)
	v_add_nc_u64_e32 v[4:5], v[0:1], v[10:11]
	v_mov_b32_e32 v0, 0
	global_store_b128 v0, v[2:5], s[24:25]
	s_sendmsg sendmsg(MSG_DEALLOC_VGPRS)
	s_endpgm
	.section	.rodata,"a",@progbits
	.p2align	6, 0x0
	.amdhsa_kernel _ZN7rocprim17ROCPRIM_400000_NS6detail17trampoline_kernelINS0_13select_configILj256ELj13ELNS0_17block_load_methodE3ELS4_3ELS4_3ELNS0_20block_scan_algorithmE0ELj4294967295EEENS1_25partition_config_selectorILNS1_17partition_subalgoE4EjNS0_10empty_typeEbEEZZNS1_14partition_implILS8_4ELb0ES6_15HIP_vector_typeIjLj2EENS0_17counting_iteratorIjlEEPS9_SG_NS0_5tupleIJPjSI_NS0_16reverse_iteratorISI_EEEEENSH_IJSG_SG_SG_EEES9_SI_JZNS1_25segmented_radix_sort_implINS0_14default_configELb1EPKsPsPKlPlN2at6native12_GLOBAL__N_18offset_tEEE10hipError_tPvRmT1_PNSt15iterator_traitsIS12_E10value_typeET2_T3_PNS13_IS18_E10value_typeET4_jRbjT5_S1E_jjP12ihipStream_tbEUljE_ZNSN_ISO_Lb1ESQ_SR_ST_SU_SY_EESZ_S10_S11_S12_S16_S17_S18_S1B_S1C_jS1D_jS1E_S1E_jjS1G_bEUljE0_EEESZ_S10_S11_S18_S1C_S1E_T6_T7_T9_mT8_S1G_bDpT10_ENKUlT_T0_E_clISt17integral_constantIbLb0EES1T_IbLb1EEEEDaS1P_S1Q_EUlS1P_E_NS1_11comp_targetILNS1_3genE0ELNS1_11target_archE4294967295ELNS1_3gpuE0ELNS1_3repE0EEENS1_30default_config_static_selectorELNS0_4arch9wavefront6targetE0EEEvS12_
		.amdhsa_group_segment_fixed_size 13328
		.amdhsa_private_segment_fixed_size 0
		.amdhsa_kernarg_size 184
		.amdhsa_user_sgpr_count 2
		.amdhsa_user_sgpr_dispatch_ptr 0
		.amdhsa_user_sgpr_queue_ptr 0
		.amdhsa_user_sgpr_kernarg_segment_ptr 1
		.amdhsa_user_sgpr_dispatch_id 0
		.amdhsa_user_sgpr_kernarg_preload_length 0
		.amdhsa_user_sgpr_kernarg_preload_offset 0
		.amdhsa_user_sgpr_private_segment_size 0
		.amdhsa_wavefront_size32 1
		.amdhsa_uses_dynamic_stack 0
		.amdhsa_enable_private_segment 0
		.amdhsa_system_sgpr_workgroup_id_x 1
		.amdhsa_system_sgpr_workgroup_id_y 0
		.amdhsa_system_sgpr_workgroup_id_z 0
		.amdhsa_system_sgpr_workgroup_info 0
		.amdhsa_system_vgpr_workitem_id 0
		.amdhsa_next_free_vgpr 86
		.amdhsa_next_free_sgpr 55
		.amdhsa_named_barrier_count 0
		.amdhsa_reserve_vcc 1
		.amdhsa_float_round_mode_32 0
		.amdhsa_float_round_mode_16_64 0
		.amdhsa_float_denorm_mode_32 3
		.amdhsa_float_denorm_mode_16_64 3
		.amdhsa_fp16_overflow 0
		.amdhsa_memory_ordered 1
		.amdhsa_forward_progress 1
		.amdhsa_inst_pref_size 140
		.amdhsa_round_robin_scheduling 0
		.amdhsa_exception_fp_ieee_invalid_op 0
		.amdhsa_exception_fp_denorm_src 0
		.amdhsa_exception_fp_ieee_div_zero 0
		.amdhsa_exception_fp_ieee_overflow 0
		.amdhsa_exception_fp_ieee_underflow 0
		.amdhsa_exception_fp_ieee_inexact 0
		.amdhsa_exception_int_div_zero 0
	.end_amdhsa_kernel
	.section	.text._ZN7rocprim17ROCPRIM_400000_NS6detail17trampoline_kernelINS0_13select_configILj256ELj13ELNS0_17block_load_methodE3ELS4_3ELS4_3ELNS0_20block_scan_algorithmE0ELj4294967295EEENS1_25partition_config_selectorILNS1_17partition_subalgoE4EjNS0_10empty_typeEbEEZZNS1_14partition_implILS8_4ELb0ES6_15HIP_vector_typeIjLj2EENS0_17counting_iteratorIjlEEPS9_SG_NS0_5tupleIJPjSI_NS0_16reverse_iteratorISI_EEEEENSH_IJSG_SG_SG_EEES9_SI_JZNS1_25segmented_radix_sort_implINS0_14default_configELb1EPKsPsPKlPlN2at6native12_GLOBAL__N_18offset_tEEE10hipError_tPvRmT1_PNSt15iterator_traitsIS12_E10value_typeET2_T3_PNS13_IS18_E10value_typeET4_jRbjT5_S1E_jjP12ihipStream_tbEUljE_ZNSN_ISO_Lb1ESQ_SR_ST_SU_SY_EESZ_S10_S11_S12_S16_S17_S18_S1B_S1C_jS1D_jS1E_S1E_jjS1G_bEUljE0_EEESZ_S10_S11_S18_S1C_S1E_T6_T7_T9_mT8_S1G_bDpT10_ENKUlT_T0_E_clISt17integral_constantIbLb0EES1T_IbLb1EEEEDaS1P_S1Q_EUlS1P_E_NS1_11comp_targetILNS1_3genE0ELNS1_11target_archE4294967295ELNS1_3gpuE0ELNS1_3repE0EEENS1_30default_config_static_selectorELNS0_4arch9wavefront6targetE0EEEvS12_,"axG",@progbits,_ZN7rocprim17ROCPRIM_400000_NS6detail17trampoline_kernelINS0_13select_configILj256ELj13ELNS0_17block_load_methodE3ELS4_3ELS4_3ELNS0_20block_scan_algorithmE0ELj4294967295EEENS1_25partition_config_selectorILNS1_17partition_subalgoE4EjNS0_10empty_typeEbEEZZNS1_14partition_implILS8_4ELb0ES6_15HIP_vector_typeIjLj2EENS0_17counting_iteratorIjlEEPS9_SG_NS0_5tupleIJPjSI_NS0_16reverse_iteratorISI_EEEEENSH_IJSG_SG_SG_EEES9_SI_JZNS1_25segmented_radix_sort_implINS0_14default_configELb1EPKsPsPKlPlN2at6native12_GLOBAL__N_18offset_tEEE10hipError_tPvRmT1_PNSt15iterator_traitsIS12_E10value_typeET2_T3_PNS13_IS18_E10value_typeET4_jRbjT5_S1E_jjP12ihipStream_tbEUljE_ZNSN_ISO_Lb1ESQ_SR_ST_SU_SY_EESZ_S10_S11_S12_S16_S17_S18_S1B_S1C_jS1D_jS1E_S1E_jjS1G_bEUljE0_EEESZ_S10_S11_S18_S1C_S1E_T6_T7_T9_mT8_S1G_bDpT10_ENKUlT_T0_E_clISt17integral_constantIbLb0EES1T_IbLb1EEEEDaS1P_S1Q_EUlS1P_E_NS1_11comp_targetILNS1_3genE0ELNS1_11target_archE4294967295ELNS1_3gpuE0ELNS1_3repE0EEENS1_30default_config_static_selectorELNS0_4arch9wavefront6targetE0EEEvS12_,comdat
.Lfunc_end867:
	.size	_ZN7rocprim17ROCPRIM_400000_NS6detail17trampoline_kernelINS0_13select_configILj256ELj13ELNS0_17block_load_methodE3ELS4_3ELS4_3ELNS0_20block_scan_algorithmE0ELj4294967295EEENS1_25partition_config_selectorILNS1_17partition_subalgoE4EjNS0_10empty_typeEbEEZZNS1_14partition_implILS8_4ELb0ES6_15HIP_vector_typeIjLj2EENS0_17counting_iteratorIjlEEPS9_SG_NS0_5tupleIJPjSI_NS0_16reverse_iteratorISI_EEEEENSH_IJSG_SG_SG_EEES9_SI_JZNS1_25segmented_radix_sort_implINS0_14default_configELb1EPKsPsPKlPlN2at6native12_GLOBAL__N_18offset_tEEE10hipError_tPvRmT1_PNSt15iterator_traitsIS12_E10value_typeET2_T3_PNS13_IS18_E10value_typeET4_jRbjT5_S1E_jjP12ihipStream_tbEUljE_ZNSN_ISO_Lb1ESQ_SR_ST_SU_SY_EESZ_S10_S11_S12_S16_S17_S18_S1B_S1C_jS1D_jS1E_S1E_jjS1G_bEUljE0_EEESZ_S10_S11_S18_S1C_S1E_T6_T7_T9_mT8_S1G_bDpT10_ENKUlT_T0_E_clISt17integral_constantIbLb0EES1T_IbLb1EEEEDaS1P_S1Q_EUlS1P_E_NS1_11comp_targetILNS1_3genE0ELNS1_11target_archE4294967295ELNS1_3gpuE0ELNS1_3repE0EEENS1_30default_config_static_selectorELNS0_4arch9wavefront6targetE0EEEvS12_, .Lfunc_end867-_ZN7rocprim17ROCPRIM_400000_NS6detail17trampoline_kernelINS0_13select_configILj256ELj13ELNS0_17block_load_methodE3ELS4_3ELS4_3ELNS0_20block_scan_algorithmE0ELj4294967295EEENS1_25partition_config_selectorILNS1_17partition_subalgoE4EjNS0_10empty_typeEbEEZZNS1_14partition_implILS8_4ELb0ES6_15HIP_vector_typeIjLj2EENS0_17counting_iteratorIjlEEPS9_SG_NS0_5tupleIJPjSI_NS0_16reverse_iteratorISI_EEEEENSH_IJSG_SG_SG_EEES9_SI_JZNS1_25segmented_radix_sort_implINS0_14default_configELb1EPKsPsPKlPlN2at6native12_GLOBAL__N_18offset_tEEE10hipError_tPvRmT1_PNSt15iterator_traitsIS12_E10value_typeET2_T3_PNS13_IS18_E10value_typeET4_jRbjT5_S1E_jjP12ihipStream_tbEUljE_ZNSN_ISO_Lb1ESQ_SR_ST_SU_SY_EESZ_S10_S11_S12_S16_S17_S18_S1B_S1C_jS1D_jS1E_S1E_jjS1G_bEUljE0_EEESZ_S10_S11_S18_S1C_S1E_T6_T7_T9_mT8_S1G_bDpT10_ENKUlT_T0_E_clISt17integral_constantIbLb0EES1T_IbLb1EEEEDaS1P_S1Q_EUlS1P_E_NS1_11comp_targetILNS1_3genE0ELNS1_11target_archE4294967295ELNS1_3gpuE0ELNS1_3repE0EEENS1_30default_config_static_selectorELNS0_4arch9wavefront6targetE0EEEvS12_
                                        ; -- End function
	.set _ZN7rocprim17ROCPRIM_400000_NS6detail17trampoline_kernelINS0_13select_configILj256ELj13ELNS0_17block_load_methodE3ELS4_3ELS4_3ELNS0_20block_scan_algorithmE0ELj4294967295EEENS1_25partition_config_selectorILNS1_17partition_subalgoE4EjNS0_10empty_typeEbEEZZNS1_14partition_implILS8_4ELb0ES6_15HIP_vector_typeIjLj2EENS0_17counting_iteratorIjlEEPS9_SG_NS0_5tupleIJPjSI_NS0_16reverse_iteratorISI_EEEEENSH_IJSG_SG_SG_EEES9_SI_JZNS1_25segmented_radix_sort_implINS0_14default_configELb1EPKsPsPKlPlN2at6native12_GLOBAL__N_18offset_tEEE10hipError_tPvRmT1_PNSt15iterator_traitsIS12_E10value_typeET2_T3_PNS13_IS18_E10value_typeET4_jRbjT5_S1E_jjP12ihipStream_tbEUljE_ZNSN_ISO_Lb1ESQ_SR_ST_SU_SY_EESZ_S10_S11_S12_S16_S17_S18_S1B_S1C_jS1D_jS1E_S1E_jjS1G_bEUljE0_EEESZ_S10_S11_S18_S1C_S1E_T6_T7_T9_mT8_S1G_bDpT10_ENKUlT_T0_E_clISt17integral_constantIbLb0EES1T_IbLb1EEEEDaS1P_S1Q_EUlS1P_E_NS1_11comp_targetILNS1_3genE0ELNS1_11target_archE4294967295ELNS1_3gpuE0ELNS1_3repE0EEENS1_30default_config_static_selectorELNS0_4arch9wavefront6targetE0EEEvS12_.num_vgpr, 86
	.set _ZN7rocprim17ROCPRIM_400000_NS6detail17trampoline_kernelINS0_13select_configILj256ELj13ELNS0_17block_load_methodE3ELS4_3ELS4_3ELNS0_20block_scan_algorithmE0ELj4294967295EEENS1_25partition_config_selectorILNS1_17partition_subalgoE4EjNS0_10empty_typeEbEEZZNS1_14partition_implILS8_4ELb0ES6_15HIP_vector_typeIjLj2EENS0_17counting_iteratorIjlEEPS9_SG_NS0_5tupleIJPjSI_NS0_16reverse_iteratorISI_EEEEENSH_IJSG_SG_SG_EEES9_SI_JZNS1_25segmented_radix_sort_implINS0_14default_configELb1EPKsPsPKlPlN2at6native12_GLOBAL__N_18offset_tEEE10hipError_tPvRmT1_PNSt15iterator_traitsIS12_E10value_typeET2_T3_PNS13_IS18_E10value_typeET4_jRbjT5_S1E_jjP12ihipStream_tbEUljE_ZNSN_ISO_Lb1ESQ_SR_ST_SU_SY_EESZ_S10_S11_S12_S16_S17_S18_S1B_S1C_jS1D_jS1E_S1E_jjS1G_bEUljE0_EEESZ_S10_S11_S18_S1C_S1E_T6_T7_T9_mT8_S1G_bDpT10_ENKUlT_T0_E_clISt17integral_constantIbLb0EES1T_IbLb1EEEEDaS1P_S1Q_EUlS1P_E_NS1_11comp_targetILNS1_3genE0ELNS1_11target_archE4294967295ELNS1_3gpuE0ELNS1_3repE0EEENS1_30default_config_static_selectorELNS0_4arch9wavefront6targetE0EEEvS12_.num_agpr, 0
	.set _ZN7rocprim17ROCPRIM_400000_NS6detail17trampoline_kernelINS0_13select_configILj256ELj13ELNS0_17block_load_methodE3ELS4_3ELS4_3ELNS0_20block_scan_algorithmE0ELj4294967295EEENS1_25partition_config_selectorILNS1_17partition_subalgoE4EjNS0_10empty_typeEbEEZZNS1_14partition_implILS8_4ELb0ES6_15HIP_vector_typeIjLj2EENS0_17counting_iteratorIjlEEPS9_SG_NS0_5tupleIJPjSI_NS0_16reverse_iteratorISI_EEEEENSH_IJSG_SG_SG_EEES9_SI_JZNS1_25segmented_radix_sort_implINS0_14default_configELb1EPKsPsPKlPlN2at6native12_GLOBAL__N_18offset_tEEE10hipError_tPvRmT1_PNSt15iterator_traitsIS12_E10value_typeET2_T3_PNS13_IS18_E10value_typeET4_jRbjT5_S1E_jjP12ihipStream_tbEUljE_ZNSN_ISO_Lb1ESQ_SR_ST_SU_SY_EESZ_S10_S11_S12_S16_S17_S18_S1B_S1C_jS1D_jS1E_S1E_jjS1G_bEUljE0_EEESZ_S10_S11_S18_S1C_S1E_T6_T7_T9_mT8_S1G_bDpT10_ENKUlT_T0_E_clISt17integral_constantIbLb0EES1T_IbLb1EEEEDaS1P_S1Q_EUlS1P_E_NS1_11comp_targetILNS1_3genE0ELNS1_11target_archE4294967295ELNS1_3gpuE0ELNS1_3repE0EEENS1_30default_config_static_selectorELNS0_4arch9wavefront6targetE0EEEvS12_.numbered_sgpr, 55
	.set _ZN7rocprim17ROCPRIM_400000_NS6detail17trampoline_kernelINS0_13select_configILj256ELj13ELNS0_17block_load_methodE3ELS4_3ELS4_3ELNS0_20block_scan_algorithmE0ELj4294967295EEENS1_25partition_config_selectorILNS1_17partition_subalgoE4EjNS0_10empty_typeEbEEZZNS1_14partition_implILS8_4ELb0ES6_15HIP_vector_typeIjLj2EENS0_17counting_iteratorIjlEEPS9_SG_NS0_5tupleIJPjSI_NS0_16reverse_iteratorISI_EEEEENSH_IJSG_SG_SG_EEES9_SI_JZNS1_25segmented_radix_sort_implINS0_14default_configELb1EPKsPsPKlPlN2at6native12_GLOBAL__N_18offset_tEEE10hipError_tPvRmT1_PNSt15iterator_traitsIS12_E10value_typeET2_T3_PNS13_IS18_E10value_typeET4_jRbjT5_S1E_jjP12ihipStream_tbEUljE_ZNSN_ISO_Lb1ESQ_SR_ST_SU_SY_EESZ_S10_S11_S12_S16_S17_S18_S1B_S1C_jS1D_jS1E_S1E_jjS1G_bEUljE0_EEESZ_S10_S11_S18_S1C_S1E_T6_T7_T9_mT8_S1G_bDpT10_ENKUlT_T0_E_clISt17integral_constantIbLb0EES1T_IbLb1EEEEDaS1P_S1Q_EUlS1P_E_NS1_11comp_targetILNS1_3genE0ELNS1_11target_archE4294967295ELNS1_3gpuE0ELNS1_3repE0EEENS1_30default_config_static_selectorELNS0_4arch9wavefront6targetE0EEEvS12_.num_named_barrier, 0
	.set _ZN7rocprim17ROCPRIM_400000_NS6detail17trampoline_kernelINS0_13select_configILj256ELj13ELNS0_17block_load_methodE3ELS4_3ELS4_3ELNS0_20block_scan_algorithmE0ELj4294967295EEENS1_25partition_config_selectorILNS1_17partition_subalgoE4EjNS0_10empty_typeEbEEZZNS1_14partition_implILS8_4ELb0ES6_15HIP_vector_typeIjLj2EENS0_17counting_iteratorIjlEEPS9_SG_NS0_5tupleIJPjSI_NS0_16reverse_iteratorISI_EEEEENSH_IJSG_SG_SG_EEES9_SI_JZNS1_25segmented_radix_sort_implINS0_14default_configELb1EPKsPsPKlPlN2at6native12_GLOBAL__N_18offset_tEEE10hipError_tPvRmT1_PNSt15iterator_traitsIS12_E10value_typeET2_T3_PNS13_IS18_E10value_typeET4_jRbjT5_S1E_jjP12ihipStream_tbEUljE_ZNSN_ISO_Lb1ESQ_SR_ST_SU_SY_EESZ_S10_S11_S12_S16_S17_S18_S1B_S1C_jS1D_jS1E_S1E_jjS1G_bEUljE0_EEESZ_S10_S11_S18_S1C_S1E_T6_T7_T9_mT8_S1G_bDpT10_ENKUlT_T0_E_clISt17integral_constantIbLb0EES1T_IbLb1EEEEDaS1P_S1Q_EUlS1P_E_NS1_11comp_targetILNS1_3genE0ELNS1_11target_archE4294967295ELNS1_3gpuE0ELNS1_3repE0EEENS1_30default_config_static_selectorELNS0_4arch9wavefront6targetE0EEEvS12_.private_seg_size, 0
	.set _ZN7rocprim17ROCPRIM_400000_NS6detail17trampoline_kernelINS0_13select_configILj256ELj13ELNS0_17block_load_methodE3ELS4_3ELS4_3ELNS0_20block_scan_algorithmE0ELj4294967295EEENS1_25partition_config_selectorILNS1_17partition_subalgoE4EjNS0_10empty_typeEbEEZZNS1_14partition_implILS8_4ELb0ES6_15HIP_vector_typeIjLj2EENS0_17counting_iteratorIjlEEPS9_SG_NS0_5tupleIJPjSI_NS0_16reverse_iteratorISI_EEEEENSH_IJSG_SG_SG_EEES9_SI_JZNS1_25segmented_radix_sort_implINS0_14default_configELb1EPKsPsPKlPlN2at6native12_GLOBAL__N_18offset_tEEE10hipError_tPvRmT1_PNSt15iterator_traitsIS12_E10value_typeET2_T3_PNS13_IS18_E10value_typeET4_jRbjT5_S1E_jjP12ihipStream_tbEUljE_ZNSN_ISO_Lb1ESQ_SR_ST_SU_SY_EESZ_S10_S11_S12_S16_S17_S18_S1B_S1C_jS1D_jS1E_S1E_jjS1G_bEUljE0_EEESZ_S10_S11_S18_S1C_S1E_T6_T7_T9_mT8_S1G_bDpT10_ENKUlT_T0_E_clISt17integral_constantIbLb0EES1T_IbLb1EEEEDaS1P_S1Q_EUlS1P_E_NS1_11comp_targetILNS1_3genE0ELNS1_11target_archE4294967295ELNS1_3gpuE0ELNS1_3repE0EEENS1_30default_config_static_selectorELNS0_4arch9wavefront6targetE0EEEvS12_.uses_vcc, 1
	.set _ZN7rocprim17ROCPRIM_400000_NS6detail17trampoline_kernelINS0_13select_configILj256ELj13ELNS0_17block_load_methodE3ELS4_3ELS4_3ELNS0_20block_scan_algorithmE0ELj4294967295EEENS1_25partition_config_selectorILNS1_17partition_subalgoE4EjNS0_10empty_typeEbEEZZNS1_14partition_implILS8_4ELb0ES6_15HIP_vector_typeIjLj2EENS0_17counting_iteratorIjlEEPS9_SG_NS0_5tupleIJPjSI_NS0_16reverse_iteratorISI_EEEEENSH_IJSG_SG_SG_EEES9_SI_JZNS1_25segmented_radix_sort_implINS0_14default_configELb1EPKsPsPKlPlN2at6native12_GLOBAL__N_18offset_tEEE10hipError_tPvRmT1_PNSt15iterator_traitsIS12_E10value_typeET2_T3_PNS13_IS18_E10value_typeET4_jRbjT5_S1E_jjP12ihipStream_tbEUljE_ZNSN_ISO_Lb1ESQ_SR_ST_SU_SY_EESZ_S10_S11_S12_S16_S17_S18_S1B_S1C_jS1D_jS1E_S1E_jjS1G_bEUljE0_EEESZ_S10_S11_S18_S1C_S1E_T6_T7_T9_mT8_S1G_bDpT10_ENKUlT_T0_E_clISt17integral_constantIbLb0EES1T_IbLb1EEEEDaS1P_S1Q_EUlS1P_E_NS1_11comp_targetILNS1_3genE0ELNS1_11target_archE4294967295ELNS1_3gpuE0ELNS1_3repE0EEENS1_30default_config_static_selectorELNS0_4arch9wavefront6targetE0EEEvS12_.uses_flat_scratch, 0
	.set _ZN7rocprim17ROCPRIM_400000_NS6detail17trampoline_kernelINS0_13select_configILj256ELj13ELNS0_17block_load_methodE3ELS4_3ELS4_3ELNS0_20block_scan_algorithmE0ELj4294967295EEENS1_25partition_config_selectorILNS1_17partition_subalgoE4EjNS0_10empty_typeEbEEZZNS1_14partition_implILS8_4ELb0ES6_15HIP_vector_typeIjLj2EENS0_17counting_iteratorIjlEEPS9_SG_NS0_5tupleIJPjSI_NS0_16reverse_iteratorISI_EEEEENSH_IJSG_SG_SG_EEES9_SI_JZNS1_25segmented_radix_sort_implINS0_14default_configELb1EPKsPsPKlPlN2at6native12_GLOBAL__N_18offset_tEEE10hipError_tPvRmT1_PNSt15iterator_traitsIS12_E10value_typeET2_T3_PNS13_IS18_E10value_typeET4_jRbjT5_S1E_jjP12ihipStream_tbEUljE_ZNSN_ISO_Lb1ESQ_SR_ST_SU_SY_EESZ_S10_S11_S12_S16_S17_S18_S1B_S1C_jS1D_jS1E_S1E_jjS1G_bEUljE0_EEESZ_S10_S11_S18_S1C_S1E_T6_T7_T9_mT8_S1G_bDpT10_ENKUlT_T0_E_clISt17integral_constantIbLb0EES1T_IbLb1EEEEDaS1P_S1Q_EUlS1P_E_NS1_11comp_targetILNS1_3genE0ELNS1_11target_archE4294967295ELNS1_3gpuE0ELNS1_3repE0EEENS1_30default_config_static_selectorELNS0_4arch9wavefront6targetE0EEEvS12_.has_dyn_sized_stack, 0
	.set _ZN7rocprim17ROCPRIM_400000_NS6detail17trampoline_kernelINS0_13select_configILj256ELj13ELNS0_17block_load_methodE3ELS4_3ELS4_3ELNS0_20block_scan_algorithmE0ELj4294967295EEENS1_25partition_config_selectorILNS1_17partition_subalgoE4EjNS0_10empty_typeEbEEZZNS1_14partition_implILS8_4ELb0ES6_15HIP_vector_typeIjLj2EENS0_17counting_iteratorIjlEEPS9_SG_NS0_5tupleIJPjSI_NS0_16reverse_iteratorISI_EEEEENSH_IJSG_SG_SG_EEES9_SI_JZNS1_25segmented_radix_sort_implINS0_14default_configELb1EPKsPsPKlPlN2at6native12_GLOBAL__N_18offset_tEEE10hipError_tPvRmT1_PNSt15iterator_traitsIS12_E10value_typeET2_T3_PNS13_IS18_E10value_typeET4_jRbjT5_S1E_jjP12ihipStream_tbEUljE_ZNSN_ISO_Lb1ESQ_SR_ST_SU_SY_EESZ_S10_S11_S12_S16_S17_S18_S1B_S1C_jS1D_jS1E_S1E_jjS1G_bEUljE0_EEESZ_S10_S11_S18_S1C_S1E_T6_T7_T9_mT8_S1G_bDpT10_ENKUlT_T0_E_clISt17integral_constantIbLb0EES1T_IbLb1EEEEDaS1P_S1Q_EUlS1P_E_NS1_11comp_targetILNS1_3genE0ELNS1_11target_archE4294967295ELNS1_3gpuE0ELNS1_3repE0EEENS1_30default_config_static_selectorELNS0_4arch9wavefront6targetE0EEEvS12_.has_recursion, 0
	.set _ZN7rocprim17ROCPRIM_400000_NS6detail17trampoline_kernelINS0_13select_configILj256ELj13ELNS0_17block_load_methodE3ELS4_3ELS4_3ELNS0_20block_scan_algorithmE0ELj4294967295EEENS1_25partition_config_selectorILNS1_17partition_subalgoE4EjNS0_10empty_typeEbEEZZNS1_14partition_implILS8_4ELb0ES6_15HIP_vector_typeIjLj2EENS0_17counting_iteratorIjlEEPS9_SG_NS0_5tupleIJPjSI_NS0_16reverse_iteratorISI_EEEEENSH_IJSG_SG_SG_EEES9_SI_JZNS1_25segmented_radix_sort_implINS0_14default_configELb1EPKsPsPKlPlN2at6native12_GLOBAL__N_18offset_tEEE10hipError_tPvRmT1_PNSt15iterator_traitsIS12_E10value_typeET2_T3_PNS13_IS18_E10value_typeET4_jRbjT5_S1E_jjP12ihipStream_tbEUljE_ZNSN_ISO_Lb1ESQ_SR_ST_SU_SY_EESZ_S10_S11_S12_S16_S17_S18_S1B_S1C_jS1D_jS1E_S1E_jjS1G_bEUljE0_EEESZ_S10_S11_S18_S1C_S1E_T6_T7_T9_mT8_S1G_bDpT10_ENKUlT_T0_E_clISt17integral_constantIbLb0EES1T_IbLb1EEEEDaS1P_S1Q_EUlS1P_E_NS1_11comp_targetILNS1_3genE0ELNS1_11target_archE4294967295ELNS1_3gpuE0ELNS1_3repE0EEENS1_30default_config_static_selectorELNS0_4arch9wavefront6targetE0EEEvS12_.has_indirect_call, 0
	.section	.AMDGPU.csdata,"",@progbits
; Kernel info:
; codeLenInByte = 17828
; TotalNumSgprs: 57
; NumVgprs: 86
; ScratchSize: 0
; MemoryBound: 0
; FloatMode: 240
; IeeeMode: 1
; LDSByteSize: 13328 bytes/workgroup (compile time only)
; SGPRBlocks: 0
; VGPRBlocks: 5
; NumSGPRsForWavesPerEU: 57
; NumVGPRsForWavesPerEU: 86
; NamedBarCnt: 0
; Occupancy: 10
; WaveLimiterHint : 1
; COMPUTE_PGM_RSRC2:SCRATCH_EN: 0
; COMPUTE_PGM_RSRC2:USER_SGPR: 2
; COMPUTE_PGM_RSRC2:TRAP_HANDLER: 0
; COMPUTE_PGM_RSRC2:TGID_X_EN: 1
; COMPUTE_PGM_RSRC2:TGID_Y_EN: 0
; COMPUTE_PGM_RSRC2:TGID_Z_EN: 0
; COMPUTE_PGM_RSRC2:TIDIG_COMP_CNT: 0
	.section	.text._ZN7rocprim17ROCPRIM_400000_NS6detail17trampoline_kernelINS0_13select_configILj256ELj13ELNS0_17block_load_methodE3ELS4_3ELS4_3ELNS0_20block_scan_algorithmE0ELj4294967295EEENS1_25partition_config_selectorILNS1_17partition_subalgoE4EjNS0_10empty_typeEbEEZZNS1_14partition_implILS8_4ELb0ES6_15HIP_vector_typeIjLj2EENS0_17counting_iteratorIjlEEPS9_SG_NS0_5tupleIJPjSI_NS0_16reverse_iteratorISI_EEEEENSH_IJSG_SG_SG_EEES9_SI_JZNS1_25segmented_radix_sort_implINS0_14default_configELb1EPKsPsPKlPlN2at6native12_GLOBAL__N_18offset_tEEE10hipError_tPvRmT1_PNSt15iterator_traitsIS12_E10value_typeET2_T3_PNS13_IS18_E10value_typeET4_jRbjT5_S1E_jjP12ihipStream_tbEUljE_ZNSN_ISO_Lb1ESQ_SR_ST_SU_SY_EESZ_S10_S11_S12_S16_S17_S18_S1B_S1C_jS1D_jS1E_S1E_jjS1G_bEUljE0_EEESZ_S10_S11_S18_S1C_S1E_T6_T7_T9_mT8_S1G_bDpT10_ENKUlT_T0_E_clISt17integral_constantIbLb0EES1T_IbLb1EEEEDaS1P_S1Q_EUlS1P_E_NS1_11comp_targetILNS1_3genE5ELNS1_11target_archE942ELNS1_3gpuE9ELNS1_3repE0EEENS1_30default_config_static_selectorELNS0_4arch9wavefront6targetE0EEEvS12_,"axG",@progbits,_ZN7rocprim17ROCPRIM_400000_NS6detail17trampoline_kernelINS0_13select_configILj256ELj13ELNS0_17block_load_methodE3ELS4_3ELS4_3ELNS0_20block_scan_algorithmE0ELj4294967295EEENS1_25partition_config_selectorILNS1_17partition_subalgoE4EjNS0_10empty_typeEbEEZZNS1_14partition_implILS8_4ELb0ES6_15HIP_vector_typeIjLj2EENS0_17counting_iteratorIjlEEPS9_SG_NS0_5tupleIJPjSI_NS0_16reverse_iteratorISI_EEEEENSH_IJSG_SG_SG_EEES9_SI_JZNS1_25segmented_radix_sort_implINS0_14default_configELb1EPKsPsPKlPlN2at6native12_GLOBAL__N_18offset_tEEE10hipError_tPvRmT1_PNSt15iterator_traitsIS12_E10value_typeET2_T3_PNS13_IS18_E10value_typeET4_jRbjT5_S1E_jjP12ihipStream_tbEUljE_ZNSN_ISO_Lb1ESQ_SR_ST_SU_SY_EESZ_S10_S11_S12_S16_S17_S18_S1B_S1C_jS1D_jS1E_S1E_jjS1G_bEUljE0_EEESZ_S10_S11_S18_S1C_S1E_T6_T7_T9_mT8_S1G_bDpT10_ENKUlT_T0_E_clISt17integral_constantIbLb0EES1T_IbLb1EEEEDaS1P_S1Q_EUlS1P_E_NS1_11comp_targetILNS1_3genE5ELNS1_11target_archE942ELNS1_3gpuE9ELNS1_3repE0EEENS1_30default_config_static_selectorELNS0_4arch9wavefront6targetE0EEEvS12_,comdat
	.globl	_ZN7rocprim17ROCPRIM_400000_NS6detail17trampoline_kernelINS0_13select_configILj256ELj13ELNS0_17block_load_methodE3ELS4_3ELS4_3ELNS0_20block_scan_algorithmE0ELj4294967295EEENS1_25partition_config_selectorILNS1_17partition_subalgoE4EjNS0_10empty_typeEbEEZZNS1_14partition_implILS8_4ELb0ES6_15HIP_vector_typeIjLj2EENS0_17counting_iteratorIjlEEPS9_SG_NS0_5tupleIJPjSI_NS0_16reverse_iteratorISI_EEEEENSH_IJSG_SG_SG_EEES9_SI_JZNS1_25segmented_radix_sort_implINS0_14default_configELb1EPKsPsPKlPlN2at6native12_GLOBAL__N_18offset_tEEE10hipError_tPvRmT1_PNSt15iterator_traitsIS12_E10value_typeET2_T3_PNS13_IS18_E10value_typeET4_jRbjT5_S1E_jjP12ihipStream_tbEUljE_ZNSN_ISO_Lb1ESQ_SR_ST_SU_SY_EESZ_S10_S11_S12_S16_S17_S18_S1B_S1C_jS1D_jS1E_S1E_jjS1G_bEUljE0_EEESZ_S10_S11_S18_S1C_S1E_T6_T7_T9_mT8_S1G_bDpT10_ENKUlT_T0_E_clISt17integral_constantIbLb0EES1T_IbLb1EEEEDaS1P_S1Q_EUlS1P_E_NS1_11comp_targetILNS1_3genE5ELNS1_11target_archE942ELNS1_3gpuE9ELNS1_3repE0EEENS1_30default_config_static_selectorELNS0_4arch9wavefront6targetE0EEEvS12_ ; -- Begin function _ZN7rocprim17ROCPRIM_400000_NS6detail17trampoline_kernelINS0_13select_configILj256ELj13ELNS0_17block_load_methodE3ELS4_3ELS4_3ELNS0_20block_scan_algorithmE0ELj4294967295EEENS1_25partition_config_selectorILNS1_17partition_subalgoE4EjNS0_10empty_typeEbEEZZNS1_14partition_implILS8_4ELb0ES6_15HIP_vector_typeIjLj2EENS0_17counting_iteratorIjlEEPS9_SG_NS0_5tupleIJPjSI_NS0_16reverse_iteratorISI_EEEEENSH_IJSG_SG_SG_EEES9_SI_JZNS1_25segmented_radix_sort_implINS0_14default_configELb1EPKsPsPKlPlN2at6native12_GLOBAL__N_18offset_tEEE10hipError_tPvRmT1_PNSt15iterator_traitsIS12_E10value_typeET2_T3_PNS13_IS18_E10value_typeET4_jRbjT5_S1E_jjP12ihipStream_tbEUljE_ZNSN_ISO_Lb1ESQ_SR_ST_SU_SY_EESZ_S10_S11_S12_S16_S17_S18_S1B_S1C_jS1D_jS1E_S1E_jjS1G_bEUljE0_EEESZ_S10_S11_S18_S1C_S1E_T6_T7_T9_mT8_S1G_bDpT10_ENKUlT_T0_E_clISt17integral_constantIbLb0EES1T_IbLb1EEEEDaS1P_S1Q_EUlS1P_E_NS1_11comp_targetILNS1_3genE5ELNS1_11target_archE942ELNS1_3gpuE9ELNS1_3repE0EEENS1_30default_config_static_selectorELNS0_4arch9wavefront6targetE0EEEvS12_
	.p2align	8
	.type	_ZN7rocprim17ROCPRIM_400000_NS6detail17trampoline_kernelINS0_13select_configILj256ELj13ELNS0_17block_load_methodE3ELS4_3ELS4_3ELNS0_20block_scan_algorithmE0ELj4294967295EEENS1_25partition_config_selectorILNS1_17partition_subalgoE4EjNS0_10empty_typeEbEEZZNS1_14partition_implILS8_4ELb0ES6_15HIP_vector_typeIjLj2EENS0_17counting_iteratorIjlEEPS9_SG_NS0_5tupleIJPjSI_NS0_16reverse_iteratorISI_EEEEENSH_IJSG_SG_SG_EEES9_SI_JZNS1_25segmented_radix_sort_implINS0_14default_configELb1EPKsPsPKlPlN2at6native12_GLOBAL__N_18offset_tEEE10hipError_tPvRmT1_PNSt15iterator_traitsIS12_E10value_typeET2_T3_PNS13_IS18_E10value_typeET4_jRbjT5_S1E_jjP12ihipStream_tbEUljE_ZNSN_ISO_Lb1ESQ_SR_ST_SU_SY_EESZ_S10_S11_S12_S16_S17_S18_S1B_S1C_jS1D_jS1E_S1E_jjS1G_bEUljE0_EEESZ_S10_S11_S18_S1C_S1E_T6_T7_T9_mT8_S1G_bDpT10_ENKUlT_T0_E_clISt17integral_constantIbLb0EES1T_IbLb1EEEEDaS1P_S1Q_EUlS1P_E_NS1_11comp_targetILNS1_3genE5ELNS1_11target_archE942ELNS1_3gpuE9ELNS1_3repE0EEENS1_30default_config_static_selectorELNS0_4arch9wavefront6targetE0EEEvS12_,@function
_ZN7rocprim17ROCPRIM_400000_NS6detail17trampoline_kernelINS0_13select_configILj256ELj13ELNS0_17block_load_methodE3ELS4_3ELS4_3ELNS0_20block_scan_algorithmE0ELj4294967295EEENS1_25partition_config_selectorILNS1_17partition_subalgoE4EjNS0_10empty_typeEbEEZZNS1_14partition_implILS8_4ELb0ES6_15HIP_vector_typeIjLj2EENS0_17counting_iteratorIjlEEPS9_SG_NS0_5tupleIJPjSI_NS0_16reverse_iteratorISI_EEEEENSH_IJSG_SG_SG_EEES9_SI_JZNS1_25segmented_radix_sort_implINS0_14default_configELb1EPKsPsPKlPlN2at6native12_GLOBAL__N_18offset_tEEE10hipError_tPvRmT1_PNSt15iterator_traitsIS12_E10value_typeET2_T3_PNS13_IS18_E10value_typeET4_jRbjT5_S1E_jjP12ihipStream_tbEUljE_ZNSN_ISO_Lb1ESQ_SR_ST_SU_SY_EESZ_S10_S11_S12_S16_S17_S18_S1B_S1C_jS1D_jS1E_S1E_jjS1G_bEUljE0_EEESZ_S10_S11_S18_S1C_S1E_T6_T7_T9_mT8_S1G_bDpT10_ENKUlT_T0_E_clISt17integral_constantIbLb0EES1T_IbLb1EEEEDaS1P_S1Q_EUlS1P_E_NS1_11comp_targetILNS1_3genE5ELNS1_11target_archE942ELNS1_3gpuE9ELNS1_3repE0EEENS1_30default_config_static_selectorELNS0_4arch9wavefront6targetE0EEEvS12_: ; @_ZN7rocprim17ROCPRIM_400000_NS6detail17trampoline_kernelINS0_13select_configILj256ELj13ELNS0_17block_load_methodE3ELS4_3ELS4_3ELNS0_20block_scan_algorithmE0ELj4294967295EEENS1_25partition_config_selectorILNS1_17partition_subalgoE4EjNS0_10empty_typeEbEEZZNS1_14partition_implILS8_4ELb0ES6_15HIP_vector_typeIjLj2EENS0_17counting_iteratorIjlEEPS9_SG_NS0_5tupleIJPjSI_NS0_16reverse_iteratorISI_EEEEENSH_IJSG_SG_SG_EEES9_SI_JZNS1_25segmented_radix_sort_implINS0_14default_configELb1EPKsPsPKlPlN2at6native12_GLOBAL__N_18offset_tEEE10hipError_tPvRmT1_PNSt15iterator_traitsIS12_E10value_typeET2_T3_PNS13_IS18_E10value_typeET4_jRbjT5_S1E_jjP12ihipStream_tbEUljE_ZNSN_ISO_Lb1ESQ_SR_ST_SU_SY_EESZ_S10_S11_S12_S16_S17_S18_S1B_S1C_jS1D_jS1E_S1E_jjS1G_bEUljE0_EEESZ_S10_S11_S18_S1C_S1E_T6_T7_T9_mT8_S1G_bDpT10_ENKUlT_T0_E_clISt17integral_constantIbLb0EES1T_IbLb1EEEEDaS1P_S1Q_EUlS1P_E_NS1_11comp_targetILNS1_3genE5ELNS1_11target_archE942ELNS1_3gpuE9ELNS1_3repE0EEENS1_30default_config_static_selectorELNS0_4arch9wavefront6targetE0EEEvS12_
; %bb.0:
	.section	.rodata,"a",@progbits
	.p2align	6, 0x0
	.amdhsa_kernel _ZN7rocprim17ROCPRIM_400000_NS6detail17trampoline_kernelINS0_13select_configILj256ELj13ELNS0_17block_load_methodE3ELS4_3ELS4_3ELNS0_20block_scan_algorithmE0ELj4294967295EEENS1_25partition_config_selectorILNS1_17partition_subalgoE4EjNS0_10empty_typeEbEEZZNS1_14partition_implILS8_4ELb0ES6_15HIP_vector_typeIjLj2EENS0_17counting_iteratorIjlEEPS9_SG_NS0_5tupleIJPjSI_NS0_16reverse_iteratorISI_EEEEENSH_IJSG_SG_SG_EEES9_SI_JZNS1_25segmented_radix_sort_implINS0_14default_configELb1EPKsPsPKlPlN2at6native12_GLOBAL__N_18offset_tEEE10hipError_tPvRmT1_PNSt15iterator_traitsIS12_E10value_typeET2_T3_PNS13_IS18_E10value_typeET4_jRbjT5_S1E_jjP12ihipStream_tbEUljE_ZNSN_ISO_Lb1ESQ_SR_ST_SU_SY_EESZ_S10_S11_S12_S16_S17_S18_S1B_S1C_jS1D_jS1E_S1E_jjS1G_bEUljE0_EEESZ_S10_S11_S18_S1C_S1E_T6_T7_T9_mT8_S1G_bDpT10_ENKUlT_T0_E_clISt17integral_constantIbLb0EES1T_IbLb1EEEEDaS1P_S1Q_EUlS1P_E_NS1_11comp_targetILNS1_3genE5ELNS1_11target_archE942ELNS1_3gpuE9ELNS1_3repE0EEENS1_30default_config_static_selectorELNS0_4arch9wavefront6targetE0EEEvS12_
		.amdhsa_group_segment_fixed_size 0
		.amdhsa_private_segment_fixed_size 0
		.amdhsa_kernarg_size 184
		.amdhsa_user_sgpr_count 2
		.amdhsa_user_sgpr_dispatch_ptr 0
		.amdhsa_user_sgpr_queue_ptr 0
		.amdhsa_user_sgpr_kernarg_segment_ptr 1
		.amdhsa_user_sgpr_dispatch_id 0
		.amdhsa_user_sgpr_kernarg_preload_length 0
		.amdhsa_user_sgpr_kernarg_preload_offset 0
		.amdhsa_user_sgpr_private_segment_size 0
		.amdhsa_wavefront_size32 1
		.amdhsa_uses_dynamic_stack 0
		.amdhsa_enable_private_segment 0
		.amdhsa_system_sgpr_workgroup_id_x 1
		.amdhsa_system_sgpr_workgroup_id_y 0
		.amdhsa_system_sgpr_workgroup_id_z 0
		.amdhsa_system_sgpr_workgroup_info 0
		.amdhsa_system_vgpr_workitem_id 0
		.amdhsa_next_free_vgpr 1
		.amdhsa_next_free_sgpr 1
		.amdhsa_named_barrier_count 0
		.amdhsa_reserve_vcc 0
		.amdhsa_float_round_mode_32 0
		.amdhsa_float_round_mode_16_64 0
		.amdhsa_float_denorm_mode_32 3
		.amdhsa_float_denorm_mode_16_64 3
		.amdhsa_fp16_overflow 0
		.amdhsa_memory_ordered 1
		.amdhsa_forward_progress 1
		.amdhsa_inst_pref_size 0
		.amdhsa_round_robin_scheduling 0
		.amdhsa_exception_fp_ieee_invalid_op 0
		.amdhsa_exception_fp_denorm_src 0
		.amdhsa_exception_fp_ieee_div_zero 0
		.amdhsa_exception_fp_ieee_overflow 0
		.amdhsa_exception_fp_ieee_underflow 0
		.amdhsa_exception_fp_ieee_inexact 0
		.amdhsa_exception_int_div_zero 0
	.end_amdhsa_kernel
	.section	.text._ZN7rocprim17ROCPRIM_400000_NS6detail17trampoline_kernelINS0_13select_configILj256ELj13ELNS0_17block_load_methodE3ELS4_3ELS4_3ELNS0_20block_scan_algorithmE0ELj4294967295EEENS1_25partition_config_selectorILNS1_17partition_subalgoE4EjNS0_10empty_typeEbEEZZNS1_14partition_implILS8_4ELb0ES6_15HIP_vector_typeIjLj2EENS0_17counting_iteratorIjlEEPS9_SG_NS0_5tupleIJPjSI_NS0_16reverse_iteratorISI_EEEEENSH_IJSG_SG_SG_EEES9_SI_JZNS1_25segmented_radix_sort_implINS0_14default_configELb1EPKsPsPKlPlN2at6native12_GLOBAL__N_18offset_tEEE10hipError_tPvRmT1_PNSt15iterator_traitsIS12_E10value_typeET2_T3_PNS13_IS18_E10value_typeET4_jRbjT5_S1E_jjP12ihipStream_tbEUljE_ZNSN_ISO_Lb1ESQ_SR_ST_SU_SY_EESZ_S10_S11_S12_S16_S17_S18_S1B_S1C_jS1D_jS1E_S1E_jjS1G_bEUljE0_EEESZ_S10_S11_S18_S1C_S1E_T6_T7_T9_mT8_S1G_bDpT10_ENKUlT_T0_E_clISt17integral_constantIbLb0EES1T_IbLb1EEEEDaS1P_S1Q_EUlS1P_E_NS1_11comp_targetILNS1_3genE5ELNS1_11target_archE942ELNS1_3gpuE9ELNS1_3repE0EEENS1_30default_config_static_selectorELNS0_4arch9wavefront6targetE0EEEvS12_,"axG",@progbits,_ZN7rocprim17ROCPRIM_400000_NS6detail17trampoline_kernelINS0_13select_configILj256ELj13ELNS0_17block_load_methodE3ELS4_3ELS4_3ELNS0_20block_scan_algorithmE0ELj4294967295EEENS1_25partition_config_selectorILNS1_17partition_subalgoE4EjNS0_10empty_typeEbEEZZNS1_14partition_implILS8_4ELb0ES6_15HIP_vector_typeIjLj2EENS0_17counting_iteratorIjlEEPS9_SG_NS0_5tupleIJPjSI_NS0_16reverse_iteratorISI_EEEEENSH_IJSG_SG_SG_EEES9_SI_JZNS1_25segmented_radix_sort_implINS0_14default_configELb1EPKsPsPKlPlN2at6native12_GLOBAL__N_18offset_tEEE10hipError_tPvRmT1_PNSt15iterator_traitsIS12_E10value_typeET2_T3_PNS13_IS18_E10value_typeET4_jRbjT5_S1E_jjP12ihipStream_tbEUljE_ZNSN_ISO_Lb1ESQ_SR_ST_SU_SY_EESZ_S10_S11_S12_S16_S17_S18_S1B_S1C_jS1D_jS1E_S1E_jjS1G_bEUljE0_EEESZ_S10_S11_S18_S1C_S1E_T6_T7_T9_mT8_S1G_bDpT10_ENKUlT_T0_E_clISt17integral_constantIbLb0EES1T_IbLb1EEEEDaS1P_S1Q_EUlS1P_E_NS1_11comp_targetILNS1_3genE5ELNS1_11target_archE942ELNS1_3gpuE9ELNS1_3repE0EEENS1_30default_config_static_selectorELNS0_4arch9wavefront6targetE0EEEvS12_,comdat
.Lfunc_end868:
	.size	_ZN7rocprim17ROCPRIM_400000_NS6detail17trampoline_kernelINS0_13select_configILj256ELj13ELNS0_17block_load_methodE3ELS4_3ELS4_3ELNS0_20block_scan_algorithmE0ELj4294967295EEENS1_25partition_config_selectorILNS1_17partition_subalgoE4EjNS0_10empty_typeEbEEZZNS1_14partition_implILS8_4ELb0ES6_15HIP_vector_typeIjLj2EENS0_17counting_iteratorIjlEEPS9_SG_NS0_5tupleIJPjSI_NS0_16reverse_iteratorISI_EEEEENSH_IJSG_SG_SG_EEES9_SI_JZNS1_25segmented_radix_sort_implINS0_14default_configELb1EPKsPsPKlPlN2at6native12_GLOBAL__N_18offset_tEEE10hipError_tPvRmT1_PNSt15iterator_traitsIS12_E10value_typeET2_T3_PNS13_IS18_E10value_typeET4_jRbjT5_S1E_jjP12ihipStream_tbEUljE_ZNSN_ISO_Lb1ESQ_SR_ST_SU_SY_EESZ_S10_S11_S12_S16_S17_S18_S1B_S1C_jS1D_jS1E_S1E_jjS1G_bEUljE0_EEESZ_S10_S11_S18_S1C_S1E_T6_T7_T9_mT8_S1G_bDpT10_ENKUlT_T0_E_clISt17integral_constantIbLb0EES1T_IbLb1EEEEDaS1P_S1Q_EUlS1P_E_NS1_11comp_targetILNS1_3genE5ELNS1_11target_archE942ELNS1_3gpuE9ELNS1_3repE0EEENS1_30default_config_static_selectorELNS0_4arch9wavefront6targetE0EEEvS12_, .Lfunc_end868-_ZN7rocprim17ROCPRIM_400000_NS6detail17trampoline_kernelINS0_13select_configILj256ELj13ELNS0_17block_load_methodE3ELS4_3ELS4_3ELNS0_20block_scan_algorithmE0ELj4294967295EEENS1_25partition_config_selectorILNS1_17partition_subalgoE4EjNS0_10empty_typeEbEEZZNS1_14partition_implILS8_4ELb0ES6_15HIP_vector_typeIjLj2EENS0_17counting_iteratorIjlEEPS9_SG_NS0_5tupleIJPjSI_NS0_16reverse_iteratorISI_EEEEENSH_IJSG_SG_SG_EEES9_SI_JZNS1_25segmented_radix_sort_implINS0_14default_configELb1EPKsPsPKlPlN2at6native12_GLOBAL__N_18offset_tEEE10hipError_tPvRmT1_PNSt15iterator_traitsIS12_E10value_typeET2_T3_PNS13_IS18_E10value_typeET4_jRbjT5_S1E_jjP12ihipStream_tbEUljE_ZNSN_ISO_Lb1ESQ_SR_ST_SU_SY_EESZ_S10_S11_S12_S16_S17_S18_S1B_S1C_jS1D_jS1E_S1E_jjS1G_bEUljE0_EEESZ_S10_S11_S18_S1C_S1E_T6_T7_T9_mT8_S1G_bDpT10_ENKUlT_T0_E_clISt17integral_constantIbLb0EES1T_IbLb1EEEEDaS1P_S1Q_EUlS1P_E_NS1_11comp_targetILNS1_3genE5ELNS1_11target_archE942ELNS1_3gpuE9ELNS1_3repE0EEENS1_30default_config_static_selectorELNS0_4arch9wavefront6targetE0EEEvS12_
                                        ; -- End function
	.set _ZN7rocprim17ROCPRIM_400000_NS6detail17trampoline_kernelINS0_13select_configILj256ELj13ELNS0_17block_load_methodE3ELS4_3ELS4_3ELNS0_20block_scan_algorithmE0ELj4294967295EEENS1_25partition_config_selectorILNS1_17partition_subalgoE4EjNS0_10empty_typeEbEEZZNS1_14partition_implILS8_4ELb0ES6_15HIP_vector_typeIjLj2EENS0_17counting_iteratorIjlEEPS9_SG_NS0_5tupleIJPjSI_NS0_16reverse_iteratorISI_EEEEENSH_IJSG_SG_SG_EEES9_SI_JZNS1_25segmented_radix_sort_implINS0_14default_configELb1EPKsPsPKlPlN2at6native12_GLOBAL__N_18offset_tEEE10hipError_tPvRmT1_PNSt15iterator_traitsIS12_E10value_typeET2_T3_PNS13_IS18_E10value_typeET4_jRbjT5_S1E_jjP12ihipStream_tbEUljE_ZNSN_ISO_Lb1ESQ_SR_ST_SU_SY_EESZ_S10_S11_S12_S16_S17_S18_S1B_S1C_jS1D_jS1E_S1E_jjS1G_bEUljE0_EEESZ_S10_S11_S18_S1C_S1E_T6_T7_T9_mT8_S1G_bDpT10_ENKUlT_T0_E_clISt17integral_constantIbLb0EES1T_IbLb1EEEEDaS1P_S1Q_EUlS1P_E_NS1_11comp_targetILNS1_3genE5ELNS1_11target_archE942ELNS1_3gpuE9ELNS1_3repE0EEENS1_30default_config_static_selectorELNS0_4arch9wavefront6targetE0EEEvS12_.num_vgpr, 0
	.set _ZN7rocprim17ROCPRIM_400000_NS6detail17trampoline_kernelINS0_13select_configILj256ELj13ELNS0_17block_load_methodE3ELS4_3ELS4_3ELNS0_20block_scan_algorithmE0ELj4294967295EEENS1_25partition_config_selectorILNS1_17partition_subalgoE4EjNS0_10empty_typeEbEEZZNS1_14partition_implILS8_4ELb0ES6_15HIP_vector_typeIjLj2EENS0_17counting_iteratorIjlEEPS9_SG_NS0_5tupleIJPjSI_NS0_16reverse_iteratorISI_EEEEENSH_IJSG_SG_SG_EEES9_SI_JZNS1_25segmented_radix_sort_implINS0_14default_configELb1EPKsPsPKlPlN2at6native12_GLOBAL__N_18offset_tEEE10hipError_tPvRmT1_PNSt15iterator_traitsIS12_E10value_typeET2_T3_PNS13_IS18_E10value_typeET4_jRbjT5_S1E_jjP12ihipStream_tbEUljE_ZNSN_ISO_Lb1ESQ_SR_ST_SU_SY_EESZ_S10_S11_S12_S16_S17_S18_S1B_S1C_jS1D_jS1E_S1E_jjS1G_bEUljE0_EEESZ_S10_S11_S18_S1C_S1E_T6_T7_T9_mT8_S1G_bDpT10_ENKUlT_T0_E_clISt17integral_constantIbLb0EES1T_IbLb1EEEEDaS1P_S1Q_EUlS1P_E_NS1_11comp_targetILNS1_3genE5ELNS1_11target_archE942ELNS1_3gpuE9ELNS1_3repE0EEENS1_30default_config_static_selectorELNS0_4arch9wavefront6targetE0EEEvS12_.num_agpr, 0
	.set _ZN7rocprim17ROCPRIM_400000_NS6detail17trampoline_kernelINS0_13select_configILj256ELj13ELNS0_17block_load_methodE3ELS4_3ELS4_3ELNS0_20block_scan_algorithmE0ELj4294967295EEENS1_25partition_config_selectorILNS1_17partition_subalgoE4EjNS0_10empty_typeEbEEZZNS1_14partition_implILS8_4ELb0ES6_15HIP_vector_typeIjLj2EENS0_17counting_iteratorIjlEEPS9_SG_NS0_5tupleIJPjSI_NS0_16reverse_iteratorISI_EEEEENSH_IJSG_SG_SG_EEES9_SI_JZNS1_25segmented_radix_sort_implINS0_14default_configELb1EPKsPsPKlPlN2at6native12_GLOBAL__N_18offset_tEEE10hipError_tPvRmT1_PNSt15iterator_traitsIS12_E10value_typeET2_T3_PNS13_IS18_E10value_typeET4_jRbjT5_S1E_jjP12ihipStream_tbEUljE_ZNSN_ISO_Lb1ESQ_SR_ST_SU_SY_EESZ_S10_S11_S12_S16_S17_S18_S1B_S1C_jS1D_jS1E_S1E_jjS1G_bEUljE0_EEESZ_S10_S11_S18_S1C_S1E_T6_T7_T9_mT8_S1G_bDpT10_ENKUlT_T0_E_clISt17integral_constantIbLb0EES1T_IbLb1EEEEDaS1P_S1Q_EUlS1P_E_NS1_11comp_targetILNS1_3genE5ELNS1_11target_archE942ELNS1_3gpuE9ELNS1_3repE0EEENS1_30default_config_static_selectorELNS0_4arch9wavefront6targetE0EEEvS12_.numbered_sgpr, 0
	.set _ZN7rocprim17ROCPRIM_400000_NS6detail17trampoline_kernelINS0_13select_configILj256ELj13ELNS0_17block_load_methodE3ELS4_3ELS4_3ELNS0_20block_scan_algorithmE0ELj4294967295EEENS1_25partition_config_selectorILNS1_17partition_subalgoE4EjNS0_10empty_typeEbEEZZNS1_14partition_implILS8_4ELb0ES6_15HIP_vector_typeIjLj2EENS0_17counting_iteratorIjlEEPS9_SG_NS0_5tupleIJPjSI_NS0_16reverse_iteratorISI_EEEEENSH_IJSG_SG_SG_EEES9_SI_JZNS1_25segmented_radix_sort_implINS0_14default_configELb1EPKsPsPKlPlN2at6native12_GLOBAL__N_18offset_tEEE10hipError_tPvRmT1_PNSt15iterator_traitsIS12_E10value_typeET2_T3_PNS13_IS18_E10value_typeET4_jRbjT5_S1E_jjP12ihipStream_tbEUljE_ZNSN_ISO_Lb1ESQ_SR_ST_SU_SY_EESZ_S10_S11_S12_S16_S17_S18_S1B_S1C_jS1D_jS1E_S1E_jjS1G_bEUljE0_EEESZ_S10_S11_S18_S1C_S1E_T6_T7_T9_mT8_S1G_bDpT10_ENKUlT_T0_E_clISt17integral_constantIbLb0EES1T_IbLb1EEEEDaS1P_S1Q_EUlS1P_E_NS1_11comp_targetILNS1_3genE5ELNS1_11target_archE942ELNS1_3gpuE9ELNS1_3repE0EEENS1_30default_config_static_selectorELNS0_4arch9wavefront6targetE0EEEvS12_.num_named_barrier, 0
	.set _ZN7rocprim17ROCPRIM_400000_NS6detail17trampoline_kernelINS0_13select_configILj256ELj13ELNS0_17block_load_methodE3ELS4_3ELS4_3ELNS0_20block_scan_algorithmE0ELj4294967295EEENS1_25partition_config_selectorILNS1_17partition_subalgoE4EjNS0_10empty_typeEbEEZZNS1_14partition_implILS8_4ELb0ES6_15HIP_vector_typeIjLj2EENS0_17counting_iteratorIjlEEPS9_SG_NS0_5tupleIJPjSI_NS0_16reverse_iteratorISI_EEEEENSH_IJSG_SG_SG_EEES9_SI_JZNS1_25segmented_radix_sort_implINS0_14default_configELb1EPKsPsPKlPlN2at6native12_GLOBAL__N_18offset_tEEE10hipError_tPvRmT1_PNSt15iterator_traitsIS12_E10value_typeET2_T3_PNS13_IS18_E10value_typeET4_jRbjT5_S1E_jjP12ihipStream_tbEUljE_ZNSN_ISO_Lb1ESQ_SR_ST_SU_SY_EESZ_S10_S11_S12_S16_S17_S18_S1B_S1C_jS1D_jS1E_S1E_jjS1G_bEUljE0_EEESZ_S10_S11_S18_S1C_S1E_T6_T7_T9_mT8_S1G_bDpT10_ENKUlT_T0_E_clISt17integral_constantIbLb0EES1T_IbLb1EEEEDaS1P_S1Q_EUlS1P_E_NS1_11comp_targetILNS1_3genE5ELNS1_11target_archE942ELNS1_3gpuE9ELNS1_3repE0EEENS1_30default_config_static_selectorELNS0_4arch9wavefront6targetE0EEEvS12_.private_seg_size, 0
	.set _ZN7rocprim17ROCPRIM_400000_NS6detail17trampoline_kernelINS0_13select_configILj256ELj13ELNS0_17block_load_methodE3ELS4_3ELS4_3ELNS0_20block_scan_algorithmE0ELj4294967295EEENS1_25partition_config_selectorILNS1_17partition_subalgoE4EjNS0_10empty_typeEbEEZZNS1_14partition_implILS8_4ELb0ES6_15HIP_vector_typeIjLj2EENS0_17counting_iteratorIjlEEPS9_SG_NS0_5tupleIJPjSI_NS0_16reverse_iteratorISI_EEEEENSH_IJSG_SG_SG_EEES9_SI_JZNS1_25segmented_radix_sort_implINS0_14default_configELb1EPKsPsPKlPlN2at6native12_GLOBAL__N_18offset_tEEE10hipError_tPvRmT1_PNSt15iterator_traitsIS12_E10value_typeET2_T3_PNS13_IS18_E10value_typeET4_jRbjT5_S1E_jjP12ihipStream_tbEUljE_ZNSN_ISO_Lb1ESQ_SR_ST_SU_SY_EESZ_S10_S11_S12_S16_S17_S18_S1B_S1C_jS1D_jS1E_S1E_jjS1G_bEUljE0_EEESZ_S10_S11_S18_S1C_S1E_T6_T7_T9_mT8_S1G_bDpT10_ENKUlT_T0_E_clISt17integral_constantIbLb0EES1T_IbLb1EEEEDaS1P_S1Q_EUlS1P_E_NS1_11comp_targetILNS1_3genE5ELNS1_11target_archE942ELNS1_3gpuE9ELNS1_3repE0EEENS1_30default_config_static_selectorELNS0_4arch9wavefront6targetE0EEEvS12_.uses_vcc, 0
	.set _ZN7rocprim17ROCPRIM_400000_NS6detail17trampoline_kernelINS0_13select_configILj256ELj13ELNS0_17block_load_methodE3ELS4_3ELS4_3ELNS0_20block_scan_algorithmE0ELj4294967295EEENS1_25partition_config_selectorILNS1_17partition_subalgoE4EjNS0_10empty_typeEbEEZZNS1_14partition_implILS8_4ELb0ES6_15HIP_vector_typeIjLj2EENS0_17counting_iteratorIjlEEPS9_SG_NS0_5tupleIJPjSI_NS0_16reverse_iteratorISI_EEEEENSH_IJSG_SG_SG_EEES9_SI_JZNS1_25segmented_radix_sort_implINS0_14default_configELb1EPKsPsPKlPlN2at6native12_GLOBAL__N_18offset_tEEE10hipError_tPvRmT1_PNSt15iterator_traitsIS12_E10value_typeET2_T3_PNS13_IS18_E10value_typeET4_jRbjT5_S1E_jjP12ihipStream_tbEUljE_ZNSN_ISO_Lb1ESQ_SR_ST_SU_SY_EESZ_S10_S11_S12_S16_S17_S18_S1B_S1C_jS1D_jS1E_S1E_jjS1G_bEUljE0_EEESZ_S10_S11_S18_S1C_S1E_T6_T7_T9_mT8_S1G_bDpT10_ENKUlT_T0_E_clISt17integral_constantIbLb0EES1T_IbLb1EEEEDaS1P_S1Q_EUlS1P_E_NS1_11comp_targetILNS1_3genE5ELNS1_11target_archE942ELNS1_3gpuE9ELNS1_3repE0EEENS1_30default_config_static_selectorELNS0_4arch9wavefront6targetE0EEEvS12_.uses_flat_scratch, 0
	.set _ZN7rocprim17ROCPRIM_400000_NS6detail17trampoline_kernelINS0_13select_configILj256ELj13ELNS0_17block_load_methodE3ELS4_3ELS4_3ELNS0_20block_scan_algorithmE0ELj4294967295EEENS1_25partition_config_selectorILNS1_17partition_subalgoE4EjNS0_10empty_typeEbEEZZNS1_14partition_implILS8_4ELb0ES6_15HIP_vector_typeIjLj2EENS0_17counting_iteratorIjlEEPS9_SG_NS0_5tupleIJPjSI_NS0_16reverse_iteratorISI_EEEEENSH_IJSG_SG_SG_EEES9_SI_JZNS1_25segmented_radix_sort_implINS0_14default_configELb1EPKsPsPKlPlN2at6native12_GLOBAL__N_18offset_tEEE10hipError_tPvRmT1_PNSt15iterator_traitsIS12_E10value_typeET2_T3_PNS13_IS18_E10value_typeET4_jRbjT5_S1E_jjP12ihipStream_tbEUljE_ZNSN_ISO_Lb1ESQ_SR_ST_SU_SY_EESZ_S10_S11_S12_S16_S17_S18_S1B_S1C_jS1D_jS1E_S1E_jjS1G_bEUljE0_EEESZ_S10_S11_S18_S1C_S1E_T6_T7_T9_mT8_S1G_bDpT10_ENKUlT_T0_E_clISt17integral_constantIbLb0EES1T_IbLb1EEEEDaS1P_S1Q_EUlS1P_E_NS1_11comp_targetILNS1_3genE5ELNS1_11target_archE942ELNS1_3gpuE9ELNS1_3repE0EEENS1_30default_config_static_selectorELNS0_4arch9wavefront6targetE0EEEvS12_.has_dyn_sized_stack, 0
	.set _ZN7rocprim17ROCPRIM_400000_NS6detail17trampoline_kernelINS0_13select_configILj256ELj13ELNS0_17block_load_methodE3ELS4_3ELS4_3ELNS0_20block_scan_algorithmE0ELj4294967295EEENS1_25partition_config_selectorILNS1_17partition_subalgoE4EjNS0_10empty_typeEbEEZZNS1_14partition_implILS8_4ELb0ES6_15HIP_vector_typeIjLj2EENS0_17counting_iteratorIjlEEPS9_SG_NS0_5tupleIJPjSI_NS0_16reverse_iteratorISI_EEEEENSH_IJSG_SG_SG_EEES9_SI_JZNS1_25segmented_radix_sort_implINS0_14default_configELb1EPKsPsPKlPlN2at6native12_GLOBAL__N_18offset_tEEE10hipError_tPvRmT1_PNSt15iterator_traitsIS12_E10value_typeET2_T3_PNS13_IS18_E10value_typeET4_jRbjT5_S1E_jjP12ihipStream_tbEUljE_ZNSN_ISO_Lb1ESQ_SR_ST_SU_SY_EESZ_S10_S11_S12_S16_S17_S18_S1B_S1C_jS1D_jS1E_S1E_jjS1G_bEUljE0_EEESZ_S10_S11_S18_S1C_S1E_T6_T7_T9_mT8_S1G_bDpT10_ENKUlT_T0_E_clISt17integral_constantIbLb0EES1T_IbLb1EEEEDaS1P_S1Q_EUlS1P_E_NS1_11comp_targetILNS1_3genE5ELNS1_11target_archE942ELNS1_3gpuE9ELNS1_3repE0EEENS1_30default_config_static_selectorELNS0_4arch9wavefront6targetE0EEEvS12_.has_recursion, 0
	.set _ZN7rocprim17ROCPRIM_400000_NS6detail17trampoline_kernelINS0_13select_configILj256ELj13ELNS0_17block_load_methodE3ELS4_3ELS4_3ELNS0_20block_scan_algorithmE0ELj4294967295EEENS1_25partition_config_selectorILNS1_17partition_subalgoE4EjNS0_10empty_typeEbEEZZNS1_14partition_implILS8_4ELb0ES6_15HIP_vector_typeIjLj2EENS0_17counting_iteratorIjlEEPS9_SG_NS0_5tupleIJPjSI_NS0_16reverse_iteratorISI_EEEEENSH_IJSG_SG_SG_EEES9_SI_JZNS1_25segmented_radix_sort_implINS0_14default_configELb1EPKsPsPKlPlN2at6native12_GLOBAL__N_18offset_tEEE10hipError_tPvRmT1_PNSt15iterator_traitsIS12_E10value_typeET2_T3_PNS13_IS18_E10value_typeET4_jRbjT5_S1E_jjP12ihipStream_tbEUljE_ZNSN_ISO_Lb1ESQ_SR_ST_SU_SY_EESZ_S10_S11_S12_S16_S17_S18_S1B_S1C_jS1D_jS1E_S1E_jjS1G_bEUljE0_EEESZ_S10_S11_S18_S1C_S1E_T6_T7_T9_mT8_S1G_bDpT10_ENKUlT_T0_E_clISt17integral_constantIbLb0EES1T_IbLb1EEEEDaS1P_S1Q_EUlS1P_E_NS1_11comp_targetILNS1_3genE5ELNS1_11target_archE942ELNS1_3gpuE9ELNS1_3repE0EEENS1_30default_config_static_selectorELNS0_4arch9wavefront6targetE0EEEvS12_.has_indirect_call, 0
	.section	.AMDGPU.csdata,"",@progbits
; Kernel info:
; codeLenInByte = 0
; TotalNumSgprs: 0
; NumVgprs: 0
; ScratchSize: 0
; MemoryBound: 0
; FloatMode: 240
; IeeeMode: 1
; LDSByteSize: 0 bytes/workgroup (compile time only)
; SGPRBlocks: 0
; VGPRBlocks: 0
; NumSGPRsForWavesPerEU: 1
; NumVGPRsForWavesPerEU: 1
; NamedBarCnt: 0
; Occupancy: 16
; WaveLimiterHint : 0
; COMPUTE_PGM_RSRC2:SCRATCH_EN: 0
; COMPUTE_PGM_RSRC2:USER_SGPR: 2
; COMPUTE_PGM_RSRC2:TRAP_HANDLER: 0
; COMPUTE_PGM_RSRC2:TGID_X_EN: 1
; COMPUTE_PGM_RSRC2:TGID_Y_EN: 0
; COMPUTE_PGM_RSRC2:TGID_Z_EN: 0
; COMPUTE_PGM_RSRC2:TIDIG_COMP_CNT: 0
	.section	.text._ZN7rocprim17ROCPRIM_400000_NS6detail17trampoline_kernelINS0_13select_configILj256ELj13ELNS0_17block_load_methodE3ELS4_3ELS4_3ELNS0_20block_scan_algorithmE0ELj4294967295EEENS1_25partition_config_selectorILNS1_17partition_subalgoE4EjNS0_10empty_typeEbEEZZNS1_14partition_implILS8_4ELb0ES6_15HIP_vector_typeIjLj2EENS0_17counting_iteratorIjlEEPS9_SG_NS0_5tupleIJPjSI_NS0_16reverse_iteratorISI_EEEEENSH_IJSG_SG_SG_EEES9_SI_JZNS1_25segmented_radix_sort_implINS0_14default_configELb1EPKsPsPKlPlN2at6native12_GLOBAL__N_18offset_tEEE10hipError_tPvRmT1_PNSt15iterator_traitsIS12_E10value_typeET2_T3_PNS13_IS18_E10value_typeET4_jRbjT5_S1E_jjP12ihipStream_tbEUljE_ZNSN_ISO_Lb1ESQ_SR_ST_SU_SY_EESZ_S10_S11_S12_S16_S17_S18_S1B_S1C_jS1D_jS1E_S1E_jjS1G_bEUljE0_EEESZ_S10_S11_S18_S1C_S1E_T6_T7_T9_mT8_S1G_bDpT10_ENKUlT_T0_E_clISt17integral_constantIbLb0EES1T_IbLb1EEEEDaS1P_S1Q_EUlS1P_E_NS1_11comp_targetILNS1_3genE4ELNS1_11target_archE910ELNS1_3gpuE8ELNS1_3repE0EEENS1_30default_config_static_selectorELNS0_4arch9wavefront6targetE0EEEvS12_,"axG",@progbits,_ZN7rocprim17ROCPRIM_400000_NS6detail17trampoline_kernelINS0_13select_configILj256ELj13ELNS0_17block_load_methodE3ELS4_3ELS4_3ELNS0_20block_scan_algorithmE0ELj4294967295EEENS1_25partition_config_selectorILNS1_17partition_subalgoE4EjNS0_10empty_typeEbEEZZNS1_14partition_implILS8_4ELb0ES6_15HIP_vector_typeIjLj2EENS0_17counting_iteratorIjlEEPS9_SG_NS0_5tupleIJPjSI_NS0_16reverse_iteratorISI_EEEEENSH_IJSG_SG_SG_EEES9_SI_JZNS1_25segmented_radix_sort_implINS0_14default_configELb1EPKsPsPKlPlN2at6native12_GLOBAL__N_18offset_tEEE10hipError_tPvRmT1_PNSt15iterator_traitsIS12_E10value_typeET2_T3_PNS13_IS18_E10value_typeET4_jRbjT5_S1E_jjP12ihipStream_tbEUljE_ZNSN_ISO_Lb1ESQ_SR_ST_SU_SY_EESZ_S10_S11_S12_S16_S17_S18_S1B_S1C_jS1D_jS1E_S1E_jjS1G_bEUljE0_EEESZ_S10_S11_S18_S1C_S1E_T6_T7_T9_mT8_S1G_bDpT10_ENKUlT_T0_E_clISt17integral_constantIbLb0EES1T_IbLb1EEEEDaS1P_S1Q_EUlS1P_E_NS1_11comp_targetILNS1_3genE4ELNS1_11target_archE910ELNS1_3gpuE8ELNS1_3repE0EEENS1_30default_config_static_selectorELNS0_4arch9wavefront6targetE0EEEvS12_,comdat
	.globl	_ZN7rocprim17ROCPRIM_400000_NS6detail17trampoline_kernelINS0_13select_configILj256ELj13ELNS0_17block_load_methodE3ELS4_3ELS4_3ELNS0_20block_scan_algorithmE0ELj4294967295EEENS1_25partition_config_selectorILNS1_17partition_subalgoE4EjNS0_10empty_typeEbEEZZNS1_14partition_implILS8_4ELb0ES6_15HIP_vector_typeIjLj2EENS0_17counting_iteratorIjlEEPS9_SG_NS0_5tupleIJPjSI_NS0_16reverse_iteratorISI_EEEEENSH_IJSG_SG_SG_EEES9_SI_JZNS1_25segmented_radix_sort_implINS0_14default_configELb1EPKsPsPKlPlN2at6native12_GLOBAL__N_18offset_tEEE10hipError_tPvRmT1_PNSt15iterator_traitsIS12_E10value_typeET2_T3_PNS13_IS18_E10value_typeET4_jRbjT5_S1E_jjP12ihipStream_tbEUljE_ZNSN_ISO_Lb1ESQ_SR_ST_SU_SY_EESZ_S10_S11_S12_S16_S17_S18_S1B_S1C_jS1D_jS1E_S1E_jjS1G_bEUljE0_EEESZ_S10_S11_S18_S1C_S1E_T6_T7_T9_mT8_S1G_bDpT10_ENKUlT_T0_E_clISt17integral_constantIbLb0EES1T_IbLb1EEEEDaS1P_S1Q_EUlS1P_E_NS1_11comp_targetILNS1_3genE4ELNS1_11target_archE910ELNS1_3gpuE8ELNS1_3repE0EEENS1_30default_config_static_selectorELNS0_4arch9wavefront6targetE0EEEvS12_ ; -- Begin function _ZN7rocprim17ROCPRIM_400000_NS6detail17trampoline_kernelINS0_13select_configILj256ELj13ELNS0_17block_load_methodE3ELS4_3ELS4_3ELNS0_20block_scan_algorithmE0ELj4294967295EEENS1_25partition_config_selectorILNS1_17partition_subalgoE4EjNS0_10empty_typeEbEEZZNS1_14partition_implILS8_4ELb0ES6_15HIP_vector_typeIjLj2EENS0_17counting_iteratorIjlEEPS9_SG_NS0_5tupleIJPjSI_NS0_16reverse_iteratorISI_EEEEENSH_IJSG_SG_SG_EEES9_SI_JZNS1_25segmented_radix_sort_implINS0_14default_configELb1EPKsPsPKlPlN2at6native12_GLOBAL__N_18offset_tEEE10hipError_tPvRmT1_PNSt15iterator_traitsIS12_E10value_typeET2_T3_PNS13_IS18_E10value_typeET4_jRbjT5_S1E_jjP12ihipStream_tbEUljE_ZNSN_ISO_Lb1ESQ_SR_ST_SU_SY_EESZ_S10_S11_S12_S16_S17_S18_S1B_S1C_jS1D_jS1E_S1E_jjS1G_bEUljE0_EEESZ_S10_S11_S18_S1C_S1E_T6_T7_T9_mT8_S1G_bDpT10_ENKUlT_T0_E_clISt17integral_constantIbLb0EES1T_IbLb1EEEEDaS1P_S1Q_EUlS1P_E_NS1_11comp_targetILNS1_3genE4ELNS1_11target_archE910ELNS1_3gpuE8ELNS1_3repE0EEENS1_30default_config_static_selectorELNS0_4arch9wavefront6targetE0EEEvS12_
	.p2align	8
	.type	_ZN7rocprim17ROCPRIM_400000_NS6detail17trampoline_kernelINS0_13select_configILj256ELj13ELNS0_17block_load_methodE3ELS4_3ELS4_3ELNS0_20block_scan_algorithmE0ELj4294967295EEENS1_25partition_config_selectorILNS1_17partition_subalgoE4EjNS0_10empty_typeEbEEZZNS1_14partition_implILS8_4ELb0ES6_15HIP_vector_typeIjLj2EENS0_17counting_iteratorIjlEEPS9_SG_NS0_5tupleIJPjSI_NS0_16reverse_iteratorISI_EEEEENSH_IJSG_SG_SG_EEES9_SI_JZNS1_25segmented_radix_sort_implINS0_14default_configELb1EPKsPsPKlPlN2at6native12_GLOBAL__N_18offset_tEEE10hipError_tPvRmT1_PNSt15iterator_traitsIS12_E10value_typeET2_T3_PNS13_IS18_E10value_typeET4_jRbjT5_S1E_jjP12ihipStream_tbEUljE_ZNSN_ISO_Lb1ESQ_SR_ST_SU_SY_EESZ_S10_S11_S12_S16_S17_S18_S1B_S1C_jS1D_jS1E_S1E_jjS1G_bEUljE0_EEESZ_S10_S11_S18_S1C_S1E_T6_T7_T9_mT8_S1G_bDpT10_ENKUlT_T0_E_clISt17integral_constantIbLb0EES1T_IbLb1EEEEDaS1P_S1Q_EUlS1P_E_NS1_11comp_targetILNS1_3genE4ELNS1_11target_archE910ELNS1_3gpuE8ELNS1_3repE0EEENS1_30default_config_static_selectorELNS0_4arch9wavefront6targetE0EEEvS12_,@function
_ZN7rocprim17ROCPRIM_400000_NS6detail17trampoline_kernelINS0_13select_configILj256ELj13ELNS0_17block_load_methodE3ELS4_3ELS4_3ELNS0_20block_scan_algorithmE0ELj4294967295EEENS1_25partition_config_selectorILNS1_17partition_subalgoE4EjNS0_10empty_typeEbEEZZNS1_14partition_implILS8_4ELb0ES6_15HIP_vector_typeIjLj2EENS0_17counting_iteratorIjlEEPS9_SG_NS0_5tupleIJPjSI_NS0_16reverse_iteratorISI_EEEEENSH_IJSG_SG_SG_EEES9_SI_JZNS1_25segmented_radix_sort_implINS0_14default_configELb1EPKsPsPKlPlN2at6native12_GLOBAL__N_18offset_tEEE10hipError_tPvRmT1_PNSt15iterator_traitsIS12_E10value_typeET2_T3_PNS13_IS18_E10value_typeET4_jRbjT5_S1E_jjP12ihipStream_tbEUljE_ZNSN_ISO_Lb1ESQ_SR_ST_SU_SY_EESZ_S10_S11_S12_S16_S17_S18_S1B_S1C_jS1D_jS1E_S1E_jjS1G_bEUljE0_EEESZ_S10_S11_S18_S1C_S1E_T6_T7_T9_mT8_S1G_bDpT10_ENKUlT_T0_E_clISt17integral_constantIbLb0EES1T_IbLb1EEEEDaS1P_S1Q_EUlS1P_E_NS1_11comp_targetILNS1_3genE4ELNS1_11target_archE910ELNS1_3gpuE8ELNS1_3repE0EEENS1_30default_config_static_selectorELNS0_4arch9wavefront6targetE0EEEvS12_: ; @_ZN7rocprim17ROCPRIM_400000_NS6detail17trampoline_kernelINS0_13select_configILj256ELj13ELNS0_17block_load_methodE3ELS4_3ELS4_3ELNS0_20block_scan_algorithmE0ELj4294967295EEENS1_25partition_config_selectorILNS1_17partition_subalgoE4EjNS0_10empty_typeEbEEZZNS1_14partition_implILS8_4ELb0ES6_15HIP_vector_typeIjLj2EENS0_17counting_iteratorIjlEEPS9_SG_NS0_5tupleIJPjSI_NS0_16reverse_iteratorISI_EEEEENSH_IJSG_SG_SG_EEES9_SI_JZNS1_25segmented_radix_sort_implINS0_14default_configELb1EPKsPsPKlPlN2at6native12_GLOBAL__N_18offset_tEEE10hipError_tPvRmT1_PNSt15iterator_traitsIS12_E10value_typeET2_T3_PNS13_IS18_E10value_typeET4_jRbjT5_S1E_jjP12ihipStream_tbEUljE_ZNSN_ISO_Lb1ESQ_SR_ST_SU_SY_EESZ_S10_S11_S12_S16_S17_S18_S1B_S1C_jS1D_jS1E_S1E_jjS1G_bEUljE0_EEESZ_S10_S11_S18_S1C_S1E_T6_T7_T9_mT8_S1G_bDpT10_ENKUlT_T0_E_clISt17integral_constantIbLb0EES1T_IbLb1EEEEDaS1P_S1Q_EUlS1P_E_NS1_11comp_targetILNS1_3genE4ELNS1_11target_archE910ELNS1_3gpuE8ELNS1_3repE0EEENS1_30default_config_static_selectorELNS0_4arch9wavefront6targetE0EEEvS12_
; %bb.0:
	.section	.rodata,"a",@progbits
	.p2align	6, 0x0
	.amdhsa_kernel _ZN7rocprim17ROCPRIM_400000_NS6detail17trampoline_kernelINS0_13select_configILj256ELj13ELNS0_17block_load_methodE3ELS4_3ELS4_3ELNS0_20block_scan_algorithmE0ELj4294967295EEENS1_25partition_config_selectorILNS1_17partition_subalgoE4EjNS0_10empty_typeEbEEZZNS1_14partition_implILS8_4ELb0ES6_15HIP_vector_typeIjLj2EENS0_17counting_iteratorIjlEEPS9_SG_NS0_5tupleIJPjSI_NS0_16reverse_iteratorISI_EEEEENSH_IJSG_SG_SG_EEES9_SI_JZNS1_25segmented_radix_sort_implINS0_14default_configELb1EPKsPsPKlPlN2at6native12_GLOBAL__N_18offset_tEEE10hipError_tPvRmT1_PNSt15iterator_traitsIS12_E10value_typeET2_T3_PNS13_IS18_E10value_typeET4_jRbjT5_S1E_jjP12ihipStream_tbEUljE_ZNSN_ISO_Lb1ESQ_SR_ST_SU_SY_EESZ_S10_S11_S12_S16_S17_S18_S1B_S1C_jS1D_jS1E_S1E_jjS1G_bEUljE0_EEESZ_S10_S11_S18_S1C_S1E_T6_T7_T9_mT8_S1G_bDpT10_ENKUlT_T0_E_clISt17integral_constantIbLb0EES1T_IbLb1EEEEDaS1P_S1Q_EUlS1P_E_NS1_11comp_targetILNS1_3genE4ELNS1_11target_archE910ELNS1_3gpuE8ELNS1_3repE0EEENS1_30default_config_static_selectorELNS0_4arch9wavefront6targetE0EEEvS12_
		.amdhsa_group_segment_fixed_size 0
		.amdhsa_private_segment_fixed_size 0
		.amdhsa_kernarg_size 184
		.amdhsa_user_sgpr_count 2
		.amdhsa_user_sgpr_dispatch_ptr 0
		.amdhsa_user_sgpr_queue_ptr 0
		.amdhsa_user_sgpr_kernarg_segment_ptr 1
		.amdhsa_user_sgpr_dispatch_id 0
		.amdhsa_user_sgpr_kernarg_preload_length 0
		.amdhsa_user_sgpr_kernarg_preload_offset 0
		.amdhsa_user_sgpr_private_segment_size 0
		.amdhsa_wavefront_size32 1
		.amdhsa_uses_dynamic_stack 0
		.amdhsa_enable_private_segment 0
		.amdhsa_system_sgpr_workgroup_id_x 1
		.amdhsa_system_sgpr_workgroup_id_y 0
		.amdhsa_system_sgpr_workgroup_id_z 0
		.amdhsa_system_sgpr_workgroup_info 0
		.amdhsa_system_vgpr_workitem_id 0
		.amdhsa_next_free_vgpr 1
		.amdhsa_next_free_sgpr 1
		.amdhsa_named_barrier_count 0
		.amdhsa_reserve_vcc 0
		.amdhsa_float_round_mode_32 0
		.amdhsa_float_round_mode_16_64 0
		.amdhsa_float_denorm_mode_32 3
		.amdhsa_float_denorm_mode_16_64 3
		.amdhsa_fp16_overflow 0
		.amdhsa_memory_ordered 1
		.amdhsa_forward_progress 1
		.amdhsa_inst_pref_size 0
		.amdhsa_round_robin_scheduling 0
		.amdhsa_exception_fp_ieee_invalid_op 0
		.amdhsa_exception_fp_denorm_src 0
		.amdhsa_exception_fp_ieee_div_zero 0
		.amdhsa_exception_fp_ieee_overflow 0
		.amdhsa_exception_fp_ieee_underflow 0
		.amdhsa_exception_fp_ieee_inexact 0
		.amdhsa_exception_int_div_zero 0
	.end_amdhsa_kernel
	.section	.text._ZN7rocprim17ROCPRIM_400000_NS6detail17trampoline_kernelINS0_13select_configILj256ELj13ELNS0_17block_load_methodE3ELS4_3ELS4_3ELNS0_20block_scan_algorithmE0ELj4294967295EEENS1_25partition_config_selectorILNS1_17partition_subalgoE4EjNS0_10empty_typeEbEEZZNS1_14partition_implILS8_4ELb0ES6_15HIP_vector_typeIjLj2EENS0_17counting_iteratorIjlEEPS9_SG_NS0_5tupleIJPjSI_NS0_16reverse_iteratorISI_EEEEENSH_IJSG_SG_SG_EEES9_SI_JZNS1_25segmented_radix_sort_implINS0_14default_configELb1EPKsPsPKlPlN2at6native12_GLOBAL__N_18offset_tEEE10hipError_tPvRmT1_PNSt15iterator_traitsIS12_E10value_typeET2_T3_PNS13_IS18_E10value_typeET4_jRbjT5_S1E_jjP12ihipStream_tbEUljE_ZNSN_ISO_Lb1ESQ_SR_ST_SU_SY_EESZ_S10_S11_S12_S16_S17_S18_S1B_S1C_jS1D_jS1E_S1E_jjS1G_bEUljE0_EEESZ_S10_S11_S18_S1C_S1E_T6_T7_T9_mT8_S1G_bDpT10_ENKUlT_T0_E_clISt17integral_constantIbLb0EES1T_IbLb1EEEEDaS1P_S1Q_EUlS1P_E_NS1_11comp_targetILNS1_3genE4ELNS1_11target_archE910ELNS1_3gpuE8ELNS1_3repE0EEENS1_30default_config_static_selectorELNS0_4arch9wavefront6targetE0EEEvS12_,"axG",@progbits,_ZN7rocprim17ROCPRIM_400000_NS6detail17trampoline_kernelINS0_13select_configILj256ELj13ELNS0_17block_load_methodE3ELS4_3ELS4_3ELNS0_20block_scan_algorithmE0ELj4294967295EEENS1_25partition_config_selectorILNS1_17partition_subalgoE4EjNS0_10empty_typeEbEEZZNS1_14partition_implILS8_4ELb0ES6_15HIP_vector_typeIjLj2EENS0_17counting_iteratorIjlEEPS9_SG_NS0_5tupleIJPjSI_NS0_16reverse_iteratorISI_EEEEENSH_IJSG_SG_SG_EEES9_SI_JZNS1_25segmented_radix_sort_implINS0_14default_configELb1EPKsPsPKlPlN2at6native12_GLOBAL__N_18offset_tEEE10hipError_tPvRmT1_PNSt15iterator_traitsIS12_E10value_typeET2_T3_PNS13_IS18_E10value_typeET4_jRbjT5_S1E_jjP12ihipStream_tbEUljE_ZNSN_ISO_Lb1ESQ_SR_ST_SU_SY_EESZ_S10_S11_S12_S16_S17_S18_S1B_S1C_jS1D_jS1E_S1E_jjS1G_bEUljE0_EEESZ_S10_S11_S18_S1C_S1E_T6_T7_T9_mT8_S1G_bDpT10_ENKUlT_T0_E_clISt17integral_constantIbLb0EES1T_IbLb1EEEEDaS1P_S1Q_EUlS1P_E_NS1_11comp_targetILNS1_3genE4ELNS1_11target_archE910ELNS1_3gpuE8ELNS1_3repE0EEENS1_30default_config_static_selectorELNS0_4arch9wavefront6targetE0EEEvS12_,comdat
.Lfunc_end869:
	.size	_ZN7rocprim17ROCPRIM_400000_NS6detail17trampoline_kernelINS0_13select_configILj256ELj13ELNS0_17block_load_methodE3ELS4_3ELS4_3ELNS0_20block_scan_algorithmE0ELj4294967295EEENS1_25partition_config_selectorILNS1_17partition_subalgoE4EjNS0_10empty_typeEbEEZZNS1_14partition_implILS8_4ELb0ES6_15HIP_vector_typeIjLj2EENS0_17counting_iteratorIjlEEPS9_SG_NS0_5tupleIJPjSI_NS0_16reverse_iteratorISI_EEEEENSH_IJSG_SG_SG_EEES9_SI_JZNS1_25segmented_radix_sort_implINS0_14default_configELb1EPKsPsPKlPlN2at6native12_GLOBAL__N_18offset_tEEE10hipError_tPvRmT1_PNSt15iterator_traitsIS12_E10value_typeET2_T3_PNS13_IS18_E10value_typeET4_jRbjT5_S1E_jjP12ihipStream_tbEUljE_ZNSN_ISO_Lb1ESQ_SR_ST_SU_SY_EESZ_S10_S11_S12_S16_S17_S18_S1B_S1C_jS1D_jS1E_S1E_jjS1G_bEUljE0_EEESZ_S10_S11_S18_S1C_S1E_T6_T7_T9_mT8_S1G_bDpT10_ENKUlT_T0_E_clISt17integral_constantIbLb0EES1T_IbLb1EEEEDaS1P_S1Q_EUlS1P_E_NS1_11comp_targetILNS1_3genE4ELNS1_11target_archE910ELNS1_3gpuE8ELNS1_3repE0EEENS1_30default_config_static_selectorELNS0_4arch9wavefront6targetE0EEEvS12_, .Lfunc_end869-_ZN7rocprim17ROCPRIM_400000_NS6detail17trampoline_kernelINS0_13select_configILj256ELj13ELNS0_17block_load_methodE3ELS4_3ELS4_3ELNS0_20block_scan_algorithmE0ELj4294967295EEENS1_25partition_config_selectorILNS1_17partition_subalgoE4EjNS0_10empty_typeEbEEZZNS1_14partition_implILS8_4ELb0ES6_15HIP_vector_typeIjLj2EENS0_17counting_iteratorIjlEEPS9_SG_NS0_5tupleIJPjSI_NS0_16reverse_iteratorISI_EEEEENSH_IJSG_SG_SG_EEES9_SI_JZNS1_25segmented_radix_sort_implINS0_14default_configELb1EPKsPsPKlPlN2at6native12_GLOBAL__N_18offset_tEEE10hipError_tPvRmT1_PNSt15iterator_traitsIS12_E10value_typeET2_T3_PNS13_IS18_E10value_typeET4_jRbjT5_S1E_jjP12ihipStream_tbEUljE_ZNSN_ISO_Lb1ESQ_SR_ST_SU_SY_EESZ_S10_S11_S12_S16_S17_S18_S1B_S1C_jS1D_jS1E_S1E_jjS1G_bEUljE0_EEESZ_S10_S11_S18_S1C_S1E_T6_T7_T9_mT8_S1G_bDpT10_ENKUlT_T0_E_clISt17integral_constantIbLb0EES1T_IbLb1EEEEDaS1P_S1Q_EUlS1P_E_NS1_11comp_targetILNS1_3genE4ELNS1_11target_archE910ELNS1_3gpuE8ELNS1_3repE0EEENS1_30default_config_static_selectorELNS0_4arch9wavefront6targetE0EEEvS12_
                                        ; -- End function
	.set _ZN7rocprim17ROCPRIM_400000_NS6detail17trampoline_kernelINS0_13select_configILj256ELj13ELNS0_17block_load_methodE3ELS4_3ELS4_3ELNS0_20block_scan_algorithmE0ELj4294967295EEENS1_25partition_config_selectorILNS1_17partition_subalgoE4EjNS0_10empty_typeEbEEZZNS1_14partition_implILS8_4ELb0ES6_15HIP_vector_typeIjLj2EENS0_17counting_iteratorIjlEEPS9_SG_NS0_5tupleIJPjSI_NS0_16reverse_iteratorISI_EEEEENSH_IJSG_SG_SG_EEES9_SI_JZNS1_25segmented_radix_sort_implINS0_14default_configELb1EPKsPsPKlPlN2at6native12_GLOBAL__N_18offset_tEEE10hipError_tPvRmT1_PNSt15iterator_traitsIS12_E10value_typeET2_T3_PNS13_IS18_E10value_typeET4_jRbjT5_S1E_jjP12ihipStream_tbEUljE_ZNSN_ISO_Lb1ESQ_SR_ST_SU_SY_EESZ_S10_S11_S12_S16_S17_S18_S1B_S1C_jS1D_jS1E_S1E_jjS1G_bEUljE0_EEESZ_S10_S11_S18_S1C_S1E_T6_T7_T9_mT8_S1G_bDpT10_ENKUlT_T0_E_clISt17integral_constantIbLb0EES1T_IbLb1EEEEDaS1P_S1Q_EUlS1P_E_NS1_11comp_targetILNS1_3genE4ELNS1_11target_archE910ELNS1_3gpuE8ELNS1_3repE0EEENS1_30default_config_static_selectorELNS0_4arch9wavefront6targetE0EEEvS12_.num_vgpr, 0
	.set _ZN7rocprim17ROCPRIM_400000_NS6detail17trampoline_kernelINS0_13select_configILj256ELj13ELNS0_17block_load_methodE3ELS4_3ELS4_3ELNS0_20block_scan_algorithmE0ELj4294967295EEENS1_25partition_config_selectorILNS1_17partition_subalgoE4EjNS0_10empty_typeEbEEZZNS1_14partition_implILS8_4ELb0ES6_15HIP_vector_typeIjLj2EENS0_17counting_iteratorIjlEEPS9_SG_NS0_5tupleIJPjSI_NS0_16reverse_iteratorISI_EEEEENSH_IJSG_SG_SG_EEES9_SI_JZNS1_25segmented_radix_sort_implINS0_14default_configELb1EPKsPsPKlPlN2at6native12_GLOBAL__N_18offset_tEEE10hipError_tPvRmT1_PNSt15iterator_traitsIS12_E10value_typeET2_T3_PNS13_IS18_E10value_typeET4_jRbjT5_S1E_jjP12ihipStream_tbEUljE_ZNSN_ISO_Lb1ESQ_SR_ST_SU_SY_EESZ_S10_S11_S12_S16_S17_S18_S1B_S1C_jS1D_jS1E_S1E_jjS1G_bEUljE0_EEESZ_S10_S11_S18_S1C_S1E_T6_T7_T9_mT8_S1G_bDpT10_ENKUlT_T0_E_clISt17integral_constantIbLb0EES1T_IbLb1EEEEDaS1P_S1Q_EUlS1P_E_NS1_11comp_targetILNS1_3genE4ELNS1_11target_archE910ELNS1_3gpuE8ELNS1_3repE0EEENS1_30default_config_static_selectorELNS0_4arch9wavefront6targetE0EEEvS12_.num_agpr, 0
	.set _ZN7rocprim17ROCPRIM_400000_NS6detail17trampoline_kernelINS0_13select_configILj256ELj13ELNS0_17block_load_methodE3ELS4_3ELS4_3ELNS0_20block_scan_algorithmE0ELj4294967295EEENS1_25partition_config_selectorILNS1_17partition_subalgoE4EjNS0_10empty_typeEbEEZZNS1_14partition_implILS8_4ELb0ES6_15HIP_vector_typeIjLj2EENS0_17counting_iteratorIjlEEPS9_SG_NS0_5tupleIJPjSI_NS0_16reverse_iteratorISI_EEEEENSH_IJSG_SG_SG_EEES9_SI_JZNS1_25segmented_radix_sort_implINS0_14default_configELb1EPKsPsPKlPlN2at6native12_GLOBAL__N_18offset_tEEE10hipError_tPvRmT1_PNSt15iterator_traitsIS12_E10value_typeET2_T3_PNS13_IS18_E10value_typeET4_jRbjT5_S1E_jjP12ihipStream_tbEUljE_ZNSN_ISO_Lb1ESQ_SR_ST_SU_SY_EESZ_S10_S11_S12_S16_S17_S18_S1B_S1C_jS1D_jS1E_S1E_jjS1G_bEUljE0_EEESZ_S10_S11_S18_S1C_S1E_T6_T7_T9_mT8_S1G_bDpT10_ENKUlT_T0_E_clISt17integral_constantIbLb0EES1T_IbLb1EEEEDaS1P_S1Q_EUlS1P_E_NS1_11comp_targetILNS1_3genE4ELNS1_11target_archE910ELNS1_3gpuE8ELNS1_3repE0EEENS1_30default_config_static_selectorELNS0_4arch9wavefront6targetE0EEEvS12_.numbered_sgpr, 0
	.set _ZN7rocprim17ROCPRIM_400000_NS6detail17trampoline_kernelINS0_13select_configILj256ELj13ELNS0_17block_load_methodE3ELS4_3ELS4_3ELNS0_20block_scan_algorithmE0ELj4294967295EEENS1_25partition_config_selectorILNS1_17partition_subalgoE4EjNS0_10empty_typeEbEEZZNS1_14partition_implILS8_4ELb0ES6_15HIP_vector_typeIjLj2EENS0_17counting_iteratorIjlEEPS9_SG_NS0_5tupleIJPjSI_NS0_16reverse_iteratorISI_EEEEENSH_IJSG_SG_SG_EEES9_SI_JZNS1_25segmented_radix_sort_implINS0_14default_configELb1EPKsPsPKlPlN2at6native12_GLOBAL__N_18offset_tEEE10hipError_tPvRmT1_PNSt15iterator_traitsIS12_E10value_typeET2_T3_PNS13_IS18_E10value_typeET4_jRbjT5_S1E_jjP12ihipStream_tbEUljE_ZNSN_ISO_Lb1ESQ_SR_ST_SU_SY_EESZ_S10_S11_S12_S16_S17_S18_S1B_S1C_jS1D_jS1E_S1E_jjS1G_bEUljE0_EEESZ_S10_S11_S18_S1C_S1E_T6_T7_T9_mT8_S1G_bDpT10_ENKUlT_T0_E_clISt17integral_constantIbLb0EES1T_IbLb1EEEEDaS1P_S1Q_EUlS1P_E_NS1_11comp_targetILNS1_3genE4ELNS1_11target_archE910ELNS1_3gpuE8ELNS1_3repE0EEENS1_30default_config_static_selectorELNS0_4arch9wavefront6targetE0EEEvS12_.num_named_barrier, 0
	.set _ZN7rocprim17ROCPRIM_400000_NS6detail17trampoline_kernelINS0_13select_configILj256ELj13ELNS0_17block_load_methodE3ELS4_3ELS4_3ELNS0_20block_scan_algorithmE0ELj4294967295EEENS1_25partition_config_selectorILNS1_17partition_subalgoE4EjNS0_10empty_typeEbEEZZNS1_14partition_implILS8_4ELb0ES6_15HIP_vector_typeIjLj2EENS0_17counting_iteratorIjlEEPS9_SG_NS0_5tupleIJPjSI_NS0_16reverse_iteratorISI_EEEEENSH_IJSG_SG_SG_EEES9_SI_JZNS1_25segmented_radix_sort_implINS0_14default_configELb1EPKsPsPKlPlN2at6native12_GLOBAL__N_18offset_tEEE10hipError_tPvRmT1_PNSt15iterator_traitsIS12_E10value_typeET2_T3_PNS13_IS18_E10value_typeET4_jRbjT5_S1E_jjP12ihipStream_tbEUljE_ZNSN_ISO_Lb1ESQ_SR_ST_SU_SY_EESZ_S10_S11_S12_S16_S17_S18_S1B_S1C_jS1D_jS1E_S1E_jjS1G_bEUljE0_EEESZ_S10_S11_S18_S1C_S1E_T6_T7_T9_mT8_S1G_bDpT10_ENKUlT_T0_E_clISt17integral_constantIbLb0EES1T_IbLb1EEEEDaS1P_S1Q_EUlS1P_E_NS1_11comp_targetILNS1_3genE4ELNS1_11target_archE910ELNS1_3gpuE8ELNS1_3repE0EEENS1_30default_config_static_selectorELNS0_4arch9wavefront6targetE0EEEvS12_.private_seg_size, 0
	.set _ZN7rocprim17ROCPRIM_400000_NS6detail17trampoline_kernelINS0_13select_configILj256ELj13ELNS0_17block_load_methodE3ELS4_3ELS4_3ELNS0_20block_scan_algorithmE0ELj4294967295EEENS1_25partition_config_selectorILNS1_17partition_subalgoE4EjNS0_10empty_typeEbEEZZNS1_14partition_implILS8_4ELb0ES6_15HIP_vector_typeIjLj2EENS0_17counting_iteratorIjlEEPS9_SG_NS0_5tupleIJPjSI_NS0_16reverse_iteratorISI_EEEEENSH_IJSG_SG_SG_EEES9_SI_JZNS1_25segmented_radix_sort_implINS0_14default_configELb1EPKsPsPKlPlN2at6native12_GLOBAL__N_18offset_tEEE10hipError_tPvRmT1_PNSt15iterator_traitsIS12_E10value_typeET2_T3_PNS13_IS18_E10value_typeET4_jRbjT5_S1E_jjP12ihipStream_tbEUljE_ZNSN_ISO_Lb1ESQ_SR_ST_SU_SY_EESZ_S10_S11_S12_S16_S17_S18_S1B_S1C_jS1D_jS1E_S1E_jjS1G_bEUljE0_EEESZ_S10_S11_S18_S1C_S1E_T6_T7_T9_mT8_S1G_bDpT10_ENKUlT_T0_E_clISt17integral_constantIbLb0EES1T_IbLb1EEEEDaS1P_S1Q_EUlS1P_E_NS1_11comp_targetILNS1_3genE4ELNS1_11target_archE910ELNS1_3gpuE8ELNS1_3repE0EEENS1_30default_config_static_selectorELNS0_4arch9wavefront6targetE0EEEvS12_.uses_vcc, 0
	.set _ZN7rocprim17ROCPRIM_400000_NS6detail17trampoline_kernelINS0_13select_configILj256ELj13ELNS0_17block_load_methodE3ELS4_3ELS4_3ELNS0_20block_scan_algorithmE0ELj4294967295EEENS1_25partition_config_selectorILNS1_17partition_subalgoE4EjNS0_10empty_typeEbEEZZNS1_14partition_implILS8_4ELb0ES6_15HIP_vector_typeIjLj2EENS0_17counting_iteratorIjlEEPS9_SG_NS0_5tupleIJPjSI_NS0_16reverse_iteratorISI_EEEEENSH_IJSG_SG_SG_EEES9_SI_JZNS1_25segmented_radix_sort_implINS0_14default_configELb1EPKsPsPKlPlN2at6native12_GLOBAL__N_18offset_tEEE10hipError_tPvRmT1_PNSt15iterator_traitsIS12_E10value_typeET2_T3_PNS13_IS18_E10value_typeET4_jRbjT5_S1E_jjP12ihipStream_tbEUljE_ZNSN_ISO_Lb1ESQ_SR_ST_SU_SY_EESZ_S10_S11_S12_S16_S17_S18_S1B_S1C_jS1D_jS1E_S1E_jjS1G_bEUljE0_EEESZ_S10_S11_S18_S1C_S1E_T6_T7_T9_mT8_S1G_bDpT10_ENKUlT_T0_E_clISt17integral_constantIbLb0EES1T_IbLb1EEEEDaS1P_S1Q_EUlS1P_E_NS1_11comp_targetILNS1_3genE4ELNS1_11target_archE910ELNS1_3gpuE8ELNS1_3repE0EEENS1_30default_config_static_selectorELNS0_4arch9wavefront6targetE0EEEvS12_.uses_flat_scratch, 0
	.set _ZN7rocprim17ROCPRIM_400000_NS6detail17trampoline_kernelINS0_13select_configILj256ELj13ELNS0_17block_load_methodE3ELS4_3ELS4_3ELNS0_20block_scan_algorithmE0ELj4294967295EEENS1_25partition_config_selectorILNS1_17partition_subalgoE4EjNS0_10empty_typeEbEEZZNS1_14partition_implILS8_4ELb0ES6_15HIP_vector_typeIjLj2EENS0_17counting_iteratorIjlEEPS9_SG_NS0_5tupleIJPjSI_NS0_16reverse_iteratorISI_EEEEENSH_IJSG_SG_SG_EEES9_SI_JZNS1_25segmented_radix_sort_implINS0_14default_configELb1EPKsPsPKlPlN2at6native12_GLOBAL__N_18offset_tEEE10hipError_tPvRmT1_PNSt15iterator_traitsIS12_E10value_typeET2_T3_PNS13_IS18_E10value_typeET4_jRbjT5_S1E_jjP12ihipStream_tbEUljE_ZNSN_ISO_Lb1ESQ_SR_ST_SU_SY_EESZ_S10_S11_S12_S16_S17_S18_S1B_S1C_jS1D_jS1E_S1E_jjS1G_bEUljE0_EEESZ_S10_S11_S18_S1C_S1E_T6_T7_T9_mT8_S1G_bDpT10_ENKUlT_T0_E_clISt17integral_constantIbLb0EES1T_IbLb1EEEEDaS1P_S1Q_EUlS1P_E_NS1_11comp_targetILNS1_3genE4ELNS1_11target_archE910ELNS1_3gpuE8ELNS1_3repE0EEENS1_30default_config_static_selectorELNS0_4arch9wavefront6targetE0EEEvS12_.has_dyn_sized_stack, 0
	.set _ZN7rocprim17ROCPRIM_400000_NS6detail17trampoline_kernelINS0_13select_configILj256ELj13ELNS0_17block_load_methodE3ELS4_3ELS4_3ELNS0_20block_scan_algorithmE0ELj4294967295EEENS1_25partition_config_selectorILNS1_17partition_subalgoE4EjNS0_10empty_typeEbEEZZNS1_14partition_implILS8_4ELb0ES6_15HIP_vector_typeIjLj2EENS0_17counting_iteratorIjlEEPS9_SG_NS0_5tupleIJPjSI_NS0_16reverse_iteratorISI_EEEEENSH_IJSG_SG_SG_EEES9_SI_JZNS1_25segmented_radix_sort_implINS0_14default_configELb1EPKsPsPKlPlN2at6native12_GLOBAL__N_18offset_tEEE10hipError_tPvRmT1_PNSt15iterator_traitsIS12_E10value_typeET2_T3_PNS13_IS18_E10value_typeET4_jRbjT5_S1E_jjP12ihipStream_tbEUljE_ZNSN_ISO_Lb1ESQ_SR_ST_SU_SY_EESZ_S10_S11_S12_S16_S17_S18_S1B_S1C_jS1D_jS1E_S1E_jjS1G_bEUljE0_EEESZ_S10_S11_S18_S1C_S1E_T6_T7_T9_mT8_S1G_bDpT10_ENKUlT_T0_E_clISt17integral_constantIbLb0EES1T_IbLb1EEEEDaS1P_S1Q_EUlS1P_E_NS1_11comp_targetILNS1_3genE4ELNS1_11target_archE910ELNS1_3gpuE8ELNS1_3repE0EEENS1_30default_config_static_selectorELNS0_4arch9wavefront6targetE0EEEvS12_.has_recursion, 0
	.set _ZN7rocprim17ROCPRIM_400000_NS6detail17trampoline_kernelINS0_13select_configILj256ELj13ELNS0_17block_load_methodE3ELS4_3ELS4_3ELNS0_20block_scan_algorithmE0ELj4294967295EEENS1_25partition_config_selectorILNS1_17partition_subalgoE4EjNS0_10empty_typeEbEEZZNS1_14partition_implILS8_4ELb0ES6_15HIP_vector_typeIjLj2EENS0_17counting_iteratorIjlEEPS9_SG_NS0_5tupleIJPjSI_NS0_16reverse_iteratorISI_EEEEENSH_IJSG_SG_SG_EEES9_SI_JZNS1_25segmented_radix_sort_implINS0_14default_configELb1EPKsPsPKlPlN2at6native12_GLOBAL__N_18offset_tEEE10hipError_tPvRmT1_PNSt15iterator_traitsIS12_E10value_typeET2_T3_PNS13_IS18_E10value_typeET4_jRbjT5_S1E_jjP12ihipStream_tbEUljE_ZNSN_ISO_Lb1ESQ_SR_ST_SU_SY_EESZ_S10_S11_S12_S16_S17_S18_S1B_S1C_jS1D_jS1E_S1E_jjS1G_bEUljE0_EEESZ_S10_S11_S18_S1C_S1E_T6_T7_T9_mT8_S1G_bDpT10_ENKUlT_T0_E_clISt17integral_constantIbLb0EES1T_IbLb1EEEEDaS1P_S1Q_EUlS1P_E_NS1_11comp_targetILNS1_3genE4ELNS1_11target_archE910ELNS1_3gpuE8ELNS1_3repE0EEENS1_30default_config_static_selectorELNS0_4arch9wavefront6targetE0EEEvS12_.has_indirect_call, 0
	.section	.AMDGPU.csdata,"",@progbits
; Kernel info:
; codeLenInByte = 0
; TotalNumSgprs: 0
; NumVgprs: 0
; ScratchSize: 0
; MemoryBound: 0
; FloatMode: 240
; IeeeMode: 1
; LDSByteSize: 0 bytes/workgroup (compile time only)
; SGPRBlocks: 0
; VGPRBlocks: 0
; NumSGPRsForWavesPerEU: 1
; NumVGPRsForWavesPerEU: 1
; NamedBarCnt: 0
; Occupancy: 16
; WaveLimiterHint : 0
; COMPUTE_PGM_RSRC2:SCRATCH_EN: 0
; COMPUTE_PGM_RSRC2:USER_SGPR: 2
; COMPUTE_PGM_RSRC2:TRAP_HANDLER: 0
; COMPUTE_PGM_RSRC2:TGID_X_EN: 1
; COMPUTE_PGM_RSRC2:TGID_Y_EN: 0
; COMPUTE_PGM_RSRC2:TGID_Z_EN: 0
; COMPUTE_PGM_RSRC2:TIDIG_COMP_CNT: 0
	.section	.text._ZN7rocprim17ROCPRIM_400000_NS6detail17trampoline_kernelINS0_13select_configILj256ELj13ELNS0_17block_load_methodE3ELS4_3ELS4_3ELNS0_20block_scan_algorithmE0ELj4294967295EEENS1_25partition_config_selectorILNS1_17partition_subalgoE4EjNS0_10empty_typeEbEEZZNS1_14partition_implILS8_4ELb0ES6_15HIP_vector_typeIjLj2EENS0_17counting_iteratorIjlEEPS9_SG_NS0_5tupleIJPjSI_NS0_16reverse_iteratorISI_EEEEENSH_IJSG_SG_SG_EEES9_SI_JZNS1_25segmented_radix_sort_implINS0_14default_configELb1EPKsPsPKlPlN2at6native12_GLOBAL__N_18offset_tEEE10hipError_tPvRmT1_PNSt15iterator_traitsIS12_E10value_typeET2_T3_PNS13_IS18_E10value_typeET4_jRbjT5_S1E_jjP12ihipStream_tbEUljE_ZNSN_ISO_Lb1ESQ_SR_ST_SU_SY_EESZ_S10_S11_S12_S16_S17_S18_S1B_S1C_jS1D_jS1E_S1E_jjS1G_bEUljE0_EEESZ_S10_S11_S18_S1C_S1E_T6_T7_T9_mT8_S1G_bDpT10_ENKUlT_T0_E_clISt17integral_constantIbLb0EES1T_IbLb1EEEEDaS1P_S1Q_EUlS1P_E_NS1_11comp_targetILNS1_3genE3ELNS1_11target_archE908ELNS1_3gpuE7ELNS1_3repE0EEENS1_30default_config_static_selectorELNS0_4arch9wavefront6targetE0EEEvS12_,"axG",@progbits,_ZN7rocprim17ROCPRIM_400000_NS6detail17trampoline_kernelINS0_13select_configILj256ELj13ELNS0_17block_load_methodE3ELS4_3ELS4_3ELNS0_20block_scan_algorithmE0ELj4294967295EEENS1_25partition_config_selectorILNS1_17partition_subalgoE4EjNS0_10empty_typeEbEEZZNS1_14partition_implILS8_4ELb0ES6_15HIP_vector_typeIjLj2EENS0_17counting_iteratorIjlEEPS9_SG_NS0_5tupleIJPjSI_NS0_16reverse_iteratorISI_EEEEENSH_IJSG_SG_SG_EEES9_SI_JZNS1_25segmented_radix_sort_implINS0_14default_configELb1EPKsPsPKlPlN2at6native12_GLOBAL__N_18offset_tEEE10hipError_tPvRmT1_PNSt15iterator_traitsIS12_E10value_typeET2_T3_PNS13_IS18_E10value_typeET4_jRbjT5_S1E_jjP12ihipStream_tbEUljE_ZNSN_ISO_Lb1ESQ_SR_ST_SU_SY_EESZ_S10_S11_S12_S16_S17_S18_S1B_S1C_jS1D_jS1E_S1E_jjS1G_bEUljE0_EEESZ_S10_S11_S18_S1C_S1E_T6_T7_T9_mT8_S1G_bDpT10_ENKUlT_T0_E_clISt17integral_constantIbLb0EES1T_IbLb1EEEEDaS1P_S1Q_EUlS1P_E_NS1_11comp_targetILNS1_3genE3ELNS1_11target_archE908ELNS1_3gpuE7ELNS1_3repE0EEENS1_30default_config_static_selectorELNS0_4arch9wavefront6targetE0EEEvS12_,comdat
	.globl	_ZN7rocprim17ROCPRIM_400000_NS6detail17trampoline_kernelINS0_13select_configILj256ELj13ELNS0_17block_load_methodE3ELS4_3ELS4_3ELNS0_20block_scan_algorithmE0ELj4294967295EEENS1_25partition_config_selectorILNS1_17partition_subalgoE4EjNS0_10empty_typeEbEEZZNS1_14partition_implILS8_4ELb0ES6_15HIP_vector_typeIjLj2EENS0_17counting_iteratorIjlEEPS9_SG_NS0_5tupleIJPjSI_NS0_16reverse_iteratorISI_EEEEENSH_IJSG_SG_SG_EEES9_SI_JZNS1_25segmented_radix_sort_implINS0_14default_configELb1EPKsPsPKlPlN2at6native12_GLOBAL__N_18offset_tEEE10hipError_tPvRmT1_PNSt15iterator_traitsIS12_E10value_typeET2_T3_PNS13_IS18_E10value_typeET4_jRbjT5_S1E_jjP12ihipStream_tbEUljE_ZNSN_ISO_Lb1ESQ_SR_ST_SU_SY_EESZ_S10_S11_S12_S16_S17_S18_S1B_S1C_jS1D_jS1E_S1E_jjS1G_bEUljE0_EEESZ_S10_S11_S18_S1C_S1E_T6_T7_T9_mT8_S1G_bDpT10_ENKUlT_T0_E_clISt17integral_constantIbLb0EES1T_IbLb1EEEEDaS1P_S1Q_EUlS1P_E_NS1_11comp_targetILNS1_3genE3ELNS1_11target_archE908ELNS1_3gpuE7ELNS1_3repE0EEENS1_30default_config_static_selectorELNS0_4arch9wavefront6targetE0EEEvS12_ ; -- Begin function _ZN7rocprim17ROCPRIM_400000_NS6detail17trampoline_kernelINS0_13select_configILj256ELj13ELNS0_17block_load_methodE3ELS4_3ELS4_3ELNS0_20block_scan_algorithmE0ELj4294967295EEENS1_25partition_config_selectorILNS1_17partition_subalgoE4EjNS0_10empty_typeEbEEZZNS1_14partition_implILS8_4ELb0ES6_15HIP_vector_typeIjLj2EENS0_17counting_iteratorIjlEEPS9_SG_NS0_5tupleIJPjSI_NS0_16reverse_iteratorISI_EEEEENSH_IJSG_SG_SG_EEES9_SI_JZNS1_25segmented_radix_sort_implINS0_14default_configELb1EPKsPsPKlPlN2at6native12_GLOBAL__N_18offset_tEEE10hipError_tPvRmT1_PNSt15iterator_traitsIS12_E10value_typeET2_T3_PNS13_IS18_E10value_typeET4_jRbjT5_S1E_jjP12ihipStream_tbEUljE_ZNSN_ISO_Lb1ESQ_SR_ST_SU_SY_EESZ_S10_S11_S12_S16_S17_S18_S1B_S1C_jS1D_jS1E_S1E_jjS1G_bEUljE0_EEESZ_S10_S11_S18_S1C_S1E_T6_T7_T9_mT8_S1G_bDpT10_ENKUlT_T0_E_clISt17integral_constantIbLb0EES1T_IbLb1EEEEDaS1P_S1Q_EUlS1P_E_NS1_11comp_targetILNS1_3genE3ELNS1_11target_archE908ELNS1_3gpuE7ELNS1_3repE0EEENS1_30default_config_static_selectorELNS0_4arch9wavefront6targetE0EEEvS12_
	.p2align	8
	.type	_ZN7rocprim17ROCPRIM_400000_NS6detail17trampoline_kernelINS0_13select_configILj256ELj13ELNS0_17block_load_methodE3ELS4_3ELS4_3ELNS0_20block_scan_algorithmE0ELj4294967295EEENS1_25partition_config_selectorILNS1_17partition_subalgoE4EjNS0_10empty_typeEbEEZZNS1_14partition_implILS8_4ELb0ES6_15HIP_vector_typeIjLj2EENS0_17counting_iteratorIjlEEPS9_SG_NS0_5tupleIJPjSI_NS0_16reverse_iteratorISI_EEEEENSH_IJSG_SG_SG_EEES9_SI_JZNS1_25segmented_radix_sort_implINS0_14default_configELb1EPKsPsPKlPlN2at6native12_GLOBAL__N_18offset_tEEE10hipError_tPvRmT1_PNSt15iterator_traitsIS12_E10value_typeET2_T3_PNS13_IS18_E10value_typeET4_jRbjT5_S1E_jjP12ihipStream_tbEUljE_ZNSN_ISO_Lb1ESQ_SR_ST_SU_SY_EESZ_S10_S11_S12_S16_S17_S18_S1B_S1C_jS1D_jS1E_S1E_jjS1G_bEUljE0_EEESZ_S10_S11_S18_S1C_S1E_T6_T7_T9_mT8_S1G_bDpT10_ENKUlT_T0_E_clISt17integral_constantIbLb0EES1T_IbLb1EEEEDaS1P_S1Q_EUlS1P_E_NS1_11comp_targetILNS1_3genE3ELNS1_11target_archE908ELNS1_3gpuE7ELNS1_3repE0EEENS1_30default_config_static_selectorELNS0_4arch9wavefront6targetE0EEEvS12_,@function
_ZN7rocprim17ROCPRIM_400000_NS6detail17trampoline_kernelINS0_13select_configILj256ELj13ELNS0_17block_load_methodE3ELS4_3ELS4_3ELNS0_20block_scan_algorithmE0ELj4294967295EEENS1_25partition_config_selectorILNS1_17partition_subalgoE4EjNS0_10empty_typeEbEEZZNS1_14partition_implILS8_4ELb0ES6_15HIP_vector_typeIjLj2EENS0_17counting_iteratorIjlEEPS9_SG_NS0_5tupleIJPjSI_NS0_16reverse_iteratorISI_EEEEENSH_IJSG_SG_SG_EEES9_SI_JZNS1_25segmented_radix_sort_implINS0_14default_configELb1EPKsPsPKlPlN2at6native12_GLOBAL__N_18offset_tEEE10hipError_tPvRmT1_PNSt15iterator_traitsIS12_E10value_typeET2_T3_PNS13_IS18_E10value_typeET4_jRbjT5_S1E_jjP12ihipStream_tbEUljE_ZNSN_ISO_Lb1ESQ_SR_ST_SU_SY_EESZ_S10_S11_S12_S16_S17_S18_S1B_S1C_jS1D_jS1E_S1E_jjS1G_bEUljE0_EEESZ_S10_S11_S18_S1C_S1E_T6_T7_T9_mT8_S1G_bDpT10_ENKUlT_T0_E_clISt17integral_constantIbLb0EES1T_IbLb1EEEEDaS1P_S1Q_EUlS1P_E_NS1_11comp_targetILNS1_3genE3ELNS1_11target_archE908ELNS1_3gpuE7ELNS1_3repE0EEENS1_30default_config_static_selectorELNS0_4arch9wavefront6targetE0EEEvS12_: ; @_ZN7rocprim17ROCPRIM_400000_NS6detail17trampoline_kernelINS0_13select_configILj256ELj13ELNS0_17block_load_methodE3ELS4_3ELS4_3ELNS0_20block_scan_algorithmE0ELj4294967295EEENS1_25partition_config_selectorILNS1_17partition_subalgoE4EjNS0_10empty_typeEbEEZZNS1_14partition_implILS8_4ELb0ES6_15HIP_vector_typeIjLj2EENS0_17counting_iteratorIjlEEPS9_SG_NS0_5tupleIJPjSI_NS0_16reverse_iteratorISI_EEEEENSH_IJSG_SG_SG_EEES9_SI_JZNS1_25segmented_radix_sort_implINS0_14default_configELb1EPKsPsPKlPlN2at6native12_GLOBAL__N_18offset_tEEE10hipError_tPvRmT1_PNSt15iterator_traitsIS12_E10value_typeET2_T3_PNS13_IS18_E10value_typeET4_jRbjT5_S1E_jjP12ihipStream_tbEUljE_ZNSN_ISO_Lb1ESQ_SR_ST_SU_SY_EESZ_S10_S11_S12_S16_S17_S18_S1B_S1C_jS1D_jS1E_S1E_jjS1G_bEUljE0_EEESZ_S10_S11_S18_S1C_S1E_T6_T7_T9_mT8_S1G_bDpT10_ENKUlT_T0_E_clISt17integral_constantIbLb0EES1T_IbLb1EEEEDaS1P_S1Q_EUlS1P_E_NS1_11comp_targetILNS1_3genE3ELNS1_11target_archE908ELNS1_3gpuE7ELNS1_3repE0EEENS1_30default_config_static_selectorELNS0_4arch9wavefront6targetE0EEEvS12_
; %bb.0:
	.section	.rodata,"a",@progbits
	.p2align	6, 0x0
	.amdhsa_kernel _ZN7rocprim17ROCPRIM_400000_NS6detail17trampoline_kernelINS0_13select_configILj256ELj13ELNS0_17block_load_methodE3ELS4_3ELS4_3ELNS0_20block_scan_algorithmE0ELj4294967295EEENS1_25partition_config_selectorILNS1_17partition_subalgoE4EjNS0_10empty_typeEbEEZZNS1_14partition_implILS8_4ELb0ES6_15HIP_vector_typeIjLj2EENS0_17counting_iteratorIjlEEPS9_SG_NS0_5tupleIJPjSI_NS0_16reverse_iteratorISI_EEEEENSH_IJSG_SG_SG_EEES9_SI_JZNS1_25segmented_radix_sort_implINS0_14default_configELb1EPKsPsPKlPlN2at6native12_GLOBAL__N_18offset_tEEE10hipError_tPvRmT1_PNSt15iterator_traitsIS12_E10value_typeET2_T3_PNS13_IS18_E10value_typeET4_jRbjT5_S1E_jjP12ihipStream_tbEUljE_ZNSN_ISO_Lb1ESQ_SR_ST_SU_SY_EESZ_S10_S11_S12_S16_S17_S18_S1B_S1C_jS1D_jS1E_S1E_jjS1G_bEUljE0_EEESZ_S10_S11_S18_S1C_S1E_T6_T7_T9_mT8_S1G_bDpT10_ENKUlT_T0_E_clISt17integral_constantIbLb0EES1T_IbLb1EEEEDaS1P_S1Q_EUlS1P_E_NS1_11comp_targetILNS1_3genE3ELNS1_11target_archE908ELNS1_3gpuE7ELNS1_3repE0EEENS1_30default_config_static_selectorELNS0_4arch9wavefront6targetE0EEEvS12_
		.amdhsa_group_segment_fixed_size 0
		.amdhsa_private_segment_fixed_size 0
		.amdhsa_kernarg_size 184
		.amdhsa_user_sgpr_count 2
		.amdhsa_user_sgpr_dispatch_ptr 0
		.amdhsa_user_sgpr_queue_ptr 0
		.amdhsa_user_sgpr_kernarg_segment_ptr 1
		.amdhsa_user_sgpr_dispatch_id 0
		.amdhsa_user_sgpr_kernarg_preload_length 0
		.amdhsa_user_sgpr_kernarg_preload_offset 0
		.amdhsa_user_sgpr_private_segment_size 0
		.amdhsa_wavefront_size32 1
		.amdhsa_uses_dynamic_stack 0
		.amdhsa_enable_private_segment 0
		.amdhsa_system_sgpr_workgroup_id_x 1
		.amdhsa_system_sgpr_workgroup_id_y 0
		.amdhsa_system_sgpr_workgroup_id_z 0
		.amdhsa_system_sgpr_workgroup_info 0
		.amdhsa_system_vgpr_workitem_id 0
		.amdhsa_next_free_vgpr 1
		.amdhsa_next_free_sgpr 1
		.amdhsa_named_barrier_count 0
		.amdhsa_reserve_vcc 0
		.amdhsa_float_round_mode_32 0
		.amdhsa_float_round_mode_16_64 0
		.amdhsa_float_denorm_mode_32 3
		.amdhsa_float_denorm_mode_16_64 3
		.amdhsa_fp16_overflow 0
		.amdhsa_memory_ordered 1
		.amdhsa_forward_progress 1
		.amdhsa_inst_pref_size 0
		.amdhsa_round_robin_scheduling 0
		.amdhsa_exception_fp_ieee_invalid_op 0
		.amdhsa_exception_fp_denorm_src 0
		.amdhsa_exception_fp_ieee_div_zero 0
		.amdhsa_exception_fp_ieee_overflow 0
		.amdhsa_exception_fp_ieee_underflow 0
		.amdhsa_exception_fp_ieee_inexact 0
		.amdhsa_exception_int_div_zero 0
	.end_amdhsa_kernel
	.section	.text._ZN7rocprim17ROCPRIM_400000_NS6detail17trampoline_kernelINS0_13select_configILj256ELj13ELNS0_17block_load_methodE3ELS4_3ELS4_3ELNS0_20block_scan_algorithmE0ELj4294967295EEENS1_25partition_config_selectorILNS1_17partition_subalgoE4EjNS0_10empty_typeEbEEZZNS1_14partition_implILS8_4ELb0ES6_15HIP_vector_typeIjLj2EENS0_17counting_iteratorIjlEEPS9_SG_NS0_5tupleIJPjSI_NS0_16reverse_iteratorISI_EEEEENSH_IJSG_SG_SG_EEES9_SI_JZNS1_25segmented_radix_sort_implINS0_14default_configELb1EPKsPsPKlPlN2at6native12_GLOBAL__N_18offset_tEEE10hipError_tPvRmT1_PNSt15iterator_traitsIS12_E10value_typeET2_T3_PNS13_IS18_E10value_typeET4_jRbjT5_S1E_jjP12ihipStream_tbEUljE_ZNSN_ISO_Lb1ESQ_SR_ST_SU_SY_EESZ_S10_S11_S12_S16_S17_S18_S1B_S1C_jS1D_jS1E_S1E_jjS1G_bEUljE0_EEESZ_S10_S11_S18_S1C_S1E_T6_T7_T9_mT8_S1G_bDpT10_ENKUlT_T0_E_clISt17integral_constantIbLb0EES1T_IbLb1EEEEDaS1P_S1Q_EUlS1P_E_NS1_11comp_targetILNS1_3genE3ELNS1_11target_archE908ELNS1_3gpuE7ELNS1_3repE0EEENS1_30default_config_static_selectorELNS0_4arch9wavefront6targetE0EEEvS12_,"axG",@progbits,_ZN7rocprim17ROCPRIM_400000_NS6detail17trampoline_kernelINS0_13select_configILj256ELj13ELNS0_17block_load_methodE3ELS4_3ELS4_3ELNS0_20block_scan_algorithmE0ELj4294967295EEENS1_25partition_config_selectorILNS1_17partition_subalgoE4EjNS0_10empty_typeEbEEZZNS1_14partition_implILS8_4ELb0ES6_15HIP_vector_typeIjLj2EENS0_17counting_iteratorIjlEEPS9_SG_NS0_5tupleIJPjSI_NS0_16reverse_iteratorISI_EEEEENSH_IJSG_SG_SG_EEES9_SI_JZNS1_25segmented_radix_sort_implINS0_14default_configELb1EPKsPsPKlPlN2at6native12_GLOBAL__N_18offset_tEEE10hipError_tPvRmT1_PNSt15iterator_traitsIS12_E10value_typeET2_T3_PNS13_IS18_E10value_typeET4_jRbjT5_S1E_jjP12ihipStream_tbEUljE_ZNSN_ISO_Lb1ESQ_SR_ST_SU_SY_EESZ_S10_S11_S12_S16_S17_S18_S1B_S1C_jS1D_jS1E_S1E_jjS1G_bEUljE0_EEESZ_S10_S11_S18_S1C_S1E_T6_T7_T9_mT8_S1G_bDpT10_ENKUlT_T0_E_clISt17integral_constantIbLb0EES1T_IbLb1EEEEDaS1P_S1Q_EUlS1P_E_NS1_11comp_targetILNS1_3genE3ELNS1_11target_archE908ELNS1_3gpuE7ELNS1_3repE0EEENS1_30default_config_static_selectorELNS0_4arch9wavefront6targetE0EEEvS12_,comdat
.Lfunc_end870:
	.size	_ZN7rocprim17ROCPRIM_400000_NS6detail17trampoline_kernelINS0_13select_configILj256ELj13ELNS0_17block_load_methodE3ELS4_3ELS4_3ELNS0_20block_scan_algorithmE0ELj4294967295EEENS1_25partition_config_selectorILNS1_17partition_subalgoE4EjNS0_10empty_typeEbEEZZNS1_14partition_implILS8_4ELb0ES6_15HIP_vector_typeIjLj2EENS0_17counting_iteratorIjlEEPS9_SG_NS0_5tupleIJPjSI_NS0_16reverse_iteratorISI_EEEEENSH_IJSG_SG_SG_EEES9_SI_JZNS1_25segmented_radix_sort_implINS0_14default_configELb1EPKsPsPKlPlN2at6native12_GLOBAL__N_18offset_tEEE10hipError_tPvRmT1_PNSt15iterator_traitsIS12_E10value_typeET2_T3_PNS13_IS18_E10value_typeET4_jRbjT5_S1E_jjP12ihipStream_tbEUljE_ZNSN_ISO_Lb1ESQ_SR_ST_SU_SY_EESZ_S10_S11_S12_S16_S17_S18_S1B_S1C_jS1D_jS1E_S1E_jjS1G_bEUljE0_EEESZ_S10_S11_S18_S1C_S1E_T6_T7_T9_mT8_S1G_bDpT10_ENKUlT_T0_E_clISt17integral_constantIbLb0EES1T_IbLb1EEEEDaS1P_S1Q_EUlS1P_E_NS1_11comp_targetILNS1_3genE3ELNS1_11target_archE908ELNS1_3gpuE7ELNS1_3repE0EEENS1_30default_config_static_selectorELNS0_4arch9wavefront6targetE0EEEvS12_, .Lfunc_end870-_ZN7rocprim17ROCPRIM_400000_NS6detail17trampoline_kernelINS0_13select_configILj256ELj13ELNS0_17block_load_methodE3ELS4_3ELS4_3ELNS0_20block_scan_algorithmE0ELj4294967295EEENS1_25partition_config_selectorILNS1_17partition_subalgoE4EjNS0_10empty_typeEbEEZZNS1_14partition_implILS8_4ELb0ES6_15HIP_vector_typeIjLj2EENS0_17counting_iteratorIjlEEPS9_SG_NS0_5tupleIJPjSI_NS0_16reverse_iteratorISI_EEEEENSH_IJSG_SG_SG_EEES9_SI_JZNS1_25segmented_radix_sort_implINS0_14default_configELb1EPKsPsPKlPlN2at6native12_GLOBAL__N_18offset_tEEE10hipError_tPvRmT1_PNSt15iterator_traitsIS12_E10value_typeET2_T3_PNS13_IS18_E10value_typeET4_jRbjT5_S1E_jjP12ihipStream_tbEUljE_ZNSN_ISO_Lb1ESQ_SR_ST_SU_SY_EESZ_S10_S11_S12_S16_S17_S18_S1B_S1C_jS1D_jS1E_S1E_jjS1G_bEUljE0_EEESZ_S10_S11_S18_S1C_S1E_T6_T7_T9_mT8_S1G_bDpT10_ENKUlT_T0_E_clISt17integral_constantIbLb0EES1T_IbLb1EEEEDaS1P_S1Q_EUlS1P_E_NS1_11comp_targetILNS1_3genE3ELNS1_11target_archE908ELNS1_3gpuE7ELNS1_3repE0EEENS1_30default_config_static_selectorELNS0_4arch9wavefront6targetE0EEEvS12_
                                        ; -- End function
	.set _ZN7rocprim17ROCPRIM_400000_NS6detail17trampoline_kernelINS0_13select_configILj256ELj13ELNS0_17block_load_methodE3ELS4_3ELS4_3ELNS0_20block_scan_algorithmE0ELj4294967295EEENS1_25partition_config_selectorILNS1_17partition_subalgoE4EjNS0_10empty_typeEbEEZZNS1_14partition_implILS8_4ELb0ES6_15HIP_vector_typeIjLj2EENS0_17counting_iteratorIjlEEPS9_SG_NS0_5tupleIJPjSI_NS0_16reverse_iteratorISI_EEEEENSH_IJSG_SG_SG_EEES9_SI_JZNS1_25segmented_radix_sort_implINS0_14default_configELb1EPKsPsPKlPlN2at6native12_GLOBAL__N_18offset_tEEE10hipError_tPvRmT1_PNSt15iterator_traitsIS12_E10value_typeET2_T3_PNS13_IS18_E10value_typeET4_jRbjT5_S1E_jjP12ihipStream_tbEUljE_ZNSN_ISO_Lb1ESQ_SR_ST_SU_SY_EESZ_S10_S11_S12_S16_S17_S18_S1B_S1C_jS1D_jS1E_S1E_jjS1G_bEUljE0_EEESZ_S10_S11_S18_S1C_S1E_T6_T7_T9_mT8_S1G_bDpT10_ENKUlT_T0_E_clISt17integral_constantIbLb0EES1T_IbLb1EEEEDaS1P_S1Q_EUlS1P_E_NS1_11comp_targetILNS1_3genE3ELNS1_11target_archE908ELNS1_3gpuE7ELNS1_3repE0EEENS1_30default_config_static_selectorELNS0_4arch9wavefront6targetE0EEEvS12_.num_vgpr, 0
	.set _ZN7rocprim17ROCPRIM_400000_NS6detail17trampoline_kernelINS0_13select_configILj256ELj13ELNS0_17block_load_methodE3ELS4_3ELS4_3ELNS0_20block_scan_algorithmE0ELj4294967295EEENS1_25partition_config_selectorILNS1_17partition_subalgoE4EjNS0_10empty_typeEbEEZZNS1_14partition_implILS8_4ELb0ES6_15HIP_vector_typeIjLj2EENS0_17counting_iteratorIjlEEPS9_SG_NS0_5tupleIJPjSI_NS0_16reverse_iteratorISI_EEEEENSH_IJSG_SG_SG_EEES9_SI_JZNS1_25segmented_radix_sort_implINS0_14default_configELb1EPKsPsPKlPlN2at6native12_GLOBAL__N_18offset_tEEE10hipError_tPvRmT1_PNSt15iterator_traitsIS12_E10value_typeET2_T3_PNS13_IS18_E10value_typeET4_jRbjT5_S1E_jjP12ihipStream_tbEUljE_ZNSN_ISO_Lb1ESQ_SR_ST_SU_SY_EESZ_S10_S11_S12_S16_S17_S18_S1B_S1C_jS1D_jS1E_S1E_jjS1G_bEUljE0_EEESZ_S10_S11_S18_S1C_S1E_T6_T7_T9_mT8_S1G_bDpT10_ENKUlT_T0_E_clISt17integral_constantIbLb0EES1T_IbLb1EEEEDaS1P_S1Q_EUlS1P_E_NS1_11comp_targetILNS1_3genE3ELNS1_11target_archE908ELNS1_3gpuE7ELNS1_3repE0EEENS1_30default_config_static_selectorELNS0_4arch9wavefront6targetE0EEEvS12_.num_agpr, 0
	.set _ZN7rocprim17ROCPRIM_400000_NS6detail17trampoline_kernelINS0_13select_configILj256ELj13ELNS0_17block_load_methodE3ELS4_3ELS4_3ELNS0_20block_scan_algorithmE0ELj4294967295EEENS1_25partition_config_selectorILNS1_17partition_subalgoE4EjNS0_10empty_typeEbEEZZNS1_14partition_implILS8_4ELb0ES6_15HIP_vector_typeIjLj2EENS0_17counting_iteratorIjlEEPS9_SG_NS0_5tupleIJPjSI_NS0_16reverse_iteratorISI_EEEEENSH_IJSG_SG_SG_EEES9_SI_JZNS1_25segmented_radix_sort_implINS0_14default_configELb1EPKsPsPKlPlN2at6native12_GLOBAL__N_18offset_tEEE10hipError_tPvRmT1_PNSt15iterator_traitsIS12_E10value_typeET2_T3_PNS13_IS18_E10value_typeET4_jRbjT5_S1E_jjP12ihipStream_tbEUljE_ZNSN_ISO_Lb1ESQ_SR_ST_SU_SY_EESZ_S10_S11_S12_S16_S17_S18_S1B_S1C_jS1D_jS1E_S1E_jjS1G_bEUljE0_EEESZ_S10_S11_S18_S1C_S1E_T6_T7_T9_mT8_S1G_bDpT10_ENKUlT_T0_E_clISt17integral_constantIbLb0EES1T_IbLb1EEEEDaS1P_S1Q_EUlS1P_E_NS1_11comp_targetILNS1_3genE3ELNS1_11target_archE908ELNS1_3gpuE7ELNS1_3repE0EEENS1_30default_config_static_selectorELNS0_4arch9wavefront6targetE0EEEvS12_.numbered_sgpr, 0
	.set _ZN7rocprim17ROCPRIM_400000_NS6detail17trampoline_kernelINS0_13select_configILj256ELj13ELNS0_17block_load_methodE3ELS4_3ELS4_3ELNS0_20block_scan_algorithmE0ELj4294967295EEENS1_25partition_config_selectorILNS1_17partition_subalgoE4EjNS0_10empty_typeEbEEZZNS1_14partition_implILS8_4ELb0ES6_15HIP_vector_typeIjLj2EENS0_17counting_iteratorIjlEEPS9_SG_NS0_5tupleIJPjSI_NS0_16reverse_iteratorISI_EEEEENSH_IJSG_SG_SG_EEES9_SI_JZNS1_25segmented_radix_sort_implINS0_14default_configELb1EPKsPsPKlPlN2at6native12_GLOBAL__N_18offset_tEEE10hipError_tPvRmT1_PNSt15iterator_traitsIS12_E10value_typeET2_T3_PNS13_IS18_E10value_typeET4_jRbjT5_S1E_jjP12ihipStream_tbEUljE_ZNSN_ISO_Lb1ESQ_SR_ST_SU_SY_EESZ_S10_S11_S12_S16_S17_S18_S1B_S1C_jS1D_jS1E_S1E_jjS1G_bEUljE0_EEESZ_S10_S11_S18_S1C_S1E_T6_T7_T9_mT8_S1G_bDpT10_ENKUlT_T0_E_clISt17integral_constantIbLb0EES1T_IbLb1EEEEDaS1P_S1Q_EUlS1P_E_NS1_11comp_targetILNS1_3genE3ELNS1_11target_archE908ELNS1_3gpuE7ELNS1_3repE0EEENS1_30default_config_static_selectorELNS0_4arch9wavefront6targetE0EEEvS12_.num_named_barrier, 0
	.set _ZN7rocprim17ROCPRIM_400000_NS6detail17trampoline_kernelINS0_13select_configILj256ELj13ELNS0_17block_load_methodE3ELS4_3ELS4_3ELNS0_20block_scan_algorithmE0ELj4294967295EEENS1_25partition_config_selectorILNS1_17partition_subalgoE4EjNS0_10empty_typeEbEEZZNS1_14partition_implILS8_4ELb0ES6_15HIP_vector_typeIjLj2EENS0_17counting_iteratorIjlEEPS9_SG_NS0_5tupleIJPjSI_NS0_16reverse_iteratorISI_EEEEENSH_IJSG_SG_SG_EEES9_SI_JZNS1_25segmented_radix_sort_implINS0_14default_configELb1EPKsPsPKlPlN2at6native12_GLOBAL__N_18offset_tEEE10hipError_tPvRmT1_PNSt15iterator_traitsIS12_E10value_typeET2_T3_PNS13_IS18_E10value_typeET4_jRbjT5_S1E_jjP12ihipStream_tbEUljE_ZNSN_ISO_Lb1ESQ_SR_ST_SU_SY_EESZ_S10_S11_S12_S16_S17_S18_S1B_S1C_jS1D_jS1E_S1E_jjS1G_bEUljE0_EEESZ_S10_S11_S18_S1C_S1E_T6_T7_T9_mT8_S1G_bDpT10_ENKUlT_T0_E_clISt17integral_constantIbLb0EES1T_IbLb1EEEEDaS1P_S1Q_EUlS1P_E_NS1_11comp_targetILNS1_3genE3ELNS1_11target_archE908ELNS1_3gpuE7ELNS1_3repE0EEENS1_30default_config_static_selectorELNS0_4arch9wavefront6targetE0EEEvS12_.private_seg_size, 0
	.set _ZN7rocprim17ROCPRIM_400000_NS6detail17trampoline_kernelINS0_13select_configILj256ELj13ELNS0_17block_load_methodE3ELS4_3ELS4_3ELNS0_20block_scan_algorithmE0ELj4294967295EEENS1_25partition_config_selectorILNS1_17partition_subalgoE4EjNS0_10empty_typeEbEEZZNS1_14partition_implILS8_4ELb0ES6_15HIP_vector_typeIjLj2EENS0_17counting_iteratorIjlEEPS9_SG_NS0_5tupleIJPjSI_NS0_16reverse_iteratorISI_EEEEENSH_IJSG_SG_SG_EEES9_SI_JZNS1_25segmented_radix_sort_implINS0_14default_configELb1EPKsPsPKlPlN2at6native12_GLOBAL__N_18offset_tEEE10hipError_tPvRmT1_PNSt15iterator_traitsIS12_E10value_typeET2_T3_PNS13_IS18_E10value_typeET4_jRbjT5_S1E_jjP12ihipStream_tbEUljE_ZNSN_ISO_Lb1ESQ_SR_ST_SU_SY_EESZ_S10_S11_S12_S16_S17_S18_S1B_S1C_jS1D_jS1E_S1E_jjS1G_bEUljE0_EEESZ_S10_S11_S18_S1C_S1E_T6_T7_T9_mT8_S1G_bDpT10_ENKUlT_T0_E_clISt17integral_constantIbLb0EES1T_IbLb1EEEEDaS1P_S1Q_EUlS1P_E_NS1_11comp_targetILNS1_3genE3ELNS1_11target_archE908ELNS1_3gpuE7ELNS1_3repE0EEENS1_30default_config_static_selectorELNS0_4arch9wavefront6targetE0EEEvS12_.uses_vcc, 0
	.set _ZN7rocprim17ROCPRIM_400000_NS6detail17trampoline_kernelINS0_13select_configILj256ELj13ELNS0_17block_load_methodE3ELS4_3ELS4_3ELNS0_20block_scan_algorithmE0ELj4294967295EEENS1_25partition_config_selectorILNS1_17partition_subalgoE4EjNS0_10empty_typeEbEEZZNS1_14partition_implILS8_4ELb0ES6_15HIP_vector_typeIjLj2EENS0_17counting_iteratorIjlEEPS9_SG_NS0_5tupleIJPjSI_NS0_16reverse_iteratorISI_EEEEENSH_IJSG_SG_SG_EEES9_SI_JZNS1_25segmented_radix_sort_implINS0_14default_configELb1EPKsPsPKlPlN2at6native12_GLOBAL__N_18offset_tEEE10hipError_tPvRmT1_PNSt15iterator_traitsIS12_E10value_typeET2_T3_PNS13_IS18_E10value_typeET4_jRbjT5_S1E_jjP12ihipStream_tbEUljE_ZNSN_ISO_Lb1ESQ_SR_ST_SU_SY_EESZ_S10_S11_S12_S16_S17_S18_S1B_S1C_jS1D_jS1E_S1E_jjS1G_bEUljE0_EEESZ_S10_S11_S18_S1C_S1E_T6_T7_T9_mT8_S1G_bDpT10_ENKUlT_T0_E_clISt17integral_constantIbLb0EES1T_IbLb1EEEEDaS1P_S1Q_EUlS1P_E_NS1_11comp_targetILNS1_3genE3ELNS1_11target_archE908ELNS1_3gpuE7ELNS1_3repE0EEENS1_30default_config_static_selectorELNS0_4arch9wavefront6targetE0EEEvS12_.uses_flat_scratch, 0
	.set _ZN7rocprim17ROCPRIM_400000_NS6detail17trampoline_kernelINS0_13select_configILj256ELj13ELNS0_17block_load_methodE3ELS4_3ELS4_3ELNS0_20block_scan_algorithmE0ELj4294967295EEENS1_25partition_config_selectorILNS1_17partition_subalgoE4EjNS0_10empty_typeEbEEZZNS1_14partition_implILS8_4ELb0ES6_15HIP_vector_typeIjLj2EENS0_17counting_iteratorIjlEEPS9_SG_NS0_5tupleIJPjSI_NS0_16reverse_iteratorISI_EEEEENSH_IJSG_SG_SG_EEES9_SI_JZNS1_25segmented_radix_sort_implINS0_14default_configELb1EPKsPsPKlPlN2at6native12_GLOBAL__N_18offset_tEEE10hipError_tPvRmT1_PNSt15iterator_traitsIS12_E10value_typeET2_T3_PNS13_IS18_E10value_typeET4_jRbjT5_S1E_jjP12ihipStream_tbEUljE_ZNSN_ISO_Lb1ESQ_SR_ST_SU_SY_EESZ_S10_S11_S12_S16_S17_S18_S1B_S1C_jS1D_jS1E_S1E_jjS1G_bEUljE0_EEESZ_S10_S11_S18_S1C_S1E_T6_T7_T9_mT8_S1G_bDpT10_ENKUlT_T0_E_clISt17integral_constantIbLb0EES1T_IbLb1EEEEDaS1P_S1Q_EUlS1P_E_NS1_11comp_targetILNS1_3genE3ELNS1_11target_archE908ELNS1_3gpuE7ELNS1_3repE0EEENS1_30default_config_static_selectorELNS0_4arch9wavefront6targetE0EEEvS12_.has_dyn_sized_stack, 0
	.set _ZN7rocprim17ROCPRIM_400000_NS6detail17trampoline_kernelINS0_13select_configILj256ELj13ELNS0_17block_load_methodE3ELS4_3ELS4_3ELNS0_20block_scan_algorithmE0ELj4294967295EEENS1_25partition_config_selectorILNS1_17partition_subalgoE4EjNS0_10empty_typeEbEEZZNS1_14partition_implILS8_4ELb0ES6_15HIP_vector_typeIjLj2EENS0_17counting_iteratorIjlEEPS9_SG_NS0_5tupleIJPjSI_NS0_16reverse_iteratorISI_EEEEENSH_IJSG_SG_SG_EEES9_SI_JZNS1_25segmented_radix_sort_implINS0_14default_configELb1EPKsPsPKlPlN2at6native12_GLOBAL__N_18offset_tEEE10hipError_tPvRmT1_PNSt15iterator_traitsIS12_E10value_typeET2_T3_PNS13_IS18_E10value_typeET4_jRbjT5_S1E_jjP12ihipStream_tbEUljE_ZNSN_ISO_Lb1ESQ_SR_ST_SU_SY_EESZ_S10_S11_S12_S16_S17_S18_S1B_S1C_jS1D_jS1E_S1E_jjS1G_bEUljE0_EEESZ_S10_S11_S18_S1C_S1E_T6_T7_T9_mT8_S1G_bDpT10_ENKUlT_T0_E_clISt17integral_constantIbLb0EES1T_IbLb1EEEEDaS1P_S1Q_EUlS1P_E_NS1_11comp_targetILNS1_3genE3ELNS1_11target_archE908ELNS1_3gpuE7ELNS1_3repE0EEENS1_30default_config_static_selectorELNS0_4arch9wavefront6targetE0EEEvS12_.has_recursion, 0
	.set _ZN7rocprim17ROCPRIM_400000_NS6detail17trampoline_kernelINS0_13select_configILj256ELj13ELNS0_17block_load_methodE3ELS4_3ELS4_3ELNS0_20block_scan_algorithmE0ELj4294967295EEENS1_25partition_config_selectorILNS1_17partition_subalgoE4EjNS0_10empty_typeEbEEZZNS1_14partition_implILS8_4ELb0ES6_15HIP_vector_typeIjLj2EENS0_17counting_iteratorIjlEEPS9_SG_NS0_5tupleIJPjSI_NS0_16reverse_iteratorISI_EEEEENSH_IJSG_SG_SG_EEES9_SI_JZNS1_25segmented_radix_sort_implINS0_14default_configELb1EPKsPsPKlPlN2at6native12_GLOBAL__N_18offset_tEEE10hipError_tPvRmT1_PNSt15iterator_traitsIS12_E10value_typeET2_T3_PNS13_IS18_E10value_typeET4_jRbjT5_S1E_jjP12ihipStream_tbEUljE_ZNSN_ISO_Lb1ESQ_SR_ST_SU_SY_EESZ_S10_S11_S12_S16_S17_S18_S1B_S1C_jS1D_jS1E_S1E_jjS1G_bEUljE0_EEESZ_S10_S11_S18_S1C_S1E_T6_T7_T9_mT8_S1G_bDpT10_ENKUlT_T0_E_clISt17integral_constantIbLb0EES1T_IbLb1EEEEDaS1P_S1Q_EUlS1P_E_NS1_11comp_targetILNS1_3genE3ELNS1_11target_archE908ELNS1_3gpuE7ELNS1_3repE0EEENS1_30default_config_static_selectorELNS0_4arch9wavefront6targetE0EEEvS12_.has_indirect_call, 0
	.section	.AMDGPU.csdata,"",@progbits
; Kernel info:
; codeLenInByte = 0
; TotalNumSgprs: 0
; NumVgprs: 0
; ScratchSize: 0
; MemoryBound: 0
; FloatMode: 240
; IeeeMode: 1
; LDSByteSize: 0 bytes/workgroup (compile time only)
; SGPRBlocks: 0
; VGPRBlocks: 0
; NumSGPRsForWavesPerEU: 1
; NumVGPRsForWavesPerEU: 1
; NamedBarCnt: 0
; Occupancy: 16
; WaveLimiterHint : 0
; COMPUTE_PGM_RSRC2:SCRATCH_EN: 0
; COMPUTE_PGM_RSRC2:USER_SGPR: 2
; COMPUTE_PGM_RSRC2:TRAP_HANDLER: 0
; COMPUTE_PGM_RSRC2:TGID_X_EN: 1
; COMPUTE_PGM_RSRC2:TGID_Y_EN: 0
; COMPUTE_PGM_RSRC2:TGID_Z_EN: 0
; COMPUTE_PGM_RSRC2:TIDIG_COMP_CNT: 0
	.section	.text._ZN7rocprim17ROCPRIM_400000_NS6detail17trampoline_kernelINS0_13select_configILj256ELj13ELNS0_17block_load_methodE3ELS4_3ELS4_3ELNS0_20block_scan_algorithmE0ELj4294967295EEENS1_25partition_config_selectorILNS1_17partition_subalgoE4EjNS0_10empty_typeEbEEZZNS1_14partition_implILS8_4ELb0ES6_15HIP_vector_typeIjLj2EENS0_17counting_iteratorIjlEEPS9_SG_NS0_5tupleIJPjSI_NS0_16reverse_iteratorISI_EEEEENSH_IJSG_SG_SG_EEES9_SI_JZNS1_25segmented_radix_sort_implINS0_14default_configELb1EPKsPsPKlPlN2at6native12_GLOBAL__N_18offset_tEEE10hipError_tPvRmT1_PNSt15iterator_traitsIS12_E10value_typeET2_T3_PNS13_IS18_E10value_typeET4_jRbjT5_S1E_jjP12ihipStream_tbEUljE_ZNSN_ISO_Lb1ESQ_SR_ST_SU_SY_EESZ_S10_S11_S12_S16_S17_S18_S1B_S1C_jS1D_jS1E_S1E_jjS1G_bEUljE0_EEESZ_S10_S11_S18_S1C_S1E_T6_T7_T9_mT8_S1G_bDpT10_ENKUlT_T0_E_clISt17integral_constantIbLb0EES1T_IbLb1EEEEDaS1P_S1Q_EUlS1P_E_NS1_11comp_targetILNS1_3genE2ELNS1_11target_archE906ELNS1_3gpuE6ELNS1_3repE0EEENS1_30default_config_static_selectorELNS0_4arch9wavefront6targetE0EEEvS12_,"axG",@progbits,_ZN7rocprim17ROCPRIM_400000_NS6detail17trampoline_kernelINS0_13select_configILj256ELj13ELNS0_17block_load_methodE3ELS4_3ELS4_3ELNS0_20block_scan_algorithmE0ELj4294967295EEENS1_25partition_config_selectorILNS1_17partition_subalgoE4EjNS0_10empty_typeEbEEZZNS1_14partition_implILS8_4ELb0ES6_15HIP_vector_typeIjLj2EENS0_17counting_iteratorIjlEEPS9_SG_NS0_5tupleIJPjSI_NS0_16reverse_iteratorISI_EEEEENSH_IJSG_SG_SG_EEES9_SI_JZNS1_25segmented_radix_sort_implINS0_14default_configELb1EPKsPsPKlPlN2at6native12_GLOBAL__N_18offset_tEEE10hipError_tPvRmT1_PNSt15iterator_traitsIS12_E10value_typeET2_T3_PNS13_IS18_E10value_typeET4_jRbjT5_S1E_jjP12ihipStream_tbEUljE_ZNSN_ISO_Lb1ESQ_SR_ST_SU_SY_EESZ_S10_S11_S12_S16_S17_S18_S1B_S1C_jS1D_jS1E_S1E_jjS1G_bEUljE0_EEESZ_S10_S11_S18_S1C_S1E_T6_T7_T9_mT8_S1G_bDpT10_ENKUlT_T0_E_clISt17integral_constantIbLb0EES1T_IbLb1EEEEDaS1P_S1Q_EUlS1P_E_NS1_11comp_targetILNS1_3genE2ELNS1_11target_archE906ELNS1_3gpuE6ELNS1_3repE0EEENS1_30default_config_static_selectorELNS0_4arch9wavefront6targetE0EEEvS12_,comdat
	.globl	_ZN7rocprim17ROCPRIM_400000_NS6detail17trampoline_kernelINS0_13select_configILj256ELj13ELNS0_17block_load_methodE3ELS4_3ELS4_3ELNS0_20block_scan_algorithmE0ELj4294967295EEENS1_25partition_config_selectorILNS1_17partition_subalgoE4EjNS0_10empty_typeEbEEZZNS1_14partition_implILS8_4ELb0ES6_15HIP_vector_typeIjLj2EENS0_17counting_iteratorIjlEEPS9_SG_NS0_5tupleIJPjSI_NS0_16reverse_iteratorISI_EEEEENSH_IJSG_SG_SG_EEES9_SI_JZNS1_25segmented_radix_sort_implINS0_14default_configELb1EPKsPsPKlPlN2at6native12_GLOBAL__N_18offset_tEEE10hipError_tPvRmT1_PNSt15iterator_traitsIS12_E10value_typeET2_T3_PNS13_IS18_E10value_typeET4_jRbjT5_S1E_jjP12ihipStream_tbEUljE_ZNSN_ISO_Lb1ESQ_SR_ST_SU_SY_EESZ_S10_S11_S12_S16_S17_S18_S1B_S1C_jS1D_jS1E_S1E_jjS1G_bEUljE0_EEESZ_S10_S11_S18_S1C_S1E_T6_T7_T9_mT8_S1G_bDpT10_ENKUlT_T0_E_clISt17integral_constantIbLb0EES1T_IbLb1EEEEDaS1P_S1Q_EUlS1P_E_NS1_11comp_targetILNS1_3genE2ELNS1_11target_archE906ELNS1_3gpuE6ELNS1_3repE0EEENS1_30default_config_static_selectorELNS0_4arch9wavefront6targetE0EEEvS12_ ; -- Begin function _ZN7rocprim17ROCPRIM_400000_NS6detail17trampoline_kernelINS0_13select_configILj256ELj13ELNS0_17block_load_methodE3ELS4_3ELS4_3ELNS0_20block_scan_algorithmE0ELj4294967295EEENS1_25partition_config_selectorILNS1_17partition_subalgoE4EjNS0_10empty_typeEbEEZZNS1_14partition_implILS8_4ELb0ES6_15HIP_vector_typeIjLj2EENS0_17counting_iteratorIjlEEPS9_SG_NS0_5tupleIJPjSI_NS0_16reverse_iteratorISI_EEEEENSH_IJSG_SG_SG_EEES9_SI_JZNS1_25segmented_radix_sort_implINS0_14default_configELb1EPKsPsPKlPlN2at6native12_GLOBAL__N_18offset_tEEE10hipError_tPvRmT1_PNSt15iterator_traitsIS12_E10value_typeET2_T3_PNS13_IS18_E10value_typeET4_jRbjT5_S1E_jjP12ihipStream_tbEUljE_ZNSN_ISO_Lb1ESQ_SR_ST_SU_SY_EESZ_S10_S11_S12_S16_S17_S18_S1B_S1C_jS1D_jS1E_S1E_jjS1G_bEUljE0_EEESZ_S10_S11_S18_S1C_S1E_T6_T7_T9_mT8_S1G_bDpT10_ENKUlT_T0_E_clISt17integral_constantIbLb0EES1T_IbLb1EEEEDaS1P_S1Q_EUlS1P_E_NS1_11comp_targetILNS1_3genE2ELNS1_11target_archE906ELNS1_3gpuE6ELNS1_3repE0EEENS1_30default_config_static_selectorELNS0_4arch9wavefront6targetE0EEEvS12_
	.p2align	8
	.type	_ZN7rocprim17ROCPRIM_400000_NS6detail17trampoline_kernelINS0_13select_configILj256ELj13ELNS0_17block_load_methodE3ELS4_3ELS4_3ELNS0_20block_scan_algorithmE0ELj4294967295EEENS1_25partition_config_selectorILNS1_17partition_subalgoE4EjNS0_10empty_typeEbEEZZNS1_14partition_implILS8_4ELb0ES6_15HIP_vector_typeIjLj2EENS0_17counting_iteratorIjlEEPS9_SG_NS0_5tupleIJPjSI_NS0_16reverse_iteratorISI_EEEEENSH_IJSG_SG_SG_EEES9_SI_JZNS1_25segmented_radix_sort_implINS0_14default_configELb1EPKsPsPKlPlN2at6native12_GLOBAL__N_18offset_tEEE10hipError_tPvRmT1_PNSt15iterator_traitsIS12_E10value_typeET2_T3_PNS13_IS18_E10value_typeET4_jRbjT5_S1E_jjP12ihipStream_tbEUljE_ZNSN_ISO_Lb1ESQ_SR_ST_SU_SY_EESZ_S10_S11_S12_S16_S17_S18_S1B_S1C_jS1D_jS1E_S1E_jjS1G_bEUljE0_EEESZ_S10_S11_S18_S1C_S1E_T6_T7_T9_mT8_S1G_bDpT10_ENKUlT_T0_E_clISt17integral_constantIbLb0EES1T_IbLb1EEEEDaS1P_S1Q_EUlS1P_E_NS1_11comp_targetILNS1_3genE2ELNS1_11target_archE906ELNS1_3gpuE6ELNS1_3repE0EEENS1_30default_config_static_selectorELNS0_4arch9wavefront6targetE0EEEvS12_,@function
_ZN7rocprim17ROCPRIM_400000_NS6detail17trampoline_kernelINS0_13select_configILj256ELj13ELNS0_17block_load_methodE3ELS4_3ELS4_3ELNS0_20block_scan_algorithmE0ELj4294967295EEENS1_25partition_config_selectorILNS1_17partition_subalgoE4EjNS0_10empty_typeEbEEZZNS1_14partition_implILS8_4ELb0ES6_15HIP_vector_typeIjLj2EENS0_17counting_iteratorIjlEEPS9_SG_NS0_5tupleIJPjSI_NS0_16reverse_iteratorISI_EEEEENSH_IJSG_SG_SG_EEES9_SI_JZNS1_25segmented_radix_sort_implINS0_14default_configELb1EPKsPsPKlPlN2at6native12_GLOBAL__N_18offset_tEEE10hipError_tPvRmT1_PNSt15iterator_traitsIS12_E10value_typeET2_T3_PNS13_IS18_E10value_typeET4_jRbjT5_S1E_jjP12ihipStream_tbEUljE_ZNSN_ISO_Lb1ESQ_SR_ST_SU_SY_EESZ_S10_S11_S12_S16_S17_S18_S1B_S1C_jS1D_jS1E_S1E_jjS1G_bEUljE0_EEESZ_S10_S11_S18_S1C_S1E_T6_T7_T9_mT8_S1G_bDpT10_ENKUlT_T0_E_clISt17integral_constantIbLb0EES1T_IbLb1EEEEDaS1P_S1Q_EUlS1P_E_NS1_11comp_targetILNS1_3genE2ELNS1_11target_archE906ELNS1_3gpuE6ELNS1_3repE0EEENS1_30default_config_static_selectorELNS0_4arch9wavefront6targetE0EEEvS12_: ; @_ZN7rocprim17ROCPRIM_400000_NS6detail17trampoline_kernelINS0_13select_configILj256ELj13ELNS0_17block_load_methodE3ELS4_3ELS4_3ELNS0_20block_scan_algorithmE0ELj4294967295EEENS1_25partition_config_selectorILNS1_17partition_subalgoE4EjNS0_10empty_typeEbEEZZNS1_14partition_implILS8_4ELb0ES6_15HIP_vector_typeIjLj2EENS0_17counting_iteratorIjlEEPS9_SG_NS0_5tupleIJPjSI_NS0_16reverse_iteratorISI_EEEEENSH_IJSG_SG_SG_EEES9_SI_JZNS1_25segmented_radix_sort_implINS0_14default_configELb1EPKsPsPKlPlN2at6native12_GLOBAL__N_18offset_tEEE10hipError_tPvRmT1_PNSt15iterator_traitsIS12_E10value_typeET2_T3_PNS13_IS18_E10value_typeET4_jRbjT5_S1E_jjP12ihipStream_tbEUljE_ZNSN_ISO_Lb1ESQ_SR_ST_SU_SY_EESZ_S10_S11_S12_S16_S17_S18_S1B_S1C_jS1D_jS1E_S1E_jjS1G_bEUljE0_EEESZ_S10_S11_S18_S1C_S1E_T6_T7_T9_mT8_S1G_bDpT10_ENKUlT_T0_E_clISt17integral_constantIbLb0EES1T_IbLb1EEEEDaS1P_S1Q_EUlS1P_E_NS1_11comp_targetILNS1_3genE2ELNS1_11target_archE906ELNS1_3gpuE6ELNS1_3repE0EEENS1_30default_config_static_selectorELNS0_4arch9wavefront6targetE0EEEvS12_
; %bb.0:
	.section	.rodata,"a",@progbits
	.p2align	6, 0x0
	.amdhsa_kernel _ZN7rocprim17ROCPRIM_400000_NS6detail17trampoline_kernelINS0_13select_configILj256ELj13ELNS0_17block_load_methodE3ELS4_3ELS4_3ELNS0_20block_scan_algorithmE0ELj4294967295EEENS1_25partition_config_selectorILNS1_17partition_subalgoE4EjNS0_10empty_typeEbEEZZNS1_14partition_implILS8_4ELb0ES6_15HIP_vector_typeIjLj2EENS0_17counting_iteratorIjlEEPS9_SG_NS0_5tupleIJPjSI_NS0_16reverse_iteratorISI_EEEEENSH_IJSG_SG_SG_EEES9_SI_JZNS1_25segmented_radix_sort_implINS0_14default_configELb1EPKsPsPKlPlN2at6native12_GLOBAL__N_18offset_tEEE10hipError_tPvRmT1_PNSt15iterator_traitsIS12_E10value_typeET2_T3_PNS13_IS18_E10value_typeET4_jRbjT5_S1E_jjP12ihipStream_tbEUljE_ZNSN_ISO_Lb1ESQ_SR_ST_SU_SY_EESZ_S10_S11_S12_S16_S17_S18_S1B_S1C_jS1D_jS1E_S1E_jjS1G_bEUljE0_EEESZ_S10_S11_S18_S1C_S1E_T6_T7_T9_mT8_S1G_bDpT10_ENKUlT_T0_E_clISt17integral_constantIbLb0EES1T_IbLb1EEEEDaS1P_S1Q_EUlS1P_E_NS1_11comp_targetILNS1_3genE2ELNS1_11target_archE906ELNS1_3gpuE6ELNS1_3repE0EEENS1_30default_config_static_selectorELNS0_4arch9wavefront6targetE0EEEvS12_
		.amdhsa_group_segment_fixed_size 0
		.amdhsa_private_segment_fixed_size 0
		.amdhsa_kernarg_size 184
		.amdhsa_user_sgpr_count 2
		.amdhsa_user_sgpr_dispatch_ptr 0
		.amdhsa_user_sgpr_queue_ptr 0
		.amdhsa_user_sgpr_kernarg_segment_ptr 1
		.amdhsa_user_sgpr_dispatch_id 0
		.amdhsa_user_sgpr_kernarg_preload_length 0
		.amdhsa_user_sgpr_kernarg_preload_offset 0
		.amdhsa_user_sgpr_private_segment_size 0
		.amdhsa_wavefront_size32 1
		.amdhsa_uses_dynamic_stack 0
		.amdhsa_enable_private_segment 0
		.amdhsa_system_sgpr_workgroup_id_x 1
		.amdhsa_system_sgpr_workgroup_id_y 0
		.amdhsa_system_sgpr_workgroup_id_z 0
		.amdhsa_system_sgpr_workgroup_info 0
		.amdhsa_system_vgpr_workitem_id 0
		.amdhsa_next_free_vgpr 1
		.amdhsa_next_free_sgpr 1
		.amdhsa_named_barrier_count 0
		.amdhsa_reserve_vcc 0
		.amdhsa_float_round_mode_32 0
		.amdhsa_float_round_mode_16_64 0
		.amdhsa_float_denorm_mode_32 3
		.amdhsa_float_denorm_mode_16_64 3
		.amdhsa_fp16_overflow 0
		.amdhsa_memory_ordered 1
		.amdhsa_forward_progress 1
		.amdhsa_inst_pref_size 0
		.amdhsa_round_robin_scheduling 0
		.amdhsa_exception_fp_ieee_invalid_op 0
		.amdhsa_exception_fp_denorm_src 0
		.amdhsa_exception_fp_ieee_div_zero 0
		.amdhsa_exception_fp_ieee_overflow 0
		.amdhsa_exception_fp_ieee_underflow 0
		.amdhsa_exception_fp_ieee_inexact 0
		.amdhsa_exception_int_div_zero 0
	.end_amdhsa_kernel
	.section	.text._ZN7rocprim17ROCPRIM_400000_NS6detail17trampoline_kernelINS0_13select_configILj256ELj13ELNS0_17block_load_methodE3ELS4_3ELS4_3ELNS0_20block_scan_algorithmE0ELj4294967295EEENS1_25partition_config_selectorILNS1_17partition_subalgoE4EjNS0_10empty_typeEbEEZZNS1_14partition_implILS8_4ELb0ES6_15HIP_vector_typeIjLj2EENS0_17counting_iteratorIjlEEPS9_SG_NS0_5tupleIJPjSI_NS0_16reverse_iteratorISI_EEEEENSH_IJSG_SG_SG_EEES9_SI_JZNS1_25segmented_radix_sort_implINS0_14default_configELb1EPKsPsPKlPlN2at6native12_GLOBAL__N_18offset_tEEE10hipError_tPvRmT1_PNSt15iterator_traitsIS12_E10value_typeET2_T3_PNS13_IS18_E10value_typeET4_jRbjT5_S1E_jjP12ihipStream_tbEUljE_ZNSN_ISO_Lb1ESQ_SR_ST_SU_SY_EESZ_S10_S11_S12_S16_S17_S18_S1B_S1C_jS1D_jS1E_S1E_jjS1G_bEUljE0_EEESZ_S10_S11_S18_S1C_S1E_T6_T7_T9_mT8_S1G_bDpT10_ENKUlT_T0_E_clISt17integral_constantIbLb0EES1T_IbLb1EEEEDaS1P_S1Q_EUlS1P_E_NS1_11comp_targetILNS1_3genE2ELNS1_11target_archE906ELNS1_3gpuE6ELNS1_3repE0EEENS1_30default_config_static_selectorELNS0_4arch9wavefront6targetE0EEEvS12_,"axG",@progbits,_ZN7rocprim17ROCPRIM_400000_NS6detail17trampoline_kernelINS0_13select_configILj256ELj13ELNS0_17block_load_methodE3ELS4_3ELS4_3ELNS0_20block_scan_algorithmE0ELj4294967295EEENS1_25partition_config_selectorILNS1_17partition_subalgoE4EjNS0_10empty_typeEbEEZZNS1_14partition_implILS8_4ELb0ES6_15HIP_vector_typeIjLj2EENS0_17counting_iteratorIjlEEPS9_SG_NS0_5tupleIJPjSI_NS0_16reverse_iteratorISI_EEEEENSH_IJSG_SG_SG_EEES9_SI_JZNS1_25segmented_radix_sort_implINS0_14default_configELb1EPKsPsPKlPlN2at6native12_GLOBAL__N_18offset_tEEE10hipError_tPvRmT1_PNSt15iterator_traitsIS12_E10value_typeET2_T3_PNS13_IS18_E10value_typeET4_jRbjT5_S1E_jjP12ihipStream_tbEUljE_ZNSN_ISO_Lb1ESQ_SR_ST_SU_SY_EESZ_S10_S11_S12_S16_S17_S18_S1B_S1C_jS1D_jS1E_S1E_jjS1G_bEUljE0_EEESZ_S10_S11_S18_S1C_S1E_T6_T7_T9_mT8_S1G_bDpT10_ENKUlT_T0_E_clISt17integral_constantIbLb0EES1T_IbLb1EEEEDaS1P_S1Q_EUlS1P_E_NS1_11comp_targetILNS1_3genE2ELNS1_11target_archE906ELNS1_3gpuE6ELNS1_3repE0EEENS1_30default_config_static_selectorELNS0_4arch9wavefront6targetE0EEEvS12_,comdat
.Lfunc_end871:
	.size	_ZN7rocprim17ROCPRIM_400000_NS6detail17trampoline_kernelINS0_13select_configILj256ELj13ELNS0_17block_load_methodE3ELS4_3ELS4_3ELNS0_20block_scan_algorithmE0ELj4294967295EEENS1_25partition_config_selectorILNS1_17partition_subalgoE4EjNS0_10empty_typeEbEEZZNS1_14partition_implILS8_4ELb0ES6_15HIP_vector_typeIjLj2EENS0_17counting_iteratorIjlEEPS9_SG_NS0_5tupleIJPjSI_NS0_16reverse_iteratorISI_EEEEENSH_IJSG_SG_SG_EEES9_SI_JZNS1_25segmented_radix_sort_implINS0_14default_configELb1EPKsPsPKlPlN2at6native12_GLOBAL__N_18offset_tEEE10hipError_tPvRmT1_PNSt15iterator_traitsIS12_E10value_typeET2_T3_PNS13_IS18_E10value_typeET4_jRbjT5_S1E_jjP12ihipStream_tbEUljE_ZNSN_ISO_Lb1ESQ_SR_ST_SU_SY_EESZ_S10_S11_S12_S16_S17_S18_S1B_S1C_jS1D_jS1E_S1E_jjS1G_bEUljE0_EEESZ_S10_S11_S18_S1C_S1E_T6_T7_T9_mT8_S1G_bDpT10_ENKUlT_T0_E_clISt17integral_constantIbLb0EES1T_IbLb1EEEEDaS1P_S1Q_EUlS1P_E_NS1_11comp_targetILNS1_3genE2ELNS1_11target_archE906ELNS1_3gpuE6ELNS1_3repE0EEENS1_30default_config_static_selectorELNS0_4arch9wavefront6targetE0EEEvS12_, .Lfunc_end871-_ZN7rocprim17ROCPRIM_400000_NS6detail17trampoline_kernelINS0_13select_configILj256ELj13ELNS0_17block_load_methodE3ELS4_3ELS4_3ELNS0_20block_scan_algorithmE0ELj4294967295EEENS1_25partition_config_selectorILNS1_17partition_subalgoE4EjNS0_10empty_typeEbEEZZNS1_14partition_implILS8_4ELb0ES6_15HIP_vector_typeIjLj2EENS0_17counting_iteratorIjlEEPS9_SG_NS0_5tupleIJPjSI_NS0_16reverse_iteratorISI_EEEEENSH_IJSG_SG_SG_EEES9_SI_JZNS1_25segmented_radix_sort_implINS0_14default_configELb1EPKsPsPKlPlN2at6native12_GLOBAL__N_18offset_tEEE10hipError_tPvRmT1_PNSt15iterator_traitsIS12_E10value_typeET2_T3_PNS13_IS18_E10value_typeET4_jRbjT5_S1E_jjP12ihipStream_tbEUljE_ZNSN_ISO_Lb1ESQ_SR_ST_SU_SY_EESZ_S10_S11_S12_S16_S17_S18_S1B_S1C_jS1D_jS1E_S1E_jjS1G_bEUljE0_EEESZ_S10_S11_S18_S1C_S1E_T6_T7_T9_mT8_S1G_bDpT10_ENKUlT_T0_E_clISt17integral_constantIbLb0EES1T_IbLb1EEEEDaS1P_S1Q_EUlS1P_E_NS1_11comp_targetILNS1_3genE2ELNS1_11target_archE906ELNS1_3gpuE6ELNS1_3repE0EEENS1_30default_config_static_selectorELNS0_4arch9wavefront6targetE0EEEvS12_
                                        ; -- End function
	.set _ZN7rocprim17ROCPRIM_400000_NS6detail17trampoline_kernelINS0_13select_configILj256ELj13ELNS0_17block_load_methodE3ELS4_3ELS4_3ELNS0_20block_scan_algorithmE0ELj4294967295EEENS1_25partition_config_selectorILNS1_17partition_subalgoE4EjNS0_10empty_typeEbEEZZNS1_14partition_implILS8_4ELb0ES6_15HIP_vector_typeIjLj2EENS0_17counting_iteratorIjlEEPS9_SG_NS0_5tupleIJPjSI_NS0_16reverse_iteratorISI_EEEEENSH_IJSG_SG_SG_EEES9_SI_JZNS1_25segmented_radix_sort_implINS0_14default_configELb1EPKsPsPKlPlN2at6native12_GLOBAL__N_18offset_tEEE10hipError_tPvRmT1_PNSt15iterator_traitsIS12_E10value_typeET2_T3_PNS13_IS18_E10value_typeET4_jRbjT5_S1E_jjP12ihipStream_tbEUljE_ZNSN_ISO_Lb1ESQ_SR_ST_SU_SY_EESZ_S10_S11_S12_S16_S17_S18_S1B_S1C_jS1D_jS1E_S1E_jjS1G_bEUljE0_EEESZ_S10_S11_S18_S1C_S1E_T6_T7_T9_mT8_S1G_bDpT10_ENKUlT_T0_E_clISt17integral_constantIbLb0EES1T_IbLb1EEEEDaS1P_S1Q_EUlS1P_E_NS1_11comp_targetILNS1_3genE2ELNS1_11target_archE906ELNS1_3gpuE6ELNS1_3repE0EEENS1_30default_config_static_selectorELNS0_4arch9wavefront6targetE0EEEvS12_.num_vgpr, 0
	.set _ZN7rocprim17ROCPRIM_400000_NS6detail17trampoline_kernelINS0_13select_configILj256ELj13ELNS0_17block_load_methodE3ELS4_3ELS4_3ELNS0_20block_scan_algorithmE0ELj4294967295EEENS1_25partition_config_selectorILNS1_17partition_subalgoE4EjNS0_10empty_typeEbEEZZNS1_14partition_implILS8_4ELb0ES6_15HIP_vector_typeIjLj2EENS0_17counting_iteratorIjlEEPS9_SG_NS0_5tupleIJPjSI_NS0_16reverse_iteratorISI_EEEEENSH_IJSG_SG_SG_EEES9_SI_JZNS1_25segmented_radix_sort_implINS0_14default_configELb1EPKsPsPKlPlN2at6native12_GLOBAL__N_18offset_tEEE10hipError_tPvRmT1_PNSt15iterator_traitsIS12_E10value_typeET2_T3_PNS13_IS18_E10value_typeET4_jRbjT5_S1E_jjP12ihipStream_tbEUljE_ZNSN_ISO_Lb1ESQ_SR_ST_SU_SY_EESZ_S10_S11_S12_S16_S17_S18_S1B_S1C_jS1D_jS1E_S1E_jjS1G_bEUljE0_EEESZ_S10_S11_S18_S1C_S1E_T6_T7_T9_mT8_S1G_bDpT10_ENKUlT_T0_E_clISt17integral_constantIbLb0EES1T_IbLb1EEEEDaS1P_S1Q_EUlS1P_E_NS1_11comp_targetILNS1_3genE2ELNS1_11target_archE906ELNS1_3gpuE6ELNS1_3repE0EEENS1_30default_config_static_selectorELNS0_4arch9wavefront6targetE0EEEvS12_.num_agpr, 0
	.set _ZN7rocprim17ROCPRIM_400000_NS6detail17trampoline_kernelINS0_13select_configILj256ELj13ELNS0_17block_load_methodE3ELS4_3ELS4_3ELNS0_20block_scan_algorithmE0ELj4294967295EEENS1_25partition_config_selectorILNS1_17partition_subalgoE4EjNS0_10empty_typeEbEEZZNS1_14partition_implILS8_4ELb0ES6_15HIP_vector_typeIjLj2EENS0_17counting_iteratorIjlEEPS9_SG_NS0_5tupleIJPjSI_NS0_16reverse_iteratorISI_EEEEENSH_IJSG_SG_SG_EEES9_SI_JZNS1_25segmented_radix_sort_implINS0_14default_configELb1EPKsPsPKlPlN2at6native12_GLOBAL__N_18offset_tEEE10hipError_tPvRmT1_PNSt15iterator_traitsIS12_E10value_typeET2_T3_PNS13_IS18_E10value_typeET4_jRbjT5_S1E_jjP12ihipStream_tbEUljE_ZNSN_ISO_Lb1ESQ_SR_ST_SU_SY_EESZ_S10_S11_S12_S16_S17_S18_S1B_S1C_jS1D_jS1E_S1E_jjS1G_bEUljE0_EEESZ_S10_S11_S18_S1C_S1E_T6_T7_T9_mT8_S1G_bDpT10_ENKUlT_T0_E_clISt17integral_constantIbLb0EES1T_IbLb1EEEEDaS1P_S1Q_EUlS1P_E_NS1_11comp_targetILNS1_3genE2ELNS1_11target_archE906ELNS1_3gpuE6ELNS1_3repE0EEENS1_30default_config_static_selectorELNS0_4arch9wavefront6targetE0EEEvS12_.numbered_sgpr, 0
	.set _ZN7rocprim17ROCPRIM_400000_NS6detail17trampoline_kernelINS0_13select_configILj256ELj13ELNS0_17block_load_methodE3ELS4_3ELS4_3ELNS0_20block_scan_algorithmE0ELj4294967295EEENS1_25partition_config_selectorILNS1_17partition_subalgoE4EjNS0_10empty_typeEbEEZZNS1_14partition_implILS8_4ELb0ES6_15HIP_vector_typeIjLj2EENS0_17counting_iteratorIjlEEPS9_SG_NS0_5tupleIJPjSI_NS0_16reverse_iteratorISI_EEEEENSH_IJSG_SG_SG_EEES9_SI_JZNS1_25segmented_radix_sort_implINS0_14default_configELb1EPKsPsPKlPlN2at6native12_GLOBAL__N_18offset_tEEE10hipError_tPvRmT1_PNSt15iterator_traitsIS12_E10value_typeET2_T3_PNS13_IS18_E10value_typeET4_jRbjT5_S1E_jjP12ihipStream_tbEUljE_ZNSN_ISO_Lb1ESQ_SR_ST_SU_SY_EESZ_S10_S11_S12_S16_S17_S18_S1B_S1C_jS1D_jS1E_S1E_jjS1G_bEUljE0_EEESZ_S10_S11_S18_S1C_S1E_T6_T7_T9_mT8_S1G_bDpT10_ENKUlT_T0_E_clISt17integral_constantIbLb0EES1T_IbLb1EEEEDaS1P_S1Q_EUlS1P_E_NS1_11comp_targetILNS1_3genE2ELNS1_11target_archE906ELNS1_3gpuE6ELNS1_3repE0EEENS1_30default_config_static_selectorELNS0_4arch9wavefront6targetE0EEEvS12_.num_named_barrier, 0
	.set _ZN7rocprim17ROCPRIM_400000_NS6detail17trampoline_kernelINS0_13select_configILj256ELj13ELNS0_17block_load_methodE3ELS4_3ELS4_3ELNS0_20block_scan_algorithmE0ELj4294967295EEENS1_25partition_config_selectorILNS1_17partition_subalgoE4EjNS0_10empty_typeEbEEZZNS1_14partition_implILS8_4ELb0ES6_15HIP_vector_typeIjLj2EENS0_17counting_iteratorIjlEEPS9_SG_NS0_5tupleIJPjSI_NS0_16reverse_iteratorISI_EEEEENSH_IJSG_SG_SG_EEES9_SI_JZNS1_25segmented_radix_sort_implINS0_14default_configELb1EPKsPsPKlPlN2at6native12_GLOBAL__N_18offset_tEEE10hipError_tPvRmT1_PNSt15iterator_traitsIS12_E10value_typeET2_T3_PNS13_IS18_E10value_typeET4_jRbjT5_S1E_jjP12ihipStream_tbEUljE_ZNSN_ISO_Lb1ESQ_SR_ST_SU_SY_EESZ_S10_S11_S12_S16_S17_S18_S1B_S1C_jS1D_jS1E_S1E_jjS1G_bEUljE0_EEESZ_S10_S11_S18_S1C_S1E_T6_T7_T9_mT8_S1G_bDpT10_ENKUlT_T0_E_clISt17integral_constantIbLb0EES1T_IbLb1EEEEDaS1P_S1Q_EUlS1P_E_NS1_11comp_targetILNS1_3genE2ELNS1_11target_archE906ELNS1_3gpuE6ELNS1_3repE0EEENS1_30default_config_static_selectorELNS0_4arch9wavefront6targetE0EEEvS12_.private_seg_size, 0
	.set _ZN7rocprim17ROCPRIM_400000_NS6detail17trampoline_kernelINS0_13select_configILj256ELj13ELNS0_17block_load_methodE3ELS4_3ELS4_3ELNS0_20block_scan_algorithmE0ELj4294967295EEENS1_25partition_config_selectorILNS1_17partition_subalgoE4EjNS0_10empty_typeEbEEZZNS1_14partition_implILS8_4ELb0ES6_15HIP_vector_typeIjLj2EENS0_17counting_iteratorIjlEEPS9_SG_NS0_5tupleIJPjSI_NS0_16reverse_iteratorISI_EEEEENSH_IJSG_SG_SG_EEES9_SI_JZNS1_25segmented_radix_sort_implINS0_14default_configELb1EPKsPsPKlPlN2at6native12_GLOBAL__N_18offset_tEEE10hipError_tPvRmT1_PNSt15iterator_traitsIS12_E10value_typeET2_T3_PNS13_IS18_E10value_typeET4_jRbjT5_S1E_jjP12ihipStream_tbEUljE_ZNSN_ISO_Lb1ESQ_SR_ST_SU_SY_EESZ_S10_S11_S12_S16_S17_S18_S1B_S1C_jS1D_jS1E_S1E_jjS1G_bEUljE0_EEESZ_S10_S11_S18_S1C_S1E_T6_T7_T9_mT8_S1G_bDpT10_ENKUlT_T0_E_clISt17integral_constantIbLb0EES1T_IbLb1EEEEDaS1P_S1Q_EUlS1P_E_NS1_11comp_targetILNS1_3genE2ELNS1_11target_archE906ELNS1_3gpuE6ELNS1_3repE0EEENS1_30default_config_static_selectorELNS0_4arch9wavefront6targetE0EEEvS12_.uses_vcc, 0
	.set _ZN7rocprim17ROCPRIM_400000_NS6detail17trampoline_kernelINS0_13select_configILj256ELj13ELNS0_17block_load_methodE3ELS4_3ELS4_3ELNS0_20block_scan_algorithmE0ELj4294967295EEENS1_25partition_config_selectorILNS1_17partition_subalgoE4EjNS0_10empty_typeEbEEZZNS1_14partition_implILS8_4ELb0ES6_15HIP_vector_typeIjLj2EENS0_17counting_iteratorIjlEEPS9_SG_NS0_5tupleIJPjSI_NS0_16reverse_iteratorISI_EEEEENSH_IJSG_SG_SG_EEES9_SI_JZNS1_25segmented_radix_sort_implINS0_14default_configELb1EPKsPsPKlPlN2at6native12_GLOBAL__N_18offset_tEEE10hipError_tPvRmT1_PNSt15iterator_traitsIS12_E10value_typeET2_T3_PNS13_IS18_E10value_typeET4_jRbjT5_S1E_jjP12ihipStream_tbEUljE_ZNSN_ISO_Lb1ESQ_SR_ST_SU_SY_EESZ_S10_S11_S12_S16_S17_S18_S1B_S1C_jS1D_jS1E_S1E_jjS1G_bEUljE0_EEESZ_S10_S11_S18_S1C_S1E_T6_T7_T9_mT8_S1G_bDpT10_ENKUlT_T0_E_clISt17integral_constantIbLb0EES1T_IbLb1EEEEDaS1P_S1Q_EUlS1P_E_NS1_11comp_targetILNS1_3genE2ELNS1_11target_archE906ELNS1_3gpuE6ELNS1_3repE0EEENS1_30default_config_static_selectorELNS0_4arch9wavefront6targetE0EEEvS12_.uses_flat_scratch, 0
	.set _ZN7rocprim17ROCPRIM_400000_NS6detail17trampoline_kernelINS0_13select_configILj256ELj13ELNS0_17block_load_methodE3ELS4_3ELS4_3ELNS0_20block_scan_algorithmE0ELj4294967295EEENS1_25partition_config_selectorILNS1_17partition_subalgoE4EjNS0_10empty_typeEbEEZZNS1_14partition_implILS8_4ELb0ES6_15HIP_vector_typeIjLj2EENS0_17counting_iteratorIjlEEPS9_SG_NS0_5tupleIJPjSI_NS0_16reverse_iteratorISI_EEEEENSH_IJSG_SG_SG_EEES9_SI_JZNS1_25segmented_radix_sort_implINS0_14default_configELb1EPKsPsPKlPlN2at6native12_GLOBAL__N_18offset_tEEE10hipError_tPvRmT1_PNSt15iterator_traitsIS12_E10value_typeET2_T3_PNS13_IS18_E10value_typeET4_jRbjT5_S1E_jjP12ihipStream_tbEUljE_ZNSN_ISO_Lb1ESQ_SR_ST_SU_SY_EESZ_S10_S11_S12_S16_S17_S18_S1B_S1C_jS1D_jS1E_S1E_jjS1G_bEUljE0_EEESZ_S10_S11_S18_S1C_S1E_T6_T7_T9_mT8_S1G_bDpT10_ENKUlT_T0_E_clISt17integral_constantIbLb0EES1T_IbLb1EEEEDaS1P_S1Q_EUlS1P_E_NS1_11comp_targetILNS1_3genE2ELNS1_11target_archE906ELNS1_3gpuE6ELNS1_3repE0EEENS1_30default_config_static_selectorELNS0_4arch9wavefront6targetE0EEEvS12_.has_dyn_sized_stack, 0
	.set _ZN7rocprim17ROCPRIM_400000_NS6detail17trampoline_kernelINS0_13select_configILj256ELj13ELNS0_17block_load_methodE3ELS4_3ELS4_3ELNS0_20block_scan_algorithmE0ELj4294967295EEENS1_25partition_config_selectorILNS1_17partition_subalgoE4EjNS0_10empty_typeEbEEZZNS1_14partition_implILS8_4ELb0ES6_15HIP_vector_typeIjLj2EENS0_17counting_iteratorIjlEEPS9_SG_NS0_5tupleIJPjSI_NS0_16reverse_iteratorISI_EEEEENSH_IJSG_SG_SG_EEES9_SI_JZNS1_25segmented_radix_sort_implINS0_14default_configELb1EPKsPsPKlPlN2at6native12_GLOBAL__N_18offset_tEEE10hipError_tPvRmT1_PNSt15iterator_traitsIS12_E10value_typeET2_T3_PNS13_IS18_E10value_typeET4_jRbjT5_S1E_jjP12ihipStream_tbEUljE_ZNSN_ISO_Lb1ESQ_SR_ST_SU_SY_EESZ_S10_S11_S12_S16_S17_S18_S1B_S1C_jS1D_jS1E_S1E_jjS1G_bEUljE0_EEESZ_S10_S11_S18_S1C_S1E_T6_T7_T9_mT8_S1G_bDpT10_ENKUlT_T0_E_clISt17integral_constantIbLb0EES1T_IbLb1EEEEDaS1P_S1Q_EUlS1P_E_NS1_11comp_targetILNS1_3genE2ELNS1_11target_archE906ELNS1_3gpuE6ELNS1_3repE0EEENS1_30default_config_static_selectorELNS0_4arch9wavefront6targetE0EEEvS12_.has_recursion, 0
	.set _ZN7rocprim17ROCPRIM_400000_NS6detail17trampoline_kernelINS0_13select_configILj256ELj13ELNS0_17block_load_methodE3ELS4_3ELS4_3ELNS0_20block_scan_algorithmE0ELj4294967295EEENS1_25partition_config_selectorILNS1_17partition_subalgoE4EjNS0_10empty_typeEbEEZZNS1_14partition_implILS8_4ELb0ES6_15HIP_vector_typeIjLj2EENS0_17counting_iteratorIjlEEPS9_SG_NS0_5tupleIJPjSI_NS0_16reverse_iteratorISI_EEEEENSH_IJSG_SG_SG_EEES9_SI_JZNS1_25segmented_radix_sort_implINS0_14default_configELb1EPKsPsPKlPlN2at6native12_GLOBAL__N_18offset_tEEE10hipError_tPvRmT1_PNSt15iterator_traitsIS12_E10value_typeET2_T3_PNS13_IS18_E10value_typeET4_jRbjT5_S1E_jjP12ihipStream_tbEUljE_ZNSN_ISO_Lb1ESQ_SR_ST_SU_SY_EESZ_S10_S11_S12_S16_S17_S18_S1B_S1C_jS1D_jS1E_S1E_jjS1G_bEUljE0_EEESZ_S10_S11_S18_S1C_S1E_T6_T7_T9_mT8_S1G_bDpT10_ENKUlT_T0_E_clISt17integral_constantIbLb0EES1T_IbLb1EEEEDaS1P_S1Q_EUlS1P_E_NS1_11comp_targetILNS1_3genE2ELNS1_11target_archE906ELNS1_3gpuE6ELNS1_3repE0EEENS1_30default_config_static_selectorELNS0_4arch9wavefront6targetE0EEEvS12_.has_indirect_call, 0
	.section	.AMDGPU.csdata,"",@progbits
; Kernel info:
; codeLenInByte = 0
; TotalNumSgprs: 0
; NumVgprs: 0
; ScratchSize: 0
; MemoryBound: 0
; FloatMode: 240
; IeeeMode: 1
; LDSByteSize: 0 bytes/workgroup (compile time only)
; SGPRBlocks: 0
; VGPRBlocks: 0
; NumSGPRsForWavesPerEU: 1
; NumVGPRsForWavesPerEU: 1
; NamedBarCnt: 0
; Occupancy: 16
; WaveLimiterHint : 0
; COMPUTE_PGM_RSRC2:SCRATCH_EN: 0
; COMPUTE_PGM_RSRC2:USER_SGPR: 2
; COMPUTE_PGM_RSRC2:TRAP_HANDLER: 0
; COMPUTE_PGM_RSRC2:TGID_X_EN: 1
; COMPUTE_PGM_RSRC2:TGID_Y_EN: 0
; COMPUTE_PGM_RSRC2:TGID_Z_EN: 0
; COMPUTE_PGM_RSRC2:TIDIG_COMP_CNT: 0
	.section	.text._ZN7rocprim17ROCPRIM_400000_NS6detail17trampoline_kernelINS0_13select_configILj256ELj13ELNS0_17block_load_methodE3ELS4_3ELS4_3ELNS0_20block_scan_algorithmE0ELj4294967295EEENS1_25partition_config_selectorILNS1_17partition_subalgoE4EjNS0_10empty_typeEbEEZZNS1_14partition_implILS8_4ELb0ES6_15HIP_vector_typeIjLj2EENS0_17counting_iteratorIjlEEPS9_SG_NS0_5tupleIJPjSI_NS0_16reverse_iteratorISI_EEEEENSH_IJSG_SG_SG_EEES9_SI_JZNS1_25segmented_radix_sort_implINS0_14default_configELb1EPKsPsPKlPlN2at6native12_GLOBAL__N_18offset_tEEE10hipError_tPvRmT1_PNSt15iterator_traitsIS12_E10value_typeET2_T3_PNS13_IS18_E10value_typeET4_jRbjT5_S1E_jjP12ihipStream_tbEUljE_ZNSN_ISO_Lb1ESQ_SR_ST_SU_SY_EESZ_S10_S11_S12_S16_S17_S18_S1B_S1C_jS1D_jS1E_S1E_jjS1G_bEUljE0_EEESZ_S10_S11_S18_S1C_S1E_T6_T7_T9_mT8_S1G_bDpT10_ENKUlT_T0_E_clISt17integral_constantIbLb0EES1T_IbLb1EEEEDaS1P_S1Q_EUlS1P_E_NS1_11comp_targetILNS1_3genE10ELNS1_11target_archE1200ELNS1_3gpuE4ELNS1_3repE0EEENS1_30default_config_static_selectorELNS0_4arch9wavefront6targetE0EEEvS12_,"axG",@progbits,_ZN7rocprim17ROCPRIM_400000_NS6detail17trampoline_kernelINS0_13select_configILj256ELj13ELNS0_17block_load_methodE3ELS4_3ELS4_3ELNS0_20block_scan_algorithmE0ELj4294967295EEENS1_25partition_config_selectorILNS1_17partition_subalgoE4EjNS0_10empty_typeEbEEZZNS1_14partition_implILS8_4ELb0ES6_15HIP_vector_typeIjLj2EENS0_17counting_iteratorIjlEEPS9_SG_NS0_5tupleIJPjSI_NS0_16reverse_iteratorISI_EEEEENSH_IJSG_SG_SG_EEES9_SI_JZNS1_25segmented_radix_sort_implINS0_14default_configELb1EPKsPsPKlPlN2at6native12_GLOBAL__N_18offset_tEEE10hipError_tPvRmT1_PNSt15iterator_traitsIS12_E10value_typeET2_T3_PNS13_IS18_E10value_typeET4_jRbjT5_S1E_jjP12ihipStream_tbEUljE_ZNSN_ISO_Lb1ESQ_SR_ST_SU_SY_EESZ_S10_S11_S12_S16_S17_S18_S1B_S1C_jS1D_jS1E_S1E_jjS1G_bEUljE0_EEESZ_S10_S11_S18_S1C_S1E_T6_T7_T9_mT8_S1G_bDpT10_ENKUlT_T0_E_clISt17integral_constantIbLb0EES1T_IbLb1EEEEDaS1P_S1Q_EUlS1P_E_NS1_11comp_targetILNS1_3genE10ELNS1_11target_archE1200ELNS1_3gpuE4ELNS1_3repE0EEENS1_30default_config_static_selectorELNS0_4arch9wavefront6targetE0EEEvS12_,comdat
	.globl	_ZN7rocprim17ROCPRIM_400000_NS6detail17trampoline_kernelINS0_13select_configILj256ELj13ELNS0_17block_load_methodE3ELS4_3ELS4_3ELNS0_20block_scan_algorithmE0ELj4294967295EEENS1_25partition_config_selectorILNS1_17partition_subalgoE4EjNS0_10empty_typeEbEEZZNS1_14partition_implILS8_4ELb0ES6_15HIP_vector_typeIjLj2EENS0_17counting_iteratorIjlEEPS9_SG_NS0_5tupleIJPjSI_NS0_16reverse_iteratorISI_EEEEENSH_IJSG_SG_SG_EEES9_SI_JZNS1_25segmented_radix_sort_implINS0_14default_configELb1EPKsPsPKlPlN2at6native12_GLOBAL__N_18offset_tEEE10hipError_tPvRmT1_PNSt15iterator_traitsIS12_E10value_typeET2_T3_PNS13_IS18_E10value_typeET4_jRbjT5_S1E_jjP12ihipStream_tbEUljE_ZNSN_ISO_Lb1ESQ_SR_ST_SU_SY_EESZ_S10_S11_S12_S16_S17_S18_S1B_S1C_jS1D_jS1E_S1E_jjS1G_bEUljE0_EEESZ_S10_S11_S18_S1C_S1E_T6_T7_T9_mT8_S1G_bDpT10_ENKUlT_T0_E_clISt17integral_constantIbLb0EES1T_IbLb1EEEEDaS1P_S1Q_EUlS1P_E_NS1_11comp_targetILNS1_3genE10ELNS1_11target_archE1200ELNS1_3gpuE4ELNS1_3repE0EEENS1_30default_config_static_selectorELNS0_4arch9wavefront6targetE0EEEvS12_ ; -- Begin function _ZN7rocprim17ROCPRIM_400000_NS6detail17trampoline_kernelINS0_13select_configILj256ELj13ELNS0_17block_load_methodE3ELS4_3ELS4_3ELNS0_20block_scan_algorithmE0ELj4294967295EEENS1_25partition_config_selectorILNS1_17partition_subalgoE4EjNS0_10empty_typeEbEEZZNS1_14partition_implILS8_4ELb0ES6_15HIP_vector_typeIjLj2EENS0_17counting_iteratorIjlEEPS9_SG_NS0_5tupleIJPjSI_NS0_16reverse_iteratorISI_EEEEENSH_IJSG_SG_SG_EEES9_SI_JZNS1_25segmented_radix_sort_implINS0_14default_configELb1EPKsPsPKlPlN2at6native12_GLOBAL__N_18offset_tEEE10hipError_tPvRmT1_PNSt15iterator_traitsIS12_E10value_typeET2_T3_PNS13_IS18_E10value_typeET4_jRbjT5_S1E_jjP12ihipStream_tbEUljE_ZNSN_ISO_Lb1ESQ_SR_ST_SU_SY_EESZ_S10_S11_S12_S16_S17_S18_S1B_S1C_jS1D_jS1E_S1E_jjS1G_bEUljE0_EEESZ_S10_S11_S18_S1C_S1E_T6_T7_T9_mT8_S1G_bDpT10_ENKUlT_T0_E_clISt17integral_constantIbLb0EES1T_IbLb1EEEEDaS1P_S1Q_EUlS1P_E_NS1_11comp_targetILNS1_3genE10ELNS1_11target_archE1200ELNS1_3gpuE4ELNS1_3repE0EEENS1_30default_config_static_selectorELNS0_4arch9wavefront6targetE0EEEvS12_
	.p2align	8
	.type	_ZN7rocprim17ROCPRIM_400000_NS6detail17trampoline_kernelINS0_13select_configILj256ELj13ELNS0_17block_load_methodE3ELS4_3ELS4_3ELNS0_20block_scan_algorithmE0ELj4294967295EEENS1_25partition_config_selectorILNS1_17partition_subalgoE4EjNS0_10empty_typeEbEEZZNS1_14partition_implILS8_4ELb0ES6_15HIP_vector_typeIjLj2EENS0_17counting_iteratorIjlEEPS9_SG_NS0_5tupleIJPjSI_NS0_16reverse_iteratorISI_EEEEENSH_IJSG_SG_SG_EEES9_SI_JZNS1_25segmented_radix_sort_implINS0_14default_configELb1EPKsPsPKlPlN2at6native12_GLOBAL__N_18offset_tEEE10hipError_tPvRmT1_PNSt15iterator_traitsIS12_E10value_typeET2_T3_PNS13_IS18_E10value_typeET4_jRbjT5_S1E_jjP12ihipStream_tbEUljE_ZNSN_ISO_Lb1ESQ_SR_ST_SU_SY_EESZ_S10_S11_S12_S16_S17_S18_S1B_S1C_jS1D_jS1E_S1E_jjS1G_bEUljE0_EEESZ_S10_S11_S18_S1C_S1E_T6_T7_T9_mT8_S1G_bDpT10_ENKUlT_T0_E_clISt17integral_constantIbLb0EES1T_IbLb1EEEEDaS1P_S1Q_EUlS1P_E_NS1_11comp_targetILNS1_3genE10ELNS1_11target_archE1200ELNS1_3gpuE4ELNS1_3repE0EEENS1_30default_config_static_selectorELNS0_4arch9wavefront6targetE0EEEvS12_,@function
_ZN7rocprim17ROCPRIM_400000_NS6detail17trampoline_kernelINS0_13select_configILj256ELj13ELNS0_17block_load_methodE3ELS4_3ELS4_3ELNS0_20block_scan_algorithmE0ELj4294967295EEENS1_25partition_config_selectorILNS1_17partition_subalgoE4EjNS0_10empty_typeEbEEZZNS1_14partition_implILS8_4ELb0ES6_15HIP_vector_typeIjLj2EENS0_17counting_iteratorIjlEEPS9_SG_NS0_5tupleIJPjSI_NS0_16reverse_iteratorISI_EEEEENSH_IJSG_SG_SG_EEES9_SI_JZNS1_25segmented_radix_sort_implINS0_14default_configELb1EPKsPsPKlPlN2at6native12_GLOBAL__N_18offset_tEEE10hipError_tPvRmT1_PNSt15iterator_traitsIS12_E10value_typeET2_T3_PNS13_IS18_E10value_typeET4_jRbjT5_S1E_jjP12ihipStream_tbEUljE_ZNSN_ISO_Lb1ESQ_SR_ST_SU_SY_EESZ_S10_S11_S12_S16_S17_S18_S1B_S1C_jS1D_jS1E_S1E_jjS1G_bEUljE0_EEESZ_S10_S11_S18_S1C_S1E_T6_T7_T9_mT8_S1G_bDpT10_ENKUlT_T0_E_clISt17integral_constantIbLb0EES1T_IbLb1EEEEDaS1P_S1Q_EUlS1P_E_NS1_11comp_targetILNS1_3genE10ELNS1_11target_archE1200ELNS1_3gpuE4ELNS1_3repE0EEENS1_30default_config_static_selectorELNS0_4arch9wavefront6targetE0EEEvS12_: ; @_ZN7rocprim17ROCPRIM_400000_NS6detail17trampoline_kernelINS0_13select_configILj256ELj13ELNS0_17block_load_methodE3ELS4_3ELS4_3ELNS0_20block_scan_algorithmE0ELj4294967295EEENS1_25partition_config_selectorILNS1_17partition_subalgoE4EjNS0_10empty_typeEbEEZZNS1_14partition_implILS8_4ELb0ES6_15HIP_vector_typeIjLj2EENS0_17counting_iteratorIjlEEPS9_SG_NS0_5tupleIJPjSI_NS0_16reverse_iteratorISI_EEEEENSH_IJSG_SG_SG_EEES9_SI_JZNS1_25segmented_radix_sort_implINS0_14default_configELb1EPKsPsPKlPlN2at6native12_GLOBAL__N_18offset_tEEE10hipError_tPvRmT1_PNSt15iterator_traitsIS12_E10value_typeET2_T3_PNS13_IS18_E10value_typeET4_jRbjT5_S1E_jjP12ihipStream_tbEUljE_ZNSN_ISO_Lb1ESQ_SR_ST_SU_SY_EESZ_S10_S11_S12_S16_S17_S18_S1B_S1C_jS1D_jS1E_S1E_jjS1G_bEUljE0_EEESZ_S10_S11_S18_S1C_S1E_T6_T7_T9_mT8_S1G_bDpT10_ENKUlT_T0_E_clISt17integral_constantIbLb0EES1T_IbLb1EEEEDaS1P_S1Q_EUlS1P_E_NS1_11comp_targetILNS1_3genE10ELNS1_11target_archE1200ELNS1_3gpuE4ELNS1_3repE0EEENS1_30default_config_static_selectorELNS0_4arch9wavefront6targetE0EEEvS12_
; %bb.0:
	.section	.rodata,"a",@progbits
	.p2align	6, 0x0
	.amdhsa_kernel _ZN7rocprim17ROCPRIM_400000_NS6detail17trampoline_kernelINS0_13select_configILj256ELj13ELNS0_17block_load_methodE3ELS4_3ELS4_3ELNS0_20block_scan_algorithmE0ELj4294967295EEENS1_25partition_config_selectorILNS1_17partition_subalgoE4EjNS0_10empty_typeEbEEZZNS1_14partition_implILS8_4ELb0ES6_15HIP_vector_typeIjLj2EENS0_17counting_iteratorIjlEEPS9_SG_NS0_5tupleIJPjSI_NS0_16reverse_iteratorISI_EEEEENSH_IJSG_SG_SG_EEES9_SI_JZNS1_25segmented_radix_sort_implINS0_14default_configELb1EPKsPsPKlPlN2at6native12_GLOBAL__N_18offset_tEEE10hipError_tPvRmT1_PNSt15iterator_traitsIS12_E10value_typeET2_T3_PNS13_IS18_E10value_typeET4_jRbjT5_S1E_jjP12ihipStream_tbEUljE_ZNSN_ISO_Lb1ESQ_SR_ST_SU_SY_EESZ_S10_S11_S12_S16_S17_S18_S1B_S1C_jS1D_jS1E_S1E_jjS1G_bEUljE0_EEESZ_S10_S11_S18_S1C_S1E_T6_T7_T9_mT8_S1G_bDpT10_ENKUlT_T0_E_clISt17integral_constantIbLb0EES1T_IbLb1EEEEDaS1P_S1Q_EUlS1P_E_NS1_11comp_targetILNS1_3genE10ELNS1_11target_archE1200ELNS1_3gpuE4ELNS1_3repE0EEENS1_30default_config_static_selectorELNS0_4arch9wavefront6targetE0EEEvS12_
		.amdhsa_group_segment_fixed_size 0
		.amdhsa_private_segment_fixed_size 0
		.amdhsa_kernarg_size 184
		.amdhsa_user_sgpr_count 2
		.amdhsa_user_sgpr_dispatch_ptr 0
		.amdhsa_user_sgpr_queue_ptr 0
		.amdhsa_user_sgpr_kernarg_segment_ptr 1
		.amdhsa_user_sgpr_dispatch_id 0
		.amdhsa_user_sgpr_kernarg_preload_length 0
		.amdhsa_user_sgpr_kernarg_preload_offset 0
		.amdhsa_user_sgpr_private_segment_size 0
		.amdhsa_wavefront_size32 1
		.amdhsa_uses_dynamic_stack 0
		.amdhsa_enable_private_segment 0
		.amdhsa_system_sgpr_workgroup_id_x 1
		.amdhsa_system_sgpr_workgroup_id_y 0
		.amdhsa_system_sgpr_workgroup_id_z 0
		.amdhsa_system_sgpr_workgroup_info 0
		.amdhsa_system_vgpr_workitem_id 0
		.amdhsa_next_free_vgpr 1
		.amdhsa_next_free_sgpr 1
		.amdhsa_named_barrier_count 0
		.amdhsa_reserve_vcc 0
		.amdhsa_float_round_mode_32 0
		.amdhsa_float_round_mode_16_64 0
		.amdhsa_float_denorm_mode_32 3
		.amdhsa_float_denorm_mode_16_64 3
		.amdhsa_fp16_overflow 0
		.amdhsa_memory_ordered 1
		.amdhsa_forward_progress 1
		.amdhsa_inst_pref_size 0
		.amdhsa_round_robin_scheduling 0
		.amdhsa_exception_fp_ieee_invalid_op 0
		.amdhsa_exception_fp_denorm_src 0
		.amdhsa_exception_fp_ieee_div_zero 0
		.amdhsa_exception_fp_ieee_overflow 0
		.amdhsa_exception_fp_ieee_underflow 0
		.amdhsa_exception_fp_ieee_inexact 0
		.amdhsa_exception_int_div_zero 0
	.end_amdhsa_kernel
	.section	.text._ZN7rocprim17ROCPRIM_400000_NS6detail17trampoline_kernelINS0_13select_configILj256ELj13ELNS0_17block_load_methodE3ELS4_3ELS4_3ELNS0_20block_scan_algorithmE0ELj4294967295EEENS1_25partition_config_selectorILNS1_17partition_subalgoE4EjNS0_10empty_typeEbEEZZNS1_14partition_implILS8_4ELb0ES6_15HIP_vector_typeIjLj2EENS0_17counting_iteratorIjlEEPS9_SG_NS0_5tupleIJPjSI_NS0_16reverse_iteratorISI_EEEEENSH_IJSG_SG_SG_EEES9_SI_JZNS1_25segmented_radix_sort_implINS0_14default_configELb1EPKsPsPKlPlN2at6native12_GLOBAL__N_18offset_tEEE10hipError_tPvRmT1_PNSt15iterator_traitsIS12_E10value_typeET2_T3_PNS13_IS18_E10value_typeET4_jRbjT5_S1E_jjP12ihipStream_tbEUljE_ZNSN_ISO_Lb1ESQ_SR_ST_SU_SY_EESZ_S10_S11_S12_S16_S17_S18_S1B_S1C_jS1D_jS1E_S1E_jjS1G_bEUljE0_EEESZ_S10_S11_S18_S1C_S1E_T6_T7_T9_mT8_S1G_bDpT10_ENKUlT_T0_E_clISt17integral_constantIbLb0EES1T_IbLb1EEEEDaS1P_S1Q_EUlS1P_E_NS1_11comp_targetILNS1_3genE10ELNS1_11target_archE1200ELNS1_3gpuE4ELNS1_3repE0EEENS1_30default_config_static_selectorELNS0_4arch9wavefront6targetE0EEEvS12_,"axG",@progbits,_ZN7rocprim17ROCPRIM_400000_NS6detail17trampoline_kernelINS0_13select_configILj256ELj13ELNS0_17block_load_methodE3ELS4_3ELS4_3ELNS0_20block_scan_algorithmE0ELj4294967295EEENS1_25partition_config_selectorILNS1_17partition_subalgoE4EjNS0_10empty_typeEbEEZZNS1_14partition_implILS8_4ELb0ES6_15HIP_vector_typeIjLj2EENS0_17counting_iteratorIjlEEPS9_SG_NS0_5tupleIJPjSI_NS0_16reverse_iteratorISI_EEEEENSH_IJSG_SG_SG_EEES9_SI_JZNS1_25segmented_radix_sort_implINS0_14default_configELb1EPKsPsPKlPlN2at6native12_GLOBAL__N_18offset_tEEE10hipError_tPvRmT1_PNSt15iterator_traitsIS12_E10value_typeET2_T3_PNS13_IS18_E10value_typeET4_jRbjT5_S1E_jjP12ihipStream_tbEUljE_ZNSN_ISO_Lb1ESQ_SR_ST_SU_SY_EESZ_S10_S11_S12_S16_S17_S18_S1B_S1C_jS1D_jS1E_S1E_jjS1G_bEUljE0_EEESZ_S10_S11_S18_S1C_S1E_T6_T7_T9_mT8_S1G_bDpT10_ENKUlT_T0_E_clISt17integral_constantIbLb0EES1T_IbLb1EEEEDaS1P_S1Q_EUlS1P_E_NS1_11comp_targetILNS1_3genE10ELNS1_11target_archE1200ELNS1_3gpuE4ELNS1_3repE0EEENS1_30default_config_static_selectorELNS0_4arch9wavefront6targetE0EEEvS12_,comdat
.Lfunc_end872:
	.size	_ZN7rocprim17ROCPRIM_400000_NS6detail17trampoline_kernelINS0_13select_configILj256ELj13ELNS0_17block_load_methodE3ELS4_3ELS4_3ELNS0_20block_scan_algorithmE0ELj4294967295EEENS1_25partition_config_selectorILNS1_17partition_subalgoE4EjNS0_10empty_typeEbEEZZNS1_14partition_implILS8_4ELb0ES6_15HIP_vector_typeIjLj2EENS0_17counting_iteratorIjlEEPS9_SG_NS0_5tupleIJPjSI_NS0_16reverse_iteratorISI_EEEEENSH_IJSG_SG_SG_EEES9_SI_JZNS1_25segmented_radix_sort_implINS0_14default_configELb1EPKsPsPKlPlN2at6native12_GLOBAL__N_18offset_tEEE10hipError_tPvRmT1_PNSt15iterator_traitsIS12_E10value_typeET2_T3_PNS13_IS18_E10value_typeET4_jRbjT5_S1E_jjP12ihipStream_tbEUljE_ZNSN_ISO_Lb1ESQ_SR_ST_SU_SY_EESZ_S10_S11_S12_S16_S17_S18_S1B_S1C_jS1D_jS1E_S1E_jjS1G_bEUljE0_EEESZ_S10_S11_S18_S1C_S1E_T6_T7_T9_mT8_S1G_bDpT10_ENKUlT_T0_E_clISt17integral_constantIbLb0EES1T_IbLb1EEEEDaS1P_S1Q_EUlS1P_E_NS1_11comp_targetILNS1_3genE10ELNS1_11target_archE1200ELNS1_3gpuE4ELNS1_3repE0EEENS1_30default_config_static_selectorELNS0_4arch9wavefront6targetE0EEEvS12_, .Lfunc_end872-_ZN7rocprim17ROCPRIM_400000_NS6detail17trampoline_kernelINS0_13select_configILj256ELj13ELNS0_17block_load_methodE3ELS4_3ELS4_3ELNS0_20block_scan_algorithmE0ELj4294967295EEENS1_25partition_config_selectorILNS1_17partition_subalgoE4EjNS0_10empty_typeEbEEZZNS1_14partition_implILS8_4ELb0ES6_15HIP_vector_typeIjLj2EENS0_17counting_iteratorIjlEEPS9_SG_NS0_5tupleIJPjSI_NS0_16reverse_iteratorISI_EEEEENSH_IJSG_SG_SG_EEES9_SI_JZNS1_25segmented_radix_sort_implINS0_14default_configELb1EPKsPsPKlPlN2at6native12_GLOBAL__N_18offset_tEEE10hipError_tPvRmT1_PNSt15iterator_traitsIS12_E10value_typeET2_T3_PNS13_IS18_E10value_typeET4_jRbjT5_S1E_jjP12ihipStream_tbEUljE_ZNSN_ISO_Lb1ESQ_SR_ST_SU_SY_EESZ_S10_S11_S12_S16_S17_S18_S1B_S1C_jS1D_jS1E_S1E_jjS1G_bEUljE0_EEESZ_S10_S11_S18_S1C_S1E_T6_T7_T9_mT8_S1G_bDpT10_ENKUlT_T0_E_clISt17integral_constantIbLb0EES1T_IbLb1EEEEDaS1P_S1Q_EUlS1P_E_NS1_11comp_targetILNS1_3genE10ELNS1_11target_archE1200ELNS1_3gpuE4ELNS1_3repE0EEENS1_30default_config_static_selectorELNS0_4arch9wavefront6targetE0EEEvS12_
                                        ; -- End function
	.set _ZN7rocprim17ROCPRIM_400000_NS6detail17trampoline_kernelINS0_13select_configILj256ELj13ELNS0_17block_load_methodE3ELS4_3ELS4_3ELNS0_20block_scan_algorithmE0ELj4294967295EEENS1_25partition_config_selectorILNS1_17partition_subalgoE4EjNS0_10empty_typeEbEEZZNS1_14partition_implILS8_4ELb0ES6_15HIP_vector_typeIjLj2EENS0_17counting_iteratorIjlEEPS9_SG_NS0_5tupleIJPjSI_NS0_16reverse_iteratorISI_EEEEENSH_IJSG_SG_SG_EEES9_SI_JZNS1_25segmented_radix_sort_implINS0_14default_configELb1EPKsPsPKlPlN2at6native12_GLOBAL__N_18offset_tEEE10hipError_tPvRmT1_PNSt15iterator_traitsIS12_E10value_typeET2_T3_PNS13_IS18_E10value_typeET4_jRbjT5_S1E_jjP12ihipStream_tbEUljE_ZNSN_ISO_Lb1ESQ_SR_ST_SU_SY_EESZ_S10_S11_S12_S16_S17_S18_S1B_S1C_jS1D_jS1E_S1E_jjS1G_bEUljE0_EEESZ_S10_S11_S18_S1C_S1E_T6_T7_T9_mT8_S1G_bDpT10_ENKUlT_T0_E_clISt17integral_constantIbLb0EES1T_IbLb1EEEEDaS1P_S1Q_EUlS1P_E_NS1_11comp_targetILNS1_3genE10ELNS1_11target_archE1200ELNS1_3gpuE4ELNS1_3repE0EEENS1_30default_config_static_selectorELNS0_4arch9wavefront6targetE0EEEvS12_.num_vgpr, 0
	.set _ZN7rocprim17ROCPRIM_400000_NS6detail17trampoline_kernelINS0_13select_configILj256ELj13ELNS0_17block_load_methodE3ELS4_3ELS4_3ELNS0_20block_scan_algorithmE0ELj4294967295EEENS1_25partition_config_selectorILNS1_17partition_subalgoE4EjNS0_10empty_typeEbEEZZNS1_14partition_implILS8_4ELb0ES6_15HIP_vector_typeIjLj2EENS0_17counting_iteratorIjlEEPS9_SG_NS0_5tupleIJPjSI_NS0_16reverse_iteratorISI_EEEEENSH_IJSG_SG_SG_EEES9_SI_JZNS1_25segmented_radix_sort_implINS0_14default_configELb1EPKsPsPKlPlN2at6native12_GLOBAL__N_18offset_tEEE10hipError_tPvRmT1_PNSt15iterator_traitsIS12_E10value_typeET2_T3_PNS13_IS18_E10value_typeET4_jRbjT5_S1E_jjP12ihipStream_tbEUljE_ZNSN_ISO_Lb1ESQ_SR_ST_SU_SY_EESZ_S10_S11_S12_S16_S17_S18_S1B_S1C_jS1D_jS1E_S1E_jjS1G_bEUljE0_EEESZ_S10_S11_S18_S1C_S1E_T6_T7_T9_mT8_S1G_bDpT10_ENKUlT_T0_E_clISt17integral_constantIbLb0EES1T_IbLb1EEEEDaS1P_S1Q_EUlS1P_E_NS1_11comp_targetILNS1_3genE10ELNS1_11target_archE1200ELNS1_3gpuE4ELNS1_3repE0EEENS1_30default_config_static_selectorELNS0_4arch9wavefront6targetE0EEEvS12_.num_agpr, 0
	.set _ZN7rocprim17ROCPRIM_400000_NS6detail17trampoline_kernelINS0_13select_configILj256ELj13ELNS0_17block_load_methodE3ELS4_3ELS4_3ELNS0_20block_scan_algorithmE0ELj4294967295EEENS1_25partition_config_selectorILNS1_17partition_subalgoE4EjNS0_10empty_typeEbEEZZNS1_14partition_implILS8_4ELb0ES6_15HIP_vector_typeIjLj2EENS0_17counting_iteratorIjlEEPS9_SG_NS0_5tupleIJPjSI_NS0_16reverse_iteratorISI_EEEEENSH_IJSG_SG_SG_EEES9_SI_JZNS1_25segmented_radix_sort_implINS0_14default_configELb1EPKsPsPKlPlN2at6native12_GLOBAL__N_18offset_tEEE10hipError_tPvRmT1_PNSt15iterator_traitsIS12_E10value_typeET2_T3_PNS13_IS18_E10value_typeET4_jRbjT5_S1E_jjP12ihipStream_tbEUljE_ZNSN_ISO_Lb1ESQ_SR_ST_SU_SY_EESZ_S10_S11_S12_S16_S17_S18_S1B_S1C_jS1D_jS1E_S1E_jjS1G_bEUljE0_EEESZ_S10_S11_S18_S1C_S1E_T6_T7_T9_mT8_S1G_bDpT10_ENKUlT_T0_E_clISt17integral_constantIbLb0EES1T_IbLb1EEEEDaS1P_S1Q_EUlS1P_E_NS1_11comp_targetILNS1_3genE10ELNS1_11target_archE1200ELNS1_3gpuE4ELNS1_3repE0EEENS1_30default_config_static_selectorELNS0_4arch9wavefront6targetE0EEEvS12_.numbered_sgpr, 0
	.set _ZN7rocprim17ROCPRIM_400000_NS6detail17trampoline_kernelINS0_13select_configILj256ELj13ELNS0_17block_load_methodE3ELS4_3ELS4_3ELNS0_20block_scan_algorithmE0ELj4294967295EEENS1_25partition_config_selectorILNS1_17partition_subalgoE4EjNS0_10empty_typeEbEEZZNS1_14partition_implILS8_4ELb0ES6_15HIP_vector_typeIjLj2EENS0_17counting_iteratorIjlEEPS9_SG_NS0_5tupleIJPjSI_NS0_16reverse_iteratorISI_EEEEENSH_IJSG_SG_SG_EEES9_SI_JZNS1_25segmented_radix_sort_implINS0_14default_configELb1EPKsPsPKlPlN2at6native12_GLOBAL__N_18offset_tEEE10hipError_tPvRmT1_PNSt15iterator_traitsIS12_E10value_typeET2_T3_PNS13_IS18_E10value_typeET4_jRbjT5_S1E_jjP12ihipStream_tbEUljE_ZNSN_ISO_Lb1ESQ_SR_ST_SU_SY_EESZ_S10_S11_S12_S16_S17_S18_S1B_S1C_jS1D_jS1E_S1E_jjS1G_bEUljE0_EEESZ_S10_S11_S18_S1C_S1E_T6_T7_T9_mT8_S1G_bDpT10_ENKUlT_T0_E_clISt17integral_constantIbLb0EES1T_IbLb1EEEEDaS1P_S1Q_EUlS1P_E_NS1_11comp_targetILNS1_3genE10ELNS1_11target_archE1200ELNS1_3gpuE4ELNS1_3repE0EEENS1_30default_config_static_selectorELNS0_4arch9wavefront6targetE0EEEvS12_.num_named_barrier, 0
	.set _ZN7rocprim17ROCPRIM_400000_NS6detail17trampoline_kernelINS0_13select_configILj256ELj13ELNS0_17block_load_methodE3ELS4_3ELS4_3ELNS0_20block_scan_algorithmE0ELj4294967295EEENS1_25partition_config_selectorILNS1_17partition_subalgoE4EjNS0_10empty_typeEbEEZZNS1_14partition_implILS8_4ELb0ES6_15HIP_vector_typeIjLj2EENS0_17counting_iteratorIjlEEPS9_SG_NS0_5tupleIJPjSI_NS0_16reverse_iteratorISI_EEEEENSH_IJSG_SG_SG_EEES9_SI_JZNS1_25segmented_radix_sort_implINS0_14default_configELb1EPKsPsPKlPlN2at6native12_GLOBAL__N_18offset_tEEE10hipError_tPvRmT1_PNSt15iterator_traitsIS12_E10value_typeET2_T3_PNS13_IS18_E10value_typeET4_jRbjT5_S1E_jjP12ihipStream_tbEUljE_ZNSN_ISO_Lb1ESQ_SR_ST_SU_SY_EESZ_S10_S11_S12_S16_S17_S18_S1B_S1C_jS1D_jS1E_S1E_jjS1G_bEUljE0_EEESZ_S10_S11_S18_S1C_S1E_T6_T7_T9_mT8_S1G_bDpT10_ENKUlT_T0_E_clISt17integral_constantIbLb0EES1T_IbLb1EEEEDaS1P_S1Q_EUlS1P_E_NS1_11comp_targetILNS1_3genE10ELNS1_11target_archE1200ELNS1_3gpuE4ELNS1_3repE0EEENS1_30default_config_static_selectorELNS0_4arch9wavefront6targetE0EEEvS12_.private_seg_size, 0
	.set _ZN7rocprim17ROCPRIM_400000_NS6detail17trampoline_kernelINS0_13select_configILj256ELj13ELNS0_17block_load_methodE3ELS4_3ELS4_3ELNS0_20block_scan_algorithmE0ELj4294967295EEENS1_25partition_config_selectorILNS1_17partition_subalgoE4EjNS0_10empty_typeEbEEZZNS1_14partition_implILS8_4ELb0ES6_15HIP_vector_typeIjLj2EENS0_17counting_iteratorIjlEEPS9_SG_NS0_5tupleIJPjSI_NS0_16reverse_iteratorISI_EEEEENSH_IJSG_SG_SG_EEES9_SI_JZNS1_25segmented_radix_sort_implINS0_14default_configELb1EPKsPsPKlPlN2at6native12_GLOBAL__N_18offset_tEEE10hipError_tPvRmT1_PNSt15iterator_traitsIS12_E10value_typeET2_T3_PNS13_IS18_E10value_typeET4_jRbjT5_S1E_jjP12ihipStream_tbEUljE_ZNSN_ISO_Lb1ESQ_SR_ST_SU_SY_EESZ_S10_S11_S12_S16_S17_S18_S1B_S1C_jS1D_jS1E_S1E_jjS1G_bEUljE0_EEESZ_S10_S11_S18_S1C_S1E_T6_T7_T9_mT8_S1G_bDpT10_ENKUlT_T0_E_clISt17integral_constantIbLb0EES1T_IbLb1EEEEDaS1P_S1Q_EUlS1P_E_NS1_11comp_targetILNS1_3genE10ELNS1_11target_archE1200ELNS1_3gpuE4ELNS1_3repE0EEENS1_30default_config_static_selectorELNS0_4arch9wavefront6targetE0EEEvS12_.uses_vcc, 0
	.set _ZN7rocprim17ROCPRIM_400000_NS6detail17trampoline_kernelINS0_13select_configILj256ELj13ELNS0_17block_load_methodE3ELS4_3ELS4_3ELNS0_20block_scan_algorithmE0ELj4294967295EEENS1_25partition_config_selectorILNS1_17partition_subalgoE4EjNS0_10empty_typeEbEEZZNS1_14partition_implILS8_4ELb0ES6_15HIP_vector_typeIjLj2EENS0_17counting_iteratorIjlEEPS9_SG_NS0_5tupleIJPjSI_NS0_16reverse_iteratorISI_EEEEENSH_IJSG_SG_SG_EEES9_SI_JZNS1_25segmented_radix_sort_implINS0_14default_configELb1EPKsPsPKlPlN2at6native12_GLOBAL__N_18offset_tEEE10hipError_tPvRmT1_PNSt15iterator_traitsIS12_E10value_typeET2_T3_PNS13_IS18_E10value_typeET4_jRbjT5_S1E_jjP12ihipStream_tbEUljE_ZNSN_ISO_Lb1ESQ_SR_ST_SU_SY_EESZ_S10_S11_S12_S16_S17_S18_S1B_S1C_jS1D_jS1E_S1E_jjS1G_bEUljE0_EEESZ_S10_S11_S18_S1C_S1E_T6_T7_T9_mT8_S1G_bDpT10_ENKUlT_T0_E_clISt17integral_constantIbLb0EES1T_IbLb1EEEEDaS1P_S1Q_EUlS1P_E_NS1_11comp_targetILNS1_3genE10ELNS1_11target_archE1200ELNS1_3gpuE4ELNS1_3repE0EEENS1_30default_config_static_selectorELNS0_4arch9wavefront6targetE0EEEvS12_.uses_flat_scratch, 0
	.set _ZN7rocprim17ROCPRIM_400000_NS6detail17trampoline_kernelINS0_13select_configILj256ELj13ELNS0_17block_load_methodE3ELS4_3ELS4_3ELNS0_20block_scan_algorithmE0ELj4294967295EEENS1_25partition_config_selectorILNS1_17partition_subalgoE4EjNS0_10empty_typeEbEEZZNS1_14partition_implILS8_4ELb0ES6_15HIP_vector_typeIjLj2EENS0_17counting_iteratorIjlEEPS9_SG_NS0_5tupleIJPjSI_NS0_16reverse_iteratorISI_EEEEENSH_IJSG_SG_SG_EEES9_SI_JZNS1_25segmented_radix_sort_implINS0_14default_configELb1EPKsPsPKlPlN2at6native12_GLOBAL__N_18offset_tEEE10hipError_tPvRmT1_PNSt15iterator_traitsIS12_E10value_typeET2_T3_PNS13_IS18_E10value_typeET4_jRbjT5_S1E_jjP12ihipStream_tbEUljE_ZNSN_ISO_Lb1ESQ_SR_ST_SU_SY_EESZ_S10_S11_S12_S16_S17_S18_S1B_S1C_jS1D_jS1E_S1E_jjS1G_bEUljE0_EEESZ_S10_S11_S18_S1C_S1E_T6_T7_T9_mT8_S1G_bDpT10_ENKUlT_T0_E_clISt17integral_constantIbLb0EES1T_IbLb1EEEEDaS1P_S1Q_EUlS1P_E_NS1_11comp_targetILNS1_3genE10ELNS1_11target_archE1200ELNS1_3gpuE4ELNS1_3repE0EEENS1_30default_config_static_selectorELNS0_4arch9wavefront6targetE0EEEvS12_.has_dyn_sized_stack, 0
	.set _ZN7rocprim17ROCPRIM_400000_NS6detail17trampoline_kernelINS0_13select_configILj256ELj13ELNS0_17block_load_methodE3ELS4_3ELS4_3ELNS0_20block_scan_algorithmE0ELj4294967295EEENS1_25partition_config_selectorILNS1_17partition_subalgoE4EjNS0_10empty_typeEbEEZZNS1_14partition_implILS8_4ELb0ES6_15HIP_vector_typeIjLj2EENS0_17counting_iteratorIjlEEPS9_SG_NS0_5tupleIJPjSI_NS0_16reverse_iteratorISI_EEEEENSH_IJSG_SG_SG_EEES9_SI_JZNS1_25segmented_radix_sort_implINS0_14default_configELb1EPKsPsPKlPlN2at6native12_GLOBAL__N_18offset_tEEE10hipError_tPvRmT1_PNSt15iterator_traitsIS12_E10value_typeET2_T3_PNS13_IS18_E10value_typeET4_jRbjT5_S1E_jjP12ihipStream_tbEUljE_ZNSN_ISO_Lb1ESQ_SR_ST_SU_SY_EESZ_S10_S11_S12_S16_S17_S18_S1B_S1C_jS1D_jS1E_S1E_jjS1G_bEUljE0_EEESZ_S10_S11_S18_S1C_S1E_T6_T7_T9_mT8_S1G_bDpT10_ENKUlT_T0_E_clISt17integral_constantIbLb0EES1T_IbLb1EEEEDaS1P_S1Q_EUlS1P_E_NS1_11comp_targetILNS1_3genE10ELNS1_11target_archE1200ELNS1_3gpuE4ELNS1_3repE0EEENS1_30default_config_static_selectorELNS0_4arch9wavefront6targetE0EEEvS12_.has_recursion, 0
	.set _ZN7rocprim17ROCPRIM_400000_NS6detail17trampoline_kernelINS0_13select_configILj256ELj13ELNS0_17block_load_methodE3ELS4_3ELS4_3ELNS0_20block_scan_algorithmE0ELj4294967295EEENS1_25partition_config_selectorILNS1_17partition_subalgoE4EjNS0_10empty_typeEbEEZZNS1_14partition_implILS8_4ELb0ES6_15HIP_vector_typeIjLj2EENS0_17counting_iteratorIjlEEPS9_SG_NS0_5tupleIJPjSI_NS0_16reverse_iteratorISI_EEEEENSH_IJSG_SG_SG_EEES9_SI_JZNS1_25segmented_radix_sort_implINS0_14default_configELb1EPKsPsPKlPlN2at6native12_GLOBAL__N_18offset_tEEE10hipError_tPvRmT1_PNSt15iterator_traitsIS12_E10value_typeET2_T3_PNS13_IS18_E10value_typeET4_jRbjT5_S1E_jjP12ihipStream_tbEUljE_ZNSN_ISO_Lb1ESQ_SR_ST_SU_SY_EESZ_S10_S11_S12_S16_S17_S18_S1B_S1C_jS1D_jS1E_S1E_jjS1G_bEUljE0_EEESZ_S10_S11_S18_S1C_S1E_T6_T7_T9_mT8_S1G_bDpT10_ENKUlT_T0_E_clISt17integral_constantIbLb0EES1T_IbLb1EEEEDaS1P_S1Q_EUlS1P_E_NS1_11comp_targetILNS1_3genE10ELNS1_11target_archE1200ELNS1_3gpuE4ELNS1_3repE0EEENS1_30default_config_static_selectorELNS0_4arch9wavefront6targetE0EEEvS12_.has_indirect_call, 0
	.section	.AMDGPU.csdata,"",@progbits
; Kernel info:
; codeLenInByte = 0
; TotalNumSgprs: 0
; NumVgprs: 0
; ScratchSize: 0
; MemoryBound: 0
; FloatMode: 240
; IeeeMode: 1
; LDSByteSize: 0 bytes/workgroup (compile time only)
; SGPRBlocks: 0
; VGPRBlocks: 0
; NumSGPRsForWavesPerEU: 1
; NumVGPRsForWavesPerEU: 1
; NamedBarCnt: 0
; Occupancy: 16
; WaveLimiterHint : 0
; COMPUTE_PGM_RSRC2:SCRATCH_EN: 0
; COMPUTE_PGM_RSRC2:USER_SGPR: 2
; COMPUTE_PGM_RSRC2:TRAP_HANDLER: 0
; COMPUTE_PGM_RSRC2:TGID_X_EN: 1
; COMPUTE_PGM_RSRC2:TGID_Y_EN: 0
; COMPUTE_PGM_RSRC2:TGID_Z_EN: 0
; COMPUTE_PGM_RSRC2:TIDIG_COMP_CNT: 0
	.section	.text._ZN7rocprim17ROCPRIM_400000_NS6detail17trampoline_kernelINS0_13select_configILj256ELj13ELNS0_17block_load_methodE3ELS4_3ELS4_3ELNS0_20block_scan_algorithmE0ELj4294967295EEENS1_25partition_config_selectorILNS1_17partition_subalgoE4EjNS0_10empty_typeEbEEZZNS1_14partition_implILS8_4ELb0ES6_15HIP_vector_typeIjLj2EENS0_17counting_iteratorIjlEEPS9_SG_NS0_5tupleIJPjSI_NS0_16reverse_iteratorISI_EEEEENSH_IJSG_SG_SG_EEES9_SI_JZNS1_25segmented_radix_sort_implINS0_14default_configELb1EPKsPsPKlPlN2at6native12_GLOBAL__N_18offset_tEEE10hipError_tPvRmT1_PNSt15iterator_traitsIS12_E10value_typeET2_T3_PNS13_IS18_E10value_typeET4_jRbjT5_S1E_jjP12ihipStream_tbEUljE_ZNSN_ISO_Lb1ESQ_SR_ST_SU_SY_EESZ_S10_S11_S12_S16_S17_S18_S1B_S1C_jS1D_jS1E_S1E_jjS1G_bEUljE0_EEESZ_S10_S11_S18_S1C_S1E_T6_T7_T9_mT8_S1G_bDpT10_ENKUlT_T0_E_clISt17integral_constantIbLb0EES1T_IbLb1EEEEDaS1P_S1Q_EUlS1P_E_NS1_11comp_targetILNS1_3genE9ELNS1_11target_archE1100ELNS1_3gpuE3ELNS1_3repE0EEENS1_30default_config_static_selectorELNS0_4arch9wavefront6targetE0EEEvS12_,"axG",@progbits,_ZN7rocprim17ROCPRIM_400000_NS6detail17trampoline_kernelINS0_13select_configILj256ELj13ELNS0_17block_load_methodE3ELS4_3ELS4_3ELNS0_20block_scan_algorithmE0ELj4294967295EEENS1_25partition_config_selectorILNS1_17partition_subalgoE4EjNS0_10empty_typeEbEEZZNS1_14partition_implILS8_4ELb0ES6_15HIP_vector_typeIjLj2EENS0_17counting_iteratorIjlEEPS9_SG_NS0_5tupleIJPjSI_NS0_16reverse_iteratorISI_EEEEENSH_IJSG_SG_SG_EEES9_SI_JZNS1_25segmented_radix_sort_implINS0_14default_configELb1EPKsPsPKlPlN2at6native12_GLOBAL__N_18offset_tEEE10hipError_tPvRmT1_PNSt15iterator_traitsIS12_E10value_typeET2_T3_PNS13_IS18_E10value_typeET4_jRbjT5_S1E_jjP12ihipStream_tbEUljE_ZNSN_ISO_Lb1ESQ_SR_ST_SU_SY_EESZ_S10_S11_S12_S16_S17_S18_S1B_S1C_jS1D_jS1E_S1E_jjS1G_bEUljE0_EEESZ_S10_S11_S18_S1C_S1E_T6_T7_T9_mT8_S1G_bDpT10_ENKUlT_T0_E_clISt17integral_constantIbLb0EES1T_IbLb1EEEEDaS1P_S1Q_EUlS1P_E_NS1_11comp_targetILNS1_3genE9ELNS1_11target_archE1100ELNS1_3gpuE3ELNS1_3repE0EEENS1_30default_config_static_selectorELNS0_4arch9wavefront6targetE0EEEvS12_,comdat
	.globl	_ZN7rocprim17ROCPRIM_400000_NS6detail17trampoline_kernelINS0_13select_configILj256ELj13ELNS0_17block_load_methodE3ELS4_3ELS4_3ELNS0_20block_scan_algorithmE0ELj4294967295EEENS1_25partition_config_selectorILNS1_17partition_subalgoE4EjNS0_10empty_typeEbEEZZNS1_14partition_implILS8_4ELb0ES6_15HIP_vector_typeIjLj2EENS0_17counting_iteratorIjlEEPS9_SG_NS0_5tupleIJPjSI_NS0_16reverse_iteratorISI_EEEEENSH_IJSG_SG_SG_EEES9_SI_JZNS1_25segmented_radix_sort_implINS0_14default_configELb1EPKsPsPKlPlN2at6native12_GLOBAL__N_18offset_tEEE10hipError_tPvRmT1_PNSt15iterator_traitsIS12_E10value_typeET2_T3_PNS13_IS18_E10value_typeET4_jRbjT5_S1E_jjP12ihipStream_tbEUljE_ZNSN_ISO_Lb1ESQ_SR_ST_SU_SY_EESZ_S10_S11_S12_S16_S17_S18_S1B_S1C_jS1D_jS1E_S1E_jjS1G_bEUljE0_EEESZ_S10_S11_S18_S1C_S1E_T6_T7_T9_mT8_S1G_bDpT10_ENKUlT_T0_E_clISt17integral_constantIbLb0EES1T_IbLb1EEEEDaS1P_S1Q_EUlS1P_E_NS1_11comp_targetILNS1_3genE9ELNS1_11target_archE1100ELNS1_3gpuE3ELNS1_3repE0EEENS1_30default_config_static_selectorELNS0_4arch9wavefront6targetE0EEEvS12_ ; -- Begin function _ZN7rocprim17ROCPRIM_400000_NS6detail17trampoline_kernelINS0_13select_configILj256ELj13ELNS0_17block_load_methodE3ELS4_3ELS4_3ELNS0_20block_scan_algorithmE0ELj4294967295EEENS1_25partition_config_selectorILNS1_17partition_subalgoE4EjNS0_10empty_typeEbEEZZNS1_14partition_implILS8_4ELb0ES6_15HIP_vector_typeIjLj2EENS0_17counting_iteratorIjlEEPS9_SG_NS0_5tupleIJPjSI_NS0_16reverse_iteratorISI_EEEEENSH_IJSG_SG_SG_EEES9_SI_JZNS1_25segmented_radix_sort_implINS0_14default_configELb1EPKsPsPKlPlN2at6native12_GLOBAL__N_18offset_tEEE10hipError_tPvRmT1_PNSt15iterator_traitsIS12_E10value_typeET2_T3_PNS13_IS18_E10value_typeET4_jRbjT5_S1E_jjP12ihipStream_tbEUljE_ZNSN_ISO_Lb1ESQ_SR_ST_SU_SY_EESZ_S10_S11_S12_S16_S17_S18_S1B_S1C_jS1D_jS1E_S1E_jjS1G_bEUljE0_EEESZ_S10_S11_S18_S1C_S1E_T6_T7_T9_mT8_S1G_bDpT10_ENKUlT_T0_E_clISt17integral_constantIbLb0EES1T_IbLb1EEEEDaS1P_S1Q_EUlS1P_E_NS1_11comp_targetILNS1_3genE9ELNS1_11target_archE1100ELNS1_3gpuE3ELNS1_3repE0EEENS1_30default_config_static_selectorELNS0_4arch9wavefront6targetE0EEEvS12_
	.p2align	8
	.type	_ZN7rocprim17ROCPRIM_400000_NS6detail17trampoline_kernelINS0_13select_configILj256ELj13ELNS0_17block_load_methodE3ELS4_3ELS4_3ELNS0_20block_scan_algorithmE0ELj4294967295EEENS1_25partition_config_selectorILNS1_17partition_subalgoE4EjNS0_10empty_typeEbEEZZNS1_14partition_implILS8_4ELb0ES6_15HIP_vector_typeIjLj2EENS0_17counting_iteratorIjlEEPS9_SG_NS0_5tupleIJPjSI_NS0_16reverse_iteratorISI_EEEEENSH_IJSG_SG_SG_EEES9_SI_JZNS1_25segmented_radix_sort_implINS0_14default_configELb1EPKsPsPKlPlN2at6native12_GLOBAL__N_18offset_tEEE10hipError_tPvRmT1_PNSt15iterator_traitsIS12_E10value_typeET2_T3_PNS13_IS18_E10value_typeET4_jRbjT5_S1E_jjP12ihipStream_tbEUljE_ZNSN_ISO_Lb1ESQ_SR_ST_SU_SY_EESZ_S10_S11_S12_S16_S17_S18_S1B_S1C_jS1D_jS1E_S1E_jjS1G_bEUljE0_EEESZ_S10_S11_S18_S1C_S1E_T6_T7_T9_mT8_S1G_bDpT10_ENKUlT_T0_E_clISt17integral_constantIbLb0EES1T_IbLb1EEEEDaS1P_S1Q_EUlS1P_E_NS1_11comp_targetILNS1_3genE9ELNS1_11target_archE1100ELNS1_3gpuE3ELNS1_3repE0EEENS1_30default_config_static_selectorELNS0_4arch9wavefront6targetE0EEEvS12_,@function
_ZN7rocprim17ROCPRIM_400000_NS6detail17trampoline_kernelINS0_13select_configILj256ELj13ELNS0_17block_load_methodE3ELS4_3ELS4_3ELNS0_20block_scan_algorithmE0ELj4294967295EEENS1_25partition_config_selectorILNS1_17partition_subalgoE4EjNS0_10empty_typeEbEEZZNS1_14partition_implILS8_4ELb0ES6_15HIP_vector_typeIjLj2EENS0_17counting_iteratorIjlEEPS9_SG_NS0_5tupleIJPjSI_NS0_16reverse_iteratorISI_EEEEENSH_IJSG_SG_SG_EEES9_SI_JZNS1_25segmented_radix_sort_implINS0_14default_configELb1EPKsPsPKlPlN2at6native12_GLOBAL__N_18offset_tEEE10hipError_tPvRmT1_PNSt15iterator_traitsIS12_E10value_typeET2_T3_PNS13_IS18_E10value_typeET4_jRbjT5_S1E_jjP12ihipStream_tbEUljE_ZNSN_ISO_Lb1ESQ_SR_ST_SU_SY_EESZ_S10_S11_S12_S16_S17_S18_S1B_S1C_jS1D_jS1E_S1E_jjS1G_bEUljE0_EEESZ_S10_S11_S18_S1C_S1E_T6_T7_T9_mT8_S1G_bDpT10_ENKUlT_T0_E_clISt17integral_constantIbLb0EES1T_IbLb1EEEEDaS1P_S1Q_EUlS1P_E_NS1_11comp_targetILNS1_3genE9ELNS1_11target_archE1100ELNS1_3gpuE3ELNS1_3repE0EEENS1_30default_config_static_selectorELNS0_4arch9wavefront6targetE0EEEvS12_: ; @_ZN7rocprim17ROCPRIM_400000_NS6detail17trampoline_kernelINS0_13select_configILj256ELj13ELNS0_17block_load_methodE3ELS4_3ELS4_3ELNS0_20block_scan_algorithmE0ELj4294967295EEENS1_25partition_config_selectorILNS1_17partition_subalgoE4EjNS0_10empty_typeEbEEZZNS1_14partition_implILS8_4ELb0ES6_15HIP_vector_typeIjLj2EENS0_17counting_iteratorIjlEEPS9_SG_NS0_5tupleIJPjSI_NS0_16reverse_iteratorISI_EEEEENSH_IJSG_SG_SG_EEES9_SI_JZNS1_25segmented_radix_sort_implINS0_14default_configELb1EPKsPsPKlPlN2at6native12_GLOBAL__N_18offset_tEEE10hipError_tPvRmT1_PNSt15iterator_traitsIS12_E10value_typeET2_T3_PNS13_IS18_E10value_typeET4_jRbjT5_S1E_jjP12ihipStream_tbEUljE_ZNSN_ISO_Lb1ESQ_SR_ST_SU_SY_EESZ_S10_S11_S12_S16_S17_S18_S1B_S1C_jS1D_jS1E_S1E_jjS1G_bEUljE0_EEESZ_S10_S11_S18_S1C_S1E_T6_T7_T9_mT8_S1G_bDpT10_ENKUlT_T0_E_clISt17integral_constantIbLb0EES1T_IbLb1EEEEDaS1P_S1Q_EUlS1P_E_NS1_11comp_targetILNS1_3genE9ELNS1_11target_archE1100ELNS1_3gpuE3ELNS1_3repE0EEENS1_30default_config_static_selectorELNS0_4arch9wavefront6targetE0EEEvS12_
; %bb.0:
	.section	.rodata,"a",@progbits
	.p2align	6, 0x0
	.amdhsa_kernel _ZN7rocprim17ROCPRIM_400000_NS6detail17trampoline_kernelINS0_13select_configILj256ELj13ELNS0_17block_load_methodE3ELS4_3ELS4_3ELNS0_20block_scan_algorithmE0ELj4294967295EEENS1_25partition_config_selectorILNS1_17partition_subalgoE4EjNS0_10empty_typeEbEEZZNS1_14partition_implILS8_4ELb0ES6_15HIP_vector_typeIjLj2EENS0_17counting_iteratorIjlEEPS9_SG_NS0_5tupleIJPjSI_NS0_16reverse_iteratorISI_EEEEENSH_IJSG_SG_SG_EEES9_SI_JZNS1_25segmented_radix_sort_implINS0_14default_configELb1EPKsPsPKlPlN2at6native12_GLOBAL__N_18offset_tEEE10hipError_tPvRmT1_PNSt15iterator_traitsIS12_E10value_typeET2_T3_PNS13_IS18_E10value_typeET4_jRbjT5_S1E_jjP12ihipStream_tbEUljE_ZNSN_ISO_Lb1ESQ_SR_ST_SU_SY_EESZ_S10_S11_S12_S16_S17_S18_S1B_S1C_jS1D_jS1E_S1E_jjS1G_bEUljE0_EEESZ_S10_S11_S18_S1C_S1E_T6_T7_T9_mT8_S1G_bDpT10_ENKUlT_T0_E_clISt17integral_constantIbLb0EES1T_IbLb1EEEEDaS1P_S1Q_EUlS1P_E_NS1_11comp_targetILNS1_3genE9ELNS1_11target_archE1100ELNS1_3gpuE3ELNS1_3repE0EEENS1_30default_config_static_selectorELNS0_4arch9wavefront6targetE0EEEvS12_
		.amdhsa_group_segment_fixed_size 0
		.amdhsa_private_segment_fixed_size 0
		.amdhsa_kernarg_size 184
		.amdhsa_user_sgpr_count 2
		.amdhsa_user_sgpr_dispatch_ptr 0
		.amdhsa_user_sgpr_queue_ptr 0
		.amdhsa_user_sgpr_kernarg_segment_ptr 1
		.amdhsa_user_sgpr_dispatch_id 0
		.amdhsa_user_sgpr_kernarg_preload_length 0
		.amdhsa_user_sgpr_kernarg_preload_offset 0
		.amdhsa_user_sgpr_private_segment_size 0
		.amdhsa_wavefront_size32 1
		.amdhsa_uses_dynamic_stack 0
		.amdhsa_enable_private_segment 0
		.amdhsa_system_sgpr_workgroup_id_x 1
		.amdhsa_system_sgpr_workgroup_id_y 0
		.amdhsa_system_sgpr_workgroup_id_z 0
		.amdhsa_system_sgpr_workgroup_info 0
		.amdhsa_system_vgpr_workitem_id 0
		.amdhsa_next_free_vgpr 1
		.amdhsa_next_free_sgpr 1
		.amdhsa_named_barrier_count 0
		.amdhsa_reserve_vcc 0
		.amdhsa_float_round_mode_32 0
		.amdhsa_float_round_mode_16_64 0
		.amdhsa_float_denorm_mode_32 3
		.amdhsa_float_denorm_mode_16_64 3
		.amdhsa_fp16_overflow 0
		.amdhsa_memory_ordered 1
		.amdhsa_forward_progress 1
		.amdhsa_inst_pref_size 0
		.amdhsa_round_robin_scheduling 0
		.amdhsa_exception_fp_ieee_invalid_op 0
		.amdhsa_exception_fp_denorm_src 0
		.amdhsa_exception_fp_ieee_div_zero 0
		.amdhsa_exception_fp_ieee_overflow 0
		.amdhsa_exception_fp_ieee_underflow 0
		.amdhsa_exception_fp_ieee_inexact 0
		.amdhsa_exception_int_div_zero 0
	.end_amdhsa_kernel
	.section	.text._ZN7rocprim17ROCPRIM_400000_NS6detail17trampoline_kernelINS0_13select_configILj256ELj13ELNS0_17block_load_methodE3ELS4_3ELS4_3ELNS0_20block_scan_algorithmE0ELj4294967295EEENS1_25partition_config_selectorILNS1_17partition_subalgoE4EjNS0_10empty_typeEbEEZZNS1_14partition_implILS8_4ELb0ES6_15HIP_vector_typeIjLj2EENS0_17counting_iteratorIjlEEPS9_SG_NS0_5tupleIJPjSI_NS0_16reverse_iteratorISI_EEEEENSH_IJSG_SG_SG_EEES9_SI_JZNS1_25segmented_radix_sort_implINS0_14default_configELb1EPKsPsPKlPlN2at6native12_GLOBAL__N_18offset_tEEE10hipError_tPvRmT1_PNSt15iterator_traitsIS12_E10value_typeET2_T3_PNS13_IS18_E10value_typeET4_jRbjT5_S1E_jjP12ihipStream_tbEUljE_ZNSN_ISO_Lb1ESQ_SR_ST_SU_SY_EESZ_S10_S11_S12_S16_S17_S18_S1B_S1C_jS1D_jS1E_S1E_jjS1G_bEUljE0_EEESZ_S10_S11_S18_S1C_S1E_T6_T7_T9_mT8_S1G_bDpT10_ENKUlT_T0_E_clISt17integral_constantIbLb0EES1T_IbLb1EEEEDaS1P_S1Q_EUlS1P_E_NS1_11comp_targetILNS1_3genE9ELNS1_11target_archE1100ELNS1_3gpuE3ELNS1_3repE0EEENS1_30default_config_static_selectorELNS0_4arch9wavefront6targetE0EEEvS12_,"axG",@progbits,_ZN7rocprim17ROCPRIM_400000_NS6detail17trampoline_kernelINS0_13select_configILj256ELj13ELNS0_17block_load_methodE3ELS4_3ELS4_3ELNS0_20block_scan_algorithmE0ELj4294967295EEENS1_25partition_config_selectorILNS1_17partition_subalgoE4EjNS0_10empty_typeEbEEZZNS1_14partition_implILS8_4ELb0ES6_15HIP_vector_typeIjLj2EENS0_17counting_iteratorIjlEEPS9_SG_NS0_5tupleIJPjSI_NS0_16reverse_iteratorISI_EEEEENSH_IJSG_SG_SG_EEES9_SI_JZNS1_25segmented_radix_sort_implINS0_14default_configELb1EPKsPsPKlPlN2at6native12_GLOBAL__N_18offset_tEEE10hipError_tPvRmT1_PNSt15iterator_traitsIS12_E10value_typeET2_T3_PNS13_IS18_E10value_typeET4_jRbjT5_S1E_jjP12ihipStream_tbEUljE_ZNSN_ISO_Lb1ESQ_SR_ST_SU_SY_EESZ_S10_S11_S12_S16_S17_S18_S1B_S1C_jS1D_jS1E_S1E_jjS1G_bEUljE0_EEESZ_S10_S11_S18_S1C_S1E_T6_T7_T9_mT8_S1G_bDpT10_ENKUlT_T0_E_clISt17integral_constantIbLb0EES1T_IbLb1EEEEDaS1P_S1Q_EUlS1P_E_NS1_11comp_targetILNS1_3genE9ELNS1_11target_archE1100ELNS1_3gpuE3ELNS1_3repE0EEENS1_30default_config_static_selectorELNS0_4arch9wavefront6targetE0EEEvS12_,comdat
.Lfunc_end873:
	.size	_ZN7rocprim17ROCPRIM_400000_NS6detail17trampoline_kernelINS0_13select_configILj256ELj13ELNS0_17block_load_methodE3ELS4_3ELS4_3ELNS0_20block_scan_algorithmE0ELj4294967295EEENS1_25partition_config_selectorILNS1_17partition_subalgoE4EjNS0_10empty_typeEbEEZZNS1_14partition_implILS8_4ELb0ES6_15HIP_vector_typeIjLj2EENS0_17counting_iteratorIjlEEPS9_SG_NS0_5tupleIJPjSI_NS0_16reverse_iteratorISI_EEEEENSH_IJSG_SG_SG_EEES9_SI_JZNS1_25segmented_radix_sort_implINS0_14default_configELb1EPKsPsPKlPlN2at6native12_GLOBAL__N_18offset_tEEE10hipError_tPvRmT1_PNSt15iterator_traitsIS12_E10value_typeET2_T3_PNS13_IS18_E10value_typeET4_jRbjT5_S1E_jjP12ihipStream_tbEUljE_ZNSN_ISO_Lb1ESQ_SR_ST_SU_SY_EESZ_S10_S11_S12_S16_S17_S18_S1B_S1C_jS1D_jS1E_S1E_jjS1G_bEUljE0_EEESZ_S10_S11_S18_S1C_S1E_T6_T7_T9_mT8_S1G_bDpT10_ENKUlT_T0_E_clISt17integral_constantIbLb0EES1T_IbLb1EEEEDaS1P_S1Q_EUlS1P_E_NS1_11comp_targetILNS1_3genE9ELNS1_11target_archE1100ELNS1_3gpuE3ELNS1_3repE0EEENS1_30default_config_static_selectorELNS0_4arch9wavefront6targetE0EEEvS12_, .Lfunc_end873-_ZN7rocprim17ROCPRIM_400000_NS6detail17trampoline_kernelINS0_13select_configILj256ELj13ELNS0_17block_load_methodE3ELS4_3ELS4_3ELNS0_20block_scan_algorithmE0ELj4294967295EEENS1_25partition_config_selectorILNS1_17partition_subalgoE4EjNS0_10empty_typeEbEEZZNS1_14partition_implILS8_4ELb0ES6_15HIP_vector_typeIjLj2EENS0_17counting_iteratorIjlEEPS9_SG_NS0_5tupleIJPjSI_NS0_16reverse_iteratorISI_EEEEENSH_IJSG_SG_SG_EEES9_SI_JZNS1_25segmented_radix_sort_implINS0_14default_configELb1EPKsPsPKlPlN2at6native12_GLOBAL__N_18offset_tEEE10hipError_tPvRmT1_PNSt15iterator_traitsIS12_E10value_typeET2_T3_PNS13_IS18_E10value_typeET4_jRbjT5_S1E_jjP12ihipStream_tbEUljE_ZNSN_ISO_Lb1ESQ_SR_ST_SU_SY_EESZ_S10_S11_S12_S16_S17_S18_S1B_S1C_jS1D_jS1E_S1E_jjS1G_bEUljE0_EEESZ_S10_S11_S18_S1C_S1E_T6_T7_T9_mT8_S1G_bDpT10_ENKUlT_T0_E_clISt17integral_constantIbLb0EES1T_IbLb1EEEEDaS1P_S1Q_EUlS1P_E_NS1_11comp_targetILNS1_3genE9ELNS1_11target_archE1100ELNS1_3gpuE3ELNS1_3repE0EEENS1_30default_config_static_selectorELNS0_4arch9wavefront6targetE0EEEvS12_
                                        ; -- End function
	.set _ZN7rocprim17ROCPRIM_400000_NS6detail17trampoline_kernelINS0_13select_configILj256ELj13ELNS0_17block_load_methodE3ELS4_3ELS4_3ELNS0_20block_scan_algorithmE0ELj4294967295EEENS1_25partition_config_selectorILNS1_17partition_subalgoE4EjNS0_10empty_typeEbEEZZNS1_14partition_implILS8_4ELb0ES6_15HIP_vector_typeIjLj2EENS0_17counting_iteratorIjlEEPS9_SG_NS0_5tupleIJPjSI_NS0_16reverse_iteratorISI_EEEEENSH_IJSG_SG_SG_EEES9_SI_JZNS1_25segmented_radix_sort_implINS0_14default_configELb1EPKsPsPKlPlN2at6native12_GLOBAL__N_18offset_tEEE10hipError_tPvRmT1_PNSt15iterator_traitsIS12_E10value_typeET2_T3_PNS13_IS18_E10value_typeET4_jRbjT5_S1E_jjP12ihipStream_tbEUljE_ZNSN_ISO_Lb1ESQ_SR_ST_SU_SY_EESZ_S10_S11_S12_S16_S17_S18_S1B_S1C_jS1D_jS1E_S1E_jjS1G_bEUljE0_EEESZ_S10_S11_S18_S1C_S1E_T6_T7_T9_mT8_S1G_bDpT10_ENKUlT_T0_E_clISt17integral_constantIbLb0EES1T_IbLb1EEEEDaS1P_S1Q_EUlS1P_E_NS1_11comp_targetILNS1_3genE9ELNS1_11target_archE1100ELNS1_3gpuE3ELNS1_3repE0EEENS1_30default_config_static_selectorELNS0_4arch9wavefront6targetE0EEEvS12_.num_vgpr, 0
	.set _ZN7rocprim17ROCPRIM_400000_NS6detail17trampoline_kernelINS0_13select_configILj256ELj13ELNS0_17block_load_methodE3ELS4_3ELS4_3ELNS0_20block_scan_algorithmE0ELj4294967295EEENS1_25partition_config_selectorILNS1_17partition_subalgoE4EjNS0_10empty_typeEbEEZZNS1_14partition_implILS8_4ELb0ES6_15HIP_vector_typeIjLj2EENS0_17counting_iteratorIjlEEPS9_SG_NS0_5tupleIJPjSI_NS0_16reverse_iteratorISI_EEEEENSH_IJSG_SG_SG_EEES9_SI_JZNS1_25segmented_radix_sort_implINS0_14default_configELb1EPKsPsPKlPlN2at6native12_GLOBAL__N_18offset_tEEE10hipError_tPvRmT1_PNSt15iterator_traitsIS12_E10value_typeET2_T3_PNS13_IS18_E10value_typeET4_jRbjT5_S1E_jjP12ihipStream_tbEUljE_ZNSN_ISO_Lb1ESQ_SR_ST_SU_SY_EESZ_S10_S11_S12_S16_S17_S18_S1B_S1C_jS1D_jS1E_S1E_jjS1G_bEUljE0_EEESZ_S10_S11_S18_S1C_S1E_T6_T7_T9_mT8_S1G_bDpT10_ENKUlT_T0_E_clISt17integral_constantIbLb0EES1T_IbLb1EEEEDaS1P_S1Q_EUlS1P_E_NS1_11comp_targetILNS1_3genE9ELNS1_11target_archE1100ELNS1_3gpuE3ELNS1_3repE0EEENS1_30default_config_static_selectorELNS0_4arch9wavefront6targetE0EEEvS12_.num_agpr, 0
	.set _ZN7rocprim17ROCPRIM_400000_NS6detail17trampoline_kernelINS0_13select_configILj256ELj13ELNS0_17block_load_methodE3ELS4_3ELS4_3ELNS0_20block_scan_algorithmE0ELj4294967295EEENS1_25partition_config_selectorILNS1_17partition_subalgoE4EjNS0_10empty_typeEbEEZZNS1_14partition_implILS8_4ELb0ES6_15HIP_vector_typeIjLj2EENS0_17counting_iteratorIjlEEPS9_SG_NS0_5tupleIJPjSI_NS0_16reverse_iteratorISI_EEEEENSH_IJSG_SG_SG_EEES9_SI_JZNS1_25segmented_radix_sort_implINS0_14default_configELb1EPKsPsPKlPlN2at6native12_GLOBAL__N_18offset_tEEE10hipError_tPvRmT1_PNSt15iterator_traitsIS12_E10value_typeET2_T3_PNS13_IS18_E10value_typeET4_jRbjT5_S1E_jjP12ihipStream_tbEUljE_ZNSN_ISO_Lb1ESQ_SR_ST_SU_SY_EESZ_S10_S11_S12_S16_S17_S18_S1B_S1C_jS1D_jS1E_S1E_jjS1G_bEUljE0_EEESZ_S10_S11_S18_S1C_S1E_T6_T7_T9_mT8_S1G_bDpT10_ENKUlT_T0_E_clISt17integral_constantIbLb0EES1T_IbLb1EEEEDaS1P_S1Q_EUlS1P_E_NS1_11comp_targetILNS1_3genE9ELNS1_11target_archE1100ELNS1_3gpuE3ELNS1_3repE0EEENS1_30default_config_static_selectorELNS0_4arch9wavefront6targetE0EEEvS12_.numbered_sgpr, 0
	.set _ZN7rocprim17ROCPRIM_400000_NS6detail17trampoline_kernelINS0_13select_configILj256ELj13ELNS0_17block_load_methodE3ELS4_3ELS4_3ELNS0_20block_scan_algorithmE0ELj4294967295EEENS1_25partition_config_selectorILNS1_17partition_subalgoE4EjNS0_10empty_typeEbEEZZNS1_14partition_implILS8_4ELb0ES6_15HIP_vector_typeIjLj2EENS0_17counting_iteratorIjlEEPS9_SG_NS0_5tupleIJPjSI_NS0_16reverse_iteratorISI_EEEEENSH_IJSG_SG_SG_EEES9_SI_JZNS1_25segmented_radix_sort_implINS0_14default_configELb1EPKsPsPKlPlN2at6native12_GLOBAL__N_18offset_tEEE10hipError_tPvRmT1_PNSt15iterator_traitsIS12_E10value_typeET2_T3_PNS13_IS18_E10value_typeET4_jRbjT5_S1E_jjP12ihipStream_tbEUljE_ZNSN_ISO_Lb1ESQ_SR_ST_SU_SY_EESZ_S10_S11_S12_S16_S17_S18_S1B_S1C_jS1D_jS1E_S1E_jjS1G_bEUljE0_EEESZ_S10_S11_S18_S1C_S1E_T6_T7_T9_mT8_S1G_bDpT10_ENKUlT_T0_E_clISt17integral_constantIbLb0EES1T_IbLb1EEEEDaS1P_S1Q_EUlS1P_E_NS1_11comp_targetILNS1_3genE9ELNS1_11target_archE1100ELNS1_3gpuE3ELNS1_3repE0EEENS1_30default_config_static_selectorELNS0_4arch9wavefront6targetE0EEEvS12_.num_named_barrier, 0
	.set _ZN7rocprim17ROCPRIM_400000_NS6detail17trampoline_kernelINS0_13select_configILj256ELj13ELNS0_17block_load_methodE3ELS4_3ELS4_3ELNS0_20block_scan_algorithmE0ELj4294967295EEENS1_25partition_config_selectorILNS1_17partition_subalgoE4EjNS0_10empty_typeEbEEZZNS1_14partition_implILS8_4ELb0ES6_15HIP_vector_typeIjLj2EENS0_17counting_iteratorIjlEEPS9_SG_NS0_5tupleIJPjSI_NS0_16reverse_iteratorISI_EEEEENSH_IJSG_SG_SG_EEES9_SI_JZNS1_25segmented_radix_sort_implINS0_14default_configELb1EPKsPsPKlPlN2at6native12_GLOBAL__N_18offset_tEEE10hipError_tPvRmT1_PNSt15iterator_traitsIS12_E10value_typeET2_T3_PNS13_IS18_E10value_typeET4_jRbjT5_S1E_jjP12ihipStream_tbEUljE_ZNSN_ISO_Lb1ESQ_SR_ST_SU_SY_EESZ_S10_S11_S12_S16_S17_S18_S1B_S1C_jS1D_jS1E_S1E_jjS1G_bEUljE0_EEESZ_S10_S11_S18_S1C_S1E_T6_T7_T9_mT8_S1G_bDpT10_ENKUlT_T0_E_clISt17integral_constantIbLb0EES1T_IbLb1EEEEDaS1P_S1Q_EUlS1P_E_NS1_11comp_targetILNS1_3genE9ELNS1_11target_archE1100ELNS1_3gpuE3ELNS1_3repE0EEENS1_30default_config_static_selectorELNS0_4arch9wavefront6targetE0EEEvS12_.private_seg_size, 0
	.set _ZN7rocprim17ROCPRIM_400000_NS6detail17trampoline_kernelINS0_13select_configILj256ELj13ELNS0_17block_load_methodE3ELS4_3ELS4_3ELNS0_20block_scan_algorithmE0ELj4294967295EEENS1_25partition_config_selectorILNS1_17partition_subalgoE4EjNS0_10empty_typeEbEEZZNS1_14partition_implILS8_4ELb0ES6_15HIP_vector_typeIjLj2EENS0_17counting_iteratorIjlEEPS9_SG_NS0_5tupleIJPjSI_NS0_16reverse_iteratorISI_EEEEENSH_IJSG_SG_SG_EEES9_SI_JZNS1_25segmented_radix_sort_implINS0_14default_configELb1EPKsPsPKlPlN2at6native12_GLOBAL__N_18offset_tEEE10hipError_tPvRmT1_PNSt15iterator_traitsIS12_E10value_typeET2_T3_PNS13_IS18_E10value_typeET4_jRbjT5_S1E_jjP12ihipStream_tbEUljE_ZNSN_ISO_Lb1ESQ_SR_ST_SU_SY_EESZ_S10_S11_S12_S16_S17_S18_S1B_S1C_jS1D_jS1E_S1E_jjS1G_bEUljE0_EEESZ_S10_S11_S18_S1C_S1E_T6_T7_T9_mT8_S1G_bDpT10_ENKUlT_T0_E_clISt17integral_constantIbLb0EES1T_IbLb1EEEEDaS1P_S1Q_EUlS1P_E_NS1_11comp_targetILNS1_3genE9ELNS1_11target_archE1100ELNS1_3gpuE3ELNS1_3repE0EEENS1_30default_config_static_selectorELNS0_4arch9wavefront6targetE0EEEvS12_.uses_vcc, 0
	.set _ZN7rocprim17ROCPRIM_400000_NS6detail17trampoline_kernelINS0_13select_configILj256ELj13ELNS0_17block_load_methodE3ELS4_3ELS4_3ELNS0_20block_scan_algorithmE0ELj4294967295EEENS1_25partition_config_selectorILNS1_17partition_subalgoE4EjNS0_10empty_typeEbEEZZNS1_14partition_implILS8_4ELb0ES6_15HIP_vector_typeIjLj2EENS0_17counting_iteratorIjlEEPS9_SG_NS0_5tupleIJPjSI_NS0_16reverse_iteratorISI_EEEEENSH_IJSG_SG_SG_EEES9_SI_JZNS1_25segmented_radix_sort_implINS0_14default_configELb1EPKsPsPKlPlN2at6native12_GLOBAL__N_18offset_tEEE10hipError_tPvRmT1_PNSt15iterator_traitsIS12_E10value_typeET2_T3_PNS13_IS18_E10value_typeET4_jRbjT5_S1E_jjP12ihipStream_tbEUljE_ZNSN_ISO_Lb1ESQ_SR_ST_SU_SY_EESZ_S10_S11_S12_S16_S17_S18_S1B_S1C_jS1D_jS1E_S1E_jjS1G_bEUljE0_EEESZ_S10_S11_S18_S1C_S1E_T6_T7_T9_mT8_S1G_bDpT10_ENKUlT_T0_E_clISt17integral_constantIbLb0EES1T_IbLb1EEEEDaS1P_S1Q_EUlS1P_E_NS1_11comp_targetILNS1_3genE9ELNS1_11target_archE1100ELNS1_3gpuE3ELNS1_3repE0EEENS1_30default_config_static_selectorELNS0_4arch9wavefront6targetE0EEEvS12_.uses_flat_scratch, 0
	.set _ZN7rocprim17ROCPRIM_400000_NS6detail17trampoline_kernelINS0_13select_configILj256ELj13ELNS0_17block_load_methodE3ELS4_3ELS4_3ELNS0_20block_scan_algorithmE0ELj4294967295EEENS1_25partition_config_selectorILNS1_17partition_subalgoE4EjNS0_10empty_typeEbEEZZNS1_14partition_implILS8_4ELb0ES6_15HIP_vector_typeIjLj2EENS0_17counting_iteratorIjlEEPS9_SG_NS0_5tupleIJPjSI_NS0_16reverse_iteratorISI_EEEEENSH_IJSG_SG_SG_EEES9_SI_JZNS1_25segmented_radix_sort_implINS0_14default_configELb1EPKsPsPKlPlN2at6native12_GLOBAL__N_18offset_tEEE10hipError_tPvRmT1_PNSt15iterator_traitsIS12_E10value_typeET2_T3_PNS13_IS18_E10value_typeET4_jRbjT5_S1E_jjP12ihipStream_tbEUljE_ZNSN_ISO_Lb1ESQ_SR_ST_SU_SY_EESZ_S10_S11_S12_S16_S17_S18_S1B_S1C_jS1D_jS1E_S1E_jjS1G_bEUljE0_EEESZ_S10_S11_S18_S1C_S1E_T6_T7_T9_mT8_S1G_bDpT10_ENKUlT_T0_E_clISt17integral_constantIbLb0EES1T_IbLb1EEEEDaS1P_S1Q_EUlS1P_E_NS1_11comp_targetILNS1_3genE9ELNS1_11target_archE1100ELNS1_3gpuE3ELNS1_3repE0EEENS1_30default_config_static_selectorELNS0_4arch9wavefront6targetE0EEEvS12_.has_dyn_sized_stack, 0
	.set _ZN7rocprim17ROCPRIM_400000_NS6detail17trampoline_kernelINS0_13select_configILj256ELj13ELNS0_17block_load_methodE3ELS4_3ELS4_3ELNS0_20block_scan_algorithmE0ELj4294967295EEENS1_25partition_config_selectorILNS1_17partition_subalgoE4EjNS0_10empty_typeEbEEZZNS1_14partition_implILS8_4ELb0ES6_15HIP_vector_typeIjLj2EENS0_17counting_iteratorIjlEEPS9_SG_NS0_5tupleIJPjSI_NS0_16reverse_iteratorISI_EEEEENSH_IJSG_SG_SG_EEES9_SI_JZNS1_25segmented_radix_sort_implINS0_14default_configELb1EPKsPsPKlPlN2at6native12_GLOBAL__N_18offset_tEEE10hipError_tPvRmT1_PNSt15iterator_traitsIS12_E10value_typeET2_T3_PNS13_IS18_E10value_typeET4_jRbjT5_S1E_jjP12ihipStream_tbEUljE_ZNSN_ISO_Lb1ESQ_SR_ST_SU_SY_EESZ_S10_S11_S12_S16_S17_S18_S1B_S1C_jS1D_jS1E_S1E_jjS1G_bEUljE0_EEESZ_S10_S11_S18_S1C_S1E_T6_T7_T9_mT8_S1G_bDpT10_ENKUlT_T0_E_clISt17integral_constantIbLb0EES1T_IbLb1EEEEDaS1P_S1Q_EUlS1P_E_NS1_11comp_targetILNS1_3genE9ELNS1_11target_archE1100ELNS1_3gpuE3ELNS1_3repE0EEENS1_30default_config_static_selectorELNS0_4arch9wavefront6targetE0EEEvS12_.has_recursion, 0
	.set _ZN7rocprim17ROCPRIM_400000_NS6detail17trampoline_kernelINS0_13select_configILj256ELj13ELNS0_17block_load_methodE3ELS4_3ELS4_3ELNS0_20block_scan_algorithmE0ELj4294967295EEENS1_25partition_config_selectorILNS1_17partition_subalgoE4EjNS0_10empty_typeEbEEZZNS1_14partition_implILS8_4ELb0ES6_15HIP_vector_typeIjLj2EENS0_17counting_iteratorIjlEEPS9_SG_NS0_5tupleIJPjSI_NS0_16reverse_iteratorISI_EEEEENSH_IJSG_SG_SG_EEES9_SI_JZNS1_25segmented_radix_sort_implINS0_14default_configELb1EPKsPsPKlPlN2at6native12_GLOBAL__N_18offset_tEEE10hipError_tPvRmT1_PNSt15iterator_traitsIS12_E10value_typeET2_T3_PNS13_IS18_E10value_typeET4_jRbjT5_S1E_jjP12ihipStream_tbEUljE_ZNSN_ISO_Lb1ESQ_SR_ST_SU_SY_EESZ_S10_S11_S12_S16_S17_S18_S1B_S1C_jS1D_jS1E_S1E_jjS1G_bEUljE0_EEESZ_S10_S11_S18_S1C_S1E_T6_T7_T9_mT8_S1G_bDpT10_ENKUlT_T0_E_clISt17integral_constantIbLb0EES1T_IbLb1EEEEDaS1P_S1Q_EUlS1P_E_NS1_11comp_targetILNS1_3genE9ELNS1_11target_archE1100ELNS1_3gpuE3ELNS1_3repE0EEENS1_30default_config_static_selectorELNS0_4arch9wavefront6targetE0EEEvS12_.has_indirect_call, 0
	.section	.AMDGPU.csdata,"",@progbits
; Kernel info:
; codeLenInByte = 0
; TotalNumSgprs: 0
; NumVgprs: 0
; ScratchSize: 0
; MemoryBound: 0
; FloatMode: 240
; IeeeMode: 1
; LDSByteSize: 0 bytes/workgroup (compile time only)
; SGPRBlocks: 0
; VGPRBlocks: 0
; NumSGPRsForWavesPerEU: 1
; NumVGPRsForWavesPerEU: 1
; NamedBarCnt: 0
; Occupancy: 16
; WaveLimiterHint : 0
; COMPUTE_PGM_RSRC2:SCRATCH_EN: 0
; COMPUTE_PGM_RSRC2:USER_SGPR: 2
; COMPUTE_PGM_RSRC2:TRAP_HANDLER: 0
; COMPUTE_PGM_RSRC2:TGID_X_EN: 1
; COMPUTE_PGM_RSRC2:TGID_Y_EN: 0
; COMPUTE_PGM_RSRC2:TGID_Z_EN: 0
; COMPUTE_PGM_RSRC2:TIDIG_COMP_CNT: 0
	.section	.text._ZN7rocprim17ROCPRIM_400000_NS6detail17trampoline_kernelINS0_13select_configILj256ELj13ELNS0_17block_load_methodE3ELS4_3ELS4_3ELNS0_20block_scan_algorithmE0ELj4294967295EEENS1_25partition_config_selectorILNS1_17partition_subalgoE4EjNS0_10empty_typeEbEEZZNS1_14partition_implILS8_4ELb0ES6_15HIP_vector_typeIjLj2EENS0_17counting_iteratorIjlEEPS9_SG_NS0_5tupleIJPjSI_NS0_16reverse_iteratorISI_EEEEENSH_IJSG_SG_SG_EEES9_SI_JZNS1_25segmented_radix_sort_implINS0_14default_configELb1EPKsPsPKlPlN2at6native12_GLOBAL__N_18offset_tEEE10hipError_tPvRmT1_PNSt15iterator_traitsIS12_E10value_typeET2_T3_PNS13_IS18_E10value_typeET4_jRbjT5_S1E_jjP12ihipStream_tbEUljE_ZNSN_ISO_Lb1ESQ_SR_ST_SU_SY_EESZ_S10_S11_S12_S16_S17_S18_S1B_S1C_jS1D_jS1E_S1E_jjS1G_bEUljE0_EEESZ_S10_S11_S18_S1C_S1E_T6_T7_T9_mT8_S1G_bDpT10_ENKUlT_T0_E_clISt17integral_constantIbLb0EES1T_IbLb1EEEEDaS1P_S1Q_EUlS1P_E_NS1_11comp_targetILNS1_3genE8ELNS1_11target_archE1030ELNS1_3gpuE2ELNS1_3repE0EEENS1_30default_config_static_selectorELNS0_4arch9wavefront6targetE0EEEvS12_,"axG",@progbits,_ZN7rocprim17ROCPRIM_400000_NS6detail17trampoline_kernelINS0_13select_configILj256ELj13ELNS0_17block_load_methodE3ELS4_3ELS4_3ELNS0_20block_scan_algorithmE0ELj4294967295EEENS1_25partition_config_selectorILNS1_17partition_subalgoE4EjNS0_10empty_typeEbEEZZNS1_14partition_implILS8_4ELb0ES6_15HIP_vector_typeIjLj2EENS0_17counting_iteratorIjlEEPS9_SG_NS0_5tupleIJPjSI_NS0_16reverse_iteratorISI_EEEEENSH_IJSG_SG_SG_EEES9_SI_JZNS1_25segmented_radix_sort_implINS0_14default_configELb1EPKsPsPKlPlN2at6native12_GLOBAL__N_18offset_tEEE10hipError_tPvRmT1_PNSt15iterator_traitsIS12_E10value_typeET2_T3_PNS13_IS18_E10value_typeET4_jRbjT5_S1E_jjP12ihipStream_tbEUljE_ZNSN_ISO_Lb1ESQ_SR_ST_SU_SY_EESZ_S10_S11_S12_S16_S17_S18_S1B_S1C_jS1D_jS1E_S1E_jjS1G_bEUljE0_EEESZ_S10_S11_S18_S1C_S1E_T6_T7_T9_mT8_S1G_bDpT10_ENKUlT_T0_E_clISt17integral_constantIbLb0EES1T_IbLb1EEEEDaS1P_S1Q_EUlS1P_E_NS1_11comp_targetILNS1_3genE8ELNS1_11target_archE1030ELNS1_3gpuE2ELNS1_3repE0EEENS1_30default_config_static_selectorELNS0_4arch9wavefront6targetE0EEEvS12_,comdat
	.globl	_ZN7rocprim17ROCPRIM_400000_NS6detail17trampoline_kernelINS0_13select_configILj256ELj13ELNS0_17block_load_methodE3ELS4_3ELS4_3ELNS0_20block_scan_algorithmE0ELj4294967295EEENS1_25partition_config_selectorILNS1_17partition_subalgoE4EjNS0_10empty_typeEbEEZZNS1_14partition_implILS8_4ELb0ES6_15HIP_vector_typeIjLj2EENS0_17counting_iteratorIjlEEPS9_SG_NS0_5tupleIJPjSI_NS0_16reverse_iteratorISI_EEEEENSH_IJSG_SG_SG_EEES9_SI_JZNS1_25segmented_radix_sort_implINS0_14default_configELb1EPKsPsPKlPlN2at6native12_GLOBAL__N_18offset_tEEE10hipError_tPvRmT1_PNSt15iterator_traitsIS12_E10value_typeET2_T3_PNS13_IS18_E10value_typeET4_jRbjT5_S1E_jjP12ihipStream_tbEUljE_ZNSN_ISO_Lb1ESQ_SR_ST_SU_SY_EESZ_S10_S11_S12_S16_S17_S18_S1B_S1C_jS1D_jS1E_S1E_jjS1G_bEUljE0_EEESZ_S10_S11_S18_S1C_S1E_T6_T7_T9_mT8_S1G_bDpT10_ENKUlT_T0_E_clISt17integral_constantIbLb0EES1T_IbLb1EEEEDaS1P_S1Q_EUlS1P_E_NS1_11comp_targetILNS1_3genE8ELNS1_11target_archE1030ELNS1_3gpuE2ELNS1_3repE0EEENS1_30default_config_static_selectorELNS0_4arch9wavefront6targetE0EEEvS12_ ; -- Begin function _ZN7rocprim17ROCPRIM_400000_NS6detail17trampoline_kernelINS0_13select_configILj256ELj13ELNS0_17block_load_methodE3ELS4_3ELS4_3ELNS0_20block_scan_algorithmE0ELj4294967295EEENS1_25partition_config_selectorILNS1_17partition_subalgoE4EjNS0_10empty_typeEbEEZZNS1_14partition_implILS8_4ELb0ES6_15HIP_vector_typeIjLj2EENS0_17counting_iteratorIjlEEPS9_SG_NS0_5tupleIJPjSI_NS0_16reverse_iteratorISI_EEEEENSH_IJSG_SG_SG_EEES9_SI_JZNS1_25segmented_radix_sort_implINS0_14default_configELb1EPKsPsPKlPlN2at6native12_GLOBAL__N_18offset_tEEE10hipError_tPvRmT1_PNSt15iterator_traitsIS12_E10value_typeET2_T3_PNS13_IS18_E10value_typeET4_jRbjT5_S1E_jjP12ihipStream_tbEUljE_ZNSN_ISO_Lb1ESQ_SR_ST_SU_SY_EESZ_S10_S11_S12_S16_S17_S18_S1B_S1C_jS1D_jS1E_S1E_jjS1G_bEUljE0_EEESZ_S10_S11_S18_S1C_S1E_T6_T7_T9_mT8_S1G_bDpT10_ENKUlT_T0_E_clISt17integral_constantIbLb0EES1T_IbLb1EEEEDaS1P_S1Q_EUlS1P_E_NS1_11comp_targetILNS1_3genE8ELNS1_11target_archE1030ELNS1_3gpuE2ELNS1_3repE0EEENS1_30default_config_static_selectorELNS0_4arch9wavefront6targetE0EEEvS12_
	.p2align	8
	.type	_ZN7rocprim17ROCPRIM_400000_NS6detail17trampoline_kernelINS0_13select_configILj256ELj13ELNS0_17block_load_methodE3ELS4_3ELS4_3ELNS0_20block_scan_algorithmE0ELj4294967295EEENS1_25partition_config_selectorILNS1_17partition_subalgoE4EjNS0_10empty_typeEbEEZZNS1_14partition_implILS8_4ELb0ES6_15HIP_vector_typeIjLj2EENS0_17counting_iteratorIjlEEPS9_SG_NS0_5tupleIJPjSI_NS0_16reverse_iteratorISI_EEEEENSH_IJSG_SG_SG_EEES9_SI_JZNS1_25segmented_radix_sort_implINS0_14default_configELb1EPKsPsPKlPlN2at6native12_GLOBAL__N_18offset_tEEE10hipError_tPvRmT1_PNSt15iterator_traitsIS12_E10value_typeET2_T3_PNS13_IS18_E10value_typeET4_jRbjT5_S1E_jjP12ihipStream_tbEUljE_ZNSN_ISO_Lb1ESQ_SR_ST_SU_SY_EESZ_S10_S11_S12_S16_S17_S18_S1B_S1C_jS1D_jS1E_S1E_jjS1G_bEUljE0_EEESZ_S10_S11_S18_S1C_S1E_T6_T7_T9_mT8_S1G_bDpT10_ENKUlT_T0_E_clISt17integral_constantIbLb0EES1T_IbLb1EEEEDaS1P_S1Q_EUlS1P_E_NS1_11comp_targetILNS1_3genE8ELNS1_11target_archE1030ELNS1_3gpuE2ELNS1_3repE0EEENS1_30default_config_static_selectorELNS0_4arch9wavefront6targetE0EEEvS12_,@function
_ZN7rocprim17ROCPRIM_400000_NS6detail17trampoline_kernelINS0_13select_configILj256ELj13ELNS0_17block_load_methodE3ELS4_3ELS4_3ELNS0_20block_scan_algorithmE0ELj4294967295EEENS1_25partition_config_selectorILNS1_17partition_subalgoE4EjNS0_10empty_typeEbEEZZNS1_14partition_implILS8_4ELb0ES6_15HIP_vector_typeIjLj2EENS0_17counting_iteratorIjlEEPS9_SG_NS0_5tupleIJPjSI_NS0_16reverse_iteratorISI_EEEEENSH_IJSG_SG_SG_EEES9_SI_JZNS1_25segmented_radix_sort_implINS0_14default_configELb1EPKsPsPKlPlN2at6native12_GLOBAL__N_18offset_tEEE10hipError_tPvRmT1_PNSt15iterator_traitsIS12_E10value_typeET2_T3_PNS13_IS18_E10value_typeET4_jRbjT5_S1E_jjP12ihipStream_tbEUljE_ZNSN_ISO_Lb1ESQ_SR_ST_SU_SY_EESZ_S10_S11_S12_S16_S17_S18_S1B_S1C_jS1D_jS1E_S1E_jjS1G_bEUljE0_EEESZ_S10_S11_S18_S1C_S1E_T6_T7_T9_mT8_S1G_bDpT10_ENKUlT_T0_E_clISt17integral_constantIbLb0EES1T_IbLb1EEEEDaS1P_S1Q_EUlS1P_E_NS1_11comp_targetILNS1_3genE8ELNS1_11target_archE1030ELNS1_3gpuE2ELNS1_3repE0EEENS1_30default_config_static_selectorELNS0_4arch9wavefront6targetE0EEEvS12_: ; @_ZN7rocprim17ROCPRIM_400000_NS6detail17trampoline_kernelINS0_13select_configILj256ELj13ELNS0_17block_load_methodE3ELS4_3ELS4_3ELNS0_20block_scan_algorithmE0ELj4294967295EEENS1_25partition_config_selectorILNS1_17partition_subalgoE4EjNS0_10empty_typeEbEEZZNS1_14partition_implILS8_4ELb0ES6_15HIP_vector_typeIjLj2EENS0_17counting_iteratorIjlEEPS9_SG_NS0_5tupleIJPjSI_NS0_16reverse_iteratorISI_EEEEENSH_IJSG_SG_SG_EEES9_SI_JZNS1_25segmented_radix_sort_implINS0_14default_configELb1EPKsPsPKlPlN2at6native12_GLOBAL__N_18offset_tEEE10hipError_tPvRmT1_PNSt15iterator_traitsIS12_E10value_typeET2_T3_PNS13_IS18_E10value_typeET4_jRbjT5_S1E_jjP12ihipStream_tbEUljE_ZNSN_ISO_Lb1ESQ_SR_ST_SU_SY_EESZ_S10_S11_S12_S16_S17_S18_S1B_S1C_jS1D_jS1E_S1E_jjS1G_bEUljE0_EEESZ_S10_S11_S18_S1C_S1E_T6_T7_T9_mT8_S1G_bDpT10_ENKUlT_T0_E_clISt17integral_constantIbLb0EES1T_IbLb1EEEEDaS1P_S1Q_EUlS1P_E_NS1_11comp_targetILNS1_3genE8ELNS1_11target_archE1030ELNS1_3gpuE2ELNS1_3repE0EEENS1_30default_config_static_selectorELNS0_4arch9wavefront6targetE0EEEvS12_
; %bb.0:
	.section	.rodata,"a",@progbits
	.p2align	6, 0x0
	.amdhsa_kernel _ZN7rocprim17ROCPRIM_400000_NS6detail17trampoline_kernelINS0_13select_configILj256ELj13ELNS0_17block_load_methodE3ELS4_3ELS4_3ELNS0_20block_scan_algorithmE0ELj4294967295EEENS1_25partition_config_selectorILNS1_17partition_subalgoE4EjNS0_10empty_typeEbEEZZNS1_14partition_implILS8_4ELb0ES6_15HIP_vector_typeIjLj2EENS0_17counting_iteratorIjlEEPS9_SG_NS0_5tupleIJPjSI_NS0_16reverse_iteratorISI_EEEEENSH_IJSG_SG_SG_EEES9_SI_JZNS1_25segmented_radix_sort_implINS0_14default_configELb1EPKsPsPKlPlN2at6native12_GLOBAL__N_18offset_tEEE10hipError_tPvRmT1_PNSt15iterator_traitsIS12_E10value_typeET2_T3_PNS13_IS18_E10value_typeET4_jRbjT5_S1E_jjP12ihipStream_tbEUljE_ZNSN_ISO_Lb1ESQ_SR_ST_SU_SY_EESZ_S10_S11_S12_S16_S17_S18_S1B_S1C_jS1D_jS1E_S1E_jjS1G_bEUljE0_EEESZ_S10_S11_S18_S1C_S1E_T6_T7_T9_mT8_S1G_bDpT10_ENKUlT_T0_E_clISt17integral_constantIbLb0EES1T_IbLb1EEEEDaS1P_S1Q_EUlS1P_E_NS1_11comp_targetILNS1_3genE8ELNS1_11target_archE1030ELNS1_3gpuE2ELNS1_3repE0EEENS1_30default_config_static_selectorELNS0_4arch9wavefront6targetE0EEEvS12_
		.amdhsa_group_segment_fixed_size 0
		.amdhsa_private_segment_fixed_size 0
		.amdhsa_kernarg_size 184
		.amdhsa_user_sgpr_count 2
		.amdhsa_user_sgpr_dispatch_ptr 0
		.amdhsa_user_sgpr_queue_ptr 0
		.amdhsa_user_sgpr_kernarg_segment_ptr 1
		.amdhsa_user_sgpr_dispatch_id 0
		.amdhsa_user_sgpr_kernarg_preload_length 0
		.amdhsa_user_sgpr_kernarg_preload_offset 0
		.amdhsa_user_sgpr_private_segment_size 0
		.amdhsa_wavefront_size32 1
		.amdhsa_uses_dynamic_stack 0
		.amdhsa_enable_private_segment 0
		.amdhsa_system_sgpr_workgroup_id_x 1
		.amdhsa_system_sgpr_workgroup_id_y 0
		.amdhsa_system_sgpr_workgroup_id_z 0
		.amdhsa_system_sgpr_workgroup_info 0
		.amdhsa_system_vgpr_workitem_id 0
		.amdhsa_next_free_vgpr 1
		.amdhsa_next_free_sgpr 1
		.amdhsa_named_barrier_count 0
		.amdhsa_reserve_vcc 0
		.amdhsa_float_round_mode_32 0
		.amdhsa_float_round_mode_16_64 0
		.amdhsa_float_denorm_mode_32 3
		.amdhsa_float_denorm_mode_16_64 3
		.amdhsa_fp16_overflow 0
		.amdhsa_memory_ordered 1
		.amdhsa_forward_progress 1
		.amdhsa_inst_pref_size 0
		.amdhsa_round_robin_scheduling 0
		.amdhsa_exception_fp_ieee_invalid_op 0
		.amdhsa_exception_fp_denorm_src 0
		.amdhsa_exception_fp_ieee_div_zero 0
		.amdhsa_exception_fp_ieee_overflow 0
		.amdhsa_exception_fp_ieee_underflow 0
		.amdhsa_exception_fp_ieee_inexact 0
		.amdhsa_exception_int_div_zero 0
	.end_amdhsa_kernel
	.section	.text._ZN7rocprim17ROCPRIM_400000_NS6detail17trampoline_kernelINS0_13select_configILj256ELj13ELNS0_17block_load_methodE3ELS4_3ELS4_3ELNS0_20block_scan_algorithmE0ELj4294967295EEENS1_25partition_config_selectorILNS1_17partition_subalgoE4EjNS0_10empty_typeEbEEZZNS1_14partition_implILS8_4ELb0ES6_15HIP_vector_typeIjLj2EENS0_17counting_iteratorIjlEEPS9_SG_NS0_5tupleIJPjSI_NS0_16reverse_iteratorISI_EEEEENSH_IJSG_SG_SG_EEES9_SI_JZNS1_25segmented_radix_sort_implINS0_14default_configELb1EPKsPsPKlPlN2at6native12_GLOBAL__N_18offset_tEEE10hipError_tPvRmT1_PNSt15iterator_traitsIS12_E10value_typeET2_T3_PNS13_IS18_E10value_typeET4_jRbjT5_S1E_jjP12ihipStream_tbEUljE_ZNSN_ISO_Lb1ESQ_SR_ST_SU_SY_EESZ_S10_S11_S12_S16_S17_S18_S1B_S1C_jS1D_jS1E_S1E_jjS1G_bEUljE0_EEESZ_S10_S11_S18_S1C_S1E_T6_T7_T9_mT8_S1G_bDpT10_ENKUlT_T0_E_clISt17integral_constantIbLb0EES1T_IbLb1EEEEDaS1P_S1Q_EUlS1P_E_NS1_11comp_targetILNS1_3genE8ELNS1_11target_archE1030ELNS1_3gpuE2ELNS1_3repE0EEENS1_30default_config_static_selectorELNS0_4arch9wavefront6targetE0EEEvS12_,"axG",@progbits,_ZN7rocprim17ROCPRIM_400000_NS6detail17trampoline_kernelINS0_13select_configILj256ELj13ELNS0_17block_load_methodE3ELS4_3ELS4_3ELNS0_20block_scan_algorithmE0ELj4294967295EEENS1_25partition_config_selectorILNS1_17partition_subalgoE4EjNS0_10empty_typeEbEEZZNS1_14partition_implILS8_4ELb0ES6_15HIP_vector_typeIjLj2EENS0_17counting_iteratorIjlEEPS9_SG_NS0_5tupleIJPjSI_NS0_16reverse_iteratorISI_EEEEENSH_IJSG_SG_SG_EEES9_SI_JZNS1_25segmented_radix_sort_implINS0_14default_configELb1EPKsPsPKlPlN2at6native12_GLOBAL__N_18offset_tEEE10hipError_tPvRmT1_PNSt15iterator_traitsIS12_E10value_typeET2_T3_PNS13_IS18_E10value_typeET4_jRbjT5_S1E_jjP12ihipStream_tbEUljE_ZNSN_ISO_Lb1ESQ_SR_ST_SU_SY_EESZ_S10_S11_S12_S16_S17_S18_S1B_S1C_jS1D_jS1E_S1E_jjS1G_bEUljE0_EEESZ_S10_S11_S18_S1C_S1E_T6_T7_T9_mT8_S1G_bDpT10_ENKUlT_T0_E_clISt17integral_constantIbLb0EES1T_IbLb1EEEEDaS1P_S1Q_EUlS1P_E_NS1_11comp_targetILNS1_3genE8ELNS1_11target_archE1030ELNS1_3gpuE2ELNS1_3repE0EEENS1_30default_config_static_selectorELNS0_4arch9wavefront6targetE0EEEvS12_,comdat
.Lfunc_end874:
	.size	_ZN7rocprim17ROCPRIM_400000_NS6detail17trampoline_kernelINS0_13select_configILj256ELj13ELNS0_17block_load_methodE3ELS4_3ELS4_3ELNS0_20block_scan_algorithmE0ELj4294967295EEENS1_25partition_config_selectorILNS1_17partition_subalgoE4EjNS0_10empty_typeEbEEZZNS1_14partition_implILS8_4ELb0ES6_15HIP_vector_typeIjLj2EENS0_17counting_iteratorIjlEEPS9_SG_NS0_5tupleIJPjSI_NS0_16reverse_iteratorISI_EEEEENSH_IJSG_SG_SG_EEES9_SI_JZNS1_25segmented_radix_sort_implINS0_14default_configELb1EPKsPsPKlPlN2at6native12_GLOBAL__N_18offset_tEEE10hipError_tPvRmT1_PNSt15iterator_traitsIS12_E10value_typeET2_T3_PNS13_IS18_E10value_typeET4_jRbjT5_S1E_jjP12ihipStream_tbEUljE_ZNSN_ISO_Lb1ESQ_SR_ST_SU_SY_EESZ_S10_S11_S12_S16_S17_S18_S1B_S1C_jS1D_jS1E_S1E_jjS1G_bEUljE0_EEESZ_S10_S11_S18_S1C_S1E_T6_T7_T9_mT8_S1G_bDpT10_ENKUlT_T0_E_clISt17integral_constantIbLb0EES1T_IbLb1EEEEDaS1P_S1Q_EUlS1P_E_NS1_11comp_targetILNS1_3genE8ELNS1_11target_archE1030ELNS1_3gpuE2ELNS1_3repE0EEENS1_30default_config_static_selectorELNS0_4arch9wavefront6targetE0EEEvS12_, .Lfunc_end874-_ZN7rocprim17ROCPRIM_400000_NS6detail17trampoline_kernelINS0_13select_configILj256ELj13ELNS0_17block_load_methodE3ELS4_3ELS4_3ELNS0_20block_scan_algorithmE0ELj4294967295EEENS1_25partition_config_selectorILNS1_17partition_subalgoE4EjNS0_10empty_typeEbEEZZNS1_14partition_implILS8_4ELb0ES6_15HIP_vector_typeIjLj2EENS0_17counting_iteratorIjlEEPS9_SG_NS0_5tupleIJPjSI_NS0_16reverse_iteratorISI_EEEEENSH_IJSG_SG_SG_EEES9_SI_JZNS1_25segmented_radix_sort_implINS0_14default_configELb1EPKsPsPKlPlN2at6native12_GLOBAL__N_18offset_tEEE10hipError_tPvRmT1_PNSt15iterator_traitsIS12_E10value_typeET2_T3_PNS13_IS18_E10value_typeET4_jRbjT5_S1E_jjP12ihipStream_tbEUljE_ZNSN_ISO_Lb1ESQ_SR_ST_SU_SY_EESZ_S10_S11_S12_S16_S17_S18_S1B_S1C_jS1D_jS1E_S1E_jjS1G_bEUljE0_EEESZ_S10_S11_S18_S1C_S1E_T6_T7_T9_mT8_S1G_bDpT10_ENKUlT_T0_E_clISt17integral_constantIbLb0EES1T_IbLb1EEEEDaS1P_S1Q_EUlS1P_E_NS1_11comp_targetILNS1_3genE8ELNS1_11target_archE1030ELNS1_3gpuE2ELNS1_3repE0EEENS1_30default_config_static_selectorELNS0_4arch9wavefront6targetE0EEEvS12_
                                        ; -- End function
	.set _ZN7rocprim17ROCPRIM_400000_NS6detail17trampoline_kernelINS0_13select_configILj256ELj13ELNS0_17block_load_methodE3ELS4_3ELS4_3ELNS0_20block_scan_algorithmE0ELj4294967295EEENS1_25partition_config_selectorILNS1_17partition_subalgoE4EjNS0_10empty_typeEbEEZZNS1_14partition_implILS8_4ELb0ES6_15HIP_vector_typeIjLj2EENS0_17counting_iteratorIjlEEPS9_SG_NS0_5tupleIJPjSI_NS0_16reverse_iteratorISI_EEEEENSH_IJSG_SG_SG_EEES9_SI_JZNS1_25segmented_radix_sort_implINS0_14default_configELb1EPKsPsPKlPlN2at6native12_GLOBAL__N_18offset_tEEE10hipError_tPvRmT1_PNSt15iterator_traitsIS12_E10value_typeET2_T3_PNS13_IS18_E10value_typeET4_jRbjT5_S1E_jjP12ihipStream_tbEUljE_ZNSN_ISO_Lb1ESQ_SR_ST_SU_SY_EESZ_S10_S11_S12_S16_S17_S18_S1B_S1C_jS1D_jS1E_S1E_jjS1G_bEUljE0_EEESZ_S10_S11_S18_S1C_S1E_T6_T7_T9_mT8_S1G_bDpT10_ENKUlT_T0_E_clISt17integral_constantIbLb0EES1T_IbLb1EEEEDaS1P_S1Q_EUlS1P_E_NS1_11comp_targetILNS1_3genE8ELNS1_11target_archE1030ELNS1_3gpuE2ELNS1_3repE0EEENS1_30default_config_static_selectorELNS0_4arch9wavefront6targetE0EEEvS12_.num_vgpr, 0
	.set _ZN7rocprim17ROCPRIM_400000_NS6detail17trampoline_kernelINS0_13select_configILj256ELj13ELNS0_17block_load_methodE3ELS4_3ELS4_3ELNS0_20block_scan_algorithmE0ELj4294967295EEENS1_25partition_config_selectorILNS1_17partition_subalgoE4EjNS0_10empty_typeEbEEZZNS1_14partition_implILS8_4ELb0ES6_15HIP_vector_typeIjLj2EENS0_17counting_iteratorIjlEEPS9_SG_NS0_5tupleIJPjSI_NS0_16reverse_iteratorISI_EEEEENSH_IJSG_SG_SG_EEES9_SI_JZNS1_25segmented_radix_sort_implINS0_14default_configELb1EPKsPsPKlPlN2at6native12_GLOBAL__N_18offset_tEEE10hipError_tPvRmT1_PNSt15iterator_traitsIS12_E10value_typeET2_T3_PNS13_IS18_E10value_typeET4_jRbjT5_S1E_jjP12ihipStream_tbEUljE_ZNSN_ISO_Lb1ESQ_SR_ST_SU_SY_EESZ_S10_S11_S12_S16_S17_S18_S1B_S1C_jS1D_jS1E_S1E_jjS1G_bEUljE0_EEESZ_S10_S11_S18_S1C_S1E_T6_T7_T9_mT8_S1G_bDpT10_ENKUlT_T0_E_clISt17integral_constantIbLb0EES1T_IbLb1EEEEDaS1P_S1Q_EUlS1P_E_NS1_11comp_targetILNS1_3genE8ELNS1_11target_archE1030ELNS1_3gpuE2ELNS1_3repE0EEENS1_30default_config_static_selectorELNS0_4arch9wavefront6targetE0EEEvS12_.num_agpr, 0
	.set _ZN7rocprim17ROCPRIM_400000_NS6detail17trampoline_kernelINS0_13select_configILj256ELj13ELNS0_17block_load_methodE3ELS4_3ELS4_3ELNS0_20block_scan_algorithmE0ELj4294967295EEENS1_25partition_config_selectorILNS1_17partition_subalgoE4EjNS0_10empty_typeEbEEZZNS1_14partition_implILS8_4ELb0ES6_15HIP_vector_typeIjLj2EENS0_17counting_iteratorIjlEEPS9_SG_NS0_5tupleIJPjSI_NS0_16reverse_iteratorISI_EEEEENSH_IJSG_SG_SG_EEES9_SI_JZNS1_25segmented_radix_sort_implINS0_14default_configELb1EPKsPsPKlPlN2at6native12_GLOBAL__N_18offset_tEEE10hipError_tPvRmT1_PNSt15iterator_traitsIS12_E10value_typeET2_T3_PNS13_IS18_E10value_typeET4_jRbjT5_S1E_jjP12ihipStream_tbEUljE_ZNSN_ISO_Lb1ESQ_SR_ST_SU_SY_EESZ_S10_S11_S12_S16_S17_S18_S1B_S1C_jS1D_jS1E_S1E_jjS1G_bEUljE0_EEESZ_S10_S11_S18_S1C_S1E_T6_T7_T9_mT8_S1G_bDpT10_ENKUlT_T0_E_clISt17integral_constantIbLb0EES1T_IbLb1EEEEDaS1P_S1Q_EUlS1P_E_NS1_11comp_targetILNS1_3genE8ELNS1_11target_archE1030ELNS1_3gpuE2ELNS1_3repE0EEENS1_30default_config_static_selectorELNS0_4arch9wavefront6targetE0EEEvS12_.numbered_sgpr, 0
	.set _ZN7rocprim17ROCPRIM_400000_NS6detail17trampoline_kernelINS0_13select_configILj256ELj13ELNS0_17block_load_methodE3ELS4_3ELS4_3ELNS0_20block_scan_algorithmE0ELj4294967295EEENS1_25partition_config_selectorILNS1_17partition_subalgoE4EjNS0_10empty_typeEbEEZZNS1_14partition_implILS8_4ELb0ES6_15HIP_vector_typeIjLj2EENS0_17counting_iteratorIjlEEPS9_SG_NS0_5tupleIJPjSI_NS0_16reverse_iteratorISI_EEEEENSH_IJSG_SG_SG_EEES9_SI_JZNS1_25segmented_radix_sort_implINS0_14default_configELb1EPKsPsPKlPlN2at6native12_GLOBAL__N_18offset_tEEE10hipError_tPvRmT1_PNSt15iterator_traitsIS12_E10value_typeET2_T3_PNS13_IS18_E10value_typeET4_jRbjT5_S1E_jjP12ihipStream_tbEUljE_ZNSN_ISO_Lb1ESQ_SR_ST_SU_SY_EESZ_S10_S11_S12_S16_S17_S18_S1B_S1C_jS1D_jS1E_S1E_jjS1G_bEUljE0_EEESZ_S10_S11_S18_S1C_S1E_T6_T7_T9_mT8_S1G_bDpT10_ENKUlT_T0_E_clISt17integral_constantIbLb0EES1T_IbLb1EEEEDaS1P_S1Q_EUlS1P_E_NS1_11comp_targetILNS1_3genE8ELNS1_11target_archE1030ELNS1_3gpuE2ELNS1_3repE0EEENS1_30default_config_static_selectorELNS0_4arch9wavefront6targetE0EEEvS12_.num_named_barrier, 0
	.set _ZN7rocprim17ROCPRIM_400000_NS6detail17trampoline_kernelINS0_13select_configILj256ELj13ELNS0_17block_load_methodE3ELS4_3ELS4_3ELNS0_20block_scan_algorithmE0ELj4294967295EEENS1_25partition_config_selectorILNS1_17partition_subalgoE4EjNS0_10empty_typeEbEEZZNS1_14partition_implILS8_4ELb0ES6_15HIP_vector_typeIjLj2EENS0_17counting_iteratorIjlEEPS9_SG_NS0_5tupleIJPjSI_NS0_16reverse_iteratorISI_EEEEENSH_IJSG_SG_SG_EEES9_SI_JZNS1_25segmented_radix_sort_implINS0_14default_configELb1EPKsPsPKlPlN2at6native12_GLOBAL__N_18offset_tEEE10hipError_tPvRmT1_PNSt15iterator_traitsIS12_E10value_typeET2_T3_PNS13_IS18_E10value_typeET4_jRbjT5_S1E_jjP12ihipStream_tbEUljE_ZNSN_ISO_Lb1ESQ_SR_ST_SU_SY_EESZ_S10_S11_S12_S16_S17_S18_S1B_S1C_jS1D_jS1E_S1E_jjS1G_bEUljE0_EEESZ_S10_S11_S18_S1C_S1E_T6_T7_T9_mT8_S1G_bDpT10_ENKUlT_T0_E_clISt17integral_constantIbLb0EES1T_IbLb1EEEEDaS1P_S1Q_EUlS1P_E_NS1_11comp_targetILNS1_3genE8ELNS1_11target_archE1030ELNS1_3gpuE2ELNS1_3repE0EEENS1_30default_config_static_selectorELNS0_4arch9wavefront6targetE0EEEvS12_.private_seg_size, 0
	.set _ZN7rocprim17ROCPRIM_400000_NS6detail17trampoline_kernelINS0_13select_configILj256ELj13ELNS0_17block_load_methodE3ELS4_3ELS4_3ELNS0_20block_scan_algorithmE0ELj4294967295EEENS1_25partition_config_selectorILNS1_17partition_subalgoE4EjNS0_10empty_typeEbEEZZNS1_14partition_implILS8_4ELb0ES6_15HIP_vector_typeIjLj2EENS0_17counting_iteratorIjlEEPS9_SG_NS0_5tupleIJPjSI_NS0_16reverse_iteratorISI_EEEEENSH_IJSG_SG_SG_EEES9_SI_JZNS1_25segmented_radix_sort_implINS0_14default_configELb1EPKsPsPKlPlN2at6native12_GLOBAL__N_18offset_tEEE10hipError_tPvRmT1_PNSt15iterator_traitsIS12_E10value_typeET2_T3_PNS13_IS18_E10value_typeET4_jRbjT5_S1E_jjP12ihipStream_tbEUljE_ZNSN_ISO_Lb1ESQ_SR_ST_SU_SY_EESZ_S10_S11_S12_S16_S17_S18_S1B_S1C_jS1D_jS1E_S1E_jjS1G_bEUljE0_EEESZ_S10_S11_S18_S1C_S1E_T6_T7_T9_mT8_S1G_bDpT10_ENKUlT_T0_E_clISt17integral_constantIbLb0EES1T_IbLb1EEEEDaS1P_S1Q_EUlS1P_E_NS1_11comp_targetILNS1_3genE8ELNS1_11target_archE1030ELNS1_3gpuE2ELNS1_3repE0EEENS1_30default_config_static_selectorELNS0_4arch9wavefront6targetE0EEEvS12_.uses_vcc, 0
	.set _ZN7rocprim17ROCPRIM_400000_NS6detail17trampoline_kernelINS0_13select_configILj256ELj13ELNS0_17block_load_methodE3ELS4_3ELS4_3ELNS0_20block_scan_algorithmE0ELj4294967295EEENS1_25partition_config_selectorILNS1_17partition_subalgoE4EjNS0_10empty_typeEbEEZZNS1_14partition_implILS8_4ELb0ES6_15HIP_vector_typeIjLj2EENS0_17counting_iteratorIjlEEPS9_SG_NS0_5tupleIJPjSI_NS0_16reverse_iteratorISI_EEEEENSH_IJSG_SG_SG_EEES9_SI_JZNS1_25segmented_radix_sort_implINS0_14default_configELb1EPKsPsPKlPlN2at6native12_GLOBAL__N_18offset_tEEE10hipError_tPvRmT1_PNSt15iterator_traitsIS12_E10value_typeET2_T3_PNS13_IS18_E10value_typeET4_jRbjT5_S1E_jjP12ihipStream_tbEUljE_ZNSN_ISO_Lb1ESQ_SR_ST_SU_SY_EESZ_S10_S11_S12_S16_S17_S18_S1B_S1C_jS1D_jS1E_S1E_jjS1G_bEUljE0_EEESZ_S10_S11_S18_S1C_S1E_T6_T7_T9_mT8_S1G_bDpT10_ENKUlT_T0_E_clISt17integral_constantIbLb0EES1T_IbLb1EEEEDaS1P_S1Q_EUlS1P_E_NS1_11comp_targetILNS1_3genE8ELNS1_11target_archE1030ELNS1_3gpuE2ELNS1_3repE0EEENS1_30default_config_static_selectorELNS0_4arch9wavefront6targetE0EEEvS12_.uses_flat_scratch, 0
	.set _ZN7rocprim17ROCPRIM_400000_NS6detail17trampoline_kernelINS0_13select_configILj256ELj13ELNS0_17block_load_methodE3ELS4_3ELS4_3ELNS0_20block_scan_algorithmE0ELj4294967295EEENS1_25partition_config_selectorILNS1_17partition_subalgoE4EjNS0_10empty_typeEbEEZZNS1_14partition_implILS8_4ELb0ES6_15HIP_vector_typeIjLj2EENS0_17counting_iteratorIjlEEPS9_SG_NS0_5tupleIJPjSI_NS0_16reverse_iteratorISI_EEEEENSH_IJSG_SG_SG_EEES9_SI_JZNS1_25segmented_radix_sort_implINS0_14default_configELb1EPKsPsPKlPlN2at6native12_GLOBAL__N_18offset_tEEE10hipError_tPvRmT1_PNSt15iterator_traitsIS12_E10value_typeET2_T3_PNS13_IS18_E10value_typeET4_jRbjT5_S1E_jjP12ihipStream_tbEUljE_ZNSN_ISO_Lb1ESQ_SR_ST_SU_SY_EESZ_S10_S11_S12_S16_S17_S18_S1B_S1C_jS1D_jS1E_S1E_jjS1G_bEUljE0_EEESZ_S10_S11_S18_S1C_S1E_T6_T7_T9_mT8_S1G_bDpT10_ENKUlT_T0_E_clISt17integral_constantIbLb0EES1T_IbLb1EEEEDaS1P_S1Q_EUlS1P_E_NS1_11comp_targetILNS1_3genE8ELNS1_11target_archE1030ELNS1_3gpuE2ELNS1_3repE0EEENS1_30default_config_static_selectorELNS0_4arch9wavefront6targetE0EEEvS12_.has_dyn_sized_stack, 0
	.set _ZN7rocprim17ROCPRIM_400000_NS6detail17trampoline_kernelINS0_13select_configILj256ELj13ELNS0_17block_load_methodE3ELS4_3ELS4_3ELNS0_20block_scan_algorithmE0ELj4294967295EEENS1_25partition_config_selectorILNS1_17partition_subalgoE4EjNS0_10empty_typeEbEEZZNS1_14partition_implILS8_4ELb0ES6_15HIP_vector_typeIjLj2EENS0_17counting_iteratorIjlEEPS9_SG_NS0_5tupleIJPjSI_NS0_16reverse_iteratorISI_EEEEENSH_IJSG_SG_SG_EEES9_SI_JZNS1_25segmented_radix_sort_implINS0_14default_configELb1EPKsPsPKlPlN2at6native12_GLOBAL__N_18offset_tEEE10hipError_tPvRmT1_PNSt15iterator_traitsIS12_E10value_typeET2_T3_PNS13_IS18_E10value_typeET4_jRbjT5_S1E_jjP12ihipStream_tbEUljE_ZNSN_ISO_Lb1ESQ_SR_ST_SU_SY_EESZ_S10_S11_S12_S16_S17_S18_S1B_S1C_jS1D_jS1E_S1E_jjS1G_bEUljE0_EEESZ_S10_S11_S18_S1C_S1E_T6_T7_T9_mT8_S1G_bDpT10_ENKUlT_T0_E_clISt17integral_constantIbLb0EES1T_IbLb1EEEEDaS1P_S1Q_EUlS1P_E_NS1_11comp_targetILNS1_3genE8ELNS1_11target_archE1030ELNS1_3gpuE2ELNS1_3repE0EEENS1_30default_config_static_selectorELNS0_4arch9wavefront6targetE0EEEvS12_.has_recursion, 0
	.set _ZN7rocprim17ROCPRIM_400000_NS6detail17trampoline_kernelINS0_13select_configILj256ELj13ELNS0_17block_load_methodE3ELS4_3ELS4_3ELNS0_20block_scan_algorithmE0ELj4294967295EEENS1_25partition_config_selectorILNS1_17partition_subalgoE4EjNS0_10empty_typeEbEEZZNS1_14partition_implILS8_4ELb0ES6_15HIP_vector_typeIjLj2EENS0_17counting_iteratorIjlEEPS9_SG_NS0_5tupleIJPjSI_NS0_16reverse_iteratorISI_EEEEENSH_IJSG_SG_SG_EEES9_SI_JZNS1_25segmented_radix_sort_implINS0_14default_configELb1EPKsPsPKlPlN2at6native12_GLOBAL__N_18offset_tEEE10hipError_tPvRmT1_PNSt15iterator_traitsIS12_E10value_typeET2_T3_PNS13_IS18_E10value_typeET4_jRbjT5_S1E_jjP12ihipStream_tbEUljE_ZNSN_ISO_Lb1ESQ_SR_ST_SU_SY_EESZ_S10_S11_S12_S16_S17_S18_S1B_S1C_jS1D_jS1E_S1E_jjS1G_bEUljE0_EEESZ_S10_S11_S18_S1C_S1E_T6_T7_T9_mT8_S1G_bDpT10_ENKUlT_T0_E_clISt17integral_constantIbLb0EES1T_IbLb1EEEEDaS1P_S1Q_EUlS1P_E_NS1_11comp_targetILNS1_3genE8ELNS1_11target_archE1030ELNS1_3gpuE2ELNS1_3repE0EEENS1_30default_config_static_selectorELNS0_4arch9wavefront6targetE0EEEvS12_.has_indirect_call, 0
	.section	.AMDGPU.csdata,"",@progbits
; Kernel info:
; codeLenInByte = 0
; TotalNumSgprs: 0
; NumVgprs: 0
; ScratchSize: 0
; MemoryBound: 0
; FloatMode: 240
; IeeeMode: 1
; LDSByteSize: 0 bytes/workgroup (compile time only)
; SGPRBlocks: 0
; VGPRBlocks: 0
; NumSGPRsForWavesPerEU: 1
; NumVGPRsForWavesPerEU: 1
; NamedBarCnt: 0
; Occupancy: 16
; WaveLimiterHint : 0
; COMPUTE_PGM_RSRC2:SCRATCH_EN: 0
; COMPUTE_PGM_RSRC2:USER_SGPR: 2
; COMPUTE_PGM_RSRC2:TRAP_HANDLER: 0
; COMPUTE_PGM_RSRC2:TGID_X_EN: 1
; COMPUTE_PGM_RSRC2:TGID_Y_EN: 0
; COMPUTE_PGM_RSRC2:TGID_Z_EN: 0
; COMPUTE_PGM_RSRC2:TIDIG_COMP_CNT: 0
	.section	.text._ZN7rocprim17ROCPRIM_400000_NS6detail17trampoline_kernelINS0_13select_configILj256ELj13ELNS0_17block_load_methodE3ELS4_3ELS4_3ELNS0_20block_scan_algorithmE0ELj4294967295EEENS1_25partition_config_selectorILNS1_17partition_subalgoE3EjNS0_10empty_typeEbEEZZNS1_14partition_implILS8_3ELb0ES6_jNS0_17counting_iteratorIjlEEPS9_SE_NS0_5tupleIJPjSE_EEENSF_IJSE_SE_EEES9_SG_JZNS1_25segmented_radix_sort_implINS0_14default_configELb1EPKsPsPKlPlN2at6native12_GLOBAL__N_18offset_tEEE10hipError_tPvRmT1_PNSt15iterator_traitsISY_E10value_typeET2_T3_PNSZ_IS14_E10value_typeET4_jRbjT5_S1A_jjP12ihipStream_tbEUljE_EEESV_SW_SX_S14_S18_S1A_T6_T7_T9_mT8_S1C_bDpT10_ENKUlT_T0_E_clISt17integral_constantIbLb0EES1P_EEDaS1K_S1L_EUlS1K_E_NS1_11comp_targetILNS1_3genE0ELNS1_11target_archE4294967295ELNS1_3gpuE0ELNS1_3repE0EEENS1_30default_config_static_selectorELNS0_4arch9wavefront6targetE0EEEvSY_,"axG",@progbits,_ZN7rocprim17ROCPRIM_400000_NS6detail17trampoline_kernelINS0_13select_configILj256ELj13ELNS0_17block_load_methodE3ELS4_3ELS4_3ELNS0_20block_scan_algorithmE0ELj4294967295EEENS1_25partition_config_selectorILNS1_17partition_subalgoE3EjNS0_10empty_typeEbEEZZNS1_14partition_implILS8_3ELb0ES6_jNS0_17counting_iteratorIjlEEPS9_SE_NS0_5tupleIJPjSE_EEENSF_IJSE_SE_EEES9_SG_JZNS1_25segmented_radix_sort_implINS0_14default_configELb1EPKsPsPKlPlN2at6native12_GLOBAL__N_18offset_tEEE10hipError_tPvRmT1_PNSt15iterator_traitsISY_E10value_typeET2_T3_PNSZ_IS14_E10value_typeET4_jRbjT5_S1A_jjP12ihipStream_tbEUljE_EEESV_SW_SX_S14_S18_S1A_T6_T7_T9_mT8_S1C_bDpT10_ENKUlT_T0_E_clISt17integral_constantIbLb0EES1P_EEDaS1K_S1L_EUlS1K_E_NS1_11comp_targetILNS1_3genE0ELNS1_11target_archE4294967295ELNS1_3gpuE0ELNS1_3repE0EEENS1_30default_config_static_selectorELNS0_4arch9wavefront6targetE0EEEvSY_,comdat
	.globl	_ZN7rocprim17ROCPRIM_400000_NS6detail17trampoline_kernelINS0_13select_configILj256ELj13ELNS0_17block_load_methodE3ELS4_3ELS4_3ELNS0_20block_scan_algorithmE0ELj4294967295EEENS1_25partition_config_selectorILNS1_17partition_subalgoE3EjNS0_10empty_typeEbEEZZNS1_14partition_implILS8_3ELb0ES6_jNS0_17counting_iteratorIjlEEPS9_SE_NS0_5tupleIJPjSE_EEENSF_IJSE_SE_EEES9_SG_JZNS1_25segmented_radix_sort_implINS0_14default_configELb1EPKsPsPKlPlN2at6native12_GLOBAL__N_18offset_tEEE10hipError_tPvRmT1_PNSt15iterator_traitsISY_E10value_typeET2_T3_PNSZ_IS14_E10value_typeET4_jRbjT5_S1A_jjP12ihipStream_tbEUljE_EEESV_SW_SX_S14_S18_S1A_T6_T7_T9_mT8_S1C_bDpT10_ENKUlT_T0_E_clISt17integral_constantIbLb0EES1P_EEDaS1K_S1L_EUlS1K_E_NS1_11comp_targetILNS1_3genE0ELNS1_11target_archE4294967295ELNS1_3gpuE0ELNS1_3repE0EEENS1_30default_config_static_selectorELNS0_4arch9wavefront6targetE0EEEvSY_ ; -- Begin function _ZN7rocprim17ROCPRIM_400000_NS6detail17trampoline_kernelINS0_13select_configILj256ELj13ELNS0_17block_load_methodE3ELS4_3ELS4_3ELNS0_20block_scan_algorithmE0ELj4294967295EEENS1_25partition_config_selectorILNS1_17partition_subalgoE3EjNS0_10empty_typeEbEEZZNS1_14partition_implILS8_3ELb0ES6_jNS0_17counting_iteratorIjlEEPS9_SE_NS0_5tupleIJPjSE_EEENSF_IJSE_SE_EEES9_SG_JZNS1_25segmented_radix_sort_implINS0_14default_configELb1EPKsPsPKlPlN2at6native12_GLOBAL__N_18offset_tEEE10hipError_tPvRmT1_PNSt15iterator_traitsISY_E10value_typeET2_T3_PNSZ_IS14_E10value_typeET4_jRbjT5_S1A_jjP12ihipStream_tbEUljE_EEESV_SW_SX_S14_S18_S1A_T6_T7_T9_mT8_S1C_bDpT10_ENKUlT_T0_E_clISt17integral_constantIbLb0EES1P_EEDaS1K_S1L_EUlS1K_E_NS1_11comp_targetILNS1_3genE0ELNS1_11target_archE4294967295ELNS1_3gpuE0ELNS1_3repE0EEENS1_30default_config_static_selectorELNS0_4arch9wavefront6targetE0EEEvSY_
	.p2align	8
	.type	_ZN7rocprim17ROCPRIM_400000_NS6detail17trampoline_kernelINS0_13select_configILj256ELj13ELNS0_17block_load_methodE3ELS4_3ELS4_3ELNS0_20block_scan_algorithmE0ELj4294967295EEENS1_25partition_config_selectorILNS1_17partition_subalgoE3EjNS0_10empty_typeEbEEZZNS1_14partition_implILS8_3ELb0ES6_jNS0_17counting_iteratorIjlEEPS9_SE_NS0_5tupleIJPjSE_EEENSF_IJSE_SE_EEES9_SG_JZNS1_25segmented_radix_sort_implINS0_14default_configELb1EPKsPsPKlPlN2at6native12_GLOBAL__N_18offset_tEEE10hipError_tPvRmT1_PNSt15iterator_traitsISY_E10value_typeET2_T3_PNSZ_IS14_E10value_typeET4_jRbjT5_S1A_jjP12ihipStream_tbEUljE_EEESV_SW_SX_S14_S18_S1A_T6_T7_T9_mT8_S1C_bDpT10_ENKUlT_T0_E_clISt17integral_constantIbLb0EES1P_EEDaS1K_S1L_EUlS1K_E_NS1_11comp_targetILNS1_3genE0ELNS1_11target_archE4294967295ELNS1_3gpuE0ELNS1_3repE0EEENS1_30default_config_static_selectorELNS0_4arch9wavefront6targetE0EEEvSY_,@function
_ZN7rocprim17ROCPRIM_400000_NS6detail17trampoline_kernelINS0_13select_configILj256ELj13ELNS0_17block_load_methodE3ELS4_3ELS4_3ELNS0_20block_scan_algorithmE0ELj4294967295EEENS1_25partition_config_selectorILNS1_17partition_subalgoE3EjNS0_10empty_typeEbEEZZNS1_14partition_implILS8_3ELb0ES6_jNS0_17counting_iteratorIjlEEPS9_SE_NS0_5tupleIJPjSE_EEENSF_IJSE_SE_EEES9_SG_JZNS1_25segmented_radix_sort_implINS0_14default_configELb1EPKsPsPKlPlN2at6native12_GLOBAL__N_18offset_tEEE10hipError_tPvRmT1_PNSt15iterator_traitsISY_E10value_typeET2_T3_PNSZ_IS14_E10value_typeET4_jRbjT5_S1A_jjP12ihipStream_tbEUljE_EEESV_SW_SX_S14_S18_S1A_T6_T7_T9_mT8_S1C_bDpT10_ENKUlT_T0_E_clISt17integral_constantIbLb0EES1P_EEDaS1K_S1L_EUlS1K_E_NS1_11comp_targetILNS1_3genE0ELNS1_11target_archE4294967295ELNS1_3gpuE0ELNS1_3repE0EEENS1_30default_config_static_selectorELNS0_4arch9wavefront6targetE0EEEvSY_: ; @_ZN7rocprim17ROCPRIM_400000_NS6detail17trampoline_kernelINS0_13select_configILj256ELj13ELNS0_17block_load_methodE3ELS4_3ELS4_3ELNS0_20block_scan_algorithmE0ELj4294967295EEENS1_25partition_config_selectorILNS1_17partition_subalgoE3EjNS0_10empty_typeEbEEZZNS1_14partition_implILS8_3ELb0ES6_jNS0_17counting_iteratorIjlEEPS9_SE_NS0_5tupleIJPjSE_EEENSF_IJSE_SE_EEES9_SG_JZNS1_25segmented_radix_sort_implINS0_14default_configELb1EPKsPsPKlPlN2at6native12_GLOBAL__N_18offset_tEEE10hipError_tPvRmT1_PNSt15iterator_traitsISY_E10value_typeET2_T3_PNSZ_IS14_E10value_typeET4_jRbjT5_S1A_jjP12ihipStream_tbEUljE_EEESV_SW_SX_S14_S18_S1A_T6_T7_T9_mT8_S1C_bDpT10_ENKUlT_T0_E_clISt17integral_constantIbLb0EES1P_EEDaS1K_S1L_EUlS1K_E_NS1_11comp_targetILNS1_3genE0ELNS1_11target_archE4294967295ELNS1_3gpuE0ELNS1_3repE0EEENS1_30default_config_static_selectorELNS0_4arch9wavefront6targetE0EEEvSY_
; %bb.0:
	s_clause 0x4
	s_load_b128 s[8:11], s[0:1], 0x48
	s_load_b32 s2, s[0:1], 0x70
	s_load_b64 s[12:13], s[0:1], 0x10
	s_load_b64 s[14:15], s[0:1], 0x58
	s_load_b32 s20, s[0:1], 0x8
	s_bfe_u32 s3, ttmp6, 0x4000c
	s_and_b32 s4, ttmp6, 15
	s_add_co_i32 s3, s3, 1
	s_getreg_b32 s5, hwreg(HW_REG_IB_STS2, 6, 4)
	s_mul_i32 s3, ttmp9, s3
	s_mov_b32 s17, 0
	s_add_co_i32 s16, s4, s3
	s_cmp_eq_u32 s5, 0
	s_clause 0x1
	s_load_b32 s3, s[0:1], 0x88
	s_load_b128 s[4:7], s[0:1], 0x78
	s_cselect_b32 s24, ttmp9, s16
	v_lshlrev_b32_e32 v19, 2, v0
	s_wait_kmcnt 0x0
	s_load_b64 s[18:19], s[10:11], 0x0
	s_mul_i32 s16, s2, 0xd00
	s_add_co_i32 s2, s2, -1
	s_add_co_i32 s21, s16, s12
	s_wait_xcnt 0x0
	s_add_nc_u64 s[10:11], s[12:13], s[16:17]
	s_sub_co_i32 s23, s14, s21
	v_cmp_gt_u64_e64 s11, s[14:15], s[10:11]
	s_addk_co_i32 s23, 0xd00
	s_cmp_eq_u32 s24, s2
	s_mul_i32 s10, s24, 0xd00
	s_cselect_b32 s22, -1, 0
	s_cmp_lg_u32 s24, s2
	s_mov_b32 s17, -1
	s_cselect_b32 s2, -1, 0
	s_add_co_i32 s16, s20, s10
	s_or_b32 s11, s2, s11
	s_add_co_i32 s16, s16, s12
	s_and_b32 vcc_lo, exec_lo, s11
	v_add_nc_u32_e32 v1, s16, v0
	s_cbranch_vccz .LBB875_2
; %bb.1:
	s_delay_alu instid0(VALU_DEP_1)
	v_add_nc_u32_e32 v2, 0x100, v1
	v_add_nc_u32_e32 v3, 0x200, v1
	;; [unrolled: 1-line block ×12, first 2 shown]
	ds_store_2addr_stride64_b32 v19, v1, v2 offset1:4
	ds_store_2addr_stride64_b32 v19, v3, v4 offset0:8 offset1:12
	ds_store_2addr_stride64_b32 v19, v5, v6 offset0:16 offset1:20
	;; [unrolled: 1-line block ×5, first 2 shown]
	ds_store_b32 v19, v13 offset:12288
	s_wait_dscnt 0x0
	s_barrier_signal -1
	s_mov_b32 s17, 0
	s_barrier_wait -1
.LBB875_2:
	v_cmp_gt_u32_e64 s2, s23, v0
	v_or_b32_e32 v40, 0x100, v0
	v_or_b32_e32 v38, 0x200, v0
	;; [unrolled: 1-line block ×12, first 2 shown]
	s_and_not1_b32 vcc_lo, exec_lo, s17
	s_cbranch_vccnz .LBB875_4
; %bb.3:
	v_dual_add_nc_u32 v2, s16, v40 :: v_dual_cndmask_b32 v1, 0, v1, s2
	v_cmp_gt_u32_e32 vcc_lo, s23, v40
	v_dual_add_nc_u32 v3, s16, v38 :: v_dual_add_nc_u32 v4, s16, v36
	v_dual_add_nc_u32 v7, s16, v30 :: v_dual_add_nc_u32 v8, s16, v28
	s_delay_alu instid0(VALU_DEP_4)
	v_cndmask_b32_e32 v2, 0, v2, vcc_lo
	v_cmp_gt_u32_e32 vcc_lo, s23, v38
	v_dual_add_nc_u32 v11, s16, v22 :: v_dual_add_nc_u32 v12, s16, v20
	v_cndmask_b32_e32 v3, 0, v3, vcc_lo
	v_cmp_gt_u32_e32 vcc_lo, s23, v36
	v_dual_cndmask_b32 v4, 0, v4 :: v_dual_add_nc_u32 v5, s16, v34
	v_cmp_gt_u32_e32 vcc_lo, s23, v34
	s_delay_alu instid0(VALU_DEP_2) | instskip(SKIP_1) | instid1(VALU_DEP_2)
	v_dual_cndmask_b32 v5, 0, v5 :: v_dual_add_nc_u32 v6, s16, v32
	v_cmp_gt_u32_e32 vcc_lo, s23, v32
	v_cndmask_b32_e32 v6, 0, v6, vcc_lo
	v_cmp_gt_u32_e32 vcc_lo, s23, v30
	v_cndmask_b32_e32 v7, 0, v7, vcc_lo
	v_cmp_gt_u32_e32 vcc_lo, s23, v28
	v_dual_cndmask_b32 v8, 0, v8 :: v_dual_add_nc_u32 v9, s16, v26
	v_cmp_gt_u32_e32 vcc_lo, s23, v26
	s_delay_alu instid0(VALU_DEP_2) | instskip(SKIP_1) | instid1(VALU_DEP_2)
	v_dual_cndmask_b32 v9, 0, v9 :: v_dual_add_nc_u32 v10, s16, v24
	v_cmp_gt_u32_e32 vcc_lo, s23, v24
	v_cndmask_b32_e32 v10, 0, v10, vcc_lo
	v_cmp_gt_u32_e32 vcc_lo, s23, v22
	v_cndmask_b32_e32 v11, 0, v11, vcc_lo
	v_cmp_gt_u32_e32 vcc_lo, s23, v20
	v_dual_cndmask_b32 v12, 0, v12 :: v_dual_add_nc_u32 v13, s16, v18
	v_cmp_gt_u32_e32 vcc_lo, s23, v18
	s_delay_alu instid0(VALU_DEP_2)
	v_cndmask_b32_e32 v13, 0, v13, vcc_lo
	ds_store_2addr_stride64_b32 v19, v1, v2 offset1:4
	ds_store_2addr_stride64_b32 v19, v3, v4 offset0:8 offset1:12
	ds_store_2addr_stride64_b32 v19, v5, v6 offset0:16 offset1:20
	;; [unrolled: 1-line block ×5, first 2 shown]
	ds_store_b32 v19, v13 offset:12288
	s_wait_dscnt 0x0
	s_barrier_signal -1
	s_barrier_wait -1
.LBB875_4:
	v_mul_u32_u24_e32 v23, 13, v0
	v_cndmask_b32_e64 v21, 0, 1, s11
	s_and_not1_b32 vcc_lo, exec_lo, s11
	s_delay_alu instid0(VALU_DEP_2)
	v_lshlrev_b32_e32 v2, 2, v23
	ds_load_2addr_b32 v[50:51], v2 offset0:2 offset1:3
	ds_load_2addr_b32 v[46:47], v2 offset0:6 offset1:7
	;; [unrolled: 1-line block ×3, first 2 shown]
	ds_load_2addr_b32 v[52:53], v2 offset1:1
	ds_load_2addr_b32 v[42:43], v2 offset0:10 offset1:11
	ds_load_b32 v1, v2 offset:48
	ds_load_2addr_b32 v[44:45], v2 offset0:8 offset1:9
	s_wait_dscnt 0x0
	s_barrier_signal -1
	s_barrier_wait -1
	s_cbranch_vccnz .LBB875_6
; %bb.5:
	v_dual_add_nc_u32 v2, s5, v51 :: v_dual_add_nc_u32 v3, s5, v53
	v_dual_add_nc_u32 v4, s5, v52 :: v_dual_add_nc_u32 v5, s5, v50
	;; [unrolled: 1-line block ×4, first 2 shown]
	s_delay_alu instid0(VALU_DEP_3) | instskip(NEXT) | instid1(VALU_DEP_4)
	v_mul_lo_u32 v5, v5, s4
	v_mul_lo_u32 v4, v4, s4
	;; [unrolled: 1-line block ×8, first 2 shown]
	v_dual_add_nc_u32 v10, s5, v48 :: v_dual_add_nc_u32 v11, s7, v48
	v_dual_add_nc_u32 v14, s7, v43 :: v_dual_add_nc_u32 v15, s5, v42
	;; [unrolled: 1-line block ×3, first 2 shown]
	s_delay_alu instid0(VALU_DEP_3)
	v_mul_lo_u32 v10, v10, s4
	v_dual_sub_nc_u32 v2, v2, v6 :: v_dual_sub_nc_u32 v3, v3, v7
	v_dual_sub_nc_u32 v4, v4, v8 :: v_dual_sub_nc_u32 v5, v5, v9
	v_dual_add_nc_u32 v6, s5, v49 :: v_dual_add_nc_u32 v7, s7, v49
	v_dual_add_nc_u32 v8, s5, v47 :: v_dual_add_nc_u32 v9, s7, v47
	v_mul_lo_u32 v11, v11, s6
	s_delay_alu instid0(VALU_DEP_3) | instskip(NEXT) | instid1(VALU_DEP_4)
	v_mul_lo_u32 v6, v6, s4
	v_mul_lo_u32 v7, v7, s6
	s_delay_alu instid0(VALU_DEP_4)
	v_mul_lo_u32 v8, v8, s4
	v_mul_lo_u32 v9, v9, s6
	v_cmp_lt_u32_e32 vcc_lo, s3, v2
	v_dual_add_nc_u32 v12, s5, v46 :: v_dual_add_nc_u32 v13, s5, v44
	v_mul_lo_u32 v14, v14, s6
	v_mul_lo_u32 v16, v16, s6
	v_cndmask_b32_e64 v2, 0, 1, vcc_lo
	v_cmp_lt_u32_e32 vcc_lo, s3, v3
	v_mul_lo_u32 v13, v13, s4
	v_dual_sub_nc_u32 v6, v6, v7 :: v_dual_add_nc_u32 v7, s7, v46
	v_dual_sub_nc_u32 v8, v8, v9 :: v_dual_sub_nc_u32 v9, v10, v11
	v_dual_add_nc_u32 v11, s5, v45 :: v_dual_add_nc_u32 v10, s5, v43
	v_cndmask_b32_e64 v3, 0, 1, vcc_lo
	s_delay_alu instid0(VALU_DEP_4)
	v_cmp_lt_u32_e32 vcc_lo, s3, v6
	v_mul_lo_u32 v12, v12, s4
	v_mul_lo_u32 v7, v7, s6
	;; [unrolled: 1-line block ×4, first 2 shown]
	v_cndmask_b32_e64 v6, 0, 1, vcc_lo
	v_cmp_lt_u32_e32 vcc_lo, s3, v8
	v_lshlrev_b16 v3, 8, v3
	v_add_nc_u32_e32 v25, s7, v42
	v_mul_lo_u32 v17, v17, s6
	v_lshlrev_b16 v6, 8, v6
	v_cndmask_b32_e64 v8, 0, 1, vcc_lo
	v_cmp_lt_u32_e32 vcc_lo, s3, v4
	v_dual_sub_nc_u32 v7, v12, v7 :: v_dual_sub_nc_u32 v10, v10, v14
	v_mul_lo_u32 v12, v15, s4
	v_mul_lo_u32 v15, v25, s6
	v_dual_add_nc_u32 v25, s7, v1 :: v_dual_lshrrev_b32 v3, 8, v3
	v_sub_nc_u32_e32 v11, v11, v16
	v_cndmask_b32_e64 v4, 0, 1, vcc_lo
	v_cmp_lt_u32_e32 vcc_lo, s3, v10
	v_dual_lshrrev_b32 v6, 8, v6 :: v_dual_add_nc_u32 v14, s5, v1
	v_mul_lo_u32 v16, v25, s6
	v_lshlrev_b16 v2, 8, v2
	v_cndmask_b32_e64 v10, 0, 1, vcc_lo
	v_cmp_lt_u32_e32 vcc_lo, s3, v11
	v_mul_lo_u32 v14, v14, s4
	v_dual_sub_nc_u32 v13, v13, v17 :: v_dual_sub_nc_u32 v12, v12, v15
	v_lshlrev_b16 v3, 8, v3
	v_cndmask_b32_e64 v11, 0, 1, vcc_lo
	v_cmp_lt_u32_e32 vcc_lo, s3, v5
	v_lshrrev_b32_e32 v2, 8, v2
	v_lshlrev_b16 v8, 8, v8
	v_or_b32_e32 v3, v4, v3
	v_lshlrev_b16 v4, 8, v10
	v_cndmask_b32_e64 v5, 0, 1, vcc_lo
	v_cmp_lt_u32_e32 vcc_lo, s3, v9
	v_lshlrev_b16 v10, 8, v11
	v_sub_nc_u32_e32 v11, v14, v16
	v_lshlrev_b16 v2, 8, v2
	v_lshrrev_b32_e32 v4, 8, v4
	v_cndmask_b32_e64 v9, 0, 1, vcc_lo
	v_cmp_lt_u32_e32 vcc_lo, s3, v7
	v_lshrrev_b32_e32 v10, 8, v10
	v_lshlrev_b16 v6, 8, v6
	v_or_b32_e32 v2, v5, v2
	v_lshlrev_b16 v4, 8, v4
	v_cndmask_b32_e64 v7, 0, 1, vcc_lo
	v_cmp_lt_u32_e32 vcc_lo, s3, v13
	v_lshlrev_b16 v10, 8, v10
	v_or_b32_e32 v5, v9, v6
	v_and_b32_e32 v3, 0xffff, v3
	v_dual_lshlrev_b32 v2, 16, v2 :: v_dual_bitop2_b32 v6, v7, v8 bitop3:0x54
	v_cndmask_b32_e64 v13, 0, 1, vcc_lo
	v_cmp_lt_u32_e32 vcc_lo, s3, v12
	s_delay_alu instid0(VALU_DEP_3) | instskip(SKIP_4) | instid1(VALU_DEP_4)
	v_lshlrev_b32_e32 v6, 16, v6
	v_and_b32_e32 v5, 0xffff, v5
	v_or_b32_e32 v35, v3, v2
	v_cndmask_b32_e64 v12, 0, 1, vcc_lo
	v_cmp_lt_u32_e32 vcc_lo, s3, v11
	v_or_b32_e32 v31, v5, v6
	s_delay_alu instid0(VALU_DEP_3) | instskip(SKIP_2) | instid1(VALU_DEP_3)
	v_or_b32_e32 v4, v12, v4
	v_or_b32_e32 v7, v13, v10
	v_cndmask_b32_e64 v25, 0, 1, vcc_lo
	v_lshlrev_b32_e32 v4, 16, v4
	s_delay_alu instid0(VALU_DEP_3) | instskip(NEXT) | instid1(VALU_DEP_1)
	v_and_b32_e32 v7, 0xffff, v7
	v_or_b32_e32 v27, v7, v4
	s_load_b64 s[20:21], s[0:1], 0x68
	s_cbranch_execz .LBB875_7
	s_branch .LBB875_34
.LBB875_6:
                                        ; implicit-def: $vgpr25
                                        ; implicit-def: $vgpr27
                                        ; implicit-def: $vgpr31
                                        ; implicit-def: $vgpr35
	s_load_b64 s[20:21], s[0:1], 0x68
.LBB875_7:
	v_dual_mov_b32 v3, 0 :: v_dual_mov_b32 v2, 0
	s_mov_b32 s2, exec_lo
	v_cmpx_gt_u32_e64 s23, v23
	s_cbranch_execz .LBB875_9
; %bb.8:
	v_dual_add_nc_u32 v2, s5, v52 :: v_dual_add_nc_u32 v4, s7, v52
	s_delay_alu instid0(VALU_DEP_1) | instskip(NEXT) | instid1(VALU_DEP_2)
	v_mul_lo_u32 v2, v2, s4
	v_mul_lo_u32 v4, v4, s6
	s_delay_alu instid0(VALU_DEP_1) | instskip(NEXT) | instid1(VALU_DEP_1)
	v_sub_nc_u32_e32 v2, v2, v4
	v_cmp_lt_u32_e32 vcc_lo, s3, v2
	v_cndmask_b32_e64 v2, 0, 1, vcc_lo
.LBB875_9:
	s_or_b32 exec_lo, exec_lo, s2
	v_add_nc_u32_e32 v4, 1, v23
	s_mov_b32 s2, exec_lo
	s_delay_alu instid0(VALU_DEP_1)
	v_cmpx_gt_u32_e64 s23, v4
	s_cbranch_execz .LBB875_11
; %bb.10:
	v_dual_add_nc_u32 v3, s5, v53 :: v_dual_add_nc_u32 v4, s7, v53
	s_delay_alu instid0(VALU_DEP_1) | instskip(NEXT) | instid1(VALU_DEP_2)
	v_mul_lo_u32 v3, v3, s4
	v_mul_lo_u32 v4, v4, s6
	s_delay_alu instid0(VALU_DEP_1) | instskip(NEXT) | instid1(VALU_DEP_1)
	v_sub_nc_u32_e32 v3, v3, v4
	v_cmp_lt_u32_e32 vcc_lo, s3, v3
	v_cndmask_b32_e64 v3, 0, 1, vcc_lo
.LBB875_11:
	s_or_b32 exec_lo, exec_lo, s2
	v_dual_mov_b32 v5, 0 :: v_dual_add_nc_u32 v4, 2, v23
	s_delay_alu instid0(VALU_DEP_1)
	v_cmp_gt_u32_e32 vcc_lo, s23, v4
	v_mov_b32_e32 v4, 0
	s_and_saveexec_b32 s2, vcc_lo
	s_cbranch_execz .LBB875_13
; %bb.12:
	v_dual_add_nc_u32 v4, s5, v50 :: v_dual_add_nc_u32 v6, s7, v50
	s_delay_alu instid0(VALU_DEP_1) | instskip(NEXT) | instid1(VALU_DEP_2)
	v_mul_lo_u32 v4, v4, s4
	v_mul_lo_u32 v6, v6, s6
	s_delay_alu instid0(VALU_DEP_1) | instskip(NEXT) | instid1(VALU_DEP_1)
	v_sub_nc_u32_e32 v4, v4, v6
	v_cmp_lt_u32_e32 vcc_lo, s3, v4
	v_cndmask_b32_e64 v4, 0, 1, vcc_lo
.LBB875_13:
	s_or_b32 exec_lo, exec_lo, s2
	v_add_nc_u32_e32 v6, 3, v23
	s_mov_b32 s2, exec_lo
	s_delay_alu instid0(VALU_DEP_1)
	v_cmpx_gt_u32_e64 s23, v6
	s_cbranch_execz .LBB875_15
; %bb.14:
	v_dual_add_nc_u32 v5, s5, v51 :: v_dual_add_nc_u32 v6, s7, v51
	s_delay_alu instid0(VALU_DEP_1) | instskip(NEXT) | instid1(VALU_DEP_2)
	v_mul_lo_u32 v5, v5, s4
	v_mul_lo_u32 v6, v6, s6
	s_delay_alu instid0(VALU_DEP_1) | instskip(NEXT) | instid1(VALU_DEP_1)
	v_sub_nc_u32_e32 v5, v5, v6
	v_cmp_lt_u32_e32 vcc_lo, s3, v5
	v_cndmask_b32_e64 v5, 0, 1, vcc_lo
.LBB875_15:
	s_or_b32 exec_lo, exec_lo, s2
	v_dual_mov_b32 v7, 0 :: v_dual_add_nc_u32 v6, 4, v23
	s_delay_alu instid0(VALU_DEP_1)
	v_cmp_gt_u32_e32 vcc_lo, s23, v6
	v_mov_b32_e32 v6, 0
	s_and_saveexec_b32 s2, vcc_lo
	;; [unrolled: 33-line block ×5, first 2 shown]
	s_cbranch_execz .LBB875_29
; %bb.28:
	v_dual_add_nc_u32 v12, s5, v42 :: v_dual_add_nc_u32 v14, s7, v42
	s_delay_alu instid0(VALU_DEP_1) | instskip(NEXT) | instid1(VALU_DEP_2)
	v_mul_lo_u32 v12, v12, s4
	v_mul_lo_u32 v14, v14, s6
	s_delay_alu instid0(VALU_DEP_1) | instskip(NEXT) | instid1(VALU_DEP_1)
	v_sub_nc_u32_e32 v12, v12, v14
	v_cmp_lt_u32_e32 vcc_lo, s3, v12
	v_cndmask_b32_e64 v12, 0, 1, vcc_lo
.LBB875_29:
	s_or_b32 exec_lo, exec_lo, s2
	v_add_nc_u32_e32 v14, 11, v23
	s_mov_b32 s2, exec_lo
	s_delay_alu instid0(VALU_DEP_1)
	v_cmpx_gt_u32_e64 s23, v14
	s_cbranch_execz .LBB875_31
; %bb.30:
	v_dual_add_nc_u32 v13, s5, v43 :: v_dual_add_nc_u32 v14, s7, v43
	s_delay_alu instid0(VALU_DEP_1) | instskip(NEXT) | instid1(VALU_DEP_2)
	v_mul_lo_u32 v13, v13, s4
	v_mul_lo_u32 v14, v14, s6
	s_delay_alu instid0(VALU_DEP_1) | instskip(NEXT) | instid1(VALU_DEP_1)
	v_sub_nc_u32_e32 v13, v13, v14
	v_cmp_lt_u32_e32 vcc_lo, s3, v13
	v_cndmask_b32_e64 v13, 0, 1, vcc_lo
.LBB875_31:
	s_or_b32 exec_lo, exec_lo, s2
	v_dual_mov_b32 v25, 0 :: v_dual_add_nc_u32 v14, 12, v23
	s_mov_b32 s2, exec_lo
	s_delay_alu instid0(VALU_DEP_1)
	v_cmpx_gt_u32_e64 s23, v14
	s_cbranch_execz .LBB875_33
; %bb.32:
	v_dual_add_nc_u32 v14, s7, v1 :: v_dual_add_nc_u32 v15, s5, v1
	s_delay_alu instid0(VALU_DEP_1) | instskip(NEXT) | instid1(VALU_DEP_2)
	v_mul_lo_u32 v14, v14, s6
	v_mul_lo_u32 v15, v15, s4
	s_delay_alu instid0(VALU_DEP_1) | instskip(NEXT) | instid1(VALU_DEP_1)
	v_sub_nc_u32_e32 v14, v15, v14
	v_cmp_lt_u32_e32 vcc_lo, s3, v14
	v_cndmask_b32_e64 v25, 0, 1, vcc_lo
.LBB875_33:
	s_or_b32 exec_lo, exec_lo, s2
	v_lshlrev_b16 v5, 8, v5
	v_lshlrev_b16 v7, 8, v7
	;; [unrolled: 1-line block ×5, first 2 shown]
	v_or_b32_e32 v4, v4, v5
	v_or_b32_e32 v5, v6, v7
	v_or_b32_e32 v6, v8, v9
	s_delay_alu instid0(VALU_DEP_4) | instskip(NEXT) | instid1(VALU_DEP_3)
	v_or_b32_e32 v7, v10, v11
	v_and_b32_e32 v5, 0xffff, v5
	s_delay_alu instid0(VALU_DEP_3) | instskip(SKIP_3) | instid1(VALU_DEP_4)
	v_dual_lshlrev_b32 v6, 16, v6 :: v_dual_bitop2_b32 v2, v2, v3 bitop3:0x54
	v_lshlrev_b32_e32 v4, 16, v4
	v_lshlrev_b16 v3, 8, v13
	v_and_b32_e32 v7, 0xffff, v7
	v_or_b32_e32 v31, v5, v6
	v_and_b32_e32 v2, 0xffff, v2
	s_delay_alu instid0(VALU_DEP_4) | instskip(NEXT) | instid1(VALU_DEP_1)
	v_or_b32_e32 v3, v12, v3
	v_dual_lshlrev_b32 v3, 16, v3 :: v_dual_bitop2_b32 v35, v2, v4 bitop3:0x54
	s_delay_alu instid0(VALU_DEP_1)
	v_or_b32_e32 v27, v7, v3
.LBB875_34:
	s_delay_alu instid0(VALU_DEP_2)
	v_bfe_u32 v39, v35, 16, 8
	v_bfe_u32 v41, v35, 8, 8
	v_and_b32_e32 v55, 0xff, v35
	v_and_b32_e32 v56, 0xff, v31
	v_mbcnt_lo_u32_b32 v62, -1, 0
	v_lshrrev_b32_e32 v37, 24, v35
	v_bfe_u32 v57, v31, 16, 8
	v_add3_u32 v2, v41, v55, v39
	v_bfe_u32 v58, v31, 8, 8
	v_and_b32_e32 v4, 15, v62
	s_load_b64 s[16:17], s[0:1], 0x28
	v_dual_lshrrev_b32 v33, 24, v31 :: v_dual_lshrrev_b32 v63, 5, v0
	v_add3_u32 v2, v2, v37, v56
	v_and_b32_e32 v59, 0xff, v27
	v_bfe_u32 v60, v27, 16, 8
	v_bfe_u32 v61, v27, 8, 8
	v_dual_lshrrev_b32 v29, 24, v27 :: v_dual_bitop2_b32 v5, 31, v0 bitop3:0x54
	v_add3_u32 v2, v2, v58, v57
	v_and_b32_e32 v3, 0xff, v25
	v_and_b32_e32 v6, 16, v62
	v_cmp_eq_u32_e64 s5, 0, v4
	v_cmp_lt_u32_e64 s4, 1, v4
	v_add3_u32 v2, v2, v33, v59
	v_cmp_lt_u32_e64 s3, 3, v4
	v_cmp_lt_u32_e64 s2, 7, v4
	s_wait_xcnt 0x0
	v_cmp_eq_u32_e64 s1, 0, v6
	v_cmp_eq_u32_e64 s0, v0, v5
	v_add3_u32 v2, v2, v61, v60
	s_cmp_lg_u32 s24, 0
	s_mov_b32 s6, -1
	s_delay_alu instid0(VALU_DEP_1)
	v_add3_u32 v64, v2, v29, v3
	s_cbranch_scc0 .LBB875_56
; %bb.35:
	s_delay_alu instid0(VALU_DEP_1) | instskip(NEXT) | instid1(VALU_DEP_1)
	v_mov_b32_dpp v2, v64 row_shr:1 row_mask:0xf bank_mask:0xf
	v_cndmask_b32_e64 v2, v2, 0, s5
	s_delay_alu instid0(VALU_DEP_1) | instskip(NEXT) | instid1(VALU_DEP_1)
	v_add_nc_u32_e32 v2, v2, v64
	v_mov_b32_dpp v3, v2 row_shr:2 row_mask:0xf bank_mask:0xf
	s_delay_alu instid0(VALU_DEP_1) | instskip(NEXT) | instid1(VALU_DEP_1)
	v_cndmask_b32_e64 v3, 0, v3, s4
	v_add_nc_u32_e32 v2, v2, v3
	s_delay_alu instid0(VALU_DEP_1) | instskip(NEXT) | instid1(VALU_DEP_1)
	v_mov_b32_dpp v3, v2 row_shr:4 row_mask:0xf bank_mask:0xf
	v_cndmask_b32_e64 v3, 0, v3, s3
	s_delay_alu instid0(VALU_DEP_1) | instskip(NEXT) | instid1(VALU_DEP_1)
	v_add_nc_u32_e32 v2, v2, v3
	v_mov_b32_dpp v3, v2 row_shr:8 row_mask:0xf bank_mask:0xf
	s_delay_alu instid0(VALU_DEP_1) | instskip(NEXT) | instid1(VALU_DEP_1)
	v_cndmask_b32_e64 v3, 0, v3, s2
	v_add_nc_u32_e32 v2, v2, v3
	ds_swizzle_b32 v3, v2 offset:swizzle(BROADCAST,32,15)
	s_wait_dscnt 0x0
	v_cndmask_b32_e64 v3, v3, 0, s1
	s_delay_alu instid0(VALU_DEP_1)
	v_add_nc_u32_e32 v2, v2, v3
	s_and_saveexec_b32 s6, s0
; %bb.36:
	v_lshlrev_b32_e32 v3, 2, v63
	ds_store_b32 v3, v2
; %bb.37:
	s_or_b32 exec_lo, exec_lo, s6
	s_delay_alu instid0(SALU_CYCLE_1)
	s_mov_b32 s6, exec_lo
	s_wait_dscnt 0x0
	s_barrier_signal -1
	s_barrier_wait -1
	v_cmpx_gt_u32_e32 8, v0
	s_cbranch_execz .LBB875_39
; %bb.38:
	ds_load_b32 v3, v19
	s_wait_dscnt 0x0
	v_mov_b32_dpp v5, v3 row_shr:1 row_mask:0xf bank_mask:0xf
	v_and_b32_e32 v4, 7, v62
	s_delay_alu instid0(VALU_DEP_1) | instskip(NEXT) | instid1(VALU_DEP_3)
	v_cmp_ne_u32_e32 vcc_lo, 0, v4
	v_cndmask_b32_e32 v5, 0, v5, vcc_lo
	v_cmp_lt_u32_e32 vcc_lo, 1, v4
	s_delay_alu instid0(VALU_DEP_2) | instskip(NEXT) | instid1(VALU_DEP_1)
	v_add_nc_u32_e32 v3, v5, v3
	v_mov_b32_dpp v5, v3 row_shr:2 row_mask:0xf bank_mask:0xf
	s_delay_alu instid0(VALU_DEP_1) | instskip(SKIP_1) | instid1(VALU_DEP_2)
	v_cndmask_b32_e32 v5, 0, v5, vcc_lo
	v_cmp_lt_u32_e32 vcc_lo, 3, v4
	v_add_nc_u32_e32 v3, v3, v5
	s_delay_alu instid0(VALU_DEP_1) | instskip(NEXT) | instid1(VALU_DEP_1)
	v_mov_b32_dpp v5, v3 row_shr:4 row_mask:0xf bank_mask:0xf
	v_cndmask_b32_e32 v4, 0, v5, vcc_lo
	s_delay_alu instid0(VALU_DEP_1)
	v_add_nc_u32_e32 v3, v3, v4
	ds_store_b32 v19, v3
.LBB875_39:
	s_or_b32 exec_lo, exec_lo, s6
	s_delay_alu instid0(SALU_CYCLE_1)
	s_mov_b32 s7, exec_lo
	v_cmp_gt_u32_e32 vcc_lo, 32, v0
	s_wait_dscnt 0x0
	s_barrier_signal -1
	s_barrier_wait -1
                                        ; implicit-def: $vgpr10
	v_cmpx_lt_u32_e32 31, v0
	s_cbranch_execz .LBB875_41
; %bb.40:
	v_lshl_add_u32 v3, v63, 2, -4
	ds_load_b32 v10, v3
	s_wait_dscnt 0x0
	v_add_nc_u32_e32 v2, v10, v2
.LBB875_41:
	s_or_b32 exec_lo, exec_lo, s7
	v_sub_co_u32 v3, s6, v62, 1
	s_delay_alu instid0(VALU_DEP_1) | instskip(NEXT) | instid1(VALU_DEP_1)
	v_cmp_gt_i32_e64 s7, 0, v3
	v_cndmask_b32_e64 v3, v3, v62, s7
	s_delay_alu instid0(VALU_DEP_1)
	v_lshlrev_b32_e32 v3, 2, v3
	ds_bpermute_b32 v11, v3, v2
	s_and_saveexec_b32 s7, vcc_lo
	s_cbranch_execz .LBB875_61
; %bb.42:
	v_mov_b32_e32 v9, 0
	ds_load_b32 v2, v9 offset:28
	s_and_saveexec_b32 s11, s6
	s_cbranch_execz .LBB875_44
; %bb.43:
	s_add_co_i32 s25, s24, 32
	s_delay_alu instid0(SALU_CYCLE_1)
	v_dual_mov_b32 v3, 1 :: v_dual_mov_b32 v4, s25
	s_wait_dscnt 0x0
	s_wait_kmcnt 0x0
	global_store_b64 v4, v[2:3], s[20:21] scale_offset scope:SCOPE_DEV
.LBB875_44:
	s_wait_xcnt 0x0
	s_or_b32 exec_lo, exec_lo, s11
	v_xad_u32 v4, v62, -1, s24
	s_mov_b32 s25, 0
	s_mov_b32 s11, exec_lo
	s_delay_alu instid0(VALU_DEP_1)
	v_add_nc_u32_e32 v8, 32, v4
	s_wait_kmcnt 0x0
	global_load_b64 v[6:7], v8, s[20:21] scale_offset scope:SCOPE_DEV
	s_wait_loadcnt 0x0
	v_and_b32_e32 v3, 0xff, v7
	s_wait_xcnt 0x0
	s_delay_alu instid0(VALU_DEP_1)
	v_cmpx_eq_u16_e32 0, v3
	s_cbranch_execz .LBB875_48
; %bb.45:
	v_lshl_add_u64 v[8:9], v[8:9], 3, s[20:21]
.LBB875_46:                             ; =>This Inner Loop Header: Depth=1
	global_load_b64 v[6:7], v[8:9], off scope:SCOPE_DEV
	s_wait_loadcnt 0x0
	v_and_b32_e32 v3, 0xff, v7
	s_delay_alu instid0(VALU_DEP_1)
	v_cmp_ne_u16_e32 vcc_lo, 0, v3
	s_or_b32 s25, vcc_lo, s25
	s_wait_xcnt 0x0
	s_and_not1_b32 exec_lo, exec_lo, s25
	s_cbranch_execnz .LBB875_46
; %bb.47:
	s_or_b32 exec_lo, exec_lo, s25
.LBB875_48:
	s_delay_alu instid0(SALU_CYCLE_1)
	s_or_b32 exec_lo, exec_lo, s11
	v_cmp_ne_u32_e32 vcc_lo, 31, v62
	v_lshlrev_b32_e64 v13, v62, -1
	v_dual_add_nc_u32 v15, 2, v62 :: v_dual_add_nc_u32 v17, 4, v62
	v_dual_add_nc_u32 v65, 8, v62 :: v_dual_add_nc_u32 v67, 16, v62
	v_add_co_ci_u32_e64 v3, null, 0, v62, vcc_lo
	v_lshl_or_b32 v66, v62, 2, 64
	s_delay_alu instid0(VALU_DEP_2)
	v_lshlrev_b32_e32 v12, 2, v3
	v_and_b32_e32 v3, 0xff, v7
	ds_bpermute_b32 v5, v12, v6
	v_cmp_eq_u16_e32 vcc_lo, 2, v3
	v_and_or_b32 v3, vcc_lo, v13, 0x80000000
	v_cmp_gt_u32_e32 vcc_lo, 30, v62
	s_delay_alu instid0(VALU_DEP_2) | instskip(SKIP_1) | instid1(VALU_DEP_2)
	v_ctz_i32_b32_e32 v3, v3
	v_cndmask_b32_e64 v8, 0, 2, vcc_lo
	v_cmp_lt_u32_e32 vcc_lo, v62, v3
	s_delay_alu instid0(VALU_DEP_2)
	v_add_lshl_u32 v14, v8, v62, 2
	s_wait_dscnt 0x0
	v_cndmask_b32_e32 v5, 0, v5, vcc_lo
	v_cmp_gt_u32_e32 vcc_lo, 28, v62
	v_cndmask_b32_e64 v8, 0, 4, vcc_lo
	v_cmp_le_u32_e32 vcc_lo, v15, v3
	s_delay_alu instid0(VALU_DEP_4) | instskip(NEXT) | instid1(VALU_DEP_3)
	v_add_nc_u32_e32 v5, v5, v6
	v_add_lshl_u32 v16, v8, v62, 2
	ds_bpermute_b32 v6, v14, v5
	s_wait_dscnt 0x0
	v_cndmask_b32_e32 v6, 0, v6, vcc_lo
	v_cmp_gt_u32_e32 vcc_lo, 24, v62
	v_cndmask_b32_e64 v8, 0, 8, vcc_lo
	v_cmp_le_u32_e32 vcc_lo, v17, v3
	s_delay_alu instid0(VALU_DEP_4) | instskip(NEXT) | instid1(VALU_DEP_3)
	v_add_nc_u32_e32 v5, v5, v6
	v_add_lshl_u32 v54, v8, v62, 2
	ds_bpermute_b32 v6, v16, v5
	s_wait_dscnt 0x0
	v_cndmask_b32_e32 v6, 0, v6, vcc_lo
	v_cmp_le_u32_e32 vcc_lo, v65, v3
	s_delay_alu instid0(VALU_DEP_2) | instskip(SKIP_4) | instid1(VALU_DEP_2)
	v_add_nc_u32_e32 v5, v5, v6
	ds_bpermute_b32 v6, v54, v5
	s_wait_dscnt 0x0
	v_cndmask_b32_e32 v6, 0, v6, vcc_lo
	v_cmp_le_u32_e32 vcc_lo, v67, v3
	v_add_nc_u32_e32 v5, v5, v6
	ds_bpermute_b32 v6, v66, v5
	s_wait_dscnt 0x0
	v_cndmask_b32_e32 v3, 0, v6, vcc_lo
	s_delay_alu instid0(VALU_DEP_1)
	v_dual_mov_b32 v5, 0 :: v_dual_add_nc_u32 v6, v5, v3
	s_branch .LBB875_52
.LBB875_49:                             ;   in Loop: Header=BB875_52 Depth=1
	s_or_b32 exec_lo, exec_lo, s25
.LBB875_50:                             ;   in Loop: Header=BB875_52 Depth=1
	s_delay_alu instid0(SALU_CYCLE_1)
	s_or_b32 exec_lo, exec_lo, s11
	v_and_b32_e32 v8, 0xff, v7
	ds_bpermute_b32 v9, v12, v6
	v_subrev_nc_u32_e32 v4, 32, v4
	s_mov_b32 s11, 0
	v_cmp_eq_u16_e32 vcc_lo, 2, v8
	v_and_or_b32 v8, vcc_lo, v13, 0x80000000
	s_delay_alu instid0(VALU_DEP_1) | instskip(NEXT) | instid1(VALU_DEP_1)
	v_ctz_i32_b32_e32 v8, v8
	v_cmp_lt_u32_e32 vcc_lo, v62, v8
	s_wait_dscnt 0x0
	v_cndmask_b32_e32 v9, 0, v9, vcc_lo
	v_cmp_le_u32_e32 vcc_lo, v15, v8
	s_delay_alu instid0(VALU_DEP_2) | instskip(SKIP_4) | instid1(VALU_DEP_2)
	v_add_nc_u32_e32 v6, v9, v6
	ds_bpermute_b32 v9, v14, v6
	s_wait_dscnt 0x0
	v_cndmask_b32_e32 v9, 0, v9, vcc_lo
	v_cmp_le_u32_e32 vcc_lo, v17, v8
	v_add_nc_u32_e32 v6, v6, v9
	ds_bpermute_b32 v9, v16, v6
	s_wait_dscnt 0x0
	v_cndmask_b32_e32 v9, 0, v9, vcc_lo
	v_cmp_le_u32_e32 vcc_lo, v65, v8
	s_delay_alu instid0(VALU_DEP_2) | instskip(SKIP_4) | instid1(VALU_DEP_2)
	v_add_nc_u32_e32 v6, v6, v9
	ds_bpermute_b32 v9, v54, v6
	s_wait_dscnt 0x0
	v_cndmask_b32_e32 v9, 0, v9, vcc_lo
	v_cmp_le_u32_e32 vcc_lo, v67, v8
	v_add_nc_u32_e32 v6, v6, v9
	ds_bpermute_b32 v9, v66, v6
	s_wait_dscnt 0x0
	v_cndmask_b32_e32 v8, 0, v9, vcc_lo
	s_delay_alu instid0(VALU_DEP_1)
	v_add3_u32 v6, v8, v3, v6
.LBB875_51:                             ;   in Loop: Header=BB875_52 Depth=1
	s_and_b32 vcc_lo, exec_lo, s11
	s_cbranch_vccnz .LBB875_57
.LBB875_52:                             ; =>This Loop Header: Depth=1
                                        ;     Child Loop BB875_55 Depth 2
	v_and_b32_e32 v3, 0xff, v7
	s_mov_b32 s11, -1
                                        ; implicit-def: $vgpr7
	s_delay_alu instid0(VALU_DEP_1)
	v_cmp_ne_u16_e32 vcc_lo, 2, v3
	v_mov_b32_e32 v3, v6
                                        ; implicit-def: $vgpr6
	s_cmp_lg_u32 vcc_lo, exec_lo
	s_cbranch_scc1 .LBB875_51
; %bb.53:                               ;   in Loop: Header=BB875_52 Depth=1
	global_load_b64 v[6:7], v4, s[20:21] scale_offset scope:SCOPE_DEV
	s_mov_b32 s11, exec_lo
	s_wait_loadcnt 0x0
	v_and_b32_e32 v8, 0xff, v7
	s_wait_xcnt 0x0
	s_delay_alu instid0(VALU_DEP_1)
	v_cmpx_eq_u16_e32 0, v8
	s_cbranch_execz .LBB875_50
; %bb.54:                               ;   in Loop: Header=BB875_52 Depth=1
	v_lshl_add_u64 v[8:9], v[4:5], 3, s[20:21]
	s_mov_b32 s25, 0
.LBB875_55:                             ;   Parent Loop BB875_52 Depth=1
                                        ; =>  This Inner Loop Header: Depth=2
	global_load_b64 v[6:7], v[8:9], off scope:SCOPE_DEV
	s_wait_loadcnt 0x0
	v_and_b32_e32 v68, 0xff, v7
	s_delay_alu instid0(VALU_DEP_1)
	v_cmp_ne_u16_e32 vcc_lo, 0, v68
	s_or_b32 s25, vcc_lo, s25
	s_wait_xcnt 0x0
	s_and_not1_b32 exec_lo, exec_lo, s25
	s_cbranch_execnz .LBB875_55
	s_branch .LBB875_49
.LBB875_56:
                                        ; implicit-def: $vgpr2_vgpr3_vgpr4_vgpr5_vgpr6_vgpr7_vgpr8_vgpr9_vgpr10_vgpr11_vgpr12_vgpr13_vgpr14_vgpr15_vgpr16_vgpr17
                                        ; implicit-def: $vgpr54
                                        ; implicit-def: $vgpr16
	s_and_b32 vcc_lo, exec_lo, s6
	s_cbranch_vccnz .LBB875_62
	s_branch .LBB875_71
.LBB875_57:
	s_and_saveexec_b32 s11, s6
	s_cbranch_execz .LBB875_59
; %bb.58:
	s_add_co_i32 s24, s24, 32
	v_dual_mov_b32 v5, 2 :: v_dual_add_nc_u32 v4, v3, v2
	v_dual_mov_b32 v6, s24 :: v_dual_mov_b32 v7, 0
	global_store_b64 v6, v[4:5], s[20:21] scale_offset scope:SCOPE_DEV
	ds_store_b64 v7, v[2:3] offset:13312
.LBB875_59:
	s_wait_xcnt 0x0
	s_or_b32 exec_lo, exec_lo, s11
	v_cmp_eq_u32_e32 vcc_lo, 0, v0
	s_and_b32 exec_lo, exec_lo, vcc_lo
; %bb.60:
	v_mov_b32_e32 v2, 0
	ds_store_b32 v2, v3 offset:28
.LBB875_61:
	s_or_b32 exec_lo, exec_lo, s7
	s_wait_dscnt 0x0
	v_dual_mov_b32 v12, 0 :: v_dual_cndmask_b32 v3, v11, v10, s6
	s_wait_storecnt 0x0
	s_barrier_signal -1
	s_barrier_wait -1
	ds_load_b32 v2, v12 offset:28
	v_cmp_ne_u32_e32 vcc_lo, 0, v0
	s_wait_dscnt 0x0
	s_barrier_signal -1
	s_barrier_wait -1
	v_cndmask_b32_e32 v3, 0, v3, vcc_lo
	ds_load_b64 v[16:17], v12 offset:13312
	v_add_nc_u32_e32 v2, v2, v3
	s_wait_dscnt 0x0
	s_delay_alu instid0(VALU_DEP_1) | instskip(NEXT) | instid1(VALU_DEP_1)
	v_dual_mov_b32 v54, v17 :: v_dual_add_nc_u32 v3, v2, v55
	v_add_nc_u32_e32 v4, v3, v41
	s_delay_alu instid0(VALU_DEP_1) | instskip(NEXT) | instid1(VALU_DEP_1)
	v_add_nc_u32_e32 v5, v4, v39
	v_add_nc_u32_e32 v6, v5, v37
	s_delay_alu instid0(VALU_DEP_1) | instskip(NEXT) | instid1(VALU_DEP_1)
	v_add_nc_u32_e32 v7, v6, v56
	;; [unrolled: 3-line block ×5, first 2 shown]
	v_add_nc_u32_e32 v14, v13, v29
	s_branch .LBB875_71
.LBB875_62:
	v_mov_b32_dpp v2, v64 row_shr:1 row_mask:0xf bank_mask:0xf
	s_delay_alu instid0(VALU_DEP_1) | instskip(NEXT) | instid1(VALU_DEP_1)
	v_cndmask_b32_e64 v2, v2, 0, s5
	v_add_nc_u32_e32 v2, v2, v64
	s_delay_alu instid0(VALU_DEP_1) | instskip(NEXT) | instid1(VALU_DEP_1)
	v_mov_b32_dpp v3, v2 row_shr:2 row_mask:0xf bank_mask:0xf
	v_cndmask_b32_e64 v3, 0, v3, s4
	s_delay_alu instid0(VALU_DEP_1) | instskip(NEXT) | instid1(VALU_DEP_1)
	v_add_nc_u32_e32 v2, v2, v3
	v_mov_b32_dpp v3, v2 row_shr:4 row_mask:0xf bank_mask:0xf
	s_delay_alu instid0(VALU_DEP_1) | instskip(NEXT) | instid1(VALU_DEP_1)
	v_cndmask_b32_e64 v3, 0, v3, s3
	v_add_nc_u32_e32 v2, v2, v3
	s_delay_alu instid0(VALU_DEP_1) | instskip(NEXT) | instid1(VALU_DEP_1)
	v_mov_b32_dpp v3, v2 row_shr:8 row_mask:0xf bank_mask:0xf
	v_cndmask_b32_e64 v3, 0, v3, s2
	s_delay_alu instid0(VALU_DEP_1) | instskip(SKIP_3) | instid1(VALU_DEP_1)
	v_add_nc_u32_e32 v2, v2, v3
	ds_swizzle_b32 v3, v2 offset:swizzle(BROADCAST,32,15)
	s_wait_dscnt 0x0
	v_cndmask_b32_e64 v3, v3, 0, s1
	v_add_nc_u32_e32 v2, v2, v3
	s_and_saveexec_b32 s1, s0
; %bb.63:
	v_lshlrev_b32_e32 v3, 2, v63
	ds_store_b32 v3, v2
; %bb.64:
	s_or_b32 exec_lo, exec_lo, s1
	s_delay_alu instid0(SALU_CYCLE_1)
	s_mov_b32 s0, exec_lo
	s_wait_dscnt 0x0
	s_barrier_signal -1
	s_barrier_wait -1
	v_cmpx_gt_u32_e32 8, v0
	s_cbranch_execz .LBB875_66
; %bb.65:
	ds_load_b32 v3, v19
	s_wait_dscnt 0x0
	v_mov_b32_dpp v5, v3 row_shr:1 row_mask:0xf bank_mask:0xf
	v_and_b32_e32 v4, 7, v62
	s_delay_alu instid0(VALU_DEP_1) | instskip(NEXT) | instid1(VALU_DEP_3)
	v_cmp_ne_u32_e32 vcc_lo, 0, v4
	v_cndmask_b32_e32 v5, 0, v5, vcc_lo
	v_cmp_lt_u32_e32 vcc_lo, 1, v4
	s_delay_alu instid0(VALU_DEP_2) | instskip(NEXT) | instid1(VALU_DEP_1)
	v_add_nc_u32_e32 v3, v5, v3
	v_mov_b32_dpp v5, v3 row_shr:2 row_mask:0xf bank_mask:0xf
	s_delay_alu instid0(VALU_DEP_1) | instskip(SKIP_1) | instid1(VALU_DEP_2)
	v_cndmask_b32_e32 v5, 0, v5, vcc_lo
	v_cmp_lt_u32_e32 vcc_lo, 3, v4
	v_add_nc_u32_e32 v3, v3, v5
	s_delay_alu instid0(VALU_DEP_1) | instskip(NEXT) | instid1(VALU_DEP_1)
	v_mov_b32_dpp v5, v3 row_shr:4 row_mask:0xf bank_mask:0xf
	v_cndmask_b32_e32 v4, 0, v5, vcc_lo
	s_delay_alu instid0(VALU_DEP_1)
	v_add_nc_u32_e32 v3, v3, v4
	ds_store_b32 v19, v3
.LBB875_66:
	s_or_b32 exec_lo, exec_lo, s0
	v_dual_mov_b32 v4, 0 :: v_dual_mov_b32 v3, 0
	s_mov_b32 s0, exec_lo
	s_wait_dscnt 0x0
	s_barrier_signal -1
	s_barrier_wait -1
	v_cmpx_lt_u32_e32 31, v0
; %bb.67:
	v_lshl_add_u32 v3, v63, 2, -4
	ds_load_b32 v3, v3
; %bb.68:
	s_or_b32 exec_lo, exec_lo, s0
	v_sub_co_u32 v5, vcc_lo, v62, 1
	ds_load_b32 v16, v4 offset:28
	v_cmp_gt_i32_e64 s0, 0, v5
	s_delay_alu instid0(VALU_DEP_1) | instskip(SKIP_3) | instid1(VALU_DEP_3)
	v_cndmask_b32_e64 v5, v5, v62, s0
	s_wait_dscnt 0x1
	v_add_nc_u32_e32 v2, v3, v2
	v_cmp_eq_u32_e64 s0, 0, v0
	v_lshlrev_b32_e32 v5, 2, v5
	ds_bpermute_b32 v2, v5, v2
	s_and_saveexec_b32 s1, s0
	s_cbranch_execz .LBB875_70
; %bb.69:
	v_dual_mov_b32 v4, 0 :: v_dual_mov_b32 v17, 2
	s_wait_dscnt 0x1
	s_wait_kmcnt 0x0
	global_store_b64 v4, v[16:17], s[20:21] offset:256 scope:SCOPE_DEV
.LBB875_70:
	s_wait_xcnt 0x0
	s_or_b32 exec_lo, exec_lo, s1
	s_wait_dscnt 0x0
	v_cndmask_b32_e32 v2, v2, v3, vcc_lo
	s_wait_storecnt 0x0
	s_barrier_signal -1
	s_barrier_wait -1
	s_delay_alu instid0(VALU_DEP_1) | instskip(NEXT) | instid1(VALU_DEP_1)
	v_cndmask_b32_e64 v2, v2, 0, s0
	v_dual_mov_b32 v54, 0 :: v_dual_add_nc_u32 v3, v2, v55
	s_delay_alu instid0(VALU_DEP_1) | instskip(NEXT) | instid1(VALU_DEP_1)
	v_add_nc_u32_e32 v4, v3, v41
	v_add_nc_u32_e32 v5, v4, v39
	s_delay_alu instid0(VALU_DEP_1) | instskip(NEXT) | instid1(VALU_DEP_1)
	v_add_nc_u32_e32 v6, v5, v37
	v_add_nc_u32_e32 v7, v6, v56
	;; [unrolled: 3-line block ×5, first 2 shown]
	s_delay_alu instid0(VALU_DEP_1)
	v_add_nc_u32_e32 v14, v13, v29
.LBB875_71:
	v_dual_lshrrev_b32 v55, 16, v35 :: v_dual_lshrrev_b32 v56, 8, v35
	v_dual_add_nc_u32 v23, v16, v23 :: v_dual_sub_nc_u32 v3, v3, v54
	v_dual_sub_nc_u32 v2, v2, v54 :: v_dual_bitop2_b32 v35, 1, v35 bitop3:0x40
	s_delay_alu instid0(VALU_DEP_3) | instskip(NEXT) | instid1(VALU_DEP_4)
	v_dual_sub_nc_u32 v4, v4, v54 :: v_dual_bitop2_b32 v56, 1, v56 bitop3:0x40
	v_and_b32_e32 v55, 1, v55
	s_delay_alu instid0(VALU_DEP_3) | instskip(NEXT) | instid1(VALU_DEP_4)
	v_dual_sub_nc_u32 v57, v23, v3 :: v_dual_sub_nc_u32 v58, v23, v2
	v_cmp_eq_u32_e32 vcc_lo, 1, v35
	s_delay_alu instid0(VALU_DEP_4) | instskip(NEXT) | instid1(VALU_DEP_3)
	v_dual_sub_nc_u32 v5, v5, v54 :: v_dual_sub_nc_u32 v59, v23, v4
	v_dual_add_nc_u32 v57, 1, v57 :: v_dual_sub_nc_u32 v6, v6, v54
	s_delay_alu instid0(VALU_DEP_4) | instskip(SKIP_1) | instid1(VALU_DEP_4)
	v_cndmask_b32_e32 v2, v58, v2, vcc_lo
	v_cmp_eq_u32_e32 vcc_lo, 1, v56
	v_dual_sub_nc_u32 v35, v23, v5 :: v_dual_add_nc_u32 v56, 2, v59
	v_dual_lshrrev_b32 v41, 8, v31 :: v_dual_lshrrev_b32 v39, 16, v31
	v_dual_cndmask_b32 v3, v57, v3, vcc_lo :: v_dual_bitop2_b32 v37, 1, v37 bitop3:0x40
	v_lshlrev_b32_e32 v2, 2, v2
	v_cmp_eq_u32_e32 vcc_lo, 1, v55
	v_add_nc_u32_e32 v35, 3, v35
	s_delay_alu instid0(VALU_DEP_4)
	v_lshlrev_b32_e32 v3, 2, v3
	v_dual_lshrrev_b32 v15, 16, v27 :: v_dual_lshrrev_b32 v17, 8, v27
	v_cndmask_b32_e32 v4, v56, v4, vcc_lo
	v_cmp_eq_u32_e32 vcc_lo, 1, v37
	ds_store_b32 v2, v52
	ds_store_b32 v3, v53
	v_dual_lshlrev_b32 v3, 2, v4 :: v_dual_cndmask_b32 v5, v35, v5, vcc_lo
	s_delay_alu instid0(VALU_DEP_1) | instskip(SKIP_1) | instid1(VALU_DEP_2)
	v_dual_sub_nc_u32 v2, v23, v6 :: v_dual_lshlrev_b32 v4, 2, v5
	v_dual_sub_nc_u32 v5, v7, v54 :: v_dual_bitop2_b32 v7, 1, v31 bitop3:0x40
	v_add_nc_u32_e32 v2, 4, v2
	ds_store_b32 v3, v50
	ds_store_b32 v4, v51
	v_sub_nc_u32_e32 v3, v23, v5
	v_cmp_eq_u32_e32 vcc_lo, 1, v7
	s_delay_alu instid0(VALU_DEP_2) | instskip(SKIP_1) | instid1(VALU_DEP_2)
	v_dual_sub_nc_u32 v4, v8, v54 :: v_dual_add_nc_u32 v3, 5, v3
	v_dual_cndmask_b32 v2, v2, v6, vcc_lo :: v_dual_bitop2_b32 v6, 1, v41 bitop3:0x40
	v_dual_sub_nc_u32 v7, v9, v54 :: v_dual_sub_nc_u32 v8, v23, v4
	s_delay_alu instid0(VALU_DEP_2) | instskip(NEXT) | instid1(VALU_DEP_2)
	v_cmp_eq_u32_e32 vcc_lo, 1, v6
	v_dual_lshlrev_b32 v2, 2, v2 :: v_dual_add_nc_u32 v8, 6, v8
	v_cndmask_b32_e32 v3, v3, v5, vcc_lo
	s_delay_alu instid0(VALU_DEP_4)
	v_sub_nc_u32_e32 v5, v23, v7
	v_and_b32_e32 v6, 1, v39
	ds_store_b32 v2, v48
	v_dual_lshlrev_b32 v3, 2, v3 :: v_dual_add_nc_u32 v5, 7, v5
	v_cmp_eq_u32_e32 vcc_lo, 1, v6
	v_dual_sub_nc_u32 v6, v11, v54 :: v_dual_bitop2_b32 v2, 1, v33 bitop3:0x40
	ds_store_b32 v3, v49
	v_cndmask_b32_e32 v4, v8, v4, vcc_lo
	v_cmp_eq_u32_e32 vcc_lo, 1, v2
	s_delay_alu instid0(VALU_DEP_2)
	v_dual_lshlrev_b32 v4, 2, v4 :: v_dual_cndmask_b32 v2, v5, v7, vcc_lo
	v_dual_sub_nc_u32 v5, v10, v54 :: v_dual_bitop2_b32 v7, 1, v17 bitop3:0x40
	v_sub_nc_u32_e32 v3, v23, v6
	ds_store_b32 v4, v46
	v_dual_sub_nc_u32 v4, v23, v5 :: v_dual_lshlrev_b32 v2, 2, v2
	v_add_nc_u32_e32 v3, 9, v3
	v_cmp_eq_u32_e32 vcc_lo, 1, v7
	s_delay_alu instid0(VALU_DEP_3) | instskip(SKIP_3) | instid1(VALU_DEP_2)
	v_dual_sub_nc_u32 v7, v12, v54 :: v_dual_add_nc_u32 v4, 8, v4
	ds_store_b32 v2, v47
	v_dual_cndmask_b32 v3, v3, v6, vcc_lo :: v_dual_bitop2_b32 v2, 1, v27 bitop3:0x40
	v_dual_sub_nc_u32 v6, v13, v54 :: v_dual_sub_nc_u32 v8, v14, v54
	v_cmp_eq_u32_e32 vcc_lo, 1, v2
	v_dual_cndmask_b32 v2, v4, v5 :: v_dual_sub_nc_u32 v5, v23, v7
	s_delay_alu instid0(VALU_DEP_3) | instskip(SKIP_1) | instid1(VALU_DEP_3)
	v_dual_sub_nc_u32 v4, v23, v6 :: v_dual_sub_nc_u32 v9, v23, v8
	v_and_b32_e32 v10, 1, v15
	v_dual_lshlrev_b32 v2, 2, v2 :: v_dual_bitop2_b32 v12, 1, v25 bitop3:0x40
	s_delay_alu instid0(VALU_DEP_3) | instskip(NEXT) | instid1(VALU_DEP_1)
	v_dual_add_nc_u32 v4, 11, v4 :: v_dual_bitop2_b32 v11, 1, v29 bitop3:0x40
	v_cmp_eq_u32_e32 vcc_lo, 1, v11
	s_delay_alu instid0(VALU_DEP_2) | instskip(SKIP_3) | instid1(VALU_DEP_1)
	v_cndmask_b32_e32 v4, v4, v6, vcc_lo
	v_cmp_eq_u32_e32 vcc_lo, 1, v10
	v_add_nc_u32_e32 v9, 12, v9
	v_add_nc_u32_e32 v5, 10, v5
	v_cndmask_b32_e32 v5, v5, v7, vcc_lo
	v_cmp_eq_u32_e32 vcc_lo, 1, v12
	s_delay_alu instid0(VALU_DEP_2) | instskip(SKIP_3) | instid1(VALU_DEP_3)
	v_dual_lshlrev_b32 v3, 2, v3 :: v_dual_lshlrev_b32 v5, 2, v5
	v_cndmask_b32_e32 v6, v9, v8, vcc_lo
	v_lshlrev_b32_e32 v4, 2, v4
	v_cmp_ne_u32_e32 vcc_lo, 1, v21
	v_lshlrev_b32_e32 v6, 2, v6
	ds_store_b32 v2, v44
	ds_store_b32 v3, v45
	;; [unrolled: 1-line block ×5, first 2 shown]
	s_wait_dscnt 0x0
	s_barrier_signal -1
	s_barrier_wait -1
	ds_load_2addr_stride64_b32 v[14:15], v19 offset1:4
	ds_load_2addr_stride64_b32 v[12:13], v19 offset0:8 offset1:12
	ds_load_2addr_stride64_b32 v[10:11], v19 offset0:16 offset1:20
	;; [unrolled: 1-line block ×5, first 2 shown]
	ds_load_b32 v46, v19 offset:12288
	v_mov_b32_e32 v1, 0
	s_and_b32 vcc_lo, exec_lo, vcc_lo
	s_delay_alu instid0(VALU_DEP_1) | instskip(SKIP_3) | instid1(VALU_DEP_3)
	v_dual_mov_b32 v29, v1 :: v_dual_mov_b32 v55, v1
	v_dual_mov_b32 v41, v1 :: v_dual_mov_b32 v39, v1
	;; [unrolled: 1-line block ×3, first 2 shown]
	s_wait_kmcnt 0x0
	v_add_nc_u64_e32 v[2:3], s[18:19], v[54:55]
	v_dual_mov_b32 v33, v1 :: v_dual_mov_b32 v31, v1
	v_dual_mov_b32 v27, v1 :: v_dual_mov_b32 v25, v1
	;; [unrolled: 1-line block ×3, first 2 shown]
	v_mov_b32_e32 v19, v1
	s_cbranch_vccnz .LBB875_125
; %bb.72:
	v_mov_b32_e32 v17, v1
	s_mov_b32 s11, 0
	v_sub_nc_u64_e64 v[42:43], v[2:3], s[12:13]
	s_sub_nc_u64 s[0:1], s[14:15], s[10:11]
	s_delay_alu instid0(VALU_DEP_2) | instid1(SALU_CYCLE_1)
	v_add_nc_u64_e32 v[44:45], s[0:1], v[16:17]
	s_mov_b32 s0, exec_lo
	s_delay_alu instid0(VALU_DEP_1)
	v_add_nc_u64_e32 v[42:43], v[44:45], v[42:43]
                                        ; implicit-def: $vgpr44_vgpr45
	v_cmpx_ge_u32_e64 v0, v16
	s_xor_b32 s0, exec_lo, s0
; %bb.73:
	v_not_b32_e32 v44, v0
	s_delay_alu instid0(VALU_DEP_1) | instskip(NEXT) | instid1(VALU_DEP_1)
	v_ashrrev_i32_e32 v45, 31, v44
	v_add_nc_u64_e32 v[44:45], v[42:43], v[44:45]
; %bb.74:
	s_and_not1_saveexec_b32 s0, s0
; %bb.75:
	v_add_nc_u64_e32 v[44:45], v[2:3], v[0:1]
; %bb.76:
	s_or_b32 exec_lo, exec_lo, s0
	s_delay_alu instid0(VALU_DEP_1)
	v_lshl_add_u64 v[44:45], v[44:45], 2, s[16:17]
	s_mov_b32 s0, exec_lo
	s_wait_dscnt 0x6
	global_store_b32 v[44:45], v14, off
                                        ; implicit-def: $vgpr44_vgpr45
	s_wait_xcnt 0x0
	v_cmpx_ge_u32_e64 v40, v16
	s_xor_b32 s0, exec_lo, s0
; %bb.77:
	v_xor_b32_e32 v44, 0xfffffeff, v0
	s_delay_alu instid0(VALU_DEP_1) | instskip(NEXT) | instid1(VALU_DEP_1)
	v_ashrrev_i32_e32 v45, 31, v44
	v_add_nc_u64_e32 v[44:45], v[42:43], v[44:45]
; %bb.78:
	s_and_not1_saveexec_b32 s0, s0
; %bb.79:
	v_add_nc_u64_e32 v[44:45], v[2:3], v[40:41]
; %bb.80:
	s_or_b32 exec_lo, exec_lo, s0
	s_delay_alu instid0(VALU_DEP_1)
	v_lshl_add_u64 v[44:45], v[44:45], 2, s[16:17]
	s_mov_b32 s0, exec_lo
	global_store_b32 v[44:45], v15, off
                                        ; implicit-def: $vgpr44_vgpr45
	s_wait_xcnt 0x0
	v_cmpx_ge_u32_e64 v38, v16
	s_xor_b32 s0, exec_lo, s0
; %bb.81:
	v_xor_b32_e32 v44, 0xfffffdff, v0
	s_delay_alu instid0(VALU_DEP_1) | instskip(NEXT) | instid1(VALU_DEP_1)
	v_ashrrev_i32_e32 v45, 31, v44
	v_add_nc_u64_e32 v[44:45], v[42:43], v[44:45]
; %bb.82:
	s_and_not1_saveexec_b32 s0, s0
; %bb.83:
	v_add_nc_u64_e32 v[44:45], v[2:3], v[38:39]
; %bb.84:
	s_or_b32 exec_lo, exec_lo, s0
	s_delay_alu instid0(VALU_DEP_1)
	v_lshl_add_u64 v[44:45], v[44:45], 2, s[16:17]
	s_mov_b32 s0, exec_lo
	s_wait_dscnt 0x5
	global_store_b32 v[44:45], v12, off
                                        ; implicit-def: $vgpr44_vgpr45
	s_wait_xcnt 0x0
	v_cmpx_ge_u32_e64 v36, v16
	s_xor_b32 s0, exec_lo, s0
; %bb.85:
	v_xor_b32_e32 v44, 0xfffffcff, v0
	s_delay_alu instid0(VALU_DEP_1) | instskip(NEXT) | instid1(VALU_DEP_1)
	v_ashrrev_i32_e32 v45, 31, v44
	v_add_nc_u64_e32 v[44:45], v[42:43], v[44:45]
; %bb.86:
	s_and_not1_saveexec_b32 s0, s0
; %bb.87:
	v_add_nc_u64_e32 v[44:45], v[2:3], v[36:37]
; %bb.88:
	s_or_b32 exec_lo, exec_lo, s0
	s_delay_alu instid0(VALU_DEP_1)
	v_lshl_add_u64 v[44:45], v[44:45], 2, s[16:17]
	s_mov_b32 s0, exec_lo
	global_store_b32 v[44:45], v13, off
                                        ; implicit-def: $vgpr44_vgpr45
	s_wait_xcnt 0x0
	v_cmpx_ge_u32_e64 v34, v16
	s_xor_b32 s0, exec_lo, s0
; %bb.89:
	v_xor_b32_e32 v44, 0xfffffbff, v0
	;; [unrolled: 39-line block ×6, first 2 shown]
	s_delay_alu instid0(VALU_DEP_1) | instskip(NEXT) | instid1(VALU_DEP_1)
	v_ashrrev_i32_e32 v45, 31, v44
	v_add_nc_u64_e32 v[44:45], v[42:43], v[44:45]
; %bb.122:
	s_and_not1_saveexec_b32 s0, s0
; %bb.123:
	v_add_nc_u64_e32 v[44:45], v[2:3], v[18:19]
; %bb.124:
	s_or_b32 exec_lo, exec_lo, s0
	s_mov_b32 s0, -1
	s_branch .LBB875_205
.LBB875_125:
	s_mov_b32 s0, 0
                                        ; implicit-def: $vgpr44_vgpr45
	s_cbranch_execz .LBB875_205
; %bb.126:
	s_mov_b32 s11, 0
	v_mov_b32_e32 v17, 0
	s_add_nc_u64 s[2:3], s[12:13], s[10:11]
	s_mov_b32 s1, exec_lo
	s_sub_nc_u64 s[2:3], s[14:15], s[2:3]
	s_delay_alu instid0(VALU_DEP_1) | instid1(SALU_CYCLE_1)
	v_add_nc_u64_e32 v[42:43], s[2:3], v[16:17]
	s_delay_alu instid0(VALU_DEP_1)
	v_add_nc_u64_e32 v[42:43], v[42:43], v[2:3]
	v_cmpx_gt_u32_e64 s23, v0
	s_cbranch_execz .LBB875_162
; %bb.127:
	s_mov_b32 s2, exec_lo
                                        ; implicit-def: $vgpr44_vgpr45
	v_cmpx_ge_u32_e64 v0, v16
	s_xor_b32 s2, exec_lo, s2
; %bb.128:
	v_not_b32_e32 v44, v0
	s_delay_alu instid0(VALU_DEP_1) | instskip(NEXT) | instid1(VALU_DEP_1)
	v_ashrrev_i32_e32 v45, 31, v44
	v_add_nc_u64_e32 v[44:45], v[42:43], v[44:45]
; %bb.129:
	s_and_not1_saveexec_b32 s2, s2
; %bb.130:
	v_add_nc_u64_e32 v[44:45], v[2:3], v[0:1]
; %bb.131:
	s_or_b32 exec_lo, exec_lo, s2
	s_delay_alu instid0(VALU_DEP_1) | instskip(SKIP_4) | instid1(SALU_CYCLE_1)
	v_lshl_add_u64 v[44:45], v[44:45], 2, s[16:17]
	s_wait_dscnt 0x6
	global_store_b32 v[44:45], v14, off
	s_wait_xcnt 0x0
	s_or_b32 exec_lo, exec_lo, s1
	s_mov_b32 s1, exec_lo
	v_cmpx_gt_u32_e64 s23, v40
	s_cbranch_execnz .LBB875_163
.LBB875_132:
	s_or_b32 exec_lo, exec_lo, s1
	s_delay_alu instid0(SALU_CYCLE_1)
	s_mov_b32 s1, exec_lo
	v_cmpx_gt_u32_e64 s23, v38
	s_cbranch_execz .LBB875_168
.LBB875_133:
	s_mov_b32 s2, exec_lo
                                        ; implicit-def: $vgpr14_vgpr15
	v_cmpx_ge_u32_e64 v38, v16
	s_xor_b32 s2, exec_lo, s2
	s_cbranch_execz .LBB875_135
; %bb.134:
	s_wait_dscnt 0x6
	v_xor_b32_e32 v14, 0xfffffdff, v0
                                        ; implicit-def: $vgpr38_vgpr39
	s_delay_alu instid0(VALU_DEP_1) | instskip(NEXT) | instid1(VALU_DEP_1)
	v_ashrrev_i32_e32 v15, 31, v14
	v_add_nc_u64_e32 v[14:15], v[42:43], v[14:15]
.LBB875_135:
	s_and_not1_saveexec_b32 s2, s2
	s_cbranch_execz .LBB875_137
; %bb.136:
	s_wait_dscnt 0x6
	v_add_nc_u64_e32 v[14:15], v[2:3], v[38:39]
.LBB875_137:
	s_or_b32 exec_lo, exec_lo, s2
	s_wait_dscnt 0x6
	s_delay_alu instid0(VALU_DEP_1) | instskip(SKIP_4) | instid1(SALU_CYCLE_1)
	v_lshl_add_u64 v[14:15], v[14:15], 2, s[16:17]
	s_wait_dscnt 0x5
	global_store_b32 v[14:15], v12, off
	s_wait_xcnt 0x0
	s_or_b32 exec_lo, exec_lo, s1
	s_mov_b32 s1, exec_lo
	v_cmpx_gt_u32_e64 s23, v36
	s_cbranch_execnz .LBB875_169
.LBB875_138:
	s_or_b32 exec_lo, exec_lo, s1
	s_delay_alu instid0(SALU_CYCLE_1)
	s_mov_b32 s1, exec_lo
	v_cmpx_gt_u32_e64 s23, v34
	s_cbranch_execz .LBB875_174
.LBB875_139:
	s_mov_b32 s2, exec_lo
                                        ; implicit-def: $vgpr12_vgpr13
	v_cmpx_ge_u32_e64 v34, v16
	s_xor_b32 s2, exec_lo, s2
	s_cbranch_execz .LBB875_141
; %bb.140:
	s_wait_dscnt 0x5
	v_xor_b32_e32 v12, 0xfffffbff, v0
                                        ; implicit-def: $vgpr34_vgpr35
	s_delay_alu instid0(VALU_DEP_1) | instskip(NEXT) | instid1(VALU_DEP_1)
	v_ashrrev_i32_e32 v13, 31, v12
	v_add_nc_u64_e32 v[12:13], v[42:43], v[12:13]
.LBB875_141:
	s_and_not1_saveexec_b32 s2, s2
	s_cbranch_execz .LBB875_143
; %bb.142:
	s_wait_dscnt 0x5
	v_add_nc_u64_e32 v[12:13], v[2:3], v[34:35]
.LBB875_143:
	s_or_b32 exec_lo, exec_lo, s2
	s_wait_dscnt 0x5
	s_delay_alu instid0(VALU_DEP_1) | instskip(SKIP_4) | instid1(SALU_CYCLE_1)
	v_lshl_add_u64 v[12:13], v[12:13], 2, s[16:17]
	s_wait_dscnt 0x4
	global_store_b32 v[12:13], v10, off
	s_wait_xcnt 0x0
	s_or_b32 exec_lo, exec_lo, s1
	s_mov_b32 s1, exec_lo
	v_cmpx_gt_u32_e64 s23, v32
	s_cbranch_execnz .LBB875_175
.LBB875_144:
	s_or_b32 exec_lo, exec_lo, s1
	s_delay_alu instid0(SALU_CYCLE_1)
	s_mov_b32 s1, exec_lo
	v_cmpx_gt_u32_e64 s23, v30
	s_cbranch_execz .LBB875_180
.LBB875_145:
	s_mov_b32 s2, exec_lo
                                        ; implicit-def: $vgpr10_vgpr11
	v_cmpx_ge_u32_e64 v30, v16
	s_xor_b32 s2, exec_lo, s2
	s_cbranch_execz .LBB875_147
; %bb.146:
	s_wait_dscnt 0x4
	v_xor_b32_e32 v10, 0xfffff9ff, v0
                                        ; implicit-def: $vgpr30_vgpr31
	s_delay_alu instid0(VALU_DEP_1) | instskip(NEXT) | instid1(VALU_DEP_1)
	v_ashrrev_i32_e32 v11, 31, v10
	v_add_nc_u64_e32 v[10:11], v[42:43], v[10:11]
.LBB875_147:
	s_and_not1_saveexec_b32 s2, s2
	s_cbranch_execz .LBB875_149
; %bb.148:
	s_wait_dscnt 0x4
	v_add_nc_u64_e32 v[10:11], v[2:3], v[30:31]
.LBB875_149:
	s_or_b32 exec_lo, exec_lo, s2
	s_wait_dscnt 0x4
	s_delay_alu instid0(VALU_DEP_1) | instskip(SKIP_4) | instid1(SALU_CYCLE_1)
	v_lshl_add_u64 v[10:11], v[10:11], 2, s[16:17]
	s_wait_dscnt 0x3
	global_store_b32 v[10:11], v8, off
	s_wait_xcnt 0x0
	s_or_b32 exec_lo, exec_lo, s1
	s_mov_b32 s1, exec_lo
	v_cmpx_gt_u32_e64 s23, v28
	s_cbranch_execnz .LBB875_181
.LBB875_150:
	s_or_b32 exec_lo, exec_lo, s1
	s_delay_alu instid0(SALU_CYCLE_1)
	s_mov_b32 s1, exec_lo
	v_cmpx_gt_u32_e64 s23, v26
	s_cbranch_execz .LBB875_186
.LBB875_151:
	s_mov_b32 s2, exec_lo
                                        ; implicit-def: $vgpr8_vgpr9
	v_cmpx_ge_u32_e64 v26, v16
	s_xor_b32 s2, exec_lo, s2
	s_cbranch_execz .LBB875_153
; %bb.152:
	s_wait_dscnt 0x3
	v_xor_b32_e32 v8, 0xfffff7ff, v0
                                        ; implicit-def: $vgpr26_vgpr27
	s_delay_alu instid0(VALU_DEP_1) | instskip(NEXT) | instid1(VALU_DEP_1)
	v_ashrrev_i32_e32 v9, 31, v8
	v_add_nc_u64_e32 v[8:9], v[42:43], v[8:9]
.LBB875_153:
	s_and_not1_saveexec_b32 s2, s2
	s_cbranch_execz .LBB875_155
; %bb.154:
	s_wait_dscnt 0x3
	v_add_nc_u64_e32 v[8:9], v[2:3], v[26:27]
.LBB875_155:
	s_or_b32 exec_lo, exec_lo, s2
	s_wait_dscnt 0x3
	s_delay_alu instid0(VALU_DEP_1) | instskip(SKIP_4) | instid1(SALU_CYCLE_1)
	v_lshl_add_u64 v[8:9], v[8:9], 2, s[16:17]
	s_wait_dscnt 0x2
	global_store_b32 v[8:9], v6, off
	s_wait_xcnt 0x0
	s_or_b32 exec_lo, exec_lo, s1
	s_mov_b32 s1, exec_lo
	v_cmpx_gt_u32_e64 s23, v24
	s_cbranch_execnz .LBB875_187
.LBB875_156:
	s_or_b32 exec_lo, exec_lo, s1
	s_delay_alu instid0(SALU_CYCLE_1)
	s_mov_b32 s1, exec_lo
	v_cmpx_gt_u32_e64 s23, v22
	s_cbranch_execz .LBB875_192
.LBB875_157:
	s_mov_b32 s2, exec_lo
                                        ; implicit-def: $vgpr6_vgpr7
	v_cmpx_ge_u32_e64 v22, v16
	s_xor_b32 s2, exec_lo, s2
	s_cbranch_execz .LBB875_159
; %bb.158:
	s_wait_dscnt 0x2
	v_xor_b32_e32 v6, 0xfffff5ff, v0
                                        ; implicit-def: $vgpr22_vgpr23
	s_delay_alu instid0(VALU_DEP_1) | instskip(NEXT) | instid1(VALU_DEP_1)
	v_ashrrev_i32_e32 v7, 31, v6
	v_add_nc_u64_e32 v[6:7], v[42:43], v[6:7]
.LBB875_159:
	s_and_not1_saveexec_b32 s2, s2
	s_cbranch_execz .LBB875_161
; %bb.160:
	s_wait_dscnt 0x2
	v_add_nc_u64_e32 v[6:7], v[2:3], v[22:23]
.LBB875_161:
	s_or_b32 exec_lo, exec_lo, s2
	s_wait_dscnt 0x2
	s_delay_alu instid0(VALU_DEP_1) | instskip(SKIP_4) | instid1(SALU_CYCLE_1)
	v_lshl_add_u64 v[6:7], v[6:7], 2, s[16:17]
	s_wait_dscnt 0x1
	global_store_b32 v[6:7], v4, off
	s_wait_xcnt 0x0
	s_or_b32 exec_lo, exec_lo, s1
	s_mov_b32 s1, exec_lo
	v_cmpx_gt_u32_e64 s23, v20
	s_cbranch_execz .LBB875_198
	s_branch .LBB875_193
.LBB875_162:
	s_or_b32 exec_lo, exec_lo, s1
	s_delay_alu instid0(SALU_CYCLE_1)
	s_mov_b32 s1, exec_lo
	v_cmpx_gt_u32_e64 s23, v40
	s_cbranch_execz .LBB875_132
.LBB875_163:
	s_mov_b32 s2, exec_lo
                                        ; implicit-def: $vgpr44_vgpr45
	v_cmpx_ge_u32_e64 v40, v16
	s_xor_b32 s2, exec_lo, s2
; %bb.164:
	v_xor_b32_e32 v40, 0xfffffeff, v0
	s_delay_alu instid0(VALU_DEP_1) | instskip(NEXT) | instid1(VALU_DEP_1)
	v_ashrrev_i32_e32 v41, 31, v40
	v_add_nc_u64_e32 v[44:45], v[42:43], v[40:41]
                                        ; implicit-def: $vgpr40_vgpr41
; %bb.165:
	s_and_not1_saveexec_b32 s2, s2
; %bb.166:
	v_add_nc_u64_e32 v[44:45], v[2:3], v[40:41]
; %bb.167:
	s_or_b32 exec_lo, exec_lo, s2
	s_delay_alu instid0(VALU_DEP_1) | instskip(SKIP_4) | instid1(SALU_CYCLE_1)
	v_lshl_add_u64 v[40:41], v[44:45], 2, s[16:17]
	s_wait_dscnt 0x6
	global_store_b32 v[40:41], v15, off
	s_wait_xcnt 0x0
	s_or_b32 exec_lo, exec_lo, s1
	s_mov_b32 s1, exec_lo
	v_cmpx_gt_u32_e64 s23, v38
	s_cbranch_execnz .LBB875_133
.LBB875_168:
	s_or_b32 exec_lo, exec_lo, s1
	s_delay_alu instid0(SALU_CYCLE_1)
	s_mov_b32 s1, exec_lo
	v_cmpx_gt_u32_e64 s23, v36
	s_cbranch_execz .LBB875_138
.LBB875_169:
	s_mov_b32 s2, exec_lo
                                        ; implicit-def: $vgpr14_vgpr15
	v_cmpx_ge_u32_e64 v36, v16
	s_xor_b32 s2, exec_lo, s2
	s_cbranch_execz .LBB875_171
; %bb.170:
	s_wait_dscnt 0x6
	v_xor_b32_e32 v14, 0xfffffcff, v0
                                        ; implicit-def: $vgpr36_vgpr37
	s_delay_alu instid0(VALU_DEP_1) | instskip(NEXT) | instid1(VALU_DEP_1)
	v_ashrrev_i32_e32 v15, 31, v14
	v_add_nc_u64_e32 v[14:15], v[42:43], v[14:15]
.LBB875_171:
	s_and_not1_saveexec_b32 s2, s2
	s_cbranch_execz .LBB875_173
; %bb.172:
	s_wait_dscnt 0x6
	v_add_nc_u64_e32 v[14:15], v[2:3], v[36:37]
.LBB875_173:
	s_or_b32 exec_lo, exec_lo, s2
	s_wait_dscnt 0x6
	s_delay_alu instid0(VALU_DEP_1) | instskip(SKIP_4) | instid1(SALU_CYCLE_1)
	v_lshl_add_u64 v[14:15], v[14:15], 2, s[16:17]
	s_wait_dscnt 0x5
	global_store_b32 v[14:15], v13, off
	s_wait_xcnt 0x0
	s_or_b32 exec_lo, exec_lo, s1
	s_mov_b32 s1, exec_lo
	v_cmpx_gt_u32_e64 s23, v34
	s_cbranch_execnz .LBB875_139
.LBB875_174:
	s_or_b32 exec_lo, exec_lo, s1
	s_delay_alu instid0(SALU_CYCLE_1)
	s_mov_b32 s1, exec_lo
	v_cmpx_gt_u32_e64 s23, v32
	s_cbranch_execz .LBB875_144
.LBB875_175:
	s_mov_b32 s2, exec_lo
                                        ; implicit-def: $vgpr12_vgpr13
	v_cmpx_ge_u32_e64 v32, v16
	s_xor_b32 s2, exec_lo, s2
	s_cbranch_execz .LBB875_177
; %bb.176:
	s_wait_dscnt 0x5
	v_xor_b32_e32 v12, 0xfffffaff, v0
                                        ; implicit-def: $vgpr32_vgpr33
	s_delay_alu instid0(VALU_DEP_1) | instskip(NEXT) | instid1(VALU_DEP_1)
	v_ashrrev_i32_e32 v13, 31, v12
	v_add_nc_u64_e32 v[12:13], v[42:43], v[12:13]
.LBB875_177:
	s_and_not1_saveexec_b32 s2, s2
	s_cbranch_execz .LBB875_179
; %bb.178:
	s_wait_dscnt 0x5
	v_add_nc_u64_e32 v[12:13], v[2:3], v[32:33]
.LBB875_179:
	s_or_b32 exec_lo, exec_lo, s2
	s_wait_dscnt 0x5
	s_delay_alu instid0(VALU_DEP_1) | instskip(SKIP_4) | instid1(SALU_CYCLE_1)
	v_lshl_add_u64 v[12:13], v[12:13], 2, s[16:17]
	s_wait_dscnt 0x4
	global_store_b32 v[12:13], v11, off
	s_wait_xcnt 0x0
	s_or_b32 exec_lo, exec_lo, s1
	s_mov_b32 s1, exec_lo
	v_cmpx_gt_u32_e64 s23, v30
	s_cbranch_execnz .LBB875_145
.LBB875_180:
	s_or_b32 exec_lo, exec_lo, s1
	s_delay_alu instid0(SALU_CYCLE_1)
	s_mov_b32 s1, exec_lo
	v_cmpx_gt_u32_e64 s23, v28
	s_cbranch_execz .LBB875_150
.LBB875_181:
	s_mov_b32 s2, exec_lo
                                        ; implicit-def: $vgpr10_vgpr11
	v_cmpx_ge_u32_e64 v28, v16
	s_xor_b32 s2, exec_lo, s2
	s_cbranch_execz .LBB875_183
; %bb.182:
	s_wait_dscnt 0x4
	v_xor_b32_e32 v10, 0xfffff8ff, v0
                                        ; implicit-def: $vgpr28_vgpr29
	s_delay_alu instid0(VALU_DEP_1) | instskip(NEXT) | instid1(VALU_DEP_1)
	v_ashrrev_i32_e32 v11, 31, v10
	v_add_nc_u64_e32 v[10:11], v[42:43], v[10:11]
.LBB875_183:
	s_and_not1_saveexec_b32 s2, s2
	s_cbranch_execz .LBB875_185
; %bb.184:
	s_wait_dscnt 0x4
	v_add_nc_u64_e32 v[10:11], v[2:3], v[28:29]
.LBB875_185:
	s_or_b32 exec_lo, exec_lo, s2
	s_wait_dscnt 0x4
	s_delay_alu instid0(VALU_DEP_1) | instskip(SKIP_4) | instid1(SALU_CYCLE_1)
	v_lshl_add_u64 v[10:11], v[10:11], 2, s[16:17]
	s_wait_dscnt 0x3
	global_store_b32 v[10:11], v9, off
	s_wait_xcnt 0x0
	s_or_b32 exec_lo, exec_lo, s1
	s_mov_b32 s1, exec_lo
	v_cmpx_gt_u32_e64 s23, v26
	s_cbranch_execnz .LBB875_151
.LBB875_186:
	s_or_b32 exec_lo, exec_lo, s1
	s_delay_alu instid0(SALU_CYCLE_1)
	s_mov_b32 s1, exec_lo
	v_cmpx_gt_u32_e64 s23, v24
	s_cbranch_execz .LBB875_156
.LBB875_187:
	s_mov_b32 s2, exec_lo
                                        ; implicit-def: $vgpr8_vgpr9
	v_cmpx_ge_u32_e64 v24, v16
	s_xor_b32 s2, exec_lo, s2
	s_cbranch_execz .LBB875_189
; %bb.188:
	s_wait_dscnt 0x3
	v_xor_b32_e32 v8, 0xfffff6ff, v0
                                        ; implicit-def: $vgpr24_vgpr25
	s_delay_alu instid0(VALU_DEP_1) | instskip(NEXT) | instid1(VALU_DEP_1)
	v_ashrrev_i32_e32 v9, 31, v8
	v_add_nc_u64_e32 v[8:9], v[42:43], v[8:9]
.LBB875_189:
	s_and_not1_saveexec_b32 s2, s2
	s_cbranch_execz .LBB875_191
; %bb.190:
	s_wait_dscnt 0x3
	v_add_nc_u64_e32 v[8:9], v[2:3], v[24:25]
.LBB875_191:
	s_or_b32 exec_lo, exec_lo, s2
	s_wait_dscnt 0x3
	s_delay_alu instid0(VALU_DEP_1) | instskip(SKIP_4) | instid1(SALU_CYCLE_1)
	v_lshl_add_u64 v[8:9], v[8:9], 2, s[16:17]
	s_wait_dscnt 0x2
	global_store_b32 v[8:9], v7, off
	s_wait_xcnt 0x0
	s_or_b32 exec_lo, exec_lo, s1
	s_mov_b32 s1, exec_lo
	v_cmpx_gt_u32_e64 s23, v22
	s_cbranch_execnz .LBB875_157
.LBB875_192:
	s_or_b32 exec_lo, exec_lo, s1
	s_delay_alu instid0(SALU_CYCLE_1)
	s_mov_b32 s1, exec_lo
	v_cmpx_gt_u32_e64 s23, v20
	s_cbranch_execz .LBB875_198
.LBB875_193:
	s_mov_b32 s2, exec_lo
                                        ; implicit-def: $vgpr6_vgpr7
	v_cmpx_ge_u32_e64 v20, v16
	s_xor_b32 s2, exec_lo, s2
	s_cbranch_execz .LBB875_195
; %bb.194:
	s_wait_dscnt 0x2
	v_xor_b32_e32 v6, 0xfffff4ff, v0
                                        ; implicit-def: $vgpr20_vgpr21
	s_delay_alu instid0(VALU_DEP_1) | instskip(NEXT) | instid1(VALU_DEP_1)
	v_ashrrev_i32_e32 v7, 31, v6
	v_add_nc_u64_e32 v[6:7], v[42:43], v[6:7]
.LBB875_195:
	s_and_not1_saveexec_b32 s2, s2
	s_cbranch_execz .LBB875_197
; %bb.196:
	s_wait_dscnt 0x2
	v_add_nc_u64_e32 v[6:7], v[2:3], v[20:21]
.LBB875_197:
	s_or_b32 exec_lo, exec_lo, s2
	s_wait_dscnt 0x2
	s_delay_alu instid0(VALU_DEP_1)
	v_lshl_add_u64 v[6:7], v[6:7], 2, s[16:17]
	s_wait_dscnt 0x1
	global_store_b32 v[6:7], v5, off
.LBB875_198:
	s_wait_xcnt 0x0
	s_or_b32 exec_lo, exec_lo, s1
	s_delay_alu instid0(SALU_CYCLE_1)
	s_mov_b32 s1, exec_lo
                                        ; implicit-def: $vgpr44_vgpr45
	v_cmpx_gt_u32_e64 s23, v18
	s_cbranch_execz .LBB875_204
; %bb.199:
	s_mov_b32 s2, exec_lo
                                        ; implicit-def: $vgpr44_vgpr45
	v_cmpx_ge_u32_e64 v18, v16
	s_xor_b32 s2, exec_lo, s2
	s_cbranch_execz .LBB875_201
; %bb.200:
	s_wait_dscnt 0x1
	v_xor_b32_e32 v4, 0xfffff3ff, v0
                                        ; implicit-def: $vgpr18_vgpr19
	s_delay_alu instid0(VALU_DEP_1) | instskip(NEXT) | instid1(VALU_DEP_1)
	v_ashrrev_i32_e32 v5, 31, v4
	v_add_nc_u64_e32 v[44:45], v[42:43], v[4:5]
.LBB875_201:
	s_and_not1_saveexec_b32 s2, s2
; %bb.202:
	v_add_nc_u64_e32 v[44:45], v[2:3], v[18:19]
; %bb.203:
	s_or_b32 exec_lo, exec_lo, s2
	s_delay_alu instid0(SALU_CYCLE_1)
	s_or_b32 s0, s0, exec_lo
.LBB875_204:
	s_or_b32 exec_lo, exec_lo, s1
.LBB875_205:
	s_and_saveexec_b32 s1, s0
	s_cbranch_execz .LBB875_207
; %bb.206:
	s_wait_dscnt 0x1
	v_lshl_add_u64 v[4:5], v[44:45], 2, s[16:17]
	s_wait_dscnt 0x0
	global_store_b32 v[4:5], v46, off
.LBB875_207:
	s_wait_xcnt 0x0
	s_or_b32 exec_lo, exec_lo, s1
	v_cmp_eq_u32_e32 vcc_lo, 0, v0
	s_and_b32 s0, vcc_lo, s22
	s_delay_alu instid0(SALU_CYCLE_1)
	s_and_saveexec_b32 s1, s0
	s_cbranch_execz .LBB875_209
; %bb.208:
	v_mov_b32_e32 v17, 0
	s_delay_alu instid0(VALU_DEP_1)
	v_add_nc_u64_e32 v[0:1], v[2:3], v[16:17]
	global_store_b64 v17, v[0:1], s[8:9]
.LBB875_209:
	s_sendmsg sendmsg(MSG_DEALLOC_VGPRS)
	s_endpgm
	.section	.rodata,"a",@progbits
	.p2align	6, 0x0
	.amdhsa_kernel _ZN7rocprim17ROCPRIM_400000_NS6detail17trampoline_kernelINS0_13select_configILj256ELj13ELNS0_17block_load_methodE3ELS4_3ELS4_3ELNS0_20block_scan_algorithmE0ELj4294967295EEENS1_25partition_config_selectorILNS1_17partition_subalgoE3EjNS0_10empty_typeEbEEZZNS1_14partition_implILS8_3ELb0ES6_jNS0_17counting_iteratorIjlEEPS9_SE_NS0_5tupleIJPjSE_EEENSF_IJSE_SE_EEES9_SG_JZNS1_25segmented_radix_sort_implINS0_14default_configELb1EPKsPsPKlPlN2at6native12_GLOBAL__N_18offset_tEEE10hipError_tPvRmT1_PNSt15iterator_traitsISY_E10value_typeET2_T3_PNSZ_IS14_E10value_typeET4_jRbjT5_S1A_jjP12ihipStream_tbEUljE_EEESV_SW_SX_S14_S18_S1A_T6_T7_T9_mT8_S1C_bDpT10_ENKUlT_T0_E_clISt17integral_constantIbLb0EES1P_EEDaS1K_S1L_EUlS1K_E_NS1_11comp_targetILNS1_3genE0ELNS1_11target_archE4294967295ELNS1_3gpuE0ELNS1_3repE0EEENS1_30default_config_static_selectorELNS0_4arch9wavefront6targetE0EEEvSY_
		.amdhsa_group_segment_fixed_size 13320
		.amdhsa_private_segment_fixed_size 0
		.amdhsa_kernarg_size 144
		.amdhsa_user_sgpr_count 2
		.amdhsa_user_sgpr_dispatch_ptr 0
		.amdhsa_user_sgpr_queue_ptr 0
		.amdhsa_user_sgpr_kernarg_segment_ptr 1
		.amdhsa_user_sgpr_dispatch_id 0
		.amdhsa_user_sgpr_kernarg_preload_length 0
		.amdhsa_user_sgpr_kernarg_preload_offset 0
		.amdhsa_user_sgpr_private_segment_size 0
		.amdhsa_wavefront_size32 1
		.amdhsa_uses_dynamic_stack 0
		.amdhsa_enable_private_segment 0
		.amdhsa_system_sgpr_workgroup_id_x 1
		.amdhsa_system_sgpr_workgroup_id_y 0
		.amdhsa_system_sgpr_workgroup_id_z 0
		.amdhsa_system_sgpr_workgroup_info 0
		.amdhsa_system_vgpr_workitem_id 0
		.amdhsa_next_free_vgpr 69
		.amdhsa_next_free_sgpr 26
		.amdhsa_named_barrier_count 0
		.amdhsa_reserve_vcc 1
		.amdhsa_float_round_mode_32 0
		.amdhsa_float_round_mode_16_64 0
		.amdhsa_float_denorm_mode_32 3
		.amdhsa_float_denorm_mode_16_64 3
		.amdhsa_fp16_overflow 0
		.amdhsa_memory_ordered 1
		.amdhsa_forward_progress 1
		.amdhsa_inst_pref_size 70
		.amdhsa_round_robin_scheduling 0
		.amdhsa_exception_fp_ieee_invalid_op 0
		.amdhsa_exception_fp_denorm_src 0
		.amdhsa_exception_fp_ieee_div_zero 0
		.amdhsa_exception_fp_ieee_overflow 0
		.amdhsa_exception_fp_ieee_underflow 0
		.amdhsa_exception_fp_ieee_inexact 0
		.amdhsa_exception_int_div_zero 0
	.end_amdhsa_kernel
	.section	.text._ZN7rocprim17ROCPRIM_400000_NS6detail17trampoline_kernelINS0_13select_configILj256ELj13ELNS0_17block_load_methodE3ELS4_3ELS4_3ELNS0_20block_scan_algorithmE0ELj4294967295EEENS1_25partition_config_selectorILNS1_17partition_subalgoE3EjNS0_10empty_typeEbEEZZNS1_14partition_implILS8_3ELb0ES6_jNS0_17counting_iteratorIjlEEPS9_SE_NS0_5tupleIJPjSE_EEENSF_IJSE_SE_EEES9_SG_JZNS1_25segmented_radix_sort_implINS0_14default_configELb1EPKsPsPKlPlN2at6native12_GLOBAL__N_18offset_tEEE10hipError_tPvRmT1_PNSt15iterator_traitsISY_E10value_typeET2_T3_PNSZ_IS14_E10value_typeET4_jRbjT5_S1A_jjP12ihipStream_tbEUljE_EEESV_SW_SX_S14_S18_S1A_T6_T7_T9_mT8_S1C_bDpT10_ENKUlT_T0_E_clISt17integral_constantIbLb0EES1P_EEDaS1K_S1L_EUlS1K_E_NS1_11comp_targetILNS1_3genE0ELNS1_11target_archE4294967295ELNS1_3gpuE0ELNS1_3repE0EEENS1_30default_config_static_selectorELNS0_4arch9wavefront6targetE0EEEvSY_,"axG",@progbits,_ZN7rocprim17ROCPRIM_400000_NS6detail17trampoline_kernelINS0_13select_configILj256ELj13ELNS0_17block_load_methodE3ELS4_3ELS4_3ELNS0_20block_scan_algorithmE0ELj4294967295EEENS1_25partition_config_selectorILNS1_17partition_subalgoE3EjNS0_10empty_typeEbEEZZNS1_14partition_implILS8_3ELb0ES6_jNS0_17counting_iteratorIjlEEPS9_SE_NS0_5tupleIJPjSE_EEENSF_IJSE_SE_EEES9_SG_JZNS1_25segmented_radix_sort_implINS0_14default_configELb1EPKsPsPKlPlN2at6native12_GLOBAL__N_18offset_tEEE10hipError_tPvRmT1_PNSt15iterator_traitsISY_E10value_typeET2_T3_PNSZ_IS14_E10value_typeET4_jRbjT5_S1A_jjP12ihipStream_tbEUljE_EEESV_SW_SX_S14_S18_S1A_T6_T7_T9_mT8_S1C_bDpT10_ENKUlT_T0_E_clISt17integral_constantIbLb0EES1P_EEDaS1K_S1L_EUlS1K_E_NS1_11comp_targetILNS1_3genE0ELNS1_11target_archE4294967295ELNS1_3gpuE0ELNS1_3repE0EEENS1_30default_config_static_selectorELNS0_4arch9wavefront6targetE0EEEvSY_,comdat
.Lfunc_end875:
	.size	_ZN7rocprim17ROCPRIM_400000_NS6detail17trampoline_kernelINS0_13select_configILj256ELj13ELNS0_17block_load_methodE3ELS4_3ELS4_3ELNS0_20block_scan_algorithmE0ELj4294967295EEENS1_25partition_config_selectorILNS1_17partition_subalgoE3EjNS0_10empty_typeEbEEZZNS1_14partition_implILS8_3ELb0ES6_jNS0_17counting_iteratorIjlEEPS9_SE_NS0_5tupleIJPjSE_EEENSF_IJSE_SE_EEES9_SG_JZNS1_25segmented_radix_sort_implINS0_14default_configELb1EPKsPsPKlPlN2at6native12_GLOBAL__N_18offset_tEEE10hipError_tPvRmT1_PNSt15iterator_traitsISY_E10value_typeET2_T3_PNSZ_IS14_E10value_typeET4_jRbjT5_S1A_jjP12ihipStream_tbEUljE_EEESV_SW_SX_S14_S18_S1A_T6_T7_T9_mT8_S1C_bDpT10_ENKUlT_T0_E_clISt17integral_constantIbLb0EES1P_EEDaS1K_S1L_EUlS1K_E_NS1_11comp_targetILNS1_3genE0ELNS1_11target_archE4294967295ELNS1_3gpuE0ELNS1_3repE0EEENS1_30default_config_static_selectorELNS0_4arch9wavefront6targetE0EEEvSY_, .Lfunc_end875-_ZN7rocprim17ROCPRIM_400000_NS6detail17trampoline_kernelINS0_13select_configILj256ELj13ELNS0_17block_load_methodE3ELS4_3ELS4_3ELNS0_20block_scan_algorithmE0ELj4294967295EEENS1_25partition_config_selectorILNS1_17partition_subalgoE3EjNS0_10empty_typeEbEEZZNS1_14partition_implILS8_3ELb0ES6_jNS0_17counting_iteratorIjlEEPS9_SE_NS0_5tupleIJPjSE_EEENSF_IJSE_SE_EEES9_SG_JZNS1_25segmented_radix_sort_implINS0_14default_configELb1EPKsPsPKlPlN2at6native12_GLOBAL__N_18offset_tEEE10hipError_tPvRmT1_PNSt15iterator_traitsISY_E10value_typeET2_T3_PNSZ_IS14_E10value_typeET4_jRbjT5_S1A_jjP12ihipStream_tbEUljE_EEESV_SW_SX_S14_S18_S1A_T6_T7_T9_mT8_S1C_bDpT10_ENKUlT_T0_E_clISt17integral_constantIbLb0EES1P_EEDaS1K_S1L_EUlS1K_E_NS1_11comp_targetILNS1_3genE0ELNS1_11target_archE4294967295ELNS1_3gpuE0ELNS1_3repE0EEENS1_30default_config_static_selectorELNS0_4arch9wavefront6targetE0EEEvSY_
                                        ; -- End function
	.set _ZN7rocprim17ROCPRIM_400000_NS6detail17trampoline_kernelINS0_13select_configILj256ELj13ELNS0_17block_load_methodE3ELS4_3ELS4_3ELNS0_20block_scan_algorithmE0ELj4294967295EEENS1_25partition_config_selectorILNS1_17partition_subalgoE3EjNS0_10empty_typeEbEEZZNS1_14partition_implILS8_3ELb0ES6_jNS0_17counting_iteratorIjlEEPS9_SE_NS0_5tupleIJPjSE_EEENSF_IJSE_SE_EEES9_SG_JZNS1_25segmented_radix_sort_implINS0_14default_configELb1EPKsPsPKlPlN2at6native12_GLOBAL__N_18offset_tEEE10hipError_tPvRmT1_PNSt15iterator_traitsISY_E10value_typeET2_T3_PNSZ_IS14_E10value_typeET4_jRbjT5_S1A_jjP12ihipStream_tbEUljE_EEESV_SW_SX_S14_S18_S1A_T6_T7_T9_mT8_S1C_bDpT10_ENKUlT_T0_E_clISt17integral_constantIbLb0EES1P_EEDaS1K_S1L_EUlS1K_E_NS1_11comp_targetILNS1_3genE0ELNS1_11target_archE4294967295ELNS1_3gpuE0ELNS1_3repE0EEENS1_30default_config_static_selectorELNS0_4arch9wavefront6targetE0EEEvSY_.num_vgpr, 69
	.set _ZN7rocprim17ROCPRIM_400000_NS6detail17trampoline_kernelINS0_13select_configILj256ELj13ELNS0_17block_load_methodE3ELS4_3ELS4_3ELNS0_20block_scan_algorithmE0ELj4294967295EEENS1_25partition_config_selectorILNS1_17partition_subalgoE3EjNS0_10empty_typeEbEEZZNS1_14partition_implILS8_3ELb0ES6_jNS0_17counting_iteratorIjlEEPS9_SE_NS0_5tupleIJPjSE_EEENSF_IJSE_SE_EEES9_SG_JZNS1_25segmented_radix_sort_implINS0_14default_configELb1EPKsPsPKlPlN2at6native12_GLOBAL__N_18offset_tEEE10hipError_tPvRmT1_PNSt15iterator_traitsISY_E10value_typeET2_T3_PNSZ_IS14_E10value_typeET4_jRbjT5_S1A_jjP12ihipStream_tbEUljE_EEESV_SW_SX_S14_S18_S1A_T6_T7_T9_mT8_S1C_bDpT10_ENKUlT_T0_E_clISt17integral_constantIbLb0EES1P_EEDaS1K_S1L_EUlS1K_E_NS1_11comp_targetILNS1_3genE0ELNS1_11target_archE4294967295ELNS1_3gpuE0ELNS1_3repE0EEENS1_30default_config_static_selectorELNS0_4arch9wavefront6targetE0EEEvSY_.num_agpr, 0
	.set _ZN7rocprim17ROCPRIM_400000_NS6detail17trampoline_kernelINS0_13select_configILj256ELj13ELNS0_17block_load_methodE3ELS4_3ELS4_3ELNS0_20block_scan_algorithmE0ELj4294967295EEENS1_25partition_config_selectorILNS1_17partition_subalgoE3EjNS0_10empty_typeEbEEZZNS1_14partition_implILS8_3ELb0ES6_jNS0_17counting_iteratorIjlEEPS9_SE_NS0_5tupleIJPjSE_EEENSF_IJSE_SE_EEES9_SG_JZNS1_25segmented_radix_sort_implINS0_14default_configELb1EPKsPsPKlPlN2at6native12_GLOBAL__N_18offset_tEEE10hipError_tPvRmT1_PNSt15iterator_traitsISY_E10value_typeET2_T3_PNSZ_IS14_E10value_typeET4_jRbjT5_S1A_jjP12ihipStream_tbEUljE_EEESV_SW_SX_S14_S18_S1A_T6_T7_T9_mT8_S1C_bDpT10_ENKUlT_T0_E_clISt17integral_constantIbLb0EES1P_EEDaS1K_S1L_EUlS1K_E_NS1_11comp_targetILNS1_3genE0ELNS1_11target_archE4294967295ELNS1_3gpuE0ELNS1_3repE0EEENS1_30default_config_static_selectorELNS0_4arch9wavefront6targetE0EEEvSY_.numbered_sgpr, 26
	.set _ZN7rocprim17ROCPRIM_400000_NS6detail17trampoline_kernelINS0_13select_configILj256ELj13ELNS0_17block_load_methodE3ELS4_3ELS4_3ELNS0_20block_scan_algorithmE0ELj4294967295EEENS1_25partition_config_selectorILNS1_17partition_subalgoE3EjNS0_10empty_typeEbEEZZNS1_14partition_implILS8_3ELb0ES6_jNS0_17counting_iteratorIjlEEPS9_SE_NS0_5tupleIJPjSE_EEENSF_IJSE_SE_EEES9_SG_JZNS1_25segmented_radix_sort_implINS0_14default_configELb1EPKsPsPKlPlN2at6native12_GLOBAL__N_18offset_tEEE10hipError_tPvRmT1_PNSt15iterator_traitsISY_E10value_typeET2_T3_PNSZ_IS14_E10value_typeET4_jRbjT5_S1A_jjP12ihipStream_tbEUljE_EEESV_SW_SX_S14_S18_S1A_T6_T7_T9_mT8_S1C_bDpT10_ENKUlT_T0_E_clISt17integral_constantIbLb0EES1P_EEDaS1K_S1L_EUlS1K_E_NS1_11comp_targetILNS1_3genE0ELNS1_11target_archE4294967295ELNS1_3gpuE0ELNS1_3repE0EEENS1_30default_config_static_selectorELNS0_4arch9wavefront6targetE0EEEvSY_.num_named_barrier, 0
	.set _ZN7rocprim17ROCPRIM_400000_NS6detail17trampoline_kernelINS0_13select_configILj256ELj13ELNS0_17block_load_methodE3ELS4_3ELS4_3ELNS0_20block_scan_algorithmE0ELj4294967295EEENS1_25partition_config_selectorILNS1_17partition_subalgoE3EjNS0_10empty_typeEbEEZZNS1_14partition_implILS8_3ELb0ES6_jNS0_17counting_iteratorIjlEEPS9_SE_NS0_5tupleIJPjSE_EEENSF_IJSE_SE_EEES9_SG_JZNS1_25segmented_radix_sort_implINS0_14default_configELb1EPKsPsPKlPlN2at6native12_GLOBAL__N_18offset_tEEE10hipError_tPvRmT1_PNSt15iterator_traitsISY_E10value_typeET2_T3_PNSZ_IS14_E10value_typeET4_jRbjT5_S1A_jjP12ihipStream_tbEUljE_EEESV_SW_SX_S14_S18_S1A_T6_T7_T9_mT8_S1C_bDpT10_ENKUlT_T0_E_clISt17integral_constantIbLb0EES1P_EEDaS1K_S1L_EUlS1K_E_NS1_11comp_targetILNS1_3genE0ELNS1_11target_archE4294967295ELNS1_3gpuE0ELNS1_3repE0EEENS1_30default_config_static_selectorELNS0_4arch9wavefront6targetE0EEEvSY_.private_seg_size, 0
	.set _ZN7rocprim17ROCPRIM_400000_NS6detail17trampoline_kernelINS0_13select_configILj256ELj13ELNS0_17block_load_methodE3ELS4_3ELS4_3ELNS0_20block_scan_algorithmE0ELj4294967295EEENS1_25partition_config_selectorILNS1_17partition_subalgoE3EjNS0_10empty_typeEbEEZZNS1_14partition_implILS8_3ELb0ES6_jNS0_17counting_iteratorIjlEEPS9_SE_NS0_5tupleIJPjSE_EEENSF_IJSE_SE_EEES9_SG_JZNS1_25segmented_radix_sort_implINS0_14default_configELb1EPKsPsPKlPlN2at6native12_GLOBAL__N_18offset_tEEE10hipError_tPvRmT1_PNSt15iterator_traitsISY_E10value_typeET2_T3_PNSZ_IS14_E10value_typeET4_jRbjT5_S1A_jjP12ihipStream_tbEUljE_EEESV_SW_SX_S14_S18_S1A_T6_T7_T9_mT8_S1C_bDpT10_ENKUlT_T0_E_clISt17integral_constantIbLb0EES1P_EEDaS1K_S1L_EUlS1K_E_NS1_11comp_targetILNS1_3genE0ELNS1_11target_archE4294967295ELNS1_3gpuE0ELNS1_3repE0EEENS1_30default_config_static_selectorELNS0_4arch9wavefront6targetE0EEEvSY_.uses_vcc, 1
	.set _ZN7rocprim17ROCPRIM_400000_NS6detail17trampoline_kernelINS0_13select_configILj256ELj13ELNS0_17block_load_methodE3ELS4_3ELS4_3ELNS0_20block_scan_algorithmE0ELj4294967295EEENS1_25partition_config_selectorILNS1_17partition_subalgoE3EjNS0_10empty_typeEbEEZZNS1_14partition_implILS8_3ELb0ES6_jNS0_17counting_iteratorIjlEEPS9_SE_NS0_5tupleIJPjSE_EEENSF_IJSE_SE_EEES9_SG_JZNS1_25segmented_radix_sort_implINS0_14default_configELb1EPKsPsPKlPlN2at6native12_GLOBAL__N_18offset_tEEE10hipError_tPvRmT1_PNSt15iterator_traitsISY_E10value_typeET2_T3_PNSZ_IS14_E10value_typeET4_jRbjT5_S1A_jjP12ihipStream_tbEUljE_EEESV_SW_SX_S14_S18_S1A_T6_T7_T9_mT8_S1C_bDpT10_ENKUlT_T0_E_clISt17integral_constantIbLb0EES1P_EEDaS1K_S1L_EUlS1K_E_NS1_11comp_targetILNS1_3genE0ELNS1_11target_archE4294967295ELNS1_3gpuE0ELNS1_3repE0EEENS1_30default_config_static_selectorELNS0_4arch9wavefront6targetE0EEEvSY_.uses_flat_scratch, 0
	.set _ZN7rocprim17ROCPRIM_400000_NS6detail17trampoline_kernelINS0_13select_configILj256ELj13ELNS0_17block_load_methodE3ELS4_3ELS4_3ELNS0_20block_scan_algorithmE0ELj4294967295EEENS1_25partition_config_selectorILNS1_17partition_subalgoE3EjNS0_10empty_typeEbEEZZNS1_14partition_implILS8_3ELb0ES6_jNS0_17counting_iteratorIjlEEPS9_SE_NS0_5tupleIJPjSE_EEENSF_IJSE_SE_EEES9_SG_JZNS1_25segmented_radix_sort_implINS0_14default_configELb1EPKsPsPKlPlN2at6native12_GLOBAL__N_18offset_tEEE10hipError_tPvRmT1_PNSt15iterator_traitsISY_E10value_typeET2_T3_PNSZ_IS14_E10value_typeET4_jRbjT5_S1A_jjP12ihipStream_tbEUljE_EEESV_SW_SX_S14_S18_S1A_T6_T7_T9_mT8_S1C_bDpT10_ENKUlT_T0_E_clISt17integral_constantIbLb0EES1P_EEDaS1K_S1L_EUlS1K_E_NS1_11comp_targetILNS1_3genE0ELNS1_11target_archE4294967295ELNS1_3gpuE0ELNS1_3repE0EEENS1_30default_config_static_selectorELNS0_4arch9wavefront6targetE0EEEvSY_.has_dyn_sized_stack, 0
	.set _ZN7rocprim17ROCPRIM_400000_NS6detail17trampoline_kernelINS0_13select_configILj256ELj13ELNS0_17block_load_methodE3ELS4_3ELS4_3ELNS0_20block_scan_algorithmE0ELj4294967295EEENS1_25partition_config_selectorILNS1_17partition_subalgoE3EjNS0_10empty_typeEbEEZZNS1_14partition_implILS8_3ELb0ES6_jNS0_17counting_iteratorIjlEEPS9_SE_NS0_5tupleIJPjSE_EEENSF_IJSE_SE_EEES9_SG_JZNS1_25segmented_radix_sort_implINS0_14default_configELb1EPKsPsPKlPlN2at6native12_GLOBAL__N_18offset_tEEE10hipError_tPvRmT1_PNSt15iterator_traitsISY_E10value_typeET2_T3_PNSZ_IS14_E10value_typeET4_jRbjT5_S1A_jjP12ihipStream_tbEUljE_EEESV_SW_SX_S14_S18_S1A_T6_T7_T9_mT8_S1C_bDpT10_ENKUlT_T0_E_clISt17integral_constantIbLb0EES1P_EEDaS1K_S1L_EUlS1K_E_NS1_11comp_targetILNS1_3genE0ELNS1_11target_archE4294967295ELNS1_3gpuE0ELNS1_3repE0EEENS1_30default_config_static_selectorELNS0_4arch9wavefront6targetE0EEEvSY_.has_recursion, 0
	.set _ZN7rocprim17ROCPRIM_400000_NS6detail17trampoline_kernelINS0_13select_configILj256ELj13ELNS0_17block_load_methodE3ELS4_3ELS4_3ELNS0_20block_scan_algorithmE0ELj4294967295EEENS1_25partition_config_selectorILNS1_17partition_subalgoE3EjNS0_10empty_typeEbEEZZNS1_14partition_implILS8_3ELb0ES6_jNS0_17counting_iteratorIjlEEPS9_SE_NS0_5tupleIJPjSE_EEENSF_IJSE_SE_EEES9_SG_JZNS1_25segmented_radix_sort_implINS0_14default_configELb1EPKsPsPKlPlN2at6native12_GLOBAL__N_18offset_tEEE10hipError_tPvRmT1_PNSt15iterator_traitsISY_E10value_typeET2_T3_PNSZ_IS14_E10value_typeET4_jRbjT5_S1A_jjP12ihipStream_tbEUljE_EEESV_SW_SX_S14_S18_S1A_T6_T7_T9_mT8_S1C_bDpT10_ENKUlT_T0_E_clISt17integral_constantIbLb0EES1P_EEDaS1K_S1L_EUlS1K_E_NS1_11comp_targetILNS1_3genE0ELNS1_11target_archE4294967295ELNS1_3gpuE0ELNS1_3repE0EEENS1_30default_config_static_selectorELNS0_4arch9wavefront6targetE0EEEvSY_.has_indirect_call, 0
	.section	.AMDGPU.csdata,"",@progbits
; Kernel info:
; codeLenInByte = 8920
; TotalNumSgprs: 28
; NumVgprs: 69
; ScratchSize: 0
; MemoryBound: 0
; FloatMode: 240
; IeeeMode: 1
; LDSByteSize: 13320 bytes/workgroup (compile time only)
; SGPRBlocks: 0
; VGPRBlocks: 4
; NumSGPRsForWavesPerEU: 28
; NumVGPRsForWavesPerEU: 69
; NamedBarCnt: 0
; Occupancy: 12
; WaveLimiterHint : 0
; COMPUTE_PGM_RSRC2:SCRATCH_EN: 0
; COMPUTE_PGM_RSRC2:USER_SGPR: 2
; COMPUTE_PGM_RSRC2:TRAP_HANDLER: 0
; COMPUTE_PGM_RSRC2:TGID_X_EN: 1
; COMPUTE_PGM_RSRC2:TGID_Y_EN: 0
; COMPUTE_PGM_RSRC2:TGID_Z_EN: 0
; COMPUTE_PGM_RSRC2:TIDIG_COMP_CNT: 0
	.section	.text._ZN7rocprim17ROCPRIM_400000_NS6detail17trampoline_kernelINS0_13select_configILj256ELj13ELNS0_17block_load_methodE3ELS4_3ELS4_3ELNS0_20block_scan_algorithmE0ELj4294967295EEENS1_25partition_config_selectorILNS1_17partition_subalgoE3EjNS0_10empty_typeEbEEZZNS1_14partition_implILS8_3ELb0ES6_jNS0_17counting_iteratorIjlEEPS9_SE_NS0_5tupleIJPjSE_EEENSF_IJSE_SE_EEES9_SG_JZNS1_25segmented_radix_sort_implINS0_14default_configELb1EPKsPsPKlPlN2at6native12_GLOBAL__N_18offset_tEEE10hipError_tPvRmT1_PNSt15iterator_traitsISY_E10value_typeET2_T3_PNSZ_IS14_E10value_typeET4_jRbjT5_S1A_jjP12ihipStream_tbEUljE_EEESV_SW_SX_S14_S18_S1A_T6_T7_T9_mT8_S1C_bDpT10_ENKUlT_T0_E_clISt17integral_constantIbLb0EES1P_EEDaS1K_S1L_EUlS1K_E_NS1_11comp_targetILNS1_3genE5ELNS1_11target_archE942ELNS1_3gpuE9ELNS1_3repE0EEENS1_30default_config_static_selectorELNS0_4arch9wavefront6targetE0EEEvSY_,"axG",@progbits,_ZN7rocprim17ROCPRIM_400000_NS6detail17trampoline_kernelINS0_13select_configILj256ELj13ELNS0_17block_load_methodE3ELS4_3ELS4_3ELNS0_20block_scan_algorithmE0ELj4294967295EEENS1_25partition_config_selectorILNS1_17partition_subalgoE3EjNS0_10empty_typeEbEEZZNS1_14partition_implILS8_3ELb0ES6_jNS0_17counting_iteratorIjlEEPS9_SE_NS0_5tupleIJPjSE_EEENSF_IJSE_SE_EEES9_SG_JZNS1_25segmented_radix_sort_implINS0_14default_configELb1EPKsPsPKlPlN2at6native12_GLOBAL__N_18offset_tEEE10hipError_tPvRmT1_PNSt15iterator_traitsISY_E10value_typeET2_T3_PNSZ_IS14_E10value_typeET4_jRbjT5_S1A_jjP12ihipStream_tbEUljE_EEESV_SW_SX_S14_S18_S1A_T6_T7_T9_mT8_S1C_bDpT10_ENKUlT_T0_E_clISt17integral_constantIbLb0EES1P_EEDaS1K_S1L_EUlS1K_E_NS1_11comp_targetILNS1_3genE5ELNS1_11target_archE942ELNS1_3gpuE9ELNS1_3repE0EEENS1_30default_config_static_selectorELNS0_4arch9wavefront6targetE0EEEvSY_,comdat
	.globl	_ZN7rocprim17ROCPRIM_400000_NS6detail17trampoline_kernelINS0_13select_configILj256ELj13ELNS0_17block_load_methodE3ELS4_3ELS4_3ELNS0_20block_scan_algorithmE0ELj4294967295EEENS1_25partition_config_selectorILNS1_17partition_subalgoE3EjNS0_10empty_typeEbEEZZNS1_14partition_implILS8_3ELb0ES6_jNS0_17counting_iteratorIjlEEPS9_SE_NS0_5tupleIJPjSE_EEENSF_IJSE_SE_EEES9_SG_JZNS1_25segmented_radix_sort_implINS0_14default_configELb1EPKsPsPKlPlN2at6native12_GLOBAL__N_18offset_tEEE10hipError_tPvRmT1_PNSt15iterator_traitsISY_E10value_typeET2_T3_PNSZ_IS14_E10value_typeET4_jRbjT5_S1A_jjP12ihipStream_tbEUljE_EEESV_SW_SX_S14_S18_S1A_T6_T7_T9_mT8_S1C_bDpT10_ENKUlT_T0_E_clISt17integral_constantIbLb0EES1P_EEDaS1K_S1L_EUlS1K_E_NS1_11comp_targetILNS1_3genE5ELNS1_11target_archE942ELNS1_3gpuE9ELNS1_3repE0EEENS1_30default_config_static_selectorELNS0_4arch9wavefront6targetE0EEEvSY_ ; -- Begin function _ZN7rocprim17ROCPRIM_400000_NS6detail17trampoline_kernelINS0_13select_configILj256ELj13ELNS0_17block_load_methodE3ELS4_3ELS4_3ELNS0_20block_scan_algorithmE0ELj4294967295EEENS1_25partition_config_selectorILNS1_17partition_subalgoE3EjNS0_10empty_typeEbEEZZNS1_14partition_implILS8_3ELb0ES6_jNS0_17counting_iteratorIjlEEPS9_SE_NS0_5tupleIJPjSE_EEENSF_IJSE_SE_EEES9_SG_JZNS1_25segmented_radix_sort_implINS0_14default_configELb1EPKsPsPKlPlN2at6native12_GLOBAL__N_18offset_tEEE10hipError_tPvRmT1_PNSt15iterator_traitsISY_E10value_typeET2_T3_PNSZ_IS14_E10value_typeET4_jRbjT5_S1A_jjP12ihipStream_tbEUljE_EEESV_SW_SX_S14_S18_S1A_T6_T7_T9_mT8_S1C_bDpT10_ENKUlT_T0_E_clISt17integral_constantIbLb0EES1P_EEDaS1K_S1L_EUlS1K_E_NS1_11comp_targetILNS1_3genE5ELNS1_11target_archE942ELNS1_3gpuE9ELNS1_3repE0EEENS1_30default_config_static_selectorELNS0_4arch9wavefront6targetE0EEEvSY_
	.p2align	8
	.type	_ZN7rocprim17ROCPRIM_400000_NS6detail17trampoline_kernelINS0_13select_configILj256ELj13ELNS0_17block_load_methodE3ELS4_3ELS4_3ELNS0_20block_scan_algorithmE0ELj4294967295EEENS1_25partition_config_selectorILNS1_17partition_subalgoE3EjNS0_10empty_typeEbEEZZNS1_14partition_implILS8_3ELb0ES6_jNS0_17counting_iteratorIjlEEPS9_SE_NS0_5tupleIJPjSE_EEENSF_IJSE_SE_EEES9_SG_JZNS1_25segmented_radix_sort_implINS0_14default_configELb1EPKsPsPKlPlN2at6native12_GLOBAL__N_18offset_tEEE10hipError_tPvRmT1_PNSt15iterator_traitsISY_E10value_typeET2_T3_PNSZ_IS14_E10value_typeET4_jRbjT5_S1A_jjP12ihipStream_tbEUljE_EEESV_SW_SX_S14_S18_S1A_T6_T7_T9_mT8_S1C_bDpT10_ENKUlT_T0_E_clISt17integral_constantIbLb0EES1P_EEDaS1K_S1L_EUlS1K_E_NS1_11comp_targetILNS1_3genE5ELNS1_11target_archE942ELNS1_3gpuE9ELNS1_3repE0EEENS1_30default_config_static_selectorELNS0_4arch9wavefront6targetE0EEEvSY_,@function
_ZN7rocprim17ROCPRIM_400000_NS6detail17trampoline_kernelINS0_13select_configILj256ELj13ELNS0_17block_load_methodE3ELS4_3ELS4_3ELNS0_20block_scan_algorithmE0ELj4294967295EEENS1_25partition_config_selectorILNS1_17partition_subalgoE3EjNS0_10empty_typeEbEEZZNS1_14partition_implILS8_3ELb0ES6_jNS0_17counting_iteratorIjlEEPS9_SE_NS0_5tupleIJPjSE_EEENSF_IJSE_SE_EEES9_SG_JZNS1_25segmented_radix_sort_implINS0_14default_configELb1EPKsPsPKlPlN2at6native12_GLOBAL__N_18offset_tEEE10hipError_tPvRmT1_PNSt15iterator_traitsISY_E10value_typeET2_T3_PNSZ_IS14_E10value_typeET4_jRbjT5_S1A_jjP12ihipStream_tbEUljE_EEESV_SW_SX_S14_S18_S1A_T6_T7_T9_mT8_S1C_bDpT10_ENKUlT_T0_E_clISt17integral_constantIbLb0EES1P_EEDaS1K_S1L_EUlS1K_E_NS1_11comp_targetILNS1_3genE5ELNS1_11target_archE942ELNS1_3gpuE9ELNS1_3repE0EEENS1_30default_config_static_selectorELNS0_4arch9wavefront6targetE0EEEvSY_: ; @_ZN7rocprim17ROCPRIM_400000_NS6detail17trampoline_kernelINS0_13select_configILj256ELj13ELNS0_17block_load_methodE3ELS4_3ELS4_3ELNS0_20block_scan_algorithmE0ELj4294967295EEENS1_25partition_config_selectorILNS1_17partition_subalgoE3EjNS0_10empty_typeEbEEZZNS1_14partition_implILS8_3ELb0ES6_jNS0_17counting_iteratorIjlEEPS9_SE_NS0_5tupleIJPjSE_EEENSF_IJSE_SE_EEES9_SG_JZNS1_25segmented_radix_sort_implINS0_14default_configELb1EPKsPsPKlPlN2at6native12_GLOBAL__N_18offset_tEEE10hipError_tPvRmT1_PNSt15iterator_traitsISY_E10value_typeET2_T3_PNSZ_IS14_E10value_typeET4_jRbjT5_S1A_jjP12ihipStream_tbEUljE_EEESV_SW_SX_S14_S18_S1A_T6_T7_T9_mT8_S1C_bDpT10_ENKUlT_T0_E_clISt17integral_constantIbLb0EES1P_EEDaS1K_S1L_EUlS1K_E_NS1_11comp_targetILNS1_3genE5ELNS1_11target_archE942ELNS1_3gpuE9ELNS1_3repE0EEENS1_30default_config_static_selectorELNS0_4arch9wavefront6targetE0EEEvSY_
; %bb.0:
	.section	.rodata,"a",@progbits
	.p2align	6, 0x0
	.amdhsa_kernel _ZN7rocprim17ROCPRIM_400000_NS6detail17trampoline_kernelINS0_13select_configILj256ELj13ELNS0_17block_load_methodE3ELS4_3ELS4_3ELNS0_20block_scan_algorithmE0ELj4294967295EEENS1_25partition_config_selectorILNS1_17partition_subalgoE3EjNS0_10empty_typeEbEEZZNS1_14partition_implILS8_3ELb0ES6_jNS0_17counting_iteratorIjlEEPS9_SE_NS0_5tupleIJPjSE_EEENSF_IJSE_SE_EEES9_SG_JZNS1_25segmented_radix_sort_implINS0_14default_configELb1EPKsPsPKlPlN2at6native12_GLOBAL__N_18offset_tEEE10hipError_tPvRmT1_PNSt15iterator_traitsISY_E10value_typeET2_T3_PNSZ_IS14_E10value_typeET4_jRbjT5_S1A_jjP12ihipStream_tbEUljE_EEESV_SW_SX_S14_S18_S1A_T6_T7_T9_mT8_S1C_bDpT10_ENKUlT_T0_E_clISt17integral_constantIbLb0EES1P_EEDaS1K_S1L_EUlS1K_E_NS1_11comp_targetILNS1_3genE5ELNS1_11target_archE942ELNS1_3gpuE9ELNS1_3repE0EEENS1_30default_config_static_selectorELNS0_4arch9wavefront6targetE0EEEvSY_
		.amdhsa_group_segment_fixed_size 0
		.amdhsa_private_segment_fixed_size 0
		.amdhsa_kernarg_size 144
		.amdhsa_user_sgpr_count 2
		.amdhsa_user_sgpr_dispatch_ptr 0
		.amdhsa_user_sgpr_queue_ptr 0
		.amdhsa_user_sgpr_kernarg_segment_ptr 1
		.amdhsa_user_sgpr_dispatch_id 0
		.amdhsa_user_sgpr_kernarg_preload_length 0
		.amdhsa_user_sgpr_kernarg_preload_offset 0
		.amdhsa_user_sgpr_private_segment_size 0
		.amdhsa_wavefront_size32 1
		.amdhsa_uses_dynamic_stack 0
		.amdhsa_enable_private_segment 0
		.amdhsa_system_sgpr_workgroup_id_x 1
		.amdhsa_system_sgpr_workgroup_id_y 0
		.amdhsa_system_sgpr_workgroup_id_z 0
		.amdhsa_system_sgpr_workgroup_info 0
		.amdhsa_system_vgpr_workitem_id 0
		.amdhsa_next_free_vgpr 1
		.amdhsa_next_free_sgpr 1
		.amdhsa_named_barrier_count 0
		.amdhsa_reserve_vcc 0
		.amdhsa_float_round_mode_32 0
		.amdhsa_float_round_mode_16_64 0
		.amdhsa_float_denorm_mode_32 3
		.amdhsa_float_denorm_mode_16_64 3
		.amdhsa_fp16_overflow 0
		.amdhsa_memory_ordered 1
		.amdhsa_forward_progress 1
		.amdhsa_inst_pref_size 0
		.amdhsa_round_robin_scheduling 0
		.amdhsa_exception_fp_ieee_invalid_op 0
		.amdhsa_exception_fp_denorm_src 0
		.amdhsa_exception_fp_ieee_div_zero 0
		.amdhsa_exception_fp_ieee_overflow 0
		.amdhsa_exception_fp_ieee_underflow 0
		.amdhsa_exception_fp_ieee_inexact 0
		.amdhsa_exception_int_div_zero 0
	.end_amdhsa_kernel
	.section	.text._ZN7rocprim17ROCPRIM_400000_NS6detail17trampoline_kernelINS0_13select_configILj256ELj13ELNS0_17block_load_methodE3ELS4_3ELS4_3ELNS0_20block_scan_algorithmE0ELj4294967295EEENS1_25partition_config_selectorILNS1_17partition_subalgoE3EjNS0_10empty_typeEbEEZZNS1_14partition_implILS8_3ELb0ES6_jNS0_17counting_iteratorIjlEEPS9_SE_NS0_5tupleIJPjSE_EEENSF_IJSE_SE_EEES9_SG_JZNS1_25segmented_radix_sort_implINS0_14default_configELb1EPKsPsPKlPlN2at6native12_GLOBAL__N_18offset_tEEE10hipError_tPvRmT1_PNSt15iterator_traitsISY_E10value_typeET2_T3_PNSZ_IS14_E10value_typeET4_jRbjT5_S1A_jjP12ihipStream_tbEUljE_EEESV_SW_SX_S14_S18_S1A_T6_T7_T9_mT8_S1C_bDpT10_ENKUlT_T0_E_clISt17integral_constantIbLb0EES1P_EEDaS1K_S1L_EUlS1K_E_NS1_11comp_targetILNS1_3genE5ELNS1_11target_archE942ELNS1_3gpuE9ELNS1_3repE0EEENS1_30default_config_static_selectorELNS0_4arch9wavefront6targetE0EEEvSY_,"axG",@progbits,_ZN7rocprim17ROCPRIM_400000_NS6detail17trampoline_kernelINS0_13select_configILj256ELj13ELNS0_17block_load_methodE3ELS4_3ELS4_3ELNS0_20block_scan_algorithmE0ELj4294967295EEENS1_25partition_config_selectorILNS1_17partition_subalgoE3EjNS0_10empty_typeEbEEZZNS1_14partition_implILS8_3ELb0ES6_jNS0_17counting_iteratorIjlEEPS9_SE_NS0_5tupleIJPjSE_EEENSF_IJSE_SE_EEES9_SG_JZNS1_25segmented_radix_sort_implINS0_14default_configELb1EPKsPsPKlPlN2at6native12_GLOBAL__N_18offset_tEEE10hipError_tPvRmT1_PNSt15iterator_traitsISY_E10value_typeET2_T3_PNSZ_IS14_E10value_typeET4_jRbjT5_S1A_jjP12ihipStream_tbEUljE_EEESV_SW_SX_S14_S18_S1A_T6_T7_T9_mT8_S1C_bDpT10_ENKUlT_T0_E_clISt17integral_constantIbLb0EES1P_EEDaS1K_S1L_EUlS1K_E_NS1_11comp_targetILNS1_3genE5ELNS1_11target_archE942ELNS1_3gpuE9ELNS1_3repE0EEENS1_30default_config_static_selectorELNS0_4arch9wavefront6targetE0EEEvSY_,comdat
.Lfunc_end876:
	.size	_ZN7rocprim17ROCPRIM_400000_NS6detail17trampoline_kernelINS0_13select_configILj256ELj13ELNS0_17block_load_methodE3ELS4_3ELS4_3ELNS0_20block_scan_algorithmE0ELj4294967295EEENS1_25partition_config_selectorILNS1_17partition_subalgoE3EjNS0_10empty_typeEbEEZZNS1_14partition_implILS8_3ELb0ES6_jNS0_17counting_iteratorIjlEEPS9_SE_NS0_5tupleIJPjSE_EEENSF_IJSE_SE_EEES9_SG_JZNS1_25segmented_radix_sort_implINS0_14default_configELb1EPKsPsPKlPlN2at6native12_GLOBAL__N_18offset_tEEE10hipError_tPvRmT1_PNSt15iterator_traitsISY_E10value_typeET2_T3_PNSZ_IS14_E10value_typeET4_jRbjT5_S1A_jjP12ihipStream_tbEUljE_EEESV_SW_SX_S14_S18_S1A_T6_T7_T9_mT8_S1C_bDpT10_ENKUlT_T0_E_clISt17integral_constantIbLb0EES1P_EEDaS1K_S1L_EUlS1K_E_NS1_11comp_targetILNS1_3genE5ELNS1_11target_archE942ELNS1_3gpuE9ELNS1_3repE0EEENS1_30default_config_static_selectorELNS0_4arch9wavefront6targetE0EEEvSY_, .Lfunc_end876-_ZN7rocprim17ROCPRIM_400000_NS6detail17trampoline_kernelINS0_13select_configILj256ELj13ELNS0_17block_load_methodE3ELS4_3ELS4_3ELNS0_20block_scan_algorithmE0ELj4294967295EEENS1_25partition_config_selectorILNS1_17partition_subalgoE3EjNS0_10empty_typeEbEEZZNS1_14partition_implILS8_3ELb0ES6_jNS0_17counting_iteratorIjlEEPS9_SE_NS0_5tupleIJPjSE_EEENSF_IJSE_SE_EEES9_SG_JZNS1_25segmented_radix_sort_implINS0_14default_configELb1EPKsPsPKlPlN2at6native12_GLOBAL__N_18offset_tEEE10hipError_tPvRmT1_PNSt15iterator_traitsISY_E10value_typeET2_T3_PNSZ_IS14_E10value_typeET4_jRbjT5_S1A_jjP12ihipStream_tbEUljE_EEESV_SW_SX_S14_S18_S1A_T6_T7_T9_mT8_S1C_bDpT10_ENKUlT_T0_E_clISt17integral_constantIbLb0EES1P_EEDaS1K_S1L_EUlS1K_E_NS1_11comp_targetILNS1_3genE5ELNS1_11target_archE942ELNS1_3gpuE9ELNS1_3repE0EEENS1_30default_config_static_selectorELNS0_4arch9wavefront6targetE0EEEvSY_
                                        ; -- End function
	.set _ZN7rocprim17ROCPRIM_400000_NS6detail17trampoline_kernelINS0_13select_configILj256ELj13ELNS0_17block_load_methodE3ELS4_3ELS4_3ELNS0_20block_scan_algorithmE0ELj4294967295EEENS1_25partition_config_selectorILNS1_17partition_subalgoE3EjNS0_10empty_typeEbEEZZNS1_14partition_implILS8_3ELb0ES6_jNS0_17counting_iteratorIjlEEPS9_SE_NS0_5tupleIJPjSE_EEENSF_IJSE_SE_EEES9_SG_JZNS1_25segmented_radix_sort_implINS0_14default_configELb1EPKsPsPKlPlN2at6native12_GLOBAL__N_18offset_tEEE10hipError_tPvRmT1_PNSt15iterator_traitsISY_E10value_typeET2_T3_PNSZ_IS14_E10value_typeET4_jRbjT5_S1A_jjP12ihipStream_tbEUljE_EEESV_SW_SX_S14_S18_S1A_T6_T7_T9_mT8_S1C_bDpT10_ENKUlT_T0_E_clISt17integral_constantIbLb0EES1P_EEDaS1K_S1L_EUlS1K_E_NS1_11comp_targetILNS1_3genE5ELNS1_11target_archE942ELNS1_3gpuE9ELNS1_3repE0EEENS1_30default_config_static_selectorELNS0_4arch9wavefront6targetE0EEEvSY_.num_vgpr, 0
	.set _ZN7rocprim17ROCPRIM_400000_NS6detail17trampoline_kernelINS0_13select_configILj256ELj13ELNS0_17block_load_methodE3ELS4_3ELS4_3ELNS0_20block_scan_algorithmE0ELj4294967295EEENS1_25partition_config_selectorILNS1_17partition_subalgoE3EjNS0_10empty_typeEbEEZZNS1_14partition_implILS8_3ELb0ES6_jNS0_17counting_iteratorIjlEEPS9_SE_NS0_5tupleIJPjSE_EEENSF_IJSE_SE_EEES9_SG_JZNS1_25segmented_radix_sort_implINS0_14default_configELb1EPKsPsPKlPlN2at6native12_GLOBAL__N_18offset_tEEE10hipError_tPvRmT1_PNSt15iterator_traitsISY_E10value_typeET2_T3_PNSZ_IS14_E10value_typeET4_jRbjT5_S1A_jjP12ihipStream_tbEUljE_EEESV_SW_SX_S14_S18_S1A_T6_T7_T9_mT8_S1C_bDpT10_ENKUlT_T0_E_clISt17integral_constantIbLb0EES1P_EEDaS1K_S1L_EUlS1K_E_NS1_11comp_targetILNS1_3genE5ELNS1_11target_archE942ELNS1_3gpuE9ELNS1_3repE0EEENS1_30default_config_static_selectorELNS0_4arch9wavefront6targetE0EEEvSY_.num_agpr, 0
	.set _ZN7rocprim17ROCPRIM_400000_NS6detail17trampoline_kernelINS0_13select_configILj256ELj13ELNS0_17block_load_methodE3ELS4_3ELS4_3ELNS0_20block_scan_algorithmE0ELj4294967295EEENS1_25partition_config_selectorILNS1_17partition_subalgoE3EjNS0_10empty_typeEbEEZZNS1_14partition_implILS8_3ELb0ES6_jNS0_17counting_iteratorIjlEEPS9_SE_NS0_5tupleIJPjSE_EEENSF_IJSE_SE_EEES9_SG_JZNS1_25segmented_radix_sort_implINS0_14default_configELb1EPKsPsPKlPlN2at6native12_GLOBAL__N_18offset_tEEE10hipError_tPvRmT1_PNSt15iterator_traitsISY_E10value_typeET2_T3_PNSZ_IS14_E10value_typeET4_jRbjT5_S1A_jjP12ihipStream_tbEUljE_EEESV_SW_SX_S14_S18_S1A_T6_T7_T9_mT8_S1C_bDpT10_ENKUlT_T0_E_clISt17integral_constantIbLb0EES1P_EEDaS1K_S1L_EUlS1K_E_NS1_11comp_targetILNS1_3genE5ELNS1_11target_archE942ELNS1_3gpuE9ELNS1_3repE0EEENS1_30default_config_static_selectorELNS0_4arch9wavefront6targetE0EEEvSY_.numbered_sgpr, 0
	.set _ZN7rocprim17ROCPRIM_400000_NS6detail17trampoline_kernelINS0_13select_configILj256ELj13ELNS0_17block_load_methodE3ELS4_3ELS4_3ELNS0_20block_scan_algorithmE0ELj4294967295EEENS1_25partition_config_selectorILNS1_17partition_subalgoE3EjNS0_10empty_typeEbEEZZNS1_14partition_implILS8_3ELb0ES6_jNS0_17counting_iteratorIjlEEPS9_SE_NS0_5tupleIJPjSE_EEENSF_IJSE_SE_EEES9_SG_JZNS1_25segmented_radix_sort_implINS0_14default_configELb1EPKsPsPKlPlN2at6native12_GLOBAL__N_18offset_tEEE10hipError_tPvRmT1_PNSt15iterator_traitsISY_E10value_typeET2_T3_PNSZ_IS14_E10value_typeET4_jRbjT5_S1A_jjP12ihipStream_tbEUljE_EEESV_SW_SX_S14_S18_S1A_T6_T7_T9_mT8_S1C_bDpT10_ENKUlT_T0_E_clISt17integral_constantIbLb0EES1P_EEDaS1K_S1L_EUlS1K_E_NS1_11comp_targetILNS1_3genE5ELNS1_11target_archE942ELNS1_3gpuE9ELNS1_3repE0EEENS1_30default_config_static_selectorELNS0_4arch9wavefront6targetE0EEEvSY_.num_named_barrier, 0
	.set _ZN7rocprim17ROCPRIM_400000_NS6detail17trampoline_kernelINS0_13select_configILj256ELj13ELNS0_17block_load_methodE3ELS4_3ELS4_3ELNS0_20block_scan_algorithmE0ELj4294967295EEENS1_25partition_config_selectorILNS1_17partition_subalgoE3EjNS0_10empty_typeEbEEZZNS1_14partition_implILS8_3ELb0ES6_jNS0_17counting_iteratorIjlEEPS9_SE_NS0_5tupleIJPjSE_EEENSF_IJSE_SE_EEES9_SG_JZNS1_25segmented_radix_sort_implINS0_14default_configELb1EPKsPsPKlPlN2at6native12_GLOBAL__N_18offset_tEEE10hipError_tPvRmT1_PNSt15iterator_traitsISY_E10value_typeET2_T3_PNSZ_IS14_E10value_typeET4_jRbjT5_S1A_jjP12ihipStream_tbEUljE_EEESV_SW_SX_S14_S18_S1A_T6_T7_T9_mT8_S1C_bDpT10_ENKUlT_T0_E_clISt17integral_constantIbLb0EES1P_EEDaS1K_S1L_EUlS1K_E_NS1_11comp_targetILNS1_3genE5ELNS1_11target_archE942ELNS1_3gpuE9ELNS1_3repE0EEENS1_30default_config_static_selectorELNS0_4arch9wavefront6targetE0EEEvSY_.private_seg_size, 0
	.set _ZN7rocprim17ROCPRIM_400000_NS6detail17trampoline_kernelINS0_13select_configILj256ELj13ELNS0_17block_load_methodE3ELS4_3ELS4_3ELNS0_20block_scan_algorithmE0ELj4294967295EEENS1_25partition_config_selectorILNS1_17partition_subalgoE3EjNS0_10empty_typeEbEEZZNS1_14partition_implILS8_3ELb0ES6_jNS0_17counting_iteratorIjlEEPS9_SE_NS0_5tupleIJPjSE_EEENSF_IJSE_SE_EEES9_SG_JZNS1_25segmented_radix_sort_implINS0_14default_configELb1EPKsPsPKlPlN2at6native12_GLOBAL__N_18offset_tEEE10hipError_tPvRmT1_PNSt15iterator_traitsISY_E10value_typeET2_T3_PNSZ_IS14_E10value_typeET4_jRbjT5_S1A_jjP12ihipStream_tbEUljE_EEESV_SW_SX_S14_S18_S1A_T6_T7_T9_mT8_S1C_bDpT10_ENKUlT_T0_E_clISt17integral_constantIbLb0EES1P_EEDaS1K_S1L_EUlS1K_E_NS1_11comp_targetILNS1_3genE5ELNS1_11target_archE942ELNS1_3gpuE9ELNS1_3repE0EEENS1_30default_config_static_selectorELNS0_4arch9wavefront6targetE0EEEvSY_.uses_vcc, 0
	.set _ZN7rocprim17ROCPRIM_400000_NS6detail17trampoline_kernelINS0_13select_configILj256ELj13ELNS0_17block_load_methodE3ELS4_3ELS4_3ELNS0_20block_scan_algorithmE0ELj4294967295EEENS1_25partition_config_selectorILNS1_17partition_subalgoE3EjNS0_10empty_typeEbEEZZNS1_14partition_implILS8_3ELb0ES6_jNS0_17counting_iteratorIjlEEPS9_SE_NS0_5tupleIJPjSE_EEENSF_IJSE_SE_EEES9_SG_JZNS1_25segmented_radix_sort_implINS0_14default_configELb1EPKsPsPKlPlN2at6native12_GLOBAL__N_18offset_tEEE10hipError_tPvRmT1_PNSt15iterator_traitsISY_E10value_typeET2_T3_PNSZ_IS14_E10value_typeET4_jRbjT5_S1A_jjP12ihipStream_tbEUljE_EEESV_SW_SX_S14_S18_S1A_T6_T7_T9_mT8_S1C_bDpT10_ENKUlT_T0_E_clISt17integral_constantIbLb0EES1P_EEDaS1K_S1L_EUlS1K_E_NS1_11comp_targetILNS1_3genE5ELNS1_11target_archE942ELNS1_3gpuE9ELNS1_3repE0EEENS1_30default_config_static_selectorELNS0_4arch9wavefront6targetE0EEEvSY_.uses_flat_scratch, 0
	.set _ZN7rocprim17ROCPRIM_400000_NS6detail17trampoline_kernelINS0_13select_configILj256ELj13ELNS0_17block_load_methodE3ELS4_3ELS4_3ELNS0_20block_scan_algorithmE0ELj4294967295EEENS1_25partition_config_selectorILNS1_17partition_subalgoE3EjNS0_10empty_typeEbEEZZNS1_14partition_implILS8_3ELb0ES6_jNS0_17counting_iteratorIjlEEPS9_SE_NS0_5tupleIJPjSE_EEENSF_IJSE_SE_EEES9_SG_JZNS1_25segmented_radix_sort_implINS0_14default_configELb1EPKsPsPKlPlN2at6native12_GLOBAL__N_18offset_tEEE10hipError_tPvRmT1_PNSt15iterator_traitsISY_E10value_typeET2_T3_PNSZ_IS14_E10value_typeET4_jRbjT5_S1A_jjP12ihipStream_tbEUljE_EEESV_SW_SX_S14_S18_S1A_T6_T7_T9_mT8_S1C_bDpT10_ENKUlT_T0_E_clISt17integral_constantIbLb0EES1P_EEDaS1K_S1L_EUlS1K_E_NS1_11comp_targetILNS1_3genE5ELNS1_11target_archE942ELNS1_3gpuE9ELNS1_3repE0EEENS1_30default_config_static_selectorELNS0_4arch9wavefront6targetE0EEEvSY_.has_dyn_sized_stack, 0
	.set _ZN7rocprim17ROCPRIM_400000_NS6detail17trampoline_kernelINS0_13select_configILj256ELj13ELNS0_17block_load_methodE3ELS4_3ELS4_3ELNS0_20block_scan_algorithmE0ELj4294967295EEENS1_25partition_config_selectorILNS1_17partition_subalgoE3EjNS0_10empty_typeEbEEZZNS1_14partition_implILS8_3ELb0ES6_jNS0_17counting_iteratorIjlEEPS9_SE_NS0_5tupleIJPjSE_EEENSF_IJSE_SE_EEES9_SG_JZNS1_25segmented_radix_sort_implINS0_14default_configELb1EPKsPsPKlPlN2at6native12_GLOBAL__N_18offset_tEEE10hipError_tPvRmT1_PNSt15iterator_traitsISY_E10value_typeET2_T3_PNSZ_IS14_E10value_typeET4_jRbjT5_S1A_jjP12ihipStream_tbEUljE_EEESV_SW_SX_S14_S18_S1A_T6_T7_T9_mT8_S1C_bDpT10_ENKUlT_T0_E_clISt17integral_constantIbLb0EES1P_EEDaS1K_S1L_EUlS1K_E_NS1_11comp_targetILNS1_3genE5ELNS1_11target_archE942ELNS1_3gpuE9ELNS1_3repE0EEENS1_30default_config_static_selectorELNS0_4arch9wavefront6targetE0EEEvSY_.has_recursion, 0
	.set _ZN7rocprim17ROCPRIM_400000_NS6detail17trampoline_kernelINS0_13select_configILj256ELj13ELNS0_17block_load_methodE3ELS4_3ELS4_3ELNS0_20block_scan_algorithmE0ELj4294967295EEENS1_25partition_config_selectorILNS1_17partition_subalgoE3EjNS0_10empty_typeEbEEZZNS1_14partition_implILS8_3ELb0ES6_jNS0_17counting_iteratorIjlEEPS9_SE_NS0_5tupleIJPjSE_EEENSF_IJSE_SE_EEES9_SG_JZNS1_25segmented_radix_sort_implINS0_14default_configELb1EPKsPsPKlPlN2at6native12_GLOBAL__N_18offset_tEEE10hipError_tPvRmT1_PNSt15iterator_traitsISY_E10value_typeET2_T3_PNSZ_IS14_E10value_typeET4_jRbjT5_S1A_jjP12ihipStream_tbEUljE_EEESV_SW_SX_S14_S18_S1A_T6_T7_T9_mT8_S1C_bDpT10_ENKUlT_T0_E_clISt17integral_constantIbLb0EES1P_EEDaS1K_S1L_EUlS1K_E_NS1_11comp_targetILNS1_3genE5ELNS1_11target_archE942ELNS1_3gpuE9ELNS1_3repE0EEENS1_30default_config_static_selectorELNS0_4arch9wavefront6targetE0EEEvSY_.has_indirect_call, 0
	.section	.AMDGPU.csdata,"",@progbits
; Kernel info:
; codeLenInByte = 0
; TotalNumSgprs: 0
; NumVgprs: 0
; ScratchSize: 0
; MemoryBound: 0
; FloatMode: 240
; IeeeMode: 1
; LDSByteSize: 0 bytes/workgroup (compile time only)
; SGPRBlocks: 0
; VGPRBlocks: 0
; NumSGPRsForWavesPerEU: 1
; NumVGPRsForWavesPerEU: 1
; NamedBarCnt: 0
; Occupancy: 16
; WaveLimiterHint : 0
; COMPUTE_PGM_RSRC2:SCRATCH_EN: 0
; COMPUTE_PGM_RSRC2:USER_SGPR: 2
; COMPUTE_PGM_RSRC2:TRAP_HANDLER: 0
; COMPUTE_PGM_RSRC2:TGID_X_EN: 1
; COMPUTE_PGM_RSRC2:TGID_Y_EN: 0
; COMPUTE_PGM_RSRC2:TGID_Z_EN: 0
; COMPUTE_PGM_RSRC2:TIDIG_COMP_CNT: 0
	.section	.text._ZN7rocprim17ROCPRIM_400000_NS6detail17trampoline_kernelINS0_13select_configILj256ELj13ELNS0_17block_load_methodE3ELS4_3ELS4_3ELNS0_20block_scan_algorithmE0ELj4294967295EEENS1_25partition_config_selectorILNS1_17partition_subalgoE3EjNS0_10empty_typeEbEEZZNS1_14partition_implILS8_3ELb0ES6_jNS0_17counting_iteratorIjlEEPS9_SE_NS0_5tupleIJPjSE_EEENSF_IJSE_SE_EEES9_SG_JZNS1_25segmented_radix_sort_implINS0_14default_configELb1EPKsPsPKlPlN2at6native12_GLOBAL__N_18offset_tEEE10hipError_tPvRmT1_PNSt15iterator_traitsISY_E10value_typeET2_T3_PNSZ_IS14_E10value_typeET4_jRbjT5_S1A_jjP12ihipStream_tbEUljE_EEESV_SW_SX_S14_S18_S1A_T6_T7_T9_mT8_S1C_bDpT10_ENKUlT_T0_E_clISt17integral_constantIbLb0EES1P_EEDaS1K_S1L_EUlS1K_E_NS1_11comp_targetILNS1_3genE4ELNS1_11target_archE910ELNS1_3gpuE8ELNS1_3repE0EEENS1_30default_config_static_selectorELNS0_4arch9wavefront6targetE0EEEvSY_,"axG",@progbits,_ZN7rocprim17ROCPRIM_400000_NS6detail17trampoline_kernelINS0_13select_configILj256ELj13ELNS0_17block_load_methodE3ELS4_3ELS4_3ELNS0_20block_scan_algorithmE0ELj4294967295EEENS1_25partition_config_selectorILNS1_17partition_subalgoE3EjNS0_10empty_typeEbEEZZNS1_14partition_implILS8_3ELb0ES6_jNS0_17counting_iteratorIjlEEPS9_SE_NS0_5tupleIJPjSE_EEENSF_IJSE_SE_EEES9_SG_JZNS1_25segmented_radix_sort_implINS0_14default_configELb1EPKsPsPKlPlN2at6native12_GLOBAL__N_18offset_tEEE10hipError_tPvRmT1_PNSt15iterator_traitsISY_E10value_typeET2_T3_PNSZ_IS14_E10value_typeET4_jRbjT5_S1A_jjP12ihipStream_tbEUljE_EEESV_SW_SX_S14_S18_S1A_T6_T7_T9_mT8_S1C_bDpT10_ENKUlT_T0_E_clISt17integral_constantIbLb0EES1P_EEDaS1K_S1L_EUlS1K_E_NS1_11comp_targetILNS1_3genE4ELNS1_11target_archE910ELNS1_3gpuE8ELNS1_3repE0EEENS1_30default_config_static_selectorELNS0_4arch9wavefront6targetE0EEEvSY_,comdat
	.globl	_ZN7rocprim17ROCPRIM_400000_NS6detail17trampoline_kernelINS0_13select_configILj256ELj13ELNS0_17block_load_methodE3ELS4_3ELS4_3ELNS0_20block_scan_algorithmE0ELj4294967295EEENS1_25partition_config_selectorILNS1_17partition_subalgoE3EjNS0_10empty_typeEbEEZZNS1_14partition_implILS8_3ELb0ES6_jNS0_17counting_iteratorIjlEEPS9_SE_NS0_5tupleIJPjSE_EEENSF_IJSE_SE_EEES9_SG_JZNS1_25segmented_radix_sort_implINS0_14default_configELb1EPKsPsPKlPlN2at6native12_GLOBAL__N_18offset_tEEE10hipError_tPvRmT1_PNSt15iterator_traitsISY_E10value_typeET2_T3_PNSZ_IS14_E10value_typeET4_jRbjT5_S1A_jjP12ihipStream_tbEUljE_EEESV_SW_SX_S14_S18_S1A_T6_T7_T9_mT8_S1C_bDpT10_ENKUlT_T0_E_clISt17integral_constantIbLb0EES1P_EEDaS1K_S1L_EUlS1K_E_NS1_11comp_targetILNS1_3genE4ELNS1_11target_archE910ELNS1_3gpuE8ELNS1_3repE0EEENS1_30default_config_static_selectorELNS0_4arch9wavefront6targetE0EEEvSY_ ; -- Begin function _ZN7rocprim17ROCPRIM_400000_NS6detail17trampoline_kernelINS0_13select_configILj256ELj13ELNS0_17block_load_methodE3ELS4_3ELS4_3ELNS0_20block_scan_algorithmE0ELj4294967295EEENS1_25partition_config_selectorILNS1_17partition_subalgoE3EjNS0_10empty_typeEbEEZZNS1_14partition_implILS8_3ELb0ES6_jNS0_17counting_iteratorIjlEEPS9_SE_NS0_5tupleIJPjSE_EEENSF_IJSE_SE_EEES9_SG_JZNS1_25segmented_radix_sort_implINS0_14default_configELb1EPKsPsPKlPlN2at6native12_GLOBAL__N_18offset_tEEE10hipError_tPvRmT1_PNSt15iterator_traitsISY_E10value_typeET2_T3_PNSZ_IS14_E10value_typeET4_jRbjT5_S1A_jjP12ihipStream_tbEUljE_EEESV_SW_SX_S14_S18_S1A_T6_T7_T9_mT8_S1C_bDpT10_ENKUlT_T0_E_clISt17integral_constantIbLb0EES1P_EEDaS1K_S1L_EUlS1K_E_NS1_11comp_targetILNS1_3genE4ELNS1_11target_archE910ELNS1_3gpuE8ELNS1_3repE0EEENS1_30default_config_static_selectorELNS0_4arch9wavefront6targetE0EEEvSY_
	.p2align	8
	.type	_ZN7rocprim17ROCPRIM_400000_NS6detail17trampoline_kernelINS0_13select_configILj256ELj13ELNS0_17block_load_methodE3ELS4_3ELS4_3ELNS0_20block_scan_algorithmE0ELj4294967295EEENS1_25partition_config_selectorILNS1_17partition_subalgoE3EjNS0_10empty_typeEbEEZZNS1_14partition_implILS8_3ELb0ES6_jNS0_17counting_iteratorIjlEEPS9_SE_NS0_5tupleIJPjSE_EEENSF_IJSE_SE_EEES9_SG_JZNS1_25segmented_radix_sort_implINS0_14default_configELb1EPKsPsPKlPlN2at6native12_GLOBAL__N_18offset_tEEE10hipError_tPvRmT1_PNSt15iterator_traitsISY_E10value_typeET2_T3_PNSZ_IS14_E10value_typeET4_jRbjT5_S1A_jjP12ihipStream_tbEUljE_EEESV_SW_SX_S14_S18_S1A_T6_T7_T9_mT8_S1C_bDpT10_ENKUlT_T0_E_clISt17integral_constantIbLb0EES1P_EEDaS1K_S1L_EUlS1K_E_NS1_11comp_targetILNS1_3genE4ELNS1_11target_archE910ELNS1_3gpuE8ELNS1_3repE0EEENS1_30default_config_static_selectorELNS0_4arch9wavefront6targetE0EEEvSY_,@function
_ZN7rocprim17ROCPRIM_400000_NS6detail17trampoline_kernelINS0_13select_configILj256ELj13ELNS0_17block_load_methodE3ELS4_3ELS4_3ELNS0_20block_scan_algorithmE0ELj4294967295EEENS1_25partition_config_selectorILNS1_17partition_subalgoE3EjNS0_10empty_typeEbEEZZNS1_14partition_implILS8_3ELb0ES6_jNS0_17counting_iteratorIjlEEPS9_SE_NS0_5tupleIJPjSE_EEENSF_IJSE_SE_EEES9_SG_JZNS1_25segmented_radix_sort_implINS0_14default_configELb1EPKsPsPKlPlN2at6native12_GLOBAL__N_18offset_tEEE10hipError_tPvRmT1_PNSt15iterator_traitsISY_E10value_typeET2_T3_PNSZ_IS14_E10value_typeET4_jRbjT5_S1A_jjP12ihipStream_tbEUljE_EEESV_SW_SX_S14_S18_S1A_T6_T7_T9_mT8_S1C_bDpT10_ENKUlT_T0_E_clISt17integral_constantIbLb0EES1P_EEDaS1K_S1L_EUlS1K_E_NS1_11comp_targetILNS1_3genE4ELNS1_11target_archE910ELNS1_3gpuE8ELNS1_3repE0EEENS1_30default_config_static_selectorELNS0_4arch9wavefront6targetE0EEEvSY_: ; @_ZN7rocprim17ROCPRIM_400000_NS6detail17trampoline_kernelINS0_13select_configILj256ELj13ELNS0_17block_load_methodE3ELS4_3ELS4_3ELNS0_20block_scan_algorithmE0ELj4294967295EEENS1_25partition_config_selectorILNS1_17partition_subalgoE3EjNS0_10empty_typeEbEEZZNS1_14partition_implILS8_3ELb0ES6_jNS0_17counting_iteratorIjlEEPS9_SE_NS0_5tupleIJPjSE_EEENSF_IJSE_SE_EEES9_SG_JZNS1_25segmented_radix_sort_implINS0_14default_configELb1EPKsPsPKlPlN2at6native12_GLOBAL__N_18offset_tEEE10hipError_tPvRmT1_PNSt15iterator_traitsISY_E10value_typeET2_T3_PNSZ_IS14_E10value_typeET4_jRbjT5_S1A_jjP12ihipStream_tbEUljE_EEESV_SW_SX_S14_S18_S1A_T6_T7_T9_mT8_S1C_bDpT10_ENKUlT_T0_E_clISt17integral_constantIbLb0EES1P_EEDaS1K_S1L_EUlS1K_E_NS1_11comp_targetILNS1_3genE4ELNS1_11target_archE910ELNS1_3gpuE8ELNS1_3repE0EEENS1_30default_config_static_selectorELNS0_4arch9wavefront6targetE0EEEvSY_
; %bb.0:
	.section	.rodata,"a",@progbits
	.p2align	6, 0x0
	.amdhsa_kernel _ZN7rocprim17ROCPRIM_400000_NS6detail17trampoline_kernelINS0_13select_configILj256ELj13ELNS0_17block_load_methodE3ELS4_3ELS4_3ELNS0_20block_scan_algorithmE0ELj4294967295EEENS1_25partition_config_selectorILNS1_17partition_subalgoE3EjNS0_10empty_typeEbEEZZNS1_14partition_implILS8_3ELb0ES6_jNS0_17counting_iteratorIjlEEPS9_SE_NS0_5tupleIJPjSE_EEENSF_IJSE_SE_EEES9_SG_JZNS1_25segmented_radix_sort_implINS0_14default_configELb1EPKsPsPKlPlN2at6native12_GLOBAL__N_18offset_tEEE10hipError_tPvRmT1_PNSt15iterator_traitsISY_E10value_typeET2_T3_PNSZ_IS14_E10value_typeET4_jRbjT5_S1A_jjP12ihipStream_tbEUljE_EEESV_SW_SX_S14_S18_S1A_T6_T7_T9_mT8_S1C_bDpT10_ENKUlT_T0_E_clISt17integral_constantIbLb0EES1P_EEDaS1K_S1L_EUlS1K_E_NS1_11comp_targetILNS1_3genE4ELNS1_11target_archE910ELNS1_3gpuE8ELNS1_3repE0EEENS1_30default_config_static_selectorELNS0_4arch9wavefront6targetE0EEEvSY_
		.amdhsa_group_segment_fixed_size 0
		.amdhsa_private_segment_fixed_size 0
		.amdhsa_kernarg_size 144
		.amdhsa_user_sgpr_count 2
		.amdhsa_user_sgpr_dispatch_ptr 0
		.amdhsa_user_sgpr_queue_ptr 0
		.amdhsa_user_sgpr_kernarg_segment_ptr 1
		.amdhsa_user_sgpr_dispatch_id 0
		.amdhsa_user_sgpr_kernarg_preload_length 0
		.amdhsa_user_sgpr_kernarg_preload_offset 0
		.amdhsa_user_sgpr_private_segment_size 0
		.amdhsa_wavefront_size32 1
		.amdhsa_uses_dynamic_stack 0
		.amdhsa_enable_private_segment 0
		.amdhsa_system_sgpr_workgroup_id_x 1
		.amdhsa_system_sgpr_workgroup_id_y 0
		.amdhsa_system_sgpr_workgroup_id_z 0
		.amdhsa_system_sgpr_workgroup_info 0
		.amdhsa_system_vgpr_workitem_id 0
		.amdhsa_next_free_vgpr 1
		.amdhsa_next_free_sgpr 1
		.amdhsa_named_barrier_count 0
		.amdhsa_reserve_vcc 0
		.amdhsa_float_round_mode_32 0
		.amdhsa_float_round_mode_16_64 0
		.amdhsa_float_denorm_mode_32 3
		.amdhsa_float_denorm_mode_16_64 3
		.amdhsa_fp16_overflow 0
		.amdhsa_memory_ordered 1
		.amdhsa_forward_progress 1
		.amdhsa_inst_pref_size 0
		.amdhsa_round_robin_scheduling 0
		.amdhsa_exception_fp_ieee_invalid_op 0
		.amdhsa_exception_fp_denorm_src 0
		.amdhsa_exception_fp_ieee_div_zero 0
		.amdhsa_exception_fp_ieee_overflow 0
		.amdhsa_exception_fp_ieee_underflow 0
		.amdhsa_exception_fp_ieee_inexact 0
		.amdhsa_exception_int_div_zero 0
	.end_amdhsa_kernel
	.section	.text._ZN7rocprim17ROCPRIM_400000_NS6detail17trampoline_kernelINS0_13select_configILj256ELj13ELNS0_17block_load_methodE3ELS4_3ELS4_3ELNS0_20block_scan_algorithmE0ELj4294967295EEENS1_25partition_config_selectorILNS1_17partition_subalgoE3EjNS0_10empty_typeEbEEZZNS1_14partition_implILS8_3ELb0ES6_jNS0_17counting_iteratorIjlEEPS9_SE_NS0_5tupleIJPjSE_EEENSF_IJSE_SE_EEES9_SG_JZNS1_25segmented_radix_sort_implINS0_14default_configELb1EPKsPsPKlPlN2at6native12_GLOBAL__N_18offset_tEEE10hipError_tPvRmT1_PNSt15iterator_traitsISY_E10value_typeET2_T3_PNSZ_IS14_E10value_typeET4_jRbjT5_S1A_jjP12ihipStream_tbEUljE_EEESV_SW_SX_S14_S18_S1A_T6_T7_T9_mT8_S1C_bDpT10_ENKUlT_T0_E_clISt17integral_constantIbLb0EES1P_EEDaS1K_S1L_EUlS1K_E_NS1_11comp_targetILNS1_3genE4ELNS1_11target_archE910ELNS1_3gpuE8ELNS1_3repE0EEENS1_30default_config_static_selectorELNS0_4arch9wavefront6targetE0EEEvSY_,"axG",@progbits,_ZN7rocprim17ROCPRIM_400000_NS6detail17trampoline_kernelINS0_13select_configILj256ELj13ELNS0_17block_load_methodE3ELS4_3ELS4_3ELNS0_20block_scan_algorithmE0ELj4294967295EEENS1_25partition_config_selectorILNS1_17partition_subalgoE3EjNS0_10empty_typeEbEEZZNS1_14partition_implILS8_3ELb0ES6_jNS0_17counting_iteratorIjlEEPS9_SE_NS0_5tupleIJPjSE_EEENSF_IJSE_SE_EEES9_SG_JZNS1_25segmented_radix_sort_implINS0_14default_configELb1EPKsPsPKlPlN2at6native12_GLOBAL__N_18offset_tEEE10hipError_tPvRmT1_PNSt15iterator_traitsISY_E10value_typeET2_T3_PNSZ_IS14_E10value_typeET4_jRbjT5_S1A_jjP12ihipStream_tbEUljE_EEESV_SW_SX_S14_S18_S1A_T6_T7_T9_mT8_S1C_bDpT10_ENKUlT_T0_E_clISt17integral_constantIbLb0EES1P_EEDaS1K_S1L_EUlS1K_E_NS1_11comp_targetILNS1_3genE4ELNS1_11target_archE910ELNS1_3gpuE8ELNS1_3repE0EEENS1_30default_config_static_selectorELNS0_4arch9wavefront6targetE0EEEvSY_,comdat
.Lfunc_end877:
	.size	_ZN7rocprim17ROCPRIM_400000_NS6detail17trampoline_kernelINS0_13select_configILj256ELj13ELNS0_17block_load_methodE3ELS4_3ELS4_3ELNS0_20block_scan_algorithmE0ELj4294967295EEENS1_25partition_config_selectorILNS1_17partition_subalgoE3EjNS0_10empty_typeEbEEZZNS1_14partition_implILS8_3ELb0ES6_jNS0_17counting_iteratorIjlEEPS9_SE_NS0_5tupleIJPjSE_EEENSF_IJSE_SE_EEES9_SG_JZNS1_25segmented_radix_sort_implINS0_14default_configELb1EPKsPsPKlPlN2at6native12_GLOBAL__N_18offset_tEEE10hipError_tPvRmT1_PNSt15iterator_traitsISY_E10value_typeET2_T3_PNSZ_IS14_E10value_typeET4_jRbjT5_S1A_jjP12ihipStream_tbEUljE_EEESV_SW_SX_S14_S18_S1A_T6_T7_T9_mT8_S1C_bDpT10_ENKUlT_T0_E_clISt17integral_constantIbLb0EES1P_EEDaS1K_S1L_EUlS1K_E_NS1_11comp_targetILNS1_3genE4ELNS1_11target_archE910ELNS1_3gpuE8ELNS1_3repE0EEENS1_30default_config_static_selectorELNS0_4arch9wavefront6targetE0EEEvSY_, .Lfunc_end877-_ZN7rocprim17ROCPRIM_400000_NS6detail17trampoline_kernelINS0_13select_configILj256ELj13ELNS0_17block_load_methodE3ELS4_3ELS4_3ELNS0_20block_scan_algorithmE0ELj4294967295EEENS1_25partition_config_selectorILNS1_17partition_subalgoE3EjNS0_10empty_typeEbEEZZNS1_14partition_implILS8_3ELb0ES6_jNS0_17counting_iteratorIjlEEPS9_SE_NS0_5tupleIJPjSE_EEENSF_IJSE_SE_EEES9_SG_JZNS1_25segmented_radix_sort_implINS0_14default_configELb1EPKsPsPKlPlN2at6native12_GLOBAL__N_18offset_tEEE10hipError_tPvRmT1_PNSt15iterator_traitsISY_E10value_typeET2_T3_PNSZ_IS14_E10value_typeET4_jRbjT5_S1A_jjP12ihipStream_tbEUljE_EEESV_SW_SX_S14_S18_S1A_T6_T7_T9_mT8_S1C_bDpT10_ENKUlT_T0_E_clISt17integral_constantIbLb0EES1P_EEDaS1K_S1L_EUlS1K_E_NS1_11comp_targetILNS1_3genE4ELNS1_11target_archE910ELNS1_3gpuE8ELNS1_3repE0EEENS1_30default_config_static_selectorELNS0_4arch9wavefront6targetE0EEEvSY_
                                        ; -- End function
	.set _ZN7rocprim17ROCPRIM_400000_NS6detail17trampoline_kernelINS0_13select_configILj256ELj13ELNS0_17block_load_methodE3ELS4_3ELS4_3ELNS0_20block_scan_algorithmE0ELj4294967295EEENS1_25partition_config_selectorILNS1_17partition_subalgoE3EjNS0_10empty_typeEbEEZZNS1_14partition_implILS8_3ELb0ES6_jNS0_17counting_iteratorIjlEEPS9_SE_NS0_5tupleIJPjSE_EEENSF_IJSE_SE_EEES9_SG_JZNS1_25segmented_radix_sort_implINS0_14default_configELb1EPKsPsPKlPlN2at6native12_GLOBAL__N_18offset_tEEE10hipError_tPvRmT1_PNSt15iterator_traitsISY_E10value_typeET2_T3_PNSZ_IS14_E10value_typeET4_jRbjT5_S1A_jjP12ihipStream_tbEUljE_EEESV_SW_SX_S14_S18_S1A_T6_T7_T9_mT8_S1C_bDpT10_ENKUlT_T0_E_clISt17integral_constantIbLb0EES1P_EEDaS1K_S1L_EUlS1K_E_NS1_11comp_targetILNS1_3genE4ELNS1_11target_archE910ELNS1_3gpuE8ELNS1_3repE0EEENS1_30default_config_static_selectorELNS0_4arch9wavefront6targetE0EEEvSY_.num_vgpr, 0
	.set _ZN7rocprim17ROCPRIM_400000_NS6detail17trampoline_kernelINS0_13select_configILj256ELj13ELNS0_17block_load_methodE3ELS4_3ELS4_3ELNS0_20block_scan_algorithmE0ELj4294967295EEENS1_25partition_config_selectorILNS1_17partition_subalgoE3EjNS0_10empty_typeEbEEZZNS1_14partition_implILS8_3ELb0ES6_jNS0_17counting_iteratorIjlEEPS9_SE_NS0_5tupleIJPjSE_EEENSF_IJSE_SE_EEES9_SG_JZNS1_25segmented_radix_sort_implINS0_14default_configELb1EPKsPsPKlPlN2at6native12_GLOBAL__N_18offset_tEEE10hipError_tPvRmT1_PNSt15iterator_traitsISY_E10value_typeET2_T3_PNSZ_IS14_E10value_typeET4_jRbjT5_S1A_jjP12ihipStream_tbEUljE_EEESV_SW_SX_S14_S18_S1A_T6_T7_T9_mT8_S1C_bDpT10_ENKUlT_T0_E_clISt17integral_constantIbLb0EES1P_EEDaS1K_S1L_EUlS1K_E_NS1_11comp_targetILNS1_3genE4ELNS1_11target_archE910ELNS1_3gpuE8ELNS1_3repE0EEENS1_30default_config_static_selectorELNS0_4arch9wavefront6targetE0EEEvSY_.num_agpr, 0
	.set _ZN7rocprim17ROCPRIM_400000_NS6detail17trampoline_kernelINS0_13select_configILj256ELj13ELNS0_17block_load_methodE3ELS4_3ELS4_3ELNS0_20block_scan_algorithmE0ELj4294967295EEENS1_25partition_config_selectorILNS1_17partition_subalgoE3EjNS0_10empty_typeEbEEZZNS1_14partition_implILS8_3ELb0ES6_jNS0_17counting_iteratorIjlEEPS9_SE_NS0_5tupleIJPjSE_EEENSF_IJSE_SE_EEES9_SG_JZNS1_25segmented_radix_sort_implINS0_14default_configELb1EPKsPsPKlPlN2at6native12_GLOBAL__N_18offset_tEEE10hipError_tPvRmT1_PNSt15iterator_traitsISY_E10value_typeET2_T3_PNSZ_IS14_E10value_typeET4_jRbjT5_S1A_jjP12ihipStream_tbEUljE_EEESV_SW_SX_S14_S18_S1A_T6_T7_T9_mT8_S1C_bDpT10_ENKUlT_T0_E_clISt17integral_constantIbLb0EES1P_EEDaS1K_S1L_EUlS1K_E_NS1_11comp_targetILNS1_3genE4ELNS1_11target_archE910ELNS1_3gpuE8ELNS1_3repE0EEENS1_30default_config_static_selectorELNS0_4arch9wavefront6targetE0EEEvSY_.numbered_sgpr, 0
	.set _ZN7rocprim17ROCPRIM_400000_NS6detail17trampoline_kernelINS0_13select_configILj256ELj13ELNS0_17block_load_methodE3ELS4_3ELS4_3ELNS0_20block_scan_algorithmE0ELj4294967295EEENS1_25partition_config_selectorILNS1_17partition_subalgoE3EjNS0_10empty_typeEbEEZZNS1_14partition_implILS8_3ELb0ES6_jNS0_17counting_iteratorIjlEEPS9_SE_NS0_5tupleIJPjSE_EEENSF_IJSE_SE_EEES9_SG_JZNS1_25segmented_radix_sort_implINS0_14default_configELb1EPKsPsPKlPlN2at6native12_GLOBAL__N_18offset_tEEE10hipError_tPvRmT1_PNSt15iterator_traitsISY_E10value_typeET2_T3_PNSZ_IS14_E10value_typeET4_jRbjT5_S1A_jjP12ihipStream_tbEUljE_EEESV_SW_SX_S14_S18_S1A_T6_T7_T9_mT8_S1C_bDpT10_ENKUlT_T0_E_clISt17integral_constantIbLb0EES1P_EEDaS1K_S1L_EUlS1K_E_NS1_11comp_targetILNS1_3genE4ELNS1_11target_archE910ELNS1_3gpuE8ELNS1_3repE0EEENS1_30default_config_static_selectorELNS0_4arch9wavefront6targetE0EEEvSY_.num_named_barrier, 0
	.set _ZN7rocprim17ROCPRIM_400000_NS6detail17trampoline_kernelINS0_13select_configILj256ELj13ELNS0_17block_load_methodE3ELS4_3ELS4_3ELNS0_20block_scan_algorithmE0ELj4294967295EEENS1_25partition_config_selectorILNS1_17partition_subalgoE3EjNS0_10empty_typeEbEEZZNS1_14partition_implILS8_3ELb0ES6_jNS0_17counting_iteratorIjlEEPS9_SE_NS0_5tupleIJPjSE_EEENSF_IJSE_SE_EEES9_SG_JZNS1_25segmented_radix_sort_implINS0_14default_configELb1EPKsPsPKlPlN2at6native12_GLOBAL__N_18offset_tEEE10hipError_tPvRmT1_PNSt15iterator_traitsISY_E10value_typeET2_T3_PNSZ_IS14_E10value_typeET4_jRbjT5_S1A_jjP12ihipStream_tbEUljE_EEESV_SW_SX_S14_S18_S1A_T6_T7_T9_mT8_S1C_bDpT10_ENKUlT_T0_E_clISt17integral_constantIbLb0EES1P_EEDaS1K_S1L_EUlS1K_E_NS1_11comp_targetILNS1_3genE4ELNS1_11target_archE910ELNS1_3gpuE8ELNS1_3repE0EEENS1_30default_config_static_selectorELNS0_4arch9wavefront6targetE0EEEvSY_.private_seg_size, 0
	.set _ZN7rocprim17ROCPRIM_400000_NS6detail17trampoline_kernelINS0_13select_configILj256ELj13ELNS0_17block_load_methodE3ELS4_3ELS4_3ELNS0_20block_scan_algorithmE0ELj4294967295EEENS1_25partition_config_selectorILNS1_17partition_subalgoE3EjNS0_10empty_typeEbEEZZNS1_14partition_implILS8_3ELb0ES6_jNS0_17counting_iteratorIjlEEPS9_SE_NS0_5tupleIJPjSE_EEENSF_IJSE_SE_EEES9_SG_JZNS1_25segmented_radix_sort_implINS0_14default_configELb1EPKsPsPKlPlN2at6native12_GLOBAL__N_18offset_tEEE10hipError_tPvRmT1_PNSt15iterator_traitsISY_E10value_typeET2_T3_PNSZ_IS14_E10value_typeET4_jRbjT5_S1A_jjP12ihipStream_tbEUljE_EEESV_SW_SX_S14_S18_S1A_T6_T7_T9_mT8_S1C_bDpT10_ENKUlT_T0_E_clISt17integral_constantIbLb0EES1P_EEDaS1K_S1L_EUlS1K_E_NS1_11comp_targetILNS1_3genE4ELNS1_11target_archE910ELNS1_3gpuE8ELNS1_3repE0EEENS1_30default_config_static_selectorELNS0_4arch9wavefront6targetE0EEEvSY_.uses_vcc, 0
	.set _ZN7rocprim17ROCPRIM_400000_NS6detail17trampoline_kernelINS0_13select_configILj256ELj13ELNS0_17block_load_methodE3ELS4_3ELS4_3ELNS0_20block_scan_algorithmE0ELj4294967295EEENS1_25partition_config_selectorILNS1_17partition_subalgoE3EjNS0_10empty_typeEbEEZZNS1_14partition_implILS8_3ELb0ES6_jNS0_17counting_iteratorIjlEEPS9_SE_NS0_5tupleIJPjSE_EEENSF_IJSE_SE_EEES9_SG_JZNS1_25segmented_radix_sort_implINS0_14default_configELb1EPKsPsPKlPlN2at6native12_GLOBAL__N_18offset_tEEE10hipError_tPvRmT1_PNSt15iterator_traitsISY_E10value_typeET2_T3_PNSZ_IS14_E10value_typeET4_jRbjT5_S1A_jjP12ihipStream_tbEUljE_EEESV_SW_SX_S14_S18_S1A_T6_T7_T9_mT8_S1C_bDpT10_ENKUlT_T0_E_clISt17integral_constantIbLb0EES1P_EEDaS1K_S1L_EUlS1K_E_NS1_11comp_targetILNS1_3genE4ELNS1_11target_archE910ELNS1_3gpuE8ELNS1_3repE0EEENS1_30default_config_static_selectorELNS0_4arch9wavefront6targetE0EEEvSY_.uses_flat_scratch, 0
	.set _ZN7rocprim17ROCPRIM_400000_NS6detail17trampoline_kernelINS0_13select_configILj256ELj13ELNS0_17block_load_methodE3ELS4_3ELS4_3ELNS0_20block_scan_algorithmE0ELj4294967295EEENS1_25partition_config_selectorILNS1_17partition_subalgoE3EjNS0_10empty_typeEbEEZZNS1_14partition_implILS8_3ELb0ES6_jNS0_17counting_iteratorIjlEEPS9_SE_NS0_5tupleIJPjSE_EEENSF_IJSE_SE_EEES9_SG_JZNS1_25segmented_radix_sort_implINS0_14default_configELb1EPKsPsPKlPlN2at6native12_GLOBAL__N_18offset_tEEE10hipError_tPvRmT1_PNSt15iterator_traitsISY_E10value_typeET2_T3_PNSZ_IS14_E10value_typeET4_jRbjT5_S1A_jjP12ihipStream_tbEUljE_EEESV_SW_SX_S14_S18_S1A_T6_T7_T9_mT8_S1C_bDpT10_ENKUlT_T0_E_clISt17integral_constantIbLb0EES1P_EEDaS1K_S1L_EUlS1K_E_NS1_11comp_targetILNS1_3genE4ELNS1_11target_archE910ELNS1_3gpuE8ELNS1_3repE0EEENS1_30default_config_static_selectorELNS0_4arch9wavefront6targetE0EEEvSY_.has_dyn_sized_stack, 0
	.set _ZN7rocprim17ROCPRIM_400000_NS6detail17trampoline_kernelINS0_13select_configILj256ELj13ELNS0_17block_load_methodE3ELS4_3ELS4_3ELNS0_20block_scan_algorithmE0ELj4294967295EEENS1_25partition_config_selectorILNS1_17partition_subalgoE3EjNS0_10empty_typeEbEEZZNS1_14partition_implILS8_3ELb0ES6_jNS0_17counting_iteratorIjlEEPS9_SE_NS0_5tupleIJPjSE_EEENSF_IJSE_SE_EEES9_SG_JZNS1_25segmented_radix_sort_implINS0_14default_configELb1EPKsPsPKlPlN2at6native12_GLOBAL__N_18offset_tEEE10hipError_tPvRmT1_PNSt15iterator_traitsISY_E10value_typeET2_T3_PNSZ_IS14_E10value_typeET4_jRbjT5_S1A_jjP12ihipStream_tbEUljE_EEESV_SW_SX_S14_S18_S1A_T6_T7_T9_mT8_S1C_bDpT10_ENKUlT_T0_E_clISt17integral_constantIbLb0EES1P_EEDaS1K_S1L_EUlS1K_E_NS1_11comp_targetILNS1_3genE4ELNS1_11target_archE910ELNS1_3gpuE8ELNS1_3repE0EEENS1_30default_config_static_selectorELNS0_4arch9wavefront6targetE0EEEvSY_.has_recursion, 0
	.set _ZN7rocprim17ROCPRIM_400000_NS6detail17trampoline_kernelINS0_13select_configILj256ELj13ELNS0_17block_load_methodE3ELS4_3ELS4_3ELNS0_20block_scan_algorithmE0ELj4294967295EEENS1_25partition_config_selectorILNS1_17partition_subalgoE3EjNS0_10empty_typeEbEEZZNS1_14partition_implILS8_3ELb0ES6_jNS0_17counting_iteratorIjlEEPS9_SE_NS0_5tupleIJPjSE_EEENSF_IJSE_SE_EEES9_SG_JZNS1_25segmented_radix_sort_implINS0_14default_configELb1EPKsPsPKlPlN2at6native12_GLOBAL__N_18offset_tEEE10hipError_tPvRmT1_PNSt15iterator_traitsISY_E10value_typeET2_T3_PNSZ_IS14_E10value_typeET4_jRbjT5_S1A_jjP12ihipStream_tbEUljE_EEESV_SW_SX_S14_S18_S1A_T6_T7_T9_mT8_S1C_bDpT10_ENKUlT_T0_E_clISt17integral_constantIbLb0EES1P_EEDaS1K_S1L_EUlS1K_E_NS1_11comp_targetILNS1_3genE4ELNS1_11target_archE910ELNS1_3gpuE8ELNS1_3repE0EEENS1_30default_config_static_selectorELNS0_4arch9wavefront6targetE0EEEvSY_.has_indirect_call, 0
	.section	.AMDGPU.csdata,"",@progbits
; Kernel info:
; codeLenInByte = 0
; TotalNumSgprs: 0
; NumVgprs: 0
; ScratchSize: 0
; MemoryBound: 0
; FloatMode: 240
; IeeeMode: 1
; LDSByteSize: 0 bytes/workgroup (compile time only)
; SGPRBlocks: 0
; VGPRBlocks: 0
; NumSGPRsForWavesPerEU: 1
; NumVGPRsForWavesPerEU: 1
; NamedBarCnt: 0
; Occupancy: 16
; WaveLimiterHint : 0
; COMPUTE_PGM_RSRC2:SCRATCH_EN: 0
; COMPUTE_PGM_RSRC2:USER_SGPR: 2
; COMPUTE_PGM_RSRC2:TRAP_HANDLER: 0
; COMPUTE_PGM_RSRC2:TGID_X_EN: 1
; COMPUTE_PGM_RSRC2:TGID_Y_EN: 0
; COMPUTE_PGM_RSRC2:TGID_Z_EN: 0
; COMPUTE_PGM_RSRC2:TIDIG_COMP_CNT: 0
	.section	.text._ZN7rocprim17ROCPRIM_400000_NS6detail17trampoline_kernelINS0_13select_configILj256ELj13ELNS0_17block_load_methodE3ELS4_3ELS4_3ELNS0_20block_scan_algorithmE0ELj4294967295EEENS1_25partition_config_selectorILNS1_17partition_subalgoE3EjNS0_10empty_typeEbEEZZNS1_14partition_implILS8_3ELb0ES6_jNS0_17counting_iteratorIjlEEPS9_SE_NS0_5tupleIJPjSE_EEENSF_IJSE_SE_EEES9_SG_JZNS1_25segmented_radix_sort_implINS0_14default_configELb1EPKsPsPKlPlN2at6native12_GLOBAL__N_18offset_tEEE10hipError_tPvRmT1_PNSt15iterator_traitsISY_E10value_typeET2_T3_PNSZ_IS14_E10value_typeET4_jRbjT5_S1A_jjP12ihipStream_tbEUljE_EEESV_SW_SX_S14_S18_S1A_T6_T7_T9_mT8_S1C_bDpT10_ENKUlT_T0_E_clISt17integral_constantIbLb0EES1P_EEDaS1K_S1L_EUlS1K_E_NS1_11comp_targetILNS1_3genE3ELNS1_11target_archE908ELNS1_3gpuE7ELNS1_3repE0EEENS1_30default_config_static_selectorELNS0_4arch9wavefront6targetE0EEEvSY_,"axG",@progbits,_ZN7rocprim17ROCPRIM_400000_NS6detail17trampoline_kernelINS0_13select_configILj256ELj13ELNS0_17block_load_methodE3ELS4_3ELS4_3ELNS0_20block_scan_algorithmE0ELj4294967295EEENS1_25partition_config_selectorILNS1_17partition_subalgoE3EjNS0_10empty_typeEbEEZZNS1_14partition_implILS8_3ELb0ES6_jNS0_17counting_iteratorIjlEEPS9_SE_NS0_5tupleIJPjSE_EEENSF_IJSE_SE_EEES9_SG_JZNS1_25segmented_radix_sort_implINS0_14default_configELb1EPKsPsPKlPlN2at6native12_GLOBAL__N_18offset_tEEE10hipError_tPvRmT1_PNSt15iterator_traitsISY_E10value_typeET2_T3_PNSZ_IS14_E10value_typeET4_jRbjT5_S1A_jjP12ihipStream_tbEUljE_EEESV_SW_SX_S14_S18_S1A_T6_T7_T9_mT8_S1C_bDpT10_ENKUlT_T0_E_clISt17integral_constantIbLb0EES1P_EEDaS1K_S1L_EUlS1K_E_NS1_11comp_targetILNS1_3genE3ELNS1_11target_archE908ELNS1_3gpuE7ELNS1_3repE0EEENS1_30default_config_static_selectorELNS0_4arch9wavefront6targetE0EEEvSY_,comdat
	.globl	_ZN7rocprim17ROCPRIM_400000_NS6detail17trampoline_kernelINS0_13select_configILj256ELj13ELNS0_17block_load_methodE3ELS4_3ELS4_3ELNS0_20block_scan_algorithmE0ELj4294967295EEENS1_25partition_config_selectorILNS1_17partition_subalgoE3EjNS0_10empty_typeEbEEZZNS1_14partition_implILS8_3ELb0ES6_jNS0_17counting_iteratorIjlEEPS9_SE_NS0_5tupleIJPjSE_EEENSF_IJSE_SE_EEES9_SG_JZNS1_25segmented_radix_sort_implINS0_14default_configELb1EPKsPsPKlPlN2at6native12_GLOBAL__N_18offset_tEEE10hipError_tPvRmT1_PNSt15iterator_traitsISY_E10value_typeET2_T3_PNSZ_IS14_E10value_typeET4_jRbjT5_S1A_jjP12ihipStream_tbEUljE_EEESV_SW_SX_S14_S18_S1A_T6_T7_T9_mT8_S1C_bDpT10_ENKUlT_T0_E_clISt17integral_constantIbLb0EES1P_EEDaS1K_S1L_EUlS1K_E_NS1_11comp_targetILNS1_3genE3ELNS1_11target_archE908ELNS1_3gpuE7ELNS1_3repE0EEENS1_30default_config_static_selectorELNS0_4arch9wavefront6targetE0EEEvSY_ ; -- Begin function _ZN7rocprim17ROCPRIM_400000_NS6detail17trampoline_kernelINS0_13select_configILj256ELj13ELNS0_17block_load_methodE3ELS4_3ELS4_3ELNS0_20block_scan_algorithmE0ELj4294967295EEENS1_25partition_config_selectorILNS1_17partition_subalgoE3EjNS0_10empty_typeEbEEZZNS1_14partition_implILS8_3ELb0ES6_jNS0_17counting_iteratorIjlEEPS9_SE_NS0_5tupleIJPjSE_EEENSF_IJSE_SE_EEES9_SG_JZNS1_25segmented_radix_sort_implINS0_14default_configELb1EPKsPsPKlPlN2at6native12_GLOBAL__N_18offset_tEEE10hipError_tPvRmT1_PNSt15iterator_traitsISY_E10value_typeET2_T3_PNSZ_IS14_E10value_typeET4_jRbjT5_S1A_jjP12ihipStream_tbEUljE_EEESV_SW_SX_S14_S18_S1A_T6_T7_T9_mT8_S1C_bDpT10_ENKUlT_T0_E_clISt17integral_constantIbLb0EES1P_EEDaS1K_S1L_EUlS1K_E_NS1_11comp_targetILNS1_3genE3ELNS1_11target_archE908ELNS1_3gpuE7ELNS1_3repE0EEENS1_30default_config_static_selectorELNS0_4arch9wavefront6targetE0EEEvSY_
	.p2align	8
	.type	_ZN7rocprim17ROCPRIM_400000_NS6detail17trampoline_kernelINS0_13select_configILj256ELj13ELNS0_17block_load_methodE3ELS4_3ELS4_3ELNS0_20block_scan_algorithmE0ELj4294967295EEENS1_25partition_config_selectorILNS1_17partition_subalgoE3EjNS0_10empty_typeEbEEZZNS1_14partition_implILS8_3ELb0ES6_jNS0_17counting_iteratorIjlEEPS9_SE_NS0_5tupleIJPjSE_EEENSF_IJSE_SE_EEES9_SG_JZNS1_25segmented_radix_sort_implINS0_14default_configELb1EPKsPsPKlPlN2at6native12_GLOBAL__N_18offset_tEEE10hipError_tPvRmT1_PNSt15iterator_traitsISY_E10value_typeET2_T3_PNSZ_IS14_E10value_typeET4_jRbjT5_S1A_jjP12ihipStream_tbEUljE_EEESV_SW_SX_S14_S18_S1A_T6_T7_T9_mT8_S1C_bDpT10_ENKUlT_T0_E_clISt17integral_constantIbLb0EES1P_EEDaS1K_S1L_EUlS1K_E_NS1_11comp_targetILNS1_3genE3ELNS1_11target_archE908ELNS1_3gpuE7ELNS1_3repE0EEENS1_30default_config_static_selectorELNS0_4arch9wavefront6targetE0EEEvSY_,@function
_ZN7rocprim17ROCPRIM_400000_NS6detail17trampoline_kernelINS0_13select_configILj256ELj13ELNS0_17block_load_methodE3ELS4_3ELS4_3ELNS0_20block_scan_algorithmE0ELj4294967295EEENS1_25partition_config_selectorILNS1_17partition_subalgoE3EjNS0_10empty_typeEbEEZZNS1_14partition_implILS8_3ELb0ES6_jNS0_17counting_iteratorIjlEEPS9_SE_NS0_5tupleIJPjSE_EEENSF_IJSE_SE_EEES9_SG_JZNS1_25segmented_radix_sort_implINS0_14default_configELb1EPKsPsPKlPlN2at6native12_GLOBAL__N_18offset_tEEE10hipError_tPvRmT1_PNSt15iterator_traitsISY_E10value_typeET2_T3_PNSZ_IS14_E10value_typeET4_jRbjT5_S1A_jjP12ihipStream_tbEUljE_EEESV_SW_SX_S14_S18_S1A_T6_T7_T9_mT8_S1C_bDpT10_ENKUlT_T0_E_clISt17integral_constantIbLb0EES1P_EEDaS1K_S1L_EUlS1K_E_NS1_11comp_targetILNS1_3genE3ELNS1_11target_archE908ELNS1_3gpuE7ELNS1_3repE0EEENS1_30default_config_static_selectorELNS0_4arch9wavefront6targetE0EEEvSY_: ; @_ZN7rocprim17ROCPRIM_400000_NS6detail17trampoline_kernelINS0_13select_configILj256ELj13ELNS0_17block_load_methodE3ELS4_3ELS4_3ELNS0_20block_scan_algorithmE0ELj4294967295EEENS1_25partition_config_selectorILNS1_17partition_subalgoE3EjNS0_10empty_typeEbEEZZNS1_14partition_implILS8_3ELb0ES6_jNS0_17counting_iteratorIjlEEPS9_SE_NS0_5tupleIJPjSE_EEENSF_IJSE_SE_EEES9_SG_JZNS1_25segmented_radix_sort_implINS0_14default_configELb1EPKsPsPKlPlN2at6native12_GLOBAL__N_18offset_tEEE10hipError_tPvRmT1_PNSt15iterator_traitsISY_E10value_typeET2_T3_PNSZ_IS14_E10value_typeET4_jRbjT5_S1A_jjP12ihipStream_tbEUljE_EEESV_SW_SX_S14_S18_S1A_T6_T7_T9_mT8_S1C_bDpT10_ENKUlT_T0_E_clISt17integral_constantIbLb0EES1P_EEDaS1K_S1L_EUlS1K_E_NS1_11comp_targetILNS1_3genE3ELNS1_11target_archE908ELNS1_3gpuE7ELNS1_3repE0EEENS1_30default_config_static_selectorELNS0_4arch9wavefront6targetE0EEEvSY_
; %bb.0:
	.section	.rodata,"a",@progbits
	.p2align	6, 0x0
	.amdhsa_kernel _ZN7rocprim17ROCPRIM_400000_NS6detail17trampoline_kernelINS0_13select_configILj256ELj13ELNS0_17block_load_methodE3ELS4_3ELS4_3ELNS0_20block_scan_algorithmE0ELj4294967295EEENS1_25partition_config_selectorILNS1_17partition_subalgoE3EjNS0_10empty_typeEbEEZZNS1_14partition_implILS8_3ELb0ES6_jNS0_17counting_iteratorIjlEEPS9_SE_NS0_5tupleIJPjSE_EEENSF_IJSE_SE_EEES9_SG_JZNS1_25segmented_radix_sort_implINS0_14default_configELb1EPKsPsPKlPlN2at6native12_GLOBAL__N_18offset_tEEE10hipError_tPvRmT1_PNSt15iterator_traitsISY_E10value_typeET2_T3_PNSZ_IS14_E10value_typeET4_jRbjT5_S1A_jjP12ihipStream_tbEUljE_EEESV_SW_SX_S14_S18_S1A_T6_T7_T9_mT8_S1C_bDpT10_ENKUlT_T0_E_clISt17integral_constantIbLb0EES1P_EEDaS1K_S1L_EUlS1K_E_NS1_11comp_targetILNS1_3genE3ELNS1_11target_archE908ELNS1_3gpuE7ELNS1_3repE0EEENS1_30default_config_static_selectorELNS0_4arch9wavefront6targetE0EEEvSY_
		.amdhsa_group_segment_fixed_size 0
		.amdhsa_private_segment_fixed_size 0
		.amdhsa_kernarg_size 144
		.amdhsa_user_sgpr_count 2
		.amdhsa_user_sgpr_dispatch_ptr 0
		.amdhsa_user_sgpr_queue_ptr 0
		.amdhsa_user_sgpr_kernarg_segment_ptr 1
		.amdhsa_user_sgpr_dispatch_id 0
		.amdhsa_user_sgpr_kernarg_preload_length 0
		.amdhsa_user_sgpr_kernarg_preload_offset 0
		.amdhsa_user_sgpr_private_segment_size 0
		.amdhsa_wavefront_size32 1
		.amdhsa_uses_dynamic_stack 0
		.amdhsa_enable_private_segment 0
		.amdhsa_system_sgpr_workgroup_id_x 1
		.amdhsa_system_sgpr_workgroup_id_y 0
		.amdhsa_system_sgpr_workgroup_id_z 0
		.amdhsa_system_sgpr_workgroup_info 0
		.amdhsa_system_vgpr_workitem_id 0
		.amdhsa_next_free_vgpr 1
		.amdhsa_next_free_sgpr 1
		.amdhsa_named_barrier_count 0
		.amdhsa_reserve_vcc 0
		.amdhsa_float_round_mode_32 0
		.amdhsa_float_round_mode_16_64 0
		.amdhsa_float_denorm_mode_32 3
		.amdhsa_float_denorm_mode_16_64 3
		.amdhsa_fp16_overflow 0
		.amdhsa_memory_ordered 1
		.amdhsa_forward_progress 1
		.amdhsa_inst_pref_size 0
		.amdhsa_round_robin_scheduling 0
		.amdhsa_exception_fp_ieee_invalid_op 0
		.amdhsa_exception_fp_denorm_src 0
		.amdhsa_exception_fp_ieee_div_zero 0
		.amdhsa_exception_fp_ieee_overflow 0
		.amdhsa_exception_fp_ieee_underflow 0
		.amdhsa_exception_fp_ieee_inexact 0
		.amdhsa_exception_int_div_zero 0
	.end_amdhsa_kernel
	.section	.text._ZN7rocprim17ROCPRIM_400000_NS6detail17trampoline_kernelINS0_13select_configILj256ELj13ELNS0_17block_load_methodE3ELS4_3ELS4_3ELNS0_20block_scan_algorithmE0ELj4294967295EEENS1_25partition_config_selectorILNS1_17partition_subalgoE3EjNS0_10empty_typeEbEEZZNS1_14partition_implILS8_3ELb0ES6_jNS0_17counting_iteratorIjlEEPS9_SE_NS0_5tupleIJPjSE_EEENSF_IJSE_SE_EEES9_SG_JZNS1_25segmented_radix_sort_implINS0_14default_configELb1EPKsPsPKlPlN2at6native12_GLOBAL__N_18offset_tEEE10hipError_tPvRmT1_PNSt15iterator_traitsISY_E10value_typeET2_T3_PNSZ_IS14_E10value_typeET4_jRbjT5_S1A_jjP12ihipStream_tbEUljE_EEESV_SW_SX_S14_S18_S1A_T6_T7_T9_mT8_S1C_bDpT10_ENKUlT_T0_E_clISt17integral_constantIbLb0EES1P_EEDaS1K_S1L_EUlS1K_E_NS1_11comp_targetILNS1_3genE3ELNS1_11target_archE908ELNS1_3gpuE7ELNS1_3repE0EEENS1_30default_config_static_selectorELNS0_4arch9wavefront6targetE0EEEvSY_,"axG",@progbits,_ZN7rocprim17ROCPRIM_400000_NS6detail17trampoline_kernelINS0_13select_configILj256ELj13ELNS0_17block_load_methodE3ELS4_3ELS4_3ELNS0_20block_scan_algorithmE0ELj4294967295EEENS1_25partition_config_selectorILNS1_17partition_subalgoE3EjNS0_10empty_typeEbEEZZNS1_14partition_implILS8_3ELb0ES6_jNS0_17counting_iteratorIjlEEPS9_SE_NS0_5tupleIJPjSE_EEENSF_IJSE_SE_EEES9_SG_JZNS1_25segmented_radix_sort_implINS0_14default_configELb1EPKsPsPKlPlN2at6native12_GLOBAL__N_18offset_tEEE10hipError_tPvRmT1_PNSt15iterator_traitsISY_E10value_typeET2_T3_PNSZ_IS14_E10value_typeET4_jRbjT5_S1A_jjP12ihipStream_tbEUljE_EEESV_SW_SX_S14_S18_S1A_T6_T7_T9_mT8_S1C_bDpT10_ENKUlT_T0_E_clISt17integral_constantIbLb0EES1P_EEDaS1K_S1L_EUlS1K_E_NS1_11comp_targetILNS1_3genE3ELNS1_11target_archE908ELNS1_3gpuE7ELNS1_3repE0EEENS1_30default_config_static_selectorELNS0_4arch9wavefront6targetE0EEEvSY_,comdat
.Lfunc_end878:
	.size	_ZN7rocprim17ROCPRIM_400000_NS6detail17trampoline_kernelINS0_13select_configILj256ELj13ELNS0_17block_load_methodE3ELS4_3ELS4_3ELNS0_20block_scan_algorithmE0ELj4294967295EEENS1_25partition_config_selectorILNS1_17partition_subalgoE3EjNS0_10empty_typeEbEEZZNS1_14partition_implILS8_3ELb0ES6_jNS0_17counting_iteratorIjlEEPS9_SE_NS0_5tupleIJPjSE_EEENSF_IJSE_SE_EEES9_SG_JZNS1_25segmented_radix_sort_implINS0_14default_configELb1EPKsPsPKlPlN2at6native12_GLOBAL__N_18offset_tEEE10hipError_tPvRmT1_PNSt15iterator_traitsISY_E10value_typeET2_T3_PNSZ_IS14_E10value_typeET4_jRbjT5_S1A_jjP12ihipStream_tbEUljE_EEESV_SW_SX_S14_S18_S1A_T6_T7_T9_mT8_S1C_bDpT10_ENKUlT_T0_E_clISt17integral_constantIbLb0EES1P_EEDaS1K_S1L_EUlS1K_E_NS1_11comp_targetILNS1_3genE3ELNS1_11target_archE908ELNS1_3gpuE7ELNS1_3repE0EEENS1_30default_config_static_selectorELNS0_4arch9wavefront6targetE0EEEvSY_, .Lfunc_end878-_ZN7rocprim17ROCPRIM_400000_NS6detail17trampoline_kernelINS0_13select_configILj256ELj13ELNS0_17block_load_methodE3ELS4_3ELS4_3ELNS0_20block_scan_algorithmE0ELj4294967295EEENS1_25partition_config_selectorILNS1_17partition_subalgoE3EjNS0_10empty_typeEbEEZZNS1_14partition_implILS8_3ELb0ES6_jNS0_17counting_iteratorIjlEEPS9_SE_NS0_5tupleIJPjSE_EEENSF_IJSE_SE_EEES9_SG_JZNS1_25segmented_radix_sort_implINS0_14default_configELb1EPKsPsPKlPlN2at6native12_GLOBAL__N_18offset_tEEE10hipError_tPvRmT1_PNSt15iterator_traitsISY_E10value_typeET2_T3_PNSZ_IS14_E10value_typeET4_jRbjT5_S1A_jjP12ihipStream_tbEUljE_EEESV_SW_SX_S14_S18_S1A_T6_T7_T9_mT8_S1C_bDpT10_ENKUlT_T0_E_clISt17integral_constantIbLb0EES1P_EEDaS1K_S1L_EUlS1K_E_NS1_11comp_targetILNS1_3genE3ELNS1_11target_archE908ELNS1_3gpuE7ELNS1_3repE0EEENS1_30default_config_static_selectorELNS0_4arch9wavefront6targetE0EEEvSY_
                                        ; -- End function
	.set _ZN7rocprim17ROCPRIM_400000_NS6detail17trampoline_kernelINS0_13select_configILj256ELj13ELNS0_17block_load_methodE3ELS4_3ELS4_3ELNS0_20block_scan_algorithmE0ELj4294967295EEENS1_25partition_config_selectorILNS1_17partition_subalgoE3EjNS0_10empty_typeEbEEZZNS1_14partition_implILS8_3ELb0ES6_jNS0_17counting_iteratorIjlEEPS9_SE_NS0_5tupleIJPjSE_EEENSF_IJSE_SE_EEES9_SG_JZNS1_25segmented_radix_sort_implINS0_14default_configELb1EPKsPsPKlPlN2at6native12_GLOBAL__N_18offset_tEEE10hipError_tPvRmT1_PNSt15iterator_traitsISY_E10value_typeET2_T3_PNSZ_IS14_E10value_typeET4_jRbjT5_S1A_jjP12ihipStream_tbEUljE_EEESV_SW_SX_S14_S18_S1A_T6_T7_T9_mT8_S1C_bDpT10_ENKUlT_T0_E_clISt17integral_constantIbLb0EES1P_EEDaS1K_S1L_EUlS1K_E_NS1_11comp_targetILNS1_3genE3ELNS1_11target_archE908ELNS1_3gpuE7ELNS1_3repE0EEENS1_30default_config_static_selectorELNS0_4arch9wavefront6targetE0EEEvSY_.num_vgpr, 0
	.set _ZN7rocprim17ROCPRIM_400000_NS6detail17trampoline_kernelINS0_13select_configILj256ELj13ELNS0_17block_load_methodE3ELS4_3ELS4_3ELNS0_20block_scan_algorithmE0ELj4294967295EEENS1_25partition_config_selectorILNS1_17partition_subalgoE3EjNS0_10empty_typeEbEEZZNS1_14partition_implILS8_3ELb0ES6_jNS0_17counting_iteratorIjlEEPS9_SE_NS0_5tupleIJPjSE_EEENSF_IJSE_SE_EEES9_SG_JZNS1_25segmented_radix_sort_implINS0_14default_configELb1EPKsPsPKlPlN2at6native12_GLOBAL__N_18offset_tEEE10hipError_tPvRmT1_PNSt15iterator_traitsISY_E10value_typeET2_T3_PNSZ_IS14_E10value_typeET4_jRbjT5_S1A_jjP12ihipStream_tbEUljE_EEESV_SW_SX_S14_S18_S1A_T6_T7_T9_mT8_S1C_bDpT10_ENKUlT_T0_E_clISt17integral_constantIbLb0EES1P_EEDaS1K_S1L_EUlS1K_E_NS1_11comp_targetILNS1_3genE3ELNS1_11target_archE908ELNS1_3gpuE7ELNS1_3repE0EEENS1_30default_config_static_selectorELNS0_4arch9wavefront6targetE0EEEvSY_.num_agpr, 0
	.set _ZN7rocprim17ROCPRIM_400000_NS6detail17trampoline_kernelINS0_13select_configILj256ELj13ELNS0_17block_load_methodE3ELS4_3ELS4_3ELNS0_20block_scan_algorithmE0ELj4294967295EEENS1_25partition_config_selectorILNS1_17partition_subalgoE3EjNS0_10empty_typeEbEEZZNS1_14partition_implILS8_3ELb0ES6_jNS0_17counting_iteratorIjlEEPS9_SE_NS0_5tupleIJPjSE_EEENSF_IJSE_SE_EEES9_SG_JZNS1_25segmented_radix_sort_implINS0_14default_configELb1EPKsPsPKlPlN2at6native12_GLOBAL__N_18offset_tEEE10hipError_tPvRmT1_PNSt15iterator_traitsISY_E10value_typeET2_T3_PNSZ_IS14_E10value_typeET4_jRbjT5_S1A_jjP12ihipStream_tbEUljE_EEESV_SW_SX_S14_S18_S1A_T6_T7_T9_mT8_S1C_bDpT10_ENKUlT_T0_E_clISt17integral_constantIbLb0EES1P_EEDaS1K_S1L_EUlS1K_E_NS1_11comp_targetILNS1_3genE3ELNS1_11target_archE908ELNS1_3gpuE7ELNS1_3repE0EEENS1_30default_config_static_selectorELNS0_4arch9wavefront6targetE0EEEvSY_.numbered_sgpr, 0
	.set _ZN7rocprim17ROCPRIM_400000_NS6detail17trampoline_kernelINS0_13select_configILj256ELj13ELNS0_17block_load_methodE3ELS4_3ELS4_3ELNS0_20block_scan_algorithmE0ELj4294967295EEENS1_25partition_config_selectorILNS1_17partition_subalgoE3EjNS0_10empty_typeEbEEZZNS1_14partition_implILS8_3ELb0ES6_jNS0_17counting_iteratorIjlEEPS9_SE_NS0_5tupleIJPjSE_EEENSF_IJSE_SE_EEES9_SG_JZNS1_25segmented_radix_sort_implINS0_14default_configELb1EPKsPsPKlPlN2at6native12_GLOBAL__N_18offset_tEEE10hipError_tPvRmT1_PNSt15iterator_traitsISY_E10value_typeET2_T3_PNSZ_IS14_E10value_typeET4_jRbjT5_S1A_jjP12ihipStream_tbEUljE_EEESV_SW_SX_S14_S18_S1A_T6_T7_T9_mT8_S1C_bDpT10_ENKUlT_T0_E_clISt17integral_constantIbLb0EES1P_EEDaS1K_S1L_EUlS1K_E_NS1_11comp_targetILNS1_3genE3ELNS1_11target_archE908ELNS1_3gpuE7ELNS1_3repE0EEENS1_30default_config_static_selectorELNS0_4arch9wavefront6targetE0EEEvSY_.num_named_barrier, 0
	.set _ZN7rocprim17ROCPRIM_400000_NS6detail17trampoline_kernelINS0_13select_configILj256ELj13ELNS0_17block_load_methodE3ELS4_3ELS4_3ELNS0_20block_scan_algorithmE0ELj4294967295EEENS1_25partition_config_selectorILNS1_17partition_subalgoE3EjNS0_10empty_typeEbEEZZNS1_14partition_implILS8_3ELb0ES6_jNS0_17counting_iteratorIjlEEPS9_SE_NS0_5tupleIJPjSE_EEENSF_IJSE_SE_EEES9_SG_JZNS1_25segmented_radix_sort_implINS0_14default_configELb1EPKsPsPKlPlN2at6native12_GLOBAL__N_18offset_tEEE10hipError_tPvRmT1_PNSt15iterator_traitsISY_E10value_typeET2_T3_PNSZ_IS14_E10value_typeET4_jRbjT5_S1A_jjP12ihipStream_tbEUljE_EEESV_SW_SX_S14_S18_S1A_T6_T7_T9_mT8_S1C_bDpT10_ENKUlT_T0_E_clISt17integral_constantIbLb0EES1P_EEDaS1K_S1L_EUlS1K_E_NS1_11comp_targetILNS1_3genE3ELNS1_11target_archE908ELNS1_3gpuE7ELNS1_3repE0EEENS1_30default_config_static_selectorELNS0_4arch9wavefront6targetE0EEEvSY_.private_seg_size, 0
	.set _ZN7rocprim17ROCPRIM_400000_NS6detail17trampoline_kernelINS0_13select_configILj256ELj13ELNS0_17block_load_methodE3ELS4_3ELS4_3ELNS0_20block_scan_algorithmE0ELj4294967295EEENS1_25partition_config_selectorILNS1_17partition_subalgoE3EjNS0_10empty_typeEbEEZZNS1_14partition_implILS8_3ELb0ES6_jNS0_17counting_iteratorIjlEEPS9_SE_NS0_5tupleIJPjSE_EEENSF_IJSE_SE_EEES9_SG_JZNS1_25segmented_radix_sort_implINS0_14default_configELb1EPKsPsPKlPlN2at6native12_GLOBAL__N_18offset_tEEE10hipError_tPvRmT1_PNSt15iterator_traitsISY_E10value_typeET2_T3_PNSZ_IS14_E10value_typeET4_jRbjT5_S1A_jjP12ihipStream_tbEUljE_EEESV_SW_SX_S14_S18_S1A_T6_T7_T9_mT8_S1C_bDpT10_ENKUlT_T0_E_clISt17integral_constantIbLb0EES1P_EEDaS1K_S1L_EUlS1K_E_NS1_11comp_targetILNS1_3genE3ELNS1_11target_archE908ELNS1_3gpuE7ELNS1_3repE0EEENS1_30default_config_static_selectorELNS0_4arch9wavefront6targetE0EEEvSY_.uses_vcc, 0
	.set _ZN7rocprim17ROCPRIM_400000_NS6detail17trampoline_kernelINS0_13select_configILj256ELj13ELNS0_17block_load_methodE3ELS4_3ELS4_3ELNS0_20block_scan_algorithmE0ELj4294967295EEENS1_25partition_config_selectorILNS1_17partition_subalgoE3EjNS0_10empty_typeEbEEZZNS1_14partition_implILS8_3ELb0ES6_jNS0_17counting_iteratorIjlEEPS9_SE_NS0_5tupleIJPjSE_EEENSF_IJSE_SE_EEES9_SG_JZNS1_25segmented_radix_sort_implINS0_14default_configELb1EPKsPsPKlPlN2at6native12_GLOBAL__N_18offset_tEEE10hipError_tPvRmT1_PNSt15iterator_traitsISY_E10value_typeET2_T3_PNSZ_IS14_E10value_typeET4_jRbjT5_S1A_jjP12ihipStream_tbEUljE_EEESV_SW_SX_S14_S18_S1A_T6_T7_T9_mT8_S1C_bDpT10_ENKUlT_T0_E_clISt17integral_constantIbLb0EES1P_EEDaS1K_S1L_EUlS1K_E_NS1_11comp_targetILNS1_3genE3ELNS1_11target_archE908ELNS1_3gpuE7ELNS1_3repE0EEENS1_30default_config_static_selectorELNS0_4arch9wavefront6targetE0EEEvSY_.uses_flat_scratch, 0
	.set _ZN7rocprim17ROCPRIM_400000_NS6detail17trampoline_kernelINS0_13select_configILj256ELj13ELNS0_17block_load_methodE3ELS4_3ELS4_3ELNS0_20block_scan_algorithmE0ELj4294967295EEENS1_25partition_config_selectorILNS1_17partition_subalgoE3EjNS0_10empty_typeEbEEZZNS1_14partition_implILS8_3ELb0ES6_jNS0_17counting_iteratorIjlEEPS9_SE_NS0_5tupleIJPjSE_EEENSF_IJSE_SE_EEES9_SG_JZNS1_25segmented_radix_sort_implINS0_14default_configELb1EPKsPsPKlPlN2at6native12_GLOBAL__N_18offset_tEEE10hipError_tPvRmT1_PNSt15iterator_traitsISY_E10value_typeET2_T3_PNSZ_IS14_E10value_typeET4_jRbjT5_S1A_jjP12ihipStream_tbEUljE_EEESV_SW_SX_S14_S18_S1A_T6_T7_T9_mT8_S1C_bDpT10_ENKUlT_T0_E_clISt17integral_constantIbLb0EES1P_EEDaS1K_S1L_EUlS1K_E_NS1_11comp_targetILNS1_3genE3ELNS1_11target_archE908ELNS1_3gpuE7ELNS1_3repE0EEENS1_30default_config_static_selectorELNS0_4arch9wavefront6targetE0EEEvSY_.has_dyn_sized_stack, 0
	.set _ZN7rocprim17ROCPRIM_400000_NS6detail17trampoline_kernelINS0_13select_configILj256ELj13ELNS0_17block_load_methodE3ELS4_3ELS4_3ELNS0_20block_scan_algorithmE0ELj4294967295EEENS1_25partition_config_selectorILNS1_17partition_subalgoE3EjNS0_10empty_typeEbEEZZNS1_14partition_implILS8_3ELb0ES6_jNS0_17counting_iteratorIjlEEPS9_SE_NS0_5tupleIJPjSE_EEENSF_IJSE_SE_EEES9_SG_JZNS1_25segmented_radix_sort_implINS0_14default_configELb1EPKsPsPKlPlN2at6native12_GLOBAL__N_18offset_tEEE10hipError_tPvRmT1_PNSt15iterator_traitsISY_E10value_typeET2_T3_PNSZ_IS14_E10value_typeET4_jRbjT5_S1A_jjP12ihipStream_tbEUljE_EEESV_SW_SX_S14_S18_S1A_T6_T7_T9_mT8_S1C_bDpT10_ENKUlT_T0_E_clISt17integral_constantIbLb0EES1P_EEDaS1K_S1L_EUlS1K_E_NS1_11comp_targetILNS1_3genE3ELNS1_11target_archE908ELNS1_3gpuE7ELNS1_3repE0EEENS1_30default_config_static_selectorELNS0_4arch9wavefront6targetE0EEEvSY_.has_recursion, 0
	.set _ZN7rocprim17ROCPRIM_400000_NS6detail17trampoline_kernelINS0_13select_configILj256ELj13ELNS0_17block_load_methodE3ELS4_3ELS4_3ELNS0_20block_scan_algorithmE0ELj4294967295EEENS1_25partition_config_selectorILNS1_17partition_subalgoE3EjNS0_10empty_typeEbEEZZNS1_14partition_implILS8_3ELb0ES6_jNS0_17counting_iteratorIjlEEPS9_SE_NS0_5tupleIJPjSE_EEENSF_IJSE_SE_EEES9_SG_JZNS1_25segmented_radix_sort_implINS0_14default_configELb1EPKsPsPKlPlN2at6native12_GLOBAL__N_18offset_tEEE10hipError_tPvRmT1_PNSt15iterator_traitsISY_E10value_typeET2_T3_PNSZ_IS14_E10value_typeET4_jRbjT5_S1A_jjP12ihipStream_tbEUljE_EEESV_SW_SX_S14_S18_S1A_T6_T7_T9_mT8_S1C_bDpT10_ENKUlT_T0_E_clISt17integral_constantIbLb0EES1P_EEDaS1K_S1L_EUlS1K_E_NS1_11comp_targetILNS1_3genE3ELNS1_11target_archE908ELNS1_3gpuE7ELNS1_3repE0EEENS1_30default_config_static_selectorELNS0_4arch9wavefront6targetE0EEEvSY_.has_indirect_call, 0
	.section	.AMDGPU.csdata,"",@progbits
; Kernel info:
; codeLenInByte = 0
; TotalNumSgprs: 0
; NumVgprs: 0
; ScratchSize: 0
; MemoryBound: 0
; FloatMode: 240
; IeeeMode: 1
; LDSByteSize: 0 bytes/workgroup (compile time only)
; SGPRBlocks: 0
; VGPRBlocks: 0
; NumSGPRsForWavesPerEU: 1
; NumVGPRsForWavesPerEU: 1
; NamedBarCnt: 0
; Occupancy: 16
; WaveLimiterHint : 0
; COMPUTE_PGM_RSRC2:SCRATCH_EN: 0
; COMPUTE_PGM_RSRC2:USER_SGPR: 2
; COMPUTE_PGM_RSRC2:TRAP_HANDLER: 0
; COMPUTE_PGM_RSRC2:TGID_X_EN: 1
; COMPUTE_PGM_RSRC2:TGID_Y_EN: 0
; COMPUTE_PGM_RSRC2:TGID_Z_EN: 0
; COMPUTE_PGM_RSRC2:TIDIG_COMP_CNT: 0
	.section	.text._ZN7rocprim17ROCPRIM_400000_NS6detail17trampoline_kernelINS0_13select_configILj256ELj13ELNS0_17block_load_methodE3ELS4_3ELS4_3ELNS0_20block_scan_algorithmE0ELj4294967295EEENS1_25partition_config_selectorILNS1_17partition_subalgoE3EjNS0_10empty_typeEbEEZZNS1_14partition_implILS8_3ELb0ES6_jNS0_17counting_iteratorIjlEEPS9_SE_NS0_5tupleIJPjSE_EEENSF_IJSE_SE_EEES9_SG_JZNS1_25segmented_radix_sort_implINS0_14default_configELb1EPKsPsPKlPlN2at6native12_GLOBAL__N_18offset_tEEE10hipError_tPvRmT1_PNSt15iterator_traitsISY_E10value_typeET2_T3_PNSZ_IS14_E10value_typeET4_jRbjT5_S1A_jjP12ihipStream_tbEUljE_EEESV_SW_SX_S14_S18_S1A_T6_T7_T9_mT8_S1C_bDpT10_ENKUlT_T0_E_clISt17integral_constantIbLb0EES1P_EEDaS1K_S1L_EUlS1K_E_NS1_11comp_targetILNS1_3genE2ELNS1_11target_archE906ELNS1_3gpuE6ELNS1_3repE0EEENS1_30default_config_static_selectorELNS0_4arch9wavefront6targetE0EEEvSY_,"axG",@progbits,_ZN7rocprim17ROCPRIM_400000_NS6detail17trampoline_kernelINS0_13select_configILj256ELj13ELNS0_17block_load_methodE3ELS4_3ELS4_3ELNS0_20block_scan_algorithmE0ELj4294967295EEENS1_25partition_config_selectorILNS1_17partition_subalgoE3EjNS0_10empty_typeEbEEZZNS1_14partition_implILS8_3ELb0ES6_jNS0_17counting_iteratorIjlEEPS9_SE_NS0_5tupleIJPjSE_EEENSF_IJSE_SE_EEES9_SG_JZNS1_25segmented_radix_sort_implINS0_14default_configELb1EPKsPsPKlPlN2at6native12_GLOBAL__N_18offset_tEEE10hipError_tPvRmT1_PNSt15iterator_traitsISY_E10value_typeET2_T3_PNSZ_IS14_E10value_typeET4_jRbjT5_S1A_jjP12ihipStream_tbEUljE_EEESV_SW_SX_S14_S18_S1A_T6_T7_T9_mT8_S1C_bDpT10_ENKUlT_T0_E_clISt17integral_constantIbLb0EES1P_EEDaS1K_S1L_EUlS1K_E_NS1_11comp_targetILNS1_3genE2ELNS1_11target_archE906ELNS1_3gpuE6ELNS1_3repE0EEENS1_30default_config_static_selectorELNS0_4arch9wavefront6targetE0EEEvSY_,comdat
	.globl	_ZN7rocprim17ROCPRIM_400000_NS6detail17trampoline_kernelINS0_13select_configILj256ELj13ELNS0_17block_load_methodE3ELS4_3ELS4_3ELNS0_20block_scan_algorithmE0ELj4294967295EEENS1_25partition_config_selectorILNS1_17partition_subalgoE3EjNS0_10empty_typeEbEEZZNS1_14partition_implILS8_3ELb0ES6_jNS0_17counting_iteratorIjlEEPS9_SE_NS0_5tupleIJPjSE_EEENSF_IJSE_SE_EEES9_SG_JZNS1_25segmented_radix_sort_implINS0_14default_configELb1EPKsPsPKlPlN2at6native12_GLOBAL__N_18offset_tEEE10hipError_tPvRmT1_PNSt15iterator_traitsISY_E10value_typeET2_T3_PNSZ_IS14_E10value_typeET4_jRbjT5_S1A_jjP12ihipStream_tbEUljE_EEESV_SW_SX_S14_S18_S1A_T6_T7_T9_mT8_S1C_bDpT10_ENKUlT_T0_E_clISt17integral_constantIbLb0EES1P_EEDaS1K_S1L_EUlS1K_E_NS1_11comp_targetILNS1_3genE2ELNS1_11target_archE906ELNS1_3gpuE6ELNS1_3repE0EEENS1_30default_config_static_selectorELNS0_4arch9wavefront6targetE0EEEvSY_ ; -- Begin function _ZN7rocprim17ROCPRIM_400000_NS6detail17trampoline_kernelINS0_13select_configILj256ELj13ELNS0_17block_load_methodE3ELS4_3ELS4_3ELNS0_20block_scan_algorithmE0ELj4294967295EEENS1_25partition_config_selectorILNS1_17partition_subalgoE3EjNS0_10empty_typeEbEEZZNS1_14partition_implILS8_3ELb0ES6_jNS0_17counting_iteratorIjlEEPS9_SE_NS0_5tupleIJPjSE_EEENSF_IJSE_SE_EEES9_SG_JZNS1_25segmented_radix_sort_implINS0_14default_configELb1EPKsPsPKlPlN2at6native12_GLOBAL__N_18offset_tEEE10hipError_tPvRmT1_PNSt15iterator_traitsISY_E10value_typeET2_T3_PNSZ_IS14_E10value_typeET4_jRbjT5_S1A_jjP12ihipStream_tbEUljE_EEESV_SW_SX_S14_S18_S1A_T6_T7_T9_mT8_S1C_bDpT10_ENKUlT_T0_E_clISt17integral_constantIbLb0EES1P_EEDaS1K_S1L_EUlS1K_E_NS1_11comp_targetILNS1_3genE2ELNS1_11target_archE906ELNS1_3gpuE6ELNS1_3repE0EEENS1_30default_config_static_selectorELNS0_4arch9wavefront6targetE0EEEvSY_
	.p2align	8
	.type	_ZN7rocprim17ROCPRIM_400000_NS6detail17trampoline_kernelINS0_13select_configILj256ELj13ELNS0_17block_load_methodE3ELS4_3ELS4_3ELNS0_20block_scan_algorithmE0ELj4294967295EEENS1_25partition_config_selectorILNS1_17partition_subalgoE3EjNS0_10empty_typeEbEEZZNS1_14partition_implILS8_3ELb0ES6_jNS0_17counting_iteratorIjlEEPS9_SE_NS0_5tupleIJPjSE_EEENSF_IJSE_SE_EEES9_SG_JZNS1_25segmented_radix_sort_implINS0_14default_configELb1EPKsPsPKlPlN2at6native12_GLOBAL__N_18offset_tEEE10hipError_tPvRmT1_PNSt15iterator_traitsISY_E10value_typeET2_T3_PNSZ_IS14_E10value_typeET4_jRbjT5_S1A_jjP12ihipStream_tbEUljE_EEESV_SW_SX_S14_S18_S1A_T6_T7_T9_mT8_S1C_bDpT10_ENKUlT_T0_E_clISt17integral_constantIbLb0EES1P_EEDaS1K_S1L_EUlS1K_E_NS1_11comp_targetILNS1_3genE2ELNS1_11target_archE906ELNS1_3gpuE6ELNS1_3repE0EEENS1_30default_config_static_selectorELNS0_4arch9wavefront6targetE0EEEvSY_,@function
_ZN7rocprim17ROCPRIM_400000_NS6detail17trampoline_kernelINS0_13select_configILj256ELj13ELNS0_17block_load_methodE3ELS4_3ELS4_3ELNS0_20block_scan_algorithmE0ELj4294967295EEENS1_25partition_config_selectorILNS1_17partition_subalgoE3EjNS0_10empty_typeEbEEZZNS1_14partition_implILS8_3ELb0ES6_jNS0_17counting_iteratorIjlEEPS9_SE_NS0_5tupleIJPjSE_EEENSF_IJSE_SE_EEES9_SG_JZNS1_25segmented_radix_sort_implINS0_14default_configELb1EPKsPsPKlPlN2at6native12_GLOBAL__N_18offset_tEEE10hipError_tPvRmT1_PNSt15iterator_traitsISY_E10value_typeET2_T3_PNSZ_IS14_E10value_typeET4_jRbjT5_S1A_jjP12ihipStream_tbEUljE_EEESV_SW_SX_S14_S18_S1A_T6_T7_T9_mT8_S1C_bDpT10_ENKUlT_T0_E_clISt17integral_constantIbLb0EES1P_EEDaS1K_S1L_EUlS1K_E_NS1_11comp_targetILNS1_3genE2ELNS1_11target_archE906ELNS1_3gpuE6ELNS1_3repE0EEENS1_30default_config_static_selectorELNS0_4arch9wavefront6targetE0EEEvSY_: ; @_ZN7rocprim17ROCPRIM_400000_NS6detail17trampoline_kernelINS0_13select_configILj256ELj13ELNS0_17block_load_methodE3ELS4_3ELS4_3ELNS0_20block_scan_algorithmE0ELj4294967295EEENS1_25partition_config_selectorILNS1_17partition_subalgoE3EjNS0_10empty_typeEbEEZZNS1_14partition_implILS8_3ELb0ES6_jNS0_17counting_iteratorIjlEEPS9_SE_NS0_5tupleIJPjSE_EEENSF_IJSE_SE_EEES9_SG_JZNS1_25segmented_radix_sort_implINS0_14default_configELb1EPKsPsPKlPlN2at6native12_GLOBAL__N_18offset_tEEE10hipError_tPvRmT1_PNSt15iterator_traitsISY_E10value_typeET2_T3_PNSZ_IS14_E10value_typeET4_jRbjT5_S1A_jjP12ihipStream_tbEUljE_EEESV_SW_SX_S14_S18_S1A_T6_T7_T9_mT8_S1C_bDpT10_ENKUlT_T0_E_clISt17integral_constantIbLb0EES1P_EEDaS1K_S1L_EUlS1K_E_NS1_11comp_targetILNS1_3genE2ELNS1_11target_archE906ELNS1_3gpuE6ELNS1_3repE0EEENS1_30default_config_static_selectorELNS0_4arch9wavefront6targetE0EEEvSY_
; %bb.0:
	.section	.rodata,"a",@progbits
	.p2align	6, 0x0
	.amdhsa_kernel _ZN7rocprim17ROCPRIM_400000_NS6detail17trampoline_kernelINS0_13select_configILj256ELj13ELNS0_17block_load_methodE3ELS4_3ELS4_3ELNS0_20block_scan_algorithmE0ELj4294967295EEENS1_25partition_config_selectorILNS1_17partition_subalgoE3EjNS0_10empty_typeEbEEZZNS1_14partition_implILS8_3ELb0ES6_jNS0_17counting_iteratorIjlEEPS9_SE_NS0_5tupleIJPjSE_EEENSF_IJSE_SE_EEES9_SG_JZNS1_25segmented_radix_sort_implINS0_14default_configELb1EPKsPsPKlPlN2at6native12_GLOBAL__N_18offset_tEEE10hipError_tPvRmT1_PNSt15iterator_traitsISY_E10value_typeET2_T3_PNSZ_IS14_E10value_typeET4_jRbjT5_S1A_jjP12ihipStream_tbEUljE_EEESV_SW_SX_S14_S18_S1A_T6_T7_T9_mT8_S1C_bDpT10_ENKUlT_T0_E_clISt17integral_constantIbLb0EES1P_EEDaS1K_S1L_EUlS1K_E_NS1_11comp_targetILNS1_3genE2ELNS1_11target_archE906ELNS1_3gpuE6ELNS1_3repE0EEENS1_30default_config_static_selectorELNS0_4arch9wavefront6targetE0EEEvSY_
		.amdhsa_group_segment_fixed_size 0
		.amdhsa_private_segment_fixed_size 0
		.amdhsa_kernarg_size 144
		.amdhsa_user_sgpr_count 2
		.amdhsa_user_sgpr_dispatch_ptr 0
		.amdhsa_user_sgpr_queue_ptr 0
		.amdhsa_user_sgpr_kernarg_segment_ptr 1
		.amdhsa_user_sgpr_dispatch_id 0
		.amdhsa_user_sgpr_kernarg_preload_length 0
		.amdhsa_user_sgpr_kernarg_preload_offset 0
		.amdhsa_user_sgpr_private_segment_size 0
		.amdhsa_wavefront_size32 1
		.amdhsa_uses_dynamic_stack 0
		.amdhsa_enable_private_segment 0
		.amdhsa_system_sgpr_workgroup_id_x 1
		.amdhsa_system_sgpr_workgroup_id_y 0
		.amdhsa_system_sgpr_workgroup_id_z 0
		.amdhsa_system_sgpr_workgroup_info 0
		.amdhsa_system_vgpr_workitem_id 0
		.amdhsa_next_free_vgpr 1
		.amdhsa_next_free_sgpr 1
		.amdhsa_named_barrier_count 0
		.amdhsa_reserve_vcc 0
		.amdhsa_float_round_mode_32 0
		.amdhsa_float_round_mode_16_64 0
		.amdhsa_float_denorm_mode_32 3
		.amdhsa_float_denorm_mode_16_64 3
		.amdhsa_fp16_overflow 0
		.amdhsa_memory_ordered 1
		.amdhsa_forward_progress 1
		.amdhsa_inst_pref_size 0
		.amdhsa_round_robin_scheduling 0
		.amdhsa_exception_fp_ieee_invalid_op 0
		.amdhsa_exception_fp_denorm_src 0
		.amdhsa_exception_fp_ieee_div_zero 0
		.amdhsa_exception_fp_ieee_overflow 0
		.amdhsa_exception_fp_ieee_underflow 0
		.amdhsa_exception_fp_ieee_inexact 0
		.amdhsa_exception_int_div_zero 0
	.end_amdhsa_kernel
	.section	.text._ZN7rocprim17ROCPRIM_400000_NS6detail17trampoline_kernelINS0_13select_configILj256ELj13ELNS0_17block_load_methodE3ELS4_3ELS4_3ELNS0_20block_scan_algorithmE0ELj4294967295EEENS1_25partition_config_selectorILNS1_17partition_subalgoE3EjNS0_10empty_typeEbEEZZNS1_14partition_implILS8_3ELb0ES6_jNS0_17counting_iteratorIjlEEPS9_SE_NS0_5tupleIJPjSE_EEENSF_IJSE_SE_EEES9_SG_JZNS1_25segmented_radix_sort_implINS0_14default_configELb1EPKsPsPKlPlN2at6native12_GLOBAL__N_18offset_tEEE10hipError_tPvRmT1_PNSt15iterator_traitsISY_E10value_typeET2_T3_PNSZ_IS14_E10value_typeET4_jRbjT5_S1A_jjP12ihipStream_tbEUljE_EEESV_SW_SX_S14_S18_S1A_T6_T7_T9_mT8_S1C_bDpT10_ENKUlT_T0_E_clISt17integral_constantIbLb0EES1P_EEDaS1K_S1L_EUlS1K_E_NS1_11comp_targetILNS1_3genE2ELNS1_11target_archE906ELNS1_3gpuE6ELNS1_3repE0EEENS1_30default_config_static_selectorELNS0_4arch9wavefront6targetE0EEEvSY_,"axG",@progbits,_ZN7rocprim17ROCPRIM_400000_NS6detail17trampoline_kernelINS0_13select_configILj256ELj13ELNS0_17block_load_methodE3ELS4_3ELS4_3ELNS0_20block_scan_algorithmE0ELj4294967295EEENS1_25partition_config_selectorILNS1_17partition_subalgoE3EjNS0_10empty_typeEbEEZZNS1_14partition_implILS8_3ELb0ES6_jNS0_17counting_iteratorIjlEEPS9_SE_NS0_5tupleIJPjSE_EEENSF_IJSE_SE_EEES9_SG_JZNS1_25segmented_radix_sort_implINS0_14default_configELb1EPKsPsPKlPlN2at6native12_GLOBAL__N_18offset_tEEE10hipError_tPvRmT1_PNSt15iterator_traitsISY_E10value_typeET2_T3_PNSZ_IS14_E10value_typeET4_jRbjT5_S1A_jjP12ihipStream_tbEUljE_EEESV_SW_SX_S14_S18_S1A_T6_T7_T9_mT8_S1C_bDpT10_ENKUlT_T0_E_clISt17integral_constantIbLb0EES1P_EEDaS1K_S1L_EUlS1K_E_NS1_11comp_targetILNS1_3genE2ELNS1_11target_archE906ELNS1_3gpuE6ELNS1_3repE0EEENS1_30default_config_static_selectorELNS0_4arch9wavefront6targetE0EEEvSY_,comdat
.Lfunc_end879:
	.size	_ZN7rocprim17ROCPRIM_400000_NS6detail17trampoline_kernelINS0_13select_configILj256ELj13ELNS0_17block_load_methodE3ELS4_3ELS4_3ELNS0_20block_scan_algorithmE0ELj4294967295EEENS1_25partition_config_selectorILNS1_17partition_subalgoE3EjNS0_10empty_typeEbEEZZNS1_14partition_implILS8_3ELb0ES6_jNS0_17counting_iteratorIjlEEPS9_SE_NS0_5tupleIJPjSE_EEENSF_IJSE_SE_EEES9_SG_JZNS1_25segmented_radix_sort_implINS0_14default_configELb1EPKsPsPKlPlN2at6native12_GLOBAL__N_18offset_tEEE10hipError_tPvRmT1_PNSt15iterator_traitsISY_E10value_typeET2_T3_PNSZ_IS14_E10value_typeET4_jRbjT5_S1A_jjP12ihipStream_tbEUljE_EEESV_SW_SX_S14_S18_S1A_T6_T7_T9_mT8_S1C_bDpT10_ENKUlT_T0_E_clISt17integral_constantIbLb0EES1P_EEDaS1K_S1L_EUlS1K_E_NS1_11comp_targetILNS1_3genE2ELNS1_11target_archE906ELNS1_3gpuE6ELNS1_3repE0EEENS1_30default_config_static_selectorELNS0_4arch9wavefront6targetE0EEEvSY_, .Lfunc_end879-_ZN7rocprim17ROCPRIM_400000_NS6detail17trampoline_kernelINS0_13select_configILj256ELj13ELNS0_17block_load_methodE3ELS4_3ELS4_3ELNS0_20block_scan_algorithmE0ELj4294967295EEENS1_25partition_config_selectorILNS1_17partition_subalgoE3EjNS0_10empty_typeEbEEZZNS1_14partition_implILS8_3ELb0ES6_jNS0_17counting_iteratorIjlEEPS9_SE_NS0_5tupleIJPjSE_EEENSF_IJSE_SE_EEES9_SG_JZNS1_25segmented_radix_sort_implINS0_14default_configELb1EPKsPsPKlPlN2at6native12_GLOBAL__N_18offset_tEEE10hipError_tPvRmT1_PNSt15iterator_traitsISY_E10value_typeET2_T3_PNSZ_IS14_E10value_typeET4_jRbjT5_S1A_jjP12ihipStream_tbEUljE_EEESV_SW_SX_S14_S18_S1A_T6_T7_T9_mT8_S1C_bDpT10_ENKUlT_T0_E_clISt17integral_constantIbLb0EES1P_EEDaS1K_S1L_EUlS1K_E_NS1_11comp_targetILNS1_3genE2ELNS1_11target_archE906ELNS1_3gpuE6ELNS1_3repE0EEENS1_30default_config_static_selectorELNS0_4arch9wavefront6targetE0EEEvSY_
                                        ; -- End function
	.set _ZN7rocprim17ROCPRIM_400000_NS6detail17trampoline_kernelINS0_13select_configILj256ELj13ELNS0_17block_load_methodE3ELS4_3ELS4_3ELNS0_20block_scan_algorithmE0ELj4294967295EEENS1_25partition_config_selectorILNS1_17partition_subalgoE3EjNS0_10empty_typeEbEEZZNS1_14partition_implILS8_3ELb0ES6_jNS0_17counting_iteratorIjlEEPS9_SE_NS0_5tupleIJPjSE_EEENSF_IJSE_SE_EEES9_SG_JZNS1_25segmented_radix_sort_implINS0_14default_configELb1EPKsPsPKlPlN2at6native12_GLOBAL__N_18offset_tEEE10hipError_tPvRmT1_PNSt15iterator_traitsISY_E10value_typeET2_T3_PNSZ_IS14_E10value_typeET4_jRbjT5_S1A_jjP12ihipStream_tbEUljE_EEESV_SW_SX_S14_S18_S1A_T6_T7_T9_mT8_S1C_bDpT10_ENKUlT_T0_E_clISt17integral_constantIbLb0EES1P_EEDaS1K_S1L_EUlS1K_E_NS1_11comp_targetILNS1_3genE2ELNS1_11target_archE906ELNS1_3gpuE6ELNS1_3repE0EEENS1_30default_config_static_selectorELNS0_4arch9wavefront6targetE0EEEvSY_.num_vgpr, 0
	.set _ZN7rocprim17ROCPRIM_400000_NS6detail17trampoline_kernelINS0_13select_configILj256ELj13ELNS0_17block_load_methodE3ELS4_3ELS4_3ELNS0_20block_scan_algorithmE0ELj4294967295EEENS1_25partition_config_selectorILNS1_17partition_subalgoE3EjNS0_10empty_typeEbEEZZNS1_14partition_implILS8_3ELb0ES6_jNS0_17counting_iteratorIjlEEPS9_SE_NS0_5tupleIJPjSE_EEENSF_IJSE_SE_EEES9_SG_JZNS1_25segmented_radix_sort_implINS0_14default_configELb1EPKsPsPKlPlN2at6native12_GLOBAL__N_18offset_tEEE10hipError_tPvRmT1_PNSt15iterator_traitsISY_E10value_typeET2_T3_PNSZ_IS14_E10value_typeET4_jRbjT5_S1A_jjP12ihipStream_tbEUljE_EEESV_SW_SX_S14_S18_S1A_T6_T7_T9_mT8_S1C_bDpT10_ENKUlT_T0_E_clISt17integral_constantIbLb0EES1P_EEDaS1K_S1L_EUlS1K_E_NS1_11comp_targetILNS1_3genE2ELNS1_11target_archE906ELNS1_3gpuE6ELNS1_3repE0EEENS1_30default_config_static_selectorELNS0_4arch9wavefront6targetE0EEEvSY_.num_agpr, 0
	.set _ZN7rocprim17ROCPRIM_400000_NS6detail17trampoline_kernelINS0_13select_configILj256ELj13ELNS0_17block_load_methodE3ELS4_3ELS4_3ELNS0_20block_scan_algorithmE0ELj4294967295EEENS1_25partition_config_selectorILNS1_17partition_subalgoE3EjNS0_10empty_typeEbEEZZNS1_14partition_implILS8_3ELb0ES6_jNS0_17counting_iteratorIjlEEPS9_SE_NS0_5tupleIJPjSE_EEENSF_IJSE_SE_EEES9_SG_JZNS1_25segmented_radix_sort_implINS0_14default_configELb1EPKsPsPKlPlN2at6native12_GLOBAL__N_18offset_tEEE10hipError_tPvRmT1_PNSt15iterator_traitsISY_E10value_typeET2_T3_PNSZ_IS14_E10value_typeET4_jRbjT5_S1A_jjP12ihipStream_tbEUljE_EEESV_SW_SX_S14_S18_S1A_T6_T7_T9_mT8_S1C_bDpT10_ENKUlT_T0_E_clISt17integral_constantIbLb0EES1P_EEDaS1K_S1L_EUlS1K_E_NS1_11comp_targetILNS1_3genE2ELNS1_11target_archE906ELNS1_3gpuE6ELNS1_3repE0EEENS1_30default_config_static_selectorELNS0_4arch9wavefront6targetE0EEEvSY_.numbered_sgpr, 0
	.set _ZN7rocprim17ROCPRIM_400000_NS6detail17trampoline_kernelINS0_13select_configILj256ELj13ELNS0_17block_load_methodE3ELS4_3ELS4_3ELNS0_20block_scan_algorithmE0ELj4294967295EEENS1_25partition_config_selectorILNS1_17partition_subalgoE3EjNS0_10empty_typeEbEEZZNS1_14partition_implILS8_3ELb0ES6_jNS0_17counting_iteratorIjlEEPS9_SE_NS0_5tupleIJPjSE_EEENSF_IJSE_SE_EEES9_SG_JZNS1_25segmented_radix_sort_implINS0_14default_configELb1EPKsPsPKlPlN2at6native12_GLOBAL__N_18offset_tEEE10hipError_tPvRmT1_PNSt15iterator_traitsISY_E10value_typeET2_T3_PNSZ_IS14_E10value_typeET4_jRbjT5_S1A_jjP12ihipStream_tbEUljE_EEESV_SW_SX_S14_S18_S1A_T6_T7_T9_mT8_S1C_bDpT10_ENKUlT_T0_E_clISt17integral_constantIbLb0EES1P_EEDaS1K_S1L_EUlS1K_E_NS1_11comp_targetILNS1_3genE2ELNS1_11target_archE906ELNS1_3gpuE6ELNS1_3repE0EEENS1_30default_config_static_selectorELNS0_4arch9wavefront6targetE0EEEvSY_.num_named_barrier, 0
	.set _ZN7rocprim17ROCPRIM_400000_NS6detail17trampoline_kernelINS0_13select_configILj256ELj13ELNS0_17block_load_methodE3ELS4_3ELS4_3ELNS0_20block_scan_algorithmE0ELj4294967295EEENS1_25partition_config_selectorILNS1_17partition_subalgoE3EjNS0_10empty_typeEbEEZZNS1_14partition_implILS8_3ELb0ES6_jNS0_17counting_iteratorIjlEEPS9_SE_NS0_5tupleIJPjSE_EEENSF_IJSE_SE_EEES9_SG_JZNS1_25segmented_radix_sort_implINS0_14default_configELb1EPKsPsPKlPlN2at6native12_GLOBAL__N_18offset_tEEE10hipError_tPvRmT1_PNSt15iterator_traitsISY_E10value_typeET2_T3_PNSZ_IS14_E10value_typeET4_jRbjT5_S1A_jjP12ihipStream_tbEUljE_EEESV_SW_SX_S14_S18_S1A_T6_T7_T9_mT8_S1C_bDpT10_ENKUlT_T0_E_clISt17integral_constantIbLb0EES1P_EEDaS1K_S1L_EUlS1K_E_NS1_11comp_targetILNS1_3genE2ELNS1_11target_archE906ELNS1_3gpuE6ELNS1_3repE0EEENS1_30default_config_static_selectorELNS0_4arch9wavefront6targetE0EEEvSY_.private_seg_size, 0
	.set _ZN7rocprim17ROCPRIM_400000_NS6detail17trampoline_kernelINS0_13select_configILj256ELj13ELNS0_17block_load_methodE3ELS4_3ELS4_3ELNS0_20block_scan_algorithmE0ELj4294967295EEENS1_25partition_config_selectorILNS1_17partition_subalgoE3EjNS0_10empty_typeEbEEZZNS1_14partition_implILS8_3ELb0ES6_jNS0_17counting_iteratorIjlEEPS9_SE_NS0_5tupleIJPjSE_EEENSF_IJSE_SE_EEES9_SG_JZNS1_25segmented_radix_sort_implINS0_14default_configELb1EPKsPsPKlPlN2at6native12_GLOBAL__N_18offset_tEEE10hipError_tPvRmT1_PNSt15iterator_traitsISY_E10value_typeET2_T3_PNSZ_IS14_E10value_typeET4_jRbjT5_S1A_jjP12ihipStream_tbEUljE_EEESV_SW_SX_S14_S18_S1A_T6_T7_T9_mT8_S1C_bDpT10_ENKUlT_T0_E_clISt17integral_constantIbLb0EES1P_EEDaS1K_S1L_EUlS1K_E_NS1_11comp_targetILNS1_3genE2ELNS1_11target_archE906ELNS1_3gpuE6ELNS1_3repE0EEENS1_30default_config_static_selectorELNS0_4arch9wavefront6targetE0EEEvSY_.uses_vcc, 0
	.set _ZN7rocprim17ROCPRIM_400000_NS6detail17trampoline_kernelINS0_13select_configILj256ELj13ELNS0_17block_load_methodE3ELS4_3ELS4_3ELNS0_20block_scan_algorithmE0ELj4294967295EEENS1_25partition_config_selectorILNS1_17partition_subalgoE3EjNS0_10empty_typeEbEEZZNS1_14partition_implILS8_3ELb0ES6_jNS0_17counting_iteratorIjlEEPS9_SE_NS0_5tupleIJPjSE_EEENSF_IJSE_SE_EEES9_SG_JZNS1_25segmented_radix_sort_implINS0_14default_configELb1EPKsPsPKlPlN2at6native12_GLOBAL__N_18offset_tEEE10hipError_tPvRmT1_PNSt15iterator_traitsISY_E10value_typeET2_T3_PNSZ_IS14_E10value_typeET4_jRbjT5_S1A_jjP12ihipStream_tbEUljE_EEESV_SW_SX_S14_S18_S1A_T6_T7_T9_mT8_S1C_bDpT10_ENKUlT_T0_E_clISt17integral_constantIbLb0EES1P_EEDaS1K_S1L_EUlS1K_E_NS1_11comp_targetILNS1_3genE2ELNS1_11target_archE906ELNS1_3gpuE6ELNS1_3repE0EEENS1_30default_config_static_selectorELNS0_4arch9wavefront6targetE0EEEvSY_.uses_flat_scratch, 0
	.set _ZN7rocprim17ROCPRIM_400000_NS6detail17trampoline_kernelINS0_13select_configILj256ELj13ELNS0_17block_load_methodE3ELS4_3ELS4_3ELNS0_20block_scan_algorithmE0ELj4294967295EEENS1_25partition_config_selectorILNS1_17partition_subalgoE3EjNS0_10empty_typeEbEEZZNS1_14partition_implILS8_3ELb0ES6_jNS0_17counting_iteratorIjlEEPS9_SE_NS0_5tupleIJPjSE_EEENSF_IJSE_SE_EEES9_SG_JZNS1_25segmented_radix_sort_implINS0_14default_configELb1EPKsPsPKlPlN2at6native12_GLOBAL__N_18offset_tEEE10hipError_tPvRmT1_PNSt15iterator_traitsISY_E10value_typeET2_T3_PNSZ_IS14_E10value_typeET4_jRbjT5_S1A_jjP12ihipStream_tbEUljE_EEESV_SW_SX_S14_S18_S1A_T6_T7_T9_mT8_S1C_bDpT10_ENKUlT_T0_E_clISt17integral_constantIbLb0EES1P_EEDaS1K_S1L_EUlS1K_E_NS1_11comp_targetILNS1_3genE2ELNS1_11target_archE906ELNS1_3gpuE6ELNS1_3repE0EEENS1_30default_config_static_selectorELNS0_4arch9wavefront6targetE0EEEvSY_.has_dyn_sized_stack, 0
	.set _ZN7rocprim17ROCPRIM_400000_NS6detail17trampoline_kernelINS0_13select_configILj256ELj13ELNS0_17block_load_methodE3ELS4_3ELS4_3ELNS0_20block_scan_algorithmE0ELj4294967295EEENS1_25partition_config_selectorILNS1_17partition_subalgoE3EjNS0_10empty_typeEbEEZZNS1_14partition_implILS8_3ELb0ES6_jNS0_17counting_iteratorIjlEEPS9_SE_NS0_5tupleIJPjSE_EEENSF_IJSE_SE_EEES9_SG_JZNS1_25segmented_radix_sort_implINS0_14default_configELb1EPKsPsPKlPlN2at6native12_GLOBAL__N_18offset_tEEE10hipError_tPvRmT1_PNSt15iterator_traitsISY_E10value_typeET2_T3_PNSZ_IS14_E10value_typeET4_jRbjT5_S1A_jjP12ihipStream_tbEUljE_EEESV_SW_SX_S14_S18_S1A_T6_T7_T9_mT8_S1C_bDpT10_ENKUlT_T0_E_clISt17integral_constantIbLb0EES1P_EEDaS1K_S1L_EUlS1K_E_NS1_11comp_targetILNS1_3genE2ELNS1_11target_archE906ELNS1_3gpuE6ELNS1_3repE0EEENS1_30default_config_static_selectorELNS0_4arch9wavefront6targetE0EEEvSY_.has_recursion, 0
	.set _ZN7rocprim17ROCPRIM_400000_NS6detail17trampoline_kernelINS0_13select_configILj256ELj13ELNS0_17block_load_methodE3ELS4_3ELS4_3ELNS0_20block_scan_algorithmE0ELj4294967295EEENS1_25partition_config_selectorILNS1_17partition_subalgoE3EjNS0_10empty_typeEbEEZZNS1_14partition_implILS8_3ELb0ES6_jNS0_17counting_iteratorIjlEEPS9_SE_NS0_5tupleIJPjSE_EEENSF_IJSE_SE_EEES9_SG_JZNS1_25segmented_radix_sort_implINS0_14default_configELb1EPKsPsPKlPlN2at6native12_GLOBAL__N_18offset_tEEE10hipError_tPvRmT1_PNSt15iterator_traitsISY_E10value_typeET2_T3_PNSZ_IS14_E10value_typeET4_jRbjT5_S1A_jjP12ihipStream_tbEUljE_EEESV_SW_SX_S14_S18_S1A_T6_T7_T9_mT8_S1C_bDpT10_ENKUlT_T0_E_clISt17integral_constantIbLb0EES1P_EEDaS1K_S1L_EUlS1K_E_NS1_11comp_targetILNS1_3genE2ELNS1_11target_archE906ELNS1_3gpuE6ELNS1_3repE0EEENS1_30default_config_static_selectorELNS0_4arch9wavefront6targetE0EEEvSY_.has_indirect_call, 0
	.section	.AMDGPU.csdata,"",@progbits
; Kernel info:
; codeLenInByte = 0
; TotalNumSgprs: 0
; NumVgprs: 0
; ScratchSize: 0
; MemoryBound: 0
; FloatMode: 240
; IeeeMode: 1
; LDSByteSize: 0 bytes/workgroup (compile time only)
; SGPRBlocks: 0
; VGPRBlocks: 0
; NumSGPRsForWavesPerEU: 1
; NumVGPRsForWavesPerEU: 1
; NamedBarCnt: 0
; Occupancy: 16
; WaveLimiterHint : 0
; COMPUTE_PGM_RSRC2:SCRATCH_EN: 0
; COMPUTE_PGM_RSRC2:USER_SGPR: 2
; COMPUTE_PGM_RSRC2:TRAP_HANDLER: 0
; COMPUTE_PGM_RSRC2:TGID_X_EN: 1
; COMPUTE_PGM_RSRC2:TGID_Y_EN: 0
; COMPUTE_PGM_RSRC2:TGID_Z_EN: 0
; COMPUTE_PGM_RSRC2:TIDIG_COMP_CNT: 0
	.section	.text._ZN7rocprim17ROCPRIM_400000_NS6detail17trampoline_kernelINS0_13select_configILj256ELj13ELNS0_17block_load_methodE3ELS4_3ELS4_3ELNS0_20block_scan_algorithmE0ELj4294967295EEENS1_25partition_config_selectorILNS1_17partition_subalgoE3EjNS0_10empty_typeEbEEZZNS1_14partition_implILS8_3ELb0ES6_jNS0_17counting_iteratorIjlEEPS9_SE_NS0_5tupleIJPjSE_EEENSF_IJSE_SE_EEES9_SG_JZNS1_25segmented_radix_sort_implINS0_14default_configELb1EPKsPsPKlPlN2at6native12_GLOBAL__N_18offset_tEEE10hipError_tPvRmT1_PNSt15iterator_traitsISY_E10value_typeET2_T3_PNSZ_IS14_E10value_typeET4_jRbjT5_S1A_jjP12ihipStream_tbEUljE_EEESV_SW_SX_S14_S18_S1A_T6_T7_T9_mT8_S1C_bDpT10_ENKUlT_T0_E_clISt17integral_constantIbLb0EES1P_EEDaS1K_S1L_EUlS1K_E_NS1_11comp_targetILNS1_3genE10ELNS1_11target_archE1200ELNS1_3gpuE4ELNS1_3repE0EEENS1_30default_config_static_selectorELNS0_4arch9wavefront6targetE0EEEvSY_,"axG",@progbits,_ZN7rocprim17ROCPRIM_400000_NS6detail17trampoline_kernelINS0_13select_configILj256ELj13ELNS0_17block_load_methodE3ELS4_3ELS4_3ELNS0_20block_scan_algorithmE0ELj4294967295EEENS1_25partition_config_selectorILNS1_17partition_subalgoE3EjNS0_10empty_typeEbEEZZNS1_14partition_implILS8_3ELb0ES6_jNS0_17counting_iteratorIjlEEPS9_SE_NS0_5tupleIJPjSE_EEENSF_IJSE_SE_EEES9_SG_JZNS1_25segmented_radix_sort_implINS0_14default_configELb1EPKsPsPKlPlN2at6native12_GLOBAL__N_18offset_tEEE10hipError_tPvRmT1_PNSt15iterator_traitsISY_E10value_typeET2_T3_PNSZ_IS14_E10value_typeET4_jRbjT5_S1A_jjP12ihipStream_tbEUljE_EEESV_SW_SX_S14_S18_S1A_T6_T7_T9_mT8_S1C_bDpT10_ENKUlT_T0_E_clISt17integral_constantIbLb0EES1P_EEDaS1K_S1L_EUlS1K_E_NS1_11comp_targetILNS1_3genE10ELNS1_11target_archE1200ELNS1_3gpuE4ELNS1_3repE0EEENS1_30default_config_static_selectorELNS0_4arch9wavefront6targetE0EEEvSY_,comdat
	.globl	_ZN7rocprim17ROCPRIM_400000_NS6detail17trampoline_kernelINS0_13select_configILj256ELj13ELNS0_17block_load_methodE3ELS4_3ELS4_3ELNS0_20block_scan_algorithmE0ELj4294967295EEENS1_25partition_config_selectorILNS1_17partition_subalgoE3EjNS0_10empty_typeEbEEZZNS1_14partition_implILS8_3ELb0ES6_jNS0_17counting_iteratorIjlEEPS9_SE_NS0_5tupleIJPjSE_EEENSF_IJSE_SE_EEES9_SG_JZNS1_25segmented_radix_sort_implINS0_14default_configELb1EPKsPsPKlPlN2at6native12_GLOBAL__N_18offset_tEEE10hipError_tPvRmT1_PNSt15iterator_traitsISY_E10value_typeET2_T3_PNSZ_IS14_E10value_typeET4_jRbjT5_S1A_jjP12ihipStream_tbEUljE_EEESV_SW_SX_S14_S18_S1A_T6_T7_T9_mT8_S1C_bDpT10_ENKUlT_T0_E_clISt17integral_constantIbLb0EES1P_EEDaS1K_S1L_EUlS1K_E_NS1_11comp_targetILNS1_3genE10ELNS1_11target_archE1200ELNS1_3gpuE4ELNS1_3repE0EEENS1_30default_config_static_selectorELNS0_4arch9wavefront6targetE0EEEvSY_ ; -- Begin function _ZN7rocprim17ROCPRIM_400000_NS6detail17trampoline_kernelINS0_13select_configILj256ELj13ELNS0_17block_load_methodE3ELS4_3ELS4_3ELNS0_20block_scan_algorithmE0ELj4294967295EEENS1_25partition_config_selectorILNS1_17partition_subalgoE3EjNS0_10empty_typeEbEEZZNS1_14partition_implILS8_3ELb0ES6_jNS0_17counting_iteratorIjlEEPS9_SE_NS0_5tupleIJPjSE_EEENSF_IJSE_SE_EEES9_SG_JZNS1_25segmented_radix_sort_implINS0_14default_configELb1EPKsPsPKlPlN2at6native12_GLOBAL__N_18offset_tEEE10hipError_tPvRmT1_PNSt15iterator_traitsISY_E10value_typeET2_T3_PNSZ_IS14_E10value_typeET4_jRbjT5_S1A_jjP12ihipStream_tbEUljE_EEESV_SW_SX_S14_S18_S1A_T6_T7_T9_mT8_S1C_bDpT10_ENKUlT_T0_E_clISt17integral_constantIbLb0EES1P_EEDaS1K_S1L_EUlS1K_E_NS1_11comp_targetILNS1_3genE10ELNS1_11target_archE1200ELNS1_3gpuE4ELNS1_3repE0EEENS1_30default_config_static_selectorELNS0_4arch9wavefront6targetE0EEEvSY_
	.p2align	8
	.type	_ZN7rocprim17ROCPRIM_400000_NS6detail17trampoline_kernelINS0_13select_configILj256ELj13ELNS0_17block_load_methodE3ELS4_3ELS4_3ELNS0_20block_scan_algorithmE0ELj4294967295EEENS1_25partition_config_selectorILNS1_17partition_subalgoE3EjNS0_10empty_typeEbEEZZNS1_14partition_implILS8_3ELb0ES6_jNS0_17counting_iteratorIjlEEPS9_SE_NS0_5tupleIJPjSE_EEENSF_IJSE_SE_EEES9_SG_JZNS1_25segmented_radix_sort_implINS0_14default_configELb1EPKsPsPKlPlN2at6native12_GLOBAL__N_18offset_tEEE10hipError_tPvRmT1_PNSt15iterator_traitsISY_E10value_typeET2_T3_PNSZ_IS14_E10value_typeET4_jRbjT5_S1A_jjP12ihipStream_tbEUljE_EEESV_SW_SX_S14_S18_S1A_T6_T7_T9_mT8_S1C_bDpT10_ENKUlT_T0_E_clISt17integral_constantIbLb0EES1P_EEDaS1K_S1L_EUlS1K_E_NS1_11comp_targetILNS1_3genE10ELNS1_11target_archE1200ELNS1_3gpuE4ELNS1_3repE0EEENS1_30default_config_static_selectorELNS0_4arch9wavefront6targetE0EEEvSY_,@function
_ZN7rocprim17ROCPRIM_400000_NS6detail17trampoline_kernelINS0_13select_configILj256ELj13ELNS0_17block_load_methodE3ELS4_3ELS4_3ELNS0_20block_scan_algorithmE0ELj4294967295EEENS1_25partition_config_selectorILNS1_17partition_subalgoE3EjNS0_10empty_typeEbEEZZNS1_14partition_implILS8_3ELb0ES6_jNS0_17counting_iteratorIjlEEPS9_SE_NS0_5tupleIJPjSE_EEENSF_IJSE_SE_EEES9_SG_JZNS1_25segmented_radix_sort_implINS0_14default_configELb1EPKsPsPKlPlN2at6native12_GLOBAL__N_18offset_tEEE10hipError_tPvRmT1_PNSt15iterator_traitsISY_E10value_typeET2_T3_PNSZ_IS14_E10value_typeET4_jRbjT5_S1A_jjP12ihipStream_tbEUljE_EEESV_SW_SX_S14_S18_S1A_T6_T7_T9_mT8_S1C_bDpT10_ENKUlT_T0_E_clISt17integral_constantIbLb0EES1P_EEDaS1K_S1L_EUlS1K_E_NS1_11comp_targetILNS1_3genE10ELNS1_11target_archE1200ELNS1_3gpuE4ELNS1_3repE0EEENS1_30default_config_static_selectorELNS0_4arch9wavefront6targetE0EEEvSY_: ; @_ZN7rocprim17ROCPRIM_400000_NS6detail17trampoline_kernelINS0_13select_configILj256ELj13ELNS0_17block_load_methodE3ELS4_3ELS4_3ELNS0_20block_scan_algorithmE0ELj4294967295EEENS1_25partition_config_selectorILNS1_17partition_subalgoE3EjNS0_10empty_typeEbEEZZNS1_14partition_implILS8_3ELb0ES6_jNS0_17counting_iteratorIjlEEPS9_SE_NS0_5tupleIJPjSE_EEENSF_IJSE_SE_EEES9_SG_JZNS1_25segmented_radix_sort_implINS0_14default_configELb1EPKsPsPKlPlN2at6native12_GLOBAL__N_18offset_tEEE10hipError_tPvRmT1_PNSt15iterator_traitsISY_E10value_typeET2_T3_PNSZ_IS14_E10value_typeET4_jRbjT5_S1A_jjP12ihipStream_tbEUljE_EEESV_SW_SX_S14_S18_S1A_T6_T7_T9_mT8_S1C_bDpT10_ENKUlT_T0_E_clISt17integral_constantIbLb0EES1P_EEDaS1K_S1L_EUlS1K_E_NS1_11comp_targetILNS1_3genE10ELNS1_11target_archE1200ELNS1_3gpuE4ELNS1_3repE0EEENS1_30default_config_static_selectorELNS0_4arch9wavefront6targetE0EEEvSY_
; %bb.0:
	.section	.rodata,"a",@progbits
	.p2align	6, 0x0
	.amdhsa_kernel _ZN7rocprim17ROCPRIM_400000_NS6detail17trampoline_kernelINS0_13select_configILj256ELj13ELNS0_17block_load_methodE3ELS4_3ELS4_3ELNS0_20block_scan_algorithmE0ELj4294967295EEENS1_25partition_config_selectorILNS1_17partition_subalgoE3EjNS0_10empty_typeEbEEZZNS1_14partition_implILS8_3ELb0ES6_jNS0_17counting_iteratorIjlEEPS9_SE_NS0_5tupleIJPjSE_EEENSF_IJSE_SE_EEES9_SG_JZNS1_25segmented_radix_sort_implINS0_14default_configELb1EPKsPsPKlPlN2at6native12_GLOBAL__N_18offset_tEEE10hipError_tPvRmT1_PNSt15iterator_traitsISY_E10value_typeET2_T3_PNSZ_IS14_E10value_typeET4_jRbjT5_S1A_jjP12ihipStream_tbEUljE_EEESV_SW_SX_S14_S18_S1A_T6_T7_T9_mT8_S1C_bDpT10_ENKUlT_T0_E_clISt17integral_constantIbLb0EES1P_EEDaS1K_S1L_EUlS1K_E_NS1_11comp_targetILNS1_3genE10ELNS1_11target_archE1200ELNS1_3gpuE4ELNS1_3repE0EEENS1_30default_config_static_selectorELNS0_4arch9wavefront6targetE0EEEvSY_
		.amdhsa_group_segment_fixed_size 0
		.amdhsa_private_segment_fixed_size 0
		.amdhsa_kernarg_size 144
		.amdhsa_user_sgpr_count 2
		.amdhsa_user_sgpr_dispatch_ptr 0
		.amdhsa_user_sgpr_queue_ptr 0
		.amdhsa_user_sgpr_kernarg_segment_ptr 1
		.amdhsa_user_sgpr_dispatch_id 0
		.amdhsa_user_sgpr_kernarg_preload_length 0
		.amdhsa_user_sgpr_kernarg_preload_offset 0
		.amdhsa_user_sgpr_private_segment_size 0
		.amdhsa_wavefront_size32 1
		.amdhsa_uses_dynamic_stack 0
		.amdhsa_enable_private_segment 0
		.amdhsa_system_sgpr_workgroup_id_x 1
		.amdhsa_system_sgpr_workgroup_id_y 0
		.amdhsa_system_sgpr_workgroup_id_z 0
		.amdhsa_system_sgpr_workgroup_info 0
		.amdhsa_system_vgpr_workitem_id 0
		.amdhsa_next_free_vgpr 1
		.amdhsa_next_free_sgpr 1
		.amdhsa_named_barrier_count 0
		.amdhsa_reserve_vcc 0
		.amdhsa_float_round_mode_32 0
		.amdhsa_float_round_mode_16_64 0
		.amdhsa_float_denorm_mode_32 3
		.amdhsa_float_denorm_mode_16_64 3
		.amdhsa_fp16_overflow 0
		.amdhsa_memory_ordered 1
		.amdhsa_forward_progress 1
		.amdhsa_inst_pref_size 0
		.amdhsa_round_robin_scheduling 0
		.amdhsa_exception_fp_ieee_invalid_op 0
		.amdhsa_exception_fp_denorm_src 0
		.amdhsa_exception_fp_ieee_div_zero 0
		.amdhsa_exception_fp_ieee_overflow 0
		.amdhsa_exception_fp_ieee_underflow 0
		.amdhsa_exception_fp_ieee_inexact 0
		.amdhsa_exception_int_div_zero 0
	.end_amdhsa_kernel
	.section	.text._ZN7rocprim17ROCPRIM_400000_NS6detail17trampoline_kernelINS0_13select_configILj256ELj13ELNS0_17block_load_methodE3ELS4_3ELS4_3ELNS0_20block_scan_algorithmE0ELj4294967295EEENS1_25partition_config_selectorILNS1_17partition_subalgoE3EjNS0_10empty_typeEbEEZZNS1_14partition_implILS8_3ELb0ES6_jNS0_17counting_iteratorIjlEEPS9_SE_NS0_5tupleIJPjSE_EEENSF_IJSE_SE_EEES9_SG_JZNS1_25segmented_radix_sort_implINS0_14default_configELb1EPKsPsPKlPlN2at6native12_GLOBAL__N_18offset_tEEE10hipError_tPvRmT1_PNSt15iterator_traitsISY_E10value_typeET2_T3_PNSZ_IS14_E10value_typeET4_jRbjT5_S1A_jjP12ihipStream_tbEUljE_EEESV_SW_SX_S14_S18_S1A_T6_T7_T9_mT8_S1C_bDpT10_ENKUlT_T0_E_clISt17integral_constantIbLb0EES1P_EEDaS1K_S1L_EUlS1K_E_NS1_11comp_targetILNS1_3genE10ELNS1_11target_archE1200ELNS1_3gpuE4ELNS1_3repE0EEENS1_30default_config_static_selectorELNS0_4arch9wavefront6targetE0EEEvSY_,"axG",@progbits,_ZN7rocprim17ROCPRIM_400000_NS6detail17trampoline_kernelINS0_13select_configILj256ELj13ELNS0_17block_load_methodE3ELS4_3ELS4_3ELNS0_20block_scan_algorithmE0ELj4294967295EEENS1_25partition_config_selectorILNS1_17partition_subalgoE3EjNS0_10empty_typeEbEEZZNS1_14partition_implILS8_3ELb0ES6_jNS0_17counting_iteratorIjlEEPS9_SE_NS0_5tupleIJPjSE_EEENSF_IJSE_SE_EEES9_SG_JZNS1_25segmented_radix_sort_implINS0_14default_configELb1EPKsPsPKlPlN2at6native12_GLOBAL__N_18offset_tEEE10hipError_tPvRmT1_PNSt15iterator_traitsISY_E10value_typeET2_T3_PNSZ_IS14_E10value_typeET4_jRbjT5_S1A_jjP12ihipStream_tbEUljE_EEESV_SW_SX_S14_S18_S1A_T6_T7_T9_mT8_S1C_bDpT10_ENKUlT_T0_E_clISt17integral_constantIbLb0EES1P_EEDaS1K_S1L_EUlS1K_E_NS1_11comp_targetILNS1_3genE10ELNS1_11target_archE1200ELNS1_3gpuE4ELNS1_3repE0EEENS1_30default_config_static_selectorELNS0_4arch9wavefront6targetE0EEEvSY_,comdat
.Lfunc_end880:
	.size	_ZN7rocprim17ROCPRIM_400000_NS6detail17trampoline_kernelINS0_13select_configILj256ELj13ELNS0_17block_load_methodE3ELS4_3ELS4_3ELNS0_20block_scan_algorithmE0ELj4294967295EEENS1_25partition_config_selectorILNS1_17partition_subalgoE3EjNS0_10empty_typeEbEEZZNS1_14partition_implILS8_3ELb0ES6_jNS0_17counting_iteratorIjlEEPS9_SE_NS0_5tupleIJPjSE_EEENSF_IJSE_SE_EEES9_SG_JZNS1_25segmented_radix_sort_implINS0_14default_configELb1EPKsPsPKlPlN2at6native12_GLOBAL__N_18offset_tEEE10hipError_tPvRmT1_PNSt15iterator_traitsISY_E10value_typeET2_T3_PNSZ_IS14_E10value_typeET4_jRbjT5_S1A_jjP12ihipStream_tbEUljE_EEESV_SW_SX_S14_S18_S1A_T6_T7_T9_mT8_S1C_bDpT10_ENKUlT_T0_E_clISt17integral_constantIbLb0EES1P_EEDaS1K_S1L_EUlS1K_E_NS1_11comp_targetILNS1_3genE10ELNS1_11target_archE1200ELNS1_3gpuE4ELNS1_3repE0EEENS1_30default_config_static_selectorELNS0_4arch9wavefront6targetE0EEEvSY_, .Lfunc_end880-_ZN7rocprim17ROCPRIM_400000_NS6detail17trampoline_kernelINS0_13select_configILj256ELj13ELNS0_17block_load_methodE3ELS4_3ELS4_3ELNS0_20block_scan_algorithmE0ELj4294967295EEENS1_25partition_config_selectorILNS1_17partition_subalgoE3EjNS0_10empty_typeEbEEZZNS1_14partition_implILS8_3ELb0ES6_jNS0_17counting_iteratorIjlEEPS9_SE_NS0_5tupleIJPjSE_EEENSF_IJSE_SE_EEES9_SG_JZNS1_25segmented_radix_sort_implINS0_14default_configELb1EPKsPsPKlPlN2at6native12_GLOBAL__N_18offset_tEEE10hipError_tPvRmT1_PNSt15iterator_traitsISY_E10value_typeET2_T3_PNSZ_IS14_E10value_typeET4_jRbjT5_S1A_jjP12ihipStream_tbEUljE_EEESV_SW_SX_S14_S18_S1A_T6_T7_T9_mT8_S1C_bDpT10_ENKUlT_T0_E_clISt17integral_constantIbLb0EES1P_EEDaS1K_S1L_EUlS1K_E_NS1_11comp_targetILNS1_3genE10ELNS1_11target_archE1200ELNS1_3gpuE4ELNS1_3repE0EEENS1_30default_config_static_selectorELNS0_4arch9wavefront6targetE0EEEvSY_
                                        ; -- End function
	.set _ZN7rocprim17ROCPRIM_400000_NS6detail17trampoline_kernelINS0_13select_configILj256ELj13ELNS0_17block_load_methodE3ELS4_3ELS4_3ELNS0_20block_scan_algorithmE0ELj4294967295EEENS1_25partition_config_selectorILNS1_17partition_subalgoE3EjNS0_10empty_typeEbEEZZNS1_14partition_implILS8_3ELb0ES6_jNS0_17counting_iteratorIjlEEPS9_SE_NS0_5tupleIJPjSE_EEENSF_IJSE_SE_EEES9_SG_JZNS1_25segmented_radix_sort_implINS0_14default_configELb1EPKsPsPKlPlN2at6native12_GLOBAL__N_18offset_tEEE10hipError_tPvRmT1_PNSt15iterator_traitsISY_E10value_typeET2_T3_PNSZ_IS14_E10value_typeET4_jRbjT5_S1A_jjP12ihipStream_tbEUljE_EEESV_SW_SX_S14_S18_S1A_T6_T7_T9_mT8_S1C_bDpT10_ENKUlT_T0_E_clISt17integral_constantIbLb0EES1P_EEDaS1K_S1L_EUlS1K_E_NS1_11comp_targetILNS1_3genE10ELNS1_11target_archE1200ELNS1_3gpuE4ELNS1_3repE0EEENS1_30default_config_static_selectorELNS0_4arch9wavefront6targetE0EEEvSY_.num_vgpr, 0
	.set _ZN7rocprim17ROCPRIM_400000_NS6detail17trampoline_kernelINS0_13select_configILj256ELj13ELNS0_17block_load_methodE3ELS4_3ELS4_3ELNS0_20block_scan_algorithmE0ELj4294967295EEENS1_25partition_config_selectorILNS1_17partition_subalgoE3EjNS0_10empty_typeEbEEZZNS1_14partition_implILS8_3ELb0ES6_jNS0_17counting_iteratorIjlEEPS9_SE_NS0_5tupleIJPjSE_EEENSF_IJSE_SE_EEES9_SG_JZNS1_25segmented_radix_sort_implINS0_14default_configELb1EPKsPsPKlPlN2at6native12_GLOBAL__N_18offset_tEEE10hipError_tPvRmT1_PNSt15iterator_traitsISY_E10value_typeET2_T3_PNSZ_IS14_E10value_typeET4_jRbjT5_S1A_jjP12ihipStream_tbEUljE_EEESV_SW_SX_S14_S18_S1A_T6_T7_T9_mT8_S1C_bDpT10_ENKUlT_T0_E_clISt17integral_constantIbLb0EES1P_EEDaS1K_S1L_EUlS1K_E_NS1_11comp_targetILNS1_3genE10ELNS1_11target_archE1200ELNS1_3gpuE4ELNS1_3repE0EEENS1_30default_config_static_selectorELNS0_4arch9wavefront6targetE0EEEvSY_.num_agpr, 0
	.set _ZN7rocprim17ROCPRIM_400000_NS6detail17trampoline_kernelINS0_13select_configILj256ELj13ELNS0_17block_load_methodE3ELS4_3ELS4_3ELNS0_20block_scan_algorithmE0ELj4294967295EEENS1_25partition_config_selectorILNS1_17partition_subalgoE3EjNS0_10empty_typeEbEEZZNS1_14partition_implILS8_3ELb0ES6_jNS0_17counting_iteratorIjlEEPS9_SE_NS0_5tupleIJPjSE_EEENSF_IJSE_SE_EEES9_SG_JZNS1_25segmented_radix_sort_implINS0_14default_configELb1EPKsPsPKlPlN2at6native12_GLOBAL__N_18offset_tEEE10hipError_tPvRmT1_PNSt15iterator_traitsISY_E10value_typeET2_T3_PNSZ_IS14_E10value_typeET4_jRbjT5_S1A_jjP12ihipStream_tbEUljE_EEESV_SW_SX_S14_S18_S1A_T6_T7_T9_mT8_S1C_bDpT10_ENKUlT_T0_E_clISt17integral_constantIbLb0EES1P_EEDaS1K_S1L_EUlS1K_E_NS1_11comp_targetILNS1_3genE10ELNS1_11target_archE1200ELNS1_3gpuE4ELNS1_3repE0EEENS1_30default_config_static_selectorELNS0_4arch9wavefront6targetE0EEEvSY_.numbered_sgpr, 0
	.set _ZN7rocprim17ROCPRIM_400000_NS6detail17trampoline_kernelINS0_13select_configILj256ELj13ELNS0_17block_load_methodE3ELS4_3ELS4_3ELNS0_20block_scan_algorithmE0ELj4294967295EEENS1_25partition_config_selectorILNS1_17partition_subalgoE3EjNS0_10empty_typeEbEEZZNS1_14partition_implILS8_3ELb0ES6_jNS0_17counting_iteratorIjlEEPS9_SE_NS0_5tupleIJPjSE_EEENSF_IJSE_SE_EEES9_SG_JZNS1_25segmented_radix_sort_implINS0_14default_configELb1EPKsPsPKlPlN2at6native12_GLOBAL__N_18offset_tEEE10hipError_tPvRmT1_PNSt15iterator_traitsISY_E10value_typeET2_T3_PNSZ_IS14_E10value_typeET4_jRbjT5_S1A_jjP12ihipStream_tbEUljE_EEESV_SW_SX_S14_S18_S1A_T6_T7_T9_mT8_S1C_bDpT10_ENKUlT_T0_E_clISt17integral_constantIbLb0EES1P_EEDaS1K_S1L_EUlS1K_E_NS1_11comp_targetILNS1_3genE10ELNS1_11target_archE1200ELNS1_3gpuE4ELNS1_3repE0EEENS1_30default_config_static_selectorELNS0_4arch9wavefront6targetE0EEEvSY_.num_named_barrier, 0
	.set _ZN7rocprim17ROCPRIM_400000_NS6detail17trampoline_kernelINS0_13select_configILj256ELj13ELNS0_17block_load_methodE3ELS4_3ELS4_3ELNS0_20block_scan_algorithmE0ELj4294967295EEENS1_25partition_config_selectorILNS1_17partition_subalgoE3EjNS0_10empty_typeEbEEZZNS1_14partition_implILS8_3ELb0ES6_jNS0_17counting_iteratorIjlEEPS9_SE_NS0_5tupleIJPjSE_EEENSF_IJSE_SE_EEES9_SG_JZNS1_25segmented_radix_sort_implINS0_14default_configELb1EPKsPsPKlPlN2at6native12_GLOBAL__N_18offset_tEEE10hipError_tPvRmT1_PNSt15iterator_traitsISY_E10value_typeET2_T3_PNSZ_IS14_E10value_typeET4_jRbjT5_S1A_jjP12ihipStream_tbEUljE_EEESV_SW_SX_S14_S18_S1A_T6_T7_T9_mT8_S1C_bDpT10_ENKUlT_T0_E_clISt17integral_constantIbLb0EES1P_EEDaS1K_S1L_EUlS1K_E_NS1_11comp_targetILNS1_3genE10ELNS1_11target_archE1200ELNS1_3gpuE4ELNS1_3repE0EEENS1_30default_config_static_selectorELNS0_4arch9wavefront6targetE0EEEvSY_.private_seg_size, 0
	.set _ZN7rocprim17ROCPRIM_400000_NS6detail17trampoline_kernelINS0_13select_configILj256ELj13ELNS0_17block_load_methodE3ELS4_3ELS4_3ELNS0_20block_scan_algorithmE0ELj4294967295EEENS1_25partition_config_selectorILNS1_17partition_subalgoE3EjNS0_10empty_typeEbEEZZNS1_14partition_implILS8_3ELb0ES6_jNS0_17counting_iteratorIjlEEPS9_SE_NS0_5tupleIJPjSE_EEENSF_IJSE_SE_EEES9_SG_JZNS1_25segmented_radix_sort_implINS0_14default_configELb1EPKsPsPKlPlN2at6native12_GLOBAL__N_18offset_tEEE10hipError_tPvRmT1_PNSt15iterator_traitsISY_E10value_typeET2_T3_PNSZ_IS14_E10value_typeET4_jRbjT5_S1A_jjP12ihipStream_tbEUljE_EEESV_SW_SX_S14_S18_S1A_T6_T7_T9_mT8_S1C_bDpT10_ENKUlT_T0_E_clISt17integral_constantIbLb0EES1P_EEDaS1K_S1L_EUlS1K_E_NS1_11comp_targetILNS1_3genE10ELNS1_11target_archE1200ELNS1_3gpuE4ELNS1_3repE0EEENS1_30default_config_static_selectorELNS0_4arch9wavefront6targetE0EEEvSY_.uses_vcc, 0
	.set _ZN7rocprim17ROCPRIM_400000_NS6detail17trampoline_kernelINS0_13select_configILj256ELj13ELNS0_17block_load_methodE3ELS4_3ELS4_3ELNS0_20block_scan_algorithmE0ELj4294967295EEENS1_25partition_config_selectorILNS1_17partition_subalgoE3EjNS0_10empty_typeEbEEZZNS1_14partition_implILS8_3ELb0ES6_jNS0_17counting_iteratorIjlEEPS9_SE_NS0_5tupleIJPjSE_EEENSF_IJSE_SE_EEES9_SG_JZNS1_25segmented_radix_sort_implINS0_14default_configELb1EPKsPsPKlPlN2at6native12_GLOBAL__N_18offset_tEEE10hipError_tPvRmT1_PNSt15iterator_traitsISY_E10value_typeET2_T3_PNSZ_IS14_E10value_typeET4_jRbjT5_S1A_jjP12ihipStream_tbEUljE_EEESV_SW_SX_S14_S18_S1A_T6_T7_T9_mT8_S1C_bDpT10_ENKUlT_T0_E_clISt17integral_constantIbLb0EES1P_EEDaS1K_S1L_EUlS1K_E_NS1_11comp_targetILNS1_3genE10ELNS1_11target_archE1200ELNS1_3gpuE4ELNS1_3repE0EEENS1_30default_config_static_selectorELNS0_4arch9wavefront6targetE0EEEvSY_.uses_flat_scratch, 0
	.set _ZN7rocprim17ROCPRIM_400000_NS6detail17trampoline_kernelINS0_13select_configILj256ELj13ELNS0_17block_load_methodE3ELS4_3ELS4_3ELNS0_20block_scan_algorithmE0ELj4294967295EEENS1_25partition_config_selectorILNS1_17partition_subalgoE3EjNS0_10empty_typeEbEEZZNS1_14partition_implILS8_3ELb0ES6_jNS0_17counting_iteratorIjlEEPS9_SE_NS0_5tupleIJPjSE_EEENSF_IJSE_SE_EEES9_SG_JZNS1_25segmented_radix_sort_implINS0_14default_configELb1EPKsPsPKlPlN2at6native12_GLOBAL__N_18offset_tEEE10hipError_tPvRmT1_PNSt15iterator_traitsISY_E10value_typeET2_T3_PNSZ_IS14_E10value_typeET4_jRbjT5_S1A_jjP12ihipStream_tbEUljE_EEESV_SW_SX_S14_S18_S1A_T6_T7_T9_mT8_S1C_bDpT10_ENKUlT_T0_E_clISt17integral_constantIbLb0EES1P_EEDaS1K_S1L_EUlS1K_E_NS1_11comp_targetILNS1_3genE10ELNS1_11target_archE1200ELNS1_3gpuE4ELNS1_3repE0EEENS1_30default_config_static_selectorELNS0_4arch9wavefront6targetE0EEEvSY_.has_dyn_sized_stack, 0
	.set _ZN7rocprim17ROCPRIM_400000_NS6detail17trampoline_kernelINS0_13select_configILj256ELj13ELNS0_17block_load_methodE3ELS4_3ELS4_3ELNS0_20block_scan_algorithmE0ELj4294967295EEENS1_25partition_config_selectorILNS1_17partition_subalgoE3EjNS0_10empty_typeEbEEZZNS1_14partition_implILS8_3ELb0ES6_jNS0_17counting_iteratorIjlEEPS9_SE_NS0_5tupleIJPjSE_EEENSF_IJSE_SE_EEES9_SG_JZNS1_25segmented_radix_sort_implINS0_14default_configELb1EPKsPsPKlPlN2at6native12_GLOBAL__N_18offset_tEEE10hipError_tPvRmT1_PNSt15iterator_traitsISY_E10value_typeET2_T3_PNSZ_IS14_E10value_typeET4_jRbjT5_S1A_jjP12ihipStream_tbEUljE_EEESV_SW_SX_S14_S18_S1A_T6_T7_T9_mT8_S1C_bDpT10_ENKUlT_T0_E_clISt17integral_constantIbLb0EES1P_EEDaS1K_S1L_EUlS1K_E_NS1_11comp_targetILNS1_3genE10ELNS1_11target_archE1200ELNS1_3gpuE4ELNS1_3repE0EEENS1_30default_config_static_selectorELNS0_4arch9wavefront6targetE0EEEvSY_.has_recursion, 0
	.set _ZN7rocprim17ROCPRIM_400000_NS6detail17trampoline_kernelINS0_13select_configILj256ELj13ELNS0_17block_load_methodE3ELS4_3ELS4_3ELNS0_20block_scan_algorithmE0ELj4294967295EEENS1_25partition_config_selectorILNS1_17partition_subalgoE3EjNS0_10empty_typeEbEEZZNS1_14partition_implILS8_3ELb0ES6_jNS0_17counting_iteratorIjlEEPS9_SE_NS0_5tupleIJPjSE_EEENSF_IJSE_SE_EEES9_SG_JZNS1_25segmented_radix_sort_implINS0_14default_configELb1EPKsPsPKlPlN2at6native12_GLOBAL__N_18offset_tEEE10hipError_tPvRmT1_PNSt15iterator_traitsISY_E10value_typeET2_T3_PNSZ_IS14_E10value_typeET4_jRbjT5_S1A_jjP12ihipStream_tbEUljE_EEESV_SW_SX_S14_S18_S1A_T6_T7_T9_mT8_S1C_bDpT10_ENKUlT_T0_E_clISt17integral_constantIbLb0EES1P_EEDaS1K_S1L_EUlS1K_E_NS1_11comp_targetILNS1_3genE10ELNS1_11target_archE1200ELNS1_3gpuE4ELNS1_3repE0EEENS1_30default_config_static_selectorELNS0_4arch9wavefront6targetE0EEEvSY_.has_indirect_call, 0
	.section	.AMDGPU.csdata,"",@progbits
; Kernel info:
; codeLenInByte = 0
; TotalNumSgprs: 0
; NumVgprs: 0
; ScratchSize: 0
; MemoryBound: 0
; FloatMode: 240
; IeeeMode: 1
; LDSByteSize: 0 bytes/workgroup (compile time only)
; SGPRBlocks: 0
; VGPRBlocks: 0
; NumSGPRsForWavesPerEU: 1
; NumVGPRsForWavesPerEU: 1
; NamedBarCnt: 0
; Occupancy: 16
; WaveLimiterHint : 0
; COMPUTE_PGM_RSRC2:SCRATCH_EN: 0
; COMPUTE_PGM_RSRC2:USER_SGPR: 2
; COMPUTE_PGM_RSRC2:TRAP_HANDLER: 0
; COMPUTE_PGM_RSRC2:TGID_X_EN: 1
; COMPUTE_PGM_RSRC2:TGID_Y_EN: 0
; COMPUTE_PGM_RSRC2:TGID_Z_EN: 0
; COMPUTE_PGM_RSRC2:TIDIG_COMP_CNT: 0
	.section	.text._ZN7rocprim17ROCPRIM_400000_NS6detail17trampoline_kernelINS0_13select_configILj256ELj13ELNS0_17block_load_methodE3ELS4_3ELS4_3ELNS0_20block_scan_algorithmE0ELj4294967295EEENS1_25partition_config_selectorILNS1_17partition_subalgoE3EjNS0_10empty_typeEbEEZZNS1_14partition_implILS8_3ELb0ES6_jNS0_17counting_iteratorIjlEEPS9_SE_NS0_5tupleIJPjSE_EEENSF_IJSE_SE_EEES9_SG_JZNS1_25segmented_radix_sort_implINS0_14default_configELb1EPKsPsPKlPlN2at6native12_GLOBAL__N_18offset_tEEE10hipError_tPvRmT1_PNSt15iterator_traitsISY_E10value_typeET2_T3_PNSZ_IS14_E10value_typeET4_jRbjT5_S1A_jjP12ihipStream_tbEUljE_EEESV_SW_SX_S14_S18_S1A_T6_T7_T9_mT8_S1C_bDpT10_ENKUlT_T0_E_clISt17integral_constantIbLb0EES1P_EEDaS1K_S1L_EUlS1K_E_NS1_11comp_targetILNS1_3genE9ELNS1_11target_archE1100ELNS1_3gpuE3ELNS1_3repE0EEENS1_30default_config_static_selectorELNS0_4arch9wavefront6targetE0EEEvSY_,"axG",@progbits,_ZN7rocprim17ROCPRIM_400000_NS6detail17trampoline_kernelINS0_13select_configILj256ELj13ELNS0_17block_load_methodE3ELS4_3ELS4_3ELNS0_20block_scan_algorithmE0ELj4294967295EEENS1_25partition_config_selectorILNS1_17partition_subalgoE3EjNS0_10empty_typeEbEEZZNS1_14partition_implILS8_3ELb0ES6_jNS0_17counting_iteratorIjlEEPS9_SE_NS0_5tupleIJPjSE_EEENSF_IJSE_SE_EEES9_SG_JZNS1_25segmented_radix_sort_implINS0_14default_configELb1EPKsPsPKlPlN2at6native12_GLOBAL__N_18offset_tEEE10hipError_tPvRmT1_PNSt15iterator_traitsISY_E10value_typeET2_T3_PNSZ_IS14_E10value_typeET4_jRbjT5_S1A_jjP12ihipStream_tbEUljE_EEESV_SW_SX_S14_S18_S1A_T6_T7_T9_mT8_S1C_bDpT10_ENKUlT_T0_E_clISt17integral_constantIbLb0EES1P_EEDaS1K_S1L_EUlS1K_E_NS1_11comp_targetILNS1_3genE9ELNS1_11target_archE1100ELNS1_3gpuE3ELNS1_3repE0EEENS1_30default_config_static_selectorELNS0_4arch9wavefront6targetE0EEEvSY_,comdat
	.globl	_ZN7rocprim17ROCPRIM_400000_NS6detail17trampoline_kernelINS0_13select_configILj256ELj13ELNS0_17block_load_methodE3ELS4_3ELS4_3ELNS0_20block_scan_algorithmE0ELj4294967295EEENS1_25partition_config_selectorILNS1_17partition_subalgoE3EjNS0_10empty_typeEbEEZZNS1_14partition_implILS8_3ELb0ES6_jNS0_17counting_iteratorIjlEEPS9_SE_NS0_5tupleIJPjSE_EEENSF_IJSE_SE_EEES9_SG_JZNS1_25segmented_radix_sort_implINS0_14default_configELb1EPKsPsPKlPlN2at6native12_GLOBAL__N_18offset_tEEE10hipError_tPvRmT1_PNSt15iterator_traitsISY_E10value_typeET2_T3_PNSZ_IS14_E10value_typeET4_jRbjT5_S1A_jjP12ihipStream_tbEUljE_EEESV_SW_SX_S14_S18_S1A_T6_T7_T9_mT8_S1C_bDpT10_ENKUlT_T0_E_clISt17integral_constantIbLb0EES1P_EEDaS1K_S1L_EUlS1K_E_NS1_11comp_targetILNS1_3genE9ELNS1_11target_archE1100ELNS1_3gpuE3ELNS1_3repE0EEENS1_30default_config_static_selectorELNS0_4arch9wavefront6targetE0EEEvSY_ ; -- Begin function _ZN7rocprim17ROCPRIM_400000_NS6detail17trampoline_kernelINS0_13select_configILj256ELj13ELNS0_17block_load_methodE3ELS4_3ELS4_3ELNS0_20block_scan_algorithmE0ELj4294967295EEENS1_25partition_config_selectorILNS1_17partition_subalgoE3EjNS0_10empty_typeEbEEZZNS1_14partition_implILS8_3ELb0ES6_jNS0_17counting_iteratorIjlEEPS9_SE_NS0_5tupleIJPjSE_EEENSF_IJSE_SE_EEES9_SG_JZNS1_25segmented_radix_sort_implINS0_14default_configELb1EPKsPsPKlPlN2at6native12_GLOBAL__N_18offset_tEEE10hipError_tPvRmT1_PNSt15iterator_traitsISY_E10value_typeET2_T3_PNSZ_IS14_E10value_typeET4_jRbjT5_S1A_jjP12ihipStream_tbEUljE_EEESV_SW_SX_S14_S18_S1A_T6_T7_T9_mT8_S1C_bDpT10_ENKUlT_T0_E_clISt17integral_constantIbLb0EES1P_EEDaS1K_S1L_EUlS1K_E_NS1_11comp_targetILNS1_3genE9ELNS1_11target_archE1100ELNS1_3gpuE3ELNS1_3repE0EEENS1_30default_config_static_selectorELNS0_4arch9wavefront6targetE0EEEvSY_
	.p2align	8
	.type	_ZN7rocprim17ROCPRIM_400000_NS6detail17trampoline_kernelINS0_13select_configILj256ELj13ELNS0_17block_load_methodE3ELS4_3ELS4_3ELNS0_20block_scan_algorithmE0ELj4294967295EEENS1_25partition_config_selectorILNS1_17partition_subalgoE3EjNS0_10empty_typeEbEEZZNS1_14partition_implILS8_3ELb0ES6_jNS0_17counting_iteratorIjlEEPS9_SE_NS0_5tupleIJPjSE_EEENSF_IJSE_SE_EEES9_SG_JZNS1_25segmented_radix_sort_implINS0_14default_configELb1EPKsPsPKlPlN2at6native12_GLOBAL__N_18offset_tEEE10hipError_tPvRmT1_PNSt15iterator_traitsISY_E10value_typeET2_T3_PNSZ_IS14_E10value_typeET4_jRbjT5_S1A_jjP12ihipStream_tbEUljE_EEESV_SW_SX_S14_S18_S1A_T6_T7_T9_mT8_S1C_bDpT10_ENKUlT_T0_E_clISt17integral_constantIbLb0EES1P_EEDaS1K_S1L_EUlS1K_E_NS1_11comp_targetILNS1_3genE9ELNS1_11target_archE1100ELNS1_3gpuE3ELNS1_3repE0EEENS1_30default_config_static_selectorELNS0_4arch9wavefront6targetE0EEEvSY_,@function
_ZN7rocprim17ROCPRIM_400000_NS6detail17trampoline_kernelINS0_13select_configILj256ELj13ELNS0_17block_load_methodE3ELS4_3ELS4_3ELNS0_20block_scan_algorithmE0ELj4294967295EEENS1_25partition_config_selectorILNS1_17partition_subalgoE3EjNS0_10empty_typeEbEEZZNS1_14partition_implILS8_3ELb0ES6_jNS0_17counting_iteratorIjlEEPS9_SE_NS0_5tupleIJPjSE_EEENSF_IJSE_SE_EEES9_SG_JZNS1_25segmented_radix_sort_implINS0_14default_configELb1EPKsPsPKlPlN2at6native12_GLOBAL__N_18offset_tEEE10hipError_tPvRmT1_PNSt15iterator_traitsISY_E10value_typeET2_T3_PNSZ_IS14_E10value_typeET4_jRbjT5_S1A_jjP12ihipStream_tbEUljE_EEESV_SW_SX_S14_S18_S1A_T6_T7_T9_mT8_S1C_bDpT10_ENKUlT_T0_E_clISt17integral_constantIbLb0EES1P_EEDaS1K_S1L_EUlS1K_E_NS1_11comp_targetILNS1_3genE9ELNS1_11target_archE1100ELNS1_3gpuE3ELNS1_3repE0EEENS1_30default_config_static_selectorELNS0_4arch9wavefront6targetE0EEEvSY_: ; @_ZN7rocprim17ROCPRIM_400000_NS6detail17trampoline_kernelINS0_13select_configILj256ELj13ELNS0_17block_load_methodE3ELS4_3ELS4_3ELNS0_20block_scan_algorithmE0ELj4294967295EEENS1_25partition_config_selectorILNS1_17partition_subalgoE3EjNS0_10empty_typeEbEEZZNS1_14partition_implILS8_3ELb0ES6_jNS0_17counting_iteratorIjlEEPS9_SE_NS0_5tupleIJPjSE_EEENSF_IJSE_SE_EEES9_SG_JZNS1_25segmented_radix_sort_implINS0_14default_configELb1EPKsPsPKlPlN2at6native12_GLOBAL__N_18offset_tEEE10hipError_tPvRmT1_PNSt15iterator_traitsISY_E10value_typeET2_T3_PNSZ_IS14_E10value_typeET4_jRbjT5_S1A_jjP12ihipStream_tbEUljE_EEESV_SW_SX_S14_S18_S1A_T6_T7_T9_mT8_S1C_bDpT10_ENKUlT_T0_E_clISt17integral_constantIbLb0EES1P_EEDaS1K_S1L_EUlS1K_E_NS1_11comp_targetILNS1_3genE9ELNS1_11target_archE1100ELNS1_3gpuE3ELNS1_3repE0EEENS1_30default_config_static_selectorELNS0_4arch9wavefront6targetE0EEEvSY_
; %bb.0:
	.section	.rodata,"a",@progbits
	.p2align	6, 0x0
	.amdhsa_kernel _ZN7rocprim17ROCPRIM_400000_NS6detail17trampoline_kernelINS0_13select_configILj256ELj13ELNS0_17block_load_methodE3ELS4_3ELS4_3ELNS0_20block_scan_algorithmE0ELj4294967295EEENS1_25partition_config_selectorILNS1_17partition_subalgoE3EjNS0_10empty_typeEbEEZZNS1_14partition_implILS8_3ELb0ES6_jNS0_17counting_iteratorIjlEEPS9_SE_NS0_5tupleIJPjSE_EEENSF_IJSE_SE_EEES9_SG_JZNS1_25segmented_radix_sort_implINS0_14default_configELb1EPKsPsPKlPlN2at6native12_GLOBAL__N_18offset_tEEE10hipError_tPvRmT1_PNSt15iterator_traitsISY_E10value_typeET2_T3_PNSZ_IS14_E10value_typeET4_jRbjT5_S1A_jjP12ihipStream_tbEUljE_EEESV_SW_SX_S14_S18_S1A_T6_T7_T9_mT8_S1C_bDpT10_ENKUlT_T0_E_clISt17integral_constantIbLb0EES1P_EEDaS1K_S1L_EUlS1K_E_NS1_11comp_targetILNS1_3genE9ELNS1_11target_archE1100ELNS1_3gpuE3ELNS1_3repE0EEENS1_30default_config_static_selectorELNS0_4arch9wavefront6targetE0EEEvSY_
		.amdhsa_group_segment_fixed_size 0
		.amdhsa_private_segment_fixed_size 0
		.amdhsa_kernarg_size 144
		.amdhsa_user_sgpr_count 2
		.amdhsa_user_sgpr_dispatch_ptr 0
		.amdhsa_user_sgpr_queue_ptr 0
		.amdhsa_user_sgpr_kernarg_segment_ptr 1
		.amdhsa_user_sgpr_dispatch_id 0
		.amdhsa_user_sgpr_kernarg_preload_length 0
		.amdhsa_user_sgpr_kernarg_preload_offset 0
		.amdhsa_user_sgpr_private_segment_size 0
		.amdhsa_wavefront_size32 1
		.amdhsa_uses_dynamic_stack 0
		.amdhsa_enable_private_segment 0
		.amdhsa_system_sgpr_workgroup_id_x 1
		.amdhsa_system_sgpr_workgroup_id_y 0
		.amdhsa_system_sgpr_workgroup_id_z 0
		.amdhsa_system_sgpr_workgroup_info 0
		.amdhsa_system_vgpr_workitem_id 0
		.amdhsa_next_free_vgpr 1
		.amdhsa_next_free_sgpr 1
		.amdhsa_named_barrier_count 0
		.amdhsa_reserve_vcc 0
		.amdhsa_float_round_mode_32 0
		.amdhsa_float_round_mode_16_64 0
		.amdhsa_float_denorm_mode_32 3
		.amdhsa_float_denorm_mode_16_64 3
		.amdhsa_fp16_overflow 0
		.amdhsa_memory_ordered 1
		.amdhsa_forward_progress 1
		.amdhsa_inst_pref_size 0
		.amdhsa_round_robin_scheduling 0
		.amdhsa_exception_fp_ieee_invalid_op 0
		.amdhsa_exception_fp_denorm_src 0
		.amdhsa_exception_fp_ieee_div_zero 0
		.amdhsa_exception_fp_ieee_overflow 0
		.amdhsa_exception_fp_ieee_underflow 0
		.amdhsa_exception_fp_ieee_inexact 0
		.amdhsa_exception_int_div_zero 0
	.end_amdhsa_kernel
	.section	.text._ZN7rocprim17ROCPRIM_400000_NS6detail17trampoline_kernelINS0_13select_configILj256ELj13ELNS0_17block_load_methodE3ELS4_3ELS4_3ELNS0_20block_scan_algorithmE0ELj4294967295EEENS1_25partition_config_selectorILNS1_17partition_subalgoE3EjNS0_10empty_typeEbEEZZNS1_14partition_implILS8_3ELb0ES6_jNS0_17counting_iteratorIjlEEPS9_SE_NS0_5tupleIJPjSE_EEENSF_IJSE_SE_EEES9_SG_JZNS1_25segmented_radix_sort_implINS0_14default_configELb1EPKsPsPKlPlN2at6native12_GLOBAL__N_18offset_tEEE10hipError_tPvRmT1_PNSt15iterator_traitsISY_E10value_typeET2_T3_PNSZ_IS14_E10value_typeET4_jRbjT5_S1A_jjP12ihipStream_tbEUljE_EEESV_SW_SX_S14_S18_S1A_T6_T7_T9_mT8_S1C_bDpT10_ENKUlT_T0_E_clISt17integral_constantIbLb0EES1P_EEDaS1K_S1L_EUlS1K_E_NS1_11comp_targetILNS1_3genE9ELNS1_11target_archE1100ELNS1_3gpuE3ELNS1_3repE0EEENS1_30default_config_static_selectorELNS0_4arch9wavefront6targetE0EEEvSY_,"axG",@progbits,_ZN7rocprim17ROCPRIM_400000_NS6detail17trampoline_kernelINS0_13select_configILj256ELj13ELNS0_17block_load_methodE3ELS4_3ELS4_3ELNS0_20block_scan_algorithmE0ELj4294967295EEENS1_25partition_config_selectorILNS1_17partition_subalgoE3EjNS0_10empty_typeEbEEZZNS1_14partition_implILS8_3ELb0ES6_jNS0_17counting_iteratorIjlEEPS9_SE_NS0_5tupleIJPjSE_EEENSF_IJSE_SE_EEES9_SG_JZNS1_25segmented_radix_sort_implINS0_14default_configELb1EPKsPsPKlPlN2at6native12_GLOBAL__N_18offset_tEEE10hipError_tPvRmT1_PNSt15iterator_traitsISY_E10value_typeET2_T3_PNSZ_IS14_E10value_typeET4_jRbjT5_S1A_jjP12ihipStream_tbEUljE_EEESV_SW_SX_S14_S18_S1A_T6_T7_T9_mT8_S1C_bDpT10_ENKUlT_T0_E_clISt17integral_constantIbLb0EES1P_EEDaS1K_S1L_EUlS1K_E_NS1_11comp_targetILNS1_3genE9ELNS1_11target_archE1100ELNS1_3gpuE3ELNS1_3repE0EEENS1_30default_config_static_selectorELNS0_4arch9wavefront6targetE0EEEvSY_,comdat
.Lfunc_end881:
	.size	_ZN7rocprim17ROCPRIM_400000_NS6detail17trampoline_kernelINS0_13select_configILj256ELj13ELNS0_17block_load_methodE3ELS4_3ELS4_3ELNS0_20block_scan_algorithmE0ELj4294967295EEENS1_25partition_config_selectorILNS1_17partition_subalgoE3EjNS0_10empty_typeEbEEZZNS1_14partition_implILS8_3ELb0ES6_jNS0_17counting_iteratorIjlEEPS9_SE_NS0_5tupleIJPjSE_EEENSF_IJSE_SE_EEES9_SG_JZNS1_25segmented_radix_sort_implINS0_14default_configELb1EPKsPsPKlPlN2at6native12_GLOBAL__N_18offset_tEEE10hipError_tPvRmT1_PNSt15iterator_traitsISY_E10value_typeET2_T3_PNSZ_IS14_E10value_typeET4_jRbjT5_S1A_jjP12ihipStream_tbEUljE_EEESV_SW_SX_S14_S18_S1A_T6_T7_T9_mT8_S1C_bDpT10_ENKUlT_T0_E_clISt17integral_constantIbLb0EES1P_EEDaS1K_S1L_EUlS1K_E_NS1_11comp_targetILNS1_3genE9ELNS1_11target_archE1100ELNS1_3gpuE3ELNS1_3repE0EEENS1_30default_config_static_selectorELNS0_4arch9wavefront6targetE0EEEvSY_, .Lfunc_end881-_ZN7rocprim17ROCPRIM_400000_NS6detail17trampoline_kernelINS0_13select_configILj256ELj13ELNS0_17block_load_methodE3ELS4_3ELS4_3ELNS0_20block_scan_algorithmE0ELj4294967295EEENS1_25partition_config_selectorILNS1_17partition_subalgoE3EjNS0_10empty_typeEbEEZZNS1_14partition_implILS8_3ELb0ES6_jNS0_17counting_iteratorIjlEEPS9_SE_NS0_5tupleIJPjSE_EEENSF_IJSE_SE_EEES9_SG_JZNS1_25segmented_radix_sort_implINS0_14default_configELb1EPKsPsPKlPlN2at6native12_GLOBAL__N_18offset_tEEE10hipError_tPvRmT1_PNSt15iterator_traitsISY_E10value_typeET2_T3_PNSZ_IS14_E10value_typeET4_jRbjT5_S1A_jjP12ihipStream_tbEUljE_EEESV_SW_SX_S14_S18_S1A_T6_T7_T9_mT8_S1C_bDpT10_ENKUlT_T0_E_clISt17integral_constantIbLb0EES1P_EEDaS1K_S1L_EUlS1K_E_NS1_11comp_targetILNS1_3genE9ELNS1_11target_archE1100ELNS1_3gpuE3ELNS1_3repE0EEENS1_30default_config_static_selectorELNS0_4arch9wavefront6targetE0EEEvSY_
                                        ; -- End function
	.set _ZN7rocprim17ROCPRIM_400000_NS6detail17trampoline_kernelINS0_13select_configILj256ELj13ELNS0_17block_load_methodE3ELS4_3ELS4_3ELNS0_20block_scan_algorithmE0ELj4294967295EEENS1_25partition_config_selectorILNS1_17partition_subalgoE3EjNS0_10empty_typeEbEEZZNS1_14partition_implILS8_3ELb0ES6_jNS0_17counting_iteratorIjlEEPS9_SE_NS0_5tupleIJPjSE_EEENSF_IJSE_SE_EEES9_SG_JZNS1_25segmented_radix_sort_implINS0_14default_configELb1EPKsPsPKlPlN2at6native12_GLOBAL__N_18offset_tEEE10hipError_tPvRmT1_PNSt15iterator_traitsISY_E10value_typeET2_T3_PNSZ_IS14_E10value_typeET4_jRbjT5_S1A_jjP12ihipStream_tbEUljE_EEESV_SW_SX_S14_S18_S1A_T6_T7_T9_mT8_S1C_bDpT10_ENKUlT_T0_E_clISt17integral_constantIbLb0EES1P_EEDaS1K_S1L_EUlS1K_E_NS1_11comp_targetILNS1_3genE9ELNS1_11target_archE1100ELNS1_3gpuE3ELNS1_3repE0EEENS1_30default_config_static_selectorELNS0_4arch9wavefront6targetE0EEEvSY_.num_vgpr, 0
	.set _ZN7rocprim17ROCPRIM_400000_NS6detail17trampoline_kernelINS0_13select_configILj256ELj13ELNS0_17block_load_methodE3ELS4_3ELS4_3ELNS0_20block_scan_algorithmE0ELj4294967295EEENS1_25partition_config_selectorILNS1_17partition_subalgoE3EjNS0_10empty_typeEbEEZZNS1_14partition_implILS8_3ELb0ES6_jNS0_17counting_iteratorIjlEEPS9_SE_NS0_5tupleIJPjSE_EEENSF_IJSE_SE_EEES9_SG_JZNS1_25segmented_radix_sort_implINS0_14default_configELb1EPKsPsPKlPlN2at6native12_GLOBAL__N_18offset_tEEE10hipError_tPvRmT1_PNSt15iterator_traitsISY_E10value_typeET2_T3_PNSZ_IS14_E10value_typeET4_jRbjT5_S1A_jjP12ihipStream_tbEUljE_EEESV_SW_SX_S14_S18_S1A_T6_T7_T9_mT8_S1C_bDpT10_ENKUlT_T0_E_clISt17integral_constantIbLb0EES1P_EEDaS1K_S1L_EUlS1K_E_NS1_11comp_targetILNS1_3genE9ELNS1_11target_archE1100ELNS1_3gpuE3ELNS1_3repE0EEENS1_30default_config_static_selectorELNS0_4arch9wavefront6targetE0EEEvSY_.num_agpr, 0
	.set _ZN7rocprim17ROCPRIM_400000_NS6detail17trampoline_kernelINS0_13select_configILj256ELj13ELNS0_17block_load_methodE3ELS4_3ELS4_3ELNS0_20block_scan_algorithmE0ELj4294967295EEENS1_25partition_config_selectorILNS1_17partition_subalgoE3EjNS0_10empty_typeEbEEZZNS1_14partition_implILS8_3ELb0ES6_jNS0_17counting_iteratorIjlEEPS9_SE_NS0_5tupleIJPjSE_EEENSF_IJSE_SE_EEES9_SG_JZNS1_25segmented_radix_sort_implINS0_14default_configELb1EPKsPsPKlPlN2at6native12_GLOBAL__N_18offset_tEEE10hipError_tPvRmT1_PNSt15iterator_traitsISY_E10value_typeET2_T3_PNSZ_IS14_E10value_typeET4_jRbjT5_S1A_jjP12ihipStream_tbEUljE_EEESV_SW_SX_S14_S18_S1A_T6_T7_T9_mT8_S1C_bDpT10_ENKUlT_T0_E_clISt17integral_constantIbLb0EES1P_EEDaS1K_S1L_EUlS1K_E_NS1_11comp_targetILNS1_3genE9ELNS1_11target_archE1100ELNS1_3gpuE3ELNS1_3repE0EEENS1_30default_config_static_selectorELNS0_4arch9wavefront6targetE0EEEvSY_.numbered_sgpr, 0
	.set _ZN7rocprim17ROCPRIM_400000_NS6detail17trampoline_kernelINS0_13select_configILj256ELj13ELNS0_17block_load_methodE3ELS4_3ELS4_3ELNS0_20block_scan_algorithmE0ELj4294967295EEENS1_25partition_config_selectorILNS1_17partition_subalgoE3EjNS0_10empty_typeEbEEZZNS1_14partition_implILS8_3ELb0ES6_jNS0_17counting_iteratorIjlEEPS9_SE_NS0_5tupleIJPjSE_EEENSF_IJSE_SE_EEES9_SG_JZNS1_25segmented_radix_sort_implINS0_14default_configELb1EPKsPsPKlPlN2at6native12_GLOBAL__N_18offset_tEEE10hipError_tPvRmT1_PNSt15iterator_traitsISY_E10value_typeET2_T3_PNSZ_IS14_E10value_typeET4_jRbjT5_S1A_jjP12ihipStream_tbEUljE_EEESV_SW_SX_S14_S18_S1A_T6_T7_T9_mT8_S1C_bDpT10_ENKUlT_T0_E_clISt17integral_constantIbLb0EES1P_EEDaS1K_S1L_EUlS1K_E_NS1_11comp_targetILNS1_3genE9ELNS1_11target_archE1100ELNS1_3gpuE3ELNS1_3repE0EEENS1_30default_config_static_selectorELNS0_4arch9wavefront6targetE0EEEvSY_.num_named_barrier, 0
	.set _ZN7rocprim17ROCPRIM_400000_NS6detail17trampoline_kernelINS0_13select_configILj256ELj13ELNS0_17block_load_methodE3ELS4_3ELS4_3ELNS0_20block_scan_algorithmE0ELj4294967295EEENS1_25partition_config_selectorILNS1_17partition_subalgoE3EjNS0_10empty_typeEbEEZZNS1_14partition_implILS8_3ELb0ES6_jNS0_17counting_iteratorIjlEEPS9_SE_NS0_5tupleIJPjSE_EEENSF_IJSE_SE_EEES9_SG_JZNS1_25segmented_radix_sort_implINS0_14default_configELb1EPKsPsPKlPlN2at6native12_GLOBAL__N_18offset_tEEE10hipError_tPvRmT1_PNSt15iterator_traitsISY_E10value_typeET2_T3_PNSZ_IS14_E10value_typeET4_jRbjT5_S1A_jjP12ihipStream_tbEUljE_EEESV_SW_SX_S14_S18_S1A_T6_T7_T9_mT8_S1C_bDpT10_ENKUlT_T0_E_clISt17integral_constantIbLb0EES1P_EEDaS1K_S1L_EUlS1K_E_NS1_11comp_targetILNS1_3genE9ELNS1_11target_archE1100ELNS1_3gpuE3ELNS1_3repE0EEENS1_30default_config_static_selectorELNS0_4arch9wavefront6targetE0EEEvSY_.private_seg_size, 0
	.set _ZN7rocprim17ROCPRIM_400000_NS6detail17trampoline_kernelINS0_13select_configILj256ELj13ELNS0_17block_load_methodE3ELS4_3ELS4_3ELNS0_20block_scan_algorithmE0ELj4294967295EEENS1_25partition_config_selectorILNS1_17partition_subalgoE3EjNS0_10empty_typeEbEEZZNS1_14partition_implILS8_3ELb0ES6_jNS0_17counting_iteratorIjlEEPS9_SE_NS0_5tupleIJPjSE_EEENSF_IJSE_SE_EEES9_SG_JZNS1_25segmented_radix_sort_implINS0_14default_configELb1EPKsPsPKlPlN2at6native12_GLOBAL__N_18offset_tEEE10hipError_tPvRmT1_PNSt15iterator_traitsISY_E10value_typeET2_T3_PNSZ_IS14_E10value_typeET4_jRbjT5_S1A_jjP12ihipStream_tbEUljE_EEESV_SW_SX_S14_S18_S1A_T6_T7_T9_mT8_S1C_bDpT10_ENKUlT_T0_E_clISt17integral_constantIbLb0EES1P_EEDaS1K_S1L_EUlS1K_E_NS1_11comp_targetILNS1_3genE9ELNS1_11target_archE1100ELNS1_3gpuE3ELNS1_3repE0EEENS1_30default_config_static_selectorELNS0_4arch9wavefront6targetE0EEEvSY_.uses_vcc, 0
	.set _ZN7rocprim17ROCPRIM_400000_NS6detail17trampoline_kernelINS0_13select_configILj256ELj13ELNS0_17block_load_methodE3ELS4_3ELS4_3ELNS0_20block_scan_algorithmE0ELj4294967295EEENS1_25partition_config_selectorILNS1_17partition_subalgoE3EjNS0_10empty_typeEbEEZZNS1_14partition_implILS8_3ELb0ES6_jNS0_17counting_iteratorIjlEEPS9_SE_NS0_5tupleIJPjSE_EEENSF_IJSE_SE_EEES9_SG_JZNS1_25segmented_radix_sort_implINS0_14default_configELb1EPKsPsPKlPlN2at6native12_GLOBAL__N_18offset_tEEE10hipError_tPvRmT1_PNSt15iterator_traitsISY_E10value_typeET2_T3_PNSZ_IS14_E10value_typeET4_jRbjT5_S1A_jjP12ihipStream_tbEUljE_EEESV_SW_SX_S14_S18_S1A_T6_T7_T9_mT8_S1C_bDpT10_ENKUlT_T0_E_clISt17integral_constantIbLb0EES1P_EEDaS1K_S1L_EUlS1K_E_NS1_11comp_targetILNS1_3genE9ELNS1_11target_archE1100ELNS1_3gpuE3ELNS1_3repE0EEENS1_30default_config_static_selectorELNS0_4arch9wavefront6targetE0EEEvSY_.uses_flat_scratch, 0
	.set _ZN7rocprim17ROCPRIM_400000_NS6detail17trampoline_kernelINS0_13select_configILj256ELj13ELNS0_17block_load_methodE3ELS4_3ELS4_3ELNS0_20block_scan_algorithmE0ELj4294967295EEENS1_25partition_config_selectorILNS1_17partition_subalgoE3EjNS0_10empty_typeEbEEZZNS1_14partition_implILS8_3ELb0ES6_jNS0_17counting_iteratorIjlEEPS9_SE_NS0_5tupleIJPjSE_EEENSF_IJSE_SE_EEES9_SG_JZNS1_25segmented_radix_sort_implINS0_14default_configELb1EPKsPsPKlPlN2at6native12_GLOBAL__N_18offset_tEEE10hipError_tPvRmT1_PNSt15iterator_traitsISY_E10value_typeET2_T3_PNSZ_IS14_E10value_typeET4_jRbjT5_S1A_jjP12ihipStream_tbEUljE_EEESV_SW_SX_S14_S18_S1A_T6_T7_T9_mT8_S1C_bDpT10_ENKUlT_T0_E_clISt17integral_constantIbLb0EES1P_EEDaS1K_S1L_EUlS1K_E_NS1_11comp_targetILNS1_3genE9ELNS1_11target_archE1100ELNS1_3gpuE3ELNS1_3repE0EEENS1_30default_config_static_selectorELNS0_4arch9wavefront6targetE0EEEvSY_.has_dyn_sized_stack, 0
	.set _ZN7rocprim17ROCPRIM_400000_NS6detail17trampoline_kernelINS0_13select_configILj256ELj13ELNS0_17block_load_methodE3ELS4_3ELS4_3ELNS0_20block_scan_algorithmE0ELj4294967295EEENS1_25partition_config_selectorILNS1_17partition_subalgoE3EjNS0_10empty_typeEbEEZZNS1_14partition_implILS8_3ELb0ES6_jNS0_17counting_iteratorIjlEEPS9_SE_NS0_5tupleIJPjSE_EEENSF_IJSE_SE_EEES9_SG_JZNS1_25segmented_radix_sort_implINS0_14default_configELb1EPKsPsPKlPlN2at6native12_GLOBAL__N_18offset_tEEE10hipError_tPvRmT1_PNSt15iterator_traitsISY_E10value_typeET2_T3_PNSZ_IS14_E10value_typeET4_jRbjT5_S1A_jjP12ihipStream_tbEUljE_EEESV_SW_SX_S14_S18_S1A_T6_T7_T9_mT8_S1C_bDpT10_ENKUlT_T0_E_clISt17integral_constantIbLb0EES1P_EEDaS1K_S1L_EUlS1K_E_NS1_11comp_targetILNS1_3genE9ELNS1_11target_archE1100ELNS1_3gpuE3ELNS1_3repE0EEENS1_30default_config_static_selectorELNS0_4arch9wavefront6targetE0EEEvSY_.has_recursion, 0
	.set _ZN7rocprim17ROCPRIM_400000_NS6detail17trampoline_kernelINS0_13select_configILj256ELj13ELNS0_17block_load_methodE3ELS4_3ELS4_3ELNS0_20block_scan_algorithmE0ELj4294967295EEENS1_25partition_config_selectorILNS1_17partition_subalgoE3EjNS0_10empty_typeEbEEZZNS1_14partition_implILS8_3ELb0ES6_jNS0_17counting_iteratorIjlEEPS9_SE_NS0_5tupleIJPjSE_EEENSF_IJSE_SE_EEES9_SG_JZNS1_25segmented_radix_sort_implINS0_14default_configELb1EPKsPsPKlPlN2at6native12_GLOBAL__N_18offset_tEEE10hipError_tPvRmT1_PNSt15iterator_traitsISY_E10value_typeET2_T3_PNSZ_IS14_E10value_typeET4_jRbjT5_S1A_jjP12ihipStream_tbEUljE_EEESV_SW_SX_S14_S18_S1A_T6_T7_T9_mT8_S1C_bDpT10_ENKUlT_T0_E_clISt17integral_constantIbLb0EES1P_EEDaS1K_S1L_EUlS1K_E_NS1_11comp_targetILNS1_3genE9ELNS1_11target_archE1100ELNS1_3gpuE3ELNS1_3repE0EEENS1_30default_config_static_selectorELNS0_4arch9wavefront6targetE0EEEvSY_.has_indirect_call, 0
	.section	.AMDGPU.csdata,"",@progbits
; Kernel info:
; codeLenInByte = 0
; TotalNumSgprs: 0
; NumVgprs: 0
; ScratchSize: 0
; MemoryBound: 0
; FloatMode: 240
; IeeeMode: 1
; LDSByteSize: 0 bytes/workgroup (compile time only)
; SGPRBlocks: 0
; VGPRBlocks: 0
; NumSGPRsForWavesPerEU: 1
; NumVGPRsForWavesPerEU: 1
; NamedBarCnt: 0
; Occupancy: 16
; WaveLimiterHint : 0
; COMPUTE_PGM_RSRC2:SCRATCH_EN: 0
; COMPUTE_PGM_RSRC2:USER_SGPR: 2
; COMPUTE_PGM_RSRC2:TRAP_HANDLER: 0
; COMPUTE_PGM_RSRC2:TGID_X_EN: 1
; COMPUTE_PGM_RSRC2:TGID_Y_EN: 0
; COMPUTE_PGM_RSRC2:TGID_Z_EN: 0
; COMPUTE_PGM_RSRC2:TIDIG_COMP_CNT: 0
	.section	.text._ZN7rocprim17ROCPRIM_400000_NS6detail17trampoline_kernelINS0_13select_configILj256ELj13ELNS0_17block_load_methodE3ELS4_3ELS4_3ELNS0_20block_scan_algorithmE0ELj4294967295EEENS1_25partition_config_selectorILNS1_17partition_subalgoE3EjNS0_10empty_typeEbEEZZNS1_14partition_implILS8_3ELb0ES6_jNS0_17counting_iteratorIjlEEPS9_SE_NS0_5tupleIJPjSE_EEENSF_IJSE_SE_EEES9_SG_JZNS1_25segmented_radix_sort_implINS0_14default_configELb1EPKsPsPKlPlN2at6native12_GLOBAL__N_18offset_tEEE10hipError_tPvRmT1_PNSt15iterator_traitsISY_E10value_typeET2_T3_PNSZ_IS14_E10value_typeET4_jRbjT5_S1A_jjP12ihipStream_tbEUljE_EEESV_SW_SX_S14_S18_S1A_T6_T7_T9_mT8_S1C_bDpT10_ENKUlT_T0_E_clISt17integral_constantIbLb0EES1P_EEDaS1K_S1L_EUlS1K_E_NS1_11comp_targetILNS1_3genE8ELNS1_11target_archE1030ELNS1_3gpuE2ELNS1_3repE0EEENS1_30default_config_static_selectorELNS0_4arch9wavefront6targetE0EEEvSY_,"axG",@progbits,_ZN7rocprim17ROCPRIM_400000_NS6detail17trampoline_kernelINS0_13select_configILj256ELj13ELNS0_17block_load_methodE3ELS4_3ELS4_3ELNS0_20block_scan_algorithmE0ELj4294967295EEENS1_25partition_config_selectorILNS1_17partition_subalgoE3EjNS0_10empty_typeEbEEZZNS1_14partition_implILS8_3ELb0ES6_jNS0_17counting_iteratorIjlEEPS9_SE_NS0_5tupleIJPjSE_EEENSF_IJSE_SE_EEES9_SG_JZNS1_25segmented_radix_sort_implINS0_14default_configELb1EPKsPsPKlPlN2at6native12_GLOBAL__N_18offset_tEEE10hipError_tPvRmT1_PNSt15iterator_traitsISY_E10value_typeET2_T3_PNSZ_IS14_E10value_typeET4_jRbjT5_S1A_jjP12ihipStream_tbEUljE_EEESV_SW_SX_S14_S18_S1A_T6_T7_T9_mT8_S1C_bDpT10_ENKUlT_T0_E_clISt17integral_constantIbLb0EES1P_EEDaS1K_S1L_EUlS1K_E_NS1_11comp_targetILNS1_3genE8ELNS1_11target_archE1030ELNS1_3gpuE2ELNS1_3repE0EEENS1_30default_config_static_selectorELNS0_4arch9wavefront6targetE0EEEvSY_,comdat
	.globl	_ZN7rocprim17ROCPRIM_400000_NS6detail17trampoline_kernelINS0_13select_configILj256ELj13ELNS0_17block_load_methodE3ELS4_3ELS4_3ELNS0_20block_scan_algorithmE0ELj4294967295EEENS1_25partition_config_selectorILNS1_17partition_subalgoE3EjNS0_10empty_typeEbEEZZNS1_14partition_implILS8_3ELb0ES6_jNS0_17counting_iteratorIjlEEPS9_SE_NS0_5tupleIJPjSE_EEENSF_IJSE_SE_EEES9_SG_JZNS1_25segmented_radix_sort_implINS0_14default_configELb1EPKsPsPKlPlN2at6native12_GLOBAL__N_18offset_tEEE10hipError_tPvRmT1_PNSt15iterator_traitsISY_E10value_typeET2_T3_PNSZ_IS14_E10value_typeET4_jRbjT5_S1A_jjP12ihipStream_tbEUljE_EEESV_SW_SX_S14_S18_S1A_T6_T7_T9_mT8_S1C_bDpT10_ENKUlT_T0_E_clISt17integral_constantIbLb0EES1P_EEDaS1K_S1L_EUlS1K_E_NS1_11comp_targetILNS1_3genE8ELNS1_11target_archE1030ELNS1_3gpuE2ELNS1_3repE0EEENS1_30default_config_static_selectorELNS0_4arch9wavefront6targetE0EEEvSY_ ; -- Begin function _ZN7rocprim17ROCPRIM_400000_NS6detail17trampoline_kernelINS0_13select_configILj256ELj13ELNS0_17block_load_methodE3ELS4_3ELS4_3ELNS0_20block_scan_algorithmE0ELj4294967295EEENS1_25partition_config_selectorILNS1_17partition_subalgoE3EjNS0_10empty_typeEbEEZZNS1_14partition_implILS8_3ELb0ES6_jNS0_17counting_iteratorIjlEEPS9_SE_NS0_5tupleIJPjSE_EEENSF_IJSE_SE_EEES9_SG_JZNS1_25segmented_radix_sort_implINS0_14default_configELb1EPKsPsPKlPlN2at6native12_GLOBAL__N_18offset_tEEE10hipError_tPvRmT1_PNSt15iterator_traitsISY_E10value_typeET2_T3_PNSZ_IS14_E10value_typeET4_jRbjT5_S1A_jjP12ihipStream_tbEUljE_EEESV_SW_SX_S14_S18_S1A_T6_T7_T9_mT8_S1C_bDpT10_ENKUlT_T0_E_clISt17integral_constantIbLb0EES1P_EEDaS1K_S1L_EUlS1K_E_NS1_11comp_targetILNS1_3genE8ELNS1_11target_archE1030ELNS1_3gpuE2ELNS1_3repE0EEENS1_30default_config_static_selectorELNS0_4arch9wavefront6targetE0EEEvSY_
	.p2align	8
	.type	_ZN7rocprim17ROCPRIM_400000_NS6detail17trampoline_kernelINS0_13select_configILj256ELj13ELNS0_17block_load_methodE3ELS4_3ELS4_3ELNS0_20block_scan_algorithmE0ELj4294967295EEENS1_25partition_config_selectorILNS1_17partition_subalgoE3EjNS0_10empty_typeEbEEZZNS1_14partition_implILS8_3ELb0ES6_jNS0_17counting_iteratorIjlEEPS9_SE_NS0_5tupleIJPjSE_EEENSF_IJSE_SE_EEES9_SG_JZNS1_25segmented_radix_sort_implINS0_14default_configELb1EPKsPsPKlPlN2at6native12_GLOBAL__N_18offset_tEEE10hipError_tPvRmT1_PNSt15iterator_traitsISY_E10value_typeET2_T3_PNSZ_IS14_E10value_typeET4_jRbjT5_S1A_jjP12ihipStream_tbEUljE_EEESV_SW_SX_S14_S18_S1A_T6_T7_T9_mT8_S1C_bDpT10_ENKUlT_T0_E_clISt17integral_constantIbLb0EES1P_EEDaS1K_S1L_EUlS1K_E_NS1_11comp_targetILNS1_3genE8ELNS1_11target_archE1030ELNS1_3gpuE2ELNS1_3repE0EEENS1_30default_config_static_selectorELNS0_4arch9wavefront6targetE0EEEvSY_,@function
_ZN7rocprim17ROCPRIM_400000_NS6detail17trampoline_kernelINS0_13select_configILj256ELj13ELNS0_17block_load_methodE3ELS4_3ELS4_3ELNS0_20block_scan_algorithmE0ELj4294967295EEENS1_25partition_config_selectorILNS1_17partition_subalgoE3EjNS0_10empty_typeEbEEZZNS1_14partition_implILS8_3ELb0ES6_jNS0_17counting_iteratorIjlEEPS9_SE_NS0_5tupleIJPjSE_EEENSF_IJSE_SE_EEES9_SG_JZNS1_25segmented_radix_sort_implINS0_14default_configELb1EPKsPsPKlPlN2at6native12_GLOBAL__N_18offset_tEEE10hipError_tPvRmT1_PNSt15iterator_traitsISY_E10value_typeET2_T3_PNSZ_IS14_E10value_typeET4_jRbjT5_S1A_jjP12ihipStream_tbEUljE_EEESV_SW_SX_S14_S18_S1A_T6_T7_T9_mT8_S1C_bDpT10_ENKUlT_T0_E_clISt17integral_constantIbLb0EES1P_EEDaS1K_S1L_EUlS1K_E_NS1_11comp_targetILNS1_3genE8ELNS1_11target_archE1030ELNS1_3gpuE2ELNS1_3repE0EEENS1_30default_config_static_selectorELNS0_4arch9wavefront6targetE0EEEvSY_: ; @_ZN7rocprim17ROCPRIM_400000_NS6detail17trampoline_kernelINS0_13select_configILj256ELj13ELNS0_17block_load_methodE3ELS4_3ELS4_3ELNS0_20block_scan_algorithmE0ELj4294967295EEENS1_25partition_config_selectorILNS1_17partition_subalgoE3EjNS0_10empty_typeEbEEZZNS1_14partition_implILS8_3ELb0ES6_jNS0_17counting_iteratorIjlEEPS9_SE_NS0_5tupleIJPjSE_EEENSF_IJSE_SE_EEES9_SG_JZNS1_25segmented_radix_sort_implINS0_14default_configELb1EPKsPsPKlPlN2at6native12_GLOBAL__N_18offset_tEEE10hipError_tPvRmT1_PNSt15iterator_traitsISY_E10value_typeET2_T3_PNSZ_IS14_E10value_typeET4_jRbjT5_S1A_jjP12ihipStream_tbEUljE_EEESV_SW_SX_S14_S18_S1A_T6_T7_T9_mT8_S1C_bDpT10_ENKUlT_T0_E_clISt17integral_constantIbLb0EES1P_EEDaS1K_S1L_EUlS1K_E_NS1_11comp_targetILNS1_3genE8ELNS1_11target_archE1030ELNS1_3gpuE2ELNS1_3repE0EEENS1_30default_config_static_selectorELNS0_4arch9wavefront6targetE0EEEvSY_
; %bb.0:
	.section	.rodata,"a",@progbits
	.p2align	6, 0x0
	.amdhsa_kernel _ZN7rocprim17ROCPRIM_400000_NS6detail17trampoline_kernelINS0_13select_configILj256ELj13ELNS0_17block_load_methodE3ELS4_3ELS4_3ELNS0_20block_scan_algorithmE0ELj4294967295EEENS1_25partition_config_selectorILNS1_17partition_subalgoE3EjNS0_10empty_typeEbEEZZNS1_14partition_implILS8_3ELb0ES6_jNS0_17counting_iteratorIjlEEPS9_SE_NS0_5tupleIJPjSE_EEENSF_IJSE_SE_EEES9_SG_JZNS1_25segmented_radix_sort_implINS0_14default_configELb1EPKsPsPKlPlN2at6native12_GLOBAL__N_18offset_tEEE10hipError_tPvRmT1_PNSt15iterator_traitsISY_E10value_typeET2_T3_PNSZ_IS14_E10value_typeET4_jRbjT5_S1A_jjP12ihipStream_tbEUljE_EEESV_SW_SX_S14_S18_S1A_T6_T7_T9_mT8_S1C_bDpT10_ENKUlT_T0_E_clISt17integral_constantIbLb0EES1P_EEDaS1K_S1L_EUlS1K_E_NS1_11comp_targetILNS1_3genE8ELNS1_11target_archE1030ELNS1_3gpuE2ELNS1_3repE0EEENS1_30default_config_static_selectorELNS0_4arch9wavefront6targetE0EEEvSY_
		.amdhsa_group_segment_fixed_size 0
		.amdhsa_private_segment_fixed_size 0
		.amdhsa_kernarg_size 144
		.amdhsa_user_sgpr_count 2
		.amdhsa_user_sgpr_dispatch_ptr 0
		.amdhsa_user_sgpr_queue_ptr 0
		.amdhsa_user_sgpr_kernarg_segment_ptr 1
		.amdhsa_user_sgpr_dispatch_id 0
		.amdhsa_user_sgpr_kernarg_preload_length 0
		.amdhsa_user_sgpr_kernarg_preload_offset 0
		.amdhsa_user_sgpr_private_segment_size 0
		.amdhsa_wavefront_size32 1
		.amdhsa_uses_dynamic_stack 0
		.amdhsa_enable_private_segment 0
		.amdhsa_system_sgpr_workgroup_id_x 1
		.amdhsa_system_sgpr_workgroup_id_y 0
		.amdhsa_system_sgpr_workgroup_id_z 0
		.amdhsa_system_sgpr_workgroup_info 0
		.amdhsa_system_vgpr_workitem_id 0
		.amdhsa_next_free_vgpr 1
		.amdhsa_next_free_sgpr 1
		.amdhsa_named_barrier_count 0
		.amdhsa_reserve_vcc 0
		.amdhsa_float_round_mode_32 0
		.amdhsa_float_round_mode_16_64 0
		.amdhsa_float_denorm_mode_32 3
		.amdhsa_float_denorm_mode_16_64 3
		.amdhsa_fp16_overflow 0
		.amdhsa_memory_ordered 1
		.amdhsa_forward_progress 1
		.amdhsa_inst_pref_size 0
		.amdhsa_round_robin_scheduling 0
		.amdhsa_exception_fp_ieee_invalid_op 0
		.amdhsa_exception_fp_denorm_src 0
		.amdhsa_exception_fp_ieee_div_zero 0
		.amdhsa_exception_fp_ieee_overflow 0
		.amdhsa_exception_fp_ieee_underflow 0
		.amdhsa_exception_fp_ieee_inexact 0
		.amdhsa_exception_int_div_zero 0
	.end_amdhsa_kernel
	.section	.text._ZN7rocprim17ROCPRIM_400000_NS6detail17trampoline_kernelINS0_13select_configILj256ELj13ELNS0_17block_load_methodE3ELS4_3ELS4_3ELNS0_20block_scan_algorithmE0ELj4294967295EEENS1_25partition_config_selectorILNS1_17partition_subalgoE3EjNS0_10empty_typeEbEEZZNS1_14partition_implILS8_3ELb0ES6_jNS0_17counting_iteratorIjlEEPS9_SE_NS0_5tupleIJPjSE_EEENSF_IJSE_SE_EEES9_SG_JZNS1_25segmented_radix_sort_implINS0_14default_configELb1EPKsPsPKlPlN2at6native12_GLOBAL__N_18offset_tEEE10hipError_tPvRmT1_PNSt15iterator_traitsISY_E10value_typeET2_T3_PNSZ_IS14_E10value_typeET4_jRbjT5_S1A_jjP12ihipStream_tbEUljE_EEESV_SW_SX_S14_S18_S1A_T6_T7_T9_mT8_S1C_bDpT10_ENKUlT_T0_E_clISt17integral_constantIbLb0EES1P_EEDaS1K_S1L_EUlS1K_E_NS1_11comp_targetILNS1_3genE8ELNS1_11target_archE1030ELNS1_3gpuE2ELNS1_3repE0EEENS1_30default_config_static_selectorELNS0_4arch9wavefront6targetE0EEEvSY_,"axG",@progbits,_ZN7rocprim17ROCPRIM_400000_NS6detail17trampoline_kernelINS0_13select_configILj256ELj13ELNS0_17block_load_methodE3ELS4_3ELS4_3ELNS0_20block_scan_algorithmE0ELj4294967295EEENS1_25partition_config_selectorILNS1_17partition_subalgoE3EjNS0_10empty_typeEbEEZZNS1_14partition_implILS8_3ELb0ES6_jNS0_17counting_iteratorIjlEEPS9_SE_NS0_5tupleIJPjSE_EEENSF_IJSE_SE_EEES9_SG_JZNS1_25segmented_radix_sort_implINS0_14default_configELb1EPKsPsPKlPlN2at6native12_GLOBAL__N_18offset_tEEE10hipError_tPvRmT1_PNSt15iterator_traitsISY_E10value_typeET2_T3_PNSZ_IS14_E10value_typeET4_jRbjT5_S1A_jjP12ihipStream_tbEUljE_EEESV_SW_SX_S14_S18_S1A_T6_T7_T9_mT8_S1C_bDpT10_ENKUlT_T0_E_clISt17integral_constantIbLb0EES1P_EEDaS1K_S1L_EUlS1K_E_NS1_11comp_targetILNS1_3genE8ELNS1_11target_archE1030ELNS1_3gpuE2ELNS1_3repE0EEENS1_30default_config_static_selectorELNS0_4arch9wavefront6targetE0EEEvSY_,comdat
.Lfunc_end882:
	.size	_ZN7rocprim17ROCPRIM_400000_NS6detail17trampoline_kernelINS0_13select_configILj256ELj13ELNS0_17block_load_methodE3ELS4_3ELS4_3ELNS0_20block_scan_algorithmE0ELj4294967295EEENS1_25partition_config_selectorILNS1_17partition_subalgoE3EjNS0_10empty_typeEbEEZZNS1_14partition_implILS8_3ELb0ES6_jNS0_17counting_iteratorIjlEEPS9_SE_NS0_5tupleIJPjSE_EEENSF_IJSE_SE_EEES9_SG_JZNS1_25segmented_radix_sort_implINS0_14default_configELb1EPKsPsPKlPlN2at6native12_GLOBAL__N_18offset_tEEE10hipError_tPvRmT1_PNSt15iterator_traitsISY_E10value_typeET2_T3_PNSZ_IS14_E10value_typeET4_jRbjT5_S1A_jjP12ihipStream_tbEUljE_EEESV_SW_SX_S14_S18_S1A_T6_T7_T9_mT8_S1C_bDpT10_ENKUlT_T0_E_clISt17integral_constantIbLb0EES1P_EEDaS1K_S1L_EUlS1K_E_NS1_11comp_targetILNS1_3genE8ELNS1_11target_archE1030ELNS1_3gpuE2ELNS1_3repE0EEENS1_30default_config_static_selectorELNS0_4arch9wavefront6targetE0EEEvSY_, .Lfunc_end882-_ZN7rocprim17ROCPRIM_400000_NS6detail17trampoline_kernelINS0_13select_configILj256ELj13ELNS0_17block_load_methodE3ELS4_3ELS4_3ELNS0_20block_scan_algorithmE0ELj4294967295EEENS1_25partition_config_selectorILNS1_17partition_subalgoE3EjNS0_10empty_typeEbEEZZNS1_14partition_implILS8_3ELb0ES6_jNS0_17counting_iteratorIjlEEPS9_SE_NS0_5tupleIJPjSE_EEENSF_IJSE_SE_EEES9_SG_JZNS1_25segmented_radix_sort_implINS0_14default_configELb1EPKsPsPKlPlN2at6native12_GLOBAL__N_18offset_tEEE10hipError_tPvRmT1_PNSt15iterator_traitsISY_E10value_typeET2_T3_PNSZ_IS14_E10value_typeET4_jRbjT5_S1A_jjP12ihipStream_tbEUljE_EEESV_SW_SX_S14_S18_S1A_T6_T7_T9_mT8_S1C_bDpT10_ENKUlT_T0_E_clISt17integral_constantIbLb0EES1P_EEDaS1K_S1L_EUlS1K_E_NS1_11comp_targetILNS1_3genE8ELNS1_11target_archE1030ELNS1_3gpuE2ELNS1_3repE0EEENS1_30default_config_static_selectorELNS0_4arch9wavefront6targetE0EEEvSY_
                                        ; -- End function
	.set _ZN7rocprim17ROCPRIM_400000_NS6detail17trampoline_kernelINS0_13select_configILj256ELj13ELNS0_17block_load_methodE3ELS4_3ELS4_3ELNS0_20block_scan_algorithmE0ELj4294967295EEENS1_25partition_config_selectorILNS1_17partition_subalgoE3EjNS0_10empty_typeEbEEZZNS1_14partition_implILS8_3ELb0ES6_jNS0_17counting_iteratorIjlEEPS9_SE_NS0_5tupleIJPjSE_EEENSF_IJSE_SE_EEES9_SG_JZNS1_25segmented_radix_sort_implINS0_14default_configELb1EPKsPsPKlPlN2at6native12_GLOBAL__N_18offset_tEEE10hipError_tPvRmT1_PNSt15iterator_traitsISY_E10value_typeET2_T3_PNSZ_IS14_E10value_typeET4_jRbjT5_S1A_jjP12ihipStream_tbEUljE_EEESV_SW_SX_S14_S18_S1A_T6_T7_T9_mT8_S1C_bDpT10_ENKUlT_T0_E_clISt17integral_constantIbLb0EES1P_EEDaS1K_S1L_EUlS1K_E_NS1_11comp_targetILNS1_3genE8ELNS1_11target_archE1030ELNS1_3gpuE2ELNS1_3repE0EEENS1_30default_config_static_selectorELNS0_4arch9wavefront6targetE0EEEvSY_.num_vgpr, 0
	.set _ZN7rocprim17ROCPRIM_400000_NS6detail17trampoline_kernelINS0_13select_configILj256ELj13ELNS0_17block_load_methodE3ELS4_3ELS4_3ELNS0_20block_scan_algorithmE0ELj4294967295EEENS1_25partition_config_selectorILNS1_17partition_subalgoE3EjNS0_10empty_typeEbEEZZNS1_14partition_implILS8_3ELb0ES6_jNS0_17counting_iteratorIjlEEPS9_SE_NS0_5tupleIJPjSE_EEENSF_IJSE_SE_EEES9_SG_JZNS1_25segmented_radix_sort_implINS0_14default_configELb1EPKsPsPKlPlN2at6native12_GLOBAL__N_18offset_tEEE10hipError_tPvRmT1_PNSt15iterator_traitsISY_E10value_typeET2_T3_PNSZ_IS14_E10value_typeET4_jRbjT5_S1A_jjP12ihipStream_tbEUljE_EEESV_SW_SX_S14_S18_S1A_T6_T7_T9_mT8_S1C_bDpT10_ENKUlT_T0_E_clISt17integral_constantIbLb0EES1P_EEDaS1K_S1L_EUlS1K_E_NS1_11comp_targetILNS1_3genE8ELNS1_11target_archE1030ELNS1_3gpuE2ELNS1_3repE0EEENS1_30default_config_static_selectorELNS0_4arch9wavefront6targetE0EEEvSY_.num_agpr, 0
	.set _ZN7rocprim17ROCPRIM_400000_NS6detail17trampoline_kernelINS0_13select_configILj256ELj13ELNS0_17block_load_methodE3ELS4_3ELS4_3ELNS0_20block_scan_algorithmE0ELj4294967295EEENS1_25partition_config_selectorILNS1_17partition_subalgoE3EjNS0_10empty_typeEbEEZZNS1_14partition_implILS8_3ELb0ES6_jNS0_17counting_iteratorIjlEEPS9_SE_NS0_5tupleIJPjSE_EEENSF_IJSE_SE_EEES9_SG_JZNS1_25segmented_radix_sort_implINS0_14default_configELb1EPKsPsPKlPlN2at6native12_GLOBAL__N_18offset_tEEE10hipError_tPvRmT1_PNSt15iterator_traitsISY_E10value_typeET2_T3_PNSZ_IS14_E10value_typeET4_jRbjT5_S1A_jjP12ihipStream_tbEUljE_EEESV_SW_SX_S14_S18_S1A_T6_T7_T9_mT8_S1C_bDpT10_ENKUlT_T0_E_clISt17integral_constantIbLb0EES1P_EEDaS1K_S1L_EUlS1K_E_NS1_11comp_targetILNS1_3genE8ELNS1_11target_archE1030ELNS1_3gpuE2ELNS1_3repE0EEENS1_30default_config_static_selectorELNS0_4arch9wavefront6targetE0EEEvSY_.numbered_sgpr, 0
	.set _ZN7rocprim17ROCPRIM_400000_NS6detail17trampoline_kernelINS0_13select_configILj256ELj13ELNS0_17block_load_methodE3ELS4_3ELS4_3ELNS0_20block_scan_algorithmE0ELj4294967295EEENS1_25partition_config_selectorILNS1_17partition_subalgoE3EjNS0_10empty_typeEbEEZZNS1_14partition_implILS8_3ELb0ES6_jNS0_17counting_iteratorIjlEEPS9_SE_NS0_5tupleIJPjSE_EEENSF_IJSE_SE_EEES9_SG_JZNS1_25segmented_radix_sort_implINS0_14default_configELb1EPKsPsPKlPlN2at6native12_GLOBAL__N_18offset_tEEE10hipError_tPvRmT1_PNSt15iterator_traitsISY_E10value_typeET2_T3_PNSZ_IS14_E10value_typeET4_jRbjT5_S1A_jjP12ihipStream_tbEUljE_EEESV_SW_SX_S14_S18_S1A_T6_T7_T9_mT8_S1C_bDpT10_ENKUlT_T0_E_clISt17integral_constantIbLb0EES1P_EEDaS1K_S1L_EUlS1K_E_NS1_11comp_targetILNS1_3genE8ELNS1_11target_archE1030ELNS1_3gpuE2ELNS1_3repE0EEENS1_30default_config_static_selectorELNS0_4arch9wavefront6targetE0EEEvSY_.num_named_barrier, 0
	.set _ZN7rocprim17ROCPRIM_400000_NS6detail17trampoline_kernelINS0_13select_configILj256ELj13ELNS0_17block_load_methodE3ELS4_3ELS4_3ELNS0_20block_scan_algorithmE0ELj4294967295EEENS1_25partition_config_selectorILNS1_17partition_subalgoE3EjNS0_10empty_typeEbEEZZNS1_14partition_implILS8_3ELb0ES6_jNS0_17counting_iteratorIjlEEPS9_SE_NS0_5tupleIJPjSE_EEENSF_IJSE_SE_EEES9_SG_JZNS1_25segmented_radix_sort_implINS0_14default_configELb1EPKsPsPKlPlN2at6native12_GLOBAL__N_18offset_tEEE10hipError_tPvRmT1_PNSt15iterator_traitsISY_E10value_typeET2_T3_PNSZ_IS14_E10value_typeET4_jRbjT5_S1A_jjP12ihipStream_tbEUljE_EEESV_SW_SX_S14_S18_S1A_T6_T7_T9_mT8_S1C_bDpT10_ENKUlT_T0_E_clISt17integral_constantIbLb0EES1P_EEDaS1K_S1L_EUlS1K_E_NS1_11comp_targetILNS1_3genE8ELNS1_11target_archE1030ELNS1_3gpuE2ELNS1_3repE0EEENS1_30default_config_static_selectorELNS0_4arch9wavefront6targetE0EEEvSY_.private_seg_size, 0
	.set _ZN7rocprim17ROCPRIM_400000_NS6detail17trampoline_kernelINS0_13select_configILj256ELj13ELNS0_17block_load_methodE3ELS4_3ELS4_3ELNS0_20block_scan_algorithmE0ELj4294967295EEENS1_25partition_config_selectorILNS1_17partition_subalgoE3EjNS0_10empty_typeEbEEZZNS1_14partition_implILS8_3ELb0ES6_jNS0_17counting_iteratorIjlEEPS9_SE_NS0_5tupleIJPjSE_EEENSF_IJSE_SE_EEES9_SG_JZNS1_25segmented_radix_sort_implINS0_14default_configELb1EPKsPsPKlPlN2at6native12_GLOBAL__N_18offset_tEEE10hipError_tPvRmT1_PNSt15iterator_traitsISY_E10value_typeET2_T3_PNSZ_IS14_E10value_typeET4_jRbjT5_S1A_jjP12ihipStream_tbEUljE_EEESV_SW_SX_S14_S18_S1A_T6_T7_T9_mT8_S1C_bDpT10_ENKUlT_T0_E_clISt17integral_constantIbLb0EES1P_EEDaS1K_S1L_EUlS1K_E_NS1_11comp_targetILNS1_3genE8ELNS1_11target_archE1030ELNS1_3gpuE2ELNS1_3repE0EEENS1_30default_config_static_selectorELNS0_4arch9wavefront6targetE0EEEvSY_.uses_vcc, 0
	.set _ZN7rocprim17ROCPRIM_400000_NS6detail17trampoline_kernelINS0_13select_configILj256ELj13ELNS0_17block_load_methodE3ELS4_3ELS4_3ELNS0_20block_scan_algorithmE0ELj4294967295EEENS1_25partition_config_selectorILNS1_17partition_subalgoE3EjNS0_10empty_typeEbEEZZNS1_14partition_implILS8_3ELb0ES6_jNS0_17counting_iteratorIjlEEPS9_SE_NS0_5tupleIJPjSE_EEENSF_IJSE_SE_EEES9_SG_JZNS1_25segmented_radix_sort_implINS0_14default_configELb1EPKsPsPKlPlN2at6native12_GLOBAL__N_18offset_tEEE10hipError_tPvRmT1_PNSt15iterator_traitsISY_E10value_typeET2_T3_PNSZ_IS14_E10value_typeET4_jRbjT5_S1A_jjP12ihipStream_tbEUljE_EEESV_SW_SX_S14_S18_S1A_T6_T7_T9_mT8_S1C_bDpT10_ENKUlT_T0_E_clISt17integral_constantIbLb0EES1P_EEDaS1K_S1L_EUlS1K_E_NS1_11comp_targetILNS1_3genE8ELNS1_11target_archE1030ELNS1_3gpuE2ELNS1_3repE0EEENS1_30default_config_static_selectorELNS0_4arch9wavefront6targetE0EEEvSY_.uses_flat_scratch, 0
	.set _ZN7rocprim17ROCPRIM_400000_NS6detail17trampoline_kernelINS0_13select_configILj256ELj13ELNS0_17block_load_methodE3ELS4_3ELS4_3ELNS0_20block_scan_algorithmE0ELj4294967295EEENS1_25partition_config_selectorILNS1_17partition_subalgoE3EjNS0_10empty_typeEbEEZZNS1_14partition_implILS8_3ELb0ES6_jNS0_17counting_iteratorIjlEEPS9_SE_NS0_5tupleIJPjSE_EEENSF_IJSE_SE_EEES9_SG_JZNS1_25segmented_radix_sort_implINS0_14default_configELb1EPKsPsPKlPlN2at6native12_GLOBAL__N_18offset_tEEE10hipError_tPvRmT1_PNSt15iterator_traitsISY_E10value_typeET2_T3_PNSZ_IS14_E10value_typeET4_jRbjT5_S1A_jjP12ihipStream_tbEUljE_EEESV_SW_SX_S14_S18_S1A_T6_T7_T9_mT8_S1C_bDpT10_ENKUlT_T0_E_clISt17integral_constantIbLb0EES1P_EEDaS1K_S1L_EUlS1K_E_NS1_11comp_targetILNS1_3genE8ELNS1_11target_archE1030ELNS1_3gpuE2ELNS1_3repE0EEENS1_30default_config_static_selectorELNS0_4arch9wavefront6targetE0EEEvSY_.has_dyn_sized_stack, 0
	.set _ZN7rocprim17ROCPRIM_400000_NS6detail17trampoline_kernelINS0_13select_configILj256ELj13ELNS0_17block_load_methodE3ELS4_3ELS4_3ELNS0_20block_scan_algorithmE0ELj4294967295EEENS1_25partition_config_selectorILNS1_17partition_subalgoE3EjNS0_10empty_typeEbEEZZNS1_14partition_implILS8_3ELb0ES6_jNS0_17counting_iteratorIjlEEPS9_SE_NS0_5tupleIJPjSE_EEENSF_IJSE_SE_EEES9_SG_JZNS1_25segmented_radix_sort_implINS0_14default_configELb1EPKsPsPKlPlN2at6native12_GLOBAL__N_18offset_tEEE10hipError_tPvRmT1_PNSt15iterator_traitsISY_E10value_typeET2_T3_PNSZ_IS14_E10value_typeET4_jRbjT5_S1A_jjP12ihipStream_tbEUljE_EEESV_SW_SX_S14_S18_S1A_T6_T7_T9_mT8_S1C_bDpT10_ENKUlT_T0_E_clISt17integral_constantIbLb0EES1P_EEDaS1K_S1L_EUlS1K_E_NS1_11comp_targetILNS1_3genE8ELNS1_11target_archE1030ELNS1_3gpuE2ELNS1_3repE0EEENS1_30default_config_static_selectorELNS0_4arch9wavefront6targetE0EEEvSY_.has_recursion, 0
	.set _ZN7rocprim17ROCPRIM_400000_NS6detail17trampoline_kernelINS0_13select_configILj256ELj13ELNS0_17block_load_methodE3ELS4_3ELS4_3ELNS0_20block_scan_algorithmE0ELj4294967295EEENS1_25partition_config_selectorILNS1_17partition_subalgoE3EjNS0_10empty_typeEbEEZZNS1_14partition_implILS8_3ELb0ES6_jNS0_17counting_iteratorIjlEEPS9_SE_NS0_5tupleIJPjSE_EEENSF_IJSE_SE_EEES9_SG_JZNS1_25segmented_radix_sort_implINS0_14default_configELb1EPKsPsPKlPlN2at6native12_GLOBAL__N_18offset_tEEE10hipError_tPvRmT1_PNSt15iterator_traitsISY_E10value_typeET2_T3_PNSZ_IS14_E10value_typeET4_jRbjT5_S1A_jjP12ihipStream_tbEUljE_EEESV_SW_SX_S14_S18_S1A_T6_T7_T9_mT8_S1C_bDpT10_ENKUlT_T0_E_clISt17integral_constantIbLb0EES1P_EEDaS1K_S1L_EUlS1K_E_NS1_11comp_targetILNS1_3genE8ELNS1_11target_archE1030ELNS1_3gpuE2ELNS1_3repE0EEENS1_30default_config_static_selectorELNS0_4arch9wavefront6targetE0EEEvSY_.has_indirect_call, 0
	.section	.AMDGPU.csdata,"",@progbits
; Kernel info:
; codeLenInByte = 0
; TotalNumSgprs: 0
; NumVgprs: 0
; ScratchSize: 0
; MemoryBound: 0
; FloatMode: 240
; IeeeMode: 1
; LDSByteSize: 0 bytes/workgroup (compile time only)
; SGPRBlocks: 0
; VGPRBlocks: 0
; NumSGPRsForWavesPerEU: 1
; NumVGPRsForWavesPerEU: 1
; NamedBarCnt: 0
; Occupancy: 16
; WaveLimiterHint : 0
; COMPUTE_PGM_RSRC2:SCRATCH_EN: 0
; COMPUTE_PGM_RSRC2:USER_SGPR: 2
; COMPUTE_PGM_RSRC2:TRAP_HANDLER: 0
; COMPUTE_PGM_RSRC2:TGID_X_EN: 1
; COMPUTE_PGM_RSRC2:TGID_Y_EN: 0
; COMPUTE_PGM_RSRC2:TGID_Z_EN: 0
; COMPUTE_PGM_RSRC2:TIDIG_COMP_CNT: 0
	.section	.text._ZN7rocprim17ROCPRIM_400000_NS6detail17trampoline_kernelINS0_13select_configILj256ELj13ELNS0_17block_load_methodE3ELS4_3ELS4_3ELNS0_20block_scan_algorithmE0ELj4294967295EEENS1_25partition_config_selectorILNS1_17partition_subalgoE3EjNS0_10empty_typeEbEEZZNS1_14partition_implILS8_3ELb0ES6_jNS0_17counting_iteratorIjlEEPS9_SE_NS0_5tupleIJPjSE_EEENSF_IJSE_SE_EEES9_SG_JZNS1_25segmented_radix_sort_implINS0_14default_configELb1EPKsPsPKlPlN2at6native12_GLOBAL__N_18offset_tEEE10hipError_tPvRmT1_PNSt15iterator_traitsISY_E10value_typeET2_T3_PNSZ_IS14_E10value_typeET4_jRbjT5_S1A_jjP12ihipStream_tbEUljE_EEESV_SW_SX_S14_S18_S1A_T6_T7_T9_mT8_S1C_bDpT10_ENKUlT_T0_E_clISt17integral_constantIbLb1EES1P_EEDaS1K_S1L_EUlS1K_E_NS1_11comp_targetILNS1_3genE0ELNS1_11target_archE4294967295ELNS1_3gpuE0ELNS1_3repE0EEENS1_30default_config_static_selectorELNS0_4arch9wavefront6targetE0EEEvSY_,"axG",@progbits,_ZN7rocprim17ROCPRIM_400000_NS6detail17trampoline_kernelINS0_13select_configILj256ELj13ELNS0_17block_load_methodE3ELS4_3ELS4_3ELNS0_20block_scan_algorithmE0ELj4294967295EEENS1_25partition_config_selectorILNS1_17partition_subalgoE3EjNS0_10empty_typeEbEEZZNS1_14partition_implILS8_3ELb0ES6_jNS0_17counting_iteratorIjlEEPS9_SE_NS0_5tupleIJPjSE_EEENSF_IJSE_SE_EEES9_SG_JZNS1_25segmented_radix_sort_implINS0_14default_configELb1EPKsPsPKlPlN2at6native12_GLOBAL__N_18offset_tEEE10hipError_tPvRmT1_PNSt15iterator_traitsISY_E10value_typeET2_T3_PNSZ_IS14_E10value_typeET4_jRbjT5_S1A_jjP12ihipStream_tbEUljE_EEESV_SW_SX_S14_S18_S1A_T6_T7_T9_mT8_S1C_bDpT10_ENKUlT_T0_E_clISt17integral_constantIbLb1EES1P_EEDaS1K_S1L_EUlS1K_E_NS1_11comp_targetILNS1_3genE0ELNS1_11target_archE4294967295ELNS1_3gpuE0ELNS1_3repE0EEENS1_30default_config_static_selectorELNS0_4arch9wavefront6targetE0EEEvSY_,comdat
	.globl	_ZN7rocprim17ROCPRIM_400000_NS6detail17trampoline_kernelINS0_13select_configILj256ELj13ELNS0_17block_load_methodE3ELS4_3ELS4_3ELNS0_20block_scan_algorithmE0ELj4294967295EEENS1_25partition_config_selectorILNS1_17partition_subalgoE3EjNS0_10empty_typeEbEEZZNS1_14partition_implILS8_3ELb0ES6_jNS0_17counting_iteratorIjlEEPS9_SE_NS0_5tupleIJPjSE_EEENSF_IJSE_SE_EEES9_SG_JZNS1_25segmented_radix_sort_implINS0_14default_configELb1EPKsPsPKlPlN2at6native12_GLOBAL__N_18offset_tEEE10hipError_tPvRmT1_PNSt15iterator_traitsISY_E10value_typeET2_T3_PNSZ_IS14_E10value_typeET4_jRbjT5_S1A_jjP12ihipStream_tbEUljE_EEESV_SW_SX_S14_S18_S1A_T6_T7_T9_mT8_S1C_bDpT10_ENKUlT_T0_E_clISt17integral_constantIbLb1EES1P_EEDaS1K_S1L_EUlS1K_E_NS1_11comp_targetILNS1_3genE0ELNS1_11target_archE4294967295ELNS1_3gpuE0ELNS1_3repE0EEENS1_30default_config_static_selectorELNS0_4arch9wavefront6targetE0EEEvSY_ ; -- Begin function _ZN7rocprim17ROCPRIM_400000_NS6detail17trampoline_kernelINS0_13select_configILj256ELj13ELNS0_17block_load_methodE3ELS4_3ELS4_3ELNS0_20block_scan_algorithmE0ELj4294967295EEENS1_25partition_config_selectorILNS1_17partition_subalgoE3EjNS0_10empty_typeEbEEZZNS1_14partition_implILS8_3ELb0ES6_jNS0_17counting_iteratorIjlEEPS9_SE_NS0_5tupleIJPjSE_EEENSF_IJSE_SE_EEES9_SG_JZNS1_25segmented_radix_sort_implINS0_14default_configELb1EPKsPsPKlPlN2at6native12_GLOBAL__N_18offset_tEEE10hipError_tPvRmT1_PNSt15iterator_traitsISY_E10value_typeET2_T3_PNSZ_IS14_E10value_typeET4_jRbjT5_S1A_jjP12ihipStream_tbEUljE_EEESV_SW_SX_S14_S18_S1A_T6_T7_T9_mT8_S1C_bDpT10_ENKUlT_T0_E_clISt17integral_constantIbLb1EES1P_EEDaS1K_S1L_EUlS1K_E_NS1_11comp_targetILNS1_3genE0ELNS1_11target_archE4294967295ELNS1_3gpuE0ELNS1_3repE0EEENS1_30default_config_static_selectorELNS0_4arch9wavefront6targetE0EEEvSY_
	.p2align	8
	.type	_ZN7rocprim17ROCPRIM_400000_NS6detail17trampoline_kernelINS0_13select_configILj256ELj13ELNS0_17block_load_methodE3ELS4_3ELS4_3ELNS0_20block_scan_algorithmE0ELj4294967295EEENS1_25partition_config_selectorILNS1_17partition_subalgoE3EjNS0_10empty_typeEbEEZZNS1_14partition_implILS8_3ELb0ES6_jNS0_17counting_iteratorIjlEEPS9_SE_NS0_5tupleIJPjSE_EEENSF_IJSE_SE_EEES9_SG_JZNS1_25segmented_radix_sort_implINS0_14default_configELb1EPKsPsPKlPlN2at6native12_GLOBAL__N_18offset_tEEE10hipError_tPvRmT1_PNSt15iterator_traitsISY_E10value_typeET2_T3_PNSZ_IS14_E10value_typeET4_jRbjT5_S1A_jjP12ihipStream_tbEUljE_EEESV_SW_SX_S14_S18_S1A_T6_T7_T9_mT8_S1C_bDpT10_ENKUlT_T0_E_clISt17integral_constantIbLb1EES1P_EEDaS1K_S1L_EUlS1K_E_NS1_11comp_targetILNS1_3genE0ELNS1_11target_archE4294967295ELNS1_3gpuE0ELNS1_3repE0EEENS1_30default_config_static_selectorELNS0_4arch9wavefront6targetE0EEEvSY_,@function
_ZN7rocprim17ROCPRIM_400000_NS6detail17trampoline_kernelINS0_13select_configILj256ELj13ELNS0_17block_load_methodE3ELS4_3ELS4_3ELNS0_20block_scan_algorithmE0ELj4294967295EEENS1_25partition_config_selectorILNS1_17partition_subalgoE3EjNS0_10empty_typeEbEEZZNS1_14partition_implILS8_3ELb0ES6_jNS0_17counting_iteratorIjlEEPS9_SE_NS0_5tupleIJPjSE_EEENSF_IJSE_SE_EEES9_SG_JZNS1_25segmented_radix_sort_implINS0_14default_configELb1EPKsPsPKlPlN2at6native12_GLOBAL__N_18offset_tEEE10hipError_tPvRmT1_PNSt15iterator_traitsISY_E10value_typeET2_T3_PNSZ_IS14_E10value_typeET4_jRbjT5_S1A_jjP12ihipStream_tbEUljE_EEESV_SW_SX_S14_S18_S1A_T6_T7_T9_mT8_S1C_bDpT10_ENKUlT_T0_E_clISt17integral_constantIbLb1EES1P_EEDaS1K_S1L_EUlS1K_E_NS1_11comp_targetILNS1_3genE0ELNS1_11target_archE4294967295ELNS1_3gpuE0ELNS1_3repE0EEENS1_30default_config_static_selectorELNS0_4arch9wavefront6targetE0EEEvSY_: ; @_ZN7rocprim17ROCPRIM_400000_NS6detail17trampoline_kernelINS0_13select_configILj256ELj13ELNS0_17block_load_methodE3ELS4_3ELS4_3ELNS0_20block_scan_algorithmE0ELj4294967295EEENS1_25partition_config_selectorILNS1_17partition_subalgoE3EjNS0_10empty_typeEbEEZZNS1_14partition_implILS8_3ELb0ES6_jNS0_17counting_iteratorIjlEEPS9_SE_NS0_5tupleIJPjSE_EEENSF_IJSE_SE_EEES9_SG_JZNS1_25segmented_radix_sort_implINS0_14default_configELb1EPKsPsPKlPlN2at6native12_GLOBAL__N_18offset_tEEE10hipError_tPvRmT1_PNSt15iterator_traitsISY_E10value_typeET2_T3_PNSZ_IS14_E10value_typeET4_jRbjT5_S1A_jjP12ihipStream_tbEUljE_EEESV_SW_SX_S14_S18_S1A_T6_T7_T9_mT8_S1C_bDpT10_ENKUlT_T0_E_clISt17integral_constantIbLb1EES1P_EEDaS1K_S1L_EUlS1K_E_NS1_11comp_targetILNS1_3genE0ELNS1_11target_archE4294967295ELNS1_3gpuE0ELNS1_3repE0EEENS1_30default_config_static_selectorELNS0_4arch9wavefront6targetE0EEEvSY_
; %bb.0:
	s_endpgm
	.section	.rodata,"a",@progbits
	.p2align	6, 0x0
	.amdhsa_kernel _ZN7rocprim17ROCPRIM_400000_NS6detail17trampoline_kernelINS0_13select_configILj256ELj13ELNS0_17block_load_methodE3ELS4_3ELS4_3ELNS0_20block_scan_algorithmE0ELj4294967295EEENS1_25partition_config_selectorILNS1_17partition_subalgoE3EjNS0_10empty_typeEbEEZZNS1_14partition_implILS8_3ELb0ES6_jNS0_17counting_iteratorIjlEEPS9_SE_NS0_5tupleIJPjSE_EEENSF_IJSE_SE_EEES9_SG_JZNS1_25segmented_radix_sort_implINS0_14default_configELb1EPKsPsPKlPlN2at6native12_GLOBAL__N_18offset_tEEE10hipError_tPvRmT1_PNSt15iterator_traitsISY_E10value_typeET2_T3_PNSZ_IS14_E10value_typeET4_jRbjT5_S1A_jjP12ihipStream_tbEUljE_EEESV_SW_SX_S14_S18_S1A_T6_T7_T9_mT8_S1C_bDpT10_ENKUlT_T0_E_clISt17integral_constantIbLb1EES1P_EEDaS1K_S1L_EUlS1K_E_NS1_11comp_targetILNS1_3genE0ELNS1_11target_archE4294967295ELNS1_3gpuE0ELNS1_3repE0EEENS1_30default_config_static_selectorELNS0_4arch9wavefront6targetE0EEEvSY_
		.amdhsa_group_segment_fixed_size 0
		.amdhsa_private_segment_fixed_size 0
		.amdhsa_kernarg_size 152
		.amdhsa_user_sgpr_count 2
		.amdhsa_user_sgpr_dispatch_ptr 0
		.amdhsa_user_sgpr_queue_ptr 0
		.amdhsa_user_sgpr_kernarg_segment_ptr 1
		.amdhsa_user_sgpr_dispatch_id 0
		.amdhsa_user_sgpr_kernarg_preload_length 0
		.amdhsa_user_sgpr_kernarg_preload_offset 0
		.amdhsa_user_sgpr_private_segment_size 0
		.amdhsa_wavefront_size32 1
		.amdhsa_uses_dynamic_stack 0
		.amdhsa_enable_private_segment 0
		.amdhsa_system_sgpr_workgroup_id_x 1
		.amdhsa_system_sgpr_workgroup_id_y 0
		.amdhsa_system_sgpr_workgroup_id_z 0
		.amdhsa_system_sgpr_workgroup_info 0
		.amdhsa_system_vgpr_workitem_id 0
		.amdhsa_next_free_vgpr 1
		.amdhsa_next_free_sgpr 1
		.amdhsa_named_barrier_count 0
		.amdhsa_reserve_vcc 0
		.amdhsa_float_round_mode_32 0
		.amdhsa_float_round_mode_16_64 0
		.amdhsa_float_denorm_mode_32 3
		.amdhsa_float_denorm_mode_16_64 3
		.amdhsa_fp16_overflow 0
		.amdhsa_memory_ordered 1
		.amdhsa_forward_progress 1
		.amdhsa_inst_pref_size 1
		.amdhsa_round_robin_scheduling 0
		.amdhsa_exception_fp_ieee_invalid_op 0
		.amdhsa_exception_fp_denorm_src 0
		.amdhsa_exception_fp_ieee_div_zero 0
		.amdhsa_exception_fp_ieee_overflow 0
		.amdhsa_exception_fp_ieee_underflow 0
		.amdhsa_exception_fp_ieee_inexact 0
		.amdhsa_exception_int_div_zero 0
	.end_amdhsa_kernel
	.section	.text._ZN7rocprim17ROCPRIM_400000_NS6detail17trampoline_kernelINS0_13select_configILj256ELj13ELNS0_17block_load_methodE3ELS4_3ELS4_3ELNS0_20block_scan_algorithmE0ELj4294967295EEENS1_25partition_config_selectorILNS1_17partition_subalgoE3EjNS0_10empty_typeEbEEZZNS1_14partition_implILS8_3ELb0ES6_jNS0_17counting_iteratorIjlEEPS9_SE_NS0_5tupleIJPjSE_EEENSF_IJSE_SE_EEES9_SG_JZNS1_25segmented_radix_sort_implINS0_14default_configELb1EPKsPsPKlPlN2at6native12_GLOBAL__N_18offset_tEEE10hipError_tPvRmT1_PNSt15iterator_traitsISY_E10value_typeET2_T3_PNSZ_IS14_E10value_typeET4_jRbjT5_S1A_jjP12ihipStream_tbEUljE_EEESV_SW_SX_S14_S18_S1A_T6_T7_T9_mT8_S1C_bDpT10_ENKUlT_T0_E_clISt17integral_constantIbLb1EES1P_EEDaS1K_S1L_EUlS1K_E_NS1_11comp_targetILNS1_3genE0ELNS1_11target_archE4294967295ELNS1_3gpuE0ELNS1_3repE0EEENS1_30default_config_static_selectorELNS0_4arch9wavefront6targetE0EEEvSY_,"axG",@progbits,_ZN7rocprim17ROCPRIM_400000_NS6detail17trampoline_kernelINS0_13select_configILj256ELj13ELNS0_17block_load_methodE3ELS4_3ELS4_3ELNS0_20block_scan_algorithmE0ELj4294967295EEENS1_25partition_config_selectorILNS1_17partition_subalgoE3EjNS0_10empty_typeEbEEZZNS1_14partition_implILS8_3ELb0ES6_jNS0_17counting_iteratorIjlEEPS9_SE_NS0_5tupleIJPjSE_EEENSF_IJSE_SE_EEES9_SG_JZNS1_25segmented_radix_sort_implINS0_14default_configELb1EPKsPsPKlPlN2at6native12_GLOBAL__N_18offset_tEEE10hipError_tPvRmT1_PNSt15iterator_traitsISY_E10value_typeET2_T3_PNSZ_IS14_E10value_typeET4_jRbjT5_S1A_jjP12ihipStream_tbEUljE_EEESV_SW_SX_S14_S18_S1A_T6_T7_T9_mT8_S1C_bDpT10_ENKUlT_T0_E_clISt17integral_constantIbLb1EES1P_EEDaS1K_S1L_EUlS1K_E_NS1_11comp_targetILNS1_3genE0ELNS1_11target_archE4294967295ELNS1_3gpuE0ELNS1_3repE0EEENS1_30default_config_static_selectorELNS0_4arch9wavefront6targetE0EEEvSY_,comdat
.Lfunc_end883:
	.size	_ZN7rocprim17ROCPRIM_400000_NS6detail17trampoline_kernelINS0_13select_configILj256ELj13ELNS0_17block_load_methodE3ELS4_3ELS4_3ELNS0_20block_scan_algorithmE0ELj4294967295EEENS1_25partition_config_selectorILNS1_17partition_subalgoE3EjNS0_10empty_typeEbEEZZNS1_14partition_implILS8_3ELb0ES6_jNS0_17counting_iteratorIjlEEPS9_SE_NS0_5tupleIJPjSE_EEENSF_IJSE_SE_EEES9_SG_JZNS1_25segmented_radix_sort_implINS0_14default_configELb1EPKsPsPKlPlN2at6native12_GLOBAL__N_18offset_tEEE10hipError_tPvRmT1_PNSt15iterator_traitsISY_E10value_typeET2_T3_PNSZ_IS14_E10value_typeET4_jRbjT5_S1A_jjP12ihipStream_tbEUljE_EEESV_SW_SX_S14_S18_S1A_T6_T7_T9_mT8_S1C_bDpT10_ENKUlT_T0_E_clISt17integral_constantIbLb1EES1P_EEDaS1K_S1L_EUlS1K_E_NS1_11comp_targetILNS1_3genE0ELNS1_11target_archE4294967295ELNS1_3gpuE0ELNS1_3repE0EEENS1_30default_config_static_selectorELNS0_4arch9wavefront6targetE0EEEvSY_, .Lfunc_end883-_ZN7rocprim17ROCPRIM_400000_NS6detail17trampoline_kernelINS0_13select_configILj256ELj13ELNS0_17block_load_methodE3ELS4_3ELS4_3ELNS0_20block_scan_algorithmE0ELj4294967295EEENS1_25partition_config_selectorILNS1_17partition_subalgoE3EjNS0_10empty_typeEbEEZZNS1_14partition_implILS8_3ELb0ES6_jNS0_17counting_iteratorIjlEEPS9_SE_NS0_5tupleIJPjSE_EEENSF_IJSE_SE_EEES9_SG_JZNS1_25segmented_radix_sort_implINS0_14default_configELb1EPKsPsPKlPlN2at6native12_GLOBAL__N_18offset_tEEE10hipError_tPvRmT1_PNSt15iterator_traitsISY_E10value_typeET2_T3_PNSZ_IS14_E10value_typeET4_jRbjT5_S1A_jjP12ihipStream_tbEUljE_EEESV_SW_SX_S14_S18_S1A_T6_T7_T9_mT8_S1C_bDpT10_ENKUlT_T0_E_clISt17integral_constantIbLb1EES1P_EEDaS1K_S1L_EUlS1K_E_NS1_11comp_targetILNS1_3genE0ELNS1_11target_archE4294967295ELNS1_3gpuE0ELNS1_3repE0EEENS1_30default_config_static_selectorELNS0_4arch9wavefront6targetE0EEEvSY_
                                        ; -- End function
	.set _ZN7rocprim17ROCPRIM_400000_NS6detail17trampoline_kernelINS0_13select_configILj256ELj13ELNS0_17block_load_methodE3ELS4_3ELS4_3ELNS0_20block_scan_algorithmE0ELj4294967295EEENS1_25partition_config_selectorILNS1_17partition_subalgoE3EjNS0_10empty_typeEbEEZZNS1_14partition_implILS8_3ELb0ES6_jNS0_17counting_iteratorIjlEEPS9_SE_NS0_5tupleIJPjSE_EEENSF_IJSE_SE_EEES9_SG_JZNS1_25segmented_radix_sort_implINS0_14default_configELb1EPKsPsPKlPlN2at6native12_GLOBAL__N_18offset_tEEE10hipError_tPvRmT1_PNSt15iterator_traitsISY_E10value_typeET2_T3_PNSZ_IS14_E10value_typeET4_jRbjT5_S1A_jjP12ihipStream_tbEUljE_EEESV_SW_SX_S14_S18_S1A_T6_T7_T9_mT8_S1C_bDpT10_ENKUlT_T0_E_clISt17integral_constantIbLb1EES1P_EEDaS1K_S1L_EUlS1K_E_NS1_11comp_targetILNS1_3genE0ELNS1_11target_archE4294967295ELNS1_3gpuE0ELNS1_3repE0EEENS1_30default_config_static_selectorELNS0_4arch9wavefront6targetE0EEEvSY_.num_vgpr, 0
	.set _ZN7rocprim17ROCPRIM_400000_NS6detail17trampoline_kernelINS0_13select_configILj256ELj13ELNS0_17block_load_methodE3ELS4_3ELS4_3ELNS0_20block_scan_algorithmE0ELj4294967295EEENS1_25partition_config_selectorILNS1_17partition_subalgoE3EjNS0_10empty_typeEbEEZZNS1_14partition_implILS8_3ELb0ES6_jNS0_17counting_iteratorIjlEEPS9_SE_NS0_5tupleIJPjSE_EEENSF_IJSE_SE_EEES9_SG_JZNS1_25segmented_radix_sort_implINS0_14default_configELb1EPKsPsPKlPlN2at6native12_GLOBAL__N_18offset_tEEE10hipError_tPvRmT1_PNSt15iterator_traitsISY_E10value_typeET2_T3_PNSZ_IS14_E10value_typeET4_jRbjT5_S1A_jjP12ihipStream_tbEUljE_EEESV_SW_SX_S14_S18_S1A_T6_T7_T9_mT8_S1C_bDpT10_ENKUlT_T0_E_clISt17integral_constantIbLb1EES1P_EEDaS1K_S1L_EUlS1K_E_NS1_11comp_targetILNS1_3genE0ELNS1_11target_archE4294967295ELNS1_3gpuE0ELNS1_3repE0EEENS1_30default_config_static_selectorELNS0_4arch9wavefront6targetE0EEEvSY_.num_agpr, 0
	.set _ZN7rocprim17ROCPRIM_400000_NS6detail17trampoline_kernelINS0_13select_configILj256ELj13ELNS0_17block_load_methodE3ELS4_3ELS4_3ELNS0_20block_scan_algorithmE0ELj4294967295EEENS1_25partition_config_selectorILNS1_17partition_subalgoE3EjNS0_10empty_typeEbEEZZNS1_14partition_implILS8_3ELb0ES6_jNS0_17counting_iteratorIjlEEPS9_SE_NS0_5tupleIJPjSE_EEENSF_IJSE_SE_EEES9_SG_JZNS1_25segmented_radix_sort_implINS0_14default_configELb1EPKsPsPKlPlN2at6native12_GLOBAL__N_18offset_tEEE10hipError_tPvRmT1_PNSt15iterator_traitsISY_E10value_typeET2_T3_PNSZ_IS14_E10value_typeET4_jRbjT5_S1A_jjP12ihipStream_tbEUljE_EEESV_SW_SX_S14_S18_S1A_T6_T7_T9_mT8_S1C_bDpT10_ENKUlT_T0_E_clISt17integral_constantIbLb1EES1P_EEDaS1K_S1L_EUlS1K_E_NS1_11comp_targetILNS1_3genE0ELNS1_11target_archE4294967295ELNS1_3gpuE0ELNS1_3repE0EEENS1_30default_config_static_selectorELNS0_4arch9wavefront6targetE0EEEvSY_.numbered_sgpr, 0
	.set _ZN7rocprim17ROCPRIM_400000_NS6detail17trampoline_kernelINS0_13select_configILj256ELj13ELNS0_17block_load_methodE3ELS4_3ELS4_3ELNS0_20block_scan_algorithmE0ELj4294967295EEENS1_25partition_config_selectorILNS1_17partition_subalgoE3EjNS0_10empty_typeEbEEZZNS1_14partition_implILS8_3ELb0ES6_jNS0_17counting_iteratorIjlEEPS9_SE_NS0_5tupleIJPjSE_EEENSF_IJSE_SE_EEES9_SG_JZNS1_25segmented_radix_sort_implINS0_14default_configELb1EPKsPsPKlPlN2at6native12_GLOBAL__N_18offset_tEEE10hipError_tPvRmT1_PNSt15iterator_traitsISY_E10value_typeET2_T3_PNSZ_IS14_E10value_typeET4_jRbjT5_S1A_jjP12ihipStream_tbEUljE_EEESV_SW_SX_S14_S18_S1A_T6_T7_T9_mT8_S1C_bDpT10_ENKUlT_T0_E_clISt17integral_constantIbLb1EES1P_EEDaS1K_S1L_EUlS1K_E_NS1_11comp_targetILNS1_3genE0ELNS1_11target_archE4294967295ELNS1_3gpuE0ELNS1_3repE0EEENS1_30default_config_static_selectorELNS0_4arch9wavefront6targetE0EEEvSY_.num_named_barrier, 0
	.set _ZN7rocprim17ROCPRIM_400000_NS6detail17trampoline_kernelINS0_13select_configILj256ELj13ELNS0_17block_load_methodE3ELS4_3ELS4_3ELNS0_20block_scan_algorithmE0ELj4294967295EEENS1_25partition_config_selectorILNS1_17partition_subalgoE3EjNS0_10empty_typeEbEEZZNS1_14partition_implILS8_3ELb0ES6_jNS0_17counting_iteratorIjlEEPS9_SE_NS0_5tupleIJPjSE_EEENSF_IJSE_SE_EEES9_SG_JZNS1_25segmented_radix_sort_implINS0_14default_configELb1EPKsPsPKlPlN2at6native12_GLOBAL__N_18offset_tEEE10hipError_tPvRmT1_PNSt15iterator_traitsISY_E10value_typeET2_T3_PNSZ_IS14_E10value_typeET4_jRbjT5_S1A_jjP12ihipStream_tbEUljE_EEESV_SW_SX_S14_S18_S1A_T6_T7_T9_mT8_S1C_bDpT10_ENKUlT_T0_E_clISt17integral_constantIbLb1EES1P_EEDaS1K_S1L_EUlS1K_E_NS1_11comp_targetILNS1_3genE0ELNS1_11target_archE4294967295ELNS1_3gpuE0ELNS1_3repE0EEENS1_30default_config_static_selectorELNS0_4arch9wavefront6targetE0EEEvSY_.private_seg_size, 0
	.set _ZN7rocprim17ROCPRIM_400000_NS6detail17trampoline_kernelINS0_13select_configILj256ELj13ELNS0_17block_load_methodE3ELS4_3ELS4_3ELNS0_20block_scan_algorithmE0ELj4294967295EEENS1_25partition_config_selectorILNS1_17partition_subalgoE3EjNS0_10empty_typeEbEEZZNS1_14partition_implILS8_3ELb0ES6_jNS0_17counting_iteratorIjlEEPS9_SE_NS0_5tupleIJPjSE_EEENSF_IJSE_SE_EEES9_SG_JZNS1_25segmented_radix_sort_implINS0_14default_configELb1EPKsPsPKlPlN2at6native12_GLOBAL__N_18offset_tEEE10hipError_tPvRmT1_PNSt15iterator_traitsISY_E10value_typeET2_T3_PNSZ_IS14_E10value_typeET4_jRbjT5_S1A_jjP12ihipStream_tbEUljE_EEESV_SW_SX_S14_S18_S1A_T6_T7_T9_mT8_S1C_bDpT10_ENKUlT_T0_E_clISt17integral_constantIbLb1EES1P_EEDaS1K_S1L_EUlS1K_E_NS1_11comp_targetILNS1_3genE0ELNS1_11target_archE4294967295ELNS1_3gpuE0ELNS1_3repE0EEENS1_30default_config_static_selectorELNS0_4arch9wavefront6targetE0EEEvSY_.uses_vcc, 0
	.set _ZN7rocprim17ROCPRIM_400000_NS6detail17trampoline_kernelINS0_13select_configILj256ELj13ELNS0_17block_load_methodE3ELS4_3ELS4_3ELNS0_20block_scan_algorithmE0ELj4294967295EEENS1_25partition_config_selectorILNS1_17partition_subalgoE3EjNS0_10empty_typeEbEEZZNS1_14partition_implILS8_3ELb0ES6_jNS0_17counting_iteratorIjlEEPS9_SE_NS0_5tupleIJPjSE_EEENSF_IJSE_SE_EEES9_SG_JZNS1_25segmented_radix_sort_implINS0_14default_configELb1EPKsPsPKlPlN2at6native12_GLOBAL__N_18offset_tEEE10hipError_tPvRmT1_PNSt15iterator_traitsISY_E10value_typeET2_T3_PNSZ_IS14_E10value_typeET4_jRbjT5_S1A_jjP12ihipStream_tbEUljE_EEESV_SW_SX_S14_S18_S1A_T6_T7_T9_mT8_S1C_bDpT10_ENKUlT_T0_E_clISt17integral_constantIbLb1EES1P_EEDaS1K_S1L_EUlS1K_E_NS1_11comp_targetILNS1_3genE0ELNS1_11target_archE4294967295ELNS1_3gpuE0ELNS1_3repE0EEENS1_30default_config_static_selectorELNS0_4arch9wavefront6targetE0EEEvSY_.uses_flat_scratch, 0
	.set _ZN7rocprim17ROCPRIM_400000_NS6detail17trampoline_kernelINS0_13select_configILj256ELj13ELNS0_17block_load_methodE3ELS4_3ELS4_3ELNS0_20block_scan_algorithmE0ELj4294967295EEENS1_25partition_config_selectorILNS1_17partition_subalgoE3EjNS0_10empty_typeEbEEZZNS1_14partition_implILS8_3ELb0ES6_jNS0_17counting_iteratorIjlEEPS9_SE_NS0_5tupleIJPjSE_EEENSF_IJSE_SE_EEES9_SG_JZNS1_25segmented_radix_sort_implINS0_14default_configELb1EPKsPsPKlPlN2at6native12_GLOBAL__N_18offset_tEEE10hipError_tPvRmT1_PNSt15iterator_traitsISY_E10value_typeET2_T3_PNSZ_IS14_E10value_typeET4_jRbjT5_S1A_jjP12ihipStream_tbEUljE_EEESV_SW_SX_S14_S18_S1A_T6_T7_T9_mT8_S1C_bDpT10_ENKUlT_T0_E_clISt17integral_constantIbLb1EES1P_EEDaS1K_S1L_EUlS1K_E_NS1_11comp_targetILNS1_3genE0ELNS1_11target_archE4294967295ELNS1_3gpuE0ELNS1_3repE0EEENS1_30default_config_static_selectorELNS0_4arch9wavefront6targetE0EEEvSY_.has_dyn_sized_stack, 0
	.set _ZN7rocprim17ROCPRIM_400000_NS6detail17trampoline_kernelINS0_13select_configILj256ELj13ELNS0_17block_load_methodE3ELS4_3ELS4_3ELNS0_20block_scan_algorithmE0ELj4294967295EEENS1_25partition_config_selectorILNS1_17partition_subalgoE3EjNS0_10empty_typeEbEEZZNS1_14partition_implILS8_3ELb0ES6_jNS0_17counting_iteratorIjlEEPS9_SE_NS0_5tupleIJPjSE_EEENSF_IJSE_SE_EEES9_SG_JZNS1_25segmented_radix_sort_implINS0_14default_configELb1EPKsPsPKlPlN2at6native12_GLOBAL__N_18offset_tEEE10hipError_tPvRmT1_PNSt15iterator_traitsISY_E10value_typeET2_T3_PNSZ_IS14_E10value_typeET4_jRbjT5_S1A_jjP12ihipStream_tbEUljE_EEESV_SW_SX_S14_S18_S1A_T6_T7_T9_mT8_S1C_bDpT10_ENKUlT_T0_E_clISt17integral_constantIbLb1EES1P_EEDaS1K_S1L_EUlS1K_E_NS1_11comp_targetILNS1_3genE0ELNS1_11target_archE4294967295ELNS1_3gpuE0ELNS1_3repE0EEENS1_30default_config_static_selectorELNS0_4arch9wavefront6targetE0EEEvSY_.has_recursion, 0
	.set _ZN7rocprim17ROCPRIM_400000_NS6detail17trampoline_kernelINS0_13select_configILj256ELj13ELNS0_17block_load_methodE3ELS4_3ELS4_3ELNS0_20block_scan_algorithmE0ELj4294967295EEENS1_25partition_config_selectorILNS1_17partition_subalgoE3EjNS0_10empty_typeEbEEZZNS1_14partition_implILS8_3ELb0ES6_jNS0_17counting_iteratorIjlEEPS9_SE_NS0_5tupleIJPjSE_EEENSF_IJSE_SE_EEES9_SG_JZNS1_25segmented_radix_sort_implINS0_14default_configELb1EPKsPsPKlPlN2at6native12_GLOBAL__N_18offset_tEEE10hipError_tPvRmT1_PNSt15iterator_traitsISY_E10value_typeET2_T3_PNSZ_IS14_E10value_typeET4_jRbjT5_S1A_jjP12ihipStream_tbEUljE_EEESV_SW_SX_S14_S18_S1A_T6_T7_T9_mT8_S1C_bDpT10_ENKUlT_T0_E_clISt17integral_constantIbLb1EES1P_EEDaS1K_S1L_EUlS1K_E_NS1_11comp_targetILNS1_3genE0ELNS1_11target_archE4294967295ELNS1_3gpuE0ELNS1_3repE0EEENS1_30default_config_static_selectorELNS0_4arch9wavefront6targetE0EEEvSY_.has_indirect_call, 0
	.section	.AMDGPU.csdata,"",@progbits
; Kernel info:
; codeLenInByte = 4
; TotalNumSgprs: 0
; NumVgprs: 0
; ScratchSize: 0
; MemoryBound: 0
; FloatMode: 240
; IeeeMode: 1
; LDSByteSize: 0 bytes/workgroup (compile time only)
; SGPRBlocks: 0
; VGPRBlocks: 0
; NumSGPRsForWavesPerEU: 1
; NumVGPRsForWavesPerEU: 1
; NamedBarCnt: 0
; Occupancy: 16
; WaveLimiterHint : 0
; COMPUTE_PGM_RSRC2:SCRATCH_EN: 0
; COMPUTE_PGM_RSRC2:USER_SGPR: 2
; COMPUTE_PGM_RSRC2:TRAP_HANDLER: 0
; COMPUTE_PGM_RSRC2:TGID_X_EN: 1
; COMPUTE_PGM_RSRC2:TGID_Y_EN: 0
; COMPUTE_PGM_RSRC2:TGID_Z_EN: 0
; COMPUTE_PGM_RSRC2:TIDIG_COMP_CNT: 0
	.section	.text._ZN7rocprim17ROCPRIM_400000_NS6detail17trampoline_kernelINS0_13select_configILj256ELj13ELNS0_17block_load_methodE3ELS4_3ELS4_3ELNS0_20block_scan_algorithmE0ELj4294967295EEENS1_25partition_config_selectorILNS1_17partition_subalgoE3EjNS0_10empty_typeEbEEZZNS1_14partition_implILS8_3ELb0ES6_jNS0_17counting_iteratorIjlEEPS9_SE_NS0_5tupleIJPjSE_EEENSF_IJSE_SE_EEES9_SG_JZNS1_25segmented_radix_sort_implINS0_14default_configELb1EPKsPsPKlPlN2at6native12_GLOBAL__N_18offset_tEEE10hipError_tPvRmT1_PNSt15iterator_traitsISY_E10value_typeET2_T3_PNSZ_IS14_E10value_typeET4_jRbjT5_S1A_jjP12ihipStream_tbEUljE_EEESV_SW_SX_S14_S18_S1A_T6_T7_T9_mT8_S1C_bDpT10_ENKUlT_T0_E_clISt17integral_constantIbLb1EES1P_EEDaS1K_S1L_EUlS1K_E_NS1_11comp_targetILNS1_3genE5ELNS1_11target_archE942ELNS1_3gpuE9ELNS1_3repE0EEENS1_30default_config_static_selectorELNS0_4arch9wavefront6targetE0EEEvSY_,"axG",@progbits,_ZN7rocprim17ROCPRIM_400000_NS6detail17trampoline_kernelINS0_13select_configILj256ELj13ELNS0_17block_load_methodE3ELS4_3ELS4_3ELNS0_20block_scan_algorithmE0ELj4294967295EEENS1_25partition_config_selectorILNS1_17partition_subalgoE3EjNS0_10empty_typeEbEEZZNS1_14partition_implILS8_3ELb0ES6_jNS0_17counting_iteratorIjlEEPS9_SE_NS0_5tupleIJPjSE_EEENSF_IJSE_SE_EEES9_SG_JZNS1_25segmented_radix_sort_implINS0_14default_configELb1EPKsPsPKlPlN2at6native12_GLOBAL__N_18offset_tEEE10hipError_tPvRmT1_PNSt15iterator_traitsISY_E10value_typeET2_T3_PNSZ_IS14_E10value_typeET4_jRbjT5_S1A_jjP12ihipStream_tbEUljE_EEESV_SW_SX_S14_S18_S1A_T6_T7_T9_mT8_S1C_bDpT10_ENKUlT_T0_E_clISt17integral_constantIbLb1EES1P_EEDaS1K_S1L_EUlS1K_E_NS1_11comp_targetILNS1_3genE5ELNS1_11target_archE942ELNS1_3gpuE9ELNS1_3repE0EEENS1_30default_config_static_selectorELNS0_4arch9wavefront6targetE0EEEvSY_,comdat
	.globl	_ZN7rocprim17ROCPRIM_400000_NS6detail17trampoline_kernelINS0_13select_configILj256ELj13ELNS0_17block_load_methodE3ELS4_3ELS4_3ELNS0_20block_scan_algorithmE0ELj4294967295EEENS1_25partition_config_selectorILNS1_17partition_subalgoE3EjNS0_10empty_typeEbEEZZNS1_14partition_implILS8_3ELb0ES6_jNS0_17counting_iteratorIjlEEPS9_SE_NS0_5tupleIJPjSE_EEENSF_IJSE_SE_EEES9_SG_JZNS1_25segmented_radix_sort_implINS0_14default_configELb1EPKsPsPKlPlN2at6native12_GLOBAL__N_18offset_tEEE10hipError_tPvRmT1_PNSt15iterator_traitsISY_E10value_typeET2_T3_PNSZ_IS14_E10value_typeET4_jRbjT5_S1A_jjP12ihipStream_tbEUljE_EEESV_SW_SX_S14_S18_S1A_T6_T7_T9_mT8_S1C_bDpT10_ENKUlT_T0_E_clISt17integral_constantIbLb1EES1P_EEDaS1K_S1L_EUlS1K_E_NS1_11comp_targetILNS1_3genE5ELNS1_11target_archE942ELNS1_3gpuE9ELNS1_3repE0EEENS1_30default_config_static_selectorELNS0_4arch9wavefront6targetE0EEEvSY_ ; -- Begin function _ZN7rocprim17ROCPRIM_400000_NS6detail17trampoline_kernelINS0_13select_configILj256ELj13ELNS0_17block_load_methodE3ELS4_3ELS4_3ELNS0_20block_scan_algorithmE0ELj4294967295EEENS1_25partition_config_selectorILNS1_17partition_subalgoE3EjNS0_10empty_typeEbEEZZNS1_14partition_implILS8_3ELb0ES6_jNS0_17counting_iteratorIjlEEPS9_SE_NS0_5tupleIJPjSE_EEENSF_IJSE_SE_EEES9_SG_JZNS1_25segmented_radix_sort_implINS0_14default_configELb1EPKsPsPKlPlN2at6native12_GLOBAL__N_18offset_tEEE10hipError_tPvRmT1_PNSt15iterator_traitsISY_E10value_typeET2_T3_PNSZ_IS14_E10value_typeET4_jRbjT5_S1A_jjP12ihipStream_tbEUljE_EEESV_SW_SX_S14_S18_S1A_T6_T7_T9_mT8_S1C_bDpT10_ENKUlT_T0_E_clISt17integral_constantIbLb1EES1P_EEDaS1K_S1L_EUlS1K_E_NS1_11comp_targetILNS1_3genE5ELNS1_11target_archE942ELNS1_3gpuE9ELNS1_3repE0EEENS1_30default_config_static_selectorELNS0_4arch9wavefront6targetE0EEEvSY_
	.p2align	8
	.type	_ZN7rocprim17ROCPRIM_400000_NS6detail17trampoline_kernelINS0_13select_configILj256ELj13ELNS0_17block_load_methodE3ELS4_3ELS4_3ELNS0_20block_scan_algorithmE0ELj4294967295EEENS1_25partition_config_selectorILNS1_17partition_subalgoE3EjNS0_10empty_typeEbEEZZNS1_14partition_implILS8_3ELb0ES6_jNS0_17counting_iteratorIjlEEPS9_SE_NS0_5tupleIJPjSE_EEENSF_IJSE_SE_EEES9_SG_JZNS1_25segmented_radix_sort_implINS0_14default_configELb1EPKsPsPKlPlN2at6native12_GLOBAL__N_18offset_tEEE10hipError_tPvRmT1_PNSt15iterator_traitsISY_E10value_typeET2_T3_PNSZ_IS14_E10value_typeET4_jRbjT5_S1A_jjP12ihipStream_tbEUljE_EEESV_SW_SX_S14_S18_S1A_T6_T7_T9_mT8_S1C_bDpT10_ENKUlT_T0_E_clISt17integral_constantIbLb1EES1P_EEDaS1K_S1L_EUlS1K_E_NS1_11comp_targetILNS1_3genE5ELNS1_11target_archE942ELNS1_3gpuE9ELNS1_3repE0EEENS1_30default_config_static_selectorELNS0_4arch9wavefront6targetE0EEEvSY_,@function
_ZN7rocprim17ROCPRIM_400000_NS6detail17trampoline_kernelINS0_13select_configILj256ELj13ELNS0_17block_load_methodE3ELS4_3ELS4_3ELNS0_20block_scan_algorithmE0ELj4294967295EEENS1_25partition_config_selectorILNS1_17partition_subalgoE3EjNS0_10empty_typeEbEEZZNS1_14partition_implILS8_3ELb0ES6_jNS0_17counting_iteratorIjlEEPS9_SE_NS0_5tupleIJPjSE_EEENSF_IJSE_SE_EEES9_SG_JZNS1_25segmented_radix_sort_implINS0_14default_configELb1EPKsPsPKlPlN2at6native12_GLOBAL__N_18offset_tEEE10hipError_tPvRmT1_PNSt15iterator_traitsISY_E10value_typeET2_T3_PNSZ_IS14_E10value_typeET4_jRbjT5_S1A_jjP12ihipStream_tbEUljE_EEESV_SW_SX_S14_S18_S1A_T6_T7_T9_mT8_S1C_bDpT10_ENKUlT_T0_E_clISt17integral_constantIbLb1EES1P_EEDaS1K_S1L_EUlS1K_E_NS1_11comp_targetILNS1_3genE5ELNS1_11target_archE942ELNS1_3gpuE9ELNS1_3repE0EEENS1_30default_config_static_selectorELNS0_4arch9wavefront6targetE0EEEvSY_: ; @_ZN7rocprim17ROCPRIM_400000_NS6detail17trampoline_kernelINS0_13select_configILj256ELj13ELNS0_17block_load_methodE3ELS4_3ELS4_3ELNS0_20block_scan_algorithmE0ELj4294967295EEENS1_25partition_config_selectorILNS1_17partition_subalgoE3EjNS0_10empty_typeEbEEZZNS1_14partition_implILS8_3ELb0ES6_jNS0_17counting_iteratorIjlEEPS9_SE_NS0_5tupleIJPjSE_EEENSF_IJSE_SE_EEES9_SG_JZNS1_25segmented_radix_sort_implINS0_14default_configELb1EPKsPsPKlPlN2at6native12_GLOBAL__N_18offset_tEEE10hipError_tPvRmT1_PNSt15iterator_traitsISY_E10value_typeET2_T3_PNSZ_IS14_E10value_typeET4_jRbjT5_S1A_jjP12ihipStream_tbEUljE_EEESV_SW_SX_S14_S18_S1A_T6_T7_T9_mT8_S1C_bDpT10_ENKUlT_T0_E_clISt17integral_constantIbLb1EES1P_EEDaS1K_S1L_EUlS1K_E_NS1_11comp_targetILNS1_3genE5ELNS1_11target_archE942ELNS1_3gpuE9ELNS1_3repE0EEENS1_30default_config_static_selectorELNS0_4arch9wavefront6targetE0EEEvSY_
; %bb.0:
	.section	.rodata,"a",@progbits
	.p2align	6, 0x0
	.amdhsa_kernel _ZN7rocprim17ROCPRIM_400000_NS6detail17trampoline_kernelINS0_13select_configILj256ELj13ELNS0_17block_load_methodE3ELS4_3ELS4_3ELNS0_20block_scan_algorithmE0ELj4294967295EEENS1_25partition_config_selectorILNS1_17partition_subalgoE3EjNS0_10empty_typeEbEEZZNS1_14partition_implILS8_3ELb0ES6_jNS0_17counting_iteratorIjlEEPS9_SE_NS0_5tupleIJPjSE_EEENSF_IJSE_SE_EEES9_SG_JZNS1_25segmented_radix_sort_implINS0_14default_configELb1EPKsPsPKlPlN2at6native12_GLOBAL__N_18offset_tEEE10hipError_tPvRmT1_PNSt15iterator_traitsISY_E10value_typeET2_T3_PNSZ_IS14_E10value_typeET4_jRbjT5_S1A_jjP12ihipStream_tbEUljE_EEESV_SW_SX_S14_S18_S1A_T6_T7_T9_mT8_S1C_bDpT10_ENKUlT_T0_E_clISt17integral_constantIbLb1EES1P_EEDaS1K_S1L_EUlS1K_E_NS1_11comp_targetILNS1_3genE5ELNS1_11target_archE942ELNS1_3gpuE9ELNS1_3repE0EEENS1_30default_config_static_selectorELNS0_4arch9wavefront6targetE0EEEvSY_
		.amdhsa_group_segment_fixed_size 0
		.amdhsa_private_segment_fixed_size 0
		.amdhsa_kernarg_size 152
		.amdhsa_user_sgpr_count 2
		.amdhsa_user_sgpr_dispatch_ptr 0
		.amdhsa_user_sgpr_queue_ptr 0
		.amdhsa_user_sgpr_kernarg_segment_ptr 1
		.amdhsa_user_sgpr_dispatch_id 0
		.amdhsa_user_sgpr_kernarg_preload_length 0
		.amdhsa_user_sgpr_kernarg_preload_offset 0
		.amdhsa_user_sgpr_private_segment_size 0
		.amdhsa_wavefront_size32 1
		.amdhsa_uses_dynamic_stack 0
		.amdhsa_enable_private_segment 0
		.amdhsa_system_sgpr_workgroup_id_x 1
		.amdhsa_system_sgpr_workgroup_id_y 0
		.amdhsa_system_sgpr_workgroup_id_z 0
		.amdhsa_system_sgpr_workgroup_info 0
		.amdhsa_system_vgpr_workitem_id 0
		.amdhsa_next_free_vgpr 1
		.amdhsa_next_free_sgpr 1
		.amdhsa_named_barrier_count 0
		.amdhsa_reserve_vcc 0
		.amdhsa_float_round_mode_32 0
		.amdhsa_float_round_mode_16_64 0
		.amdhsa_float_denorm_mode_32 3
		.amdhsa_float_denorm_mode_16_64 3
		.amdhsa_fp16_overflow 0
		.amdhsa_memory_ordered 1
		.amdhsa_forward_progress 1
		.amdhsa_inst_pref_size 0
		.amdhsa_round_robin_scheduling 0
		.amdhsa_exception_fp_ieee_invalid_op 0
		.amdhsa_exception_fp_denorm_src 0
		.amdhsa_exception_fp_ieee_div_zero 0
		.amdhsa_exception_fp_ieee_overflow 0
		.amdhsa_exception_fp_ieee_underflow 0
		.amdhsa_exception_fp_ieee_inexact 0
		.amdhsa_exception_int_div_zero 0
	.end_amdhsa_kernel
	.section	.text._ZN7rocprim17ROCPRIM_400000_NS6detail17trampoline_kernelINS0_13select_configILj256ELj13ELNS0_17block_load_methodE3ELS4_3ELS4_3ELNS0_20block_scan_algorithmE0ELj4294967295EEENS1_25partition_config_selectorILNS1_17partition_subalgoE3EjNS0_10empty_typeEbEEZZNS1_14partition_implILS8_3ELb0ES6_jNS0_17counting_iteratorIjlEEPS9_SE_NS0_5tupleIJPjSE_EEENSF_IJSE_SE_EEES9_SG_JZNS1_25segmented_radix_sort_implINS0_14default_configELb1EPKsPsPKlPlN2at6native12_GLOBAL__N_18offset_tEEE10hipError_tPvRmT1_PNSt15iterator_traitsISY_E10value_typeET2_T3_PNSZ_IS14_E10value_typeET4_jRbjT5_S1A_jjP12ihipStream_tbEUljE_EEESV_SW_SX_S14_S18_S1A_T6_T7_T9_mT8_S1C_bDpT10_ENKUlT_T0_E_clISt17integral_constantIbLb1EES1P_EEDaS1K_S1L_EUlS1K_E_NS1_11comp_targetILNS1_3genE5ELNS1_11target_archE942ELNS1_3gpuE9ELNS1_3repE0EEENS1_30default_config_static_selectorELNS0_4arch9wavefront6targetE0EEEvSY_,"axG",@progbits,_ZN7rocprim17ROCPRIM_400000_NS6detail17trampoline_kernelINS0_13select_configILj256ELj13ELNS0_17block_load_methodE3ELS4_3ELS4_3ELNS0_20block_scan_algorithmE0ELj4294967295EEENS1_25partition_config_selectorILNS1_17partition_subalgoE3EjNS0_10empty_typeEbEEZZNS1_14partition_implILS8_3ELb0ES6_jNS0_17counting_iteratorIjlEEPS9_SE_NS0_5tupleIJPjSE_EEENSF_IJSE_SE_EEES9_SG_JZNS1_25segmented_radix_sort_implINS0_14default_configELb1EPKsPsPKlPlN2at6native12_GLOBAL__N_18offset_tEEE10hipError_tPvRmT1_PNSt15iterator_traitsISY_E10value_typeET2_T3_PNSZ_IS14_E10value_typeET4_jRbjT5_S1A_jjP12ihipStream_tbEUljE_EEESV_SW_SX_S14_S18_S1A_T6_T7_T9_mT8_S1C_bDpT10_ENKUlT_T0_E_clISt17integral_constantIbLb1EES1P_EEDaS1K_S1L_EUlS1K_E_NS1_11comp_targetILNS1_3genE5ELNS1_11target_archE942ELNS1_3gpuE9ELNS1_3repE0EEENS1_30default_config_static_selectorELNS0_4arch9wavefront6targetE0EEEvSY_,comdat
.Lfunc_end884:
	.size	_ZN7rocprim17ROCPRIM_400000_NS6detail17trampoline_kernelINS0_13select_configILj256ELj13ELNS0_17block_load_methodE3ELS4_3ELS4_3ELNS0_20block_scan_algorithmE0ELj4294967295EEENS1_25partition_config_selectorILNS1_17partition_subalgoE3EjNS0_10empty_typeEbEEZZNS1_14partition_implILS8_3ELb0ES6_jNS0_17counting_iteratorIjlEEPS9_SE_NS0_5tupleIJPjSE_EEENSF_IJSE_SE_EEES9_SG_JZNS1_25segmented_radix_sort_implINS0_14default_configELb1EPKsPsPKlPlN2at6native12_GLOBAL__N_18offset_tEEE10hipError_tPvRmT1_PNSt15iterator_traitsISY_E10value_typeET2_T3_PNSZ_IS14_E10value_typeET4_jRbjT5_S1A_jjP12ihipStream_tbEUljE_EEESV_SW_SX_S14_S18_S1A_T6_T7_T9_mT8_S1C_bDpT10_ENKUlT_T0_E_clISt17integral_constantIbLb1EES1P_EEDaS1K_S1L_EUlS1K_E_NS1_11comp_targetILNS1_3genE5ELNS1_11target_archE942ELNS1_3gpuE9ELNS1_3repE0EEENS1_30default_config_static_selectorELNS0_4arch9wavefront6targetE0EEEvSY_, .Lfunc_end884-_ZN7rocprim17ROCPRIM_400000_NS6detail17trampoline_kernelINS0_13select_configILj256ELj13ELNS0_17block_load_methodE3ELS4_3ELS4_3ELNS0_20block_scan_algorithmE0ELj4294967295EEENS1_25partition_config_selectorILNS1_17partition_subalgoE3EjNS0_10empty_typeEbEEZZNS1_14partition_implILS8_3ELb0ES6_jNS0_17counting_iteratorIjlEEPS9_SE_NS0_5tupleIJPjSE_EEENSF_IJSE_SE_EEES9_SG_JZNS1_25segmented_radix_sort_implINS0_14default_configELb1EPKsPsPKlPlN2at6native12_GLOBAL__N_18offset_tEEE10hipError_tPvRmT1_PNSt15iterator_traitsISY_E10value_typeET2_T3_PNSZ_IS14_E10value_typeET4_jRbjT5_S1A_jjP12ihipStream_tbEUljE_EEESV_SW_SX_S14_S18_S1A_T6_T7_T9_mT8_S1C_bDpT10_ENKUlT_T0_E_clISt17integral_constantIbLb1EES1P_EEDaS1K_S1L_EUlS1K_E_NS1_11comp_targetILNS1_3genE5ELNS1_11target_archE942ELNS1_3gpuE9ELNS1_3repE0EEENS1_30default_config_static_selectorELNS0_4arch9wavefront6targetE0EEEvSY_
                                        ; -- End function
	.set _ZN7rocprim17ROCPRIM_400000_NS6detail17trampoline_kernelINS0_13select_configILj256ELj13ELNS0_17block_load_methodE3ELS4_3ELS4_3ELNS0_20block_scan_algorithmE0ELj4294967295EEENS1_25partition_config_selectorILNS1_17partition_subalgoE3EjNS0_10empty_typeEbEEZZNS1_14partition_implILS8_3ELb0ES6_jNS0_17counting_iteratorIjlEEPS9_SE_NS0_5tupleIJPjSE_EEENSF_IJSE_SE_EEES9_SG_JZNS1_25segmented_radix_sort_implINS0_14default_configELb1EPKsPsPKlPlN2at6native12_GLOBAL__N_18offset_tEEE10hipError_tPvRmT1_PNSt15iterator_traitsISY_E10value_typeET2_T3_PNSZ_IS14_E10value_typeET4_jRbjT5_S1A_jjP12ihipStream_tbEUljE_EEESV_SW_SX_S14_S18_S1A_T6_T7_T9_mT8_S1C_bDpT10_ENKUlT_T0_E_clISt17integral_constantIbLb1EES1P_EEDaS1K_S1L_EUlS1K_E_NS1_11comp_targetILNS1_3genE5ELNS1_11target_archE942ELNS1_3gpuE9ELNS1_3repE0EEENS1_30default_config_static_selectorELNS0_4arch9wavefront6targetE0EEEvSY_.num_vgpr, 0
	.set _ZN7rocprim17ROCPRIM_400000_NS6detail17trampoline_kernelINS0_13select_configILj256ELj13ELNS0_17block_load_methodE3ELS4_3ELS4_3ELNS0_20block_scan_algorithmE0ELj4294967295EEENS1_25partition_config_selectorILNS1_17partition_subalgoE3EjNS0_10empty_typeEbEEZZNS1_14partition_implILS8_3ELb0ES6_jNS0_17counting_iteratorIjlEEPS9_SE_NS0_5tupleIJPjSE_EEENSF_IJSE_SE_EEES9_SG_JZNS1_25segmented_radix_sort_implINS0_14default_configELb1EPKsPsPKlPlN2at6native12_GLOBAL__N_18offset_tEEE10hipError_tPvRmT1_PNSt15iterator_traitsISY_E10value_typeET2_T3_PNSZ_IS14_E10value_typeET4_jRbjT5_S1A_jjP12ihipStream_tbEUljE_EEESV_SW_SX_S14_S18_S1A_T6_T7_T9_mT8_S1C_bDpT10_ENKUlT_T0_E_clISt17integral_constantIbLb1EES1P_EEDaS1K_S1L_EUlS1K_E_NS1_11comp_targetILNS1_3genE5ELNS1_11target_archE942ELNS1_3gpuE9ELNS1_3repE0EEENS1_30default_config_static_selectorELNS0_4arch9wavefront6targetE0EEEvSY_.num_agpr, 0
	.set _ZN7rocprim17ROCPRIM_400000_NS6detail17trampoline_kernelINS0_13select_configILj256ELj13ELNS0_17block_load_methodE3ELS4_3ELS4_3ELNS0_20block_scan_algorithmE0ELj4294967295EEENS1_25partition_config_selectorILNS1_17partition_subalgoE3EjNS0_10empty_typeEbEEZZNS1_14partition_implILS8_3ELb0ES6_jNS0_17counting_iteratorIjlEEPS9_SE_NS0_5tupleIJPjSE_EEENSF_IJSE_SE_EEES9_SG_JZNS1_25segmented_radix_sort_implINS0_14default_configELb1EPKsPsPKlPlN2at6native12_GLOBAL__N_18offset_tEEE10hipError_tPvRmT1_PNSt15iterator_traitsISY_E10value_typeET2_T3_PNSZ_IS14_E10value_typeET4_jRbjT5_S1A_jjP12ihipStream_tbEUljE_EEESV_SW_SX_S14_S18_S1A_T6_T7_T9_mT8_S1C_bDpT10_ENKUlT_T0_E_clISt17integral_constantIbLb1EES1P_EEDaS1K_S1L_EUlS1K_E_NS1_11comp_targetILNS1_3genE5ELNS1_11target_archE942ELNS1_3gpuE9ELNS1_3repE0EEENS1_30default_config_static_selectorELNS0_4arch9wavefront6targetE0EEEvSY_.numbered_sgpr, 0
	.set _ZN7rocprim17ROCPRIM_400000_NS6detail17trampoline_kernelINS0_13select_configILj256ELj13ELNS0_17block_load_methodE3ELS4_3ELS4_3ELNS0_20block_scan_algorithmE0ELj4294967295EEENS1_25partition_config_selectorILNS1_17partition_subalgoE3EjNS0_10empty_typeEbEEZZNS1_14partition_implILS8_3ELb0ES6_jNS0_17counting_iteratorIjlEEPS9_SE_NS0_5tupleIJPjSE_EEENSF_IJSE_SE_EEES9_SG_JZNS1_25segmented_radix_sort_implINS0_14default_configELb1EPKsPsPKlPlN2at6native12_GLOBAL__N_18offset_tEEE10hipError_tPvRmT1_PNSt15iterator_traitsISY_E10value_typeET2_T3_PNSZ_IS14_E10value_typeET4_jRbjT5_S1A_jjP12ihipStream_tbEUljE_EEESV_SW_SX_S14_S18_S1A_T6_T7_T9_mT8_S1C_bDpT10_ENKUlT_T0_E_clISt17integral_constantIbLb1EES1P_EEDaS1K_S1L_EUlS1K_E_NS1_11comp_targetILNS1_3genE5ELNS1_11target_archE942ELNS1_3gpuE9ELNS1_3repE0EEENS1_30default_config_static_selectorELNS0_4arch9wavefront6targetE0EEEvSY_.num_named_barrier, 0
	.set _ZN7rocprim17ROCPRIM_400000_NS6detail17trampoline_kernelINS0_13select_configILj256ELj13ELNS0_17block_load_methodE3ELS4_3ELS4_3ELNS0_20block_scan_algorithmE0ELj4294967295EEENS1_25partition_config_selectorILNS1_17partition_subalgoE3EjNS0_10empty_typeEbEEZZNS1_14partition_implILS8_3ELb0ES6_jNS0_17counting_iteratorIjlEEPS9_SE_NS0_5tupleIJPjSE_EEENSF_IJSE_SE_EEES9_SG_JZNS1_25segmented_radix_sort_implINS0_14default_configELb1EPKsPsPKlPlN2at6native12_GLOBAL__N_18offset_tEEE10hipError_tPvRmT1_PNSt15iterator_traitsISY_E10value_typeET2_T3_PNSZ_IS14_E10value_typeET4_jRbjT5_S1A_jjP12ihipStream_tbEUljE_EEESV_SW_SX_S14_S18_S1A_T6_T7_T9_mT8_S1C_bDpT10_ENKUlT_T0_E_clISt17integral_constantIbLb1EES1P_EEDaS1K_S1L_EUlS1K_E_NS1_11comp_targetILNS1_3genE5ELNS1_11target_archE942ELNS1_3gpuE9ELNS1_3repE0EEENS1_30default_config_static_selectorELNS0_4arch9wavefront6targetE0EEEvSY_.private_seg_size, 0
	.set _ZN7rocprim17ROCPRIM_400000_NS6detail17trampoline_kernelINS0_13select_configILj256ELj13ELNS0_17block_load_methodE3ELS4_3ELS4_3ELNS0_20block_scan_algorithmE0ELj4294967295EEENS1_25partition_config_selectorILNS1_17partition_subalgoE3EjNS0_10empty_typeEbEEZZNS1_14partition_implILS8_3ELb0ES6_jNS0_17counting_iteratorIjlEEPS9_SE_NS0_5tupleIJPjSE_EEENSF_IJSE_SE_EEES9_SG_JZNS1_25segmented_radix_sort_implINS0_14default_configELb1EPKsPsPKlPlN2at6native12_GLOBAL__N_18offset_tEEE10hipError_tPvRmT1_PNSt15iterator_traitsISY_E10value_typeET2_T3_PNSZ_IS14_E10value_typeET4_jRbjT5_S1A_jjP12ihipStream_tbEUljE_EEESV_SW_SX_S14_S18_S1A_T6_T7_T9_mT8_S1C_bDpT10_ENKUlT_T0_E_clISt17integral_constantIbLb1EES1P_EEDaS1K_S1L_EUlS1K_E_NS1_11comp_targetILNS1_3genE5ELNS1_11target_archE942ELNS1_3gpuE9ELNS1_3repE0EEENS1_30default_config_static_selectorELNS0_4arch9wavefront6targetE0EEEvSY_.uses_vcc, 0
	.set _ZN7rocprim17ROCPRIM_400000_NS6detail17trampoline_kernelINS0_13select_configILj256ELj13ELNS0_17block_load_methodE3ELS4_3ELS4_3ELNS0_20block_scan_algorithmE0ELj4294967295EEENS1_25partition_config_selectorILNS1_17partition_subalgoE3EjNS0_10empty_typeEbEEZZNS1_14partition_implILS8_3ELb0ES6_jNS0_17counting_iteratorIjlEEPS9_SE_NS0_5tupleIJPjSE_EEENSF_IJSE_SE_EEES9_SG_JZNS1_25segmented_radix_sort_implINS0_14default_configELb1EPKsPsPKlPlN2at6native12_GLOBAL__N_18offset_tEEE10hipError_tPvRmT1_PNSt15iterator_traitsISY_E10value_typeET2_T3_PNSZ_IS14_E10value_typeET4_jRbjT5_S1A_jjP12ihipStream_tbEUljE_EEESV_SW_SX_S14_S18_S1A_T6_T7_T9_mT8_S1C_bDpT10_ENKUlT_T0_E_clISt17integral_constantIbLb1EES1P_EEDaS1K_S1L_EUlS1K_E_NS1_11comp_targetILNS1_3genE5ELNS1_11target_archE942ELNS1_3gpuE9ELNS1_3repE0EEENS1_30default_config_static_selectorELNS0_4arch9wavefront6targetE0EEEvSY_.uses_flat_scratch, 0
	.set _ZN7rocprim17ROCPRIM_400000_NS6detail17trampoline_kernelINS0_13select_configILj256ELj13ELNS0_17block_load_methodE3ELS4_3ELS4_3ELNS0_20block_scan_algorithmE0ELj4294967295EEENS1_25partition_config_selectorILNS1_17partition_subalgoE3EjNS0_10empty_typeEbEEZZNS1_14partition_implILS8_3ELb0ES6_jNS0_17counting_iteratorIjlEEPS9_SE_NS0_5tupleIJPjSE_EEENSF_IJSE_SE_EEES9_SG_JZNS1_25segmented_radix_sort_implINS0_14default_configELb1EPKsPsPKlPlN2at6native12_GLOBAL__N_18offset_tEEE10hipError_tPvRmT1_PNSt15iterator_traitsISY_E10value_typeET2_T3_PNSZ_IS14_E10value_typeET4_jRbjT5_S1A_jjP12ihipStream_tbEUljE_EEESV_SW_SX_S14_S18_S1A_T6_T7_T9_mT8_S1C_bDpT10_ENKUlT_T0_E_clISt17integral_constantIbLb1EES1P_EEDaS1K_S1L_EUlS1K_E_NS1_11comp_targetILNS1_3genE5ELNS1_11target_archE942ELNS1_3gpuE9ELNS1_3repE0EEENS1_30default_config_static_selectorELNS0_4arch9wavefront6targetE0EEEvSY_.has_dyn_sized_stack, 0
	.set _ZN7rocprim17ROCPRIM_400000_NS6detail17trampoline_kernelINS0_13select_configILj256ELj13ELNS0_17block_load_methodE3ELS4_3ELS4_3ELNS0_20block_scan_algorithmE0ELj4294967295EEENS1_25partition_config_selectorILNS1_17partition_subalgoE3EjNS0_10empty_typeEbEEZZNS1_14partition_implILS8_3ELb0ES6_jNS0_17counting_iteratorIjlEEPS9_SE_NS0_5tupleIJPjSE_EEENSF_IJSE_SE_EEES9_SG_JZNS1_25segmented_radix_sort_implINS0_14default_configELb1EPKsPsPKlPlN2at6native12_GLOBAL__N_18offset_tEEE10hipError_tPvRmT1_PNSt15iterator_traitsISY_E10value_typeET2_T3_PNSZ_IS14_E10value_typeET4_jRbjT5_S1A_jjP12ihipStream_tbEUljE_EEESV_SW_SX_S14_S18_S1A_T6_T7_T9_mT8_S1C_bDpT10_ENKUlT_T0_E_clISt17integral_constantIbLb1EES1P_EEDaS1K_S1L_EUlS1K_E_NS1_11comp_targetILNS1_3genE5ELNS1_11target_archE942ELNS1_3gpuE9ELNS1_3repE0EEENS1_30default_config_static_selectorELNS0_4arch9wavefront6targetE0EEEvSY_.has_recursion, 0
	.set _ZN7rocprim17ROCPRIM_400000_NS6detail17trampoline_kernelINS0_13select_configILj256ELj13ELNS0_17block_load_methodE3ELS4_3ELS4_3ELNS0_20block_scan_algorithmE0ELj4294967295EEENS1_25partition_config_selectorILNS1_17partition_subalgoE3EjNS0_10empty_typeEbEEZZNS1_14partition_implILS8_3ELb0ES6_jNS0_17counting_iteratorIjlEEPS9_SE_NS0_5tupleIJPjSE_EEENSF_IJSE_SE_EEES9_SG_JZNS1_25segmented_radix_sort_implINS0_14default_configELb1EPKsPsPKlPlN2at6native12_GLOBAL__N_18offset_tEEE10hipError_tPvRmT1_PNSt15iterator_traitsISY_E10value_typeET2_T3_PNSZ_IS14_E10value_typeET4_jRbjT5_S1A_jjP12ihipStream_tbEUljE_EEESV_SW_SX_S14_S18_S1A_T6_T7_T9_mT8_S1C_bDpT10_ENKUlT_T0_E_clISt17integral_constantIbLb1EES1P_EEDaS1K_S1L_EUlS1K_E_NS1_11comp_targetILNS1_3genE5ELNS1_11target_archE942ELNS1_3gpuE9ELNS1_3repE0EEENS1_30default_config_static_selectorELNS0_4arch9wavefront6targetE0EEEvSY_.has_indirect_call, 0
	.section	.AMDGPU.csdata,"",@progbits
; Kernel info:
; codeLenInByte = 0
; TotalNumSgprs: 0
; NumVgprs: 0
; ScratchSize: 0
; MemoryBound: 0
; FloatMode: 240
; IeeeMode: 1
; LDSByteSize: 0 bytes/workgroup (compile time only)
; SGPRBlocks: 0
; VGPRBlocks: 0
; NumSGPRsForWavesPerEU: 1
; NumVGPRsForWavesPerEU: 1
; NamedBarCnt: 0
; Occupancy: 16
; WaveLimiterHint : 0
; COMPUTE_PGM_RSRC2:SCRATCH_EN: 0
; COMPUTE_PGM_RSRC2:USER_SGPR: 2
; COMPUTE_PGM_RSRC2:TRAP_HANDLER: 0
; COMPUTE_PGM_RSRC2:TGID_X_EN: 1
; COMPUTE_PGM_RSRC2:TGID_Y_EN: 0
; COMPUTE_PGM_RSRC2:TGID_Z_EN: 0
; COMPUTE_PGM_RSRC2:TIDIG_COMP_CNT: 0
	.section	.text._ZN7rocprim17ROCPRIM_400000_NS6detail17trampoline_kernelINS0_13select_configILj256ELj13ELNS0_17block_load_methodE3ELS4_3ELS4_3ELNS0_20block_scan_algorithmE0ELj4294967295EEENS1_25partition_config_selectorILNS1_17partition_subalgoE3EjNS0_10empty_typeEbEEZZNS1_14partition_implILS8_3ELb0ES6_jNS0_17counting_iteratorIjlEEPS9_SE_NS0_5tupleIJPjSE_EEENSF_IJSE_SE_EEES9_SG_JZNS1_25segmented_radix_sort_implINS0_14default_configELb1EPKsPsPKlPlN2at6native12_GLOBAL__N_18offset_tEEE10hipError_tPvRmT1_PNSt15iterator_traitsISY_E10value_typeET2_T3_PNSZ_IS14_E10value_typeET4_jRbjT5_S1A_jjP12ihipStream_tbEUljE_EEESV_SW_SX_S14_S18_S1A_T6_T7_T9_mT8_S1C_bDpT10_ENKUlT_T0_E_clISt17integral_constantIbLb1EES1P_EEDaS1K_S1L_EUlS1K_E_NS1_11comp_targetILNS1_3genE4ELNS1_11target_archE910ELNS1_3gpuE8ELNS1_3repE0EEENS1_30default_config_static_selectorELNS0_4arch9wavefront6targetE0EEEvSY_,"axG",@progbits,_ZN7rocprim17ROCPRIM_400000_NS6detail17trampoline_kernelINS0_13select_configILj256ELj13ELNS0_17block_load_methodE3ELS4_3ELS4_3ELNS0_20block_scan_algorithmE0ELj4294967295EEENS1_25partition_config_selectorILNS1_17partition_subalgoE3EjNS0_10empty_typeEbEEZZNS1_14partition_implILS8_3ELb0ES6_jNS0_17counting_iteratorIjlEEPS9_SE_NS0_5tupleIJPjSE_EEENSF_IJSE_SE_EEES9_SG_JZNS1_25segmented_radix_sort_implINS0_14default_configELb1EPKsPsPKlPlN2at6native12_GLOBAL__N_18offset_tEEE10hipError_tPvRmT1_PNSt15iterator_traitsISY_E10value_typeET2_T3_PNSZ_IS14_E10value_typeET4_jRbjT5_S1A_jjP12ihipStream_tbEUljE_EEESV_SW_SX_S14_S18_S1A_T6_T7_T9_mT8_S1C_bDpT10_ENKUlT_T0_E_clISt17integral_constantIbLb1EES1P_EEDaS1K_S1L_EUlS1K_E_NS1_11comp_targetILNS1_3genE4ELNS1_11target_archE910ELNS1_3gpuE8ELNS1_3repE0EEENS1_30default_config_static_selectorELNS0_4arch9wavefront6targetE0EEEvSY_,comdat
	.globl	_ZN7rocprim17ROCPRIM_400000_NS6detail17trampoline_kernelINS0_13select_configILj256ELj13ELNS0_17block_load_methodE3ELS4_3ELS4_3ELNS0_20block_scan_algorithmE0ELj4294967295EEENS1_25partition_config_selectorILNS1_17partition_subalgoE3EjNS0_10empty_typeEbEEZZNS1_14partition_implILS8_3ELb0ES6_jNS0_17counting_iteratorIjlEEPS9_SE_NS0_5tupleIJPjSE_EEENSF_IJSE_SE_EEES9_SG_JZNS1_25segmented_radix_sort_implINS0_14default_configELb1EPKsPsPKlPlN2at6native12_GLOBAL__N_18offset_tEEE10hipError_tPvRmT1_PNSt15iterator_traitsISY_E10value_typeET2_T3_PNSZ_IS14_E10value_typeET4_jRbjT5_S1A_jjP12ihipStream_tbEUljE_EEESV_SW_SX_S14_S18_S1A_T6_T7_T9_mT8_S1C_bDpT10_ENKUlT_T0_E_clISt17integral_constantIbLb1EES1P_EEDaS1K_S1L_EUlS1K_E_NS1_11comp_targetILNS1_3genE4ELNS1_11target_archE910ELNS1_3gpuE8ELNS1_3repE0EEENS1_30default_config_static_selectorELNS0_4arch9wavefront6targetE0EEEvSY_ ; -- Begin function _ZN7rocprim17ROCPRIM_400000_NS6detail17trampoline_kernelINS0_13select_configILj256ELj13ELNS0_17block_load_methodE3ELS4_3ELS4_3ELNS0_20block_scan_algorithmE0ELj4294967295EEENS1_25partition_config_selectorILNS1_17partition_subalgoE3EjNS0_10empty_typeEbEEZZNS1_14partition_implILS8_3ELb0ES6_jNS0_17counting_iteratorIjlEEPS9_SE_NS0_5tupleIJPjSE_EEENSF_IJSE_SE_EEES9_SG_JZNS1_25segmented_radix_sort_implINS0_14default_configELb1EPKsPsPKlPlN2at6native12_GLOBAL__N_18offset_tEEE10hipError_tPvRmT1_PNSt15iterator_traitsISY_E10value_typeET2_T3_PNSZ_IS14_E10value_typeET4_jRbjT5_S1A_jjP12ihipStream_tbEUljE_EEESV_SW_SX_S14_S18_S1A_T6_T7_T9_mT8_S1C_bDpT10_ENKUlT_T0_E_clISt17integral_constantIbLb1EES1P_EEDaS1K_S1L_EUlS1K_E_NS1_11comp_targetILNS1_3genE4ELNS1_11target_archE910ELNS1_3gpuE8ELNS1_3repE0EEENS1_30default_config_static_selectorELNS0_4arch9wavefront6targetE0EEEvSY_
	.p2align	8
	.type	_ZN7rocprim17ROCPRIM_400000_NS6detail17trampoline_kernelINS0_13select_configILj256ELj13ELNS0_17block_load_methodE3ELS4_3ELS4_3ELNS0_20block_scan_algorithmE0ELj4294967295EEENS1_25partition_config_selectorILNS1_17partition_subalgoE3EjNS0_10empty_typeEbEEZZNS1_14partition_implILS8_3ELb0ES6_jNS0_17counting_iteratorIjlEEPS9_SE_NS0_5tupleIJPjSE_EEENSF_IJSE_SE_EEES9_SG_JZNS1_25segmented_radix_sort_implINS0_14default_configELb1EPKsPsPKlPlN2at6native12_GLOBAL__N_18offset_tEEE10hipError_tPvRmT1_PNSt15iterator_traitsISY_E10value_typeET2_T3_PNSZ_IS14_E10value_typeET4_jRbjT5_S1A_jjP12ihipStream_tbEUljE_EEESV_SW_SX_S14_S18_S1A_T6_T7_T9_mT8_S1C_bDpT10_ENKUlT_T0_E_clISt17integral_constantIbLb1EES1P_EEDaS1K_S1L_EUlS1K_E_NS1_11comp_targetILNS1_3genE4ELNS1_11target_archE910ELNS1_3gpuE8ELNS1_3repE0EEENS1_30default_config_static_selectorELNS0_4arch9wavefront6targetE0EEEvSY_,@function
_ZN7rocprim17ROCPRIM_400000_NS6detail17trampoline_kernelINS0_13select_configILj256ELj13ELNS0_17block_load_methodE3ELS4_3ELS4_3ELNS0_20block_scan_algorithmE0ELj4294967295EEENS1_25partition_config_selectorILNS1_17partition_subalgoE3EjNS0_10empty_typeEbEEZZNS1_14partition_implILS8_3ELb0ES6_jNS0_17counting_iteratorIjlEEPS9_SE_NS0_5tupleIJPjSE_EEENSF_IJSE_SE_EEES9_SG_JZNS1_25segmented_radix_sort_implINS0_14default_configELb1EPKsPsPKlPlN2at6native12_GLOBAL__N_18offset_tEEE10hipError_tPvRmT1_PNSt15iterator_traitsISY_E10value_typeET2_T3_PNSZ_IS14_E10value_typeET4_jRbjT5_S1A_jjP12ihipStream_tbEUljE_EEESV_SW_SX_S14_S18_S1A_T6_T7_T9_mT8_S1C_bDpT10_ENKUlT_T0_E_clISt17integral_constantIbLb1EES1P_EEDaS1K_S1L_EUlS1K_E_NS1_11comp_targetILNS1_3genE4ELNS1_11target_archE910ELNS1_3gpuE8ELNS1_3repE0EEENS1_30default_config_static_selectorELNS0_4arch9wavefront6targetE0EEEvSY_: ; @_ZN7rocprim17ROCPRIM_400000_NS6detail17trampoline_kernelINS0_13select_configILj256ELj13ELNS0_17block_load_methodE3ELS4_3ELS4_3ELNS0_20block_scan_algorithmE0ELj4294967295EEENS1_25partition_config_selectorILNS1_17partition_subalgoE3EjNS0_10empty_typeEbEEZZNS1_14partition_implILS8_3ELb0ES6_jNS0_17counting_iteratorIjlEEPS9_SE_NS0_5tupleIJPjSE_EEENSF_IJSE_SE_EEES9_SG_JZNS1_25segmented_radix_sort_implINS0_14default_configELb1EPKsPsPKlPlN2at6native12_GLOBAL__N_18offset_tEEE10hipError_tPvRmT1_PNSt15iterator_traitsISY_E10value_typeET2_T3_PNSZ_IS14_E10value_typeET4_jRbjT5_S1A_jjP12ihipStream_tbEUljE_EEESV_SW_SX_S14_S18_S1A_T6_T7_T9_mT8_S1C_bDpT10_ENKUlT_T0_E_clISt17integral_constantIbLb1EES1P_EEDaS1K_S1L_EUlS1K_E_NS1_11comp_targetILNS1_3genE4ELNS1_11target_archE910ELNS1_3gpuE8ELNS1_3repE0EEENS1_30default_config_static_selectorELNS0_4arch9wavefront6targetE0EEEvSY_
; %bb.0:
	.section	.rodata,"a",@progbits
	.p2align	6, 0x0
	.amdhsa_kernel _ZN7rocprim17ROCPRIM_400000_NS6detail17trampoline_kernelINS0_13select_configILj256ELj13ELNS0_17block_load_methodE3ELS4_3ELS4_3ELNS0_20block_scan_algorithmE0ELj4294967295EEENS1_25partition_config_selectorILNS1_17partition_subalgoE3EjNS0_10empty_typeEbEEZZNS1_14partition_implILS8_3ELb0ES6_jNS0_17counting_iteratorIjlEEPS9_SE_NS0_5tupleIJPjSE_EEENSF_IJSE_SE_EEES9_SG_JZNS1_25segmented_radix_sort_implINS0_14default_configELb1EPKsPsPKlPlN2at6native12_GLOBAL__N_18offset_tEEE10hipError_tPvRmT1_PNSt15iterator_traitsISY_E10value_typeET2_T3_PNSZ_IS14_E10value_typeET4_jRbjT5_S1A_jjP12ihipStream_tbEUljE_EEESV_SW_SX_S14_S18_S1A_T6_T7_T9_mT8_S1C_bDpT10_ENKUlT_T0_E_clISt17integral_constantIbLb1EES1P_EEDaS1K_S1L_EUlS1K_E_NS1_11comp_targetILNS1_3genE4ELNS1_11target_archE910ELNS1_3gpuE8ELNS1_3repE0EEENS1_30default_config_static_selectorELNS0_4arch9wavefront6targetE0EEEvSY_
		.amdhsa_group_segment_fixed_size 0
		.amdhsa_private_segment_fixed_size 0
		.amdhsa_kernarg_size 152
		.amdhsa_user_sgpr_count 2
		.amdhsa_user_sgpr_dispatch_ptr 0
		.amdhsa_user_sgpr_queue_ptr 0
		.amdhsa_user_sgpr_kernarg_segment_ptr 1
		.amdhsa_user_sgpr_dispatch_id 0
		.amdhsa_user_sgpr_kernarg_preload_length 0
		.amdhsa_user_sgpr_kernarg_preload_offset 0
		.amdhsa_user_sgpr_private_segment_size 0
		.amdhsa_wavefront_size32 1
		.amdhsa_uses_dynamic_stack 0
		.amdhsa_enable_private_segment 0
		.amdhsa_system_sgpr_workgroup_id_x 1
		.amdhsa_system_sgpr_workgroup_id_y 0
		.amdhsa_system_sgpr_workgroup_id_z 0
		.amdhsa_system_sgpr_workgroup_info 0
		.amdhsa_system_vgpr_workitem_id 0
		.amdhsa_next_free_vgpr 1
		.amdhsa_next_free_sgpr 1
		.amdhsa_named_barrier_count 0
		.amdhsa_reserve_vcc 0
		.amdhsa_float_round_mode_32 0
		.amdhsa_float_round_mode_16_64 0
		.amdhsa_float_denorm_mode_32 3
		.amdhsa_float_denorm_mode_16_64 3
		.amdhsa_fp16_overflow 0
		.amdhsa_memory_ordered 1
		.amdhsa_forward_progress 1
		.amdhsa_inst_pref_size 0
		.amdhsa_round_robin_scheduling 0
		.amdhsa_exception_fp_ieee_invalid_op 0
		.amdhsa_exception_fp_denorm_src 0
		.amdhsa_exception_fp_ieee_div_zero 0
		.amdhsa_exception_fp_ieee_overflow 0
		.amdhsa_exception_fp_ieee_underflow 0
		.amdhsa_exception_fp_ieee_inexact 0
		.amdhsa_exception_int_div_zero 0
	.end_amdhsa_kernel
	.section	.text._ZN7rocprim17ROCPRIM_400000_NS6detail17trampoline_kernelINS0_13select_configILj256ELj13ELNS0_17block_load_methodE3ELS4_3ELS4_3ELNS0_20block_scan_algorithmE0ELj4294967295EEENS1_25partition_config_selectorILNS1_17partition_subalgoE3EjNS0_10empty_typeEbEEZZNS1_14partition_implILS8_3ELb0ES6_jNS0_17counting_iteratorIjlEEPS9_SE_NS0_5tupleIJPjSE_EEENSF_IJSE_SE_EEES9_SG_JZNS1_25segmented_radix_sort_implINS0_14default_configELb1EPKsPsPKlPlN2at6native12_GLOBAL__N_18offset_tEEE10hipError_tPvRmT1_PNSt15iterator_traitsISY_E10value_typeET2_T3_PNSZ_IS14_E10value_typeET4_jRbjT5_S1A_jjP12ihipStream_tbEUljE_EEESV_SW_SX_S14_S18_S1A_T6_T7_T9_mT8_S1C_bDpT10_ENKUlT_T0_E_clISt17integral_constantIbLb1EES1P_EEDaS1K_S1L_EUlS1K_E_NS1_11comp_targetILNS1_3genE4ELNS1_11target_archE910ELNS1_3gpuE8ELNS1_3repE0EEENS1_30default_config_static_selectorELNS0_4arch9wavefront6targetE0EEEvSY_,"axG",@progbits,_ZN7rocprim17ROCPRIM_400000_NS6detail17trampoline_kernelINS0_13select_configILj256ELj13ELNS0_17block_load_methodE3ELS4_3ELS4_3ELNS0_20block_scan_algorithmE0ELj4294967295EEENS1_25partition_config_selectorILNS1_17partition_subalgoE3EjNS0_10empty_typeEbEEZZNS1_14partition_implILS8_3ELb0ES6_jNS0_17counting_iteratorIjlEEPS9_SE_NS0_5tupleIJPjSE_EEENSF_IJSE_SE_EEES9_SG_JZNS1_25segmented_radix_sort_implINS0_14default_configELb1EPKsPsPKlPlN2at6native12_GLOBAL__N_18offset_tEEE10hipError_tPvRmT1_PNSt15iterator_traitsISY_E10value_typeET2_T3_PNSZ_IS14_E10value_typeET4_jRbjT5_S1A_jjP12ihipStream_tbEUljE_EEESV_SW_SX_S14_S18_S1A_T6_T7_T9_mT8_S1C_bDpT10_ENKUlT_T0_E_clISt17integral_constantIbLb1EES1P_EEDaS1K_S1L_EUlS1K_E_NS1_11comp_targetILNS1_3genE4ELNS1_11target_archE910ELNS1_3gpuE8ELNS1_3repE0EEENS1_30default_config_static_selectorELNS0_4arch9wavefront6targetE0EEEvSY_,comdat
.Lfunc_end885:
	.size	_ZN7rocprim17ROCPRIM_400000_NS6detail17trampoline_kernelINS0_13select_configILj256ELj13ELNS0_17block_load_methodE3ELS4_3ELS4_3ELNS0_20block_scan_algorithmE0ELj4294967295EEENS1_25partition_config_selectorILNS1_17partition_subalgoE3EjNS0_10empty_typeEbEEZZNS1_14partition_implILS8_3ELb0ES6_jNS0_17counting_iteratorIjlEEPS9_SE_NS0_5tupleIJPjSE_EEENSF_IJSE_SE_EEES9_SG_JZNS1_25segmented_radix_sort_implINS0_14default_configELb1EPKsPsPKlPlN2at6native12_GLOBAL__N_18offset_tEEE10hipError_tPvRmT1_PNSt15iterator_traitsISY_E10value_typeET2_T3_PNSZ_IS14_E10value_typeET4_jRbjT5_S1A_jjP12ihipStream_tbEUljE_EEESV_SW_SX_S14_S18_S1A_T6_T7_T9_mT8_S1C_bDpT10_ENKUlT_T0_E_clISt17integral_constantIbLb1EES1P_EEDaS1K_S1L_EUlS1K_E_NS1_11comp_targetILNS1_3genE4ELNS1_11target_archE910ELNS1_3gpuE8ELNS1_3repE0EEENS1_30default_config_static_selectorELNS0_4arch9wavefront6targetE0EEEvSY_, .Lfunc_end885-_ZN7rocprim17ROCPRIM_400000_NS6detail17trampoline_kernelINS0_13select_configILj256ELj13ELNS0_17block_load_methodE3ELS4_3ELS4_3ELNS0_20block_scan_algorithmE0ELj4294967295EEENS1_25partition_config_selectorILNS1_17partition_subalgoE3EjNS0_10empty_typeEbEEZZNS1_14partition_implILS8_3ELb0ES6_jNS0_17counting_iteratorIjlEEPS9_SE_NS0_5tupleIJPjSE_EEENSF_IJSE_SE_EEES9_SG_JZNS1_25segmented_radix_sort_implINS0_14default_configELb1EPKsPsPKlPlN2at6native12_GLOBAL__N_18offset_tEEE10hipError_tPvRmT1_PNSt15iterator_traitsISY_E10value_typeET2_T3_PNSZ_IS14_E10value_typeET4_jRbjT5_S1A_jjP12ihipStream_tbEUljE_EEESV_SW_SX_S14_S18_S1A_T6_T7_T9_mT8_S1C_bDpT10_ENKUlT_T0_E_clISt17integral_constantIbLb1EES1P_EEDaS1K_S1L_EUlS1K_E_NS1_11comp_targetILNS1_3genE4ELNS1_11target_archE910ELNS1_3gpuE8ELNS1_3repE0EEENS1_30default_config_static_selectorELNS0_4arch9wavefront6targetE0EEEvSY_
                                        ; -- End function
	.set _ZN7rocprim17ROCPRIM_400000_NS6detail17trampoline_kernelINS0_13select_configILj256ELj13ELNS0_17block_load_methodE3ELS4_3ELS4_3ELNS0_20block_scan_algorithmE0ELj4294967295EEENS1_25partition_config_selectorILNS1_17partition_subalgoE3EjNS0_10empty_typeEbEEZZNS1_14partition_implILS8_3ELb0ES6_jNS0_17counting_iteratorIjlEEPS9_SE_NS0_5tupleIJPjSE_EEENSF_IJSE_SE_EEES9_SG_JZNS1_25segmented_radix_sort_implINS0_14default_configELb1EPKsPsPKlPlN2at6native12_GLOBAL__N_18offset_tEEE10hipError_tPvRmT1_PNSt15iterator_traitsISY_E10value_typeET2_T3_PNSZ_IS14_E10value_typeET4_jRbjT5_S1A_jjP12ihipStream_tbEUljE_EEESV_SW_SX_S14_S18_S1A_T6_T7_T9_mT8_S1C_bDpT10_ENKUlT_T0_E_clISt17integral_constantIbLb1EES1P_EEDaS1K_S1L_EUlS1K_E_NS1_11comp_targetILNS1_3genE4ELNS1_11target_archE910ELNS1_3gpuE8ELNS1_3repE0EEENS1_30default_config_static_selectorELNS0_4arch9wavefront6targetE0EEEvSY_.num_vgpr, 0
	.set _ZN7rocprim17ROCPRIM_400000_NS6detail17trampoline_kernelINS0_13select_configILj256ELj13ELNS0_17block_load_methodE3ELS4_3ELS4_3ELNS0_20block_scan_algorithmE0ELj4294967295EEENS1_25partition_config_selectorILNS1_17partition_subalgoE3EjNS0_10empty_typeEbEEZZNS1_14partition_implILS8_3ELb0ES6_jNS0_17counting_iteratorIjlEEPS9_SE_NS0_5tupleIJPjSE_EEENSF_IJSE_SE_EEES9_SG_JZNS1_25segmented_radix_sort_implINS0_14default_configELb1EPKsPsPKlPlN2at6native12_GLOBAL__N_18offset_tEEE10hipError_tPvRmT1_PNSt15iterator_traitsISY_E10value_typeET2_T3_PNSZ_IS14_E10value_typeET4_jRbjT5_S1A_jjP12ihipStream_tbEUljE_EEESV_SW_SX_S14_S18_S1A_T6_T7_T9_mT8_S1C_bDpT10_ENKUlT_T0_E_clISt17integral_constantIbLb1EES1P_EEDaS1K_S1L_EUlS1K_E_NS1_11comp_targetILNS1_3genE4ELNS1_11target_archE910ELNS1_3gpuE8ELNS1_3repE0EEENS1_30default_config_static_selectorELNS0_4arch9wavefront6targetE0EEEvSY_.num_agpr, 0
	.set _ZN7rocprim17ROCPRIM_400000_NS6detail17trampoline_kernelINS0_13select_configILj256ELj13ELNS0_17block_load_methodE3ELS4_3ELS4_3ELNS0_20block_scan_algorithmE0ELj4294967295EEENS1_25partition_config_selectorILNS1_17partition_subalgoE3EjNS0_10empty_typeEbEEZZNS1_14partition_implILS8_3ELb0ES6_jNS0_17counting_iteratorIjlEEPS9_SE_NS0_5tupleIJPjSE_EEENSF_IJSE_SE_EEES9_SG_JZNS1_25segmented_radix_sort_implINS0_14default_configELb1EPKsPsPKlPlN2at6native12_GLOBAL__N_18offset_tEEE10hipError_tPvRmT1_PNSt15iterator_traitsISY_E10value_typeET2_T3_PNSZ_IS14_E10value_typeET4_jRbjT5_S1A_jjP12ihipStream_tbEUljE_EEESV_SW_SX_S14_S18_S1A_T6_T7_T9_mT8_S1C_bDpT10_ENKUlT_T0_E_clISt17integral_constantIbLb1EES1P_EEDaS1K_S1L_EUlS1K_E_NS1_11comp_targetILNS1_3genE4ELNS1_11target_archE910ELNS1_3gpuE8ELNS1_3repE0EEENS1_30default_config_static_selectorELNS0_4arch9wavefront6targetE0EEEvSY_.numbered_sgpr, 0
	.set _ZN7rocprim17ROCPRIM_400000_NS6detail17trampoline_kernelINS0_13select_configILj256ELj13ELNS0_17block_load_methodE3ELS4_3ELS4_3ELNS0_20block_scan_algorithmE0ELj4294967295EEENS1_25partition_config_selectorILNS1_17partition_subalgoE3EjNS0_10empty_typeEbEEZZNS1_14partition_implILS8_3ELb0ES6_jNS0_17counting_iteratorIjlEEPS9_SE_NS0_5tupleIJPjSE_EEENSF_IJSE_SE_EEES9_SG_JZNS1_25segmented_radix_sort_implINS0_14default_configELb1EPKsPsPKlPlN2at6native12_GLOBAL__N_18offset_tEEE10hipError_tPvRmT1_PNSt15iterator_traitsISY_E10value_typeET2_T3_PNSZ_IS14_E10value_typeET4_jRbjT5_S1A_jjP12ihipStream_tbEUljE_EEESV_SW_SX_S14_S18_S1A_T6_T7_T9_mT8_S1C_bDpT10_ENKUlT_T0_E_clISt17integral_constantIbLb1EES1P_EEDaS1K_S1L_EUlS1K_E_NS1_11comp_targetILNS1_3genE4ELNS1_11target_archE910ELNS1_3gpuE8ELNS1_3repE0EEENS1_30default_config_static_selectorELNS0_4arch9wavefront6targetE0EEEvSY_.num_named_barrier, 0
	.set _ZN7rocprim17ROCPRIM_400000_NS6detail17trampoline_kernelINS0_13select_configILj256ELj13ELNS0_17block_load_methodE3ELS4_3ELS4_3ELNS0_20block_scan_algorithmE0ELj4294967295EEENS1_25partition_config_selectorILNS1_17partition_subalgoE3EjNS0_10empty_typeEbEEZZNS1_14partition_implILS8_3ELb0ES6_jNS0_17counting_iteratorIjlEEPS9_SE_NS0_5tupleIJPjSE_EEENSF_IJSE_SE_EEES9_SG_JZNS1_25segmented_radix_sort_implINS0_14default_configELb1EPKsPsPKlPlN2at6native12_GLOBAL__N_18offset_tEEE10hipError_tPvRmT1_PNSt15iterator_traitsISY_E10value_typeET2_T3_PNSZ_IS14_E10value_typeET4_jRbjT5_S1A_jjP12ihipStream_tbEUljE_EEESV_SW_SX_S14_S18_S1A_T6_T7_T9_mT8_S1C_bDpT10_ENKUlT_T0_E_clISt17integral_constantIbLb1EES1P_EEDaS1K_S1L_EUlS1K_E_NS1_11comp_targetILNS1_3genE4ELNS1_11target_archE910ELNS1_3gpuE8ELNS1_3repE0EEENS1_30default_config_static_selectorELNS0_4arch9wavefront6targetE0EEEvSY_.private_seg_size, 0
	.set _ZN7rocprim17ROCPRIM_400000_NS6detail17trampoline_kernelINS0_13select_configILj256ELj13ELNS0_17block_load_methodE3ELS4_3ELS4_3ELNS0_20block_scan_algorithmE0ELj4294967295EEENS1_25partition_config_selectorILNS1_17partition_subalgoE3EjNS0_10empty_typeEbEEZZNS1_14partition_implILS8_3ELb0ES6_jNS0_17counting_iteratorIjlEEPS9_SE_NS0_5tupleIJPjSE_EEENSF_IJSE_SE_EEES9_SG_JZNS1_25segmented_radix_sort_implINS0_14default_configELb1EPKsPsPKlPlN2at6native12_GLOBAL__N_18offset_tEEE10hipError_tPvRmT1_PNSt15iterator_traitsISY_E10value_typeET2_T3_PNSZ_IS14_E10value_typeET4_jRbjT5_S1A_jjP12ihipStream_tbEUljE_EEESV_SW_SX_S14_S18_S1A_T6_T7_T9_mT8_S1C_bDpT10_ENKUlT_T0_E_clISt17integral_constantIbLb1EES1P_EEDaS1K_S1L_EUlS1K_E_NS1_11comp_targetILNS1_3genE4ELNS1_11target_archE910ELNS1_3gpuE8ELNS1_3repE0EEENS1_30default_config_static_selectorELNS0_4arch9wavefront6targetE0EEEvSY_.uses_vcc, 0
	.set _ZN7rocprim17ROCPRIM_400000_NS6detail17trampoline_kernelINS0_13select_configILj256ELj13ELNS0_17block_load_methodE3ELS4_3ELS4_3ELNS0_20block_scan_algorithmE0ELj4294967295EEENS1_25partition_config_selectorILNS1_17partition_subalgoE3EjNS0_10empty_typeEbEEZZNS1_14partition_implILS8_3ELb0ES6_jNS0_17counting_iteratorIjlEEPS9_SE_NS0_5tupleIJPjSE_EEENSF_IJSE_SE_EEES9_SG_JZNS1_25segmented_radix_sort_implINS0_14default_configELb1EPKsPsPKlPlN2at6native12_GLOBAL__N_18offset_tEEE10hipError_tPvRmT1_PNSt15iterator_traitsISY_E10value_typeET2_T3_PNSZ_IS14_E10value_typeET4_jRbjT5_S1A_jjP12ihipStream_tbEUljE_EEESV_SW_SX_S14_S18_S1A_T6_T7_T9_mT8_S1C_bDpT10_ENKUlT_T0_E_clISt17integral_constantIbLb1EES1P_EEDaS1K_S1L_EUlS1K_E_NS1_11comp_targetILNS1_3genE4ELNS1_11target_archE910ELNS1_3gpuE8ELNS1_3repE0EEENS1_30default_config_static_selectorELNS0_4arch9wavefront6targetE0EEEvSY_.uses_flat_scratch, 0
	.set _ZN7rocprim17ROCPRIM_400000_NS6detail17trampoline_kernelINS0_13select_configILj256ELj13ELNS0_17block_load_methodE3ELS4_3ELS4_3ELNS0_20block_scan_algorithmE0ELj4294967295EEENS1_25partition_config_selectorILNS1_17partition_subalgoE3EjNS0_10empty_typeEbEEZZNS1_14partition_implILS8_3ELb0ES6_jNS0_17counting_iteratorIjlEEPS9_SE_NS0_5tupleIJPjSE_EEENSF_IJSE_SE_EEES9_SG_JZNS1_25segmented_radix_sort_implINS0_14default_configELb1EPKsPsPKlPlN2at6native12_GLOBAL__N_18offset_tEEE10hipError_tPvRmT1_PNSt15iterator_traitsISY_E10value_typeET2_T3_PNSZ_IS14_E10value_typeET4_jRbjT5_S1A_jjP12ihipStream_tbEUljE_EEESV_SW_SX_S14_S18_S1A_T6_T7_T9_mT8_S1C_bDpT10_ENKUlT_T0_E_clISt17integral_constantIbLb1EES1P_EEDaS1K_S1L_EUlS1K_E_NS1_11comp_targetILNS1_3genE4ELNS1_11target_archE910ELNS1_3gpuE8ELNS1_3repE0EEENS1_30default_config_static_selectorELNS0_4arch9wavefront6targetE0EEEvSY_.has_dyn_sized_stack, 0
	.set _ZN7rocprim17ROCPRIM_400000_NS6detail17trampoline_kernelINS0_13select_configILj256ELj13ELNS0_17block_load_methodE3ELS4_3ELS4_3ELNS0_20block_scan_algorithmE0ELj4294967295EEENS1_25partition_config_selectorILNS1_17partition_subalgoE3EjNS0_10empty_typeEbEEZZNS1_14partition_implILS8_3ELb0ES6_jNS0_17counting_iteratorIjlEEPS9_SE_NS0_5tupleIJPjSE_EEENSF_IJSE_SE_EEES9_SG_JZNS1_25segmented_radix_sort_implINS0_14default_configELb1EPKsPsPKlPlN2at6native12_GLOBAL__N_18offset_tEEE10hipError_tPvRmT1_PNSt15iterator_traitsISY_E10value_typeET2_T3_PNSZ_IS14_E10value_typeET4_jRbjT5_S1A_jjP12ihipStream_tbEUljE_EEESV_SW_SX_S14_S18_S1A_T6_T7_T9_mT8_S1C_bDpT10_ENKUlT_T0_E_clISt17integral_constantIbLb1EES1P_EEDaS1K_S1L_EUlS1K_E_NS1_11comp_targetILNS1_3genE4ELNS1_11target_archE910ELNS1_3gpuE8ELNS1_3repE0EEENS1_30default_config_static_selectorELNS0_4arch9wavefront6targetE0EEEvSY_.has_recursion, 0
	.set _ZN7rocprim17ROCPRIM_400000_NS6detail17trampoline_kernelINS0_13select_configILj256ELj13ELNS0_17block_load_methodE3ELS4_3ELS4_3ELNS0_20block_scan_algorithmE0ELj4294967295EEENS1_25partition_config_selectorILNS1_17partition_subalgoE3EjNS0_10empty_typeEbEEZZNS1_14partition_implILS8_3ELb0ES6_jNS0_17counting_iteratorIjlEEPS9_SE_NS0_5tupleIJPjSE_EEENSF_IJSE_SE_EEES9_SG_JZNS1_25segmented_radix_sort_implINS0_14default_configELb1EPKsPsPKlPlN2at6native12_GLOBAL__N_18offset_tEEE10hipError_tPvRmT1_PNSt15iterator_traitsISY_E10value_typeET2_T3_PNSZ_IS14_E10value_typeET4_jRbjT5_S1A_jjP12ihipStream_tbEUljE_EEESV_SW_SX_S14_S18_S1A_T6_T7_T9_mT8_S1C_bDpT10_ENKUlT_T0_E_clISt17integral_constantIbLb1EES1P_EEDaS1K_S1L_EUlS1K_E_NS1_11comp_targetILNS1_3genE4ELNS1_11target_archE910ELNS1_3gpuE8ELNS1_3repE0EEENS1_30default_config_static_selectorELNS0_4arch9wavefront6targetE0EEEvSY_.has_indirect_call, 0
	.section	.AMDGPU.csdata,"",@progbits
; Kernel info:
; codeLenInByte = 0
; TotalNumSgprs: 0
; NumVgprs: 0
; ScratchSize: 0
; MemoryBound: 0
; FloatMode: 240
; IeeeMode: 1
; LDSByteSize: 0 bytes/workgroup (compile time only)
; SGPRBlocks: 0
; VGPRBlocks: 0
; NumSGPRsForWavesPerEU: 1
; NumVGPRsForWavesPerEU: 1
; NamedBarCnt: 0
; Occupancy: 16
; WaveLimiterHint : 0
; COMPUTE_PGM_RSRC2:SCRATCH_EN: 0
; COMPUTE_PGM_RSRC2:USER_SGPR: 2
; COMPUTE_PGM_RSRC2:TRAP_HANDLER: 0
; COMPUTE_PGM_RSRC2:TGID_X_EN: 1
; COMPUTE_PGM_RSRC2:TGID_Y_EN: 0
; COMPUTE_PGM_RSRC2:TGID_Z_EN: 0
; COMPUTE_PGM_RSRC2:TIDIG_COMP_CNT: 0
	.section	.text._ZN7rocprim17ROCPRIM_400000_NS6detail17trampoline_kernelINS0_13select_configILj256ELj13ELNS0_17block_load_methodE3ELS4_3ELS4_3ELNS0_20block_scan_algorithmE0ELj4294967295EEENS1_25partition_config_selectorILNS1_17partition_subalgoE3EjNS0_10empty_typeEbEEZZNS1_14partition_implILS8_3ELb0ES6_jNS0_17counting_iteratorIjlEEPS9_SE_NS0_5tupleIJPjSE_EEENSF_IJSE_SE_EEES9_SG_JZNS1_25segmented_radix_sort_implINS0_14default_configELb1EPKsPsPKlPlN2at6native12_GLOBAL__N_18offset_tEEE10hipError_tPvRmT1_PNSt15iterator_traitsISY_E10value_typeET2_T3_PNSZ_IS14_E10value_typeET4_jRbjT5_S1A_jjP12ihipStream_tbEUljE_EEESV_SW_SX_S14_S18_S1A_T6_T7_T9_mT8_S1C_bDpT10_ENKUlT_T0_E_clISt17integral_constantIbLb1EES1P_EEDaS1K_S1L_EUlS1K_E_NS1_11comp_targetILNS1_3genE3ELNS1_11target_archE908ELNS1_3gpuE7ELNS1_3repE0EEENS1_30default_config_static_selectorELNS0_4arch9wavefront6targetE0EEEvSY_,"axG",@progbits,_ZN7rocprim17ROCPRIM_400000_NS6detail17trampoline_kernelINS0_13select_configILj256ELj13ELNS0_17block_load_methodE3ELS4_3ELS4_3ELNS0_20block_scan_algorithmE0ELj4294967295EEENS1_25partition_config_selectorILNS1_17partition_subalgoE3EjNS0_10empty_typeEbEEZZNS1_14partition_implILS8_3ELb0ES6_jNS0_17counting_iteratorIjlEEPS9_SE_NS0_5tupleIJPjSE_EEENSF_IJSE_SE_EEES9_SG_JZNS1_25segmented_radix_sort_implINS0_14default_configELb1EPKsPsPKlPlN2at6native12_GLOBAL__N_18offset_tEEE10hipError_tPvRmT1_PNSt15iterator_traitsISY_E10value_typeET2_T3_PNSZ_IS14_E10value_typeET4_jRbjT5_S1A_jjP12ihipStream_tbEUljE_EEESV_SW_SX_S14_S18_S1A_T6_T7_T9_mT8_S1C_bDpT10_ENKUlT_T0_E_clISt17integral_constantIbLb1EES1P_EEDaS1K_S1L_EUlS1K_E_NS1_11comp_targetILNS1_3genE3ELNS1_11target_archE908ELNS1_3gpuE7ELNS1_3repE0EEENS1_30default_config_static_selectorELNS0_4arch9wavefront6targetE0EEEvSY_,comdat
	.globl	_ZN7rocprim17ROCPRIM_400000_NS6detail17trampoline_kernelINS0_13select_configILj256ELj13ELNS0_17block_load_methodE3ELS4_3ELS4_3ELNS0_20block_scan_algorithmE0ELj4294967295EEENS1_25partition_config_selectorILNS1_17partition_subalgoE3EjNS0_10empty_typeEbEEZZNS1_14partition_implILS8_3ELb0ES6_jNS0_17counting_iteratorIjlEEPS9_SE_NS0_5tupleIJPjSE_EEENSF_IJSE_SE_EEES9_SG_JZNS1_25segmented_radix_sort_implINS0_14default_configELb1EPKsPsPKlPlN2at6native12_GLOBAL__N_18offset_tEEE10hipError_tPvRmT1_PNSt15iterator_traitsISY_E10value_typeET2_T3_PNSZ_IS14_E10value_typeET4_jRbjT5_S1A_jjP12ihipStream_tbEUljE_EEESV_SW_SX_S14_S18_S1A_T6_T7_T9_mT8_S1C_bDpT10_ENKUlT_T0_E_clISt17integral_constantIbLb1EES1P_EEDaS1K_S1L_EUlS1K_E_NS1_11comp_targetILNS1_3genE3ELNS1_11target_archE908ELNS1_3gpuE7ELNS1_3repE0EEENS1_30default_config_static_selectorELNS0_4arch9wavefront6targetE0EEEvSY_ ; -- Begin function _ZN7rocprim17ROCPRIM_400000_NS6detail17trampoline_kernelINS0_13select_configILj256ELj13ELNS0_17block_load_methodE3ELS4_3ELS4_3ELNS0_20block_scan_algorithmE0ELj4294967295EEENS1_25partition_config_selectorILNS1_17partition_subalgoE3EjNS0_10empty_typeEbEEZZNS1_14partition_implILS8_3ELb0ES6_jNS0_17counting_iteratorIjlEEPS9_SE_NS0_5tupleIJPjSE_EEENSF_IJSE_SE_EEES9_SG_JZNS1_25segmented_radix_sort_implINS0_14default_configELb1EPKsPsPKlPlN2at6native12_GLOBAL__N_18offset_tEEE10hipError_tPvRmT1_PNSt15iterator_traitsISY_E10value_typeET2_T3_PNSZ_IS14_E10value_typeET4_jRbjT5_S1A_jjP12ihipStream_tbEUljE_EEESV_SW_SX_S14_S18_S1A_T6_T7_T9_mT8_S1C_bDpT10_ENKUlT_T0_E_clISt17integral_constantIbLb1EES1P_EEDaS1K_S1L_EUlS1K_E_NS1_11comp_targetILNS1_3genE3ELNS1_11target_archE908ELNS1_3gpuE7ELNS1_3repE0EEENS1_30default_config_static_selectorELNS0_4arch9wavefront6targetE0EEEvSY_
	.p2align	8
	.type	_ZN7rocprim17ROCPRIM_400000_NS6detail17trampoline_kernelINS0_13select_configILj256ELj13ELNS0_17block_load_methodE3ELS4_3ELS4_3ELNS0_20block_scan_algorithmE0ELj4294967295EEENS1_25partition_config_selectorILNS1_17partition_subalgoE3EjNS0_10empty_typeEbEEZZNS1_14partition_implILS8_3ELb0ES6_jNS0_17counting_iteratorIjlEEPS9_SE_NS0_5tupleIJPjSE_EEENSF_IJSE_SE_EEES9_SG_JZNS1_25segmented_radix_sort_implINS0_14default_configELb1EPKsPsPKlPlN2at6native12_GLOBAL__N_18offset_tEEE10hipError_tPvRmT1_PNSt15iterator_traitsISY_E10value_typeET2_T3_PNSZ_IS14_E10value_typeET4_jRbjT5_S1A_jjP12ihipStream_tbEUljE_EEESV_SW_SX_S14_S18_S1A_T6_T7_T9_mT8_S1C_bDpT10_ENKUlT_T0_E_clISt17integral_constantIbLb1EES1P_EEDaS1K_S1L_EUlS1K_E_NS1_11comp_targetILNS1_3genE3ELNS1_11target_archE908ELNS1_3gpuE7ELNS1_3repE0EEENS1_30default_config_static_selectorELNS0_4arch9wavefront6targetE0EEEvSY_,@function
_ZN7rocprim17ROCPRIM_400000_NS6detail17trampoline_kernelINS0_13select_configILj256ELj13ELNS0_17block_load_methodE3ELS4_3ELS4_3ELNS0_20block_scan_algorithmE0ELj4294967295EEENS1_25partition_config_selectorILNS1_17partition_subalgoE3EjNS0_10empty_typeEbEEZZNS1_14partition_implILS8_3ELb0ES6_jNS0_17counting_iteratorIjlEEPS9_SE_NS0_5tupleIJPjSE_EEENSF_IJSE_SE_EEES9_SG_JZNS1_25segmented_radix_sort_implINS0_14default_configELb1EPKsPsPKlPlN2at6native12_GLOBAL__N_18offset_tEEE10hipError_tPvRmT1_PNSt15iterator_traitsISY_E10value_typeET2_T3_PNSZ_IS14_E10value_typeET4_jRbjT5_S1A_jjP12ihipStream_tbEUljE_EEESV_SW_SX_S14_S18_S1A_T6_T7_T9_mT8_S1C_bDpT10_ENKUlT_T0_E_clISt17integral_constantIbLb1EES1P_EEDaS1K_S1L_EUlS1K_E_NS1_11comp_targetILNS1_3genE3ELNS1_11target_archE908ELNS1_3gpuE7ELNS1_3repE0EEENS1_30default_config_static_selectorELNS0_4arch9wavefront6targetE0EEEvSY_: ; @_ZN7rocprim17ROCPRIM_400000_NS6detail17trampoline_kernelINS0_13select_configILj256ELj13ELNS0_17block_load_methodE3ELS4_3ELS4_3ELNS0_20block_scan_algorithmE0ELj4294967295EEENS1_25partition_config_selectorILNS1_17partition_subalgoE3EjNS0_10empty_typeEbEEZZNS1_14partition_implILS8_3ELb0ES6_jNS0_17counting_iteratorIjlEEPS9_SE_NS0_5tupleIJPjSE_EEENSF_IJSE_SE_EEES9_SG_JZNS1_25segmented_radix_sort_implINS0_14default_configELb1EPKsPsPKlPlN2at6native12_GLOBAL__N_18offset_tEEE10hipError_tPvRmT1_PNSt15iterator_traitsISY_E10value_typeET2_T3_PNSZ_IS14_E10value_typeET4_jRbjT5_S1A_jjP12ihipStream_tbEUljE_EEESV_SW_SX_S14_S18_S1A_T6_T7_T9_mT8_S1C_bDpT10_ENKUlT_T0_E_clISt17integral_constantIbLb1EES1P_EEDaS1K_S1L_EUlS1K_E_NS1_11comp_targetILNS1_3genE3ELNS1_11target_archE908ELNS1_3gpuE7ELNS1_3repE0EEENS1_30default_config_static_selectorELNS0_4arch9wavefront6targetE0EEEvSY_
; %bb.0:
	.section	.rodata,"a",@progbits
	.p2align	6, 0x0
	.amdhsa_kernel _ZN7rocprim17ROCPRIM_400000_NS6detail17trampoline_kernelINS0_13select_configILj256ELj13ELNS0_17block_load_methodE3ELS4_3ELS4_3ELNS0_20block_scan_algorithmE0ELj4294967295EEENS1_25partition_config_selectorILNS1_17partition_subalgoE3EjNS0_10empty_typeEbEEZZNS1_14partition_implILS8_3ELb0ES6_jNS0_17counting_iteratorIjlEEPS9_SE_NS0_5tupleIJPjSE_EEENSF_IJSE_SE_EEES9_SG_JZNS1_25segmented_radix_sort_implINS0_14default_configELb1EPKsPsPKlPlN2at6native12_GLOBAL__N_18offset_tEEE10hipError_tPvRmT1_PNSt15iterator_traitsISY_E10value_typeET2_T3_PNSZ_IS14_E10value_typeET4_jRbjT5_S1A_jjP12ihipStream_tbEUljE_EEESV_SW_SX_S14_S18_S1A_T6_T7_T9_mT8_S1C_bDpT10_ENKUlT_T0_E_clISt17integral_constantIbLb1EES1P_EEDaS1K_S1L_EUlS1K_E_NS1_11comp_targetILNS1_3genE3ELNS1_11target_archE908ELNS1_3gpuE7ELNS1_3repE0EEENS1_30default_config_static_selectorELNS0_4arch9wavefront6targetE0EEEvSY_
		.amdhsa_group_segment_fixed_size 0
		.amdhsa_private_segment_fixed_size 0
		.amdhsa_kernarg_size 152
		.amdhsa_user_sgpr_count 2
		.amdhsa_user_sgpr_dispatch_ptr 0
		.amdhsa_user_sgpr_queue_ptr 0
		.amdhsa_user_sgpr_kernarg_segment_ptr 1
		.amdhsa_user_sgpr_dispatch_id 0
		.amdhsa_user_sgpr_kernarg_preload_length 0
		.amdhsa_user_sgpr_kernarg_preload_offset 0
		.amdhsa_user_sgpr_private_segment_size 0
		.amdhsa_wavefront_size32 1
		.amdhsa_uses_dynamic_stack 0
		.amdhsa_enable_private_segment 0
		.amdhsa_system_sgpr_workgroup_id_x 1
		.amdhsa_system_sgpr_workgroup_id_y 0
		.amdhsa_system_sgpr_workgroup_id_z 0
		.amdhsa_system_sgpr_workgroup_info 0
		.amdhsa_system_vgpr_workitem_id 0
		.amdhsa_next_free_vgpr 1
		.amdhsa_next_free_sgpr 1
		.amdhsa_named_barrier_count 0
		.amdhsa_reserve_vcc 0
		.amdhsa_float_round_mode_32 0
		.amdhsa_float_round_mode_16_64 0
		.amdhsa_float_denorm_mode_32 3
		.amdhsa_float_denorm_mode_16_64 3
		.amdhsa_fp16_overflow 0
		.amdhsa_memory_ordered 1
		.amdhsa_forward_progress 1
		.amdhsa_inst_pref_size 0
		.amdhsa_round_robin_scheduling 0
		.amdhsa_exception_fp_ieee_invalid_op 0
		.amdhsa_exception_fp_denorm_src 0
		.amdhsa_exception_fp_ieee_div_zero 0
		.amdhsa_exception_fp_ieee_overflow 0
		.amdhsa_exception_fp_ieee_underflow 0
		.amdhsa_exception_fp_ieee_inexact 0
		.amdhsa_exception_int_div_zero 0
	.end_amdhsa_kernel
	.section	.text._ZN7rocprim17ROCPRIM_400000_NS6detail17trampoline_kernelINS0_13select_configILj256ELj13ELNS0_17block_load_methodE3ELS4_3ELS4_3ELNS0_20block_scan_algorithmE0ELj4294967295EEENS1_25partition_config_selectorILNS1_17partition_subalgoE3EjNS0_10empty_typeEbEEZZNS1_14partition_implILS8_3ELb0ES6_jNS0_17counting_iteratorIjlEEPS9_SE_NS0_5tupleIJPjSE_EEENSF_IJSE_SE_EEES9_SG_JZNS1_25segmented_radix_sort_implINS0_14default_configELb1EPKsPsPKlPlN2at6native12_GLOBAL__N_18offset_tEEE10hipError_tPvRmT1_PNSt15iterator_traitsISY_E10value_typeET2_T3_PNSZ_IS14_E10value_typeET4_jRbjT5_S1A_jjP12ihipStream_tbEUljE_EEESV_SW_SX_S14_S18_S1A_T6_T7_T9_mT8_S1C_bDpT10_ENKUlT_T0_E_clISt17integral_constantIbLb1EES1P_EEDaS1K_S1L_EUlS1K_E_NS1_11comp_targetILNS1_3genE3ELNS1_11target_archE908ELNS1_3gpuE7ELNS1_3repE0EEENS1_30default_config_static_selectorELNS0_4arch9wavefront6targetE0EEEvSY_,"axG",@progbits,_ZN7rocprim17ROCPRIM_400000_NS6detail17trampoline_kernelINS0_13select_configILj256ELj13ELNS0_17block_load_methodE3ELS4_3ELS4_3ELNS0_20block_scan_algorithmE0ELj4294967295EEENS1_25partition_config_selectorILNS1_17partition_subalgoE3EjNS0_10empty_typeEbEEZZNS1_14partition_implILS8_3ELb0ES6_jNS0_17counting_iteratorIjlEEPS9_SE_NS0_5tupleIJPjSE_EEENSF_IJSE_SE_EEES9_SG_JZNS1_25segmented_radix_sort_implINS0_14default_configELb1EPKsPsPKlPlN2at6native12_GLOBAL__N_18offset_tEEE10hipError_tPvRmT1_PNSt15iterator_traitsISY_E10value_typeET2_T3_PNSZ_IS14_E10value_typeET4_jRbjT5_S1A_jjP12ihipStream_tbEUljE_EEESV_SW_SX_S14_S18_S1A_T6_T7_T9_mT8_S1C_bDpT10_ENKUlT_T0_E_clISt17integral_constantIbLb1EES1P_EEDaS1K_S1L_EUlS1K_E_NS1_11comp_targetILNS1_3genE3ELNS1_11target_archE908ELNS1_3gpuE7ELNS1_3repE0EEENS1_30default_config_static_selectorELNS0_4arch9wavefront6targetE0EEEvSY_,comdat
.Lfunc_end886:
	.size	_ZN7rocprim17ROCPRIM_400000_NS6detail17trampoline_kernelINS0_13select_configILj256ELj13ELNS0_17block_load_methodE3ELS4_3ELS4_3ELNS0_20block_scan_algorithmE0ELj4294967295EEENS1_25partition_config_selectorILNS1_17partition_subalgoE3EjNS0_10empty_typeEbEEZZNS1_14partition_implILS8_3ELb0ES6_jNS0_17counting_iteratorIjlEEPS9_SE_NS0_5tupleIJPjSE_EEENSF_IJSE_SE_EEES9_SG_JZNS1_25segmented_radix_sort_implINS0_14default_configELb1EPKsPsPKlPlN2at6native12_GLOBAL__N_18offset_tEEE10hipError_tPvRmT1_PNSt15iterator_traitsISY_E10value_typeET2_T3_PNSZ_IS14_E10value_typeET4_jRbjT5_S1A_jjP12ihipStream_tbEUljE_EEESV_SW_SX_S14_S18_S1A_T6_T7_T9_mT8_S1C_bDpT10_ENKUlT_T0_E_clISt17integral_constantIbLb1EES1P_EEDaS1K_S1L_EUlS1K_E_NS1_11comp_targetILNS1_3genE3ELNS1_11target_archE908ELNS1_3gpuE7ELNS1_3repE0EEENS1_30default_config_static_selectorELNS0_4arch9wavefront6targetE0EEEvSY_, .Lfunc_end886-_ZN7rocprim17ROCPRIM_400000_NS6detail17trampoline_kernelINS0_13select_configILj256ELj13ELNS0_17block_load_methodE3ELS4_3ELS4_3ELNS0_20block_scan_algorithmE0ELj4294967295EEENS1_25partition_config_selectorILNS1_17partition_subalgoE3EjNS0_10empty_typeEbEEZZNS1_14partition_implILS8_3ELb0ES6_jNS0_17counting_iteratorIjlEEPS9_SE_NS0_5tupleIJPjSE_EEENSF_IJSE_SE_EEES9_SG_JZNS1_25segmented_radix_sort_implINS0_14default_configELb1EPKsPsPKlPlN2at6native12_GLOBAL__N_18offset_tEEE10hipError_tPvRmT1_PNSt15iterator_traitsISY_E10value_typeET2_T3_PNSZ_IS14_E10value_typeET4_jRbjT5_S1A_jjP12ihipStream_tbEUljE_EEESV_SW_SX_S14_S18_S1A_T6_T7_T9_mT8_S1C_bDpT10_ENKUlT_T0_E_clISt17integral_constantIbLb1EES1P_EEDaS1K_S1L_EUlS1K_E_NS1_11comp_targetILNS1_3genE3ELNS1_11target_archE908ELNS1_3gpuE7ELNS1_3repE0EEENS1_30default_config_static_selectorELNS0_4arch9wavefront6targetE0EEEvSY_
                                        ; -- End function
	.set _ZN7rocprim17ROCPRIM_400000_NS6detail17trampoline_kernelINS0_13select_configILj256ELj13ELNS0_17block_load_methodE3ELS4_3ELS4_3ELNS0_20block_scan_algorithmE0ELj4294967295EEENS1_25partition_config_selectorILNS1_17partition_subalgoE3EjNS0_10empty_typeEbEEZZNS1_14partition_implILS8_3ELb0ES6_jNS0_17counting_iteratorIjlEEPS9_SE_NS0_5tupleIJPjSE_EEENSF_IJSE_SE_EEES9_SG_JZNS1_25segmented_radix_sort_implINS0_14default_configELb1EPKsPsPKlPlN2at6native12_GLOBAL__N_18offset_tEEE10hipError_tPvRmT1_PNSt15iterator_traitsISY_E10value_typeET2_T3_PNSZ_IS14_E10value_typeET4_jRbjT5_S1A_jjP12ihipStream_tbEUljE_EEESV_SW_SX_S14_S18_S1A_T6_T7_T9_mT8_S1C_bDpT10_ENKUlT_T0_E_clISt17integral_constantIbLb1EES1P_EEDaS1K_S1L_EUlS1K_E_NS1_11comp_targetILNS1_3genE3ELNS1_11target_archE908ELNS1_3gpuE7ELNS1_3repE0EEENS1_30default_config_static_selectorELNS0_4arch9wavefront6targetE0EEEvSY_.num_vgpr, 0
	.set _ZN7rocprim17ROCPRIM_400000_NS6detail17trampoline_kernelINS0_13select_configILj256ELj13ELNS0_17block_load_methodE3ELS4_3ELS4_3ELNS0_20block_scan_algorithmE0ELj4294967295EEENS1_25partition_config_selectorILNS1_17partition_subalgoE3EjNS0_10empty_typeEbEEZZNS1_14partition_implILS8_3ELb0ES6_jNS0_17counting_iteratorIjlEEPS9_SE_NS0_5tupleIJPjSE_EEENSF_IJSE_SE_EEES9_SG_JZNS1_25segmented_radix_sort_implINS0_14default_configELb1EPKsPsPKlPlN2at6native12_GLOBAL__N_18offset_tEEE10hipError_tPvRmT1_PNSt15iterator_traitsISY_E10value_typeET2_T3_PNSZ_IS14_E10value_typeET4_jRbjT5_S1A_jjP12ihipStream_tbEUljE_EEESV_SW_SX_S14_S18_S1A_T6_T7_T9_mT8_S1C_bDpT10_ENKUlT_T0_E_clISt17integral_constantIbLb1EES1P_EEDaS1K_S1L_EUlS1K_E_NS1_11comp_targetILNS1_3genE3ELNS1_11target_archE908ELNS1_3gpuE7ELNS1_3repE0EEENS1_30default_config_static_selectorELNS0_4arch9wavefront6targetE0EEEvSY_.num_agpr, 0
	.set _ZN7rocprim17ROCPRIM_400000_NS6detail17trampoline_kernelINS0_13select_configILj256ELj13ELNS0_17block_load_methodE3ELS4_3ELS4_3ELNS0_20block_scan_algorithmE0ELj4294967295EEENS1_25partition_config_selectorILNS1_17partition_subalgoE3EjNS0_10empty_typeEbEEZZNS1_14partition_implILS8_3ELb0ES6_jNS0_17counting_iteratorIjlEEPS9_SE_NS0_5tupleIJPjSE_EEENSF_IJSE_SE_EEES9_SG_JZNS1_25segmented_radix_sort_implINS0_14default_configELb1EPKsPsPKlPlN2at6native12_GLOBAL__N_18offset_tEEE10hipError_tPvRmT1_PNSt15iterator_traitsISY_E10value_typeET2_T3_PNSZ_IS14_E10value_typeET4_jRbjT5_S1A_jjP12ihipStream_tbEUljE_EEESV_SW_SX_S14_S18_S1A_T6_T7_T9_mT8_S1C_bDpT10_ENKUlT_T0_E_clISt17integral_constantIbLb1EES1P_EEDaS1K_S1L_EUlS1K_E_NS1_11comp_targetILNS1_3genE3ELNS1_11target_archE908ELNS1_3gpuE7ELNS1_3repE0EEENS1_30default_config_static_selectorELNS0_4arch9wavefront6targetE0EEEvSY_.numbered_sgpr, 0
	.set _ZN7rocprim17ROCPRIM_400000_NS6detail17trampoline_kernelINS0_13select_configILj256ELj13ELNS0_17block_load_methodE3ELS4_3ELS4_3ELNS0_20block_scan_algorithmE0ELj4294967295EEENS1_25partition_config_selectorILNS1_17partition_subalgoE3EjNS0_10empty_typeEbEEZZNS1_14partition_implILS8_3ELb0ES6_jNS0_17counting_iteratorIjlEEPS9_SE_NS0_5tupleIJPjSE_EEENSF_IJSE_SE_EEES9_SG_JZNS1_25segmented_radix_sort_implINS0_14default_configELb1EPKsPsPKlPlN2at6native12_GLOBAL__N_18offset_tEEE10hipError_tPvRmT1_PNSt15iterator_traitsISY_E10value_typeET2_T3_PNSZ_IS14_E10value_typeET4_jRbjT5_S1A_jjP12ihipStream_tbEUljE_EEESV_SW_SX_S14_S18_S1A_T6_T7_T9_mT8_S1C_bDpT10_ENKUlT_T0_E_clISt17integral_constantIbLb1EES1P_EEDaS1K_S1L_EUlS1K_E_NS1_11comp_targetILNS1_3genE3ELNS1_11target_archE908ELNS1_3gpuE7ELNS1_3repE0EEENS1_30default_config_static_selectorELNS0_4arch9wavefront6targetE0EEEvSY_.num_named_barrier, 0
	.set _ZN7rocprim17ROCPRIM_400000_NS6detail17trampoline_kernelINS0_13select_configILj256ELj13ELNS0_17block_load_methodE3ELS4_3ELS4_3ELNS0_20block_scan_algorithmE0ELj4294967295EEENS1_25partition_config_selectorILNS1_17partition_subalgoE3EjNS0_10empty_typeEbEEZZNS1_14partition_implILS8_3ELb0ES6_jNS0_17counting_iteratorIjlEEPS9_SE_NS0_5tupleIJPjSE_EEENSF_IJSE_SE_EEES9_SG_JZNS1_25segmented_radix_sort_implINS0_14default_configELb1EPKsPsPKlPlN2at6native12_GLOBAL__N_18offset_tEEE10hipError_tPvRmT1_PNSt15iterator_traitsISY_E10value_typeET2_T3_PNSZ_IS14_E10value_typeET4_jRbjT5_S1A_jjP12ihipStream_tbEUljE_EEESV_SW_SX_S14_S18_S1A_T6_T7_T9_mT8_S1C_bDpT10_ENKUlT_T0_E_clISt17integral_constantIbLb1EES1P_EEDaS1K_S1L_EUlS1K_E_NS1_11comp_targetILNS1_3genE3ELNS1_11target_archE908ELNS1_3gpuE7ELNS1_3repE0EEENS1_30default_config_static_selectorELNS0_4arch9wavefront6targetE0EEEvSY_.private_seg_size, 0
	.set _ZN7rocprim17ROCPRIM_400000_NS6detail17trampoline_kernelINS0_13select_configILj256ELj13ELNS0_17block_load_methodE3ELS4_3ELS4_3ELNS0_20block_scan_algorithmE0ELj4294967295EEENS1_25partition_config_selectorILNS1_17partition_subalgoE3EjNS0_10empty_typeEbEEZZNS1_14partition_implILS8_3ELb0ES6_jNS0_17counting_iteratorIjlEEPS9_SE_NS0_5tupleIJPjSE_EEENSF_IJSE_SE_EEES9_SG_JZNS1_25segmented_radix_sort_implINS0_14default_configELb1EPKsPsPKlPlN2at6native12_GLOBAL__N_18offset_tEEE10hipError_tPvRmT1_PNSt15iterator_traitsISY_E10value_typeET2_T3_PNSZ_IS14_E10value_typeET4_jRbjT5_S1A_jjP12ihipStream_tbEUljE_EEESV_SW_SX_S14_S18_S1A_T6_T7_T9_mT8_S1C_bDpT10_ENKUlT_T0_E_clISt17integral_constantIbLb1EES1P_EEDaS1K_S1L_EUlS1K_E_NS1_11comp_targetILNS1_3genE3ELNS1_11target_archE908ELNS1_3gpuE7ELNS1_3repE0EEENS1_30default_config_static_selectorELNS0_4arch9wavefront6targetE0EEEvSY_.uses_vcc, 0
	.set _ZN7rocprim17ROCPRIM_400000_NS6detail17trampoline_kernelINS0_13select_configILj256ELj13ELNS0_17block_load_methodE3ELS4_3ELS4_3ELNS0_20block_scan_algorithmE0ELj4294967295EEENS1_25partition_config_selectorILNS1_17partition_subalgoE3EjNS0_10empty_typeEbEEZZNS1_14partition_implILS8_3ELb0ES6_jNS0_17counting_iteratorIjlEEPS9_SE_NS0_5tupleIJPjSE_EEENSF_IJSE_SE_EEES9_SG_JZNS1_25segmented_radix_sort_implINS0_14default_configELb1EPKsPsPKlPlN2at6native12_GLOBAL__N_18offset_tEEE10hipError_tPvRmT1_PNSt15iterator_traitsISY_E10value_typeET2_T3_PNSZ_IS14_E10value_typeET4_jRbjT5_S1A_jjP12ihipStream_tbEUljE_EEESV_SW_SX_S14_S18_S1A_T6_T7_T9_mT8_S1C_bDpT10_ENKUlT_T0_E_clISt17integral_constantIbLb1EES1P_EEDaS1K_S1L_EUlS1K_E_NS1_11comp_targetILNS1_3genE3ELNS1_11target_archE908ELNS1_3gpuE7ELNS1_3repE0EEENS1_30default_config_static_selectorELNS0_4arch9wavefront6targetE0EEEvSY_.uses_flat_scratch, 0
	.set _ZN7rocprim17ROCPRIM_400000_NS6detail17trampoline_kernelINS0_13select_configILj256ELj13ELNS0_17block_load_methodE3ELS4_3ELS4_3ELNS0_20block_scan_algorithmE0ELj4294967295EEENS1_25partition_config_selectorILNS1_17partition_subalgoE3EjNS0_10empty_typeEbEEZZNS1_14partition_implILS8_3ELb0ES6_jNS0_17counting_iteratorIjlEEPS9_SE_NS0_5tupleIJPjSE_EEENSF_IJSE_SE_EEES9_SG_JZNS1_25segmented_radix_sort_implINS0_14default_configELb1EPKsPsPKlPlN2at6native12_GLOBAL__N_18offset_tEEE10hipError_tPvRmT1_PNSt15iterator_traitsISY_E10value_typeET2_T3_PNSZ_IS14_E10value_typeET4_jRbjT5_S1A_jjP12ihipStream_tbEUljE_EEESV_SW_SX_S14_S18_S1A_T6_T7_T9_mT8_S1C_bDpT10_ENKUlT_T0_E_clISt17integral_constantIbLb1EES1P_EEDaS1K_S1L_EUlS1K_E_NS1_11comp_targetILNS1_3genE3ELNS1_11target_archE908ELNS1_3gpuE7ELNS1_3repE0EEENS1_30default_config_static_selectorELNS0_4arch9wavefront6targetE0EEEvSY_.has_dyn_sized_stack, 0
	.set _ZN7rocprim17ROCPRIM_400000_NS6detail17trampoline_kernelINS0_13select_configILj256ELj13ELNS0_17block_load_methodE3ELS4_3ELS4_3ELNS0_20block_scan_algorithmE0ELj4294967295EEENS1_25partition_config_selectorILNS1_17partition_subalgoE3EjNS0_10empty_typeEbEEZZNS1_14partition_implILS8_3ELb0ES6_jNS0_17counting_iteratorIjlEEPS9_SE_NS0_5tupleIJPjSE_EEENSF_IJSE_SE_EEES9_SG_JZNS1_25segmented_radix_sort_implINS0_14default_configELb1EPKsPsPKlPlN2at6native12_GLOBAL__N_18offset_tEEE10hipError_tPvRmT1_PNSt15iterator_traitsISY_E10value_typeET2_T3_PNSZ_IS14_E10value_typeET4_jRbjT5_S1A_jjP12ihipStream_tbEUljE_EEESV_SW_SX_S14_S18_S1A_T6_T7_T9_mT8_S1C_bDpT10_ENKUlT_T0_E_clISt17integral_constantIbLb1EES1P_EEDaS1K_S1L_EUlS1K_E_NS1_11comp_targetILNS1_3genE3ELNS1_11target_archE908ELNS1_3gpuE7ELNS1_3repE0EEENS1_30default_config_static_selectorELNS0_4arch9wavefront6targetE0EEEvSY_.has_recursion, 0
	.set _ZN7rocprim17ROCPRIM_400000_NS6detail17trampoline_kernelINS0_13select_configILj256ELj13ELNS0_17block_load_methodE3ELS4_3ELS4_3ELNS0_20block_scan_algorithmE0ELj4294967295EEENS1_25partition_config_selectorILNS1_17partition_subalgoE3EjNS0_10empty_typeEbEEZZNS1_14partition_implILS8_3ELb0ES6_jNS0_17counting_iteratorIjlEEPS9_SE_NS0_5tupleIJPjSE_EEENSF_IJSE_SE_EEES9_SG_JZNS1_25segmented_radix_sort_implINS0_14default_configELb1EPKsPsPKlPlN2at6native12_GLOBAL__N_18offset_tEEE10hipError_tPvRmT1_PNSt15iterator_traitsISY_E10value_typeET2_T3_PNSZ_IS14_E10value_typeET4_jRbjT5_S1A_jjP12ihipStream_tbEUljE_EEESV_SW_SX_S14_S18_S1A_T6_T7_T9_mT8_S1C_bDpT10_ENKUlT_T0_E_clISt17integral_constantIbLb1EES1P_EEDaS1K_S1L_EUlS1K_E_NS1_11comp_targetILNS1_3genE3ELNS1_11target_archE908ELNS1_3gpuE7ELNS1_3repE0EEENS1_30default_config_static_selectorELNS0_4arch9wavefront6targetE0EEEvSY_.has_indirect_call, 0
	.section	.AMDGPU.csdata,"",@progbits
; Kernel info:
; codeLenInByte = 0
; TotalNumSgprs: 0
; NumVgprs: 0
; ScratchSize: 0
; MemoryBound: 0
; FloatMode: 240
; IeeeMode: 1
; LDSByteSize: 0 bytes/workgroup (compile time only)
; SGPRBlocks: 0
; VGPRBlocks: 0
; NumSGPRsForWavesPerEU: 1
; NumVGPRsForWavesPerEU: 1
; NamedBarCnt: 0
; Occupancy: 16
; WaveLimiterHint : 0
; COMPUTE_PGM_RSRC2:SCRATCH_EN: 0
; COMPUTE_PGM_RSRC2:USER_SGPR: 2
; COMPUTE_PGM_RSRC2:TRAP_HANDLER: 0
; COMPUTE_PGM_RSRC2:TGID_X_EN: 1
; COMPUTE_PGM_RSRC2:TGID_Y_EN: 0
; COMPUTE_PGM_RSRC2:TGID_Z_EN: 0
; COMPUTE_PGM_RSRC2:TIDIG_COMP_CNT: 0
	.section	.text._ZN7rocprim17ROCPRIM_400000_NS6detail17trampoline_kernelINS0_13select_configILj256ELj13ELNS0_17block_load_methodE3ELS4_3ELS4_3ELNS0_20block_scan_algorithmE0ELj4294967295EEENS1_25partition_config_selectorILNS1_17partition_subalgoE3EjNS0_10empty_typeEbEEZZNS1_14partition_implILS8_3ELb0ES6_jNS0_17counting_iteratorIjlEEPS9_SE_NS0_5tupleIJPjSE_EEENSF_IJSE_SE_EEES9_SG_JZNS1_25segmented_radix_sort_implINS0_14default_configELb1EPKsPsPKlPlN2at6native12_GLOBAL__N_18offset_tEEE10hipError_tPvRmT1_PNSt15iterator_traitsISY_E10value_typeET2_T3_PNSZ_IS14_E10value_typeET4_jRbjT5_S1A_jjP12ihipStream_tbEUljE_EEESV_SW_SX_S14_S18_S1A_T6_T7_T9_mT8_S1C_bDpT10_ENKUlT_T0_E_clISt17integral_constantIbLb1EES1P_EEDaS1K_S1L_EUlS1K_E_NS1_11comp_targetILNS1_3genE2ELNS1_11target_archE906ELNS1_3gpuE6ELNS1_3repE0EEENS1_30default_config_static_selectorELNS0_4arch9wavefront6targetE0EEEvSY_,"axG",@progbits,_ZN7rocprim17ROCPRIM_400000_NS6detail17trampoline_kernelINS0_13select_configILj256ELj13ELNS0_17block_load_methodE3ELS4_3ELS4_3ELNS0_20block_scan_algorithmE0ELj4294967295EEENS1_25partition_config_selectorILNS1_17partition_subalgoE3EjNS0_10empty_typeEbEEZZNS1_14partition_implILS8_3ELb0ES6_jNS0_17counting_iteratorIjlEEPS9_SE_NS0_5tupleIJPjSE_EEENSF_IJSE_SE_EEES9_SG_JZNS1_25segmented_radix_sort_implINS0_14default_configELb1EPKsPsPKlPlN2at6native12_GLOBAL__N_18offset_tEEE10hipError_tPvRmT1_PNSt15iterator_traitsISY_E10value_typeET2_T3_PNSZ_IS14_E10value_typeET4_jRbjT5_S1A_jjP12ihipStream_tbEUljE_EEESV_SW_SX_S14_S18_S1A_T6_T7_T9_mT8_S1C_bDpT10_ENKUlT_T0_E_clISt17integral_constantIbLb1EES1P_EEDaS1K_S1L_EUlS1K_E_NS1_11comp_targetILNS1_3genE2ELNS1_11target_archE906ELNS1_3gpuE6ELNS1_3repE0EEENS1_30default_config_static_selectorELNS0_4arch9wavefront6targetE0EEEvSY_,comdat
	.globl	_ZN7rocprim17ROCPRIM_400000_NS6detail17trampoline_kernelINS0_13select_configILj256ELj13ELNS0_17block_load_methodE3ELS4_3ELS4_3ELNS0_20block_scan_algorithmE0ELj4294967295EEENS1_25partition_config_selectorILNS1_17partition_subalgoE3EjNS0_10empty_typeEbEEZZNS1_14partition_implILS8_3ELb0ES6_jNS0_17counting_iteratorIjlEEPS9_SE_NS0_5tupleIJPjSE_EEENSF_IJSE_SE_EEES9_SG_JZNS1_25segmented_radix_sort_implINS0_14default_configELb1EPKsPsPKlPlN2at6native12_GLOBAL__N_18offset_tEEE10hipError_tPvRmT1_PNSt15iterator_traitsISY_E10value_typeET2_T3_PNSZ_IS14_E10value_typeET4_jRbjT5_S1A_jjP12ihipStream_tbEUljE_EEESV_SW_SX_S14_S18_S1A_T6_T7_T9_mT8_S1C_bDpT10_ENKUlT_T0_E_clISt17integral_constantIbLb1EES1P_EEDaS1K_S1L_EUlS1K_E_NS1_11comp_targetILNS1_3genE2ELNS1_11target_archE906ELNS1_3gpuE6ELNS1_3repE0EEENS1_30default_config_static_selectorELNS0_4arch9wavefront6targetE0EEEvSY_ ; -- Begin function _ZN7rocprim17ROCPRIM_400000_NS6detail17trampoline_kernelINS0_13select_configILj256ELj13ELNS0_17block_load_methodE3ELS4_3ELS4_3ELNS0_20block_scan_algorithmE0ELj4294967295EEENS1_25partition_config_selectorILNS1_17partition_subalgoE3EjNS0_10empty_typeEbEEZZNS1_14partition_implILS8_3ELb0ES6_jNS0_17counting_iteratorIjlEEPS9_SE_NS0_5tupleIJPjSE_EEENSF_IJSE_SE_EEES9_SG_JZNS1_25segmented_radix_sort_implINS0_14default_configELb1EPKsPsPKlPlN2at6native12_GLOBAL__N_18offset_tEEE10hipError_tPvRmT1_PNSt15iterator_traitsISY_E10value_typeET2_T3_PNSZ_IS14_E10value_typeET4_jRbjT5_S1A_jjP12ihipStream_tbEUljE_EEESV_SW_SX_S14_S18_S1A_T6_T7_T9_mT8_S1C_bDpT10_ENKUlT_T0_E_clISt17integral_constantIbLb1EES1P_EEDaS1K_S1L_EUlS1K_E_NS1_11comp_targetILNS1_3genE2ELNS1_11target_archE906ELNS1_3gpuE6ELNS1_3repE0EEENS1_30default_config_static_selectorELNS0_4arch9wavefront6targetE0EEEvSY_
	.p2align	8
	.type	_ZN7rocprim17ROCPRIM_400000_NS6detail17trampoline_kernelINS0_13select_configILj256ELj13ELNS0_17block_load_methodE3ELS4_3ELS4_3ELNS0_20block_scan_algorithmE0ELj4294967295EEENS1_25partition_config_selectorILNS1_17partition_subalgoE3EjNS0_10empty_typeEbEEZZNS1_14partition_implILS8_3ELb0ES6_jNS0_17counting_iteratorIjlEEPS9_SE_NS0_5tupleIJPjSE_EEENSF_IJSE_SE_EEES9_SG_JZNS1_25segmented_radix_sort_implINS0_14default_configELb1EPKsPsPKlPlN2at6native12_GLOBAL__N_18offset_tEEE10hipError_tPvRmT1_PNSt15iterator_traitsISY_E10value_typeET2_T3_PNSZ_IS14_E10value_typeET4_jRbjT5_S1A_jjP12ihipStream_tbEUljE_EEESV_SW_SX_S14_S18_S1A_T6_T7_T9_mT8_S1C_bDpT10_ENKUlT_T0_E_clISt17integral_constantIbLb1EES1P_EEDaS1K_S1L_EUlS1K_E_NS1_11comp_targetILNS1_3genE2ELNS1_11target_archE906ELNS1_3gpuE6ELNS1_3repE0EEENS1_30default_config_static_selectorELNS0_4arch9wavefront6targetE0EEEvSY_,@function
_ZN7rocprim17ROCPRIM_400000_NS6detail17trampoline_kernelINS0_13select_configILj256ELj13ELNS0_17block_load_methodE3ELS4_3ELS4_3ELNS0_20block_scan_algorithmE0ELj4294967295EEENS1_25partition_config_selectorILNS1_17partition_subalgoE3EjNS0_10empty_typeEbEEZZNS1_14partition_implILS8_3ELb0ES6_jNS0_17counting_iteratorIjlEEPS9_SE_NS0_5tupleIJPjSE_EEENSF_IJSE_SE_EEES9_SG_JZNS1_25segmented_radix_sort_implINS0_14default_configELb1EPKsPsPKlPlN2at6native12_GLOBAL__N_18offset_tEEE10hipError_tPvRmT1_PNSt15iterator_traitsISY_E10value_typeET2_T3_PNSZ_IS14_E10value_typeET4_jRbjT5_S1A_jjP12ihipStream_tbEUljE_EEESV_SW_SX_S14_S18_S1A_T6_T7_T9_mT8_S1C_bDpT10_ENKUlT_T0_E_clISt17integral_constantIbLb1EES1P_EEDaS1K_S1L_EUlS1K_E_NS1_11comp_targetILNS1_3genE2ELNS1_11target_archE906ELNS1_3gpuE6ELNS1_3repE0EEENS1_30default_config_static_selectorELNS0_4arch9wavefront6targetE0EEEvSY_: ; @_ZN7rocprim17ROCPRIM_400000_NS6detail17trampoline_kernelINS0_13select_configILj256ELj13ELNS0_17block_load_methodE3ELS4_3ELS4_3ELNS0_20block_scan_algorithmE0ELj4294967295EEENS1_25partition_config_selectorILNS1_17partition_subalgoE3EjNS0_10empty_typeEbEEZZNS1_14partition_implILS8_3ELb0ES6_jNS0_17counting_iteratorIjlEEPS9_SE_NS0_5tupleIJPjSE_EEENSF_IJSE_SE_EEES9_SG_JZNS1_25segmented_radix_sort_implINS0_14default_configELb1EPKsPsPKlPlN2at6native12_GLOBAL__N_18offset_tEEE10hipError_tPvRmT1_PNSt15iterator_traitsISY_E10value_typeET2_T3_PNSZ_IS14_E10value_typeET4_jRbjT5_S1A_jjP12ihipStream_tbEUljE_EEESV_SW_SX_S14_S18_S1A_T6_T7_T9_mT8_S1C_bDpT10_ENKUlT_T0_E_clISt17integral_constantIbLb1EES1P_EEDaS1K_S1L_EUlS1K_E_NS1_11comp_targetILNS1_3genE2ELNS1_11target_archE906ELNS1_3gpuE6ELNS1_3repE0EEENS1_30default_config_static_selectorELNS0_4arch9wavefront6targetE0EEEvSY_
; %bb.0:
	.section	.rodata,"a",@progbits
	.p2align	6, 0x0
	.amdhsa_kernel _ZN7rocprim17ROCPRIM_400000_NS6detail17trampoline_kernelINS0_13select_configILj256ELj13ELNS0_17block_load_methodE3ELS4_3ELS4_3ELNS0_20block_scan_algorithmE0ELj4294967295EEENS1_25partition_config_selectorILNS1_17partition_subalgoE3EjNS0_10empty_typeEbEEZZNS1_14partition_implILS8_3ELb0ES6_jNS0_17counting_iteratorIjlEEPS9_SE_NS0_5tupleIJPjSE_EEENSF_IJSE_SE_EEES9_SG_JZNS1_25segmented_radix_sort_implINS0_14default_configELb1EPKsPsPKlPlN2at6native12_GLOBAL__N_18offset_tEEE10hipError_tPvRmT1_PNSt15iterator_traitsISY_E10value_typeET2_T3_PNSZ_IS14_E10value_typeET4_jRbjT5_S1A_jjP12ihipStream_tbEUljE_EEESV_SW_SX_S14_S18_S1A_T6_T7_T9_mT8_S1C_bDpT10_ENKUlT_T0_E_clISt17integral_constantIbLb1EES1P_EEDaS1K_S1L_EUlS1K_E_NS1_11comp_targetILNS1_3genE2ELNS1_11target_archE906ELNS1_3gpuE6ELNS1_3repE0EEENS1_30default_config_static_selectorELNS0_4arch9wavefront6targetE0EEEvSY_
		.amdhsa_group_segment_fixed_size 0
		.amdhsa_private_segment_fixed_size 0
		.amdhsa_kernarg_size 152
		.amdhsa_user_sgpr_count 2
		.amdhsa_user_sgpr_dispatch_ptr 0
		.amdhsa_user_sgpr_queue_ptr 0
		.amdhsa_user_sgpr_kernarg_segment_ptr 1
		.amdhsa_user_sgpr_dispatch_id 0
		.amdhsa_user_sgpr_kernarg_preload_length 0
		.amdhsa_user_sgpr_kernarg_preload_offset 0
		.amdhsa_user_sgpr_private_segment_size 0
		.amdhsa_wavefront_size32 1
		.amdhsa_uses_dynamic_stack 0
		.amdhsa_enable_private_segment 0
		.amdhsa_system_sgpr_workgroup_id_x 1
		.amdhsa_system_sgpr_workgroup_id_y 0
		.amdhsa_system_sgpr_workgroup_id_z 0
		.amdhsa_system_sgpr_workgroup_info 0
		.amdhsa_system_vgpr_workitem_id 0
		.amdhsa_next_free_vgpr 1
		.amdhsa_next_free_sgpr 1
		.amdhsa_named_barrier_count 0
		.amdhsa_reserve_vcc 0
		.amdhsa_float_round_mode_32 0
		.amdhsa_float_round_mode_16_64 0
		.amdhsa_float_denorm_mode_32 3
		.amdhsa_float_denorm_mode_16_64 3
		.amdhsa_fp16_overflow 0
		.amdhsa_memory_ordered 1
		.amdhsa_forward_progress 1
		.amdhsa_inst_pref_size 0
		.amdhsa_round_robin_scheduling 0
		.amdhsa_exception_fp_ieee_invalid_op 0
		.amdhsa_exception_fp_denorm_src 0
		.amdhsa_exception_fp_ieee_div_zero 0
		.amdhsa_exception_fp_ieee_overflow 0
		.amdhsa_exception_fp_ieee_underflow 0
		.amdhsa_exception_fp_ieee_inexact 0
		.amdhsa_exception_int_div_zero 0
	.end_amdhsa_kernel
	.section	.text._ZN7rocprim17ROCPRIM_400000_NS6detail17trampoline_kernelINS0_13select_configILj256ELj13ELNS0_17block_load_methodE3ELS4_3ELS4_3ELNS0_20block_scan_algorithmE0ELj4294967295EEENS1_25partition_config_selectorILNS1_17partition_subalgoE3EjNS0_10empty_typeEbEEZZNS1_14partition_implILS8_3ELb0ES6_jNS0_17counting_iteratorIjlEEPS9_SE_NS0_5tupleIJPjSE_EEENSF_IJSE_SE_EEES9_SG_JZNS1_25segmented_radix_sort_implINS0_14default_configELb1EPKsPsPKlPlN2at6native12_GLOBAL__N_18offset_tEEE10hipError_tPvRmT1_PNSt15iterator_traitsISY_E10value_typeET2_T3_PNSZ_IS14_E10value_typeET4_jRbjT5_S1A_jjP12ihipStream_tbEUljE_EEESV_SW_SX_S14_S18_S1A_T6_T7_T9_mT8_S1C_bDpT10_ENKUlT_T0_E_clISt17integral_constantIbLb1EES1P_EEDaS1K_S1L_EUlS1K_E_NS1_11comp_targetILNS1_3genE2ELNS1_11target_archE906ELNS1_3gpuE6ELNS1_3repE0EEENS1_30default_config_static_selectorELNS0_4arch9wavefront6targetE0EEEvSY_,"axG",@progbits,_ZN7rocprim17ROCPRIM_400000_NS6detail17trampoline_kernelINS0_13select_configILj256ELj13ELNS0_17block_load_methodE3ELS4_3ELS4_3ELNS0_20block_scan_algorithmE0ELj4294967295EEENS1_25partition_config_selectorILNS1_17partition_subalgoE3EjNS0_10empty_typeEbEEZZNS1_14partition_implILS8_3ELb0ES6_jNS0_17counting_iteratorIjlEEPS9_SE_NS0_5tupleIJPjSE_EEENSF_IJSE_SE_EEES9_SG_JZNS1_25segmented_radix_sort_implINS0_14default_configELb1EPKsPsPKlPlN2at6native12_GLOBAL__N_18offset_tEEE10hipError_tPvRmT1_PNSt15iterator_traitsISY_E10value_typeET2_T3_PNSZ_IS14_E10value_typeET4_jRbjT5_S1A_jjP12ihipStream_tbEUljE_EEESV_SW_SX_S14_S18_S1A_T6_T7_T9_mT8_S1C_bDpT10_ENKUlT_T0_E_clISt17integral_constantIbLb1EES1P_EEDaS1K_S1L_EUlS1K_E_NS1_11comp_targetILNS1_3genE2ELNS1_11target_archE906ELNS1_3gpuE6ELNS1_3repE0EEENS1_30default_config_static_selectorELNS0_4arch9wavefront6targetE0EEEvSY_,comdat
.Lfunc_end887:
	.size	_ZN7rocprim17ROCPRIM_400000_NS6detail17trampoline_kernelINS0_13select_configILj256ELj13ELNS0_17block_load_methodE3ELS4_3ELS4_3ELNS0_20block_scan_algorithmE0ELj4294967295EEENS1_25partition_config_selectorILNS1_17partition_subalgoE3EjNS0_10empty_typeEbEEZZNS1_14partition_implILS8_3ELb0ES6_jNS0_17counting_iteratorIjlEEPS9_SE_NS0_5tupleIJPjSE_EEENSF_IJSE_SE_EEES9_SG_JZNS1_25segmented_radix_sort_implINS0_14default_configELb1EPKsPsPKlPlN2at6native12_GLOBAL__N_18offset_tEEE10hipError_tPvRmT1_PNSt15iterator_traitsISY_E10value_typeET2_T3_PNSZ_IS14_E10value_typeET4_jRbjT5_S1A_jjP12ihipStream_tbEUljE_EEESV_SW_SX_S14_S18_S1A_T6_T7_T9_mT8_S1C_bDpT10_ENKUlT_T0_E_clISt17integral_constantIbLb1EES1P_EEDaS1K_S1L_EUlS1K_E_NS1_11comp_targetILNS1_3genE2ELNS1_11target_archE906ELNS1_3gpuE6ELNS1_3repE0EEENS1_30default_config_static_selectorELNS0_4arch9wavefront6targetE0EEEvSY_, .Lfunc_end887-_ZN7rocprim17ROCPRIM_400000_NS6detail17trampoline_kernelINS0_13select_configILj256ELj13ELNS0_17block_load_methodE3ELS4_3ELS4_3ELNS0_20block_scan_algorithmE0ELj4294967295EEENS1_25partition_config_selectorILNS1_17partition_subalgoE3EjNS0_10empty_typeEbEEZZNS1_14partition_implILS8_3ELb0ES6_jNS0_17counting_iteratorIjlEEPS9_SE_NS0_5tupleIJPjSE_EEENSF_IJSE_SE_EEES9_SG_JZNS1_25segmented_radix_sort_implINS0_14default_configELb1EPKsPsPKlPlN2at6native12_GLOBAL__N_18offset_tEEE10hipError_tPvRmT1_PNSt15iterator_traitsISY_E10value_typeET2_T3_PNSZ_IS14_E10value_typeET4_jRbjT5_S1A_jjP12ihipStream_tbEUljE_EEESV_SW_SX_S14_S18_S1A_T6_T7_T9_mT8_S1C_bDpT10_ENKUlT_T0_E_clISt17integral_constantIbLb1EES1P_EEDaS1K_S1L_EUlS1K_E_NS1_11comp_targetILNS1_3genE2ELNS1_11target_archE906ELNS1_3gpuE6ELNS1_3repE0EEENS1_30default_config_static_selectorELNS0_4arch9wavefront6targetE0EEEvSY_
                                        ; -- End function
	.set _ZN7rocprim17ROCPRIM_400000_NS6detail17trampoline_kernelINS0_13select_configILj256ELj13ELNS0_17block_load_methodE3ELS4_3ELS4_3ELNS0_20block_scan_algorithmE0ELj4294967295EEENS1_25partition_config_selectorILNS1_17partition_subalgoE3EjNS0_10empty_typeEbEEZZNS1_14partition_implILS8_3ELb0ES6_jNS0_17counting_iteratorIjlEEPS9_SE_NS0_5tupleIJPjSE_EEENSF_IJSE_SE_EEES9_SG_JZNS1_25segmented_radix_sort_implINS0_14default_configELb1EPKsPsPKlPlN2at6native12_GLOBAL__N_18offset_tEEE10hipError_tPvRmT1_PNSt15iterator_traitsISY_E10value_typeET2_T3_PNSZ_IS14_E10value_typeET4_jRbjT5_S1A_jjP12ihipStream_tbEUljE_EEESV_SW_SX_S14_S18_S1A_T6_T7_T9_mT8_S1C_bDpT10_ENKUlT_T0_E_clISt17integral_constantIbLb1EES1P_EEDaS1K_S1L_EUlS1K_E_NS1_11comp_targetILNS1_3genE2ELNS1_11target_archE906ELNS1_3gpuE6ELNS1_3repE0EEENS1_30default_config_static_selectorELNS0_4arch9wavefront6targetE0EEEvSY_.num_vgpr, 0
	.set _ZN7rocprim17ROCPRIM_400000_NS6detail17trampoline_kernelINS0_13select_configILj256ELj13ELNS0_17block_load_methodE3ELS4_3ELS4_3ELNS0_20block_scan_algorithmE0ELj4294967295EEENS1_25partition_config_selectorILNS1_17partition_subalgoE3EjNS0_10empty_typeEbEEZZNS1_14partition_implILS8_3ELb0ES6_jNS0_17counting_iteratorIjlEEPS9_SE_NS0_5tupleIJPjSE_EEENSF_IJSE_SE_EEES9_SG_JZNS1_25segmented_radix_sort_implINS0_14default_configELb1EPKsPsPKlPlN2at6native12_GLOBAL__N_18offset_tEEE10hipError_tPvRmT1_PNSt15iterator_traitsISY_E10value_typeET2_T3_PNSZ_IS14_E10value_typeET4_jRbjT5_S1A_jjP12ihipStream_tbEUljE_EEESV_SW_SX_S14_S18_S1A_T6_T7_T9_mT8_S1C_bDpT10_ENKUlT_T0_E_clISt17integral_constantIbLb1EES1P_EEDaS1K_S1L_EUlS1K_E_NS1_11comp_targetILNS1_3genE2ELNS1_11target_archE906ELNS1_3gpuE6ELNS1_3repE0EEENS1_30default_config_static_selectorELNS0_4arch9wavefront6targetE0EEEvSY_.num_agpr, 0
	.set _ZN7rocprim17ROCPRIM_400000_NS6detail17trampoline_kernelINS0_13select_configILj256ELj13ELNS0_17block_load_methodE3ELS4_3ELS4_3ELNS0_20block_scan_algorithmE0ELj4294967295EEENS1_25partition_config_selectorILNS1_17partition_subalgoE3EjNS0_10empty_typeEbEEZZNS1_14partition_implILS8_3ELb0ES6_jNS0_17counting_iteratorIjlEEPS9_SE_NS0_5tupleIJPjSE_EEENSF_IJSE_SE_EEES9_SG_JZNS1_25segmented_radix_sort_implINS0_14default_configELb1EPKsPsPKlPlN2at6native12_GLOBAL__N_18offset_tEEE10hipError_tPvRmT1_PNSt15iterator_traitsISY_E10value_typeET2_T3_PNSZ_IS14_E10value_typeET4_jRbjT5_S1A_jjP12ihipStream_tbEUljE_EEESV_SW_SX_S14_S18_S1A_T6_T7_T9_mT8_S1C_bDpT10_ENKUlT_T0_E_clISt17integral_constantIbLb1EES1P_EEDaS1K_S1L_EUlS1K_E_NS1_11comp_targetILNS1_3genE2ELNS1_11target_archE906ELNS1_3gpuE6ELNS1_3repE0EEENS1_30default_config_static_selectorELNS0_4arch9wavefront6targetE0EEEvSY_.numbered_sgpr, 0
	.set _ZN7rocprim17ROCPRIM_400000_NS6detail17trampoline_kernelINS0_13select_configILj256ELj13ELNS0_17block_load_methodE3ELS4_3ELS4_3ELNS0_20block_scan_algorithmE0ELj4294967295EEENS1_25partition_config_selectorILNS1_17partition_subalgoE3EjNS0_10empty_typeEbEEZZNS1_14partition_implILS8_3ELb0ES6_jNS0_17counting_iteratorIjlEEPS9_SE_NS0_5tupleIJPjSE_EEENSF_IJSE_SE_EEES9_SG_JZNS1_25segmented_radix_sort_implINS0_14default_configELb1EPKsPsPKlPlN2at6native12_GLOBAL__N_18offset_tEEE10hipError_tPvRmT1_PNSt15iterator_traitsISY_E10value_typeET2_T3_PNSZ_IS14_E10value_typeET4_jRbjT5_S1A_jjP12ihipStream_tbEUljE_EEESV_SW_SX_S14_S18_S1A_T6_T7_T9_mT8_S1C_bDpT10_ENKUlT_T0_E_clISt17integral_constantIbLb1EES1P_EEDaS1K_S1L_EUlS1K_E_NS1_11comp_targetILNS1_3genE2ELNS1_11target_archE906ELNS1_3gpuE6ELNS1_3repE0EEENS1_30default_config_static_selectorELNS0_4arch9wavefront6targetE0EEEvSY_.num_named_barrier, 0
	.set _ZN7rocprim17ROCPRIM_400000_NS6detail17trampoline_kernelINS0_13select_configILj256ELj13ELNS0_17block_load_methodE3ELS4_3ELS4_3ELNS0_20block_scan_algorithmE0ELj4294967295EEENS1_25partition_config_selectorILNS1_17partition_subalgoE3EjNS0_10empty_typeEbEEZZNS1_14partition_implILS8_3ELb0ES6_jNS0_17counting_iteratorIjlEEPS9_SE_NS0_5tupleIJPjSE_EEENSF_IJSE_SE_EEES9_SG_JZNS1_25segmented_radix_sort_implINS0_14default_configELb1EPKsPsPKlPlN2at6native12_GLOBAL__N_18offset_tEEE10hipError_tPvRmT1_PNSt15iterator_traitsISY_E10value_typeET2_T3_PNSZ_IS14_E10value_typeET4_jRbjT5_S1A_jjP12ihipStream_tbEUljE_EEESV_SW_SX_S14_S18_S1A_T6_T7_T9_mT8_S1C_bDpT10_ENKUlT_T0_E_clISt17integral_constantIbLb1EES1P_EEDaS1K_S1L_EUlS1K_E_NS1_11comp_targetILNS1_3genE2ELNS1_11target_archE906ELNS1_3gpuE6ELNS1_3repE0EEENS1_30default_config_static_selectorELNS0_4arch9wavefront6targetE0EEEvSY_.private_seg_size, 0
	.set _ZN7rocprim17ROCPRIM_400000_NS6detail17trampoline_kernelINS0_13select_configILj256ELj13ELNS0_17block_load_methodE3ELS4_3ELS4_3ELNS0_20block_scan_algorithmE0ELj4294967295EEENS1_25partition_config_selectorILNS1_17partition_subalgoE3EjNS0_10empty_typeEbEEZZNS1_14partition_implILS8_3ELb0ES6_jNS0_17counting_iteratorIjlEEPS9_SE_NS0_5tupleIJPjSE_EEENSF_IJSE_SE_EEES9_SG_JZNS1_25segmented_radix_sort_implINS0_14default_configELb1EPKsPsPKlPlN2at6native12_GLOBAL__N_18offset_tEEE10hipError_tPvRmT1_PNSt15iterator_traitsISY_E10value_typeET2_T3_PNSZ_IS14_E10value_typeET4_jRbjT5_S1A_jjP12ihipStream_tbEUljE_EEESV_SW_SX_S14_S18_S1A_T6_T7_T9_mT8_S1C_bDpT10_ENKUlT_T0_E_clISt17integral_constantIbLb1EES1P_EEDaS1K_S1L_EUlS1K_E_NS1_11comp_targetILNS1_3genE2ELNS1_11target_archE906ELNS1_3gpuE6ELNS1_3repE0EEENS1_30default_config_static_selectorELNS0_4arch9wavefront6targetE0EEEvSY_.uses_vcc, 0
	.set _ZN7rocprim17ROCPRIM_400000_NS6detail17trampoline_kernelINS0_13select_configILj256ELj13ELNS0_17block_load_methodE3ELS4_3ELS4_3ELNS0_20block_scan_algorithmE0ELj4294967295EEENS1_25partition_config_selectorILNS1_17partition_subalgoE3EjNS0_10empty_typeEbEEZZNS1_14partition_implILS8_3ELb0ES6_jNS0_17counting_iteratorIjlEEPS9_SE_NS0_5tupleIJPjSE_EEENSF_IJSE_SE_EEES9_SG_JZNS1_25segmented_radix_sort_implINS0_14default_configELb1EPKsPsPKlPlN2at6native12_GLOBAL__N_18offset_tEEE10hipError_tPvRmT1_PNSt15iterator_traitsISY_E10value_typeET2_T3_PNSZ_IS14_E10value_typeET4_jRbjT5_S1A_jjP12ihipStream_tbEUljE_EEESV_SW_SX_S14_S18_S1A_T6_T7_T9_mT8_S1C_bDpT10_ENKUlT_T0_E_clISt17integral_constantIbLb1EES1P_EEDaS1K_S1L_EUlS1K_E_NS1_11comp_targetILNS1_3genE2ELNS1_11target_archE906ELNS1_3gpuE6ELNS1_3repE0EEENS1_30default_config_static_selectorELNS0_4arch9wavefront6targetE0EEEvSY_.uses_flat_scratch, 0
	.set _ZN7rocprim17ROCPRIM_400000_NS6detail17trampoline_kernelINS0_13select_configILj256ELj13ELNS0_17block_load_methodE3ELS4_3ELS4_3ELNS0_20block_scan_algorithmE0ELj4294967295EEENS1_25partition_config_selectorILNS1_17partition_subalgoE3EjNS0_10empty_typeEbEEZZNS1_14partition_implILS8_3ELb0ES6_jNS0_17counting_iteratorIjlEEPS9_SE_NS0_5tupleIJPjSE_EEENSF_IJSE_SE_EEES9_SG_JZNS1_25segmented_radix_sort_implINS0_14default_configELb1EPKsPsPKlPlN2at6native12_GLOBAL__N_18offset_tEEE10hipError_tPvRmT1_PNSt15iterator_traitsISY_E10value_typeET2_T3_PNSZ_IS14_E10value_typeET4_jRbjT5_S1A_jjP12ihipStream_tbEUljE_EEESV_SW_SX_S14_S18_S1A_T6_T7_T9_mT8_S1C_bDpT10_ENKUlT_T0_E_clISt17integral_constantIbLb1EES1P_EEDaS1K_S1L_EUlS1K_E_NS1_11comp_targetILNS1_3genE2ELNS1_11target_archE906ELNS1_3gpuE6ELNS1_3repE0EEENS1_30default_config_static_selectorELNS0_4arch9wavefront6targetE0EEEvSY_.has_dyn_sized_stack, 0
	.set _ZN7rocprim17ROCPRIM_400000_NS6detail17trampoline_kernelINS0_13select_configILj256ELj13ELNS0_17block_load_methodE3ELS4_3ELS4_3ELNS0_20block_scan_algorithmE0ELj4294967295EEENS1_25partition_config_selectorILNS1_17partition_subalgoE3EjNS0_10empty_typeEbEEZZNS1_14partition_implILS8_3ELb0ES6_jNS0_17counting_iteratorIjlEEPS9_SE_NS0_5tupleIJPjSE_EEENSF_IJSE_SE_EEES9_SG_JZNS1_25segmented_radix_sort_implINS0_14default_configELb1EPKsPsPKlPlN2at6native12_GLOBAL__N_18offset_tEEE10hipError_tPvRmT1_PNSt15iterator_traitsISY_E10value_typeET2_T3_PNSZ_IS14_E10value_typeET4_jRbjT5_S1A_jjP12ihipStream_tbEUljE_EEESV_SW_SX_S14_S18_S1A_T6_T7_T9_mT8_S1C_bDpT10_ENKUlT_T0_E_clISt17integral_constantIbLb1EES1P_EEDaS1K_S1L_EUlS1K_E_NS1_11comp_targetILNS1_3genE2ELNS1_11target_archE906ELNS1_3gpuE6ELNS1_3repE0EEENS1_30default_config_static_selectorELNS0_4arch9wavefront6targetE0EEEvSY_.has_recursion, 0
	.set _ZN7rocprim17ROCPRIM_400000_NS6detail17trampoline_kernelINS0_13select_configILj256ELj13ELNS0_17block_load_methodE3ELS4_3ELS4_3ELNS0_20block_scan_algorithmE0ELj4294967295EEENS1_25partition_config_selectorILNS1_17partition_subalgoE3EjNS0_10empty_typeEbEEZZNS1_14partition_implILS8_3ELb0ES6_jNS0_17counting_iteratorIjlEEPS9_SE_NS0_5tupleIJPjSE_EEENSF_IJSE_SE_EEES9_SG_JZNS1_25segmented_radix_sort_implINS0_14default_configELb1EPKsPsPKlPlN2at6native12_GLOBAL__N_18offset_tEEE10hipError_tPvRmT1_PNSt15iterator_traitsISY_E10value_typeET2_T3_PNSZ_IS14_E10value_typeET4_jRbjT5_S1A_jjP12ihipStream_tbEUljE_EEESV_SW_SX_S14_S18_S1A_T6_T7_T9_mT8_S1C_bDpT10_ENKUlT_T0_E_clISt17integral_constantIbLb1EES1P_EEDaS1K_S1L_EUlS1K_E_NS1_11comp_targetILNS1_3genE2ELNS1_11target_archE906ELNS1_3gpuE6ELNS1_3repE0EEENS1_30default_config_static_selectorELNS0_4arch9wavefront6targetE0EEEvSY_.has_indirect_call, 0
	.section	.AMDGPU.csdata,"",@progbits
; Kernel info:
; codeLenInByte = 0
; TotalNumSgprs: 0
; NumVgprs: 0
; ScratchSize: 0
; MemoryBound: 0
; FloatMode: 240
; IeeeMode: 1
; LDSByteSize: 0 bytes/workgroup (compile time only)
; SGPRBlocks: 0
; VGPRBlocks: 0
; NumSGPRsForWavesPerEU: 1
; NumVGPRsForWavesPerEU: 1
; NamedBarCnt: 0
; Occupancy: 16
; WaveLimiterHint : 0
; COMPUTE_PGM_RSRC2:SCRATCH_EN: 0
; COMPUTE_PGM_RSRC2:USER_SGPR: 2
; COMPUTE_PGM_RSRC2:TRAP_HANDLER: 0
; COMPUTE_PGM_RSRC2:TGID_X_EN: 1
; COMPUTE_PGM_RSRC2:TGID_Y_EN: 0
; COMPUTE_PGM_RSRC2:TGID_Z_EN: 0
; COMPUTE_PGM_RSRC2:TIDIG_COMP_CNT: 0
	.section	.text._ZN7rocprim17ROCPRIM_400000_NS6detail17trampoline_kernelINS0_13select_configILj256ELj13ELNS0_17block_load_methodE3ELS4_3ELS4_3ELNS0_20block_scan_algorithmE0ELj4294967295EEENS1_25partition_config_selectorILNS1_17partition_subalgoE3EjNS0_10empty_typeEbEEZZNS1_14partition_implILS8_3ELb0ES6_jNS0_17counting_iteratorIjlEEPS9_SE_NS0_5tupleIJPjSE_EEENSF_IJSE_SE_EEES9_SG_JZNS1_25segmented_radix_sort_implINS0_14default_configELb1EPKsPsPKlPlN2at6native12_GLOBAL__N_18offset_tEEE10hipError_tPvRmT1_PNSt15iterator_traitsISY_E10value_typeET2_T3_PNSZ_IS14_E10value_typeET4_jRbjT5_S1A_jjP12ihipStream_tbEUljE_EEESV_SW_SX_S14_S18_S1A_T6_T7_T9_mT8_S1C_bDpT10_ENKUlT_T0_E_clISt17integral_constantIbLb1EES1P_EEDaS1K_S1L_EUlS1K_E_NS1_11comp_targetILNS1_3genE10ELNS1_11target_archE1200ELNS1_3gpuE4ELNS1_3repE0EEENS1_30default_config_static_selectorELNS0_4arch9wavefront6targetE0EEEvSY_,"axG",@progbits,_ZN7rocprim17ROCPRIM_400000_NS6detail17trampoline_kernelINS0_13select_configILj256ELj13ELNS0_17block_load_methodE3ELS4_3ELS4_3ELNS0_20block_scan_algorithmE0ELj4294967295EEENS1_25partition_config_selectorILNS1_17partition_subalgoE3EjNS0_10empty_typeEbEEZZNS1_14partition_implILS8_3ELb0ES6_jNS0_17counting_iteratorIjlEEPS9_SE_NS0_5tupleIJPjSE_EEENSF_IJSE_SE_EEES9_SG_JZNS1_25segmented_radix_sort_implINS0_14default_configELb1EPKsPsPKlPlN2at6native12_GLOBAL__N_18offset_tEEE10hipError_tPvRmT1_PNSt15iterator_traitsISY_E10value_typeET2_T3_PNSZ_IS14_E10value_typeET4_jRbjT5_S1A_jjP12ihipStream_tbEUljE_EEESV_SW_SX_S14_S18_S1A_T6_T7_T9_mT8_S1C_bDpT10_ENKUlT_T0_E_clISt17integral_constantIbLb1EES1P_EEDaS1K_S1L_EUlS1K_E_NS1_11comp_targetILNS1_3genE10ELNS1_11target_archE1200ELNS1_3gpuE4ELNS1_3repE0EEENS1_30default_config_static_selectorELNS0_4arch9wavefront6targetE0EEEvSY_,comdat
	.globl	_ZN7rocprim17ROCPRIM_400000_NS6detail17trampoline_kernelINS0_13select_configILj256ELj13ELNS0_17block_load_methodE3ELS4_3ELS4_3ELNS0_20block_scan_algorithmE0ELj4294967295EEENS1_25partition_config_selectorILNS1_17partition_subalgoE3EjNS0_10empty_typeEbEEZZNS1_14partition_implILS8_3ELb0ES6_jNS0_17counting_iteratorIjlEEPS9_SE_NS0_5tupleIJPjSE_EEENSF_IJSE_SE_EEES9_SG_JZNS1_25segmented_radix_sort_implINS0_14default_configELb1EPKsPsPKlPlN2at6native12_GLOBAL__N_18offset_tEEE10hipError_tPvRmT1_PNSt15iterator_traitsISY_E10value_typeET2_T3_PNSZ_IS14_E10value_typeET4_jRbjT5_S1A_jjP12ihipStream_tbEUljE_EEESV_SW_SX_S14_S18_S1A_T6_T7_T9_mT8_S1C_bDpT10_ENKUlT_T0_E_clISt17integral_constantIbLb1EES1P_EEDaS1K_S1L_EUlS1K_E_NS1_11comp_targetILNS1_3genE10ELNS1_11target_archE1200ELNS1_3gpuE4ELNS1_3repE0EEENS1_30default_config_static_selectorELNS0_4arch9wavefront6targetE0EEEvSY_ ; -- Begin function _ZN7rocprim17ROCPRIM_400000_NS6detail17trampoline_kernelINS0_13select_configILj256ELj13ELNS0_17block_load_methodE3ELS4_3ELS4_3ELNS0_20block_scan_algorithmE0ELj4294967295EEENS1_25partition_config_selectorILNS1_17partition_subalgoE3EjNS0_10empty_typeEbEEZZNS1_14partition_implILS8_3ELb0ES6_jNS0_17counting_iteratorIjlEEPS9_SE_NS0_5tupleIJPjSE_EEENSF_IJSE_SE_EEES9_SG_JZNS1_25segmented_radix_sort_implINS0_14default_configELb1EPKsPsPKlPlN2at6native12_GLOBAL__N_18offset_tEEE10hipError_tPvRmT1_PNSt15iterator_traitsISY_E10value_typeET2_T3_PNSZ_IS14_E10value_typeET4_jRbjT5_S1A_jjP12ihipStream_tbEUljE_EEESV_SW_SX_S14_S18_S1A_T6_T7_T9_mT8_S1C_bDpT10_ENKUlT_T0_E_clISt17integral_constantIbLb1EES1P_EEDaS1K_S1L_EUlS1K_E_NS1_11comp_targetILNS1_3genE10ELNS1_11target_archE1200ELNS1_3gpuE4ELNS1_3repE0EEENS1_30default_config_static_selectorELNS0_4arch9wavefront6targetE0EEEvSY_
	.p2align	8
	.type	_ZN7rocprim17ROCPRIM_400000_NS6detail17trampoline_kernelINS0_13select_configILj256ELj13ELNS0_17block_load_methodE3ELS4_3ELS4_3ELNS0_20block_scan_algorithmE0ELj4294967295EEENS1_25partition_config_selectorILNS1_17partition_subalgoE3EjNS0_10empty_typeEbEEZZNS1_14partition_implILS8_3ELb0ES6_jNS0_17counting_iteratorIjlEEPS9_SE_NS0_5tupleIJPjSE_EEENSF_IJSE_SE_EEES9_SG_JZNS1_25segmented_radix_sort_implINS0_14default_configELb1EPKsPsPKlPlN2at6native12_GLOBAL__N_18offset_tEEE10hipError_tPvRmT1_PNSt15iterator_traitsISY_E10value_typeET2_T3_PNSZ_IS14_E10value_typeET4_jRbjT5_S1A_jjP12ihipStream_tbEUljE_EEESV_SW_SX_S14_S18_S1A_T6_T7_T9_mT8_S1C_bDpT10_ENKUlT_T0_E_clISt17integral_constantIbLb1EES1P_EEDaS1K_S1L_EUlS1K_E_NS1_11comp_targetILNS1_3genE10ELNS1_11target_archE1200ELNS1_3gpuE4ELNS1_3repE0EEENS1_30default_config_static_selectorELNS0_4arch9wavefront6targetE0EEEvSY_,@function
_ZN7rocprim17ROCPRIM_400000_NS6detail17trampoline_kernelINS0_13select_configILj256ELj13ELNS0_17block_load_methodE3ELS4_3ELS4_3ELNS0_20block_scan_algorithmE0ELj4294967295EEENS1_25partition_config_selectorILNS1_17partition_subalgoE3EjNS0_10empty_typeEbEEZZNS1_14partition_implILS8_3ELb0ES6_jNS0_17counting_iteratorIjlEEPS9_SE_NS0_5tupleIJPjSE_EEENSF_IJSE_SE_EEES9_SG_JZNS1_25segmented_radix_sort_implINS0_14default_configELb1EPKsPsPKlPlN2at6native12_GLOBAL__N_18offset_tEEE10hipError_tPvRmT1_PNSt15iterator_traitsISY_E10value_typeET2_T3_PNSZ_IS14_E10value_typeET4_jRbjT5_S1A_jjP12ihipStream_tbEUljE_EEESV_SW_SX_S14_S18_S1A_T6_T7_T9_mT8_S1C_bDpT10_ENKUlT_T0_E_clISt17integral_constantIbLb1EES1P_EEDaS1K_S1L_EUlS1K_E_NS1_11comp_targetILNS1_3genE10ELNS1_11target_archE1200ELNS1_3gpuE4ELNS1_3repE0EEENS1_30default_config_static_selectorELNS0_4arch9wavefront6targetE0EEEvSY_: ; @_ZN7rocprim17ROCPRIM_400000_NS6detail17trampoline_kernelINS0_13select_configILj256ELj13ELNS0_17block_load_methodE3ELS4_3ELS4_3ELNS0_20block_scan_algorithmE0ELj4294967295EEENS1_25partition_config_selectorILNS1_17partition_subalgoE3EjNS0_10empty_typeEbEEZZNS1_14partition_implILS8_3ELb0ES6_jNS0_17counting_iteratorIjlEEPS9_SE_NS0_5tupleIJPjSE_EEENSF_IJSE_SE_EEES9_SG_JZNS1_25segmented_radix_sort_implINS0_14default_configELb1EPKsPsPKlPlN2at6native12_GLOBAL__N_18offset_tEEE10hipError_tPvRmT1_PNSt15iterator_traitsISY_E10value_typeET2_T3_PNSZ_IS14_E10value_typeET4_jRbjT5_S1A_jjP12ihipStream_tbEUljE_EEESV_SW_SX_S14_S18_S1A_T6_T7_T9_mT8_S1C_bDpT10_ENKUlT_T0_E_clISt17integral_constantIbLb1EES1P_EEDaS1K_S1L_EUlS1K_E_NS1_11comp_targetILNS1_3genE10ELNS1_11target_archE1200ELNS1_3gpuE4ELNS1_3repE0EEENS1_30default_config_static_selectorELNS0_4arch9wavefront6targetE0EEEvSY_
; %bb.0:
	.section	.rodata,"a",@progbits
	.p2align	6, 0x0
	.amdhsa_kernel _ZN7rocprim17ROCPRIM_400000_NS6detail17trampoline_kernelINS0_13select_configILj256ELj13ELNS0_17block_load_methodE3ELS4_3ELS4_3ELNS0_20block_scan_algorithmE0ELj4294967295EEENS1_25partition_config_selectorILNS1_17partition_subalgoE3EjNS0_10empty_typeEbEEZZNS1_14partition_implILS8_3ELb0ES6_jNS0_17counting_iteratorIjlEEPS9_SE_NS0_5tupleIJPjSE_EEENSF_IJSE_SE_EEES9_SG_JZNS1_25segmented_radix_sort_implINS0_14default_configELb1EPKsPsPKlPlN2at6native12_GLOBAL__N_18offset_tEEE10hipError_tPvRmT1_PNSt15iterator_traitsISY_E10value_typeET2_T3_PNSZ_IS14_E10value_typeET4_jRbjT5_S1A_jjP12ihipStream_tbEUljE_EEESV_SW_SX_S14_S18_S1A_T6_T7_T9_mT8_S1C_bDpT10_ENKUlT_T0_E_clISt17integral_constantIbLb1EES1P_EEDaS1K_S1L_EUlS1K_E_NS1_11comp_targetILNS1_3genE10ELNS1_11target_archE1200ELNS1_3gpuE4ELNS1_3repE0EEENS1_30default_config_static_selectorELNS0_4arch9wavefront6targetE0EEEvSY_
		.amdhsa_group_segment_fixed_size 0
		.amdhsa_private_segment_fixed_size 0
		.amdhsa_kernarg_size 152
		.amdhsa_user_sgpr_count 2
		.amdhsa_user_sgpr_dispatch_ptr 0
		.amdhsa_user_sgpr_queue_ptr 0
		.amdhsa_user_sgpr_kernarg_segment_ptr 1
		.amdhsa_user_sgpr_dispatch_id 0
		.amdhsa_user_sgpr_kernarg_preload_length 0
		.amdhsa_user_sgpr_kernarg_preload_offset 0
		.amdhsa_user_sgpr_private_segment_size 0
		.amdhsa_wavefront_size32 1
		.amdhsa_uses_dynamic_stack 0
		.amdhsa_enable_private_segment 0
		.amdhsa_system_sgpr_workgroup_id_x 1
		.amdhsa_system_sgpr_workgroup_id_y 0
		.amdhsa_system_sgpr_workgroup_id_z 0
		.amdhsa_system_sgpr_workgroup_info 0
		.amdhsa_system_vgpr_workitem_id 0
		.amdhsa_next_free_vgpr 1
		.amdhsa_next_free_sgpr 1
		.amdhsa_named_barrier_count 0
		.amdhsa_reserve_vcc 0
		.amdhsa_float_round_mode_32 0
		.amdhsa_float_round_mode_16_64 0
		.amdhsa_float_denorm_mode_32 3
		.amdhsa_float_denorm_mode_16_64 3
		.amdhsa_fp16_overflow 0
		.amdhsa_memory_ordered 1
		.amdhsa_forward_progress 1
		.amdhsa_inst_pref_size 0
		.amdhsa_round_robin_scheduling 0
		.amdhsa_exception_fp_ieee_invalid_op 0
		.amdhsa_exception_fp_denorm_src 0
		.amdhsa_exception_fp_ieee_div_zero 0
		.amdhsa_exception_fp_ieee_overflow 0
		.amdhsa_exception_fp_ieee_underflow 0
		.amdhsa_exception_fp_ieee_inexact 0
		.amdhsa_exception_int_div_zero 0
	.end_amdhsa_kernel
	.section	.text._ZN7rocprim17ROCPRIM_400000_NS6detail17trampoline_kernelINS0_13select_configILj256ELj13ELNS0_17block_load_methodE3ELS4_3ELS4_3ELNS0_20block_scan_algorithmE0ELj4294967295EEENS1_25partition_config_selectorILNS1_17partition_subalgoE3EjNS0_10empty_typeEbEEZZNS1_14partition_implILS8_3ELb0ES6_jNS0_17counting_iteratorIjlEEPS9_SE_NS0_5tupleIJPjSE_EEENSF_IJSE_SE_EEES9_SG_JZNS1_25segmented_radix_sort_implINS0_14default_configELb1EPKsPsPKlPlN2at6native12_GLOBAL__N_18offset_tEEE10hipError_tPvRmT1_PNSt15iterator_traitsISY_E10value_typeET2_T3_PNSZ_IS14_E10value_typeET4_jRbjT5_S1A_jjP12ihipStream_tbEUljE_EEESV_SW_SX_S14_S18_S1A_T6_T7_T9_mT8_S1C_bDpT10_ENKUlT_T0_E_clISt17integral_constantIbLb1EES1P_EEDaS1K_S1L_EUlS1K_E_NS1_11comp_targetILNS1_3genE10ELNS1_11target_archE1200ELNS1_3gpuE4ELNS1_3repE0EEENS1_30default_config_static_selectorELNS0_4arch9wavefront6targetE0EEEvSY_,"axG",@progbits,_ZN7rocprim17ROCPRIM_400000_NS6detail17trampoline_kernelINS0_13select_configILj256ELj13ELNS0_17block_load_methodE3ELS4_3ELS4_3ELNS0_20block_scan_algorithmE0ELj4294967295EEENS1_25partition_config_selectorILNS1_17partition_subalgoE3EjNS0_10empty_typeEbEEZZNS1_14partition_implILS8_3ELb0ES6_jNS0_17counting_iteratorIjlEEPS9_SE_NS0_5tupleIJPjSE_EEENSF_IJSE_SE_EEES9_SG_JZNS1_25segmented_radix_sort_implINS0_14default_configELb1EPKsPsPKlPlN2at6native12_GLOBAL__N_18offset_tEEE10hipError_tPvRmT1_PNSt15iterator_traitsISY_E10value_typeET2_T3_PNSZ_IS14_E10value_typeET4_jRbjT5_S1A_jjP12ihipStream_tbEUljE_EEESV_SW_SX_S14_S18_S1A_T6_T7_T9_mT8_S1C_bDpT10_ENKUlT_T0_E_clISt17integral_constantIbLb1EES1P_EEDaS1K_S1L_EUlS1K_E_NS1_11comp_targetILNS1_3genE10ELNS1_11target_archE1200ELNS1_3gpuE4ELNS1_3repE0EEENS1_30default_config_static_selectorELNS0_4arch9wavefront6targetE0EEEvSY_,comdat
.Lfunc_end888:
	.size	_ZN7rocprim17ROCPRIM_400000_NS6detail17trampoline_kernelINS0_13select_configILj256ELj13ELNS0_17block_load_methodE3ELS4_3ELS4_3ELNS0_20block_scan_algorithmE0ELj4294967295EEENS1_25partition_config_selectorILNS1_17partition_subalgoE3EjNS0_10empty_typeEbEEZZNS1_14partition_implILS8_3ELb0ES6_jNS0_17counting_iteratorIjlEEPS9_SE_NS0_5tupleIJPjSE_EEENSF_IJSE_SE_EEES9_SG_JZNS1_25segmented_radix_sort_implINS0_14default_configELb1EPKsPsPKlPlN2at6native12_GLOBAL__N_18offset_tEEE10hipError_tPvRmT1_PNSt15iterator_traitsISY_E10value_typeET2_T3_PNSZ_IS14_E10value_typeET4_jRbjT5_S1A_jjP12ihipStream_tbEUljE_EEESV_SW_SX_S14_S18_S1A_T6_T7_T9_mT8_S1C_bDpT10_ENKUlT_T0_E_clISt17integral_constantIbLb1EES1P_EEDaS1K_S1L_EUlS1K_E_NS1_11comp_targetILNS1_3genE10ELNS1_11target_archE1200ELNS1_3gpuE4ELNS1_3repE0EEENS1_30default_config_static_selectorELNS0_4arch9wavefront6targetE0EEEvSY_, .Lfunc_end888-_ZN7rocprim17ROCPRIM_400000_NS6detail17trampoline_kernelINS0_13select_configILj256ELj13ELNS0_17block_load_methodE3ELS4_3ELS4_3ELNS0_20block_scan_algorithmE0ELj4294967295EEENS1_25partition_config_selectorILNS1_17partition_subalgoE3EjNS0_10empty_typeEbEEZZNS1_14partition_implILS8_3ELb0ES6_jNS0_17counting_iteratorIjlEEPS9_SE_NS0_5tupleIJPjSE_EEENSF_IJSE_SE_EEES9_SG_JZNS1_25segmented_radix_sort_implINS0_14default_configELb1EPKsPsPKlPlN2at6native12_GLOBAL__N_18offset_tEEE10hipError_tPvRmT1_PNSt15iterator_traitsISY_E10value_typeET2_T3_PNSZ_IS14_E10value_typeET4_jRbjT5_S1A_jjP12ihipStream_tbEUljE_EEESV_SW_SX_S14_S18_S1A_T6_T7_T9_mT8_S1C_bDpT10_ENKUlT_T0_E_clISt17integral_constantIbLb1EES1P_EEDaS1K_S1L_EUlS1K_E_NS1_11comp_targetILNS1_3genE10ELNS1_11target_archE1200ELNS1_3gpuE4ELNS1_3repE0EEENS1_30default_config_static_selectorELNS0_4arch9wavefront6targetE0EEEvSY_
                                        ; -- End function
	.set _ZN7rocprim17ROCPRIM_400000_NS6detail17trampoline_kernelINS0_13select_configILj256ELj13ELNS0_17block_load_methodE3ELS4_3ELS4_3ELNS0_20block_scan_algorithmE0ELj4294967295EEENS1_25partition_config_selectorILNS1_17partition_subalgoE3EjNS0_10empty_typeEbEEZZNS1_14partition_implILS8_3ELb0ES6_jNS0_17counting_iteratorIjlEEPS9_SE_NS0_5tupleIJPjSE_EEENSF_IJSE_SE_EEES9_SG_JZNS1_25segmented_radix_sort_implINS0_14default_configELb1EPKsPsPKlPlN2at6native12_GLOBAL__N_18offset_tEEE10hipError_tPvRmT1_PNSt15iterator_traitsISY_E10value_typeET2_T3_PNSZ_IS14_E10value_typeET4_jRbjT5_S1A_jjP12ihipStream_tbEUljE_EEESV_SW_SX_S14_S18_S1A_T6_T7_T9_mT8_S1C_bDpT10_ENKUlT_T0_E_clISt17integral_constantIbLb1EES1P_EEDaS1K_S1L_EUlS1K_E_NS1_11comp_targetILNS1_3genE10ELNS1_11target_archE1200ELNS1_3gpuE4ELNS1_3repE0EEENS1_30default_config_static_selectorELNS0_4arch9wavefront6targetE0EEEvSY_.num_vgpr, 0
	.set _ZN7rocprim17ROCPRIM_400000_NS6detail17trampoline_kernelINS0_13select_configILj256ELj13ELNS0_17block_load_methodE3ELS4_3ELS4_3ELNS0_20block_scan_algorithmE0ELj4294967295EEENS1_25partition_config_selectorILNS1_17partition_subalgoE3EjNS0_10empty_typeEbEEZZNS1_14partition_implILS8_3ELb0ES6_jNS0_17counting_iteratorIjlEEPS9_SE_NS0_5tupleIJPjSE_EEENSF_IJSE_SE_EEES9_SG_JZNS1_25segmented_radix_sort_implINS0_14default_configELb1EPKsPsPKlPlN2at6native12_GLOBAL__N_18offset_tEEE10hipError_tPvRmT1_PNSt15iterator_traitsISY_E10value_typeET2_T3_PNSZ_IS14_E10value_typeET4_jRbjT5_S1A_jjP12ihipStream_tbEUljE_EEESV_SW_SX_S14_S18_S1A_T6_T7_T9_mT8_S1C_bDpT10_ENKUlT_T0_E_clISt17integral_constantIbLb1EES1P_EEDaS1K_S1L_EUlS1K_E_NS1_11comp_targetILNS1_3genE10ELNS1_11target_archE1200ELNS1_3gpuE4ELNS1_3repE0EEENS1_30default_config_static_selectorELNS0_4arch9wavefront6targetE0EEEvSY_.num_agpr, 0
	.set _ZN7rocprim17ROCPRIM_400000_NS6detail17trampoline_kernelINS0_13select_configILj256ELj13ELNS0_17block_load_methodE3ELS4_3ELS4_3ELNS0_20block_scan_algorithmE0ELj4294967295EEENS1_25partition_config_selectorILNS1_17partition_subalgoE3EjNS0_10empty_typeEbEEZZNS1_14partition_implILS8_3ELb0ES6_jNS0_17counting_iteratorIjlEEPS9_SE_NS0_5tupleIJPjSE_EEENSF_IJSE_SE_EEES9_SG_JZNS1_25segmented_radix_sort_implINS0_14default_configELb1EPKsPsPKlPlN2at6native12_GLOBAL__N_18offset_tEEE10hipError_tPvRmT1_PNSt15iterator_traitsISY_E10value_typeET2_T3_PNSZ_IS14_E10value_typeET4_jRbjT5_S1A_jjP12ihipStream_tbEUljE_EEESV_SW_SX_S14_S18_S1A_T6_T7_T9_mT8_S1C_bDpT10_ENKUlT_T0_E_clISt17integral_constantIbLb1EES1P_EEDaS1K_S1L_EUlS1K_E_NS1_11comp_targetILNS1_3genE10ELNS1_11target_archE1200ELNS1_3gpuE4ELNS1_3repE0EEENS1_30default_config_static_selectorELNS0_4arch9wavefront6targetE0EEEvSY_.numbered_sgpr, 0
	.set _ZN7rocprim17ROCPRIM_400000_NS6detail17trampoline_kernelINS0_13select_configILj256ELj13ELNS0_17block_load_methodE3ELS4_3ELS4_3ELNS0_20block_scan_algorithmE0ELj4294967295EEENS1_25partition_config_selectorILNS1_17partition_subalgoE3EjNS0_10empty_typeEbEEZZNS1_14partition_implILS8_3ELb0ES6_jNS0_17counting_iteratorIjlEEPS9_SE_NS0_5tupleIJPjSE_EEENSF_IJSE_SE_EEES9_SG_JZNS1_25segmented_radix_sort_implINS0_14default_configELb1EPKsPsPKlPlN2at6native12_GLOBAL__N_18offset_tEEE10hipError_tPvRmT1_PNSt15iterator_traitsISY_E10value_typeET2_T3_PNSZ_IS14_E10value_typeET4_jRbjT5_S1A_jjP12ihipStream_tbEUljE_EEESV_SW_SX_S14_S18_S1A_T6_T7_T9_mT8_S1C_bDpT10_ENKUlT_T0_E_clISt17integral_constantIbLb1EES1P_EEDaS1K_S1L_EUlS1K_E_NS1_11comp_targetILNS1_3genE10ELNS1_11target_archE1200ELNS1_3gpuE4ELNS1_3repE0EEENS1_30default_config_static_selectorELNS0_4arch9wavefront6targetE0EEEvSY_.num_named_barrier, 0
	.set _ZN7rocprim17ROCPRIM_400000_NS6detail17trampoline_kernelINS0_13select_configILj256ELj13ELNS0_17block_load_methodE3ELS4_3ELS4_3ELNS0_20block_scan_algorithmE0ELj4294967295EEENS1_25partition_config_selectorILNS1_17partition_subalgoE3EjNS0_10empty_typeEbEEZZNS1_14partition_implILS8_3ELb0ES6_jNS0_17counting_iteratorIjlEEPS9_SE_NS0_5tupleIJPjSE_EEENSF_IJSE_SE_EEES9_SG_JZNS1_25segmented_radix_sort_implINS0_14default_configELb1EPKsPsPKlPlN2at6native12_GLOBAL__N_18offset_tEEE10hipError_tPvRmT1_PNSt15iterator_traitsISY_E10value_typeET2_T3_PNSZ_IS14_E10value_typeET4_jRbjT5_S1A_jjP12ihipStream_tbEUljE_EEESV_SW_SX_S14_S18_S1A_T6_T7_T9_mT8_S1C_bDpT10_ENKUlT_T0_E_clISt17integral_constantIbLb1EES1P_EEDaS1K_S1L_EUlS1K_E_NS1_11comp_targetILNS1_3genE10ELNS1_11target_archE1200ELNS1_3gpuE4ELNS1_3repE0EEENS1_30default_config_static_selectorELNS0_4arch9wavefront6targetE0EEEvSY_.private_seg_size, 0
	.set _ZN7rocprim17ROCPRIM_400000_NS6detail17trampoline_kernelINS0_13select_configILj256ELj13ELNS0_17block_load_methodE3ELS4_3ELS4_3ELNS0_20block_scan_algorithmE0ELj4294967295EEENS1_25partition_config_selectorILNS1_17partition_subalgoE3EjNS0_10empty_typeEbEEZZNS1_14partition_implILS8_3ELb0ES6_jNS0_17counting_iteratorIjlEEPS9_SE_NS0_5tupleIJPjSE_EEENSF_IJSE_SE_EEES9_SG_JZNS1_25segmented_radix_sort_implINS0_14default_configELb1EPKsPsPKlPlN2at6native12_GLOBAL__N_18offset_tEEE10hipError_tPvRmT1_PNSt15iterator_traitsISY_E10value_typeET2_T3_PNSZ_IS14_E10value_typeET4_jRbjT5_S1A_jjP12ihipStream_tbEUljE_EEESV_SW_SX_S14_S18_S1A_T6_T7_T9_mT8_S1C_bDpT10_ENKUlT_T0_E_clISt17integral_constantIbLb1EES1P_EEDaS1K_S1L_EUlS1K_E_NS1_11comp_targetILNS1_3genE10ELNS1_11target_archE1200ELNS1_3gpuE4ELNS1_3repE0EEENS1_30default_config_static_selectorELNS0_4arch9wavefront6targetE0EEEvSY_.uses_vcc, 0
	.set _ZN7rocprim17ROCPRIM_400000_NS6detail17trampoline_kernelINS0_13select_configILj256ELj13ELNS0_17block_load_methodE3ELS4_3ELS4_3ELNS0_20block_scan_algorithmE0ELj4294967295EEENS1_25partition_config_selectorILNS1_17partition_subalgoE3EjNS0_10empty_typeEbEEZZNS1_14partition_implILS8_3ELb0ES6_jNS0_17counting_iteratorIjlEEPS9_SE_NS0_5tupleIJPjSE_EEENSF_IJSE_SE_EEES9_SG_JZNS1_25segmented_radix_sort_implINS0_14default_configELb1EPKsPsPKlPlN2at6native12_GLOBAL__N_18offset_tEEE10hipError_tPvRmT1_PNSt15iterator_traitsISY_E10value_typeET2_T3_PNSZ_IS14_E10value_typeET4_jRbjT5_S1A_jjP12ihipStream_tbEUljE_EEESV_SW_SX_S14_S18_S1A_T6_T7_T9_mT8_S1C_bDpT10_ENKUlT_T0_E_clISt17integral_constantIbLb1EES1P_EEDaS1K_S1L_EUlS1K_E_NS1_11comp_targetILNS1_3genE10ELNS1_11target_archE1200ELNS1_3gpuE4ELNS1_3repE0EEENS1_30default_config_static_selectorELNS0_4arch9wavefront6targetE0EEEvSY_.uses_flat_scratch, 0
	.set _ZN7rocprim17ROCPRIM_400000_NS6detail17trampoline_kernelINS0_13select_configILj256ELj13ELNS0_17block_load_methodE3ELS4_3ELS4_3ELNS0_20block_scan_algorithmE0ELj4294967295EEENS1_25partition_config_selectorILNS1_17partition_subalgoE3EjNS0_10empty_typeEbEEZZNS1_14partition_implILS8_3ELb0ES6_jNS0_17counting_iteratorIjlEEPS9_SE_NS0_5tupleIJPjSE_EEENSF_IJSE_SE_EEES9_SG_JZNS1_25segmented_radix_sort_implINS0_14default_configELb1EPKsPsPKlPlN2at6native12_GLOBAL__N_18offset_tEEE10hipError_tPvRmT1_PNSt15iterator_traitsISY_E10value_typeET2_T3_PNSZ_IS14_E10value_typeET4_jRbjT5_S1A_jjP12ihipStream_tbEUljE_EEESV_SW_SX_S14_S18_S1A_T6_T7_T9_mT8_S1C_bDpT10_ENKUlT_T0_E_clISt17integral_constantIbLb1EES1P_EEDaS1K_S1L_EUlS1K_E_NS1_11comp_targetILNS1_3genE10ELNS1_11target_archE1200ELNS1_3gpuE4ELNS1_3repE0EEENS1_30default_config_static_selectorELNS0_4arch9wavefront6targetE0EEEvSY_.has_dyn_sized_stack, 0
	.set _ZN7rocprim17ROCPRIM_400000_NS6detail17trampoline_kernelINS0_13select_configILj256ELj13ELNS0_17block_load_methodE3ELS4_3ELS4_3ELNS0_20block_scan_algorithmE0ELj4294967295EEENS1_25partition_config_selectorILNS1_17partition_subalgoE3EjNS0_10empty_typeEbEEZZNS1_14partition_implILS8_3ELb0ES6_jNS0_17counting_iteratorIjlEEPS9_SE_NS0_5tupleIJPjSE_EEENSF_IJSE_SE_EEES9_SG_JZNS1_25segmented_radix_sort_implINS0_14default_configELb1EPKsPsPKlPlN2at6native12_GLOBAL__N_18offset_tEEE10hipError_tPvRmT1_PNSt15iterator_traitsISY_E10value_typeET2_T3_PNSZ_IS14_E10value_typeET4_jRbjT5_S1A_jjP12ihipStream_tbEUljE_EEESV_SW_SX_S14_S18_S1A_T6_T7_T9_mT8_S1C_bDpT10_ENKUlT_T0_E_clISt17integral_constantIbLb1EES1P_EEDaS1K_S1L_EUlS1K_E_NS1_11comp_targetILNS1_3genE10ELNS1_11target_archE1200ELNS1_3gpuE4ELNS1_3repE0EEENS1_30default_config_static_selectorELNS0_4arch9wavefront6targetE0EEEvSY_.has_recursion, 0
	.set _ZN7rocprim17ROCPRIM_400000_NS6detail17trampoline_kernelINS0_13select_configILj256ELj13ELNS0_17block_load_methodE3ELS4_3ELS4_3ELNS0_20block_scan_algorithmE0ELj4294967295EEENS1_25partition_config_selectorILNS1_17partition_subalgoE3EjNS0_10empty_typeEbEEZZNS1_14partition_implILS8_3ELb0ES6_jNS0_17counting_iteratorIjlEEPS9_SE_NS0_5tupleIJPjSE_EEENSF_IJSE_SE_EEES9_SG_JZNS1_25segmented_radix_sort_implINS0_14default_configELb1EPKsPsPKlPlN2at6native12_GLOBAL__N_18offset_tEEE10hipError_tPvRmT1_PNSt15iterator_traitsISY_E10value_typeET2_T3_PNSZ_IS14_E10value_typeET4_jRbjT5_S1A_jjP12ihipStream_tbEUljE_EEESV_SW_SX_S14_S18_S1A_T6_T7_T9_mT8_S1C_bDpT10_ENKUlT_T0_E_clISt17integral_constantIbLb1EES1P_EEDaS1K_S1L_EUlS1K_E_NS1_11comp_targetILNS1_3genE10ELNS1_11target_archE1200ELNS1_3gpuE4ELNS1_3repE0EEENS1_30default_config_static_selectorELNS0_4arch9wavefront6targetE0EEEvSY_.has_indirect_call, 0
	.section	.AMDGPU.csdata,"",@progbits
; Kernel info:
; codeLenInByte = 0
; TotalNumSgprs: 0
; NumVgprs: 0
; ScratchSize: 0
; MemoryBound: 0
; FloatMode: 240
; IeeeMode: 1
; LDSByteSize: 0 bytes/workgroup (compile time only)
; SGPRBlocks: 0
; VGPRBlocks: 0
; NumSGPRsForWavesPerEU: 1
; NumVGPRsForWavesPerEU: 1
; NamedBarCnt: 0
; Occupancy: 16
; WaveLimiterHint : 0
; COMPUTE_PGM_RSRC2:SCRATCH_EN: 0
; COMPUTE_PGM_RSRC2:USER_SGPR: 2
; COMPUTE_PGM_RSRC2:TRAP_HANDLER: 0
; COMPUTE_PGM_RSRC2:TGID_X_EN: 1
; COMPUTE_PGM_RSRC2:TGID_Y_EN: 0
; COMPUTE_PGM_RSRC2:TGID_Z_EN: 0
; COMPUTE_PGM_RSRC2:TIDIG_COMP_CNT: 0
	.section	.text._ZN7rocprim17ROCPRIM_400000_NS6detail17trampoline_kernelINS0_13select_configILj256ELj13ELNS0_17block_load_methodE3ELS4_3ELS4_3ELNS0_20block_scan_algorithmE0ELj4294967295EEENS1_25partition_config_selectorILNS1_17partition_subalgoE3EjNS0_10empty_typeEbEEZZNS1_14partition_implILS8_3ELb0ES6_jNS0_17counting_iteratorIjlEEPS9_SE_NS0_5tupleIJPjSE_EEENSF_IJSE_SE_EEES9_SG_JZNS1_25segmented_radix_sort_implINS0_14default_configELb1EPKsPsPKlPlN2at6native12_GLOBAL__N_18offset_tEEE10hipError_tPvRmT1_PNSt15iterator_traitsISY_E10value_typeET2_T3_PNSZ_IS14_E10value_typeET4_jRbjT5_S1A_jjP12ihipStream_tbEUljE_EEESV_SW_SX_S14_S18_S1A_T6_T7_T9_mT8_S1C_bDpT10_ENKUlT_T0_E_clISt17integral_constantIbLb1EES1P_EEDaS1K_S1L_EUlS1K_E_NS1_11comp_targetILNS1_3genE9ELNS1_11target_archE1100ELNS1_3gpuE3ELNS1_3repE0EEENS1_30default_config_static_selectorELNS0_4arch9wavefront6targetE0EEEvSY_,"axG",@progbits,_ZN7rocprim17ROCPRIM_400000_NS6detail17trampoline_kernelINS0_13select_configILj256ELj13ELNS0_17block_load_methodE3ELS4_3ELS4_3ELNS0_20block_scan_algorithmE0ELj4294967295EEENS1_25partition_config_selectorILNS1_17partition_subalgoE3EjNS0_10empty_typeEbEEZZNS1_14partition_implILS8_3ELb0ES6_jNS0_17counting_iteratorIjlEEPS9_SE_NS0_5tupleIJPjSE_EEENSF_IJSE_SE_EEES9_SG_JZNS1_25segmented_radix_sort_implINS0_14default_configELb1EPKsPsPKlPlN2at6native12_GLOBAL__N_18offset_tEEE10hipError_tPvRmT1_PNSt15iterator_traitsISY_E10value_typeET2_T3_PNSZ_IS14_E10value_typeET4_jRbjT5_S1A_jjP12ihipStream_tbEUljE_EEESV_SW_SX_S14_S18_S1A_T6_T7_T9_mT8_S1C_bDpT10_ENKUlT_T0_E_clISt17integral_constantIbLb1EES1P_EEDaS1K_S1L_EUlS1K_E_NS1_11comp_targetILNS1_3genE9ELNS1_11target_archE1100ELNS1_3gpuE3ELNS1_3repE0EEENS1_30default_config_static_selectorELNS0_4arch9wavefront6targetE0EEEvSY_,comdat
	.globl	_ZN7rocprim17ROCPRIM_400000_NS6detail17trampoline_kernelINS0_13select_configILj256ELj13ELNS0_17block_load_methodE3ELS4_3ELS4_3ELNS0_20block_scan_algorithmE0ELj4294967295EEENS1_25partition_config_selectorILNS1_17partition_subalgoE3EjNS0_10empty_typeEbEEZZNS1_14partition_implILS8_3ELb0ES6_jNS0_17counting_iteratorIjlEEPS9_SE_NS0_5tupleIJPjSE_EEENSF_IJSE_SE_EEES9_SG_JZNS1_25segmented_radix_sort_implINS0_14default_configELb1EPKsPsPKlPlN2at6native12_GLOBAL__N_18offset_tEEE10hipError_tPvRmT1_PNSt15iterator_traitsISY_E10value_typeET2_T3_PNSZ_IS14_E10value_typeET4_jRbjT5_S1A_jjP12ihipStream_tbEUljE_EEESV_SW_SX_S14_S18_S1A_T6_T7_T9_mT8_S1C_bDpT10_ENKUlT_T0_E_clISt17integral_constantIbLb1EES1P_EEDaS1K_S1L_EUlS1K_E_NS1_11comp_targetILNS1_3genE9ELNS1_11target_archE1100ELNS1_3gpuE3ELNS1_3repE0EEENS1_30default_config_static_selectorELNS0_4arch9wavefront6targetE0EEEvSY_ ; -- Begin function _ZN7rocprim17ROCPRIM_400000_NS6detail17trampoline_kernelINS0_13select_configILj256ELj13ELNS0_17block_load_methodE3ELS4_3ELS4_3ELNS0_20block_scan_algorithmE0ELj4294967295EEENS1_25partition_config_selectorILNS1_17partition_subalgoE3EjNS0_10empty_typeEbEEZZNS1_14partition_implILS8_3ELb0ES6_jNS0_17counting_iteratorIjlEEPS9_SE_NS0_5tupleIJPjSE_EEENSF_IJSE_SE_EEES9_SG_JZNS1_25segmented_radix_sort_implINS0_14default_configELb1EPKsPsPKlPlN2at6native12_GLOBAL__N_18offset_tEEE10hipError_tPvRmT1_PNSt15iterator_traitsISY_E10value_typeET2_T3_PNSZ_IS14_E10value_typeET4_jRbjT5_S1A_jjP12ihipStream_tbEUljE_EEESV_SW_SX_S14_S18_S1A_T6_T7_T9_mT8_S1C_bDpT10_ENKUlT_T0_E_clISt17integral_constantIbLb1EES1P_EEDaS1K_S1L_EUlS1K_E_NS1_11comp_targetILNS1_3genE9ELNS1_11target_archE1100ELNS1_3gpuE3ELNS1_3repE0EEENS1_30default_config_static_selectorELNS0_4arch9wavefront6targetE0EEEvSY_
	.p2align	8
	.type	_ZN7rocprim17ROCPRIM_400000_NS6detail17trampoline_kernelINS0_13select_configILj256ELj13ELNS0_17block_load_methodE3ELS4_3ELS4_3ELNS0_20block_scan_algorithmE0ELj4294967295EEENS1_25partition_config_selectorILNS1_17partition_subalgoE3EjNS0_10empty_typeEbEEZZNS1_14partition_implILS8_3ELb0ES6_jNS0_17counting_iteratorIjlEEPS9_SE_NS0_5tupleIJPjSE_EEENSF_IJSE_SE_EEES9_SG_JZNS1_25segmented_radix_sort_implINS0_14default_configELb1EPKsPsPKlPlN2at6native12_GLOBAL__N_18offset_tEEE10hipError_tPvRmT1_PNSt15iterator_traitsISY_E10value_typeET2_T3_PNSZ_IS14_E10value_typeET4_jRbjT5_S1A_jjP12ihipStream_tbEUljE_EEESV_SW_SX_S14_S18_S1A_T6_T7_T9_mT8_S1C_bDpT10_ENKUlT_T0_E_clISt17integral_constantIbLb1EES1P_EEDaS1K_S1L_EUlS1K_E_NS1_11comp_targetILNS1_3genE9ELNS1_11target_archE1100ELNS1_3gpuE3ELNS1_3repE0EEENS1_30default_config_static_selectorELNS0_4arch9wavefront6targetE0EEEvSY_,@function
_ZN7rocprim17ROCPRIM_400000_NS6detail17trampoline_kernelINS0_13select_configILj256ELj13ELNS0_17block_load_methodE3ELS4_3ELS4_3ELNS0_20block_scan_algorithmE0ELj4294967295EEENS1_25partition_config_selectorILNS1_17partition_subalgoE3EjNS0_10empty_typeEbEEZZNS1_14partition_implILS8_3ELb0ES6_jNS0_17counting_iteratorIjlEEPS9_SE_NS0_5tupleIJPjSE_EEENSF_IJSE_SE_EEES9_SG_JZNS1_25segmented_radix_sort_implINS0_14default_configELb1EPKsPsPKlPlN2at6native12_GLOBAL__N_18offset_tEEE10hipError_tPvRmT1_PNSt15iterator_traitsISY_E10value_typeET2_T3_PNSZ_IS14_E10value_typeET4_jRbjT5_S1A_jjP12ihipStream_tbEUljE_EEESV_SW_SX_S14_S18_S1A_T6_T7_T9_mT8_S1C_bDpT10_ENKUlT_T0_E_clISt17integral_constantIbLb1EES1P_EEDaS1K_S1L_EUlS1K_E_NS1_11comp_targetILNS1_3genE9ELNS1_11target_archE1100ELNS1_3gpuE3ELNS1_3repE0EEENS1_30default_config_static_selectorELNS0_4arch9wavefront6targetE0EEEvSY_: ; @_ZN7rocprim17ROCPRIM_400000_NS6detail17trampoline_kernelINS0_13select_configILj256ELj13ELNS0_17block_load_methodE3ELS4_3ELS4_3ELNS0_20block_scan_algorithmE0ELj4294967295EEENS1_25partition_config_selectorILNS1_17partition_subalgoE3EjNS0_10empty_typeEbEEZZNS1_14partition_implILS8_3ELb0ES6_jNS0_17counting_iteratorIjlEEPS9_SE_NS0_5tupleIJPjSE_EEENSF_IJSE_SE_EEES9_SG_JZNS1_25segmented_radix_sort_implINS0_14default_configELb1EPKsPsPKlPlN2at6native12_GLOBAL__N_18offset_tEEE10hipError_tPvRmT1_PNSt15iterator_traitsISY_E10value_typeET2_T3_PNSZ_IS14_E10value_typeET4_jRbjT5_S1A_jjP12ihipStream_tbEUljE_EEESV_SW_SX_S14_S18_S1A_T6_T7_T9_mT8_S1C_bDpT10_ENKUlT_T0_E_clISt17integral_constantIbLb1EES1P_EEDaS1K_S1L_EUlS1K_E_NS1_11comp_targetILNS1_3genE9ELNS1_11target_archE1100ELNS1_3gpuE3ELNS1_3repE0EEENS1_30default_config_static_selectorELNS0_4arch9wavefront6targetE0EEEvSY_
; %bb.0:
	.section	.rodata,"a",@progbits
	.p2align	6, 0x0
	.amdhsa_kernel _ZN7rocprim17ROCPRIM_400000_NS6detail17trampoline_kernelINS0_13select_configILj256ELj13ELNS0_17block_load_methodE3ELS4_3ELS4_3ELNS0_20block_scan_algorithmE0ELj4294967295EEENS1_25partition_config_selectorILNS1_17partition_subalgoE3EjNS0_10empty_typeEbEEZZNS1_14partition_implILS8_3ELb0ES6_jNS0_17counting_iteratorIjlEEPS9_SE_NS0_5tupleIJPjSE_EEENSF_IJSE_SE_EEES9_SG_JZNS1_25segmented_radix_sort_implINS0_14default_configELb1EPKsPsPKlPlN2at6native12_GLOBAL__N_18offset_tEEE10hipError_tPvRmT1_PNSt15iterator_traitsISY_E10value_typeET2_T3_PNSZ_IS14_E10value_typeET4_jRbjT5_S1A_jjP12ihipStream_tbEUljE_EEESV_SW_SX_S14_S18_S1A_T6_T7_T9_mT8_S1C_bDpT10_ENKUlT_T0_E_clISt17integral_constantIbLb1EES1P_EEDaS1K_S1L_EUlS1K_E_NS1_11comp_targetILNS1_3genE9ELNS1_11target_archE1100ELNS1_3gpuE3ELNS1_3repE0EEENS1_30default_config_static_selectorELNS0_4arch9wavefront6targetE0EEEvSY_
		.amdhsa_group_segment_fixed_size 0
		.amdhsa_private_segment_fixed_size 0
		.amdhsa_kernarg_size 152
		.amdhsa_user_sgpr_count 2
		.amdhsa_user_sgpr_dispatch_ptr 0
		.amdhsa_user_sgpr_queue_ptr 0
		.amdhsa_user_sgpr_kernarg_segment_ptr 1
		.amdhsa_user_sgpr_dispatch_id 0
		.amdhsa_user_sgpr_kernarg_preload_length 0
		.amdhsa_user_sgpr_kernarg_preload_offset 0
		.amdhsa_user_sgpr_private_segment_size 0
		.amdhsa_wavefront_size32 1
		.amdhsa_uses_dynamic_stack 0
		.amdhsa_enable_private_segment 0
		.amdhsa_system_sgpr_workgroup_id_x 1
		.amdhsa_system_sgpr_workgroup_id_y 0
		.amdhsa_system_sgpr_workgroup_id_z 0
		.amdhsa_system_sgpr_workgroup_info 0
		.amdhsa_system_vgpr_workitem_id 0
		.amdhsa_next_free_vgpr 1
		.amdhsa_next_free_sgpr 1
		.amdhsa_named_barrier_count 0
		.amdhsa_reserve_vcc 0
		.amdhsa_float_round_mode_32 0
		.amdhsa_float_round_mode_16_64 0
		.amdhsa_float_denorm_mode_32 3
		.amdhsa_float_denorm_mode_16_64 3
		.amdhsa_fp16_overflow 0
		.amdhsa_memory_ordered 1
		.amdhsa_forward_progress 1
		.amdhsa_inst_pref_size 0
		.amdhsa_round_robin_scheduling 0
		.amdhsa_exception_fp_ieee_invalid_op 0
		.amdhsa_exception_fp_denorm_src 0
		.amdhsa_exception_fp_ieee_div_zero 0
		.amdhsa_exception_fp_ieee_overflow 0
		.amdhsa_exception_fp_ieee_underflow 0
		.amdhsa_exception_fp_ieee_inexact 0
		.amdhsa_exception_int_div_zero 0
	.end_amdhsa_kernel
	.section	.text._ZN7rocprim17ROCPRIM_400000_NS6detail17trampoline_kernelINS0_13select_configILj256ELj13ELNS0_17block_load_methodE3ELS4_3ELS4_3ELNS0_20block_scan_algorithmE0ELj4294967295EEENS1_25partition_config_selectorILNS1_17partition_subalgoE3EjNS0_10empty_typeEbEEZZNS1_14partition_implILS8_3ELb0ES6_jNS0_17counting_iteratorIjlEEPS9_SE_NS0_5tupleIJPjSE_EEENSF_IJSE_SE_EEES9_SG_JZNS1_25segmented_radix_sort_implINS0_14default_configELb1EPKsPsPKlPlN2at6native12_GLOBAL__N_18offset_tEEE10hipError_tPvRmT1_PNSt15iterator_traitsISY_E10value_typeET2_T3_PNSZ_IS14_E10value_typeET4_jRbjT5_S1A_jjP12ihipStream_tbEUljE_EEESV_SW_SX_S14_S18_S1A_T6_T7_T9_mT8_S1C_bDpT10_ENKUlT_T0_E_clISt17integral_constantIbLb1EES1P_EEDaS1K_S1L_EUlS1K_E_NS1_11comp_targetILNS1_3genE9ELNS1_11target_archE1100ELNS1_3gpuE3ELNS1_3repE0EEENS1_30default_config_static_selectorELNS0_4arch9wavefront6targetE0EEEvSY_,"axG",@progbits,_ZN7rocprim17ROCPRIM_400000_NS6detail17trampoline_kernelINS0_13select_configILj256ELj13ELNS0_17block_load_methodE3ELS4_3ELS4_3ELNS0_20block_scan_algorithmE0ELj4294967295EEENS1_25partition_config_selectorILNS1_17partition_subalgoE3EjNS0_10empty_typeEbEEZZNS1_14partition_implILS8_3ELb0ES6_jNS0_17counting_iteratorIjlEEPS9_SE_NS0_5tupleIJPjSE_EEENSF_IJSE_SE_EEES9_SG_JZNS1_25segmented_radix_sort_implINS0_14default_configELb1EPKsPsPKlPlN2at6native12_GLOBAL__N_18offset_tEEE10hipError_tPvRmT1_PNSt15iterator_traitsISY_E10value_typeET2_T3_PNSZ_IS14_E10value_typeET4_jRbjT5_S1A_jjP12ihipStream_tbEUljE_EEESV_SW_SX_S14_S18_S1A_T6_T7_T9_mT8_S1C_bDpT10_ENKUlT_T0_E_clISt17integral_constantIbLb1EES1P_EEDaS1K_S1L_EUlS1K_E_NS1_11comp_targetILNS1_3genE9ELNS1_11target_archE1100ELNS1_3gpuE3ELNS1_3repE0EEENS1_30default_config_static_selectorELNS0_4arch9wavefront6targetE0EEEvSY_,comdat
.Lfunc_end889:
	.size	_ZN7rocprim17ROCPRIM_400000_NS6detail17trampoline_kernelINS0_13select_configILj256ELj13ELNS0_17block_load_methodE3ELS4_3ELS4_3ELNS0_20block_scan_algorithmE0ELj4294967295EEENS1_25partition_config_selectorILNS1_17partition_subalgoE3EjNS0_10empty_typeEbEEZZNS1_14partition_implILS8_3ELb0ES6_jNS0_17counting_iteratorIjlEEPS9_SE_NS0_5tupleIJPjSE_EEENSF_IJSE_SE_EEES9_SG_JZNS1_25segmented_radix_sort_implINS0_14default_configELb1EPKsPsPKlPlN2at6native12_GLOBAL__N_18offset_tEEE10hipError_tPvRmT1_PNSt15iterator_traitsISY_E10value_typeET2_T3_PNSZ_IS14_E10value_typeET4_jRbjT5_S1A_jjP12ihipStream_tbEUljE_EEESV_SW_SX_S14_S18_S1A_T6_T7_T9_mT8_S1C_bDpT10_ENKUlT_T0_E_clISt17integral_constantIbLb1EES1P_EEDaS1K_S1L_EUlS1K_E_NS1_11comp_targetILNS1_3genE9ELNS1_11target_archE1100ELNS1_3gpuE3ELNS1_3repE0EEENS1_30default_config_static_selectorELNS0_4arch9wavefront6targetE0EEEvSY_, .Lfunc_end889-_ZN7rocprim17ROCPRIM_400000_NS6detail17trampoline_kernelINS0_13select_configILj256ELj13ELNS0_17block_load_methodE3ELS4_3ELS4_3ELNS0_20block_scan_algorithmE0ELj4294967295EEENS1_25partition_config_selectorILNS1_17partition_subalgoE3EjNS0_10empty_typeEbEEZZNS1_14partition_implILS8_3ELb0ES6_jNS0_17counting_iteratorIjlEEPS9_SE_NS0_5tupleIJPjSE_EEENSF_IJSE_SE_EEES9_SG_JZNS1_25segmented_radix_sort_implINS0_14default_configELb1EPKsPsPKlPlN2at6native12_GLOBAL__N_18offset_tEEE10hipError_tPvRmT1_PNSt15iterator_traitsISY_E10value_typeET2_T3_PNSZ_IS14_E10value_typeET4_jRbjT5_S1A_jjP12ihipStream_tbEUljE_EEESV_SW_SX_S14_S18_S1A_T6_T7_T9_mT8_S1C_bDpT10_ENKUlT_T0_E_clISt17integral_constantIbLb1EES1P_EEDaS1K_S1L_EUlS1K_E_NS1_11comp_targetILNS1_3genE9ELNS1_11target_archE1100ELNS1_3gpuE3ELNS1_3repE0EEENS1_30default_config_static_selectorELNS0_4arch9wavefront6targetE0EEEvSY_
                                        ; -- End function
	.set _ZN7rocprim17ROCPRIM_400000_NS6detail17trampoline_kernelINS0_13select_configILj256ELj13ELNS0_17block_load_methodE3ELS4_3ELS4_3ELNS0_20block_scan_algorithmE0ELj4294967295EEENS1_25partition_config_selectorILNS1_17partition_subalgoE3EjNS0_10empty_typeEbEEZZNS1_14partition_implILS8_3ELb0ES6_jNS0_17counting_iteratorIjlEEPS9_SE_NS0_5tupleIJPjSE_EEENSF_IJSE_SE_EEES9_SG_JZNS1_25segmented_radix_sort_implINS0_14default_configELb1EPKsPsPKlPlN2at6native12_GLOBAL__N_18offset_tEEE10hipError_tPvRmT1_PNSt15iterator_traitsISY_E10value_typeET2_T3_PNSZ_IS14_E10value_typeET4_jRbjT5_S1A_jjP12ihipStream_tbEUljE_EEESV_SW_SX_S14_S18_S1A_T6_T7_T9_mT8_S1C_bDpT10_ENKUlT_T0_E_clISt17integral_constantIbLb1EES1P_EEDaS1K_S1L_EUlS1K_E_NS1_11comp_targetILNS1_3genE9ELNS1_11target_archE1100ELNS1_3gpuE3ELNS1_3repE0EEENS1_30default_config_static_selectorELNS0_4arch9wavefront6targetE0EEEvSY_.num_vgpr, 0
	.set _ZN7rocprim17ROCPRIM_400000_NS6detail17trampoline_kernelINS0_13select_configILj256ELj13ELNS0_17block_load_methodE3ELS4_3ELS4_3ELNS0_20block_scan_algorithmE0ELj4294967295EEENS1_25partition_config_selectorILNS1_17partition_subalgoE3EjNS0_10empty_typeEbEEZZNS1_14partition_implILS8_3ELb0ES6_jNS0_17counting_iteratorIjlEEPS9_SE_NS0_5tupleIJPjSE_EEENSF_IJSE_SE_EEES9_SG_JZNS1_25segmented_radix_sort_implINS0_14default_configELb1EPKsPsPKlPlN2at6native12_GLOBAL__N_18offset_tEEE10hipError_tPvRmT1_PNSt15iterator_traitsISY_E10value_typeET2_T3_PNSZ_IS14_E10value_typeET4_jRbjT5_S1A_jjP12ihipStream_tbEUljE_EEESV_SW_SX_S14_S18_S1A_T6_T7_T9_mT8_S1C_bDpT10_ENKUlT_T0_E_clISt17integral_constantIbLb1EES1P_EEDaS1K_S1L_EUlS1K_E_NS1_11comp_targetILNS1_3genE9ELNS1_11target_archE1100ELNS1_3gpuE3ELNS1_3repE0EEENS1_30default_config_static_selectorELNS0_4arch9wavefront6targetE0EEEvSY_.num_agpr, 0
	.set _ZN7rocprim17ROCPRIM_400000_NS6detail17trampoline_kernelINS0_13select_configILj256ELj13ELNS0_17block_load_methodE3ELS4_3ELS4_3ELNS0_20block_scan_algorithmE0ELj4294967295EEENS1_25partition_config_selectorILNS1_17partition_subalgoE3EjNS0_10empty_typeEbEEZZNS1_14partition_implILS8_3ELb0ES6_jNS0_17counting_iteratorIjlEEPS9_SE_NS0_5tupleIJPjSE_EEENSF_IJSE_SE_EEES9_SG_JZNS1_25segmented_radix_sort_implINS0_14default_configELb1EPKsPsPKlPlN2at6native12_GLOBAL__N_18offset_tEEE10hipError_tPvRmT1_PNSt15iterator_traitsISY_E10value_typeET2_T3_PNSZ_IS14_E10value_typeET4_jRbjT5_S1A_jjP12ihipStream_tbEUljE_EEESV_SW_SX_S14_S18_S1A_T6_T7_T9_mT8_S1C_bDpT10_ENKUlT_T0_E_clISt17integral_constantIbLb1EES1P_EEDaS1K_S1L_EUlS1K_E_NS1_11comp_targetILNS1_3genE9ELNS1_11target_archE1100ELNS1_3gpuE3ELNS1_3repE0EEENS1_30default_config_static_selectorELNS0_4arch9wavefront6targetE0EEEvSY_.numbered_sgpr, 0
	.set _ZN7rocprim17ROCPRIM_400000_NS6detail17trampoline_kernelINS0_13select_configILj256ELj13ELNS0_17block_load_methodE3ELS4_3ELS4_3ELNS0_20block_scan_algorithmE0ELj4294967295EEENS1_25partition_config_selectorILNS1_17partition_subalgoE3EjNS0_10empty_typeEbEEZZNS1_14partition_implILS8_3ELb0ES6_jNS0_17counting_iteratorIjlEEPS9_SE_NS0_5tupleIJPjSE_EEENSF_IJSE_SE_EEES9_SG_JZNS1_25segmented_radix_sort_implINS0_14default_configELb1EPKsPsPKlPlN2at6native12_GLOBAL__N_18offset_tEEE10hipError_tPvRmT1_PNSt15iterator_traitsISY_E10value_typeET2_T3_PNSZ_IS14_E10value_typeET4_jRbjT5_S1A_jjP12ihipStream_tbEUljE_EEESV_SW_SX_S14_S18_S1A_T6_T7_T9_mT8_S1C_bDpT10_ENKUlT_T0_E_clISt17integral_constantIbLb1EES1P_EEDaS1K_S1L_EUlS1K_E_NS1_11comp_targetILNS1_3genE9ELNS1_11target_archE1100ELNS1_3gpuE3ELNS1_3repE0EEENS1_30default_config_static_selectorELNS0_4arch9wavefront6targetE0EEEvSY_.num_named_barrier, 0
	.set _ZN7rocprim17ROCPRIM_400000_NS6detail17trampoline_kernelINS0_13select_configILj256ELj13ELNS0_17block_load_methodE3ELS4_3ELS4_3ELNS0_20block_scan_algorithmE0ELj4294967295EEENS1_25partition_config_selectorILNS1_17partition_subalgoE3EjNS0_10empty_typeEbEEZZNS1_14partition_implILS8_3ELb0ES6_jNS0_17counting_iteratorIjlEEPS9_SE_NS0_5tupleIJPjSE_EEENSF_IJSE_SE_EEES9_SG_JZNS1_25segmented_radix_sort_implINS0_14default_configELb1EPKsPsPKlPlN2at6native12_GLOBAL__N_18offset_tEEE10hipError_tPvRmT1_PNSt15iterator_traitsISY_E10value_typeET2_T3_PNSZ_IS14_E10value_typeET4_jRbjT5_S1A_jjP12ihipStream_tbEUljE_EEESV_SW_SX_S14_S18_S1A_T6_T7_T9_mT8_S1C_bDpT10_ENKUlT_T0_E_clISt17integral_constantIbLb1EES1P_EEDaS1K_S1L_EUlS1K_E_NS1_11comp_targetILNS1_3genE9ELNS1_11target_archE1100ELNS1_3gpuE3ELNS1_3repE0EEENS1_30default_config_static_selectorELNS0_4arch9wavefront6targetE0EEEvSY_.private_seg_size, 0
	.set _ZN7rocprim17ROCPRIM_400000_NS6detail17trampoline_kernelINS0_13select_configILj256ELj13ELNS0_17block_load_methodE3ELS4_3ELS4_3ELNS0_20block_scan_algorithmE0ELj4294967295EEENS1_25partition_config_selectorILNS1_17partition_subalgoE3EjNS0_10empty_typeEbEEZZNS1_14partition_implILS8_3ELb0ES6_jNS0_17counting_iteratorIjlEEPS9_SE_NS0_5tupleIJPjSE_EEENSF_IJSE_SE_EEES9_SG_JZNS1_25segmented_radix_sort_implINS0_14default_configELb1EPKsPsPKlPlN2at6native12_GLOBAL__N_18offset_tEEE10hipError_tPvRmT1_PNSt15iterator_traitsISY_E10value_typeET2_T3_PNSZ_IS14_E10value_typeET4_jRbjT5_S1A_jjP12ihipStream_tbEUljE_EEESV_SW_SX_S14_S18_S1A_T6_T7_T9_mT8_S1C_bDpT10_ENKUlT_T0_E_clISt17integral_constantIbLb1EES1P_EEDaS1K_S1L_EUlS1K_E_NS1_11comp_targetILNS1_3genE9ELNS1_11target_archE1100ELNS1_3gpuE3ELNS1_3repE0EEENS1_30default_config_static_selectorELNS0_4arch9wavefront6targetE0EEEvSY_.uses_vcc, 0
	.set _ZN7rocprim17ROCPRIM_400000_NS6detail17trampoline_kernelINS0_13select_configILj256ELj13ELNS0_17block_load_methodE3ELS4_3ELS4_3ELNS0_20block_scan_algorithmE0ELj4294967295EEENS1_25partition_config_selectorILNS1_17partition_subalgoE3EjNS0_10empty_typeEbEEZZNS1_14partition_implILS8_3ELb0ES6_jNS0_17counting_iteratorIjlEEPS9_SE_NS0_5tupleIJPjSE_EEENSF_IJSE_SE_EEES9_SG_JZNS1_25segmented_radix_sort_implINS0_14default_configELb1EPKsPsPKlPlN2at6native12_GLOBAL__N_18offset_tEEE10hipError_tPvRmT1_PNSt15iterator_traitsISY_E10value_typeET2_T3_PNSZ_IS14_E10value_typeET4_jRbjT5_S1A_jjP12ihipStream_tbEUljE_EEESV_SW_SX_S14_S18_S1A_T6_T7_T9_mT8_S1C_bDpT10_ENKUlT_T0_E_clISt17integral_constantIbLb1EES1P_EEDaS1K_S1L_EUlS1K_E_NS1_11comp_targetILNS1_3genE9ELNS1_11target_archE1100ELNS1_3gpuE3ELNS1_3repE0EEENS1_30default_config_static_selectorELNS0_4arch9wavefront6targetE0EEEvSY_.uses_flat_scratch, 0
	.set _ZN7rocprim17ROCPRIM_400000_NS6detail17trampoline_kernelINS0_13select_configILj256ELj13ELNS0_17block_load_methodE3ELS4_3ELS4_3ELNS0_20block_scan_algorithmE0ELj4294967295EEENS1_25partition_config_selectorILNS1_17partition_subalgoE3EjNS0_10empty_typeEbEEZZNS1_14partition_implILS8_3ELb0ES6_jNS0_17counting_iteratorIjlEEPS9_SE_NS0_5tupleIJPjSE_EEENSF_IJSE_SE_EEES9_SG_JZNS1_25segmented_radix_sort_implINS0_14default_configELb1EPKsPsPKlPlN2at6native12_GLOBAL__N_18offset_tEEE10hipError_tPvRmT1_PNSt15iterator_traitsISY_E10value_typeET2_T3_PNSZ_IS14_E10value_typeET4_jRbjT5_S1A_jjP12ihipStream_tbEUljE_EEESV_SW_SX_S14_S18_S1A_T6_T7_T9_mT8_S1C_bDpT10_ENKUlT_T0_E_clISt17integral_constantIbLb1EES1P_EEDaS1K_S1L_EUlS1K_E_NS1_11comp_targetILNS1_3genE9ELNS1_11target_archE1100ELNS1_3gpuE3ELNS1_3repE0EEENS1_30default_config_static_selectorELNS0_4arch9wavefront6targetE0EEEvSY_.has_dyn_sized_stack, 0
	.set _ZN7rocprim17ROCPRIM_400000_NS6detail17trampoline_kernelINS0_13select_configILj256ELj13ELNS0_17block_load_methodE3ELS4_3ELS4_3ELNS0_20block_scan_algorithmE0ELj4294967295EEENS1_25partition_config_selectorILNS1_17partition_subalgoE3EjNS0_10empty_typeEbEEZZNS1_14partition_implILS8_3ELb0ES6_jNS0_17counting_iteratorIjlEEPS9_SE_NS0_5tupleIJPjSE_EEENSF_IJSE_SE_EEES9_SG_JZNS1_25segmented_radix_sort_implINS0_14default_configELb1EPKsPsPKlPlN2at6native12_GLOBAL__N_18offset_tEEE10hipError_tPvRmT1_PNSt15iterator_traitsISY_E10value_typeET2_T3_PNSZ_IS14_E10value_typeET4_jRbjT5_S1A_jjP12ihipStream_tbEUljE_EEESV_SW_SX_S14_S18_S1A_T6_T7_T9_mT8_S1C_bDpT10_ENKUlT_T0_E_clISt17integral_constantIbLb1EES1P_EEDaS1K_S1L_EUlS1K_E_NS1_11comp_targetILNS1_3genE9ELNS1_11target_archE1100ELNS1_3gpuE3ELNS1_3repE0EEENS1_30default_config_static_selectorELNS0_4arch9wavefront6targetE0EEEvSY_.has_recursion, 0
	.set _ZN7rocprim17ROCPRIM_400000_NS6detail17trampoline_kernelINS0_13select_configILj256ELj13ELNS0_17block_load_methodE3ELS4_3ELS4_3ELNS0_20block_scan_algorithmE0ELj4294967295EEENS1_25partition_config_selectorILNS1_17partition_subalgoE3EjNS0_10empty_typeEbEEZZNS1_14partition_implILS8_3ELb0ES6_jNS0_17counting_iteratorIjlEEPS9_SE_NS0_5tupleIJPjSE_EEENSF_IJSE_SE_EEES9_SG_JZNS1_25segmented_radix_sort_implINS0_14default_configELb1EPKsPsPKlPlN2at6native12_GLOBAL__N_18offset_tEEE10hipError_tPvRmT1_PNSt15iterator_traitsISY_E10value_typeET2_T3_PNSZ_IS14_E10value_typeET4_jRbjT5_S1A_jjP12ihipStream_tbEUljE_EEESV_SW_SX_S14_S18_S1A_T6_T7_T9_mT8_S1C_bDpT10_ENKUlT_T0_E_clISt17integral_constantIbLb1EES1P_EEDaS1K_S1L_EUlS1K_E_NS1_11comp_targetILNS1_3genE9ELNS1_11target_archE1100ELNS1_3gpuE3ELNS1_3repE0EEENS1_30default_config_static_selectorELNS0_4arch9wavefront6targetE0EEEvSY_.has_indirect_call, 0
	.section	.AMDGPU.csdata,"",@progbits
; Kernel info:
; codeLenInByte = 0
; TotalNumSgprs: 0
; NumVgprs: 0
; ScratchSize: 0
; MemoryBound: 0
; FloatMode: 240
; IeeeMode: 1
; LDSByteSize: 0 bytes/workgroup (compile time only)
; SGPRBlocks: 0
; VGPRBlocks: 0
; NumSGPRsForWavesPerEU: 1
; NumVGPRsForWavesPerEU: 1
; NamedBarCnt: 0
; Occupancy: 16
; WaveLimiterHint : 0
; COMPUTE_PGM_RSRC2:SCRATCH_EN: 0
; COMPUTE_PGM_RSRC2:USER_SGPR: 2
; COMPUTE_PGM_RSRC2:TRAP_HANDLER: 0
; COMPUTE_PGM_RSRC2:TGID_X_EN: 1
; COMPUTE_PGM_RSRC2:TGID_Y_EN: 0
; COMPUTE_PGM_RSRC2:TGID_Z_EN: 0
; COMPUTE_PGM_RSRC2:TIDIG_COMP_CNT: 0
	.section	.text._ZN7rocprim17ROCPRIM_400000_NS6detail17trampoline_kernelINS0_13select_configILj256ELj13ELNS0_17block_load_methodE3ELS4_3ELS4_3ELNS0_20block_scan_algorithmE0ELj4294967295EEENS1_25partition_config_selectorILNS1_17partition_subalgoE3EjNS0_10empty_typeEbEEZZNS1_14partition_implILS8_3ELb0ES6_jNS0_17counting_iteratorIjlEEPS9_SE_NS0_5tupleIJPjSE_EEENSF_IJSE_SE_EEES9_SG_JZNS1_25segmented_radix_sort_implINS0_14default_configELb1EPKsPsPKlPlN2at6native12_GLOBAL__N_18offset_tEEE10hipError_tPvRmT1_PNSt15iterator_traitsISY_E10value_typeET2_T3_PNSZ_IS14_E10value_typeET4_jRbjT5_S1A_jjP12ihipStream_tbEUljE_EEESV_SW_SX_S14_S18_S1A_T6_T7_T9_mT8_S1C_bDpT10_ENKUlT_T0_E_clISt17integral_constantIbLb1EES1P_EEDaS1K_S1L_EUlS1K_E_NS1_11comp_targetILNS1_3genE8ELNS1_11target_archE1030ELNS1_3gpuE2ELNS1_3repE0EEENS1_30default_config_static_selectorELNS0_4arch9wavefront6targetE0EEEvSY_,"axG",@progbits,_ZN7rocprim17ROCPRIM_400000_NS6detail17trampoline_kernelINS0_13select_configILj256ELj13ELNS0_17block_load_methodE3ELS4_3ELS4_3ELNS0_20block_scan_algorithmE0ELj4294967295EEENS1_25partition_config_selectorILNS1_17partition_subalgoE3EjNS0_10empty_typeEbEEZZNS1_14partition_implILS8_3ELb0ES6_jNS0_17counting_iteratorIjlEEPS9_SE_NS0_5tupleIJPjSE_EEENSF_IJSE_SE_EEES9_SG_JZNS1_25segmented_radix_sort_implINS0_14default_configELb1EPKsPsPKlPlN2at6native12_GLOBAL__N_18offset_tEEE10hipError_tPvRmT1_PNSt15iterator_traitsISY_E10value_typeET2_T3_PNSZ_IS14_E10value_typeET4_jRbjT5_S1A_jjP12ihipStream_tbEUljE_EEESV_SW_SX_S14_S18_S1A_T6_T7_T9_mT8_S1C_bDpT10_ENKUlT_T0_E_clISt17integral_constantIbLb1EES1P_EEDaS1K_S1L_EUlS1K_E_NS1_11comp_targetILNS1_3genE8ELNS1_11target_archE1030ELNS1_3gpuE2ELNS1_3repE0EEENS1_30default_config_static_selectorELNS0_4arch9wavefront6targetE0EEEvSY_,comdat
	.globl	_ZN7rocprim17ROCPRIM_400000_NS6detail17trampoline_kernelINS0_13select_configILj256ELj13ELNS0_17block_load_methodE3ELS4_3ELS4_3ELNS0_20block_scan_algorithmE0ELj4294967295EEENS1_25partition_config_selectorILNS1_17partition_subalgoE3EjNS0_10empty_typeEbEEZZNS1_14partition_implILS8_3ELb0ES6_jNS0_17counting_iteratorIjlEEPS9_SE_NS0_5tupleIJPjSE_EEENSF_IJSE_SE_EEES9_SG_JZNS1_25segmented_radix_sort_implINS0_14default_configELb1EPKsPsPKlPlN2at6native12_GLOBAL__N_18offset_tEEE10hipError_tPvRmT1_PNSt15iterator_traitsISY_E10value_typeET2_T3_PNSZ_IS14_E10value_typeET4_jRbjT5_S1A_jjP12ihipStream_tbEUljE_EEESV_SW_SX_S14_S18_S1A_T6_T7_T9_mT8_S1C_bDpT10_ENKUlT_T0_E_clISt17integral_constantIbLb1EES1P_EEDaS1K_S1L_EUlS1K_E_NS1_11comp_targetILNS1_3genE8ELNS1_11target_archE1030ELNS1_3gpuE2ELNS1_3repE0EEENS1_30default_config_static_selectorELNS0_4arch9wavefront6targetE0EEEvSY_ ; -- Begin function _ZN7rocprim17ROCPRIM_400000_NS6detail17trampoline_kernelINS0_13select_configILj256ELj13ELNS0_17block_load_methodE3ELS4_3ELS4_3ELNS0_20block_scan_algorithmE0ELj4294967295EEENS1_25partition_config_selectorILNS1_17partition_subalgoE3EjNS0_10empty_typeEbEEZZNS1_14partition_implILS8_3ELb0ES6_jNS0_17counting_iteratorIjlEEPS9_SE_NS0_5tupleIJPjSE_EEENSF_IJSE_SE_EEES9_SG_JZNS1_25segmented_radix_sort_implINS0_14default_configELb1EPKsPsPKlPlN2at6native12_GLOBAL__N_18offset_tEEE10hipError_tPvRmT1_PNSt15iterator_traitsISY_E10value_typeET2_T3_PNSZ_IS14_E10value_typeET4_jRbjT5_S1A_jjP12ihipStream_tbEUljE_EEESV_SW_SX_S14_S18_S1A_T6_T7_T9_mT8_S1C_bDpT10_ENKUlT_T0_E_clISt17integral_constantIbLb1EES1P_EEDaS1K_S1L_EUlS1K_E_NS1_11comp_targetILNS1_3genE8ELNS1_11target_archE1030ELNS1_3gpuE2ELNS1_3repE0EEENS1_30default_config_static_selectorELNS0_4arch9wavefront6targetE0EEEvSY_
	.p2align	8
	.type	_ZN7rocprim17ROCPRIM_400000_NS6detail17trampoline_kernelINS0_13select_configILj256ELj13ELNS0_17block_load_methodE3ELS4_3ELS4_3ELNS0_20block_scan_algorithmE0ELj4294967295EEENS1_25partition_config_selectorILNS1_17partition_subalgoE3EjNS0_10empty_typeEbEEZZNS1_14partition_implILS8_3ELb0ES6_jNS0_17counting_iteratorIjlEEPS9_SE_NS0_5tupleIJPjSE_EEENSF_IJSE_SE_EEES9_SG_JZNS1_25segmented_radix_sort_implINS0_14default_configELb1EPKsPsPKlPlN2at6native12_GLOBAL__N_18offset_tEEE10hipError_tPvRmT1_PNSt15iterator_traitsISY_E10value_typeET2_T3_PNSZ_IS14_E10value_typeET4_jRbjT5_S1A_jjP12ihipStream_tbEUljE_EEESV_SW_SX_S14_S18_S1A_T6_T7_T9_mT8_S1C_bDpT10_ENKUlT_T0_E_clISt17integral_constantIbLb1EES1P_EEDaS1K_S1L_EUlS1K_E_NS1_11comp_targetILNS1_3genE8ELNS1_11target_archE1030ELNS1_3gpuE2ELNS1_3repE0EEENS1_30default_config_static_selectorELNS0_4arch9wavefront6targetE0EEEvSY_,@function
_ZN7rocprim17ROCPRIM_400000_NS6detail17trampoline_kernelINS0_13select_configILj256ELj13ELNS0_17block_load_methodE3ELS4_3ELS4_3ELNS0_20block_scan_algorithmE0ELj4294967295EEENS1_25partition_config_selectorILNS1_17partition_subalgoE3EjNS0_10empty_typeEbEEZZNS1_14partition_implILS8_3ELb0ES6_jNS0_17counting_iteratorIjlEEPS9_SE_NS0_5tupleIJPjSE_EEENSF_IJSE_SE_EEES9_SG_JZNS1_25segmented_radix_sort_implINS0_14default_configELb1EPKsPsPKlPlN2at6native12_GLOBAL__N_18offset_tEEE10hipError_tPvRmT1_PNSt15iterator_traitsISY_E10value_typeET2_T3_PNSZ_IS14_E10value_typeET4_jRbjT5_S1A_jjP12ihipStream_tbEUljE_EEESV_SW_SX_S14_S18_S1A_T6_T7_T9_mT8_S1C_bDpT10_ENKUlT_T0_E_clISt17integral_constantIbLb1EES1P_EEDaS1K_S1L_EUlS1K_E_NS1_11comp_targetILNS1_3genE8ELNS1_11target_archE1030ELNS1_3gpuE2ELNS1_3repE0EEENS1_30default_config_static_selectorELNS0_4arch9wavefront6targetE0EEEvSY_: ; @_ZN7rocprim17ROCPRIM_400000_NS6detail17trampoline_kernelINS0_13select_configILj256ELj13ELNS0_17block_load_methodE3ELS4_3ELS4_3ELNS0_20block_scan_algorithmE0ELj4294967295EEENS1_25partition_config_selectorILNS1_17partition_subalgoE3EjNS0_10empty_typeEbEEZZNS1_14partition_implILS8_3ELb0ES6_jNS0_17counting_iteratorIjlEEPS9_SE_NS0_5tupleIJPjSE_EEENSF_IJSE_SE_EEES9_SG_JZNS1_25segmented_radix_sort_implINS0_14default_configELb1EPKsPsPKlPlN2at6native12_GLOBAL__N_18offset_tEEE10hipError_tPvRmT1_PNSt15iterator_traitsISY_E10value_typeET2_T3_PNSZ_IS14_E10value_typeET4_jRbjT5_S1A_jjP12ihipStream_tbEUljE_EEESV_SW_SX_S14_S18_S1A_T6_T7_T9_mT8_S1C_bDpT10_ENKUlT_T0_E_clISt17integral_constantIbLb1EES1P_EEDaS1K_S1L_EUlS1K_E_NS1_11comp_targetILNS1_3genE8ELNS1_11target_archE1030ELNS1_3gpuE2ELNS1_3repE0EEENS1_30default_config_static_selectorELNS0_4arch9wavefront6targetE0EEEvSY_
; %bb.0:
	.section	.rodata,"a",@progbits
	.p2align	6, 0x0
	.amdhsa_kernel _ZN7rocprim17ROCPRIM_400000_NS6detail17trampoline_kernelINS0_13select_configILj256ELj13ELNS0_17block_load_methodE3ELS4_3ELS4_3ELNS0_20block_scan_algorithmE0ELj4294967295EEENS1_25partition_config_selectorILNS1_17partition_subalgoE3EjNS0_10empty_typeEbEEZZNS1_14partition_implILS8_3ELb0ES6_jNS0_17counting_iteratorIjlEEPS9_SE_NS0_5tupleIJPjSE_EEENSF_IJSE_SE_EEES9_SG_JZNS1_25segmented_radix_sort_implINS0_14default_configELb1EPKsPsPKlPlN2at6native12_GLOBAL__N_18offset_tEEE10hipError_tPvRmT1_PNSt15iterator_traitsISY_E10value_typeET2_T3_PNSZ_IS14_E10value_typeET4_jRbjT5_S1A_jjP12ihipStream_tbEUljE_EEESV_SW_SX_S14_S18_S1A_T6_T7_T9_mT8_S1C_bDpT10_ENKUlT_T0_E_clISt17integral_constantIbLb1EES1P_EEDaS1K_S1L_EUlS1K_E_NS1_11comp_targetILNS1_3genE8ELNS1_11target_archE1030ELNS1_3gpuE2ELNS1_3repE0EEENS1_30default_config_static_selectorELNS0_4arch9wavefront6targetE0EEEvSY_
		.amdhsa_group_segment_fixed_size 0
		.amdhsa_private_segment_fixed_size 0
		.amdhsa_kernarg_size 152
		.amdhsa_user_sgpr_count 2
		.amdhsa_user_sgpr_dispatch_ptr 0
		.amdhsa_user_sgpr_queue_ptr 0
		.amdhsa_user_sgpr_kernarg_segment_ptr 1
		.amdhsa_user_sgpr_dispatch_id 0
		.amdhsa_user_sgpr_kernarg_preload_length 0
		.amdhsa_user_sgpr_kernarg_preload_offset 0
		.amdhsa_user_sgpr_private_segment_size 0
		.amdhsa_wavefront_size32 1
		.amdhsa_uses_dynamic_stack 0
		.amdhsa_enable_private_segment 0
		.amdhsa_system_sgpr_workgroup_id_x 1
		.amdhsa_system_sgpr_workgroup_id_y 0
		.amdhsa_system_sgpr_workgroup_id_z 0
		.amdhsa_system_sgpr_workgroup_info 0
		.amdhsa_system_vgpr_workitem_id 0
		.amdhsa_next_free_vgpr 1
		.amdhsa_next_free_sgpr 1
		.amdhsa_named_barrier_count 0
		.amdhsa_reserve_vcc 0
		.amdhsa_float_round_mode_32 0
		.amdhsa_float_round_mode_16_64 0
		.amdhsa_float_denorm_mode_32 3
		.amdhsa_float_denorm_mode_16_64 3
		.amdhsa_fp16_overflow 0
		.amdhsa_memory_ordered 1
		.amdhsa_forward_progress 1
		.amdhsa_inst_pref_size 0
		.amdhsa_round_robin_scheduling 0
		.amdhsa_exception_fp_ieee_invalid_op 0
		.amdhsa_exception_fp_denorm_src 0
		.amdhsa_exception_fp_ieee_div_zero 0
		.amdhsa_exception_fp_ieee_overflow 0
		.amdhsa_exception_fp_ieee_underflow 0
		.amdhsa_exception_fp_ieee_inexact 0
		.amdhsa_exception_int_div_zero 0
	.end_amdhsa_kernel
	.section	.text._ZN7rocprim17ROCPRIM_400000_NS6detail17trampoline_kernelINS0_13select_configILj256ELj13ELNS0_17block_load_methodE3ELS4_3ELS4_3ELNS0_20block_scan_algorithmE0ELj4294967295EEENS1_25partition_config_selectorILNS1_17partition_subalgoE3EjNS0_10empty_typeEbEEZZNS1_14partition_implILS8_3ELb0ES6_jNS0_17counting_iteratorIjlEEPS9_SE_NS0_5tupleIJPjSE_EEENSF_IJSE_SE_EEES9_SG_JZNS1_25segmented_radix_sort_implINS0_14default_configELb1EPKsPsPKlPlN2at6native12_GLOBAL__N_18offset_tEEE10hipError_tPvRmT1_PNSt15iterator_traitsISY_E10value_typeET2_T3_PNSZ_IS14_E10value_typeET4_jRbjT5_S1A_jjP12ihipStream_tbEUljE_EEESV_SW_SX_S14_S18_S1A_T6_T7_T9_mT8_S1C_bDpT10_ENKUlT_T0_E_clISt17integral_constantIbLb1EES1P_EEDaS1K_S1L_EUlS1K_E_NS1_11comp_targetILNS1_3genE8ELNS1_11target_archE1030ELNS1_3gpuE2ELNS1_3repE0EEENS1_30default_config_static_selectorELNS0_4arch9wavefront6targetE0EEEvSY_,"axG",@progbits,_ZN7rocprim17ROCPRIM_400000_NS6detail17trampoline_kernelINS0_13select_configILj256ELj13ELNS0_17block_load_methodE3ELS4_3ELS4_3ELNS0_20block_scan_algorithmE0ELj4294967295EEENS1_25partition_config_selectorILNS1_17partition_subalgoE3EjNS0_10empty_typeEbEEZZNS1_14partition_implILS8_3ELb0ES6_jNS0_17counting_iteratorIjlEEPS9_SE_NS0_5tupleIJPjSE_EEENSF_IJSE_SE_EEES9_SG_JZNS1_25segmented_radix_sort_implINS0_14default_configELb1EPKsPsPKlPlN2at6native12_GLOBAL__N_18offset_tEEE10hipError_tPvRmT1_PNSt15iterator_traitsISY_E10value_typeET2_T3_PNSZ_IS14_E10value_typeET4_jRbjT5_S1A_jjP12ihipStream_tbEUljE_EEESV_SW_SX_S14_S18_S1A_T6_T7_T9_mT8_S1C_bDpT10_ENKUlT_T0_E_clISt17integral_constantIbLb1EES1P_EEDaS1K_S1L_EUlS1K_E_NS1_11comp_targetILNS1_3genE8ELNS1_11target_archE1030ELNS1_3gpuE2ELNS1_3repE0EEENS1_30default_config_static_selectorELNS0_4arch9wavefront6targetE0EEEvSY_,comdat
.Lfunc_end890:
	.size	_ZN7rocprim17ROCPRIM_400000_NS6detail17trampoline_kernelINS0_13select_configILj256ELj13ELNS0_17block_load_methodE3ELS4_3ELS4_3ELNS0_20block_scan_algorithmE0ELj4294967295EEENS1_25partition_config_selectorILNS1_17partition_subalgoE3EjNS0_10empty_typeEbEEZZNS1_14partition_implILS8_3ELb0ES6_jNS0_17counting_iteratorIjlEEPS9_SE_NS0_5tupleIJPjSE_EEENSF_IJSE_SE_EEES9_SG_JZNS1_25segmented_radix_sort_implINS0_14default_configELb1EPKsPsPKlPlN2at6native12_GLOBAL__N_18offset_tEEE10hipError_tPvRmT1_PNSt15iterator_traitsISY_E10value_typeET2_T3_PNSZ_IS14_E10value_typeET4_jRbjT5_S1A_jjP12ihipStream_tbEUljE_EEESV_SW_SX_S14_S18_S1A_T6_T7_T9_mT8_S1C_bDpT10_ENKUlT_T0_E_clISt17integral_constantIbLb1EES1P_EEDaS1K_S1L_EUlS1K_E_NS1_11comp_targetILNS1_3genE8ELNS1_11target_archE1030ELNS1_3gpuE2ELNS1_3repE0EEENS1_30default_config_static_selectorELNS0_4arch9wavefront6targetE0EEEvSY_, .Lfunc_end890-_ZN7rocprim17ROCPRIM_400000_NS6detail17trampoline_kernelINS0_13select_configILj256ELj13ELNS0_17block_load_methodE3ELS4_3ELS4_3ELNS0_20block_scan_algorithmE0ELj4294967295EEENS1_25partition_config_selectorILNS1_17partition_subalgoE3EjNS0_10empty_typeEbEEZZNS1_14partition_implILS8_3ELb0ES6_jNS0_17counting_iteratorIjlEEPS9_SE_NS0_5tupleIJPjSE_EEENSF_IJSE_SE_EEES9_SG_JZNS1_25segmented_radix_sort_implINS0_14default_configELb1EPKsPsPKlPlN2at6native12_GLOBAL__N_18offset_tEEE10hipError_tPvRmT1_PNSt15iterator_traitsISY_E10value_typeET2_T3_PNSZ_IS14_E10value_typeET4_jRbjT5_S1A_jjP12ihipStream_tbEUljE_EEESV_SW_SX_S14_S18_S1A_T6_T7_T9_mT8_S1C_bDpT10_ENKUlT_T0_E_clISt17integral_constantIbLb1EES1P_EEDaS1K_S1L_EUlS1K_E_NS1_11comp_targetILNS1_3genE8ELNS1_11target_archE1030ELNS1_3gpuE2ELNS1_3repE0EEENS1_30default_config_static_selectorELNS0_4arch9wavefront6targetE0EEEvSY_
                                        ; -- End function
	.set _ZN7rocprim17ROCPRIM_400000_NS6detail17trampoline_kernelINS0_13select_configILj256ELj13ELNS0_17block_load_methodE3ELS4_3ELS4_3ELNS0_20block_scan_algorithmE0ELj4294967295EEENS1_25partition_config_selectorILNS1_17partition_subalgoE3EjNS0_10empty_typeEbEEZZNS1_14partition_implILS8_3ELb0ES6_jNS0_17counting_iteratorIjlEEPS9_SE_NS0_5tupleIJPjSE_EEENSF_IJSE_SE_EEES9_SG_JZNS1_25segmented_radix_sort_implINS0_14default_configELb1EPKsPsPKlPlN2at6native12_GLOBAL__N_18offset_tEEE10hipError_tPvRmT1_PNSt15iterator_traitsISY_E10value_typeET2_T3_PNSZ_IS14_E10value_typeET4_jRbjT5_S1A_jjP12ihipStream_tbEUljE_EEESV_SW_SX_S14_S18_S1A_T6_T7_T9_mT8_S1C_bDpT10_ENKUlT_T0_E_clISt17integral_constantIbLb1EES1P_EEDaS1K_S1L_EUlS1K_E_NS1_11comp_targetILNS1_3genE8ELNS1_11target_archE1030ELNS1_3gpuE2ELNS1_3repE0EEENS1_30default_config_static_selectorELNS0_4arch9wavefront6targetE0EEEvSY_.num_vgpr, 0
	.set _ZN7rocprim17ROCPRIM_400000_NS6detail17trampoline_kernelINS0_13select_configILj256ELj13ELNS0_17block_load_methodE3ELS4_3ELS4_3ELNS0_20block_scan_algorithmE0ELj4294967295EEENS1_25partition_config_selectorILNS1_17partition_subalgoE3EjNS0_10empty_typeEbEEZZNS1_14partition_implILS8_3ELb0ES6_jNS0_17counting_iteratorIjlEEPS9_SE_NS0_5tupleIJPjSE_EEENSF_IJSE_SE_EEES9_SG_JZNS1_25segmented_radix_sort_implINS0_14default_configELb1EPKsPsPKlPlN2at6native12_GLOBAL__N_18offset_tEEE10hipError_tPvRmT1_PNSt15iterator_traitsISY_E10value_typeET2_T3_PNSZ_IS14_E10value_typeET4_jRbjT5_S1A_jjP12ihipStream_tbEUljE_EEESV_SW_SX_S14_S18_S1A_T6_T7_T9_mT8_S1C_bDpT10_ENKUlT_T0_E_clISt17integral_constantIbLb1EES1P_EEDaS1K_S1L_EUlS1K_E_NS1_11comp_targetILNS1_3genE8ELNS1_11target_archE1030ELNS1_3gpuE2ELNS1_3repE0EEENS1_30default_config_static_selectorELNS0_4arch9wavefront6targetE0EEEvSY_.num_agpr, 0
	.set _ZN7rocprim17ROCPRIM_400000_NS6detail17trampoline_kernelINS0_13select_configILj256ELj13ELNS0_17block_load_methodE3ELS4_3ELS4_3ELNS0_20block_scan_algorithmE0ELj4294967295EEENS1_25partition_config_selectorILNS1_17partition_subalgoE3EjNS0_10empty_typeEbEEZZNS1_14partition_implILS8_3ELb0ES6_jNS0_17counting_iteratorIjlEEPS9_SE_NS0_5tupleIJPjSE_EEENSF_IJSE_SE_EEES9_SG_JZNS1_25segmented_radix_sort_implINS0_14default_configELb1EPKsPsPKlPlN2at6native12_GLOBAL__N_18offset_tEEE10hipError_tPvRmT1_PNSt15iterator_traitsISY_E10value_typeET2_T3_PNSZ_IS14_E10value_typeET4_jRbjT5_S1A_jjP12ihipStream_tbEUljE_EEESV_SW_SX_S14_S18_S1A_T6_T7_T9_mT8_S1C_bDpT10_ENKUlT_T0_E_clISt17integral_constantIbLb1EES1P_EEDaS1K_S1L_EUlS1K_E_NS1_11comp_targetILNS1_3genE8ELNS1_11target_archE1030ELNS1_3gpuE2ELNS1_3repE0EEENS1_30default_config_static_selectorELNS0_4arch9wavefront6targetE0EEEvSY_.numbered_sgpr, 0
	.set _ZN7rocprim17ROCPRIM_400000_NS6detail17trampoline_kernelINS0_13select_configILj256ELj13ELNS0_17block_load_methodE3ELS4_3ELS4_3ELNS0_20block_scan_algorithmE0ELj4294967295EEENS1_25partition_config_selectorILNS1_17partition_subalgoE3EjNS0_10empty_typeEbEEZZNS1_14partition_implILS8_3ELb0ES6_jNS0_17counting_iteratorIjlEEPS9_SE_NS0_5tupleIJPjSE_EEENSF_IJSE_SE_EEES9_SG_JZNS1_25segmented_radix_sort_implINS0_14default_configELb1EPKsPsPKlPlN2at6native12_GLOBAL__N_18offset_tEEE10hipError_tPvRmT1_PNSt15iterator_traitsISY_E10value_typeET2_T3_PNSZ_IS14_E10value_typeET4_jRbjT5_S1A_jjP12ihipStream_tbEUljE_EEESV_SW_SX_S14_S18_S1A_T6_T7_T9_mT8_S1C_bDpT10_ENKUlT_T0_E_clISt17integral_constantIbLb1EES1P_EEDaS1K_S1L_EUlS1K_E_NS1_11comp_targetILNS1_3genE8ELNS1_11target_archE1030ELNS1_3gpuE2ELNS1_3repE0EEENS1_30default_config_static_selectorELNS0_4arch9wavefront6targetE0EEEvSY_.num_named_barrier, 0
	.set _ZN7rocprim17ROCPRIM_400000_NS6detail17trampoline_kernelINS0_13select_configILj256ELj13ELNS0_17block_load_methodE3ELS4_3ELS4_3ELNS0_20block_scan_algorithmE0ELj4294967295EEENS1_25partition_config_selectorILNS1_17partition_subalgoE3EjNS0_10empty_typeEbEEZZNS1_14partition_implILS8_3ELb0ES6_jNS0_17counting_iteratorIjlEEPS9_SE_NS0_5tupleIJPjSE_EEENSF_IJSE_SE_EEES9_SG_JZNS1_25segmented_radix_sort_implINS0_14default_configELb1EPKsPsPKlPlN2at6native12_GLOBAL__N_18offset_tEEE10hipError_tPvRmT1_PNSt15iterator_traitsISY_E10value_typeET2_T3_PNSZ_IS14_E10value_typeET4_jRbjT5_S1A_jjP12ihipStream_tbEUljE_EEESV_SW_SX_S14_S18_S1A_T6_T7_T9_mT8_S1C_bDpT10_ENKUlT_T0_E_clISt17integral_constantIbLb1EES1P_EEDaS1K_S1L_EUlS1K_E_NS1_11comp_targetILNS1_3genE8ELNS1_11target_archE1030ELNS1_3gpuE2ELNS1_3repE0EEENS1_30default_config_static_selectorELNS0_4arch9wavefront6targetE0EEEvSY_.private_seg_size, 0
	.set _ZN7rocprim17ROCPRIM_400000_NS6detail17trampoline_kernelINS0_13select_configILj256ELj13ELNS0_17block_load_methodE3ELS4_3ELS4_3ELNS0_20block_scan_algorithmE0ELj4294967295EEENS1_25partition_config_selectorILNS1_17partition_subalgoE3EjNS0_10empty_typeEbEEZZNS1_14partition_implILS8_3ELb0ES6_jNS0_17counting_iteratorIjlEEPS9_SE_NS0_5tupleIJPjSE_EEENSF_IJSE_SE_EEES9_SG_JZNS1_25segmented_radix_sort_implINS0_14default_configELb1EPKsPsPKlPlN2at6native12_GLOBAL__N_18offset_tEEE10hipError_tPvRmT1_PNSt15iterator_traitsISY_E10value_typeET2_T3_PNSZ_IS14_E10value_typeET4_jRbjT5_S1A_jjP12ihipStream_tbEUljE_EEESV_SW_SX_S14_S18_S1A_T6_T7_T9_mT8_S1C_bDpT10_ENKUlT_T0_E_clISt17integral_constantIbLb1EES1P_EEDaS1K_S1L_EUlS1K_E_NS1_11comp_targetILNS1_3genE8ELNS1_11target_archE1030ELNS1_3gpuE2ELNS1_3repE0EEENS1_30default_config_static_selectorELNS0_4arch9wavefront6targetE0EEEvSY_.uses_vcc, 0
	.set _ZN7rocprim17ROCPRIM_400000_NS6detail17trampoline_kernelINS0_13select_configILj256ELj13ELNS0_17block_load_methodE3ELS4_3ELS4_3ELNS0_20block_scan_algorithmE0ELj4294967295EEENS1_25partition_config_selectorILNS1_17partition_subalgoE3EjNS0_10empty_typeEbEEZZNS1_14partition_implILS8_3ELb0ES6_jNS0_17counting_iteratorIjlEEPS9_SE_NS0_5tupleIJPjSE_EEENSF_IJSE_SE_EEES9_SG_JZNS1_25segmented_radix_sort_implINS0_14default_configELb1EPKsPsPKlPlN2at6native12_GLOBAL__N_18offset_tEEE10hipError_tPvRmT1_PNSt15iterator_traitsISY_E10value_typeET2_T3_PNSZ_IS14_E10value_typeET4_jRbjT5_S1A_jjP12ihipStream_tbEUljE_EEESV_SW_SX_S14_S18_S1A_T6_T7_T9_mT8_S1C_bDpT10_ENKUlT_T0_E_clISt17integral_constantIbLb1EES1P_EEDaS1K_S1L_EUlS1K_E_NS1_11comp_targetILNS1_3genE8ELNS1_11target_archE1030ELNS1_3gpuE2ELNS1_3repE0EEENS1_30default_config_static_selectorELNS0_4arch9wavefront6targetE0EEEvSY_.uses_flat_scratch, 0
	.set _ZN7rocprim17ROCPRIM_400000_NS6detail17trampoline_kernelINS0_13select_configILj256ELj13ELNS0_17block_load_methodE3ELS4_3ELS4_3ELNS0_20block_scan_algorithmE0ELj4294967295EEENS1_25partition_config_selectorILNS1_17partition_subalgoE3EjNS0_10empty_typeEbEEZZNS1_14partition_implILS8_3ELb0ES6_jNS0_17counting_iteratorIjlEEPS9_SE_NS0_5tupleIJPjSE_EEENSF_IJSE_SE_EEES9_SG_JZNS1_25segmented_radix_sort_implINS0_14default_configELb1EPKsPsPKlPlN2at6native12_GLOBAL__N_18offset_tEEE10hipError_tPvRmT1_PNSt15iterator_traitsISY_E10value_typeET2_T3_PNSZ_IS14_E10value_typeET4_jRbjT5_S1A_jjP12ihipStream_tbEUljE_EEESV_SW_SX_S14_S18_S1A_T6_T7_T9_mT8_S1C_bDpT10_ENKUlT_T0_E_clISt17integral_constantIbLb1EES1P_EEDaS1K_S1L_EUlS1K_E_NS1_11comp_targetILNS1_3genE8ELNS1_11target_archE1030ELNS1_3gpuE2ELNS1_3repE0EEENS1_30default_config_static_selectorELNS0_4arch9wavefront6targetE0EEEvSY_.has_dyn_sized_stack, 0
	.set _ZN7rocprim17ROCPRIM_400000_NS6detail17trampoline_kernelINS0_13select_configILj256ELj13ELNS0_17block_load_methodE3ELS4_3ELS4_3ELNS0_20block_scan_algorithmE0ELj4294967295EEENS1_25partition_config_selectorILNS1_17partition_subalgoE3EjNS0_10empty_typeEbEEZZNS1_14partition_implILS8_3ELb0ES6_jNS0_17counting_iteratorIjlEEPS9_SE_NS0_5tupleIJPjSE_EEENSF_IJSE_SE_EEES9_SG_JZNS1_25segmented_radix_sort_implINS0_14default_configELb1EPKsPsPKlPlN2at6native12_GLOBAL__N_18offset_tEEE10hipError_tPvRmT1_PNSt15iterator_traitsISY_E10value_typeET2_T3_PNSZ_IS14_E10value_typeET4_jRbjT5_S1A_jjP12ihipStream_tbEUljE_EEESV_SW_SX_S14_S18_S1A_T6_T7_T9_mT8_S1C_bDpT10_ENKUlT_T0_E_clISt17integral_constantIbLb1EES1P_EEDaS1K_S1L_EUlS1K_E_NS1_11comp_targetILNS1_3genE8ELNS1_11target_archE1030ELNS1_3gpuE2ELNS1_3repE0EEENS1_30default_config_static_selectorELNS0_4arch9wavefront6targetE0EEEvSY_.has_recursion, 0
	.set _ZN7rocprim17ROCPRIM_400000_NS6detail17trampoline_kernelINS0_13select_configILj256ELj13ELNS0_17block_load_methodE3ELS4_3ELS4_3ELNS0_20block_scan_algorithmE0ELj4294967295EEENS1_25partition_config_selectorILNS1_17partition_subalgoE3EjNS0_10empty_typeEbEEZZNS1_14partition_implILS8_3ELb0ES6_jNS0_17counting_iteratorIjlEEPS9_SE_NS0_5tupleIJPjSE_EEENSF_IJSE_SE_EEES9_SG_JZNS1_25segmented_radix_sort_implINS0_14default_configELb1EPKsPsPKlPlN2at6native12_GLOBAL__N_18offset_tEEE10hipError_tPvRmT1_PNSt15iterator_traitsISY_E10value_typeET2_T3_PNSZ_IS14_E10value_typeET4_jRbjT5_S1A_jjP12ihipStream_tbEUljE_EEESV_SW_SX_S14_S18_S1A_T6_T7_T9_mT8_S1C_bDpT10_ENKUlT_T0_E_clISt17integral_constantIbLb1EES1P_EEDaS1K_S1L_EUlS1K_E_NS1_11comp_targetILNS1_3genE8ELNS1_11target_archE1030ELNS1_3gpuE2ELNS1_3repE0EEENS1_30default_config_static_selectorELNS0_4arch9wavefront6targetE0EEEvSY_.has_indirect_call, 0
	.section	.AMDGPU.csdata,"",@progbits
; Kernel info:
; codeLenInByte = 0
; TotalNumSgprs: 0
; NumVgprs: 0
; ScratchSize: 0
; MemoryBound: 0
; FloatMode: 240
; IeeeMode: 1
; LDSByteSize: 0 bytes/workgroup (compile time only)
; SGPRBlocks: 0
; VGPRBlocks: 0
; NumSGPRsForWavesPerEU: 1
; NumVGPRsForWavesPerEU: 1
; NamedBarCnt: 0
; Occupancy: 16
; WaveLimiterHint : 0
; COMPUTE_PGM_RSRC2:SCRATCH_EN: 0
; COMPUTE_PGM_RSRC2:USER_SGPR: 2
; COMPUTE_PGM_RSRC2:TRAP_HANDLER: 0
; COMPUTE_PGM_RSRC2:TGID_X_EN: 1
; COMPUTE_PGM_RSRC2:TGID_Y_EN: 0
; COMPUTE_PGM_RSRC2:TGID_Z_EN: 0
; COMPUTE_PGM_RSRC2:TIDIG_COMP_CNT: 0
	.section	.text._ZN7rocprim17ROCPRIM_400000_NS6detail17trampoline_kernelINS0_13select_configILj256ELj13ELNS0_17block_load_methodE3ELS4_3ELS4_3ELNS0_20block_scan_algorithmE0ELj4294967295EEENS1_25partition_config_selectorILNS1_17partition_subalgoE3EjNS0_10empty_typeEbEEZZNS1_14partition_implILS8_3ELb0ES6_jNS0_17counting_iteratorIjlEEPS9_SE_NS0_5tupleIJPjSE_EEENSF_IJSE_SE_EEES9_SG_JZNS1_25segmented_radix_sort_implINS0_14default_configELb1EPKsPsPKlPlN2at6native12_GLOBAL__N_18offset_tEEE10hipError_tPvRmT1_PNSt15iterator_traitsISY_E10value_typeET2_T3_PNSZ_IS14_E10value_typeET4_jRbjT5_S1A_jjP12ihipStream_tbEUljE_EEESV_SW_SX_S14_S18_S1A_T6_T7_T9_mT8_S1C_bDpT10_ENKUlT_T0_E_clISt17integral_constantIbLb1EES1O_IbLb0EEEEDaS1K_S1L_EUlS1K_E_NS1_11comp_targetILNS1_3genE0ELNS1_11target_archE4294967295ELNS1_3gpuE0ELNS1_3repE0EEENS1_30default_config_static_selectorELNS0_4arch9wavefront6targetE0EEEvSY_,"axG",@progbits,_ZN7rocprim17ROCPRIM_400000_NS6detail17trampoline_kernelINS0_13select_configILj256ELj13ELNS0_17block_load_methodE3ELS4_3ELS4_3ELNS0_20block_scan_algorithmE0ELj4294967295EEENS1_25partition_config_selectorILNS1_17partition_subalgoE3EjNS0_10empty_typeEbEEZZNS1_14partition_implILS8_3ELb0ES6_jNS0_17counting_iteratorIjlEEPS9_SE_NS0_5tupleIJPjSE_EEENSF_IJSE_SE_EEES9_SG_JZNS1_25segmented_radix_sort_implINS0_14default_configELb1EPKsPsPKlPlN2at6native12_GLOBAL__N_18offset_tEEE10hipError_tPvRmT1_PNSt15iterator_traitsISY_E10value_typeET2_T3_PNSZ_IS14_E10value_typeET4_jRbjT5_S1A_jjP12ihipStream_tbEUljE_EEESV_SW_SX_S14_S18_S1A_T6_T7_T9_mT8_S1C_bDpT10_ENKUlT_T0_E_clISt17integral_constantIbLb1EES1O_IbLb0EEEEDaS1K_S1L_EUlS1K_E_NS1_11comp_targetILNS1_3genE0ELNS1_11target_archE4294967295ELNS1_3gpuE0ELNS1_3repE0EEENS1_30default_config_static_selectorELNS0_4arch9wavefront6targetE0EEEvSY_,comdat
	.globl	_ZN7rocprim17ROCPRIM_400000_NS6detail17trampoline_kernelINS0_13select_configILj256ELj13ELNS0_17block_load_methodE3ELS4_3ELS4_3ELNS0_20block_scan_algorithmE0ELj4294967295EEENS1_25partition_config_selectorILNS1_17partition_subalgoE3EjNS0_10empty_typeEbEEZZNS1_14partition_implILS8_3ELb0ES6_jNS0_17counting_iteratorIjlEEPS9_SE_NS0_5tupleIJPjSE_EEENSF_IJSE_SE_EEES9_SG_JZNS1_25segmented_radix_sort_implINS0_14default_configELb1EPKsPsPKlPlN2at6native12_GLOBAL__N_18offset_tEEE10hipError_tPvRmT1_PNSt15iterator_traitsISY_E10value_typeET2_T3_PNSZ_IS14_E10value_typeET4_jRbjT5_S1A_jjP12ihipStream_tbEUljE_EEESV_SW_SX_S14_S18_S1A_T6_T7_T9_mT8_S1C_bDpT10_ENKUlT_T0_E_clISt17integral_constantIbLb1EES1O_IbLb0EEEEDaS1K_S1L_EUlS1K_E_NS1_11comp_targetILNS1_3genE0ELNS1_11target_archE4294967295ELNS1_3gpuE0ELNS1_3repE0EEENS1_30default_config_static_selectorELNS0_4arch9wavefront6targetE0EEEvSY_ ; -- Begin function _ZN7rocprim17ROCPRIM_400000_NS6detail17trampoline_kernelINS0_13select_configILj256ELj13ELNS0_17block_load_methodE3ELS4_3ELS4_3ELNS0_20block_scan_algorithmE0ELj4294967295EEENS1_25partition_config_selectorILNS1_17partition_subalgoE3EjNS0_10empty_typeEbEEZZNS1_14partition_implILS8_3ELb0ES6_jNS0_17counting_iteratorIjlEEPS9_SE_NS0_5tupleIJPjSE_EEENSF_IJSE_SE_EEES9_SG_JZNS1_25segmented_radix_sort_implINS0_14default_configELb1EPKsPsPKlPlN2at6native12_GLOBAL__N_18offset_tEEE10hipError_tPvRmT1_PNSt15iterator_traitsISY_E10value_typeET2_T3_PNSZ_IS14_E10value_typeET4_jRbjT5_S1A_jjP12ihipStream_tbEUljE_EEESV_SW_SX_S14_S18_S1A_T6_T7_T9_mT8_S1C_bDpT10_ENKUlT_T0_E_clISt17integral_constantIbLb1EES1O_IbLb0EEEEDaS1K_S1L_EUlS1K_E_NS1_11comp_targetILNS1_3genE0ELNS1_11target_archE4294967295ELNS1_3gpuE0ELNS1_3repE0EEENS1_30default_config_static_selectorELNS0_4arch9wavefront6targetE0EEEvSY_
	.p2align	8
	.type	_ZN7rocprim17ROCPRIM_400000_NS6detail17trampoline_kernelINS0_13select_configILj256ELj13ELNS0_17block_load_methodE3ELS4_3ELS4_3ELNS0_20block_scan_algorithmE0ELj4294967295EEENS1_25partition_config_selectorILNS1_17partition_subalgoE3EjNS0_10empty_typeEbEEZZNS1_14partition_implILS8_3ELb0ES6_jNS0_17counting_iteratorIjlEEPS9_SE_NS0_5tupleIJPjSE_EEENSF_IJSE_SE_EEES9_SG_JZNS1_25segmented_radix_sort_implINS0_14default_configELb1EPKsPsPKlPlN2at6native12_GLOBAL__N_18offset_tEEE10hipError_tPvRmT1_PNSt15iterator_traitsISY_E10value_typeET2_T3_PNSZ_IS14_E10value_typeET4_jRbjT5_S1A_jjP12ihipStream_tbEUljE_EEESV_SW_SX_S14_S18_S1A_T6_T7_T9_mT8_S1C_bDpT10_ENKUlT_T0_E_clISt17integral_constantIbLb1EES1O_IbLb0EEEEDaS1K_S1L_EUlS1K_E_NS1_11comp_targetILNS1_3genE0ELNS1_11target_archE4294967295ELNS1_3gpuE0ELNS1_3repE0EEENS1_30default_config_static_selectorELNS0_4arch9wavefront6targetE0EEEvSY_,@function
_ZN7rocprim17ROCPRIM_400000_NS6detail17trampoline_kernelINS0_13select_configILj256ELj13ELNS0_17block_load_methodE3ELS4_3ELS4_3ELNS0_20block_scan_algorithmE0ELj4294967295EEENS1_25partition_config_selectorILNS1_17partition_subalgoE3EjNS0_10empty_typeEbEEZZNS1_14partition_implILS8_3ELb0ES6_jNS0_17counting_iteratorIjlEEPS9_SE_NS0_5tupleIJPjSE_EEENSF_IJSE_SE_EEES9_SG_JZNS1_25segmented_radix_sort_implINS0_14default_configELb1EPKsPsPKlPlN2at6native12_GLOBAL__N_18offset_tEEE10hipError_tPvRmT1_PNSt15iterator_traitsISY_E10value_typeET2_T3_PNSZ_IS14_E10value_typeET4_jRbjT5_S1A_jjP12ihipStream_tbEUljE_EEESV_SW_SX_S14_S18_S1A_T6_T7_T9_mT8_S1C_bDpT10_ENKUlT_T0_E_clISt17integral_constantIbLb1EES1O_IbLb0EEEEDaS1K_S1L_EUlS1K_E_NS1_11comp_targetILNS1_3genE0ELNS1_11target_archE4294967295ELNS1_3gpuE0ELNS1_3repE0EEENS1_30default_config_static_selectorELNS0_4arch9wavefront6targetE0EEEvSY_: ; @_ZN7rocprim17ROCPRIM_400000_NS6detail17trampoline_kernelINS0_13select_configILj256ELj13ELNS0_17block_load_methodE3ELS4_3ELS4_3ELNS0_20block_scan_algorithmE0ELj4294967295EEENS1_25partition_config_selectorILNS1_17partition_subalgoE3EjNS0_10empty_typeEbEEZZNS1_14partition_implILS8_3ELb0ES6_jNS0_17counting_iteratorIjlEEPS9_SE_NS0_5tupleIJPjSE_EEENSF_IJSE_SE_EEES9_SG_JZNS1_25segmented_radix_sort_implINS0_14default_configELb1EPKsPsPKlPlN2at6native12_GLOBAL__N_18offset_tEEE10hipError_tPvRmT1_PNSt15iterator_traitsISY_E10value_typeET2_T3_PNSZ_IS14_E10value_typeET4_jRbjT5_S1A_jjP12ihipStream_tbEUljE_EEESV_SW_SX_S14_S18_S1A_T6_T7_T9_mT8_S1C_bDpT10_ENKUlT_T0_E_clISt17integral_constantIbLb1EES1O_IbLb0EEEEDaS1K_S1L_EUlS1K_E_NS1_11comp_targetILNS1_3genE0ELNS1_11target_archE4294967295ELNS1_3gpuE0ELNS1_3repE0EEENS1_30default_config_static_selectorELNS0_4arch9wavefront6targetE0EEEvSY_
; %bb.0:
	s_endpgm
	.section	.rodata,"a",@progbits
	.p2align	6, 0x0
	.amdhsa_kernel _ZN7rocprim17ROCPRIM_400000_NS6detail17trampoline_kernelINS0_13select_configILj256ELj13ELNS0_17block_load_methodE3ELS4_3ELS4_3ELNS0_20block_scan_algorithmE0ELj4294967295EEENS1_25partition_config_selectorILNS1_17partition_subalgoE3EjNS0_10empty_typeEbEEZZNS1_14partition_implILS8_3ELb0ES6_jNS0_17counting_iteratorIjlEEPS9_SE_NS0_5tupleIJPjSE_EEENSF_IJSE_SE_EEES9_SG_JZNS1_25segmented_radix_sort_implINS0_14default_configELb1EPKsPsPKlPlN2at6native12_GLOBAL__N_18offset_tEEE10hipError_tPvRmT1_PNSt15iterator_traitsISY_E10value_typeET2_T3_PNSZ_IS14_E10value_typeET4_jRbjT5_S1A_jjP12ihipStream_tbEUljE_EEESV_SW_SX_S14_S18_S1A_T6_T7_T9_mT8_S1C_bDpT10_ENKUlT_T0_E_clISt17integral_constantIbLb1EES1O_IbLb0EEEEDaS1K_S1L_EUlS1K_E_NS1_11comp_targetILNS1_3genE0ELNS1_11target_archE4294967295ELNS1_3gpuE0ELNS1_3repE0EEENS1_30default_config_static_selectorELNS0_4arch9wavefront6targetE0EEEvSY_
		.amdhsa_group_segment_fixed_size 0
		.amdhsa_private_segment_fixed_size 0
		.amdhsa_kernarg_size 144
		.amdhsa_user_sgpr_count 2
		.amdhsa_user_sgpr_dispatch_ptr 0
		.amdhsa_user_sgpr_queue_ptr 0
		.amdhsa_user_sgpr_kernarg_segment_ptr 1
		.amdhsa_user_sgpr_dispatch_id 0
		.amdhsa_user_sgpr_kernarg_preload_length 0
		.amdhsa_user_sgpr_kernarg_preload_offset 0
		.amdhsa_user_sgpr_private_segment_size 0
		.amdhsa_wavefront_size32 1
		.amdhsa_uses_dynamic_stack 0
		.amdhsa_enable_private_segment 0
		.amdhsa_system_sgpr_workgroup_id_x 1
		.amdhsa_system_sgpr_workgroup_id_y 0
		.amdhsa_system_sgpr_workgroup_id_z 0
		.amdhsa_system_sgpr_workgroup_info 0
		.amdhsa_system_vgpr_workitem_id 0
		.amdhsa_next_free_vgpr 1
		.amdhsa_next_free_sgpr 1
		.amdhsa_named_barrier_count 0
		.amdhsa_reserve_vcc 0
		.amdhsa_float_round_mode_32 0
		.amdhsa_float_round_mode_16_64 0
		.amdhsa_float_denorm_mode_32 3
		.amdhsa_float_denorm_mode_16_64 3
		.amdhsa_fp16_overflow 0
		.amdhsa_memory_ordered 1
		.amdhsa_forward_progress 1
		.amdhsa_inst_pref_size 1
		.amdhsa_round_robin_scheduling 0
		.amdhsa_exception_fp_ieee_invalid_op 0
		.amdhsa_exception_fp_denorm_src 0
		.amdhsa_exception_fp_ieee_div_zero 0
		.amdhsa_exception_fp_ieee_overflow 0
		.amdhsa_exception_fp_ieee_underflow 0
		.amdhsa_exception_fp_ieee_inexact 0
		.amdhsa_exception_int_div_zero 0
	.end_amdhsa_kernel
	.section	.text._ZN7rocprim17ROCPRIM_400000_NS6detail17trampoline_kernelINS0_13select_configILj256ELj13ELNS0_17block_load_methodE3ELS4_3ELS4_3ELNS0_20block_scan_algorithmE0ELj4294967295EEENS1_25partition_config_selectorILNS1_17partition_subalgoE3EjNS0_10empty_typeEbEEZZNS1_14partition_implILS8_3ELb0ES6_jNS0_17counting_iteratorIjlEEPS9_SE_NS0_5tupleIJPjSE_EEENSF_IJSE_SE_EEES9_SG_JZNS1_25segmented_radix_sort_implINS0_14default_configELb1EPKsPsPKlPlN2at6native12_GLOBAL__N_18offset_tEEE10hipError_tPvRmT1_PNSt15iterator_traitsISY_E10value_typeET2_T3_PNSZ_IS14_E10value_typeET4_jRbjT5_S1A_jjP12ihipStream_tbEUljE_EEESV_SW_SX_S14_S18_S1A_T6_T7_T9_mT8_S1C_bDpT10_ENKUlT_T0_E_clISt17integral_constantIbLb1EES1O_IbLb0EEEEDaS1K_S1L_EUlS1K_E_NS1_11comp_targetILNS1_3genE0ELNS1_11target_archE4294967295ELNS1_3gpuE0ELNS1_3repE0EEENS1_30default_config_static_selectorELNS0_4arch9wavefront6targetE0EEEvSY_,"axG",@progbits,_ZN7rocprim17ROCPRIM_400000_NS6detail17trampoline_kernelINS0_13select_configILj256ELj13ELNS0_17block_load_methodE3ELS4_3ELS4_3ELNS0_20block_scan_algorithmE0ELj4294967295EEENS1_25partition_config_selectorILNS1_17partition_subalgoE3EjNS0_10empty_typeEbEEZZNS1_14partition_implILS8_3ELb0ES6_jNS0_17counting_iteratorIjlEEPS9_SE_NS0_5tupleIJPjSE_EEENSF_IJSE_SE_EEES9_SG_JZNS1_25segmented_radix_sort_implINS0_14default_configELb1EPKsPsPKlPlN2at6native12_GLOBAL__N_18offset_tEEE10hipError_tPvRmT1_PNSt15iterator_traitsISY_E10value_typeET2_T3_PNSZ_IS14_E10value_typeET4_jRbjT5_S1A_jjP12ihipStream_tbEUljE_EEESV_SW_SX_S14_S18_S1A_T6_T7_T9_mT8_S1C_bDpT10_ENKUlT_T0_E_clISt17integral_constantIbLb1EES1O_IbLb0EEEEDaS1K_S1L_EUlS1K_E_NS1_11comp_targetILNS1_3genE0ELNS1_11target_archE4294967295ELNS1_3gpuE0ELNS1_3repE0EEENS1_30default_config_static_selectorELNS0_4arch9wavefront6targetE0EEEvSY_,comdat
.Lfunc_end891:
	.size	_ZN7rocprim17ROCPRIM_400000_NS6detail17trampoline_kernelINS0_13select_configILj256ELj13ELNS0_17block_load_methodE3ELS4_3ELS4_3ELNS0_20block_scan_algorithmE0ELj4294967295EEENS1_25partition_config_selectorILNS1_17partition_subalgoE3EjNS0_10empty_typeEbEEZZNS1_14partition_implILS8_3ELb0ES6_jNS0_17counting_iteratorIjlEEPS9_SE_NS0_5tupleIJPjSE_EEENSF_IJSE_SE_EEES9_SG_JZNS1_25segmented_radix_sort_implINS0_14default_configELb1EPKsPsPKlPlN2at6native12_GLOBAL__N_18offset_tEEE10hipError_tPvRmT1_PNSt15iterator_traitsISY_E10value_typeET2_T3_PNSZ_IS14_E10value_typeET4_jRbjT5_S1A_jjP12ihipStream_tbEUljE_EEESV_SW_SX_S14_S18_S1A_T6_T7_T9_mT8_S1C_bDpT10_ENKUlT_T0_E_clISt17integral_constantIbLb1EES1O_IbLb0EEEEDaS1K_S1L_EUlS1K_E_NS1_11comp_targetILNS1_3genE0ELNS1_11target_archE4294967295ELNS1_3gpuE0ELNS1_3repE0EEENS1_30default_config_static_selectorELNS0_4arch9wavefront6targetE0EEEvSY_, .Lfunc_end891-_ZN7rocprim17ROCPRIM_400000_NS6detail17trampoline_kernelINS0_13select_configILj256ELj13ELNS0_17block_load_methodE3ELS4_3ELS4_3ELNS0_20block_scan_algorithmE0ELj4294967295EEENS1_25partition_config_selectorILNS1_17partition_subalgoE3EjNS0_10empty_typeEbEEZZNS1_14partition_implILS8_3ELb0ES6_jNS0_17counting_iteratorIjlEEPS9_SE_NS0_5tupleIJPjSE_EEENSF_IJSE_SE_EEES9_SG_JZNS1_25segmented_radix_sort_implINS0_14default_configELb1EPKsPsPKlPlN2at6native12_GLOBAL__N_18offset_tEEE10hipError_tPvRmT1_PNSt15iterator_traitsISY_E10value_typeET2_T3_PNSZ_IS14_E10value_typeET4_jRbjT5_S1A_jjP12ihipStream_tbEUljE_EEESV_SW_SX_S14_S18_S1A_T6_T7_T9_mT8_S1C_bDpT10_ENKUlT_T0_E_clISt17integral_constantIbLb1EES1O_IbLb0EEEEDaS1K_S1L_EUlS1K_E_NS1_11comp_targetILNS1_3genE0ELNS1_11target_archE4294967295ELNS1_3gpuE0ELNS1_3repE0EEENS1_30default_config_static_selectorELNS0_4arch9wavefront6targetE0EEEvSY_
                                        ; -- End function
	.set _ZN7rocprim17ROCPRIM_400000_NS6detail17trampoline_kernelINS0_13select_configILj256ELj13ELNS0_17block_load_methodE3ELS4_3ELS4_3ELNS0_20block_scan_algorithmE0ELj4294967295EEENS1_25partition_config_selectorILNS1_17partition_subalgoE3EjNS0_10empty_typeEbEEZZNS1_14partition_implILS8_3ELb0ES6_jNS0_17counting_iteratorIjlEEPS9_SE_NS0_5tupleIJPjSE_EEENSF_IJSE_SE_EEES9_SG_JZNS1_25segmented_radix_sort_implINS0_14default_configELb1EPKsPsPKlPlN2at6native12_GLOBAL__N_18offset_tEEE10hipError_tPvRmT1_PNSt15iterator_traitsISY_E10value_typeET2_T3_PNSZ_IS14_E10value_typeET4_jRbjT5_S1A_jjP12ihipStream_tbEUljE_EEESV_SW_SX_S14_S18_S1A_T6_T7_T9_mT8_S1C_bDpT10_ENKUlT_T0_E_clISt17integral_constantIbLb1EES1O_IbLb0EEEEDaS1K_S1L_EUlS1K_E_NS1_11comp_targetILNS1_3genE0ELNS1_11target_archE4294967295ELNS1_3gpuE0ELNS1_3repE0EEENS1_30default_config_static_selectorELNS0_4arch9wavefront6targetE0EEEvSY_.num_vgpr, 0
	.set _ZN7rocprim17ROCPRIM_400000_NS6detail17trampoline_kernelINS0_13select_configILj256ELj13ELNS0_17block_load_methodE3ELS4_3ELS4_3ELNS0_20block_scan_algorithmE0ELj4294967295EEENS1_25partition_config_selectorILNS1_17partition_subalgoE3EjNS0_10empty_typeEbEEZZNS1_14partition_implILS8_3ELb0ES6_jNS0_17counting_iteratorIjlEEPS9_SE_NS0_5tupleIJPjSE_EEENSF_IJSE_SE_EEES9_SG_JZNS1_25segmented_radix_sort_implINS0_14default_configELb1EPKsPsPKlPlN2at6native12_GLOBAL__N_18offset_tEEE10hipError_tPvRmT1_PNSt15iterator_traitsISY_E10value_typeET2_T3_PNSZ_IS14_E10value_typeET4_jRbjT5_S1A_jjP12ihipStream_tbEUljE_EEESV_SW_SX_S14_S18_S1A_T6_T7_T9_mT8_S1C_bDpT10_ENKUlT_T0_E_clISt17integral_constantIbLb1EES1O_IbLb0EEEEDaS1K_S1L_EUlS1K_E_NS1_11comp_targetILNS1_3genE0ELNS1_11target_archE4294967295ELNS1_3gpuE0ELNS1_3repE0EEENS1_30default_config_static_selectorELNS0_4arch9wavefront6targetE0EEEvSY_.num_agpr, 0
	.set _ZN7rocprim17ROCPRIM_400000_NS6detail17trampoline_kernelINS0_13select_configILj256ELj13ELNS0_17block_load_methodE3ELS4_3ELS4_3ELNS0_20block_scan_algorithmE0ELj4294967295EEENS1_25partition_config_selectorILNS1_17partition_subalgoE3EjNS0_10empty_typeEbEEZZNS1_14partition_implILS8_3ELb0ES6_jNS0_17counting_iteratorIjlEEPS9_SE_NS0_5tupleIJPjSE_EEENSF_IJSE_SE_EEES9_SG_JZNS1_25segmented_radix_sort_implINS0_14default_configELb1EPKsPsPKlPlN2at6native12_GLOBAL__N_18offset_tEEE10hipError_tPvRmT1_PNSt15iterator_traitsISY_E10value_typeET2_T3_PNSZ_IS14_E10value_typeET4_jRbjT5_S1A_jjP12ihipStream_tbEUljE_EEESV_SW_SX_S14_S18_S1A_T6_T7_T9_mT8_S1C_bDpT10_ENKUlT_T0_E_clISt17integral_constantIbLb1EES1O_IbLb0EEEEDaS1K_S1L_EUlS1K_E_NS1_11comp_targetILNS1_3genE0ELNS1_11target_archE4294967295ELNS1_3gpuE0ELNS1_3repE0EEENS1_30default_config_static_selectorELNS0_4arch9wavefront6targetE0EEEvSY_.numbered_sgpr, 0
	.set _ZN7rocprim17ROCPRIM_400000_NS6detail17trampoline_kernelINS0_13select_configILj256ELj13ELNS0_17block_load_methodE3ELS4_3ELS4_3ELNS0_20block_scan_algorithmE0ELj4294967295EEENS1_25partition_config_selectorILNS1_17partition_subalgoE3EjNS0_10empty_typeEbEEZZNS1_14partition_implILS8_3ELb0ES6_jNS0_17counting_iteratorIjlEEPS9_SE_NS0_5tupleIJPjSE_EEENSF_IJSE_SE_EEES9_SG_JZNS1_25segmented_radix_sort_implINS0_14default_configELb1EPKsPsPKlPlN2at6native12_GLOBAL__N_18offset_tEEE10hipError_tPvRmT1_PNSt15iterator_traitsISY_E10value_typeET2_T3_PNSZ_IS14_E10value_typeET4_jRbjT5_S1A_jjP12ihipStream_tbEUljE_EEESV_SW_SX_S14_S18_S1A_T6_T7_T9_mT8_S1C_bDpT10_ENKUlT_T0_E_clISt17integral_constantIbLb1EES1O_IbLb0EEEEDaS1K_S1L_EUlS1K_E_NS1_11comp_targetILNS1_3genE0ELNS1_11target_archE4294967295ELNS1_3gpuE0ELNS1_3repE0EEENS1_30default_config_static_selectorELNS0_4arch9wavefront6targetE0EEEvSY_.num_named_barrier, 0
	.set _ZN7rocprim17ROCPRIM_400000_NS6detail17trampoline_kernelINS0_13select_configILj256ELj13ELNS0_17block_load_methodE3ELS4_3ELS4_3ELNS0_20block_scan_algorithmE0ELj4294967295EEENS1_25partition_config_selectorILNS1_17partition_subalgoE3EjNS0_10empty_typeEbEEZZNS1_14partition_implILS8_3ELb0ES6_jNS0_17counting_iteratorIjlEEPS9_SE_NS0_5tupleIJPjSE_EEENSF_IJSE_SE_EEES9_SG_JZNS1_25segmented_radix_sort_implINS0_14default_configELb1EPKsPsPKlPlN2at6native12_GLOBAL__N_18offset_tEEE10hipError_tPvRmT1_PNSt15iterator_traitsISY_E10value_typeET2_T3_PNSZ_IS14_E10value_typeET4_jRbjT5_S1A_jjP12ihipStream_tbEUljE_EEESV_SW_SX_S14_S18_S1A_T6_T7_T9_mT8_S1C_bDpT10_ENKUlT_T0_E_clISt17integral_constantIbLb1EES1O_IbLb0EEEEDaS1K_S1L_EUlS1K_E_NS1_11comp_targetILNS1_3genE0ELNS1_11target_archE4294967295ELNS1_3gpuE0ELNS1_3repE0EEENS1_30default_config_static_selectorELNS0_4arch9wavefront6targetE0EEEvSY_.private_seg_size, 0
	.set _ZN7rocprim17ROCPRIM_400000_NS6detail17trampoline_kernelINS0_13select_configILj256ELj13ELNS0_17block_load_methodE3ELS4_3ELS4_3ELNS0_20block_scan_algorithmE0ELj4294967295EEENS1_25partition_config_selectorILNS1_17partition_subalgoE3EjNS0_10empty_typeEbEEZZNS1_14partition_implILS8_3ELb0ES6_jNS0_17counting_iteratorIjlEEPS9_SE_NS0_5tupleIJPjSE_EEENSF_IJSE_SE_EEES9_SG_JZNS1_25segmented_radix_sort_implINS0_14default_configELb1EPKsPsPKlPlN2at6native12_GLOBAL__N_18offset_tEEE10hipError_tPvRmT1_PNSt15iterator_traitsISY_E10value_typeET2_T3_PNSZ_IS14_E10value_typeET4_jRbjT5_S1A_jjP12ihipStream_tbEUljE_EEESV_SW_SX_S14_S18_S1A_T6_T7_T9_mT8_S1C_bDpT10_ENKUlT_T0_E_clISt17integral_constantIbLb1EES1O_IbLb0EEEEDaS1K_S1L_EUlS1K_E_NS1_11comp_targetILNS1_3genE0ELNS1_11target_archE4294967295ELNS1_3gpuE0ELNS1_3repE0EEENS1_30default_config_static_selectorELNS0_4arch9wavefront6targetE0EEEvSY_.uses_vcc, 0
	.set _ZN7rocprim17ROCPRIM_400000_NS6detail17trampoline_kernelINS0_13select_configILj256ELj13ELNS0_17block_load_methodE3ELS4_3ELS4_3ELNS0_20block_scan_algorithmE0ELj4294967295EEENS1_25partition_config_selectorILNS1_17partition_subalgoE3EjNS0_10empty_typeEbEEZZNS1_14partition_implILS8_3ELb0ES6_jNS0_17counting_iteratorIjlEEPS9_SE_NS0_5tupleIJPjSE_EEENSF_IJSE_SE_EEES9_SG_JZNS1_25segmented_radix_sort_implINS0_14default_configELb1EPKsPsPKlPlN2at6native12_GLOBAL__N_18offset_tEEE10hipError_tPvRmT1_PNSt15iterator_traitsISY_E10value_typeET2_T3_PNSZ_IS14_E10value_typeET4_jRbjT5_S1A_jjP12ihipStream_tbEUljE_EEESV_SW_SX_S14_S18_S1A_T6_T7_T9_mT8_S1C_bDpT10_ENKUlT_T0_E_clISt17integral_constantIbLb1EES1O_IbLb0EEEEDaS1K_S1L_EUlS1K_E_NS1_11comp_targetILNS1_3genE0ELNS1_11target_archE4294967295ELNS1_3gpuE0ELNS1_3repE0EEENS1_30default_config_static_selectorELNS0_4arch9wavefront6targetE0EEEvSY_.uses_flat_scratch, 0
	.set _ZN7rocprim17ROCPRIM_400000_NS6detail17trampoline_kernelINS0_13select_configILj256ELj13ELNS0_17block_load_methodE3ELS4_3ELS4_3ELNS0_20block_scan_algorithmE0ELj4294967295EEENS1_25partition_config_selectorILNS1_17partition_subalgoE3EjNS0_10empty_typeEbEEZZNS1_14partition_implILS8_3ELb0ES6_jNS0_17counting_iteratorIjlEEPS9_SE_NS0_5tupleIJPjSE_EEENSF_IJSE_SE_EEES9_SG_JZNS1_25segmented_radix_sort_implINS0_14default_configELb1EPKsPsPKlPlN2at6native12_GLOBAL__N_18offset_tEEE10hipError_tPvRmT1_PNSt15iterator_traitsISY_E10value_typeET2_T3_PNSZ_IS14_E10value_typeET4_jRbjT5_S1A_jjP12ihipStream_tbEUljE_EEESV_SW_SX_S14_S18_S1A_T6_T7_T9_mT8_S1C_bDpT10_ENKUlT_T0_E_clISt17integral_constantIbLb1EES1O_IbLb0EEEEDaS1K_S1L_EUlS1K_E_NS1_11comp_targetILNS1_3genE0ELNS1_11target_archE4294967295ELNS1_3gpuE0ELNS1_3repE0EEENS1_30default_config_static_selectorELNS0_4arch9wavefront6targetE0EEEvSY_.has_dyn_sized_stack, 0
	.set _ZN7rocprim17ROCPRIM_400000_NS6detail17trampoline_kernelINS0_13select_configILj256ELj13ELNS0_17block_load_methodE3ELS4_3ELS4_3ELNS0_20block_scan_algorithmE0ELj4294967295EEENS1_25partition_config_selectorILNS1_17partition_subalgoE3EjNS0_10empty_typeEbEEZZNS1_14partition_implILS8_3ELb0ES6_jNS0_17counting_iteratorIjlEEPS9_SE_NS0_5tupleIJPjSE_EEENSF_IJSE_SE_EEES9_SG_JZNS1_25segmented_radix_sort_implINS0_14default_configELb1EPKsPsPKlPlN2at6native12_GLOBAL__N_18offset_tEEE10hipError_tPvRmT1_PNSt15iterator_traitsISY_E10value_typeET2_T3_PNSZ_IS14_E10value_typeET4_jRbjT5_S1A_jjP12ihipStream_tbEUljE_EEESV_SW_SX_S14_S18_S1A_T6_T7_T9_mT8_S1C_bDpT10_ENKUlT_T0_E_clISt17integral_constantIbLb1EES1O_IbLb0EEEEDaS1K_S1L_EUlS1K_E_NS1_11comp_targetILNS1_3genE0ELNS1_11target_archE4294967295ELNS1_3gpuE0ELNS1_3repE0EEENS1_30default_config_static_selectorELNS0_4arch9wavefront6targetE0EEEvSY_.has_recursion, 0
	.set _ZN7rocprim17ROCPRIM_400000_NS6detail17trampoline_kernelINS0_13select_configILj256ELj13ELNS0_17block_load_methodE3ELS4_3ELS4_3ELNS0_20block_scan_algorithmE0ELj4294967295EEENS1_25partition_config_selectorILNS1_17partition_subalgoE3EjNS0_10empty_typeEbEEZZNS1_14partition_implILS8_3ELb0ES6_jNS0_17counting_iteratorIjlEEPS9_SE_NS0_5tupleIJPjSE_EEENSF_IJSE_SE_EEES9_SG_JZNS1_25segmented_radix_sort_implINS0_14default_configELb1EPKsPsPKlPlN2at6native12_GLOBAL__N_18offset_tEEE10hipError_tPvRmT1_PNSt15iterator_traitsISY_E10value_typeET2_T3_PNSZ_IS14_E10value_typeET4_jRbjT5_S1A_jjP12ihipStream_tbEUljE_EEESV_SW_SX_S14_S18_S1A_T6_T7_T9_mT8_S1C_bDpT10_ENKUlT_T0_E_clISt17integral_constantIbLb1EES1O_IbLb0EEEEDaS1K_S1L_EUlS1K_E_NS1_11comp_targetILNS1_3genE0ELNS1_11target_archE4294967295ELNS1_3gpuE0ELNS1_3repE0EEENS1_30default_config_static_selectorELNS0_4arch9wavefront6targetE0EEEvSY_.has_indirect_call, 0
	.section	.AMDGPU.csdata,"",@progbits
; Kernel info:
; codeLenInByte = 4
; TotalNumSgprs: 0
; NumVgprs: 0
; ScratchSize: 0
; MemoryBound: 0
; FloatMode: 240
; IeeeMode: 1
; LDSByteSize: 0 bytes/workgroup (compile time only)
; SGPRBlocks: 0
; VGPRBlocks: 0
; NumSGPRsForWavesPerEU: 1
; NumVGPRsForWavesPerEU: 1
; NamedBarCnt: 0
; Occupancy: 16
; WaveLimiterHint : 0
; COMPUTE_PGM_RSRC2:SCRATCH_EN: 0
; COMPUTE_PGM_RSRC2:USER_SGPR: 2
; COMPUTE_PGM_RSRC2:TRAP_HANDLER: 0
; COMPUTE_PGM_RSRC2:TGID_X_EN: 1
; COMPUTE_PGM_RSRC2:TGID_Y_EN: 0
; COMPUTE_PGM_RSRC2:TGID_Z_EN: 0
; COMPUTE_PGM_RSRC2:TIDIG_COMP_CNT: 0
	.section	.text._ZN7rocprim17ROCPRIM_400000_NS6detail17trampoline_kernelINS0_13select_configILj256ELj13ELNS0_17block_load_methodE3ELS4_3ELS4_3ELNS0_20block_scan_algorithmE0ELj4294967295EEENS1_25partition_config_selectorILNS1_17partition_subalgoE3EjNS0_10empty_typeEbEEZZNS1_14partition_implILS8_3ELb0ES6_jNS0_17counting_iteratorIjlEEPS9_SE_NS0_5tupleIJPjSE_EEENSF_IJSE_SE_EEES9_SG_JZNS1_25segmented_radix_sort_implINS0_14default_configELb1EPKsPsPKlPlN2at6native12_GLOBAL__N_18offset_tEEE10hipError_tPvRmT1_PNSt15iterator_traitsISY_E10value_typeET2_T3_PNSZ_IS14_E10value_typeET4_jRbjT5_S1A_jjP12ihipStream_tbEUljE_EEESV_SW_SX_S14_S18_S1A_T6_T7_T9_mT8_S1C_bDpT10_ENKUlT_T0_E_clISt17integral_constantIbLb1EES1O_IbLb0EEEEDaS1K_S1L_EUlS1K_E_NS1_11comp_targetILNS1_3genE5ELNS1_11target_archE942ELNS1_3gpuE9ELNS1_3repE0EEENS1_30default_config_static_selectorELNS0_4arch9wavefront6targetE0EEEvSY_,"axG",@progbits,_ZN7rocprim17ROCPRIM_400000_NS6detail17trampoline_kernelINS0_13select_configILj256ELj13ELNS0_17block_load_methodE3ELS4_3ELS4_3ELNS0_20block_scan_algorithmE0ELj4294967295EEENS1_25partition_config_selectorILNS1_17partition_subalgoE3EjNS0_10empty_typeEbEEZZNS1_14partition_implILS8_3ELb0ES6_jNS0_17counting_iteratorIjlEEPS9_SE_NS0_5tupleIJPjSE_EEENSF_IJSE_SE_EEES9_SG_JZNS1_25segmented_radix_sort_implINS0_14default_configELb1EPKsPsPKlPlN2at6native12_GLOBAL__N_18offset_tEEE10hipError_tPvRmT1_PNSt15iterator_traitsISY_E10value_typeET2_T3_PNSZ_IS14_E10value_typeET4_jRbjT5_S1A_jjP12ihipStream_tbEUljE_EEESV_SW_SX_S14_S18_S1A_T6_T7_T9_mT8_S1C_bDpT10_ENKUlT_T0_E_clISt17integral_constantIbLb1EES1O_IbLb0EEEEDaS1K_S1L_EUlS1K_E_NS1_11comp_targetILNS1_3genE5ELNS1_11target_archE942ELNS1_3gpuE9ELNS1_3repE0EEENS1_30default_config_static_selectorELNS0_4arch9wavefront6targetE0EEEvSY_,comdat
	.globl	_ZN7rocprim17ROCPRIM_400000_NS6detail17trampoline_kernelINS0_13select_configILj256ELj13ELNS0_17block_load_methodE3ELS4_3ELS4_3ELNS0_20block_scan_algorithmE0ELj4294967295EEENS1_25partition_config_selectorILNS1_17partition_subalgoE3EjNS0_10empty_typeEbEEZZNS1_14partition_implILS8_3ELb0ES6_jNS0_17counting_iteratorIjlEEPS9_SE_NS0_5tupleIJPjSE_EEENSF_IJSE_SE_EEES9_SG_JZNS1_25segmented_radix_sort_implINS0_14default_configELb1EPKsPsPKlPlN2at6native12_GLOBAL__N_18offset_tEEE10hipError_tPvRmT1_PNSt15iterator_traitsISY_E10value_typeET2_T3_PNSZ_IS14_E10value_typeET4_jRbjT5_S1A_jjP12ihipStream_tbEUljE_EEESV_SW_SX_S14_S18_S1A_T6_T7_T9_mT8_S1C_bDpT10_ENKUlT_T0_E_clISt17integral_constantIbLb1EES1O_IbLb0EEEEDaS1K_S1L_EUlS1K_E_NS1_11comp_targetILNS1_3genE5ELNS1_11target_archE942ELNS1_3gpuE9ELNS1_3repE0EEENS1_30default_config_static_selectorELNS0_4arch9wavefront6targetE0EEEvSY_ ; -- Begin function _ZN7rocprim17ROCPRIM_400000_NS6detail17trampoline_kernelINS0_13select_configILj256ELj13ELNS0_17block_load_methodE3ELS4_3ELS4_3ELNS0_20block_scan_algorithmE0ELj4294967295EEENS1_25partition_config_selectorILNS1_17partition_subalgoE3EjNS0_10empty_typeEbEEZZNS1_14partition_implILS8_3ELb0ES6_jNS0_17counting_iteratorIjlEEPS9_SE_NS0_5tupleIJPjSE_EEENSF_IJSE_SE_EEES9_SG_JZNS1_25segmented_radix_sort_implINS0_14default_configELb1EPKsPsPKlPlN2at6native12_GLOBAL__N_18offset_tEEE10hipError_tPvRmT1_PNSt15iterator_traitsISY_E10value_typeET2_T3_PNSZ_IS14_E10value_typeET4_jRbjT5_S1A_jjP12ihipStream_tbEUljE_EEESV_SW_SX_S14_S18_S1A_T6_T7_T9_mT8_S1C_bDpT10_ENKUlT_T0_E_clISt17integral_constantIbLb1EES1O_IbLb0EEEEDaS1K_S1L_EUlS1K_E_NS1_11comp_targetILNS1_3genE5ELNS1_11target_archE942ELNS1_3gpuE9ELNS1_3repE0EEENS1_30default_config_static_selectorELNS0_4arch9wavefront6targetE0EEEvSY_
	.p2align	8
	.type	_ZN7rocprim17ROCPRIM_400000_NS6detail17trampoline_kernelINS0_13select_configILj256ELj13ELNS0_17block_load_methodE3ELS4_3ELS4_3ELNS0_20block_scan_algorithmE0ELj4294967295EEENS1_25partition_config_selectorILNS1_17partition_subalgoE3EjNS0_10empty_typeEbEEZZNS1_14partition_implILS8_3ELb0ES6_jNS0_17counting_iteratorIjlEEPS9_SE_NS0_5tupleIJPjSE_EEENSF_IJSE_SE_EEES9_SG_JZNS1_25segmented_radix_sort_implINS0_14default_configELb1EPKsPsPKlPlN2at6native12_GLOBAL__N_18offset_tEEE10hipError_tPvRmT1_PNSt15iterator_traitsISY_E10value_typeET2_T3_PNSZ_IS14_E10value_typeET4_jRbjT5_S1A_jjP12ihipStream_tbEUljE_EEESV_SW_SX_S14_S18_S1A_T6_T7_T9_mT8_S1C_bDpT10_ENKUlT_T0_E_clISt17integral_constantIbLb1EES1O_IbLb0EEEEDaS1K_S1L_EUlS1K_E_NS1_11comp_targetILNS1_3genE5ELNS1_11target_archE942ELNS1_3gpuE9ELNS1_3repE0EEENS1_30default_config_static_selectorELNS0_4arch9wavefront6targetE0EEEvSY_,@function
_ZN7rocprim17ROCPRIM_400000_NS6detail17trampoline_kernelINS0_13select_configILj256ELj13ELNS0_17block_load_methodE3ELS4_3ELS4_3ELNS0_20block_scan_algorithmE0ELj4294967295EEENS1_25partition_config_selectorILNS1_17partition_subalgoE3EjNS0_10empty_typeEbEEZZNS1_14partition_implILS8_3ELb0ES6_jNS0_17counting_iteratorIjlEEPS9_SE_NS0_5tupleIJPjSE_EEENSF_IJSE_SE_EEES9_SG_JZNS1_25segmented_radix_sort_implINS0_14default_configELb1EPKsPsPKlPlN2at6native12_GLOBAL__N_18offset_tEEE10hipError_tPvRmT1_PNSt15iterator_traitsISY_E10value_typeET2_T3_PNSZ_IS14_E10value_typeET4_jRbjT5_S1A_jjP12ihipStream_tbEUljE_EEESV_SW_SX_S14_S18_S1A_T6_T7_T9_mT8_S1C_bDpT10_ENKUlT_T0_E_clISt17integral_constantIbLb1EES1O_IbLb0EEEEDaS1K_S1L_EUlS1K_E_NS1_11comp_targetILNS1_3genE5ELNS1_11target_archE942ELNS1_3gpuE9ELNS1_3repE0EEENS1_30default_config_static_selectorELNS0_4arch9wavefront6targetE0EEEvSY_: ; @_ZN7rocprim17ROCPRIM_400000_NS6detail17trampoline_kernelINS0_13select_configILj256ELj13ELNS0_17block_load_methodE3ELS4_3ELS4_3ELNS0_20block_scan_algorithmE0ELj4294967295EEENS1_25partition_config_selectorILNS1_17partition_subalgoE3EjNS0_10empty_typeEbEEZZNS1_14partition_implILS8_3ELb0ES6_jNS0_17counting_iteratorIjlEEPS9_SE_NS0_5tupleIJPjSE_EEENSF_IJSE_SE_EEES9_SG_JZNS1_25segmented_radix_sort_implINS0_14default_configELb1EPKsPsPKlPlN2at6native12_GLOBAL__N_18offset_tEEE10hipError_tPvRmT1_PNSt15iterator_traitsISY_E10value_typeET2_T3_PNSZ_IS14_E10value_typeET4_jRbjT5_S1A_jjP12ihipStream_tbEUljE_EEESV_SW_SX_S14_S18_S1A_T6_T7_T9_mT8_S1C_bDpT10_ENKUlT_T0_E_clISt17integral_constantIbLb1EES1O_IbLb0EEEEDaS1K_S1L_EUlS1K_E_NS1_11comp_targetILNS1_3genE5ELNS1_11target_archE942ELNS1_3gpuE9ELNS1_3repE0EEENS1_30default_config_static_selectorELNS0_4arch9wavefront6targetE0EEEvSY_
; %bb.0:
	.section	.rodata,"a",@progbits
	.p2align	6, 0x0
	.amdhsa_kernel _ZN7rocprim17ROCPRIM_400000_NS6detail17trampoline_kernelINS0_13select_configILj256ELj13ELNS0_17block_load_methodE3ELS4_3ELS4_3ELNS0_20block_scan_algorithmE0ELj4294967295EEENS1_25partition_config_selectorILNS1_17partition_subalgoE3EjNS0_10empty_typeEbEEZZNS1_14partition_implILS8_3ELb0ES6_jNS0_17counting_iteratorIjlEEPS9_SE_NS0_5tupleIJPjSE_EEENSF_IJSE_SE_EEES9_SG_JZNS1_25segmented_radix_sort_implINS0_14default_configELb1EPKsPsPKlPlN2at6native12_GLOBAL__N_18offset_tEEE10hipError_tPvRmT1_PNSt15iterator_traitsISY_E10value_typeET2_T3_PNSZ_IS14_E10value_typeET4_jRbjT5_S1A_jjP12ihipStream_tbEUljE_EEESV_SW_SX_S14_S18_S1A_T6_T7_T9_mT8_S1C_bDpT10_ENKUlT_T0_E_clISt17integral_constantIbLb1EES1O_IbLb0EEEEDaS1K_S1L_EUlS1K_E_NS1_11comp_targetILNS1_3genE5ELNS1_11target_archE942ELNS1_3gpuE9ELNS1_3repE0EEENS1_30default_config_static_selectorELNS0_4arch9wavefront6targetE0EEEvSY_
		.amdhsa_group_segment_fixed_size 0
		.amdhsa_private_segment_fixed_size 0
		.amdhsa_kernarg_size 144
		.amdhsa_user_sgpr_count 2
		.amdhsa_user_sgpr_dispatch_ptr 0
		.amdhsa_user_sgpr_queue_ptr 0
		.amdhsa_user_sgpr_kernarg_segment_ptr 1
		.amdhsa_user_sgpr_dispatch_id 0
		.amdhsa_user_sgpr_kernarg_preload_length 0
		.amdhsa_user_sgpr_kernarg_preload_offset 0
		.amdhsa_user_sgpr_private_segment_size 0
		.amdhsa_wavefront_size32 1
		.amdhsa_uses_dynamic_stack 0
		.amdhsa_enable_private_segment 0
		.amdhsa_system_sgpr_workgroup_id_x 1
		.amdhsa_system_sgpr_workgroup_id_y 0
		.amdhsa_system_sgpr_workgroup_id_z 0
		.amdhsa_system_sgpr_workgroup_info 0
		.amdhsa_system_vgpr_workitem_id 0
		.amdhsa_next_free_vgpr 1
		.amdhsa_next_free_sgpr 1
		.amdhsa_named_barrier_count 0
		.amdhsa_reserve_vcc 0
		.amdhsa_float_round_mode_32 0
		.amdhsa_float_round_mode_16_64 0
		.amdhsa_float_denorm_mode_32 3
		.amdhsa_float_denorm_mode_16_64 3
		.amdhsa_fp16_overflow 0
		.amdhsa_memory_ordered 1
		.amdhsa_forward_progress 1
		.amdhsa_inst_pref_size 0
		.amdhsa_round_robin_scheduling 0
		.amdhsa_exception_fp_ieee_invalid_op 0
		.amdhsa_exception_fp_denorm_src 0
		.amdhsa_exception_fp_ieee_div_zero 0
		.amdhsa_exception_fp_ieee_overflow 0
		.amdhsa_exception_fp_ieee_underflow 0
		.amdhsa_exception_fp_ieee_inexact 0
		.amdhsa_exception_int_div_zero 0
	.end_amdhsa_kernel
	.section	.text._ZN7rocprim17ROCPRIM_400000_NS6detail17trampoline_kernelINS0_13select_configILj256ELj13ELNS0_17block_load_methodE3ELS4_3ELS4_3ELNS0_20block_scan_algorithmE0ELj4294967295EEENS1_25partition_config_selectorILNS1_17partition_subalgoE3EjNS0_10empty_typeEbEEZZNS1_14partition_implILS8_3ELb0ES6_jNS0_17counting_iteratorIjlEEPS9_SE_NS0_5tupleIJPjSE_EEENSF_IJSE_SE_EEES9_SG_JZNS1_25segmented_radix_sort_implINS0_14default_configELb1EPKsPsPKlPlN2at6native12_GLOBAL__N_18offset_tEEE10hipError_tPvRmT1_PNSt15iterator_traitsISY_E10value_typeET2_T3_PNSZ_IS14_E10value_typeET4_jRbjT5_S1A_jjP12ihipStream_tbEUljE_EEESV_SW_SX_S14_S18_S1A_T6_T7_T9_mT8_S1C_bDpT10_ENKUlT_T0_E_clISt17integral_constantIbLb1EES1O_IbLb0EEEEDaS1K_S1L_EUlS1K_E_NS1_11comp_targetILNS1_3genE5ELNS1_11target_archE942ELNS1_3gpuE9ELNS1_3repE0EEENS1_30default_config_static_selectorELNS0_4arch9wavefront6targetE0EEEvSY_,"axG",@progbits,_ZN7rocprim17ROCPRIM_400000_NS6detail17trampoline_kernelINS0_13select_configILj256ELj13ELNS0_17block_load_methodE3ELS4_3ELS4_3ELNS0_20block_scan_algorithmE0ELj4294967295EEENS1_25partition_config_selectorILNS1_17partition_subalgoE3EjNS0_10empty_typeEbEEZZNS1_14partition_implILS8_3ELb0ES6_jNS0_17counting_iteratorIjlEEPS9_SE_NS0_5tupleIJPjSE_EEENSF_IJSE_SE_EEES9_SG_JZNS1_25segmented_radix_sort_implINS0_14default_configELb1EPKsPsPKlPlN2at6native12_GLOBAL__N_18offset_tEEE10hipError_tPvRmT1_PNSt15iterator_traitsISY_E10value_typeET2_T3_PNSZ_IS14_E10value_typeET4_jRbjT5_S1A_jjP12ihipStream_tbEUljE_EEESV_SW_SX_S14_S18_S1A_T6_T7_T9_mT8_S1C_bDpT10_ENKUlT_T0_E_clISt17integral_constantIbLb1EES1O_IbLb0EEEEDaS1K_S1L_EUlS1K_E_NS1_11comp_targetILNS1_3genE5ELNS1_11target_archE942ELNS1_3gpuE9ELNS1_3repE0EEENS1_30default_config_static_selectorELNS0_4arch9wavefront6targetE0EEEvSY_,comdat
.Lfunc_end892:
	.size	_ZN7rocprim17ROCPRIM_400000_NS6detail17trampoline_kernelINS0_13select_configILj256ELj13ELNS0_17block_load_methodE3ELS4_3ELS4_3ELNS0_20block_scan_algorithmE0ELj4294967295EEENS1_25partition_config_selectorILNS1_17partition_subalgoE3EjNS0_10empty_typeEbEEZZNS1_14partition_implILS8_3ELb0ES6_jNS0_17counting_iteratorIjlEEPS9_SE_NS0_5tupleIJPjSE_EEENSF_IJSE_SE_EEES9_SG_JZNS1_25segmented_radix_sort_implINS0_14default_configELb1EPKsPsPKlPlN2at6native12_GLOBAL__N_18offset_tEEE10hipError_tPvRmT1_PNSt15iterator_traitsISY_E10value_typeET2_T3_PNSZ_IS14_E10value_typeET4_jRbjT5_S1A_jjP12ihipStream_tbEUljE_EEESV_SW_SX_S14_S18_S1A_T6_T7_T9_mT8_S1C_bDpT10_ENKUlT_T0_E_clISt17integral_constantIbLb1EES1O_IbLb0EEEEDaS1K_S1L_EUlS1K_E_NS1_11comp_targetILNS1_3genE5ELNS1_11target_archE942ELNS1_3gpuE9ELNS1_3repE0EEENS1_30default_config_static_selectorELNS0_4arch9wavefront6targetE0EEEvSY_, .Lfunc_end892-_ZN7rocprim17ROCPRIM_400000_NS6detail17trampoline_kernelINS0_13select_configILj256ELj13ELNS0_17block_load_methodE3ELS4_3ELS4_3ELNS0_20block_scan_algorithmE0ELj4294967295EEENS1_25partition_config_selectorILNS1_17partition_subalgoE3EjNS0_10empty_typeEbEEZZNS1_14partition_implILS8_3ELb0ES6_jNS0_17counting_iteratorIjlEEPS9_SE_NS0_5tupleIJPjSE_EEENSF_IJSE_SE_EEES9_SG_JZNS1_25segmented_radix_sort_implINS0_14default_configELb1EPKsPsPKlPlN2at6native12_GLOBAL__N_18offset_tEEE10hipError_tPvRmT1_PNSt15iterator_traitsISY_E10value_typeET2_T3_PNSZ_IS14_E10value_typeET4_jRbjT5_S1A_jjP12ihipStream_tbEUljE_EEESV_SW_SX_S14_S18_S1A_T6_T7_T9_mT8_S1C_bDpT10_ENKUlT_T0_E_clISt17integral_constantIbLb1EES1O_IbLb0EEEEDaS1K_S1L_EUlS1K_E_NS1_11comp_targetILNS1_3genE5ELNS1_11target_archE942ELNS1_3gpuE9ELNS1_3repE0EEENS1_30default_config_static_selectorELNS0_4arch9wavefront6targetE0EEEvSY_
                                        ; -- End function
	.set _ZN7rocprim17ROCPRIM_400000_NS6detail17trampoline_kernelINS0_13select_configILj256ELj13ELNS0_17block_load_methodE3ELS4_3ELS4_3ELNS0_20block_scan_algorithmE0ELj4294967295EEENS1_25partition_config_selectorILNS1_17partition_subalgoE3EjNS0_10empty_typeEbEEZZNS1_14partition_implILS8_3ELb0ES6_jNS0_17counting_iteratorIjlEEPS9_SE_NS0_5tupleIJPjSE_EEENSF_IJSE_SE_EEES9_SG_JZNS1_25segmented_radix_sort_implINS0_14default_configELb1EPKsPsPKlPlN2at6native12_GLOBAL__N_18offset_tEEE10hipError_tPvRmT1_PNSt15iterator_traitsISY_E10value_typeET2_T3_PNSZ_IS14_E10value_typeET4_jRbjT5_S1A_jjP12ihipStream_tbEUljE_EEESV_SW_SX_S14_S18_S1A_T6_T7_T9_mT8_S1C_bDpT10_ENKUlT_T0_E_clISt17integral_constantIbLb1EES1O_IbLb0EEEEDaS1K_S1L_EUlS1K_E_NS1_11comp_targetILNS1_3genE5ELNS1_11target_archE942ELNS1_3gpuE9ELNS1_3repE0EEENS1_30default_config_static_selectorELNS0_4arch9wavefront6targetE0EEEvSY_.num_vgpr, 0
	.set _ZN7rocprim17ROCPRIM_400000_NS6detail17trampoline_kernelINS0_13select_configILj256ELj13ELNS0_17block_load_methodE3ELS4_3ELS4_3ELNS0_20block_scan_algorithmE0ELj4294967295EEENS1_25partition_config_selectorILNS1_17partition_subalgoE3EjNS0_10empty_typeEbEEZZNS1_14partition_implILS8_3ELb0ES6_jNS0_17counting_iteratorIjlEEPS9_SE_NS0_5tupleIJPjSE_EEENSF_IJSE_SE_EEES9_SG_JZNS1_25segmented_radix_sort_implINS0_14default_configELb1EPKsPsPKlPlN2at6native12_GLOBAL__N_18offset_tEEE10hipError_tPvRmT1_PNSt15iterator_traitsISY_E10value_typeET2_T3_PNSZ_IS14_E10value_typeET4_jRbjT5_S1A_jjP12ihipStream_tbEUljE_EEESV_SW_SX_S14_S18_S1A_T6_T7_T9_mT8_S1C_bDpT10_ENKUlT_T0_E_clISt17integral_constantIbLb1EES1O_IbLb0EEEEDaS1K_S1L_EUlS1K_E_NS1_11comp_targetILNS1_3genE5ELNS1_11target_archE942ELNS1_3gpuE9ELNS1_3repE0EEENS1_30default_config_static_selectorELNS0_4arch9wavefront6targetE0EEEvSY_.num_agpr, 0
	.set _ZN7rocprim17ROCPRIM_400000_NS6detail17trampoline_kernelINS0_13select_configILj256ELj13ELNS0_17block_load_methodE3ELS4_3ELS4_3ELNS0_20block_scan_algorithmE0ELj4294967295EEENS1_25partition_config_selectorILNS1_17partition_subalgoE3EjNS0_10empty_typeEbEEZZNS1_14partition_implILS8_3ELb0ES6_jNS0_17counting_iteratorIjlEEPS9_SE_NS0_5tupleIJPjSE_EEENSF_IJSE_SE_EEES9_SG_JZNS1_25segmented_radix_sort_implINS0_14default_configELb1EPKsPsPKlPlN2at6native12_GLOBAL__N_18offset_tEEE10hipError_tPvRmT1_PNSt15iterator_traitsISY_E10value_typeET2_T3_PNSZ_IS14_E10value_typeET4_jRbjT5_S1A_jjP12ihipStream_tbEUljE_EEESV_SW_SX_S14_S18_S1A_T6_T7_T9_mT8_S1C_bDpT10_ENKUlT_T0_E_clISt17integral_constantIbLb1EES1O_IbLb0EEEEDaS1K_S1L_EUlS1K_E_NS1_11comp_targetILNS1_3genE5ELNS1_11target_archE942ELNS1_3gpuE9ELNS1_3repE0EEENS1_30default_config_static_selectorELNS0_4arch9wavefront6targetE0EEEvSY_.numbered_sgpr, 0
	.set _ZN7rocprim17ROCPRIM_400000_NS6detail17trampoline_kernelINS0_13select_configILj256ELj13ELNS0_17block_load_methodE3ELS4_3ELS4_3ELNS0_20block_scan_algorithmE0ELj4294967295EEENS1_25partition_config_selectorILNS1_17partition_subalgoE3EjNS0_10empty_typeEbEEZZNS1_14partition_implILS8_3ELb0ES6_jNS0_17counting_iteratorIjlEEPS9_SE_NS0_5tupleIJPjSE_EEENSF_IJSE_SE_EEES9_SG_JZNS1_25segmented_radix_sort_implINS0_14default_configELb1EPKsPsPKlPlN2at6native12_GLOBAL__N_18offset_tEEE10hipError_tPvRmT1_PNSt15iterator_traitsISY_E10value_typeET2_T3_PNSZ_IS14_E10value_typeET4_jRbjT5_S1A_jjP12ihipStream_tbEUljE_EEESV_SW_SX_S14_S18_S1A_T6_T7_T9_mT8_S1C_bDpT10_ENKUlT_T0_E_clISt17integral_constantIbLb1EES1O_IbLb0EEEEDaS1K_S1L_EUlS1K_E_NS1_11comp_targetILNS1_3genE5ELNS1_11target_archE942ELNS1_3gpuE9ELNS1_3repE0EEENS1_30default_config_static_selectorELNS0_4arch9wavefront6targetE0EEEvSY_.num_named_barrier, 0
	.set _ZN7rocprim17ROCPRIM_400000_NS6detail17trampoline_kernelINS0_13select_configILj256ELj13ELNS0_17block_load_methodE3ELS4_3ELS4_3ELNS0_20block_scan_algorithmE0ELj4294967295EEENS1_25partition_config_selectorILNS1_17partition_subalgoE3EjNS0_10empty_typeEbEEZZNS1_14partition_implILS8_3ELb0ES6_jNS0_17counting_iteratorIjlEEPS9_SE_NS0_5tupleIJPjSE_EEENSF_IJSE_SE_EEES9_SG_JZNS1_25segmented_radix_sort_implINS0_14default_configELb1EPKsPsPKlPlN2at6native12_GLOBAL__N_18offset_tEEE10hipError_tPvRmT1_PNSt15iterator_traitsISY_E10value_typeET2_T3_PNSZ_IS14_E10value_typeET4_jRbjT5_S1A_jjP12ihipStream_tbEUljE_EEESV_SW_SX_S14_S18_S1A_T6_T7_T9_mT8_S1C_bDpT10_ENKUlT_T0_E_clISt17integral_constantIbLb1EES1O_IbLb0EEEEDaS1K_S1L_EUlS1K_E_NS1_11comp_targetILNS1_3genE5ELNS1_11target_archE942ELNS1_3gpuE9ELNS1_3repE0EEENS1_30default_config_static_selectorELNS0_4arch9wavefront6targetE0EEEvSY_.private_seg_size, 0
	.set _ZN7rocprim17ROCPRIM_400000_NS6detail17trampoline_kernelINS0_13select_configILj256ELj13ELNS0_17block_load_methodE3ELS4_3ELS4_3ELNS0_20block_scan_algorithmE0ELj4294967295EEENS1_25partition_config_selectorILNS1_17partition_subalgoE3EjNS0_10empty_typeEbEEZZNS1_14partition_implILS8_3ELb0ES6_jNS0_17counting_iteratorIjlEEPS9_SE_NS0_5tupleIJPjSE_EEENSF_IJSE_SE_EEES9_SG_JZNS1_25segmented_radix_sort_implINS0_14default_configELb1EPKsPsPKlPlN2at6native12_GLOBAL__N_18offset_tEEE10hipError_tPvRmT1_PNSt15iterator_traitsISY_E10value_typeET2_T3_PNSZ_IS14_E10value_typeET4_jRbjT5_S1A_jjP12ihipStream_tbEUljE_EEESV_SW_SX_S14_S18_S1A_T6_T7_T9_mT8_S1C_bDpT10_ENKUlT_T0_E_clISt17integral_constantIbLb1EES1O_IbLb0EEEEDaS1K_S1L_EUlS1K_E_NS1_11comp_targetILNS1_3genE5ELNS1_11target_archE942ELNS1_3gpuE9ELNS1_3repE0EEENS1_30default_config_static_selectorELNS0_4arch9wavefront6targetE0EEEvSY_.uses_vcc, 0
	.set _ZN7rocprim17ROCPRIM_400000_NS6detail17trampoline_kernelINS0_13select_configILj256ELj13ELNS0_17block_load_methodE3ELS4_3ELS4_3ELNS0_20block_scan_algorithmE0ELj4294967295EEENS1_25partition_config_selectorILNS1_17partition_subalgoE3EjNS0_10empty_typeEbEEZZNS1_14partition_implILS8_3ELb0ES6_jNS0_17counting_iteratorIjlEEPS9_SE_NS0_5tupleIJPjSE_EEENSF_IJSE_SE_EEES9_SG_JZNS1_25segmented_radix_sort_implINS0_14default_configELb1EPKsPsPKlPlN2at6native12_GLOBAL__N_18offset_tEEE10hipError_tPvRmT1_PNSt15iterator_traitsISY_E10value_typeET2_T3_PNSZ_IS14_E10value_typeET4_jRbjT5_S1A_jjP12ihipStream_tbEUljE_EEESV_SW_SX_S14_S18_S1A_T6_T7_T9_mT8_S1C_bDpT10_ENKUlT_T0_E_clISt17integral_constantIbLb1EES1O_IbLb0EEEEDaS1K_S1L_EUlS1K_E_NS1_11comp_targetILNS1_3genE5ELNS1_11target_archE942ELNS1_3gpuE9ELNS1_3repE0EEENS1_30default_config_static_selectorELNS0_4arch9wavefront6targetE0EEEvSY_.uses_flat_scratch, 0
	.set _ZN7rocprim17ROCPRIM_400000_NS6detail17trampoline_kernelINS0_13select_configILj256ELj13ELNS0_17block_load_methodE3ELS4_3ELS4_3ELNS0_20block_scan_algorithmE0ELj4294967295EEENS1_25partition_config_selectorILNS1_17partition_subalgoE3EjNS0_10empty_typeEbEEZZNS1_14partition_implILS8_3ELb0ES6_jNS0_17counting_iteratorIjlEEPS9_SE_NS0_5tupleIJPjSE_EEENSF_IJSE_SE_EEES9_SG_JZNS1_25segmented_radix_sort_implINS0_14default_configELb1EPKsPsPKlPlN2at6native12_GLOBAL__N_18offset_tEEE10hipError_tPvRmT1_PNSt15iterator_traitsISY_E10value_typeET2_T3_PNSZ_IS14_E10value_typeET4_jRbjT5_S1A_jjP12ihipStream_tbEUljE_EEESV_SW_SX_S14_S18_S1A_T6_T7_T9_mT8_S1C_bDpT10_ENKUlT_T0_E_clISt17integral_constantIbLb1EES1O_IbLb0EEEEDaS1K_S1L_EUlS1K_E_NS1_11comp_targetILNS1_3genE5ELNS1_11target_archE942ELNS1_3gpuE9ELNS1_3repE0EEENS1_30default_config_static_selectorELNS0_4arch9wavefront6targetE0EEEvSY_.has_dyn_sized_stack, 0
	.set _ZN7rocprim17ROCPRIM_400000_NS6detail17trampoline_kernelINS0_13select_configILj256ELj13ELNS0_17block_load_methodE3ELS4_3ELS4_3ELNS0_20block_scan_algorithmE0ELj4294967295EEENS1_25partition_config_selectorILNS1_17partition_subalgoE3EjNS0_10empty_typeEbEEZZNS1_14partition_implILS8_3ELb0ES6_jNS0_17counting_iteratorIjlEEPS9_SE_NS0_5tupleIJPjSE_EEENSF_IJSE_SE_EEES9_SG_JZNS1_25segmented_radix_sort_implINS0_14default_configELb1EPKsPsPKlPlN2at6native12_GLOBAL__N_18offset_tEEE10hipError_tPvRmT1_PNSt15iterator_traitsISY_E10value_typeET2_T3_PNSZ_IS14_E10value_typeET4_jRbjT5_S1A_jjP12ihipStream_tbEUljE_EEESV_SW_SX_S14_S18_S1A_T6_T7_T9_mT8_S1C_bDpT10_ENKUlT_T0_E_clISt17integral_constantIbLb1EES1O_IbLb0EEEEDaS1K_S1L_EUlS1K_E_NS1_11comp_targetILNS1_3genE5ELNS1_11target_archE942ELNS1_3gpuE9ELNS1_3repE0EEENS1_30default_config_static_selectorELNS0_4arch9wavefront6targetE0EEEvSY_.has_recursion, 0
	.set _ZN7rocprim17ROCPRIM_400000_NS6detail17trampoline_kernelINS0_13select_configILj256ELj13ELNS0_17block_load_methodE3ELS4_3ELS4_3ELNS0_20block_scan_algorithmE0ELj4294967295EEENS1_25partition_config_selectorILNS1_17partition_subalgoE3EjNS0_10empty_typeEbEEZZNS1_14partition_implILS8_3ELb0ES6_jNS0_17counting_iteratorIjlEEPS9_SE_NS0_5tupleIJPjSE_EEENSF_IJSE_SE_EEES9_SG_JZNS1_25segmented_radix_sort_implINS0_14default_configELb1EPKsPsPKlPlN2at6native12_GLOBAL__N_18offset_tEEE10hipError_tPvRmT1_PNSt15iterator_traitsISY_E10value_typeET2_T3_PNSZ_IS14_E10value_typeET4_jRbjT5_S1A_jjP12ihipStream_tbEUljE_EEESV_SW_SX_S14_S18_S1A_T6_T7_T9_mT8_S1C_bDpT10_ENKUlT_T0_E_clISt17integral_constantIbLb1EES1O_IbLb0EEEEDaS1K_S1L_EUlS1K_E_NS1_11comp_targetILNS1_3genE5ELNS1_11target_archE942ELNS1_3gpuE9ELNS1_3repE0EEENS1_30default_config_static_selectorELNS0_4arch9wavefront6targetE0EEEvSY_.has_indirect_call, 0
	.section	.AMDGPU.csdata,"",@progbits
; Kernel info:
; codeLenInByte = 0
; TotalNumSgprs: 0
; NumVgprs: 0
; ScratchSize: 0
; MemoryBound: 0
; FloatMode: 240
; IeeeMode: 1
; LDSByteSize: 0 bytes/workgroup (compile time only)
; SGPRBlocks: 0
; VGPRBlocks: 0
; NumSGPRsForWavesPerEU: 1
; NumVGPRsForWavesPerEU: 1
; NamedBarCnt: 0
; Occupancy: 16
; WaveLimiterHint : 0
; COMPUTE_PGM_RSRC2:SCRATCH_EN: 0
; COMPUTE_PGM_RSRC2:USER_SGPR: 2
; COMPUTE_PGM_RSRC2:TRAP_HANDLER: 0
; COMPUTE_PGM_RSRC2:TGID_X_EN: 1
; COMPUTE_PGM_RSRC2:TGID_Y_EN: 0
; COMPUTE_PGM_RSRC2:TGID_Z_EN: 0
; COMPUTE_PGM_RSRC2:TIDIG_COMP_CNT: 0
	.section	.text._ZN7rocprim17ROCPRIM_400000_NS6detail17trampoline_kernelINS0_13select_configILj256ELj13ELNS0_17block_load_methodE3ELS4_3ELS4_3ELNS0_20block_scan_algorithmE0ELj4294967295EEENS1_25partition_config_selectorILNS1_17partition_subalgoE3EjNS0_10empty_typeEbEEZZNS1_14partition_implILS8_3ELb0ES6_jNS0_17counting_iteratorIjlEEPS9_SE_NS0_5tupleIJPjSE_EEENSF_IJSE_SE_EEES9_SG_JZNS1_25segmented_radix_sort_implINS0_14default_configELb1EPKsPsPKlPlN2at6native12_GLOBAL__N_18offset_tEEE10hipError_tPvRmT1_PNSt15iterator_traitsISY_E10value_typeET2_T3_PNSZ_IS14_E10value_typeET4_jRbjT5_S1A_jjP12ihipStream_tbEUljE_EEESV_SW_SX_S14_S18_S1A_T6_T7_T9_mT8_S1C_bDpT10_ENKUlT_T0_E_clISt17integral_constantIbLb1EES1O_IbLb0EEEEDaS1K_S1L_EUlS1K_E_NS1_11comp_targetILNS1_3genE4ELNS1_11target_archE910ELNS1_3gpuE8ELNS1_3repE0EEENS1_30default_config_static_selectorELNS0_4arch9wavefront6targetE0EEEvSY_,"axG",@progbits,_ZN7rocprim17ROCPRIM_400000_NS6detail17trampoline_kernelINS0_13select_configILj256ELj13ELNS0_17block_load_methodE3ELS4_3ELS4_3ELNS0_20block_scan_algorithmE0ELj4294967295EEENS1_25partition_config_selectorILNS1_17partition_subalgoE3EjNS0_10empty_typeEbEEZZNS1_14partition_implILS8_3ELb0ES6_jNS0_17counting_iteratorIjlEEPS9_SE_NS0_5tupleIJPjSE_EEENSF_IJSE_SE_EEES9_SG_JZNS1_25segmented_radix_sort_implINS0_14default_configELb1EPKsPsPKlPlN2at6native12_GLOBAL__N_18offset_tEEE10hipError_tPvRmT1_PNSt15iterator_traitsISY_E10value_typeET2_T3_PNSZ_IS14_E10value_typeET4_jRbjT5_S1A_jjP12ihipStream_tbEUljE_EEESV_SW_SX_S14_S18_S1A_T6_T7_T9_mT8_S1C_bDpT10_ENKUlT_T0_E_clISt17integral_constantIbLb1EES1O_IbLb0EEEEDaS1K_S1L_EUlS1K_E_NS1_11comp_targetILNS1_3genE4ELNS1_11target_archE910ELNS1_3gpuE8ELNS1_3repE0EEENS1_30default_config_static_selectorELNS0_4arch9wavefront6targetE0EEEvSY_,comdat
	.globl	_ZN7rocprim17ROCPRIM_400000_NS6detail17trampoline_kernelINS0_13select_configILj256ELj13ELNS0_17block_load_methodE3ELS4_3ELS4_3ELNS0_20block_scan_algorithmE0ELj4294967295EEENS1_25partition_config_selectorILNS1_17partition_subalgoE3EjNS0_10empty_typeEbEEZZNS1_14partition_implILS8_3ELb0ES6_jNS0_17counting_iteratorIjlEEPS9_SE_NS0_5tupleIJPjSE_EEENSF_IJSE_SE_EEES9_SG_JZNS1_25segmented_radix_sort_implINS0_14default_configELb1EPKsPsPKlPlN2at6native12_GLOBAL__N_18offset_tEEE10hipError_tPvRmT1_PNSt15iterator_traitsISY_E10value_typeET2_T3_PNSZ_IS14_E10value_typeET4_jRbjT5_S1A_jjP12ihipStream_tbEUljE_EEESV_SW_SX_S14_S18_S1A_T6_T7_T9_mT8_S1C_bDpT10_ENKUlT_T0_E_clISt17integral_constantIbLb1EES1O_IbLb0EEEEDaS1K_S1L_EUlS1K_E_NS1_11comp_targetILNS1_3genE4ELNS1_11target_archE910ELNS1_3gpuE8ELNS1_3repE0EEENS1_30default_config_static_selectorELNS0_4arch9wavefront6targetE0EEEvSY_ ; -- Begin function _ZN7rocprim17ROCPRIM_400000_NS6detail17trampoline_kernelINS0_13select_configILj256ELj13ELNS0_17block_load_methodE3ELS4_3ELS4_3ELNS0_20block_scan_algorithmE0ELj4294967295EEENS1_25partition_config_selectorILNS1_17partition_subalgoE3EjNS0_10empty_typeEbEEZZNS1_14partition_implILS8_3ELb0ES6_jNS0_17counting_iteratorIjlEEPS9_SE_NS0_5tupleIJPjSE_EEENSF_IJSE_SE_EEES9_SG_JZNS1_25segmented_radix_sort_implINS0_14default_configELb1EPKsPsPKlPlN2at6native12_GLOBAL__N_18offset_tEEE10hipError_tPvRmT1_PNSt15iterator_traitsISY_E10value_typeET2_T3_PNSZ_IS14_E10value_typeET4_jRbjT5_S1A_jjP12ihipStream_tbEUljE_EEESV_SW_SX_S14_S18_S1A_T6_T7_T9_mT8_S1C_bDpT10_ENKUlT_T0_E_clISt17integral_constantIbLb1EES1O_IbLb0EEEEDaS1K_S1L_EUlS1K_E_NS1_11comp_targetILNS1_3genE4ELNS1_11target_archE910ELNS1_3gpuE8ELNS1_3repE0EEENS1_30default_config_static_selectorELNS0_4arch9wavefront6targetE0EEEvSY_
	.p2align	8
	.type	_ZN7rocprim17ROCPRIM_400000_NS6detail17trampoline_kernelINS0_13select_configILj256ELj13ELNS0_17block_load_methodE3ELS4_3ELS4_3ELNS0_20block_scan_algorithmE0ELj4294967295EEENS1_25partition_config_selectorILNS1_17partition_subalgoE3EjNS0_10empty_typeEbEEZZNS1_14partition_implILS8_3ELb0ES6_jNS0_17counting_iteratorIjlEEPS9_SE_NS0_5tupleIJPjSE_EEENSF_IJSE_SE_EEES9_SG_JZNS1_25segmented_radix_sort_implINS0_14default_configELb1EPKsPsPKlPlN2at6native12_GLOBAL__N_18offset_tEEE10hipError_tPvRmT1_PNSt15iterator_traitsISY_E10value_typeET2_T3_PNSZ_IS14_E10value_typeET4_jRbjT5_S1A_jjP12ihipStream_tbEUljE_EEESV_SW_SX_S14_S18_S1A_T6_T7_T9_mT8_S1C_bDpT10_ENKUlT_T0_E_clISt17integral_constantIbLb1EES1O_IbLb0EEEEDaS1K_S1L_EUlS1K_E_NS1_11comp_targetILNS1_3genE4ELNS1_11target_archE910ELNS1_3gpuE8ELNS1_3repE0EEENS1_30default_config_static_selectorELNS0_4arch9wavefront6targetE0EEEvSY_,@function
_ZN7rocprim17ROCPRIM_400000_NS6detail17trampoline_kernelINS0_13select_configILj256ELj13ELNS0_17block_load_methodE3ELS4_3ELS4_3ELNS0_20block_scan_algorithmE0ELj4294967295EEENS1_25partition_config_selectorILNS1_17partition_subalgoE3EjNS0_10empty_typeEbEEZZNS1_14partition_implILS8_3ELb0ES6_jNS0_17counting_iteratorIjlEEPS9_SE_NS0_5tupleIJPjSE_EEENSF_IJSE_SE_EEES9_SG_JZNS1_25segmented_radix_sort_implINS0_14default_configELb1EPKsPsPKlPlN2at6native12_GLOBAL__N_18offset_tEEE10hipError_tPvRmT1_PNSt15iterator_traitsISY_E10value_typeET2_T3_PNSZ_IS14_E10value_typeET4_jRbjT5_S1A_jjP12ihipStream_tbEUljE_EEESV_SW_SX_S14_S18_S1A_T6_T7_T9_mT8_S1C_bDpT10_ENKUlT_T0_E_clISt17integral_constantIbLb1EES1O_IbLb0EEEEDaS1K_S1L_EUlS1K_E_NS1_11comp_targetILNS1_3genE4ELNS1_11target_archE910ELNS1_3gpuE8ELNS1_3repE0EEENS1_30default_config_static_selectorELNS0_4arch9wavefront6targetE0EEEvSY_: ; @_ZN7rocprim17ROCPRIM_400000_NS6detail17trampoline_kernelINS0_13select_configILj256ELj13ELNS0_17block_load_methodE3ELS4_3ELS4_3ELNS0_20block_scan_algorithmE0ELj4294967295EEENS1_25partition_config_selectorILNS1_17partition_subalgoE3EjNS0_10empty_typeEbEEZZNS1_14partition_implILS8_3ELb0ES6_jNS0_17counting_iteratorIjlEEPS9_SE_NS0_5tupleIJPjSE_EEENSF_IJSE_SE_EEES9_SG_JZNS1_25segmented_radix_sort_implINS0_14default_configELb1EPKsPsPKlPlN2at6native12_GLOBAL__N_18offset_tEEE10hipError_tPvRmT1_PNSt15iterator_traitsISY_E10value_typeET2_T3_PNSZ_IS14_E10value_typeET4_jRbjT5_S1A_jjP12ihipStream_tbEUljE_EEESV_SW_SX_S14_S18_S1A_T6_T7_T9_mT8_S1C_bDpT10_ENKUlT_T0_E_clISt17integral_constantIbLb1EES1O_IbLb0EEEEDaS1K_S1L_EUlS1K_E_NS1_11comp_targetILNS1_3genE4ELNS1_11target_archE910ELNS1_3gpuE8ELNS1_3repE0EEENS1_30default_config_static_selectorELNS0_4arch9wavefront6targetE0EEEvSY_
; %bb.0:
	.section	.rodata,"a",@progbits
	.p2align	6, 0x0
	.amdhsa_kernel _ZN7rocprim17ROCPRIM_400000_NS6detail17trampoline_kernelINS0_13select_configILj256ELj13ELNS0_17block_load_methodE3ELS4_3ELS4_3ELNS0_20block_scan_algorithmE0ELj4294967295EEENS1_25partition_config_selectorILNS1_17partition_subalgoE3EjNS0_10empty_typeEbEEZZNS1_14partition_implILS8_3ELb0ES6_jNS0_17counting_iteratorIjlEEPS9_SE_NS0_5tupleIJPjSE_EEENSF_IJSE_SE_EEES9_SG_JZNS1_25segmented_radix_sort_implINS0_14default_configELb1EPKsPsPKlPlN2at6native12_GLOBAL__N_18offset_tEEE10hipError_tPvRmT1_PNSt15iterator_traitsISY_E10value_typeET2_T3_PNSZ_IS14_E10value_typeET4_jRbjT5_S1A_jjP12ihipStream_tbEUljE_EEESV_SW_SX_S14_S18_S1A_T6_T7_T9_mT8_S1C_bDpT10_ENKUlT_T0_E_clISt17integral_constantIbLb1EES1O_IbLb0EEEEDaS1K_S1L_EUlS1K_E_NS1_11comp_targetILNS1_3genE4ELNS1_11target_archE910ELNS1_3gpuE8ELNS1_3repE0EEENS1_30default_config_static_selectorELNS0_4arch9wavefront6targetE0EEEvSY_
		.amdhsa_group_segment_fixed_size 0
		.amdhsa_private_segment_fixed_size 0
		.amdhsa_kernarg_size 144
		.amdhsa_user_sgpr_count 2
		.amdhsa_user_sgpr_dispatch_ptr 0
		.amdhsa_user_sgpr_queue_ptr 0
		.amdhsa_user_sgpr_kernarg_segment_ptr 1
		.amdhsa_user_sgpr_dispatch_id 0
		.amdhsa_user_sgpr_kernarg_preload_length 0
		.amdhsa_user_sgpr_kernarg_preload_offset 0
		.amdhsa_user_sgpr_private_segment_size 0
		.amdhsa_wavefront_size32 1
		.amdhsa_uses_dynamic_stack 0
		.amdhsa_enable_private_segment 0
		.amdhsa_system_sgpr_workgroup_id_x 1
		.amdhsa_system_sgpr_workgroup_id_y 0
		.amdhsa_system_sgpr_workgroup_id_z 0
		.amdhsa_system_sgpr_workgroup_info 0
		.amdhsa_system_vgpr_workitem_id 0
		.amdhsa_next_free_vgpr 1
		.amdhsa_next_free_sgpr 1
		.amdhsa_named_barrier_count 0
		.amdhsa_reserve_vcc 0
		.amdhsa_float_round_mode_32 0
		.amdhsa_float_round_mode_16_64 0
		.amdhsa_float_denorm_mode_32 3
		.amdhsa_float_denorm_mode_16_64 3
		.amdhsa_fp16_overflow 0
		.amdhsa_memory_ordered 1
		.amdhsa_forward_progress 1
		.amdhsa_inst_pref_size 0
		.amdhsa_round_robin_scheduling 0
		.amdhsa_exception_fp_ieee_invalid_op 0
		.amdhsa_exception_fp_denorm_src 0
		.amdhsa_exception_fp_ieee_div_zero 0
		.amdhsa_exception_fp_ieee_overflow 0
		.amdhsa_exception_fp_ieee_underflow 0
		.amdhsa_exception_fp_ieee_inexact 0
		.amdhsa_exception_int_div_zero 0
	.end_amdhsa_kernel
	.section	.text._ZN7rocprim17ROCPRIM_400000_NS6detail17trampoline_kernelINS0_13select_configILj256ELj13ELNS0_17block_load_methodE3ELS4_3ELS4_3ELNS0_20block_scan_algorithmE0ELj4294967295EEENS1_25partition_config_selectorILNS1_17partition_subalgoE3EjNS0_10empty_typeEbEEZZNS1_14partition_implILS8_3ELb0ES6_jNS0_17counting_iteratorIjlEEPS9_SE_NS0_5tupleIJPjSE_EEENSF_IJSE_SE_EEES9_SG_JZNS1_25segmented_radix_sort_implINS0_14default_configELb1EPKsPsPKlPlN2at6native12_GLOBAL__N_18offset_tEEE10hipError_tPvRmT1_PNSt15iterator_traitsISY_E10value_typeET2_T3_PNSZ_IS14_E10value_typeET4_jRbjT5_S1A_jjP12ihipStream_tbEUljE_EEESV_SW_SX_S14_S18_S1A_T6_T7_T9_mT8_S1C_bDpT10_ENKUlT_T0_E_clISt17integral_constantIbLb1EES1O_IbLb0EEEEDaS1K_S1L_EUlS1K_E_NS1_11comp_targetILNS1_3genE4ELNS1_11target_archE910ELNS1_3gpuE8ELNS1_3repE0EEENS1_30default_config_static_selectorELNS0_4arch9wavefront6targetE0EEEvSY_,"axG",@progbits,_ZN7rocprim17ROCPRIM_400000_NS6detail17trampoline_kernelINS0_13select_configILj256ELj13ELNS0_17block_load_methodE3ELS4_3ELS4_3ELNS0_20block_scan_algorithmE0ELj4294967295EEENS1_25partition_config_selectorILNS1_17partition_subalgoE3EjNS0_10empty_typeEbEEZZNS1_14partition_implILS8_3ELb0ES6_jNS0_17counting_iteratorIjlEEPS9_SE_NS0_5tupleIJPjSE_EEENSF_IJSE_SE_EEES9_SG_JZNS1_25segmented_radix_sort_implINS0_14default_configELb1EPKsPsPKlPlN2at6native12_GLOBAL__N_18offset_tEEE10hipError_tPvRmT1_PNSt15iterator_traitsISY_E10value_typeET2_T3_PNSZ_IS14_E10value_typeET4_jRbjT5_S1A_jjP12ihipStream_tbEUljE_EEESV_SW_SX_S14_S18_S1A_T6_T7_T9_mT8_S1C_bDpT10_ENKUlT_T0_E_clISt17integral_constantIbLb1EES1O_IbLb0EEEEDaS1K_S1L_EUlS1K_E_NS1_11comp_targetILNS1_3genE4ELNS1_11target_archE910ELNS1_3gpuE8ELNS1_3repE0EEENS1_30default_config_static_selectorELNS0_4arch9wavefront6targetE0EEEvSY_,comdat
.Lfunc_end893:
	.size	_ZN7rocprim17ROCPRIM_400000_NS6detail17trampoline_kernelINS0_13select_configILj256ELj13ELNS0_17block_load_methodE3ELS4_3ELS4_3ELNS0_20block_scan_algorithmE0ELj4294967295EEENS1_25partition_config_selectorILNS1_17partition_subalgoE3EjNS0_10empty_typeEbEEZZNS1_14partition_implILS8_3ELb0ES6_jNS0_17counting_iteratorIjlEEPS9_SE_NS0_5tupleIJPjSE_EEENSF_IJSE_SE_EEES9_SG_JZNS1_25segmented_radix_sort_implINS0_14default_configELb1EPKsPsPKlPlN2at6native12_GLOBAL__N_18offset_tEEE10hipError_tPvRmT1_PNSt15iterator_traitsISY_E10value_typeET2_T3_PNSZ_IS14_E10value_typeET4_jRbjT5_S1A_jjP12ihipStream_tbEUljE_EEESV_SW_SX_S14_S18_S1A_T6_T7_T9_mT8_S1C_bDpT10_ENKUlT_T0_E_clISt17integral_constantIbLb1EES1O_IbLb0EEEEDaS1K_S1L_EUlS1K_E_NS1_11comp_targetILNS1_3genE4ELNS1_11target_archE910ELNS1_3gpuE8ELNS1_3repE0EEENS1_30default_config_static_selectorELNS0_4arch9wavefront6targetE0EEEvSY_, .Lfunc_end893-_ZN7rocprim17ROCPRIM_400000_NS6detail17trampoline_kernelINS0_13select_configILj256ELj13ELNS0_17block_load_methodE3ELS4_3ELS4_3ELNS0_20block_scan_algorithmE0ELj4294967295EEENS1_25partition_config_selectorILNS1_17partition_subalgoE3EjNS0_10empty_typeEbEEZZNS1_14partition_implILS8_3ELb0ES6_jNS0_17counting_iteratorIjlEEPS9_SE_NS0_5tupleIJPjSE_EEENSF_IJSE_SE_EEES9_SG_JZNS1_25segmented_radix_sort_implINS0_14default_configELb1EPKsPsPKlPlN2at6native12_GLOBAL__N_18offset_tEEE10hipError_tPvRmT1_PNSt15iterator_traitsISY_E10value_typeET2_T3_PNSZ_IS14_E10value_typeET4_jRbjT5_S1A_jjP12ihipStream_tbEUljE_EEESV_SW_SX_S14_S18_S1A_T6_T7_T9_mT8_S1C_bDpT10_ENKUlT_T0_E_clISt17integral_constantIbLb1EES1O_IbLb0EEEEDaS1K_S1L_EUlS1K_E_NS1_11comp_targetILNS1_3genE4ELNS1_11target_archE910ELNS1_3gpuE8ELNS1_3repE0EEENS1_30default_config_static_selectorELNS0_4arch9wavefront6targetE0EEEvSY_
                                        ; -- End function
	.set _ZN7rocprim17ROCPRIM_400000_NS6detail17trampoline_kernelINS0_13select_configILj256ELj13ELNS0_17block_load_methodE3ELS4_3ELS4_3ELNS0_20block_scan_algorithmE0ELj4294967295EEENS1_25partition_config_selectorILNS1_17partition_subalgoE3EjNS0_10empty_typeEbEEZZNS1_14partition_implILS8_3ELb0ES6_jNS0_17counting_iteratorIjlEEPS9_SE_NS0_5tupleIJPjSE_EEENSF_IJSE_SE_EEES9_SG_JZNS1_25segmented_radix_sort_implINS0_14default_configELb1EPKsPsPKlPlN2at6native12_GLOBAL__N_18offset_tEEE10hipError_tPvRmT1_PNSt15iterator_traitsISY_E10value_typeET2_T3_PNSZ_IS14_E10value_typeET4_jRbjT5_S1A_jjP12ihipStream_tbEUljE_EEESV_SW_SX_S14_S18_S1A_T6_T7_T9_mT8_S1C_bDpT10_ENKUlT_T0_E_clISt17integral_constantIbLb1EES1O_IbLb0EEEEDaS1K_S1L_EUlS1K_E_NS1_11comp_targetILNS1_3genE4ELNS1_11target_archE910ELNS1_3gpuE8ELNS1_3repE0EEENS1_30default_config_static_selectorELNS0_4arch9wavefront6targetE0EEEvSY_.num_vgpr, 0
	.set _ZN7rocprim17ROCPRIM_400000_NS6detail17trampoline_kernelINS0_13select_configILj256ELj13ELNS0_17block_load_methodE3ELS4_3ELS4_3ELNS0_20block_scan_algorithmE0ELj4294967295EEENS1_25partition_config_selectorILNS1_17partition_subalgoE3EjNS0_10empty_typeEbEEZZNS1_14partition_implILS8_3ELb0ES6_jNS0_17counting_iteratorIjlEEPS9_SE_NS0_5tupleIJPjSE_EEENSF_IJSE_SE_EEES9_SG_JZNS1_25segmented_radix_sort_implINS0_14default_configELb1EPKsPsPKlPlN2at6native12_GLOBAL__N_18offset_tEEE10hipError_tPvRmT1_PNSt15iterator_traitsISY_E10value_typeET2_T3_PNSZ_IS14_E10value_typeET4_jRbjT5_S1A_jjP12ihipStream_tbEUljE_EEESV_SW_SX_S14_S18_S1A_T6_T7_T9_mT8_S1C_bDpT10_ENKUlT_T0_E_clISt17integral_constantIbLb1EES1O_IbLb0EEEEDaS1K_S1L_EUlS1K_E_NS1_11comp_targetILNS1_3genE4ELNS1_11target_archE910ELNS1_3gpuE8ELNS1_3repE0EEENS1_30default_config_static_selectorELNS0_4arch9wavefront6targetE0EEEvSY_.num_agpr, 0
	.set _ZN7rocprim17ROCPRIM_400000_NS6detail17trampoline_kernelINS0_13select_configILj256ELj13ELNS0_17block_load_methodE3ELS4_3ELS4_3ELNS0_20block_scan_algorithmE0ELj4294967295EEENS1_25partition_config_selectorILNS1_17partition_subalgoE3EjNS0_10empty_typeEbEEZZNS1_14partition_implILS8_3ELb0ES6_jNS0_17counting_iteratorIjlEEPS9_SE_NS0_5tupleIJPjSE_EEENSF_IJSE_SE_EEES9_SG_JZNS1_25segmented_radix_sort_implINS0_14default_configELb1EPKsPsPKlPlN2at6native12_GLOBAL__N_18offset_tEEE10hipError_tPvRmT1_PNSt15iterator_traitsISY_E10value_typeET2_T3_PNSZ_IS14_E10value_typeET4_jRbjT5_S1A_jjP12ihipStream_tbEUljE_EEESV_SW_SX_S14_S18_S1A_T6_T7_T9_mT8_S1C_bDpT10_ENKUlT_T0_E_clISt17integral_constantIbLb1EES1O_IbLb0EEEEDaS1K_S1L_EUlS1K_E_NS1_11comp_targetILNS1_3genE4ELNS1_11target_archE910ELNS1_3gpuE8ELNS1_3repE0EEENS1_30default_config_static_selectorELNS0_4arch9wavefront6targetE0EEEvSY_.numbered_sgpr, 0
	.set _ZN7rocprim17ROCPRIM_400000_NS6detail17trampoline_kernelINS0_13select_configILj256ELj13ELNS0_17block_load_methodE3ELS4_3ELS4_3ELNS0_20block_scan_algorithmE0ELj4294967295EEENS1_25partition_config_selectorILNS1_17partition_subalgoE3EjNS0_10empty_typeEbEEZZNS1_14partition_implILS8_3ELb0ES6_jNS0_17counting_iteratorIjlEEPS9_SE_NS0_5tupleIJPjSE_EEENSF_IJSE_SE_EEES9_SG_JZNS1_25segmented_radix_sort_implINS0_14default_configELb1EPKsPsPKlPlN2at6native12_GLOBAL__N_18offset_tEEE10hipError_tPvRmT1_PNSt15iterator_traitsISY_E10value_typeET2_T3_PNSZ_IS14_E10value_typeET4_jRbjT5_S1A_jjP12ihipStream_tbEUljE_EEESV_SW_SX_S14_S18_S1A_T6_T7_T9_mT8_S1C_bDpT10_ENKUlT_T0_E_clISt17integral_constantIbLb1EES1O_IbLb0EEEEDaS1K_S1L_EUlS1K_E_NS1_11comp_targetILNS1_3genE4ELNS1_11target_archE910ELNS1_3gpuE8ELNS1_3repE0EEENS1_30default_config_static_selectorELNS0_4arch9wavefront6targetE0EEEvSY_.num_named_barrier, 0
	.set _ZN7rocprim17ROCPRIM_400000_NS6detail17trampoline_kernelINS0_13select_configILj256ELj13ELNS0_17block_load_methodE3ELS4_3ELS4_3ELNS0_20block_scan_algorithmE0ELj4294967295EEENS1_25partition_config_selectorILNS1_17partition_subalgoE3EjNS0_10empty_typeEbEEZZNS1_14partition_implILS8_3ELb0ES6_jNS0_17counting_iteratorIjlEEPS9_SE_NS0_5tupleIJPjSE_EEENSF_IJSE_SE_EEES9_SG_JZNS1_25segmented_radix_sort_implINS0_14default_configELb1EPKsPsPKlPlN2at6native12_GLOBAL__N_18offset_tEEE10hipError_tPvRmT1_PNSt15iterator_traitsISY_E10value_typeET2_T3_PNSZ_IS14_E10value_typeET4_jRbjT5_S1A_jjP12ihipStream_tbEUljE_EEESV_SW_SX_S14_S18_S1A_T6_T7_T9_mT8_S1C_bDpT10_ENKUlT_T0_E_clISt17integral_constantIbLb1EES1O_IbLb0EEEEDaS1K_S1L_EUlS1K_E_NS1_11comp_targetILNS1_3genE4ELNS1_11target_archE910ELNS1_3gpuE8ELNS1_3repE0EEENS1_30default_config_static_selectorELNS0_4arch9wavefront6targetE0EEEvSY_.private_seg_size, 0
	.set _ZN7rocprim17ROCPRIM_400000_NS6detail17trampoline_kernelINS0_13select_configILj256ELj13ELNS0_17block_load_methodE3ELS4_3ELS4_3ELNS0_20block_scan_algorithmE0ELj4294967295EEENS1_25partition_config_selectorILNS1_17partition_subalgoE3EjNS0_10empty_typeEbEEZZNS1_14partition_implILS8_3ELb0ES6_jNS0_17counting_iteratorIjlEEPS9_SE_NS0_5tupleIJPjSE_EEENSF_IJSE_SE_EEES9_SG_JZNS1_25segmented_radix_sort_implINS0_14default_configELb1EPKsPsPKlPlN2at6native12_GLOBAL__N_18offset_tEEE10hipError_tPvRmT1_PNSt15iterator_traitsISY_E10value_typeET2_T3_PNSZ_IS14_E10value_typeET4_jRbjT5_S1A_jjP12ihipStream_tbEUljE_EEESV_SW_SX_S14_S18_S1A_T6_T7_T9_mT8_S1C_bDpT10_ENKUlT_T0_E_clISt17integral_constantIbLb1EES1O_IbLb0EEEEDaS1K_S1L_EUlS1K_E_NS1_11comp_targetILNS1_3genE4ELNS1_11target_archE910ELNS1_3gpuE8ELNS1_3repE0EEENS1_30default_config_static_selectorELNS0_4arch9wavefront6targetE0EEEvSY_.uses_vcc, 0
	.set _ZN7rocprim17ROCPRIM_400000_NS6detail17trampoline_kernelINS0_13select_configILj256ELj13ELNS0_17block_load_methodE3ELS4_3ELS4_3ELNS0_20block_scan_algorithmE0ELj4294967295EEENS1_25partition_config_selectorILNS1_17partition_subalgoE3EjNS0_10empty_typeEbEEZZNS1_14partition_implILS8_3ELb0ES6_jNS0_17counting_iteratorIjlEEPS9_SE_NS0_5tupleIJPjSE_EEENSF_IJSE_SE_EEES9_SG_JZNS1_25segmented_radix_sort_implINS0_14default_configELb1EPKsPsPKlPlN2at6native12_GLOBAL__N_18offset_tEEE10hipError_tPvRmT1_PNSt15iterator_traitsISY_E10value_typeET2_T3_PNSZ_IS14_E10value_typeET4_jRbjT5_S1A_jjP12ihipStream_tbEUljE_EEESV_SW_SX_S14_S18_S1A_T6_T7_T9_mT8_S1C_bDpT10_ENKUlT_T0_E_clISt17integral_constantIbLb1EES1O_IbLb0EEEEDaS1K_S1L_EUlS1K_E_NS1_11comp_targetILNS1_3genE4ELNS1_11target_archE910ELNS1_3gpuE8ELNS1_3repE0EEENS1_30default_config_static_selectorELNS0_4arch9wavefront6targetE0EEEvSY_.uses_flat_scratch, 0
	.set _ZN7rocprim17ROCPRIM_400000_NS6detail17trampoline_kernelINS0_13select_configILj256ELj13ELNS0_17block_load_methodE3ELS4_3ELS4_3ELNS0_20block_scan_algorithmE0ELj4294967295EEENS1_25partition_config_selectorILNS1_17partition_subalgoE3EjNS0_10empty_typeEbEEZZNS1_14partition_implILS8_3ELb0ES6_jNS0_17counting_iteratorIjlEEPS9_SE_NS0_5tupleIJPjSE_EEENSF_IJSE_SE_EEES9_SG_JZNS1_25segmented_radix_sort_implINS0_14default_configELb1EPKsPsPKlPlN2at6native12_GLOBAL__N_18offset_tEEE10hipError_tPvRmT1_PNSt15iterator_traitsISY_E10value_typeET2_T3_PNSZ_IS14_E10value_typeET4_jRbjT5_S1A_jjP12ihipStream_tbEUljE_EEESV_SW_SX_S14_S18_S1A_T6_T7_T9_mT8_S1C_bDpT10_ENKUlT_T0_E_clISt17integral_constantIbLb1EES1O_IbLb0EEEEDaS1K_S1L_EUlS1K_E_NS1_11comp_targetILNS1_3genE4ELNS1_11target_archE910ELNS1_3gpuE8ELNS1_3repE0EEENS1_30default_config_static_selectorELNS0_4arch9wavefront6targetE0EEEvSY_.has_dyn_sized_stack, 0
	.set _ZN7rocprim17ROCPRIM_400000_NS6detail17trampoline_kernelINS0_13select_configILj256ELj13ELNS0_17block_load_methodE3ELS4_3ELS4_3ELNS0_20block_scan_algorithmE0ELj4294967295EEENS1_25partition_config_selectorILNS1_17partition_subalgoE3EjNS0_10empty_typeEbEEZZNS1_14partition_implILS8_3ELb0ES6_jNS0_17counting_iteratorIjlEEPS9_SE_NS0_5tupleIJPjSE_EEENSF_IJSE_SE_EEES9_SG_JZNS1_25segmented_radix_sort_implINS0_14default_configELb1EPKsPsPKlPlN2at6native12_GLOBAL__N_18offset_tEEE10hipError_tPvRmT1_PNSt15iterator_traitsISY_E10value_typeET2_T3_PNSZ_IS14_E10value_typeET4_jRbjT5_S1A_jjP12ihipStream_tbEUljE_EEESV_SW_SX_S14_S18_S1A_T6_T7_T9_mT8_S1C_bDpT10_ENKUlT_T0_E_clISt17integral_constantIbLb1EES1O_IbLb0EEEEDaS1K_S1L_EUlS1K_E_NS1_11comp_targetILNS1_3genE4ELNS1_11target_archE910ELNS1_3gpuE8ELNS1_3repE0EEENS1_30default_config_static_selectorELNS0_4arch9wavefront6targetE0EEEvSY_.has_recursion, 0
	.set _ZN7rocprim17ROCPRIM_400000_NS6detail17trampoline_kernelINS0_13select_configILj256ELj13ELNS0_17block_load_methodE3ELS4_3ELS4_3ELNS0_20block_scan_algorithmE0ELj4294967295EEENS1_25partition_config_selectorILNS1_17partition_subalgoE3EjNS0_10empty_typeEbEEZZNS1_14partition_implILS8_3ELb0ES6_jNS0_17counting_iteratorIjlEEPS9_SE_NS0_5tupleIJPjSE_EEENSF_IJSE_SE_EEES9_SG_JZNS1_25segmented_radix_sort_implINS0_14default_configELb1EPKsPsPKlPlN2at6native12_GLOBAL__N_18offset_tEEE10hipError_tPvRmT1_PNSt15iterator_traitsISY_E10value_typeET2_T3_PNSZ_IS14_E10value_typeET4_jRbjT5_S1A_jjP12ihipStream_tbEUljE_EEESV_SW_SX_S14_S18_S1A_T6_T7_T9_mT8_S1C_bDpT10_ENKUlT_T0_E_clISt17integral_constantIbLb1EES1O_IbLb0EEEEDaS1K_S1L_EUlS1K_E_NS1_11comp_targetILNS1_3genE4ELNS1_11target_archE910ELNS1_3gpuE8ELNS1_3repE0EEENS1_30default_config_static_selectorELNS0_4arch9wavefront6targetE0EEEvSY_.has_indirect_call, 0
	.section	.AMDGPU.csdata,"",@progbits
; Kernel info:
; codeLenInByte = 0
; TotalNumSgprs: 0
; NumVgprs: 0
; ScratchSize: 0
; MemoryBound: 0
; FloatMode: 240
; IeeeMode: 1
; LDSByteSize: 0 bytes/workgroup (compile time only)
; SGPRBlocks: 0
; VGPRBlocks: 0
; NumSGPRsForWavesPerEU: 1
; NumVGPRsForWavesPerEU: 1
; NamedBarCnt: 0
; Occupancy: 16
; WaveLimiterHint : 0
; COMPUTE_PGM_RSRC2:SCRATCH_EN: 0
; COMPUTE_PGM_RSRC2:USER_SGPR: 2
; COMPUTE_PGM_RSRC2:TRAP_HANDLER: 0
; COMPUTE_PGM_RSRC2:TGID_X_EN: 1
; COMPUTE_PGM_RSRC2:TGID_Y_EN: 0
; COMPUTE_PGM_RSRC2:TGID_Z_EN: 0
; COMPUTE_PGM_RSRC2:TIDIG_COMP_CNT: 0
	.section	.text._ZN7rocprim17ROCPRIM_400000_NS6detail17trampoline_kernelINS0_13select_configILj256ELj13ELNS0_17block_load_methodE3ELS4_3ELS4_3ELNS0_20block_scan_algorithmE0ELj4294967295EEENS1_25partition_config_selectorILNS1_17partition_subalgoE3EjNS0_10empty_typeEbEEZZNS1_14partition_implILS8_3ELb0ES6_jNS0_17counting_iteratorIjlEEPS9_SE_NS0_5tupleIJPjSE_EEENSF_IJSE_SE_EEES9_SG_JZNS1_25segmented_radix_sort_implINS0_14default_configELb1EPKsPsPKlPlN2at6native12_GLOBAL__N_18offset_tEEE10hipError_tPvRmT1_PNSt15iterator_traitsISY_E10value_typeET2_T3_PNSZ_IS14_E10value_typeET4_jRbjT5_S1A_jjP12ihipStream_tbEUljE_EEESV_SW_SX_S14_S18_S1A_T6_T7_T9_mT8_S1C_bDpT10_ENKUlT_T0_E_clISt17integral_constantIbLb1EES1O_IbLb0EEEEDaS1K_S1L_EUlS1K_E_NS1_11comp_targetILNS1_3genE3ELNS1_11target_archE908ELNS1_3gpuE7ELNS1_3repE0EEENS1_30default_config_static_selectorELNS0_4arch9wavefront6targetE0EEEvSY_,"axG",@progbits,_ZN7rocprim17ROCPRIM_400000_NS6detail17trampoline_kernelINS0_13select_configILj256ELj13ELNS0_17block_load_methodE3ELS4_3ELS4_3ELNS0_20block_scan_algorithmE0ELj4294967295EEENS1_25partition_config_selectorILNS1_17partition_subalgoE3EjNS0_10empty_typeEbEEZZNS1_14partition_implILS8_3ELb0ES6_jNS0_17counting_iteratorIjlEEPS9_SE_NS0_5tupleIJPjSE_EEENSF_IJSE_SE_EEES9_SG_JZNS1_25segmented_radix_sort_implINS0_14default_configELb1EPKsPsPKlPlN2at6native12_GLOBAL__N_18offset_tEEE10hipError_tPvRmT1_PNSt15iterator_traitsISY_E10value_typeET2_T3_PNSZ_IS14_E10value_typeET4_jRbjT5_S1A_jjP12ihipStream_tbEUljE_EEESV_SW_SX_S14_S18_S1A_T6_T7_T9_mT8_S1C_bDpT10_ENKUlT_T0_E_clISt17integral_constantIbLb1EES1O_IbLb0EEEEDaS1K_S1L_EUlS1K_E_NS1_11comp_targetILNS1_3genE3ELNS1_11target_archE908ELNS1_3gpuE7ELNS1_3repE0EEENS1_30default_config_static_selectorELNS0_4arch9wavefront6targetE0EEEvSY_,comdat
	.globl	_ZN7rocprim17ROCPRIM_400000_NS6detail17trampoline_kernelINS0_13select_configILj256ELj13ELNS0_17block_load_methodE3ELS4_3ELS4_3ELNS0_20block_scan_algorithmE0ELj4294967295EEENS1_25partition_config_selectorILNS1_17partition_subalgoE3EjNS0_10empty_typeEbEEZZNS1_14partition_implILS8_3ELb0ES6_jNS0_17counting_iteratorIjlEEPS9_SE_NS0_5tupleIJPjSE_EEENSF_IJSE_SE_EEES9_SG_JZNS1_25segmented_radix_sort_implINS0_14default_configELb1EPKsPsPKlPlN2at6native12_GLOBAL__N_18offset_tEEE10hipError_tPvRmT1_PNSt15iterator_traitsISY_E10value_typeET2_T3_PNSZ_IS14_E10value_typeET4_jRbjT5_S1A_jjP12ihipStream_tbEUljE_EEESV_SW_SX_S14_S18_S1A_T6_T7_T9_mT8_S1C_bDpT10_ENKUlT_T0_E_clISt17integral_constantIbLb1EES1O_IbLb0EEEEDaS1K_S1L_EUlS1K_E_NS1_11comp_targetILNS1_3genE3ELNS1_11target_archE908ELNS1_3gpuE7ELNS1_3repE0EEENS1_30default_config_static_selectorELNS0_4arch9wavefront6targetE0EEEvSY_ ; -- Begin function _ZN7rocprim17ROCPRIM_400000_NS6detail17trampoline_kernelINS0_13select_configILj256ELj13ELNS0_17block_load_methodE3ELS4_3ELS4_3ELNS0_20block_scan_algorithmE0ELj4294967295EEENS1_25partition_config_selectorILNS1_17partition_subalgoE3EjNS0_10empty_typeEbEEZZNS1_14partition_implILS8_3ELb0ES6_jNS0_17counting_iteratorIjlEEPS9_SE_NS0_5tupleIJPjSE_EEENSF_IJSE_SE_EEES9_SG_JZNS1_25segmented_radix_sort_implINS0_14default_configELb1EPKsPsPKlPlN2at6native12_GLOBAL__N_18offset_tEEE10hipError_tPvRmT1_PNSt15iterator_traitsISY_E10value_typeET2_T3_PNSZ_IS14_E10value_typeET4_jRbjT5_S1A_jjP12ihipStream_tbEUljE_EEESV_SW_SX_S14_S18_S1A_T6_T7_T9_mT8_S1C_bDpT10_ENKUlT_T0_E_clISt17integral_constantIbLb1EES1O_IbLb0EEEEDaS1K_S1L_EUlS1K_E_NS1_11comp_targetILNS1_3genE3ELNS1_11target_archE908ELNS1_3gpuE7ELNS1_3repE0EEENS1_30default_config_static_selectorELNS0_4arch9wavefront6targetE0EEEvSY_
	.p2align	8
	.type	_ZN7rocprim17ROCPRIM_400000_NS6detail17trampoline_kernelINS0_13select_configILj256ELj13ELNS0_17block_load_methodE3ELS4_3ELS4_3ELNS0_20block_scan_algorithmE0ELj4294967295EEENS1_25partition_config_selectorILNS1_17partition_subalgoE3EjNS0_10empty_typeEbEEZZNS1_14partition_implILS8_3ELb0ES6_jNS0_17counting_iteratorIjlEEPS9_SE_NS0_5tupleIJPjSE_EEENSF_IJSE_SE_EEES9_SG_JZNS1_25segmented_radix_sort_implINS0_14default_configELb1EPKsPsPKlPlN2at6native12_GLOBAL__N_18offset_tEEE10hipError_tPvRmT1_PNSt15iterator_traitsISY_E10value_typeET2_T3_PNSZ_IS14_E10value_typeET4_jRbjT5_S1A_jjP12ihipStream_tbEUljE_EEESV_SW_SX_S14_S18_S1A_T6_T7_T9_mT8_S1C_bDpT10_ENKUlT_T0_E_clISt17integral_constantIbLb1EES1O_IbLb0EEEEDaS1K_S1L_EUlS1K_E_NS1_11comp_targetILNS1_3genE3ELNS1_11target_archE908ELNS1_3gpuE7ELNS1_3repE0EEENS1_30default_config_static_selectorELNS0_4arch9wavefront6targetE0EEEvSY_,@function
_ZN7rocprim17ROCPRIM_400000_NS6detail17trampoline_kernelINS0_13select_configILj256ELj13ELNS0_17block_load_methodE3ELS4_3ELS4_3ELNS0_20block_scan_algorithmE0ELj4294967295EEENS1_25partition_config_selectorILNS1_17partition_subalgoE3EjNS0_10empty_typeEbEEZZNS1_14partition_implILS8_3ELb0ES6_jNS0_17counting_iteratorIjlEEPS9_SE_NS0_5tupleIJPjSE_EEENSF_IJSE_SE_EEES9_SG_JZNS1_25segmented_radix_sort_implINS0_14default_configELb1EPKsPsPKlPlN2at6native12_GLOBAL__N_18offset_tEEE10hipError_tPvRmT1_PNSt15iterator_traitsISY_E10value_typeET2_T3_PNSZ_IS14_E10value_typeET4_jRbjT5_S1A_jjP12ihipStream_tbEUljE_EEESV_SW_SX_S14_S18_S1A_T6_T7_T9_mT8_S1C_bDpT10_ENKUlT_T0_E_clISt17integral_constantIbLb1EES1O_IbLb0EEEEDaS1K_S1L_EUlS1K_E_NS1_11comp_targetILNS1_3genE3ELNS1_11target_archE908ELNS1_3gpuE7ELNS1_3repE0EEENS1_30default_config_static_selectorELNS0_4arch9wavefront6targetE0EEEvSY_: ; @_ZN7rocprim17ROCPRIM_400000_NS6detail17trampoline_kernelINS0_13select_configILj256ELj13ELNS0_17block_load_methodE3ELS4_3ELS4_3ELNS0_20block_scan_algorithmE0ELj4294967295EEENS1_25partition_config_selectorILNS1_17partition_subalgoE3EjNS0_10empty_typeEbEEZZNS1_14partition_implILS8_3ELb0ES6_jNS0_17counting_iteratorIjlEEPS9_SE_NS0_5tupleIJPjSE_EEENSF_IJSE_SE_EEES9_SG_JZNS1_25segmented_radix_sort_implINS0_14default_configELb1EPKsPsPKlPlN2at6native12_GLOBAL__N_18offset_tEEE10hipError_tPvRmT1_PNSt15iterator_traitsISY_E10value_typeET2_T3_PNSZ_IS14_E10value_typeET4_jRbjT5_S1A_jjP12ihipStream_tbEUljE_EEESV_SW_SX_S14_S18_S1A_T6_T7_T9_mT8_S1C_bDpT10_ENKUlT_T0_E_clISt17integral_constantIbLb1EES1O_IbLb0EEEEDaS1K_S1L_EUlS1K_E_NS1_11comp_targetILNS1_3genE3ELNS1_11target_archE908ELNS1_3gpuE7ELNS1_3repE0EEENS1_30default_config_static_selectorELNS0_4arch9wavefront6targetE0EEEvSY_
; %bb.0:
	.section	.rodata,"a",@progbits
	.p2align	6, 0x0
	.amdhsa_kernel _ZN7rocprim17ROCPRIM_400000_NS6detail17trampoline_kernelINS0_13select_configILj256ELj13ELNS0_17block_load_methodE3ELS4_3ELS4_3ELNS0_20block_scan_algorithmE0ELj4294967295EEENS1_25partition_config_selectorILNS1_17partition_subalgoE3EjNS0_10empty_typeEbEEZZNS1_14partition_implILS8_3ELb0ES6_jNS0_17counting_iteratorIjlEEPS9_SE_NS0_5tupleIJPjSE_EEENSF_IJSE_SE_EEES9_SG_JZNS1_25segmented_radix_sort_implINS0_14default_configELb1EPKsPsPKlPlN2at6native12_GLOBAL__N_18offset_tEEE10hipError_tPvRmT1_PNSt15iterator_traitsISY_E10value_typeET2_T3_PNSZ_IS14_E10value_typeET4_jRbjT5_S1A_jjP12ihipStream_tbEUljE_EEESV_SW_SX_S14_S18_S1A_T6_T7_T9_mT8_S1C_bDpT10_ENKUlT_T0_E_clISt17integral_constantIbLb1EES1O_IbLb0EEEEDaS1K_S1L_EUlS1K_E_NS1_11comp_targetILNS1_3genE3ELNS1_11target_archE908ELNS1_3gpuE7ELNS1_3repE0EEENS1_30default_config_static_selectorELNS0_4arch9wavefront6targetE0EEEvSY_
		.amdhsa_group_segment_fixed_size 0
		.amdhsa_private_segment_fixed_size 0
		.amdhsa_kernarg_size 144
		.amdhsa_user_sgpr_count 2
		.amdhsa_user_sgpr_dispatch_ptr 0
		.amdhsa_user_sgpr_queue_ptr 0
		.amdhsa_user_sgpr_kernarg_segment_ptr 1
		.amdhsa_user_sgpr_dispatch_id 0
		.amdhsa_user_sgpr_kernarg_preload_length 0
		.amdhsa_user_sgpr_kernarg_preload_offset 0
		.amdhsa_user_sgpr_private_segment_size 0
		.amdhsa_wavefront_size32 1
		.amdhsa_uses_dynamic_stack 0
		.amdhsa_enable_private_segment 0
		.amdhsa_system_sgpr_workgroup_id_x 1
		.amdhsa_system_sgpr_workgroup_id_y 0
		.amdhsa_system_sgpr_workgroup_id_z 0
		.amdhsa_system_sgpr_workgroup_info 0
		.amdhsa_system_vgpr_workitem_id 0
		.amdhsa_next_free_vgpr 1
		.amdhsa_next_free_sgpr 1
		.amdhsa_named_barrier_count 0
		.amdhsa_reserve_vcc 0
		.amdhsa_float_round_mode_32 0
		.amdhsa_float_round_mode_16_64 0
		.amdhsa_float_denorm_mode_32 3
		.amdhsa_float_denorm_mode_16_64 3
		.amdhsa_fp16_overflow 0
		.amdhsa_memory_ordered 1
		.amdhsa_forward_progress 1
		.amdhsa_inst_pref_size 0
		.amdhsa_round_robin_scheduling 0
		.amdhsa_exception_fp_ieee_invalid_op 0
		.amdhsa_exception_fp_denorm_src 0
		.amdhsa_exception_fp_ieee_div_zero 0
		.amdhsa_exception_fp_ieee_overflow 0
		.amdhsa_exception_fp_ieee_underflow 0
		.amdhsa_exception_fp_ieee_inexact 0
		.amdhsa_exception_int_div_zero 0
	.end_amdhsa_kernel
	.section	.text._ZN7rocprim17ROCPRIM_400000_NS6detail17trampoline_kernelINS0_13select_configILj256ELj13ELNS0_17block_load_methodE3ELS4_3ELS4_3ELNS0_20block_scan_algorithmE0ELj4294967295EEENS1_25partition_config_selectorILNS1_17partition_subalgoE3EjNS0_10empty_typeEbEEZZNS1_14partition_implILS8_3ELb0ES6_jNS0_17counting_iteratorIjlEEPS9_SE_NS0_5tupleIJPjSE_EEENSF_IJSE_SE_EEES9_SG_JZNS1_25segmented_radix_sort_implINS0_14default_configELb1EPKsPsPKlPlN2at6native12_GLOBAL__N_18offset_tEEE10hipError_tPvRmT1_PNSt15iterator_traitsISY_E10value_typeET2_T3_PNSZ_IS14_E10value_typeET4_jRbjT5_S1A_jjP12ihipStream_tbEUljE_EEESV_SW_SX_S14_S18_S1A_T6_T7_T9_mT8_S1C_bDpT10_ENKUlT_T0_E_clISt17integral_constantIbLb1EES1O_IbLb0EEEEDaS1K_S1L_EUlS1K_E_NS1_11comp_targetILNS1_3genE3ELNS1_11target_archE908ELNS1_3gpuE7ELNS1_3repE0EEENS1_30default_config_static_selectorELNS0_4arch9wavefront6targetE0EEEvSY_,"axG",@progbits,_ZN7rocprim17ROCPRIM_400000_NS6detail17trampoline_kernelINS0_13select_configILj256ELj13ELNS0_17block_load_methodE3ELS4_3ELS4_3ELNS0_20block_scan_algorithmE0ELj4294967295EEENS1_25partition_config_selectorILNS1_17partition_subalgoE3EjNS0_10empty_typeEbEEZZNS1_14partition_implILS8_3ELb0ES6_jNS0_17counting_iteratorIjlEEPS9_SE_NS0_5tupleIJPjSE_EEENSF_IJSE_SE_EEES9_SG_JZNS1_25segmented_radix_sort_implINS0_14default_configELb1EPKsPsPKlPlN2at6native12_GLOBAL__N_18offset_tEEE10hipError_tPvRmT1_PNSt15iterator_traitsISY_E10value_typeET2_T3_PNSZ_IS14_E10value_typeET4_jRbjT5_S1A_jjP12ihipStream_tbEUljE_EEESV_SW_SX_S14_S18_S1A_T6_T7_T9_mT8_S1C_bDpT10_ENKUlT_T0_E_clISt17integral_constantIbLb1EES1O_IbLb0EEEEDaS1K_S1L_EUlS1K_E_NS1_11comp_targetILNS1_3genE3ELNS1_11target_archE908ELNS1_3gpuE7ELNS1_3repE0EEENS1_30default_config_static_selectorELNS0_4arch9wavefront6targetE0EEEvSY_,comdat
.Lfunc_end894:
	.size	_ZN7rocprim17ROCPRIM_400000_NS6detail17trampoline_kernelINS0_13select_configILj256ELj13ELNS0_17block_load_methodE3ELS4_3ELS4_3ELNS0_20block_scan_algorithmE0ELj4294967295EEENS1_25partition_config_selectorILNS1_17partition_subalgoE3EjNS0_10empty_typeEbEEZZNS1_14partition_implILS8_3ELb0ES6_jNS0_17counting_iteratorIjlEEPS9_SE_NS0_5tupleIJPjSE_EEENSF_IJSE_SE_EEES9_SG_JZNS1_25segmented_radix_sort_implINS0_14default_configELb1EPKsPsPKlPlN2at6native12_GLOBAL__N_18offset_tEEE10hipError_tPvRmT1_PNSt15iterator_traitsISY_E10value_typeET2_T3_PNSZ_IS14_E10value_typeET4_jRbjT5_S1A_jjP12ihipStream_tbEUljE_EEESV_SW_SX_S14_S18_S1A_T6_T7_T9_mT8_S1C_bDpT10_ENKUlT_T0_E_clISt17integral_constantIbLb1EES1O_IbLb0EEEEDaS1K_S1L_EUlS1K_E_NS1_11comp_targetILNS1_3genE3ELNS1_11target_archE908ELNS1_3gpuE7ELNS1_3repE0EEENS1_30default_config_static_selectorELNS0_4arch9wavefront6targetE0EEEvSY_, .Lfunc_end894-_ZN7rocprim17ROCPRIM_400000_NS6detail17trampoline_kernelINS0_13select_configILj256ELj13ELNS0_17block_load_methodE3ELS4_3ELS4_3ELNS0_20block_scan_algorithmE0ELj4294967295EEENS1_25partition_config_selectorILNS1_17partition_subalgoE3EjNS0_10empty_typeEbEEZZNS1_14partition_implILS8_3ELb0ES6_jNS0_17counting_iteratorIjlEEPS9_SE_NS0_5tupleIJPjSE_EEENSF_IJSE_SE_EEES9_SG_JZNS1_25segmented_radix_sort_implINS0_14default_configELb1EPKsPsPKlPlN2at6native12_GLOBAL__N_18offset_tEEE10hipError_tPvRmT1_PNSt15iterator_traitsISY_E10value_typeET2_T3_PNSZ_IS14_E10value_typeET4_jRbjT5_S1A_jjP12ihipStream_tbEUljE_EEESV_SW_SX_S14_S18_S1A_T6_T7_T9_mT8_S1C_bDpT10_ENKUlT_T0_E_clISt17integral_constantIbLb1EES1O_IbLb0EEEEDaS1K_S1L_EUlS1K_E_NS1_11comp_targetILNS1_3genE3ELNS1_11target_archE908ELNS1_3gpuE7ELNS1_3repE0EEENS1_30default_config_static_selectorELNS0_4arch9wavefront6targetE0EEEvSY_
                                        ; -- End function
	.set _ZN7rocprim17ROCPRIM_400000_NS6detail17trampoline_kernelINS0_13select_configILj256ELj13ELNS0_17block_load_methodE3ELS4_3ELS4_3ELNS0_20block_scan_algorithmE0ELj4294967295EEENS1_25partition_config_selectorILNS1_17partition_subalgoE3EjNS0_10empty_typeEbEEZZNS1_14partition_implILS8_3ELb0ES6_jNS0_17counting_iteratorIjlEEPS9_SE_NS0_5tupleIJPjSE_EEENSF_IJSE_SE_EEES9_SG_JZNS1_25segmented_radix_sort_implINS0_14default_configELb1EPKsPsPKlPlN2at6native12_GLOBAL__N_18offset_tEEE10hipError_tPvRmT1_PNSt15iterator_traitsISY_E10value_typeET2_T3_PNSZ_IS14_E10value_typeET4_jRbjT5_S1A_jjP12ihipStream_tbEUljE_EEESV_SW_SX_S14_S18_S1A_T6_T7_T9_mT8_S1C_bDpT10_ENKUlT_T0_E_clISt17integral_constantIbLb1EES1O_IbLb0EEEEDaS1K_S1L_EUlS1K_E_NS1_11comp_targetILNS1_3genE3ELNS1_11target_archE908ELNS1_3gpuE7ELNS1_3repE0EEENS1_30default_config_static_selectorELNS0_4arch9wavefront6targetE0EEEvSY_.num_vgpr, 0
	.set _ZN7rocprim17ROCPRIM_400000_NS6detail17trampoline_kernelINS0_13select_configILj256ELj13ELNS0_17block_load_methodE3ELS4_3ELS4_3ELNS0_20block_scan_algorithmE0ELj4294967295EEENS1_25partition_config_selectorILNS1_17partition_subalgoE3EjNS0_10empty_typeEbEEZZNS1_14partition_implILS8_3ELb0ES6_jNS0_17counting_iteratorIjlEEPS9_SE_NS0_5tupleIJPjSE_EEENSF_IJSE_SE_EEES9_SG_JZNS1_25segmented_radix_sort_implINS0_14default_configELb1EPKsPsPKlPlN2at6native12_GLOBAL__N_18offset_tEEE10hipError_tPvRmT1_PNSt15iterator_traitsISY_E10value_typeET2_T3_PNSZ_IS14_E10value_typeET4_jRbjT5_S1A_jjP12ihipStream_tbEUljE_EEESV_SW_SX_S14_S18_S1A_T6_T7_T9_mT8_S1C_bDpT10_ENKUlT_T0_E_clISt17integral_constantIbLb1EES1O_IbLb0EEEEDaS1K_S1L_EUlS1K_E_NS1_11comp_targetILNS1_3genE3ELNS1_11target_archE908ELNS1_3gpuE7ELNS1_3repE0EEENS1_30default_config_static_selectorELNS0_4arch9wavefront6targetE0EEEvSY_.num_agpr, 0
	.set _ZN7rocprim17ROCPRIM_400000_NS6detail17trampoline_kernelINS0_13select_configILj256ELj13ELNS0_17block_load_methodE3ELS4_3ELS4_3ELNS0_20block_scan_algorithmE0ELj4294967295EEENS1_25partition_config_selectorILNS1_17partition_subalgoE3EjNS0_10empty_typeEbEEZZNS1_14partition_implILS8_3ELb0ES6_jNS0_17counting_iteratorIjlEEPS9_SE_NS0_5tupleIJPjSE_EEENSF_IJSE_SE_EEES9_SG_JZNS1_25segmented_radix_sort_implINS0_14default_configELb1EPKsPsPKlPlN2at6native12_GLOBAL__N_18offset_tEEE10hipError_tPvRmT1_PNSt15iterator_traitsISY_E10value_typeET2_T3_PNSZ_IS14_E10value_typeET4_jRbjT5_S1A_jjP12ihipStream_tbEUljE_EEESV_SW_SX_S14_S18_S1A_T6_T7_T9_mT8_S1C_bDpT10_ENKUlT_T0_E_clISt17integral_constantIbLb1EES1O_IbLb0EEEEDaS1K_S1L_EUlS1K_E_NS1_11comp_targetILNS1_3genE3ELNS1_11target_archE908ELNS1_3gpuE7ELNS1_3repE0EEENS1_30default_config_static_selectorELNS0_4arch9wavefront6targetE0EEEvSY_.numbered_sgpr, 0
	.set _ZN7rocprim17ROCPRIM_400000_NS6detail17trampoline_kernelINS0_13select_configILj256ELj13ELNS0_17block_load_methodE3ELS4_3ELS4_3ELNS0_20block_scan_algorithmE0ELj4294967295EEENS1_25partition_config_selectorILNS1_17partition_subalgoE3EjNS0_10empty_typeEbEEZZNS1_14partition_implILS8_3ELb0ES6_jNS0_17counting_iteratorIjlEEPS9_SE_NS0_5tupleIJPjSE_EEENSF_IJSE_SE_EEES9_SG_JZNS1_25segmented_radix_sort_implINS0_14default_configELb1EPKsPsPKlPlN2at6native12_GLOBAL__N_18offset_tEEE10hipError_tPvRmT1_PNSt15iterator_traitsISY_E10value_typeET2_T3_PNSZ_IS14_E10value_typeET4_jRbjT5_S1A_jjP12ihipStream_tbEUljE_EEESV_SW_SX_S14_S18_S1A_T6_T7_T9_mT8_S1C_bDpT10_ENKUlT_T0_E_clISt17integral_constantIbLb1EES1O_IbLb0EEEEDaS1K_S1L_EUlS1K_E_NS1_11comp_targetILNS1_3genE3ELNS1_11target_archE908ELNS1_3gpuE7ELNS1_3repE0EEENS1_30default_config_static_selectorELNS0_4arch9wavefront6targetE0EEEvSY_.num_named_barrier, 0
	.set _ZN7rocprim17ROCPRIM_400000_NS6detail17trampoline_kernelINS0_13select_configILj256ELj13ELNS0_17block_load_methodE3ELS4_3ELS4_3ELNS0_20block_scan_algorithmE0ELj4294967295EEENS1_25partition_config_selectorILNS1_17partition_subalgoE3EjNS0_10empty_typeEbEEZZNS1_14partition_implILS8_3ELb0ES6_jNS0_17counting_iteratorIjlEEPS9_SE_NS0_5tupleIJPjSE_EEENSF_IJSE_SE_EEES9_SG_JZNS1_25segmented_radix_sort_implINS0_14default_configELb1EPKsPsPKlPlN2at6native12_GLOBAL__N_18offset_tEEE10hipError_tPvRmT1_PNSt15iterator_traitsISY_E10value_typeET2_T3_PNSZ_IS14_E10value_typeET4_jRbjT5_S1A_jjP12ihipStream_tbEUljE_EEESV_SW_SX_S14_S18_S1A_T6_T7_T9_mT8_S1C_bDpT10_ENKUlT_T0_E_clISt17integral_constantIbLb1EES1O_IbLb0EEEEDaS1K_S1L_EUlS1K_E_NS1_11comp_targetILNS1_3genE3ELNS1_11target_archE908ELNS1_3gpuE7ELNS1_3repE0EEENS1_30default_config_static_selectorELNS0_4arch9wavefront6targetE0EEEvSY_.private_seg_size, 0
	.set _ZN7rocprim17ROCPRIM_400000_NS6detail17trampoline_kernelINS0_13select_configILj256ELj13ELNS0_17block_load_methodE3ELS4_3ELS4_3ELNS0_20block_scan_algorithmE0ELj4294967295EEENS1_25partition_config_selectorILNS1_17partition_subalgoE3EjNS0_10empty_typeEbEEZZNS1_14partition_implILS8_3ELb0ES6_jNS0_17counting_iteratorIjlEEPS9_SE_NS0_5tupleIJPjSE_EEENSF_IJSE_SE_EEES9_SG_JZNS1_25segmented_radix_sort_implINS0_14default_configELb1EPKsPsPKlPlN2at6native12_GLOBAL__N_18offset_tEEE10hipError_tPvRmT1_PNSt15iterator_traitsISY_E10value_typeET2_T3_PNSZ_IS14_E10value_typeET4_jRbjT5_S1A_jjP12ihipStream_tbEUljE_EEESV_SW_SX_S14_S18_S1A_T6_T7_T9_mT8_S1C_bDpT10_ENKUlT_T0_E_clISt17integral_constantIbLb1EES1O_IbLb0EEEEDaS1K_S1L_EUlS1K_E_NS1_11comp_targetILNS1_3genE3ELNS1_11target_archE908ELNS1_3gpuE7ELNS1_3repE0EEENS1_30default_config_static_selectorELNS0_4arch9wavefront6targetE0EEEvSY_.uses_vcc, 0
	.set _ZN7rocprim17ROCPRIM_400000_NS6detail17trampoline_kernelINS0_13select_configILj256ELj13ELNS0_17block_load_methodE3ELS4_3ELS4_3ELNS0_20block_scan_algorithmE0ELj4294967295EEENS1_25partition_config_selectorILNS1_17partition_subalgoE3EjNS0_10empty_typeEbEEZZNS1_14partition_implILS8_3ELb0ES6_jNS0_17counting_iteratorIjlEEPS9_SE_NS0_5tupleIJPjSE_EEENSF_IJSE_SE_EEES9_SG_JZNS1_25segmented_radix_sort_implINS0_14default_configELb1EPKsPsPKlPlN2at6native12_GLOBAL__N_18offset_tEEE10hipError_tPvRmT1_PNSt15iterator_traitsISY_E10value_typeET2_T3_PNSZ_IS14_E10value_typeET4_jRbjT5_S1A_jjP12ihipStream_tbEUljE_EEESV_SW_SX_S14_S18_S1A_T6_T7_T9_mT8_S1C_bDpT10_ENKUlT_T0_E_clISt17integral_constantIbLb1EES1O_IbLb0EEEEDaS1K_S1L_EUlS1K_E_NS1_11comp_targetILNS1_3genE3ELNS1_11target_archE908ELNS1_3gpuE7ELNS1_3repE0EEENS1_30default_config_static_selectorELNS0_4arch9wavefront6targetE0EEEvSY_.uses_flat_scratch, 0
	.set _ZN7rocprim17ROCPRIM_400000_NS6detail17trampoline_kernelINS0_13select_configILj256ELj13ELNS0_17block_load_methodE3ELS4_3ELS4_3ELNS0_20block_scan_algorithmE0ELj4294967295EEENS1_25partition_config_selectorILNS1_17partition_subalgoE3EjNS0_10empty_typeEbEEZZNS1_14partition_implILS8_3ELb0ES6_jNS0_17counting_iteratorIjlEEPS9_SE_NS0_5tupleIJPjSE_EEENSF_IJSE_SE_EEES9_SG_JZNS1_25segmented_radix_sort_implINS0_14default_configELb1EPKsPsPKlPlN2at6native12_GLOBAL__N_18offset_tEEE10hipError_tPvRmT1_PNSt15iterator_traitsISY_E10value_typeET2_T3_PNSZ_IS14_E10value_typeET4_jRbjT5_S1A_jjP12ihipStream_tbEUljE_EEESV_SW_SX_S14_S18_S1A_T6_T7_T9_mT8_S1C_bDpT10_ENKUlT_T0_E_clISt17integral_constantIbLb1EES1O_IbLb0EEEEDaS1K_S1L_EUlS1K_E_NS1_11comp_targetILNS1_3genE3ELNS1_11target_archE908ELNS1_3gpuE7ELNS1_3repE0EEENS1_30default_config_static_selectorELNS0_4arch9wavefront6targetE0EEEvSY_.has_dyn_sized_stack, 0
	.set _ZN7rocprim17ROCPRIM_400000_NS6detail17trampoline_kernelINS0_13select_configILj256ELj13ELNS0_17block_load_methodE3ELS4_3ELS4_3ELNS0_20block_scan_algorithmE0ELj4294967295EEENS1_25partition_config_selectorILNS1_17partition_subalgoE3EjNS0_10empty_typeEbEEZZNS1_14partition_implILS8_3ELb0ES6_jNS0_17counting_iteratorIjlEEPS9_SE_NS0_5tupleIJPjSE_EEENSF_IJSE_SE_EEES9_SG_JZNS1_25segmented_radix_sort_implINS0_14default_configELb1EPKsPsPKlPlN2at6native12_GLOBAL__N_18offset_tEEE10hipError_tPvRmT1_PNSt15iterator_traitsISY_E10value_typeET2_T3_PNSZ_IS14_E10value_typeET4_jRbjT5_S1A_jjP12ihipStream_tbEUljE_EEESV_SW_SX_S14_S18_S1A_T6_T7_T9_mT8_S1C_bDpT10_ENKUlT_T0_E_clISt17integral_constantIbLb1EES1O_IbLb0EEEEDaS1K_S1L_EUlS1K_E_NS1_11comp_targetILNS1_3genE3ELNS1_11target_archE908ELNS1_3gpuE7ELNS1_3repE0EEENS1_30default_config_static_selectorELNS0_4arch9wavefront6targetE0EEEvSY_.has_recursion, 0
	.set _ZN7rocprim17ROCPRIM_400000_NS6detail17trampoline_kernelINS0_13select_configILj256ELj13ELNS0_17block_load_methodE3ELS4_3ELS4_3ELNS0_20block_scan_algorithmE0ELj4294967295EEENS1_25partition_config_selectorILNS1_17partition_subalgoE3EjNS0_10empty_typeEbEEZZNS1_14partition_implILS8_3ELb0ES6_jNS0_17counting_iteratorIjlEEPS9_SE_NS0_5tupleIJPjSE_EEENSF_IJSE_SE_EEES9_SG_JZNS1_25segmented_radix_sort_implINS0_14default_configELb1EPKsPsPKlPlN2at6native12_GLOBAL__N_18offset_tEEE10hipError_tPvRmT1_PNSt15iterator_traitsISY_E10value_typeET2_T3_PNSZ_IS14_E10value_typeET4_jRbjT5_S1A_jjP12ihipStream_tbEUljE_EEESV_SW_SX_S14_S18_S1A_T6_T7_T9_mT8_S1C_bDpT10_ENKUlT_T0_E_clISt17integral_constantIbLb1EES1O_IbLb0EEEEDaS1K_S1L_EUlS1K_E_NS1_11comp_targetILNS1_3genE3ELNS1_11target_archE908ELNS1_3gpuE7ELNS1_3repE0EEENS1_30default_config_static_selectorELNS0_4arch9wavefront6targetE0EEEvSY_.has_indirect_call, 0
	.section	.AMDGPU.csdata,"",@progbits
; Kernel info:
; codeLenInByte = 0
; TotalNumSgprs: 0
; NumVgprs: 0
; ScratchSize: 0
; MemoryBound: 0
; FloatMode: 240
; IeeeMode: 1
; LDSByteSize: 0 bytes/workgroup (compile time only)
; SGPRBlocks: 0
; VGPRBlocks: 0
; NumSGPRsForWavesPerEU: 1
; NumVGPRsForWavesPerEU: 1
; NamedBarCnt: 0
; Occupancy: 16
; WaveLimiterHint : 0
; COMPUTE_PGM_RSRC2:SCRATCH_EN: 0
; COMPUTE_PGM_RSRC2:USER_SGPR: 2
; COMPUTE_PGM_RSRC2:TRAP_HANDLER: 0
; COMPUTE_PGM_RSRC2:TGID_X_EN: 1
; COMPUTE_PGM_RSRC2:TGID_Y_EN: 0
; COMPUTE_PGM_RSRC2:TGID_Z_EN: 0
; COMPUTE_PGM_RSRC2:TIDIG_COMP_CNT: 0
	.section	.text._ZN7rocprim17ROCPRIM_400000_NS6detail17trampoline_kernelINS0_13select_configILj256ELj13ELNS0_17block_load_methodE3ELS4_3ELS4_3ELNS0_20block_scan_algorithmE0ELj4294967295EEENS1_25partition_config_selectorILNS1_17partition_subalgoE3EjNS0_10empty_typeEbEEZZNS1_14partition_implILS8_3ELb0ES6_jNS0_17counting_iteratorIjlEEPS9_SE_NS0_5tupleIJPjSE_EEENSF_IJSE_SE_EEES9_SG_JZNS1_25segmented_radix_sort_implINS0_14default_configELb1EPKsPsPKlPlN2at6native12_GLOBAL__N_18offset_tEEE10hipError_tPvRmT1_PNSt15iterator_traitsISY_E10value_typeET2_T3_PNSZ_IS14_E10value_typeET4_jRbjT5_S1A_jjP12ihipStream_tbEUljE_EEESV_SW_SX_S14_S18_S1A_T6_T7_T9_mT8_S1C_bDpT10_ENKUlT_T0_E_clISt17integral_constantIbLb1EES1O_IbLb0EEEEDaS1K_S1L_EUlS1K_E_NS1_11comp_targetILNS1_3genE2ELNS1_11target_archE906ELNS1_3gpuE6ELNS1_3repE0EEENS1_30default_config_static_selectorELNS0_4arch9wavefront6targetE0EEEvSY_,"axG",@progbits,_ZN7rocprim17ROCPRIM_400000_NS6detail17trampoline_kernelINS0_13select_configILj256ELj13ELNS0_17block_load_methodE3ELS4_3ELS4_3ELNS0_20block_scan_algorithmE0ELj4294967295EEENS1_25partition_config_selectorILNS1_17partition_subalgoE3EjNS0_10empty_typeEbEEZZNS1_14partition_implILS8_3ELb0ES6_jNS0_17counting_iteratorIjlEEPS9_SE_NS0_5tupleIJPjSE_EEENSF_IJSE_SE_EEES9_SG_JZNS1_25segmented_radix_sort_implINS0_14default_configELb1EPKsPsPKlPlN2at6native12_GLOBAL__N_18offset_tEEE10hipError_tPvRmT1_PNSt15iterator_traitsISY_E10value_typeET2_T3_PNSZ_IS14_E10value_typeET4_jRbjT5_S1A_jjP12ihipStream_tbEUljE_EEESV_SW_SX_S14_S18_S1A_T6_T7_T9_mT8_S1C_bDpT10_ENKUlT_T0_E_clISt17integral_constantIbLb1EES1O_IbLb0EEEEDaS1K_S1L_EUlS1K_E_NS1_11comp_targetILNS1_3genE2ELNS1_11target_archE906ELNS1_3gpuE6ELNS1_3repE0EEENS1_30default_config_static_selectorELNS0_4arch9wavefront6targetE0EEEvSY_,comdat
	.globl	_ZN7rocprim17ROCPRIM_400000_NS6detail17trampoline_kernelINS0_13select_configILj256ELj13ELNS0_17block_load_methodE3ELS4_3ELS4_3ELNS0_20block_scan_algorithmE0ELj4294967295EEENS1_25partition_config_selectorILNS1_17partition_subalgoE3EjNS0_10empty_typeEbEEZZNS1_14partition_implILS8_3ELb0ES6_jNS0_17counting_iteratorIjlEEPS9_SE_NS0_5tupleIJPjSE_EEENSF_IJSE_SE_EEES9_SG_JZNS1_25segmented_radix_sort_implINS0_14default_configELb1EPKsPsPKlPlN2at6native12_GLOBAL__N_18offset_tEEE10hipError_tPvRmT1_PNSt15iterator_traitsISY_E10value_typeET2_T3_PNSZ_IS14_E10value_typeET4_jRbjT5_S1A_jjP12ihipStream_tbEUljE_EEESV_SW_SX_S14_S18_S1A_T6_T7_T9_mT8_S1C_bDpT10_ENKUlT_T0_E_clISt17integral_constantIbLb1EES1O_IbLb0EEEEDaS1K_S1L_EUlS1K_E_NS1_11comp_targetILNS1_3genE2ELNS1_11target_archE906ELNS1_3gpuE6ELNS1_3repE0EEENS1_30default_config_static_selectorELNS0_4arch9wavefront6targetE0EEEvSY_ ; -- Begin function _ZN7rocprim17ROCPRIM_400000_NS6detail17trampoline_kernelINS0_13select_configILj256ELj13ELNS0_17block_load_methodE3ELS4_3ELS4_3ELNS0_20block_scan_algorithmE0ELj4294967295EEENS1_25partition_config_selectorILNS1_17partition_subalgoE3EjNS0_10empty_typeEbEEZZNS1_14partition_implILS8_3ELb0ES6_jNS0_17counting_iteratorIjlEEPS9_SE_NS0_5tupleIJPjSE_EEENSF_IJSE_SE_EEES9_SG_JZNS1_25segmented_radix_sort_implINS0_14default_configELb1EPKsPsPKlPlN2at6native12_GLOBAL__N_18offset_tEEE10hipError_tPvRmT1_PNSt15iterator_traitsISY_E10value_typeET2_T3_PNSZ_IS14_E10value_typeET4_jRbjT5_S1A_jjP12ihipStream_tbEUljE_EEESV_SW_SX_S14_S18_S1A_T6_T7_T9_mT8_S1C_bDpT10_ENKUlT_T0_E_clISt17integral_constantIbLb1EES1O_IbLb0EEEEDaS1K_S1L_EUlS1K_E_NS1_11comp_targetILNS1_3genE2ELNS1_11target_archE906ELNS1_3gpuE6ELNS1_3repE0EEENS1_30default_config_static_selectorELNS0_4arch9wavefront6targetE0EEEvSY_
	.p2align	8
	.type	_ZN7rocprim17ROCPRIM_400000_NS6detail17trampoline_kernelINS0_13select_configILj256ELj13ELNS0_17block_load_methodE3ELS4_3ELS4_3ELNS0_20block_scan_algorithmE0ELj4294967295EEENS1_25partition_config_selectorILNS1_17partition_subalgoE3EjNS0_10empty_typeEbEEZZNS1_14partition_implILS8_3ELb0ES6_jNS0_17counting_iteratorIjlEEPS9_SE_NS0_5tupleIJPjSE_EEENSF_IJSE_SE_EEES9_SG_JZNS1_25segmented_radix_sort_implINS0_14default_configELb1EPKsPsPKlPlN2at6native12_GLOBAL__N_18offset_tEEE10hipError_tPvRmT1_PNSt15iterator_traitsISY_E10value_typeET2_T3_PNSZ_IS14_E10value_typeET4_jRbjT5_S1A_jjP12ihipStream_tbEUljE_EEESV_SW_SX_S14_S18_S1A_T6_T7_T9_mT8_S1C_bDpT10_ENKUlT_T0_E_clISt17integral_constantIbLb1EES1O_IbLb0EEEEDaS1K_S1L_EUlS1K_E_NS1_11comp_targetILNS1_3genE2ELNS1_11target_archE906ELNS1_3gpuE6ELNS1_3repE0EEENS1_30default_config_static_selectorELNS0_4arch9wavefront6targetE0EEEvSY_,@function
_ZN7rocprim17ROCPRIM_400000_NS6detail17trampoline_kernelINS0_13select_configILj256ELj13ELNS0_17block_load_methodE3ELS4_3ELS4_3ELNS0_20block_scan_algorithmE0ELj4294967295EEENS1_25partition_config_selectorILNS1_17partition_subalgoE3EjNS0_10empty_typeEbEEZZNS1_14partition_implILS8_3ELb0ES6_jNS0_17counting_iteratorIjlEEPS9_SE_NS0_5tupleIJPjSE_EEENSF_IJSE_SE_EEES9_SG_JZNS1_25segmented_radix_sort_implINS0_14default_configELb1EPKsPsPKlPlN2at6native12_GLOBAL__N_18offset_tEEE10hipError_tPvRmT1_PNSt15iterator_traitsISY_E10value_typeET2_T3_PNSZ_IS14_E10value_typeET4_jRbjT5_S1A_jjP12ihipStream_tbEUljE_EEESV_SW_SX_S14_S18_S1A_T6_T7_T9_mT8_S1C_bDpT10_ENKUlT_T0_E_clISt17integral_constantIbLb1EES1O_IbLb0EEEEDaS1K_S1L_EUlS1K_E_NS1_11comp_targetILNS1_3genE2ELNS1_11target_archE906ELNS1_3gpuE6ELNS1_3repE0EEENS1_30default_config_static_selectorELNS0_4arch9wavefront6targetE0EEEvSY_: ; @_ZN7rocprim17ROCPRIM_400000_NS6detail17trampoline_kernelINS0_13select_configILj256ELj13ELNS0_17block_load_methodE3ELS4_3ELS4_3ELNS0_20block_scan_algorithmE0ELj4294967295EEENS1_25partition_config_selectorILNS1_17partition_subalgoE3EjNS0_10empty_typeEbEEZZNS1_14partition_implILS8_3ELb0ES6_jNS0_17counting_iteratorIjlEEPS9_SE_NS0_5tupleIJPjSE_EEENSF_IJSE_SE_EEES9_SG_JZNS1_25segmented_radix_sort_implINS0_14default_configELb1EPKsPsPKlPlN2at6native12_GLOBAL__N_18offset_tEEE10hipError_tPvRmT1_PNSt15iterator_traitsISY_E10value_typeET2_T3_PNSZ_IS14_E10value_typeET4_jRbjT5_S1A_jjP12ihipStream_tbEUljE_EEESV_SW_SX_S14_S18_S1A_T6_T7_T9_mT8_S1C_bDpT10_ENKUlT_T0_E_clISt17integral_constantIbLb1EES1O_IbLb0EEEEDaS1K_S1L_EUlS1K_E_NS1_11comp_targetILNS1_3genE2ELNS1_11target_archE906ELNS1_3gpuE6ELNS1_3repE0EEENS1_30default_config_static_selectorELNS0_4arch9wavefront6targetE0EEEvSY_
; %bb.0:
	.section	.rodata,"a",@progbits
	.p2align	6, 0x0
	.amdhsa_kernel _ZN7rocprim17ROCPRIM_400000_NS6detail17trampoline_kernelINS0_13select_configILj256ELj13ELNS0_17block_load_methodE3ELS4_3ELS4_3ELNS0_20block_scan_algorithmE0ELj4294967295EEENS1_25partition_config_selectorILNS1_17partition_subalgoE3EjNS0_10empty_typeEbEEZZNS1_14partition_implILS8_3ELb0ES6_jNS0_17counting_iteratorIjlEEPS9_SE_NS0_5tupleIJPjSE_EEENSF_IJSE_SE_EEES9_SG_JZNS1_25segmented_radix_sort_implINS0_14default_configELb1EPKsPsPKlPlN2at6native12_GLOBAL__N_18offset_tEEE10hipError_tPvRmT1_PNSt15iterator_traitsISY_E10value_typeET2_T3_PNSZ_IS14_E10value_typeET4_jRbjT5_S1A_jjP12ihipStream_tbEUljE_EEESV_SW_SX_S14_S18_S1A_T6_T7_T9_mT8_S1C_bDpT10_ENKUlT_T0_E_clISt17integral_constantIbLb1EES1O_IbLb0EEEEDaS1K_S1L_EUlS1K_E_NS1_11comp_targetILNS1_3genE2ELNS1_11target_archE906ELNS1_3gpuE6ELNS1_3repE0EEENS1_30default_config_static_selectorELNS0_4arch9wavefront6targetE0EEEvSY_
		.amdhsa_group_segment_fixed_size 0
		.amdhsa_private_segment_fixed_size 0
		.amdhsa_kernarg_size 144
		.amdhsa_user_sgpr_count 2
		.amdhsa_user_sgpr_dispatch_ptr 0
		.amdhsa_user_sgpr_queue_ptr 0
		.amdhsa_user_sgpr_kernarg_segment_ptr 1
		.amdhsa_user_sgpr_dispatch_id 0
		.amdhsa_user_sgpr_kernarg_preload_length 0
		.amdhsa_user_sgpr_kernarg_preload_offset 0
		.amdhsa_user_sgpr_private_segment_size 0
		.amdhsa_wavefront_size32 1
		.amdhsa_uses_dynamic_stack 0
		.amdhsa_enable_private_segment 0
		.amdhsa_system_sgpr_workgroup_id_x 1
		.amdhsa_system_sgpr_workgroup_id_y 0
		.amdhsa_system_sgpr_workgroup_id_z 0
		.amdhsa_system_sgpr_workgroup_info 0
		.amdhsa_system_vgpr_workitem_id 0
		.amdhsa_next_free_vgpr 1
		.amdhsa_next_free_sgpr 1
		.amdhsa_named_barrier_count 0
		.amdhsa_reserve_vcc 0
		.amdhsa_float_round_mode_32 0
		.amdhsa_float_round_mode_16_64 0
		.amdhsa_float_denorm_mode_32 3
		.amdhsa_float_denorm_mode_16_64 3
		.amdhsa_fp16_overflow 0
		.amdhsa_memory_ordered 1
		.amdhsa_forward_progress 1
		.amdhsa_inst_pref_size 0
		.amdhsa_round_robin_scheduling 0
		.amdhsa_exception_fp_ieee_invalid_op 0
		.amdhsa_exception_fp_denorm_src 0
		.amdhsa_exception_fp_ieee_div_zero 0
		.amdhsa_exception_fp_ieee_overflow 0
		.amdhsa_exception_fp_ieee_underflow 0
		.amdhsa_exception_fp_ieee_inexact 0
		.amdhsa_exception_int_div_zero 0
	.end_amdhsa_kernel
	.section	.text._ZN7rocprim17ROCPRIM_400000_NS6detail17trampoline_kernelINS0_13select_configILj256ELj13ELNS0_17block_load_methodE3ELS4_3ELS4_3ELNS0_20block_scan_algorithmE0ELj4294967295EEENS1_25partition_config_selectorILNS1_17partition_subalgoE3EjNS0_10empty_typeEbEEZZNS1_14partition_implILS8_3ELb0ES6_jNS0_17counting_iteratorIjlEEPS9_SE_NS0_5tupleIJPjSE_EEENSF_IJSE_SE_EEES9_SG_JZNS1_25segmented_radix_sort_implINS0_14default_configELb1EPKsPsPKlPlN2at6native12_GLOBAL__N_18offset_tEEE10hipError_tPvRmT1_PNSt15iterator_traitsISY_E10value_typeET2_T3_PNSZ_IS14_E10value_typeET4_jRbjT5_S1A_jjP12ihipStream_tbEUljE_EEESV_SW_SX_S14_S18_S1A_T6_T7_T9_mT8_S1C_bDpT10_ENKUlT_T0_E_clISt17integral_constantIbLb1EES1O_IbLb0EEEEDaS1K_S1L_EUlS1K_E_NS1_11comp_targetILNS1_3genE2ELNS1_11target_archE906ELNS1_3gpuE6ELNS1_3repE0EEENS1_30default_config_static_selectorELNS0_4arch9wavefront6targetE0EEEvSY_,"axG",@progbits,_ZN7rocprim17ROCPRIM_400000_NS6detail17trampoline_kernelINS0_13select_configILj256ELj13ELNS0_17block_load_methodE3ELS4_3ELS4_3ELNS0_20block_scan_algorithmE0ELj4294967295EEENS1_25partition_config_selectorILNS1_17partition_subalgoE3EjNS0_10empty_typeEbEEZZNS1_14partition_implILS8_3ELb0ES6_jNS0_17counting_iteratorIjlEEPS9_SE_NS0_5tupleIJPjSE_EEENSF_IJSE_SE_EEES9_SG_JZNS1_25segmented_radix_sort_implINS0_14default_configELb1EPKsPsPKlPlN2at6native12_GLOBAL__N_18offset_tEEE10hipError_tPvRmT1_PNSt15iterator_traitsISY_E10value_typeET2_T3_PNSZ_IS14_E10value_typeET4_jRbjT5_S1A_jjP12ihipStream_tbEUljE_EEESV_SW_SX_S14_S18_S1A_T6_T7_T9_mT8_S1C_bDpT10_ENKUlT_T0_E_clISt17integral_constantIbLb1EES1O_IbLb0EEEEDaS1K_S1L_EUlS1K_E_NS1_11comp_targetILNS1_3genE2ELNS1_11target_archE906ELNS1_3gpuE6ELNS1_3repE0EEENS1_30default_config_static_selectorELNS0_4arch9wavefront6targetE0EEEvSY_,comdat
.Lfunc_end895:
	.size	_ZN7rocprim17ROCPRIM_400000_NS6detail17trampoline_kernelINS0_13select_configILj256ELj13ELNS0_17block_load_methodE3ELS4_3ELS4_3ELNS0_20block_scan_algorithmE0ELj4294967295EEENS1_25partition_config_selectorILNS1_17partition_subalgoE3EjNS0_10empty_typeEbEEZZNS1_14partition_implILS8_3ELb0ES6_jNS0_17counting_iteratorIjlEEPS9_SE_NS0_5tupleIJPjSE_EEENSF_IJSE_SE_EEES9_SG_JZNS1_25segmented_radix_sort_implINS0_14default_configELb1EPKsPsPKlPlN2at6native12_GLOBAL__N_18offset_tEEE10hipError_tPvRmT1_PNSt15iterator_traitsISY_E10value_typeET2_T3_PNSZ_IS14_E10value_typeET4_jRbjT5_S1A_jjP12ihipStream_tbEUljE_EEESV_SW_SX_S14_S18_S1A_T6_T7_T9_mT8_S1C_bDpT10_ENKUlT_T0_E_clISt17integral_constantIbLb1EES1O_IbLb0EEEEDaS1K_S1L_EUlS1K_E_NS1_11comp_targetILNS1_3genE2ELNS1_11target_archE906ELNS1_3gpuE6ELNS1_3repE0EEENS1_30default_config_static_selectorELNS0_4arch9wavefront6targetE0EEEvSY_, .Lfunc_end895-_ZN7rocprim17ROCPRIM_400000_NS6detail17trampoline_kernelINS0_13select_configILj256ELj13ELNS0_17block_load_methodE3ELS4_3ELS4_3ELNS0_20block_scan_algorithmE0ELj4294967295EEENS1_25partition_config_selectorILNS1_17partition_subalgoE3EjNS0_10empty_typeEbEEZZNS1_14partition_implILS8_3ELb0ES6_jNS0_17counting_iteratorIjlEEPS9_SE_NS0_5tupleIJPjSE_EEENSF_IJSE_SE_EEES9_SG_JZNS1_25segmented_radix_sort_implINS0_14default_configELb1EPKsPsPKlPlN2at6native12_GLOBAL__N_18offset_tEEE10hipError_tPvRmT1_PNSt15iterator_traitsISY_E10value_typeET2_T3_PNSZ_IS14_E10value_typeET4_jRbjT5_S1A_jjP12ihipStream_tbEUljE_EEESV_SW_SX_S14_S18_S1A_T6_T7_T9_mT8_S1C_bDpT10_ENKUlT_T0_E_clISt17integral_constantIbLb1EES1O_IbLb0EEEEDaS1K_S1L_EUlS1K_E_NS1_11comp_targetILNS1_3genE2ELNS1_11target_archE906ELNS1_3gpuE6ELNS1_3repE0EEENS1_30default_config_static_selectorELNS0_4arch9wavefront6targetE0EEEvSY_
                                        ; -- End function
	.set _ZN7rocprim17ROCPRIM_400000_NS6detail17trampoline_kernelINS0_13select_configILj256ELj13ELNS0_17block_load_methodE3ELS4_3ELS4_3ELNS0_20block_scan_algorithmE0ELj4294967295EEENS1_25partition_config_selectorILNS1_17partition_subalgoE3EjNS0_10empty_typeEbEEZZNS1_14partition_implILS8_3ELb0ES6_jNS0_17counting_iteratorIjlEEPS9_SE_NS0_5tupleIJPjSE_EEENSF_IJSE_SE_EEES9_SG_JZNS1_25segmented_radix_sort_implINS0_14default_configELb1EPKsPsPKlPlN2at6native12_GLOBAL__N_18offset_tEEE10hipError_tPvRmT1_PNSt15iterator_traitsISY_E10value_typeET2_T3_PNSZ_IS14_E10value_typeET4_jRbjT5_S1A_jjP12ihipStream_tbEUljE_EEESV_SW_SX_S14_S18_S1A_T6_T7_T9_mT8_S1C_bDpT10_ENKUlT_T0_E_clISt17integral_constantIbLb1EES1O_IbLb0EEEEDaS1K_S1L_EUlS1K_E_NS1_11comp_targetILNS1_3genE2ELNS1_11target_archE906ELNS1_3gpuE6ELNS1_3repE0EEENS1_30default_config_static_selectorELNS0_4arch9wavefront6targetE0EEEvSY_.num_vgpr, 0
	.set _ZN7rocprim17ROCPRIM_400000_NS6detail17trampoline_kernelINS0_13select_configILj256ELj13ELNS0_17block_load_methodE3ELS4_3ELS4_3ELNS0_20block_scan_algorithmE0ELj4294967295EEENS1_25partition_config_selectorILNS1_17partition_subalgoE3EjNS0_10empty_typeEbEEZZNS1_14partition_implILS8_3ELb0ES6_jNS0_17counting_iteratorIjlEEPS9_SE_NS0_5tupleIJPjSE_EEENSF_IJSE_SE_EEES9_SG_JZNS1_25segmented_radix_sort_implINS0_14default_configELb1EPKsPsPKlPlN2at6native12_GLOBAL__N_18offset_tEEE10hipError_tPvRmT1_PNSt15iterator_traitsISY_E10value_typeET2_T3_PNSZ_IS14_E10value_typeET4_jRbjT5_S1A_jjP12ihipStream_tbEUljE_EEESV_SW_SX_S14_S18_S1A_T6_T7_T9_mT8_S1C_bDpT10_ENKUlT_T0_E_clISt17integral_constantIbLb1EES1O_IbLb0EEEEDaS1K_S1L_EUlS1K_E_NS1_11comp_targetILNS1_3genE2ELNS1_11target_archE906ELNS1_3gpuE6ELNS1_3repE0EEENS1_30default_config_static_selectorELNS0_4arch9wavefront6targetE0EEEvSY_.num_agpr, 0
	.set _ZN7rocprim17ROCPRIM_400000_NS6detail17trampoline_kernelINS0_13select_configILj256ELj13ELNS0_17block_load_methodE3ELS4_3ELS4_3ELNS0_20block_scan_algorithmE0ELj4294967295EEENS1_25partition_config_selectorILNS1_17partition_subalgoE3EjNS0_10empty_typeEbEEZZNS1_14partition_implILS8_3ELb0ES6_jNS0_17counting_iteratorIjlEEPS9_SE_NS0_5tupleIJPjSE_EEENSF_IJSE_SE_EEES9_SG_JZNS1_25segmented_radix_sort_implINS0_14default_configELb1EPKsPsPKlPlN2at6native12_GLOBAL__N_18offset_tEEE10hipError_tPvRmT1_PNSt15iterator_traitsISY_E10value_typeET2_T3_PNSZ_IS14_E10value_typeET4_jRbjT5_S1A_jjP12ihipStream_tbEUljE_EEESV_SW_SX_S14_S18_S1A_T6_T7_T9_mT8_S1C_bDpT10_ENKUlT_T0_E_clISt17integral_constantIbLb1EES1O_IbLb0EEEEDaS1K_S1L_EUlS1K_E_NS1_11comp_targetILNS1_3genE2ELNS1_11target_archE906ELNS1_3gpuE6ELNS1_3repE0EEENS1_30default_config_static_selectorELNS0_4arch9wavefront6targetE0EEEvSY_.numbered_sgpr, 0
	.set _ZN7rocprim17ROCPRIM_400000_NS6detail17trampoline_kernelINS0_13select_configILj256ELj13ELNS0_17block_load_methodE3ELS4_3ELS4_3ELNS0_20block_scan_algorithmE0ELj4294967295EEENS1_25partition_config_selectorILNS1_17partition_subalgoE3EjNS0_10empty_typeEbEEZZNS1_14partition_implILS8_3ELb0ES6_jNS0_17counting_iteratorIjlEEPS9_SE_NS0_5tupleIJPjSE_EEENSF_IJSE_SE_EEES9_SG_JZNS1_25segmented_radix_sort_implINS0_14default_configELb1EPKsPsPKlPlN2at6native12_GLOBAL__N_18offset_tEEE10hipError_tPvRmT1_PNSt15iterator_traitsISY_E10value_typeET2_T3_PNSZ_IS14_E10value_typeET4_jRbjT5_S1A_jjP12ihipStream_tbEUljE_EEESV_SW_SX_S14_S18_S1A_T6_T7_T9_mT8_S1C_bDpT10_ENKUlT_T0_E_clISt17integral_constantIbLb1EES1O_IbLb0EEEEDaS1K_S1L_EUlS1K_E_NS1_11comp_targetILNS1_3genE2ELNS1_11target_archE906ELNS1_3gpuE6ELNS1_3repE0EEENS1_30default_config_static_selectorELNS0_4arch9wavefront6targetE0EEEvSY_.num_named_barrier, 0
	.set _ZN7rocprim17ROCPRIM_400000_NS6detail17trampoline_kernelINS0_13select_configILj256ELj13ELNS0_17block_load_methodE3ELS4_3ELS4_3ELNS0_20block_scan_algorithmE0ELj4294967295EEENS1_25partition_config_selectorILNS1_17partition_subalgoE3EjNS0_10empty_typeEbEEZZNS1_14partition_implILS8_3ELb0ES6_jNS0_17counting_iteratorIjlEEPS9_SE_NS0_5tupleIJPjSE_EEENSF_IJSE_SE_EEES9_SG_JZNS1_25segmented_radix_sort_implINS0_14default_configELb1EPKsPsPKlPlN2at6native12_GLOBAL__N_18offset_tEEE10hipError_tPvRmT1_PNSt15iterator_traitsISY_E10value_typeET2_T3_PNSZ_IS14_E10value_typeET4_jRbjT5_S1A_jjP12ihipStream_tbEUljE_EEESV_SW_SX_S14_S18_S1A_T6_T7_T9_mT8_S1C_bDpT10_ENKUlT_T0_E_clISt17integral_constantIbLb1EES1O_IbLb0EEEEDaS1K_S1L_EUlS1K_E_NS1_11comp_targetILNS1_3genE2ELNS1_11target_archE906ELNS1_3gpuE6ELNS1_3repE0EEENS1_30default_config_static_selectorELNS0_4arch9wavefront6targetE0EEEvSY_.private_seg_size, 0
	.set _ZN7rocprim17ROCPRIM_400000_NS6detail17trampoline_kernelINS0_13select_configILj256ELj13ELNS0_17block_load_methodE3ELS4_3ELS4_3ELNS0_20block_scan_algorithmE0ELj4294967295EEENS1_25partition_config_selectorILNS1_17partition_subalgoE3EjNS0_10empty_typeEbEEZZNS1_14partition_implILS8_3ELb0ES6_jNS0_17counting_iteratorIjlEEPS9_SE_NS0_5tupleIJPjSE_EEENSF_IJSE_SE_EEES9_SG_JZNS1_25segmented_radix_sort_implINS0_14default_configELb1EPKsPsPKlPlN2at6native12_GLOBAL__N_18offset_tEEE10hipError_tPvRmT1_PNSt15iterator_traitsISY_E10value_typeET2_T3_PNSZ_IS14_E10value_typeET4_jRbjT5_S1A_jjP12ihipStream_tbEUljE_EEESV_SW_SX_S14_S18_S1A_T6_T7_T9_mT8_S1C_bDpT10_ENKUlT_T0_E_clISt17integral_constantIbLb1EES1O_IbLb0EEEEDaS1K_S1L_EUlS1K_E_NS1_11comp_targetILNS1_3genE2ELNS1_11target_archE906ELNS1_3gpuE6ELNS1_3repE0EEENS1_30default_config_static_selectorELNS0_4arch9wavefront6targetE0EEEvSY_.uses_vcc, 0
	.set _ZN7rocprim17ROCPRIM_400000_NS6detail17trampoline_kernelINS0_13select_configILj256ELj13ELNS0_17block_load_methodE3ELS4_3ELS4_3ELNS0_20block_scan_algorithmE0ELj4294967295EEENS1_25partition_config_selectorILNS1_17partition_subalgoE3EjNS0_10empty_typeEbEEZZNS1_14partition_implILS8_3ELb0ES6_jNS0_17counting_iteratorIjlEEPS9_SE_NS0_5tupleIJPjSE_EEENSF_IJSE_SE_EEES9_SG_JZNS1_25segmented_radix_sort_implINS0_14default_configELb1EPKsPsPKlPlN2at6native12_GLOBAL__N_18offset_tEEE10hipError_tPvRmT1_PNSt15iterator_traitsISY_E10value_typeET2_T3_PNSZ_IS14_E10value_typeET4_jRbjT5_S1A_jjP12ihipStream_tbEUljE_EEESV_SW_SX_S14_S18_S1A_T6_T7_T9_mT8_S1C_bDpT10_ENKUlT_T0_E_clISt17integral_constantIbLb1EES1O_IbLb0EEEEDaS1K_S1L_EUlS1K_E_NS1_11comp_targetILNS1_3genE2ELNS1_11target_archE906ELNS1_3gpuE6ELNS1_3repE0EEENS1_30default_config_static_selectorELNS0_4arch9wavefront6targetE0EEEvSY_.uses_flat_scratch, 0
	.set _ZN7rocprim17ROCPRIM_400000_NS6detail17trampoline_kernelINS0_13select_configILj256ELj13ELNS0_17block_load_methodE3ELS4_3ELS4_3ELNS0_20block_scan_algorithmE0ELj4294967295EEENS1_25partition_config_selectorILNS1_17partition_subalgoE3EjNS0_10empty_typeEbEEZZNS1_14partition_implILS8_3ELb0ES6_jNS0_17counting_iteratorIjlEEPS9_SE_NS0_5tupleIJPjSE_EEENSF_IJSE_SE_EEES9_SG_JZNS1_25segmented_radix_sort_implINS0_14default_configELb1EPKsPsPKlPlN2at6native12_GLOBAL__N_18offset_tEEE10hipError_tPvRmT1_PNSt15iterator_traitsISY_E10value_typeET2_T3_PNSZ_IS14_E10value_typeET4_jRbjT5_S1A_jjP12ihipStream_tbEUljE_EEESV_SW_SX_S14_S18_S1A_T6_T7_T9_mT8_S1C_bDpT10_ENKUlT_T0_E_clISt17integral_constantIbLb1EES1O_IbLb0EEEEDaS1K_S1L_EUlS1K_E_NS1_11comp_targetILNS1_3genE2ELNS1_11target_archE906ELNS1_3gpuE6ELNS1_3repE0EEENS1_30default_config_static_selectorELNS0_4arch9wavefront6targetE0EEEvSY_.has_dyn_sized_stack, 0
	.set _ZN7rocprim17ROCPRIM_400000_NS6detail17trampoline_kernelINS0_13select_configILj256ELj13ELNS0_17block_load_methodE3ELS4_3ELS4_3ELNS0_20block_scan_algorithmE0ELj4294967295EEENS1_25partition_config_selectorILNS1_17partition_subalgoE3EjNS0_10empty_typeEbEEZZNS1_14partition_implILS8_3ELb0ES6_jNS0_17counting_iteratorIjlEEPS9_SE_NS0_5tupleIJPjSE_EEENSF_IJSE_SE_EEES9_SG_JZNS1_25segmented_radix_sort_implINS0_14default_configELb1EPKsPsPKlPlN2at6native12_GLOBAL__N_18offset_tEEE10hipError_tPvRmT1_PNSt15iterator_traitsISY_E10value_typeET2_T3_PNSZ_IS14_E10value_typeET4_jRbjT5_S1A_jjP12ihipStream_tbEUljE_EEESV_SW_SX_S14_S18_S1A_T6_T7_T9_mT8_S1C_bDpT10_ENKUlT_T0_E_clISt17integral_constantIbLb1EES1O_IbLb0EEEEDaS1K_S1L_EUlS1K_E_NS1_11comp_targetILNS1_3genE2ELNS1_11target_archE906ELNS1_3gpuE6ELNS1_3repE0EEENS1_30default_config_static_selectorELNS0_4arch9wavefront6targetE0EEEvSY_.has_recursion, 0
	.set _ZN7rocprim17ROCPRIM_400000_NS6detail17trampoline_kernelINS0_13select_configILj256ELj13ELNS0_17block_load_methodE3ELS4_3ELS4_3ELNS0_20block_scan_algorithmE0ELj4294967295EEENS1_25partition_config_selectorILNS1_17partition_subalgoE3EjNS0_10empty_typeEbEEZZNS1_14partition_implILS8_3ELb0ES6_jNS0_17counting_iteratorIjlEEPS9_SE_NS0_5tupleIJPjSE_EEENSF_IJSE_SE_EEES9_SG_JZNS1_25segmented_radix_sort_implINS0_14default_configELb1EPKsPsPKlPlN2at6native12_GLOBAL__N_18offset_tEEE10hipError_tPvRmT1_PNSt15iterator_traitsISY_E10value_typeET2_T3_PNSZ_IS14_E10value_typeET4_jRbjT5_S1A_jjP12ihipStream_tbEUljE_EEESV_SW_SX_S14_S18_S1A_T6_T7_T9_mT8_S1C_bDpT10_ENKUlT_T0_E_clISt17integral_constantIbLb1EES1O_IbLb0EEEEDaS1K_S1L_EUlS1K_E_NS1_11comp_targetILNS1_3genE2ELNS1_11target_archE906ELNS1_3gpuE6ELNS1_3repE0EEENS1_30default_config_static_selectorELNS0_4arch9wavefront6targetE0EEEvSY_.has_indirect_call, 0
	.section	.AMDGPU.csdata,"",@progbits
; Kernel info:
; codeLenInByte = 0
; TotalNumSgprs: 0
; NumVgprs: 0
; ScratchSize: 0
; MemoryBound: 0
; FloatMode: 240
; IeeeMode: 1
; LDSByteSize: 0 bytes/workgroup (compile time only)
; SGPRBlocks: 0
; VGPRBlocks: 0
; NumSGPRsForWavesPerEU: 1
; NumVGPRsForWavesPerEU: 1
; NamedBarCnt: 0
; Occupancy: 16
; WaveLimiterHint : 0
; COMPUTE_PGM_RSRC2:SCRATCH_EN: 0
; COMPUTE_PGM_RSRC2:USER_SGPR: 2
; COMPUTE_PGM_RSRC2:TRAP_HANDLER: 0
; COMPUTE_PGM_RSRC2:TGID_X_EN: 1
; COMPUTE_PGM_RSRC2:TGID_Y_EN: 0
; COMPUTE_PGM_RSRC2:TGID_Z_EN: 0
; COMPUTE_PGM_RSRC2:TIDIG_COMP_CNT: 0
	.section	.text._ZN7rocprim17ROCPRIM_400000_NS6detail17trampoline_kernelINS0_13select_configILj256ELj13ELNS0_17block_load_methodE3ELS4_3ELS4_3ELNS0_20block_scan_algorithmE0ELj4294967295EEENS1_25partition_config_selectorILNS1_17partition_subalgoE3EjNS0_10empty_typeEbEEZZNS1_14partition_implILS8_3ELb0ES6_jNS0_17counting_iteratorIjlEEPS9_SE_NS0_5tupleIJPjSE_EEENSF_IJSE_SE_EEES9_SG_JZNS1_25segmented_radix_sort_implINS0_14default_configELb1EPKsPsPKlPlN2at6native12_GLOBAL__N_18offset_tEEE10hipError_tPvRmT1_PNSt15iterator_traitsISY_E10value_typeET2_T3_PNSZ_IS14_E10value_typeET4_jRbjT5_S1A_jjP12ihipStream_tbEUljE_EEESV_SW_SX_S14_S18_S1A_T6_T7_T9_mT8_S1C_bDpT10_ENKUlT_T0_E_clISt17integral_constantIbLb1EES1O_IbLb0EEEEDaS1K_S1L_EUlS1K_E_NS1_11comp_targetILNS1_3genE10ELNS1_11target_archE1200ELNS1_3gpuE4ELNS1_3repE0EEENS1_30default_config_static_selectorELNS0_4arch9wavefront6targetE0EEEvSY_,"axG",@progbits,_ZN7rocprim17ROCPRIM_400000_NS6detail17trampoline_kernelINS0_13select_configILj256ELj13ELNS0_17block_load_methodE3ELS4_3ELS4_3ELNS0_20block_scan_algorithmE0ELj4294967295EEENS1_25partition_config_selectorILNS1_17partition_subalgoE3EjNS0_10empty_typeEbEEZZNS1_14partition_implILS8_3ELb0ES6_jNS0_17counting_iteratorIjlEEPS9_SE_NS0_5tupleIJPjSE_EEENSF_IJSE_SE_EEES9_SG_JZNS1_25segmented_radix_sort_implINS0_14default_configELb1EPKsPsPKlPlN2at6native12_GLOBAL__N_18offset_tEEE10hipError_tPvRmT1_PNSt15iterator_traitsISY_E10value_typeET2_T3_PNSZ_IS14_E10value_typeET4_jRbjT5_S1A_jjP12ihipStream_tbEUljE_EEESV_SW_SX_S14_S18_S1A_T6_T7_T9_mT8_S1C_bDpT10_ENKUlT_T0_E_clISt17integral_constantIbLb1EES1O_IbLb0EEEEDaS1K_S1L_EUlS1K_E_NS1_11comp_targetILNS1_3genE10ELNS1_11target_archE1200ELNS1_3gpuE4ELNS1_3repE0EEENS1_30default_config_static_selectorELNS0_4arch9wavefront6targetE0EEEvSY_,comdat
	.globl	_ZN7rocprim17ROCPRIM_400000_NS6detail17trampoline_kernelINS0_13select_configILj256ELj13ELNS0_17block_load_methodE3ELS4_3ELS4_3ELNS0_20block_scan_algorithmE0ELj4294967295EEENS1_25partition_config_selectorILNS1_17partition_subalgoE3EjNS0_10empty_typeEbEEZZNS1_14partition_implILS8_3ELb0ES6_jNS0_17counting_iteratorIjlEEPS9_SE_NS0_5tupleIJPjSE_EEENSF_IJSE_SE_EEES9_SG_JZNS1_25segmented_radix_sort_implINS0_14default_configELb1EPKsPsPKlPlN2at6native12_GLOBAL__N_18offset_tEEE10hipError_tPvRmT1_PNSt15iterator_traitsISY_E10value_typeET2_T3_PNSZ_IS14_E10value_typeET4_jRbjT5_S1A_jjP12ihipStream_tbEUljE_EEESV_SW_SX_S14_S18_S1A_T6_T7_T9_mT8_S1C_bDpT10_ENKUlT_T0_E_clISt17integral_constantIbLb1EES1O_IbLb0EEEEDaS1K_S1L_EUlS1K_E_NS1_11comp_targetILNS1_3genE10ELNS1_11target_archE1200ELNS1_3gpuE4ELNS1_3repE0EEENS1_30default_config_static_selectorELNS0_4arch9wavefront6targetE0EEEvSY_ ; -- Begin function _ZN7rocprim17ROCPRIM_400000_NS6detail17trampoline_kernelINS0_13select_configILj256ELj13ELNS0_17block_load_methodE3ELS4_3ELS4_3ELNS0_20block_scan_algorithmE0ELj4294967295EEENS1_25partition_config_selectorILNS1_17partition_subalgoE3EjNS0_10empty_typeEbEEZZNS1_14partition_implILS8_3ELb0ES6_jNS0_17counting_iteratorIjlEEPS9_SE_NS0_5tupleIJPjSE_EEENSF_IJSE_SE_EEES9_SG_JZNS1_25segmented_radix_sort_implINS0_14default_configELb1EPKsPsPKlPlN2at6native12_GLOBAL__N_18offset_tEEE10hipError_tPvRmT1_PNSt15iterator_traitsISY_E10value_typeET2_T3_PNSZ_IS14_E10value_typeET4_jRbjT5_S1A_jjP12ihipStream_tbEUljE_EEESV_SW_SX_S14_S18_S1A_T6_T7_T9_mT8_S1C_bDpT10_ENKUlT_T0_E_clISt17integral_constantIbLb1EES1O_IbLb0EEEEDaS1K_S1L_EUlS1K_E_NS1_11comp_targetILNS1_3genE10ELNS1_11target_archE1200ELNS1_3gpuE4ELNS1_3repE0EEENS1_30default_config_static_selectorELNS0_4arch9wavefront6targetE0EEEvSY_
	.p2align	8
	.type	_ZN7rocprim17ROCPRIM_400000_NS6detail17trampoline_kernelINS0_13select_configILj256ELj13ELNS0_17block_load_methodE3ELS4_3ELS4_3ELNS0_20block_scan_algorithmE0ELj4294967295EEENS1_25partition_config_selectorILNS1_17partition_subalgoE3EjNS0_10empty_typeEbEEZZNS1_14partition_implILS8_3ELb0ES6_jNS0_17counting_iteratorIjlEEPS9_SE_NS0_5tupleIJPjSE_EEENSF_IJSE_SE_EEES9_SG_JZNS1_25segmented_radix_sort_implINS0_14default_configELb1EPKsPsPKlPlN2at6native12_GLOBAL__N_18offset_tEEE10hipError_tPvRmT1_PNSt15iterator_traitsISY_E10value_typeET2_T3_PNSZ_IS14_E10value_typeET4_jRbjT5_S1A_jjP12ihipStream_tbEUljE_EEESV_SW_SX_S14_S18_S1A_T6_T7_T9_mT8_S1C_bDpT10_ENKUlT_T0_E_clISt17integral_constantIbLb1EES1O_IbLb0EEEEDaS1K_S1L_EUlS1K_E_NS1_11comp_targetILNS1_3genE10ELNS1_11target_archE1200ELNS1_3gpuE4ELNS1_3repE0EEENS1_30default_config_static_selectorELNS0_4arch9wavefront6targetE0EEEvSY_,@function
_ZN7rocprim17ROCPRIM_400000_NS6detail17trampoline_kernelINS0_13select_configILj256ELj13ELNS0_17block_load_methodE3ELS4_3ELS4_3ELNS0_20block_scan_algorithmE0ELj4294967295EEENS1_25partition_config_selectorILNS1_17partition_subalgoE3EjNS0_10empty_typeEbEEZZNS1_14partition_implILS8_3ELb0ES6_jNS0_17counting_iteratorIjlEEPS9_SE_NS0_5tupleIJPjSE_EEENSF_IJSE_SE_EEES9_SG_JZNS1_25segmented_radix_sort_implINS0_14default_configELb1EPKsPsPKlPlN2at6native12_GLOBAL__N_18offset_tEEE10hipError_tPvRmT1_PNSt15iterator_traitsISY_E10value_typeET2_T3_PNSZ_IS14_E10value_typeET4_jRbjT5_S1A_jjP12ihipStream_tbEUljE_EEESV_SW_SX_S14_S18_S1A_T6_T7_T9_mT8_S1C_bDpT10_ENKUlT_T0_E_clISt17integral_constantIbLb1EES1O_IbLb0EEEEDaS1K_S1L_EUlS1K_E_NS1_11comp_targetILNS1_3genE10ELNS1_11target_archE1200ELNS1_3gpuE4ELNS1_3repE0EEENS1_30default_config_static_selectorELNS0_4arch9wavefront6targetE0EEEvSY_: ; @_ZN7rocprim17ROCPRIM_400000_NS6detail17trampoline_kernelINS0_13select_configILj256ELj13ELNS0_17block_load_methodE3ELS4_3ELS4_3ELNS0_20block_scan_algorithmE0ELj4294967295EEENS1_25partition_config_selectorILNS1_17partition_subalgoE3EjNS0_10empty_typeEbEEZZNS1_14partition_implILS8_3ELb0ES6_jNS0_17counting_iteratorIjlEEPS9_SE_NS0_5tupleIJPjSE_EEENSF_IJSE_SE_EEES9_SG_JZNS1_25segmented_radix_sort_implINS0_14default_configELb1EPKsPsPKlPlN2at6native12_GLOBAL__N_18offset_tEEE10hipError_tPvRmT1_PNSt15iterator_traitsISY_E10value_typeET2_T3_PNSZ_IS14_E10value_typeET4_jRbjT5_S1A_jjP12ihipStream_tbEUljE_EEESV_SW_SX_S14_S18_S1A_T6_T7_T9_mT8_S1C_bDpT10_ENKUlT_T0_E_clISt17integral_constantIbLb1EES1O_IbLb0EEEEDaS1K_S1L_EUlS1K_E_NS1_11comp_targetILNS1_3genE10ELNS1_11target_archE1200ELNS1_3gpuE4ELNS1_3repE0EEENS1_30default_config_static_selectorELNS0_4arch9wavefront6targetE0EEEvSY_
; %bb.0:
	.section	.rodata,"a",@progbits
	.p2align	6, 0x0
	.amdhsa_kernel _ZN7rocprim17ROCPRIM_400000_NS6detail17trampoline_kernelINS0_13select_configILj256ELj13ELNS0_17block_load_methodE3ELS4_3ELS4_3ELNS0_20block_scan_algorithmE0ELj4294967295EEENS1_25partition_config_selectorILNS1_17partition_subalgoE3EjNS0_10empty_typeEbEEZZNS1_14partition_implILS8_3ELb0ES6_jNS0_17counting_iteratorIjlEEPS9_SE_NS0_5tupleIJPjSE_EEENSF_IJSE_SE_EEES9_SG_JZNS1_25segmented_radix_sort_implINS0_14default_configELb1EPKsPsPKlPlN2at6native12_GLOBAL__N_18offset_tEEE10hipError_tPvRmT1_PNSt15iterator_traitsISY_E10value_typeET2_T3_PNSZ_IS14_E10value_typeET4_jRbjT5_S1A_jjP12ihipStream_tbEUljE_EEESV_SW_SX_S14_S18_S1A_T6_T7_T9_mT8_S1C_bDpT10_ENKUlT_T0_E_clISt17integral_constantIbLb1EES1O_IbLb0EEEEDaS1K_S1L_EUlS1K_E_NS1_11comp_targetILNS1_3genE10ELNS1_11target_archE1200ELNS1_3gpuE4ELNS1_3repE0EEENS1_30default_config_static_selectorELNS0_4arch9wavefront6targetE0EEEvSY_
		.amdhsa_group_segment_fixed_size 0
		.amdhsa_private_segment_fixed_size 0
		.amdhsa_kernarg_size 144
		.amdhsa_user_sgpr_count 2
		.amdhsa_user_sgpr_dispatch_ptr 0
		.amdhsa_user_sgpr_queue_ptr 0
		.amdhsa_user_sgpr_kernarg_segment_ptr 1
		.amdhsa_user_sgpr_dispatch_id 0
		.amdhsa_user_sgpr_kernarg_preload_length 0
		.amdhsa_user_sgpr_kernarg_preload_offset 0
		.amdhsa_user_sgpr_private_segment_size 0
		.amdhsa_wavefront_size32 1
		.amdhsa_uses_dynamic_stack 0
		.amdhsa_enable_private_segment 0
		.amdhsa_system_sgpr_workgroup_id_x 1
		.amdhsa_system_sgpr_workgroup_id_y 0
		.amdhsa_system_sgpr_workgroup_id_z 0
		.amdhsa_system_sgpr_workgroup_info 0
		.amdhsa_system_vgpr_workitem_id 0
		.amdhsa_next_free_vgpr 1
		.amdhsa_next_free_sgpr 1
		.amdhsa_named_barrier_count 0
		.amdhsa_reserve_vcc 0
		.amdhsa_float_round_mode_32 0
		.amdhsa_float_round_mode_16_64 0
		.amdhsa_float_denorm_mode_32 3
		.amdhsa_float_denorm_mode_16_64 3
		.amdhsa_fp16_overflow 0
		.amdhsa_memory_ordered 1
		.amdhsa_forward_progress 1
		.amdhsa_inst_pref_size 0
		.amdhsa_round_robin_scheduling 0
		.amdhsa_exception_fp_ieee_invalid_op 0
		.amdhsa_exception_fp_denorm_src 0
		.amdhsa_exception_fp_ieee_div_zero 0
		.amdhsa_exception_fp_ieee_overflow 0
		.amdhsa_exception_fp_ieee_underflow 0
		.amdhsa_exception_fp_ieee_inexact 0
		.amdhsa_exception_int_div_zero 0
	.end_amdhsa_kernel
	.section	.text._ZN7rocprim17ROCPRIM_400000_NS6detail17trampoline_kernelINS0_13select_configILj256ELj13ELNS0_17block_load_methodE3ELS4_3ELS4_3ELNS0_20block_scan_algorithmE0ELj4294967295EEENS1_25partition_config_selectorILNS1_17partition_subalgoE3EjNS0_10empty_typeEbEEZZNS1_14partition_implILS8_3ELb0ES6_jNS0_17counting_iteratorIjlEEPS9_SE_NS0_5tupleIJPjSE_EEENSF_IJSE_SE_EEES9_SG_JZNS1_25segmented_radix_sort_implINS0_14default_configELb1EPKsPsPKlPlN2at6native12_GLOBAL__N_18offset_tEEE10hipError_tPvRmT1_PNSt15iterator_traitsISY_E10value_typeET2_T3_PNSZ_IS14_E10value_typeET4_jRbjT5_S1A_jjP12ihipStream_tbEUljE_EEESV_SW_SX_S14_S18_S1A_T6_T7_T9_mT8_S1C_bDpT10_ENKUlT_T0_E_clISt17integral_constantIbLb1EES1O_IbLb0EEEEDaS1K_S1L_EUlS1K_E_NS1_11comp_targetILNS1_3genE10ELNS1_11target_archE1200ELNS1_3gpuE4ELNS1_3repE0EEENS1_30default_config_static_selectorELNS0_4arch9wavefront6targetE0EEEvSY_,"axG",@progbits,_ZN7rocprim17ROCPRIM_400000_NS6detail17trampoline_kernelINS0_13select_configILj256ELj13ELNS0_17block_load_methodE3ELS4_3ELS4_3ELNS0_20block_scan_algorithmE0ELj4294967295EEENS1_25partition_config_selectorILNS1_17partition_subalgoE3EjNS0_10empty_typeEbEEZZNS1_14partition_implILS8_3ELb0ES6_jNS0_17counting_iteratorIjlEEPS9_SE_NS0_5tupleIJPjSE_EEENSF_IJSE_SE_EEES9_SG_JZNS1_25segmented_radix_sort_implINS0_14default_configELb1EPKsPsPKlPlN2at6native12_GLOBAL__N_18offset_tEEE10hipError_tPvRmT1_PNSt15iterator_traitsISY_E10value_typeET2_T3_PNSZ_IS14_E10value_typeET4_jRbjT5_S1A_jjP12ihipStream_tbEUljE_EEESV_SW_SX_S14_S18_S1A_T6_T7_T9_mT8_S1C_bDpT10_ENKUlT_T0_E_clISt17integral_constantIbLb1EES1O_IbLb0EEEEDaS1K_S1L_EUlS1K_E_NS1_11comp_targetILNS1_3genE10ELNS1_11target_archE1200ELNS1_3gpuE4ELNS1_3repE0EEENS1_30default_config_static_selectorELNS0_4arch9wavefront6targetE0EEEvSY_,comdat
.Lfunc_end896:
	.size	_ZN7rocprim17ROCPRIM_400000_NS6detail17trampoline_kernelINS0_13select_configILj256ELj13ELNS0_17block_load_methodE3ELS4_3ELS4_3ELNS0_20block_scan_algorithmE0ELj4294967295EEENS1_25partition_config_selectorILNS1_17partition_subalgoE3EjNS0_10empty_typeEbEEZZNS1_14partition_implILS8_3ELb0ES6_jNS0_17counting_iteratorIjlEEPS9_SE_NS0_5tupleIJPjSE_EEENSF_IJSE_SE_EEES9_SG_JZNS1_25segmented_radix_sort_implINS0_14default_configELb1EPKsPsPKlPlN2at6native12_GLOBAL__N_18offset_tEEE10hipError_tPvRmT1_PNSt15iterator_traitsISY_E10value_typeET2_T3_PNSZ_IS14_E10value_typeET4_jRbjT5_S1A_jjP12ihipStream_tbEUljE_EEESV_SW_SX_S14_S18_S1A_T6_T7_T9_mT8_S1C_bDpT10_ENKUlT_T0_E_clISt17integral_constantIbLb1EES1O_IbLb0EEEEDaS1K_S1L_EUlS1K_E_NS1_11comp_targetILNS1_3genE10ELNS1_11target_archE1200ELNS1_3gpuE4ELNS1_3repE0EEENS1_30default_config_static_selectorELNS0_4arch9wavefront6targetE0EEEvSY_, .Lfunc_end896-_ZN7rocprim17ROCPRIM_400000_NS6detail17trampoline_kernelINS0_13select_configILj256ELj13ELNS0_17block_load_methodE3ELS4_3ELS4_3ELNS0_20block_scan_algorithmE0ELj4294967295EEENS1_25partition_config_selectorILNS1_17partition_subalgoE3EjNS0_10empty_typeEbEEZZNS1_14partition_implILS8_3ELb0ES6_jNS0_17counting_iteratorIjlEEPS9_SE_NS0_5tupleIJPjSE_EEENSF_IJSE_SE_EEES9_SG_JZNS1_25segmented_radix_sort_implINS0_14default_configELb1EPKsPsPKlPlN2at6native12_GLOBAL__N_18offset_tEEE10hipError_tPvRmT1_PNSt15iterator_traitsISY_E10value_typeET2_T3_PNSZ_IS14_E10value_typeET4_jRbjT5_S1A_jjP12ihipStream_tbEUljE_EEESV_SW_SX_S14_S18_S1A_T6_T7_T9_mT8_S1C_bDpT10_ENKUlT_T0_E_clISt17integral_constantIbLb1EES1O_IbLb0EEEEDaS1K_S1L_EUlS1K_E_NS1_11comp_targetILNS1_3genE10ELNS1_11target_archE1200ELNS1_3gpuE4ELNS1_3repE0EEENS1_30default_config_static_selectorELNS0_4arch9wavefront6targetE0EEEvSY_
                                        ; -- End function
	.set _ZN7rocprim17ROCPRIM_400000_NS6detail17trampoline_kernelINS0_13select_configILj256ELj13ELNS0_17block_load_methodE3ELS4_3ELS4_3ELNS0_20block_scan_algorithmE0ELj4294967295EEENS1_25partition_config_selectorILNS1_17partition_subalgoE3EjNS0_10empty_typeEbEEZZNS1_14partition_implILS8_3ELb0ES6_jNS0_17counting_iteratorIjlEEPS9_SE_NS0_5tupleIJPjSE_EEENSF_IJSE_SE_EEES9_SG_JZNS1_25segmented_radix_sort_implINS0_14default_configELb1EPKsPsPKlPlN2at6native12_GLOBAL__N_18offset_tEEE10hipError_tPvRmT1_PNSt15iterator_traitsISY_E10value_typeET2_T3_PNSZ_IS14_E10value_typeET4_jRbjT5_S1A_jjP12ihipStream_tbEUljE_EEESV_SW_SX_S14_S18_S1A_T6_T7_T9_mT8_S1C_bDpT10_ENKUlT_T0_E_clISt17integral_constantIbLb1EES1O_IbLb0EEEEDaS1K_S1L_EUlS1K_E_NS1_11comp_targetILNS1_3genE10ELNS1_11target_archE1200ELNS1_3gpuE4ELNS1_3repE0EEENS1_30default_config_static_selectorELNS0_4arch9wavefront6targetE0EEEvSY_.num_vgpr, 0
	.set _ZN7rocprim17ROCPRIM_400000_NS6detail17trampoline_kernelINS0_13select_configILj256ELj13ELNS0_17block_load_methodE3ELS4_3ELS4_3ELNS0_20block_scan_algorithmE0ELj4294967295EEENS1_25partition_config_selectorILNS1_17partition_subalgoE3EjNS0_10empty_typeEbEEZZNS1_14partition_implILS8_3ELb0ES6_jNS0_17counting_iteratorIjlEEPS9_SE_NS0_5tupleIJPjSE_EEENSF_IJSE_SE_EEES9_SG_JZNS1_25segmented_radix_sort_implINS0_14default_configELb1EPKsPsPKlPlN2at6native12_GLOBAL__N_18offset_tEEE10hipError_tPvRmT1_PNSt15iterator_traitsISY_E10value_typeET2_T3_PNSZ_IS14_E10value_typeET4_jRbjT5_S1A_jjP12ihipStream_tbEUljE_EEESV_SW_SX_S14_S18_S1A_T6_T7_T9_mT8_S1C_bDpT10_ENKUlT_T0_E_clISt17integral_constantIbLb1EES1O_IbLb0EEEEDaS1K_S1L_EUlS1K_E_NS1_11comp_targetILNS1_3genE10ELNS1_11target_archE1200ELNS1_3gpuE4ELNS1_3repE0EEENS1_30default_config_static_selectorELNS0_4arch9wavefront6targetE0EEEvSY_.num_agpr, 0
	.set _ZN7rocprim17ROCPRIM_400000_NS6detail17trampoline_kernelINS0_13select_configILj256ELj13ELNS0_17block_load_methodE3ELS4_3ELS4_3ELNS0_20block_scan_algorithmE0ELj4294967295EEENS1_25partition_config_selectorILNS1_17partition_subalgoE3EjNS0_10empty_typeEbEEZZNS1_14partition_implILS8_3ELb0ES6_jNS0_17counting_iteratorIjlEEPS9_SE_NS0_5tupleIJPjSE_EEENSF_IJSE_SE_EEES9_SG_JZNS1_25segmented_radix_sort_implINS0_14default_configELb1EPKsPsPKlPlN2at6native12_GLOBAL__N_18offset_tEEE10hipError_tPvRmT1_PNSt15iterator_traitsISY_E10value_typeET2_T3_PNSZ_IS14_E10value_typeET4_jRbjT5_S1A_jjP12ihipStream_tbEUljE_EEESV_SW_SX_S14_S18_S1A_T6_T7_T9_mT8_S1C_bDpT10_ENKUlT_T0_E_clISt17integral_constantIbLb1EES1O_IbLb0EEEEDaS1K_S1L_EUlS1K_E_NS1_11comp_targetILNS1_3genE10ELNS1_11target_archE1200ELNS1_3gpuE4ELNS1_3repE0EEENS1_30default_config_static_selectorELNS0_4arch9wavefront6targetE0EEEvSY_.numbered_sgpr, 0
	.set _ZN7rocprim17ROCPRIM_400000_NS6detail17trampoline_kernelINS0_13select_configILj256ELj13ELNS0_17block_load_methodE3ELS4_3ELS4_3ELNS0_20block_scan_algorithmE0ELj4294967295EEENS1_25partition_config_selectorILNS1_17partition_subalgoE3EjNS0_10empty_typeEbEEZZNS1_14partition_implILS8_3ELb0ES6_jNS0_17counting_iteratorIjlEEPS9_SE_NS0_5tupleIJPjSE_EEENSF_IJSE_SE_EEES9_SG_JZNS1_25segmented_radix_sort_implINS0_14default_configELb1EPKsPsPKlPlN2at6native12_GLOBAL__N_18offset_tEEE10hipError_tPvRmT1_PNSt15iterator_traitsISY_E10value_typeET2_T3_PNSZ_IS14_E10value_typeET4_jRbjT5_S1A_jjP12ihipStream_tbEUljE_EEESV_SW_SX_S14_S18_S1A_T6_T7_T9_mT8_S1C_bDpT10_ENKUlT_T0_E_clISt17integral_constantIbLb1EES1O_IbLb0EEEEDaS1K_S1L_EUlS1K_E_NS1_11comp_targetILNS1_3genE10ELNS1_11target_archE1200ELNS1_3gpuE4ELNS1_3repE0EEENS1_30default_config_static_selectorELNS0_4arch9wavefront6targetE0EEEvSY_.num_named_barrier, 0
	.set _ZN7rocprim17ROCPRIM_400000_NS6detail17trampoline_kernelINS0_13select_configILj256ELj13ELNS0_17block_load_methodE3ELS4_3ELS4_3ELNS0_20block_scan_algorithmE0ELj4294967295EEENS1_25partition_config_selectorILNS1_17partition_subalgoE3EjNS0_10empty_typeEbEEZZNS1_14partition_implILS8_3ELb0ES6_jNS0_17counting_iteratorIjlEEPS9_SE_NS0_5tupleIJPjSE_EEENSF_IJSE_SE_EEES9_SG_JZNS1_25segmented_radix_sort_implINS0_14default_configELb1EPKsPsPKlPlN2at6native12_GLOBAL__N_18offset_tEEE10hipError_tPvRmT1_PNSt15iterator_traitsISY_E10value_typeET2_T3_PNSZ_IS14_E10value_typeET4_jRbjT5_S1A_jjP12ihipStream_tbEUljE_EEESV_SW_SX_S14_S18_S1A_T6_T7_T9_mT8_S1C_bDpT10_ENKUlT_T0_E_clISt17integral_constantIbLb1EES1O_IbLb0EEEEDaS1K_S1L_EUlS1K_E_NS1_11comp_targetILNS1_3genE10ELNS1_11target_archE1200ELNS1_3gpuE4ELNS1_3repE0EEENS1_30default_config_static_selectorELNS0_4arch9wavefront6targetE0EEEvSY_.private_seg_size, 0
	.set _ZN7rocprim17ROCPRIM_400000_NS6detail17trampoline_kernelINS0_13select_configILj256ELj13ELNS0_17block_load_methodE3ELS4_3ELS4_3ELNS0_20block_scan_algorithmE0ELj4294967295EEENS1_25partition_config_selectorILNS1_17partition_subalgoE3EjNS0_10empty_typeEbEEZZNS1_14partition_implILS8_3ELb0ES6_jNS0_17counting_iteratorIjlEEPS9_SE_NS0_5tupleIJPjSE_EEENSF_IJSE_SE_EEES9_SG_JZNS1_25segmented_radix_sort_implINS0_14default_configELb1EPKsPsPKlPlN2at6native12_GLOBAL__N_18offset_tEEE10hipError_tPvRmT1_PNSt15iterator_traitsISY_E10value_typeET2_T3_PNSZ_IS14_E10value_typeET4_jRbjT5_S1A_jjP12ihipStream_tbEUljE_EEESV_SW_SX_S14_S18_S1A_T6_T7_T9_mT8_S1C_bDpT10_ENKUlT_T0_E_clISt17integral_constantIbLb1EES1O_IbLb0EEEEDaS1K_S1L_EUlS1K_E_NS1_11comp_targetILNS1_3genE10ELNS1_11target_archE1200ELNS1_3gpuE4ELNS1_3repE0EEENS1_30default_config_static_selectorELNS0_4arch9wavefront6targetE0EEEvSY_.uses_vcc, 0
	.set _ZN7rocprim17ROCPRIM_400000_NS6detail17trampoline_kernelINS0_13select_configILj256ELj13ELNS0_17block_load_methodE3ELS4_3ELS4_3ELNS0_20block_scan_algorithmE0ELj4294967295EEENS1_25partition_config_selectorILNS1_17partition_subalgoE3EjNS0_10empty_typeEbEEZZNS1_14partition_implILS8_3ELb0ES6_jNS0_17counting_iteratorIjlEEPS9_SE_NS0_5tupleIJPjSE_EEENSF_IJSE_SE_EEES9_SG_JZNS1_25segmented_radix_sort_implINS0_14default_configELb1EPKsPsPKlPlN2at6native12_GLOBAL__N_18offset_tEEE10hipError_tPvRmT1_PNSt15iterator_traitsISY_E10value_typeET2_T3_PNSZ_IS14_E10value_typeET4_jRbjT5_S1A_jjP12ihipStream_tbEUljE_EEESV_SW_SX_S14_S18_S1A_T6_T7_T9_mT8_S1C_bDpT10_ENKUlT_T0_E_clISt17integral_constantIbLb1EES1O_IbLb0EEEEDaS1K_S1L_EUlS1K_E_NS1_11comp_targetILNS1_3genE10ELNS1_11target_archE1200ELNS1_3gpuE4ELNS1_3repE0EEENS1_30default_config_static_selectorELNS0_4arch9wavefront6targetE0EEEvSY_.uses_flat_scratch, 0
	.set _ZN7rocprim17ROCPRIM_400000_NS6detail17trampoline_kernelINS0_13select_configILj256ELj13ELNS0_17block_load_methodE3ELS4_3ELS4_3ELNS0_20block_scan_algorithmE0ELj4294967295EEENS1_25partition_config_selectorILNS1_17partition_subalgoE3EjNS0_10empty_typeEbEEZZNS1_14partition_implILS8_3ELb0ES6_jNS0_17counting_iteratorIjlEEPS9_SE_NS0_5tupleIJPjSE_EEENSF_IJSE_SE_EEES9_SG_JZNS1_25segmented_radix_sort_implINS0_14default_configELb1EPKsPsPKlPlN2at6native12_GLOBAL__N_18offset_tEEE10hipError_tPvRmT1_PNSt15iterator_traitsISY_E10value_typeET2_T3_PNSZ_IS14_E10value_typeET4_jRbjT5_S1A_jjP12ihipStream_tbEUljE_EEESV_SW_SX_S14_S18_S1A_T6_T7_T9_mT8_S1C_bDpT10_ENKUlT_T0_E_clISt17integral_constantIbLb1EES1O_IbLb0EEEEDaS1K_S1L_EUlS1K_E_NS1_11comp_targetILNS1_3genE10ELNS1_11target_archE1200ELNS1_3gpuE4ELNS1_3repE0EEENS1_30default_config_static_selectorELNS0_4arch9wavefront6targetE0EEEvSY_.has_dyn_sized_stack, 0
	.set _ZN7rocprim17ROCPRIM_400000_NS6detail17trampoline_kernelINS0_13select_configILj256ELj13ELNS0_17block_load_methodE3ELS4_3ELS4_3ELNS0_20block_scan_algorithmE0ELj4294967295EEENS1_25partition_config_selectorILNS1_17partition_subalgoE3EjNS0_10empty_typeEbEEZZNS1_14partition_implILS8_3ELb0ES6_jNS0_17counting_iteratorIjlEEPS9_SE_NS0_5tupleIJPjSE_EEENSF_IJSE_SE_EEES9_SG_JZNS1_25segmented_radix_sort_implINS0_14default_configELb1EPKsPsPKlPlN2at6native12_GLOBAL__N_18offset_tEEE10hipError_tPvRmT1_PNSt15iterator_traitsISY_E10value_typeET2_T3_PNSZ_IS14_E10value_typeET4_jRbjT5_S1A_jjP12ihipStream_tbEUljE_EEESV_SW_SX_S14_S18_S1A_T6_T7_T9_mT8_S1C_bDpT10_ENKUlT_T0_E_clISt17integral_constantIbLb1EES1O_IbLb0EEEEDaS1K_S1L_EUlS1K_E_NS1_11comp_targetILNS1_3genE10ELNS1_11target_archE1200ELNS1_3gpuE4ELNS1_3repE0EEENS1_30default_config_static_selectorELNS0_4arch9wavefront6targetE0EEEvSY_.has_recursion, 0
	.set _ZN7rocprim17ROCPRIM_400000_NS6detail17trampoline_kernelINS0_13select_configILj256ELj13ELNS0_17block_load_methodE3ELS4_3ELS4_3ELNS0_20block_scan_algorithmE0ELj4294967295EEENS1_25partition_config_selectorILNS1_17partition_subalgoE3EjNS0_10empty_typeEbEEZZNS1_14partition_implILS8_3ELb0ES6_jNS0_17counting_iteratorIjlEEPS9_SE_NS0_5tupleIJPjSE_EEENSF_IJSE_SE_EEES9_SG_JZNS1_25segmented_radix_sort_implINS0_14default_configELb1EPKsPsPKlPlN2at6native12_GLOBAL__N_18offset_tEEE10hipError_tPvRmT1_PNSt15iterator_traitsISY_E10value_typeET2_T3_PNSZ_IS14_E10value_typeET4_jRbjT5_S1A_jjP12ihipStream_tbEUljE_EEESV_SW_SX_S14_S18_S1A_T6_T7_T9_mT8_S1C_bDpT10_ENKUlT_T0_E_clISt17integral_constantIbLb1EES1O_IbLb0EEEEDaS1K_S1L_EUlS1K_E_NS1_11comp_targetILNS1_3genE10ELNS1_11target_archE1200ELNS1_3gpuE4ELNS1_3repE0EEENS1_30default_config_static_selectorELNS0_4arch9wavefront6targetE0EEEvSY_.has_indirect_call, 0
	.section	.AMDGPU.csdata,"",@progbits
; Kernel info:
; codeLenInByte = 0
; TotalNumSgprs: 0
; NumVgprs: 0
; ScratchSize: 0
; MemoryBound: 0
; FloatMode: 240
; IeeeMode: 1
; LDSByteSize: 0 bytes/workgroup (compile time only)
; SGPRBlocks: 0
; VGPRBlocks: 0
; NumSGPRsForWavesPerEU: 1
; NumVGPRsForWavesPerEU: 1
; NamedBarCnt: 0
; Occupancy: 16
; WaveLimiterHint : 0
; COMPUTE_PGM_RSRC2:SCRATCH_EN: 0
; COMPUTE_PGM_RSRC2:USER_SGPR: 2
; COMPUTE_PGM_RSRC2:TRAP_HANDLER: 0
; COMPUTE_PGM_RSRC2:TGID_X_EN: 1
; COMPUTE_PGM_RSRC2:TGID_Y_EN: 0
; COMPUTE_PGM_RSRC2:TGID_Z_EN: 0
; COMPUTE_PGM_RSRC2:TIDIG_COMP_CNT: 0
	.section	.text._ZN7rocprim17ROCPRIM_400000_NS6detail17trampoline_kernelINS0_13select_configILj256ELj13ELNS0_17block_load_methodE3ELS4_3ELS4_3ELNS0_20block_scan_algorithmE0ELj4294967295EEENS1_25partition_config_selectorILNS1_17partition_subalgoE3EjNS0_10empty_typeEbEEZZNS1_14partition_implILS8_3ELb0ES6_jNS0_17counting_iteratorIjlEEPS9_SE_NS0_5tupleIJPjSE_EEENSF_IJSE_SE_EEES9_SG_JZNS1_25segmented_radix_sort_implINS0_14default_configELb1EPKsPsPKlPlN2at6native12_GLOBAL__N_18offset_tEEE10hipError_tPvRmT1_PNSt15iterator_traitsISY_E10value_typeET2_T3_PNSZ_IS14_E10value_typeET4_jRbjT5_S1A_jjP12ihipStream_tbEUljE_EEESV_SW_SX_S14_S18_S1A_T6_T7_T9_mT8_S1C_bDpT10_ENKUlT_T0_E_clISt17integral_constantIbLb1EES1O_IbLb0EEEEDaS1K_S1L_EUlS1K_E_NS1_11comp_targetILNS1_3genE9ELNS1_11target_archE1100ELNS1_3gpuE3ELNS1_3repE0EEENS1_30default_config_static_selectorELNS0_4arch9wavefront6targetE0EEEvSY_,"axG",@progbits,_ZN7rocprim17ROCPRIM_400000_NS6detail17trampoline_kernelINS0_13select_configILj256ELj13ELNS0_17block_load_methodE3ELS4_3ELS4_3ELNS0_20block_scan_algorithmE0ELj4294967295EEENS1_25partition_config_selectorILNS1_17partition_subalgoE3EjNS0_10empty_typeEbEEZZNS1_14partition_implILS8_3ELb0ES6_jNS0_17counting_iteratorIjlEEPS9_SE_NS0_5tupleIJPjSE_EEENSF_IJSE_SE_EEES9_SG_JZNS1_25segmented_radix_sort_implINS0_14default_configELb1EPKsPsPKlPlN2at6native12_GLOBAL__N_18offset_tEEE10hipError_tPvRmT1_PNSt15iterator_traitsISY_E10value_typeET2_T3_PNSZ_IS14_E10value_typeET4_jRbjT5_S1A_jjP12ihipStream_tbEUljE_EEESV_SW_SX_S14_S18_S1A_T6_T7_T9_mT8_S1C_bDpT10_ENKUlT_T0_E_clISt17integral_constantIbLb1EES1O_IbLb0EEEEDaS1K_S1L_EUlS1K_E_NS1_11comp_targetILNS1_3genE9ELNS1_11target_archE1100ELNS1_3gpuE3ELNS1_3repE0EEENS1_30default_config_static_selectorELNS0_4arch9wavefront6targetE0EEEvSY_,comdat
	.globl	_ZN7rocprim17ROCPRIM_400000_NS6detail17trampoline_kernelINS0_13select_configILj256ELj13ELNS0_17block_load_methodE3ELS4_3ELS4_3ELNS0_20block_scan_algorithmE0ELj4294967295EEENS1_25partition_config_selectorILNS1_17partition_subalgoE3EjNS0_10empty_typeEbEEZZNS1_14partition_implILS8_3ELb0ES6_jNS0_17counting_iteratorIjlEEPS9_SE_NS0_5tupleIJPjSE_EEENSF_IJSE_SE_EEES9_SG_JZNS1_25segmented_radix_sort_implINS0_14default_configELb1EPKsPsPKlPlN2at6native12_GLOBAL__N_18offset_tEEE10hipError_tPvRmT1_PNSt15iterator_traitsISY_E10value_typeET2_T3_PNSZ_IS14_E10value_typeET4_jRbjT5_S1A_jjP12ihipStream_tbEUljE_EEESV_SW_SX_S14_S18_S1A_T6_T7_T9_mT8_S1C_bDpT10_ENKUlT_T0_E_clISt17integral_constantIbLb1EES1O_IbLb0EEEEDaS1K_S1L_EUlS1K_E_NS1_11comp_targetILNS1_3genE9ELNS1_11target_archE1100ELNS1_3gpuE3ELNS1_3repE0EEENS1_30default_config_static_selectorELNS0_4arch9wavefront6targetE0EEEvSY_ ; -- Begin function _ZN7rocprim17ROCPRIM_400000_NS6detail17trampoline_kernelINS0_13select_configILj256ELj13ELNS0_17block_load_methodE3ELS4_3ELS4_3ELNS0_20block_scan_algorithmE0ELj4294967295EEENS1_25partition_config_selectorILNS1_17partition_subalgoE3EjNS0_10empty_typeEbEEZZNS1_14partition_implILS8_3ELb0ES6_jNS0_17counting_iteratorIjlEEPS9_SE_NS0_5tupleIJPjSE_EEENSF_IJSE_SE_EEES9_SG_JZNS1_25segmented_radix_sort_implINS0_14default_configELb1EPKsPsPKlPlN2at6native12_GLOBAL__N_18offset_tEEE10hipError_tPvRmT1_PNSt15iterator_traitsISY_E10value_typeET2_T3_PNSZ_IS14_E10value_typeET4_jRbjT5_S1A_jjP12ihipStream_tbEUljE_EEESV_SW_SX_S14_S18_S1A_T6_T7_T9_mT8_S1C_bDpT10_ENKUlT_T0_E_clISt17integral_constantIbLb1EES1O_IbLb0EEEEDaS1K_S1L_EUlS1K_E_NS1_11comp_targetILNS1_3genE9ELNS1_11target_archE1100ELNS1_3gpuE3ELNS1_3repE0EEENS1_30default_config_static_selectorELNS0_4arch9wavefront6targetE0EEEvSY_
	.p2align	8
	.type	_ZN7rocprim17ROCPRIM_400000_NS6detail17trampoline_kernelINS0_13select_configILj256ELj13ELNS0_17block_load_methodE3ELS4_3ELS4_3ELNS0_20block_scan_algorithmE0ELj4294967295EEENS1_25partition_config_selectorILNS1_17partition_subalgoE3EjNS0_10empty_typeEbEEZZNS1_14partition_implILS8_3ELb0ES6_jNS0_17counting_iteratorIjlEEPS9_SE_NS0_5tupleIJPjSE_EEENSF_IJSE_SE_EEES9_SG_JZNS1_25segmented_radix_sort_implINS0_14default_configELb1EPKsPsPKlPlN2at6native12_GLOBAL__N_18offset_tEEE10hipError_tPvRmT1_PNSt15iterator_traitsISY_E10value_typeET2_T3_PNSZ_IS14_E10value_typeET4_jRbjT5_S1A_jjP12ihipStream_tbEUljE_EEESV_SW_SX_S14_S18_S1A_T6_T7_T9_mT8_S1C_bDpT10_ENKUlT_T0_E_clISt17integral_constantIbLb1EES1O_IbLb0EEEEDaS1K_S1L_EUlS1K_E_NS1_11comp_targetILNS1_3genE9ELNS1_11target_archE1100ELNS1_3gpuE3ELNS1_3repE0EEENS1_30default_config_static_selectorELNS0_4arch9wavefront6targetE0EEEvSY_,@function
_ZN7rocprim17ROCPRIM_400000_NS6detail17trampoline_kernelINS0_13select_configILj256ELj13ELNS0_17block_load_methodE3ELS4_3ELS4_3ELNS0_20block_scan_algorithmE0ELj4294967295EEENS1_25partition_config_selectorILNS1_17partition_subalgoE3EjNS0_10empty_typeEbEEZZNS1_14partition_implILS8_3ELb0ES6_jNS0_17counting_iteratorIjlEEPS9_SE_NS0_5tupleIJPjSE_EEENSF_IJSE_SE_EEES9_SG_JZNS1_25segmented_radix_sort_implINS0_14default_configELb1EPKsPsPKlPlN2at6native12_GLOBAL__N_18offset_tEEE10hipError_tPvRmT1_PNSt15iterator_traitsISY_E10value_typeET2_T3_PNSZ_IS14_E10value_typeET4_jRbjT5_S1A_jjP12ihipStream_tbEUljE_EEESV_SW_SX_S14_S18_S1A_T6_T7_T9_mT8_S1C_bDpT10_ENKUlT_T0_E_clISt17integral_constantIbLb1EES1O_IbLb0EEEEDaS1K_S1L_EUlS1K_E_NS1_11comp_targetILNS1_3genE9ELNS1_11target_archE1100ELNS1_3gpuE3ELNS1_3repE0EEENS1_30default_config_static_selectorELNS0_4arch9wavefront6targetE0EEEvSY_: ; @_ZN7rocprim17ROCPRIM_400000_NS6detail17trampoline_kernelINS0_13select_configILj256ELj13ELNS0_17block_load_methodE3ELS4_3ELS4_3ELNS0_20block_scan_algorithmE0ELj4294967295EEENS1_25partition_config_selectorILNS1_17partition_subalgoE3EjNS0_10empty_typeEbEEZZNS1_14partition_implILS8_3ELb0ES6_jNS0_17counting_iteratorIjlEEPS9_SE_NS0_5tupleIJPjSE_EEENSF_IJSE_SE_EEES9_SG_JZNS1_25segmented_radix_sort_implINS0_14default_configELb1EPKsPsPKlPlN2at6native12_GLOBAL__N_18offset_tEEE10hipError_tPvRmT1_PNSt15iterator_traitsISY_E10value_typeET2_T3_PNSZ_IS14_E10value_typeET4_jRbjT5_S1A_jjP12ihipStream_tbEUljE_EEESV_SW_SX_S14_S18_S1A_T6_T7_T9_mT8_S1C_bDpT10_ENKUlT_T0_E_clISt17integral_constantIbLb1EES1O_IbLb0EEEEDaS1K_S1L_EUlS1K_E_NS1_11comp_targetILNS1_3genE9ELNS1_11target_archE1100ELNS1_3gpuE3ELNS1_3repE0EEENS1_30default_config_static_selectorELNS0_4arch9wavefront6targetE0EEEvSY_
; %bb.0:
	.section	.rodata,"a",@progbits
	.p2align	6, 0x0
	.amdhsa_kernel _ZN7rocprim17ROCPRIM_400000_NS6detail17trampoline_kernelINS0_13select_configILj256ELj13ELNS0_17block_load_methodE3ELS4_3ELS4_3ELNS0_20block_scan_algorithmE0ELj4294967295EEENS1_25partition_config_selectorILNS1_17partition_subalgoE3EjNS0_10empty_typeEbEEZZNS1_14partition_implILS8_3ELb0ES6_jNS0_17counting_iteratorIjlEEPS9_SE_NS0_5tupleIJPjSE_EEENSF_IJSE_SE_EEES9_SG_JZNS1_25segmented_radix_sort_implINS0_14default_configELb1EPKsPsPKlPlN2at6native12_GLOBAL__N_18offset_tEEE10hipError_tPvRmT1_PNSt15iterator_traitsISY_E10value_typeET2_T3_PNSZ_IS14_E10value_typeET4_jRbjT5_S1A_jjP12ihipStream_tbEUljE_EEESV_SW_SX_S14_S18_S1A_T6_T7_T9_mT8_S1C_bDpT10_ENKUlT_T0_E_clISt17integral_constantIbLb1EES1O_IbLb0EEEEDaS1K_S1L_EUlS1K_E_NS1_11comp_targetILNS1_3genE9ELNS1_11target_archE1100ELNS1_3gpuE3ELNS1_3repE0EEENS1_30default_config_static_selectorELNS0_4arch9wavefront6targetE0EEEvSY_
		.amdhsa_group_segment_fixed_size 0
		.amdhsa_private_segment_fixed_size 0
		.amdhsa_kernarg_size 144
		.amdhsa_user_sgpr_count 2
		.amdhsa_user_sgpr_dispatch_ptr 0
		.amdhsa_user_sgpr_queue_ptr 0
		.amdhsa_user_sgpr_kernarg_segment_ptr 1
		.amdhsa_user_sgpr_dispatch_id 0
		.amdhsa_user_sgpr_kernarg_preload_length 0
		.amdhsa_user_sgpr_kernarg_preload_offset 0
		.amdhsa_user_sgpr_private_segment_size 0
		.amdhsa_wavefront_size32 1
		.amdhsa_uses_dynamic_stack 0
		.amdhsa_enable_private_segment 0
		.amdhsa_system_sgpr_workgroup_id_x 1
		.amdhsa_system_sgpr_workgroup_id_y 0
		.amdhsa_system_sgpr_workgroup_id_z 0
		.amdhsa_system_sgpr_workgroup_info 0
		.amdhsa_system_vgpr_workitem_id 0
		.amdhsa_next_free_vgpr 1
		.amdhsa_next_free_sgpr 1
		.amdhsa_named_barrier_count 0
		.amdhsa_reserve_vcc 0
		.amdhsa_float_round_mode_32 0
		.amdhsa_float_round_mode_16_64 0
		.amdhsa_float_denorm_mode_32 3
		.amdhsa_float_denorm_mode_16_64 3
		.amdhsa_fp16_overflow 0
		.amdhsa_memory_ordered 1
		.amdhsa_forward_progress 1
		.amdhsa_inst_pref_size 0
		.amdhsa_round_robin_scheduling 0
		.amdhsa_exception_fp_ieee_invalid_op 0
		.amdhsa_exception_fp_denorm_src 0
		.amdhsa_exception_fp_ieee_div_zero 0
		.amdhsa_exception_fp_ieee_overflow 0
		.amdhsa_exception_fp_ieee_underflow 0
		.amdhsa_exception_fp_ieee_inexact 0
		.amdhsa_exception_int_div_zero 0
	.end_amdhsa_kernel
	.section	.text._ZN7rocprim17ROCPRIM_400000_NS6detail17trampoline_kernelINS0_13select_configILj256ELj13ELNS0_17block_load_methodE3ELS4_3ELS4_3ELNS0_20block_scan_algorithmE0ELj4294967295EEENS1_25partition_config_selectorILNS1_17partition_subalgoE3EjNS0_10empty_typeEbEEZZNS1_14partition_implILS8_3ELb0ES6_jNS0_17counting_iteratorIjlEEPS9_SE_NS0_5tupleIJPjSE_EEENSF_IJSE_SE_EEES9_SG_JZNS1_25segmented_radix_sort_implINS0_14default_configELb1EPKsPsPKlPlN2at6native12_GLOBAL__N_18offset_tEEE10hipError_tPvRmT1_PNSt15iterator_traitsISY_E10value_typeET2_T3_PNSZ_IS14_E10value_typeET4_jRbjT5_S1A_jjP12ihipStream_tbEUljE_EEESV_SW_SX_S14_S18_S1A_T6_T7_T9_mT8_S1C_bDpT10_ENKUlT_T0_E_clISt17integral_constantIbLb1EES1O_IbLb0EEEEDaS1K_S1L_EUlS1K_E_NS1_11comp_targetILNS1_3genE9ELNS1_11target_archE1100ELNS1_3gpuE3ELNS1_3repE0EEENS1_30default_config_static_selectorELNS0_4arch9wavefront6targetE0EEEvSY_,"axG",@progbits,_ZN7rocprim17ROCPRIM_400000_NS6detail17trampoline_kernelINS0_13select_configILj256ELj13ELNS0_17block_load_methodE3ELS4_3ELS4_3ELNS0_20block_scan_algorithmE0ELj4294967295EEENS1_25partition_config_selectorILNS1_17partition_subalgoE3EjNS0_10empty_typeEbEEZZNS1_14partition_implILS8_3ELb0ES6_jNS0_17counting_iteratorIjlEEPS9_SE_NS0_5tupleIJPjSE_EEENSF_IJSE_SE_EEES9_SG_JZNS1_25segmented_radix_sort_implINS0_14default_configELb1EPKsPsPKlPlN2at6native12_GLOBAL__N_18offset_tEEE10hipError_tPvRmT1_PNSt15iterator_traitsISY_E10value_typeET2_T3_PNSZ_IS14_E10value_typeET4_jRbjT5_S1A_jjP12ihipStream_tbEUljE_EEESV_SW_SX_S14_S18_S1A_T6_T7_T9_mT8_S1C_bDpT10_ENKUlT_T0_E_clISt17integral_constantIbLb1EES1O_IbLb0EEEEDaS1K_S1L_EUlS1K_E_NS1_11comp_targetILNS1_3genE9ELNS1_11target_archE1100ELNS1_3gpuE3ELNS1_3repE0EEENS1_30default_config_static_selectorELNS0_4arch9wavefront6targetE0EEEvSY_,comdat
.Lfunc_end897:
	.size	_ZN7rocprim17ROCPRIM_400000_NS6detail17trampoline_kernelINS0_13select_configILj256ELj13ELNS0_17block_load_methodE3ELS4_3ELS4_3ELNS0_20block_scan_algorithmE0ELj4294967295EEENS1_25partition_config_selectorILNS1_17partition_subalgoE3EjNS0_10empty_typeEbEEZZNS1_14partition_implILS8_3ELb0ES6_jNS0_17counting_iteratorIjlEEPS9_SE_NS0_5tupleIJPjSE_EEENSF_IJSE_SE_EEES9_SG_JZNS1_25segmented_radix_sort_implINS0_14default_configELb1EPKsPsPKlPlN2at6native12_GLOBAL__N_18offset_tEEE10hipError_tPvRmT1_PNSt15iterator_traitsISY_E10value_typeET2_T3_PNSZ_IS14_E10value_typeET4_jRbjT5_S1A_jjP12ihipStream_tbEUljE_EEESV_SW_SX_S14_S18_S1A_T6_T7_T9_mT8_S1C_bDpT10_ENKUlT_T0_E_clISt17integral_constantIbLb1EES1O_IbLb0EEEEDaS1K_S1L_EUlS1K_E_NS1_11comp_targetILNS1_3genE9ELNS1_11target_archE1100ELNS1_3gpuE3ELNS1_3repE0EEENS1_30default_config_static_selectorELNS0_4arch9wavefront6targetE0EEEvSY_, .Lfunc_end897-_ZN7rocprim17ROCPRIM_400000_NS6detail17trampoline_kernelINS0_13select_configILj256ELj13ELNS0_17block_load_methodE3ELS4_3ELS4_3ELNS0_20block_scan_algorithmE0ELj4294967295EEENS1_25partition_config_selectorILNS1_17partition_subalgoE3EjNS0_10empty_typeEbEEZZNS1_14partition_implILS8_3ELb0ES6_jNS0_17counting_iteratorIjlEEPS9_SE_NS0_5tupleIJPjSE_EEENSF_IJSE_SE_EEES9_SG_JZNS1_25segmented_radix_sort_implINS0_14default_configELb1EPKsPsPKlPlN2at6native12_GLOBAL__N_18offset_tEEE10hipError_tPvRmT1_PNSt15iterator_traitsISY_E10value_typeET2_T3_PNSZ_IS14_E10value_typeET4_jRbjT5_S1A_jjP12ihipStream_tbEUljE_EEESV_SW_SX_S14_S18_S1A_T6_T7_T9_mT8_S1C_bDpT10_ENKUlT_T0_E_clISt17integral_constantIbLb1EES1O_IbLb0EEEEDaS1K_S1L_EUlS1K_E_NS1_11comp_targetILNS1_3genE9ELNS1_11target_archE1100ELNS1_3gpuE3ELNS1_3repE0EEENS1_30default_config_static_selectorELNS0_4arch9wavefront6targetE0EEEvSY_
                                        ; -- End function
	.set _ZN7rocprim17ROCPRIM_400000_NS6detail17trampoline_kernelINS0_13select_configILj256ELj13ELNS0_17block_load_methodE3ELS4_3ELS4_3ELNS0_20block_scan_algorithmE0ELj4294967295EEENS1_25partition_config_selectorILNS1_17partition_subalgoE3EjNS0_10empty_typeEbEEZZNS1_14partition_implILS8_3ELb0ES6_jNS0_17counting_iteratorIjlEEPS9_SE_NS0_5tupleIJPjSE_EEENSF_IJSE_SE_EEES9_SG_JZNS1_25segmented_radix_sort_implINS0_14default_configELb1EPKsPsPKlPlN2at6native12_GLOBAL__N_18offset_tEEE10hipError_tPvRmT1_PNSt15iterator_traitsISY_E10value_typeET2_T3_PNSZ_IS14_E10value_typeET4_jRbjT5_S1A_jjP12ihipStream_tbEUljE_EEESV_SW_SX_S14_S18_S1A_T6_T7_T9_mT8_S1C_bDpT10_ENKUlT_T0_E_clISt17integral_constantIbLb1EES1O_IbLb0EEEEDaS1K_S1L_EUlS1K_E_NS1_11comp_targetILNS1_3genE9ELNS1_11target_archE1100ELNS1_3gpuE3ELNS1_3repE0EEENS1_30default_config_static_selectorELNS0_4arch9wavefront6targetE0EEEvSY_.num_vgpr, 0
	.set _ZN7rocprim17ROCPRIM_400000_NS6detail17trampoline_kernelINS0_13select_configILj256ELj13ELNS0_17block_load_methodE3ELS4_3ELS4_3ELNS0_20block_scan_algorithmE0ELj4294967295EEENS1_25partition_config_selectorILNS1_17partition_subalgoE3EjNS0_10empty_typeEbEEZZNS1_14partition_implILS8_3ELb0ES6_jNS0_17counting_iteratorIjlEEPS9_SE_NS0_5tupleIJPjSE_EEENSF_IJSE_SE_EEES9_SG_JZNS1_25segmented_radix_sort_implINS0_14default_configELb1EPKsPsPKlPlN2at6native12_GLOBAL__N_18offset_tEEE10hipError_tPvRmT1_PNSt15iterator_traitsISY_E10value_typeET2_T3_PNSZ_IS14_E10value_typeET4_jRbjT5_S1A_jjP12ihipStream_tbEUljE_EEESV_SW_SX_S14_S18_S1A_T6_T7_T9_mT8_S1C_bDpT10_ENKUlT_T0_E_clISt17integral_constantIbLb1EES1O_IbLb0EEEEDaS1K_S1L_EUlS1K_E_NS1_11comp_targetILNS1_3genE9ELNS1_11target_archE1100ELNS1_3gpuE3ELNS1_3repE0EEENS1_30default_config_static_selectorELNS0_4arch9wavefront6targetE0EEEvSY_.num_agpr, 0
	.set _ZN7rocprim17ROCPRIM_400000_NS6detail17trampoline_kernelINS0_13select_configILj256ELj13ELNS0_17block_load_methodE3ELS4_3ELS4_3ELNS0_20block_scan_algorithmE0ELj4294967295EEENS1_25partition_config_selectorILNS1_17partition_subalgoE3EjNS0_10empty_typeEbEEZZNS1_14partition_implILS8_3ELb0ES6_jNS0_17counting_iteratorIjlEEPS9_SE_NS0_5tupleIJPjSE_EEENSF_IJSE_SE_EEES9_SG_JZNS1_25segmented_radix_sort_implINS0_14default_configELb1EPKsPsPKlPlN2at6native12_GLOBAL__N_18offset_tEEE10hipError_tPvRmT1_PNSt15iterator_traitsISY_E10value_typeET2_T3_PNSZ_IS14_E10value_typeET4_jRbjT5_S1A_jjP12ihipStream_tbEUljE_EEESV_SW_SX_S14_S18_S1A_T6_T7_T9_mT8_S1C_bDpT10_ENKUlT_T0_E_clISt17integral_constantIbLb1EES1O_IbLb0EEEEDaS1K_S1L_EUlS1K_E_NS1_11comp_targetILNS1_3genE9ELNS1_11target_archE1100ELNS1_3gpuE3ELNS1_3repE0EEENS1_30default_config_static_selectorELNS0_4arch9wavefront6targetE0EEEvSY_.numbered_sgpr, 0
	.set _ZN7rocprim17ROCPRIM_400000_NS6detail17trampoline_kernelINS0_13select_configILj256ELj13ELNS0_17block_load_methodE3ELS4_3ELS4_3ELNS0_20block_scan_algorithmE0ELj4294967295EEENS1_25partition_config_selectorILNS1_17partition_subalgoE3EjNS0_10empty_typeEbEEZZNS1_14partition_implILS8_3ELb0ES6_jNS0_17counting_iteratorIjlEEPS9_SE_NS0_5tupleIJPjSE_EEENSF_IJSE_SE_EEES9_SG_JZNS1_25segmented_radix_sort_implINS0_14default_configELb1EPKsPsPKlPlN2at6native12_GLOBAL__N_18offset_tEEE10hipError_tPvRmT1_PNSt15iterator_traitsISY_E10value_typeET2_T3_PNSZ_IS14_E10value_typeET4_jRbjT5_S1A_jjP12ihipStream_tbEUljE_EEESV_SW_SX_S14_S18_S1A_T6_T7_T9_mT8_S1C_bDpT10_ENKUlT_T0_E_clISt17integral_constantIbLb1EES1O_IbLb0EEEEDaS1K_S1L_EUlS1K_E_NS1_11comp_targetILNS1_3genE9ELNS1_11target_archE1100ELNS1_3gpuE3ELNS1_3repE0EEENS1_30default_config_static_selectorELNS0_4arch9wavefront6targetE0EEEvSY_.num_named_barrier, 0
	.set _ZN7rocprim17ROCPRIM_400000_NS6detail17trampoline_kernelINS0_13select_configILj256ELj13ELNS0_17block_load_methodE3ELS4_3ELS4_3ELNS0_20block_scan_algorithmE0ELj4294967295EEENS1_25partition_config_selectorILNS1_17partition_subalgoE3EjNS0_10empty_typeEbEEZZNS1_14partition_implILS8_3ELb0ES6_jNS0_17counting_iteratorIjlEEPS9_SE_NS0_5tupleIJPjSE_EEENSF_IJSE_SE_EEES9_SG_JZNS1_25segmented_radix_sort_implINS0_14default_configELb1EPKsPsPKlPlN2at6native12_GLOBAL__N_18offset_tEEE10hipError_tPvRmT1_PNSt15iterator_traitsISY_E10value_typeET2_T3_PNSZ_IS14_E10value_typeET4_jRbjT5_S1A_jjP12ihipStream_tbEUljE_EEESV_SW_SX_S14_S18_S1A_T6_T7_T9_mT8_S1C_bDpT10_ENKUlT_T0_E_clISt17integral_constantIbLb1EES1O_IbLb0EEEEDaS1K_S1L_EUlS1K_E_NS1_11comp_targetILNS1_3genE9ELNS1_11target_archE1100ELNS1_3gpuE3ELNS1_3repE0EEENS1_30default_config_static_selectorELNS0_4arch9wavefront6targetE0EEEvSY_.private_seg_size, 0
	.set _ZN7rocprim17ROCPRIM_400000_NS6detail17trampoline_kernelINS0_13select_configILj256ELj13ELNS0_17block_load_methodE3ELS4_3ELS4_3ELNS0_20block_scan_algorithmE0ELj4294967295EEENS1_25partition_config_selectorILNS1_17partition_subalgoE3EjNS0_10empty_typeEbEEZZNS1_14partition_implILS8_3ELb0ES6_jNS0_17counting_iteratorIjlEEPS9_SE_NS0_5tupleIJPjSE_EEENSF_IJSE_SE_EEES9_SG_JZNS1_25segmented_radix_sort_implINS0_14default_configELb1EPKsPsPKlPlN2at6native12_GLOBAL__N_18offset_tEEE10hipError_tPvRmT1_PNSt15iterator_traitsISY_E10value_typeET2_T3_PNSZ_IS14_E10value_typeET4_jRbjT5_S1A_jjP12ihipStream_tbEUljE_EEESV_SW_SX_S14_S18_S1A_T6_T7_T9_mT8_S1C_bDpT10_ENKUlT_T0_E_clISt17integral_constantIbLb1EES1O_IbLb0EEEEDaS1K_S1L_EUlS1K_E_NS1_11comp_targetILNS1_3genE9ELNS1_11target_archE1100ELNS1_3gpuE3ELNS1_3repE0EEENS1_30default_config_static_selectorELNS0_4arch9wavefront6targetE0EEEvSY_.uses_vcc, 0
	.set _ZN7rocprim17ROCPRIM_400000_NS6detail17trampoline_kernelINS0_13select_configILj256ELj13ELNS0_17block_load_methodE3ELS4_3ELS4_3ELNS0_20block_scan_algorithmE0ELj4294967295EEENS1_25partition_config_selectorILNS1_17partition_subalgoE3EjNS0_10empty_typeEbEEZZNS1_14partition_implILS8_3ELb0ES6_jNS0_17counting_iteratorIjlEEPS9_SE_NS0_5tupleIJPjSE_EEENSF_IJSE_SE_EEES9_SG_JZNS1_25segmented_radix_sort_implINS0_14default_configELb1EPKsPsPKlPlN2at6native12_GLOBAL__N_18offset_tEEE10hipError_tPvRmT1_PNSt15iterator_traitsISY_E10value_typeET2_T3_PNSZ_IS14_E10value_typeET4_jRbjT5_S1A_jjP12ihipStream_tbEUljE_EEESV_SW_SX_S14_S18_S1A_T6_T7_T9_mT8_S1C_bDpT10_ENKUlT_T0_E_clISt17integral_constantIbLb1EES1O_IbLb0EEEEDaS1K_S1L_EUlS1K_E_NS1_11comp_targetILNS1_3genE9ELNS1_11target_archE1100ELNS1_3gpuE3ELNS1_3repE0EEENS1_30default_config_static_selectorELNS0_4arch9wavefront6targetE0EEEvSY_.uses_flat_scratch, 0
	.set _ZN7rocprim17ROCPRIM_400000_NS6detail17trampoline_kernelINS0_13select_configILj256ELj13ELNS0_17block_load_methodE3ELS4_3ELS4_3ELNS0_20block_scan_algorithmE0ELj4294967295EEENS1_25partition_config_selectorILNS1_17partition_subalgoE3EjNS0_10empty_typeEbEEZZNS1_14partition_implILS8_3ELb0ES6_jNS0_17counting_iteratorIjlEEPS9_SE_NS0_5tupleIJPjSE_EEENSF_IJSE_SE_EEES9_SG_JZNS1_25segmented_radix_sort_implINS0_14default_configELb1EPKsPsPKlPlN2at6native12_GLOBAL__N_18offset_tEEE10hipError_tPvRmT1_PNSt15iterator_traitsISY_E10value_typeET2_T3_PNSZ_IS14_E10value_typeET4_jRbjT5_S1A_jjP12ihipStream_tbEUljE_EEESV_SW_SX_S14_S18_S1A_T6_T7_T9_mT8_S1C_bDpT10_ENKUlT_T0_E_clISt17integral_constantIbLb1EES1O_IbLb0EEEEDaS1K_S1L_EUlS1K_E_NS1_11comp_targetILNS1_3genE9ELNS1_11target_archE1100ELNS1_3gpuE3ELNS1_3repE0EEENS1_30default_config_static_selectorELNS0_4arch9wavefront6targetE0EEEvSY_.has_dyn_sized_stack, 0
	.set _ZN7rocprim17ROCPRIM_400000_NS6detail17trampoline_kernelINS0_13select_configILj256ELj13ELNS0_17block_load_methodE3ELS4_3ELS4_3ELNS0_20block_scan_algorithmE0ELj4294967295EEENS1_25partition_config_selectorILNS1_17partition_subalgoE3EjNS0_10empty_typeEbEEZZNS1_14partition_implILS8_3ELb0ES6_jNS0_17counting_iteratorIjlEEPS9_SE_NS0_5tupleIJPjSE_EEENSF_IJSE_SE_EEES9_SG_JZNS1_25segmented_radix_sort_implINS0_14default_configELb1EPKsPsPKlPlN2at6native12_GLOBAL__N_18offset_tEEE10hipError_tPvRmT1_PNSt15iterator_traitsISY_E10value_typeET2_T3_PNSZ_IS14_E10value_typeET4_jRbjT5_S1A_jjP12ihipStream_tbEUljE_EEESV_SW_SX_S14_S18_S1A_T6_T7_T9_mT8_S1C_bDpT10_ENKUlT_T0_E_clISt17integral_constantIbLb1EES1O_IbLb0EEEEDaS1K_S1L_EUlS1K_E_NS1_11comp_targetILNS1_3genE9ELNS1_11target_archE1100ELNS1_3gpuE3ELNS1_3repE0EEENS1_30default_config_static_selectorELNS0_4arch9wavefront6targetE0EEEvSY_.has_recursion, 0
	.set _ZN7rocprim17ROCPRIM_400000_NS6detail17trampoline_kernelINS0_13select_configILj256ELj13ELNS0_17block_load_methodE3ELS4_3ELS4_3ELNS0_20block_scan_algorithmE0ELj4294967295EEENS1_25partition_config_selectorILNS1_17partition_subalgoE3EjNS0_10empty_typeEbEEZZNS1_14partition_implILS8_3ELb0ES6_jNS0_17counting_iteratorIjlEEPS9_SE_NS0_5tupleIJPjSE_EEENSF_IJSE_SE_EEES9_SG_JZNS1_25segmented_radix_sort_implINS0_14default_configELb1EPKsPsPKlPlN2at6native12_GLOBAL__N_18offset_tEEE10hipError_tPvRmT1_PNSt15iterator_traitsISY_E10value_typeET2_T3_PNSZ_IS14_E10value_typeET4_jRbjT5_S1A_jjP12ihipStream_tbEUljE_EEESV_SW_SX_S14_S18_S1A_T6_T7_T9_mT8_S1C_bDpT10_ENKUlT_T0_E_clISt17integral_constantIbLb1EES1O_IbLb0EEEEDaS1K_S1L_EUlS1K_E_NS1_11comp_targetILNS1_3genE9ELNS1_11target_archE1100ELNS1_3gpuE3ELNS1_3repE0EEENS1_30default_config_static_selectorELNS0_4arch9wavefront6targetE0EEEvSY_.has_indirect_call, 0
	.section	.AMDGPU.csdata,"",@progbits
; Kernel info:
; codeLenInByte = 0
; TotalNumSgprs: 0
; NumVgprs: 0
; ScratchSize: 0
; MemoryBound: 0
; FloatMode: 240
; IeeeMode: 1
; LDSByteSize: 0 bytes/workgroup (compile time only)
; SGPRBlocks: 0
; VGPRBlocks: 0
; NumSGPRsForWavesPerEU: 1
; NumVGPRsForWavesPerEU: 1
; NamedBarCnt: 0
; Occupancy: 16
; WaveLimiterHint : 0
; COMPUTE_PGM_RSRC2:SCRATCH_EN: 0
; COMPUTE_PGM_RSRC2:USER_SGPR: 2
; COMPUTE_PGM_RSRC2:TRAP_HANDLER: 0
; COMPUTE_PGM_RSRC2:TGID_X_EN: 1
; COMPUTE_PGM_RSRC2:TGID_Y_EN: 0
; COMPUTE_PGM_RSRC2:TGID_Z_EN: 0
; COMPUTE_PGM_RSRC2:TIDIG_COMP_CNT: 0
	.section	.text._ZN7rocprim17ROCPRIM_400000_NS6detail17trampoline_kernelINS0_13select_configILj256ELj13ELNS0_17block_load_methodE3ELS4_3ELS4_3ELNS0_20block_scan_algorithmE0ELj4294967295EEENS1_25partition_config_selectorILNS1_17partition_subalgoE3EjNS0_10empty_typeEbEEZZNS1_14partition_implILS8_3ELb0ES6_jNS0_17counting_iteratorIjlEEPS9_SE_NS0_5tupleIJPjSE_EEENSF_IJSE_SE_EEES9_SG_JZNS1_25segmented_radix_sort_implINS0_14default_configELb1EPKsPsPKlPlN2at6native12_GLOBAL__N_18offset_tEEE10hipError_tPvRmT1_PNSt15iterator_traitsISY_E10value_typeET2_T3_PNSZ_IS14_E10value_typeET4_jRbjT5_S1A_jjP12ihipStream_tbEUljE_EEESV_SW_SX_S14_S18_S1A_T6_T7_T9_mT8_S1C_bDpT10_ENKUlT_T0_E_clISt17integral_constantIbLb1EES1O_IbLb0EEEEDaS1K_S1L_EUlS1K_E_NS1_11comp_targetILNS1_3genE8ELNS1_11target_archE1030ELNS1_3gpuE2ELNS1_3repE0EEENS1_30default_config_static_selectorELNS0_4arch9wavefront6targetE0EEEvSY_,"axG",@progbits,_ZN7rocprim17ROCPRIM_400000_NS6detail17trampoline_kernelINS0_13select_configILj256ELj13ELNS0_17block_load_methodE3ELS4_3ELS4_3ELNS0_20block_scan_algorithmE0ELj4294967295EEENS1_25partition_config_selectorILNS1_17partition_subalgoE3EjNS0_10empty_typeEbEEZZNS1_14partition_implILS8_3ELb0ES6_jNS0_17counting_iteratorIjlEEPS9_SE_NS0_5tupleIJPjSE_EEENSF_IJSE_SE_EEES9_SG_JZNS1_25segmented_radix_sort_implINS0_14default_configELb1EPKsPsPKlPlN2at6native12_GLOBAL__N_18offset_tEEE10hipError_tPvRmT1_PNSt15iterator_traitsISY_E10value_typeET2_T3_PNSZ_IS14_E10value_typeET4_jRbjT5_S1A_jjP12ihipStream_tbEUljE_EEESV_SW_SX_S14_S18_S1A_T6_T7_T9_mT8_S1C_bDpT10_ENKUlT_T0_E_clISt17integral_constantIbLb1EES1O_IbLb0EEEEDaS1K_S1L_EUlS1K_E_NS1_11comp_targetILNS1_3genE8ELNS1_11target_archE1030ELNS1_3gpuE2ELNS1_3repE0EEENS1_30default_config_static_selectorELNS0_4arch9wavefront6targetE0EEEvSY_,comdat
	.globl	_ZN7rocprim17ROCPRIM_400000_NS6detail17trampoline_kernelINS0_13select_configILj256ELj13ELNS0_17block_load_methodE3ELS4_3ELS4_3ELNS0_20block_scan_algorithmE0ELj4294967295EEENS1_25partition_config_selectorILNS1_17partition_subalgoE3EjNS0_10empty_typeEbEEZZNS1_14partition_implILS8_3ELb0ES6_jNS0_17counting_iteratorIjlEEPS9_SE_NS0_5tupleIJPjSE_EEENSF_IJSE_SE_EEES9_SG_JZNS1_25segmented_radix_sort_implINS0_14default_configELb1EPKsPsPKlPlN2at6native12_GLOBAL__N_18offset_tEEE10hipError_tPvRmT1_PNSt15iterator_traitsISY_E10value_typeET2_T3_PNSZ_IS14_E10value_typeET4_jRbjT5_S1A_jjP12ihipStream_tbEUljE_EEESV_SW_SX_S14_S18_S1A_T6_T7_T9_mT8_S1C_bDpT10_ENKUlT_T0_E_clISt17integral_constantIbLb1EES1O_IbLb0EEEEDaS1K_S1L_EUlS1K_E_NS1_11comp_targetILNS1_3genE8ELNS1_11target_archE1030ELNS1_3gpuE2ELNS1_3repE0EEENS1_30default_config_static_selectorELNS0_4arch9wavefront6targetE0EEEvSY_ ; -- Begin function _ZN7rocprim17ROCPRIM_400000_NS6detail17trampoline_kernelINS0_13select_configILj256ELj13ELNS0_17block_load_methodE3ELS4_3ELS4_3ELNS0_20block_scan_algorithmE0ELj4294967295EEENS1_25partition_config_selectorILNS1_17partition_subalgoE3EjNS0_10empty_typeEbEEZZNS1_14partition_implILS8_3ELb0ES6_jNS0_17counting_iteratorIjlEEPS9_SE_NS0_5tupleIJPjSE_EEENSF_IJSE_SE_EEES9_SG_JZNS1_25segmented_radix_sort_implINS0_14default_configELb1EPKsPsPKlPlN2at6native12_GLOBAL__N_18offset_tEEE10hipError_tPvRmT1_PNSt15iterator_traitsISY_E10value_typeET2_T3_PNSZ_IS14_E10value_typeET4_jRbjT5_S1A_jjP12ihipStream_tbEUljE_EEESV_SW_SX_S14_S18_S1A_T6_T7_T9_mT8_S1C_bDpT10_ENKUlT_T0_E_clISt17integral_constantIbLb1EES1O_IbLb0EEEEDaS1K_S1L_EUlS1K_E_NS1_11comp_targetILNS1_3genE8ELNS1_11target_archE1030ELNS1_3gpuE2ELNS1_3repE0EEENS1_30default_config_static_selectorELNS0_4arch9wavefront6targetE0EEEvSY_
	.p2align	8
	.type	_ZN7rocprim17ROCPRIM_400000_NS6detail17trampoline_kernelINS0_13select_configILj256ELj13ELNS0_17block_load_methodE3ELS4_3ELS4_3ELNS0_20block_scan_algorithmE0ELj4294967295EEENS1_25partition_config_selectorILNS1_17partition_subalgoE3EjNS0_10empty_typeEbEEZZNS1_14partition_implILS8_3ELb0ES6_jNS0_17counting_iteratorIjlEEPS9_SE_NS0_5tupleIJPjSE_EEENSF_IJSE_SE_EEES9_SG_JZNS1_25segmented_radix_sort_implINS0_14default_configELb1EPKsPsPKlPlN2at6native12_GLOBAL__N_18offset_tEEE10hipError_tPvRmT1_PNSt15iterator_traitsISY_E10value_typeET2_T3_PNSZ_IS14_E10value_typeET4_jRbjT5_S1A_jjP12ihipStream_tbEUljE_EEESV_SW_SX_S14_S18_S1A_T6_T7_T9_mT8_S1C_bDpT10_ENKUlT_T0_E_clISt17integral_constantIbLb1EES1O_IbLb0EEEEDaS1K_S1L_EUlS1K_E_NS1_11comp_targetILNS1_3genE8ELNS1_11target_archE1030ELNS1_3gpuE2ELNS1_3repE0EEENS1_30default_config_static_selectorELNS0_4arch9wavefront6targetE0EEEvSY_,@function
_ZN7rocprim17ROCPRIM_400000_NS6detail17trampoline_kernelINS0_13select_configILj256ELj13ELNS0_17block_load_methodE3ELS4_3ELS4_3ELNS0_20block_scan_algorithmE0ELj4294967295EEENS1_25partition_config_selectorILNS1_17partition_subalgoE3EjNS0_10empty_typeEbEEZZNS1_14partition_implILS8_3ELb0ES6_jNS0_17counting_iteratorIjlEEPS9_SE_NS0_5tupleIJPjSE_EEENSF_IJSE_SE_EEES9_SG_JZNS1_25segmented_radix_sort_implINS0_14default_configELb1EPKsPsPKlPlN2at6native12_GLOBAL__N_18offset_tEEE10hipError_tPvRmT1_PNSt15iterator_traitsISY_E10value_typeET2_T3_PNSZ_IS14_E10value_typeET4_jRbjT5_S1A_jjP12ihipStream_tbEUljE_EEESV_SW_SX_S14_S18_S1A_T6_T7_T9_mT8_S1C_bDpT10_ENKUlT_T0_E_clISt17integral_constantIbLb1EES1O_IbLb0EEEEDaS1K_S1L_EUlS1K_E_NS1_11comp_targetILNS1_3genE8ELNS1_11target_archE1030ELNS1_3gpuE2ELNS1_3repE0EEENS1_30default_config_static_selectorELNS0_4arch9wavefront6targetE0EEEvSY_: ; @_ZN7rocprim17ROCPRIM_400000_NS6detail17trampoline_kernelINS0_13select_configILj256ELj13ELNS0_17block_load_methodE3ELS4_3ELS4_3ELNS0_20block_scan_algorithmE0ELj4294967295EEENS1_25partition_config_selectorILNS1_17partition_subalgoE3EjNS0_10empty_typeEbEEZZNS1_14partition_implILS8_3ELb0ES6_jNS0_17counting_iteratorIjlEEPS9_SE_NS0_5tupleIJPjSE_EEENSF_IJSE_SE_EEES9_SG_JZNS1_25segmented_radix_sort_implINS0_14default_configELb1EPKsPsPKlPlN2at6native12_GLOBAL__N_18offset_tEEE10hipError_tPvRmT1_PNSt15iterator_traitsISY_E10value_typeET2_T3_PNSZ_IS14_E10value_typeET4_jRbjT5_S1A_jjP12ihipStream_tbEUljE_EEESV_SW_SX_S14_S18_S1A_T6_T7_T9_mT8_S1C_bDpT10_ENKUlT_T0_E_clISt17integral_constantIbLb1EES1O_IbLb0EEEEDaS1K_S1L_EUlS1K_E_NS1_11comp_targetILNS1_3genE8ELNS1_11target_archE1030ELNS1_3gpuE2ELNS1_3repE0EEENS1_30default_config_static_selectorELNS0_4arch9wavefront6targetE0EEEvSY_
; %bb.0:
	.section	.rodata,"a",@progbits
	.p2align	6, 0x0
	.amdhsa_kernel _ZN7rocprim17ROCPRIM_400000_NS6detail17trampoline_kernelINS0_13select_configILj256ELj13ELNS0_17block_load_methodE3ELS4_3ELS4_3ELNS0_20block_scan_algorithmE0ELj4294967295EEENS1_25partition_config_selectorILNS1_17partition_subalgoE3EjNS0_10empty_typeEbEEZZNS1_14partition_implILS8_3ELb0ES6_jNS0_17counting_iteratorIjlEEPS9_SE_NS0_5tupleIJPjSE_EEENSF_IJSE_SE_EEES9_SG_JZNS1_25segmented_radix_sort_implINS0_14default_configELb1EPKsPsPKlPlN2at6native12_GLOBAL__N_18offset_tEEE10hipError_tPvRmT1_PNSt15iterator_traitsISY_E10value_typeET2_T3_PNSZ_IS14_E10value_typeET4_jRbjT5_S1A_jjP12ihipStream_tbEUljE_EEESV_SW_SX_S14_S18_S1A_T6_T7_T9_mT8_S1C_bDpT10_ENKUlT_T0_E_clISt17integral_constantIbLb1EES1O_IbLb0EEEEDaS1K_S1L_EUlS1K_E_NS1_11comp_targetILNS1_3genE8ELNS1_11target_archE1030ELNS1_3gpuE2ELNS1_3repE0EEENS1_30default_config_static_selectorELNS0_4arch9wavefront6targetE0EEEvSY_
		.amdhsa_group_segment_fixed_size 0
		.amdhsa_private_segment_fixed_size 0
		.amdhsa_kernarg_size 144
		.amdhsa_user_sgpr_count 2
		.amdhsa_user_sgpr_dispatch_ptr 0
		.amdhsa_user_sgpr_queue_ptr 0
		.amdhsa_user_sgpr_kernarg_segment_ptr 1
		.amdhsa_user_sgpr_dispatch_id 0
		.amdhsa_user_sgpr_kernarg_preload_length 0
		.amdhsa_user_sgpr_kernarg_preload_offset 0
		.amdhsa_user_sgpr_private_segment_size 0
		.amdhsa_wavefront_size32 1
		.amdhsa_uses_dynamic_stack 0
		.amdhsa_enable_private_segment 0
		.amdhsa_system_sgpr_workgroup_id_x 1
		.amdhsa_system_sgpr_workgroup_id_y 0
		.amdhsa_system_sgpr_workgroup_id_z 0
		.amdhsa_system_sgpr_workgroup_info 0
		.amdhsa_system_vgpr_workitem_id 0
		.amdhsa_next_free_vgpr 1
		.amdhsa_next_free_sgpr 1
		.amdhsa_named_barrier_count 0
		.amdhsa_reserve_vcc 0
		.amdhsa_float_round_mode_32 0
		.amdhsa_float_round_mode_16_64 0
		.amdhsa_float_denorm_mode_32 3
		.amdhsa_float_denorm_mode_16_64 3
		.amdhsa_fp16_overflow 0
		.amdhsa_memory_ordered 1
		.amdhsa_forward_progress 1
		.amdhsa_inst_pref_size 0
		.amdhsa_round_robin_scheduling 0
		.amdhsa_exception_fp_ieee_invalid_op 0
		.amdhsa_exception_fp_denorm_src 0
		.amdhsa_exception_fp_ieee_div_zero 0
		.amdhsa_exception_fp_ieee_overflow 0
		.amdhsa_exception_fp_ieee_underflow 0
		.amdhsa_exception_fp_ieee_inexact 0
		.amdhsa_exception_int_div_zero 0
	.end_amdhsa_kernel
	.section	.text._ZN7rocprim17ROCPRIM_400000_NS6detail17trampoline_kernelINS0_13select_configILj256ELj13ELNS0_17block_load_methodE3ELS4_3ELS4_3ELNS0_20block_scan_algorithmE0ELj4294967295EEENS1_25partition_config_selectorILNS1_17partition_subalgoE3EjNS0_10empty_typeEbEEZZNS1_14partition_implILS8_3ELb0ES6_jNS0_17counting_iteratorIjlEEPS9_SE_NS0_5tupleIJPjSE_EEENSF_IJSE_SE_EEES9_SG_JZNS1_25segmented_radix_sort_implINS0_14default_configELb1EPKsPsPKlPlN2at6native12_GLOBAL__N_18offset_tEEE10hipError_tPvRmT1_PNSt15iterator_traitsISY_E10value_typeET2_T3_PNSZ_IS14_E10value_typeET4_jRbjT5_S1A_jjP12ihipStream_tbEUljE_EEESV_SW_SX_S14_S18_S1A_T6_T7_T9_mT8_S1C_bDpT10_ENKUlT_T0_E_clISt17integral_constantIbLb1EES1O_IbLb0EEEEDaS1K_S1L_EUlS1K_E_NS1_11comp_targetILNS1_3genE8ELNS1_11target_archE1030ELNS1_3gpuE2ELNS1_3repE0EEENS1_30default_config_static_selectorELNS0_4arch9wavefront6targetE0EEEvSY_,"axG",@progbits,_ZN7rocprim17ROCPRIM_400000_NS6detail17trampoline_kernelINS0_13select_configILj256ELj13ELNS0_17block_load_methodE3ELS4_3ELS4_3ELNS0_20block_scan_algorithmE0ELj4294967295EEENS1_25partition_config_selectorILNS1_17partition_subalgoE3EjNS0_10empty_typeEbEEZZNS1_14partition_implILS8_3ELb0ES6_jNS0_17counting_iteratorIjlEEPS9_SE_NS0_5tupleIJPjSE_EEENSF_IJSE_SE_EEES9_SG_JZNS1_25segmented_radix_sort_implINS0_14default_configELb1EPKsPsPKlPlN2at6native12_GLOBAL__N_18offset_tEEE10hipError_tPvRmT1_PNSt15iterator_traitsISY_E10value_typeET2_T3_PNSZ_IS14_E10value_typeET4_jRbjT5_S1A_jjP12ihipStream_tbEUljE_EEESV_SW_SX_S14_S18_S1A_T6_T7_T9_mT8_S1C_bDpT10_ENKUlT_T0_E_clISt17integral_constantIbLb1EES1O_IbLb0EEEEDaS1K_S1L_EUlS1K_E_NS1_11comp_targetILNS1_3genE8ELNS1_11target_archE1030ELNS1_3gpuE2ELNS1_3repE0EEENS1_30default_config_static_selectorELNS0_4arch9wavefront6targetE0EEEvSY_,comdat
.Lfunc_end898:
	.size	_ZN7rocprim17ROCPRIM_400000_NS6detail17trampoline_kernelINS0_13select_configILj256ELj13ELNS0_17block_load_methodE3ELS4_3ELS4_3ELNS0_20block_scan_algorithmE0ELj4294967295EEENS1_25partition_config_selectorILNS1_17partition_subalgoE3EjNS0_10empty_typeEbEEZZNS1_14partition_implILS8_3ELb0ES6_jNS0_17counting_iteratorIjlEEPS9_SE_NS0_5tupleIJPjSE_EEENSF_IJSE_SE_EEES9_SG_JZNS1_25segmented_radix_sort_implINS0_14default_configELb1EPKsPsPKlPlN2at6native12_GLOBAL__N_18offset_tEEE10hipError_tPvRmT1_PNSt15iterator_traitsISY_E10value_typeET2_T3_PNSZ_IS14_E10value_typeET4_jRbjT5_S1A_jjP12ihipStream_tbEUljE_EEESV_SW_SX_S14_S18_S1A_T6_T7_T9_mT8_S1C_bDpT10_ENKUlT_T0_E_clISt17integral_constantIbLb1EES1O_IbLb0EEEEDaS1K_S1L_EUlS1K_E_NS1_11comp_targetILNS1_3genE8ELNS1_11target_archE1030ELNS1_3gpuE2ELNS1_3repE0EEENS1_30default_config_static_selectorELNS0_4arch9wavefront6targetE0EEEvSY_, .Lfunc_end898-_ZN7rocprim17ROCPRIM_400000_NS6detail17trampoline_kernelINS0_13select_configILj256ELj13ELNS0_17block_load_methodE3ELS4_3ELS4_3ELNS0_20block_scan_algorithmE0ELj4294967295EEENS1_25partition_config_selectorILNS1_17partition_subalgoE3EjNS0_10empty_typeEbEEZZNS1_14partition_implILS8_3ELb0ES6_jNS0_17counting_iteratorIjlEEPS9_SE_NS0_5tupleIJPjSE_EEENSF_IJSE_SE_EEES9_SG_JZNS1_25segmented_radix_sort_implINS0_14default_configELb1EPKsPsPKlPlN2at6native12_GLOBAL__N_18offset_tEEE10hipError_tPvRmT1_PNSt15iterator_traitsISY_E10value_typeET2_T3_PNSZ_IS14_E10value_typeET4_jRbjT5_S1A_jjP12ihipStream_tbEUljE_EEESV_SW_SX_S14_S18_S1A_T6_T7_T9_mT8_S1C_bDpT10_ENKUlT_T0_E_clISt17integral_constantIbLb1EES1O_IbLb0EEEEDaS1K_S1L_EUlS1K_E_NS1_11comp_targetILNS1_3genE8ELNS1_11target_archE1030ELNS1_3gpuE2ELNS1_3repE0EEENS1_30default_config_static_selectorELNS0_4arch9wavefront6targetE0EEEvSY_
                                        ; -- End function
	.set _ZN7rocprim17ROCPRIM_400000_NS6detail17trampoline_kernelINS0_13select_configILj256ELj13ELNS0_17block_load_methodE3ELS4_3ELS4_3ELNS0_20block_scan_algorithmE0ELj4294967295EEENS1_25partition_config_selectorILNS1_17partition_subalgoE3EjNS0_10empty_typeEbEEZZNS1_14partition_implILS8_3ELb0ES6_jNS0_17counting_iteratorIjlEEPS9_SE_NS0_5tupleIJPjSE_EEENSF_IJSE_SE_EEES9_SG_JZNS1_25segmented_radix_sort_implINS0_14default_configELb1EPKsPsPKlPlN2at6native12_GLOBAL__N_18offset_tEEE10hipError_tPvRmT1_PNSt15iterator_traitsISY_E10value_typeET2_T3_PNSZ_IS14_E10value_typeET4_jRbjT5_S1A_jjP12ihipStream_tbEUljE_EEESV_SW_SX_S14_S18_S1A_T6_T7_T9_mT8_S1C_bDpT10_ENKUlT_T0_E_clISt17integral_constantIbLb1EES1O_IbLb0EEEEDaS1K_S1L_EUlS1K_E_NS1_11comp_targetILNS1_3genE8ELNS1_11target_archE1030ELNS1_3gpuE2ELNS1_3repE0EEENS1_30default_config_static_selectorELNS0_4arch9wavefront6targetE0EEEvSY_.num_vgpr, 0
	.set _ZN7rocprim17ROCPRIM_400000_NS6detail17trampoline_kernelINS0_13select_configILj256ELj13ELNS0_17block_load_methodE3ELS4_3ELS4_3ELNS0_20block_scan_algorithmE0ELj4294967295EEENS1_25partition_config_selectorILNS1_17partition_subalgoE3EjNS0_10empty_typeEbEEZZNS1_14partition_implILS8_3ELb0ES6_jNS0_17counting_iteratorIjlEEPS9_SE_NS0_5tupleIJPjSE_EEENSF_IJSE_SE_EEES9_SG_JZNS1_25segmented_radix_sort_implINS0_14default_configELb1EPKsPsPKlPlN2at6native12_GLOBAL__N_18offset_tEEE10hipError_tPvRmT1_PNSt15iterator_traitsISY_E10value_typeET2_T3_PNSZ_IS14_E10value_typeET4_jRbjT5_S1A_jjP12ihipStream_tbEUljE_EEESV_SW_SX_S14_S18_S1A_T6_T7_T9_mT8_S1C_bDpT10_ENKUlT_T0_E_clISt17integral_constantIbLb1EES1O_IbLb0EEEEDaS1K_S1L_EUlS1K_E_NS1_11comp_targetILNS1_3genE8ELNS1_11target_archE1030ELNS1_3gpuE2ELNS1_3repE0EEENS1_30default_config_static_selectorELNS0_4arch9wavefront6targetE0EEEvSY_.num_agpr, 0
	.set _ZN7rocprim17ROCPRIM_400000_NS6detail17trampoline_kernelINS0_13select_configILj256ELj13ELNS0_17block_load_methodE3ELS4_3ELS4_3ELNS0_20block_scan_algorithmE0ELj4294967295EEENS1_25partition_config_selectorILNS1_17partition_subalgoE3EjNS0_10empty_typeEbEEZZNS1_14partition_implILS8_3ELb0ES6_jNS0_17counting_iteratorIjlEEPS9_SE_NS0_5tupleIJPjSE_EEENSF_IJSE_SE_EEES9_SG_JZNS1_25segmented_radix_sort_implINS0_14default_configELb1EPKsPsPKlPlN2at6native12_GLOBAL__N_18offset_tEEE10hipError_tPvRmT1_PNSt15iterator_traitsISY_E10value_typeET2_T3_PNSZ_IS14_E10value_typeET4_jRbjT5_S1A_jjP12ihipStream_tbEUljE_EEESV_SW_SX_S14_S18_S1A_T6_T7_T9_mT8_S1C_bDpT10_ENKUlT_T0_E_clISt17integral_constantIbLb1EES1O_IbLb0EEEEDaS1K_S1L_EUlS1K_E_NS1_11comp_targetILNS1_3genE8ELNS1_11target_archE1030ELNS1_3gpuE2ELNS1_3repE0EEENS1_30default_config_static_selectorELNS0_4arch9wavefront6targetE0EEEvSY_.numbered_sgpr, 0
	.set _ZN7rocprim17ROCPRIM_400000_NS6detail17trampoline_kernelINS0_13select_configILj256ELj13ELNS0_17block_load_methodE3ELS4_3ELS4_3ELNS0_20block_scan_algorithmE0ELj4294967295EEENS1_25partition_config_selectorILNS1_17partition_subalgoE3EjNS0_10empty_typeEbEEZZNS1_14partition_implILS8_3ELb0ES6_jNS0_17counting_iteratorIjlEEPS9_SE_NS0_5tupleIJPjSE_EEENSF_IJSE_SE_EEES9_SG_JZNS1_25segmented_radix_sort_implINS0_14default_configELb1EPKsPsPKlPlN2at6native12_GLOBAL__N_18offset_tEEE10hipError_tPvRmT1_PNSt15iterator_traitsISY_E10value_typeET2_T3_PNSZ_IS14_E10value_typeET4_jRbjT5_S1A_jjP12ihipStream_tbEUljE_EEESV_SW_SX_S14_S18_S1A_T6_T7_T9_mT8_S1C_bDpT10_ENKUlT_T0_E_clISt17integral_constantIbLb1EES1O_IbLb0EEEEDaS1K_S1L_EUlS1K_E_NS1_11comp_targetILNS1_3genE8ELNS1_11target_archE1030ELNS1_3gpuE2ELNS1_3repE0EEENS1_30default_config_static_selectorELNS0_4arch9wavefront6targetE0EEEvSY_.num_named_barrier, 0
	.set _ZN7rocprim17ROCPRIM_400000_NS6detail17trampoline_kernelINS0_13select_configILj256ELj13ELNS0_17block_load_methodE3ELS4_3ELS4_3ELNS0_20block_scan_algorithmE0ELj4294967295EEENS1_25partition_config_selectorILNS1_17partition_subalgoE3EjNS0_10empty_typeEbEEZZNS1_14partition_implILS8_3ELb0ES6_jNS0_17counting_iteratorIjlEEPS9_SE_NS0_5tupleIJPjSE_EEENSF_IJSE_SE_EEES9_SG_JZNS1_25segmented_radix_sort_implINS0_14default_configELb1EPKsPsPKlPlN2at6native12_GLOBAL__N_18offset_tEEE10hipError_tPvRmT1_PNSt15iterator_traitsISY_E10value_typeET2_T3_PNSZ_IS14_E10value_typeET4_jRbjT5_S1A_jjP12ihipStream_tbEUljE_EEESV_SW_SX_S14_S18_S1A_T6_T7_T9_mT8_S1C_bDpT10_ENKUlT_T0_E_clISt17integral_constantIbLb1EES1O_IbLb0EEEEDaS1K_S1L_EUlS1K_E_NS1_11comp_targetILNS1_3genE8ELNS1_11target_archE1030ELNS1_3gpuE2ELNS1_3repE0EEENS1_30default_config_static_selectorELNS0_4arch9wavefront6targetE0EEEvSY_.private_seg_size, 0
	.set _ZN7rocprim17ROCPRIM_400000_NS6detail17trampoline_kernelINS0_13select_configILj256ELj13ELNS0_17block_load_methodE3ELS4_3ELS4_3ELNS0_20block_scan_algorithmE0ELj4294967295EEENS1_25partition_config_selectorILNS1_17partition_subalgoE3EjNS0_10empty_typeEbEEZZNS1_14partition_implILS8_3ELb0ES6_jNS0_17counting_iteratorIjlEEPS9_SE_NS0_5tupleIJPjSE_EEENSF_IJSE_SE_EEES9_SG_JZNS1_25segmented_radix_sort_implINS0_14default_configELb1EPKsPsPKlPlN2at6native12_GLOBAL__N_18offset_tEEE10hipError_tPvRmT1_PNSt15iterator_traitsISY_E10value_typeET2_T3_PNSZ_IS14_E10value_typeET4_jRbjT5_S1A_jjP12ihipStream_tbEUljE_EEESV_SW_SX_S14_S18_S1A_T6_T7_T9_mT8_S1C_bDpT10_ENKUlT_T0_E_clISt17integral_constantIbLb1EES1O_IbLb0EEEEDaS1K_S1L_EUlS1K_E_NS1_11comp_targetILNS1_3genE8ELNS1_11target_archE1030ELNS1_3gpuE2ELNS1_3repE0EEENS1_30default_config_static_selectorELNS0_4arch9wavefront6targetE0EEEvSY_.uses_vcc, 0
	.set _ZN7rocprim17ROCPRIM_400000_NS6detail17trampoline_kernelINS0_13select_configILj256ELj13ELNS0_17block_load_methodE3ELS4_3ELS4_3ELNS0_20block_scan_algorithmE0ELj4294967295EEENS1_25partition_config_selectorILNS1_17partition_subalgoE3EjNS0_10empty_typeEbEEZZNS1_14partition_implILS8_3ELb0ES6_jNS0_17counting_iteratorIjlEEPS9_SE_NS0_5tupleIJPjSE_EEENSF_IJSE_SE_EEES9_SG_JZNS1_25segmented_radix_sort_implINS0_14default_configELb1EPKsPsPKlPlN2at6native12_GLOBAL__N_18offset_tEEE10hipError_tPvRmT1_PNSt15iterator_traitsISY_E10value_typeET2_T3_PNSZ_IS14_E10value_typeET4_jRbjT5_S1A_jjP12ihipStream_tbEUljE_EEESV_SW_SX_S14_S18_S1A_T6_T7_T9_mT8_S1C_bDpT10_ENKUlT_T0_E_clISt17integral_constantIbLb1EES1O_IbLb0EEEEDaS1K_S1L_EUlS1K_E_NS1_11comp_targetILNS1_3genE8ELNS1_11target_archE1030ELNS1_3gpuE2ELNS1_3repE0EEENS1_30default_config_static_selectorELNS0_4arch9wavefront6targetE0EEEvSY_.uses_flat_scratch, 0
	.set _ZN7rocprim17ROCPRIM_400000_NS6detail17trampoline_kernelINS0_13select_configILj256ELj13ELNS0_17block_load_methodE3ELS4_3ELS4_3ELNS0_20block_scan_algorithmE0ELj4294967295EEENS1_25partition_config_selectorILNS1_17partition_subalgoE3EjNS0_10empty_typeEbEEZZNS1_14partition_implILS8_3ELb0ES6_jNS0_17counting_iteratorIjlEEPS9_SE_NS0_5tupleIJPjSE_EEENSF_IJSE_SE_EEES9_SG_JZNS1_25segmented_radix_sort_implINS0_14default_configELb1EPKsPsPKlPlN2at6native12_GLOBAL__N_18offset_tEEE10hipError_tPvRmT1_PNSt15iterator_traitsISY_E10value_typeET2_T3_PNSZ_IS14_E10value_typeET4_jRbjT5_S1A_jjP12ihipStream_tbEUljE_EEESV_SW_SX_S14_S18_S1A_T6_T7_T9_mT8_S1C_bDpT10_ENKUlT_T0_E_clISt17integral_constantIbLb1EES1O_IbLb0EEEEDaS1K_S1L_EUlS1K_E_NS1_11comp_targetILNS1_3genE8ELNS1_11target_archE1030ELNS1_3gpuE2ELNS1_3repE0EEENS1_30default_config_static_selectorELNS0_4arch9wavefront6targetE0EEEvSY_.has_dyn_sized_stack, 0
	.set _ZN7rocprim17ROCPRIM_400000_NS6detail17trampoline_kernelINS0_13select_configILj256ELj13ELNS0_17block_load_methodE3ELS4_3ELS4_3ELNS0_20block_scan_algorithmE0ELj4294967295EEENS1_25partition_config_selectorILNS1_17partition_subalgoE3EjNS0_10empty_typeEbEEZZNS1_14partition_implILS8_3ELb0ES6_jNS0_17counting_iteratorIjlEEPS9_SE_NS0_5tupleIJPjSE_EEENSF_IJSE_SE_EEES9_SG_JZNS1_25segmented_radix_sort_implINS0_14default_configELb1EPKsPsPKlPlN2at6native12_GLOBAL__N_18offset_tEEE10hipError_tPvRmT1_PNSt15iterator_traitsISY_E10value_typeET2_T3_PNSZ_IS14_E10value_typeET4_jRbjT5_S1A_jjP12ihipStream_tbEUljE_EEESV_SW_SX_S14_S18_S1A_T6_T7_T9_mT8_S1C_bDpT10_ENKUlT_T0_E_clISt17integral_constantIbLb1EES1O_IbLb0EEEEDaS1K_S1L_EUlS1K_E_NS1_11comp_targetILNS1_3genE8ELNS1_11target_archE1030ELNS1_3gpuE2ELNS1_3repE0EEENS1_30default_config_static_selectorELNS0_4arch9wavefront6targetE0EEEvSY_.has_recursion, 0
	.set _ZN7rocprim17ROCPRIM_400000_NS6detail17trampoline_kernelINS0_13select_configILj256ELj13ELNS0_17block_load_methodE3ELS4_3ELS4_3ELNS0_20block_scan_algorithmE0ELj4294967295EEENS1_25partition_config_selectorILNS1_17partition_subalgoE3EjNS0_10empty_typeEbEEZZNS1_14partition_implILS8_3ELb0ES6_jNS0_17counting_iteratorIjlEEPS9_SE_NS0_5tupleIJPjSE_EEENSF_IJSE_SE_EEES9_SG_JZNS1_25segmented_radix_sort_implINS0_14default_configELb1EPKsPsPKlPlN2at6native12_GLOBAL__N_18offset_tEEE10hipError_tPvRmT1_PNSt15iterator_traitsISY_E10value_typeET2_T3_PNSZ_IS14_E10value_typeET4_jRbjT5_S1A_jjP12ihipStream_tbEUljE_EEESV_SW_SX_S14_S18_S1A_T6_T7_T9_mT8_S1C_bDpT10_ENKUlT_T0_E_clISt17integral_constantIbLb1EES1O_IbLb0EEEEDaS1K_S1L_EUlS1K_E_NS1_11comp_targetILNS1_3genE8ELNS1_11target_archE1030ELNS1_3gpuE2ELNS1_3repE0EEENS1_30default_config_static_selectorELNS0_4arch9wavefront6targetE0EEEvSY_.has_indirect_call, 0
	.section	.AMDGPU.csdata,"",@progbits
; Kernel info:
; codeLenInByte = 0
; TotalNumSgprs: 0
; NumVgprs: 0
; ScratchSize: 0
; MemoryBound: 0
; FloatMode: 240
; IeeeMode: 1
; LDSByteSize: 0 bytes/workgroup (compile time only)
; SGPRBlocks: 0
; VGPRBlocks: 0
; NumSGPRsForWavesPerEU: 1
; NumVGPRsForWavesPerEU: 1
; NamedBarCnt: 0
; Occupancy: 16
; WaveLimiterHint : 0
; COMPUTE_PGM_RSRC2:SCRATCH_EN: 0
; COMPUTE_PGM_RSRC2:USER_SGPR: 2
; COMPUTE_PGM_RSRC2:TRAP_HANDLER: 0
; COMPUTE_PGM_RSRC2:TGID_X_EN: 1
; COMPUTE_PGM_RSRC2:TGID_Y_EN: 0
; COMPUTE_PGM_RSRC2:TGID_Z_EN: 0
; COMPUTE_PGM_RSRC2:TIDIG_COMP_CNT: 0
	.section	.text._ZN7rocprim17ROCPRIM_400000_NS6detail17trampoline_kernelINS0_13select_configILj256ELj13ELNS0_17block_load_methodE3ELS4_3ELS4_3ELNS0_20block_scan_algorithmE0ELj4294967295EEENS1_25partition_config_selectorILNS1_17partition_subalgoE3EjNS0_10empty_typeEbEEZZNS1_14partition_implILS8_3ELb0ES6_jNS0_17counting_iteratorIjlEEPS9_SE_NS0_5tupleIJPjSE_EEENSF_IJSE_SE_EEES9_SG_JZNS1_25segmented_radix_sort_implINS0_14default_configELb1EPKsPsPKlPlN2at6native12_GLOBAL__N_18offset_tEEE10hipError_tPvRmT1_PNSt15iterator_traitsISY_E10value_typeET2_T3_PNSZ_IS14_E10value_typeET4_jRbjT5_S1A_jjP12ihipStream_tbEUljE_EEESV_SW_SX_S14_S18_S1A_T6_T7_T9_mT8_S1C_bDpT10_ENKUlT_T0_E_clISt17integral_constantIbLb0EES1O_IbLb1EEEEDaS1K_S1L_EUlS1K_E_NS1_11comp_targetILNS1_3genE0ELNS1_11target_archE4294967295ELNS1_3gpuE0ELNS1_3repE0EEENS1_30default_config_static_selectorELNS0_4arch9wavefront6targetE0EEEvSY_,"axG",@progbits,_ZN7rocprim17ROCPRIM_400000_NS6detail17trampoline_kernelINS0_13select_configILj256ELj13ELNS0_17block_load_methodE3ELS4_3ELS4_3ELNS0_20block_scan_algorithmE0ELj4294967295EEENS1_25partition_config_selectorILNS1_17partition_subalgoE3EjNS0_10empty_typeEbEEZZNS1_14partition_implILS8_3ELb0ES6_jNS0_17counting_iteratorIjlEEPS9_SE_NS0_5tupleIJPjSE_EEENSF_IJSE_SE_EEES9_SG_JZNS1_25segmented_radix_sort_implINS0_14default_configELb1EPKsPsPKlPlN2at6native12_GLOBAL__N_18offset_tEEE10hipError_tPvRmT1_PNSt15iterator_traitsISY_E10value_typeET2_T3_PNSZ_IS14_E10value_typeET4_jRbjT5_S1A_jjP12ihipStream_tbEUljE_EEESV_SW_SX_S14_S18_S1A_T6_T7_T9_mT8_S1C_bDpT10_ENKUlT_T0_E_clISt17integral_constantIbLb0EES1O_IbLb1EEEEDaS1K_S1L_EUlS1K_E_NS1_11comp_targetILNS1_3genE0ELNS1_11target_archE4294967295ELNS1_3gpuE0ELNS1_3repE0EEENS1_30default_config_static_selectorELNS0_4arch9wavefront6targetE0EEEvSY_,comdat
	.globl	_ZN7rocprim17ROCPRIM_400000_NS6detail17trampoline_kernelINS0_13select_configILj256ELj13ELNS0_17block_load_methodE3ELS4_3ELS4_3ELNS0_20block_scan_algorithmE0ELj4294967295EEENS1_25partition_config_selectorILNS1_17partition_subalgoE3EjNS0_10empty_typeEbEEZZNS1_14partition_implILS8_3ELb0ES6_jNS0_17counting_iteratorIjlEEPS9_SE_NS0_5tupleIJPjSE_EEENSF_IJSE_SE_EEES9_SG_JZNS1_25segmented_radix_sort_implINS0_14default_configELb1EPKsPsPKlPlN2at6native12_GLOBAL__N_18offset_tEEE10hipError_tPvRmT1_PNSt15iterator_traitsISY_E10value_typeET2_T3_PNSZ_IS14_E10value_typeET4_jRbjT5_S1A_jjP12ihipStream_tbEUljE_EEESV_SW_SX_S14_S18_S1A_T6_T7_T9_mT8_S1C_bDpT10_ENKUlT_T0_E_clISt17integral_constantIbLb0EES1O_IbLb1EEEEDaS1K_S1L_EUlS1K_E_NS1_11comp_targetILNS1_3genE0ELNS1_11target_archE4294967295ELNS1_3gpuE0ELNS1_3repE0EEENS1_30default_config_static_selectorELNS0_4arch9wavefront6targetE0EEEvSY_ ; -- Begin function _ZN7rocprim17ROCPRIM_400000_NS6detail17trampoline_kernelINS0_13select_configILj256ELj13ELNS0_17block_load_methodE3ELS4_3ELS4_3ELNS0_20block_scan_algorithmE0ELj4294967295EEENS1_25partition_config_selectorILNS1_17partition_subalgoE3EjNS0_10empty_typeEbEEZZNS1_14partition_implILS8_3ELb0ES6_jNS0_17counting_iteratorIjlEEPS9_SE_NS0_5tupleIJPjSE_EEENSF_IJSE_SE_EEES9_SG_JZNS1_25segmented_radix_sort_implINS0_14default_configELb1EPKsPsPKlPlN2at6native12_GLOBAL__N_18offset_tEEE10hipError_tPvRmT1_PNSt15iterator_traitsISY_E10value_typeET2_T3_PNSZ_IS14_E10value_typeET4_jRbjT5_S1A_jjP12ihipStream_tbEUljE_EEESV_SW_SX_S14_S18_S1A_T6_T7_T9_mT8_S1C_bDpT10_ENKUlT_T0_E_clISt17integral_constantIbLb0EES1O_IbLb1EEEEDaS1K_S1L_EUlS1K_E_NS1_11comp_targetILNS1_3genE0ELNS1_11target_archE4294967295ELNS1_3gpuE0ELNS1_3repE0EEENS1_30default_config_static_selectorELNS0_4arch9wavefront6targetE0EEEvSY_
	.p2align	8
	.type	_ZN7rocprim17ROCPRIM_400000_NS6detail17trampoline_kernelINS0_13select_configILj256ELj13ELNS0_17block_load_methodE3ELS4_3ELS4_3ELNS0_20block_scan_algorithmE0ELj4294967295EEENS1_25partition_config_selectorILNS1_17partition_subalgoE3EjNS0_10empty_typeEbEEZZNS1_14partition_implILS8_3ELb0ES6_jNS0_17counting_iteratorIjlEEPS9_SE_NS0_5tupleIJPjSE_EEENSF_IJSE_SE_EEES9_SG_JZNS1_25segmented_radix_sort_implINS0_14default_configELb1EPKsPsPKlPlN2at6native12_GLOBAL__N_18offset_tEEE10hipError_tPvRmT1_PNSt15iterator_traitsISY_E10value_typeET2_T3_PNSZ_IS14_E10value_typeET4_jRbjT5_S1A_jjP12ihipStream_tbEUljE_EEESV_SW_SX_S14_S18_S1A_T6_T7_T9_mT8_S1C_bDpT10_ENKUlT_T0_E_clISt17integral_constantIbLb0EES1O_IbLb1EEEEDaS1K_S1L_EUlS1K_E_NS1_11comp_targetILNS1_3genE0ELNS1_11target_archE4294967295ELNS1_3gpuE0ELNS1_3repE0EEENS1_30default_config_static_selectorELNS0_4arch9wavefront6targetE0EEEvSY_,@function
_ZN7rocprim17ROCPRIM_400000_NS6detail17trampoline_kernelINS0_13select_configILj256ELj13ELNS0_17block_load_methodE3ELS4_3ELS4_3ELNS0_20block_scan_algorithmE0ELj4294967295EEENS1_25partition_config_selectorILNS1_17partition_subalgoE3EjNS0_10empty_typeEbEEZZNS1_14partition_implILS8_3ELb0ES6_jNS0_17counting_iteratorIjlEEPS9_SE_NS0_5tupleIJPjSE_EEENSF_IJSE_SE_EEES9_SG_JZNS1_25segmented_radix_sort_implINS0_14default_configELb1EPKsPsPKlPlN2at6native12_GLOBAL__N_18offset_tEEE10hipError_tPvRmT1_PNSt15iterator_traitsISY_E10value_typeET2_T3_PNSZ_IS14_E10value_typeET4_jRbjT5_S1A_jjP12ihipStream_tbEUljE_EEESV_SW_SX_S14_S18_S1A_T6_T7_T9_mT8_S1C_bDpT10_ENKUlT_T0_E_clISt17integral_constantIbLb0EES1O_IbLb1EEEEDaS1K_S1L_EUlS1K_E_NS1_11comp_targetILNS1_3genE0ELNS1_11target_archE4294967295ELNS1_3gpuE0ELNS1_3repE0EEENS1_30default_config_static_selectorELNS0_4arch9wavefront6targetE0EEEvSY_: ; @_ZN7rocprim17ROCPRIM_400000_NS6detail17trampoline_kernelINS0_13select_configILj256ELj13ELNS0_17block_load_methodE3ELS4_3ELS4_3ELNS0_20block_scan_algorithmE0ELj4294967295EEENS1_25partition_config_selectorILNS1_17partition_subalgoE3EjNS0_10empty_typeEbEEZZNS1_14partition_implILS8_3ELb0ES6_jNS0_17counting_iteratorIjlEEPS9_SE_NS0_5tupleIJPjSE_EEENSF_IJSE_SE_EEES9_SG_JZNS1_25segmented_radix_sort_implINS0_14default_configELb1EPKsPsPKlPlN2at6native12_GLOBAL__N_18offset_tEEE10hipError_tPvRmT1_PNSt15iterator_traitsISY_E10value_typeET2_T3_PNSZ_IS14_E10value_typeET4_jRbjT5_S1A_jjP12ihipStream_tbEUljE_EEESV_SW_SX_S14_S18_S1A_T6_T7_T9_mT8_S1C_bDpT10_ENKUlT_T0_E_clISt17integral_constantIbLb0EES1O_IbLb1EEEEDaS1K_S1L_EUlS1K_E_NS1_11comp_targetILNS1_3genE0ELNS1_11target_archE4294967295ELNS1_3gpuE0ELNS1_3repE0EEENS1_30default_config_static_selectorELNS0_4arch9wavefront6targetE0EEEvSY_
; %bb.0:
	s_clause 0x5
	s_load_b64 s[16:17], s[0:1], 0x10
	s_load_b128 s[12:15], s[0:1], 0x48
	s_load_b64 s[18:19], s[0:1], 0x58
	s_load_b64 s[20:21], s[0:1], 0x68
	s_load_b32 s3, s[0:1], 0x90
	s_load_b128 s[4:7], s[0:1], 0x80
	v_cmp_eq_u32_e64 s2, 0, v0
	s_and_saveexec_b32 s8, s2
	s_cbranch_execz .LBB899_4
; %bb.1:
	s_mov_b32 s10, exec_lo
	s_mov_b32 s9, exec_lo
	v_mbcnt_lo_u32_b32 v1, s10, 0
                                        ; implicit-def: $vgpr2
	s_delay_alu instid0(VALU_DEP_1)
	v_cmpx_eq_u32_e32 0, v1
	s_cbranch_execz .LBB899_3
; %bb.2:
	s_load_b64 s[22:23], s[0:1], 0x78
	s_bcnt1_i32_b32 s10, s10
	s_delay_alu instid0(SALU_CYCLE_1)
	v_dual_mov_b32 v2, 0 :: v_dual_mov_b32 v3, s10
	s_wait_xcnt 0x0
	s_wait_kmcnt 0x0
	global_atomic_add_u32 v2, v2, v3, s[22:23] th:TH_ATOMIC_RETURN scope:SCOPE_DEV
.LBB899_3:
	s_wait_xcnt 0x0
	s_or_b32 exec_lo, exec_lo, s9
	s_wait_loadcnt 0x0
	v_readfirstlane_b32 s9, v2
	s_delay_alu instid0(VALU_DEP_1)
	v_dual_mov_b32 v2, 0 :: v_dual_add_nc_u32 v1, s9, v1
	ds_store_b32 v2, v1
.LBB899_4:
	s_or_b32 exec_lo, exec_lo, s8
	v_dual_mov_b32 v1, 0 :: v_dual_lshlrev_b32 v19, 2, v0
	s_clause 0x2
	s_load_b32 s8, s[0:1], 0x8
	s_load_b64 s[10:11], s[0:1], 0x28
	s_load_b32 s9, s[0:1], 0x70
	s_wait_dscnt 0x0
	s_barrier_signal -1
	s_barrier_wait -1
	ds_load_b32 v4, v1
	s_wait_dscnt 0x0
	s_barrier_signal -1
	s_barrier_wait -1
	s_wait_kmcnt 0x0
	global_load_b64 v[42:43], v1, s[14:15]
	s_mov_b32 s1, 0
	s_add_co_i32 s8, s8, s16
	s_mul_i32 s0, s9, 0xd00
	s_add_co_i32 s9, s9, -1
	s_wait_xcnt 0x0
	s_add_nc_u64 s[14:15], s[16:17], s[0:1]
	s_add_co_i32 s0, s0, s16
	v_cmp_gt_u64_e64 s1, s[18:19], s[14:15]
	v_readfirstlane_b32 s23, v4
	s_sub_co_i32 s22, s18, s0
	v_cmp_ne_u32_e32 vcc_lo, s9, v4
	s_addk_co_i32 s22, 0xd00
	s_mov_b32 s15, -1
	s_cmp_eq_u32 s23, s9
	s_mul_i32 s14, s23, 0xd00
	s_cselect_b32 s9, -1, 0
	s_or_b32 s1, s1, vcc_lo
	s_delay_alu instid0(SALU_CYCLE_1)
	s_and_b32 vcc_lo, exec_lo, s1
	s_cbranch_vccz .LBB899_6
; %bb.5:
	v_add3_u32 v1, s14, s8, v0
	s_mov_b32 s15, 0
	s_delay_alu instid0(VALU_DEP_1)
	v_add_nc_u32_e32 v2, 0x100, v1
	v_add_nc_u32_e32 v3, 0x200, v1
	v_add_nc_u32_e32 v5, 0x300, v1
	v_add_nc_u32_e32 v6, 0x400, v1
	v_add_nc_u32_e32 v7, 0x500, v1
	v_add_nc_u32_e32 v8, 0x600, v1
	v_add_nc_u32_e32 v9, 0x700, v1
	v_add_nc_u32_e32 v10, 0x800, v1
	v_add_nc_u32_e32 v11, 0x900, v1
	v_add_nc_u32_e32 v12, 0xa00, v1
	v_add_nc_u32_e32 v13, 0xb00, v1
	v_add_nc_u32_e32 v14, 0xc00, v1
	ds_store_2addr_stride64_b32 v19, v1, v2 offset1:4
	ds_store_2addr_stride64_b32 v19, v3, v5 offset0:8 offset1:12
	ds_store_2addr_stride64_b32 v19, v6, v7 offset0:16 offset1:20
	;; [unrolled: 1-line block ×5, first 2 shown]
	ds_store_b32 v19, v14 offset:12288
	s_wait_loadcnt_dscnt 0x0
	s_barrier_signal -1
	s_barrier_wait -1
.LBB899_6:
	v_cmp_gt_u32_e64 s0, s22, v0
	v_or_b32_e32 v40, 0x100, v0
	v_or_b32_e32 v38, 0x200, v0
	;; [unrolled: 1-line block ×12, first 2 shown]
	s_and_not1_b32 vcc_lo, exec_lo, s15
	s_cbranch_vccnz .LBB899_8
; %bb.7:
	s_add_co_i32 s8, s14, s8
	v_cmp_gt_u32_e32 vcc_lo, s22, v40
	v_dual_add_nc_u32 v1, s8, v0 :: v_dual_add_nc_u32 v3, s8, v38
	v_dual_add_nc_u32 v2, s8, v40 :: v_dual_add_nc_u32 v8, s8, v30
	s_delay_alu instid0(VALU_DEP_2) | instskip(NEXT) | instid1(VALU_DEP_2)
	v_dual_add_nc_u32 v9, s8, v28 :: v_dual_cndmask_b32 v1, 0, v1, s0
	v_dual_cndmask_b32 v2, 0, v2 :: v_dual_add_nc_u32 v5, s8, v36
	v_cmp_gt_u32_e32 vcc_lo, s22, v38
	v_dual_add_nc_u32 v12, s8, v22 :: v_dual_add_nc_u32 v13, s8, v20
	v_dual_add_nc_u32 v6, s8, v34 :: v_dual_add_nc_u32 v7, s8, v32
	v_cndmask_b32_e32 v3, 0, v3, vcc_lo
	v_cmp_gt_u32_e32 vcc_lo, s22, v36
	v_dual_add_nc_u32 v10, s8, v26 :: v_dual_add_nc_u32 v11, s8, v24
	v_cndmask_b32_e32 v5, 0, v5, vcc_lo
	v_cmp_gt_u32_e32 vcc_lo, s22, v34
	v_cndmask_b32_e32 v6, 0, v6, vcc_lo
	v_cmp_gt_u32_e32 vcc_lo, s22, v32
	;; [unrolled: 2-line block ×7, first 2 shown]
	v_dual_add_nc_u32 v14, s8, v18 :: v_dual_cndmask_b32 v12, 0, v12, vcc_lo
	v_cmp_gt_u32_e32 vcc_lo, s22, v20
	v_cndmask_b32_e32 v13, 0, v13, vcc_lo
	v_cmp_gt_u32_e32 vcc_lo, s22, v18
	s_delay_alu instid0(VALU_DEP_4)
	v_cndmask_b32_e32 v14, 0, v14, vcc_lo
	ds_store_2addr_stride64_b32 v19, v1, v2 offset1:4
	ds_store_2addr_stride64_b32 v19, v3, v5 offset0:8 offset1:12
	ds_store_2addr_stride64_b32 v19, v6, v7 offset0:16 offset1:20
	;; [unrolled: 1-line block ×5, first 2 shown]
	ds_store_b32 v19, v14 offset:12288
	s_wait_loadcnt_dscnt 0x0
	s_barrier_signal -1
	s_barrier_wait -1
.LBB899_8:
	v_mul_u32_u24_e32 v23, 13, v0
	s_wait_loadcnt 0x0
	v_cndmask_b32_e64 v21, 0, 1, s1
	s_and_not1_b32 vcc_lo, exec_lo, s1
	s_delay_alu instid0(VALU_DEP_2)
	v_lshlrev_b32_e32 v2, 2, v23
	ds_load_2addr_b32 v[52:53], v2 offset0:2 offset1:3
	ds_load_2addr_b32 v[48:49], v2 offset0:6 offset1:7
	;; [unrolled: 1-line block ×3, first 2 shown]
	ds_load_2addr_b32 v[54:55], v2 offset1:1
	ds_load_2addr_b32 v[44:45], v2 offset0:10 offset1:11
	ds_load_b32 v1, v2 offset:48
	ds_load_2addr_b32 v[46:47], v2 offset0:8 offset1:9
	s_wait_dscnt 0x0
	s_barrier_signal -1
	s_barrier_wait -1
	s_cbranch_vccnz .LBB899_10
; %bb.9:
	v_dual_add_nc_u32 v2, s5, v53 :: v_dual_add_nc_u32 v3, s5, v55
	v_dual_add_nc_u32 v5, s5, v54 :: v_dual_add_nc_u32 v6, s5, v52
	;; [unrolled: 1-line block ×4, first 2 shown]
	s_delay_alu instid0(VALU_DEP_3) | instskip(NEXT) | instid1(VALU_DEP_4)
	v_mul_lo_u32 v6, v6, s4
	v_mul_lo_u32 v5, v5, s4
	;; [unrolled: 1-line block ×8, first 2 shown]
	v_dual_add_nc_u32 v11, s5, v50 :: v_dual_add_nc_u32 v12, s7, v50
	v_dual_add_nc_u32 v13, s5, v48 :: v_dual_add_nc_u32 v15, s7, v45
	v_add_nc_u32_e32 v16, s5, v44
	s_delay_alu instid0(VALU_DEP_3) | instskip(NEXT) | instid1(VALU_DEP_4)
	v_mul_lo_u32 v11, v11, s4
	v_mul_lo_u32 v12, v12, s6
	v_dual_sub_nc_u32 v2, v2, v7 :: v_dual_sub_nc_u32 v3, v3, v8
	v_dual_sub_nc_u32 v5, v5, v9 :: v_dual_sub_nc_u32 v6, v6, v10
	v_dual_add_nc_u32 v7, s5, v51 :: v_dual_add_nc_u32 v8, s7, v51
	v_dual_add_nc_u32 v9, s5, v49 :: v_dual_add_nc_u32 v10, s7, v49
	s_delay_alu instid0(VALU_DEP_4) | instskip(NEXT) | instid1(VALU_DEP_3)
	v_cmp_lt_u32_e32 vcc_lo, s3, v2
	v_mul_lo_u32 v7, v7, s4
	s_delay_alu instid0(VALU_DEP_4) | instskip(NEXT) | instid1(VALU_DEP_4)
	v_mul_lo_u32 v8, v8, s6
	v_mul_lo_u32 v9, v9, s4
	;; [unrolled: 1-line block ×3, first 2 shown]
	v_cndmask_b32_e64 v2, 0, 1, vcc_lo
	v_cmp_lt_u32_e32 vcc_lo, s3, v3
	v_dual_add_nc_u32 v17, s7, v47 :: v_dual_add_nc_u32 v25, s7, v46
	v_mul_lo_u32 v15, v15, s6
	v_add_nc_u32_e32 v14, s5, v46
	v_cndmask_b32_e64 v3, 0, 1, vcc_lo
	s_delay_alu instid0(VALU_DEP_4) | instskip(SKIP_4) | instid1(VALU_DEP_3)
	v_mul_lo_u32 v17, v17, s6
	v_sub_nc_u32_e32 v7, v7, v8
	v_dual_add_nc_u32 v8, s7, v48 :: v_dual_sub_nc_u32 v9, v9, v10
	v_dual_sub_nc_u32 v10, v11, v12 :: v_dual_add_nc_u32 v11, s5, v45
	v_mul_lo_u32 v13, v13, s4
	v_mul_lo_u32 v8, v8, s6
	v_add_nc_u32_e32 v12, s5, v47
	v_cmp_lt_u32_e32 vcc_lo, s3, v7
	v_mul_lo_u32 v11, v11, s4
	v_lshlrev_b16 v3, 8, v3
	v_mul_lo_u32 v14, v14, s4
	v_mul_lo_u32 v12, v12, s4
	v_cndmask_b32_e64 v7, 0, 1, vcc_lo
	v_cmp_lt_u32_e32 vcc_lo, s3, v9
	v_lshrrev_b32_e32 v3, 8, v3
	v_mul_lo_u32 v25, v25, s6
	v_sub_nc_u32_e32 v8, v13, v8
	v_lshlrev_b16 v7, 8, v7
	v_cndmask_b32_e64 v9, 0, 1, vcc_lo
	v_sub_nc_u32_e32 v11, v11, v15
	v_cmp_lt_u32_e32 vcc_lo, s3, v5
	s_delay_alu instid0(VALU_DEP_4)
	v_dual_add_nc_u32 v27, s7, v44 :: v_dual_lshrrev_b32 v7, 8, v7
	v_sub_nc_u32_e32 v12, v12, v17
	v_mul_lo_u32 v13, v16, s4
	v_cndmask_b32_e64 v5, 0, 1, vcc_lo
	v_cmp_lt_u32_e32 vcc_lo, s3, v11
	v_mul_lo_u32 v16, v27, s6
	v_dual_add_nc_u32 v15, s5, v1 :: v_dual_add_nc_u32 v27, s7, v1
	v_lshlrev_b16 v2, 8, v2
	v_cndmask_b32_e64 v11, 0, 1, vcc_lo
	v_cmp_lt_u32_e32 vcc_lo, s3, v12
	s_delay_alu instid0(VALU_DEP_4)
	v_mul_lo_u32 v15, v15, s4
	v_mul_lo_u32 v17, v27, s6
	v_sub_nc_u32_e32 v14, v14, v25
	v_lshlrev_b16 v3, 8, v3
	v_cndmask_b32_e64 v12, 0, 1, vcc_lo
	v_cmp_lt_u32_e32 vcc_lo, s3, v6
	v_dual_sub_nc_u32 v13, v13, v16 :: v_dual_lshrrev_b32 v2, 8, v2
	s_delay_alu instid0(VALU_DEP_4)
	v_or_b32_e32 v3, v5, v3
	v_lshlrev_b16 v5, 8, v11
	v_cndmask_b32_e64 v6, 0, 1, vcc_lo
	v_cmp_lt_u32_e32 vcc_lo, s3, v10
	v_lshlrev_b16 v11, 8, v12
	v_lshlrev_b16 v9, 8, v9
	v_sub_nc_u32_e32 v12, v15, v17
	v_lshlrev_b16 v2, 8, v2
	v_cndmask_b32_e64 v10, 0, 1, vcc_lo
	v_cmp_lt_u32_e32 vcc_lo, s3, v8
	v_lshlrev_b16 v7, 8, v7
	v_dual_lshrrev_b32 v11, 8, v11 :: v_dual_lshrrev_b32 v5, 8, v5
	v_or_b32_e32 v2, v6, v2
	v_cndmask_b32_e64 v8, 0, 1, vcc_lo
	v_cmp_lt_u32_e32 vcc_lo, s3, v14
	s_delay_alu instid0(VALU_DEP_4)
	v_lshlrev_b16 v11, 8, v11
	v_lshlrev_b16 v5, 8, v5
	v_dual_lshlrev_b32 v2, 16, v2 :: v_dual_bitop2_b32 v6, v10, v7 bitop3:0x54
	v_cndmask_b32_e64 v14, 0, 1, vcc_lo
	v_cmp_lt_u32_e32 vcc_lo, s3, v13
	v_or_b32_e32 v7, v8, v9
	v_and_b32_e32 v3, 0xffff, v3
	v_and_b32_e32 v6, 0xffff, v6
	v_cndmask_b32_e64 v13, 0, 1, vcc_lo
	s_delay_alu instid0(VALU_DEP_4) | instskip(SKIP_2) | instid1(VALU_DEP_4)
	v_lshlrev_b32_e32 v7, 16, v7
	v_cmp_lt_u32_e32 vcc_lo, s3, v12
	v_or_b32_e32 v35, v3, v2
	v_or_b32_e32 v5, v13, v5
	;; [unrolled: 1-line block ×3, first 2 shown]
	v_cndmask_b32_e64 v25, 0, 1, vcc_lo
	s_delay_alu instid0(VALU_DEP_3) | instskip(NEXT) | instid1(VALU_DEP_3)
	v_dual_lshlrev_b32 v5, 16, v5 :: v_dual_bitop2_b32 v31, v6, v7 bitop3:0x54
	v_and_b32_e32 v8, 0xffff, v8
	s_delay_alu instid0(VALU_DEP_1)
	v_or_b32_e32 v27, v8, v5
	s_cbranch_execz .LBB899_11
	s_branch .LBB899_38
.LBB899_10:
                                        ; implicit-def: $vgpr25
                                        ; implicit-def: $vgpr27
                                        ; implicit-def: $vgpr31
                                        ; implicit-def: $vgpr35
.LBB899_11:
	v_dual_mov_b32 v3, 0 :: v_dual_mov_b32 v2, 0
	s_mov_b32 s0, exec_lo
	v_cmpx_gt_u32_e64 s22, v23
	s_cbranch_execz .LBB899_13
; %bb.12:
	v_dual_add_nc_u32 v2, s5, v54 :: v_dual_add_nc_u32 v5, s7, v54
	s_delay_alu instid0(VALU_DEP_1) | instskip(NEXT) | instid1(VALU_DEP_2)
	v_mul_lo_u32 v2, v2, s4
	v_mul_lo_u32 v5, v5, s6
	s_delay_alu instid0(VALU_DEP_1) | instskip(NEXT) | instid1(VALU_DEP_1)
	v_sub_nc_u32_e32 v2, v2, v5
	v_cmp_lt_u32_e32 vcc_lo, s3, v2
	v_cndmask_b32_e64 v2, 0, 1, vcc_lo
.LBB899_13:
	s_or_b32 exec_lo, exec_lo, s0
	v_add_nc_u32_e32 v5, 1, v23
	s_mov_b32 s0, exec_lo
	s_delay_alu instid0(VALU_DEP_1)
	v_cmpx_gt_u32_e64 s22, v5
	s_cbranch_execz .LBB899_15
; %bb.14:
	v_dual_add_nc_u32 v3, s5, v55 :: v_dual_add_nc_u32 v5, s7, v55
	s_delay_alu instid0(VALU_DEP_1) | instskip(NEXT) | instid1(VALU_DEP_2)
	v_mul_lo_u32 v3, v3, s4
	v_mul_lo_u32 v5, v5, s6
	s_delay_alu instid0(VALU_DEP_1) | instskip(NEXT) | instid1(VALU_DEP_1)
	v_sub_nc_u32_e32 v3, v3, v5
	v_cmp_lt_u32_e32 vcc_lo, s3, v3
	v_cndmask_b32_e64 v3, 0, 1, vcc_lo
.LBB899_15:
	s_or_b32 exec_lo, exec_lo, s0
	v_dual_mov_b32 v6, 0 :: v_dual_add_nc_u32 v5, 2, v23
	s_delay_alu instid0(VALU_DEP_1)
	v_cmp_gt_u32_e32 vcc_lo, s22, v5
	v_mov_b32_e32 v5, 0
	s_and_saveexec_b32 s0, vcc_lo
	s_cbranch_execz .LBB899_17
; %bb.16:
	v_dual_add_nc_u32 v5, s5, v52 :: v_dual_add_nc_u32 v7, s7, v52
	s_delay_alu instid0(VALU_DEP_1) | instskip(NEXT) | instid1(VALU_DEP_2)
	v_mul_lo_u32 v5, v5, s4
	v_mul_lo_u32 v7, v7, s6
	s_delay_alu instid0(VALU_DEP_1) | instskip(NEXT) | instid1(VALU_DEP_1)
	v_sub_nc_u32_e32 v5, v5, v7
	v_cmp_lt_u32_e32 vcc_lo, s3, v5
	v_cndmask_b32_e64 v5, 0, 1, vcc_lo
.LBB899_17:
	s_or_b32 exec_lo, exec_lo, s0
	v_add_nc_u32_e32 v7, 3, v23
	s_mov_b32 s0, exec_lo
	s_delay_alu instid0(VALU_DEP_1)
	v_cmpx_gt_u32_e64 s22, v7
	s_cbranch_execz .LBB899_19
; %bb.18:
	v_dual_add_nc_u32 v6, s5, v53 :: v_dual_add_nc_u32 v7, s7, v53
	s_delay_alu instid0(VALU_DEP_1) | instskip(NEXT) | instid1(VALU_DEP_2)
	v_mul_lo_u32 v6, v6, s4
	v_mul_lo_u32 v7, v7, s6
	s_delay_alu instid0(VALU_DEP_1) | instskip(NEXT) | instid1(VALU_DEP_1)
	v_sub_nc_u32_e32 v6, v6, v7
	v_cmp_lt_u32_e32 vcc_lo, s3, v6
	v_cndmask_b32_e64 v6, 0, 1, vcc_lo
.LBB899_19:
	s_or_b32 exec_lo, exec_lo, s0
	v_dual_mov_b32 v8, 0 :: v_dual_add_nc_u32 v7, 4, v23
	s_delay_alu instid0(VALU_DEP_1)
	v_cmp_gt_u32_e32 vcc_lo, s22, v7
	v_mov_b32_e32 v7, 0
	s_and_saveexec_b32 s0, vcc_lo
	;; [unrolled: 33-line block ×5, first 2 shown]
	s_cbranch_execz .LBB899_33
; %bb.32:
	v_dual_add_nc_u32 v13, s5, v44 :: v_dual_add_nc_u32 v15, s7, v44
	s_delay_alu instid0(VALU_DEP_1) | instskip(NEXT) | instid1(VALU_DEP_2)
	v_mul_lo_u32 v13, v13, s4
	v_mul_lo_u32 v15, v15, s6
	s_delay_alu instid0(VALU_DEP_1) | instskip(NEXT) | instid1(VALU_DEP_1)
	v_sub_nc_u32_e32 v13, v13, v15
	v_cmp_lt_u32_e32 vcc_lo, s3, v13
	v_cndmask_b32_e64 v13, 0, 1, vcc_lo
.LBB899_33:
	s_or_b32 exec_lo, exec_lo, s0
	v_add_nc_u32_e32 v15, 11, v23
	s_mov_b32 s0, exec_lo
	s_delay_alu instid0(VALU_DEP_1)
	v_cmpx_gt_u32_e64 s22, v15
	s_cbranch_execz .LBB899_35
; %bb.34:
	v_dual_add_nc_u32 v14, s5, v45 :: v_dual_add_nc_u32 v15, s7, v45
	s_delay_alu instid0(VALU_DEP_1) | instskip(NEXT) | instid1(VALU_DEP_2)
	v_mul_lo_u32 v14, v14, s4
	v_mul_lo_u32 v15, v15, s6
	s_delay_alu instid0(VALU_DEP_1) | instskip(NEXT) | instid1(VALU_DEP_1)
	v_sub_nc_u32_e32 v14, v14, v15
	v_cmp_lt_u32_e32 vcc_lo, s3, v14
	v_cndmask_b32_e64 v14, 0, 1, vcc_lo
.LBB899_35:
	s_or_b32 exec_lo, exec_lo, s0
	v_dual_add_nc_u32 v15, 12, v23 :: v_dual_mov_b32 v25, 0
	s_mov_b32 s0, exec_lo
	s_delay_alu instid0(VALU_DEP_1)
	v_cmpx_gt_u32_e64 s22, v15
	s_cbranch_execz .LBB899_37
; %bb.36:
	v_dual_add_nc_u32 v15, s7, v1 :: v_dual_add_nc_u32 v16, s5, v1
	s_delay_alu instid0(VALU_DEP_1) | instskip(NEXT) | instid1(VALU_DEP_2)
	v_mul_lo_u32 v15, v15, s6
	v_mul_lo_u32 v16, v16, s4
	s_delay_alu instid0(VALU_DEP_1) | instskip(NEXT) | instid1(VALU_DEP_1)
	v_sub_nc_u32_e32 v15, v16, v15
	v_cmp_lt_u32_e32 vcc_lo, s3, v15
	v_cndmask_b32_e64 v25, 0, 1, vcc_lo
.LBB899_37:
	s_or_b32 exec_lo, exec_lo, s0
	v_lshlrev_b16 v6, 8, v6
	v_lshlrev_b16 v8, 8, v8
	;; [unrolled: 1-line block ×5, first 2 shown]
	v_or_b32_e32 v5, v5, v6
	v_or_b32_e32 v6, v7, v8
	;; [unrolled: 1-line block ×3, first 2 shown]
	s_delay_alu instid0(VALU_DEP_1) | instskip(NEXT) | instid1(VALU_DEP_4)
	v_dual_lshlrev_b32 v7, 16, v7 :: v_dual_bitop2_b32 v8, v11, v12 bitop3:0x54
	v_dual_lshlrev_b32 v5, 16, v5 :: v_dual_bitop2_b32 v2, v2, v3 bitop3:0x54
	v_lshlrev_b16 v3, 8, v14
	s_delay_alu instid0(VALU_DEP_3) | instskip(NEXT) | instid1(VALU_DEP_3)
	v_and_b32_e32 v8, 0xffff, v8
	v_and_b32_e32 v2, 0xffff, v2
	s_delay_alu instid0(VALU_DEP_3) | instskip(NEXT) | instid1(VALU_DEP_1)
	v_or_b32_e32 v3, v13, v3
	v_dual_lshlrev_b32 v3, 16, v3 :: v_dual_bitop2_b32 v35, v2, v5 bitop3:0x54
	v_and_b32_e32 v6, 0xffff, v6
	s_delay_alu instid0(VALU_DEP_2) | instskip(NEXT) | instid1(VALU_DEP_2)
	v_or_b32_e32 v27, v8, v3
	v_or_b32_e32 v31, v6, v7
.LBB899_38:
	s_delay_alu instid0(VALU_DEP_4) | instskip(SKIP_2) | instid1(VALU_DEP_4)
	v_bfe_u32 v39, v35, 16, 8
	v_bfe_u32 v41, v35, 8, 8
	v_and_b32_e32 v57, 0xff, v35
	v_and_b32_e32 v58, 0xff, v31
	v_mbcnt_lo_u32_b32 v64, -1, 0
	v_lshrrev_b32_e32 v37, 24, v35
	v_bfe_u32 v59, v31, 16, 8
	v_add3_u32 v2, v41, v57, v39
	v_bfe_u32 v60, v31, 8, 8
	v_dual_lshrrev_b32 v33, 24, v31 :: v_dual_bitop2_b32 v5, 15, v64 bitop3:0x40
	v_lshrrev_b32_e32 v65, 5, v0
	s_delay_alu instid0(VALU_DEP_4)
	v_add3_u32 v2, v2, v37, v58
	v_and_b32_e32 v61, 0xff, v27
	v_bfe_u32 v62, v27, 16, 8
	v_bfe_u32 v63, v27, 8, 8
	v_dual_lshrrev_b32 v29, 24, v27 :: v_dual_bitop2_b32 v6, 31, v0 bitop3:0x54
	v_add3_u32 v2, v2, v60, v59
	v_and_b32_e32 v3, 0xff, v25
	v_and_b32_e32 v7, 16, v64
	v_cmp_ne_u32_e32 vcc_lo, 0, v4
	v_cmp_eq_u32_e64 s6, 0, v5
	v_add3_u32 v2, v2, v33, v61
	v_cmp_lt_u32_e64 s5, 1, v5
	v_cmp_lt_u32_e64 s4, 3, v5
	;; [unrolled: 1-line block ×3, first 2 shown]
	v_cmp_eq_u32_e64 s1, 0, v7
	v_add3_u32 v2, v2, v63, v62
	v_cmp_eq_u32_e64 s0, v0, v6
	s_mov_b32 s7, -1
	v_add3_u32 v66, v2, v29, v3
	s_cbranch_vccz .LBB899_60
; %bb.39:
	s_delay_alu instid0(VALU_DEP_1) | instskip(NEXT) | instid1(VALU_DEP_1)
	v_mov_b32_dpp v2, v66 row_shr:1 row_mask:0xf bank_mask:0xf
	v_cndmask_b32_e64 v2, v2, 0, s6
	s_delay_alu instid0(VALU_DEP_1) | instskip(NEXT) | instid1(VALU_DEP_1)
	v_add_nc_u32_e32 v2, v2, v66
	v_mov_b32_dpp v3, v2 row_shr:2 row_mask:0xf bank_mask:0xf
	s_delay_alu instid0(VALU_DEP_1) | instskip(NEXT) | instid1(VALU_DEP_1)
	v_cndmask_b32_e64 v3, 0, v3, s5
	v_add_nc_u32_e32 v2, v2, v3
	s_delay_alu instid0(VALU_DEP_1) | instskip(NEXT) | instid1(VALU_DEP_1)
	v_mov_b32_dpp v3, v2 row_shr:4 row_mask:0xf bank_mask:0xf
	v_cndmask_b32_e64 v3, 0, v3, s4
	s_delay_alu instid0(VALU_DEP_1) | instskip(NEXT) | instid1(VALU_DEP_1)
	v_add_nc_u32_e32 v2, v2, v3
	v_mov_b32_dpp v3, v2 row_shr:8 row_mask:0xf bank_mask:0xf
	s_delay_alu instid0(VALU_DEP_1) | instskip(NEXT) | instid1(VALU_DEP_1)
	v_cndmask_b32_e64 v3, 0, v3, s3
	v_add_nc_u32_e32 v2, v2, v3
	ds_swizzle_b32 v3, v2 offset:swizzle(BROADCAST,32,15)
	s_wait_dscnt 0x0
	v_cndmask_b32_e64 v3, v3, 0, s1
	s_delay_alu instid0(VALU_DEP_1)
	v_add_nc_u32_e32 v2, v2, v3
	s_and_saveexec_b32 s7, s0
; %bb.40:
	v_lshlrev_b32_e32 v3, 2, v65
	ds_store_b32 v3, v2
; %bb.41:
	s_or_b32 exec_lo, exec_lo, s7
	s_delay_alu instid0(SALU_CYCLE_1)
	s_mov_b32 s7, exec_lo
	s_wait_dscnt 0x0
	s_barrier_signal -1
	s_barrier_wait -1
	v_cmpx_gt_u32_e32 8, v0
	s_cbranch_execz .LBB899_43
; %bb.42:
	ds_load_b32 v3, v19
	s_wait_dscnt 0x0
	v_mov_b32_dpp v6, v3 row_shr:1 row_mask:0xf bank_mask:0xf
	v_and_b32_e32 v5, 7, v64
	s_delay_alu instid0(VALU_DEP_1) | instskip(NEXT) | instid1(VALU_DEP_3)
	v_cmp_ne_u32_e32 vcc_lo, 0, v5
	v_cndmask_b32_e32 v6, 0, v6, vcc_lo
	v_cmp_lt_u32_e32 vcc_lo, 1, v5
	s_delay_alu instid0(VALU_DEP_2) | instskip(NEXT) | instid1(VALU_DEP_1)
	v_add_nc_u32_e32 v3, v6, v3
	v_mov_b32_dpp v6, v3 row_shr:2 row_mask:0xf bank_mask:0xf
	s_delay_alu instid0(VALU_DEP_1) | instskip(SKIP_1) | instid1(VALU_DEP_2)
	v_cndmask_b32_e32 v6, 0, v6, vcc_lo
	v_cmp_lt_u32_e32 vcc_lo, 3, v5
	v_add_nc_u32_e32 v3, v3, v6
	s_delay_alu instid0(VALU_DEP_1) | instskip(NEXT) | instid1(VALU_DEP_1)
	v_mov_b32_dpp v6, v3 row_shr:4 row_mask:0xf bank_mask:0xf
	v_cndmask_b32_e32 v5, 0, v6, vcc_lo
	s_delay_alu instid0(VALU_DEP_1)
	v_add_nc_u32_e32 v3, v3, v5
	ds_store_b32 v19, v3
.LBB899_43:
	s_or_b32 exec_lo, exec_lo, s7
	s_delay_alu instid0(SALU_CYCLE_1)
	s_mov_b32 s8, exec_lo
	v_cmp_gt_u32_e32 vcc_lo, 32, v0
	s_wait_dscnt 0x0
	s_barrier_signal -1
	s_barrier_wait -1
                                        ; implicit-def: $vgpr10
	v_cmpx_lt_u32_e32 31, v0
	s_cbranch_execz .LBB899_45
; %bb.44:
	v_lshl_add_u32 v3, v65, 2, -4
	ds_load_b32 v10, v3
	s_wait_dscnt 0x0
	v_add_nc_u32_e32 v2, v10, v2
.LBB899_45:
	s_or_b32 exec_lo, exec_lo, s8
	v_sub_co_u32 v3, s7, v64, 1
	s_delay_alu instid0(VALU_DEP_1) | instskip(NEXT) | instid1(VALU_DEP_1)
	v_cmp_gt_i32_e64 s8, 0, v3
	v_cndmask_b32_e64 v3, v3, v64, s8
	s_delay_alu instid0(VALU_DEP_1)
	v_lshlrev_b32_e32 v3, 2, v3
	ds_bpermute_b32 v11, v3, v2
	s_and_saveexec_b32 s8, vcc_lo
	s_cbranch_execz .LBB899_65
; %bb.46:
	v_dual_mov_b32 v9, 0 :: v_dual_add_nc_u32 v12, 32, v4
	ds_load_b32 v2, v9 offset:28
	s_and_saveexec_b32 s15, s7
	s_cbranch_execz .LBB899_48
; %bb.47:
	v_mov_b32_e32 v3, 1
	s_wait_dscnt 0x0
	global_store_b64 v12, v[2:3], s[20:21] scale_offset scope:SCOPE_DEV
.LBB899_48:
	s_wait_xcnt 0x0
	s_or_b32 exec_lo, exec_lo, s15
	v_xad_u32 v4, v64, -1, v4
	s_mov_b32 s23, 0
	s_mov_b32 s15, exec_lo
	s_delay_alu instid0(VALU_DEP_1) | instskip(SKIP_4) | instid1(VALU_DEP_1)
	v_add_nc_u32_e32 v8, 32, v4
	global_load_b64 v[6:7], v8, s[20:21] scale_offset scope:SCOPE_DEV
	s_wait_loadcnt 0x0
	v_and_b32_e32 v3, 0xff, v7
	s_wait_xcnt 0x0
	v_cmpx_eq_u16_e32 0, v3
	s_cbranch_execz .LBB899_52
; %bb.49:
	v_lshl_add_u64 v[8:9], v[8:9], 3, s[20:21]
.LBB899_50:                             ; =>This Inner Loop Header: Depth=1
	global_load_b64 v[6:7], v[8:9], off scope:SCOPE_DEV
	s_wait_loadcnt 0x0
	v_and_b32_e32 v3, 0xff, v7
	s_delay_alu instid0(VALU_DEP_1)
	v_cmp_ne_u16_e32 vcc_lo, 0, v3
	s_or_b32 s23, vcc_lo, s23
	s_wait_xcnt 0x0
	s_and_not1_b32 exec_lo, exec_lo, s23
	s_cbranch_execnz .LBB899_50
; %bb.51:
	s_or_b32 exec_lo, exec_lo, s23
.LBB899_52:
	s_delay_alu instid0(SALU_CYCLE_1)
	s_or_b32 exec_lo, exec_lo, s15
	v_cmp_ne_u32_e32 vcc_lo, 31, v64
	v_lshlrev_b32_e64 v14, v64, -1
	v_lshl_or_b32 v69, v64, 2, 64
	v_dual_add_nc_u32 v16, 2, v64 :: v_dual_add_nc_u32 v56, 4, v64
	v_add_co_ci_u32_e64 v3, null, 0, v64, vcc_lo
	v_dual_add_nc_u32 v68, 8, v64 :: v_dual_add_nc_u32 v70, 16, v64
	s_delay_alu instid0(VALU_DEP_2)
	v_lshlrev_b32_e32 v13, 2, v3
	v_and_b32_e32 v3, 0xff, v7
	ds_bpermute_b32 v5, v13, v6
	v_cmp_eq_u16_e32 vcc_lo, 2, v3
	v_and_or_b32 v3, vcc_lo, v14, 0x80000000
	v_cmp_gt_u32_e32 vcc_lo, 30, v64
	s_delay_alu instid0(VALU_DEP_2) | instskip(SKIP_1) | instid1(VALU_DEP_2)
	v_ctz_i32_b32_e32 v3, v3
	v_cndmask_b32_e64 v8, 0, 2, vcc_lo
	v_cmp_lt_u32_e32 vcc_lo, v64, v3
	s_delay_alu instid0(VALU_DEP_2) | instskip(SKIP_3) | instid1(VALU_DEP_2)
	v_add_lshl_u32 v15, v8, v64, 2
	s_wait_dscnt 0x0
	v_cndmask_b32_e32 v5, 0, v5, vcc_lo
	v_cmp_gt_u32_e32 vcc_lo, 28, v64
	v_add_nc_u32_e32 v5, v5, v6
	v_cndmask_b32_e64 v8, 0, 4, vcc_lo
	v_cmp_le_u32_e32 vcc_lo, v16, v3
	ds_bpermute_b32 v6, v15, v5
	v_add_lshl_u32 v17, v8, v64, 2
	s_wait_dscnt 0x0
	v_cndmask_b32_e32 v6, 0, v6, vcc_lo
	v_cmp_gt_u32_e32 vcc_lo, 24, v64
	v_cndmask_b32_e64 v8, 0, 8, vcc_lo
	v_cmp_le_u32_e32 vcc_lo, v56, v3
	s_delay_alu instid0(VALU_DEP_4) | instskip(NEXT) | instid1(VALU_DEP_3)
	v_add_nc_u32_e32 v5, v5, v6
	v_add_lshl_u32 v67, v8, v64, 2
	ds_bpermute_b32 v6, v17, v5
	s_wait_dscnt 0x0
	v_cndmask_b32_e32 v6, 0, v6, vcc_lo
	v_cmp_le_u32_e32 vcc_lo, v68, v3
	s_delay_alu instid0(VALU_DEP_2) | instskip(SKIP_4) | instid1(VALU_DEP_2)
	v_add_nc_u32_e32 v5, v5, v6
	ds_bpermute_b32 v6, v67, v5
	s_wait_dscnt 0x0
	v_cndmask_b32_e32 v6, 0, v6, vcc_lo
	v_cmp_le_u32_e32 vcc_lo, v70, v3
	v_add_nc_u32_e32 v5, v5, v6
	ds_bpermute_b32 v6, v69, v5
	s_wait_dscnt 0x0
	v_cndmask_b32_e32 v3, 0, v6, vcc_lo
	s_delay_alu instid0(VALU_DEP_1)
	v_dual_mov_b32 v5, 0 :: v_dual_add_nc_u32 v6, v5, v3
	s_branch .LBB899_56
.LBB899_53:                             ;   in Loop: Header=BB899_56 Depth=1
	s_or_b32 exec_lo, exec_lo, s23
.LBB899_54:                             ;   in Loop: Header=BB899_56 Depth=1
	s_delay_alu instid0(SALU_CYCLE_1)
	s_or_b32 exec_lo, exec_lo, s15
	v_and_b32_e32 v8, 0xff, v7
	ds_bpermute_b32 v9, v13, v6
	v_subrev_nc_u32_e32 v4, 32, v4
	s_mov_b32 s15, 0
	v_cmp_eq_u16_e32 vcc_lo, 2, v8
	v_and_or_b32 v8, vcc_lo, v14, 0x80000000
	s_delay_alu instid0(VALU_DEP_1) | instskip(NEXT) | instid1(VALU_DEP_1)
	v_ctz_i32_b32_e32 v8, v8
	v_cmp_lt_u32_e32 vcc_lo, v64, v8
	s_wait_dscnt 0x0
	v_cndmask_b32_e32 v9, 0, v9, vcc_lo
	v_cmp_le_u32_e32 vcc_lo, v16, v8
	s_delay_alu instid0(VALU_DEP_2) | instskip(SKIP_4) | instid1(VALU_DEP_2)
	v_add_nc_u32_e32 v6, v9, v6
	ds_bpermute_b32 v9, v15, v6
	s_wait_dscnt 0x0
	v_cndmask_b32_e32 v9, 0, v9, vcc_lo
	v_cmp_le_u32_e32 vcc_lo, v56, v8
	v_add_nc_u32_e32 v6, v6, v9
	ds_bpermute_b32 v9, v17, v6
	s_wait_dscnt 0x0
	v_cndmask_b32_e32 v9, 0, v9, vcc_lo
	v_cmp_le_u32_e32 vcc_lo, v68, v8
	s_delay_alu instid0(VALU_DEP_2) | instskip(SKIP_4) | instid1(VALU_DEP_2)
	v_add_nc_u32_e32 v6, v6, v9
	ds_bpermute_b32 v9, v67, v6
	s_wait_dscnt 0x0
	v_cndmask_b32_e32 v9, 0, v9, vcc_lo
	v_cmp_le_u32_e32 vcc_lo, v70, v8
	v_add_nc_u32_e32 v6, v6, v9
	ds_bpermute_b32 v9, v69, v6
	s_wait_dscnt 0x0
	v_cndmask_b32_e32 v8, 0, v9, vcc_lo
	s_delay_alu instid0(VALU_DEP_1)
	v_add3_u32 v6, v8, v3, v6
.LBB899_55:                             ;   in Loop: Header=BB899_56 Depth=1
	s_and_b32 vcc_lo, exec_lo, s15
	s_cbranch_vccnz .LBB899_61
.LBB899_56:                             ; =>This Loop Header: Depth=1
                                        ;     Child Loop BB899_59 Depth 2
	v_and_b32_e32 v3, 0xff, v7
	s_mov_b32 s15, -1
                                        ; implicit-def: $vgpr7
	s_delay_alu instid0(VALU_DEP_1)
	v_cmp_ne_u16_e32 vcc_lo, 2, v3
	v_mov_b32_e32 v3, v6
                                        ; implicit-def: $vgpr6
	s_cmp_lg_u32 vcc_lo, exec_lo
	s_cbranch_scc1 .LBB899_55
; %bb.57:                               ;   in Loop: Header=BB899_56 Depth=1
	global_load_b64 v[6:7], v4, s[20:21] scale_offset scope:SCOPE_DEV
	s_mov_b32 s15, exec_lo
	s_wait_loadcnt 0x0
	v_and_b32_e32 v8, 0xff, v7
	s_wait_xcnt 0x0
	s_delay_alu instid0(VALU_DEP_1)
	v_cmpx_eq_u16_e32 0, v8
	s_cbranch_execz .LBB899_54
; %bb.58:                               ;   in Loop: Header=BB899_56 Depth=1
	v_lshl_add_u64 v[8:9], v[4:5], 3, s[20:21]
	s_mov_b32 s23, 0
.LBB899_59:                             ;   Parent Loop BB899_56 Depth=1
                                        ; =>  This Inner Loop Header: Depth=2
	global_load_b64 v[6:7], v[8:9], off scope:SCOPE_DEV
	s_wait_loadcnt 0x0
	v_and_b32_e32 v71, 0xff, v7
	s_delay_alu instid0(VALU_DEP_1)
	v_cmp_ne_u16_e32 vcc_lo, 0, v71
	s_or_b32 s23, vcc_lo, s23
	s_wait_xcnt 0x0
	s_and_not1_b32 exec_lo, exec_lo, s23
	s_cbranch_execnz .LBB899_59
	s_branch .LBB899_53
.LBB899_60:
                                        ; implicit-def: $vgpr2_vgpr3_vgpr4_vgpr5_vgpr6_vgpr7_vgpr8_vgpr9_vgpr10_vgpr11_vgpr12_vgpr13_vgpr14_vgpr15_vgpr16_vgpr17
                                        ; implicit-def: $vgpr56
                                        ; implicit-def: $vgpr16
	s_and_b32 vcc_lo, exec_lo, s7
	s_cbranch_vccnz .LBB899_66
	s_branch .LBB899_75
.LBB899_61:
	s_and_saveexec_b32 s15, s7
	s_cbranch_execz .LBB899_63
; %bb.62:
	v_dual_mov_b32 v5, 2 :: v_dual_add_nc_u32 v4, v3, v2
	v_mov_b32_e32 v6, 0
	global_store_b64 v12, v[4:5], s[20:21] scale_offset scope:SCOPE_DEV
	ds_store_b64 v6, v[2:3] offset:13312
.LBB899_63:
	s_wait_xcnt 0x0
	s_or_b32 exec_lo, exec_lo, s15
	s_delay_alu instid0(SALU_CYCLE_1)
	s_and_b32 exec_lo, exec_lo, s2
; %bb.64:
	v_mov_b32_e32 v2, 0
	ds_store_b32 v2, v3 offset:28
.LBB899_65:
	s_or_b32 exec_lo, exec_lo, s8
	s_wait_dscnt 0x0
	v_dual_mov_b32 v12, 0 :: v_dual_cndmask_b32 v3, v11, v10, s7
	s_wait_storecnt 0x0
	s_barrier_signal -1
	s_barrier_wait -1
	ds_load_b32 v2, v12 offset:28
	v_cndmask_b32_e64 v3, v3, 0, s2
	s_wait_dscnt 0x0
	s_barrier_signal -1
	s_barrier_wait -1
	ds_load_b64 v[16:17], v12 offset:13312
	v_add_nc_u32_e32 v2, v2, v3
	s_wait_dscnt 0x0
	s_delay_alu instid0(VALU_DEP_1) | instskip(NEXT) | instid1(VALU_DEP_1)
	v_dual_mov_b32 v56, v17 :: v_dual_add_nc_u32 v3, v2, v57
	v_add_nc_u32_e32 v4, v3, v41
	s_delay_alu instid0(VALU_DEP_1) | instskip(NEXT) | instid1(VALU_DEP_1)
	v_add_nc_u32_e32 v5, v4, v39
	v_add_nc_u32_e32 v6, v5, v37
	s_delay_alu instid0(VALU_DEP_1) | instskip(NEXT) | instid1(VALU_DEP_1)
	v_add_nc_u32_e32 v7, v6, v58
	;; [unrolled: 3-line block ×5, first 2 shown]
	v_add_nc_u32_e32 v14, v13, v29
	s_branch .LBB899_75
.LBB899_66:
	v_mov_b32_dpp v2, v66 row_shr:1 row_mask:0xf bank_mask:0xf
	s_delay_alu instid0(VALU_DEP_1) | instskip(NEXT) | instid1(VALU_DEP_1)
	v_cndmask_b32_e64 v2, v2, 0, s6
	v_add_nc_u32_e32 v2, v2, v66
	s_delay_alu instid0(VALU_DEP_1) | instskip(NEXT) | instid1(VALU_DEP_1)
	v_mov_b32_dpp v3, v2 row_shr:2 row_mask:0xf bank_mask:0xf
	v_cndmask_b32_e64 v3, 0, v3, s5
	s_delay_alu instid0(VALU_DEP_1) | instskip(NEXT) | instid1(VALU_DEP_1)
	v_add_nc_u32_e32 v2, v2, v3
	v_mov_b32_dpp v3, v2 row_shr:4 row_mask:0xf bank_mask:0xf
	s_delay_alu instid0(VALU_DEP_1) | instskip(NEXT) | instid1(VALU_DEP_1)
	v_cndmask_b32_e64 v3, 0, v3, s4
	v_add_nc_u32_e32 v2, v2, v3
	s_delay_alu instid0(VALU_DEP_1) | instskip(NEXT) | instid1(VALU_DEP_1)
	v_mov_b32_dpp v3, v2 row_shr:8 row_mask:0xf bank_mask:0xf
	v_cndmask_b32_e64 v3, 0, v3, s3
	s_delay_alu instid0(VALU_DEP_1) | instskip(SKIP_3) | instid1(VALU_DEP_1)
	v_add_nc_u32_e32 v2, v2, v3
	ds_swizzle_b32 v3, v2 offset:swizzle(BROADCAST,32,15)
	s_wait_dscnt 0x0
	v_cndmask_b32_e64 v3, v3, 0, s1
	v_add_nc_u32_e32 v2, v2, v3
	s_and_saveexec_b32 s1, s0
; %bb.67:
	v_lshlrev_b32_e32 v3, 2, v65
	ds_store_b32 v3, v2
; %bb.68:
	s_or_b32 exec_lo, exec_lo, s1
	s_delay_alu instid0(SALU_CYCLE_1)
	s_mov_b32 s0, exec_lo
	s_wait_dscnt 0x0
	s_barrier_signal -1
	s_barrier_wait -1
	v_cmpx_gt_u32_e32 8, v0
	s_cbranch_execz .LBB899_70
; %bb.69:
	ds_load_b32 v3, v19
	s_wait_dscnt 0x0
	v_mov_b32_dpp v5, v3 row_shr:1 row_mask:0xf bank_mask:0xf
	v_and_b32_e32 v4, 7, v64
	s_delay_alu instid0(VALU_DEP_1) | instskip(NEXT) | instid1(VALU_DEP_3)
	v_cmp_ne_u32_e32 vcc_lo, 0, v4
	v_cndmask_b32_e32 v5, 0, v5, vcc_lo
	v_cmp_lt_u32_e32 vcc_lo, 1, v4
	s_delay_alu instid0(VALU_DEP_2) | instskip(NEXT) | instid1(VALU_DEP_1)
	v_add_nc_u32_e32 v3, v5, v3
	v_mov_b32_dpp v5, v3 row_shr:2 row_mask:0xf bank_mask:0xf
	s_delay_alu instid0(VALU_DEP_1) | instskip(SKIP_1) | instid1(VALU_DEP_2)
	v_cndmask_b32_e32 v5, 0, v5, vcc_lo
	v_cmp_lt_u32_e32 vcc_lo, 3, v4
	v_add_nc_u32_e32 v3, v3, v5
	s_delay_alu instid0(VALU_DEP_1) | instskip(NEXT) | instid1(VALU_DEP_1)
	v_mov_b32_dpp v5, v3 row_shr:4 row_mask:0xf bank_mask:0xf
	v_cndmask_b32_e32 v4, 0, v5, vcc_lo
	s_delay_alu instid0(VALU_DEP_1)
	v_add_nc_u32_e32 v3, v3, v4
	ds_store_b32 v19, v3
.LBB899_70:
	s_or_b32 exec_lo, exec_lo, s0
	v_dual_mov_b32 v4, 0 :: v_dual_mov_b32 v3, 0
	s_mov_b32 s0, exec_lo
	s_wait_dscnt 0x0
	s_barrier_signal -1
	s_barrier_wait -1
	v_cmpx_lt_u32_e32 31, v0
; %bb.71:
	v_lshl_add_u32 v3, v65, 2, -4
	ds_load_b32 v3, v3
; %bb.72:
	s_or_b32 exec_lo, exec_lo, s0
	v_sub_co_u32 v5, vcc_lo, v64, 1
	ds_load_b32 v16, v4 offset:28
	s_wait_dscnt 0x1
	v_add_nc_u32_e32 v2, v3, v2
	v_cmp_gt_i32_e64 s0, 0, v5
	s_delay_alu instid0(VALU_DEP_1) | instskip(NEXT) | instid1(VALU_DEP_1)
	v_cndmask_b32_e64 v5, v5, v64, s0
	v_lshlrev_b32_e32 v5, 2, v5
	ds_bpermute_b32 v2, v5, v2
	s_and_saveexec_b32 s0, s2
	s_cbranch_execz .LBB899_74
; %bb.73:
	v_dual_mov_b32 v4, 0 :: v_dual_mov_b32 v17, 2
	s_wait_dscnt 0x1
	global_store_b64 v4, v[16:17], s[20:21] offset:256 scope:SCOPE_DEV
.LBB899_74:
	s_wait_xcnt 0x0
	s_or_b32 exec_lo, exec_lo, s0
	s_wait_dscnt 0x0
	v_cndmask_b32_e32 v2, v2, v3, vcc_lo
	s_wait_storecnt 0x0
	s_barrier_signal -1
	s_barrier_wait -1
	s_delay_alu instid0(VALU_DEP_1) | instskip(NEXT) | instid1(VALU_DEP_1)
	v_cndmask_b32_e64 v2, v2, 0, s2
	v_dual_mov_b32 v56, 0 :: v_dual_add_nc_u32 v3, v2, v57
	s_delay_alu instid0(VALU_DEP_1) | instskip(NEXT) | instid1(VALU_DEP_1)
	v_add_nc_u32_e32 v4, v3, v41
	v_add_nc_u32_e32 v5, v4, v39
	s_delay_alu instid0(VALU_DEP_1) | instskip(NEXT) | instid1(VALU_DEP_1)
	v_add_nc_u32_e32 v6, v5, v37
	v_add_nc_u32_e32 v7, v6, v58
	;; [unrolled: 3-line block ×5, first 2 shown]
	s_delay_alu instid0(VALU_DEP_1)
	v_add_nc_u32_e32 v14, v13, v29
.LBB899_75:
	v_dual_lshrrev_b32 v57, 16, v35 :: v_dual_lshrrev_b32 v58, 8, v35
	v_dual_add_nc_u32 v23, v16, v23 :: v_dual_sub_nc_u32 v3, v3, v56
	v_dual_sub_nc_u32 v2, v2, v56 :: v_dual_bitop2_b32 v35, 1, v35 bitop3:0x40
	s_delay_alu instid0(VALU_DEP_3) | instskip(NEXT) | instid1(VALU_DEP_3)
	v_dual_sub_nc_u32 v4, v4, v56 :: v_dual_bitop2_b32 v58, 1, v58 bitop3:0x40
	v_dual_sub_nc_u32 v59, v23, v3 :: v_dual_bitop2_b32 v57, 1, v57 bitop3:0x40
	s_delay_alu instid0(VALU_DEP_3) | instskip(NEXT) | instid1(VALU_DEP_4)
	v_dual_sub_nc_u32 v60, v23, v2 :: v_dual_sub_nc_u32 v5, v5, v56
	v_cmp_eq_u32_e32 vcc_lo, 1, v35
	s_delay_alu instid0(VALU_DEP_3) | instskip(SKIP_1) | instid1(VALU_DEP_4)
	v_dual_sub_nc_u32 v61, v23, v4 :: v_dual_add_nc_u32 v59, 1, v59
	v_dual_lshrrev_b32 v41, 8, v31 :: v_dual_lshrrev_b32 v39, 16, v31
	v_cndmask_b32_e32 v2, v60, v2, vcc_lo
	v_cmp_eq_u32_e32 vcc_lo, 1, v58
	v_dual_lshrrev_b32 v15, 16, v27 :: v_dual_lshrrev_b32 v17, 8, v27
	v_cndmask_b32_e32 v3, v59, v3, vcc_lo
	s_delay_alu instid0(VALU_DEP_4)
	v_dual_sub_nc_u32 v35, v23, v5 :: v_dual_lshlrev_b32 v2, 2, v2
	v_and_b32_e32 v37, 1, v37
	v_add_nc_u32_e32 v58, 2, v61
	v_cmp_eq_u32_e32 vcc_lo, 1, v57
	v_lshlrev_b32_e32 v3, 2, v3
	v_add_nc_u32_e32 v35, 3, v35
	ds_store_b32 v2, v54
	ds_store_b32 v3, v55
	v_cndmask_b32_e32 v4, v58, v4, vcc_lo
	v_cmp_eq_u32_e32 vcc_lo, 1, v37
	v_dual_cndmask_b32 v5, v35, v5 :: v_dual_sub_nc_u32 v6, v6, v56
	s_delay_alu instid0(VALU_DEP_1) | instskip(NEXT) | instid1(VALU_DEP_2)
	v_dual_lshlrev_b32 v3, 2, v4 :: v_dual_lshlrev_b32 v4, 2, v5
	v_sub_nc_u32_e32 v2, v23, v6
	v_dual_sub_nc_u32 v5, v7, v56 :: v_dual_bitop2_b32 v7, 1, v31 bitop3:0x40
	s_delay_alu instid0(VALU_DEP_2)
	v_add_nc_u32_e32 v2, 4, v2
	ds_store_b32 v3, v52
	ds_store_b32 v4, v53
	v_cmp_eq_u32_e32 vcc_lo, 1, v7
	v_dual_sub_nc_u32 v4, v8, v56 :: v_dual_cndmask_b32 v2, v2, v6, vcc_lo
	v_sub_nc_u32_e32 v3, v23, v5
	v_dual_sub_nc_u32 v7, v9, v56 :: v_dual_bitop2_b32 v6, 1, v41 bitop3:0x40
	s_delay_alu instid0(VALU_DEP_2) | instskip(NEXT) | instid1(VALU_DEP_2)
	v_dual_lshlrev_b32 v2, 2, v2 :: v_dual_add_nc_u32 v3, 5, v3
	v_cmp_eq_u32_e32 vcc_lo, 1, v6
	v_dual_sub_nc_u32 v8, v23, v4 :: v_dual_bitop2_b32 v6, 1, v39 bitop3:0x40
	ds_store_b32 v2, v50
	v_and_b32_e32 v2, 1, v33
	v_cndmask_b32_e32 v3, v3, v5, vcc_lo
	v_dual_sub_nc_u32 v5, v23, v7 :: v_dual_add_nc_u32 v8, 6, v8
	v_cmp_eq_u32_e32 vcc_lo, 1, v6
	s_delay_alu instid0(VALU_DEP_3) | instskip(NEXT) | instid1(VALU_DEP_3)
	v_dual_sub_nc_u32 v6, v11, v56 :: v_dual_lshlrev_b32 v3, 2, v3
	v_dual_cndmask_b32 v4, v8, v4 :: v_dual_add_nc_u32 v5, 7, v5
	v_cmp_eq_u32_e32 vcc_lo, 1, v2
	ds_store_b32 v3, v51
	v_dual_sub_nc_u32 v3, v23, v6 :: v_dual_sub_nc_u32 v8, v14, v56
	v_dual_lshlrev_b32 v4, 2, v4 :: v_dual_cndmask_b32 v2, v5, v7, vcc_lo
	v_dual_sub_nc_u32 v5, v10, v56 :: v_dual_bitop2_b32 v7, 1, v17 bitop3:0x40
	s_delay_alu instid0(VALU_DEP_3)
	v_add_nc_u32_e32 v3, 9, v3
	ds_store_b32 v4, v48
	v_dual_lshlrev_b32 v2, 2, v2 :: v_dual_sub_nc_u32 v4, v23, v5
	v_cmp_eq_u32_e32 vcc_lo, 1, v7
	v_sub_nc_u32_e32 v7, v12, v56
	v_sub_nc_u32_e32 v9, v23, v8
	ds_store_b32 v2, v49
	v_dual_add_nc_u32 v4, 8, v4 :: v_dual_bitop2_b32 v2, 1, v27 bitop3:0x40
	v_dual_cndmask_b32 v3, v3, v6 :: v_dual_sub_nc_u32 v6, v13, v56
	s_delay_alu instid0(VALU_DEP_2) | instskip(NEXT) | instid1(VALU_DEP_2)
	v_cmp_eq_u32_e32 vcc_lo, 1, v2
	v_dual_cndmask_b32 v2, v4, v5, vcc_lo :: v_dual_sub_nc_u32 v4, v23, v6
	v_and_b32_e32 v10, 1, v15
	v_dual_sub_nc_u32 v5, v23, v7 :: v_dual_bitop2_b32 v12, 1, v25 bitop3:0x40
	s_delay_alu instid0(VALU_DEP_3) | instskip(SKIP_1) | instid1(VALU_DEP_1)
	v_dual_lshlrev_b32 v2, 2, v2 :: v_dual_add_nc_u32 v4, 11, v4
	v_and_b32_e32 v11, 1, v29
	v_cmp_eq_u32_e32 vcc_lo, 1, v11
	s_delay_alu instid0(VALU_DEP_3) | instskip(SKIP_3) | instid1(VALU_DEP_1)
	v_cndmask_b32_e32 v4, v4, v6, vcc_lo
	v_cmp_eq_u32_e32 vcc_lo, 1, v10
	v_add_nc_u32_e32 v9, 12, v9
	v_add_nc_u32_e32 v5, 10, v5
	v_cndmask_b32_e32 v5, v5, v7, vcc_lo
	v_cmp_eq_u32_e32 vcc_lo, 1, v12
	s_delay_alu instid0(VALU_DEP_2) | instskip(SKIP_3) | instid1(VALU_DEP_3)
	v_dual_lshlrev_b32 v3, 2, v3 :: v_dual_lshlrev_b32 v5, 2, v5
	v_cndmask_b32_e32 v6, v9, v8, vcc_lo
	v_lshlrev_b32_e32 v4, 2, v4
	v_cmp_ne_u32_e32 vcc_lo, 1, v21
	v_lshlrev_b32_e32 v6, 2, v6
	ds_store_b32 v2, v46
	ds_store_b32 v3, v47
	;; [unrolled: 1-line block ×5, first 2 shown]
	s_wait_dscnt 0x0
	s_barrier_signal -1
	s_barrier_wait -1
	ds_load_2addr_stride64_b32 v[14:15], v19 offset1:4
	ds_load_2addr_stride64_b32 v[12:13], v19 offset0:8 offset1:12
	ds_load_2addr_stride64_b32 v[10:11], v19 offset0:16 offset1:20
	ds_load_2addr_stride64_b32 v[8:9], v19 offset0:24 offset1:28
	ds_load_2addr_stride64_b32 v[6:7], v19 offset0:32 offset1:36
	ds_load_2addr_stride64_b32 v[4:5], v19 offset0:40 offset1:44
	ds_load_b32 v46, v19 offset:12288
	v_mov_b32_e32 v1, 0
	s_and_b32 vcc_lo, exec_lo, vcc_lo
	s_delay_alu instid0(VALU_DEP_1) | instskip(SKIP_2) | instid1(VALU_DEP_3)
	v_dual_mov_b32 v29, v1 :: v_dual_mov_b32 v57, v1
	v_dual_mov_b32 v41, v1 :: v_dual_mov_b32 v39, v1
	;; [unrolled: 1-line block ×3, first 2 shown]
	v_add_nc_u64_e32 v[2:3], v[42:43], v[56:57]
	v_dual_mov_b32 v33, v1 :: v_dual_mov_b32 v31, v1
	v_dual_mov_b32 v27, v1 :: v_dual_mov_b32 v25, v1
	;; [unrolled: 1-line block ×3, first 2 shown]
	v_mov_b32_e32 v19, v1
	s_cbranch_vccnz .LBB899_132
; %bb.76:
	v_mov_b32_e32 v17, v1
	s_mov_b32 s15, 0
	v_sub_nc_u64_e64 v[42:43], v[2:3], s[16:17]
	s_sub_nc_u64 s[0:1], s[18:19], s[14:15]
	s_delay_alu instid0(VALU_DEP_2) | instid1(SALU_CYCLE_1)
	v_add_nc_u64_e32 v[44:45], s[0:1], v[16:17]
	s_mov_b32 s0, exec_lo
	s_delay_alu instid0(VALU_DEP_1)
	v_add_nc_u64_e32 v[42:43], v[44:45], v[42:43]
                                        ; implicit-def: $vgpr44_vgpr45
	v_cmpx_ge_u32_e64 v0, v16
	s_xor_b32 s0, exec_lo, s0
; %bb.77:
	v_not_b32_e32 v44, v0
	s_delay_alu instid0(VALU_DEP_1) | instskip(NEXT) | instid1(VALU_DEP_1)
	v_ashrrev_i32_e32 v45, 31, v44
	v_add_nc_u64_e32 v[44:45], v[42:43], v[44:45]
; %bb.78:
	s_and_not1_saveexec_b32 s0, s0
; %bb.79:
	v_add_nc_u64_e32 v[44:45], v[2:3], v[0:1]
; %bb.80:
	s_or_b32 exec_lo, exec_lo, s0
	s_delay_alu instid0(VALU_DEP_1)
	v_lshl_add_u64 v[44:45], v[44:45], 2, s[10:11]
	s_mov_b32 s0, exec_lo
	s_wait_dscnt 0x6
	global_store_b32 v[44:45], v14, off
                                        ; implicit-def: $vgpr44_vgpr45
	s_wait_xcnt 0x0
	v_cmpx_ge_u32_e64 v40, v16
	s_xor_b32 s0, exec_lo, s0
; %bb.81:
	v_xor_b32_e32 v44, 0xfffffeff, v0
	s_delay_alu instid0(VALU_DEP_1) | instskip(NEXT) | instid1(VALU_DEP_1)
	v_ashrrev_i32_e32 v45, 31, v44
	v_add_nc_u64_e32 v[44:45], v[42:43], v[44:45]
; %bb.82:
	s_and_not1_saveexec_b32 s0, s0
; %bb.83:
	v_add_nc_u64_e32 v[44:45], v[2:3], v[40:41]
; %bb.84:
	s_or_b32 exec_lo, exec_lo, s0
	s_delay_alu instid0(VALU_DEP_1)
	v_lshl_add_u64 v[44:45], v[44:45], 2, s[10:11]
	s_mov_b32 s0, exec_lo
	global_store_b32 v[44:45], v15, off
                                        ; implicit-def: $vgpr44_vgpr45
	s_wait_xcnt 0x0
	v_cmpx_ge_u32_e64 v38, v16
	s_xor_b32 s0, exec_lo, s0
; %bb.85:
	v_xor_b32_e32 v44, 0xfffffdff, v0
	s_delay_alu instid0(VALU_DEP_1) | instskip(NEXT) | instid1(VALU_DEP_1)
	v_ashrrev_i32_e32 v45, 31, v44
	v_add_nc_u64_e32 v[44:45], v[42:43], v[44:45]
; %bb.86:
	s_and_not1_saveexec_b32 s0, s0
; %bb.87:
	v_add_nc_u64_e32 v[44:45], v[2:3], v[38:39]
; %bb.88:
	s_or_b32 exec_lo, exec_lo, s0
	s_delay_alu instid0(VALU_DEP_1)
	v_lshl_add_u64 v[44:45], v[44:45], 2, s[10:11]
	s_mov_b32 s0, exec_lo
	s_wait_dscnt 0x5
	global_store_b32 v[44:45], v12, off
                                        ; implicit-def: $vgpr44_vgpr45
	s_wait_xcnt 0x0
	v_cmpx_ge_u32_e64 v36, v16
	s_xor_b32 s0, exec_lo, s0
; %bb.89:
	v_xor_b32_e32 v44, 0xfffffcff, v0
	s_delay_alu instid0(VALU_DEP_1) | instskip(NEXT) | instid1(VALU_DEP_1)
	v_ashrrev_i32_e32 v45, 31, v44
	v_add_nc_u64_e32 v[44:45], v[42:43], v[44:45]
; %bb.90:
	s_and_not1_saveexec_b32 s0, s0
; %bb.91:
	v_add_nc_u64_e32 v[44:45], v[2:3], v[36:37]
; %bb.92:
	s_or_b32 exec_lo, exec_lo, s0
	s_delay_alu instid0(VALU_DEP_1)
	v_lshl_add_u64 v[44:45], v[44:45], 2, s[10:11]
	s_mov_b32 s0, exec_lo
	global_store_b32 v[44:45], v13, off
                                        ; implicit-def: $vgpr44_vgpr45
	s_wait_xcnt 0x0
	v_cmpx_ge_u32_e64 v34, v16
	s_xor_b32 s0, exec_lo, s0
; %bb.93:
	v_xor_b32_e32 v44, 0xfffffbff, v0
	;; [unrolled: 39-line block ×6, first 2 shown]
	s_delay_alu instid0(VALU_DEP_1) | instskip(NEXT) | instid1(VALU_DEP_1)
	v_ashrrev_i32_e32 v45, 31, v44
	v_add_nc_u64_e32 v[44:45], v[42:43], v[44:45]
; %bb.126:
	s_and_not1_saveexec_b32 s0, s0
; %bb.127:
	v_add_nc_u64_e32 v[44:45], v[2:3], v[18:19]
; %bb.128:
	s_or_b32 exec_lo, exec_lo, s0
	s_mov_b32 s0, -1
.LBB899_129:
	s_delay_alu instid0(SALU_CYCLE_1)
	s_and_saveexec_b32 s1, s0
	s_cbranch_execz .LBB899_212
.LBB899_130:
	s_delay_alu instid0(VALU_DEP_1)
	v_lshl_add_u64 v[0:1], v[44:45], 2, s[10:11]
	s_wait_dscnt 0x0
	global_store_b32 v[0:1], v46, off
	s_wait_xcnt 0x0
	s_or_b32 exec_lo, exec_lo, s1
	s_and_b32 s0, s2, s9
	s_delay_alu instid0(SALU_CYCLE_1)
	s_and_saveexec_b32 s1, s0
	s_cbranch_execnz .LBB899_213
.LBB899_131:
	s_sendmsg sendmsg(MSG_DEALLOC_VGPRS)
	s_endpgm
.LBB899_132:
	s_mov_b32 s0, 0
                                        ; implicit-def: $vgpr44_vgpr45
	s_cbranch_execz .LBB899_129
; %bb.133:
	s_mov_b32 s15, 0
	v_mov_b32_e32 v17, 0
	s_add_nc_u64 s[4:5], s[16:17], s[14:15]
	s_mov_b32 s1, exec_lo
	s_sub_nc_u64 s[4:5], s[18:19], s[4:5]
	s_delay_alu instid0(VALU_DEP_1) | instid1(SALU_CYCLE_1)
	v_add_nc_u64_e32 v[42:43], s[4:5], v[16:17]
	s_delay_alu instid0(VALU_DEP_1)
	v_add_nc_u64_e32 v[42:43], v[42:43], v[2:3]
	v_cmpx_gt_u32_e64 s22, v0
	s_cbranch_execz .LBB899_169
; %bb.134:
	s_mov_b32 s3, exec_lo
                                        ; implicit-def: $vgpr44_vgpr45
	v_cmpx_ge_u32_e64 v0, v16
	s_xor_b32 s3, exec_lo, s3
; %bb.135:
	v_not_b32_e32 v44, v0
	s_delay_alu instid0(VALU_DEP_1) | instskip(NEXT) | instid1(VALU_DEP_1)
	v_ashrrev_i32_e32 v45, 31, v44
	v_add_nc_u64_e32 v[44:45], v[42:43], v[44:45]
; %bb.136:
	s_and_not1_saveexec_b32 s3, s3
; %bb.137:
	v_add_nc_u64_e32 v[44:45], v[2:3], v[0:1]
; %bb.138:
	s_or_b32 exec_lo, exec_lo, s3
	s_delay_alu instid0(VALU_DEP_1) | instskip(SKIP_4) | instid1(SALU_CYCLE_1)
	v_lshl_add_u64 v[44:45], v[44:45], 2, s[10:11]
	s_wait_dscnt 0x6
	global_store_b32 v[44:45], v14, off
	s_wait_xcnt 0x0
	s_or_b32 exec_lo, exec_lo, s1
	s_mov_b32 s1, exec_lo
	v_cmpx_gt_u32_e64 s22, v40
	s_cbranch_execnz .LBB899_170
.LBB899_139:
	s_or_b32 exec_lo, exec_lo, s1
	s_delay_alu instid0(SALU_CYCLE_1)
	s_mov_b32 s1, exec_lo
	v_cmpx_gt_u32_e64 s22, v38
	s_cbranch_execz .LBB899_175
.LBB899_140:
	s_mov_b32 s3, exec_lo
                                        ; implicit-def: $vgpr14_vgpr15
	v_cmpx_ge_u32_e64 v38, v16
	s_xor_b32 s3, exec_lo, s3
	s_cbranch_execz .LBB899_142
; %bb.141:
	s_wait_dscnt 0x6
	v_xor_b32_e32 v14, 0xfffffdff, v0
                                        ; implicit-def: $vgpr38_vgpr39
	s_delay_alu instid0(VALU_DEP_1) | instskip(NEXT) | instid1(VALU_DEP_1)
	v_ashrrev_i32_e32 v15, 31, v14
	v_add_nc_u64_e32 v[14:15], v[42:43], v[14:15]
.LBB899_142:
	s_and_not1_saveexec_b32 s3, s3
	s_cbranch_execz .LBB899_144
; %bb.143:
	s_wait_dscnt 0x6
	v_add_nc_u64_e32 v[14:15], v[2:3], v[38:39]
.LBB899_144:
	s_or_b32 exec_lo, exec_lo, s3
	s_wait_dscnt 0x6
	s_delay_alu instid0(VALU_DEP_1) | instskip(SKIP_4) | instid1(SALU_CYCLE_1)
	v_lshl_add_u64 v[14:15], v[14:15], 2, s[10:11]
	s_wait_dscnt 0x5
	global_store_b32 v[14:15], v12, off
	s_wait_xcnt 0x0
	s_or_b32 exec_lo, exec_lo, s1
	s_mov_b32 s1, exec_lo
	v_cmpx_gt_u32_e64 s22, v36
	s_cbranch_execnz .LBB899_176
.LBB899_145:
	s_or_b32 exec_lo, exec_lo, s1
	s_delay_alu instid0(SALU_CYCLE_1)
	s_mov_b32 s1, exec_lo
	v_cmpx_gt_u32_e64 s22, v34
	s_cbranch_execz .LBB899_181
.LBB899_146:
	s_mov_b32 s3, exec_lo
                                        ; implicit-def: $vgpr12_vgpr13
	v_cmpx_ge_u32_e64 v34, v16
	s_xor_b32 s3, exec_lo, s3
	s_cbranch_execz .LBB899_148
; %bb.147:
	s_wait_dscnt 0x5
	v_xor_b32_e32 v12, 0xfffffbff, v0
                                        ; implicit-def: $vgpr34_vgpr35
	s_delay_alu instid0(VALU_DEP_1) | instskip(NEXT) | instid1(VALU_DEP_1)
	v_ashrrev_i32_e32 v13, 31, v12
	v_add_nc_u64_e32 v[12:13], v[42:43], v[12:13]
.LBB899_148:
	s_and_not1_saveexec_b32 s3, s3
	s_cbranch_execz .LBB899_150
; %bb.149:
	s_wait_dscnt 0x5
	v_add_nc_u64_e32 v[12:13], v[2:3], v[34:35]
.LBB899_150:
	s_or_b32 exec_lo, exec_lo, s3
	s_wait_dscnt 0x5
	s_delay_alu instid0(VALU_DEP_1) | instskip(SKIP_4) | instid1(SALU_CYCLE_1)
	v_lshl_add_u64 v[12:13], v[12:13], 2, s[10:11]
	s_wait_dscnt 0x4
	global_store_b32 v[12:13], v10, off
	s_wait_xcnt 0x0
	s_or_b32 exec_lo, exec_lo, s1
	s_mov_b32 s1, exec_lo
	v_cmpx_gt_u32_e64 s22, v32
	s_cbranch_execnz .LBB899_182
.LBB899_151:
	s_or_b32 exec_lo, exec_lo, s1
	s_delay_alu instid0(SALU_CYCLE_1)
	s_mov_b32 s1, exec_lo
	v_cmpx_gt_u32_e64 s22, v30
	s_cbranch_execz .LBB899_187
.LBB899_152:
	s_mov_b32 s3, exec_lo
                                        ; implicit-def: $vgpr10_vgpr11
	v_cmpx_ge_u32_e64 v30, v16
	s_xor_b32 s3, exec_lo, s3
	s_cbranch_execz .LBB899_154
; %bb.153:
	s_wait_dscnt 0x4
	v_xor_b32_e32 v10, 0xfffff9ff, v0
                                        ; implicit-def: $vgpr30_vgpr31
	s_delay_alu instid0(VALU_DEP_1) | instskip(NEXT) | instid1(VALU_DEP_1)
	v_ashrrev_i32_e32 v11, 31, v10
	v_add_nc_u64_e32 v[10:11], v[42:43], v[10:11]
.LBB899_154:
	s_and_not1_saveexec_b32 s3, s3
	s_cbranch_execz .LBB899_156
; %bb.155:
	s_wait_dscnt 0x4
	v_add_nc_u64_e32 v[10:11], v[2:3], v[30:31]
.LBB899_156:
	s_or_b32 exec_lo, exec_lo, s3
	s_wait_dscnt 0x4
	s_delay_alu instid0(VALU_DEP_1) | instskip(SKIP_4) | instid1(SALU_CYCLE_1)
	v_lshl_add_u64 v[10:11], v[10:11], 2, s[10:11]
	s_wait_dscnt 0x3
	global_store_b32 v[10:11], v8, off
	s_wait_xcnt 0x0
	s_or_b32 exec_lo, exec_lo, s1
	s_mov_b32 s1, exec_lo
	v_cmpx_gt_u32_e64 s22, v28
	s_cbranch_execnz .LBB899_188
.LBB899_157:
	s_or_b32 exec_lo, exec_lo, s1
	s_delay_alu instid0(SALU_CYCLE_1)
	s_mov_b32 s1, exec_lo
	v_cmpx_gt_u32_e64 s22, v26
	s_cbranch_execz .LBB899_193
.LBB899_158:
	s_mov_b32 s3, exec_lo
                                        ; implicit-def: $vgpr8_vgpr9
	v_cmpx_ge_u32_e64 v26, v16
	s_xor_b32 s3, exec_lo, s3
	s_cbranch_execz .LBB899_160
; %bb.159:
	s_wait_dscnt 0x3
	v_xor_b32_e32 v8, 0xfffff7ff, v0
                                        ; implicit-def: $vgpr26_vgpr27
	s_delay_alu instid0(VALU_DEP_1) | instskip(NEXT) | instid1(VALU_DEP_1)
	v_ashrrev_i32_e32 v9, 31, v8
	v_add_nc_u64_e32 v[8:9], v[42:43], v[8:9]
.LBB899_160:
	s_and_not1_saveexec_b32 s3, s3
	s_cbranch_execz .LBB899_162
; %bb.161:
	s_wait_dscnt 0x3
	v_add_nc_u64_e32 v[8:9], v[2:3], v[26:27]
.LBB899_162:
	s_or_b32 exec_lo, exec_lo, s3
	s_wait_dscnt 0x3
	s_delay_alu instid0(VALU_DEP_1) | instskip(SKIP_4) | instid1(SALU_CYCLE_1)
	v_lshl_add_u64 v[8:9], v[8:9], 2, s[10:11]
	s_wait_dscnt 0x2
	global_store_b32 v[8:9], v6, off
	s_wait_xcnt 0x0
	s_or_b32 exec_lo, exec_lo, s1
	s_mov_b32 s1, exec_lo
	v_cmpx_gt_u32_e64 s22, v24
	s_cbranch_execnz .LBB899_194
.LBB899_163:
	s_or_b32 exec_lo, exec_lo, s1
	s_delay_alu instid0(SALU_CYCLE_1)
	s_mov_b32 s1, exec_lo
	v_cmpx_gt_u32_e64 s22, v22
	s_cbranch_execz .LBB899_199
.LBB899_164:
	s_mov_b32 s3, exec_lo
                                        ; implicit-def: $vgpr6_vgpr7
	v_cmpx_ge_u32_e64 v22, v16
	s_xor_b32 s3, exec_lo, s3
	s_cbranch_execz .LBB899_166
; %bb.165:
	s_wait_dscnt 0x2
	v_xor_b32_e32 v6, 0xfffff5ff, v0
                                        ; implicit-def: $vgpr22_vgpr23
	s_delay_alu instid0(VALU_DEP_1) | instskip(NEXT) | instid1(VALU_DEP_1)
	v_ashrrev_i32_e32 v7, 31, v6
	v_add_nc_u64_e32 v[6:7], v[42:43], v[6:7]
.LBB899_166:
	s_and_not1_saveexec_b32 s3, s3
	s_cbranch_execz .LBB899_168
; %bb.167:
	s_wait_dscnt 0x2
	v_add_nc_u64_e32 v[6:7], v[2:3], v[22:23]
.LBB899_168:
	s_or_b32 exec_lo, exec_lo, s3
	s_wait_dscnt 0x2
	s_delay_alu instid0(VALU_DEP_1) | instskip(SKIP_4) | instid1(SALU_CYCLE_1)
	v_lshl_add_u64 v[6:7], v[6:7], 2, s[10:11]
	s_wait_dscnt 0x1
	global_store_b32 v[6:7], v4, off
	s_wait_xcnt 0x0
	s_or_b32 exec_lo, exec_lo, s1
	s_mov_b32 s1, exec_lo
	v_cmpx_gt_u32_e64 s22, v20
	s_cbranch_execz .LBB899_205
	s_branch .LBB899_200
.LBB899_169:
	s_or_b32 exec_lo, exec_lo, s1
	s_delay_alu instid0(SALU_CYCLE_1)
	s_mov_b32 s1, exec_lo
	v_cmpx_gt_u32_e64 s22, v40
	s_cbranch_execz .LBB899_139
.LBB899_170:
	s_mov_b32 s3, exec_lo
                                        ; implicit-def: $vgpr44_vgpr45
	v_cmpx_ge_u32_e64 v40, v16
	s_xor_b32 s3, exec_lo, s3
; %bb.171:
	v_xor_b32_e32 v40, 0xfffffeff, v0
	s_delay_alu instid0(VALU_DEP_1) | instskip(NEXT) | instid1(VALU_DEP_1)
	v_ashrrev_i32_e32 v41, 31, v40
	v_add_nc_u64_e32 v[44:45], v[42:43], v[40:41]
                                        ; implicit-def: $vgpr40_vgpr41
; %bb.172:
	s_and_not1_saveexec_b32 s3, s3
; %bb.173:
	v_add_nc_u64_e32 v[44:45], v[2:3], v[40:41]
; %bb.174:
	s_or_b32 exec_lo, exec_lo, s3
	s_delay_alu instid0(VALU_DEP_1) | instskip(SKIP_4) | instid1(SALU_CYCLE_1)
	v_lshl_add_u64 v[40:41], v[44:45], 2, s[10:11]
	s_wait_dscnt 0x6
	global_store_b32 v[40:41], v15, off
	s_wait_xcnt 0x0
	s_or_b32 exec_lo, exec_lo, s1
	s_mov_b32 s1, exec_lo
	v_cmpx_gt_u32_e64 s22, v38
	s_cbranch_execnz .LBB899_140
.LBB899_175:
	s_or_b32 exec_lo, exec_lo, s1
	s_delay_alu instid0(SALU_CYCLE_1)
	s_mov_b32 s1, exec_lo
	v_cmpx_gt_u32_e64 s22, v36
	s_cbranch_execz .LBB899_145
.LBB899_176:
	s_mov_b32 s3, exec_lo
                                        ; implicit-def: $vgpr14_vgpr15
	v_cmpx_ge_u32_e64 v36, v16
	s_xor_b32 s3, exec_lo, s3
	s_cbranch_execz .LBB899_178
; %bb.177:
	s_wait_dscnt 0x6
	v_xor_b32_e32 v14, 0xfffffcff, v0
                                        ; implicit-def: $vgpr36_vgpr37
	s_delay_alu instid0(VALU_DEP_1) | instskip(NEXT) | instid1(VALU_DEP_1)
	v_ashrrev_i32_e32 v15, 31, v14
	v_add_nc_u64_e32 v[14:15], v[42:43], v[14:15]
.LBB899_178:
	s_and_not1_saveexec_b32 s3, s3
	s_cbranch_execz .LBB899_180
; %bb.179:
	s_wait_dscnt 0x6
	v_add_nc_u64_e32 v[14:15], v[2:3], v[36:37]
.LBB899_180:
	s_or_b32 exec_lo, exec_lo, s3
	s_wait_dscnt 0x6
	s_delay_alu instid0(VALU_DEP_1) | instskip(SKIP_4) | instid1(SALU_CYCLE_1)
	v_lshl_add_u64 v[14:15], v[14:15], 2, s[10:11]
	s_wait_dscnt 0x5
	global_store_b32 v[14:15], v13, off
	s_wait_xcnt 0x0
	s_or_b32 exec_lo, exec_lo, s1
	s_mov_b32 s1, exec_lo
	v_cmpx_gt_u32_e64 s22, v34
	s_cbranch_execnz .LBB899_146
.LBB899_181:
	s_or_b32 exec_lo, exec_lo, s1
	s_delay_alu instid0(SALU_CYCLE_1)
	s_mov_b32 s1, exec_lo
	v_cmpx_gt_u32_e64 s22, v32
	s_cbranch_execz .LBB899_151
.LBB899_182:
	s_mov_b32 s3, exec_lo
                                        ; implicit-def: $vgpr12_vgpr13
	v_cmpx_ge_u32_e64 v32, v16
	s_xor_b32 s3, exec_lo, s3
	s_cbranch_execz .LBB899_184
; %bb.183:
	s_wait_dscnt 0x5
	v_xor_b32_e32 v12, 0xfffffaff, v0
                                        ; implicit-def: $vgpr32_vgpr33
	s_delay_alu instid0(VALU_DEP_1) | instskip(NEXT) | instid1(VALU_DEP_1)
	v_ashrrev_i32_e32 v13, 31, v12
	v_add_nc_u64_e32 v[12:13], v[42:43], v[12:13]
.LBB899_184:
	s_and_not1_saveexec_b32 s3, s3
	s_cbranch_execz .LBB899_186
; %bb.185:
	s_wait_dscnt 0x5
	v_add_nc_u64_e32 v[12:13], v[2:3], v[32:33]
.LBB899_186:
	s_or_b32 exec_lo, exec_lo, s3
	s_wait_dscnt 0x5
	s_delay_alu instid0(VALU_DEP_1) | instskip(SKIP_4) | instid1(SALU_CYCLE_1)
	v_lshl_add_u64 v[12:13], v[12:13], 2, s[10:11]
	s_wait_dscnt 0x4
	global_store_b32 v[12:13], v11, off
	s_wait_xcnt 0x0
	s_or_b32 exec_lo, exec_lo, s1
	s_mov_b32 s1, exec_lo
	v_cmpx_gt_u32_e64 s22, v30
	s_cbranch_execnz .LBB899_152
.LBB899_187:
	s_or_b32 exec_lo, exec_lo, s1
	s_delay_alu instid0(SALU_CYCLE_1)
	s_mov_b32 s1, exec_lo
	v_cmpx_gt_u32_e64 s22, v28
	s_cbranch_execz .LBB899_157
.LBB899_188:
	s_mov_b32 s3, exec_lo
                                        ; implicit-def: $vgpr10_vgpr11
	v_cmpx_ge_u32_e64 v28, v16
	s_xor_b32 s3, exec_lo, s3
	s_cbranch_execz .LBB899_190
; %bb.189:
	s_wait_dscnt 0x4
	v_xor_b32_e32 v10, 0xfffff8ff, v0
                                        ; implicit-def: $vgpr28_vgpr29
	s_delay_alu instid0(VALU_DEP_1) | instskip(NEXT) | instid1(VALU_DEP_1)
	v_ashrrev_i32_e32 v11, 31, v10
	v_add_nc_u64_e32 v[10:11], v[42:43], v[10:11]
.LBB899_190:
	s_and_not1_saveexec_b32 s3, s3
	s_cbranch_execz .LBB899_192
; %bb.191:
	s_wait_dscnt 0x4
	v_add_nc_u64_e32 v[10:11], v[2:3], v[28:29]
.LBB899_192:
	s_or_b32 exec_lo, exec_lo, s3
	s_wait_dscnt 0x4
	s_delay_alu instid0(VALU_DEP_1) | instskip(SKIP_4) | instid1(SALU_CYCLE_1)
	v_lshl_add_u64 v[10:11], v[10:11], 2, s[10:11]
	s_wait_dscnt 0x3
	global_store_b32 v[10:11], v9, off
	s_wait_xcnt 0x0
	s_or_b32 exec_lo, exec_lo, s1
	s_mov_b32 s1, exec_lo
	v_cmpx_gt_u32_e64 s22, v26
	s_cbranch_execnz .LBB899_158
.LBB899_193:
	s_or_b32 exec_lo, exec_lo, s1
	s_delay_alu instid0(SALU_CYCLE_1)
	s_mov_b32 s1, exec_lo
	v_cmpx_gt_u32_e64 s22, v24
	s_cbranch_execz .LBB899_163
.LBB899_194:
	s_mov_b32 s3, exec_lo
                                        ; implicit-def: $vgpr8_vgpr9
	v_cmpx_ge_u32_e64 v24, v16
	s_xor_b32 s3, exec_lo, s3
	s_cbranch_execz .LBB899_196
; %bb.195:
	s_wait_dscnt 0x3
	v_xor_b32_e32 v8, 0xfffff6ff, v0
                                        ; implicit-def: $vgpr24_vgpr25
	s_delay_alu instid0(VALU_DEP_1) | instskip(NEXT) | instid1(VALU_DEP_1)
	v_ashrrev_i32_e32 v9, 31, v8
	v_add_nc_u64_e32 v[8:9], v[42:43], v[8:9]
.LBB899_196:
	s_and_not1_saveexec_b32 s3, s3
	s_cbranch_execz .LBB899_198
; %bb.197:
	s_wait_dscnt 0x3
	v_add_nc_u64_e32 v[8:9], v[2:3], v[24:25]
.LBB899_198:
	s_or_b32 exec_lo, exec_lo, s3
	s_wait_dscnt 0x3
	s_delay_alu instid0(VALU_DEP_1) | instskip(SKIP_4) | instid1(SALU_CYCLE_1)
	v_lshl_add_u64 v[8:9], v[8:9], 2, s[10:11]
	s_wait_dscnt 0x2
	global_store_b32 v[8:9], v7, off
	s_wait_xcnt 0x0
	s_or_b32 exec_lo, exec_lo, s1
	s_mov_b32 s1, exec_lo
	v_cmpx_gt_u32_e64 s22, v22
	s_cbranch_execnz .LBB899_164
.LBB899_199:
	s_or_b32 exec_lo, exec_lo, s1
	s_delay_alu instid0(SALU_CYCLE_1)
	s_mov_b32 s1, exec_lo
	v_cmpx_gt_u32_e64 s22, v20
	s_cbranch_execz .LBB899_205
.LBB899_200:
	s_mov_b32 s3, exec_lo
                                        ; implicit-def: $vgpr6_vgpr7
	v_cmpx_ge_u32_e64 v20, v16
	s_xor_b32 s3, exec_lo, s3
	s_cbranch_execz .LBB899_202
; %bb.201:
	s_wait_dscnt 0x2
	v_xor_b32_e32 v6, 0xfffff4ff, v0
                                        ; implicit-def: $vgpr20_vgpr21
	s_delay_alu instid0(VALU_DEP_1) | instskip(NEXT) | instid1(VALU_DEP_1)
	v_ashrrev_i32_e32 v7, 31, v6
	v_add_nc_u64_e32 v[6:7], v[42:43], v[6:7]
.LBB899_202:
	s_and_not1_saveexec_b32 s3, s3
	s_cbranch_execz .LBB899_204
; %bb.203:
	s_wait_dscnt 0x2
	v_add_nc_u64_e32 v[6:7], v[2:3], v[20:21]
.LBB899_204:
	s_or_b32 exec_lo, exec_lo, s3
	s_wait_dscnt 0x2
	s_delay_alu instid0(VALU_DEP_1)
	v_lshl_add_u64 v[6:7], v[6:7], 2, s[10:11]
	s_wait_dscnt 0x1
	global_store_b32 v[6:7], v5, off
.LBB899_205:
	s_wait_xcnt 0x0
	s_or_b32 exec_lo, exec_lo, s1
	s_delay_alu instid0(SALU_CYCLE_1)
	s_mov_b32 s1, exec_lo
                                        ; implicit-def: $vgpr44_vgpr45
	v_cmpx_gt_u32_e64 s22, v18
	s_cbranch_execz .LBB899_211
; %bb.206:
	s_mov_b32 s3, exec_lo
                                        ; implicit-def: $vgpr44_vgpr45
	v_cmpx_ge_u32_e64 v18, v16
	s_xor_b32 s3, exec_lo, s3
; %bb.207:
	v_xor_b32_e32 v0, 0xfffff3ff, v0
                                        ; implicit-def: $vgpr18_vgpr19
	s_delay_alu instid0(VALU_DEP_1) | instskip(NEXT) | instid1(VALU_DEP_1)
	v_ashrrev_i32_e32 v1, 31, v0
	v_add_nc_u64_e32 v[44:45], v[42:43], v[0:1]
; %bb.208:
	s_and_not1_saveexec_b32 s3, s3
; %bb.209:
	v_add_nc_u64_e32 v[44:45], v[2:3], v[18:19]
; %bb.210:
	s_or_b32 exec_lo, exec_lo, s3
	s_delay_alu instid0(SALU_CYCLE_1)
	s_or_b32 s0, s0, exec_lo
.LBB899_211:
	s_or_b32 exec_lo, exec_lo, s1
	s_and_saveexec_b32 s1, s0
	s_cbranch_execnz .LBB899_130
.LBB899_212:
	s_or_b32 exec_lo, exec_lo, s1
	s_and_b32 s0, s2, s9
	s_delay_alu instid0(SALU_CYCLE_1)
	s_and_saveexec_b32 s1, s0
	s_cbranch_execz .LBB899_131
.LBB899_213:
	v_mov_b32_e32 v17, 0
	s_delay_alu instid0(VALU_DEP_1)
	v_add_nc_u64_e32 v[0:1], v[2:3], v[16:17]
	global_store_b64 v17, v[0:1], s[12:13]
	s_sendmsg sendmsg(MSG_DEALLOC_VGPRS)
	s_endpgm
	.section	.rodata,"a",@progbits
	.p2align	6, 0x0
	.amdhsa_kernel _ZN7rocprim17ROCPRIM_400000_NS6detail17trampoline_kernelINS0_13select_configILj256ELj13ELNS0_17block_load_methodE3ELS4_3ELS4_3ELNS0_20block_scan_algorithmE0ELj4294967295EEENS1_25partition_config_selectorILNS1_17partition_subalgoE3EjNS0_10empty_typeEbEEZZNS1_14partition_implILS8_3ELb0ES6_jNS0_17counting_iteratorIjlEEPS9_SE_NS0_5tupleIJPjSE_EEENSF_IJSE_SE_EEES9_SG_JZNS1_25segmented_radix_sort_implINS0_14default_configELb1EPKsPsPKlPlN2at6native12_GLOBAL__N_18offset_tEEE10hipError_tPvRmT1_PNSt15iterator_traitsISY_E10value_typeET2_T3_PNSZ_IS14_E10value_typeET4_jRbjT5_S1A_jjP12ihipStream_tbEUljE_EEESV_SW_SX_S14_S18_S1A_T6_T7_T9_mT8_S1C_bDpT10_ENKUlT_T0_E_clISt17integral_constantIbLb0EES1O_IbLb1EEEEDaS1K_S1L_EUlS1K_E_NS1_11comp_targetILNS1_3genE0ELNS1_11target_archE4294967295ELNS1_3gpuE0ELNS1_3repE0EEENS1_30default_config_static_selectorELNS0_4arch9wavefront6targetE0EEEvSY_
		.amdhsa_group_segment_fixed_size 13320
		.amdhsa_private_segment_fixed_size 0
		.amdhsa_kernarg_size 152
		.amdhsa_user_sgpr_count 2
		.amdhsa_user_sgpr_dispatch_ptr 0
		.amdhsa_user_sgpr_queue_ptr 0
		.amdhsa_user_sgpr_kernarg_segment_ptr 1
		.amdhsa_user_sgpr_dispatch_id 0
		.amdhsa_user_sgpr_kernarg_preload_length 0
		.amdhsa_user_sgpr_kernarg_preload_offset 0
		.amdhsa_user_sgpr_private_segment_size 0
		.amdhsa_wavefront_size32 1
		.amdhsa_uses_dynamic_stack 0
		.amdhsa_enable_private_segment 0
		.amdhsa_system_sgpr_workgroup_id_x 1
		.amdhsa_system_sgpr_workgroup_id_y 0
		.amdhsa_system_sgpr_workgroup_id_z 0
		.amdhsa_system_sgpr_workgroup_info 0
		.amdhsa_system_vgpr_workitem_id 0
		.amdhsa_next_free_vgpr 72
		.amdhsa_next_free_sgpr 24
		.amdhsa_named_barrier_count 0
		.amdhsa_reserve_vcc 1
		.amdhsa_float_round_mode_32 0
		.amdhsa_float_round_mode_16_64 0
		.amdhsa_float_denorm_mode_32 3
		.amdhsa_float_denorm_mode_16_64 3
		.amdhsa_fp16_overflow 0
		.amdhsa_memory_ordered 1
		.amdhsa_forward_progress 1
		.amdhsa_inst_pref_size 71
		.amdhsa_round_robin_scheduling 0
		.amdhsa_exception_fp_ieee_invalid_op 0
		.amdhsa_exception_fp_denorm_src 0
		.amdhsa_exception_fp_ieee_div_zero 0
		.amdhsa_exception_fp_ieee_overflow 0
		.amdhsa_exception_fp_ieee_underflow 0
		.amdhsa_exception_fp_ieee_inexact 0
		.amdhsa_exception_int_div_zero 0
	.end_amdhsa_kernel
	.section	.text._ZN7rocprim17ROCPRIM_400000_NS6detail17trampoline_kernelINS0_13select_configILj256ELj13ELNS0_17block_load_methodE3ELS4_3ELS4_3ELNS0_20block_scan_algorithmE0ELj4294967295EEENS1_25partition_config_selectorILNS1_17partition_subalgoE3EjNS0_10empty_typeEbEEZZNS1_14partition_implILS8_3ELb0ES6_jNS0_17counting_iteratorIjlEEPS9_SE_NS0_5tupleIJPjSE_EEENSF_IJSE_SE_EEES9_SG_JZNS1_25segmented_radix_sort_implINS0_14default_configELb1EPKsPsPKlPlN2at6native12_GLOBAL__N_18offset_tEEE10hipError_tPvRmT1_PNSt15iterator_traitsISY_E10value_typeET2_T3_PNSZ_IS14_E10value_typeET4_jRbjT5_S1A_jjP12ihipStream_tbEUljE_EEESV_SW_SX_S14_S18_S1A_T6_T7_T9_mT8_S1C_bDpT10_ENKUlT_T0_E_clISt17integral_constantIbLb0EES1O_IbLb1EEEEDaS1K_S1L_EUlS1K_E_NS1_11comp_targetILNS1_3genE0ELNS1_11target_archE4294967295ELNS1_3gpuE0ELNS1_3repE0EEENS1_30default_config_static_selectorELNS0_4arch9wavefront6targetE0EEEvSY_,"axG",@progbits,_ZN7rocprim17ROCPRIM_400000_NS6detail17trampoline_kernelINS0_13select_configILj256ELj13ELNS0_17block_load_methodE3ELS4_3ELS4_3ELNS0_20block_scan_algorithmE0ELj4294967295EEENS1_25partition_config_selectorILNS1_17partition_subalgoE3EjNS0_10empty_typeEbEEZZNS1_14partition_implILS8_3ELb0ES6_jNS0_17counting_iteratorIjlEEPS9_SE_NS0_5tupleIJPjSE_EEENSF_IJSE_SE_EEES9_SG_JZNS1_25segmented_radix_sort_implINS0_14default_configELb1EPKsPsPKlPlN2at6native12_GLOBAL__N_18offset_tEEE10hipError_tPvRmT1_PNSt15iterator_traitsISY_E10value_typeET2_T3_PNSZ_IS14_E10value_typeET4_jRbjT5_S1A_jjP12ihipStream_tbEUljE_EEESV_SW_SX_S14_S18_S1A_T6_T7_T9_mT8_S1C_bDpT10_ENKUlT_T0_E_clISt17integral_constantIbLb0EES1O_IbLb1EEEEDaS1K_S1L_EUlS1K_E_NS1_11comp_targetILNS1_3genE0ELNS1_11target_archE4294967295ELNS1_3gpuE0ELNS1_3repE0EEENS1_30default_config_static_selectorELNS0_4arch9wavefront6targetE0EEEvSY_,comdat
.Lfunc_end899:
	.size	_ZN7rocprim17ROCPRIM_400000_NS6detail17trampoline_kernelINS0_13select_configILj256ELj13ELNS0_17block_load_methodE3ELS4_3ELS4_3ELNS0_20block_scan_algorithmE0ELj4294967295EEENS1_25partition_config_selectorILNS1_17partition_subalgoE3EjNS0_10empty_typeEbEEZZNS1_14partition_implILS8_3ELb0ES6_jNS0_17counting_iteratorIjlEEPS9_SE_NS0_5tupleIJPjSE_EEENSF_IJSE_SE_EEES9_SG_JZNS1_25segmented_radix_sort_implINS0_14default_configELb1EPKsPsPKlPlN2at6native12_GLOBAL__N_18offset_tEEE10hipError_tPvRmT1_PNSt15iterator_traitsISY_E10value_typeET2_T3_PNSZ_IS14_E10value_typeET4_jRbjT5_S1A_jjP12ihipStream_tbEUljE_EEESV_SW_SX_S14_S18_S1A_T6_T7_T9_mT8_S1C_bDpT10_ENKUlT_T0_E_clISt17integral_constantIbLb0EES1O_IbLb1EEEEDaS1K_S1L_EUlS1K_E_NS1_11comp_targetILNS1_3genE0ELNS1_11target_archE4294967295ELNS1_3gpuE0ELNS1_3repE0EEENS1_30default_config_static_selectorELNS0_4arch9wavefront6targetE0EEEvSY_, .Lfunc_end899-_ZN7rocprim17ROCPRIM_400000_NS6detail17trampoline_kernelINS0_13select_configILj256ELj13ELNS0_17block_load_methodE3ELS4_3ELS4_3ELNS0_20block_scan_algorithmE0ELj4294967295EEENS1_25partition_config_selectorILNS1_17partition_subalgoE3EjNS0_10empty_typeEbEEZZNS1_14partition_implILS8_3ELb0ES6_jNS0_17counting_iteratorIjlEEPS9_SE_NS0_5tupleIJPjSE_EEENSF_IJSE_SE_EEES9_SG_JZNS1_25segmented_radix_sort_implINS0_14default_configELb1EPKsPsPKlPlN2at6native12_GLOBAL__N_18offset_tEEE10hipError_tPvRmT1_PNSt15iterator_traitsISY_E10value_typeET2_T3_PNSZ_IS14_E10value_typeET4_jRbjT5_S1A_jjP12ihipStream_tbEUljE_EEESV_SW_SX_S14_S18_S1A_T6_T7_T9_mT8_S1C_bDpT10_ENKUlT_T0_E_clISt17integral_constantIbLb0EES1O_IbLb1EEEEDaS1K_S1L_EUlS1K_E_NS1_11comp_targetILNS1_3genE0ELNS1_11target_archE4294967295ELNS1_3gpuE0ELNS1_3repE0EEENS1_30default_config_static_selectorELNS0_4arch9wavefront6targetE0EEEvSY_
                                        ; -- End function
	.set _ZN7rocprim17ROCPRIM_400000_NS6detail17trampoline_kernelINS0_13select_configILj256ELj13ELNS0_17block_load_methodE3ELS4_3ELS4_3ELNS0_20block_scan_algorithmE0ELj4294967295EEENS1_25partition_config_selectorILNS1_17partition_subalgoE3EjNS0_10empty_typeEbEEZZNS1_14partition_implILS8_3ELb0ES6_jNS0_17counting_iteratorIjlEEPS9_SE_NS0_5tupleIJPjSE_EEENSF_IJSE_SE_EEES9_SG_JZNS1_25segmented_radix_sort_implINS0_14default_configELb1EPKsPsPKlPlN2at6native12_GLOBAL__N_18offset_tEEE10hipError_tPvRmT1_PNSt15iterator_traitsISY_E10value_typeET2_T3_PNSZ_IS14_E10value_typeET4_jRbjT5_S1A_jjP12ihipStream_tbEUljE_EEESV_SW_SX_S14_S18_S1A_T6_T7_T9_mT8_S1C_bDpT10_ENKUlT_T0_E_clISt17integral_constantIbLb0EES1O_IbLb1EEEEDaS1K_S1L_EUlS1K_E_NS1_11comp_targetILNS1_3genE0ELNS1_11target_archE4294967295ELNS1_3gpuE0ELNS1_3repE0EEENS1_30default_config_static_selectorELNS0_4arch9wavefront6targetE0EEEvSY_.num_vgpr, 72
	.set _ZN7rocprim17ROCPRIM_400000_NS6detail17trampoline_kernelINS0_13select_configILj256ELj13ELNS0_17block_load_methodE3ELS4_3ELS4_3ELNS0_20block_scan_algorithmE0ELj4294967295EEENS1_25partition_config_selectorILNS1_17partition_subalgoE3EjNS0_10empty_typeEbEEZZNS1_14partition_implILS8_3ELb0ES6_jNS0_17counting_iteratorIjlEEPS9_SE_NS0_5tupleIJPjSE_EEENSF_IJSE_SE_EEES9_SG_JZNS1_25segmented_radix_sort_implINS0_14default_configELb1EPKsPsPKlPlN2at6native12_GLOBAL__N_18offset_tEEE10hipError_tPvRmT1_PNSt15iterator_traitsISY_E10value_typeET2_T3_PNSZ_IS14_E10value_typeET4_jRbjT5_S1A_jjP12ihipStream_tbEUljE_EEESV_SW_SX_S14_S18_S1A_T6_T7_T9_mT8_S1C_bDpT10_ENKUlT_T0_E_clISt17integral_constantIbLb0EES1O_IbLb1EEEEDaS1K_S1L_EUlS1K_E_NS1_11comp_targetILNS1_3genE0ELNS1_11target_archE4294967295ELNS1_3gpuE0ELNS1_3repE0EEENS1_30default_config_static_selectorELNS0_4arch9wavefront6targetE0EEEvSY_.num_agpr, 0
	.set _ZN7rocprim17ROCPRIM_400000_NS6detail17trampoline_kernelINS0_13select_configILj256ELj13ELNS0_17block_load_methodE3ELS4_3ELS4_3ELNS0_20block_scan_algorithmE0ELj4294967295EEENS1_25partition_config_selectorILNS1_17partition_subalgoE3EjNS0_10empty_typeEbEEZZNS1_14partition_implILS8_3ELb0ES6_jNS0_17counting_iteratorIjlEEPS9_SE_NS0_5tupleIJPjSE_EEENSF_IJSE_SE_EEES9_SG_JZNS1_25segmented_radix_sort_implINS0_14default_configELb1EPKsPsPKlPlN2at6native12_GLOBAL__N_18offset_tEEE10hipError_tPvRmT1_PNSt15iterator_traitsISY_E10value_typeET2_T3_PNSZ_IS14_E10value_typeET4_jRbjT5_S1A_jjP12ihipStream_tbEUljE_EEESV_SW_SX_S14_S18_S1A_T6_T7_T9_mT8_S1C_bDpT10_ENKUlT_T0_E_clISt17integral_constantIbLb0EES1O_IbLb1EEEEDaS1K_S1L_EUlS1K_E_NS1_11comp_targetILNS1_3genE0ELNS1_11target_archE4294967295ELNS1_3gpuE0ELNS1_3repE0EEENS1_30default_config_static_selectorELNS0_4arch9wavefront6targetE0EEEvSY_.numbered_sgpr, 24
	.set _ZN7rocprim17ROCPRIM_400000_NS6detail17trampoline_kernelINS0_13select_configILj256ELj13ELNS0_17block_load_methodE3ELS4_3ELS4_3ELNS0_20block_scan_algorithmE0ELj4294967295EEENS1_25partition_config_selectorILNS1_17partition_subalgoE3EjNS0_10empty_typeEbEEZZNS1_14partition_implILS8_3ELb0ES6_jNS0_17counting_iteratorIjlEEPS9_SE_NS0_5tupleIJPjSE_EEENSF_IJSE_SE_EEES9_SG_JZNS1_25segmented_radix_sort_implINS0_14default_configELb1EPKsPsPKlPlN2at6native12_GLOBAL__N_18offset_tEEE10hipError_tPvRmT1_PNSt15iterator_traitsISY_E10value_typeET2_T3_PNSZ_IS14_E10value_typeET4_jRbjT5_S1A_jjP12ihipStream_tbEUljE_EEESV_SW_SX_S14_S18_S1A_T6_T7_T9_mT8_S1C_bDpT10_ENKUlT_T0_E_clISt17integral_constantIbLb0EES1O_IbLb1EEEEDaS1K_S1L_EUlS1K_E_NS1_11comp_targetILNS1_3genE0ELNS1_11target_archE4294967295ELNS1_3gpuE0ELNS1_3repE0EEENS1_30default_config_static_selectorELNS0_4arch9wavefront6targetE0EEEvSY_.num_named_barrier, 0
	.set _ZN7rocprim17ROCPRIM_400000_NS6detail17trampoline_kernelINS0_13select_configILj256ELj13ELNS0_17block_load_methodE3ELS4_3ELS4_3ELNS0_20block_scan_algorithmE0ELj4294967295EEENS1_25partition_config_selectorILNS1_17partition_subalgoE3EjNS0_10empty_typeEbEEZZNS1_14partition_implILS8_3ELb0ES6_jNS0_17counting_iteratorIjlEEPS9_SE_NS0_5tupleIJPjSE_EEENSF_IJSE_SE_EEES9_SG_JZNS1_25segmented_radix_sort_implINS0_14default_configELb1EPKsPsPKlPlN2at6native12_GLOBAL__N_18offset_tEEE10hipError_tPvRmT1_PNSt15iterator_traitsISY_E10value_typeET2_T3_PNSZ_IS14_E10value_typeET4_jRbjT5_S1A_jjP12ihipStream_tbEUljE_EEESV_SW_SX_S14_S18_S1A_T6_T7_T9_mT8_S1C_bDpT10_ENKUlT_T0_E_clISt17integral_constantIbLb0EES1O_IbLb1EEEEDaS1K_S1L_EUlS1K_E_NS1_11comp_targetILNS1_3genE0ELNS1_11target_archE4294967295ELNS1_3gpuE0ELNS1_3repE0EEENS1_30default_config_static_selectorELNS0_4arch9wavefront6targetE0EEEvSY_.private_seg_size, 0
	.set _ZN7rocprim17ROCPRIM_400000_NS6detail17trampoline_kernelINS0_13select_configILj256ELj13ELNS0_17block_load_methodE3ELS4_3ELS4_3ELNS0_20block_scan_algorithmE0ELj4294967295EEENS1_25partition_config_selectorILNS1_17partition_subalgoE3EjNS0_10empty_typeEbEEZZNS1_14partition_implILS8_3ELb0ES6_jNS0_17counting_iteratorIjlEEPS9_SE_NS0_5tupleIJPjSE_EEENSF_IJSE_SE_EEES9_SG_JZNS1_25segmented_radix_sort_implINS0_14default_configELb1EPKsPsPKlPlN2at6native12_GLOBAL__N_18offset_tEEE10hipError_tPvRmT1_PNSt15iterator_traitsISY_E10value_typeET2_T3_PNSZ_IS14_E10value_typeET4_jRbjT5_S1A_jjP12ihipStream_tbEUljE_EEESV_SW_SX_S14_S18_S1A_T6_T7_T9_mT8_S1C_bDpT10_ENKUlT_T0_E_clISt17integral_constantIbLb0EES1O_IbLb1EEEEDaS1K_S1L_EUlS1K_E_NS1_11comp_targetILNS1_3genE0ELNS1_11target_archE4294967295ELNS1_3gpuE0ELNS1_3repE0EEENS1_30default_config_static_selectorELNS0_4arch9wavefront6targetE0EEEvSY_.uses_vcc, 1
	.set _ZN7rocprim17ROCPRIM_400000_NS6detail17trampoline_kernelINS0_13select_configILj256ELj13ELNS0_17block_load_methodE3ELS4_3ELS4_3ELNS0_20block_scan_algorithmE0ELj4294967295EEENS1_25partition_config_selectorILNS1_17partition_subalgoE3EjNS0_10empty_typeEbEEZZNS1_14partition_implILS8_3ELb0ES6_jNS0_17counting_iteratorIjlEEPS9_SE_NS0_5tupleIJPjSE_EEENSF_IJSE_SE_EEES9_SG_JZNS1_25segmented_radix_sort_implINS0_14default_configELb1EPKsPsPKlPlN2at6native12_GLOBAL__N_18offset_tEEE10hipError_tPvRmT1_PNSt15iterator_traitsISY_E10value_typeET2_T3_PNSZ_IS14_E10value_typeET4_jRbjT5_S1A_jjP12ihipStream_tbEUljE_EEESV_SW_SX_S14_S18_S1A_T6_T7_T9_mT8_S1C_bDpT10_ENKUlT_T0_E_clISt17integral_constantIbLb0EES1O_IbLb1EEEEDaS1K_S1L_EUlS1K_E_NS1_11comp_targetILNS1_3genE0ELNS1_11target_archE4294967295ELNS1_3gpuE0ELNS1_3repE0EEENS1_30default_config_static_selectorELNS0_4arch9wavefront6targetE0EEEvSY_.uses_flat_scratch, 0
	.set _ZN7rocprim17ROCPRIM_400000_NS6detail17trampoline_kernelINS0_13select_configILj256ELj13ELNS0_17block_load_methodE3ELS4_3ELS4_3ELNS0_20block_scan_algorithmE0ELj4294967295EEENS1_25partition_config_selectorILNS1_17partition_subalgoE3EjNS0_10empty_typeEbEEZZNS1_14partition_implILS8_3ELb0ES6_jNS0_17counting_iteratorIjlEEPS9_SE_NS0_5tupleIJPjSE_EEENSF_IJSE_SE_EEES9_SG_JZNS1_25segmented_radix_sort_implINS0_14default_configELb1EPKsPsPKlPlN2at6native12_GLOBAL__N_18offset_tEEE10hipError_tPvRmT1_PNSt15iterator_traitsISY_E10value_typeET2_T3_PNSZ_IS14_E10value_typeET4_jRbjT5_S1A_jjP12ihipStream_tbEUljE_EEESV_SW_SX_S14_S18_S1A_T6_T7_T9_mT8_S1C_bDpT10_ENKUlT_T0_E_clISt17integral_constantIbLb0EES1O_IbLb1EEEEDaS1K_S1L_EUlS1K_E_NS1_11comp_targetILNS1_3genE0ELNS1_11target_archE4294967295ELNS1_3gpuE0ELNS1_3repE0EEENS1_30default_config_static_selectorELNS0_4arch9wavefront6targetE0EEEvSY_.has_dyn_sized_stack, 0
	.set _ZN7rocprim17ROCPRIM_400000_NS6detail17trampoline_kernelINS0_13select_configILj256ELj13ELNS0_17block_load_methodE3ELS4_3ELS4_3ELNS0_20block_scan_algorithmE0ELj4294967295EEENS1_25partition_config_selectorILNS1_17partition_subalgoE3EjNS0_10empty_typeEbEEZZNS1_14partition_implILS8_3ELb0ES6_jNS0_17counting_iteratorIjlEEPS9_SE_NS0_5tupleIJPjSE_EEENSF_IJSE_SE_EEES9_SG_JZNS1_25segmented_radix_sort_implINS0_14default_configELb1EPKsPsPKlPlN2at6native12_GLOBAL__N_18offset_tEEE10hipError_tPvRmT1_PNSt15iterator_traitsISY_E10value_typeET2_T3_PNSZ_IS14_E10value_typeET4_jRbjT5_S1A_jjP12ihipStream_tbEUljE_EEESV_SW_SX_S14_S18_S1A_T6_T7_T9_mT8_S1C_bDpT10_ENKUlT_T0_E_clISt17integral_constantIbLb0EES1O_IbLb1EEEEDaS1K_S1L_EUlS1K_E_NS1_11comp_targetILNS1_3genE0ELNS1_11target_archE4294967295ELNS1_3gpuE0ELNS1_3repE0EEENS1_30default_config_static_selectorELNS0_4arch9wavefront6targetE0EEEvSY_.has_recursion, 0
	.set _ZN7rocprim17ROCPRIM_400000_NS6detail17trampoline_kernelINS0_13select_configILj256ELj13ELNS0_17block_load_methodE3ELS4_3ELS4_3ELNS0_20block_scan_algorithmE0ELj4294967295EEENS1_25partition_config_selectorILNS1_17partition_subalgoE3EjNS0_10empty_typeEbEEZZNS1_14partition_implILS8_3ELb0ES6_jNS0_17counting_iteratorIjlEEPS9_SE_NS0_5tupleIJPjSE_EEENSF_IJSE_SE_EEES9_SG_JZNS1_25segmented_radix_sort_implINS0_14default_configELb1EPKsPsPKlPlN2at6native12_GLOBAL__N_18offset_tEEE10hipError_tPvRmT1_PNSt15iterator_traitsISY_E10value_typeET2_T3_PNSZ_IS14_E10value_typeET4_jRbjT5_S1A_jjP12ihipStream_tbEUljE_EEESV_SW_SX_S14_S18_S1A_T6_T7_T9_mT8_S1C_bDpT10_ENKUlT_T0_E_clISt17integral_constantIbLb0EES1O_IbLb1EEEEDaS1K_S1L_EUlS1K_E_NS1_11comp_targetILNS1_3genE0ELNS1_11target_archE4294967295ELNS1_3gpuE0ELNS1_3repE0EEENS1_30default_config_static_selectorELNS0_4arch9wavefront6targetE0EEEvSY_.has_indirect_call, 0
	.section	.AMDGPU.csdata,"",@progbits
; Kernel info:
; codeLenInByte = 9040
; TotalNumSgprs: 26
; NumVgprs: 72
; ScratchSize: 0
; MemoryBound: 0
; FloatMode: 240
; IeeeMode: 1
; LDSByteSize: 13320 bytes/workgroup (compile time only)
; SGPRBlocks: 0
; VGPRBlocks: 4
; NumSGPRsForWavesPerEU: 26
; NumVGPRsForWavesPerEU: 72
; NamedBarCnt: 0
; Occupancy: 12
; WaveLimiterHint : 0
; COMPUTE_PGM_RSRC2:SCRATCH_EN: 0
; COMPUTE_PGM_RSRC2:USER_SGPR: 2
; COMPUTE_PGM_RSRC2:TRAP_HANDLER: 0
; COMPUTE_PGM_RSRC2:TGID_X_EN: 1
; COMPUTE_PGM_RSRC2:TGID_Y_EN: 0
; COMPUTE_PGM_RSRC2:TGID_Z_EN: 0
; COMPUTE_PGM_RSRC2:TIDIG_COMP_CNT: 0
	.section	.text._ZN7rocprim17ROCPRIM_400000_NS6detail17trampoline_kernelINS0_13select_configILj256ELj13ELNS0_17block_load_methodE3ELS4_3ELS4_3ELNS0_20block_scan_algorithmE0ELj4294967295EEENS1_25partition_config_selectorILNS1_17partition_subalgoE3EjNS0_10empty_typeEbEEZZNS1_14partition_implILS8_3ELb0ES6_jNS0_17counting_iteratorIjlEEPS9_SE_NS0_5tupleIJPjSE_EEENSF_IJSE_SE_EEES9_SG_JZNS1_25segmented_radix_sort_implINS0_14default_configELb1EPKsPsPKlPlN2at6native12_GLOBAL__N_18offset_tEEE10hipError_tPvRmT1_PNSt15iterator_traitsISY_E10value_typeET2_T3_PNSZ_IS14_E10value_typeET4_jRbjT5_S1A_jjP12ihipStream_tbEUljE_EEESV_SW_SX_S14_S18_S1A_T6_T7_T9_mT8_S1C_bDpT10_ENKUlT_T0_E_clISt17integral_constantIbLb0EES1O_IbLb1EEEEDaS1K_S1L_EUlS1K_E_NS1_11comp_targetILNS1_3genE5ELNS1_11target_archE942ELNS1_3gpuE9ELNS1_3repE0EEENS1_30default_config_static_selectorELNS0_4arch9wavefront6targetE0EEEvSY_,"axG",@progbits,_ZN7rocprim17ROCPRIM_400000_NS6detail17trampoline_kernelINS0_13select_configILj256ELj13ELNS0_17block_load_methodE3ELS4_3ELS4_3ELNS0_20block_scan_algorithmE0ELj4294967295EEENS1_25partition_config_selectorILNS1_17partition_subalgoE3EjNS0_10empty_typeEbEEZZNS1_14partition_implILS8_3ELb0ES6_jNS0_17counting_iteratorIjlEEPS9_SE_NS0_5tupleIJPjSE_EEENSF_IJSE_SE_EEES9_SG_JZNS1_25segmented_radix_sort_implINS0_14default_configELb1EPKsPsPKlPlN2at6native12_GLOBAL__N_18offset_tEEE10hipError_tPvRmT1_PNSt15iterator_traitsISY_E10value_typeET2_T3_PNSZ_IS14_E10value_typeET4_jRbjT5_S1A_jjP12ihipStream_tbEUljE_EEESV_SW_SX_S14_S18_S1A_T6_T7_T9_mT8_S1C_bDpT10_ENKUlT_T0_E_clISt17integral_constantIbLb0EES1O_IbLb1EEEEDaS1K_S1L_EUlS1K_E_NS1_11comp_targetILNS1_3genE5ELNS1_11target_archE942ELNS1_3gpuE9ELNS1_3repE0EEENS1_30default_config_static_selectorELNS0_4arch9wavefront6targetE0EEEvSY_,comdat
	.globl	_ZN7rocprim17ROCPRIM_400000_NS6detail17trampoline_kernelINS0_13select_configILj256ELj13ELNS0_17block_load_methodE3ELS4_3ELS4_3ELNS0_20block_scan_algorithmE0ELj4294967295EEENS1_25partition_config_selectorILNS1_17partition_subalgoE3EjNS0_10empty_typeEbEEZZNS1_14partition_implILS8_3ELb0ES6_jNS0_17counting_iteratorIjlEEPS9_SE_NS0_5tupleIJPjSE_EEENSF_IJSE_SE_EEES9_SG_JZNS1_25segmented_radix_sort_implINS0_14default_configELb1EPKsPsPKlPlN2at6native12_GLOBAL__N_18offset_tEEE10hipError_tPvRmT1_PNSt15iterator_traitsISY_E10value_typeET2_T3_PNSZ_IS14_E10value_typeET4_jRbjT5_S1A_jjP12ihipStream_tbEUljE_EEESV_SW_SX_S14_S18_S1A_T6_T7_T9_mT8_S1C_bDpT10_ENKUlT_T0_E_clISt17integral_constantIbLb0EES1O_IbLb1EEEEDaS1K_S1L_EUlS1K_E_NS1_11comp_targetILNS1_3genE5ELNS1_11target_archE942ELNS1_3gpuE9ELNS1_3repE0EEENS1_30default_config_static_selectorELNS0_4arch9wavefront6targetE0EEEvSY_ ; -- Begin function _ZN7rocprim17ROCPRIM_400000_NS6detail17trampoline_kernelINS0_13select_configILj256ELj13ELNS0_17block_load_methodE3ELS4_3ELS4_3ELNS0_20block_scan_algorithmE0ELj4294967295EEENS1_25partition_config_selectorILNS1_17partition_subalgoE3EjNS0_10empty_typeEbEEZZNS1_14partition_implILS8_3ELb0ES6_jNS0_17counting_iteratorIjlEEPS9_SE_NS0_5tupleIJPjSE_EEENSF_IJSE_SE_EEES9_SG_JZNS1_25segmented_radix_sort_implINS0_14default_configELb1EPKsPsPKlPlN2at6native12_GLOBAL__N_18offset_tEEE10hipError_tPvRmT1_PNSt15iterator_traitsISY_E10value_typeET2_T3_PNSZ_IS14_E10value_typeET4_jRbjT5_S1A_jjP12ihipStream_tbEUljE_EEESV_SW_SX_S14_S18_S1A_T6_T7_T9_mT8_S1C_bDpT10_ENKUlT_T0_E_clISt17integral_constantIbLb0EES1O_IbLb1EEEEDaS1K_S1L_EUlS1K_E_NS1_11comp_targetILNS1_3genE5ELNS1_11target_archE942ELNS1_3gpuE9ELNS1_3repE0EEENS1_30default_config_static_selectorELNS0_4arch9wavefront6targetE0EEEvSY_
	.p2align	8
	.type	_ZN7rocprim17ROCPRIM_400000_NS6detail17trampoline_kernelINS0_13select_configILj256ELj13ELNS0_17block_load_methodE3ELS4_3ELS4_3ELNS0_20block_scan_algorithmE0ELj4294967295EEENS1_25partition_config_selectorILNS1_17partition_subalgoE3EjNS0_10empty_typeEbEEZZNS1_14partition_implILS8_3ELb0ES6_jNS0_17counting_iteratorIjlEEPS9_SE_NS0_5tupleIJPjSE_EEENSF_IJSE_SE_EEES9_SG_JZNS1_25segmented_radix_sort_implINS0_14default_configELb1EPKsPsPKlPlN2at6native12_GLOBAL__N_18offset_tEEE10hipError_tPvRmT1_PNSt15iterator_traitsISY_E10value_typeET2_T3_PNSZ_IS14_E10value_typeET4_jRbjT5_S1A_jjP12ihipStream_tbEUljE_EEESV_SW_SX_S14_S18_S1A_T6_T7_T9_mT8_S1C_bDpT10_ENKUlT_T0_E_clISt17integral_constantIbLb0EES1O_IbLb1EEEEDaS1K_S1L_EUlS1K_E_NS1_11comp_targetILNS1_3genE5ELNS1_11target_archE942ELNS1_3gpuE9ELNS1_3repE0EEENS1_30default_config_static_selectorELNS0_4arch9wavefront6targetE0EEEvSY_,@function
_ZN7rocprim17ROCPRIM_400000_NS6detail17trampoline_kernelINS0_13select_configILj256ELj13ELNS0_17block_load_methodE3ELS4_3ELS4_3ELNS0_20block_scan_algorithmE0ELj4294967295EEENS1_25partition_config_selectorILNS1_17partition_subalgoE3EjNS0_10empty_typeEbEEZZNS1_14partition_implILS8_3ELb0ES6_jNS0_17counting_iteratorIjlEEPS9_SE_NS0_5tupleIJPjSE_EEENSF_IJSE_SE_EEES9_SG_JZNS1_25segmented_radix_sort_implINS0_14default_configELb1EPKsPsPKlPlN2at6native12_GLOBAL__N_18offset_tEEE10hipError_tPvRmT1_PNSt15iterator_traitsISY_E10value_typeET2_T3_PNSZ_IS14_E10value_typeET4_jRbjT5_S1A_jjP12ihipStream_tbEUljE_EEESV_SW_SX_S14_S18_S1A_T6_T7_T9_mT8_S1C_bDpT10_ENKUlT_T0_E_clISt17integral_constantIbLb0EES1O_IbLb1EEEEDaS1K_S1L_EUlS1K_E_NS1_11comp_targetILNS1_3genE5ELNS1_11target_archE942ELNS1_3gpuE9ELNS1_3repE0EEENS1_30default_config_static_selectorELNS0_4arch9wavefront6targetE0EEEvSY_: ; @_ZN7rocprim17ROCPRIM_400000_NS6detail17trampoline_kernelINS0_13select_configILj256ELj13ELNS0_17block_load_methodE3ELS4_3ELS4_3ELNS0_20block_scan_algorithmE0ELj4294967295EEENS1_25partition_config_selectorILNS1_17partition_subalgoE3EjNS0_10empty_typeEbEEZZNS1_14partition_implILS8_3ELb0ES6_jNS0_17counting_iteratorIjlEEPS9_SE_NS0_5tupleIJPjSE_EEENSF_IJSE_SE_EEES9_SG_JZNS1_25segmented_radix_sort_implINS0_14default_configELb1EPKsPsPKlPlN2at6native12_GLOBAL__N_18offset_tEEE10hipError_tPvRmT1_PNSt15iterator_traitsISY_E10value_typeET2_T3_PNSZ_IS14_E10value_typeET4_jRbjT5_S1A_jjP12ihipStream_tbEUljE_EEESV_SW_SX_S14_S18_S1A_T6_T7_T9_mT8_S1C_bDpT10_ENKUlT_T0_E_clISt17integral_constantIbLb0EES1O_IbLb1EEEEDaS1K_S1L_EUlS1K_E_NS1_11comp_targetILNS1_3genE5ELNS1_11target_archE942ELNS1_3gpuE9ELNS1_3repE0EEENS1_30default_config_static_selectorELNS0_4arch9wavefront6targetE0EEEvSY_
; %bb.0:
	.section	.rodata,"a",@progbits
	.p2align	6, 0x0
	.amdhsa_kernel _ZN7rocprim17ROCPRIM_400000_NS6detail17trampoline_kernelINS0_13select_configILj256ELj13ELNS0_17block_load_methodE3ELS4_3ELS4_3ELNS0_20block_scan_algorithmE0ELj4294967295EEENS1_25partition_config_selectorILNS1_17partition_subalgoE3EjNS0_10empty_typeEbEEZZNS1_14partition_implILS8_3ELb0ES6_jNS0_17counting_iteratorIjlEEPS9_SE_NS0_5tupleIJPjSE_EEENSF_IJSE_SE_EEES9_SG_JZNS1_25segmented_radix_sort_implINS0_14default_configELb1EPKsPsPKlPlN2at6native12_GLOBAL__N_18offset_tEEE10hipError_tPvRmT1_PNSt15iterator_traitsISY_E10value_typeET2_T3_PNSZ_IS14_E10value_typeET4_jRbjT5_S1A_jjP12ihipStream_tbEUljE_EEESV_SW_SX_S14_S18_S1A_T6_T7_T9_mT8_S1C_bDpT10_ENKUlT_T0_E_clISt17integral_constantIbLb0EES1O_IbLb1EEEEDaS1K_S1L_EUlS1K_E_NS1_11comp_targetILNS1_3genE5ELNS1_11target_archE942ELNS1_3gpuE9ELNS1_3repE0EEENS1_30default_config_static_selectorELNS0_4arch9wavefront6targetE0EEEvSY_
		.amdhsa_group_segment_fixed_size 0
		.amdhsa_private_segment_fixed_size 0
		.amdhsa_kernarg_size 152
		.amdhsa_user_sgpr_count 2
		.amdhsa_user_sgpr_dispatch_ptr 0
		.amdhsa_user_sgpr_queue_ptr 0
		.amdhsa_user_sgpr_kernarg_segment_ptr 1
		.amdhsa_user_sgpr_dispatch_id 0
		.amdhsa_user_sgpr_kernarg_preload_length 0
		.amdhsa_user_sgpr_kernarg_preload_offset 0
		.amdhsa_user_sgpr_private_segment_size 0
		.amdhsa_wavefront_size32 1
		.amdhsa_uses_dynamic_stack 0
		.amdhsa_enable_private_segment 0
		.amdhsa_system_sgpr_workgroup_id_x 1
		.amdhsa_system_sgpr_workgroup_id_y 0
		.amdhsa_system_sgpr_workgroup_id_z 0
		.amdhsa_system_sgpr_workgroup_info 0
		.amdhsa_system_vgpr_workitem_id 0
		.amdhsa_next_free_vgpr 1
		.amdhsa_next_free_sgpr 1
		.amdhsa_named_barrier_count 0
		.amdhsa_reserve_vcc 0
		.amdhsa_float_round_mode_32 0
		.amdhsa_float_round_mode_16_64 0
		.amdhsa_float_denorm_mode_32 3
		.amdhsa_float_denorm_mode_16_64 3
		.amdhsa_fp16_overflow 0
		.amdhsa_memory_ordered 1
		.amdhsa_forward_progress 1
		.amdhsa_inst_pref_size 0
		.amdhsa_round_robin_scheduling 0
		.amdhsa_exception_fp_ieee_invalid_op 0
		.amdhsa_exception_fp_denorm_src 0
		.amdhsa_exception_fp_ieee_div_zero 0
		.amdhsa_exception_fp_ieee_overflow 0
		.amdhsa_exception_fp_ieee_underflow 0
		.amdhsa_exception_fp_ieee_inexact 0
		.amdhsa_exception_int_div_zero 0
	.end_amdhsa_kernel
	.section	.text._ZN7rocprim17ROCPRIM_400000_NS6detail17trampoline_kernelINS0_13select_configILj256ELj13ELNS0_17block_load_methodE3ELS4_3ELS4_3ELNS0_20block_scan_algorithmE0ELj4294967295EEENS1_25partition_config_selectorILNS1_17partition_subalgoE3EjNS0_10empty_typeEbEEZZNS1_14partition_implILS8_3ELb0ES6_jNS0_17counting_iteratorIjlEEPS9_SE_NS0_5tupleIJPjSE_EEENSF_IJSE_SE_EEES9_SG_JZNS1_25segmented_radix_sort_implINS0_14default_configELb1EPKsPsPKlPlN2at6native12_GLOBAL__N_18offset_tEEE10hipError_tPvRmT1_PNSt15iterator_traitsISY_E10value_typeET2_T3_PNSZ_IS14_E10value_typeET4_jRbjT5_S1A_jjP12ihipStream_tbEUljE_EEESV_SW_SX_S14_S18_S1A_T6_T7_T9_mT8_S1C_bDpT10_ENKUlT_T0_E_clISt17integral_constantIbLb0EES1O_IbLb1EEEEDaS1K_S1L_EUlS1K_E_NS1_11comp_targetILNS1_3genE5ELNS1_11target_archE942ELNS1_3gpuE9ELNS1_3repE0EEENS1_30default_config_static_selectorELNS0_4arch9wavefront6targetE0EEEvSY_,"axG",@progbits,_ZN7rocprim17ROCPRIM_400000_NS6detail17trampoline_kernelINS0_13select_configILj256ELj13ELNS0_17block_load_methodE3ELS4_3ELS4_3ELNS0_20block_scan_algorithmE0ELj4294967295EEENS1_25partition_config_selectorILNS1_17partition_subalgoE3EjNS0_10empty_typeEbEEZZNS1_14partition_implILS8_3ELb0ES6_jNS0_17counting_iteratorIjlEEPS9_SE_NS0_5tupleIJPjSE_EEENSF_IJSE_SE_EEES9_SG_JZNS1_25segmented_radix_sort_implINS0_14default_configELb1EPKsPsPKlPlN2at6native12_GLOBAL__N_18offset_tEEE10hipError_tPvRmT1_PNSt15iterator_traitsISY_E10value_typeET2_T3_PNSZ_IS14_E10value_typeET4_jRbjT5_S1A_jjP12ihipStream_tbEUljE_EEESV_SW_SX_S14_S18_S1A_T6_T7_T9_mT8_S1C_bDpT10_ENKUlT_T0_E_clISt17integral_constantIbLb0EES1O_IbLb1EEEEDaS1K_S1L_EUlS1K_E_NS1_11comp_targetILNS1_3genE5ELNS1_11target_archE942ELNS1_3gpuE9ELNS1_3repE0EEENS1_30default_config_static_selectorELNS0_4arch9wavefront6targetE0EEEvSY_,comdat
.Lfunc_end900:
	.size	_ZN7rocprim17ROCPRIM_400000_NS6detail17trampoline_kernelINS0_13select_configILj256ELj13ELNS0_17block_load_methodE3ELS4_3ELS4_3ELNS0_20block_scan_algorithmE0ELj4294967295EEENS1_25partition_config_selectorILNS1_17partition_subalgoE3EjNS0_10empty_typeEbEEZZNS1_14partition_implILS8_3ELb0ES6_jNS0_17counting_iteratorIjlEEPS9_SE_NS0_5tupleIJPjSE_EEENSF_IJSE_SE_EEES9_SG_JZNS1_25segmented_radix_sort_implINS0_14default_configELb1EPKsPsPKlPlN2at6native12_GLOBAL__N_18offset_tEEE10hipError_tPvRmT1_PNSt15iterator_traitsISY_E10value_typeET2_T3_PNSZ_IS14_E10value_typeET4_jRbjT5_S1A_jjP12ihipStream_tbEUljE_EEESV_SW_SX_S14_S18_S1A_T6_T7_T9_mT8_S1C_bDpT10_ENKUlT_T0_E_clISt17integral_constantIbLb0EES1O_IbLb1EEEEDaS1K_S1L_EUlS1K_E_NS1_11comp_targetILNS1_3genE5ELNS1_11target_archE942ELNS1_3gpuE9ELNS1_3repE0EEENS1_30default_config_static_selectorELNS0_4arch9wavefront6targetE0EEEvSY_, .Lfunc_end900-_ZN7rocprim17ROCPRIM_400000_NS6detail17trampoline_kernelINS0_13select_configILj256ELj13ELNS0_17block_load_methodE3ELS4_3ELS4_3ELNS0_20block_scan_algorithmE0ELj4294967295EEENS1_25partition_config_selectorILNS1_17partition_subalgoE3EjNS0_10empty_typeEbEEZZNS1_14partition_implILS8_3ELb0ES6_jNS0_17counting_iteratorIjlEEPS9_SE_NS0_5tupleIJPjSE_EEENSF_IJSE_SE_EEES9_SG_JZNS1_25segmented_radix_sort_implINS0_14default_configELb1EPKsPsPKlPlN2at6native12_GLOBAL__N_18offset_tEEE10hipError_tPvRmT1_PNSt15iterator_traitsISY_E10value_typeET2_T3_PNSZ_IS14_E10value_typeET4_jRbjT5_S1A_jjP12ihipStream_tbEUljE_EEESV_SW_SX_S14_S18_S1A_T6_T7_T9_mT8_S1C_bDpT10_ENKUlT_T0_E_clISt17integral_constantIbLb0EES1O_IbLb1EEEEDaS1K_S1L_EUlS1K_E_NS1_11comp_targetILNS1_3genE5ELNS1_11target_archE942ELNS1_3gpuE9ELNS1_3repE0EEENS1_30default_config_static_selectorELNS0_4arch9wavefront6targetE0EEEvSY_
                                        ; -- End function
	.set _ZN7rocprim17ROCPRIM_400000_NS6detail17trampoline_kernelINS0_13select_configILj256ELj13ELNS0_17block_load_methodE3ELS4_3ELS4_3ELNS0_20block_scan_algorithmE0ELj4294967295EEENS1_25partition_config_selectorILNS1_17partition_subalgoE3EjNS0_10empty_typeEbEEZZNS1_14partition_implILS8_3ELb0ES6_jNS0_17counting_iteratorIjlEEPS9_SE_NS0_5tupleIJPjSE_EEENSF_IJSE_SE_EEES9_SG_JZNS1_25segmented_radix_sort_implINS0_14default_configELb1EPKsPsPKlPlN2at6native12_GLOBAL__N_18offset_tEEE10hipError_tPvRmT1_PNSt15iterator_traitsISY_E10value_typeET2_T3_PNSZ_IS14_E10value_typeET4_jRbjT5_S1A_jjP12ihipStream_tbEUljE_EEESV_SW_SX_S14_S18_S1A_T6_T7_T9_mT8_S1C_bDpT10_ENKUlT_T0_E_clISt17integral_constantIbLb0EES1O_IbLb1EEEEDaS1K_S1L_EUlS1K_E_NS1_11comp_targetILNS1_3genE5ELNS1_11target_archE942ELNS1_3gpuE9ELNS1_3repE0EEENS1_30default_config_static_selectorELNS0_4arch9wavefront6targetE0EEEvSY_.num_vgpr, 0
	.set _ZN7rocprim17ROCPRIM_400000_NS6detail17trampoline_kernelINS0_13select_configILj256ELj13ELNS0_17block_load_methodE3ELS4_3ELS4_3ELNS0_20block_scan_algorithmE0ELj4294967295EEENS1_25partition_config_selectorILNS1_17partition_subalgoE3EjNS0_10empty_typeEbEEZZNS1_14partition_implILS8_3ELb0ES6_jNS0_17counting_iteratorIjlEEPS9_SE_NS0_5tupleIJPjSE_EEENSF_IJSE_SE_EEES9_SG_JZNS1_25segmented_radix_sort_implINS0_14default_configELb1EPKsPsPKlPlN2at6native12_GLOBAL__N_18offset_tEEE10hipError_tPvRmT1_PNSt15iterator_traitsISY_E10value_typeET2_T3_PNSZ_IS14_E10value_typeET4_jRbjT5_S1A_jjP12ihipStream_tbEUljE_EEESV_SW_SX_S14_S18_S1A_T6_T7_T9_mT8_S1C_bDpT10_ENKUlT_T0_E_clISt17integral_constantIbLb0EES1O_IbLb1EEEEDaS1K_S1L_EUlS1K_E_NS1_11comp_targetILNS1_3genE5ELNS1_11target_archE942ELNS1_3gpuE9ELNS1_3repE0EEENS1_30default_config_static_selectorELNS0_4arch9wavefront6targetE0EEEvSY_.num_agpr, 0
	.set _ZN7rocprim17ROCPRIM_400000_NS6detail17trampoline_kernelINS0_13select_configILj256ELj13ELNS0_17block_load_methodE3ELS4_3ELS4_3ELNS0_20block_scan_algorithmE0ELj4294967295EEENS1_25partition_config_selectorILNS1_17partition_subalgoE3EjNS0_10empty_typeEbEEZZNS1_14partition_implILS8_3ELb0ES6_jNS0_17counting_iteratorIjlEEPS9_SE_NS0_5tupleIJPjSE_EEENSF_IJSE_SE_EEES9_SG_JZNS1_25segmented_radix_sort_implINS0_14default_configELb1EPKsPsPKlPlN2at6native12_GLOBAL__N_18offset_tEEE10hipError_tPvRmT1_PNSt15iterator_traitsISY_E10value_typeET2_T3_PNSZ_IS14_E10value_typeET4_jRbjT5_S1A_jjP12ihipStream_tbEUljE_EEESV_SW_SX_S14_S18_S1A_T6_T7_T9_mT8_S1C_bDpT10_ENKUlT_T0_E_clISt17integral_constantIbLb0EES1O_IbLb1EEEEDaS1K_S1L_EUlS1K_E_NS1_11comp_targetILNS1_3genE5ELNS1_11target_archE942ELNS1_3gpuE9ELNS1_3repE0EEENS1_30default_config_static_selectorELNS0_4arch9wavefront6targetE0EEEvSY_.numbered_sgpr, 0
	.set _ZN7rocprim17ROCPRIM_400000_NS6detail17trampoline_kernelINS0_13select_configILj256ELj13ELNS0_17block_load_methodE3ELS4_3ELS4_3ELNS0_20block_scan_algorithmE0ELj4294967295EEENS1_25partition_config_selectorILNS1_17partition_subalgoE3EjNS0_10empty_typeEbEEZZNS1_14partition_implILS8_3ELb0ES6_jNS0_17counting_iteratorIjlEEPS9_SE_NS0_5tupleIJPjSE_EEENSF_IJSE_SE_EEES9_SG_JZNS1_25segmented_radix_sort_implINS0_14default_configELb1EPKsPsPKlPlN2at6native12_GLOBAL__N_18offset_tEEE10hipError_tPvRmT1_PNSt15iterator_traitsISY_E10value_typeET2_T3_PNSZ_IS14_E10value_typeET4_jRbjT5_S1A_jjP12ihipStream_tbEUljE_EEESV_SW_SX_S14_S18_S1A_T6_T7_T9_mT8_S1C_bDpT10_ENKUlT_T0_E_clISt17integral_constantIbLb0EES1O_IbLb1EEEEDaS1K_S1L_EUlS1K_E_NS1_11comp_targetILNS1_3genE5ELNS1_11target_archE942ELNS1_3gpuE9ELNS1_3repE0EEENS1_30default_config_static_selectorELNS0_4arch9wavefront6targetE0EEEvSY_.num_named_barrier, 0
	.set _ZN7rocprim17ROCPRIM_400000_NS6detail17trampoline_kernelINS0_13select_configILj256ELj13ELNS0_17block_load_methodE3ELS4_3ELS4_3ELNS0_20block_scan_algorithmE0ELj4294967295EEENS1_25partition_config_selectorILNS1_17partition_subalgoE3EjNS0_10empty_typeEbEEZZNS1_14partition_implILS8_3ELb0ES6_jNS0_17counting_iteratorIjlEEPS9_SE_NS0_5tupleIJPjSE_EEENSF_IJSE_SE_EEES9_SG_JZNS1_25segmented_radix_sort_implINS0_14default_configELb1EPKsPsPKlPlN2at6native12_GLOBAL__N_18offset_tEEE10hipError_tPvRmT1_PNSt15iterator_traitsISY_E10value_typeET2_T3_PNSZ_IS14_E10value_typeET4_jRbjT5_S1A_jjP12ihipStream_tbEUljE_EEESV_SW_SX_S14_S18_S1A_T6_T7_T9_mT8_S1C_bDpT10_ENKUlT_T0_E_clISt17integral_constantIbLb0EES1O_IbLb1EEEEDaS1K_S1L_EUlS1K_E_NS1_11comp_targetILNS1_3genE5ELNS1_11target_archE942ELNS1_3gpuE9ELNS1_3repE0EEENS1_30default_config_static_selectorELNS0_4arch9wavefront6targetE0EEEvSY_.private_seg_size, 0
	.set _ZN7rocprim17ROCPRIM_400000_NS6detail17trampoline_kernelINS0_13select_configILj256ELj13ELNS0_17block_load_methodE3ELS4_3ELS4_3ELNS0_20block_scan_algorithmE0ELj4294967295EEENS1_25partition_config_selectorILNS1_17partition_subalgoE3EjNS0_10empty_typeEbEEZZNS1_14partition_implILS8_3ELb0ES6_jNS0_17counting_iteratorIjlEEPS9_SE_NS0_5tupleIJPjSE_EEENSF_IJSE_SE_EEES9_SG_JZNS1_25segmented_radix_sort_implINS0_14default_configELb1EPKsPsPKlPlN2at6native12_GLOBAL__N_18offset_tEEE10hipError_tPvRmT1_PNSt15iterator_traitsISY_E10value_typeET2_T3_PNSZ_IS14_E10value_typeET4_jRbjT5_S1A_jjP12ihipStream_tbEUljE_EEESV_SW_SX_S14_S18_S1A_T6_T7_T9_mT8_S1C_bDpT10_ENKUlT_T0_E_clISt17integral_constantIbLb0EES1O_IbLb1EEEEDaS1K_S1L_EUlS1K_E_NS1_11comp_targetILNS1_3genE5ELNS1_11target_archE942ELNS1_3gpuE9ELNS1_3repE0EEENS1_30default_config_static_selectorELNS0_4arch9wavefront6targetE0EEEvSY_.uses_vcc, 0
	.set _ZN7rocprim17ROCPRIM_400000_NS6detail17trampoline_kernelINS0_13select_configILj256ELj13ELNS0_17block_load_methodE3ELS4_3ELS4_3ELNS0_20block_scan_algorithmE0ELj4294967295EEENS1_25partition_config_selectorILNS1_17partition_subalgoE3EjNS0_10empty_typeEbEEZZNS1_14partition_implILS8_3ELb0ES6_jNS0_17counting_iteratorIjlEEPS9_SE_NS0_5tupleIJPjSE_EEENSF_IJSE_SE_EEES9_SG_JZNS1_25segmented_radix_sort_implINS0_14default_configELb1EPKsPsPKlPlN2at6native12_GLOBAL__N_18offset_tEEE10hipError_tPvRmT1_PNSt15iterator_traitsISY_E10value_typeET2_T3_PNSZ_IS14_E10value_typeET4_jRbjT5_S1A_jjP12ihipStream_tbEUljE_EEESV_SW_SX_S14_S18_S1A_T6_T7_T9_mT8_S1C_bDpT10_ENKUlT_T0_E_clISt17integral_constantIbLb0EES1O_IbLb1EEEEDaS1K_S1L_EUlS1K_E_NS1_11comp_targetILNS1_3genE5ELNS1_11target_archE942ELNS1_3gpuE9ELNS1_3repE0EEENS1_30default_config_static_selectorELNS0_4arch9wavefront6targetE0EEEvSY_.uses_flat_scratch, 0
	.set _ZN7rocprim17ROCPRIM_400000_NS6detail17trampoline_kernelINS0_13select_configILj256ELj13ELNS0_17block_load_methodE3ELS4_3ELS4_3ELNS0_20block_scan_algorithmE0ELj4294967295EEENS1_25partition_config_selectorILNS1_17partition_subalgoE3EjNS0_10empty_typeEbEEZZNS1_14partition_implILS8_3ELb0ES6_jNS0_17counting_iteratorIjlEEPS9_SE_NS0_5tupleIJPjSE_EEENSF_IJSE_SE_EEES9_SG_JZNS1_25segmented_radix_sort_implINS0_14default_configELb1EPKsPsPKlPlN2at6native12_GLOBAL__N_18offset_tEEE10hipError_tPvRmT1_PNSt15iterator_traitsISY_E10value_typeET2_T3_PNSZ_IS14_E10value_typeET4_jRbjT5_S1A_jjP12ihipStream_tbEUljE_EEESV_SW_SX_S14_S18_S1A_T6_T7_T9_mT8_S1C_bDpT10_ENKUlT_T0_E_clISt17integral_constantIbLb0EES1O_IbLb1EEEEDaS1K_S1L_EUlS1K_E_NS1_11comp_targetILNS1_3genE5ELNS1_11target_archE942ELNS1_3gpuE9ELNS1_3repE0EEENS1_30default_config_static_selectorELNS0_4arch9wavefront6targetE0EEEvSY_.has_dyn_sized_stack, 0
	.set _ZN7rocprim17ROCPRIM_400000_NS6detail17trampoline_kernelINS0_13select_configILj256ELj13ELNS0_17block_load_methodE3ELS4_3ELS4_3ELNS0_20block_scan_algorithmE0ELj4294967295EEENS1_25partition_config_selectorILNS1_17partition_subalgoE3EjNS0_10empty_typeEbEEZZNS1_14partition_implILS8_3ELb0ES6_jNS0_17counting_iteratorIjlEEPS9_SE_NS0_5tupleIJPjSE_EEENSF_IJSE_SE_EEES9_SG_JZNS1_25segmented_radix_sort_implINS0_14default_configELb1EPKsPsPKlPlN2at6native12_GLOBAL__N_18offset_tEEE10hipError_tPvRmT1_PNSt15iterator_traitsISY_E10value_typeET2_T3_PNSZ_IS14_E10value_typeET4_jRbjT5_S1A_jjP12ihipStream_tbEUljE_EEESV_SW_SX_S14_S18_S1A_T6_T7_T9_mT8_S1C_bDpT10_ENKUlT_T0_E_clISt17integral_constantIbLb0EES1O_IbLb1EEEEDaS1K_S1L_EUlS1K_E_NS1_11comp_targetILNS1_3genE5ELNS1_11target_archE942ELNS1_3gpuE9ELNS1_3repE0EEENS1_30default_config_static_selectorELNS0_4arch9wavefront6targetE0EEEvSY_.has_recursion, 0
	.set _ZN7rocprim17ROCPRIM_400000_NS6detail17trampoline_kernelINS0_13select_configILj256ELj13ELNS0_17block_load_methodE3ELS4_3ELS4_3ELNS0_20block_scan_algorithmE0ELj4294967295EEENS1_25partition_config_selectorILNS1_17partition_subalgoE3EjNS0_10empty_typeEbEEZZNS1_14partition_implILS8_3ELb0ES6_jNS0_17counting_iteratorIjlEEPS9_SE_NS0_5tupleIJPjSE_EEENSF_IJSE_SE_EEES9_SG_JZNS1_25segmented_radix_sort_implINS0_14default_configELb1EPKsPsPKlPlN2at6native12_GLOBAL__N_18offset_tEEE10hipError_tPvRmT1_PNSt15iterator_traitsISY_E10value_typeET2_T3_PNSZ_IS14_E10value_typeET4_jRbjT5_S1A_jjP12ihipStream_tbEUljE_EEESV_SW_SX_S14_S18_S1A_T6_T7_T9_mT8_S1C_bDpT10_ENKUlT_T0_E_clISt17integral_constantIbLb0EES1O_IbLb1EEEEDaS1K_S1L_EUlS1K_E_NS1_11comp_targetILNS1_3genE5ELNS1_11target_archE942ELNS1_3gpuE9ELNS1_3repE0EEENS1_30default_config_static_selectorELNS0_4arch9wavefront6targetE0EEEvSY_.has_indirect_call, 0
	.section	.AMDGPU.csdata,"",@progbits
; Kernel info:
; codeLenInByte = 0
; TotalNumSgprs: 0
; NumVgprs: 0
; ScratchSize: 0
; MemoryBound: 0
; FloatMode: 240
; IeeeMode: 1
; LDSByteSize: 0 bytes/workgroup (compile time only)
; SGPRBlocks: 0
; VGPRBlocks: 0
; NumSGPRsForWavesPerEU: 1
; NumVGPRsForWavesPerEU: 1
; NamedBarCnt: 0
; Occupancy: 16
; WaveLimiterHint : 0
; COMPUTE_PGM_RSRC2:SCRATCH_EN: 0
; COMPUTE_PGM_RSRC2:USER_SGPR: 2
; COMPUTE_PGM_RSRC2:TRAP_HANDLER: 0
; COMPUTE_PGM_RSRC2:TGID_X_EN: 1
; COMPUTE_PGM_RSRC2:TGID_Y_EN: 0
; COMPUTE_PGM_RSRC2:TGID_Z_EN: 0
; COMPUTE_PGM_RSRC2:TIDIG_COMP_CNT: 0
	.section	.text._ZN7rocprim17ROCPRIM_400000_NS6detail17trampoline_kernelINS0_13select_configILj256ELj13ELNS0_17block_load_methodE3ELS4_3ELS4_3ELNS0_20block_scan_algorithmE0ELj4294967295EEENS1_25partition_config_selectorILNS1_17partition_subalgoE3EjNS0_10empty_typeEbEEZZNS1_14partition_implILS8_3ELb0ES6_jNS0_17counting_iteratorIjlEEPS9_SE_NS0_5tupleIJPjSE_EEENSF_IJSE_SE_EEES9_SG_JZNS1_25segmented_radix_sort_implINS0_14default_configELb1EPKsPsPKlPlN2at6native12_GLOBAL__N_18offset_tEEE10hipError_tPvRmT1_PNSt15iterator_traitsISY_E10value_typeET2_T3_PNSZ_IS14_E10value_typeET4_jRbjT5_S1A_jjP12ihipStream_tbEUljE_EEESV_SW_SX_S14_S18_S1A_T6_T7_T9_mT8_S1C_bDpT10_ENKUlT_T0_E_clISt17integral_constantIbLb0EES1O_IbLb1EEEEDaS1K_S1L_EUlS1K_E_NS1_11comp_targetILNS1_3genE4ELNS1_11target_archE910ELNS1_3gpuE8ELNS1_3repE0EEENS1_30default_config_static_selectorELNS0_4arch9wavefront6targetE0EEEvSY_,"axG",@progbits,_ZN7rocprim17ROCPRIM_400000_NS6detail17trampoline_kernelINS0_13select_configILj256ELj13ELNS0_17block_load_methodE3ELS4_3ELS4_3ELNS0_20block_scan_algorithmE0ELj4294967295EEENS1_25partition_config_selectorILNS1_17partition_subalgoE3EjNS0_10empty_typeEbEEZZNS1_14partition_implILS8_3ELb0ES6_jNS0_17counting_iteratorIjlEEPS9_SE_NS0_5tupleIJPjSE_EEENSF_IJSE_SE_EEES9_SG_JZNS1_25segmented_radix_sort_implINS0_14default_configELb1EPKsPsPKlPlN2at6native12_GLOBAL__N_18offset_tEEE10hipError_tPvRmT1_PNSt15iterator_traitsISY_E10value_typeET2_T3_PNSZ_IS14_E10value_typeET4_jRbjT5_S1A_jjP12ihipStream_tbEUljE_EEESV_SW_SX_S14_S18_S1A_T6_T7_T9_mT8_S1C_bDpT10_ENKUlT_T0_E_clISt17integral_constantIbLb0EES1O_IbLb1EEEEDaS1K_S1L_EUlS1K_E_NS1_11comp_targetILNS1_3genE4ELNS1_11target_archE910ELNS1_3gpuE8ELNS1_3repE0EEENS1_30default_config_static_selectorELNS0_4arch9wavefront6targetE0EEEvSY_,comdat
	.globl	_ZN7rocprim17ROCPRIM_400000_NS6detail17trampoline_kernelINS0_13select_configILj256ELj13ELNS0_17block_load_methodE3ELS4_3ELS4_3ELNS0_20block_scan_algorithmE0ELj4294967295EEENS1_25partition_config_selectorILNS1_17partition_subalgoE3EjNS0_10empty_typeEbEEZZNS1_14partition_implILS8_3ELb0ES6_jNS0_17counting_iteratorIjlEEPS9_SE_NS0_5tupleIJPjSE_EEENSF_IJSE_SE_EEES9_SG_JZNS1_25segmented_radix_sort_implINS0_14default_configELb1EPKsPsPKlPlN2at6native12_GLOBAL__N_18offset_tEEE10hipError_tPvRmT1_PNSt15iterator_traitsISY_E10value_typeET2_T3_PNSZ_IS14_E10value_typeET4_jRbjT5_S1A_jjP12ihipStream_tbEUljE_EEESV_SW_SX_S14_S18_S1A_T6_T7_T9_mT8_S1C_bDpT10_ENKUlT_T0_E_clISt17integral_constantIbLb0EES1O_IbLb1EEEEDaS1K_S1L_EUlS1K_E_NS1_11comp_targetILNS1_3genE4ELNS1_11target_archE910ELNS1_3gpuE8ELNS1_3repE0EEENS1_30default_config_static_selectorELNS0_4arch9wavefront6targetE0EEEvSY_ ; -- Begin function _ZN7rocprim17ROCPRIM_400000_NS6detail17trampoline_kernelINS0_13select_configILj256ELj13ELNS0_17block_load_methodE3ELS4_3ELS4_3ELNS0_20block_scan_algorithmE0ELj4294967295EEENS1_25partition_config_selectorILNS1_17partition_subalgoE3EjNS0_10empty_typeEbEEZZNS1_14partition_implILS8_3ELb0ES6_jNS0_17counting_iteratorIjlEEPS9_SE_NS0_5tupleIJPjSE_EEENSF_IJSE_SE_EEES9_SG_JZNS1_25segmented_radix_sort_implINS0_14default_configELb1EPKsPsPKlPlN2at6native12_GLOBAL__N_18offset_tEEE10hipError_tPvRmT1_PNSt15iterator_traitsISY_E10value_typeET2_T3_PNSZ_IS14_E10value_typeET4_jRbjT5_S1A_jjP12ihipStream_tbEUljE_EEESV_SW_SX_S14_S18_S1A_T6_T7_T9_mT8_S1C_bDpT10_ENKUlT_T0_E_clISt17integral_constantIbLb0EES1O_IbLb1EEEEDaS1K_S1L_EUlS1K_E_NS1_11comp_targetILNS1_3genE4ELNS1_11target_archE910ELNS1_3gpuE8ELNS1_3repE0EEENS1_30default_config_static_selectorELNS0_4arch9wavefront6targetE0EEEvSY_
	.p2align	8
	.type	_ZN7rocprim17ROCPRIM_400000_NS6detail17trampoline_kernelINS0_13select_configILj256ELj13ELNS0_17block_load_methodE3ELS4_3ELS4_3ELNS0_20block_scan_algorithmE0ELj4294967295EEENS1_25partition_config_selectorILNS1_17partition_subalgoE3EjNS0_10empty_typeEbEEZZNS1_14partition_implILS8_3ELb0ES6_jNS0_17counting_iteratorIjlEEPS9_SE_NS0_5tupleIJPjSE_EEENSF_IJSE_SE_EEES9_SG_JZNS1_25segmented_radix_sort_implINS0_14default_configELb1EPKsPsPKlPlN2at6native12_GLOBAL__N_18offset_tEEE10hipError_tPvRmT1_PNSt15iterator_traitsISY_E10value_typeET2_T3_PNSZ_IS14_E10value_typeET4_jRbjT5_S1A_jjP12ihipStream_tbEUljE_EEESV_SW_SX_S14_S18_S1A_T6_T7_T9_mT8_S1C_bDpT10_ENKUlT_T0_E_clISt17integral_constantIbLb0EES1O_IbLb1EEEEDaS1K_S1L_EUlS1K_E_NS1_11comp_targetILNS1_3genE4ELNS1_11target_archE910ELNS1_3gpuE8ELNS1_3repE0EEENS1_30default_config_static_selectorELNS0_4arch9wavefront6targetE0EEEvSY_,@function
_ZN7rocprim17ROCPRIM_400000_NS6detail17trampoline_kernelINS0_13select_configILj256ELj13ELNS0_17block_load_methodE3ELS4_3ELS4_3ELNS0_20block_scan_algorithmE0ELj4294967295EEENS1_25partition_config_selectorILNS1_17partition_subalgoE3EjNS0_10empty_typeEbEEZZNS1_14partition_implILS8_3ELb0ES6_jNS0_17counting_iteratorIjlEEPS9_SE_NS0_5tupleIJPjSE_EEENSF_IJSE_SE_EEES9_SG_JZNS1_25segmented_radix_sort_implINS0_14default_configELb1EPKsPsPKlPlN2at6native12_GLOBAL__N_18offset_tEEE10hipError_tPvRmT1_PNSt15iterator_traitsISY_E10value_typeET2_T3_PNSZ_IS14_E10value_typeET4_jRbjT5_S1A_jjP12ihipStream_tbEUljE_EEESV_SW_SX_S14_S18_S1A_T6_T7_T9_mT8_S1C_bDpT10_ENKUlT_T0_E_clISt17integral_constantIbLb0EES1O_IbLb1EEEEDaS1K_S1L_EUlS1K_E_NS1_11comp_targetILNS1_3genE4ELNS1_11target_archE910ELNS1_3gpuE8ELNS1_3repE0EEENS1_30default_config_static_selectorELNS0_4arch9wavefront6targetE0EEEvSY_: ; @_ZN7rocprim17ROCPRIM_400000_NS6detail17trampoline_kernelINS0_13select_configILj256ELj13ELNS0_17block_load_methodE3ELS4_3ELS4_3ELNS0_20block_scan_algorithmE0ELj4294967295EEENS1_25partition_config_selectorILNS1_17partition_subalgoE3EjNS0_10empty_typeEbEEZZNS1_14partition_implILS8_3ELb0ES6_jNS0_17counting_iteratorIjlEEPS9_SE_NS0_5tupleIJPjSE_EEENSF_IJSE_SE_EEES9_SG_JZNS1_25segmented_radix_sort_implINS0_14default_configELb1EPKsPsPKlPlN2at6native12_GLOBAL__N_18offset_tEEE10hipError_tPvRmT1_PNSt15iterator_traitsISY_E10value_typeET2_T3_PNSZ_IS14_E10value_typeET4_jRbjT5_S1A_jjP12ihipStream_tbEUljE_EEESV_SW_SX_S14_S18_S1A_T6_T7_T9_mT8_S1C_bDpT10_ENKUlT_T0_E_clISt17integral_constantIbLb0EES1O_IbLb1EEEEDaS1K_S1L_EUlS1K_E_NS1_11comp_targetILNS1_3genE4ELNS1_11target_archE910ELNS1_3gpuE8ELNS1_3repE0EEENS1_30default_config_static_selectorELNS0_4arch9wavefront6targetE0EEEvSY_
; %bb.0:
	.section	.rodata,"a",@progbits
	.p2align	6, 0x0
	.amdhsa_kernel _ZN7rocprim17ROCPRIM_400000_NS6detail17trampoline_kernelINS0_13select_configILj256ELj13ELNS0_17block_load_methodE3ELS4_3ELS4_3ELNS0_20block_scan_algorithmE0ELj4294967295EEENS1_25partition_config_selectorILNS1_17partition_subalgoE3EjNS0_10empty_typeEbEEZZNS1_14partition_implILS8_3ELb0ES6_jNS0_17counting_iteratorIjlEEPS9_SE_NS0_5tupleIJPjSE_EEENSF_IJSE_SE_EEES9_SG_JZNS1_25segmented_radix_sort_implINS0_14default_configELb1EPKsPsPKlPlN2at6native12_GLOBAL__N_18offset_tEEE10hipError_tPvRmT1_PNSt15iterator_traitsISY_E10value_typeET2_T3_PNSZ_IS14_E10value_typeET4_jRbjT5_S1A_jjP12ihipStream_tbEUljE_EEESV_SW_SX_S14_S18_S1A_T6_T7_T9_mT8_S1C_bDpT10_ENKUlT_T0_E_clISt17integral_constantIbLb0EES1O_IbLb1EEEEDaS1K_S1L_EUlS1K_E_NS1_11comp_targetILNS1_3genE4ELNS1_11target_archE910ELNS1_3gpuE8ELNS1_3repE0EEENS1_30default_config_static_selectorELNS0_4arch9wavefront6targetE0EEEvSY_
		.amdhsa_group_segment_fixed_size 0
		.amdhsa_private_segment_fixed_size 0
		.amdhsa_kernarg_size 152
		.amdhsa_user_sgpr_count 2
		.amdhsa_user_sgpr_dispatch_ptr 0
		.amdhsa_user_sgpr_queue_ptr 0
		.amdhsa_user_sgpr_kernarg_segment_ptr 1
		.amdhsa_user_sgpr_dispatch_id 0
		.amdhsa_user_sgpr_kernarg_preload_length 0
		.amdhsa_user_sgpr_kernarg_preload_offset 0
		.amdhsa_user_sgpr_private_segment_size 0
		.amdhsa_wavefront_size32 1
		.amdhsa_uses_dynamic_stack 0
		.amdhsa_enable_private_segment 0
		.amdhsa_system_sgpr_workgroup_id_x 1
		.amdhsa_system_sgpr_workgroup_id_y 0
		.amdhsa_system_sgpr_workgroup_id_z 0
		.amdhsa_system_sgpr_workgroup_info 0
		.amdhsa_system_vgpr_workitem_id 0
		.amdhsa_next_free_vgpr 1
		.amdhsa_next_free_sgpr 1
		.amdhsa_named_barrier_count 0
		.amdhsa_reserve_vcc 0
		.amdhsa_float_round_mode_32 0
		.amdhsa_float_round_mode_16_64 0
		.amdhsa_float_denorm_mode_32 3
		.amdhsa_float_denorm_mode_16_64 3
		.amdhsa_fp16_overflow 0
		.amdhsa_memory_ordered 1
		.amdhsa_forward_progress 1
		.amdhsa_inst_pref_size 0
		.amdhsa_round_robin_scheduling 0
		.amdhsa_exception_fp_ieee_invalid_op 0
		.amdhsa_exception_fp_denorm_src 0
		.amdhsa_exception_fp_ieee_div_zero 0
		.amdhsa_exception_fp_ieee_overflow 0
		.amdhsa_exception_fp_ieee_underflow 0
		.amdhsa_exception_fp_ieee_inexact 0
		.amdhsa_exception_int_div_zero 0
	.end_amdhsa_kernel
	.section	.text._ZN7rocprim17ROCPRIM_400000_NS6detail17trampoline_kernelINS0_13select_configILj256ELj13ELNS0_17block_load_methodE3ELS4_3ELS4_3ELNS0_20block_scan_algorithmE0ELj4294967295EEENS1_25partition_config_selectorILNS1_17partition_subalgoE3EjNS0_10empty_typeEbEEZZNS1_14partition_implILS8_3ELb0ES6_jNS0_17counting_iteratorIjlEEPS9_SE_NS0_5tupleIJPjSE_EEENSF_IJSE_SE_EEES9_SG_JZNS1_25segmented_radix_sort_implINS0_14default_configELb1EPKsPsPKlPlN2at6native12_GLOBAL__N_18offset_tEEE10hipError_tPvRmT1_PNSt15iterator_traitsISY_E10value_typeET2_T3_PNSZ_IS14_E10value_typeET4_jRbjT5_S1A_jjP12ihipStream_tbEUljE_EEESV_SW_SX_S14_S18_S1A_T6_T7_T9_mT8_S1C_bDpT10_ENKUlT_T0_E_clISt17integral_constantIbLb0EES1O_IbLb1EEEEDaS1K_S1L_EUlS1K_E_NS1_11comp_targetILNS1_3genE4ELNS1_11target_archE910ELNS1_3gpuE8ELNS1_3repE0EEENS1_30default_config_static_selectorELNS0_4arch9wavefront6targetE0EEEvSY_,"axG",@progbits,_ZN7rocprim17ROCPRIM_400000_NS6detail17trampoline_kernelINS0_13select_configILj256ELj13ELNS0_17block_load_methodE3ELS4_3ELS4_3ELNS0_20block_scan_algorithmE0ELj4294967295EEENS1_25partition_config_selectorILNS1_17partition_subalgoE3EjNS0_10empty_typeEbEEZZNS1_14partition_implILS8_3ELb0ES6_jNS0_17counting_iteratorIjlEEPS9_SE_NS0_5tupleIJPjSE_EEENSF_IJSE_SE_EEES9_SG_JZNS1_25segmented_radix_sort_implINS0_14default_configELb1EPKsPsPKlPlN2at6native12_GLOBAL__N_18offset_tEEE10hipError_tPvRmT1_PNSt15iterator_traitsISY_E10value_typeET2_T3_PNSZ_IS14_E10value_typeET4_jRbjT5_S1A_jjP12ihipStream_tbEUljE_EEESV_SW_SX_S14_S18_S1A_T6_T7_T9_mT8_S1C_bDpT10_ENKUlT_T0_E_clISt17integral_constantIbLb0EES1O_IbLb1EEEEDaS1K_S1L_EUlS1K_E_NS1_11comp_targetILNS1_3genE4ELNS1_11target_archE910ELNS1_3gpuE8ELNS1_3repE0EEENS1_30default_config_static_selectorELNS0_4arch9wavefront6targetE0EEEvSY_,comdat
.Lfunc_end901:
	.size	_ZN7rocprim17ROCPRIM_400000_NS6detail17trampoline_kernelINS0_13select_configILj256ELj13ELNS0_17block_load_methodE3ELS4_3ELS4_3ELNS0_20block_scan_algorithmE0ELj4294967295EEENS1_25partition_config_selectorILNS1_17partition_subalgoE3EjNS0_10empty_typeEbEEZZNS1_14partition_implILS8_3ELb0ES6_jNS0_17counting_iteratorIjlEEPS9_SE_NS0_5tupleIJPjSE_EEENSF_IJSE_SE_EEES9_SG_JZNS1_25segmented_radix_sort_implINS0_14default_configELb1EPKsPsPKlPlN2at6native12_GLOBAL__N_18offset_tEEE10hipError_tPvRmT1_PNSt15iterator_traitsISY_E10value_typeET2_T3_PNSZ_IS14_E10value_typeET4_jRbjT5_S1A_jjP12ihipStream_tbEUljE_EEESV_SW_SX_S14_S18_S1A_T6_T7_T9_mT8_S1C_bDpT10_ENKUlT_T0_E_clISt17integral_constantIbLb0EES1O_IbLb1EEEEDaS1K_S1L_EUlS1K_E_NS1_11comp_targetILNS1_3genE4ELNS1_11target_archE910ELNS1_3gpuE8ELNS1_3repE0EEENS1_30default_config_static_selectorELNS0_4arch9wavefront6targetE0EEEvSY_, .Lfunc_end901-_ZN7rocprim17ROCPRIM_400000_NS6detail17trampoline_kernelINS0_13select_configILj256ELj13ELNS0_17block_load_methodE3ELS4_3ELS4_3ELNS0_20block_scan_algorithmE0ELj4294967295EEENS1_25partition_config_selectorILNS1_17partition_subalgoE3EjNS0_10empty_typeEbEEZZNS1_14partition_implILS8_3ELb0ES6_jNS0_17counting_iteratorIjlEEPS9_SE_NS0_5tupleIJPjSE_EEENSF_IJSE_SE_EEES9_SG_JZNS1_25segmented_radix_sort_implINS0_14default_configELb1EPKsPsPKlPlN2at6native12_GLOBAL__N_18offset_tEEE10hipError_tPvRmT1_PNSt15iterator_traitsISY_E10value_typeET2_T3_PNSZ_IS14_E10value_typeET4_jRbjT5_S1A_jjP12ihipStream_tbEUljE_EEESV_SW_SX_S14_S18_S1A_T6_T7_T9_mT8_S1C_bDpT10_ENKUlT_T0_E_clISt17integral_constantIbLb0EES1O_IbLb1EEEEDaS1K_S1L_EUlS1K_E_NS1_11comp_targetILNS1_3genE4ELNS1_11target_archE910ELNS1_3gpuE8ELNS1_3repE0EEENS1_30default_config_static_selectorELNS0_4arch9wavefront6targetE0EEEvSY_
                                        ; -- End function
	.set _ZN7rocprim17ROCPRIM_400000_NS6detail17trampoline_kernelINS0_13select_configILj256ELj13ELNS0_17block_load_methodE3ELS4_3ELS4_3ELNS0_20block_scan_algorithmE0ELj4294967295EEENS1_25partition_config_selectorILNS1_17partition_subalgoE3EjNS0_10empty_typeEbEEZZNS1_14partition_implILS8_3ELb0ES6_jNS0_17counting_iteratorIjlEEPS9_SE_NS0_5tupleIJPjSE_EEENSF_IJSE_SE_EEES9_SG_JZNS1_25segmented_radix_sort_implINS0_14default_configELb1EPKsPsPKlPlN2at6native12_GLOBAL__N_18offset_tEEE10hipError_tPvRmT1_PNSt15iterator_traitsISY_E10value_typeET2_T3_PNSZ_IS14_E10value_typeET4_jRbjT5_S1A_jjP12ihipStream_tbEUljE_EEESV_SW_SX_S14_S18_S1A_T6_T7_T9_mT8_S1C_bDpT10_ENKUlT_T0_E_clISt17integral_constantIbLb0EES1O_IbLb1EEEEDaS1K_S1L_EUlS1K_E_NS1_11comp_targetILNS1_3genE4ELNS1_11target_archE910ELNS1_3gpuE8ELNS1_3repE0EEENS1_30default_config_static_selectorELNS0_4arch9wavefront6targetE0EEEvSY_.num_vgpr, 0
	.set _ZN7rocprim17ROCPRIM_400000_NS6detail17trampoline_kernelINS0_13select_configILj256ELj13ELNS0_17block_load_methodE3ELS4_3ELS4_3ELNS0_20block_scan_algorithmE0ELj4294967295EEENS1_25partition_config_selectorILNS1_17partition_subalgoE3EjNS0_10empty_typeEbEEZZNS1_14partition_implILS8_3ELb0ES6_jNS0_17counting_iteratorIjlEEPS9_SE_NS0_5tupleIJPjSE_EEENSF_IJSE_SE_EEES9_SG_JZNS1_25segmented_radix_sort_implINS0_14default_configELb1EPKsPsPKlPlN2at6native12_GLOBAL__N_18offset_tEEE10hipError_tPvRmT1_PNSt15iterator_traitsISY_E10value_typeET2_T3_PNSZ_IS14_E10value_typeET4_jRbjT5_S1A_jjP12ihipStream_tbEUljE_EEESV_SW_SX_S14_S18_S1A_T6_T7_T9_mT8_S1C_bDpT10_ENKUlT_T0_E_clISt17integral_constantIbLb0EES1O_IbLb1EEEEDaS1K_S1L_EUlS1K_E_NS1_11comp_targetILNS1_3genE4ELNS1_11target_archE910ELNS1_3gpuE8ELNS1_3repE0EEENS1_30default_config_static_selectorELNS0_4arch9wavefront6targetE0EEEvSY_.num_agpr, 0
	.set _ZN7rocprim17ROCPRIM_400000_NS6detail17trampoline_kernelINS0_13select_configILj256ELj13ELNS0_17block_load_methodE3ELS4_3ELS4_3ELNS0_20block_scan_algorithmE0ELj4294967295EEENS1_25partition_config_selectorILNS1_17partition_subalgoE3EjNS0_10empty_typeEbEEZZNS1_14partition_implILS8_3ELb0ES6_jNS0_17counting_iteratorIjlEEPS9_SE_NS0_5tupleIJPjSE_EEENSF_IJSE_SE_EEES9_SG_JZNS1_25segmented_radix_sort_implINS0_14default_configELb1EPKsPsPKlPlN2at6native12_GLOBAL__N_18offset_tEEE10hipError_tPvRmT1_PNSt15iterator_traitsISY_E10value_typeET2_T3_PNSZ_IS14_E10value_typeET4_jRbjT5_S1A_jjP12ihipStream_tbEUljE_EEESV_SW_SX_S14_S18_S1A_T6_T7_T9_mT8_S1C_bDpT10_ENKUlT_T0_E_clISt17integral_constantIbLb0EES1O_IbLb1EEEEDaS1K_S1L_EUlS1K_E_NS1_11comp_targetILNS1_3genE4ELNS1_11target_archE910ELNS1_3gpuE8ELNS1_3repE0EEENS1_30default_config_static_selectorELNS0_4arch9wavefront6targetE0EEEvSY_.numbered_sgpr, 0
	.set _ZN7rocprim17ROCPRIM_400000_NS6detail17trampoline_kernelINS0_13select_configILj256ELj13ELNS0_17block_load_methodE3ELS4_3ELS4_3ELNS0_20block_scan_algorithmE0ELj4294967295EEENS1_25partition_config_selectorILNS1_17partition_subalgoE3EjNS0_10empty_typeEbEEZZNS1_14partition_implILS8_3ELb0ES6_jNS0_17counting_iteratorIjlEEPS9_SE_NS0_5tupleIJPjSE_EEENSF_IJSE_SE_EEES9_SG_JZNS1_25segmented_radix_sort_implINS0_14default_configELb1EPKsPsPKlPlN2at6native12_GLOBAL__N_18offset_tEEE10hipError_tPvRmT1_PNSt15iterator_traitsISY_E10value_typeET2_T3_PNSZ_IS14_E10value_typeET4_jRbjT5_S1A_jjP12ihipStream_tbEUljE_EEESV_SW_SX_S14_S18_S1A_T6_T7_T9_mT8_S1C_bDpT10_ENKUlT_T0_E_clISt17integral_constantIbLb0EES1O_IbLb1EEEEDaS1K_S1L_EUlS1K_E_NS1_11comp_targetILNS1_3genE4ELNS1_11target_archE910ELNS1_3gpuE8ELNS1_3repE0EEENS1_30default_config_static_selectorELNS0_4arch9wavefront6targetE0EEEvSY_.num_named_barrier, 0
	.set _ZN7rocprim17ROCPRIM_400000_NS6detail17trampoline_kernelINS0_13select_configILj256ELj13ELNS0_17block_load_methodE3ELS4_3ELS4_3ELNS0_20block_scan_algorithmE0ELj4294967295EEENS1_25partition_config_selectorILNS1_17partition_subalgoE3EjNS0_10empty_typeEbEEZZNS1_14partition_implILS8_3ELb0ES6_jNS0_17counting_iteratorIjlEEPS9_SE_NS0_5tupleIJPjSE_EEENSF_IJSE_SE_EEES9_SG_JZNS1_25segmented_radix_sort_implINS0_14default_configELb1EPKsPsPKlPlN2at6native12_GLOBAL__N_18offset_tEEE10hipError_tPvRmT1_PNSt15iterator_traitsISY_E10value_typeET2_T3_PNSZ_IS14_E10value_typeET4_jRbjT5_S1A_jjP12ihipStream_tbEUljE_EEESV_SW_SX_S14_S18_S1A_T6_T7_T9_mT8_S1C_bDpT10_ENKUlT_T0_E_clISt17integral_constantIbLb0EES1O_IbLb1EEEEDaS1K_S1L_EUlS1K_E_NS1_11comp_targetILNS1_3genE4ELNS1_11target_archE910ELNS1_3gpuE8ELNS1_3repE0EEENS1_30default_config_static_selectorELNS0_4arch9wavefront6targetE0EEEvSY_.private_seg_size, 0
	.set _ZN7rocprim17ROCPRIM_400000_NS6detail17trampoline_kernelINS0_13select_configILj256ELj13ELNS0_17block_load_methodE3ELS4_3ELS4_3ELNS0_20block_scan_algorithmE0ELj4294967295EEENS1_25partition_config_selectorILNS1_17partition_subalgoE3EjNS0_10empty_typeEbEEZZNS1_14partition_implILS8_3ELb0ES6_jNS0_17counting_iteratorIjlEEPS9_SE_NS0_5tupleIJPjSE_EEENSF_IJSE_SE_EEES9_SG_JZNS1_25segmented_radix_sort_implINS0_14default_configELb1EPKsPsPKlPlN2at6native12_GLOBAL__N_18offset_tEEE10hipError_tPvRmT1_PNSt15iterator_traitsISY_E10value_typeET2_T3_PNSZ_IS14_E10value_typeET4_jRbjT5_S1A_jjP12ihipStream_tbEUljE_EEESV_SW_SX_S14_S18_S1A_T6_T7_T9_mT8_S1C_bDpT10_ENKUlT_T0_E_clISt17integral_constantIbLb0EES1O_IbLb1EEEEDaS1K_S1L_EUlS1K_E_NS1_11comp_targetILNS1_3genE4ELNS1_11target_archE910ELNS1_3gpuE8ELNS1_3repE0EEENS1_30default_config_static_selectorELNS0_4arch9wavefront6targetE0EEEvSY_.uses_vcc, 0
	.set _ZN7rocprim17ROCPRIM_400000_NS6detail17trampoline_kernelINS0_13select_configILj256ELj13ELNS0_17block_load_methodE3ELS4_3ELS4_3ELNS0_20block_scan_algorithmE0ELj4294967295EEENS1_25partition_config_selectorILNS1_17partition_subalgoE3EjNS0_10empty_typeEbEEZZNS1_14partition_implILS8_3ELb0ES6_jNS0_17counting_iteratorIjlEEPS9_SE_NS0_5tupleIJPjSE_EEENSF_IJSE_SE_EEES9_SG_JZNS1_25segmented_radix_sort_implINS0_14default_configELb1EPKsPsPKlPlN2at6native12_GLOBAL__N_18offset_tEEE10hipError_tPvRmT1_PNSt15iterator_traitsISY_E10value_typeET2_T3_PNSZ_IS14_E10value_typeET4_jRbjT5_S1A_jjP12ihipStream_tbEUljE_EEESV_SW_SX_S14_S18_S1A_T6_T7_T9_mT8_S1C_bDpT10_ENKUlT_T0_E_clISt17integral_constantIbLb0EES1O_IbLb1EEEEDaS1K_S1L_EUlS1K_E_NS1_11comp_targetILNS1_3genE4ELNS1_11target_archE910ELNS1_3gpuE8ELNS1_3repE0EEENS1_30default_config_static_selectorELNS0_4arch9wavefront6targetE0EEEvSY_.uses_flat_scratch, 0
	.set _ZN7rocprim17ROCPRIM_400000_NS6detail17trampoline_kernelINS0_13select_configILj256ELj13ELNS0_17block_load_methodE3ELS4_3ELS4_3ELNS0_20block_scan_algorithmE0ELj4294967295EEENS1_25partition_config_selectorILNS1_17partition_subalgoE3EjNS0_10empty_typeEbEEZZNS1_14partition_implILS8_3ELb0ES6_jNS0_17counting_iteratorIjlEEPS9_SE_NS0_5tupleIJPjSE_EEENSF_IJSE_SE_EEES9_SG_JZNS1_25segmented_radix_sort_implINS0_14default_configELb1EPKsPsPKlPlN2at6native12_GLOBAL__N_18offset_tEEE10hipError_tPvRmT1_PNSt15iterator_traitsISY_E10value_typeET2_T3_PNSZ_IS14_E10value_typeET4_jRbjT5_S1A_jjP12ihipStream_tbEUljE_EEESV_SW_SX_S14_S18_S1A_T6_T7_T9_mT8_S1C_bDpT10_ENKUlT_T0_E_clISt17integral_constantIbLb0EES1O_IbLb1EEEEDaS1K_S1L_EUlS1K_E_NS1_11comp_targetILNS1_3genE4ELNS1_11target_archE910ELNS1_3gpuE8ELNS1_3repE0EEENS1_30default_config_static_selectorELNS0_4arch9wavefront6targetE0EEEvSY_.has_dyn_sized_stack, 0
	.set _ZN7rocprim17ROCPRIM_400000_NS6detail17trampoline_kernelINS0_13select_configILj256ELj13ELNS0_17block_load_methodE3ELS4_3ELS4_3ELNS0_20block_scan_algorithmE0ELj4294967295EEENS1_25partition_config_selectorILNS1_17partition_subalgoE3EjNS0_10empty_typeEbEEZZNS1_14partition_implILS8_3ELb0ES6_jNS0_17counting_iteratorIjlEEPS9_SE_NS0_5tupleIJPjSE_EEENSF_IJSE_SE_EEES9_SG_JZNS1_25segmented_radix_sort_implINS0_14default_configELb1EPKsPsPKlPlN2at6native12_GLOBAL__N_18offset_tEEE10hipError_tPvRmT1_PNSt15iterator_traitsISY_E10value_typeET2_T3_PNSZ_IS14_E10value_typeET4_jRbjT5_S1A_jjP12ihipStream_tbEUljE_EEESV_SW_SX_S14_S18_S1A_T6_T7_T9_mT8_S1C_bDpT10_ENKUlT_T0_E_clISt17integral_constantIbLb0EES1O_IbLb1EEEEDaS1K_S1L_EUlS1K_E_NS1_11comp_targetILNS1_3genE4ELNS1_11target_archE910ELNS1_3gpuE8ELNS1_3repE0EEENS1_30default_config_static_selectorELNS0_4arch9wavefront6targetE0EEEvSY_.has_recursion, 0
	.set _ZN7rocprim17ROCPRIM_400000_NS6detail17trampoline_kernelINS0_13select_configILj256ELj13ELNS0_17block_load_methodE3ELS4_3ELS4_3ELNS0_20block_scan_algorithmE0ELj4294967295EEENS1_25partition_config_selectorILNS1_17partition_subalgoE3EjNS0_10empty_typeEbEEZZNS1_14partition_implILS8_3ELb0ES6_jNS0_17counting_iteratorIjlEEPS9_SE_NS0_5tupleIJPjSE_EEENSF_IJSE_SE_EEES9_SG_JZNS1_25segmented_radix_sort_implINS0_14default_configELb1EPKsPsPKlPlN2at6native12_GLOBAL__N_18offset_tEEE10hipError_tPvRmT1_PNSt15iterator_traitsISY_E10value_typeET2_T3_PNSZ_IS14_E10value_typeET4_jRbjT5_S1A_jjP12ihipStream_tbEUljE_EEESV_SW_SX_S14_S18_S1A_T6_T7_T9_mT8_S1C_bDpT10_ENKUlT_T0_E_clISt17integral_constantIbLb0EES1O_IbLb1EEEEDaS1K_S1L_EUlS1K_E_NS1_11comp_targetILNS1_3genE4ELNS1_11target_archE910ELNS1_3gpuE8ELNS1_3repE0EEENS1_30default_config_static_selectorELNS0_4arch9wavefront6targetE0EEEvSY_.has_indirect_call, 0
	.section	.AMDGPU.csdata,"",@progbits
; Kernel info:
; codeLenInByte = 0
; TotalNumSgprs: 0
; NumVgprs: 0
; ScratchSize: 0
; MemoryBound: 0
; FloatMode: 240
; IeeeMode: 1
; LDSByteSize: 0 bytes/workgroup (compile time only)
; SGPRBlocks: 0
; VGPRBlocks: 0
; NumSGPRsForWavesPerEU: 1
; NumVGPRsForWavesPerEU: 1
; NamedBarCnt: 0
; Occupancy: 16
; WaveLimiterHint : 0
; COMPUTE_PGM_RSRC2:SCRATCH_EN: 0
; COMPUTE_PGM_RSRC2:USER_SGPR: 2
; COMPUTE_PGM_RSRC2:TRAP_HANDLER: 0
; COMPUTE_PGM_RSRC2:TGID_X_EN: 1
; COMPUTE_PGM_RSRC2:TGID_Y_EN: 0
; COMPUTE_PGM_RSRC2:TGID_Z_EN: 0
; COMPUTE_PGM_RSRC2:TIDIG_COMP_CNT: 0
	.section	.text._ZN7rocprim17ROCPRIM_400000_NS6detail17trampoline_kernelINS0_13select_configILj256ELj13ELNS0_17block_load_methodE3ELS4_3ELS4_3ELNS0_20block_scan_algorithmE0ELj4294967295EEENS1_25partition_config_selectorILNS1_17partition_subalgoE3EjNS0_10empty_typeEbEEZZNS1_14partition_implILS8_3ELb0ES6_jNS0_17counting_iteratorIjlEEPS9_SE_NS0_5tupleIJPjSE_EEENSF_IJSE_SE_EEES9_SG_JZNS1_25segmented_radix_sort_implINS0_14default_configELb1EPKsPsPKlPlN2at6native12_GLOBAL__N_18offset_tEEE10hipError_tPvRmT1_PNSt15iterator_traitsISY_E10value_typeET2_T3_PNSZ_IS14_E10value_typeET4_jRbjT5_S1A_jjP12ihipStream_tbEUljE_EEESV_SW_SX_S14_S18_S1A_T6_T7_T9_mT8_S1C_bDpT10_ENKUlT_T0_E_clISt17integral_constantIbLb0EES1O_IbLb1EEEEDaS1K_S1L_EUlS1K_E_NS1_11comp_targetILNS1_3genE3ELNS1_11target_archE908ELNS1_3gpuE7ELNS1_3repE0EEENS1_30default_config_static_selectorELNS0_4arch9wavefront6targetE0EEEvSY_,"axG",@progbits,_ZN7rocprim17ROCPRIM_400000_NS6detail17trampoline_kernelINS0_13select_configILj256ELj13ELNS0_17block_load_methodE3ELS4_3ELS4_3ELNS0_20block_scan_algorithmE0ELj4294967295EEENS1_25partition_config_selectorILNS1_17partition_subalgoE3EjNS0_10empty_typeEbEEZZNS1_14partition_implILS8_3ELb0ES6_jNS0_17counting_iteratorIjlEEPS9_SE_NS0_5tupleIJPjSE_EEENSF_IJSE_SE_EEES9_SG_JZNS1_25segmented_radix_sort_implINS0_14default_configELb1EPKsPsPKlPlN2at6native12_GLOBAL__N_18offset_tEEE10hipError_tPvRmT1_PNSt15iterator_traitsISY_E10value_typeET2_T3_PNSZ_IS14_E10value_typeET4_jRbjT5_S1A_jjP12ihipStream_tbEUljE_EEESV_SW_SX_S14_S18_S1A_T6_T7_T9_mT8_S1C_bDpT10_ENKUlT_T0_E_clISt17integral_constantIbLb0EES1O_IbLb1EEEEDaS1K_S1L_EUlS1K_E_NS1_11comp_targetILNS1_3genE3ELNS1_11target_archE908ELNS1_3gpuE7ELNS1_3repE0EEENS1_30default_config_static_selectorELNS0_4arch9wavefront6targetE0EEEvSY_,comdat
	.globl	_ZN7rocprim17ROCPRIM_400000_NS6detail17trampoline_kernelINS0_13select_configILj256ELj13ELNS0_17block_load_methodE3ELS4_3ELS4_3ELNS0_20block_scan_algorithmE0ELj4294967295EEENS1_25partition_config_selectorILNS1_17partition_subalgoE3EjNS0_10empty_typeEbEEZZNS1_14partition_implILS8_3ELb0ES6_jNS0_17counting_iteratorIjlEEPS9_SE_NS0_5tupleIJPjSE_EEENSF_IJSE_SE_EEES9_SG_JZNS1_25segmented_radix_sort_implINS0_14default_configELb1EPKsPsPKlPlN2at6native12_GLOBAL__N_18offset_tEEE10hipError_tPvRmT1_PNSt15iterator_traitsISY_E10value_typeET2_T3_PNSZ_IS14_E10value_typeET4_jRbjT5_S1A_jjP12ihipStream_tbEUljE_EEESV_SW_SX_S14_S18_S1A_T6_T7_T9_mT8_S1C_bDpT10_ENKUlT_T0_E_clISt17integral_constantIbLb0EES1O_IbLb1EEEEDaS1K_S1L_EUlS1K_E_NS1_11comp_targetILNS1_3genE3ELNS1_11target_archE908ELNS1_3gpuE7ELNS1_3repE0EEENS1_30default_config_static_selectorELNS0_4arch9wavefront6targetE0EEEvSY_ ; -- Begin function _ZN7rocprim17ROCPRIM_400000_NS6detail17trampoline_kernelINS0_13select_configILj256ELj13ELNS0_17block_load_methodE3ELS4_3ELS4_3ELNS0_20block_scan_algorithmE0ELj4294967295EEENS1_25partition_config_selectorILNS1_17partition_subalgoE3EjNS0_10empty_typeEbEEZZNS1_14partition_implILS8_3ELb0ES6_jNS0_17counting_iteratorIjlEEPS9_SE_NS0_5tupleIJPjSE_EEENSF_IJSE_SE_EEES9_SG_JZNS1_25segmented_radix_sort_implINS0_14default_configELb1EPKsPsPKlPlN2at6native12_GLOBAL__N_18offset_tEEE10hipError_tPvRmT1_PNSt15iterator_traitsISY_E10value_typeET2_T3_PNSZ_IS14_E10value_typeET4_jRbjT5_S1A_jjP12ihipStream_tbEUljE_EEESV_SW_SX_S14_S18_S1A_T6_T7_T9_mT8_S1C_bDpT10_ENKUlT_T0_E_clISt17integral_constantIbLb0EES1O_IbLb1EEEEDaS1K_S1L_EUlS1K_E_NS1_11comp_targetILNS1_3genE3ELNS1_11target_archE908ELNS1_3gpuE7ELNS1_3repE0EEENS1_30default_config_static_selectorELNS0_4arch9wavefront6targetE0EEEvSY_
	.p2align	8
	.type	_ZN7rocprim17ROCPRIM_400000_NS6detail17trampoline_kernelINS0_13select_configILj256ELj13ELNS0_17block_load_methodE3ELS4_3ELS4_3ELNS0_20block_scan_algorithmE0ELj4294967295EEENS1_25partition_config_selectorILNS1_17partition_subalgoE3EjNS0_10empty_typeEbEEZZNS1_14partition_implILS8_3ELb0ES6_jNS0_17counting_iteratorIjlEEPS9_SE_NS0_5tupleIJPjSE_EEENSF_IJSE_SE_EEES9_SG_JZNS1_25segmented_radix_sort_implINS0_14default_configELb1EPKsPsPKlPlN2at6native12_GLOBAL__N_18offset_tEEE10hipError_tPvRmT1_PNSt15iterator_traitsISY_E10value_typeET2_T3_PNSZ_IS14_E10value_typeET4_jRbjT5_S1A_jjP12ihipStream_tbEUljE_EEESV_SW_SX_S14_S18_S1A_T6_T7_T9_mT8_S1C_bDpT10_ENKUlT_T0_E_clISt17integral_constantIbLb0EES1O_IbLb1EEEEDaS1K_S1L_EUlS1K_E_NS1_11comp_targetILNS1_3genE3ELNS1_11target_archE908ELNS1_3gpuE7ELNS1_3repE0EEENS1_30default_config_static_selectorELNS0_4arch9wavefront6targetE0EEEvSY_,@function
_ZN7rocprim17ROCPRIM_400000_NS6detail17trampoline_kernelINS0_13select_configILj256ELj13ELNS0_17block_load_methodE3ELS4_3ELS4_3ELNS0_20block_scan_algorithmE0ELj4294967295EEENS1_25partition_config_selectorILNS1_17partition_subalgoE3EjNS0_10empty_typeEbEEZZNS1_14partition_implILS8_3ELb0ES6_jNS0_17counting_iteratorIjlEEPS9_SE_NS0_5tupleIJPjSE_EEENSF_IJSE_SE_EEES9_SG_JZNS1_25segmented_radix_sort_implINS0_14default_configELb1EPKsPsPKlPlN2at6native12_GLOBAL__N_18offset_tEEE10hipError_tPvRmT1_PNSt15iterator_traitsISY_E10value_typeET2_T3_PNSZ_IS14_E10value_typeET4_jRbjT5_S1A_jjP12ihipStream_tbEUljE_EEESV_SW_SX_S14_S18_S1A_T6_T7_T9_mT8_S1C_bDpT10_ENKUlT_T0_E_clISt17integral_constantIbLb0EES1O_IbLb1EEEEDaS1K_S1L_EUlS1K_E_NS1_11comp_targetILNS1_3genE3ELNS1_11target_archE908ELNS1_3gpuE7ELNS1_3repE0EEENS1_30default_config_static_selectorELNS0_4arch9wavefront6targetE0EEEvSY_: ; @_ZN7rocprim17ROCPRIM_400000_NS6detail17trampoline_kernelINS0_13select_configILj256ELj13ELNS0_17block_load_methodE3ELS4_3ELS4_3ELNS0_20block_scan_algorithmE0ELj4294967295EEENS1_25partition_config_selectorILNS1_17partition_subalgoE3EjNS0_10empty_typeEbEEZZNS1_14partition_implILS8_3ELb0ES6_jNS0_17counting_iteratorIjlEEPS9_SE_NS0_5tupleIJPjSE_EEENSF_IJSE_SE_EEES9_SG_JZNS1_25segmented_radix_sort_implINS0_14default_configELb1EPKsPsPKlPlN2at6native12_GLOBAL__N_18offset_tEEE10hipError_tPvRmT1_PNSt15iterator_traitsISY_E10value_typeET2_T3_PNSZ_IS14_E10value_typeET4_jRbjT5_S1A_jjP12ihipStream_tbEUljE_EEESV_SW_SX_S14_S18_S1A_T6_T7_T9_mT8_S1C_bDpT10_ENKUlT_T0_E_clISt17integral_constantIbLb0EES1O_IbLb1EEEEDaS1K_S1L_EUlS1K_E_NS1_11comp_targetILNS1_3genE3ELNS1_11target_archE908ELNS1_3gpuE7ELNS1_3repE0EEENS1_30default_config_static_selectorELNS0_4arch9wavefront6targetE0EEEvSY_
; %bb.0:
	.section	.rodata,"a",@progbits
	.p2align	6, 0x0
	.amdhsa_kernel _ZN7rocprim17ROCPRIM_400000_NS6detail17trampoline_kernelINS0_13select_configILj256ELj13ELNS0_17block_load_methodE3ELS4_3ELS4_3ELNS0_20block_scan_algorithmE0ELj4294967295EEENS1_25partition_config_selectorILNS1_17partition_subalgoE3EjNS0_10empty_typeEbEEZZNS1_14partition_implILS8_3ELb0ES6_jNS0_17counting_iteratorIjlEEPS9_SE_NS0_5tupleIJPjSE_EEENSF_IJSE_SE_EEES9_SG_JZNS1_25segmented_radix_sort_implINS0_14default_configELb1EPKsPsPKlPlN2at6native12_GLOBAL__N_18offset_tEEE10hipError_tPvRmT1_PNSt15iterator_traitsISY_E10value_typeET2_T3_PNSZ_IS14_E10value_typeET4_jRbjT5_S1A_jjP12ihipStream_tbEUljE_EEESV_SW_SX_S14_S18_S1A_T6_T7_T9_mT8_S1C_bDpT10_ENKUlT_T0_E_clISt17integral_constantIbLb0EES1O_IbLb1EEEEDaS1K_S1L_EUlS1K_E_NS1_11comp_targetILNS1_3genE3ELNS1_11target_archE908ELNS1_3gpuE7ELNS1_3repE0EEENS1_30default_config_static_selectorELNS0_4arch9wavefront6targetE0EEEvSY_
		.amdhsa_group_segment_fixed_size 0
		.amdhsa_private_segment_fixed_size 0
		.amdhsa_kernarg_size 152
		.amdhsa_user_sgpr_count 2
		.amdhsa_user_sgpr_dispatch_ptr 0
		.amdhsa_user_sgpr_queue_ptr 0
		.amdhsa_user_sgpr_kernarg_segment_ptr 1
		.amdhsa_user_sgpr_dispatch_id 0
		.amdhsa_user_sgpr_kernarg_preload_length 0
		.amdhsa_user_sgpr_kernarg_preload_offset 0
		.amdhsa_user_sgpr_private_segment_size 0
		.amdhsa_wavefront_size32 1
		.amdhsa_uses_dynamic_stack 0
		.amdhsa_enable_private_segment 0
		.amdhsa_system_sgpr_workgroup_id_x 1
		.amdhsa_system_sgpr_workgroup_id_y 0
		.amdhsa_system_sgpr_workgroup_id_z 0
		.amdhsa_system_sgpr_workgroup_info 0
		.amdhsa_system_vgpr_workitem_id 0
		.amdhsa_next_free_vgpr 1
		.amdhsa_next_free_sgpr 1
		.amdhsa_named_barrier_count 0
		.amdhsa_reserve_vcc 0
		.amdhsa_float_round_mode_32 0
		.amdhsa_float_round_mode_16_64 0
		.amdhsa_float_denorm_mode_32 3
		.amdhsa_float_denorm_mode_16_64 3
		.amdhsa_fp16_overflow 0
		.amdhsa_memory_ordered 1
		.amdhsa_forward_progress 1
		.amdhsa_inst_pref_size 0
		.amdhsa_round_robin_scheduling 0
		.amdhsa_exception_fp_ieee_invalid_op 0
		.amdhsa_exception_fp_denorm_src 0
		.amdhsa_exception_fp_ieee_div_zero 0
		.amdhsa_exception_fp_ieee_overflow 0
		.amdhsa_exception_fp_ieee_underflow 0
		.amdhsa_exception_fp_ieee_inexact 0
		.amdhsa_exception_int_div_zero 0
	.end_amdhsa_kernel
	.section	.text._ZN7rocprim17ROCPRIM_400000_NS6detail17trampoline_kernelINS0_13select_configILj256ELj13ELNS0_17block_load_methodE3ELS4_3ELS4_3ELNS0_20block_scan_algorithmE0ELj4294967295EEENS1_25partition_config_selectorILNS1_17partition_subalgoE3EjNS0_10empty_typeEbEEZZNS1_14partition_implILS8_3ELb0ES6_jNS0_17counting_iteratorIjlEEPS9_SE_NS0_5tupleIJPjSE_EEENSF_IJSE_SE_EEES9_SG_JZNS1_25segmented_radix_sort_implINS0_14default_configELb1EPKsPsPKlPlN2at6native12_GLOBAL__N_18offset_tEEE10hipError_tPvRmT1_PNSt15iterator_traitsISY_E10value_typeET2_T3_PNSZ_IS14_E10value_typeET4_jRbjT5_S1A_jjP12ihipStream_tbEUljE_EEESV_SW_SX_S14_S18_S1A_T6_T7_T9_mT8_S1C_bDpT10_ENKUlT_T0_E_clISt17integral_constantIbLb0EES1O_IbLb1EEEEDaS1K_S1L_EUlS1K_E_NS1_11comp_targetILNS1_3genE3ELNS1_11target_archE908ELNS1_3gpuE7ELNS1_3repE0EEENS1_30default_config_static_selectorELNS0_4arch9wavefront6targetE0EEEvSY_,"axG",@progbits,_ZN7rocprim17ROCPRIM_400000_NS6detail17trampoline_kernelINS0_13select_configILj256ELj13ELNS0_17block_load_methodE3ELS4_3ELS4_3ELNS0_20block_scan_algorithmE0ELj4294967295EEENS1_25partition_config_selectorILNS1_17partition_subalgoE3EjNS0_10empty_typeEbEEZZNS1_14partition_implILS8_3ELb0ES6_jNS0_17counting_iteratorIjlEEPS9_SE_NS0_5tupleIJPjSE_EEENSF_IJSE_SE_EEES9_SG_JZNS1_25segmented_radix_sort_implINS0_14default_configELb1EPKsPsPKlPlN2at6native12_GLOBAL__N_18offset_tEEE10hipError_tPvRmT1_PNSt15iterator_traitsISY_E10value_typeET2_T3_PNSZ_IS14_E10value_typeET4_jRbjT5_S1A_jjP12ihipStream_tbEUljE_EEESV_SW_SX_S14_S18_S1A_T6_T7_T9_mT8_S1C_bDpT10_ENKUlT_T0_E_clISt17integral_constantIbLb0EES1O_IbLb1EEEEDaS1K_S1L_EUlS1K_E_NS1_11comp_targetILNS1_3genE3ELNS1_11target_archE908ELNS1_3gpuE7ELNS1_3repE0EEENS1_30default_config_static_selectorELNS0_4arch9wavefront6targetE0EEEvSY_,comdat
.Lfunc_end902:
	.size	_ZN7rocprim17ROCPRIM_400000_NS6detail17trampoline_kernelINS0_13select_configILj256ELj13ELNS0_17block_load_methodE3ELS4_3ELS4_3ELNS0_20block_scan_algorithmE0ELj4294967295EEENS1_25partition_config_selectorILNS1_17partition_subalgoE3EjNS0_10empty_typeEbEEZZNS1_14partition_implILS8_3ELb0ES6_jNS0_17counting_iteratorIjlEEPS9_SE_NS0_5tupleIJPjSE_EEENSF_IJSE_SE_EEES9_SG_JZNS1_25segmented_radix_sort_implINS0_14default_configELb1EPKsPsPKlPlN2at6native12_GLOBAL__N_18offset_tEEE10hipError_tPvRmT1_PNSt15iterator_traitsISY_E10value_typeET2_T3_PNSZ_IS14_E10value_typeET4_jRbjT5_S1A_jjP12ihipStream_tbEUljE_EEESV_SW_SX_S14_S18_S1A_T6_T7_T9_mT8_S1C_bDpT10_ENKUlT_T0_E_clISt17integral_constantIbLb0EES1O_IbLb1EEEEDaS1K_S1L_EUlS1K_E_NS1_11comp_targetILNS1_3genE3ELNS1_11target_archE908ELNS1_3gpuE7ELNS1_3repE0EEENS1_30default_config_static_selectorELNS0_4arch9wavefront6targetE0EEEvSY_, .Lfunc_end902-_ZN7rocprim17ROCPRIM_400000_NS6detail17trampoline_kernelINS0_13select_configILj256ELj13ELNS0_17block_load_methodE3ELS4_3ELS4_3ELNS0_20block_scan_algorithmE0ELj4294967295EEENS1_25partition_config_selectorILNS1_17partition_subalgoE3EjNS0_10empty_typeEbEEZZNS1_14partition_implILS8_3ELb0ES6_jNS0_17counting_iteratorIjlEEPS9_SE_NS0_5tupleIJPjSE_EEENSF_IJSE_SE_EEES9_SG_JZNS1_25segmented_radix_sort_implINS0_14default_configELb1EPKsPsPKlPlN2at6native12_GLOBAL__N_18offset_tEEE10hipError_tPvRmT1_PNSt15iterator_traitsISY_E10value_typeET2_T3_PNSZ_IS14_E10value_typeET4_jRbjT5_S1A_jjP12ihipStream_tbEUljE_EEESV_SW_SX_S14_S18_S1A_T6_T7_T9_mT8_S1C_bDpT10_ENKUlT_T0_E_clISt17integral_constantIbLb0EES1O_IbLb1EEEEDaS1K_S1L_EUlS1K_E_NS1_11comp_targetILNS1_3genE3ELNS1_11target_archE908ELNS1_3gpuE7ELNS1_3repE0EEENS1_30default_config_static_selectorELNS0_4arch9wavefront6targetE0EEEvSY_
                                        ; -- End function
	.set _ZN7rocprim17ROCPRIM_400000_NS6detail17trampoline_kernelINS0_13select_configILj256ELj13ELNS0_17block_load_methodE3ELS4_3ELS4_3ELNS0_20block_scan_algorithmE0ELj4294967295EEENS1_25partition_config_selectorILNS1_17partition_subalgoE3EjNS0_10empty_typeEbEEZZNS1_14partition_implILS8_3ELb0ES6_jNS0_17counting_iteratorIjlEEPS9_SE_NS0_5tupleIJPjSE_EEENSF_IJSE_SE_EEES9_SG_JZNS1_25segmented_radix_sort_implINS0_14default_configELb1EPKsPsPKlPlN2at6native12_GLOBAL__N_18offset_tEEE10hipError_tPvRmT1_PNSt15iterator_traitsISY_E10value_typeET2_T3_PNSZ_IS14_E10value_typeET4_jRbjT5_S1A_jjP12ihipStream_tbEUljE_EEESV_SW_SX_S14_S18_S1A_T6_T7_T9_mT8_S1C_bDpT10_ENKUlT_T0_E_clISt17integral_constantIbLb0EES1O_IbLb1EEEEDaS1K_S1L_EUlS1K_E_NS1_11comp_targetILNS1_3genE3ELNS1_11target_archE908ELNS1_3gpuE7ELNS1_3repE0EEENS1_30default_config_static_selectorELNS0_4arch9wavefront6targetE0EEEvSY_.num_vgpr, 0
	.set _ZN7rocprim17ROCPRIM_400000_NS6detail17trampoline_kernelINS0_13select_configILj256ELj13ELNS0_17block_load_methodE3ELS4_3ELS4_3ELNS0_20block_scan_algorithmE0ELj4294967295EEENS1_25partition_config_selectorILNS1_17partition_subalgoE3EjNS0_10empty_typeEbEEZZNS1_14partition_implILS8_3ELb0ES6_jNS0_17counting_iteratorIjlEEPS9_SE_NS0_5tupleIJPjSE_EEENSF_IJSE_SE_EEES9_SG_JZNS1_25segmented_radix_sort_implINS0_14default_configELb1EPKsPsPKlPlN2at6native12_GLOBAL__N_18offset_tEEE10hipError_tPvRmT1_PNSt15iterator_traitsISY_E10value_typeET2_T3_PNSZ_IS14_E10value_typeET4_jRbjT5_S1A_jjP12ihipStream_tbEUljE_EEESV_SW_SX_S14_S18_S1A_T6_T7_T9_mT8_S1C_bDpT10_ENKUlT_T0_E_clISt17integral_constantIbLb0EES1O_IbLb1EEEEDaS1K_S1L_EUlS1K_E_NS1_11comp_targetILNS1_3genE3ELNS1_11target_archE908ELNS1_3gpuE7ELNS1_3repE0EEENS1_30default_config_static_selectorELNS0_4arch9wavefront6targetE0EEEvSY_.num_agpr, 0
	.set _ZN7rocprim17ROCPRIM_400000_NS6detail17trampoline_kernelINS0_13select_configILj256ELj13ELNS0_17block_load_methodE3ELS4_3ELS4_3ELNS0_20block_scan_algorithmE0ELj4294967295EEENS1_25partition_config_selectorILNS1_17partition_subalgoE3EjNS0_10empty_typeEbEEZZNS1_14partition_implILS8_3ELb0ES6_jNS0_17counting_iteratorIjlEEPS9_SE_NS0_5tupleIJPjSE_EEENSF_IJSE_SE_EEES9_SG_JZNS1_25segmented_radix_sort_implINS0_14default_configELb1EPKsPsPKlPlN2at6native12_GLOBAL__N_18offset_tEEE10hipError_tPvRmT1_PNSt15iterator_traitsISY_E10value_typeET2_T3_PNSZ_IS14_E10value_typeET4_jRbjT5_S1A_jjP12ihipStream_tbEUljE_EEESV_SW_SX_S14_S18_S1A_T6_T7_T9_mT8_S1C_bDpT10_ENKUlT_T0_E_clISt17integral_constantIbLb0EES1O_IbLb1EEEEDaS1K_S1L_EUlS1K_E_NS1_11comp_targetILNS1_3genE3ELNS1_11target_archE908ELNS1_3gpuE7ELNS1_3repE0EEENS1_30default_config_static_selectorELNS0_4arch9wavefront6targetE0EEEvSY_.numbered_sgpr, 0
	.set _ZN7rocprim17ROCPRIM_400000_NS6detail17trampoline_kernelINS0_13select_configILj256ELj13ELNS0_17block_load_methodE3ELS4_3ELS4_3ELNS0_20block_scan_algorithmE0ELj4294967295EEENS1_25partition_config_selectorILNS1_17partition_subalgoE3EjNS0_10empty_typeEbEEZZNS1_14partition_implILS8_3ELb0ES6_jNS0_17counting_iteratorIjlEEPS9_SE_NS0_5tupleIJPjSE_EEENSF_IJSE_SE_EEES9_SG_JZNS1_25segmented_radix_sort_implINS0_14default_configELb1EPKsPsPKlPlN2at6native12_GLOBAL__N_18offset_tEEE10hipError_tPvRmT1_PNSt15iterator_traitsISY_E10value_typeET2_T3_PNSZ_IS14_E10value_typeET4_jRbjT5_S1A_jjP12ihipStream_tbEUljE_EEESV_SW_SX_S14_S18_S1A_T6_T7_T9_mT8_S1C_bDpT10_ENKUlT_T0_E_clISt17integral_constantIbLb0EES1O_IbLb1EEEEDaS1K_S1L_EUlS1K_E_NS1_11comp_targetILNS1_3genE3ELNS1_11target_archE908ELNS1_3gpuE7ELNS1_3repE0EEENS1_30default_config_static_selectorELNS0_4arch9wavefront6targetE0EEEvSY_.num_named_barrier, 0
	.set _ZN7rocprim17ROCPRIM_400000_NS6detail17trampoline_kernelINS0_13select_configILj256ELj13ELNS0_17block_load_methodE3ELS4_3ELS4_3ELNS0_20block_scan_algorithmE0ELj4294967295EEENS1_25partition_config_selectorILNS1_17partition_subalgoE3EjNS0_10empty_typeEbEEZZNS1_14partition_implILS8_3ELb0ES6_jNS0_17counting_iteratorIjlEEPS9_SE_NS0_5tupleIJPjSE_EEENSF_IJSE_SE_EEES9_SG_JZNS1_25segmented_radix_sort_implINS0_14default_configELb1EPKsPsPKlPlN2at6native12_GLOBAL__N_18offset_tEEE10hipError_tPvRmT1_PNSt15iterator_traitsISY_E10value_typeET2_T3_PNSZ_IS14_E10value_typeET4_jRbjT5_S1A_jjP12ihipStream_tbEUljE_EEESV_SW_SX_S14_S18_S1A_T6_T7_T9_mT8_S1C_bDpT10_ENKUlT_T0_E_clISt17integral_constantIbLb0EES1O_IbLb1EEEEDaS1K_S1L_EUlS1K_E_NS1_11comp_targetILNS1_3genE3ELNS1_11target_archE908ELNS1_3gpuE7ELNS1_3repE0EEENS1_30default_config_static_selectorELNS0_4arch9wavefront6targetE0EEEvSY_.private_seg_size, 0
	.set _ZN7rocprim17ROCPRIM_400000_NS6detail17trampoline_kernelINS0_13select_configILj256ELj13ELNS0_17block_load_methodE3ELS4_3ELS4_3ELNS0_20block_scan_algorithmE0ELj4294967295EEENS1_25partition_config_selectorILNS1_17partition_subalgoE3EjNS0_10empty_typeEbEEZZNS1_14partition_implILS8_3ELb0ES6_jNS0_17counting_iteratorIjlEEPS9_SE_NS0_5tupleIJPjSE_EEENSF_IJSE_SE_EEES9_SG_JZNS1_25segmented_radix_sort_implINS0_14default_configELb1EPKsPsPKlPlN2at6native12_GLOBAL__N_18offset_tEEE10hipError_tPvRmT1_PNSt15iterator_traitsISY_E10value_typeET2_T3_PNSZ_IS14_E10value_typeET4_jRbjT5_S1A_jjP12ihipStream_tbEUljE_EEESV_SW_SX_S14_S18_S1A_T6_T7_T9_mT8_S1C_bDpT10_ENKUlT_T0_E_clISt17integral_constantIbLb0EES1O_IbLb1EEEEDaS1K_S1L_EUlS1K_E_NS1_11comp_targetILNS1_3genE3ELNS1_11target_archE908ELNS1_3gpuE7ELNS1_3repE0EEENS1_30default_config_static_selectorELNS0_4arch9wavefront6targetE0EEEvSY_.uses_vcc, 0
	.set _ZN7rocprim17ROCPRIM_400000_NS6detail17trampoline_kernelINS0_13select_configILj256ELj13ELNS0_17block_load_methodE3ELS4_3ELS4_3ELNS0_20block_scan_algorithmE0ELj4294967295EEENS1_25partition_config_selectorILNS1_17partition_subalgoE3EjNS0_10empty_typeEbEEZZNS1_14partition_implILS8_3ELb0ES6_jNS0_17counting_iteratorIjlEEPS9_SE_NS0_5tupleIJPjSE_EEENSF_IJSE_SE_EEES9_SG_JZNS1_25segmented_radix_sort_implINS0_14default_configELb1EPKsPsPKlPlN2at6native12_GLOBAL__N_18offset_tEEE10hipError_tPvRmT1_PNSt15iterator_traitsISY_E10value_typeET2_T3_PNSZ_IS14_E10value_typeET4_jRbjT5_S1A_jjP12ihipStream_tbEUljE_EEESV_SW_SX_S14_S18_S1A_T6_T7_T9_mT8_S1C_bDpT10_ENKUlT_T0_E_clISt17integral_constantIbLb0EES1O_IbLb1EEEEDaS1K_S1L_EUlS1K_E_NS1_11comp_targetILNS1_3genE3ELNS1_11target_archE908ELNS1_3gpuE7ELNS1_3repE0EEENS1_30default_config_static_selectorELNS0_4arch9wavefront6targetE0EEEvSY_.uses_flat_scratch, 0
	.set _ZN7rocprim17ROCPRIM_400000_NS6detail17trampoline_kernelINS0_13select_configILj256ELj13ELNS0_17block_load_methodE3ELS4_3ELS4_3ELNS0_20block_scan_algorithmE0ELj4294967295EEENS1_25partition_config_selectorILNS1_17partition_subalgoE3EjNS0_10empty_typeEbEEZZNS1_14partition_implILS8_3ELb0ES6_jNS0_17counting_iteratorIjlEEPS9_SE_NS0_5tupleIJPjSE_EEENSF_IJSE_SE_EEES9_SG_JZNS1_25segmented_radix_sort_implINS0_14default_configELb1EPKsPsPKlPlN2at6native12_GLOBAL__N_18offset_tEEE10hipError_tPvRmT1_PNSt15iterator_traitsISY_E10value_typeET2_T3_PNSZ_IS14_E10value_typeET4_jRbjT5_S1A_jjP12ihipStream_tbEUljE_EEESV_SW_SX_S14_S18_S1A_T6_T7_T9_mT8_S1C_bDpT10_ENKUlT_T0_E_clISt17integral_constantIbLb0EES1O_IbLb1EEEEDaS1K_S1L_EUlS1K_E_NS1_11comp_targetILNS1_3genE3ELNS1_11target_archE908ELNS1_3gpuE7ELNS1_3repE0EEENS1_30default_config_static_selectorELNS0_4arch9wavefront6targetE0EEEvSY_.has_dyn_sized_stack, 0
	.set _ZN7rocprim17ROCPRIM_400000_NS6detail17trampoline_kernelINS0_13select_configILj256ELj13ELNS0_17block_load_methodE3ELS4_3ELS4_3ELNS0_20block_scan_algorithmE0ELj4294967295EEENS1_25partition_config_selectorILNS1_17partition_subalgoE3EjNS0_10empty_typeEbEEZZNS1_14partition_implILS8_3ELb0ES6_jNS0_17counting_iteratorIjlEEPS9_SE_NS0_5tupleIJPjSE_EEENSF_IJSE_SE_EEES9_SG_JZNS1_25segmented_radix_sort_implINS0_14default_configELb1EPKsPsPKlPlN2at6native12_GLOBAL__N_18offset_tEEE10hipError_tPvRmT1_PNSt15iterator_traitsISY_E10value_typeET2_T3_PNSZ_IS14_E10value_typeET4_jRbjT5_S1A_jjP12ihipStream_tbEUljE_EEESV_SW_SX_S14_S18_S1A_T6_T7_T9_mT8_S1C_bDpT10_ENKUlT_T0_E_clISt17integral_constantIbLb0EES1O_IbLb1EEEEDaS1K_S1L_EUlS1K_E_NS1_11comp_targetILNS1_3genE3ELNS1_11target_archE908ELNS1_3gpuE7ELNS1_3repE0EEENS1_30default_config_static_selectorELNS0_4arch9wavefront6targetE0EEEvSY_.has_recursion, 0
	.set _ZN7rocprim17ROCPRIM_400000_NS6detail17trampoline_kernelINS0_13select_configILj256ELj13ELNS0_17block_load_methodE3ELS4_3ELS4_3ELNS0_20block_scan_algorithmE0ELj4294967295EEENS1_25partition_config_selectorILNS1_17partition_subalgoE3EjNS0_10empty_typeEbEEZZNS1_14partition_implILS8_3ELb0ES6_jNS0_17counting_iteratorIjlEEPS9_SE_NS0_5tupleIJPjSE_EEENSF_IJSE_SE_EEES9_SG_JZNS1_25segmented_radix_sort_implINS0_14default_configELb1EPKsPsPKlPlN2at6native12_GLOBAL__N_18offset_tEEE10hipError_tPvRmT1_PNSt15iterator_traitsISY_E10value_typeET2_T3_PNSZ_IS14_E10value_typeET4_jRbjT5_S1A_jjP12ihipStream_tbEUljE_EEESV_SW_SX_S14_S18_S1A_T6_T7_T9_mT8_S1C_bDpT10_ENKUlT_T0_E_clISt17integral_constantIbLb0EES1O_IbLb1EEEEDaS1K_S1L_EUlS1K_E_NS1_11comp_targetILNS1_3genE3ELNS1_11target_archE908ELNS1_3gpuE7ELNS1_3repE0EEENS1_30default_config_static_selectorELNS0_4arch9wavefront6targetE0EEEvSY_.has_indirect_call, 0
	.section	.AMDGPU.csdata,"",@progbits
; Kernel info:
; codeLenInByte = 0
; TotalNumSgprs: 0
; NumVgprs: 0
; ScratchSize: 0
; MemoryBound: 0
; FloatMode: 240
; IeeeMode: 1
; LDSByteSize: 0 bytes/workgroup (compile time only)
; SGPRBlocks: 0
; VGPRBlocks: 0
; NumSGPRsForWavesPerEU: 1
; NumVGPRsForWavesPerEU: 1
; NamedBarCnt: 0
; Occupancy: 16
; WaveLimiterHint : 0
; COMPUTE_PGM_RSRC2:SCRATCH_EN: 0
; COMPUTE_PGM_RSRC2:USER_SGPR: 2
; COMPUTE_PGM_RSRC2:TRAP_HANDLER: 0
; COMPUTE_PGM_RSRC2:TGID_X_EN: 1
; COMPUTE_PGM_RSRC2:TGID_Y_EN: 0
; COMPUTE_PGM_RSRC2:TGID_Z_EN: 0
; COMPUTE_PGM_RSRC2:TIDIG_COMP_CNT: 0
	.section	.text._ZN7rocprim17ROCPRIM_400000_NS6detail17trampoline_kernelINS0_13select_configILj256ELj13ELNS0_17block_load_methodE3ELS4_3ELS4_3ELNS0_20block_scan_algorithmE0ELj4294967295EEENS1_25partition_config_selectorILNS1_17partition_subalgoE3EjNS0_10empty_typeEbEEZZNS1_14partition_implILS8_3ELb0ES6_jNS0_17counting_iteratorIjlEEPS9_SE_NS0_5tupleIJPjSE_EEENSF_IJSE_SE_EEES9_SG_JZNS1_25segmented_radix_sort_implINS0_14default_configELb1EPKsPsPKlPlN2at6native12_GLOBAL__N_18offset_tEEE10hipError_tPvRmT1_PNSt15iterator_traitsISY_E10value_typeET2_T3_PNSZ_IS14_E10value_typeET4_jRbjT5_S1A_jjP12ihipStream_tbEUljE_EEESV_SW_SX_S14_S18_S1A_T6_T7_T9_mT8_S1C_bDpT10_ENKUlT_T0_E_clISt17integral_constantIbLb0EES1O_IbLb1EEEEDaS1K_S1L_EUlS1K_E_NS1_11comp_targetILNS1_3genE2ELNS1_11target_archE906ELNS1_3gpuE6ELNS1_3repE0EEENS1_30default_config_static_selectorELNS0_4arch9wavefront6targetE0EEEvSY_,"axG",@progbits,_ZN7rocprim17ROCPRIM_400000_NS6detail17trampoline_kernelINS0_13select_configILj256ELj13ELNS0_17block_load_methodE3ELS4_3ELS4_3ELNS0_20block_scan_algorithmE0ELj4294967295EEENS1_25partition_config_selectorILNS1_17partition_subalgoE3EjNS0_10empty_typeEbEEZZNS1_14partition_implILS8_3ELb0ES6_jNS0_17counting_iteratorIjlEEPS9_SE_NS0_5tupleIJPjSE_EEENSF_IJSE_SE_EEES9_SG_JZNS1_25segmented_radix_sort_implINS0_14default_configELb1EPKsPsPKlPlN2at6native12_GLOBAL__N_18offset_tEEE10hipError_tPvRmT1_PNSt15iterator_traitsISY_E10value_typeET2_T3_PNSZ_IS14_E10value_typeET4_jRbjT5_S1A_jjP12ihipStream_tbEUljE_EEESV_SW_SX_S14_S18_S1A_T6_T7_T9_mT8_S1C_bDpT10_ENKUlT_T0_E_clISt17integral_constantIbLb0EES1O_IbLb1EEEEDaS1K_S1L_EUlS1K_E_NS1_11comp_targetILNS1_3genE2ELNS1_11target_archE906ELNS1_3gpuE6ELNS1_3repE0EEENS1_30default_config_static_selectorELNS0_4arch9wavefront6targetE0EEEvSY_,comdat
	.globl	_ZN7rocprim17ROCPRIM_400000_NS6detail17trampoline_kernelINS0_13select_configILj256ELj13ELNS0_17block_load_methodE3ELS4_3ELS4_3ELNS0_20block_scan_algorithmE0ELj4294967295EEENS1_25partition_config_selectorILNS1_17partition_subalgoE3EjNS0_10empty_typeEbEEZZNS1_14partition_implILS8_3ELb0ES6_jNS0_17counting_iteratorIjlEEPS9_SE_NS0_5tupleIJPjSE_EEENSF_IJSE_SE_EEES9_SG_JZNS1_25segmented_radix_sort_implINS0_14default_configELb1EPKsPsPKlPlN2at6native12_GLOBAL__N_18offset_tEEE10hipError_tPvRmT1_PNSt15iterator_traitsISY_E10value_typeET2_T3_PNSZ_IS14_E10value_typeET4_jRbjT5_S1A_jjP12ihipStream_tbEUljE_EEESV_SW_SX_S14_S18_S1A_T6_T7_T9_mT8_S1C_bDpT10_ENKUlT_T0_E_clISt17integral_constantIbLb0EES1O_IbLb1EEEEDaS1K_S1L_EUlS1K_E_NS1_11comp_targetILNS1_3genE2ELNS1_11target_archE906ELNS1_3gpuE6ELNS1_3repE0EEENS1_30default_config_static_selectorELNS0_4arch9wavefront6targetE0EEEvSY_ ; -- Begin function _ZN7rocprim17ROCPRIM_400000_NS6detail17trampoline_kernelINS0_13select_configILj256ELj13ELNS0_17block_load_methodE3ELS4_3ELS4_3ELNS0_20block_scan_algorithmE0ELj4294967295EEENS1_25partition_config_selectorILNS1_17partition_subalgoE3EjNS0_10empty_typeEbEEZZNS1_14partition_implILS8_3ELb0ES6_jNS0_17counting_iteratorIjlEEPS9_SE_NS0_5tupleIJPjSE_EEENSF_IJSE_SE_EEES9_SG_JZNS1_25segmented_radix_sort_implINS0_14default_configELb1EPKsPsPKlPlN2at6native12_GLOBAL__N_18offset_tEEE10hipError_tPvRmT1_PNSt15iterator_traitsISY_E10value_typeET2_T3_PNSZ_IS14_E10value_typeET4_jRbjT5_S1A_jjP12ihipStream_tbEUljE_EEESV_SW_SX_S14_S18_S1A_T6_T7_T9_mT8_S1C_bDpT10_ENKUlT_T0_E_clISt17integral_constantIbLb0EES1O_IbLb1EEEEDaS1K_S1L_EUlS1K_E_NS1_11comp_targetILNS1_3genE2ELNS1_11target_archE906ELNS1_3gpuE6ELNS1_3repE0EEENS1_30default_config_static_selectorELNS0_4arch9wavefront6targetE0EEEvSY_
	.p2align	8
	.type	_ZN7rocprim17ROCPRIM_400000_NS6detail17trampoline_kernelINS0_13select_configILj256ELj13ELNS0_17block_load_methodE3ELS4_3ELS4_3ELNS0_20block_scan_algorithmE0ELj4294967295EEENS1_25partition_config_selectorILNS1_17partition_subalgoE3EjNS0_10empty_typeEbEEZZNS1_14partition_implILS8_3ELb0ES6_jNS0_17counting_iteratorIjlEEPS9_SE_NS0_5tupleIJPjSE_EEENSF_IJSE_SE_EEES9_SG_JZNS1_25segmented_radix_sort_implINS0_14default_configELb1EPKsPsPKlPlN2at6native12_GLOBAL__N_18offset_tEEE10hipError_tPvRmT1_PNSt15iterator_traitsISY_E10value_typeET2_T3_PNSZ_IS14_E10value_typeET4_jRbjT5_S1A_jjP12ihipStream_tbEUljE_EEESV_SW_SX_S14_S18_S1A_T6_T7_T9_mT8_S1C_bDpT10_ENKUlT_T0_E_clISt17integral_constantIbLb0EES1O_IbLb1EEEEDaS1K_S1L_EUlS1K_E_NS1_11comp_targetILNS1_3genE2ELNS1_11target_archE906ELNS1_3gpuE6ELNS1_3repE0EEENS1_30default_config_static_selectorELNS0_4arch9wavefront6targetE0EEEvSY_,@function
_ZN7rocprim17ROCPRIM_400000_NS6detail17trampoline_kernelINS0_13select_configILj256ELj13ELNS0_17block_load_methodE3ELS4_3ELS4_3ELNS0_20block_scan_algorithmE0ELj4294967295EEENS1_25partition_config_selectorILNS1_17partition_subalgoE3EjNS0_10empty_typeEbEEZZNS1_14partition_implILS8_3ELb0ES6_jNS0_17counting_iteratorIjlEEPS9_SE_NS0_5tupleIJPjSE_EEENSF_IJSE_SE_EEES9_SG_JZNS1_25segmented_radix_sort_implINS0_14default_configELb1EPKsPsPKlPlN2at6native12_GLOBAL__N_18offset_tEEE10hipError_tPvRmT1_PNSt15iterator_traitsISY_E10value_typeET2_T3_PNSZ_IS14_E10value_typeET4_jRbjT5_S1A_jjP12ihipStream_tbEUljE_EEESV_SW_SX_S14_S18_S1A_T6_T7_T9_mT8_S1C_bDpT10_ENKUlT_T0_E_clISt17integral_constantIbLb0EES1O_IbLb1EEEEDaS1K_S1L_EUlS1K_E_NS1_11comp_targetILNS1_3genE2ELNS1_11target_archE906ELNS1_3gpuE6ELNS1_3repE0EEENS1_30default_config_static_selectorELNS0_4arch9wavefront6targetE0EEEvSY_: ; @_ZN7rocprim17ROCPRIM_400000_NS6detail17trampoline_kernelINS0_13select_configILj256ELj13ELNS0_17block_load_methodE3ELS4_3ELS4_3ELNS0_20block_scan_algorithmE0ELj4294967295EEENS1_25partition_config_selectorILNS1_17partition_subalgoE3EjNS0_10empty_typeEbEEZZNS1_14partition_implILS8_3ELb0ES6_jNS0_17counting_iteratorIjlEEPS9_SE_NS0_5tupleIJPjSE_EEENSF_IJSE_SE_EEES9_SG_JZNS1_25segmented_radix_sort_implINS0_14default_configELb1EPKsPsPKlPlN2at6native12_GLOBAL__N_18offset_tEEE10hipError_tPvRmT1_PNSt15iterator_traitsISY_E10value_typeET2_T3_PNSZ_IS14_E10value_typeET4_jRbjT5_S1A_jjP12ihipStream_tbEUljE_EEESV_SW_SX_S14_S18_S1A_T6_T7_T9_mT8_S1C_bDpT10_ENKUlT_T0_E_clISt17integral_constantIbLb0EES1O_IbLb1EEEEDaS1K_S1L_EUlS1K_E_NS1_11comp_targetILNS1_3genE2ELNS1_11target_archE906ELNS1_3gpuE6ELNS1_3repE0EEENS1_30default_config_static_selectorELNS0_4arch9wavefront6targetE0EEEvSY_
; %bb.0:
	.section	.rodata,"a",@progbits
	.p2align	6, 0x0
	.amdhsa_kernel _ZN7rocprim17ROCPRIM_400000_NS6detail17trampoline_kernelINS0_13select_configILj256ELj13ELNS0_17block_load_methodE3ELS4_3ELS4_3ELNS0_20block_scan_algorithmE0ELj4294967295EEENS1_25partition_config_selectorILNS1_17partition_subalgoE3EjNS0_10empty_typeEbEEZZNS1_14partition_implILS8_3ELb0ES6_jNS0_17counting_iteratorIjlEEPS9_SE_NS0_5tupleIJPjSE_EEENSF_IJSE_SE_EEES9_SG_JZNS1_25segmented_radix_sort_implINS0_14default_configELb1EPKsPsPKlPlN2at6native12_GLOBAL__N_18offset_tEEE10hipError_tPvRmT1_PNSt15iterator_traitsISY_E10value_typeET2_T3_PNSZ_IS14_E10value_typeET4_jRbjT5_S1A_jjP12ihipStream_tbEUljE_EEESV_SW_SX_S14_S18_S1A_T6_T7_T9_mT8_S1C_bDpT10_ENKUlT_T0_E_clISt17integral_constantIbLb0EES1O_IbLb1EEEEDaS1K_S1L_EUlS1K_E_NS1_11comp_targetILNS1_3genE2ELNS1_11target_archE906ELNS1_3gpuE6ELNS1_3repE0EEENS1_30default_config_static_selectorELNS0_4arch9wavefront6targetE0EEEvSY_
		.amdhsa_group_segment_fixed_size 0
		.amdhsa_private_segment_fixed_size 0
		.amdhsa_kernarg_size 152
		.amdhsa_user_sgpr_count 2
		.amdhsa_user_sgpr_dispatch_ptr 0
		.amdhsa_user_sgpr_queue_ptr 0
		.amdhsa_user_sgpr_kernarg_segment_ptr 1
		.amdhsa_user_sgpr_dispatch_id 0
		.amdhsa_user_sgpr_kernarg_preload_length 0
		.amdhsa_user_sgpr_kernarg_preload_offset 0
		.amdhsa_user_sgpr_private_segment_size 0
		.amdhsa_wavefront_size32 1
		.amdhsa_uses_dynamic_stack 0
		.amdhsa_enable_private_segment 0
		.amdhsa_system_sgpr_workgroup_id_x 1
		.amdhsa_system_sgpr_workgroup_id_y 0
		.amdhsa_system_sgpr_workgroup_id_z 0
		.amdhsa_system_sgpr_workgroup_info 0
		.amdhsa_system_vgpr_workitem_id 0
		.amdhsa_next_free_vgpr 1
		.amdhsa_next_free_sgpr 1
		.amdhsa_named_barrier_count 0
		.amdhsa_reserve_vcc 0
		.amdhsa_float_round_mode_32 0
		.amdhsa_float_round_mode_16_64 0
		.amdhsa_float_denorm_mode_32 3
		.amdhsa_float_denorm_mode_16_64 3
		.amdhsa_fp16_overflow 0
		.amdhsa_memory_ordered 1
		.amdhsa_forward_progress 1
		.amdhsa_inst_pref_size 0
		.amdhsa_round_robin_scheduling 0
		.amdhsa_exception_fp_ieee_invalid_op 0
		.amdhsa_exception_fp_denorm_src 0
		.amdhsa_exception_fp_ieee_div_zero 0
		.amdhsa_exception_fp_ieee_overflow 0
		.amdhsa_exception_fp_ieee_underflow 0
		.amdhsa_exception_fp_ieee_inexact 0
		.amdhsa_exception_int_div_zero 0
	.end_amdhsa_kernel
	.section	.text._ZN7rocprim17ROCPRIM_400000_NS6detail17trampoline_kernelINS0_13select_configILj256ELj13ELNS0_17block_load_methodE3ELS4_3ELS4_3ELNS0_20block_scan_algorithmE0ELj4294967295EEENS1_25partition_config_selectorILNS1_17partition_subalgoE3EjNS0_10empty_typeEbEEZZNS1_14partition_implILS8_3ELb0ES6_jNS0_17counting_iteratorIjlEEPS9_SE_NS0_5tupleIJPjSE_EEENSF_IJSE_SE_EEES9_SG_JZNS1_25segmented_radix_sort_implINS0_14default_configELb1EPKsPsPKlPlN2at6native12_GLOBAL__N_18offset_tEEE10hipError_tPvRmT1_PNSt15iterator_traitsISY_E10value_typeET2_T3_PNSZ_IS14_E10value_typeET4_jRbjT5_S1A_jjP12ihipStream_tbEUljE_EEESV_SW_SX_S14_S18_S1A_T6_T7_T9_mT8_S1C_bDpT10_ENKUlT_T0_E_clISt17integral_constantIbLb0EES1O_IbLb1EEEEDaS1K_S1L_EUlS1K_E_NS1_11comp_targetILNS1_3genE2ELNS1_11target_archE906ELNS1_3gpuE6ELNS1_3repE0EEENS1_30default_config_static_selectorELNS0_4arch9wavefront6targetE0EEEvSY_,"axG",@progbits,_ZN7rocprim17ROCPRIM_400000_NS6detail17trampoline_kernelINS0_13select_configILj256ELj13ELNS0_17block_load_methodE3ELS4_3ELS4_3ELNS0_20block_scan_algorithmE0ELj4294967295EEENS1_25partition_config_selectorILNS1_17partition_subalgoE3EjNS0_10empty_typeEbEEZZNS1_14partition_implILS8_3ELb0ES6_jNS0_17counting_iteratorIjlEEPS9_SE_NS0_5tupleIJPjSE_EEENSF_IJSE_SE_EEES9_SG_JZNS1_25segmented_radix_sort_implINS0_14default_configELb1EPKsPsPKlPlN2at6native12_GLOBAL__N_18offset_tEEE10hipError_tPvRmT1_PNSt15iterator_traitsISY_E10value_typeET2_T3_PNSZ_IS14_E10value_typeET4_jRbjT5_S1A_jjP12ihipStream_tbEUljE_EEESV_SW_SX_S14_S18_S1A_T6_T7_T9_mT8_S1C_bDpT10_ENKUlT_T0_E_clISt17integral_constantIbLb0EES1O_IbLb1EEEEDaS1K_S1L_EUlS1K_E_NS1_11comp_targetILNS1_3genE2ELNS1_11target_archE906ELNS1_3gpuE6ELNS1_3repE0EEENS1_30default_config_static_selectorELNS0_4arch9wavefront6targetE0EEEvSY_,comdat
.Lfunc_end903:
	.size	_ZN7rocprim17ROCPRIM_400000_NS6detail17trampoline_kernelINS0_13select_configILj256ELj13ELNS0_17block_load_methodE3ELS4_3ELS4_3ELNS0_20block_scan_algorithmE0ELj4294967295EEENS1_25partition_config_selectorILNS1_17partition_subalgoE3EjNS0_10empty_typeEbEEZZNS1_14partition_implILS8_3ELb0ES6_jNS0_17counting_iteratorIjlEEPS9_SE_NS0_5tupleIJPjSE_EEENSF_IJSE_SE_EEES9_SG_JZNS1_25segmented_radix_sort_implINS0_14default_configELb1EPKsPsPKlPlN2at6native12_GLOBAL__N_18offset_tEEE10hipError_tPvRmT1_PNSt15iterator_traitsISY_E10value_typeET2_T3_PNSZ_IS14_E10value_typeET4_jRbjT5_S1A_jjP12ihipStream_tbEUljE_EEESV_SW_SX_S14_S18_S1A_T6_T7_T9_mT8_S1C_bDpT10_ENKUlT_T0_E_clISt17integral_constantIbLb0EES1O_IbLb1EEEEDaS1K_S1L_EUlS1K_E_NS1_11comp_targetILNS1_3genE2ELNS1_11target_archE906ELNS1_3gpuE6ELNS1_3repE0EEENS1_30default_config_static_selectorELNS0_4arch9wavefront6targetE0EEEvSY_, .Lfunc_end903-_ZN7rocprim17ROCPRIM_400000_NS6detail17trampoline_kernelINS0_13select_configILj256ELj13ELNS0_17block_load_methodE3ELS4_3ELS4_3ELNS0_20block_scan_algorithmE0ELj4294967295EEENS1_25partition_config_selectorILNS1_17partition_subalgoE3EjNS0_10empty_typeEbEEZZNS1_14partition_implILS8_3ELb0ES6_jNS0_17counting_iteratorIjlEEPS9_SE_NS0_5tupleIJPjSE_EEENSF_IJSE_SE_EEES9_SG_JZNS1_25segmented_radix_sort_implINS0_14default_configELb1EPKsPsPKlPlN2at6native12_GLOBAL__N_18offset_tEEE10hipError_tPvRmT1_PNSt15iterator_traitsISY_E10value_typeET2_T3_PNSZ_IS14_E10value_typeET4_jRbjT5_S1A_jjP12ihipStream_tbEUljE_EEESV_SW_SX_S14_S18_S1A_T6_T7_T9_mT8_S1C_bDpT10_ENKUlT_T0_E_clISt17integral_constantIbLb0EES1O_IbLb1EEEEDaS1K_S1L_EUlS1K_E_NS1_11comp_targetILNS1_3genE2ELNS1_11target_archE906ELNS1_3gpuE6ELNS1_3repE0EEENS1_30default_config_static_selectorELNS0_4arch9wavefront6targetE0EEEvSY_
                                        ; -- End function
	.set _ZN7rocprim17ROCPRIM_400000_NS6detail17trampoline_kernelINS0_13select_configILj256ELj13ELNS0_17block_load_methodE3ELS4_3ELS4_3ELNS0_20block_scan_algorithmE0ELj4294967295EEENS1_25partition_config_selectorILNS1_17partition_subalgoE3EjNS0_10empty_typeEbEEZZNS1_14partition_implILS8_3ELb0ES6_jNS0_17counting_iteratorIjlEEPS9_SE_NS0_5tupleIJPjSE_EEENSF_IJSE_SE_EEES9_SG_JZNS1_25segmented_radix_sort_implINS0_14default_configELb1EPKsPsPKlPlN2at6native12_GLOBAL__N_18offset_tEEE10hipError_tPvRmT1_PNSt15iterator_traitsISY_E10value_typeET2_T3_PNSZ_IS14_E10value_typeET4_jRbjT5_S1A_jjP12ihipStream_tbEUljE_EEESV_SW_SX_S14_S18_S1A_T6_T7_T9_mT8_S1C_bDpT10_ENKUlT_T0_E_clISt17integral_constantIbLb0EES1O_IbLb1EEEEDaS1K_S1L_EUlS1K_E_NS1_11comp_targetILNS1_3genE2ELNS1_11target_archE906ELNS1_3gpuE6ELNS1_3repE0EEENS1_30default_config_static_selectorELNS0_4arch9wavefront6targetE0EEEvSY_.num_vgpr, 0
	.set _ZN7rocprim17ROCPRIM_400000_NS6detail17trampoline_kernelINS0_13select_configILj256ELj13ELNS0_17block_load_methodE3ELS4_3ELS4_3ELNS0_20block_scan_algorithmE0ELj4294967295EEENS1_25partition_config_selectorILNS1_17partition_subalgoE3EjNS0_10empty_typeEbEEZZNS1_14partition_implILS8_3ELb0ES6_jNS0_17counting_iteratorIjlEEPS9_SE_NS0_5tupleIJPjSE_EEENSF_IJSE_SE_EEES9_SG_JZNS1_25segmented_radix_sort_implINS0_14default_configELb1EPKsPsPKlPlN2at6native12_GLOBAL__N_18offset_tEEE10hipError_tPvRmT1_PNSt15iterator_traitsISY_E10value_typeET2_T3_PNSZ_IS14_E10value_typeET4_jRbjT5_S1A_jjP12ihipStream_tbEUljE_EEESV_SW_SX_S14_S18_S1A_T6_T7_T9_mT8_S1C_bDpT10_ENKUlT_T0_E_clISt17integral_constantIbLb0EES1O_IbLb1EEEEDaS1K_S1L_EUlS1K_E_NS1_11comp_targetILNS1_3genE2ELNS1_11target_archE906ELNS1_3gpuE6ELNS1_3repE0EEENS1_30default_config_static_selectorELNS0_4arch9wavefront6targetE0EEEvSY_.num_agpr, 0
	.set _ZN7rocprim17ROCPRIM_400000_NS6detail17trampoline_kernelINS0_13select_configILj256ELj13ELNS0_17block_load_methodE3ELS4_3ELS4_3ELNS0_20block_scan_algorithmE0ELj4294967295EEENS1_25partition_config_selectorILNS1_17partition_subalgoE3EjNS0_10empty_typeEbEEZZNS1_14partition_implILS8_3ELb0ES6_jNS0_17counting_iteratorIjlEEPS9_SE_NS0_5tupleIJPjSE_EEENSF_IJSE_SE_EEES9_SG_JZNS1_25segmented_radix_sort_implINS0_14default_configELb1EPKsPsPKlPlN2at6native12_GLOBAL__N_18offset_tEEE10hipError_tPvRmT1_PNSt15iterator_traitsISY_E10value_typeET2_T3_PNSZ_IS14_E10value_typeET4_jRbjT5_S1A_jjP12ihipStream_tbEUljE_EEESV_SW_SX_S14_S18_S1A_T6_T7_T9_mT8_S1C_bDpT10_ENKUlT_T0_E_clISt17integral_constantIbLb0EES1O_IbLb1EEEEDaS1K_S1L_EUlS1K_E_NS1_11comp_targetILNS1_3genE2ELNS1_11target_archE906ELNS1_3gpuE6ELNS1_3repE0EEENS1_30default_config_static_selectorELNS0_4arch9wavefront6targetE0EEEvSY_.numbered_sgpr, 0
	.set _ZN7rocprim17ROCPRIM_400000_NS6detail17trampoline_kernelINS0_13select_configILj256ELj13ELNS0_17block_load_methodE3ELS4_3ELS4_3ELNS0_20block_scan_algorithmE0ELj4294967295EEENS1_25partition_config_selectorILNS1_17partition_subalgoE3EjNS0_10empty_typeEbEEZZNS1_14partition_implILS8_3ELb0ES6_jNS0_17counting_iteratorIjlEEPS9_SE_NS0_5tupleIJPjSE_EEENSF_IJSE_SE_EEES9_SG_JZNS1_25segmented_radix_sort_implINS0_14default_configELb1EPKsPsPKlPlN2at6native12_GLOBAL__N_18offset_tEEE10hipError_tPvRmT1_PNSt15iterator_traitsISY_E10value_typeET2_T3_PNSZ_IS14_E10value_typeET4_jRbjT5_S1A_jjP12ihipStream_tbEUljE_EEESV_SW_SX_S14_S18_S1A_T6_T7_T9_mT8_S1C_bDpT10_ENKUlT_T0_E_clISt17integral_constantIbLb0EES1O_IbLb1EEEEDaS1K_S1L_EUlS1K_E_NS1_11comp_targetILNS1_3genE2ELNS1_11target_archE906ELNS1_3gpuE6ELNS1_3repE0EEENS1_30default_config_static_selectorELNS0_4arch9wavefront6targetE0EEEvSY_.num_named_barrier, 0
	.set _ZN7rocprim17ROCPRIM_400000_NS6detail17trampoline_kernelINS0_13select_configILj256ELj13ELNS0_17block_load_methodE3ELS4_3ELS4_3ELNS0_20block_scan_algorithmE0ELj4294967295EEENS1_25partition_config_selectorILNS1_17partition_subalgoE3EjNS0_10empty_typeEbEEZZNS1_14partition_implILS8_3ELb0ES6_jNS0_17counting_iteratorIjlEEPS9_SE_NS0_5tupleIJPjSE_EEENSF_IJSE_SE_EEES9_SG_JZNS1_25segmented_radix_sort_implINS0_14default_configELb1EPKsPsPKlPlN2at6native12_GLOBAL__N_18offset_tEEE10hipError_tPvRmT1_PNSt15iterator_traitsISY_E10value_typeET2_T3_PNSZ_IS14_E10value_typeET4_jRbjT5_S1A_jjP12ihipStream_tbEUljE_EEESV_SW_SX_S14_S18_S1A_T6_T7_T9_mT8_S1C_bDpT10_ENKUlT_T0_E_clISt17integral_constantIbLb0EES1O_IbLb1EEEEDaS1K_S1L_EUlS1K_E_NS1_11comp_targetILNS1_3genE2ELNS1_11target_archE906ELNS1_3gpuE6ELNS1_3repE0EEENS1_30default_config_static_selectorELNS0_4arch9wavefront6targetE0EEEvSY_.private_seg_size, 0
	.set _ZN7rocprim17ROCPRIM_400000_NS6detail17trampoline_kernelINS0_13select_configILj256ELj13ELNS0_17block_load_methodE3ELS4_3ELS4_3ELNS0_20block_scan_algorithmE0ELj4294967295EEENS1_25partition_config_selectorILNS1_17partition_subalgoE3EjNS0_10empty_typeEbEEZZNS1_14partition_implILS8_3ELb0ES6_jNS0_17counting_iteratorIjlEEPS9_SE_NS0_5tupleIJPjSE_EEENSF_IJSE_SE_EEES9_SG_JZNS1_25segmented_radix_sort_implINS0_14default_configELb1EPKsPsPKlPlN2at6native12_GLOBAL__N_18offset_tEEE10hipError_tPvRmT1_PNSt15iterator_traitsISY_E10value_typeET2_T3_PNSZ_IS14_E10value_typeET4_jRbjT5_S1A_jjP12ihipStream_tbEUljE_EEESV_SW_SX_S14_S18_S1A_T6_T7_T9_mT8_S1C_bDpT10_ENKUlT_T0_E_clISt17integral_constantIbLb0EES1O_IbLb1EEEEDaS1K_S1L_EUlS1K_E_NS1_11comp_targetILNS1_3genE2ELNS1_11target_archE906ELNS1_3gpuE6ELNS1_3repE0EEENS1_30default_config_static_selectorELNS0_4arch9wavefront6targetE0EEEvSY_.uses_vcc, 0
	.set _ZN7rocprim17ROCPRIM_400000_NS6detail17trampoline_kernelINS0_13select_configILj256ELj13ELNS0_17block_load_methodE3ELS4_3ELS4_3ELNS0_20block_scan_algorithmE0ELj4294967295EEENS1_25partition_config_selectorILNS1_17partition_subalgoE3EjNS0_10empty_typeEbEEZZNS1_14partition_implILS8_3ELb0ES6_jNS0_17counting_iteratorIjlEEPS9_SE_NS0_5tupleIJPjSE_EEENSF_IJSE_SE_EEES9_SG_JZNS1_25segmented_radix_sort_implINS0_14default_configELb1EPKsPsPKlPlN2at6native12_GLOBAL__N_18offset_tEEE10hipError_tPvRmT1_PNSt15iterator_traitsISY_E10value_typeET2_T3_PNSZ_IS14_E10value_typeET4_jRbjT5_S1A_jjP12ihipStream_tbEUljE_EEESV_SW_SX_S14_S18_S1A_T6_T7_T9_mT8_S1C_bDpT10_ENKUlT_T0_E_clISt17integral_constantIbLb0EES1O_IbLb1EEEEDaS1K_S1L_EUlS1K_E_NS1_11comp_targetILNS1_3genE2ELNS1_11target_archE906ELNS1_3gpuE6ELNS1_3repE0EEENS1_30default_config_static_selectorELNS0_4arch9wavefront6targetE0EEEvSY_.uses_flat_scratch, 0
	.set _ZN7rocprim17ROCPRIM_400000_NS6detail17trampoline_kernelINS0_13select_configILj256ELj13ELNS0_17block_load_methodE3ELS4_3ELS4_3ELNS0_20block_scan_algorithmE0ELj4294967295EEENS1_25partition_config_selectorILNS1_17partition_subalgoE3EjNS0_10empty_typeEbEEZZNS1_14partition_implILS8_3ELb0ES6_jNS0_17counting_iteratorIjlEEPS9_SE_NS0_5tupleIJPjSE_EEENSF_IJSE_SE_EEES9_SG_JZNS1_25segmented_radix_sort_implINS0_14default_configELb1EPKsPsPKlPlN2at6native12_GLOBAL__N_18offset_tEEE10hipError_tPvRmT1_PNSt15iterator_traitsISY_E10value_typeET2_T3_PNSZ_IS14_E10value_typeET4_jRbjT5_S1A_jjP12ihipStream_tbEUljE_EEESV_SW_SX_S14_S18_S1A_T6_T7_T9_mT8_S1C_bDpT10_ENKUlT_T0_E_clISt17integral_constantIbLb0EES1O_IbLb1EEEEDaS1K_S1L_EUlS1K_E_NS1_11comp_targetILNS1_3genE2ELNS1_11target_archE906ELNS1_3gpuE6ELNS1_3repE0EEENS1_30default_config_static_selectorELNS0_4arch9wavefront6targetE0EEEvSY_.has_dyn_sized_stack, 0
	.set _ZN7rocprim17ROCPRIM_400000_NS6detail17trampoline_kernelINS0_13select_configILj256ELj13ELNS0_17block_load_methodE3ELS4_3ELS4_3ELNS0_20block_scan_algorithmE0ELj4294967295EEENS1_25partition_config_selectorILNS1_17partition_subalgoE3EjNS0_10empty_typeEbEEZZNS1_14partition_implILS8_3ELb0ES6_jNS0_17counting_iteratorIjlEEPS9_SE_NS0_5tupleIJPjSE_EEENSF_IJSE_SE_EEES9_SG_JZNS1_25segmented_radix_sort_implINS0_14default_configELb1EPKsPsPKlPlN2at6native12_GLOBAL__N_18offset_tEEE10hipError_tPvRmT1_PNSt15iterator_traitsISY_E10value_typeET2_T3_PNSZ_IS14_E10value_typeET4_jRbjT5_S1A_jjP12ihipStream_tbEUljE_EEESV_SW_SX_S14_S18_S1A_T6_T7_T9_mT8_S1C_bDpT10_ENKUlT_T0_E_clISt17integral_constantIbLb0EES1O_IbLb1EEEEDaS1K_S1L_EUlS1K_E_NS1_11comp_targetILNS1_3genE2ELNS1_11target_archE906ELNS1_3gpuE6ELNS1_3repE0EEENS1_30default_config_static_selectorELNS0_4arch9wavefront6targetE0EEEvSY_.has_recursion, 0
	.set _ZN7rocprim17ROCPRIM_400000_NS6detail17trampoline_kernelINS0_13select_configILj256ELj13ELNS0_17block_load_methodE3ELS4_3ELS4_3ELNS0_20block_scan_algorithmE0ELj4294967295EEENS1_25partition_config_selectorILNS1_17partition_subalgoE3EjNS0_10empty_typeEbEEZZNS1_14partition_implILS8_3ELb0ES6_jNS0_17counting_iteratorIjlEEPS9_SE_NS0_5tupleIJPjSE_EEENSF_IJSE_SE_EEES9_SG_JZNS1_25segmented_radix_sort_implINS0_14default_configELb1EPKsPsPKlPlN2at6native12_GLOBAL__N_18offset_tEEE10hipError_tPvRmT1_PNSt15iterator_traitsISY_E10value_typeET2_T3_PNSZ_IS14_E10value_typeET4_jRbjT5_S1A_jjP12ihipStream_tbEUljE_EEESV_SW_SX_S14_S18_S1A_T6_T7_T9_mT8_S1C_bDpT10_ENKUlT_T0_E_clISt17integral_constantIbLb0EES1O_IbLb1EEEEDaS1K_S1L_EUlS1K_E_NS1_11comp_targetILNS1_3genE2ELNS1_11target_archE906ELNS1_3gpuE6ELNS1_3repE0EEENS1_30default_config_static_selectorELNS0_4arch9wavefront6targetE0EEEvSY_.has_indirect_call, 0
	.section	.AMDGPU.csdata,"",@progbits
; Kernel info:
; codeLenInByte = 0
; TotalNumSgprs: 0
; NumVgprs: 0
; ScratchSize: 0
; MemoryBound: 0
; FloatMode: 240
; IeeeMode: 1
; LDSByteSize: 0 bytes/workgroup (compile time only)
; SGPRBlocks: 0
; VGPRBlocks: 0
; NumSGPRsForWavesPerEU: 1
; NumVGPRsForWavesPerEU: 1
; NamedBarCnt: 0
; Occupancy: 16
; WaveLimiterHint : 0
; COMPUTE_PGM_RSRC2:SCRATCH_EN: 0
; COMPUTE_PGM_RSRC2:USER_SGPR: 2
; COMPUTE_PGM_RSRC2:TRAP_HANDLER: 0
; COMPUTE_PGM_RSRC2:TGID_X_EN: 1
; COMPUTE_PGM_RSRC2:TGID_Y_EN: 0
; COMPUTE_PGM_RSRC2:TGID_Z_EN: 0
; COMPUTE_PGM_RSRC2:TIDIG_COMP_CNT: 0
	.section	.text._ZN7rocprim17ROCPRIM_400000_NS6detail17trampoline_kernelINS0_13select_configILj256ELj13ELNS0_17block_load_methodE3ELS4_3ELS4_3ELNS0_20block_scan_algorithmE0ELj4294967295EEENS1_25partition_config_selectorILNS1_17partition_subalgoE3EjNS0_10empty_typeEbEEZZNS1_14partition_implILS8_3ELb0ES6_jNS0_17counting_iteratorIjlEEPS9_SE_NS0_5tupleIJPjSE_EEENSF_IJSE_SE_EEES9_SG_JZNS1_25segmented_radix_sort_implINS0_14default_configELb1EPKsPsPKlPlN2at6native12_GLOBAL__N_18offset_tEEE10hipError_tPvRmT1_PNSt15iterator_traitsISY_E10value_typeET2_T3_PNSZ_IS14_E10value_typeET4_jRbjT5_S1A_jjP12ihipStream_tbEUljE_EEESV_SW_SX_S14_S18_S1A_T6_T7_T9_mT8_S1C_bDpT10_ENKUlT_T0_E_clISt17integral_constantIbLb0EES1O_IbLb1EEEEDaS1K_S1L_EUlS1K_E_NS1_11comp_targetILNS1_3genE10ELNS1_11target_archE1200ELNS1_3gpuE4ELNS1_3repE0EEENS1_30default_config_static_selectorELNS0_4arch9wavefront6targetE0EEEvSY_,"axG",@progbits,_ZN7rocprim17ROCPRIM_400000_NS6detail17trampoline_kernelINS0_13select_configILj256ELj13ELNS0_17block_load_methodE3ELS4_3ELS4_3ELNS0_20block_scan_algorithmE0ELj4294967295EEENS1_25partition_config_selectorILNS1_17partition_subalgoE3EjNS0_10empty_typeEbEEZZNS1_14partition_implILS8_3ELb0ES6_jNS0_17counting_iteratorIjlEEPS9_SE_NS0_5tupleIJPjSE_EEENSF_IJSE_SE_EEES9_SG_JZNS1_25segmented_radix_sort_implINS0_14default_configELb1EPKsPsPKlPlN2at6native12_GLOBAL__N_18offset_tEEE10hipError_tPvRmT1_PNSt15iterator_traitsISY_E10value_typeET2_T3_PNSZ_IS14_E10value_typeET4_jRbjT5_S1A_jjP12ihipStream_tbEUljE_EEESV_SW_SX_S14_S18_S1A_T6_T7_T9_mT8_S1C_bDpT10_ENKUlT_T0_E_clISt17integral_constantIbLb0EES1O_IbLb1EEEEDaS1K_S1L_EUlS1K_E_NS1_11comp_targetILNS1_3genE10ELNS1_11target_archE1200ELNS1_3gpuE4ELNS1_3repE0EEENS1_30default_config_static_selectorELNS0_4arch9wavefront6targetE0EEEvSY_,comdat
	.globl	_ZN7rocprim17ROCPRIM_400000_NS6detail17trampoline_kernelINS0_13select_configILj256ELj13ELNS0_17block_load_methodE3ELS4_3ELS4_3ELNS0_20block_scan_algorithmE0ELj4294967295EEENS1_25partition_config_selectorILNS1_17partition_subalgoE3EjNS0_10empty_typeEbEEZZNS1_14partition_implILS8_3ELb0ES6_jNS0_17counting_iteratorIjlEEPS9_SE_NS0_5tupleIJPjSE_EEENSF_IJSE_SE_EEES9_SG_JZNS1_25segmented_radix_sort_implINS0_14default_configELb1EPKsPsPKlPlN2at6native12_GLOBAL__N_18offset_tEEE10hipError_tPvRmT1_PNSt15iterator_traitsISY_E10value_typeET2_T3_PNSZ_IS14_E10value_typeET4_jRbjT5_S1A_jjP12ihipStream_tbEUljE_EEESV_SW_SX_S14_S18_S1A_T6_T7_T9_mT8_S1C_bDpT10_ENKUlT_T0_E_clISt17integral_constantIbLb0EES1O_IbLb1EEEEDaS1K_S1L_EUlS1K_E_NS1_11comp_targetILNS1_3genE10ELNS1_11target_archE1200ELNS1_3gpuE4ELNS1_3repE0EEENS1_30default_config_static_selectorELNS0_4arch9wavefront6targetE0EEEvSY_ ; -- Begin function _ZN7rocprim17ROCPRIM_400000_NS6detail17trampoline_kernelINS0_13select_configILj256ELj13ELNS0_17block_load_methodE3ELS4_3ELS4_3ELNS0_20block_scan_algorithmE0ELj4294967295EEENS1_25partition_config_selectorILNS1_17partition_subalgoE3EjNS0_10empty_typeEbEEZZNS1_14partition_implILS8_3ELb0ES6_jNS0_17counting_iteratorIjlEEPS9_SE_NS0_5tupleIJPjSE_EEENSF_IJSE_SE_EEES9_SG_JZNS1_25segmented_radix_sort_implINS0_14default_configELb1EPKsPsPKlPlN2at6native12_GLOBAL__N_18offset_tEEE10hipError_tPvRmT1_PNSt15iterator_traitsISY_E10value_typeET2_T3_PNSZ_IS14_E10value_typeET4_jRbjT5_S1A_jjP12ihipStream_tbEUljE_EEESV_SW_SX_S14_S18_S1A_T6_T7_T9_mT8_S1C_bDpT10_ENKUlT_T0_E_clISt17integral_constantIbLb0EES1O_IbLb1EEEEDaS1K_S1L_EUlS1K_E_NS1_11comp_targetILNS1_3genE10ELNS1_11target_archE1200ELNS1_3gpuE4ELNS1_3repE0EEENS1_30default_config_static_selectorELNS0_4arch9wavefront6targetE0EEEvSY_
	.p2align	8
	.type	_ZN7rocprim17ROCPRIM_400000_NS6detail17trampoline_kernelINS0_13select_configILj256ELj13ELNS0_17block_load_methodE3ELS4_3ELS4_3ELNS0_20block_scan_algorithmE0ELj4294967295EEENS1_25partition_config_selectorILNS1_17partition_subalgoE3EjNS0_10empty_typeEbEEZZNS1_14partition_implILS8_3ELb0ES6_jNS0_17counting_iteratorIjlEEPS9_SE_NS0_5tupleIJPjSE_EEENSF_IJSE_SE_EEES9_SG_JZNS1_25segmented_radix_sort_implINS0_14default_configELb1EPKsPsPKlPlN2at6native12_GLOBAL__N_18offset_tEEE10hipError_tPvRmT1_PNSt15iterator_traitsISY_E10value_typeET2_T3_PNSZ_IS14_E10value_typeET4_jRbjT5_S1A_jjP12ihipStream_tbEUljE_EEESV_SW_SX_S14_S18_S1A_T6_T7_T9_mT8_S1C_bDpT10_ENKUlT_T0_E_clISt17integral_constantIbLb0EES1O_IbLb1EEEEDaS1K_S1L_EUlS1K_E_NS1_11comp_targetILNS1_3genE10ELNS1_11target_archE1200ELNS1_3gpuE4ELNS1_3repE0EEENS1_30default_config_static_selectorELNS0_4arch9wavefront6targetE0EEEvSY_,@function
_ZN7rocprim17ROCPRIM_400000_NS6detail17trampoline_kernelINS0_13select_configILj256ELj13ELNS0_17block_load_methodE3ELS4_3ELS4_3ELNS0_20block_scan_algorithmE0ELj4294967295EEENS1_25partition_config_selectorILNS1_17partition_subalgoE3EjNS0_10empty_typeEbEEZZNS1_14partition_implILS8_3ELb0ES6_jNS0_17counting_iteratorIjlEEPS9_SE_NS0_5tupleIJPjSE_EEENSF_IJSE_SE_EEES9_SG_JZNS1_25segmented_radix_sort_implINS0_14default_configELb1EPKsPsPKlPlN2at6native12_GLOBAL__N_18offset_tEEE10hipError_tPvRmT1_PNSt15iterator_traitsISY_E10value_typeET2_T3_PNSZ_IS14_E10value_typeET4_jRbjT5_S1A_jjP12ihipStream_tbEUljE_EEESV_SW_SX_S14_S18_S1A_T6_T7_T9_mT8_S1C_bDpT10_ENKUlT_T0_E_clISt17integral_constantIbLb0EES1O_IbLb1EEEEDaS1K_S1L_EUlS1K_E_NS1_11comp_targetILNS1_3genE10ELNS1_11target_archE1200ELNS1_3gpuE4ELNS1_3repE0EEENS1_30default_config_static_selectorELNS0_4arch9wavefront6targetE0EEEvSY_: ; @_ZN7rocprim17ROCPRIM_400000_NS6detail17trampoline_kernelINS0_13select_configILj256ELj13ELNS0_17block_load_methodE3ELS4_3ELS4_3ELNS0_20block_scan_algorithmE0ELj4294967295EEENS1_25partition_config_selectorILNS1_17partition_subalgoE3EjNS0_10empty_typeEbEEZZNS1_14partition_implILS8_3ELb0ES6_jNS0_17counting_iteratorIjlEEPS9_SE_NS0_5tupleIJPjSE_EEENSF_IJSE_SE_EEES9_SG_JZNS1_25segmented_radix_sort_implINS0_14default_configELb1EPKsPsPKlPlN2at6native12_GLOBAL__N_18offset_tEEE10hipError_tPvRmT1_PNSt15iterator_traitsISY_E10value_typeET2_T3_PNSZ_IS14_E10value_typeET4_jRbjT5_S1A_jjP12ihipStream_tbEUljE_EEESV_SW_SX_S14_S18_S1A_T6_T7_T9_mT8_S1C_bDpT10_ENKUlT_T0_E_clISt17integral_constantIbLb0EES1O_IbLb1EEEEDaS1K_S1L_EUlS1K_E_NS1_11comp_targetILNS1_3genE10ELNS1_11target_archE1200ELNS1_3gpuE4ELNS1_3repE0EEENS1_30default_config_static_selectorELNS0_4arch9wavefront6targetE0EEEvSY_
; %bb.0:
	.section	.rodata,"a",@progbits
	.p2align	6, 0x0
	.amdhsa_kernel _ZN7rocprim17ROCPRIM_400000_NS6detail17trampoline_kernelINS0_13select_configILj256ELj13ELNS0_17block_load_methodE3ELS4_3ELS4_3ELNS0_20block_scan_algorithmE0ELj4294967295EEENS1_25partition_config_selectorILNS1_17partition_subalgoE3EjNS0_10empty_typeEbEEZZNS1_14partition_implILS8_3ELb0ES6_jNS0_17counting_iteratorIjlEEPS9_SE_NS0_5tupleIJPjSE_EEENSF_IJSE_SE_EEES9_SG_JZNS1_25segmented_radix_sort_implINS0_14default_configELb1EPKsPsPKlPlN2at6native12_GLOBAL__N_18offset_tEEE10hipError_tPvRmT1_PNSt15iterator_traitsISY_E10value_typeET2_T3_PNSZ_IS14_E10value_typeET4_jRbjT5_S1A_jjP12ihipStream_tbEUljE_EEESV_SW_SX_S14_S18_S1A_T6_T7_T9_mT8_S1C_bDpT10_ENKUlT_T0_E_clISt17integral_constantIbLb0EES1O_IbLb1EEEEDaS1K_S1L_EUlS1K_E_NS1_11comp_targetILNS1_3genE10ELNS1_11target_archE1200ELNS1_3gpuE4ELNS1_3repE0EEENS1_30default_config_static_selectorELNS0_4arch9wavefront6targetE0EEEvSY_
		.amdhsa_group_segment_fixed_size 0
		.amdhsa_private_segment_fixed_size 0
		.amdhsa_kernarg_size 152
		.amdhsa_user_sgpr_count 2
		.amdhsa_user_sgpr_dispatch_ptr 0
		.amdhsa_user_sgpr_queue_ptr 0
		.amdhsa_user_sgpr_kernarg_segment_ptr 1
		.amdhsa_user_sgpr_dispatch_id 0
		.amdhsa_user_sgpr_kernarg_preload_length 0
		.amdhsa_user_sgpr_kernarg_preload_offset 0
		.amdhsa_user_sgpr_private_segment_size 0
		.amdhsa_wavefront_size32 1
		.amdhsa_uses_dynamic_stack 0
		.amdhsa_enable_private_segment 0
		.amdhsa_system_sgpr_workgroup_id_x 1
		.amdhsa_system_sgpr_workgroup_id_y 0
		.amdhsa_system_sgpr_workgroup_id_z 0
		.amdhsa_system_sgpr_workgroup_info 0
		.amdhsa_system_vgpr_workitem_id 0
		.amdhsa_next_free_vgpr 1
		.amdhsa_next_free_sgpr 1
		.amdhsa_named_barrier_count 0
		.amdhsa_reserve_vcc 0
		.amdhsa_float_round_mode_32 0
		.amdhsa_float_round_mode_16_64 0
		.amdhsa_float_denorm_mode_32 3
		.amdhsa_float_denorm_mode_16_64 3
		.amdhsa_fp16_overflow 0
		.amdhsa_memory_ordered 1
		.amdhsa_forward_progress 1
		.amdhsa_inst_pref_size 0
		.amdhsa_round_robin_scheduling 0
		.amdhsa_exception_fp_ieee_invalid_op 0
		.amdhsa_exception_fp_denorm_src 0
		.amdhsa_exception_fp_ieee_div_zero 0
		.amdhsa_exception_fp_ieee_overflow 0
		.amdhsa_exception_fp_ieee_underflow 0
		.amdhsa_exception_fp_ieee_inexact 0
		.amdhsa_exception_int_div_zero 0
	.end_amdhsa_kernel
	.section	.text._ZN7rocprim17ROCPRIM_400000_NS6detail17trampoline_kernelINS0_13select_configILj256ELj13ELNS0_17block_load_methodE3ELS4_3ELS4_3ELNS0_20block_scan_algorithmE0ELj4294967295EEENS1_25partition_config_selectorILNS1_17partition_subalgoE3EjNS0_10empty_typeEbEEZZNS1_14partition_implILS8_3ELb0ES6_jNS0_17counting_iteratorIjlEEPS9_SE_NS0_5tupleIJPjSE_EEENSF_IJSE_SE_EEES9_SG_JZNS1_25segmented_radix_sort_implINS0_14default_configELb1EPKsPsPKlPlN2at6native12_GLOBAL__N_18offset_tEEE10hipError_tPvRmT1_PNSt15iterator_traitsISY_E10value_typeET2_T3_PNSZ_IS14_E10value_typeET4_jRbjT5_S1A_jjP12ihipStream_tbEUljE_EEESV_SW_SX_S14_S18_S1A_T6_T7_T9_mT8_S1C_bDpT10_ENKUlT_T0_E_clISt17integral_constantIbLb0EES1O_IbLb1EEEEDaS1K_S1L_EUlS1K_E_NS1_11comp_targetILNS1_3genE10ELNS1_11target_archE1200ELNS1_3gpuE4ELNS1_3repE0EEENS1_30default_config_static_selectorELNS0_4arch9wavefront6targetE0EEEvSY_,"axG",@progbits,_ZN7rocprim17ROCPRIM_400000_NS6detail17trampoline_kernelINS0_13select_configILj256ELj13ELNS0_17block_load_methodE3ELS4_3ELS4_3ELNS0_20block_scan_algorithmE0ELj4294967295EEENS1_25partition_config_selectorILNS1_17partition_subalgoE3EjNS0_10empty_typeEbEEZZNS1_14partition_implILS8_3ELb0ES6_jNS0_17counting_iteratorIjlEEPS9_SE_NS0_5tupleIJPjSE_EEENSF_IJSE_SE_EEES9_SG_JZNS1_25segmented_radix_sort_implINS0_14default_configELb1EPKsPsPKlPlN2at6native12_GLOBAL__N_18offset_tEEE10hipError_tPvRmT1_PNSt15iterator_traitsISY_E10value_typeET2_T3_PNSZ_IS14_E10value_typeET4_jRbjT5_S1A_jjP12ihipStream_tbEUljE_EEESV_SW_SX_S14_S18_S1A_T6_T7_T9_mT8_S1C_bDpT10_ENKUlT_T0_E_clISt17integral_constantIbLb0EES1O_IbLb1EEEEDaS1K_S1L_EUlS1K_E_NS1_11comp_targetILNS1_3genE10ELNS1_11target_archE1200ELNS1_3gpuE4ELNS1_3repE0EEENS1_30default_config_static_selectorELNS0_4arch9wavefront6targetE0EEEvSY_,comdat
.Lfunc_end904:
	.size	_ZN7rocprim17ROCPRIM_400000_NS6detail17trampoline_kernelINS0_13select_configILj256ELj13ELNS0_17block_load_methodE3ELS4_3ELS4_3ELNS0_20block_scan_algorithmE0ELj4294967295EEENS1_25partition_config_selectorILNS1_17partition_subalgoE3EjNS0_10empty_typeEbEEZZNS1_14partition_implILS8_3ELb0ES6_jNS0_17counting_iteratorIjlEEPS9_SE_NS0_5tupleIJPjSE_EEENSF_IJSE_SE_EEES9_SG_JZNS1_25segmented_radix_sort_implINS0_14default_configELb1EPKsPsPKlPlN2at6native12_GLOBAL__N_18offset_tEEE10hipError_tPvRmT1_PNSt15iterator_traitsISY_E10value_typeET2_T3_PNSZ_IS14_E10value_typeET4_jRbjT5_S1A_jjP12ihipStream_tbEUljE_EEESV_SW_SX_S14_S18_S1A_T6_T7_T9_mT8_S1C_bDpT10_ENKUlT_T0_E_clISt17integral_constantIbLb0EES1O_IbLb1EEEEDaS1K_S1L_EUlS1K_E_NS1_11comp_targetILNS1_3genE10ELNS1_11target_archE1200ELNS1_3gpuE4ELNS1_3repE0EEENS1_30default_config_static_selectorELNS0_4arch9wavefront6targetE0EEEvSY_, .Lfunc_end904-_ZN7rocprim17ROCPRIM_400000_NS6detail17trampoline_kernelINS0_13select_configILj256ELj13ELNS0_17block_load_methodE3ELS4_3ELS4_3ELNS0_20block_scan_algorithmE0ELj4294967295EEENS1_25partition_config_selectorILNS1_17partition_subalgoE3EjNS0_10empty_typeEbEEZZNS1_14partition_implILS8_3ELb0ES6_jNS0_17counting_iteratorIjlEEPS9_SE_NS0_5tupleIJPjSE_EEENSF_IJSE_SE_EEES9_SG_JZNS1_25segmented_radix_sort_implINS0_14default_configELb1EPKsPsPKlPlN2at6native12_GLOBAL__N_18offset_tEEE10hipError_tPvRmT1_PNSt15iterator_traitsISY_E10value_typeET2_T3_PNSZ_IS14_E10value_typeET4_jRbjT5_S1A_jjP12ihipStream_tbEUljE_EEESV_SW_SX_S14_S18_S1A_T6_T7_T9_mT8_S1C_bDpT10_ENKUlT_T0_E_clISt17integral_constantIbLb0EES1O_IbLb1EEEEDaS1K_S1L_EUlS1K_E_NS1_11comp_targetILNS1_3genE10ELNS1_11target_archE1200ELNS1_3gpuE4ELNS1_3repE0EEENS1_30default_config_static_selectorELNS0_4arch9wavefront6targetE0EEEvSY_
                                        ; -- End function
	.set _ZN7rocprim17ROCPRIM_400000_NS6detail17trampoline_kernelINS0_13select_configILj256ELj13ELNS0_17block_load_methodE3ELS4_3ELS4_3ELNS0_20block_scan_algorithmE0ELj4294967295EEENS1_25partition_config_selectorILNS1_17partition_subalgoE3EjNS0_10empty_typeEbEEZZNS1_14partition_implILS8_3ELb0ES6_jNS0_17counting_iteratorIjlEEPS9_SE_NS0_5tupleIJPjSE_EEENSF_IJSE_SE_EEES9_SG_JZNS1_25segmented_radix_sort_implINS0_14default_configELb1EPKsPsPKlPlN2at6native12_GLOBAL__N_18offset_tEEE10hipError_tPvRmT1_PNSt15iterator_traitsISY_E10value_typeET2_T3_PNSZ_IS14_E10value_typeET4_jRbjT5_S1A_jjP12ihipStream_tbEUljE_EEESV_SW_SX_S14_S18_S1A_T6_T7_T9_mT8_S1C_bDpT10_ENKUlT_T0_E_clISt17integral_constantIbLb0EES1O_IbLb1EEEEDaS1K_S1L_EUlS1K_E_NS1_11comp_targetILNS1_3genE10ELNS1_11target_archE1200ELNS1_3gpuE4ELNS1_3repE0EEENS1_30default_config_static_selectorELNS0_4arch9wavefront6targetE0EEEvSY_.num_vgpr, 0
	.set _ZN7rocprim17ROCPRIM_400000_NS6detail17trampoline_kernelINS0_13select_configILj256ELj13ELNS0_17block_load_methodE3ELS4_3ELS4_3ELNS0_20block_scan_algorithmE0ELj4294967295EEENS1_25partition_config_selectorILNS1_17partition_subalgoE3EjNS0_10empty_typeEbEEZZNS1_14partition_implILS8_3ELb0ES6_jNS0_17counting_iteratorIjlEEPS9_SE_NS0_5tupleIJPjSE_EEENSF_IJSE_SE_EEES9_SG_JZNS1_25segmented_radix_sort_implINS0_14default_configELb1EPKsPsPKlPlN2at6native12_GLOBAL__N_18offset_tEEE10hipError_tPvRmT1_PNSt15iterator_traitsISY_E10value_typeET2_T3_PNSZ_IS14_E10value_typeET4_jRbjT5_S1A_jjP12ihipStream_tbEUljE_EEESV_SW_SX_S14_S18_S1A_T6_T7_T9_mT8_S1C_bDpT10_ENKUlT_T0_E_clISt17integral_constantIbLb0EES1O_IbLb1EEEEDaS1K_S1L_EUlS1K_E_NS1_11comp_targetILNS1_3genE10ELNS1_11target_archE1200ELNS1_3gpuE4ELNS1_3repE0EEENS1_30default_config_static_selectorELNS0_4arch9wavefront6targetE0EEEvSY_.num_agpr, 0
	.set _ZN7rocprim17ROCPRIM_400000_NS6detail17trampoline_kernelINS0_13select_configILj256ELj13ELNS0_17block_load_methodE3ELS4_3ELS4_3ELNS0_20block_scan_algorithmE0ELj4294967295EEENS1_25partition_config_selectorILNS1_17partition_subalgoE3EjNS0_10empty_typeEbEEZZNS1_14partition_implILS8_3ELb0ES6_jNS0_17counting_iteratorIjlEEPS9_SE_NS0_5tupleIJPjSE_EEENSF_IJSE_SE_EEES9_SG_JZNS1_25segmented_radix_sort_implINS0_14default_configELb1EPKsPsPKlPlN2at6native12_GLOBAL__N_18offset_tEEE10hipError_tPvRmT1_PNSt15iterator_traitsISY_E10value_typeET2_T3_PNSZ_IS14_E10value_typeET4_jRbjT5_S1A_jjP12ihipStream_tbEUljE_EEESV_SW_SX_S14_S18_S1A_T6_T7_T9_mT8_S1C_bDpT10_ENKUlT_T0_E_clISt17integral_constantIbLb0EES1O_IbLb1EEEEDaS1K_S1L_EUlS1K_E_NS1_11comp_targetILNS1_3genE10ELNS1_11target_archE1200ELNS1_3gpuE4ELNS1_3repE0EEENS1_30default_config_static_selectorELNS0_4arch9wavefront6targetE0EEEvSY_.numbered_sgpr, 0
	.set _ZN7rocprim17ROCPRIM_400000_NS6detail17trampoline_kernelINS0_13select_configILj256ELj13ELNS0_17block_load_methodE3ELS4_3ELS4_3ELNS0_20block_scan_algorithmE0ELj4294967295EEENS1_25partition_config_selectorILNS1_17partition_subalgoE3EjNS0_10empty_typeEbEEZZNS1_14partition_implILS8_3ELb0ES6_jNS0_17counting_iteratorIjlEEPS9_SE_NS0_5tupleIJPjSE_EEENSF_IJSE_SE_EEES9_SG_JZNS1_25segmented_radix_sort_implINS0_14default_configELb1EPKsPsPKlPlN2at6native12_GLOBAL__N_18offset_tEEE10hipError_tPvRmT1_PNSt15iterator_traitsISY_E10value_typeET2_T3_PNSZ_IS14_E10value_typeET4_jRbjT5_S1A_jjP12ihipStream_tbEUljE_EEESV_SW_SX_S14_S18_S1A_T6_T7_T9_mT8_S1C_bDpT10_ENKUlT_T0_E_clISt17integral_constantIbLb0EES1O_IbLb1EEEEDaS1K_S1L_EUlS1K_E_NS1_11comp_targetILNS1_3genE10ELNS1_11target_archE1200ELNS1_3gpuE4ELNS1_3repE0EEENS1_30default_config_static_selectorELNS0_4arch9wavefront6targetE0EEEvSY_.num_named_barrier, 0
	.set _ZN7rocprim17ROCPRIM_400000_NS6detail17trampoline_kernelINS0_13select_configILj256ELj13ELNS0_17block_load_methodE3ELS4_3ELS4_3ELNS0_20block_scan_algorithmE0ELj4294967295EEENS1_25partition_config_selectorILNS1_17partition_subalgoE3EjNS0_10empty_typeEbEEZZNS1_14partition_implILS8_3ELb0ES6_jNS0_17counting_iteratorIjlEEPS9_SE_NS0_5tupleIJPjSE_EEENSF_IJSE_SE_EEES9_SG_JZNS1_25segmented_radix_sort_implINS0_14default_configELb1EPKsPsPKlPlN2at6native12_GLOBAL__N_18offset_tEEE10hipError_tPvRmT1_PNSt15iterator_traitsISY_E10value_typeET2_T3_PNSZ_IS14_E10value_typeET4_jRbjT5_S1A_jjP12ihipStream_tbEUljE_EEESV_SW_SX_S14_S18_S1A_T6_T7_T9_mT8_S1C_bDpT10_ENKUlT_T0_E_clISt17integral_constantIbLb0EES1O_IbLb1EEEEDaS1K_S1L_EUlS1K_E_NS1_11comp_targetILNS1_3genE10ELNS1_11target_archE1200ELNS1_3gpuE4ELNS1_3repE0EEENS1_30default_config_static_selectorELNS0_4arch9wavefront6targetE0EEEvSY_.private_seg_size, 0
	.set _ZN7rocprim17ROCPRIM_400000_NS6detail17trampoline_kernelINS0_13select_configILj256ELj13ELNS0_17block_load_methodE3ELS4_3ELS4_3ELNS0_20block_scan_algorithmE0ELj4294967295EEENS1_25partition_config_selectorILNS1_17partition_subalgoE3EjNS0_10empty_typeEbEEZZNS1_14partition_implILS8_3ELb0ES6_jNS0_17counting_iteratorIjlEEPS9_SE_NS0_5tupleIJPjSE_EEENSF_IJSE_SE_EEES9_SG_JZNS1_25segmented_radix_sort_implINS0_14default_configELb1EPKsPsPKlPlN2at6native12_GLOBAL__N_18offset_tEEE10hipError_tPvRmT1_PNSt15iterator_traitsISY_E10value_typeET2_T3_PNSZ_IS14_E10value_typeET4_jRbjT5_S1A_jjP12ihipStream_tbEUljE_EEESV_SW_SX_S14_S18_S1A_T6_T7_T9_mT8_S1C_bDpT10_ENKUlT_T0_E_clISt17integral_constantIbLb0EES1O_IbLb1EEEEDaS1K_S1L_EUlS1K_E_NS1_11comp_targetILNS1_3genE10ELNS1_11target_archE1200ELNS1_3gpuE4ELNS1_3repE0EEENS1_30default_config_static_selectorELNS0_4arch9wavefront6targetE0EEEvSY_.uses_vcc, 0
	.set _ZN7rocprim17ROCPRIM_400000_NS6detail17trampoline_kernelINS0_13select_configILj256ELj13ELNS0_17block_load_methodE3ELS4_3ELS4_3ELNS0_20block_scan_algorithmE0ELj4294967295EEENS1_25partition_config_selectorILNS1_17partition_subalgoE3EjNS0_10empty_typeEbEEZZNS1_14partition_implILS8_3ELb0ES6_jNS0_17counting_iteratorIjlEEPS9_SE_NS0_5tupleIJPjSE_EEENSF_IJSE_SE_EEES9_SG_JZNS1_25segmented_radix_sort_implINS0_14default_configELb1EPKsPsPKlPlN2at6native12_GLOBAL__N_18offset_tEEE10hipError_tPvRmT1_PNSt15iterator_traitsISY_E10value_typeET2_T3_PNSZ_IS14_E10value_typeET4_jRbjT5_S1A_jjP12ihipStream_tbEUljE_EEESV_SW_SX_S14_S18_S1A_T6_T7_T9_mT8_S1C_bDpT10_ENKUlT_T0_E_clISt17integral_constantIbLb0EES1O_IbLb1EEEEDaS1K_S1L_EUlS1K_E_NS1_11comp_targetILNS1_3genE10ELNS1_11target_archE1200ELNS1_3gpuE4ELNS1_3repE0EEENS1_30default_config_static_selectorELNS0_4arch9wavefront6targetE0EEEvSY_.uses_flat_scratch, 0
	.set _ZN7rocprim17ROCPRIM_400000_NS6detail17trampoline_kernelINS0_13select_configILj256ELj13ELNS0_17block_load_methodE3ELS4_3ELS4_3ELNS0_20block_scan_algorithmE0ELj4294967295EEENS1_25partition_config_selectorILNS1_17partition_subalgoE3EjNS0_10empty_typeEbEEZZNS1_14partition_implILS8_3ELb0ES6_jNS0_17counting_iteratorIjlEEPS9_SE_NS0_5tupleIJPjSE_EEENSF_IJSE_SE_EEES9_SG_JZNS1_25segmented_radix_sort_implINS0_14default_configELb1EPKsPsPKlPlN2at6native12_GLOBAL__N_18offset_tEEE10hipError_tPvRmT1_PNSt15iterator_traitsISY_E10value_typeET2_T3_PNSZ_IS14_E10value_typeET4_jRbjT5_S1A_jjP12ihipStream_tbEUljE_EEESV_SW_SX_S14_S18_S1A_T6_T7_T9_mT8_S1C_bDpT10_ENKUlT_T0_E_clISt17integral_constantIbLb0EES1O_IbLb1EEEEDaS1K_S1L_EUlS1K_E_NS1_11comp_targetILNS1_3genE10ELNS1_11target_archE1200ELNS1_3gpuE4ELNS1_3repE0EEENS1_30default_config_static_selectorELNS0_4arch9wavefront6targetE0EEEvSY_.has_dyn_sized_stack, 0
	.set _ZN7rocprim17ROCPRIM_400000_NS6detail17trampoline_kernelINS0_13select_configILj256ELj13ELNS0_17block_load_methodE3ELS4_3ELS4_3ELNS0_20block_scan_algorithmE0ELj4294967295EEENS1_25partition_config_selectorILNS1_17partition_subalgoE3EjNS0_10empty_typeEbEEZZNS1_14partition_implILS8_3ELb0ES6_jNS0_17counting_iteratorIjlEEPS9_SE_NS0_5tupleIJPjSE_EEENSF_IJSE_SE_EEES9_SG_JZNS1_25segmented_radix_sort_implINS0_14default_configELb1EPKsPsPKlPlN2at6native12_GLOBAL__N_18offset_tEEE10hipError_tPvRmT1_PNSt15iterator_traitsISY_E10value_typeET2_T3_PNSZ_IS14_E10value_typeET4_jRbjT5_S1A_jjP12ihipStream_tbEUljE_EEESV_SW_SX_S14_S18_S1A_T6_T7_T9_mT8_S1C_bDpT10_ENKUlT_T0_E_clISt17integral_constantIbLb0EES1O_IbLb1EEEEDaS1K_S1L_EUlS1K_E_NS1_11comp_targetILNS1_3genE10ELNS1_11target_archE1200ELNS1_3gpuE4ELNS1_3repE0EEENS1_30default_config_static_selectorELNS0_4arch9wavefront6targetE0EEEvSY_.has_recursion, 0
	.set _ZN7rocprim17ROCPRIM_400000_NS6detail17trampoline_kernelINS0_13select_configILj256ELj13ELNS0_17block_load_methodE3ELS4_3ELS4_3ELNS0_20block_scan_algorithmE0ELj4294967295EEENS1_25partition_config_selectorILNS1_17partition_subalgoE3EjNS0_10empty_typeEbEEZZNS1_14partition_implILS8_3ELb0ES6_jNS0_17counting_iteratorIjlEEPS9_SE_NS0_5tupleIJPjSE_EEENSF_IJSE_SE_EEES9_SG_JZNS1_25segmented_radix_sort_implINS0_14default_configELb1EPKsPsPKlPlN2at6native12_GLOBAL__N_18offset_tEEE10hipError_tPvRmT1_PNSt15iterator_traitsISY_E10value_typeET2_T3_PNSZ_IS14_E10value_typeET4_jRbjT5_S1A_jjP12ihipStream_tbEUljE_EEESV_SW_SX_S14_S18_S1A_T6_T7_T9_mT8_S1C_bDpT10_ENKUlT_T0_E_clISt17integral_constantIbLb0EES1O_IbLb1EEEEDaS1K_S1L_EUlS1K_E_NS1_11comp_targetILNS1_3genE10ELNS1_11target_archE1200ELNS1_3gpuE4ELNS1_3repE0EEENS1_30default_config_static_selectorELNS0_4arch9wavefront6targetE0EEEvSY_.has_indirect_call, 0
	.section	.AMDGPU.csdata,"",@progbits
; Kernel info:
; codeLenInByte = 0
; TotalNumSgprs: 0
; NumVgprs: 0
; ScratchSize: 0
; MemoryBound: 0
; FloatMode: 240
; IeeeMode: 1
; LDSByteSize: 0 bytes/workgroup (compile time only)
; SGPRBlocks: 0
; VGPRBlocks: 0
; NumSGPRsForWavesPerEU: 1
; NumVGPRsForWavesPerEU: 1
; NamedBarCnt: 0
; Occupancy: 16
; WaveLimiterHint : 0
; COMPUTE_PGM_RSRC2:SCRATCH_EN: 0
; COMPUTE_PGM_RSRC2:USER_SGPR: 2
; COMPUTE_PGM_RSRC2:TRAP_HANDLER: 0
; COMPUTE_PGM_RSRC2:TGID_X_EN: 1
; COMPUTE_PGM_RSRC2:TGID_Y_EN: 0
; COMPUTE_PGM_RSRC2:TGID_Z_EN: 0
; COMPUTE_PGM_RSRC2:TIDIG_COMP_CNT: 0
	.section	.text._ZN7rocprim17ROCPRIM_400000_NS6detail17trampoline_kernelINS0_13select_configILj256ELj13ELNS0_17block_load_methodE3ELS4_3ELS4_3ELNS0_20block_scan_algorithmE0ELj4294967295EEENS1_25partition_config_selectorILNS1_17partition_subalgoE3EjNS0_10empty_typeEbEEZZNS1_14partition_implILS8_3ELb0ES6_jNS0_17counting_iteratorIjlEEPS9_SE_NS0_5tupleIJPjSE_EEENSF_IJSE_SE_EEES9_SG_JZNS1_25segmented_radix_sort_implINS0_14default_configELb1EPKsPsPKlPlN2at6native12_GLOBAL__N_18offset_tEEE10hipError_tPvRmT1_PNSt15iterator_traitsISY_E10value_typeET2_T3_PNSZ_IS14_E10value_typeET4_jRbjT5_S1A_jjP12ihipStream_tbEUljE_EEESV_SW_SX_S14_S18_S1A_T6_T7_T9_mT8_S1C_bDpT10_ENKUlT_T0_E_clISt17integral_constantIbLb0EES1O_IbLb1EEEEDaS1K_S1L_EUlS1K_E_NS1_11comp_targetILNS1_3genE9ELNS1_11target_archE1100ELNS1_3gpuE3ELNS1_3repE0EEENS1_30default_config_static_selectorELNS0_4arch9wavefront6targetE0EEEvSY_,"axG",@progbits,_ZN7rocprim17ROCPRIM_400000_NS6detail17trampoline_kernelINS0_13select_configILj256ELj13ELNS0_17block_load_methodE3ELS4_3ELS4_3ELNS0_20block_scan_algorithmE0ELj4294967295EEENS1_25partition_config_selectorILNS1_17partition_subalgoE3EjNS0_10empty_typeEbEEZZNS1_14partition_implILS8_3ELb0ES6_jNS0_17counting_iteratorIjlEEPS9_SE_NS0_5tupleIJPjSE_EEENSF_IJSE_SE_EEES9_SG_JZNS1_25segmented_radix_sort_implINS0_14default_configELb1EPKsPsPKlPlN2at6native12_GLOBAL__N_18offset_tEEE10hipError_tPvRmT1_PNSt15iterator_traitsISY_E10value_typeET2_T3_PNSZ_IS14_E10value_typeET4_jRbjT5_S1A_jjP12ihipStream_tbEUljE_EEESV_SW_SX_S14_S18_S1A_T6_T7_T9_mT8_S1C_bDpT10_ENKUlT_T0_E_clISt17integral_constantIbLb0EES1O_IbLb1EEEEDaS1K_S1L_EUlS1K_E_NS1_11comp_targetILNS1_3genE9ELNS1_11target_archE1100ELNS1_3gpuE3ELNS1_3repE0EEENS1_30default_config_static_selectorELNS0_4arch9wavefront6targetE0EEEvSY_,comdat
	.globl	_ZN7rocprim17ROCPRIM_400000_NS6detail17trampoline_kernelINS0_13select_configILj256ELj13ELNS0_17block_load_methodE3ELS4_3ELS4_3ELNS0_20block_scan_algorithmE0ELj4294967295EEENS1_25partition_config_selectorILNS1_17partition_subalgoE3EjNS0_10empty_typeEbEEZZNS1_14partition_implILS8_3ELb0ES6_jNS0_17counting_iteratorIjlEEPS9_SE_NS0_5tupleIJPjSE_EEENSF_IJSE_SE_EEES9_SG_JZNS1_25segmented_radix_sort_implINS0_14default_configELb1EPKsPsPKlPlN2at6native12_GLOBAL__N_18offset_tEEE10hipError_tPvRmT1_PNSt15iterator_traitsISY_E10value_typeET2_T3_PNSZ_IS14_E10value_typeET4_jRbjT5_S1A_jjP12ihipStream_tbEUljE_EEESV_SW_SX_S14_S18_S1A_T6_T7_T9_mT8_S1C_bDpT10_ENKUlT_T0_E_clISt17integral_constantIbLb0EES1O_IbLb1EEEEDaS1K_S1L_EUlS1K_E_NS1_11comp_targetILNS1_3genE9ELNS1_11target_archE1100ELNS1_3gpuE3ELNS1_3repE0EEENS1_30default_config_static_selectorELNS0_4arch9wavefront6targetE0EEEvSY_ ; -- Begin function _ZN7rocprim17ROCPRIM_400000_NS6detail17trampoline_kernelINS0_13select_configILj256ELj13ELNS0_17block_load_methodE3ELS4_3ELS4_3ELNS0_20block_scan_algorithmE0ELj4294967295EEENS1_25partition_config_selectorILNS1_17partition_subalgoE3EjNS0_10empty_typeEbEEZZNS1_14partition_implILS8_3ELb0ES6_jNS0_17counting_iteratorIjlEEPS9_SE_NS0_5tupleIJPjSE_EEENSF_IJSE_SE_EEES9_SG_JZNS1_25segmented_radix_sort_implINS0_14default_configELb1EPKsPsPKlPlN2at6native12_GLOBAL__N_18offset_tEEE10hipError_tPvRmT1_PNSt15iterator_traitsISY_E10value_typeET2_T3_PNSZ_IS14_E10value_typeET4_jRbjT5_S1A_jjP12ihipStream_tbEUljE_EEESV_SW_SX_S14_S18_S1A_T6_T7_T9_mT8_S1C_bDpT10_ENKUlT_T0_E_clISt17integral_constantIbLb0EES1O_IbLb1EEEEDaS1K_S1L_EUlS1K_E_NS1_11comp_targetILNS1_3genE9ELNS1_11target_archE1100ELNS1_3gpuE3ELNS1_3repE0EEENS1_30default_config_static_selectorELNS0_4arch9wavefront6targetE0EEEvSY_
	.p2align	8
	.type	_ZN7rocprim17ROCPRIM_400000_NS6detail17trampoline_kernelINS0_13select_configILj256ELj13ELNS0_17block_load_methodE3ELS4_3ELS4_3ELNS0_20block_scan_algorithmE0ELj4294967295EEENS1_25partition_config_selectorILNS1_17partition_subalgoE3EjNS0_10empty_typeEbEEZZNS1_14partition_implILS8_3ELb0ES6_jNS0_17counting_iteratorIjlEEPS9_SE_NS0_5tupleIJPjSE_EEENSF_IJSE_SE_EEES9_SG_JZNS1_25segmented_radix_sort_implINS0_14default_configELb1EPKsPsPKlPlN2at6native12_GLOBAL__N_18offset_tEEE10hipError_tPvRmT1_PNSt15iterator_traitsISY_E10value_typeET2_T3_PNSZ_IS14_E10value_typeET4_jRbjT5_S1A_jjP12ihipStream_tbEUljE_EEESV_SW_SX_S14_S18_S1A_T6_T7_T9_mT8_S1C_bDpT10_ENKUlT_T0_E_clISt17integral_constantIbLb0EES1O_IbLb1EEEEDaS1K_S1L_EUlS1K_E_NS1_11comp_targetILNS1_3genE9ELNS1_11target_archE1100ELNS1_3gpuE3ELNS1_3repE0EEENS1_30default_config_static_selectorELNS0_4arch9wavefront6targetE0EEEvSY_,@function
_ZN7rocprim17ROCPRIM_400000_NS6detail17trampoline_kernelINS0_13select_configILj256ELj13ELNS0_17block_load_methodE3ELS4_3ELS4_3ELNS0_20block_scan_algorithmE0ELj4294967295EEENS1_25partition_config_selectorILNS1_17partition_subalgoE3EjNS0_10empty_typeEbEEZZNS1_14partition_implILS8_3ELb0ES6_jNS0_17counting_iteratorIjlEEPS9_SE_NS0_5tupleIJPjSE_EEENSF_IJSE_SE_EEES9_SG_JZNS1_25segmented_radix_sort_implINS0_14default_configELb1EPKsPsPKlPlN2at6native12_GLOBAL__N_18offset_tEEE10hipError_tPvRmT1_PNSt15iterator_traitsISY_E10value_typeET2_T3_PNSZ_IS14_E10value_typeET4_jRbjT5_S1A_jjP12ihipStream_tbEUljE_EEESV_SW_SX_S14_S18_S1A_T6_T7_T9_mT8_S1C_bDpT10_ENKUlT_T0_E_clISt17integral_constantIbLb0EES1O_IbLb1EEEEDaS1K_S1L_EUlS1K_E_NS1_11comp_targetILNS1_3genE9ELNS1_11target_archE1100ELNS1_3gpuE3ELNS1_3repE0EEENS1_30default_config_static_selectorELNS0_4arch9wavefront6targetE0EEEvSY_: ; @_ZN7rocprim17ROCPRIM_400000_NS6detail17trampoline_kernelINS0_13select_configILj256ELj13ELNS0_17block_load_methodE3ELS4_3ELS4_3ELNS0_20block_scan_algorithmE0ELj4294967295EEENS1_25partition_config_selectorILNS1_17partition_subalgoE3EjNS0_10empty_typeEbEEZZNS1_14partition_implILS8_3ELb0ES6_jNS0_17counting_iteratorIjlEEPS9_SE_NS0_5tupleIJPjSE_EEENSF_IJSE_SE_EEES9_SG_JZNS1_25segmented_radix_sort_implINS0_14default_configELb1EPKsPsPKlPlN2at6native12_GLOBAL__N_18offset_tEEE10hipError_tPvRmT1_PNSt15iterator_traitsISY_E10value_typeET2_T3_PNSZ_IS14_E10value_typeET4_jRbjT5_S1A_jjP12ihipStream_tbEUljE_EEESV_SW_SX_S14_S18_S1A_T6_T7_T9_mT8_S1C_bDpT10_ENKUlT_T0_E_clISt17integral_constantIbLb0EES1O_IbLb1EEEEDaS1K_S1L_EUlS1K_E_NS1_11comp_targetILNS1_3genE9ELNS1_11target_archE1100ELNS1_3gpuE3ELNS1_3repE0EEENS1_30default_config_static_selectorELNS0_4arch9wavefront6targetE0EEEvSY_
; %bb.0:
	.section	.rodata,"a",@progbits
	.p2align	6, 0x0
	.amdhsa_kernel _ZN7rocprim17ROCPRIM_400000_NS6detail17trampoline_kernelINS0_13select_configILj256ELj13ELNS0_17block_load_methodE3ELS4_3ELS4_3ELNS0_20block_scan_algorithmE0ELj4294967295EEENS1_25partition_config_selectorILNS1_17partition_subalgoE3EjNS0_10empty_typeEbEEZZNS1_14partition_implILS8_3ELb0ES6_jNS0_17counting_iteratorIjlEEPS9_SE_NS0_5tupleIJPjSE_EEENSF_IJSE_SE_EEES9_SG_JZNS1_25segmented_radix_sort_implINS0_14default_configELb1EPKsPsPKlPlN2at6native12_GLOBAL__N_18offset_tEEE10hipError_tPvRmT1_PNSt15iterator_traitsISY_E10value_typeET2_T3_PNSZ_IS14_E10value_typeET4_jRbjT5_S1A_jjP12ihipStream_tbEUljE_EEESV_SW_SX_S14_S18_S1A_T6_T7_T9_mT8_S1C_bDpT10_ENKUlT_T0_E_clISt17integral_constantIbLb0EES1O_IbLb1EEEEDaS1K_S1L_EUlS1K_E_NS1_11comp_targetILNS1_3genE9ELNS1_11target_archE1100ELNS1_3gpuE3ELNS1_3repE0EEENS1_30default_config_static_selectorELNS0_4arch9wavefront6targetE0EEEvSY_
		.amdhsa_group_segment_fixed_size 0
		.amdhsa_private_segment_fixed_size 0
		.amdhsa_kernarg_size 152
		.amdhsa_user_sgpr_count 2
		.amdhsa_user_sgpr_dispatch_ptr 0
		.amdhsa_user_sgpr_queue_ptr 0
		.amdhsa_user_sgpr_kernarg_segment_ptr 1
		.amdhsa_user_sgpr_dispatch_id 0
		.amdhsa_user_sgpr_kernarg_preload_length 0
		.amdhsa_user_sgpr_kernarg_preload_offset 0
		.amdhsa_user_sgpr_private_segment_size 0
		.amdhsa_wavefront_size32 1
		.amdhsa_uses_dynamic_stack 0
		.amdhsa_enable_private_segment 0
		.amdhsa_system_sgpr_workgroup_id_x 1
		.amdhsa_system_sgpr_workgroup_id_y 0
		.amdhsa_system_sgpr_workgroup_id_z 0
		.amdhsa_system_sgpr_workgroup_info 0
		.amdhsa_system_vgpr_workitem_id 0
		.amdhsa_next_free_vgpr 1
		.amdhsa_next_free_sgpr 1
		.amdhsa_named_barrier_count 0
		.amdhsa_reserve_vcc 0
		.amdhsa_float_round_mode_32 0
		.amdhsa_float_round_mode_16_64 0
		.amdhsa_float_denorm_mode_32 3
		.amdhsa_float_denorm_mode_16_64 3
		.amdhsa_fp16_overflow 0
		.amdhsa_memory_ordered 1
		.amdhsa_forward_progress 1
		.amdhsa_inst_pref_size 0
		.amdhsa_round_robin_scheduling 0
		.amdhsa_exception_fp_ieee_invalid_op 0
		.amdhsa_exception_fp_denorm_src 0
		.amdhsa_exception_fp_ieee_div_zero 0
		.amdhsa_exception_fp_ieee_overflow 0
		.amdhsa_exception_fp_ieee_underflow 0
		.amdhsa_exception_fp_ieee_inexact 0
		.amdhsa_exception_int_div_zero 0
	.end_amdhsa_kernel
	.section	.text._ZN7rocprim17ROCPRIM_400000_NS6detail17trampoline_kernelINS0_13select_configILj256ELj13ELNS0_17block_load_methodE3ELS4_3ELS4_3ELNS0_20block_scan_algorithmE0ELj4294967295EEENS1_25partition_config_selectorILNS1_17partition_subalgoE3EjNS0_10empty_typeEbEEZZNS1_14partition_implILS8_3ELb0ES6_jNS0_17counting_iteratorIjlEEPS9_SE_NS0_5tupleIJPjSE_EEENSF_IJSE_SE_EEES9_SG_JZNS1_25segmented_radix_sort_implINS0_14default_configELb1EPKsPsPKlPlN2at6native12_GLOBAL__N_18offset_tEEE10hipError_tPvRmT1_PNSt15iterator_traitsISY_E10value_typeET2_T3_PNSZ_IS14_E10value_typeET4_jRbjT5_S1A_jjP12ihipStream_tbEUljE_EEESV_SW_SX_S14_S18_S1A_T6_T7_T9_mT8_S1C_bDpT10_ENKUlT_T0_E_clISt17integral_constantIbLb0EES1O_IbLb1EEEEDaS1K_S1L_EUlS1K_E_NS1_11comp_targetILNS1_3genE9ELNS1_11target_archE1100ELNS1_3gpuE3ELNS1_3repE0EEENS1_30default_config_static_selectorELNS0_4arch9wavefront6targetE0EEEvSY_,"axG",@progbits,_ZN7rocprim17ROCPRIM_400000_NS6detail17trampoline_kernelINS0_13select_configILj256ELj13ELNS0_17block_load_methodE3ELS4_3ELS4_3ELNS0_20block_scan_algorithmE0ELj4294967295EEENS1_25partition_config_selectorILNS1_17partition_subalgoE3EjNS0_10empty_typeEbEEZZNS1_14partition_implILS8_3ELb0ES6_jNS0_17counting_iteratorIjlEEPS9_SE_NS0_5tupleIJPjSE_EEENSF_IJSE_SE_EEES9_SG_JZNS1_25segmented_radix_sort_implINS0_14default_configELb1EPKsPsPKlPlN2at6native12_GLOBAL__N_18offset_tEEE10hipError_tPvRmT1_PNSt15iterator_traitsISY_E10value_typeET2_T3_PNSZ_IS14_E10value_typeET4_jRbjT5_S1A_jjP12ihipStream_tbEUljE_EEESV_SW_SX_S14_S18_S1A_T6_T7_T9_mT8_S1C_bDpT10_ENKUlT_T0_E_clISt17integral_constantIbLb0EES1O_IbLb1EEEEDaS1K_S1L_EUlS1K_E_NS1_11comp_targetILNS1_3genE9ELNS1_11target_archE1100ELNS1_3gpuE3ELNS1_3repE0EEENS1_30default_config_static_selectorELNS0_4arch9wavefront6targetE0EEEvSY_,comdat
.Lfunc_end905:
	.size	_ZN7rocprim17ROCPRIM_400000_NS6detail17trampoline_kernelINS0_13select_configILj256ELj13ELNS0_17block_load_methodE3ELS4_3ELS4_3ELNS0_20block_scan_algorithmE0ELj4294967295EEENS1_25partition_config_selectorILNS1_17partition_subalgoE3EjNS0_10empty_typeEbEEZZNS1_14partition_implILS8_3ELb0ES6_jNS0_17counting_iteratorIjlEEPS9_SE_NS0_5tupleIJPjSE_EEENSF_IJSE_SE_EEES9_SG_JZNS1_25segmented_radix_sort_implINS0_14default_configELb1EPKsPsPKlPlN2at6native12_GLOBAL__N_18offset_tEEE10hipError_tPvRmT1_PNSt15iterator_traitsISY_E10value_typeET2_T3_PNSZ_IS14_E10value_typeET4_jRbjT5_S1A_jjP12ihipStream_tbEUljE_EEESV_SW_SX_S14_S18_S1A_T6_T7_T9_mT8_S1C_bDpT10_ENKUlT_T0_E_clISt17integral_constantIbLb0EES1O_IbLb1EEEEDaS1K_S1L_EUlS1K_E_NS1_11comp_targetILNS1_3genE9ELNS1_11target_archE1100ELNS1_3gpuE3ELNS1_3repE0EEENS1_30default_config_static_selectorELNS0_4arch9wavefront6targetE0EEEvSY_, .Lfunc_end905-_ZN7rocprim17ROCPRIM_400000_NS6detail17trampoline_kernelINS0_13select_configILj256ELj13ELNS0_17block_load_methodE3ELS4_3ELS4_3ELNS0_20block_scan_algorithmE0ELj4294967295EEENS1_25partition_config_selectorILNS1_17partition_subalgoE3EjNS0_10empty_typeEbEEZZNS1_14partition_implILS8_3ELb0ES6_jNS0_17counting_iteratorIjlEEPS9_SE_NS0_5tupleIJPjSE_EEENSF_IJSE_SE_EEES9_SG_JZNS1_25segmented_radix_sort_implINS0_14default_configELb1EPKsPsPKlPlN2at6native12_GLOBAL__N_18offset_tEEE10hipError_tPvRmT1_PNSt15iterator_traitsISY_E10value_typeET2_T3_PNSZ_IS14_E10value_typeET4_jRbjT5_S1A_jjP12ihipStream_tbEUljE_EEESV_SW_SX_S14_S18_S1A_T6_T7_T9_mT8_S1C_bDpT10_ENKUlT_T0_E_clISt17integral_constantIbLb0EES1O_IbLb1EEEEDaS1K_S1L_EUlS1K_E_NS1_11comp_targetILNS1_3genE9ELNS1_11target_archE1100ELNS1_3gpuE3ELNS1_3repE0EEENS1_30default_config_static_selectorELNS0_4arch9wavefront6targetE0EEEvSY_
                                        ; -- End function
	.set _ZN7rocprim17ROCPRIM_400000_NS6detail17trampoline_kernelINS0_13select_configILj256ELj13ELNS0_17block_load_methodE3ELS4_3ELS4_3ELNS0_20block_scan_algorithmE0ELj4294967295EEENS1_25partition_config_selectorILNS1_17partition_subalgoE3EjNS0_10empty_typeEbEEZZNS1_14partition_implILS8_3ELb0ES6_jNS0_17counting_iteratorIjlEEPS9_SE_NS0_5tupleIJPjSE_EEENSF_IJSE_SE_EEES9_SG_JZNS1_25segmented_radix_sort_implINS0_14default_configELb1EPKsPsPKlPlN2at6native12_GLOBAL__N_18offset_tEEE10hipError_tPvRmT1_PNSt15iterator_traitsISY_E10value_typeET2_T3_PNSZ_IS14_E10value_typeET4_jRbjT5_S1A_jjP12ihipStream_tbEUljE_EEESV_SW_SX_S14_S18_S1A_T6_T7_T9_mT8_S1C_bDpT10_ENKUlT_T0_E_clISt17integral_constantIbLb0EES1O_IbLb1EEEEDaS1K_S1L_EUlS1K_E_NS1_11comp_targetILNS1_3genE9ELNS1_11target_archE1100ELNS1_3gpuE3ELNS1_3repE0EEENS1_30default_config_static_selectorELNS0_4arch9wavefront6targetE0EEEvSY_.num_vgpr, 0
	.set _ZN7rocprim17ROCPRIM_400000_NS6detail17trampoline_kernelINS0_13select_configILj256ELj13ELNS0_17block_load_methodE3ELS4_3ELS4_3ELNS0_20block_scan_algorithmE0ELj4294967295EEENS1_25partition_config_selectorILNS1_17partition_subalgoE3EjNS0_10empty_typeEbEEZZNS1_14partition_implILS8_3ELb0ES6_jNS0_17counting_iteratorIjlEEPS9_SE_NS0_5tupleIJPjSE_EEENSF_IJSE_SE_EEES9_SG_JZNS1_25segmented_radix_sort_implINS0_14default_configELb1EPKsPsPKlPlN2at6native12_GLOBAL__N_18offset_tEEE10hipError_tPvRmT1_PNSt15iterator_traitsISY_E10value_typeET2_T3_PNSZ_IS14_E10value_typeET4_jRbjT5_S1A_jjP12ihipStream_tbEUljE_EEESV_SW_SX_S14_S18_S1A_T6_T7_T9_mT8_S1C_bDpT10_ENKUlT_T0_E_clISt17integral_constantIbLb0EES1O_IbLb1EEEEDaS1K_S1L_EUlS1K_E_NS1_11comp_targetILNS1_3genE9ELNS1_11target_archE1100ELNS1_3gpuE3ELNS1_3repE0EEENS1_30default_config_static_selectorELNS0_4arch9wavefront6targetE0EEEvSY_.num_agpr, 0
	.set _ZN7rocprim17ROCPRIM_400000_NS6detail17trampoline_kernelINS0_13select_configILj256ELj13ELNS0_17block_load_methodE3ELS4_3ELS4_3ELNS0_20block_scan_algorithmE0ELj4294967295EEENS1_25partition_config_selectorILNS1_17partition_subalgoE3EjNS0_10empty_typeEbEEZZNS1_14partition_implILS8_3ELb0ES6_jNS0_17counting_iteratorIjlEEPS9_SE_NS0_5tupleIJPjSE_EEENSF_IJSE_SE_EEES9_SG_JZNS1_25segmented_radix_sort_implINS0_14default_configELb1EPKsPsPKlPlN2at6native12_GLOBAL__N_18offset_tEEE10hipError_tPvRmT1_PNSt15iterator_traitsISY_E10value_typeET2_T3_PNSZ_IS14_E10value_typeET4_jRbjT5_S1A_jjP12ihipStream_tbEUljE_EEESV_SW_SX_S14_S18_S1A_T6_T7_T9_mT8_S1C_bDpT10_ENKUlT_T0_E_clISt17integral_constantIbLb0EES1O_IbLb1EEEEDaS1K_S1L_EUlS1K_E_NS1_11comp_targetILNS1_3genE9ELNS1_11target_archE1100ELNS1_3gpuE3ELNS1_3repE0EEENS1_30default_config_static_selectorELNS0_4arch9wavefront6targetE0EEEvSY_.numbered_sgpr, 0
	.set _ZN7rocprim17ROCPRIM_400000_NS6detail17trampoline_kernelINS0_13select_configILj256ELj13ELNS0_17block_load_methodE3ELS4_3ELS4_3ELNS0_20block_scan_algorithmE0ELj4294967295EEENS1_25partition_config_selectorILNS1_17partition_subalgoE3EjNS0_10empty_typeEbEEZZNS1_14partition_implILS8_3ELb0ES6_jNS0_17counting_iteratorIjlEEPS9_SE_NS0_5tupleIJPjSE_EEENSF_IJSE_SE_EEES9_SG_JZNS1_25segmented_radix_sort_implINS0_14default_configELb1EPKsPsPKlPlN2at6native12_GLOBAL__N_18offset_tEEE10hipError_tPvRmT1_PNSt15iterator_traitsISY_E10value_typeET2_T3_PNSZ_IS14_E10value_typeET4_jRbjT5_S1A_jjP12ihipStream_tbEUljE_EEESV_SW_SX_S14_S18_S1A_T6_T7_T9_mT8_S1C_bDpT10_ENKUlT_T0_E_clISt17integral_constantIbLb0EES1O_IbLb1EEEEDaS1K_S1L_EUlS1K_E_NS1_11comp_targetILNS1_3genE9ELNS1_11target_archE1100ELNS1_3gpuE3ELNS1_3repE0EEENS1_30default_config_static_selectorELNS0_4arch9wavefront6targetE0EEEvSY_.num_named_barrier, 0
	.set _ZN7rocprim17ROCPRIM_400000_NS6detail17trampoline_kernelINS0_13select_configILj256ELj13ELNS0_17block_load_methodE3ELS4_3ELS4_3ELNS0_20block_scan_algorithmE0ELj4294967295EEENS1_25partition_config_selectorILNS1_17partition_subalgoE3EjNS0_10empty_typeEbEEZZNS1_14partition_implILS8_3ELb0ES6_jNS0_17counting_iteratorIjlEEPS9_SE_NS0_5tupleIJPjSE_EEENSF_IJSE_SE_EEES9_SG_JZNS1_25segmented_radix_sort_implINS0_14default_configELb1EPKsPsPKlPlN2at6native12_GLOBAL__N_18offset_tEEE10hipError_tPvRmT1_PNSt15iterator_traitsISY_E10value_typeET2_T3_PNSZ_IS14_E10value_typeET4_jRbjT5_S1A_jjP12ihipStream_tbEUljE_EEESV_SW_SX_S14_S18_S1A_T6_T7_T9_mT8_S1C_bDpT10_ENKUlT_T0_E_clISt17integral_constantIbLb0EES1O_IbLb1EEEEDaS1K_S1L_EUlS1K_E_NS1_11comp_targetILNS1_3genE9ELNS1_11target_archE1100ELNS1_3gpuE3ELNS1_3repE0EEENS1_30default_config_static_selectorELNS0_4arch9wavefront6targetE0EEEvSY_.private_seg_size, 0
	.set _ZN7rocprim17ROCPRIM_400000_NS6detail17trampoline_kernelINS0_13select_configILj256ELj13ELNS0_17block_load_methodE3ELS4_3ELS4_3ELNS0_20block_scan_algorithmE0ELj4294967295EEENS1_25partition_config_selectorILNS1_17partition_subalgoE3EjNS0_10empty_typeEbEEZZNS1_14partition_implILS8_3ELb0ES6_jNS0_17counting_iteratorIjlEEPS9_SE_NS0_5tupleIJPjSE_EEENSF_IJSE_SE_EEES9_SG_JZNS1_25segmented_radix_sort_implINS0_14default_configELb1EPKsPsPKlPlN2at6native12_GLOBAL__N_18offset_tEEE10hipError_tPvRmT1_PNSt15iterator_traitsISY_E10value_typeET2_T3_PNSZ_IS14_E10value_typeET4_jRbjT5_S1A_jjP12ihipStream_tbEUljE_EEESV_SW_SX_S14_S18_S1A_T6_T7_T9_mT8_S1C_bDpT10_ENKUlT_T0_E_clISt17integral_constantIbLb0EES1O_IbLb1EEEEDaS1K_S1L_EUlS1K_E_NS1_11comp_targetILNS1_3genE9ELNS1_11target_archE1100ELNS1_3gpuE3ELNS1_3repE0EEENS1_30default_config_static_selectorELNS0_4arch9wavefront6targetE0EEEvSY_.uses_vcc, 0
	.set _ZN7rocprim17ROCPRIM_400000_NS6detail17trampoline_kernelINS0_13select_configILj256ELj13ELNS0_17block_load_methodE3ELS4_3ELS4_3ELNS0_20block_scan_algorithmE0ELj4294967295EEENS1_25partition_config_selectorILNS1_17partition_subalgoE3EjNS0_10empty_typeEbEEZZNS1_14partition_implILS8_3ELb0ES6_jNS0_17counting_iteratorIjlEEPS9_SE_NS0_5tupleIJPjSE_EEENSF_IJSE_SE_EEES9_SG_JZNS1_25segmented_radix_sort_implINS0_14default_configELb1EPKsPsPKlPlN2at6native12_GLOBAL__N_18offset_tEEE10hipError_tPvRmT1_PNSt15iterator_traitsISY_E10value_typeET2_T3_PNSZ_IS14_E10value_typeET4_jRbjT5_S1A_jjP12ihipStream_tbEUljE_EEESV_SW_SX_S14_S18_S1A_T6_T7_T9_mT8_S1C_bDpT10_ENKUlT_T0_E_clISt17integral_constantIbLb0EES1O_IbLb1EEEEDaS1K_S1L_EUlS1K_E_NS1_11comp_targetILNS1_3genE9ELNS1_11target_archE1100ELNS1_3gpuE3ELNS1_3repE0EEENS1_30default_config_static_selectorELNS0_4arch9wavefront6targetE0EEEvSY_.uses_flat_scratch, 0
	.set _ZN7rocprim17ROCPRIM_400000_NS6detail17trampoline_kernelINS0_13select_configILj256ELj13ELNS0_17block_load_methodE3ELS4_3ELS4_3ELNS0_20block_scan_algorithmE0ELj4294967295EEENS1_25partition_config_selectorILNS1_17partition_subalgoE3EjNS0_10empty_typeEbEEZZNS1_14partition_implILS8_3ELb0ES6_jNS0_17counting_iteratorIjlEEPS9_SE_NS0_5tupleIJPjSE_EEENSF_IJSE_SE_EEES9_SG_JZNS1_25segmented_radix_sort_implINS0_14default_configELb1EPKsPsPKlPlN2at6native12_GLOBAL__N_18offset_tEEE10hipError_tPvRmT1_PNSt15iterator_traitsISY_E10value_typeET2_T3_PNSZ_IS14_E10value_typeET4_jRbjT5_S1A_jjP12ihipStream_tbEUljE_EEESV_SW_SX_S14_S18_S1A_T6_T7_T9_mT8_S1C_bDpT10_ENKUlT_T0_E_clISt17integral_constantIbLb0EES1O_IbLb1EEEEDaS1K_S1L_EUlS1K_E_NS1_11comp_targetILNS1_3genE9ELNS1_11target_archE1100ELNS1_3gpuE3ELNS1_3repE0EEENS1_30default_config_static_selectorELNS0_4arch9wavefront6targetE0EEEvSY_.has_dyn_sized_stack, 0
	.set _ZN7rocprim17ROCPRIM_400000_NS6detail17trampoline_kernelINS0_13select_configILj256ELj13ELNS0_17block_load_methodE3ELS4_3ELS4_3ELNS0_20block_scan_algorithmE0ELj4294967295EEENS1_25partition_config_selectorILNS1_17partition_subalgoE3EjNS0_10empty_typeEbEEZZNS1_14partition_implILS8_3ELb0ES6_jNS0_17counting_iteratorIjlEEPS9_SE_NS0_5tupleIJPjSE_EEENSF_IJSE_SE_EEES9_SG_JZNS1_25segmented_radix_sort_implINS0_14default_configELb1EPKsPsPKlPlN2at6native12_GLOBAL__N_18offset_tEEE10hipError_tPvRmT1_PNSt15iterator_traitsISY_E10value_typeET2_T3_PNSZ_IS14_E10value_typeET4_jRbjT5_S1A_jjP12ihipStream_tbEUljE_EEESV_SW_SX_S14_S18_S1A_T6_T7_T9_mT8_S1C_bDpT10_ENKUlT_T0_E_clISt17integral_constantIbLb0EES1O_IbLb1EEEEDaS1K_S1L_EUlS1K_E_NS1_11comp_targetILNS1_3genE9ELNS1_11target_archE1100ELNS1_3gpuE3ELNS1_3repE0EEENS1_30default_config_static_selectorELNS0_4arch9wavefront6targetE0EEEvSY_.has_recursion, 0
	.set _ZN7rocprim17ROCPRIM_400000_NS6detail17trampoline_kernelINS0_13select_configILj256ELj13ELNS0_17block_load_methodE3ELS4_3ELS4_3ELNS0_20block_scan_algorithmE0ELj4294967295EEENS1_25partition_config_selectorILNS1_17partition_subalgoE3EjNS0_10empty_typeEbEEZZNS1_14partition_implILS8_3ELb0ES6_jNS0_17counting_iteratorIjlEEPS9_SE_NS0_5tupleIJPjSE_EEENSF_IJSE_SE_EEES9_SG_JZNS1_25segmented_radix_sort_implINS0_14default_configELb1EPKsPsPKlPlN2at6native12_GLOBAL__N_18offset_tEEE10hipError_tPvRmT1_PNSt15iterator_traitsISY_E10value_typeET2_T3_PNSZ_IS14_E10value_typeET4_jRbjT5_S1A_jjP12ihipStream_tbEUljE_EEESV_SW_SX_S14_S18_S1A_T6_T7_T9_mT8_S1C_bDpT10_ENKUlT_T0_E_clISt17integral_constantIbLb0EES1O_IbLb1EEEEDaS1K_S1L_EUlS1K_E_NS1_11comp_targetILNS1_3genE9ELNS1_11target_archE1100ELNS1_3gpuE3ELNS1_3repE0EEENS1_30default_config_static_selectorELNS0_4arch9wavefront6targetE0EEEvSY_.has_indirect_call, 0
	.section	.AMDGPU.csdata,"",@progbits
; Kernel info:
; codeLenInByte = 0
; TotalNumSgprs: 0
; NumVgprs: 0
; ScratchSize: 0
; MemoryBound: 0
; FloatMode: 240
; IeeeMode: 1
; LDSByteSize: 0 bytes/workgroup (compile time only)
; SGPRBlocks: 0
; VGPRBlocks: 0
; NumSGPRsForWavesPerEU: 1
; NumVGPRsForWavesPerEU: 1
; NamedBarCnt: 0
; Occupancy: 16
; WaveLimiterHint : 0
; COMPUTE_PGM_RSRC2:SCRATCH_EN: 0
; COMPUTE_PGM_RSRC2:USER_SGPR: 2
; COMPUTE_PGM_RSRC2:TRAP_HANDLER: 0
; COMPUTE_PGM_RSRC2:TGID_X_EN: 1
; COMPUTE_PGM_RSRC2:TGID_Y_EN: 0
; COMPUTE_PGM_RSRC2:TGID_Z_EN: 0
; COMPUTE_PGM_RSRC2:TIDIG_COMP_CNT: 0
	.section	.text._ZN7rocprim17ROCPRIM_400000_NS6detail17trampoline_kernelINS0_13select_configILj256ELj13ELNS0_17block_load_methodE3ELS4_3ELS4_3ELNS0_20block_scan_algorithmE0ELj4294967295EEENS1_25partition_config_selectorILNS1_17partition_subalgoE3EjNS0_10empty_typeEbEEZZNS1_14partition_implILS8_3ELb0ES6_jNS0_17counting_iteratorIjlEEPS9_SE_NS0_5tupleIJPjSE_EEENSF_IJSE_SE_EEES9_SG_JZNS1_25segmented_radix_sort_implINS0_14default_configELb1EPKsPsPKlPlN2at6native12_GLOBAL__N_18offset_tEEE10hipError_tPvRmT1_PNSt15iterator_traitsISY_E10value_typeET2_T3_PNSZ_IS14_E10value_typeET4_jRbjT5_S1A_jjP12ihipStream_tbEUljE_EEESV_SW_SX_S14_S18_S1A_T6_T7_T9_mT8_S1C_bDpT10_ENKUlT_T0_E_clISt17integral_constantIbLb0EES1O_IbLb1EEEEDaS1K_S1L_EUlS1K_E_NS1_11comp_targetILNS1_3genE8ELNS1_11target_archE1030ELNS1_3gpuE2ELNS1_3repE0EEENS1_30default_config_static_selectorELNS0_4arch9wavefront6targetE0EEEvSY_,"axG",@progbits,_ZN7rocprim17ROCPRIM_400000_NS6detail17trampoline_kernelINS0_13select_configILj256ELj13ELNS0_17block_load_methodE3ELS4_3ELS4_3ELNS0_20block_scan_algorithmE0ELj4294967295EEENS1_25partition_config_selectorILNS1_17partition_subalgoE3EjNS0_10empty_typeEbEEZZNS1_14partition_implILS8_3ELb0ES6_jNS0_17counting_iteratorIjlEEPS9_SE_NS0_5tupleIJPjSE_EEENSF_IJSE_SE_EEES9_SG_JZNS1_25segmented_radix_sort_implINS0_14default_configELb1EPKsPsPKlPlN2at6native12_GLOBAL__N_18offset_tEEE10hipError_tPvRmT1_PNSt15iterator_traitsISY_E10value_typeET2_T3_PNSZ_IS14_E10value_typeET4_jRbjT5_S1A_jjP12ihipStream_tbEUljE_EEESV_SW_SX_S14_S18_S1A_T6_T7_T9_mT8_S1C_bDpT10_ENKUlT_T0_E_clISt17integral_constantIbLb0EES1O_IbLb1EEEEDaS1K_S1L_EUlS1K_E_NS1_11comp_targetILNS1_3genE8ELNS1_11target_archE1030ELNS1_3gpuE2ELNS1_3repE0EEENS1_30default_config_static_selectorELNS0_4arch9wavefront6targetE0EEEvSY_,comdat
	.globl	_ZN7rocprim17ROCPRIM_400000_NS6detail17trampoline_kernelINS0_13select_configILj256ELj13ELNS0_17block_load_methodE3ELS4_3ELS4_3ELNS0_20block_scan_algorithmE0ELj4294967295EEENS1_25partition_config_selectorILNS1_17partition_subalgoE3EjNS0_10empty_typeEbEEZZNS1_14partition_implILS8_3ELb0ES6_jNS0_17counting_iteratorIjlEEPS9_SE_NS0_5tupleIJPjSE_EEENSF_IJSE_SE_EEES9_SG_JZNS1_25segmented_radix_sort_implINS0_14default_configELb1EPKsPsPKlPlN2at6native12_GLOBAL__N_18offset_tEEE10hipError_tPvRmT1_PNSt15iterator_traitsISY_E10value_typeET2_T3_PNSZ_IS14_E10value_typeET4_jRbjT5_S1A_jjP12ihipStream_tbEUljE_EEESV_SW_SX_S14_S18_S1A_T6_T7_T9_mT8_S1C_bDpT10_ENKUlT_T0_E_clISt17integral_constantIbLb0EES1O_IbLb1EEEEDaS1K_S1L_EUlS1K_E_NS1_11comp_targetILNS1_3genE8ELNS1_11target_archE1030ELNS1_3gpuE2ELNS1_3repE0EEENS1_30default_config_static_selectorELNS0_4arch9wavefront6targetE0EEEvSY_ ; -- Begin function _ZN7rocprim17ROCPRIM_400000_NS6detail17trampoline_kernelINS0_13select_configILj256ELj13ELNS0_17block_load_methodE3ELS4_3ELS4_3ELNS0_20block_scan_algorithmE0ELj4294967295EEENS1_25partition_config_selectorILNS1_17partition_subalgoE3EjNS0_10empty_typeEbEEZZNS1_14partition_implILS8_3ELb0ES6_jNS0_17counting_iteratorIjlEEPS9_SE_NS0_5tupleIJPjSE_EEENSF_IJSE_SE_EEES9_SG_JZNS1_25segmented_radix_sort_implINS0_14default_configELb1EPKsPsPKlPlN2at6native12_GLOBAL__N_18offset_tEEE10hipError_tPvRmT1_PNSt15iterator_traitsISY_E10value_typeET2_T3_PNSZ_IS14_E10value_typeET4_jRbjT5_S1A_jjP12ihipStream_tbEUljE_EEESV_SW_SX_S14_S18_S1A_T6_T7_T9_mT8_S1C_bDpT10_ENKUlT_T0_E_clISt17integral_constantIbLb0EES1O_IbLb1EEEEDaS1K_S1L_EUlS1K_E_NS1_11comp_targetILNS1_3genE8ELNS1_11target_archE1030ELNS1_3gpuE2ELNS1_3repE0EEENS1_30default_config_static_selectorELNS0_4arch9wavefront6targetE0EEEvSY_
	.p2align	8
	.type	_ZN7rocprim17ROCPRIM_400000_NS6detail17trampoline_kernelINS0_13select_configILj256ELj13ELNS0_17block_load_methodE3ELS4_3ELS4_3ELNS0_20block_scan_algorithmE0ELj4294967295EEENS1_25partition_config_selectorILNS1_17partition_subalgoE3EjNS0_10empty_typeEbEEZZNS1_14partition_implILS8_3ELb0ES6_jNS0_17counting_iteratorIjlEEPS9_SE_NS0_5tupleIJPjSE_EEENSF_IJSE_SE_EEES9_SG_JZNS1_25segmented_radix_sort_implINS0_14default_configELb1EPKsPsPKlPlN2at6native12_GLOBAL__N_18offset_tEEE10hipError_tPvRmT1_PNSt15iterator_traitsISY_E10value_typeET2_T3_PNSZ_IS14_E10value_typeET4_jRbjT5_S1A_jjP12ihipStream_tbEUljE_EEESV_SW_SX_S14_S18_S1A_T6_T7_T9_mT8_S1C_bDpT10_ENKUlT_T0_E_clISt17integral_constantIbLb0EES1O_IbLb1EEEEDaS1K_S1L_EUlS1K_E_NS1_11comp_targetILNS1_3genE8ELNS1_11target_archE1030ELNS1_3gpuE2ELNS1_3repE0EEENS1_30default_config_static_selectorELNS0_4arch9wavefront6targetE0EEEvSY_,@function
_ZN7rocprim17ROCPRIM_400000_NS6detail17trampoline_kernelINS0_13select_configILj256ELj13ELNS0_17block_load_methodE3ELS4_3ELS4_3ELNS0_20block_scan_algorithmE0ELj4294967295EEENS1_25partition_config_selectorILNS1_17partition_subalgoE3EjNS0_10empty_typeEbEEZZNS1_14partition_implILS8_3ELb0ES6_jNS0_17counting_iteratorIjlEEPS9_SE_NS0_5tupleIJPjSE_EEENSF_IJSE_SE_EEES9_SG_JZNS1_25segmented_radix_sort_implINS0_14default_configELb1EPKsPsPKlPlN2at6native12_GLOBAL__N_18offset_tEEE10hipError_tPvRmT1_PNSt15iterator_traitsISY_E10value_typeET2_T3_PNSZ_IS14_E10value_typeET4_jRbjT5_S1A_jjP12ihipStream_tbEUljE_EEESV_SW_SX_S14_S18_S1A_T6_T7_T9_mT8_S1C_bDpT10_ENKUlT_T0_E_clISt17integral_constantIbLb0EES1O_IbLb1EEEEDaS1K_S1L_EUlS1K_E_NS1_11comp_targetILNS1_3genE8ELNS1_11target_archE1030ELNS1_3gpuE2ELNS1_3repE0EEENS1_30default_config_static_selectorELNS0_4arch9wavefront6targetE0EEEvSY_: ; @_ZN7rocprim17ROCPRIM_400000_NS6detail17trampoline_kernelINS0_13select_configILj256ELj13ELNS0_17block_load_methodE3ELS4_3ELS4_3ELNS0_20block_scan_algorithmE0ELj4294967295EEENS1_25partition_config_selectorILNS1_17partition_subalgoE3EjNS0_10empty_typeEbEEZZNS1_14partition_implILS8_3ELb0ES6_jNS0_17counting_iteratorIjlEEPS9_SE_NS0_5tupleIJPjSE_EEENSF_IJSE_SE_EEES9_SG_JZNS1_25segmented_radix_sort_implINS0_14default_configELb1EPKsPsPKlPlN2at6native12_GLOBAL__N_18offset_tEEE10hipError_tPvRmT1_PNSt15iterator_traitsISY_E10value_typeET2_T3_PNSZ_IS14_E10value_typeET4_jRbjT5_S1A_jjP12ihipStream_tbEUljE_EEESV_SW_SX_S14_S18_S1A_T6_T7_T9_mT8_S1C_bDpT10_ENKUlT_T0_E_clISt17integral_constantIbLb0EES1O_IbLb1EEEEDaS1K_S1L_EUlS1K_E_NS1_11comp_targetILNS1_3genE8ELNS1_11target_archE1030ELNS1_3gpuE2ELNS1_3repE0EEENS1_30default_config_static_selectorELNS0_4arch9wavefront6targetE0EEEvSY_
; %bb.0:
	.section	.rodata,"a",@progbits
	.p2align	6, 0x0
	.amdhsa_kernel _ZN7rocprim17ROCPRIM_400000_NS6detail17trampoline_kernelINS0_13select_configILj256ELj13ELNS0_17block_load_methodE3ELS4_3ELS4_3ELNS0_20block_scan_algorithmE0ELj4294967295EEENS1_25partition_config_selectorILNS1_17partition_subalgoE3EjNS0_10empty_typeEbEEZZNS1_14partition_implILS8_3ELb0ES6_jNS0_17counting_iteratorIjlEEPS9_SE_NS0_5tupleIJPjSE_EEENSF_IJSE_SE_EEES9_SG_JZNS1_25segmented_radix_sort_implINS0_14default_configELb1EPKsPsPKlPlN2at6native12_GLOBAL__N_18offset_tEEE10hipError_tPvRmT1_PNSt15iterator_traitsISY_E10value_typeET2_T3_PNSZ_IS14_E10value_typeET4_jRbjT5_S1A_jjP12ihipStream_tbEUljE_EEESV_SW_SX_S14_S18_S1A_T6_T7_T9_mT8_S1C_bDpT10_ENKUlT_T0_E_clISt17integral_constantIbLb0EES1O_IbLb1EEEEDaS1K_S1L_EUlS1K_E_NS1_11comp_targetILNS1_3genE8ELNS1_11target_archE1030ELNS1_3gpuE2ELNS1_3repE0EEENS1_30default_config_static_selectorELNS0_4arch9wavefront6targetE0EEEvSY_
		.amdhsa_group_segment_fixed_size 0
		.amdhsa_private_segment_fixed_size 0
		.amdhsa_kernarg_size 152
		.amdhsa_user_sgpr_count 2
		.amdhsa_user_sgpr_dispatch_ptr 0
		.amdhsa_user_sgpr_queue_ptr 0
		.amdhsa_user_sgpr_kernarg_segment_ptr 1
		.amdhsa_user_sgpr_dispatch_id 0
		.amdhsa_user_sgpr_kernarg_preload_length 0
		.amdhsa_user_sgpr_kernarg_preload_offset 0
		.amdhsa_user_sgpr_private_segment_size 0
		.amdhsa_wavefront_size32 1
		.amdhsa_uses_dynamic_stack 0
		.amdhsa_enable_private_segment 0
		.amdhsa_system_sgpr_workgroup_id_x 1
		.amdhsa_system_sgpr_workgroup_id_y 0
		.amdhsa_system_sgpr_workgroup_id_z 0
		.amdhsa_system_sgpr_workgroup_info 0
		.amdhsa_system_vgpr_workitem_id 0
		.amdhsa_next_free_vgpr 1
		.amdhsa_next_free_sgpr 1
		.amdhsa_named_barrier_count 0
		.amdhsa_reserve_vcc 0
		.amdhsa_float_round_mode_32 0
		.amdhsa_float_round_mode_16_64 0
		.amdhsa_float_denorm_mode_32 3
		.amdhsa_float_denorm_mode_16_64 3
		.amdhsa_fp16_overflow 0
		.amdhsa_memory_ordered 1
		.amdhsa_forward_progress 1
		.amdhsa_inst_pref_size 0
		.amdhsa_round_robin_scheduling 0
		.amdhsa_exception_fp_ieee_invalid_op 0
		.amdhsa_exception_fp_denorm_src 0
		.amdhsa_exception_fp_ieee_div_zero 0
		.amdhsa_exception_fp_ieee_overflow 0
		.amdhsa_exception_fp_ieee_underflow 0
		.amdhsa_exception_fp_ieee_inexact 0
		.amdhsa_exception_int_div_zero 0
	.end_amdhsa_kernel
	.section	.text._ZN7rocprim17ROCPRIM_400000_NS6detail17trampoline_kernelINS0_13select_configILj256ELj13ELNS0_17block_load_methodE3ELS4_3ELS4_3ELNS0_20block_scan_algorithmE0ELj4294967295EEENS1_25partition_config_selectorILNS1_17partition_subalgoE3EjNS0_10empty_typeEbEEZZNS1_14partition_implILS8_3ELb0ES6_jNS0_17counting_iteratorIjlEEPS9_SE_NS0_5tupleIJPjSE_EEENSF_IJSE_SE_EEES9_SG_JZNS1_25segmented_radix_sort_implINS0_14default_configELb1EPKsPsPKlPlN2at6native12_GLOBAL__N_18offset_tEEE10hipError_tPvRmT1_PNSt15iterator_traitsISY_E10value_typeET2_T3_PNSZ_IS14_E10value_typeET4_jRbjT5_S1A_jjP12ihipStream_tbEUljE_EEESV_SW_SX_S14_S18_S1A_T6_T7_T9_mT8_S1C_bDpT10_ENKUlT_T0_E_clISt17integral_constantIbLb0EES1O_IbLb1EEEEDaS1K_S1L_EUlS1K_E_NS1_11comp_targetILNS1_3genE8ELNS1_11target_archE1030ELNS1_3gpuE2ELNS1_3repE0EEENS1_30default_config_static_selectorELNS0_4arch9wavefront6targetE0EEEvSY_,"axG",@progbits,_ZN7rocprim17ROCPRIM_400000_NS6detail17trampoline_kernelINS0_13select_configILj256ELj13ELNS0_17block_load_methodE3ELS4_3ELS4_3ELNS0_20block_scan_algorithmE0ELj4294967295EEENS1_25partition_config_selectorILNS1_17partition_subalgoE3EjNS0_10empty_typeEbEEZZNS1_14partition_implILS8_3ELb0ES6_jNS0_17counting_iteratorIjlEEPS9_SE_NS0_5tupleIJPjSE_EEENSF_IJSE_SE_EEES9_SG_JZNS1_25segmented_radix_sort_implINS0_14default_configELb1EPKsPsPKlPlN2at6native12_GLOBAL__N_18offset_tEEE10hipError_tPvRmT1_PNSt15iterator_traitsISY_E10value_typeET2_T3_PNSZ_IS14_E10value_typeET4_jRbjT5_S1A_jjP12ihipStream_tbEUljE_EEESV_SW_SX_S14_S18_S1A_T6_T7_T9_mT8_S1C_bDpT10_ENKUlT_T0_E_clISt17integral_constantIbLb0EES1O_IbLb1EEEEDaS1K_S1L_EUlS1K_E_NS1_11comp_targetILNS1_3genE8ELNS1_11target_archE1030ELNS1_3gpuE2ELNS1_3repE0EEENS1_30default_config_static_selectorELNS0_4arch9wavefront6targetE0EEEvSY_,comdat
.Lfunc_end906:
	.size	_ZN7rocprim17ROCPRIM_400000_NS6detail17trampoline_kernelINS0_13select_configILj256ELj13ELNS0_17block_load_methodE3ELS4_3ELS4_3ELNS0_20block_scan_algorithmE0ELj4294967295EEENS1_25partition_config_selectorILNS1_17partition_subalgoE3EjNS0_10empty_typeEbEEZZNS1_14partition_implILS8_3ELb0ES6_jNS0_17counting_iteratorIjlEEPS9_SE_NS0_5tupleIJPjSE_EEENSF_IJSE_SE_EEES9_SG_JZNS1_25segmented_radix_sort_implINS0_14default_configELb1EPKsPsPKlPlN2at6native12_GLOBAL__N_18offset_tEEE10hipError_tPvRmT1_PNSt15iterator_traitsISY_E10value_typeET2_T3_PNSZ_IS14_E10value_typeET4_jRbjT5_S1A_jjP12ihipStream_tbEUljE_EEESV_SW_SX_S14_S18_S1A_T6_T7_T9_mT8_S1C_bDpT10_ENKUlT_T0_E_clISt17integral_constantIbLb0EES1O_IbLb1EEEEDaS1K_S1L_EUlS1K_E_NS1_11comp_targetILNS1_3genE8ELNS1_11target_archE1030ELNS1_3gpuE2ELNS1_3repE0EEENS1_30default_config_static_selectorELNS0_4arch9wavefront6targetE0EEEvSY_, .Lfunc_end906-_ZN7rocprim17ROCPRIM_400000_NS6detail17trampoline_kernelINS0_13select_configILj256ELj13ELNS0_17block_load_methodE3ELS4_3ELS4_3ELNS0_20block_scan_algorithmE0ELj4294967295EEENS1_25partition_config_selectorILNS1_17partition_subalgoE3EjNS0_10empty_typeEbEEZZNS1_14partition_implILS8_3ELb0ES6_jNS0_17counting_iteratorIjlEEPS9_SE_NS0_5tupleIJPjSE_EEENSF_IJSE_SE_EEES9_SG_JZNS1_25segmented_radix_sort_implINS0_14default_configELb1EPKsPsPKlPlN2at6native12_GLOBAL__N_18offset_tEEE10hipError_tPvRmT1_PNSt15iterator_traitsISY_E10value_typeET2_T3_PNSZ_IS14_E10value_typeET4_jRbjT5_S1A_jjP12ihipStream_tbEUljE_EEESV_SW_SX_S14_S18_S1A_T6_T7_T9_mT8_S1C_bDpT10_ENKUlT_T0_E_clISt17integral_constantIbLb0EES1O_IbLb1EEEEDaS1K_S1L_EUlS1K_E_NS1_11comp_targetILNS1_3genE8ELNS1_11target_archE1030ELNS1_3gpuE2ELNS1_3repE0EEENS1_30default_config_static_selectorELNS0_4arch9wavefront6targetE0EEEvSY_
                                        ; -- End function
	.set _ZN7rocprim17ROCPRIM_400000_NS6detail17trampoline_kernelINS0_13select_configILj256ELj13ELNS0_17block_load_methodE3ELS4_3ELS4_3ELNS0_20block_scan_algorithmE0ELj4294967295EEENS1_25partition_config_selectorILNS1_17partition_subalgoE3EjNS0_10empty_typeEbEEZZNS1_14partition_implILS8_3ELb0ES6_jNS0_17counting_iteratorIjlEEPS9_SE_NS0_5tupleIJPjSE_EEENSF_IJSE_SE_EEES9_SG_JZNS1_25segmented_radix_sort_implINS0_14default_configELb1EPKsPsPKlPlN2at6native12_GLOBAL__N_18offset_tEEE10hipError_tPvRmT1_PNSt15iterator_traitsISY_E10value_typeET2_T3_PNSZ_IS14_E10value_typeET4_jRbjT5_S1A_jjP12ihipStream_tbEUljE_EEESV_SW_SX_S14_S18_S1A_T6_T7_T9_mT8_S1C_bDpT10_ENKUlT_T0_E_clISt17integral_constantIbLb0EES1O_IbLb1EEEEDaS1K_S1L_EUlS1K_E_NS1_11comp_targetILNS1_3genE8ELNS1_11target_archE1030ELNS1_3gpuE2ELNS1_3repE0EEENS1_30default_config_static_selectorELNS0_4arch9wavefront6targetE0EEEvSY_.num_vgpr, 0
	.set _ZN7rocprim17ROCPRIM_400000_NS6detail17trampoline_kernelINS0_13select_configILj256ELj13ELNS0_17block_load_methodE3ELS4_3ELS4_3ELNS0_20block_scan_algorithmE0ELj4294967295EEENS1_25partition_config_selectorILNS1_17partition_subalgoE3EjNS0_10empty_typeEbEEZZNS1_14partition_implILS8_3ELb0ES6_jNS0_17counting_iteratorIjlEEPS9_SE_NS0_5tupleIJPjSE_EEENSF_IJSE_SE_EEES9_SG_JZNS1_25segmented_radix_sort_implINS0_14default_configELb1EPKsPsPKlPlN2at6native12_GLOBAL__N_18offset_tEEE10hipError_tPvRmT1_PNSt15iterator_traitsISY_E10value_typeET2_T3_PNSZ_IS14_E10value_typeET4_jRbjT5_S1A_jjP12ihipStream_tbEUljE_EEESV_SW_SX_S14_S18_S1A_T6_T7_T9_mT8_S1C_bDpT10_ENKUlT_T0_E_clISt17integral_constantIbLb0EES1O_IbLb1EEEEDaS1K_S1L_EUlS1K_E_NS1_11comp_targetILNS1_3genE8ELNS1_11target_archE1030ELNS1_3gpuE2ELNS1_3repE0EEENS1_30default_config_static_selectorELNS0_4arch9wavefront6targetE0EEEvSY_.num_agpr, 0
	.set _ZN7rocprim17ROCPRIM_400000_NS6detail17trampoline_kernelINS0_13select_configILj256ELj13ELNS0_17block_load_methodE3ELS4_3ELS4_3ELNS0_20block_scan_algorithmE0ELj4294967295EEENS1_25partition_config_selectorILNS1_17partition_subalgoE3EjNS0_10empty_typeEbEEZZNS1_14partition_implILS8_3ELb0ES6_jNS0_17counting_iteratorIjlEEPS9_SE_NS0_5tupleIJPjSE_EEENSF_IJSE_SE_EEES9_SG_JZNS1_25segmented_radix_sort_implINS0_14default_configELb1EPKsPsPKlPlN2at6native12_GLOBAL__N_18offset_tEEE10hipError_tPvRmT1_PNSt15iterator_traitsISY_E10value_typeET2_T3_PNSZ_IS14_E10value_typeET4_jRbjT5_S1A_jjP12ihipStream_tbEUljE_EEESV_SW_SX_S14_S18_S1A_T6_T7_T9_mT8_S1C_bDpT10_ENKUlT_T0_E_clISt17integral_constantIbLb0EES1O_IbLb1EEEEDaS1K_S1L_EUlS1K_E_NS1_11comp_targetILNS1_3genE8ELNS1_11target_archE1030ELNS1_3gpuE2ELNS1_3repE0EEENS1_30default_config_static_selectorELNS0_4arch9wavefront6targetE0EEEvSY_.numbered_sgpr, 0
	.set _ZN7rocprim17ROCPRIM_400000_NS6detail17trampoline_kernelINS0_13select_configILj256ELj13ELNS0_17block_load_methodE3ELS4_3ELS4_3ELNS0_20block_scan_algorithmE0ELj4294967295EEENS1_25partition_config_selectorILNS1_17partition_subalgoE3EjNS0_10empty_typeEbEEZZNS1_14partition_implILS8_3ELb0ES6_jNS0_17counting_iteratorIjlEEPS9_SE_NS0_5tupleIJPjSE_EEENSF_IJSE_SE_EEES9_SG_JZNS1_25segmented_radix_sort_implINS0_14default_configELb1EPKsPsPKlPlN2at6native12_GLOBAL__N_18offset_tEEE10hipError_tPvRmT1_PNSt15iterator_traitsISY_E10value_typeET2_T3_PNSZ_IS14_E10value_typeET4_jRbjT5_S1A_jjP12ihipStream_tbEUljE_EEESV_SW_SX_S14_S18_S1A_T6_T7_T9_mT8_S1C_bDpT10_ENKUlT_T0_E_clISt17integral_constantIbLb0EES1O_IbLb1EEEEDaS1K_S1L_EUlS1K_E_NS1_11comp_targetILNS1_3genE8ELNS1_11target_archE1030ELNS1_3gpuE2ELNS1_3repE0EEENS1_30default_config_static_selectorELNS0_4arch9wavefront6targetE0EEEvSY_.num_named_barrier, 0
	.set _ZN7rocprim17ROCPRIM_400000_NS6detail17trampoline_kernelINS0_13select_configILj256ELj13ELNS0_17block_load_methodE3ELS4_3ELS4_3ELNS0_20block_scan_algorithmE0ELj4294967295EEENS1_25partition_config_selectorILNS1_17partition_subalgoE3EjNS0_10empty_typeEbEEZZNS1_14partition_implILS8_3ELb0ES6_jNS0_17counting_iteratorIjlEEPS9_SE_NS0_5tupleIJPjSE_EEENSF_IJSE_SE_EEES9_SG_JZNS1_25segmented_radix_sort_implINS0_14default_configELb1EPKsPsPKlPlN2at6native12_GLOBAL__N_18offset_tEEE10hipError_tPvRmT1_PNSt15iterator_traitsISY_E10value_typeET2_T3_PNSZ_IS14_E10value_typeET4_jRbjT5_S1A_jjP12ihipStream_tbEUljE_EEESV_SW_SX_S14_S18_S1A_T6_T7_T9_mT8_S1C_bDpT10_ENKUlT_T0_E_clISt17integral_constantIbLb0EES1O_IbLb1EEEEDaS1K_S1L_EUlS1K_E_NS1_11comp_targetILNS1_3genE8ELNS1_11target_archE1030ELNS1_3gpuE2ELNS1_3repE0EEENS1_30default_config_static_selectorELNS0_4arch9wavefront6targetE0EEEvSY_.private_seg_size, 0
	.set _ZN7rocprim17ROCPRIM_400000_NS6detail17trampoline_kernelINS0_13select_configILj256ELj13ELNS0_17block_load_methodE3ELS4_3ELS4_3ELNS0_20block_scan_algorithmE0ELj4294967295EEENS1_25partition_config_selectorILNS1_17partition_subalgoE3EjNS0_10empty_typeEbEEZZNS1_14partition_implILS8_3ELb0ES6_jNS0_17counting_iteratorIjlEEPS9_SE_NS0_5tupleIJPjSE_EEENSF_IJSE_SE_EEES9_SG_JZNS1_25segmented_radix_sort_implINS0_14default_configELb1EPKsPsPKlPlN2at6native12_GLOBAL__N_18offset_tEEE10hipError_tPvRmT1_PNSt15iterator_traitsISY_E10value_typeET2_T3_PNSZ_IS14_E10value_typeET4_jRbjT5_S1A_jjP12ihipStream_tbEUljE_EEESV_SW_SX_S14_S18_S1A_T6_T7_T9_mT8_S1C_bDpT10_ENKUlT_T0_E_clISt17integral_constantIbLb0EES1O_IbLb1EEEEDaS1K_S1L_EUlS1K_E_NS1_11comp_targetILNS1_3genE8ELNS1_11target_archE1030ELNS1_3gpuE2ELNS1_3repE0EEENS1_30default_config_static_selectorELNS0_4arch9wavefront6targetE0EEEvSY_.uses_vcc, 0
	.set _ZN7rocprim17ROCPRIM_400000_NS6detail17trampoline_kernelINS0_13select_configILj256ELj13ELNS0_17block_load_methodE3ELS4_3ELS4_3ELNS0_20block_scan_algorithmE0ELj4294967295EEENS1_25partition_config_selectorILNS1_17partition_subalgoE3EjNS0_10empty_typeEbEEZZNS1_14partition_implILS8_3ELb0ES6_jNS0_17counting_iteratorIjlEEPS9_SE_NS0_5tupleIJPjSE_EEENSF_IJSE_SE_EEES9_SG_JZNS1_25segmented_radix_sort_implINS0_14default_configELb1EPKsPsPKlPlN2at6native12_GLOBAL__N_18offset_tEEE10hipError_tPvRmT1_PNSt15iterator_traitsISY_E10value_typeET2_T3_PNSZ_IS14_E10value_typeET4_jRbjT5_S1A_jjP12ihipStream_tbEUljE_EEESV_SW_SX_S14_S18_S1A_T6_T7_T9_mT8_S1C_bDpT10_ENKUlT_T0_E_clISt17integral_constantIbLb0EES1O_IbLb1EEEEDaS1K_S1L_EUlS1K_E_NS1_11comp_targetILNS1_3genE8ELNS1_11target_archE1030ELNS1_3gpuE2ELNS1_3repE0EEENS1_30default_config_static_selectorELNS0_4arch9wavefront6targetE0EEEvSY_.uses_flat_scratch, 0
	.set _ZN7rocprim17ROCPRIM_400000_NS6detail17trampoline_kernelINS0_13select_configILj256ELj13ELNS0_17block_load_methodE3ELS4_3ELS4_3ELNS0_20block_scan_algorithmE0ELj4294967295EEENS1_25partition_config_selectorILNS1_17partition_subalgoE3EjNS0_10empty_typeEbEEZZNS1_14partition_implILS8_3ELb0ES6_jNS0_17counting_iteratorIjlEEPS9_SE_NS0_5tupleIJPjSE_EEENSF_IJSE_SE_EEES9_SG_JZNS1_25segmented_radix_sort_implINS0_14default_configELb1EPKsPsPKlPlN2at6native12_GLOBAL__N_18offset_tEEE10hipError_tPvRmT1_PNSt15iterator_traitsISY_E10value_typeET2_T3_PNSZ_IS14_E10value_typeET4_jRbjT5_S1A_jjP12ihipStream_tbEUljE_EEESV_SW_SX_S14_S18_S1A_T6_T7_T9_mT8_S1C_bDpT10_ENKUlT_T0_E_clISt17integral_constantIbLb0EES1O_IbLb1EEEEDaS1K_S1L_EUlS1K_E_NS1_11comp_targetILNS1_3genE8ELNS1_11target_archE1030ELNS1_3gpuE2ELNS1_3repE0EEENS1_30default_config_static_selectorELNS0_4arch9wavefront6targetE0EEEvSY_.has_dyn_sized_stack, 0
	.set _ZN7rocprim17ROCPRIM_400000_NS6detail17trampoline_kernelINS0_13select_configILj256ELj13ELNS0_17block_load_methodE3ELS4_3ELS4_3ELNS0_20block_scan_algorithmE0ELj4294967295EEENS1_25partition_config_selectorILNS1_17partition_subalgoE3EjNS0_10empty_typeEbEEZZNS1_14partition_implILS8_3ELb0ES6_jNS0_17counting_iteratorIjlEEPS9_SE_NS0_5tupleIJPjSE_EEENSF_IJSE_SE_EEES9_SG_JZNS1_25segmented_radix_sort_implINS0_14default_configELb1EPKsPsPKlPlN2at6native12_GLOBAL__N_18offset_tEEE10hipError_tPvRmT1_PNSt15iterator_traitsISY_E10value_typeET2_T3_PNSZ_IS14_E10value_typeET4_jRbjT5_S1A_jjP12ihipStream_tbEUljE_EEESV_SW_SX_S14_S18_S1A_T6_T7_T9_mT8_S1C_bDpT10_ENKUlT_T0_E_clISt17integral_constantIbLb0EES1O_IbLb1EEEEDaS1K_S1L_EUlS1K_E_NS1_11comp_targetILNS1_3genE8ELNS1_11target_archE1030ELNS1_3gpuE2ELNS1_3repE0EEENS1_30default_config_static_selectorELNS0_4arch9wavefront6targetE0EEEvSY_.has_recursion, 0
	.set _ZN7rocprim17ROCPRIM_400000_NS6detail17trampoline_kernelINS0_13select_configILj256ELj13ELNS0_17block_load_methodE3ELS4_3ELS4_3ELNS0_20block_scan_algorithmE0ELj4294967295EEENS1_25partition_config_selectorILNS1_17partition_subalgoE3EjNS0_10empty_typeEbEEZZNS1_14partition_implILS8_3ELb0ES6_jNS0_17counting_iteratorIjlEEPS9_SE_NS0_5tupleIJPjSE_EEENSF_IJSE_SE_EEES9_SG_JZNS1_25segmented_radix_sort_implINS0_14default_configELb1EPKsPsPKlPlN2at6native12_GLOBAL__N_18offset_tEEE10hipError_tPvRmT1_PNSt15iterator_traitsISY_E10value_typeET2_T3_PNSZ_IS14_E10value_typeET4_jRbjT5_S1A_jjP12ihipStream_tbEUljE_EEESV_SW_SX_S14_S18_S1A_T6_T7_T9_mT8_S1C_bDpT10_ENKUlT_T0_E_clISt17integral_constantIbLb0EES1O_IbLb1EEEEDaS1K_S1L_EUlS1K_E_NS1_11comp_targetILNS1_3genE8ELNS1_11target_archE1030ELNS1_3gpuE2ELNS1_3repE0EEENS1_30default_config_static_selectorELNS0_4arch9wavefront6targetE0EEEvSY_.has_indirect_call, 0
	.section	.AMDGPU.csdata,"",@progbits
; Kernel info:
; codeLenInByte = 0
; TotalNumSgprs: 0
; NumVgprs: 0
; ScratchSize: 0
; MemoryBound: 0
; FloatMode: 240
; IeeeMode: 1
; LDSByteSize: 0 bytes/workgroup (compile time only)
; SGPRBlocks: 0
; VGPRBlocks: 0
; NumSGPRsForWavesPerEU: 1
; NumVGPRsForWavesPerEU: 1
; NamedBarCnt: 0
; Occupancy: 16
; WaveLimiterHint : 0
; COMPUTE_PGM_RSRC2:SCRATCH_EN: 0
; COMPUTE_PGM_RSRC2:USER_SGPR: 2
; COMPUTE_PGM_RSRC2:TRAP_HANDLER: 0
; COMPUTE_PGM_RSRC2:TGID_X_EN: 1
; COMPUTE_PGM_RSRC2:TGID_Y_EN: 0
; COMPUTE_PGM_RSRC2:TGID_Z_EN: 0
; COMPUTE_PGM_RSRC2:TIDIG_COMP_CNT: 0
	.text
	.p2align	2                               ; -- Begin function _ZN7rocprim17ROCPRIM_400000_NS6detail40segmented_radix_sort_single_block_helperIslLj256ELj17ELb1EE4sortIPKsPsPKlPlEEbT_T0_T1_T2_jjjjRNS3_12storage_typeE
	.type	_ZN7rocprim17ROCPRIM_400000_NS6detail40segmented_radix_sort_single_block_helperIslLj256ELj17ELb1EE4sortIPKsPsPKlPlEEbT_T0_T1_T2_jjjjRNS3_12storage_typeE,@function
_ZN7rocprim17ROCPRIM_400000_NS6detail40segmented_radix_sort_single_block_helperIslLj256ELj17ELb1EE4sortIPKsPsPKlPlEEbT_T0_T1_T2_jjjjRNS3_12storage_typeE: ; @_ZN7rocprim17ROCPRIM_400000_NS6detail40segmented_radix_sort_single_block_helperIslLj256ELj17ELb1EE4sortIPKsPsPKlPlEEbT_T0_T1_T2_jjjjRNS3_12storage_typeE
; %bb.0:
	s_wait_loadcnt_dscnt 0x0
	s_wait_kmcnt 0x0
	s_set_vgpr_msb 64                       ;  msbs: dst=1 src0=0 src1=0 src2=0
	v_sub_nc_u32_e32 v12 /*v268*/, v9, v8
	s_mov_b32 s20, exec_lo
	s_set_vgpr_msb 4                        ;  msbs: dst=0 src0=0 src1=1 src2=0
	s_delay_alu instid0(VALU_DEP_1)
	v_cmpx_gt_u32_e32 0x1101, v12 /*v268*/
	s_set_vgpr_msb 0                        ;  msbs: dst=0 src0=0 src1=0 src2=0
	s_cbranch_execz .LBB907_382
; %bb.1:
	v_bfe_u32 v9, v31, 10, 10
	v_bfe_u32 v14, v31, 20, 10
	v_and_b32_e32 v18, 0x3ff, v31
	v_mbcnt_lo_u32_b32 v66, -1, 0
	s_getreg_b32 s21, hwreg(HW_REG_IB_STS2, 6, 4)
	s_mov_b32 s0, exec_lo
	s_set_vgpr_msb 4                        ;  msbs: dst=0 src0=0 src1=1 src2=0
	v_cmpx_lt_u32_e32 0x800, v12 /*v268*/
	s_xor_b32 s22, exec_lo, s0
	s_set_vgpr_msb 0                        ;  msbs: dst=0 src0=0 src1=0 src2=0
	s_cbranch_execz .LBB907_151
; %bb.2:
	s_load_b64 s[0:1], s[8:9], 0x0
	s_bfe_u32 s3, ttmp6, 0x4000c
	s_bfe_u32 s5, ttmp6, 0x40010
	s_and_b32 s4, ttmp7, 0xffff
	s_add_co_i32 s3, s3, 1
	s_add_co_i32 s5, s5, 1
	s_and_b32 s2, ttmp6, 15
	s_bfe_u32 s6, ttmp6, 0x40004
	s_mul_i32 s3, ttmp9, s3
	s_mul_i32 s5, s4, s5
	s_add_co_i32 s2, s2, s3
	s_add_co_i32 s6, s6, s5
	s_cmp_eq_u32 s21, 0
	s_mov_b32 s3, 0
	s_cselect_b32 s2, ttmp9, s2
	s_cselect_b32 s4, s4, s6
	v_dual_mov_b32 v103, -1 :: v_dual_mov_b32 v101, -1
	s_wait_kmcnt 0x0
	s_cmp_lt_u32 s2, s0
	s_cselect_b32 s2, 12, 18
	s_cmp_lt_u32 s4, s1
	s_mov_b32 s1, s3
	s_cselect_b32 s0, 14, 20
	s_delay_alu instid0(SALU_CYCLE_1)
	s_add_nc_u64 s[0:1], s[8:9], s[0:1]
	s_load_u16 s4, s[0:1], 0x0
	s_wait_xcnt 0x0
	s_add_nc_u64 s[0:1], s[8:9], s[2:3]
	s_load_u16 s0, s[0:1], 0x0
	s_wait_kmcnt 0x0
	v_mad_u32_u24 v9, v14, s4, v9
	v_lshlrev_b32_e32 v14, 1, v66
	s_delay_alu instid0(VALU_DEP_2) | instskip(SKIP_1) | instid1(VALU_DEP_1)
	v_mad_u32 v38, v9, s0, v18
	v_mov_b32_e32 v9, 0
	v_lshl_add_u64 v[16:17], v[8:9], 1, v[0:1]
	v_dual_mov_b32 v15, v9 :: v_dual_mov_b32 v1, v9
	s_delay_alu instid0(VALU_DEP_4) | instskip(NEXT) | instid1(VALU_DEP_2)
	v_and_b32_e32 v19, 0xffffffe0, v38
	v_add_nc_u64_e32 v[14:15], v[16:17], v[14:15]
	s_delay_alu instid0(VALU_DEP_2) | instskip(NEXT) | instid1(VALU_DEP_1)
	v_lshl_add_u32 v0, v19, 4, v19
	v_or_b32_e32 v16, v0, v66
	s_delay_alu instid0(VALU_DEP_3) | instskip(SKIP_1) | instid1(VALU_DEP_2)
	v_lshl_add_u64 v[14:15], v[0:1], 1, v[14:15]
	s_set_vgpr_msb 4                        ;  msbs: dst=0 src0=0 src1=1 src2=0
	v_cmp_lt_u32_e32 vcc_lo, v16, v12 /*v268*/
	s_and_saveexec_b32 s0, vcc_lo
	s_set_vgpr_msb 0                        ;  msbs: dst=0 src0=0 src1=0 src2=0
	s_cbranch_execz .LBB907_4
; %bb.3:
	flat_load_u16 v17, v[14:15]
	s_wait_loadcnt_dscnt 0x0
	v_xor_b32_e32 v103, 0x7fff, v17
.LBB907_4:
	s_wait_xcnt 0x0
	s_or_b32 exec_lo, exec_lo, s0
	v_add_nc_u32_e32 v17, 32, v16
	s_set_vgpr_msb 4                        ;  msbs: dst=0 src0=0 src1=1 src2=0
	s_delay_alu instid0(VALU_DEP_1)
	v_cmp_lt_u32_e64 s0, v17, v12 /*v268*/
	s_and_saveexec_b32 s1, s0
	s_set_vgpr_msb 0                        ;  msbs: dst=0 src0=0 src1=0 src2=0
	s_cbranch_execz .LBB907_6
; %bb.5:
	flat_load_u16 v17, v[14:15] offset:64
	s_wait_loadcnt_dscnt 0x0
	v_xor_b32_e32 v101, 0x7fff, v17
.LBB907_6:
	s_wait_xcnt 0x0
	s_or_b32 exec_lo, exec_lo, s1
	v_dual_add_nc_u32 v17, 64, v16 :: v_dual_mov_b32 v113, -1
	v_mov_b32_e32 v117, -1
	s_set_vgpr_msb 4                        ;  msbs: dst=0 src0=0 src1=1 src2=0
	s_delay_alu instid0(VALU_DEP_2)
	v_cmp_lt_u32_e64 s1, v17, v12 /*v268*/
	s_and_saveexec_b32 s2, s1
	s_set_vgpr_msb 0                        ;  msbs: dst=0 src0=0 src1=0 src2=0
	s_cbranch_execz .LBB907_8
; %bb.7:
	flat_load_u16 v17, v[14:15] offset:128
	s_wait_loadcnt_dscnt 0x0
	v_xor_b32_e32 v117, 0x7fff, v17
.LBB907_8:
	s_wait_xcnt 0x0
	s_or_b32 exec_lo, exec_lo, s2
	v_add_nc_u32_e32 v17, 0x60, v16
	s_set_vgpr_msb 4                        ;  msbs: dst=0 src0=0 src1=1 src2=0
	s_delay_alu instid0(VALU_DEP_1)
	v_cmp_lt_u32_e64 s2, v17, v12 /*v268*/
	s_and_saveexec_b32 s3, s2
	s_set_vgpr_msb 0                        ;  msbs: dst=0 src0=0 src1=0 src2=0
	s_cbranch_execz .LBB907_10
; %bb.9:
	flat_load_u16 v17, v[14:15] offset:192
	s_wait_loadcnt_dscnt 0x0
	v_xor_b32_e32 v113, 0x7fff, v17
.LBB907_10:
	s_wait_xcnt 0x0
	s_or_b32 exec_lo, exec_lo, s3
	v_add_nc_u32_e32 v17, 0x80, v16
	v_dual_mov_b32 v119, -1 :: v_dual_mov_b32 v129, -1
	s_set_vgpr_msb 4                        ;  msbs: dst=0 src0=0 src1=1 src2=0
	s_delay_alu instid0(VALU_DEP_2)
	v_cmp_lt_u32_e64 s3, v17, v12 /*v268*/
	s_and_saveexec_b32 s4, s3
	s_set_vgpr_msb 0                        ;  msbs: dst=0 src0=0 src1=0 src2=0
	s_cbranch_execz .LBB907_12
; %bb.11:
	flat_load_u16 v17, v[14:15] offset:256
	s_wait_loadcnt_dscnt 0x0
	v_xor_b32_e32 v129, 0x7fff, v17
.LBB907_12:
	s_wait_xcnt 0x0
	s_or_b32 exec_lo, exec_lo, s4
	v_add_nc_u32_e32 v17, 0xa0, v16
	s_set_vgpr_msb 4                        ;  msbs: dst=0 src0=0 src1=1 src2=0
	s_delay_alu instid0(VALU_DEP_1)
	v_cmp_lt_u32_e64 s4, v17, v12 /*v268*/
	s_and_saveexec_b32 s5, s4
	s_set_vgpr_msb 0                        ;  msbs: dst=0 src0=0 src1=0 src2=0
	s_cbranch_execz .LBB907_14
; %bb.13:
	flat_load_u16 v17, v[14:15] offset:320
	s_wait_loadcnt_dscnt 0x0
	v_xor_b32_e32 v119, 0x7fff, v17
.LBB907_14:
	s_wait_xcnt 0x0
	s_or_b32 exec_lo, exec_lo, s5
	v_add_nc_u32_e32 v17, 0xc0, v16
	v_dual_mov_b32 v131, -1 :: v_dual_mov_b32 v133, -1
	;; [unrolled: 29-line block ×6, first 2 shown]
	s_set_vgpr_msb 4                        ;  msbs: dst=0 src0=0 src1=1 src2=0
	s_delay_alu instid0(VALU_DEP_2)
	v_cmp_lt_u32_e64 s15, v17, v12 /*v268*/
	s_and_saveexec_b32 s16, s15
	s_set_vgpr_msb 0                        ;  msbs: dst=0 src0=0 src1=0 src2=0
	s_cbranch_execz .LBB907_32
; %bb.31:
	flat_load_u16 v17, v[14:15] offset:896
	s_wait_loadcnt_dscnt 0x0
	v_xor_b32_e32 v177, 0x7fff, v17
.LBB907_32:
	s_wait_xcnt 0x0
	s_or_b32 exec_lo, exec_lo, s16
	v_add_nc_u32_e32 v17, 0x1e0, v16
	s_set_vgpr_msb 4                        ;  msbs: dst=0 src0=0 src1=1 src2=0
	s_delay_alu instid0(VALU_DEP_1)
	v_cmp_lt_u32_e64 s16, v17, v12 /*v268*/
	s_and_saveexec_b32 s17, s16
	s_set_vgpr_msb 0                        ;  msbs: dst=0 src0=0 src1=0 src2=0
	s_cbranch_execz .LBB907_34
; %bb.33:
	flat_load_u16 v17, v[14:15] offset:960
	s_wait_loadcnt_dscnt 0x0
	v_xor_b32_e32 v167, 0x7fff, v17
.LBB907_34:
	s_wait_xcnt 0x0
	s_or_b32 exec_lo, exec_lo, s17
	v_add_nc_u32_e32 v16, 0x200, v16
	s_set_vgpr_msb 64                       ;  msbs: dst=1 src0=0 src1=0 src2=0
	v_mov_b32_e32 v47 /*v303*/, -1
	s_set_vgpr_msb 4                        ;  msbs: dst=0 src0=0 src1=1 src2=0
	s_delay_alu instid0(VALU_DEP_2)
	v_cmp_lt_u32_e64 s17, v16, v12 /*v268*/
	s_and_saveexec_b32 s18, s17
	s_set_vgpr_msb 0                        ;  msbs: dst=0 src0=0 src1=0 src2=0
	s_cbranch_execz .LBB907_36
; %bb.35:
	flat_load_u16 v14, v[14:15] offset:1024
	s_wait_loadcnt_dscnt 0x0
	s_set_vgpr_msb 64                       ;  msbs: dst=1 src0=0 src1=0 src2=0
	v_xor_b32_e32 v47 /*v303*/, 0x7fff, v14
.LBB907_36:
	s_wait_xcnt 0x0
	s_or_b32 exec_lo, exec_lo, s18
	s_set_vgpr_msb 0                        ;  msbs: dst=0 src0=0 src1=0 src2=0
	v_lshl_add_u64 v[4:5], v[8:9], 3, v[4:5]
	v_dual_mov_b32 v15, 0 :: v_dual_lshlrev_b32 v14, 3, v66
                                        ; implicit-def: $vgpr80_vgpr81
	s_delay_alu instid0(VALU_DEP_1) | instskip(NEXT) | instid1(VALU_DEP_1)
	v_add_nc_u64_e32 v[4:5], v[4:5], v[14:15]
	v_lshl_add_u64 v[0:1], v[0:1], 3, v[4:5]
	s_and_saveexec_b32 s18, vcc_lo
	s_cbranch_execnz .LBB907_204
; %bb.37:
	s_or_b32 exec_lo, exec_lo, s18
                                        ; implicit-def: $vgpr82_vgpr83
	s_and_saveexec_b32 s18, s0
	s_cbranch_execnz .LBB907_205
.LBB907_38:
	s_or_b32 exec_lo, exec_lo, s18
                                        ; implicit-def: $vgpr84_vgpr85
	s_and_saveexec_b32 s0, s1
	s_cbranch_execnz .LBB907_206
.LBB907_39:
	s_or_b32 exec_lo, exec_lo, s0
                                        ; implicit-def: $vgpr86_vgpr87
	s_and_saveexec_b32 s0, s2
	s_cbranch_execnz .LBB907_207
.LBB907_40:
	s_or_b32 exec_lo, exec_lo, s0
                                        ; implicit-def: $vgpr96_vgpr97
	s_and_saveexec_b32 s0, s3
	s_cbranch_execnz .LBB907_208
.LBB907_41:
	s_or_b32 exec_lo, exec_lo, s0
                                        ; implicit-def: $vgpr98_vgpr99
	s_and_saveexec_b32 s0, s4
	s_cbranch_execnz .LBB907_209
.LBB907_42:
	s_or_b32 exec_lo, exec_lo, s0
                                        ; implicit-def: $vgpr114_vgpr115
	s_and_saveexec_b32 s0, s5
	s_cbranch_execnz .LBB907_210
.LBB907_43:
	s_or_b32 exec_lo, exec_lo, s0
                                        ; implicit-def: $vgpr162_vgpr163
	s_and_saveexec_b32 s0, s6
	s_cbranch_execnz .LBB907_211
.LBB907_44:
	s_or_b32 exec_lo, exec_lo, s0
                                        ; implicit-def: $vgpr164_vgpr165
	s_and_saveexec_b32 s0, s7
	s_cbranch_execnz .LBB907_212
.LBB907_45:
	s_or_b32 exec_lo, exec_lo, s0
                                        ; implicit-def: $vgpr178_vgpr179
	s_and_saveexec_b32 s0, s10
	s_cbranch_execnz .LBB907_213
.LBB907_46:
	s_or_b32 exec_lo, exec_lo, s0
                                        ; implicit-def: $vgpr180_vgpr181
	s_and_saveexec_b32 s0, s11
	s_cbranch_execnz .LBB907_214
.LBB907_47:
	s_or_b32 exec_lo, exec_lo, s0
                                        ; implicit-def: $vgpr182_vgpr183
	s_and_saveexec_b32 s0, s12
	s_cbranch_execnz .LBB907_215
.LBB907_48:
	s_or_b32 exec_lo, exec_lo, s0
                                        ; implicit-def: $vgpr194_vgpr195
	s_and_saveexec_b32 s0, s13
	s_cbranch_execnz .LBB907_216
.LBB907_49:
	s_or_b32 exec_lo, exec_lo, s0
                                        ; implicit-def: $vgpr198_vgpr199
	s_and_saveexec_b32 s0, s14
	s_cbranch_execnz .LBB907_217
.LBB907_50:
	s_or_b32 exec_lo, exec_lo, s0
                                        ; implicit-def: $vgpr192_vgpr193
	s_and_saveexec_b32 s0, s15
	s_cbranch_execnz .LBB907_218
.LBB907_51:
	s_or_b32 exec_lo, exec_lo, s0
                                        ; implicit-def: $vgpr196_vgpr197
	s_and_saveexec_b32 s0, s16
	s_cbranch_execnz .LBB907_219
.LBB907_52:
	s_or_b32 exec_lo, exec_lo, s0
                                        ; implicit-def: $vgpr208_vgpr209
	s_and_saveexec_b32 s0, s17
	s_cbranch_execz .LBB907_54
.LBB907_53:
	flat_load_b64 v[208:209], v[0:1] offset:4096
.LBB907_54:
	s_wait_xcnt 0x0
	s_or_b32 exec_lo, exec_lo, s0
	v_and_b32_e32 v1, 0x3e0, v18
	v_lshl_add_u32 v0, v18, 5, v12
	v_and_b32_e32 v4, 15, v66
	s_get_pc_i64 s[0:1]
	s_add_nc_u64 s[0:1], s[0:1], _ZN7rocprim17ROCPRIM_400000_NS16block_radix_sortIsLj256ELj17ElLj1ELj1ELj8ELNS0_26block_radix_rank_algorithmE2ELNS0_18block_padding_hintE2ELNS0_4arch9wavefront6targetE0EE19radix_bits_per_passE@rel64+4
	v_sub_co_u32 v17, s3, v66, 1
	v_mul_u32_u24_e32 v5, 17, v1
	v_dual_add_nc_u32 v19, 32, v0 :: v_dual_add_nc_u32 v39, 36, v0
	s_set_vgpr_msb 64                       ;  msbs: dst=1 src0=0 src1=0 src2=0
	v_dual_add_nc_u32 v13 /*v269*/, 40, v0 :: v_dual_add_nc_u32 v14 /*v270*/, 44, v0
	s_set_vgpr_msb 0                        ;  msbs: dst=0 src0=0 src1=0 src2=0
	v_or_b32_e32 v15, v66, v5
	s_set_vgpr_msb 64                       ;  msbs: dst=1 src0=0 src1=0 src2=0
	v_dual_add_nc_u32 v15 /*v271*/, 48, v0 :: v_dual_add_nc_u32 v16 /*v272*/, 52, v0
	v_dual_add_nc_u32 v17 /*v273*/, 56, v0 :: v_dual_add_nc_u32 v18 /*v274*/, 60, v0
	s_set_vgpr_msb 0                        ;  msbs: dst=0 src0=0 src1=0 src2=0
	v_min_u32_e32 v14, 0xe0, v1
	v_dual_lshlrev_b32 v0, 1, v15 :: v_dual_bitop2_b32 v16, 16, v66 bitop3:0x40
	v_mov_b32_e32 v1, 0
	s_load_b32 s23, s[0:1], 0x0
	v_cmp_eq_u32_e32 vcc_lo, 0, v4
	s_wait_xcnt 0x0
	v_cmp_lt_u32_e64 s0, 1, v4
	v_cmp_lt_u32_e64 s1, 3, v4
	;; [unrolled: 1-line block ×3, first 2 shown]
	v_add_nc_u64_e32 v[4:5], v[12:13], v[0:1]
	v_lshrrev_b32_e32 v0, 3, v18
	v_cmp_gt_i32_e64 s7, 0, v17
	v_cmp_eq_u32_e64 s4, 0, v16
	v_mov_b64_e32 v[70:71], 0
	s_set_vgpr_msb 64                       ;  msbs: dst=1 src0=0 src1=0 src2=0
	v_lshrrev_b32_e32 v19 /*v275*/, 5, v38
	s_set_vgpr_msb 0                        ;  msbs: dst=0 src0=0 src1=0 src2=0
	v_and_b32_e32 v0, 0x7c, v0
	v_or_b32_e32 v14, 31, v14
	v_cmp_gt_u32_e64 s6, 8, v18
	v_cmp_eq_u32_e64 s10, 0, v18
	s_set_vgpr_msb 64                       ;  msbs: dst=1 src0=0 src1=0 src2=0
	v_lshl_add_u32 v20 /*v276*/, v18, 2, v12
	v_sub_nc_u32_e32 v29 /*v285*/, v11, v10
	v_cmp_eq_u32_e64 s5, v18, v14
	s_set_vgpr_msb 0                        ;  msbs: dst=0 src0=0 src1=0 src2=0
	v_cndmask_b32_e64 v14, v17, v66, s7
	v_mad_nc_u64_u32 v[16:17], v15, 6, v[4:5]
	v_and_b32_e32 v15, 7, v66
	v_cmp_lt_u32_e64 s7, 31, v18
	s_delay_alu instid0(VALU_DEP_4)
	v_dual_add_nc_u32 v17, v12, v0 :: v_dual_lshlrev_b32 v5, 2, v14
	s_mov_b32 s24, 0
	v_cmp_eq_u32_e64 s11, 0, v15
	v_cmp_lt_u32_e64 s12, 1, v15
	v_cmp_lt_u32_e64 s13, 3, v15
	s_wait_storecnt 0x0
	s_wait_loadcnt_dscnt 0x0
	s_barrier_signal -1
	s_set_vgpr_msb 64                       ;  msbs: dst=1 src0=0 src1=0 src2=0
	v_add_nc_u32_e32 v21 /*v277*/, 0x900, v16
	v_add_nc_u32_e32 v22 /*v278*/, 0xa00, v16
	;; [unrolled: 1-line block ×8, first 2 shown]
	s_barrier_wait -1
	s_set_vgpr_msb 0                        ;  msbs: dst=0 src0=0 src1=0 src2=0
	s_branch .LBB907_56
.LBB907_55:                             ;   in Loop: Header=BB907_56 Depth=1
	s_or_b32 exec_lo, exec_lo, s15
	s_delay_alu instid0(SALU_CYCLE_1) | instskip(NEXT) | instid1(SALU_CYCLE_1)
	s_and_b32 s14, exec_lo, s16
	s_or_b32 s24, s14, s24
	s_delay_alu instid0(SALU_CYCLE_1)
	s_and_not1_b32 exec_lo, exec_lo, s24
	s_cbranch_execz .LBB907_98
.LBB907_56:                             ; =>This Inner Loop Header: Depth=1
	s_set_vgpr_msb 64                       ;  msbs: dst=1 src0=0 src1=0 src2=0
	v_dual_mov_b32 v30 /*v286*/, v103 :: v_dual_mov_b32 v34 /*v290*/, v101
	s_set_vgpr_msb 4                        ;  msbs: dst=0 src0=0 src1=1 src2=0
	v_mov_b64_e32 v[54:55], v[80:81]
	s_wait_kmcnt 0x0
	v_min_u32_e32 v0, s23, v29 /*v285*/
	v_mov_b64_e32 v[52:53], v[82:83]
	v_and_b32_e32 v80, 0xffff, v30 /*v286*/
	v_mov_b64_e32 v[50:51], v[84:85]
	v_mov_b64_e32 v[48:49], v[86:87]
	v_lshlrev_b32_e64 v82, v0, -1
	v_mov_b64_e32 v[36:37], v[96:97]
	s_set_vgpr_msb 0                        ;  msbs: dst=0 src0=0 src1=0 src2=0
	v_lshrrev_b32_e32 v0, v10, v80
	v_mov_b64_e32 v[34:35], v[98:99]
	v_mov_b64_e32 v[32:33], v[114:115]
	;; [unrolled: 1-line block ×4, first 2 shown]
	v_bitop3_b32 v80, v0, v82, v0 bitop3:0x30
	v_mov_b64_e32 v[22:23], v[178:179]
	v_mov_b64_e32 v[20:21], v[180:181]
	;; [unrolled: 1-line block ×4, first 2 shown]
	v_lshlrev_b32_e32 v81, 30, v80
	v_bitop3_b32 v0, v0, 1, v82 bitop3:0x40
	v_lshlrev_b32_e32 v87, 25, v80
	v_mov_b64_e32 v[14:15], v[198:199]
	v_mov_b64_e32 v[68:69], v[192:193]
	v_not_b32_e32 v84, v81
	v_add_co_u32 v0, s14, v0, -1
	s_delay_alu instid0(VALU_DEP_1) | instskip(SKIP_1) | instid1(VALU_DEP_4)
	v_cndmask_b32_e64 v83, 0, 1, s14
	v_cmp_gt_i32_e64 s15, 0, v81
	v_ashrrev_i32_e32 v81, 31, v84
	v_mov_b64_e32 v[66:67], v[196:197]
	v_lshlrev_b32_e32 v84, 28, v80
	v_cmp_ne_u32_e64 s14, 0, v83
	v_lshlrev_b32_e32 v83, 29, v80
	v_mov_b64_e32 v[64:65], v[208:209]
	s_set_vgpr_msb 64                       ;  msbs: dst=1 src0=0 src1=0 src2=0
	v_dual_mov_b32 v33 /*v289*/, v117 :: v_dual_mov_b32 v32 /*v288*/, v113
	s_set_vgpr_msb 0                        ;  msbs: dst=0 src0=0 src1=0 src2=0
	v_not_b32_e32 v86, v84
	v_not_b32_e32 v85, v83
	v_xor_b32_e32 v0, s14, v0
	v_cmp_gt_i32_e64 s14, 0, v83
	s_set_vgpr_msb 64                       ;  msbs: dst=1 src0=0 src1=0 src2=0
	v_dual_mov_b32 v31 /*v287*/, v129 :: v_dual_mov_b32 v35 /*v291*/, v119
	s_set_vgpr_msb 0                        ;  msbs: dst=0 src0=0 src1=0 src2=0
	v_ashrrev_i32_e32 v83, 31, v85
	v_dual_lshlrev_b32 v85, 27, v80 :: v_dual_bitop2_b32 v81, s15, v81 bitop3:0x14
	v_cmp_gt_i32_e64 s15, 0, v84
	s_delay_alu instid0(VALU_DEP_3) | instskip(NEXT) | instid1(VALU_DEP_3)
	v_dual_ashrrev_i32 v84, 31, v86 :: v_dual_bitop2_b32 v83, s14, v83 bitop3:0x14
	v_bitop3_b32 v0, v0, v81, exec_lo bitop3:0x80
	v_lshlrev_b32_e32 v81, 26, v80
	v_not_b32_e32 v86, v85
	s_delay_alu instid0(VALU_DEP_4)
	v_xor_b32_e32 v84, s15, v84
	v_cmp_gt_i32_e64 s14, 0, v85
	s_set_vgpr_msb 64                       ;  msbs: dst=1 src0=0 src1=0 src2=0
	v_dual_mov_b32 v37 /*v293*/, v133 :: v_dual_mov_b32 v36 /*v292*/, v131
	s_set_vgpr_msb 0                        ;  msbs: dst=0 src0=0 src1=0 src2=0
	v_not_b32_e32 v85, v81
	v_ashrrev_i32_e32 v86, 31, v86
	v_cmp_gt_i32_e64 s15, 0, v81
	v_lshlrev_b32_e32 v81, 24, v80
	v_bitop3_b32 v0, v0, v84, v83 bitop3:0x80
	s_delay_alu instid0(VALU_DEP_4) | instskip(SKIP_1) | instid1(VALU_DEP_4)
	v_dual_ashrrev_i32 v85, 31, v85 :: v_dual_bitop2_b32 v84, s14, v86 bitop3:0x14
	v_not_b32_e32 v83, v87
	v_not_b32_e32 v86, v81
	v_cmp_gt_i32_e64 s14, 0, v87
	s_delay_alu instid0(VALU_DEP_4) | instskip(SKIP_1) | instid1(VALU_DEP_4)
	v_xor_b32_e32 v85, s15, v85
	v_cmp_gt_i32_e64 s15, 0, v81
	v_dual_ashrrev_i32 v83, 31, v83 :: v_dual_ashrrev_i32 v81, 31, v86
	v_lshlrev_b32_e32 v80, 3, v80
	s_delay_alu instid0(VALU_DEP_4)
	v_bitop3_b32 v84, v0, v85, v84 bitop3:0x80
	s_set_vgpr_msb 64                       ;  msbs: dst=1 src0=0 src1=0 src2=0
	v_dual_mov_b32 v39 /*v295*/, v145 :: v_dual_mov_b32 v38 /*v294*/, v135
	s_set_vgpr_msb 0                        ;  msbs: dst=0 src0=0 src1=0 src2=0
	v_xor_b32_e32 v83, s14, v83
	v_xor_b32_e32 v81, s15, v81
	s_set_vgpr_msb 4                        ;  msbs: dst=0 src0=0 src1=1 src2=0
	v_add_lshl_u32 v0, v80, v19 /*v275*/, 2
	s_set_vgpr_msb 64                       ;  msbs: dst=1 src0=0 src1=0 src2=0
	v_dual_mov_b32 v40 /*v296*/, v161 :: v_dual_mov_b32 v41 /*v297*/, v151
	v_dual_mov_b32 v42 /*v298*/, v149 :: v_dual_mov_b32 v43 /*v299*/, v147
	s_set_vgpr_msb 0                        ;  msbs: dst=0 src0=0 src1=0 src2=0
	v_bitop3_b32 v83, v84, v81, v83 bitop3:0x80
	v_add_nc_u64_e32 v[80:81], v[12:13], v[0:1]
	s_set_vgpr_msb 64                       ;  msbs: dst=1 src0=0 src1=0 src2=0
	v_dual_mov_b32 v45 /*v301*/, v177 :: v_dual_mov_b32 v44 /*v300*/, v167
	s_set_vgpr_msb 0x41                     ;  msbs: dst=1 src0=1 src1=0 src2=0
	v_mov_b32_e32 v46 /*v302*/, v47 /*v303*/
	s_set_vgpr_msb 0                        ;  msbs: dst=0 src0=0 src1=0 src2=0
	v_mbcnt_lo_u32_b32 v0, v83, 0
	v_cmp_ne_u32_e64 s15, 0, v83
	ds_store_b64 v19, v[70:71]
	s_set_vgpr_msb 1                        ;  msbs: dst=0 src0=1 src1=0 src2=0
	ds_store_b64 v13 /*v269*/, v[70:71]
	v_add_nc_u64_e32 v[80:81], 32, v[80:81]
	ds_store_b64 v15 /*v271*/, v[70:71]
	ds_store_b64 v17 /*v273*/, v[70:71]
	v_cmp_eq_u32_e64 s14, 0, v0
	s_wait_dscnt 0x0
	s_barrier_signal -1
	s_barrier_wait -1
	s_and_b32 s15, s15, s14
	; wave barrier
	s_delay_alu instid0(SALU_CYCLE_1)
	s_and_saveexec_b32 s14, s15
; %bb.57:                               ;   in Loop: Header=BB907_56 Depth=1
	s_set_vgpr_msb 0                        ;  msbs: dst=0 src0=0 src1=0 src2=0
	v_bcnt_u32_b32 v81, v83, 0
	ds_store_b32 v80, v81
; %bb.58:                               ;   in Loop: Header=BB907_56 Depth=1
	s_or_b32 exec_lo, exec_lo, s14
	s_set_vgpr_msb 4                        ;  msbs: dst=0 src0=0 src1=1 src2=0
	v_and_b32_e32 v81, 0xffff, v34 /*v290*/
	v_not_b32_e32 v97, v82
	; wave barrier
	s_set_vgpr_msb 0                        ;  msbs: dst=0 src0=0 src1=0 src2=0
	s_delay_alu instid0(VALU_DEP_2) | instskip(NEXT) | instid1(VALU_DEP_1)
	v_lshrrev_b32_e32 v81, v10, v81
	v_and_b32_e32 v82, v81, v97
	s_delay_alu instid0(VALU_DEP_1) | instskip(SKIP_1) | instid1(VALU_DEP_2)
	v_lshlrev_b32_e32 v85, 30, v82
	v_bitop3_b32 v81, v81, 1, v97 bitop3:0x80
	v_cmp_gt_i32_e64 s15, 0, v85
	s_delay_alu instid0(VALU_DEP_2) | instskip(NEXT) | instid1(VALU_DEP_1)
	v_add_co_u32 v81, s14, v81, -1
	v_cndmask_b32_e64 v84, 0, 1, s14
	s_delay_alu instid0(VALU_DEP_1) | instskip(SKIP_1) | instid1(VALU_DEP_1)
	v_cmp_ne_u32_e64 s14, 0, v84
	v_not_b32_e32 v84, v85
	v_dual_ashrrev_i32 v84, 31, v84 :: v_dual_lshlrev_b32 v86, 29, v82
	v_dual_lshlrev_b32 v87, 28, v82 :: v_dual_lshlrev_b32 v96, 27, v82
	v_lshlrev_b32_e32 v98, 26, v82
	s_set_vgpr_msb 16                       ;  msbs: dst=0 src0=0 src1=0 src2=1
	v_lshl_add_u32 v83, v82, 3, v19 /*v275*/
	v_cmp_gt_i32_e64 s16, 0, v86
	v_not_b32_e32 v85, v86
	v_not_b32_e32 v86, v87
	v_dual_lshlrev_b32 v99, 25, v82 :: v_dual_lshlrev_b32 v82, 24, v82
	v_cmp_gt_i32_e64 s17, 0, v87
	v_cmp_gt_i32_e64 s18, 0, v96
	v_not_b32_e32 v87, v96
	v_dual_ashrrev_i32 v86, 31, v86 :: v_dual_bitop2_b32 v81, s14, v81 bitop3:0x14
	v_dual_ashrrev_i32 v85, 31, v85 :: v_dual_bitop2_b32 v84, s15, v84 bitop3:0x14
	v_not_b32_e32 v96, v98
	v_cmp_gt_i32_e64 s19, 0, v98
	s_delay_alu instid0(VALU_DEP_3)
	v_dual_ashrrev_i32 v87, 31, v87 :: v_dual_bitop2_b32 v85, s16, v85 bitop3:0x14
	v_xor_b32_e32 v86, s17, v86
	v_bitop3_b32 v81, v81, v84, exec_lo bitop3:0x80
	v_ashrrev_i32_e32 v84, 31, v96
	v_not_b32_e32 v96, v99
	v_not_b32_e32 v98, v82
	v_xor_b32_e32 v87, s18, v87
	s_set_vgpr_msb 0                        ;  msbs: dst=0 src0=0 src1=0 src2=0
	v_bitop3_b32 v81, v81, v86, v85 bitop3:0x80
	v_xor_b32_e32 v84, s19, v84
	v_cmp_gt_i32_e64 s14, 0, v99
	v_ashrrev_i32_e32 v85, 31, v96
	v_cmp_gt_i32_e64 s15, 0, v82
	v_ashrrev_i32_e32 v82, 31, v98
	v_lshl_add_u32 v83, v83, 2, v12
	v_bitop3_b32 v84, v81, v84, v87 bitop3:0x80
	v_xor_b32_e32 v85, s14, v85
	s_delay_alu instid0(VALU_DEP_4) | instskip(SKIP_3) | instid1(VALU_DEP_1)
	v_xor_b32_e32 v82, s15, v82
	ds_load_b32 v81, v83 offset:32
	v_add_nc_u32_e32 v83, 32, v83
	; wave barrier
	v_bitop3_b32 v84, v84, v82, v85 bitop3:0x80
	v_mbcnt_lo_u32_b32 v82, v84, 0
	v_cmp_ne_u32_e64 s15, 0, v84
	s_delay_alu instid0(VALU_DEP_2) | instskip(SKIP_1) | instid1(SALU_CYCLE_1)
	v_cmp_eq_u32_e64 s14, 0, v82
	s_and_b32 s15, s15, s14
	s_and_saveexec_b32 s14, s15
	s_cbranch_execz .LBB907_60
; %bb.59:                               ;   in Loop: Header=BB907_56 Depth=1
	s_wait_dscnt 0x0
	v_bcnt_u32_b32 v84, v84, v81
	ds_store_b32 v83, v84
.LBB907_60:                             ;   in Loop: Header=BB907_56 Depth=1
	s_or_b32 exec_lo, exec_lo, s14
	s_set_vgpr_msb 4                        ;  msbs: dst=0 src0=0 src1=1 src2=0
	v_and_b32_e32 v84, 0xffff, v33 /*v289*/
	; wave barrier
	s_set_vgpr_msb 0                        ;  msbs: dst=0 src0=0 src1=0 src2=0
	s_delay_alu instid0(VALU_DEP_1) | instskip(NEXT) | instid1(VALU_DEP_1)
	v_lshrrev_b32_e32 v84, v10, v84
	v_and_b32_e32 v85, v84, v97
	s_delay_alu instid0(VALU_DEP_1) | instskip(SKIP_1) | instid1(VALU_DEP_2)
	v_lshlrev_b32_e32 v96, 30, v85
	v_bitop3_b32 v84, v84, 1, v97 bitop3:0x80
	v_cmp_gt_i32_e64 s15, 0, v96
	s_delay_alu instid0(VALU_DEP_2) | instskip(NEXT) | instid1(VALU_DEP_1)
	v_add_co_u32 v84, s14, v84, -1
	v_cndmask_b32_e64 v87, 0, 1, s14
	s_delay_alu instid0(VALU_DEP_1) | instskip(SKIP_1) | instid1(VALU_DEP_1)
	v_cmp_ne_u32_e64 s14, 0, v87
	v_not_b32_e32 v87, v96
	v_dual_ashrrev_i32 v87, 31, v87 :: v_dual_lshlrev_b32 v98, 29, v85
	v_dual_lshlrev_b32 v99, 28, v85 :: v_dual_lshlrev_b32 v100, 27, v85
	v_lshlrev_b32_e32 v101, 26, v85
	s_set_vgpr_msb 16                       ;  msbs: dst=0 src0=0 src1=0 src2=1
	v_lshl_add_u32 v86, v85, 3, v19 /*v275*/
	v_cmp_gt_i32_e64 s16, 0, v98
	v_not_b32_e32 v96, v98
	v_not_b32_e32 v98, v99
	v_dual_lshlrev_b32 v102, 25, v85 :: v_dual_lshlrev_b32 v85, 24, v85
	v_cmp_gt_i32_e64 s17, 0, v99
	v_cmp_gt_i32_e64 s18, 0, v100
	v_not_b32_e32 v99, v100
	v_not_b32_e32 v100, v101
	v_dual_ashrrev_i32 v98, 31, v98 :: v_dual_bitop2_b32 v84, s14, v84 bitop3:0x14
	v_dual_ashrrev_i32 v96, 31, v96 :: v_dual_bitop2_b32 v87, s15, v87 bitop3:0x14
	v_cmp_gt_i32_e64 s19, 0, v101
	s_delay_alu instid0(VALU_DEP_4)
	v_dual_ashrrev_i32 v99, 31, v99 :: v_dual_ashrrev_i32 v100, 31, v100
	v_not_b32_e32 v101, v85
	v_xor_b32_e32 v98, s17, v98
	v_bitop3_b32 v84, v84, v87, exec_lo bitop3:0x80
	v_not_b32_e32 v87, v102
	v_xor_b32_e32 v96, s16, v96
	v_xor_b32_e32 v100, s19, v100
	v_cmp_gt_i32_e64 s14, 0, v102
	v_cmp_gt_i32_e64 s15, 0, v85
	v_dual_ashrrev_i32 v87, 31, v87 :: v_dual_ashrrev_i32 v85, 31, v101
	s_set_vgpr_msb 0                        ;  msbs: dst=0 src0=0 src1=0 src2=0
	v_bitop3_b32 v84, v84, v98, v96 bitop3:0x80
	v_lshl_add_u32 v86, v86, 2, v12
	v_xor_b32_e32 v99, s18, v99
	v_xor_b32_e32 v87, s14, v87
	;; [unrolled: 1-line block ×3, first 2 shown]
	s_delay_alu instid0(VALU_DEP_3) | instskip(SKIP_3) | instid1(VALU_DEP_1)
	v_bitop3_b32 v96, v84, v100, v99 bitop3:0x80
	ds_load_b32 v84, v86 offset:32
	v_add_nc_u32_e32 v86, 32, v86
	; wave barrier
	v_bitop3_b32 v87, v96, v85, v87 bitop3:0x80
	v_mbcnt_lo_u32_b32 v85, v87, 0
	v_cmp_ne_u32_e64 s15, 0, v87
	s_delay_alu instid0(VALU_DEP_2) | instskip(SKIP_1) | instid1(SALU_CYCLE_1)
	v_cmp_eq_u32_e64 s14, 0, v85
	s_and_b32 s15, s15, s14
	s_and_saveexec_b32 s14, s15
	s_cbranch_execz .LBB907_62
; %bb.61:                               ;   in Loop: Header=BB907_56 Depth=1
	s_wait_dscnt 0x0
	v_bcnt_u32_b32 v87, v87, v84
	ds_store_b32 v86, v87
.LBB907_62:                             ;   in Loop: Header=BB907_56 Depth=1
	s_or_b32 exec_lo, exec_lo, s14
	s_set_vgpr_msb 4                        ;  msbs: dst=0 src0=0 src1=1 src2=0
	v_and_b32_e32 v87, 0xffff, v32 /*v288*/
	; wave barrier
	s_set_vgpr_msb 0                        ;  msbs: dst=0 src0=0 src1=0 src2=0
	s_delay_alu instid0(VALU_DEP_1) | instskip(NEXT) | instid1(VALU_DEP_1)
	v_lshrrev_b32_e32 v87, v10, v87
	v_and_b32_e32 v96, v87, v97
	s_delay_alu instid0(VALU_DEP_1) | instskip(SKIP_1) | instid1(VALU_DEP_2)
	v_lshlrev_b32_e32 v100, 30, v96
	v_bitop3_b32 v87, v87, 1, v97 bitop3:0x80
	v_cmp_gt_i32_e64 s15, 0, v100
	s_delay_alu instid0(VALU_DEP_2) | instskip(NEXT) | instid1(VALU_DEP_1)
	v_add_co_u32 v87, s14, v87, -1
	v_cndmask_b32_e64 v99, 0, 1, s14
	s_delay_alu instid0(VALU_DEP_1) | instskip(SKIP_1) | instid1(VALU_DEP_1)
	v_cmp_ne_u32_e64 s14, 0, v99
	v_not_b32_e32 v99, v100
	v_dual_ashrrev_i32 v99, 31, v99 :: v_dual_lshlrev_b32 v101, 29, v96
	v_dual_lshlrev_b32 v102, 28, v96 :: v_dual_lshlrev_b32 v103, 27, v96
	v_lshlrev_b32_e32 v112, 26, v96
	s_set_vgpr_msb 16                       ;  msbs: dst=0 src0=0 src1=0 src2=1
	v_lshl_add_u32 v98, v96, 3, v19 /*v275*/
	v_cmp_gt_i32_e64 s16, 0, v101
	v_not_b32_e32 v100, v101
	v_not_b32_e32 v101, v102
	v_dual_lshlrev_b32 v113, 25, v96 :: v_dual_lshlrev_b32 v96, 24, v96
	v_cmp_gt_i32_e64 s17, 0, v102
	v_cmp_gt_i32_e64 s18, 0, v103
	v_not_b32_e32 v102, v103
	v_not_b32_e32 v103, v112
	v_dual_ashrrev_i32 v100, 31, v100 :: v_dual_bitop2_b32 v87, s14, v87 bitop3:0x14
	v_dual_ashrrev_i32 v101, 31, v101 :: v_dual_bitop2_b32 v99, s15, v99 bitop3:0x14
	v_cmp_gt_i32_e64 s19, 0, v112
	s_delay_alu instid0(VALU_DEP_4) | instskip(SKIP_1) | instid1(VALU_DEP_4)
	v_dual_ashrrev_i32 v102, 31, v102 :: v_dual_ashrrev_i32 v103, 31, v103
	v_not_b32_e32 v112, v96
	v_xor_b32_e32 v101, s17, v101
	v_bitop3_b32 v87, v87, v99, exec_lo bitop3:0x80
	v_not_b32_e32 v99, v113
	v_xor_b32_e32 v100, s16, v100
	v_xor_b32_e32 v102, s18, v102
	v_cmp_gt_i32_e64 s14, 0, v113
	v_cmp_gt_i32_e64 s15, 0, v96
	v_dual_ashrrev_i32 v99, 31, v99 :: v_dual_ashrrev_i32 v96, 31, v112
	s_set_vgpr_msb 0                        ;  msbs: dst=0 src0=0 src1=0 src2=0
	v_bitop3_b32 v87, v87, v101, v100 bitop3:0x80
	v_lshl_add_u32 v98, v98, 2, v12
	v_xor_b32_e32 v103, s19, v103
	v_xor_b32_e32 v99, s14, v99
	;; [unrolled: 1-line block ×3, first 2 shown]
	s_delay_alu instid0(VALU_DEP_3) | instskip(SKIP_3) | instid1(VALU_DEP_1)
	v_bitop3_b32 v100, v87, v103, v102 bitop3:0x80
	ds_load_b32 v87, v98 offset:32
	v_add_nc_u32_e32 v98, 32, v98
	; wave barrier
	v_bitop3_b32 v99, v100, v96, v99 bitop3:0x80
	v_mbcnt_lo_u32_b32 v96, v99, 0
	v_cmp_ne_u32_e64 s15, 0, v99
	s_delay_alu instid0(VALU_DEP_2) | instskip(SKIP_1) | instid1(SALU_CYCLE_1)
	v_cmp_eq_u32_e64 s14, 0, v96
	s_and_b32 s15, s15, s14
	s_and_saveexec_b32 s14, s15
	s_cbranch_execz .LBB907_64
; %bb.63:                               ;   in Loop: Header=BB907_56 Depth=1
	s_wait_dscnt 0x0
	v_bcnt_u32_b32 v99, v99, v87
	ds_store_b32 v98, v99
.LBB907_64:                             ;   in Loop: Header=BB907_56 Depth=1
	s_or_b32 exec_lo, exec_lo, s14
	s_set_vgpr_msb 4                        ;  msbs: dst=0 src0=0 src1=1 src2=0
	v_and_b32_e32 v99, 0xffff, v31 /*v287*/
	; wave barrier
	s_set_vgpr_msb 0                        ;  msbs: dst=0 src0=0 src1=0 src2=0
	s_delay_alu instid0(VALU_DEP_1) | instskip(NEXT) | instid1(VALU_DEP_1)
	v_lshrrev_b32_e32 v99, v10, v99
	v_and_b32_e32 v100, v99, v97
	s_delay_alu instid0(VALU_DEP_1) | instskip(SKIP_1) | instid1(VALU_DEP_2)
	v_lshlrev_b32_e32 v103, 30, v100
	v_bitop3_b32 v99, v99, 1, v97 bitop3:0x80
	v_cmp_gt_i32_e64 s15, 0, v103
	s_delay_alu instid0(VALU_DEP_2) | instskip(NEXT) | instid1(VALU_DEP_1)
	v_add_co_u32 v99, s14, v99, -1
	v_cndmask_b32_e64 v102, 0, 1, s14
	s_delay_alu instid0(VALU_DEP_1) | instskip(SKIP_1) | instid1(VALU_DEP_1)
	v_cmp_ne_u32_e64 s14, 0, v102
	v_not_b32_e32 v102, v103
	v_dual_ashrrev_i32 v102, 31, v102 :: v_dual_lshlrev_b32 v112, 29, v100
	v_dual_lshlrev_b32 v113, 28, v100 :: v_dual_lshlrev_b32 v114, 27, v100
	v_lshlrev_b32_e32 v115, 26, v100
	s_set_vgpr_msb 16                       ;  msbs: dst=0 src0=0 src1=0 src2=1
	v_lshl_add_u32 v101, v100, 3, v19 /*v275*/
	v_cmp_gt_i32_e64 s16, 0, v112
	v_not_b32_e32 v103, v112
	v_not_b32_e32 v112, v113
	v_dual_lshlrev_b32 v116, 25, v100 :: v_dual_lshlrev_b32 v100, 24, v100
	v_cmp_gt_i32_e64 s17, 0, v113
	v_cmp_gt_i32_e64 s18, 0, v114
	v_not_b32_e32 v113, v114
	v_not_b32_e32 v114, v115
	v_dual_ashrrev_i32 v112, 31, v112 :: v_dual_bitop2_b32 v99, s14, v99 bitop3:0x14
	v_dual_ashrrev_i32 v103, 31, v103 :: v_dual_bitop2_b32 v102, s15, v102 bitop3:0x14
	v_cmp_gt_i32_e64 s19, 0, v115
	s_delay_alu instid0(VALU_DEP_4)
	v_dual_ashrrev_i32 v113, 31, v113 :: v_dual_ashrrev_i32 v114, 31, v114
	v_not_b32_e32 v115, v100
	v_xor_b32_e32 v112, s17, v112
	v_bitop3_b32 v99, v99, v102, exec_lo bitop3:0x80
	v_not_b32_e32 v102, v116
	v_xor_b32_e32 v103, s16, v103
	v_xor_b32_e32 v114, s19, v114
	v_cmp_gt_i32_e64 s14, 0, v116
	v_cmp_gt_i32_e64 s15, 0, v100
	v_dual_ashrrev_i32 v102, 31, v102 :: v_dual_ashrrev_i32 v100, 31, v115
	s_set_vgpr_msb 0                        ;  msbs: dst=0 src0=0 src1=0 src2=0
	v_bitop3_b32 v99, v99, v112, v103 bitop3:0x80
	v_lshl_add_u32 v103, v101, 2, v12
	v_xor_b32_e32 v113, s18, v113
	v_xor_b32_e32 v102, s14, v102
	;; [unrolled: 1-line block ×3, first 2 shown]
	s_delay_alu instid0(VALU_DEP_3) | instskip(SKIP_3) | instid1(VALU_DEP_2)
	v_bitop3_b32 v101, v99, v114, v113 bitop3:0x80
	ds_load_b32 v99, v103 offset:32
	; wave barrier
	v_bitop3_b32 v101, v101, v100, v102 bitop3:0x80
	v_add_nc_u32_e32 v100, 32, v103
	v_mbcnt_lo_u32_b32 v102, v101, 0
	v_cmp_ne_u32_e64 s15, 0, v101
	s_delay_alu instid0(VALU_DEP_2) | instskip(SKIP_1) | instid1(SALU_CYCLE_1)
	v_cmp_eq_u32_e64 s14, 0, v102
	s_and_b32 s15, s15, s14
	s_and_saveexec_b32 s14, s15
	s_cbranch_execz .LBB907_66
; %bb.65:                               ;   in Loop: Header=BB907_56 Depth=1
	s_wait_dscnt 0x0
	v_bcnt_u32_b32 v101, v101, v99
	ds_store_b32 v100, v101
.LBB907_66:                             ;   in Loop: Header=BB907_56 Depth=1
	s_or_b32 exec_lo, exec_lo, s14
	s_set_vgpr_msb 4                        ;  msbs: dst=0 src0=0 src1=1 src2=0
	v_and_b32_e32 v101, 0xffff, v35 /*v291*/
	; wave barrier
	s_set_vgpr_msb 0                        ;  msbs: dst=0 src0=0 src1=0 src2=0
	s_delay_alu instid0(VALU_DEP_1) | instskip(NEXT) | instid1(VALU_DEP_1)
	v_lshrrev_b32_e32 v101, v10, v101
	v_and_b32_e32 v103, v101, v97
	s_delay_alu instid0(VALU_DEP_1) | instskip(SKIP_2) | instid1(VALU_DEP_3)
	v_lshlrev_b32_e32 v114, 30, v103
	v_bitop3_b32 v101, v101, 1, v97 bitop3:0x80
	v_lshlrev_b32_e32 v115, 29, v103
	v_cmp_gt_i32_e64 s15, 0, v114
	s_delay_alu instid0(VALU_DEP_3) | instskip(NEXT) | instid1(VALU_DEP_1)
	v_add_co_u32 v101, s14, v101, -1
	v_cndmask_b32_e64 v113, 0, 1, s14
	s_delay_alu instid0(VALU_DEP_1) | instskip(SKIP_2) | instid1(VALU_DEP_1)
	v_cmp_ne_u32_e64 s14, 0, v113
	v_not_b32_e32 v113, v114
	v_not_b32_e32 v114, v115
	v_dual_ashrrev_i32 v114, 31, v114 :: v_dual_lshlrev_b32 v116, 28, v103
	s_set_vgpr_msb 16                       ;  msbs: dst=0 src0=0 src1=0 src2=1
	v_lshl_add_u32 v112, v103, 3, v19 /*v275*/
	v_dual_lshlrev_b32 v117, 27, v103 :: v_dual_lshlrev_b32 v118, 26, v103
	v_dual_lshlrev_b32 v119, 25, v103 :: v_dual_lshlrev_b32 v103, 24, v103
	v_cmp_gt_i32_e64 s16, 0, v115
	v_not_b32_e32 v115, v116
	v_ashrrev_i32_e32 v113, 31, v113
	v_cmp_gt_i32_e64 s17, 0, v116
	v_cmp_gt_i32_e64 s18, 0, v117
	v_not_b32_e32 v116, v117
	v_cmp_gt_i32_e64 s19, 0, v118
	v_not_b32_e32 v117, v118
	v_dual_ashrrev_i32 v115, 31, v115 :: v_dual_bitop2_b32 v101, s14, v101 bitop3:0x14
	v_not_b32_e32 v118, v103
	v_dual_ashrrev_i32 v116, 31, v116 :: v_dual_bitop2_b32 v113, s15, v113 bitop3:0x14
	s_delay_alu instid0(VALU_DEP_4) | instskip(SKIP_1) | instid1(VALU_DEP_4)
	v_dual_ashrrev_i32 v117, 31, v117 :: v_dual_bitop2_b32 v114, s16, v114 bitop3:0x14
	v_cmp_gt_i32_e64 s15, 0, v103
	v_ashrrev_i32_e32 v103, 31, v118
	s_delay_alu instid0(VALU_DEP_4)
	v_bitop3_b32 v101, v101, v113, exec_lo bitop3:0x80
	v_not_b32_e32 v113, v119
	v_xor_b32_e32 v115, s17, v115
	v_xor_b32_e32 v116, s18, v116
	v_cmp_gt_i32_e64 s14, 0, v119
	s_set_vgpr_msb 0                        ;  msbs: dst=0 src0=0 src1=0 src2=0
	v_lshl_add_u32 v112, v112, 2, v12
	v_xor_b32_e32 v117, s19, v117
	v_ashrrev_i32_e32 v113, 31, v113
	v_bitop3_b32 v101, v101, v115, v114 bitop3:0x80
	v_xor_b32_e32 v103, s15, v103
	ds_load_b32 v114, v112 offset:32
	v_dual_add_nc_u32 v112, 32, v112 :: v_dual_bitop2_b32 v113, s14, v113 bitop3:0x14
	v_bitop3_b32 v101, v101, v117, v116 bitop3:0x80
	; wave barrier
	s_delay_alu instid0(VALU_DEP_1) | instskip(NEXT) | instid1(VALU_DEP_1)
	v_bitop3_b32 v101, v101, v103, v113 bitop3:0x80
	v_mbcnt_lo_u32_b32 v115, v101, 0
	v_cmp_ne_u32_e64 s15, 0, v101
	s_delay_alu instid0(VALU_DEP_2) | instskip(SKIP_1) | instid1(SALU_CYCLE_1)
	v_cmp_eq_u32_e64 s14, 0, v115
	s_and_b32 s15, s15, s14
	s_and_saveexec_b32 s14, s15
	s_cbranch_execz .LBB907_68
; %bb.67:                               ;   in Loop: Header=BB907_56 Depth=1
	s_wait_dscnt 0x0
	v_bcnt_u32_b32 v101, v101, v114
	ds_store_b32 v112, v101
.LBB907_68:                             ;   in Loop: Header=BB907_56 Depth=1
	s_or_b32 exec_lo, exec_lo, s14
	s_set_vgpr_msb 4                        ;  msbs: dst=0 src0=0 src1=1 src2=0
	v_and_b32_e32 v101, 0xffff, v37 /*v293*/
	; wave barrier
	s_set_vgpr_msb 0                        ;  msbs: dst=0 src0=0 src1=0 src2=0
	s_delay_alu instid0(VALU_DEP_1) | instskip(NEXT) | instid1(VALU_DEP_1)
	v_lshrrev_b32_e32 v101, v10, v101
	v_and_b32_e32 v103, v101, v97
	s_delay_alu instid0(VALU_DEP_1) | instskip(SKIP_1) | instid1(VALU_DEP_2)
	v_lshlrev_b32_e32 v117, 30, v103
	v_bitop3_b32 v101, v101, 1, v97 bitop3:0x80
	v_cmp_gt_i32_e64 s15, 0, v117
	s_delay_alu instid0(VALU_DEP_2) | instskip(NEXT) | instid1(VALU_DEP_1)
	v_add_co_u32 v101, s14, v101, -1
	v_cndmask_b32_e64 v116, 0, 1, s14
	s_delay_alu instid0(VALU_DEP_1) | instskip(SKIP_1) | instid1(VALU_DEP_1)
	v_cmp_ne_u32_e64 s14, 0, v116
	v_not_b32_e32 v116, v117
	v_dual_ashrrev_i32 v116, 31, v116 :: v_dual_lshlrev_b32 v118, 29, v103
	v_dual_lshlrev_b32 v119, 28, v103 :: v_dual_lshlrev_b32 v128, 27, v103
	v_lshlrev_b32_e32 v129, 26, v103
	s_set_vgpr_msb 16                       ;  msbs: dst=0 src0=0 src1=0 src2=1
	v_lshl_add_u32 v113, v103, 3, v19 /*v275*/
	v_cmp_gt_i32_e64 s16, 0, v118
	v_not_b32_e32 v117, v118
	v_not_b32_e32 v118, v119
	v_dual_lshlrev_b32 v130, 25, v103 :: v_dual_lshlrev_b32 v103, 24, v103
	v_cmp_gt_i32_e64 s17, 0, v119
	v_cmp_gt_i32_e64 s18, 0, v128
	v_not_b32_e32 v119, v128
	v_not_b32_e32 v128, v129
	v_dual_ashrrev_i32 v118, 31, v118 :: v_dual_bitop2_b32 v101, s14, v101 bitop3:0x14
	v_dual_ashrrev_i32 v117, 31, v117 :: v_dual_bitop2_b32 v116, s15, v116 bitop3:0x14
	v_cmp_gt_i32_e64 s19, 0, v129
	s_delay_alu instid0(VALU_DEP_4)
	v_dual_ashrrev_i32 v119, 31, v119 :: v_dual_ashrrev_i32 v128, 31, v128
	v_not_b32_e32 v129, v103
	v_xor_b32_e32 v118, s17, v118
	v_bitop3_b32 v101, v101, v116, exec_lo bitop3:0x80
	v_not_b32_e32 v116, v130
	v_xor_b32_e32 v117, s16, v117
	v_xor_b32_e32 v128, s19, v128
	v_cmp_gt_i32_e64 s14, 0, v130
	v_cmp_gt_i32_e64 s15, 0, v103
	v_dual_ashrrev_i32 v116, 31, v116 :: v_dual_ashrrev_i32 v103, 31, v129
	s_set_vgpr_msb 0                        ;  msbs: dst=0 src0=0 src1=0 src2=0
	v_bitop3_b32 v101, v101, v118, v117 bitop3:0x80
	v_lshl_add_u32 v113, v113, 2, v12
	v_xor_b32_e32 v119, s18, v119
	v_xor_b32_e32 v117, s14, v116
	s_delay_alu instid0(VALU_DEP_3) | instskip(NEXT) | instid1(VALU_DEP_3)
	v_dual_add_nc_u32 v118, 32, v113 :: v_dual_bitop2_b32 v103, s15, v103 bitop3:0x14
	v_bitop3_b32 v101, v101, v128, v119 bitop3:0x80
	ds_load_b32 v116, v113 offset:32
	; wave barrier
	v_bitop3_b32 v101, v101, v103, v117 bitop3:0x80
	s_delay_alu instid0(VALU_DEP_1) | instskip(SKIP_1) | instid1(VALU_DEP_2)
	v_mbcnt_lo_u32_b32 v128, v101, 0
	v_cmp_ne_u32_e64 s15, 0, v101
	v_cmp_eq_u32_e64 s14, 0, v128
	s_and_b32 s15, s15, s14
	s_delay_alu instid0(SALU_CYCLE_1)
	s_and_saveexec_b32 s14, s15
	s_cbranch_execz .LBB907_70
; %bb.69:                               ;   in Loop: Header=BB907_56 Depth=1
	s_wait_dscnt 0x0
	v_bcnt_u32_b32 v101, v101, v116
	ds_store_b32 v118, v101
.LBB907_70:                             ;   in Loop: Header=BB907_56 Depth=1
	s_or_b32 exec_lo, exec_lo, s14
	s_set_vgpr_msb 4                        ;  msbs: dst=0 src0=0 src1=1 src2=0
	v_and_b32_e32 v101, 0xffff, v36 /*v292*/
	; wave barrier
	s_set_vgpr_msb 0                        ;  msbs: dst=0 src0=0 src1=0 src2=0
	s_delay_alu instid0(VALU_DEP_1) | instskip(NEXT) | instid1(VALU_DEP_1)
	v_lshrrev_b32_e32 v101, v10, v101
	v_and_b32_e32 v103, v101, v97
	s_delay_alu instid0(VALU_DEP_1) | instskip(SKIP_2) | instid1(VALU_DEP_3)
	v_lshlrev_b32_e32 v119, 30, v103
	v_bitop3_b32 v101, v101, 1, v97 bitop3:0x80
	v_lshlrev_b32_e32 v129, 29, v103
	v_cmp_gt_i32_e64 s15, 0, v119
	s_delay_alu instid0(VALU_DEP_3) | instskip(NEXT) | instid1(VALU_DEP_1)
	v_add_co_u32 v101, s14, v101, -1
	v_cndmask_b32_e64 v117, 0, 1, s14
	s_delay_alu instid0(VALU_DEP_1) | instskip(SKIP_2) | instid1(VALU_DEP_1)
	v_cmp_ne_u32_e64 s14, 0, v117
	v_not_b32_e32 v117, v119
	v_not_b32_e32 v119, v129
	v_ashrrev_i32_e32 v119, 31, v119
	v_dual_lshlrev_b32 v130, 28, v103 :: v_dual_lshlrev_b32 v131, 27, v103
	v_lshlrev_b32_e32 v132, 26, v103
	s_set_vgpr_msb 16                       ;  msbs: dst=0 src0=0 src1=0 src2=1
	v_lshl_add_u32 v113, v103, 3, v19 /*v275*/
	v_dual_lshlrev_b32 v133, 25, v103 :: v_dual_lshlrev_b32 v103, 24, v103
	v_cmp_gt_i32_e64 s16, 0, v129
	v_cmp_gt_i32_e64 s17, 0, v130
	v_not_b32_e32 v129, v130
	v_not_b32_e32 v130, v131
	v_ashrrev_i32_e32 v117, 31, v117
	v_cmp_gt_i32_e64 s18, 0, v131
	v_cmp_gt_i32_e64 s19, 0, v132
	v_not_b32_e32 v131, v132
	v_xor_b32_e32 v101, s14, v101
	v_dual_ashrrev_i32 v129, 31, v129 :: v_dual_bitop2_b32 v119, s16, v119 bitop3:0x14
	v_ashrrev_i32_e32 v130, 31, v130
	v_not_b32_e32 v132, v103
	v_dual_ashrrev_i32 v131, 31, v131 :: v_dual_bitop2_b32 v117, s15, v117 bitop3:0x14
	s_delay_alu instid0(VALU_DEP_4) | instskip(SKIP_1) | instid1(VALU_DEP_4)
	v_xor_b32_e32 v129, s17, v129
	v_cmp_gt_i32_e64 s15, 0, v103
	v_ashrrev_i32_e32 v103, 31, v132
	s_delay_alu instid0(VALU_DEP_4)
	v_bitop3_b32 v101, v101, v117, exec_lo bitop3:0x80
	v_not_b32_e32 v117, v133
	v_xor_b32_e32 v130, s18, v130
	v_cmp_gt_i32_e64 s14, 0, v133
	s_set_vgpr_msb 0                        ;  msbs: dst=0 src0=0 src1=0 src2=0
	v_lshl_add_u32 v113, v113, 2, v12
	v_xor_b32_e32 v131, s19, v131
	v_bitop3_b32 v101, v101, v129, v119 bitop3:0x80
	v_dual_ashrrev_i32 v117, 31, v117 :: v_dual_bitop2_b32 v103, s15, v103 bitop3:0x14
	ds_load_b32 v132, v113 offset:32
	v_bitop3_b32 v101, v101, v131, v130 bitop3:0x80
	v_xor_b32_e32 v117, s14, v117
	v_add_nc_u32_e32 v130, 32, v113
	; wave barrier
	s_delay_alu instid0(VALU_DEP_2) | instskip(NEXT) | instid1(VALU_DEP_1)
	v_bitop3_b32 v101, v101, v103, v117 bitop3:0x80
	v_mbcnt_lo_u32_b32 v144, v101, 0
	v_cmp_ne_u32_e64 s15, 0, v101
	s_delay_alu instid0(VALU_DEP_2) | instskip(SKIP_1) | instid1(SALU_CYCLE_1)
	v_cmp_eq_u32_e64 s14, 0, v144
	s_and_b32 s15, s15, s14
	s_and_saveexec_b32 s14, s15
	s_cbranch_execz .LBB907_72
; %bb.71:                               ;   in Loop: Header=BB907_56 Depth=1
	s_wait_dscnt 0x0
	v_bcnt_u32_b32 v101, v101, v132
	ds_store_b32 v130, v101
.LBB907_72:                             ;   in Loop: Header=BB907_56 Depth=1
	s_or_b32 exec_lo, exec_lo, s14
	s_set_vgpr_msb 4                        ;  msbs: dst=0 src0=0 src1=1 src2=0
	v_and_b32_e32 v101, 0xffff, v39 /*v295*/
	; wave barrier
	s_set_vgpr_msb 0                        ;  msbs: dst=0 src0=0 src1=0 src2=0
	s_delay_alu instid0(VALU_DEP_1) | instskip(NEXT) | instid1(VALU_DEP_1)
	v_lshrrev_b32_e32 v101, v10, v101
	v_and_b32_e32 v103, v101, v97
	s_delay_alu instid0(VALU_DEP_1) | instskip(SKIP_2) | instid1(VALU_DEP_3)
	v_lshlrev_b32_e32 v119, 30, v103
	v_bitop3_b32 v101, v101, 1, v97 bitop3:0x80
	v_lshlrev_b32_e32 v129, 29, v103
	v_cmp_gt_i32_e64 s15, 0, v119
	s_delay_alu instid0(VALU_DEP_3) | instskip(NEXT) | instid1(VALU_DEP_1)
	v_add_co_u32 v101, s14, v101, -1
	v_cndmask_b32_e64 v117, 0, 1, s14
	s_delay_alu instid0(VALU_DEP_1) | instskip(SKIP_2) | instid1(VALU_DEP_1)
	v_cmp_ne_u32_e64 s14, 0, v117
	v_not_b32_e32 v117, v119
	v_not_b32_e32 v119, v129
	v_ashrrev_i32_e32 v119, 31, v119
	v_dual_lshlrev_b32 v131, 28, v103 :: v_dual_lshlrev_b32 v133, 27, v103
	v_lshlrev_b32_e32 v134, 26, v103
	s_set_vgpr_msb 16                       ;  msbs: dst=0 src0=0 src1=0 src2=1
	v_lshl_add_u32 v113, v103, 3, v19 /*v275*/
	v_dual_lshlrev_b32 v135, 25, v103 :: v_dual_lshlrev_b32 v103, 24, v103
	v_cmp_gt_i32_e64 s16, 0, v129
	v_cmp_gt_i32_e64 s17, 0, v131
	v_not_b32_e32 v129, v131
	v_not_b32_e32 v131, v133
	v_ashrrev_i32_e32 v117, 31, v117
	v_cmp_gt_i32_e64 s18, 0, v133
	v_cmp_gt_i32_e64 s19, 0, v134
	v_not_b32_e32 v133, v134
	v_dual_ashrrev_i32 v129, 31, v129 :: v_dual_bitop2_b32 v119, s16, v119 bitop3:0x14
	v_dual_ashrrev_i32 v131, 31, v131 :: v_dual_bitop2_b32 v117, s15, v117 bitop3:0x14
	v_not_b32_e32 v134, v103
	v_xor_b32_e32 v101, s14, v101
	s_delay_alu instid0(VALU_DEP_3)
	v_dual_ashrrev_i32 v133, 31, v133 :: v_dual_bitop2_b32 v131, s18, v131 bitop3:0x14
	v_xor_b32_e32 v129, s17, v129
	v_cmp_gt_i32_e64 s15, 0, v103
	v_ashrrev_i32_e32 v103, 31, v134
	v_bitop3_b32 v101, v101, v117, exec_lo bitop3:0x80
	v_not_b32_e32 v117, v135
	v_xor_b32_e32 v133, s19, v133
	v_cmp_gt_i32_e64 s14, 0, v135
	s_set_vgpr_msb 0                        ;  msbs: dst=0 src0=0 src1=0 src2=0
	v_lshl_add_u32 v113, v113, 2, v12
	v_bitop3_b32 v101, v101, v129, v119 bitop3:0x80
	v_dual_ashrrev_i32 v117, 31, v117 :: v_dual_bitop2_b32 v103, s15, v103 bitop3:0x14
	ds_load_b32 v148, v113 offset:32
	v_bitop3_b32 v101, v101, v133, v131 bitop3:0x80
	v_xor_b32_e32 v117, s14, v117
	v_add_nc_u32_e32 v134, 32, v113
	; wave barrier
	s_delay_alu instid0(VALU_DEP_2) | instskip(NEXT) | instid1(VALU_DEP_1)
	v_bitop3_b32 v101, v101, v103, v117 bitop3:0x80
	v_mbcnt_lo_u32_b32 v150, v101, 0
	v_cmp_ne_u32_e64 s15, 0, v101
	s_delay_alu instid0(VALU_DEP_2) | instskip(SKIP_1) | instid1(SALU_CYCLE_1)
	v_cmp_eq_u32_e64 s14, 0, v150
	s_and_b32 s15, s15, s14
	s_and_saveexec_b32 s14, s15
	s_cbranch_execz .LBB907_74
; %bb.73:                               ;   in Loop: Header=BB907_56 Depth=1
	s_wait_dscnt 0x0
	v_bcnt_u32_b32 v101, v101, v148
	ds_store_b32 v134, v101
.LBB907_74:                             ;   in Loop: Header=BB907_56 Depth=1
	s_or_b32 exec_lo, exec_lo, s14
	s_set_vgpr_msb 4                        ;  msbs: dst=0 src0=0 src1=1 src2=0
	v_and_b32_e32 v101, 0xffff, v38 /*v294*/
	; wave barrier
	s_set_vgpr_msb 0                        ;  msbs: dst=0 src0=0 src1=0 src2=0
	s_delay_alu instid0(VALU_DEP_1) | instskip(NEXT) | instid1(VALU_DEP_1)
	v_lshrrev_b32_e32 v101, v10, v101
	v_and_b32_e32 v103, v101, v97
	s_delay_alu instid0(VALU_DEP_1) | instskip(SKIP_2) | instid1(VALU_DEP_3)
	v_lshlrev_b32_e32 v119, 30, v103
	v_bitop3_b32 v101, v101, 1, v97 bitop3:0x80
	v_lshlrev_b32_e32 v129, 29, v103
	v_cmp_gt_i32_e64 s15, 0, v119
	s_delay_alu instid0(VALU_DEP_3) | instskip(NEXT) | instid1(VALU_DEP_1)
	v_add_co_u32 v101, s14, v101, -1
	v_cndmask_b32_e64 v117, 0, 1, s14
	s_delay_alu instid0(VALU_DEP_1) | instskip(SKIP_2) | instid1(VALU_DEP_1)
	v_cmp_ne_u32_e64 s14, 0, v117
	v_not_b32_e32 v117, v119
	v_not_b32_e32 v119, v129
	v_ashrrev_i32_e32 v119, 31, v119
	v_dual_lshlrev_b32 v131, 28, v103 :: v_dual_lshlrev_b32 v133, 27, v103
	v_lshlrev_b32_e32 v135, 26, v103
	s_set_vgpr_msb 16                       ;  msbs: dst=0 src0=0 src1=0 src2=1
	v_lshl_add_u32 v113, v103, 3, v19 /*v275*/
	v_dual_lshlrev_b32 v145, 25, v103 :: v_dual_lshlrev_b32 v103, 24, v103
	v_cmp_gt_i32_e64 s16, 0, v129
	v_cmp_gt_i32_e64 s17, 0, v131
	v_not_b32_e32 v129, v131
	v_not_b32_e32 v131, v133
	v_ashrrev_i32_e32 v117, 31, v117
	v_cmp_gt_i32_e64 s18, 0, v133
	v_cmp_gt_i32_e64 s19, 0, v135
	v_not_b32_e32 v133, v135
	v_dual_ashrrev_i32 v129, 31, v129 :: v_dual_bitop2_b32 v119, s16, v119 bitop3:0x14
	v_dual_ashrrev_i32 v131, 31, v131 :: v_dual_bitop2_b32 v117, s15, v117 bitop3:0x14
	v_not_b32_e32 v135, v103
	v_xor_b32_e32 v101, s14, v101
	s_delay_alu instid0(VALU_DEP_3)
	v_dual_ashrrev_i32 v133, 31, v133 :: v_dual_bitop2_b32 v131, s18, v131 bitop3:0x14
	v_xor_b32_e32 v129, s17, v129
	v_cmp_gt_i32_e64 s15, 0, v103
	v_ashrrev_i32_e32 v103, 31, v135
	v_bitop3_b32 v101, v101, v117, exec_lo bitop3:0x80
	v_not_b32_e32 v117, v145
	v_xor_b32_e32 v133, s19, v133
	v_cmp_gt_i32_e64 s14, 0, v145
	s_set_vgpr_msb 0                        ;  msbs: dst=0 src0=0 src1=0 src2=0
	v_lshl_add_u32 v113, v113, 2, v12
	v_bitop3_b32 v101, v101, v129, v119 bitop3:0x80
	v_dual_ashrrev_i32 v117, 31, v117 :: v_dual_bitop2_b32 v103, s15, v103 bitop3:0x14
	ds_load_b32 v160, v113 offset:32
	v_bitop3_b32 v101, v101, v133, v131 bitop3:0x80
	v_xor_b32_e32 v117, s14, v117
	v_add_nc_u32_e32 v146, 32, v113
	; wave barrier
	s_delay_alu instid0(VALU_DEP_2) | instskip(NEXT) | instid1(VALU_DEP_1)
	v_bitop3_b32 v101, v101, v103, v117 bitop3:0x80
	v_mbcnt_lo_u32_b32 v162, v101, 0
	v_cmp_ne_u32_e64 s15, 0, v101
	s_delay_alu instid0(VALU_DEP_2) | instskip(SKIP_1) | instid1(SALU_CYCLE_1)
	v_cmp_eq_u32_e64 s14, 0, v162
	s_and_b32 s15, s15, s14
	s_and_saveexec_b32 s14, s15
	s_cbranch_execz .LBB907_76
; %bb.75:                               ;   in Loop: Header=BB907_56 Depth=1
	s_wait_dscnt 0x0
	v_bcnt_u32_b32 v101, v101, v160
	ds_store_b32 v146, v101
.LBB907_76:                             ;   in Loop: Header=BB907_56 Depth=1
	s_or_b32 exec_lo, exec_lo, s14
	s_set_vgpr_msb 4                        ;  msbs: dst=0 src0=0 src1=1 src2=0
	v_and_b32_e32 v101, 0xffff, v40 /*v296*/
	; wave barrier
	s_set_vgpr_msb 0                        ;  msbs: dst=0 src0=0 src1=0 src2=0
	s_delay_alu instid0(VALU_DEP_1) | instskip(NEXT) | instid1(VALU_DEP_1)
	v_lshrrev_b32_e32 v101, v10, v101
	v_and_b32_e32 v103, v101, v97
	s_delay_alu instid0(VALU_DEP_1) | instskip(SKIP_2) | instid1(VALU_DEP_3)
	v_lshlrev_b32_e32 v119, 30, v103
	v_bitop3_b32 v101, v101, 1, v97 bitop3:0x80
	v_lshlrev_b32_e32 v129, 29, v103
	v_cmp_gt_i32_e64 s15, 0, v119
	s_delay_alu instid0(VALU_DEP_3) | instskip(NEXT) | instid1(VALU_DEP_1)
	v_add_co_u32 v101, s14, v101, -1
	v_cndmask_b32_e64 v117, 0, 1, s14
	s_delay_alu instid0(VALU_DEP_1) | instskip(SKIP_2) | instid1(VALU_DEP_1)
	v_cmp_ne_u32_e64 s14, 0, v117
	v_not_b32_e32 v117, v119
	v_not_b32_e32 v119, v129
	v_ashrrev_i32_e32 v119, 31, v119
	v_dual_lshlrev_b32 v131, 28, v103 :: v_dual_lshlrev_b32 v133, 27, v103
	v_lshlrev_b32_e32 v135, 26, v103
	s_set_vgpr_msb 16                       ;  msbs: dst=0 src0=0 src1=0 src2=1
	v_lshl_add_u32 v113, v103, 3, v19 /*v275*/
	v_dual_lshlrev_b32 v145, 25, v103 :: v_dual_lshlrev_b32 v103, 24, v103
	v_cmp_gt_i32_e64 s16, 0, v129
	v_cmp_gt_i32_e64 s17, 0, v131
	v_not_b32_e32 v129, v131
	v_not_b32_e32 v131, v133
	v_ashrrev_i32_e32 v117, 31, v117
	v_cmp_gt_i32_e64 s18, 0, v133
	v_cmp_gt_i32_e64 s19, 0, v135
	v_not_b32_e32 v133, v135
	v_dual_ashrrev_i32 v129, 31, v129 :: v_dual_bitop2_b32 v119, s16, v119 bitop3:0x14
	v_dual_ashrrev_i32 v131, 31, v131 :: v_dual_bitop2_b32 v117, s15, v117 bitop3:0x14
	v_not_b32_e32 v135, v103
	v_xor_b32_e32 v101, s14, v101
	s_delay_alu instid0(VALU_DEP_3)
	v_dual_ashrrev_i32 v133, 31, v133 :: v_dual_bitop2_b32 v131, s18, v131 bitop3:0x14
	v_xor_b32_e32 v129, s17, v129
	v_cmp_gt_i32_e64 s15, 0, v103
	v_ashrrev_i32_e32 v103, 31, v135
	v_bitop3_b32 v101, v101, v117, exec_lo bitop3:0x80
	v_not_b32_e32 v117, v145
	v_xor_b32_e32 v133, s19, v133
	v_cmp_gt_i32_e64 s14, 0, v145
	s_set_vgpr_msb 0                        ;  msbs: dst=0 src0=0 src1=0 src2=0
	v_lshl_add_u32 v113, v113, 2, v12
	v_bitop3_b32 v101, v101, v129, v119 bitop3:0x80
	v_dual_ashrrev_i32 v117, 31, v117 :: v_dual_bitop2_b32 v103, s15, v103 bitop3:0x14
	ds_load_b32 v163, v113 offset:32
	v_bitop3_b32 v101, v101, v133, v131 bitop3:0x80
	v_xor_b32_e32 v117, s14, v117
	v_add_nc_u32_e32 v165, 32, v113
	; wave barrier
	s_delay_alu instid0(VALU_DEP_2) | instskip(NEXT) | instid1(VALU_DEP_1)
	v_bitop3_b32 v101, v101, v103, v117 bitop3:0x80
	v_mbcnt_lo_u32_b32 v164, v101, 0
	v_cmp_ne_u32_e64 s15, 0, v101
	s_delay_alu instid0(VALU_DEP_2) | instskip(SKIP_1) | instid1(SALU_CYCLE_1)
	v_cmp_eq_u32_e64 s14, 0, v164
	s_and_b32 s15, s15, s14
	s_and_saveexec_b32 s14, s15
	s_cbranch_execz .LBB907_78
; %bb.77:                               ;   in Loop: Header=BB907_56 Depth=1
	s_wait_dscnt 0x0
	v_bcnt_u32_b32 v101, v101, v163
	ds_store_b32 v165, v101
.LBB907_78:                             ;   in Loop: Header=BB907_56 Depth=1
	s_or_b32 exec_lo, exec_lo, s14
	s_set_vgpr_msb 4                        ;  msbs: dst=0 src0=0 src1=1 src2=0
	v_and_b32_e32 v101, 0xffff, v41 /*v297*/
	; wave barrier
	s_set_vgpr_msb 0                        ;  msbs: dst=0 src0=0 src1=0 src2=0
	s_delay_alu instid0(VALU_DEP_1) | instskip(NEXT) | instid1(VALU_DEP_1)
	v_lshrrev_b32_e32 v101, v10, v101
	v_and_b32_e32 v103, v101, v97
	s_delay_alu instid0(VALU_DEP_1) | instskip(SKIP_2) | instid1(VALU_DEP_3)
	v_lshlrev_b32_e32 v119, 30, v103
	v_bitop3_b32 v101, v101, 1, v97 bitop3:0x80
	v_lshlrev_b32_e32 v129, 29, v103
	v_cmp_gt_i32_e64 s15, 0, v119
	s_delay_alu instid0(VALU_DEP_3) | instskip(NEXT) | instid1(VALU_DEP_1)
	v_add_co_u32 v101, s14, v101, -1
	v_cndmask_b32_e64 v117, 0, 1, s14
	s_delay_alu instid0(VALU_DEP_1) | instskip(SKIP_2) | instid1(VALU_DEP_1)
	v_cmp_ne_u32_e64 s14, 0, v117
	v_not_b32_e32 v117, v119
	v_not_b32_e32 v119, v129
	v_ashrrev_i32_e32 v119, 31, v119
	v_dual_lshlrev_b32 v131, 28, v103 :: v_dual_lshlrev_b32 v133, 27, v103
	v_lshlrev_b32_e32 v135, 26, v103
	s_set_vgpr_msb 16                       ;  msbs: dst=0 src0=0 src1=0 src2=1
	v_lshl_add_u32 v113, v103, 3, v19 /*v275*/
	v_dual_lshlrev_b32 v145, 25, v103 :: v_dual_lshlrev_b32 v103, 24, v103
	v_cmp_gt_i32_e64 s16, 0, v129
	v_cmp_gt_i32_e64 s17, 0, v131
	v_not_b32_e32 v129, v131
	v_not_b32_e32 v131, v133
	v_ashrrev_i32_e32 v117, 31, v117
	v_cmp_gt_i32_e64 s18, 0, v133
	v_cmp_gt_i32_e64 s19, 0, v135
	v_not_b32_e32 v133, v135
	v_dual_ashrrev_i32 v129, 31, v129 :: v_dual_bitop2_b32 v119, s16, v119 bitop3:0x14
	v_dual_ashrrev_i32 v131, 31, v131 :: v_dual_bitop2_b32 v117, s15, v117 bitop3:0x14
	v_not_b32_e32 v135, v103
	v_xor_b32_e32 v101, s14, v101
	s_delay_alu instid0(VALU_DEP_3)
	v_dual_ashrrev_i32 v133, 31, v133 :: v_dual_bitop2_b32 v131, s18, v131 bitop3:0x14
	v_xor_b32_e32 v129, s17, v129
	v_cmp_gt_i32_e64 s15, 0, v103
	v_ashrrev_i32_e32 v103, 31, v135
	v_bitop3_b32 v101, v101, v117, exec_lo bitop3:0x80
	v_not_b32_e32 v117, v145
	v_xor_b32_e32 v133, s19, v133
	v_cmp_gt_i32_e64 s14, 0, v145
	s_set_vgpr_msb 0                        ;  msbs: dst=0 src0=0 src1=0 src2=0
	v_lshl_add_u32 v113, v113, 2, v12
	v_bitop3_b32 v101, v101, v129, v119 bitop3:0x80
	v_dual_ashrrev_i32 v117, 31, v117 :: v_dual_bitop2_b32 v103, s15, v103 bitop3:0x14
	ds_load_b32 v166, v113 offset:32
	v_bitop3_b32 v101, v101, v133, v131 bitop3:0x80
	v_xor_b32_e32 v117, s14, v117
	v_add_nc_u32_e32 v167, 32, v113
	; wave barrier
	s_delay_alu instid0(VALU_DEP_2) | instskip(NEXT) | instid1(VALU_DEP_1)
	v_bitop3_b32 v101, v101, v103, v117 bitop3:0x80
	v_mbcnt_lo_u32_b32 v176, v101, 0
	v_cmp_ne_u32_e64 s15, 0, v101
	s_delay_alu instid0(VALU_DEP_2) | instskip(SKIP_1) | instid1(SALU_CYCLE_1)
	v_cmp_eq_u32_e64 s14, 0, v176
	s_and_b32 s15, s15, s14
	s_and_saveexec_b32 s14, s15
	s_cbranch_execz .LBB907_80
; %bb.79:                               ;   in Loop: Header=BB907_56 Depth=1
	s_wait_dscnt 0x0
	v_bcnt_u32_b32 v101, v101, v166
	ds_store_b32 v167, v101
.LBB907_80:                             ;   in Loop: Header=BB907_56 Depth=1
	s_or_b32 exec_lo, exec_lo, s14
	s_set_vgpr_msb 4                        ;  msbs: dst=0 src0=0 src1=1 src2=0
	v_and_b32_e32 v101, 0xffff, v42 /*v298*/
	; wave barrier
	s_set_vgpr_msb 0                        ;  msbs: dst=0 src0=0 src1=0 src2=0
	s_delay_alu instid0(VALU_DEP_1) | instskip(NEXT) | instid1(VALU_DEP_1)
	v_lshrrev_b32_e32 v101, v10, v101
	v_and_b32_e32 v103, v101, v97
	s_delay_alu instid0(VALU_DEP_1) | instskip(SKIP_2) | instid1(VALU_DEP_3)
	v_lshlrev_b32_e32 v119, 30, v103
	v_bitop3_b32 v101, v101, 1, v97 bitop3:0x80
	v_lshlrev_b32_e32 v129, 29, v103
	v_cmp_gt_i32_e64 s15, 0, v119
	s_delay_alu instid0(VALU_DEP_3) | instskip(NEXT) | instid1(VALU_DEP_1)
	v_add_co_u32 v101, s14, v101, -1
	v_cndmask_b32_e64 v117, 0, 1, s14
	s_delay_alu instid0(VALU_DEP_1) | instskip(SKIP_2) | instid1(VALU_DEP_1)
	v_cmp_ne_u32_e64 s14, 0, v117
	v_not_b32_e32 v117, v119
	v_not_b32_e32 v119, v129
	v_ashrrev_i32_e32 v119, 31, v119
	v_dual_lshlrev_b32 v131, 28, v103 :: v_dual_lshlrev_b32 v133, 27, v103
	v_lshlrev_b32_e32 v135, 26, v103
	s_set_vgpr_msb 16                       ;  msbs: dst=0 src0=0 src1=0 src2=1
	v_lshl_add_u32 v113, v103, 3, v19 /*v275*/
	v_dual_lshlrev_b32 v145, 25, v103 :: v_dual_lshlrev_b32 v103, 24, v103
	v_cmp_gt_i32_e64 s16, 0, v129
	v_cmp_gt_i32_e64 s17, 0, v131
	v_not_b32_e32 v129, v131
	v_not_b32_e32 v131, v133
	v_ashrrev_i32_e32 v117, 31, v117
	v_cmp_gt_i32_e64 s18, 0, v133
	v_cmp_gt_i32_e64 s19, 0, v135
	v_not_b32_e32 v133, v135
	v_dual_ashrrev_i32 v129, 31, v129 :: v_dual_bitop2_b32 v119, s16, v119 bitop3:0x14
	v_dual_ashrrev_i32 v131, 31, v131 :: v_dual_bitop2_b32 v117, s15, v117 bitop3:0x14
	v_not_b32_e32 v135, v103
	v_xor_b32_e32 v101, s14, v101
	s_delay_alu instid0(VALU_DEP_3)
	v_dual_ashrrev_i32 v133, 31, v133 :: v_dual_bitop2_b32 v131, s18, v131 bitop3:0x14
	v_xor_b32_e32 v129, s17, v129
	v_cmp_gt_i32_e64 s15, 0, v103
	v_ashrrev_i32_e32 v103, 31, v135
	v_bitop3_b32 v101, v101, v117, exec_lo bitop3:0x80
	v_not_b32_e32 v117, v145
	v_xor_b32_e32 v133, s19, v133
	v_cmp_gt_i32_e64 s14, 0, v145
	s_set_vgpr_msb 0                        ;  msbs: dst=0 src0=0 src1=0 src2=0
	v_lshl_add_u32 v113, v113, 2, v12
	v_bitop3_b32 v101, v101, v129, v119 bitop3:0x80
	v_dual_ashrrev_i32 v117, 31, v117 :: v_dual_bitop2_b32 v103, s15, v103 bitop3:0x14
	ds_load_b32 v178, v113 offset:32
	v_bitop3_b32 v101, v101, v133, v131 bitop3:0x80
	v_xor_b32_e32 v117, s14, v117
	v_add_nc_u32_e32 v177, 32, v113
	; wave barrier
	s_delay_alu instid0(VALU_DEP_2) | instskip(NEXT) | instid1(VALU_DEP_1)
	v_bitop3_b32 v101, v101, v103, v117 bitop3:0x80
	v_mbcnt_lo_u32_b32 v179, v101, 0
	v_cmp_ne_u32_e64 s15, 0, v101
	s_delay_alu instid0(VALU_DEP_2) | instskip(SKIP_1) | instid1(SALU_CYCLE_1)
	v_cmp_eq_u32_e64 s14, 0, v179
	s_and_b32 s15, s15, s14
	s_and_saveexec_b32 s14, s15
	s_cbranch_execz .LBB907_82
; %bb.81:                               ;   in Loop: Header=BB907_56 Depth=1
	s_wait_dscnt 0x0
	v_bcnt_u32_b32 v101, v101, v178
	ds_store_b32 v177, v101
.LBB907_82:                             ;   in Loop: Header=BB907_56 Depth=1
	s_or_b32 exec_lo, exec_lo, s14
	s_set_vgpr_msb 4                        ;  msbs: dst=0 src0=0 src1=1 src2=0
	v_and_b32_e32 v101, 0xffff, v43 /*v299*/
	; wave barrier
	s_set_vgpr_msb 0                        ;  msbs: dst=0 src0=0 src1=0 src2=0
	s_delay_alu instid0(VALU_DEP_1) | instskip(NEXT) | instid1(VALU_DEP_1)
	v_lshrrev_b32_e32 v101, v10, v101
	v_and_b32_e32 v103, v101, v97
	s_delay_alu instid0(VALU_DEP_1) | instskip(SKIP_2) | instid1(VALU_DEP_3)
	v_lshlrev_b32_e32 v119, 30, v103
	v_bitop3_b32 v101, v101, 1, v97 bitop3:0x80
	v_lshlrev_b32_e32 v129, 29, v103
	v_cmp_gt_i32_e64 s15, 0, v119
	s_delay_alu instid0(VALU_DEP_3) | instskip(NEXT) | instid1(VALU_DEP_1)
	v_add_co_u32 v101, s14, v101, -1
	v_cndmask_b32_e64 v117, 0, 1, s14
	s_delay_alu instid0(VALU_DEP_1) | instskip(SKIP_2) | instid1(VALU_DEP_1)
	v_cmp_ne_u32_e64 s14, 0, v117
	v_not_b32_e32 v117, v119
	v_not_b32_e32 v119, v129
	v_ashrrev_i32_e32 v119, 31, v119
	v_dual_lshlrev_b32 v131, 28, v103 :: v_dual_lshlrev_b32 v133, 27, v103
	v_lshlrev_b32_e32 v135, 26, v103
	s_set_vgpr_msb 16                       ;  msbs: dst=0 src0=0 src1=0 src2=1
	v_lshl_add_u32 v113, v103, 3, v19 /*v275*/
	v_dual_lshlrev_b32 v145, 25, v103 :: v_dual_lshlrev_b32 v103, 24, v103
	v_cmp_gt_i32_e64 s16, 0, v129
	v_cmp_gt_i32_e64 s17, 0, v131
	v_not_b32_e32 v129, v131
	v_not_b32_e32 v131, v133
	v_ashrrev_i32_e32 v117, 31, v117
	v_cmp_gt_i32_e64 s18, 0, v133
	v_cmp_gt_i32_e64 s19, 0, v135
	v_not_b32_e32 v133, v135
	v_dual_ashrrev_i32 v129, 31, v129 :: v_dual_bitop2_b32 v119, s16, v119 bitop3:0x14
	v_dual_ashrrev_i32 v131, 31, v131 :: v_dual_bitop2_b32 v117, s15, v117 bitop3:0x14
	v_not_b32_e32 v135, v103
	v_xor_b32_e32 v101, s14, v101
	s_delay_alu instid0(VALU_DEP_3)
	v_dual_ashrrev_i32 v133, 31, v133 :: v_dual_bitop2_b32 v131, s18, v131 bitop3:0x14
	v_xor_b32_e32 v129, s17, v129
	v_cmp_gt_i32_e64 s15, 0, v103
	v_ashrrev_i32_e32 v103, 31, v135
	v_bitop3_b32 v101, v101, v117, exec_lo bitop3:0x80
	v_not_b32_e32 v117, v145
	v_xor_b32_e32 v133, s19, v133
	v_cmp_gt_i32_e64 s14, 0, v145
	s_set_vgpr_msb 0                        ;  msbs: dst=0 src0=0 src1=0 src2=0
	v_lshl_add_u32 v113, v113, 2, v12
	v_bitop3_b32 v101, v101, v129, v119 bitop3:0x80
	v_dual_ashrrev_i32 v117, 31, v117 :: v_dual_bitop2_b32 v103, s15, v103 bitop3:0x14
	ds_load_b32 v180, v113 offset:32
	v_bitop3_b32 v101, v101, v133, v131 bitop3:0x80
	v_xor_b32_e32 v117, s14, v117
	v_add_nc_u32_e32 v182, 32, v113
	; wave barrier
	s_delay_alu instid0(VALU_DEP_2) | instskip(NEXT) | instid1(VALU_DEP_1)
	v_bitop3_b32 v101, v101, v103, v117 bitop3:0x80
	v_mbcnt_lo_u32_b32 v181, v101, 0
	v_cmp_ne_u32_e64 s15, 0, v101
	s_delay_alu instid0(VALU_DEP_2) | instskip(SKIP_1) | instid1(SALU_CYCLE_1)
	v_cmp_eq_u32_e64 s14, 0, v181
	s_and_b32 s15, s15, s14
	s_and_saveexec_b32 s14, s15
	s_cbranch_execz .LBB907_84
; %bb.83:                               ;   in Loop: Header=BB907_56 Depth=1
	s_wait_dscnt 0x0
	v_bcnt_u32_b32 v101, v101, v180
	ds_store_b32 v182, v101
.LBB907_84:                             ;   in Loop: Header=BB907_56 Depth=1
	s_or_b32 exec_lo, exec_lo, s14
	s_set_vgpr_msb 4                        ;  msbs: dst=0 src0=0 src1=1 src2=0
	v_and_b32_e32 v101, 0xffff, v45 /*v301*/
	; wave barrier
	s_set_vgpr_msb 0                        ;  msbs: dst=0 src0=0 src1=0 src2=0
	s_delay_alu instid0(VALU_DEP_1) | instskip(NEXT) | instid1(VALU_DEP_1)
	v_lshrrev_b32_e32 v101, v10, v101
	v_and_b32_e32 v103, v101, v97
	s_delay_alu instid0(VALU_DEP_1) | instskip(SKIP_2) | instid1(VALU_DEP_3)
	v_lshlrev_b32_e32 v119, 30, v103
	v_bitop3_b32 v101, v101, 1, v97 bitop3:0x80
	v_lshlrev_b32_e32 v129, 29, v103
	v_cmp_gt_i32_e64 s15, 0, v119
	s_delay_alu instid0(VALU_DEP_3) | instskip(NEXT) | instid1(VALU_DEP_1)
	v_add_co_u32 v101, s14, v101, -1
	v_cndmask_b32_e64 v117, 0, 1, s14
	s_delay_alu instid0(VALU_DEP_1) | instskip(SKIP_2) | instid1(VALU_DEP_1)
	v_cmp_ne_u32_e64 s14, 0, v117
	v_not_b32_e32 v117, v119
	v_not_b32_e32 v119, v129
	v_ashrrev_i32_e32 v119, 31, v119
	v_dual_lshlrev_b32 v131, 28, v103 :: v_dual_lshlrev_b32 v133, 27, v103
	v_lshlrev_b32_e32 v135, 26, v103
	s_set_vgpr_msb 16                       ;  msbs: dst=0 src0=0 src1=0 src2=1
	v_lshl_add_u32 v113, v103, 3, v19 /*v275*/
	v_dual_lshlrev_b32 v145, 25, v103 :: v_dual_lshlrev_b32 v103, 24, v103
	v_cmp_gt_i32_e64 s16, 0, v129
	v_cmp_gt_i32_e64 s17, 0, v131
	v_not_b32_e32 v129, v131
	v_not_b32_e32 v131, v133
	v_ashrrev_i32_e32 v117, 31, v117
	v_cmp_gt_i32_e64 s18, 0, v133
	v_cmp_gt_i32_e64 s19, 0, v135
	v_not_b32_e32 v133, v135
	v_dual_ashrrev_i32 v129, 31, v129 :: v_dual_bitop2_b32 v119, s16, v119 bitop3:0x14
	v_dual_ashrrev_i32 v131, 31, v131 :: v_dual_bitop2_b32 v117, s15, v117 bitop3:0x14
	v_not_b32_e32 v135, v103
	v_xor_b32_e32 v101, s14, v101
	s_delay_alu instid0(VALU_DEP_3)
	v_dual_ashrrev_i32 v133, 31, v133 :: v_dual_bitop2_b32 v131, s18, v131 bitop3:0x14
	v_xor_b32_e32 v129, s17, v129
	v_cmp_gt_i32_e64 s15, 0, v103
	v_ashrrev_i32_e32 v103, 31, v135
	v_bitop3_b32 v101, v101, v117, exec_lo bitop3:0x80
	v_not_b32_e32 v117, v145
	v_xor_b32_e32 v133, s19, v133
	v_cmp_gt_i32_e64 s14, 0, v145
	s_set_vgpr_msb 0                        ;  msbs: dst=0 src0=0 src1=0 src2=0
	v_lshl_add_u32 v113, v113, 2, v12
	v_bitop3_b32 v101, v101, v129, v119 bitop3:0x80
	v_dual_ashrrev_i32 v117, 31, v117 :: v_dual_bitop2_b32 v103, s15, v103 bitop3:0x14
	ds_load_b32 v183, v113 offset:32
	v_bitop3_b32 v101, v101, v133, v131 bitop3:0x80
	v_xor_b32_e32 v117, s14, v117
	v_add_nc_u32_e32 v193, 32, v113
	; wave barrier
	s_delay_alu instid0(VALU_DEP_2) | instskip(NEXT) | instid1(VALU_DEP_1)
	v_bitop3_b32 v101, v101, v103, v117 bitop3:0x80
	v_mbcnt_lo_u32_b32 v192, v101, 0
	v_cmp_ne_u32_e64 s15, 0, v101
	s_delay_alu instid0(VALU_DEP_2) | instskip(SKIP_1) | instid1(SALU_CYCLE_1)
	v_cmp_eq_u32_e64 s14, 0, v192
	s_and_b32 s15, s15, s14
	s_and_saveexec_b32 s14, s15
	s_cbranch_execz .LBB907_86
; %bb.85:                               ;   in Loop: Header=BB907_56 Depth=1
	s_wait_dscnt 0x0
	v_bcnt_u32_b32 v101, v101, v183
	ds_store_b32 v193, v101
.LBB907_86:                             ;   in Loop: Header=BB907_56 Depth=1
	s_or_b32 exec_lo, exec_lo, s14
	s_set_vgpr_msb 4                        ;  msbs: dst=0 src0=0 src1=1 src2=0
	v_and_b32_e32 v101, 0xffff, v44 /*v300*/
	; wave barrier
	s_set_vgpr_msb 0                        ;  msbs: dst=0 src0=0 src1=0 src2=0
	s_delay_alu instid0(VALU_DEP_1) | instskip(NEXT) | instid1(VALU_DEP_1)
	v_lshrrev_b32_e32 v101, v10, v101
	v_and_b32_e32 v103, v101, v97
	s_delay_alu instid0(VALU_DEP_1) | instskip(SKIP_2) | instid1(VALU_DEP_3)
	v_lshlrev_b32_e32 v119, 30, v103
	v_bitop3_b32 v101, v101, 1, v97 bitop3:0x80
	v_lshlrev_b32_e32 v129, 29, v103
	v_cmp_gt_i32_e64 s15, 0, v119
	s_delay_alu instid0(VALU_DEP_3) | instskip(NEXT) | instid1(VALU_DEP_1)
	v_add_co_u32 v101, s14, v101, -1
	v_cndmask_b32_e64 v117, 0, 1, s14
	s_delay_alu instid0(VALU_DEP_1) | instskip(SKIP_2) | instid1(VALU_DEP_1)
	v_cmp_ne_u32_e64 s14, 0, v117
	v_not_b32_e32 v117, v119
	v_not_b32_e32 v119, v129
	v_ashrrev_i32_e32 v119, 31, v119
	v_dual_lshlrev_b32 v131, 28, v103 :: v_dual_lshlrev_b32 v133, 27, v103
	v_lshlrev_b32_e32 v135, 26, v103
	s_set_vgpr_msb 16                       ;  msbs: dst=0 src0=0 src1=0 src2=1
	v_lshl_add_u32 v113, v103, 3, v19 /*v275*/
	v_dual_lshlrev_b32 v145, 25, v103 :: v_dual_lshlrev_b32 v103, 24, v103
	v_cmp_gt_i32_e64 s16, 0, v129
	v_cmp_gt_i32_e64 s17, 0, v131
	v_not_b32_e32 v129, v131
	v_not_b32_e32 v131, v133
	v_ashrrev_i32_e32 v117, 31, v117
	v_cmp_gt_i32_e64 s18, 0, v133
	v_cmp_gt_i32_e64 s19, 0, v135
	v_not_b32_e32 v133, v135
	v_dual_ashrrev_i32 v129, 31, v129 :: v_dual_bitop2_b32 v119, s16, v119 bitop3:0x14
	v_dual_ashrrev_i32 v131, 31, v131 :: v_dual_bitop2_b32 v117, s15, v117 bitop3:0x14
	v_not_b32_e32 v135, v103
	v_xor_b32_e32 v101, s14, v101
	s_delay_alu instid0(VALU_DEP_3)
	v_dual_ashrrev_i32 v133, 31, v133 :: v_dual_bitop2_b32 v131, s18, v131 bitop3:0x14
	v_xor_b32_e32 v129, s17, v129
	v_cmp_gt_i32_e64 s15, 0, v103
	v_ashrrev_i32_e32 v103, 31, v135
	v_bitop3_b32 v101, v101, v117, exec_lo bitop3:0x80
	v_not_b32_e32 v117, v145
	v_xor_b32_e32 v133, s19, v133
	v_cmp_gt_i32_e64 s14, 0, v145
	s_set_vgpr_msb 0                        ;  msbs: dst=0 src0=0 src1=0 src2=0
	v_lshl_add_u32 v113, v113, 2, v12
	v_bitop3_b32 v101, v101, v129, v119 bitop3:0x80
	v_dual_ashrrev_i32 v117, 31, v117 :: v_dual_bitop2_b32 v103, s15, v103 bitop3:0x14
	ds_load_b32 v194, v113 offset:32
	v_bitop3_b32 v101, v101, v133, v131 bitop3:0x80
	v_xor_b32_e32 v117, s14, v117
	v_add_nc_u32_e32 v196, 32, v113
	; wave barrier
	s_delay_alu instid0(VALU_DEP_2) | instskip(NEXT) | instid1(VALU_DEP_1)
	v_bitop3_b32 v101, v101, v103, v117 bitop3:0x80
	v_mbcnt_lo_u32_b32 v195, v101, 0
	v_cmp_ne_u32_e64 s15, 0, v101
	s_delay_alu instid0(VALU_DEP_2) | instskip(SKIP_1) | instid1(SALU_CYCLE_1)
	v_cmp_eq_u32_e64 s14, 0, v195
	s_and_b32 s15, s15, s14
	s_and_saveexec_b32 s14, s15
	s_cbranch_execz .LBB907_88
; %bb.87:                               ;   in Loop: Header=BB907_56 Depth=1
	s_wait_dscnt 0x0
	v_bcnt_u32_b32 v101, v101, v194
	ds_store_b32 v196, v101
.LBB907_88:                             ;   in Loop: Header=BB907_56 Depth=1
	s_or_b32 exec_lo, exec_lo, s14
	s_set_vgpr_msb 4                        ;  msbs: dst=0 src0=0 src1=1 src2=0
	v_and_b32_e32 v101, 0xffff, v46 /*v302*/
	; wave barrier
	s_set_vgpr_msb 0                        ;  msbs: dst=0 src0=0 src1=0 src2=0
	s_delay_alu instid0(VALU_DEP_1) | instskip(NEXT) | instid1(VALU_DEP_1)
	v_lshrrev_b32_e32 v101, v10, v101
	v_and_b32_e32 v103, v101, v97
	s_delay_alu instid0(VALU_DEP_1) | instskip(SKIP_2) | instid1(VALU_DEP_3)
	v_lshlrev_b32_e32 v117, 30, v103
	v_bitop3_b32 v97, v101, 1, v97 bitop3:0x80
	v_dual_lshlrev_b32 v119, 29, v103 :: v_dual_lshlrev_b32 v129, 28, v103
	v_cmp_gt_i32_e64 s15, 0, v117
	s_delay_alu instid0(VALU_DEP_3) | instskip(NEXT) | instid1(VALU_DEP_1)
	v_add_co_u32 v97, s14, v97, -1
	v_cndmask_b32_e64 v113, 0, 1, s14
	s_delay_alu instid0(VALU_DEP_4) | instskip(SKIP_1) | instid1(VALU_DEP_3)
	v_cmp_gt_i32_e64 s16, 0, v119
	v_cmp_gt_i32_e64 s17, 0, v129
	v_cmp_ne_u32_e64 s14, 0, v113
	v_not_b32_e32 v113, v117
	v_not_b32_e32 v117, v119
	;; [unrolled: 1-line block ×3, first 2 shown]
	s_delay_alu instid0(VALU_DEP_1) | instskip(SKIP_4) | instid1(VALU_DEP_3)
	v_dual_ashrrev_i32 v119, 31, v119 :: v_dual_bitop2_b32 v97, s14, v97 bitop3:0x14
	v_dual_lshlrev_b32 v131, 27, v103 :: v_dual_lshlrev_b32 v133, 26, v103
	s_set_vgpr_msb 16                       ;  msbs: dst=0 src0=0 src1=0 src2=1
	v_lshl_add_u32 v101, v103, 3, v19 /*v275*/
	v_dual_lshlrev_b32 v135, 25, v103 :: v_dual_lshlrev_b32 v103, 24, v103
	v_cmp_gt_i32_e64 s18, 0, v131
	v_not_b32_e32 v129, v131
	v_not_b32_e32 v131, v133
	v_ashrrev_i32_e32 v113, 31, v113
	v_dual_ashrrev_i32 v117, 31, v117 :: v_dual_bitop2_b32 v119, s17, v119 bitop3:0x14
	v_cmp_gt_i32_e64 s19, 0, v133
	s_delay_alu instid0(VALU_DEP_3) | instskip(SKIP_1) | instid1(VALU_DEP_4)
	v_dual_ashrrev_i32 v131, 31, v131 :: v_dual_bitop2_b32 v113, s15, v113 bitop3:0x14
	v_ashrrev_i32_e32 v129, 31, v129
	v_xor_b32_e32 v117, s16, v117
	v_not_b32_e32 v133, v103
	s_delay_alu instid0(VALU_DEP_4)
	v_xor_b32_e32 v131, s19, v131
	v_bitop3_b32 v97, v97, v113, exec_lo bitop3:0x80
	v_not_b32_e32 v113, v135
	v_xor_b32_e32 v129, s18, v129
	v_cmp_gt_i32_e64 s14, 0, v135
	v_cmp_gt_i32_e64 s15, 0, v103
	s_set_vgpr_msb 0                        ;  msbs: dst=0 src0=0 src1=0 src2=0
	v_bitop3_b32 v97, v97, v119, v117 bitop3:0x80
	v_ashrrev_i32_e32 v103, 31, v133
	v_ashrrev_i32_e32 v113, 31, v113
	v_lshl_add_u32 v117, v101, 2, v12
	s_delay_alu instid0(VALU_DEP_4) | instskip(NEXT) | instid1(VALU_DEP_4)
	v_bitop3_b32 v101, v97, v131, v129 bitop3:0x80
	v_xor_b32_e32 v103, s15, v103
	s_delay_alu instid0(VALU_DEP_4) | instskip(SKIP_3) | instid1(VALU_DEP_1)
	v_xor_b32_e32 v113, s14, v113
	ds_load_b32 v97, v117 offset:32
	v_add_nc_u32_e32 v198, 32, v117
	; wave barrier
	v_bitop3_b32 v101, v101, v103, v113 bitop3:0x80
	v_mbcnt_lo_u32_b32 v197, v101, 0
	v_cmp_ne_u32_e64 s15, 0, v101
	s_delay_alu instid0(VALU_DEP_2) | instskip(SKIP_1) | instid1(SALU_CYCLE_1)
	v_cmp_eq_u32_e64 s14, 0, v197
	s_and_b32 s15, s15, s14
	s_and_saveexec_b32 s14, s15
	s_cbranch_execz .LBB907_90
; %bb.89:                               ;   in Loop: Header=BB907_56 Depth=1
	s_wait_dscnt 0x0
	v_bcnt_u32_b32 v101, v101, v97
	ds_store_b32 v198, v101
.LBB907_90:                             ;   in Loop: Header=BB907_56 Depth=1
	s_or_b32 exec_lo, exec_lo, s14
	; wave barrier
	s_wait_dscnt 0x0
	s_barrier_signal -1
	s_barrier_wait -1
	ds_load_b32 v103, v19
	ds_load_b32 v113, v39
	s_set_vgpr_msb 1                        ;  msbs: dst=0 src0=1 src1=0 src2=0
	ds_load_b32 v101, v13 /*v269*/
	ds_load_b32 v117, v14 /*v270*/
	;; [unrolled: 1-line block ×6, first 2 shown]
	s_wait_dscnt 0x6
	s_set_vgpr_msb 0                        ;  msbs: dst=0 src0=0 src1=0 src2=0
	v_add_nc_u32_e32 v129, v113, v103
	s_wait_dscnt 0x4
	s_delay_alu instid0(VALU_DEP_1) | instskip(SKIP_1) | instid1(VALU_DEP_1)
	v_add3_u32 v129, v129, v101, v117
	s_wait_dscnt 0x2
	v_add3_u32 v129, v129, v133, v149
	s_wait_dscnt 0x0
	s_delay_alu instid0(VALU_DEP_1) | instskip(NEXT) | instid1(VALU_DEP_1)
	v_add3_u32 v119, v129, v199, v119
	v_mov_b32_dpp v129, v119 row_shr:1 row_mask:0xf bank_mask:0xf
	s_delay_alu instid0(VALU_DEP_1) | instskip(NEXT) | instid1(VALU_DEP_1)
	v_cndmask_b32_e64 v129, v129, 0, vcc_lo
	v_add_nc_u32_e32 v119, v129, v119
	s_delay_alu instid0(VALU_DEP_1) | instskip(NEXT) | instid1(VALU_DEP_1)
	v_mov_b32_dpp v129, v119 row_shr:2 row_mask:0xf bank_mask:0xf
	v_cndmask_b32_e64 v129, 0, v129, s0
	s_delay_alu instid0(VALU_DEP_1) | instskip(NEXT) | instid1(VALU_DEP_1)
	v_add_nc_u32_e32 v119, v119, v129
	v_mov_b32_dpp v129, v119 row_shr:4 row_mask:0xf bank_mask:0xf
	s_delay_alu instid0(VALU_DEP_1) | instskip(NEXT) | instid1(VALU_DEP_1)
	v_cndmask_b32_e64 v129, 0, v129, s1
	v_add_nc_u32_e32 v119, v119, v129
	s_delay_alu instid0(VALU_DEP_1) | instskip(NEXT) | instid1(VALU_DEP_1)
	v_mov_b32_dpp v129, v119 row_shr:8 row_mask:0xf bank_mask:0xf
	v_cndmask_b32_e64 v129, 0, v129, s2
	s_delay_alu instid0(VALU_DEP_1) | instskip(SKIP_3) | instid1(VALU_DEP_1)
	v_add_nc_u32_e32 v119, v119, v129
	ds_swizzle_b32 v129, v119 offset:swizzle(BROADCAST,32,15)
	s_wait_dscnt 0x0
	v_cndmask_b32_e64 v129, v129, 0, s4
	v_add_nc_u32_e32 v119, v119, v129
	s_and_saveexec_b32 s14, s5
; %bb.91:                               ;   in Loop: Header=BB907_56 Depth=1
	ds_store_b32 v17, v119
; %bb.92:                               ;   in Loop: Header=BB907_56 Depth=1
	s_or_b32 exec_lo, exec_lo, s14
	s_wait_dscnt 0x0
	s_barrier_signal -1
	s_barrier_wait -1
	s_and_saveexec_b32 s14, s6
	s_cbranch_execz .LBB907_94
; %bb.93:                               ;   in Loop: Header=BB907_56 Depth=1
	s_set_vgpr_msb 1                        ;  msbs: dst=0 src0=1 src1=0 src2=0
	ds_load_b32 v129, v20 /*v276*/
	s_wait_dscnt 0x0
	s_set_vgpr_msb 0                        ;  msbs: dst=0 src0=0 src1=0 src2=0
	v_mov_b32_dpp v131, v129 row_shr:1 row_mask:0xf bank_mask:0xf
	s_delay_alu instid0(VALU_DEP_1) | instskip(NEXT) | instid1(VALU_DEP_1)
	v_cndmask_b32_e64 v131, v131, 0, s11
	v_add_nc_u32_e32 v129, v131, v129
	s_delay_alu instid0(VALU_DEP_1) | instskip(NEXT) | instid1(VALU_DEP_1)
	v_mov_b32_dpp v131, v129 row_shr:2 row_mask:0xf bank_mask:0xf
	v_cndmask_b32_e64 v131, 0, v131, s12
	s_delay_alu instid0(VALU_DEP_1) | instskip(NEXT) | instid1(VALU_DEP_1)
	v_add_nc_u32_e32 v129, v129, v131
	v_mov_b32_dpp v131, v129 row_shr:4 row_mask:0xf bank_mask:0xf
	s_delay_alu instid0(VALU_DEP_1) | instskip(NEXT) | instid1(VALU_DEP_1)
	v_cndmask_b32_e64 v131, 0, v131, s13
	v_add_nc_u32_e32 v129, v129, v131
	s_set_vgpr_msb 1                        ;  msbs: dst=0 src0=1 src1=0 src2=0
	ds_store_b32 v20 /*v276*/, v129
.LBB907_94:                             ;   in Loop: Header=BB907_56 Depth=1
	s_or_b32 exec_lo, exec_lo, s14
	s_set_vgpr_msb 0                        ;  msbs: dst=0 src0=0 src1=0 src2=0
	v_mov_b32_e32 v129, 0
	s_wait_dscnt 0x0
	s_barrier_signal -1
	s_barrier_wait -1
	s_and_saveexec_b32 s14, s7
; %bb.95:                               ;   in Loop: Header=BB907_56 Depth=1
	v_add_nc_u32_e32 v129, -4, v17
	ds_load_b32 v129, v129
; %bb.96:                               ;   in Loop: Header=BB907_56 Depth=1
	s_or_b32 exec_lo, exec_lo, s14
	s_wait_dscnt 0x0
	v_dual_add_nc_u32 v119, v129, v119 :: v_dual_add_nc_u32 v10, 8, v10
	v_dual_mov_b32 v131, v1 :: v_dual_mov_b32 v147, v1
	v_dual_mov_b32 v145, v1 :: v_dual_mov_b32 v151, v1
	ds_bpermute_b32 v119, v5, v119
	v_mov_b32_e32 v161, v1
	v_cmp_lt_u32_e64 s14, v10, v11
	s_mov_b32 s16, -1
                                        ; implicit-def: $vgpr303
	s_wait_dscnt 0x0
	v_dual_mov_b32 v135, v1 :: v_dual_cndmask_b32 v119, v119, v129, s3
	s_delay_alu instid0(VALU_DEP_1) | instskip(NEXT) | instid1(VALU_DEP_1)
	v_cndmask_b32_e64 v208, v119, 0, s10
	v_dual_mov_b32 v119, v1 :: v_dual_add_nc_u32 v209, v208, v103
	v_mov_b32_e32 v103, v1
	s_delay_alu instid0(VALU_DEP_2) | instskip(NEXT) | instid1(VALU_DEP_1)
	v_add_nc_u32_e32 v210, v209, v113
	v_dual_mov_b32 v113, v1 :: v_dual_add_nc_u32 v211, v210, v101
	s_delay_alu instid0(VALU_DEP_1) | instskip(SKIP_1) | instid1(VALU_DEP_2)
	v_dual_mov_b32 v101, v1 :: v_dual_add_nc_u32 v212, v211, v117
	v_dual_mov_b32 v129, v1 :: v_dual_mov_b32 v117, v1
	v_dual_add_nc_u32 v213, v212, v133 :: v_dual_mov_b32 v133, v1
	s_delay_alu instid0(VALU_DEP_1) | instskip(NEXT) | instid1(VALU_DEP_1)
	v_add_nc_u32_e32 v214, v213, v149
	v_dual_mov_b32 v149, v1 :: v_dual_add_nc_u32 v199, v214, v199
	ds_store_b32 v19, v208
	ds_store_b32 v39, v209
	s_set_vgpr_msb 1                        ;  msbs: dst=0 src0=1 src1=0 src2=0
	ds_store_b32 v13 /*v269*/, v210
	ds_store_b32 v14 /*v270*/, v211
	;; [unrolled: 1-line block ×6, first 2 shown]
	s_wait_dscnt 0x0
	s_barrier_signal -1
	s_barrier_wait -1
	s_set_vgpr_msb 0                        ;  msbs: dst=0 src0=0 src1=0 src2=0
	ds_load_b32 v80, v80
	ds_load_b32 v83, v83
	;; [unrolled: 1-line block ×17, first 2 shown]
	v_dual_mov_b32 v167, v1 :: v_dual_mov_b32 v177, v1
	s_wait_dscnt 0x0
	v_add_nc_u32_e32 v0, v80, v0
	v_add3_u32 v112, v82, v81, v83
	v_add3_u32 v130, v85, v84, v86
	;; [unrolled: 1-line block ×16, first 2 shown]
	v_lshl_add_u64 v[210:211], v[0:1], 1, v[12:13]
	v_lshl_add_u64 v[212:213], v[112:113], 1, v[12:13]
	v_lshl_add_u64 v[214:215], v[130:131], 1, v[12:13]
	v_lshl_add_u64 v[224:225], v[100:101], 1, v[12:13]
	v_lshl_add_u64 v[226:227], v[102:103], 1, v[12:13]
	v_lshl_add_u64 v[228:229], v[118:119], 1, v[12:13]
	v_lshl_add_u64 v[230:231], v[134:135], 1, v[12:13]
	v_lshl_add_u64 v[240:241], v[146:147], 1, v[12:13]
	v_lshl_add_u64 v[242:243], v[116:117], 1, v[12:13]
	v_lshl_add_u64 v[244:245], v[128:129], 1, v[12:13]
	v_lshl_add_u64 v[246:247], v[144:145], 1, v[12:13]
	s_set_vgpr_msb 64                       ;  msbs: dst=1 src0=0 src1=0 src2=0
	v_lshl_add_u64 v[0:1] /*v[256:257]*/, v[150:151], 1, v[12:13]
	v_lshl_add_u64 v[2:3] /*v[258:259]*/, v[160:161], 1, v[12:13]
	;; [unrolled: 1-line block ×6, first 2 shown]
                                        ; implicit-def: $vgpr80_vgpr81
                                        ; implicit-def: $vgpr82_vgpr83
                                        ; implicit-def: $vgpr84_vgpr85
                                        ; implicit-def: $vgpr86_vgpr87
                                        ; implicit-def: $vgpr96_vgpr97
                                        ; implicit-def: $vgpr98_vgpr99
                                        ; implicit-def: $vgpr114_vgpr115
                                        ; implicit-def: $vgpr162_vgpr163
                                        ; implicit-def: $vgpr164_vgpr165
                                        ; implicit-def: $vgpr178_vgpr179
                                        ; implicit-def: $vgpr180_vgpr181
                                        ; implicit-def: $vgpr182_vgpr183
                                        ; implicit-def: $vgpr194_vgpr195
                                        ; implicit-def: $vgpr198_vgpr199
                                        ; implicit-def: $vgpr192_vgpr193
                                        ; implicit-def: $vgpr196_vgpr197
                                        ; implicit-def: $vgpr208_vgpr209
                                        ; implicit-def: $vgpr103
                                        ; implicit-def: $vgpr101
                                        ; implicit-def: $vgpr117
                                        ; implicit-def: $vgpr113
                                        ; implicit-def: $vgpr129
                                        ; implicit-def: $vgpr119
                                        ; implicit-def: $vgpr133
                                        ; implicit-def: $vgpr131
                                        ; implicit-def: $vgpr145
                                        ; implicit-def: $vgpr135
                                        ; implicit-def: $vgpr161
                                        ; implicit-def: $vgpr151
                                        ; implicit-def: $vgpr149
                                        ; implicit-def: $vgpr147
                                        ; implicit-def: $vgpr177
                                        ; implicit-def: $vgpr167
	s_and_saveexec_b32 s15, s14
	s_set_vgpr_msb 0                        ;  msbs: dst=0 src0=0 src1=0 src2=0
	s_cbranch_execz .LBB907_55
; %bb.97:                               ;   in Loop: Header=BB907_56 Depth=1
	v_add_nc_u32_e32 v80, 64, v4
	v_add_nc_u32_e32 v81, 0x80, v4
	v_add_nc_u32_e32 v82, 0xc0, v4
	v_add_nc_u32_e32 v83, 0x100, v4
	v_add_nc_u32_e32 v84, 0x140, v4
	s_barrier_signal -1
	s_barrier_wait -1
	s_set_vgpr_msb 4                        ;  msbs: dst=0 src0=0 src1=1 src2=0
	ds_store_b16 v210, v30 /*v286*/
	ds_store_b16 v212, v34 /*v290*/
	ds_store_b16 v214, v33 /*v289*/
	ds_store_b16 v224, v32 /*v288*/
	ds_store_b16 v226, v31 /*v287*/
	ds_store_b16 v228, v35 /*v291*/
	ds_store_b16 v230, v37 /*v293*/
	ds_store_b16 v240, v36 /*v292*/
	ds_store_b16 v242, v39 /*v295*/
	ds_store_b16 v244, v38 /*v294*/
	ds_store_b16 v246, v40 /*v296*/
	s_set_vgpr_msb 5                        ;  msbs: dst=0 src0=1 src1=1 src2=0
	ds_store_b16 v0 /*v256*/, v41 /*v297*/
	ds_store_b16 v2 /*v258*/, v42 /*v298*/
	;; [unrolled: 1-line block ×6, first 2 shown]
	s_wait_dscnt 0x0
	s_barrier_signal -1
	s_barrier_wait -1
	s_set_vgpr_msb 0                        ;  msbs: dst=0 src0=0 src1=0 src2=0
	ds_load_u16 v103, v4
	ds_load_u16 v101, v80
	;; [unrolled: 1-line block ×6, first 2 shown]
	v_add_nc_u32_e32 v80, 0x180, v4
	v_add_nc_u32_e32 v81, 0x1c0, v4
	;; [unrolled: 1-line block ×5, first 2 shown]
	ds_load_u16 v133, v80
	ds_load_u16 v131, v81
	;; [unrolled: 1-line block ×5, first 2 shown]
	v_add_nc_u32_e32 v80, 0x2c0, v4
	v_add_nc_u32_e32 v81, 0x300, v4
	v_add_nc_u32_e32 v82, 0x340, v4
	v_add_nc_u32_e32 v83, 0x380, v4
	v_add_nc_u32_e32 v84, 0x3c0, v4
	ds_load_u16 v151, v80
	ds_load_u16 v149, v81
	;; [unrolled: 1-line block ×5, first 2 shown]
	v_mad_nc_u64_u32 v[80:81], v0, 6, v[210:211]
	v_mad_nc_u64_u32 v[82:83], v112, 6, v[212:213]
	;; [unrolled: 1-line block ×6, first 2 shown]
	v_add_nc_u32_e32 v81, 0x400, v4
	s_set_vgpr_msb 16                       ;  msbs: dst=0 src0=0 src1=0 src2=1
	v_mad_nc_u64_u32 v[114:115], v160, 6, v[2:3] /*v[258:259]*/
	v_mad_nc_u64_u32 v[162:163], v132, 6, v[4:5] /*v[260:261]*/
	;; [unrolled: 1-line block ×4, first 2 shown]
	s_set_vgpr_msb 64                       ;  msbs: dst=1 src0=0 src1=0 src2=0
	ds_load_u16 v47 /*v303*/, v81
	s_wait_dscnt 0x0
	s_barrier_signal -1
	s_barrier_wait -1
	ds_store_b64 v80, v[54:55]
	ds_store_b64 v82, v[52:53]
	;; [unrolled: 1-line block ×6, first 2 shown]
	s_set_vgpr_msb 0                        ;  msbs: dst=0 src0=0 src1=0 src2=0
	v_mad_nc_u64_u32 v[80:81], v134, 6, v[230:231]
	v_mad_nc_u64_u32 v[82:83], v146, 6, v[240:241]
	;; [unrolled: 1-line block ×5, first 2 shown]
	s_set_vgpr_msb 16                       ;  msbs: dst=0 src0=0 src1=0 src2=1
	v_mad_nc_u64_u32 v[98:99], v150, 6, v[0:1] /*v[256:257]*/
	v_mad_nc_u64_u32 v[180:181], v176, 6, v[10:11] /*v[266:267]*/
	ds_store_b64 v80, v[32:33]
	ds_store_b64 v82, v[30:31]
	;; [unrolled: 1-line block ×11, first 2 shown]
	v_add_nc_u32_e32 v96, 0x400, v16
	v_add_nc_u32_e32 v82, 0x100, v16
	;; [unrolled: 1-line block ×8, first 2 shown]
	s_wait_dscnt 0x0
	s_barrier_signal -1
	s_barrier_wait -1
	ds_load_b64 v[80:81], v16
	ds_load_b64 v[82:83], v82
	;; [unrolled: 1-line block ×9, first 2 shown]
	s_set_vgpr_msb 1                        ;  msbs: dst=0 src0=1 src1=0 src2=0
	ds_load_b64 v[178:179], v21 /*v277*/
	ds_load_b64 v[180:181], v22 /*v278*/
	;; [unrolled: 1-line block ×8, first 2 shown]
	s_set_vgpr_msb 0x44                     ;  msbs: dst=1 src0=0 src1=1 src2=0
	v_add_nc_u32_e32 v29 /*v285*/, -8, v29 /*v285*/
	s_xor_b32 s16, exec_lo, -1
	s_wait_dscnt 0x0
	s_barrier_signal -1
	s_barrier_wait -1
	s_set_vgpr_msb 0                        ;  msbs: dst=0 src0=0 src1=0 src2=0
	s_branch .LBB907_55
.LBB907_98:
	s_or_b32 exec_lo, exec_lo, s24
	v_lshl_add_u32 v1, v18, 1, v12
	v_lshl_add_u32 v0, v0, 3, v12
	v_lshl_add_u32 v10, v112, 3, v12
	v_lshl_add_u32 v11, v130, 3, v12
	s_barrier_signal -1
	s_barrier_wait -1
	s_set_vgpr_msb 4                        ;  msbs: dst=0 src0=0 src1=1 src2=0
	ds_store_b16 v210, v30 /*v286*/
	ds_store_b16 v212, v34 /*v290*/
	;; [unrolled: 1-line block ×11, first 2 shown]
	s_set_vgpr_msb 5                        ;  msbs: dst=0 src0=1 src1=1 src2=0
	ds_store_b16 v0 /*v256*/, v41 /*v297*/
	ds_store_b16 v2 /*v258*/, v42 /*v298*/
	;; [unrolled: 1-line block ×6, first 2 shown]
	s_wait_dscnt 0x0
	s_barrier_signal -1
	s_barrier_wait -1
	s_set_vgpr_msb 0                        ;  msbs: dst=0 src0=0 src1=0 src2=0
	ds_load_u16 v101, v1
	ds_load_u16 v99, v1 offset:512
	ds_load_u16 v98, v1 offset:1024
	;; [unrolled: 1-line block ×16, first 2 shown]
	s_wait_dscnt 0x0
	s_barrier_signal -1
	s_barrier_wait -1
	ds_store_b64 v0, v[54:55]
	ds_store_b64 v10, v[52:53]
	;; [unrolled: 1-line block ×3, first 2 shown]
	v_lshl_add_u32 v0, v100, 3, v12
	v_lshl_add_u32 v10, v102, 3, v12
	;; [unrolled: 1-line block ×5, first 2 shown]
	ds_store_b64 v0, v[48:49]
	ds_store_b64 v10, v[36:37]
	;; [unrolled: 1-line block ×5, first 2 shown]
	v_lshl_add_u32 v0, v116, 3, v12
	v_lshl_add_u32 v10, v128, 3, v12
	;; [unrolled: 1-line block ×5, first 2 shown]
	ds_store_b64 v0, v[24:25]
	ds_store_b64 v10, v[22:23]
	;; [unrolled: 1-line block ×5, first 2 shown]
	v_lshl_add_u32 v0, v132, 3, v12
	v_mul_u32_u24_e32 v13, 6, v18
	v_lshl_add_u32 v10, v148, 3, v12
	v_lshl_add_u32 v11, v166, 3, v12
	;; [unrolled: 1-line block ×3, first 2 shown]
	ds_store_b64 v0, v[14:15]
	ds_store_b64 v10, v[68:69]
	;; [unrolled: 1-line block ×4, first 2 shown]
	v_dual_mov_b32 v39, 0 :: v_dual_add_nc_u32 v0, v1, v13
	s_wait_dscnt 0x0
	s_barrier_signal -1
	s_barrier_wait -1
	ds_load_2addr_stride64_b64 v[48:51], v0 offset1:4
	ds_load_2addr_stride64_b64 v[34:37], v0 offset0:8 offset1:12
	ds_load_2addr_stride64_b64 v[30:33], v0 offset0:16 offset1:20
	;; [unrolled: 1-line block ×7, first 2 shown]
	ds_load_b64 v[0:1], v0 offset:32768
	v_lshl_add_u64 v[2:3], v[8:9], 1, v[2:3]
	s_set_vgpr_msb 4                        ;  msbs: dst=0 src0=0 src1=1 src2=0
	v_cmp_lt_u32_e32 vcc_lo, v38, v12 /*v268*/
	s_wait_dscnt 0x0
	s_barrier_signal -1
	s_barrier_wait -1
	v_lshl_add_u64 v[2:3], v[38:39], 1, v[2:3]
	s_and_saveexec_b32 s0, vcc_lo
	s_set_vgpr_msb 0                        ;  msbs: dst=0 src0=0 src1=0 src2=0
	s_cbranch_execz .LBB907_100
; %bb.99:
	v_xor_b32_e32 v52, 0x7fff, v101
	flat_store_b16 v[2:3], v52
.LBB907_100:
	s_wait_xcnt 0x0
	s_or_b32 exec_lo, exec_lo, s0
	v_add_nc_u32_e32 v52, 0x100, v38
	s_set_vgpr_msb 4                        ;  msbs: dst=0 src0=0 src1=1 src2=0
	s_delay_alu instid0(VALU_DEP_1)
	v_cmp_lt_u32_e64 s0, v52, v12 /*v268*/
	s_and_saveexec_b32 s1, s0
	s_set_vgpr_msb 0                        ;  msbs: dst=0 src0=0 src1=0 src2=0
	s_cbranch_execz .LBB907_102
; %bb.101:
	v_xor_b32_e32 v52, 0x7fff, v99
	flat_store_b16 v[2:3], v52 offset:512
.LBB907_102:
	s_wait_xcnt 0x0
	s_or_b32 exec_lo, exec_lo, s1
	v_add_nc_u32_e32 v52, 0x200, v38
	s_set_vgpr_msb 4                        ;  msbs: dst=0 src0=0 src1=1 src2=0
	s_delay_alu instid0(VALU_DEP_1)
	v_cmp_lt_u32_e64 s1, v52, v12 /*v268*/
	s_and_saveexec_b32 s2, s1
	s_set_vgpr_msb 0                        ;  msbs: dst=0 src0=0 src1=0 src2=0
	s_cbranch_execz .LBB907_104
; %bb.103:
	v_xor_b32_e32 v52, 0x7fff, v98
	flat_store_b16 v[2:3], v52 offset:1024
.LBB907_104:
	;; [unrolled: 13-line block ×16, first 2 shown]
	s_wait_xcnt 0x0
	s_or_b32 exec_lo, exec_lo, s18
	v_lshl_add_u64 v[2:3], v[8:9], 3, v[6:7]
	s_delay_alu instid0(VALU_DEP_1)
	v_lshl_add_u64 v[2:3], v[38:39], 3, v[2:3]
	s_and_saveexec_b32 s18, vcc_lo
	s_cbranch_execnz .LBB907_220
; %bb.133:
	s_or_b32 exec_lo, exec_lo, s18
	s_and_saveexec_b32 s18, s0
	s_cbranch_execnz .LBB907_221
.LBB907_134:
	s_or_b32 exec_lo, exec_lo, s18
	s_and_saveexec_b32 s0, s1
	s_cbranch_execnz .LBB907_222
.LBB907_135:
	s_or_b32 exec_lo, exec_lo, s0
	s_and_saveexec_b32 s0, s2
	s_cbranch_execnz .LBB907_223
.LBB907_136:
	s_or_b32 exec_lo, exec_lo, s0
	s_and_saveexec_b32 s0, s3
	s_cbranch_execnz .LBB907_224
.LBB907_137:
	s_or_b32 exec_lo, exec_lo, s0
	s_and_saveexec_b32 s0, s4
	s_cbranch_execnz .LBB907_225
.LBB907_138:
	s_or_b32 exec_lo, exec_lo, s0
	s_and_saveexec_b32 s0, s5
	s_cbranch_execnz .LBB907_226
.LBB907_139:
	s_or_b32 exec_lo, exec_lo, s0
	s_and_saveexec_b32 s0, s6
	s_cbranch_execnz .LBB907_227
.LBB907_140:
	s_or_b32 exec_lo, exec_lo, s0
	s_and_saveexec_b32 s0, s7
	s_cbranch_execnz .LBB907_228
.LBB907_141:
	s_or_b32 exec_lo, exec_lo, s0
	s_and_saveexec_b32 s0, s10
	s_cbranch_execnz .LBB907_229
.LBB907_142:
	s_or_b32 exec_lo, exec_lo, s0
	s_and_saveexec_b32 s0, s11
	s_cbranch_execnz .LBB907_230
.LBB907_143:
	s_or_b32 exec_lo, exec_lo, s0
	s_and_saveexec_b32 s0, s12
	s_cbranch_execnz .LBB907_231
.LBB907_144:
	s_or_b32 exec_lo, exec_lo, s0
	s_and_saveexec_b32 s0, s13
	s_cbranch_execnz .LBB907_232
.LBB907_145:
	s_or_b32 exec_lo, exec_lo, s0
	s_and_saveexec_b32 s0, s14
	s_cbranch_execnz .LBB907_233
.LBB907_146:
	s_or_b32 exec_lo, exec_lo, s0
	s_and_saveexec_b32 s0, s15
	s_cbranch_execnz .LBB907_234
.LBB907_147:
	s_or_b32 exec_lo, exec_lo, s0
	s_and_saveexec_b32 s0, s16
	s_cbranch_execnz .LBB907_235
.LBB907_148:
	s_or_b32 exec_lo, exec_lo, s0
	s_and_saveexec_b32 s0, s17
	s_cbranch_execz .LBB907_150
.LBB907_149:
	flat_store_b64 v[2:3], v[0:1] offset:32768
.LBB907_150:
	s_wait_xcnt 0x0
	s_or_b32 exec_lo, exec_lo, s0
                                        ; implicit-def: $vgpr268
                                        ; implicit-def: $vgpr8
                                        ; implicit-def: $vgpr10
                                        ; implicit-def: $vgpr11
                                        ; implicit-def: $vgpr0_vgpr1
                                        ; implicit-def: $vgpr2_vgpr3
                                        ; implicit-def: $vgpr4_vgpr5
                                        ; implicit-def: $vgpr6_vgpr7
                                        ; implicit-def: $vgpr12_vgpr13
                                        ; implicit-def: $vgpr9
                                        ; implicit-def: $vgpr14
                                        ; implicit-def: $vgpr18
                                        ; implicit-def: $vgpr66
.LBB907_151:
	s_and_not1_saveexec_b32 s0, s22
	s_cbranch_execz .LBB907_382
; %bb.152:
	s_mov_b32 s0, exec_lo
	s_set_vgpr_msb 4                        ;  msbs: dst=0 src0=0 src1=1 src2=0
	v_cmpx_lt_u32_e32 0x400, v12 /*v268*/
	s_xor_b32 s22, exec_lo, s0
	s_set_vgpr_msb 0                        ;  msbs: dst=0 src0=0 src1=0 src2=0
	s_cbranch_execz .LBB907_262
; %bb.153:
	s_load_b64 s[0:1], s[8:9], 0x0
	s_bfe_u32 s3, ttmp6, 0x4000c
	s_bfe_u32 s5, ttmp6, 0x40010
	s_and_b32 s4, ttmp7, 0xffff
	s_add_co_i32 s3, s3, 1
	s_add_co_i32 s5, s5, 1
	s_and_b32 s2, ttmp6, 15
	s_bfe_u32 s6, ttmp6, 0x40004
	s_mul_i32 s3, ttmp9, s3
	s_mul_i32 s5, s4, s5
	s_add_co_i32 s2, s2, s3
	s_add_co_i32 s6, s6, s5
	s_cmp_eq_u32 s21, 0
	s_mov_b32 s3, 0
	s_cselect_b32 s2, ttmp9, s2
	s_cselect_b32 s4, s4, s6
	v_lshlrev_b32_e32 v16, 1, v66
	s_wait_kmcnt 0x0
	s_cmp_lt_u32 s2, s0
	s_cselect_b32 s2, 12, 18
	s_cmp_lt_u32 s4, s1
	s_mov_b32 s1, s3
	s_cselect_b32 s0, 14, 20
	s_delay_alu instid0(SALU_CYCLE_1)
	s_add_nc_u64 s[0:1], s[8:9], s[0:1]
	s_load_u16 s4, s[0:1], 0x0
	s_wait_xcnt 0x0
	s_add_nc_u64 s[0:1], s[8:9], s[2:3]
	s_load_u16 s0, s[0:1], 0x0
	s_wait_kmcnt 0x0
	v_mad_u32_u24 v9, v14, s4, v9
	s_delay_alu instid0(VALU_DEP_1) | instskip(SKIP_1) | instid1(VALU_DEP_1)
	v_mad_u32 v26, v9, s0, v18
	v_mov_b32_e32 v9, 0
	v_lshl_add_u64 v[20:21], v[8:9], 1, v[0:1]
	v_dual_mov_b32 v17, v9 :: v_dual_mov_b32 v1, v9
	s_delay_alu instid0(VALU_DEP_4) | instskip(NEXT) | instid1(VALU_DEP_2)
	v_lshlrev_b32_e32 v14, 3, v26
	v_add_nc_u64_e32 v[20:21], v[20:21], v[16:17]
	s_delay_alu instid0(VALU_DEP_2) | instskip(SKIP_1) | instid1(VALU_DEP_1)
	v_and_b32_e32 v0, 0xffffff00, v14
	v_mov_b32_e32 v14, 0x80008000
	v_dual_mov_b32 v15, v14 :: v_dual_bitop2_b32 v19, v0, v66 bitop3:0x54
	v_dual_mov_b32 v16, v14 :: v_dual_mov_b32 v17, v14
	v_lshl_add_u64 v[20:21], v[0:1], 1, v[20:21]
	s_set_vgpr_msb 4                        ;  msbs: dst=0 src0=0 src1=1 src2=0
	s_delay_alu instid0(VALU_DEP_3)
	v_cmp_lt_u32_e32 vcc_lo, v19, v12 /*v268*/
	s_and_saveexec_b32 s0, vcc_lo
	s_set_vgpr_msb 0                        ;  msbs: dst=0 src0=0 src1=0 src2=0
	s_cbranch_execz .LBB907_155
; %bb.154:
	flat_load_u16 v15, v[20:21]
	s_movk_i32 s1, 0x8000
	v_dual_mov_b32 v23, v14 :: v_dual_mov_b32 v24, v14
	v_mov_b32_e32 v25, v14
	s_wait_loadcnt_dscnt 0x0
	v_perm_b32 v22, s1, v15, 0x5040100
	s_delay_alu instid0(VALU_DEP_1) | instskip(NEXT) | instid1(VALU_DEP_3)
	v_mov_b64_e32 v[14:15], v[22:23]
	v_mov_b64_e32 v[16:17], v[24:25]
.LBB907_155:
	s_wait_xcnt 0x0
	s_or_b32 exec_lo, exec_lo, s0
	v_or_b32_e32 v22, 32, v19
	s_set_vgpr_msb 4                        ;  msbs: dst=0 src0=0 src1=1 src2=0
	s_delay_alu instid0(VALU_DEP_1)
	v_cmp_lt_u32_e64 s0, v22, v12 /*v268*/
	s_and_saveexec_b32 s1, s0
	s_set_vgpr_msb 0                        ;  msbs: dst=0 src0=0 src1=0 src2=0
	s_cbranch_execz .LBB907_157
; %bb.156:
	flat_load_u16 v22, v[20:21] offset:64
	s_wait_loadcnt_dscnt 0x0
	v_perm_b32 v14, v22, v14, 0x5040100
.LBB907_157:
	s_wait_xcnt 0x0
	s_or_b32 exec_lo, exec_lo, s1
	v_or_b32_e32 v22, 64, v19
	s_set_vgpr_msb 4                        ;  msbs: dst=0 src0=0 src1=1 src2=0
	s_delay_alu instid0(VALU_DEP_1)
	v_cmp_lt_u32_e64 s1, v22, v12 /*v268*/
	s_and_saveexec_b32 s2, s1
	s_set_vgpr_msb 0                        ;  msbs: dst=0 src0=0 src1=0 src2=0
	s_cbranch_execz .LBB907_159
; %bb.158:
	flat_load_u16 v22, v[20:21] offset:128
	s_wait_loadcnt_dscnt 0x0
	v_bfi_b32 v15, 0xffff, v22, v15
.LBB907_159:
	s_wait_xcnt 0x0
	s_or_b32 exec_lo, exec_lo, s2
	v_or_b32_e32 v22, 0x60, v19
	s_set_vgpr_msb 4                        ;  msbs: dst=0 src0=0 src1=1 src2=0
	s_delay_alu instid0(VALU_DEP_1)
	v_cmp_lt_u32_e64 s2, v22, v12 /*v268*/
	s_and_saveexec_b32 s3, s2
	s_set_vgpr_msb 0                        ;  msbs: dst=0 src0=0 src1=0 src2=0
	s_cbranch_execz .LBB907_161
; %bb.160:
	flat_load_u16 v22, v[20:21] offset:192
	s_wait_loadcnt_dscnt 0x0
	v_perm_b32 v15, v22, v15, 0x5040100
.LBB907_161:
	s_wait_xcnt 0x0
	s_or_b32 exec_lo, exec_lo, s3
	v_or_b32_e32 v22, 0x80, v19
	s_set_vgpr_msb 4                        ;  msbs: dst=0 src0=0 src1=1 src2=0
	s_delay_alu instid0(VALU_DEP_1)
	v_cmp_lt_u32_e64 s3, v22, v12 /*v268*/
	s_and_saveexec_b32 s4, s3
	s_set_vgpr_msb 0                        ;  msbs: dst=0 src0=0 src1=0 src2=0
	s_cbranch_execz .LBB907_163
; %bb.162:
	flat_load_u16 v22, v[20:21] offset:256
	s_wait_loadcnt_dscnt 0x0
	v_bfi_b32 v16, 0xffff, v22, v16
.LBB907_163:
	;; [unrolled: 28-line block ×3, first 2 shown]
	s_wait_xcnt 0x0
	s_or_b32 exec_lo, exec_lo, s6
	v_or_b32_e32 v19, 0xe0, v19
	s_set_vgpr_msb 4                        ;  msbs: dst=0 src0=0 src1=1 src2=0
	s_delay_alu instid0(VALU_DEP_1)
	v_cmp_lt_u32_e64 s6, v19, v12 /*v268*/
	s_and_saveexec_b32 s7, s6
	s_set_vgpr_msb 0                        ;  msbs: dst=0 src0=0 src1=0 src2=0
	s_cbranch_execz .LBB907_169
; %bb.168:
	flat_load_u16 v19, v[20:21] offset:448
	s_wait_loadcnt_dscnt 0x0
	v_perm_b32 v17, v19, v17, 0x5040100
.LBB907_169:
	s_wait_xcnt 0x0
	s_or_b32 exec_lo, exec_lo, s7
	v_lshl_add_u64 v[4:5], v[8:9], 3, v[4:5]
	v_dual_mov_b32 v21, 0 :: v_dual_lshlrev_b32 v20, 3, v66
                                        ; implicit-def: $vgpr50_vgpr51
	s_delay_alu instid0(VALU_DEP_1) | instskip(NEXT) | instid1(VALU_DEP_1)
	v_add_nc_u64_e32 v[4:5], v[4:5], v[20:21]
	v_lshl_add_u64 v[0:1], v[0:1], 3, v[4:5]
	s_and_saveexec_b32 s7, vcc_lo
	s_cbranch_execnz .LBB907_295
; %bb.170:
	s_or_b32 exec_lo, exec_lo, s7
                                        ; implicit-def: $vgpr52_vgpr53
	s_and_saveexec_b32 s7, s0
	s_cbranch_execnz .LBB907_296
.LBB907_171:
	s_or_b32 exec_lo, exec_lo, s7
                                        ; implicit-def: $vgpr64_vgpr65
	s_and_saveexec_b32 s0, s1
	s_cbranch_execnz .LBB907_297
.LBB907_172:
	s_or_b32 exec_lo, exec_lo, s0
                                        ; implicit-def: $vgpr34_vgpr35
	s_and_saveexec_b32 s0, s2
	s_cbranch_execnz .LBB907_298
.LBB907_173:
	s_or_b32 exec_lo, exec_lo, s0
                                        ; implicit-def: $vgpr36_vgpr37
	s_and_saveexec_b32 s0, s3
	s_cbranch_execnz .LBB907_299
.LBB907_174:
	s_or_b32 exec_lo, exec_lo, s0
                                        ; implicit-def: $vgpr38_vgpr39
	s_and_saveexec_b32 s0, s4
	s_cbranch_execnz .LBB907_300
.LBB907_175:
	s_or_b32 exec_lo, exec_lo, s0
                                        ; implicit-def: $vgpr48_vgpr49
	s_and_saveexec_b32 s0, s5
	s_cbranch_execnz .LBB907_301
.LBB907_176:
	s_or_b32 exec_lo, exec_lo, s0
                                        ; implicit-def: $vgpr54_vgpr55
	s_and_saveexec_b32 s0, s6
	s_cbranch_execz .LBB907_178
.LBB907_177:
	flat_load_b64 v[54:55], v[0:1] offset:1792
.LBB907_178:
	s_wait_xcnt 0x0
	s_or_b32 exec_lo, exec_lo, s0
	v_dual_lshrrev_b32 v0, 16, v17 :: v_dual_lshrrev_b32 v1, 16, v16
	v_xor_b32_e32 v4, 0x7fff, v16
	v_lshrrev_b32_e32 v5, 16, v15
	v_lshl_add_u32 v20, v18, 5, v12
	v_sub_co_u32 v24, s2, v66, 1
	v_xor_b32_e32 v16, 0x7fff, v1
	s_delay_alu instid0(VALU_DEP_3) | instskip(SKIP_2) | instid1(VALU_DEP_3)
	v_dual_lshrrev_b32 v1, 16, v14 :: v_dual_add_nc_u32 v27, 36, v20
	v_dual_add_nc_u32 v128, 40, v20 :: v_dual_add_nc_u32 v19, 32, v20
	v_dual_add_nc_u32 v129, 44, v20 :: v_dual_add_nc_u32 v130, 48, v20
	v_xor_b32_e32 v21, 0x7fff, v1
	v_dual_lshlrev_b32 v1, 3, v18 :: v_dual_add_nc_u32 v131, 52, v20
	v_dual_add_nc_u32 v132, 56, v20 :: v_dual_bitop2_b32 v22, 15, v66 bitop3:0x40
	v_add_nc_u32_e32 v133, 60, v20
	v_and_b32_e32 v20, 0x3e0, v18
	v_and_b32_e32 v23, 16, v66
	v_cmp_gt_i32_e64 s5, 0, v24
	s_get_pc_i64 s[0:1]
	s_add_nc_u64 s[0:1], s[0:1], _ZN7rocprim17ROCPRIM_400000_NS16block_radix_sortIsLj256ELj8ElLj1ELj1ELj8ELNS0_26block_radix_rank_algorithmE2ELNS0_18block_padding_hintE2ELNS0_4arch9wavefront6targetE0EE19radix_bits_per_passE@rel64+4
	v_cmp_eq_u32_e32 vcc_lo, 0, v22
	v_min_u32_e32 v20, 0xe0, v20
	s_load_b32 s23, s[0:1], 0x0
	v_lshrrev_b32_e32 v134, 5, v26
	s_wait_xcnt 0x0
	v_cmp_lt_u32_e64 s0, 1, v22
	v_cmp_lt_u32_e64 s1, 3, v22
	;; [unrolled: 1-line block ×3, first 2 shown]
	v_or_b32_e32 v20, 31, v20
	v_cmp_eq_u32_e64 s4, 0, v23
	v_cndmask_b32_e64 v23, v24, v66, s5
	v_lshrrev_b32_e32 v22, 3, v18
	v_xor_b32_e32 v15, 0x7fff, v15
	v_cmp_eq_u32_e64 s5, v18, v20
	v_xor_b32_e32 v5, 0x7fff, v5
	v_lshlrev_b32_e32 v135, 2, v23
	v_and_b32_e32 v20, 0x7c, v22
	v_and_or_b32 v23, 0x1f00, v1, v66
	v_xor_b32_e32 v17, 0x7fff, v17
	v_xor_b32_e32 v0, 0x7fff, v0
	;; [unrolled: 1-line block ×3, first 2 shown]
	v_add_nc_u32_e32 v144, v12, v20
	v_lshl_add_u32 v146, v23, 1, v12
	v_mul_u32_u24_e32 v20, 6, v23
	v_and_b32_e32 v22, 7, v66
	v_perm_b32 v67, v5, v15, 0x5040100
	v_perm_b32 v69, v16, v4, 0x5040100
	s_delay_alu instid0(VALU_DEP_4)
	v_dual_add_nc_u32 v148, 64, v146 :: v_dual_add_nc_u32 v151, v146, v20
	v_mov_b64_e32 v[4:5], 0
	v_cmp_gt_u32_e64 s6, 8, v18
	v_cmp_lt_u32_e64 s7, 31, v18
	v_cmp_eq_u32_e64 s10, 0, v18
	v_dual_mov_b32 v1, 0 :: v_dual_add_nc_u32 v147, -4, v144
	v_lshl_add_u32 v145, v18, 2, v12
	v_cmp_eq_u32_e64 s11, 0, v22
	v_cmp_lt_u32_e64 s12, 1, v22
	v_cmp_lt_u32_e64 s13, 3, v22
	v_add_nc_u32_e32 v149, 0x80, v146
	v_add_nc_u32_e32 v150, 0xc0, v146
	;; [unrolled: 1-line block ×13, first 2 shown]
	v_perm_b32 v183, v21, v14, 0x5040100
	v_perm_b32 v71, v0, v17, 0x5040100
	v_sub_nc_u32_e32 v179, v11, v10
	s_mov_b32 s24, 0
	s_wait_storecnt 0x0
	s_wait_loadcnt_dscnt 0x0
	s_barrier_signal -1
	s_barrier_wait -1
	s_branch .LBB907_180
.LBB907_179:                            ;   in Loop: Header=BB907_180 Depth=1
	s_or_b32 exec_lo, exec_lo, s15
	s_delay_alu instid0(SALU_CYCLE_1) | instskip(NEXT) | instid1(SALU_CYCLE_1)
	s_and_b32 s14, exec_lo, s16
	s_or_b32 s24, s14, s24
	s_delay_alu instid0(SALU_CYCLE_1)
	s_and_not1_b32 exec_lo, exec_lo, s24
	s_cbranch_execz .LBB907_236
.LBB907_180:                            ; =>This Inner Loop Header: Depth=1
	s_wait_kmcnt 0x0
	v_min_u32_e32 v0, s23, v179
	v_and_b32_e32 v14, 0xffff, v183
	v_mov_b64_e32 v[32:33], v[34:35]
	v_mov_b64_e32 v[16:17], v[52:53]
	;; [unrolled: 1-line block ×3, first 2 shown]
	v_lshlrev_b32_e64 v66, v0, -1
	v_dual_lshrrev_b32 v0, v10, v14 :: v_dual_mov_b32 v180, v71
	v_mov_b64_e32 v[14:15], v[50:51]
	v_dual_mov_b32 v181, v69 :: v_dual_mov_b32 v182, v67
	s_delay_alu instid0(VALU_DEP_3)
	v_bitop3_b32 v22, v0, 1, v66 bitop3:0x40
	v_bitop3_b32 v0, v0, v66, v0 bitop3:0x30
	ds_store_b64 v19, v[4:5]
	ds_store_b64 v128, v[4:5]
	;; [unrolled: 1-line block ×4, first 2 shown]
	s_wait_dscnt 0x0
	v_add_co_u32 v22, s14, v22, -1
	s_delay_alu instid0(VALU_DEP_1) | instskip(SKIP_2) | instid1(VALU_DEP_3)
	v_cndmask_b32_e64 v23, 0, 1, s14
	v_dual_lshlrev_b32 v24, 30, v0 :: v_dual_lshlrev_b32 v25, 29, v0
	v_dual_lshlrev_b32 v28, 28, v0 :: v_dual_lshlrev_b32 v29, 27, v0
	v_cmp_ne_u32_e64 s14, 0, v23
	s_delay_alu instid0(VALU_DEP_3)
	v_not_b32_e32 v23, v24
	v_cmp_gt_i32_e64 s15, 0, v24
	v_cmp_gt_i32_e64 s16, 0, v25
	v_not_b32_e32 v24, v25
	v_not_b32_e32 v25, v28
	v_dual_ashrrev_i32 v23, 31, v23 :: v_dual_bitop2_b32 v22, s14, v22 bitop3:0x14
	v_cmp_gt_i32_e64 s17, 0, v28
	s_delay_alu instid0(VALU_DEP_3) | instskip(NEXT) | instid1(VALU_DEP_3)
	v_dual_ashrrev_i32 v24, 31, v24 :: v_dual_ashrrev_i32 v25, 31, v25
	v_dual_lshlrev_b32 v28, 26, v0 :: v_dual_bitop2_b32 v23, s15, v23 bitop3:0x14
	v_not_b32_e32 v30, v29
	s_delay_alu instid0(VALU_DEP_3) | instskip(NEXT) | instid1(VALU_DEP_4)
	v_xor_b32_e32 v24, s16, v24
	v_xor_b32_e32 v25, s17, v25
	s_delay_alu instid0(VALU_DEP_4) | instskip(SKIP_4) | instid1(VALU_DEP_3)
	v_bitop3_b32 v22, v22, v23, exec_lo bitop3:0x80
	v_cmp_gt_i32_e64 s14, 0, v29
	v_not_b32_e32 v23, v28
	v_dual_ashrrev_i32 v29, 31, v30 :: v_dual_lshlrev_b32 v30, 25, v0
	v_cmp_gt_i32_e64 s15, 0, v28
	v_dual_lshlrev_b32 v28, 24, v0 :: v_dual_ashrrev_i32 v23, 31, v23
	v_bitop3_b32 v22, v22, v25, v24 bitop3:0x80
	s_delay_alu instid0(VALU_DEP_4) | instskip(SKIP_1) | instid1(VALU_DEP_4)
	v_not_b32_e32 v24, v30
	v_xor_b32_e32 v25, s14, v29
	v_not_b32_e32 v29, v28
	v_xor_b32_e32 v23, s15, v23
	v_cmp_gt_i32_e64 s14, 0, v30
	v_ashrrev_i32_e32 v24, 31, v24
	v_cmp_gt_i32_e64 s15, 0, v28
	v_dual_ashrrev_i32 v28, 31, v29 :: v_dual_lshlrev_b32 v0, 3, v0
	v_bitop3_b32 v30, v22, v23, v25 bitop3:0x80
	s_delay_alu instid0(VALU_DEP_4) | instskip(SKIP_1) | instid1(VALU_DEP_4)
	v_xor_b32_e32 v31, s14, v24
	v_mov_b64_e32 v[22:23], v[36:37]
	v_xor_b32_e32 v34, s15, v28
	v_add_lshl_u32 v0, v0, v134, 2
	v_mov_b64_e32 v[28:29], v[38:39]
	v_mov_b64_e32 v[24:25], v[48:49]
	s_barrier_signal -1
	v_bitop3_b32 v36, v30, v34, v31 bitop3:0x80
	v_add_nc_u64_e32 v[34:35], v[12:13], v[0:1]
	v_mov_b64_e32 v[30:31], v[54:55]
	s_barrier_wait -1
	s_delay_alu instid0(VALU_DEP_3) | instskip(SKIP_1) | instid1(VALU_DEP_4)
	v_mbcnt_lo_u32_b32 v0, v36, 0
	v_cmp_ne_u32_e64 s15, 0, v36
	v_add_nc_u64_e32 v[34:35], 32, v[34:35]
	; wave barrier
	s_delay_alu instid0(VALU_DEP_3) | instskip(SKIP_1) | instid1(SALU_CYCLE_1)
	v_cmp_eq_u32_e64 s14, 0, v0
	s_and_b32 s15, s15, s14
	s_and_saveexec_b32 s14, s15
; %bb.181:                              ;   in Loop: Header=BB907_180 Depth=1
	v_bcnt_u32_b32 v35, v36, 0
	ds_store_b32 v34, v35
; %bb.182:                              ;   in Loop: Header=BB907_180 Depth=1
	s_or_b32 exec_lo, exec_lo, s14
	v_not_b32_e32 v49, v66
	v_lshrrev_b32_e32 v192, 16, v183
	; wave barrier
	s_delay_alu instid0(VALU_DEP_1) | instskip(NEXT) | instid1(VALU_DEP_1)
	v_lshrrev_b32_e32 v35, v10, v192
	v_and_b32_e32 v36, v35, v49
	v_bitop3_b32 v35, v35, 1, v49 bitop3:0x80
	s_delay_alu instid0(VALU_DEP_2) | instskip(NEXT) | instid1(VALU_DEP_2)
	v_dual_lshlrev_b32 v39, 30, v36 :: v_dual_lshlrev_b32 v48, 29, v36
	v_add_co_u32 v35, s14, v35, -1
	s_delay_alu instid0(VALU_DEP_1) | instskip(SKIP_2) | instid1(VALU_DEP_3)
	v_cndmask_b32_e64 v38, 0, 1, s14
	v_dual_lshlrev_b32 v50, 28, v36 :: v_dual_lshlrev_b32 v51, 27, v36
	v_dual_lshlrev_b32 v52, 26, v36 :: v_dual_lshlrev_b32 v53, 25, v36
	v_cmp_ne_u32_e64 s14, 0, v38
	v_not_b32_e32 v38, v39
	v_cmp_gt_i32_e64 s15, 0, v39
	v_cmp_gt_i32_e64 s16, 0, v48
	v_not_b32_e32 v39, v48
	v_not_b32_e32 v48, v50
	v_ashrrev_i32_e32 v38, 31, v38
	v_lshl_add_u32 v37, v36, 3, v134
	v_dual_lshlrev_b32 v36, 24, v36 :: v_dual_bitop2_b32 v35, s14, v35 bitop3:0x14
	v_cmp_gt_i32_e64 s17, 0, v50
	v_cmp_gt_i32_e64 s18, 0, v51
	v_not_b32_e32 v50, v51
	v_dual_ashrrev_i32 v39, 31, v39 :: v_dual_ashrrev_i32 v48, 31, v48
	v_xor_b32_e32 v38, s15, v38
	v_not_b32_e32 v51, v52
	v_cmp_gt_i32_e64 s19, 0, v52
	s_delay_alu instid0(VALU_DEP_4)
	v_dual_ashrrev_i32 v50, 31, v50 :: v_dual_bitop2_b32 v39, s16, v39 bitop3:0x14
	v_xor_b32_e32 v48, s17, v48
	v_bitop3_b32 v35, v35, v38, exec_lo bitop3:0x80
	v_ashrrev_i32_e32 v38, 31, v51
	v_not_b32_e32 v51, v53
	v_not_b32_e32 v52, v36
	v_xor_b32_e32 v50, s18, v50
	v_bitop3_b32 v35, v35, v48, v39 bitop3:0x80
	v_cmp_gt_i32_e64 s14, 0, v53
	v_ashrrev_i32_e32 v39, 31, v51
	v_cmp_gt_i32_e64 s15, 0, v36
	v_ashrrev_i32_e32 v36, 31, v52
	v_lshl_add_u32 v37, v37, 2, v12
	v_xor_b32_e32 v38, s19, v38
	v_xor_b32_e32 v39, s14, v39
	s_delay_alu instid0(VALU_DEP_4) | instskip(NEXT) | instid1(VALU_DEP_3)
	v_xor_b32_e32 v36, s15, v36
	v_bitop3_b32 v38, v35, v38, v50 bitop3:0x80
	ds_load_b32 v35, v37 offset:32
	v_add_nc_u32_e32 v37, 32, v37
	; wave barrier
	v_bitop3_b32 v38, v38, v36, v39 bitop3:0x80
	s_delay_alu instid0(VALU_DEP_1) | instskip(SKIP_1) | instid1(VALU_DEP_2)
	v_mbcnt_lo_u32_b32 v36, v38, 0
	v_cmp_ne_u32_e64 s15, 0, v38
	v_cmp_eq_u32_e64 s14, 0, v36
	s_and_b32 s15, s15, s14
	s_delay_alu instid0(SALU_CYCLE_1)
	s_and_saveexec_b32 s14, s15
	s_cbranch_execz .LBB907_184
; %bb.183:                              ;   in Loop: Header=BB907_180 Depth=1
	s_wait_dscnt 0x0
	v_bcnt_u32_b32 v38, v38, v35
	ds_store_b32 v37, v38
.LBB907_184:                            ;   in Loop: Header=BB907_180 Depth=1
	s_or_b32 exec_lo, exec_lo, s14
	v_and_b32_e32 v38, 0xffff, v182
	; wave barrier
	s_delay_alu instid0(VALU_DEP_1) | instskip(NEXT) | instid1(VALU_DEP_1)
	v_lshrrev_b32_e32 v38, v10, v38
	v_and_b32_e32 v39, v38, v49
	s_delay_alu instid0(VALU_DEP_1) | instskip(SKIP_1) | instid1(VALU_DEP_2)
	v_lshlrev_b32_e32 v51, 30, v39
	v_bitop3_b32 v38, v38, 1, v49 bitop3:0x80
	v_cmp_gt_i32_e64 s15, 0, v51
	s_delay_alu instid0(VALU_DEP_2) | instskip(NEXT) | instid1(VALU_DEP_1)
	v_add_co_u32 v38, s14, v38, -1
	v_cndmask_b32_e64 v50, 0, 1, s14
	s_delay_alu instid0(VALU_DEP_1) | instskip(SKIP_1) | instid1(VALU_DEP_1)
	v_cmp_ne_u32_e64 s14, 0, v50
	v_not_b32_e32 v50, v51
	v_dual_ashrrev_i32 v50, 31, v50 :: v_dual_lshlrev_b32 v52, 29, v39
	v_dual_lshlrev_b32 v53, 28, v39 :: v_dual_lshlrev_b32 v54, 27, v39
	v_lshlrev_b32_e32 v55, 26, v39
	v_lshl_add_u32 v48, v39, 3, v134
	s_delay_alu instid0(VALU_DEP_4)
	v_cmp_gt_i32_e64 s16, 0, v52
	v_not_b32_e32 v51, v52
	v_not_b32_e32 v52, v53
	v_dual_lshlrev_b32 v64, 25, v39 :: v_dual_lshlrev_b32 v39, 24, v39
	v_cmp_gt_i32_e64 s17, 0, v53
	v_cmp_gt_i32_e64 s18, 0, v54
	v_not_b32_e32 v53, v54
	v_not_b32_e32 v54, v55
	v_dual_ashrrev_i32 v51, 31, v51 :: v_dual_bitop2_b32 v38, s14, v38 bitop3:0x14
	v_dual_ashrrev_i32 v52, 31, v52 :: v_dual_bitop2_b32 v50, s15, v50 bitop3:0x14
	v_cmp_gt_i32_e64 s19, 0, v55
	s_delay_alu instid0(VALU_DEP_4) | instskip(SKIP_1) | instid1(VALU_DEP_4)
	v_dual_ashrrev_i32 v53, 31, v53 :: v_dual_ashrrev_i32 v54, 31, v54
	v_not_b32_e32 v55, v39
	v_xor_b32_e32 v52, s17, v52
	v_bitop3_b32 v38, v38, v50, exec_lo bitop3:0x80
	v_not_b32_e32 v50, v64
	v_xor_b32_e32 v51, s16, v51
	v_xor_b32_e32 v54, s19, v54
	v_cmp_gt_i32_e64 s14, 0, v64
	v_cmp_gt_i32_e64 s15, 0, v39
	v_dual_ashrrev_i32 v50, 31, v50 :: v_dual_ashrrev_i32 v39, 31, v55
	v_bitop3_b32 v38, v38, v52, v51 bitop3:0x80
	v_lshl_add_u32 v48, v48, 2, v12
	v_xor_b32_e32 v53, s18, v53
	s_delay_alu instid0(VALU_DEP_4) | instskip(SKIP_1) | instid1(VALU_DEP_3)
	v_xor_b32_e32 v50, s14, v50
	v_xor_b32_e32 v39, s15, v39
	v_bitop3_b32 v51, v38, v54, v53 bitop3:0x80
	ds_load_b32 v38, v48 offset:32
	v_add_nc_u32_e32 v48, 32, v48
	; wave barrier
	v_bitop3_b32 v50, v51, v39, v50 bitop3:0x80
	s_delay_alu instid0(VALU_DEP_1) | instskip(SKIP_1) | instid1(VALU_DEP_2)
	v_mbcnt_lo_u32_b32 v39, v50, 0
	v_cmp_ne_u32_e64 s15, 0, v50
	v_cmp_eq_u32_e64 s14, 0, v39
	s_and_b32 s15, s15, s14
	s_delay_alu instid0(SALU_CYCLE_1)
	s_and_saveexec_b32 s14, s15
	s_cbranch_execz .LBB907_186
; %bb.185:                              ;   in Loop: Header=BB907_180 Depth=1
	s_wait_dscnt 0x0
	v_bcnt_u32_b32 v50, v50, v38
	ds_store_b32 v48, v50
.LBB907_186:                            ;   in Loop: Header=BB907_180 Depth=1
	s_or_b32 exec_lo, exec_lo, s14
	v_lshrrev_b32_e32 v193, 16, v182
	; wave barrier
	s_delay_alu instid0(VALU_DEP_1) | instskip(NEXT) | instid1(VALU_DEP_1)
	v_lshrrev_b32_e32 v50, v10, v193
	v_and_b32_e32 v51, v50, v49
	s_delay_alu instid0(VALU_DEP_1) | instskip(SKIP_3) | instid1(VALU_DEP_3)
	v_lshlrev_b32_e32 v54, 30, v51
	v_bitop3_b32 v50, v50, 1, v49 bitop3:0x80
	v_dual_lshlrev_b32 v55, 29, v51 :: v_dual_lshlrev_b32 v64, 28, v51
	v_dual_lshlrev_b32 v65, 27, v51 :: v_dual_lshlrev_b32 v66, 26, v51
	v_add_co_u32 v50, s14, v50, -1
	s_delay_alu instid0(VALU_DEP_1)
	v_cndmask_b32_e64 v53, 0, 1, s14
	v_cmp_gt_i32_e64 s15, 0, v54
	v_cmp_gt_i32_e64 s16, 0, v55
	v_lshl_add_u32 v52, v51, 3, v134
	v_dual_lshlrev_b32 v67, 25, v51 :: v_dual_lshlrev_b32 v51, 24, v51
	v_cmp_ne_u32_e64 s14, 0, v53
	v_not_b32_e32 v53, v54
	v_not_b32_e32 v54, v55
	v_not_b32_e32 v55, v64
	v_cmp_gt_i32_e64 s17, 0, v64
	v_cmp_gt_i32_e64 s18, 0, v65
	v_dual_ashrrev_i32 v53, 31, v53 :: v_dual_bitop2_b32 v50, s14, v50 bitop3:0x14
	v_not_b32_e32 v64, v65
	v_not_b32_e32 v65, v66
	v_dual_ashrrev_i32 v54, 31, v54 :: v_dual_ashrrev_i32 v55, 31, v55
	s_delay_alu instid0(VALU_DEP_3) | instskip(SKIP_1) | instid1(VALU_DEP_3)
	v_dual_ashrrev_i32 v64, 31, v64 :: v_dual_bitop2_b32 v53, s15, v53 bitop3:0x14
	v_cmp_gt_i32_e64 s19, 0, v66
	v_dual_ashrrev_i32 v65, 31, v65 :: v_dual_bitop2_b32 v54, s16, v54 bitop3:0x14
	s_delay_alu instid0(VALU_DEP_3)
	v_bitop3_b32 v50, v50, v53, exec_lo bitop3:0x80
	v_not_b32_e32 v53, v67
	v_xor_b32_e32 v55, s17, v55
	v_not_b32_e32 v66, v51
	v_xor_b32_e32 v64, s18, v64
	v_cmp_gt_i32_e64 s14, 0, v67
	v_ashrrev_i32_e32 v53, 31, v53
	v_bitop3_b32 v50, v50, v55, v54 bitop3:0x80
	v_cmp_gt_i32_e64 s15, 0, v51
	v_ashrrev_i32_e32 v51, 31, v66
	v_lshl_add_u32 v52, v52, 2, v12
	v_xor_b32_e32 v65, s19, v65
	v_xor_b32_e32 v53, s14, v53
	s_delay_alu instid0(VALU_DEP_4) | instskip(NEXT) | instid1(VALU_DEP_3)
	v_xor_b32_e32 v51, s15, v51
	v_bitop3_b32 v54, v50, v65, v64 bitop3:0x80
	ds_load_b32 v50, v52 offset:32
	v_add_nc_u32_e32 v52, 32, v52
	; wave barrier
	v_bitop3_b32 v53, v54, v51, v53 bitop3:0x80
	s_delay_alu instid0(VALU_DEP_1) | instskip(SKIP_1) | instid1(VALU_DEP_2)
	v_mbcnt_lo_u32_b32 v51, v53, 0
	v_cmp_ne_u32_e64 s15, 0, v53
	v_cmp_eq_u32_e64 s14, 0, v51
	s_and_b32 s15, s15, s14
	s_delay_alu instid0(SALU_CYCLE_1)
	s_and_saveexec_b32 s14, s15
	s_cbranch_execz .LBB907_188
; %bb.187:                              ;   in Loop: Header=BB907_180 Depth=1
	s_wait_dscnt 0x0
	v_bcnt_u32_b32 v53, v53, v50
	ds_store_b32 v52, v53
.LBB907_188:                            ;   in Loop: Header=BB907_180 Depth=1
	s_or_b32 exec_lo, exec_lo, s14
	v_and_b32_e32 v53, 0xffff, v181
	; wave barrier
	s_delay_alu instid0(VALU_DEP_1) | instskip(NEXT) | instid1(VALU_DEP_1)
	v_lshrrev_b32_e32 v53, v10, v53
	v_and_b32_e32 v54, v53, v49
	s_delay_alu instid0(VALU_DEP_1) | instskip(SKIP_1) | instid1(VALU_DEP_2)
	v_lshlrev_b32_e32 v65, 30, v54
	v_bitop3_b32 v53, v53, 1, v49 bitop3:0x80
	v_cmp_gt_i32_e64 s15, 0, v65
	s_delay_alu instid0(VALU_DEP_2) | instskip(NEXT) | instid1(VALU_DEP_1)
	v_add_co_u32 v53, s14, v53, -1
	v_cndmask_b32_e64 v64, 0, 1, s14
	s_delay_alu instid0(VALU_DEP_1) | instskip(SKIP_1) | instid1(VALU_DEP_1)
	v_cmp_ne_u32_e64 s14, 0, v64
	v_not_b32_e32 v64, v65
	v_dual_ashrrev_i32 v64, 31, v64 :: v_dual_lshlrev_b32 v66, 29, v54
	v_dual_lshlrev_b32 v67, 28, v54 :: v_dual_lshlrev_b32 v68, 27, v54
	v_lshlrev_b32_e32 v69, 26, v54
	v_lshl_add_u32 v55, v54, 3, v134
	s_delay_alu instid0(VALU_DEP_4)
	v_cmp_gt_i32_e64 s16, 0, v66
	v_not_b32_e32 v65, v66
	v_not_b32_e32 v66, v67
	v_dual_lshlrev_b32 v70, 25, v54 :: v_dual_lshlrev_b32 v54, 24, v54
	v_cmp_gt_i32_e64 s17, 0, v67
	v_cmp_gt_i32_e64 s18, 0, v68
	v_not_b32_e32 v67, v68
	v_not_b32_e32 v68, v69
	v_dual_ashrrev_i32 v66, 31, v66 :: v_dual_bitop2_b32 v53, s14, v53 bitop3:0x14
	v_dual_ashrrev_i32 v65, 31, v65 :: v_dual_bitop2_b32 v64, s15, v64 bitop3:0x14
	v_cmp_gt_i32_e64 s19, 0, v69
	s_delay_alu instid0(VALU_DEP_4)
	v_dual_ashrrev_i32 v67, 31, v67 :: v_dual_ashrrev_i32 v68, 31, v68
	v_not_b32_e32 v69, v54
	v_xor_b32_e32 v66, s17, v66
	v_bitop3_b32 v53, v53, v64, exec_lo bitop3:0x80
	v_not_b32_e32 v64, v70
	v_xor_b32_e32 v65, s16, v65
	v_xor_b32_e32 v67, s18, v67
	v_cmp_gt_i32_e64 s14, 0, v70
	v_cmp_gt_i32_e64 s15, 0, v54
	v_dual_ashrrev_i32 v64, 31, v64 :: v_dual_ashrrev_i32 v54, 31, v69
	v_bitop3_b32 v53, v53, v66, v65 bitop3:0x80
	v_lshl_add_u32 v55, v55, 2, v12
	v_xor_b32_e32 v68, s19, v68
	s_delay_alu instid0(VALU_DEP_4) | instskip(SKIP_1) | instid1(VALU_DEP_3)
	v_xor_b32_e32 v64, s14, v64
	v_xor_b32_e32 v54, s15, v54
	v_bitop3_b32 v65, v53, v68, v67 bitop3:0x80
	ds_load_b32 v53, v55 offset:32
	v_add_nc_u32_e32 v55, 32, v55
	; wave barrier
	v_bitop3_b32 v64, v65, v54, v64 bitop3:0x80
	s_delay_alu instid0(VALU_DEP_1) | instskip(SKIP_1) | instid1(VALU_DEP_2)
	v_mbcnt_lo_u32_b32 v54, v64, 0
	v_cmp_ne_u32_e64 s15, 0, v64
	v_cmp_eq_u32_e64 s14, 0, v54
	s_and_b32 s15, s15, s14
	s_delay_alu instid0(SALU_CYCLE_1)
	s_and_saveexec_b32 s14, s15
	s_cbranch_execz .LBB907_190
; %bb.189:                              ;   in Loop: Header=BB907_180 Depth=1
	s_wait_dscnt 0x0
	v_bcnt_u32_b32 v64, v64, v53
	ds_store_b32 v55, v64
.LBB907_190:                            ;   in Loop: Header=BB907_180 Depth=1
	s_or_b32 exec_lo, exec_lo, s14
	v_lshrrev_b32_e32 v194, 16, v181
	; wave barrier
	s_delay_alu instid0(VALU_DEP_1) | instskip(NEXT) | instid1(VALU_DEP_1)
	v_lshrrev_b32_e32 v64, v10, v194
	v_and_b32_e32 v65, v64, v49
	s_delay_alu instid0(VALU_DEP_1) | instskip(SKIP_2) | instid1(VALU_DEP_3)
	v_lshlrev_b32_e32 v68, 30, v65
	v_bitop3_b32 v64, v64, 1, v49 bitop3:0x80
	v_lshlrev_b32_e32 v69, 29, v65
	v_cmp_gt_i32_e64 s15, 0, v68
	s_delay_alu instid0(VALU_DEP_3) | instskip(NEXT) | instid1(VALU_DEP_1)
	v_add_co_u32 v64, s14, v64, -1
	v_cndmask_b32_e64 v67, 0, 1, s14
	s_delay_alu instid0(VALU_DEP_1) | instskip(SKIP_2) | instid1(VALU_DEP_1)
	v_cmp_ne_u32_e64 s14, 0, v67
	v_not_b32_e32 v67, v68
	v_not_b32_e32 v68, v69
	v_dual_ashrrev_i32 v67, 31, v67 :: v_dual_ashrrev_i32 v68, 31, v68
	v_dual_lshlrev_b32 v70, 28, v65 :: v_dual_lshlrev_b32 v71, 27, v65
	v_lshlrev_b32_e32 v80, 26, v65
	v_cmp_gt_i32_e64 s16, 0, v69
	v_lshl_add_u32 v66, v65, 3, v134
	s_delay_alu instid0(VALU_DEP_4)
	v_not_b32_e32 v69, v70
	v_dual_lshlrev_b32 v81, 25, v65 :: v_dual_lshlrev_b32 v65, 24, v65
	v_cmp_gt_i32_e64 s17, 0, v70
	v_cmp_gt_i32_e64 s18, 0, v71
	v_not_b32_e32 v70, v71
	v_not_b32_e32 v71, v80
	v_dual_ashrrev_i32 v69, 31, v69 :: v_dual_bitop2_b32 v64, s14, v64 bitop3:0x14
	s_delay_alu instid0(VALU_DEP_3) | instskip(SKIP_1) | instid1(VALU_DEP_4)
	v_dual_ashrrev_i32 v70, 31, v70 :: v_dual_bitop2_b32 v67, s15, v67 bitop3:0x14
	v_cmp_gt_i32_e64 s19, 0, v80
	v_dual_ashrrev_i32 v71, 31, v71 :: v_dual_bitop2_b32 v68, s16, v68 bitop3:0x14
	s_delay_alu instid0(VALU_DEP_3)
	v_bitop3_b32 v64, v64, v67, exec_lo bitop3:0x80
	v_not_b32_e32 v67, v81
	v_xor_b32_e32 v69, s17, v69
	v_not_b32_e32 v80, v65
	v_xor_b32_e32 v70, s18, v70
	v_cmp_gt_i32_e64 s14, 0, v81
	v_ashrrev_i32_e32 v67, 31, v67
	v_bitop3_b32 v64, v64, v69, v68 bitop3:0x80
	v_cmp_gt_i32_e64 s15, 0, v65
	v_ashrrev_i32_e32 v65, 31, v80
	v_lshl_add_u32 v66, v66, 2, v12
	v_xor_b32_e32 v71, s19, v71
	v_xor_b32_e32 v67, s14, v67
	s_delay_alu instid0(VALU_DEP_4) | instskip(NEXT) | instid1(VALU_DEP_3)
	v_xor_b32_e32 v65, s15, v65
	v_bitop3_b32 v68, v64, v71, v70 bitop3:0x80
	ds_load_b32 v64, v66 offset:32
	v_add_nc_u32_e32 v66, 32, v66
	; wave barrier
	v_bitop3_b32 v67, v68, v65, v67 bitop3:0x80
	s_delay_alu instid0(VALU_DEP_1) | instskip(SKIP_1) | instid1(VALU_DEP_2)
	v_mbcnt_lo_u32_b32 v65, v67, 0
	v_cmp_ne_u32_e64 s15, 0, v67
	v_cmp_eq_u32_e64 s14, 0, v65
	s_and_b32 s15, s15, s14
	s_delay_alu instid0(SALU_CYCLE_1)
	s_and_saveexec_b32 s14, s15
	s_cbranch_execz .LBB907_192
; %bb.191:                              ;   in Loop: Header=BB907_180 Depth=1
	s_wait_dscnt 0x0
	v_bcnt_u32_b32 v67, v67, v64
	ds_store_b32 v66, v67
.LBB907_192:                            ;   in Loop: Header=BB907_180 Depth=1
	s_or_b32 exec_lo, exec_lo, s14
	v_and_b32_e32 v67, 0xffff, v180
	; wave barrier
	s_delay_alu instid0(VALU_DEP_1) | instskip(NEXT) | instid1(VALU_DEP_1)
	v_lshrrev_b32_e32 v67, v10, v67
	v_and_b32_e32 v68, v67, v49
	s_delay_alu instid0(VALU_DEP_1) | instskip(SKIP_1) | instid1(VALU_DEP_2)
	v_lshlrev_b32_e32 v71, 30, v68
	v_bitop3_b32 v67, v67, 1, v49 bitop3:0x80
	v_cmp_gt_i32_e64 s15, 0, v71
	s_delay_alu instid0(VALU_DEP_2) | instskip(NEXT) | instid1(VALU_DEP_1)
	v_add_co_u32 v67, s14, v67, -1
	v_cndmask_b32_e64 v70, 0, 1, s14
	s_delay_alu instid0(VALU_DEP_1) | instskip(SKIP_1) | instid1(VALU_DEP_1)
	v_cmp_ne_u32_e64 s14, 0, v70
	v_not_b32_e32 v70, v71
	v_dual_ashrrev_i32 v70, 31, v70 :: v_dual_lshlrev_b32 v80, 29, v68
	v_dual_lshlrev_b32 v81, 28, v68 :: v_dual_lshlrev_b32 v82, 27, v68
	v_lshlrev_b32_e32 v83, 26, v68
	v_lshl_add_u32 v69, v68, 3, v134
	s_delay_alu instid0(VALU_DEP_4)
	v_cmp_gt_i32_e64 s16, 0, v80
	v_not_b32_e32 v71, v80
	v_not_b32_e32 v80, v81
	v_dual_lshlrev_b32 v84, 25, v68 :: v_dual_lshlrev_b32 v68, 24, v68
	v_cmp_gt_i32_e64 s17, 0, v81
	v_cmp_gt_i32_e64 s18, 0, v82
	v_not_b32_e32 v81, v82
	v_not_b32_e32 v82, v83
	v_dual_ashrrev_i32 v80, 31, v80 :: v_dual_bitop2_b32 v67, s14, v67 bitop3:0x14
	v_dual_ashrrev_i32 v71, 31, v71 :: v_dual_bitop2_b32 v70, s15, v70 bitop3:0x14
	v_cmp_gt_i32_e64 s19, 0, v83
	s_delay_alu instid0(VALU_DEP_4)
	v_dual_ashrrev_i32 v81, 31, v81 :: v_dual_ashrrev_i32 v82, 31, v82
	v_not_b32_e32 v83, v68
	v_xor_b32_e32 v80, s17, v80
	v_bitop3_b32 v67, v67, v70, exec_lo bitop3:0x80
	v_not_b32_e32 v70, v84
	v_xor_b32_e32 v71, s16, v71
	v_xor_b32_e32 v81, s18, v81
	v_cmp_gt_i32_e64 s14, 0, v84
	v_cmp_gt_i32_e64 s15, 0, v68
	v_dual_ashrrev_i32 v70, 31, v70 :: v_dual_ashrrev_i32 v68, 31, v83
	v_bitop3_b32 v67, v67, v80, v71 bitop3:0x80
	v_lshl_add_u32 v69, v69, 2, v12
	v_xor_b32_e32 v82, s19, v82
	s_delay_alu instid0(VALU_DEP_4) | instskip(SKIP_3) | instid1(VALU_DEP_1)
	v_xor_b32_e32 v70, s14, v70
	v_xor_b32_e32 v68, s15, v68
	ds_load_b32 v84, v69 offset:32
	v_bitop3_b32 v67, v67, v82, v81 bitop3:0x80
	; wave barrier
	v_bitop3_b32 v68, v67, v68, v70 bitop3:0x80
	v_add_nc_u32_e32 v67, 32, v69
	s_delay_alu instid0(VALU_DEP_2) | instskip(SKIP_1) | instid1(VALU_DEP_2)
	v_mbcnt_lo_u32_b32 v86, v68, 0
	v_cmp_ne_u32_e64 s15, 0, v68
	v_cmp_eq_u32_e64 s14, 0, v86
	s_and_b32 s15, s15, s14
	s_delay_alu instid0(SALU_CYCLE_1)
	s_and_saveexec_b32 s14, s15
	s_cbranch_execz .LBB907_194
; %bb.193:                              ;   in Loop: Header=BB907_180 Depth=1
	s_wait_dscnt 0x0
	v_bcnt_u32_b32 v68, v68, v84
	ds_store_b32 v67, v68
.LBB907_194:                            ;   in Loop: Header=BB907_180 Depth=1
	s_or_b32 exec_lo, exec_lo, s14
	v_lshrrev_b32_e32 v195, 16, v180
	; wave barrier
	s_delay_alu instid0(VALU_DEP_1) | instskip(NEXT) | instid1(VALU_DEP_1)
	v_lshrrev_b32_e32 v68, v10, v195
	v_and_b32_e32 v69, v68, v49
	s_delay_alu instid0(VALU_DEP_1) | instskip(SKIP_3) | instid1(VALU_DEP_3)
	v_lshlrev_b32_e32 v71, 30, v69
	v_bitop3_b32 v49, v68, 1, v49 bitop3:0x80
	v_dual_lshlrev_b32 v80, 29, v69 :: v_dual_lshlrev_b32 v81, 28, v69
	v_dual_lshlrev_b32 v82, 27, v69 :: v_dual_lshlrev_b32 v83, 26, v69
	v_add_co_u32 v49, s14, v49, -1
	s_delay_alu instid0(VALU_DEP_1)
	v_cndmask_b32_e64 v70, 0, 1, s14
	v_cmp_gt_i32_e64 s15, 0, v71
	v_cmp_gt_i32_e64 s16, 0, v80
	v_lshl_add_u32 v68, v69, 3, v134
	v_dual_lshlrev_b32 v85, 25, v69 :: v_dual_lshlrev_b32 v69, 24, v69
	v_cmp_ne_u32_e64 s14, 0, v70
	v_not_b32_e32 v70, v71
	v_not_b32_e32 v71, v80
	;; [unrolled: 1-line block ×3, first 2 shown]
	v_cmp_gt_i32_e64 s17, 0, v81
	v_cmp_gt_i32_e64 s18, 0, v82
	v_dual_ashrrev_i32 v70, 31, v70 :: v_dual_bitop2_b32 v49, s14, v49 bitop3:0x14
	v_not_b32_e32 v81, v82
	v_not_b32_e32 v82, v83
	v_dual_ashrrev_i32 v71, 31, v71 :: v_dual_ashrrev_i32 v80, 31, v80
	s_delay_alu instid0(VALU_DEP_3) | instskip(SKIP_1) | instid1(VALU_DEP_3)
	v_dual_ashrrev_i32 v81, 31, v81 :: v_dual_bitop2_b32 v70, s15, v70 bitop3:0x14
	v_cmp_gt_i32_e64 s19, 0, v83
	v_dual_ashrrev_i32 v82, 31, v82 :: v_dual_bitop2_b32 v71, s16, v71 bitop3:0x14
	s_delay_alu instid0(VALU_DEP_3)
	v_bitop3_b32 v49, v49, v70, exec_lo bitop3:0x80
	v_not_b32_e32 v70, v85
	v_xor_b32_e32 v80, s17, v80
	v_not_b32_e32 v83, v69
	v_xor_b32_e32 v81, s18, v81
	v_cmp_gt_i32_e64 s14, 0, v85
	v_ashrrev_i32_e32 v70, 31, v70
	v_bitop3_b32 v49, v49, v80, v71 bitop3:0x80
	v_cmp_gt_i32_e64 s15, 0, v69
	v_ashrrev_i32_e32 v69, 31, v83
	v_lshl_add_u32 v68, v68, 2, v12
	v_xor_b32_e32 v82, s19, v82
	v_xor_b32_e32 v70, s14, v70
	s_delay_alu instid0(VALU_DEP_4) | instskip(NEXT) | instid1(VALU_DEP_3)
	v_xor_b32_e32 v69, s15, v69
	v_bitop3_b32 v71, v49, v82, v81 bitop3:0x80
	ds_load_b32 v49, v68 offset:32
	v_add_nc_u32_e32 v68, 32, v68
	; wave barrier
	v_bitop3_b32 v69, v71, v69, v70 bitop3:0x80
	s_delay_alu instid0(VALU_DEP_1) | instskip(SKIP_1) | instid1(VALU_DEP_2)
	v_mbcnt_lo_u32_b32 v96, v69, 0
	v_cmp_ne_u32_e64 s15, 0, v69
	v_cmp_eq_u32_e64 s14, 0, v96
	s_and_b32 s15, s15, s14
	s_delay_alu instid0(SALU_CYCLE_1)
	s_and_saveexec_b32 s14, s15
	s_cbranch_execz .LBB907_196
; %bb.195:                              ;   in Loop: Header=BB907_180 Depth=1
	s_wait_dscnt 0x0
	v_bcnt_u32_b32 v69, v69, v49
	ds_store_b32 v68, v69
.LBB907_196:                            ;   in Loop: Header=BB907_180 Depth=1
	s_or_b32 exec_lo, exec_lo, s14
	; wave barrier
	s_wait_dscnt 0x0
	s_barrier_signal -1
	s_barrier_wait -1
	ds_load_b32 v70, v19
	ds_load_b32 v71, v27
	;; [unrolled: 1-line block ×8, first 2 shown]
	s_wait_dscnt 0x6
	v_add_nc_u32_e32 v87, v71, v70
	s_wait_dscnt 0x4
	s_delay_alu instid0(VALU_DEP_1) | instskip(SKIP_1) | instid1(VALU_DEP_1)
	v_add3_u32 v87, v87, v80, v81
	s_wait_dscnt 0x2
	v_add3_u32 v87, v87, v82, v83
	s_wait_dscnt 0x0
	s_delay_alu instid0(VALU_DEP_1) | instskip(NEXT) | instid1(VALU_DEP_1)
	v_add3_u32 v85, v87, v69, v85
	v_mov_b32_dpp v87, v85 row_shr:1 row_mask:0xf bank_mask:0xf
	s_delay_alu instid0(VALU_DEP_1) | instskip(NEXT) | instid1(VALU_DEP_1)
	v_cndmask_b32_e64 v87, v87, 0, vcc_lo
	v_add_nc_u32_e32 v85, v87, v85
	s_delay_alu instid0(VALU_DEP_1) | instskip(NEXT) | instid1(VALU_DEP_1)
	v_mov_b32_dpp v87, v85 row_shr:2 row_mask:0xf bank_mask:0xf
	v_cndmask_b32_e64 v87, 0, v87, s0
	s_delay_alu instid0(VALU_DEP_1) | instskip(NEXT) | instid1(VALU_DEP_1)
	v_add_nc_u32_e32 v85, v85, v87
	v_mov_b32_dpp v87, v85 row_shr:4 row_mask:0xf bank_mask:0xf
	s_delay_alu instid0(VALU_DEP_1) | instskip(NEXT) | instid1(VALU_DEP_1)
	v_cndmask_b32_e64 v87, 0, v87, s1
	v_add_nc_u32_e32 v85, v85, v87
	s_delay_alu instid0(VALU_DEP_1) | instskip(NEXT) | instid1(VALU_DEP_1)
	v_mov_b32_dpp v87, v85 row_shr:8 row_mask:0xf bank_mask:0xf
	v_cndmask_b32_e64 v87, 0, v87, s3
	s_delay_alu instid0(VALU_DEP_1) | instskip(SKIP_3) | instid1(VALU_DEP_1)
	v_add_nc_u32_e32 v85, v85, v87
	ds_swizzle_b32 v87, v85 offset:swizzle(BROADCAST,32,15)
	s_wait_dscnt 0x0
	v_cndmask_b32_e64 v87, v87, 0, s4
	v_add_nc_u32_e32 v85, v85, v87
	s_and_saveexec_b32 s14, s5
; %bb.197:                              ;   in Loop: Header=BB907_180 Depth=1
	ds_store_b32 v144, v85
; %bb.198:                              ;   in Loop: Header=BB907_180 Depth=1
	s_or_b32 exec_lo, exec_lo, s14
	s_wait_dscnt 0x0
	s_barrier_signal -1
	s_barrier_wait -1
	s_and_saveexec_b32 s14, s6
	s_cbranch_execz .LBB907_200
; %bb.199:                              ;   in Loop: Header=BB907_180 Depth=1
	ds_load_b32 v87, v145
	s_wait_dscnt 0x0
	v_mov_b32_dpp v97, v87 row_shr:1 row_mask:0xf bank_mask:0xf
	s_delay_alu instid0(VALU_DEP_1) | instskip(NEXT) | instid1(VALU_DEP_1)
	v_cndmask_b32_e64 v97, v97, 0, s11
	v_add_nc_u32_e32 v87, v97, v87
	s_delay_alu instid0(VALU_DEP_1) | instskip(NEXT) | instid1(VALU_DEP_1)
	v_mov_b32_dpp v97, v87 row_shr:2 row_mask:0xf bank_mask:0xf
	v_cndmask_b32_e64 v97, 0, v97, s12
	s_delay_alu instid0(VALU_DEP_1) | instskip(NEXT) | instid1(VALU_DEP_1)
	v_add_nc_u32_e32 v87, v87, v97
	v_mov_b32_dpp v97, v87 row_shr:4 row_mask:0xf bank_mask:0xf
	s_delay_alu instid0(VALU_DEP_1) | instskip(NEXT) | instid1(VALU_DEP_1)
	v_cndmask_b32_e64 v97, 0, v97, s13
	v_add_nc_u32_e32 v87, v87, v97
	ds_store_b32 v145, v87
.LBB907_200:                            ;   in Loop: Header=BB907_180 Depth=1
	s_or_b32 exec_lo, exec_lo, s14
	v_mov_b32_e32 v87, 0
	s_wait_dscnt 0x0
	s_barrier_signal -1
	s_barrier_wait -1
	s_and_saveexec_b32 s14, s7
; %bb.201:                              ;   in Loop: Header=BB907_180 Depth=1
	ds_load_b32 v87, v147
; %bb.202:                              ;   in Loop: Header=BB907_180 Depth=1
	s_or_b32 exec_lo, exec_lo, s14
	s_wait_dscnt 0x0
	v_dual_add_nc_u32 v85, v87, v85 :: v_dual_add_nc_u32 v10, 8, v10
	s_mov_b32 s16, -1
	v_mov_b32_e32 v196, v183
	ds_bpermute_b32 v85, v135, v85
	s_wait_dscnt 0x0
	v_cndmask_b32_e64 v85, v85, v87, s2
	v_mov_b32_e32 v87, v1
	s_delay_alu instid0(VALU_DEP_2) | instskip(NEXT) | instid1(VALU_DEP_1)
	v_cndmask_b32_e64 v85, v85, 0, s10
	v_add_nc_u32_e32 v70, v85, v70
	s_delay_alu instid0(VALU_DEP_1) | instskip(NEXT) | instid1(VALU_DEP_1)
	v_add_nc_u32_e32 v71, v70, v71
	v_add_nc_u32_e32 v80, v71, v80
	s_delay_alu instid0(VALU_DEP_1)
	v_add_nc_u32_e32 v81, v80, v81
	ds_store_b32 v19, v85
	ds_store_b32 v27, v70
	;; [unrolled: 1-line block ×3, first 2 shown]
	v_dual_mov_b32 v71, v1 :: v_dual_mov_b32 v85, v1
	v_add_nc_u32_e32 v82, v81, v82
	s_delay_alu instid0(VALU_DEP_1) | instskip(NEXT) | instid1(VALU_DEP_1)
	v_add_nc_u32_e32 v83, v82, v83
	v_add_nc_u32_e32 v69, v83, v69
	ds_store_b32 v129, v80
	ds_store_b32 v130, v81
	;; [unrolled: 1-line block ×5, first 2 shown]
	s_wait_dscnt 0x0
	s_barrier_signal -1
	s_barrier_wait -1
	ds_load_b32 v34, v34
	ds_load_b32 v37, v37
	;; [unrolled: 1-line block ×8, first 2 shown]
	v_dual_mov_b32 v67, v1 :: v_dual_mov_b32 v69, v1
	v_dual_mov_b32 v81, v1 :: v_dual_mov_b32 v83, v1
	v_cmp_lt_u32_e64 s14, v10, v11
	s_wait_dscnt 0x0
	v_add_nc_u32_e32 v0, v34, v0
	v_add3_u32 v66, v36, v35, v37
	v_add3_u32 v68, v39, v38, v48
	;; [unrolled: 1-line block ×7, first 2 shown]
	v_lshl_add_u64 v[118:119], v[0:1], 1, v[12:13]
	v_lshl_add_u64 v[116:117], v[66:67], 1, v[12:13]
	;; [unrolled: 1-line block ×8, first 2 shown]
                                        ; implicit-def: $vgpr71
                                        ; implicit-def: $vgpr69
                                        ; implicit-def: $vgpr67
                                        ; implicit-def: $vgpr50_vgpr51
                                        ; implicit-def: $vgpr52_vgpr53
                                        ; implicit-def: $vgpr64_vgpr65
                                        ; implicit-def: $vgpr34_vgpr35
                                        ; implicit-def: $vgpr36_vgpr37
                                        ; implicit-def: $vgpr38_vgpr39
                                        ; implicit-def: $vgpr48_vgpr49
                                        ; implicit-def: $vgpr54_vgpr55
	s_and_saveexec_b32 s15, s14
	s_cbranch_execz .LBB907_179
; %bb.203:                              ;   in Loop: Header=BB907_180 Depth=1
	v_mad_nc_u64_u32 v[34:35], v0, 6, v[118:119]
	v_mad_nc_u64_u32 v[36:37], v66, 6, v[116:117]
	;; [unrolled: 1-line block ×8, first 2 shown]
	s_barrier_signal -1
	s_barrier_wait -1
	ds_store_b16 v118, v183
	ds_store_b16 v116, v192
	;; [unrolled: 1-line block ×8, first 2 shown]
	s_wait_dscnt 0x0
	s_barrier_signal -1
	s_barrier_wait -1
	ds_load_u16 v67, v146
	ds_load_u16 v69, v148
	;; [unrolled: 1-line block ×8, first 2 shown]
	s_wait_dscnt 0x0
	s_barrier_signal -1
	s_barrier_wait -1
	ds_store_b64 v34, v[14:15]
	ds_store_b64 v36, v[16:17]
	ds_store_b64 v38, v[20:21]
	ds_store_b64 v48, v[32:33]
	ds_store_b64 v50, v[22:23]
	ds_store_b64 v52, v[28:29]
	ds_store_b64 v54, v[24:25]
	ds_store_b64 v64, v[30:31]
	s_wait_dscnt 0x0
	s_barrier_signal -1
	s_barrier_wait -1
	ds_load_b64 v[50:51], v151
	ds_load_b64 v[52:53], v164
	;; [unrolled: 1-line block ×8, first 2 shown]
	v_add_nc_u32_e32 v179, -8, v179
	s_xor_b32 s16, exec_lo, -1
	s_wait_dscnt 0x0
	v_perm_b32 v183, v69, v67, 0x5040100
	s_barrier_signal -1
	v_perm_b32 v67, v81, v71, 0x5040100
	s_barrier_wait -1
	v_perm_b32 v69, v85, v83, 0x5040100
	v_perm_b32 v71, v197, v87, 0x5040100
	s_branch .LBB907_179
.LBB907_204:
	flat_load_b64 v[80:81], v[0:1]
	s_wait_xcnt 0x0
	s_or_b32 exec_lo, exec_lo, s18
                                        ; implicit-def: $vgpr82_vgpr83
	s_and_saveexec_b32 s18, s0
	s_cbranch_execz .LBB907_38
.LBB907_205:
	flat_load_b64 v[82:83], v[0:1] offset:256
	s_wait_xcnt 0x0
	s_or_b32 exec_lo, exec_lo, s18
                                        ; implicit-def: $vgpr84_vgpr85
	s_and_saveexec_b32 s0, s1
	s_cbranch_execz .LBB907_39
.LBB907_206:
	flat_load_b64 v[84:85], v[0:1] offset:512
	s_wait_xcnt 0x0
	s_or_b32 exec_lo, exec_lo, s0
                                        ; implicit-def: $vgpr86_vgpr87
	s_and_saveexec_b32 s0, s2
	s_cbranch_execz .LBB907_40
.LBB907_207:
	flat_load_b64 v[86:87], v[0:1] offset:768
	s_wait_xcnt 0x0
	s_or_b32 exec_lo, exec_lo, s0
                                        ; implicit-def: $vgpr96_vgpr97
	s_and_saveexec_b32 s0, s3
	s_cbranch_execz .LBB907_41
.LBB907_208:
	flat_load_b64 v[96:97], v[0:1] offset:1024
	s_wait_xcnt 0x0
	s_or_b32 exec_lo, exec_lo, s0
                                        ; implicit-def: $vgpr98_vgpr99
	s_and_saveexec_b32 s0, s4
	s_cbranch_execz .LBB907_42
.LBB907_209:
	flat_load_b64 v[98:99], v[0:1] offset:1280
	s_wait_xcnt 0x0
	s_or_b32 exec_lo, exec_lo, s0
                                        ; implicit-def: $vgpr114_vgpr115
	s_and_saveexec_b32 s0, s5
	s_cbranch_execz .LBB907_43
.LBB907_210:
	flat_load_b64 v[114:115], v[0:1] offset:1536
	s_wait_xcnt 0x0
	s_or_b32 exec_lo, exec_lo, s0
                                        ; implicit-def: $vgpr162_vgpr163
	s_and_saveexec_b32 s0, s6
	s_cbranch_execz .LBB907_44
.LBB907_211:
	flat_load_b64 v[162:163], v[0:1] offset:1792
	s_wait_xcnt 0x0
	s_or_b32 exec_lo, exec_lo, s0
                                        ; implicit-def: $vgpr164_vgpr165
	s_and_saveexec_b32 s0, s7
	s_cbranch_execz .LBB907_45
.LBB907_212:
	flat_load_b64 v[164:165], v[0:1] offset:2048
	s_wait_xcnt 0x0
	s_or_b32 exec_lo, exec_lo, s0
                                        ; implicit-def: $vgpr178_vgpr179
	s_and_saveexec_b32 s0, s10
	s_cbranch_execz .LBB907_46
.LBB907_213:
	flat_load_b64 v[178:179], v[0:1] offset:2304
	s_wait_xcnt 0x0
	s_or_b32 exec_lo, exec_lo, s0
                                        ; implicit-def: $vgpr180_vgpr181
	s_and_saveexec_b32 s0, s11
	s_cbranch_execz .LBB907_47
.LBB907_214:
	flat_load_b64 v[180:181], v[0:1] offset:2560
	s_wait_xcnt 0x0
	s_or_b32 exec_lo, exec_lo, s0
                                        ; implicit-def: $vgpr182_vgpr183
	s_and_saveexec_b32 s0, s12
	s_cbranch_execz .LBB907_48
.LBB907_215:
	flat_load_b64 v[182:183], v[0:1] offset:2816
	s_wait_xcnt 0x0
	s_or_b32 exec_lo, exec_lo, s0
                                        ; implicit-def: $vgpr194_vgpr195
	s_and_saveexec_b32 s0, s13
	s_cbranch_execz .LBB907_49
.LBB907_216:
	flat_load_b64 v[194:195], v[0:1] offset:3072
	s_wait_xcnt 0x0
	s_or_b32 exec_lo, exec_lo, s0
                                        ; implicit-def: $vgpr198_vgpr199
	s_and_saveexec_b32 s0, s14
	s_cbranch_execz .LBB907_50
.LBB907_217:
	flat_load_b64 v[198:199], v[0:1] offset:3328
	s_wait_xcnt 0x0
	s_or_b32 exec_lo, exec_lo, s0
                                        ; implicit-def: $vgpr192_vgpr193
	s_and_saveexec_b32 s0, s15
	s_cbranch_execz .LBB907_51
.LBB907_218:
	flat_load_b64 v[192:193], v[0:1] offset:3584
	s_wait_xcnt 0x0
	s_or_b32 exec_lo, exec_lo, s0
                                        ; implicit-def: $vgpr196_vgpr197
	s_and_saveexec_b32 s0, s16
	s_cbranch_execz .LBB907_52
.LBB907_219:
	flat_load_b64 v[196:197], v[0:1] offset:3840
	s_wait_xcnt 0x0
	s_or_b32 exec_lo, exec_lo, s0
                                        ; implicit-def: $vgpr208_vgpr209
	s_and_saveexec_b32 s0, s17
	s_cbranch_execnz .LBB907_53
	s_branch .LBB907_54
.LBB907_220:
	flat_store_b64 v[2:3], v[48:49]
	s_wait_xcnt 0x0
	s_or_b32 exec_lo, exec_lo, s18
	s_and_saveexec_b32 s18, s0
	s_cbranch_execz .LBB907_134
.LBB907_221:
	flat_store_b64 v[2:3], v[50:51] offset:2048
	s_wait_xcnt 0x0
	s_or_b32 exec_lo, exec_lo, s18
	s_and_saveexec_b32 s0, s1
	s_cbranch_execz .LBB907_135
.LBB907_222:
	flat_store_b64 v[2:3], v[34:35] offset:4096
	s_wait_xcnt 0x0
	s_or_b32 exec_lo, exec_lo, s0
	s_and_saveexec_b32 s0, s2
	s_cbranch_execz .LBB907_136
.LBB907_223:
	flat_store_b64 v[2:3], v[36:37] offset:6144
	s_wait_xcnt 0x0
	s_or_b32 exec_lo, exec_lo, s0
	s_and_saveexec_b32 s0, s3
	s_cbranch_execz .LBB907_137
.LBB907_224:
	flat_store_b64 v[2:3], v[30:31] offset:8192
	s_wait_xcnt 0x0
	s_or_b32 exec_lo, exec_lo, s0
	s_and_saveexec_b32 s0, s4
	s_cbranch_execz .LBB907_138
.LBB907_225:
	flat_store_b64 v[2:3], v[32:33] offset:10240
	s_wait_xcnt 0x0
	s_or_b32 exec_lo, exec_lo, s0
	s_and_saveexec_b32 s0, s5
	s_cbranch_execz .LBB907_139
.LBB907_226:
	flat_store_b64 v[2:3], v[26:27] offset:12288
	s_wait_xcnt 0x0
	s_or_b32 exec_lo, exec_lo, s0
	s_and_saveexec_b32 s0, s6
	s_cbranch_execz .LBB907_140
.LBB907_227:
	flat_store_b64 v[2:3], v[28:29] offset:14336
	s_wait_xcnt 0x0
	s_or_b32 exec_lo, exec_lo, s0
	s_and_saveexec_b32 s0, s7
	s_cbranch_execz .LBB907_141
.LBB907_228:
	flat_store_b64 v[2:3], v[22:23] offset:16384
	s_wait_xcnt 0x0
	s_or_b32 exec_lo, exec_lo, s0
	s_and_saveexec_b32 s0, s10
	s_cbranch_execz .LBB907_142
.LBB907_229:
	flat_store_b64 v[2:3], v[24:25] offset:18432
	s_wait_xcnt 0x0
	s_or_b32 exec_lo, exec_lo, s0
	s_and_saveexec_b32 s0, s11
	s_cbranch_execz .LBB907_143
.LBB907_230:
	flat_store_b64 v[2:3], v[18:19] offset:20480
	s_wait_xcnt 0x0
	s_or_b32 exec_lo, exec_lo, s0
	s_and_saveexec_b32 s0, s12
	s_cbranch_execz .LBB907_144
.LBB907_231:
	flat_store_b64 v[2:3], v[20:21] offset:22528
	s_wait_xcnt 0x0
	s_or_b32 exec_lo, exec_lo, s0
	s_and_saveexec_b32 s0, s13
	s_cbranch_execz .LBB907_145
.LBB907_232:
	flat_store_b64 v[2:3], v[14:15] offset:24576
	s_wait_xcnt 0x0
	s_or_b32 exec_lo, exec_lo, s0
	s_and_saveexec_b32 s0, s14
	s_cbranch_execz .LBB907_146
.LBB907_233:
	flat_store_b64 v[2:3], v[16:17] offset:26624
	s_wait_xcnt 0x0
	s_or_b32 exec_lo, exec_lo, s0
	s_and_saveexec_b32 s0, s15
	s_cbranch_execz .LBB907_147
.LBB907_234:
	flat_store_b64 v[2:3], v[10:11] offset:28672
	s_wait_xcnt 0x0
	s_or_b32 exec_lo, exec_lo, s0
	s_and_saveexec_b32 s0, s16
	s_cbranch_execz .LBB907_148
.LBB907_235:
	flat_store_b64 v[2:3], v[12:13] offset:30720
	s_wait_xcnt 0x0
	s_or_b32 exec_lo, exec_lo, s0
	s_and_saveexec_b32 s0, s17
	s_cbranch_execnz .LBB907_149
	s_branch .LBB907_150
.LBB907_236:
	s_or_b32 exec_lo, exec_lo, s24
	v_mad_nc_u64_u32 v[0:1], v0, 6, v[118:119]
	v_mad_nc_u64_u32 v[10:11], v66, 6, v[116:117]
	v_lshl_add_u32 v19, v18, 1, v12
	v_mad_nc_u64_u32 v[12:13], v68, 6, v[114:115]
	v_mad_nc_u64_u32 v[48:49], v80, 6, v[112:113]
	;; [unrolled: 1-line block ×3, first 2 shown]
	s_barrier_signal -1
	s_barrier_wait -1
	ds_store_b16 v118, v196
	ds_store_b16 v116, v192
	;; [unrolled: 1-line block ×8, first 2 shown]
	s_wait_dscnt 0x0
	s_barrier_signal -1
	s_barrier_wait -1
	ds_load_u16 v39, v19
	ds_load_u16 v38, v19 offset:512
	ds_load_u16 v37, v19 offset:1024
	;; [unrolled: 1-line block ×7, first 2 shown]
	s_wait_dscnt 0x0
	s_barrier_signal -1
	v_mad_nc_u64_u32 v[52:53], v82, 6, v[100:101]
	s_barrier_wait -1
	ds_store_b64 v0, v[14:15]
	ds_store_b64 v10, v[16:17]
	;; [unrolled: 1-line block ×4, first 2 shown]
	v_mul_u32_u24_e32 v0, 6, v18
	v_mad_nc_u64_u32 v[54:55], v84, 6, v[98:99]
	v_mad_nc_u64_u32 v[64:65], v86, 6, v[96:97]
	ds_store_b64 v50, v[22:23]
	ds_store_b64 v52, v[28:29]
	;; [unrolled: 1-line block ×4, first 2 shown]
	v_dual_mov_b32 v27, 0 :: v_dual_add_nc_u32 v0, v19, v0
	s_wait_dscnt 0x0
	s_barrier_signal -1
	s_barrier_wait -1
	ds_load_2addr_stride64_b64 v[22:25], v0 offset1:4
	ds_load_2addr_stride64_b64 v[18:21], v0 offset0:8 offset1:12
	ds_load_2addr_stride64_b64 v[14:17], v0 offset0:16 offset1:20
	;; [unrolled: 1-line block ×3, first 2 shown]
	v_lshl_add_u64 v[0:1], v[8:9], 1, v[2:3]
	s_set_vgpr_msb 4                        ;  msbs: dst=0 src0=0 src1=1 src2=0
	v_cmp_lt_u32_e32 vcc_lo, v26, v12 /*v268*/
	s_wait_dscnt 0x0
	s_barrier_signal -1
	s_barrier_wait -1
	v_lshl_add_u64 v[0:1], v[26:27], 1, v[0:1]
	s_and_saveexec_b32 s0, vcc_lo
	s_set_vgpr_msb 0                        ;  msbs: dst=0 src0=0 src1=0 src2=0
	s_cbranch_execz .LBB907_238
; %bb.237:
	v_xor_b32_e32 v2, 0x7fff, v39
	flat_store_b16 v[0:1], v2
.LBB907_238:
	s_wait_xcnt 0x0
	s_or_b32 exec_lo, exec_lo, s0
	v_add_nc_u32_e32 v2, 0x100, v26
	s_set_vgpr_msb 4                        ;  msbs: dst=0 src0=0 src1=1 src2=0
	s_delay_alu instid0(VALU_DEP_1)
	v_cmp_lt_u32_e64 s0, v2, v12 /*v268*/
	s_and_saveexec_b32 s1, s0
	s_set_vgpr_msb 0                        ;  msbs: dst=0 src0=0 src1=0 src2=0
	s_cbranch_execz .LBB907_240
; %bb.239:
	v_xor_b32_e32 v2, 0x7fff, v38
	flat_store_b16 v[0:1], v2 offset:512
.LBB907_240:
	s_wait_xcnt 0x0
	s_or_b32 exec_lo, exec_lo, s1
	v_add_nc_u32_e32 v2, 0x200, v26
	s_set_vgpr_msb 4                        ;  msbs: dst=0 src0=0 src1=1 src2=0
	s_delay_alu instid0(VALU_DEP_1)
	v_cmp_lt_u32_e64 s1, v2, v12 /*v268*/
	s_and_saveexec_b32 s2, s1
	s_set_vgpr_msb 0                        ;  msbs: dst=0 src0=0 src1=0 src2=0
	s_cbranch_execz .LBB907_242
; %bb.241:
	v_xor_b32_e32 v2, 0x7fff, v37
	flat_store_b16 v[0:1], v2 offset:1024
.LBB907_242:
	;; [unrolled: 13-line block ×7, first 2 shown]
	s_wait_xcnt 0x0
	s_or_b32 exec_lo, exec_lo, s7
	v_lshl_add_u64 v[0:1], v[8:9], 3, v[6:7]
	s_delay_alu instid0(VALU_DEP_1)
	v_lshl_add_u64 v[0:1], v[26:27], 3, v[0:1]
	s_and_saveexec_b32 s7, vcc_lo
	s_cbranch_execnz .LBB907_302
; %bb.253:
	s_or_b32 exec_lo, exec_lo, s7
	s_and_saveexec_b32 s7, s0
	s_cbranch_execnz .LBB907_303
.LBB907_254:
	s_or_b32 exec_lo, exec_lo, s7
	s_and_saveexec_b32 s0, s1
	s_cbranch_execnz .LBB907_304
.LBB907_255:
	s_or_b32 exec_lo, exec_lo, s0
	s_and_saveexec_b32 s0, s2
	s_cbranch_execnz .LBB907_305
.LBB907_256:
	s_or_b32 exec_lo, exec_lo, s0
	s_and_saveexec_b32 s0, s3
	s_cbranch_execnz .LBB907_306
.LBB907_257:
	s_or_b32 exec_lo, exec_lo, s0
	s_and_saveexec_b32 s0, s4
	s_cbranch_execnz .LBB907_307
.LBB907_258:
	s_or_b32 exec_lo, exec_lo, s0
	s_and_saveexec_b32 s0, s5
	s_cbranch_execnz .LBB907_308
.LBB907_259:
	s_or_b32 exec_lo, exec_lo, s0
	s_and_saveexec_b32 s0, s6
	s_cbranch_execz .LBB907_261
.LBB907_260:
	flat_store_b64 v[0:1], v[12:13] offset:14336
.LBB907_261:
	s_wait_xcnt 0x0
	s_or_b32 exec_lo, exec_lo, s0
                                        ; implicit-def: $vgpr268
                                        ; implicit-def: $vgpr8
                                        ; implicit-def: $vgpr10
                                        ; implicit-def: $vgpr11
                                        ; implicit-def: $vgpr0_vgpr1
                                        ; implicit-def: $vgpr2_vgpr3
                                        ; implicit-def: $vgpr4_vgpr5
                                        ; implicit-def: $vgpr6_vgpr7
                                        ; implicit-def: $vgpr12_vgpr13
                                        ; implicit-def: $vgpr9
                                        ; implicit-def: $vgpr14
                                        ; implicit-def: $vgpr18
                                        ; implicit-def: $vgpr66
.LBB907_262:
	s_and_not1_saveexec_b32 s0, s22
	s_cbranch_execz .LBB907_382
; %bb.263:
	s_mov_b32 s0, exec_lo
	s_set_vgpr_msb 4                        ;  msbs: dst=0 src0=0 src1=1 src2=0
	v_cmpx_lt_u32_e32 0x200, v12 /*v268*/
	s_xor_b32 s22, exec_lo, s0
	s_set_vgpr_msb 0                        ;  msbs: dst=0 src0=0 src1=0 src2=0
	s_cbranch_execz .LBB907_323
; %bb.264:
	s_load_b64 s[0:1], s[8:9], 0x0
	s_bfe_u32 s3, ttmp6, 0x4000c
	s_bfe_u32 s5, ttmp6, 0x40010
	s_and_b32 s4, ttmp7, 0xffff
	s_add_co_i32 s3, s3, 1
	s_add_co_i32 s5, s5, 1
	s_and_b32 s2, ttmp6, 15
	s_bfe_u32 s6, ttmp6, 0x40004
	s_mul_i32 s3, ttmp9, s3
	s_mul_i32 s5, s4, s5
	s_add_co_i32 s2, s2, s3
	s_add_co_i32 s6, s6, s5
	s_cmp_eq_u32 s21, 0
	s_mov_b32 s3, 0
	s_cselect_b32 s2, ttmp9, s2
	s_cselect_b32 s4, s4, s6
	v_lshlrev_b32_e32 v16, 1, v66
	s_wait_kmcnt 0x0
	s_cmp_lt_u32 s2, s0
	s_cselect_b32 s2, 12, 18
	s_cmp_lt_u32 s4, s1
	s_mov_b32 s1, s3
	s_cselect_b32 s0, 14, 20
	s_delay_alu instid0(SALU_CYCLE_1)
	s_add_nc_u64 s[0:1], s[8:9], s[0:1]
	s_load_u16 s4, s[0:1], 0x0
	s_wait_xcnt 0x0
	s_add_nc_u64 s[0:1], s[8:9], s[2:3]
	s_load_u16 s0, s[0:1], 0x0
	s_wait_kmcnt 0x0
	v_mad_u32_u24 v9, v14, s4, v9
	s_delay_alu instid0(VALU_DEP_1) | instskip(SKIP_1) | instid1(VALU_DEP_1)
	v_mad_u32 v20, v9, s0, v18
	v_mov_b32_e32 v9, 0
	v_lshl_add_u64 v[0:1], v[8:9], 1, v[0:1]
	s_delay_alu instid0(VALU_DEP_3) | instskip(NEXT) | instid1(VALU_DEP_1)
	v_dual_mov_b32 v17, v9 :: v_dual_lshlrev_b32 v14, 2, v20
	v_add_nc_u64_e32 v[16:17], v[0:1], v[16:17]
	v_mov_b32_e32 v0, 0x80008000
	s_delay_alu instid0(VALU_DEP_3) | instskip(NEXT) | instid1(VALU_DEP_2)
	v_and_b32_e32 v14, 0xffffff80, v14
	v_dual_mov_b32 v15, v9 :: v_dual_mov_b32 v1, v0
	s_delay_alu instid0(VALU_DEP_2) | instskip(NEXT) | instid1(VALU_DEP_2)
	v_or_b32_e32 v19, v14, v66
	v_lshl_add_u64 v[16:17], v[14:15], 1, v[16:17]
	s_set_vgpr_msb 4                        ;  msbs: dst=0 src0=0 src1=1 src2=0
	s_delay_alu instid0(VALU_DEP_2)
	v_cmp_lt_u32_e32 vcc_lo, v19, v12 /*v268*/
	s_and_saveexec_b32 s0, vcc_lo
	s_set_vgpr_msb 0                        ;  msbs: dst=0 src0=0 src1=0 src2=0
	s_cbranch_execz .LBB907_266
; %bb.265:
	flat_load_u16 v1, v[16:17]
	s_movk_i32 s1, 0x8000
	v_mov_b32_e32 v23, v0
	s_wait_loadcnt_dscnt 0x0
	v_perm_b32 v22, s1, v1, 0x5040100
	s_delay_alu instid0(VALU_DEP_1)
	v_mov_b64_e32 v[0:1], v[22:23]
.LBB907_266:
	s_wait_xcnt 0x0
	s_or_b32 exec_lo, exec_lo, s0
	v_or_b32_e32 v21, 32, v19
	s_set_vgpr_msb 4                        ;  msbs: dst=0 src0=0 src1=1 src2=0
	s_delay_alu instid0(VALU_DEP_1)
	v_cmp_lt_u32_e64 s0, v21, v12 /*v268*/
	s_and_saveexec_b32 s1, s0
	s_set_vgpr_msb 0                        ;  msbs: dst=0 src0=0 src1=0 src2=0
	s_cbranch_execz .LBB907_268
; %bb.267:
	flat_load_u16 v21, v[16:17] offset:64
	s_wait_loadcnt_dscnt 0x0
	v_perm_b32 v0, v21, v0, 0x5040100
.LBB907_268:
	s_wait_xcnt 0x0
	s_or_b32 exec_lo, exec_lo, s1
	v_or_b32_e32 v21, 64, v19
	s_set_vgpr_msb 4                        ;  msbs: dst=0 src0=0 src1=1 src2=0
	s_delay_alu instid0(VALU_DEP_1)
	v_cmp_lt_u32_e64 s1, v21, v12 /*v268*/
	s_and_saveexec_b32 s2, s1
	s_set_vgpr_msb 0                        ;  msbs: dst=0 src0=0 src1=0 src2=0
	s_cbranch_execz .LBB907_270
; %bb.269:
	flat_load_u16 v21, v[16:17] offset:128
	s_wait_loadcnt_dscnt 0x0
	v_bfi_b32 v1, 0xffff, v21, v1
.LBB907_270:
	s_wait_xcnt 0x0
	s_or_b32 exec_lo, exec_lo, s2
	v_or_b32_e32 v19, 0x60, v19
	s_set_vgpr_msb 4                        ;  msbs: dst=0 src0=0 src1=1 src2=0
	s_delay_alu instid0(VALU_DEP_1)
	v_cmp_lt_u32_e64 s2, v19, v12 /*v268*/
	s_and_saveexec_b32 s3, s2
	s_set_vgpr_msb 0                        ;  msbs: dst=0 src0=0 src1=0 src2=0
	s_cbranch_execz .LBB907_272
; %bb.271:
	flat_load_u16 v16, v[16:17] offset:192
	s_wait_loadcnt_dscnt 0x0
	v_perm_b32 v1, v16, v1, 0x5040100
.LBB907_272:
	s_wait_xcnt 0x0
	s_or_b32 exec_lo, exec_lo, s3
	v_lshl_add_u64 v[4:5], v[8:9], 3, v[4:5]
	v_dual_mov_b32 v17, 0 :: v_dual_lshlrev_b32 v16, 3, v66
                                        ; implicit-def: $vgpr26_vgpr27
	s_delay_alu instid0(VALU_DEP_1) | instskip(NEXT) | instid1(VALU_DEP_1)
	v_add_nc_u64_e32 v[4:5], v[4:5], v[16:17]
	v_lshl_add_u64 v[4:5], v[14:15], 3, v[4:5]
	s_and_saveexec_b32 s3, vcc_lo
	s_cbranch_execnz .LBB907_347
; %bb.273:
	s_or_b32 exec_lo, exec_lo, s3
                                        ; implicit-def: $vgpr28_vgpr29
	s_and_saveexec_b32 s3, s0
	s_cbranch_execnz .LBB907_348
.LBB907_274:
	s_or_b32 exec_lo, exec_lo, s3
                                        ; implicit-def: $vgpr30_vgpr31
	s_and_saveexec_b32 s0, s1
	s_cbranch_execnz .LBB907_349
.LBB907_275:
	s_or_b32 exec_lo, exec_lo, s0
                                        ; implicit-def: $vgpr32_vgpr33
	s_and_saveexec_b32 s0, s2
	s_cbranch_execz .LBB907_277
.LBB907_276:
	flat_load_b64 v[32:33], v[4:5] offset:768
.LBB907_277:
	s_wait_xcnt 0x0
	s_or_b32 exec_lo, exec_lo, s0
	v_lshrrev_b32_e32 v4, 16, v1
	v_xor_b32_e32 v14, 0x7fff, v1
	v_lshrrev_b32_e32 v1, 16, v0
	v_sub_co_u32 v17, s2, v66, 1
	s_delay_alu instid0(VALU_DEP_4) | instskip(SKIP_1) | instid1(VALU_DEP_4)
	v_xor_b32_e32 v15, 0x7fff, v4
	v_lshl_add_u32 v5, v18, 5, v12
	v_xor_b32_e32 v4, 0x7fff, v1
	v_and_b32_e32 v1, 0x3e0, v18
	v_cmp_gt_i32_e64 s6, 0, v17
	s_delay_alu instid0(VALU_DEP_4)
	v_dual_add_nc_u32 v69, 56, v5 :: v_dual_bitop2_b32 v16, 15, v66 bitop3:0x40
	s_get_pc_i64 s[0:1]
	s_add_nc_u64 s[0:1], s[0:1], _ZN7rocprim17ROCPRIM_400000_NS16block_radix_sortIsLj256ELj4ElLj1ELj1ELj8ELNS0_26block_radix_rank_algorithmE2ELNS0_18block_padding_hintE2ELNS0_4arch9wavefront6targetE0EE19radix_bits_per_passE@rel64+4
	v_min_u32_e32 v1, 0xe0, v1
	s_load_b32 s23, s[0:1], 0x0
	v_dual_add_nc_u32 v19, 32, v5 :: v_dual_add_nc_u32 v21, 36, v5
	v_dual_add_nc_u32 v64, 40, v5 :: v_dual_add_nc_u32 v65, 44, v5
	s_delay_alu instid0(VALU_DEP_3) | instskip(SKIP_2) | instid1(VALU_DEP_3)
	v_or_b32_e32 v1, 31, v1
	v_dual_add_nc_u32 v67, 48, v5 :: v_dual_add_nc_u32 v68, 52, v5
	v_dual_add_nc_u32 v70, 60, v5 :: v_dual_lshrrev_b32 v71, 5, v20
	v_cmp_eq_u32_e64 s5, v18, v1
	v_lshrrev_b32_e32 v1, 3, v18
	v_cmp_eq_u32_e32 vcc_lo, 0, v16
	s_wait_xcnt 0x0
	v_cmp_lt_u32_e64 s0, 1, v16
	v_cmp_lt_u32_e64 s1, 3, v16
	;; [unrolled: 1-line block ×3, first 2 shown]
	v_lshlrev_b32_e32 v16, 2, v18
	v_and_b32_e32 v1, 0x7c, v1
	v_and_b32_e32 v5, 16, v66
	v_xor_b32_e32 v0, 0x7fff, v0
	v_cmp_lt_u32_e64 s7, 31, v18
	v_cmp_eq_u32_e64 s10, 0, v18
	v_add_nc_u32_e32 v81, v12, v1
	v_cmp_eq_u32_e64 s4, 0, v5
	v_dual_cndmask_b32 v5, v17, v66, s6 :: v_dual_bitop2_b32 v17, 7, v66 bitop3:0x40
	v_perm_b32 v100, v4, v0, 0x5040100
	v_cmp_gt_u32_e64 s6, 8, v18
	v_dual_mov_b32 v1, 0 :: v_dual_add_nc_u32 v82, v12, v16
	s_delay_alu instid0(VALU_DEP_4)
	v_lshlrev_b32_e32 v80, 2, v5
	v_and_or_b32 v5, 0xf80, v16, v66
	v_cmp_eq_u32_e64 s11, 0, v17
	v_cmp_lt_u32_e64 s12, 1, v17
	v_cmp_lt_u32_e64 s13, 3, v17
	v_dual_add_nc_u32 v84, -4, v81 :: v_dual_sub_nc_u32 v99, v11, v10
	v_lshl_add_u32 v66, v5, 1, v12
	v_mul_u32_u24_e32 v5, 6, v5
	v_perm_b32 v35, v15, v14, 0x5040100
	s_mov_b32 s24, 0
	s_wait_storecnt 0x0
	s_wait_loadcnt_dscnt 0x0
	v_dual_add_nc_u32 v85, 64, v66 :: v_dual_add_nc_u32 v83, v66, v5
	v_mov_b64_e32 v[4:5], 0
	v_add_nc_u32_e32 v86, 0x80, v66
	v_add_nc_u32_e32 v87, 0xc0, v66
	s_barrier_signal -1
	v_add_nc_u32_e32 v96, 0x100, v83
	v_add_nc_u32_e32 v97, 0x200, v83
	;; [unrolled: 1-line block ×3, first 2 shown]
	s_barrier_wait -1
	s_branch .LBB907_279
.LBB907_278:                            ;   in Loop: Header=BB907_279 Depth=1
	s_or_b32 exec_lo, exec_lo, s15
	s_delay_alu instid0(SALU_CYCLE_1) | instskip(NEXT) | instid1(SALU_CYCLE_1)
	s_and_b32 s14, exec_lo, s16
	s_or_b32 s24, s14, s24
	s_delay_alu instid0(SALU_CYCLE_1)
	s_and_not1_b32 exec_lo, exec_lo, s24
	s_cbranch_execz .LBB907_309
.LBB907_279:                            ; =>This Inner Loop Header: Depth=1
	s_wait_kmcnt 0x0
	v_min_u32_e32 v0, s23, v99
	v_and_b32_e32 v14, 0xffff, v100
	ds_store_b64 v19, v[4:5]
	ds_store_b64 v64, v[4:5]
	;; [unrolled: 1-line block ×4, first 2 shown]
	s_wait_dscnt 0x0
	v_lshlrev_b32_e64 v34, v0, -1
	v_lshrrev_b32_e32 v0, v10, v14
	s_barrier_signal -1
	s_barrier_wait -1
	s_delay_alu instid0(VALU_DEP_1) | instskip(SKIP_2) | instid1(VALU_DEP_3)
	v_bitop3_b32 v14, v0, 1, v34 bitop3:0x40
	v_bitop3_b32 v0, v0, v34, v0 bitop3:0x30
	; wave barrier
	v_mov_b32_e32 v101, v35
	v_add_co_u32 v14, s14, v14, -1
	s_delay_alu instid0(VALU_DEP_1) | instskip(NEXT) | instid1(VALU_DEP_4)
	v_cndmask_b32_e64 v15, 0, 1, s14
	v_dual_lshlrev_b32 v16, 30, v0 :: v_dual_lshlrev_b32 v17, 29, v0
	v_dual_lshlrev_b32 v22, 28, v0 :: v_dual_lshlrev_b32 v23, 27, v0
	s_delay_alu instid0(VALU_DEP_3) | instskip(NEXT) | instid1(VALU_DEP_3)
	v_cmp_ne_u32_e64 s14, 0, v15
	v_not_b32_e32 v15, v16
	v_dual_lshlrev_b32 v24, 26, v0 :: v_dual_lshlrev_b32 v25, 25, v0
	v_cmp_gt_i32_e64 s15, 0, v16
	v_cmp_gt_i32_e64 s16, 0, v17
	v_not_b32_e32 v16, v17
	v_not_b32_e32 v17, v22
	v_dual_ashrrev_i32 v15, 31, v15 :: v_dual_lshlrev_b32 v36, 24, v0
	v_xor_b32_e32 v14, s14, v14
	v_cmp_gt_i32_e64 s17, 0, v22
	v_cmp_gt_i32_e64 s18, 0, v23
	v_not_b32_e32 v22, v23
	v_dual_ashrrev_i32 v16, 31, v16 :: v_dual_ashrrev_i32 v17, 31, v17
	v_xor_b32_e32 v15, s15, v15
	v_not_b32_e32 v23, v24
	v_cmp_gt_i32_e64 s19, 0, v24
	s_delay_alu instid0(VALU_DEP_4) | instskip(NEXT) | instid1(VALU_DEP_4)
	v_dual_ashrrev_i32 v22, 31, v22 :: v_dual_bitop2_b32 v16, s16, v16 bitop3:0x14
	v_bitop3_b32 v14, v14, v15, exec_lo bitop3:0x80
	s_delay_alu instid0(VALU_DEP_4)
	v_ashrrev_i32_e32 v15, 31, v23
	v_not_b32_e32 v23, v25
	v_xor_b32_e32 v17, s17, v17
	v_not_b32_e32 v24, v36
	v_xor_b32_e32 v22, s18, v22
	v_xor_b32_e32 v15, s19, v15
	v_cmp_gt_i32_e64 s14, 0, v25
	v_bitop3_b32 v14, v14, v17, v16 bitop3:0x80
	v_ashrrev_i32_e32 v16, 31, v23
	v_cmp_gt_i32_e64 s15, 0, v36
	v_ashrrev_i32_e32 v17, 31, v24
	v_lshlrev_b32_e32 v0, 3, v0
	v_bitop3_b32 v24, v14, v15, v22 bitop3:0x80
	v_xor_b32_e32 v25, s14, v16
	v_mov_b64_e32 v[22:23], v[28:29]
	v_xor_b32_e32 v35, s15, v17
	v_add_lshl_u32 v0, v0, v71, 2
	v_mov_b64_e32 v[14:15], v[26:27]
	v_mov_b64_e32 v[16:17], v[30:31]
	s_delay_alu instid0(VALU_DEP_4) | instskip(NEXT) | instid1(VALU_DEP_4)
	v_bitop3_b32 v28, v24, v35, v25 bitop3:0x80
	v_add_nc_u64_e32 v[26:27], v[12:13], v[0:1]
	v_mov_b64_e32 v[24:25], v[32:33]
	s_delay_alu instid0(VALU_DEP_3) | instskip(SKIP_1) | instid1(VALU_DEP_4)
	v_mbcnt_lo_u32_b32 v0, v28, 0
	v_cmp_ne_u32_e64 s15, 0, v28
	v_add_nc_u64_e32 v[26:27], 32, v[26:27]
	s_delay_alu instid0(VALU_DEP_3) | instskip(SKIP_1) | instid1(SALU_CYCLE_1)
	v_cmp_eq_u32_e64 s14, 0, v0
	s_and_b32 s15, s15, s14
	s_and_saveexec_b32 s14, s15
; %bb.280:                              ;   in Loop: Header=BB907_279 Depth=1
	v_bcnt_u32_b32 v27, v28, 0
	ds_store_b32 v26, v27
; %bb.281:                              ;   in Loop: Header=BB907_279 Depth=1
	s_or_b32 exec_lo, exec_lo, s14
	v_not_b32_e32 v33, v34
	v_lshrrev_b32_e32 v102, 16, v100
	; wave barrier
	s_delay_alu instid0(VALU_DEP_1) | instskip(NEXT) | instid1(VALU_DEP_1)
	v_lshrrev_b32_e32 v27, v10, v102
	v_and_b32_e32 v28, v27, v33
	s_delay_alu instid0(VALU_DEP_1) | instskip(SKIP_3) | instid1(VALU_DEP_3)
	v_lshlrev_b32_e32 v31, 30, v28
	v_bitop3_b32 v27, v27, 1, v33 bitop3:0x80
	v_dual_lshlrev_b32 v32, 29, v28 :: v_dual_lshlrev_b32 v34, 28, v28
	v_dual_lshlrev_b32 v35, 27, v28 :: v_dual_lshlrev_b32 v36, 26, v28
	v_add_co_u32 v27, s14, v27, -1
	s_delay_alu instid0(VALU_DEP_1)
	v_cndmask_b32_e64 v30, 0, 1, s14
	v_cmp_gt_i32_e64 s15, 0, v31
	v_cmp_gt_i32_e64 s16, 0, v32
	v_lshl_add_u32 v29, v28, 3, v71
	v_dual_lshlrev_b32 v37, 25, v28 :: v_dual_lshlrev_b32 v28, 24, v28
	v_cmp_ne_u32_e64 s14, 0, v30
	v_not_b32_e32 v30, v31
	v_not_b32_e32 v31, v32
	;; [unrolled: 1-line block ×3, first 2 shown]
	v_cmp_gt_i32_e64 s17, 0, v34
	v_cmp_gt_i32_e64 s18, 0, v35
	v_dual_ashrrev_i32 v30, 31, v30 :: v_dual_bitop2_b32 v27, s14, v27 bitop3:0x14
	v_not_b32_e32 v34, v35
	v_dual_ashrrev_i32 v31, 31, v31 :: v_dual_ashrrev_i32 v32, 31, v32
	s_delay_alu instid0(VALU_DEP_3) | instskip(SKIP_2) | instid1(VALU_DEP_4)
	v_xor_b32_e32 v30, s15, v30
	v_not_b32_e32 v35, v36
	v_cmp_gt_i32_e64 s19, 0, v36
	v_dual_ashrrev_i32 v34, 31, v34 :: v_dual_bitop2_b32 v31, s16, v31 bitop3:0x14
	v_xor_b32_e32 v32, s17, v32
	v_bitop3_b32 v27, v27, v30, exec_lo bitop3:0x80
	v_ashrrev_i32_e32 v30, 31, v35
	v_not_b32_e32 v35, v37
	v_not_b32_e32 v36, v28
	v_xor_b32_e32 v34, s18, v34
	v_bitop3_b32 v27, v27, v32, v31 bitop3:0x80
	v_cmp_gt_i32_e64 s14, 0, v37
	v_ashrrev_i32_e32 v31, 31, v35
	v_cmp_gt_i32_e64 s15, 0, v28
	v_ashrrev_i32_e32 v28, 31, v36
	v_lshl_add_u32 v29, v29, 2, v12
	v_xor_b32_e32 v30, s19, v30
	v_xor_b32_e32 v31, s14, v31
	s_delay_alu instid0(VALU_DEP_4) | instskip(NEXT) | instid1(VALU_DEP_3)
	v_xor_b32_e32 v28, s15, v28
	v_bitop3_b32 v30, v27, v30, v34 bitop3:0x80
	ds_load_b32 v27, v29 offset:32
	v_add_nc_u32_e32 v29, 32, v29
	; wave barrier
	v_bitop3_b32 v30, v30, v28, v31 bitop3:0x80
	s_delay_alu instid0(VALU_DEP_1) | instskip(SKIP_1) | instid1(VALU_DEP_2)
	v_mbcnt_lo_u32_b32 v28, v30, 0
	v_cmp_ne_u32_e64 s15, 0, v30
	v_cmp_eq_u32_e64 s14, 0, v28
	s_and_b32 s15, s15, s14
	s_delay_alu instid0(SALU_CYCLE_1)
	s_and_saveexec_b32 s14, s15
	s_cbranch_execz .LBB907_283
; %bb.282:                              ;   in Loop: Header=BB907_279 Depth=1
	s_wait_dscnt 0x0
	v_bcnt_u32_b32 v30, v30, v27
	ds_store_b32 v29, v30
.LBB907_283:                            ;   in Loop: Header=BB907_279 Depth=1
	s_or_b32 exec_lo, exec_lo, s14
	v_and_b32_e32 v30, 0xffff, v101
	; wave barrier
	s_delay_alu instid0(VALU_DEP_1) | instskip(NEXT) | instid1(VALU_DEP_1)
	v_lshrrev_b32_e32 v30, v10, v30
	v_and_b32_e32 v31, v30, v33
	s_delay_alu instid0(VALU_DEP_1) | instskip(SKIP_1) | instid1(VALU_DEP_2)
	v_lshlrev_b32_e32 v35, 30, v31
	v_bitop3_b32 v30, v30, 1, v33 bitop3:0x80
	v_cmp_gt_i32_e64 s15, 0, v35
	s_delay_alu instid0(VALU_DEP_2) | instskip(NEXT) | instid1(VALU_DEP_1)
	v_add_co_u32 v30, s14, v30, -1
	v_cndmask_b32_e64 v34, 0, 1, s14
	s_delay_alu instid0(VALU_DEP_1) | instskip(SKIP_1) | instid1(VALU_DEP_1)
	v_cmp_ne_u32_e64 s14, 0, v34
	v_not_b32_e32 v34, v35
	v_dual_ashrrev_i32 v34, 31, v34 :: v_dual_lshlrev_b32 v36, 29, v31
	v_dual_lshlrev_b32 v37, 28, v31 :: v_dual_lshlrev_b32 v38, 27, v31
	v_lshlrev_b32_e32 v39, 26, v31
	v_lshl_add_u32 v32, v31, 3, v71
	s_delay_alu instid0(VALU_DEP_4)
	v_cmp_gt_i32_e64 s16, 0, v36
	v_not_b32_e32 v35, v36
	v_not_b32_e32 v36, v37
	v_dual_lshlrev_b32 v48, 25, v31 :: v_dual_lshlrev_b32 v31, 24, v31
	v_cmp_gt_i32_e64 s17, 0, v37
	v_cmp_gt_i32_e64 s18, 0, v38
	v_not_b32_e32 v37, v38
	v_not_b32_e32 v38, v39
	v_dual_ashrrev_i32 v35, 31, v35 :: v_dual_bitop2_b32 v30, s14, v30 bitop3:0x14
	v_dual_ashrrev_i32 v36, 31, v36 :: v_dual_bitop2_b32 v34, s15, v34 bitop3:0x14
	v_cmp_gt_i32_e64 s19, 0, v39
	s_delay_alu instid0(VALU_DEP_4) | instskip(SKIP_1) | instid1(VALU_DEP_4)
	v_dual_ashrrev_i32 v37, 31, v37 :: v_dual_ashrrev_i32 v38, 31, v38
	v_not_b32_e32 v39, v31
	v_xor_b32_e32 v36, s17, v36
	v_bitop3_b32 v30, v30, v34, exec_lo bitop3:0x80
	v_not_b32_e32 v34, v48
	v_xor_b32_e32 v35, s16, v35
	v_xor_b32_e32 v38, s19, v38
	v_cmp_gt_i32_e64 s14, 0, v48
	v_cmp_gt_i32_e64 s15, 0, v31
	v_dual_ashrrev_i32 v34, 31, v34 :: v_dual_ashrrev_i32 v31, 31, v39
	v_bitop3_b32 v30, v30, v36, v35 bitop3:0x80
	v_lshl_add_u32 v32, v32, 2, v12
	v_xor_b32_e32 v37, s18, v37
	s_delay_alu instid0(VALU_DEP_4) | instskip(SKIP_1) | instid1(VALU_DEP_3)
	v_xor_b32_e32 v34, s14, v34
	v_xor_b32_e32 v31, s15, v31
	v_bitop3_b32 v35, v30, v38, v37 bitop3:0x80
	ds_load_b32 v30, v32 offset:32
	v_add_nc_u32_e32 v32, 32, v32
	; wave barrier
	v_bitop3_b32 v34, v35, v31, v34 bitop3:0x80
	s_delay_alu instid0(VALU_DEP_1) | instskip(SKIP_1) | instid1(VALU_DEP_2)
	v_mbcnt_lo_u32_b32 v31, v34, 0
	v_cmp_ne_u32_e64 s15, 0, v34
	v_cmp_eq_u32_e64 s14, 0, v31
	s_and_b32 s15, s15, s14
	s_delay_alu instid0(SALU_CYCLE_1)
	s_and_saveexec_b32 s14, s15
	s_cbranch_execz .LBB907_285
; %bb.284:                              ;   in Loop: Header=BB907_279 Depth=1
	s_wait_dscnt 0x0
	v_bcnt_u32_b32 v34, v34, v30
	ds_store_b32 v32, v34
.LBB907_285:                            ;   in Loop: Header=BB907_279 Depth=1
	s_or_b32 exec_lo, exec_lo, s14
	v_lshrrev_b32_e32 v103, 16, v101
	; wave barrier
	s_delay_alu instid0(VALU_DEP_1) | instskip(NEXT) | instid1(VALU_DEP_1)
	v_lshrrev_b32_e32 v34, v10, v103
	v_and_b32_e32 v35, v34, v33
	v_bitop3_b32 v33, v34, 1, v33 bitop3:0x80
	s_delay_alu instid0(VALU_DEP_2) | instskip(NEXT) | instid1(VALU_DEP_2)
	v_lshlrev_b32_e32 v37, 30, v35
	v_add_co_u32 v33, s14, v33, -1
	s_delay_alu instid0(VALU_DEP_1) | instskip(SKIP_1) | instid1(VALU_DEP_4)
	v_cndmask_b32_e64 v36, 0, 1, s14
	v_dual_lshlrev_b32 v38, 29, v35 :: v_dual_lshlrev_b32 v39, 28, v35
	v_cmp_gt_i32_e64 s15, 0, v37
	s_delay_alu instid0(VALU_DEP_3) | instskip(SKIP_1) | instid1(VALU_DEP_4)
	v_cmp_ne_u32_e64 s14, 0, v36
	v_not_b32_e32 v36, v37
	v_cmp_gt_i32_e64 s16, 0, v38
	v_not_b32_e32 v37, v38
	v_not_b32_e32 v38, v39
	v_cmp_gt_i32_e64 s17, 0, v39
	s_delay_alu instid0(VALU_DEP_3) | instskip(NEXT) | instid1(VALU_DEP_3)
	v_dual_ashrrev_i32 v36, 31, v36 :: v_dual_ashrrev_i32 v37, 31, v37
	v_dual_ashrrev_i32 v38, 31, v38 :: v_dual_lshlrev_b32 v48, 27, v35
	v_lshlrev_b32_e32 v49, 26, v35
	v_lshl_add_u32 v34, v35, 3, v71
	v_dual_lshlrev_b32 v50, 25, v35 :: v_dual_lshlrev_b32 v35, 24, v35
	s_delay_alu instid0(VALU_DEP_4)
	v_cmp_gt_i32_e64 s18, 0, v48
	v_not_b32_e32 v39, v48
	v_not_b32_e32 v48, v49
	v_xor_b32_e32 v33, s14, v33
	v_xor_b32_e32 v36, s15, v36
	v_cmp_gt_i32_e64 s19, 0, v49
	s_delay_alu instid0(VALU_DEP_4) | instskip(SKIP_1) | instid1(VALU_DEP_4)
	v_dual_ashrrev_i32 v39, 31, v39 :: v_dual_ashrrev_i32 v48, 31, v48
	v_xor_b32_e32 v37, s16, v37
	v_bitop3_b32 v33, v33, v36, exec_lo bitop3:0x80
	v_not_b32_e32 v36, v50
	v_xor_b32_e32 v38, s17, v38
	v_not_b32_e32 v49, v35
	v_xor_b32_e32 v39, s18, v39
	v_cmp_gt_i32_e64 s14, 0, v50
	v_ashrrev_i32_e32 v36, 31, v36
	v_bitop3_b32 v33, v33, v38, v37 bitop3:0x80
	v_cmp_gt_i32_e64 s15, 0, v35
	v_ashrrev_i32_e32 v35, 31, v49
	v_lshl_add_u32 v37, v34, 2, v12
	v_xor_b32_e32 v48, s19, v48
	v_xor_b32_e32 v36, s14, v36
	s_delay_alu instid0(VALU_DEP_4) | instskip(NEXT) | instid1(VALU_DEP_3)
	v_xor_b32_e32 v35, s15, v35
	v_bitop3_b32 v34, v33, v48, v39 bitop3:0x80
	ds_load_b32 v33, v37 offset:32
	; wave barrier
	v_bitop3_b32 v36, v34, v35, v36 bitop3:0x80
	v_add_nc_u32_e32 v35, 32, v37
	s_delay_alu instid0(VALU_DEP_2) | instskip(SKIP_1) | instid1(VALU_DEP_2)
	v_mbcnt_lo_u32_b32 v34, v36, 0
	v_cmp_ne_u32_e64 s15, 0, v36
	v_cmp_eq_u32_e64 s14, 0, v34
	s_and_b32 s15, s15, s14
	s_delay_alu instid0(SALU_CYCLE_1)
	s_and_saveexec_b32 s14, s15
	s_cbranch_execz .LBB907_287
; %bb.286:                              ;   in Loop: Header=BB907_279 Depth=1
	s_wait_dscnt 0x0
	v_bcnt_u32_b32 v36, v36, v33
	ds_store_b32 v35, v36
.LBB907_287:                            ;   in Loop: Header=BB907_279 Depth=1
	s_or_b32 exec_lo, exec_lo, s14
	; wave barrier
	s_wait_dscnt 0x0
	s_barrier_signal -1
	s_barrier_wait -1
	ds_load_b32 v37, v19
	ds_load_b32 v38, v21
	;; [unrolled: 1-line block ×8, first 2 shown]
	s_wait_dscnt 0x6
	v_add_nc_u32_e32 v52, v38, v37
	s_wait_dscnt 0x4
	s_delay_alu instid0(VALU_DEP_1) | instskip(SKIP_1) | instid1(VALU_DEP_1)
	v_add3_u32 v52, v52, v39, v48
	s_wait_dscnt 0x2
	v_add3_u32 v52, v52, v49, v50
	s_wait_dscnt 0x0
	s_delay_alu instid0(VALU_DEP_1) | instskip(NEXT) | instid1(VALU_DEP_1)
	v_add3_u32 v51, v52, v36, v51
	v_mov_b32_dpp v52, v51 row_shr:1 row_mask:0xf bank_mask:0xf
	s_delay_alu instid0(VALU_DEP_1) | instskip(NEXT) | instid1(VALU_DEP_1)
	v_cndmask_b32_e64 v52, v52, 0, vcc_lo
	v_add_nc_u32_e32 v51, v52, v51
	s_delay_alu instid0(VALU_DEP_1) | instskip(NEXT) | instid1(VALU_DEP_1)
	v_mov_b32_dpp v52, v51 row_shr:2 row_mask:0xf bank_mask:0xf
	v_cndmask_b32_e64 v52, 0, v52, s0
	s_delay_alu instid0(VALU_DEP_1) | instskip(NEXT) | instid1(VALU_DEP_1)
	v_add_nc_u32_e32 v51, v51, v52
	v_mov_b32_dpp v52, v51 row_shr:4 row_mask:0xf bank_mask:0xf
	s_delay_alu instid0(VALU_DEP_1) | instskip(NEXT) | instid1(VALU_DEP_1)
	v_cndmask_b32_e64 v52, 0, v52, s1
	v_add_nc_u32_e32 v51, v51, v52
	s_delay_alu instid0(VALU_DEP_1) | instskip(NEXT) | instid1(VALU_DEP_1)
	v_mov_b32_dpp v52, v51 row_shr:8 row_mask:0xf bank_mask:0xf
	v_cndmask_b32_e64 v52, 0, v52, s3
	s_delay_alu instid0(VALU_DEP_1) | instskip(SKIP_3) | instid1(VALU_DEP_1)
	v_add_nc_u32_e32 v51, v51, v52
	ds_swizzle_b32 v52, v51 offset:swizzle(BROADCAST,32,15)
	s_wait_dscnt 0x0
	v_cndmask_b32_e64 v52, v52, 0, s4
	v_add_nc_u32_e32 v51, v51, v52
	s_and_saveexec_b32 s14, s5
; %bb.288:                              ;   in Loop: Header=BB907_279 Depth=1
	ds_store_b32 v81, v51
; %bb.289:                              ;   in Loop: Header=BB907_279 Depth=1
	s_or_b32 exec_lo, exec_lo, s14
	s_wait_dscnt 0x0
	s_barrier_signal -1
	s_barrier_wait -1
	s_and_saveexec_b32 s14, s6
	s_cbranch_execz .LBB907_291
; %bb.290:                              ;   in Loop: Header=BB907_279 Depth=1
	ds_load_b32 v52, v82
	s_wait_dscnt 0x0
	v_mov_b32_dpp v53, v52 row_shr:1 row_mask:0xf bank_mask:0xf
	s_delay_alu instid0(VALU_DEP_1) | instskip(NEXT) | instid1(VALU_DEP_1)
	v_cndmask_b32_e64 v53, v53, 0, s11
	v_add_nc_u32_e32 v52, v53, v52
	s_delay_alu instid0(VALU_DEP_1) | instskip(NEXT) | instid1(VALU_DEP_1)
	v_mov_b32_dpp v53, v52 row_shr:2 row_mask:0xf bank_mask:0xf
	v_cndmask_b32_e64 v53, 0, v53, s12
	s_delay_alu instid0(VALU_DEP_1) | instskip(NEXT) | instid1(VALU_DEP_1)
	v_add_nc_u32_e32 v52, v52, v53
	v_mov_b32_dpp v53, v52 row_shr:4 row_mask:0xf bank_mask:0xf
	s_delay_alu instid0(VALU_DEP_1) | instskip(NEXT) | instid1(VALU_DEP_1)
	v_cndmask_b32_e64 v53, 0, v53, s13
	v_add_nc_u32_e32 v52, v52, v53
	ds_store_b32 v82, v52
.LBB907_291:                            ;   in Loop: Header=BB907_279 Depth=1
	s_or_b32 exec_lo, exec_lo, s14
	v_mov_b32_e32 v52, 0
	s_wait_dscnt 0x0
	s_barrier_signal -1
	s_barrier_wait -1
	s_and_saveexec_b32 s14, s7
; %bb.292:                              ;   in Loop: Header=BB907_279 Depth=1
	ds_load_b32 v52, v84
; %bb.293:                              ;   in Loop: Header=BB907_279 Depth=1
	s_or_b32 exec_lo, exec_lo, s14
	s_wait_dscnt 0x0
	v_add_nc_u32_e32 v51, v52, v51
	s_mov_b32 s16, -1
	s_mov_b32 s15, exec_lo
	v_add_nc_u32_e32 v10, 8, v10
	ds_bpermute_b32 v51, v80, v51
	s_wait_dscnt 0x0
	v_cndmask_b32_e64 v51, v51, v52, s2
	s_delay_alu instid0(VALU_DEP_1) | instskip(NEXT) | instid1(VALU_DEP_1)
	v_cndmask_b32_e64 v51, v51, 0, s10
	v_add_nc_u32_e32 v37, v51, v37
	s_delay_alu instid0(VALU_DEP_1) | instskip(NEXT) | instid1(VALU_DEP_1)
	v_add_nc_u32_e32 v38, v37, v38
	v_add_nc_u32_e32 v39, v38, v39
	s_delay_alu instid0(VALU_DEP_1) | instskip(NEXT) | instid1(VALU_DEP_1)
	v_add_nc_u32_e32 v48, v39, v48
	v_add_nc_u32_e32 v49, v48, v49
	s_delay_alu instid0(VALU_DEP_1)
	v_add_nc_u32_e32 v50, v49, v50
	ds_store_b32 v19, v51
	ds_store_b32 v21, v37
	;; [unrolled: 1-line block ×3, first 2 shown]
	v_dual_mov_b32 v37, v1 :: v_dual_add_nc_u32 v36, v50, v36
	ds_store_b32 v65, v39
	ds_store_b32 v67, v48
	;; [unrolled: 1-line block ×5, first 2 shown]
	s_wait_dscnt 0x0
	s_barrier_signal -1
	s_barrier_wait -1
	ds_load_b32 v26, v26
	ds_load_b32 v29, v29
	;; [unrolled: 1-line block ×4, first 2 shown]
	v_dual_mov_b32 v49, v1 :: v_dual_mov_b32 v39, v1
	s_wait_dscnt 0x0
	v_add_nc_u32_e32 v48, v26, v0
	v_add3_u32 v0, v28, v27, v29
	v_add3_u32 v38, v31, v30, v32
	;; [unrolled: 1-line block ×3, first 2 shown]
                                        ; implicit-def: $vgpr26_vgpr27
                                        ; implicit-def: $vgpr28_vgpr29
                                        ; implicit-def: $vgpr30_vgpr31
                                        ; implicit-def: $vgpr32_vgpr33
	s_delay_alu instid0(VALU_DEP_4) | instskip(NEXT) | instid1(VALU_DEP_4)
	v_lshl_add_u64 v[54:55], v[48:49], 1, v[12:13]
	v_lshl_add_u64 v[52:53], v[0:1], 1, v[12:13]
	s_delay_alu instid0(VALU_DEP_4) | instskip(NEXT) | instid1(VALU_DEP_3)
	v_lshl_add_u64 v[50:51], v[38:39], 1, v[12:13]
	v_mad_nc_u64_u32 v[34:35], v48, 6, v[54:55]
	v_mov_b32_e32 v55, v100
	v_lshl_add_u64 v[48:49], v[36:37], 1, v[12:13]
                                        ; implicit-def: $vgpr35
	v_cmpx_lt_u32_e64 v10, v11
	s_cbranch_execz .LBB907_278
; %bb.294:                              ;   in Loop: Header=BB907_279 Depth=1
	v_mad_nc_u64_u32 v[26:27], v0, 6, v[52:53]
	v_mad_nc_u64_u32 v[28:29], v38, 6, v[50:51]
	v_mad_nc_u64_u32 v[30:31], v36, 6, v[48:49]
	s_barrier_signal -1
	s_barrier_wait -1
	ds_store_b16 v54, v100
	ds_store_b16 v52, v102
	;; [unrolled: 1-line block ×4, first 2 shown]
	s_wait_dscnt 0x0
	s_barrier_signal -1
	s_barrier_wait -1
	ds_load_u16 v35, v66
	ds_load_u16 v37, v85
	;; [unrolled: 1-line block ×4, first 2 shown]
	s_wait_dscnt 0x0
	s_barrier_signal -1
	s_barrier_wait -1
	ds_store_b64 v34, v[14:15]
	ds_store_b64 v26, v[22:23]
	;; [unrolled: 1-line block ×4, first 2 shown]
	s_wait_dscnt 0x0
	s_barrier_signal -1
	s_barrier_wait -1
	ds_load_b64 v[26:27], v83
	ds_load_b64 v[28:29], v96
	;; [unrolled: 1-line block ×4, first 2 shown]
	v_add_nc_u32_e32 v99, -8, v99
	s_xor_b32 s16, exec_lo, -1
	s_wait_dscnt 0x0
	s_barrier_signal -1
	s_barrier_wait -1
	v_perm_b32 v100, v37, v35, 0x5040100
	v_perm_b32 v35, v112, v39, 0x5040100
	s_branch .LBB907_278
.LBB907_295:
	flat_load_b64 v[50:51], v[0:1]
	s_wait_xcnt 0x0
	s_or_b32 exec_lo, exec_lo, s7
                                        ; implicit-def: $vgpr52_vgpr53
	s_and_saveexec_b32 s7, s0
	s_cbranch_execz .LBB907_171
.LBB907_296:
	flat_load_b64 v[52:53], v[0:1] offset:256
	s_wait_xcnt 0x0
	s_or_b32 exec_lo, exec_lo, s7
                                        ; implicit-def: $vgpr64_vgpr65
	s_and_saveexec_b32 s0, s1
	s_cbranch_execz .LBB907_172
.LBB907_297:
	flat_load_b64 v[64:65], v[0:1] offset:512
	s_wait_xcnt 0x0
	s_or_b32 exec_lo, exec_lo, s0
                                        ; implicit-def: $vgpr34_vgpr35
	s_and_saveexec_b32 s0, s2
	s_cbranch_execz .LBB907_173
.LBB907_298:
	flat_load_b64 v[34:35], v[0:1] offset:768
	s_wait_xcnt 0x0
	s_or_b32 exec_lo, exec_lo, s0
                                        ; implicit-def: $vgpr36_vgpr37
	s_and_saveexec_b32 s0, s3
	s_cbranch_execz .LBB907_174
.LBB907_299:
	flat_load_b64 v[36:37], v[0:1] offset:1024
	s_wait_xcnt 0x0
	s_or_b32 exec_lo, exec_lo, s0
                                        ; implicit-def: $vgpr38_vgpr39
	s_and_saveexec_b32 s0, s4
	s_cbranch_execz .LBB907_175
.LBB907_300:
	flat_load_b64 v[38:39], v[0:1] offset:1280
	s_wait_xcnt 0x0
	s_or_b32 exec_lo, exec_lo, s0
                                        ; implicit-def: $vgpr48_vgpr49
	s_and_saveexec_b32 s0, s5
	s_cbranch_execz .LBB907_176
.LBB907_301:
	flat_load_b64 v[48:49], v[0:1] offset:1536
	s_wait_xcnt 0x0
	s_or_b32 exec_lo, exec_lo, s0
                                        ; implicit-def: $vgpr54_vgpr55
	s_and_saveexec_b32 s0, s6
	s_cbranch_execnz .LBB907_177
	s_branch .LBB907_178
.LBB907_302:
	flat_store_b64 v[0:1], v[22:23]
	s_wait_xcnt 0x0
	s_or_b32 exec_lo, exec_lo, s7
	s_and_saveexec_b32 s7, s0
	s_cbranch_execz .LBB907_254
.LBB907_303:
	flat_store_b64 v[0:1], v[24:25] offset:2048
	s_wait_xcnt 0x0
	s_or_b32 exec_lo, exec_lo, s7
	s_and_saveexec_b32 s0, s1
	s_cbranch_execz .LBB907_255
.LBB907_304:
	flat_store_b64 v[0:1], v[18:19] offset:4096
	s_wait_xcnt 0x0
	s_or_b32 exec_lo, exec_lo, s0
	s_and_saveexec_b32 s0, s2
	s_cbranch_execz .LBB907_256
.LBB907_305:
	flat_store_b64 v[0:1], v[20:21] offset:6144
	s_wait_xcnt 0x0
	s_or_b32 exec_lo, exec_lo, s0
	s_and_saveexec_b32 s0, s3
	s_cbranch_execz .LBB907_257
.LBB907_306:
	flat_store_b64 v[0:1], v[14:15] offset:8192
	s_wait_xcnt 0x0
	s_or_b32 exec_lo, exec_lo, s0
	s_and_saveexec_b32 s0, s4
	s_cbranch_execz .LBB907_258
.LBB907_307:
	flat_store_b64 v[0:1], v[16:17] offset:10240
	s_wait_xcnt 0x0
	s_or_b32 exec_lo, exec_lo, s0
	s_and_saveexec_b32 s0, s5
	s_cbranch_execz .LBB907_259
.LBB907_308:
	flat_store_b64 v[0:1], v[10:11] offset:12288
	s_wait_xcnt 0x0
	s_or_b32 exec_lo, exec_lo, s0
	s_and_saveexec_b32 s0, s6
	s_cbranch_execnz .LBB907_260
	s_branch .LBB907_261
.LBB907_309:
	s_or_b32 exec_lo, exec_lo, s24
	v_mad_nc_u64_u32 v[0:1], v0, 6, v[52:53]
	v_mad_nc_u64_u32 v[10:11], v38, 6, v[50:51]
	v_lshl_add_u32 v21, v18, 1, v12
	v_mad_nc_u64_u32 v[12:13], v36, 6, v[48:49]
	v_mul_u32_u24_e32 v1, 6, v18
	s_barrier_signal -1
	s_barrier_wait -1
	ds_store_b16 v54, v55
	ds_store_b16 v52, v102
	;; [unrolled: 1-line block ×4, first 2 shown]
	s_wait_dscnt 0x0
	s_barrier_signal -1
	s_barrier_wait -1
	ds_load_u16 v26, v21
	ds_load_u16 v19, v21 offset:512
	ds_load_u16 v5, v21 offset:1024
	ds_load_u16 v4, v21 offset:1536
	s_wait_dscnt 0x0
	s_barrier_signal -1
	s_barrier_wait -1
	ds_store_b64 v34, v[14:15]
	ds_store_b64 v0, v[22:23]
	;; [unrolled: 1-line block ×4, first 2 shown]
	v_dual_mov_b32 v21, 0 :: v_dual_add_nc_u32 v0, v21, v1
	s_wait_dscnt 0x0
	s_barrier_signal -1
	s_barrier_wait -1
	ds_load_2addr_stride64_b64 v[14:17], v0 offset1:4
	ds_load_2addr_stride64_b64 v[10:13], v0 offset0:8 offset1:12
	v_lshl_add_u64 v[0:1], v[8:9], 1, v[2:3]
	s_set_vgpr_msb 4                        ;  msbs: dst=0 src0=0 src1=1 src2=0
	v_cmp_lt_u32_e32 vcc_lo, v20, v12 /*v268*/
	s_wait_dscnt 0x0
	s_barrier_signal -1
	s_barrier_wait -1
	v_lshl_add_u64 v[0:1], v[20:21], 1, v[0:1]
	s_and_saveexec_b32 s0, vcc_lo
	s_set_vgpr_msb 0                        ;  msbs: dst=0 src0=0 src1=0 src2=0
	s_cbranch_execz .LBB907_311
; %bb.310:
	v_xor_b32_e32 v2, 0x7fff, v26
	flat_store_b16 v[0:1], v2
.LBB907_311:
	s_wait_xcnt 0x0
	s_or_b32 exec_lo, exec_lo, s0
	v_add_nc_u32_e32 v2, 0x100, v20
	s_set_vgpr_msb 4                        ;  msbs: dst=0 src0=0 src1=1 src2=0
	s_delay_alu instid0(VALU_DEP_1)
	v_cmp_lt_u32_e64 s0, v2, v12 /*v268*/
	s_and_saveexec_b32 s1, s0
	s_set_vgpr_msb 0                        ;  msbs: dst=0 src0=0 src1=0 src2=0
	s_cbranch_execz .LBB907_313
; %bb.312:
	v_xor_b32_e32 v2, 0x7fff, v19
	flat_store_b16 v[0:1], v2 offset:512
.LBB907_313:
	s_wait_xcnt 0x0
	s_or_b32 exec_lo, exec_lo, s1
	v_add_nc_u32_e32 v2, 0x200, v20
	s_set_vgpr_msb 4                        ;  msbs: dst=0 src0=0 src1=1 src2=0
	s_delay_alu instid0(VALU_DEP_1)
	v_cmp_lt_u32_e64 s1, v2, v12 /*v268*/
	s_and_saveexec_b32 s2, s1
	s_set_vgpr_msb 0                        ;  msbs: dst=0 src0=0 src1=0 src2=0
	s_cbranch_execz .LBB907_315
; %bb.314:
	v_xor_b32_e32 v2, 0x7fff, v5
	flat_store_b16 v[0:1], v2 offset:1024
.LBB907_315:
	;; [unrolled: 13-line block ×3, first 2 shown]
	s_wait_xcnt 0x0
	s_or_b32 exec_lo, exec_lo, s3
	v_lshl_add_u64 v[0:1], v[8:9], 3, v[6:7]
	s_delay_alu instid0(VALU_DEP_1)
	v_lshl_add_u64 v[0:1], v[20:21], 3, v[0:1]
	s_and_saveexec_b32 s3, vcc_lo
	s_cbranch_execnz .LBB907_350
; %bb.318:
	s_or_b32 exec_lo, exec_lo, s3
	s_and_saveexec_b32 s3, s0
	s_cbranch_execnz .LBB907_351
.LBB907_319:
	s_or_b32 exec_lo, exec_lo, s3
	s_and_saveexec_b32 s0, s1
	s_cbranch_execnz .LBB907_352
.LBB907_320:
	s_or_b32 exec_lo, exec_lo, s0
	s_and_saveexec_b32 s0, s2
	s_cbranch_execz .LBB907_322
.LBB907_321:
	flat_store_b64 v[0:1], v[12:13] offset:6144
.LBB907_322:
	s_wait_xcnt 0x0
	s_or_b32 exec_lo, exec_lo, s0
                                        ; implicit-def: $vgpr268
                                        ; implicit-def: $vgpr8
                                        ; implicit-def: $vgpr10
                                        ; implicit-def: $vgpr11
                                        ; implicit-def: $vgpr0_vgpr1
                                        ; implicit-def: $vgpr2_vgpr3
                                        ; implicit-def: $vgpr4_vgpr5
                                        ; implicit-def: $vgpr6_vgpr7
                                        ; implicit-def: $vgpr12_vgpr13
                                        ; implicit-def: $vgpr9
                                        ; implicit-def: $vgpr14
                                        ; implicit-def: $vgpr18
                                        ; implicit-def: $vgpr66
.LBB907_323:
	s_and_not1_saveexec_b32 s0, s22
	s_cbranch_execz .LBB907_382
; %bb.324:
	s_load_b64 s[0:1], s[8:9], 0x0
	s_bfe_u32 s3, ttmp6, 0x4000c
	s_bfe_u32 s5, ttmp6, 0x40010
	s_and_b32 s4, ttmp7, 0xffff
	s_add_co_i32 s3, s3, 1
	s_add_co_i32 s5, s5, 1
	s_and_b32 s2, ttmp6, 15
	s_bfe_u32 s6, ttmp6, 0x40004
	s_mul_i32 s3, ttmp9, s3
	s_mul_i32 s5, s4, s5
	s_add_co_i32 s2, s2, s3
	s_add_co_i32 s6, s6, s5
	s_cmp_eq_u32 s21, 0
	s_cselect_b32 s2, ttmp9, s2
	s_cselect_b32 s3, s4, s6
	s_wait_kmcnt 0x0
	s_cmp_lt_u32 s2, s0
	s_cselect_b32 s0, 12, 18
	s_cmp_lt_u32 s3, s1
	s_mov_b32 s1, 0
	s_cselect_b32 s2, 14, 20
	s_mov_b32 s3, s1
	s_add_nc_u64 s[0:1], s[8:9], s[0:1]
	s_add_nc_u64 s[2:3], s[8:9], s[2:3]
	s_clause 0x1
	s_load_u16 s0, s[0:1], 0x0
	s_nop 0
	s_load_u16 s2, s[2:3], 0x0
	s_wait_kmcnt 0x0
	v_mad_u32_u24 v9, v14, s2, v9
	s_delay_alu instid0(VALU_DEP_1)
	v_mad_u32 v14, v9, s0, v18
	v_mov_b32_e32 v9, 0
	s_mov_b32 s0, exec_lo
	s_set_vgpr_msb 4                        ;  msbs: dst=0 src0=0 src1=1 src2=0
	v_cmpx_lt_u32_e32 0x100, v12 /*v268*/
	s_xor_b32 s18, exec_lo, s0
	s_set_vgpr_msb 0                        ;  msbs: dst=0 src0=0 src1=0 src2=0
	s_cbranch_execz .LBB907_362
; %bb.325:
	v_lshl_add_u64 v[16:17], v[8:9], 1, v[0:1]
	s_delay_alu instid0(VALU_DEP_4) | instskip(SKIP_2) | instid1(VALU_DEP_3)
	v_dual_mov_b32 v21, v9 :: v_dual_lshlrev_b32 v0, 1, v14
	v_dual_mov_b32 v1, v9 :: v_dual_lshlrev_b32 v20, 1, v66
	v_mov_b32_e32 v15, 0x80008000
	v_and_b32_e32 v0, 0xffffffc0, v0
	s_delay_alu instid0(VALU_DEP_3) | instskip(NEXT) | instid1(VALU_DEP_2)
	v_add_nc_u64_e32 v[16:17], v[16:17], v[20:21]
	v_or_b32_e32 v19, v66, v0
	s_delay_alu instid0(VALU_DEP_2) | instskip(SKIP_1) | instid1(VALU_DEP_2)
	v_lshl_add_u64 v[16:17], v[0:1], 1, v[16:17]
	s_set_vgpr_msb 4                        ;  msbs: dst=0 src0=0 src1=1 src2=0
	v_cmp_lt_u32_e32 vcc_lo, v19, v12 /*v268*/
	s_and_saveexec_b32 s0, vcc_lo
	s_set_vgpr_msb 0                        ;  msbs: dst=0 src0=0 src1=0 src2=0
	s_cbranch_execz .LBB907_327
; %bb.326:
	flat_load_u16 v15, v[16:17]
	s_movk_i32 s1, 0x8000
	s_wait_loadcnt_dscnt 0x0
	v_perm_b32 v15, s1, v15, 0x5040100
.LBB907_327:
	s_wait_xcnt 0x0
	s_or_b32 exec_lo, exec_lo, s0
	v_or_b32_e32 v19, 32, v19
	s_set_vgpr_msb 4                        ;  msbs: dst=0 src0=0 src1=1 src2=0
	s_delay_alu instid0(VALU_DEP_1)
	v_cmp_lt_u32_e64 s0, v19, v12 /*v268*/
	s_and_saveexec_b32 s1, s0
	s_set_vgpr_msb 0                        ;  msbs: dst=0 src0=0 src1=0 src2=0
	s_cbranch_execz .LBB907_329
; %bb.328:
	flat_load_u16 v16, v[16:17] offset:64
	s_wait_loadcnt_dscnt 0x0
	v_perm_b32 v15, v16, v15, 0x5040100
.LBB907_329:
	s_wait_xcnt 0x0
	s_or_b32 exec_lo, exec_lo, s1
	v_lshl_add_u64 v[4:5], v[8:9], 3, v[4:5]
	v_dual_mov_b32 v17, 0 :: v_dual_lshlrev_b32 v16, 3, v66
	v_mov_b64_e32 v[24:25], 0
	v_mov_b64_e32 v[22:23], 0
	s_delay_alu instid0(VALU_DEP_3) | instskip(NEXT) | instid1(VALU_DEP_1)
	v_add_nc_u64_e32 v[4:5], v[4:5], v[16:17]
	v_lshl_add_u64 v[0:1], v[0:1], 3, v[4:5]
	s_and_saveexec_b32 s1, vcc_lo
	s_cbranch_execz .LBB907_331
; %bb.330:
	flat_load_b64 v[22:23], v[0:1]
.LBB907_331:
	s_wait_xcnt 0x0
	s_or_b32 exec_lo, exec_lo, s1
	s_and_saveexec_b32 s1, s0
	s_cbranch_execz .LBB907_333
; %bb.332:
	flat_load_b64 v[24:25], v[0:1] offset:256
.LBB907_333:
	s_wait_xcnt 0x0
	s_or_b32 exec_lo, exec_lo, s1
	v_lshl_add_u32 v0, v18, 5, v12
	v_and_b32_e32 v4, 15, v66
	s_get_pc_i64 s[0:1]
	s_add_nc_u64 s[0:1], s[0:1], _ZN7rocprim17ROCPRIM_400000_NS16block_radix_sortIsLj256ELj2ElLj1ELj1ELj8ELNS0_26block_radix_rank_algorithmE2ELNS0_18block_padding_hintE2ELNS0_4arch9wavefront6targetE0EE19radix_bits_per_passE@rel64+4
	v_and_b32_e32 v1, 0x3e0, v18
	s_load_b32 s19, s[0:1], 0x0
	v_add_nc_u32_e32 v38, 56, v0
	v_cmp_eq_u32_e32 vcc_lo, 0, v4
	s_wait_xcnt 0x0
	v_cmp_lt_u32_e64 s0, 1, v4
	v_cmp_lt_u32_e64 s1, 3, v4
	;; [unrolled: 1-line block ×3, first 2 shown]
	v_sub_co_u32 v4, s3, v66, 1
	v_xor_b32_e32 v39, 0x7fff7fff, v15
	v_dual_add_nc_u32 v15, 32, v0 :: v_dual_add_nc_u32 v19, 36, v0
	v_dual_add_nc_u32 v34, 40, v0 :: v_dual_add_nc_u32 v35, 44, v0
	;; [unrolled: 1-line block ×3, first 2 shown]
	v_dual_add_nc_u32 v48, 60, v0 :: v_dual_lshrrev_b32 v49, 5, v14
	v_min_u32_e32 v0, 0xe0, v1
	v_cmp_gt_i32_e64 s6, 0, v4
	v_and_b32_e32 v1, 16, v66
	v_cmp_lt_u32_e64 s7, 31, v18
	v_cmp_eq_u32_e64 s8, 0, v18
	s_delay_alu instid0(VALU_DEP_4) | instskip(NEXT) | instid1(VALU_DEP_4)
	v_dual_cndmask_b32 v4, v4, v66, s6 :: v_dual_bitop2_b32 v0, 31, v0 bitop3:0x54
	v_cmp_eq_u32_e64 s4, 0, v1
	v_lshlrev_b32_e32 v1, 1, v18
	v_cmp_gt_u32_e64 s6, 8, v18
	s_delay_alu instid0(VALU_DEP_4) | instskip(SKIP_1) | instid1(VALU_DEP_4)
	v_cmp_eq_u32_e64 s5, v18, v0
	v_dual_lshrrev_b32 v0, 3, v18 :: v_dual_lshlrev_b32 v50, 2, v4
	v_and_or_b32 v1, 0x7c0, v1, v66
	v_lshl_add_u32 v53, v18, 2, v12
	s_mov_b32 s21, 0
	s_delay_alu instid0(VALU_DEP_3)
	v_and_b32_e32 v0, 0x7c, v0
	s_wait_storecnt 0x0
	s_wait_loadcnt_dscnt 0x0
	v_lshl_add_u32 v52, v1, 1, v12
	v_mul_u32_u24_e32 v4, 6, v1
	v_dual_mov_b32 v1, 0 :: v_dual_add_nc_u32 v51, v12, v0
	s_delay_alu instid0(VALU_DEP_3) | instskip(NEXT) | instid1(VALU_DEP_3)
	v_dual_add_nc_u32 v64, 64, v52 :: v_dual_bitop2_b32 v0, 7, v66 bitop3:0x40
	v_add_nc_u32_e32 v54, v52, v4
	v_mov_b64_e32 v[4:5], 0
	s_delay_alu instid0(VALU_DEP_4) | instskip(NEXT) | instid1(VALU_DEP_4)
	v_add_nc_u32_e32 v55, -4, v51
	v_cmp_eq_u32_e64 s9, 0, v0
	v_cmp_lt_u32_e64 s10, 1, v0
	v_cmp_lt_u32_e64 s11, 3, v0
	v_add_nc_u32_e32 v65, 0x100, v54
	v_sub_nc_u32_e32 v66, v11, v10
	s_barrier_signal -1
	s_barrier_wait -1
	s_branch .LBB907_335
.LBB907_334:                            ;   in Loop: Header=BB907_335 Depth=1
	s_or_b32 exec_lo, exec_lo, s13
	s_delay_alu instid0(SALU_CYCLE_1) | instskip(NEXT) | instid1(SALU_CYCLE_1)
	s_and_b32 s12, exec_lo, s14
	s_or_b32 s21, s12, s21
	s_delay_alu instid0(SALU_CYCLE_1)
	s_and_not1_b32 exec_lo, exec_lo, s21
	s_cbranch_execz .LBB907_353
.LBB907_335:                            ; =>This Inner Loop Header: Depth=1
	s_wait_kmcnt 0x0
	v_min_u32_e32 v0, s19, v66
	v_and_b32_e32 v16, 0xffff, v39
	ds_store_b64 v15, v[4:5]
	ds_store_b64 v34, v[4:5]
	;; [unrolled: 1-line block ×4, first 2 shown]
	s_wait_dscnt 0x0
	v_lshlrev_b32_e64 v26, v0, -1
	v_lshrrev_b32_e32 v0, v10, v16
	s_barrier_signal -1
	s_barrier_wait -1
	s_delay_alu instid0(VALU_DEP_1) | instskip(SKIP_1) | instid1(VALU_DEP_2)
	v_bitop3_b32 v16, v0, 1, v26 bitop3:0x40
	v_bitop3_b32 v0, v0, v26, v0 bitop3:0x30
	; wave barrier
	v_add_co_u32 v16, s12, v16, -1
	s_delay_alu instid0(VALU_DEP_1) | instskip(NEXT) | instid1(VALU_DEP_3)
	v_cndmask_b32_e64 v17, 0, 1, s12
	v_dual_lshlrev_b32 v20, 30, v0 :: v_dual_lshlrev_b32 v21, 29, v0
	v_dual_lshlrev_b32 v27, 28, v0 :: v_dual_lshlrev_b32 v28, 27, v0
	s_delay_alu instid0(VALU_DEP_3) | instskip(NEXT) | instid1(VALU_DEP_3)
	v_cmp_ne_u32_e64 s12, 0, v17
	v_not_b32_e32 v17, v20
	v_dual_lshlrev_b32 v29, 26, v0 :: v_dual_lshlrev_b32 v30, 25, v0
	v_cmp_gt_i32_e64 s13, 0, v20
	v_cmp_gt_i32_e64 s14, 0, v21
	v_not_b32_e32 v20, v21
	v_not_b32_e32 v21, v27
	v_dual_ashrrev_i32 v17, 31, v17 :: v_dual_lshlrev_b32 v31, 24, v0
	v_cmp_gt_i32_e64 s15, 0, v27
	v_cmp_gt_i32_e64 s16, 0, v28
	v_not_b32_e32 v27, v28
	v_xor_b32_e32 v16, s12, v16
	v_dual_ashrrev_i32 v20, 31, v20 :: v_dual_bitop2_b32 v17, s13, v17 bitop3:0x14
	v_ashrrev_i32_e32 v21, 31, v21
	v_not_b32_e32 v28, v29
	v_cmp_gt_i32_e64 s17, 0, v29
	v_ashrrev_i32_e32 v27, 31, v27
	v_bitop3_b32 v16, v16, v17, exec_lo bitop3:0x80
	s_delay_alu instid0(VALU_DEP_4)
	v_dual_ashrrev_i32 v17, 31, v28 :: v_dual_bitop2_b32 v21, s15, v21 bitop3:0x14
	v_not_b32_e32 v28, v30
	v_not_b32_e32 v29, v31
	v_xor_b32_e32 v20, s14, v20
	v_xor_b32_e32 v27, s16, v27
	v_dual_lshlrev_b32 v0, 3, v0 :: v_dual_bitop2_b32 v17, s17, v17 bitop3:0x14
	v_cmp_gt_i32_e64 s12, 0, v30
	s_delay_alu instid0(VALU_DEP_4)
	v_bitop3_b32 v16, v16, v21, v20 bitop3:0x80
	v_ashrrev_i32_e32 v20, 31, v28
	v_cmp_gt_i32_e64 s13, 0, v31
	v_ashrrev_i32_e32 v21, 31, v29
	v_add_lshl_u32 v0, v0, v49, 2
	v_bitop3_b32 v27, v16, v17, v27 bitop3:0x80
	v_xor_b32_e32 v20, s12, v20
	v_mov_b64_e32 v[16:17], v[24:25]
	v_xor_b32_e32 v21, s13, v21
	s_delay_alu instid0(VALU_DEP_1) | instskip(SKIP_2) | instid1(VALU_DEP_3)
	v_bitop3_b32 v24, v27, v21, v20 bitop3:0x80
	v_mov_b64_e32 v[20:21], v[22:23]
	v_add_nc_u64_e32 v[22:23], v[12:13], v[0:1]
	v_mbcnt_lo_u32_b32 v0, v24, 0
	v_cmp_ne_u32_e64 s13, 0, v24
	s_delay_alu instid0(VALU_DEP_3) | instskip(NEXT) | instid1(VALU_DEP_3)
	v_add_nc_u64_e32 v[22:23], 32, v[22:23]
	v_cmp_eq_u32_e64 s12, 0, v0
	s_and_b32 s13, s13, s12
	s_delay_alu instid0(SALU_CYCLE_1)
	s_and_saveexec_b32 s12, s13
; %bb.336:                              ;   in Loop: Header=BB907_335 Depth=1
	v_bcnt_u32_b32 v23, v24, 0
	ds_store_b32 v22, v23
; %bb.337:                              ;   in Loop: Header=BB907_335 Depth=1
	s_or_b32 exec_lo, exec_lo, s12
	v_lshrrev_b32_e32 v67, 16, v39
	v_not_b32_e32 v23, v26
	; wave barrier
	s_delay_alu instid0(VALU_DEP_2) | instskip(NEXT) | instid1(VALU_DEP_1)
	v_lshrrev_b32_e32 v24, v10, v67
	v_and_b32_e32 v25, v24, v23
	s_delay_alu instid0(VALU_DEP_1) | instskip(SKIP_2) | instid1(VALU_DEP_3)
	v_lshlrev_b32_e32 v28, 29, v25
	v_bitop3_b32 v23, v24, 1, v23 bitop3:0x80
	v_lshlrev_b32_e32 v27, 30, v25
	v_cmp_gt_i32_e64 s14, 0, v28
	s_delay_alu instid0(VALU_DEP_3) | instskip(NEXT) | instid1(VALU_DEP_1)
	v_add_co_u32 v23, s12, v23, -1
	v_cndmask_b32_e64 v26, 0, 1, s12
	s_delay_alu instid0(VALU_DEP_4) | instskip(NEXT) | instid1(VALU_DEP_2)
	v_cmp_gt_i32_e64 s13, 0, v27
	v_cmp_ne_u32_e64 s12, 0, v26
	v_not_b32_e32 v26, v27
	v_not_b32_e32 v27, v28
	s_delay_alu instid0(VALU_DEP_2) | instskip(SKIP_3) | instid1(VALU_DEP_3)
	v_dual_ashrrev_i32 v26, 31, v26 :: v_dual_bitop2_b32 v23, s12, v23 bitop3:0x14
	v_dual_lshlrev_b32 v29, 28, v25 :: v_dual_lshlrev_b32 v30, 27, v25
	v_dual_lshlrev_b32 v31, 26, v25 :: v_dual_lshlrev_b32 v32, 25, v25
	v_lshl_add_u32 v24, v25, 3, v49
	v_not_b32_e32 v28, v29
	v_lshlrev_b32_e32 v25, 24, v25
	v_cmp_gt_i32_e64 s15, 0, v29
	v_cmp_gt_i32_e64 s16, 0, v30
	v_not_b32_e32 v29, v30
	v_dual_ashrrev_i32 v27, 31, v27 :: v_dual_ashrrev_i32 v28, 31, v28
	v_xor_b32_e32 v26, s13, v26
	v_not_b32_e32 v30, v31
	v_cmp_gt_i32_e64 s17, 0, v31
	s_delay_alu instid0(VALU_DEP_4) | instskip(NEXT) | instid1(VALU_DEP_4)
	v_dual_ashrrev_i32 v29, 31, v29 :: v_dual_bitop2_b32 v27, s14, v27 bitop3:0x14
	v_bitop3_b32 v23, v23, v26, exec_lo bitop3:0x80
	s_delay_alu instid0(VALU_DEP_4)
	v_ashrrev_i32_e32 v26, 31, v30
	v_not_b32_e32 v30, v32
	v_xor_b32_e32 v28, s15, v28
	v_not_b32_e32 v31, v25
	v_xor_b32_e32 v29, s16, v29
	v_cmp_gt_i32_e64 s12, 0, v32
	v_cmp_gt_i32_e64 s13, 0, v25
	v_bitop3_b32 v23, v23, v28, v27 bitop3:0x80
	v_dual_ashrrev_i32 v27, 31, v30 :: v_dual_ashrrev_i32 v25, 31, v31
	v_lshl_add_u32 v28, v24, 2, v12
	v_xor_b32_e32 v26, s17, v26
	s_delay_alu instid0(VALU_DEP_3) | instskip(NEXT) | instid1(VALU_DEP_2)
	v_xor_b32_e32 v25, s13, v25
	v_bitop3_b32 v24, v23, v26, v29 bitop3:0x80
	v_xor_b32_e32 v26, s12, v27
	ds_load_b32 v23, v28 offset:32
	; wave barrier
	v_bitop3_b32 v26, v24, v25, v26 bitop3:0x80
	v_add_nc_u32_e32 v25, 32, v28
	s_delay_alu instid0(VALU_DEP_2) | instskip(SKIP_1) | instid1(VALU_DEP_2)
	v_mbcnt_lo_u32_b32 v24, v26, 0
	v_cmp_ne_u32_e64 s13, 0, v26
	v_cmp_eq_u32_e64 s12, 0, v24
	s_and_b32 s13, s13, s12
	s_delay_alu instid0(SALU_CYCLE_1)
	s_and_saveexec_b32 s12, s13
	s_cbranch_execz .LBB907_339
; %bb.338:                              ;   in Loop: Header=BB907_335 Depth=1
	s_wait_dscnt 0x0
	v_bcnt_u32_b32 v26, v26, v23
	ds_store_b32 v25, v26
.LBB907_339:                            ;   in Loop: Header=BB907_335 Depth=1
	s_or_b32 exec_lo, exec_lo, s12
	; wave barrier
	s_wait_dscnt 0x0
	s_barrier_signal -1
	s_barrier_wait -1
	ds_load_b32 v27, v15
	ds_load_b32 v28, v19
	;; [unrolled: 1-line block ×8, first 2 shown]
	s_wait_dscnt 0x6
	v_add_nc_u32_e32 v68, v28, v27
	s_wait_dscnt 0x4
	s_delay_alu instid0(VALU_DEP_1) | instskip(SKIP_1) | instid1(VALU_DEP_1)
	v_add3_u32 v68, v68, v29, v30
	s_wait_dscnt 0x2
	v_add3_u32 v68, v68, v31, v32
	s_wait_dscnt 0x0
	s_delay_alu instid0(VALU_DEP_1) | instskip(NEXT) | instid1(VALU_DEP_1)
	v_add3_u32 v33, v68, v26, v33
	v_mov_b32_dpp v68, v33 row_shr:1 row_mask:0xf bank_mask:0xf
	s_delay_alu instid0(VALU_DEP_1) | instskip(NEXT) | instid1(VALU_DEP_1)
	v_cndmask_b32_e64 v68, v68, 0, vcc_lo
	v_add_nc_u32_e32 v33, v68, v33
	s_delay_alu instid0(VALU_DEP_1) | instskip(NEXT) | instid1(VALU_DEP_1)
	v_mov_b32_dpp v68, v33 row_shr:2 row_mask:0xf bank_mask:0xf
	v_cndmask_b32_e64 v68, 0, v68, s0
	s_delay_alu instid0(VALU_DEP_1) | instskip(NEXT) | instid1(VALU_DEP_1)
	v_add_nc_u32_e32 v33, v33, v68
	v_mov_b32_dpp v68, v33 row_shr:4 row_mask:0xf bank_mask:0xf
	s_delay_alu instid0(VALU_DEP_1) | instskip(NEXT) | instid1(VALU_DEP_1)
	v_cndmask_b32_e64 v68, 0, v68, s1
	v_add_nc_u32_e32 v33, v33, v68
	s_delay_alu instid0(VALU_DEP_1) | instskip(NEXT) | instid1(VALU_DEP_1)
	v_mov_b32_dpp v68, v33 row_shr:8 row_mask:0xf bank_mask:0xf
	v_cndmask_b32_e64 v68, 0, v68, s2
	s_delay_alu instid0(VALU_DEP_1) | instskip(SKIP_3) | instid1(VALU_DEP_1)
	v_add_nc_u32_e32 v33, v33, v68
	ds_swizzle_b32 v68, v33 offset:swizzle(BROADCAST,32,15)
	s_wait_dscnt 0x0
	v_cndmask_b32_e64 v68, v68, 0, s4
	v_add_nc_u32_e32 v33, v33, v68
	s_and_saveexec_b32 s12, s5
; %bb.340:                              ;   in Loop: Header=BB907_335 Depth=1
	ds_store_b32 v51, v33
; %bb.341:                              ;   in Loop: Header=BB907_335 Depth=1
	s_or_b32 exec_lo, exec_lo, s12
	s_wait_dscnt 0x0
	s_barrier_signal -1
	s_barrier_wait -1
	s_and_saveexec_b32 s12, s6
	s_cbranch_execz .LBB907_343
; %bb.342:                              ;   in Loop: Header=BB907_335 Depth=1
	ds_load_b32 v68, v53
	s_wait_dscnt 0x0
	v_mov_b32_dpp v69, v68 row_shr:1 row_mask:0xf bank_mask:0xf
	s_delay_alu instid0(VALU_DEP_1) | instskip(NEXT) | instid1(VALU_DEP_1)
	v_cndmask_b32_e64 v69, v69, 0, s9
	v_add_nc_u32_e32 v68, v69, v68
	s_delay_alu instid0(VALU_DEP_1) | instskip(NEXT) | instid1(VALU_DEP_1)
	v_mov_b32_dpp v69, v68 row_shr:2 row_mask:0xf bank_mask:0xf
	v_cndmask_b32_e64 v69, 0, v69, s10
	s_delay_alu instid0(VALU_DEP_1) | instskip(NEXT) | instid1(VALU_DEP_1)
	v_add_nc_u32_e32 v68, v68, v69
	v_mov_b32_dpp v69, v68 row_shr:4 row_mask:0xf bank_mask:0xf
	s_delay_alu instid0(VALU_DEP_1) | instskip(NEXT) | instid1(VALU_DEP_1)
	v_cndmask_b32_e64 v69, 0, v69, s11
	v_add_nc_u32_e32 v68, v68, v69
	ds_store_b32 v53, v68
.LBB907_343:                            ;   in Loop: Header=BB907_335 Depth=1
	s_or_b32 exec_lo, exec_lo, s12
	v_mov_b32_e32 v68, 0
	s_wait_dscnt 0x0
	s_barrier_signal -1
	s_barrier_wait -1
	s_and_saveexec_b32 s12, s7
; %bb.344:                              ;   in Loop: Header=BB907_335 Depth=1
	ds_load_b32 v68, v55
; %bb.345:                              ;   in Loop: Header=BB907_335 Depth=1
	s_or_b32 exec_lo, exec_lo, s12
	s_wait_dscnt 0x0
	v_add_nc_u32_e32 v33, v68, v33
	s_mov_b32 s14, -1
	s_mov_b32 s13, exec_lo
	v_add_nc_u32_e32 v10, 8, v10
	ds_bpermute_b32 v33, v50, v33
	s_wait_dscnt 0x0
	v_cndmask_b32_e64 v33, v33, v68, s3
	s_delay_alu instid0(VALU_DEP_1) | instskip(NEXT) | instid1(VALU_DEP_1)
	v_cndmask_b32_e64 v33, v33, 0, s8
	v_add_nc_u32_e32 v27, v33, v27
	s_delay_alu instid0(VALU_DEP_1) | instskip(NEXT) | instid1(VALU_DEP_1)
	v_add_nc_u32_e32 v28, v27, v28
	v_add_nc_u32_e32 v29, v28, v29
	s_delay_alu instid0(VALU_DEP_1) | instskip(NEXT) | instid1(VALU_DEP_1)
	v_add_nc_u32_e32 v30, v29, v30
	v_add_nc_u32_e32 v31, v30, v31
	s_delay_alu instid0(VALU_DEP_1)
	v_add_nc_u32_e32 v32, v31, v32
	ds_store_b32 v15, v33
	ds_store_b32 v19, v27
	;; [unrolled: 1-line block ×3, first 2 shown]
	v_add_nc_u32_e32 v26, v32, v26
	ds_store_b32 v35, v29
	ds_store_b32 v36, v30
	;; [unrolled: 1-line block ×5, first 2 shown]
	s_wait_dscnt 0x0
	s_barrier_signal -1
	s_barrier_wait -1
	ds_load_b32 v22, v22
	ds_load_b32 v26, v25
	v_mov_b32_e32 v25, v1
	s_wait_dscnt 0x0
	v_add_nc_u32_e32 v0, v22, v0
	v_add3_u32 v24, v24, v23, v26
                                        ; implicit-def: $vgpr22_vgpr23
	s_delay_alu instid0(VALU_DEP_2) | instskip(NEXT) | instid1(VALU_DEP_2)
	v_lshl_add_u64 v[30:31], v[0:1], 1, v[12:13]
	v_lshl_add_u64 v[32:33], v[24:25], 1, v[12:13]
	s_delay_alu instid0(VALU_DEP_2) | instskip(NEXT) | instid1(VALU_DEP_2)
	v_mad_nc_u64_u32 v[26:27], v0, 6, v[30:31]
	v_mad_nc_u64_u32 v[28:29], v24, 6, v[32:33]
	v_mov_b32_e32 v0, v39
                                        ; implicit-def: $vgpr24_vgpr25
	v_cmpx_lt_u32_e64 v10, v11
	s_cbranch_execz .LBB907_334
; %bb.346:                              ;   in Loop: Header=BB907_335 Depth=1
	s_barrier_signal -1
	s_barrier_wait -1
	ds_store_b16 v30, v39
	ds_store_b16 v32, v67
	s_wait_dscnt 0x0
	s_barrier_signal -1
	s_barrier_wait -1
	ds_load_u16 v27, v52
	ds_load_u16 v29, v64
	s_wait_dscnt 0x0
	s_barrier_signal -1
	s_barrier_wait -1
	ds_store_b64 v26, v[20:21]
	ds_store_b64 v28, v[16:17]
	s_wait_dscnt 0x0
	s_barrier_signal -1
	s_barrier_wait -1
	ds_load_b64 v[22:23], v54
	ds_load_b64 v[24:25], v65
	v_add_nc_u32_e32 v66, -8, v66
	s_xor_b32 s14, exec_lo, -1
	s_wait_dscnt 0x0
	s_barrier_signal -1
	s_barrier_wait -1
	v_perm_b32 v39, v29, v27, 0x5040100
	s_branch .LBB907_334
.LBB907_347:
	flat_load_b64 v[26:27], v[4:5]
	s_wait_xcnt 0x0
	s_or_b32 exec_lo, exec_lo, s3
                                        ; implicit-def: $vgpr28_vgpr29
	s_and_saveexec_b32 s3, s0
	s_cbranch_execz .LBB907_274
.LBB907_348:
	flat_load_b64 v[28:29], v[4:5] offset:256
	s_wait_xcnt 0x0
	s_or_b32 exec_lo, exec_lo, s3
                                        ; implicit-def: $vgpr30_vgpr31
	s_and_saveexec_b32 s0, s1
	s_cbranch_execz .LBB907_275
.LBB907_349:
	flat_load_b64 v[30:31], v[4:5] offset:512
	s_wait_xcnt 0x0
	s_or_b32 exec_lo, exec_lo, s0
                                        ; implicit-def: $vgpr32_vgpr33
	s_and_saveexec_b32 s0, s2
	s_cbranch_execnz .LBB907_276
	s_branch .LBB907_277
.LBB907_350:
	flat_store_b64 v[0:1], v[14:15]
	s_wait_xcnt 0x0
	s_or_b32 exec_lo, exec_lo, s3
	s_and_saveexec_b32 s3, s0
	s_cbranch_execz .LBB907_319
.LBB907_351:
	flat_store_b64 v[0:1], v[16:17] offset:2048
	s_wait_xcnt 0x0
	s_or_b32 exec_lo, exec_lo, s3
	s_and_saveexec_b32 s0, s1
	s_cbranch_execz .LBB907_320
.LBB907_352:
	flat_store_b64 v[0:1], v[10:11] offset:4096
	s_wait_xcnt 0x0
	s_or_b32 exec_lo, exec_lo, s0
	s_and_saveexec_b32 s0, s2
	s_cbranch_execnz .LBB907_321
	s_branch .LBB907_322
.LBB907_353:
	s_or_b32 exec_lo, exec_lo, s21
	s_barrier_signal -1
	s_barrier_wait -1
	ds_store_b16 v30, v0
	ds_store_b16 v32, v67
	v_lshl_add_u32 v0, v18, 1, v12
	v_mul_u32_u24_e32 v1, 6, v18
	s_wait_dscnt 0x0
	s_barrier_signal -1
	s_barrier_wait -1
	ds_load_u16 v5, v0
	ds_load_u16 v4, v0 offset:512
	v_dual_mov_b32 v15, 0 :: v_dual_add_nc_u32 v0, v0, v1
	s_wait_dscnt 0x0
	s_barrier_signal -1
	s_barrier_wait -1
	ds_store_b64 v26, v[20:21]
	ds_store_b64 v28, v[16:17]
	s_wait_dscnt 0x0
	s_barrier_signal -1
	s_barrier_wait -1
	ds_load_2addr_stride64_b64 v[10:13], v0 offset1:4
	v_lshl_add_u64 v[0:1], v[8:9], 1, v[2:3]
	s_set_vgpr_msb 4                        ;  msbs: dst=0 src0=0 src1=1 src2=0
	v_cmp_lt_u32_e32 vcc_lo, v14, v12 /*v268*/
	s_wait_dscnt 0x0
	s_barrier_signal -1
	s_barrier_wait -1
	v_lshl_add_u64 v[0:1], v[14:15], 1, v[0:1]
	s_and_saveexec_b32 s0, vcc_lo
	s_set_vgpr_msb 0                        ;  msbs: dst=0 src0=0 src1=0 src2=0
	s_cbranch_execz .LBB907_355
; %bb.354:
	v_xor_b32_e32 v2, 0x7fff, v5
	flat_store_b16 v[0:1], v2
.LBB907_355:
	s_wait_xcnt 0x0
	s_or_b32 exec_lo, exec_lo, s0
	v_add_nc_u32_e32 v2, 0x100, v14
	s_set_vgpr_msb 4                        ;  msbs: dst=0 src0=0 src1=1 src2=0
	s_delay_alu instid0(VALU_DEP_1)
	v_cmp_lt_u32_e64 s0, v2, v12 /*v268*/
	s_and_saveexec_b32 s1, s0
	s_set_vgpr_msb 0                        ;  msbs: dst=0 src0=0 src1=0 src2=0
	s_cbranch_execz .LBB907_357
; %bb.356:
	v_xor_b32_e32 v2, 0x7fff, v4
	flat_store_b16 v[0:1], v2 offset:512
.LBB907_357:
	s_wait_xcnt 0x0
	s_or_b32 exec_lo, exec_lo, s1
	v_lshl_add_u64 v[0:1], v[8:9], 3, v[6:7]
	s_delay_alu instid0(VALU_DEP_1)
	v_lshl_add_u64 v[0:1], v[14:15], 3, v[0:1]
	s_and_saveexec_b32 s1, vcc_lo
	s_cbranch_execz .LBB907_359
; %bb.358:
	flat_store_b64 v[0:1], v[10:11]
.LBB907_359:
	s_wait_xcnt 0x0
	s_or_b32 exec_lo, exec_lo, s1
	s_and_saveexec_b32 s1, s0
	s_cbranch_execz .LBB907_361
; %bb.360:
	flat_store_b64 v[0:1], v[12:13] offset:2048
.LBB907_361:
	s_wait_xcnt 0x0
	s_or_b32 exec_lo, exec_lo, s1
                                        ; implicit-def: $vgpr14
                                        ; implicit-def: $vgpr8_vgpr9
                                        ; implicit-def: $vgpr268
                                        ; implicit-def: $vgpr10
                                        ; implicit-def: $vgpr11
                                        ; implicit-def: $vgpr0_vgpr1
                                        ; implicit-def: $vgpr2_vgpr3
                                        ; implicit-def: $vgpr4_vgpr5
                                        ; implicit-def: $vgpr6_vgpr7
                                        ; implicit-def: $vgpr12_vgpr13
                                        ; implicit-def: $vgpr18
                                        ; implicit-def: $vgpr66
.LBB907_362:
	s_and_not1_saveexec_b32 s0, s18
	s_cbranch_execz .LBB907_382
; %bb.363:
	s_delay_alu instid0(VALU_DEP_3) | instskip(NEXT) | instid1(VALU_DEP_1)
	v_and_b32_e32 v16, 0xffffffe0, v14
	v_dual_mov_b32 v39, -1 :: v_dual_bitop2_b32 v15, v66, v16 bitop3:0x54
	s_set_vgpr_msb 4                        ;  msbs: dst=0 src0=0 src1=1 src2=0
	s_delay_alu instid0(VALU_DEP_1)
	v_cmp_lt_u32_e32 vcc_lo, v15, v12 /*v268*/
	s_and_saveexec_b32 s0, vcc_lo
	s_set_vgpr_msb 0                        ;  msbs: dst=0 src0=0 src1=0 src2=0
	s_cbranch_execz .LBB907_365
; %bb.364:
	v_lshl_add_u64 v[0:1], v[8:9], 1, v[0:1]
	v_dual_mov_b32 v21, 0 :: v_dual_lshlrev_b32 v20, 1, v66
	s_delay_alu instid0(VALU_DEP_1) | instskip(SKIP_1) | instid1(VALU_DEP_1)
	v_add_nc_u64_e32 v[0:1], v[0:1], v[20:21]
	v_mov_b32_e32 v17, v21
	v_lshl_add_u64 v[0:1], v[16:17], 1, v[0:1]
	flat_load_u16 v0, v[0:1]
	s_wait_loadcnt_dscnt 0x0
	v_xor_b32_e32 v39, 0x7fff, v0
.LBB907_365:
	s_wait_xcnt 0x0
	s_or_b32 exec_lo, exec_lo, s0
                                        ; implicit-def: $vgpr20_vgpr21
	s_and_saveexec_b32 s0, vcc_lo
	s_cbranch_execz .LBB907_367
; %bb.366:
	v_lshl_add_u64 v[0:1], v[8:9], 3, v[4:5]
	v_dual_mov_b32 v5, 0 :: v_dual_lshlrev_b32 v4, 3, v66
	s_delay_alu instid0(VALU_DEP_1) | instskip(SKIP_1) | instid1(VALU_DEP_1)
	v_add_nc_u64_e32 v[0:1], v[0:1], v[4:5]
	v_mov_b32_e32 v17, v5
	v_lshl_add_u64 v[0:1], v[16:17], 3, v[0:1]
	flat_load_b64 v[20:21], v[0:1]
.LBB907_367:
	s_wait_xcnt 0x0
	s_or_b32 exec_lo, exec_lo, s0
	v_lshl_add_u32 v0, v18, 5, v12
	v_and_b32_e32 v1, 15, v66
	v_sub_co_u32 v16, s2, v66, 1
	s_delay_alu instid0(VALU_DEP_3)
	v_dual_add_nc_u32 v15, 32, v0 :: v_dual_bitop2_b32 v5, 16, v66 bitop3:0x40
	v_dual_add_nc_u32 v19, 36, v0 :: v_dual_add_nc_u32 v24, 40, v0
	v_dual_add_nc_u32 v25, 44, v0 :: v_dual_add_nc_u32 v26, 48, v0
	;; [unrolled: 1-line block ×3, first 2 shown]
	v_dual_add_nc_u32 v29, 60, v0 :: v_dual_lshrrev_b32 v30, 5, v14
	v_and_b32_e32 v0, 0x3e0, v18
	v_cmp_gt_i32_e64 s5, 0, v16
	s_get_pc_i64 s[0:1]
	s_add_nc_u64 s[0:1], s[0:1], _ZN7rocprim17ROCPRIM_400000_NS16block_radix_sortIsLj256ELj1ElLj1ELj1ELj8ELNS0_26block_radix_rank_algorithmE2ELNS0_18block_padding_hintE2ELNS0_4arch9wavefront6targetE0EE19radix_bits_per_passE@rel64+4
	v_cmp_eq_u32_e32 vcc_lo, 0, v1
	s_load_b32 s18, s[0:1], 0x0
	v_min_u32_e32 v4, 0xe0, v0
	s_wait_xcnt 0x0
	v_cmp_lt_u32_e64 s0, 1, v1
	v_cmp_lt_u32_e64 s1, 3, v1
	;; [unrolled: 1-line block ×3, first 2 shown]
	v_cmp_eq_u32_e64 s4, 0, v5
	v_dual_lshrrev_b32 v4, 3, v18 :: v_dual_bitop2_b32 v1, 31, v4 bitop3:0x54
	v_dual_cndmask_b32 v5, v16, v66, s5 :: v_dual_bitop2_b32 v0, v66, v0 bitop3:0x54
	v_cmp_gt_u32_e64 s6, 8, v18
	s_delay_alu instid0(VALU_DEP_3) | instskip(NEXT) | instid1(VALU_DEP_4)
	v_cmp_eq_u32_e64 s5, v18, v1
	v_and_b32_e32 v1, 0x7c, v4
	s_delay_alu instid0(VALU_DEP_4) | instskip(SKIP_2) | instid1(VALU_DEP_4)
	v_dual_lshlrev_b32 v31, 2, v5 :: v_dual_bitop2_b32 v4, 7, v66 bitop3:0x40
	v_lshl_add_u32 v34, v0, 1, v12
	v_mul_u32_u24_e32 v0, 6, v0
	v_add_nc_u32_e32 v32, v12, v1
	s_delay_alu instid0(VALU_DEP_4)
	v_cmp_eq_u32_e64 s9, 0, v4
	v_cmp_lt_u32_e64 s10, 1, v4
	v_cmp_lt_u32_e64 s11, 3, v4
	v_mov_b64_e32 v[4:5], 0
	v_cmp_lt_u32_e64 s7, 31, v18
	v_cmp_eq_u32_e64 s8, 0, v18
	v_dual_mov_b32 v1, 0 :: v_dual_add_nc_u32 v35, -4, v32
	v_lshl_add_u32 v33, v18, 2, v12
	v_dual_add_nc_u32 v36, v34, v0 :: v_dual_sub_nc_u32 v37, v11, v10
	s_mov_b32 s19, 0
	s_wait_storecnt 0x0
	s_wait_loadcnt_dscnt 0x0
	s_barrier_signal -1
	s_barrier_wait -1
	s_branch .LBB907_369
.LBB907_368:                            ;   in Loop: Header=BB907_369 Depth=1
	s_or_b32 exec_lo, exec_lo, s13
	s_delay_alu instid0(SALU_CYCLE_1) | instskip(NEXT) | instid1(SALU_CYCLE_1)
	s_and_b32 s12, exec_lo, s14
	s_or_b32 s19, s12, s19
	s_delay_alu instid0(SALU_CYCLE_1)
	s_and_not1_b32 exec_lo, exec_lo, s19
	s_cbranch_execz .LBB907_379
.LBB907_369:                            ; =>This Inner Loop Header: Depth=1
	v_mov_b32_e32 v38, v39
	s_wait_kmcnt 0x0
	v_min_u32_e32 v0, s18, v37
	ds_store_b64 v15, v[4:5]
	ds_store_b64 v24, v[4:5]
	ds_store_b64 v26, v[4:5]
	ds_store_b64 v28, v[4:5]
	s_wait_dscnt 0x0
	v_and_b32_e32 v16, 0xffff, v38
	v_lshlrev_b32_e64 v0, v0, -1
	s_barrier_signal -1
	s_barrier_wait -1
	s_delay_alu instid0(VALU_DEP_2) | instskip(NEXT) | instid1(VALU_DEP_1)
	v_lshrrev_b32_e32 v16, v10, v16
	; wave barrier
	v_bitop3_b32 v17, v16, 1, v0 bitop3:0x40
	v_bitop3_b32 v0, v16, v0, v16 bitop3:0x30
	s_delay_alu instid0(VALU_DEP_2) | instskip(NEXT) | instid1(VALU_DEP_1)
	v_add_co_u32 v16, s12, v17, -1
	v_cndmask_b32_e64 v17, 0, 1, s12
	s_delay_alu instid0(VALU_DEP_3) | instskip(SKIP_1) | instid1(VALU_DEP_3)
	v_dual_lshlrev_b32 v22, 30, v0 :: v_dual_lshlrev_b32 v23, 29, v0
	v_dual_lshlrev_b32 v39, 28, v0 :: v_dual_lshlrev_b32 v48, 27, v0
	v_cmp_ne_u32_e64 s12, 0, v17
	s_delay_alu instid0(VALU_DEP_3)
	v_not_b32_e32 v17, v22
	v_dual_lshlrev_b32 v49, 26, v0 :: v_dual_lshlrev_b32 v50, 25, v0
	v_lshlrev_b32_e32 v51, 24, v0
	v_cmp_gt_i32_e64 s13, 0, v22
	v_cmp_gt_i32_e64 s14, 0, v23
	v_not_b32_e32 v22, v23
	v_not_b32_e32 v23, v39
	v_ashrrev_i32_e32 v17, 31, v17
	v_cmp_gt_i32_e64 s15, 0, v39
	v_cmp_gt_i32_e64 s16, 0, v48
	v_not_b32_e32 v39, v48
	v_not_b32_e32 v48, v49
	v_dual_ashrrev_i32 v22, 31, v22 :: v_dual_bitop2_b32 v16, s12, v16 bitop3:0x14
	v_dual_ashrrev_i32 v23, 31, v23 :: v_dual_bitop2_b32 v17, s13, v17 bitop3:0x14
	v_cmp_gt_i32_e64 s17, 0, v49
	v_not_b32_e32 v49, v50
	v_not_b32_e32 v52, v51
	v_dual_ashrrev_i32 v39, 31, v39 :: v_dual_ashrrev_i32 v48, 31, v48
	v_xor_b32_e32 v22, s14, v22
	v_xor_b32_e32 v23, s15, v23
	v_bitop3_b32 v16, v16, v17, exec_lo bitop3:0x80
	s_delay_alu instid0(VALU_DEP_4)
	v_dual_lshlrev_b32 v0, 3, v0 :: v_dual_bitop2_b32 v39, s16, v39 bitop3:0x14
	v_xor_b32_e32 v17, s17, v48
	v_cmp_gt_i32_e64 s12, 0, v50
	v_ashrrev_i32_e32 v48, 31, v49
	v_cmp_gt_i32_e64 s13, 0, v51
	v_ashrrev_i32_e32 v49, 31, v52
	v_bitop3_b32 v16, v16, v23, v22 bitop3:0x80
	v_add_lshl_u32 v0, v0, v30, 2
	v_xor_b32_e32 v22, s12, v48
	s_delay_alu instid0(VALU_DEP_4) | instskip(NEXT) | instid1(VALU_DEP_4)
	v_xor_b32_e32 v23, s13, v49
	v_bitop3_b32 v16, v16, v17, v39 bitop3:0x80
	s_delay_alu instid0(VALU_DEP_1) | instskip(SKIP_2) | instid1(VALU_DEP_3)
	v_bitop3_b32 v22, v16, v23, v22 bitop3:0x80
	v_mov_b64_e32 v[16:17], v[20:21]
	v_add_nc_u64_e32 v[20:21], v[12:13], v[0:1]
	v_mbcnt_lo_u32_b32 v0, v22, 0
	v_cmp_ne_u32_e64 s13, 0, v22
	s_delay_alu instid0(VALU_DEP_3) | instskip(NEXT) | instid1(VALU_DEP_3)
	v_add_nc_u64_e32 v[20:21], 32, v[20:21]
	v_cmp_eq_u32_e64 s12, 0, v0
	s_and_b32 s13, s13, s12
	s_delay_alu instid0(SALU_CYCLE_1)
	s_and_saveexec_b32 s12, s13
; %bb.370:                              ;   in Loop: Header=BB907_369 Depth=1
	v_bcnt_u32_b32 v21, v22, 0
	ds_store_b32 v20, v21
; %bb.371:                              ;   in Loop: Header=BB907_369 Depth=1
	s_or_b32 exec_lo, exec_lo, s12
	; wave barrier
	s_wait_dscnt 0x0
	s_barrier_signal -1
	s_barrier_wait -1
	ds_load_b32 v22, v15
	ds_load_b32 v23, v19
	;; [unrolled: 1-line block ×8, first 2 shown]
	s_wait_dscnt 0x6
	v_add_nc_u32_e32 v52, v23, v22
	s_wait_dscnt 0x4
	s_delay_alu instid0(VALU_DEP_1) | instskip(SKIP_1) | instid1(VALU_DEP_1)
	v_add3_u32 v52, v52, v39, v48
	s_wait_dscnt 0x2
	v_add3_u32 v52, v52, v49, v50
	s_wait_dscnt 0x0
	s_delay_alu instid0(VALU_DEP_1) | instskip(NEXT) | instid1(VALU_DEP_1)
	v_add3_u32 v51, v52, v21, v51
	v_mov_b32_dpp v52, v51 row_shr:1 row_mask:0xf bank_mask:0xf
	s_delay_alu instid0(VALU_DEP_1) | instskip(NEXT) | instid1(VALU_DEP_1)
	v_cndmask_b32_e64 v52, v52, 0, vcc_lo
	v_add_nc_u32_e32 v51, v52, v51
	s_delay_alu instid0(VALU_DEP_1) | instskip(NEXT) | instid1(VALU_DEP_1)
	v_mov_b32_dpp v52, v51 row_shr:2 row_mask:0xf bank_mask:0xf
	v_cndmask_b32_e64 v52, 0, v52, s0
	s_delay_alu instid0(VALU_DEP_1) | instskip(NEXT) | instid1(VALU_DEP_1)
	v_add_nc_u32_e32 v51, v51, v52
	v_mov_b32_dpp v52, v51 row_shr:4 row_mask:0xf bank_mask:0xf
	s_delay_alu instid0(VALU_DEP_1) | instskip(NEXT) | instid1(VALU_DEP_1)
	v_cndmask_b32_e64 v52, 0, v52, s1
	v_add_nc_u32_e32 v51, v51, v52
	s_delay_alu instid0(VALU_DEP_1) | instskip(NEXT) | instid1(VALU_DEP_1)
	v_mov_b32_dpp v52, v51 row_shr:8 row_mask:0xf bank_mask:0xf
	v_cndmask_b32_e64 v52, 0, v52, s3
	s_delay_alu instid0(VALU_DEP_1) | instskip(SKIP_3) | instid1(VALU_DEP_1)
	v_add_nc_u32_e32 v51, v51, v52
	ds_swizzle_b32 v52, v51 offset:swizzle(BROADCAST,32,15)
	s_wait_dscnt 0x0
	v_cndmask_b32_e64 v52, v52, 0, s4
	v_add_nc_u32_e32 v51, v51, v52
	s_and_saveexec_b32 s12, s5
; %bb.372:                              ;   in Loop: Header=BB907_369 Depth=1
	ds_store_b32 v32, v51
; %bb.373:                              ;   in Loop: Header=BB907_369 Depth=1
	s_or_b32 exec_lo, exec_lo, s12
	s_wait_dscnt 0x0
	s_barrier_signal -1
	s_barrier_wait -1
	s_and_saveexec_b32 s12, s6
	s_cbranch_execz .LBB907_375
; %bb.374:                              ;   in Loop: Header=BB907_369 Depth=1
	ds_load_b32 v52, v33
	s_wait_dscnt 0x0
	v_mov_b32_dpp v53, v52 row_shr:1 row_mask:0xf bank_mask:0xf
	s_delay_alu instid0(VALU_DEP_1) | instskip(NEXT) | instid1(VALU_DEP_1)
	v_cndmask_b32_e64 v53, v53, 0, s9
	v_add_nc_u32_e32 v52, v53, v52
	s_delay_alu instid0(VALU_DEP_1) | instskip(NEXT) | instid1(VALU_DEP_1)
	v_mov_b32_dpp v53, v52 row_shr:2 row_mask:0xf bank_mask:0xf
	v_cndmask_b32_e64 v53, 0, v53, s10
	s_delay_alu instid0(VALU_DEP_1) | instskip(NEXT) | instid1(VALU_DEP_1)
	v_add_nc_u32_e32 v52, v52, v53
	v_mov_b32_dpp v53, v52 row_shr:4 row_mask:0xf bank_mask:0xf
	s_delay_alu instid0(VALU_DEP_1) | instskip(NEXT) | instid1(VALU_DEP_1)
	v_cndmask_b32_e64 v53, 0, v53, s11
	v_add_nc_u32_e32 v52, v52, v53
	ds_store_b32 v33, v52
.LBB907_375:                            ;   in Loop: Header=BB907_369 Depth=1
	s_or_b32 exec_lo, exec_lo, s12
	v_mov_b32_e32 v52, 0
	s_wait_dscnt 0x0
	s_barrier_signal -1
	s_barrier_wait -1
	s_and_saveexec_b32 s12, s7
; %bb.376:                              ;   in Loop: Header=BB907_369 Depth=1
	ds_load_b32 v52, v35
; %bb.377:                              ;   in Loop: Header=BB907_369 Depth=1
	s_or_b32 exec_lo, exec_lo, s12
	s_wait_dscnt 0x0
	v_add_nc_u32_e32 v51, v52, v51
	s_mov_b32 s14, -1
	s_mov_b32 s13, exec_lo
	v_add_nc_u32_e32 v10, 8, v10
	ds_bpermute_b32 v51, v31, v51
	s_wait_dscnt 0x0
	v_cndmask_b32_e64 v51, v51, v52, s2
	s_delay_alu instid0(VALU_DEP_1) | instskip(NEXT) | instid1(VALU_DEP_1)
	v_cndmask_b32_e64 v51, v51, 0, s8
	v_add_nc_u32_e32 v22, v51, v22
	s_delay_alu instid0(VALU_DEP_1) | instskip(NEXT) | instid1(VALU_DEP_1)
	v_add_nc_u32_e32 v23, v22, v23
	v_add_nc_u32_e32 v39, v23, v39
	s_delay_alu instid0(VALU_DEP_1) | instskip(NEXT) | instid1(VALU_DEP_1)
	v_add_nc_u32_e32 v48, v39, v48
	v_add_nc_u32_e32 v49, v48, v49
	ds_store_b32 v15, v51
	ds_store_b32 v19, v22
	;; [unrolled: 1-line block ×3, first 2 shown]
	v_add_nc_u32_e32 v50, v49, v50
	s_delay_alu instid0(VALU_DEP_1)
	v_add_nc_u32_e32 v21, v50, v21
	ds_store_b32 v25, v39
	ds_store_b32 v26, v48
	;; [unrolled: 1-line block ×5, first 2 shown]
	s_wait_dscnt 0x0
	s_barrier_signal -1
	s_barrier_wait -1
	ds_load_b32 v20, v20
	s_wait_dscnt 0x0
                                        ; implicit-def: $vgpr39
	v_add_nc_u32_e32 v0, v20, v0
                                        ; implicit-def: $vgpr20_vgpr21
	s_delay_alu instid0(VALU_DEP_1)
	v_lshl_add_u64 v[22:23], v[0:1], 1, v[12:13]
	v_cmpx_lt_u32_e64 v10, v11
	s_cbranch_execz .LBB907_368
; %bb.378:                              ;   in Loop: Header=BB907_369 Depth=1
	s_delay_alu instid0(VALU_DEP_2)
	v_mad_nc_u64_u32 v[20:21], v0, 6, v[22:23]
	s_barrier_signal -1
	s_barrier_wait -1
	ds_store_b16 v22, v38
	s_wait_dscnt 0x0
	s_barrier_signal -1
	s_barrier_wait -1
	ds_load_u16 v39, v34
	s_wait_dscnt 0x0
	s_barrier_signal -1
	s_barrier_wait -1
	ds_store_b64 v20, v[16:17]
	s_wait_dscnt 0x0
	s_barrier_signal -1
	s_barrier_wait -1
	ds_load_b64 v[20:21], v36
	v_add_nc_u32_e32 v37, -8, v37
	s_xor_b32 s14, exec_lo, -1
	s_wait_dscnt 0x0
	s_barrier_signal -1
	s_barrier_wait -1
	s_branch .LBB907_368
.LBB907_379:
	s_or_b32 exec_lo, exec_lo, s19
	v_mad_nc_u64_u32 v[0:1], v0, 6, v[22:23]
	v_lshl_add_u32 v5, v18, 1, v12
	v_mul_u32_u24_e32 v1, 6, v18
	s_barrier_signal -1
	s_barrier_wait -1
	ds_store_b16 v22, v38
	s_wait_dscnt 0x0
	s_barrier_signal -1
	s_barrier_wait -1
	ds_load_u16 v4, v5
	s_wait_dscnt 0x0
	s_barrier_signal -1
	s_barrier_wait -1
	ds_store_b64 v0, v[16:17]
	v_add_nc_u32_e32 v0, v5, v1
	s_wait_dscnt 0x0
	s_barrier_signal -1
	s_barrier_wait -1
	ds_load_b64 v[0:1], v0
	s_mov_b32 s0, exec_lo
	s_wait_dscnt 0x0
	s_barrier_signal -1
	s_barrier_wait -1
	s_set_vgpr_msb 4                        ;  msbs: dst=0 src0=0 src1=1 src2=0
	v_cmpx_lt_u32_e64 v14, v12 /*v268*/
	s_set_vgpr_msb 0                        ;  msbs: dst=0 src0=0 src1=0 src2=0
	s_cbranch_execz .LBB907_381
; %bb.380:
	v_lshl_add_u64 v[2:3], v[8:9], 1, v[2:3]
	v_mov_b32_e32 v15, 0
	v_lshl_add_u64 v[6:7], v[8:9], 3, v[6:7]
	v_xor_b32_e32 v8, 0x7fff, v4
	s_delay_alu instid0(VALU_DEP_3) | instskip(NEXT) | instid1(VALU_DEP_3)
	v_lshl_add_u64 v[2:3], v[14:15], 1, v[2:3]
	v_lshl_add_u64 v[4:5], v[14:15], 3, v[6:7]
	flat_store_b16 v[2:3], v8
	flat_store_b64 v[4:5], v[0:1]
.LBB907_381:
	s_wait_xcnt 0x0
	s_or_b32 exec_lo, exec_lo, s0
.LBB907_382:
	s_delay_alu instid0(SALU_CYCLE_1)
	s_or_b32 exec_lo, exec_lo, s20
	s_wait_dscnt 0x0
	s_set_pc_i64 s[30:31]
.Lfunc_end907:
	.size	_ZN7rocprim17ROCPRIM_400000_NS6detail40segmented_radix_sort_single_block_helperIslLj256ELj17ELb1EE4sortIPKsPsPKlPlEEbT_T0_T1_T2_jjjjRNS3_12storage_typeE, .Lfunc_end907-_ZN7rocprim17ROCPRIM_400000_NS6detail40segmented_radix_sort_single_block_helperIslLj256ELj17ELb1EE4sortIPKsPsPKlPlEEbT_T0_T1_T2_jjjjRNS3_12storage_typeE
                                        ; -- End function
	.set .L_ZN7rocprim17ROCPRIM_400000_NS6detail40segmented_radix_sort_single_block_helperIslLj256ELj17ELb1EE4sortIPKsPsPKlPlEEbT_T0_T1_T2_jjjjRNS3_12storage_typeE.num_vgpr, 304
	.set .L_ZN7rocprim17ROCPRIM_400000_NS6detail40segmented_radix_sort_single_block_helperIslLj256ELj17ELb1EE4sortIPKsPsPKlPlEEbT_T0_T1_T2_jjjjRNS3_12storage_typeE.num_agpr, 0
	.set .L_ZN7rocprim17ROCPRIM_400000_NS6detail40segmented_radix_sort_single_block_helperIslLj256ELj17ELb1EE4sortIPKsPsPKlPlEEbT_T0_T1_T2_jjjjRNS3_12storage_typeE.numbered_sgpr, 32
	.set .L_ZN7rocprim17ROCPRIM_400000_NS6detail40segmented_radix_sort_single_block_helperIslLj256ELj17ELb1EE4sortIPKsPsPKlPlEEbT_T0_T1_T2_jjjjRNS3_12storage_typeE.num_named_barrier, 0
	.set .L_ZN7rocprim17ROCPRIM_400000_NS6detail40segmented_radix_sort_single_block_helperIslLj256ELj17ELb1EE4sortIPKsPsPKlPlEEbT_T0_T1_T2_jjjjRNS3_12storage_typeE.private_seg_size, 0
	.set .L_ZN7rocprim17ROCPRIM_400000_NS6detail40segmented_radix_sort_single_block_helperIslLj256ELj17ELb1EE4sortIPKsPsPKlPlEEbT_T0_T1_T2_jjjjRNS3_12storage_typeE.uses_vcc, 1
	.set .L_ZN7rocprim17ROCPRIM_400000_NS6detail40segmented_radix_sort_single_block_helperIslLj256ELj17ELb1EE4sortIPKsPsPKlPlEEbT_T0_T1_T2_jjjjRNS3_12storage_typeE.uses_flat_scratch, 0
	.set .L_ZN7rocprim17ROCPRIM_400000_NS6detail40segmented_radix_sort_single_block_helperIslLj256ELj17ELb1EE4sortIPKsPsPKlPlEEbT_T0_T1_T2_jjjjRNS3_12storage_typeE.has_dyn_sized_stack, 0
	.set .L_ZN7rocprim17ROCPRIM_400000_NS6detail40segmented_radix_sort_single_block_helperIslLj256ELj17ELb1EE4sortIPKsPsPKlPlEEbT_T0_T1_T2_jjjjRNS3_12storage_typeE.has_recursion, 0
	.set .L_ZN7rocprim17ROCPRIM_400000_NS6detail40segmented_radix_sort_single_block_helperIslLj256ELj17ELb1EE4sortIPKsPsPKlPlEEbT_T0_T1_T2_jjjjRNS3_12storage_typeE.has_indirect_call, 0
	.section	.AMDGPU.csdata,"",@progbits
; Function info:
; codeLenInByte = 31724
; TotalNumSgprs: 34
; NumVgprs: 304
; ScratchSize: 0
; MemoryBound: 1
	.section	.text._ZN7rocprim17ROCPRIM_400000_NS6detail17trampoline_kernelINS0_14default_configENS1_36segmented_radix_sort_config_selectorIslEEZNS1_25segmented_radix_sort_implIS3_Lb1EPKsPsPKlPlN2at6native12_GLOBAL__N_18offset_tEEE10hipError_tPvRmT1_PNSt15iterator_traitsISK_E10value_typeET2_T3_PNSL_ISQ_E10value_typeET4_jRbjT5_SW_jjP12ihipStream_tbEUlT_E_NS1_11comp_targetILNS1_3genE0ELNS1_11target_archE4294967295ELNS1_3gpuE0ELNS1_3repE0EEENS1_30default_config_static_selectorELNS0_4arch9wavefront6targetE0EEEvSK_,"axG",@progbits,_ZN7rocprim17ROCPRIM_400000_NS6detail17trampoline_kernelINS0_14default_configENS1_36segmented_radix_sort_config_selectorIslEEZNS1_25segmented_radix_sort_implIS3_Lb1EPKsPsPKlPlN2at6native12_GLOBAL__N_18offset_tEEE10hipError_tPvRmT1_PNSt15iterator_traitsISK_E10value_typeET2_T3_PNSL_ISQ_E10value_typeET4_jRbjT5_SW_jjP12ihipStream_tbEUlT_E_NS1_11comp_targetILNS1_3genE0ELNS1_11target_archE4294967295ELNS1_3gpuE0ELNS1_3repE0EEENS1_30default_config_static_selectorELNS0_4arch9wavefront6targetE0EEEvSK_,comdat
	.globl	_ZN7rocprim17ROCPRIM_400000_NS6detail17trampoline_kernelINS0_14default_configENS1_36segmented_radix_sort_config_selectorIslEEZNS1_25segmented_radix_sort_implIS3_Lb1EPKsPsPKlPlN2at6native12_GLOBAL__N_18offset_tEEE10hipError_tPvRmT1_PNSt15iterator_traitsISK_E10value_typeET2_T3_PNSL_ISQ_E10value_typeET4_jRbjT5_SW_jjP12ihipStream_tbEUlT_E_NS1_11comp_targetILNS1_3genE0ELNS1_11target_archE4294967295ELNS1_3gpuE0ELNS1_3repE0EEENS1_30default_config_static_selectorELNS0_4arch9wavefront6targetE0EEEvSK_ ; -- Begin function _ZN7rocprim17ROCPRIM_400000_NS6detail17trampoline_kernelINS0_14default_configENS1_36segmented_radix_sort_config_selectorIslEEZNS1_25segmented_radix_sort_implIS3_Lb1EPKsPsPKlPlN2at6native12_GLOBAL__N_18offset_tEEE10hipError_tPvRmT1_PNSt15iterator_traitsISK_E10value_typeET2_T3_PNSL_ISQ_E10value_typeET4_jRbjT5_SW_jjP12ihipStream_tbEUlT_E_NS1_11comp_targetILNS1_3genE0ELNS1_11target_archE4294967295ELNS1_3gpuE0ELNS1_3repE0EEENS1_30default_config_static_selectorELNS0_4arch9wavefront6targetE0EEEvSK_
	.p2align	8
	.type	_ZN7rocprim17ROCPRIM_400000_NS6detail17trampoline_kernelINS0_14default_configENS1_36segmented_radix_sort_config_selectorIslEEZNS1_25segmented_radix_sort_implIS3_Lb1EPKsPsPKlPlN2at6native12_GLOBAL__N_18offset_tEEE10hipError_tPvRmT1_PNSt15iterator_traitsISK_E10value_typeET2_T3_PNSL_ISQ_E10value_typeET4_jRbjT5_SW_jjP12ihipStream_tbEUlT_E_NS1_11comp_targetILNS1_3genE0ELNS1_11target_archE4294967295ELNS1_3gpuE0ELNS1_3repE0EEENS1_30default_config_static_selectorELNS0_4arch9wavefront6targetE0EEEvSK_,@function
_ZN7rocprim17ROCPRIM_400000_NS6detail17trampoline_kernelINS0_14default_configENS1_36segmented_radix_sort_config_selectorIslEEZNS1_25segmented_radix_sort_implIS3_Lb1EPKsPsPKlPlN2at6native12_GLOBAL__N_18offset_tEEE10hipError_tPvRmT1_PNSt15iterator_traitsISK_E10value_typeET2_T3_PNSL_ISQ_E10value_typeET4_jRbjT5_SW_jjP12ihipStream_tbEUlT_E_NS1_11comp_targetILNS1_3genE0ELNS1_11target_archE4294967295ELNS1_3gpuE0ELNS1_3repE0EEENS1_30default_config_static_selectorELNS0_4arch9wavefront6targetE0EEEvSK_: ; @_ZN7rocprim17ROCPRIM_400000_NS6detail17trampoline_kernelINS0_14default_configENS1_36segmented_radix_sort_config_selectorIslEEZNS1_25segmented_radix_sort_implIS3_Lb1EPKsPsPKlPlN2at6native12_GLOBAL__N_18offset_tEEE10hipError_tPvRmT1_PNSt15iterator_traitsISK_E10value_typeET2_T3_PNSL_ISQ_E10value_typeET4_jRbjT5_SW_jjP12ihipStream_tbEUlT_E_NS1_11comp_targetILNS1_3genE0ELNS1_11target_archE4294967295ELNS1_3gpuE0ELNS1_3repE0EEENS1_30default_config_static_selectorELNS0_4arch9wavefront6targetE0EEEvSK_
; %bb.0:
	s_load_b64 s[8:9], s[2:3], 0x38
	s_bfe_u32 s4, ttmp6, 0x4000c
	s_and_b32 s5, ttmp6, 15
	s_add_co_i32 s4, s4, 1
	s_getreg_b32 s25, hwreg(HW_REG_IB_STS2, 6, 4)
	s_mul_i32 s4, ttmp9, s4
	s_mov_b32 s32, 0
	s_add_co_i32 s5, s5, s4
	s_cmp_eq_u32 s25, 0
	s_cselect_b32 s51, ttmp9, s5
	s_load_b128 s[4:7], s[2:3], 0x40
	s_wait_kmcnt 0x0
	s_load_b32 s10, s[8:9], s51 offset:0x0 scale_offset
	s_wait_kmcnt 0x0
	s_add_co_i32 s54, s10, s7
	s_add_co_i32 s55, s10, s5
	s_mul_i32 s54, s54, s6
	s_mul_i32 s55, s55, s4
	s_delay_alu instid0(SALU_CYCLE_1)
	s_cmp_le_u32 s54, s55
	s_cbranch_scc1 .LBB908_1254
; %bb.1:
	s_clause 0x3
	s_load_b32 s4, s[2:3], 0x30
	s_load_b128 s[44:47], s[2:3], 0x20
	s_load_b96 s[48:50], s[2:3], 0x50
	s_load_b256 s[36:43], s[2:3], 0x0
	s_wait_kmcnt 0x0
	s_bitcmp1_b32 s4, 0
	s_mov_b32 s4, -1
	s_cselect_b32 s56, -1, 0
	s_sub_co_i32 s57, s54, s55
	s_delay_alu instid0(SALU_CYCLE_1)
	s_cmp_lt_u32 s57, 0x1101
	s_cbranch_scc0 .LBB908_7
; %bb.2:
	v_cndmask_b32_e64 v1, 0, 1, s56
	s_and_b32 s4, s48, 1
	s_get_pc_i64 s[26:27]
	s_add_nc_u64 s[26:27], s[26:27], _ZN7rocprim17ROCPRIM_400000_NS6detail40segmented_radix_sort_single_block_helperIslLj256ELj17ELb1EE4sortIPKsPsPKlPlEEbT_T0_T1_T2_jjjjRNS3_12storage_typeE@rel64+4
	s_delay_alu instid0(VALU_DEP_1)
	v_cmp_ne_u32_e32 vcc_lo, s4, v1
	s_mov_b32 s4, -1
	s_cbranch_vccnz .LBB908_4
; %bb.3:
	s_mov_b64 s[4:5], src_shared_base
	v_dual_mov_b32 v31, v0 :: v_dual_mov_b32 v40, v0
	v_dual_mov_b32 v0, s36 :: v_dual_mov_b32 v1, s37
	;; [unrolled: 1-line block ×8, first 2 shown]
	s_add_nc_u64 s[8:9], s[2:3], 0x60
	s_mov_b64 s[6:7], s[0:1]
	s_mov_b64 s[28:29], s[2:3]
	;; [unrolled: 1-line block ×3, first 2 shown]
	s_swap_pc_i64 s[30:31], s[26:27]
	v_mov_b32_e32 v0, v40
	s_mov_b64 s[0:1], s[34:35]
	s_mov_b64 s[2:3], s[28:29]
	s_mov_b32 s4, 0
.LBB908_4:
	s_delay_alu instid0(SALU_CYCLE_1)
	s_and_not1_b32 vcc_lo, exec_lo, s4
	s_cbranch_vccnz .LBB908_6
; %bb.5:
	s_mov_b64 s[4:5], src_shared_base
	v_dual_mov_b32 v31, v0 :: v_dual_mov_b32 v40, v0
	v_dual_mov_b32 v0, s36 :: v_dual_mov_b32 v1, s37
	;; [unrolled: 1-line block ×8, first 2 shown]
	s_add_nc_u64 s[8:9], s[2:3], 0x60
	s_mov_b64 s[6:7], s[0:1]
	s_mov_b64 s[28:29], s[2:3]
	s_swap_pc_i64 s[30:31], s[26:27]
	v_mov_b32_e32 v0, v40
	s_mov_b64 s[2:3], s[28:29]
.LBB908_6:
	s_mov_b32 s4, 0
.LBB908_7:
	s_delay_alu instid0(SALU_CYCLE_1)
	s_and_not1_b32 vcc_lo, exec_lo, s4
	s_cbranch_vccnz .LBB908_1254
; %bb.8:
	s_cmp_ge_u32 s49, s50
	s_cbranch_scc1 .LBB908_1254
; %bb.9:
	v_and_b32_e32 v2, 0x3ff, v0
	v_and_b32_e32 v8, 0xe0, v0
	v_dual_mov_b32 v5, 0 :: v_dual_bitop2_b32 v1, 3, v0 bitop3:0x40
	v_bfe_u32 v88, v0, 20, 10
	s_delay_alu instid0(VALU_DEP_4) | instskip(NEXT) | instid1(VALU_DEP_4)
	v_dual_lshlrev_b32 v3, 2, v2 :: v_dual_lshlrev_b32 v4, 1, v2
	v_min_u32_e32 v9, 0x60, v8
	v_lshrrev_b32_e32 v10, 3, v0
	v_mul_u32_u24_e32 v22, 17, v8
	s_delay_alu instid0(VALU_DEP_4) | instskip(SKIP_3) | instid1(VALU_DEP_4)
	v_mad_u32_u24 v84, v2, 12, v3
	v_lshlrev_b32_e32 v83, 2, v1
	v_or_b32_e32 v9, 31, v9
	v_and_b32_e32 v82, 28, v10
	v_dual_add_nc_u32 v89, v84, v3 :: v_dual_bitop2_b32 v1, 31, v8 bitop3:0x54
	v_lshlrev_b32_e32 v8, 4, v2
	v_bfe_u32 v90, v0, 10, 10
	v_add_nc_u32_e32 v0, 1, v2
	v_mbcnt_lo_u32_b32 v96, -1, 0
	s_bfe_u32 s6, ttmp6, 0x40010
	v_dual_sub_nc_u32 v91, v89, v8 :: v_dual_lshlrev_b32 v18, 3, v22
	v_dual_mov_b32 v19, v5 :: v_dual_add_nc_u32 v86, 0x8a00, v3
	v_dual_mov_b32 v21, v5 :: v_dual_lshlrev_b32 v20, 1, v22
	s_add_co_i32 s6, s6, 1
	s_delay_alu instid0(VALU_DEP_3)
	v_lshl_add_u32 v92, v2, 5, v91
	v_dual_lshlrev_b32 v22, 1, v96 :: v_dual_bitop2_b32 v102, v96, v22 bitop3:0x54
	s_mul_i32 s6, ttmp7, s6
	s_bfe_u32 s7, ttmp6, 0x40004
	v_add_nc_u64_e32 v[6:7], s[40:41], v[4:5]
	v_cmp_eq_u32_e64 s1, v2, v9
	s_add_nc_u64 s[52:53], s[2:3], 0x60
	s_add_co_i32 s9, s7, s6
	v_cmp_eq_u32_e64 s2, v2, v1
	v_mul_u32_u24_e32 v93, 36, v0
	v_cmp_ne_u32_e64 s7, 0x80, v0
	v_add_nc_u64_e32 v[0:1], s[46:47], v[18:19]
	v_add_nc_u64_e32 v[8:9], s[40:41], v[20:21]
	;; [unrolled: 1-line block ×8, first 2 shown]
	v_or_b32_e32 v66, 0x100, v2
	v_or_b32_e32 v67, 0x200, v2
	;; [unrolled: 1-line block ×16, first 2 shown]
	v_cmp_gt_u32_e64 s0, 0x80, v2
	v_or_b32_e32 v85, 0x8a00, v82
	v_cmp_gt_u32_e64 s4, 4, v2
	v_cmp_lt_u32_e64 s5, 31, v2
	v_add_nc_u32_e32 v87, 0x89fc, v82
	v_cmp_gt_u32_e64 s3, 8, v2
	v_cmp_eq_u32_e64 s6, 0, v2
	v_mad_i32_i24 v94, 0xffffffde, v2, v92
	v_mul_u32_u24_e32 v95, 6, v2
	v_dual_mov_b32 v97, 1 :: v_dual_bitop2_b32 v98, 15, v96 bitop3:0x40
	v_bfe_i32 v99, v96, 4, 1
	v_dual_lshlrev_b32 v4, 3, v96 :: v_dual_bitop2_b32 v100, 16, v96 bitop3:0x40
	v_dual_add_nc_u32 v105, 32, v102 :: v_dual_bitop2_b32 v101, 3, v96 bitop3:0x40
	v_sub_co_u32 v103, s8, v96, 1
	v_dual_add_nc_u32 v106, 64, v102 :: v_dual_bitop2_b32 v104, 7, v96 bitop3:0x40
	v_add_nc_u32_e32 v107, 0x60, v102
	v_add_nc_u32_e32 v108, 0x80, v102
	;; [unrolled: 1-line block ×14, first 2 shown]
	s_cmp_eq_u32 s25, 0
	s_mov_b32 s35, 0
	s_cselect_b32 s42, ttmp7, s9
	s_mov_b32 s43, s49
	s_branch .LBB908_12
.LBB908_10:                             ;   in Loop: Header=BB908_12 Depth=1
	s_wait_dscnt 0x0
	s_barrier_signal -1
	s_barrier_wait -1
.LBB908_11:                             ;   in Loop: Header=BB908_12 Depth=1
	s_add_co_i32 s43, s43, 7
	s_delay_alu instid0(SALU_CYCLE_1)
	s_cmp_ge_u32 s43, s50
	s_cbranch_scc1 .LBB908_1254
.LBB908_12:                             ; =>This Loop Header: Depth=1
                                        ;     Child Loop BB908_16 Depth 2
                                        ;     Child Loop BB908_100 Depth 2
                                        ;     Child Loop BB908_326 Depth 2
                                        ;     Child Loop BB908_410 Depth 2
                                        ;     Child Loop BB908_638 Depth 2
                                        ;     Child Loop BB908_722 Depth 2
                                        ;     Child Loop BB908_948 Depth 2
                                        ;     Child Loop BB908_1032 Depth 2
	s_sub_co_i32 s9, s50, s43
	s_xor_b32 s56, s56, -1
	s_min_u32 s9, s9, 7
	ds_store_2addr_stride64_b32 v3, v5, v5 offset1:4
	s_lshl_b32 s9, -1, s9
	s_wait_storecnt_dscnt 0x0
	s_not_b32 s48, s9
	s_cmp_lg_u32 s43, s49
	s_mov_b32 s9, -1
	s_cbranch_scc0 .LBB908_634
; %bb.13:                               ;   in Loop: Header=BB908_12 Depth=1
	s_and_b32 vcc_lo, exec_lo, s56
	s_cbranch_vccz .LBB908_323
; %bb.14:                               ;   in Loop: Header=BB908_12 Depth=1
	s_mov_b32 s9, s57
	s_mov_b32 s34, s55
	s_barrier_signal -1
	s_barrier_wait -1
                                        ; implicit-def: $vgpr23
                                        ; implicit-def: $vgpr24
                                        ; implicit-def: $vgpr25
                                        ; implicit-def: $vgpr26
                                        ; implicit-def: $vgpr27
                                        ; implicit-def: $vgpr28
                                        ; implicit-def: $vgpr29
                                        ; implicit-def: $vgpr30
                                        ; implicit-def: $vgpr31
                                        ; implicit-def: $vgpr32
                                        ; implicit-def: $vgpr33
                                        ; implicit-def: $vgpr34
                                        ; implicit-def: $vgpr35
                                        ; implicit-def: $vgpr36
                                        ; implicit-def: $vgpr37
                                        ; implicit-def: $vgpr38
                                        ; implicit-def: $vgpr39
	s_branch .LBB908_16
.LBB908_15:                             ;   in Loop: Header=BB908_16 Depth=2
	s_or_b32 exec_lo, exec_lo, s10
	s_addk_co_i32 s9, 0xef00
	s_cmp_ge_u32 s12, s54
	s_mov_b32 s34, s12
	s_cbranch_scc1 .LBB908_88
.LBB908_16:                             ;   Parent Loop BB908_12 Depth=1
                                        ; =>  This Inner Loop Header: Depth=2
	s_add_co_i32 s12, s34, 0x1100
	s_mov_b32 s10, -1
	s_cmp_gt_u32 s12, s54
                                        ; implicit-def: $vgpr40
                                        ; implicit-def: $vgpr41
                                        ; implicit-def: $vgpr42
                                        ; implicit-def: $vgpr43
                                        ; implicit-def: $vgpr44
                                        ; implicit-def: $vgpr45
                                        ; implicit-def: $vgpr46
                                        ; implicit-def: $vgpr47
                                        ; implicit-def: $vgpr48
                                        ; implicit-def: $vgpr49
                                        ; implicit-def: $vgpr50
                                        ; implicit-def: $vgpr51
                                        ; implicit-def: $vgpr52
                                        ; implicit-def: $vgpr53
                                        ; implicit-def: $vgpr54
                                        ; implicit-def: $vgpr55
                                        ; implicit-def: $vgpr56
	s_cbranch_scc1 .LBB908_18
; %bb.17:                               ;   in Loop: Header=BB908_16 Depth=2
	v_lshl_add_u64 v[58:59], s[34:35], 1, v[6:7]
	s_mov_b32 s10, 0
	s_clause 0x10
	global_load_u16 v40, v[58:59], off
	global_load_u16 v41, v[58:59], off offset:512
	global_load_u16 v42, v[58:59], off offset:1024
	;; [unrolled: 1-line block ×16, first 2 shown]
.LBB908_18:                             ;   in Loop: Header=BB908_16 Depth=2
	s_and_not1_b32 vcc_lo, exec_lo, s10
	s_movk_i32 s10, 0x1100
	s_cbranch_vccnz .LBB908_38
; %bb.19:                               ;   in Loop: Header=BB908_16 Depth=2
	s_lshl_b64 s[10:11], s[34:35], 1
	s_mov_b32 s13, exec_lo
	s_add_nc_u64 s[10:11], s[40:41], s[10:11]
	s_wait_xcnt 0x0
	v_cmpx_gt_u32_e64 s9, v2
	s_cbranch_execnz .LBB908_72
; %bb.20:                               ;   in Loop: Header=BB908_16 Depth=2
	s_or_b32 exec_lo, exec_lo, s13
	s_delay_alu instid0(SALU_CYCLE_1)
	s_mov_b32 s13, exec_lo
	v_cmpx_gt_u32_e64 s9, v66
	s_cbranch_execnz .LBB908_73
.LBB908_21:                             ;   in Loop: Header=BB908_16 Depth=2
	s_or_b32 exec_lo, exec_lo, s13
	s_delay_alu instid0(SALU_CYCLE_1)
	s_mov_b32 s13, exec_lo
	v_cmpx_gt_u32_e64 s9, v67
	s_cbranch_execnz .LBB908_74
.LBB908_22:                             ;   in Loop: Header=BB908_16 Depth=2
	s_or_b32 exec_lo, exec_lo, s13
	s_delay_alu instid0(SALU_CYCLE_1)
	s_mov_b32 s13, exec_lo
	v_cmpx_gt_u32_e64 s9, v68
	s_cbranch_execnz .LBB908_75
.LBB908_23:                             ;   in Loop: Header=BB908_16 Depth=2
	s_or_b32 exec_lo, exec_lo, s13
	s_delay_alu instid0(SALU_CYCLE_1)
	s_mov_b32 s13, exec_lo
	v_cmpx_gt_u32_e64 s9, v69
	s_cbranch_execnz .LBB908_76
.LBB908_24:                             ;   in Loop: Header=BB908_16 Depth=2
	s_or_b32 exec_lo, exec_lo, s13
	s_delay_alu instid0(SALU_CYCLE_1)
	s_mov_b32 s13, exec_lo
	v_cmpx_gt_u32_e64 s9, v70
	s_cbranch_execnz .LBB908_77
.LBB908_25:                             ;   in Loop: Header=BB908_16 Depth=2
	s_or_b32 exec_lo, exec_lo, s13
	s_delay_alu instid0(SALU_CYCLE_1)
	s_mov_b32 s13, exec_lo
	v_cmpx_gt_u32_e64 s9, v71
	s_cbranch_execnz .LBB908_78
.LBB908_26:                             ;   in Loop: Header=BB908_16 Depth=2
	s_or_b32 exec_lo, exec_lo, s13
	s_delay_alu instid0(SALU_CYCLE_1)
	s_mov_b32 s13, exec_lo
	v_cmpx_gt_u32_e64 s9, v72
	s_cbranch_execnz .LBB908_79
.LBB908_27:                             ;   in Loop: Header=BB908_16 Depth=2
	s_or_b32 exec_lo, exec_lo, s13
	s_delay_alu instid0(SALU_CYCLE_1)
	s_mov_b32 s13, exec_lo
	v_cmpx_gt_u32_e64 s9, v73
	s_cbranch_execnz .LBB908_80
.LBB908_28:                             ;   in Loop: Header=BB908_16 Depth=2
	s_or_b32 exec_lo, exec_lo, s13
	s_delay_alu instid0(SALU_CYCLE_1)
	s_mov_b32 s13, exec_lo
	v_cmpx_gt_u32_e64 s9, v74
	s_cbranch_execnz .LBB908_81
.LBB908_29:                             ;   in Loop: Header=BB908_16 Depth=2
	s_or_b32 exec_lo, exec_lo, s13
	s_delay_alu instid0(SALU_CYCLE_1)
	s_mov_b32 s13, exec_lo
	v_cmpx_gt_u32_e64 s9, v75
	s_cbranch_execnz .LBB908_82
.LBB908_30:                             ;   in Loop: Header=BB908_16 Depth=2
	s_or_b32 exec_lo, exec_lo, s13
	s_delay_alu instid0(SALU_CYCLE_1)
	s_mov_b32 s13, exec_lo
	v_cmpx_gt_u32_e64 s9, v76
	s_cbranch_execnz .LBB908_83
.LBB908_31:                             ;   in Loop: Header=BB908_16 Depth=2
	s_or_b32 exec_lo, exec_lo, s13
	s_delay_alu instid0(SALU_CYCLE_1)
	s_mov_b32 s13, exec_lo
	v_cmpx_gt_u32_e64 s9, v77
	s_cbranch_execnz .LBB908_84
.LBB908_32:                             ;   in Loop: Header=BB908_16 Depth=2
	s_or_b32 exec_lo, exec_lo, s13
	s_delay_alu instid0(SALU_CYCLE_1)
	s_mov_b32 s13, exec_lo
	v_cmpx_gt_u32_e64 s9, v78
	s_cbranch_execnz .LBB908_85
.LBB908_33:                             ;   in Loop: Header=BB908_16 Depth=2
	s_or_b32 exec_lo, exec_lo, s13
	s_delay_alu instid0(SALU_CYCLE_1)
	s_mov_b32 s13, exec_lo
	v_cmpx_gt_u32_e64 s9, v79
	s_cbranch_execnz .LBB908_86
.LBB908_34:                             ;   in Loop: Header=BB908_16 Depth=2
	s_or_b32 exec_lo, exec_lo, s13
	s_delay_alu instid0(SALU_CYCLE_1)
	s_mov_b32 s13, exec_lo
	v_cmpx_gt_u32_e64 s9, v80
	s_cbranch_execnz .LBB908_87
.LBB908_35:                             ;   in Loop: Header=BB908_16 Depth=2
	s_or_b32 exec_lo, exec_lo, s13
	s_delay_alu instid0(SALU_CYCLE_1)
	s_mov_b32 s13, exec_lo
	v_cmpx_gt_u32_e64 s9, v81
	s_cbranch_execz .LBB908_37
.LBB908_36:                             ;   in Loop: Header=BB908_16 Depth=2
	global_load_u16 v23, v2, s[10:11] offset:8192 scale_offset
.LBB908_37:                             ;   in Loop: Header=BB908_16 Depth=2
	s_wait_xcnt 0x0
	s_or_b32 exec_lo, exec_lo, s13
	s_wait_loadcnt 0x0
	v_dual_mov_b32 v40, v39 :: v_dual_mov_b32 v41, v38
	v_dual_mov_b32 v42, v37 :: v_dual_mov_b32 v43, v36
	;; [unrolled: 1-line block ×8, first 2 shown]
	v_mov_b32_e32 v56, v23
	s_mov_b32 s10, s9
.LBB908_38:                             ;   in Loop: Header=BB908_16 Depth=2
	s_wait_loadcnt 0x0
	s_delay_alu instid0(VALU_DEP_1)
	v_dual_mov_b32 v23, v56 :: v_dual_mov_b32 v24, v55
	v_dual_mov_b32 v25, v54 :: v_dual_mov_b32 v26, v53
	;; [unrolled: 1-line block ×8, first 2 shown]
	v_mov_b32_e32 v39, v40
	s_mov_b32 s11, exec_lo
	s_wait_xcnt 0x0
	v_cmpx_gt_u32_e64 s10, v2
	s_cbranch_execnz .LBB908_55
; %bb.39:                               ;   in Loop: Header=BB908_16 Depth=2
	s_or_b32 exec_lo, exec_lo, s11
	s_delay_alu instid0(SALU_CYCLE_1)
	s_mov_b32 s11, exec_lo
	v_cmpx_gt_u32_e64 s10, v66
	s_cbranch_execnz .LBB908_56
.LBB908_40:                             ;   in Loop: Header=BB908_16 Depth=2
	s_or_b32 exec_lo, exec_lo, s11
	s_delay_alu instid0(SALU_CYCLE_1)
	s_mov_b32 s11, exec_lo
	v_cmpx_gt_u32_e64 s10, v67
	s_cbranch_execnz .LBB908_57
.LBB908_41:                             ;   in Loop: Header=BB908_16 Depth=2
	s_or_b32 exec_lo, exec_lo, s11
	s_delay_alu instid0(SALU_CYCLE_1)
	s_mov_b32 s11, exec_lo
	v_cmpx_gt_u32_e64 s10, v68
	s_cbranch_execnz .LBB908_58
.LBB908_42:                             ;   in Loop: Header=BB908_16 Depth=2
	s_or_b32 exec_lo, exec_lo, s11
	s_delay_alu instid0(SALU_CYCLE_1)
	s_mov_b32 s11, exec_lo
	v_cmpx_gt_u32_e64 s10, v69
	s_cbranch_execnz .LBB908_59
.LBB908_43:                             ;   in Loop: Header=BB908_16 Depth=2
	s_or_b32 exec_lo, exec_lo, s11
	s_delay_alu instid0(SALU_CYCLE_1)
	s_mov_b32 s11, exec_lo
	v_cmpx_gt_u32_e64 s10, v70
	s_cbranch_execnz .LBB908_60
.LBB908_44:                             ;   in Loop: Header=BB908_16 Depth=2
	s_or_b32 exec_lo, exec_lo, s11
	s_delay_alu instid0(SALU_CYCLE_1)
	s_mov_b32 s11, exec_lo
	v_cmpx_gt_u32_e64 s10, v71
	s_cbranch_execnz .LBB908_61
.LBB908_45:                             ;   in Loop: Header=BB908_16 Depth=2
	s_or_b32 exec_lo, exec_lo, s11
	s_delay_alu instid0(SALU_CYCLE_1)
	s_mov_b32 s11, exec_lo
	v_cmpx_gt_u32_e64 s10, v72
	s_cbranch_execnz .LBB908_62
.LBB908_46:                             ;   in Loop: Header=BB908_16 Depth=2
	s_or_b32 exec_lo, exec_lo, s11
	s_delay_alu instid0(SALU_CYCLE_1)
	s_mov_b32 s11, exec_lo
	v_cmpx_gt_u32_e64 s10, v73
	s_cbranch_execnz .LBB908_63
.LBB908_47:                             ;   in Loop: Header=BB908_16 Depth=2
	s_or_b32 exec_lo, exec_lo, s11
	s_delay_alu instid0(SALU_CYCLE_1)
	s_mov_b32 s11, exec_lo
	v_cmpx_gt_u32_e64 s10, v74
	s_cbranch_execnz .LBB908_64
.LBB908_48:                             ;   in Loop: Header=BB908_16 Depth=2
	s_or_b32 exec_lo, exec_lo, s11
	s_delay_alu instid0(SALU_CYCLE_1)
	s_mov_b32 s11, exec_lo
	v_cmpx_gt_u32_e64 s10, v75
	s_cbranch_execnz .LBB908_65
.LBB908_49:                             ;   in Loop: Header=BB908_16 Depth=2
	s_or_b32 exec_lo, exec_lo, s11
	s_delay_alu instid0(SALU_CYCLE_1)
	s_mov_b32 s11, exec_lo
	v_cmpx_gt_u32_e64 s10, v76
	s_cbranch_execnz .LBB908_66
.LBB908_50:                             ;   in Loop: Header=BB908_16 Depth=2
	s_or_b32 exec_lo, exec_lo, s11
	s_delay_alu instid0(SALU_CYCLE_1)
	s_mov_b32 s11, exec_lo
	v_cmpx_gt_u32_e64 s10, v77
	s_cbranch_execnz .LBB908_67
.LBB908_51:                             ;   in Loop: Header=BB908_16 Depth=2
	s_or_b32 exec_lo, exec_lo, s11
	s_delay_alu instid0(SALU_CYCLE_1)
	s_mov_b32 s11, exec_lo
	v_cmpx_gt_u32_e64 s10, v78
	s_cbranch_execnz .LBB908_68
.LBB908_52:                             ;   in Loop: Header=BB908_16 Depth=2
	s_or_b32 exec_lo, exec_lo, s11
	s_delay_alu instid0(SALU_CYCLE_1)
	s_mov_b32 s11, exec_lo
	v_cmpx_gt_u32_e64 s10, v79
	s_cbranch_execnz .LBB908_69
.LBB908_53:                             ;   in Loop: Header=BB908_16 Depth=2
	s_or_b32 exec_lo, exec_lo, s11
	s_delay_alu instid0(SALU_CYCLE_1)
	s_mov_b32 s11, exec_lo
	v_cmpx_gt_u32_e64 s10, v80
	s_cbranch_execnz .LBB908_70
.LBB908_54:                             ;   in Loop: Header=BB908_16 Depth=2
	s_or_b32 exec_lo, exec_lo, s11
	v_cmp_gt_u32_e32 vcc_lo, s10, v81
	s_and_saveexec_b32 s10, vcc_lo
	s_cbranch_execz .LBB908_15
	s_branch .LBB908_71
.LBB908_55:                             ;   in Loop: Header=BB908_16 Depth=2
	v_xor_b32_e32 v40, 0x7fff, v39
	s_delay_alu instid0(VALU_DEP_1) | instskip(NEXT) | instid1(VALU_DEP_1)
	v_and_b32_e32 v40, 0xffff, v40
	v_lshrrev_b32_e32 v40, s43, v40
	s_delay_alu instid0(VALU_DEP_1) | instskip(NEXT) | instid1(VALU_DEP_1)
	v_and_b32_e32 v40, s48, v40
	v_lshl_or_b32 v40, v40, 4, v83
	ds_add_u32 v40, v97
	s_or_b32 exec_lo, exec_lo, s11
	s_delay_alu instid0(SALU_CYCLE_1)
	s_mov_b32 s11, exec_lo
	v_cmpx_gt_u32_e64 s10, v66
	s_cbranch_execz .LBB908_40
.LBB908_56:                             ;   in Loop: Header=BB908_16 Depth=2
	v_xor_b32_e32 v40, 0x7fff, v38
	s_delay_alu instid0(VALU_DEP_1) | instskip(NEXT) | instid1(VALU_DEP_1)
	v_and_b32_e32 v40, 0xffff, v40
	v_lshrrev_b32_e32 v40, s43, v40
	s_delay_alu instid0(VALU_DEP_1) | instskip(NEXT) | instid1(VALU_DEP_1)
	v_and_b32_e32 v40, s48, v40
	v_lshl_or_b32 v40, v40, 4, v83
	ds_add_u32 v40, v97
	s_or_b32 exec_lo, exec_lo, s11
	s_delay_alu instid0(SALU_CYCLE_1)
	s_mov_b32 s11, exec_lo
	v_cmpx_gt_u32_e64 s10, v67
	s_cbranch_execz .LBB908_41
.LBB908_57:                             ;   in Loop: Header=BB908_16 Depth=2
	v_xor_b32_e32 v40, 0x7fff, v37
	s_delay_alu instid0(VALU_DEP_1) | instskip(NEXT) | instid1(VALU_DEP_1)
	v_and_b32_e32 v40, 0xffff, v40
	v_lshrrev_b32_e32 v40, s43, v40
	s_delay_alu instid0(VALU_DEP_1) | instskip(NEXT) | instid1(VALU_DEP_1)
	v_and_b32_e32 v40, s48, v40
	v_lshl_or_b32 v40, v40, 4, v83
	ds_add_u32 v40, v97
	s_or_b32 exec_lo, exec_lo, s11
	s_delay_alu instid0(SALU_CYCLE_1)
	s_mov_b32 s11, exec_lo
	v_cmpx_gt_u32_e64 s10, v68
	s_cbranch_execz .LBB908_42
.LBB908_58:                             ;   in Loop: Header=BB908_16 Depth=2
	v_xor_b32_e32 v40, 0x7fff, v36
	s_delay_alu instid0(VALU_DEP_1) | instskip(NEXT) | instid1(VALU_DEP_1)
	v_and_b32_e32 v40, 0xffff, v40
	v_lshrrev_b32_e32 v40, s43, v40
	s_delay_alu instid0(VALU_DEP_1) | instskip(NEXT) | instid1(VALU_DEP_1)
	v_and_b32_e32 v40, s48, v40
	v_lshl_or_b32 v40, v40, 4, v83
	ds_add_u32 v40, v97
	s_or_b32 exec_lo, exec_lo, s11
	s_delay_alu instid0(SALU_CYCLE_1)
	s_mov_b32 s11, exec_lo
	v_cmpx_gt_u32_e64 s10, v69
	s_cbranch_execz .LBB908_43
.LBB908_59:                             ;   in Loop: Header=BB908_16 Depth=2
	v_xor_b32_e32 v40, 0x7fff, v35
	s_delay_alu instid0(VALU_DEP_1) | instskip(NEXT) | instid1(VALU_DEP_1)
	v_and_b32_e32 v40, 0xffff, v40
	v_lshrrev_b32_e32 v40, s43, v40
	s_delay_alu instid0(VALU_DEP_1) | instskip(NEXT) | instid1(VALU_DEP_1)
	v_and_b32_e32 v40, s48, v40
	v_lshl_or_b32 v40, v40, 4, v83
	ds_add_u32 v40, v97
	s_or_b32 exec_lo, exec_lo, s11
	s_delay_alu instid0(SALU_CYCLE_1)
	s_mov_b32 s11, exec_lo
	v_cmpx_gt_u32_e64 s10, v70
	s_cbranch_execz .LBB908_44
.LBB908_60:                             ;   in Loop: Header=BB908_16 Depth=2
	v_xor_b32_e32 v40, 0x7fff, v34
	s_delay_alu instid0(VALU_DEP_1) | instskip(NEXT) | instid1(VALU_DEP_1)
	v_and_b32_e32 v40, 0xffff, v40
	v_lshrrev_b32_e32 v40, s43, v40
	s_delay_alu instid0(VALU_DEP_1) | instskip(NEXT) | instid1(VALU_DEP_1)
	v_and_b32_e32 v40, s48, v40
	v_lshl_or_b32 v40, v40, 4, v83
	ds_add_u32 v40, v97
	s_or_b32 exec_lo, exec_lo, s11
	s_delay_alu instid0(SALU_CYCLE_1)
	s_mov_b32 s11, exec_lo
	v_cmpx_gt_u32_e64 s10, v71
	s_cbranch_execz .LBB908_45
.LBB908_61:                             ;   in Loop: Header=BB908_16 Depth=2
	v_xor_b32_e32 v40, 0x7fff, v33
	s_delay_alu instid0(VALU_DEP_1) | instskip(NEXT) | instid1(VALU_DEP_1)
	v_and_b32_e32 v40, 0xffff, v40
	v_lshrrev_b32_e32 v40, s43, v40
	s_delay_alu instid0(VALU_DEP_1) | instskip(NEXT) | instid1(VALU_DEP_1)
	v_and_b32_e32 v40, s48, v40
	v_lshl_or_b32 v40, v40, 4, v83
	ds_add_u32 v40, v97
	s_or_b32 exec_lo, exec_lo, s11
	s_delay_alu instid0(SALU_CYCLE_1)
	s_mov_b32 s11, exec_lo
	v_cmpx_gt_u32_e64 s10, v72
	s_cbranch_execz .LBB908_46
.LBB908_62:                             ;   in Loop: Header=BB908_16 Depth=2
	v_xor_b32_e32 v40, 0x7fff, v32
	s_delay_alu instid0(VALU_DEP_1) | instskip(NEXT) | instid1(VALU_DEP_1)
	v_and_b32_e32 v40, 0xffff, v40
	v_lshrrev_b32_e32 v40, s43, v40
	s_delay_alu instid0(VALU_DEP_1) | instskip(NEXT) | instid1(VALU_DEP_1)
	v_and_b32_e32 v40, s48, v40
	v_lshl_or_b32 v40, v40, 4, v83
	ds_add_u32 v40, v97
	s_or_b32 exec_lo, exec_lo, s11
	s_delay_alu instid0(SALU_CYCLE_1)
	s_mov_b32 s11, exec_lo
	v_cmpx_gt_u32_e64 s10, v73
	s_cbranch_execz .LBB908_47
.LBB908_63:                             ;   in Loop: Header=BB908_16 Depth=2
	v_xor_b32_e32 v40, 0x7fff, v31
	s_delay_alu instid0(VALU_DEP_1) | instskip(NEXT) | instid1(VALU_DEP_1)
	v_and_b32_e32 v40, 0xffff, v40
	v_lshrrev_b32_e32 v40, s43, v40
	s_delay_alu instid0(VALU_DEP_1) | instskip(NEXT) | instid1(VALU_DEP_1)
	v_and_b32_e32 v40, s48, v40
	v_lshl_or_b32 v40, v40, 4, v83
	ds_add_u32 v40, v97
	s_or_b32 exec_lo, exec_lo, s11
	s_delay_alu instid0(SALU_CYCLE_1)
	s_mov_b32 s11, exec_lo
	v_cmpx_gt_u32_e64 s10, v74
	s_cbranch_execz .LBB908_48
.LBB908_64:                             ;   in Loop: Header=BB908_16 Depth=2
	v_xor_b32_e32 v40, 0x7fff, v30
	s_delay_alu instid0(VALU_DEP_1) | instskip(NEXT) | instid1(VALU_DEP_1)
	v_and_b32_e32 v40, 0xffff, v40
	v_lshrrev_b32_e32 v40, s43, v40
	s_delay_alu instid0(VALU_DEP_1) | instskip(NEXT) | instid1(VALU_DEP_1)
	v_and_b32_e32 v40, s48, v40
	v_lshl_or_b32 v40, v40, 4, v83
	ds_add_u32 v40, v97
	s_or_b32 exec_lo, exec_lo, s11
	s_delay_alu instid0(SALU_CYCLE_1)
	s_mov_b32 s11, exec_lo
	v_cmpx_gt_u32_e64 s10, v75
	s_cbranch_execz .LBB908_49
.LBB908_65:                             ;   in Loop: Header=BB908_16 Depth=2
	v_xor_b32_e32 v40, 0x7fff, v29
	s_delay_alu instid0(VALU_DEP_1) | instskip(NEXT) | instid1(VALU_DEP_1)
	v_and_b32_e32 v40, 0xffff, v40
	v_lshrrev_b32_e32 v40, s43, v40
	s_delay_alu instid0(VALU_DEP_1) | instskip(NEXT) | instid1(VALU_DEP_1)
	v_and_b32_e32 v40, s48, v40
	v_lshl_or_b32 v40, v40, 4, v83
	ds_add_u32 v40, v97
	s_or_b32 exec_lo, exec_lo, s11
	s_delay_alu instid0(SALU_CYCLE_1)
	s_mov_b32 s11, exec_lo
	v_cmpx_gt_u32_e64 s10, v76
	s_cbranch_execz .LBB908_50
.LBB908_66:                             ;   in Loop: Header=BB908_16 Depth=2
	v_xor_b32_e32 v40, 0x7fff, v28
	s_delay_alu instid0(VALU_DEP_1) | instskip(NEXT) | instid1(VALU_DEP_1)
	v_and_b32_e32 v40, 0xffff, v40
	v_lshrrev_b32_e32 v40, s43, v40
	s_delay_alu instid0(VALU_DEP_1) | instskip(NEXT) | instid1(VALU_DEP_1)
	v_and_b32_e32 v40, s48, v40
	v_lshl_or_b32 v40, v40, 4, v83
	ds_add_u32 v40, v97
	s_or_b32 exec_lo, exec_lo, s11
	s_delay_alu instid0(SALU_CYCLE_1)
	s_mov_b32 s11, exec_lo
	v_cmpx_gt_u32_e64 s10, v77
	s_cbranch_execz .LBB908_51
.LBB908_67:                             ;   in Loop: Header=BB908_16 Depth=2
	v_xor_b32_e32 v40, 0x7fff, v27
	s_delay_alu instid0(VALU_DEP_1) | instskip(NEXT) | instid1(VALU_DEP_1)
	v_and_b32_e32 v40, 0xffff, v40
	v_lshrrev_b32_e32 v40, s43, v40
	s_delay_alu instid0(VALU_DEP_1) | instskip(NEXT) | instid1(VALU_DEP_1)
	v_and_b32_e32 v40, s48, v40
	v_lshl_or_b32 v40, v40, 4, v83
	ds_add_u32 v40, v97
	s_or_b32 exec_lo, exec_lo, s11
	s_delay_alu instid0(SALU_CYCLE_1)
	s_mov_b32 s11, exec_lo
	v_cmpx_gt_u32_e64 s10, v78
	s_cbranch_execz .LBB908_52
.LBB908_68:                             ;   in Loop: Header=BB908_16 Depth=2
	v_xor_b32_e32 v40, 0x7fff, v26
	s_delay_alu instid0(VALU_DEP_1) | instskip(NEXT) | instid1(VALU_DEP_1)
	v_and_b32_e32 v40, 0xffff, v40
	v_lshrrev_b32_e32 v40, s43, v40
	s_delay_alu instid0(VALU_DEP_1) | instskip(NEXT) | instid1(VALU_DEP_1)
	v_and_b32_e32 v40, s48, v40
	v_lshl_or_b32 v40, v40, 4, v83
	ds_add_u32 v40, v97
	s_or_b32 exec_lo, exec_lo, s11
	s_delay_alu instid0(SALU_CYCLE_1)
	s_mov_b32 s11, exec_lo
	v_cmpx_gt_u32_e64 s10, v79
	s_cbranch_execz .LBB908_53
.LBB908_69:                             ;   in Loop: Header=BB908_16 Depth=2
	v_xor_b32_e32 v40, 0x7fff, v25
	s_delay_alu instid0(VALU_DEP_1) | instskip(NEXT) | instid1(VALU_DEP_1)
	v_and_b32_e32 v40, 0xffff, v40
	v_lshrrev_b32_e32 v40, s43, v40
	s_delay_alu instid0(VALU_DEP_1) | instskip(NEXT) | instid1(VALU_DEP_1)
	v_and_b32_e32 v40, s48, v40
	v_lshl_or_b32 v40, v40, 4, v83
	ds_add_u32 v40, v97
	s_or_b32 exec_lo, exec_lo, s11
	s_delay_alu instid0(SALU_CYCLE_1)
	s_mov_b32 s11, exec_lo
	v_cmpx_gt_u32_e64 s10, v80
	s_cbranch_execz .LBB908_54
.LBB908_70:                             ;   in Loop: Header=BB908_16 Depth=2
	v_xor_b32_e32 v40, 0x7fff, v24
	s_delay_alu instid0(VALU_DEP_1) | instskip(NEXT) | instid1(VALU_DEP_1)
	v_and_b32_e32 v40, 0xffff, v40
	v_lshrrev_b32_e32 v40, s43, v40
	s_delay_alu instid0(VALU_DEP_1) | instskip(NEXT) | instid1(VALU_DEP_1)
	v_and_b32_e32 v40, s48, v40
	v_lshl_or_b32 v40, v40, 4, v83
	ds_add_u32 v40, v97
	s_or_b32 exec_lo, exec_lo, s11
	v_cmp_gt_u32_e32 vcc_lo, s10, v81
	s_and_saveexec_b32 s10, vcc_lo
	s_cbranch_execz .LBB908_15
.LBB908_71:                             ;   in Loop: Header=BB908_16 Depth=2
	v_xor_b32_e32 v40, 0x7fff, v23
	s_delay_alu instid0(VALU_DEP_1) | instskip(NEXT) | instid1(VALU_DEP_1)
	v_and_b32_e32 v40, 0xffff, v40
	v_lshrrev_b32_e32 v40, s43, v40
	s_delay_alu instid0(VALU_DEP_1) | instskip(NEXT) | instid1(VALU_DEP_1)
	v_and_b32_e32 v40, s48, v40
	v_lshl_or_b32 v40, v40, 4, v83
	ds_add_u32 v40, v97
	s_branch .LBB908_15
.LBB908_72:                             ;   in Loop: Header=BB908_16 Depth=2
	global_load_u16 v39, v2, s[10:11] scale_offset
	s_wait_xcnt 0x0
	s_or_b32 exec_lo, exec_lo, s13
	s_delay_alu instid0(SALU_CYCLE_1)
	s_mov_b32 s13, exec_lo
	v_cmpx_gt_u32_e64 s9, v66
	s_cbranch_execz .LBB908_21
.LBB908_73:                             ;   in Loop: Header=BB908_16 Depth=2
	global_load_u16 v38, v2, s[10:11] offset:512 scale_offset
	s_wait_xcnt 0x0
	s_or_b32 exec_lo, exec_lo, s13
	s_delay_alu instid0(SALU_CYCLE_1)
	s_mov_b32 s13, exec_lo
	v_cmpx_gt_u32_e64 s9, v67
	s_cbranch_execz .LBB908_22
.LBB908_74:                             ;   in Loop: Header=BB908_16 Depth=2
	global_load_u16 v37, v2, s[10:11] offset:1024 scale_offset
	s_wait_xcnt 0x0
	s_or_b32 exec_lo, exec_lo, s13
	s_delay_alu instid0(SALU_CYCLE_1)
	s_mov_b32 s13, exec_lo
	v_cmpx_gt_u32_e64 s9, v68
	s_cbranch_execz .LBB908_23
.LBB908_75:                             ;   in Loop: Header=BB908_16 Depth=2
	global_load_u16 v36, v2, s[10:11] offset:1536 scale_offset
	s_wait_xcnt 0x0
	s_or_b32 exec_lo, exec_lo, s13
	s_delay_alu instid0(SALU_CYCLE_1)
	s_mov_b32 s13, exec_lo
	v_cmpx_gt_u32_e64 s9, v69
	s_cbranch_execz .LBB908_24
.LBB908_76:                             ;   in Loop: Header=BB908_16 Depth=2
	global_load_u16 v35, v2, s[10:11] offset:2048 scale_offset
	s_wait_xcnt 0x0
	s_or_b32 exec_lo, exec_lo, s13
	s_delay_alu instid0(SALU_CYCLE_1)
	s_mov_b32 s13, exec_lo
	v_cmpx_gt_u32_e64 s9, v70
	s_cbranch_execz .LBB908_25
.LBB908_77:                             ;   in Loop: Header=BB908_16 Depth=2
	global_load_u16 v34, v2, s[10:11] offset:2560 scale_offset
	s_wait_xcnt 0x0
	s_or_b32 exec_lo, exec_lo, s13
	s_delay_alu instid0(SALU_CYCLE_1)
	s_mov_b32 s13, exec_lo
	v_cmpx_gt_u32_e64 s9, v71
	s_cbranch_execz .LBB908_26
.LBB908_78:                             ;   in Loop: Header=BB908_16 Depth=2
	global_load_u16 v33, v2, s[10:11] offset:3072 scale_offset
	s_wait_xcnt 0x0
	s_or_b32 exec_lo, exec_lo, s13
	s_delay_alu instid0(SALU_CYCLE_1)
	s_mov_b32 s13, exec_lo
	v_cmpx_gt_u32_e64 s9, v72
	s_cbranch_execz .LBB908_27
.LBB908_79:                             ;   in Loop: Header=BB908_16 Depth=2
	global_load_u16 v32, v2, s[10:11] offset:3584 scale_offset
	s_wait_xcnt 0x0
	s_or_b32 exec_lo, exec_lo, s13
	s_delay_alu instid0(SALU_CYCLE_1)
	s_mov_b32 s13, exec_lo
	v_cmpx_gt_u32_e64 s9, v73
	s_cbranch_execz .LBB908_28
.LBB908_80:                             ;   in Loop: Header=BB908_16 Depth=2
	global_load_u16 v31, v2, s[10:11] offset:4096 scale_offset
	s_wait_xcnt 0x0
	s_or_b32 exec_lo, exec_lo, s13
	s_delay_alu instid0(SALU_CYCLE_1)
	s_mov_b32 s13, exec_lo
	v_cmpx_gt_u32_e64 s9, v74
	s_cbranch_execz .LBB908_29
.LBB908_81:                             ;   in Loop: Header=BB908_16 Depth=2
	global_load_u16 v30, v2, s[10:11] offset:4608 scale_offset
	s_wait_xcnt 0x0
	s_or_b32 exec_lo, exec_lo, s13
	s_delay_alu instid0(SALU_CYCLE_1)
	s_mov_b32 s13, exec_lo
	v_cmpx_gt_u32_e64 s9, v75
	s_cbranch_execz .LBB908_30
.LBB908_82:                             ;   in Loop: Header=BB908_16 Depth=2
	global_load_u16 v29, v2, s[10:11] offset:5120 scale_offset
	s_wait_xcnt 0x0
	s_or_b32 exec_lo, exec_lo, s13
	s_delay_alu instid0(SALU_CYCLE_1)
	s_mov_b32 s13, exec_lo
	v_cmpx_gt_u32_e64 s9, v76
	s_cbranch_execz .LBB908_31
.LBB908_83:                             ;   in Loop: Header=BB908_16 Depth=2
	global_load_u16 v28, v2, s[10:11] offset:5632 scale_offset
	s_wait_xcnt 0x0
	s_or_b32 exec_lo, exec_lo, s13
	s_delay_alu instid0(SALU_CYCLE_1)
	s_mov_b32 s13, exec_lo
	v_cmpx_gt_u32_e64 s9, v77
	s_cbranch_execz .LBB908_32
.LBB908_84:                             ;   in Loop: Header=BB908_16 Depth=2
	global_load_u16 v27, v2, s[10:11] offset:6144 scale_offset
	s_wait_xcnt 0x0
	s_or_b32 exec_lo, exec_lo, s13
	s_delay_alu instid0(SALU_CYCLE_1)
	s_mov_b32 s13, exec_lo
	v_cmpx_gt_u32_e64 s9, v78
	s_cbranch_execz .LBB908_33
.LBB908_85:                             ;   in Loop: Header=BB908_16 Depth=2
	global_load_u16 v26, v2, s[10:11] offset:6656 scale_offset
	s_wait_xcnt 0x0
	s_or_b32 exec_lo, exec_lo, s13
	s_delay_alu instid0(SALU_CYCLE_1)
	s_mov_b32 s13, exec_lo
	v_cmpx_gt_u32_e64 s9, v79
	s_cbranch_execz .LBB908_34
.LBB908_86:                             ;   in Loop: Header=BB908_16 Depth=2
	global_load_u16 v25, v2, s[10:11] offset:7168 scale_offset
	s_wait_xcnt 0x0
	s_or_b32 exec_lo, exec_lo, s13
	s_delay_alu instid0(SALU_CYCLE_1)
	s_mov_b32 s13, exec_lo
	v_cmpx_gt_u32_e64 s9, v80
	s_cbranch_execz .LBB908_35
.LBB908_87:                             ;   in Loop: Header=BB908_16 Depth=2
	global_load_u16 v24, v2, s[10:11] offset:7680 scale_offset
	s_wait_xcnt 0x0
	s_or_b32 exec_lo, exec_lo, s13
	s_delay_alu instid0(SALU_CYCLE_1)
	s_mov_b32 s13, exec_lo
	v_cmpx_gt_u32_e64 s9, v81
	s_cbranch_execnz .LBB908_36
	s_branch .LBB908_37
.LBB908_88:                             ;   in Loop: Header=BB908_12 Depth=1
	v_mov_b32_e32 v23, 0
	s_wait_dscnt 0x0
	s_barrier_signal -1
	s_barrier_wait -1
	s_and_saveexec_b32 s9, s0
	s_cbranch_execz .LBB908_90
; %bb.89:                               ;   in Loop: Header=BB908_12 Depth=1
	ds_load_2addr_b64 v[24:27], v84 offset1:1
	s_wait_dscnt 0x0
	v_add_nc_u32_e32 v23, v25, v24
	s_delay_alu instid0(VALU_DEP_1)
	v_add3_u32 v23, v23, v26, v27
.LBB908_90:                             ;   in Loop: Header=BB908_12 Depth=1
	s_or_b32 exec_lo, exec_lo, s9
	s_delay_alu instid0(VALU_DEP_1)
	v_mov_b32_dpp v24, v23 row_shr:1 row_mask:0xf bank_mask:0xf
	v_cmp_eq_u32_e64 s9, 0, v98
	v_cmp_lt_u32_e64 s10, 1, v98
	v_cmp_lt_u32_e64 s11, 3, v98
	;; [unrolled: 1-line block ×3, first 2 shown]
	v_cmp_eq_u32_e64 s13, 0, v100
	v_cndmask_b32_e64 v24, v24, 0, s9
	s_delay_alu instid0(VALU_DEP_1) | instskip(NEXT) | instid1(VALU_DEP_1)
	v_add_nc_u32_e32 v23, v24, v23
	v_mov_b32_dpp v24, v23 row_shr:2 row_mask:0xf bank_mask:0xf
	s_delay_alu instid0(VALU_DEP_1) | instskip(NEXT) | instid1(VALU_DEP_1)
	v_cndmask_b32_e64 v24, 0, v24, s10
	v_add_nc_u32_e32 v23, v23, v24
	s_delay_alu instid0(VALU_DEP_1) | instskip(NEXT) | instid1(VALU_DEP_1)
	v_mov_b32_dpp v24, v23 row_shr:4 row_mask:0xf bank_mask:0xf
	v_cndmask_b32_e64 v24, 0, v24, s11
	s_delay_alu instid0(VALU_DEP_1) | instskip(NEXT) | instid1(VALU_DEP_1)
	v_add_nc_u32_e32 v23, v23, v24
	v_mov_b32_dpp v24, v23 row_shr:8 row_mask:0xf bank_mask:0xf
	s_delay_alu instid0(VALU_DEP_1) | instskip(NEXT) | instid1(VALU_DEP_1)
	v_cndmask_b32_e64 v24, 0, v24, s12
	v_add_nc_u32_e32 v23, v23, v24
	ds_swizzle_b32 v24, v23 offset:swizzle(BROADCAST,32,15)
	s_wait_dscnt 0x0
	v_and_b32_e32 v24, v99, v24
	s_delay_alu instid0(VALU_DEP_1)
	v_add_nc_u32_e32 v23, v23, v24
	s_and_saveexec_b32 s14, s1
; %bb.91:                               ;   in Loop: Header=BB908_12 Depth=1
	ds_store_b32 v85, v23
; %bb.92:                               ;   in Loop: Header=BB908_12 Depth=1
	s_or_b32 exec_lo, exec_lo, s14
	s_wait_dscnt 0x0
	s_barrier_signal -1
	s_barrier_wait -1
	s_and_saveexec_b32 s14, s4
	s_cbranch_execz .LBB908_94
; %bb.93:                               ;   in Loop: Header=BB908_12 Depth=1
	ds_load_b32 v24, v86
	v_cmp_ne_u32_e32 vcc_lo, 0, v101
	s_wait_dscnt 0x0
	v_mov_b32_dpp v25, v24 row_shr:1 row_mask:0xf bank_mask:0xf
	s_delay_alu instid0(VALU_DEP_1) | instskip(SKIP_1) | instid1(VALU_DEP_2)
	v_cndmask_b32_e32 v25, 0, v25, vcc_lo
	v_cmp_lt_u32_e32 vcc_lo, 1, v101
	v_add_nc_u32_e32 v24, v25, v24
	s_delay_alu instid0(VALU_DEP_1) | instskip(NEXT) | instid1(VALU_DEP_1)
	v_mov_b32_dpp v25, v24 row_shr:2 row_mask:0xf bank_mask:0xf
	v_cndmask_b32_e32 v25, 0, v25, vcc_lo
	s_delay_alu instid0(VALU_DEP_1)
	v_add_nc_u32_e32 v24, v24, v25
	ds_store_b32 v86, v24
.LBB908_94:                             ;   in Loop: Header=BB908_12 Depth=1
	s_or_b32 exec_lo, exec_lo, s14
	v_mov_b32_e32 v24, 0
	s_wait_dscnt 0x0
	s_barrier_signal -1
	s_barrier_wait -1
	s_and_saveexec_b32 s14, s5
; %bb.95:                               ;   in Loop: Header=BB908_12 Depth=1
	ds_load_b32 v24, v87
; %bb.96:                               ;   in Loop: Header=BB908_12 Depth=1
	s_or_b32 exec_lo, exec_lo, s14
	v_cmp_gt_i32_e32 vcc_lo, 0, v103
	s_wait_dscnt 0x0
	s_barrier_signal -1
	s_barrier_wait -1
	v_dual_cndmask_b32 v25, v103, v96, vcc_lo :: v_dual_add_nc_u32 v23, v24, v23
	s_delay_alu instid0(VALU_DEP_1)
	v_lshlrev_b32_e32 v121, 2, v25
	ds_bpermute_b32 v23, v121, v23
	s_and_saveexec_b32 s14, s0
	s_cbranch_execz .LBB908_98
; %bb.97:                               ;   in Loop: Header=BB908_12 Depth=1
	s_wait_dscnt 0x0
	v_cndmask_b32_e64 v23, v23, v24, s8
	s_delay_alu instid0(VALU_DEP_1)
	v_add_nc_u32_e32 v23, s55, v23
	ds_store_b32 v3, v23
.LBB908_98:                             ;   in Loop: Header=BB908_12 Depth=1
	s_or_b32 exec_lo, exec_lo, s14
	s_clause 0x1
	s_load_b32 s14, s[52:53], 0x4
	s_load_b32 s16, s[52:53], 0xc
	s_mov_b32 s58, s57
                                        ; implicit-def: $vgpr30_vgpr31
                                        ; implicit-def: $vgpr32_vgpr33
                                        ; implicit-def: $vgpr34_vgpr35
                                        ; implicit-def: $vgpr36_vgpr37
                                        ; implicit-def: $vgpr38_vgpr39
                                        ; implicit-def: $vgpr40_vgpr41
                                        ; implicit-def: $vgpr42_vgpr43
                                        ; implicit-def: $vgpr44_vgpr45
                                        ; implicit-def: $vgpr46_vgpr47
                                        ; implicit-def: $vgpr48_vgpr49
                                        ; implicit-def: $vgpr50_vgpr51
                                        ; implicit-def: $vgpr52_vgpr53
                                        ; implicit-def: $vgpr54_vgpr55
                                        ; implicit-def: $vgpr56_vgpr57
                                        ; implicit-def: $vgpr58_vgpr59
                                        ; implicit-def: $vgpr60_vgpr61
                                        ; implicit-def: $vgpr122
                                        ; implicit-def: $vgpr123
                                        ; implicit-def: $vgpr124
                                        ; implicit-def: $vgpr125
                                        ; implicit-def: $vgpr126
                                        ; implicit-def: $vgpr127
                                        ; implicit-def: $vgpr128
                                        ; implicit-def: $vgpr129
                                        ; implicit-def: $vgpr130
                                        ; implicit-def: $vgpr131
                                        ; implicit-def: $vgpr132
                                        ; implicit-def: $vgpr133
                                        ; implicit-def: $vgpr134
                                        ; implicit-def: $vgpr135
                                        ; implicit-def: $vgpr136
                                        ; implicit-def: $vgpr138
                                        ; implicit-def: $vgpr139
                                        ; implicit-def: $vgpr137
                                        ; implicit-def: $vgpr140
	s_wait_kmcnt 0x0
	s_cmp_lt_u32 s42, s14
	s_cselect_b32 s34, 14, 20
	s_delay_alu instid0(SALU_CYCLE_1)
	s_add_nc_u64 s[14:15], s[52:53], s[34:35]
	s_mov_b32 s34, s55
	s_load_u16 s14, s[14:15], 0x0
	s_wait_xcnt 0x0
	v_cmp_lt_u32_e64 s15, 1, v104
	s_wait_dscnt 0x0
	s_wait_kmcnt 0x0
	v_mad_u32_u24 v23, v88, s14, v90
	s_and_b32 s14, s16, 0xffff
	v_cmp_lt_u32_e64 s16, 3, v104
	s_delay_alu instid0(VALU_DEP_2) | instskip(SKIP_2) | instid1(VALU_DEP_3)
	v_mad_u32 v24, v23, s14, v2
	v_mov_b32_e32 v23, v5
	v_cmp_eq_u32_e64 s14, 0, v104
	v_lshrrev_b32_e32 v28, 3, v24
	v_add_nc_u64_e32 v[24:25], v[0:1], v[4:5]
	s_delay_alu instid0(VALU_DEP_4) | instskip(NEXT) | instid1(VALU_DEP_3)
	v_add_nc_u64_e32 v[26:27], v[8:9], v[22:23]
	v_and_b32_e32 v23, 0x1ffffffc, v28
                                        ; implicit-def: $vgpr28_vgpr29
	s_branch .LBB908_100
.LBB908_99:                             ;   in Loop: Header=BB908_100 Depth=2
	s_or_b32 exec_lo, exec_lo, s17
	s_addk_co_i32 s58, 0xef00
	s_cmp_lt_u32 s59, s54
	s_mov_b32 s34, s59
	s_cbranch_scc0 .LBB908_322
.LBB908_100:                            ;   Parent Loop BB908_12 Depth=1
                                        ; =>  This Inner Loop Header: Depth=2
	s_add_co_i32 s59, s34, 0x1100
	s_delay_alu instid0(SALU_CYCLE_1)
	s_cmp_gt_u32 s59, s54
	s_cbranch_scc1 .LBB908_102
; %bb.101:                              ;   in Loop: Header=BB908_100 Depth=2
	s_delay_alu instid0(VALU_DEP_2)
	v_lshl_add_u64 v[62:63], s[34:35], 1, v[26:27]
	s_mov_b32 s17, -1
	s_clause 0xf
	global_load_u16 v143, v[62:63], off
	global_load_u16 v145, v[62:63], off offset:64
	global_load_u16 v147, v[62:63], off offset:128
	;; [unrolled: 1-line block ×15, first 2 shown]
	s_movk_i32 s18, 0x1100
	s_cbranch_execz .LBB908_103
	s_branch .LBB908_136
.LBB908_102:                            ;   in Loop: Header=BB908_100 Depth=2
	s_mov_b32 s17, 0
                                        ; implicit-def: $vgpr143
                                        ; implicit-def: $vgpr145
                                        ; implicit-def: $vgpr147
                                        ; implicit-def: $vgpr151
                                        ; implicit-def: $vgpr155
                                        ; implicit-def: $vgpr160
                                        ; implicit-def: $vgpr166
                                        ; implicit-def: $vgpr171
                                        ; implicit-def: $vgpr176
                                        ; implicit-def: $vgpr174
                                        ; implicit-def: $vgpr169
                                        ; implicit-def: $vgpr164
                                        ; implicit-def: $vgpr161
                                        ; implicit-def: $vgpr156
                                        ; implicit-def: $vgpr65
                                        ; implicit-def: $vgpr64
	s_movk_i32 s18, 0x1100
.LBB908_103:                            ;   in Loop: Header=BB908_100 Depth=2
	s_wait_xcnt 0x0
	v_lshl_add_u64 v[62:63], s[34:35], 1, v[26:27]
	s_wait_loadcnt 0xe
	v_mov_b32_e32 v145, 0xffff8000
	v_mov_b32_e32 v143, 0xffff8000
	s_mov_b32 s17, exec_lo
	v_cmpx_gt_u32_e64 s58, v102
	s_cbranch_execz .LBB908_105
; %bb.104:                              ;   in Loop: Header=BB908_100 Depth=2
	global_load_u16 v143, v[62:63], off
.LBB908_105:                            ;   in Loop: Header=BB908_100 Depth=2
	s_wait_xcnt 0x0
	s_or_b32 exec_lo, exec_lo, s17
	s_delay_alu instid0(SALU_CYCLE_1)
	s_mov_b32 s17, exec_lo
	v_cmpx_gt_u32_e64 s58, v105
	s_cbranch_execz .LBB908_107
; %bb.106:                              ;   in Loop: Header=BB908_100 Depth=2
	global_load_u16 v145, v[62:63], off offset:64
.LBB908_107:                            ;   in Loop: Header=BB908_100 Depth=2
	s_wait_xcnt 0x0
	s_or_b32 exec_lo, exec_lo, s17
	s_wait_loadcnt 0xc
	v_mov_b32_e32 v151, 0xffff8000
	v_mov_b32_e32 v147, 0xffff8000
	s_mov_b32 s17, exec_lo
	v_cmpx_gt_u32_e64 s58, v106
	s_cbranch_execz .LBB908_109
; %bb.108:                              ;   in Loop: Header=BB908_100 Depth=2
	global_load_u16 v147, v[62:63], off offset:128
.LBB908_109:                            ;   in Loop: Header=BB908_100 Depth=2
	s_wait_xcnt 0x0
	s_or_b32 exec_lo, exec_lo, s17
	s_delay_alu instid0(SALU_CYCLE_1)
	s_mov_b32 s17, exec_lo
	v_cmpx_gt_u32_e64 s58, v107
	s_cbranch_execz .LBB908_111
; %bb.110:                              ;   in Loop: Header=BB908_100 Depth=2
	global_load_u16 v151, v[62:63], off offset:192
.LBB908_111:                            ;   in Loop: Header=BB908_100 Depth=2
	s_wait_xcnt 0x0
	s_or_b32 exec_lo, exec_lo, s17
	s_wait_loadcnt 0xa
	v_dual_mov_b32 v160, 0xffff8000 :: v_dual_mov_b32 v155, 0xffff8000
	s_mov_b32 s17, exec_lo
	v_cmpx_gt_u32_e64 s58, v108
	s_cbranch_execz .LBB908_113
; %bb.112:                              ;   in Loop: Header=BB908_100 Depth=2
	global_load_u16 v155, v[62:63], off offset:256
.LBB908_113:                            ;   in Loop: Header=BB908_100 Depth=2
	s_wait_xcnt 0x0
	s_or_b32 exec_lo, exec_lo, s17
	s_delay_alu instid0(SALU_CYCLE_1)
	s_mov_b32 s17, exec_lo
	v_cmpx_gt_u32_e64 s58, v109
	s_cbranch_execz .LBB908_115
; %bb.114:                              ;   in Loop: Header=BB908_100 Depth=2
	global_load_u16 v160, v[62:63], off offset:320
.LBB908_115:                            ;   in Loop: Header=BB908_100 Depth=2
	s_wait_xcnt 0x0
	s_or_b32 exec_lo, exec_lo, s17
	s_wait_loadcnt 0x8
	v_dual_mov_b32 v171, 0xffff8000 :: v_dual_mov_b32 v166, 0xffff8000
	s_mov_b32 s17, exec_lo
	v_cmpx_gt_u32_e64 s58, v110
	s_cbranch_execz .LBB908_117
; %bb.116:                              ;   in Loop: Header=BB908_100 Depth=2
	global_load_u16 v166, v[62:63], off offset:384
.LBB908_117:                            ;   in Loop: Header=BB908_100 Depth=2
	s_wait_xcnt 0x0
	s_or_b32 exec_lo, exec_lo, s17
	s_delay_alu instid0(SALU_CYCLE_1)
	s_mov_b32 s17, exec_lo
	v_cmpx_gt_u32_e64 s58, v111
	s_cbranch_execz .LBB908_119
; %bb.118:                              ;   in Loop: Header=BB908_100 Depth=2
	global_load_u16 v171, v[62:63], off offset:448
.LBB908_119:                            ;   in Loop: Header=BB908_100 Depth=2
	s_wait_xcnt 0x0
	s_or_b32 exec_lo, exec_lo, s17
	s_wait_loadcnt 0x6
	v_mov_b32_e32 v174, 0xffff8000
	v_mov_b32_e32 v176, 0xffff8000
	s_mov_b32 s17, exec_lo
	v_cmpx_gt_u32_e64 s58, v112
	s_cbranch_execz .LBB908_121
; %bb.120:                              ;   in Loop: Header=BB908_100 Depth=2
	global_load_u16 v176, v[62:63], off offset:512
.LBB908_121:                            ;   in Loop: Header=BB908_100 Depth=2
	s_wait_xcnt 0x0
	s_or_b32 exec_lo, exec_lo, s17
	s_delay_alu instid0(SALU_CYCLE_1)
	s_mov_b32 s17, exec_lo
	v_cmpx_gt_u32_e64 s58, v113
	s_cbranch_execz .LBB908_123
; %bb.122:                              ;   in Loop: Header=BB908_100 Depth=2
	global_load_u16 v174, v[62:63], off offset:576
.LBB908_123:                            ;   in Loop: Header=BB908_100 Depth=2
	s_wait_xcnt 0x0
	s_or_b32 exec_lo, exec_lo, s17
	s_wait_loadcnt 0x4
	v_dual_mov_b32 v164, 0xffff8000 :: v_dual_mov_b32 v169, 0xffff8000
	s_mov_b32 s17, exec_lo
	v_cmpx_gt_u32_e64 s58, v114
	s_cbranch_execz .LBB908_125
; %bb.124:                              ;   in Loop: Header=BB908_100 Depth=2
	global_load_u16 v169, v[62:63], off offset:640
.LBB908_125:                            ;   in Loop: Header=BB908_100 Depth=2
	s_wait_xcnt 0x0
	s_or_b32 exec_lo, exec_lo, s17
	s_delay_alu instid0(SALU_CYCLE_1)
	s_mov_b32 s17, exec_lo
	v_cmpx_gt_u32_e64 s58, v115
	s_cbranch_execz .LBB908_127
; %bb.126:                              ;   in Loop: Header=BB908_100 Depth=2
	global_load_u16 v164, v[62:63], off offset:704
.LBB908_127:                            ;   in Loop: Header=BB908_100 Depth=2
	s_wait_xcnt 0x0
	s_or_b32 exec_lo, exec_lo, s17
	s_wait_loadcnt 0x2
	v_dual_mov_b32 v156, 0xffff8000 :: v_dual_mov_b32 v161, 0xffff8000
	;; [unrolled: 19-line block ×3, first 2 shown]
	s_mov_b32 s17, exec_lo
	v_cmpx_gt_u32_e64 s58, v118
	s_cbranch_execz .LBB908_133
; %bb.132:                              ;   in Loop: Header=BB908_100 Depth=2
	global_load_u16 v65, v[62:63], off offset:896
.LBB908_133:                            ;   in Loop: Header=BB908_100 Depth=2
	s_wait_xcnt 0x0
	s_or_b32 exec_lo, exec_lo, s17
	s_delay_alu instid0(SALU_CYCLE_1)
	s_mov_b32 s17, exec_lo
	v_cmpx_gt_u32_e64 s58, v119
	s_cbranch_execz .LBB908_135
; %bb.134:                              ;   in Loop: Header=BB908_100 Depth=2
	global_load_u16 v64, v[62:63], off offset:960
.LBB908_135:                            ;   in Loop: Header=BB908_100 Depth=2
	s_wait_xcnt 0x0
	s_or_b32 exec_lo, exec_lo, s17
	v_cmp_gt_u32_e64 s17, s58, v120
	s_sub_co_i32 s18, s54, s34
.LBB908_136:                            ;   in Loop: Header=BB908_100 Depth=2
	v_dual_mov_b32 v142, -1 :: v_dual_mov_b32 v141, s58
	s_wait_xcnt 0x0
	s_and_saveexec_b32 s19, s17
	s_cbranch_execz .LBB908_138
; %bb.137:                              ;   in Loop: Header=BB908_100 Depth=2
	v_lshl_add_u64 v[62:63], s[34:35], 1, v[26:27]
	v_mov_b32_e32 v141, s18
	global_load_u16 v62, v[62:63], off offset:1024
	s_wait_loadcnt 0x0
	v_xor_b32_e32 v142, 0x7fff, v62
.LBB908_138:                            ;   in Loop: Header=BB908_100 Depth=2
	s_wait_xcnt 0x0
	s_or_b32 exec_lo, exec_lo, s19
	s_wait_loadcnt 0xf
	v_xor_b32_e32 v143, 0x7fff, v143
	ds_store_2addr_b32 v89, v5, v5 offset0:136 offset1:137
	ds_store_2addr_b32 v89, v5, v5 offset0:138 offset1:139
	ds_store_b32 v89, v5 offset:560
	s_wait_loadcnt_dscnt 0x0
	s_barrier_signal -1
	s_barrier_wait -1
	v_and_b32_e32 v62, 0xffff, v143
	; wave barrier
	s_delay_alu instid0(VALU_DEP_1) | instskip(NEXT) | instid1(VALU_DEP_1)
	v_lshrrev_b32_e32 v62, s43, v62
	v_bitop3_b32 v63, v62, 1, s48 bitop3:0x80
	v_and_b32_e32 v146, s48, v62
	s_delay_alu instid0(VALU_DEP_2) | instskip(NEXT) | instid1(VALU_DEP_1)
	v_add_co_u32 v62, s17, v63, -1
	v_cndmask_b32_e64 v63, 0, 1, s17
	s_delay_alu instid0(VALU_DEP_3) | instskip(NEXT) | instid1(VALU_DEP_2)
	v_dual_lshlrev_b32 v144, 30, v146 :: v_dual_lshlrev_b32 v148, 29, v146
	v_cmp_ne_u32_e32 vcc_lo, 0, v63
	s_delay_alu instid0(VALU_DEP_2) | instskip(SKIP_1) | instid1(VALU_DEP_4)
	v_cmp_gt_i32_e64 s17, 0, v144
	v_not_b32_e32 v63, v144
	v_not_b32_e32 v144, v148
	v_cmp_gt_i32_e64 s18, 0, v148
	v_bitop3_b32 v62, vcc_lo, exec_lo, v62 bitop3:0x48
	s_delay_alu instid0(VALU_DEP_3) | instskip(SKIP_2) | instid1(VALU_DEP_3)
	v_dual_ashrrev_i32 v63, 31, v63 :: v_dual_ashrrev_i32 v144, 31, v144
	v_dual_lshlrev_b32 v149, 28, v146 :: v_dual_lshlrev_b32 v150, 27, v146
	v_dual_lshlrev_b32 v152, 26, v146 :: v_dual_lshlrev_b32 v153, 25, v146
	v_xor_b32_e32 v144, s18, v144
	s_delay_alu instid0(VALU_DEP_3)
	v_cmp_gt_i32_e64 s19, 0, v149
	v_not_b32_e32 v148, v149
	v_not_b32_e32 v149, v150
	v_cmp_gt_i32_e64 s20, 0, v150
	v_cmp_gt_i32_e64 s21, 0, v152
	v_not_b32_e32 v150, v152
	v_not_b32_e32 v152, v153
	v_dual_ashrrev_i32 v148, 31, v148 :: v_dual_ashrrev_i32 v149, 31, v149
	s_delay_alu instid0(VALU_DEP_3) | instskip(SKIP_1) | instid1(VALU_DEP_3)
	v_dual_ashrrev_i32 v150, 31, v150 :: v_dual_bitop2_b32 v63, s17, v63 bitop3:0x14
	v_cmp_gt_i32_e64 s22, 0, v153
	v_dual_ashrrev_i32 v152, 31, v152 :: v_dual_bitop2_b32 v149, s20, v149 bitop3:0x14
	s_delay_alu instid0(VALU_DEP_4) | instskip(NEXT) | instid1(VALU_DEP_4)
	v_xor_b32_e32 v148, s19, v148
	v_bitop3_b32 v62, v62, v144, v63 bitop3:0x80
	v_xor_b32_e32 v63, s21, v150
	s_delay_alu instid0(VALU_DEP_4) | instskip(NEXT) | instid1(VALU_DEP_3)
	v_xor_b32_e32 v144, s22, v152
	v_bitop3_b32 v62, v62, v149, v148 bitop3:0x80
	s_delay_alu instid0(VALU_DEP_1) | instskip(SKIP_1) | instid1(VALU_DEP_2)
	v_bitop3_b32 v62, v62, v144, v63 bitop3:0x80
	v_mul_u32_u24_e32 v63, 36, v146
	v_mbcnt_lo_u32_b32 v144, v62, 0
	v_cmp_ne_u32_e64 s17, 0, v62
	s_delay_alu instid0(VALU_DEP_3) | instskip(NEXT) | instid1(VALU_DEP_3)
	v_add_nc_u32_e32 v146, v23, v63
	v_cmp_eq_u32_e32 vcc_lo, 0, v144
	s_and_b32 s18, s17, vcc_lo
	s_delay_alu instid0(SALU_CYCLE_1)
	s_and_saveexec_b32 s17, s18
; %bb.139:                              ;   in Loop: Header=BB908_100 Depth=2
	v_bcnt_u32_b32 v62, v62, 0
	ds_store_b32 v146, v62 offset:544
; %bb.140:                              ;   in Loop: Header=BB908_100 Depth=2
	s_or_b32 exec_lo, exec_lo, s17
	v_xor_b32_e32 v145, 0x7fff, v145
	; wave barrier
	s_delay_alu instid0(VALU_DEP_1) | instskip(NEXT) | instid1(VALU_DEP_1)
	v_and_b32_e32 v62, 0xffff, v145
	v_lshrrev_b32_e32 v62, s43, v62
	s_delay_alu instid0(VALU_DEP_1) | instskip(SKIP_1) | instid1(VALU_DEP_2)
	v_bitop3_b32 v63, v62, 1, s48 bitop3:0x80
	v_and_b32_e32 v150, s48, v62
	v_add_co_u32 v62, s17, v63, -1
	s_delay_alu instid0(VALU_DEP_1) | instskip(NEXT) | instid1(VALU_DEP_3)
	v_cndmask_b32_e64 v63, 0, 1, s17
	v_dual_lshlrev_b32 v148, 30, v150 :: v_dual_lshlrev_b32 v149, 29, v150
	s_delay_alu instid0(VALU_DEP_2) | instskip(NEXT) | instid1(VALU_DEP_2)
	v_cmp_ne_u32_e32 vcc_lo, 0, v63
	v_cmp_gt_i32_e64 s17, 0, v148
	v_not_b32_e32 v63, v148
	s_delay_alu instid0(VALU_DEP_4) | instskip(SKIP_2) | instid1(VALU_DEP_3)
	v_not_b32_e32 v148, v149
	v_cmp_gt_i32_e64 s18, 0, v149
	v_bitop3_b32 v62, vcc_lo, exec_lo, v62 bitop3:0x48
	v_dual_ashrrev_i32 v63, 31, v63 :: v_dual_ashrrev_i32 v148, 31, v148
	v_dual_lshlrev_b32 v152, 28, v150 :: v_dual_lshlrev_b32 v153, 27, v150
	v_dual_lshlrev_b32 v154, 26, v150 :: v_dual_lshlrev_b32 v157, 25, v150
	s_delay_alu instid0(VALU_DEP_2) | instskip(SKIP_1) | instid1(VALU_DEP_4)
	v_cmp_gt_i32_e64 s19, 0, v152
	v_not_b32_e32 v149, v152
	v_cmp_gt_i32_e64 s20, 0, v153
	v_not_b32_e32 v152, v153
	;; [unrolled: 2-line block ×3, first 2 shown]
	v_not_b32_e32 v154, v157
	v_xor_b32_e32 v63, s17, v63
	v_dual_ashrrev_i32 v149, 31, v149 :: v_dual_bitop2_b32 v148, s18, v148 bitop3:0x14
	s_delay_alu instid0(VALU_DEP_4) | instskip(NEXT) | instid1(VALU_DEP_4)
	v_dual_ashrrev_i32 v152, 31, v152 :: v_dual_ashrrev_i32 v153, 31, v153
	v_ashrrev_i32_e32 v154, 31, v154
	s_delay_alu instid0(VALU_DEP_3)
	v_bitop3_b32 v62, v62, v148, v63 bitop3:0x80
	v_mad_u32_u24 v63, v150, 36, v23
	v_cmp_gt_i32_e64 s22, 0, v157
	v_xor_b32_e32 v152, s20, v152
	v_xor_b32_e32 v153, s21, v153
	ds_load_b32 v148, v63 offset:544
	v_mul_u32_u24_e32 v63, 36, v150
	v_xor_b32_e32 v149, s19, v149
	v_xor_b32_e32 v154, s22, v154
	; wave barrier
	s_delay_alu instid0(VALU_DEP_3) | instskip(NEXT) | instid1(VALU_DEP_3)
	v_add_nc_u32_e32 v150, v23, v63
	v_bitop3_b32 v62, v62, v152, v149 bitop3:0x80
	s_delay_alu instid0(VALU_DEP_1) | instskip(NEXT) | instid1(VALU_DEP_1)
	v_bitop3_b32 v62, v62, v154, v153 bitop3:0x80
	v_mbcnt_lo_u32_b32 v149, v62, 0
	v_cmp_ne_u32_e64 s17, 0, v62
	s_delay_alu instid0(VALU_DEP_2) | instskip(SKIP_1) | instid1(SALU_CYCLE_1)
	v_cmp_eq_u32_e32 vcc_lo, 0, v149
	s_and_b32 s18, s17, vcc_lo
	s_and_saveexec_b32 s17, s18
	s_cbranch_execz .LBB908_142
; %bb.141:                              ;   in Loop: Header=BB908_100 Depth=2
	s_wait_dscnt 0x0
	v_bcnt_u32_b32 v62, v62, v148
	ds_store_b32 v150, v62 offset:544
.LBB908_142:                            ;   in Loop: Header=BB908_100 Depth=2
	s_or_b32 exec_lo, exec_lo, s17
	v_xor_b32_e32 v147, 0x7fff, v147
	; wave barrier
	s_delay_alu instid0(VALU_DEP_1) | instskip(NEXT) | instid1(VALU_DEP_1)
	v_and_b32_e32 v62, 0xffff, v147
	v_lshrrev_b32_e32 v62, s43, v62
	s_delay_alu instid0(VALU_DEP_1) | instskip(SKIP_1) | instid1(VALU_DEP_2)
	v_bitop3_b32 v63, v62, 1, s48 bitop3:0x80
	v_and_b32_e32 v154, s48, v62
	v_add_co_u32 v62, s17, v63, -1
	s_delay_alu instid0(VALU_DEP_1) | instskip(NEXT) | instid1(VALU_DEP_3)
	v_cndmask_b32_e64 v63, 0, 1, s17
	v_dual_lshlrev_b32 v152, 30, v154 :: v_dual_lshlrev_b32 v153, 29, v154
	s_delay_alu instid0(VALU_DEP_2) | instskip(NEXT) | instid1(VALU_DEP_2)
	v_cmp_ne_u32_e32 vcc_lo, 0, v63
	v_cmp_gt_i32_e64 s17, 0, v152
	v_not_b32_e32 v63, v152
	s_delay_alu instid0(VALU_DEP_4) | instskip(SKIP_2) | instid1(VALU_DEP_3)
	v_not_b32_e32 v152, v153
	v_cmp_gt_i32_e64 s18, 0, v153
	v_bitop3_b32 v62, vcc_lo, exec_lo, v62 bitop3:0x48
	v_dual_ashrrev_i32 v63, 31, v63 :: v_dual_ashrrev_i32 v152, 31, v152
	v_dual_lshlrev_b32 v157, 28, v154 :: v_dual_lshlrev_b32 v158, 27, v154
	v_dual_lshlrev_b32 v159, 26, v154 :: v_dual_lshlrev_b32 v162, 25, v154
	s_delay_alu instid0(VALU_DEP_3) | instskip(NEXT) | instid1(VALU_DEP_3)
	v_xor_b32_e32 v63, s17, v63
	v_cmp_gt_i32_e64 s19, 0, v157
	v_not_b32_e32 v153, v157
	v_not_b32_e32 v157, v158
	v_xor_b32_e32 v152, s18, v152
	v_cmp_gt_i32_e64 s20, 0, v158
	v_cmp_gt_i32_e64 s21, 0, v159
	v_ashrrev_i32_e32 v153, 31, v153
	v_ashrrev_i32_e32 v157, 31, v157
	v_not_b32_e32 v158, v159
	v_not_b32_e32 v159, v162
	v_bitop3_b32 v62, v62, v152, v63 bitop3:0x80
	v_mad_u32_u24 v63, v154, 36, v23
	v_cmp_gt_i32_e64 s22, 0, v162
	s_delay_alu instid0(VALU_DEP_4)
	v_dual_ashrrev_i32 v158, 31, v158 :: v_dual_ashrrev_i32 v159, 31, v159
	v_xor_b32_e32 v157, s20, v157
	ds_load_b32 v152, v63 offset:544
	v_mul_u32_u24_e32 v63, 36, v154
	v_xor_b32_e32 v153, s19, v153
	v_xor_b32_e32 v158, s21, v158
	;; [unrolled: 1-line block ×3, first 2 shown]
	s_delay_alu instid0(VALU_DEP_4) | instskip(NEXT) | instid1(VALU_DEP_4)
	v_add_nc_u32_e32 v154, v23, v63
	v_bitop3_b32 v62, v62, v157, v153 bitop3:0x80
	; wave barrier
	s_delay_alu instid0(VALU_DEP_1) | instskip(NEXT) | instid1(VALU_DEP_1)
	v_bitop3_b32 v62, v62, v159, v158 bitop3:0x80
	v_mbcnt_lo_u32_b32 v153, v62, 0
	v_cmp_ne_u32_e64 s17, 0, v62
	s_delay_alu instid0(VALU_DEP_2) | instskip(SKIP_1) | instid1(SALU_CYCLE_1)
	v_cmp_eq_u32_e32 vcc_lo, 0, v153
	s_and_b32 s18, s17, vcc_lo
	s_and_saveexec_b32 s17, s18
	s_cbranch_execz .LBB908_144
; %bb.143:                              ;   in Loop: Header=BB908_100 Depth=2
	s_wait_dscnt 0x0
	v_bcnt_u32_b32 v62, v62, v152
	ds_store_b32 v154, v62 offset:544
.LBB908_144:                            ;   in Loop: Header=BB908_100 Depth=2
	s_or_b32 exec_lo, exec_lo, s17
	v_xor_b32_e32 v151, 0x7fff, v151
	; wave barrier
	s_delay_alu instid0(VALU_DEP_1) | instskip(NEXT) | instid1(VALU_DEP_1)
	v_and_b32_e32 v62, 0xffff, v151
	v_lshrrev_b32_e32 v62, s43, v62
	s_delay_alu instid0(VALU_DEP_1) | instskip(NEXT) | instid1(VALU_DEP_1)
	v_and_b32_e32 v159, s48, v62
	v_lshlrev_b32_e32 v157, 30, v159
	v_bitop3_b32 v63, v62, 1, s48 bitop3:0x80
	s_delay_alu instid0(VALU_DEP_1) | instskip(NEXT) | instid1(VALU_DEP_1)
	v_add_co_u32 v62, s17, v63, -1
	v_cndmask_b32_e64 v63, 0, 1, s17
	s_delay_alu instid0(VALU_DEP_4) | instskip(NEXT) | instid1(VALU_DEP_2)
	v_cmp_gt_i32_e64 s17, 0, v157
	v_cmp_ne_u32_e32 vcc_lo, 0, v63
	v_not_b32_e32 v63, v157
	v_bitop3_b32 v62, vcc_lo, exec_lo, v62 bitop3:0x48
	s_delay_alu instid0(VALU_DEP_2) | instskip(SKIP_2) | instid1(VALU_DEP_3)
	v_ashrrev_i32_e32 v63, 31, v63
	v_dual_lshlrev_b32 v158, 29, v159 :: v_dual_lshlrev_b32 v162, 28, v159
	v_dual_lshlrev_b32 v163, 27, v159 :: v_dual_lshlrev_b32 v165, 26, v159
	v_xor_b32_e32 v63, s17, v63
	s_delay_alu instid0(VALU_DEP_3)
	v_not_b32_e32 v157, v158
	v_lshlrev_b32_e32 v167, 25, v159
	v_cmp_gt_i32_e64 s18, 0, v158
	v_cmp_gt_i32_e64 s19, 0, v162
	v_not_b32_e32 v158, v162
	v_not_b32_e32 v162, v163
	v_ashrrev_i32_e32 v157, 31, v157
	v_cmp_gt_i32_e64 s20, 0, v163
	v_cmp_gt_i32_e64 s21, 0, v165
	v_ashrrev_i32_e32 v158, 31, v158
	s_delay_alu instid0(VALU_DEP_4) | instskip(SKIP_3) | instid1(VALU_DEP_4)
	v_dual_ashrrev_i32 v162, 31, v162 :: v_dual_bitop2_b32 v157, s18, v157 bitop3:0x14
	v_not_b32_e32 v163, v165
	v_not_b32_e32 v165, v167
	v_cmp_gt_i32_e64 s22, 0, v167
	v_xor_b32_e32 v162, s20, v162
	v_bitop3_b32 v62, v62, v157, v63 bitop3:0x80
	v_mad_u32_u24 v63, v159, 36, v23
	v_dual_ashrrev_i32 v163, 31, v163 :: v_dual_ashrrev_i32 v165, 31, v165
	ds_load_b32 v157, v63 offset:544
	v_mul_u32_u24_e32 v63, 36, v159
	v_xor_b32_e32 v158, s19, v158
	v_xor_b32_e32 v163, s21, v163
	;; [unrolled: 1-line block ×3, first 2 shown]
	s_delay_alu instid0(VALU_DEP_4) | instskip(NEXT) | instid1(VALU_DEP_4)
	v_add_nc_u32_e32 v159, v23, v63
	v_bitop3_b32 v62, v62, v162, v158 bitop3:0x80
	; wave barrier
	s_delay_alu instid0(VALU_DEP_1) | instskip(NEXT) | instid1(VALU_DEP_1)
	v_bitop3_b32 v62, v62, v165, v163 bitop3:0x80
	v_mbcnt_lo_u32_b32 v158, v62, 0
	v_cmp_ne_u32_e64 s17, 0, v62
	s_delay_alu instid0(VALU_DEP_2) | instskip(SKIP_1) | instid1(SALU_CYCLE_1)
	v_cmp_eq_u32_e32 vcc_lo, 0, v158
	s_and_b32 s18, s17, vcc_lo
	s_and_saveexec_b32 s17, s18
	s_cbranch_execz .LBB908_146
; %bb.145:                              ;   in Loop: Header=BB908_100 Depth=2
	s_wait_dscnt 0x0
	v_bcnt_u32_b32 v62, v62, v157
	ds_store_b32 v159, v62 offset:544
.LBB908_146:                            ;   in Loop: Header=BB908_100 Depth=2
	s_or_b32 exec_lo, exec_lo, s17
	v_xor_b32_e32 v155, 0x7fff, v155
	; wave barrier
	s_delay_alu instid0(VALU_DEP_1) | instskip(NEXT) | instid1(VALU_DEP_1)
	v_and_b32_e32 v62, 0xffff, v155
	v_lshrrev_b32_e32 v62, s43, v62
	s_delay_alu instid0(VALU_DEP_1) | instskip(NEXT) | instid1(VALU_DEP_1)
	v_and_b32_e32 v165, s48, v62
	v_lshlrev_b32_e32 v162, 30, v165
	v_bitop3_b32 v63, v62, 1, s48 bitop3:0x80
	s_delay_alu instid0(VALU_DEP_1) | instskip(NEXT) | instid1(VALU_DEP_1)
	v_add_co_u32 v62, s17, v63, -1
	v_cndmask_b32_e64 v63, 0, 1, s17
	s_delay_alu instid0(VALU_DEP_4) | instskip(NEXT) | instid1(VALU_DEP_2)
	v_cmp_gt_i32_e64 s17, 0, v162
	v_cmp_ne_u32_e32 vcc_lo, 0, v63
	v_not_b32_e32 v63, v162
	v_bitop3_b32 v62, vcc_lo, exec_lo, v62 bitop3:0x48
	s_delay_alu instid0(VALU_DEP_2) | instskip(SKIP_2) | instid1(VALU_DEP_3)
	v_dual_ashrrev_i32 v63, 31, v63 :: v_dual_lshlrev_b32 v163, 29, v165
	v_dual_lshlrev_b32 v167, 28, v165 :: v_dual_lshlrev_b32 v168, 27, v165
	v_lshlrev_b32_e32 v170, 26, v165
	v_not_b32_e32 v162, v163
	v_lshlrev_b32_e32 v172, 25, v165
	v_cmp_gt_i32_e64 s18, 0, v163
	v_cmp_gt_i32_e64 s19, 0, v167
	v_not_b32_e32 v163, v167
	v_not_b32_e32 v167, v168
	v_ashrrev_i32_e32 v162, 31, v162
	v_cmp_gt_i32_e64 s20, 0, v168
	v_cmp_gt_i32_e64 s21, 0, v170
	v_not_b32_e32 v168, v170
	v_not_b32_e32 v170, v172
	v_dual_ashrrev_i32 v163, 31, v163 :: v_dual_bitop2_b32 v162, s18, v162 bitop3:0x14
	s_delay_alu instid0(VALU_DEP_3) | instskip(NEXT) | instid1(VALU_DEP_3)
	v_dual_ashrrev_i32 v167, 31, v167 :: v_dual_ashrrev_i32 v168, 31, v168
	v_dual_ashrrev_i32 v170, 31, v170 :: v_dual_bitop2_b32 v63, s17, v63 bitop3:0x14
	v_cmp_gt_i32_e64 s22, 0, v172
	s_delay_alu instid0(VALU_DEP_4) | instskip(NEXT) | instid1(VALU_DEP_4)
	v_xor_b32_e32 v163, s19, v163
	v_xor_b32_e32 v167, s20, v167
	s_delay_alu instid0(VALU_DEP_4) | instskip(SKIP_2) | instid1(VALU_DEP_3)
	v_bitop3_b32 v62, v62, v162, v63 bitop3:0x80
	v_mad_u32_u24 v63, v165, 36, v23
	v_xor_b32_e32 v170, s22, v170
	v_bitop3_b32 v62, v62, v167, v163 bitop3:0x80
	ds_load_b32 v162, v63 offset:544
	v_mul_u32_u24_e32 v63, 36, v165
	v_xor_b32_e32 v168, s21, v168
	; wave barrier
	s_delay_alu instid0(VALU_DEP_2) | instskip(NEXT) | instid1(VALU_DEP_2)
	v_add_nc_u32_e32 v165, v23, v63
	v_bitop3_b32 v62, v62, v170, v168 bitop3:0x80
	s_delay_alu instid0(VALU_DEP_1) | instskip(SKIP_1) | instid1(VALU_DEP_2)
	v_mbcnt_lo_u32_b32 v163, v62, 0
	v_cmp_ne_u32_e64 s17, 0, v62
	v_cmp_eq_u32_e32 vcc_lo, 0, v163
	s_and_b32 s18, s17, vcc_lo
	s_delay_alu instid0(SALU_CYCLE_1)
	s_and_saveexec_b32 s17, s18
	s_cbranch_execz .LBB908_148
; %bb.147:                              ;   in Loop: Header=BB908_100 Depth=2
	s_wait_dscnt 0x0
	v_bcnt_u32_b32 v62, v62, v162
	ds_store_b32 v165, v62 offset:544
.LBB908_148:                            ;   in Loop: Header=BB908_100 Depth=2
	s_or_b32 exec_lo, exec_lo, s17
	v_xor_b32_e32 v160, 0x7fff, v160
	; wave barrier
	s_delay_alu instid0(VALU_DEP_1) | instskip(NEXT) | instid1(VALU_DEP_1)
	v_and_b32_e32 v62, 0xffff, v160
	v_lshrrev_b32_e32 v62, s43, v62
	s_delay_alu instid0(VALU_DEP_1) | instskip(SKIP_1) | instid1(VALU_DEP_2)
	v_bitop3_b32 v63, v62, 1, s48 bitop3:0x80
	v_and_b32_e32 v170, s48, v62
	v_add_co_u32 v62, s17, v63, -1
	s_delay_alu instid0(VALU_DEP_1) | instskip(NEXT) | instid1(VALU_DEP_3)
	v_cndmask_b32_e64 v63, 0, 1, s17
	v_dual_lshlrev_b32 v167, 30, v170 :: v_dual_lshlrev_b32 v168, 29, v170
	s_delay_alu instid0(VALU_DEP_2) | instskip(NEXT) | instid1(VALU_DEP_2)
	v_cmp_ne_u32_e32 vcc_lo, 0, v63
	v_cmp_gt_i32_e64 s17, 0, v167
	v_not_b32_e32 v63, v167
	s_delay_alu instid0(VALU_DEP_4) | instskip(SKIP_2) | instid1(VALU_DEP_4)
	v_not_b32_e32 v167, v168
	v_cmp_gt_i32_e64 s18, 0, v168
	v_bitop3_b32 v62, vcc_lo, exec_lo, v62 bitop3:0x48
	v_ashrrev_i32_e32 v63, 31, v63
	s_delay_alu instid0(VALU_DEP_4) | instskip(SKIP_1) | instid1(VALU_DEP_3)
	v_dual_ashrrev_i32 v167, 31, v167 :: v_dual_lshlrev_b32 v172, 28, v170
	v_dual_lshlrev_b32 v173, 27, v170 :: v_dual_lshlrev_b32 v175, 26, v170
	v_dual_lshlrev_b32 v177, 25, v170 :: v_dual_bitop2_b32 v63, s17, v63 bitop3:0x14
	s_delay_alu instid0(VALU_DEP_3) | instskip(SKIP_1) | instid1(VALU_DEP_4)
	v_cmp_gt_i32_e64 s19, 0, v172
	v_not_b32_e32 v168, v172
	v_not_b32_e32 v172, v173
	v_xor_b32_e32 v167, s18, v167
	v_cmp_gt_i32_e64 s20, 0, v173
	v_cmp_gt_i32_e64 s21, 0, v175
	v_ashrrev_i32_e32 v168, 31, v168
	v_ashrrev_i32_e32 v172, 31, v172
	v_not_b32_e32 v173, v175
	v_not_b32_e32 v175, v177
	v_bitop3_b32 v62, v62, v167, v63 bitop3:0x80
	v_mad_u32_u24 v63, v170, 36, v23
	v_cmp_gt_i32_e64 s22, 0, v177
	s_delay_alu instid0(VALU_DEP_4)
	v_dual_ashrrev_i32 v173, 31, v173 :: v_dual_ashrrev_i32 v175, 31, v175
	v_xor_b32_e32 v172, s20, v172
	ds_load_b32 v167, v63 offset:544
	v_mul_u32_u24_e32 v63, 36, v170
	v_xor_b32_e32 v168, s19, v168
	v_xor_b32_e32 v173, s21, v173
	v_xor_b32_e32 v175, s22, v175
	s_delay_alu instid0(VALU_DEP_4) | instskip(NEXT) | instid1(VALU_DEP_4)
	v_add_nc_u32_e32 v170, v23, v63
	v_bitop3_b32 v62, v62, v172, v168 bitop3:0x80
	; wave barrier
	s_delay_alu instid0(VALU_DEP_1) | instskip(NEXT) | instid1(VALU_DEP_1)
	v_bitop3_b32 v62, v62, v175, v173 bitop3:0x80
	v_mbcnt_lo_u32_b32 v168, v62, 0
	v_cmp_ne_u32_e64 s17, 0, v62
	s_delay_alu instid0(VALU_DEP_2) | instskip(SKIP_1) | instid1(SALU_CYCLE_1)
	v_cmp_eq_u32_e32 vcc_lo, 0, v168
	s_and_b32 s18, s17, vcc_lo
	s_and_saveexec_b32 s17, s18
	s_cbranch_execz .LBB908_150
; %bb.149:                              ;   in Loop: Header=BB908_100 Depth=2
	s_wait_dscnt 0x0
	v_bcnt_u32_b32 v62, v62, v167
	ds_store_b32 v170, v62 offset:544
.LBB908_150:                            ;   in Loop: Header=BB908_100 Depth=2
	s_or_b32 exec_lo, exec_lo, s17
	v_xor_b32_e32 v166, 0x7fff, v166
	; wave barrier
	s_delay_alu instid0(VALU_DEP_1) | instskip(NEXT) | instid1(VALU_DEP_1)
	v_and_b32_e32 v62, 0xffff, v166
	v_lshrrev_b32_e32 v62, s43, v62
	s_delay_alu instid0(VALU_DEP_1) | instskip(NEXT) | instid1(VALU_DEP_1)
	v_and_b32_e32 v175, s48, v62
	v_lshlrev_b32_e32 v172, 30, v175
	v_bitop3_b32 v63, v62, 1, s48 bitop3:0x80
	s_delay_alu instid0(VALU_DEP_1) | instskip(NEXT) | instid1(VALU_DEP_1)
	v_add_co_u32 v62, s17, v63, -1
	v_cndmask_b32_e64 v63, 0, 1, s17
	s_delay_alu instid0(VALU_DEP_4) | instskip(NEXT) | instid1(VALU_DEP_2)
	v_cmp_gt_i32_e64 s17, 0, v172
	v_cmp_ne_u32_e32 vcc_lo, 0, v63
	v_not_b32_e32 v63, v172
	v_bitop3_b32 v62, vcc_lo, exec_lo, v62 bitop3:0x48
	s_delay_alu instid0(VALU_DEP_2) | instskip(SKIP_2) | instid1(VALU_DEP_3)
	v_ashrrev_i32_e32 v63, 31, v63
	v_dual_lshlrev_b32 v173, 29, v175 :: v_dual_lshlrev_b32 v177, 28, v175
	v_dual_lshlrev_b32 v178, 27, v175 :: v_dual_lshlrev_b32 v179, 26, v175
	v_xor_b32_e32 v63, s17, v63
	s_delay_alu instid0(VALU_DEP_3)
	v_not_b32_e32 v172, v173
	v_lshlrev_b32_e32 v180, 25, v175
	v_cmp_gt_i32_e64 s18, 0, v173
	v_cmp_gt_i32_e64 s19, 0, v177
	v_not_b32_e32 v173, v177
	v_not_b32_e32 v177, v178
	v_ashrrev_i32_e32 v172, 31, v172
	v_cmp_gt_i32_e64 s20, 0, v178
	v_cmp_gt_i32_e64 s21, 0, v179
	v_ashrrev_i32_e32 v173, 31, v173
	s_delay_alu instid0(VALU_DEP_4) | instskip(SKIP_3) | instid1(VALU_DEP_4)
	v_dual_ashrrev_i32 v177, 31, v177 :: v_dual_bitop2_b32 v172, s18, v172 bitop3:0x14
	v_not_b32_e32 v178, v179
	v_not_b32_e32 v179, v180
	v_cmp_gt_i32_e64 s22, 0, v180
	v_xor_b32_e32 v177, s20, v177
	v_bitop3_b32 v62, v62, v172, v63 bitop3:0x80
	v_mad_u32_u24 v63, v175, 36, v23
	v_dual_ashrrev_i32 v178, 31, v178 :: v_dual_ashrrev_i32 v179, 31, v179
	ds_load_b32 v172, v63 offset:544
	v_mul_u32_u24_e32 v63, 36, v175
	v_xor_b32_e32 v173, s19, v173
	v_xor_b32_e32 v178, s21, v178
	;; [unrolled: 1-line block ×3, first 2 shown]
	s_delay_alu instid0(VALU_DEP_4) | instskip(NEXT) | instid1(VALU_DEP_4)
	v_add_nc_u32_e32 v175, v23, v63
	v_bitop3_b32 v62, v62, v177, v173 bitop3:0x80
	; wave barrier
	s_delay_alu instid0(VALU_DEP_1) | instskip(NEXT) | instid1(VALU_DEP_1)
	v_bitop3_b32 v62, v62, v179, v178 bitop3:0x80
	v_mbcnt_lo_u32_b32 v173, v62, 0
	v_cmp_ne_u32_e64 s17, 0, v62
	s_delay_alu instid0(VALU_DEP_2) | instskip(SKIP_1) | instid1(SALU_CYCLE_1)
	v_cmp_eq_u32_e32 vcc_lo, 0, v173
	s_and_b32 s18, s17, vcc_lo
	s_and_saveexec_b32 s17, s18
	s_cbranch_execz .LBB908_152
; %bb.151:                              ;   in Loop: Header=BB908_100 Depth=2
	s_wait_dscnt 0x0
	v_bcnt_u32_b32 v62, v62, v172
	ds_store_b32 v175, v62 offset:544
.LBB908_152:                            ;   in Loop: Header=BB908_100 Depth=2
	s_or_b32 exec_lo, exec_lo, s17
	v_xor_b32_e32 v171, 0x7fff, v171
	; wave barrier
	s_delay_alu instid0(VALU_DEP_1) | instskip(NEXT) | instid1(VALU_DEP_1)
	v_and_b32_e32 v62, 0xffff, v171
	v_lshrrev_b32_e32 v62, s43, v62
	s_delay_alu instid0(VALU_DEP_1) | instskip(NEXT) | instid1(VALU_DEP_1)
	v_and_b32_e32 v179, s48, v62
	v_lshlrev_b32_e32 v177, 30, v179
	v_bitop3_b32 v63, v62, 1, s48 bitop3:0x80
	s_delay_alu instid0(VALU_DEP_1) | instskip(NEXT) | instid1(VALU_DEP_1)
	v_add_co_u32 v62, s17, v63, -1
	v_cndmask_b32_e64 v63, 0, 1, s17
	s_delay_alu instid0(VALU_DEP_4) | instskip(NEXT) | instid1(VALU_DEP_2)
	v_cmp_gt_i32_e64 s17, 0, v177
	v_cmp_ne_u32_e32 vcc_lo, 0, v63
	v_not_b32_e32 v63, v177
	v_bitop3_b32 v62, vcc_lo, exec_lo, v62 bitop3:0x48
	s_delay_alu instid0(VALU_DEP_2) | instskip(SKIP_2) | instid1(VALU_DEP_2)
	v_ashrrev_i32_e32 v63, 31, v63
	v_dual_lshlrev_b32 v178, 29, v179 :: v_dual_lshlrev_b32 v180, 28, v179
	v_dual_lshlrev_b32 v181, 27, v179 :: v_dual_lshlrev_b32 v182, 26, v179
	v_not_b32_e32 v177, v178
	v_lshlrev_b32_e32 v183, 25, v179
	v_cmp_gt_i32_e64 s18, 0, v178
	v_cmp_gt_i32_e64 s19, 0, v180
	v_not_b32_e32 v178, v180
	v_ashrrev_i32_e32 v177, 31, v177
	v_cmp_gt_i32_e64 s20, 0, v181
	v_not_b32_e32 v180, v181
	v_cmp_gt_i32_e64 s21, 0, v182
	v_not_b32_e32 v181, v182
	v_not_b32_e32 v182, v183
	v_xor_b32_e32 v63, s17, v63
	v_dual_ashrrev_i32 v178, 31, v178 :: v_dual_bitop2_b32 v177, s18, v177 bitop3:0x14
	s_delay_alu instid0(VALU_DEP_4) | instskip(NEXT) | instid1(VALU_DEP_4)
	v_dual_ashrrev_i32 v180, 31, v180 :: v_dual_ashrrev_i32 v181, 31, v181
	v_ashrrev_i32_e32 v182, 31, v182
	s_delay_alu instid0(VALU_DEP_3)
	v_bitop3_b32 v62, v62, v177, v63 bitop3:0x80
	v_mad_u32_u24 v63, v179, 36, v23
	v_cmp_gt_i32_e64 s22, 0, v183
	v_xor_b32_e32 v180, s20, v180
	v_xor_b32_e32 v181, s21, v181
	ds_load_b32 v177, v63 offset:544
	v_mul_u32_u24_e32 v63, 36, v179
	v_xor_b32_e32 v178, s19, v178
	v_xor_b32_e32 v182, s22, v182
	; wave barrier
	s_delay_alu instid0(VALU_DEP_3) | instskip(NEXT) | instid1(VALU_DEP_3)
	v_add_nc_u32_e32 v179, v23, v63
	v_bitop3_b32 v62, v62, v180, v178 bitop3:0x80
	s_delay_alu instid0(VALU_DEP_1) | instskip(NEXT) | instid1(VALU_DEP_1)
	v_bitop3_b32 v62, v62, v182, v181 bitop3:0x80
	v_mbcnt_lo_u32_b32 v178, v62, 0
	v_cmp_ne_u32_e64 s17, 0, v62
	s_delay_alu instid0(VALU_DEP_2) | instskip(SKIP_1) | instid1(SALU_CYCLE_1)
	v_cmp_eq_u32_e32 vcc_lo, 0, v178
	s_and_b32 s18, s17, vcc_lo
	s_and_saveexec_b32 s17, s18
	s_cbranch_execz .LBB908_154
; %bb.153:                              ;   in Loop: Header=BB908_100 Depth=2
	s_wait_dscnt 0x0
	v_bcnt_u32_b32 v62, v62, v177
	ds_store_b32 v179, v62 offset:544
.LBB908_154:                            ;   in Loop: Header=BB908_100 Depth=2
	s_or_b32 exec_lo, exec_lo, s17
	v_xor_b32_e32 v176, 0x7fff, v176
	; wave barrier
	s_delay_alu instid0(VALU_DEP_1) | instskip(NEXT) | instid1(VALU_DEP_1)
	v_and_b32_e32 v62, 0xffff, v176
	v_lshrrev_b32_e32 v62, s43, v62
	s_delay_alu instid0(VALU_DEP_1) | instskip(SKIP_1) | instid1(VALU_DEP_2)
	v_bitop3_b32 v63, v62, 1, s48 bitop3:0x80
	v_and_b32_e32 v182, s48, v62
	v_add_co_u32 v62, s17, v63, -1
	s_delay_alu instid0(VALU_DEP_1) | instskip(NEXT) | instid1(VALU_DEP_3)
	v_cndmask_b32_e64 v63, 0, 1, s17
	v_dual_lshlrev_b32 v180, 30, v182 :: v_dual_lshlrev_b32 v181, 29, v182
	s_delay_alu instid0(VALU_DEP_2) | instskip(NEXT) | instid1(VALU_DEP_2)
	v_cmp_ne_u32_e32 vcc_lo, 0, v63
	v_cmp_gt_i32_e64 s17, 0, v180
	v_not_b32_e32 v63, v180
	s_delay_alu instid0(VALU_DEP_4) | instskip(SKIP_2) | instid1(VALU_DEP_3)
	v_not_b32_e32 v180, v181
	v_cmp_gt_i32_e64 s18, 0, v181
	v_bitop3_b32 v62, vcc_lo, exec_lo, v62 bitop3:0x48
	v_dual_ashrrev_i32 v63, 31, v63 :: v_dual_ashrrev_i32 v180, 31, v180
	v_dual_lshlrev_b32 v183, 28, v182 :: v_dual_lshlrev_b32 v184, 27, v182
	v_dual_lshlrev_b32 v185, 26, v182 :: v_dual_lshlrev_b32 v186, 25, v182
	s_delay_alu instid0(VALU_DEP_2) | instskip(SKIP_1) | instid1(VALU_DEP_4)
	v_cmp_gt_i32_e64 s19, 0, v183
	v_not_b32_e32 v181, v183
	v_cmp_gt_i32_e64 s20, 0, v184
	v_not_b32_e32 v183, v184
	;; [unrolled: 2-line block ×3, first 2 shown]
	v_not_b32_e32 v185, v186
	v_xor_b32_e32 v63, s17, v63
	v_dual_ashrrev_i32 v181, 31, v181 :: v_dual_bitop2_b32 v180, s18, v180 bitop3:0x14
	s_delay_alu instid0(VALU_DEP_4) | instskip(NEXT) | instid1(VALU_DEP_4)
	v_dual_ashrrev_i32 v183, 31, v183 :: v_dual_ashrrev_i32 v184, 31, v184
	v_ashrrev_i32_e32 v185, 31, v185
	s_delay_alu instid0(VALU_DEP_3)
	v_bitop3_b32 v62, v62, v180, v63 bitop3:0x80
	v_mad_u32_u24 v63, v182, 36, v23
	v_cmp_gt_i32_e64 s22, 0, v186
	v_xor_b32_e32 v183, s20, v183
	v_xor_b32_e32 v184, s21, v184
	ds_load_b32 v180, v63 offset:544
	v_mul_u32_u24_e32 v63, 36, v182
	v_xor_b32_e32 v181, s19, v181
	v_xor_b32_e32 v185, s22, v185
	; wave barrier
	s_delay_alu instid0(VALU_DEP_3) | instskip(NEXT) | instid1(VALU_DEP_3)
	v_add_nc_u32_e32 v182, v23, v63
	v_bitop3_b32 v62, v62, v183, v181 bitop3:0x80
	s_delay_alu instid0(VALU_DEP_1) | instskip(NEXT) | instid1(VALU_DEP_1)
	v_bitop3_b32 v62, v62, v185, v184 bitop3:0x80
	v_mbcnt_lo_u32_b32 v181, v62, 0
	v_cmp_ne_u32_e64 s17, 0, v62
	s_delay_alu instid0(VALU_DEP_2) | instskip(SKIP_1) | instid1(SALU_CYCLE_1)
	v_cmp_eq_u32_e32 vcc_lo, 0, v181
	s_and_b32 s18, s17, vcc_lo
	s_and_saveexec_b32 s17, s18
	s_cbranch_execz .LBB908_156
; %bb.155:                              ;   in Loop: Header=BB908_100 Depth=2
	s_wait_dscnt 0x0
	v_bcnt_u32_b32 v62, v62, v180
	ds_store_b32 v182, v62 offset:544
.LBB908_156:                            ;   in Loop: Header=BB908_100 Depth=2
	s_or_b32 exec_lo, exec_lo, s17
	v_xor_b32_e32 v174, 0x7fff, v174
	; wave barrier
	s_delay_alu instid0(VALU_DEP_1) | instskip(NEXT) | instid1(VALU_DEP_1)
	v_and_b32_e32 v62, 0xffff, v174
	v_lshrrev_b32_e32 v62, s43, v62
	s_delay_alu instid0(VALU_DEP_1) | instskip(NEXT) | instid1(VALU_DEP_1)
	v_and_b32_e32 v185, s48, v62
	v_lshlrev_b32_e32 v183, 30, v185
	v_bitop3_b32 v63, v62, 1, s48 bitop3:0x80
	s_delay_alu instid0(VALU_DEP_1) | instskip(NEXT) | instid1(VALU_DEP_1)
	v_add_co_u32 v62, s17, v63, -1
	v_cndmask_b32_e64 v63, 0, 1, s17
	s_delay_alu instid0(VALU_DEP_4) | instskip(NEXT) | instid1(VALU_DEP_2)
	v_cmp_gt_i32_e64 s17, 0, v183
	v_cmp_ne_u32_e32 vcc_lo, 0, v63
	v_not_b32_e32 v63, v183
	v_bitop3_b32 v62, vcc_lo, exec_lo, v62 bitop3:0x48
	s_delay_alu instid0(VALU_DEP_2) | instskip(SKIP_2) | instid1(VALU_DEP_3)
	v_dual_ashrrev_i32 v63, 31, v63 :: v_dual_lshlrev_b32 v184, 29, v185
	v_dual_lshlrev_b32 v186, 28, v185 :: v_dual_lshlrev_b32 v187, 27, v185
	v_lshlrev_b32_e32 v188, 26, v185
	v_not_b32_e32 v183, v184
	v_lshlrev_b32_e32 v189, 25, v185
	v_cmp_gt_i32_e64 s18, 0, v184
	v_cmp_gt_i32_e64 s19, 0, v186
	v_not_b32_e32 v184, v186
	v_ashrrev_i32_e32 v183, 31, v183
	v_cmp_gt_i32_e64 s20, 0, v187
	v_not_b32_e32 v186, v187
	v_cmp_gt_i32_e64 s21, 0, v188
	v_not_b32_e32 v187, v188
	v_not_b32_e32 v188, v189
	v_xor_b32_e32 v63, s17, v63
	v_dual_ashrrev_i32 v184, 31, v184 :: v_dual_bitop2_b32 v183, s18, v183 bitop3:0x14
	s_delay_alu instid0(VALU_DEP_3) | instskip(SKIP_1) | instid1(VALU_DEP_3)
	v_dual_ashrrev_i32 v186, 31, v186 :: v_dual_ashrrev_i32 v188, 31, v188
	v_cmp_gt_i32_e64 s22, 0, v189
	v_bitop3_b32 v62, v62, v183, v63 bitop3:0x80
	v_mad_u32_u24 v63, v185, 36, v23
	v_dual_ashrrev_i32 v187, 31, v187 :: v_dual_bitop2_b32 v184, s19, v184 bitop3:0x14
	s_delay_alu instid0(VALU_DEP_4) | instskip(SKIP_4) | instid1(VALU_DEP_3)
	v_xor_b32_e32 v188, s22, v188
	ds_load_b32 v183, v63 offset:544
	v_mul_u32_u24_e32 v63, 36, v185
	v_xor_b32_e32 v186, s20, v186
	v_xor_b32_e32 v187, s21, v187
	; wave barrier
	v_add_nc_u32_e32 v185, v23, v63
	s_delay_alu instid0(VALU_DEP_3) | instskip(NEXT) | instid1(VALU_DEP_1)
	v_bitop3_b32 v62, v62, v186, v184 bitop3:0x80
	v_bitop3_b32 v62, v62, v188, v187 bitop3:0x80
	s_delay_alu instid0(VALU_DEP_1) | instskip(SKIP_1) | instid1(VALU_DEP_2)
	v_mbcnt_lo_u32_b32 v184, v62, 0
	v_cmp_ne_u32_e64 s17, 0, v62
	v_cmp_eq_u32_e32 vcc_lo, 0, v184
	s_and_b32 s18, s17, vcc_lo
	s_delay_alu instid0(SALU_CYCLE_1)
	s_and_saveexec_b32 s17, s18
	s_cbranch_execz .LBB908_158
; %bb.157:                              ;   in Loop: Header=BB908_100 Depth=2
	s_wait_dscnt 0x0
	v_bcnt_u32_b32 v62, v62, v183
	ds_store_b32 v185, v62 offset:544
.LBB908_158:                            ;   in Loop: Header=BB908_100 Depth=2
	s_or_b32 exec_lo, exec_lo, s17
	v_xor_b32_e32 v169, 0x7fff, v169
	; wave barrier
	s_delay_alu instid0(VALU_DEP_1) | instskip(NEXT) | instid1(VALU_DEP_1)
	v_and_b32_e32 v62, 0xffff, v169
	v_lshrrev_b32_e32 v62, s43, v62
	s_delay_alu instid0(VALU_DEP_1) | instskip(SKIP_1) | instid1(VALU_DEP_2)
	v_bitop3_b32 v63, v62, 1, s48 bitop3:0x80
	v_and_b32_e32 v186, s48, v62
	v_add_co_u32 v62, s17, v63, -1
	s_delay_alu instid0(VALU_DEP_1) | instskip(NEXT) | instid1(VALU_DEP_3)
	v_cndmask_b32_e64 v63, 0, 1, s17
	v_dual_lshlrev_b32 v187, 30, v186 :: v_dual_lshlrev_b32 v188, 29, v186
	s_delay_alu instid0(VALU_DEP_2) | instskip(NEXT) | instid1(VALU_DEP_2)
	v_cmp_ne_u32_e32 vcc_lo, 0, v63
	v_cmp_gt_i32_e64 s17, 0, v187
	v_not_b32_e32 v63, v187
	s_delay_alu instid0(VALU_DEP_4) | instskip(SKIP_2) | instid1(VALU_DEP_4)
	v_not_b32_e32 v187, v188
	v_cmp_gt_i32_e64 s18, 0, v188
	v_bitop3_b32 v62, vcc_lo, exec_lo, v62 bitop3:0x48
	v_ashrrev_i32_e32 v63, 31, v63
	s_delay_alu instid0(VALU_DEP_4) | instskip(SKIP_1) | instid1(VALU_DEP_2)
	v_dual_ashrrev_i32 v187, 31, v187 :: v_dual_lshlrev_b32 v189, 28, v186
	v_dual_lshlrev_b32 v190, 27, v186 :: v_dual_lshlrev_b32 v191, 26, v186
	v_dual_lshlrev_b32 v192, 25, v186 :: v_dual_bitop2_b32 v187, s18, v187 bitop3:0x14
	s_delay_alu instid0(VALU_DEP_3) | instskip(SKIP_1) | instid1(VALU_DEP_4)
	v_cmp_gt_i32_e64 s19, 0, v189
	v_not_b32_e32 v188, v189
	v_cmp_gt_i32_e64 s20, 0, v190
	v_not_b32_e32 v189, v190
	v_not_b32_e32 v190, v191
	v_xor_b32_e32 v63, s17, v63
	v_cmp_gt_i32_e64 s21, 0, v191
	v_not_b32_e32 v191, v192
	v_dual_ashrrev_i32 v188, 31, v188 :: v_dual_ashrrev_i32 v189, 31, v189
	v_ashrrev_i32_e32 v190, 31, v190
	v_bitop3_b32 v62, v62, v187, v63 bitop3:0x80
	v_mad_u32_u24 v63, v186, 36, v23
	v_cmp_gt_i32_e64 s22, 0, v192
	v_dual_ashrrev_i32 v191, 31, v191 :: v_dual_bitop2_b32 v188, s19, v188 bitop3:0x14
	v_xor_b32_e32 v190, s21, v190
	ds_load_b32 v187, v63 offset:544
	v_mul_u32_u24_e32 v63, 36, v186
	v_xor_b32_e32 v189, s20, v189
	v_xor_b32_e32 v191, s22, v191
	; wave barrier
	s_delay_alu instid0(VALU_DEP_2) | instskip(NEXT) | instid1(VALU_DEP_1)
	v_bitop3_b32 v62, v62, v189, v188 bitop3:0x80
	v_bitop3_b32 v62, v62, v191, v190 bitop3:0x80
	v_add_nc_u32_e32 v190, v23, v63
	s_delay_alu instid0(VALU_DEP_2) | instskip(SKIP_1) | instid1(VALU_DEP_2)
	v_mbcnt_lo_u32_b32 v188, v62, 0
	v_cmp_ne_u32_e64 s17, 0, v62
	v_cmp_eq_u32_e32 vcc_lo, 0, v188
	s_and_b32 s18, s17, vcc_lo
	s_delay_alu instid0(SALU_CYCLE_1)
	s_and_saveexec_b32 s17, s18
	s_cbranch_execz .LBB908_160
; %bb.159:                              ;   in Loop: Header=BB908_100 Depth=2
	s_wait_dscnt 0x0
	v_bcnt_u32_b32 v62, v62, v187
	ds_store_b32 v190, v62 offset:544
.LBB908_160:                            ;   in Loop: Header=BB908_100 Depth=2
	s_or_b32 exec_lo, exec_lo, s17
	v_xor_b32_e32 v186, 0x7fff, v164
	; wave barrier
	s_delay_alu instid0(VALU_DEP_1) | instskip(NEXT) | instid1(VALU_DEP_1)
	v_and_b32_e32 v62, 0xffff, v186
	v_lshrrev_b32_e32 v62, s43, v62
	s_delay_alu instid0(VALU_DEP_1) | instskip(NEXT) | instid1(VALU_DEP_1)
	v_and_b32_e32 v164, s48, v62
	v_lshlrev_b32_e32 v189, 30, v164
	v_bitop3_b32 v63, v62, 1, s48 bitop3:0x80
	s_delay_alu instid0(VALU_DEP_1) | instskip(NEXT) | instid1(VALU_DEP_1)
	v_add_co_u32 v62, s17, v63, -1
	v_cndmask_b32_e64 v63, 0, 1, s17
	s_delay_alu instid0(VALU_DEP_4) | instskip(NEXT) | instid1(VALU_DEP_2)
	v_cmp_gt_i32_e64 s17, 0, v189
	v_cmp_ne_u32_e32 vcc_lo, 0, v63
	v_not_b32_e32 v63, v189
	v_bitop3_b32 v62, vcc_lo, exec_lo, v62 bitop3:0x48
	s_delay_alu instid0(VALU_DEP_2) | instskip(SKIP_2) | instid1(VALU_DEP_3)
	v_dual_ashrrev_i32 v63, 31, v63 :: v_dual_lshlrev_b32 v191, 29, v164
	v_dual_lshlrev_b32 v192, 28, v164 :: v_dual_lshlrev_b32 v193, 27, v164
	v_lshlrev_b32_e32 v194, 26, v164
	v_not_b32_e32 v189, v191
	v_lshlrev_b32_e32 v195, 25, v164
	v_cmp_gt_i32_e64 s18, 0, v191
	v_cmp_gt_i32_e64 s19, 0, v192
	v_not_b32_e32 v191, v192
	v_not_b32_e32 v192, v193
	v_ashrrev_i32_e32 v189, 31, v189
	v_cmp_gt_i32_e64 s20, 0, v193
	v_cmp_gt_i32_e64 s21, 0, v194
	v_not_b32_e32 v193, v194
	v_not_b32_e32 v194, v195
	v_dual_ashrrev_i32 v191, 31, v191 :: v_dual_ashrrev_i32 v192, 31, v192
	s_delay_alu instid0(VALU_DEP_3) | instskip(NEXT) | instid1(VALU_DEP_3)
	v_dual_ashrrev_i32 v193, 31, v193 :: v_dual_bitop2_b32 v63, s17, v63 bitop3:0x14
	v_dual_ashrrev_i32 v194, 31, v194 :: v_dual_bitop2_b32 v189, s18, v189 bitop3:0x14
	v_cmp_gt_i32_e64 s22, 0, v195
	s_delay_alu instid0(VALU_DEP_4) | instskip(SKIP_1) | instid1(VALU_DEP_4)
	v_xor_b32_e32 v191, s19, v191
	v_xor_b32_e32 v192, s20, v192
	v_bitop3_b32 v62, v62, v189, v63 bitop3:0x80
	v_mad_u32_u24 v63, v164, 36, v23
	v_xor_b32_e32 v189, s21, v193
	v_xor_b32_e32 v193, s22, v194
	s_delay_alu instid0(VALU_DEP_4) | instskip(SKIP_3) | instid1(VALU_DEP_2)
	v_bitop3_b32 v62, v62, v192, v191 bitop3:0x80
	ds_load_b32 v191, v63 offset:544
	v_mul_u32_u24_e32 v63, 36, v164
	; wave barrier
	v_bitop3_b32 v62, v62, v193, v189 bitop3:0x80
	v_add_nc_u32_e32 v164, v23, v63
	s_delay_alu instid0(VALU_DEP_2) | instskip(SKIP_1) | instid1(VALU_DEP_2)
	v_mbcnt_lo_u32_b32 v192, v62, 0
	v_cmp_ne_u32_e64 s17, 0, v62
	v_cmp_eq_u32_e32 vcc_lo, 0, v192
	s_and_b32 s18, s17, vcc_lo
	s_delay_alu instid0(SALU_CYCLE_1)
	s_and_saveexec_b32 s17, s18
	s_cbranch_execz .LBB908_162
; %bb.161:                              ;   in Loop: Header=BB908_100 Depth=2
	s_wait_dscnt 0x0
	v_bcnt_u32_b32 v62, v62, v191
	ds_store_b32 v164, v62 offset:544
.LBB908_162:                            ;   in Loop: Header=BB908_100 Depth=2
	s_or_b32 exec_lo, exec_lo, s17
	v_xor_b32_e32 v189, 0x7fff, v161
	; wave barrier
	s_delay_alu instid0(VALU_DEP_1) | instskip(NEXT) | instid1(VALU_DEP_1)
	v_and_b32_e32 v62, 0xffff, v189
	v_lshrrev_b32_e32 v62, s43, v62
	s_delay_alu instid0(VALU_DEP_1) | instskip(NEXT) | instid1(VALU_DEP_1)
	v_and_b32_e32 v161, s48, v62
	v_lshlrev_b32_e32 v193, 30, v161
	v_bitop3_b32 v63, v62, 1, s48 bitop3:0x80
	s_delay_alu instid0(VALU_DEP_1) | instskip(NEXT) | instid1(VALU_DEP_1)
	v_add_co_u32 v62, s17, v63, -1
	v_cndmask_b32_e64 v63, 0, 1, s17
	s_delay_alu instid0(VALU_DEP_4) | instskip(NEXT) | instid1(VALU_DEP_2)
	v_cmp_gt_i32_e64 s17, 0, v193
	v_cmp_ne_u32_e32 vcc_lo, 0, v63
	v_not_b32_e32 v63, v193
	v_bitop3_b32 v62, vcc_lo, exec_lo, v62 bitop3:0x48
	s_delay_alu instid0(VALU_DEP_2) | instskip(SKIP_2) | instid1(VALU_DEP_3)
	v_dual_ashrrev_i32 v63, 31, v63 :: v_dual_lshlrev_b32 v194, 29, v161
	v_dual_lshlrev_b32 v195, 28, v161 :: v_dual_lshlrev_b32 v196, 27, v161
	v_lshlrev_b32_e32 v197, 26, v161
	v_not_b32_e32 v193, v194
	v_cmp_gt_i32_e64 s18, 0, v194
	s_delay_alu instid0(VALU_DEP_4)
	v_cmp_gt_i32_e64 s19, 0, v195
	v_not_b32_e32 v194, v195
	v_lshlrev_b32_e32 v198, 25, v161
	v_not_b32_e32 v195, v196
	v_ashrrev_i32_e32 v193, 31, v193
	v_cmp_gt_i32_e64 s20, 0, v196
	v_cmp_gt_i32_e64 s21, 0, v197
	v_not_b32_e32 v196, v197
	v_ashrrev_i32_e32 v194, 31, v194
	v_not_b32_e32 v197, v198
	v_ashrrev_i32_e32 v195, 31, v195
	s_delay_alu instid0(VALU_DEP_4) | instskip(SKIP_4) | instid1(VALU_DEP_4)
	v_dual_ashrrev_i32 v196, 31, v196 :: v_dual_bitop2_b32 v63, s17, v63 bitop3:0x14
	v_xor_b32_e32 v193, s18, v193
	v_cmp_gt_i32_e64 s22, 0, v198
	v_dual_ashrrev_i32 v197, 31, v197 :: v_dual_bitop2_b32 v194, s19, v194 bitop3:0x14
	v_xor_b32_e32 v195, s20, v195
	v_bitop3_b32 v62, v62, v193, v63 bitop3:0x80
	v_mad_u32_u24 v63, v161, 36, v23
	v_xor_b32_e32 v193, s21, v196
	v_xor_b32_e32 v196, s22, v197
	s_delay_alu instid0(VALU_DEP_4) | instskip(SKIP_3) | instid1(VALU_DEP_2)
	v_bitop3_b32 v62, v62, v195, v194 bitop3:0x80
	ds_load_b32 v194, v63 offset:544
	v_mul_u32_u24_e32 v63, 36, v161
	; wave barrier
	v_bitop3_b32 v62, v62, v196, v193 bitop3:0x80
	v_add_nc_u32_e32 v161, v23, v63
	s_delay_alu instid0(VALU_DEP_2) | instskip(SKIP_1) | instid1(VALU_DEP_2)
	v_mbcnt_lo_u32_b32 v195, v62, 0
	v_cmp_ne_u32_e64 s17, 0, v62
	v_cmp_eq_u32_e32 vcc_lo, 0, v195
	s_and_b32 s18, s17, vcc_lo
	s_delay_alu instid0(SALU_CYCLE_1)
	s_and_saveexec_b32 s17, s18
	s_cbranch_execz .LBB908_164
; %bb.163:                              ;   in Loop: Header=BB908_100 Depth=2
	s_wait_dscnt 0x0
	v_bcnt_u32_b32 v62, v62, v194
	ds_store_b32 v161, v62 offset:544
.LBB908_164:                            ;   in Loop: Header=BB908_100 Depth=2
	s_or_b32 exec_lo, exec_lo, s17
	v_xor_b32_e32 v193, 0x7fff, v156
	; wave barrier
	s_delay_alu instid0(VALU_DEP_1) | instskip(NEXT) | instid1(VALU_DEP_1)
	v_and_b32_e32 v62, 0xffff, v193
	v_lshrrev_b32_e32 v62, s43, v62
	s_delay_alu instid0(VALU_DEP_1) | instskip(NEXT) | instid1(VALU_DEP_1)
	v_and_b32_e32 v156, s48, v62
	v_lshlrev_b32_e32 v196, 30, v156
	v_bitop3_b32 v63, v62, 1, s48 bitop3:0x80
	s_delay_alu instid0(VALU_DEP_1) | instskip(NEXT) | instid1(VALU_DEP_1)
	v_add_co_u32 v62, s17, v63, -1
	v_cndmask_b32_e64 v63, 0, 1, s17
	s_delay_alu instid0(VALU_DEP_4) | instskip(NEXT) | instid1(VALU_DEP_2)
	v_cmp_gt_i32_e64 s17, 0, v196
	v_cmp_ne_u32_e32 vcc_lo, 0, v63
	v_not_b32_e32 v63, v196
	v_bitop3_b32 v62, vcc_lo, exec_lo, v62 bitop3:0x48
	s_delay_alu instid0(VALU_DEP_2) | instskip(SKIP_2) | instid1(VALU_DEP_3)
	v_dual_ashrrev_i32 v63, 31, v63 :: v_dual_lshlrev_b32 v197, 29, v156
	v_dual_lshlrev_b32 v198, 28, v156 :: v_dual_lshlrev_b32 v199, 27, v156
	v_lshlrev_b32_e32 v200, 26, v156
	v_not_b32_e32 v196, v197
	v_cmp_gt_i32_e64 s18, 0, v197
	s_delay_alu instid0(VALU_DEP_4)
	v_cmp_gt_i32_e64 s19, 0, v198
	v_not_b32_e32 v197, v198
	v_lshlrev_b32_e32 v201, 25, v156
	v_not_b32_e32 v198, v199
	v_ashrrev_i32_e32 v196, 31, v196
	v_cmp_gt_i32_e64 s20, 0, v199
	v_cmp_gt_i32_e64 s21, 0, v200
	v_not_b32_e32 v199, v200
	v_ashrrev_i32_e32 v197, 31, v197
	v_not_b32_e32 v200, v201
	v_dual_ashrrev_i32 v198, 31, v198 :: v_dual_bitop2_b32 v63, s17, v63 bitop3:0x14
	s_delay_alu instid0(VALU_DEP_4) | instskip(SKIP_1) | instid1(VALU_DEP_4)
	v_dual_ashrrev_i32 v199, 31, v199 :: v_dual_bitop2_b32 v196, s18, v196 bitop3:0x14
	v_cmp_gt_i32_e64 s22, 0, v201
	v_dual_ashrrev_i32 v200, 31, v200 :: v_dual_bitop2_b32 v197, s19, v197 bitop3:0x14
	s_delay_alu instid0(VALU_DEP_4) | instskip(NEXT) | instid1(VALU_DEP_4)
	v_xor_b32_e32 v198, s20, v198
	v_bitop3_b32 v62, v62, v196, v63 bitop3:0x80
	v_mad_u32_u24 v63, v156, 36, v23
	v_xor_b32_e32 v196, s21, v199
	v_xor_b32_e32 v199, s22, v200
	s_delay_alu instid0(VALU_DEP_4) | instskip(SKIP_3) | instid1(VALU_DEP_2)
	v_bitop3_b32 v62, v62, v198, v197 bitop3:0x80
	ds_load_b32 v197, v63 offset:544
	v_mul_u32_u24_e32 v63, 36, v156
	; wave barrier
	v_bitop3_b32 v62, v62, v199, v196 bitop3:0x80
	v_add_nc_u32_e32 v156, v23, v63
	s_delay_alu instid0(VALU_DEP_2) | instskip(SKIP_1) | instid1(VALU_DEP_2)
	v_mbcnt_lo_u32_b32 v198, v62, 0
	v_cmp_ne_u32_e64 s17, 0, v62
	v_cmp_eq_u32_e32 vcc_lo, 0, v198
	s_and_b32 s18, s17, vcc_lo
	s_delay_alu instid0(SALU_CYCLE_1)
	s_and_saveexec_b32 s17, s18
	s_cbranch_execz .LBB908_166
; %bb.165:                              ;   in Loop: Header=BB908_100 Depth=2
	s_wait_dscnt 0x0
	v_bcnt_u32_b32 v62, v62, v197
	ds_store_b32 v156, v62 offset:544
.LBB908_166:                            ;   in Loop: Header=BB908_100 Depth=2
	s_or_b32 exec_lo, exec_lo, s17
	v_xor_b32_e32 v196, 0x7fff, v65
	; wave barrier
	s_delay_alu instid0(VALU_DEP_1) | instskip(NEXT) | instid1(VALU_DEP_1)
	v_and_b32_e32 v62, 0xffff, v196
	v_lshrrev_b32_e32 v62, s43, v62
	s_delay_alu instid0(VALU_DEP_1) | instskip(NEXT) | instid1(VALU_DEP_1)
	v_and_b32_e32 v65, s48, v62
	v_lshlrev_b32_e32 v199, 30, v65
	v_bitop3_b32 v63, v62, 1, s48 bitop3:0x80
	s_delay_alu instid0(VALU_DEP_1) | instskip(NEXT) | instid1(VALU_DEP_1)
	v_add_co_u32 v62, s17, v63, -1
	v_cndmask_b32_e64 v63, 0, 1, s17
	s_delay_alu instid0(VALU_DEP_4) | instskip(NEXT) | instid1(VALU_DEP_2)
	v_cmp_gt_i32_e64 s17, 0, v199
	v_cmp_ne_u32_e32 vcc_lo, 0, v63
	v_not_b32_e32 v63, v199
	v_bitop3_b32 v62, vcc_lo, exec_lo, v62 bitop3:0x48
	s_delay_alu instid0(VALU_DEP_2) | instskip(SKIP_2) | instid1(VALU_DEP_3)
	v_dual_ashrrev_i32 v63, 31, v63 :: v_dual_lshlrev_b32 v200, 29, v65
	v_dual_lshlrev_b32 v201, 28, v65 :: v_dual_lshlrev_b32 v202, 27, v65
	v_lshlrev_b32_e32 v203, 26, v65
	v_not_b32_e32 v199, v200
	v_lshlrev_b32_e32 v204, 25, v65
	v_cmp_gt_i32_e64 s18, 0, v200
	v_cmp_gt_i32_e64 s19, 0, v201
	v_not_b32_e32 v200, v201
	v_not_b32_e32 v201, v202
	v_ashrrev_i32_e32 v199, 31, v199
	v_cmp_gt_i32_e64 s20, 0, v202
	v_cmp_gt_i32_e64 s21, 0, v203
	v_not_b32_e32 v202, v203
	v_not_b32_e32 v203, v204
	v_dual_ashrrev_i32 v200, 31, v200 :: v_dual_ashrrev_i32 v201, 31, v201
	s_delay_alu instid0(VALU_DEP_3) | instskip(SKIP_2) | instid1(VALU_DEP_4)
	v_dual_ashrrev_i32 v202, 31, v202 :: v_dual_bitop2_b32 v63, s17, v63 bitop3:0x14
	v_xor_b32_e32 v199, s18, v199
	v_cmp_gt_i32_e64 s22, 0, v204
	v_dual_ashrrev_i32 v203, 31, v203 :: v_dual_bitop2_b32 v200, s19, v200 bitop3:0x14
	v_xor_b32_e32 v201, s20, v201
	s_delay_alu instid0(VALU_DEP_4) | instskip(SKIP_3) | instid1(VALU_DEP_4)
	v_bitop3_b32 v62, v62, v199, v63 bitop3:0x80
	v_mad_u32_u24 v63, v65, 36, v23
	v_xor_b32_e32 v199, s21, v202
	v_xor_b32_e32 v202, s22, v203
	v_bitop3_b32 v62, v62, v201, v200 bitop3:0x80
	ds_load_b32 v200, v63 offset:544
	v_mul_u32_u24_e32 v63, 36, v65
	; wave barrier
	v_bitop3_b32 v62, v62, v202, v199 bitop3:0x80
	s_delay_alu instid0(VALU_DEP_2) | instskip(NEXT) | instid1(VALU_DEP_2)
	v_add_nc_u32_e32 v202, v23, v63
	v_mbcnt_lo_u32_b32 v201, v62, 0
	v_cmp_ne_u32_e64 s17, 0, v62
	s_delay_alu instid0(VALU_DEP_2) | instskip(SKIP_1) | instid1(SALU_CYCLE_1)
	v_cmp_eq_u32_e32 vcc_lo, 0, v201
	s_and_b32 s18, s17, vcc_lo
	s_and_saveexec_b32 s17, s18
	s_cbranch_execz .LBB908_168
; %bb.167:                              ;   in Loop: Header=BB908_100 Depth=2
	s_wait_dscnt 0x0
	v_bcnt_u32_b32 v62, v62, v200
	ds_store_b32 v202, v62 offset:544
.LBB908_168:                            ;   in Loop: Header=BB908_100 Depth=2
	s_or_b32 exec_lo, exec_lo, s17
	v_xor_b32_e32 v199, 0x7fff, v64
	; wave barrier
	s_delay_alu instid0(VALU_DEP_1) | instskip(NEXT) | instid1(VALU_DEP_1)
	v_and_b32_e32 v62, 0xffff, v199
	v_lshrrev_b32_e32 v62, s43, v62
	s_delay_alu instid0(VALU_DEP_1) | instskip(NEXT) | instid1(VALU_DEP_1)
	v_and_b32_e32 v64, s48, v62
	v_lshlrev_b32_e32 v65, 30, v64
	v_bitop3_b32 v63, v62, 1, s48 bitop3:0x80
	s_delay_alu instid0(VALU_DEP_1) | instskip(NEXT) | instid1(VALU_DEP_1)
	v_add_co_u32 v62, s17, v63, -1
	v_cndmask_b32_e64 v63, 0, 1, s17
	s_delay_alu instid0(VALU_DEP_4) | instskip(NEXT) | instid1(VALU_DEP_2)
	v_cmp_gt_i32_e64 s17, 0, v65
	v_cmp_ne_u32_e32 vcc_lo, 0, v63
	v_not_b32_e32 v63, v65
	v_bitop3_b32 v62, vcc_lo, exec_lo, v62 bitop3:0x48
	s_delay_alu instid0(VALU_DEP_2) | instskip(SKIP_2) | instid1(VALU_DEP_3)
	v_dual_ashrrev_i32 v63, 31, v63 :: v_dual_lshlrev_b32 v203, 29, v64
	v_dual_lshlrev_b32 v204, 28, v64 :: v_dual_lshlrev_b32 v205, 27, v64
	v_lshlrev_b32_e32 v206, 26, v64
	v_not_b32_e32 v65, v203
	v_lshlrev_b32_e32 v207, 25, v64
	v_cmp_gt_i32_e64 s18, 0, v203
	v_cmp_gt_i32_e64 s19, 0, v204
	v_not_b32_e32 v203, v204
	v_not_b32_e32 v204, v205
	v_ashrrev_i32_e32 v65, 31, v65
	v_cmp_gt_i32_e64 s20, 0, v205
	v_cmp_gt_i32_e64 s21, 0, v206
	v_not_b32_e32 v205, v206
	v_not_b32_e32 v206, v207
	v_dual_ashrrev_i32 v203, 31, v203 :: v_dual_ashrrev_i32 v204, 31, v204
	s_delay_alu instid0(VALU_DEP_3) | instskip(NEXT) | instid1(VALU_DEP_3)
	v_dual_ashrrev_i32 v205, 31, v205 :: v_dual_bitop2_b32 v63, s17, v63 bitop3:0x14
	v_dual_ashrrev_i32 v206, 31, v206 :: v_dual_bitop2_b32 v65, s18, v65 bitop3:0x14
	v_cmp_gt_i32_e64 s22, 0, v207
	s_delay_alu instid0(VALU_DEP_4) | instskip(SKIP_1) | instid1(VALU_DEP_4)
	v_xor_b32_e32 v203, s19, v203
	v_xor_b32_e32 v204, s20, v204
	v_bitop3_b32 v62, v62, v65, v63 bitop3:0x80
	v_mad_u32_u24 v63, v64, 36, v23
	v_xor_b32_e32 v65, s21, v205
	v_xor_b32_e32 v205, s22, v206
	s_delay_alu instid0(VALU_DEP_4) | instskip(SKIP_3) | instid1(VALU_DEP_2)
	v_bitop3_b32 v62, v62, v204, v203 bitop3:0x80
	ds_load_b32 v203, v63 offset:544
	v_mul_u32_u24_e32 v63, 36, v64
	; wave barrier
	v_bitop3_b32 v62, v62, v205, v65 bitop3:0x80
	v_add_nc_u32_e32 v205, v23, v63
	s_delay_alu instid0(VALU_DEP_2) | instskip(SKIP_1) | instid1(VALU_DEP_2)
	v_mbcnt_lo_u32_b32 v204, v62, 0
	v_cmp_ne_u32_e64 s17, 0, v62
	v_cmp_eq_u32_e32 vcc_lo, 0, v204
	s_and_b32 s18, s17, vcc_lo
	s_delay_alu instid0(SALU_CYCLE_1)
	s_and_saveexec_b32 s17, s18
	s_cbranch_execz .LBB908_170
; %bb.169:                              ;   in Loop: Header=BB908_100 Depth=2
	s_wait_dscnt 0x0
	v_bcnt_u32_b32 v62, v62, v203
	ds_store_b32 v205, v62 offset:544
.LBB908_170:                            ;   in Loop: Header=BB908_100 Depth=2
	s_or_b32 exec_lo, exec_lo, s17
	v_and_b32_e32 v62, 0xffff, v142
	; wave barrier
	s_delay_alu instid0(VALU_DEP_1) | instskip(NEXT) | instid1(VALU_DEP_1)
	v_lshrrev_b32_e32 v62, s43, v62
	v_and_b32_e32 v64, s48, v62
	s_delay_alu instid0(VALU_DEP_1) | instskip(SKIP_1) | instid1(VALU_DEP_1)
	v_lshlrev_b32_e32 v65, 30, v64
	v_bitop3_b32 v63, v62, 1, s48 bitop3:0x80
	v_add_co_u32 v62, s17, v63, -1
	s_delay_alu instid0(VALU_DEP_1) | instskip(NEXT) | instid1(VALU_DEP_4)
	v_cndmask_b32_e64 v63, 0, 1, s17
	v_cmp_gt_i32_e64 s17, 0, v65
	s_delay_alu instid0(VALU_DEP_2) | instskip(SKIP_2) | instid1(VALU_DEP_2)
	v_cmp_ne_u32_e32 vcc_lo, 0, v63
	v_not_b32_e32 v63, v65
	v_bitop3_b32 v62, vcc_lo, exec_lo, v62 bitop3:0x48
	v_dual_ashrrev_i32 v63, 31, v63 :: v_dual_lshlrev_b32 v206, 29, v64
	v_dual_lshlrev_b32 v207, 28, v64 :: v_dual_lshlrev_b32 v208, 27, v64
	v_lshlrev_b32_e32 v209, 26, v64
	s_delay_alu instid0(VALU_DEP_3)
	v_not_b32_e32 v65, v206
	v_lshlrev_b32_e32 v210, 25, v64
	v_cmp_gt_i32_e64 s18, 0, v206
	v_cmp_gt_i32_e64 s19, 0, v207
	v_not_b32_e32 v206, v207
	v_not_b32_e32 v207, v208
	v_ashrrev_i32_e32 v65, 31, v65
	v_cmp_gt_i32_e64 s20, 0, v208
	v_cmp_gt_i32_e64 s21, 0, v209
	v_not_b32_e32 v208, v209
	v_dual_ashrrev_i32 v206, 31, v206 :: v_dual_ashrrev_i32 v207, 31, v207
	v_xor_b32_e32 v63, s17, v63
	v_xor_b32_e32 v65, s18, v65
	v_not_b32_e32 v209, v210
	s_delay_alu instid0(VALU_DEP_4) | instskip(SKIP_1) | instid1(VALU_DEP_4)
	v_dual_ashrrev_i32 v208, 31, v208 :: v_dual_bitop2_b32 v206, s19, v206 bitop3:0x14
	v_xor_b32_e32 v207, s20, v207
	v_bitop3_b32 v62, v62, v65, v63 bitop3:0x80
	v_cmp_gt_i32_e32 vcc_lo, 0, v210
	v_ashrrev_i32_e32 v63, 31, v209
	v_mad_u32_u24 v65, v64, 36, v23
	v_xor_b32_e32 v208, s21, v208
	v_bitop3_b32 v62, v62, v207, v206 bitop3:0x80
	s_delay_alu instid0(VALU_DEP_4) | instskip(SKIP_3) | instid1(VALU_DEP_2)
	v_xor_b32_e32 v63, vcc_lo, v63
	ds_load_b32 v206, v65 offset:544
	; wave barrier
	v_bitop3_b32 v62, v62, v63, v208 bitop3:0x80
	v_mul_u32_u24_e32 v63, 36, v64
	v_mbcnt_lo_u32_b32 v207, v62, 0
	v_cmp_ne_u32_e64 s17, 0, v62
	s_delay_alu instid0(VALU_DEP_3) | instskip(NEXT) | instid1(VALU_DEP_3)
	v_add_nc_u32_e32 v208, v23, v63
	v_cmp_eq_u32_e32 vcc_lo, 0, v207
	s_and_b32 s18, s17, vcc_lo
	s_delay_alu instid0(SALU_CYCLE_1)
	s_and_saveexec_b32 s17, s18
	s_cbranch_execz .LBB908_172
; %bb.171:                              ;   in Loop: Header=BB908_100 Depth=2
	s_wait_dscnt 0x0
	v_bcnt_u32_b32 v62, v62, v206
	ds_store_b32 v208, v62 offset:544
.LBB908_172:                            ;   in Loop: Header=BB908_100 Depth=2
	s_or_b32 exec_lo, exec_lo, s17
	; wave barrier
	s_wait_dscnt 0x0
	s_barrier_signal -1
	s_barrier_wait -1
	ds_load_2addr_b32 v[64:65], v89 offset0:136 offset1:137
	ds_load_2addr_b32 v[62:63], v89 offset0:138 offset1:139
	ds_load_b32 v209, v89 offset:560
	s_wait_dscnt 0x1
	v_add3_u32 v210, v65, v64, v62
	s_wait_dscnt 0x0
	s_delay_alu instid0(VALU_DEP_1) | instskip(NEXT) | instid1(VALU_DEP_1)
	v_add3_u32 v209, v210, v63, v209
	v_mov_b32_dpp v210, v209 row_shr:1 row_mask:0xf bank_mask:0xf
	s_delay_alu instid0(VALU_DEP_1) | instskip(NEXT) | instid1(VALU_DEP_1)
	v_cndmask_b32_e64 v210, v210, 0, s9
	v_add_nc_u32_e32 v209, v210, v209
	s_delay_alu instid0(VALU_DEP_1) | instskip(NEXT) | instid1(VALU_DEP_1)
	v_mov_b32_dpp v210, v209 row_shr:2 row_mask:0xf bank_mask:0xf
	v_cndmask_b32_e64 v210, 0, v210, s10
	s_delay_alu instid0(VALU_DEP_1) | instskip(NEXT) | instid1(VALU_DEP_1)
	v_add_nc_u32_e32 v209, v209, v210
	v_mov_b32_dpp v210, v209 row_shr:4 row_mask:0xf bank_mask:0xf
	s_delay_alu instid0(VALU_DEP_1) | instskip(NEXT) | instid1(VALU_DEP_1)
	v_cndmask_b32_e64 v210, 0, v210, s11
	v_add_nc_u32_e32 v209, v209, v210
	s_delay_alu instid0(VALU_DEP_1) | instskip(NEXT) | instid1(VALU_DEP_1)
	v_mov_b32_dpp v210, v209 row_shr:8 row_mask:0xf bank_mask:0xf
	v_cndmask_b32_e64 v210, 0, v210, s12
	s_delay_alu instid0(VALU_DEP_1) | instskip(SKIP_3) | instid1(VALU_DEP_1)
	v_add_nc_u32_e32 v209, v209, v210
	ds_swizzle_b32 v210, v209 offset:swizzle(BROADCAST,32,15)
	s_wait_dscnt 0x0
	v_cndmask_b32_e64 v210, v210, 0, s13
	v_add_nc_u32_e32 v209, v209, v210
	s_and_saveexec_b32 s17, s2
; %bb.173:                              ;   in Loop: Header=BB908_100 Depth=2
	ds_store_b32 v82, v209 offset:512
; %bb.174:                              ;   in Loop: Header=BB908_100 Depth=2
	s_or_b32 exec_lo, exec_lo, s17
	s_wait_dscnt 0x0
	s_barrier_signal -1
	s_barrier_wait -1
	s_and_saveexec_b32 s17, s3
	s_cbranch_execz .LBB908_176
; %bb.175:                              ;   in Loop: Header=BB908_100 Depth=2
	ds_load_b32 v210, v91 offset:512
	s_wait_dscnt 0x0
	v_mov_b32_dpp v211, v210 row_shr:1 row_mask:0xf bank_mask:0xf
	s_delay_alu instid0(VALU_DEP_1) | instskip(NEXT) | instid1(VALU_DEP_1)
	v_cndmask_b32_e64 v211, v211, 0, s14
	v_add_nc_u32_e32 v210, v211, v210
	s_delay_alu instid0(VALU_DEP_1) | instskip(NEXT) | instid1(VALU_DEP_1)
	v_mov_b32_dpp v211, v210 row_shr:2 row_mask:0xf bank_mask:0xf
	v_cndmask_b32_e64 v211, 0, v211, s15
	s_delay_alu instid0(VALU_DEP_1) | instskip(NEXT) | instid1(VALU_DEP_1)
	v_add_nc_u32_e32 v210, v210, v211
	v_mov_b32_dpp v211, v210 row_shr:4 row_mask:0xf bank_mask:0xf
	s_delay_alu instid0(VALU_DEP_1) | instskip(NEXT) | instid1(VALU_DEP_1)
	v_cndmask_b32_e64 v211, 0, v211, s16
	v_add_nc_u32_e32 v210, v210, v211
	ds_store_b32 v91, v210 offset:512
.LBB908_176:                            ;   in Loop: Header=BB908_100 Depth=2
	s_or_b32 exec_lo, exec_lo, s17
	v_mov_b32_e32 v210, 0
	s_wait_dscnt 0x0
	s_barrier_signal -1
	s_barrier_wait -1
	s_and_saveexec_b32 s17, s5
; %bb.177:                              ;   in Loop: Header=BB908_100 Depth=2
	ds_load_b32 v210, v82 offset:508
; %bb.178:                              ;   in Loop: Header=BB908_100 Depth=2
	s_or_b32 exec_lo, exec_lo, s17
	s_wait_dscnt 0x0
	v_add_nc_u32_e32 v209, v210, v209
	ds_bpermute_b32 v209, v121, v209
	s_wait_dscnt 0x0
	v_cndmask_b32_e64 v209, v209, v210, s8
	s_delay_alu instid0(VALU_DEP_1) | instskip(NEXT) | instid1(VALU_DEP_1)
	v_cndmask_b32_e64 v209, v209, 0, s6
	v_add_nc_u32_e32 v64, v209, v64
	s_delay_alu instid0(VALU_DEP_1) | instskip(NEXT) | instid1(VALU_DEP_1)
	v_add_nc_u32_e32 v65, v64, v65
	v_add_nc_u32_e32 v62, v65, v62
	s_delay_alu instid0(VALU_DEP_1)
	v_add_nc_u32_e32 v63, v62, v63
	ds_store_2addr_b32 v89, v209, v64 offset0:136 offset1:137
	ds_store_2addr_b32 v89, v65, v62 offset0:138 offset1:139
	ds_store_b32 v89, v63 offset:560
	s_wait_dscnt 0x0
	s_barrier_signal -1
	s_barrier_wait -1
	ds_load_b32 v64, v146 offset:544
	ds_load_b32 v65, v150 offset:544
	;; [unrolled: 1-line block ×17, first 2 shown]
	s_and_saveexec_b32 s17, s0
	s_cbranch_execz .LBB908_182
; %bb.179:                              ;   in Loop: Header=BB908_100 Depth=2
	ds_load_b32 v137, v92 offset:544
	v_mov_b32_e32 v140, 0x1100
	s_and_saveexec_b32 s18, s7
; %bb.180:                              ;   in Loop: Header=BB908_100 Depth=2
	ds_load_b32 v140, v93 offset:544
; %bb.181:                              ;   in Loop: Header=BB908_100 Depth=2
	s_or_b32 exec_lo, exec_lo, s18
	s_wait_dscnt 0x0
	v_sub_nc_u32_e32 v140, v140, v137
.LBB908_182:                            ;   in Loop: Header=BB908_100 Depth=2
	s_or_b32 exec_lo, exec_lo, s17
	s_wait_dscnt 0x0
	s_barrier_signal -1
	s_barrier_wait -1
	s_and_saveexec_b32 s17, s0
	s_cbranch_execz .LBB908_184
; %bb.183:                              ;   in Loop: Header=BB908_100 Depth=2
	ds_load_b32 v156, v3
	s_wait_dscnt 0x0
	v_sub_nc_u32_e32 v156, v156, v137
	ds_store_b32 v3, v156
.LBB908_184:                            ;   in Loop: Header=BB908_100 Depth=2
	s_or_b32 exec_lo, exec_lo, s17
	v_add3_u32 v161, v153, v152, v146
	v_add_nc_u32_e32 v165, v64, v144
	v_add3_u32 v164, v149, v148, v65
	v_add3_u32 v159, v158, v157, v150
	;; [unrolled: 1-line block ×4, first 2 shown]
	v_lshlrev_b32_e32 v62, 1, v161
	v_dual_lshlrev_b32 v162, 1, v165 :: v_dual_lshlrev_b32 v163, 1, v164
	v_add3_u32 v157, v168, v167, v209
	v_add3_u32 v156, v173, v172, v175
	;; [unrolled: 1-line block ×5, first 2 shown]
	v_lshlrev_b32_e32 v63, 1, v159
	v_add3_u32 v152, v184, v183, v185
	ds_store_b16 v162, v143 offset:512
	ds_store_b16 v163, v145 offset:512
	v_lshlrev_b32_e32 v143, 1, v158
	v_add3_u32 v150, v188, v187, v190
	v_dual_lshlrev_b32 v145, 1, v157 :: v_dual_lshlrev_b32 v162, 1, v156
	v_add3_u32 v149, v192, v191, v210
	v_add3_u32 v65, v195, v194, v211
	ds_store_b16 v62, v147 offset:512
	ds_store_b16 v63, v151 offset:512
	;; [unrolled: 1-line block ×5, first 2 shown]
	v_dual_lshlrev_b32 v62, 1, v154 :: v_dual_lshlrev_b32 v63, 1, v153
	v_add3_u32 v64, v198, v197, v212
	v_dual_lshlrev_b32 v143, 1, v152 :: v_dual_lshlrev_b32 v145, 1, v150
	v_add3_u32 v144, v207, v206, v170
	v_lshlrev_b32_e32 v147, 1, v149
	ds_store_b16 v62, v171 offset:512
	ds_store_b16 v63, v176 offset:512
	;; [unrolled: 1-line block ×5, first 2 shown]
	v_dual_lshlrev_b32 v62, 1, v65 :: v_dual_lshlrev_b32 v143, 1, v148
	v_cmp_lt_u32_e32 vcc_lo, v2, v141
	v_dual_lshlrev_b32 v63, 1, v64 :: v_dual_lshlrev_b32 v145, 1, v146
	v_lshlrev_b32_e32 v147, 1, v144
	ds_store_b16 v62, v189 offset:512
	ds_store_b16 v63, v193 offset:512
	ds_store_b16 v143, v196 offset:512
	ds_store_b16 v145, v199 offset:512
	ds_store_b16 v147, v142 offset:512
	s_wait_dscnt 0x0
	s_barrier_signal -1
	s_barrier_wait -1
	s_and_saveexec_b32 s17, vcc_lo
	s_cbranch_execnz .LBB908_257
; %bb.185:                              ;   in Loop: Header=BB908_100 Depth=2
	s_or_b32 exec_lo, exec_lo, s17
	v_cmp_lt_u32_e64 s17, v66, v141
	s_and_saveexec_b32 s18, s17
	s_cbranch_execnz .LBB908_258
.LBB908_186:                            ;   in Loop: Header=BB908_100 Depth=2
	s_or_b32 exec_lo, exec_lo, s18
	v_cmp_lt_u32_e64 s18, v67, v141
	s_and_saveexec_b32 s19, s18
	s_cbranch_execnz .LBB908_259
.LBB908_187:                            ;   in Loop: Header=BB908_100 Depth=2
	s_or_b32 exec_lo, exec_lo, s19
	v_cmp_lt_u32_e64 s19, v68, v141
	s_and_saveexec_b32 s20, s19
	s_cbranch_execnz .LBB908_260
.LBB908_188:                            ;   in Loop: Header=BB908_100 Depth=2
	s_or_b32 exec_lo, exec_lo, s20
	v_cmp_lt_u32_e64 s20, v69, v141
	s_and_saveexec_b32 s21, s20
	s_cbranch_execnz .LBB908_261
.LBB908_189:                            ;   in Loop: Header=BB908_100 Depth=2
	s_or_b32 exec_lo, exec_lo, s21
	v_cmp_lt_u32_e64 s21, v70, v141
	s_and_saveexec_b32 s22, s21
	s_cbranch_execnz .LBB908_262
.LBB908_190:                            ;   in Loop: Header=BB908_100 Depth=2
	s_or_b32 exec_lo, exec_lo, s22
	v_cmp_lt_u32_e64 s22, v71, v141
	s_and_saveexec_b32 s23, s22
	s_cbranch_execnz .LBB908_263
.LBB908_191:                            ;   in Loop: Header=BB908_100 Depth=2
	s_or_b32 exec_lo, exec_lo, s23
	v_cmp_lt_u32_e64 s23, v72, v141
	s_and_saveexec_b32 s24, s23
	s_cbranch_execnz .LBB908_264
.LBB908_192:                            ;   in Loop: Header=BB908_100 Depth=2
	s_or_b32 exec_lo, exec_lo, s24
	v_cmp_lt_u32_e64 s24, v73, v141
	s_and_saveexec_b32 s25, s24
	s_cbranch_execnz .LBB908_265
.LBB908_193:                            ;   in Loop: Header=BB908_100 Depth=2
	s_or_b32 exec_lo, exec_lo, s25
	v_cmp_lt_u32_e64 s25, v74, v141
	s_and_saveexec_b32 s26, s25
	s_cbranch_execnz .LBB908_266
.LBB908_194:                            ;   in Loop: Header=BB908_100 Depth=2
	s_or_b32 exec_lo, exec_lo, s26
	v_cmp_lt_u32_e64 s26, v75, v141
	s_and_saveexec_b32 s27, s26
	s_cbranch_execnz .LBB908_267
.LBB908_195:                            ;   in Loop: Header=BB908_100 Depth=2
	s_or_b32 exec_lo, exec_lo, s27
	v_cmp_lt_u32_e64 s27, v76, v141
	s_and_saveexec_b32 s28, s27
	s_cbranch_execnz .LBB908_268
.LBB908_196:                            ;   in Loop: Header=BB908_100 Depth=2
	s_or_b32 exec_lo, exec_lo, s28
	v_cmp_lt_u32_e64 s28, v77, v141
	s_and_saveexec_b32 s29, s28
	s_cbranch_execnz .LBB908_269
.LBB908_197:                            ;   in Loop: Header=BB908_100 Depth=2
	s_or_b32 exec_lo, exec_lo, s29
	v_cmp_lt_u32_e64 s29, v78, v141
	s_and_saveexec_b32 s30, s29
	s_cbranch_execnz .LBB908_270
.LBB908_198:                            ;   in Loop: Header=BB908_100 Depth=2
	s_or_b32 exec_lo, exec_lo, s30
	v_cmp_lt_u32_e64 s30, v79, v141
	s_and_saveexec_b32 s31, s30
	s_cbranch_execnz .LBB908_271
.LBB908_199:                            ;   in Loop: Header=BB908_100 Depth=2
	s_or_b32 exec_lo, exec_lo, s31
	v_cmp_lt_u32_e64 s31, v80, v141
	s_and_saveexec_b32 s33, s31
	s_cbranch_execnz .LBB908_272
.LBB908_200:                            ;   in Loop: Header=BB908_100 Depth=2
	s_or_b32 exec_lo, exec_lo, s33
	v_cmp_lt_u32_e64 s33, v81, v141
	s_and_saveexec_b32 s60, s33
	s_cbranch_execz .LBB908_202
.LBB908_201:                            ;   in Loop: Header=BB908_100 Depth=2
	ds_load_u16 v62, v94 offset:8704
	s_wait_dscnt 0x0
	v_and_b32_e32 v63, 0xffff, v62
	v_xor_b32_e32 v62, 0x7fff, v62
	s_delay_alu instid0(VALU_DEP_2) | instskip(NEXT) | instid1(VALU_DEP_1)
	v_lshrrev_b32_e32 v63, s43, v63
	v_and_b32_e32 v63, s48, v63
	s_delay_alu instid0(VALU_DEP_1)
	v_lshlrev_b32_e32 v63, 2, v63
	ds_load_b32 v63, v63
	s_wait_dscnt 0x0
	v_add_nc_u32_e32 v63, v63, v81
	global_store_b16 v63, v62, s[38:39] scale_offset
.LBB908_202:                            ;   in Loop: Header=BB908_100 Depth=2
	s_wait_xcnt 0x0
	s_or_b32 exec_lo, exec_lo, s60
	v_lshl_add_u64 v[62:63], s[34:35], 3, v[24:25]
	v_cmp_lt_u32_e64 s34, v102, v141
	s_and_saveexec_b32 s60, s34
	s_delay_alu instid0(SALU_CYCLE_1)
	s_xor_b32 s34, exec_lo, s60
	s_cbranch_execnz .LBB908_273
; %bb.203:                              ;   in Loop: Header=BB908_100 Depth=2
	s_or_b32 exec_lo, exec_lo, s34
	s_delay_alu instid0(SALU_CYCLE_1)
	s_mov_b32 s60, exec_lo
	v_cmpx_lt_u32_e64 v105, v141
	s_cbranch_execnz .LBB908_274
.LBB908_204:                            ;   in Loop: Header=BB908_100 Depth=2
	s_or_b32 exec_lo, exec_lo, s60
	s_delay_alu instid0(SALU_CYCLE_1)
	s_mov_b32 s60, exec_lo
	v_cmpx_lt_u32_e64 v106, v141
	s_cbranch_execnz .LBB908_275
.LBB908_205:                            ;   in Loop: Header=BB908_100 Depth=2
	s_or_b32 exec_lo, exec_lo, s60
	s_delay_alu instid0(SALU_CYCLE_1)
	s_mov_b32 s60, exec_lo
	v_cmpx_lt_u32_e64 v107, v141
	s_cbranch_execnz .LBB908_276
.LBB908_206:                            ;   in Loop: Header=BB908_100 Depth=2
	s_or_b32 exec_lo, exec_lo, s60
	s_delay_alu instid0(SALU_CYCLE_1)
	s_mov_b32 s60, exec_lo
	v_cmpx_lt_u32_e64 v108, v141
	s_cbranch_execnz .LBB908_277
.LBB908_207:                            ;   in Loop: Header=BB908_100 Depth=2
	s_or_b32 exec_lo, exec_lo, s60
	s_delay_alu instid0(SALU_CYCLE_1)
	s_mov_b32 s60, exec_lo
	v_cmpx_lt_u32_e64 v109, v141
	s_cbranch_execnz .LBB908_278
.LBB908_208:                            ;   in Loop: Header=BB908_100 Depth=2
	s_or_b32 exec_lo, exec_lo, s60
	s_delay_alu instid0(SALU_CYCLE_1)
	s_mov_b32 s60, exec_lo
	v_cmpx_lt_u32_e64 v110, v141
	s_cbranch_execnz .LBB908_279
.LBB908_209:                            ;   in Loop: Header=BB908_100 Depth=2
	s_or_b32 exec_lo, exec_lo, s60
	s_delay_alu instid0(SALU_CYCLE_1)
	s_mov_b32 s60, exec_lo
	v_cmpx_lt_u32_e64 v111, v141
	s_cbranch_execnz .LBB908_280
.LBB908_210:                            ;   in Loop: Header=BB908_100 Depth=2
	s_or_b32 exec_lo, exec_lo, s60
	s_delay_alu instid0(SALU_CYCLE_1)
	s_mov_b32 s60, exec_lo
	v_cmpx_lt_u32_e64 v112, v141
	s_cbranch_execnz .LBB908_281
.LBB908_211:                            ;   in Loop: Header=BB908_100 Depth=2
	s_or_b32 exec_lo, exec_lo, s60
	s_delay_alu instid0(SALU_CYCLE_1)
	s_mov_b32 s60, exec_lo
	v_cmpx_lt_u32_e64 v113, v141
	s_cbranch_execnz .LBB908_282
.LBB908_212:                            ;   in Loop: Header=BB908_100 Depth=2
	s_or_b32 exec_lo, exec_lo, s60
	s_delay_alu instid0(SALU_CYCLE_1)
	s_mov_b32 s60, exec_lo
	v_cmpx_lt_u32_e64 v114, v141
	s_cbranch_execnz .LBB908_283
.LBB908_213:                            ;   in Loop: Header=BB908_100 Depth=2
	s_or_b32 exec_lo, exec_lo, s60
	s_delay_alu instid0(SALU_CYCLE_1)
	s_mov_b32 s60, exec_lo
	v_cmpx_lt_u32_e64 v115, v141
	s_cbranch_execnz .LBB908_284
.LBB908_214:                            ;   in Loop: Header=BB908_100 Depth=2
	s_or_b32 exec_lo, exec_lo, s60
	s_delay_alu instid0(SALU_CYCLE_1)
	s_mov_b32 s60, exec_lo
	v_cmpx_lt_u32_e64 v116, v141
	s_cbranch_execnz .LBB908_285
.LBB908_215:                            ;   in Loop: Header=BB908_100 Depth=2
	s_or_b32 exec_lo, exec_lo, s60
	s_delay_alu instid0(SALU_CYCLE_1)
	s_mov_b32 s60, exec_lo
	v_cmpx_lt_u32_e64 v117, v141
	s_cbranch_execnz .LBB908_286
.LBB908_216:                            ;   in Loop: Header=BB908_100 Depth=2
	s_or_b32 exec_lo, exec_lo, s60
	s_delay_alu instid0(SALU_CYCLE_1)
	s_mov_b32 s60, exec_lo
	v_cmpx_lt_u32_e64 v118, v141
	s_cbranch_execnz .LBB908_287
.LBB908_217:                            ;   in Loop: Header=BB908_100 Depth=2
	s_or_b32 exec_lo, exec_lo, s60
	s_delay_alu instid0(SALU_CYCLE_1)
	s_mov_b32 s60, exec_lo
	v_cmpx_lt_u32_e64 v119, v141
	s_cbranch_execnz .LBB908_288
.LBB908_218:                            ;   in Loop: Header=BB908_100 Depth=2
	s_or_b32 exec_lo, exec_lo, s60
	s_delay_alu instid0(SALU_CYCLE_1)
	s_mov_b32 s60, exec_lo
	v_cmpx_lt_u32_e64 v120, v141
	s_cbranch_execnz .LBB908_289
.LBB908_219:                            ;   in Loop: Header=BB908_100 Depth=2
	s_or_b32 exec_lo, exec_lo, s60
	s_and_saveexec_b32 s34, vcc_lo
	s_cbranch_execnz .LBB908_290
.LBB908_220:                            ;   in Loop: Header=BB908_100 Depth=2
	s_or_b32 exec_lo, exec_lo, s34
	s_and_saveexec_b32 s34, s17
	s_cbranch_execnz .LBB908_291
.LBB908_221:                            ;   in Loop: Header=BB908_100 Depth=2
	s_or_b32 exec_lo, exec_lo, s34
	s_and_saveexec_b32 s34, s18
	s_cbranch_execnz .LBB908_292
.LBB908_222:                            ;   in Loop: Header=BB908_100 Depth=2
	s_or_b32 exec_lo, exec_lo, s34
	s_and_saveexec_b32 s34, s19
	s_cbranch_execnz .LBB908_293
.LBB908_223:                            ;   in Loop: Header=BB908_100 Depth=2
	s_or_b32 exec_lo, exec_lo, s34
	s_and_saveexec_b32 s34, s20
	s_cbranch_execnz .LBB908_294
.LBB908_224:                            ;   in Loop: Header=BB908_100 Depth=2
	s_or_b32 exec_lo, exec_lo, s34
	s_and_saveexec_b32 s34, s21
	s_cbranch_execnz .LBB908_295
.LBB908_225:                            ;   in Loop: Header=BB908_100 Depth=2
	s_or_b32 exec_lo, exec_lo, s34
	s_and_saveexec_b32 s34, s22
	s_cbranch_execnz .LBB908_296
.LBB908_226:                            ;   in Loop: Header=BB908_100 Depth=2
	s_or_b32 exec_lo, exec_lo, s34
	s_and_saveexec_b32 s34, s23
	s_cbranch_execnz .LBB908_297
.LBB908_227:                            ;   in Loop: Header=BB908_100 Depth=2
	s_or_b32 exec_lo, exec_lo, s34
	s_and_saveexec_b32 s34, s24
	s_cbranch_execnz .LBB908_298
.LBB908_228:                            ;   in Loop: Header=BB908_100 Depth=2
	s_or_b32 exec_lo, exec_lo, s34
	s_and_saveexec_b32 s34, s25
	s_cbranch_execnz .LBB908_299
.LBB908_229:                            ;   in Loop: Header=BB908_100 Depth=2
	s_or_b32 exec_lo, exec_lo, s34
	s_and_saveexec_b32 s34, s26
	s_cbranch_execnz .LBB908_300
.LBB908_230:                            ;   in Loop: Header=BB908_100 Depth=2
	s_or_b32 exec_lo, exec_lo, s34
	s_and_saveexec_b32 s34, s27
	s_cbranch_execnz .LBB908_301
.LBB908_231:                            ;   in Loop: Header=BB908_100 Depth=2
	s_or_b32 exec_lo, exec_lo, s34
	s_and_saveexec_b32 s34, s28
	s_cbranch_execnz .LBB908_302
.LBB908_232:                            ;   in Loop: Header=BB908_100 Depth=2
	s_or_b32 exec_lo, exec_lo, s34
	s_and_saveexec_b32 s34, s29
	s_cbranch_execnz .LBB908_303
.LBB908_233:                            ;   in Loop: Header=BB908_100 Depth=2
	s_or_b32 exec_lo, exec_lo, s34
	s_and_saveexec_b32 s34, s30
	s_cbranch_execnz .LBB908_304
.LBB908_234:                            ;   in Loop: Header=BB908_100 Depth=2
	s_or_b32 exec_lo, exec_lo, s34
	s_and_saveexec_b32 s34, s31
	s_cbranch_execnz .LBB908_305
.LBB908_235:                            ;   in Loop: Header=BB908_100 Depth=2
	s_or_b32 exec_lo, exec_lo, s34
	s_and_saveexec_b32 s34, s33
	s_cbranch_execz .LBB908_237
.LBB908_236:                            ;   in Loop: Header=BB908_100 Depth=2
	ds_load_u16 v62, v94 offset:8704
	s_wait_dscnt 0x0
	v_lshrrev_b32_e32 v62, s43, v62
	s_delay_alu instid0(VALU_DEP_1)
	v_and_b32_e32 v122, s48, v62
.LBB908_237:                            ;   in Loop: Header=BB908_100 Depth=2
	s_or_b32 exec_lo, exec_lo, s34
	v_dual_lshlrev_b32 v62, 3, v165 :: v_dual_lshlrev_b32 v63, 3, v164
	s_wait_loadcnt 0x0
	s_wait_storecnt 0x0
	s_barrier_signal -1
	s_barrier_wait -1
	ds_store_b64 v62, v[60:61] offset:512
	ds_store_b64 v63, v[58:59] offset:512
	v_dual_lshlrev_b32 v62, 3, v161 :: v_dual_lshlrev_b32 v63, 3, v159
	v_dual_lshlrev_b32 v141, 3, v158 :: v_dual_lshlrev_b32 v142, 3, v157
	v_lshlrev_b32_e32 v143, 3, v156
	ds_store_b64 v62, v[56:57] offset:512
	ds_store_b64 v63, v[54:55] offset:512
	ds_store_b64 v141, v[52:53] offset:512
	ds_store_b64 v142, v[50:51] offset:512
	ds_store_b64 v143, v[48:49] offset:512
	v_dual_lshlrev_b32 v62, 3, v154 :: v_dual_lshlrev_b32 v63, 3, v153
	v_dual_lshlrev_b32 v141, 3, v152 :: v_dual_lshlrev_b32 v142, 3, v150
	v_lshlrev_b32_e32 v143, 3, v149
	ds_store_b64 v62, v[46:47] offset:512
	ds_store_b64 v63, v[44:45] offset:512
	ds_store_b64 v141, v[42:43] offset:512
	;; [unrolled: 8-line block ×3, first 2 shown]
	ds_store_b64 v65, v[30:31] offset:512
	ds_store_b64 v141, v[28:29] offset:512
	s_wait_dscnt 0x0
	s_barrier_signal -1
	s_barrier_wait -1
	s_and_saveexec_b32 s34, vcc_lo
	s_cbranch_execnz .LBB908_306
; %bb.238:                              ;   in Loop: Header=BB908_100 Depth=2
	s_or_b32 exec_lo, exec_lo, s34
	s_and_saveexec_b32 s34, s17
	s_cbranch_execnz .LBB908_307
.LBB908_239:                            ;   in Loop: Header=BB908_100 Depth=2
	s_or_b32 exec_lo, exec_lo, s34
	s_and_saveexec_b32 s17, s18
	s_cbranch_execnz .LBB908_308
.LBB908_240:                            ;   in Loop: Header=BB908_100 Depth=2
	s_or_b32 exec_lo, exec_lo, s17
	s_and_saveexec_b32 s17, s19
	s_cbranch_execnz .LBB908_309
.LBB908_241:                            ;   in Loop: Header=BB908_100 Depth=2
	s_or_b32 exec_lo, exec_lo, s17
	s_and_saveexec_b32 s17, s20
	s_cbranch_execnz .LBB908_310
.LBB908_242:                            ;   in Loop: Header=BB908_100 Depth=2
	s_or_b32 exec_lo, exec_lo, s17
	s_and_saveexec_b32 s17, s21
	s_cbranch_execnz .LBB908_311
.LBB908_243:                            ;   in Loop: Header=BB908_100 Depth=2
	s_or_b32 exec_lo, exec_lo, s17
	s_and_saveexec_b32 s17, s22
	s_cbranch_execnz .LBB908_312
.LBB908_244:                            ;   in Loop: Header=BB908_100 Depth=2
	s_or_b32 exec_lo, exec_lo, s17
	s_and_saveexec_b32 s17, s23
	s_cbranch_execnz .LBB908_313
.LBB908_245:                            ;   in Loop: Header=BB908_100 Depth=2
	s_or_b32 exec_lo, exec_lo, s17
	s_and_saveexec_b32 s17, s24
	s_cbranch_execnz .LBB908_314
.LBB908_246:                            ;   in Loop: Header=BB908_100 Depth=2
	s_or_b32 exec_lo, exec_lo, s17
	s_and_saveexec_b32 s17, s25
	s_cbranch_execnz .LBB908_315
.LBB908_247:                            ;   in Loop: Header=BB908_100 Depth=2
	s_or_b32 exec_lo, exec_lo, s17
	s_and_saveexec_b32 s17, s26
	s_cbranch_execnz .LBB908_316
.LBB908_248:                            ;   in Loop: Header=BB908_100 Depth=2
	s_or_b32 exec_lo, exec_lo, s17
	s_and_saveexec_b32 s17, s27
	s_cbranch_execnz .LBB908_317
.LBB908_249:                            ;   in Loop: Header=BB908_100 Depth=2
	s_or_b32 exec_lo, exec_lo, s17
	s_and_saveexec_b32 s17, s28
	s_cbranch_execnz .LBB908_318
.LBB908_250:                            ;   in Loop: Header=BB908_100 Depth=2
	s_or_b32 exec_lo, exec_lo, s17
	s_and_saveexec_b32 s17, s29
	s_cbranch_execnz .LBB908_319
.LBB908_251:                            ;   in Loop: Header=BB908_100 Depth=2
	s_or_b32 exec_lo, exec_lo, s17
	s_and_saveexec_b32 s17, s30
	s_cbranch_execnz .LBB908_320
.LBB908_252:                            ;   in Loop: Header=BB908_100 Depth=2
	s_or_b32 exec_lo, exec_lo, s17
	s_and_saveexec_b32 s17, s31
	s_cbranch_execnz .LBB908_321
.LBB908_253:                            ;   in Loop: Header=BB908_100 Depth=2
	s_or_b32 exec_lo, exec_lo, s17
	s_and_saveexec_b32 s17, s33
	s_cbranch_execz .LBB908_255
.LBB908_254:                            ;   in Loop: Header=BB908_100 Depth=2
	v_dual_lshlrev_b32 v62, 2, v122 :: v_dual_add_nc_u32 v63, v94, v95
	ds_load_b32 v64, v62
	ds_load_b64 v[62:63], v63 offset:33280
	s_wait_dscnt 0x1
	v_add_nc_u32_e32 v64, v64, v81
	s_wait_dscnt 0x0
	global_store_b64 v64, v[62:63], s[44:45] scale_offset
.LBB908_255:                            ;   in Loop: Header=BB908_100 Depth=2
	s_wait_xcnt 0x0
	s_or_b32 exec_lo, exec_lo, s17
	s_wait_storecnt 0x0
	s_barrier_signal -1
	s_barrier_wait -1
	s_and_saveexec_b32 s17, s0
	s_cbranch_execz .LBB908_99
; %bb.256:                              ;   in Loop: Header=BB908_100 Depth=2
	ds_load_b32 v62, v3
	s_wait_dscnt 0x0
	v_add3_u32 v62, v137, v140, v62
	ds_store_b32 v3, v62
	s_branch .LBB908_99
.LBB908_257:                            ;   in Loop: Header=BB908_100 Depth=2
	ds_load_u16 v62, v94 offset:512
	s_wait_dscnt 0x0
	v_and_b32_e32 v63, 0xffff, v62
	v_xor_b32_e32 v62, 0x7fff, v62
	s_delay_alu instid0(VALU_DEP_2) | instskip(NEXT) | instid1(VALU_DEP_1)
	v_lshrrev_b32_e32 v63, s43, v63
	v_and_b32_e32 v63, s48, v63
	s_delay_alu instid0(VALU_DEP_1)
	v_lshlrev_b32_e32 v63, 2, v63
	ds_load_b32 v63, v63
	s_wait_dscnt 0x0
	v_add_nc_u32_e32 v63, v63, v2
	global_store_b16 v63, v62, s[38:39] scale_offset
	s_wait_xcnt 0x0
	s_or_b32 exec_lo, exec_lo, s17
	v_cmp_lt_u32_e64 s17, v66, v141
	s_and_saveexec_b32 s18, s17
	s_cbranch_execz .LBB908_186
.LBB908_258:                            ;   in Loop: Header=BB908_100 Depth=2
	ds_load_u16 v62, v94 offset:1024
	s_wait_dscnt 0x0
	v_and_b32_e32 v63, 0xffff, v62
	v_xor_b32_e32 v62, 0x7fff, v62
	s_delay_alu instid0(VALU_DEP_2) | instskip(NEXT) | instid1(VALU_DEP_1)
	v_lshrrev_b32_e32 v63, s43, v63
	v_and_b32_e32 v63, s48, v63
	s_delay_alu instid0(VALU_DEP_1)
	v_lshlrev_b32_e32 v63, 2, v63
	ds_load_b32 v63, v63
	s_wait_dscnt 0x0
	v_add_nc_u32_e32 v63, v63, v66
	global_store_b16 v63, v62, s[38:39] scale_offset
	s_wait_xcnt 0x0
	s_or_b32 exec_lo, exec_lo, s18
	v_cmp_lt_u32_e64 s18, v67, v141
	s_and_saveexec_b32 s19, s18
	s_cbranch_execz .LBB908_187
.LBB908_259:                            ;   in Loop: Header=BB908_100 Depth=2
	ds_load_u16 v62, v94 offset:1536
	s_wait_dscnt 0x0
	v_and_b32_e32 v63, 0xffff, v62
	v_xor_b32_e32 v62, 0x7fff, v62
	s_delay_alu instid0(VALU_DEP_2) | instskip(NEXT) | instid1(VALU_DEP_1)
	v_lshrrev_b32_e32 v63, s43, v63
	v_and_b32_e32 v63, s48, v63
	s_delay_alu instid0(VALU_DEP_1)
	v_lshlrev_b32_e32 v63, 2, v63
	ds_load_b32 v63, v63
	s_wait_dscnt 0x0
	v_add_nc_u32_e32 v63, v63, v67
	global_store_b16 v63, v62, s[38:39] scale_offset
	s_wait_xcnt 0x0
	s_or_b32 exec_lo, exec_lo, s19
	v_cmp_lt_u32_e64 s19, v68, v141
	s_and_saveexec_b32 s20, s19
	s_cbranch_execz .LBB908_188
.LBB908_260:                            ;   in Loop: Header=BB908_100 Depth=2
	ds_load_u16 v62, v94 offset:2048
	s_wait_dscnt 0x0
	v_and_b32_e32 v63, 0xffff, v62
	v_xor_b32_e32 v62, 0x7fff, v62
	s_delay_alu instid0(VALU_DEP_2) | instskip(NEXT) | instid1(VALU_DEP_1)
	v_lshrrev_b32_e32 v63, s43, v63
	v_and_b32_e32 v63, s48, v63
	s_delay_alu instid0(VALU_DEP_1)
	v_lshlrev_b32_e32 v63, 2, v63
	ds_load_b32 v63, v63
	s_wait_dscnt 0x0
	v_add_nc_u32_e32 v63, v63, v68
	global_store_b16 v63, v62, s[38:39] scale_offset
	s_wait_xcnt 0x0
	s_or_b32 exec_lo, exec_lo, s20
	v_cmp_lt_u32_e64 s20, v69, v141
	s_and_saveexec_b32 s21, s20
	s_cbranch_execz .LBB908_189
.LBB908_261:                            ;   in Loop: Header=BB908_100 Depth=2
	ds_load_u16 v62, v94 offset:2560
	s_wait_dscnt 0x0
	v_and_b32_e32 v63, 0xffff, v62
	v_xor_b32_e32 v62, 0x7fff, v62
	s_delay_alu instid0(VALU_DEP_2) | instskip(NEXT) | instid1(VALU_DEP_1)
	v_lshrrev_b32_e32 v63, s43, v63
	v_and_b32_e32 v63, s48, v63
	s_delay_alu instid0(VALU_DEP_1)
	v_lshlrev_b32_e32 v63, 2, v63
	ds_load_b32 v63, v63
	s_wait_dscnt 0x0
	v_add_nc_u32_e32 v63, v63, v69
	global_store_b16 v63, v62, s[38:39] scale_offset
	s_wait_xcnt 0x0
	s_or_b32 exec_lo, exec_lo, s21
	v_cmp_lt_u32_e64 s21, v70, v141
	s_and_saveexec_b32 s22, s21
	s_cbranch_execz .LBB908_190
.LBB908_262:                            ;   in Loop: Header=BB908_100 Depth=2
	ds_load_u16 v62, v94 offset:3072
	s_wait_dscnt 0x0
	v_and_b32_e32 v63, 0xffff, v62
	v_xor_b32_e32 v62, 0x7fff, v62
	s_delay_alu instid0(VALU_DEP_2) | instskip(NEXT) | instid1(VALU_DEP_1)
	v_lshrrev_b32_e32 v63, s43, v63
	v_and_b32_e32 v63, s48, v63
	s_delay_alu instid0(VALU_DEP_1)
	v_lshlrev_b32_e32 v63, 2, v63
	ds_load_b32 v63, v63
	s_wait_dscnt 0x0
	v_add_nc_u32_e32 v63, v63, v70
	global_store_b16 v63, v62, s[38:39] scale_offset
	s_wait_xcnt 0x0
	s_or_b32 exec_lo, exec_lo, s22
	v_cmp_lt_u32_e64 s22, v71, v141
	s_and_saveexec_b32 s23, s22
	s_cbranch_execz .LBB908_191
.LBB908_263:                            ;   in Loop: Header=BB908_100 Depth=2
	ds_load_u16 v62, v94 offset:3584
	s_wait_dscnt 0x0
	v_and_b32_e32 v63, 0xffff, v62
	v_xor_b32_e32 v62, 0x7fff, v62
	s_delay_alu instid0(VALU_DEP_2) | instskip(NEXT) | instid1(VALU_DEP_1)
	v_lshrrev_b32_e32 v63, s43, v63
	v_and_b32_e32 v63, s48, v63
	s_delay_alu instid0(VALU_DEP_1)
	v_lshlrev_b32_e32 v63, 2, v63
	ds_load_b32 v63, v63
	s_wait_dscnt 0x0
	v_add_nc_u32_e32 v63, v63, v71
	global_store_b16 v63, v62, s[38:39] scale_offset
	s_wait_xcnt 0x0
	s_or_b32 exec_lo, exec_lo, s23
	v_cmp_lt_u32_e64 s23, v72, v141
	s_and_saveexec_b32 s24, s23
	s_cbranch_execz .LBB908_192
.LBB908_264:                            ;   in Loop: Header=BB908_100 Depth=2
	ds_load_u16 v62, v94 offset:4096
	s_wait_dscnt 0x0
	v_and_b32_e32 v63, 0xffff, v62
	v_xor_b32_e32 v62, 0x7fff, v62
	s_delay_alu instid0(VALU_DEP_2) | instskip(NEXT) | instid1(VALU_DEP_1)
	v_lshrrev_b32_e32 v63, s43, v63
	v_and_b32_e32 v63, s48, v63
	s_delay_alu instid0(VALU_DEP_1)
	v_lshlrev_b32_e32 v63, 2, v63
	ds_load_b32 v63, v63
	s_wait_dscnt 0x0
	v_add_nc_u32_e32 v63, v63, v72
	global_store_b16 v63, v62, s[38:39] scale_offset
	s_wait_xcnt 0x0
	s_or_b32 exec_lo, exec_lo, s24
	v_cmp_lt_u32_e64 s24, v73, v141
	s_and_saveexec_b32 s25, s24
	s_cbranch_execz .LBB908_193
.LBB908_265:                            ;   in Loop: Header=BB908_100 Depth=2
	ds_load_u16 v62, v94 offset:4608
	s_wait_dscnt 0x0
	v_and_b32_e32 v63, 0xffff, v62
	v_xor_b32_e32 v62, 0x7fff, v62
	s_delay_alu instid0(VALU_DEP_2) | instskip(NEXT) | instid1(VALU_DEP_1)
	v_lshrrev_b32_e32 v63, s43, v63
	v_and_b32_e32 v63, s48, v63
	s_delay_alu instid0(VALU_DEP_1)
	v_lshlrev_b32_e32 v63, 2, v63
	ds_load_b32 v63, v63
	s_wait_dscnt 0x0
	v_add_nc_u32_e32 v63, v63, v73
	global_store_b16 v63, v62, s[38:39] scale_offset
	s_wait_xcnt 0x0
	s_or_b32 exec_lo, exec_lo, s25
	v_cmp_lt_u32_e64 s25, v74, v141
	s_and_saveexec_b32 s26, s25
	s_cbranch_execz .LBB908_194
.LBB908_266:                            ;   in Loop: Header=BB908_100 Depth=2
	ds_load_u16 v62, v94 offset:5120
	s_wait_dscnt 0x0
	v_and_b32_e32 v63, 0xffff, v62
	v_xor_b32_e32 v62, 0x7fff, v62
	s_delay_alu instid0(VALU_DEP_2) | instskip(NEXT) | instid1(VALU_DEP_1)
	v_lshrrev_b32_e32 v63, s43, v63
	v_and_b32_e32 v63, s48, v63
	s_delay_alu instid0(VALU_DEP_1)
	v_lshlrev_b32_e32 v63, 2, v63
	ds_load_b32 v63, v63
	s_wait_dscnt 0x0
	v_add_nc_u32_e32 v63, v63, v74
	global_store_b16 v63, v62, s[38:39] scale_offset
	s_wait_xcnt 0x0
	s_or_b32 exec_lo, exec_lo, s26
	v_cmp_lt_u32_e64 s26, v75, v141
	s_and_saveexec_b32 s27, s26
	s_cbranch_execz .LBB908_195
.LBB908_267:                            ;   in Loop: Header=BB908_100 Depth=2
	ds_load_u16 v62, v94 offset:5632
	s_wait_dscnt 0x0
	v_and_b32_e32 v63, 0xffff, v62
	v_xor_b32_e32 v62, 0x7fff, v62
	s_delay_alu instid0(VALU_DEP_2) | instskip(NEXT) | instid1(VALU_DEP_1)
	v_lshrrev_b32_e32 v63, s43, v63
	v_and_b32_e32 v63, s48, v63
	s_delay_alu instid0(VALU_DEP_1)
	v_lshlrev_b32_e32 v63, 2, v63
	ds_load_b32 v63, v63
	s_wait_dscnt 0x0
	v_add_nc_u32_e32 v63, v63, v75
	global_store_b16 v63, v62, s[38:39] scale_offset
	s_wait_xcnt 0x0
	s_or_b32 exec_lo, exec_lo, s27
	v_cmp_lt_u32_e64 s27, v76, v141
	s_and_saveexec_b32 s28, s27
	s_cbranch_execz .LBB908_196
.LBB908_268:                            ;   in Loop: Header=BB908_100 Depth=2
	ds_load_u16 v62, v94 offset:6144
	s_wait_dscnt 0x0
	v_and_b32_e32 v63, 0xffff, v62
	v_xor_b32_e32 v62, 0x7fff, v62
	s_delay_alu instid0(VALU_DEP_2) | instskip(NEXT) | instid1(VALU_DEP_1)
	v_lshrrev_b32_e32 v63, s43, v63
	v_and_b32_e32 v63, s48, v63
	s_delay_alu instid0(VALU_DEP_1)
	v_lshlrev_b32_e32 v63, 2, v63
	ds_load_b32 v63, v63
	s_wait_dscnt 0x0
	v_add_nc_u32_e32 v63, v63, v76
	global_store_b16 v63, v62, s[38:39] scale_offset
	s_wait_xcnt 0x0
	s_or_b32 exec_lo, exec_lo, s28
	v_cmp_lt_u32_e64 s28, v77, v141
	s_and_saveexec_b32 s29, s28
	s_cbranch_execz .LBB908_197
.LBB908_269:                            ;   in Loop: Header=BB908_100 Depth=2
	ds_load_u16 v62, v94 offset:6656
	s_wait_dscnt 0x0
	v_and_b32_e32 v63, 0xffff, v62
	v_xor_b32_e32 v62, 0x7fff, v62
	s_delay_alu instid0(VALU_DEP_2) | instskip(NEXT) | instid1(VALU_DEP_1)
	v_lshrrev_b32_e32 v63, s43, v63
	v_and_b32_e32 v63, s48, v63
	s_delay_alu instid0(VALU_DEP_1)
	v_lshlrev_b32_e32 v63, 2, v63
	ds_load_b32 v63, v63
	s_wait_dscnt 0x0
	v_add_nc_u32_e32 v63, v63, v77
	global_store_b16 v63, v62, s[38:39] scale_offset
	s_wait_xcnt 0x0
	s_or_b32 exec_lo, exec_lo, s29
	v_cmp_lt_u32_e64 s29, v78, v141
	s_and_saveexec_b32 s30, s29
	s_cbranch_execz .LBB908_198
.LBB908_270:                            ;   in Loop: Header=BB908_100 Depth=2
	ds_load_u16 v62, v94 offset:7168
	s_wait_dscnt 0x0
	v_and_b32_e32 v63, 0xffff, v62
	v_xor_b32_e32 v62, 0x7fff, v62
	s_delay_alu instid0(VALU_DEP_2) | instskip(NEXT) | instid1(VALU_DEP_1)
	v_lshrrev_b32_e32 v63, s43, v63
	v_and_b32_e32 v63, s48, v63
	s_delay_alu instid0(VALU_DEP_1)
	v_lshlrev_b32_e32 v63, 2, v63
	ds_load_b32 v63, v63
	s_wait_dscnt 0x0
	v_add_nc_u32_e32 v63, v63, v78
	global_store_b16 v63, v62, s[38:39] scale_offset
	s_wait_xcnt 0x0
	s_or_b32 exec_lo, exec_lo, s30
	v_cmp_lt_u32_e64 s30, v79, v141
	s_and_saveexec_b32 s31, s30
	s_cbranch_execz .LBB908_199
.LBB908_271:                            ;   in Loop: Header=BB908_100 Depth=2
	ds_load_u16 v62, v94 offset:7680
	s_wait_dscnt 0x0
	v_and_b32_e32 v63, 0xffff, v62
	v_xor_b32_e32 v62, 0x7fff, v62
	s_delay_alu instid0(VALU_DEP_2) | instskip(NEXT) | instid1(VALU_DEP_1)
	v_lshrrev_b32_e32 v63, s43, v63
	v_and_b32_e32 v63, s48, v63
	s_delay_alu instid0(VALU_DEP_1)
	v_lshlrev_b32_e32 v63, 2, v63
	ds_load_b32 v63, v63
	s_wait_dscnt 0x0
	v_add_nc_u32_e32 v63, v63, v79
	global_store_b16 v63, v62, s[38:39] scale_offset
	s_wait_xcnt 0x0
	s_or_b32 exec_lo, exec_lo, s31
	v_cmp_lt_u32_e64 s31, v80, v141
	s_and_saveexec_b32 s33, s31
	s_cbranch_execz .LBB908_200
.LBB908_272:                            ;   in Loop: Header=BB908_100 Depth=2
	ds_load_u16 v62, v94 offset:8192
	s_wait_dscnt 0x0
	v_and_b32_e32 v63, 0xffff, v62
	v_xor_b32_e32 v62, 0x7fff, v62
	s_delay_alu instid0(VALU_DEP_2) | instskip(NEXT) | instid1(VALU_DEP_1)
	v_lshrrev_b32_e32 v63, s43, v63
	v_and_b32_e32 v63, s48, v63
	s_delay_alu instid0(VALU_DEP_1)
	v_lshlrev_b32_e32 v63, 2, v63
	ds_load_b32 v63, v63
	s_wait_dscnt 0x0
	v_add_nc_u32_e32 v63, v63, v80
	global_store_b16 v63, v62, s[38:39] scale_offset
	s_wait_xcnt 0x0
	s_or_b32 exec_lo, exec_lo, s33
	v_cmp_lt_u32_e64 s33, v81, v141
	s_and_saveexec_b32 s60, s33
	s_cbranch_execnz .LBB908_201
	s_branch .LBB908_202
.LBB908_273:                            ;   in Loop: Header=BB908_100 Depth=2
	global_load_b64 v[60:61], v[62:63], off
	s_wait_xcnt 0x0
	s_or_b32 exec_lo, exec_lo, s34
	s_delay_alu instid0(SALU_CYCLE_1)
	s_mov_b32 s60, exec_lo
	v_cmpx_lt_u32_e64 v105, v141
	s_cbranch_execz .LBB908_204
.LBB908_274:                            ;   in Loop: Header=BB908_100 Depth=2
	global_load_b64 v[58:59], v[62:63], off offset:256
	s_wait_xcnt 0x0
	s_or_b32 exec_lo, exec_lo, s60
	s_delay_alu instid0(SALU_CYCLE_1)
	s_mov_b32 s60, exec_lo
	v_cmpx_lt_u32_e64 v106, v141
	s_cbranch_execz .LBB908_205
.LBB908_275:                            ;   in Loop: Header=BB908_100 Depth=2
	global_load_b64 v[56:57], v[62:63], off offset:512
	s_wait_xcnt 0x0
	s_or_b32 exec_lo, exec_lo, s60
	s_delay_alu instid0(SALU_CYCLE_1)
	s_mov_b32 s60, exec_lo
	v_cmpx_lt_u32_e64 v107, v141
	s_cbranch_execz .LBB908_206
.LBB908_276:                            ;   in Loop: Header=BB908_100 Depth=2
	global_load_b64 v[54:55], v[62:63], off offset:768
	s_wait_xcnt 0x0
	s_or_b32 exec_lo, exec_lo, s60
	s_delay_alu instid0(SALU_CYCLE_1)
	s_mov_b32 s60, exec_lo
	v_cmpx_lt_u32_e64 v108, v141
	s_cbranch_execz .LBB908_207
.LBB908_277:                            ;   in Loop: Header=BB908_100 Depth=2
	global_load_b64 v[52:53], v[62:63], off offset:1024
	s_wait_xcnt 0x0
	s_or_b32 exec_lo, exec_lo, s60
	s_delay_alu instid0(SALU_CYCLE_1)
	s_mov_b32 s60, exec_lo
	v_cmpx_lt_u32_e64 v109, v141
	s_cbranch_execz .LBB908_208
.LBB908_278:                            ;   in Loop: Header=BB908_100 Depth=2
	global_load_b64 v[50:51], v[62:63], off offset:1280
	s_wait_xcnt 0x0
	s_or_b32 exec_lo, exec_lo, s60
	s_delay_alu instid0(SALU_CYCLE_1)
	s_mov_b32 s60, exec_lo
	v_cmpx_lt_u32_e64 v110, v141
	s_cbranch_execz .LBB908_209
.LBB908_279:                            ;   in Loop: Header=BB908_100 Depth=2
	global_load_b64 v[48:49], v[62:63], off offset:1536
	s_wait_xcnt 0x0
	s_or_b32 exec_lo, exec_lo, s60
	s_delay_alu instid0(SALU_CYCLE_1)
	s_mov_b32 s60, exec_lo
	v_cmpx_lt_u32_e64 v111, v141
	s_cbranch_execz .LBB908_210
.LBB908_280:                            ;   in Loop: Header=BB908_100 Depth=2
	global_load_b64 v[46:47], v[62:63], off offset:1792
	s_wait_xcnt 0x0
	s_or_b32 exec_lo, exec_lo, s60
	s_delay_alu instid0(SALU_CYCLE_1)
	s_mov_b32 s60, exec_lo
	v_cmpx_lt_u32_e64 v112, v141
	s_cbranch_execz .LBB908_211
.LBB908_281:                            ;   in Loop: Header=BB908_100 Depth=2
	global_load_b64 v[44:45], v[62:63], off offset:2048
	s_wait_xcnt 0x0
	s_or_b32 exec_lo, exec_lo, s60
	s_delay_alu instid0(SALU_CYCLE_1)
	s_mov_b32 s60, exec_lo
	v_cmpx_lt_u32_e64 v113, v141
	s_cbranch_execz .LBB908_212
.LBB908_282:                            ;   in Loop: Header=BB908_100 Depth=2
	global_load_b64 v[42:43], v[62:63], off offset:2304
	s_wait_xcnt 0x0
	s_or_b32 exec_lo, exec_lo, s60
	s_delay_alu instid0(SALU_CYCLE_1)
	s_mov_b32 s60, exec_lo
	v_cmpx_lt_u32_e64 v114, v141
	s_cbranch_execz .LBB908_213
.LBB908_283:                            ;   in Loop: Header=BB908_100 Depth=2
	global_load_b64 v[40:41], v[62:63], off offset:2560
	s_wait_xcnt 0x0
	s_or_b32 exec_lo, exec_lo, s60
	s_delay_alu instid0(SALU_CYCLE_1)
	s_mov_b32 s60, exec_lo
	v_cmpx_lt_u32_e64 v115, v141
	s_cbranch_execz .LBB908_214
.LBB908_284:                            ;   in Loop: Header=BB908_100 Depth=2
	global_load_b64 v[38:39], v[62:63], off offset:2816
	s_wait_xcnt 0x0
	s_or_b32 exec_lo, exec_lo, s60
	s_delay_alu instid0(SALU_CYCLE_1)
	s_mov_b32 s60, exec_lo
	v_cmpx_lt_u32_e64 v116, v141
	s_cbranch_execz .LBB908_215
.LBB908_285:                            ;   in Loop: Header=BB908_100 Depth=2
	global_load_b64 v[36:37], v[62:63], off offset:3072
	s_wait_xcnt 0x0
	s_or_b32 exec_lo, exec_lo, s60
	s_delay_alu instid0(SALU_CYCLE_1)
	s_mov_b32 s60, exec_lo
	v_cmpx_lt_u32_e64 v117, v141
	s_cbranch_execz .LBB908_216
.LBB908_286:                            ;   in Loop: Header=BB908_100 Depth=2
	global_load_b64 v[34:35], v[62:63], off offset:3328
	s_wait_xcnt 0x0
	s_or_b32 exec_lo, exec_lo, s60
	s_delay_alu instid0(SALU_CYCLE_1)
	s_mov_b32 s60, exec_lo
	v_cmpx_lt_u32_e64 v118, v141
	s_cbranch_execz .LBB908_217
.LBB908_287:                            ;   in Loop: Header=BB908_100 Depth=2
	global_load_b64 v[32:33], v[62:63], off offset:3584
	s_wait_xcnt 0x0
	s_or_b32 exec_lo, exec_lo, s60
	s_delay_alu instid0(SALU_CYCLE_1)
	s_mov_b32 s60, exec_lo
	v_cmpx_lt_u32_e64 v119, v141
	s_cbranch_execz .LBB908_218
.LBB908_288:                            ;   in Loop: Header=BB908_100 Depth=2
	global_load_b64 v[30:31], v[62:63], off offset:3840
	s_wait_xcnt 0x0
	s_or_b32 exec_lo, exec_lo, s60
	s_delay_alu instid0(SALU_CYCLE_1)
	s_mov_b32 s60, exec_lo
	v_cmpx_lt_u32_e64 v120, v141
	s_cbranch_execz .LBB908_219
.LBB908_289:                            ;   in Loop: Header=BB908_100 Depth=2
	global_load_b64 v[28:29], v[62:63], off offset:4096
	s_wait_xcnt 0x0
	s_or_b32 exec_lo, exec_lo, s60
	s_and_saveexec_b32 s34, vcc_lo
	s_cbranch_execz .LBB908_220
.LBB908_290:                            ;   in Loop: Header=BB908_100 Depth=2
	ds_load_u16 v62, v94 offset:512
	s_wait_dscnt 0x0
	v_lshrrev_b32_e32 v62, s43, v62
	s_delay_alu instid0(VALU_DEP_1)
	v_and_b32_e32 v139, s48, v62
	s_or_b32 exec_lo, exec_lo, s34
	s_and_saveexec_b32 s34, s17
	s_cbranch_execz .LBB908_221
.LBB908_291:                            ;   in Loop: Header=BB908_100 Depth=2
	ds_load_u16 v62, v94 offset:1024
	s_wait_dscnt 0x0
	v_lshrrev_b32_e32 v62, s43, v62
	s_delay_alu instid0(VALU_DEP_1)
	v_and_b32_e32 v138, s48, v62
	s_or_b32 exec_lo, exec_lo, s34
	s_and_saveexec_b32 s34, s18
	s_cbranch_execz .LBB908_222
.LBB908_292:                            ;   in Loop: Header=BB908_100 Depth=2
	ds_load_u16 v62, v94 offset:1536
	s_wait_dscnt 0x0
	v_lshrrev_b32_e32 v62, s43, v62
	s_delay_alu instid0(VALU_DEP_1)
	v_and_b32_e32 v136, s48, v62
	s_or_b32 exec_lo, exec_lo, s34
	s_and_saveexec_b32 s34, s19
	s_cbranch_execz .LBB908_223
.LBB908_293:                            ;   in Loop: Header=BB908_100 Depth=2
	ds_load_u16 v62, v94 offset:2048
	s_wait_dscnt 0x0
	v_lshrrev_b32_e32 v62, s43, v62
	s_delay_alu instid0(VALU_DEP_1)
	v_and_b32_e32 v135, s48, v62
	s_or_b32 exec_lo, exec_lo, s34
	s_and_saveexec_b32 s34, s20
	s_cbranch_execz .LBB908_224
.LBB908_294:                            ;   in Loop: Header=BB908_100 Depth=2
	ds_load_u16 v62, v94 offset:2560
	s_wait_dscnt 0x0
	v_lshrrev_b32_e32 v62, s43, v62
	s_delay_alu instid0(VALU_DEP_1)
	v_and_b32_e32 v134, s48, v62
	s_or_b32 exec_lo, exec_lo, s34
	s_and_saveexec_b32 s34, s21
	s_cbranch_execz .LBB908_225
.LBB908_295:                            ;   in Loop: Header=BB908_100 Depth=2
	ds_load_u16 v62, v94 offset:3072
	s_wait_dscnt 0x0
	v_lshrrev_b32_e32 v62, s43, v62
	s_delay_alu instid0(VALU_DEP_1)
	v_and_b32_e32 v133, s48, v62
	s_or_b32 exec_lo, exec_lo, s34
	s_and_saveexec_b32 s34, s22
	s_cbranch_execz .LBB908_226
.LBB908_296:                            ;   in Loop: Header=BB908_100 Depth=2
	ds_load_u16 v62, v94 offset:3584
	s_wait_dscnt 0x0
	v_lshrrev_b32_e32 v62, s43, v62
	s_delay_alu instid0(VALU_DEP_1)
	v_and_b32_e32 v132, s48, v62
	s_or_b32 exec_lo, exec_lo, s34
	s_and_saveexec_b32 s34, s23
	s_cbranch_execz .LBB908_227
.LBB908_297:                            ;   in Loop: Header=BB908_100 Depth=2
	ds_load_u16 v62, v94 offset:4096
	s_wait_dscnt 0x0
	v_lshrrev_b32_e32 v62, s43, v62
	s_delay_alu instid0(VALU_DEP_1)
	v_and_b32_e32 v131, s48, v62
	s_or_b32 exec_lo, exec_lo, s34
	s_and_saveexec_b32 s34, s24
	s_cbranch_execz .LBB908_228
.LBB908_298:                            ;   in Loop: Header=BB908_100 Depth=2
	ds_load_u16 v62, v94 offset:4608
	s_wait_dscnt 0x0
	v_lshrrev_b32_e32 v62, s43, v62
	s_delay_alu instid0(VALU_DEP_1)
	v_and_b32_e32 v130, s48, v62
	s_or_b32 exec_lo, exec_lo, s34
	s_and_saveexec_b32 s34, s25
	s_cbranch_execz .LBB908_229
.LBB908_299:                            ;   in Loop: Header=BB908_100 Depth=2
	ds_load_u16 v62, v94 offset:5120
	s_wait_dscnt 0x0
	v_lshrrev_b32_e32 v62, s43, v62
	s_delay_alu instid0(VALU_DEP_1)
	v_and_b32_e32 v129, s48, v62
	s_or_b32 exec_lo, exec_lo, s34
	s_and_saveexec_b32 s34, s26
	s_cbranch_execz .LBB908_230
.LBB908_300:                            ;   in Loop: Header=BB908_100 Depth=2
	ds_load_u16 v62, v94 offset:5632
	s_wait_dscnt 0x0
	v_lshrrev_b32_e32 v62, s43, v62
	s_delay_alu instid0(VALU_DEP_1)
	v_and_b32_e32 v128, s48, v62
	s_or_b32 exec_lo, exec_lo, s34
	s_and_saveexec_b32 s34, s27
	s_cbranch_execz .LBB908_231
.LBB908_301:                            ;   in Loop: Header=BB908_100 Depth=2
	ds_load_u16 v62, v94 offset:6144
	s_wait_dscnt 0x0
	v_lshrrev_b32_e32 v62, s43, v62
	s_delay_alu instid0(VALU_DEP_1)
	v_and_b32_e32 v127, s48, v62
	s_or_b32 exec_lo, exec_lo, s34
	s_and_saveexec_b32 s34, s28
	s_cbranch_execz .LBB908_232
.LBB908_302:                            ;   in Loop: Header=BB908_100 Depth=2
	ds_load_u16 v62, v94 offset:6656
	s_wait_dscnt 0x0
	v_lshrrev_b32_e32 v62, s43, v62
	s_delay_alu instid0(VALU_DEP_1)
	v_and_b32_e32 v126, s48, v62
	s_or_b32 exec_lo, exec_lo, s34
	s_and_saveexec_b32 s34, s29
	s_cbranch_execz .LBB908_233
.LBB908_303:                            ;   in Loop: Header=BB908_100 Depth=2
	ds_load_u16 v62, v94 offset:7168
	s_wait_dscnt 0x0
	v_lshrrev_b32_e32 v62, s43, v62
	s_delay_alu instid0(VALU_DEP_1)
	v_and_b32_e32 v125, s48, v62
	s_or_b32 exec_lo, exec_lo, s34
	s_and_saveexec_b32 s34, s30
	s_cbranch_execz .LBB908_234
.LBB908_304:                            ;   in Loop: Header=BB908_100 Depth=2
	ds_load_u16 v62, v94 offset:7680
	s_wait_dscnt 0x0
	v_lshrrev_b32_e32 v62, s43, v62
	s_delay_alu instid0(VALU_DEP_1)
	v_and_b32_e32 v124, s48, v62
	s_or_b32 exec_lo, exec_lo, s34
	s_and_saveexec_b32 s34, s31
	s_cbranch_execz .LBB908_235
.LBB908_305:                            ;   in Loop: Header=BB908_100 Depth=2
	ds_load_u16 v62, v94 offset:8192
	s_wait_dscnt 0x0
	v_lshrrev_b32_e32 v62, s43, v62
	s_delay_alu instid0(VALU_DEP_1)
	v_and_b32_e32 v123, s48, v62
	s_or_b32 exec_lo, exec_lo, s34
	s_and_saveexec_b32 s34, s33
	s_cbranch_execnz .LBB908_236
	s_branch .LBB908_237
.LBB908_306:                            ;   in Loop: Header=BB908_100 Depth=2
	v_lshlrev_b32_e32 v62, 2, v139
	v_add_nc_u32_e32 v63, v94, v95
	ds_load_b32 v64, v62
	ds_load_b64 v[62:63], v63 offset:512
	s_wait_dscnt 0x1
	v_add_nc_u32_e32 v64, v64, v2
	s_wait_dscnt 0x0
	global_store_b64 v64, v[62:63], s[44:45] scale_offset
	s_wait_xcnt 0x0
	s_or_b32 exec_lo, exec_lo, s34
	s_and_saveexec_b32 s34, s17
	s_cbranch_execz .LBB908_239
.LBB908_307:                            ;   in Loop: Header=BB908_100 Depth=2
	v_dual_lshlrev_b32 v62, 2, v138 :: v_dual_add_nc_u32 v63, v94, v95
	ds_load_b32 v64, v62
	ds_load_b64 v[62:63], v63 offset:2560
	s_wait_dscnt 0x1
	v_add_nc_u32_e32 v64, v64, v66
	s_wait_dscnt 0x0
	global_store_b64 v64, v[62:63], s[44:45] scale_offset
	s_wait_xcnt 0x0
	s_or_b32 exec_lo, exec_lo, s34
	s_and_saveexec_b32 s17, s18
	s_cbranch_execz .LBB908_240
.LBB908_308:                            ;   in Loop: Header=BB908_100 Depth=2
	v_dual_lshlrev_b32 v62, 2, v136 :: v_dual_add_nc_u32 v63, v94, v95
	ds_load_b32 v64, v62
	ds_load_b64 v[62:63], v63 offset:4608
	s_wait_dscnt 0x1
	v_add_nc_u32_e32 v64, v64, v67
	s_wait_dscnt 0x0
	global_store_b64 v64, v[62:63], s[44:45] scale_offset
	s_wait_xcnt 0x0
	s_or_b32 exec_lo, exec_lo, s17
	s_and_saveexec_b32 s17, s19
	s_cbranch_execz .LBB908_241
.LBB908_309:                            ;   in Loop: Header=BB908_100 Depth=2
	v_lshlrev_b32_e32 v62, 2, v135
	v_add_nc_u32_e32 v63, v94, v95
	ds_load_b32 v64, v62
	ds_load_b64 v[62:63], v63 offset:6656
	s_wait_dscnt 0x1
	v_add_nc_u32_e32 v64, v64, v68
	s_wait_dscnt 0x0
	global_store_b64 v64, v[62:63], s[44:45] scale_offset
	s_wait_xcnt 0x0
	s_or_b32 exec_lo, exec_lo, s17
	s_and_saveexec_b32 s17, s20
	s_cbranch_execz .LBB908_242
.LBB908_310:                            ;   in Loop: Header=BB908_100 Depth=2
	v_dual_lshlrev_b32 v62, 2, v134 :: v_dual_add_nc_u32 v63, v94, v95
	ds_load_b32 v64, v62
	ds_load_b64 v[62:63], v63 offset:8704
	s_wait_dscnt 0x1
	v_add_nc_u32_e32 v64, v64, v69
	s_wait_dscnt 0x0
	global_store_b64 v64, v[62:63], s[44:45] scale_offset
	s_wait_xcnt 0x0
	s_or_b32 exec_lo, exec_lo, s17
	s_and_saveexec_b32 s17, s21
	s_cbranch_execz .LBB908_243
.LBB908_311:                            ;   in Loop: Header=BB908_100 Depth=2
	v_dual_lshlrev_b32 v62, 2, v133 :: v_dual_add_nc_u32 v63, v94, v95
	ds_load_b32 v64, v62
	ds_load_b64 v[62:63], v63 offset:10752
	s_wait_dscnt 0x1
	v_add_nc_u32_e32 v64, v64, v70
	s_wait_dscnt 0x0
	global_store_b64 v64, v[62:63], s[44:45] scale_offset
	s_wait_xcnt 0x0
	s_or_b32 exec_lo, exec_lo, s17
	s_and_saveexec_b32 s17, s22
	s_cbranch_execz .LBB908_244
.LBB908_312:                            ;   in Loop: Header=BB908_100 Depth=2
	v_dual_lshlrev_b32 v62, 2, v132 :: v_dual_add_nc_u32 v63, v94, v95
	ds_load_b32 v64, v62
	ds_load_b64 v[62:63], v63 offset:12800
	s_wait_dscnt 0x1
	v_add_nc_u32_e32 v64, v64, v71
	s_wait_dscnt 0x0
	global_store_b64 v64, v[62:63], s[44:45] scale_offset
	s_wait_xcnt 0x0
	s_or_b32 exec_lo, exec_lo, s17
	s_and_saveexec_b32 s17, s23
	s_cbranch_execz .LBB908_245
.LBB908_313:                            ;   in Loop: Header=BB908_100 Depth=2
	v_lshlrev_b32_e32 v62, 2, v131
	v_add_nc_u32_e32 v63, v94, v95
	ds_load_b32 v64, v62
	ds_load_b64 v[62:63], v63 offset:14848
	s_wait_dscnt 0x1
	v_add_nc_u32_e32 v64, v64, v72
	s_wait_dscnt 0x0
	global_store_b64 v64, v[62:63], s[44:45] scale_offset
	s_wait_xcnt 0x0
	s_or_b32 exec_lo, exec_lo, s17
	s_and_saveexec_b32 s17, s24
	s_cbranch_execz .LBB908_246
.LBB908_314:                            ;   in Loop: Header=BB908_100 Depth=2
	v_dual_lshlrev_b32 v62, 2, v130 :: v_dual_add_nc_u32 v63, v94, v95
	ds_load_b32 v64, v62
	ds_load_b64 v[62:63], v63 offset:16896
	s_wait_dscnt 0x1
	v_add_nc_u32_e32 v64, v64, v73
	s_wait_dscnt 0x0
	global_store_b64 v64, v[62:63], s[44:45] scale_offset
	s_wait_xcnt 0x0
	s_or_b32 exec_lo, exec_lo, s17
	s_and_saveexec_b32 s17, s25
	s_cbranch_execz .LBB908_247
.LBB908_315:                            ;   in Loop: Header=BB908_100 Depth=2
	v_dual_lshlrev_b32 v62, 2, v129 :: v_dual_add_nc_u32 v63, v94, v95
	ds_load_b32 v64, v62
	ds_load_b64 v[62:63], v63 offset:18944
	s_wait_dscnt 0x1
	v_add_nc_u32_e32 v64, v64, v74
	s_wait_dscnt 0x0
	global_store_b64 v64, v[62:63], s[44:45] scale_offset
	s_wait_xcnt 0x0
	s_or_b32 exec_lo, exec_lo, s17
	s_and_saveexec_b32 s17, s26
	s_cbranch_execz .LBB908_248
.LBB908_316:                            ;   in Loop: Header=BB908_100 Depth=2
	v_dual_lshlrev_b32 v62, 2, v128 :: v_dual_add_nc_u32 v63, v94, v95
	ds_load_b32 v64, v62
	ds_load_b64 v[62:63], v63 offset:20992
	s_wait_dscnt 0x1
	v_add_nc_u32_e32 v64, v64, v75
	s_wait_dscnt 0x0
	global_store_b64 v64, v[62:63], s[44:45] scale_offset
	s_wait_xcnt 0x0
	s_or_b32 exec_lo, exec_lo, s17
	s_and_saveexec_b32 s17, s27
	s_cbranch_execz .LBB908_249
.LBB908_317:                            ;   in Loop: Header=BB908_100 Depth=2
	v_lshlrev_b32_e32 v62, 2, v127
	v_add_nc_u32_e32 v63, v94, v95
	ds_load_b32 v64, v62
	ds_load_b64 v[62:63], v63 offset:23040
	s_wait_dscnt 0x1
	v_add_nc_u32_e32 v64, v64, v76
	s_wait_dscnt 0x0
	global_store_b64 v64, v[62:63], s[44:45] scale_offset
	s_wait_xcnt 0x0
	s_or_b32 exec_lo, exec_lo, s17
	s_and_saveexec_b32 s17, s28
	s_cbranch_execz .LBB908_250
.LBB908_318:                            ;   in Loop: Header=BB908_100 Depth=2
	v_dual_lshlrev_b32 v62, 2, v126 :: v_dual_add_nc_u32 v63, v94, v95
	ds_load_b32 v64, v62
	ds_load_b64 v[62:63], v63 offset:25088
	s_wait_dscnt 0x1
	v_add_nc_u32_e32 v64, v64, v77
	s_wait_dscnt 0x0
	global_store_b64 v64, v[62:63], s[44:45] scale_offset
	s_wait_xcnt 0x0
	s_or_b32 exec_lo, exec_lo, s17
	s_and_saveexec_b32 s17, s29
	s_cbranch_execz .LBB908_251
.LBB908_319:                            ;   in Loop: Header=BB908_100 Depth=2
	v_dual_lshlrev_b32 v62, 2, v125 :: v_dual_add_nc_u32 v63, v94, v95
	ds_load_b32 v64, v62
	ds_load_b64 v[62:63], v63 offset:27136
	s_wait_dscnt 0x1
	v_add_nc_u32_e32 v64, v64, v78
	s_wait_dscnt 0x0
	global_store_b64 v64, v[62:63], s[44:45] scale_offset
	s_wait_xcnt 0x0
	s_or_b32 exec_lo, exec_lo, s17
	s_and_saveexec_b32 s17, s30
	s_cbranch_execz .LBB908_252
.LBB908_320:                            ;   in Loop: Header=BB908_100 Depth=2
	v_dual_lshlrev_b32 v62, 2, v124 :: v_dual_add_nc_u32 v63, v94, v95
	ds_load_b32 v64, v62
	ds_load_b64 v[62:63], v63 offset:29184
	s_wait_dscnt 0x1
	v_add_nc_u32_e32 v64, v64, v79
	s_wait_dscnt 0x0
	global_store_b64 v64, v[62:63], s[44:45] scale_offset
	s_wait_xcnt 0x0
	s_or_b32 exec_lo, exec_lo, s17
	s_and_saveexec_b32 s17, s31
	s_cbranch_execz .LBB908_253
.LBB908_321:                            ;   in Loop: Header=BB908_100 Depth=2
	v_lshlrev_b32_e32 v62, 2, v123
	v_add_nc_u32_e32 v63, v94, v95
	ds_load_b32 v64, v62
	ds_load_b64 v[62:63], v63 offset:31232
	s_wait_dscnt 0x1
	v_add_nc_u32_e32 v64, v64, v80
	s_wait_dscnt 0x0
	global_store_b64 v64, v[62:63], s[44:45] scale_offset
	s_wait_xcnt 0x0
	s_or_b32 exec_lo, exec_lo, s17
	s_and_saveexec_b32 s17, s33
	s_cbranch_execnz .LBB908_254
	s_branch .LBB908_255
.LBB908_322:                            ;   in Loop: Header=BB908_12 Depth=1
	s_wait_dscnt 0x0
	s_barrier_signal -1
	s_mov_b32 s9, 0
	s_barrier_wait -1
.LBB908_323:                            ;   in Loop: Header=BB908_12 Depth=1
	s_and_b32 vcc_lo, exec_lo, s9
	s_cbranch_vccz .LBB908_633
; %bb.324:                              ;   in Loop: Header=BB908_12 Depth=1
	s_mov_b32 s9, s57
	s_mov_b32 s34, s55
	s_barrier_signal -1
	s_barrier_wait -1
                                        ; implicit-def: $vgpr23
                                        ; implicit-def: $vgpr24
                                        ; implicit-def: $vgpr25
                                        ; implicit-def: $vgpr26
                                        ; implicit-def: $vgpr27
                                        ; implicit-def: $vgpr28
                                        ; implicit-def: $vgpr29
                                        ; implicit-def: $vgpr30
                                        ; implicit-def: $vgpr31
                                        ; implicit-def: $vgpr32
                                        ; implicit-def: $vgpr33
                                        ; implicit-def: $vgpr34
                                        ; implicit-def: $vgpr35
                                        ; implicit-def: $vgpr36
                                        ; implicit-def: $vgpr37
                                        ; implicit-def: $vgpr38
                                        ; implicit-def: $vgpr39
	s_branch .LBB908_326
.LBB908_325:                            ;   in Loop: Header=BB908_326 Depth=2
	s_or_b32 exec_lo, exec_lo, s10
	s_addk_co_i32 s9, 0xef00
	s_cmp_ge_u32 s12, s54
	s_mov_b32 s34, s12
	s_cbranch_scc1 .LBB908_398
.LBB908_326:                            ;   Parent Loop BB908_12 Depth=1
                                        ; =>  This Inner Loop Header: Depth=2
	s_add_co_i32 s12, s34, 0x1100
	s_mov_b32 s10, -1
	s_cmp_gt_u32 s12, s54
                                        ; implicit-def: $vgpr40
                                        ; implicit-def: $vgpr41
                                        ; implicit-def: $vgpr42
                                        ; implicit-def: $vgpr43
                                        ; implicit-def: $vgpr44
                                        ; implicit-def: $vgpr45
                                        ; implicit-def: $vgpr46
                                        ; implicit-def: $vgpr47
                                        ; implicit-def: $vgpr48
                                        ; implicit-def: $vgpr49
                                        ; implicit-def: $vgpr50
                                        ; implicit-def: $vgpr51
                                        ; implicit-def: $vgpr52
                                        ; implicit-def: $vgpr53
                                        ; implicit-def: $vgpr54
                                        ; implicit-def: $vgpr55
                                        ; implicit-def: $vgpr56
	s_cbranch_scc1 .LBB908_328
; %bb.327:                              ;   in Loop: Header=BB908_326 Depth=2
	v_lshl_add_u64 v[58:59], s[34:35], 1, v[10:11]
	s_mov_b32 s10, 0
	s_clause 0x10
	global_load_u16 v40, v[58:59], off
	global_load_u16 v41, v[58:59], off offset:512
	global_load_u16 v42, v[58:59], off offset:1024
	;; [unrolled: 1-line block ×16, first 2 shown]
.LBB908_328:                            ;   in Loop: Header=BB908_326 Depth=2
	s_and_not1_b32 vcc_lo, exec_lo, s10
	s_movk_i32 s10, 0x1100
	s_cbranch_vccnz .LBB908_348
; %bb.329:                              ;   in Loop: Header=BB908_326 Depth=2
	s_lshl_b64 s[10:11], s[34:35], 1
	s_mov_b32 s13, exec_lo
	s_add_nc_u64 s[10:11], s[38:39], s[10:11]
	s_wait_xcnt 0x0
	v_cmpx_gt_u32_e64 s9, v2
	s_cbranch_execnz .LBB908_382
; %bb.330:                              ;   in Loop: Header=BB908_326 Depth=2
	s_or_b32 exec_lo, exec_lo, s13
	s_delay_alu instid0(SALU_CYCLE_1)
	s_mov_b32 s13, exec_lo
	v_cmpx_gt_u32_e64 s9, v66
	s_cbranch_execnz .LBB908_383
.LBB908_331:                            ;   in Loop: Header=BB908_326 Depth=2
	s_or_b32 exec_lo, exec_lo, s13
	s_delay_alu instid0(SALU_CYCLE_1)
	s_mov_b32 s13, exec_lo
	v_cmpx_gt_u32_e64 s9, v67
	s_cbranch_execnz .LBB908_384
.LBB908_332:                            ;   in Loop: Header=BB908_326 Depth=2
	s_or_b32 exec_lo, exec_lo, s13
	s_delay_alu instid0(SALU_CYCLE_1)
	s_mov_b32 s13, exec_lo
	v_cmpx_gt_u32_e64 s9, v68
	s_cbranch_execnz .LBB908_385
.LBB908_333:                            ;   in Loop: Header=BB908_326 Depth=2
	s_or_b32 exec_lo, exec_lo, s13
	s_delay_alu instid0(SALU_CYCLE_1)
	s_mov_b32 s13, exec_lo
	v_cmpx_gt_u32_e64 s9, v69
	s_cbranch_execnz .LBB908_386
.LBB908_334:                            ;   in Loop: Header=BB908_326 Depth=2
	s_or_b32 exec_lo, exec_lo, s13
	s_delay_alu instid0(SALU_CYCLE_1)
	s_mov_b32 s13, exec_lo
	v_cmpx_gt_u32_e64 s9, v70
	s_cbranch_execnz .LBB908_387
.LBB908_335:                            ;   in Loop: Header=BB908_326 Depth=2
	s_or_b32 exec_lo, exec_lo, s13
	s_delay_alu instid0(SALU_CYCLE_1)
	s_mov_b32 s13, exec_lo
	v_cmpx_gt_u32_e64 s9, v71
	s_cbranch_execnz .LBB908_388
.LBB908_336:                            ;   in Loop: Header=BB908_326 Depth=2
	s_or_b32 exec_lo, exec_lo, s13
	s_delay_alu instid0(SALU_CYCLE_1)
	s_mov_b32 s13, exec_lo
	v_cmpx_gt_u32_e64 s9, v72
	s_cbranch_execnz .LBB908_389
.LBB908_337:                            ;   in Loop: Header=BB908_326 Depth=2
	s_or_b32 exec_lo, exec_lo, s13
	s_delay_alu instid0(SALU_CYCLE_1)
	s_mov_b32 s13, exec_lo
	v_cmpx_gt_u32_e64 s9, v73
	s_cbranch_execnz .LBB908_390
.LBB908_338:                            ;   in Loop: Header=BB908_326 Depth=2
	s_or_b32 exec_lo, exec_lo, s13
	s_delay_alu instid0(SALU_CYCLE_1)
	s_mov_b32 s13, exec_lo
	v_cmpx_gt_u32_e64 s9, v74
	s_cbranch_execnz .LBB908_391
.LBB908_339:                            ;   in Loop: Header=BB908_326 Depth=2
	s_or_b32 exec_lo, exec_lo, s13
	s_delay_alu instid0(SALU_CYCLE_1)
	s_mov_b32 s13, exec_lo
	v_cmpx_gt_u32_e64 s9, v75
	s_cbranch_execnz .LBB908_392
.LBB908_340:                            ;   in Loop: Header=BB908_326 Depth=2
	s_or_b32 exec_lo, exec_lo, s13
	s_delay_alu instid0(SALU_CYCLE_1)
	s_mov_b32 s13, exec_lo
	v_cmpx_gt_u32_e64 s9, v76
	s_cbranch_execnz .LBB908_393
.LBB908_341:                            ;   in Loop: Header=BB908_326 Depth=2
	s_or_b32 exec_lo, exec_lo, s13
	s_delay_alu instid0(SALU_CYCLE_1)
	s_mov_b32 s13, exec_lo
	v_cmpx_gt_u32_e64 s9, v77
	s_cbranch_execnz .LBB908_394
.LBB908_342:                            ;   in Loop: Header=BB908_326 Depth=2
	s_or_b32 exec_lo, exec_lo, s13
	s_delay_alu instid0(SALU_CYCLE_1)
	s_mov_b32 s13, exec_lo
	v_cmpx_gt_u32_e64 s9, v78
	s_cbranch_execnz .LBB908_395
.LBB908_343:                            ;   in Loop: Header=BB908_326 Depth=2
	s_or_b32 exec_lo, exec_lo, s13
	s_delay_alu instid0(SALU_CYCLE_1)
	s_mov_b32 s13, exec_lo
	v_cmpx_gt_u32_e64 s9, v79
	s_cbranch_execnz .LBB908_396
.LBB908_344:                            ;   in Loop: Header=BB908_326 Depth=2
	s_or_b32 exec_lo, exec_lo, s13
	s_delay_alu instid0(SALU_CYCLE_1)
	s_mov_b32 s13, exec_lo
	v_cmpx_gt_u32_e64 s9, v80
	s_cbranch_execnz .LBB908_397
.LBB908_345:                            ;   in Loop: Header=BB908_326 Depth=2
	s_or_b32 exec_lo, exec_lo, s13
	s_delay_alu instid0(SALU_CYCLE_1)
	s_mov_b32 s13, exec_lo
	v_cmpx_gt_u32_e64 s9, v81
	s_cbranch_execz .LBB908_347
.LBB908_346:                            ;   in Loop: Header=BB908_326 Depth=2
	global_load_u16 v23, v2, s[10:11] offset:8192 scale_offset
.LBB908_347:                            ;   in Loop: Header=BB908_326 Depth=2
	s_wait_xcnt 0x0
	s_or_b32 exec_lo, exec_lo, s13
	s_wait_loadcnt 0x0
	v_dual_mov_b32 v40, v39 :: v_dual_mov_b32 v41, v38
	v_dual_mov_b32 v42, v37 :: v_dual_mov_b32 v43, v36
	;; [unrolled: 1-line block ×8, first 2 shown]
	v_mov_b32_e32 v56, v23
	s_mov_b32 s10, s9
.LBB908_348:                            ;   in Loop: Header=BB908_326 Depth=2
	s_wait_loadcnt 0x0
	s_delay_alu instid0(VALU_DEP_1)
	v_dual_mov_b32 v23, v56 :: v_dual_mov_b32 v24, v55
	v_dual_mov_b32 v25, v54 :: v_dual_mov_b32 v26, v53
	;; [unrolled: 1-line block ×8, first 2 shown]
	v_mov_b32_e32 v39, v40
	s_mov_b32 s11, exec_lo
	s_wait_xcnt 0x0
	v_cmpx_gt_u32_e64 s10, v2
	s_cbranch_execnz .LBB908_365
; %bb.349:                              ;   in Loop: Header=BB908_326 Depth=2
	s_or_b32 exec_lo, exec_lo, s11
	s_delay_alu instid0(SALU_CYCLE_1)
	s_mov_b32 s11, exec_lo
	v_cmpx_gt_u32_e64 s10, v66
	s_cbranch_execnz .LBB908_366
.LBB908_350:                            ;   in Loop: Header=BB908_326 Depth=2
	s_or_b32 exec_lo, exec_lo, s11
	s_delay_alu instid0(SALU_CYCLE_1)
	s_mov_b32 s11, exec_lo
	v_cmpx_gt_u32_e64 s10, v67
	s_cbranch_execnz .LBB908_367
.LBB908_351:                            ;   in Loop: Header=BB908_326 Depth=2
	s_or_b32 exec_lo, exec_lo, s11
	s_delay_alu instid0(SALU_CYCLE_1)
	s_mov_b32 s11, exec_lo
	v_cmpx_gt_u32_e64 s10, v68
	s_cbranch_execnz .LBB908_368
.LBB908_352:                            ;   in Loop: Header=BB908_326 Depth=2
	s_or_b32 exec_lo, exec_lo, s11
	s_delay_alu instid0(SALU_CYCLE_1)
	s_mov_b32 s11, exec_lo
	v_cmpx_gt_u32_e64 s10, v69
	s_cbranch_execnz .LBB908_369
.LBB908_353:                            ;   in Loop: Header=BB908_326 Depth=2
	s_or_b32 exec_lo, exec_lo, s11
	s_delay_alu instid0(SALU_CYCLE_1)
	s_mov_b32 s11, exec_lo
	v_cmpx_gt_u32_e64 s10, v70
	s_cbranch_execnz .LBB908_370
.LBB908_354:                            ;   in Loop: Header=BB908_326 Depth=2
	s_or_b32 exec_lo, exec_lo, s11
	s_delay_alu instid0(SALU_CYCLE_1)
	s_mov_b32 s11, exec_lo
	v_cmpx_gt_u32_e64 s10, v71
	s_cbranch_execnz .LBB908_371
.LBB908_355:                            ;   in Loop: Header=BB908_326 Depth=2
	s_or_b32 exec_lo, exec_lo, s11
	s_delay_alu instid0(SALU_CYCLE_1)
	s_mov_b32 s11, exec_lo
	v_cmpx_gt_u32_e64 s10, v72
	s_cbranch_execnz .LBB908_372
.LBB908_356:                            ;   in Loop: Header=BB908_326 Depth=2
	s_or_b32 exec_lo, exec_lo, s11
	s_delay_alu instid0(SALU_CYCLE_1)
	s_mov_b32 s11, exec_lo
	v_cmpx_gt_u32_e64 s10, v73
	s_cbranch_execnz .LBB908_373
.LBB908_357:                            ;   in Loop: Header=BB908_326 Depth=2
	s_or_b32 exec_lo, exec_lo, s11
	s_delay_alu instid0(SALU_CYCLE_1)
	s_mov_b32 s11, exec_lo
	v_cmpx_gt_u32_e64 s10, v74
	s_cbranch_execnz .LBB908_374
.LBB908_358:                            ;   in Loop: Header=BB908_326 Depth=2
	s_or_b32 exec_lo, exec_lo, s11
	s_delay_alu instid0(SALU_CYCLE_1)
	s_mov_b32 s11, exec_lo
	v_cmpx_gt_u32_e64 s10, v75
	s_cbranch_execnz .LBB908_375
.LBB908_359:                            ;   in Loop: Header=BB908_326 Depth=2
	s_or_b32 exec_lo, exec_lo, s11
	s_delay_alu instid0(SALU_CYCLE_1)
	s_mov_b32 s11, exec_lo
	v_cmpx_gt_u32_e64 s10, v76
	s_cbranch_execnz .LBB908_376
.LBB908_360:                            ;   in Loop: Header=BB908_326 Depth=2
	s_or_b32 exec_lo, exec_lo, s11
	s_delay_alu instid0(SALU_CYCLE_1)
	s_mov_b32 s11, exec_lo
	v_cmpx_gt_u32_e64 s10, v77
	s_cbranch_execnz .LBB908_377
.LBB908_361:                            ;   in Loop: Header=BB908_326 Depth=2
	s_or_b32 exec_lo, exec_lo, s11
	s_delay_alu instid0(SALU_CYCLE_1)
	s_mov_b32 s11, exec_lo
	v_cmpx_gt_u32_e64 s10, v78
	s_cbranch_execnz .LBB908_378
.LBB908_362:                            ;   in Loop: Header=BB908_326 Depth=2
	s_or_b32 exec_lo, exec_lo, s11
	s_delay_alu instid0(SALU_CYCLE_1)
	s_mov_b32 s11, exec_lo
	v_cmpx_gt_u32_e64 s10, v79
	s_cbranch_execnz .LBB908_379
.LBB908_363:                            ;   in Loop: Header=BB908_326 Depth=2
	s_or_b32 exec_lo, exec_lo, s11
	s_delay_alu instid0(SALU_CYCLE_1)
	s_mov_b32 s11, exec_lo
	v_cmpx_gt_u32_e64 s10, v80
	s_cbranch_execnz .LBB908_380
.LBB908_364:                            ;   in Loop: Header=BB908_326 Depth=2
	s_or_b32 exec_lo, exec_lo, s11
	v_cmp_gt_u32_e32 vcc_lo, s10, v81
	s_and_saveexec_b32 s10, vcc_lo
	s_cbranch_execz .LBB908_325
	s_branch .LBB908_381
.LBB908_365:                            ;   in Loop: Header=BB908_326 Depth=2
	v_xor_b32_e32 v40, 0x7fff, v39
	s_delay_alu instid0(VALU_DEP_1) | instskip(NEXT) | instid1(VALU_DEP_1)
	v_and_b32_e32 v40, 0xffff, v40
	v_lshrrev_b32_e32 v40, s43, v40
	s_delay_alu instid0(VALU_DEP_1) | instskip(NEXT) | instid1(VALU_DEP_1)
	v_and_b32_e32 v40, s48, v40
	v_lshl_or_b32 v40, v40, 4, v83
	ds_add_u32 v40, v97
	s_or_b32 exec_lo, exec_lo, s11
	s_delay_alu instid0(SALU_CYCLE_1)
	s_mov_b32 s11, exec_lo
	v_cmpx_gt_u32_e64 s10, v66
	s_cbranch_execz .LBB908_350
.LBB908_366:                            ;   in Loop: Header=BB908_326 Depth=2
	v_xor_b32_e32 v40, 0x7fff, v38
	s_delay_alu instid0(VALU_DEP_1) | instskip(NEXT) | instid1(VALU_DEP_1)
	v_and_b32_e32 v40, 0xffff, v40
	v_lshrrev_b32_e32 v40, s43, v40
	s_delay_alu instid0(VALU_DEP_1) | instskip(NEXT) | instid1(VALU_DEP_1)
	v_and_b32_e32 v40, s48, v40
	v_lshl_or_b32 v40, v40, 4, v83
	ds_add_u32 v40, v97
	s_or_b32 exec_lo, exec_lo, s11
	s_delay_alu instid0(SALU_CYCLE_1)
	s_mov_b32 s11, exec_lo
	v_cmpx_gt_u32_e64 s10, v67
	s_cbranch_execz .LBB908_351
.LBB908_367:                            ;   in Loop: Header=BB908_326 Depth=2
	v_xor_b32_e32 v40, 0x7fff, v37
	s_delay_alu instid0(VALU_DEP_1) | instskip(NEXT) | instid1(VALU_DEP_1)
	v_and_b32_e32 v40, 0xffff, v40
	v_lshrrev_b32_e32 v40, s43, v40
	s_delay_alu instid0(VALU_DEP_1) | instskip(NEXT) | instid1(VALU_DEP_1)
	v_and_b32_e32 v40, s48, v40
	v_lshl_or_b32 v40, v40, 4, v83
	ds_add_u32 v40, v97
	s_or_b32 exec_lo, exec_lo, s11
	s_delay_alu instid0(SALU_CYCLE_1)
	s_mov_b32 s11, exec_lo
	v_cmpx_gt_u32_e64 s10, v68
	s_cbranch_execz .LBB908_352
.LBB908_368:                            ;   in Loop: Header=BB908_326 Depth=2
	v_xor_b32_e32 v40, 0x7fff, v36
	s_delay_alu instid0(VALU_DEP_1) | instskip(NEXT) | instid1(VALU_DEP_1)
	v_and_b32_e32 v40, 0xffff, v40
	v_lshrrev_b32_e32 v40, s43, v40
	s_delay_alu instid0(VALU_DEP_1) | instskip(NEXT) | instid1(VALU_DEP_1)
	v_and_b32_e32 v40, s48, v40
	v_lshl_or_b32 v40, v40, 4, v83
	ds_add_u32 v40, v97
	s_or_b32 exec_lo, exec_lo, s11
	s_delay_alu instid0(SALU_CYCLE_1)
	s_mov_b32 s11, exec_lo
	v_cmpx_gt_u32_e64 s10, v69
	s_cbranch_execz .LBB908_353
.LBB908_369:                            ;   in Loop: Header=BB908_326 Depth=2
	v_xor_b32_e32 v40, 0x7fff, v35
	s_delay_alu instid0(VALU_DEP_1) | instskip(NEXT) | instid1(VALU_DEP_1)
	v_and_b32_e32 v40, 0xffff, v40
	v_lshrrev_b32_e32 v40, s43, v40
	s_delay_alu instid0(VALU_DEP_1) | instskip(NEXT) | instid1(VALU_DEP_1)
	v_and_b32_e32 v40, s48, v40
	v_lshl_or_b32 v40, v40, 4, v83
	ds_add_u32 v40, v97
	s_or_b32 exec_lo, exec_lo, s11
	s_delay_alu instid0(SALU_CYCLE_1)
	s_mov_b32 s11, exec_lo
	v_cmpx_gt_u32_e64 s10, v70
	s_cbranch_execz .LBB908_354
.LBB908_370:                            ;   in Loop: Header=BB908_326 Depth=2
	v_xor_b32_e32 v40, 0x7fff, v34
	s_delay_alu instid0(VALU_DEP_1) | instskip(NEXT) | instid1(VALU_DEP_1)
	v_and_b32_e32 v40, 0xffff, v40
	v_lshrrev_b32_e32 v40, s43, v40
	s_delay_alu instid0(VALU_DEP_1) | instskip(NEXT) | instid1(VALU_DEP_1)
	v_and_b32_e32 v40, s48, v40
	v_lshl_or_b32 v40, v40, 4, v83
	ds_add_u32 v40, v97
	s_or_b32 exec_lo, exec_lo, s11
	s_delay_alu instid0(SALU_CYCLE_1)
	s_mov_b32 s11, exec_lo
	v_cmpx_gt_u32_e64 s10, v71
	s_cbranch_execz .LBB908_355
.LBB908_371:                            ;   in Loop: Header=BB908_326 Depth=2
	v_xor_b32_e32 v40, 0x7fff, v33
	s_delay_alu instid0(VALU_DEP_1) | instskip(NEXT) | instid1(VALU_DEP_1)
	v_and_b32_e32 v40, 0xffff, v40
	v_lshrrev_b32_e32 v40, s43, v40
	s_delay_alu instid0(VALU_DEP_1) | instskip(NEXT) | instid1(VALU_DEP_1)
	v_and_b32_e32 v40, s48, v40
	v_lshl_or_b32 v40, v40, 4, v83
	ds_add_u32 v40, v97
	s_or_b32 exec_lo, exec_lo, s11
	s_delay_alu instid0(SALU_CYCLE_1)
	s_mov_b32 s11, exec_lo
	v_cmpx_gt_u32_e64 s10, v72
	s_cbranch_execz .LBB908_356
.LBB908_372:                            ;   in Loop: Header=BB908_326 Depth=2
	v_xor_b32_e32 v40, 0x7fff, v32
	s_delay_alu instid0(VALU_DEP_1) | instskip(NEXT) | instid1(VALU_DEP_1)
	v_and_b32_e32 v40, 0xffff, v40
	v_lshrrev_b32_e32 v40, s43, v40
	s_delay_alu instid0(VALU_DEP_1) | instskip(NEXT) | instid1(VALU_DEP_1)
	v_and_b32_e32 v40, s48, v40
	v_lshl_or_b32 v40, v40, 4, v83
	ds_add_u32 v40, v97
	s_or_b32 exec_lo, exec_lo, s11
	s_delay_alu instid0(SALU_CYCLE_1)
	s_mov_b32 s11, exec_lo
	v_cmpx_gt_u32_e64 s10, v73
	s_cbranch_execz .LBB908_357
.LBB908_373:                            ;   in Loop: Header=BB908_326 Depth=2
	v_xor_b32_e32 v40, 0x7fff, v31
	s_delay_alu instid0(VALU_DEP_1) | instskip(NEXT) | instid1(VALU_DEP_1)
	v_and_b32_e32 v40, 0xffff, v40
	v_lshrrev_b32_e32 v40, s43, v40
	s_delay_alu instid0(VALU_DEP_1) | instskip(NEXT) | instid1(VALU_DEP_1)
	v_and_b32_e32 v40, s48, v40
	v_lshl_or_b32 v40, v40, 4, v83
	ds_add_u32 v40, v97
	s_or_b32 exec_lo, exec_lo, s11
	s_delay_alu instid0(SALU_CYCLE_1)
	s_mov_b32 s11, exec_lo
	v_cmpx_gt_u32_e64 s10, v74
	s_cbranch_execz .LBB908_358
.LBB908_374:                            ;   in Loop: Header=BB908_326 Depth=2
	v_xor_b32_e32 v40, 0x7fff, v30
	s_delay_alu instid0(VALU_DEP_1) | instskip(NEXT) | instid1(VALU_DEP_1)
	v_and_b32_e32 v40, 0xffff, v40
	v_lshrrev_b32_e32 v40, s43, v40
	s_delay_alu instid0(VALU_DEP_1) | instskip(NEXT) | instid1(VALU_DEP_1)
	v_and_b32_e32 v40, s48, v40
	v_lshl_or_b32 v40, v40, 4, v83
	ds_add_u32 v40, v97
	s_or_b32 exec_lo, exec_lo, s11
	s_delay_alu instid0(SALU_CYCLE_1)
	s_mov_b32 s11, exec_lo
	v_cmpx_gt_u32_e64 s10, v75
	s_cbranch_execz .LBB908_359
.LBB908_375:                            ;   in Loop: Header=BB908_326 Depth=2
	v_xor_b32_e32 v40, 0x7fff, v29
	s_delay_alu instid0(VALU_DEP_1) | instskip(NEXT) | instid1(VALU_DEP_1)
	v_and_b32_e32 v40, 0xffff, v40
	v_lshrrev_b32_e32 v40, s43, v40
	s_delay_alu instid0(VALU_DEP_1) | instskip(NEXT) | instid1(VALU_DEP_1)
	v_and_b32_e32 v40, s48, v40
	v_lshl_or_b32 v40, v40, 4, v83
	ds_add_u32 v40, v97
	s_or_b32 exec_lo, exec_lo, s11
	s_delay_alu instid0(SALU_CYCLE_1)
	s_mov_b32 s11, exec_lo
	v_cmpx_gt_u32_e64 s10, v76
	s_cbranch_execz .LBB908_360
.LBB908_376:                            ;   in Loop: Header=BB908_326 Depth=2
	v_xor_b32_e32 v40, 0x7fff, v28
	s_delay_alu instid0(VALU_DEP_1) | instskip(NEXT) | instid1(VALU_DEP_1)
	v_and_b32_e32 v40, 0xffff, v40
	v_lshrrev_b32_e32 v40, s43, v40
	s_delay_alu instid0(VALU_DEP_1) | instskip(NEXT) | instid1(VALU_DEP_1)
	v_and_b32_e32 v40, s48, v40
	v_lshl_or_b32 v40, v40, 4, v83
	ds_add_u32 v40, v97
	s_or_b32 exec_lo, exec_lo, s11
	s_delay_alu instid0(SALU_CYCLE_1)
	s_mov_b32 s11, exec_lo
	v_cmpx_gt_u32_e64 s10, v77
	s_cbranch_execz .LBB908_361
.LBB908_377:                            ;   in Loop: Header=BB908_326 Depth=2
	v_xor_b32_e32 v40, 0x7fff, v27
	s_delay_alu instid0(VALU_DEP_1) | instskip(NEXT) | instid1(VALU_DEP_1)
	v_and_b32_e32 v40, 0xffff, v40
	v_lshrrev_b32_e32 v40, s43, v40
	s_delay_alu instid0(VALU_DEP_1) | instskip(NEXT) | instid1(VALU_DEP_1)
	v_and_b32_e32 v40, s48, v40
	v_lshl_or_b32 v40, v40, 4, v83
	ds_add_u32 v40, v97
	s_or_b32 exec_lo, exec_lo, s11
	s_delay_alu instid0(SALU_CYCLE_1)
	s_mov_b32 s11, exec_lo
	v_cmpx_gt_u32_e64 s10, v78
	s_cbranch_execz .LBB908_362
.LBB908_378:                            ;   in Loop: Header=BB908_326 Depth=2
	v_xor_b32_e32 v40, 0x7fff, v26
	s_delay_alu instid0(VALU_DEP_1) | instskip(NEXT) | instid1(VALU_DEP_1)
	v_and_b32_e32 v40, 0xffff, v40
	v_lshrrev_b32_e32 v40, s43, v40
	s_delay_alu instid0(VALU_DEP_1) | instskip(NEXT) | instid1(VALU_DEP_1)
	v_and_b32_e32 v40, s48, v40
	v_lshl_or_b32 v40, v40, 4, v83
	ds_add_u32 v40, v97
	s_or_b32 exec_lo, exec_lo, s11
	s_delay_alu instid0(SALU_CYCLE_1)
	s_mov_b32 s11, exec_lo
	v_cmpx_gt_u32_e64 s10, v79
	s_cbranch_execz .LBB908_363
.LBB908_379:                            ;   in Loop: Header=BB908_326 Depth=2
	v_xor_b32_e32 v40, 0x7fff, v25
	s_delay_alu instid0(VALU_DEP_1) | instskip(NEXT) | instid1(VALU_DEP_1)
	v_and_b32_e32 v40, 0xffff, v40
	v_lshrrev_b32_e32 v40, s43, v40
	s_delay_alu instid0(VALU_DEP_1) | instskip(NEXT) | instid1(VALU_DEP_1)
	v_and_b32_e32 v40, s48, v40
	v_lshl_or_b32 v40, v40, 4, v83
	ds_add_u32 v40, v97
	s_or_b32 exec_lo, exec_lo, s11
	s_delay_alu instid0(SALU_CYCLE_1)
	s_mov_b32 s11, exec_lo
	v_cmpx_gt_u32_e64 s10, v80
	s_cbranch_execz .LBB908_364
.LBB908_380:                            ;   in Loop: Header=BB908_326 Depth=2
	v_xor_b32_e32 v40, 0x7fff, v24
	s_delay_alu instid0(VALU_DEP_1) | instskip(NEXT) | instid1(VALU_DEP_1)
	v_and_b32_e32 v40, 0xffff, v40
	v_lshrrev_b32_e32 v40, s43, v40
	s_delay_alu instid0(VALU_DEP_1) | instskip(NEXT) | instid1(VALU_DEP_1)
	v_and_b32_e32 v40, s48, v40
	v_lshl_or_b32 v40, v40, 4, v83
	ds_add_u32 v40, v97
	s_or_b32 exec_lo, exec_lo, s11
	v_cmp_gt_u32_e32 vcc_lo, s10, v81
	s_and_saveexec_b32 s10, vcc_lo
	s_cbranch_execz .LBB908_325
.LBB908_381:                            ;   in Loop: Header=BB908_326 Depth=2
	v_xor_b32_e32 v40, 0x7fff, v23
	s_delay_alu instid0(VALU_DEP_1) | instskip(NEXT) | instid1(VALU_DEP_1)
	v_and_b32_e32 v40, 0xffff, v40
	v_lshrrev_b32_e32 v40, s43, v40
	s_delay_alu instid0(VALU_DEP_1) | instskip(NEXT) | instid1(VALU_DEP_1)
	v_and_b32_e32 v40, s48, v40
	v_lshl_or_b32 v40, v40, 4, v83
	ds_add_u32 v40, v97
	s_branch .LBB908_325
.LBB908_382:                            ;   in Loop: Header=BB908_326 Depth=2
	global_load_u16 v39, v2, s[10:11] scale_offset
	s_wait_xcnt 0x0
	s_or_b32 exec_lo, exec_lo, s13
	s_delay_alu instid0(SALU_CYCLE_1)
	s_mov_b32 s13, exec_lo
	v_cmpx_gt_u32_e64 s9, v66
	s_cbranch_execz .LBB908_331
.LBB908_383:                            ;   in Loop: Header=BB908_326 Depth=2
	global_load_u16 v38, v2, s[10:11] offset:512 scale_offset
	s_wait_xcnt 0x0
	s_or_b32 exec_lo, exec_lo, s13
	s_delay_alu instid0(SALU_CYCLE_1)
	s_mov_b32 s13, exec_lo
	v_cmpx_gt_u32_e64 s9, v67
	s_cbranch_execz .LBB908_332
.LBB908_384:                            ;   in Loop: Header=BB908_326 Depth=2
	global_load_u16 v37, v2, s[10:11] offset:1024 scale_offset
	s_wait_xcnt 0x0
	s_or_b32 exec_lo, exec_lo, s13
	s_delay_alu instid0(SALU_CYCLE_1)
	s_mov_b32 s13, exec_lo
	v_cmpx_gt_u32_e64 s9, v68
	s_cbranch_execz .LBB908_333
.LBB908_385:                            ;   in Loop: Header=BB908_326 Depth=2
	global_load_u16 v36, v2, s[10:11] offset:1536 scale_offset
	s_wait_xcnt 0x0
	s_or_b32 exec_lo, exec_lo, s13
	s_delay_alu instid0(SALU_CYCLE_1)
	s_mov_b32 s13, exec_lo
	v_cmpx_gt_u32_e64 s9, v69
	s_cbranch_execz .LBB908_334
.LBB908_386:                            ;   in Loop: Header=BB908_326 Depth=2
	global_load_u16 v35, v2, s[10:11] offset:2048 scale_offset
	s_wait_xcnt 0x0
	s_or_b32 exec_lo, exec_lo, s13
	s_delay_alu instid0(SALU_CYCLE_1)
	s_mov_b32 s13, exec_lo
	v_cmpx_gt_u32_e64 s9, v70
	s_cbranch_execz .LBB908_335
.LBB908_387:                            ;   in Loop: Header=BB908_326 Depth=2
	global_load_u16 v34, v2, s[10:11] offset:2560 scale_offset
	s_wait_xcnt 0x0
	s_or_b32 exec_lo, exec_lo, s13
	s_delay_alu instid0(SALU_CYCLE_1)
	s_mov_b32 s13, exec_lo
	v_cmpx_gt_u32_e64 s9, v71
	s_cbranch_execz .LBB908_336
.LBB908_388:                            ;   in Loop: Header=BB908_326 Depth=2
	global_load_u16 v33, v2, s[10:11] offset:3072 scale_offset
	s_wait_xcnt 0x0
	s_or_b32 exec_lo, exec_lo, s13
	s_delay_alu instid0(SALU_CYCLE_1)
	s_mov_b32 s13, exec_lo
	v_cmpx_gt_u32_e64 s9, v72
	s_cbranch_execz .LBB908_337
.LBB908_389:                            ;   in Loop: Header=BB908_326 Depth=2
	global_load_u16 v32, v2, s[10:11] offset:3584 scale_offset
	s_wait_xcnt 0x0
	s_or_b32 exec_lo, exec_lo, s13
	s_delay_alu instid0(SALU_CYCLE_1)
	s_mov_b32 s13, exec_lo
	v_cmpx_gt_u32_e64 s9, v73
	s_cbranch_execz .LBB908_338
.LBB908_390:                            ;   in Loop: Header=BB908_326 Depth=2
	global_load_u16 v31, v2, s[10:11] offset:4096 scale_offset
	s_wait_xcnt 0x0
	s_or_b32 exec_lo, exec_lo, s13
	s_delay_alu instid0(SALU_CYCLE_1)
	s_mov_b32 s13, exec_lo
	v_cmpx_gt_u32_e64 s9, v74
	s_cbranch_execz .LBB908_339
.LBB908_391:                            ;   in Loop: Header=BB908_326 Depth=2
	global_load_u16 v30, v2, s[10:11] offset:4608 scale_offset
	s_wait_xcnt 0x0
	s_or_b32 exec_lo, exec_lo, s13
	s_delay_alu instid0(SALU_CYCLE_1)
	s_mov_b32 s13, exec_lo
	v_cmpx_gt_u32_e64 s9, v75
	s_cbranch_execz .LBB908_340
.LBB908_392:                            ;   in Loop: Header=BB908_326 Depth=2
	global_load_u16 v29, v2, s[10:11] offset:5120 scale_offset
	s_wait_xcnt 0x0
	s_or_b32 exec_lo, exec_lo, s13
	s_delay_alu instid0(SALU_CYCLE_1)
	s_mov_b32 s13, exec_lo
	v_cmpx_gt_u32_e64 s9, v76
	s_cbranch_execz .LBB908_341
.LBB908_393:                            ;   in Loop: Header=BB908_326 Depth=2
	global_load_u16 v28, v2, s[10:11] offset:5632 scale_offset
	s_wait_xcnt 0x0
	s_or_b32 exec_lo, exec_lo, s13
	s_delay_alu instid0(SALU_CYCLE_1)
	s_mov_b32 s13, exec_lo
	v_cmpx_gt_u32_e64 s9, v77
	s_cbranch_execz .LBB908_342
.LBB908_394:                            ;   in Loop: Header=BB908_326 Depth=2
	global_load_u16 v27, v2, s[10:11] offset:6144 scale_offset
	s_wait_xcnt 0x0
	s_or_b32 exec_lo, exec_lo, s13
	s_delay_alu instid0(SALU_CYCLE_1)
	s_mov_b32 s13, exec_lo
	v_cmpx_gt_u32_e64 s9, v78
	s_cbranch_execz .LBB908_343
.LBB908_395:                            ;   in Loop: Header=BB908_326 Depth=2
	global_load_u16 v26, v2, s[10:11] offset:6656 scale_offset
	s_wait_xcnt 0x0
	s_or_b32 exec_lo, exec_lo, s13
	s_delay_alu instid0(SALU_CYCLE_1)
	s_mov_b32 s13, exec_lo
	v_cmpx_gt_u32_e64 s9, v79
	s_cbranch_execz .LBB908_344
.LBB908_396:                            ;   in Loop: Header=BB908_326 Depth=2
	global_load_u16 v25, v2, s[10:11] offset:7168 scale_offset
	s_wait_xcnt 0x0
	s_or_b32 exec_lo, exec_lo, s13
	s_delay_alu instid0(SALU_CYCLE_1)
	s_mov_b32 s13, exec_lo
	v_cmpx_gt_u32_e64 s9, v80
	s_cbranch_execz .LBB908_345
.LBB908_397:                            ;   in Loop: Header=BB908_326 Depth=2
	global_load_u16 v24, v2, s[10:11] offset:7680 scale_offset
	s_wait_xcnt 0x0
	s_or_b32 exec_lo, exec_lo, s13
	s_delay_alu instid0(SALU_CYCLE_1)
	s_mov_b32 s13, exec_lo
	v_cmpx_gt_u32_e64 s9, v81
	s_cbranch_execnz .LBB908_346
	s_branch .LBB908_347
.LBB908_398:                            ;   in Loop: Header=BB908_12 Depth=1
	v_mov_b32_e32 v23, 0
	s_wait_dscnt 0x0
	s_barrier_signal -1
	s_barrier_wait -1
	s_and_saveexec_b32 s9, s0
	s_cbranch_execz .LBB908_400
; %bb.399:                              ;   in Loop: Header=BB908_12 Depth=1
	ds_load_2addr_b64 v[24:27], v84 offset1:1
	s_wait_dscnt 0x0
	v_add_nc_u32_e32 v23, v25, v24
	s_delay_alu instid0(VALU_DEP_1)
	v_add3_u32 v23, v23, v26, v27
.LBB908_400:                            ;   in Loop: Header=BB908_12 Depth=1
	s_or_b32 exec_lo, exec_lo, s9
	s_delay_alu instid0(VALU_DEP_1)
	v_mov_b32_dpp v24, v23 row_shr:1 row_mask:0xf bank_mask:0xf
	v_cmp_eq_u32_e64 s9, 0, v98
	v_cmp_lt_u32_e64 s10, 1, v98
	v_cmp_lt_u32_e64 s11, 3, v98
	;; [unrolled: 1-line block ×3, first 2 shown]
	v_cmp_eq_u32_e64 s13, 0, v100
	v_cndmask_b32_e64 v24, v24, 0, s9
	s_delay_alu instid0(VALU_DEP_1) | instskip(NEXT) | instid1(VALU_DEP_1)
	v_add_nc_u32_e32 v23, v24, v23
	v_mov_b32_dpp v24, v23 row_shr:2 row_mask:0xf bank_mask:0xf
	s_delay_alu instid0(VALU_DEP_1) | instskip(NEXT) | instid1(VALU_DEP_1)
	v_cndmask_b32_e64 v24, 0, v24, s10
	v_add_nc_u32_e32 v23, v23, v24
	s_delay_alu instid0(VALU_DEP_1) | instskip(NEXT) | instid1(VALU_DEP_1)
	v_mov_b32_dpp v24, v23 row_shr:4 row_mask:0xf bank_mask:0xf
	v_cndmask_b32_e64 v24, 0, v24, s11
	s_delay_alu instid0(VALU_DEP_1) | instskip(NEXT) | instid1(VALU_DEP_1)
	v_add_nc_u32_e32 v23, v23, v24
	v_mov_b32_dpp v24, v23 row_shr:8 row_mask:0xf bank_mask:0xf
	s_delay_alu instid0(VALU_DEP_1) | instskip(NEXT) | instid1(VALU_DEP_1)
	v_cndmask_b32_e64 v24, 0, v24, s12
	v_add_nc_u32_e32 v23, v23, v24
	ds_swizzle_b32 v24, v23 offset:swizzle(BROADCAST,32,15)
	s_wait_dscnt 0x0
	v_and_b32_e32 v24, v99, v24
	s_delay_alu instid0(VALU_DEP_1)
	v_add_nc_u32_e32 v23, v23, v24
	s_and_saveexec_b32 s14, s1
; %bb.401:                              ;   in Loop: Header=BB908_12 Depth=1
	ds_store_b32 v85, v23
; %bb.402:                              ;   in Loop: Header=BB908_12 Depth=1
	s_or_b32 exec_lo, exec_lo, s14
	s_wait_dscnt 0x0
	s_barrier_signal -1
	s_barrier_wait -1
	s_and_saveexec_b32 s14, s4
	s_cbranch_execz .LBB908_404
; %bb.403:                              ;   in Loop: Header=BB908_12 Depth=1
	ds_load_b32 v24, v86
	v_cmp_ne_u32_e32 vcc_lo, 0, v101
	s_wait_dscnt 0x0
	v_mov_b32_dpp v25, v24 row_shr:1 row_mask:0xf bank_mask:0xf
	s_delay_alu instid0(VALU_DEP_1) | instskip(SKIP_1) | instid1(VALU_DEP_2)
	v_cndmask_b32_e32 v25, 0, v25, vcc_lo
	v_cmp_lt_u32_e32 vcc_lo, 1, v101
	v_add_nc_u32_e32 v24, v25, v24
	s_delay_alu instid0(VALU_DEP_1) | instskip(NEXT) | instid1(VALU_DEP_1)
	v_mov_b32_dpp v25, v24 row_shr:2 row_mask:0xf bank_mask:0xf
	v_cndmask_b32_e32 v25, 0, v25, vcc_lo
	s_delay_alu instid0(VALU_DEP_1)
	v_add_nc_u32_e32 v24, v24, v25
	ds_store_b32 v86, v24
.LBB908_404:                            ;   in Loop: Header=BB908_12 Depth=1
	s_or_b32 exec_lo, exec_lo, s14
	v_mov_b32_e32 v24, 0
	s_wait_dscnt 0x0
	s_barrier_signal -1
	s_barrier_wait -1
	s_and_saveexec_b32 s14, s5
; %bb.405:                              ;   in Loop: Header=BB908_12 Depth=1
	ds_load_b32 v24, v87
; %bb.406:                              ;   in Loop: Header=BB908_12 Depth=1
	s_or_b32 exec_lo, exec_lo, s14
	v_cmp_gt_i32_e32 vcc_lo, 0, v103
	s_wait_dscnt 0x0
	s_barrier_signal -1
	s_barrier_wait -1
	v_dual_cndmask_b32 v25, v103, v96, vcc_lo :: v_dual_add_nc_u32 v23, v24, v23
	s_delay_alu instid0(VALU_DEP_1)
	v_lshlrev_b32_e32 v121, 2, v25
	ds_bpermute_b32 v23, v121, v23
	s_and_saveexec_b32 s14, s0
	s_cbranch_execz .LBB908_408
; %bb.407:                              ;   in Loop: Header=BB908_12 Depth=1
	s_wait_dscnt 0x0
	v_cndmask_b32_e64 v23, v23, v24, s8
	s_delay_alu instid0(VALU_DEP_1)
	v_add_nc_u32_e32 v23, s55, v23
	ds_store_b32 v3, v23
.LBB908_408:                            ;   in Loop: Header=BB908_12 Depth=1
	s_or_b32 exec_lo, exec_lo, s14
	s_load_b64 s[14:15], s[52:53], 0x0
	s_mov_b32 s58, s57
                                        ; implicit-def: $vgpr30_vgpr31
                                        ; implicit-def: $vgpr32_vgpr33
                                        ; implicit-def: $vgpr34_vgpr35
                                        ; implicit-def: $vgpr36_vgpr37
                                        ; implicit-def: $vgpr38_vgpr39
                                        ; implicit-def: $vgpr40_vgpr41
                                        ; implicit-def: $vgpr42_vgpr43
                                        ; implicit-def: $vgpr44_vgpr45
                                        ; implicit-def: $vgpr46_vgpr47
                                        ; implicit-def: $vgpr48_vgpr49
                                        ; implicit-def: $vgpr50_vgpr51
                                        ; implicit-def: $vgpr52_vgpr53
                                        ; implicit-def: $vgpr54_vgpr55
                                        ; implicit-def: $vgpr56_vgpr57
                                        ; implicit-def: $vgpr58_vgpr59
                                        ; implicit-def: $vgpr60_vgpr61
                                        ; implicit-def: $vgpr122
                                        ; implicit-def: $vgpr123
                                        ; implicit-def: $vgpr124
                                        ; implicit-def: $vgpr125
                                        ; implicit-def: $vgpr126
                                        ; implicit-def: $vgpr127
                                        ; implicit-def: $vgpr128
                                        ; implicit-def: $vgpr129
                                        ; implicit-def: $vgpr130
                                        ; implicit-def: $vgpr131
                                        ; implicit-def: $vgpr132
                                        ; implicit-def: $vgpr133
                                        ; implicit-def: $vgpr134
                                        ; implicit-def: $vgpr135
                                        ; implicit-def: $vgpr136
                                        ; implicit-def: $vgpr138
                                        ; implicit-def: $vgpr139
                                        ; implicit-def: $vgpr137
                                        ; implicit-def: $vgpr140
	s_wait_kmcnt 0x0
	s_cmp_lt_u32 s51, s14
	s_cselect_b32 s34, 12, 18
	s_cmp_lt_u32 s42, s15
	s_mov_b32 s15, s35
	s_cselect_b32 s14, 14, 20
	s_delay_alu instid0(SALU_CYCLE_1)
	s_add_nc_u64 s[14:15], s[52:53], s[14:15]
	s_load_u16 s16, s[14:15], 0x0
	s_wait_xcnt 0x0
	s_add_nc_u64 s[14:15], s[52:53], s[34:35]
	s_mov_b32 s34, s55
	s_load_u16 s14, s[14:15], 0x0
	s_wait_xcnt 0x0
	v_cmp_lt_u32_e64 s15, 1, v104
	s_wait_dscnt 0x0
	s_wait_kmcnt 0x0
	v_mad_u32_u24 v23, v88, s16, v90
	v_cmp_lt_u32_e64 s16, 3, v104
	s_delay_alu instid0(VALU_DEP_2) | instskip(SKIP_2) | instid1(VALU_DEP_3)
	v_mad_u32 v24, v23, s14, v2
	v_mov_b32_e32 v23, v5
	v_cmp_eq_u32_e64 s14, 0, v104
	v_lshrrev_b32_e32 v28, 3, v24
	v_add_nc_u64_e32 v[24:25], v[12:13], v[4:5]
	s_delay_alu instid0(VALU_DEP_4) | instskip(NEXT) | instid1(VALU_DEP_3)
	v_add_nc_u64_e32 v[26:27], v[14:15], v[22:23]
	v_and_b32_e32 v23, 0x1ffffffc, v28
                                        ; implicit-def: $vgpr28_vgpr29
	s_branch .LBB908_410
.LBB908_409:                            ;   in Loop: Header=BB908_410 Depth=2
	s_or_b32 exec_lo, exec_lo, s17
	s_addk_co_i32 s58, 0xef00
	s_cmp_lt_u32 s59, s54
	s_mov_b32 s34, s59
	s_cbranch_scc0 .LBB908_632
.LBB908_410:                            ;   Parent Loop BB908_12 Depth=1
                                        ; =>  This Inner Loop Header: Depth=2
	s_add_co_i32 s59, s34, 0x1100
	s_delay_alu instid0(SALU_CYCLE_1)
	s_cmp_gt_u32 s59, s54
	s_cbranch_scc1 .LBB908_412
; %bb.411:                              ;   in Loop: Header=BB908_410 Depth=2
	s_delay_alu instid0(VALU_DEP_2)
	v_lshl_add_u64 v[62:63], s[34:35], 1, v[26:27]
	s_mov_b32 s17, -1
	s_clause 0xf
	global_load_u16 v143, v[62:63], off
	global_load_u16 v145, v[62:63], off offset:64
	global_load_u16 v147, v[62:63], off offset:128
	;; [unrolled: 1-line block ×15, first 2 shown]
	s_movk_i32 s18, 0x1100
	s_cbranch_execz .LBB908_413
	s_branch .LBB908_446
.LBB908_412:                            ;   in Loop: Header=BB908_410 Depth=2
	s_mov_b32 s17, 0
                                        ; implicit-def: $vgpr143
                                        ; implicit-def: $vgpr145
                                        ; implicit-def: $vgpr147
                                        ; implicit-def: $vgpr151
                                        ; implicit-def: $vgpr155
                                        ; implicit-def: $vgpr160
                                        ; implicit-def: $vgpr166
                                        ; implicit-def: $vgpr171
                                        ; implicit-def: $vgpr176
                                        ; implicit-def: $vgpr174
                                        ; implicit-def: $vgpr169
                                        ; implicit-def: $vgpr164
                                        ; implicit-def: $vgpr161
                                        ; implicit-def: $vgpr156
                                        ; implicit-def: $vgpr65
                                        ; implicit-def: $vgpr64
	s_movk_i32 s18, 0x1100
.LBB908_413:                            ;   in Loop: Header=BB908_410 Depth=2
	s_wait_xcnt 0x0
	v_lshl_add_u64 v[62:63], s[34:35], 1, v[26:27]
	s_wait_loadcnt 0xe
	v_mov_b32_e32 v145, 0xffff8000
	v_mov_b32_e32 v143, 0xffff8000
	s_mov_b32 s17, exec_lo
	v_cmpx_gt_u32_e64 s58, v102
	s_cbranch_execz .LBB908_415
; %bb.414:                              ;   in Loop: Header=BB908_410 Depth=2
	global_load_u16 v143, v[62:63], off
.LBB908_415:                            ;   in Loop: Header=BB908_410 Depth=2
	s_wait_xcnt 0x0
	s_or_b32 exec_lo, exec_lo, s17
	s_delay_alu instid0(SALU_CYCLE_1)
	s_mov_b32 s17, exec_lo
	v_cmpx_gt_u32_e64 s58, v105
	s_cbranch_execz .LBB908_417
; %bb.416:                              ;   in Loop: Header=BB908_410 Depth=2
	global_load_u16 v145, v[62:63], off offset:64
.LBB908_417:                            ;   in Loop: Header=BB908_410 Depth=2
	s_wait_xcnt 0x0
	s_or_b32 exec_lo, exec_lo, s17
	s_wait_loadcnt 0xc
	v_mov_b32_e32 v151, 0xffff8000
	v_mov_b32_e32 v147, 0xffff8000
	s_mov_b32 s17, exec_lo
	v_cmpx_gt_u32_e64 s58, v106
	s_cbranch_execz .LBB908_419
; %bb.418:                              ;   in Loop: Header=BB908_410 Depth=2
	global_load_u16 v147, v[62:63], off offset:128
.LBB908_419:                            ;   in Loop: Header=BB908_410 Depth=2
	s_wait_xcnt 0x0
	s_or_b32 exec_lo, exec_lo, s17
	s_delay_alu instid0(SALU_CYCLE_1)
	s_mov_b32 s17, exec_lo
	v_cmpx_gt_u32_e64 s58, v107
	s_cbranch_execz .LBB908_421
; %bb.420:                              ;   in Loop: Header=BB908_410 Depth=2
	global_load_u16 v151, v[62:63], off offset:192
.LBB908_421:                            ;   in Loop: Header=BB908_410 Depth=2
	s_wait_xcnt 0x0
	s_or_b32 exec_lo, exec_lo, s17
	s_wait_loadcnt 0xa
	v_dual_mov_b32 v160, 0xffff8000 :: v_dual_mov_b32 v155, 0xffff8000
	s_mov_b32 s17, exec_lo
	v_cmpx_gt_u32_e64 s58, v108
	s_cbranch_execz .LBB908_423
; %bb.422:                              ;   in Loop: Header=BB908_410 Depth=2
	global_load_u16 v155, v[62:63], off offset:256
.LBB908_423:                            ;   in Loop: Header=BB908_410 Depth=2
	s_wait_xcnt 0x0
	s_or_b32 exec_lo, exec_lo, s17
	s_delay_alu instid0(SALU_CYCLE_1)
	s_mov_b32 s17, exec_lo
	v_cmpx_gt_u32_e64 s58, v109
	s_cbranch_execz .LBB908_425
; %bb.424:                              ;   in Loop: Header=BB908_410 Depth=2
	global_load_u16 v160, v[62:63], off offset:320
.LBB908_425:                            ;   in Loop: Header=BB908_410 Depth=2
	s_wait_xcnt 0x0
	s_or_b32 exec_lo, exec_lo, s17
	s_wait_loadcnt 0x8
	v_dual_mov_b32 v171, 0xffff8000 :: v_dual_mov_b32 v166, 0xffff8000
	s_mov_b32 s17, exec_lo
	v_cmpx_gt_u32_e64 s58, v110
	s_cbranch_execz .LBB908_427
; %bb.426:                              ;   in Loop: Header=BB908_410 Depth=2
	global_load_u16 v166, v[62:63], off offset:384
.LBB908_427:                            ;   in Loop: Header=BB908_410 Depth=2
	s_wait_xcnt 0x0
	s_or_b32 exec_lo, exec_lo, s17
	s_delay_alu instid0(SALU_CYCLE_1)
	s_mov_b32 s17, exec_lo
	v_cmpx_gt_u32_e64 s58, v111
	s_cbranch_execz .LBB908_429
; %bb.428:                              ;   in Loop: Header=BB908_410 Depth=2
	global_load_u16 v171, v[62:63], off offset:448
.LBB908_429:                            ;   in Loop: Header=BB908_410 Depth=2
	s_wait_xcnt 0x0
	s_or_b32 exec_lo, exec_lo, s17
	s_wait_loadcnt 0x6
	v_mov_b32_e32 v174, 0xffff8000
	v_mov_b32_e32 v176, 0xffff8000
	s_mov_b32 s17, exec_lo
	v_cmpx_gt_u32_e64 s58, v112
	s_cbranch_execz .LBB908_431
; %bb.430:                              ;   in Loop: Header=BB908_410 Depth=2
	global_load_u16 v176, v[62:63], off offset:512
.LBB908_431:                            ;   in Loop: Header=BB908_410 Depth=2
	s_wait_xcnt 0x0
	s_or_b32 exec_lo, exec_lo, s17
	s_delay_alu instid0(SALU_CYCLE_1)
	s_mov_b32 s17, exec_lo
	v_cmpx_gt_u32_e64 s58, v113
	s_cbranch_execz .LBB908_433
; %bb.432:                              ;   in Loop: Header=BB908_410 Depth=2
	global_load_u16 v174, v[62:63], off offset:576
.LBB908_433:                            ;   in Loop: Header=BB908_410 Depth=2
	s_wait_xcnt 0x0
	s_or_b32 exec_lo, exec_lo, s17
	s_wait_loadcnt 0x4
	v_dual_mov_b32 v164, 0xffff8000 :: v_dual_mov_b32 v169, 0xffff8000
	s_mov_b32 s17, exec_lo
	v_cmpx_gt_u32_e64 s58, v114
	s_cbranch_execz .LBB908_435
; %bb.434:                              ;   in Loop: Header=BB908_410 Depth=2
	global_load_u16 v169, v[62:63], off offset:640
.LBB908_435:                            ;   in Loop: Header=BB908_410 Depth=2
	s_wait_xcnt 0x0
	s_or_b32 exec_lo, exec_lo, s17
	s_delay_alu instid0(SALU_CYCLE_1)
	s_mov_b32 s17, exec_lo
	v_cmpx_gt_u32_e64 s58, v115
	s_cbranch_execz .LBB908_437
; %bb.436:                              ;   in Loop: Header=BB908_410 Depth=2
	global_load_u16 v164, v[62:63], off offset:704
.LBB908_437:                            ;   in Loop: Header=BB908_410 Depth=2
	s_wait_xcnt 0x0
	s_or_b32 exec_lo, exec_lo, s17
	s_wait_loadcnt 0x2
	v_dual_mov_b32 v156, 0xffff8000 :: v_dual_mov_b32 v161, 0xffff8000
	;; [unrolled: 19-line block ×3, first 2 shown]
	s_mov_b32 s17, exec_lo
	v_cmpx_gt_u32_e64 s58, v118
	s_cbranch_execz .LBB908_443
; %bb.442:                              ;   in Loop: Header=BB908_410 Depth=2
	global_load_u16 v65, v[62:63], off offset:896
.LBB908_443:                            ;   in Loop: Header=BB908_410 Depth=2
	s_wait_xcnt 0x0
	s_or_b32 exec_lo, exec_lo, s17
	s_delay_alu instid0(SALU_CYCLE_1)
	s_mov_b32 s17, exec_lo
	v_cmpx_gt_u32_e64 s58, v119
	s_cbranch_execz .LBB908_445
; %bb.444:                              ;   in Loop: Header=BB908_410 Depth=2
	global_load_u16 v64, v[62:63], off offset:960
.LBB908_445:                            ;   in Loop: Header=BB908_410 Depth=2
	s_wait_xcnt 0x0
	s_or_b32 exec_lo, exec_lo, s17
	v_cmp_gt_u32_e64 s17, s58, v120
	s_sub_co_i32 s18, s54, s34
.LBB908_446:                            ;   in Loop: Header=BB908_410 Depth=2
	v_dual_mov_b32 v142, -1 :: v_dual_mov_b32 v141, s58
	s_wait_xcnt 0x0
	s_and_saveexec_b32 s19, s17
	s_cbranch_execz .LBB908_448
; %bb.447:                              ;   in Loop: Header=BB908_410 Depth=2
	v_lshl_add_u64 v[62:63], s[34:35], 1, v[26:27]
	v_mov_b32_e32 v141, s18
	global_load_u16 v62, v[62:63], off offset:1024
	s_wait_loadcnt 0x0
	v_xor_b32_e32 v142, 0x7fff, v62
.LBB908_448:                            ;   in Loop: Header=BB908_410 Depth=2
	s_wait_xcnt 0x0
	s_or_b32 exec_lo, exec_lo, s19
	s_wait_loadcnt 0xf
	v_xor_b32_e32 v143, 0x7fff, v143
	ds_store_2addr_b32 v89, v5, v5 offset0:136 offset1:137
	ds_store_2addr_b32 v89, v5, v5 offset0:138 offset1:139
	ds_store_b32 v89, v5 offset:560
	s_wait_loadcnt_dscnt 0x0
	s_barrier_signal -1
	s_barrier_wait -1
	v_and_b32_e32 v62, 0xffff, v143
	; wave barrier
	s_delay_alu instid0(VALU_DEP_1) | instskip(NEXT) | instid1(VALU_DEP_1)
	v_lshrrev_b32_e32 v62, s43, v62
	v_bitop3_b32 v63, v62, 1, s48 bitop3:0x80
	v_and_b32_e32 v146, s48, v62
	s_delay_alu instid0(VALU_DEP_2) | instskip(NEXT) | instid1(VALU_DEP_1)
	v_add_co_u32 v62, s17, v63, -1
	v_cndmask_b32_e64 v63, 0, 1, s17
	s_delay_alu instid0(VALU_DEP_3) | instskip(NEXT) | instid1(VALU_DEP_2)
	v_dual_lshlrev_b32 v144, 30, v146 :: v_dual_lshlrev_b32 v148, 29, v146
	v_cmp_ne_u32_e32 vcc_lo, 0, v63
	s_delay_alu instid0(VALU_DEP_2) | instskip(SKIP_1) | instid1(VALU_DEP_4)
	v_cmp_gt_i32_e64 s17, 0, v144
	v_not_b32_e32 v63, v144
	v_not_b32_e32 v144, v148
	v_cmp_gt_i32_e64 s18, 0, v148
	v_bitop3_b32 v62, vcc_lo, exec_lo, v62 bitop3:0x48
	s_delay_alu instid0(VALU_DEP_3) | instskip(SKIP_2) | instid1(VALU_DEP_3)
	v_dual_ashrrev_i32 v63, 31, v63 :: v_dual_ashrrev_i32 v144, 31, v144
	v_dual_lshlrev_b32 v149, 28, v146 :: v_dual_lshlrev_b32 v150, 27, v146
	v_dual_lshlrev_b32 v152, 26, v146 :: v_dual_lshlrev_b32 v153, 25, v146
	v_xor_b32_e32 v144, s18, v144
	s_delay_alu instid0(VALU_DEP_3)
	v_cmp_gt_i32_e64 s19, 0, v149
	v_not_b32_e32 v148, v149
	v_not_b32_e32 v149, v150
	v_cmp_gt_i32_e64 s20, 0, v150
	v_cmp_gt_i32_e64 s21, 0, v152
	v_not_b32_e32 v150, v152
	v_not_b32_e32 v152, v153
	v_dual_ashrrev_i32 v148, 31, v148 :: v_dual_ashrrev_i32 v149, 31, v149
	s_delay_alu instid0(VALU_DEP_3) | instskip(SKIP_1) | instid1(VALU_DEP_3)
	v_dual_ashrrev_i32 v150, 31, v150 :: v_dual_bitop2_b32 v63, s17, v63 bitop3:0x14
	v_cmp_gt_i32_e64 s22, 0, v153
	v_dual_ashrrev_i32 v152, 31, v152 :: v_dual_bitop2_b32 v149, s20, v149 bitop3:0x14
	s_delay_alu instid0(VALU_DEP_4) | instskip(NEXT) | instid1(VALU_DEP_4)
	v_xor_b32_e32 v148, s19, v148
	v_bitop3_b32 v62, v62, v144, v63 bitop3:0x80
	v_xor_b32_e32 v63, s21, v150
	s_delay_alu instid0(VALU_DEP_4) | instskip(NEXT) | instid1(VALU_DEP_3)
	v_xor_b32_e32 v144, s22, v152
	v_bitop3_b32 v62, v62, v149, v148 bitop3:0x80
	s_delay_alu instid0(VALU_DEP_1) | instskip(SKIP_1) | instid1(VALU_DEP_2)
	v_bitop3_b32 v62, v62, v144, v63 bitop3:0x80
	v_mul_u32_u24_e32 v63, 36, v146
	v_mbcnt_lo_u32_b32 v144, v62, 0
	v_cmp_ne_u32_e64 s17, 0, v62
	s_delay_alu instid0(VALU_DEP_3) | instskip(NEXT) | instid1(VALU_DEP_3)
	v_add_nc_u32_e32 v146, v23, v63
	v_cmp_eq_u32_e32 vcc_lo, 0, v144
	s_and_b32 s18, s17, vcc_lo
	s_delay_alu instid0(SALU_CYCLE_1)
	s_and_saveexec_b32 s17, s18
; %bb.449:                              ;   in Loop: Header=BB908_410 Depth=2
	v_bcnt_u32_b32 v62, v62, 0
	ds_store_b32 v146, v62 offset:544
; %bb.450:                              ;   in Loop: Header=BB908_410 Depth=2
	s_or_b32 exec_lo, exec_lo, s17
	v_xor_b32_e32 v145, 0x7fff, v145
	; wave barrier
	s_delay_alu instid0(VALU_DEP_1) | instskip(NEXT) | instid1(VALU_DEP_1)
	v_and_b32_e32 v62, 0xffff, v145
	v_lshrrev_b32_e32 v62, s43, v62
	s_delay_alu instid0(VALU_DEP_1) | instskip(SKIP_1) | instid1(VALU_DEP_2)
	v_bitop3_b32 v63, v62, 1, s48 bitop3:0x80
	v_and_b32_e32 v150, s48, v62
	v_add_co_u32 v62, s17, v63, -1
	s_delay_alu instid0(VALU_DEP_1) | instskip(NEXT) | instid1(VALU_DEP_3)
	v_cndmask_b32_e64 v63, 0, 1, s17
	v_dual_lshlrev_b32 v148, 30, v150 :: v_dual_lshlrev_b32 v149, 29, v150
	s_delay_alu instid0(VALU_DEP_2) | instskip(NEXT) | instid1(VALU_DEP_2)
	v_cmp_ne_u32_e32 vcc_lo, 0, v63
	v_cmp_gt_i32_e64 s17, 0, v148
	v_not_b32_e32 v63, v148
	s_delay_alu instid0(VALU_DEP_4) | instskip(SKIP_2) | instid1(VALU_DEP_3)
	v_not_b32_e32 v148, v149
	v_cmp_gt_i32_e64 s18, 0, v149
	v_bitop3_b32 v62, vcc_lo, exec_lo, v62 bitop3:0x48
	v_dual_ashrrev_i32 v63, 31, v63 :: v_dual_ashrrev_i32 v148, 31, v148
	v_dual_lshlrev_b32 v152, 28, v150 :: v_dual_lshlrev_b32 v153, 27, v150
	v_dual_lshlrev_b32 v154, 26, v150 :: v_dual_lshlrev_b32 v157, 25, v150
	s_delay_alu instid0(VALU_DEP_2) | instskip(SKIP_1) | instid1(VALU_DEP_4)
	v_cmp_gt_i32_e64 s19, 0, v152
	v_not_b32_e32 v149, v152
	v_cmp_gt_i32_e64 s20, 0, v153
	v_not_b32_e32 v152, v153
	;; [unrolled: 2-line block ×3, first 2 shown]
	v_not_b32_e32 v154, v157
	v_xor_b32_e32 v63, s17, v63
	v_dual_ashrrev_i32 v149, 31, v149 :: v_dual_bitop2_b32 v148, s18, v148 bitop3:0x14
	s_delay_alu instid0(VALU_DEP_4) | instskip(NEXT) | instid1(VALU_DEP_4)
	v_dual_ashrrev_i32 v152, 31, v152 :: v_dual_ashrrev_i32 v153, 31, v153
	v_ashrrev_i32_e32 v154, 31, v154
	s_delay_alu instid0(VALU_DEP_3)
	v_bitop3_b32 v62, v62, v148, v63 bitop3:0x80
	v_mad_u32_u24 v63, v150, 36, v23
	v_cmp_gt_i32_e64 s22, 0, v157
	v_xor_b32_e32 v152, s20, v152
	v_xor_b32_e32 v153, s21, v153
	ds_load_b32 v148, v63 offset:544
	v_mul_u32_u24_e32 v63, 36, v150
	v_xor_b32_e32 v149, s19, v149
	v_xor_b32_e32 v154, s22, v154
	; wave barrier
	s_delay_alu instid0(VALU_DEP_3) | instskip(NEXT) | instid1(VALU_DEP_3)
	v_add_nc_u32_e32 v150, v23, v63
	v_bitop3_b32 v62, v62, v152, v149 bitop3:0x80
	s_delay_alu instid0(VALU_DEP_1) | instskip(NEXT) | instid1(VALU_DEP_1)
	v_bitop3_b32 v62, v62, v154, v153 bitop3:0x80
	v_mbcnt_lo_u32_b32 v149, v62, 0
	v_cmp_ne_u32_e64 s17, 0, v62
	s_delay_alu instid0(VALU_DEP_2) | instskip(SKIP_1) | instid1(SALU_CYCLE_1)
	v_cmp_eq_u32_e32 vcc_lo, 0, v149
	s_and_b32 s18, s17, vcc_lo
	s_and_saveexec_b32 s17, s18
	s_cbranch_execz .LBB908_452
; %bb.451:                              ;   in Loop: Header=BB908_410 Depth=2
	s_wait_dscnt 0x0
	v_bcnt_u32_b32 v62, v62, v148
	ds_store_b32 v150, v62 offset:544
.LBB908_452:                            ;   in Loop: Header=BB908_410 Depth=2
	s_or_b32 exec_lo, exec_lo, s17
	v_xor_b32_e32 v147, 0x7fff, v147
	; wave barrier
	s_delay_alu instid0(VALU_DEP_1) | instskip(NEXT) | instid1(VALU_DEP_1)
	v_and_b32_e32 v62, 0xffff, v147
	v_lshrrev_b32_e32 v62, s43, v62
	s_delay_alu instid0(VALU_DEP_1) | instskip(SKIP_1) | instid1(VALU_DEP_2)
	v_bitop3_b32 v63, v62, 1, s48 bitop3:0x80
	v_and_b32_e32 v154, s48, v62
	v_add_co_u32 v62, s17, v63, -1
	s_delay_alu instid0(VALU_DEP_1) | instskip(NEXT) | instid1(VALU_DEP_3)
	v_cndmask_b32_e64 v63, 0, 1, s17
	v_dual_lshlrev_b32 v152, 30, v154 :: v_dual_lshlrev_b32 v153, 29, v154
	s_delay_alu instid0(VALU_DEP_2) | instskip(NEXT) | instid1(VALU_DEP_2)
	v_cmp_ne_u32_e32 vcc_lo, 0, v63
	v_cmp_gt_i32_e64 s17, 0, v152
	v_not_b32_e32 v63, v152
	s_delay_alu instid0(VALU_DEP_4) | instskip(SKIP_2) | instid1(VALU_DEP_3)
	v_not_b32_e32 v152, v153
	v_cmp_gt_i32_e64 s18, 0, v153
	v_bitop3_b32 v62, vcc_lo, exec_lo, v62 bitop3:0x48
	v_dual_ashrrev_i32 v63, 31, v63 :: v_dual_ashrrev_i32 v152, 31, v152
	v_dual_lshlrev_b32 v157, 28, v154 :: v_dual_lshlrev_b32 v158, 27, v154
	v_dual_lshlrev_b32 v159, 26, v154 :: v_dual_lshlrev_b32 v162, 25, v154
	s_delay_alu instid0(VALU_DEP_3) | instskip(NEXT) | instid1(VALU_DEP_3)
	v_xor_b32_e32 v63, s17, v63
	v_cmp_gt_i32_e64 s19, 0, v157
	v_not_b32_e32 v153, v157
	v_not_b32_e32 v157, v158
	v_xor_b32_e32 v152, s18, v152
	v_cmp_gt_i32_e64 s20, 0, v158
	v_cmp_gt_i32_e64 s21, 0, v159
	v_ashrrev_i32_e32 v153, 31, v153
	v_ashrrev_i32_e32 v157, 31, v157
	v_not_b32_e32 v158, v159
	v_not_b32_e32 v159, v162
	v_bitop3_b32 v62, v62, v152, v63 bitop3:0x80
	v_mad_u32_u24 v63, v154, 36, v23
	v_cmp_gt_i32_e64 s22, 0, v162
	s_delay_alu instid0(VALU_DEP_4)
	v_dual_ashrrev_i32 v158, 31, v158 :: v_dual_ashrrev_i32 v159, 31, v159
	v_xor_b32_e32 v157, s20, v157
	ds_load_b32 v152, v63 offset:544
	v_mul_u32_u24_e32 v63, 36, v154
	v_xor_b32_e32 v153, s19, v153
	v_xor_b32_e32 v158, s21, v158
	v_xor_b32_e32 v159, s22, v159
	s_delay_alu instid0(VALU_DEP_4) | instskip(NEXT) | instid1(VALU_DEP_4)
	v_add_nc_u32_e32 v154, v23, v63
	v_bitop3_b32 v62, v62, v157, v153 bitop3:0x80
	; wave barrier
	s_delay_alu instid0(VALU_DEP_1) | instskip(NEXT) | instid1(VALU_DEP_1)
	v_bitop3_b32 v62, v62, v159, v158 bitop3:0x80
	v_mbcnt_lo_u32_b32 v153, v62, 0
	v_cmp_ne_u32_e64 s17, 0, v62
	s_delay_alu instid0(VALU_DEP_2) | instskip(SKIP_1) | instid1(SALU_CYCLE_1)
	v_cmp_eq_u32_e32 vcc_lo, 0, v153
	s_and_b32 s18, s17, vcc_lo
	s_and_saveexec_b32 s17, s18
	s_cbranch_execz .LBB908_454
; %bb.453:                              ;   in Loop: Header=BB908_410 Depth=2
	s_wait_dscnt 0x0
	v_bcnt_u32_b32 v62, v62, v152
	ds_store_b32 v154, v62 offset:544
.LBB908_454:                            ;   in Loop: Header=BB908_410 Depth=2
	s_or_b32 exec_lo, exec_lo, s17
	v_xor_b32_e32 v151, 0x7fff, v151
	; wave barrier
	s_delay_alu instid0(VALU_DEP_1) | instskip(NEXT) | instid1(VALU_DEP_1)
	v_and_b32_e32 v62, 0xffff, v151
	v_lshrrev_b32_e32 v62, s43, v62
	s_delay_alu instid0(VALU_DEP_1) | instskip(NEXT) | instid1(VALU_DEP_1)
	v_and_b32_e32 v159, s48, v62
	v_lshlrev_b32_e32 v157, 30, v159
	v_bitop3_b32 v63, v62, 1, s48 bitop3:0x80
	s_delay_alu instid0(VALU_DEP_1) | instskip(NEXT) | instid1(VALU_DEP_1)
	v_add_co_u32 v62, s17, v63, -1
	v_cndmask_b32_e64 v63, 0, 1, s17
	s_delay_alu instid0(VALU_DEP_4) | instskip(NEXT) | instid1(VALU_DEP_2)
	v_cmp_gt_i32_e64 s17, 0, v157
	v_cmp_ne_u32_e32 vcc_lo, 0, v63
	v_not_b32_e32 v63, v157
	v_bitop3_b32 v62, vcc_lo, exec_lo, v62 bitop3:0x48
	s_delay_alu instid0(VALU_DEP_2) | instskip(SKIP_2) | instid1(VALU_DEP_3)
	v_ashrrev_i32_e32 v63, 31, v63
	v_dual_lshlrev_b32 v158, 29, v159 :: v_dual_lshlrev_b32 v162, 28, v159
	v_dual_lshlrev_b32 v163, 27, v159 :: v_dual_lshlrev_b32 v165, 26, v159
	v_xor_b32_e32 v63, s17, v63
	s_delay_alu instid0(VALU_DEP_3)
	v_not_b32_e32 v157, v158
	v_lshlrev_b32_e32 v167, 25, v159
	v_cmp_gt_i32_e64 s18, 0, v158
	v_cmp_gt_i32_e64 s19, 0, v162
	v_not_b32_e32 v158, v162
	v_not_b32_e32 v162, v163
	v_ashrrev_i32_e32 v157, 31, v157
	v_cmp_gt_i32_e64 s20, 0, v163
	v_cmp_gt_i32_e64 s21, 0, v165
	v_ashrrev_i32_e32 v158, 31, v158
	s_delay_alu instid0(VALU_DEP_4) | instskip(SKIP_3) | instid1(VALU_DEP_4)
	v_dual_ashrrev_i32 v162, 31, v162 :: v_dual_bitop2_b32 v157, s18, v157 bitop3:0x14
	v_not_b32_e32 v163, v165
	v_not_b32_e32 v165, v167
	v_cmp_gt_i32_e64 s22, 0, v167
	v_xor_b32_e32 v162, s20, v162
	v_bitop3_b32 v62, v62, v157, v63 bitop3:0x80
	v_mad_u32_u24 v63, v159, 36, v23
	v_dual_ashrrev_i32 v163, 31, v163 :: v_dual_ashrrev_i32 v165, 31, v165
	ds_load_b32 v157, v63 offset:544
	v_mul_u32_u24_e32 v63, 36, v159
	v_xor_b32_e32 v158, s19, v158
	v_xor_b32_e32 v163, s21, v163
	v_xor_b32_e32 v165, s22, v165
	s_delay_alu instid0(VALU_DEP_4) | instskip(NEXT) | instid1(VALU_DEP_4)
	v_add_nc_u32_e32 v159, v23, v63
	v_bitop3_b32 v62, v62, v162, v158 bitop3:0x80
	; wave barrier
	s_delay_alu instid0(VALU_DEP_1) | instskip(NEXT) | instid1(VALU_DEP_1)
	v_bitop3_b32 v62, v62, v165, v163 bitop3:0x80
	v_mbcnt_lo_u32_b32 v158, v62, 0
	v_cmp_ne_u32_e64 s17, 0, v62
	s_delay_alu instid0(VALU_DEP_2) | instskip(SKIP_1) | instid1(SALU_CYCLE_1)
	v_cmp_eq_u32_e32 vcc_lo, 0, v158
	s_and_b32 s18, s17, vcc_lo
	s_and_saveexec_b32 s17, s18
	s_cbranch_execz .LBB908_456
; %bb.455:                              ;   in Loop: Header=BB908_410 Depth=2
	s_wait_dscnt 0x0
	v_bcnt_u32_b32 v62, v62, v157
	ds_store_b32 v159, v62 offset:544
.LBB908_456:                            ;   in Loop: Header=BB908_410 Depth=2
	s_or_b32 exec_lo, exec_lo, s17
	v_xor_b32_e32 v155, 0x7fff, v155
	; wave barrier
	s_delay_alu instid0(VALU_DEP_1) | instskip(NEXT) | instid1(VALU_DEP_1)
	v_and_b32_e32 v62, 0xffff, v155
	v_lshrrev_b32_e32 v62, s43, v62
	s_delay_alu instid0(VALU_DEP_1) | instskip(NEXT) | instid1(VALU_DEP_1)
	v_and_b32_e32 v165, s48, v62
	v_lshlrev_b32_e32 v162, 30, v165
	v_bitop3_b32 v63, v62, 1, s48 bitop3:0x80
	s_delay_alu instid0(VALU_DEP_1) | instskip(NEXT) | instid1(VALU_DEP_1)
	v_add_co_u32 v62, s17, v63, -1
	v_cndmask_b32_e64 v63, 0, 1, s17
	s_delay_alu instid0(VALU_DEP_4) | instskip(NEXT) | instid1(VALU_DEP_2)
	v_cmp_gt_i32_e64 s17, 0, v162
	v_cmp_ne_u32_e32 vcc_lo, 0, v63
	v_not_b32_e32 v63, v162
	v_bitop3_b32 v62, vcc_lo, exec_lo, v62 bitop3:0x48
	s_delay_alu instid0(VALU_DEP_2) | instskip(SKIP_2) | instid1(VALU_DEP_3)
	v_dual_ashrrev_i32 v63, 31, v63 :: v_dual_lshlrev_b32 v163, 29, v165
	v_dual_lshlrev_b32 v167, 28, v165 :: v_dual_lshlrev_b32 v168, 27, v165
	v_lshlrev_b32_e32 v170, 26, v165
	v_not_b32_e32 v162, v163
	v_lshlrev_b32_e32 v172, 25, v165
	v_cmp_gt_i32_e64 s18, 0, v163
	v_cmp_gt_i32_e64 s19, 0, v167
	v_not_b32_e32 v163, v167
	v_not_b32_e32 v167, v168
	v_ashrrev_i32_e32 v162, 31, v162
	v_cmp_gt_i32_e64 s20, 0, v168
	v_cmp_gt_i32_e64 s21, 0, v170
	v_not_b32_e32 v168, v170
	v_not_b32_e32 v170, v172
	v_dual_ashrrev_i32 v163, 31, v163 :: v_dual_bitop2_b32 v162, s18, v162 bitop3:0x14
	s_delay_alu instid0(VALU_DEP_3) | instskip(NEXT) | instid1(VALU_DEP_3)
	v_dual_ashrrev_i32 v167, 31, v167 :: v_dual_ashrrev_i32 v168, 31, v168
	v_dual_ashrrev_i32 v170, 31, v170 :: v_dual_bitop2_b32 v63, s17, v63 bitop3:0x14
	v_cmp_gt_i32_e64 s22, 0, v172
	s_delay_alu instid0(VALU_DEP_4) | instskip(NEXT) | instid1(VALU_DEP_4)
	v_xor_b32_e32 v163, s19, v163
	v_xor_b32_e32 v167, s20, v167
	s_delay_alu instid0(VALU_DEP_4) | instskip(SKIP_2) | instid1(VALU_DEP_3)
	v_bitop3_b32 v62, v62, v162, v63 bitop3:0x80
	v_mad_u32_u24 v63, v165, 36, v23
	v_xor_b32_e32 v170, s22, v170
	v_bitop3_b32 v62, v62, v167, v163 bitop3:0x80
	ds_load_b32 v162, v63 offset:544
	v_mul_u32_u24_e32 v63, 36, v165
	v_xor_b32_e32 v168, s21, v168
	; wave barrier
	s_delay_alu instid0(VALU_DEP_2) | instskip(NEXT) | instid1(VALU_DEP_2)
	v_add_nc_u32_e32 v165, v23, v63
	v_bitop3_b32 v62, v62, v170, v168 bitop3:0x80
	s_delay_alu instid0(VALU_DEP_1) | instskip(SKIP_1) | instid1(VALU_DEP_2)
	v_mbcnt_lo_u32_b32 v163, v62, 0
	v_cmp_ne_u32_e64 s17, 0, v62
	v_cmp_eq_u32_e32 vcc_lo, 0, v163
	s_and_b32 s18, s17, vcc_lo
	s_delay_alu instid0(SALU_CYCLE_1)
	s_and_saveexec_b32 s17, s18
	s_cbranch_execz .LBB908_458
; %bb.457:                              ;   in Loop: Header=BB908_410 Depth=2
	s_wait_dscnt 0x0
	v_bcnt_u32_b32 v62, v62, v162
	ds_store_b32 v165, v62 offset:544
.LBB908_458:                            ;   in Loop: Header=BB908_410 Depth=2
	s_or_b32 exec_lo, exec_lo, s17
	v_xor_b32_e32 v160, 0x7fff, v160
	; wave barrier
	s_delay_alu instid0(VALU_DEP_1) | instskip(NEXT) | instid1(VALU_DEP_1)
	v_and_b32_e32 v62, 0xffff, v160
	v_lshrrev_b32_e32 v62, s43, v62
	s_delay_alu instid0(VALU_DEP_1) | instskip(SKIP_1) | instid1(VALU_DEP_2)
	v_bitop3_b32 v63, v62, 1, s48 bitop3:0x80
	v_and_b32_e32 v170, s48, v62
	v_add_co_u32 v62, s17, v63, -1
	s_delay_alu instid0(VALU_DEP_1) | instskip(NEXT) | instid1(VALU_DEP_3)
	v_cndmask_b32_e64 v63, 0, 1, s17
	v_dual_lshlrev_b32 v167, 30, v170 :: v_dual_lshlrev_b32 v168, 29, v170
	s_delay_alu instid0(VALU_DEP_2) | instskip(NEXT) | instid1(VALU_DEP_2)
	v_cmp_ne_u32_e32 vcc_lo, 0, v63
	v_cmp_gt_i32_e64 s17, 0, v167
	v_not_b32_e32 v63, v167
	s_delay_alu instid0(VALU_DEP_4) | instskip(SKIP_2) | instid1(VALU_DEP_4)
	v_not_b32_e32 v167, v168
	v_cmp_gt_i32_e64 s18, 0, v168
	v_bitop3_b32 v62, vcc_lo, exec_lo, v62 bitop3:0x48
	v_ashrrev_i32_e32 v63, 31, v63
	s_delay_alu instid0(VALU_DEP_4) | instskip(SKIP_1) | instid1(VALU_DEP_3)
	v_dual_ashrrev_i32 v167, 31, v167 :: v_dual_lshlrev_b32 v172, 28, v170
	v_dual_lshlrev_b32 v173, 27, v170 :: v_dual_lshlrev_b32 v175, 26, v170
	v_dual_lshlrev_b32 v177, 25, v170 :: v_dual_bitop2_b32 v63, s17, v63 bitop3:0x14
	s_delay_alu instid0(VALU_DEP_3) | instskip(SKIP_1) | instid1(VALU_DEP_4)
	v_cmp_gt_i32_e64 s19, 0, v172
	v_not_b32_e32 v168, v172
	v_not_b32_e32 v172, v173
	v_xor_b32_e32 v167, s18, v167
	v_cmp_gt_i32_e64 s20, 0, v173
	v_cmp_gt_i32_e64 s21, 0, v175
	v_ashrrev_i32_e32 v168, 31, v168
	v_ashrrev_i32_e32 v172, 31, v172
	v_not_b32_e32 v173, v175
	v_not_b32_e32 v175, v177
	v_bitop3_b32 v62, v62, v167, v63 bitop3:0x80
	v_mad_u32_u24 v63, v170, 36, v23
	v_cmp_gt_i32_e64 s22, 0, v177
	s_delay_alu instid0(VALU_DEP_4)
	v_dual_ashrrev_i32 v173, 31, v173 :: v_dual_ashrrev_i32 v175, 31, v175
	v_xor_b32_e32 v172, s20, v172
	ds_load_b32 v167, v63 offset:544
	v_mul_u32_u24_e32 v63, 36, v170
	v_xor_b32_e32 v168, s19, v168
	v_xor_b32_e32 v173, s21, v173
	;; [unrolled: 1-line block ×3, first 2 shown]
	s_delay_alu instid0(VALU_DEP_4) | instskip(NEXT) | instid1(VALU_DEP_4)
	v_add_nc_u32_e32 v170, v23, v63
	v_bitop3_b32 v62, v62, v172, v168 bitop3:0x80
	; wave barrier
	s_delay_alu instid0(VALU_DEP_1) | instskip(NEXT) | instid1(VALU_DEP_1)
	v_bitop3_b32 v62, v62, v175, v173 bitop3:0x80
	v_mbcnt_lo_u32_b32 v168, v62, 0
	v_cmp_ne_u32_e64 s17, 0, v62
	s_delay_alu instid0(VALU_DEP_2) | instskip(SKIP_1) | instid1(SALU_CYCLE_1)
	v_cmp_eq_u32_e32 vcc_lo, 0, v168
	s_and_b32 s18, s17, vcc_lo
	s_and_saveexec_b32 s17, s18
	s_cbranch_execz .LBB908_460
; %bb.459:                              ;   in Loop: Header=BB908_410 Depth=2
	s_wait_dscnt 0x0
	v_bcnt_u32_b32 v62, v62, v167
	ds_store_b32 v170, v62 offset:544
.LBB908_460:                            ;   in Loop: Header=BB908_410 Depth=2
	s_or_b32 exec_lo, exec_lo, s17
	v_xor_b32_e32 v166, 0x7fff, v166
	; wave barrier
	s_delay_alu instid0(VALU_DEP_1) | instskip(NEXT) | instid1(VALU_DEP_1)
	v_and_b32_e32 v62, 0xffff, v166
	v_lshrrev_b32_e32 v62, s43, v62
	s_delay_alu instid0(VALU_DEP_1) | instskip(NEXT) | instid1(VALU_DEP_1)
	v_and_b32_e32 v175, s48, v62
	v_lshlrev_b32_e32 v172, 30, v175
	v_bitop3_b32 v63, v62, 1, s48 bitop3:0x80
	s_delay_alu instid0(VALU_DEP_1) | instskip(NEXT) | instid1(VALU_DEP_1)
	v_add_co_u32 v62, s17, v63, -1
	v_cndmask_b32_e64 v63, 0, 1, s17
	s_delay_alu instid0(VALU_DEP_4) | instskip(NEXT) | instid1(VALU_DEP_2)
	v_cmp_gt_i32_e64 s17, 0, v172
	v_cmp_ne_u32_e32 vcc_lo, 0, v63
	v_not_b32_e32 v63, v172
	v_bitop3_b32 v62, vcc_lo, exec_lo, v62 bitop3:0x48
	s_delay_alu instid0(VALU_DEP_2) | instskip(SKIP_2) | instid1(VALU_DEP_3)
	v_ashrrev_i32_e32 v63, 31, v63
	v_dual_lshlrev_b32 v173, 29, v175 :: v_dual_lshlrev_b32 v177, 28, v175
	v_dual_lshlrev_b32 v178, 27, v175 :: v_dual_lshlrev_b32 v179, 26, v175
	v_xor_b32_e32 v63, s17, v63
	s_delay_alu instid0(VALU_DEP_3)
	v_not_b32_e32 v172, v173
	v_lshlrev_b32_e32 v180, 25, v175
	v_cmp_gt_i32_e64 s18, 0, v173
	v_cmp_gt_i32_e64 s19, 0, v177
	v_not_b32_e32 v173, v177
	v_not_b32_e32 v177, v178
	v_ashrrev_i32_e32 v172, 31, v172
	v_cmp_gt_i32_e64 s20, 0, v178
	v_cmp_gt_i32_e64 s21, 0, v179
	v_ashrrev_i32_e32 v173, 31, v173
	s_delay_alu instid0(VALU_DEP_4) | instskip(SKIP_3) | instid1(VALU_DEP_4)
	v_dual_ashrrev_i32 v177, 31, v177 :: v_dual_bitop2_b32 v172, s18, v172 bitop3:0x14
	v_not_b32_e32 v178, v179
	v_not_b32_e32 v179, v180
	v_cmp_gt_i32_e64 s22, 0, v180
	v_xor_b32_e32 v177, s20, v177
	v_bitop3_b32 v62, v62, v172, v63 bitop3:0x80
	v_mad_u32_u24 v63, v175, 36, v23
	v_dual_ashrrev_i32 v178, 31, v178 :: v_dual_ashrrev_i32 v179, 31, v179
	ds_load_b32 v172, v63 offset:544
	v_mul_u32_u24_e32 v63, 36, v175
	v_xor_b32_e32 v173, s19, v173
	v_xor_b32_e32 v178, s21, v178
	;; [unrolled: 1-line block ×3, first 2 shown]
	s_delay_alu instid0(VALU_DEP_4) | instskip(NEXT) | instid1(VALU_DEP_4)
	v_add_nc_u32_e32 v175, v23, v63
	v_bitop3_b32 v62, v62, v177, v173 bitop3:0x80
	; wave barrier
	s_delay_alu instid0(VALU_DEP_1) | instskip(NEXT) | instid1(VALU_DEP_1)
	v_bitop3_b32 v62, v62, v179, v178 bitop3:0x80
	v_mbcnt_lo_u32_b32 v173, v62, 0
	v_cmp_ne_u32_e64 s17, 0, v62
	s_delay_alu instid0(VALU_DEP_2) | instskip(SKIP_1) | instid1(SALU_CYCLE_1)
	v_cmp_eq_u32_e32 vcc_lo, 0, v173
	s_and_b32 s18, s17, vcc_lo
	s_and_saveexec_b32 s17, s18
	s_cbranch_execz .LBB908_462
; %bb.461:                              ;   in Loop: Header=BB908_410 Depth=2
	s_wait_dscnt 0x0
	v_bcnt_u32_b32 v62, v62, v172
	ds_store_b32 v175, v62 offset:544
.LBB908_462:                            ;   in Loop: Header=BB908_410 Depth=2
	s_or_b32 exec_lo, exec_lo, s17
	v_xor_b32_e32 v171, 0x7fff, v171
	; wave barrier
	s_delay_alu instid0(VALU_DEP_1) | instskip(NEXT) | instid1(VALU_DEP_1)
	v_and_b32_e32 v62, 0xffff, v171
	v_lshrrev_b32_e32 v62, s43, v62
	s_delay_alu instid0(VALU_DEP_1) | instskip(NEXT) | instid1(VALU_DEP_1)
	v_and_b32_e32 v179, s48, v62
	v_lshlrev_b32_e32 v177, 30, v179
	v_bitop3_b32 v63, v62, 1, s48 bitop3:0x80
	s_delay_alu instid0(VALU_DEP_1) | instskip(NEXT) | instid1(VALU_DEP_1)
	v_add_co_u32 v62, s17, v63, -1
	v_cndmask_b32_e64 v63, 0, 1, s17
	s_delay_alu instid0(VALU_DEP_4) | instskip(NEXT) | instid1(VALU_DEP_2)
	v_cmp_gt_i32_e64 s17, 0, v177
	v_cmp_ne_u32_e32 vcc_lo, 0, v63
	v_not_b32_e32 v63, v177
	v_bitop3_b32 v62, vcc_lo, exec_lo, v62 bitop3:0x48
	s_delay_alu instid0(VALU_DEP_2) | instskip(SKIP_2) | instid1(VALU_DEP_2)
	v_ashrrev_i32_e32 v63, 31, v63
	v_dual_lshlrev_b32 v178, 29, v179 :: v_dual_lshlrev_b32 v180, 28, v179
	v_dual_lshlrev_b32 v181, 27, v179 :: v_dual_lshlrev_b32 v182, 26, v179
	v_not_b32_e32 v177, v178
	v_lshlrev_b32_e32 v183, 25, v179
	v_cmp_gt_i32_e64 s18, 0, v178
	v_cmp_gt_i32_e64 s19, 0, v180
	v_not_b32_e32 v178, v180
	v_ashrrev_i32_e32 v177, 31, v177
	v_cmp_gt_i32_e64 s20, 0, v181
	v_not_b32_e32 v180, v181
	v_cmp_gt_i32_e64 s21, 0, v182
	v_not_b32_e32 v181, v182
	v_not_b32_e32 v182, v183
	v_xor_b32_e32 v63, s17, v63
	v_dual_ashrrev_i32 v178, 31, v178 :: v_dual_bitop2_b32 v177, s18, v177 bitop3:0x14
	s_delay_alu instid0(VALU_DEP_4) | instskip(NEXT) | instid1(VALU_DEP_4)
	v_dual_ashrrev_i32 v180, 31, v180 :: v_dual_ashrrev_i32 v181, 31, v181
	v_ashrrev_i32_e32 v182, 31, v182
	s_delay_alu instid0(VALU_DEP_3)
	v_bitop3_b32 v62, v62, v177, v63 bitop3:0x80
	v_mad_u32_u24 v63, v179, 36, v23
	v_cmp_gt_i32_e64 s22, 0, v183
	v_xor_b32_e32 v180, s20, v180
	v_xor_b32_e32 v181, s21, v181
	ds_load_b32 v177, v63 offset:544
	v_mul_u32_u24_e32 v63, 36, v179
	v_xor_b32_e32 v178, s19, v178
	v_xor_b32_e32 v182, s22, v182
	; wave barrier
	s_delay_alu instid0(VALU_DEP_3) | instskip(NEXT) | instid1(VALU_DEP_3)
	v_add_nc_u32_e32 v179, v23, v63
	v_bitop3_b32 v62, v62, v180, v178 bitop3:0x80
	s_delay_alu instid0(VALU_DEP_1) | instskip(NEXT) | instid1(VALU_DEP_1)
	v_bitop3_b32 v62, v62, v182, v181 bitop3:0x80
	v_mbcnt_lo_u32_b32 v178, v62, 0
	v_cmp_ne_u32_e64 s17, 0, v62
	s_delay_alu instid0(VALU_DEP_2) | instskip(SKIP_1) | instid1(SALU_CYCLE_1)
	v_cmp_eq_u32_e32 vcc_lo, 0, v178
	s_and_b32 s18, s17, vcc_lo
	s_and_saveexec_b32 s17, s18
	s_cbranch_execz .LBB908_464
; %bb.463:                              ;   in Loop: Header=BB908_410 Depth=2
	s_wait_dscnt 0x0
	v_bcnt_u32_b32 v62, v62, v177
	ds_store_b32 v179, v62 offset:544
.LBB908_464:                            ;   in Loop: Header=BB908_410 Depth=2
	s_or_b32 exec_lo, exec_lo, s17
	v_xor_b32_e32 v176, 0x7fff, v176
	; wave barrier
	s_delay_alu instid0(VALU_DEP_1) | instskip(NEXT) | instid1(VALU_DEP_1)
	v_and_b32_e32 v62, 0xffff, v176
	v_lshrrev_b32_e32 v62, s43, v62
	s_delay_alu instid0(VALU_DEP_1) | instskip(SKIP_1) | instid1(VALU_DEP_2)
	v_bitop3_b32 v63, v62, 1, s48 bitop3:0x80
	v_and_b32_e32 v182, s48, v62
	v_add_co_u32 v62, s17, v63, -1
	s_delay_alu instid0(VALU_DEP_1) | instskip(NEXT) | instid1(VALU_DEP_3)
	v_cndmask_b32_e64 v63, 0, 1, s17
	v_dual_lshlrev_b32 v180, 30, v182 :: v_dual_lshlrev_b32 v181, 29, v182
	s_delay_alu instid0(VALU_DEP_2) | instskip(NEXT) | instid1(VALU_DEP_2)
	v_cmp_ne_u32_e32 vcc_lo, 0, v63
	v_cmp_gt_i32_e64 s17, 0, v180
	v_not_b32_e32 v63, v180
	s_delay_alu instid0(VALU_DEP_4) | instskip(SKIP_2) | instid1(VALU_DEP_3)
	v_not_b32_e32 v180, v181
	v_cmp_gt_i32_e64 s18, 0, v181
	v_bitop3_b32 v62, vcc_lo, exec_lo, v62 bitop3:0x48
	v_dual_ashrrev_i32 v63, 31, v63 :: v_dual_ashrrev_i32 v180, 31, v180
	v_dual_lshlrev_b32 v183, 28, v182 :: v_dual_lshlrev_b32 v184, 27, v182
	v_dual_lshlrev_b32 v185, 26, v182 :: v_dual_lshlrev_b32 v186, 25, v182
	s_delay_alu instid0(VALU_DEP_2) | instskip(SKIP_1) | instid1(VALU_DEP_4)
	v_cmp_gt_i32_e64 s19, 0, v183
	v_not_b32_e32 v181, v183
	v_cmp_gt_i32_e64 s20, 0, v184
	v_not_b32_e32 v183, v184
	;; [unrolled: 2-line block ×3, first 2 shown]
	v_not_b32_e32 v185, v186
	v_xor_b32_e32 v63, s17, v63
	v_dual_ashrrev_i32 v181, 31, v181 :: v_dual_bitop2_b32 v180, s18, v180 bitop3:0x14
	s_delay_alu instid0(VALU_DEP_4) | instskip(NEXT) | instid1(VALU_DEP_4)
	v_dual_ashrrev_i32 v183, 31, v183 :: v_dual_ashrrev_i32 v184, 31, v184
	v_ashrrev_i32_e32 v185, 31, v185
	s_delay_alu instid0(VALU_DEP_3)
	v_bitop3_b32 v62, v62, v180, v63 bitop3:0x80
	v_mad_u32_u24 v63, v182, 36, v23
	v_cmp_gt_i32_e64 s22, 0, v186
	v_xor_b32_e32 v183, s20, v183
	v_xor_b32_e32 v184, s21, v184
	ds_load_b32 v180, v63 offset:544
	v_mul_u32_u24_e32 v63, 36, v182
	v_xor_b32_e32 v181, s19, v181
	v_xor_b32_e32 v185, s22, v185
	; wave barrier
	s_delay_alu instid0(VALU_DEP_3) | instskip(NEXT) | instid1(VALU_DEP_3)
	v_add_nc_u32_e32 v182, v23, v63
	v_bitop3_b32 v62, v62, v183, v181 bitop3:0x80
	s_delay_alu instid0(VALU_DEP_1) | instskip(NEXT) | instid1(VALU_DEP_1)
	v_bitop3_b32 v62, v62, v185, v184 bitop3:0x80
	v_mbcnt_lo_u32_b32 v181, v62, 0
	v_cmp_ne_u32_e64 s17, 0, v62
	s_delay_alu instid0(VALU_DEP_2) | instskip(SKIP_1) | instid1(SALU_CYCLE_1)
	v_cmp_eq_u32_e32 vcc_lo, 0, v181
	s_and_b32 s18, s17, vcc_lo
	s_and_saveexec_b32 s17, s18
	s_cbranch_execz .LBB908_466
; %bb.465:                              ;   in Loop: Header=BB908_410 Depth=2
	s_wait_dscnt 0x0
	v_bcnt_u32_b32 v62, v62, v180
	ds_store_b32 v182, v62 offset:544
.LBB908_466:                            ;   in Loop: Header=BB908_410 Depth=2
	s_or_b32 exec_lo, exec_lo, s17
	v_xor_b32_e32 v174, 0x7fff, v174
	; wave barrier
	s_delay_alu instid0(VALU_DEP_1) | instskip(NEXT) | instid1(VALU_DEP_1)
	v_and_b32_e32 v62, 0xffff, v174
	v_lshrrev_b32_e32 v62, s43, v62
	s_delay_alu instid0(VALU_DEP_1) | instskip(NEXT) | instid1(VALU_DEP_1)
	v_and_b32_e32 v185, s48, v62
	v_lshlrev_b32_e32 v183, 30, v185
	v_bitop3_b32 v63, v62, 1, s48 bitop3:0x80
	s_delay_alu instid0(VALU_DEP_1) | instskip(NEXT) | instid1(VALU_DEP_1)
	v_add_co_u32 v62, s17, v63, -1
	v_cndmask_b32_e64 v63, 0, 1, s17
	s_delay_alu instid0(VALU_DEP_4) | instskip(NEXT) | instid1(VALU_DEP_2)
	v_cmp_gt_i32_e64 s17, 0, v183
	v_cmp_ne_u32_e32 vcc_lo, 0, v63
	v_not_b32_e32 v63, v183
	v_bitop3_b32 v62, vcc_lo, exec_lo, v62 bitop3:0x48
	s_delay_alu instid0(VALU_DEP_2) | instskip(SKIP_2) | instid1(VALU_DEP_3)
	v_dual_ashrrev_i32 v63, 31, v63 :: v_dual_lshlrev_b32 v184, 29, v185
	v_dual_lshlrev_b32 v186, 28, v185 :: v_dual_lshlrev_b32 v187, 27, v185
	v_lshlrev_b32_e32 v188, 26, v185
	v_not_b32_e32 v183, v184
	v_lshlrev_b32_e32 v189, 25, v185
	v_cmp_gt_i32_e64 s18, 0, v184
	v_cmp_gt_i32_e64 s19, 0, v186
	v_not_b32_e32 v184, v186
	v_ashrrev_i32_e32 v183, 31, v183
	v_cmp_gt_i32_e64 s20, 0, v187
	v_not_b32_e32 v186, v187
	v_cmp_gt_i32_e64 s21, 0, v188
	v_not_b32_e32 v187, v188
	v_not_b32_e32 v188, v189
	v_xor_b32_e32 v63, s17, v63
	v_dual_ashrrev_i32 v184, 31, v184 :: v_dual_bitop2_b32 v183, s18, v183 bitop3:0x14
	s_delay_alu instid0(VALU_DEP_3) | instskip(SKIP_1) | instid1(VALU_DEP_3)
	v_dual_ashrrev_i32 v186, 31, v186 :: v_dual_ashrrev_i32 v188, 31, v188
	v_cmp_gt_i32_e64 s22, 0, v189
	v_bitop3_b32 v62, v62, v183, v63 bitop3:0x80
	v_mad_u32_u24 v63, v185, 36, v23
	v_dual_ashrrev_i32 v187, 31, v187 :: v_dual_bitop2_b32 v184, s19, v184 bitop3:0x14
	s_delay_alu instid0(VALU_DEP_4) | instskip(SKIP_4) | instid1(VALU_DEP_3)
	v_xor_b32_e32 v188, s22, v188
	ds_load_b32 v183, v63 offset:544
	v_mul_u32_u24_e32 v63, 36, v185
	v_xor_b32_e32 v186, s20, v186
	v_xor_b32_e32 v187, s21, v187
	; wave barrier
	v_add_nc_u32_e32 v185, v23, v63
	s_delay_alu instid0(VALU_DEP_3) | instskip(NEXT) | instid1(VALU_DEP_1)
	v_bitop3_b32 v62, v62, v186, v184 bitop3:0x80
	v_bitop3_b32 v62, v62, v188, v187 bitop3:0x80
	s_delay_alu instid0(VALU_DEP_1) | instskip(SKIP_1) | instid1(VALU_DEP_2)
	v_mbcnt_lo_u32_b32 v184, v62, 0
	v_cmp_ne_u32_e64 s17, 0, v62
	v_cmp_eq_u32_e32 vcc_lo, 0, v184
	s_and_b32 s18, s17, vcc_lo
	s_delay_alu instid0(SALU_CYCLE_1)
	s_and_saveexec_b32 s17, s18
	s_cbranch_execz .LBB908_468
; %bb.467:                              ;   in Loop: Header=BB908_410 Depth=2
	s_wait_dscnt 0x0
	v_bcnt_u32_b32 v62, v62, v183
	ds_store_b32 v185, v62 offset:544
.LBB908_468:                            ;   in Loop: Header=BB908_410 Depth=2
	s_or_b32 exec_lo, exec_lo, s17
	v_xor_b32_e32 v169, 0x7fff, v169
	; wave barrier
	s_delay_alu instid0(VALU_DEP_1) | instskip(NEXT) | instid1(VALU_DEP_1)
	v_and_b32_e32 v62, 0xffff, v169
	v_lshrrev_b32_e32 v62, s43, v62
	s_delay_alu instid0(VALU_DEP_1) | instskip(SKIP_1) | instid1(VALU_DEP_2)
	v_bitop3_b32 v63, v62, 1, s48 bitop3:0x80
	v_and_b32_e32 v186, s48, v62
	v_add_co_u32 v62, s17, v63, -1
	s_delay_alu instid0(VALU_DEP_1) | instskip(NEXT) | instid1(VALU_DEP_3)
	v_cndmask_b32_e64 v63, 0, 1, s17
	v_dual_lshlrev_b32 v187, 30, v186 :: v_dual_lshlrev_b32 v188, 29, v186
	s_delay_alu instid0(VALU_DEP_2) | instskip(NEXT) | instid1(VALU_DEP_2)
	v_cmp_ne_u32_e32 vcc_lo, 0, v63
	v_cmp_gt_i32_e64 s17, 0, v187
	v_not_b32_e32 v63, v187
	s_delay_alu instid0(VALU_DEP_4) | instskip(SKIP_2) | instid1(VALU_DEP_4)
	v_not_b32_e32 v187, v188
	v_cmp_gt_i32_e64 s18, 0, v188
	v_bitop3_b32 v62, vcc_lo, exec_lo, v62 bitop3:0x48
	v_ashrrev_i32_e32 v63, 31, v63
	s_delay_alu instid0(VALU_DEP_4) | instskip(SKIP_1) | instid1(VALU_DEP_2)
	v_dual_ashrrev_i32 v187, 31, v187 :: v_dual_lshlrev_b32 v189, 28, v186
	v_dual_lshlrev_b32 v190, 27, v186 :: v_dual_lshlrev_b32 v191, 26, v186
	v_dual_lshlrev_b32 v192, 25, v186 :: v_dual_bitop2_b32 v187, s18, v187 bitop3:0x14
	s_delay_alu instid0(VALU_DEP_3) | instskip(SKIP_1) | instid1(VALU_DEP_4)
	v_cmp_gt_i32_e64 s19, 0, v189
	v_not_b32_e32 v188, v189
	v_cmp_gt_i32_e64 s20, 0, v190
	v_not_b32_e32 v189, v190
	v_not_b32_e32 v190, v191
	v_xor_b32_e32 v63, s17, v63
	v_cmp_gt_i32_e64 s21, 0, v191
	v_not_b32_e32 v191, v192
	v_dual_ashrrev_i32 v188, 31, v188 :: v_dual_ashrrev_i32 v189, 31, v189
	v_ashrrev_i32_e32 v190, 31, v190
	v_bitop3_b32 v62, v62, v187, v63 bitop3:0x80
	v_mad_u32_u24 v63, v186, 36, v23
	v_cmp_gt_i32_e64 s22, 0, v192
	v_dual_ashrrev_i32 v191, 31, v191 :: v_dual_bitop2_b32 v188, s19, v188 bitop3:0x14
	v_xor_b32_e32 v190, s21, v190
	ds_load_b32 v187, v63 offset:544
	v_mul_u32_u24_e32 v63, 36, v186
	v_xor_b32_e32 v189, s20, v189
	v_xor_b32_e32 v191, s22, v191
	; wave barrier
	s_delay_alu instid0(VALU_DEP_2) | instskip(NEXT) | instid1(VALU_DEP_1)
	v_bitop3_b32 v62, v62, v189, v188 bitop3:0x80
	v_bitop3_b32 v62, v62, v191, v190 bitop3:0x80
	v_add_nc_u32_e32 v190, v23, v63
	s_delay_alu instid0(VALU_DEP_2) | instskip(SKIP_1) | instid1(VALU_DEP_2)
	v_mbcnt_lo_u32_b32 v188, v62, 0
	v_cmp_ne_u32_e64 s17, 0, v62
	v_cmp_eq_u32_e32 vcc_lo, 0, v188
	s_and_b32 s18, s17, vcc_lo
	s_delay_alu instid0(SALU_CYCLE_1)
	s_and_saveexec_b32 s17, s18
	s_cbranch_execz .LBB908_470
; %bb.469:                              ;   in Loop: Header=BB908_410 Depth=2
	s_wait_dscnt 0x0
	v_bcnt_u32_b32 v62, v62, v187
	ds_store_b32 v190, v62 offset:544
.LBB908_470:                            ;   in Loop: Header=BB908_410 Depth=2
	s_or_b32 exec_lo, exec_lo, s17
	v_xor_b32_e32 v186, 0x7fff, v164
	; wave barrier
	s_delay_alu instid0(VALU_DEP_1) | instskip(NEXT) | instid1(VALU_DEP_1)
	v_and_b32_e32 v62, 0xffff, v186
	v_lshrrev_b32_e32 v62, s43, v62
	s_delay_alu instid0(VALU_DEP_1) | instskip(NEXT) | instid1(VALU_DEP_1)
	v_and_b32_e32 v164, s48, v62
	v_lshlrev_b32_e32 v189, 30, v164
	v_bitop3_b32 v63, v62, 1, s48 bitop3:0x80
	s_delay_alu instid0(VALU_DEP_1) | instskip(NEXT) | instid1(VALU_DEP_1)
	v_add_co_u32 v62, s17, v63, -1
	v_cndmask_b32_e64 v63, 0, 1, s17
	s_delay_alu instid0(VALU_DEP_4) | instskip(NEXT) | instid1(VALU_DEP_2)
	v_cmp_gt_i32_e64 s17, 0, v189
	v_cmp_ne_u32_e32 vcc_lo, 0, v63
	v_not_b32_e32 v63, v189
	v_bitop3_b32 v62, vcc_lo, exec_lo, v62 bitop3:0x48
	s_delay_alu instid0(VALU_DEP_2) | instskip(SKIP_2) | instid1(VALU_DEP_3)
	v_dual_ashrrev_i32 v63, 31, v63 :: v_dual_lshlrev_b32 v191, 29, v164
	v_dual_lshlrev_b32 v192, 28, v164 :: v_dual_lshlrev_b32 v193, 27, v164
	v_lshlrev_b32_e32 v194, 26, v164
	v_not_b32_e32 v189, v191
	v_lshlrev_b32_e32 v195, 25, v164
	v_cmp_gt_i32_e64 s18, 0, v191
	v_cmp_gt_i32_e64 s19, 0, v192
	v_not_b32_e32 v191, v192
	v_not_b32_e32 v192, v193
	v_ashrrev_i32_e32 v189, 31, v189
	v_cmp_gt_i32_e64 s20, 0, v193
	v_cmp_gt_i32_e64 s21, 0, v194
	v_not_b32_e32 v193, v194
	v_not_b32_e32 v194, v195
	v_dual_ashrrev_i32 v191, 31, v191 :: v_dual_ashrrev_i32 v192, 31, v192
	s_delay_alu instid0(VALU_DEP_3) | instskip(NEXT) | instid1(VALU_DEP_3)
	v_dual_ashrrev_i32 v193, 31, v193 :: v_dual_bitop2_b32 v63, s17, v63 bitop3:0x14
	v_dual_ashrrev_i32 v194, 31, v194 :: v_dual_bitop2_b32 v189, s18, v189 bitop3:0x14
	v_cmp_gt_i32_e64 s22, 0, v195
	s_delay_alu instid0(VALU_DEP_4) | instskip(SKIP_1) | instid1(VALU_DEP_4)
	v_xor_b32_e32 v191, s19, v191
	v_xor_b32_e32 v192, s20, v192
	v_bitop3_b32 v62, v62, v189, v63 bitop3:0x80
	v_mad_u32_u24 v63, v164, 36, v23
	v_xor_b32_e32 v189, s21, v193
	v_xor_b32_e32 v193, s22, v194
	s_delay_alu instid0(VALU_DEP_4) | instskip(SKIP_3) | instid1(VALU_DEP_2)
	v_bitop3_b32 v62, v62, v192, v191 bitop3:0x80
	ds_load_b32 v191, v63 offset:544
	v_mul_u32_u24_e32 v63, 36, v164
	; wave barrier
	v_bitop3_b32 v62, v62, v193, v189 bitop3:0x80
	v_add_nc_u32_e32 v164, v23, v63
	s_delay_alu instid0(VALU_DEP_2) | instskip(SKIP_1) | instid1(VALU_DEP_2)
	v_mbcnt_lo_u32_b32 v192, v62, 0
	v_cmp_ne_u32_e64 s17, 0, v62
	v_cmp_eq_u32_e32 vcc_lo, 0, v192
	s_and_b32 s18, s17, vcc_lo
	s_delay_alu instid0(SALU_CYCLE_1)
	s_and_saveexec_b32 s17, s18
	s_cbranch_execz .LBB908_472
; %bb.471:                              ;   in Loop: Header=BB908_410 Depth=2
	s_wait_dscnt 0x0
	v_bcnt_u32_b32 v62, v62, v191
	ds_store_b32 v164, v62 offset:544
.LBB908_472:                            ;   in Loop: Header=BB908_410 Depth=2
	s_or_b32 exec_lo, exec_lo, s17
	v_xor_b32_e32 v189, 0x7fff, v161
	; wave barrier
	s_delay_alu instid0(VALU_DEP_1) | instskip(NEXT) | instid1(VALU_DEP_1)
	v_and_b32_e32 v62, 0xffff, v189
	v_lshrrev_b32_e32 v62, s43, v62
	s_delay_alu instid0(VALU_DEP_1) | instskip(NEXT) | instid1(VALU_DEP_1)
	v_and_b32_e32 v161, s48, v62
	v_lshlrev_b32_e32 v193, 30, v161
	v_bitop3_b32 v63, v62, 1, s48 bitop3:0x80
	s_delay_alu instid0(VALU_DEP_1) | instskip(NEXT) | instid1(VALU_DEP_1)
	v_add_co_u32 v62, s17, v63, -1
	v_cndmask_b32_e64 v63, 0, 1, s17
	s_delay_alu instid0(VALU_DEP_4) | instskip(NEXT) | instid1(VALU_DEP_2)
	v_cmp_gt_i32_e64 s17, 0, v193
	v_cmp_ne_u32_e32 vcc_lo, 0, v63
	v_not_b32_e32 v63, v193
	v_bitop3_b32 v62, vcc_lo, exec_lo, v62 bitop3:0x48
	s_delay_alu instid0(VALU_DEP_2) | instskip(SKIP_2) | instid1(VALU_DEP_3)
	v_dual_ashrrev_i32 v63, 31, v63 :: v_dual_lshlrev_b32 v194, 29, v161
	v_dual_lshlrev_b32 v195, 28, v161 :: v_dual_lshlrev_b32 v196, 27, v161
	v_lshlrev_b32_e32 v197, 26, v161
	v_not_b32_e32 v193, v194
	v_cmp_gt_i32_e64 s18, 0, v194
	s_delay_alu instid0(VALU_DEP_4)
	v_cmp_gt_i32_e64 s19, 0, v195
	v_not_b32_e32 v194, v195
	v_lshlrev_b32_e32 v198, 25, v161
	v_not_b32_e32 v195, v196
	v_ashrrev_i32_e32 v193, 31, v193
	v_cmp_gt_i32_e64 s20, 0, v196
	v_cmp_gt_i32_e64 s21, 0, v197
	v_not_b32_e32 v196, v197
	v_ashrrev_i32_e32 v194, 31, v194
	v_not_b32_e32 v197, v198
	v_ashrrev_i32_e32 v195, 31, v195
	s_delay_alu instid0(VALU_DEP_4) | instskip(SKIP_4) | instid1(VALU_DEP_4)
	v_dual_ashrrev_i32 v196, 31, v196 :: v_dual_bitop2_b32 v63, s17, v63 bitop3:0x14
	v_xor_b32_e32 v193, s18, v193
	v_cmp_gt_i32_e64 s22, 0, v198
	v_dual_ashrrev_i32 v197, 31, v197 :: v_dual_bitop2_b32 v194, s19, v194 bitop3:0x14
	v_xor_b32_e32 v195, s20, v195
	v_bitop3_b32 v62, v62, v193, v63 bitop3:0x80
	v_mad_u32_u24 v63, v161, 36, v23
	v_xor_b32_e32 v193, s21, v196
	v_xor_b32_e32 v196, s22, v197
	s_delay_alu instid0(VALU_DEP_4) | instskip(SKIP_3) | instid1(VALU_DEP_2)
	v_bitop3_b32 v62, v62, v195, v194 bitop3:0x80
	ds_load_b32 v194, v63 offset:544
	v_mul_u32_u24_e32 v63, 36, v161
	; wave barrier
	v_bitop3_b32 v62, v62, v196, v193 bitop3:0x80
	v_add_nc_u32_e32 v161, v23, v63
	s_delay_alu instid0(VALU_DEP_2) | instskip(SKIP_1) | instid1(VALU_DEP_2)
	v_mbcnt_lo_u32_b32 v195, v62, 0
	v_cmp_ne_u32_e64 s17, 0, v62
	v_cmp_eq_u32_e32 vcc_lo, 0, v195
	s_and_b32 s18, s17, vcc_lo
	s_delay_alu instid0(SALU_CYCLE_1)
	s_and_saveexec_b32 s17, s18
	s_cbranch_execz .LBB908_474
; %bb.473:                              ;   in Loop: Header=BB908_410 Depth=2
	s_wait_dscnt 0x0
	v_bcnt_u32_b32 v62, v62, v194
	ds_store_b32 v161, v62 offset:544
.LBB908_474:                            ;   in Loop: Header=BB908_410 Depth=2
	s_or_b32 exec_lo, exec_lo, s17
	v_xor_b32_e32 v193, 0x7fff, v156
	; wave barrier
	s_delay_alu instid0(VALU_DEP_1) | instskip(NEXT) | instid1(VALU_DEP_1)
	v_and_b32_e32 v62, 0xffff, v193
	v_lshrrev_b32_e32 v62, s43, v62
	s_delay_alu instid0(VALU_DEP_1) | instskip(NEXT) | instid1(VALU_DEP_1)
	v_and_b32_e32 v156, s48, v62
	v_lshlrev_b32_e32 v196, 30, v156
	v_bitop3_b32 v63, v62, 1, s48 bitop3:0x80
	s_delay_alu instid0(VALU_DEP_1) | instskip(NEXT) | instid1(VALU_DEP_1)
	v_add_co_u32 v62, s17, v63, -1
	v_cndmask_b32_e64 v63, 0, 1, s17
	s_delay_alu instid0(VALU_DEP_4) | instskip(NEXT) | instid1(VALU_DEP_2)
	v_cmp_gt_i32_e64 s17, 0, v196
	v_cmp_ne_u32_e32 vcc_lo, 0, v63
	v_not_b32_e32 v63, v196
	v_bitop3_b32 v62, vcc_lo, exec_lo, v62 bitop3:0x48
	s_delay_alu instid0(VALU_DEP_2) | instskip(SKIP_2) | instid1(VALU_DEP_3)
	v_dual_ashrrev_i32 v63, 31, v63 :: v_dual_lshlrev_b32 v197, 29, v156
	v_dual_lshlrev_b32 v198, 28, v156 :: v_dual_lshlrev_b32 v199, 27, v156
	v_lshlrev_b32_e32 v200, 26, v156
	v_not_b32_e32 v196, v197
	v_cmp_gt_i32_e64 s18, 0, v197
	s_delay_alu instid0(VALU_DEP_4)
	v_cmp_gt_i32_e64 s19, 0, v198
	v_not_b32_e32 v197, v198
	v_lshlrev_b32_e32 v201, 25, v156
	v_not_b32_e32 v198, v199
	v_ashrrev_i32_e32 v196, 31, v196
	v_cmp_gt_i32_e64 s20, 0, v199
	v_cmp_gt_i32_e64 s21, 0, v200
	v_not_b32_e32 v199, v200
	v_ashrrev_i32_e32 v197, 31, v197
	v_not_b32_e32 v200, v201
	v_dual_ashrrev_i32 v198, 31, v198 :: v_dual_bitop2_b32 v63, s17, v63 bitop3:0x14
	s_delay_alu instid0(VALU_DEP_4) | instskip(SKIP_1) | instid1(VALU_DEP_4)
	v_dual_ashrrev_i32 v199, 31, v199 :: v_dual_bitop2_b32 v196, s18, v196 bitop3:0x14
	v_cmp_gt_i32_e64 s22, 0, v201
	v_dual_ashrrev_i32 v200, 31, v200 :: v_dual_bitop2_b32 v197, s19, v197 bitop3:0x14
	s_delay_alu instid0(VALU_DEP_4) | instskip(NEXT) | instid1(VALU_DEP_4)
	v_xor_b32_e32 v198, s20, v198
	v_bitop3_b32 v62, v62, v196, v63 bitop3:0x80
	v_mad_u32_u24 v63, v156, 36, v23
	v_xor_b32_e32 v196, s21, v199
	v_xor_b32_e32 v199, s22, v200
	s_delay_alu instid0(VALU_DEP_4) | instskip(SKIP_3) | instid1(VALU_DEP_2)
	v_bitop3_b32 v62, v62, v198, v197 bitop3:0x80
	ds_load_b32 v197, v63 offset:544
	v_mul_u32_u24_e32 v63, 36, v156
	; wave barrier
	v_bitop3_b32 v62, v62, v199, v196 bitop3:0x80
	v_add_nc_u32_e32 v156, v23, v63
	s_delay_alu instid0(VALU_DEP_2) | instskip(SKIP_1) | instid1(VALU_DEP_2)
	v_mbcnt_lo_u32_b32 v198, v62, 0
	v_cmp_ne_u32_e64 s17, 0, v62
	v_cmp_eq_u32_e32 vcc_lo, 0, v198
	s_and_b32 s18, s17, vcc_lo
	s_delay_alu instid0(SALU_CYCLE_1)
	s_and_saveexec_b32 s17, s18
	s_cbranch_execz .LBB908_476
; %bb.475:                              ;   in Loop: Header=BB908_410 Depth=2
	s_wait_dscnt 0x0
	v_bcnt_u32_b32 v62, v62, v197
	ds_store_b32 v156, v62 offset:544
.LBB908_476:                            ;   in Loop: Header=BB908_410 Depth=2
	s_or_b32 exec_lo, exec_lo, s17
	v_xor_b32_e32 v196, 0x7fff, v65
	; wave barrier
	s_delay_alu instid0(VALU_DEP_1) | instskip(NEXT) | instid1(VALU_DEP_1)
	v_and_b32_e32 v62, 0xffff, v196
	v_lshrrev_b32_e32 v62, s43, v62
	s_delay_alu instid0(VALU_DEP_1) | instskip(NEXT) | instid1(VALU_DEP_1)
	v_and_b32_e32 v65, s48, v62
	v_lshlrev_b32_e32 v199, 30, v65
	v_bitop3_b32 v63, v62, 1, s48 bitop3:0x80
	s_delay_alu instid0(VALU_DEP_1) | instskip(NEXT) | instid1(VALU_DEP_1)
	v_add_co_u32 v62, s17, v63, -1
	v_cndmask_b32_e64 v63, 0, 1, s17
	s_delay_alu instid0(VALU_DEP_4) | instskip(NEXT) | instid1(VALU_DEP_2)
	v_cmp_gt_i32_e64 s17, 0, v199
	v_cmp_ne_u32_e32 vcc_lo, 0, v63
	v_not_b32_e32 v63, v199
	v_bitop3_b32 v62, vcc_lo, exec_lo, v62 bitop3:0x48
	s_delay_alu instid0(VALU_DEP_2) | instskip(SKIP_2) | instid1(VALU_DEP_3)
	v_dual_ashrrev_i32 v63, 31, v63 :: v_dual_lshlrev_b32 v200, 29, v65
	v_dual_lshlrev_b32 v201, 28, v65 :: v_dual_lshlrev_b32 v202, 27, v65
	v_lshlrev_b32_e32 v203, 26, v65
	v_not_b32_e32 v199, v200
	v_lshlrev_b32_e32 v204, 25, v65
	v_cmp_gt_i32_e64 s18, 0, v200
	v_cmp_gt_i32_e64 s19, 0, v201
	v_not_b32_e32 v200, v201
	v_not_b32_e32 v201, v202
	v_ashrrev_i32_e32 v199, 31, v199
	v_cmp_gt_i32_e64 s20, 0, v202
	v_cmp_gt_i32_e64 s21, 0, v203
	v_not_b32_e32 v202, v203
	v_not_b32_e32 v203, v204
	v_dual_ashrrev_i32 v200, 31, v200 :: v_dual_ashrrev_i32 v201, 31, v201
	s_delay_alu instid0(VALU_DEP_3) | instskip(SKIP_2) | instid1(VALU_DEP_4)
	v_dual_ashrrev_i32 v202, 31, v202 :: v_dual_bitop2_b32 v63, s17, v63 bitop3:0x14
	v_xor_b32_e32 v199, s18, v199
	v_cmp_gt_i32_e64 s22, 0, v204
	v_dual_ashrrev_i32 v203, 31, v203 :: v_dual_bitop2_b32 v200, s19, v200 bitop3:0x14
	v_xor_b32_e32 v201, s20, v201
	s_delay_alu instid0(VALU_DEP_4) | instskip(SKIP_3) | instid1(VALU_DEP_4)
	v_bitop3_b32 v62, v62, v199, v63 bitop3:0x80
	v_mad_u32_u24 v63, v65, 36, v23
	v_xor_b32_e32 v199, s21, v202
	v_xor_b32_e32 v202, s22, v203
	v_bitop3_b32 v62, v62, v201, v200 bitop3:0x80
	ds_load_b32 v200, v63 offset:544
	v_mul_u32_u24_e32 v63, 36, v65
	; wave barrier
	v_bitop3_b32 v62, v62, v202, v199 bitop3:0x80
	s_delay_alu instid0(VALU_DEP_2) | instskip(NEXT) | instid1(VALU_DEP_2)
	v_add_nc_u32_e32 v202, v23, v63
	v_mbcnt_lo_u32_b32 v201, v62, 0
	v_cmp_ne_u32_e64 s17, 0, v62
	s_delay_alu instid0(VALU_DEP_2) | instskip(SKIP_1) | instid1(SALU_CYCLE_1)
	v_cmp_eq_u32_e32 vcc_lo, 0, v201
	s_and_b32 s18, s17, vcc_lo
	s_and_saveexec_b32 s17, s18
	s_cbranch_execz .LBB908_478
; %bb.477:                              ;   in Loop: Header=BB908_410 Depth=2
	s_wait_dscnt 0x0
	v_bcnt_u32_b32 v62, v62, v200
	ds_store_b32 v202, v62 offset:544
.LBB908_478:                            ;   in Loop: Header=BB908_410 Depth=2
	s_or_b32 exec_lo, exec_lo, s17
	v_xor_b32_e32 v199, 0x7fff, v64
	; wave barrier
	s_delay_alu instid0(VALU_DEP_1) | instskip(NEXT) | instid1(VALU_DEP_1)
	v_and_b32_e32 v62, 0xffff, v199
	v_lshrrev_b32_e32 v62, s43, v62
	s_delay_alu instid0(VALU_DEP_1) | instskip(NEXT) | instid1(VALU_DEP_1)
	v_and_b32_e32 v64, s48, v62
	v_lshlrev_b32_e32 v65, 30, v64
	v_bitop3_b32 v63, v62, 1, s48 bitop3:0x80
	s_delay_alu instid0(VALU_DEP_1) | instskip(NEXT) | instid1(VALU_DEP_1)
	v_add_co_u32 v62, s17, v63, -1
	v_cndmask_b32_e64 v63, 0, 1, s17
	s_delay_alu instid0(VALU_DEP_4) | instskip(NEXT) | instid1(VALU_DEP_2)
	v_cmp_gt_i32_e64 s17, 0, v65
	v_cmp_ne_u32_e32 vcc_lo, 0, v63
	v_not_b32_e32 v63, v65
	v_bitop3_b32 v62, vcc_lo, exec_lo, v62 bitop3:0x48
	s_delay_alu instid0(VALU_DEP_2) | instskip(SKIP_2) | instid1(VALU_DEP_3)
	v_dual_ashrrev_i32 v63, 31, v63 :: v_dual_lshlrev_b32 v203, 29, v64
	v_dual_lshlrev_b32 v204, 28, v64 :: v_dual_lshlrev_b32 v205, 27, v64
	v_lshlrev_b32_e32 v206, 26, v64
	v_not_b32_e32 v65, v203
	v_lshlrev_b32_e32 v207, 25, v64
	v_cmp_gt_i32_e64 s18, 0, v203
	v_cmp_gt_i32_e64 s19, 0, v204
	v_not_b32_e32 v203, v204
	v_not_b32_e32 v204, v205
	v_ashrrev_i32_e32 v65, 31, v65
	v_cmp_gt_i32_e64 s20, 0, v205
	v_cmp_gt_i32_e64 s21, 0, v206
	v_not_b32_e32 v205, v206
	v_not_b32_e32 v206, v207
	v_dual_ashrrev_i32 v203, 31, v203 :: v_dual_ashrrev_i32 v204, 31, v204
	s_delay_alu instid0(VALU_DEP_3) | instskip(NEXT) | instid1(VALU_DEP_3)
	v_dual_ashrrev_i32 v205, 31, v205 :: v_dual_bitop2_b32 v63, s17, v63 bitop3:0x14
	v_dual_ashrrev_i32 v206, 31, v206 :: v_dual_bitop2_b32 v65, s18, v65 bitop3:0x14
	v_cmp_gt_i32_e64 s22, 0, v207
	s_delay_alu instid0(VALU_DEP_4) | instskip(SKIP_1) | instid1(VALU_DEP_4)
	v_xor_b32_e32 v203, s19, v203
	v_xor_b32_e32 v204, s20, v204
	v_bitop3_b32 v62, v62, v65, v63 bitop3:0x80
	v_mad_u32_u24 v63, v64, 36, v23
	v_xor_b32_e32 v65, s21, v205
	v_xor_b32_e32 v205, s22, v206
	s_delay_alu instid0(VALU_DEP_4) | instskip(SKIP_3) | instid1(VALU_DEP_2)
	v_bitop3_b32 v62, v62, v204, v203 bitop3:0x80
	ds_load_b32 v203, v63 offset:544
	v_mul_u32_u24_e32 v63, 36, v64
	; wave barrier
	v_bitop3_b32 v62, v62, v205, v65 bitop3:0x80
	v_add_nc_u32_e32 v205, v23, v63
	s_delay_alu instid0(VALU_DEP_2) | instskip(SKIP_1) | instid1(VALU_DEP_2)
	v_mbcnt_lo_u32_b32 v204, v62, 0
	v_cmp_ne_u32_e64 s17, 0, v62
	v_cmp_eq_u32_e32 vcc_lo, 0, v204
	s_and_b32 s18, s17, vcc_lo
	s_delay_alu instid0(SALU_CYCLE_1)
	s_and_saveexec_b32 s17, s18
	s_cbranch_execz .LBB908_480
; %bb.479:                              ;   in Loop: Header=BB908_410 Depth=2
	s_wait_dscnt 0x0
	v_bcnt_u32_b32 v62, v62, v203
	ds_store_b32 v205, v62 offset:544
.LBB908_480:                            ;   in Loop: Header=BB908_410 Depth=2
	s_or_b32 exec_lo, exec_lo, s17
	v_and_b32_e32 v62, 0xffff, v142
	; wave barrier
	s_delay_alu instid0(VALU_DEP_1) | instskip(NEXT) | instid1(VALU_DEP_1)
	v_lshrrev_b32_e32 v62, s43, v62
	v_and_b32_e32 v64, s48, v62
	s_delay_alu instid0(VALU_DEP_1) | instskip(SKIP_1) | instid1(VALU_DEP_1)
	v_lshlrev_b32_e32 v65, 30, v64
	v_bitop3_b32 v63, v62, 1, s48 bitop3:0x80
	v_add_co_u32 v62, s17, v63, -1
	s_delay_alu instid0(VALU_DEP_1) | instskip(NEXT) | instid1(VALU_DEP_4)
	v_cndmask_b32_e64 v63, 0, 1, s17
	v_cmp_gt_i32_e64 s17, 0, v65
	s_delay_alu instid0(VALU_DEP_2) | instskip(SKIP_2) | instid1(VALU_DEP_2)
	v_cmp_ne_u32_e32 vcc_lo, 0, v63
	v_not_b32_e32 v63, v65
	v_bitop3_b32 v62, vcc_lo, exec_lo, v62 bitop3:0x48
	v_dual_ashrrev_i32 v63, 31, v63 :: v_dual_lshlrev_b32 v206, 29, v64
	v_dual_lshlrev_b32 v207, 28, v64 :: v_dual_lshlrev_b32 v208, 27, v64
	v_lshlrev_b32_e32 v209, 26, v64
	s_delay_alu instid0(VALU_DEP_3)
	v_not_b32_e32 v65, v206
	v_lshlrev_b32_e32 v210, 25, v64
	v_cmp_gt_i32_e64 s18, 0, v206
	v_cmp_gt_i32_e64 s19, 0, v207
	v_not_b32_e32 v206, v207
	v_not_b32_e32 v207, v208
	v_ashrrev_i32_e32 v65, 31, v65
	v_cmp_gt_i32_e64 s20, 0, v208
	v_cmp_gt_i32_e64 s21, 0, v209
	v_not_b32_e32 v208, v209
	v_dual_ashrrev_i32 v206, 31, v206 :: v_dual_ashrrev_i32 v207, 31, v207
	v_xor_b32_e32 v63, s17, v63
	v_xor_b32_e32 v65, s18, v65
	v_not_b32_e32 v209, v210
	s_delay_alu instid0(VALU_DEP_4) | instskip(SKIP_1) | instid1(VALU_DEP_4)
	v_dual_ashrrev_i32 v208, 31, v208 :: v_dual_bitop2_b32 v206, s19, v206 bitop3:0x14
	v_xor_b32_e32 v207, s20, v207
	v_bitop3_b32 v62, v62, v65, v63 bitop3:0x80
	v_cmp_gt_i32_e32 vcc_lo, 0, v210
	v_ashrrev_i32_e32 v63, 31, v209
	v_mad_u32_u24 v65, v64, 36, v23
	v_xor_b32_e32 v208, s21, v208
	v_bitop3_b32 v62, v62, v207, v206 bitop3:0x80
	s_delay_alu instid0(VALU_DEP_4) | instskip(SKIP_3) | instid1(VALU_DEP_2)
	v_xor_b32_e32 v63, vcc_lo, v63
	ds_load_b32 v206, v65 offset:544
	; wave barrier
	v_bitop3_b32 v62, v62, v63, v208 bitop3:0x80
	v_mul_u32_u24_e32 v63, 36, v64
	v_mbcnt_lo_u32_b32 v207, v62, 0
	v_cmp_ne_u32_e64 s17, 0, v62
	s_delay_alu instid0(VALU_DEP_3) | instskip(NEXT) | instid1(VALU_DEP_3)
	v_add_nc_u32_e32 v208, v23, v63
	v_cmp_eq_u32_e32 vcc_lo, 0, v207
	s_and_b32 s18, s17, vcc_lo
	s_delay_alu instid0(SALU_CYCLE_1)
	s_and_saveexec_b32 s17, s18
	s_cbranch_execz .LBB908_482
; %bb.481:                              ;   in Loop: Header=BB908_410 Depth=2
	s_wait_dscnt 0x0
	v_bcnt_u32_b32 v62, v62, v206
	ds_store_b32 v208, v62 offset:544
.LBB908_482:                            ;   in Loop: Header=BB908_410 Depth=2
	s_or_b32 exec_lo, exec_lo, s17
	; wave barrier
	s_wait_dscnt 0x0
	s_barrier_signal -1
	s_barrier_wait -1
	ds_load_2addr_b32 v[64:65], v89 offset0:136 offset1:137
	ds_load_2addr_b32 v[62:63], v89 offset0:138 offset1:139
	ds_load_b32 v209, v89 offset:560
	s_wait_dscnt 0x1
	v_add3_u32 v210, v65, v64, v62
	s_wait_dscnt 0x0
	s_delay_alu instid0(VALU_DEP_1) | instskip(NEXT) | instid1(VALU_DEP_1)
	v_add3_u32 v209, v210, v63, v209
	v_mov_b32_dpp v210, v209 row_shr:1 row_mask:0xf bank_mask:0xf
	s_delay_alu instid0(VALU_DEP_1) | instskip(NEXT) | instid1(VALU_DEP_1)
	v_cndmask_b32_e64 v210, v210, 0, s9
	v_add_nc_u32_e32 v209, v210, v209
	s_delay_alu instid0(VALU_DEP_1) | instskip(NEXT) | instid1(VALU_DEP_1)
	v_mov_b32_dpp v210, v209 row_shr:2 row_mask:0xf bank_mask:0xf
	v_cndmask_b32_e64 v210, 0, v210, s10
	s_delay_alu instid0(VALU_DEP_1) | instskip(NEXT) | instid1(VALU_DEP_1)
	v_add_nc_u32_e32 v209, v209, v210
	v_mov_b32_dpp v210, v209 row_shr:4 row_mask:0xf bank_mask:0xf
	s_delay_alu instid0(VALU_DEP_1) | instskip(NEXT) | instid1(VALU_DEP_1)
	v_cndmask_b32_e64 v210, 0, v210, s11
	v_add_nc_u32_e32 v209, v209, v210
	s_delay_alu instid0(VALU_DEP_1) | instskip(NEXT) | instid1(VALU_DEP_1)
	v_mov_b32_dpp v210, v209 row_shr:8 row_mask:0xf bank_mask:0xf
	v_cndmask_b32_e64 v210, 0, v210, s12
	s_delay_alu instid0(VALU_DEP_1) | instskip(SKIP_3) | instid1(VALU_DEP_1)
	v_add_nc_u32_e32 v209, v209, v210
	ds_swizzle_b32 v210, v209 offset:swizzle(BROADCAST,32,15)
	s_wait_dscnt 0x0
	v_cndmask_b32_e64 v210, v210, 0, s13
	v_add_nc_u32_e32 v209, v209, v210
	s_and_saveexec_b32 s17, s2
; %bb.483:                              ;   in Loop: Header=BB908_410 Depth=2
	ds_store_b32 v82, v209 offset:512
; %bb.484:                              ;   in Loop: Header=BB908_410 Depth=2
	s_or_b32 exec_lo, exec_lo, s17
	s_wait_dscnt 0x0
	s_barrier_signal -1
	s_barrier_wait -1
	s_and_saveexec_b32 s17, s3
	s_cbranch_execz .LBB908_486
; %bb.485:                              ;   in Loop: Header=BB908_410 Depth=2
	ds_load_b32 v210, v91 offset:512
	s_wait_dscnt 0x0
	v_mov_b32_dpp v211, v210 row_shr:1 row_mask:0xf bank_mask:0xf
	s_delay_alu instid0(VALU_DEP_1) | instskip(NEXT) | instid1(VALU_DEP_1)
	v_cndmask_b32_e64 v211, v211, 0, s14
	v_add_nc_u32_e32 v210, v211, v210
	s_delay_alu instid0(VALU_DEP_1) | instskip(NEXT) | instid1(VALU_DEP_1)
	v_mov_b32_dpp v211, v210 row_shr:2 row_mask:0xf bank_mask:0xf
	v_cndmask_b32_e64 v211, 0, v211, s15
	s_delay_alu instid0(VALU_DEP_1) | instskip(NEXT) | instid1(VALU_DEP_1)
	v_add_nc_u32_e32 v210, v210, v211
	v_mov_b32_dpp v211, v210 row_shr:4 row_mask:0xf bank_mask:0xf
	s_delay_alu instid0(VALU_DEP_1) | instskip(NEXT) | instid1(VALU_DEP_1)
	v_cndmask_b32_e64 v211, 0, v211, s16
	v_add_nc_u32_e32 v210, v210, v211
	ds_store_b32 v91, v210 offset:512
.LBB908_486:                            ;   in Loop: Header=BB908_410 Depth=2
	s_or_b32 exec_lo, exec_lo, s17
	v_mov_b32_e32 v210, 0
	s_wait_dscnt 0x0
	s_barrier_signal -1
	s_barrier_wait -1
	s_and_saveexec_b32 s17, s5
; %bb.487:                              ;   in Loop: Header=BB908_410 Depth=2
	ds_load_b32 v210, v82 offset:508
; %bb.488:                              ;   in Loop: Header=BB908_410 Depth=2
	s_or_b32 exec_lo, exec_lo, s17
	s_wait_dscnt 0x0
	v_add_nc_u32_e32 v209, v210, v209
	ds_bpermute_b32 v209, v121, v209
	s_wait_dscnt 0x0
	v_cndmask_b32_e64 v209, v209, v210, s8
	s_delay_alu instid0(VALU_DEP_1) | instskip(NEXT) | instid1(VALU_DEP_1)
	v_cndmask_b32_e64 v209, v209, 0, s6
	v_add_nc_u32_e32 v64, v209, v64
	s_delay_alu instid0(VALU_DEP_1) | instskip(NEXT) | instid1(VALU_DEP_1)
	v_add_nc_u32_e32 v65, v64, v65
	v_add_nc_u32_e32 v62, v65, v62
	s_delay_alu instid0(VALU_DEP_1)
	v_add_nc_u32_e32 v63, v62, v63
	ds_store_2addr_b32 v89, v209, v64 offset0:136 offset1:137
	ds_store_2addr_b32 v89, v65, v62 offset0:138 offset1:139
	ds_store_b32 v89, v63 offset:560
	s_wait_dscnt 0x0
	s_barrier_signal -1
	s_barrier_wait -1
	ds_load_b32 v64, v146 offset:544
	ds_load_b32 v65, v150 offset:544
	;; [unrolled: 1-line block ×17, first 2 shown]
	s_and_saveexec_b32 s17, s0
	s_cbranch_execz .LBB908_492
; %bb.489:                              ;   in Loop: Header=BB908_410 Depth=2
	ds_load_b32 v137, v92 offset:544
	v_mov_b32_e32 v140, 0x1100
	s_and_saveexec_b32 s18, s7
; %bb.490:                              ;   in Loop: Header=BB908_410 Depth=2
	ds_load_b32 v140, v93 offset:544
; %bb.491:                              ;   in Loop: Header=BB908_410 Depth=2
	s_or_b32 exec_lo, exec_lo, s18
	s_wait_dscnt 0x0
	v_sub_nc_u32_e32 v140, v140, v137
.LBB908_492:                            ;   in Loop: Header=BB908_410 Depth=2
	s_or_b32 exec_lo, exec_lo, s17
	s_wait_dscnt 0x0
	s_barrier_signal -1
	s_barrier_wait -1
	s_and_saveexec_b32 s17, s0
	s_cbranch_execz .LBB908_494
; %bb.493:                              ;   in Loop: Header=BB908_410 Depth=2
	ds_load_b32 v156, v3
	s_wait_dscnt 0x0
	v_sub_nc_u32_e32 v156, v156, v137
	ds_store_b32 v3, v156
.LBB908_494:                            ;   in Loop: Header=BB908_410 Depth=2
	s_or_b32 exec_lo, exec_lo, s17
	v_add3_u32 v161, v153, v152, v146
	v_add_nc_u32_e32 v165, v64, v144
	v_add3_u32 v164, v149, v148, v65
	v_add3_u32 v159, v158, v157, v150
	;; [unrolled: 1-line block ×4, first 2 shown]
	v_lshlrev_b32_e32 v62, 1, v161
	v_dual_lshlrev_b32 v162, 1, v165 :: v_dual_lshlrev_b32 v163, 1, v164
	v_add3_u32 v157, v168, v167, v209
	v_add3_u32 v156, v173, v172, v175
	;; [unrolled: 1-line block ×5, first 2 shown]
	v_lshlrev_b32_e32 v63, 1, v159
	v_add3_u32 v152, v184, v183, v185
	ds_store_b16 v162, v143 offset:512
	ds_store_b16 v163, v145 offset:512
	v_lshlrev_b32_e32 v143, 1, v158
	v_add3_u32 v150, v188, v187, v190
	v_dual_lshlrev_b32 v145, 1, v157 :: v_dual_lshlrev_b32 v162, 1, v156
	v_add3_u32 v149, v192, v191, v210
	v_add3_u32 v65, v195, v194, v211
	ds_store_b16 v62, v147 offset:512
	ds_store_b16 v63, v151 offset:512
	;; [unrolled: 1-line block ×5, first 2 shown]
	v_dual_lshlrev_b32 v62, 1, v154 :: v_dual_lshlrev_b32 v63, 1, v153
	v_add3_u32 v64, v198, v197, v212
	v_dual_lshlrev_b32 v143, 1, v152 :: v_dual_lshlrev_b32 v145, 1, v150
	v_add3_u32 v144, v207, v206, v170
	v_lshlrev_b32_e32 v147, 1, v149
	ds_store_b16 v62, v171 offset:512
	ds_store_b16 v63, v176 offset:512
	ds_store_b16 v143, v174 offset:512
	ds_store_b16 v145, v169 offset:512
	ds_store_b16 v147, v186 offset:512
	v_dual_lshlrev_b32 v62, 1, v65 :: v_dual_lshlrev_b32 v143, 1, v148
	v_cmp_lt_u32_e32 vcc_lo, v2, v141
	v_dual_lshlrev_b32 v63, 1, v64 :: v_dual_lshlrev_b32 v145, 1, v146
	v_lshlrev_b32_e32 v147, 1, v144
	ds_store_b16 v62, v189 offset:512
	ds_store_b16 v63, v193 offset:512
	;; [unrolled: 1-line block ×5, first 2 shown]
	s_wait_dscnt 0x0
	s_barrier_signal -1
	s_barrier_wait -1
	s_and_saveexec_b32 s17, vcc_lo
	s_cbranch_execnz .LBB908_567
; %bb.495:                              ;   in Loop: Header=BB908_410 Depth=2
	s_or_b32 exec_lo, exec_lo, s17
	v_cmp_lt_u32_e64 s17, v66, v141
	s_and_saveexec_b32 s18, s17
	s_cbranch_execnz .LBB908_568
.LBB908_496:                            ;   in Loop: Header=BB908_410 Depth=2
	s_or_b32 exec_lo, exec_lo, s18
	v_cmp_lt_u32_e64 s18, v67, v141
	s_and_saveexec_b32 s19, s18
	s_cbranch_execnz .LBB908_569
.LBB908_497:                            ;   in Loop: Header=BB908_410 Depth=2
	s_or_b32 exec_lo, exec_lo, s19
	v_cmp_lt_u32_e64 s19, v68, v141
	s_and_saveexec_b32 s20, s19
	s_cbranch_execnz .LBB908_570
.LBB908_498:                            ;   in Loop: Header=BB908_410 Depth=2
	s_or_b32 exec_lo, exec_lo, s20
	v_cmp_lt_u32_e64 s20, v69, v141
	s_and_saveexec_b32 s21, s20
	s_cbranch_execnz .LBB908_571
.LBB908_499:                            ;   in Loop: Header=BB908_410 Depth=2
	s_or_b32 exec_lo, exec_lo, s21
	v_cmp_lt_u32_e64 s21, v70, v141
	s_and_saveexec_b32 s22, s21
	s_cbranch_execnz .LBB908_572
.LBB908_500:                            ;   in Loop: Header=BB908_410 Depth=2
	s_or_b32 exec_lo, exec_lo, s22
	v_cmp_lt_u32_e64 s22, v71, v141
	s_and_saveexec_b32 s23, s22
	s_cbranch_execnz .LBB908_573
.LBB908_501:                            ;   in Loop: Header=BB908_410 Depth=2
	s_or_b32 exec_lo, exec_lo, s23
	v_cmp_lt_u32_e64 s23, v72, v141
	s_and_saveexec_b32 s24, s23
	s_cbranch_execnz .LBB908_574
.LBB908_502:                            ;   in Loop: Header=BB908_410 Depth=2
	s_or_b32 exec_lo, exec_lo, s24
	v_cmp_lt_u32_e64 s24, v73, v141
	s_and_saveexec_b32 s25, s24
	s_cbranch_execnz .LBB908_575
.LBB908_503:                            ;   in Loop: Header=BB908_410 Depth=2
	s_or_b32 exec_lo, exec_lo, s25
	v_cmp_lt_u32_e64 s25, v74, v141
	s_and_saveexec_b32 s26, s25
	s_cbranch_execnz .LBB908_576
.LBB908_504:                            ;   in Loop: Header=BB908_410 Depth=2
	s_or_b32 exec_lo, exec_lo, s26
	v_cmp_lt_u32_e64 s26, v75, v141
	s_and_saveexec_b32 s27, s26
	s_cbranch_execnz .LBB908_577
.LBB908_505:                            ;   in Loop: Header=BB908_410 Depth=2
	s_or_b32 exec_lo, exec_lo, s27
	v_cmp_lt_u32_e64 s27, v76, v141
	s_and_saveexec_b32 s28, s27
	s_cbranch_execnz .LBB908_578
.LBB908_506:                            ;   in Loop: Header=BB908_410 Depth=2
	s_or_b32 exec_lo, exec_lo, s28
	v_cmp_lt_u32_e64 s28, v77, v141
	s_and_saveexec_b32 s29, s28
	s_cbranch_execnz .LBB908_579
.LBB908_507:                            ;   in Loop: Header=BB908_410 Depth=2
	s_or_b32 exec_lo, exec_lo, s29
	v_cmp_lt_u32_e64 s29, v78, v141
	s_and_saveexec_b32 s30, s29
	s_cbranch_execnz .LBB908_580
.LBB908_508:                            ;   in Loop: Header=BB908_410 Depth=2
	s_or_b32 exec_lo, exec_lo, s30
	v_cmp_lt_u32_e64 s30, v79, v141
	s_and_saveexec_b32 s31, s30
	s_cbranch_execnz .LBB908_581
.LBB908_509:                            ;   in Loop: Header=BB908_410 Depth=2
	s_or_b32 exec_lo, exec_lo, s31
	v_cmp_lt_u32_e64 s31, v80, v141
	s_and_saveexec_b32 s33, s31
	s_cbranch_execnz .LBB908_582
.LBB908_510:                            ;   in Loop: Header=BB908_410 Depth=2
	s_or_b32 exec_lo, exec_lo, s33
	v_cmp_lt_u32_e64 s33, v81, v141
	s_and_saveexec_b32 s60, s33
	s_cbranch_execz .LBB908_512
.LBB908_511:                            ;   in Loop: Header=BB908_410 Depth=2
	ds_load_u16 v62, v94 offset:8704
	s_wait_dscnt 0x0
	v_and_b32_e32 v63, 0xffff, v62
	v_xor_b32_e32 v62, 0x7fff, v62
	s_delay_alu instid0(VALU_DEP_2) | instskip(NEXT) | instid1(VALU_DEP_1)
	v_lshrrev_b32_e32 v63, s43, v63
	v_and_b32_e32 v63, s48, v63
	s_delay_alu instid0(VALU_DEP_1)
	v_lshlrev_b32_e32 v63, 2, v63
	ds_load_b32 v63, v63
	s_wait_dscnt 0x0
	v_add_nc_u32_e32 v63, v63, v81
	global_store_b16 v63, v62, s[40:41] scale_offset
.LBB908_512:                            ;   in Loop: Header=BB908_410 Depth=2
	s_wait_xcnt 0x0
	s_or_b32 exec_lo, exec_lo, s60
	v_lshl_add_u64 v[62:63], s[34:35], 3, v[24:25]
	v_cmp_lt_u32_e64 s34, v102, v141
	s_and_saveexec_b32 s60, s34
	s_delay_alu instid0(SALU_CYCLE_1)
	s_xor_b32 s34, exec_lo, s60
	s_cbranch_execnz .LBB908_583
; %bb.513:                              ;   in Loop: Header=BB908_410 Depth=2
	s_or_b32 exec_lo, exec_lo, s34
	s_delay_alu instid0(SALU_CYCLE_1)
	s_mov_b32 s60, exec_lo
	v_cmpx_lt_u32_e64 v105, v141
	s_cbranch_execnz .LBB908_584
.LBB908_514:                            ;   in Loop: Header=BB908_410 Depth=2
	s_or_b32 exec_lo, exec_lo, s60
	s_delay_alu instid0(SALU_CYCLE_1)
	s_mov_b32 s60, exec_lo
	v_cmpx_lt_u32_e64 v106, v141
	s_cbranch_execnz .LBB908_585
.LBB908_515:                            ;   in Loop: Header=BB908_410 Depth=2
	s_or_b32 exec_lo, exec_lo, s60
	s_delay_alu instid0(SALU_CYCLE_1)
	s_mov_b32 s60, exec_lo
	v_cmpx_lt_u32_e64 v107, v141
	s_cbranch_execnz .LBB908_586
.LBB908_516:                            ;   in Loop: Header=BB908_410 Depth=2
	s_or_b32 exec_lo, exec_lo, s60
	s_delay_alu instid0(SALU_CYCLE_1)
	s_mov_b32 s60, exec_lo
	v_cmpx_lt_u32_e64 v108, v141
	s_cbranch_execnz .LBB908_587
.LBB908_517:                            ;   in Loop: Header=BB908_410 Depth=2
	s_or_b32 exec_lo, exec_lo, s60
	s_delay_alu instid0(SALU_CYCLE_1)
	s_mov_b32 s60, exec_lo
	v_cmpx_lt_u32_e64 v109, v141
	s_cbranch_execnz .LBB908_588
.LBB908_518:                            ;   in Loop: Header=BB908_410 Depth=2
	s_or_b32 exec_lo, exec_lo, s60
	s_delay_alu instid0(SALU_CYCLE_1)
	s_mov_b32 s60, exec_lo
	v_cmpx_lt_u32_e64 v110, v141
	s_cbranch_execnz .LBB908_589
.LBB908_519:                            ;   in Loop: Header=BB908_410 Depth=2
	s_or_b32 exec_lo, exec_lo, s60
	s_delay_alu instid0(SALU_CYCLE_1)
	s_mov_b32 s60, exec_lo
	v_cmpx_lt_u32_e64 v111, v141
	s_cbranch_execnz .LBB908_590
.LBB908_520:                            ;   in Loop: Header=BB908_410 Depth=2
	s_or_b32 exec_lo, exec_lo, s60
	s_delay_alu instid0(SALU_CYCLE_1)
	s_mov_b32 s60, exec_lo
	v_cmpx_lt_u32_e64 v112, v141
	s_cbranch_execnz .LBB908_591
.LBB908_521:                            ;   in Loop: Header=BB908_410 Depth=2
	s_or_b32 exec_lo, exec_lo, s60
	s_delay_alu instid0(SALU_CYCLE_1)
	s_mov_b32 s60, exec_lo
	v_cmpx_lt_u32_e64 v113, v141
	s_cbranch_execnz .LBB908_592
.LBB908_522:                            ;   in Loop: Header=BB908_410 Depth=2
	s_or_b32 exec_lo, exec_lo, s60
	s_delay_alu instid0(SALU_CYCLE_1)
	s_mov_b32 s60, exec_lo
	v_cmpx_lt_u32_e64 v114, v141
	s_cbranch_execnz .LBB908_593
.LBB908_523:                            ;   in Loop: Header=BB908_410 Depth=2
	s_or_b32 exec_lo, exec_lo, s60
	s_delay_alu instid0(SALU_CYCLE_1)
	s_mov_b32 s60, exec_lo
	v_cmpx_lt_u32_e64 v115, v141
	s_cbranch_execnz .LBB908_594
.LBB908_524:                            ;   in Loop: Header=BB908_410 Depth=2
	s_or_b32 exec_lo, exec_lo, s60
	s_delay_alu instid0(SALU_CYCLE_1)
	s_mov_b32 s60, exec_lo
	v_cmpx_lt_u32_e64 v116, v141
	s_cbranch_execnz .LBB908_595
.LBB908_525:                            ;   in Loop: Header=BB908_410 Depth=2
	s_or_b32 exec_lo, exec_lo, s60
	s_delay_alu instid0(SALU_CYCLE_1)
	s_mov_b32 s60, exec_lo
	v_cmpx_lt_u32_e64 v117, v141
	s_cbranch_execnz .LBB908_596
.LBB908_526:                            ;   in Loop: Header=BB908_410 Depth=2
	s_or_b32 exec_lo, exec_lo, s60
	s_delay_alu instid0(SALU_CYCLE_1)
	s_mov_b32 s60, exec_lo
	v_cmpx_lt_u32_e64 v118, v141
	s_cbranch_execnz .LBB908_597
.LBB908_527:                            ;   in Loop: Header=BB908_410 Depth=2
	s_or_b32 exec_lo, exec_lo, s60
	s_delay_alu instid0(SALU_CYCLE_1)
	s_mov_b32 s60, exec_lo
	v_cmpx_lt_u32_e64 v119, v141
	s_cbranch_execnz .LBB908_598
.LBB908_528:                            ;   in Loop: Header=BB908_410 Depth=2
	s_or_b32 exec_lo, exec_lo, s60
	s_delay_alu instid0(SALU_CYCLE_1)
	s_mov_b32 s60, exec_lo
	v_cmpx_lt_u32_e64 v120, v141
	s_cbranch_execnz .LBB908_599
.LBB908_529:                            ;   in Loop: Header=BB908_410 Depth=2
	s_or_b32 exec_lo, exec_lo, s60
	s_and_saveexec_b32 s34, vcc_lo
	s_cbranch_execnz .LBB908_600
.LBB908_530:                            ;   in Loop: Header=BB908_410 Depth=2
	s_or_b32 exec_lo, exec_lo, s34
	s_and_saveexec_b32 s34, s17
	s_cbranch_execnz .LBB908_601
.LBB908_531:                            ;   in Loop: Header=BB908_410 Depth=2
	s_or_b32 exec_lo, exec_lo, s34
	s_and_saveexec_b32 s34, s18
	s_cbranch_execnz .LBB908_602
.LBB908_532:                            ;   in Loop: Header=BB908_410 Depth=2
	s_or_b32 exec_lo, exec_lo, s34
	s_and_saveexec_b32 s34, s19
	s_cbranch_execnz .LBB908_603
.LBB908_533:                            ;   in Loop: Header=BB908_410 Depth=2
	s_or_b32 exec_lo, exec_lo, s34
	s_and_saveexec_b32 s34, s20
	s_cbranch_execnz .LBB908_604
.LBB908_534:                            ;   in Loop: Header=BB908_410 Depth=2
	s_or_b32 exec_lo, exec_lo, s34
	s_and_saveexec_b32 s34, s21
	s_cbranch_execnz .LBB908_605
.LBB908_535:                            ;   in Loop: Header=BB908_410 Depth=2
	s_or_b32 exec_lo, exec_lo, s34
	s_and_saveexec_b32 s34, s22
	s_cbranch_execnz .LBB908_606
.LBB908_536:                            ;   in Loop: Header=BB908_410 Depth=2
	s_or_b32 exec_lo, exec_lo, s34
	s_and_saveexec_b32 s34, s23
	s_cbranch_execnz .LBB908_607
.LBB908_537:                            ;   in Loop: Header=BB908_410 Depth=2
	s_or_b32 exec_lo, exec_lo, s34
	s_and_saveexec_b32 s34, s24
	s_cbranch_execnz .LBB908_608
.LBB908_538:                            ;   in Loop: Header=BB908_410 Depth=2
	s_or_b32 exec_lo, exec_lo, s34
	s_and_saveexec_b32 s34, s25
	s_cbranch_execnz .LBB908_609
.LBB908_539:                            ;   in Loop: Header=BB908_410 Depth=2
	s_or_b32 exec_lo, exec_lo, s34
	s_and_saveexec_b32 s34, s26
	s_cbranch_execnz .LBB908_610
.LBB908_540:                            ;   in Loop: Header=BB908_410 Depth=2
	s_or_b32 exec_lo, exec_lo, s34
	s_and_saveexec_b32 s34, s27
	s_cbranch_execnz .LBB908_611
.LBB908_541:                            ;   in Loop: Header=BB908_410 Depth=2
	s_or_b32 exec_lo, exec_lo, s34
	s_and_saveexec_b32 s34, s28
	s_cbranch_execnz .LBB908_612
.LBB908_542:                            ;   in Loop: Header=BB908_410 Depth=2
	s_or_b32 exec_lo, exec_lo, s34
	s_and_saveexec_b32 s34, s29
	s_cbranch_execnz .LBB908_613
.LBB908_543:                            ;   in Loop: Header=BB908_410 Depth=2
	s_or_b32 exec_lo, exec_lo, s34
	s_and_saveexec_b32 s34, s30
	s_cbranch_execnz .LBB908_614
.LBB908_544:                            ;   in Loop: Header=BB908_410 Depth=2
	s_or_b32 exec_lo, exec_lo, s34
	s_and_saveexec_b32 s34, s31
	s_cbranch_execnz .LBB908_615
.LBB908_545:                            ;   in Loop: Header=BB908_410 Depth=2
	s_or_b32 exec_lo, exec_lo, s34
	s_and_saveexec_b32 s34, s33
	s_cbranch_execz .LBB908_547
.LBB908_546:                            ;   in Loop: Header=BB908_410 Depth=2
	ds_load_u16 v62, v94 offset:8704
	s_wait_dscnt 0x0
	v_lshrrev_b32_e32 v62, s43, v62
	s_delay_alu instid0(VALU_DEP_1)
	v_and_b32_e32 v122, s48, v62
.LBB908_547:                            ;   in Loop: Header=BB908_410 Depth=2
	s_or_b32 exec_lo, exec_lo, s34
	v_dual_lshlrev_b32 v62, 3, v165 :: v_dual_lshlrev_b32 v63, 3, v164
	s_wait_loadcnt 0x0
	s_wait_storecnt 0x0
	s_barrier_signal -1
	s_barrier_wait -1
	ds_store_b64 v62, v[60:61] offset:512
	ds_store_b64 v63, v[58:59] offset:512
	v_dual_lshlrev_b32 v62, 3, v161 :: v_dual_lshlrev_b32 v63, 3, v159
	v_dual_lshlrev_b32 v141, 3, v158 :: v_dual_lshlrev_b32 v142, 3, v157
	v_lshlrev_b32_e32 v143, 3, v156
	ds_store_b64 v62, v[56:57] offset:512
	ds_store_b64 v63, v[54:55] offset:512
	ds_store_b64 v141, v[52:53] offset:512
	ds_store_b64 v142, v[50:51] offset:512
	ds_store_b64 v143, v[48:49] offset:512
	v_dual_lshlrev_b32 v62, 3, v154 :: v_dual_lshlrev_b32 v63, 3, v153
	v_dual_lshlrev_b32 v141, 3, v152 :: v_dual_lshlrev_b32 v142, 3, v150
	v_lshlrev_b32_e32 v143, 3, v149
	ds_store_b64 v62, v[46:47] offset:512
	ds_store_b64 v63, v[44:45] offset:512
	ds_store_b64 v141, v[42:43] offset:512
	;; [unrolled: 8-line block ×3, first 2 shown]
	ds_store_b64 v65, v[30:31] offset:512
	ds_store_b64 v141, v[28:29] offset:512
	s_wait_dscnt 0x0
	s_barrier_signal -1
	s_barrier_wait -1
	s_and_saveexec_b32 s34, vcc_lo
	s_cbranch_execnz .LBB908_616
; %bb.548:                              ;   in Loop: Header=BB908_410 Depth=2
	s_or_b32 exec_lo, exec_lo, s34
	s_and_saveexec_b32 s34, s17
	s_cbranch_execnz .LBB908_617
.LBB908_549:                            ;   in Loop: Header=BB908_410 Depth=2
	s_or_b32 exec_lo, exec_lo, s34
	s_and_saveexec_b32 s17, s18
	s_cbranch_execnz .LBB908_618
.LBB908_550:                            ;   in Loop: Header=BB908_410 Depth=2
	s_or_b32 exec_lo, exec_lo, s17
	s_and_saveexec_b32 s17, s19
	s_cbranch_execnz .LBB908_619
.LBB908_551:                            ;   in Loop: Header=BB908_410 Depth=2
	s_or_b32 exec_lo, exec_lo, s17
	s_and_saveexec_b32 s17, s20
	s_cbranch_execnz .LBB908_620
.LBB908_552:                            ;   in Loop: Header=BB908_410 Depth=2
	s_or_b32 exec_lo, exec_lo, s17
	s_and_saveexec_b32 s17, s21
	s_cbranch_execnz .LBB908_621
.LBB908_553:                            ;   in Loop: Header=BB908_410 Depth=2
	s_or_b32 exec_lo, exec_lo, s17
	s_and_saveexec_b32 s17, s22
	s_cbranch_execnz .LBB908_622
.LBB908_554:                            ;   in Loop: Header=BB908_410 Depth=2
	s_or_b32 exec_lo, exec_lo, s17
	s_and_saveexec_b32 s17, s23
	s_cbranch_execnz .LBB908_623
.LBB908_555:                            ;   in Loop: Header=BB908_410 Depth=2
	s_or_b32 exec_lo, exec_lo, s17
	s_and_saveexec_b32 s17, s24
	s_cbranch_execnz .LBB908_624
.LBB908_556:                            ;   in Loop: Header=BB908_410 Depth=2
	s_or_b32 exec_lo, exec_lo, s17
	s_and_saveexec_b32 s17, s25
	s_cbranch_execnz .LBB908_625
.LBB908_557:                            ;   in Loop: Header=BB908_410 Depth=2
	s_or_b32 exec_lo, exec_lo, s17
	s_and_saveexec_b32 s17, s26
	s_cbranch_execnz .LBB908_626
.LBB908_558:                            ;   in Loop: Header=BB908_410 Depth=2
	s_or_b32 exec_lo, exec_lo, s17
	s_and_saveexec_b32 s17, s27
	s_cbranch_execnz .LBB908_627
.LBB908_559:                            ;   in Loop: Header=BB908_410 Depth=2
	s_or_b32 exec_lo, exec_lo, s17
	s_and_saveexec_b32 s17, s28
	s_cbranch_execnz .LBB908_628
.LBB908_560:                            ;   in Loop: Header=BB908_410 Depth=2
	s_or_b32 exec_lo, exec_lo, s17
	s_and_saveexec_b32 s17, s29
	s_cbranch_execnz .LBB908_629
.LBB908_561:                            ;   in Loop: Header=BB908_410 Depth=2
	s_or_b32 exec_lo, exec_lo, s17
	s_and_saveexec_b32 s17, s30
	s_cbranch_execnz .LBB908_630
.LBB908_562:                            ;   in Loop: Header=BB908_410 Depth=2
	s_or_b32 exec_lo, exec_lo, s17
	s_and_saveexec_b32 s17, s31
	s_cbranch_execnz .LBB908_631
.LBB908_563:                            ;   in Loop: Header=BB908_410 Depth=2
	s_or_b32 exec_lo, exec_lo, s17
	s_and_saveexec_b32 s17, s33
	s_cbranch_execz .LBB908_565
.LBB908_564:                            ;   in Loop: Header=BB908_410 Depth=2
	v_dual_lshlrev_b32 v62, 2, v122 :: v_dual_add_nc_u32 v63, v94, v95
	ds_load_b32 v64, v62
	ds_load_b64 v[62:63], v63 offset:33280
	s_wait_dscnt 0x1
	v_add_nc_u32_e32 v64, v64, v81
	s_wait_dscnt 0x0
	global_store_b64 v64, v[62:63], s[46:47] scale_offset
.LBB908_565:                            ;   in Loop: Header=BB908_410 Depth=2
	s_wait_xcnt 0x0
	s_or_b32 exec_lo, exec_lo, s17
	s_wait_storecnt 0x0
	s_barrier_signal -1
	s_barrier_wait -1
	s_and_saveexec_b32 s17, s0
	s_cbranch_execz .LBB908_409
; %bb.566:                              ;   in Loop: Header=BB908_410 Depth=2
	ds_load_b32 v62, v3
	s_wait_dscnt 0x0
	v_add3_u32 v62, v137, v140, v62
	ds_store_b32 v3, v62
	s_branch .LBB908_409
.LBB908_567:                            ;   in Loop: Header=BB908_410 Depth=2
	ds_load_u16 v62, v94 offset:512
	s_wait_dscnt 0x0
	v_and_b32_e32 v63, 0xffff, v62
	v_xor_b32_e32 v62, 0x7fff, v62
	s_delay_alu instid0(VALU_DEP_2) | instskip(NEXT) | instid1(VALU_DEP_1)
	v_lshrrev_b32_e32 v63, s43, v63
	v_and_b32_e32 v63, s48, v63
	s_delay_alu instid0(VALU_DEP_1)
	v_lshlrev_b32_e32 v63, 2, v63
	ds_load_b32 v63, v63
	s_wait_dscnt 0x0
	v_add_nc_u32_e32 v63, v63, v2
	global_store_b16 v63, v62, s[40:41] scale_offset
	s_wait_xcnt 0x0
	s_or_b32 exec_lo, exec_lo, s17
	v_cmp_lt_u32_e64 s17, v66, v141
	s_and_saveexec_b32 s18, s17
	s_cbranch_execz .LBB908_496
.LBB908_568:                            ;   in Loop: Header=BB908_410 Depth=2
	ds_load_u16 v62, v94 offset:1024
	s_wait_dscnt 0x0
	v_and_b32_e32 v63, 0xffff, v62
	v_xor_b32_e32 v62, 0x7fff, v62
	s_delay_alu instid0(VALU_DEP_2) | instskip(NEXT) | instid1(VALU_DEP_1)
	v_lshrrev_b32_e32 v63, s43, v63
	v_and_b32_e32 v63, s48, v63
	s_delay_alu instid0(VALU_DEP_1)
	v_lshlrev_b32_e32 v63, 2, v63
	ds_load_b32 v63, v63
	s_wait_dscnt 0x0
	v_add_nc_u32_e32 v63, v63, v66
	global_store_b16 v63, v62, s[40:41] scale_offset
	s_wait_xcnt 0x0
	s_or_b32 exec_lo, exec_lo, s18
	v_cmp_lt_u32_e64 s18, v67, v141
	s_and_saveexec_b32 s19, s18
	s_cbranch_execz .LBB908_497
.LBB908_569:                            ;   in Loop: Header=BB908_410 Depth=2
	ds_load_u16 v62, v94 offset:1536
	s_wait_dscnt 0x0
	v_and_b32_e32 v63, 0xffff, v62
	v_xor_b32_e32 v62, 0x7fff, v62
	s_delay_alu instid0(VALU_DEP_2) | instskip(NEXT) | instid1(VALU_DEP_1)
	v_lshrrev_b32_e32 v63, s43, v63
	v_and_b32_e32 v63, s48, v63
	s_delay_alu instid0(VALU_DEP_1)
	v_lshlrev_b32_e32 v63, 2, v63
	ds_load_b32 v63, v63
	s_wait_dscnt 0x0
	v_add_nc_u32_e32 v63, v63, v67
	global_store_b16 v63, v62, s[40:41] scale_offset
	s_wait_xcnt 0x0
	s_or_b32 exec_lo, exec_lo, s19
	v_cmp_lt_u32_e64 s19, v68, v141
	s_and_saveexec_b32 s20, s19
	s_cbranch_execz .LBB908_498
.LBB908_570:                            ;   in Loop: Header=BB908_410 Depth=2
	ds_load_u16 v62, v94 offset:2048
	s_wait_dscnt 0x0
	v_and_b32_e32 v63, 0xffff, v62
	v_xor_b32_e32 v62, 0x7fff, v62
	s_delay_alu instid0(VALU_DEP_2) | instskip(NEXT) | instid1(VALU_DEP_1)
	v_lshrrev_b32_e32 v63, s43, v63
	v_and_b32_e32 v63, s48, v63
	s_delay_alu instid0(VALU_DEP_1)
	v_lshlrev_b32_e32 v63, 2, v63
	ds_load_b32 v63, v63
	s_wait_dscnt 0x0
	v_add_nc_u32_e32 v63, v63, v68
	global_store_b16 v63, v62, s[40:41] scale_offset
	s_wait_xcnt 0x0
	s_or_b32 exec_lo, exec_lo, s20
	v_cmp_lt_u32_e64 s20, v69, v141
	s_and_saveexec_b32 s21, s20
	s_cbranch_execz .LBB908_499
.LBB908_571:                            ;   in Loop: Header=BB908_410 Depth=2
	ds_load_u16 v62, v94 offset:2560
	s_wait_dscnt 0x0
	v_and_b32_e32 v63, 0xffff, v62
	v_xor_b32_e32 v62, 0x7fff, v62
	s_delay_alu instid0(VALU_DEP_2) | instskip(NEXT) | instid1(VALU_DEP_1)
	v_lshrrev_b32_e32 v63, s43, v63
	v_and_b32_e32 v63, s48, v63
	s_delay_alu instid0(VALU_DEP_1)
	v_lshlrev_b32_e32 v63, 2, v63
	ds_load_b32 v63, v63
	s_wait_dscnt 0x0
	v_add_nc_u32_e32 v63, v63, v69
	global_store_b16 v63, v62, s[40:41] scale_offset
	s_wait_xcnt 0x0
	s_or_b32 exec_lo, exec_lo, s21
	v_cmp_lt_u32_e64 s21, v70, v141
	s_and_saveexec_b32 s22, s21
	s_cbranch_execz .LBB908_500
.LBB908_572:                            ;   in Loop: Header=BB908_410 Depth=2
	ds_load_u16 v62, v94 offset:3072
	s_wait_dscnt 0x0
	v_and_b32_e32 v63, 0xffff, v62
	v_xor_b32_e32 v62, 0x7fff, v62
	s_delay_alu instid0(VALU_DEP_2) | instskip(NEXT) | instid1(VALU_DEP_1)
	v_lshrrev_b32_e32 v63, s43, v63
	v_and_b32_e32 v63, s48, v63
	s_delay_alu instid0(VALU_DEP_1)
	v_lshlrev_b32_e32 v63, 2, v63
	ds_load_b32 v63, v63
	s_wait_dscnt 0x0
	v_add_nc_u32_e32 v63, v63, v70
	global_store_b16 v63, v62, s[40:41] scale_offset
	s_wait_xcnt 0x0
	s_or_b32 exec_lo, exec_lo, s22
	v_cmp_lt_u32_e64 s22, v71, v141
	s_and_saveexec_b32 s23, s22
	s_cbranch_execz .LBB908_501
.LBB908_573:                            ;   in Loop: Header=BB908_410 Depth=2
	ds_load_u16 v62, v94 offset:3584
	s_wait_dscnt 0x0
	v_and_b32_e32 v63, 0xffff, v62
	v_xor_b32_e32 v62, 0x7fff, v62
	s_delay_alu instid0(VALU_DEP_2) | instskip(NEXT) | instid1(VALU_DEP_1)
	v_lshrrev_b32_e32 v63, s43, v63
	v_and_b32_e32 v63, s48, v63
	s_delay_alu instid0(VALU_DEP_1)
	v_lshlrev_b32_e32 v63, 2, v63
	ds_load_b32 v63, v63
	s_wait_dscnt 0x0
	v_add_nc_u32_e32 v63, v63, v71
	global_store_b16 v63, v62, s[40:41] scale_offset
	s_wait_xcnt 0x0
	s_or_b32 exec_lo, exec_lo, s23
	v_cmp_lt_u32_e64 s23, v72, v141
	s_and_saveexec_b32 s24, s23
	s_cbranch_execz .LBB908_502
.LBB908_574:                            ;   in Loop: Header=BB908_410 Depth=2
	ds_load_u16 v62, v94 offset:4096
	s_wait_dscnt 0x0
	v_and_b32_e32 v63, 0xffff, v62
	v_xor_b32_e32 v62, 0x7fff, v62
	s_delay_alu instid0(VALU_DEP_2) | instskip(NEXT) | instid1(VALU_DEP_1)
	v_lshrrev_b32_e32 v63, s43, v63
	v_and_b32_e32 v63, s48, v63
	s_delay_alu instid0(VALU_DEP_1)
	v_lshlrev_b32_e32 v63, 2, v63
	ds_load_b32 v63, v63
	s_wait_dscnt 0x0
	v_add_nc_u32_e32 v63, v63, v72
	global_store_b16 v63, v62, s[40:41] scale_offset
	s_wait_xcnt 0x0
	s_or_b32 exec_lo, exec_lo, s24
	v_cmp_lt_u32_e64 s24, v73, v141
	s_and_saveexec_b32 s25, s24
	s_cbranch_execz .LBB908_503
.LBB908_575:                            ;   in Loop: Header=BB908_410 Depth=2
	ds_load_u16 v62, v94 offset:4608
	s_wait_dscnt 0x0
	v_and_b32_e32 v63, 0xffff, v62
	v_xor_b32_e32 v62, 0x7fff, v62
	s_delay_alu instid0(VALU_DEP_2) | instskip(NEXT) | instid1(VALU_DEP_1)
	v_lshrrev_b32_e32 v63, s43, v63
	v_and_b32_e32 v63, s48, v63
	s_delay_alu instid0(VALU_DEP_1)
	v_lshlrev_b32_e32 v63, 2, v63
	ds_load_b32 v63, v63
	s_wait_dscnt 0x0
	v_add_nc_u32_e32 v63, v63, v73
	global_store_b16 v63, v62, s[40:41] scale_offset
	s_wait_xcnt 0x0
	s_or_b32 exec_lo, exec_lo, s25
	v_cmp_lt_u32_e64 s25, v74, v141
	s_and_saveexec_b32 s26, s25
	s_cbranch_execz .LBB908_504
.LBB908_576:                            ;   in Loop: Header=BB908_410 Depth=2
	ds_load_u16 v62, v94 offset:5120
	s_wait_dscnt 0x0
	v_and_b32_e32 v63, 0xffff, v62
	v_xor_b32_e32 v62, 0x7fff, v62
	s_delay_alu instid0(VALU_DEP_2) | instskip(NEXT) | instid1(VALU_DEP_1)
	v_lshrrev_b32_e32 v63, s43, v63
	v_and_b32_e32 v63, s48, v63
	s_delay_alu instid0(VALU_DEP_1)
	v_lshlrev_b32_e32 v63, 2, v63
	ds_load_b32 v63, v63
	s_wait_dscnt 0x0
	v_add_nc_u32_e32 v63, v63, v74
	global_store_b16 v63, v62, s[40:41] scale_offset
	s_wait_xcnt 0x0
	s_or_b32 exec_lo, exec_lo, s26
	v_cmp_lt_u32_e64 s26, v75, v141
	s_and_saveexec_b32 s27, s26
	s_cbranch_execz .LBB908_505
.LBB908_577:                            ;   in Loop: Header=BB908_410 Depth=2
	ds_load_u16 v62, v94 offset:5632
	s_wait_dscnt 0x0
	v_and_b32_e32 v63, 0xffff, v62
	v_xor_b32_e32 v62, 0x7fff, v62
	s_delay_alu instid0(VALU_DEP_2) | instskip(NEXT) | instid1(VALU_DEP_1)
	v_lshrrev_b32_e32 v63, s43, v63
	v_and_b32_e32 v63, s48, v63
	s_delay_alu instid0(VALU_DEP_1)
	v_lshlrev_b32_e32 v63, 2, v63
	ds_load_b32 v63, v63
	s_wait_dscnt 0x0
	v_add_nc_u32_e32 v63, v63, v75
	global_store_b16 v63, v62, s[40:41] scale_offset
	s_wait_xcnt 0x0
	s_or_b32 exec_lo, exec_lo, s27
	v_cmp_lt_u32_e64 s27, v76, v141
	s_and_saveexec_b32 s28, s27
	s_cbranch_execz .LBB908_506
.LBB908_578:                            ;   in Loop: Header=BB908_410 Depth=2
	ds_load_u16 v62, v94 offset:6144
	s_wait_dscnt 0x0
	v_and_b32_e32 v63, 0xffff, v62
	v_xor_b32_e32 v62, 0x7fff, v62
	s_delay_alu instid0(VALU_DEP_2) | instskip(NEXT) | instid1(VALU_DEP_1)
	v_lshrrev_b32_e32 v63, s43, v63
	v_and_b32_e32 v63, s48, v63
	s_delay_alu instid0(VALU_DEP_1)
	v_lshlrev_b32_e32 v63, 2, v63
	ds_load_b32 v63, v63
	s_wait_dscnt 0x0
	v_add_nc_u32_e32 v63, v63, v76
	global_store_b16 v63, v62, s[40:41] scale_offset
	s_wait_xcnt 0x0
	s_or_b32 exec_lo, exec_lo, s28
	v_cmp_lt_u32_e64 s28, v77, v141
	s_and_saveexec_b32 s29, s28
	s_cbranch_execz .LBB908_507
.LBB908_579:                            ;   in Loop: Header=BB908_410 Depth=2
	ds_load_u16 v62, v94 offset:6656
	s_wait_dscnt 0x0
	v_and_b32_e32 v63, 0xffff, v62
	v_xor_b32_e32 v62, 0x7fff, v62
	s_delay_alu instid0(VALU_DEP_2) | instskip(NEXT) | instid1(VALU_DEP_1)
	v_lshrrev_b32_e32 v63, s43, v63
	v_and_b32_e32 v63, s48, v63
	s_delay_alu instid0(VALU_DEP_1)
	v_lshlrev_b32_e32 v63, 2, v63
	ds_load_b32 v63, v63
	s_wait_dscnt 0x0
	v_add_nc_u32_e32 v63, v63, v77
	global_store_b16 v63, v62, s[40:41] scale_offset
	s_wait_xcnt 0x0
	s_or_b32 exec_lo, exec_lo, s29
	v_cmp_lt_u32_e64 s29, v78, v141
	s_and_saveexec_b32 s30, s29
	s_cbranch_execz .LBB908_508
.LBB908_580:                            ;   in Loop: Header=BB908_410 Depth=2
	ds_load_u16 v62, v94 offset:7168
	s_wait_dscnt 0x0
	v_and_b32_e32 v63, 0xffff, v62
	v_xor_b32_e32 v62, 0x7fff, v62
	s_delay_alu instid0(VALU_DEP_2) | instskip(NEXT) | instid1(VALU_DEP_1)
	v_lshrrev_b32_e32 v63, s43, v63
	v_and_b32_e32 v63, s48, v63
	s_delay_alu instid0(VALU_DEP_1)
	v_lshlrev_b32_e32 v63, 2, v63
	ds_load_b32 v63, v63
	s_wait_dscnt 0x0
	v_add_nc_u32_e32 v63, v63, v78
	global_store_b16 v63, v62, s[40:41] scale_offset
	s_wait_xcnt 0x0
	s_or_b32 exec_lo, exec_lo, s30
	v_cmp_lt_u32_e64 s30, v79, v141
	s_and_saveexec_b32 s31, s30
	s_cbranch_execz .LBB908_509
.LBB908_581:                            ;   in Loop: Header=BB908_410 Depth=2
	ds_load_u16 v62, v94 offset:7680
	s_wait_dscnt 0x0
	v_and_b32_e32 v63, 0xffff, v62
	v_xor_b32_e32 v62, 0x7fff, v62
	s_delay_alu instid0(VALU_DEP_2) | instskip(NEXT) | instid1(VALU_DEP_1)
	v_lshrrev_b32_e32 v63, s43, v63
	v_and_b32_e32 v63, s48, v63
	s_delay_alu instid0(VALU_DEP_1)
	v_lshlrev_b32_e32 v63, 2, v63
	ds_load_b32 v63, v63
	s_wait_dscnt 0x0
	v_add_nc_u32_e32 v63, v63, v79
	global_store_b16 v63, v62, s[40:41] scale_offset
	s_wait_xcnt 0x0
	s_or_b32 exec_lo, exec_lo, s31
	v_cmp_lt_u32_e64 s31, v80, v141
	s_and_saveexec_b32 s33, s31
	s_cbranch_execz .LBB908_510
.LBB908_582:                            ;   in Loop: Header=BB908_410 Depth=2
	ds_load_u16 v62, v94 offset:8192
	s_wait_dscnt 0x0
	v_and_b32_e32 v63, 0xffff, v62
	v_xor_b32_e32 v62, 0x7fff, v62
	s_delay_alu instid0(VALU_DEP_2) | instskip(NEXT) | instid1(VALU_DEP_1)
	v_lshrrev_b32_e32 v63, s43, v63
	v_and_b32_e32 v63, s48, v63
	s_delay_alu instid0(VALU_DEP_1)
	v_lshlrev_b32_e32 v63, 2, v63
	ds_load_b32 v63, v63
	s_wait_dscnt 0x0
	v_add_nc_u32_e32 v63, v63, v80
	global_store_b16 v63, v62, s[40:41] scale_offset
	s_wait_xcnt 0x0
	s_or_b32 exec_lo, exec_lo, s33
	v_cmp_lt_u32_e64 s33, v81, v141
	s_and_saveexec_b32 s60, s33
	s_cbranch_execnz .LBB908_511
	s_branch .LBB908_512
.LBB908_583:                            ;   in Loop: Header=BB908_410 Depth=2
	global_load_b64 v[60:61], v[62:63], off
	s_wait_xcnt 0x0
	s_or_b32 exec_lo, exec_lo, s34
	s_delay_alu instid0(SALU_CYCLE_1)
	s_mov_b32 s60, exec_lo
	v_cmpx_lt_u32_e64 v105, v141
	s_cbranch_execz .LBB908_514
.LBB908_584:                            ;   in Loop: Header=BB908_410 Depth=2
	global_load_b64 v[58:59], v[62:63], off offset:256
	s_wait_xcnt 0x0
	s_or_b32 exec_lo, exec_lo, s60
	s_delay_alu instid0(SALU_CYCLE_1)
	s_mov_b32 s60, exec_lo
	v_cmpx_lt_u32_e64 v106, v141
	s_cbranch_execz .LBB908_515
.LBB908_585:                            ;   in Loop: Header=BB908_410 Depth=2
	global_load_b64 v[56:57], v[62:63], off offset:512
	s_wait_xcnt 0x0
	s_or_b32 exec_lo, exec_lo, s60
	s_delay_alu instid0(SALU_CYCLE_1)
	s_mov_b32 s60, exec_lo
	v_cmpx_lt_u32_e64 v107, v141
	s_cbranch_execz .LBB908_516
.LBB908_586:                            ;   in Loop: Header=BB908_410 Depth=2
	global_load_b64 v[54:55], v[62:63], off offset:768
	s_wait_xcnt 0x0
	s_or_b32 exec_lo, exec_lo, s60
	s_delay_alu instid0(SALU_CYCLE_1)
	s_mov_b32 s60, exec_lo
	v_cmpx_lt_u32_e64 v108, v141
	s_cbranch_execz .LBB908_517
.LBB908_587:                            ;   in Loop: Header=BB908_410 Depth=2
	global_load_b64 v[52:53], v[62:63], off offset:1024
	s_wait_xcnt 0x0
	s_or_b32 exec_lo, exec_lo, s60
	s_delay_alu instid0(SALU_CYCLE_1)
	s_mov_b32 s60, exec_lo
	v_cmpx_lt_u32_e64 v109, v141
	s_cbranch_execz .LBB908_518
.LBB908_588:                            ;   in Loop: Header=BB908_410 Depth=2
	global_load_b64 v[50:51], v[62:63], off offset:1280
	s_wait_xcnt 0x0
	s_or_b32 exec_lo, exec_lo, s60
	s_delay_alu instid0(SALU_CYCLE_1)
	s_mov_b32 s60, exec_lo
	v_cmpx_lt_u32_e64 v110, v141
	s_cbranch_execz .LBB908_519
.LBB908_589:                            ;   in Loop: Header=BB908_410 Depth=2
	global_load_b64 v[48:49], v[62:63], off offset:1536
	s_wait_xcnt 0x0
	s_or_b32 exec_lo, exec_lo, s60
	s_delay_alu instid0(SALU_CYCLE_1)
	s_mov_b32 s60, exec_lo
	v_cmpx_lt_u32_e64 v111, v141
	s_cbranch_execz .LBB908_520
.LBB908_590:                            ;   in Loop: Header=BB908_410 Depth=2
	global_load_b64 v[46:47], v[62:63], off offset:1792
	s_wait_xcnt 0x0
	s_or_b32 exec_lo, exec_lo, s60
	s_delay_alu instid0(SALU_CYCLE_1)
	s_mov_b32 s60, exec_lo
	v_cmpx_lt_u32_e64 v112, v141
	s_cbranch_execz .LBB908_521
.LBB908_591:                            ;   in Loop: Header=BB908_410 Depth=2
	global_load_b64 v[44:45], v[62:63], off offset:2048
	s_wait_xcnt 0x0
	s_or_b32 exec_lo, exec_lo, s60
	s_delay_alu instid0(SALU_CYCLE_1)
	s_mov_b32 s60, exec_lo
	v_cmpx_lt_u32_e64 v113, v141
	s_cbranch_execz .LBB908_522
.LBB908_592:                            ;   in Loop: Header=BB908_410 Depth=2
	global_load_b64 v[42:43], v[62:63], off offset:2304
	s_wait_xcnt 0x0
	s_or_b32 exec_lo, exec_lo, s60
	s_delay_alu instid0(SALU_CYCLE_1)
	s_mov_b32 s60, exec_lo
	v_cmpx_lt_u32_e64 v114, v141
	s_cbranch_execz .LBB908_523
.LBB908_593:                            ;   in Loop: Header=BB908_410 Depth=2
	global_load_b64 v[40:41], v[62:63], off offset:2560
	s_wait_xcnt 0x0
	s_or_b32 exec_lo, exec_lo, s60
	s_delay_alu instid0(SALU_CYCLE_1)
	s_mov_b32 s60, exec_lo
	v_cmpx_lt_u32_e64 v115, v141
	s_cbranch_execz .LBB908_524
.LBB908_594:                            ;   in Loop: Header=BB908_410 Depth=2
	global_load_b64 v[38:39], v[62:63], off offset:2816
	s_wait_xcnt 0x0
	s_or_b32 exec_lo, exec_lo, s60
	s_delay_alu instid0(SALU_CYCLE_1)
	s_mov_b32 s60, exec_lo
	v_cmpx_lt_u32_e64 v116, v141
	s_cbranch_execz .LBB908_525
.LBB908_595:                            ;   in Loop: Header=BB908_410 Depth=2
	global_load_b64 v[36:37], v[62:63], off offset:3072
	s_wait_xcnt 0x0
	s_or_b32 exec_lo, exec_lo, s60
	s_delay_alu instid0(SALU_CYCLE_1)
	s_mov_b32 s60, exec_lo
	v_cmpx_lt_u32_e64 v117, v141
	s_cbranch_execz .LBB908_526
.LBB908_596:                            ;   in Loop: Header=BB908_410 Depth=2
	global_load_b64 v[34:35], v[62:63], off offset:3328
	s_wait_xcnt 0x0
	s_or_b32 exec_lo, exec_lo, s60
	s_delay_alu instid0(SALU_CYCLE_1)
	s_mov_b32 s60, exec_lo
	v_cmpx_lt_u32_e64 v118, v141
	s_cbranch_execz .LBB908_527
.LBB908_597:                            ;   in Loop: Header=BB908_410 Depth=2
	global_load_b64 v[32:33], v[62:63], off offset:3584
	s_wait_xcnt 0x0
	s_or_b32 exec_lo, exec_lo, s60
	s_delay_alu instid0(SALU_CYCLE_1)
	s_mov_b32 s60, exec_lo
	v_cmpx_lt_u32_e64 v119, v141
	s_cbranch_execz .LBB908_528
.LBB908_598:                            ;   in Loop: Header=BB908_410 Depth=2
	global_load_b64 v[30:31], v[62:63], off offset:3840
	s_wait_xcnt 0x0
	s_or_b32 exec_lo, exec_lo, s60
	s_delay_alu instid0(SALU_CYCLE_1)
	s_mov_b32 s60, exec_lo
	v_cmpx_lt_u32_e64 v120, v141
	s_cbranch_execz .LBB908_529
.LBB908_599:                            ;   in Loop: Header=BB908_410 Depth=2
	global_load_b64 v[28:29], v[62:63], off offset:4096
	s_wait_xcnt 0x0
	s_or_b32 exec_lo, exec_lo, s60
	s_and_saveexec_b32 s34, vcc_lo
	s_cbranch_execz .LBB908_530
.LBB908_600:                            ;   in Loop: Header=BB908_410 Depth=2
	ds_load_u16 v62, v94 offset:512
	s_wait_dscnt 0x0
	v_lshrrev_b32_e32 v62, s43, v62
	s_delay_alu instid0(VALU_DEP_1)
	v_and_b32_e32 v139, s48, v62
	s_or_b32 exec_lo, exec_lo, s34
	s_and_saveexec_b32 s34, s17
	s_cbranch_execz .LBB908_531
.LBB908_601:                            ;   in Loop: Header=BB908_410 Depth=2
	ds_load_u16 v62, v94 offset:1024
	s_wait_dscnt 0x0
	v_lshrrev_b32_e32 v62, s43, v62
	s_delay_alu instid0(VALU_DEP_1)
	v_and_b32_e32 v138, s48, v62
	s_or_b32 exec_lo, exec_lo, s34
	s_and_saveexec_b32 s34, s18
	s_cbranch_execz .LBB908_532
.LBB908_602:                            ;   in Loop: Header=BB908_410 Depth=2
	ds_load_u16 v62, v94 offset:1536
	s_wait_dscnt 0x0
	v_lshrrev_b32_e32 v62, s43, v62
	s_delay_alu instid0(VALU_DEP_1)
	v_and_b32_e32 v136, s48, v62
	s_or_b32 exec_lo, exec_lo, s34
	s_and_saveexec_b32 s34, s19
	s_cbranch_execz .LBB908_533
.LBB908_603:                            ;   in Loop: Header=BB908_410 Depth=2
	ds_load_u16 v62, v94 offset:2048
	s_wait_dscnt 0x0
	v_lshrrev_b32_e32 v62, s43, v62
	s_delay_alu instid0(VALU_DEP_1)
	v_and_b32_e32 v135, s48, v62
	s_or_b32 exec_lo, exec_lo, s34
	s_and_saveexec_b32 s34, s20
	s_cbranch_execz .LBB908_534
.LBB908_604:                            ;   in Loop: Header=BB908_410 Depth=2
	ds_load_u16 v62, v94 offset:2560
	s_wait_dscnt 0x0
	v_lshrrev_b32_e32 v62, s43, v62
	s_delay_alu instid0(VALU_DEP_1)
	v_and_b32_e32 v134, s48, v62
	s_or_b32 exec_lo, exec_lo, s34
	s_and_saveexec_b32 s34, s21
	s_cbranch_execz .LBB908_535
.LBB908_605:                            ;   in Loop: Header=BB908_410 Depth=2
	ds_load_u16 v62, v94 offset:3072
	s_wait_dscnt 0x0
	v_lshrrev_b32_e32 v62, s43, v62
	s_delay_alu instid0(VALU_DEP_1)
	v_and_b32_e32 v133, s48, v62
	s_or_b32 exec_lo, exec_lo, s34
	s_and_saveexec_b32 s34, s22
	s_cbranch_execz .LBB908_536
.LBB908_606:                            ;   in Loop: Header=BB908_410 Depth=2
	ds_load_u16 v62, v94 offset:3584
	s_wait_dscnt 0x0
	v_lshrrev_b32_e32 v62, s43, v62
	s_delay_alu instid0(VALU_DEP_1)
	v_and_b32_e32 v132, s48, v62
	s_or_b32 exec_lo, exec_lo, s34
	s_and_saveexec_b32 s34, s23
	s_cbranch_execz .LBB908_537
.LBB908_607:                            ;   in Loop: Header=BB908_410 Depth=2
	ds_load_u16 v62, v94 offset:4096
	s_wait_dscnt 0x0
	v_lshrrev_b32_e32 v62, s43, v62
	s_delay_alu instid0(VALU_DEP_1)
	v_and_b32_e32 v131, s48, v62
	s_or_b32 exec_lo, exec_lo, s34
	s_and_saveexec_b32 s34, s24
	s_cbranch_execz .LBB908_538
.LBB908_608:                            ;   in Loop: Header=BB908_410 Depth=2
	ds_load_u16 v62, v94 offset:4608
	s_wait_dscnt 0x0
	v_lshrrev_b32_e32 v62, s43, v62
	s_delay_alu instid0(VALU_DEP_1)
	v_and_b32_e32 v130, s48, v62
	s_or_b32 exec_lo, exec_lo, s34
	s_and_saveexec_b32 s34, s25
	s_cbranch_execz .LBB908_539
.LBB908_609:                            ;   in Loop: Header=BB908_410 Depth=2
	ds_load_u16 v62, v94 offset:5120
	s_wait_dscnt 0x0
	v_lshrrev_b32_e32 v62, s43, v62
	s_delay_alu instid0(VALU_DEP_1)
	v_and_b32_e32 v129, s48, v62
	s_or_b32 exec_lo, exec_lo, s34
	s_and_saveexec_b32 s34, s26
	s_cbranch_execz .LBB908_540
.LBB908_610:                            ;   in Loop: Header=BB908_410 Depth=2
	ds_load_u16 v62, v94 offset:5632
	s_wait_dscnt 0x0
	v_lshrrev_b32_e32 v62, s43, v62
	s_delay_alu instid0(VALU_DEP_1)
	v_and_b32_e32 v128, s48, v62
	s_or_b32 exec_lo, exec_lo, s34
	s_and_saveexec_b32 s34, s27
	s_cbranch_execz .LBB908_541
.LBB908_611:                            ;   in Loop: Header=BB908_410 Depth=2
	ds_load_u16 v62, v94 offset:6144
	s_wait_dscnt 0x0
	v_lshrrev_b32_e32 v62, s43, v62
	s_delay_alu instid0(VALU_DEP_1)
	v_and_b32_e32 v127, s48, v62
	s_or_b32 exec_lo, exec_lo, s34
	s_and_saveexec_b32 s34, s28
	s_cbranch_execz .LBB908_542
.LBB908_612:                            ;   in Loop: Header=BB908_410 Depth=2
	ds_load_u16 v62, v94 offset:6656
	s_wait_dscnt 0x0
	v_lshrrev_b32_e32 v62, s43, v62
	s_delay_alu instid0(VALU_DEP_1)
	v_and_b32_e32 v126, s48, v62
	s_or_b32 exec_lo, exec_lo, s34
	s_and_saveexec_b32 s34, s29
	s_cbranch_execz .LBB908_543
.LBB908_613:                            ;   in Loop: Header=BB908_410 Depth=2
	ds_load_u16 v62, v94 offset:7168
	s_wait_dscnt 0x0
	v_lshrrev_b32_e32 v62, s43, v62
	s_delay_alu instid0(VALU_DEP_1)
	v_and_b32_e32 v125, s48, v62
	s_or_b32 exec_lo, exec_lo, s34
	s_and_saveexec_b32 s34, s30
	s_cbranch_execz .LBB908_544
.LBB908_614:                            ;   in Loop: Header=BB908_410 Depth=2
	ds_load_u16 v62, v94 offset:7680
	s_wait_dscnt 0x0
	v_lshrrev_b32_e32 v62, s43, v62
	s_delay_alu instid0(VALU_DEP_1)
	v_and_b32_e32 v124, s48, v62
	s_or_b32 exec_lo, exec_lo, s34
	s_and_saveexec_b32 s34, s31
	s_cbranch_execz .LBB908_545
.LBB908_615:                            ;   in Loop: Header=BB908_410 Depth=2
	ds_load_u16 v62, v94 offset:8192
	s_wait_dscnt 0x0
	v_lshrrev_b32_e32 v62, s43, v62
	s_delay_alu instid0(VALU_DEP_1)
	v_and_b32_e32 v123, s48, v62
	s_or_b32 exec_lo, exec_lo, s34
	s_and_saveexec_b32 s34, s33
	s_cbranch_execnz .LBB908_546
	s_branch .LBB908_547
.LBB908_616:                            ;   in Loop: Header=BB908_410 Depth=2
	v_lshlrev_b32_e32 v62, 2, v139
	v_add_nc_u32_e32 v63, v94, v95
	ds_load_b32 v64, v62
	ds_load_b64 v[62:63], v63 offset:512
	s_wait_dscnt 0x1
	v_add_nc_u32_e32 v64, v64, v2
	s_wait_dscnt 0x0
	global_store_b64 v64, v[62:63], s[46:47] scale_offset
	s_wait_xcnt 0x0
	s_or_b32 exec_lo, exec_lo, s34
	s_and_saveexec_b32 s34, s17
	s_cbranch_execz .LBB908_549
.LBB908_617:                            ;   in Loop: Header=BB908_410 Depth=2
	v_dual_lshlrev_b32 v62, 2, v138 :: v_dual_add_nc_u32 v63, v94, v95
	ds_load_b32 v64, v62
	ds_load_b64 v[62:63], v63 offset:2560
	s_wait_dscnt 0x1
	v_add_nc_u32_e32 v64, v64, v66
	s_wait_dscnt 0x0
	global_store_b64 v64, v[62:63], s[46:47] scale_offset
	s_wait_xcnt 0x0
	s_or_b32 exec_lo, exec_lo, s34
	s_and_saveexec_b32 s17, s18
	s_cbranch_execz .LBB908_550
.LBB908_618:                            ;   in Loop: Header=BB908_410 Depth=2
	v_dual_lshlrev_b32 v62, 2, v136 :: v_dual_add_nc_u32 v63, v94, v95
	ds_load_b32 v64, v62
	ds_load_b64 v[62:63], v63 offset:4608
	s_wait_dscnt 0x1
	v_add_nc_u32_e32 v64, v64, v67
	s_wait_dscnt 0x0
	global_store_b64 v64, v[62:63], s[46:47] scale_offset
	s_wait_xcnt 0x0
	s_or_b32 exec_lo, exec_lo, s17
	s_and_saveexec_b32 s17, s19
	s_cbranch_execz .LBB908_551
.LBB908_619:                            ;   in Loop: Header=BB908_410 Depth=2
	v_lshlrev_b32_e32 v62, 2, v135
	v_add_nc_u32_e32 v63, v94, v95
	ds_load_b32 v64, v62
	ds_load_b64 v[62:63], v63 offset:6656
	s_wait_dscnt 0x1
	v_add_nc_u32_e32 v64, v64, v68
	s_wait_dscnt 0x0
	global_store_b64 v64, v[62:63], s[46:47] scale_offset
	s_wait_xcnt 0x0
	s_or_b32 exec_lo, exec_lo, s17
	s_and_saveexec_b32 s17, s20
	s_cbranch_execz .LBB908_552
.LBB908_620:                            ;   in Loop: Header=BB908_410 Depth=2
	v_dual_lshlrev_b32 v62, 2, v134 :: v_dual_add_nc_u32 v63, v94, v95
	ds_load_b32 v64, v62
	ds_load_b64 v[62:63], v63 offset:8704
	s_wait_dscnt 0x1
	v_add_nc_u32_e32 v64, v64, v69
	s_wait_dscnt 0x0
	global_store_b64 v64, v[62:63], s[46:47] scale_offset
	s_wait_xcnt 0x0
	s_or_b32 exec_lo, exec_lo, s17
	s_and_saveexec_b32 s17, s21
	s_cbranch_execz .LBB908_553
.LBB908_621:                            ;   in Loop: Header=BB908_410 Depth=2
	v_dual_lshlrev_b32 v62, 2, v133 :: v_dual_add_nc_u32 v63, v94, v95
	ds_load_b32 v64, v62
	ds_load_b64 v[62:63], v63 offset:10752
	s_wait_dscnt 0x1
	v_add_nc_u32_e32 v64, v64, v70
	s_wait_dscnt 0x0
	global_store_b64 v64, v[62:63], s[46:47] scale_offset
	s_wait_xcnt 0x0
	s_or_b32 exec_lo, exec_lo, s17
	s_and_saveexec_b32 s17, s22
	s_cbranch_execz .LBB908_554
.LBB908_622:                            ;   in Loop: Header=BB908_410 Depth=2
	v_dual_lshlrev_b32 v62, 2, v132 :: v_dual_add_nc_u32 v63, v94, v95
	ds_load_b32 v64, v62
	ds_load_b64 v[62:63], v63 offset:12800
	s_wait_dscnt 0x1
	v_add_nc_u32_e32 v64, v64, v71
	s_wait_dscnt 0x0
	global_store_b64 v64, v[62:63], s[46:47] scale_offset
	s_wait_xcnt 0x0
	s_or_b32 exec_lo, exec_lo, s17
	s_and_saveexec_b32 s17, s23
	s_cbranch_execz .LBB908_555
.LBB908_623:                            ;   in Loop: Header=BB908_410 Depth=2
	v_lshlrev_b32_e32 v62, 2, v131
	v_add_nc_u32_e32 v63, v94, v95
	ds_load_b32 v64, v62
	ds_load_b64 v[62:63], v63 offset:14848
	s_wait_dscnt 0x1
	v_add_nc_u32_e32 v64, v64, v72
	s_wait_dscnt 0x0
	global_store_b64 v64, v[62:63], s[46:47] scale_offset
	s_wait_xcnt 0x0
	s_or_b32 exec_lo, exec_lo, s17
	s_and_saveexec_b32 s17, s24
	s_cbranch_execz .LBB908_556
.LBB908_624:                            ;   in Loop: Header=BB908_410 Depth=2
	v_dual_lshlrev_b32 v62, 2, v130 :: v_dual_add_nc_u32 v63, v94, v95
	ds_load_b32 v64, v62
	ds_load_b64 v[62:63], v63 offset:16896
	s_wait_dscnt 0x1
	v_add_nc_u32_e32 v64, v64, v73
	s_wait_dscnt 0x0
	global_store_b64 v64, v[62:63], s[46:47] scale_offset
	s_wait_xcnt 0x0
	s_or_b32 exec_lo, exec_lo, s17
	s_and_saveexec_b32 s17, s25
	s_cbranch_execz .LBB908_557
.LBB908_625:                            ;   in Loop: Header=BB908_410 Depth=2
	v_dual_lshlrev_b32 v62, 2, v129 :: v_dual_add_nc_u32 v63, v94, v95
	ds_load_b32 v64, v62
	ds_load_b64 v[62:63], v63 offset:18944
	s_wait_dscnt 0x1
	v_add_nc_u32_e32 v64, v64, v74
	s_wait_dscnt 0x0
	global_store_b64 v64, v[62:63], s[46:47] scale_offset
	s_wait_xcnt 0x0
	s_or_b32 exec_lo, exec_lo, s17
	s_and_saveexec_b32 s17, s26
	s_cbranch_execz .LBB908_558
.LBB908_626:                            ;   in Loop: Header=BB908_410 Depth=2
	v_dual_lshlrev_b32 v62, 2, v128 :: v_dual_add_nc_u32 v63, v94, v95
	ds_load_b32 v64, v62
	ds_load_b64 v[62:63], v63 offset:20992
	s_wait_dscnt 0x1
	v_add_nc_u32_e32 v64, v64, v75
	s_wait_dscnt 0x0
	global_store_b64 v64, v[62:63], s[46:47] scale_offset
	s_wait_xcnt 0x0
	s_or_b32 exec_lo, exec_lo, s17
	s_and_saveexec_b32 s17, s27
	s_cbranch_execz .LBB908_559
.LBB908_627:                            ;   in Loop: Header=BB908_410 Depth=2
	v_lshlrev_b32_e32 v62, 2, v127
	v_add_nc_u32_e32 v63, v94, v95
	ds_load_b32 v64, v62
	ds_load_b64 v[62:63], v63 offset:23040
	s_wait_dscnt 0x1
	v_add_nc_u32_e32 v64, v64, v76
	s_wait_dscnt 0x0
	global_store_b64 v64, v[62:63], s[46:47] scale_offset
	s_wait_xcnt 0x0
	s_or_b32 exec_lo, exec_lo, s17
	s_and_saveexec_b32 s17, s28
	s_cbranch_execz .LBB908_560
.LBB908_628:                            ;   in Loop: Header=BB908_410 Depth=2
	v_dual_lshlrev_b32 v62, 2, v126 :: v_dual_add_nc_u32 v63, v94, v95
	ds_load_b32 v64, v62
	ds_load_b64 v[62:63], v63 offset:25088
	s_wait_dscnt 0x1
	v_add_nc_u32_e32 v64, v64, v77
	s_wait_dscnt 0x0
	global_store_b64 v64, v[62:63], s[46:47] scale_offset
	s_wait_xcnt 0x0
	s_or_b32 exec_lo, exec_lo, s17
	s_and_saveexec_b32 s17, s29
	s_cbranch_execz .LBB908_561
.LBB908_629:                            ;   in Loop: Header=BB908_410 Depth=2
	v_dual_lshlrev_b32 v62, 2, v125 :: v_dual_add_nc_u32 v63, v94, v95
	ds_load_b32 v64, v62
	ds_load_b64 v[62:63], v63 offset:27136
	s_wait_dscnt 0x1
	v_add_nc_u32_e32 v64, v64, v78
	s_wait_dscnt 0x0
	global_store_b64 v64, v[62:63], s[46:47] scale_offset
	s_wait_xcnt 0x0
	s_or_b32 exec_lo, exec_lo, s17
	s_and_saveexec_b32 s17, s30
	s_cbranch_execz .LBB908_562
.LBB908_630:                            ;   in Loop: Header=BB908_410 Depth=2
	v_dual_lshlrev_b32 v62, 2, v124 :: v_dual_add_nc_u32 v63, v94, v95
	ds_load_b32 v64, v62
	ds_load_b64 v[62:63], v63 offset:29184
	s_wait_dscnt 0x1
	v_add_nc_u32_e32 v64, v64, v79
	s_wait_dscnt 0x0
	global_store_b64 v64, v[62:63], s[46:47] scale_offset
	s_wait_xcnt 0x0
	s_or_b32 exec_lo, exec_lo, s17
	s_and_saveexec_b32 s17, s31
	s_cbranch_execz .LBB908_563
.LBB908_631:                            ;   in Loop: Header=BB908_410 Depth=2
	v_lshlrev_b32_e32 v62, 2, v123
	v_add_nc_u32_e32 v63, v94, v95
	ds_load_b32 v64, v62
	ds_load_b64 v[62:63], v63 offset:31232
	s_wait_dscnt 0x1
	v_add_nc_u32_e32 v64, v64, v80
	s_wait_dscnt 0x0
	global_store_b64 v64, v[62:63], s[46:47] scale_offset
	s_wait_xcnt 0x0
	s_or_b32 exec_lo, exec_lo, s17
	s_and_saveexec_b32 s17, s33
	s_cbranch_execnz .LBB908_564
	s_branch .LBB908_565
.LBB908_632:                            ;   in Loop: Header=BB908_12 Depth=1
	s_wait_dscnt 0x0
	s_barrier_signal -1
	s_barrier_wait -1
.LBB908_633:                            ;   in Loop: Header=BB908_12 Depth=1
	s_mov_b32 s9, 0
.LBB908_634:                            ;   in Loop: Header=BB908_12 Depth=1
	s_delay_alu instid0(SALU_CYCLE_1)
	s_and_not1_b32 vcc_lo, exec_lo, s9
	s_cbranch_vccnz .LBB908_11
; %bb.635:                              ;   in Loop: Header=BB908_12 Depth=1
	s_and_b32 vcc_lo, exec_lo, s56
	s_mov_b32 s9, -1
	s_cbranch_vccz .LBB908_945
; %bb.636:                              ;   in Loop: Header=BB908_12 Depth=1
	s_mov_b32 s9, s57
	s_mov_b32 s34, s55
	s_barrier_signal -1
	s_barrier_wait -1
                                        ; implicit-def: $vgpr23
                                        ; implicit-def: $vgpr24
                                        ; implicit-def: $vgpr25
                                        ; implicit-def: $vgpr26
                                        ; implicit-def: $vgpr27
                                        ; implicit-def: $vgpr28
                                        ; implicit-def: $vgpr29
                                        ; implicit-def: $vgpr30
                                        ; implicit-def: $vgpr31
                                        ; implicit-def: $vgpr32
                                        ; implicit-def: $vgpr33
                                        ; implicit-def: $vgpr34
                                        ; implicit-def: $vgpr35
                                        ; implicit-def: $vgpr36
                                        ; implicit-def: $vgpr37
                                        ; implicit-def: $vgpr38
                                        ; implicit-def: $vgpr39
	s_branch .LBB908_638
.LBB908_637:                            ;   in Loop: Header=BB908_638 Depth=2
	s_or_b32 exec_lo, exec_lo, s10
	s_addk_co_i32 s9, 0xef00
	s_cmp_ge_u32 s12, s54
	s_mov_b32 s34, s12
	s_cbranch_scc1 .LBB908_710
.LBB908_638:                            ;   Parent Loop BB908_12 Depth=1
                                        ; =>  This Inner Loop Header: Depth=2
	s_add_co_i32 s12, s34, 0x1100
	s_mov_b32 s10, -1
	s_cmp_gt_u32 s12, s54
                                        ; implicit-def: $vgpr40
                                        ; implicit-def: $vgpr41
                                        ; implicit-def: $vgpr42
                                        ; implicit-def: $vgpr43
                                        ; implicit-def: $vgpr44
                                        ; implicit-def: $vgpr45
                                        ; implicit-def: $vgpr46
                                        ; implicit-def: $vgpr47
                                        ; implicit-def: $vgpr48
                                        ; implicit-def: $vgpr49
                                        ; implicit-def: $vgpr50
                                        ; implicit-def: $vgpr51
                                        ; implicit-def: $vgpr52
                                        ; implicit-def: $vgpr53
                                        ; implicit-def: $vgpr54
                                        ; implicit-def: $vgpr55
                                        ; implicit-def: $vgpr56
	s_cbranch_scc1 .LBB908_640
; %bb.639:                              ;   in Loop: Header=BB908_638 Depth=2
	v_lshl_add_u64 v[58:59], s[34:35], 1, v[16:17]
	s_mov_b32 s10, 0
	s_clause 0x10
	global_load_u16 v40, v[58:59], off
	global_load_u16 v41, v[58:59], off offset:512
	global_load_u16 v42, v[58:59], off offset:1024
	;; [unrolled: 1-line block ×16, first 2 shown]
.LBB908_640:                            ;   in Loop: Header=BB908_638 Depth=2
	s_and_not1_b32 vcc_lo, exec_lo, s10
	s_movk_i32 s10, 0x1100
	s_cbranch_vccnz .LBB908_660
; %bb.641:                              ;   in Loop: Header=BB908_638 Depth=2
	s_lshl_b64 s[10:11], s[34:35], 1
	s_mov_b32 s13, exec_lo
	s_add_nc_u64 s[10:11], s[36:37], s[10:11]
	s_wait_xcnt 0x0
	v_cmpx_gt_u32_e64 s9, v2
	s_cbranch_execnz .LBB908_694
; %bb.642:                              ;   in Loop: Header=BB908_638 Depth=2
	s_or_b32 exec_lo, exec_lo, s13
	s_delay_alu instid0(SALU_CYCLE_1)
	s_mov_b32 s13, exec_lo
	v_cmpx_gt_u32_e64 s9, v66
	s_cbranch_execnz .LBB908_695
.LBB908_643:                            ;   in Loop: Header=BB908_638 Depth=2
	s_or_b32 exec_lo, exec_lo, s13
	s_delay_alu instid0(SALU_CYCLE_1)
	s_mov_b32 s13, exec_lo
	v_cmpx_gt_u32_e64 s9, v67
	s_cbranch_execnz .LBB908_696
.LBB908_644:                            ;   in Loop: Header=BB908_638 Depth=2
	s_or_b32 exec_lo, exec_lo, s13
	s_delay_alu instid0(SALU_CYCLE_1)
	s_mov_b32 s13, exec_lo
	v_cmpx_gt_u32_e64 s9, v68
	s_cbranch_execnz .LBB908_697
.LBB908_645:                            ;   in Loop: Header=BB908_638 Depth=2
	s_or_b32 exec_lo, exec_lo, s13
	s_delay_alu instid0(SALU_CYCLE_1)
	s_mov_b32 s13, exec_lo
	v_cmpx_gt_u32_e64 s9, v69
	s_cbranch_execnz .LBB908_698
.LBB908_646:                            ;   in Loop: Header=BB908_638 Depth=2
	s_or_b32 exec_lo, exec_lo, s13
	s_delay_alu instid0(SALU_CYCLE_1)
	s_mov_b32 s13, exec_lo
	v_cmpx_gt_u32_e64 s9, v70
	s_cbranch_execnz .LBB908_699
.LBB908_647:                            ;   in Loop: Header=BB908_638 Depth=2
	s_or_b32 exec_lo, exec_lo, s13
	s_delay_alu instid0(SALU_CYCLE_1)
	s_mov_b32 s13, exec_lo
	v_cmpx_gt_u32_e64 s9, v71
	s_cbranch_execnz .LBB908_700
.LBB908_648:                            ;   in Loop: Header=BB908_638 Depth=2
	s_or_b32 exec_lo, exec_lo, s13
	s_delay_alu instid0(SALU_CYCLE_1)
	s_mov_b32 s13, exec_lo
	v_cmpx_gt_u32_e64 s9, v72
	s_cbranch_execnz .LBB908_701
.LBB908_649:                            ;   in Loop: Header=BB908_638 Depth=2
	s_or_b32 exec_lo, exec_lo, s13
	s_delay_alu instid0(SALU_CYCLE_1)
	s_mov_b32 s13, exec_lo
	v_cmpx_gt_u32_e64 s9, v73
	s_cbranch_execnz .LBB908_702
.LBB908_650:                            ;   in Loop: Header=BB908_638 Depth=2
	s_or_b32 exec_lo, exec_lo, s13
	s_delay_alu instid0(SALU_CYCLE_1)
	s_mov_b32 s13, exec_lo
	v_cmpx_gt_u32_e64 s9, v74
	s_cbranch_execnz .LBB908_703
.LBB908_651:                            ;   in Loop: Header=BB908_638 Depth=2
	s_or_b32 exec_lo, exec_lo, s13
	s_delay_alu instid0(SALU_CYCLE_1)
	s_mov_b32 s13, exec_lo
	v_cmpx_gt_u32_e64 s9, v75
	s_cbranch_execnz .LBB908_704
.LBB908_652:                            ;   in Loop: Header=BB908_638 Depth=2
	s_or_b32 exec_lo, exec_lo, s13
	s_delay_alu instid0(SALU_CYCLE_1)
	s_mov_b32 s13, exec_lo
	v_cmpx_gt_u32_e64 s9, v76
	s_cbranch_execnz .LBB908_705
.LBB908_653:                            ;   in Loop: Header=BB908_638 Depth=2
	s_or_b32 exec_lo, exec_lo, s13
	s_delay_alu instid0(SALU_CYCLE_1)
	s_mov_b32 s13, exec_lo
	v_cmpx_gt_u32_e64 s9, v77
	s_cbranch_execnz .LBB908_706
.LBB908_654:                            ;   in Loop: Header=BB908_638 Depth=2
	s_or_b32 exec_lo, exec_lo, s13
	s_delay_alu instid0(SALU_CYCLE_1)
	s_mov_b32 s13, exec_lo
	v_cmpx_gt_u32_e64 s9, v78
	s_cbranch_execnz .LBB908_707
.LBB908_655:                            ;   in Loop: Header=BB908_638 Depth=2
	s_or_b32 exec_lo, exec_lo, s13
	s_delay_alu instid0(SALU_CYCLE_1)
	s_mov_b32 s13, exec_lo
	v_cmpx_gt_u32_e64 s9, v79
	s_cbranch_execnz .LBB908_708
.LBB908_656:                            ;   in Loop: Header=BB908_638 Depth=2
	s_or_b32 exec_lo, exec_lo, s13
	s_delay_alu instid0(SALU_CYCLE_1)
	s_mov_b32 s13, exec_lo
	v_cmpx_gt_u32_e64 s9, v80
	s_cbranch_execnz .LBB908_709
.LBB908_657:                            ;   in Loop: Header=BB908_638 Depth=2
	s_or_b32 exec_lo, exec_lo, s13
	s_delay_alu instid0(SALU_CYCLE_1)
	s_mov_b32 s13, exec_lo
	v_cmpx_gt_u32_e64 s9, v81
	s_cbranch_execz .LBB908_659
.LBB908_658:                            ;   in Loop: Header=BB908_638 Depth=2
	global_load_u16 v23, v2, s[10:11] offset:8192 scale_offset
.LBB908_659:                            ;   in Loop: Header=BB908_638 Depth=2
	s_wait_xcnt 0x0
	s_or_b32 exec_lo, exec_lo, s13
	s_wait_loadcnt 0x0
	v_dual_mov_b32 v40, v39 :: v_dual_mov_b32 v41, v38
	v_dual_mov_b32 v42, v37 :: v_dual_mov_b32 v43, v36
	;; [unrolled: 1-line block ×8, first 2 shown]
	v_mov_b32_e32 v56, v23
	s_mov_b32 s10, s9
.LBB908_660:                            ;   in Loop: Header=BB908_638 Depth=2
	s_wait_loadcnt 0x0
	s_delay_alu instid0(VALU_DEP_1)
	v_dual_mov_b32 v23, v56 :: v_dual_mov_b32 v24, v55
	v_dual_mov_b32 v25, v54 :: v_dual_mov_b32 v26, v53
	;; [unrolled: 1-line block ×8, first 2 shown]
	v_mov_b32_e32 v39, v40
	s_mov_b32 s11, exec_lo
	s_wait_xcnt 0x0
	v_cmpx_gt_u32_e64 s10, v2
	s_cbranch_execnz .LBB908_677
; %bb.661:                              ;   in Loop: Header=BB908_638 Depth=2
	s_or_b32 exec_lo, exec_lo, s11
	s_delay_alu instid0(SALU_CYCLE_1)
	s_mov_b32 s11, exec_lo
	v_cmpx_gt_u32_e64 s10, v66
	s_cbranch_execnz .LBB908_678
.LBB908_662:                            ;   in Loop: Header=BB908_638 Depth=2
	s_or_b32 exec_lo, exec_lo, s11
	s_delay_alu instid0(SALU_CYCLE_1)
	s_mov_b32 s11, exec_lo
	v_cmpx_gt_u32_e64 s10, v67
	s_cbranch_execnz .LBB908_679
.LBB908_663:                            ;   in Loop: Header=BB908_638 Depth=2
	s_or_b32 exec_lo, exec_lo, s11
	s_delay_alu instid0(SALU_CYCLE_1)
	s_mov_b32 s11, exec_lo
	v_cmpx_gt_u32_e64 s10, v68
	s_cbranch_execnz .LBB908_680
.LBB908_664:                            ;   in Loop: Header=BB908_638 Depth=2
	s_or_b32 exec_lo, exec_lo, s11
	s_delay_alu instid0(SALU_CYCLE_1)
	s_mov_b32 s11, exec_lo
	v_cmpx_gt_u32_e64 s10, v69
	s_cbranch_execnz .LBB908_681
.LBB908_665:                            ;   in Loop: Header=BB908_638 Depth=2
	s_or_b32 exec_lo, exec_lo, s11
	s_delay_alu instid0(SALU_CYCLE_1)
	s_mov_b32 s11, exec_lo
	v_cmpx_gt_u32_e64 s10, v70
	s_cbranch_execnz .LBB908_682
.LBB908_666:                            ;   in Loop: Header=BB908_638 Depth=2
	s_or_b32 exec_lo, exec_lo, s11
	s_delay_alu instid0(SALU_CYCLE_1)
	s_mov_b32 s11, exec_lo
	v_cmpx_gt_u32_e64 s10, v71
	s_cbranch_execnz .LBB908_683
.LBB908_667:                            ;   in Loop: Header=BB908_638 Depth=2
	s_or_b32 exec_lo, exec_lo, s11
	s_delay_alu instid0(SALU_CYCLE_1)
	s_mov_b32 s11, exec_lo
	v_cmpx_gt_u32_e64 s10, v72
	s_cbranch_execnz .LBB908_684
.LBB908_668:                            ;   in Loop: Header=BB908_638 Depth=2
	s_or_b32 exec_lo, exec_lo, s11
	s_delay_alu instid0(SALU_CYCLE_1)
	s_mov_b32 s11, exec_lo
	v_cmpx_gt_u32_e64 s10, v73
	s_cbranch_execnz .LBB908_685
.LBB908_669:                            ;   in Loop: Header=BB908_638 Depth=2
	s_or_b32 exec_lo, exec_lo, s11
	s_delay_alu instid0(SALU_CYCLE_1)
	s_mov_b32 s11, exec_lo
	v_cmpx_gt_u32_e64 s10, v74
	s_cbranch_execnz .LBB908_686
.LBB908_670:                            ;   in Loop: Header=BB908_638 Depth=2
	s_or_b32 exec_lo, exec_lo, s11
	s_delay_alu instid0(SALU_CYCLE_1)
	s_mov_b32 s11, exec_lo
	v_cmpx_gt_u32_e64 s10, v75
	s_cbranch_execnz .LBB908_687
.LBB908_671:                            ;   in Loop: Header=BB908_638 Depth=2
	s_or_b32 exec_lo, exec_lo, s11
	s_delay_alu instid0(SALU_CYCLE_1)
	s_mov_b32 s11, exec_lo
	v_cmpx_gt_u32_e64 s10, v76
	s_cbranch_execnz .LBB908_688
.LBB908_672:                            ;   in Loop: Header=BB908_638 Depth=2
	s_or_b32 exec_lo, exec_lo, s11
	s_delay_alu instid0(SALU_CYCLE_1)
	s_mov_b32 s11, exec_lo
	v_cmpx_gt_u32_e64 s10, v77
	s_cbranch_execnz .LBB908_689
.LBB908_673:                            ;   in Loop: Header=BB908_638 Depth=2
	s_or_b32 exec_lo, exec_lo, s11
	s_delay_alu instid0(SALU_CYCLE_1)
	s_mov_b32 s11, exec_lo
	v_cmpx_gt_u32_e64 s10, v78
	s_cbranch_execnz .LBB908_690
.LBB908_674:                            ;   in Loop: Header=BB908_638 Depth=2
	s_or_b32 exec_lo, exec_lo, s11
	s_delay_alu instid0(SALU_CYCLE_1)
	s_mov_b32 s11, exec_lo
	v_cmpx_gt_u32_e64 s10, v79
	s_cbranch_execnz .LBB908_691
.LBB908_675:                            ;   in Loop: Header=BB908_638 Depth=2
	s_or_b32 exec_lo, exec_lo, s11
	s_delay_alu instid0(SALU_CYCLE_1)
	s_mov_b32 s11, exec_lo
	v_cmpx_gt_u32_e64 s10, v80
	s_cbranch_execnz .LBB908_692
.LBB908_676:                            ;   in Loop: Header=BB908_638 Depth=2
	s_or_b32 exec_lo, exec_lo, s11
	v_cmp_gt_u32_e32 vcc_lo, s10, v81
	s_and_saveexec_b32 s10, vcc_lo
	s_cbranch_execz .LBB908_637
	s_branch .LBB908_693
.LBB908_677:                            ;   in Loop: Header=BB908_638 Depth=2
	v_xor_b32_e32 v40, 0x7fff, v39
	s_delay_alu instid0(VALU_DEP_1) | instskip(NEXT) | instid1(VALU_DEP_1)
	v_and_b32_e32 v40, 0xffff, v40
	v_lshrrev_b32_e32 v40, s49, v40
	s_delay_alu instid0(VALU_DEP_1) | instskip(NEXT) | instid1(VALU_DEP_1)
	v_and_b32_e32 v40, s48, v40
	v_lshl_or_b32 v40, v40, 4, v83
	ds_add_u32 v40, v97
	s_or_b32 exec_lo, exec_lo, s11
	s_delay_alu instid0(SALU_CYCLE_1)
	s_mov_b32 s11, exec_lo
	v_cmpx_gt_u32_e64 s10, v66
	s_cbranch_execz .LBB908_662
.LBB908_678:                            ;   in Loop: Header=BB908_638 Depth=2
	v_xor_b32_e32 v40, 0x7fff, v38
	s_delay_alu instid0(VALU_DEP_1) | instskip(NEXT) | instid1(VALU_DEP_1)
	v_and_b32_e32 v40, 0xffff, v40
	v_lshrrev_b32_e32 v40, s49, v40
	s_delay_alu instid0(VALU_DEP_1) | instskip(NEXT) | instid1(VALU_DEP_1)
	v_and_b32_e32 v40, s48, v40
	v_lshl_or_b32 v40, v40, 4, v83
	ds_add_u32 v40, v97
	s_or_b32 exec_lo, exec_lo, s11
	s_delay_alu instid0(SALU_CYCLE_1)
	s_mov_b32 s11, exec_lo
	v_cmpx_gt_u32_e64 s10, v67
	s_cbranch_execz .LBB908_663
.LBB908_679:                            ;   in Loop: Header=BB908_638 Depth=2
	v_xor_b32_e32 v40, 0x7fff, v37
	s_delay_alu instid0(VALU_DEP_1) | instskip(NEXT) | instid1(VALU_DEP_1)
	v_and_b32_e32 v40, 0xffff, v40
	v_lshrrev_b32_e32 v40, s49, v40
	s_delay_alu instid0(VALU_DEP_1) | instskip(NEXT) | instid1(VALU_DEP_1)
	v_and_b32_e32 v40, s48, v40
	v_lshl_or_b32 v40, v40, 4, v83
	ds_add_u32 v40, v97
	s_or_b32 exec_lo, exec_lo, s11
	s_delay_alu instid0(SALU_CYCLE_1)
	s_mov_b32 s11, exec_lo
	v_cmpx_gt_u32_e64 s10, v68
	s_cbranch_execz .LBB908_664
.LBB908_680:                            ;   in Loop: Header=BB908_638 Depth=2
	v_xor_b32_e32 v40, 0x7fff, v36
	s_delay_alu instid0(VALU_DEP_1) | instskip(NEXT) | instid1(VALU_DEP_1)
	v_and_b32_e32 v40, 0xffff, v40
	v_lshrrev_b32_e32 v40, s49, v40
	s_delay_alu instid0(VALU_DEP_1) | instskip(NEXT) | instid1(VALU_DEP_1)
	v_and_b32_e32 v40, s48, v40
	v_lshl_or_b32 v40, v40, 4, v83
	ds_add_u32 v40, v97
	s_or_b32 exec_lo, exec_lo, s11
	s_delay_alu instid0(SALU_CYCLE_1)
	s_mov_b32 s11, exec_lo
	v_cmpx_gt_u32_e64 s10, v69
	s_cbranch_execz .LBB908_665
.LBB908_681:                            ;   in Loop: Header=BB908_638 Depth=2
	v_xor_b32_e32 v40, 0x7fff, v35
	s_delay_alu instid0(VALU_DEP_1) | instskip(NEXT) | instid1(VALU_DEP_1)
	v_and_b32_e32 v40, 0xffff, v40
	v_lshrrev_b32_e32 v40, s49, v40
	s_delay_alu instid0(VALU_DEP_1) | instskip(NEXT) | instid1(VALU_DEP_1)
	v_and_b32_e32 v40, s48, v40
	v_lshl_or_b32 v40, v40, 4, v83
	ds_add_u32 v40, v97
	s_or_b32 exec_lo, exec_lo, s11
	s_delay_alu instid0(SALU_CYCLE_1)
	s_mov_b32 s11, exec_lo
	v_cmpx_gt_u32_e64 s10, v70
	s_cbranch_execz .LBB908_666
.LBB908_682:                            ;   in Loop: Header=BB908_638 Depth=2
	v_xor_b32_e32 v40, 0x7fff, v34
	s_delay_alu instid0(VALU_DEP_1) | instskip(NEXT) | instid1(VALU_DEP_1)
	v_and_b32_e32 v40, 0xffff, v40
	v_lshrrev_b32_e32 v40, s49, v40
	s_delay_alu instid0(VALU_DEP_1) | instskip(NEXT) | instid1(VALU_DEP_1)
	v_and_b32_e32 v40, s48, v40
	v_lshl_or_b32 v40, v40, 4, v83
	ds_add_u32 v40, v97
	s_or_b32 exec_lo, exec_lo, s11
	s_delay_alu instid0(SALU_CYCLE_1)
	s_mov_b32 s11, exec_lo
	v_cmpx_gt_u32_e64 s10, v71
	s_cbranch_execz .LBB908_667
.LBB908_683:                            ;   in Loop: Header=BB908_638 Depth=2
	v_xor_b32_e32 v40, 0x7fff, v33
	s_delay_alu instid0(VALU_DEP_1) | instskip(NEXT) | instid1(VALU_DEP_1)
	v_and_b32_e32 v40, 0xffff, v40
	v_lshrrev_b32_e32 v40, s49, v40
	s_delay_alu instid0(VALU_DEP_1) | instskip(NEXT) | instid1(VALU_DEP_1)
	v_and_b32_e32 v40, s48, v40
	v_lshl_or_b32 v40, v40, 4, v83
	ds_add_u32 v40, v97
	s_or_b32 exec_lo, exec_lo, s11
	s_delay_alu instid0(SALU_CYCLE_1)
	s_mov_b32 s11, exec_lo
	v_cmpx_gt_u32_e64 s10, v72
	s_cbranch_execz .LBB908_668
.LBB908_684:                            ;   in Loop: Header=BB908_638 Depth=2
	v_xor_b32_e32 v40, 0x7fff, v32
	s_delay_alu instid0(VALU_DEP_1) | instskip(NEXT) | instid1(VALU_DEP_1)
	v_and_b32_e32 v40, 0xffff, v40
	v_lshrrev_b32_e32 v40, s49, v40
	s_delay_alu instid0(VALU_DEP_1) | instskip(NEXT) | instid1(VALU_DEP_1)
	v_and_b32_e32 v40, s48, v40
	v_lshl_or_b32 v40, v40, 4, v83
	ds_add_u32 v40, v97
	s_or_b32 exec_lo, exec_lo, s11
	s_delay_alu instid0(SALU_CYCLE_1)
	s_mov_b32 s11, exec_lo
	v_cmpx_gt_u32_e64 s10, v73
	s_cbranch_execz .LBB908_669
.LBB908_685:                            ;   in Loop: Header=BB908_638 Depth=2
	v_xor_b32_e32 v40, 0x7fff, v31
	s_delay_alu instid0(VALU_DEP_1) | instskip(NEXT) | instid1(VALU_DEP_1)
	v_and_b32_e32 v40, 0xffff, v40
	v_lshrrev_b32_e32 v40, s49, v40
	s_delay_alu instid0(VALU_DEP_1) | instskip(NEXT) | instid1(VALU_DEP_1)
	v_and_b32_e32 v40, s48, v40
	v_lshl_or_b32 v40, v40, 4, v83
	ds_add_u32 v40, v97
	s_or_b32 exec_lo, exec_lo, s11
	s_delay_alu instid0(SALU_CYCLE_1)
	s_mov_b32 s11, exec_lo
	v_cmpx_gt_u32_e64 s10, v74
	s_cbranch_execz .LBB908_670
.LBB908_686:                            ;   in Loop: Header=BB908_638 Depth=2
	v_xor_b32_e32 v40, 0x7fff, v30
	s_delay_alu instid0(VALU_DEP_1) | instskip(NEXT) | instid1(VALU_DEP_1)
	v_and_b32_e32 v40, 0xffff, v40
	v_lshrrev_b32_e32 v40, s49, v40
	s_delay_alu instid0(VALU_DEP_1) | instskip(NEXT) | instid1(VALU_DEP_1)
	v_and_b32_e32 v40, s48, v40
	v_lshl_or_b32 v40, v40, 4, v83
	ds_add_u32 v40, v97
	s_or_b32 exec_lo, exec_lo, s11
	s_delay_alu instid0(SALU_CYCLE_1)
	s_mov_b32 s11, exec_lo
	v_cmpx_gt_u32_e64 s10, v75
	s_cbranch_execz .LBB908_671
.LBB908_687:                            ;   in Loop: Header=BB908_638 Depth=2
	v_xor_b32_e32 v40, 0x7fff, v29
	s_delay_alu instid0(VALU_DEP_1) | instskip(NEXT) | instid1(VALU_DEP_1)
	v_and_b32_e32 v40, 0xffff, v40
	v_lshrrev_b32_e32 v40, s49, v40
	s_delay_alu instid0(VALU_DEP_1) | instskip(NEXT) | instid1(VALU_DEP_1)
	v_and_b32_e32 v40, s48, v40
	v_lshl_or_b32 v40, v40, 4, v83
	ds_add_u32 v40, v97
	s_or_b32 exec_lo, exec_lo, s11
	s_delay_alu instid0(SALU_CYCLE_1)
	s_mov_b32 s11, exec_lo
	v_cmpx_gt_u32_e64 s10, v76
	s_cbranch_execz .LBB908_672
.LBB908_688:                            ;   in Loop: Header=BB908_638 Depth=2
	v_xor_b32_e32 v40, 0x7fff, v28
	s_delay_alu instid0(VALU_DEP_1) | instskip(NEXT) | instid1(VALU_DEP_1)
	v_and_b32_e32 v40, 0xffff, v40
	v_lshrrev_b32_e32 v40, s49, v40
	s_delay_alu instid0(VALU_DEP_1) | instskip(NEXT) | instid1(VALU_DEP_1)
	v_and_b32_e32 v40, s48, v40
	v_lshl_or_b32 v40, v40, 4, v83
	ds_add_u32 v40, v97
	s_or_b32 exec_lo, exec_lo, s11
	s_delay_alu instid0(SALU_CYCLE_1)
	s_mov_b32 s11, exec_lo
	v_cmpx_gt_u32_e64 s10, v77
	s_cbranch_execz .LBB908_673
.LBB908_689:                            ;   in Loop: Header=BB908_638 Depth=2
	v_xor_b32_e32 v40, 0x7fff, v27
	s_delay_alu instid0(VALU_DEP_1) | instskip(NEXT) | instid1(VALU_DEP_1)
	v_and_b32_e32 v40, 0xffff, v40
	v_lshrrev_b32_e32 v40, s49, v40
	s_delay_alu instid0(VALU_DEP_1) | instskip(NEXT) | instid1(VALU_DEP_1)
	v_and_b32_e32 v40, s48, v40
	v_lshl_or_b32 v40, v40, 4, v83
	ds_add_u32 v40, v97
	s_or_b32 exec_lo, exec_lo, s11
	s_delay_alu instid0(SALU_CYCLE_1)
	s_mov_b32 s11, exec_lo
	v_cmpx_gt_u32_e64 s10, v78
	s_cbranch_execz .LBB908_674
.LBB908_690:                            ;   in Loop: Header=BB908_638 Depth=2
	v_xor_b32_e32 v40, 0x7fff, v26
	s_delay_alu instid0(VALU_DEP_1) | instskip(NEXT) | instid1(VALU_DEP_1)
	v_and_b32_e32 v40, 0xffff, v40
	v_lshrrev_b32_e32 v40, s49, v40
	s_delay_alu instid0(VALU_DEP_1) | instskip(NEXT) | instid1(VALU_DEP_1)
	v_and_b32_e32 v40, s48, v40
	v_lshl_or_b32 v40, v40, 4, v83
	ds_add_u32 v40, v97
	s_or_b32 exec_lo, exec_lo, s11
	s_delay_alu instid0(SALU_CYCLE_1)
	s_mov_b32 s11, exec_lo
	v_cmpx_gt_u32_e64 s10, v79
	s_cbranch_execz .LBB908_675
.LBB908_691:                            ;   in Loop: Header=BB908_638 Depth=2
	v_xor_b32_e32 v40, 0x7fff, v25
	s_delay_alu instid0(VALU_DEP_1) | instskip(NEXT) | instid1(VALU_DEP_1)
	v_and_b32_e32 v40, 0xffff, v40
	v_lshrrev_b32_e32 v40, s49, v40
	s_delay_alu instid0(VALU_DEP_1) | instskip(NEXT) | instid1(VALU_DEP_1)
	v_and_b32_e32 v40, s48, v40
	v_lshl_or_b32 v40, v40, 4, v83
	ds_add_u32 v40, v97
	s_or_b32 exec_lo, exec_lo, s11
	s_delay_alu instid0(SALU_CYCLE_1)
	s_mov_b32 s11, exec_lo
	v_cmpx_gt_u32_e64 s10, v80
	s_cbranch_execz .LBB908_676
.LBB908_692:                            ;   in Loop: Header=BB908_638 Depth=2
	v_xor_b32_e32 v40, 0x7fff, v24
	s_delay_alu instid0(VALU_DEP_1) | instskip(NEXT) | instid1(VALU_DEP_1)
	v_and_b32_e32 v40, 0xffff, v40
	v_lshrrev_b32_e32 v40, s49, v40
	s_delay_alu instid0(VALU_DEP_1) | instskip(NEXT) | instid1(VALU_DEP_1)
	v_and_b32_e32 v40, s48, v40
	v_lshl_or_b32 v40, v40, 4, v83
	ds_add_u32 v40, v97
	s_or_b32 exec_lo, exec_lo, s11
	v_cmp_gt_u32_e32 vcc_lo, s10, v81
	s_and_saveexec_b32 s10, vcc_lo
	s_cbranch_execz .LBB908_637
.LBB908_693:                            ;   in Loop: Header=BB908_638 Depth=2
	v_xor_b32_e32 v40, 0x7fff, v23
	s_delay_alu instid0(VALU_DEP_1) | instskip(NEXT) | instid1(VALU_DEP_1)
	v_and_b32_e32 v40, 0xffff, v40
	v_lshrrev_b32_e32 v40, s49, v40
	s_delay_alu instid0(VALU_DEP_1) | instskip(NEXT) | instid1(VALU_DEP_1)
	v_and_b32_e32 v40, s48, v40
	v_lshl_or_b32 v40, v40, 4, v83
	ds_add_u32 v40, v97
	s_branch .LBB908_637
.LBB908_694:                            ;   in Loop: Header=BB908_638 Depth=2
	global_load_u16 v39, v2, s[10:11] scale_offset
	s_wait_xcnt 0x0
	s_or_b32 exec_lo, exec_lo, s13
	s_delay_alu instid0(SALU_CYCLE_1)
	s_mov_b32 s13, exec_lo
	v_cmpx_gt_u32_e64 s9, v66
	s_cbranch_execz .LBB908_643
.LBB908_695:                            ;   in Loop: Header=BB908_638 Depth=2
	global_load_u16 v38, v2, s[10:11] offset:512 scale_offset
	s_wait_xcnt 0x0
	s_or_b32 exec_lo, exec_lo, s13
	s_delay_alu instid0(SALU_CYCLE_1)
	s_mov_b32 s13, exec_lo
	v_cmpx_gt_u32_e64 s9, v67
	s_cbranch_execz .LBB908_644
.LBB908_696:                            ;   in Loop: Header=BB908_638 Depth=2
	global_load_u16 v37, v2, s[10:11] offset:1024 scale_offset
	s_wait_xcnt 0x0
	s_or_b32 exec_lo, exec_lo, s13
	s_delay_alu instid0(SALU_CYCLE_1)
	s_mov_b32 s13, exec_lo
	v_cmpx_gt_u32_e64 s9, v68
	s_cbranch_execz .LBB908_645
.LBB908_697:                            ;   in Loop: Header=BB908_638 Depth=2
	global_load_u16 v36, v2, s[10:11] offset:1536 scale_offset
	s_wait_xcnt 0x0
	s_or_b32 exec_lo, exec_lo, s13
	s_delay_alu instid0(SALU_CYCLE_1)
	s_mov_b32 s13, exec_lo
	v_cmpx_gt_u32_e64 s9, v69
	s_cbranch_execz .LBB908_646
.LBB908_698:                            ;   in Loop: Header=BB908_638 Depth=2
	global_load_u16 v35, v2, s[10:11] offset:2048 scale_offset
	s_wait_xcnt 0x0
	s_or_b32 exec_lo, exec_lo, s13
	s_delay_alu instid0(SALU_CYCLE_1)
	s_mov_b32 s13, exec_lo
	v_cmpx_gt_u32_e64 s9, v70
	s_cbranch_execz .LBB908_647
.LBB908_699:                            ;   in Loop: Header=BB908_638 Depth=2
	global_load_u16 v34, v2, s[10:11] offset:2560 scale_offset
	s_wait_xcnt 0x0
	s_or_b32 exec_lo, exec_lo, s13
	s_delay_alu instid0(SALU_CYCLE_1)
	s_mov_b32 s13, exec_lo
	v_cmpx_gt_u32_e64 s9, v71
	s_cbranch_execz .LBB908_648
.LBB908_700:                            ;   in Loop: Header=BB908_638 Depth=2
	global_load_u16 v33, v2, s[10:11] offset:3072 scale_offset
	s_wait_xcnt 0x0
	s_or_b32 exec_lo, exec_lo, s13
	s_delay_alu instid0(SALU_CYCLE_1)
	s_mov_b32 s13, exec_lo
	v_cmpx_gt_u32_e64 s9, v72
	s_cbranch_execz .LBB908_649
.LBB908_701:                            ;   in Loop: Header=BB908_638 Depth=2
	global_load_u16 v32, v2, s[10:11] offset:3584 scale_offset
	s_wait_xcnt 0x0
	s_or_b32 exec_lo, exec_lo, s13
	s_delay_alu instid0(SALU_CYCLE_1)
	s_mov_b32 s13, exec_lo
	v_cmpx_gt_u32_e64 s9, v73
	s_cbranch_execz .LBB908_650
.LBB908_702:                            ;   in Loop: Header=BB908_638 Depth=2
	global_load_u16 v31, v2, s[10:11] offset:4096 scale_offset
	s_wait_xcnt 0x0
	s_or_b32 exec_lo, exec_lo, s13
	s_delay_alu instid0(SALU_CYCLE_1)
	s_mov_b32 s13, exec_lo
	v_cmpx_gt_u32_e64 s9, v74
	s_cbranch_execz .LBB908_651
.LBB908_703:                            ;   in Loop: Header=BB908_638 Depth=2
	global_load_u16 v30, v2, s[10:11] offset:4608 scale_offset
	s_wait_xcnt 0x0
	s_or_b32 exec_lo, exec_lo, s13
	s_delay_alu instid0(SALU_CYCLE_1)
	s_mov_b32 s13, exec_lo
	v_cmpx_gt_u32_e64 s9, v75
	s_cbranch_execz .LBB908_652
.LBB908_704:                            ;   in Loop: Header=BB908_638 Depth=2
	global_load_u16 v29, v2, s[10:11] offset:5120 scale_offset
	s_wait_xcnt 0x0
	s_or_b32 exec_lo, exec_lo, s13
	s_delay_alu instid0(SALU_CYCLE_1)
	s_mov_b32 s13, exec_lo
	v_cmpx_gt_u32_e64 s9, v76
	s_cbranch_execz .LBB908_653
.LBB908_705:                            ;   in Loop: Header=BB908_638 Depth=2
	global_load_u16 v28, v2, s[10:11] offset:5632 scale_offset
	s_wait_xcnt 0x0
	s_or_b32 exec_lo, exec_lo, s13
	s_delay_alu instid0(SALU_CYCLE_1)
	s_mov_b32 s13, exec_lo
	v_cmpx_gt_u32_e64 s9, v77
	s_cbranch_execz .LBB908_654
.LBB908_706:                            ;   in Loop: Header=BB908_638 Depth=2
	global_load_u16 v27, v2, s[10:11] offset:6144 scale_offset
	s_wait_xcnt 0x0
	s_or_b32 exec_lo, exec_lo, s13
	s_delay_alu instid0(SALU_CYCLE_1)
	s_mov_b32 s13, exec_lo
	v_cmpx_gt_u32_e64 s9, v78
	s_cbranch_execz .LBB908_655
.LBB908_707:                            ;   in Loop: Header=BB908_638 Depth=2
	global_load_u16 v26, v2, s[10:11] offset:6656 scale_offset
	s_wait_xcnt 0x0
	s_or_b32 exec_lo, exec_lo, s13
	s_delay_alu instid0(SALU_CYCLE_1)
	s_mov_b32 s13, exec_lo
	v_cmpx_gt_u32_e64 s9, v79
	s_cbranch_execz .LBB908_656
.LBB908_708:                            ;   in Loop: Header=BB908_638 Depth=2
	global_load_u16 v25, v2, s[10:11] offset:7168 scale_offset
	s_wait_xcnt 0x0
	s_or_b32 exec_lo, exec_lo, s13
	s_delay_alu instid0(SALU_CYCLE_1)
	s_mov_b32 s13, exec_lo
	v_cmpx_gt_u32_e64 s9, v80
	s_cbranch_execz .LBB908_657
.LBB908_709:                            ;   in Loop: Header=BB908_638 Depth=2
	global_load_u16 v24, v2, s[10:11] offset:7680 scale_offset
	s_wait_xcnt 0x0
	s_or_b32 exec_lo, exec_lo, s13
	s_delay_alu instid0(SALU_CYCLE_1)
	s_mov_b32 s13, exec_lo
	v_cmpx_gt_u32_e64 s9, v81
	s_cbranch_execnz .LBB908_658
	s_branch .LBB908_659
.LBB908_710:                            ;   in Loop: Header=BB908_12 Depth=1
	v_mov_b32_e32 v23, 0
	s_wait_dscnt 0x0
	s_barrier_signal -1
	s_barrier_wait -1
	s_and_saveexec_b32 s9, s0
	s_cbranch_execz .LBB908_712
; %bb.711:                              ;   in Loop: Header=BB908_12 Depth=1
	ds_load_2addr_b64 v[24:27], v84 offset1:1
	s_wait_dscnt 0x0
	v_add_nc_u32_e32 v23, v25, v24
	s_delay_alu instid0(VALU_DEP_1)
	v_add3_u32 v23, v23, v26, v27
.LBB908_712:                            ;   in Loop: Header=BB908_12 Depth=1
	s_or_b32 exec_lo, exec_lo, s9
	s_delay_alu instid0(VALU_DEP_1)
	v_mov_b32_dpp v24, v23 row_shr:1 row_mask:0xf bank_mask:0xf
	v_cmp_eq_u32_e64 s9, 0, v98
	v_cmp_lt_u32_e64 s10, 1, v98
	v_cmp_lt_u32_e64 s11, 3, v98
	;; [unrolled: 1-line block ×3, first 2 shown]
	v_cmp_eq_u32_e64 s13, 0, v100
	v_cndmask_b32_e64 v24, v24, 0, s9
	s_delay_alu instid0(VALU_DEP_1) | instskip(NEXT) | instid1(VALU_DEP_1)
	v_add_nc_u32_e32 v23, v24, v23
	v_mov_b32_dpp v24, v23 row_shr:2 row_mask:0xf bank_mask:0xf
	s_delay_alu instid0(VALU_DEP_1) | instskip(NEXT) | instid1(VALU_DEP_1)
	v_cndmask_b32_e64 v24, 0, v24, s10
	v_add_nc_u32_e32 v23, v23, v24
	s_delay_alu instid0(VALU_DEP_1) | instskip(NEXT) | instid1(VALU_DEP_1)
	v_mov_b32_dpp v24, v23 row_shr:4 row_mask:0xf bank_mask:0xf
	v_cndmask_b32_e64 v24, 0, v24, s11
	s_delay_alu instid0(VALU_DEP_1) | instskip(NEXT) | instid1(VALU_DEP_1)
	v_add_nc_u32_e32 v23, v23, v24
	v_mov_b32_dpp v24, v23 row_shr:8 row_mask:0xf bank_mask:0xf
	s_delay_alu instid0(VALU_DEP_1) | instskip(NEXT) | instid1(VALU_DEP_1)
	v_cndmask_b32_e64 v24, 0, v24, s12
	v_add_nc_u32_e32 v23, v23, v24
	ds_swizzle_b32 v24, v23 offset:swizzle(BROADCAST,32,15)
	s_wait_dscnt 0x0
	v_and_b32_e32 v24, v99, v24
	s_delay_alu instid0(VALU_DEP_1)
	v_add_nc_u32_e32 v23, v23, v24
	s_and_saveexec_b32 s14, s1
; %bb.713:                              ;   in Loop: Header=BB908_12 Depth=1
	ds_store_b32 v85, v23
; %bb.714:                              ;   in Loop: Header=BB908_12 Depth=1
	s_or_b32 exec_lo, exec_lo, s14
	s_wait_dscnt 0x0
	s_barrier_signal -1
	s_barrier_wait -1
	s_and_saveexec_b32 s14, s4
	s_cbranch_execz .LBB908_716
; %bb.715:                              ;   in Loop: Header=BB908_12 Depth=1
	ds_load_b32 v24, v86
	v_cmp_ne_u32_e32 vcc_lo, 0, v101
	s_wait_dscnt 0x0
	v_mov_b32_dpp v25, v24 row_shr:1 row_mask:0xf bank_mask:0xf
	s_delay_alu instid0(VALU_DEP_1) | instskip(SKIP_1) | instid1(VALU_DEP_2)
	v_cndmask_b32_e32 v25, 0, v25, vcc_lo
	v_cmp_lt_u32_e32 vcc_lo, 1, v101
	v_add_nc_u32_e32 v24, v25, v24
	s_delay_alu instid0(VALU_DEP_1) | instskip(NEXT) | instid1(VALU_DEP_1)
	v_mov_b32_dpp v25, v24 row_shr:2 row_mask:0xf bank_mask:0xf
	v_cndmask_b32_e32 v25, 0, v25, vcc_lo
	s_delay_alu instid0(VALU_DEP_1)
	v_add_nc_u32_e32 v24, v24, v25
	ds_store_b32 v86, v24
.LBB908_716:                            ;   in Loop: Header=BB908_12 Depth=1
	s_or_b32 exec_lo, exec_lo, s14
	v_mov_b32_e32 v24, 0
	s_wait_dscnt 0x0
	s_barrier_signal -1
	s_barrier_wait -1
	s_and_saveexec_b32 s14, s5
; %bb.717:                              ;   in Loop: Header=BB908_12 Depth=1
	ds_load_b32 v24, v87
; %bb.718:                              ;   in Loop: Header=BB908_12 Depth=1
	s_or_b32 exec_lo, exec_lo, s14
	v_cmp_gt_i32_e32 vcc_lo, 0, v103
	s_wait_dscnt 0x0
	s_barrier_signal -1
	s_barrier_wait -1
	v_dual_cndmask_b32 v25, v103, v96, vcc_lo :: v_dual_add_nc_u32 v23, v24, v23
	s_delay_alu instid0(VALU_DEP_1)
	v_lshlrev_b32_e32 v121, 2, v25
	ds_bpermute_b32 v23, v121, v23
	s_and_saveexec_b32 s14, s0
	s_cbranch_execz .LBB908_720
; %bb.719:                              ;   in Loop: Header=BB908_12 Depth=1
	s_wait_dscnt 0x0
	v_cndmask_b32_e64 v23, v23, v24, s8
	s_delay_alu instid0(VALU_DEP_1)
	v_add_nc_u32_e32 v23, s55, v23
	ds_store_b32 v3, v23
.LBB908_720:                            ;   in Loop: Header=BB908_12 Depth=1
	s_or_b32 exec_lo, exec_lo, s14
	s_load_b64 s[14:15], s[52:53], 0x0
	s_mov_b32 s58, s57
                                        ; implicit-def: $vgpr30_vgpr31
                                        ; implicit-def: $vgpr32_vgpr33
                                        ; implicit-def: $vgpr34_vgpr35
                                        ; implicit-def: $vgpr36_vgpr37
                                        ; implicit-def: $vgpr38_vgpr39
                                        ; implicit-def: $vgpr40_vgpr41
                                        ; implicit-def: $vgpr42_vgpr43
                                        ; implicit-def: $vgpr44_vgpr45
                                        ; implicit-def: $vgpr46_vgpr47
                                        ; implicit-def: $vgpr48_vgpr49
                                        ; implicit-def: $vgpr50_vgpr51
                                        ; implicit-def: $vgpr52_vgpr53
                                        ; implicit-def: $vgpr54_vgpr55
                                        ; implicit-def: $vgpr56_vgpr57
                                        ; implicit-def: $vgpr58_vgpr59
                                        ; implicit-def: $vgpr60_vgpr61
                                        ; implicit-def: $vgpr122
                                        ; implicit-def: $vgpr123
                                        ; implicit-def: $vgpr124
                                        ; implicit-def: $vgpr125
                                        ; implicit-def: $vgpr126
                                        ; implicit-def: $vgpr127
                                        ; implicit-def: $vgpr128
                                        ; implicit-def: $vgpr129
                                        ; implicit-def: $vgpr130
                                        ; implicit-def: $vgpr131
                                        ; implicit-def: $vgpr132
                                        ; implicit-def: $vgpr133
                                        ; implicit-def: $vgpr134
                                        ; implicit-def: $vgpr135
                                        ; implicit-def: $vgpr136
                                        ; implicit-def: $vgpr138
                                        ; implicit-def: $vgpr139
                                        ; implicit-def: $vgpr137
                                        ; implicit-def: $vgpr140
	s_wait_kmcnt 0x0
	s_cmp_lt_u32 s51, s14
	s_cselect_b32 s34, 12, 18
	s_cmp_lt_u32 s42, s15
	s_mov_b32 s15, s35
	s_cselect_b32 s14, 14, 20
	s_delay_alu instid0(SALU_CYCLE_1)
	s_add_nc_u64 s[14:15], s[52:53], s[14:15]
	s_load_u16 s16, s[14:15], 0x0
	s_wait_xcnt 0x0
	s_add_nc_u64 s[14:15], s[52:53], s[34:35]
	s_mov_b32 s34, s55
	s_load_u16 s14, s[14:15], 0x0
	s_wait_xcnt 0x0
	v_cmp_lt_u32_e64 s15, 1, v104
	s_wait_dscnt 0x0
	s_wait_kmcnt 0x0
	v_mad_u32_u24 v23, v88, s16, v90
	v_cmp_lt_u32_e64 s16, 3, v104
	s_delay_alu instid0(VALU_DEP_2) | instskip(SKIP_2) | instid1(VALU_DEP_3)
	v_mad_u32 v24, v23, s14, v2
	v_mov_b32_e32 v23, v5
	v_cmp_eq_u32_e64 s14, 0, v104
	v_lshrrev_b32_e32 v28, 3, v24
	v_add_nc_u64_e32 v[24:25], v[18:19], v[4:5]
	s_delay_alu instid0(VALU_DEP_4) | instskip(NEXT) | instid1(VALU_DEP_3)
	v_add_nc_u64_e32 v[26:27], v[20:21], v[22:23]
	v_and_b32_e32 v23, 0x1ffffffc, v28
                                        ; implicit-def: $vgpr28_vgpr29
	s_branch .LBB908_722
.LBB908_721:                            ;   in Loop: Header=BB908_722 Depth=2
	s_or_b32 exec_lo, exec_lo, s17
	s_addk_co_i32 s58, 0xef00
	s_cmp_lt_u32 s59, s54
	s_mov_b32 s34, s59
	s_cbranch_scc0 .LBB908_944
.LBB908_722:                            ;   Parent Loop BB908_12 Depth=1
                                        ; =>  This Inner Loop Header: Depth=2
	s_add_co_i32 s59, s34, 0x1100
	s_delay_alu instid0(SALU_CYCLE_1)
	s_cmp_gt_u32 s59, s54
	s_cbranch_scc1 .LBB908_724
; %bb.723:                              ;   in Loop: Header=BB908_722 Depth=2
	s_delay_alu instid0(VALU_DEP_2)
	v_lshl_add_u64 v[62:63], s[34:35], 1, v[26:27]
	s_mov_b32 s17, -1
	s_clause 0xf
	global_load_u16 v143, v[62:63], off
	global_load_u16 v145, v[62:63], off offset:64
	global_load_u16 v147, v[62:63], off offset:128
	;; [unrolled: 1-line block ×15, first 2 shown]
	s_movk_i32 s18, 0x1100
	s_cbranch_execz .LBB908_725
	s_branch .LBB908_758
.LBB908_724:                            ;   in Loop: Header=BB908_722 Depth=2
	s_mov_b32 s17, 0
                                        ; implicit-def: $vgpr143
                                        ; implicit-def: $vgpr145
                                        ; implicit-def: $vgpr147
                                        ; implicit-def: $vgpr151
                                        ; implicit-def: $vgpr155
                                        ; implicit-def: $vgpr160
                                        ; implicit-def: $vgpr166
                                        ; implicit-def: $vgpr171
                                        ; implicit-def: $vgpr176
                                        ; implicit-def: $vgpr174
                                        ; implicit-def: $vgpr169
                                        ; implicit-def: $vgpr164
                                        ; implicit-def: $vgpr161
                                        ; implicit-def: $vgpr156
                                        ; implicit-def: $vgpr65
                                        ; implicit-def: $vgpr64
	s_movk_i32 s18, 0x1100
.LBB908_725:                            ;   in Loop: Header=BB908_722 Depth=2
	s_wait_xcnt 0x0
	v_lshl_add_u64 v[62:63], s[34:35], 1, v[26:27]
	s_wait_loadcnt 0xe
	v_mov_b32_e32 v145, 0xffff8000
	v_mov_b32_e32 v143, 0xffff8000
	s_mov_b32 s17, exec_lo
	v_cmpx_gt_u32_e64 s58, v102
	s_cbranch_execz .LBB908_727
; %bb.726:                              ;   in Loop: Header=BB908_722 Depth=2
	global_load_u16 v143, v[62:63], off
.LBB908_727:                            ;   in Loop: Header=BB908_722 Depth=2
	s_wait_xcnt 0x0
	s_or_b32 exec_lo, exec_lo, s17
	s_delay_alu instid0(SALU_CYCLE_1)
	s_mov_b32 s17, exec_lo
	v_cmpx_gt_u32_e64 s58, v105
	s_cbranch_execz .LBB908_729
; %bb.728:                              ;   in Loop: Header=BB908_722 Depth=2
	global_load_u16 v145, v[62:63], off offset:64
.LBB908_729:                            ;   in Loop: Header=BB908_722 Depth=2
	s_wait_xcnt 0x0
	s_or_b32 exec_lo, exec_lo, s17
	s_wait_loadcnt 0xc
	v_mov_b32_e32 v151, 0xffff8000
	v_mov_b32_e32 v147, 0xffff8000
	s_mov_b32 s17, exec_lo
	v_cmpx_gt_u32_e64 s58, v106
	s_cbranch_execz .LBB908_731
; %bb.730:                              ;   in Loop: Header=BB908_722 Depth=2
	global_load_u16 v147, v[62:63], off offset:128
.LBB908_731:                            ;   in Loop: Header=BB908_722 Depth=2
	s_wait_xcnt 0x0
	s_or_b32 exec_lo, exec_lo, s17
	s_delay_alu instid0(SALU_CYCLE_1)
	s_mov_b32 s17, exec_lo
	v_cmpx_gt_u32_e64 s58, v107
	s_cbranch_execz .LBB908_733
; %bb.732:                              ;   in Loop: Header=BB908_722 Depth=2
	global_load_u16 v151, v[62:63], off offset:192
.LBB908_733:                            ;   in Loop: Header=BB908_722 Depth=2
	s_wait_xcnt 0x0
	s_or_b32 exec_lo, exec_lo, s17
	s_wait_loadcnt 0xa
	v_dual_mov_b32 v160, 0xffff8000 :: v_dual_mov_b32 v155, 0xffff8000
	s_mov_b32 s17, exec_lo
	v_cmpx_gt_u32_e64 s58, v108
	s_cbranch_execz .LBB908_735
; %bb.734:                              ;   in Loop: Header=BB908_722 Depth=2
	global_load_u16 v155, v[62:63], off offset:256
.LBB908_735:                            ;   in Loop: Header=BB908_722 Depth=2
	s_wait_xcnt 0x0
	s_or_b32 exec_lo, exec_lo, s17
	s_delay_alu instid0(SALU_CYCLE_1)
	s_mov_b32 s17, exec_lo
	v_cmpx_gt_u32_e64 s58, v109
	s_cbranch_execz .LBB908_737
; %bb.736:                              ;   in Loop: Header=BB908_722 Depth=2
	global_load_u16 v160, v[62:63], off offset:320
.LBB908_737:                            ;   in Loop: Header=BB908_722 Depth=2
	s_wait_xcnt 0x0
	s_or_b32 exec_lo, exec_lo, s17
	s_wait_loadcnt 0x8
	v_dual_mov_b32 v171, 0xffff8000 :: v_dual_mov_b32 v166, 0xffff8000
	s_mov_b32 s17, exec_lo
	v_cmpx_gt_u32_e64 s58, v110
	s_cbranch_execz .LBB908_739
; %bb.738:                              ;   in Loop: Header=BB908_722 Depth=2
	global_load_u16 v166, v[62:63], off offset:384
.LBB908_739:                            ;   in Loop: Header=BB908_722 Depth=2
	s_wait_xcnt 0x0
	s_or_b32 exec_lo, exec_lo, s17
	s_delay_alu instid0(SALU_CYCLE_1)
	s_mov_b32 s17, exec_lo
	v_cmpx_gt_u32_e64 s58, v111
	s_cbranch_execz .LBB908_741
; %bb.740:                              ;   in Loop: Header=BB908_722 Depth=2
	global_load_u16 v171, v[62:63], off offset:448
.LBB908_741:                            ;   in Loop: Header=BB908_722 Depth=2
	s_wait_xcnt 0x0
	s_or_b32 exec_lo, exec_lo, s17
	s_wait_loadcnt 0x6
	v_mov_b32_e32 v174, 0xffff8000
	v_mov_b32_e32 v176, 0xffff8000
	s_mov_b32 s17, exec_lo
	v_cmpx_gt_u32_e64 s58, v112
	s_cbranch_execz .LBB908_743
; %bb.742:                              ;   in Loop: Header=BB908_722 Depth=2
	global_load_u16 v176, v[62:63], off offset:512
.LBB908_743:                            ;   in Loop: Header=BB908_722 Depth=2
	s_wait_xcnt 0x0
	s_or_b32 exec_lo, exec_lo, s17
	s_delay_alu instid0(SALU_CYCLE_1)
	s_mov_b32 s17, exec_lo
	v_cmpx_gt_u32_e64 s58, v113
	s_cbranch_execz .LBB908_745
; %bb.744:                              ;   in Loop: Header=BB908_722 Depth=2
	global_load_u16 v174, v[62:63], off offset:576
.LBB908_745:                            ;   in Loop: Header=BB908_722 Depth=2
	s_wait_xcnt 0x0
	s_or_b32 exec_lo, exec_lo, s17
	s_wait_loadcnt 0x4
	v_dual_mov_b32 v164, 0xffff8000 :: v_dual_mov_b32 v169, 0xffff8000
	s_mov_b32 s17, exec_lo
	v_cmpx_gt_u32_e64 s58, v114
	s_cbranch_execz .LBB908_747
; %bb.746:                              ;   in Loop: Header=BB908_722 Depth=2
	global_load_u16 v169, v[62:63], off offset:640
.LBB908_747:                            ;   in Loop: Header=BB908_722 Depth=2
	s_wait_xcnt 0x0
	s_or_b32 exec_lo, exec_lo, s17
	s_delay_alu instid0(SALU_CYCLE_1)
	s_mov_b32 s17, exec_lo
	v_cmpx_gt_u32_e64 s58, v115
	s_cbranch_execz .LBB908_749
; %bb.748:                              ;   in Loop: Header=BB908_722 Depth=2
	global_load_u16 v164, v[62:63], off offset:704
.LBB908_749:                            ;   in Loop: Header=BB908_722 Depth=2
	s_wait_xcnt 0x0
	s_or_b32 exec_lo, exec_lo, s17
	s_wait_loadcnt 0x2
	v_dual_mov_b32 v156, 0xffff8000 :: v_dual_mov_b32 v161, 0xffff8000
	;; [unrolled: 19-line block ×3, first 2 shown]
	s_mov_b32 s17, exec_lo
	v_cmpx_gt_u32_e64 s58, v118
	s_cbranch_execz .LBB908_755
; %bb.754:                              ;   in Loop: Header=BB908_722 Depth=2
	global_load_u16 v65, v[62:63], off offset:896
.LBB908_755:                            ;   in Loop: Header=BB908_722 Depth=2
	s_wait_xcnt 0x0
	s_or_b32 exec_lo, exec_lo, s17
	s_delay_alu instid0(SALU_CYCLE_1)
	s_mov_b32 s17, exec_lo
	v_cmpx_gt_u32_e64 s58, v119
	s_cbranch_execz .LBB908_757
; %bb.756:                              ;   in Loop: Header=BB908_722 Depth=2
	global_load_u16 v64, v[62:63], off offset:960
.LBB908_757:                            ;   in Loop: Header=BB908_722 Depth=2
	s_wait_xcnt 0x0
	s_or_b32 exec_lo, exec_lo, s17
	v_cmp_gt_u32_e64 s17, s58, v120
	s_sub_co_i32 s18, s54, s34
.LBB908_758:                            ;   in Loop: Header=BB908_722 Depth=2
	v_dual_mov_b32 v142, -1 :: v_dual_mov_b32 v141, s58
	s_wait_xcnt 0x0
	s_and_saveexec_b32 s19, s17
	s_cbranch_execz .LBB908_760
; %bb.759:                              ;   in Loop: Header=BB908_722 Depth=2
	v_lshl_add_u64 v[62:63], s[34:35], 1, v[26:27]
	v_mov_b32_e32 v141, s18
	global_load_u16 v62, v[62:63], off offset:1024
	s_wait_loadcnt 0x0
	v_xor_b32_e32 v142, 0x7fff, v62
.LBB908_760:                            ;   in Loop: Header=BB908_722 Depth=2
	s_wait_xcnt 0x0
	s_or_b32 exec_lo, exec_lo, s19
	s_wait_loadcnt 0xf
	v_xor_b32_e32 v143, 0x7fff, v143
	ds_store_2addr_b32 v89, v5, v5 offset0:136 offset1:137
	ds_store_2addr_b32 v89, v5, v5 offset0:138 offset1:139
	ds_store_b32 v89, v5 offset:560
	s_wait_loadcnt_dscnt 0x0
	s_barrier_signal -1
	s_barrier_wait -1
	v_and_b32_e32 v62, 0xffff, v143
	; wave barrier
	s_delay_alu instid0(VALU_DEP_1) | instskip(NEXT) | instid1(VALU_DEP_1)
	v_lshrrev_b32_e32 v62, s49, v62
	v_bitop3_b32 v63, v62, 1, s48 bitop3:0x80
	v_and_b32_e32 v146, s48, v62
	s_delay_alu instid0(VALU_DEP_2) | instskip(NEXT) | instid1(VALU_DEP_1)
	v_add_co_u32 v62, s17, v63, -1
	v_cndmask_b32_e64 v63, 0, 1, s17
	s_delay_alu instid0(VALU_DEP_3) | instskip(NEXT) | instid1(VALU_DEP_2)
	v_dual_lshlrev_b32 v144, 30, v146 :: v_dual_lshlrev_b32 v148, 29, v146
	v_cmp_ne_u32_e32 vcc_lo, 0, v63
	s_delay_alu instid0(VALU_DEP_2) | instskip(SKIP_1) | instid1(VALU_DEP_4)
	v_cmp_gt_i32_e64 s17, 0, v144
	v_not_b32_e32 v63, v144
	v_not_b32_e32 v144, v148
	v_cmp_gt_i32_e64 s18, 0, v148
	v_bitop3_b32 v62, vcc_lo, exec_lo, v62 bitop3:0x48
	s_delay_alu instid0(VALU_DEP_3) | instskip(SKIP_2) | instid1(VALU_DEP_3)
	v_dual_ashrrev_i32 v63, 31, v63 :: v_dual_ashrrev_i32 v144, 31, v144
	v_dual_lshlrev_b32 v149, 28, v146 :: v_dual_lshlrev_b32 v150, 27, v146
	v_dual_lshlrev_b32 v152, 26, v146 :: v_dual_lshlrev_b32 v153, 25, v146
	v_xor_b32_e32 v144, s18, v144
	s_delay_alu instid0(VALU_DEP_3)
	v_cmp_gt_i32_e64 s19, 0, v149
	v_not_b32_e32 v148, v149
	v_not_b32_e32 v149, v150
	v_cmp_gt_i32_e64 s20, 0, v150
	v_cmp_gt_i32_e64 s21, 0, v152
	v_not_b32_e32 v150, v152
	v_not_b32_e32 v152, v153
	v_dual_ashrrev_i32 v148, 31, v148 :: v_dual_ashrrev_i32 v149, 31, v149
	s_delay_alu instid0(VALU_DEP_3) | instskip(SKIP_1) | instid1(VALU_DEP_3)
	v_dual_ashrrev_i32 v150, 31, v150 :: v_dual_bitop2_b32 v63, s17, v63 bitop3:0x14
	v_cmp_gt_i32_e64 s22, 0, v153
	v_dual_ashrrev_i32 v152, 31, v152 :: v_dual_bitop2_b32 v149, s20, v149 bitop3:0x14
	s_delay_alu instid0(VALU_DEP_4) | instskip(NEXT) | instid1(VALU_DEP_4)
	v_xor_b32_e32 v148, s19, v148
	v_bitop3_b32 v62, v62, v144, v63 bitop3:0x80
	v_xor_b32_e32 v63, s21, v150
	s_delay_alu instid0(VALU_DEP_4) | instskip(NEXT) | instid1(VALU_DEP_3)
	v_xor_b32_e32 v144, s22, v152
	v_bitop3_b32 v62, v62, v149, v148 bitop3:0x80
	s_delay_alu instid0(VALU_DEP_1) | instskip(SKIP_1) | instid1(VALU_DEP_2)
	v_bitop3_b32 v62, v62, v144, v63 bitop3:0x80
	v_mul_u32_u24_e32 v63, 36, v146
	v_mbcnt_lo_u32_b32 v144, v62, 0
	v_cmp_ne_u32_e64 s17, 0, v62
	s_delay_alu instid0(VALU_DEP_3) | instskip(NEXT) | instid1(VALU_DEP_3)
	v_add_nc_u32_e32 v146, v23, v63
	v_cmp_eq_u32_e32 vcc_lo, 0, v144
	s_and_b32 s18, s17, vcc_lo
	s_delay_alu instid0(SALU_CYCLE_1)
	s_and_saveexec_b32 s17, s18
; %bb.761:                              ;   in Loop: Header=BB908_722 Depth=2
	v_bcnt_u32_b32 v62, v62, 0
	ds_store_b32 v146, v62 offset:544
; %bb.762:                              ;   in Loop: Header=BB908_722 Depth=2
	s_or_b32 exec_lo, exec_lo, s17
	v_xor_b32_e32 v145, 0x7fff, v145
	; wave barrier
	s_delay_alu instid0(VALU_DEP_1) | instskip(NEXT) | instid1(VALU_DEP_1)
	v_and_b32_e32 v62, 0xffff, v145
	v_lshrrev_b32_e32 v62, s49, v62
	s_delay_alu instid0(VALU_DEP_1) | instskip(SKIP_1) | instid1(VALU_DEP_2)
	v_bitop3_b32 v63, v62, 1, s48 bitop3:0x80
	v_and_b32_e32 v150, s48, v62
	v_add_co_u32 v62, s17, v63, -1
	s_delay_alu instid0(VALU_DEP_1) | instskip(NEXT) | instid1(VALU_DEP_3)
	v_cndmask_b32_e64 v63, 0, 1, s17
	v_dual_lshlrev_b32 v148, 30, v150 :: v_dual_lshlrev_b32 v149, 29, v150
	s_delay_alu instid0(VALU_DEP_2) | instskip(NEXT) | instid1(VALU_DEP_2)
	v_cmp_ne_u32_e32 vcc_lo, 0, v63
	v_cmp_gt_i32_e64 s17, 0, v148
	v_not_b32_e32 v63, v148
	s_delay_alu instid0(VALU_DEP_4) | instskip(SKIP_2) | instid1(VALU_DEP_3)
	v_not_b32_e32 v148, v149
	v_cmp_gt_i32_e64 s18, 0, v149
	v_bitop3_b32 v62, vcc_lo, exec_lo, v62 bitop3:0x48
	v_dual_ashrrev_i32 v63, 31, v63 :: v_dual_ashrrev_i32 v148, 31, v148
	v_dual_lshlrev_b32 v152, 28, v150 :: v_dual_lshlrev_b32 v153, 27, v150
	v_dual_lshlrev_b32 v154, 26, v150 :: v_dual_lshlrev_b32 v157, 25, v150
	s_delay_alu instid0(VALU_DEP_2) | instskip(SKIP_1) | instid1(VALU_DEP_4)
	v_cmp_gt_i32_e64 s19, 0, v152
	v_not_b32_e32 v149, v152
	v_cmp_gt_i32_e64 s20, 0, v153
	v_not_b32_e32 v152, v153
	v_cmp_gt_i32_e64 s21, 0, v154
	v_not_b32_e32 v153, v154
	v_not_b32_e32 v154, v157
	v_xor_b32_e32 v63, s17, v63
	v_dual_ashrrev_i32 v149, 31, v149 :: v_dual_bitop2_b32 v148, s18, v148 bitop3:0x14
	s_delay_alu instid0(VALU_DEP_4) | instskip(NEXT) | instid1(VALU_DEP_4)
	v_dual_ashrrev_i32 v152, 31, v152 :: v_dual_ashrrev_i32 v153, 31, v153
	v_ashrrev_i32_e32 v154, 31, v154
	s_delay_alu instid0(VALU_DEP_3)
	v_bitop3_b32 v62, v62, v148, v63 bitop3:0x80
	v_mad_u32_u24 v63, v150, 36, v23
	v_cmp_gt_i32_e64 s22, 0, v157
	v_xor_b32_e32 v152, s20, v152
	v_xor_b32_e32 v153, s21, v153
	ds_load_b32 v148, v63 offset:544
	v_mul_u32_u24_e32 v63, 36, v150
	v_xor_b32_e32 v149, s19, v149
	v_xor_b32_e32 v154, s22, v154
	; wave barrier
	s_delay_alu instid0(VALU_DEP_3) | instskip(NEXT) | instid1(VALU_DEP_3)
	v_add_nc_u32_e32 v150, v23, v63
	v_bitop3_b32 v62, v62, v152, v149 bitop3:0x80
	s_delay_alu instid0(VALU_DEP_1) | instskip(NEXT) | instid1(VALU_DEP_1)
	v_bitop3_b32 v62, v62, v154, v153 bitop3:0x80
	v_mbcnt_lo_u32_b32 v149, v62, 0
	v_cmp_ne_u32_e64 s17, 0, v62
	s_delay_alu instid0(VALU_DEP_2) | instskip(SKIP_1) | instid1(SALU_CYCLE_1)
	v_cmp_eq_u32_e32 vcc_lo, 0, v149
	s_and_b32 s18, s17, vcc_lo
	s_and_saveexec_b32 s17, s18
	s_cbranch_execz .LBB908_764
; %bb.763:                              ;   in Loop: Header=BB908_722 Depth=2
	s_wait_dscnt 0x0
	v_bcnt_u32_b32 v62, v62, v148
	ds_store_b32 v150, v62 offset:544
.LBB908_764:                            ;   in Loop: Header=BB908_722 Depth=2
	s_or_b32 exec_lo, exec_lo, s17
	v_xor_b32_e32 v147, 0x7fff, v147
	; wave barrier
	s_delay_alu instid0(VALU_DEP_1) | instskip(NEXT) | instid1(VALU_DEP_1)
	v_and_b32_e32 v62, 0xffff, v147
	v_lshrrev_b32_e32 v62, s49, v62
	s_delay_alu instid0(VALU_DEP_1) | instskip(SKIP_1) | instid1(VALU_DEP_2)
	v_bitop3_b32 v63, v62, 1, s48 bitop3:0x80
	v_and_b32_e32 v154, s48, v62
	v_add_co_u32 v62, s17, v63, -1
	s_delay_alu instid0(VALU_DEP_1) | instskip(NEXT) | instid1(VALU_DEP_3)
	v_cndmask_b32_e64 v63, 0, 1, s17
	v_dual_lshlrev_b32 v152, 30, v154 :: v_dual_lshlrev_b32 v153, 29, v154
	s_delay_alu instid0(VALU_DEP_2) | instskip(NEXT) | instid1(VALU_DEP_2)
	v_cmp_ne_u32_e32 vcc_lo, 0, v63
	v_cmp_gt_i32_e64 s17, 0, v152
	v_not_b32_e32 v63, v152
	s_delay_alu instid0(VALU_DEP_4) | instskip(SKIP_2) | instid1(VALU_DEP_3)
	v_not_b32_e32 v152, v153
	v_cmp_gt_i32_e64 s18, 0, v153
	v_bitop3_b32 v62, vcc_lo, exec_lo, v62 bitop3:0x48
	v_dual_ashrrev_i32 v63, 31, v63 :: v_dual_ashrrev_i32 v152, 31, v152
	v_dual_lshlrev_b32 v157, 28, v154 :: v_dual_lshlrev_b32 v158, 27, v154
	v_dual_lshlrev_b32 v159, 26, v154 :: v_dual_lshlrev_b32 v162, 25, v154
	s_delay_alu instid0(VALU_DEP_3) | instskip(NEXT) | instid1(VALU_DEP_3)
	v_xor_b32_e32 v63, s17, v63
	v_cmp_gt_i32_e64 s19, 0, v157
	v_not_b32_e32 v153, v157
	v_not_b32_e32 v157, v158
	v_xor_b32_e32 v152, s18, v152
	v_cmp_gt_i32_e64 s20, 0, v158
	v_cmp_gt_i32_e64 s21, 0, v159
	v_ashrrev_i32_e32 v153, 31, v153
	v_ashrrev_i32_e32 v157, 31, v157
	v_not_b32_e32 v158, v159
	v_not_b32_e32 v159, v162
	v_bitop3_b32 v62, v62, v152, v63 bitop3:0x80
	v_mad_u32_u24 v63, v154, 36, v23
	v_cmp_gt_i32_e64 s22, 0, v162
	s_delay_alu instid0(VALU_DEP_4)
	v_dual_ashrrev_i32 v158, 31, v158 :: v_dual_ashrrev_i32 v159, 31, v159
	v_xor_b32_e32 v157, s20, v157
	ds_load_b32 v152, v63 offset:544
	v_mul_u32_u24_e32 v63, 36, v154
	v_xor_b32_e32 v153, s19, v153
	v_xor_b32_e32 v158, s21, v158
	v_xor_b32_e32 v159, s22, v159
	s_delay_alu instid0(VALU_DEP_4) | instskip(NEXT) | instid1(VALU_DEP_4)
	v_add_nc_u32_e32 v154, v23, v63
	v_bitop3_b32 v62, v62, v157, v153 bitop3:0x80
	; wave barrier
	s_delay_alu instid0(VALU_DEP_1) | instskip(NEXT) | instid1(VALU_DEP_1)
	v_bitop3_b32 v62, v62, v159, v158 bitop3:0x80
	v_mbcnt_lo_u32_b32 v153, v62, 0
	v_cmp_ne_u32_e64 s17, 0, v62
	s_delay_alu instid0(VALU_DEP_2) | instskip(SKIP_1) | instid1(SALU_CYCLE_1)
	v_cmp_eq_u32_e32 vcc_lo, 0, v153
	s_and_b32 s18, s17, vcc_lo
	s_and_saveexec_b32 s17, s18
	s_cbranch_execz .LBB908_766
; %bb.765:                              ;   in Loop: Header=BB908_722 Depth=2
	s_wait_dscnt 0x0
	v_bcnt_u32_b32 v62, v62, v152
	ds_store_b32 v154, v62 offset:544
.LBB908_766:                            ;   in Loop: Header=BB908_722 Depth=2
	s_or_b32 exec_lo, exec_lo, s17
	v_xor_b32_e32 v151, 0x7fff, v151
	; wave barrier
	s_delay_alu instid0(VALU_DEP_1) | instskip(NEXT) | instid1(VALU_DEP_1)
	v_and_b32_e32 v62, 0xffff, v151
	v_lshrrev_b32_e32 v62, s49, v62
	s_delay_alu instid0(VALU_DEP_1) | instskip(NEXT) | instid1(VALU_DEP_1)
	v_and_b32_e32 v159, s48, v62
	v_lshlrev_b32_e32 v157, 30, v159
	v_bitop3_b32 v63, v62, 1, s48 bitop3:0x80
	s_delay_alu instid0(VALU_DEP_1) | instskip(NEXT) | instid1(VALU_DEP_1)
	v_add_co_u32 v62, s17, v63, -1
	v_cndmask_b32_e64 v63, 0, 1, s17
	s_delay_alu instid0(VALU_DEP_4) | instskip(NEXT) | instid1(VALU_DEP_2)
	v_cmp_gt_i32_e64 s17, 0, v157
	v_cmp_ne_u32_e32 vcc_lo, 0, v63
	v_not_b32_e32 v63, v157
	v_bitop3_b32 v62, vcc_lo, exec_lo, v62 bitop3:0x48
	s_delay_alu instid0(VALU_DEP_2) | instskip(SKIP_2) | instid1(VALU_DEP_3)
	v_ashrrev_i32_e32 v63, 31, v63
	v_dual_lshlrev_b32 v158, 29, v159 :: v_dual_lshlrev_b32 v162, 28, v159
	v_dual_lshlrev_b32 v163, 27, v159 :: v_dual_lshlrev_b32 v165, 26, v159
	v_xor_b32_e32 v63, s17, v63
	s_delay_alu instid0(VALU_DEP_3)
	v_not_b32_e32 v157, v158
	v_lshlrev_b32_e32 v167, 25, v159
	v_cmp_gt_i32_e64 s18, 0, v158
	v_cmp_gt_i32_e64 s19, 0, v162
	v_not_b32_e32 v158, v162
	v_not_b32_e32 v162, v163
	v_ashrrev_i32_e32 v157, 31, v157
	v_cmp_gt_i32_e64 s20, 0, v163
	v_cmp_gt_i32_e64 s21, 0, v165
	v_ashrrev_i32_e32 v158, 31, v158
	s_delay_alu instid0(VALU_DEP_4) | instskip(SKIP_3) | instid1(VALU_DEP_4)
	v_dual_ashrrev_i32 v162, 31, v162 :: v_dual_bitop2_b32 v157, s18, v157 bitop3:0x14
	v_not_b32_e32 v163, v165
	v_not_b32_e32 v165, v167
	v_cmp_gt_i32_e64 s22, 0, v167
	v_xor_b32_e32 v162, s20, v162
	v_bitop3_b32 v62, v62, v157, v63 bitop3:0x80
	v_mad_u32_u24 v63, v159, 36, v23
	v_dual_ashrrev_i32 v163, 31, v163 :: v_dual_ashrrev_i32 v165, 31, v165
	ds_load_b32 v157, v63 offset:544
	v_mul_u32_u24_e32 v63, 36, v159
	v_xor_b32_e32 v158, s19, v158
	v_xor_b32_e32 v163, s21, v163
	v_xor_b32_e32 v165, s22, v165
	s_delay_alu instid0(VALU_DEP_4) | instskip(NEXT) | instid1(VALU_DEP_4)
	v_add_nc_u32_e32 v159, v23, v63
	v_bitop3_b32 v62, v62, v162, v158 bitop3:0x80
	; wave barrier
	s_delay_alu instid0(VALU_DEP_1) | instskip(NEXT) | instid1(VALU_DEP_1)
	v_bitop3_b32 v62, v62, v165, v163 bitop3:0x80
	v_mbcnt_lo_u32_b32 v158, v62, 0
	v_cmp_ne_u32_e64 s17, 0, v62
	s_delay_alu instid0(VALU_DEP_2) | instskip(SKIP_1) | instid1(SALU_CYCLE_1)
	v_cmp_eq_u32_e32 vcc_lo, 0, v158
	s_and_b32 s18, s17, vcc_lo
	s_and_saveexec_b32 s17, s18
	s_cbranch_execz .LBB908_768
; %bb.767:                              ;   in Loop: Header=BB908_722 Depth=2
	s_wait_dscnt 0x0
	v_bcnt_u32_b32 v62, v62, v157
	ds_store_b32 v159, v62 offset:544
.LBB908_768:                            ;   in Loop: Header=BB908_722 Depth=2
	s_or_b32 exec_lo, exec_lo, s17
	v_xor_b32_e32 v155, 0x7fff, v155
	; wave barrier
	s_delay_alu instid0(VALU_DEP_1) | instskip(NEXT) | instid1(VALU_DEP_1)
	v_and_b32_e32 v62, 0xffff, v155
	v_lshrrev_b32_e32 v62, s49, v62
	s_delay_alu instid0(VALU_DEP_1) | instskip(NEXT) | instid1(VALU_DEP_1)
	v_and_b32_e32 v165, s48, v62
	v_lshlrev_b32_e32 v162, 30, v165
	v_bitop3_b32 v63, v62, 1, s48 bitop3:0x80
	s_delay_alu instid0(VALU_DEP_1) | instskip(NEXT) | instid1(VALU_DEP_1)
	v_add_co_u32 v62, s17, v63, -1
	v_cndmask_b32_e64 v63, 0, 1, s17
	s_delay_alu instid0(VALU_DEP_4) | instskip(NEXT) | instid1(VALU_DEP_2)
	v_cmp_gt_i32_e64 s17, 0, v162
	v_cmp_ne_u32_e32 vcc_lo, 0, v63
	v_not_b32_e32 v63, v162
	v_bitop3_b32 v62, vcc_lo, exec_lo, v62 bitop3:0x48
	s_delay_alu instid0(VALU_DEP_2) | instskip(SKIP_2) | instid1(VALU_DEP_3)
	v_dual_ashrrev_i32 v63, 31, v63 :: v_dual_lshlrev_b32 v163, 29, v165
	v_dual_lshlrev_b32 v167, 28, v165 :: v_dual_lshlrev_b32 v168, 27, v165
	v_lshlrev_b32_e32 v170, 26, v165
	v_not_b32_e32 v162, v163
	v_lshlrev_b32_e32 v172, 25, v165
	v_cmp_gt_i32_e64 s18, 0, v163
	v_cmp_gt_i32_e64 s19, 0, v167
	v_not_b32_e32 v163, v167
	v_not_b32_e32 v167, v168
	v_ashrrev_i32_e32 v162, 31, v162
	v_cmp_gt_i32_e64 s20, 0, v168
	v_cmp_gt_i32_e64 s21, 0, v170
	v_not_b32_e32 v168, v170
	v_not_b32_e32 v170, v172
	v_dual_ashrrev_i32 v163, 31, v163 :: v_dual_bitop2_b32 v162, s18, v162 bitop3:0x14
	s_delay_alu instid0(VALU_DEP_3) | instskip(NEXT) | instid1(VALU_DEP_3)
	v_dual_ashrrev_i32 v167, 31, v167 :: v_dual_ashrrev_i32 v168, 31, v168
	v_dual_ashrrev_i32 v170, 31, v170 :: v_dual_bitop2_b32 v63, s17, v63 bitop3:0x14
	v_cmp_gt_i32_e64 s22, 0, v172
	s_delay_alu instid0(VALU_DEP_4) | instskip(NEXT) | instid1(VALU_DEP_4)
	v_xor_b32_e32 v163, s19, v163
	v_xor_b32_e32 v167, s20, v167
	s_delay_alu instid0(VALU_DEP_4) | instskip(SKIP_2) | instid1(VALU_DEP_3)
	v_bitop3_b32 v62, v62, v162, v63 bitop3:0x80
	v_mad_u32_u24 v63, v165, 36, v23
	v_xor_b32_e32 v170, s22, v170
	v_bitop3_b32 v62, v62, v167, v163 bitop3:0x80
	ds_load_b32 v162, v63 offset:544
	v_mul_u32_u24_e32 v63, 36, v165
	v_xor_b32_e32 v168, s21, v168
	; wave barrier
	s_delay_alu instid0(VALU_DEP_2) | instskip(NEXT) | instid1(VALU_DEP_2)
	v_add_nc_u32_e32 v165, v23, v63
	v_bitop3_b32 v62, v62, v170, v168 bitop3:0x80
	s_delay_alu instid0(VALU_DEP_1) | instskip(SKIP_1) | instid1(VALU_DEP_2)
	v_mbcnt_lo_u32_b32 v163, v62, 0
	v_cmp_ne_u32_e64 s17, 0, v62
	v_cmp_eq_u32_e32 vcc_lo, 0, v163
	s_and_b32 s18, s17, vcc_lo
	s_delay_alu instid0(SALU_CYCLE_1)
	s_and_saveexec_b32 s17, s18
	s_cbranch_execz .LBB908_770
; %bb.769:                              ;   in Loop: Header=BB908_722 Depth=2
	s_wait_dscnt 0x0
	v_bcnt_u32_b32 v62, v62, v162
	ds_store_b32 v165, v62 offset:544
.LBB908_770:                            ;   in Loop: Header=BB908_722 Depth=2
	s_or_b32 exec_lo, exec_lo, s17
	v_xor_b32_e32 v160, 0x7fff, v160
	; wave barrier
	s_delay_alu instid0(VALU_DEP_1) | instskip(NEXT) | instid1(VALU_DEP_1)
	v_and_b32_e32 v62, 0xffff, v160
	v_lshrrev_b32_e32 v62, s49, v62
	s_delay_alu instid0(VALU_DEP_1) | instskip(SKIP_1) | instid1(VALU_DEP_2)
	v_bitop3_b32 v63, v62, 1, s48 bitop3:0x80
	v_and_b32_e32 v170, s48, v62
	v_add_co_u32 v62, s17, v63, -1
	s_delay_alu instid0(VALU_DEP_1) | instskip(NEXT) | instid1(VALU_DEP_3)
	v_cndmask_b32_e64 v63, 0, 1, s17
	v_dual_lshlrev_b32 v167, 30, v170 :: v_dual_lshlrev_b32 v168, 29, v170
	s_delay_alu instid0(VALU_DEP_2) | instskip(NEXT) | instid1(VALU_DEP_2)
	v_cmp_ne_u32_e32 vcc_lo, 0, v63
	v_cmp_gt_i32_e64 s17, 0, v167
	v_not_b32_e32 v63, v167
	s_delay_alu instid0(VALU_DEP_4) | instskip(SKIP_2) | instid1(VALU_DEP_4)
	v_not_b32_e32 v167, v168
	v_cmp_gt_i32_e64 s18, 0, v168
	v_bitop3_b32 v62, vcc_lo, exec_lo, v62 bitop3:0x48
	v_ashrrev_i32_e32 v63, 31, v63
	s_delay_alu instid0(VALU_DEP_4) | instskip(SKIP_1) | instid1(VALU_DEP_3)
	v_dual_ashrrev_i32 v167, 31, v167 :: v_dual_lshlrev_b32 v172, 28, v170
	v_dual_lshlrev_b32 v173, 27, v170 :: v_dual_lshlrev_b32 v175, 26, v170
	v_dual_lshlrev_b32 v177, 25, v170 :: v_dual_bitop2_b32 v63, s17, v63 bitop3:0x14
	s_delay_alu instid0(VALU_DEP_3) | instskip(SKIP_1) | instid1(VALU_DEP_4)
	v_cmp_gt_i32_e64 s19, 0, v172
	v_not_b32_e32 v168, v172
	v_not_b32_e32 v172, v173
	v_xor_b32_e32 v167, s18, v167
	v_cmp_gt_i32_e64 s20, 0, v173
	v_cmp_gt_i32_e64 s21, 0, v175
	v_ashrrev_i32_e32 v168, 31, v168
	v_ashrrev_i32_e32 v172, 31, v172
	v_not_b32_e32 v173, v175
	v_not_b32_e32 v175, v177
	v_bitop3_b32 v62, v62, v167, v63 bitop3:0x80
	v_mad_u32_u24 v63, v170, 36, v23
	v_cmp_gt_i32_e64 s22, 0, v177
	s_delay_alu instid0(VALU_DEP_4)
	v_dual_ashrrev_i32 v173, 31, v173 :: v_dual_ashrrev_i32 v175, 31, v175
	v_xor_b32_e32 v172, s20, v172
	ds_load_b32 v167, v63 offset:544
	v_mul_u32_u24_e32 v63, 36, v170
	v_xor_b32_e32 v168, s19, v168
	v_xor_b32_e32 v173, s21, v173
	;; [unrolled: 1-line block ×3, first 2 shown]
	s_delay_alu instid0(VALU_DEP_4) | instskip(NEXT) | instid1(VALU_DEP_4)
	v_add_nc_u32_e32 v170, v23, v63
	v_bitop3_b32 v62, v62, v172, v168 bitop3:0x80
	; wave barrier
	s_delay_alu instid0(VALU_DEP_1) | instskip(NEXT) | instid1(VALU_DEP_1)
	v_bitop3_b32 v62, v62, v175, v173 bitop3:0x80
	v_mbcnt_lo_u32_b32 v168, v62, 0
	v_cmp_ne_u32_e64 s17, 0, v62
	s_delay_alu instid0(VALU_DEP_2) | instskip(SKIP_1) | instid1(SALU_CYCLE_1)
	v_cmp_eq_u32_e32 vcc_lo, 0, v168
	s_and_b32 s18, s17, vcc_lo
	s_and_saveexec_b32 s17, s18
	s_cbranch_execz .LBB908_772
; %bb.771:                              ;   in Loop: Header=BB908_722 Depth=2
	s_wait_dscnt 0x0
	v_bcnt_u32_b32 v62, v62, v167
	ds_store_b32 v170, v62 offset:544
.LBB908_772:                            ;   in Loop: Header=BB908_722 Depth=2
	s_or_b32 exec_lo, exec_lo, s17
	v_xor_b32_e32 v166, 0x7fff, v166
	; wave barrier
	s_delay_alu instid0(VALU_DEP_1) | instskip(NEXT) | instid1(VALU_DEP_1)
	v_and_b32_e32 v62, 0xffff, v166
	v_lshrrev_b32_e32 v62, s49, v62
	s_delay_alu instid0(VALU_DEP_1) | instskip(NEXT) | instid1(VALU_DEP_1)
	v_and_b32_e32 v175, s48, v62
	v_lshlrev_b32_e32 v172, 30, v175
	v_bitop3_b32 v63, v62, 1, s48 bitop3:0x80
	s_delay_alu instid0(VALU_DEP_1) | instskip(NEXT) | instid1(VALU_DEP_1)
	v_add_co_u32 v62, s17, v63, -1
	v_cndmask_b32_e64 v63, 0, 1, s17
	s_delay_alu instid0(VALU_DEP_4) | instskip(NEXT) | instid1(VALU_DEP_2)
	v_cmp_gt_i32_e64 s17, 0, v172
	v_cmp_ne_u32_e32 vcc_lo, 0, v63
	v_not_b32_e32 v63, v172
	v_bitop3_b32 v62, vcc_lo, exec_lo, v62 bitop3:0x48
	s_delay_alu instid0(VALU_DEP_2) | instskip(SKIP_2) | instid1(VALU_DEP_3)
	v_ashrrev_i32_e32 v63, 31, v63
	v_dual_lshlrev_b32 v173, 29, v175 :: v_dual_lshlrev_b32 v177, 28, v175
	v_dual_lshlrev_b32 v178, 27, v175 :: v_dual_lshlrev_b32 v179, 26, v175
	v_xor_b32_e32 v63, s17, v63
	s_delay_alu instid0(VALU_DEP_3)
	v_not_b32_e32 v172, v173
	v_lshlrev_b32_e32 v180, 25, v175
	v_cmp_gt_i32_e64 s18, 0, v173
	v_cmp_gt_i32_e64 s19, 0, v177
	v_not_b32_e32 v173, v177
	v_not_b32_e32 v177, v178
	v_ashrrev_i32_e32 v172, 31, v172
	v_cmp_gt_i32_e64 s20, 0, v178
	v_cmp_gt_i32_e64 s21, 0, v179
	v_ashrrev_i32_e32 v173, 31, v173
	s_delay_alu instid0(VALU_DEP_4) | instskip(SKIP_3) | instid1(VALU_DEP_4)
	v_dual_ashrrev_i32 v177, 31, v177 :: v_dual_bitop2_b32 v172, s18, v172 bitop3:0x14
	v_not_b32_e32 v178, v179
	v_not_b32_e32 v179, v180
	v_cmp_gt_i32_e64 s22, 0, v180
	v_xor_b32_e32 v177, s20, v177
	v_bitop3_b32 v62, v62, v172, v63 bitop3:0x80
	v_mad_u32_u24 v63, v175, 36, v23
	v_dual_ashrrev_i32 v178, 31, v178 :: v_dual_ashrrev_i32 v179, 31, v179
	ds_load_b32 v172, v63 offset:544
	v_mul_u32_u24_e32 v63, 36, v175
	v_xor_b32_e32 v173, s19, v173
	v_xor_b32_e32 v178, s21, v178
	;; [unrolled: 1-line block ×3, first 2 shown]
	s_delay_alu instid0(VALU_DEP_4) | instskip(NEXT) | instid1(VALU_DEP_4)
	v_add_nc_u32_e32 v175, v23, v63
	v_bitop3_b32 v62, v62, v177, v173 bitop3:0x80
	; wave barrier
	s_delay_alu instid0(VALU_DEP_1) | instskip(NEXT) | instid1(VALU_DEP_1)
	v_bitop3_b32 v62, v62, v179, v178 bitop3:0x80
	v_mbcnt_lo_u32_b32 v173, v62, 0
	v_cmp_ne_u32_e64 s17, 0, v62
	s_delay_alu instid0(VALU_DEP_2) | instskip(SKIP_1) | instid1(SALU_CYCLE_1)
	v_cmp_eq_u32_e32 vcc_lo, 0, v173
	s_and_b32 s18, s17, vcc_lo
	s_and_saveexec_b32 s17, s18
	s_cbranch_execz .LBB908_774
; %bb.773:                              ;   in Loop: Header=BB908_722 Depth=2
	s_wait_dscnt 0x0
	v_bcnt_u32_b32 v62, v62, v172
	ds_store_b32 v175, v62 offset:544
.LBB908_774:                            ;   in Loop: Header=BB908_722 Depth=2
	s_or_b32 exec_lo, exec_lo, s17
	v_xor_b32_e32 v171, 0x7fff, v171
	; wave barrier
	s_delay_alu instid0(VALU_DEP_1) | instskip(NEXT) | instid1(VALU_DEP_1)
	v_and_b32_e32 v62, 0xffff, v171
	v_lshrrev_b32_e32 v62, s49, v62
	s_delay_alu instid0(VALU_DEP_1) | instskip(NEXT) | instid1(VALU_DEP_1)
	v_and_b32_e32 v179, s48, v62
	v_lshlrev_b32_e32 v177, 30, v179
	v_bitop3_b32 v63, v62, 1, s48 bitop3:0x80
	s_delay_alu instid0(VALU_DEP_1) | instskip(NEXT) | instid1(VALU_DEP_1)
	v_add_co_u32 v62, s17, v63, -1
	v_cndmask_b32_e64 v63, 0, 1, s17
	s_delay_alu instid0(VALU_DEP_4) | instskip(NEXT) | instid1(VALU_DEP_2)
	v_cmp_gt_i32_e64 s17, 0, v177
	v_cmp_ne_u32_e32 vcc_lo, 0, v63
	v_not_b32_e32 v63, v177
	v_bitop3_b32 v62, vcc_lo, exec_lo, v62 bitop3:0x48
	s_delay_alu instid0(VALU_DEP_2) | instskip(SKIP_2) | instid1(VALU_DEP_2)
	v_ashrrev_i32_e32 v63, 31, v63
	v_dual_lshlrev_b32 v178, 29, v179 :: v_dual_lshlrev_b32 v180, 28, v179
	v_dual_lshlrev_b32 v181, 27, v179 :: v_dual_lshlrev_b32 v182, 26, v179
	v_not_b32_e32 v177, v178
	v_lshlrev_b32_e32 v183, 25, v179
	v_cmp_gt_i32_e64 s18, 0, v178
	v_cmp_gt_i32_e64 s19, 0, v180
	v_not_b32_e32 v178, v180
	v_ashrrev_i32_e32 v177, 31, v177
	v_cmp_gt_i32_e64 s20, 0, v181
	v_not_b32_e32 v180, v181
	v_cmp_gt_i32_e64 s21, 0, v182
	v_not_b32_e32 v181, v182
	v_not_b32_e32 v182, v183
	v_xor_b32_e32 v63, s17, v63
	v_dual_ashrrev_i32 v178, 31, v178 :: v_dual_bitop2_b32 v177, s18, v177 bitop3:0x14
	s_delay_alu instid0(VALU_DEP_4) | instskip(NEXT) | instid1(VALU_DEP_4)
	v_dual_ashrrev_i32 v180, 31, v180 :: v_dual_ashrrev_i32 v181, 31, v181
	v_ashrrev_i32_e32 v182, 31, v182
	s_delay_alu instid0(VALU_DEP_3)
	v_bitop3_b32 v62, v62, v177, v63 bitop3:0x80
	v_mad_u32_u24 v63, v179, 36, v23
	v_cmp_gt_i32_e64 s22, 0, v183
	v_xor_b32_e32 v180, s20, v180
	v_xor_b32_e32 v181, s21, v181
	ds_load_b32 v177, v63 offset:544
	v_mul_u32_u24_e32 v63, 36, v179
	v_xor_b32_e32 v178, s19, v178
	v_xor_b32_e32 v182, s22, v182
	; wave barrier
	s_delay_alu instid0(VALU_DEP_3) | instskip(NEXT) | instid1(VALU_DEP_3)
	v_add_nc_u32_e32 v179, v23, v63
	v_bitop3_b32 v62, v62, v180, v178 bitop3:0x80
	s_delay_alu instid0(VALU_DEP_1) | instskip(NEXT) | instid1(VALU_DEP_1)
	v_bitop3_b32 v62, v62, v182, v181 bitop3:0x80
	v_mbcnt_lo_u32_b32 v178, v62, 0
	v_cmp_ne_u32_e64 s17, 0, v62
	s_delay_alu instid0(VALU_DEP_2) | instskip(SKIP_1) | instid1(SALU_CYCLE_1)
	v_cmp_eq_u32_e32 vcc_lo, 0, v178
	s_and_b32 s18, s17, vcc_lo
	s_and_saveexec_b32 s17, s18
	s_cbranch_execz .LBB908_776
; %bb.775:                              ;   in Loop: Header=BB908_722 Depth=2
	s_wait_dscnt 0x0
	v_bcnt_u32_b32 v62, v62, v177
	ds_store_b32 v179, v62 offset:544
.LBB908_776:                            ;   in Loop: Header=BB908_722 Depth=2
	s_or_b32 exec_lo, exec_lo, s17
	v_xor_b32_e32 v176, 0x7fff, v176
	; wave barrier
	s_delay_alu instid0(VALU_DEP_1) | instskip(NEXT) | instid1(VALU_DEP_1)
	v_and_b32_e32 v62, 0xffff, v176
	v_lshrrev_b32_e32 v62, s49, v62
	s_delay_alu instid0(VALU_DEP_1) | instskip(SKIP_1) | instid1(VALU_DEP_2)
	v_bitop3_b32 v63, v62, 1, s48 bitop3:0x80
	v_and_b32_e32 v182, s48, v62
	v_add_co_u32 v62, s17, v63, -1
	s_delay_alu instid0(VALU_DEP_1) | instskip(NEXT) | instid1(VALU_DEP_3)
	v_cndmask_b32_e64 v63, 0, 1, s17
	v_dual_lshlrev_b32 v180, 30, v182 :: v_dual_lshlrev_b32 v181, 29, v182
	s_delay_alu instid0(VALU_DEP_2) | instskip(NEXT) | instid1(VALU_DEP_2)
	v_cmp_ne_u32_e32 vcc_lo, 0, v63
	v_cmp_gt_i32_e64 s17, 0, v180
	v_not_b32_e32 v63, v180
	s_delay_alu instid0(VALU_DEP_4) | instskip(SKIP_2) | instid1(VALU_DEP_3)
	v_not_b32_e32 v180, v181
	v_cmp_gt_i32_e64 s18, 0, v181
	v_bitop3_b32 v62, vcc_lo, exec_lo, v62 bitop3:0x48
	v_dual_ashrrev_i32 v63, 31, v63 :: v_dual_ashrrev_i32 v180, 31, v180
	v_dual_lshlrev_b32 v183, 28, v182 :: v_dual_lshlrev_b32 v184, 27, v182
	v_dual_lshlrev_b32 v185, 26, v182 :: v_dual_lshlrev_b32 v186, 25, v182
	s_delay_alu instid0(VALU_DEP_2) | instskip(SKIP_1) | instid1(VALU_DEP_4)
	v_cmp_gt_i32_e64 s19, 0, v183
	v_not_b32_e32 v181, v183
	v_cmp_gt_i32_e64 s20, 0, v184
	v_not_b32_e32 v183, v184
	v_cmp_gt_i32_e64 s21, 0, v185
	v_not_b32_e32 v184, v185
	v_not_b32_e32 v185, v186
	v_xor_b32_e32 v63, s17, v63
	v_dual_ashrrev_i32 v181, 31, v181 :: v_dual_bitop2_b32 v180, s18, v180 bitop3:0x14
	s_delay_alu instid0(VALU_DEP_4) | instskip(NEXT) | instid1(VALU_DEP_4)
	v_dual_ashrrev_i32 v183, 31, v183 :: v_dual_ashrrev_i32 v184, 31, v184
	v_ashrrev_i32_e32 v185, 31, v185
	s_delay_alu instid0(VALU_DEP_3)
	v_bitop3_b32 v62, v62, v180, v63 bitop3:0x80
	v_mad_u32_u24 v63, v182, 36, v23
	v_cmp_gt_i32_e64 s22, 0, v186
	v_xor_b32_e32 v183, s20, v183
	v_xor_b32_e32 v184, s21, v184
	ds_load_b32 v180, v63 offset:544
	v_mul_u32_u24_e32 v63, 36, v182
	v_xor_b32_e32 v181, s19, v181
	v_xor_b32_e32 v185, s22, v185
	; wave barrier
	s_delay_alu instid0(VALU_DEP_3) | instskip(NEXT) | instid1(VALU_DEP_3)
	v_add_nc_u32_e32 v182, v23, v63
	v_bitop3_b32 v62, v62, v183, v181 bitop3:0x80
	s_delay_alu instid0(VALU_DEP_1) | instskip(NEXT) | instid1(VALU_DEP_1)
	v_bitop3_b32 v62, v62, v185, v184 bitop3:0x80
	v_mbcnt_lo_u32_b32 v181, v62, 0
	v_cmp_ne_u32_e64 s17, 0, v62
	s_delay_alu instid0(VALU_DEP_2) | instskip(SKIP_1) | instid1(SALU_CYCLE_1)
	v_cmp_eq_u32_e32 vcc_lo, 0, v181
	s_and_b32 s18, s17, vcc_lo
	s_and_saveexec_b32 s17, s18
	s_cbranch_execz .LBB908_778
; %bb.777:                              ;   in Loop: Header=BB908_722 Depth=2
	s_wait_dscnt 0x0
	v_bcnt_u32_b32 v62, v62, v180
	ds_store_b32 v182, v62 offset:544
.LBB908_778:                            ;   in Loop: Header=BB908_722 Depth=2
	s_or_b32 exec_lo, exec_lo, s17
	v_xor_b32_e32 v174, 0x7fff, v174
	; wave barrier
	s_delay_alu instid0(VALU_DEP_1) | instskip(NEXT) | instid1(VALU_DEP_1)
	v_and_b32_e32 v62, 0xffff, v174
	v_lshrrev_b32_e32 v62, s49, v62
	s_delay_alu instid0(VALU_DEP_1) | instskip(NEXT) | instid1(VALU_DEP_1)
	v_and_b32_e32 v185, s48, v62
	v_lshlrev_b32_e32 v183, 30, v185
	v_bitop3_b32 v63, v62, 1, s48 bitop3:0x80
	s_delay_alu instid0(VALU_DEP_1) | instskip(NEXT) | instid1(VALU_DEP_1)
	v_add_co_u32 v62, s17, v63, -1
	v_cndmask_b32_e64 v63, 0, 1, s17
	s_delay_alu instid0(VALU_DEP_4) | instskip(NEXT) | instid1(VALU_DEP_2)
	v_cmp_gt_i32_e64 s17, 0, v183
	v_cmp_ne_u32_e32 vcc_lo, 0, v63
	v_not_b32_e32 v63, v183
	v_bitop3_b32 v62, vcc_lo, exec_lo, v62 bitop3:0x48
	s_delay_alu instid0(VALU_DEP_2) | instskip(SKIP_2) | instid1(VALU_DEP_3)
	v_dual_ashrrev_i32 v63, 31, v63 :: v_dual_lshlrev_b32 v184, 29, v185
	v_dual_lshlrev_b32 v186, 28, v185 :: v_dual_lshlrev_b32 v187, 27, v185
	v_lshlrev_b32_e32 v188, 26, v185
	v_not_b32_e32 v183, v184
	v_lshlrev_b32_e32 v189, 25, v185
	v_cmp_gt_i32_e64 s18, 0, v184
	v_cmp_gt_i32_e64 s19, 0, v186
	v_not_b32_e32 v184, v186
	v_ashrrev_i32_e32 v183, 31, v183
	v_cmp_gt_i32_e64 s20, 0, v187
	v_not_b32_e32 v186, v187
	v_cmp_gt_i32_e64 s21, 0, v188
	v_not_b32_e32 v187, v188
	v_not_b32_e32 v188, v189
	v_xor_b32_e32 v63, s17, v63
	v_dual_ashrrev_i32 v184, 31, v184 :: v_dual_bitop2_b32 v183, s18, v183 bitop3:0x14
	s_delay_alu instid0(VALU_DEP_3) | instskip(SKIP_1) | instid1(VALU_DEP_3)
	v_dual_ashrrev_i32 v186, 31, v186 :: v_dual_ashrrev_i32 v188, 31, v188
	v_cmp_gt_i32_e64 s22, 0, v189
	v_bitop3_b32 v62, v62, v183, v63 bitop3:0x80
	v_mad_u32_u24 v63, v185, 36, v23
	v_dual_ashrrev_i32 v187, 31, v187 :: v_dual_bitop2_b32 v184, s19, v184 bitop3:0x14
	s_delay_alu instid0(VALU_DEP_4) | instskip(SKIP_4) | instid1(VALU_DEP_3)
	v_xor_b32_e32 v188, s22, v188
	ds_load_b32 v183, v63 offset:544
	v_mul_u32_u24_e32 v63, 36, v185
	v_xor_b32_e32 v186, s20, v186
	v_xor_b32_e32 v187, s21, v187
	; wave barrier
	v_add_nc_u32_e32 v185, v23, v63
	s_delay_alu instid0(VALU_DEP_3) | instskip(NEXT) | instid1(VALU_DEP_1)
	v_bitop3_b32 v62, v62, v186, v184 bitop3:0x80
	v_bitop3_b32 v62, v62, v188, v187 bitop3:0x80
	s_delay_alu instid0(VALU_DEP_1) | instskip(SKIP_1) | instid1(VALU_DEP_2)
	v_mbcnt_lo_u32_b32 v184, v62, 0
	v_cmp_ne_u32_e64 s17, 0, v62
	v_cmp_eq_u32_e32 vcc_lo, 0, v184
	s_and_b32 s18, s17, vcc_lo
	s_delay_alu instid0(SALU_CYCLE_1)
	s_and_saveexec_b32 s17, s18
	s_cbranch_execz .LBB908_780
; %bb.779:                              ;   in Loop: Header=BB908_722 Depth=2
	s_wait_dscnt 0x0
	v_bcnt_u32_b32 v62, v62, v183
	ds_store_b32 v185, v62 offset:544
.LBB908_780:                            ;   in Loop: Header=BB908_722 Depth=2
	s_or_b32 exec_lo, exec_lo, s17
	v_xor_b32_e32 v169, 0x7fff, v169
	; wave barrier
	s_delay_alu instid0(VALU_DEP_1) | instskip(NEXT) | instid1(VALU_DEP_1)
	v_and_b32_e32 v62, 0xffff, v169
	v_lshrrev_b32_e32 v62, s49, v62
	s_delay_alu instid0(VALU_DEP_1) | instskip(SKIP_1) | instid1(VALU_DEP_2)
	v_bitop3_b32 v63, v62, 1, s48 bitop3:0x80
	v_and_b32_e32 v186, s48, v62
	v_add_co_u32 v62, s17, v63, -1
	s_delay_alu instid0(VALU_DEP_1) | instskip(NEXT) | instid1(VALU_DEP_3)
	v_cndmask_b32_e64 v63, 0, 1, s17
	v_dual_lshlrev_b32 v187, 30, v186 :: v_dual_lshlrev_b32 v188, 29, v186
	s_delay_alu instid0(VALU_DEP_2) | instskip(NEXT) | instid1(VALU_DEP_2)
	v_cmp_ne_u32_e32 vcc_lo, 0, v63
	v_cmp_gt_i32_e64 s17, 0, v187
	v_not_b32_e32 v63, v187
	s_delay_alu instid0(VALU_DEP_4) | instskip(SKIP_2) | instid1(VALU_DEP_4)
	v_not_b32_e32 v187, v188
	v_cmp_gt_i32_e64 s18, 0, v188
	v_bitop3_b32 v62, vcc_lo, exec_lo, v62 bitop3:0x48
	v_ashrrev_i32_e32 v63, 31, v63
	s_delay_alu instid0(VALU_DEP_4) | instskip(SKIP_1) | instid1(VALU_DEP_2)
	v_dual_ashrrev_i32 v187, 31, v187 :: v_dual_lshlrev_b32 v189, 28, v186
	v_dual_lshlrev_b32 v190, 27, v186 :: v_dual_lshlrev_b32 v191, 26, v186
	v_dual_lshlrev_b32 v192, 25, v186 :: v_dual_bitop2_b32 v187, s18, v187 bitop3:0x14
	s_delay_alu instid0(VALU_DEP_3) | instskip(SKIP_1) | instid1(VALU_DEP_4)
	v_cmp_gt_i32_e64 s19, 0, v189
	v_not_b32_e32 v188, v189
	v_cmp_gt_i32_e64 s20, 0, v190
	v_not_b32_e32 v189, v190
	v_not_b32_e32 v190, v191
	v_xor_b32_e32 v63, s17, v63
	v_cmp_gt_i32_e64 s21, 0, v191
	v_not_b32_e32 v191, v192
	v_dual_ashrrev_i32 v188, 31, v188 :: v_dual_ashrrev_i32 v189, 31, v189
	v_ashrrev_i32_e32 v190, 31, v190
	v_bitop3_b32 v62, v62, v187, v63 bitop3:0x80
	v_mad_u32_u24 v63, v186, 36, v23
	v_cmp_gt_i32_e64 s22, 0, v192
	v_dual_ashrrev_i32 v191, 31, v191 :: v_dual_bitop2_b32 v188, s19, v188 bitop3:0x14
	v_xor_b32_e32 v190, s21, v190
	ds_load_b32 v187, v63 offset:544
	v_mul_u32_u24_e32 v63, 36, v186
	v_xor_b32_e32 v189, s20, v189
	v_xor_b32_e32 v191, s22, v191
	; wave barrier
	s_delay_alu instid0(VALU_DEP_2) | instskip(NEXT) | instid1(VALU_DEP_1)
	v_bitop3_b32 v62, v62, v189, v188 bitop3:0x80
	v_bitop3_b32 v62, v62, v191, v190 bitop3:0x80
	v_add_nc_u32_e32 v190, v23, v63
	s_delay_alu instid0(VALU_DEP_2) | instskip(SKIP_1) | instid1(VALU_DEP_2)
	v_mbcnt_lo_u32_b32 v188, v62, 0
	v_cmp_ne_u32_e64 s17, 0, v62
	v_cmp_eq_u32_e32 vcc_lo, 0, v188
	s_and_b32 s18, s17, vcc_lo
	s_delay_alu instid0(SALU_CYCLE_1)
	s_and_saveexec_b32 s17, s18
	s_cbranch_execz .LBB908_782
; %bb.781:                              ;   in Loop: Header=BB908_722 Depth=2
	s_wait_dscnt 0x0
	v_bcnt_u32_b32 v62, v62, v187
	ds_store_b32 v190, v62 offset:544
.LBB908_782:                            ;   in Loop: Header=BB908_722 Depth=2
	s_or_b32 exec_lo, exec_lo, s17
	v_xor_b32_e32 v186, 0x7fff, v164
	; wave barrier
	s_delay_alu instid0(VALU_DEP_1) | instskip(NEXT) | instid1(VALU_DEP_1)
	v_and_b32_e32 v62, 0xffff, v186
	v_lshrrev_b32_e32 v62, s49, v62
	s_delay_alu instid0(VALU_DEP_1) | instskip(NEXT) | instid1(VALU_DEP_1)
	v_and_b32_e32 v164, s48, v62
	v_lshlrev_b32_e32 v189, 30, v164
	v_bitop3_b32 v63, v62, 1, s48 bitop3:0x80
	s_delay_alu instid0(VALU_DEP_1) | instskip(NEXT) | instid1(VALU_DEP_1)
	v_add_co_u32 v62, s17, v63, -1
	v_cndmask_b32_e64 v63, 0, 1, s17
	s_delay_alu instid0(VALU_DEP_4) | instskip(NEXT) | instid1(VALU_DEP_2)
	v_cmp_gt_i32_e64 s17, 0, v189
	v_cmp_ne_u32_e32 vcc_lo, 0, v63
	v_not_b32_e32 v63, v189
	v_bitop3_b32 v62, vcc_lo, exec_lo, v62 bitop3:0x48
	s_delay_alu instid0(VALU_DEP_2) | instskip(SKIP_2) | instid1(VALU_DEP_3)
	v_dual_ashrrev_i32 v63, 31, v63 :: v_dual_lshlrev_b32 v191, 29, v164
	v_dual_lshlrev_b32 v192, 28, v164 :: v_dual_lshlrev_b32 v193, 27, v164
	v_lshlrev_b32_e32 v194, 26, v164
	v_not_b32_e32 v189, v191
	v_lshlrev_b32_e32 v195, 25, v164
	v_cmp_gt_i32_e64 s18, 0, v191
	v_cmp_gt_i32_e64 s19, 0, v192
	v_not_b32_e32 v191, v192
	v_not_b32_e32 v192, v193
	v_ashrrev_i32_e32 v189, 31, v189
	v_cmp_gt_i32_e64 s20, 0, v193
	v_cmp_gt_i32_e64 s21, 0, v194
	v_not_b32_e32 v193, v194
	v_not_b32_e32 v194, v195
	v_dual_ashrrev_i32 v191, 31, v191 :: v_dual_ashrrev_i32 v192, 31, v192
	s_delay_alu instid0(VALU_DEP_3) | instskip(NEXT) | instid1(VALU_DEP_3)
	v_dual_ashrrev_i32 v193, 31, v193 :: v_dual_bitop2_b32 v63, s17, v63 bitop3:0x14
	v_dual_ashrrev_i32 v194, 31, v194 :: v_dual_bitop2_b32 v189, s18, v189 bitop3:0x14
	v_cmp_gt_i32_e64 s22, 0, v195
	s_delay_alu instid0(VALU_DEP_4) | instskip(SKIP_1) | instid1(VALU_DEP_4)
	v_xor_b32_e32 v191, s19, v191
	v_xor_b32_e32 v192, s20, v192
	v_bitop3_b32 v62, v62, v189, v63 bitop3:0x80
	v_mad_u32_u24 v63, v164, 36, v23
	v_xor_b32_e32 v189, s21, v193
	v_xor_b32_e32 v193, s22, v194
	s_delay_alu instid0(VALU_DEP_4) | instskip(SKIP_3) | instid1(VALU_DEP_2)
	v_bitop3_b32 v62, v62, v192, v191 bitop3:0x80
	ds_load_b32 v191, v63 offset:544
	v_mul_u32_u24_e32 v63, 36, v164
	; wave barrier
	v_bitop3_b32 v62, v62, v193, v189 bitop3:0x80
	v_add_nc_u32_e32 v164, v23, v63
	s_delay_alu instid0(VALU_DEP_2) | instskip(SKIP_1) | instid1(VALU_DEP_2)
	v_mbcnt_lo_u32_b32 v192, v62, 0
	v_cmp_ne_u32_e64 s17, 0, v62
	v_cmp_eq_u32_e32 vcc_lo, 0, v192
	s_and_b32 s18, s17, vcc_lo
	s_delay_alu instid0(SALU_CYCLE_1)
	s_and_saveexec_b32 s17, s18
	s_cbranch_execz .LBB908_784
; %bb.783:                              ;   in Loop: Header=BB908_722 Depth=2
	s_wait_dscnt 0x0
	v_bcnt_u32_b32 v62, v62, v191
	ds_store_b32 v164, v62 offset:544
.LBB908_784:                            ;   in Loop: Header=BB908_722 Depth=2
	s_or_b32 exec_lo, exec_lo, s17
	v_xor_b32_e32 v189, 0x7fff, v161
	; wave barrier
	s_delay_alu instid0(VALU_DEP_1) | instskip(NEXT) | instid1(VALU_DEP_1)
	v_and_b32_e32 v62, 0xffff, v189
	v_lshrrev_b32_e32 v62, s49, v62
	s_delay_alu instid0(VALU_DEP_1) | instskip(NEXT) | instid1(VALU_DEP_1)
	v_and_b32_e32 v161, s48, v62
	v_lshlrev_b32_e32 v193, 30, v161
	v_bitop3_b32 v63, v62, 1, s48 bitop3:0x80
	s_delay_alu instid0(VALU_DEP_1) | instskip(NEXT) | instid1(VALU_DEP_1)
	v_add_co_u32 v62, s17, v63, -1
	v_cndmask_b32_e64 v63, 0, 1, s17
	s_delay_alu instid0(VALU_DEP_4) | instskip(NEXT) | instid1(VALU_DEP_2)
	v_cmp_gt_i32_e64 s17, 0, v193
	v_cmp_ne_u32_e32 vcc_lo, 0, v63
	v_not_b32_e32 v63, v193
	v_bitop3_b32 v62, vcc_lo, exec_lo, v62 bitop3:0x48
	s_delay_alu instid0(VALU_DEP_2) | instskip(SKIP_2) | instid1(VALU_DEP_3)
	v_dual_ashrrev_i32 v63, 31, v63 :: v_dual_lshlrev_b32 v194, 29, v161
	v_dual_lshlrev_b32 v195, 28, v161 :: v_dual_lshlrev_b32 v196, 27, v161
	v_lshlrev_b32_e32 v197, 26, v161
	v_not_b32_e32 v193, v194
	v_cmp_gt_i32_e64 s18, 0, v194
	s_delay_alu instid0(VALU_DEP_4)
	v_cmp_gt_i32_e64 s19, 0, v195
	v_not_b32_e32 v194, v195
	v_lshlrev_b32_e32 v198, 25, v161
	v_not_b32_e32 v195, v196
	v_ashrrev_i32_e32 v193, 31, v193
	v_cmp_gt_i32_e64 s20, 0, v196
	v_cmp_gt_i32_e64 s21, 0, v197
	v_not_b32_e32 v196, v197
	v_ashrrev_i32_e32 v194, 31, v194
	v_not_b32_e32 v197, v198
	v_ashrrev_i32_e32 v195, 31, v195
	s_delay_alu instid0(VALU_DEP_4) | instskip(SKIP_4) | instid1(VALU_DEP_4)
	v_dual_ashrrev_i32 v196, 31, v196 :: v_dual_bitop2_b32 v63, s17, v63 bitop3:0x14
	v_xor_b32_e32 v193, s18, v193
	v_cmp_gt_i32_e64 s22, 0, v198
	v_dual_ashrrev_i32 v197, 31, v197 :: v_dual_bitop2_b32 v194, s19, v194 bitop3:0x14
	v_xor_b32_e32 v195, s20, v195
	v_bitop3_b32 v62, v62, v193, v63 bitop3:0x80
	v_mad_u32_u24 v63, v161, 36, v23
	v_xor_b32_e32 v193, s21, v196
	v_xor_b32_e32 v196, s22, v197
	s_delay_alu instid0(VALU_DEP_4) | instskip(SKIP_3) | instid1(VALU_DEP_2)
	v_bitop3_b32 v62, v62, v195, v194 bitop3:0x80
	ds_load_b32 v194, v63 offset:544
	v_mul_u32_u24_e32 v63, 36, v161
	; wave barrier
	v_bitop3_b32 v62, v62, v196, v193 bitop3:0x80
	v_add_nc_u32_e32 v161, v23, v63
	s_delay_alu instid0(VALU_DEP_2) | instskip(SKIP_1) | instid1(VALU_DEP_2)
	v_mbcnt_lo_u32_b32 v195, v62, 0
	v_cmp_ne_u32_e64 s17, 0, v62
	v_cmp_eq_u32_e32 vcc_lo, 0, v195
	s_and_b32 s18, s17, vcc_lo
	s_delay_alu instid0(SALU_CYCLE_1)
	s_and_saveexec_b32 s17, s18
	s_cbranch_execz .LBB908_786
; %bb.785:                              ;   in Loop: Header=BB908_722 Depth=2
	s_wait_dscnt 0x0
	v_bcnt_u32_b32 v62, v62, v194
	ds_store_b32 v161, v62 offset:544
.LBB908_786:                            ;   in Loop: Header=BB908_722 Depth=2
	s_or_b32 exec_lo, exec_lo, s17
	v_xor_b32_e32 v193, 0x7fff, v156
	; wave barrier
	s_delay_alu instid0(VALU_DEP_1) | instskip(NEXT) | instid1(VALU_DEP_1)
	v_and_b32_e32 v62, 0xffff, v193
	v_lshrrev_b32_e32 v62, s49, v62
	s_delay_alu instid0(VALU_DEP_1) | instskip(NEXT) | instid1(VALU_DEP_1)
	v_and_b32_e32 v156, s48, v62
	v_lshlrev_b32_e32 v196, 30, v156
	v_bitop3_b32 v63, v62, 1, s48 bitop3:0x80
	s_delay_alu instid0(VALU_DEP_1) | instskip(NEXT) | instid1(VALU_DEP_1)
	v_add_co_u32 v62, s17, v63, -1
	v_cndmask_b32_e64 v63, 0, 1, s17
	s_delay_alu instid0(VALU_DEP_4) | instskip(NEXT) | instid1(VALU_DEP_2)
	v_cmp_gt_i32_e64 s17, 0, v196
	v_cmp_ne_u32_e32 vcc_lo, 0, v63
	v_not_b32_e32 v63, v196
	v_bitop3_b32 v62, vcc_lo, exec_lo, v62 bitop3:0x48
	s_delay_alu instid0(VALU_DEP_2) | instskip(SKIP_2) | instid1(VALU_DEP_3)
	v_dual_ashrrev_i32 v63, 31, v63 :: v_dual_lshlrev_b32 v197, 29, v156
	v_dual_lshlrev_b32 v198, 28, v156 :: v_dual_lshlrev_b32 v199, 27, v156
	v_lshlrev_b32_e32 v200, 26, v156
	v_not_b32_e32 v196, v197
	v_cmp_gt_i32_e64 s18, 0, v197
	s_delay_alu instid0(VALU_DEP_4)
	v_cmp_gt_i32_e64 s19, 0, v198
	v_not_b32_e32 v197, v198
	v_lshlrev_b32_e32 v201, 25, v156
	v_not_b32_e32 v198, v199
	v_ashrrev_i32_e32 v196, 31, v196
	v_cmp_gt_i32_e64 s20, 0, v199
	v_cmp_gt_i32_e64 s21, 0, v200
	v_not_b32_e32 v199, v200
	v_ashrrev_i32_e32 v197, 31, v197
	v_not_b32_e32 v200, v201
	v_dual_ashrrev_i32 v198, 31, v198 :: v_dual_bitop2_b32 v63, s17, v63 bitop3:0x14
	s_delay_alu instid0(VALU_DEP_4) | instskip(SKIP_1) | instid1(VALU_DEP_4)
	v_dual_ashrrev_i32 v199, 31, v199 :: v_dual_bitop2_b32 v196, s18, v196 bitop3:0x14
	v_cmp_gt_i32_e64 s22, 0, v201
	v_dual_ashrrev_i32 v200, 31, v200 :: v_dual_bitop2_b32 v197, s19, v197 bitop3:0x14
	s_delay_alu instid0(VALU_DEP_4) | instskip(NEXT) | instid1(VALU_DEP_4)
	v_xor_b32_e32 v198, s20, v198
	v_bitop3_b32 v62, v62, v196, v63 bitop3:0x80
	v_mad_u32_u24 v63, v156, 36, v23
	v_xor_b32_e32 v196, s21, v199
	v_xor_b32_e32 v199, s22, v200
	s_delay_alu instid0(VALU_DEP_4) | instskip(SKIP_3) | instid1(VALU_DEP_2)
	v_bitop3_b32 v62, v62, v198, v197 bitop3:0x80
	ds_load_b32 v197, v63 offset:544
	v_mul_u32_u24_e32 v63, 36, v156
	; wave barrier
	v_bitop3_b32 v62, v62, v199, v196 bitop3:0x80
	v_add_nc_u32_e32 v156, v23, v63
	s_delay_alu instid0(VALU_DEP_2) | instskip(SKIP_1) | instid1(VALU_DEP_2)
	v_mbcnt_lo_u32_b32 v198, v62, 0
	v_cmp_ne_u32_e64 s17, 0, v62
	v_cmp_eq_u32_e32 vcc_lo, 0, v198
	s_and_b32 s18, s17, vcc_lo
	s_delay_alu instid0(SALU_CYCLE_1)
	s_and_saveexec_b32 s17, s18
	s_cbranch_execz .LBB908_788
; %bb.787:                              ;   in Loop: Header=BB908_722 Depth=2
	s_wait_dscnt 0x0
	v_bcnt_u32_b32 v62, v62, v197
	ds_store_b32 v156, v62 offset:544
.LBB908_788:                            ;   in Loop: Header=BB908_722 Depth=2
	s_or_b32 exec_lo, exec_lo, s17
	v_xor_b32_e32 v196, 0x7fff, v65
	; wave barrier
	s_delay_alu instid0(VALU_DEP_1) | instskip(NEXT) | instid1(VALU_DEP_1)
	v_and_b32_e32 v62, 0xffff, v196
	v_lshrrev_b32_e32 v62, s49, v62
	s_delay_alu instid0(VALU_DEP_1) | instskip(NEXT) | instid1(VALU_DEP_1)
	v_and_b32_e32 v65, s48, v62
	v_lshlrev_b32_e32 v199, 30, v65
	v_bitop3_b32 v63, v62, 1, s48 bitop3:0x80
	s_delay_alu instid0(VALU_DEP_1) | instskip(NEXT) | instid1(VALU_DEP_1)
	v_add_co_u32 v62, s17, v63, -1
	v_cndmask_b32_e64 v63, 0, 1, s17
	s_delay_alu instid0(VALU_DEP_4) | instskip(NEXT) | instid1(VALU_DEP_2)
	v_cmp_gt_i32_e64 s17, 0, v199
	v_cmp_ne_u32_e32 vcc_lo, 0, v63
	v_not_b32_e32 v63, v199
	v_bitop3_b32 v62, vcc_lo, exec_lo, v62 bitop3:0x48
	s_delay_alu instid0(VALU_DEP_2) | instskip(SKIP_2) | instid1(VALU_DEP_3)
	v_dual_ashrrev_i32 v63, 31, v63 :: v_dual_lshlrev_b32 v200, 29, v65
	v_dual_lshlrev_b32 v201, 28, v65 :: v_dual_lshlrev_b32 v202, 27, v65
	v_lshlrev_b32_e32 v203, 26, v65
	v_not_b32_e32 v199, v200
	v_lshlrev_b32_e32 v204, 25, v65
	v_cmp_gt_i32_e64 s18, 0, v200
	v_cmp_gt_i32_e64 s19, 0, v201
	v_not_b32_e32 v200, v201
	v_not_b32_e32 v201, v202
	v_ashrrev_i32_e32 v199, 31, v199
	v_cmp_gt_i32_e64 s20, 0, v202
	v_cmp_gt_i32_e64 s21, 0, v203
	v_not_b32_e32 v202, v203
	v_not_b32_e32 v203, v204
	v_dual_ashrrev_i32 v200, 31, v200 :: v_dual_ashrrev_i32 v201, 31, v201
	s_delay_alu instid0(VALU_DEP_3) | instskip(SKIP_2) | instid1(VALU_DEP_4)
	v_dual_ashrrev_i32 v202, 31, v202 :: v_dual_bitop2_b32 v63, s17, v63 bitop3:0x14
	v_xor_b32_e32 v199, s18, v199
	v_cmp_gt_i32_e64 s22, 0, v204
	v_dual_ashrrev_i32 v203, 31, v203 :: v_dual_bitop2_b32 v200, s19, v200 bitop3:0x14
	v_xor_b32_e32 v201, s20, v201
	s_delay_alu instid0(VALU_DEP_4) | instskip(SKIP_3) | instid1(VALU_DEP_4)
	v_bitop3_b32 v62, v62, v199, v63 bitop3:0x80
	v_mad_u32_u24 v63, v65, 36, v23
	v_xor_b32_e32 v199, s21, v202
	v_xor_b32_e32 v202, s22, v203
	v_bitop3_b32 v62, v62, v201, v200 bitop3:0x80
	ds_load_b32 v200, v63 offset:544
	v_mul_u32_u24_e32 v63, 36, v65
	; wave barrier
	v_bitop3_b32 v62, v62, v202, v199 bitop3:0x80
	s_delay_alu instid0(VALU_DEP_2) | instskip(NEXT) | instid1(VALU_DEP_2)
	v_add_nc_u32_e32 v202, v23, v63
	v_mbcnt_lo_u32_b32 v201, v62, 0
	v_cmp_ne_u32_e64 s17, 0, v62
	s_delay_alu instid0(VALU_DEP_2) | instskip(SKIP_1) | instid1(SALU_CYCLE_1)
	v_cmp_eq_u32_e32 vcc_lo, 0, v201
	s_and_b32 s18, s17, vcc_lo
	s_and_saveexec_b32 s17, s18
	s_cbranch_execz .LBB908_790
; %bb.789:                              ;   in Loop: Header=BB908_722 Depth=2
	s_wait_dscnt 0x0
	v_bcnt_u32_b32 v62, v62, v200
	ds_store_b32 v202, v62 offset:544
.LBB908_790:                            ;   in Loop: Header=BB908_722 Depth=2
	s_or_b32 exec_lo, exec_lo, s17
	v_xor_b32_e32 v199, 0x7fff, v64
	; wave barrier
	s_delay_alu instid0(VALU_DEP_1) | instskip(NEXT) | instid1(VALU_DEP_1)
	v_and_b32_e32 v62, 0xffff, v199
	v_lshrrev_b32_e32 v62, s49, v62
	s_delay_alu instid0(VALU_DEP_1) | instskip(NEXT) | instid1(VALU_DEP_1)
	v_and_b32_e32 v64, s48, v62
	v_lshlrev_b32_e32 v65, 30, v64
	v_bitop3_b32 v63, v62, 1, s48 bitop3:0x80
	s_delay_alu instid0(VALU_DEP_1) | instskip(NEXT) | instid1(VALU_DEP_1)
	v_add_co_u32 v62, s17, v63, -1
	v_cndmask_b32_e64 v63, 0, 1, s17
	s_delay_alu instid0(VALU_DEP_4) | instskip(NEXT) | instid1(VALU_DEP_2)
	v_cmp_gt_i32_e64 s17, 0, v65
	v_cmp_ne_u32_e32 vcc_lo, 0, v63
	v_not_b32_e32 v63, v65
	v_bitop3_b32 v62, vcc_lo, exec_lo, v62 bitop3:0x48
	s_delay_alu instid0(VALU_DEP_2) | instskip(SKIP_2) | instid1(VALU_DEP_3)
	v_dual_ashrrev_i32 v63, 31, v63 :: v_dual_lshlrev_b32 v203, 29, v64
	v_dual_lshlrev_b32 v204, 28, v64 :: v_dual_lshlrev_b32 v205, 27, v64
	v_lshlrev_b32_e32 v206, 26, v64
	v_not_b32_e32 v65, v203
	v_lshlrev_b32_e32 v207, 25, v64
	v_cmp_gt_i32_e64 s18, 0, v203
	v_cmp_gt_i32_e64 s19, 0, v204
	v_not_b32_e32 v203, v204
	v_not_b32_e32 v204, v205
	v_ashrrev_i32_e32 v65, 31, v65
	v_cmp_gt_i32_e64 s20, 0, v205
	v_cmp_gt_i32_e64 s21, 0, v206
	v_not_b32_e32 v205, v206
	v_not_b32_e32 v206, v207
	v_dual_ashrrev_i32 v203, 31, v203 :: v_dual_ashrrev_i32 v204, 31, v204
	s_delay_alu instid0(VALU_DEP_3) | instskip(NEXT) | instid1(VALU_DEP_3)
	v_dual_ashrrev_i32 v205, 31, v205 :: v_dual_bitop2_b32 v63, s17, v63 bitop3:0x14
	v_dual_ashrrev_i32 v206, 31, v206 :: v_dual_bitop2_b32 v65, s18, v65 bitop3:0x14
	v_cmp_gt_i32_e64 s22, 0, v207
	s_delay_alu instid0(VALU_DEP_4) | instskip(SKIP_1) | instid1(VALU_DEP_4)
	v_xor_b32_e32 v203, s19, v203
	v_xor_b32_e32 v204, s20, v204
	v_bitop3_b32 v62, v62, v65, v63 bitop3:0x80
	v_mad_u32_u24 v63, v64, 36, v23
	v_xor_b32_e32 v65, s21, v205
	v_xor_b32_e32 v205, s22, v206
	s_delay_alu instid0(VALU_DEP_4) | instskip(SKIP_3) | instid1(VALU_DEP_2)
	v_bitop3_b32 v62, v62, v204, v203 bitop3:0x80
	ds_load_b32 v203, v63 offset:544
	v_mul_u32_u24_e32 v63, 36, v64
	; wave barrier
	v_bitop3_b32 v62, v62, v205, v65 bitop3:0x80
	v_add_nc_u32_e32 v205, v23, v63
	s_delay_alu instid0(VALU_DEP_2) | instskip(SKIP_1) | instid1(VALU_DEP_2)
	v_mbcnt_lo_u32_b32 v204, v62, 0
	v_cmp_ne_u32_e64 s17, 0, v62
	v_cmp_eq_u32_e32 vcc_lo, 0, v204
	s_and_b32 s18, s17, vcc_lo
	s_delay_alu instid0(SALU_CYCLE_1)
	s_and_saveexec_b32 s17, s18
	s_cbranch_execz .LBB908_792
; %bb.791:                              ;   in Loop: Header=BB908_722 Depth=2
	s_wait_dscnt 0x0
	v_bcnt_u32_b32 v62, v62, v203
	ds_store_b32 v205, v62 offset:544
.LBB908_792:                            ;   in Loop: Header=BB908_722 Depth=2
	s_or_b32 exec_lo, exec_lo, s17
	v_and_b32_e32 v62, 0xffff, v142
	; wave barrier
	s_delay_alu instid0(VALU_DEP_1) | instskip(NEXT) | instid1(VALU_DEP_1)
	v_lshrrev_b32_e32 v62, s49, v62
	v_and_b32_e32 v64, s48, v62
	s_delay_alu instid0(VALU_DEP_1) | instskip(SKIP_1) | instid1(VALU_DEP_1)
	v_lshlrev_b32_e32 v65, 30, v64
	v_bitop3_b32 v63, v62, 1, s48 bitop3:0x80
	v_add_co_u32 v62, s17, v63, -1
	s_delay_alu instid0(VALU_DEP_1) | instskip(NEXT) | instid1(VALU_DEP_4)
	v_cndmask_b32_e64 v63, 0, 1, s17
	v_cmp_gt_i32_e64 s17, 0, v65
	s_delay_alu instid0(VALU_DEP_2) | instskip(SKIP_2) | instid1(VALU_DEP_2)
	v_cmp_ne_u32_e32 vcc_lo, 0, v63
	v_not_b32_e32 v63, v65
	v_bitop3_b32 v62, vcc_lo, exec_lo, v62 bitop3:0x48
	v_dual_ashrrev_i32 v63, 31, v63 :: v_dual_lshlrev_b32 v206, 29, v64
	v_dual_lshlrev_b32 v207, 28, v64 :: v_dual_lshlrev_b32 v208, 27, v64
	v_lshlrev_b32_e32 v209, 26, v64
	s_delay_alu instid0(VALU_DEP_3)
	v_not_b32_e32 v65, v206
	v_lshlrev_b32_e32 v210, 25, v64
	v_cmp_gt_i32_e64 s18, 0, v206
	v_cmp_gt_i32_e64 s19, 0, v207
	v_not_b32_e32 v206, v207
	v_not_b32_e32 v207, v208
	v_ashrrev_i32_e32 v65, 31, v65
	v_cmp_gt_i32_e64 s20, 0, v208
	v_cmp_gt_i32_e64 s21, 0, v209
	v_not_b32_e32 v208, v209
	v_dual_ashrrev_i32 v206, 31, v206 :: v_dual_ashrrev_i32 v207, 31, v207
	v_xor_b32_e32 v63, s17, v63
	v_xor_b32_e32 v65, s18, v65
	v_not_b32_e32 v209, v210
	s_delay_alu instid0(VALU_DEP_4) | instskip(SKIP_1) | instid1(VALU_DEP_4)
	v_dual_ashrrev_i32 v208, 31, v208 :: v_dual_bitop2_b32 v206, s19, v206 bitop3:0x14
	v_xor_b32_e32 v207, s20, v207
	v_bitop3_b32 v62, v62, v65, v63 bitop3:0x80
	v_cmp_gt_i32_e32 vcc_lo, 0, v210
	v_ashrrev_i32_e32 v63, 31, v209
	v_mad_u32_u24 v65, v64, 36, v23
	v_xor_b32_e32 v208, s21, v208
	v_bitop3_b32 v62, v62, v207, v206 bitop3:0x80
	s_delay_alu instid0(VALU_DEP_4) | instskip(SKIP_3) | instid1(VALU_DEP_2)
	v_xor_b32_e32 v63, vcc_lo, v63
	ds_load_b32 v206, v65 offset:544
	; wave barrier
	v_bitop3_b32 v62, v62, v63, v208 bitop3:0x80
	v_mul_u32_u24_e32 v63, 36, v64
	v_mbcnt_lo_u32_b32 v207, v62, 0
	v_cmp_ne_u32_e64 s17, 0, v62
	s_delay_alu instid0(VALU_DEP_3) | instskip(NEXT) | instid1(VALU_DEP_3)
	v_add_nc_u32_e32 v208, v23, v63
	v_cmp_eq_u32_e32 vcc_lo, 0, v207
	s_and_b32 s18, s17, vcc_lo
	s_delay_alu instid0(SALU_CYCLE_1)
	s_and_saveexec_b32 s17, s18
	s_cbranch_execz .LBB908_794
; %bb.793:                              ;   in Loop: Header=BB908_722 Depth=2
	s_wait_dscnt 0x0
	v_bcnt_u32_b32 v62, v62, v206
	ds_store_b32 v208, v62 offset:544
.LBB908_794:                            ;   in Loop: Header=BB908_722 Depth=2
	s_or_b32 exec_lo, exec_lo, s17
	; wave barrier
	s_wait_dscnt 0x0
	s_barrier_signal -1
	s_barrier_wait -1
	ds_load_2addr_b32 v[64:65], v89 offset0:136 offset1:137
	ds_load_2addr_b32 v[62:63], v89 offset0:138 offset1:139
	ds_load_b32 v209, v89 offset:560
	s_wait_dscnt 0x1
	v_add3_u32 v210, v65, v64, v62
	s_wait_dscnt 0x0
	s_delay_alu instid0(VALU_DEP_1) | instskip(NEXT) | instid1(VALU_DEP_1)
	v_add3_u32 v209, v210, v63, v209
	v_mov_b32_dpp v210, v209 row_shr:1 row_mask:0xf bank_mask:0xf
	s_delay_alu instid0(VALU_DEP_1) | instskip(NEXT) | instid1(VALU_DEP_1)
	v_cndmask_b32_e64 v210, v210, 0, s9
	v_add_nc_u32_e32 v209, v210, v209
	s_delay_alu instid0(VALU_DEP_1) | instskip(NEXT) | instid1(VALU_DEP_1)
	v_mov_b32_dpp v210, v209 row_shr:2 row_mask:0xf bank_mask:0xf
	v_cndmask_b32_e64 v210, 0, v210, s10
	s_delay_alu instid0(VALU_DEP_1) | instskip(NEXT) | instid1(VALU_DEP_1)
	v_add_nc_u32_e32 v209, v209, v210
	v_mov_b32_dpp v210, v209 row_shr:4 row_mask:0xf bank_mask:0xf
	s_delay_alu instid0(VALU_DEP_1) | instskip(NEXT) | instid1(VALU_DEP_1)
	v_cndmask_b32_e64 v210, 0, v210, s11
	v_add_nc_u32_e32 v209, v209, v210
	s_delay_alu instid0(VALU_DEP_1) | instskip(NEXT) | instid1(VALU_DEP_1)
	v_mov_b32_dpp v210, v209 row_shr:8 row_mask:0xf bank_mask:0xf
	v_cndmask_b32_e64 v210, 0, v210, s12
	s_delay_alu instid0(VALU_DEP_1) | instskip(SKIP_3) | instid1(VALU_DEP_1)
	v_add_nc_u32_e32 v209, v209, v210
	ds_swizzle_b32 v210, v209 offset:swizzle(BROADCAST,32,15)
	s_wait_dscnt 0x0
	v_cndmask_b32_e64 v210, v210, 0, s13
	v_add_nc_u32_e32 v209, v209, v210
	s_and_saveexec_b32 s17, s2
; %bb.795:                              ;   in Loop: Header=BB908_722 Depth=2
	ds_store_b32 v82, v209 offset:512
; %bb.796:                              ;   in Loop: Header=BB908_722 Depth=2
	s_or_b32 exec_lo, exec_lo, s17
	s_wait_dscnt 0x0
	s_barrier_signal -1
	s_barrier_wait -1
	s_and_saveexec_b32 s17, s3
	s_cbranch_execz .LBB908_798
; %bb.797:                              ;   in Loop: Header=BB908_722 Depth=2
	ds_load_b32 v210, v91 offset:512
	s_wait_dscnt 0x0
	v_mov_b32_dpp v211, v210 row_shr:1 row_mask:0xf bank_mask:0xf
	s_delay_alu instid0(VALU_DEP_1) | instskip(NEXT) | instid1(VALU_DEP_1)
	v_cndmask_b32_e64 v211, v211, 0, s14
	v_add_nc_u32_e32 v210, v211, v210
	s_delay_alu instid0(VALU_DEP_1) | instskip(NEXT) | instid1(VALU_DEP_1)
	v_mov_b32_dpp v211, v210 row_shr:2 row_mask:0xf bank_mask:0xf
	v_cndmask_b32_e64 v211, 0, v211, s15
	s_delay_alu instid0(VALU_DEP_1) | instskip(NEXT) | instid1(VALU_DEP_1)
	v_add_nc_u32_e32 v210, v210, v211
	v_mov_b32_dpp v211, v210 row_shr:4 row_mask:0xf bank_mask:0xf
	s_delay_alu instid0(VALU_DEP_1) | instskip(NEXT) | instid1(VALU_DEP_1)
	v_cndmask_b32_e64 v211, 0, v211, s16
	v_add_nc_u32_e32 v210, v210, v211
	ds_store_b32 v91, v210 offset:512
.LBB908_798:                            ;   in Loop: Header=BB908_722 Depth=2
	s_or_b32 exec_lo, exec_lo, s17
	v_mov_b32_e32 v210, 0
	s_wait_dscnt 0x0
	s_barrier_signal -1
	s_barrier_wait -1
	s_and_saveexec_b32 s17, s5
; %bb.799:                              ;   in Loop: Header=BB908_722 Depth=2
	ds_load_b32 v210, v82 offset:508
; %bb.800:                              ;   in Loop: Header=BB908_722 Depth=2
	s_or_b32 exec_lo, exec_lo, s17
	s_wait_dscnt 0x0
	v_add_nc_u32_e32 v209, v210, v209
	ds_bpermute_b32 v209, v121, v209
	s_wait_dscnt 0x0
	v_cndmask_b32_e64 v209, v209, v210, s8
	s_delay_alu instid0(VALU_DEP_1) | instskip(NEXT) | instid1(VALU_DEP_1)
	v_cndmask_b32_e64 v209, v209, 0, s6
	v_add_nc_u32_e32 v64, v209, v64
	s_delay_alu instid0(VALU_DEP_1) | instskip(NEXT) | instid1(VALU_DEP_1)
	v_add_nc_u32_e32 v65, v64, v65
	v_add_nc_u32_e32 v62, v65, v62
	s_delay_alu instid0(VALU_DEP_1)
	v_add_nc_u32_e32 v63, v62, v63
	ds_store_2addr_b32 v89, v209, v64 offset0:136 offset1:137
	ds_store_2addr_b32 v89, v65, v62 offset0:138 offset1:139
	ds_store_b32 v89, v63 offset:560
	s_wait_dscnt 0x0
	s_barrier_signal -1
	s_barrier_wait -1
	ds_load_b32 v64, v146 offset:544
	ds_load_b32 v65, v150 offset:544
	;; [unrolled: 1-line block ×17, first 2 shown]
	s_and_saveexec_b32 s17, s0
	s_cbranch_execz .LBB908_804
; %bb.801:                              ;   in Loop: Header=BB908_722 Depth=2
	ds_load_b32 v137, v92 offset:544
	v_mov_b32_e32 v140, 0x1100
	s_and_saveexec_b32 s18, s7
; %bb.802:                              ;   in Loop: Header=BB908_722 Depth=2
	ds_load_b32 v140, v93 offset:544
; %bb.803:                              ;   in Loop: Header=BB908_722 Depth=2
	s_or_b32 exec_lo, exec_lo, s18
	s_wait_dscnt 0x0
	v_sub_nc_u32_e32 v140, v140, v137
.LBB908_804:                            ;   in Loop: Header=BB908_722 Depth=2
	s_or_b32 exec_lo, exec_lo, s17
	s_wait_dscnt 0x0
	s_barrier_signal -1
	s_barrier_wait -1
	s_and_saveexec_b32 s17, s0
	s_cbranch_execz .LBB908_806
; %bb.805:                              ;   in Loop: Header=BB908_722 Depth=2
	ds_load_b32 v156, v3
	s_wait_dscnt 0x0
	v_sub_nc_u32_e32 v156, v156, v137
	ds_store_b32 v3, v156
.LBB908_806:                            ;   in Loop: Header=BB908_722 Depth=2
	s_or_b32 exec_lo, exec_lo, s17
	v_add3_u32 v161, v153, v152, v146
	v_add_nc_u32_e32 v165, v64, v144
	v_add3_u32 v164, v149, v148, v65
	v_add3_u32 v159, v158, v157, v150
	v_add3_u32 v158, v163, v162, v154
	v_add3_u32 v148, v201, v200, v62
	v_lshlrev_b32_e32 v62, 1, v161
	v_dual_lshlrev_b32 v162, 1, v165 :: v_dual_lshlrev_b32 v163, 1, v164
	v_add3_u32 v157, v168, v167, v209
	v_add3_u32 v156, v173, v172, v175
	v_add3_u32 v154, v178, v177, v179
	v_add3_u32 v153, v181, v180, v182
	v_add3_u32 v146, v204, v203, v63
	v_lshlrev_b32_e32 v63, 1, v159
	v_add3_u32 v152, v184, v183, v185
	ds_store_b16 v162, v143 offset:512
	ds_store_b16 v163, v145 offset:512
	v_lshlrev_b32_e32 v143, 1, v158
	v_add3_u32 v150, v188, v187, v190
	v_dual_lshlrev_b32 v145, 1, v157 :: v_dual_lshlrev_b32 v162, 1, v156
	v_add3_u32 v149, v192, v191, v210
	v_add3_u32 v65, v195, v194, v211
	ds_store_b16 v62, v147 offset:512
	ds_store_b16 v63, v151 offset:512
	;; [unrolled: 1-line block ×5, first 2 shown]
	v_dual_lshlrev_b32 v62, 1, v154 :: v_dual_lshlrev_b32 v63, 1, v153
	v_add3_u32 v64, v198, v197, v212
	v_dual_lshlrev_b32 v143, 1, v152 :: v_dual_lshlrev_b32 v145, 1, v150
	v_add3_u32 v144, v207, v206, v170
	v_lshlrev_b32_e32 v147, 1, v149
	ds_store_b16 v62, v171 offset:512
	ds_store_b16 v63, v176 offset:512
	;; [unrolled: 1-line block ×5, first 2 shown]
	v_dual_lshlrev_b32 v62, 1, v65 :: v_dual_lshlrev_b32 v143, 1, v148
	v_cmp_lt_u32_e32 vcc_lo, v2, v141
	v_dual_lshlrev_b32 v63, 1, v64 :: v_dual_lshlrev_b32 v145, 1, v146
	v_lshlrev_b32_e32 v147, 1, v144
	ds_store_b16 v62, v189 offset:512
	ds_store_b16 v63, v193 offset:512
	;; [unrolled: 1-line block ×5, first 2 shown]
	s_wait_dscnt 0x0
	s_barrier_signal -1
	s_barrier_wait -1
	s_and_saveexec_b32 s17, vcc_lo
	s_cbranch_execnz .LBB908_879
; %bb.807:                              ;   in Loop: Header=BB908_722 Depth=2
	s_or_b32 exec_lo, exec_lo, s17
	v_cmp_lt_u32_e64 s17, v66, v141
	s_and_saveexec_b32 s18, s17
	s_cbranch_execnz .LBB908_880
.LBB908_808:                            ;   in Loop: Header=BB908_722 Depth=2
	s_or_b32 exec_lo, exec_lo, s18
	v_cmp_lt_u32_e64 s18, v67, v141
	s_and_saveexec_b32 s19, s18
	s_cbranch_execnz .LBB908_881
.LBB908_809:                            ;   in Loop: Header=BB908_722 Depth=2
	s_or_b32 exec_lo, exec_lo, s19
	v_cmp_lt_u32_e64 s19, v68, v141
	s_and_saveexec_b32 s20, s19
	s_cbranch_execnz .LBB908_882
.LBB908_810:                            ;   in Loop: Header=BB908_722 Depth=2
	s_or_b32 exec_lo, exec_lo, s20
	v_cmp_lt_u32_e64 s20, v69, v141
	s_and_saveexec_b32 s21, s20
	s_cbranch_execnz .LBB908_883
.LBB908_811:                            ;   in Loop: Header=BB908_722 Depth=2
	s_or_b32 exec_lo, exec_lo, s21
	v_cmp_lt_u32_e64 s21, v70, v141
	s_and_saveexec_b32 s22, s21
	s_cbranch_execnz .LBB908_884
.LBB908_812:                            ;   in Loop: Header=BB908_722 Depth=2
	s_or_b32 exec_lo, exec_lo, s22
	v_cmp_lt_u32_e64 s22, v71, v141
	s_and_saveexec_b32 s23, s22
	s_cbranch_execnz .LBB908_885
.LBB908_813:                            ;   in Loop: Header=BB908_722 Depth=2
	s_or_b32 exec_lo, exec_lo, s23
	v_cmp_lt_u32_e64 s23, v72, v141
	s_and_saveexec_b32 s24, s23
	s_cbranch_execnz .LBB908_886
.LBB908_814:                            ;   in Loop: Header=BB908_722 Depth=2
	s_or_b32 exec_lo, exec_lo, s24
	v_cmp_lt_u32_e64 s24, v73, v141
	s_and_saveexec_b32 s25, s24
	s_cbranch_execnz .LBB908_887
.LBB908_815:                            ;   in Loop: Header=BB908_722 Depth=2
	s_or_b32 exec_lo, exec_lo, s25
	v_cmp_lt_u32_e64 s25, v74, v141
	s_and_saveexec_b32 s26, s25
	s_cbranch_execnz .LBB908_888
.LBB908_816:                            ;   in Loop: Header=BB908_722 Depth=2
	s_or_b32 exec_lo, exec_lo, s26
	v_cmp_lt_u32_e64 s26, v75, v141
	s_and_saveexec_b32 s27, s26
	s_cbranch_execnz .LBB908_889
.LBB908_817:                            ;   in Loop: Header=BB908_722 Depth=2
	s_or_b32 exec_lo, exec_lo, s27
	v_cmp_lt_u32_e64 s27, v76, v141
	s_and_saveexec_b32 s28, s27
	s_cbranch_execnz .LBB908_890
.LBB908_818:                            ;   in Loop: Header=BB908_722 Depth=2
	s_or_b32 exec_lo, exec_lo, s28
	v_cmp_lt_u32_e64 s28, v77, v141
	s_and_saveexec_b32 s29, s28
	s_cbranch_execnz .LBB908_891
.LBB908_819:                            ;   in Loop: Header=BB908_722 Depth=2
	s_or_b32 exec_lo, exec_lo, s29
	v_cmp_lt_u32_e64 s29, v78, v141
	s_and_saveexec_b32 s30, s29
	s_cbranch_execnz .LBB908_892
.LBB908_820:                            ;   in Loop: Header=BB908_722 Depth=2
	s_or_b32 exec_lo, exec_lo, s30
	v_cmp_lt_u32_e64 s30, v79, v141
	s_and_saveexec_b32 s31, s30
	s_cbranch_execnz .LBB908_893
.LBB908_821:                            ;   in Loop: Header=BB908_722 Depth=2
	s_or_b32 exec_lo, exec_lo, s31
	v_cmp_lt_u32_e64 s31, v80, v141
	s_and_saveexec_b32 s33, s31
	s_cbranch_execnz .LBB908_894
.LBB908_822:                            ;   in Loop: Header=BB908_722 Depth=2
	s_or_b32 exec_lo, exec_lo, s33
	v_cmp_lt_u32_e64 s33, v81, v141
	s_and_saveexec_b32 s60, s33
	s_cbranch_execz .LBB908_824
.LBB908_823:                            ;   in Loop: Header=BB908_722 Depth=2
	ds_load_u16 v62, v94 offset:8704
	s_wait_dscnt 0x0
	v_and_b32_e32 v63, 0xffff, v62
	v_xor_b32_e32 v62, 0x7fff, v62
	s_delay_alu instid0(VALU_DEP_2) | instskip(NEXT) | instid1(VALU_DEP_1)
	v_lshrrev_b32_e32 v63, s49, v63
	v_and_b32_e32 v63, s48, v63
	s_delay_alu instid0(VALU_DEP_1)
	v_lshlrev_b32_e32 v63, 2, v63
	ds_load_b32 v63, v63
	s_wait_dscnt 0x0
	v_add_nc_u32_e32 v63, v63, v81
	global_store_b16 v63, v62, s[38:39] scale_offset
.LBB908_824:                            ;   in Loop: Header=BB908_722 Depth=2
	s_wait_xcnt 0x0
	s_or_b32 exec_lo, exec_lo, s60
	v_lshl_add_u64 v[62:63], s[34:35], 3, v[24:25]
	v_cmp_lt_u32_e64 s34, v102, v141
	s_and_saveexec_b32 s60, s34
	s_delay_alu instid0(SALU_CYCLE_1)
	s_xor_b32 s34, exec_lo, s60
	s_cbranch_execnz .LBB908_895
; %bb.825:                              ;   in Loop: Header=BB908_722 Depth=2
	s_or_b32 exec_lo, exec_lo, s34
	s_delay_alu instid0(SALU_CYCLE_1)
	s_mov_b32 s60, exec_lo
	v_cmpx_lt_u32_e64 v105, v141
	s_cbranch_execnz .LBB908_896
.LBB908_826:                            ;   in Loop: Header=BB908_722 Depth=2
	s_or_b32 exec_lo, exec_lo, s60
	s_delay_alu instid0(SALU_CYCLE_1)
	s_mov_b32 s60, exec_lo
	v_cmpx_lt_u32_e64 v106, v141
	s_cbranch_execnz .LBB908_897
.LBB908_827:                            ;   in Loop: Header=BB908_722 Depth=2
	s_or_b32 exec_lo, exec_lo, s60
	s_delay_alu instid0(SALU_CYCLE_1)
	s_mov_b32 s60, exec_lo
	v_cmpx_lt_u32_e64 v107, v141
	s_cbranch_execnz .LBB908_898
.LBB908_828:                            ;   in Loop: Header=BB908_722 Depth=2
	s_or_b32 exec_lo, exec_lo, s60
	s_delay_alu instid0(SALU_CYCLE_1)
	s_mov_b32 s60, exec_lo
	v_cmpx_lt_u32_e64 v108, v141
	s_cbranch_execnz .LBB908_899
.LBB908_829:                            ;   in Loop: Header=BB908_722 Depth=2
	s_or_b32 exec_lo, exec_lo, s60
	s_delay_alu instid0(SALU_CYCLE_1)
	s_mov_b32 s60, exec_lo
	v_cmpx_lt_u32_e64 v109, v141
	s_cbranch_execnz .LBB908_900
.LBB908_830:                            ;   in Loop: Header=BB908_722 Depth=2
	s_or_b32 exec_lo, exec_lo, s60
	s_delay_alu instid0(SALU_CYCLE_1)
	s_mov_b32 s60, exec_lo
	v_cmpx_lt_u32_e64 v110, v141
	s_cbranch_execnz .LBB908_901
.LBB908_831:                            ;   in Loop: Header=BB908_722 Depth=2
	s_or_b32 exec_lo, exec_lo, s60
	s_delay_alu instid0(SALU_CYCLE_1)
	s_mov_b32 s60, exec_lo
	v_cmpx_lt_u32_e64 v111, v141
	s_cbranch_execnz .LBB908_902
.LBB908_832:                            ;   in Loop: Header=BB908_722 Depth=2
	s_or_b32 exec_lo, exec_lo, s60
	s_delay_alu instid0(SALU_CYCLE_1)
	s_mov_b32 s60, exec_lo
	v_cmpx_lt_u32_e64 v112, v141
	s_cbranch_execnz .LBB908_903
.LBB908_833:                            ;   in Loop: Header=BB908_722 Depth=2
	s_or_b32 exec_lo, exec_lo, s60
	s_delay_alu instid0(SALU_CYCLE_1)
	s_mov_b32 s60, exec_lo
	v_cmpx_lt_u32_e64 v113, v141
	s_cbranch_execnz .LBB908_904
.LBB908_834:                            ;   in Loop: Header=BB908_722 Depth=2
	s_or_b32 exec_lo, exec_lo, s60
	s_delay_alu instid0(SALU_CYCLE_1)
	s_mov_b32 s60, exec_lo
	v_cmpx_lt_u32_e64 v114, v141
	s_cbranch_execnz .LBB908_905
.LBB908_835:                            ;   in Loop: Header=BB908_722 Depth=2
	s_or_b32 exec_lo, exec_lo, s60
	s_delay_alu instid0(SALU_CYCLE_1)
	s_mov_b32 s60, exec_lo
	v_cmpx_lt_u32_e64 v115, v141
	s_cbranch_execnz .LBB908_906
.LBB908_836:                            ;   in Loop: Header=BB908_722 Depth=2
	s_or_b32 exec_lo, exec_lo, s60
	s_delay_alu instid0(SALU_CYCLE_1)
	s_mov_b32 s60, exec_lo
	v_cmpx_lt_u32_e64 v116, v141
	s_cbranch_execnz .LBB908_907
.LBB908_837:                            ;   in Loop: Header=BB908_722 Depth=2
	s_or_b32 exec_lo, exec_lo, s60
	s_delay_alu instid0(SALU_CYCLE_1)
	s_mov_b32 s60, exec_lo
	v_cmpx_lt_u32_e64 v117, v141
	s_cbranch_execnz .LBB908_908
.LBB908_838:                            ;   in Loop: Header=BB908_722 Depth=2
	s_or_b32 exec_lo, exec_lo, s60
	s_delay_alu instid0(SALU_CYCLE_1)
	s_mov_b32 s60, exec_lo
	v_cmpx_lt_u32_e64 v118, v141
	s_cbranch_execnz .LBB908_909
.LBB908_839:                            ;   in Loop: Header=BB908_722 Depth=2
	s_or_b32 exec_lo, exec_lo, s60
	s_delay_alu instid0(SALU_CYCLE_1)
	s_mov_b32 s60, exec_lo
	v_cmpx_lt_u32_e64 v119, v141
	s_cbranch_execnz .LBB908_910
.LBB908_840:                            ;   in Loop: Header=BB908_722 Depth=2
	s_or_b32 exec_lo, exec_lo, s60
	s_delay_alu instid0(SALU_CYCLE_1)
	s_mov_b32 s60, exec_lo
	v_cmpx_lt_u32_e64 v120, v141
	s_cbranch_execnz .LBB908_911
.LBB908_841:                            ;   in Loop: Header=BB908_722 Depth=2
	s_or_b32 exec_lo, exec_lo, s60
	s_and_saveexec_b32 s34, vcc_lo
	s_cbranch_execnz .LBB908_912
.LBB908_842:                            ;   in Loop: Header=BB908_722 Depth=2
	s_or_b32 exec_lo, exec_lo, s34
	s_and_saveexec_b32 s34, s17
	s_cbranch_execnz .LBB908_913
.LBB908_843:                            ;   in Loop: Header=BB908_722 Depth=2
	s_or_b32 exec_lo, exec_lo, s34
	s_and_saveexec_b32 s34, s18
	s_cbranch_execnz .LBB908_914
.LBB908_844:                            ;   in Loop: Header=BB908_722 Depth=2
	s_or_b32 exec_lo, exec_lo, s34
	s_and_saveexec_b32 s34, s19
	s_cbranch_execnz .LBB908_915
.LBB908_845:                            ;   in Loop: Header=BB908_722 Depth=2
	s_or_b32 exec_lo, exec_lo, s34
	s_and_saveexec_b32 s34, s20
	s_cbranch_execnz .LBB908_916
.LBB908_846:                            ;   in Loop: Header=BB908_722 Depth=2
	s_or_b32 exec_lo, exec_lo, s34
	s_and_saveexec_b32 s34, s21
	s_cbranch_execnz .LBB908_917
.LBB908_847:                            ;   in Loop: Header=BB908_722 Depth=2
	s_or_b32 exec_lo, exec_lo, s34
	s_and_saveexec_b32 s34, s22
	s_cbranch_execnz .LBB908_918
.LBB908_848:                            ;   in Loop: Header=BB908_722 Depth=2
	s_or_b32 exec_lo, exec_lo, s34
	s_and_saveexec_b32 s34, s23
	s_cbranch_execnz .LBB908_919
.LBB908_849:                            ;   in Loop: Header=BB908_722 Depth=2
	s_or_b32 exec_lo, exec_lo, s34
	s_and_saveexec_b32 s34, s24
	s_cbranch_execnz .LBB908_920
.LBB908_850:                            ;   in Loop: Header=BB908_722 Depth=2
	s_or_b32 exec_lo, exec_lo, s34
	s_and_saveexec_b32 s34, s25
	s_cbranch_execnz .LBB908_921
.LBB908_851:                            ;   in Loop: Header=BB908_722 Depth=2
	s_or_b32 exec_lo, exec_lo, s34
	s_and_saveexec_b32 s34, s26
	s_cbranch_execnz .LBB908_922
.LBB908_852:                            ;   in Loop: Header=BB908_722 Depth=2
	s_or_b32 exec_lo, exec_lo, s34
	s_and_saveexec_b32 s34, s27
	s_cbranch_execnz .LBB908_923
.LBB908_853:                            ;   in Loop: Header=BB908_722 Depth=2
	s_or_b32 exec_lo, exec_lo, s34
	s_and_saveexec_b32 s34, s28
	s_cbranch_execnz .LBB908_924
.LBB908_854:                            ;   in Loop: Header=BB908_722 Depth=2
	s_or_b32 exec_lo, exec_lo, s34
	s_and_saveexec_b32 s34, s29
	s_cbranch_execnz .LBB908_925
.LBB908_855:                            ;   in Loop: Header=BB908_722 Depth=2
	s_or_b32 exec_lo, exec_lo, s34
	s_and_saveexec_b32 s34, s30
	s_cbranch_execnz .LBB908_926
.LBB908_856:                            ;   in Loop: Header=BB908_722 Depth=2
	s_or_b32 exec_lo, exec_lo, s34
	s_and_saveexec_b32 s34, s31
	s_cbranch_execnz .LBB908_927
.LBB908_857:                            ;   in Loop: Header=BB908_722 Depth=2
	s_or_b32 exec_lo, exec_lo, s34
	s_and_saveexec_b32 s34, s33
	s_cbranch_execz .LBB908_859
.LBB908_858:                            ;   in Loop: Header=BB908_722 Depth=2
	ds_load_u16 v62, v94 offset:8704
	s_wait_dscnt 0x0
	v_lshrrev_b32_e32 v62, s49, v62
	s_delay_alu instid0(VALU_DEP_1)
	v_and_b32_e32 v122, s48, v62
.LBB908_859:                            ;   in Loop: Header=BB908_722 Depth=2
	s_or_b32 exec_lo, exec_lo, s34
	v_dual_lshlrev_b32 v62, 3, v165 :: v_dual_lshlrev_b32 v63, 3, v164
	s_wait_loadcnt 0x0
	s_wait_storecnt 0x0
	s_barrier_signal -1
	s_barrier_wait -1
	ds_store_b64 v62, v[60:61] offset:512
	ds_store_b64 v63, v[58:59] offset:512
	v_dual_lshlrev_b32 v62, 3, v161 :: v_dual_lshlrev_b32 v63, 3, v159
	v_dual_lshlrev_b32 v141, 3, v158 :: v_dual_lshlrev_b32 v142, 3, v157
	v_lshlrev_b32_e32 v143, 3, v156
	ds_store_b64 v62, v[56:57] offset:512
	ds_store_b64 v63, v[54:55] offset:512
	ds_store_b64 v141, v[52:53] offset:512
	ds_store_b64 v142, v[50:51] offset:512
	ds_store_b64 v143, v[48:49] offset:512
	v_dual_lshlrev_b32 v62, 3, v154 :: v_dual_lshlrev_b32 v63, 3, v153
	v_dual_lshlrev_b32 v141, 3, v152 :: v_dual_lshlrev_b32 v142, 3, v150
	v_lshlrev_b32_e32 v143, 3, v149
	ds_store_b64 v62, v[46:47] offset:512
	ds_store_b64 v63, v[44:45] offset:512
	ds_store_b64 v141, v[42:43] offset:512
	;; [unrolled: 8-line block ×3, first 2 shown]
	ds_store_b64 v65, v[30:31] offset:512
	ds_store_b64 v141, v[28:29] offset:512
	s_wait_dscnt 0x0
	s_barrier_signal -1
	s_barrier_wait -1
	s_and_saveexec_b32 s34, vcc_lo
	s_cbranch_execnz .LBB908_928
; %bb.860:                              ;   in Loop: Header=BB908_722 Depth=2
	s_or_b32 exec_lo, exec_lo, s34
	s_and_saveexec_b32 s34, s17
	s_cbranch_execnz .LBB908_929
.LBB908_861:                            ;   in Loop: Header=BB908_722 Depth=2
	s_or_b32 exec_lo, exec_lo, s34
	s_and_saveexec_b32 s17, s18
	s_cbranch_execnz .LBB908_930
.LBB908_862:                            ;   in Loop: Header=BB908_722 Depth=2
	s_or_b32 exec_lo, exec_lo, s17
	s_and_saveexec_b32 s17, s19
	s_cbranch_execnz .LBB908_931
.LBB908_863:                            ;   in Loop: Header=BB908_722 Depth=2
	s_or_b32 exec_lo, exec_lo, s17
	s_and_saveexec_b32 s17, s20
	s_cbranch_execnz .LBB908_932
.LBB908_864:                            ;   in Loop: Header=BB908_722 Depth=2
	s_or_b32 exec_lo, exec_lo, s17
	s_and_saveexec_b32 s17, s21
	s_cbranch_execnz .LBB908_933
.LBB908_865:                            ;   in Loop: Header=BB908_722 Depth=2
	s_or_b32 exec_lo, exec_lo, s17
	s_and_saveexec_b32 s17, s22
	s_cbranch_execnz .LBB908_934
.LBB908_866:                            ;   in Loop: Header=BB908_722 Depth=2
	s_or_b32 exec_lo, exec_lo, s17
	s_and_saveexec_b32 s17, s23
	s_cbranch_execnz .LBB908_935
.LBB908_867:                            ;   in Loop: Header=BB908_722 Depth=2
	s_or_b32 exec_lo, exec_lo, s17
	s_and_saveexec_b32 s17, s24
	s_cbranch_execnz .LBB908_936
.LBB908_868:                            ;   in Loop: Header=BB908_722 Depth=2
	s_or_b32 exec_lo, exec_lo, s17
	s_and_saveexec_b32 s17, s25
	s_cbranch_execnz .LBB908_937
.LBB908_869:                            ;   in Loop: Header=BB908_722 Depth=2
	s_or_b32 exec_lo, exec_lo, s17
	s_and_saveexec_b32 s17, s26
	s_cbranch_execnz .LBB908_938
.LBB908_870:                            ;   in Loop: Header=BB908_722 Depth=2
	s_or_b32 exec_lo, exec_lo, s17
	s_and_saveexec_b32 s17, s27
	s_cbranch_execnz .LBB908_939
.LBB908_871:                            ;   in Loop: Header=BB908_722 Depth=2
	s_or_b32 exec_lo, exec_lo, s17
	s_and_saveexec_b32 s17, s28
	s_cbranch_execnz .LBB908_940
.LBB908_872:                            ;   in Loop: Header=BB908_722 Depth=2
	s_or_b32 exec_lo, exec_lo, s17
	s_and_saveexec_b32 s17, s29
	s_cbranch_execnz .LBB908_941
.LBB908_873:                            ;   in Loop: Header=BB908_722 Depth=2
	s_or_b32 exec_lo, exec_lo, s17
	s_and_saveexec_b32 s17, s30
	s_cbranch_execnz .LBB908_942
.LBB908_874:                            ;   in Loop: Header=BB908_722 Depth=2
	s_or_b32 exec_lo, exec_lo, s17
	s_and_saveexec_b32 s17, s31
	s_cbranch_execnz .LBB908_943
.LBB908_875:                            ;   in Loop: Header=BB908_722 Depth=2
	s_or_b32 exec_lo, exec_lo, s17
	s_and_saveexec_b32 s17, s33
	s_cbranch_execz .LBB908_877
.LBB908_876:                            ;   in Loop: Header=BB908_722 Depth=2
	v_dual_lshlrev_b32 v62, 2, v122 :: v_dual_add_nc_u32 v63, v94, v95
	ds_load_b32 v64, v62
	ds_load_b64 v[62:63], v63 offset:33280
	s_wait_dscnt 0x1
	v_add_nc_u32_e32 v64, v64, v81
	s_wait_dscnt 0x0
	global_store_b64 v64, v[62:63], s[44:45] scale_offset
.LBB908_877:                            ;   in Loop: Header=BB908_722 Depth=2
	s_wait_xcnt 0x0
	s_or_b32 exec_lo, exec_lo, s17
	s_wait_storecnt 0x0
	s_barrier_signal -1
	s_barrier_wait -1
	s_and_saveexec_b32 s17, s0
	s_cbranch_execz .LBB908_721
; %bb.878:                              ;   in Loop: Header=BB908_722 Depth=2
	ds_load_b32 v62, v3
	s_wait_dscnt 0x0
	v_add3_u32 v62, v137, v140, v62
	ds_store_b32 v3, v62
	s_branch .LBB908_721
.LBB908_879:                            ;   in Loop: Header=BB908_722 Depth=2
	ds_load_u16 v62, v94 offset:512
	s_wait_dscnt 0x0
	v_and_b32_e32 v63, 0xffff, v62
	v_xor_b32_e32 v62, 0x7fff, v62
	s_delay_alu instid0(VALU_DEP_2) | instskip(NEXT) | instid1(VALU_DEP_1)
	v_lshrrev_b32_e32 v63, s49, v63
	v_and_b32_e32 v63, s48, v63
	s_delay_alu instid0(VALU_DEP_1)
	v_lshlrev_b32_e32 v63, 2, v63
	ds_load_b32 v63, v63
	s_wait_dscnt 0x0
	v_add_nc_u32_e32 v63, v63, v2
	global_store_b16 v63, v62, s[38:39] scale_offset
	s_wait_xcnt 0x0
	s_or_b32 exec_lo, exec_lo, s17
	v_cmp_lt_u32_e64 s17, v66, v141
	s_and_saveexec_b32 s18, s17
	s_cbranch_execz .LBB908_808
.LBB908_880:                            ;   in Loop: Header=BB908_722 Depth=2
	ds_load_u16 v62, v94 offset:1024
	s_wait_dscnt 0x0
	v_and_b32_e32 v63, 0xffff, v62
	v_xor_b32_e32 v62, 0x7fff, v62
	s_delay_alu instid0(VALU_DEP_2) | instskip(NEXT) | instid1(VALU_DEP_1)
	v_lshrrev_b32_e32 v63, s49, v63
	v_and_b32_e32 v63, s48, v63
	s_delay_alu instid0(VALU_DEP_1)
	v_lshlrev_b32_e32 v63, 2, v63
	ds_load_b32 v63, v63
	s_wait_dscnt 0x0
	v_add_nc_u32_e32 v63, v63, v66
	global_store_b16 v63, v62, s[38:39] scale_offset
	s_wait_xcnt 0x0
	s_or_b32 exec_lo, exec_lo, s18
	v_cmp_lt_u32_e64 s18, v67, v141
	s_and_saveexec_b32 s19, s18
	s_cbranch_execz .LBB908_809
.LBB908_881:                            ;   in Loop: Header=BB908_722 Depth=2
	ds_load_u16 v62, v94 offset:1536
	s_wait_dscnt 0x0
	v_and_b32_e32 v63, 0xffff, v62
	v_xor_b32_e32 v62, 0x7fff, v62
	s_delay_alu instid0(VALU_DEP_2) | instskip(NEXT) | instid1(VALU_DEP_1)
	v_lshrrev_b32_e32 v63, s49, v63
	v_and_b32_e32 v63, s48, v63
	s_delay_alu instid0(VALU_DEP_1)
	v_lshlrev_b32_e32 v63, 2, v63
	ds_load_b32 v63, v63
	s_wait_dscnt 0x0
	v_add_nc_u32_e32 v63, v63, v67
	global_store_b16 v63, v62, s[38:39] scale_offset
	s_wait_xcnt 0x0
	s_or_b32 exec_lo, exec_lo, s19
	v_cmp_lt_u32_e64 s19, v68, v141
	s_and_saveexec_b32 s20, s19
	s_cbranch_execz .LBB908_810
.LBB908_882:                            ;   in Loop: Header=BB908_722 Depth=2
	ds_load_u16 v62, v94 offset:2048
	s_wait_dscnt 0x0
	v_and_b32_e32 v63, 0xffff, v62
	v_xor_b32_e32 v62, 0x7fff, v62
	s_delay_alu instid0(VALU_DEP_2) | instskip(NEXT) | instid1(VALU_DEP_1)
	v_lshrrev_b32_e32 v63, s49, v63
	v_and_b32_e32 v63, s48, v63
	s_delay_alu instid0(VALU_DEP_1)
	v_lshlrev_b32_e32 v63, 2, v63
	ds_load_b32 v63, v63
	s_wait_dscnt 0x0
	v_add_nc_u32_e32 v63, v63, v68
	global_store_b16 v63, v62, s[38:39] scale_offset
	s_wait_xcnt 0x0
	s_or_b32 exec_lo, exec_lo, s20
	v_cmp_lt_u32_e64 s20, v69, v141
	s_and_saveexec_b32 s21, s20
	s_cbranch_execz .LBB908_811
.LBB908_883:                            ;   in Loop: Header=BB908_722 Depth=2
	ds_load_u16 v62, v94 offset:2560
	s_wait_dscnt 0x0
	v_and_b32_e32 v63, 0xffff, v62
	v_xor_b32_e32 v62, 0x7fff, v62
	s_delay_alu instid0(VALU_DEP_2) | instskip(NEXT) | instid1(VALU_DEP_1)
	v_lshrrev_b32_e32 v63, s49, v63
	v_and_b32_e32 v63, s48, v63
	s_delay_alu instid0(VALU_DEP_1)
	v_lshlrev_b32_e32 v63, 2, v63
	ds_load_b32 v63, v63
	s_wait_dscnt 0x0
	v_add_nc_u32_e32 v63, v63, v69
	global_store_b16 v63, v62, s[38:39] scale_offset
	s_wait_xcnt 0x0
	s_or_b32 exec_lo, exec_lo, s21
	v_cmp_lt_u32_e64 s21, v70, v141
	s_and_saveexec_b32 s22, s21
	s_cbranch_execz .LBB908_812
.LBB908_884:                            ;   in Loop: Header=BB908_722 Depth=2
	ds_load_u16 v62, v94 offset:3072
	s_wait_dscnt 0x0
	v_and_b32_e32 v63, 0xffff, v62
	v_xor_b32_e32 v62, 0x7fff, v62
	s_delay_alu instid0(VALU_DEP_2) | instskip(NEXT) | instid1(VALU_DEP_1)
	v_lshrrev_b32_e32 v63, s49, v63
	v_and_b32_e32 v63, s48, v63
	s_delay_alu instid0(VALU_DEP_1)
	v_lshlrev_b32_e32 v63, 2, v63
	ds_load_b32 v63, v63
	s_wait_dscnt 0x0
	v_add_nc_u32_e32 v63, v63, v70
	global_store_b16 v63, v62, s[38:39] scale_offset
	s_wait_xcnt 0x0
	s_or_b32 exec_lo, exec_lo, s22
	v_cmp_lt_u32_e64 s22, v71, v141
	s_and_saveexec_b32 s23, s22
	s_cbranch_execz .LBB908_813
.LBB908_885:                            ;   in Loop: Header=BB908_722 Depth=2
	ds_load_u16 v62, v94 offset:3584
	s_wait_dscnt 0x0
	v_and_b32_e32 v63, 0xffff, v62
	v_xor_b32_e32 v62, 0x7fff, v62
	s_delay_alu instid0(VALU_DEP_2) | instskip(NEXT) | instid1(VALU_DEP_1)
	v_lshrrev_b32_e32 v63, s49, v63
	v_and_b32_e32 v63, s48, v63
	s_delay_alu instid0(VALU_DEP_1)
	v_lshlrev_b32_e32 v63, 2, v63
	ds_load_b32 v63, v63
	s_wait_dscnt 0x0
	v_add_nc_u32_e32 v63, v63, v71
	global_store_b16 v63, v62, s[38:39] scale_offset
	s_wait_xcnt 0x0
	s_or_b32 exec_lo, exec_lo, s23
	v_cmp_lt_u32_e64 s23, v72, v141
	s_and_saveexec_b32 s24, s23
	s_cbranch_execz .LBB908_814
.LBB908_886:                            ;   in Loop: Header=BB908_722 Depth=2
	ds_load_u16 v62, v94 offset:4096
	s_wait_dscnt 0x0
	v_and_b32_e32 v63, 0xffff, v62
	v_xor_b32_e32 v62, 0x7fff, v62
	s_delay_alu instid0(VALU_DEP_2) | instskip(NEXT) | instid1(VALU_DEP_1)
	v_lshrrev_b32_e32 v63, s49, v63
	v_and_b32_e32 v63, s48, v63
	s_delay_alu instid0(VALU_DEP_1)
	v_lshlrev_b32_e32 v63, 2, v63
	ds_load_b32 v63, v63
	s_wait_dscnt 0x0
	v_add_nc_u32_e32 v63, v63, v72
	global_store_b16 v63, v62, s[38:39] scale_offset
	s_wait_xcnt 0x0
	s_or_b32 exec_lo, exec_lo, s24
	v_cmp_lt_u32_e64 s24, v73, v141
	s_and_saveexec_b32 s25, s24
	s_cbranch_execz .LBB908_815
.LBB908_887:                            ;   in Loop: Header=BB908_722 Depth=2
	ds_load_u16 v62, v94 offset:4608
	s_wait_dscnt 0x0
	v_and_b32_e32 v63, 0xffff, v62
	v_xor_b32_e32 v62, 0x7fff, v62
	s_delay_alu instid0(VALU_DEP_2) | instskip(NEXT) | instid1(VALU_DEP_1)
	v_lshrrev_b32_e32 v63, s49, v63
	v_and_b32_e32 v63, s48, v63
	s_delay_alu instid0(VALU_DEP_1)
	v_lshlrev_b32_e32 v63, 2, v63
	ds_load_b32 v63, v63
	s_wait_dscnt 0x0
	v_add_nc_u32_e32 v63, v63, v73
	global_store_b16 v63, v62, s[38:39] scale_offset
	s_wait_xcnt 0x0
	s_or_b32 exec_lo, exec_lo, s25
	v_cmp_lt_u32_e64 s25, v74, v141
	s_and_saveexec_b32 s26, s25
	s_cbranch_execz .LBB908_816
.LBB908_888:                            ;   in Loop: Header=BB908_722 Depth=2
	ds_load_u16 v62, v94 offset:5120
	s_wait_dscnt 0x0
	v_and_b32_e32 v63, 0xffff, v62
	v_xor_b32_e32 v62, 0x7fff, v62
	s_delay_alu instid0(VALU_DEP_2) | instskip(NEXT) | instid1(VALU_DEP_1)
	v_lshrrev_b32_e32 v63, s49, v63
	v_and_b32_e32 v63, s48, v63
	s_delay_alu instid0(VALU_DEP_1)
	v_lshlrev_b32_e32 v63, 2, v63
	ds_load_b32 v63, v63
	s_wait_dscnt 0x0
	v_add_nc_u32_e32 v63, v63, v74
	global_store_b16 v63, v62, s[38:39] scale_offset
	s_wait_xcnt 0x0
	s_or_b32 exec_lo, exec_lo, s26
	v_cmp_lt_u32_e64 s26, v75, v141
	s_and_saveexec_b32 s27, s26
	s_cbranch_execz .LBB908_817
.LBB908_889:                            ;   in Loop: Header=BB908_722 Depth=2
	ds_load_u16 v62, v94 offset:5632
	s_wait_dscnt 0x0
	v_and_b32_e32 v63, 0xffff, v62
	v_xor_b32_e32 v62, 0x7fff, v62
	s_delay_alu instid0(VALU_DEP_2) | instskip(NEXT) | instid1(VALU_DEP_1)
	v_lshrrev_b32_e32 v63, s49, v63
	v_and_b32_e32 v63, s48, v63
	s_delay_alu instid0(VALU_DEP_1)
	v_lshlrev_b32_e32 v63, 2, v63
	ds_load_b32 v63, v63
	s_wait_dscnt 0x0
	v_add_nc_u32_e32 v63, v63, v75
	global_store_b16 v63, v62, s[38:39] scale_offset
	s_wait_xcnt 0x0
	s_or_b32 exec_lo, exec_lo, s27
	v_cmp_lt_u32_e64 s27, v76, v141
	s_and_saveexec_b32 s28, s27
	s_cbranch_execz .LBB908_818
.LBB908_890:                            ;   in Loop: Header=BB908_722 Depth=2
	ds_load_u16 v62, v94 offset:6144
	s_wait_dscnt 0x0
	v_and_b32_e32 v63, 0xffff, v62
	v_xor_b32_e32 v62, 0x7fff, v62
	s_delay_alu instid0(VALU_DEP_2) | instskip(NEXT) | instid1(VALU_DEP_1)
	v_lshrrev_b32_e32 v63, s49, v63
	v_and_b32_e32 v63, s48, v63
	s_delay_alu instid0(VALU_DEP_1)
	v_lshlrev_b32_e32 v63, 2, v63
	ds_load_b32 v63, v63
	s_wait_dscnt 0x0
	v_add_nc_u32_e32 v63, v63, v76
	global_store_b16 v63, v62, s[38:39] scale_offset
	s_wait_xcnt 0x0
	s_or_b32 exec_lo, exec_lo, s28
	v_cmp_lt_u32_e64 s28, v77, v141
	s_and_saveexec_b32 s29, s28
	s_cbranch_execz .LBB908_819
.LBB908_891:                            ;   in Loop: Header=BB908_722 Depth=2
	ds_load_u16 v62, v94 offset:6656
	s_wait_dscnt 0x0
	v_and_b32_e32 v63, 0xffff, v62
	v_xor_b32_e32 v62, 0x7fff, v62
	s_delay_alu instid0(VALU_DEP_2) | instskip(NEXT) | instid1(VALU_DEP_1)
	v_lshrrev_b32_e32 v63, s49, v63
	v_and_b32_e32 v63, s48, v63
	s_delay_alu instid0(VALU_DEP_1)
	v_lshlrev_b32_e32 v63, 2, v63
	ds_load_b32 v63, v63
	s_wait_dscnt 0x0
	v_add_nc_u32_e32 v63, v63, v77
	global_store_b16 v63, v62, s[38:39] scale_offset
	s_wait_xcnt 0x0
	s_or_b32 exec_lo, exec_lo, s29
	v_cmp_lt_u32_e64 s29, v78, v141
	s_and_saveexec_b32 s30, s29
	s_cbranch_execz .LBB908_820
.LBB908_892:                            ;   in Loop: Header=BB908_722 Depth=2
	ds_load_u16 v62, v94 offset:7168
	s_wait_dscnt 0x0
	v_and_b32_e32 v63, 0xffff, v62
	v_xor_b32_e32 v62, 0x7fff, v62
	s_delay_alu instid0(VALU_DEP_2) | instskip(NEXT) | instid1(VALU_DEP_1)
	v_lshrrev_b32_e32 v63, s49, v63
	v_and_b32_e32 v63, s48, v63
	s_delay_alu instid0(VALU_DEP_1)
	v_lshlrev_b32_e32 v63, 2, v63
	ds_load_b32 v63, v63
	s_wait_dscnt 0x0
	v_add_nc_u32_e32 v63, v63, v78
	global_store_b16 v63, v62, s[38:39] scale_offset
	s_wait_xcnt 0x0
	s_or_b32 exec_lo, exec_lo, s30
	v_cmp_lt_u32_e64 s30, v79, v141
	s_and_saveexec_b32 s31, s30
	s_cbranch_execz .LBB908_821
.LBB908_893:                            ;   in Loop: Header=BB908_722 Depth=2
	ds_load_u16 v62, v94 offset:7680
	s_wait_dscnt 0x0
	v_and_b32_e32 v63, 0xffff, v62
	v_xor_b32_e32 v62, 0x7fff, v62
	s_delay_alu instid0(VALU_DEP_2) | instskip(NEXT) | instid1(VALU_DEP_1)
	v_lshrrev_b32_e32 v63, s49, v63
	v_and_b32_e32 v63, s48, v63
	s_delay_alu instid0(VALU_DEP_1)
	v_lshlrev_b32_e32 v63, 2, v63
	ds_load_b32 v63, v63
	s_wait_dscnt 0x0
	v_add_nc_u32_e32 v63, v63, v79
	global_store_b16 v63, v62, s[38:39] scale_offset
	s_wait_xcnt 0x0
	s_or_b32 exec_lo, exec_lo, s31
	v_cmp_lt_u32_e64 s31, v80, v141
	s_and_saveexec_b32 s33, s31
	s_cbranch_execz .LBB908_822
.LBB908_894:                            ;   in Loop: Header=BB908_722 Depth=2
	ds_load_u16 v62, v94 offset:8192
	s_wait_dscnt 0x0
	v_and_b32_e32 v63, 0xffff, v62
	v_xor_b32_e32 v62, 0x7fff, v62
	s_delay_alu instid0(VALU_DEP_2) | instskip(NEXT) | instid1(VALU_DEP_1)
	v_lshrrev_b32_e32 v63, s49, v63
	v_and_b32_e32 v63, s48, v63
	s_delay_alu instid0(VALU_DEP_1)
	v_lshlrev_b32_e32 v63, 2, v63
	ds_load_b32 v63, v63
	s_wait_dscnt 0x0
	v_add_nc_u32_e32 v63, v63, v80
	global_store_b16 v63, v62, s[38:39] scale_offset
	s_wait_xcnt 0x0
	s_or_b32 exec_lo, exec_lo, s33
	v_cmp_lt_u32_e64 s33, v81, v141
	s_and_saveexec_b32 s60, s33
	s_cbranch_execnz .LBB908_823
	s_branch .LBB908_824
.LBB908_895:                            ;   in Loop: Header=BB908_722 Depth=2
	global_load_b64 v[60:61], v[62:63], off
	s_wait_xcnt 0x0
	s_or_b32 exec_lo, exec_lo, s34
	s_delay_alu instid0(SALU_CYCLE_1)
	s_mov_b32 s60, exec_lo
	v_cmpx_lt_u32_e64 v105, v141
	s_cbranch_execz .LBB908_826
.LBB908_896:                            ;   in Loop: Header=BB908_722 Depth=2
	global_load_b64 v[58:59], v[62:63], off offset:256
	s_wait_xcnt 0x0
	s_or_b32 exec_lo, exec_lo, s60
	s_delay_alu instid0(SALU_CYCLE_1)
	s_mov_b32 s60, exec_lo
	v_cmpx_lt_u32_e64 v106, v141
	s_cbranch_execz .LBB908_827
.LBB908_897:                            ;   in Loop: Header=BB908_722 Depth=2
	global_load_b64 v[56:57], v[62:63], off offset:512
	s_wait_xcnt 0x0
	s_or_b32 exec_lo, exec_lo, s60
	s_delay_alu instid0(SALU_CYCLE_1)
	s_mov_b32 s60, exec_lo
	v_cmpx_lt_u32_e64 v107, v141
	s_cbranch_execz .LBB908_828
.LBB908_898:                            ;   in Loop: Header=BB908_722 Depth=2
	global_load_b64 v[54:55], v[62:63], off offset:768
	s_wait_xcnt 0x0
	s_or_b32 exec_lo, exec_lo, s60
	s_delay_alu instid0(SALU_CYCLE_1)
	s_mov_b32 s60, exec_lo
	v_cmpx_lt_u32_e64 v108, v141
	s_cbranch_execz .LBB908_829
.LBB908_899:                            ;   in Loop: Header=BB908_722 Depth=2
	global_load_b64 v[52:53], v[62:63], off offset:1024
	s_wait_xcnt 0x0
	s_or_b32 exec_lo, exec_lo, s60
	s_delay_alu instid0(SALU_CYCLE_1)
	s_mov_b32 s60, exec_lo
	v_cmpx_lt_u32_e64 v109, v141
	s_cbranch_execz .LBB908_830
.LBB908_900:                            ;   in Loop: Header=BB908_722 Depth=2
	global_load_b64 v[50:51], v[62:63], off offset:1280
	s_wait_xcnt 0x0
	s_or_b32 exec_lo, exec_lo, s60
	s_delay_alu instid0(SALU_CYCLE_1)
	s_mov_b32 s60, exec_lo
	v_cmpx_lt_u32_e64 v110, v141
	s_cbranch_execz .LBB908_831
.LBB908_901:                            ;   in Loop: Header=BB908_722 Depth=2
	global_load_b64 v[48:49], v[62:63], off offset:1536
	s_wait_xcnt 0x0
	s_or_b32 exec_lo, exec_lo, s60
	s_delay_alu instid0(SALU_CYCLE_1)
	s_mov_b32 s60, exec_lo
	v_cmpx_lt_u32_e64 v111, v141
	s_cbranch_execz .LBB908_832
.LBB908_902:                            ;   in Loop: Header=BB908_722 Depth=2
	global_load_b64 v[46:47], v[62:63], off offset:1792
	s_wait_xcnt 0x0
	s_or_b32 exec_lo, exec_lo, s60
	s_delay_alu instid0(SALU_CYCLE_1)
	s_mov_b32 s60, exec_lo
	v_cmpx_lt_u32_e64 v112, v141
	s_cbranch_execz .LBB908_833
.LBB908_903:                            ;   in Loop: Header=BB908_722 Depth=2
	global_load_b64 v[44:45], v[62:63], off offset:2048
	s_wait_xcnt 0x0
	s_or_b32 exec_lo, exec_lo, s60
	s_delay_alu instid0(SALU_CYCLE_1)
	s_mov_b32 s60, exec_lo
	v_cmpx_lt_u32_e64 v113, v141
	s_cbranch_execz .LBB908_834
.LBB908_904:                            ;   in Loop: Header=BB908_722 Depth=2
	global_load_b64 v[42:43], v[62:63], off offset:2304
	s_wait_xcnt 0x0
	s_or_b32 exec_lo, exec_lo, s60
	s_delay_alu instid0(SALU_CYCLE_1)
	s_mov_b32 s60, exec_lo
	v_cmpx_lt_u32_e64 v114, v141
	s_cbranch_execz .LBB908_835
.LBB908_905:                            ;   in Loop: Header=BB908_722 Depth=2
	global_load_b64 v[40:41], v[62:63], off offset:2560
	s_wait_xcnt 0x0
	s_or_b32 exec_lo, exec_lo, s60
	s_delay_alu instid0(SALU_CYCLE_1)
	s_mov_b32 s60, exec_lo
	v_cmpx_lt_u32_e64 v115, v141
	s_cbranch_execz .LBB908_836
.LBB908_906:                            ;   in Loop: Header=BB908_722 Depth=2
	global_load_b64 v[38:39], v[62:63], off offset:2816
	s_wait_xcnt 0x0
	s_or_b32 exec_lo, exec_lo, s60
	s_delay_alu instid0(SALU_CYCLE_1)
	s_mov_b32 s60, exec_lo
	v_cmpx_lt_u32_e64 v116, v141
	s_cbranch_execz .LBB908_837
.LBB908_907:                            ;   in Loop: Header=BB908_722 Depth=2
	global_load_b64 v[36:37], v[62:63], off offset:3072
	s_wait_xcnt 0x0
	s_or_b32 exec_lo, exec_lo, s60
	s_delay_alu instid0(SALU_CYCLE_1)
	s_mov_b32 s60, exec_lo
	v_cmpx_lt_u32_e64 v117, v141
	s_cbranch_execz .LBB908_838
.LBB908_908:                            ;   in Loop: Header=BB908_722 Depth=2
	global_load_b64 v[34:35], v[62:63], off offset:3328
	s_wait_xcnt 0x0
	s_or_b32 exec_lo, exec_lo, s60
	s_delay_alu instid0(SALU_CYCLE_1)
	s_mov_b32 s60, exec_lo
	v_cmpx_lt_u32_e64 v118, v141
	s_cbranch_execz .LBB908_839
.LBB908_909:                            ;   in Loop: Header=BB908_722 Depth=2
	global_load_b64 v[32:33], v[62:63], off offset:3584
	s_wait_xcnt 0x0
	s_or_b32 exec_lo, exec_lo, s60
	s_delay_alu instid0(SALU_CYCLE_1)
	s_mov_b32 s60, exec_lo
	v_cmpx_lt_u32_e64 v119, v141
	s_cbranch_execz .LBB908_840
.LBB908_910:                            ;   in Loop: Header=BB908_722 Depth=2
	global_load_b64 v[30:31], v[62:63], off offset:3840
	s_wait_xcnt 0x0
	s_or_b32 exec_lo, exec_lo, s60
	s_delay_alu instid0(SALU_CYCLE_1)
	s_mov_b32 s60, exec_lo
	v_cmpx_lt_u32_e64 v120, v141
	s_cbranch_execz .LBB908_841
.LBB908_911:                            ;   in Loop: Header=BB908_722 Depth=2
	global_load_b64 v[28:29], v[62:63], off offset:4096
	s_wait_xcnt 0x0
	s_or_b32 exec_lo, exec_lo, s60
	s_and_saveexec_b32 s34, vcc_lo
	s_cbranch_execz .LBB908_842
.LBB908_912:                            ;   in Loop: Header=BB908_722 Depth=2
	ds_load_u16 v62, v94 offset:512
	s_wait_dscnt 0x0
	v_lshrrev_b32_e32 v62, s49, v62
	s_delay_alu instid0(VALU_DEP_1)
	v_and_b32_e32 v139, s48, v62
	s_or_b32 exec_lo, exec_lo, s34
	s_and_saveexec_b32 s34, s17
	s_cbranch_execz .LBB908_843
.LBB908_913:                            ;   in Loop: Header=BB908_722 Depth=2
	ds_load_u16 v62, v94 offset:1024
	s_wait_dscnt 0x0
	v_lshrrev_b32_e32 v62, s49, v62
	s_delay_alu instid0(VALU_DEP_1)
	v_and_b32_e32 v138, s48, v62
	s_or_b32 exec_lo, exec_lo, s34
	s_and_saveexec_b32 s34, s18
	s_cbranch_execz .LBB908_844
.LBB908_914:                            ;   in Loop: Header=BB908_722 Depth=2
	ds_load_u16 v62, v94 offset:1536
	s_wait_dscnt 0x0
	v_lshrrev_b32_e32 v62, s49, v62
	s_delay_alu instid0(VALU_DEP_1)
	v_and_b32_e32 v136, s48, v62
	s_or_b32 exec_lo, exec_lo, s34
	s_and_saveexec_b32 s34, s19
	s_cbranch_execz .LBB908_845
.LBB908_915:                            ;   in Loop: Header=BB908_722 Depth=2
	ds_load_u16 v62, v94 offset:2048
	s_wait_dscnt 0x0
	v_lshrrev_b32_e32 v62, s49, v62
	s_delay_alu instid0(VALU_DEP_1)
	v_and_b32_e32 v135, s48, v62
	s_or_b32 exec_lo, exec_lo, s34
	s_and_saveexec_b32 s34, s20
	s_cbranch_execz .LBB908_846
.LBB908_916:                            ;   in Loop: Header=BB908_722 Depth=2
	ds_load_u16 v62, v94 offset:2560
	s_wait_dscnt 0x0
	v_lshrrev_b32_e32 v62, s49, v62
	s_delay_alu instid0(VALU_DEP_1)
	v_and_b32_e32 v134, s48, v62
	s_or_b32 exec_lo, exec_lo, s34
	s_and_saveexec_b32 s34, s21
	s_cbranch_execz .LBB908_847
.LBB908_917:                            ;   in Loop: Header=BB908_722 Depth=2
	ds_load_u16 v62, v94 offset:3072
	s_wait_dscnt 0x0
	v_lshrrev_b32_e32 v62, s49, v62
	s_delay_alu instid0(VALU_DEP_1)
	v_and_b32_e32 v133, s48, v62
	s_or_b32 exec_lo, exec_lo, s34
	s_and_saveexec_b32 s34, s22
	s_cbranch_execz .LBB908_848
.LBB908_918:                            ;   in Loop: Header=BB908_722 Depth=2
	ds_load_u16 v62, v94 offset:3584
	s_wait_dscnt 0x0
	v_lshrrev_b32_e32 v62, s49, v62
	s_delay_alu instid0(VALU_DEP_1)
	v_and_b32_e32 v132, s48, v62
	s_or_b32 exec_lo, exec_lo, s34
	s_and_saveexec_b32 s34, s23
	s_cbranch_execz .LBB908_849
.LBB908_919:                            ;   in Loop: Header=BB908_722 Depth=2
	ds_load_u16 v62, v94 offset:4096
	s_wait_dscnt 0x0
	v_lshrrev_b32_e32 v62, s49, v62
	s_delay_alu instid0(VALU_DEP_1)
	v_and_b32_e32 v131, s48, v62
	s_or_b32 exec_lo, exec_lo, s34
	s_and_saveexec_b32 s34, s24
	s_cbranch_execz .LBB908_850
.LBB908_920:                            ;   in Loop: Header=BB908_722 Depth=2
	ds_load_u16 v62, v94 offset:4608
	s_wait_dscnt 0x0
	v_lshrrev_b32_e32 v62, s49, v62
	s_delay_alu instid0(VALU_DEP_1)
	v_and_b32_e32 v130, s48, v62
	s_or_b32 exec_lo, exec_lo, s34
	s_and_saveexec_b32 s34, s25
	s_cbranch_execz .LBB908_851
.LBB908_921:                            ;   in Loop: Header=BB908_722 Depth=2
	ds_load_u16 v62, v94 offset:5120
	s_wait_dscnt 0x0
	v_lshrrev_b32_e32 v62, s49, v62
	s_delay_alu instid0(VALU_DEP_1)
	v_and_b32_e32 v129, s48, v62
	s_or_b32 exec_lo, exec_lo, s34
	s_and_saveexec_b32 s34, s26
	s_cbranch_execz .LBB908_852
.LBB908_922:                            ;   in Loop: Header=BB908_722 Depth=2
	ds_load_u16 v62, v94 offset:5632
	s_wait_dscnt 0x0
	v_lshrrev_b32_e32 v62, s49, v62
	s_delay_alu instid0(VALU_DEP_1)
	v_and_b32_e32 v128, s48, v62
	s_or_b32 exec_lo, exec_lo, s34
	s_and_saveexec_b32 s34, s27
	s_cbranch_execz .LBB908_853
.LBB908_923:                            ;   in Loop: Header=BB908_722 Depth=2
	ds_load_u16 v62, v94 offset:6144
	s_wait_dscnt 0x0
	v_lshrrev_b32_e32 v62, s49, v62
	s_delay_alu instid0(VALU_DEP_1)
	v_and_b32_e32 v127, s48, v62
	s_or_b32 exec_lo, exec_lo, s34
	s_and_saveexec_b32 s34, s28
	s_cbranch_execz .LBB908_854
.LBB908_924:                            ;   in Loop: Header=BB908_722 Depth=2
	ds_load_u16 v62, v94 offset:6656
	s_wait_dscnt 0x0
	v_lshrrev_b32_e32 v62, s49, v62
	s_delay_alu instid0(VALU_DEP_1)
	v_and_b32_e32 v126, s48, v62
	s_or_b32 exec_lo, exec_lo, s34
	s_and_saveexec_b32 s34, s29
	s_cbranch_execz .LBB908_855
.LBB908_925:                            ;   in Loop: Header=BB908_722 Depth=2
	ds_load_u16 v62, v94 offset:7168
	s_wait_dscnt 0x0
	v_lshrrev_b32_e32 v62, s49, v62
	s_delay_alu instid0(VALU_DEP_1)
	v_and_b32_e32 v125, s48, v62
	s_or_b32 exec_lo, exec_lo, s34
	s_and_saveexec_b32 s34, s30
	s_cbranch_execz .LBB908_856
.LBB908_926:                            ;   in Loop: Header=BB908_722 Depth=2
	ds_load_u16 v62, v94 offset:7680
	s_wait_dscnt 0x0
	v_lshrrev_b32_e32 v62, s49, v62
	s_delay_alu instid0(VALU_DEP_1)
	v_and_b32_e32 v124, s48, v62
	s_or_b32 exec_lo, exec_lo, s34
	s_and_saveexec_b32 s34, s31
	s_cbranch_execz .LBB908_857
.LBB908_927:                            ;   in Loop: Header=BB908_722 Depth=2
	ds_load_u16 v62, v94 offset:8192
	s_wait_dscnt 0x0
	v_lshrrev_b32_e32 v62, s49, v62
	s_delay_alu instid0(VALU_DEP_1)
	v_and_b32_e32 v123, s48, v62
	s_or_b32 exec_lo, exec_lo, s34
	s_and_saveexec_b32 s34, s33
	s_cbranch_execnz .LBB908_858
	s_branch .LBB908_859
.LBB908_928:                            ;   in Loop: Header=BB908_722 Depth=2
	v_lshlrev_b32_e32 v62, 2, v139
	v_add_nc_u32_e32 v63, v94, v95
	ds_load_b32 v64, v62
	ds_load_b64 v[62:63], v63 offset:512
	s_wait_dscnt 0x1
	v_add_nc_u32_e32 v64, v64, v2
	s_wait_dscnt 0x0
	global_store_b64 v64, v[62:63], s[44:45] scale_offset
	s_wait_xcnt 0x0
	s_or_b32 exec_lo, exec_lo, s34
	s_and_saveexec_b32 s34, s17
	s_cbranch_execz .LBB908_861
.LBB908_929:                            ;   in Loop: Header=BB908_722 Depth=2
	v_dual_lshlrev_b32 v62, 2, v138 :: v_dual_add_nc_u32 v63, v94, v95
	ds_load_b32 v64, v62
	ds_load_b64 v[62:63], v63 offset:2560
	s_wait_dscnt 0x1
	v_add_nc_u32_e32 v64, v64, v66
	s_wait_dscnt 0x0
	global_store_b64 v64, v[62:63], s[44:45] scale_offset
	s_wait_xcnt 0x0
	s_or_b32 exec_lo, exec_lo, s34
	s_and_saveexec_b32 s17, s18
	s_cbranch_execz .LBB908_862
.LBB908_930:                            ;   in Loop: Header=BB908_722 Depth=2
	v_dual_lshlrev_b32 v62, 2, v136 :: v_dual_add_nc_u32 v63, v94, v95
	ds_load_b32 v64, v62
	ds_load_b64 v[62:63], v63 offset:4608
	s_wait_dscnt 0x1
	v_add_nc_u32_e32 v64, v64, v67
	s_wait_dscnt 0x0
	global_store_b64 v64, v[62:63], s[44:45] scale_offset
	s_wait_xcnt 0x0
	s_or_b32 exec_lo, exec_lo, s17
	s_and_saveexec_b32 s17, s19
	s_cbranch_execz .LBB908_863
.LBB908_931:                            ;   in Loop: Header=BB908_722 Depth=2
	v_lshlrev_b32_e32 v62, 2, v135
	v_add_nc_u32_e32 v63, v94, v95
	ds_load_b32 v64, v62
	ds_load_b64 v[62:63], v63 offset:6656
	s_wait_dscnt 0x1
	v_add_nc_u32_e32 v64, v64, v68
	s_wait_dscnt 0x0
	global_store_b64 v64, v[62:63], s[44:45] scale_offset
	s_wait_xcnt 0x0
	s_or_b32 exec_lo, exec_lo, s17
	s_and_saveexec_b32 s17, s20
	s_cbranch_execz .LBB908_864
.LBB908_932:                            ;   in Loop: Header=BB908_722 Depth=2
	v_dual_lshlrev_b32 v62, 2, v134 :: v_dual_add_nc_u32 v63, v94, v95
	ds_load_b32 v64, v62
	ds_load_b64 v[62:63], v63 offset:8704
	s_wait_dscnt 0x1
	v_add_nc_u32_e32 v64, v64, v69
	s_wait_dscnt 0x0
	global_store_b64 v64, v[62:63], s[44:45] scale_offset
	s_wait_xcnt 0x0
	s_or_b32 exec_lo, exec_lo, s17
	s_and_saveexec_b32 s17, s21
	s_cbranch_execz .LBB908_865
.LBB908_933:                            ;   in Loop: Header=BB908_722 Depth=2
	v_dual_lshlrev_b32 v62, 2, v133 :: v_dual_add_nc_u32 v63, v94, v95
	ds_load_b32 v64, v62
	ds_load_b64 v[62:63], v63 offset:10752
	s_wait_dscnt 0x1
	v_add_nc_u32_e32 v64, v64, v70
	s_wait_dscnt 0x0
	global_store_b64 v64, v[62:63], s[44:45] scale_offset
	s_wait_xcnt 0x0
	s_or_b32 exec_lo, exec_lo, s17
	s_and_saveexec_b32 s17, s22
	s_cbranch_execz .LBB908_866
.LBB908_934:                            ;   in Loop: Header=BB908_722 Depth=2
	v_dual_lshlrev_b32 v62, 2, v132 :: v_dual_add_nc_u32 v63, v94, v95
	ds_load_b32 v64, v62
	ds_load_b64 v[62:63], v63 offset:12800
	s_wait_dscnt 0x1
	v_add_nc_u32_e32 v64, v64, v71
	s_wait_dscnt 0x0
	global_store_b64 v64, v[62:63], s[44:45] scale_offset
	s_wait_xcnt 0x0
	s_or_b32 exec_lo, exec_lo, s17
	s_and_saveexec_b32 s17, s23
	s_cbranch_execz .LBB908_867
.LBB908_935:                            ;   in Loop: Header=BB908_722 Depth=2
	v_lshlrev_b32_e32 v62, 2, v131
	v_add_nc_u32_e32 v63, v94, v95
	ds_load_b32 v64, v62
	ds_load_b64 v[62:63], v63 offset:14848
	s_wait_dscnt 0x1
	v_add_nc_u32_e32 v64, v64, v72
	s_wait_dscnt 0x0
	global_store_b64 v64, v[62:63], s[44:45] scale_offset
	s_wait_xcnt 0x0
	s_or_b32 exec_lo, exec_lo, s17
	s_and_saveexec_b32 s17, s24
	s_cbranch_execz .LBB908_868
.LBB908_936:                            ;   in Loop: Header=BB908_722 Depth=2
	v_dual_lshlrev_b32 v62, 2, v130 :: v_dual_add_nc_u32 v63, v94, v95
	ds_load_b32 v64, v62
	ds_load_b64 v[62:63], v63 offset:16896
	s_wait_dscnt 0x1
	v_add_nc_u32_e32 v64, v64, v73
	s_wait_dscnt 0x0
	global_store_b64 v64, v[62:63], s[44:45] scale_offset
	s_wait_xcnt 0x0
	s_or_b32 exec_lo, exec_lo, s17
	s_and_saveexec_b32 s17, s25
	s_cbranch_execz .LBB908_869
.LBB908_937:                            ;   in Loop: Header=BB908_722 Depth=2
	v_dual_lshlrev_b32 v62, 2, v129 :: v_dual_add_nc_u32 v63, v94, v95
	ds_load_b32 v64, v62
	ds_load_b64 v[62:63], v63 offset:18944
	s_wait_dscnt 0x1
	v_add_nc_u32_e32 v64, v64, v74
	s_wait_dscnt 0x0
	global_store_b64 v64, v[62:63], s[44:45] scale_offset
	s_wait_xcnt 0x0
	s_or_b32 exec_lo, exec_lo, s17
	s_and_saveexec_b32 s17, s26
	s_cbranch_execz .LBB908_870
.LBB908_938:                            ;   in Loop: Header=BB908_722 Depth=2
	v_dual_lshlrev_b32 v62, 2, v128 :: v_dual_add_nc_u32 v63, v94, v95
	ds_load_b32 v64, v62
	ds_load_b64 v[62:63], v63 offset:20992
	s_wait_dscnt 0x1
	v_add_nc_u32_e32 v64, v64, v75
	s_wait_dscnt 0x0
	global_store_b64 v64, v[62:63], s[44:45] scale_offset
	s_wait_xcnt 0x0
	s_or_b32 exec_lo, exec_lo, s17
	s_and_saveexec_b32 s17, s27
	s_cbranch_execz .LBB908_871
.LBB908_939:                            ;   in Loop: Header=BB908_722 Depth=2
	v_lshlrev_b32_e32 v62, 2, v127
	v_add_nc_u32_e32 v63, v94, v95
	ds_load_b32 v64, v62
	ds_load_b64 v[62:63], v63 offset:23040
	s_wait_dscnt 0x1
	v_add_nc_u32_e32 v64, v64, v76
	s_wait_dscnt 0x0
	global_store_b64 v64, v[62:63], s[44:45] scale_offset
	s_wait_xcnt 0x0
	s_or_b32 exec_lo, exec_lo, s17
	s_and_saveexec_b32 s17, s28
	s_cbranch_execz .LBB908_872
.LBB908_940:                            ;   in Loop: Header=BB908_722 Depth=2
	v_dual_lshlrev_b32 v62, 2, v126 :: v_dual_add_nc_u32 v63, v94, v95
	ds_load_b32 v64, v62
	ds_load_b64 v[62:63], v63 offset:25088
	s_wait_dscnt 0x1
	v_add_nc_u32_e32 v64, v64, v77
	s_wait_dscnt 0x0
	global_store_b64 v64, v[62:63], s[44:45] scale_offset
	s_wait_xcnt 0x0
	s_or_b32 exec_lo, exec_lo, s17
	s_and_saveexec_b32 s17, s29
	s_cbranch_execz .LBB908_873
.LBB908_941:                            ;   in Loop: Header=BB908_722 Depth=2
	v_dual_lshlrev_b32 v62, 2, v125 :: v_dual_add_nc_u32 v63, v94, v95
	ds_load_b32 v64, v62
	ds_load_b64 v[62:63], v63 offset:27136
	s_wait_dscnt 0x1
	v_add_nc_u32_e32 v64, v64, v78
	s_wait_dscnt 0x0
	global_store_b64 v64, v[62:63], s[44:45] scale_offset
	s_wait_xcnt 0x0
	s_or_b32 exec_lo, exec_lo, s17
	s_and_saveexec_b32 s17, s30
	s_cbranch_execz .LBB908_874
.LBB908_942:                            ;   in Loop: Header=BB908_722 Depth=2
	v_dual_lshlrev_b32 v62, 2, v124 :: v_dual_add_nc_u32 v63, v94, v95
	ds_load_b32 v64, v62
	ds_load_b64 v[62:63], v63 offset:29184
	s_wait_dscnt 0x1
	v_add_nc_u32_e32 v64, v64, v79
	s_wait_dscnt 0x0
	global_store_b64 v64, v[62:63], s[44:45] scale_offset
	s_wait_xcnt 0x0
	s_or_b32 exec_lo, exec_lo, s17
	s_and_saveexec_b32 s17, s31
	s_cbranch_execz .LBB908_875
.LBB908_943:                            ;   in Loop: Header=BB908_722 Depth=2
	v_lshlrev_b32_e32 v62, 2, v123
	v_add_nc_u32_e32 v63, v94, v95
	ds_load_b32 v64, v62
	ds_load_b64 v[62:63], v63 offset:31232
	s_wait_dscnt 0x1
	v_add_nc_u32_e32 v64, v64, v80
	s_wait_dscnt 0x0
	global_store_b64 v64, v[62:63], s[44:45] scale_offset
	s_wait_xcnt 0x0
	s_or_b32 exec_lo, exec_lo, s17
	s_and_saveexec_b32 s17, s33
	s_cbranch_execnz .LBB908_876
	s_branch .LBB908_877
.LBB908_944:                            ;   in Loop: Header=BB908_12 Depth=1
	s_wait_dscnt 0x0
	s_barrier_signal -1
	s_mov_b32 s9, 0
	s_barrier_wait -1
.LBB908_945:                            ;   in Loop: Header=BB908_12 Depth=1
	s_and_b32 vcc_lo, exec_lo, s9
	s_cbranch_vccz .LBB908_11
; %bb.946:                              ;   in Loop: Header=BB908_12 Depth=1
	s_mov_b32 s9, s57
	s_mov_b32 s34, s55
	s_barrier_signal -1
	s_barrier_wait -1
                                        ; implicit-def: $vgpr23
                                        ; implicit-def: $vgpr24
                                        ; implicit-def: $vgpr25
                                        ; implicit-def: $vgpr26
                                        ; implicit-def: $vgpr27
                                        ; implicit-def: $vgpr28
                                        ; implicit-def: $vgpr29
                                        ; implicit-def: $vgpr30
                                        ; implicit-def: $vgpr31
                                        ; implicit-def: $vgpr32
                                        ; implicit-def: $vgpr33
                                        ; implicit-def: $vgpr34
                                        ; implicit-def: $vgpr35
                                        ; implicit-def: $vgpr36
                                        ; implicit-def: $vgpr37
                                        ; implicit-def: $vgpr38
                                        ; implicit-def: $vgpr39
	s_branch .LBB908_948
.LBB908_947:                            ;   in Loop: Header=BB908_948 Depth=2
	s_or_b32 exec_lo, exec_lo, s10
	s_addk_co_i32 s9, 0xef00
	s_cmp_ge_u32 s12, s54
	s_mov_b32 s34, s12
	s_cbranch_scc1 .LBB908_1020
.LBB908_948:                            ;   Parent Loop BB908_12 Depth=1
                                        ; =>  This Inner Loop Header: Depth=2
	s_add_co_i32 s12, s34, 0x1100
	s_mov_b32 s10, -1
	s_cmp_gt_u32 s12, s54
                                        ; implicit-def: $vgpr40
                                        ; implicit-def: $vgpr41
                                        ; implicit-def: $vgpr42
                                        ; implicit-def: $vgpr43
                                        ; implicit-def: $vgpr44
                                        ; implicit-def: $vgpr45
                                        ; implicit-def: $vgpr46
                                        ; implicit-def: $vgpr47
                                        ; implicit-def: $vgpr48
                                        ; implicit-def: $vgpr49
                                        ; implicit-def: $vgpr50
                                        ; implicit-def: $vgpr51
                                        ; implicit-def: $vgpr52
                                        ; implicit-def: $vgpr53
                                        ; implicit-def: $vgpr54
                                        ; implicit-def: $vgpr55
                                        ; implicit-def: $vgpr56
	s_cbranch_scc1 .LBB908_950
; %bb.949:                              ;   in Loop: Header=BB908_948 Depth=2
	v_lshl_add_u64 v[58:59], s[34:35], 1, v[16:17]
	s_mov_b32 s10, 0
	s_clause 0x10
	global_load_u16 v40, v[58:59], off
	global_load_u16 v41, v[58:59], off offset:512
	global_load_u16 v42, v[58:59], off offset:1024
	global_load_u16 v43, v[58:59], off offset:1536
	global_load_u16 v44, v[58:59], off offset:2048
	global_load_u16 v45, v[58:59], off offset:2560
	global_load_u16 v46, v[58:59], off offset:3072
	global_load_u16 v47, v[58:59], off offset:3584
	global_load_u16 v48, v[58:59], off offset:4096
	global_load_u16 v49, v[58:59], off offset:4608
	global_load_u16 v50, v[58:59], off offset:5120
	global_load_u16 v51, v[58:59], off offset:5632
	global_load_u16 v52, v[58:59], off offset:6144
	global_load_u16 v53, v[58:59], off offset:6656
	global_load_u16 v54, v[58:59], off offset:7168
	global_load_u16 v55, v[58:59], off offset:7680
	global_load_u16 v56, v[58:59], off offset:8192
.LBB908_950:                            ;   in Loop: Header=BB908_948 Depth=2
	s_and_not1_b32 vcc_lo, exec_lo, s10
	s_movk_i32 s10, 0x1100
	s_cbranch_vccnz .LBB908_970
; %bb.951:                              ;   in Loop: Header=BB908_948 Depth=2
	s_lshl_b64 s[10:11], s[34:35], 1
	s_mov_b32 s13, exec_lo
	s_add_nc_u64 s[10:11], s[36:37], s[10:11]
	s_wait_xcnt 0x0
	v_cmpx_gt_u32_e64 s9, v2
	s_cbranch_execnz .LBB908_1004
; %bb.952:                              ;   in Loop: Header=BB908_948 Depth=2
	s_or_b32 exec_lo, exec_lo, s13
	s_delay_alu instid0(SALU_CYCLE_1)
	s_mov_b32 s13, exec_lo
	v_cmpx_gt_u32_e64 s9, v66
	s_cbranch_execnz .LBB908_1005
.LBB908_953:                            ;   in Loop: Header=BB908_948 Depth=2
	s_or_b32 exec_lo, exec_lo, s13
	s_delay_alu instid0(SALU_CYCLE_1)
	s_mov_b32 s13, exec_lo
	v_cmpx_gt_u32_e64 s9, v67
	s_cbranch_execnz .LBB908_1006
.LBB908_954:                            ;   in Loop: Header=BB908_948 Depth=2
	s_or_b32 exec_lo, exec_lo, s13
	s_delay_alu instid0(SALU_CYCLE_1)
	s_mov_b32 s13, exec_lo
	v_cmpx_gt_u32_e64 s9, v68
	s_cbranch_execnz .LBB908_1007
.LBB908_955:                            ;   in Loop: Header=BB908_948 Depth=2
	s_or_b32 exec_lo, exec_lo, s13
	s_delay_alu instid0(SALU_CYCLE_1)
	s_mov_b32 s13, exec_lo
	v_cmpx_gt_u32_e64 s9, v69
	s_cbranch_execnz .LBB908_1008
.LBB908_956:                            ;   in Loop: Header=BB908_948 Depth=2
	s_or_b32 exec_lo, exec_lo, s13
	s_delay_alu instid0(SALU_CYCLE_1)
	s_mov_b32 s13, exec_lo
	v_cmpx_gt_u32_e64 s9, v70
	s_cbranch_execnz .LBB908_1009
.LBB908_957:                            ;   in Loop: Header=BB908_948 Depth=2
	s_or_b32 exec_lo, exec_lo, s13
	s_delay_alu instid0(SALU_CYCLE_1)
	s_mov_b32 s13, exec_lo
	v_cmpx_gt_u32_e64 s9, v71
	s_cbranch_execnz .LBB908_1010
.LBB908_958:                            ;   in Loop: Header=BB908_948 Depth=2
	s_or_b32 exec_lo, exec_lo, s13
	s_delay_alu instid0(SALU_CYCLE_1)
	s_mov_b32 s13, exec_lo
	v_cmpx_gt_u32_e64 s9, v72
	s_cbranch_execnz .LBB908_1011
.LBB908_959:                            ;   in Loop: Header=BB908_948 Depth=2
	s_or_b32 exec_lo, exec_lo, s13
	s_delay_alu instid0(SALU_CYCLE_1)
	s_mov_b32 s13, exec_lo
	v_cmpx_gt_u32_e64 s9, v73
	s_cbranch_execnz .LBB908_1012
.LBB908_960:                            ;   in Loop: Header=BB908_948 Depth=2
	s_or_b32 exec_lo, exec_lo, s13
	s_delay_alu instid0(SALU_CYCLE_1)
	s_mov_b32 s13, exec_lo
	v_cmpx_gt_u32_e64 s9, v74
	s_cbranch_execnz .LBB908_1013
.LBB908_961:                            ;   in Loop: Header=BB908_948 Depth=2
	s_or_b32 exec_lo, exec_lo, s13
	s_delay_alu instid0(SALU_CYCLE_1)
	s_mov_b32 s13, exec_lo
	v_cmpx_gt_u32_e64 s9, v75
	s_cbranch_execnz .LBB908_1014
.LBB908_962:                            ;   in Loop: Header=BB908_948 Depth=2
	s_or_b32 exec_lo, exec_lo, s13
	s_delay_alu instid0(SALU_CYCLE_1)
	s_mov_b32 s13, exec_lo
	v_cmpx_gt_u32_e64 s9, v76
	s_cbranch_execnz .LBB908_1015
.LBB908_963:                            ;   in Loop: Header=BB908_948 Depth=2
	s_or_b32 exec_lo, exec_lo, s13
	s_delay_alu instid0(SALU_CYCLE_1)
	s_mov_b32 s13, exec_lo
	v_cmpx_gt_u32_e64 s9, v77
	s_cbranch_execnz .LBB908_1016
.LBB908_964:                            ;   in Loop: Header=BB908_948 Depth=2
	s_or_b32 exec_lo, exec_lo, s13
	s_delay_alu instid0(SALU_CYCLE_1)
	s_mov_b32 s13, exec_lo
	v_cmpx_gt_u32_e64 s9, v78
	s_cbranch_execnz .LBB908_1017
.LBB908_965:                            ;   in Loop: Header=BB908_948 Depth=2
	s_or_b32 exec_lo, exec_lo, s13
	s_delay_alu instid0(SALU_CYCLE_1)
	s_mov_b32 s13, exec_lo
	v_cmpx_gt_u32_e64 s9, v79
	s_cbranch_execnz .LBB908_1018
.LBB908_966:                            ;   in Loop: Header=BB908_948 Depth=2
	s_or_b32 exec_lo, exec_lo, s13
	s_delay_alu instid0(SALU_CYCLE_1)
	s_mov_b32 s13, exec_lo
	v_cmpx_gt_u32_e64 s9, v80
	s_cbranch_execnz .LBB908_1019
.LBB908_967:                            ;   in Loop: Header=BB908_948 Depth=2
	s_or_b32 exec_lo, exec_lo, s13
	s_delay_alu instid0(SALU_CYCLE_1)
	s_mov_b32 s13, exec_lo
	v_cmpx_gt_u32_e64 s9, v81
	s_cbranch_execz .LBB908_969
.LBB908_968:                            ;   in Loop: Header=BB908_948 Depth=2
	global_load_u16 v23, v2, s[10:11] offset:8192 scale_offset
.LBB908_969:                            ;   in Loop: Header=BB908_948 Depth=2
	s_wait_xcnt 0x0
	s_or_b32 exec_lo, exec_lo, s13
	s_wait_loadcnt 0x0
	v_dual_mov_b32 v40, v39 :: v_dual_mov_b32 v41, v38
	v_dual_mov_b32 v42, v37 :: v_dual_mov_b32 v43, v36
	;; [unrolled: 1-line block ×8, first 2 shown]
	v_mov_b32_e32 v56, v23
	s_mov_b32 s10, s9
.LBB908_970:                            ;   in Loop: Header=BB908_948 Depth=2
	s_wait_loadcnt 0x0
	s_delay_alu instid0(VALU_DEP_1)
	v_dual_mov_b32 v23, v56 :: v_dual_mov_b32 v24, v55
	v_dual_mov_b32 v25, v54 :: v_dual_mov_b32 v26, v53
	;; [unrolled: 1-line block ×8, first 2 shown]
	v_mov_b32_e32 v39, v40
	s_mov_b32 s11, exec_lo
	s_wait_xcnt 0x0
	v_cmpx_gt_u32_e64 s10, v2
	s_cbranch_execnz .LBB908_987
; %bb.971:                              ;   in Loop: Header=BB908_948 Depth=2
	s_or_b32 exec_lo, exec_lo, s11
	s_delay_alu instid0(SALU_CYCLE_1)
	s_mov_b32 s11, exec_lo
	v_cmpx_gt_u32_e64 s10, v66
	s_cbranch_execnz .LBB908_988
.LBB908_972:                            ;   in Loop: Header=BB908_948 Depth=2
	s_or_b32 exec_lo, exec_lo, s11
	s_delay_alu instid0(SALU_CYCLE_1)
	s_mov_b32 s11, exec_lo
	v_cmpx_gt_u32_e64 s10, v67
	s_cbranch_execnz .LBB908_989
.LBB908_973:                            ;   in Loop: Header=BB908_948 Depth=2
	s_or_b32 exec_lo, exec_lo, s11
	s_delay_alu instid0(SALU_CYCLE_1)
	s_mov_b32 s11, exec_lo
	v_cmpx_gt_u32_e64 s10, v68
	s_cbranch_execnz .LBB908_990
.LBB908_974:                            ;   in Loop: Header=BB908_948 Depth=2
	s_or_b32 exec_lo, exec_lo, s11
	s_delay_alu instid0(SALU_CYCLE_1)
	s_mov_b32 s11, exec_lo
	v_cmpx_gt_u32_e64 s10, v69
	s_cbranch_execnz .LBB908_991
.LBB908_975:                            ;   in Loop: Header=BB908_948 Depth=2
	s_or_b32 exec_lo, exec_lo, s11
	s_delay_alu instid0(SALU_CYCLE_1)
	s_mov_b32 s11, exec_lo
	v_cmpx_gt_u32_e64 s10, v70
	s_cbranch_execnz .LBB908_992
.LBB908_976:                            ;   in Loop: Header=BB908_948 Depth=2
	s_or_b32 exec_lo, exec_lo, s11
	s_delay_alu instid0(SALU_CYCLE_1)
	s_mov_b32 s11, exec_lo
	v_cmpx_gt_u32_e64 s10, v71
	s_cbranch_execnz .LBB908_993
.LBB908_977:                            ;   in Loop: Header=BB908_948 Depth=2
	s_or_b32 exec_lo, exec_lo, s11
	s_delay_alu instid0(SALU_CYCLE_1)
	s_mov_b32 s11, exec_lo
	v_cmpx_gt_u32_e64 s10, v72
	s_cbranch_execnz .LBB908_994
.LBB908_978:                            ;   in Loop: Header=BB908_948 Depth=2
	s_or_b32 exec_lo, exec_lo, s11
	s_delay_alu instid0(SALU_CYCLE_1)
	s_mov_b32 s11, exec_lo
	v_cmpx_gt_u32_e64 s10, v73
	s_cbranch_execnz .LBB908_995
.LBB908_979:                            ;   in Loop: Header=BB908_948 Depth=2
	s_or_b32 exec_lo, exec_lo, s11
	s_delay_alu instid0(SALU_CYCLE_1)
	s_mov_b32 s11, exec_lo
	v_cmpx_gt_u32_e64 s10, v74
	s_cbranch_execnz .LBB908_996
.LBB908_980:                            ;   in Loop: Header=BB908_948 Depth=2
	s_or_b32 exec_lo, exec_lo, s11
	s_delay_alu instid0(SALU_CYCLE_1)
	s_mov_b32 s11, exec_lo
	v_cmpx_gt_u32_e64 s10, v75
	s_cbranch_execnz .LBB908_997
.LBB908_981:                            ;   in Loop: Header=BB908_948 Depth=2
	s_or_b32 exec_lo, exec_lo, s11
	s_delay_alu instid0(SALU_CYCLE_1)
	s_mov_b32 s11, exec_lo
	v_cmpx_gt_u32_e64 s10, v76
	s_cbranch_execnz .LBB908_998
.LBB908_982:                            ;   in Loop: Header=BB908_948 Depth=2
	s_or_b32 exec_lo, exec_lo, s11
	s_delay_alu instid0(SALU_CYCLE_1)
	s_mov_b32 s11, exec_lo
	v_cmpx_gt_u32_e64 s10, v77
	s_cbranch_execnz .LBB908_999
.LBB908_983:                            ;   in Loop: Header=BB908_948 Depth=2
	s_or_b32 exec_lo, exec_lo, s11
	s_delay_alu instid0(SALU_CYCLE_1)
	s_mov_b32 s11, exec_lo
	v_cmpx_gt_u32_e64 s10, v78
	s_cbranch_execnz .LBB908_1000
.LBB908_984:                            ;   in Loop: Header=BB908_948 Depth=2
	s_or_b32 exec_lo, exec_lo, s11
	s_delay_alu instid0(SALU_CYCLE_1)
	s_mov_b32 s11, exec_lo
	v_cmpx_gt_u32_e64 s10, v79
	s_cbranch_execnz .LBB908_1001
.LBB908_985:                            ;   in Loop: Header=BB908_948 Depth=2
	s_or_b32 exec_lo, exec_lo, s11
	s_delay_alu instid0(SALU_CYCLE_1)
	s_mov_b32 s11, exec_lo
	v_cmpx_gt_u32_e64 s10, v80
	s_cbranch_execnz .LBB908_1002
.LBB908_986:                            ;   in Loop: Header=BB908_948 Depth=2
	s_or_b32 exec_lo, exec_lo, s11
	v_cmp_gt_u32_e32 vcc_lo, s10, v81
	s_and_saveexec_b32 s10, vcc_lo
	s_cbranch_execz .LBB908_947
	s_branch .LBB908_1003
.LBB908_987:                            ;   in Loop: Header=BB908_948 Depth=2
	v_xor_b32_e32 v40, 0x7fff, v39
	s_delay_alu instid0(VALU_DEP_1) | instskip(NEXT) | instid1(VALU_DEP_1)
	v_and_b32_e32 v40, 0xffff, v40
	v_lshrrev_b32_e32 v40, s49, v40
	s_delay_alu instid0(VALU_DEP_1) | instskip(NEXT) | instid1(VALU_DEP_1)
	v_and_b32_e32 v40, s48, v40
	v_lshl_or_b32 v40, v40, 4, v83
	ds_add_u32 v40, v97
	s_or_b32 exec_lo, exec_lo, s11
	s_delay_alu instid0(SALU_CYCLE_1)
	s_mov_b32 s11, exec_lo
	v_cmpx_gt_u32_e64 s10, v66
	s_cbranch_execz .LBB908_972
.LBB908_988:                            ;   in Loop: Header=BB908_948 Depth=2
	v_xor_b32_e32 v40, 0x7fff, v38
	s_delay_alu instid0(VALU_DEP_1) | instskip(NEXT) | instid1(VALU_DEP_1)
	v_and_b32_e32 v40, 0xffff, v40
	v_lshrrev_b32_e32 v40, s49, v40
	s_delay_alu instid0(VALU_DEP_1) | instskip(NEXT) | instid1(VALU_DEP_1)
	v_and_b32_e32 v40, s48, v40
	v_lshl_or_b32 v40, v40, 4, v83
	ds_add_u32 v40, v97
	s_or_b32 exec_lo, exec_lo, s11
	s_delay_alu instid0(SALU_CYCLE_1)
	s_mov_b32 s11, exec_lo
	v_cmpx_gt_u32_e64 s10, v67
	s_cbranch_execz .LBB908_973
.LBB908_989:                            ;   in Loop: Header=BB908_948 Depth=2
	v_xor_b32_e32 v40, 0x7fff, v37
	s_delay_alu instid0(VALU_DEP_1) | instskip(NEXT) | instid1(VALU_DEP_1)
	v_and_b32_e32 v40, 0xffff, v40
	v_lshrrev_b32_e32 v40, s49, v40
	s_delay_alu instid0(VALU_DEP_1) | instskip(NEXT) | instid1(VALU_DEP_1)
	v_and_b32_e32 v40, s48, v40
	v_lshl_or_b32 v40, v40, 4, v83
	ds_add_u32 v40, v97
	s_or_b32 exec_lo, exec_lo, s11
	s_delay_alu instid0(SALU_CYCLE_1)
	s_mov_b32 s11, exec_lo
	v_cmpx_gt_u32_e64 s10, v68
	s_cbranch_execz .LBB908_974
.LBB908_990:                            ;   in Loop: Header=BB908_948 Depth=2
	v_xor_b32_e32 v40, 0x7fff, v36
	s_delay_alu instid0(VALU_DEP_1) | instskip(NEXT) | instid1(VALU_DEP_1)
	v_and_b32_e32 v40, 0xffff, v40
	v_lshrrev_b32_e32 v40, s49, v40
	s_delay_alu instid0(VALU_DEP_1) | instskip(NEXT) | instid1(VALU_DEP_1)
	v_and_b32_e32 v40, s48, v40
	v_lshl_or_b32 v40, v40, 4, v83
	ds_add_u32 v40, v97
	s_or_b32 exec_lo, exec_lo, s11
	s_delay_alu instid0(SALU_CYCLE_1)
	s_mov_b32 s11, exec_lo
	v_cmpx_gt_u32_e64 s10, v69
	s_cbranch_execz .LBB908_975
.LBB908_991:                            ;   in Loop: Header=BB908_948 Depth=2
	v_xor_b32_e32 v40, 0x7fff, v35
	s_delay_alu instid0(VALU_DEP_1) | instskip(NEXT) | instid1(VALU_DEP_1)
	v_and_b32_e32 v40, 0xffff, v40
	v_lshrrev_b32_e32 v40, s49, v40
	s_delay_alu instid0(VALU_DEP_1) | instskip(NEXT) | instid1(VALU_DEP_1)
	v_and_b32_e32 v40, s48, v40
	v_lshl_or_b32 v40, v40, 4, v83
	ds_add_u32 v40, v97
	s_or_b32 exec_lo, exec_lo, s11
	s_delay_alu instid0(SALU_CYCLE_1)
	s_mov_b32 s11, exec_lo
	v_cmpx_gt_u32_e64 s10, v70
	s_cbranch_execz .LBB908_976
.LBB908_992:                            ;   in Loop: Header=BB908_948 Depth=2
	v_xor_b32_e32 v40, 0x7fff, v34
	s_delay_alu instid0(VALU_DEP_1) | instskip(NEXT) | instid1(VALU_DEP_1)
	v_and_b32_e32 v40, 0xffff, v40
	v_lshrrev_b32_e32 v40, s49, v40
	s_delay_alu instid0(VALU_DEP_1) | instskip(NEXT) | instid1(VALU_DEP_1)
	v_and_b32_e32 v40, s48, v40
	v_lshl_or_b32 v40, v40, 4, v83
	ds_add_u32 v40, v97
	s_or_b32 exec_lo, exec_lo, s11
	s_delay_alu instid0(SALU_CYCLE_1)
	s_mov_b32 s11, exec_lo
	v_cmpx_gt_u32_e64 s10, v71
	s_cbranch_execz .LBB908_977
.LBB908_993:                            ;   in Loop: Header=BB908_948 Depth=2
	v_xor_b32_e32 v40, 0x7fff, v33
	s_delay_alu instid0(VALU_DEP_1) | instskip(NEXT) | instid1(VALU_DEP_1)
	v_and_b32_e32 v40, 0xffff, v40
	v_lshrrev_b32_e32 v40, s49, v40
	s_delay_alu instid0(VALU_DEP_1) | instskip(NEXT) | instid1(VALU_DEP_1)
	v_and_b32_e32 v40, s48, v40
	v_lshl_or_b32 v40, v40, 4, v83
	ds_add_u32 v40, v97
	s_or_b32 exec_lo, exec_lo, s11
	s_delay_alu instid0(SALU_CYCLE_1)
	s_mov_b32 s11, exec_lo
	v_cmpx_gt_u32_e64 s10, v72
	s_cbranch_execz .LBB908_978
.LBB908_994:                            ;   in Loop: Header=BB908_948 Depth=2
	v_xor_b32_e32 v40, 0x7fff, v32
	s_delay_alu instid0(VALU_DEP_1) | instskip(NEXT) | instid1(VALU_DEP_1)
	v_and_b32_e32 v40, 0xffff, v40
	v_lshrrev_b32_e32 v40, s49, v40
	s_delay_alu instid0(VALU_DEP_1) | instskip(NEXT) | instid1(VALU_DEP_1)
	v_and_b32_e32 v40, s48, v40
	v_lshl_or_b32 v40, v40, 4, v83
	ds_add_u32 v40, v97
	s_or_b32 exec_lo, exec_lo, s11
	s_delay_alu instid0(SALU_CYCLE_1)
	s_mov_b32 s11, exec_lo
	v_cmpx_gt_u32_e64 s10, v73
	s_cbranch_execz .LBB908_979
.LBB908_995:                            ;   in Loop: Header=BB908_948 Depth=2
	v_xor_b32_e32 v40, 0x7fff, v31
	s_delay_alu instid0(VALU_DEP_1) | instskip(NEXT) | instid1(VALU_DEP_1)
	v_and_b32_e32 v40, 0xffff, v40
	v_lshrrev_b32_e32 v40, s49, v40
	s_delay_alu instid0(VALU_DEP_1) | instskip(NEXT) | instid1(VALU_DEP_1)
	v_and_b32_e32 v40, s48, v40
	v_lshl_or_b32 v40, v40, 4, v83
	ds_add_u32 v40, v97
	s_or_b32 exec_lo, exec_lo, s11
	s_delay_alu instid0(SALU_CYCLE_1)
	s_mov_b32 s11, exec_lo
	v_cmpx_gt_u32_e64 s10, v74
	s_cbranch_execz .LBB908_980
.LBB908_996:                            ;   in Loop: Header=BB908_948 Depth=2
	v_xor_b32_e32 v40, 0x7fff, v30
	s_delay_alu instid0(VALU_DEP_1) | instskip(NEXT) | instid1(VALU_DEP_1)
	v_and_b32_e32 v40, 0xffff, v40
	v_lshrrev_b32_e32 v40, s49, v40
	s_delay_alu instid0(VALU_DEP_1) | instskip(NEXT) | instid1(VALU_DEP_1)
	v_and_b32_e32 v40, s48, v40
	v_lshl_or_b32 v40, v40, 4, v83
	ds_add_u32 v40, v97
	s_or_b32 exec_lo, exec_lo, s11
	s_delay_alu instid0(SALU_CYCLE_1)
	s_mov_b32 s11, exec_lo
	v_cmpx_gt_u32_e64 s10, v75
	s_cbranch_execz .LBB908_981
.LBB908_997:                            ;   in Loop: Header=BB908_948 Depth=2
	v_xor_b32_e32 v40, 0x7fff, v29
	s_delay_alu instid0(VALU_DEP_1) | instskip(NEXT) | instid1(VALU_DEP_1)
	v_and_b32_e32 v40, 0xffff, v40
	v_lshrrev_b32_e32 v40, s49, v40
	s_delay_alu instid0(VALU_DEP_1) | instskip(NEXT) | instid1(VALU_DEP_1)
	v_and_b32_e32 v40, s48, v40
	v_lshl_or_b32 v40, v40, 4, v83
	ds_add_u32 v40, v97
	s_or_b32 exec_lo, exec_lo, s11
	s_delay_alu instid0(SALU_CYCLE_1)
	s_mov_b32 s11, exec_lo
	v_cmpx_gt_u32_e64 s10, v76
	s_cbranch_execz .LBB908_982
.LBB908_998:                            ;   in Loop: Header=BB908_948 Depth=2
	v_xor_b32_e32 v40, 0x7fff, v28
	s_delay_alu instid0(VALU_DEP_1) | instskip(NEXT) | instid1(VALU_DEP_1)
	v_and_b32_e32 v40, 0xffff, v40
	v_lshrrev_b32_e32 v40, s49, v40
	s_delay_alu instid0(VALU_DEP_1) | instskip(NEXT) | instid1(VALU_DEP_1)
	v_and_b32_e32 v40, s48, v40
	v_lshl_or_b32 v40, v40, 4, v83
	ds_add_u32 v40, v97
	s_or_b32 exec_lo, exec_lo, s11
	s_delay_alu instid0(SALU_CYCLE_1)
	s_mov_b32 s11, exec_lo
	v_cmpx_gt_u32_e64 s10, v77
	s_cbranch_execz .LBB908_983
.LBB908_999:                            ;   in Loop: Header=BB908_948 Depth=2
	v_xor_b32_e32 v40, 0x7fff, v27
	s_delay_alu instid0(VALU_DEP_1) | instskip(NEXT) | instid1(VALU_DEP_1)
	v_and_b32_e32 v40, 0xffff, v40
	v_lshrrev_b32_e32 v40, s49, v40
	s_delay_alu instid0(VALU_DEP_1) | instskip(NEXT) | instid1(VALU_DEP_1)
	v_and_b32_e32 v40, s48, v40
	v_lshl_or_b32 v40, v40, 4, v83
	ds_add_u32 v40, v97
	s_or_b32 exec_lo, exec_lo, s11
	s_delay_alu instid0(SALU_CYCLE_1)
	s_mov_b32 s11, exec_lo
	v_cmpx_gt_u32_e64 s10, v78
	s_cbranch_execz .LBB908_984
.LBB908_1000:                           ;   in Loop: Header=BB908_948 Depth=2
	v_xor_b32_e32 v40, 0x7fff, v26
	s_delay_alu instid0(VALU_DEP_1) | instskip(NEXT) | instid1(VALU_DEP_1)
	v_and_b32_e32 v40, 0xffff, v40
	v_lshrrev_b32_e32 v40, s49, v40
	s_delay_alu instid0(VALU_DEP_1) | instskip(NEXT) | instid1(VALU_DEP_1)
	v_and_b32_e32 v40, s48, v40
	v_lshl_or_b32 v40, v40, 4, v83
	ds_add_u32 v40, v97
	s_or_b32 exec_lo, exec_lo, s11
	s_delay_alu instid0(SALU_CYCLE_1)
	s_mov_b32 s11, exec_lo
	v_cmpx_gt_u32_e64 s10, v79
	s_cbranch_execz .LBB908_985
.LBB908_1001:                           ;   in Loop: Header=BB908_948 Depth=2
	v_xor_b32_e32 v40, 0x7fff, v25
	s_delay_alu instid0(VALU_DEP_1) | instskip(NEXT) | instid1(VALU_DEP_1)
	v_and_b32_e32 v40, 0xffff, v40
	v_lshrrev_b32_e32 v40, s49, v40
	s_delay_alu instid0(VALU_DEP_1) | instskip(NEXT) | instid1(VALU_DEP_1)
	v_and_b32_e32 v40, s48, v40
	v_lshl_or_b32 v40, v40, 4, v83
	ds_add_u32 v40, v97
	s_or_b32 exec_lo, exec_lo, s11
	s_delay_alu instid0(SALU_CYCLE_1)
	s_mov_b32 s11, exec_lo
	v_cmpx_gt_u32_e64 s10, v80
	s_cbranch_execz .LBB908_986
.LBB908_1002:                           ;   in Loop: Header=BB908_948 Depth=2
	v_xor_b32_e32 v40, 0x7fff, v24
	s_delay_alu instid0(VALU_DEP_1) | instskip(NEXT) | instid1(VALU_DEP_1)
	v_and_b32_e32 v40, 0xffff, v40
	v_lshrrev_b32_e32 v40, s49, v40
	s_delay_alu instid0(VALU_DEP_1) | instskip(NEXT) | instid1(VALU_DEP_1)
	v_and_b32_e32 v40, s48, v40
	v_lshl_or_b32 v40, v40, 4, v83
	ds_add_u32 v40, v97
	s_or_b32 exec_lo, exec_lo, s11
	v_cmp_gt_u32_e32 vcc_lo, s10, v81
	s_and_saveexec_b32 s10, vcc_lo
	s_cbranch_execz .LBB908_947
.LBB908_1003:                           ;   in Loop: Header=BB908_948 Depth=2
	v_xor_b32_e32 v40, 0x7fff, v23
	s_delay_alu instid0(VALU_DEP_1) | instskip(NEXT) | instid1(VALU_DEP_1)
	v_and_b32_e32 v40, 0xffff, v40
	v_lshrrev_b32_e32 v40, s49, v40
	s_delay_alu instid0(VALU_DEP_1) | instskip(NEXT) | instid1(VALU_DEP_1)
	v_and_b32_e32 v40, s48, v40
	v_lshl_or_b32 v40, v40, 4, v83
	ds_add_u32 v40, v97
	s_branch .LBB908_947
.LBB908_1004:                           ;   in Loop: Header=BB908_948 Depth=2
	global_load_u16 v39, v2, s[10:11] scale_offset
	s_wait_xcnt 0x0
	s_or_b32 exec_lo, exec_lo, s13
	s_delay_alu instid0(SALU_CYCLE_1)
	s_mov_b32 s13, exec_lo
	v_cmpx_gt_u32_e64 s9, v66
	s_cbranch_execz .LBB908_953
.LBB908_1005:                           ;   in Loop: Header=BB908_948 Depth=2
	global_load_u16 v38, v2, s[10:11] offset:512 scale_offset
	s_wait_xcnt 0x0
	s_or_b32 exec_lo, exec_lo, s13
	s_delay_alu instid0(SALU_CYCLE_1)
	s_mov_b32 s13, exec_lo
	v_cmpx_gt_u32_e64 s9, v67
	s_cbranch_execz .LBB908_954
.LBB908_1006:                           ;   in Loop: Header=BB908_948 Depth=2
	global_load_u16 v37, v2, s[10:11] offset:1024 scale_offset
	s_wait_xcnt 0x0
	s_or_b32 exec_lo, exec_lo, s13
	s_delay_alu instid0(SALU_CYCLE_1)
	s_mov_b32 s13, exec_lo
	v_cmpx_gt_u32_e64 s9, v68
	s_cbranch_execz .LBB908_955
.LBB908_1007:                           ;   in Loop: Header=BB908_948 Depth=2
	global_load_u16 v36, v2, s[10:11] offset:1536 scale_offset
	s_wait_xcnt 0x0
	s_or_b32 exec_lo, exec_lo, s13
	s_delay_alu instid0(SALU_CYCLE_1)
	s_mov_b32 s13, exec_lo
	v_cmpx_gt_u32_e64 s9, v69
	s_cbranch_execz .LBB908_956
.LBB908_1008:                           ;   in Loop: Header=BB908_948 Depth=2
	global_load_u16 v35, v2, s[10:11] offset:2048 scale_offset
	s_wait_xcnt 0x0
	s_or_b32 exec_lo, exec_lo, s13
	s_delay_alu instid0(SALU_CYCLE_1)
	s_mov_b32 s13, exec_lo
	v_cmpx_gt_u32_e64 s9, v70
	s_cbranch_execz .LBB908_957
.LBB908_1009:                           ;   in Loop: Header=BB908_948 Depth=2
	global_load_u16 v34, v2, s[10:11] offset:2560 scale_offset
	s_wait_xcnt 0x0
	s_or_b32 exec_lo, exec_lo, s13
	s_delay_alu instid0(SALU_CYCLE_1)
	s_mov_b32 s13, exec_lo
	v_cmpx_gt_u32_e64 s9, v71
	s_cbranch_execz .LBB908_958
.LBB908_1010:                           ;   in Loop: Header=BB908_948 Depth=2
	global_load_u16 v33, v2, s[10:11] offset:3072 scale_offset
	s_wait_xcnt 0x0
	s_or_b32 exec_lo, exec_lo, s13
	s_delay_alu instid0(SALU_CYCLE_1)
	s_mov_b32 s13, exec_lo
	v_cmpx_gt_u32_e64 s9, v72
	s_cbranch_execz .LBB908_959
.LBB908_1011:                           ;   in Loop: Header=BB908_948 Depth=2
	global_load_u16 v32, v2, s[10:11] offset:3584 scale_offset
	s_wait_xcnt 0x0
	s_or_b32 exec_lo, exec_lo, s13
	s_delay_alu instid0(SALU_CYCLE_1)
	s_mov_b32 s13, exec_lo
	v_cmpx_gt_u32_e64 s9, v73
	s_cbranch_execz .LBB908_960
.LBB908_1012:                           ;   in Loop: Header=BB908_948 Depth=2
	global_load_u16 v31, v2, s[10:11] offset:4096 scale_offset
	s_wait_xcnt 0x0
	s_or_b32 exec_lo, exec_lo, s13
	s_delay_alu instid0(SALU_CYCLE_1)
	s_mov_b32 s13, exec_lo
	v_cmpx_gt_u32_e64 s9, v74
	s_cbranch_execz .LBB908_961
.LBB908_1013:                           ;   in Loop: Header=BB908_948 Depth=2
	global_load_u16 v30, v2, s[10:11] offset:4608 scale_offset
	s_wait_xcnt 0x0
	s_or_b32 exec_lo, exec_lo, s13
	s_delay_alu instid0(SALU_CYCLE_1)
	s_mov_b32 s13, exec_lo
	v_cmpx_gt_u32_e64 s9, v75
	s_cbranch_execz .LBB908_962
.LBB908_1014:                           ;   in Loop: Header=BB908_948 Depth=2
	global_load_u16 v29, v2, s[10:11] offset:5120 scale_offset
	s_wait_xcnt 0x0
	s_or_b32 exec_lo, exec_lo, s13
	s_delay_alu instid0(SALU_CYCLE_1)
	s_mov_b32 s13, exec_lo
	v_cmpx_gt_u32_e64 s9, v76
	s_cbranch_execz .LBB908_963
.LBB908_1015:                           ;   in Loop: Header=BB908_948 Depth=2
	global_load_u16 v28, v2, s[10:11] offset:5632 scale_offset
	s_wait_xcnt 0x0
	s_or_b32 exec_lo, exec_lo, s13
	s_delay_alu instid0(SALU_CYCLE_1)
	s_mov_b32 s13, exec_lo
	v_cmpx_gt_u32_e64 s9, v77
	s_cbranch_execz .LBB908_964
.LBB908_1016:                           ;   in Loop: Header=BB908_948 Depth=2
	global_load_u16 v27, v2, s[10:11] offset:6144 scale_offset
	s_wait_xcnt 0x0
	s_or_b32 exec_lo, exec_lo, s13
	s_delay_alu instid0(SALU_CYCLE_1)
	s_mov_b32 s13, exec_lo
	v_cmpx_gt_u32_e64 s9, v78
	s_cbranch_execz .LBB908_965
.LBB908_1017:                           ;   in Loop: Header=BB908_948 Depth=2
	global_load_u16 v26, v2, s[10:11] offset:6656 scale_offset
	s_wait_xcnt 0x0
	s_or_b32 exec_lo, exec_lo, s13
	s_delay_alu instid0(SALU_CYCLE_1)
	s_mov_b32 s13, exec_lo
	v_cmpx_gt_u32_e64 s9, v79
	s_cbranch_execz .LBB908_966
.LBB908_1018:                           ;   in Loop: Header=BB908_948 Depth=2
	global_load_u16 v25, v2, s[10:11] offset:7168 scale_offset
	s_wait_xcnt 0x0
	s_or_b32 exec_lo, exec_lo, s13
	s_delay_alu instid0(SALU_CYCLE_1)
	s_mov_b32 s13, exec_lo
	v_cmpx_gt_u32_e64 s9, v80
	s_cbranch_execz .LBB908_967
.LBB908_1019:                           ;   in Loop: Header=BB908_948 Depth=2
	global_load_u16 v24, v2, s[10:11] offset:7680 scale_offset
	s_wait_xcnt 0x0
	s_or_b32 exec_lo, exec_lo, s13
	s_delay_alu instid0(SALU_CYCLE_1)
	s_mov_b32 s13, exec_lo
	v_cmpx_gt_u32_e64 s9, v81
	s_cbranch_execnz .LBB908_968
	s_branch .LBB908_969
.LBB908_1020:                           ;   in Loop: Header=BB908_12 Depth=1
	v_mov_b32_e32 v23, 0
	s_wait_dscnt 0x0
	s_barrier_signal -1
	s_barrier_wait -1
	s_and_saveexec_b32 s9, s0
	s_cbranch_execz .LBB908_1022
; %bb.1021:                             ;   in Loop: Header=BB908_12 Depth=1
	ds_load_2addr_b64 v[24:27], v84 offset1:1
	s_wait_dscnt 0x0
	v_add_nc_u32_e32 v23, v25, v24
	s_delay_alu instid0(VALU_DEP_1)
	v_add3_u32 v23, v23, v26, v27
.LBB908_1022:                           ;   in Loop: Header=BB908_12 Depth=1
	s_or_b32 exec_lo, exec_lo, s9
	s_delay_alu instid0(VALU_DEP_1)
	v_mov_b32_dpp v24, v23 row_shr:1 row_mask:0xf bank_mask:0xf
	v_cmp_eq_u32_e64 s9, 0, v98
	v_cmp_lt_u32_e64 s10, 1, v98
	v_cmp_lt_u32_e64 s11, 3, v98
	;; [unrolled: 1-line block ×3, first 2 shown]
	v_cmp_eq_u32_e64 s13, 0, v100
	v_cndmask_b32_e64 v24, v24, 0, s9
	s_delay_alu instid0(VALU_DEP_1) | instskip(NEXT) | instid1(VALU_DEP_1)
	v_add_nc_u32_e32 v23, v24, v23
	v_mov_b32_dpp v24, v23 row_shr:2 row_mask:0xf bank_mask:0xf
	s_delay_alu instid0(VALU_DEP_1) | instskip(NEXT) | instid1(VALU_DEP_1)
	v_cndmask_b32_e64 v24, 0, v24, s10
	v_add_nc_u32_e32 v23, v23, v24
	s_delay_alu instid0(VALU_DEP_1) | instskip(NEXT) | instid1(VALU_DEP_1)
	v_mov_b32_dpp v24, v23 row_shr:4 row_mask:0xf bank_mask:0xf
	v_cndmask_b32_e64 v24, 0, v24, s11
	s_delay_alu instid0(VALU_DEP_1) | instskip(NEXT) | instid1(VALU_DEP_1)
	v_add_nc_u32_e32 v23, v23, v24
	v_mov_b32_dpp v24, v23 row_shr:8 row_mask:0xf bank_mask:0xf
	s_delay_alu instid0(VALU_DEP_1) | instskip(NEXT) | instid1(VALU_DEP_1)
	v_cndmask_b32_e64 v24, 0, v24, s12
	v_add_nc_u32_e32 v23, v23, v24
	ds_swizzle_b32 v24, v23 offset:swizzle(BROADCAST,32,15)
	s_wait_dscnt 0x0
	v_and_b32_e32 v24, v99, v24
	s_delay_alu instid0(VALU_DEP_1)
	v_add_nc_u32_e32 v23, v23, v24
	s_and_saveexec_b32 s14, s1
; %bb.1023:                             ;   in Loop: Header=BB908_12 Depth=1
	ds_store_b32 v85, v23
; %bb.1024:                             ;   in Loop: Header=BB908_12 Depth=1
	s_or_b32 exec_lo, exec_lo, s14
	s_wait_dscnt 0x0
	s_barrier_signal -1
	s_barrier_wait -1
	s_and_saveexec_b32 s14, s4
	s_cbranch_execz .LBB908_1026
; %bb.1025:                             ;   in Loop: Header=BB908_12 Depth=1
	ds_load_b32 v24, v86
	v_cmp_ne_u32_e32 vcc_lo, 0, v101
	s_wait_dscnt 0x0
	v_mov_b32_dpp v25, v24 row_shr:1 row_mask:0xf bank_mask:0xf
	s_delay_alu instid0(VALU_DEP_1) | instskip(SKIP_1) | instid1(VALU_DEP_2)
	v_cndmask_b32_e32 v25, 0, v25, vcc_lo
	v_cmp_lt_u32_e32 vcc_lo, 1, v101
	v_add_nc_u32_e32 v24, v25, v24
	s_delay_alu instid0(VALU_DEP_1) | instskip(NEXT) | instid1(VALU_DEP_1)
	v_mov_b32_dpp v25, v24 row_shr:2 row_mask:0xf bank_mask:0xf
	v_cndmask_b32_e32 v25, 0, v25, vcc_lo
	s_delay_alu instid0(VALU_DEP_1)
	v_add_nc_u32_e32 v24, v24, v25
	ds_store_b32 v86, v24
.LBB908_1026:                           ;   in Loop: Header=BB908_12 Depth=1
	s_or_b32 exec_lo, exec_lo, s14
	v_mov_b32_e32 v24, 0
	s_wait_dscnt 0x0
	s_barrier_signal -1
	s_barrier_wait -1
	s_and_saveexec_b32 s14, s5
; %bb.1027:                             ;   in Loop: Header=BB908_12 Depth=1
	ds_load_b32 v24, v87
; %bb.1028:                             ;   in Loop: Header=BB908_12 Depth=1
	s_or_b32 exec_lo, exec_lo, s14
	v_cmp_gt_i32_e32 vcc_lo, 0, v103
	s_wait_dscnt 0x0
	s_barrier_signal -1
	s_barrier_wait -1
	v_dual_cndmask_b32 v25, v103, v96, vcc_lo :: v_dual_add_nc_u32 v23, v24, v23
	s_delay_alu instid0(VALU_DEP_1)
	v_lshlrev_b32_e32 v121, 2, v25
	ds_bpermute_b32 v23, v121, v23
	s_and_saveexec_b32 s14, s0
	s_cbranch_execz .LBB908_1030
; %bb.1029:                             ;   in Loop: Header=BB908_12 Depth=1
	s_wait_dscnt 0x0
	v_cndmask_b32_e64 v23, v23, v24, s8
	s_delay_alu instid0(VALU_DEP_1)
	v_add_nc_u32_e32 v23, s55, v23
	ds_store_b32 v3, v23
.LBB908_1030:                           ;   in Loop: Header=BB908_12 Depth=1
	s_or_b32 exec_lo, exec_lo, s14
	s_load_b64 s[14:15], s[52:53], 0x0
	s_mov_b32 s58, s57
                                        ; implicit-def: $vgpr30_vgpr31
                                        ; implicit-def: $vgpr32_vgpr33
                                        ; implicit-def: $vgpr34_vgpr35
                                        ; implicit-def: $vgpr36_vgpr37
                                        ; implicit-def: $vgpr38_vgpr39
                                        ; implicit-def: $vgpr40_vgpr41
                                        ; implicit-def: $vgpr42_vgpr43
                                        ; implicit-def: $vgpr44_vgpr45
                                        ; implicit-def: $vgpr46_vgpr47
                                        ; implicit-def: $vgpr48_vgpr49
                                        ; implicit-def: $vgpr50_vgpr51
                                        ; implicit-def: $vgpr52_vgpr53
                                        ; implicit-def: $vgpr54_vgpr55
                                        ; implicit-def: $vgpr56_vgpr57
                                        ; implicit-def: $vgpr58_vgpr59
                                        ; implicit-def: $vgpr60_vgpr61
                                        ; implicit-def: $vgpr122
                                        ; implicit-def: $vgpr123
                                        ; implicit-def: $vgpr124
                                        ; implicit-def: $vgpr125
                                        ; implicit-def: $vgpr126
                                        ; implicit-def: $vgpr127
                                        ; implicit-def: $vgpr128
                                        ; implicit-def: $vgpr129
                                        ; implicit-def: $vgpr130
                                        ; implicit-def: $vgpr131
                                        ; implicit-def: $vgpr132
                                        ; implicit-def: $vgpr133
                                        ; implicit-def: $vgpr134
                                        ; implicit-def: $vgpr135
                                        ; implicit-def: $vgpr136
                                        ; implicit-def: $vgpr138
                                        ; implicit-def: $vgpr139
                                        ; implicit-def: $vgpr137
                                        ; implicit-def: $vgpr140
	s_wait_kmcnt 0x0
	s_cmp_lt_u32 s51, s14
	s_cselect_b32 s34, 12, 18
	s_cmp_lt_u32 s42, s15
	s_mov_b32 s15, s35
	s_cselect_b32 s14, 14, 20
	s_delay_alu instid0(SALU_CYCLE_1)
	s_add_nc_u64 s[14:15], s[52:53], s[14:15]
	s_load_u16 s16, s[14:15], 0x0
	s_wait_xcnt 0x0
	s_add_nc_u64 s[14:15], s[52:53], s[34:35]
	s_mov_b32 s34, s55
	s_load_u16 s14, s[14:15], 0x0
	s_wait_xcnt 0x0
	v_cmp_lt_u32_e64 s15, 1, v104
	s_wait_dscnt 0x0
	s_wait_kmcnt 0x0
	v_mad_u32_u24 v23, v88, s16, v90
	v_cmp_lt_u32_e64 s16, 3, v104
	s_delay_alu instid0(VALU_DEP_2) | instskip(SKIP_2) | instid1(VALU_DEP_3)
	v_mad_u32 v24, v23, s14, v2
	v_mov_b32_e32 v23, v5
	v_cmp_eq_u32_e64 s14, 0, v104
	v_lshrrev_b32_e32 v28, 3, v24
	v_add_nc_u64_e32 v[24:25], v[18:19], v[4:5]
	s_delay_alu instid0(VALU_DEP_4) | instskip(NEXT) | instid1(VALU_DEP_3)
	v_add_nc_u64_e32 v[26:27], v[20:21], v[22:23]
	v_and_b32_e32 v23, 0x1ffffffc, v28
                                        ; implicit-def: $vgpr28_vgpr29
	s_branch .LBB908_1032
.LBB908_1031:                           ;   in Loop: Header=BB908_1032 Depth=2
	s_or_b32 exec_lo, exec_lo, s17
	s_addk_co_i32 s58, 0xef00
	s_cmp_lt_u32 s59, s54
	s_mov_b32 s34, s59
	s_cbranch_scc0 .LBB908_10
.LBB908_1032:                           ;   Parent Loop BB908_12 Depth=1
                                        ; =>  This Inner Loop Header: Depth=2
	s_add_co_i32 s59, s34, 0x1100
	s_delay_alu instid0(SALU_CYCLE_1)
	s_cmp_gt_u32 s59, s54
	s_cbranch_scc1 .LBB908_1034
; %bb.1033:                             ;   in Loop: Header=BB908_1032 Depth=2
	s_delay_alu instid0(VALU_DEP_2)
	v_lshl_add_u64 v[62:63], s[34:35], 1, v[26:27]
	s_mov_b32 s17, -1
	s_clause 0xf
	global_load_u16 v143, v[62:63], off
	global_load_u16 v145, v[62:63], off offset:64
	global_load_u16 v147, v[62:63], off offset:128
	;; [unrolled: 1-line block ×15, first 2 shown]
	s_movk_i32 s18, 0x1100
	s_cbranch_execz .LBB908_1035
	s_branch .LBB908_1068
.LBB908_1034:                           ;   in Loop: Header=BB908_1032 Depth=2
	s_mov_b32 s17, 0
                                        ; implicit-def: $vgpr143
                                        ; implicit-def: $vgpr145
                                        ; implicit-def: $vgpr147
                                        ; implicit-def: $vgpr151
                                        ; implicit-def: $vgpr155
                                        ; implicit-def: $vgpr160
                                        ; implicit-def: $vgpr166
                                        ; implicit-def: $vgpr171
                                        ; implicit-def: $vgpr176
                                        ; implicit-def: $vgpr174
                                        ; implicit-def: $vgpr169
                                        ; implicit-def: $vgpr164
                                        ; implicit-def: $vgpr161
                                        ; implicit-def: $vgpr156
                                        ; implicit-def: $vgpr65
                                        ; implicit-def: $vgpr64
	s_movk_i32 s18, 0x1100
.LBB908_1035:                           ;   in Loop: Header=BB908_1032 Depth=2
	s_wait_xcnt 0x0
	v_lshl_add_u64 v[62:63], s[34:35], 1, v[26:27]
	s_wait_loadcnt 0xe
	v_mov_b32_e32 v145, 0xffff8000
	v_mov_b32_e32 v143, 0xffff8000
	s_mov_b32 s17, exec_lo
	v_cmpx_gt_u32_e64 s58, v102
	s_cbranch_execz .LBB908_1037
; %bb.1036:                             ;   in Loop: Header=BB908_1032 Depth=2
	global_load_u16 v143, v[62:63], off
.LBB908_1037:                           ;   in Loop: Header=BB908_1032 Depth=2
	s_wait_xcnt 0x0
	s_or_b32 exec_lo, exec_lo, s17
	s_delay_alu instid0(SALU_CYCLE_1)
	s_mov_b32 s17, exec_lo
	v_cmpx_gt_u32_e64 s58, v105
	s_cbranch_execz .LBB908_1039
; %bb.1038:                             ;   in Loop: Header=BB908_1032 Depth=2
	global_load_u16 v145, v[62:63], off offset:64
.LBB908_1039:                           ;   in Loop: Header=BB908_1032 Depth=2
	s_wait_xcnt 0x0
	s_or_b32 exec_lo, exec_lo, s17
	s_wait_loadcnt 0xc
	v_mov_b32_e32 v151, 0xffff8000
	v_mov_b32_e32 v147, 0xffff8000
	s_mov_b32 s17, exec_lo
	v_cmpx_gt_u32_e64 s58, v106
	s_cbranch_execz .LBB908_1041
; %bb.1040:                             ;   in Loop: Header=BB908_1032 Depth=2
	global_load_u16 v147, v[62:63], off offset:128
.LBB908_1041:                           ;   in Loop: Header=BB908_1032 Depth=2
	s_wait_xcnt 0x0
	s_or_b32 exec_lo, exec_lo, s17
	s_delay_alu instid0(SALU_CYCLE_1)
	s_mov_b32 s17, exec_lo
	v_cmpx_gt_u32_e64 s58, v107
	s_cbranch_execz .LBB908_1043
; %bb.1042:                             ;   in Loop: Header=BB908_1032 Depth=2
	global_load_u16 v151, v[62:63], off offset:192
.LBB908_1043:                           ;   in Loop: Header=BB908_1032 Depth=2
	s_wait_xcnt 0x0
	s_or_b32 exec_lo, exec_lo, s17
	s_wait_loadcnt 0xa
	v_dual_mov_b32 v160, 0xffff8000 :: v_dual_mov_b32 v155, 0xffff8000
	s_mov_b32 s17, exec_lo
	v_cmpx_gt_u32_e64 s58, v108
	s_cbranch_execz .LBB908_1045
; %bb.1044:                             ;   in Loop: Header=BB908_1032 Depth=2
	global_load_u16 v155, v[62:63], off offset:256
.LBB908_1045:                           ;   in Loop: Header=BB908_1032 Depth=2
	s_wait_xcnt 0x0
	s_or_b32 exec_lo, exec_lo, s17
	s_delay_alu instid0(SALU_CYCLE_1)
	s_mov_b32 s17, exec_lo
	v_cmpx_gt_u32_e64 s58, v109
	s_cbranch_execz .LBB908_1047
; %bb.1046:                             ;   in Loop: Header=BB908_1032 Depth=2
	global_load_u16 v160, v[62:63], off offset:320
.LBB908_1047:                           ;   in Loop: Header=BB908_1032 Depth=2
	s_wait_xcnt 0x0
	s_or_b32 exec_lo, exec_lo, s17
	s_wait_loadcnt 0x8
	v_dual_mov_b32 v171, 0xffff8000 :: v_dual_mov_b32 v166, 0xffff8000
	s_mov_b32 s17, exec_lo
	v_cmpx_gt_u32_e64 s58, v110
	s_cbranch_execz .LBB908_1049
; %bb.1048:                             ;   in Loop: Header=BB908_1032 Depth=2
	global_load_u16 v166, v[62:63], off offset:384
.LBB908_1049:                           ;   in Loop: Header=BB908_1032 Depth=2
	s_wait_xcnt 0x0
	s_or_b32 exec_lo, exec_lo, s17
	s_delay_alu instid0(SALU_CYCLE_1)
	s_mov_b32 s17, exec_lo
	v_cmpx_gt_u32_e64 s58, v111
	s_cbranch_execz .LBB908_1051
; %bb.1050:                             ;   in Loop: Header=BB908_1032 Depth=2
	global_load_u16 v171, v[62:63], off offset:448
.LBB908_1051:                           ;   in Loop: Header=BB908_1032 Depth=2
	s_wait_xcnt 0x0
	s_or_b32 exec_lo, exec_lo, s17
	s_wait_loadcnt 0x6
	v_mov_b32_e32 v174, 0xffff8000
	v_mov_b32_e32 v176, 0xffff8000
	s_mov_b32 s17, exec_lo
	v_cmpx_gt_u32_e64 s58, v112
	s_cbranch_execz .LBB908_1053
; %bb.1052:                             ;   in Loop: Header=BB908_1032 Depth=2
	global_load_u16 v176, v[62:63], off offset:512
.LBB908_1053:                           ;   in Loop: Header=BB908_1032 Depth=2
	s_wait_xcnt 0x0
	s_or_b32 exec_lo, exec_lo, s17
	s_delay_alu instid0(SALU_CYCLE_1)
	s_mov_b32 s17, exec_lo
	v_cmpx_gt_u32_e64 s58, v113
	s_cbranch_execz .LBB908_1055
; %bb.1054:                             ;   in Loop: Header=BB908_1032 Depth=2
	global_load_u16 v174, v[62:63], off offset:576
.LBB908_1055:                           ;   in Loop: Header=BB908_1032 Depth=2
	s_wait_xcnt 0x0
	s_or_b32 exec_lo, exec_lo, s17
	s_wait_loadcnt 0x4
	v_dual_mov_b32 v164, 0xffff8000 :: v_dual_mov_b32 v169, 0xffff8000
	s_mov_b32 s17, exec_lo
	v_cmpx_gt_u32_e64 s58, v114
	s_cbranch_execz .LBB908_1057
; %bb.1056:                             ;   in Loop: Header=BB908_1032 Depth=2
	global_load_u16 v169, v[62:63], off offset:640
.LBB908_1057:                           ;   in Loop: Header=BB908_1032 Depth=2
	s_wait_xcnt 0x0
	s_or_b32 exec_lo, exec_lo, s17
	s_delay_alu instid0(SALU_CYCLE_1)
	s_mov_b32 s17, exec_lo
	v_cmpx_gt_u32_e64 s58, v115
	s_cbranch_execz .LBB908_1059
; %bb.1058:                             ;   in Loop: Header=BB908_1032 Depth=2
	global_load_u16 v164, v[62:63], off offset:704
.LBB908_1059:                           ;   in Loop: Header=BB908_1032 Depth=2
	s_wait_xcnt 0x0
	s_or_b32 exec_lo, exec_lo, s17
	s_wait_loadcnt 0x2
	v_dual_mov_b32 v156, 0xffff8000 :: v_dual_mov_b32 v161, 0xffff8000
	;; [unrolled: 19-line block ×3, first 2 shown]
	s_mov_b32 s17, exec_lo
	v_cmpx_gt_u32_e64 s58, v118
	s_cbranch_execz .LBB908_1065
; %bb.1064:                             ;   in Loop: Header=BB908_1032 Depth=2
	global_load_u16 v65, v[62:63], off offset:896
.LBB908_1065:                           ;   in Loop: Header=BB908_1032 Depth=2
	s_wait_xcnt 0x0
	s_or_b32 exec_lo, exec_lo, s17
	s_delay_alu instid0(SALU_CYCLE_1)
	s_mov_b32 s17, exec_lo
	v_cmpx_gt_u32_e64 s58, v119
	s_cbranch_execz .LBB908_1067
; %bb.1066:                             ;   in Loop: Header=BB908_1032 Depth=2
	global_load_u16 v64, v[62:63], off offset:960
.LBB908_1067:                           ;   in Loop: Header=BB908_1032 Depth=2
	s_wait_xcnt 0x0
	s_or_b32 exec_lo, exec_lo, s17
	v_cmp_gt_u32_e64 s17, s58, v120
	s_sub_co_i32 s18, s54, s34
.LBB908_1068:                           ;   in Loop: Header=BB908_1032 Depth=2
	v_dual_mov_b32 v142, -1 :: v_dual_mov_b32 v141, s58
	s_wait_xcnt 0x0
	s_and_saveexec_b32 s19, s17
	s_cbranch_execz .LBB908_1070
; %bb.1069:                             ;   in Loop: Header=BB908_1032 Depth=2
	v_lshl_add_u64 v[62:63], s[34:35], 1, v[26:27]
	v_mov_b32_e32 v141, s18
	global_load_u16 v62, v[62:63], off offset:1024
	s_wait_loadcnt 0x0
	v_xor_b32_e32 v142, 0x7fff, v62
.LBB908_1070:                           ;   in Loop: Header=BB908_1032 Depth=2
	s_wait_xcnt 0x0
	s_or_b32 exec_lo, exec_lo, s19
	s_wait_loadcnt 0xf
	v_xor_b32_e32 v143, 0x7fff, v143
	ds_store_2addr_b32 v89, v5, v5 offset0:136 offset1:137
	ds_store_2addr_b32 v89, v5, v5 offset0:138 offset1:139
	ds_store_b32 v89, v5 offset:560
	s_wait_loadcnt_dscnt 0x0
	s_barrier_signal -1
	s_barrier_wait -1
	v_and_b32_e32 v62, 0xffff, v143
	; wave barrier
	s_delay_alu instid0(VALU_DEP_1) | instskip(NEXT) | instid1(VALU_DEP_1)
	v_lshrrev_b32_e32 v62, s49, v62
	v_bitop3_b32 v63, v62, 1, s48 bitop3:0x80
	v_and_b32_e32 v146, s48, v62
	s_delay_alu instid0(VALU_DEP_2) | instskip(NEXT) | instid1(VALU_DEP_1)
	v_add_co_u32 v62, s17, v63, -1
	v_cndmask_b32_e64 v63, 0, 1, s17
	s_delay_alu instid0(VALU_DEP_3) | instskip(NEXT) | instid1(VALU_DEP_2)
	v_dual_lshlrev_b32 v144, 30, v146 :: v_dual_lshlrev_b32 v148, 29, v146
	v_cmp_ne_u32_e32 vcc_lo, 0, v63
	s_delay_alu instid0(VALU_DEP_2) | instskip(SKIP_1) | instid1(VALU_DEP_4)
	v_cmp_gt_i32_e64 s17, 0, v144
	v_not_b32_e32 v63, v144
	v_not_b32_e32 v144, v148
	v_cmp_gt_i32_e64 s18, 0, v148
	v_bitop3_b32 v62, vcc_lo, exec_lo, v62 bitop3:0x48
	s_delay_alu instid0(VALU_DEP_3) | instskip(SKIP_2) | instid1(VALU_DEP_3)
	v_dual_ashrrev_i32 v63, 31, v63 :: v_dual_ashrrev_i32 v144, 31, v144
	v_dual_lshlrev_b32 v149, 28, v146 :: v_dual_lshlrev_b32 v150, 27, v146
	v_dual_lshlrev_b32 v152, 26, v146 :: v_dual_lshlrev_b32 v153, 25, v146
	v_xor_b32_e32 v144, s18, v144
	s_delay_alu instid0(VALU_DEP_3)
	v_cmp_gt_i32_e64 s19, 0, v149
	v_not_b32_e32 v148, v149
	v_not_b32_e32 v149, v150
	v_cmp_gt_i32_e64 s20, 0, v150
	v_cmp_gt_i32_e64 s21, 0, v152
	v_not_b32_e32 v150, v152
	v_not_b32_e32 v152, v153
	v_dual_ashrrev_i32 v148, 31, v148 :: v_dual_ashrrev_i32 v149, 31, v149
	s_delay_alu instid0(VALU_DEP_3) | instskip(SKIP_1) | instid1(VALU_DEP_3)
	v_dual_ashrrev_i32 v150, 31, v150 :: v_dual_bitop2_b32 v63, s17, v63 bitop3:0x14
	v_cmp_gt_i32_e64 s22, 0, v153
	v_dual_ashrrev_i32 v152, 31, v152 :: v_dual_bitop2_b32 v149, s20, v149 bitop3:0x14
	s_delay_alu instid0(VALU_DEP_4) | instskip(NEXT) | instid1(VALU_DEP_4)
	v_xor_b32_e32 v148, s19, v148
	v_bitop3_b32 v62, v62, v144, v63 bitop3:0x80
	v_xor_b32_e32 v63, s21, v150
	s_delay_alu instid0(VALU_DEP_4) | instskip(NEXT) | instid1(VALU_DEP_3)
	v_xor_b32_e32 v144, s22, v152
	v_bitop3_b32 v62, v62, v149, v148 bitop3:0x80
	s_delay_alu instid0(VALU_DEP_1) | instskip(SKIP_1) | instid1(VALU_DEP_2)
	v_bitop3_b32 v62, v62, v144, v63 bitop3:0x80
	v_mul_u32_u24_e32 v63, 36, v146
	v_mbcnt_lo_u32_b32 v144, v62, 0
	v_cmp_ne_u32_e64 s17, 0, v62
	s_delay_alu instid0(VALU_DEP_3) | instskip(NEXT) | instid1(VALU_DEP_3)
	v_add_nc_u32_e32 v146, v23, v63
	v_cmp_eq_u32_e32 vcc_lo, 0, v144
	s_and_b32 s18, s17, vcc_lo
	s_delay_alu instid0(SALU_CYCLE_1)
	s_and_saveexec_b32 s17, s18
; %bb.1071:                             ;   in Loop: Header=BB908_1032 Depth=2
	v_bcnt_u32_b32 v62, v62, 0
	ds_store_b32 v146, v62 offset:544
; %bb.1072:                             ;   in Loop: Header=BB908_1032 Depth=2
	s_or_b32 exec_lo, exec_lo, s17
	v_xor_b32_e32 v145, 0x7fff, v145
	; wave barrier
	s_delay_alu instid0(VALU_DEP_1) | instskip(NEXT) | instid1(VALU_DEP_1)
	v_and_b32_e32 v62, 0xffff, v145
	v_lshrrev_b32_e32 v62, s49, v62
	s_delay_alu instid0(VALU_DEP_1) | instskip(SKIP_1) | instid1(VALU_DEP_2)
	v_bitop3_b32 v63, v62, 1, s48 bitop3:0x80
	v_and_b32_e32 v150, s48, v62
	v_add_co_u32 v62, s17, v63, -1
	s_delay_alu instid0(VALU_DEP_1) | instskip(NEXT) | instid1(VALU_DEP_3)
	v_cndmask_b32_e64 v63, 0, 1, s17
	v_dual_lshlrev_b32 v148, 30, v150 :: v_dual_lshlrev_b32 v149, 29, v150
	s_delay_alu instid0(VALU_DEP_2) | instskip(NEXT) | instid1(VALU_DEP_2)
	v_cmp_ne_u32_e32 vcc_lo, 0, v63
	v_cmp_gt_i32_e64 s17, 0, v148
	v_not_b32_e32 v63, v148
	s_delay_alu instid0(VALU_DEP_4) | instskip(SKIP_2) | instid1(VALU_DEP_3)
	v_not_b32_e32 v148, v149
	v_cmp_gt_i32_e64 s18, 0, v149
	v_bitop3_b32 v62, vcc_lo, exec_lo, v62 bitop3:0x48
	v_dual_ashrrev_i32 v63, 31, v63 :: v_dual_ashrrev_i32 v148, 31, v148
	v_dual_lshlrev_b32 v152, 28, v150 :: v_dual_lshlrev_b32 v153, 27, v150
	v_dual_lshlrev_b32 v154, 26, v150 :: v_dual_lshlrev_b32 v157, 25, v150
	s_delay_alu instid0(VALU_DEP_2) | instskip(SKIP_1) | instid1(VALU_DEP_4)
	v_cmp_gt_i32_e64 s19, 0, v152
	v_not_b32_e32 v149, v152
	v_cmp_gt_i32_e64 s20, 0, v153
	v_not_b32_e32 v152, v153
	v_cmp_gt_i32_e64 s21, 0, v154
	v_not_b32_e32 v153, v154
	v_not_b32_e32 v154, v157
	v_xor_b32_e32 v63, s17, v63
	v_dual_ashrrev_i32 v149, 31, v149 :: v_dual_bitop2_b32 v148, s18, v148 bitop3:0x14
	s_delay_alu instid0(VALU_DEP_4) | instskip(NEXT) | instid1(VALU_DEP_4)
	v_dual_ashrrev_i32 v152, 31, v152 :: v_dual_ashrrev_i32 v153, 31, v153
	v_ashrrev_i32_e32 v154, 31, v154
	s_delay_alu instid0(VALU_DEP_3)
	v_bitop3_b32 v62, v62, v148, v63 bitop3:0x80
	v_mad_u32_u24 v63, v150, 36, v23
	v_cmp_gt_i32_e64 s22, 0, v157
	v_xor_b32_e32 v152, s20, v152
	v_xor_b32_e32 v153, s21, v153
	ds_load_b32 v148, v63 offset:544
	v_mul_u32_u24_e32 v63, 36, v150
	v_xor_b32_e32 v149, s19, v149
	v_xor_b32_e32 v154, s22, v154
	; wave barrier
	s_delay_alu instid0(VALU_DEP_3) | instskip(NEXT) | instid1(VALU_DEP_3)
	v_add_nc_u32_e32 v150, v23, v63
	v_bitop3_b32 v62, v62, v152, v149 bitop3:0x80
	s_delay_alu instid0(VALU_DEP_1) | instskip(NEXT) | instid1(VALU_DEP_1)
	v_bitop3_b32 v62, v62, v154, v153 bitop3:0x80
	v_mbcnt_lo_u32_b32 v149, v62, 0
	v_cmp_ne_u32_e64 s17, 0, v62
	s_delay_alu instid0(VALU_DEP_2) | instskip(SKIP_1) | instid1(SALU_CYCLE_1)
	v_cmp_eq_u32_e32 vcc_lo, 0, v149
	s_and_b32 s18, s17, vcc_lo
	s_and_saveexec_b32 s17, s18
	s_cbranch_execz .LBB908_1074
; %bb.1073:                             ;   in Loop: Header=BB908_1032 Depth=2
	s_wait_dscnt 0x0
	v_bcnt_u32_b32 v62, v62, v148
	ds_store_b32 v150, v62 offset:544
.LBB908_1074:                           ;   in Loop: Header=BB908_1032 Depth=2
	s_or_b32 exec_lo, exec_lo, s17
	v_xor_b32_e32 v147, 0x7fff, v147
	; wave barrier
	s_delay_alu instid0(VALU_DEP_1) | instskip(NEXT) | instid1(VALU_DEP_1)
	v_and_b32_e32 v62, 0xffff, v147
	v_lshrrev_b32_e32 v62, s49, v62
	s_delay_alu instid0(VALU_DEP_1) | instskip(SKIP_1) | instid1(VALU_DEP_2)
	v_bitop3_b32 v63, v62, 1, s48 bitop3:0x80
	v_and_b32_e32 v154, s48, v62
	v_add_co_u32 v62, s17, v63, -1
	s_delay_alu instid0(VALU_DEP_1) | instskip(NEXT) | instid1(VALU_DEP_3)
	v_cndmask_b32_e64 v63, 0, 1, s17
	v_dual_lshlrev_b32 v152, 30, v154 :: v_dual_lshlrev_b32 v153, 29, v154
	s_delay_alu instid0(VALU_DEP_2) | instskip(NEXT) | instid1(VALU_DEP_2)
	v_cmp_ne_u32_e32 vcc_lo, 0, v63
	v_cmp_gt_i32_e64 s17, 0, v152
	v_not_b32_e32 v63, v152
	s_delay_alu instid0(VALU_DEP_4) | instskip(SKIP_2) | instid1(VALU_DEP_3)
	v_not_b32_e32 v152, v153
	v_cmp_gt_i32_e64 s18, 0, v153
	v_bitop3_b32 v62, vcc_lo, exec_lo, v62 bitop3:0x48
	v_dual_ashrrev_i32 v63, 31, v63 :: v_dual_ashrrev_i32 v152, 31, v152
	v_dual_lshlrev_b32 v157, 28, v154 :: v_dual_lshlrev_b32 v158, 27, v154
	v_dual_lshlrev_b32 v159, 26, v154 :: v_dual_lshlrev_b32 v162, 25, v154
	s_delay_alu instid0(VALU_DEP_3) | instskip(NEXT) | instid1(VALU_DEP_3)
	v_xor_b32_e32 v63, s17, v63
	v_cmp_gt_i32_e64 s19, 0, v157
	v_not_b32_e32 v153, v157
	v_not_b32_e32 v157, v158
	v_xor_b32_e32 v152, s18, v152
	v_cmp_gt_i32_e64 s20, 0, v158
	v_cmp_gt_i32_e64 s21, 0, v159
	v_ashrrev_i32_e32 v153, 31, v153
	v_ashrrev_i32_e32 v157, 31, v157
	v_not_b32_e32 v158, v159
	v_not_b32_e32 v159, v162
	v_bitop3_b32 v62, v62, v152, v63 bitop3:0x80
	v_mad_u32_u24 v63, v154, 36, v23
	v_cmp_gt_i32_e64 s22, 0, v162
	s_delay_alu instid0(VALU_DEP_4)
	v_dual_ashrrev_i32 v158, 31, v158 :: v_dual_ashrrev_i32 v159, 31, v159
	v_xor_b32_e32 v157, s20, v157
	ds_load_b32 v152, v63 offset:544
	v_mul_u32_u24_e32 v63, 36, v154
	v_xor_b32_e32 v153, s19, v153
	v_xor_b32_e32 v158, s21, v158
	;; [unrolled: 1-line block ×3, first 2 shown]
	s_delay_alu instid0(VALU_DEP_4) | instskip(NEXT) | instid1(VALU_DEP_4)
	v_add_nc_u32_e32 v154, v23, v63
	v_bitop3_b32 v62, v62, v157, v153 bitop3:0x80
	; wave barrier
	s_delay_alu instid0(VALU_DEP_1) | instskip(NEXT) | instid1(VALU_DEP_1)
	v_bitop3_b32 v62, v62, v159, v158 bitop3:0x80
	v_mbcnt_lo_u32_b32 v153, v62, 0
	v_cmp_ne_u32_e64 s17, 0, v62
	s_delay_alu instid0(VALU_DEP_2) | instskip(SKIP_1) | instid1(SALU_CYCLE_1)
	v_cmp_eq_u32_e32 vcc_lo, 0, v153
	s_and_b32 s18, s17, vcc_lo
	s_and_saveexec_b32 s17, s18
	s_cbranch_execz .LBB908_1076
; %bb.1075:                             ;   in Loop: Header=BB908_1032 Depth=2
	s_wait_dscnt 0x0
	v_bcnt_u32_b32 v62, v62, v152
	ds_store_b32 v154, v62 offset:544
.LBB908_1076:                           ;   in Loop: Header=BB908_1032 Depth=2
	s_or_b32 exec_lo, exec_lo, s17
	v_xor_b32_e32 v151, 0x7fff, v151
	; wave barrier
	s_delay_alu instid0(VALU_DEP_1) | instskip(NEXT) | instid1(VALU_DEP_1)
	v_and_b32_e32 v62, 0xffff, v151
	v_lshrrev_b32_e32 v62, s49, v62
	s_delay_alu instid0(VALU_DEP_1) | instskip(NEXT) | instid1(VALU_DEP_1)
	v_and_b32_e32 v159, s48, v62
	v_lshlrev_b32_e32 v157, 30, v159
	v_bitop3_b32 v63, v62, 1, s48 bitop3:0x80
	s_delay_alu instid0(VALU_DEP_1) | instskip(NEXT) | instid1(VALU_DEP_1)
	v_add_co_u32 v62, s17, v63, -1
	v_cndmask_b32_e64 v63, 0, 1, s17
	s_delay_alu instid0(VALU_DEP_4) | instskip(NEXT) | instid1(VALU_DEP_2)
	v_cmp_gt_i32_e64 s17, 0, v157
	v_cmp_ne_u32_e32 vcc_lo, 0, v63
	v_not_b32_e32 v63, v157
	v_bitop3_b32 v62, vcc_lo, exec_lo, v62 bitop3:0x48
	s_delay_alu instid0(VALU_DEP_2) | instskip(SKIP_2) | instid1(VALU_DEP_3)
	v_ashrrev_i32_e32 v63, 31, v63
	v_dual_lshlrev_b32 v158, 29, v159 :: v_dual_lshlrev_b32 v162, 28, v159
	v_dual_lshlrev_b32 v163, 27, v159 :: v_dual_lshlrev_b32 v165, 26, v159
	v_xor_b32_e32 v63, s17, v63
	s_delay_alu instid0(VALU_DEP_3)
	v_not_b32_e32 v157, v158
	v_lshlrev_b32_e32 v167, 25, v159
	v_cmp_gt_i32_e64 s18, 0, v158
	v_cmp_gt_i32_e64 s19, 0, v162
	v_not_b32_e32 v158, v162
	v_not_b32_e32 v162, v163
	v_ashrrev_i32_e32 v157, 31, v157
	v_cmp_gt_i32_e64 s20, 0, v163
	v_cmp_gt_i32_e64 s21, 0, v165
	v_ashrrev_i32_e32 v158, 31, v158
	s_delay_alu instid0(VALU_DEP_4) | instskip(SKIP_3) | instid1(VALU_DEP_4)
	v_dual_ashrrev_i32 v162, 31, v162 :: v_dual_bitop2_b32 v157, s18, v157 bitop3:0x14
	v_not_b32_e32 v163, v165
	v_not_b32_e32 v165, v167
	v_cmp_gt_i32_e64 s22, 0, v167
	v_xor_b32_e32 v162, s20, v162
	v_bitop3_b32 v62, v62, v157, v63 bitop3:0x80
	v_mad_u32_u24 v63, v159, 36, v23
	v_dual_ashrrev_i32 v163, 31, v163 :: v_dual_ashrrev_i32 v165, 31, v165
	ds_load_b32 v157, v63 offset:544
	v_mul_u32_u24_e32 v63, 36, v159
	v_xor_b32_e32 v158, s19, v158
	v_xor_b32_e32 v163, s21, v163
	;; [unrolled: 1-line block ×3, first 2 shown]
	s_delay_alu instid0(VALU_DEP_4) | instskip(NEXT) | instid1(VALU_DEP_4)
	v_add_nc_u32_e32 v159, v23, v63
	v_bitop3_b32 v62, v62, v162, v158 bitop3:0x80
	; wave barrier
	s_delay_alu instid0(VALU_DEP_1) | instskip(NEXT) | instid1(VALU_DEP_1)
	v_bitop3_b32 v62, v62, v165, v163 bitop3:0x80
	v_mbcnt_lo_u32_b32 v158, v62, 0
	v_cmp_ne_u32_e64 s17, 0, v62
	s_delay_alu instid0(VALU_DEP_2) | instskip(SKIP_1) | instid1(SALU_CYCLE_1)
	v_cmp_eq_u32_e32 vcc_lo, 0, v158
	s_and_b32 s18, s17, vcc_lo
	s_and_saveexec_b32 s17, s18
	s_cbranch_execz .LBB908_1078
; %bb.1077:                             ;   in Loop: Header=BB908_1032 Depth=2
	s_wait_dscnt 0x0
	v_bcnt_u32_b32 v62, v62, v157
	ds_store_b32 v159, v62 offset:544
.LBB908_1078:                           ;   in Loop: Header=BB908_1032 Depth=2
	s_or_b32 exec_lo, exec_lo, s17
	v_xor_b32_e32 v155, 0x7fff, v155
	; wave barrier
	s_delay_alu instid0(VALU_DEP_1) | instskip(NEXT) | instid1(VALU_DEP_1)
	v_and_b32_e32 v62, 0xffff, v155
	v_lshrrev_b32_e32 v62, s49, v62
	s_delay_alu instid0(VALU_DEP_1) | instskip(NEXT) | instid1(VALU_DEP_1)
	v_and_b32_e32 v165, s48, v62
	v_lshlrev_b32_e32 v162, 30, v165
	v_bitop3_b32 v63, v62, 1, s48 bitop3:0x80
	s_delay_alu instid0(VALU_DEP_1) | instskip(NEXT) | instid1(VALU_DEP_1)
	v_add_co_u32 v62, s17, v63, -1
	v_cndmask_b32_e64 v63, 0, 1, s17
	s_delay_alu instid0(VALU_DEP_4) | instskip(NEXT) | instid1(VALU_DEP_2)
	v_cmp_gt_i32_e64 s17, 0, v162
	v_cmp_ne_u32_e32 vcc_lo, 0, v63
	v_not_b32_e32 v63, v162
	v_bitop3_b32 v62, vcc_lo, exec_lo, v62 bitop3:0x48
	s_delay_alu instid0(VALU_DEP_2) | instskip(SKIP_2) | instid1(VALU_DEP_3)
	v_dual_ashrrev_i32 v63, 31, v63 :: v_dual_lshlrev_b32 v163, 29, v165
	v_dual_lshlrev_b32 v167, 28, v165 :: v_dual_lshlrev_b32 v168, 27, v165
	v_lshlrev_b32_e32 v170, 26, v165
	v_not_b32_e32 v162, v163
	v_lshlrev_b32_e32 v172, 25, v165
	v_cmp_gt_i32_e64 s18, 0, v163
	v_cmp_gt_i32_e64 s19, 0, v167
	v_not_b32_e32 v163, v167
	v_not_b32_e32 v167, v168
	v_ashrrev_i32_e32 v162, 31, v162
	v_cmp_gt_i32_e64 s20, 0, v168
	v_cmp_gt_i32_e64 s21, 0, v170
	v_not_b32_e32 v168, v170
	v_not_b32_e32 v170, v172
	v_dual_ashrrev_i32 v163, 31, v163 :: v_dual_bitop2_b32 v162, s18, v162 bitop3:0x14
	s_delay_alu instid0(VALU_DEP_3) | instskip(NEXT) | instid1(VALU_DEP_3)
	v_dual_ashrrev_i32 v167, 31, v167 :: v_dual_ashrrev_i32 v168, 31, v168
	v_dual_ashrrev_i32 v170, 31, v170 :: v_dual_bitop2_b32 v63, s17, v63 bitop3:0x14
	v_cmp_gt_i32_e64 s22, 0, v172
	s_delay_alu instid0(VALU_DEP_4) | instskip(NEXT) | instid1(VALU_DEP_4)
	v_xor_b32_e32 v163, s19, v163
	v_xor_b32_e32 v167, s20, v167
	s_delay_alu instid0(VALU_DEP_4) | instskip(SKIP_2) | instid1(VALU_DEP_3)
	v_bitop3_b32 v62, v62, v162, v63 bitop3:0x80
	v_mad_u32_u24 v63, v165, 36, v23
	v_xor_b32_e32 v170, s22, v170
	v_bitop3_b32 v62, v62, v167, v163 bitop3:0x80
	ds_load_b32 v162, v63 offset:544
	v_mul_u32_u24_e32 v63, 36, v165
	v_xor_b32_e32 v168, s21, v168
	; wave barrier
	s_delay_alu instid0(VALU_DEP_2) | instskip(NEXT) | instid1(VALU_DEP_2)
	v_add_nc_u32_e32 v165, v23, v63
	v_bitop3_b32 v62, v62, v170, v168 bitop3:0x80
	s_delay_alu instid0(VALU_DEP_1) | instskip(SKIP_1) | instid1(VALU_DEP_2)
	v_mbcnt_lo_u32_b32 v163, v62, 0
	v_cmp_ne_u32_e64 s17, 0, v62
	v_cmp_eq_u32_e32 vcc_lo, 0, v163
	s_and_b32 s18, s17, vcc_lo
	s_delay_alu instid0(SALU_CYCLE_1)
	s_and_saveexec_b32 s17, s18
	s_cbranch_execz .LBB908_1080
; %bb.1079:                             ;   in Loop: Header=BB908_1032 Depth=2
	s_wait_dscnt 0x0
	v_bcnt_u32_b32 v62, v62, v162
	ds_store_b32 v165, v62 offset:544
.LBB908_1080:                           ;   in Loop: Header=BB908_1032 Depth=2
	s_or_b32 exec_lo, exec_lo, s17
	v_xor_b32_e32 v160, 0x7fff, v160
	; wave barrier
	s_delay_alu instid0(VALU_DEP_1) | instskip(NEXT) | instid1(VALU_DEP_1)
	v_and_b32_e32 v62, 0xffff, v160
	v_lshrrev_b32_e32 v62, s49, v62
	s_delay_alu instid0(VALU_DEP_1) | instskip(SKIP_1) | instid1(VALU_DEP_2)
	v_bitop3_b32 v63, v62, 1, s48 bitop3:0x80
	v_and_b32_e32 v170, s48, v62
	v_add_co_u32 v62, s17, v63, -1
	s_delay_alu instid0(VALU_DEP_1) | instskip(NEXT) | instid1(VALU_DEP_3)
	v_cndmask_b32_e64 v63, 0, 1, s17
	v_dual_lshlrev_b32 v167, 30, v170 :: v_dual_lshlrev_b32 v168, 29, v170
	s_delay_alu instid0(VALU_DEP_2) | instskip(NEXT) | instid1(VALU_DEP_2)
	v_cmp_ne_u32_e32 vcc_lo, 0, v63
	v_cmp_gt_i32_e64 s17, 0, v167
	v_not_b32_e32 v63, v167
	s_delay_alu instid0(VALU_DEP_4) | instskip(SKIP_2) | instid1(VALU_DEP_4)
	v_not_b32_e32 v167, v168
	v_cmp_gt_i32_e64 s18, 0, v168
	v_bitop3_b32 v62, vcc_lo, exec_lo, v62 bitop3:0x48
	v_ashrrev_i32_e32 v63, 31, v63
	s_delay_alu instid0(VALU_DEP_4) | instskip(SKIP_1) | instid1(VALU_DEP_3)
	v_dual_ashrrev_i32 v167, 31, v167 :: v_dual_lshlrev_b32 v172, 28, v170
	v_dual_lshlrev_b32 v173, 27, v170 :: v_dual_lshlrev_b32 v175, 26, v170
	v_dual_lshlrev_b32 v177, 25, v170 :: v_dual_bitop2_b32 v63, s17, v63 bitop3:0x14
	s_delay_alu instid0(VALU_DEP_3) | instskip(SKIP_1) | instid1(VALU_DEP_4)
	v_cmp_gt_i32_e64 s19, 0, v172
	v_not_b32_e32 v168, v172
	v_not_b32_e32 v172, v173
	v_xor_b32_e32 v167, s18, v167
	v_cmp_gt_i32_e64 s20, 0, v173
	v_cmp_gt_i32_e64 s21, 0, v175
	v_ashrrev_i32_e32 v168, 31, v168
	v_ashrrev_i32_e32 v172, 31, v172
	v_not_b32_e32 v173, v175
	v_not_b32_e32 v175, v177
	v_bitop3_b32 v62, v62, v167, v63 bitop3:0x80
	v_mad_u32_u24 v63, v170, 36, v23
	v_cmp_gt_i32_e64 s22, 0, v177
	s_delay_alu instid0(VALU_DEP_4)
	v_dual_ashrrev_i32 v173, 31, v173 :: v_dual_ashrrev_i32 v175, 31, v175
	v_xor_b32_e32 v172, s20, v172
	ds_load_b32 v167, v63 offset:544
	v_mul_u32_u24_e32 v63, 36, v170
	v_xor_b32_e32 v168, s19, v168
	v_xor_b32_e32 v173, s21, v173
	v_xor_b32_e32 v175, s22, v175
	s_delay_alu instid0(VALU_DEP_4) | instskip(NEXT) | instid1(VALU_DEP_4)
	v_add_nc_u32_e32 v170, v23, v63
	v_bitop3_b32 v62, v62, v172, v168 bitop3:0x80
	; wave barrier
	s_delay_alu instid0(VALU_DEP_1) | instskip(NEXT) | instid1(VALU_DEP_1)
	v_bitop3_b32 v62, v62, v175, v173 bitop3:0x80
	v_mbcnt_lo_u32_b32 v168, v62, 0
	v_cmp_ne_u32_e64 s17, 0, v62
	s_delay_alu instid0(VALU_DEP_2) | instskip(SKIP_1) | instid1(SALU_CYCLE_1)
	v_cmp_eq_u32_e32 vcc_lo, 0, v168
	s_and_b32 s18, s17, vcc_lo
	s_and_saveexec_b32 s17, s18
	s_cbranch_execz .LBB908_1082
; %bb.1081:                             ;   in Loop: Header=BB908_1032 Depth=2
	s_wait_dscnt 0x0
	v_bcnt_u32_b32 v62, v62, v167
	ds_store_b32 v170, v62 offset:544
.LBB908_1082:                           ;   in Loop: Header=BB908_1032 Depth=2
	s_or_b32 exec_lo, exec_lo, s17
	v_xor_b32_e32 v166, 0x7fff, v166
	; wave barrier
	s_delay_alu instid0(VALU_DEP_1) | instskip(NEXT) | instid1(VALU_DEP_1)
	v_and_b32_e32 v62, 0xffff, v166
	v_lshrrev_b32_e32 v62, s49, v62
	s_delay_alu instid0(VALU_DEP_1) | instskip(NEXT) | instid1(VALU_DEP_1)
	v_and_b32_e32 v175, s48, v62
	v_lshlrev_b32_e32 v172, 30, v175
	v_bitop3_b32 v63, v62, 1, s48 bitop3:0x80
	s_delay_alu instid0(VALU_DEP_1) | instskip(NEXT) | instid1(VALU_DEP_1)
	v_add_co_u32 v62, s17, v63, -1
	v_cndmask_b32_e64 v63, 0, 1, s17
	s_delay_alu instid0(VALU_DEP_4) | instskip(NEXT) | instid1(VALU_DEP_2)
	v_cmp_gt_i32_e64 s17, 0, v172
	v_cmp_ne_u32_e32 vcc_lo, 0, v63
	v_not_b32_e32 v63, v172
	v_bitop3_b32 v62, vcc_lo, exec_lo, v62 bitop3:0x48
	s_delay_alu instid0(VALU_DEP_2) | instskip(SKIP_2) | instid1(VALU_DEP_3)
	v_ashrrev_i32_e32 v63, 31, v63
	v_dual_lshlrev_b32 v173, 29, v175 :: v_dual_lshlrev_b32 v177, 28, v175
	v_dual_lshlrev_b32 v178, 27, v175 :: v_dual_lshlrev_b32 v179, 26, v175
	v_xor_b32_e32 v63, s17, v63
	s_delay_alu instid0(VALU_DEP_3)
	v_not_b32_e32 v172, v173
	v_lshlrev_b32_e32 v180, 25, v175
	v_cmp_gt_i32_e64 s18, 0, v173
	v_cmp_gt_i32_e64 s19, 0, v177
	v_not_b32_e32 v173, v177
	v_not_b32_e32 v177, v178
	v_ashrrev_i32_e32 v172, 31, v172
	v_cmp_gt_i32_e64 s20, 0, v178
	v_cmp_gt_i32_e64 s21, 0, v179
	v_ashrrev_i32_e32 v173, 31, v173
	s_delay_alu instid0(VALU_DEP_4) | instskip(SKIP_3) | instid1(VALU_DEP_4)
	v_dual_ashrrev_i32 v177, 31, v177 :: v_dual_bitop2_b32 v172, s18, v172 bitop3:0x14
	v_not_b32_e32 v178, v179
	v_not_b32_e32 v179, v180
	v_cmp_gt_i32_e64 s22, 0, v180
	v_xor_b32_e32 v177, s20, v177
	v_bitop3_b32 v62, v62, v172, v63 bitop3:0x80
	v_mad_u32_u24 v63, v175, 36, v23
	v_dual_ashrrev_i32 v178, 31, v178 :: v_dual_ashrrev_i32 v179, 31, v179
	ds_load_b32 v172, v63 offset:544
	v_mul_u32_u24_e32 v63, 36, v175
	v_xor_b32_e32 v173, s19, v173
	v_xor_b32_e32 v178, s21, v178
	;; [unrolled: 1-line block ×3, first 2 shown]
	s_delay_alu instid0(VALU_DEP_4) | instskip(NEXT) | instid1(VALU_DEP_4)
	v_add_nc_u32_e32 v175, v23, v63
	v_bitop3_b32 v62, v62, v177, v173 bitop3:0x80
	; wave barrier
	s_delay_alu instid0(VALU_DEP_1) | instskip(NEXT) | instid1(VALU_DEP_1)
	v_bitop3_b32 v62, v62, v179, v178 bitop3:0x80
	v_mbcnt_lo_u32_b32 v173, v62, 0
	v_cmp_ne_u32_e64 s17, 0, v62
	s_delay_alu instid0(VALU_DEP_2) | instskip(SKIP_1) | instid1(SALU_CYCLE_1)
	v_cmp_eq_u32_e32 vcc_lo, 0, v173
	s_and_b32 s18, s17, vcc_lo
	s_and_saveexec_b32 s17, s18
	s_cbranch_execz .LBB908_1084
; %bb.1083:                             ;   in Loop: Header=BB908_1032 Depth=2
	s_wait_dscnt 0x0
	v_bcnt_u32_b32 v62, v62, v172
	ds_store_b32 v175, v62 offset:544
.LBB908_1084:                           ;   in Loop: Header=BB908_1032 Depth=2
	s_or_b32 exec_lo, exec_lo, s17
	v_xor_b32_e32 v171, 0x7fff, v171
	; wave barrier
	s_delay_alu instid0(VALU_DEP_1) | instskip(NEXT) | instid1(VALU_DEP_1)
	v_and_b32_e32 v62, 0xffff, v171
	v_lshrrev_b32_e32 v62, s49, v62
	s_delay_alu instid0(VALU_DEP_1) | instskip(NEXT) | instid1(VALU_DEP_1)
	v_and_b32_e32 v179, s48, v62
	v_lshlrev_b32_e32 v177, 30, v179
	v_bitop3_b32 v63, v62, 1, s48 bitop3:0x80
	s_delay_alu instid0(VALU_DEP_1) | instskip(NEXT) | instid1(VALU_DEP_1)
	v_add_co_u32 v62, s17, v63, -1
	v_cndmask_b32_e64 v63, 0, 1, s17
	s_delay_alu instid0(VALU_DEP_4) | instskip(NEXT) | instid1(VALU_DEP_2)
	v_cmp_gt_i32_e64 s17, 0, v177
	v_cmp_ne_u32_e32 vcc_lo, 0, v63
	v_not_b32_e32 v63, v177
	v_bitop3_b32 v62, vcc_lo, exec_lo, v62 bitop3:0x48
	s_delay_alu instid0(VALU_DEP_2) | instskip(SKIP_2) | instid1(VALU_DEP_2)
	v_ashrrev_i32_e32 v63, 31, v63
	v_dual_lshlrev_b32 v178, 29, v179 :: v_dual_lshlrev_b32 v180, 28, v179
	v_dual_lshlrev_b32 v181, 27, v179 :: v_dual_lshlrev_b32 v182, 26, v179
	v_not_b32_e32 v177, v178
	v_lshlrev_b32_e32 v183, 25, v179
	v_cmp_gt_i32_e64 s18, 0, v178
	v_cmp_gt_i32_e64 s19, 0, v180
	v_not_b32_e32 v178, v180
	v_ashrrev_i32_e32 v177, 31, v177
	v_cmp_gt_i32_e64 s20, 0, v181
	v_not_b32_e32 v180, v181
	v_cmp_gt_i32_e64 s21, 0, v182
	v_not_b32_e32 v181, v182
	v_not_b32_e32 v182, v183
	v_xor_b32_e32 v63, s17, v63
	v_dual_ashrrev_i32 v178, 31, v178 :: v_dual_bitop2_b32 v177, s18, v177 bitop3:0x14
	s_delay_alu instid0(VALU_DEP_4) | instskip(NEXT) | instid1(VALU_DEP_4)
	v_dual_ashrrev_i32 v180, 31, v180 :: v_dual_ashrrev_i32 v181, 31, v181
	v_ashrrev_i32_e32 v182, 31, v182
	s_delay_alu instid0(VALU_DEP_3)
	v_bitop3_b32 v62, v62, v177, v63 bitop3:0x80
	v_mad_u32_u24 v63, v179, 36, v23
	v_cmp_gt_i32_e64 s22, 0, v183
	v_xor_b32_e32 v180, s20, v180
	v_xor_b32_e32 v181, s21, v181
	ds_load_b32 v177, v63 offset:544
	v_mul_u32_u24_e32 v63, 36, v179
	v_xor_b32_e32 v178, s19, v178
	v_xor_b32_e32 v182, s22, v182
	; wave barrier
	s_delay_alu instid0(VALU_DEP_3) | instskip(NEXT) | instid1(VALU_DEP_3)
	v_add_nc_u32_e32 v179, v23, v63
	v_bitop3_b32 v62, v62, v180, v178 bitop3:0x80
	s_delay_alu instid0(VALU_DEP_1) | instskip(NEXT) | instid1(VALU_DEP_1)
	v_bitop3_b32 v62, v62, v182, v181 bitop3:0x80
	v_mbcnt_lo_u32_b32 v178, v62, 0
	v_cmp_ne_u32_e64 s17, 0, v62
	s_delay_alu instid0(VALU_DEP_2) | instskip(SKIP_1) | instid1(SALU_CYCLE_1)
	v_cmp_eq_u32_e32 vcc_lo, 0, v178
	s_and_b32 s18, s17, vcc_lo
	s_and_saveexec_b32 s17, s18
	s_cbranch_execz .LBB908_1086
; %bb.1085:                             ;   in Loop: Header=BB908_1032 Depth=2
	s_wait_dscnt 0x0
	v_bcnt_u32_b32 v62, v62, v177
	ds_store_b32 v179, v62 offset:544
.LBB908_1086:                           ;   in Loop: Header=BB908_1032 Depth=2
	s_or_b32 exec_lo, exec_lo, s17
	v_xor_b32_e32 v176, 0x7fff, v176
	; wave barrier
	s_delay_alu instid0(VALU_DEP_1) | instskip(NEXT) | instid1(VALU_DEP_1)
	v_and_b32_e32 v62, 0xffff, v176
	v_lshrrev_b32_e32 v62, s49, v62
	s_delay_alu instid0(VALU_DEP_1) | instskip(SKIP_1) | instid1(VALU_DEP_2)
	v_bitop3_b32 v63, v62, 1, s48 bitop3:0x80
	v_and_b32_e32 v182, s48, v62
	v_add_co_u32 v62, s17, v63, -1
	s_delay_alu instid0(VALU_DEP_1) | instskip(NEXT) | instid1(VALU_DEP_3)
	v_cndmask_b32_e64 v63, 0, 1, s17
	v_dual_lshlrev_b32 v180, 30, v182 :: v_dual_lshlrev_b32 v181, 29, v182
	s_delay_alu instid0(VALU_DEP_2) | instskip(NEXT) | instid1(VALU_DEP_2)
	v_cmp_ne_u32_e32 vcc_lo, 0, v63
	v_cmp_gt_i32_e64 s17, 0, v180
	v_not_b32_e32 v63, v180
	s_delay_alu instid0(VALU_DEP_4) | instskip(SKIP_2) | instid1(VALU_DEP_3)
	v_not_b32_e32 v180, v181
	v_cmp_gt_i32_e64 s18, 0, v181
	v_bitop3_b32 v62, vcc_lo, exec_lo, v62 bitop3:0x48
	v_dual_ashrrev_i32 v63, 31, v63 :: v_dual_ashrrev_i32 v180, 31, v180
	v_dual_lshlrev_b32 v183, 28, v182 :: v_dual_lshlrev_b32 v184, 27, v182
	v_dual_lshlrev_b32 v185, 26, v182 :: v_dual_lshlrev_b32 v186, 25, v182
	s_delay_alu instid0(VALU_DEP_2) | instskip(SKIP_1) | instid1(VALU_DEP_4)
	v_cmp_gt_i32_e64 s19, 0, v183
	v_not_b32_e32 v181, v183
	v_cmp_gt_i32_e64 s20, 0, v184
	v_not_b32_e32 v183, v184
	;; [unrolled: 2-line block ×3, first 2 shown]
	v_not_b32_e32 v185, v186
	v_xor_b32_e32 v63, s17, v63
	v_dual_ashrrev_i32 v181, 31, v181 :: v_dual_bitop2_b32 v180, s18, v180 bitop3:0x14
	s_delay_alu instid0(VALU_DEP_4) | instskip(NEXT) | instid1(VALU_DEP_4)
	v_dual_ashrrev_i32 v183, 31, v183 :: v_dual_ashrrev_i32 v184, 31, v184
	v_ashrrev_i32_e32 v185, 31, v185
	s_delay_alu instid0(VALU_DEP_3)
	v_bitop3_b32 v62, v62, v180, v63 bitop3:0x80
	v_mad_u32_u24 v63, v182, 36, v23
	v_cmp_gt_i32_e64 s22, 0, v186
	v_xor_b32_e32 v183, s20, v183
	v_xor_b32_e32 v184, s21, v184
	ds_load_b32 v180, v63 offset:544
	v_mul_u32_u24_e32 v63, 36, v182
	v_xor_b32_e32 v181, s19, v181
	v_xor_b32_e32 v185, s22, v185
	; wave barrier
	s_delay_alu instid0(VALU_DEP_3) | instskip(NEXT) | instid1(VALU_DEP_3)
	v_add_nc_u32_e32 v182, v23, v63
	v_bitop3_b32 v62, v62, v183, v181 bitop3:0x80
	s_delay_alu instid0(VALU_DEP_1) | instskip(NEXT) | instid1(VALU_DEP_1)
	v_bitop3_b32 v62, v62, v185, v184 bitop3:0x80
	v_mbcnt_lo_u32_b32 v181, v62, 0
	v_cmp_ne_u32_e64 s17, 0, v62
	s_delay_alu instid0(VALU_DEP_2) | instskip(SKIP_1) | instid1(SALU_CYCLE_1)
	v_cmp_eq_u32_e32 vcc_lo, 0, v181
	s_and_b32 s18, s17, vcc_lo
	s_and_saveexec_b32 s17, s18
	s_cbranch_execz .LBB908_1088
; %bb.1087:                             ;   in Loop: Header=BB908_1032 Depth=2
	s_wait_dscnt 0x0
	v_bcnt_u32_b32 v62, v62, v180
	ds_store_b32 v182, v62 offset:544
.LBB908_1088:                           ;   in Loop: Header=BB908_1032 Depth=2
	s_or_b32 exec_lo, exec_lo, s17
	v_xor_b32_e32 v174, 0x7fff, v174
	; wave barrier
	s_delay_alu instid0(VALU_DEP_1) | instskip(NEXT) | instid1(VALU_DEP_1)
	v_and_b32_e32 v62, 0xffff, v174
	v_lshrrev_b32_e32 v62, s49, v62
	s_delay_alu instid0(VALU_DEP_1) | instskip(NEXT) | instid1(VALU_DEP_1)
	v_and_b32_e32 v185, s48, v62
	v_lshlrev_b32_e32 v183, 30, v185
	v_bitop3_b32 v63, v62, 1, s48 bitop3:0x80
	s_delay_alu instid0(VALU_DEP_1) | instskip(NEXT) | instid1(VALU_DEP_1)
	v_add_co_u32 v62, s17, v63, -1
	v_cndmask_b32_e64 v63, 0, 1, s17
	s_delay_alu instid0(VALU_DEP_4) | instskip(NEXT) | instid1(VALU_DEP_2)
	v_cmp_gt_i32_e64 s17, 0, v183
	v_cmp_ne_u32_e32 vcc_lo, 0, v63
	v_not_b32_e32 v63, v183
	v_bitop3_b32 v62, vcc_lo, exec_lo, v62 bitop3:0x48
	s_delay_alu instid0(VALU_DEP_2) | instskip(SKIP_2) | instid1(VALU_DEP_3)
	v_dual_ashrrev_i32 v63, 31, v63 :: v_dual_lshlrev_b32 v184, 29, v185
	v_dual_lshlrev_b32 v186, 28, v185 :: v_dual_lshlrev_b32 v187, 27, v185
	v_lshlrev_b32_e32 v188, 26, v185
	v_not_b32_e32 v183, v184
	v_lshlrev_b32_e32 v189, 25, v185
	v_cmp_gt_i32_e64 s18, 0, v184
	v_cmp_gt_i32_e64 s19, 0, v186
	v_not_b32_e32 v184, v186
	v_ashrrev_i32_e32 v183, 31, v183
	v_cmp_gt_i32_e64 s20, 0, v187
	v_not_b32_e32 v186, v187
	v_cmp_gt_i32_e64 s21, 0, v188
	v_not_b32_e32 v187, v188
	v_not_b32_e32 v188, v189
	v_xor_b32_e32 v63, s17, v63
	v_dual_ashrrev_i32 v184, 31, v184 :: v_dual_bitop2_b32 v183, s18, v183 bitop3:0x14
	s_delay_alu instid0(VALU_DEP_3) | instskip(SKIP_1) | instid1(VALU_DEP_3)
	v_dual_ashrrev_i32 v186, 31, v186 :: v_dual_ashrrev_i32 v188, 31, v188
	v_cmp_gt_i32_e64 s22, 0, v189
	v_bitop3_b32 v62, v62, v183, v63 bitop3:0x80
	v_mad_u32_u24 v63, v185, 36, v23
	v_dual_ashrrev_i32 v187, 31, v187 :: v_dual_bitop2_b32 v184, s19, v184 bitop3:0x14
	s_delay_alu instid0(VALU_DEP_4) | instskip(SKIP_4) | instid1(VALU_DEP_3)
	v_xor_b32_e32 v188, s22, v188
	ds_load_b32 v183, v63 offset:544
	v_mul_u32_u24_e32 v63, 36, v185
	v_xor_b32_e32 v186, s20, v186
	v_xor_b32_e32 v187, s21, v187
	; wave barrier
	v_add_nc_u32_e32 v185, v23, v63
	s_delay_alu instid0(VALU_DEP_3) | instskip(NEXT) | instid1(VALU_DEP_1)
	v_bitop3_b32 v62, v62, v186, v184 bitop3:0x80
	v_bitop3_b32 v62, v62, v188, v187 bitop3:0x80
	s_delay_alu instid0(VALU_DEP_1) | instskip(SKIP_1) | instid1(VALU_DEP_2)
	v_mbcnt_lo_u32_b32 v184, v62, 0
	v_cmp_ne_u32_e64 s17, 0, v62
	v_cmp_eq_u32_e32 vcc_lo, 0, v184
	s_and_b32 s18, s17, vcc_lo
	s_delay_alu instid0(SALU_CYCLE_1)
	s_and_saveexec_b32 s17, s18
	s_cbranch_execz .LBB908_1090
; %bb.1089:                             ;   in Loop: Header=BB908_1032 Depth=2
	s_wait_dscnt 0x0
	v_bcnt_u32_b32 v62, v62, v183
	ds_store_b32 v185, v62 offset:544
.LBB908_1090:                           ;   in Loop: Header=BB908_1032 Depth=2
	s_or_b32 exec_lo, exec_lo, s17
	v_xor_b32_e32 v169, 0x7fff, v169
	; wave barrier
	s_delay_alu instid0(VALU_DEP_1) | instskip(NEXT) | instid1(VALU_DEP_1)
	v_and_b32_e32 v62, 0xffff, v169
	v_lshrrev_b32_e32 v62, s49, v62
	s_delay_alu instid0(VALU_DEP_1) | instskip(SKIP_1) | instid1(VALU_DEP_2)
	v_and_b32_e32 v186, s48, v62
	v_bitop3_b32 v63, v62, 1, s48 bitop3:0x80
	v_lshlrev_b32_e32 v187, 29, v186
	s_delay_alu instid0(VALU_DEP_2) | instskip(NEXT) | instid1(VALU_DEP_1)
	v_add_co_u32 v62, s17, v63, -1
	v_cndmask_b32_e64 v192, 0, 1, s17
	s_delay_alu instid0(VALU_DEP_3) | instskip(SKIP_1) | instid1(VALU_DEP_3)
	v_cmp_gt_i32_e64 s17, 0, v187
	v_not_b32_e32 v187, v187
	v_cmp_ne_u32_e64 s22, 0, v192
	s_delay_alu instid0(VALU_DEP_2) | instskip(SKIP_2) | instid1(VALU_DEP_3)
	v_dual_ashrrev_i32 v187, 31, v187 :: v_dual_lshlrev_b32 v63, 30, v186
	v_dual_lshlrev_b32 v188, 28, v186 :: v_dual_lshlrev_b32 v189, 27, v186
	v_dual_lshlrev_b32 v190, 26, v186 :: v_dual_lshlrev_b32 v191, 25, v186
	v_cmp_gt_i32_e32 vcc_lo, 0, v63
	v_not_b32_e32 v63, v63
	s_delay_alu instid0(VALU_DEP_4)
	v_cmp_gt_i32_e64 s18, 0, v188
	v_not_b32_e32 v188, v188
	v_cmp_gt_i32_e64 s19, 0, v189
	v_not_b32_e32 v189, v189
	v_ashrrev_i32_e32 v63, 31, v63
	v_cmp_gt_i32_e64 s20, 0, v190
	v_not_b32_e32 v190, v190
	v_bitop3_b32 v62, s22, exec_lo, v62 bitop3:0x48
	v_xor_b32_e32 v187, s17, v187
	v_xor_b32_e32 v63, vcc_lo, v63
	v_cmp_gt_i32_e64 s21, 0, v191
	v_not_b32_e32 v191, v191
	v_dual_ashrrev_i32 v188, 31, v188 :: v_dual_ashrrev_i32 v189, 31, v189
	v_ashrrev_i32_e32 v190, 31, v190
	v_bitop3_b32 v62, v62, v187, v63 bitop3:0x80
	v_mad_u32_u24 v63, v186, 36, v23
	s_delay_alu instid0(VALU_DEP_4) | instskip(NEXT) | instid1(VALU_DEP_4)
	v_dual_ashrrev_i32 v191, 31, v191 :: v_dual_bitop2_b32 v188, s18, v188 bitop3:0x14
	v_xor_b32_e32 v190, s20, v190
	ds_load_b32 v187, v63 offset:544
	v_mul_u32_u24_e32 v63, 36, v186
	v_xor_b32_e32 v189, s19, v189
	v_xor_b32_e32 v191, s21, v191
	; wave barrier
	s_delay_alu instid0(VALU_DEP_2) | instskip(NEXT) | instid1(VALU_DEP_1)
	v_bitop3_b32 v62, v62, v189, v188 bitop3:0x80
	v_bitop3_b32 v62, v62, v191, v190 bitop3:0x80
	v_add_nc_u32_e32 v190, v23, v63
	s_delay_alu instid0(VALU_DEP_2) | instskip(SKIP_1) | instid1(VALU_DEP_2)
	v_mbcnt_lo_u32_b32 v188, v62, 0
	v_cmp_ne_u32_e64 s17, 0, v62
	v_cmp_eq_u32_e32 vcc_lo, 0, v188
	s_and_b32 s18, s17, vcc_lo
	s_delay_alu instid0(SALU_CYCLE_1)
	s_and_saveexec_b32 s17, s18
	s_cbranch_execz .LBB908_1092
; %bb.1091:                             ;   in Loop: Header=BB908_1032 Depth=2
	s_wait_dscnt 0x0
	v_bcnt_u32_b32 v62, v62, v187
	ds_store_b32 v190, v62 offset:544
.LBB908_1092:                           ;   in Loop: Header=BB908_1032 Depth=2
	s_or_b32 exec_lo, exec_lo, s17
	v_xor_b32_e32 v186, 0x7fff, v164
	; wave barrier
	s_delay_alu instid0(VALU_DEP_1) | instskip(NEXT) | instid1(VALU_DEP_1)
	v_and_b32_e32 v62, 0xffff, v186
	v_lshrrev_b32_e32 v62, s49, v62
	s_delay_alu instid0(VALU_DEP_1) | instskip(NEXT) | instid1(VALU_DEP_1)
	v_and_b32_e32 v164, s48, v62
	v_lshlrev_b32_e32 v189, 30, v164
	v_bitop3_b32 v63, v62, 1, s48 bitop3:0x80
	s_delay_alu instid0(VALU_DEP_1) | instskip(NEXT) | instid1(VALU_DEP_1)
	v_add_co_u32 v62, s17, v63, -1
	v_cndmask_b32_e64 v63, 0, 1, s17
	s_delay_alu instid0(VALU_DEP_4) | instskip(NEXT) | instid1(VALU_DEP_2)
	v_cmp_gt_i32_e64 s17, 0, v189
	v_cmp_ne_u32_e32 vcc_lo, 0, v63
	v_not_b32_e32 v63, v189
	v_bitop3_b32 v62, vcc_lo, exec_lo, v62 bitop3:0x48
	s_delay_alu instid0(VALU_DEP_2) | instskip(SKIP_2) | instid1(VALU_DEP_3)
	v_dual_ashrrev_i32 v63, 31, v63 :: v_dual_lshlrev_b32 v191, 29, v164
	v_dual_lshlrev_b32 v192, 28, v164 :: v_dual_lshlrev_b32 v193, 27, v164
	v_lshlrev_b32_e32 v194, 26, v164
	v_not_b32_e32 v189, v191
	v_lshlrev_b32_e32 v195, 25, v164
	v_cmp_gt_i32_e64 s18, 0, v191
	v_cmp_gt_i32_e64 s19, 0, v192
	v_not_b32_e32 v191, v192
	v_not_b32_e32 v192, v193
	v_ashrrev_i32_e32 v189, 31, v189
	v_cmp_gt_i32_e64 s20, 0, v193
	v_cmp_gt_i32_e64 s21, 0, v194
	v_not_b32_e32 v193, v194
	v_not_b32_e32 v194, v195
	v_dual_ashrrev_i32 v191, 31, v191 :: v_dual_ashrrev_i32 v192, 31, v192
	s_delay_alu instid0(VALU_DEP_3) | instskip(NEXT) | instid1(VALU_DEP_3)
	v_dual_ashrrev_i32 v193, 31, v193 :: v_dual_bitop2_b32 v63, s17, v63 bitop3:0x14
	v_dual_ashrrev_i32 v194, 31, v194 :: v_dual_bitop2_b32 v189, s18, v189 bitop3:0x14
	v_cmp_gt_i32_e64 s22, 0, v195
	s_delay_alu instid0(VALU_DEP_4) | instskip(SKIP_1) | instid1(VALU_DEP_4)
	v_xor_b32_e32 v191, s19, v191
	v_xor_b32_e32 v192, s20, v192
	v_bitop3_b32 v62, v62, v189, v63 bitop3:0x80
	v_mad_u32_u24 v63, v164, 36, v23
	v_xor_b32_e32 v189, s21, v193
	v_xor_b32_e32 v193, s22, v194
	s_delay_alu instid0(VALU_DEP_4) | instskip(SKIP_3) | instid1(VALU_DEP_2)
	v_bitop3_b32 v62, v62, v192, v191 bitop3:0x80
	ds_load_b32 v191, v63 offset:544
	v_mul_u32_u24_e32 v63, 36, v164
	; wave barrier
	v_bitop3_b32 v62, v62, v193, v189 bitop3:0x80
	v_add_nc_u32_e32 v164, v23, v63
	s_delay_alu instid0(VALU_DEP_2) | instskip(SKIP_1) | instid1(VALU_DEP_2)
	v_mbcnt_lo_u32_b32 v192, v62, 0
	v_cmp_ne_u32_e64 s17, 0, v62
	v_cmp_eq_u32_e32 vcc_lo, 0, v192
	s_and_b32 s18, s17, vcc_lo
	s_delay_alu instid0(SALU_CYCLE_1)
	s_and_saveexec_b32 s17, s18
	s_cbranch_execz .LBB908_1094
; %bb.1093:                             ;   in Loop: Header=BB908_1032 Depth=2
	s_wait_dscnt 0x0
	v_bcnt_u32_b32 v62, v62, v191
	ds_store_b32 v164, v62 offset:544
.LBB908_1094:                           ;   in Loop: Header=BB908_1032 Depth=2
	s_or_b32 exec_lo, exec_lo, s17
	v_xor_b32_e32 v189, 0x7fff, v161
	; wave barrier
	s_delay_alu instid0(VALU_DEP_1) | instskip(NEXT) | instid1(VALU_DEP_1)
	v_and_b32_e32 v62, 0xffff, v189
	v_lshrrev_b32_e32 v62, s49, v62
	s_delay_alu instid0(VALU_DEP_1) | instskip(NEXT) | instid1(VALU_DEP_1)
	v_and_b32_e32 v161, s48, v62
	v_lshlrev_b32_e32 v193, 30, v161
	v_bitop3_b32 v63, v62, 1, s48 bitop3:0x80
	s_delay_alu instid0(VALU_DEP_1) | instskip(NEXT) | instid1(VALU_DEP_1)
	v_add_co_u32 v62, s17, v63, -1
	v_cndmask_b32_e64 v63, 0, 1, s17
	s_delay_alu instid0(VALU_DEP_4) | instskip(NEXT) | instid1(VALU_DEP_2)
	v_cmp_gt_i32_e64 s17, 0, v193
	v_cmp_ne_u32_e32 vcc_lo, 0, v63
	v_not_b32_e32 v63, v193
	v_bitop3_b32 v62, vcc_lo, exec_lo, v62 bitop3:0x48
	s_delay_alu instid0(VALU_DEP_2) | instskip(SKIP_2) | instid1(VALU_DEP_3)
	v_dual_ashrrev_i32 v63, 31, v63 :: v_dual_lshlrev_b32 v194, 29, v161
	v_dual_lshlrev_b32 v195, 28, v161 :: v_dual_lshlrev_b32 v196, 27, v161
	v_lshlrev_b32_e32 v197, 26, v161
	v_not_b32_e32 v193, v194
	v_cmp_gt_i32_e64 s18, 0, v194
	s_delay_alu instid0(VALU_DEP_4)
	v_cmp_gt_i32_e64 s19, 0, v195
	v_not_b32_e32 v194, v195
	v_lshlrev_b32_e32 v198, 25, v161
	v_not_b32_e32 v195, v196
	v_ashrrev_i32_e32 v193, 31, v193
	v_cmp_gt_i32_e64 s20, 0, v196
	v_cmp_gt_i32_e64 s21, 0, v197
	v_not_b32_e32 v196, v197
	v_ashrrev_i32_e32 v194, 31, v194
	v_not_b32_e32 v197, v198
	v_ashrrev_i32_e32 v195, 31, v195
	s_delay_alu instid0(VALU_DEP_4) | instskip(SKIP_4) | instid1(VALU_DEP_4)
	v_dual_ashrrev_i32 v196, 31, v196 :: v_dual_bitop2_b32 v63, s17, v63 bitop3:0x14
	v_xor_b32_e32 v193, s18, v193
	v_cmp_gt_i32_e64 s22, 0, v198
	v_dual_ashrrev_i32 v197, 31, v197 :: v_dual_bitop2_b32 v194, s19, v194 bitop3:0x14
	v_xor_b32_e32 v195, s20, v195
	v_bitop3_b32 v62, v62, v193, v63 bitop3:0x80
	v_mad_u32_u24 v63, v161, 36, v23
	v_xor_b32_e32 v193, s21, v196
	v_xor_b32_e32 v196, s22, v197
	s_delay_alu instid0(VALU_DEP_4) | instskip(SKIP_3) | instid1(VALU_DEP_2)
	v_bitop3_b32 v62, v62, v195, v194 bitop3:0x80
	ds_load_b32 v194, v63 offset:544
	v_mul_u32_u24_e32 v63, 36, v161
	; wave barrier
	v_bitop3_b32 v62, v62, v196, v193 bitop3:0x80
	v_add_nc_u32_e32 v161, v23, v63
	s_delay_alu instid0(VALU_DEP_2) | instskip(SKIP_1) | instid1(VALU_DEP_2)
	v_mbcnt_lo_u32_b32 v195, v62, 0
	v_cmp_ne_u32_e64 s17, 0, v62
	v_cmp_eq_u32_e32 vcc_lo, 0, v195
	s_and_b32 s18, s17, vcc_lo
	s_delay_alu instid0(SALU_CYCLE_1)
	s_and_saveexec_b32 s17, s18
	s_cbranch_execz .LBB908_1096
; %bb.1095:                             ;   in Loop: Header=BB908_1032 Depth=2
	s_wait_dscnt 0x0
	v_bcnt_u32_b32 v62, v62, v194
	ds_store_b32 v161, v62 offset:544
.LBB908_1096:                           ;   in Loop: Header=BB908_1032 Depth=2
	s_or_b32 exec_lo, exec_lo, s17
	v_xor_b32_e32 v193, 0x7fff, v156
	; wave barrier
	s_delay_alu instid0(VALU_DEP_1) | instskip(NEXT) | instid1(VALU_DEP_1)
	v_and_b32_e32 v62, 0xffff, v193
	v_lshrrev_b32_e32 v62, s49, v62
	s_delay_alu instid0(VALU_DEP_1) | instskip(NEXT) | instid1(VALU_DEP_1)
	v_and_b32_e32 v156, s48, v62
	v_lshlrev_b32_e32 v196, 30, v156
	v_bitop3_b32 v63, v62, 1, s48 bitop3:0x80
	s_delay_alu instid0(VALU_DEP_1) | instskip(NEXT) | instid1(VALU_DEP_1)
	v_add_co_u32 v62, s17, v63, -1
	v_cndmask_b32_e64 v63, 0, 1, s17
	s_delay_alu instid0(VALU_DEP_4) | instskip(NEXT) | instid1(VALU_DEP_2)
	v_cmp_gt_i32_e64 s17, 0, v196
	v_cmp_ne_u32_e32 vcc_lo, 0, v63
	v_not_b32_e32 v63, v196
	v_bitop3_b32 v62, vcc_lo, exec_lo, v62 bitop3:0x48
	s_delay_alu instid0(VALU_DEP_2) | instskip(SKIP_2) | instid1(VALU_DEP_3)
	v_dual_ashrrev_i32 v63, 31, v63 :: v_dual_lshlrev_b32 v197, 29, v156
	v_dual_lshlrev_b32 v198, 28, v156 :: v_dual_lshlrev_b32 v199, 27, v156
	v_lshlrev_b32_e32 v200, 26, v156
	v_not_b32_e32 v196, v197
	v_cmp_gt_i32_e64 s18, 0, v197
	s_delay_alu instid0(VALU_DEP_4)
	v_cmp_gt_i32_e64 s19, 0, v198
	v_not_b32_e32 v197, v198
	v_lshlrev_b32_e32 v201, 25, v156
	v_not_b32_e32 v198, v199
	v_ashrrev_i32_e32 v196, 31, v196
	v_cmp_gt_i32_e64 s20, 0, v199
	v_cmp_gt_i32_e64 s21, 0, v200
	v_not_b32_e32 v199, v200
	v_ashrrev_i32_e32 v197, 31, v197
	v_not_b32_e32 v200, v201
	v_dual_ashrrev_i32 v198, 31, v198 :: v_dual_bitop2_b32 v63, s17, v63 bitop3:0x14
	s_delay_alu instid0(VALU_DEP_4) | instskip(SKIP_1) | instid1(VALU_DEP_4)
	v_dual_ashrrev_i32 v199, 31, v199 :: v_dual_bitop2_b32 v196, s18, v196 bitop3:0x14
	v_cmp_gt_i32_e64 s22, 0, v201
	v_dual_ashrrev_i32 v200, 31, v200 :: v_dual_bitop2_b32 v197, s19, v197 bitop3:0x14
	s_delay_alu instid0(VALU_DEP_4) | instskip(NEXT) | instid1(VALU_DEP_4)
	v_xor_b32_e32 v198, s20, v198
	v_bitop3_b32 v62, v62, v196, v63 bitop3:0x80
	v_mad_u32_u24 v63, v156, 36, v23
	v_xor_b32_e32 v196, s21, v199
	v_xor_b32_e32 v199, s22, v200
	s_delay_alu instid0(VALU_DEP_4) | instskip(SKIP_3) | instid1(VALU_DEP_2)
	v_bitop3_b32 v62, v62, v198, v197 bitop3:0x80
	ds_load_b32 v197, v63 offset:544
	v_mul_u32_u24_e32 v63, 36, v156
	; wave barrier
	v_bitop3_b32 v62, v62, v199, v196 bitop3:0x80
	v_add_nc_u32_e32 v156, v23, v63
	s_delay_alu instid0(VALU_DEP_2) | instskip(SKIP_1) | instid1(VALU_DEP_2)
	v_mbcnt_lo_u32_b32 v198, v62, 0
	v_cmp_ne_u32_e64 s17, 0, v62
	v_cmp_eq_u32_e32 vcc_lo, 0, v198
	s_and_b32 s18, s17, vcc_lo
	s_delay_alu instid0(SALU_CYCLE_1)
	s_and_saveexec_b32 s17, s18
	s_cbranch_execz .LBB908_1098
; %bb.1097:                             ;   in Loop: Header=BB908_1032 Depth=2
	s_wait_dscnt 0x0
	v_bcnt_u32_b32 v62, v62, v197
	ds_store_b32 v156, v62 offset:544
.LBB908_1098:                           ;   in Loop: Header=BB908_1032 Depth=2
	s_or_b32 exec_lo, exec_lo, s17
	v_xor_b32_e32 v196, 0x7fff, v65
	; wave barrier
	s_delay_alu instid0(VALU_DEP_1) | instskip(NEXT) | instid1(VALU_DEP_1)
	v_and_b32_e32 v62, 0xffff, v196
	v_lshrrev_b32_e32 v62, s49, v62
	s_delay_alu instid0(VALU_DEP_1) | instskip(NEXT) | instid1(VALU_DEP_1)
	v_and_b32_e32 v65, s48, v62
	v_lshlrev_b32_e32 v199, 30, v65
	v_bitop3_b32 v63, v62, 1, s48 bitop3:0x80
	s_delay_alu instid0(VALU_DEP_1) | instskip(NEXT) | instid1(VALU_DEP_1)
	v_add_co_u32 v62, s17, v63, -1
	v_cndmask_b32_e64 v63, 0, 1, s17
	s_delay_alu instid0(VALU_DEP_4) | instskip(NEXT) | instid1(VALU_DEP_2)
	v_cmp_gt_i32_e64 s17, 0, v199
	v_cmp_ne_u32_e32 vcc_lo, 0, v63
	v_not_b32_e32 v63, v199
	v_bitop3_b32 v62, vcc_lo, exec_lo, v62 bitop3:0x48
	s_delay_alu instid0(VALU_DEP_2) | instskip(SKIP_2) | instid1(VALU_DEP_3)
	v_dual_ashrrev_i32 v63, 31, v63 :: v_dual_lshlrev_b32 v200, 29, v65
	v_dual_lshlrev_b32 v201, 28, v65 :: v_dual_lshlrev_b32 v202, 27, v65
	v_lshlrev_b32_e32 v203, 26, v65
	v_not_b32_e32 v199, v200
	v_lshlrev_b32_e32 v204, 25, v65
	v_cmp_gt_i32_e64 s18, 0, v200
	v_cmp_gt_i32_e64 s19, 0, v201
	v_not_b32_e32 v200, v201
	v_not_b32_e32 v201, v202
	v_ashrrev_i32_e32 v199, 31, v199
	v_cmp_gt_i32_e64 s20, 0, v202
	v_cmp_gt_i32_e64 s21, 0, v203
	v_not_b32_e32 v202, v203
	v_not_b32_e32 v203, v204
	v_dual_ashrrev_i32 v200, 31, v200 :: v_dual_ashrrev_i32 v201, 31, v201
	s_delay_alu instid0(VALU_DEP_3) | instskip(SKIP_2) | instid1(VALU_DEP_4)
	v_dual_ashrrev_i32 v202, 31, v202 :: v_dual_bitop2_b32 v63, s17, v63 bitop3:0x14
	v_xor_b32_e32 v199, s18, v199
	v_cmp_gt_i32_e64 s22, 0, v204
	v_dual_ashrrev_i32 v203, 31, v203 :: v_dual_bitop2_b32 v200, s19, v200 bitop3:0x14
	v_xor_b32_e32 v201, s20, v201
	s_delay_alu instid0(VALU_DEP_4) | instskip(SKIP_3) | instid1(VALU_DEP_4)
	v_bitop3_b32 v62, v62, v199, v63 bitop3:0x80
	v_mad_u32_u24 v63, v65, 36, v23
	v_xor_b32_e32 v199, s21, v202
	v_xor_b32_e32 v202, s22, v203
	v_bitop3_b32 v62, v62, v201, v200 bitop3:0x80
	ds_load_b32 v200, v63 offset:544
	v_mul_u32_u24_e32 v63, 36, v65
	; wave barrier
	v_bitop3_b32 v62, v62, v202, v199 bitop3:0x80
	s_delay_alu instid0(VALU_DEP_2) | instskip(NEXT) | instid1(VALU_DEP_2)
	v_add_nc_u32_e32 v202, v23, v63
	v_mbcnt_lo_u32_b32 v201, v62, 0
	v_cmp_ne_u32_e64 s17, 0, v62
	s_delay_alu instid0(VALU_DEP_2) | instskip(SKIP_1) | instid1(SALU_CYCLE_1)
	v_cmp_eq_u32_e32 vcc_lo, 0, v201
	s_and_b32 s18, s17, vcc_lo
	s_and_saveexec_b32 s17, s18
	s_cbranch_execz .LBB908_1100
; %bb.1099:                             ;   in Loop: Header=BB908_1032 Depth=2
	s_wait_dscnt 0x0
	v_bcnt_u32_b32 v62, v62, v200
	ds_store_b32 v202, v62 offset:544
.LBB908_1100:                           ;   in Loop: Header=BB908_1032 Depth=2
	s_or_b32 exec_lo, exec_lo, s17
	v_xor_b32_e32 v199, 0x7fff, v64
	; wave barrier
	s_delay_alu instid0(VALU_DEP_1) | instskip(NEXT) | instid1(VALU_DEP_1)
	v_and_b32_e32 v62, 0xffff, v199
	v_lshrrev_b32_e32 v62, s49, v62
	s_delay_alu instid0(VALU_DEP_1) | instskip(NEXT) | instid1(VALU_DEP_1)
	v_and_b32_e32 v64, s48, v62
	v_lshlrev_b32_e32 v65, 30, v64
	v_bitop3_b32 v63, v62, 1, s48 bitop3:0x80
	s_delay_alu instid0(VALU_DEP_1) | instskip(NEXT) | instid1(VALU_DEP_1)
	v_add_co_u32 v62, s17, v63, -1
	v_cndmask_b32_e64 v63, 0, 1, s17
	s_delay_alu instid0(VALU_DEP_4) | instskip(NEXT) | instid1(VALU_DEP_2)
	v_cmp_gt_i32_e64 s17, 0, v65
	v_cmp_ne_u32_e32 vcc_lo, 0, v63
	v_not_b32_e32 v63, v65
	v_bitop3_b32 v62, vcc_lo, exec_lo, v62 bitop3:0x48
	s_delay_alu instid0(VALU_DEP_2) | instskip(SKIP_2) | instid1(VALU_DEP_3)
	v_dual_ashrrev_i32 v63, 31, v63 :: v_dual_lshlrev_b32 v203, 29, v64
	v_dual_lshlrev_b32 v204, 28, v64 :: v_dual_lshlrev_b32 v205, 27, v64
	v_lshlrev_b32_e32 v206, 26, v64
	v_not_b32_e32 v65, v203
	v_lshlrev_b32_e32 v207, 25, v64
	v_cmp_gt_i32_e64 s18, 0, v203
	v_cmp_gt_i32_e64 s19, 0, v204
	v_not_b32_e32 v203, v204
	v_not_b32_e32 v204, v205
	v_ashrrev_i32_e32 v65, 31, v65
	v_cmp_gt_i32_e64 s20, 0, v205
	v_cmp_gt_i32_e64 s21, 0, v206
	v_not_b32_e32 v205, v206
	v_not_b32_e32 v206, v207
	v_dual_ashrrev_i32 v203, 31, v203 :: v_dual_ashrrev_i32 v204, 31, v204
	s_delay_alu instid0(VALU_DEP_3) | instskip(NEXT) | instid1(VALU_DEP_3)
	v_dual_ashrrev_i32 v205, 31, v205 :: v_dual_bitop2_b32 v63, s17, v63 bitop3:0x14
	v_dual_ashrrev_i32 v206, 31, v206 :: v_dual_bitop2_b32 v65, s18, v65 bitop3:0x14
	v_cmp_gt_i32_e64 s22, 0, v207
	s_delay_alu instid0(VALU_DEP_4) | instskip(SKIP_1) | instid1(VALU_DEP_4)
	v_xor_b32_e32 v203, s19, v203
	v_xor_b32_e32 v204, s20, v204
	v_bitop3_b32 v62, v62, v65, v63 bitop3:0x80
	v_mad_u32_u24 v63, v64, 36, v23
	v_xor_b32_e32 v65, s21, v205
	v_xor_b32_e32 v205, s22, v206
	s_delay_alu instid0(VALU_DEP_4) | instskip(SKIP_3) | instid1(VALU_DEP_2)
	v_bitop3_b32 v62, v62, v204, v203 bitop3:0x80
	ds_load_b32 v203, v63 offset:544
	v_mul_u32_u24_e32 v63, 36, v64
	; wave barrier
	v_bitop3_b32 v62, v62, v205, v65 bitop3:0x80
	v_add_nc_u32_e32 v205, v23, v63
	s_delay_alu instid0(VALU_DEP_2) | instskip(SKIP_1) | instid1(VALU_DEP_2)
	v_mbcnt_lo_u32_b32 v204, v62, 0
	v_cmp_ne_u32_e64 s17, 0, v62
	v_cmp_eq_u32_e32 vcc_lo, 0, v204
	s_and_b32 s18, s17, vcc_lo
	s_delay_alu instid0(SALU_CYCLE_1)
	s_and_saveexec_b32 s17, s18
	s_cbranch_execz .LBB908_1102
; %bb.1101:                             ;   in Loop: Header=BB908_1032 Depth=2
	s_wait_dscnt 0x0
	v_bcnt_u32_b32 v62, v62, v203
	ds_store_b32 v205, v62 offset:544
.LBB908_1102:                           ;   in Loop: Header=BB908_1032 Depth=2
	s_or_b32 exec_lo, exec_lo, s17
	v_and_b32_e32 v62, 0xffff, v142
	; wave barrier
	s_delay_alu instid0(VALU_DEP_1) | instskip(NEXT) | instid1(VALU_DEP_1)
	v_lshrrev_b32_e32 v62, s49, v62
	v_and_b32_e32 v64, s48, v62
	s_delay_alu instid0(VALU_DEP_1) | instskip(SKIP_1) | instid1(VALU_DEP_1)
	v_lshlrev_b32_e32 v65, 30, v64
	v_bitop3_b32 v63, v62, 1, s48 bitop3:0x80
	v_add_co_u32 v62, s17, v63, -1
	s_delay_alu instid0(VALU_DEP_1) | instskip(NEXT) | instid1(VALU_DEP_4)
	v_cndmask_b32_e64 v63, 0, 1, s17
	v_cmp_gt_i32_e64 s17, 0, v65
	s_delay_alu instid0(VALU_DEP_2) | instskip(SKIP_2) | instid1(VALU_DEP_2)
	v_cmp_ne_u32_e32 vcc_lo, 0, v63
	v_not_b32_e32 v63, v65
	v_bitop3_b32 v62, vcc_lo, exec_lo, v62 bitop3:0x48
	v_dual_ashrrev_i32 v63, 31, v63 :: v_dual_lshlrev_b32 v206, 29, v64
	v_dual_lshlrev_b32 v207, 28, v64 :: v_dual_lshlrev_b32 v208, 27, v64
	v_lshlrev_b32_e32 v209, 26, v64
	s_delay_alu instid0(VALU_DEP_3)
	v_not_b32_e32 v65, v206
	v_lshlrev_b32_e32 v210, 25, v64
	v_cmp_gt_i32_e64 s18, 0, v206
	v_cmp_gt_i32_e64 s19, 0, v207
	v_not_b32_e32 v206, v207
	v_not_b32_e32 v207, v208
	v_ashrrev_i32_e32 v65, 31, v65
	v_cmp_gt_i32_e64 s20, 0, v208
	v_cmp_gt_i32_e64 s21, 0, v209
	v_not_b32_e32 v208, v209
	v_dual_ashrrev_i32 v206, 31, v206 :: v_dual_ashrrev_i32 v207, 31, v207
	v_xor_b32_e32 v63, s17, v63
	v_xor_b32_e32 v65, s18, v65
	v_not_b32_e32 v209, v210
	s_delay_alu instid0(VALU_DEP_4) | instskip(SKIP_1) | instid1(VALU_DEP_4)
	v_dual_ashrrev_i32 v208, 31, v208 :: v_dual_bitop2_b32 v206, s19, v206 bitop3:0x14
	v_xor_b32_e32 v207, s20, v207
	v_bitop3_b32 v62, v62, v65, v63 bitop3:0x80
	v_cmp_gt_i32_e32 vcc_lo, 0, v210
	v_ashrrev_i32_e32 v63, 31, v209
	v_mad_u32_u24 v65, v64, 36, v23
	v_xor_b32_e32 v208, s21, v208
	v_bitop3_b32 v62, v62, v207, v206 bitop3:0x80
	s_delay_alu instid0(VALU_DEP_4) | instskip(SKIP_3) | instid1(VALU_DEP_2)
	v_xor_b32_e32 v63, vcc_lo, v63
	ds_load_b32 v206, v65 offset:544
	; wave barrier
	v_bitop3_b32 v62, v62, v63, v208 bitop3:0x80
	v_mul_u32_u24_e32 v63, 36, v64
	v_mbcnt_lo_u32_b32 v207, v62, 0
	v_cmp_ne_u32_e64 s17, 0, v62
	s_delay_alu instid0(VALU_DEP_3) | instskip(NEXT) | instid1(VALU_DEP_3)
	v_add_nc_u32_e32 v208, v23, v63
	v_cmp_eq_u32_e32 vcc_lo, 0, v207
	s_and_b32 s18, s17, vcc_lo
	s_delay_alu instid0(SALU_CYCLE_1)
	s_and_saveexec_b32 s17, s18
	s_cbranch_execz .LBB908_1104
; %bb.1103:                             ;   in Loop: Header=BB908_1032 Depth=2
	s_wait_dscnt 0x0
	v_bcnt_u32_b32 v62, v62, v206
	ds_store_b32 v208, v62 offset:544
.LBB908_1104:                           ;   in Loop: Header=BB908_1032 Depth=2
	s_or_b32 exec_lo, exec_lo, s17
	; wave barrier
	s_wait_dscnt 0x0
	s_barrier_signal -1
	s_barrier_wait -1
	ds_load_2addr_b32 v[64:65], v89 offset0:136 offset1:137
	ds_load_2addr_b32 v[62:63], v89 offset0:138 offset1:139
	ds_load_b32 v209, v89 offset:560
	s_wait_dscnt 0x1
	v_add3_u32 v210, v65, v64, v62
	s_wait_dscnt 0x0
	s_delay_alu instid0(VALU_DEP_1) | instskip(NEXT) | instid1(VALU_DEP_1)
	v_add3_u32 v209, v210, v63, v209
	v_mov_b32_dpp v210, v209 row_shr:1 row_mask:0xf bank_mask:0xf
	s_delay_alu instid0(VALU_DEP_1) | instskip(NEXT) | instid1(VALU_DEP_1)
	v_cndmask_b32_e64 v210, v210, 0, s9
	v_add_nc_u32_e32 v209, v210, v209
	s_delay_alu instid0(VALU_DEP_1) | instskip(NEXT) | instid1(VALU_DEP_1)
	v_mov_b32_dpp v210, v209 row_shr:2 row_mask:0xf bank_mask:0xf
	v_cndmask_b32_e64 v210, 0, v210, s10
	s_delay_alu instid0(VALU_DEP_1) | instskip(NEXT) | instid1(VALU_DEP_1)
	v_add_nc_u32_e32 v209, v209, v210
	v_mov_b32_dpp v210, v209 row_shr:4 row_mask:0xf bank_mask:0xf
	s_delay_alu instid0(VALU_DEP_1) | instskip(NEXT) | instid1(VALU_DEP_1)
	v_cndmask_b32_e64 v210, 0, v210, s11
	v_add_nc_u32_e32 v209, v209, v210
	s_delay_alu instid0(VALU_DEP_1) | instskip(NEXT) | instid1(VALU_DEP_1)
	v_mov_b32_dpp v210, v209 row_shr:8 row_mask:0xf bank_mask:0xf
	v_cndmask_b32_e64 v210, 0, v210, s12
	s_delay_alu instid0(VALU_DEP_1) | instskip(SKIP_3) | instid1(VALU_DEP_1)
	v_add_nc_u32_e32 v209, v209, v210
	ds_swizzle_b32 v210, v209 offset:swizzle(BROADCAST,32,15)
	s_wait_dscnt 0x0
	v_cndmask_b32_e64 v210, v210, 0, s13
	v_add_nc_u32_e32 v209, v209, v210
	s_and_saveexec_b32 s17, s2
; %bb.1105:                             ;   in Loop: Header=BB908_1032 Depth=2
	ds_store_b32 v82, v209 offset:512
; %bb.1106:                             ;   in Loop: Header=BB908_1032 Depth=2
	s_or_b32 exec_lo, exec_lo, s17
	s_wait_dscnt 0x0
	s_barrier_signal -1
	s_barrier_wait -1
	s_and_saveexec_b32 s17, s3
	s_cbranch_execz .LBB908_1108
; %bb.1107:                             ;   in Loop: Header=BB908_1032 Depth=2
	ds_load_b32 v210, v91 offset:512
	s_wait_dscnt 0x0
	v_mov_b32_dpp v211, v210 row_shr:1 row_mask:0xf bank_mask:0xf
	s_delay_alu instid0(VALU_DEP_1) | instskip(NEXT) | instid1(VALU_DEP_1)
	v_cndmask_b32_e64 v211, v211, 0, s14
	v_add_nc_u32_e32 v210, v211, v210
	s_delay_alu instid0(VALU_DEP_1) | instskip(NEXT) | instid1(VALU_DEP_1)
	v_mov_b32_dpp v211, v210 row_shr:2 row_mask:0xf bank_mask:0xf
	v_cndmask_b32_e64 v211, 0, v211, s15
	s_delay_alu instid0(VALU_DEP_1) | instskip(NEXT) | instid1(VALU_DEP_1)
	v_add_nc_u32_e32 v210, v210, v211
	v_mov_b32_dpp v211, v210 row_shr:4 row_mask:0xf bank_mask:0xf
	s_delay_alu instid0(VALU_DEP_1) | instskip(NEXT) | instid1(VALU_DEP_1)
	v_cndmask_b32_e64 v211, 0, v211, s16
	v_add_nc_u32_e32 v210, v210, v211
	ds_store_b32 v91, v210 offset:512
.LBB908_1108:                           ;   in Loop: Header=BB908_1032 Depth=2
	s_or_b32 exec_lo, exec_lo, s17
	v_mov_b32_e32 v210, 0
	s_wait_dscnt 0x0
	s_barrier_signal -1
	s_barrier_wait -1
	s_and_saveexec_b32 s17, s5
; %bb.1109:                             ;   in Loop: Header=BB908_1032 Depth=2
	ds_load_b32 v210, v82 offset:508
; %bb.1110:                             ;   in Loop: Header=BB908_1032 Depth=2
	s_or_b32 exec_lo, exec_lo, s17
	s_wait_dscnt 0x0
	v_add_nc_u32_e32 v209, v210, v209
	ds_bpermute_b32 v209, v121, v209
	s_wait_dscnt 0x0
	v_cndmask_b32_e64 v209, v209, v210, s8
	s_delay_alu instid0(VALU_DEP_1) | instskip(NEXT) | instid1(VALU_DEP_1)
	v_cndmask_b32_e64 v209, v209, 0, s6
	v_add_nc_u32_e32 v64, v209, v64
	s_delay_alu instid0(VALU_DEP_1) | instskip(NEXT) | instid1(VALU_DEP_1)
	v_add_nc_u32_e32 v65, v64, v65
	v_add_nc_u32_e32 v62, v65, v62
	s_delay_alu instid0(VALU_DEP_1)
	v_add_nc_u32_e32 v63, v62, v63
	ds_store_2addr_b32 v89, v209, v64 offset0:136 offset1:137
	ds_store_2addr_b32 v89, v65, v62 offset0:138 offset1:139
	ds_store_b32 v89, v63 offset:560
	s_wait_dscnt 0x0
	s_barrier_signal -1
	s_barrier_wait -1
	ds_load_b32 v64, v146 offset:544
	ds_load_b32 v65, v150 offset:544
	;; [unrolled: 1-line block ×17, first 2 shown]
	s_and_saveexec_b32 s17, s0
	s_cbranch_execz .LBB908_1114
; %bb.1111:                             ;   in Loop: Header=BB908_1032 Depth=2
	ds_load_b32 v137, v92 offset:544
	v_mov_b32_e32 v140, 0x1100
	s_and_saveexec_b32 s18, s7
; %bb.1112:                             ;   in Loop: Header=BB908_1032 Depth=2
	ds_load_b32 v140, v93 offset:544
; %bb.1113:                             ;   in Loop: Header=BB908_1032 Depth=2
	s_or_b32 exec_lo, exec_lo, s18
	s_wait_dscnt 0x0
	v_sub_nc_u32_e32 v140, v140, v137
.LBB908_1114:                           ;   in Loop: Header=BB908_1032 Depth=2
	s_or_b32 exec_lo, exec_lo, s17
	s_wait_dscnt 0x0
	s_barrier_signal -1
	s_barrier_wait -1
	s_and_saveexec_b32 s17, s0
	s_cbranch_execz .LBB908_1116
; %bb.1115:                             ;   in Loop: Header=BB908_1032 Depth=2
	ds_load_b32 v156, v3
	s_wait_dscnt 0x0
	v_sub_nc_u32_e32 v156, v156, v137
	ds_store_b32 v3, v156
.LBB908_1116:                           ;   in Loop: Header=BB908_1032 Depth=2
	s_or_b32 exec_lo, exec_lo, s17
	v_add3_u32 v161, v153, v152, v146
	v_add_nc_u32_e32 v165, v64, v144
	v_add3_u32 v164, v149, v148, v65
	v_add3_u32 v159, v158, v157, v150
	;; [unrolled: 1-line block ×4, first 2 shown]
	v_lshlrev_b32_e32 v62, 1, v161
	v_dual_lshlrev_b32 v162, 1, v165 :: v_dual_lshlrev_b32 v163, 1, v164
	v_add3_u32 v157, v168, v167, v209
	v_add3_u32 v156, v173, v172, v175
	;; [unrolled: 1-line block ×5, first 2 shown]
	v_lshlrev_b32_e32 v63, 1, v159
	v_add3_u32 v152, v184, v183, v185
	ds_store_b16 v162, v143 offset:512
	ds_store_b16 v163, v145 offset:512
	v_lshlrev_b32_e32 v143, 1, v158
	v_add3_u32 v150, v188, v187, v190
	v_dual_lshlrev_b32 v145, 1, v157 :: v_dual_lshlrev_b32 v162, 1, v156
	v_add3_u32 v149, v192, v191, v210
	v_add3_u32 v65, v195, v194, v211
	ds_store_b16 v62, v147 offset:512
	ds_store_b16 v63, v151 offset:512
	;; [unrolled: 1-line block ×5, first 2 shown]
	v_dual_lshlrev_b32 v62, 1, v154 :: v_dual_lshlrev_b32 v63, 1, v153
	v_add3_u32 v64, v198, v197, v212
	v_dual_lshlrev_b32 v143, 1, v152 :: v_dual_lshlrev_b32 v145, 1, v150
	v_add3_u32 v144, v207, v206, v170
	v_lshlrev_b32_e32 v147, 1, v149
	ds_store_b16 v62, v171 offset:512
	ds_store_b16 v63, v176 offset:512
	;; [unrolled: 1-line block ×5, first 2 shown]
	v_dual_lshlrev_b32 v62, 1, v65 :: v_dual_lshlrev_b32 v143, 1, v148
	v_cmp_lt_u32_e32 vcc_lo, v2, v141
	v_dual_lshlrev_b32 v63, 1, v64 :: v_dual_lshlrev_b32 v145, 1, v146
	v_lshlrev_b32_e32 v147, 1, v144
	ds_store_b16 v62, v189 offset:512
	ds_store_b16 v63, v193 offset:512
	;; [unrolled: 1-line block ×5, first 2 shown]
	s_wait_dscnt 0x0
	s_barrier_signal -1
	s_barrier_wait -1
	s_and_saveexec_b32 s17, vcc_lo
	s_cbranch_execnz .LBB908_1189
; %bb.1117:                             ;   in Loop: Header=BB908_1032 Depth=2
	s_or_b32 exec_lo, exec_lo, s17
	v_cmp_lt_u32_e64 s17, v66, v141
	s_and_saveexec_b32 s18, s17
	s_cbranch_execnz .LBB908_1190
.LBB908_1118:                           ;   in Loop: Header=BB908_1032 Depth=2
	s_or_b32 exec_lo, exec_lo, s18
	v_cmp_lt_u32_e64 s18, v67, v141
	s_and_saveexec_b32 s19, s18
	s_cbranch_execnz .LBB908_1191
.LBB908_1119:                           ;   in Loop: Header=BB908_1032 Depth=2
	s_or_b32 exec_lo, exec_lo, s19
	v_cmp_lt_u32_e64 s19, v68, v141
	s_and_saveexec_b32 s20, s19
	s_cbranch_execnz .LBB908_1192
.LBB908_1120:                           ;   in Loop: Header=BB908_1032 Depth=2
	s_or_b32 exec_lo, exec_lo, s20
	v_cmp_lt_u32_e64 s20, v69, v141
	s_and_saveexec_b32 s21, s20
	s_cbranch_execnz .LBB908_1193
.LBB908_1121:                           ;   in Loop: Header=BB908_1032 Depth=2
	s_or_b32 exec_lo, exec_lo, s21
	v_cmp_lt_u32_e64 s21, v70, v141
	s_and_saveexec_b32 s22, s21
	s_cbranch_execnz .LBB908_1194
.LBB908_1122:                           ;   in Loop: Header=BB908_1032 Depth=2
	s_or_b32 exec_lo, exec_lo, s22
	v_cmp_lt_u32_e64 s22, v71, v141
	s_and_saveexec_b32 s23, s22
	s_cbranch_execnz .LBB908_1195
.LBB908_1123:                           ;   in Loop: Header=BB908_1032 Depth=2
	s_or_b32 exec_lo, exec_lo, s23
	v_cmp_lt_u32_e64 s23, v72, v141
	s_and_saveexec_b32 s24, s23
	s_cbranch_execnz .LBB908_1196
.LBB908_1124:                           ;   in Loop: Header=BB908_1032 Depth=2
	s_or_b32 exec_lo, exec_lo, s24
	v_cmp_lt_u32_e64 s24, v73, v141
	s_and_saveexec_b32 s25, s24
	s_cbranch_execnz .LBB908_1197
.LBB908_1125:                           ;   in Loop: Header=BB908_1032 Depth=2
	s_or_b32 exec_lo, exec_lo, s25
	v_cmp_lt_u32_e64 s25, v74, v141
	s_and_saveexec_b32 s26, s25
	s_cbranch_execnz .LBB908_1198
.LBB908_1126:                           ;   in Loop: Header=BB908_1032 Depth=2
	s_or_b32 exec_lo, exec_lo, s26
	v_cmp_lt_u32_e64 s26, v75, v141
	s_and_saveexec_b32 s27, s26
	s_cbranch_execnz .LBB908_1199
.LBB908_1127:                           ;   in Loop: Header=BB908_1032 Depth=2
	s_or_b32 exec_lo, exec_lo, s27
	v_cmp_lt_u32_e64 s27, v76, v141
	s_and_saveexec_b32 s28, s27
	s_cbranch_execnz .LBB908_1200
.LBB908_1128:                           ;   in Loop: Header=BB908_1032 Depth=2
	s_or_b32 exec_lo, exec_lo, s28
	v_cmp_lt_u32_e64 s28, v77, v141
	s_and_saveexec_b32 s29, s28
	s_cbranch_execnz .LBB908_1201
.LBB908_1129:                           ;   in Loop: Header=BB908_1032 Depth=2
	s_or_b32 exec_lo, exec_lo, s29
	v_cmp_lt_u32_e64 s29, v78, v141
	s_and_saveexec_b32 s30, s29
	s_cbranch_execnz .LBB908_1202
.LBB908_1130:                           ;   in Loop: Header=BB908_1032 Depth=2
	s_or_b32 exec_lo, exec_lo, s30
	v_cmp_lt_u32_e64 s30, v79, v141
	s_and_saveexec_b32 s31, s30
	s_cbranch_execnz .LBB908_1203
.LBB908_1131:                           ;   in Loop: Header=BB908_1032 Depth=2
	s_or_b32 exec_lo, exec_lo, s31
	v_cmp_lt_u32_e64 s31, v80, v141
	s_and_saveexec_b32 s33, s31
	s_cbranch_execnz .LBB908_1204
.LBB908_1132:                           ;   in Loop: Header=BB908_1032 Depth=2
	s_or_b32 exec_lo, exec_lo, s33
	v_cmp_lt_u32_e64 s33, v81, v141
	s_and_saveexec_b32 s60, s33
	s_cbranch_execz .LBB908_1134
.LBB908_1133:                           ;   in Loop: Header=BB908_1032 Depth=2
	ds_load_u16 v62, v94 offset:8704
	s_wait_dscnt 0x0
	v_and_b32_e32 v63, 0xffff, v62
	v_xor_b32_e32 v62, 0x7fff, v62
	s_delay_alu instid0(VALU_DEP_2) | instskip(NEXT) | instid1(VALU_DEP_1)
	v_lshrrev_b32_e32 v63, s49, v63
	v_and_b32_e32 v63, s48, v63
	s_delay_alu instid0(VALU_DEP_1)
	v_lshlrev_b32_e32 v63, 2, v63
	ds_load_b32 v63, v63
	s_wait_dscnt 0x0
	v_add_nc_u32_e32 v63, v63, v81
	global_store_b16 v63, v62, s[40:41] scale_offset
.LBB908_1134:                           ;   in Loop: Header=BB908_1032 Depth=2
	s_wait_xcnt 0x0
	s_or_b32 exec_lo, exec_lo, s60
	v_lshl_add_u64 v[62:63], s[34:35], 3, v[24:25]
	v_cmp_lt_u32_e64 s34, v102, v141
	s_and_saveexec_b32 s60, s34
	s_delay_alu instid0(SALU_CYCLE_1)
	s_xor_b32 s34, exec_lo, s60
	s_cbranch_execnz .LBB908_1205
; %bb.1135:                             ;   in Loop: Header=BB908_1032 Depth=2
	s_or_b32 exec_lo, exec_lo, s34
	s_delay_alu instid0(SALU_CYCLE_1)
	s_mov_b32 s60, exec_lo
	v_cmpx_lt_u32_e64 v105, v141
	s_cbranch_execnz .LBB908_1206
.LBB908_1136:                           ;   in Loop: Header=BB908_1032 Depth=2
	s_or_b32 exec_lo, exec_lo, s60
	s_delay_alu instid0(SALU_CYCLE_1)
	s_mov_b32 s60, exec_lo
	v_cmpx_lt_u32_e64 v106, v141
	s_cbranch_execnz .LBB908_1207
.LBB908_1137:                           ;   in Loop: Header=BB908_1032 Depth=2
	s_or_b32 exec_lo, exec_lo, s60
	s_delay_alu instid0(SALU_CYCLE_1)
	s_mov_b32 s60, exec_lo
	v_cmpx_lt_u32_e64 v107, v141
	s_cbranch_execnz .LBB908_1208
.LBB908_1138:                           ;   in Loop: Header=BB908_1032 Depth=2
	s_or_b32 exec_lo, exec_lo, s60
	s_delay_alu instid0(SALU_CYCLE_1)
	s_mov_b32 s60, exec_lo
	v_cmpx_lt_u32_e64 v108, v141
	s_cbranch_execnz .LBB908_1209
.LBB908_1139:                           ;   in Loop: Header=BB908_1032 Depth=2
	s_or_b32 exec_lo, exec_lo, s60
	s_delay_alu instid0(SALU_CYCLE_1)
	s_mov_b32 s60, exec_lo
	v_cmpx_lt_u32_e64 v109, v141
	s_cbranch_execnz .LBB908_1210
.LBB908_1140:                           ;   in Loop: Header=BB908_1032 Depth=2
	s_or_b32 exec_lo, exec_lo, s60
	s_delay_alu instid0(SALU_CYCLE_1)
	s_mov_b32 s60, exec_lo
	v_cmpx_lt_u32_e64 v110, v141
	s_cbranch_execnz .LBB908_1211
.LBB908_1141:                           ;   in Loop: Header=BB908_1032 Depth=2
	s_or_b32 exec_lo, exec_lo, s60
	s_delay_alu instid0(SALU_CYCLE_1)
	s_mov_b32 s60, exec_lo
	v_cmpx_lt_u32_e64 v111, v141
	s_cbranch_execnz .LBB908_1212
.LBB908_1142:                           ;   in Loop: Header=BB908_1032 Depth=2
	s_or_b32 exec_lo, exec_lo, s60
	s_delay_alu instid0(SALU_CYCLE_1)
	s_mov_b32 s60, exec_lo
	v_cmpx_lt_u32_e64 v112, v141
	s_cbranch_execnz .LBB908_1213
.LBB908_1143:                           ;   in Loop: Header=BB908_1032 Depth=2
	s_or_b32 exec_lo, exec_lo, s60
	s_delay_alu instid0(SALU_CYCLE_1)
	s_mov_b32 s60, exec_lo
	v_cmpx_lt_u32_e64 v113, v141
	s_cbranch_execnz .LBB908_1214
.LBB908_1144:                           ;   in Loop: Header=BB908_1032 Depth=2
	s_or_b32 exec_lo, exec_lo, s60
	s_delay_alu instid0(SALU_CYCLE_1)
	s_mov_b32 s60, exec_lo
	v_cmpx_lt_u32_e64 v114, v141
	s_cbranch_execnz .LBB908_1215
.LBB908_1145:                           ;   in Loop: Header=BB908_1032 Depth=2
	s_or_b32 exec_lo, exec_lo, s60
	s_delay_alu instid0(SALU_CYCLE_1)
	s_mov_b32 s60, exec_lo
	v_cmpx_lt_u32_e64 v115, v141
	s_cbranch_execnz .LBB908_1216
.LBB908_1146:                           ;   in Loop: Header=BB908_1032 Depth=2
	s_or_b32 exec_lo, exec_lo, s60
	s_delay_alu instid0(SALU_CYCLE_1)
	s_mov_b32 s60, exec_lo
	v_cmpx_lt_u32_e64 v116, v141
	s_cbranch_execnz .LBB908_1217
.LBB908_1147:                           ;   in Loop: Header=BB908_1032 Depth=2
	s_or_b32 exec_lo, exec_lo, s60
	s_delay_alu instid0(SALU_CYCLE_1)
	s_mov_b32 s60, exec_lo
	v_cmpx_lt_u32_e64 v117, v141
	s_cbranch_execnz .LBB908_1218
.LBB908_1148:                           ;   in Loop: Header=BB908_1032 Depth=2
	s_or_b32 exec_lo, exec_lo, s60
	s_delay_alu instid0(SALU_CYCLE_1)
	s_mov_b32 s60, exec_lo
	v_cmpx_lt_u32_e64 v118, v141
	s_cbranch_execnz .LBB908_1219
.LBB908_1149:                           ;   in Loop: Header=BB908_1032 Depth=2
	s_or_b32 exec_lo, exec_lo, s60
	s_delay_alu instid0(SALU_CYCLE_1)
	s_mov_b32 s60, exec_lo
	v_cmpx_lt_u32_e64 v119, v141
	s_cbranch_execnz .LBB908_1220
.LBB908_1150:                           ;   in Loop: Header=BB908_1032 Depth=2
	s_or_b32 exec_lo, exec_lo, s60
	s_delay_alu instid0(SALU_CYCLE_1)
	s_mov_b32 s60, exec_lo
	v_cmpx_lt_u32_e64 v120, v141
	s_cbranch_execnz .LBB908_1221
.LBB908_1151:                           ;   in Loop: Header=BB908_1032 Depth=2
	s_or_b32 exec_lo, exec_lo, s60
	s_and_saveexec_b32 s34, vcc_lo
	s_cbranch_execnz .LBB908_1222
.LBB908_1152:                           ;   in Loop: Header=BB908_1032 Depth=2
	s_or_b32 exec_lo, exec_lo, s34
	s_and_saveexec_b32 s34, s17
	s_cbranch_execnz .LBB908_1223
.LBB908_1153:                           ;   in Loop: Header=BB908_1032 Depth=2
	s_or_b32 exec_lo, exec_lo, s34
	s_and_saveexec_b32 s34, s18
	s_cbranch_execnz .LBB908_1224
.LBB908_1154:                           ;   in Loop: Header=BB908_1032 Depth=2
	s_or_b32 exec_lo, exec_lo, s34
	s_and_saveexec_b32 s34, s19
	s_cbranch_execnz .LBB908_1225
.LBB908_1155:                           ;   in Loop: Header=BB908_1032 Depth=2
	s_or_b32 exec_lo, exec_lo, s34
	s_and_saveexec_b32 s34, s20
	s_cbranch_execnz .LBB908_1226
.LBB908_1156:                           ;   in Loop: Header=BB908_1032 Depth=2
	s_or_b32 exec_lo, exec_lo, s34
	s_and_saveexec_b32 s34, s21
	s_cbranch_execnz .LBB908_1227
.LBB908_1157:                           ;   in Loop: Header=BB908_1032 Depth=2
	s_or_b32 exec_lo, exec_lo, s34
	s_and_saveexec_b32 s34, s22
	s_cbranch_execnz .LBB908_1228
.LBB908_1158:                           ;   in Loop: Header=BB908_1032 Depth=2
	s_or_b32 exec_lo, exec_lo, s34
	s_and_saveexec_b32 s34, s23
	s_cbranch_execnz .LBB908_1229
.LBB908_1159:                           ;   in Loop: Header=BB908_1032 Depth=2
	s_or_b32 exec_lo, exec_lo, s34
	s_and_saveexec_b32 s34, s24
	s_cbranch_execnz .LBB908_1230
.LBB908_1160:                           ;   in Loop: Header=BB908_1032 Depth=2
	s_or_b32 exec_lo, exec_lo, s34
	s_and_saveexec_b32 s34, s25
	s_cbranch_execnz .LBB908_1231
.LBB908_1161:                           ;   in Loop: Header=BB908_1032 Depth=2
	s_or_b32 exec_lo, exec_lo, s34
	s_and_saveexec_b32 s34, s26
	s_cbranch_execnz .LBB908_1232
.LBB908_1162:                           ;   in Loop: Header=BB908_1032 Depth=2
	s_or_b32 exec_lo, exec_lo, s34
	s_and_saveexec_b32 s34, s27
	s_cbranch_execnz .LBB908_1233
.LBB908_1163:                           ;   in Loop: Header=BB908_1032 Depth=2
	s_or_b32 exec_lo, exec_lo, s34
	s_and_saveexec_b32 s34, s28
	s_cbranch_execnz .LBB908_1234
.LBB908_1164:                           ;   in Loop: Header=BB908_1032 Depth=2
	s_or_b32 exec_lo, exec_lo, s34
	s_and_saveexec_b32 s34, s29
	s_cbranch_execnz .LBB908_1235
.LBB908_1165:                           ;   in Loop: Header=BB908_1032 Depth=2
	s_or_b32 exec_lo, exec_lo, s34
	s_and_saveexec_b32 s34, s30
	s_cbranch_execnz .LBB908_1236
.LBB908_1166:                           ;   in Loop: Header=BB908_1032 Depth=2
	s_or_b32 exec_lo, exec_lo, s34
	s_and_saveexec_b32 s34, s31
	s_cbranch_execnz .LBB908_1237
.LBB908_1167:                           ;   in Loop: Header=BB908_1032 Depth=2
	s_or_b32 exec_lo, exec_lo, s34
	s_and_saveexec_b32 s34, s33
	s_cbranch_execz .LBB908_1169
.LBB908_1168:                           ;   in Loop: Header=BB908_1032 Depth=2
	ds_load_u16 v62, v94 offset:8704
	s_wait_dscnt 0x0
	v_lshrrev_b32_e32 v62, s49, v62
	s_delay_alu instid0(VALU_DEP_1)
	v_and_b32_e32 v122, s48, v62
.LBB908_1169:                           ;   in Loop: Header=BB908_1032 Depth=2
	s_or_b32 exec_lo, exec_lo, s34
	v_dual_lshlrev_b32 v62, 3, v165 :: v_dual_lshlrev_b32 v63, 3, v164
	s_wait_loadcnt 0x0
	s_wait_storecnt 0x0
	s_barrier_signal -1
	s_barrier_wait -1
	ds_store_b64 v62, v[60:61] offset:512
	ds_store_b64 v63, v[58:59] offset:512
	v_dual_lshlrev_b32 v62, 3, v161 :: v_dual_lshlrev_b32 v63, 3, v159
	v_dual_lshlrev_b32 v141, 3, v158 :: v_dual_lshlrev_b32 v142, 3, v157
	v_lshlrev_b32_e32 v143, 3, v156
	ds_store_b64 v62, v[56:57] offset:512
	ds_store_b64 v63, v[54:55] offset:512
	ds_store_b64 v141, v[52:53] offset:512
	ds_store_b64 v142, v[50:51] offset:512
	ds_store_b64 v143, v[48:49] offset:512
	v_dual_lshlrev_b32 v62, 3, v154 :: v_dual_lshlrev_b32 v63, 3, v153
	v_dual_lshlrev_b32 v141, 3, v152 :: v_dual_lshlrev_b32 v142, 3, v150
	v_lshlrev_b32_e32 v143, 3, v149
	ds_store_b64 v62, v[46:47] offset:512
	ds_store_b64 v63, v[44:45] offset:512
	ds_store_b64 v141, v[42:43] offset:512
	;; [unrolled: 8-line block ×3, first 2 shown]
	ds_store_b64 v65, v[30:31] offset:512
	ds_store_b64 v141, v[28:29] offset:512
	v_add_nc_u32_e32 v62, v94, v95
	s_wait_dscnt 0x0
	s_barrier_signal -1
	s_barrier_wait -1
	s_and_saveexec_b32 s34, vcc_lo
	s_cbranch_execnz .LBB908_1238
; %bb.1170:                             ;   in Loop: Header=BB908_1032 Depth=2
	s_or_b32 exec_lo, exec_lo, s34
	s_and_saveexec_b32 s34, s17
	s_cbranch_execnz .LBB908_1239
.LBB908_1171:                           ;   in Loop: Header=BB908_1032 Depth=2
	s_or_b32 exec_lo, exec_lo, s34
	s_and_saveexec_b32 s17, s18
	s_cbranch_execnz .LBB908_1240
.LBB908_1172:                           ;   in Loop: Header=BB908_1032 Depth=2
	s_or_b32 exec_lo, exec_lo, s17
	s_and_saveexec_b32 s17, s19
	s_cbranch_execnz .LBB908_1241
.LBB908_1173:                           ;   in Loop: Header=BB908_1032 Depth=2
	s_or_b32 exec_lo, exec_lo, s17
	s_and_saveexec_b32 s17, s20
	s_cbranch_execnz .LBB908_1242
.LBB908_1174:                           ;   in Loop: Header=BB908_1032 Depth=2
	s_or_b32 exec_lo, exec_lo, s17
	s_and_saveexec_b32 s17, s21
	s_cbranch_execnz .LBB908_1243
.LBB908_1175:                           ;   in Loop: Header=BB908_1032 Depth=2
	s_or_b32 exec_lo, exec_lo, s17
	s_and_saveexec_b32 s17, s22
	s_cbranch_execnz .LBB908_1244
.LBB908_1176:                           ;   in Loop: Header=BB908_1032 Depth=2
	s_or_b32 exec_lo, exec_lo, s17
	s_and_saveexec_b32 s17, s23
	s_cbranch_execnz .LBB908_1245
.LBB908_1177:                           ;   in Loop: Header=BB908_1032 Depth=2
	s_or_b32 exec_lo, exec_lo, s17
	s_and_saveexec_b32 s17, s24
	s_cbranch_execnz .LBB908_1246
.LBB908_1178:                           ;   in Loop: Header=BB908_1032 Depth=2
	s_or_b32 exec_lo, exec_lo, s17
	s_and_saveexec_b32 s17, s25
	s_cbranch_execnz .LBB908_1247
.LBB908_1179:                           ;   in Loop: Header=BB908_1032 Depth=2
	s_or_b32 exec_lo, exec_lo, s17
	s_and_saveexec_b32 s17, s26
	s_cbranch_execnz .LBB908_1248
.LBB908_1180:                           ;   in Loop: Header=BB908_1032 Depth=2
	s_or_b32 exec_lo, exec_lo, s17
	s_and_saveexec_b32 s17, s27
	s_cbranch_execnz .LBB908_1249
.LBB908_1181:                           ;   in Loop: Header=BB908_1032 Depth=2
	s_or_b32 exec_lo, exec_lo, s17
	s_and_saveexec_b32 s17, s28
	s_cbranch_execnz .LBB908_1250
.LBB908_1182:                           ;   in Loop: Header=BB908_1032 Depth=2
	s_or_b32 exec_lo, exec_lo, s17
	s_and_saveexec_b32 s17, s29
	s_cbranch_execnz .LBB908_1251
.LBB908_1183:                           ;   in Loop: Header=BB908_1032 Depth=2
	s_or_b32 exec_lo, exec_lo, s17
	s_and_saveexec_b32 s17, s30
	s_cbranch_execnz .LBB908_1252
.LBB908_1184:                           ;   in Loop: Header=BB908_1032 Depth=2
	s_or_b32 exec_lo, exec_lo, s17
	s_and_saveexec_b32 s17, s31
	s_cbranch_execnz .LBB908_1253
.LBB908_1185:                           ;   in Loop: Header=BB908_1032 Depth=2
	s_or_b32 exec_lo, exec_lo, s17
	s_and_saveexec_b32 s17, s33
	s_cbranch_execz .LBB908_1187
.LBB908_1186:                           ;   in Loop: Header=BB908_1032 Depth=2
	v_lshlrev_b32_e32 v63, 2, v122
	ds_load_b32 v64, v63
	ds_load_b64 v[62:63], v62 offset:33280
	s_wait_dscnt 0x1
	v_add_nc_u32_e32 v64, v64, v81
	s_wait_dscnt 0x0
	global_store_b64 v64, v[62:63], s[46:47] scale_offset
.LBB908_1187:                           ;   in Loop: Header=BB908_1032 Depth=2
	s_wait_xcnt 0x0
	s_or_b32 exec_lo, exec_lo, s17
	s_wait_storecnt 0x0
	s_barrier_signal -1
	s_barrier_wait -1
	s_and_saveexec_b32 s17, s0
	s_cbranch_execz .LBB908_1031
; %bb.1188:                             ;   in Loop: Header=BB908_1032 Depth=2
	ds_load_b32 v62, v3
	s_wait_dscnt 0x0
	v_add3_u32 v62, v137, v140, v62
	ds_store_b32 v3, v62
	s_branch .LBB908_1031
.LBB908_1189:                           ;   in Loop: Header=BB908_1032 Depth=2
	ds_load_u16 v62, v94 offset:512
	s_wait_dscnt 0x0
	v_and_b32_e32 v63, 0xffff, v62
	v_xor_b32_e32 v62, 0x7fff, v62
	s_delay_alu instid0(VALU_DEP_2) | instskip(NEXT) | instid1(VALU_DEP_1)
	v_lshrrev_b32_e32 v63, s49, v63
	v_and_b32_e32 v63, s48, v63
	s_delay_alu instid0(VALU_DEP_1)
	v_lshlrev_b32_e32 v63, 2, v63
	ds_load_b32 v63, v63
	s_wait_dscnt 0x0
	v_add_nc_u32_e32 v63, v63, v2
	global_store_b16 v63, v62, s[40:41] scale_offset
	s_wait_xcnt 0x0
	s_or_b32 exec_lo, exec_lo, s17
	v_cmp_lt_u32_e64 s17, v66, v141
	s_and_saveexec_b32 s18, s17
	s_cbranch_execz .LBB908_1118
.LBB908_1190:                           ;   in Loop: Header=BB908_1032 Depth=2
	ds_load_u16 v62, v94 offset:1024
	s_wait_dscnt 0x0
	v_and_b32_e32 v63, 0xffff, v62
	v_xor_b32_e32 v62, 0x7fff, v62
	s_delay_alu instid0(VALU_DEP_2) | instskip(NEXT) | instid1(VALU_DEP_1)
	v_lshrrev_b32_e32 v63, s49, v63
	v_and_b32_e32 v63, s48, v63
	s_delay_alu instid0(VALU_DEP_1)
	v_lshlrev_b32_e32 v63, 2, v63
	ds_load_b32 v63, v63
	s_wait_dscnt 0x0
	v_add_nc_u32_e32 v63, v63, v66
	global_store_b16 v63, v62, s[40:41] scale_offset
	s_wait_xcnt 0x0
	s_or_b32 exec_lo, exec_lo, s18
	v_cmp_lt_u32_e64 s18, v67, v141
	s_and_saveexec_b32 s19, s18
	s_cbranch_execz .LBB908_1119
.LBB908_1191:                           ;   in Loop: Header=BB908_1032 Depth=2
	ds_load_u16 v62, v94 offset:1536
	s_wait_dscnt 0x0
	v_and_b32_e32 v63, 0xffff, v62
	v_xor_b32_e32 v62, 0x7fff, v62
	s_delay_alu instid0(VALU_DEP_2) | instskip(NEXT) | instid1(VALU_DEP_1)
	v_lshrrev_b32_e32 v63, s49, v63
	v_and_b32_e32 v63, s48, v63
	s_delay_alu instid0(VALU_DEP_1)
	v_lshlrev_b32_e32 v63, 2, v63
	ds_load_b32 v63, v63
	s_wait_dscnt 0x0
	v_add_nc_u32_e32 v63, v63, v67
	global_store_b16 v63, v62, s[40:41] scale_offset
	s_wait_xcnt 0x0
	s_or_b32 exec_lo, exec_lo, s19
	v_cmp_lt_u32_e64 s19, v68, v141
	s_and_saveexec_b32 s20, s19
	s_cbranch_execz .LBB908_1120
.LBB908_1192:                           ;   in Loop: Header=BB908_1032 Depth=2
	ds_load_u16 v62, v94 offset:2048
	s_wait_dscnt 0x0
	v_and_b32_e32 v63, 0xffff, v62
	v_xor_b32_e32 v62, 0x7fff, v62
	s_delay_alu instid0(VALU_DEP_2) | instskip(NEXT) | instid1(VALU_DEP_1)
	v_lshrrev_b32_e32 v63, s49, v63
	v_and_b32_e32 v63, s48, v63
	s_delay_alu instid0(VALU_DEP_1)
	v_lshlrev_b32_e32 v63, 2, v63
	ds_load_b32 v63, v63
	s_wait_dscnt 0x0
	v_add_nc_u32_e32 v63, v63, v68
	global_store_b16 v63, v62, s[40:41] scale_offset
	s_wait_xcnt 0x0
	s_or_b32 exec_lo, exec_lo, s20
	v_cmp_lt_u32_e64 s20, v69, v141
	s_and_saveexec_b32 s21, s20
	s_cbranch_execz .LBB908_1121
.LBB908_1193:                           ;   in Loop: Header=BB908_1032 Depth=2
	ds_load_u16 v62, v94 offset:2560
	s_wait_dscnt 0x0
	v_and_b32_e32 v63, 0xffff, v62
	v_xor_b32_e32 v62, 0x7fff, v62
	s_delay_alu instid0(VALU_DEP_2) | instskip(NEXT) | instid1(VALU_DEP_1)
	v_lshrrev_b32_e32 v63, s49, v63
	v_and_b32_e32 v63, s48, v63
	s_delay_alu instid0(VALU_DEP_1)
	v_lshlrev_b32_e32 v63, 2, v63
	ds_load_b32 v63, v63
	s_wait_dscnt 0x0
	v_add_nc_u32_e32 v63, v63, v69
	global_store_b16 v63, v62, s[40:41] scale_offset
	s_wait_xcnt 0x0
	s_or_b32 exec_lo, exec_lo, s21
	v_cmp_lt_u32_e64 s21, v70, v141
	s_and_saveexec_b32 s22, s21
	s_cbranch_execz .LBB908_1122
.LBB908_1194:                           ;   in Loop: Header=BB908_1032 Depth=2
	ds_load_u16 v62, v94 offset:3072
	s_wait_dscnt 0x0
	v_and_b32_e32 v63, 0xffff, v62
	v_xor_b32_e32 v62, 0x7fff, v62
	s_delay_alu instid0(VALU_DEP_2) | instskip(NEXT) | instid1(VALU_DEP_1)
	v_lshrrev_b32_e32 v63, s49, v63
	v_and_b32_e32 v63, s48, v63
	s_delay_alu instid0(VALU_DEP_1)
	v_lshlrev_b32_e32 v63, 2, v63
	ds_load_b32 v63, v63
	s_wait_dscnt 0x0
	v_add_nc_u32_e32 v63, v63, v70
	global_store_b16 v63, v62, s[40:41] scale_offset
	s_wait_xcnt 0x0
	s_or_b32 exec_lo, exec_lo, s22
	v_cmp_lt_u32_e64 s22, v71, v141
	s_and_saveexec_b32 s23, s22
	s_cbranch_execz .LBB908_1123
.LBB908_1195:                           ;   in Loop: Header=BB908_1032 Depth=2
	ds_load_u16 v62, v94 offset:3584
	s_wait_dscnt 0x0
	v_and_b32_e32 v63, 0xffff, v62
	v_xor_b32_e32 v62, 0x7fff, v62
	s_delay_alu instid0(VALU_DEP_2) | instskip(NEXT) | instid1(VALU_DEP_1)
	v_lshrrev_b32_e32 v63, s49, v63
	v_and_b32_e32 v63, s48, v63
	s_delay_alu instid0(VALU_DEP_1)
	v_lshlrev_b32_e32 v63, 2, v63
	ds_load_b32 v63, v63
	s_wait_dscnt 0x0
	v_add_nc_u32_e32 v63, v63, v71
	global_store_b16 v63, v62, s[40:41] scale_offset
	s_wait_xcnt 0x0
	s_or_b32 exec_lo, exec_lo, s23
	v_cmp_lt_u32_e64 s23, v72, v141
	s_and_saveexec_b32 s24, s23
	s_cbranch_execz .LBB908_1124
.LBB908_1196:                           ;   in Loop: Header=BB908_1032 Depth=2
	ds_load_u16 v62, v94 offset:4096
	s_wait_dscnt 0x0
	v_and_b32_e32 v63, 0xffff, v62
	v_xor_b32_e32 v62, 0x7fff, v62
	s_delay_alu instid0(VALU_DEP_2) | instskip(NEXT) | instid1(VALU_DEP_1)
	v_lshrrev_b32_e32 v63, s49, v63
	v_and_b32_e32 v63, s48, v63
	s_delay_alu instid0(VALU_DEP_1)
	v_lshlrev_b32_e32 v63, 2, v63
	ds_load_b32 v63, v63
	s_wait_dscnt 0x0
	v_add_nc_u32_e32 v63, v63, v72
	global_store_b16 v63, v62, s[40:41] scale_offset
	s_wait_xcnt 0x0
	s_or_b32 exec_lo, exec_lo, s24
	v_cmp_lt_u32_e64 s24, v73, v141
	s_and_saveexec_b32 s25, s24
	s_cbranch_execz .LBB908_1125
.LBB908_1197:                           ;   in Loop: Header=BB908_1032 Depth=2
	ds_load_u16 v62, v94 offset:4608
	s_wait_dscnt 0x0
	v_and_b32_e32 v63, 0xffff, v62
	v_xor_b32_e32 v62, 0x7fff, v62
	s_delay_alu instid0(VALU_DEP_2) | instskip(NEXT) | instid1(VALU_DEP_1)
	v_lshrrev_b32_e32 v63, s49, v63
	v_and_b32_e32 v63, s48, v63
	s_delay_alu instid0(VALU_DEP_1)
	v_lshlrev_b32_e32 v63, 2, v63
	ds_load_b32 v63, v63
	s_wait_dscnt 0x0
	v_add_nc_u32_e32 v63, v63, v73
	global_store_b16 v63, v62, s[40:41] scale_offset
	s_wait_xcnt 0x0
	s_or_b32 exec_lo, exec_lo, s25
	v_cmp_lt_u32_e64 s25, v74, v141
	s_and_saveexec_b32 s26, s25
	s_cbranch_execz .LBB908_1126
.LBB908_1198:                           ;   in Loop: Header=BB908_1032 Depth=2
	ds_load_u16 v62, v94 offset:5120
	s_wait_dscnt 0x0
	v_and_b32_e32 v63, 0xffff, v62
	v_xor_b32_e32 v62, 0x7fff, v62
	s_delay_alu instid0(VALU_DEP_2) | instskip(NEXT) | instid1(VALU_DEP_1)
	v_lshrrev_b32_e32 v63, s49, v63
	v_and_b32_e32 v63, s48, v63
	s_delay_alu instid0(VALU_DEP_1)
	v_lshlrev_b32_e32 v63, 2, v63
	ds_load_b32 v63, v63
	s_wait_dscnt 0x0
	v_add_nc_u32_e32 v63, v63, v74
	global_store_b16 v63, v62, s[40:41] scale_offset
	s_wait_xcnt 0x0
	s_or_b32 exec_lo, exec_lo, s26
	v_cmp_lt_u32_e64 s26, v75, v141
	s_and_saveexec_b32 s27, s26
	s_cbranch_execz .LBB908_1127
.LBB908_1199:                           ;   in Loop: Header=BB908_1032 Depth=2
	ds_load_u16 v62, v94 offset:5632
	s_wait_dscnt 0x0
	v_and_b32_e32 v63, 0xffff, v62
	v_xor_b32_e32 v62, 0x7fff, v62
	s_delay_alu instid0(VALU_DEP_2) | instskip(NEXT) | instid1(VALU_DEP_1)
	v_lshrrev_b32_e32 v63, s49, v63
	v_and_b32_e32 v63, s48, v63
	s_delay_alu instid0(VALU_DEP_1)
	v_lshlrev_b32_e32 v63, 2, v63
	ds_load_b32 v63, v63
	s_wait_dscnt 0x0
	v_add_nc_u32_e32 v63, v63, v75
	global_store_b16 v63, v62, s[40:41] scale_offset
	s_wait_xcnt 0x0
	s_or_b32 exec_lo, exec_lo, s27
	v_cmp_lt_u32_e64 s27, v76, v141
	s_and_saveexec_b32 s28, s27
	s_cbranch_execz .LBB908_1128
.LBB908_1200:                           ;   in Loop: Header=BB908_1032 Depth=2
	ds_load_u16 v62, v94 offset:6144
	s_wait_dscnt 0x0
	v_and_b32_e32 v63, 0xffff, v62
	v_xor_b32_e32 v62, 0x7fff, v62
	s_delay_alu instid0(VALU_DEP_2) | instskip(NEXT) | instid1(VALU_DEP_1)
	v_lshrrev_b32_e32 v63, s49, v63
	v_and_b32_e32 v63, s48, v63
	s_delay_alu instid0(VALU_DEP_1)
	v_lshlrev_b32_e32 v63, 2, v63
	ds_load_b32 v63, v63
	s_wait_dscnt 0x0
	v_add_nc_u32_e32 v63, v63, v76
	global_store_b16 v63, v62, s[40:41] scale_offset
	s_wait_xcnt 0x0
	s_or_b32 exec_lo, exec_lo, s28
	v_cmp_lt_u32_e64 s28, v77, v141
	s_and_saveexec_b32 s29, s28
	s_cbranch_execz .LBB908_1129
.LBB908_1201:                           ;   in Loop: Header=BB908_1032 Depth=2
	ds_load_u16 v62, v94 offset:6656
	s_wait_dscnt 0x0
	v_and_b32_e32 v63, 0xffff, v62
	v_xor_b32_e32 v62, 0x7fff, v62
	s_delay_alu instid0(VALU_DEP_2) | instskip(NEXT) | instid1(VALU_DEP_1)
	v_lshrrev_b32_e32 v63, s49, v63
	v_and_b32_e32 v63, s48, v63
	s_delay_alu instid0(VALU_DEP_1)
	v_lshlrev_b32_e32 v63, 2, v63
	ds_load_b32 v63, v63
	s_wait_dscnt 0x0
	v_add_nc_u32_e32 v63, v63, v77
	global_store_b16 v63, v62, s[40:41] scale_offset
	s_wait_xcnt 0x0
	s_or_b32 exec_lo, exec_lo, s29
	v_cmp_lt_u32_e64 s29, v78, v141
	s_and_saveexec_b32 s30, s29
	s_cbranch_execz .LBB908_1130
.LBB908_1202:                           ;   in Loop: Header=BB908_1032 Depth=2
	ds_load_u16 v62, v94 offset:7168
	s_wait_dscnt 0x0
	v_and_b32_e32 v63, 0xffff, v62
	v_xor_b32_e32 v62, 0x7fff, v62
	s_delay_alu instid0(VALU_DEP_2) | instskip(NEXT) | instid1(VALU_DEP_1)
	v_lshrrev_b32_e32 v63, s49, v63
	v_and_b32_e32 v63, s48, v63
	s_delay_alu instid0(VALU_DEP_1)
	v_lshlrev_b32_e32 v63, 2, v63
	ds_load_b32 v63, v63
	s_wait_dscnt 0x0
	v_add_nc_u32_e32 v63, v63, v78
	global_store_b16 v63, v62, s[40:41] scale_offset
	s_wait_xcnt 0x0
	s_or_b32 exec_lo, exec_lo, s30
	v_cmp_lt_u32_e64 s30, v79, v141
	s_and_saveexec_b32 s31, s30
	s_cbranch_execz .LBB908_1131
.LBB908_1203:                           ;   in Loop: Header=BB908_1032 Depth=2
	ds_load_u16 v62, v94 offset:7680
	s_wait_dscnt 0x0
	v_and_b32_e32 v63, 0xffff, v62
	v_xor_b32_e32 v62, 0x7fff, v62
	s_delay_alu instid0(VALU_DEP_2) | instskip(NEXT) | instid1(VALU_DEP_1)
	v_lshrrev_b32_e32 v63, s49, v63
	v_and_b32_e32 v63, s48, v63
	s_delay_alu instid0(VALU_DEP_1)
	v_lshlrev_b32_e32 v63, 2, v63
	ds_load_b32 v63, v63
	s_wait_dscnt 0x0
	v_add_nc_u32_e32 v63, v63, v79
	global_store_b16 v63, v62, s[40:41] scale_offset
	s_wait_xcnt 0x0
	s_or_b32 exec_lo, exec_lo, s31
	v_cmp_lt_u32_e64 s31, v80, v141
	s_and_saveexec_b32 s33, s31
	s_cbranch_execz .LBB908_1132
.LBB908_1204:                           ;   in Loop: Header=BB908_1032 Depth=2
	ds_load_u16 v62, v94 offset:8192
	s_wait_dscnt 0x0
	v_and_b32_e32 v63, 0xffff, v62
	v_xor_b32_e32 v62, 0x7fff, v62
	s_delay_alu instid0(VALU_DEP_2) | instskip(NEXT) | instid1(VALU_DEP_1)
	v_lshrrev_b32_e32 v63, s49, v63
	v_and_b32_e32 v63, s48, v63
	s_delay_alu instid0(VALU_DEP_1)
	v_lshlrev_b32_e32 v63, 2, v63
	ds_load_b32 v63, v63
	s_wait_dscnt 0x0
	v_add_nc_u32_e32 v63, v63, v80
	global_store_b16 v63, v62, s[40:41] scale_offset
	s_wait_xcnt 0x0
	s_or_b32 exec_lo, exec_lo, s33
	v_cmp_lt_u32_e64 s33, v81, v141
	s_and_saveexec_b32 s60, s33
	s_cbranch_execnz .LBB908_1133
	s_branch .LBB908_1134
.LBB908_1205:                           ;   in Loop: Header=BB908_1032 Depth=2
	global_load_b64 v[60:61], v[62:63], off
	s_wait_xcnt 0x0
	s_or_b32 exec_lo, exec_lo, s34
	s_delay_alu instid0(SALU_CYCLE_1)
	s_mov_b32 s60, exec_lo
	v_cmpx_lt_u32_e64 v105, v141
	s_cbranch_execz .LBB908_1136
.LBB908_1206:                           ;   in Loop: Header=BB908_1032 Depth=2
	global_load_b64 v[58:59], v[62:63], off offset:256
	s_wait_xcnt 0x0
	s_or_b32 exec_lo, exec_lo, s60
	s_delay_alu instid0(SALU_CYCLE_1)
	s_mov_b32 s60, exec_lo
	v_cmpx_lt_u32_e64 v106, v141
	s_cbranch_execz .LBB908_1137
.LBB908_1207:                           ;   in Loop: Header=BB908_1032 Depth=2
	global_load_b64 v[56:57], v[62:63], off offset:512
	s_wait_xcnt 0x0
	s_or_b32 exec_lo, exec_lo, s60
	s_delay_alu instid0(SALU_CYCLE_1)
	s_mov_b32 s60, exec_lo
	v_cmpx_lt_u32_e64 v107, v141
	s_cbranch_execz .LBB908_1138
.LBB908_1208:                           ;   in Loop: Header=BB908_1032 Depth=2
	global_load_b64 v[54:55], v[62:63], off offset:768
	s_wait_xcnt 0x0
	s_or_b32 exec_lo, exec_lo, s60
	s_delay_alu instid0(SALU_CYCLE_1)
	s_mov_b32 s60, exec_lo
	v_cmpx_lt_u32_e64 v108, v141
	s_cbranch_execz .LBB908_1139
.LBB908_1209:                           ;   in Loop: Header=BB908_1032 Depth=2
	global_load_b64 v[52:53], v[62:63], off offset:1024
	s_wait_xcnt 0x0
	s_or_b32 exec_lo, exec_lo, s60
	s_delay_alu instid0(SALU_CYCLE_1)
	s_mov_b32 s60, exec_lo
	v_cmpx_lt_u32_e64 v109, v141
	s_cbranch_execz .LBB908_1140
.LBB908_1210:                           ;   in Loop: Header=BB908_1032 Depth=2
	global_load_b64 v[50:51], v[62:63], off offset:1280
	s_wait_xcnt 0x0
	s_or_b32 exec_lo, exec_lo, s60
	s_delay_alu instid0(SALU_CYCLE_1)
	s_mov_b32 s60, exec_lo
	v_cmpx_lt_u32_e64 v110, v141
	s_cbranch_execz .LBB908_1141
.LBB908_1211:                           ;   in Loop: Header=BB908_1032 Depth=2
	global_load_b64 v[48:49], v[62:63], off offset:1536
	s_wait_xcnt 0x0
	s_or_b32 exec_lo, exec_lo, s60
	s_delay_alu instid0(SALU_CYCLE_1)
	s_mov_b32 s60, exec_lo
	v_cmpx_lt_u32_e64 v111, v141
	s_cbranch_execz .LBB908_1142
.LBB908_1212:                           ;   in Loop: Header=BB908_1032 Depth=2
	global_load_b64 v[46:47], v[62:63], off offset:1792
	s_wait_xcnt 0x0
	s_or_b32 exec_lo, exec_lo, s60
	s_delay_alu instid0(SALU_CYCLE_1)
	s_mov_b32 s60, exec_lo
	v_cmpx_lt_u32_e64 v112, v141
	s_cbranch_execz .LBB908_1143
.LBB908_1213:                           ;   in Loop: Header=BB908_1032 Depth=2
	global_load_b64 v[44:45], v[62:63], off offset:2048
	s_wait_xcnt 0x0
	s_or_b32 exec_lo, exec_lo, s60
	s_delay_alu instid0(SALU_CYCLE_1)
	s_mov_b32 s60, exec_lo
	v_cmpx_lt_u32_e64 v113, v141
	s_cbranch_execz .LBB908_1144
.LBB908_1214:                           ;   in Loop: Header=BB908_1032 Depth=2
	global_load_b64 v[42:43], v[62:63], off offset:2304
	s_wait_xcnt 0x0
	s_or_b32 exec_lo, exec_lo, s60
	s_delay_alu instid0(SALU_CYCLE_1)
	s_mov_b32 s60, exec_lo
	v_cmpx_lt_u32_e64 v114, v141
	s_cbranch_execz .LBB908_1145
.LBB908_1215:                           ;   in Loop: Header=BB908_1032 Depth=2
	global_load_b64 v[40:41], v[62:63], off offset:2560
	s_wait_xcnt 0x0
	s_or_b32 exec_lo, exec_lo, s60
	s_delay_alu instid0(SALU_CYCLE_1)
	s_mov_b32 s60, exec_lo
	v_cmpx_lt_u32_e64 v115, v141
	s_cbranch_execz .LBB908_1146
.LBB908_1216:                           ;   in Loop: Header=BB908_1032 Depth=2
	global_load_b64 v[38:39], v[62:63], off offset:2816
	s_wait_xcnt 0x0
	s_or_b32 exec_lo, exec_lo, s60
	s_delay_alu instid0(SALU_CYCLE_1)
	s_mov_b32 s60, exec_lo
	v_cmpx_lt_u32_e64 v116, v141
	s_cbranch_execz .LBB908_1147
.LBB908_1217:                           ;   in Loop: Header=BB908_1032 Depth=2
	global_load_b64 v[36:37], v[62:63], off offset:3072
	s_wait_xcnt 0x0
	s_or_b32 exec_lo, exec_lo, s60
	s_delay_alu instid0(SALU_CYCLE_1)
	s_mov_b32 s60, exec_lo
	v_cmpx_lt_u32_e64 v117, v141
	s_cbranch_execz .LBB908_1148
.LBB908_1218:                           ;   in Loop: Header=BB908_1032 Depth=2
	global_load_b64 v[34:35], v[62:63], off offset:3328
	s_wait_xcnt 0x0
	s_or_b32 exec_lo, exec_lo, s60
	s_delay_alu instid0(SALU_CYCLE_1)
	s_mov_b32 s60, exec_lo
	v_cmpx_lt_u32_e64 v118, v141
	s_cbranch_execz .LBB908_1149
.LBB908_1219:                           ;   in Loop: Header=BB908_1032 Depth=2
	global_load_b64 v[32:33], v[62:63], off offset:3584
	s_wait_xcnt 0x0
	s_or_b32 exec_lo, exec_lo, s60
	s_delay_alu instid0(SALU_CYCLE_1)
	s_mov_b32 s60, exec_lo
	v_cmpx_lt_u32_e64 v119, v141
	s_cbranch_execz .LBB908_1150
.LBB908_1220:                           ;   in Loop: Header=BB908_1032 Depth=2
	global_load_b64 v[30:31], v[62:63], off offset:3840
	s_wait_xcnt 0x0
	s_or_b32 exec_lo, exec_lo, s60
	s_delay_alu instid0(SALU_CYCLE_1)
	s_mov_b32 s60, exec_lo
	v_cmpx_lt_u32_e64 v120, v141
	s_cbranch_execz .LBB908_1151
.LBB908_1221:                           ;   in Loop: Header=BB908_1032 Depth=2
	global_load_b64 v[28:29], v[62:63], off offset:4096
	s_wait_xcnt 0x0
	s_or_b32 exec_lo, exec_lo, s60
	s_and_saveexec_b32 s34, vcc_lo
	s_cbranch_execz .LBB908_1152
.LBB908_1222:                           ;   in Loop: Header=BB908_1032 Depth=2
	ds_load_u16 v62, v94 offset:512
	s_wait_dscnt 0x0
	v_lshrrev_b32_e32 v62, s49, v62
	s_delay_alu instid0(VALU_DEP_1)
	v_and_b32_e32 v139, s48, v62
	s_or_b32 exec_lo, exec_lo, s34
	s_and_saveexec_b32 s34, s17
	s_cbranch_execz .LBB908_1153
.LBB908_1223:                           ;   in Loop: Header=BB908_1032 Depth=2
	ds_load_u16 v62, v94 offset:1024
	s_wait_dscnt 0x0
	v_lshrrev_b32_e32 v62, s49, v62
	s_delay_alu instid0(VALU_DEP_1)
	v_and_b32_e32 v138, s48, v62
	s_or_b32 exec_lo, exec_lo, s34
	s_and_saveexec_b32 s34, s18
	s_cbranch_execz .LBB908_1154
.LBB908_1224:                           ;   in Loop: Header=BB908_1032 Depth=2
	ds_load_u16 v62, v94 offset:1536
	s_wait_dscnt 0x0
	v_lshrrev_b32_e32 v62, s49, v62
	s_delay_alu instid0(VALU_DEP_1)
	v_and_b32_e32 v136, s48, v62
	s_or_b32 exec_lo, exec_lo, s34
	s_and_saveexec_b32 s34, s19
	s_cbranch_execz .LBB908_1155
.LBB908_1225:                           ;   in Loop: Header=BB908_1032 Depth=2
	ds_load_u16 v62, v94 offset:2048
	s_wait_dscnt 0x0
	v_lshrrev_b32_e32 v62, s49, v62
	s_delay_alu instid0(VALU_DEP_1)
	v_and_b32_e32 v135, s48, v62
	s_or_b32 exec_lo, exec_lo, s34
	s_and_saveexec_b32 s34, s20
	s_cbranch_execz .LBB908_1156
.LBB908_1226:                           ;   in Loop: Header=BB908_1032 Depth=2
	ds_load_u16 v62, v94 offset:2560
	s_wait_dscnt 0x0
	v_lshrrev_b32_e32 v62, s49, v62
	s_delay_alu instid0(VALU_DEP_1)
	v_and_b32_e32 v134, s48, v62
	s_or_b32 exec_lo, exec_lo, s34
	s_and_saveexec_b32 s34, s21
	s_cbranch_execz .LBB908_1157
.LBB908_1227:                           ;   in Loop: Header=BB908_1032 Depth=2
	ds_load_u16 v62, v94 offset:3072
	s_wait_dscnt 0x0
	v_lshrrev_b32_e32 v62, s49, v62
	s_delay_alu instid0(VALU_DEP_1)
	v_and_b32_e32 v133, s48, v62
	s_or_b32 exec_lo, exec_lo, s34
	s_and_saveexec_b32 s34, s22
	s_cbranch_execz .LBB908_1158
.LBB908_1228:                           ;   in Loop: Header=BB908_1032 Depth=2
	ds_load_u16 v62, v94 offset:3584
	s_wait_dscnt 0x0
	v_lshrrev_b32_e32 v62, s49, v62
	s_delay_alu instid0(VALU_DEP_1)
	v_and_b32_e32 v132, s48, v62
	s_or_b32 exec_lo, exec_lo, s34
	s_and_saveexec_b32 s34, s23
	s_cbranch_execz .LBB908_1159
.LBB908_1229:                           ;   in Loop: Header=BB908_1032 Depth=2
	ds_load_u16 v62, v94 offset:4096
	s_wait_dscnt 0x0
	v_lshrrev_b32_e32 v62, s49, v62
	s_delay_alu instid0(VALU_DEP_1)
	v_and_b32_e32 v131, s48, v62
	s_or_b32 exec_lo, exec_lo, s34
	s_and_saveexec_b32 s34, s24
	s_cbranch_execz .LBB908_1160
.LBB908_1230:                           ;   in Loop: Header=BB908_1032 Depth=2
	ds_load_u16 v62, v94 offset:4608
	s_wait_dscnt 0x0
	v_lshrrev_b32_e32 v62, s49, v62
	s_delay_alu instid0(VALU_DEP_1)
	v_and_b32_e32 v130, s48, v62
	s_or_b32 exec_lo, exec_lo, s34
	s_and_saveexec_b32 s34, s25
	s_cbranch_execz .LBB908_1161
.LBB908_1231:                           ;   in Loop: Header=BB908_1032 Depth=2
	ds_load_u16 v62, v94 offset:5120
	s_wait_dscnt 0x0
	v_lshrrev_b32_e32 v62, s49, v62
	s_delay_alu instid0(VALU_DEP_1)
	v_and_b32_e32 v129, s48, v62
	s_or_b32 exec_lo, exec_lo, s34
	s_and_saveexec_b32 s34, s26
	s_cbranch_execz .LBB908_1162
.LBB908_1232:                           ;   in Loop: Header=BB908_1032 Depth=2
	ds_load_u16 v62, v94 offset:5632
	s_wait_dscnt 0x0
	v_lshrrev_b32_e32 v62, s49, v62
	s_delay_alu instid0(VALU_DEP_1)
	v_and_b32_e32 v128, s48, v62
	s_or_b32 exec_lo, exec_lo, s34
	s_and_saveexec_b32 s34, s27
	s_cbranch_execz .LBB908_1163
.LBB908_1233:                           ;   in Loop: Header=BB908_1032 Depth=2
	ds_load_u16 v62, v94 offset:6144
	s_wait_dscnt 0x0
	v_lshrrev_b32_e32 v62, s49, v62
	s_delay_alu instid0(VALU_DEP_1)
	v_and_b32_e32 v127, s48, v62
	s_or_b32 exec_lo, exec_lo, s34
	s_and_saveexec_b32 s34, s28
	s_cbranch_execz .LBB908_1164
.LBB908_1234:                           ;   in Loop: Header=BB908_1032 Depth=2
	ds_load_u16 v62, v94 offset:6656
	s_wait_dscnt 0x0
	v_lshrrev_b32_e32 v62, s49, v62
	s_delay_alu instid0(VALU_DEP_1)
	v_and_b32_e32 v126, s48, v62
	s_or_b32 exec_lo, exec_lo, s34
	s_and_saveexec_b32 s34, s29
	s_cbranch_execz .LBB908_1165
.LBB908_1235:                           ;   in Loop: Header=BB908_1032 Depth=2
	ds_load_u16 v62, v94 offset:7168
	s_wait_dscnt 0x0
	v_lshrrev_b32_e32 v62, s49, v62
	s_delay_alu instid0(VALU_DEP_1)
	v_and_b32_e32 v125, s48, v62
	s_or_b32 exec_lo, exec_lo, s34
	s_and_saveexec_b32 s34, s30
	s_cbranch_execz .LBB908_1166
.LBB908_1236:                           ;   in Loop: Header=BB908_1032 Depth=2
	ds_load_u16 v62, v94 offset:7680
	s_wait_dscnt 0x0
	v_lshrrev_b32_e32 v62, s49, v62
	s_delay_alu instid0(VALU_DEP_1)
	v_and_b32_e32 v124, s48, v62
	s_or_b32 exec_lo, exec_lo, s34
	s_and_saveexec_b32 s34, s31
	s_cbranch_execz .LBB908_1167
.LBB908_1237:                           ;   in Loop: Header=BB908_1032 Depth=2
	ds_load_u16 v62, v94 offset:8192
	s_wait_dscnt 0x0
	v_lshrrev_b32_e32 v62, s49, v62
	s_delay_alu instid0(VALU_DEP_1)
	v_and_b32_e32 v123, s48, v62
	s_or_b32 exec_lo, exec_lo, s34
	s_and_saveexec_b32 s34, s33
	s_cbranch_execnz .LBB908_1168
	s_branch .LBB908_1169
.LBB908_1238:                           ;   in Loop: Header=BB908_1032 Depth=2
	v_lshlrev_b32_e32 v63, 2, v139
	ds_load_b32 v63, v63
	ds_load_b64 v[64:65], v62 offset:512
	s_wait_dscnt 0x1
	v_add_nc_u32_e32 v63, v63, v2
	s_wait_dscnt 0x0
	global_store_b64 v63, v[64:65], s[46:47] scale_offset
	s_wait_xcnt 0x0
	s_or_b32 exec_lo, exec_lo, s34
	s_and_saveexec_b32 s34, s17
	s_cbranch_execz .LBB908_1171
.LBB908_1239:                           ;   in Loop: Header=BB908_1032 Depth=2
	v_lshlrev_b32_e32 v63, 2, v138
	ds_load_b32 v63, v63
	ds_load_b64 v[64:65], v62 offset:2560
	s_wait_dscnt 0x1
	v_add_nc_u32_e32 v63, v63, v66
	s_wait_dscnt 0x0
	global_store_b64 v63, v[64:65], s[46:47] scale_offset
	s_wait_xcnt 0x0
	s_or_b32 exec_lo, exec_lo, s34
	s_and_saveexec_b32 s17, s18
	s_cbranch_execz .LBB908_1172
.LBB908_1240:                           ;   in Loop: Header=BB908_1032 Depth=2
	v_lshlrev_b32_e32 v63, 2, v136
	ds_load_b32 v63, v63
	ds_load_b64 v[64:65], v62 offset:4608
	s_wait_dscnt 0x1
	v_add_nc_u32_e32 v63, v63, v67
	s_wait_dscnt 0x0
	global_store_b64 v63, v[64:65], s[46:47] scale_offset
	s_wait_xcnt 0x0
	s_or_b32 exec_lo, exec_lo, s17
	s_and_saveexec_b32 s17, s19
	s_cbranch_execz .LBB908_1173
.LBB908_1241:                           ;   in Loop: Header=BB908_1032 Depth=2
	v_lshlrev_b32_e32 v63, 2, v135
	ds_load_b32 v63, v63
	ds_load_b64 v[64:65], v62 offset:6656
	s_wait_dscnt 0x1
	v_add_nc_u32_e32 v63, v63, v68
	s_wait_dscnt 0x0
	global_store_b64 v63, v[64:65], s[46:47] scale_offset
	s_wait_xcnt 0x0
	s_or_b32 exec_lo, exec_lo, s17
	s_and_saveexec_b32 s17, s20
	s_cbranch_execz .LBB908_1174
.LBB908_1242:                           ;   in Loop: Header=BB908_1032 Depth=2
	v_lshlrev_b32_e32 v63, 2, v134
	ds_load_b32 v63, v63
	ds_load_b64 v[64:65], v62 offset:8704
	s_wait_dscnt 0x1
	v_add_nc_u32_e32 v63, v63, v69
	s_wait_dscnt 0x0
	global_store_b64 v63, v[64:65], s[46:47] scale_offset
	s_wait_xcnt 0x0
	s_or_b32 exec_lo, exec_lo, s17
	s_and_saveexec_b32 s17, s21
	s_cbranch_execz .LBB908_1175
.LBB908_1243:                           ;   in Loop: Header=BB908_1032 Depth=2
	v_lshlrev_b32_e32 v63, 2, v133
	ds_load_b32 v63, v63
	ds_load_b64 v[64:65], v62 offset:10752
	s_wait_dscnt 0x1
	v_add_nc_u32_e32 v63, v63, v70
	s_wait_dscnt 0x0
	global_store_b64 v63, v[64:65], s[46:47] scale_offset
	s_wait_xcnt 0x0
	s_or_b32 exec_lo, exec_lo, s17
	s_and_saveexec_b32 s17, s22
	s_cbranch_execz .LBB908_1176
.LBB908_1244:                           ;   in Loop: Header=BB908_1032 Depth=2
	v_lshlrev_b32_e32 v63, 2, v132
	ds_load_b32 v63, v63
	ds_load_b64 v[64:65], v62 offset:12800
	s_wait_dscnt 0x1
	v_add_nc_u32_e32 v63, v63, v71
	s_wait_dscnt 0x0
	global_store_b64 v63, v[64:65], s[46:47] scale_offset
	s_wait_xcnt 0x0
	s_or_b32 exec_lo, exec_lo, s17
	s_and_saveexec_b32 s17, s23
	s_cbranch_execz .LBB908_1177
.LBB908_1245:                           ;   in Loop: Header=BB908_1032 Depth=2
	v_lshlrev_b32_e32 v63, 2, v131
	ds_load_b32 v63, v63
	ds_load_b64 v[64:65], v62 offset:14848
	s_wait_dscnt 0x1
	v_add_nc_u32_e32 v63, v63, v72
	s_wait_dscnt 0x0
	global_store_b64 v63, v[64:65], s[46:47] scale_offset
	s_wait_xcnt 0x0
	s_or_b32 exec_lo, exec_lo, s17
	s_and_saveexec_b32 s17, s24
	s_cbranch_execz .LBB908_1178
.LBB908_1246:                           ;   in Loop: Header=BB908_1032 Depth=2
	v_lshlrev_b32_e32 v63, 2, v130
	ds_load_b32 v63, v63
	ds_load_b64 v[64:65], v62 offset:16896
	s_wait_dscnt 0x1
	v_add_nc_u32_e32 v63, v63, v73
	s_wait_dscnt 0x0
	global_store_b64 v63, v[64:65], s[46:47] scale_offset
	s_wait_xcnt 0x0
	s_or_b32 exec_lo, exec_lo, s17
	s_and_saveexec_b32 s17, s25
	s_cbranch_execz .LBB908_1179
.LBB908_1247:                           ;   in Loop: Header=BB908_1032 Depth=2
	v_lshlrev_b32_e32 v63, 2, v129
	ds_load_b32 v63, v63
	ds_load_b64 v[64:65], v62 offset:18944
	s_wait_dscnt 0x1
	v_add_nc_u32_e32 v63, v63, v74
	s_wait_dscnt 0x0
	global_store_b64 v63, v[64:65], s[46:47] scale_offset
	s_wait_xcnt 0x0
	s_or_b32 exec_lo, exec_lo, s17
	s_and_saveexec_b32 s17, s26
	s_cbranch_execz .LBB908_1180
.LBB908_1248:                           ;   in Loop: Header=BB908_1032 Depth=2
	v_lshlrev_b32_e32 v63, 2, v128
	ds_load_b32 v63, v63
	ds_load_b64 v[64:65], v62 offset:20992
	s_wait_dscnt 0x1
	v_add_nc_u32_e32 v63, v63, v75
	s_wait_dscnt 0x0
	global_store_b64 v63, v[64:65], s[46:47] scale_offset
	s_wait_xcnt 0x0
	s_or_b32 exec_lo, exec_lo, s17
	s_and_saveexec_b32 s17, s27
	s_cbranch_execz .LBB908_1181
.LBB908_1249:                           ;   in Loop: Header=BB908_1032 Depth=2
	v_lshlrev_b32_e32 v63, 2, v127
	ds_load_b32 v63, v63
	ds_load_b64 v[64:65], v62 offset:23040
	s_wait_dscnt 0x1
	v_add_nc_u32_e32 v63, v63, v76
	s_wait_dscnt 0x0
	global_store_b64 v63, v[64:65], s[46:47] scale_offset
	s_wait_xcnt 0x0
	s_or_b32 exec_lo, exec_lo, s17
	s_and_saveexec_b32 s17, s28
	s_cbranch_execz .LBB908_1182
.LBB908_1250:                           ;   in Loop: Header=BB908_1032 Depth=2
	v_lshlrev_b32_e32 v63, 2, v126
	ds_load_b32 v63, v63
	ds_load_b64 v[64:65], v62 offset:25088
	s_wait_dscnt 0x1
	v_add_nc_u32_e32 v63, v63, v77
	s_wait_dscnt 0x0
	global_store_b64 v63, v[64:65], s[46:47] scale_offset
	s_wait_xcnt 0x0
	s_or_b32 exec_lo, exec_lo, s17
	s_and_saveexec_b32 s17, s29
	s_cbranch_execz .LBB908_1183
.LBB908_1251:                           ;   in Loop: Header=BB908_1032 Depth=2
	v_lshlrev_b32_e32 v63, 2, v125
	ds_load_b32 v63, v63
	ds_load_b64 v[64:65], v62 offset:27136
	s_wait_dscnt 0x1
	v_add_nc_u32_e32 v63, v63, v78
	s_wait_dscnt 0x0
	global_store_b64 v63, v[64:65], s[46:47] scale_offset
	s_wait_xcnt 0x0
	s_or_b32 exec_lo, exec_lo, s17
	s_and_saveexec_b32 s17, s30
	s_cbranch_execz .LBB908_1184
.LBB908_1252:                           ;   in Loop: Header=BB908_1032 Depth=2
	v_lshlrev_b32_e32 v63, 2, v124
	ds_load_b32 v63, v63
	ds_load_b64 v[64:65], v62 offset:29184
	s_wait_dscnt 0x1
	v_add_nc_u32_e32 v63, v63, v79
	s_wait_dscnt 0x0
	global_store_b64 v63, v[64:65], s[46:47] scale_offset
	s_wait_xcnt 0x0
	s_or_b32 exec_lo, exec_lo, s17
	s_and_saveexec_b32 s17, s31
	s_cbranch_execz .LBB908_1185
.LBB908_1253:                           ;   in Loop: Header=BB908_1032 Depth=2
	v_lshlrev_b32_e32 v63, 2, v123
	ds_load_b32 v63, v63
	ds_load_b64 v[64:65], v62 offset:31232
	s_wait_dscnt 0x1
	v_add_nc_u32_e32 v63, v63, v80
	s_wait_dscnt 0x0
	global_store_b64 v63, v[64:65], s[46:47] scale_offset
	s_wait_xcnt 0x0
	s_or_b32 exec_lo, exec_lo, s17
	s_and_saveexec_b32 s17, s33
	s_cbranch_execnz .LBB908_1186
	s_branch .LBB908_1187
.LBB908_1254:
	s_endpgm
	.section	.rodata,"a",@progbits
	.p2align	6, 0x0
	.amdhsa_kernel _ZN7rocprim17ROCPRIM_400000_NS6detail17trampoline_kernelINS0_14default_configENS1_36segmented_radix_sort_config_selectorIslEEZNS1_25segmented_radix_sort_implIS3_Lb1EPKsPsPKlPlN2at6native12_GLOBAL__N_18offset_tEEE10hipError_tPvRmT1_PNSt15iterator_traitsISK_E10value_typeET2_T3_PNSL_ISQ_E10value_typeET4_jRbjT5_SW_jjP12ihipStream_tbEUlT_E_NS1_11comp_targetILNS1_3genE0ELNS1_11target_archE4294967295ELNS1_3gpuE0ELNS1_3repE0EEENS1_30default_config_static_selectorELNS0_4arch9wavefront6targetE0EEEvSK_
		.amdhsa_group_segment_fixed_size 35344
		.amdhsa_private_segment_fixed_size 0
		.amdhsa_kernarg_size 352
		.amdhsa_user_sgpr_count 4
		.amdhsa_user_sgpr_dispatch_ptr 0
		.amdhsa_user_sgpr_queue_ptr 1
		.amdhsa_user_sgpr_kernarg_segment_ptr 1
		.amdhsa_user_sgpr_dispatch_id 0
		.amdhsa_user_sgpr_kernarg_preload_length 0
		.amdhsa_user_sgpr_kernarg_preload_offset 0
		.amdhsa_user_sgpr_private_segment_size 0
		.amdhsa_wavefront_size32 1
		.amdhsa_uses_dynamic_stack 0
		.amdhsa_enable_private_segment 0
		.amdhsa_system_sgpr_workgroup_id_x 1
		.amdhsa_system_sgpr_workgroup_id_y 1
		.amdhsa_system_sgpr_workgroup_id_z 0
		.amdhsa_system_sgpr_workgroup_info 0
		.amdhsa_system_vgpr_workitem_id 2
		.amdhsa_next_free_vgpr 304
		.amdhsa_next_free_sgpr 61
		.amdhsa_named_barrier_count 0
		.amdhsa_reserve_vcc 1
		.amdhsa_float_round_mode_32 0
		.amdhsa_float_round_mode_16_64 0
		.amdhsa_float_denorm_mode_32 3
		.amdhsa_float_denorm_mode_16_64 3
		.amdhsa_fp16_overflow 0
		.amdhsa_memory_ordered 1
		.amdhsa_forward_progress 1
		.amdhsa_inst_pref_size 255
		.amdhsa_round_robin_scheduling 0
		.amdhsa_exception_fp_ieee_invalid_op 0
		.amdhsa_exception_fp_denorm_src 0
		.amdhsa_exception_fp_ieee_div_zero 0
		.amdhsa_exception_fp_ieee_overflow 0
		.amdhsa_exception_fp_ieee_underflow 0
		.amdhsa_exception_fp_ieee_inexact 0
		.amdhsa_exception_int_div_zero 0
	.end_amdhsa_kernel
	.section	.text._ZN7rocprim17ROCPRIM_400000_NS6detail17trampoline_kernelINS0_14default_configENS1_36segmented_radix_sort_config_selectorIslEEZNS1_25segmented_radix_sort_implIS3_Lb1EPKsPsPKlPlN2at6native12_GLOBAL__N_18offset_tEEE10hipError_tPvRmT1_PNSt15iterator_traitsISK_E10value_typeET2_T3_PNSL_ISQ_E10value_typeET4_jRbjT5_SW_jjP12ihipStream_tbEUlT_E_NS1_11comp_targetILNS1_3genE0ELNS1_11target_archE4294967295ELNS1_3gpuE0ELNS1_3repE0EEENS1_30default_config_static_selectorELNS0_4arch9wavefront6targetE0EEEvSK_,"axG",@progbits,_ZN7rocprim17ROCPRIM_400000_NS6detail17trampoline_kernelINS0_14default_configENS1_36segmented_radix_sort_config_selectorIslEEZNS1_25segmented_radix_sort_implIS3_Lb1EPKsPsPKlPlN2at6native12_GLOBAL__N_18offset_tEEE10hipError_tPvRmT1_PNSt15iterator_traitsISK_E10value_typeET2_T3_PNSL_ISQ_E10value_typeET4_jRbjT5_SW_jjP12ihipStream_tbEUlT_E_NS1_11comp_targetILNS1_3genE0ELNS1_11target_archE4294967295ELNS1_3gpuE0ELNS1_3repE0EEENS1_30default_config_static_selectorELNS0_4arch9wavefront6targetE0EEEvSK_,comdat
.Lfunc_end908:
	.size	_ZN7rocprim17ROCPRIM_400000_NS6detail17trampoline_kernelINS0_14default_configENS1_36segmented_radix_sort_config_selectorIslEEZNS1_25segmented_radix_sort_implIS3_Lb1EPKsPsPKlPlN2at6native12_GLOBAL__N_18offset_tEEE10hipError_tPvRmT1_PNSt15iterator_traitsISK_E10value_typeET2_T3_PNSL_ISQ_E10value_typeET4_jRbjT5_SW_jjP12ihipStream_tbEUlT_E_NS1_11comp_targetILNS1_3genE0ELNS1_11target_archE4294967295ELNS1_3gpuE0ELNS1_3repE0EEENS1_30default_config_static_selectorELNS0_4arch9wavefront6targetE0EEEvSK_, .Lfunc_end908-_ZN7rocprim17ROCPRIM_400000_NS6detail17trampoline_kernelINS0_14default_configENS1_36segmented_radix_sort_config_selectorIslEEZNS1_25segmented_radix_sort_implIS3_Lb1EPKsPsPKlPlN2at6native12_GLOBAL__N_18offset_tEEE10hipError_tPvRmT1_PNSt15iterator_traitsISK_E10value_typeET2_T3_PNSL_ISQ_E10value_typeET4_jRbjT5_SW_jjP12ihipStream_tbEUlT_E_NS1_11comp_targetILNS1_3genE0ELNS1_11target_archE4294967295ELNS1_3gpuE0ELNS1_3repE0EEENS1_30default_config_static_selectorELNS0_4arch9wavefront6targetE0EEEvSK_
                                        ; -- End function
	.set _ZN7rocprim17ROCPRIM_400000_NS6detail17trampoline_kernelINS0_14default_configENS1_36segmented_radix_sort_config_selectorIslEEZNS1_25segmented_radix_sort_implIS3_Lb1EPKsPsPKlPlN2at6native12_GLOBAL__N_18offset_tEEE10hipError_tPvRmT1_PNSt15iterator_traitsISK_E10value_typeET2_T3_PNSL_ISQ_E10value_typeET4_jRbjT5_SW_jjP12ihipStream_tbEUlT_E_NS1_11comp_targetILNS1_3genE0ELNS1_11target_archE4294967295ELNS1_3gpuE0ELNS1_3repE0EEENS1_30default_config_static_selectorELNS0_4arch9wavefront6targetE0EEEvSK_.num_vgpr, max(213, .L_ZN7rocprim17ROCPRIM_400000_NS6detail40segmented_radix_sort_single_block_helperIslLj256ELj17ELb1EE4sortIPKsPsPKlPlEEbT_T0_T1_T2_jjjjRNS3_12storage_typeE.num_vgpr)
	.set _ZN7rocprim17ROCPRIM_400000_NS6detail17trampoline_kernelINS0_14default_configENS1_36segmented_radix_sort_config_selectorIslEEZNS1_25segmented_radix_sort_implIS3_Lb1EPKsPsPKlPlN2at6native12_GLOBAL__N_18offset_tEEE10hipError_tPvRmT1_PNSt15iterator_traitsISK_E10value_typeET2_T3_PNSL_ISQ_E10value_typeET4_jRbjT5_SW_jjP12ihipStream_tbEUlT_E_NS1_11comp_targetILNS1_3genE0ELNS1_11target_archE4294967295ELNS1_3gpuE0ELNS1_3repE0EEENS1_30default_config_static_selectorELNS0_4arch9wavefront6targetE0EEEvSK_.num_agpr, max(0, .L_ZN7rocprim17ROCPRIM_400000_NS6detail40segmented_radix_sort_single_block_helperIslLj256ELj17ELb1EE4sortIPKsPsPKlPlEEbT_T0_T1_T2_jjjjRNS3_12storage_typeE.num_agpr)
	.set _ZN7rocprim17ROCPRIM_400000_NS6detail17trampoline_kernelINS0_14default_configENS1_36segmented_radix_sort_config_selectorIslEEZNS1_25segmented_radix_sort_implIS3_Lb1EPKsPsPKlPlN2at6native12_GLOBAL__N_18offset_tEEE10hipError_tPvRmT1_PNSt15iterator_traitsISK_E10value_typeET2_T3_PNSL_ISQ_E10value_typeET4_jRbjT5_SW_jjP12ihipStream_tbEUlT_E_NS1_11comp_targetILNS1_3genE0ELNS1_11target_archE4294967295ELNS1_3gpuE0ELNS1_3repE0EEENS1_30default_config_static_selectorELNS0_4arch9wavefront6targetE0EEEvSK_.numbered_sgpr, max(61, .L_ZN7rocprim17ROCPRIM_400000_NS6detail40segmented_radix_sort_single_block_helperIslLj256ELj17ELb1EE4sortIPKsPsPKlPlEEbT_T0_T1_T2_jjjjRNS3_12storage_typeE.numbered_sgpr)
	.set _ZN7rocprim17ROCPRIM_400000_NS6detail17trampoline_kernelINS0_14default_configENS1_36segmented_radix_sort_config_selectorIslEEZNS1_25segmented_radix_sort_implIS3_Lb1EPKsPsPKlPlN2at6native12_GLOBAL__N_18offset_tEEE10hipError_tPvRmT1_PNSt15iterator_traitsISK_E10value_typeET2_T3_PNSL_ISQ_E10value_typeET4_jRbjT5_SW_jjP12ihipStream_tbEUlT_E_NS1_11comp_targetILNS1_3genE0ELNS1_11target_archE4294967295ELNS1_3gpuE0ELNS1_3repE0EEENS1_30default_config_static_selectorELNS0_4arch9wavefront6targetE0EEEvSK_.num_named_barrier, max(0, .L_ZN7rocprim17ROCPRIM_400000_NS6detail40segmented_radix_sort_single_block_helperIslLj256ELj17ELb1EE4sortIPKsPsPKlPlEEbT_T0_T1_T2_jjjjRNS3_12storage_typeE.num_named_barrier)
	.set _ZN7rocprim17ROCPRIM_400000_NS6detail17trampoline_kernelINS0_14default_configENS1_36segmented_radix_sort_config_selectorIslEEZNS1_25segmented_radix_sort_implIS3_Lb1EPKsPsPKlPlN2at6native12_GLOBAL__N_18offset_tEEE10hipError_tPvRmT1_PNSt15iterator_traitsISK_E10value_typeET2_T3_PNSL_ISQ_E10value_typeET4_jRbjT5_SW_jjP12ihipStream_tbEUlT_E_NS1_11comp_targetILNS1_3genE0ELNS1_11target_archE4294967295ELNS1_3gpuE0ELNS1_3repE0EEENS1_30default_config_static_selectorELNS0_4arch9wavefront6targetE0EEEvSK_.private_seg_size, 0+max(.L_ZN7rocprim17ROCPRIM_400000_NS6detail40segmented_radix_sort_single_block_helperIslLj256ELj17ELb1EE4sortIPKsPsPKlPlEEbT_T0_T1_T2_jjjjRNS3_12storage_typeE.private_seg_size)
	.set _ZN7rocprim17ROCPRIM_400000_NS6detail17trampoline_kernelINS0_14default_configENS1_36segmented_radix_sort_config_selectorIslEEZNS1_25segmented_radix_sort_implIS3_Lb1EPKsPsPKlPlN2at6native12_GLOBAL__N_18offset_tEEE10hipError_tPvRmT1_PNSt15iterator_traitsISK_E10value_typeET2_T3_PNSL_ISQ_E10value_typeET4_jRbjT5_SW_jjP12ihipStream_tbEUlT_E_NS1_11comp_targetILNS1_3genE0ELNS1_11target_archE4294967295ELNS1_3gpuE0ELNS1_3repE0EEENS1_30default_config_static_selectorELNS0_4arch9wavefront6targetE0EEEvSK_.uses_vcc, or(1, .L_ZN7rocprim17ROCPRIM_400000_NS6detail40segmented_radix_sort_single_block_helperIslLj256ELj17ELb1EE4sortIPKsPsPKlPlEEbT_T0_T1_T2_jjjjRNS3_12storage_typeE.uses_vcc)
	.set _ZN7rocprim17ROCPRIM_400000_NS6detail17trampoline_kernelINS0_14default_configENS1_36segmented_radix_sort_config_selectorIslEEZNS1_25segmented_radix_sort_implIS3_Lb1EPKsPsPKlPlN2at6native12_GLOBAL__N_18offset_tEEE10hipError_tPvRmT1_PNSt15iterator_traitsISK_E10value_typeET2_T3_PNSL_ISQ_E10value_typeET4_jRbjT5_SW_jjP12ihipStream_tbEUlT_E_NS1_11comp_targetILNS1_3genE0ELNS1_11target_archE4294967295ELNS1_3gpuE0ELNS1_3repE0EEENS1_30default_config_static_selectorELNS0_4arch9wavefront6targetE0EEEvSK_.uses_flat_scratch, or(0, .L_ZN7rocprim17ROCPRIM_400000_NS6detail40segmented_radix_sort_single_block_helperIslLj256ELj17ELb1EE4sortIPKsPsPKlPlEEbT_T0_T1_T2_jjjjRNS3_12storage_typeE.uses_flat_scratch)
	.set _ZN7rocprim17ROCPRIM_400000_NS6detail17trampoline_kernelINS0_14default_configENS1_36segmented_radix_sort_config_selectorIslEEZNS1_25segmented_radix_sort_implIS3_Lb1EPKsPsPKlPlN2at6native12_GLOBAL__N_18offset_tEEE10hipError_tPvRmT1_PNSt15iterator_traitsISK_E10value_typeET2_T3_PNSL_ISQ_E10value_typeET4_jRbjT5_SW_jjP12ihipStream_tbEUlT_E_NS1_11comp_targetILNS1_3genE0ELNS1_11target_archE4294967295ELNS1_3gpuE0ELNS1_3repE0EEENS1_30default_config_static_selectorELNS0_4arch9wavefront6targetE0EEEvSK_.has_dyn_sized_stack, or(0, .L_ZN7rocprim17ROCPRIM_400000_NS6detail40segmented_radix_sort_single_block_helperIslLj256ELj17ELb1EE4sortIPKsPsPKlPlEEbT_T0_T1_T2_jjjjRNS3_12storage_typeE.has_dyn_sized_stack)
	.set _ZN7rocprim17ROCPRIM_400000_NS6detail17trampoline_kernelINS0_14default_configENS1_36segmented_radix_sort_config_selectorIslEEZNS1_25segmented_radix_sort_implIS3_Lb1EPKsPsPKlPlN2at6native12_GLOBAL__N_18offset_tEEE10hipError_tPvRmT1_PNSt15iterator_traitsISK_E10value_typeET2_T3_PNSL_ISQ_E10value_typeET4_jRbjT5_SW_jjP12ihipStream_tbEUlT_E_NS1_11comp_targetILNS1_3genE0ELNS1_11target_archE4294967295ELNS1_3gpuE0ELNS1_3repE0EEENS1_30default_config_static_selectorELNS0_4arch9wavefront6targetE0EEEvSK_.has_recursion, or(0, .L_ZN7rocprim17ROCPRIM_400000_NS6detail40segmented_radix_sort_single_block_helperIslLj256ELj17ELb1EE4sortIPKsPsPKlPlEEbT_T0_T1_T2_jjjjRNS3_12storage_typeE.has_recursion)
	.set _ZN7rocprim17ROCPRIM_400000_NS6detail17trampoline_kernelINS0_14default_configENS1_36segmented_radix_sort_config_selectorIslEEZNS1_25segmented_radix_sort_implIS3_Lb1EPKsPsPKlPlN2at6native12_GLOBAL__N_18offset_tEEE10hipError_tPvRmT1_PNSt15iterator_traitsISK_E10value_typeET2_T3_PNSL_ISQ_E10value_typeET4_jRbjT5_SW_jjP12ihipStream_tbEUlT_E_NS1_11comp_targetILNS1_3genE0ELNS1_11target_archE4294967295ELNS1_3gpuE0ELNS1_3repE0EEENS1_30default_config_static_selectorELNS0_4arch9wavefront6targetE0EEEvSK_.has_indirect_call, or(0, .L_ZN7rocprim17ROCPRIM_400000_NS6detail40segmented_radix_sort_single_block_helperIslLj256ELj17ELb1EE4sortIPKsPsPKlPlEEbT_T0_T1_T2_jjjjRNS3_12storage_typeE.has_indirect_call)
	.section	.AMDGPU.csdata,"",@progbits
; Kernel info:
; codeLenInByte = 72168
; TotalNumSgprs: 63
; NumVgprs: 304
; ScratchSize: 0
; MemoryBound: 0
; FloatMode: 240
; IeeeMode: 1
; LDSByteSize: 35344 bytes/workgroup (compile time only)
; SGPRBlocks: 0
; VGPRBlocks: 18
; NumSGPRsForWavesPerEU: 63
; NumVGPRsForWavesPerEU: 304
; NamedBarCnt: 0
; Occupancy: 3
; WaveLimiterHint : 1
; COMPUTE_PGM_RSRC2:SCRATCH_EN: 0
; COMPUTE_PGM_RSRC2:USER_SGPR: 4
; COMPUTE_PGM_RSRC2:TRAP_HANDLER: 0
; COMPUTE_PGM_RSRC2:TGID_X_EN: 1
; COMPUTE_PGM_RSRC2:TGID_Y_EN: 1
; COMPUTE_PGM_RSRC2:TGID_Z_EN: 0
; COMPUTE_PGM_RSRC2:TIDIG_COMP_CNT: 2
	.section	.text._ZN7rocprim17ROCPRIM_400000_NS6detail17trampoline_kernelINS0_14default_configENS1_36segmented_radix_sort_config_selectorIslEEZNS1_25segmented_radix_sort_implIS3_Lb1EPKsPsPKlPlN2at6native12_GLOBAL__N_18offset_tEEE10hipError_tPvRmT1_PNSt15iterator_traitsISK_E10value_typeET2_T3_PNSL_ISQ_E10value_typeET4_jRbjT5_SW_jjP12ihipStream_tbEUlT_E_NS1_11comp_targetILNS1_3genE5ELNS1_11target_archE942ELNS1_3gpuE9ELNS1_3repE0EEENS1_30default_config_static_selectorELNS0_4arch9wavefront6targetE0EEEvSK_,"axG",@progbits,_ZN7rocprim17ROCPRIM_400000_NS6detail17trampoline_kernelINS0_14default_configENS1_36segmented_radix_sort_config_selectorIslEEZNS1_25segmented_radix_sort_implIS3_Lb1EPKsPsPKlPlN2at6native12_GLOBAL__N_18offset_tEEE10hipError_tPvRmT1_PNSt15iterator_traitsISK_E10value_typeET2_T3_PNSL_ISQ_E10value_typeET4_jRbjT5_SW_jjP12ihipStream_tbEUlT_E_NS1_11comp_targetILNS1_3genE5ELNS1_11target_archE942ELNS1_3gpuE9ELNS1_3repE0EEENS1_30default_config_static_selectorELNS0_4arch9wavefront6targetE0EEEvSK_,comdat
	.globl	_ZN7rocprim17ROCPRIM_400000_NS6detail17trampoline_kernelINS0_14default_configENS1_36segmented_radix_sort_config_selectorIslEEZNS1_25segmented_radix_sort_implIS3_Lb1EPKsPsPKlPlN2at6native12_GLOBAL__N_18offset_tEEE10hipError_tPvRmT1_PNSt15iterator_traitsISK_E10value_typeET2_T3_PNSL_ISQ_E10value_typeET4_jRbjT5_SW_jjP12ihipStream_tbEUlT_E_NS1_11comp_targetILNS1_3genE5ELNS1_11target_archE942ELNS1_3gpuE9ELNS1_3repE0EEENS1_30default_config_static_selectorELNS0_4arch9wavefront6targetE0EEEvSK_ ; -- Begin function _ZN7rocprim17ROCPRIM_400000_NS6detail17trampoline_kernelINS0_14default_configENS1_36segmented_radix_sort_config_selectorIslEEZNS1_25segmented_radix_sort_implIS3_Lb1EPKsPsPKlPlN2at6native12_GLOBAL__N_18offset_tEEE10hipError_tPvRmT1_PNSt15iterator_traitsISK_E10value_typeET2_T3_PNSL_ISQ_E10value_typeET4_jRbjT5_SW_jjP12ihipStream_tbEUlT_E_NS1_11comp_targetILNS1_3genE5ELNS1_11target_archE942ELNS1_3gpuE9ELNS1_3repE0EEENS1_30default_config_static_selectorELNS0_4arch9wavefront6targetE0EEEvSK_
	.p2align	8
	.type	_ZN7rocprim17ROCPRIM_400000_NS6detail17trampoline_kernelINS0_14default_configENS1_36segmented_radix_sort_config_selectorIslEEZNS1_25segmented_radix_sort_implIS3_Lb1EPKsPsPKlPlN2at6native12_GLOBAL__N_18offset_tEEE10hipError_tPvRmT1_PNSt15iterator_traitsISK_E10value_typeET2_T3_PNSL_ISQ_E10value_typeET4_jRbjT5_SW_jjP12ihipStream_tbEUlT_E_NS1_11comp_targetILNS1_3genE5ELNS1_11target_archE942ELNS1_3gpuE9ELNS1_3repE0EEENS1_30default_config_static_selectorELNS0_4arch9wavefront6targetE0EEEvSK_,@function
_ZN7rocprim17ROCPRIM_400000_NS6detail17trampoline_kernelINS0_14default_configENS1_36segmented_radix_sort_config_selectorIslEEZNS1_25segmented_radix_sort_implIS3_Lb1EPKsPsPKlPlN2at6native12_GLOBAL__N_18offset_tEEE10hipError_tPvRmT1_PNSt15iterator_traitsISK_E10value_typeET2_T3_PNSL_ISQ_E10value_typeET4_jRbjT5_SW_jjP12ihipStream_tbEUlT_E_NS1_11comp_targetILNS1_3genE5ELNS1_11target_archE942ELNS1_3gpuE9ELNS1_3repE0EEENS1_30default_config_static_selectorELNS0_4arch9wavefront6targetE0EEEvSK_: ; @_ZN7rocprim17ROCPRIM_400000_NS6detail17trampoline_kernelINS0_14default_configENS1_36segmented_radix_sort_config_selectorIslEEZNS1_25segmented_radix_sort_implIS3_Lb1EPKsPsPKlPlN2at6native12_GLOBAL__N_18offset_tEEE10hipError_tPvRmT1_PNSt15iterator_traitsISK_E10value_typeET2_T3_PNSL_ISQ_E10value_typeET4_jRbjT5_SW_jjP12ihipStream_tbEUlT_E_NS1_11comp_targetILNS1_3genE5ELNS1_11target_archE942ELNS1_3gpuE9ELNS1_3repE0EEENS1_30default_config_static_selectorELNS0_4arch9wavefront6targetE0EEEvSK_
; %bb.0:
	.section	.rodata,"a",@progbits
	.p2align	6, 0x0
	.amdhsa_kernel _ZN7rocprim17ROCPRIM_400000_NS6detail17trampoline_kernelINS0_14default_configENS1_36segmented_radix_sort_config_selectorIslEEZNS1_25segmented_radix_sort_implIS3_Lb1EPKsPsPKlPlN2at6native12_GLOBAL__N_18offset_tEEE10hipError_tPvRmT1_PNSt15iterator_traitsISK_E10value_typeET2_T3_PNSL_ISQ_E10value_typeET4_jRbjT5_SW_jjP12ihipStream_tbEUlT_E_NS1_11comp_targetILNS1_3genE5ELNS1_11target_archE942ELNS1_3gpuE9ELNS1_3repE0EEENS1_30default_config_static_selectorELNS0_4arch9wavefront6targetE0EEEvSK_
		.amdhsa_group_segment_fixed_size 0
		.amdhsa_private_segment_fixed_size 0
		.amdhsa_kernarg_size 96
		.amdhsa_user_sgpr_count 2
		.amdhsa_user_sgpr_dispatch_ptr 0
		.amdhsa_user_sgpr_queue_ptr 0
		.amdhsa_user_sgpr_kernarg_segment_ptr 1
		.amdhsa_user_sgpr_dispatch_id 0
		.amdhsa_user_sgpr_kernarg_preload_length 0
		.amdhsa_user_sgpr_kernarg_preload_offset 0
		.amdhsa_user_sgpr_private_segment_size 0
		.amdhsa_wavefront_size32 1
		.amdhsa_uses_dynamic_stack 0
		.amdhsa_enable_private_segment 0
		.amdhsa_system_sgpr_workgroup_id_x 1
		.amdhsa_system_sgpr_workgroup_id_y 0
		.amdhsa_system_sgpr_workgroup_id_z 0
		.amdhsa_system_sgpr_workgroup_info 0
		.amdhsa_system_vgpr_workitem_id 0
		.amdhsa_next_free_vgpr 1
		.amdhsa_next_free_sgpr 1
		.amdhsa_named_barrier_count 0
		.amdhsa_reserve_vcc 0
		.amdhsa_float_round_mode_32 0
		.amdhsa_float_round_mode_16_64 0
		.amdhsa_float_denorm_mode_32 3
		.amdhsa_float_denorm_mode_16_64 3
		.amdhsa_fp16_overflow 0
		.amdhsa_memory_ordered 1
		.amdhsa_forward_progress 1
		.amdhsa_inst_pref_size 0
		.amdhsa_round_robin_scheduling 0
		.amdhsa_exception_fp_ieee_invalid_op 0
		.amdhsa_exception_fp_denorm_src 0
		.amdhsa_exception_fp_ieee_div_zero 0
		.amdhsa_exception_fp_ieee_overflow 0
		.amdhsa_exception_fp_ieee_underflow 0
		.amdhsa_exception_fp_ieee_inexact 0
		.amdhsa_exception_int_div_zero 0
	.end_amdhsa_kernel
	.section	.text._ZN7rocprim17ROCPRIM_400000_NS6detail17trampoline_kernelINS0_14default_configENS1_36segmented_radix_sort_config_selectorIslEEZNS1_25segmented_radix_sort_implIS3_Lb1EPKsPsPKlPlN2at6native12_GLOBAL__N_18offset_tEEE10hipError_tPvRmT1_PNSt15iterator_traitsISK_E10value_typeET2_T3_PNSL_ISQ_E10value_typeET4_jRbjT5_SW_jjP12ihipStream_tbEUlT_E_NS1_11comp_targetILNS1_3genE5ELNS1_11target_archE942ELNS1_3gpuE9ELNS1_3repE0EEENS1_30default_config_static_selectorELNS0_4arch9wavefront6targetE0EEEvSK_,"axG",@progbits,_ZN7rocprim17ROCPRIM_400000_NS6detail17trampoline_kernelINS0_14default_configENS1_36segmented_radix_sort_config_selectorIslEEZNS1_25segmented_radix_sort_implIS3_Lb1EPKsPsPKlPlN2at6native12_GLOBAL__N_18offset_tEEE10hipError_tPvRmT1_PNSt15iterator_traitsISK_E10value_typeET2_T3_PNSL_ISQ_E10value_typeET4_jRbjT5_SW_jjP12ihipStream_tbEUlT_E_NS1_11comp_targetILNS1_3genE5ELNS1_11target_archE942ELNS1_3gpuE9ELNS1_3repE0EEENS1_30default_config_static_selectorELNS0_4arch9wavefront6targetE0EEEvSK_,comdat
.Lfunc_end909:
	.size	_ZN7rocprim17ROCPRIM_400000_NS6detail17trampoline_kernelINS0_14default_configENS1_36segmented_radix_sort_config_selectorIslEEZNS1_25segmented_radix_sort_implIS3_Lb1EPKsPsPKlPlN2at6native12_GLOBAL__N_18offset_tEEE10hipError_tPvRmT1_PNSt15iterator_traitsISK_E10value_typeET2_T3_PNSL_ISQ_E10value_typeET4_jRbjT5_SW_jjP12ihipStream_tbEUlT_E_NS1_11comp_targetILNS1_3genE5ELNS1_11target_archE942ELNS1_3gpuE9ELNS1_3repE0EEENS1_30default_config_static_selectorELNS0_4arch9wavefront6targetE0EEEvSK_, .Lfunc_end909-_ZN7rocprim17ROCPRIM_400000_NS6detail17trampoline_kernelINS0_14default_configENS1_36segmented_radix_sort_config_selectorIslEEZNS1_25segmented_radix_sort_implIS3_Lb1EPKsPsPKlPlN2at6native12_GLOBAL__N_18offset_tEEE10hipError_tPvRmT1_PNSt15iterator_traitsISK_E10value_typeET2_T3_PNSL_ISQ_E10value_typeET4_jRbjT5_SW_jjP12ihipStream_tbEUlT_E_NS1_11comp_targetILNS1_3genE5ELNS1_11target_archE942ELNS1_3gpuE9ELNS1_3repE0EEENS1_30default_config_static_selectorELNS0_4arch9wavefront6targetE0EEEvSK_
                                        ; -- End function
	.set _ZN7rocprim17ROCPRIM_400000_NS6detail17trampoline_kernelINS0_14default_configENS1_36segmented_radix_sort_config_selectorIslEEZNS1_25segmented_radix_sort_implIS3_Lb1EPKsPsPKlPlN2at6native12_GLOBAL__N_18offset_tEEE10hipError_tPvRmT1_PNSt15iterator_traitsISK_E10value_typeET2_T3_PNSL_ISQ_E10value_typeET4_jRbjT5_SW_jjP12ihipStream_tbEUlT_E_NS1_11comp_targetILNS1_3genE5ELNS1_11target_archE942ELNS1_3gpuE9ELNS1_3repE0EEENS1_30default_config_static_selectorELNS0_4arch9wavefront6targetE0EEEvSK_.num_vgpr, 0
	.set _ZN7rocprim17ROCPRIM_400000_NS6detail17trampoline_kernelINS0_14default_configENS1_36segmented_radix_sort_config_selectorIslEEZNS1_25segmented_radix_sort_implIS3_Lb1EPKsPsPKlPlN2at6native12_GLOBAL__N_18offset_tEEE10hipError_tPvRmT1_PNSt15iterator_traitsISK_E10value_typeET2_T3_PNSL_ISQ_E10value_typeET4_jRbjT5_SW_jjP12ihipStream_tbEUlT_E_NS1_11comp_targetILNS1_3genE5ELNS1_11target_archE942ELNS1_3gpuE9ELNS1_3repE0EEENS1_30default_config_static_selectorELNS0_4arch9wavefront6targetE0EEEvSK_.num_agpr, 0
	.set _ZN7rocprim17ROCPRIM_400000_NS6detail17trampoline_kernelINS0_14default_configENS1_36segmented_radix_sort_config_selectorIslEEZNS1_25segmented_radix_sort_implIS3_Lb1EPKsPsPKlPlN2at6native12_GLOBAL__N_18offset_tEEE10hipError_tPvRmT1_PNSt15iterator_traitsISK_E10value_typeET2_T3_PNSL_ISQ_E10value_typeET4_jRbjT5_SW_jjP12ihipStream_tbEUlT_E_NS1_11comp_targetILNS1_3genE5ELNS1_11target_archE942ELNS1_3gpuE9ELNS1_3repE0EEENS1_30default_config_static_selectorELNS0_4arch9wavefront6targetE0EEEvSK_.numbered_sgpr, 0
	.set _ZN7rocprim17ROCPRIM_400000_NS6detail17trampoline_kernelINS0_14default_configENS1_36segmented_radix_sort_config_selectorIslEEZNS1_25segmented_radix_sort_implIS3_Lb1EPKsPsPKlPlN2at6native12_GLOBAL__N_18offset_tEEE10hipError_tPvRmT1_PNSt15iterator_traitsISK_E10value_typeET2_T3_PNSL_ISQ_E10value_typeET4_jRbjT5_SW_jjP12ihipStream_tbEUlT_E_NS1_11comp_targetILNS1_3genE5ELNS1_11target_archE942ELNS1_3gpuE9ELNS1_3repE0EEENS1_30default_config_static_selectorELNS0_4arch9wavefront6targetE0EEEvSK_.num_named_barrier, 0
	.set _ZN7rocprim17ROCPRIM_400000_NS6detail17trampoline_kernelINS0_14default_configENS1_36segmented_radix_sort_config_selectorIslEEZNS1_25segmented_radix_sort_implIS3_Lb1EPKsPsPKlPlN2at6native12_GLOBAL__N_18offset_tEEE10hipError_tPvRmT1_PNSt15iterator_traitsISK_E10value_typeET2_T3_PNSL_ISQ_E10value_typeET4_jRbjT5_SW_jjP12ihipStream_tbEUlT_E_NS1_11comp_targetILNS1_3genE5ELNS1_11target_archE942ELNS1_3gpuE9ELNS1_3repE0EEENS1_30default_config_static_selectorELNS0_4arch9wavefront6targetE0EEEvSK_.private_seg_size, 0
	.set _ZN7rocprim17ROCPRIM_400000_NS6detail17trampoline_kernelINS0_14default_configENS1_36segmented_radix_sort_config_selectorIslEEZNS1_25segmented_radix_sort_implIS3_Lb1EPKsPsPKlPlN2at6native12_GLOBAL__N_18offset_tEEE10hipError_tPvRmT1_PNSt15iterator_traitsISK_E10value_typeET2_T3_PNSL_ISQ_E10value_typeET4_jRbjT5_SW_jjP12ihipStream_tbEUlT_E_NS1_11comp_targetILNS1_3genE5ELNS1_11target_archE942ELNS1_3gpuE9ELNS1_3repE0EEENS1_30default_config_static_selectorELNS0_4arch9wavefront6targetE0EEEvSK_.uses_vcc, 0
	.set _ZN7rocprim17ROCPRIM_400000_NS6detail17trampoline_kernelINS0_14default_configENS1_36segmented_radix_sort_config_selectorIslEEZNS1_25segmented_radix_sort_implIS3_Lb1EPKsPsPKlPlN2at6native12_GLOBAL__N_18offset_tEEE10hipError_tPvRmT1_PNSt15iterator_traitsISK_E10value_typeET2_T3_PNSL_ISQ_E10value_typeET4_jRbjT5_SW_jjP12ihipStream_tbEUlT_E_NS1_11comp_targetILNS1_3genE5ELNS1_11target_archE942ELNS1_3gpuE9ELNS1_3repE0EEENS1_30default_config_static_selectorELNS0_4arch9wavefront6targetE0EEEvSK_.uses_flat_scratch, 0
	.set _ZN7rocprim17ROCPRIM_400000_NS6detail17trampoline_kernelINS0_14default_configENS1_36segmented_radix_sort_config_selectorIslEEZNS1_25segmented_radix_sort_implIS3_Lb1EPKsPsPKlPlN2at6native12_GLOBAL__N_18offset_tEEE10hipError_tPvRmT1_PNSt15iterator_traitsISK_E10value_typeET2_T3_PNSL_ISQ_E10value_typeET4_jRbjT5_SW_jjP12ihipStream_tbEUlT_E_NS1_11comp_targetILNS1_3genE5ELNS1_11target_archE942ELNS1_3gpuE9ELNS1_3repE0EEENS1_30default_config_static_selectorELNS0_4arch9wavefront6targetE0EEEvSK_.has_dyn_sized_stack, 0
	.set _ZN7rocprim17ROCPRIM_400000_NS6detail17trampoline_kernelINS0_14default_configENS1_36segmented_radix_sort_config_selectorIslEEZNS1_25segmented_radix_sort_implIS3_Lb1EPKsPsPKlPlN2at6native12_GLOBAL__N_18offset_tEEE10hipError_tPvRmT1_PNSt15iterator_traitsISK_E10value_typeET2_T3_PNSL_ISQ_E10value_typeET4_jRbjT5_SW_jjP12ihipStream_tbEUlT_E_NS1_11comp_targetILNS1_3genE5ELNS1_11target_archE942ELNS1_3gpuE9ELNS1_3repE0EEENS1_30default_config_static_selectorELNS0_4arch9wavefront6targetE0EEEvSK_.has_recursion, 0
	.set _ZN7rocprim17ROCPRIM_400000_NS6detail17trampoline_kernelINS0_14default_configENS1_36segmented_radix_sort_config_selectorIslEEZNS1_25segmented_radix_sort_implIS3_Lb1EPKsPsPKlPlN2at6native12_GLOBAL__N_18offset_tEEE10hipError_tPvRmT1_PNSt15iterator_traitsISK_E10value_typeET2_T3_PNSL_ISQ_E10value_typeET4_jRbjT5_SW_jjP12ihipStream_tbEUlT_E_NS1_11comp_targetILNS1_3genE5ELNS1_11target_archE942ELNS1_3gpuE9ELNS1_3repE0EEENS1_30default_config_static_selectorELNS0_4arch9wavefront6targetE0EEEvSK_.has_indirect_call, 0
	.section	.AMDGPU.csdata,"",@progbits
; Kernel info:
; codeLenInByte = 0
; TotalNumSgprs: 0
; NumVgprs: 0
; ScratchSize: 0
; MemoryBound: 0
; FloatMode: 240
; IeeeMode: 1
; LDSByteSize: 0 bytes/workgroup (compile time only)
; SGPRBlocks: 0
; VGPRBlocks: 0
; NumSGPRsForWavesPerEU: 1
; NumVGPRsForWavesPerEU: 1
; NamedBarCnt: 0
; Occupancy: 16
; WaveLimiterHint : 0
; COMPUTE_PGM_RSRC2:SCRATCH_EN: 0
; COMPUTE_PGM_RSRC2:USER_SGPR: 2
; COMPUTE_PGM_RSRC2:TRAP_HANDLER: 0
; COMPUTE_PGM_RSRC2:TGID_X_EN: 1
; COMPUTE_PGM_RSRC2:TGID_Y_EN: 0
; COMPUTE_PGM_RSRC2:TGID_Z_EN: 0
; COMPUTE_PGM_RSRC2:TIDIG_COMP_CNT: 0
	.section	.text._ZN7rocprim17ROCPRIM_400000_NS6detail17trampoline_kernelINS0_14default_configENS1_36segmented_radix_sort_config_selectorIslEEZNS1_25segmented_radix_sort_implIS3_Lb1EPKsPsPKlPlN2at6native12_GLOBAL__N_18offset_tEEE10hipError_tPvRmT1_PNSt15iterator_traitsISK_E10value_typeET2_T3_PNSL_ISQ_E10value_typeET4_jRbjT5_SW_jjP12ihipStream_tbEUlT_E_NS1_11comp_targetILNS1_3genE4ELNS1_11target_archE910ELNS1_3gpuE8ELNS1_3repE0EEENS1_30default_config_static_selectorELNS0_4arch9wavefront6targetE0EEEvSK_,"axG",@progbits,_ZN7rocprim17ROCPRIM_400000_NS6detail17trampoline_kernelINS0_14default_configENS1_36segmented_radix_sort_config_selectorIslEEZNS1_25segmented_radix_sort_implIS3_Lb1EPKsPsPKlPlN2at6native12_GLOBAL__N_18offset_tEEE10hipError_tPvRmT1_PNSt15iterator_traitsISK_E10value_typeET2_T3_PNSL_ISQ_E10value_typeET4_jRbjT5_SW_jjP12ihipStream_tbEUlT_E_NS1_11comp_targetILNS1_3genE4ELNS1_11target_archE910ELNS1_3gpuE8ELNS1_3repE0EEENS1_30default_config_static_selectorELNS0_4arch9wavefront6targetE0EEEvSK_,comdat
	.globl	_ZN7rocprim17ROCPRIM_400000_NS6detail17trampoline_kernelINS0_14default_configENS1_36segmented_radix_sort_config_selectorIslEEZNS1_25segmented_radix_sort_implIS3_Lb1EPKsPsPKlPlN2at6native12_GLOBAL__N_18offset_tEEE10hipError_tPvRmT1_PNSt15iterator_traitsISK_E10value_typeET2_T3_PNSL_ISQ_E10value_typeET4_jRbjT5_SW_jjP12ihipStream_tbEUlT_E_NS1_11comp_targetILNS1_3genE4ELNS1_11target_archE910ELNS1_3gpuE8ELNS1_3repE0EEENS1_30default_config_static_selectorELNS0_4arch9wavefront6targetE0EEEvSK_ ; -- Begin function _ZN7rocprim17ROCPRIM_400000_NS6detail17trampoline_kernelINS0_14default_configENS1_36segmented_radix_sort_config_selectorIslEEZNS1_25segmented_radix_sort_implIS3_Lb1EPKsPsPKlPlN2at6native12_GLOBAL__N_18offset_tEEE10hipError_tPvRmT1_PNSt15iterator_traitsISK_E10value_typeET2_T3_PNSL_ISQ_E10value_typeET4_jRbjT5_SW_jjP12ihipStream_tbEUlT_E_NS1_11comp_targetILNS1_3genE4ELNS1_11target_archE910ELNS1_3gpuE8ELNS1_3repE0EEENS1_30default_config_static_selectorELNS0_4arch9wavefront6targetE0EEEvSK_
	.p2align	8
	.type	_ZN7rocprim17ROCPRIM_400000_NS6detail17trampoline_kernelINS0_14default_configENS1_36segmented_radix_sort_config_selectorIslEEZNS1_25segmented_radix_sort_implIS3_Lb1EPKsPsPKlPlN2at6native12_GLOBAL__N_18offset_tEEE10hipError_tPvRmT1_PNSt15iterator_traitsISK_E10value_typeET2_T3_PNSL_ISQ_E10value_typeET4_jRbjT5_SW_jjP12ihipStream_tbEUlT_E_NS1_11comp_targetILNS1_3genE4ELNS1_11target_archE910ELNS1_3gpuE8ELNS1_3repE0EEENS1_30default_config_static_selectorELNS0_4arch9wavefront6targetE0EEEvSK_,@function
_ZN7rocprim17ROCPRIM_400000_NS6detail17trampoline_kernelINS0_14default_configENS1_36segmented_radix_sort_config_selectorIslEEZNS1_25segmented_radix_sort_implIS3_Lb1EPKsPsPKlPlN2at6native12_GLOBAL__N_18offset_tEEE10hipError_tPvRmT1_PNSt15iterator_traitsISK_E10value_typeET2_T3_PNSL_ISQ_E10value_typeET4_jRbjT5_SW_jjP12ihipStream_tbEUlT_E_NS1_11comp_targetILNS1_3genE4ELNS1_11target_archE910ELNS1_3gpuE8ELNS1_3repE0EEENS1_30default_config_static_selectorELNS0_4arch9wavefront6targetE0EEEvSK_: ; @_ZN7rocprim17ROCPRIM_400000_NS6detail17trampoline_kernelINS0_14default_configENS1_36segmented_radix_sort_config_selectorIslEEZNS1_25segmented_radix_sort_implIS3_Lb1EPKsPsPKlPlN2at6native12_GLOBAL__N_18offset_tEEE10hipError_tPvRmT1_PNSt15iterator_traitsISK_E10value_typeET2_T3_PNSL_ISQ_E10value_typeET4_jRbjT5_SW_jjP12ihipStream_tbEUlT_E_NS1_11comp_targetILNS1_3genE4ELNS1_11target_archE910ELNS1_3gpuE8ELNS1_3repE0EEENS1_30default_config_static_selectorELNS0_4arch9wavefront6targetE0EEEvSK_
; %bb.0:
	.section	.rodata,"a",@progbits
	.p2align	6, 0x0
	.amdhsa_kernel _ZN7rocprim17ROCPRIM_400000_NS6detail17trampoline_kernelINS0_14default_configENS1_36segmented_radix_sort_config_selectorIslEEZNS1_25segmented_radix_sort_implIS3_Lb1EPKsPsPKlPlN2at6native12_GLOBAL__N_18offset_tEEE10hipError_tPvRmT1_PNSt15iterator_traitsISK_E10value_typeET2_T3_PNSL_ISQ_E10value_typeET4_jRbjT5_SW_jjP12ihipStream_tbEUlT_E_NS1_11comp_targetILNS1_3genE4ELNS1_11target_archE910ELNS1_3gpuE8ELNS1_3repE0EEENS1_30default_config_static_selectorELNS0_4arch9wavefront6targetE0EEEvSK_
		.amdhsa_group_segment_fixed_size 0
		.amdhsa_private_segment_fixed_size 0
		.amdhsa_kernarg_size 96
		.amdhsa_user_sgpr_count 2
		.amdhsa_user_sgpr_dispatch_ptr 0
		.amdhsa_user_sgpr_queue_ptr 0
		.amdhsa_user_sgpr_kernarg_segment_ptr 1
		.amdhsa_user_sgpr_dispatch_id 0
		.amdhsa_user_sgpr_kernarg_preload_length 0
		.amdhsa_user_sgpr_kernarg_preload_offset 0
		.amdhsa_user_sgpr_private_segment_size 0
		.amdhsa_wavefront_size32 1
		.amdhsa_uses_dynamic_stack 0
		.amdhsa_enable_private_segment 0
		.amdhsa_system_sgpr_workgroup_id_x 1
		.amdhsa_system_sgpr_workgroup_id_y 0
		.amdhsa_system_sgpr_workgroup_id_z 0
		.amdhsa_system_sgpr_workgroup_info 0
		.amdhsa_system_vgpr_workitem_id 0
		.amdhsa_next_free_vgpr 1
		.amdhsa_next_free_sgpr 1
		.amdhsa_named_barrier_count 0
		.amdhsa_reserve_vcc 0
		.amdhsa_float_round_mode_32 0
		.amdhsa_float_round_mode_16_64 0
		.amdhsa_float_denorm_mode_32 3
		.amdhsa_float_denorm_mode_16_64 3
		.amdhsa_fp16_overflow 0
		.amdhsa_memory_ordered 1
		.amdhsa_forward_progress 1
		.amdhsa_inst_pref_size 0
		.amdhsa_round_robin_scheduling 0
		.amdhsa_exception_fp_ieee_invalid_op 0
		.amdhsa_exception_fp_denorm_src 0
		.amdhsa_exception_fp_ieee_div_zero 0
		.amdhsa_exception_fp_ieee_overflow 0
		.amdhsa_exception_fp_ieee_underflow 0
		.amdhsa_exception_fp_ieee_inexact 0
		.amdhsa_exception_int_div_zero 0
	.end_amdhsa_kernel
	.section	.text._ZN7rocprim17ROCPRIM_400000_NS6detail17trampoline_kernelINS0_14default_configENS1_36segmented_radix_sort_config_selectorIslEEZNS1_25segmented_radix_sort_implIS3_Lb1EPKsPsPKlPlN2at6native12_GLOBAL__N_18offset_tEEE10hipError_tPvRmT1_PNSt15iterator_traitsISK_E10value_typeET2_T3_PNSL_ISQ_E10value_typeET4_jRbjT5_SW_jjP12ihipStream_tbEUlT_E_NS1_11comp_targetILNS1_3genE4ELNS1_11target_archE910ELNS1_3gpuE8ELNS1_3repE0EEENS1_30default_config_static_selectorELNS0_4arch9wavefront6targetE0EEEvSK_,"axG",@progbits,_ZN7rocprim17ROCPRIM_400000_NS6detail17trampoline_kernelINS0_14default_configENS1_36segmented_radix_sort_config_selectorIslEEZNS1_25segmented_radix_sort_implIS3_Lb1EPKsPsPKlPlN2at6native12_GLOBAL__N_18offset_tEEE10hipError_tPvRmT1_PNSt15iterator_traitsISK_E10value_typeET2_T3_PNSL_ISQ_E10value_typeET4_jRbjT5_SW_jjP12ihipStream_tbEUlT_E_NS1_11comp_targetILNS1_3genE4ELNS1_11target_archE910ELNS1_3gpuE8ELNS1_3repE0EEENS1_30default_config_static_selectorELNS0_4arch9wavefront6targetE0EEEvSK_,comdat
.Lfunc_end910:
	.size	_ZN7rocprim17ROCPRIM_400000_NS6detail17trampoline_kernelINS0_14default_configENS1_36segmented_radix_sort_config_selectorIslEEZNS1_25segmented_radix_sort_implIS3_Lb1EPKsPsPKlPlN2at6native12_GLOBAL__N_18offset_tEEE10hipError_tPvRmT1_PNSt15iterator_traitsISK_E10value_typeET2_T3_PNSL_ISQ_E10value_typeET4_jRbjT5_SW_jjP12ihipStream_tbEUlT_E_NS1_11comp_targetILNS1_3genE4ELNS1_11target_archE910ELNS1_3gpuE8ELNS1_3repE0EEENS1_30default_config_static_selectorELNS0_4arch9wavefront6targetE0EEEvSK_, .Lfunc_end910-_ZN7rocprim17ROCPRIM_400000_NS6detail17trampoline_kernelINS0_14default_configENS1_36segmented_radix_sort_config_selectorIslEEZNS1_25segmented_radix_sort_implIS3_Lb1EPKsPsPKlPlN2at6native12_GLOBAL__N_18offset_tEEE10hipError_tPvRmT1_PNSt15iterator_traitsISK_E10value_typeET2_T3_PNSL_ISQ_E10value_typeET4_jRbjT5_SW_jjP12ihipStream_tbEUlT_E_NS1_11comp_targetILNS1_3genE4ELNS1_11target_archE910ELNS1_3gpuE8ELNS1_3repE0EEENS1_30default_config_static_selectorELNS0_4arch9wavefront6targetE0EEEvSK_
                                        ; -- End function
	.set _ZN7rocprim17ROCPRIM_400000_NS6detail17trampoline_kernelINS0_14default_configENS1_36segmented_radix_sort_config_selectorIslEEZNS1_25segmented_radix_sort_implIS3_Lb1EPKsPsPKlPlN2at6native12_GLOBAL__N_18offset_tEEE10hipError_tPvRmT1_PNSt15iterator_traitsISK_E10value_typeET2_T3_PNSL_ISQ_E10value_typeET4_jRbjT5_SW_jjP12ihipStream_tbEUlT_E_NS1_11comp_targetILNS1_3genE4ELNS1_11target_archE910ELNS1_3gpuE8ELNS1_3repE0EEENS1_30default_config_static_selectorELNS0_4arch9wavefront6targetE0EEEvSK_.num_vgpr, 0
	.set _ZN7rocprim17ROCPRIM_400000_NS6detail17trampoline_kernelINS0_14default_configENS1_36segmented_radix_sort_config_selectorIslEEZNS1_25segmented_radix_sort_implIS3_Lb1EPKsPsPKlPlN2at6native12_GLOBAL__N_18offset_tEEE10hipError_tPvRmT1_PNSt15iterator_traitsISK_E10value_typeET2_T3_PNSL_ISQ_E10value_typeET4_jRbjT5_SW_jjP12ihipStream_tbEUlT_E_NS1_11comp_targetILNS1_3genE4ELNS1_11target_archE910ELNS1_3gpuE8ELNS1_3repE0EEENS1_30default_config_static_selectorELNS0_4arch9wavefront6targetE0EEEvSK_.num_agpr, 0
	.set _ZN7rocprim17ROCPRIM_400000_NS6detail17trampoline_kernelINS0_14default_configENS1_36segmented_radix_sort_config_selectorIslEEZNS1_25segmented_radix_sort_implIS3_Lb1EPKsPsPKlPlN2at6native12_GLOBAL__N_18offset_tEEE10hipError_tPvRmT1_PNSt15iterator_traitsISK_E10value_typeET2_T3_PNSL_ISQ_E10value_typeET4_jRbjT5_SW_jjP12ihipStream_tbEUlT_E_NS1_11comp_targetILNS1_3genE4ELNS1_11target_archE910ELNS1_3gpuE8ELNS1_3repE0EEENS1_30default_config_static_selectorELNS0_4arch9wavefront6targetE0EEEvSK_.numbered_sgpr, 0
	.set _ZN7rocprim17ROCPRIM_400000_NS6detail17trampoline_kernelINS0_14default_configENS1_36segmented_radix_sort_config_selectorIslEEZNS1_25segmented_radix_sort_implIS3_Lb1EPKsPsPKlPlN2at6native12_GLOBAL__N_18offset_tEEE10hipError_tPvRmT1_PNSt15iterator_traitsISK_E10value_typeET2_T3_PNSL_ISQ_E10value_typeET4_jRbjT5_SW_jjP12ihipStream_tbEUlT_E_NS1_11comp_targetILNS1_3genE4ELNS1_11target_archE910ELNS1_3gpuE8ELNS1_3repE0EEENS1_30default_config_static_selectorELNS0_4arch9wavefront6targetE0EEEvSK_.num_named_barrier, 0
	.set _ZN7rocprim17ROCPRIM_400000_NS6detail17trampoline_kernelINS0_14default_configENS1_36segmented_radix_sort_config_selectorIslEEZNS1_25segmented_radix_sort_implIS3_Lb1EPKsPsPKlPlN2at6native12_GLOBAL__N_18offset_tEEE10hipError_tPvRmT1_PNSt15iterator_traitsISK_E10value_typeET2_T3_PNSL_ISQ_E10value_typeET4_jRbjT5_SW_jjP12ihipStream_tbEUlT_E_NS1_11comp_targetILNS1_3genE4ELNS1_11target_archE910ELNS1_3gpuE8ELNS1_3repE0EEENS1_30default_config_static_selectorELNS0_4arch9wavefront6targetE0EEEvSK_.private_seg_size, 0
	.set _ZN7rocprim17ROCPRIM_400000_NS6detail17trampoline_kernelINS0_14default_configENS1_36segmented_radix_sort_config_selectorIslEEZNS1_25segmented_radix_sort_implIS3_Lb1EPKsPsPKlPlN2at6native12_GLOBAL__N_18offset_tEEE10hipError_tPvRmT1_PNSt15iterator_traitsISK_E10value_typeET2_T3_PNSL_ISQ_E10value_typeET4_jRbjT5_SW_jjP12ihipStream_tbEUlT_E_NS1_11comp_targetILNS1_3genE4ELNS1_11target_archE910ELNS1_3gpuE8ELNS1_3repE0EEENS1_30default_config_static_selectorELNS0_4arch9wavefront6targetE0EEEvSK_.uses_vcc, 0
	.set _ZN7rocprim17ROCPRIM_400000_NS6detail17trampoline_kernelINS0_14default_configENS1_36segmented_radix_sort_config_selectorIslEEZNS1_25segmented_radix_sort_implIS3_Lb1EPKsPsPKlPlN2at6native12_GLOBAL__N_18offset_tEEE10hipError_tPvRmT1_PNSt15iterator_traitsISK_E10value_typeET2_T3_PNSL_ISQ_E10value_typeET4_jRbjT5_SW_jjP12ihipStream_tbEUlT_E_NS1_11comp_targetILNS1_3genE4ELNS1_11target_archE910ELNS1_3gpuE8ELNS1_3repE0EEENS1_30default_config_static_selectorELNS0_4arch9wavefront6targetE0EEEvSK_.uses_flat_scratch, 0
	.set _ZN7rocprim17ROCPRIM_400000_NS6detail17trampoline_kernelINS0_14default_configENS1_36segmented_radix_sort_config_selectorIslEEZNS1_25segmented_radix_sort_implIS3_Lb1EPKsPsPKlPlN2at6native12_GLOBAL__N_18offset_tEEE10hipError_tPvRmT1_PNSt15iterator_traitsISK_E10value_typeET2_T3_PNSL_ISQ_E10value_typeET4_jRbjT5_SW_jjP12ihipStream_tbEUlT_E_NS1_11comp_targetILNS1_3genE4ELNS1_11target_archE910ELNS1_3gpuE8ELNS1_3repE0EEENS1_30default_config_static_selectorELNS0_4arch9wavefront6targetE0EEEvSK_.has_dyn_sized_stack, 0
	.set _ZN7rocprim17ROCPRIM_400000_NS6detail17trampoline_kernelINS0_14default_configENS1_36segmented_radix_sort_config_selectorIslEEZNS1_25segmented_radix_sort_implIS3_Lb1EPKsPsPKlPlN2at6native12_GLOBAL__N_18offset_tEEE10hipError_tPvRmT1_PNSt15iterator_traitsISK_E10value_typeET2_T3_PNSL_ISQ_E10value_typeET4_jRbjT5_SW_jjP12ihipStream_tbEUlT_E_NS1_11comp_targetILNS1_3genE4ELNS1_11target_archE910ELNS1_3gpuE8ELNS1_3repE0EEENS1_30default_config_static_selectorELNS0_4arch9wavefront6targetE0EEEvSK_.has_recursion, 0
	.set _ZN7rocprim17ROCPRIM_400000_NS6detail17trampoline_kernelINS0_14default_configENS1_36segmented_radix_sort_config_selectorIslEEZNS1_25segmented_radix_sort_implIS3_Lb1EPKsPsPKlPlN2at6native12_GLOBAL__N_18offset_tEEE10hipError_tPvRmT1_PNSt15iterator_traitsISK_E10value_typeET2_T3_PNSL_ISQ_E10value_typeET4_jRbjT5_SW_jjP12ihipStream_tbEUlT_E_NS1_11comp_targetILNS1_3genE4ELNS1_11target_archE910ELNS1_3gpuE8ELNS1_3repE0EEENS1_30default_config_static_selectorELNS0_4arch9wavefront6targetE0EEEvSK_.has_indirect_call, 0
	.section	.AMDGPU.csdata,"",@progbits
; Kernel info:
; codeLenInByte = 0
; TotalNumSgprs: 0
; NumVgprs: 0
; ScratchSize: 0
; MemoryBound: 0
; FloatMode: 240
; IeeeMode: 1
; LDSByteSize: 0 bytes/workgroup (compile time only)
; SGPRBlocks: 0
; VGPRBlocks: 0
; NumSGPRsForWavesPerEU: 1
; NumVGPRsForWavesPerEU: 1
; NamedBarCnt: 0
; Occupancy: 16
; WaveLimiterHint : 0
; COMPUTE_PGM_RSRC2:SCRATCH_EN: 0
; COMPUTE_PGM_RSRC2:USER_SGPR: 2
; COMPUTE_PGM_RSRC2:TRAP_HANDLER: 0
; COMPUTE_PGM_RSRC2:TGID_X_EN: 1
; COMPUTE_PGM_RSRC2:TGID_Y_EN: 0
; COMPUTE_PGM_RSRC2:TGID_Z_EN: 0
; COMPUTE_PGM_RSRC2:TIDIG_COMP_CNT: 0
	.section	.text._ZN7rocprim17ROCPRIM_400000_NS6detail17trampoline_kernelINS0_14default_configENS1_36segmented_radix_sort_config_selectorIslEEZNS1_25segmented_radix_sort_implIS3_Lb1EPKsPsPKlPlN2at6native12_GLOBAL__N_18offset_tEEE10hipError_tPvRmT1_PNSt15iterator_traitsISK_E10value_typeET2_T3_PNSL_ISQ_E10value_typeET4_jRbjT5_SW_jjP12ihipStream_tbEUlT_E_NS1_11comp_targetILNS1_3genE3ELNS1_11target_archE908ELNS1_3gpuE7ELNS1_3repE0EEENS1_30default_config_static_selectorELNS0_4arch9wavefront6targetE0EEEvSK_,"axG",@progbits,_ZN7rocprim17ROCPRIM_400000_NS6detail17trampoline_kernelINS0_14default_configENS1_36segmented_radix_sort_config_selectorIslEEZNS1_25segmented_radix_sort_implIS3_Lb1EPKsPsPKlPlN2at6native12_GLOBAL__N_18offset_tEEE10hipError_tPvRmT1_PNSt15iterator_traitsISK_E10value_typeET2_T3_PNSL_ISQ_E10value_typeET4_jRbjT5_SW_jjP12ihipStream_tbEUlT_E_NS1_11comp_targetILNS1_3genE3ELNS1_11target_archE908ELNS1_3gpuE7ELNS1_3repE0EEENS1_30default_config_static_selectorELNS0_4arch9wavefront6targetE0EEEvSK_,comdat
	.globl	_ZN7rocprim17ROCPRIM_400000_NS6detail17trampoline_kernelINS0_14default_configENS1_36segmented_radix_sort_config_selectorIslEEZNS1_25segmented_radix_sort_implIS3_Lb1EPKsPsPKlPlN2at6native12_GLOBAL__N_18offset_tEEE10hipError_tPvRmT1_PNSt15iterator_traitsISK_E10value_typeET2_T3_PNSL_ISQ_E10value_typeET4_jRbjT5_SW_jjP12ihipStream_tbEUlT_E_NS1_11comp_targetILNS1_3genE3ELNS1_11target_archE908ELNS1_3gpuE7ELNS1_3repE0EEENS1_30default_config_static_selectorELNS0_4arch9wavefront6targetE0EEEvSK_ ; -- Begin function _ZN7rocprim17ROCPRIM_400000_NS6detail17trampoline_kernelINS0_14default_configENS1_36segmented_radix_sort_config_selectorIslEEZNS1_25segmented_radix_sort_implIS3_Lb1EPKsPsPKlPlN2at6native12_GLOBAL__N_18offset_tEEE10hipError_tPvRmT1_PNSt15iterator_traitsISK_E10value_typeET2_T3_PNSL_ISQ_E10value_typeET4_jRbjT5_SW_jjP12ihipStream_tbEUlT_E_NS1_11comp_targetILNS1_3genE3ELNS1_11target_archE908ELNS1_3gpuE7ELNS1_3repE0EEENS1_30default_config_static_selectorELNS0_4arch9wavefront6targetE0EEEvSK_
	.p2align	8
	.type	_ZN7rocprim17ROCPRIM_400000_NS6detail17trampoline_kernelINS0_14default_configENS1_36segmented_radix_sort_config_selectorIslEEZNS1_25segmented_radix_sort_implIS3_Lb1EPKsPsPKlPlN2at6native12_GLOBAL__N_18offset_tEEE10hipError_tPvRmT1_PNSt15iterator_traitsISK_E10value_typeET2_T3_PNSL_ISQ_E10value_typeET4_jRbjT5_SW_jjP12ihipStream_tbEUlT_E_NS1_11comp_targetILNS1_3genE3ELNS1_11target_archE908ELNS1_3gpuE7ELNS1_3repE0EEENS1_30default_config_static_selectorELNS0_4arch9wavefront6targetE0EEEvSK_,@function
_ZN7rocprim17ROCPRIM_400000_NS6detail17trampoline_kernelINS0_14default_configENS1_36segmented_radix_sort_config_selectorIslEEZNS1_25segmented_radix_sort_implIS3_Lb1EPKsPsPKlPlN2at6native12_GLOBAL__N_18offset_tEEE10hipError_tPvRmT1_PNSt15iterator_traitsISK_E10value_typeET2_T3_PNSL_ISQ_E10value_typeET4_jRbjT5_SW_jjP12ihipStream_tbEUlT_E_NS1_11comp_targetILNS1_3genE3ELNS1_11target_archE908ELNS1_3gpuE7ELNS1_3repE0EEENS1_30default_config_static_selectorELNS0_4arch9wavefront6targetE0EEEvSK_: ; @_ZN7rocprim17ROCPRIM_400000_NS6detail17trampoline_kernelINS0_14default_configENS1_36segmented_radix_sort_config_selectorIslEEZNS1_25segmented_radix_sort_implIS3_Lb1EPKsPsPKlPlN2at6native12_GLOBAL__N_18offset_tEEE10hipError_tPvRmT1_PNSt15iterator_traitsISK_E10value_typeET2_T3_PNSL_ISQ_E10value_typeET4_jRbjT5_SW_jjP12ihipStream_tbEUlT_E_NS1_11comp_targetILNS1_3genE3ELNS1_11target_archE908ELNS1_3gpuE7ELNS1_3repE0EEENS1_30default_config_static_selectorELNS0_4arch9wavefront6targetE0EEEvSK_
; %bb.0:
	.section	.rodata,"a",@progbits
	.p2align	6, 0x0
	.amdhsa_kernel _ZN7rocprim17ROCPRIM_400000_NS6detail17trampoline_kernelINS0_14default_configENS1_36segmented_radix_sort_config_selectorIslEEZNS1_25segmented_radix_sort_implIS3_Lb1EPKsPsPKlPlN2at6native12_GLOBAL__N_18offset_tEEE10hipError_tPvRmT1_PNSt15iterator_traitsISK_E10value_typeET2_T3_PNSL_ISQ_E10value_typeET4_jRbjT5_SW_jjP12ihipStream_tbEUlT_E_NS1_11comp_targetILNS1_3genE3ELNS1_11target_archE908ELNS1_3gpuE7ELNS1_3repE0EEENS1_30default_config_static_selectorELNS0_4arch9wavefront6targetE0EEEvSK_
		.amdhsa_group_segment_fixed_size 0
		.amdhsa_private_segment_fixed_size 0
		.amdhsa_kernarg_size 96
		.amdhsa_user_sgpr_count 2
		.amdhsa_user_sgpr_dispatch_ptr 0
		.amdhsa_user_sgpr_queue_ptr 0
		.amdhsa_user_sgpr_kernarg_segment_ptr 1
		.amdhsa_user_sgpr_dispatch_id 0
		.amdhsa_user_sgpr_kernarg_preload_length 0
		.amdhsa_user_sgpr_kernarg_preload_offset 0
		.amdhsa_user_sgpr_private_segment_size 0
		.amdhsa_wavefront_size32 1
		.amdhsa_uses_dynamic_stack 0
		.amdhsa_enable_private_segment 0
		.amdhsa_system_sgpr_workgroup_id_x 1
		.amdhsa_system_sgpr_workgroup_id_y 0
		.amdhsa_system_sgpr_workgroup_id_z 0
		.amdhsa_system_sgpr_workgroup_info 0
		.amdhsa_system_vgpr_workitem_id 0
		.amdhsa_next_free_vgpr 1
		.amdhsa_next_free_sgpr 1
		.amdhsa_named_barrier_count 0
		.amdhsa_reserve_vcc 0
		.amdhsa_float_round_mode_32 0
		.amdhsa_float_round_mode_16_64 0
		.amdhsa_float_denorm_mode_32 3
		.amdhsa_float_denorm_mode_16_64 3
		.amdhsa_fp16_overflow 0
		.amdhsa_memory_ordered 1
		.amdhsa_forward_progress 1
		.amdhsa_inst_pref_size 0
		.amdhsa_round_robin_scheduling 0
		.amdhsa_exception_fp_ieee_invalid_op 0
		.amdhsa_exception_fp_denorm_src 0
		.amdhsa_exception_fp_ieee_div_zero 0
		.amdhsa_exception_fp_ieee_overflow 0
		.amdhsa_exception_fp_ieee_underflow 0
		.amdhsa_exception_fp_ieee_inexact 0
		.amdhsa_exception_int_div_zero 0
	.end_amdhsa_kernel
	.section	.text._ZN7rocprim17ROCPRIM_400000_NS6detail17trampoline_kernelINS0_14default_configENS1_36segmented_radix_sort_config_selectorIslEEZNS1_25segmented_radix_sort_implIS3_Lb1EPKsPsPKlPlN2at6native12_GLOBAL__N_18offset_tEEE10hipError_tPvRmT1_PNSt15iterator_traitsISK_E10value_typeET2_T3_PNSL_ISQ_E10value_typeET4_jRbjT5_SW_jjP12ihipStream_tbEUlT_E_NS1_11comp_targetILNS1_3genE3ELNS1_11target_archE908ELNS1_3gpuE7ELNS1_3repE0EEENS1_30default_config_static_selectorELNS0_4arch9wavefront6targetE0EEEvSK_,"axG",@progbits,_ZN7rocprim17ROCPRIM_400000_NS6detail17trampoline_kernelINS0_14default_configENS1_36segmented_radix_sort_config_selectorIslEEZNS1_25segmented_radix_sort_implIS3_Lb1EPKsPsPKlPlN2at6native12_GLOBAL__N_18offset_tEEE10hipError_tPvRmT1_PNSt15iterator_traitsISK_E10value_typeET2_T3_PNSL_ISQ_E10value_typeET4_jRbjT5_SW_jjP12ihipStream_tbEUlT_E_NS1_11comp_targetILNS1_3genE3ELNS1_11target_archE908ELNS1_3gpuE7ELNS1_3repE0EEENS1_30default_config_static_selectorELNS0_4arch9wavefront6targetE0EEEvSK_,comdat
.Lfunc_end911:
	.size	_ZN7rocprim17ROCPRIM_400000_NS6detail17trampoline_kernelINS0_14default_configENS1_36segmented_radix_sort_config_selectorIslEEZNS1_25segmented_radix_sort_implIS3_Lb1EPKsPsPKlPlN2at6native12_GLOBAL__N_18offset_tEEE10hipError_tPvRmT1_PNSt15iterator_traitsISK_E10value_typeET2_T3_PNSL_ISQ_E10value_typeET4_jRbjT5_SW_jjP12ihipStream_tbEUlT_E_NS1_11comp_targetILNS1_3genE3ELNS1_11target_archE908ELNS1_3gpuE7ELNS1_3repE0EEENS1_30default_config_static_selectorELNS0_4arch9wavefront6targetE0EEEvSK_, .Lfunc_end911-_ZN7rocprim17ROCPRIM_400000_NS6detail17trampoline_kernelINS0_14default_configENS1_36segmented_radix_sort_config_selectorIslEEZNS1_25segmented_radix_sort_implIS3_Lb1EPKsPsPKlPlN2at6native12_GLOBAL__N_18offset_tEEE10hipError_tPvRmT1_PNSt15iterator_traitsISK_E10value_typeET2_T3_PNSL_ISQ_E10value_typeET4_jRbjT5_SW_jjP12ihipStream_tbEUlT_E_NS1_11comp_targetILNS1_3genE3ELNS1_11target_archE908ELNS1_3gpuE7ELNS1_3repE0EEENS1_30default_config_static_selectorELNS0_4arch9wavefront6targetE0EEEvSK_
                                        ; -- End function
	.set _ZN7rocprim17ROCPRIM_400000_NS6detail17trampoline_kernelINS0_14default_configENS1_36segmented_radix_sort_config_selectorIslEEZNS1_25segmented_radix_sort_implIS3_Lb1EPKsPsPKlPlN2at6native12_GLOBAL__N_18offset_tEEE10hipError_tPvRmT1_PNSt15iterator_traitsISK_E10value_typeET2_T3_PNSL_ISQ_E10value_typeET4_jRbjT5_SW_jjP12ihipStream_tbEUlT_E_NS1_11comp_targetILNS1_3genE3ELNS1_11target_archE908ELNS1_3gpuE7ELNS1_3repE0EEENS1_30default_config_static_selectorELNS0_4arch9wavefront6targetE0EEEvSK_.num_vgpr, 0
	.set _ZN7rocprim17ROCPRIM_400000_NS6detail17trampoline_kernelINS0_14default_configENS1_36segmented_radix_sort_config_selectorIslEEZNS1_25segmented_radix_sort_implIS3_Lb1EPKsPsPKlPlN2at6native12_GLOBAL__N_18offset_tEEE10hipError_tPvRmT1_PNSt15iterator_traitsISK_E10value_typeET2_T3_PNSL_ISQ_E10value_typeET4_jRbjT5_SW_jjP12ihipStream_tbEUlT_E_NS1_11comp_targetILNS1_3genE3ELNS1_11target_archE908ELNS1_3gpuE7ELNS1_3repE0EEENS1_30default_config_static_selectorELNS0_4arch9wavefront6targetE0EEEvSK_.num_agpr, 0
	.set _ZN7rocprim17ROCPRIM_400000_NS6detail17trampoline_kernelINS0_14default_configENS1_36segmented_radix_sort_config_selectorIslEEZNS1_25segmented_radix_sort_implIS3_Lb1EPKsPsPKlPlN2at6native12_GLOBAL__N_18offset_tEEE10hipError_tPvRmT1_PNSt15iterator_traitsISK_E10value_typeET2_T3_PNSL_ISQ_E10value_typeET4_jRbjT5_SW_jjP12ihipStream_tbEUlT_E_NS1_11comp_targetILNS1_3genE3ELNS1_11target_archE908ELNS1_3gpuE7ELNS1_3repE0EEENS1_30default_config_static_selectorELNS0_4arch9wavefront6targetE0EEEvSK_.numbered_sgpr, 0
	.set _ZN7rocprim17ROCPRIM_400000_NS6detail17trampoline_kernelINS0_14default_configENS1_36segmented_radix_sort_config_selectorIslEEZNS1_25segmented_radix_sort_implIS3_Lb1EPKsPsPKlPlN2at6native12_GLOBAL__N_18offset_tEEE10hipError_tPvRmT1_PNSt15iterator_traitsISK_E10value_typeET2_T3_PNSL_ISQ_E10value_typeET4_jRbjT5_SW_jjP12ihipStream_tbEUlT_E_NS1_11comp_targetILNS1_3genE3ELNS1_11target_archE908ELNS1_3gpuE7ELNS1_3repE0EEENS1_30default_config_static_selectorELNS0_4arch9wavefront6targetE0EEEvSK_.num_named_barrier, 0
	.set _ZN7rocprim17ROCPRIM_400000_NS6detail17trampoline_kernelINS0_14default_configENS1_36segmented_radix_sort_config_selectorIslEEZNS1_25segmented_radix_sort_implIS3_Lb1EPKsPsPKlPlN2at6native12_GLOBAL__N_18offset_tEEE10hipError_tPvRmT1_PNSt15iterator_traitsISK_E10value_typeET2_T3_PNSL_ISQ_E10value_typeET4_jRbjT5_SW_jjP12ihipStream_tbEUlT_E_NS1_11comp_targetILNS1_3genE3ELNS1_11target_archE908ELNS1_3gpuE7ELNS1_3repE0EEENS1_30default_config_static_selectorELNS0_4arch9wavefront6targetE0EEEvSK_.private_seg_size, 0
	.set _ZN7rocprim17ROCPRIM_400000_NS6detail17trampoline_kernelINS0_14default_configENS1_36segmented_radix_sort_config_selectorIslEEZNS1_25segmented_radix_sort_implIS3_Lb1EPKsPsPKlPlN2at6native12_GLOBAL__N_18offset_tEEE10hipError_tPvRmT1_PNSt15iterator_traitsISK_E10value_typeET2_T3_PNSL_ISQ_E10value_typeET4_jRbjT5_SW_jjP12ihipStream_tbEUlT_E_NS1_11comp_targetILNS1_3genE3ELNS1_11target_archE908ELNS1_3gpuE7ELNS1_3repE0EEENS1_30default_config_static_selectorELNS0_4arch9wavefront6targetE0EEEvSK_.uses_vcc, 0
	.set _ZN7rocprim17ROCPRIM_400000_NS6detail17trampoline_kernelINS0_14default_configENS1_36segmented_radix_sort_config_selectorIslEEZNS1_25segmented_radix_sort_implIS3_Lb1EPKsPsPKlPlN2at6native12_GLOBAL__N_18offset_tEEE10hipError_tPvRmT1_PNSt15iterator_traitsISK_E10value_typeET2_T3_PNSL_ISQ_E10value_typeET4_jRbjT5_SW_jjP12ihipStream_tbEUlT_E_NS1_11comp_targetILNS1_3genE3ELNS1_11target_archE908ELNS1_3gpuE7ELNS1_3repE0EEENS1_30default_config_static_selectorELNS0_4arch9wavefront6targetE0EEEvSK_.uses_flat_scratch, 0
	.set _ZN7rocprim17ROCPRIM_400000_NS6detail17trampoline_kernelINS0_14default_configENS1_36segmented_radix_sort_config_selectorIslEEZNS1_25segmented_radix_sort_implIS3_Lb1EPKsPsPKlPlN2at6native12_GLOBAL__N_18offset_tEEE10hipError_tPvRmT1_PNSt15iterator_traitsISK_E10value_typeET2_T3_PNSL_ISQ_E10value_typeET4_jRbjT5_SW_jjP12ihipStream_tbEUlT_E_NS1_11comp_targetILNS1_3genE3ELNS1_11target_archE908ELNS1_3gpuE7ELNS1_3repE0EEENS1_30default_config_static_selectorELNS0_4arch9wavefront6targetE0EEEvSK_.has_dyn_sized_stack, 0
	.set _ZN7rocprim17ROCPRIM_400000_NS6detail17trampoline_kernelINS0_14default_configENS1_36segmented_radix_sort_config_selectorIslEEZNS1_25segmented_radix_sort_implIS3_Lb1EPKsPsPKlPlN2at6native12_GLOBAL__N_18offset_tEEE10hipError_tPvRmT1_PNSt15iterator_traitsISK_E10value_typeET2_T3_PNSL_ISQ_E10value_typeET4_jRbjT5_SW_jjP12ihipStream_tbEUlT_E_NS1_11comp_targetILNS1_3genE3ELNS1_11target_archE908ELNS1_3gpuE7ELNS1_3repE0EEENS1_30default_config_static_selectorELNS0_4arch9wavefront6targetE0EEEvSK_.has_recursion, 0
	.set _ZN7rocprim17ROCPRIM_400000_NS6detail17trampoline_kernelINS0_14default_configENS1_36segmented_radix_sort_config_selectorIslEEZNS1_25segmented_radix_sort_implIS3_Lb1EPKsPsPKlPlN2at6native12_GLOBAL__N_18offset_tEEE10hipError_tPvRmT1_PNSt15iterator_traitsISK_E10value_typeET2_T3_PNSL_ISQ_E10value_typeET4_jRbjT5_SW_jjP12ihipStream_tbEUlT_E_NS1_11comp_targetILNS1_3genE3ELNS1_11target_archE908ELNS1_3gpuE7ELNS1_3repE0EEENS1_30default_config_static_selectorELNS0_4arch9wavefront6targetE0EEEvSK_.has_indirect_call, 0
	.section	.AMDGPU.csdata,"",@progbits
; Kernel info:
; codeLenInByte = 0
; TotalNumSgprs: 0
; NumVgprs: 0
; ScratchSize: 0
; MemoryBound: 0
; FloatMode: 240
; IeeeMode: 1
; LDSByteSize: 0 bytes/workgroup (compile time only)
; SGPRBlocks: 0
; VGPRBlocks: 0
; NumSGPRsForWavesPerEU: 1
; NumVGPRsForWavesPerEU: 1
; NamedBarCnt: 0
; Occupancy: 16
; WaveLimiterHint : 0
; COMPUTE_PGM_RSRC2:SCRATCH_EN: 0
; COMPUTE_PGM_RSRC2:USER_SGPR: 2
; COMPUTE_PGM_RSRC2:TRAP_HANDLER: 0
; COMPUTE_PGM_RSRC2:TGID_X_EN: 1
; COMPUTE_PGM_RSRC2:TGID_Y_EN: 0
; COMPUTE_PGM_RSRC2:TGID_Z_EN: 0
; COMPUTE_PGM_RSRC2:TIDIG_COMP_CNT: 0
	.section	.text._ZN7rocprim17ROCPRIM_400000_NS6detail17trampoline_kernelINS0_14default_configENS1_36segmented_radix_sort_config_selectorIslEEZNS1_25segmented_radix_sort_implIS3_Lb1EPKsPsPKlPlN2at6native12_GLOBAL__N_18offset_tEEE10hipError_tPvRmT1_PNSt15iterator_traitsISK_E10value_typeET2_T3_PNSL_ISQ_E10value_typeET4_jRbjT5_SW_jjP12ihipStream_tbEUlT_E_NS1_11comp_targetILNS1_3genE2ELNS1_11target_archE906ELNS1_3gpuE6ELNS1_3repE0EEENS1_30default_config_static_selectorELNS0_4arch9wavefront6targetE0EEEvSK_,"axG",@progbits,_ZN7rocprim17ROCPRIM_400000_NS6detail17trampoline_kernelINS0_14default_configENS1_36segmented_radix_sort_config_selectorIslEEZNS1_25segmented_radix_sort_implIS3_Lb1EPKsPsPKlPlN2at6native12_GLOBAL__N_18offset_tEEE10hipError_tPvRmT1_PNSt15iterator_traitsISK_E10value_typeET2_T3_PNSL_ISQ_E10value_typeET4_jRbjT5_SW_jjP12ihipStream_tbEUlT_E_NS1_11comp_targetILNS1_3genE2ELNS1_11target_archE906ELNS1_3gpuE6ELNS1_3repE0EEENS1_30default_config_static_selectorELNS0_4arch9wavefront6targetE0EEEvSK_,comdat
	.globl	_ZN7rocprim17ROCPRIM_400000_NS6detail17trampoline_kernelINS0_14default_configENS1_36segmented_radix_sort_config_selectorIslEEZNS1_25segmented_radix_sort_implIS3_Lb1EPKsPsPKlPlN2at6native12_GLOBAL__N_18offset_tEEE10hipError_tPvRmT1_PNSt15iterator_traitsISK_E10value_typeET2_T3_PNSL_ISQ_E10value_typeET4_jRbjT5_SW_jjP12ihipStream_tbEUlT_E_NS1_11comp_targetILNS1_3genE2ELNS1_11target_archE906ELNS1_3gpuE6ELNS1_3repE0EEENS1_30default_config_static_selectorELNS0_4arch9wavefront6targetE0EEEvSK_ ; -- Begin function _ZN7rocprim17ROCPRIM_400000_NS6detail17trampoline_kernelINS0_14default_configENS1_36segmented_radix_sort_config_selectorIslEEZNS1_25segmented_radix_sort_implIS3_Lb1EPKsPsPKlPlN2at6native12_GLOBAL__N_18offset_tEEE10hipError_tPvRmT1_PNSt15iterator_traitsISK_E10value_typeET2_T3_PNSL_ISQ_E10value_typeET4_jRbjT5_SW_jjP12ihipStream_tbEUlT_E_NS1_11comp_targetILNS1_3genE2ELNS1_11target_archE906ELNS1_3gpuE6ELNS1_3repE0EEENS1_30default_config_static_selectorELNS0_4arch9wavefront6targetE0EEEvSK_
	.p2align	8
	.type	_ZN7rocprim17ROCPRIM_400000_NS6detail17trampoline_kernelINS0_14default_configENS1_36segmented_radix_sort_config_selectorIslEEZNS1_25segmented_radix_sort_implIS3_Lb1EPKsPsPKlPlN2at6native12_GLOBAL__N_18offset_tEEE10hipError_tPvRmT1_PNSt15iterator_traitsISK_E10value_typeET2_T3_PNSL_ISQ_E10value_typeET4_jRbjT5_SW_jjP12ihipStream_tbEUlT_E_NS1_11comp_targetILNS1_3genE2ELNS1_11target_archE906ELNS1_3gpuE6ELNS1_3repE0EEENS1_30default_config_static_selectorELNS0_4arch9wavefront6targetE0EEEvSK_,@function
_ZN7rocprim17ROCPRIM_400000_NS6detail17trampoline_kernelINS0_14default_configENS1_36segmented_radix_sort_config_selectorIslEEZNS1_25segmented_radix_sort_implIS3_Lb1EPKsPsPKlPlN2at6native12_GLOBAL__N_18offset_tEEE10hipError_tPvRmT1_PNSt15iterator_traitsISK_E10value_typeET2_T3_PNSL_ISQ_E10value_typeET4_jRbjT5_SW_jjP12ihipStream_tbEUlT_E_NS1_11comp_targetILNS1_3genE2ELNS1_11target_archE906ELNS1_3gpuE6ELNS1_3repE0EEENS1_30default_config_static_selectorELNS0_4arch9wavefront6targetE0EEEvSK_: ; @_ZN7rocprim17ROCPRIM_400000_NS6detail17trampoline_kernelINS0_14default_configENS1_36segmented_radix_sort_config_selectorIslEEZNS1_25segmented_radix_sort_implIS3_Lb1EPKsPsPKlPlN2at6native12_GLOBAL__N_18offset_tEEE10hipError_tPvRmT1_PNSt15iterator_traitsISK_E10value_typeET2_T3_PNSL_ISQ_E10value_typeET4_jRbjT5_SW_jjP12ihipStream_tbEUlT_E_NS1_11comp_targetILNS1_3genE2ELNS1_11target_archE906ELNS1_3gpuE6ELNS1_3repE0EEENS1_30default_config_static_selectorELNS0_4arch9wavefront6targetE0EEEvSK_
; %bb.0:
	.section	.rodata,"a",@progbits
	.p2align	6, 0x0
	.amdhsa_kernel _ZN7rocprim17ROCPRIM_400000_NS6detail17trampoline_kernelINS0_14default_configENS1_36segmented_radix_sort_config_selectorIslEEZNS1_25segmented_radix_sort_implIS3_Lb1EPKsPsPKlPlN2at6native12_GLOBAL__N_18offset_tEEE10hipError_tPvRmT1_PNSt15iterator_traitsISK_E10value_typeET2_T3_PNSL_ISQ_E10value_typeET4_jRbjT5_SW_jjP12ihipStream_tbEUlT_E_NS1_11comp_targetILNS1_3genE2ELNS1_11target_archE906ELNS1_3gpuE6ELNS1_3repE0EEENS1_30default_config_static_selectorELNS0_4arch9wavefront6targetE0EEEvSK_
		.amdhsa_group_segment_fixed_size 0
		.amdhsa_private_segment_fixed_size 0
		.amdhsa_kernarg_size 96
		.amdhsa_user_sgpr_count 2
		.amdhsa_user_sgpr_dispatch_ptr 0
		.amdhsa_user_sgpr_queue_ptr 0
		.amdhsa_user_sgpr_kernarg_segment_ptr 1
		.amdhsa_user_sgpr_dispatch_id 0
		.amdhsa_user_sgpr_kernarg_preload_length 0
		.amdhsa_user_sgpr_kernarg_preload_offset 0
		.amdhsa_user_sgpr_private_segment_size 0
		.amdhsa_wavefront_size32 1
		.amdhsa_uses_dynamic_stack 0
		.amdhsa_enable_private_segment 0
		.amdhsa_system_sgpr_workgroup_id_x 1
		.amdhsa_system_sgpr_workgroup_id_y 0
		.amdhsa_system_sgpr_workgroup_id_z 0
		.amdhsa_system_sgpr_workgroup_info 0
		.amdhsa_system_vgpr_workitem_id 0
		.amdhsa_next_free_vgpr 1
		.amdhsa_next_free_sgpr 1
		.amdhsa_named_barrier_count 0
		.amdhsa_reserve_vcc 0
		.amdhsa_float_round_mode_32 0
		.amdhsa_float_round_mode_16_64 0
		.amdhsa_float_denorm_mode_32 3
		.amdhsa_float_denorm_mode_16_64 3
		.amdhsa_fp16_overflow 0
		.amdhsa_memory_ordered 1
		.amdhsa_forward_progress 1
		.amdhsa_inst_pref_size 0
		.amdhsa_round_robin_scheduling 0
		.amdhsa_exception_fp_ieee_invalid_op 0
		.amdhsa_exception_fp_denorm_src 0
		.amdhsa_exception_fp_ieee_div_zero 0
		.amdhsa_exception_fp_ieee_overflow 0
		.amdhsa_exception_fp_ieee_underflow 0
		.amdhsa_exception_fp_ieee_inexact 0
		.amdhsa_exception_int_div_zero 0
	.end_amdhsa_kernel
	.section	.text._ZN7rocprim17ROCPRIM_400000_NS6detail17trampoline_kernelINS0_14default_configENS1_36segmented_radix_sort_config_selectorIslEEZNS1_25segmented_radix_sort_implIS3_Lb1EPKsPsPKlPlN2at6native12_GLOBAL__N_18offset_tEEE10hipError_tPvRmT1_PNSt15iterator_traitsISK_E10value_typeET2_T3_PNSL_ISQ_E10value_typeET4_jRbjT5_SW_jjP12ihipStream_tbEUlT_E_NS1_11comp_targetILNS1_3genE2ELNS1_11target_archE906ELNS1_3gpuE6ELNS1_3repE0EEENS1_30default_config_static_selectorELNS0_4arch9wavefront6targetE0EEEvSK_,"axG",@progbits,_ZN7rocprim17ROCPRIM_400000_NS6detail17trampoline_kernelINS0_14default_configENS1_36segmented_radix_sort_config_selectorIslEEZNS1_25segmented_radix_sort_implIS3_Lb1EPKsPsPKlPlN2at6native12_GLOBAL__N_18offset_tEEE10hipError_tPvRmT1_PNSt15iterator_traitsISK_E10value_typeET2_T3_PNSL_ISQ_E10value_typeET4_jRbjT5_SW_jjP12ihipStream_tbEUlT_E_NS1_11comp_targetILNS1_3genE2ELNS1_11target_archE906ELNS1_3gpuE6ELNS1_3repE0EEENS1_30default_config_static_selectorELNS0_4arch9wavefront6targetE0EEEvSK_,comdat
.Lfunc_end912:
	.size	_ZN7rocprim17ROCPRIM_400000_NS6detail17trampoline_kernelINS0_14default_configENS1_36segmented_radix_sort_config_selectorIslEEZNS1_25segmented_radix_sort_implIS3_Lb1EPKsPsPKlPlN2at6native12_GLOBAL__N_18offset_tEEE10hipError_tPvRmT1_PNSt15iterator_traitsISK_E10value_typeET2_T3_PNSL_ISQ_E10value_typeET4_jRbjT5_SW_jjP12ihipStream_tbEUlT_E_NS1_11comp_targetILNS1_3genE2ELNS1_11target_archE906ELNS1_3gpuE6ELNS1_3repE0EEENS1_30default_config_static_selectorELNS0_4arch9wavefront6targetE0EEEvSK_, .Lfunc_end912-_ZN7rocprim17ROCPRIM_400000_NS6detail17trampoline_kernelINS0_14default_configENS1_36segmented_radix_sort_config_selectorIslEEZNS1_25segmented_radix_sort_implIS3_Lb1EPKsPsPKlPlN2at6native12_GLOBAL__N_18offset_tEEE10hipError_tPvRmT1_PNSt15iterator_traitsISK_E10value_typeET2_T3_PNSL_ISQ_E10value_typeET4_jRbjT5_SW_jjP12ihipStream_tbEUlT_E_NS1_11comp_targetILNS1_3genE2ELNS1_11target_archE906ELNS1_3gpuE6ELNS1_3repE0EEENS1_30default_config_static_selectorELNS0_4arch9wavefront6targetE0EEEvSK_
                                        ; -- End function
	.set _ZN7rocprim17ROCPRIM_400000_NS6detail17trampoline_kernelINS0_14default_configENS1_36segmented_radix_sort_config_selectorIslEEZNS1_25segmented_radix_sort_implIS3_Lb1EPKsPsPKlPlN2at6native12_GLOBAL__N_18offset_tEEE10hipError_tPvRmT1_PNSt15iterator_traitsISK_E10value_typeET2_T3_PNSL_ISQ_E10value_typeET4_jRbjT5_SW_jjP12ihipStream_tbEUlT_E_NS1_11comp_targetILNS1_3genE2ELNS1_11target_archE906ELNS1_3gpuE6ELNS1_3repE0EEENS1_30default_config_static_selectorELNS0_4arch9wavefront6targetE0EEEvSK_.num_vgpr, 0
	.set _ZN7rocprim17ROCPRIM_400000_NS6detail17trampoline_kernelINS0_14default_configENS1_36segmented_radix_sort_config_selectorIslEEZNS1_25segmented_radix_sort_implIS3_Lb1EPKsPsPKlPlN2at6native12_GLOBAL__N_18offset_tEEE10hipError_tPvRmT1_PNSt15iterator_traitsISK_E10value_typeET2_T3_PNSL_ISQ_E10value_typeET4_jRbjT5_SW_jjP12ihipStream_tbEUlT_E_NS1_11comp_targetILNS1_3genE2ELNS1_11target_archE906ELNS1_3gpuE6ELNS1_3repE0EEENS1_30default_config_static_selectorELNS0_4arch9wavefront6targetE0EEEvSK_.num_agpr, 0
	.set _ZN7rocprim17ROCPRIM_400000_NS6detail17trampoline_kernelINS0_14default_configENS1_36segmented_radix_sort_config_selectorIslEEZNS1_25segmented_radix_sort_implIS3_Lb1EPKsPsPKlPlN2at6native12_GLOBAL__N_18offset_tEEE10hipError_tPvRmT1_PNSt15iterator_traitsISK_E10value_typeET2_T3_PNSL_ISQ_E10value_typeET4_jRbjT5_SW_jjP12ihipStream_tbEUlT_E_NS1_11comp_targetILNS1_3genE2ELNS1_11target_archE906ELNS1_3gpuE6ELNS1_3repE0EEENS1_30default_config_static_selectorELNS0_4arch9wavefront6targetE0EEEvSK_.numbered_sgpr, 0
	.set _ZN7rocprim17ROCPRIM_400000_NS6detail17trampoline_kernelINS0_14default_configENS1_36segmented_radix_sort_config_selectorIslEEZNS1_25segmented_radix_sort_implIS3_Lb1EPKsPsPKlPlN2at6native12_GLOBAL__N_18offset_tEEE10hipError_tPvRmT1_PNSt15iterator_traitsISK_E10value_typeET2_T3_PNSL_ISQ_E10value_typeET4_jRbjT5_SW_jjP12ihipStream_tbEUlT_E_NS1_11comp_targetILNS1_3genE2ELNS1_11target_archE906ELNS1_3gpuE6ELNS1_3repE0EEENS1_30default_config_static_selectorELNS0_4arch9wavefront6targetE0EEEvSK_.num_named_barrier, 0
	.set _ZN7rocprim17ROCPRIM_400000_NS6detail17trampoline_kernelINS0_14default_configENS1_36segmented_radix_sort_config_selectorIslEEZNS1_25segmented_radix_sort_implIS3_Lb1EPKsPsPKlPlN2at6native12_GLOBAL__N_18offset_tEEE10hipError_tPvRmT1_PNSt15iterator_traitsISK_E10value_typeET2_T3_PNSL_ISQ_E10value_typeET4_jRbjT5_SW_jjP12ihipStream_tbEUlT_E_NS1_11comp_targetILNS1_3genE2ELNS1_11target_archE906ELNS1_3gpuE6ELNS1_3repE0EEENS1_30default_config_static_selectorELNS0_4arch9wavefront6targetE0EEEvSK_.private_seg_size, 0
	.set _ZN7rocprim17ROCPRIM_400000_NS6detail17trampoline_kernelINS0_14default_configENS1_36segmented_radix_sort_config_selectorIslEEZNS1_25segmented_radix_sort_implIS3_Lb1EPKsPsPKlPlN2at6native12_GLOBAL__N_18offset_tEEE10hipError_tPvRmT1_PNSt15iterator_traitsISK_E10value_typeET2_T3_PNSL_ISQ_E10value_typeET4_jRbjT5_SW_jjP12ihipStream_tbEUlT_E_NS1_11comp_targetILNS1_3genE2ELNS1_11target_archE906ELNS1_3gpuE6ELNS1_3repE0EEENS1_30default_config_static_selectorELNS0_4arch9wavefront6targetE0EEEvSK_.uses_vcc, 0
	.set _ZN7rocprim17ROCPRIM_400000_NS6detail17trampoline_kernelINS0_14default_configENS1_36segmented_radix_sort_config_selectorIslEEZNS1_25segmented_radix_sort_implIS3_Lb1EPKsPsPKlPlN2at6native12_GLOBAL__N_18offset_tEEE10hipError_tPvRmT1_PNSt15iterator_traitsISK_E10value_typeET2_T3_PNSL_ISQ_E10value_typeET4_jRbjT5_SW_jjP12ihipStream_tbEUlT_E_NS1_11comp_targetILNS1_3genE2ELNS1_11target_archE906ELNS1_3gpuE6ELNS1_3repE0EEENS1_30default_config_static_selectorELNS0_4arch9wavefront6targetE0EEEvSK_.uses_flat_scratch, 0
	.set _ZN7rocprim17ROCPRIM_400000_NS6detail17trampoline_kernelINS0_14default_configENS1_36segmented_radix_sort_config_selectorIslEEZNS1_25segmented_radix_sort_implIS3_Lb1EPKsPsPKlPlN2at6native12_GLOBAL__N_18offset_tEEE10hipError_tPvRmT1_PNSt15iterator_traitsISK_E10value_typeET2_T3_PNSL_ISQ_E10value_typeET4_jRbjT5_SW_jjP12ihipStream_tbEUlT_E_NS1_11comp_targetILNS1_3genE2ELNS1_11target_archE906ELNS1_3gpuE6ELNS1_3repE0EEENS1_30default_config_static_selectorELNS0_4arch9wavefront6targetE0EEEvSK_.has_dyn_sized_stack, 0
	.set _ZN7rocprim17ROCPRIM_400000_NS6detail17trampoline_kernelINS0_14default_configENS1_36segmented_radix_sort_config_selectorIslEEZNS1_25segmented_radix_sort_implIS3_Lb1EPKsPsPKlPlN2at6native12_GLOBAL__N_18offset_tEEE10hipError_tPvRmT1_PNSt15iterator_traitsISK_E10value_typeET2_T3_PNSL_ISQ_E10value_typeET4_jRbjT5_SW_jjP12ihipStream_tbEUlT_E_NS1_11comp_targetILNS1_3genE2ELNS1_11target_archE906ELNS1_3gpuE6ELNS1_3repE0EEENS1_30default_config_static_selectorELNS0_4arch9wavefront6targetE0EEEvSK_.has_recursion, 0
	.set _ZN7rocprim17ROCPRIM_400000_NS6detail17trampoline_kernelINS0_14default_configENS1_36segmented_radix_sort_config_selectorIslEEZNS1_25segmented_radix_sort_implIS3_Lb1EPKsPsPKlPlN2at6native12_GLOBAL__N_18offset_tEEE10hipError_tPvRmT1_PNSt15iterator_traitsISK_E10value_typeET2_T3_PNSL_ISQ_E10value_typeET4_jRbjT5_SW_jjP12ihipStream_tbEUlT_E_NS1_11comp_targetILNS1_3genE2ELNS1_11target_archE906ELNS1_3gpuE6ELNS1_3repE0EEENS1_30default_config_static_selectorELNS0_4arch9wavefront6targetE0EEEvSK_.has_indirect_call, 0
	.section	.AMDGPU.csdata,"",@progbits
; Kernel info:
; codeLenInByte = 0
; TotalNumSgprs: 0
; NumVgprs: 0
; ScratchSize: 0
; MemoryBound: 0
; FloatMode: 240
; IeeeMode: 1
; LDSByteSize: 0 bytes/workgroup (compile time only)
; SGPRBlocks: 0
; VGPRBlocks: 0
; NumSGPRsForWavesPerEU: 1
; NumVGPRsForWavesPerEU: 1
; NamedBarCnt: 0
; Occupancy: 16
; WaveLimiterHint : 0
; COMPUTE_PGM_RSRC2:SCRATCH_EN: 0
; COMPUTE_PGM_RSRC2:USER_SGPR: 2
; COMPUTE_PGM_RSRC2:TRAP_HANDLER: 0
; COMPUTE_PGM_RSRC2:TGID_X_EN: 1
; COMPUTE_PGM_RSRC2:TGID_Y_EN: 0
; COMPUTE_PGM_RSRC2:TGID_Z_EN: 0
; COMPUTE_PGM_RSRC2:TIDIG_COMP_CNT: 0
	.section	.text._ZN7rocprim17ROCPRIM_400000_NS6detail17trampoline_kernelINS0_14default_configENS1_36segmented_radix_sort_config_selectorIslEEZNS1_25segmented_radix_sort_implIS3_Lb1EPKsPsPKlPlN2at6native12_GLOBAL__N_18offset_tEEE10hipError_tPvRmT1_PNSt15iterator_traitsISK_E10value_typeET2_T3_PNSL_ISQ_E10value_typeET4_jRbjT5_SW_jjP12ihipStream_tbEUlT_E_NS1_11comp_targetILNS1_3genE10ELNS1_11target_archE1201ELNS1_3gpuE5ELNS1_3repE0EEENS1_30default_config_static_selectorELNS0_4arch9wavefront6targetE0EEEvSK_,"axG",@progbits,_ZN7rocprim17ROCPRIM_400000_NS6detail17trampoline_kernelINS0_14default_configENS1_36segmented_radix_sort_config_selectorIslEEZNS1_25segmented_radix_sort_implIS3_Lb1EPKsPsPKlPlN2at6native12_GLOBAL__N_18offset_tEEE10hipError_tPvRmT1_PNSt15iterator_traitsISK_E10value_typeET2_T3_PNSL_ISQ_E10value_typeET4_jRbjT5_SW_jjP12ihipStream_tbEUlT_E_NS1_11comp_targetILNS1_3genE10ELNS1_11target_archE1201ELNS1_3gpuE5ELNS1_3repE0EEENS1_30default_config_static_selectorELNS0_4arch9wavefront6targetE0EEEvSK_,comdat
	.globl	_ZN7rocprim17ROCPRIM_400000_NS6detail17trampoline_kernelINS0_14default_configENS1_36segmented_radix_sort_config_selectorIslEEZNS1_25segmented_radix_sort_implIS3_Lb1EPKsPsPKlPlN2at6native12_GLOBAL__N_18offset_tEEE10hipError_tPvRmT1_PNSt15iterator_traitsISK_E10value_typeET2_T3_PNSL_ISQ_E10value_typeET4_jRbjT5_SW_jjP12ihipStream_tbEUlT_E_NS1_11comp_targetILNS1_3genE10ELNS1_11target_archE1201ELNS1_3gpuE5ELNS1_3repE0EEENS1_30default_config_static_selectorELNS0_4arch9wavefront6targetE0EEEvSK_ ; -- Begin function _ZN7rocprim17ROCPRIM_400000_NS6detail17trampoline_kernelINS0_14default_configENS1_36segmented_radix_sort_config_selectorIslEEZNS1_25segmented_radix_sort_implIS3_Lb1EPKsPsPKlPlN2at6native12_GLOBAL__N_18offset_tEEE10hipError_tPvRmT1_PNSt15iterator_traitsISK_E10value_typeET2_T3_PNSL_ISQ_E10value_typeET4_jRbjT5_SW_jjP12ihipStream_tbEUlT_E_NS1_11comp_targetILNS1_3genE10ELNS1_11target_archE1201ELNS1_3gpuE5ELNS1_3repE0EEENS1_30default_config_static_selectorELNS0_4arch9wavefront6targetE0EEEvSK_
	.p2align	8
	.type	_ZN7rocprim17ROCPRIM_400000_NS6detail17trampoline_kernelINS0_14default_configENS1_36segmented_radix_sort_config_selectorIslEEZNS1_25segmented_radix_sort_implIS3_Lb1EPKsPsPKlPlN2at6native12_GLOBAL__N_18offset_tEEE10hipError_tPvRmT1_PNSt15iterator_traitsISK_E10value_typeET2_T3_PNSL_ISQ_E10value_typeET4_jRbjT5_SW_jjP12ihipStream_tbEUlT_E_NS1_11comp_targetILNS1_3genE10ELNS1_11target_archE1201ELNS1_3gpuE5ELNS1_3repE0EEENS1_30default_config_static_selectorELNS0_4arch9wavefront6targetE0EEEvSK_,@function
_ZN7rocprim17ROCPRIM_400000_NS6detail17trampoline_kernelINS0_14default_configENS1_36segmented_radix_sort_config_selectorIslEEZNS1_25segmented_radix_sort_implIS3_Lb1EPKsPsPKlPlN2at6native12_GLOBAL__N_18offset_tEEE10hipError_tPvRmT1_PNSt15iterator_traitsISK_E10value_typeET2_T3_PNSL_ISQ_E10value_typeET4_jRbjT5_SW_jjP12ihipStream_tbEUlT_E_NS1_11comp_targetILNS1_3genE10ELNS1_11target_archE1201ELNS1_3gpuE5ELNS1_3repE0EEENS1_30default_config_static_selectorELNS0_4arch9wavefront6targetE0EEEvSK_: ; @_ZN7rocprim17ROCPRIM_400000_NS6detail17trampoline_kernelINS0_14default_configENS1_36segmented_radix_sort_config_selectorIslEEZNS1_25segmented_radix_sort_implIS3_Lb1EPKsPsPKlPlN2at6native12_GLOBAL__N_18offset_tEEE10hipError_tPvRmT1_PNSt15iterator_traitsISK_E10value_typeET2_T3_PNSL_ISQ_E10value_typeET4_jRbjT5_SW_jjP12ihipStream_tbEUlT_E_NS1_11comp_targetILNS1_3genE10ELNS1_11target_archE1201ELNS1_3gpuE5ELNS1_3repE0EEENS1_30default_config_static_selectorELNS0_4arch9wavefront6targetE0EEEvSK_
; %bb.0:
	.section	.rodata,"a",@progbits
	.p2align	6, 0x0
	.amdhsa_kernel _ZN7rocprim17ROCPRIM_400000_NS6detail17trampoline_kernelINS0_14default_configENS1_36segmented_radix_sort_config_selectorIslEEZNS1_25segmented_radix_sort_implIS3_Lb1EPKsPsPKlPlN2at6native12_GLOBAL__N_18offset_tEEE10hipError_tPvRmT1_PNSt15iterator_traitsISK_E10value_typeET2_T3_PNSL_ISQ_E10value_typeET4_jRbjT5_SW_jjP12ihipStream_tbEUlT_E_NS1_11comp_targetILNS1_3genE10ELNS1_11target_archE1201ELNS1_3gpuE5ELNS1_3repE0EEENS1_30default_config_static_selectorELNS0_4arch9wavefront6targetE0EEEvSK_
		.amdhsa_group_segment_fixed_size 0
		.amdhsa_private_segment_fixed_size 0
		.amdhsa_kernarg_size 96
		.amdhsa_user_sgpr_count 2
		.amdhsa_user_sgpr_dispatch_ptr 0
		.amdhsa_user_sgpr_queue_ptr 0
		.amdhsa_user_sgpr_kernarg_segment_ptr 1
		.amdhsa_user_sgpr_dispatch_id 0
		.amdhsa_user_sgpr_kernarg_preload_length 0
		.amdhsa_user_sgpr_kernarg_preload_offset 0
		.amdhsa_user_sgpr_private_segment_size 0
		.amdhsa_wavefront_size32 1
		.amdhsa_uses_dynamic_stack 0
		.amdhsa_enable_private_segment 0
		.amdhsa_system_sgpr_workgroup_id_x 1
		.amdhsa_system_sgpr_workgroup_id_y 0
		.amdhsa_system_sgpr_workgroup_id_z 0
		.amdhsa_system_sgpr_workgroup_info 0
		.amdhsa_system_vgpr_workitem_id 0
		.amdhsa_next_free_vgpr 1
		.amdhsa_next_free_sgpr 1
		.amdhsa_named_barrier_count 0
		.amdhsa_reserve_vcc 0
		.amdhsa_float_round_mode_32 0
		.amdhsa_float_round_mode_16_64 0
		.amdhsa_float_denorm_mode_32 3
		.amdhsa_float_denorm_mode_16_64 3
		.amdhsa_fp16_overflow 0
		.amdhsa_memory_ordered 1
		.amdhsa_forward_progress 1
		.amdhsa_inst_pref_size 0
		.amdhsa_round_robin_scheduling 0
		.amdhsa_exception_fp_ieee_invalid_op 0
		.amdhsa_exception_fp_denorm_src 0
		.amdhsa_exception_fp_ieee_div_zero 0
		.amdhsa_exception_fp_ieee_overflow 0
		.amdhsa_exception_fp_ieee_underflow 0
		.amdhsa_exception_fp_ieee_inexact 0
		.amdhsa_exception_int_div_zero 0
	.end_amdhsa_kernel
	.section	.text._ZN7rocprim17ROCPRIM_400000_NS6detail17trampoline_kernelINS0_14default_configENS1_36segmented_radix_sort_config_selectorIslEEZNS1_25segmented_radix_sort_implIS3_Lb1EPKsPsPKlPlN2at6native12_GLOBAL__N_18offset_tEEE10hipError_tPvRmT1_PNSt15iterator_traitsISK_E10value_typeET2_T3_PNSL_ISQ_E10value_typeET4_jRbjT5_SW_jjP12ihipStream_tbEUlT_E_NS1_11comp_targetILNS1_3genE10ELNS1_11target_archE1201ELNS1_3gpuE5ELNS1_3repE0EEENS1_30default_config_static_selectorELNS0_4arch9wavefront6targetE0EEEvSK_,"axG",@progbits,_ZN7rocprim17ROCPRIM_400000_NS6detail17trampoline_kernelINS0_14default_configENS1_36segmented_radix_sort_config_selectorIslEEZNS1_25segmented_radix_sort_implIS3_Lb1EPKsPsPKlPlN2at6native12_GLOBAL__N_18offset_tEEE10hipError_tPvRmT1_PNSt15iterator_traitsISK_E10value_typeET2_T3_PNSL_ISQ_E10value_typeET4_jRbjT5_SW_jjP12ihipStream_tbEUlT_E_NS1_11comp_targetILNS1_3genE10ELNS1_11target_archE1201ELNS1_3gpuE5ELNS1_3repE0EEENS1_30default_config_static_selectorELNS0_4arch9wavefront6targetE0EEEvSK_,comdat
.Lfunc_end913:
	.size	_ZN7rocprim17ROCPRIM_400000_NS6detail17trampoline_kernelINS0_14default_configENS1_36segmented_radix_sort_config_selectorIslEEZNS1_25segmented_radix_sort_implIS3_Lb1EPKsPsPKlPlN2at6native12_GLOBAL__N_18offset_tEEE10hipError_tPvRmT1_PNSt15iterator_traitsISK_E10value_typeET2_T3_PNSL_ISQ_E10value_typeET4_jRbjT5_SW_jjP12ihipStream_tbEUlT_E_NS1_11comp_targetILNS1_3genE10ELNS1_11target_archE1201ELNS1_3gpuE5ELNS1_3repE0EEENS1_30default_config_static_selectorELNS0_4arch9wavefront6targetE0EEEvSK_, .Lfunc_end913-_ZN7rocprim17ROCPRIM_400000_NS6detail17trampoline_kernelINS0_14default_configENS1_36segmented_radix_sort_config_selectorIslEEZNS1_25segmented_radix_sort_implIS3_Lb1EPKsPsPKlPlN2at6native12_GLOBAL__N_18offset_tEEE10hipError_tPvRmT1_PNSt15iterator_traitsISK_E10value_typeET2_T3_PNSL_ISQ_E10value_typeET4_jRbjT5_SW_jjP12ihipStream_tbEUlT_E_NS1_11comp_targetILNS1_3genE10ELNS1_11target_archE1201ELNS1_3gpuE5ELNS1_3repE0EEENS1_30default_config_static_selectorELNS0_4arch9wavefront6targetE0EEEvSK_
                                        ; -- End function
	.set _ZN7rocprim17ROCPRIM_400000_NS6detail17trampoline_kernelINS0_14default_configENS1_36segmented_radix_sort_config_selectorIslEEZNS1_25segmented_radix_sort_implIS3_Lb1EPKsPsPKlPlN2at6native12_GLOBAL__N_18offset_tEEE10hipError_tPvRmT1_PNSt15iterator_traitsISK_E10value_typeET2_T3_PNSL_ISQ_E10value_typeET4_jRbjT5_SW_jjP12ihipStream_tbEUlT_E_NS1_11comp_targetILNS1_3genE10ELNS1_11target_archE1201ELNS1_3gpuE5ELNS1_3repE0EEENS1_30default_config_static_selectorELNS0_4arch9wavefront6targetE0EEEvSK_.num_vgpr, 0
	.set _ZN7rocprim17ROCPRIM_400000_NS6detail17trampoline_kernelINS0_14default_configENS1_36segmented_radix_sort_config_selectorIslEEZNS1_25segmented_radix_sort_implIS3_Lb1EPKsPsPKlPlN2at6native12_GLOBAL__N_18offset_tEEE10hipError_tPvRmT1_PNSt15iterator_traitsISK_E10value_typeET2_T3_PNSL_ISQ_E10value_typeET4_jRbjT5_SW_jjP12ihipStream_tbEUlT_E_NS1_11comp_targetILNS1_3genE10ELNS1_11target_archE1201ELNS1_3gpuE5ELNS1_3repE0EEENS1_30default_config_static_selectorELNS0_4arch9wavefront6targetE0EEEvSK_.num_agpr, 0
	.set _ZN7rocprim17ROCPRIM_400000_NS6detail17trampoline_kernelINS0_14default_configENS1_36segmented_radix_sort_config_selectorIslEEZNS1_25segmented_radix_sort_implIS3_Lb1EPKsPsPKlPlN2at6native12_GLOBAL__N_18offset_tEEE10hipError_tPvRmT1_PNSt15iterator_traitsISK_E10value_typeET2_T3_PNSL_ISQ_E10value_typeET4_jRbjT5_SW_jjP12ihipStream_tbEUlT_E_NS1_11comp_targetILNS1_3genE10ELNS1_11target_archE1201ELNS1_3gpuE5ELNS1_3repE0EEENS1_30default_config_static_selectorELNS0_4arch9wavefront6targetE0EEEvSK_.numbered_sgpr, 0
	.set _ZN7rocprim17ROCPRIM_400000_NS6detail17trampoline_kernelINS0_14default_configENS1_36segmented_radix_sort_config_selectorIslEEZNS1_25segmented_radix_sort_implIS3_Lb1EPKsPsPKlPlN2at6native12_GLOBAL__N_18offset_tEEE10hipError_tPvRmT1_PNSt15iterator_traitsISK_E10value_typeET2_T3_PNSL_ISQ_E10value_typeET4_jRbjT5_SW_jjP12ihipStream_tbEUlT_E_NS1_11comp_targetILNS1_3genE10ELNS1_11target_archE1201ELNS1_3gpuE5ELNS1_3repE0EEENS1_30default_config_static_selectorELNS0_4arch9wavefront6targetE0EEEvSK_.num_named_barrier, 0
	.set _ZN7rocprim17ROCPRIM_400000_NS6detail17trampoline_kernelINS0_14default_configENS1_36segmented_radix_sort_config_selectorIslEEZNS1_25segmented_radix_sort_implIS3_Lb1EPKsPsPKlPlN2at6native12_GLOBAL__N_18offset_tEEE10hipError_tPvRmT1_PNSt15iterator_traitsISK_E10value_typeET2_T3_PNSL_ISQ_E10value_typeET4_jRbjT5_SW_jjP12ihipStream_tbEUlT_E_NS1_11comp_targetILNS1_3genE10ELNS1_11target_archE1201ELNS1_3gpuE5ELNS1_3repE0EEENS1_30default_config_static_selectorELNS0_4arch9wavefront6targetE0EEEvSK_.private_seg_size, 0
	.set _ZN7rocprim17ROCPRIM_400000_NS6detail17trampoline_kernelINS0_14default_configENS1_36segmented_radix_sort_config_selectorIslEEZNS1_25segmented_radix_sort_implIS3_Lb1EPKsPsPKlPlN2at6native12_GLOBAL__N_18offset_tEEE10hipError_tPvRmT1_PNSt15iterator_traitsISK_E10value_typeET2_T3_PNSL_ISQ_E10value_typeET4_jRbjT5_SW_jjP12ihipStream_tbEUlT_E_NS1_11comp_targetILNS1_3genE10ELNS1_11target_archE1201ELNS1_3gpuE5ELNS1_3repE0EEENS1_30default_config_static_selectorELNS0_4arch9wavefront6targetE0EEEvSK_.uses_vcc, 0
	.set _ZN7rocprim17ROCPRIM_400000_NS6detail17trampoline_kernelINS0_14default_configENS1_36segmented_radix_sort_config_selectorIslEEZNS1_25segmented_radix_sort_implIS3_Lb1EPKsPsPKlPlN2at6native12_GLOBAL__N_18offset_tEEE10hipError_tPvRmT1_PNSt15iterator_traitsISK_E10value_typeET2_T3_PNSL_ISQ_E10value_typeET4_jRbjT5_SW_jjP12ihipStream_tbEUlT_E_NS1_11comp_targetILNS1_3genE10ELNS1_11target_archE1201ELNS1_3gpuE5ELNS1_3repE0EEENS1_30default_config_static_selectorELNS0_4arch9wavefront6targetE0EEEvSK_.uses_flat_scratch, 0
	.set _ZN7rocprim17ROCPRIM_400000_NS6detail17trampoline_kernelINS0_14default_configENS1_36segmented_radix_sort_config_selectorIslEEZNS1_25segmented_radix_sort_implIS3_Lb1EPKsPsPKlPlN2at6native12_GLOBAL__N_18offset_tEEE10hipError_tPvRmT1_PNSt15iterator_traitsISK_E10value_typeET2_T3_PNSL_ISQ_E10value_typeET4_jRbjT5_SW_jjP12ihipStream_tbEUlT_E_NS1_11comp_targetILNS1_3genE10ELNS1_11target_archE1201ELNS1_3gpuE5ELNS1_3repE0EEENS1_30default_config_static_selectorELNS0_4arch9wavefront6targetE0EEEvSK_.has_dyn_sized_stack, 0
	.set _ZN7rocprim17ROCPRIM_400000_NS6detail17trampoline_kernelINS0_14default_configENS1_36segmented_radix_sort_config_selectorIslEEZNS1_25segmented_radix_sort_implIS3_Lb1EPKsPsPKlPlN2at6native12_GLOBAL__N_18offset_tEEE10hipError_tPvRmT1_PNSt15iterator_traitsISK_E10value_typeET2_T3_PNSL_ISQ_E10value_typeET4_jRbjT5_SW_jjP12ihipStream_tbEUlT_E_NS1_11comp_targetILNS1_3genE10ELNS1_11target_archE1201ELNS1_3gpuE5ELNS1_3repE0EEENS1_30default_config_static_selectorELNS0_4arch9wavefront6targetE0EEEvSK_.has_recursion, 0
	.set _ZN7rocprim17ROCPRIM_400000_NS6detail17trampoline_kernelINS0_14default_configENS1_36segmented_radix_sort_config_selectorIslEEZNS1_25segmented_radix_sort_implIS3_Lb1EPKsPsPKlPlN2at6native12_GLOBAL__N_18offset_tEEE10hipError_tPvRmT1_PNSt15iterator_traitsISK_E10value_typeET2_T3_PNSL_ISQ_E10value_typeET4_jRbjT5_SW_jjP12ihipStream_tbEUlT_E_NS1_11comp_targetILNS1_3genE10ELNS1_11target_archE1201ELNS1_3gpuE5ELNS1_3repE0EEENS1_30default_config_static_selectorELNS0_4arch9wavefront6targetE0EEEvSK_.has_indirect_call, 0
	.section	.AMDGPU.csdata,"",@progbits
; Kernel info:
; codeLenInByte = 0
; TotalNumSgprs: 0
; NumVgprs: 0
; ScratchSize: 0
; MemoryBound: 0
; FloatMode: 240
; IeeeMode: 1
; LDSByteSize: 0 bytes/workgroup (compile time only)
; SGPRBlocks: 0
; VGPRBlocks: 0
; NumSGPRsForWavesPerEU: 1
; NumVGPRsForWavesPerEU: 1
; NamedBarCnt: 0
; Occupancy: 16
; WaveLimiterHint : 0
; COMPUTE_PGM_RSRC2:SCRATCH_EN: 0
; COMPUTE_PGM_RSRC2:USER_SGPR: 2
; COMPUTE_PGM_RSRC2:TRAP_HANDLER: 0
; COMPUTE_PGM_RSRC2:TGID_X_EN: 1
; COMPUTE_PGM_RSRC2:TGID_Y_EN: 0
; COMPUTE_PGM_RSRC2:TGID_Z_EN: 0
; COMPUTE_PGM_RSRC2:TIDIG_COMP_CNT: 0
	.section	.text._ZN7rocprim17ROCPRIM_400000_NS6detail17trampoline_kernelINS0_14default_configENS1_36segmented_radix_sort_config_selectorIslEEZNS1_25segmented_radix_sort_implIS3_Lb1EPKsPsPKlPlN2at6native12_GLOBAL__N_18offset_tEEE10hipError_tPvRmT1_PNSt15iterator_traitsISK_E10value_typeET2_T3_PNSL_ISQ_E10value_typeET4_jRbjT5_SW_jjP12ihipStream_tbEUlT_E_NS1_11comp_targetILNS1_3genE10ELNS1_11target_archE1200ELNS1_3gpuE4ELNS1_3repE0EEENS1_30default_config_static_selectorELNS0_4arch9wavefront6targetE0EEEvSK_,"axG",@progbits,_ZN7rocprim17ROCPRIM_400000_NS6detail17trampoline_kernelINS0_14default_configENS1_36segmented_radix_sort_config_selectorIslEEZNS1_25segmented_radix_sort_implIS3_Lb1EPKsPsPKlPlN2at6native12_GLOBAL__N_18offset_tEEE10hipError_tPvRmT1_PNSt15iterator_traitsISK_E10value_typeET2_T3_PNSL_ISQ_E10value_typeET4_jRbjT5_SW_jjP12ihipStream_tbEUlT_E_NS1_11comp_targetILNS1_3genE10ELNS1_11target_archE1200ELNS1_3gpuE4ELNS1_3repE0EEENS1_30default_config_static_selectorELNS0_4arch9wavefront6targetE0EEEvSK_,comdat
	.globl	_ZN7rocprim17ROCPRIM_400000_NS6detail17trampoline_kernelINS0_14default_configENS1_36segmented_radix_sort_config_selectorIslEEZNS1_25segmented_radix_sort_implIS3_Lb1EPKsPsPKlPlN2at6native12_GLOBAL__N_18offset_tEEE10hipError_tPvRmT1_PNSt15iterator_traitsISK_E10value_typeET2_T3_PNSL_ISQ_E10value_typeET4_jRbjT5_SW_jjP12ihipStream_tbEUlT_E_NS1_11comp_targetILNS1_3genE10ELNS1_11target_archE1200ELNS1_3gpuE4ELNS1_3repE0EEENS1_30default_config_static_selectorELNS0_4arch9wavefront6targetE0EEEvSK_ ; -- Begin function _ZN7rocprim17ROCPRIM_400000_NS6detail17trampoline_kernelINS0_14default_configENS1_36segmented_radix_sort_config_selectorIslEEZNS1_25segmented_radix_sort_implIS3_Lb1EPKsPsPKlPlN2at6native12_GLOBAL__N_18offset_tEEE10hipError_tPvRmT1_PNSt15iterator_traitsISK_E10value_typeET2_T3_PNSL_ISQ_E10value_typeET4_jRbjT5_SW_jjP12ihipStream_tbEUlT_E_NS1_11comp_targetILNS1_3genE10ELNS1_11target_archE1200ELNS1_3gpuE4ELNS1_3repE0EEENS1_30default_config_static_selectorELNS0_4arch9wavefront6targetE0EEEvSK_
	.p2align	8
	.type	_ZN7rocprim17ROCPRIM_400000_NS6detail17trampoline_kernelINS0_14default_configENS1_36segmented_radix_sort_config_selectorIslEEZNS1_25segmented_radix_sort_implIS3_Lb1EPKsPsPKlPlN2at6native12_GLOBAL__N_18offset_tEEE10hipError_tPvRmT1_PNSt15iterator_traitsISK_E10value_typeET2_T3_PNSL_ISQ_E10value_typeET4_jRbjT5_SW_jjP12ihipStream_tbEUlT_E_NS1_11comp_targetILNS1_3genE10ELNS1_11target_archE1200ELNS1_3gpuE4ELNS1_3repE0EEENS1_30default_config_static_selectorELNS0_4arch9wavefront6targetE0EEEvSK_,@function
_ZN7rocprim17ROCPRIM_400000_NS6detail17trampoline_kernelINS0_14default_configENS1_36segmented_radix_sort_config_selectorIslEEZNS1_25segmented_radix_sort_implIS3_Lb1EPKsPsPKlPlN2at6native12_GLOBAL__N_18offset_tEEE10hipError_tPvRmT1_PNSt15iterator_traitsISK_E10value_typeET2_T3_PNSL_ISQ_E10value_typeET4_jRbjT5_SW_jjP12ihipStream_tbEUlT_E_NS1_11comp_targetILNS1_3genE10ELNS1_11target_archE1200ELNS1_3gpuE4ELNS1_3repE0EEENS1_30default_config_static_selectorELNS0_4arch9wavefront6targetE0EEEvSK_: ; @_ZN7rocprim17ROCPRIM_400000_NS6detail17trampoline_kernelINS0_14default_configENS1_36segmented_radix_sort_config_selectorIslEEZNS1_25segmented_radix_sort_implIS3_Lb1EPKsPsPKlPlN2at6native12_GLOBAL__N_18offset_tEEE10hipError_tPvRmT1_PNSt15iterator_traitsISK_E10value_typeET2_T3_PNSL_ISQ_E10value_typeET4_jRbjT5_SW_jjP12ihipStream_tbEUlT_E_NS1_11comp_targetILNS1_3genE10ELNS1_11target_archE1200ELNS1_3gpuE4ELNS1_3repE0EEENS1_30default_config_static_selectorELNS0_4arch9wavefront6targetE0EEEvSK_
; %bb.0:
	.section	.rodata,"a",@progbits
	.p2align	6, 0x0
	.amdhsa_kernel _ZN7rocprim17ROCPRIM_400000_NS6detail17trampoline_kernelINS0_14default_configENS1_36segmented_radix_sort_config_selectorIslEEZNS1_25segmented_radix_sort_implIS3_Lb1EPKsPsPKlPlN2at6native12_GLOBAL__N_18offset_tEEE10hipError_tPvRmT1_PNSt15iterator_traitsISK_E10value_typeET2_T3_PNSL_ISQ_E10value_typeET4_jRbjT5_SW_jjP12ihipStream_tbEUlT_E_NS1_11comp_targetILNS1_3genE10ELNS1_11target_archE1200ELNS1_3gpuE4ELNS1_3repE0EEENS1_30default_config_static_selectorELNS0_4arch9wavefront6targetE0EEEvSK_
		.amdhsa_group_segment_fixed_size 0
		.amdhsa_private_segment_fixed_size 0
		.amdhsa_kernarg_size 96
		.amdhsa_user_sgpr_count 2
		.amdhsa_user_sgpr_dispatch_ptr 0
		.amdhsa_user_sgpr_queue_ptr 0
		.amdhsa_user_sgpr_kernarg_segment_ptr 1
		.amdhsa_user_sgpr_dispatch_id 0
		.amdhsa_user_sgpr_kernarg_preload_length 0
		.amdhsa_user_sgpr_kernarg_preload_offset 0
		.amdhsa_user_sgpr_private_segment_size 0
		.amdhsa_wavefront_size32 1
		.amdhsa_uses_dynamic_stack 0
		.amdhsa_enable_private_segment 0
		.amdhsa_system_sgpr_workgroup_id_x 1
		.amdhsa_system_sgpr_workgroup_id_y 0
		.amdhsa_system_sgpr_workgroup_id_z 0
		.amdhsa_system_sgpr_workgroup_info 0
		.amdhsa_system_vgpr_workitem_id 0
		.amdhsa_next_free_vgpr 1
		.amdhsa_next_free_sgpr 1
		.amdhsa_named_barrier_count 0
		.amdhsa_reserve_vcc 0
		.amdhsa_float_round_mode_32 0
		.amdhsa_float_round_mode_16_64 0
		.amdhsa_float_denorm_mode_32 3
		.amdhsa_float_denorm_mode_16_64 3
		.amdhsa_fp16_overflow 0
		.amdhsa_memory_ordered 1
		.amdhsa_forward_progress 1
		.amdhsa_inst_pref_size 0
		.amdhsa_round_robin_scheduling 0
		.amdhsa_exception_fp_ieee_invalid_op 0
		.amdhsa_exception_fp_denorm_src 0
		.amdhsa_exception_fp_ieee_div_zero 0
		.amdhsa_exception_fp_ieee_overflow 0
		.amdhsa_exception_fp_ieee_underflow 0
		.amdhsa_exception_fp_ieee_inexact 0
		.amdhsa_exception_int_div_zero 0
	.end_amdhsa_kernel
	.section	.text._ZN7rocprim17ROCPRIM_400000_NS6detail17trampoline_kernelINS0_14default_configENS1_36segmented_radix_sort_config_selectorIslEEZNS1_25segmented_radix_sort_implIS3_Lb1EPKsPsPKlPlN2at6native12_GLOBAL__N_18offset_tEEE10hipError_tPvRmT1_PNSt15iterator_traitsISK_E10value_typeET2_T3_PNSL_ISQ_E10value_typeET4_jRbjT5_SW_jjP12ihipStream_tbEUlT_E_NS1_11comp_targetILNS1_3genE10ELNS1_11target_archE1200ELNS1_3gpuE4ELNS1_3repE0EEENS1_30default_config_static_selectorELNS0_4arch9wavefront6targetE0EEEvSK_,"axG",@progbits,_ZN7rocprim17ROCPRIM_400000_NS6detail17trampoline_kernelINS0_14default_configENS1_36segmented_radix_sort_config_selectorIslEEZNS1_25segmented_radix_sort_implIS3_Lb1EPKsPsPKlPlN2at6native12_GLOBAL__N_18offset_tEEE10hipError_tPvRmT1_PNSt15iterator_traitsISK_E10value_typeET2_T3_PNSL_ISQ_E10value_typeET4_jRbjT5_SW_jjP12ihipStream_tbEUlT_E_NS1_11comp_targetILNS1_3genE10ELNS1_11target_archE1200ELNS1_3gpuE4ELNS1_3repE0EEENS1_30default_config_static_selectorELNS0_4arch9wavefront6targetE0EEEvSK_,comdat
.Lfunc_end914:
	.size	_ZN7rocprim17ROCPRIM_400000_NS6detail17trampoline_kernelINS0_14default_configENS1_36segmented_radix_sort_config_selectorIslEEZNS1_25segmented_radix_sort_implIS3_Lb1EPKsPsPKlPlN2at6native12_GLOBAL__N_18offset_tEEE10hipError_tPvRmT1_PNSt15iterator_traitsISK_E10value_typeET2_T3_PNSL_ISQ_E10value_typeET4_jRbjT5_SW_jjP12ihipStream_tbEUlT_E_NS1_11comp_targetILNS1_3genE10ELNS1_11target_archE1200ELNS1_3gpuE4ELNS1_3repE0EEENS1_30default_config_static_selectorELNS0_4arch9wavefront6targetE0EEEvSK_, .Lfunc_end914-_ZN7rocprim17ROCPRIM_400000_NS6detail17trampoline_kernelINS0_14default_configENS1_36segmented_radix_sort_config_selectorIslEEZNS1_25segmented_radix_sort_implIS3_Lb1EPKsPsPKlPlN2at6native12_GLOBAL__N_18offset_tEEE10hipError_tPvRmT1_PNSt15iterator_traitsISK_E10value_typeET2_T3_PNSL_ISQ_E10value_typeET4_jRbjT5_SW_jjP12ihipStream_tbEUlT_E_NS1_11comp_targetILNS1_3genE10ELNS1_11target_archE1200ELNS1_3gpuE4ELNS1_3repE0EEENS1_30default_config_static_selectorELNS0_4arch9wavefront6targetE0EEEvSK_
                                        ; -- End function
	.set _ZN7rocprim17ROCPRIM_400000_NS6detail17trampoline_kernelINS0_14default_configENS1_36segmented_radix_sort_config_selectorIslEEZNS1_25segmented_radix_sort_implIS3_Lb1EPKsPsPKlPlN2at6native12_GLOBAL__N_18offset_tEEE10hipError_tPvRmT1_PNSt15iterator_traitsISK_E10value_typeET2_T3_PNSL_ISQ_E10value_typeET4_jRbjT5_SW_jjP12ihipStream_tbEUlT_E_NS1_11comp_targetILNS1_3genE10ELNS1_11target_archE1200ELNS1_3gpuE4ELNS1_3repE0EEENS1_30default_config_static_selectorELNS0_4arch9wavefront6targetE0EEEvSK_.num_vgpr, 0
	.set _ZN7rocprim17ROCPRIM_400000_NS6detail17trampoline_kernelINS0_14default_configENS1_36segmented_radix_sort_config_selectorIslEEZNS1_25segmented_radix_sort_implIS3_Lb1EPKsPsPKlPlN2at6native12_GLOBAL__N_18offset_tEEE10hipError_tPvRmT1_PNSt15iterator_traitsISK_E10value_typeET2_T3_PNSL_ISQ_E10value_typeET4_jRbjT5_SW_jjP12ihipStream_tbEUlT_E_NS1_11comp_targetILNS1_3genE10ELNS1_11target_archE1200ELNS1_3gpuE4ELNS1_3repE0EEENS1_30default_config_static_selectorELNS0_4arch9wavefront6targetE0EEEvSK_.num_agpr, 0
	.set _ZN7rocprim17ROCPRIM_400000_NS6detail17trampoline_kernelINS0_14default_configENS1_36segmented_radix_sort_config_selectorIslEEZNS1_25segmented_radix_sort_implIS3_Lb1EPKsPsPKlPlN2at6native12_GLOBAL__N_18offset_tEEE10hipError_tPvRmT1_PNSt15iterator_traitsISK_E10value_typeET2_T3_PNSL_ISQ_E10value_typeET4_jRbjT5_SW_jjP12ihipStream_tbEUlT_E_NS1_11comp_targetILNS1_3genE10ELNS1_11target_archE1200ELNS1_3gpuE4ELNS1_3repE0EEENS1_30default_config_static_selectorELNS0_4arch9wavefront6targetE0EEEvSK_.numbered_sgpr, 0
	.set _ZN7rocprim17ROCPRIM_400000_NS6detail17trampoline_kernelINS0_14default_configENS1_36segmented_radix_sort_config_selectorIslEEZNS1_25segmented_radix_sort_implIS3_Lb1EPKsPsPKlPlN2at6native12_GLOBAL__N_18offset_tEEE10hipError_tPvRmT1_PNSt15iterator_traitsISK_E10value_typeET2_T3_PNSL_ISQ_E10value_typeET4_jRbjT5_SW_jjP12ihipStream_tbEUlT_E_NS1_11comp_targetILNS1_3genE10ELNS1_11target_archE1200ELNS1_3gpuE4ELNS1_3repE0EEENS1_30default_config_static_selectorELNS0_4arch9wavefront6targetE0EEEvSK_.num_named_barrier, 0
	.set _ZN7rocprim17ROCPRIM_400000_NS6detail17trampoline_kernelINS0_14default_configENS1_36segmented_radix_sort_config_selectorIslEEZNS1_25segmented_radix_sort_implIS3_Lb1EPKsPsPKlPlN2at6native12_GLOBAL__N_18offset_tEEE10hipError_tPvRmT1_PNSt15iterator_traitsISK_E10value_typeET2_T3_PNSL_ISQ_E10value_typeET4_jRbjT5_SW_jjP12ihipStream_tbEUlT_E_NS1_11comp_targetILNS1_3genE10ELNS1_11target_archE1200ELNS1_3gpuE4ELNS1_3repE0EEENS1_30default_config_static_selectorELNS0_4arch9wavefront6targetE0EEEvSK_.private_seg_size, 0
	.set _ZN7rocprim17ROCPRIM_400000_NS6detail17trampoline_kernelINS0_14default_configENS1_36segmented_radix_sort_config_selectorIslEEZNS1_25segmented_radix_sort_implIS3_Lb1EPKsPsPKlPlN2at6native12_GLOBAL__N_18offset_tEEE10hipError_tPvRmT1_PNSt15iterator_traitsISK_E10value_typeET2_T3_PNSL_ISQ_E10value_typeET4_jRbjT5_SW_jjP12ihipStream_tbEUlT_E_NS1_11comp_targetILNS1_3genE10ELNS1_11target_archE1200ELNS1_3gpuE4ELNS1_3repE0EEENS1_30default_config_static_selectorELNS0_4arch9wavefront6targetE0EEEvSK_.uses_vcc, 0
	.set _ZN7rocprim17ROCPRIM_400000_NS6detail17trampoline_kernelINS0_14default_configENS1_36segmented_radix_sort_config_selectorIslEEZNS1_25segmented_radix_sort_implIS3_Lb1EPKsPsPKlPlN2at6native12_GLOBAL__N_18offset_tEEE10hipError_tPvRmT1_PNSt15iterator_traitsISK_E10value_typeET2_T3_PNSL_ISQ_E10value_typeET4_jRbjT5_SW_jjP12ihipStream_tbEUlT_E_NS1_11comp_targetILNS1_3genE10ELNS1_11target_archE1200ELNS1_3gpuE4ELNS1_3repE0EEENS1_30default_config_static_selectorELNS0_4arch9wavefront6targetE0EEEvSK_.uses_flat_scratch, 0
	.set _ZN7rocprim17ROCPRIM_400000_NS6detail17trampoline_kernelINS0_14default_configENS1_36segmented_radix_sort_config_selectorIslEEZNS1_25segmented_radix_sort_implIS3_Lb1EPKsPsPKlPlN2at6native12_GLOBAL__N_18offset_tEEE10hipError_tPvRmT1_PNSt15iterator_traitsISK_E10value_typeET2_T3_PNSL_ISQ_E10value_typeET4_jRbjT5_SW_jjP12ihipStream_tbEUlT_E_NS1_11comp_targetILNS1_3genE10ELNS1_11target_archE1200ELNS1_3gpuE4ELNS1_3repE0EEENS1_30default_config_static_selectorELNS0_4arch9wavefront6targetE0EEEvSK_.has_dyn_sized_stack, 0
	.set _ZN7rocprim17ROCPRIM_400000_NS6detail17trampoline_kernelINS0_14default_configENS1_36segmented_radix_sort_config_selectorIslEEZNS1_25segmented_radix_sort_implIS3_Lb1EPKsPsPKlPlN2at6native12_GLOBAL__N_18offset_tEEE10hipError_tPvRmT1_PNSt15iterator_traitsISK_E10value_typeET2_T3_PNSL_ISQ_E10value_typeET4_jRbjT5_SW_jjP12ihipStream_tbEUlT_E_NS1_11comp_targetILNS1_3genE10ELNS1_11target_archE1200ELNS1_3gpuE4ELNS1_3repE0EEENS1_30default_config_static_selectorELNS0_4arch9wavefront6targetE0EEEvSK_.has_recursion, 0
	.set _ZN7rocprim17ROCPRIM_400000_NS6detail17trampoline_kernelINS0_14default_configENS1_36segmented_radix_sort_config_selectorIslEEZNS1_25segmented_radix_sort_implIS3_Lb1EPKsPsPKlPlN2at6native12_GLOBAL__N_18offset_tEEE10hipError_tPvRmT1_PNSt15iterator_traitsISK_E10value_typeET2_T3_PNSL_ISQ_E10value_typeET4_jRbjT5_SW_jjP12ihipStream_tbEUlT_E_NS1_11comp_targetILNS1_3genE10ELNS1_11target_archE1200ELNS1_3gpuE4ELNS1_3repE0EEENS1_30default_config_static_selectorELNS0_4arch9wavefront6targetE0EEEvSK_.has_indirect_call, 0
	.section	.AMDGPU.csdata,"",@progbits
; Kernel info:
; codeLenInByte = 0
; TotalNumSgprs: 0
; NumVgprs: 0
; ScratchSize: 0
; MemoryBound: 0
; FloatMode: 240
; IeeeMode: 1
; LDSByteSize: 0 bytes/workgroup (compile time only)
; SGPRBlocks: 0
; VGPRBlocks: 0
; NumSGPRsForWavesPerEU: 1
; NumVGPRsForWavesPerEU: 1
; NamedBarCnt: 0
; Occupancy: 16
; WaveLimiterHint : 0
; COMPUTE_PGM_RSRC2:SCRATCH_EN: 0
; COMPUTE_PGM_RSRC2:USER_SGPR: 2
; COMPUTE_PGM_RSRC2:TRAP_HANDLER: 0
; COMPUTE_PGM_RSRC2:TGID_X_EN: 1
; COMPUTE_PGM_RSRC2:TGID_Y_EN: 0
; COMPUTE_PGM_RSRC2:TGID_Z_EN: 0
; COMPUTE_PGM_RSRC2:TIDIG_COMP_CNT: 0
	.section	.text._ZN7rocprim17ROCPRIM_400000_NS6detail17trampoline_kernelINS0_14default_configENS1_36segmented_radix_sort_config_selectorIslEEZNS1_25segmented_radix_sort_implIS3_Lb1EPKsPsPKlPlN2at6native12_GLOBAL__N_18offset_tEEE10hipError_tPvRmT1_PNSt15iterator_traitsISK_E10value_typeET2_T3_PNSL_ISQ_E10value_typeET4_jRbjT5_SW_jjP12ihipStream_tbEUlT_E_NS1_11comp_targetILNS1_3genE9ELNS1_11target_archE1100ELNS1_3gpuE3ELNS1_3repE0EEENS1_30default_config_static_selectorELNS0_4arch9wavefront6targetE0EEEvSK_,"axG",@progbits,_ZN7rocprim17ROCPRIM_400000_NS6detail17trampoline_kernelINS0_14default_configENS1_36segmented_radix_sort_config_selectorIslEEZNS1_25segmented_radix_sort_implIS3_Lb1EPKsPsPKlPlN2at6native12_GLOBAL__N_18offset_tEEE10hipError_tPvRmT1_PNSt15iterator_traitsISK_E10value_typeET2_T3_PNSL_ISQ_E10value_typeET4_jRbjT5_SW_jjP12ihipStream_tbEUlT_E_NS1_11comp_targetILNS1_3genE9ELNS1_11target_archE1100ELNS1_3gpuE3ELNS1_3repE0EEENS1_30default_config_static_selectorELNS0_4arch9wavefront6targetE0EEEvSK_,comdat
	.globl	_ZN7rocprim17ROCPRIM_400000_NS6detail17trampoline_kernelINS0_14default_configENS1_36segmented_radix_sort_config_selectorIslEEZNS1_25segmented_radix_sort_implIS3_Lb1EPKsPsPKlPlN2at6native12_GLOBAL__N_18offset_tEEE10hipError_tPvRmT1_PNSt15iterator_traitsISK_E10value_typeET2_T3_PNSL_ISQ_E10value_typeET4_jRbjT5_SW_jjP12ihipStream_tbEUlT_E_NS1_11comp_targetILNS1_3genE9ELNS1_11target_archE1100ELNS1_3gpuE3ELNS1_3repE0EEENS1_30default_config_static_selectorELNS0_4arch9wavefront6targetE0EEEvSK_ ; -- Begin function _ZN7rocprim17ROCPRIM_400000_NS6detail17trampoline_kernelINS0_14default_configENS1_36segmented_radix_sort_config_selectorIslEEZNS1_25segmented_radix_sort_implIS3_Lb1EPKsPsPKlPlN2at6native12_GLOBAL__N_18offset_tEEE10hipError_tPvRmT1_PNSt15iterator_traitsISK_E10value_typeET2_T3_PNSL_ISQ_E10value_typeET4_jRbjT5_SW_jjP12ihipStream_tbEUlT_E_NS1_11comp_targetILNS1_3genE9ELNS1_11target_archE1100ELNS1_3gpuE3ELNS1_3repE0EEENS1_30default_config_static_selectorELNS0_4arch9wavefront6targetE0EEEvSK_
	.p2align	8
	.type	_ZN7rocprim17ROCPRIM_400000_NS6detail17trampoline_kernelINS0_14default_configENS1_36segmented_radix_sort_config_selectorIslEEZNS1_25segmented_radix_sort_implIS3_Lb1EPKsPsPKlPlN2at6native12_GLOBAL__N_18offset_tEEE10hipError_tPvRmT1_PNSt15iterator_traitsISK_E10value_typeET2_T3_PNSL_ISQ_E10value_typeET4_jRbjT5_SW_jjP12ihipStream_tbEUlT_E_NS1_11comp_targetILNS1_3genE9ELNS1_11target_archE1100ELNS1_3gpuE3ELNS1_3repE0EEENS1_30default_config_static_selectorELNS0_4arch9wavefront6targetE0EEEvSK_,@function
_ZN7rocprim17ROCPRIM_400000_NS6detail17trampoline_kernelINS0_14default_configENS1_36segmented_radix_sort_config_selectorIslEEZNS1_25segmented_radix_sort_implIS3_Lb1EPKsPsPKlPlN2at6native12_GLOBAL__N_18offset_tEEE10hipError_tPvRmT1_PNSt15iterator_traitsISK_E10value_typeET2_T3_PNSL_ISQ_E10value_typeET4_jRbjT5_SW_jjP12ihipStream_tbEUlT_E_NS1_11comp_targetILNS1_3genE9ELNS1_11target_archE1100ELNS1_3gpuE3ELNS1_3repE0EEENS1_30default_config_static_selectorELNS0_4arch9wavefront6targetE0EEEvSK_: ; @_ZN7rocprim17ROCPRIM_400000_NS6detail17trampoline_kernelINS0_14default_configENS1_36segmented_radix_sort_config_selectorIslEEZNS1_25segmented_radix_sort_implIS3_Lb1EPKsPsPKlPlN2at6native12_GLOBAL__N_18offset_tEEE10hipError_tPvRmT1_PNSt15iterator_traitsISK_E10value_typeET2_T3_PNSL_ISQ_E10value_typeET4_jRbjT5_SW_jjP12ihipStream_tbEUlT_E_NS1_11comp_targetILNS1_3genE9ELNS1_11target_archE1100ELNS1_3gpuE3ELNS1_3repE0EEENS1_30default_config_static_selectorELNS0_4arch9wavefront6targetE0EEEvSK_
; %bb.0:
	.section	.rodata,"a",@progbits
	.p2align	6, 0x0
	.amdhsa_kernel _ZN7rocprim17ROCPRIM_400000_NS6detail17trampoline_kernelINS0_14default_configENS1_36segmented_radix_sort_config_selectorIslEEZNS1_25segmented_radix_sort_implIS3_Lb1EPKsPsPKlPlN2at6native12_GLOBAL__N_18offset_tEEE10hipError_tPvRmT1_PNSt15iterator_traitsISK_E10value_typeET2_T3_PNSL_ISQ_E10value_typeET4_jRbjT5_SW_jjP12ihipStream_tbEUlT_E_NS1_11comp_targetILNS1_3genE9ELNS1_11target_archE1100ELNS1_3gpuE3ELNS1_3repE0EEENS1_30default_config_static_selectorELNS0_4arch9wavefront6targetE0EEEvSK_
		.amdhsa_group_segment_fixed_size 0
		.amdhsa_private_segment_fixed_size 0
		.amdhsa_kernarg_size 96
		.amdhsa_user_sgpr_count 2
		.amdhsa_user_sgpr_dispatch_ptr 0
		.amdhsa_user_sgpr_queue_ptr 0
		.amdhsa_user_sgpr_kernarg_segment_ptr 1
		.amdhsa_user_sgpr_dispatch_id 0
		.amdhsa_user_sgpr_kernarg_preload_length 0
		.amdhsa_user_sgpr_kernarg_preload_offset 0
		.amdhsa_user_sgpr_private_segment_size 0
		.amdhsa_wavefront_size32 1
		.amdhsa_uses_dynamic_stack 0
		.amdhsa_enable_private_segment 0
		.amdhsa_system_sgpr_workgroup_id_x 1
		.amdhsa_system_sgpr_workgroup_id_y 0
		.amdhsa_system_sgpr_workgroup_id_z 0
		.amdhsa_system_sgpr_workgroup_info 0
		.amdhsa_system_vgpr_workitem_id 0
		.amdhsa_next_free_vgpr 1
		.amdhsa_next_free_sgpr 1
		.amdhsa_named_barrier_count 0
		.amdhsa_reserve_vcc 0
		.amdhsa_float_round_mode_32 0
		.amdhsa_float_round_mode_16_64 0
		.amdhsa_float_denorm_mode_32 3
		.amdhsa_float_denorm_mode_16_64 3
		.amdhsa_fp16_overflow 0
		.amdhsa_memory_ordered 1
		.amdhsa_forward_progress 1
		.amdhsa_inst_pref_size 0
		.amdhsa_round_robin_scheduling 0
		.amdhsa_exception_fp_ieee_invalid_op 0
		.amdhsa_exception_fp_denorm_src 0
		.amdhsa_exception_fp_ieee_div_zero 0
		.amdhsa_exception_fp_ieee_overflow 0
		.amdhsa_exception_fp_ieee_underflow 0
		.amdhsa_exception_fp_ieee_inexact 0
		.amdhsa_exception_int_div_zero 0
	.end_amdhsa_kernel
	.section	.text._ZN7rocprim17ROCPRIM_400000_NS6detail17trampoline_kernelINS0_14default_configENS1_36segmented_radix_sort_config_selectorIslEEZNS1_25segmented_radix_sort_implIS3_Lb1EPKsPsPKlPlN2at6native12_GLOBAL__N_18offset_tEEE10hipError_tPvRmT1_PNSt15iterator_traitsISK_E10value_typeET2_T3_PNSL_ISQ_E10value_typeET4_jRbjT5_SW_jjP12ihipStream_tbEUlT_E_NS1_11comp_targetILNS1_3genE9ELNS1_11target_archE1100ELNS1_3gpuE3ELNS1_3repE0EEENS1_30default_config_static_selectorELNS0_4arch9wavefront6targetE0EEEvSK_,"axG",@progbits,_ZN7rocprim17ROCPRIM_400000_NS6detail17trampoline_kernelINS0_14default_configENS1_36segmented_radix_sort_config_selectorIslEEZNS1_25segmented_radix_sort_implIS3_Lb1EPKsPsPKlPlN2at6native12_GLOBAL__N_18offset_tEEE10hipError_tPvRmT1_PNSt15iterator_traitsISK_E10value_typeET2_T3_PNSL_ISQ_E10value_typeET4_jRbjT5_SW_jjP12ihipStream_tbEUlT_E_NS1_11comp_targetILNS1_3genE9ELNS1_11target_archE1100ELNS1_3gpuE3ELNS1_3repE0EEENS1_30default_config_static_selectorELNS0_4arch9wavefront6targetE0EEEvSK_,comdat
.Lfunc_end915:
	.size	_ZN7rocprim17ROCPRIM_400000_NS6detail17trampoline_kernelINS0_14default_configENS1_36segmented_radix_sort_config_selectorIslEEZNS1_25segmented_radix_sort_implIS3_Lb1EPKsPsPKlPlN2at6native12_GLOBAL__N_18offset_tEEE10hipError_tPvRmT1_PNSt15iterator_traitsISK_E10value_typeET2_T3_PNSL_ISQ_E10value_typeET4_jRbjT5_SW_jjP12ihipStream_tbEUlT_E_NS1_11comp_targetILNS1_3genE9ELNS1_11target_archE1100ELNS1_3gpuE3ELNS1_3repE0EEENS1_30default_config_static_selectorELNS0_4arch9wavefront6targetE0EEEvSK_, .Lfunc_end915-_ZN7rocprim17ROCPRIM_400000_NS6detail17trampoline_kernelINS0_14default_configENS1_36segmented_radix_sort_config_selectorIslEEZNS1_25segmented_radix_sort_implIS3_Lb1EPKsPsPKlPlN2at6native12_GLOBAL__N_18offset_tEEE10hipError_tPvRmT1_PNSt15iterator_traitsISK_E10value_typeET2_T3_PNSL_ISQ_E10value_typeET4_jRbjT5_SW_jjP12ihipStream_tbEUlT_E_NS1_11comp_targetILNS1_3genE9ELNS1_11target_archE1100ELNS1_3gpuE3ELNS1_3repE0EEENS1_30default_config_static_selectorELNS0_4arch9wavefront6targetE0EEEvSK_
                                        ; -- End function
	.set _ZN7rocprim17ROCPRIM_400000_NS6detail17trampoline_kernelINS0_14default_configENS1_36segmented_radix_sort_config_selectorIslEEZNS1_25segmented_radix_sort_implIS3_Lb1EPKsPsPKlPlN2at6native12_GLOBAL__N_18offset_tEEE10hipError_tPvRmT1_PNSt15iterator_traitsISK_E10value_typeET2_T3_PNSL_ISQ_E10value_typeET4_jRbjT5_SW_jjP12ihipStream_tbEUlT_E_NS1_11comp_targetILNS1_3genE9ELNS1_11target_archE1100ELNS1_3gpuE3ELNS1_3repE0EEENS1_30default_config_static_selectorELNS0_4arch9wavefront6targetE0EEEvSK_.num_vgpr, 0
	.set _ZN7rocprim17ROCPRIM_400000_NS6detail17trampoline_kernelINS0_14default_configENS1_36segmented_radix_sort_config_selectorIslEEZNS1_25segmented_radix_sort_implIS3_Lb1EPKsPsPKlPlN2at6native12_GLOBAL__N_18offset_tEEE10hipError_tPvRmT1_PNSt15iterator_traitsISK_E10value_typeET2_T3_PNSL_ISQ_E10value_typeET4_jRbjT5_SW_jjP12ihipStream_tbEUlT_E_NS1_11comp_targetILNS1_3genE9ELNS1_11target_archE1100ELNS1_3gpuE3ELNS1_3repE0EEENS1_30default_config_static_selectorELNS0_4arch9wavefront6targetE0EEEvSK_.num_agpr, 0
	.set _ZN7rocprim17ROCPRIM_400000_NS6detail17trampoline_kernelINS0_14default_configENS1_36segmented_radix_sort_config_selectorIslEEZNS1_25segmented_radix_sort_implIS3_Lb1EPKsPsPKlPlN2at6native12_GLOBAL__N_18offset_tEEE10hipError_tPvRmT1_PNSt15iterator_traitsISK_E10value_typeET2_T3_PNSL_ISQ_E10value_typeET4_jRbjT5_SW_jjP12ihipStream_tbEUlT_E_NS1_11comp_targetILNS1_3genE9ELNS1_11target_archE1100ELNS1_3gpuE3ELNS1_3repE0EEENS1_30default_config_static_selectorELNS0_4arch9wavefront6targetE0EEEvSK_.numbered_sgpr, 0
	.set _ZN7rocprim17ROCPRIM_400000_NS6detail17trampoline_kernelINS0_14default_configENS1_36segmented_radix_sort_config_selectorIslEEZNS1_25segmented_radix_sort_implIS3_Lb1EPKsPsPKlPlN2at6native12_GLOBAL__N_18offset_tEEE10hipError_tPvRmT1_PNSt15iterator_traitsISK_E10value_typeET2_T3_PNSL_ISQ_E10value_typeET4_jRbjT5_SW_jjP12ihipStream_tbEUlT_E_NS1_11comp_targetILNS1_3genE9ELNS1_11target_archE1100ELNS1_3gpuE3ELNS1_3repE0EEENS1_30default_config_static_selectorELNS0_4arch9wavefront6targetE0EEEvSK_.num_named_barrier, 0
	.set _ZN7rocprim17ROCPRIM_400000_NS6detail17trampoline_kernelINS0_14default_configENS1_36segmented_radix_sort_config_selectorIslEEZNS1_25segmented_radix_sort_implIS3_Lb1EPKsPsPKlPlN2at6native12_GLOBAL__N_18offset_tEEE10hipError_tPvRmT1_PNSt15iterator_traitsISK_E10value_typeET2_T3_PNSL_ISQ_E10value_typeET4_jRbjT5_SW_jjP12ihipStream_tbEUlT_E_NS1_11comp_targetILNS1_3genE9ELNS1_11target_archE1100ELNS1_3gpuE3ELNS1_3repE0EEENS1_30default_config_static_selectorELNS0_4arch9wavefront6targetE0EEEvSK_.private_seg_size, 0
	.set _ZN7rocprim17ROCPRIM_400000_NS6detail17trampoline_kernelINS0_14default_configENS1_36segmented_radix_sort_config_selectorIslEEZNS1_25segmented_radix_sort_implIS3_Lb1EPKsPsPKlPlN2at6native12_GLOBAL__N_18offset_tEEE10hipError_tPvRmT1_PNSt15iterator_traitsISK_E10value_typeET2_T3_PNSL_ISQ_E10value_typeET4_jRbjT5_SW_jjP12ihipStream_tbEUlT_E_NS1_11comp_targetILNS1_3genE9ELNS1_11target_archE1100ELNS1_3gpuE3ELNS1_3repE0EEENS1_30default_config_static_selectorELNS0_4arch9wavefront6targetE0EEEvSK_.uses_vcc, 0
	.set _ZN7rocprim17ROCPRIM_400000_NS6detail17trampoline_kernelINS0_14default_configENS1_36segmented_radix_sort_config_selectorIslEEZNS1_25segmented_radix_sort_implIS3_Lb1EPKsPsPKlPlN2at6native12_GLOBAL__N_18offset_tEEE10hipError_tPvRmT1_PNSt15iterator_traitsISK_E10value_typeET2_T3_PNSL_ISQ_E10value_typeET4_jRbjT5_SW_jjP12ihipStream_tbEUlT_E_NS1_11comp_targetILNS1_3genE9ELNS1_11target_archE1100ELNS1_3gpuE3ELNS1_3repE0EEENS1_30default_config_static_selectorELNS0_4arch9wavefront6targetE0EEEvSK_.uses_flat_scratch, 0
	.set _ZN7rocprim17ROCPRIM_400000_NS6detail17trampoline_kernelINS0_14default_configENS1_36segmented_radix_sort_config_selectorIslEEZNS1_25segmented_radix_sort_implIS3_Lb1EPKsPsPKlPlN2at6native12_GLOBAL__N_18offset_tEEE10hipError_tPvRmT1_PNSt15iterator_traitsISK_E10value_typeET2_T3_PNSL_ISQ_E10value_typeET4_jRbjT5_SW_jjP12ihipStream_tbEUlT_E_NS1_11comp_targetILNS1_3genE9ELNS1_11target_archE1100ELNS1_3gpuE3ELNS1_3repE0EEENS1_30default_config_static_selectorELNS0_4arch9wavefront6targetE0EEEvSK_.has_dyn_sized_stack, 0
	.set _ZN7rocprim17ROCPRIM_400000_NS6detail17trampoline_kernelINS0_14default_configENS1_36segmented_radix_sort_config_selectorIslEEZNS1_25segmented_radix_sort_implIS3_Lb1EPKsPsPKlPlN2at6native12_GLOBAL__N_18offset_tEEE10hipError_tPvRmT1_PNSt15iterator_traitsISK_E10value_typeET2_T3_PNSL_ISQ_E10value_typeET4_jRbjT5_SW_jjP12ihipStream_tbEUlT_E_NS1_11comp_targetILNS1_3genE9ELNS1_11target_archE1100ELNS1_3gpuE3ELNS1_3repE0EEENS1_30default_config_static_selectorELNS0_4arch9wavefront6targetE0EEEvSK_.has_recursion, 0
	.set _ZN7rocprim17ROCPRIM_400000_NS6detail17trampoline_kernelINS0_14default_configENS1_36segmented_radix_sort_config_selectorIslEEZNS1_25segmented_radix_sort_implIS3_Lb1EPKsPsPKlPlN2at6native12_GLOBAL__N_18offset_tEEE10hipError_tPvRmT1_PNSt15iterator_traitsISK_E10value_typeET2_T3_PNSL_ISQ_E10value_typeET4_jRbjT5_SW_jjP12ihipStream_tbEUlT_E_NS1_11comp_targetILNS1_3genE9ELNS1_11target_archE1100ELNS1_3gpuE3ELNS1_3repE0EEENS1_30default_config_static_selectorELNS0_4arch9wavefront6targetE0EEEvSK_.has_indirect_call, 0
	.section	.AMDGPU.csdata,"",@progbits
; Kernel info:
; codeLenInByte = 0
; TotalNumSgprs: 0
; NumVgprs: 0
; ScratchSize: 0
; MemoryBound: 0
; FloatMode: 240
; IeeeMode: 1
; LDSByteSize: 0 bytes/workgroup (compile time only)
; SGPRBlocks: 0
; VGPRBlocks: 0
; NumSGPRsForWavesPerEU: 1
; NumVGPRsForWavesPerEU: 1
; NamedBarCnt: 0
; Occupancy: 16
; WaveLimiterHint : 0
; COMPUTE_PGM_RSRC2:SCRATCH_EN: 0
; COMPUTE_PGM_RSRC2:USER_SGPR: 2
; COMPUTE_PGM_RSRC2:TRAP_HANDLER: 0
; COMPUTE_PGM_RSRC2:TGID_X_EN: 1
; COMPUTE_PGM_RSRC2:TGID_Y_EN: 0
; COMPUTE_PGM_RSRC2:TGID_Z_EN: 0
; COMPUTE_PGM_RSRC2:TIDIG_COMP_CNT: 0
	.section	.text._ZN7rocprim17ROCPRIM_400000_NS6detail17trampoline_kernelINS0_14default_configENS1_36segmented_radix_sort_config_selectorIslEEZNS1_25segmented_radix_sort_implIS3_Lb1EPKsPsPKlPlN2at6native12_GLOBAL__N_18offset_tEEE10hipError_tPvRmT1_PNSt15iterator_traitsISK_E10value_typeET2_T3_PNSL_ISQ_E10value_typeET4_jRbjT5_SW_jjP12ihipStream_tbEUlT_E_NS1_11comp_targetILNS1_3genE8ELNS1_11target_archE1030ELNS1_3gpuE2ELNS1_3repE0EEENS1_30default_config_static_selectorELNS0_4arch9wavefront6targetE0EEEvSK_,"axG",@progbits,_ZN7rocprim17ROCPRIM_400000_NS6detail17trampoline_kernelINS0_14default_configENS1_36segmented_radix_sort_config_selectorIslEEZNS1_25segmented_radix_sort_implIS3_Lb1EPKsPsPKlPlN2at6native12_GLOBAL__N_18offset_tEEE10hipError_tPvRmT1_PNSt15iterator_traitsISK_E10value_typeET2_T3_PNSL_ISQ_E10value_typeET4_jRbjT5_SW_jjP12ihipStream_tbEUlT_E_NS1_11comp_targetILNS1_3genE8ELNS1_11target_archE1030ELNS1_3gpuE2ELNS1_3repE0EEENS1_30default_config_static_selectorELNS0_4arch9wavefront6targetE0EEEvSK_,comdat
	.globl	_ZN7rocprim17ROCPRIM_400000_NS6detail17trampoline_kernelINS0_14default_configENS1_36segmented_radix_sort_config_selectorIslEEZNS1_25segmented_radix_sort_implIS3_Lb1EPKsPsPKlPlN2at6native12_GLOBAL__N_18offset_tEEE10hipError_tPvRmT1_PNSt15iterator_traitsISK_E10value_typeET2_T3_PNSL_ISQ_E10value_typeET4_jRbjT5_SW_jjP12ihipStream_tbEUlT_E_NS1_11comp_targetILNS1_3genE8ELNS1_11target_archE1030ELNS1_3gpuE2ELNS1_3repE0EEENS1_30default_config_static_selectorELNS0_4arch9wavefront6targetE0EEEvSK_ ; -- Begin function _ZN7rocprim17ROCPRIM_400000_NS6detail17trampoline_kernelINS0_14default_configENS1_36segmented_radix_sort_config_selectorIslEEZNS1_25segmented_radix_sort_implIS3_Lb1EPKsPsPKlPlN2at6native12_GLOBAL__N_18offset_tEEE10hipError_tPvRmT1_PNSt15iterator_traitsISK_E10value_typeET2_T3_PNSL_ISQ_E10value_typeET4_jRbjT5_SW_jjP12ihipStream_tbEUlT_E_NS1_11comp_targetILNS1_3genE8ELNS1_11target_archE1030ELNS1_3gpuE2ELNS1_3repE0EEENS1_30default_config_static_selectorELNS0_4arch9wavefront6targetE0EEEvSK_
	.p2align	8
	.type	_ZN7rocprim17ROCPRIM_400000_NS6detail17trampoline_kernelINS0_14default_configENS1_36segmented_radix_sort_config_selectorIslEEZNS1_25segmented_radix_sort_implIS3_Lb1EPKsPsPKlPlN2at6native12_GLOBAL__N_18offset_tEEE10hipError_tPvRmT1_PNSt15iterator_traitsISK_E10value_typeET2_T3_PNSL_ISQ_E10value_typeET4_jRbjT5_SW_jjP12ihipStream_tbEUlT_E_NS1_11comp_targetILNS1_3genE8ELNS1_11target_archE1030ELNS1_3gpuE2ELNS1_3repE0EEENS1_30default_config_static_selectorELNS0_4arch9wavefront6targetE0EEEvSK_,@function
_ZN7rocprim17ROCPRIM_400000_NS6detail17trampoline_kernelINS0_14default_configENS1_36segmented_radix_sort_config_selectorIslEEZNS1_25segmented_radix_sort_implIS3_Lb1EPKsPsPKlPlN2at6native12_GLOBAL__N_18offset_tEEE10hipError_tPvRmT1_PNSt15iterator_traitsISK_E10value_typeET2_T3_PNSL_ISQ_E10value_typeET4_jRbjT5_SW_jjP12ihipStream_tbEUlT_E_NS1_11comp_targetILNS1_3genE8ELNS1_11target_archE1030ELNS1_3gpuE2ELNS1_3repE0EEENS1_30default_config_static_selectorELNS0_4arch9wavefront6targetE0EEEvSK_: ; @_ZN7rocprim17ROCPRIM_400000_NS6detail17trampoline_kernelINS0_14default_configENS1_36segmented_radix_sort_config_selectorIslEEZNS1_25segmented_radix_sort_implIS3_Lb1EPKsPsPKlPlN2at6native12_GLOBAL__N_18offset_tEEE10hipError_tPvRmT1_PNSt15iterator_traitsISK_E10value_typeET2_T3_PNSL_ISQ_E10value_typeET4_jRbjT5_SW_jjP12ihipStream_tbEUlT_E_NS1_11comp_targetILNS1_3genE8ELNS1_11target_archE1030ELNS1_3gpuE2ELNS1_3repE0EEENS1_30default_config_static_selectorELNS0_4arch9wavefront6targetE0EEEvSK_
; %bb.0:
	.section	.rodata,"a",@progbits
	.p2align	6, 0x0
	.amdhsa_kernel _ZN7rocprim17ROCPRIM_400000_NS6detail17trampoline_kernelINS0_14default_configENS1_36segmented_radix_sort_config_selectorIslEEZNS1_25segmented_radix_sort_implIS3_Lb1EPKsPsPKlPlN2at6native12_GLOBAL__N_18offset_tEEE10hipError_tPvRmT1_PNSt15iterator_traitsISK_E10value_typeET2_T3_PNSL_ISQ_E10value_typeET4_jRbjT5_SW_jjP12ihipStream_tbEUlT_E_NS1_11comp_targetILNS1_3genE8ELNS1_11target_archE1030ELNS1_3gpuE2ELNS1_3repE0EEENS1_30default_config_static_selectorELNS0_4arch9wavefront6targetE0EEEvSK_
		.amdhsa_group_segment_fixed_size 0
		.amdhsa_private_segment_fixed_size 0
		.amdhsa_kernarg_size 96
		.amdhsa_user_sgpr_count 2
		.amdhsa_user_sgpr_dispatch_ptr 0
		.amdhsa_user_sgpr_queue_ptr 0
		.amdhsa_user_sgpr_kernarg_segment_ptr 1
		.amdhsa_user_sgpr_dispatch_id 0
		.amdhsa_user_sgpr_kernarg_preload_length 0
		.amdhsa_user_sgpr_kernarg_preload_offset 0
		.amdhsa_user_sgpr_private_segment_size 0
		.amdhsa_wavefront_size32 1
		.amdhsa_uses_dynamic_stack 0
		.amdhsa_enable_private_segment 0
		.amdhsa_system_sgpr_workgroup_id_x 1
		.amdhsa_system_sgpr_workgroup_id_y 0
		.amdhsa_system_sgpr_workgroup_id_z 0
		.amdhsa_system_sgpr_workgroup_info 0
		.amdhsa_system_vgpr_workitem_id 0
		.amdhsa_next_free_vgpr 1
		.amdhsa_next_free_sgpr 1
		.amdhsa_named_barrier_count 0
		.amdhsa_reserve_vcc 0
		.amdhsa_float_round_mode_32 0
		.amdhsa_float_round_mode_16_64 0
		.amdhsa_float_denorm_mode_32 3
		.amdhsa_float_denorm_mode_16_64 3
		.amdhsa_fp16_overflow 0
		.amdhsa_memory_ordered 1
		.amdhsa_forward_progress 1
		.amdhsa_inst_pref_size 0
		.amdhsa_round_robin_scheduling 0
		.amdhsa_exception_fp_ieee_invalid_op 0
		.amdhsa_exception_fp_denorm_src 0
		.amdhsa_exception_fp_ieee_div_zero 0
		.amdhsa_exception_fp_ieee_overflow 0
		.amdhsa_exception_fp_ieee_underflow 0
		.amdhsa_exception_fp_ieee_inexact 0
		.amdhsa_exception_int_div_zero 0
	.end_amdhsa_kernel
	.section	.text._ZN7rocprim17ROCPRIM_400000_NS6detail17trampoline_kernelINS0_14default_configENS1_36segmented_radix_sort_config_selectorIslEEZNS1_25segmented_radix_sort_implIS3_Lb1EPKsPsPKlPlN2at6native12_GLOBAL__N_18offset_tEEE10hipError_tPvRmT1_PNSt15iterator_traitsISK_E10value_typeET2_T3_PNSL_ISQ_E10value_typeET4_jRbjT5_SW_jjP12ihipStream_tbEUlT_E_NS1_11comp_targetILNS1_3genE8ELNS1_11target_archE1030ELNS1_3gpuE2ELNS1_3repE0EEENS1_30default_config_static_selectorELNS0_4arch9wavefront6targetE0EEEvSK_,"axG",@progbits,_ZN7rocprim17ROCPRIM_400000_NS6detail17trampoline_kernelINS0_14default_configENS1_36segmented_radix_sort_config_selectorIslEEZNS1_25segmented_radix_sort_implIS3_Lb1EPKsPsPKlPlN2at6native12_GLOBAL__N_18offset_tEEE10hipError_tPvRmT1_PNSt15iterator_traitsISK_E10value_typeET2_T3_PNSL_ISQ_E10value_typeET4_jRbjT5_SW_jjP12ihipStream_tbEUlT_E_NS1_11comp_targetILNS1_3genE8ELNS1_11target_archE1030ELNS1_3gpuE2ELNS1_3repE0EEENS1_30default_config_static_selectorELNS0_4arch9wavefront6targetE0EEEvSK_,comdat
.Lfunc_end916:
	.size	_ZN7rocprim17ROCPRIM_400000_NS6detail17trampoline_kernelINS0_14default_configENS1_36segmented_radix_sort_config_selectorIslEEZNS1_25segmented_radix_sort_implIS3_Lb1EPKsPsPKlPlN2at6native12_GLOBAL__N_18offset_tEEE10hipError_tPvRmT1_PNSt15iterator_traitsISK_E10value_typeET2_T3_PNSL_ISQ_E10value_typeET4_jRbjT5_SW_jjP12ihipStream_tbEUlT_E_NS1_11comp_targetILNS1_3genE8ELNS1_11target_archE1030ELNS1_3gpuE2ELNS1_3repE0EEENS1_30default_config_static_selectorELNS0_4arch9wavefront6targetE0EEEvSK_, .Lfunc_end916-_ZN7rocprim17ROCPRIM_400000_NS6detail17trampoline_kernelINS0_14default_configENS1_36segmented_radix_sort_config_selectorIslEEZNS1_25segmented_radix_sort_implIS3_Lb1EPKsPsPKlPlN2at6native12_GLOBAL__N_18offset_tEEE10hipError_tPvRmT1_PNSt15iterator_traitsISK_E10value_typeET2_T3_PNSL_ISQ_E10value_typeET4_jRbjT5_SW_jjP12ihipStream_tbEUlT_E_NS1_11comp_targetILNS1_3genE8ELNS1_11target_archE1030ELNS1_3gpuE2ELNS1_3repE0EEENS1_30default_config_static_selectorELNS0_4arch9wavefront6targetE0EEEvSK_
                                        ; -- End function
	.set _ZN7rocprim17ROCPRIM_400000_NS6detail17trampoline_kernelINS0_14default_configENS1_36segmented_radix_sort_config_selectorIslEEZNS1_25segmented_radix_sort_implIS3_Lb1EPKsPsPKlPlN2at6native12_GLOBAL__N_18offset_tEEE10hipError_tPvRmT1_PNSt15iterator_traitsISK_E10value_typeET2_T3_PNSL_ISQ_E10value_typeET4_jRbjT5_SW_jjP12ihipStream_tbEUlT_E_NS1_11comp_targetILNS1_3genE8ELNS1_11target_archE1030ELNS1_3gpuE2ELNS1_3repE0EEENS1_30default_config_static_selectorELNS0_4arch9wavefront6targetE0EEEvSK_.num_vgpr, 0
	.set _ZN7rocprim17ROCPRIM_400000_NS6detail17trampoline_kernelINS0_14default_configENS1_36segmented_radix_sort_config_selectorIslEEZNS1_25segmented_radix_sort_implIS3_Lb1EPKsPsPKlPlN2at6native12_GLOBAL__N_18offset_tEEE10hipError_tPvRmT1_PNSt15iterator_traitsISK_E10value_typeET2_T3_PNSL_ISQ_E10value_typeET4_jRbjT5_SW_jjP12ihipStream_tbEUlT_E_NS1_11comp_targetILNS1_3genE8ELNS1_11target_archE1030ELNS1_3gpuE2ELNS1_3repE0EEENS1_30default_config_static_selectorELNS0_4arch9wavefront6targetE0EEEvSK_.num_agpr, 0
	.set _ZN7rocprim17ROCPRIM_400000_NS6detail17trampoline_kernelINS0_14default_configENS1_36segmented_radix_sort_config_selectorIslEEZNS1_25segmented_radix_sort_implIS3_Lb1EPKsPsPKlPlN2at6native12_GLOBAL__N_18offset_tEEE10hipError_tPvRmT1_PNSt15iterator_traitsISK_E10value_typeET2_T3_PNSL_ISQ_E10value_typeET4_jRbjT5_SW_jjP12ihipStream_tbEUlT_E_NS1_11comp_targetILNS1_3genE8ELNS1_11target_archE1030ELNS1_3gpuE2ELNS1_3repE0EEENS1_30default_config_static_selectorELNS0_4arch9wavefront6targetE0EEEvSK_.numbered_sgpr, 0
	.set _ZN7rocprim17ROCPRIM_400000_NS6detail17trampoline_kernelINS0_14default_configENS1_36segmented_radix_sort_config_selectorIslEEZNS1_25segmented_radix_sort_implIS3_Lb1EPKsPsPKlPlN2at6native12_GLOBAL__N_18offset_tEEE10hipError_tPvRmT1_PNSt15iterator_traitsISK_E10value_typeET2_T3_PNSL_ISQ_E10value_typeET4_jRbjT5_SW_jjP12ihipStream_tbEUlT_E_NS1_11comp_targetILNS1_3genE8ELNS1_11target_archE1030ELNS1_3gpuE2ELNS1_3repE0EEENS1_30default_config_static_selectorELNS0_4arch9wavefront6targetE0EEEvSK_.num_named_barrier, 0
	.set _ZN7rocprim17ROCPRIM_400000_NS6detail17trampoline_kernelINS0_14default_configENS1_36segmented_radix_sort_config_selectorIslEEZNS1_25segmented_radix_sort_implIS3_Lb1EPKsPsPKlPlN2at6native12_GLOBAL__N_18offset_tEEE10hipError_tPvRmT1_PNSt15iterator_traitsISK_E10value_typeET2_T3_PNSL_ISQ_E10value_typeET4_jRbjT5_SW_jjP12ihipStream_tbEUlT_E_NS1_11comp_targetILNS1_3genE8ELNS1_11target_archE1030ELNS1_3gpuE2ELNS1_3repE0EEENS1_30default_config_static_selectorELNS0_4arch9wavefront6targetE0EEEvSK_.private_seg_size, 0
	.set _ZN7rocprim17ROCPRIM_400000_NS6detail17trampoline_kernelINS0_14default_configENS1_36segmented_radix_sort_config_selectorIslEEZNS1_25segmented_radix_sort_implIS3_Lb1EPKsPsPKlPlN2at6native12_GLOBAL__N_18offset_tEEE10hipError_tPvRmT1_PNSt15iterator_traitsISK_E10value_typeET2_T3_PNSL_ISQ_E10value_typeET4_jRbjT5_SW_jjP12ihipStream_tbEUlT_E_NS1_11comp_targetILNS1_3genE8ELNS1_11target_archE1030ELNS1_3gpuE2ELNS1_3repE0EEENS1_30default_config_static_selectorELNS0_4arch9wavefront6targetE0EEEvSK_.uses_vcc, 0
	.set _ZN7rocprim17ROCPRIM_400000_NS6detail17trampoline_kernelINS0_14default_configENS1_36segmented_radix_sort_config_selectorIslEEZNS1_25segmented_radix_sort_implIS3_Lb1EPKsPsPKlPlN2at6native12_GLOBAL__N_18offset_tEEE10hipError_tPvRmT1_PNSt15iterator_traitsISK_E10value_typeET2_T3_PNSL_ISQ_E10value_typeET4_jRbjT5_SW_jjP12ihipStream_tbEUlT_E_NS1_11comp_targetILNS1_3genE8ELNS1_11target_archE1030ELNS1_3gpuE2ELNS1_3repE0EEENS1_30default_config_static_selectorELNS0_4arch9wavefront6targetE0EEEvSK_.uses_flat_scratch, 0
	.set _ZN7rocprim17ROCPRIM_400000_NS6detail17trampoline_kernelINS0_14default_configENS1_36segmented_radix_sort_config_selectorIslEEZNS1_25segmented_radix_sort_implIS3_Lb1EPKsPsPKlPlN2at6native12_GLOBAL__N_18offset_tEEE10hipError_tPvRmT1_PNSt15iterator_traitsISK_E10value_typeET2_T3_PNSL_ISQ_E10value_typeET4_jRbjT5_SW_jjP12ihipStream_tbEUlT_E_NS1_11comp_targetILNS1_3genE8ELNS1_11target_archE1030ELNS1_3gpuE2ELNS1_3repE0EEENS1_30default_config_static_selectorELNS0_4arch9wavefront6targetE0EEEvSK_.has_dyn_sized_stack, 0
	.set _ZN7rocprim17ROCPRIM_400000_NS6detail17trampoline_kernelINS0_14default_configENS1_36segmented_radix_sort_config_selectorIslEEZNS1_25segmented_radix_sort_implIS3_Lb1EPKsPsPKlPlN2at6native12_GLOBAL__N_18offset_tEEE10hipError_tPvRmT1_PNSt15iterator_traitsISK_E10value_typeET2_T3_PNSL_ISQ_E10value_typeET4_jRbjT5_SW_jjP12ihipStream_tbEUlT_E_NS1_11comp_targetILNS1_3genE8ELNS1_11target_archE1030ELNS1_3gpuE2ELNS1_3repE0EEENS1_30default_config_static_selectorELNS0_4arch9wavefront6targetE0EEEvSK_.has_recursion, 0
	.set _ZN7rocprim17ROCPRIM_400000_NS6detail17trampoline_kernelINS0_14default_configENS1_36segmented_radix_sort_config_selectorIslEEZNS1_25segmented_radix_sort_implIS3_Lb1EPKsPsPKlPlN2at6native12_GLOBAL__N_18offset_tEEE10hipError_tPvRmT1_PNSt15iterator_traitsISK_E10value_typeET2_T3_PNSL_ISQ_E10value_typeET4_jRbjT5_SW_jjP12ihipStream_tbEUlT_E_NS1_11comp_targetILNS1_3genE8ELNS1_11target_archE1030ELNS1_3gpuE2ELNS1_3repE0EEENS1_30default_config_static_selectorELNS0_4arch9wavefront6targetE0EEEvSK_.has_indirect_call, 0
	.section	.AMDGPU.csdata,"",@progbits
; Kernel info:
; codeLenInByte = 0
; TotalNumSgprs: 0
; NumVgprs: 0
; ScratchSize: 0
; MemoryBound: 0
; FloatMode: 240
; IeeeMode: 1
; LDSByteSize: 0 bytes/workgroup (compile time only)
; SGPRBlocks: 0
; VGPRBlocks: 0
; NumSGPRsForWavesPerEU: 1
; NumVGPRsForWavesPerEU: 1
; NamedBarCnt: 0
; Occupancy: 16
; WaveLimiterHint : 0
; COMPUTE_PGM_RSRC2:SCRATCH_EN: 0
; COMPUTE_PGM_RSRC2:USER_SGPR: 2
; COMPUTE_PGM_RSRC2:TRAP_HANDLER: 0
; COMPUTE_PGM_RSRC2:TGID_X_EN: 1
; COMPUTE_PGM_RSRC2:TGID_Y_EN: 0
; COMPUTE_PGM_RSRC2:TGID_Z_EN: 0
; COMPUTE_PGM_RSRC2:TIDIG_COMP_CNT: 0
	.text
	.p2align	2                               ; -- Begin function _ZN7rocprim17ROCPRIM_400000_NS6detail26segmented_warp_sort_helperINS1_20WarpSortHelperConfigILj32ELj4ELj256EEEslLi256ELb1EvE4sortIPKsPsPKlPlEEvT_T0_T1_T2_jjjjRNS5_12storage_typeE
	.type	_ZN7rocprim17ROCPRIM_400000_NS6detail26segmented_warp_sort_helperINS1_20WarpSortHelperConfigILj32ELj4ELj256EEEslLi256ELb1EvE4sortIPKsPsPKlPlEEvT_T0_T1_T2_jjjjRNS5_12storage_typeE,@function
_ZN7rocprim17ROCPRIM_400000_NS6detail26segmented_warp_sort_helperINS1_20WarpSortHelperConfigILj32ELj4ELj256EEEslLi256ELb1EvE4sortIPKsPsPKlPlEEvT_T0_T1_T2_jjjjRNS5_12storage_typeE: ; @_ZN7rocprim17ROCPRIM_400000_NS6detail26segmented_warp_sort_helperINS1_20WarpSortHelperConfigILj32ELj4ELj256EEEslLi256ELb1EvE4sortIPKsPsPKlPlEEvT_T0_T1_T2_jjjjRNS5_12storage_typeE
; %bb.0:
	s_wait_loadcnt_dscnt 0x0
	s_wait_kmcnt 0x0
	v_dual_mov_b32 v14, v9 :: v_dual_mov_b32 v9, 0
	v_mbcnt_lo_u32_b32 v15, -1, 0
	v_mov_b32_e32 v34, 0xffff8000
	v_mov_b32_e32 v36, 0xffff8000
	s_delay_alu instid0(VALU_DEP_4) | instskip(SKIP_3) | instid1(VALU_DEP_2)
	v_sub_nc_u32_e32 v14, v14, v8
	v_lshl_add_u64 v[0:1], v[8:9], 1, v[0:1]
	v_dual_mov_b32 v17, v9 :: v_dual_lshlrev_b32 v16, 3, v15
	v_lshlrev_b32_e32 v30, 2, v15
	v_add_nc_u64_e32 v[0:1], v[0:1], v[16:17]
	s_delay_alu instid0(VALU_DEP_2)
	v_cmp_lt_u32_e32 vcc_lo, v30, v14
	s_and_saveexec_b32 s0, vcc_lo
	s_cbranch_execz .LBB917_2
; %bb.1:
	flat_load_u16 v36, v[0:1]
.LBB917_2:
	s_wait_xcnt 0x0
	s_or_b32 exec_lo, exec_lo, s0
	v_or_b32_e32 v15, 1, v30
	s_delay_alu instid0(VALU_DEP_1)
	v_cmp_lt_u32_e64 s0, v15, v14
	s_and_saveexec_b32 s1, s0
	s_cbranch_execz .LBB917_4
; %bb.3:
	flat_load_u16 v34, v[0:1] offset:2
.LBB917_4:
	s_wait_xcnt 0x0
	s_or_b32 exec_lo, exec_lo, s1
	v_or_b32_e32 v15, 2, v30
	v_dual_mov_b32 v35, 0xffff8000 :: v_dual_mov_b32 v26, 0xffff8000
	s_delay_alu instid0(VALU_DEP_2)
	v_cmp_lt_u32_e64 s1, v15, v14
	s_and_saveexec_b32 s2, s1
	s_cbranch_execz .LBB917_6
; %bb.5:
	flat_load_u16 v26, v[0:1] offset:4
.LBB917_6:
	s_wait_xcnt 0x0
	s_or_b32 exec_lo, exec_lo, s2
	v_or_b32_e32 v15, 3, v30
	s_delay_alu instid0(VALU_DEP_1)
	v_cmp_lt_u32_e64 s2, v15, v14
	s_and_saveexec_b32 s3, s2
	s_cbranch_execz .LBB917_8
; %bb.7:
	flat_load_u16 v35, v[0:1] offset:6
.LBB917_8:
	s_wait_xcnt 0x0
	s_or_b32 exec_lo, exec_lo, s3
	v_lshl_add_u64 v[4:5], v[8:9], 3, v[4:5]
	v_dual_mov_b32 v1, 0 :: v_dual_lshlrev_b32 v0, 3, v30
	v_mov_b64_e32 v[22:23], 0
	; wave barrier
	s_delay_alu instid0(VALU_DEP_2)
	v_add_nc_u64_e32 v[16:17], v[4:5], v[0:1]
	v_mov_b64_e32 v[4:5], 0
	s_and_saveexec_b32 s3, vcc_lo
	s_cbranch_execz .LBB917_10
; %bb.9:
	flat_load_b64 v[4:5], v[16:17]
.LBB917_10:
	s_wait_xcnt 0x0
	s_or_b32 exec_lo, exec_lo, s3
	s_mov_b32 s3, 0
	s_delay_alu instid0(SALU_CYCLE_1)
	v_dual_mov_b32 v18, s3 :: v_dual_mov_b32 v19, s3
	v_dual_mov_b32 v24, s3 :: v_dual_mov_b32 v25, s3
	;; [unrolled: 1-line block ×3, first 2 shown]
	s_and_saveexec_b32 s4, s0
	s_cbranch_execz .LBB917_12
; %bb.11:
	flat_load_b64 v[18:19], v[16:17] offset:8
	v_dual_mov_b32 v24, s3 :: v_dual_mov_b32 v25, s3
	v_dual_mov_b32 v32, s3 :: v_dual_mov_b32 v33, s3
	s_wait_loadcnt_dscnt 0x0
	v_mov_b64_e32 v[22:23], v[18:19]
.LBB917_12:
	s_wait_xcnt 0x0
	s_or_b32 exec_lo, exec_lo, s4
	v_mov_b64_e32 v[20:21], 0
	v_mov_b64_e32 v[14:15], 0
	s_and_saveexec_b32 s3, s1
	s_cbranch_execz .LBB917_14
; %bb.13:
	flat_load_b64 v[24:25], v[16:17] offset:16
	s_mov_b32 s4, 0
	s_delay_alu instid0(SALU_CYCLE_1)
	v_dual_mov_b32 v32, s4 :: v_dual_mov_b32 v33, s4
	s_wait_loadcnt_dscnt 0x0
	v_mov_b64_e32 v[14:15], v[24:25]
.LBB917_14:
	s_wait_xcnt 0x0
	s_or_b32 exec_lo, exec_lo, s3
	s_and_saveexec_b32 s3, s2
	s_cbranch_execz .LBB917_16
; %bb.15:
	flat_load_b64 v[32:33], v[16:17] offset:24
	s_wait_loadcnt_dscnt 0x0
	v_mov_b64_e32 v[20:21], v[32:33]
.LBB917_16:
	s_wait_xcnt 0x0
	s_or_b32 exec_lo, exec_lo, s3
	v_cmp_ne_u32_e64 s3, 0, v10
	v_cmp_ne_u32_e64 s4, 16, v11
	v_bfe_u32 v16, v31, 10, 10
	v_bfe_u32 v17, v31, 20, 10
	v_and_b32_e32 v1, 0x3ff, v31
	s_mov_b32 s5, 0
	s_or_b32 s3, s3, s4
	s_getreg_b32 s11, hwreg(HW_REG_IB_STS2, 6, 4)
	; wave barrier
	s_and_saveexec_b32 s4, s3
	s_delay_alu instid0(SALU_CYCLE_1)
	s_xor_b32 s12, exec_lo, s4
	s_cbranch_execz .LBB917_80
; %bb.17:
	s_load_b64 s[6:7], s[8:9], 0x0
	s_bfe_u32 s4, ttmp6, 0x4000c
	s_bfe_u32 s13, ttmp6, 0x40010
	s_and_b32 s10, ttmp7, 0xffff
	s_add_co_i32 s4, s4, 1
	s_add_co_i32 s13, s13, 1
	s_and_b32 s3, ttmp6, 15
	s_bfe_u32 s14, ttmp6, 0x40004
	s_mul_i32 s4, ttmp9, s4
	s_mul_i32 s13, s10, s13
	s_add_co_i32 s3, s3, s4
	s_add_co_i32 s14, s14, s13
	s_cmp_eq_u32 s11, 0
	v_lshlrev_b32_e64 v11, v11, -1
	s_cselect_b32 s3, ttmp9, s3
	s_cselect_b32 s10, s10, s14
	s_wait_kmcnt 0x0
	s_cmp_lt_u32 s3, s6
	s_cselect_b32 s4, 12, 18
	s_cmp_lt_u32 s10, s7
	s_mov_b32 s7, s5
	s_cselect_b32 s6, 14, 20
	s_add_nc_u64 s[4:5], s[8:9], s[4:5]
	s_add_nc_u64 s[6:7], s[8:9], s[6:7]
	s_load_u16 s4, s[4:5], 0x0
	s_wait_xcnt 0x0
	s_mov_b32 s5, exec_lo
	s_load_u16 s3, s[6:7], 0x0
	s_wait_kmcnt 0x0
	v_mad_u32_u24 v16, v17, s3, v16
	v_lshlrev_b32_e64 v17, v10, -1
	s_delay_alu instid0(VALU_DEP_2) | instskip(NEXT) | instid1(VALU_DEP_1)
	v_mul_lo_u32 v16, v16, s4
	v_add_lshl_u32 v10, v16, v1, 2
	s_delay_alu instid0(VALU_DEP_3) | instskip(NEXT) | instid1(VALU_DEP_2)
	v_xor_b32_e32 v1, v11, v17
	v_cmpx_gt_u32_e32 0x400, v10
	s_cbranch_execz .LBB917_29
; %bb.18:
	s_wait_loadcnt_dscnt 0x0
	s_delay_alu instid0(VALU_DEP_2) | instskip(SKIP_2) | instid1(VALU_DEP_1)
	v_and_b32_e32 v11, v34, v1
	v_and_b32_e32 v14, v36, v1
	s_mov_b32 s6, exec_lo
	v_cmp_gt_i16_e64 s3, v11, v14
	v_and_b32_e32 v20, v35, v1
	v_dual_mov_b32 v11, v26 :: v_dual_bitop2_b32 v31, v26, v1 bitop3:0x40
	s_delay_alu instid0(VALU_DEP_3) | instskip(SKIP_2) | instid1(VALU_DEP_4)
	v_dual_cndmask_b32 v17, v19, v5, s3 :: v_dual_cndmask_b32 v16, v18, v4, s3
	v_dual_cndmask_b32 v15, v5, v19, s3 :: v_dual_cndmask_b32 v14, v4, v18, s3
	v_mov_b64_e32 v[18:19], v[24:25]
	v_cmpx_gt_i16_e64 v20, v31
; %bb.19:
	v_mov_b64_e32 v[18:19], v[32:33]
	v_mov_b64_e32 v[32:33], v[24:25]
	v_dual_mov_b32 v11, v35 :: v_dual_mov_b32 v35, v26
	v_mov_b32_e32 v31, v20
; %bb.20:
	s_or_b32 exec_lo, exec_lo, s6
	s_delay_alu instid0(VALU_DEP_3) | instskip(NEXT) | instid1(VALU_DEP_1)
	v_dual_cndmask_b32 v5, v34, v36, s3 :: v_dual_mov_b32 v20, v32
                                        ; implicit-def: $vgpr37
	v_and_b32_e32 v4, v5, v1
	s_delay_alu instid0(VALU_DEP_2)
	v_mov_b64_e32 v[28:29], v[20:21]
	v_mov_b64_e32 v[22:23], v[14:15]
	v_mov_b64_e32 v[26:27], v[18:19]
	v_mov_b64_e32 v[24:25], v[16:17]
	v_cmp_le_i16_e64 s4, v31, v4
	s_and_saveexec_b32 s6, s4
	s_delay_alu instid0(SALU_CYCLE_1)
	s_xor_b32 s4, exec_lo, s6
; %bb.21:
	v_and_b32_e32 v37, v11, v1
                                        ; implicit-def: $vgpr22_vgpr23_vgpr24_vgpr25_vgpr26_vgpr27_vgpr28_vgpr29
                                        ; implicit-def: $vgpr31
; %bb.22:
	s_or_saveexec_b32 s4, s4
	v_dual_mov_b32 v21, v33 :: v_dual_mov_b32 v24, v5
	s_xor_b32 exec_lo, exec_lo, s4
	s_cbranch_execz .LBB917_24
; %bb.23:
	v_dual_mov_b32 v24, v18 :: v_dual_mov_b32 v25, v19
	v_dual_mov_b32 v26, v16 :: v_dual_mov_b32 v27, v17
	;; [unrolled: 1-line block ×3, first 2 shown]
	v_mov_b64_e32 v[14:15], v[22:23]
	s_delay_alu instid0(VALU_DEP_4) | instskip(NEXT) | instid1(VALU_DEP_4)
	v_mov_b64_e32 v[16:17], v[24:25]
	v_mov_b64_e32 v[18:19], v[26:27]
	v_mov_b32_e32 v37, v4
	v_mov_b64_e32 v[20:21], v[28:29]
	v_dual_mov_b32 v24, v11 :: v_dual_mov_b32 v11, v5
	v_mov_b32_e32 v4, v31
.LBB917_24:
	s_or_b32 exec_lo, exec_lo, s4
	v_dual_cndmask_b32 v25, v36, v34, s3 :: v_dual_bitop2_b32 v26, v35, v1 bitop3:0x40
	s_mov_b32 s6, exec_lo
	s_delay_alu instid0(VALU_DEP_1) | instskip(NEXT) | instid1(VALU_DEP_1)
	v_and_b32_e32 v5, v25, v1
	v_cmp_gt_i16_e64 s3, v4, v5
	s_delay_alu instid0(VALU_DEP_1)
	v_dual_cndmask_b32 v23, v17, v15, s3 :: v_dual_cndmask_b32 v5, v15, v17, s3
	v_dual_cndmask_b32 v22, v16, v14, s3 :: v_dual_cndmask_b32 v4, v14, v16, s3
	v_mov_b32_e32 v16, v11
	v_cmpx_gt_i16_e64 v26, v37
; %bb.25:
	v_mov_b64_e32 v[14:15], v[18:19]
	v_mov_b64_e32 v[18:19], v[20:21]
	v_dual_mov_b32 v16, v35 :: v_dual_mov_b32 v35, v11
	v_mov_b32_e32 v37, v26
	s_delay_alu instid0(VALU_DEP_4)
	v_mov_b64_e32 v[20:21], v[14:15]
; %bb.26:
	s_or_b32 exec_lo, exec_lo, s6
	v_cndmask_b32_e64 v34, v24, v25, s3
	v_mov_b64_e32 v[14:15], v[18:19]
	s_mov_b32 s6, exec_lo
	s_delay_alu instid0(VALU_DEP_2) | instskip(NEXT) | instid1(VALU_DEP_1)
	v_dual_mov_b32 v26, v16 :: v_dual_bitop2_b32 v11, v34, v1 bitop3:0x40
	v_cmpx_gt_i16_e64 v37, v11
; %bb.27:
	v_mov_b64_e32 v[14:15], v[22:23]
	v_mov_b64_e32 v[22:23], v[18:19]
	v_dual_mov_b32 v26, v34 :: v_dual_mov_b32 v34, v16
; %bb.28:
	s_or_b32 exec_lo, exec_lo, s6
	v_cndmask_b32_e64 v36, v25, v24, s3
.LBB917_29:
	s_or_b32 exec_lo, exec_lo, s5
	v_and_b32_e32 v16, 0xffffff80, v10
	v_dual_mov_b32 v17, 0 :: v_dual_bitop2_b32 v18, 4, v30 bitop3:0x54
	v_and_b32_e32 v39, 0x78, v30
	s_mov_b32 s4, exec_lo
	s_delay_alu instid0(VALU_DEP_3) | instskip(NEXT) | instid1(VALU_DEP_3)
	v_sub_nc_u32_e64 v24, 0x400, v16 clamp
	v_lshl_add_u64 v[12:13], v[16:17], 1, v[12:13]
	s_delay_alu instid0(VALU_DEP_2) | instskip(NEXT) | instid1(VALU_DEP_2)
	v_min_u32_e32 v37, v24, v18
	v_mad_nc_u64_u32 v[10:11], v16, 6, v[12:13]
	s_delay_alu instid0(VALU_DEP_2) | instskip(NEXT) | instid1(VALU_DEP_1)
	v_add_min_u32_e64 v38, v37, 4, v24
	v_dual_sub_nc_u32 v16, v38, v37 :: v_dual_bitop2_b32 v11, 4, v30 bitop3:0x40
	s_delay_alu instid0(VALU_DEP_1) | instskip(SKIP_2) | instid1(VALU_DEP_3)
	v_min_u32_e32 v48, v24, v11
	v_sub_nc_u32_e32 v11, v37, v39
	v_lshl_add_u32 v27, v30, 3, v10
	v_sub_nc_u32_e64 v49, v48, v16 clamp
	s_delay_alu instid0(VALU_DEP_3) | instskip(NEXT) | instid1(VALU_DEP_3)
	v_min_u32_e32 v25, v48, v11
	v_add_nc_u32_e32 v16, 0x800, v27
	v_lshl_add_u32 v11, v30, 1, v12
	s_wait_loadcnt_dscnt 0x0
	ds_store_2addr_b64 v16, v[4:5], v[22:23] offset1:1
	ds_store_b16 v11, v36
	ds_store_b16 v11, v34 offset:2
	ds_store_b16 v11, v26 offset:4
	;; [unrolled: 1-line block ×3, first 2 shown]
	ds_store_2addr_b64 v16, v[14:15], v[20:21] offset0:2 offset1:3
	; wave barrier
	v_cmpx_lt_u32_e64 v49, v25
	s_cbranch_execz .LBB917_33
; %bb.30:
	v_lshlrev_b32_e32 v16, 1, v39
	s_mov_b32 s5, 0
	s_delay_alu instid0(VALU_DEP_1) | instskip(SKIP_1) | instid1(VALU_DEP_1)
	v_add_nc_u64_e32 v[18:19], v[12:13], v[16:17]
	v_lshlrev_b32_e32 v16, 1, v37
	v_add_nc_u64_e32 v[16:17], v[12:13], v[16:17]
.LBB917_31:                             ; =>This Inner Loop Header: Depth=1
	v_add_nc_u32_e32 v17, v25, v49
	s_delay_alu instid0(VALU_DEP_1) | instskip(NEXT) | instid1(VALU_DEP_1)
	v_lshrrev_b32_e32 v19, 1, v17
	v_dual_add_nc_u32 v29, 1, v19 :: v_dual_bitop2_b32 v17, -2, v17 bitop3:0x40
	v_xad_u32 v28, v19, -1, v48
	s_delay_alu instid0(VALU_DEP_2) | instskip(NEXT) | instid1(VALU_DEP_2)
	v_add_nc_u32_e32 v17, v18, v17
	v_lshl_add_u32 v28, v28, 1, v16
	ds_load_u16 v17, v17
	ds_load_u16 v28, v28
	s_wait_dscnt 0x1
	v_and_b32_e32 v17, v17, v1
	s_wait_dscnt 0x0
	v_and_b32_e32 v28, v28, v1
	s_delay_alu instid0(VALU_DEP_1) | instskip(NEXT) | instid1(VALU_DEP_1)
	v_cmp_gt_i16_e64 s3, v28, v17
	v_cndmask_b32_e64 v25, v25, v19, s3
	v_cndmask_b32_e64 v49, v29, v49, s3
	s_delay_alu instid0(VALU_DEP_1) | instskip(SKIP_1) | instid1(SALU_CYCLE_1)
	v_cmp_ge_u32_e64 s3, v49, v25
	s_or_b32 s5, s3, s5
	s_and_not1_b32 exec_lo, exec_lo, s5
	s_cbranch_execnz .LBB917_31
; %bb.32:
	s_or_b32 exec_lo, exec_lo, s5
.LBB917_33:
	s_delay_alu instid0(SALU_CYCLE_1) | instskip(SKIP_4) | instid1(VALU_DEP_4)
	s_or_b32 exec_lo, exec_lo, s4
	v_dual_add_nc_u32 v25, 6, v11 :: v_dual_add_nc_u32 v16, v37, v48
	v_add_nc_u32_e32 v19, v49, v39
	v_add_nc_u32_e32 v33, 0x800, v27
	v_dual_add_nc_u32 v28, 2, v11 :: v_dual_add_nc_u32 v31, 4, v11
	v_sub_nc_u32_e32 v18, v16, v49
	s_delay_alu instid0(VALU_DEP_4)
	v_cmp_le_u32_e64 s3, v19, v37
	v_add_nc_u32_e32 v29, 0x808, v27
	v_add_nc_u32_e32 v32, 0x810, v27
	;; [unrolled: 1-line block ×3, first 2 shown]
	v_cmp_le_u32_e64 s4, v18, v38
	s_or_b32 s3, s3, s4
	s_delay_alu instid0(SALU_CYCLE_1)
	s_and_saveexec_b32 s13, s3
	s_cbranch_execz .LBB917_39
; %bb.34:
	v_cmp_lt_u32_e64 s3, v19, v37
                                        ; implicit-def: $vgpr16
	s_and_saveexec_b32 s4, s3
; %bb.35:
	v_lshl_add_u32 v4, v19, 1, v12
	ds_load_u16 v16, v4
; %bb.36:
	s_or_b32 exec_lo, exec_lo, s4
	v_cmp_ge_u32_e64 s4, v18, v38
	s_mov_b32 s6, exec_lo
                                        ; implicit-def: $vgpr17
	v_cmpx_lt_u32_e64 v18, v38
; %bb.37:
	v_lshl_add_u32 v4, v18, 1, v12
	ds_load_u16 v17, v4
; %bb.38:
	s_or_b32 exec_lo, exec_lo, s6
	s_wait_dscnt 0x0
	v_and_b32_e32 v4, v17, v1
	v_and_b32_e32 v5, v16, v1
	s_delay_alu instid0(VALU_DEP_1) | instskip(SKIP_1) | instid1(SALU_CYCLE_1)
	v_cmp_le_i16_e64 s5, v4, v5
	s_and_b32 s3, s3, s5
	s_or_b32 s3, s4, s3
	s_delay_alu instid0(SALU_CYCLE_1) | instskip(SKIP_1) | instid1(VALU_DEP_2)
	v_cndmask_b32_e64 v4, v18, v19, s3
	v_dual_cndmask_b32 v5, v38, v37, s3 :: v_dual_cndmask_b32 v36, v17, v16, s3
	v_add_nc_u32_e32 v14, 1, v4
	v_lshl_add_u32 v4, v4, 3, v10
	s_delay_alu instid0(VALU_DEP_2) | instskip(NEXT) | instid1(VALU_DEP_1)
	v_add_min_u32_e64 v5, v5, -1, v14
	v_lshl_add_u32 v5, v5, 1, v12
	ds_load_u16 v5, v5
	s_wait_dscnt 0x0
	v_cndmask_b32_e64 v26, v5, v17, s3
	v_dual_cndmask_b32 v34, v16, v5, s3 :: v_dual_cndmask_b32 v5, v19, v14, s3
	v_cndmask_b32_e64 v14, v14, v18, s3
	s_delay_alu instid0(VALU_DEP_3) | instskip(NEXT) | instid1(VALU_DEP_3)
	v_and_b32_e32 v15, v26, v1
	v_and_b32_e32 v19, v34, v1
	s_delay_alu instid0(VALU_DEP_4) | instskip(NEXT) | instid1(VALU_DEP_4)
	v_cmp_lt_u32_e64 s4, v5, v37
	v_cmp_ge_u32_e64 s6, v14, v38
	s_delay_alu instid0(VALU_DEP_3) | instskip(SKIP_1) | instid1(SALU_CYCLE_1)
	v_cmp_le_i16_e64 s5, v15, v19
	s_and_b32 s4, s4, s5
	s_or_b32 s4, s6, s4
	s_delay_alu instid0(SALU_CYCLE_1) | instskip(NEXT) | instid1(VALU_DEP_1)
	v_cndmask_b32_e64 v15, v14, v5, s4
	v_dual_cndmask_b32 v18, v38, v37, s4 :: v_dual_add_nc_u32 v19, 1, v15
	s_delay_alu instid0(VALU_DEP_1) | instskip(SKIP_1) | instid1(VALU_DEP_2)
	v_add_min_u32_e64 v18, v18, -1, v19
	v_dual_cndmask_b32 v5, v5, v19, s4 :: v_dual_cndmask_b32 v14, v19, v14, s4
	v_lshl_add_u32 v18, v18, 1, v12
	s_delay_alu instid0(VALU_DEP_2) | instskip(NEXT) | instid1(VALU_DEP_3)
	v_cmp_lt_u32_e64 s5, v5, v37
	v_cmp_ge_u32_e64 s7, v14, v38
	ds_load_u16 v18, v18
	s_wait_dscnt 0x0
	v_cndmask_b32_e64 v35, v18, v26, s4
	v_cndmask_b32_e64 v18, v34, v18, s4
	s_delay_alu instid0(VALU_DEP_1) | instskip(NEXT) | instid1(VALU_DEP_3)
	v_and_b32_e32 v21, v18, v1
	v_and_b32_e32 v20, v35, v1
	s_delay_alu instid0(VALU_DEP_1) | instskip(SKIP_1) | instid1(SALU_CYCLE_1)
	v_cmp_le_i16_e64 s6, v20, v21
	s_and_b32 s5, s5, s6
	s_or_b32 s5, s7, s5
	s_delay_alu instid0(SALU_CYCLE_1) | instskip(SKIP_1) | instid1(VALU_DEP_1)
	v_cndmask_b32_e64 v20, v38, v37, s5
	v_cndmask_b32_e64 v19, v14, v5, s5
	v_add_nc_u32_e32 v21, 1, v19
	s_delay_alu instid0(VALU_DEP_1) | instskip(SKIP_2) | instid1(VALU_DEP_3)
	v_add_min_u32_e64 v20, v20, -1, v21
	v_cndmask_b32_e64 v5, v5, v21, s5
	v_cndmask_b32_e64 v14, v21, v14, s5
	v_lshl_add_u32 v20, v20, 1, v12
	s_delay_alu instid0(VALU_DEP_3) | instskip(NEXT) | instid1(VALU_DEP_3)
	v_cmp_lt_u32_e64 s6, v5, v37
	v_cmp_ge_u32_e64 s10, v14, v38
	ds_load_u16 v20, v20
	s_wait_dscnt 0x0
	v_dual_cndmask_b32 v39, v20, v35, s5 :: v_dual_cndmask_b32 v48, v18, v20, s5
	s_delay_alu instid0(VALU_DEP_1) | instskip(NEXT) | instid1(VALU_DEP_2)
	v_and_b32_e32 v20, v39, v1
	v_and_b32_e32 v22, v48, v1
	s_delay_alu instid0(VALU_DEP_1) | instskip(SKIP_1) | instid1(SALU_CYCLE_1)
	v_cmp_le_i16_e64 s7, v20, v22
	s_and_b32 s6, s6, s7
	s_or_b32 s6, s10, s6
	v_cndmask_b32_e64 v34, v26, v34, s4
	v_dual_cndmask_b32 v5, v14, v5, s6 :: v_dual_cndmask_b32 v26, v35, v18, s5
	v_lshl_add_u32 v14, v15, 3, v10
	v_lshl_add_u32 v15, v19, 3, v10
	v_cndmask_b32_e64 v35, v39, v48, s6
	s_delay_alu instid0(VALU_DEP_4)
	v_lshl_add_u32 v19, v5, 3, v10
	ds_load_b64 v[4:5], v4 offset:2048
	ds_load_b64 v[22:23], v14 offset:2048
	;; [unrolled: 1-line block ×4, first 2 shown]
.LBB917_39:
	s_or_b32 exec_lo, exec_lo, s13
	v_and_b32_e32 v39, 0x70, v30
	s_mov_b32 s4, exec_lo
	; wave barrier
	ds_store_b16 v11, v36
	s_wait_dscnt 0x4
	ds_store_b64 v33, v[4:5]
	v_or_b32_e32 v16, 8, v39
	ds_store_b16 v28, v34
	s_wait_dscnt 0x5
	ds_store_b64 v29, v[22:23]
	ds_store_b16 v31, v26
	s_wait_dscnt 0x6
	ds_store_b64 v32, v[14:15]
	;; [unrolled: 3-line block ×3, first 2 shown]
	; wave barrier
	v_min_u32_e32 v37, v24, v16
	v_and_b32_e32 v16, 12, v30
	s_delay_alu instid0(VALU_DEP_2) | instskip(NEXT) | instid1(VALU_DEP_2)
	v_add_min_u32_e64 v38, v37, 8, v24
	v_min_u32_e32 v48, v24, v16
	s_delay_alu instid0(VALU_DEP_2) | instskip(NEXT) | instid1(VALU_DEP_1)
	v_dual_sub_nc_u32 v17, v37, v39 :: v_dual_sub_nc_u32 v16, v38, v37
	v_min_u32_e32 v50, v48, v17
	s_delay_alu instid0(VALU_DEP_2) | instskip(NEXT) | instid1(VALU_DEP_1)
	v_sub_nc_u32_e64 v49, v48, v16 clamp
	v_cmpx_lt_u32_e64 v49, v50
	s_cbranch_execz .LBB917_43
; %bb.40:
	v_dual_mov_b32 v19, 0 :: v_dual_lshlrev_b32 v18, 1, v39
	s_mov_b32 s5, 0
	s_delay_alu instid0(VALU_DEP_1) | instskip(SKIP_1) | instid1(VALU_DEP_1)
	v_add_nc_u64_e32 v[16:17], v[12:13], v[18:19]
	v_lshlrev_b32_e32 v18, 1, v37
	v_add_nc_u64_e32 v[18:19], v[12:13], v[18:19]
.LBB917_41:                             ; =>This Inner Loop Header: Depth=1
	v_add_nc_u32_e32 v17, v50, v49
	s_delay_alu instid0(VALU_DEP_1) | instskip(NEXT) | instid1(VALU_DEP_1)
	v_lshrrev_b32_e32 v19, 1, v17
	v_dual_add_nc_u32 v52, 1, v19 :: v_dual_bitop2_b32 v17, -2, v17 bitop3:0x40
	v_xad_u32 v51, v19, -1, v48
	s_delay_alu instid0(VALU_DEP_2) | instskip(NEXT) | instid1(VALU_DEP_2)
	v_add_nc_u32_e32 v17, v16, v17
	v_lshl_add_u32 v51, v51, 1, v18
	ds_load_u16 v17, v17
	ds_load_u16 v51, v51
	s_wait_dscnt 0x1
	v_and_b32_e32 v17, v17, v1
	s_wait_dscnt 0x0
	v_and_b32_e32 v51, v51, v1
	s_delay_alu instid0(VALU_DEP_1) | instskip(NEXT) | instid1(VALU_DEP_1)
	v_cmp_gt_i16_e64 s3, v51, v17
	v_dual_cndmask_b32 v50, v50, v19, s3 :: v_dual_cndmask_b32 v49, v52, v49, s3
	s_delay_alu instid0(VALU_DEP_1) | instskip(SKIP_1) | instid1(SALU_CYCLE_1)
	v_cmp_ge_u32_e64 s3, v49, v50
	s_or_b32 s5, s3, s5
	s_and_not1_b32 exec_lo, exec_lo, s5
	s_cbranch_execnz .LBB917_41
; %bb.42:
	s_or_b32 exec_lo, exec_lo, s5
.LBB917_43:
	s_delay_alu instid0(SALU_CYCLE_1) | instskip(SKIP_1) | instid1(VALU_DEP_1)
	s_or_b32 exec_lo, exec_lo, s4
	v_add_nc_u32_e32 v16, v37, v48
	v_dual_add_nc_u32 v19, v49, v39 :: v_dual_sub_nc_u32 v18, v16, v49
	s_delay_alu instid0(VALU_DEP_1) | instskip(NEXT) | instid1(VALU_DEP_2)
	v_cmp_le_u32_e64 s3, v19, v37
	v_cmp_le_u32_e64 s4, v18, v38
	s_or_b32 s3, s3, s4
	s_delay_alu instid0(SALU_CYCLE_1)
	s_and_saveexec_b32 s13, s3
	s_cbranch_execz .LBB917_49
; %bb.44:
	v_cmp_lt_u32_e64 s3, v19, v37
                                        ; implicit-def: $vgpr16
	s_and_saveexec_b32 s4, s3
; %bb.45:
	v_lshl_add_u32 v4, v19, 1, v12
	ds_load_u16 v16, v4
; %bb.46:
	s_or_b32 exec_lo, exec_lo, s4
	v_cmp_ge_u32_e64 s4, v18, v38
	s_mov_b32 s6, exec_lo
                                        ; implicit-def: $vgpr17
	v_cmpx_lt_u32_e64 v18, v38
; %bb.47:
	v_lshl_add_u32 v4, v18, 1, v12
	ds_load_u16 v17, v4
; %bb.48:
	s_or_b32 exec_lo, exec_lo, s6
	s_wait_dscnt 0x0
	v_and_b32_e32 v4, v17, v1
	v_and_b32_e32 v5, v16, v1
	s_delay_alu instid0(VALU_DEP_1) | instskip(SKIP_1) | instid1(SALU_CYCLE_1)
	v_cmp_le_i16_e64 s5, v4, v5
	s_and_b32 s3, s3, s5
	s_or_b32 s3, s4, s3
	s_delay_alu instid0(SALU_CYCLE_1) | instskip(SKIP_1) | instid1(VALU_DEP_2)
	v_cndmask_b32_e64 v4, v18, v19, s3
	v_dual_cndmask_b32 v5, v38, v37, s3 :: v_dual_cndmask_b32 v36, v17, v16, s3
	v_add_nc_u32_e32 v14, 1, v4
	v_lshl_add_u32 v4, v4, 3, v10
	s_delay_alu instid0(VALU_DEP_2) | instskip(NEXT) | instid1(VALU_DEP_1)
	v_add_min_u32_e64 v5, v5, -1, v14
	v_lshl_add_u32 v5, v5, 1, v12
	ds_load_u16 v5, v5
	s_wait_dscnt 0x0
	v_cndmask_b32_e64 v26, v5, v17, s3
	v_dual_cndmask_b32 v34, v16, v5, s3 :: v_dual_cndmask_b32 v5, v19, v14, s3
	v_cndmask_b32_e64 v14, v14, v18, s3
	s_delay_alu instid0(VALU_DEP_3) | instskip(NEXT) | instid1(VALU_DEP_3)
	v_and_b32_e32 v15, v26, v1
	v_and_b32_e32 v19, v34, v1
	s_delay_alu instid0(VALU_DEP_4) | instskip(NEXT) | instid1(VALU_DEP_4)
	v_cmp_lt_u32_e64 s4, v5, v37
	v_cmp_ge_u32_e64 s6, v14, v38
	s_delay_alu instid0(VALU_DEP_3) | instskip(SKIP_1) | instid1(SALU_CYCLE_1)
	v_cmp_le_i16_e64 s5, v15, v19
	s_and_b32 s4, s4, s5
	s_or_b32 s4, s6, s4
	s_delay_alu instid0(SALU_CYCLE_1) | instskip(NEXT) | instid1(VALU_DEP_1)
	v_cndmask_b32_e64 v15, v14, v5, s4
	v_dual_cndmask_b32 v18, v38, v37, s4 :: v_dual_add_nc_u32 v19, 1, v15
	s_delay_alu instid0(VALU_DEP_1) | instskip(SKIP_1) | instid1(VALU_DEP_2)
	v_add_min_u32_e64 v18, v18, -1, v19
	v_dual_cndmask_b32 v5, v5, v19, s4 :: v_dual_cndmask_b32 v14, v19, v14, s4
	v_lshl_add_u32 v18, v18, 1, v12
	s_delay_alu instid0(VALU_DEP_2) | instskip(NEXT) | instid1(VALU_DEP_3)
	v_cmp_lt_u32_e64 s5, v5, v37
	v_cmp_ge_u32_e64 s7, v14, v38
	ds_load_u16 v18, v18
	s_wait_dscnt 0x0
	v_cndmask_b32_e64 v35, v18, v26, s4
	v_cndmask_b32_e64 v18, v34, v18, s4
	s_delay_alu instid0(VALU_DEP_1) | instskip(NEXT) | instid1(VALU_DEP_3)
	v_and_b32_e32 v21, v18, v1
	v_and_b32_e32 v20, v35, v1
	s_delay_alu instid0(VALU_DEP_1) | instskip(SKIP_1) | instid1(SALU_CYCLE_1)
	v_cmp_le_i16_e64 s6, v20, v21
	s_and_b32 s5, s5, s6
	s_or_b32 s5, s7, s5
	s_delay_alu instid0(SALU_CYCLE_1) | instskip(SKIP_1) | instid1(VALU_DEP_1)
	v_cndmask_b32_e64 v20, v38, v37, s5
	v_cndmask_b32_e64 v19, v14, v5, s5
	v_add_nc_u32_e32 v21, 1, v19
	s_delay_alu instid0(VALU_DEP_1) | instskip(SKIP_2) | instid1(VALU_DEP_3)
	v_add_min_u32_e64 v20, v20, -1, v21
	v_cndmask_b32_e64 v5, v5, v21, s5
	v_cndmask_b32_e64 v14, v21, v14, s5
	v_lshl_add_u32 v20, v20, 1, v12
	s_delay_alu instid0(VALU_DEP_3) | instskip(NEXT) | instid1(VALU_DEP_3)
	v_cmp_lt_u32_e64 s6, v5, v37
	v_cmp_ge_u32_e64 s10, v14, v38
	ds_load_u16 v20, v20
	s_wait_dscnt 0x0
	v_dual_cndmask_b32 v39, v20, v35, s5 :: v_dual_cndmask_b32 v48, v18, v20, s5
	s_delay_alu instid0(VALU_DEP_1) | instskip(NEXT) | instid1(VALU_DEP_2)
	v_and_b32_e32 v20, v39, v1
	v_and_b32_e32 v22, v48, v1
	s_delay_alu instid0(VALU_DEP_1) | instskip(SKIP_1) | instid1(SALU_CYCLE_1)
	v_cmp_le_i16_e64 s7, v20, v22
	s_and_b32 s6, s6, s7
	s_or_b32 s6, s10, s6
	v_cndmask_b32_e64 v34, v26, v34, s4
	v_dual_cndmask_b32 v5, v14, v5, s6 :: v_dual_cndmask_b32 v26, v35, v18, s5
	v_lshl_add_u32 v14, v15, 3, v10
	v_lshl_add_u32 v15, v19, 3, v10
	v_cndmask_b32_e64 v35, v39, v48, s6
	s_delay_alu instid0(VALU_DEP_4)
	v_lshl_add_u32 v19, v5, 3, v10
	ds_load_b64 v[4:5], v4 offset:2048
	ds_load_b64 v[22:23], v14 offset:2048
	ds_load_b64 v[14:15], v15 offset:2048
	ds_load_b64 v[20:21], v19 offset:2048
.LBB917_49:
	s_or_b32 exec_lo, exec_lo, s13
	v_and_b32_e32 v39, 0x60, v30
	s_mov_b32 s4, exec_lo
	; wave barrier
	ds_store_b16 v11, v36
	s_wait_dscnt 0x4
	ds_store_b64 v33, v[4:5]
	v_or_b32_e32 v16, 16, v39
	ds_store_b16 v28, v34
	s_wait_dscnt 0x5
	ds_store_b64 v29, v[22:23]
	ds_store_b16 v31, v26
	s_wait_dscnt 0x6
	ds_store_b64 v32, v[14:15]
	;; [unrolled: 3-line block ×3, first 2 shown]
	; wave barrier
	v_min_u32_e32 v37, v24, v16
	v_and_b32_e32 v16, 28, v30
	s_delay_alu instid0(VALU_DEP_2) | instskip(NEXT) | instid1(VALU_DEP_2)
	v_add_min_u32_e64 v38, v37, 16, v24
	v_min_u32_e32 v48, v24, v16
	s_delay_alu instid0(VALU_DEP_2) | instskip(NEXT) | instid1(VALU_DEP_1)
	v_dual_sub_nc_u32 v17, v37, v39 :: v_dual_sub_nc_u32 v16, v38, v37
	v_min_u32_e32 v50, v48, v17
	s_delay_alu instid0(VALU_DEP_2) | instskip(NEXT) | instid1(VALU_DEP_1)
	v_sub_nc_u32_e64 v49, v48, v16 clamp
	v_cmpx_lt_u32_e64 v49, v50
	s_cbranch_execz .LBB917_53
; %bb.50:
	v_dual_mov_b32 v19, 0 :: v_dual_lshlrev_b32 v18, 1, v39
	s_mov_b32 s5, 0
	s_delay_alu instid0(VALU_DEP_1) | instskip(SKIP_1) | instid1(VALU_DEP_1)
	v_add_nc_u64_e32 v[16:17], v[12:13], v[18:19]
	v_lshlrev_b32_e32 v18, 1, v37
	v_add_nc_u64_e32 v[18:19], v[12:13], v[18:19]
.LBB917_51:                             ; =>This Inner Loop Header: Depth=1
	v_add_nc_u32_e32 v17, v50, v49
	s_delay_alu instid0(VALU_DEP_1) | instskip(NEXT) | instid1(VALU_DEP_1)
	v_lshrrev_b32_e32 v19, 1, v17
	v_dual_add_nc_u32 v52, 1, v19 :: v_dual_bitop2_b32 v17, -2, v17 bitop3:0x40
	v_xad_u32 v51, v19, -1, v48
	s_delay_alu instid0(VALU_DEP_2) | instskip(NEXT) | instid1(VALU_DEP_2)
	v_add_nc_u32_e32 v17, v16, v17
	v_lshl_add_u32 v51, v51, 1, v18
	ds_load_u16 v17, v17
	ds_load_u16 v51, v51
	s_wait_dscnt 0x1
	v_and_b32_e32 v17, v17, v1
	s_wait_dscnt 0x0
	v_and_b32_e32 v51, v51, v1
	s_delay_alu instid0(VALU_DEP_1) | instskip(NEXT) | instid1(VALU_DEP_1)
	v_cmp_gt_i16_e64 s3, v51, v17
	v_dual_cndmask_b32 v50, v50, v19, s3 :: v_dual_cndmask_b32 v49, v52, v49, s3
	s_delay_alu instid0(VALU_DEP_1) | instskip(SKIP_1) | instid1(SALU_CYCLE_1)
	v_cmp_ge_u32_e64 s3, v49, v50
	s_or_b32 s5, s3, s5
	s_and_not1_b32 exec_lo, exec_lo, s5
	s_cbranch_execnz .LBB917_51
; %bb.52:
	s_or_b32 exec_lo, exec_lo, s5
.LBB917_53:
	s_delay_alu instid0(SALU_CYCLE_1) | instskip(SKIP_1) | instid1(VALU_DEP_1)
	s_or_b32 exec_lo, exec_lo, s4
	v_add_nc_u32_e32 v16, v37, v48
	v_dual_add_nc_u32 v19, v49, v39 :: v_dual_sub_nc_u32 v18, v16, v49
	s_delay_alu instid0(VALU_DEP_1) | instskip(NEXT) | instid1(VALU_DEP_2)
	v_cmp_le_u32_e64 s3, v19, v37
	v_cmp_le_u32_e64 s4, v18, v38
	s_or_b32 s3, s3, s4
	s_delay_alu instid0(SALU_CYCLE_1)
	s_and_saveexec_b32 s13, s3
	s_cbranch_execz .LBB917_59
; %bb.54:
	v_cmp_lt_u32_e64 s3, v19, v37
                                        ; implicit-def: $vgpr16
	s_and_saveexec_b32 s4, s3
; %bb.55:
	v_lshl_add_u32 v4, v19, 1, v12
	ds_load_u16 v16, v4
; %bb.56:
	s_or_b32 exec_lo, exec_lo, s4
	v_cmp_ge_u32_e64 s4, v18, v38
	s_mov_b32 s6, exec_lo
                                        ; implicit-def: $vgpr17
	v_cmpx_lt_u32_e64 v18, v38
; %bb.57:
	v_lshl_add_u32 v4, v18, 1, v12
	ds_load_u16 v17, v4
; %bb.58:
	s_or_b32 exec_lo, exec_lo, s6
	s_wait_dscnt 0x0
	v_and_b32_e32 v4, v17, v1
	v_and_b32_e32 v5, v16, v1
	s_delay_alu instid0(VALU_DEP_1) | instskip(SKIP_1) | instid1(SALU_CYCLE_1)
	v_cmp_le_i16_e64 s5, v4, v5
	s_and_b32 s3, s3, s5
	s_or_b32 s3, s4, s3
	s_delay_alu instid0(SALU_CYCLE_1) | instskip(SKIP_1) | instid1(VALU_DEP_2)
	v_cndmask_b32_e64 v4, v18, v19, s3
	v_dual_cndmask_b32 v5, v38, v37, s3 :: v_dual_cndmask_b32 v36, v17, v16, s3
	v_add_nc_u32_e32 v14, 1, v4
	v_lshl_add_u32 v4, v4, 3, v10
	s_delay_alu instid0(VALU_DEP_2) | instskip(NEXT) | instid1(VALU_DEP_1)
	v_add_min_u32_e64 v5, v5, -1, v14
	v_lshl_add_u32 v5, v5, 1, v12
	ds_load_u16 v5, v5
	s_wait_dscnt 0x0
	v_cndmask_b32_e64 v26, v5, v17, s3
	v_dual_cndmask_b32 v34, v16, v5, s3 :: v_dual_cndmask_b32 v5, v19, v14, s3
	v_cndmask_b32_e64 v14, v14, v18, s3
	s_delay_alu instid0(VALU_DEP_3) | instskip(NEXT) | instid1(VALU_DEP_3)
	v_and_b32_e32 v15, v26, v1
	v_and_b32_e32 v19, v34, v1
	s_delay_alu instid0(VALU_DEP_4) | instskip(NEXT) | instid1(VALU_DEP_4)
	v_cmp_lt_u32_e64 s4, v5, v37
	v_cmp_ge_u32_e64 s6, v14, v38
	s_delay_alu instid0(VALU_DEP_3) | instskip(SKIP_1) | instid1(SALU_CYCLE_1)
	v_cmp_le_i16_e64 s5, v15, v19
	s_and_b32 s4, s4, s5
	s_or_b32 s4, s6, s4
	s_delay_alu instid0(SALU_CYCLE_1) | instskip(NEXT) | instid1(VALU_DEP_1)
	v_cndmask_b32_e64 v15, v14, v5, s4
	v_dual_cndmask_b32 v18, v38, v37, s4 :: v_dual_add_nc_u32 v19, 1, v15
	s_delay_alu instid0(VALU_DEP_1) | instskip(SKIP_1) | instid1(VALU_DEP_2)
	v_add_min_u32_e64 v18, v18, -1, v19
	v_dual_cndmask_b32 v5, v5, v19, s4 :: v_dual_cndmask_b32 v14, v19, v14, s4
	v_lshl_add_u32 v18, v18, 1, v12
	s_delay_alu instid0(VALU_DEP_2) | instskip(NEXT) | instid1(VALU_DEP_3)
	v_cmp_lt_u32_e64 s5, v5, v37
	v_cmp_ge_u32_e64 s7, v14, v38
	ds_load_u16 v18, v18
	s_wait_dscnt 0x0
	v_cndmask_b32_e64 v35, v18, v26, s4
	v_cndmask_b32_e64 v18, v34, v18, s4
	s_delay_alu instid0(VALU_DEP_1) | instskip(NEXT) | instid1(VALU_DEP_3)
	v_and_b32_e32 v21, v18, v1
	v_and_b32_e32 v20, v35, v1
	s_delay_alu instid0(VALU_DEP_1) | instskip(SKIP_1) | instid1(SALU_CYCLE_1)
	v_cmp_le_i16_e64 s6, v20, v21
	s_and_b32 s5, s5, s6
	s_or_b32 s5, s7, s5
	s_delay_alu instid0(SALU_CYCLE_1) | instskip(SKIP_1) | instid1(VALU_DEP_1)
	v_cndmask_b32_e64 v20, v38, v37, s5
	v_cndmask_b32_e64 v19, v14, v5, s5
	v_add_nc_u32_e32 v21, 1, v19
	s_delay_alu instid0(VALU_DEP_1) | instskip(SKIP_2) | instid1(VALU_DEP_3)
	v_add_min_u32_e64 v20, v20, -1, v21
	v_cndmask_b32_e64 v5, v5, v21, s5
	v_cndmask_b32_e64 v14, v21, v14, s5
	v_lshl_add_u32 v20, v20, 1, v12
	s_delay_alu instid0(VALU_DEP_3) | instskip(NEXT) | instid1(VALU_DEP_3)
	v_cmp_lt_u32_e64 s6, v5, v37
	v_cmp_ge_u32_e64 s10, v14, v38
	ds_load_u16 v20, v20
	s_wait_dscnt 0x0
	v_dual_cndmask_b32 v39, v20, v35, s5 :: v_dual_cndmask_b32 v48, v18, v20, s5
	s_delay_alu instid0(VALU_DEP_1) | instskip(NEXT) | instid1(VALU_DEP_2)
	v_and_b32_e32 v20, v39, v1
	v_and_b32_e32 v22, v48, v1
	s_delay_alu instid0(VALU_DEP_1) | instskip(SKIP_1) | instid1(SALU_CYCLE_1)
	v_cmp_le_i16_e64 s7, v20, v22
	s_and_b32 s6, s6, s7
	s_or_b32 s6, s10, s6
	v_cndmask_b32_e64 v34, v26, v34, s4
	v_dual_cndmask_b32 v5, v14, v5, s6 :: v_dual_cndmask_b32 v26, v35, v18, s5
	v_lshl_add_u32 v14, v15, 3, v10
	v_lshl_add_u32 v15, v19, 3, v10
	v_cndmask_b32_e64 v35, v39, v48, s6
	s_delay_alu instid0(VALU_DEP_4)
	v_lshl_add_u32 v19, v5, 3, v10
	ds_load_b64 v[4:5], v4 offset:2048
	ds_load_b64 v[22:23], v14 offset:2048
	;; [unrolled: 1-line block ×4, first 2 shown]
.LBB917_59:
	s_or_b32 exec_lo, exec_lo, s13
	v_and_b32_e32 v39, 64, v30
	s_mov_b32 s4, exec_lo
	; wave barrier
	ds_store_b16 v11, v36
	s_wait_dscnt 0x4
	ds_store_b64 v33, v[4:5]
	v_or_b32_e32 v16, 32, v39
	ds_store_b16 v28, v34
	s_wait_dscnt 0x5
	ds_store_b64 v29, v[22:23]
	ds_store_b16 v31, v26
	s_wait_dscnt 0x6
	ds_store_b64 v32, v[14:15]
	;; [unrolled: 3-line block ×3, first 2 shown]
	; wave barrier
	v_min_u32_e32 v37, v24, v16
	v_and_b32_e32 v16, 60, v30
	s_delay_alu instid0(VALU_DEP_2) | instskip(NEXT) | instid1(VALU_DEP_2)
	v_add_min_u32_e64 v38, v37, 32, v24
	v_min_u32_e32 v48, v24, v16
	s_delay_alu instid0(VALU_DEP_2) | instskip(NEXT) | instid1(VALU_DEP_1)
	v_dual_sub_nc_u32 v16, v38, v37 :: v_dual_sub_nc_u32 v17, v37, v39
	v_sub_nc_u32_e64 v49, v48, v16 clamp
	s_delay_alu instid0(VALU_DEP_2) | instskip(NEXT) | instid1(VALU_DEP_1)
	v_min_u32_e32 v50, v48, v17
	v_cmpx_lt_u32_e64 v49, v50
	s_cbranch_execz .LBB917_63
; %bb.60:
	v_dual_mov_b32 v19, 0 :: v_dual_lshlrev_b32 v18, 1, v39
	s_mov_b32 s5, 0
	s_delay_alu instid0(VALU_DEP_1) | instskip(SKIP_1) | instid1(VALU_DEP_1)
	v_add_nc_u64_e32 v[16:17], v[12:13], v[18:19]
	v_lshlrev_b32_e32 v18, 1, v37
	v_add_nc_u64_e32 v[18:19], v[12:13], v[18:19]
.LBB917_61:                             ; =>This Inner Loop Header: Depth=1
	v_add_nc_u32_e32 v17, v50, v49
	s_delay_alu instid0(VALU_DEP_1) | instskip(NEXT) | instid1(VALU_DEP_1)
	v_lshrrev_b32_e32 v19, 1, v17
	v_dual_add_nc_u32 v52, 1, v19 :: v_dual_bitop2_b32 v17, -2, v17 bitop3:0x40
	v_xad_u32 v51, v19, -1, v48
	s_delay_alu instid0(VALU_DEP_2) | instskip(NEXT) | instid1(VALU_DEP_2)
	v_add_nc_u32_e32 v17, v16, v17
	v_lshl_add_u32 v51, v51, 1, v18
	ds_load_u16 v17, v17
	ds_load_u16 v51, v51
	s_wait_dscnt 0x1
	v_and_b32_e32 v17, v17, v1
	s_wait_dscnt 0x0
	v_and_b32_e32 v51, v51, v1
	s_delay_alu instid0(VALU_DEP_1) | instskip(NEXT) | instid1(VALU_DEP_1)
	v_cmp_gt_i16_e64 s3, v51, v17
	v_dual_cndmask_b32 v50, v50, v19, s3 :: v_dual_cndmask_b32 v49, v52, v49, s3
	s_delay_alu instid0(VALU_DEP_1) | instskip(SKIP_1) | instid1(SALU_CYCLE_1)
	v_cmp_ge_u32_e64 s3, v49, v50
	s_or_b32 s5, s3, s5
	s_and_not1_b32 exec_lo, exec_lo, s5
	s_cbranch_execnz .LBB917_61
; %bb.62:
	s_or_b32 exec_lo, exec_lo, s5
.LBB917_63:
	s_delay_alu instid0(SALU_CYCLE_1) | instskip(SKIP_1) | instid1(VALU_DEP_1)
	s_or_b32 exec_lo, exec_lo, s4
	v_add_nc_u32_e32 v16, v37, v48
	v_dual_add_nc_u32 v19, v49, v39 :: v_dual_sub_nc_u32 v18, v16, v49
	s_delay_alu instid0(VALU_DEP_1) | instskip(NEXT) | instid1(VALU_DEP_2)
	v_cmp_le_u32_e64 s3, v19, v37
	v_cmp_le_u32_e64 s4, v18, v38
	s_or_b32 s3, s3, s4
	s_delay_alu instid0(SALU_CYCLE_1)
	s_and_saveexec_b32 s13, s3
	s_cbranch_execz .LBB917_69
; %bb.64:
	v_cmp_lt_u32_e64 s3, v19, v37
                                        ; implicit-def: $vgpr16
	s_and_saveexec_b32 s4, s3
; %bb.65:
	v_lshl_add_u32 v4, v19, 1, v12
	ds_load_u16 v16, v4
; %bb.66:
	s_or_b32 exec_lo, exec_lo, s4
	v_cmp_ge_u32_e64 s4, v18, v38
	s_mov_b32 s6, exec_lo
                                        ; implicit-def: $vgpr17
	v_cmpx_lt_u32_e64 v18, v38
; %bb.67:
	v_lshl_add_u32 v4, v18, 1, v12
	ds_load_u16 v17, v4
; %bb.68:
	s_or_b32 exec_lo, exec_lo, s6
	s_wait_dscnt 0x0
	v_and_b32_e32 v4, v17, v1
	v_and_b32_e32 v5, v16, v1
	s_delay_alu instid0(VALU_DEP_1) | instskip(SKIP_1) | instid1(SALU_CYCLE_1)
	v_cmp_le_i16_e64 s5, v4, v5
	s_and_b32 s3, s3, s5
	s_or_b32 s3, s4, s3
	s_delay_alu instid0(SALU_CYCLE_1) | instskip(SKIP_1) | instid1(VALU_DEP_2)
	v_cndmask_b32_e64 v4, v18, v19, s3
	v_dual_cndmask_b32 v5, v38, v37, s3 :: v_dual_cndmask_b32 v36, v17, v16, s3
	v_add_nc_u32_e32 v14, 1, v4
	v_lshl_add_u32 v4, v4, 3, v10
	s_delay_alu instid0(VALU_DEP_2) | instskip(NEXT) | instid1(VALU_DEP_1)
	v_add_min_u32_e64 v5, v5, -1, v14
	v_lshl_add_u32 v5, v5, 1, v12
	ds_load_u16 v5, v5
	s_wait_dscnt 0x0
	v_cndmask_b32_e64 v26, v5, v17, s3
	v_dual_cndmask_b32 v34, v16, v5, s3 :: v_dual_cndmask_b32 v5, v19, v14, s3
	v_cndmask_b32_e64 v14, v14, v18, s3
	s_delay_alu instid0(VALU_DEP_3) | instskip(NEXT) | instid1(VALU_DEP_3)
	v_and_b32_e32 v15, v26, v1
	v_and_b32_e32 v19, v34, v1
	s_delay_alu instid0(VALU_DEP_4) | instskip(NEXT) | instid1(VALU_DEP_4)
	v_cmp_lt_u32_e64 s4, v5, v37
	v_cmp_ge_u32_e64 s6, v14, v38
	s_delay_alu instid0(VALU_DEP_3) | instskip(SKIP_1) | instid1(SALU_CYCLE_1)
	v_cmp_le_i16_e64 s5, v15, v19
	s_and_b32 s4, s4, s5
	s_or_b32 s4, s6, s4
	s_delay_alu instid0(SALU_CYCLE_1) | instskip(NEXT) | instid1(VALU_DEP_1)
	v_cndmask_b32_e64 v15, v14, v5, s4
	v_dual_cndmask_b32 v18, v38, v37, s4 :: v_dual_add_nc_u32 v19, 1, v15
	s_delay_alu instid0(VALU_DEP_1) | instskip(SKIP_1) | instid1(VALU_DEP_2)
	v_add_min_u32_e64 v18, v18, -1, v19
	v_dual_cndmask_b32 v5, v5, v19, s4 :: v_dual_cndmask_b32 v14, v19, v14, s4
	v_lshl_add_u32 v18, v18, 1, v12
	s_delay_alu instid0(VALU_DEP_2) | instskip(NEXT) | instid1(VALU_DEP_3)
	v_cmp_lt_u32_e64 s5, v5, v37
	v_cmp_ge_u32_e64 s7, v14, v38
	ds_load_u16 v18, v18
	s_wait_dscnt 0x0
	v_cndmask_b32_e64 v35, v18, v26, s4
	v_cndmask_b32_e64 v18, v34, v18, s4
	s_delay_alu instid0(VALU_DEP_1) | instskip(NEXT) | instid1(VALU_DEP_3)
	v_and_b32_e32 v21, v18, v1
	v_and_b32_e32 v20, v35, v1
	s_delay_alu instid0(VALU_DEP_1) | instskip(SKIP_1) | instid1(SALU_CYCLE_1)
	v_cmp_le_i16_e64 s6, v20, v21
	s_and_b32 s5, s5, s6
	s_or_b32 s5, s7, s5
	s_delay_alu instid0(SALU_CYCLE_1) | instskip(SKIP_1) | instid1(VALU_DEP_1)
	v_cndmask_b32_e64 v20, v38, v37, s5
	v_cndmask_b32_e64 v19, v14, v5, s5
	v_add_nc_u32_e32 v21, 1, v19
	s_delay_alu instid0(VALU_DEP_1) | instskip(SKIP_2) | instid1(VALU_DEP_3)
	v_add_min_u32_e64 v20, v20, -1, v21
	v_cndmask_b32_e64 v5, v5, v21, s5
	v_cndmask_b32_e64 v14, v21, v14, s5
	v_lshl_add_u32 v20, v20, 1, v12
	s_delay_alu instid0(VALU_DEP_3) | instskip(NEXT) | instid1(VALU_DEP_3)
	v_cmp_lt_u32_e64 s6, v5, v37
	v_cmp_ge_u32_e64 s10, v14, v38
	ds_load_u16 v20, v20
	s_wait_dscnt 0x0
	v_dual_cndmask_b32 v39, v20, v35, s5 :: v_dual_cndmask_b32 v48, v18, v20, s5
	s_delay_alu instid0(VALU_DEP_1) | instskip(NEXT) | instid1(VALU_DEP_2)
	v_and_b32_e32 v20, v39, v1
	v_and_b32_e32 v22, v48, v1
	s_delay_alu instid0(VALU_DEP_1) | instskip(SKIP_1) | instid1(SALU_CYCLE_1)
	v_cmp_le_i16_e64 s7, v20, v22
	s_and_b32 s6, s6, s7
	s_or_b32 s6, s10, s6
	v_cndmask_b32_e64 v34, v26, v34, s4
	v_dual_cndmask_b32 v5, v14, v5, s6 :: v_dual_cndmask_b32 v26, v35, v18, s5
	v_lshl_add_u32 v14, v15, 3, v10
	v_lshl_add_u32 v15, v19, 3, v10
	v_cndmask_b32_e64 v35, v39, v48, s6
	s_delay_alu instid0(VALU_DEP_4)
	v_lshl_add_u32 v19, v5, 3, v10
	ds_load_b64 v[4:5], v4 offset:2048
	ds_load_b64 v[22:23], v14 offset:2048
	;; [unrolled: 1-line block ×4, first 2 shown]
.LBB917_69:
	s_or_b32 exec_lo, exec_lo, s13
	v_min_u32_e32 v19, 64, v24
	; wave barrier
	ds_store_b16 v11, v36
	s_wait_dscnt 0x4
	ds_store_b64 v33, v[4:5]
	s_mov_b32 s4, exec_lo
	v_add_min_u32_e64 v18, v19, 64, v24
	v_min_u32_e32 v24, v24, v30
	ds_store_b16 v28, v34
	s_wait_dscnt 0x5
	ds_store_b64 v29, v[22:23]
	ds_store_b16 v31, v26
	s_wait_dscnt 0x6
	ds_store_b64 v32, v[14:15]
	;; [unrolled: 3-line block ×3, first 2 shown]
	; wave barrier
	v_sub_nc_u32_e32 v16, v18, v19
	v_min_u32_e32 v33, v24, v19
	s_delay_alu instid0(VALU_DEP_2) | instskip(NEXT) | instid1(VALU_DEP_1)
	v_sub_nc_u32_e64 v11, v24, v16 clamp
	v_cmpx_lt_u32_e64 v11, v33
	s_cbranch_execz .LBB917_73
; %bb.70:
	v_dual_mov_b32 v17, 0 :: v_dual_lshlrev_b32 v16, 1, v19
	s_mov_b32 s5, 0
	s_delay_alu instid0(VALU_DEP_1)
	v_add_nc_u64_e32 v[16:17], v[12:13], v[16:17]
.LBB917_71:                             ; =>This Inner Loop Header: Depth=1
	v_add_nc_u32_e32 v13, v33, v11
	s_delay_alu instid0(VALU_DEP_1) | instskip(NEXT) | instid1(VALU_DEP_1)
	v_lshrrev_b32_e32 v17, 1, v13
	v_add_nc_u32_e32 v27, 1, v17
	v_and_b32_e32 v13, -2, v13
	v_xad_u32 v25, v17, -1, v24
	s_delay_alu instid0(VALU_DEP_2) | instskip(NEXT) | instid1(VALU_DEP_2)
	v_add_nc_u32_e32 v13, v12, v13
	v_lshl_add_u32 v25, v25, 1, v16
	ds_load_u16 v13, v13
	ds_load_u16 v25, v25
	s_wait_dscnt 0x1
	v_and_b32_e32 v13, v13, v1
	s_wait_dscnt 0x0
	v_and_b32_e32 v25, v25, v1
	s_delay_alu instid0(VALU_DEP_1) | instskip(NEXT) | instid1(VALU_DEP_1)
	v_cmp_gt_i16_e64 s3, v25, v13
	v_dual_cndmask_b32 v33, v33, v17, s3 :: v_dual_cndmask_b32 v11, v27, v11, s3
	s_delay_alu instid0(VALU_DEP_1) | instskip(SKIP_1) | instid1(SALU_CYCLE_1)
	v_cmp_ge_u32_e64 s3, v11, v33
	s_or_b32 s5, s3, s5
	s_and_not1_b32 exec_lo, exec_lo, s5
	s_cbranch_execnz .LBB917_71
; %bb.72:
	s_or_b32 exec_lo, exec_lo, s5
.LBB917_73:
	s_delay_alu instid0(SALU_CYCLE_1) | instskip(SKIP_2) | instid1(VALU_DEP_2)
	s_or_b32 exec_lo, exec_lo, s4
	v_add_nc_u32_e32 v13, v19, v24
	v_cmp_le_u32_e64 s3, v11, v19
	v_sub_nc_u32_e32 v17, v13, v11
	s_delay_alu instid0(VALU_DEP_1) | instskip(SKIP_1) | instid1(SALU_CYCLE_1)
	v_cmp_le_u32_e64 s4, v17, v18
	s_or_b32 s3, s3, s4
	s_and_saveexec_b32 s13, s3
	s_cbranch_execz .LBB917_79
; %bb.74:
	v_cmp_lt_u32_e64 s3, v11, v19
                                        ; implicit-def: $vgpr13
	s_and_saveexec_b32 s4, s3
; %bb.75:
	v_lshl_add_u32 v4, v11, 1, v12
	ds_load_u16 v13, v4
; %bb.76:
	s_or_b32 exec_lo, exec_lo, s4
	v_cmp_ge_u32_e64 s4, v17, v18
	s_mov_b32 s6, exec_lo
                                        ; implicit-def: $vgpr16
	v_cmpx_lt_u32_e64 v17, v18
; %bb.77:
	v_lshl_add_u32 v4, v17, 1, v12
	ds_load_u16 v16, v4
; %bb.78:
	s_or_b32 exec_lo, exec_lo, s6
	s_wait_dscnt 0x0
	v_and_b32_e32 v4, v16, v1
	v_and_b32_e32 v5, v13, v1
	s_delay_alu instid0(VALU_DEP_1) | instskip(SKIP_1) | instid1(SALU_CYCLE_1)
	v_cmp_le_i16_e64 s5, v4, v5
	s_and_b32 s3, s3, s5
	s_or_b32 s3, s4, s3
	s_delay_alu instid0(SALU_CYCLE_1) | instskip(SKIP_1) | instid1(VALU_DEP_2)
	v_cndmask_b32_e64 v4, v17, v11, s3
	v_dual_cndmask_b32 v5, v18, v19, s3 :: v_dual_cndmask_b32 v36, v16, v13, s3
	v_add_nc_u32_e32 v14, 1, v4
	s_delay_alu instid0(VALU_DEP_1) | instskip(NEXT) | instid1(VALU_DEP_1)
	v_add_min_u32_e64 v5, v5, -1, v14
	v_lshl_add_u32 v5, v5, 1, v12
	ds_load_u16 v5, v5
	s_wait_dscnt 0x0
	v_cndmask_b32_e64 v24, v5, v16, s3
	v_dual_cndmask_b32 v25, v13, v5, s3 :: v_dual_cndmask_b32 v5, v11, v14, s3
	v_cndmask_b32_e64 v14, v14, v17, s3
	v_lshl_add_u32 v4, v4, 3, v10
	s_delay_alu instid0(VALU_DEP_4) | instskip(NEXT) | instid1(VALU_DEP_4)
	v_and_b32_e32 v11, v24, v1
	v_and_b32_e32 v15, v25, v1
	v_cmp_lt_u32_e64 s4, v5, v19
	v_cmp_ge_u32_e64 s6, v14, v18
	s_delay_alu instid0(VALU_DEP_3) | instskip(SKIP_1) | instid1(SALU_CYCLE_1)
	v_cmp_le_i16_e64 s5, v11, v15
	s_and_b32 s4, s4, s5
	s_or_b32 s4, s6, s4
	s_delay_alu instid0(SALU_CYCLE_1) | instskip(SKIP_1) | instid1(VALU_DEP_2)
	v_cndmask_b32_e64 v11, v14, v5, s4
	v_dual_cndmask_b32 v15, v18, v19, s4 :: v_dual_cndmask_b32 v34, v24, v25, s4
	v_add_nc_u32_e32 v17, 1, v11
	v_lshl_add_u32 v11, v11, 3, v10
	s_delay_alu instid0(VALU_DEP_2) | instskip(SKIP_2) | instid1(VALU_DEP_3)
	v_add_min_u32_e64 v15, v15, -1, v17
	v_cndmask_b32_e64 v5, v5, v17, s4
	v_cndmask_b32_e64 v14, v17, v14, s4
	v_lshl_add_u32 v15, v15, 1, v12
	s_delay_alu instid0(VALU_DEP_3) | instskip(NEXT) | instid1(VALU_DEP_3)
	v_cmp_lt_u32_e64 s5, v5, v19
	v_cmp_ge_u32_e64 s7, v14, v18
	ds_load_u16 v15, v15
	s_wait_dscnt 0x0
	v_dual_cndmask_b32 v26, v15, v24, s4 :: v_dual_cndmask_b32 v27, v25, v15, s4
	s_delay_alu instid0(VALU_DEP_1) | instskip(NEXT) | instid1(VALU_DEP_2)
	v_and_b32_e32 v15, v26, v1
	v_and_b32_e32 v20, v27, v1
	s_delay_alu instid0(VALU_DEP_1) | instskip(SKIP_1) | instid1(SALU_CYCLE_1)
	v_cmp_le_i16_e64 s6, v15, v20
	s_and_b32 s5, s5, s6
	s_or_b32 s5, s7, s5
	s_delay_alu instid0(SALU_CYCLE_1) | instskip(SKIP_1) | instid1(VALU_DEP_1)
	v_cndmask_b32_e64 v17, v18, v19, s5
	v_cndmask_b32_e64 v15, v14, v5, s5
	v_add_nc_u32_e32 v20, 1, v15
	s_delay_alu instid0(VALU_DEP_1) | instskip(NEXT) | instid1(VALU_DEP_1)
	v_add_min_u32_e64 v17, v17, -1, v20
	v_lshl_add_u32 v12, v17, 1, v12
	ds_load_u16 v12, v12
	s_wait_dscnt 0x0
	v_dual_cndmask_b32 v17, v12, v26, s5 :: v_dual_cndmask_b32 v12, v27, v12, s5
	s_delay_alu instid0(VALU_DEP_1) | instskip(NEXT) | instid1(VALU_DEP_2)
	v_dual_cndmask_b32 v26, v26, v27, s5 :: v_dual_bitop2_b32 v21, v17, v1 bitop3:0x40
	v_dual_cndmask_b32 v5, v5, v20, s5 :: v_dual_bitop2_b32 v1, v12, v1 bitop3:0x40
	v_cndmask_b32_e64 v14, v20, v14, s5
	s_delay_alu instid0(VALU_DEP_2) | instskip(NEXT) | instid1(VALU_DEP_3)
	v_cmp_lt_u32_e64 s6, v5, v19
	v_cmp_le_i16_e64 s7, v21, v1
	s_delay_alu instid0(VALU_DEP_3) | instskip(SKIP_1) | instid1(SALU_CYCLE_1)
	v_cmp_ge_u32_e64 s10, v14, v18
	s_and_b32 s6, s6, s7
	s_or_b32 s6, s10, s6
	s_delay_alu instid0(SALU_CYCLE_1) | instskip(SKIP_1) | instid1(VALU_DEP_2)
	v_dual_cndmask_b32 v1, v14, v5, s6 :: v_dual_cndmask_b32 v35, v17, v12, s6
	v_lshl_add_u32 v14, v15, 3, v10
	v_lshl_add_u32 v1, v1, 3, v10
	ds_load_b64 v[4:5], v4 offset:2048
	ds_load_b64 v[22:23], v11 offset:2048
	;; [unrolled: 1-line block ×4, first 2 shown]
.LBB917_79:
	s_or_b32 exec_lo, exec_lo, s13
	; wave barrier
	s_wait_storecnt_dscnt 0x0
	s_barrier_signal -1
	s_barrier_wait -1
                                        ; implicit-def: $vgpr12_vgpr13
                                        ; implicit-def: $vgpr16
                                        ; implicit-def: $vgpr17
                                        ; implicit-def: $vgpr1
                                        ; implicit-def: $vgpr32_vgpr33
                                        ; implicit-def: $vgpr24_vgpr25
                                        ; implicit-def: $vgpr18_vgpr19
.LBB917_80:
	s_and_not1_saveexec_b32 s10, s12
	s_cbranch_execz .LBB917_136
; %bb.81:
	s_load_b64 s[4:5], s[8:9], 0x0
	s_bfe_u32 s6, ttmp6, 0x4000c
	s_bfe_u32 s12, ttmp6, 0x40010
	s_and_b32 s7, ttmp7, 0xffff
	s_add_co_i32 s6, s6, 1
	s_add_co_i32 s12, s12, 1
	s_and_b32 s3, ttmp6, 15
	s_bfe_u32 s13, ttmp6, 0x40004
	s_mul_i32 s6, ttmp9, s6
	s_mul_i32 s12, s7, s12
	s_add_co_i32 s3, s3, s6
	s_add_co_i32 s13, s13, s12
	s_cmp_eq_u32 s11, 0
	s_cselect_b32 s3, ttmp9, s3
	s_cselect_b32 s6, s7, s13
	s_wait_kmcnt 0x0
	s_cmp_lt_u32 s3, s4
	s_cselect_b32 s4, 12, 18
	s_cmp_lt_u32 s6, s5
	s_mov_b32 s5, 0
	s_cselect_b32 s6, 14, 20
	s_mov_b32 s7, s5
	s_add_nc_u64 s[4:5], s[8:9], s[4:5]
	s_add_nc_u64 s[6:7], s[8:9], s[6:7]
	s_clause 0x1
	s_load_u16 s4, s[4:5], 0x0
	s_nop 0
	s_load_u16 s3, s[6:7], 0x0
	s_wait_xcnt 0x0
	s_mov_b32 s6, exec_lo
	s_wait_kmcnt 0x0
	v_mad_u32_u24 v10, v17, s3, v16
	s_delay_alu instid0(VALU_DEP_1) | instskip(NEXT) | instid1(VALU_DEP_1)
	v_mul_lo_u32 v10, v10, s4
	v_add_lshl_u32 v1, v10, v1, 2
	s_delay_alu instid0(VALU_DEP_1)
	v_cmpx_gt_u32_e32 0x400, v1
	s_cbranch_execz .LBB917_85
; %bb.82:
	s_wait_loadcnt_dscnt 0x0
	v_cmp_gt_i16_e64 s3, v34, v36
	v_max_i16 v10, v34, v36
	v_min_i16 v14, v34, v36
	v_cmp_gt_i16_e64 s4, v35, v26
	v_max_i16 v17, v35, v26
	v_min_i16 v11, v35, v26
	v_dual_cndmask_b32 v15, v4, v18, s3 :: v_dual_cndmask_b32 v20, v5, v19, s3
	v_dual_cndmask_b32 v5, v19, v5, s3 :: v_dual_cndmask_b32 v4, v18, v4, s3
	;; [unrolled: 1-line block ×4, first 2 shown]
	v_cmp_gt_i16_e64 s5, v17, v14
	v_max_i16 v16, v17, v14
	v_cmp_gt_i16_e64 s3, v17, v10
	v_min_i16 v17, v17, v14
	v_cmp_lt_i16_e64 s4, v14, v11
	v_dual_cndmask_b32 v25, v21, v4, s5 :: v_dual_cndmask_b32 v21, v4, v21, s5
	v_dual_cndmask_b32 v22, v5, v18, s5 :: v_dual_cndmask_b32 v26, v18, v5, s5
	s_delay_alu instid0(VALU_DEP_3) | instskip(NEXT) | instid1(VALU_DEP_2)
	v_dual_cndmask_b32 v18, v17, v11, s4 :: v_dual_cndmask_b32 v34, v16, v10, s3
	v_dual_cndmask_b32 v4, v15, v21, s3 :: v_dual_cndmask_b32 v5, v20, v22, s3
	;; [unrolled: 1-line block ×3, first 2 shown]
	s_delay_alu instid0(VALU_DEP_4)
	v_dual_cndmask_b32 v21, v24, v26, s4 :: v_dual_cndmask_b32 v20, v19, v25, s4
	v_dual_cndmask_b32 v15, v26, v24, s4 :: v_dual_cndmask_b32 v14, v25, v19, s4
	v_mov_b32_e32 v26, v18
	s_mov_b32 s7, exec_lo
	v_cmpx_gt_i16_e64 v18, v34
; %bb.83:
	s_delay_alu instid0(VALU_DEP_3) | instskip(SKIP_2) | instid1(VALU_DEP_3)
	v_mov_b64_e32 v[24:25], v[14:15]
	v_mov_b64_e32 v[14:15], v[22:23]
	v_dual_mov_b32 v26, v34 :: v_dual_mov_b32 v34, v18
	v_mov_b64_e32 v[22:23], v[24:25]
; %bb.84:
	s_or_b32 exec_lo, exec_lo, s7
	v_dual_cndmask_b32 v36, v10, v16, s3 :: v_dual_cndmask_b32 v35, v11, v17, s4
.LBB917_85:
	s_or_b32 exec_lo, exec_lo, s6
	v_and_b32_e32 v16, 0xffffff80, v1
	v_dual_mov_b32 v17, 0 :: v_dual_bitop2_b32 v18, 4, v30 bitop3:0x54
	v_and_b32_e32 v38, 0x78, v30
	s_mov_b32 s4, exec_lo
	s_delay_alu instid0(VALU_DEP_3) | instskip(NEXT) | instid1(VALU_DEP_3)
	v_sub_nc_u32_e64 v1, 0x400, v16 clamp
	v_lshl_add_u64 v[12:13], v[16:17], 1, v[12:13]
	s_delay_alu instid0(VALU_DEP_2) | instskip(NEXT) | instid1(VALU_DEP_2)
	v_min_u32_e32 v33, v1, v18
	v_mad_nc_u64_u32 v[10:11], v16, 6, v[12:13]
	s_delay_alu instid0(VALU_DEP_2) | instskip(NEXT) | instid1(VALU_DEP_1)
	v_add_min_u32_e64 v37, v33, 4, v1
	v_dual_sub_nc_u32 v16, v37, v33 :: v_dual_bitop2_b32 v11, 4, v30 bitop3:0x40
	s_delay_alu instid0(VALU_DEP_1) | instskip(SKIP_2) | instid1(VALU_DEP_3)
	v_min_u32_e32 v39, v1, v11
	v_sub_nc_u32_e32 v11, v33, v38
	v_lshl_add_u32 v25, v30, 3, v10
	v_sub_nc_u32_e64 v48, v39, v16 clamp
	s_delay_alu instid0(VALU_DEP_3) | instskip(NEXT) | instid1(VALU_DEP_3)
	v_min_u32_e32 v24, v39, v11
	v_add_nc_u32_e32 v16, 0x800, v25
	v_lshl_add_u32 v11, v30, 1, v12
	s_wait_loadcnt_dscnt 0x0
	ds_store_2addr_b64 v16, v[4:5], v[22:23] offset1:1
	ds_store_b16 v11, v36
	ds_store_b16 v11, v34 offset:2
	ds_store_b16 v11, v26 offset:4
	;; [unrolled: 1-line block ×3, first 2 shown]
	ds_store_2addr_b64 v16, v[14:15], v[20:21] offset0:2 offset1:3
	; wave barrier
	v_cmpx_lt_u32_e64 v48, v24
	s_cbranch_execz .LBB917_89
; %bb.86:
	v_lshlrev_b32_e32 v16, 1, v38
	s_mov_b32 s5, 0
	s_delay_alu instid0(VALU_DEP_1) | instskip(SKIP_1) | instid1(VALU_DEP_1)
	v_add_nc_u64_e32 v[18:19], v[12:13], v[16:17]
	v_lshlrev_b32_e32 v16, 1, v33
	v_add_nc_u64_e32 v[16:17], v[12:13], v[16:17]
.LBB917_87:                             ; =>This Inner Loop Header: Depth=1
	v_add_nc_u32_e32 v17, v24, v48
	s_delay_alu instid0(VALU_DEP_1) | instskip(NEXT) | instid1(VALU_DEP_1)
	v_lshrrev_b32_e32 v19, 1, v17
	v_dual_add_nc_u32 v28, 1, v19 :: v_dual_bitop2_b32 v17, -2, v17 bitop3:0x40
	v_xad_u32 v27, v19, -1, v39
	s_delay_alu instid0(VALU_DEP_2) | instskip(NEXT) | instid1(VALU_DEP_2)
	v_add_nc_u32_e32 v17, v18, v17
	v_lshl_add_u32 v27, v27, 1, v16
	ds_load_u16 v17, v17
	ds_load_u16 v27, v27
	s_wait_dscnt 0x0
	v_cmp_gt_i16_e64 s3, v27, v17
	s_delay_alu instid0(VALU_DEP_1) | instskip(SKIP_1) | instid1(VALU_DEP_1)
	v_cndmask_b32_e64 v24, v24, v19, s3
	v_cndmask_b32_e64 v48, v28, v48, s3
	v_cmp_ge_u32_e64 s3, v48, v24
	s_or_b32 s5, s3, s5
	s_delay_alu instid0(SALU_CYCLE_1)
	s_and_not1_b32 exec_lo, exec_lo, s5
	s_cbranch_execnz .LBB917_87
; %bb.88:
	s_or_b32 exec_lo, exec_lo, s5
.LBB917_89:
	s_delay_alu instid0(SALU_CYCLE_1) | instskip(SKIP_4) | instid1(VALU_DEP_4)
	s_or_b32 exec_lo, exec_lo, s4
	v_add_nc_u32_e32 v16, v33, v39
	v_dual_add_nc_u32 v24, 6, v11 :: v_dual_add_nc_u32 v19, v48, v38
	v_add_nc_u32_e32 v32, 0x800, v25
	v_dual_add_nc_u32 v27, 2, v11 :: v_dual_add_nc_u32 v29, 4, v11
	v_sub_nc_u32_e32 v18, v16, v48
	s_delay_alu instid0(VALU_DEP_4)
	v_cmp_le_u32_e64 s3, v19, v33
	v_add_nc_u32_e32 v28, 0x808, v25
	v_add_nc_u32_e32 v31, 0x810, v25
	;; [unrolled: 1-line block ×3, first 2 shown]
	v_cmp_le_u32_e64 s4, v18, v37
	s_or_b32 s3, s3, s4
	s_delay_alu instid0(SALU_CYCLE_1)
	s_and_saveexec_b32 s9, s3
	s_cbranch_execz .LBB917_95
; %bb.90:
	v_cmp_lt_u32_e64 s3, v19, v33
                                        ; implicit-def: $vgpr16
	s_and_saveexec_b32 s4, s3
; %bb.91:
	v_lshl_add_u32 v4, v19, 1, v12
	ds_load_u16 v16, v4
; %bb.92:
	s_or_b32 exec_lo, exec_lo, s4
	v_cmp_ge_u32_e64 s4, v18, v37
	s_mov_b32 s6, exec_lo
                                        ; implicit-def: $vgpr17
	v_cmpx_lt_u32_e64 v18, v37
; %bb.93:
	v_lshl_add_u32 v4, v18, 1, v12
	ds_load_u16 v17, v4
; %bb.94:
	s_or_b32 exec_lo, exec_lo, s6
	s_wait_dscnt 0x0
	v_cmp_le_i16_e64 s5, v17, v16
	s_and_b32 s3, s3, s5
	s_delay_alu instid0(SALU_CYCLE_1) | instskip(NEXT) | instid1(SALU_CYCLE_1)
	s_or_b32 s3, s4, s3
	v_dual_cndmask_b32 v4, v18, v19, s3 :: v_dual_cndmask_b32 v5, v37, v33, s3
	v_cndmask_b32_e64 v36, v17, v16, s3
	s_delay_alu instid0(VALU_DEP_2) | instskip(SKIP_1) | instid1(VALU_DEP_2)
	v_add_nc_u32_e32 v14, 1, v4
	v_lshl_add_u32 v4, v4, 3, v10
	v_add_min_u32_e64 v5, v5, -1, v14
	s_delay_alu instid0(VALU_DEP_1) | instskip(SKIP_4) | instid1(VALU_DEP_2)
	v_lshl_add_u32 v5, v5, 1, v12
	ds_load_u16 v5, v5
	s_wait_dscnt 0x0
	v_dual_cndmask_b32 v15, v19, v14, s3 :: v_dual_cndmask_b32 v26, v16, v5, s3
	v_dual_cndmask_b32 v19, v5, v17, s3 :: v_dual_cndmask_b32 v5, v14, v18, s3
	v_cmp_lt_u32_e64 s4, v15, v33
	s_delay_alu instid0(VALU_DEP_2) | instskip(NEXT) | instid1(VALU_DEP_3)
	v_cmp_le_i16_e64 s5, v19, v26
	v_cmp_ge_u32_e64 s6, v5, v37
	s_and_b32 s4, s4, s5
	s_delay_alu instid0(SALU_CYCLE_1) | instskip(NEXT) | instid1(SALU_CYCLE_1)
	s_or_b32 s4, s6, s4
	v_cndmask_b32_e64 v18, v37, v33, s4
	v_dual_cndmask_b32 v14, v5, v15, s4 :: v_dual_cndmask_b32 v34, v19, v26, s4
	s_delay_alu instid0(VALU_DEP_1) | instskip(NEXT) | instid1(VALU_DEP_1)
	v_add_nc_u32_e32 v20, 1, v14
	v_add_min_u32_e64 v18, v18, -1, v20
	s_delay_alu instid0(VALU_DEP_1)
	v_lshl_add_u32 v18, v18, 1, v12
	ds_load_u16 v18, v18
	s_wait_dscnt 0x0
	v_dual_cndmask_b32 v35, v18, v19, s4 :: v_dual_cndmask_b32 v15, v15, v20, s4
	v_dual_cndmask_b32 v18, v26, v18, s4 :: v_dual_cndmask_b32 v5, v20, v5, s4
	v_lshl_add_u32 v14, v14, 3, v10
	s_delay_alu instid0(VALU_DEP_3) | instskip(NEXT) | instid1(VALU_DEP_3)
	v_cmp_lt_u32_e64 s5, v15, v33
	v_cmp_le_i16_e64 s6, v35, v18
	s_delay_alu instid0(VALU_DEP_4) | instskip(SKIP_1) | instid1(SALU_CYCLE_1)
	v_cmp_ge_u32_e64 s7, v5, v37
	s_and_b32 s5, s5, s6
	s_or_b32 s5, s7, s5
	s_delay_alu instid0(SALU_CYCLE_1) | instskip(NEXT) | instid1(VALU_DEP_1)
	v_cndmask_b32_e64 v20, v5, v15, s5
	v_dual_cndmask_b32 v21, v37, v33, s5 :: v_dual_add_nc_u32 v22, 1, v20
	s_delay_alu instid0(VALU_DEP_1) | instskip(SKIP_1) | instid1(VALU_DEP_2)
	v_add_min_u32_e64 v21, v21, -1, v22
	v_dual_cndmask_b32 v15, v15, v22, s5 :: v_dual_cndmask_b32 v5, v22, v5, s5
	v_lshl_add_u32 v21, v21, 1, v12
	s_delay_alu instid0(VALU_DEP_2) | instskip(NEXT) | instid1(VALU_DEP_3)
	v_cmp_lt_u32_e64 s6, v15, v33
	v_cmp_ge_u32_e64 s8, v5, v37
	ds_load_u16 v21, v21
	s_wait_dscnt 0x0
	v_dual_cndmask_b32 v38, v21, v35, s5 :: v_dual_cndmask_b32 v39, v18, v21, s5
	s_delay_alu instid0(VALU_DEP_1) | instskip(SKIP_1) | instid1(SALU_CYCLE_1)
	v_cmp_le_i16_e64 s7, v38, v39
	s_and_b32 s6, s6, s7
	s_or_b32 s6, s8, s6
	s_delay_alu instid0(SALU_CYCLE_1) | instskip(SKIP_2) | instid1(VALU_DEP_2)
	v_dual_cndmask_b32 v26, v35, v18, s5 :: v_dual_cndmask_b32 v35, v38, v39, s6
	v_cndmask_b32_e64 v5, v5, v15, s6
	v_lshl_add_u32 v15, v20, 3, v10
	v_lshl_add_u32 v20, v5, 3, v10
	ds_load_b64 v[4:5], v4 offset:2048
	ds_load_b64 v[22:23], v14 offset:2048
	;; [unrolled: 1-line block ×4, first 2 shown]
.LBB917_95:
	s_or_b32 exec_lo, exec_lo, s9
	v_and_b32_e32 v38, 0x70, v30
	s_mov_b32 s4, exec_lo
	; wave barrier
	ds_store_b16 v11, v36
	s_wait_dscnt 0x4
	ds_store_b64 v32, v[4:5]
	v_or_b32_e32 v16, 8, v38
	ds_store_b16 v27, v34
	s_wait_dscnt 0x5
	ds_store_b64 v28, v[22:23]
	ds_store_b16 v29, v26
	s_wait_dscnt 0x6
	ds_store_b64 v31, v[14:15]
	;; [unrolled: 3-line block ×3, first 2 shown]
	; wave barrier
	v_min_u32_e32 v33, v1, v16
	v_and_b32_e32 v16, 12, v30
	s_delay_alu instid0(VALU_DEP_2) | instskip(NEXT) | instid1(VALU_DEP_2)
	v_add_min_u32_e64 v37, v33, 8, v1
	v_min_u32_e32 v39, v1, v16
	v_sub_nc_u32_e32 v17, v33, v38
	s_delay_alu instid0(VALU_DEP_3) | instskip(NEXT) | instid1(VALU_DEP_2)
	v_sub_nc_u32_e32 v16, v37, v33
	v_min_u32_e32 v49, v39, v17
	s_delay_alu instid0(VALU_DEP_2) | instskip(NEXT) | instid1(VALU_DEP_1)
	v_sub_nc_u32_e64 v48, v39, v16 clamp
	v_cmpx_lt_u32_e64 v48, v49
	s_cbranch_execz .LBB917_99
; %bb.96:
	v_dual_mov_b32 v19, 0 :: v_dual_lshlrev_b32 v18, 1, v38
	s_mov_b32 s5, 0
	s_delay_alu instid0(VALU_DEP_1) | instskip(SKIP_1) | instid1(VALU_DEP_1)
	v_add_nc_u64_e32 v[16:17], v[12:13], v[18:19]
	v_lshlrev_b32_e32 v18, 1, v33
	v_add_nc_u64_e32 v[18:19], v[12:13], v[18:19]
.LBB917_97:                             ; =>This Inner Loop Header: Depth=1
	v_add_nc_u32_e32 v17, v49, v48
	s_delay_alu instid0(VALU_DEP_1) | instskip(NEXT) | instid1(VALU_DEP_1)
	v_lshrrev_b32_e32 v19, 1, v17
	v_dual_add_nc_u32 v51, 1, v19 :: v_dual_bitop2_b32 v17, -2, v17 bitop3:0x40
	v_xad_u32 v50, v19, -1, v39
	s_delay_alu instid0(VALU_DEP_2) | instskip(NEXT) | instid1(VALU_DEP_2)
	v_add_nc_u32_e32 v17, v16, v17
	v_lshl_add_u32 v50, v50, 1, v18
	ds_load_u16 v17, v17
	ds_load_u16 v50, v50
	s_wait_dscnt 0x0
	v_cmp_gt_i16_e64 s3, v50, v17
	s_delay_alu instid0(VALU_DEP_1) | instskip(NEXT) | instid1(VALU_DEP_1)
	v_dual_cndmask_b32 v49, v49, v19, s3 :: v_dual_cndmask_b32 v48, v51, v48, s3
	v_cmp_ge_u32_e64 s3, v48, v49
	s_or_b32 s5, s3, s5
	s_delay_alu instid0(SALU_CYCLE_1)
	s_and_not1_b32 exec_lo, exec_lo, s5
	s_cbranch_execnz .LBB917_97
; %bb.98:
	s_or_b32 exec_lo, exec_lo, s5
.LBB917_99:
	s_delay_alu instid0(SALU_CYCLE_1) | instskip(SKIP_1) | instid1(VALU_DEP_1)
	s_or_b32 exec_lo, exec_lo, s4
	v_dual_add_nc_u32 v16, v33, v39 :: v_dual_add_nc_u32 v19, v48, v38
	v_sub_nc_u32_e32 v18, v16, v48
	s_delay_alu instid0(VALU_DEP_2) | instskip(NEXT) | instid1(VALU_DEP_2)
	v_cmp_le_u32_e64 s3, v19, v33
	v_cmp_le_u32_e64 s4, v18, v37
	s_or_b32 s3, s3, s4
	s_delay_alu instid0(SALU_CYCLE_1)
	s_and_saveexec_b32 s9, s3
	s_cbranch_execz .LBB917_105
; %bb.100:
	v_cmp_lt_u32_e64 s3, v19, v33
                                        ; implicit-def: $vgpr16
	s_and_saveexec_b32 s4, s3
; %bb.101:
	v_lshl_add_u32 v4, v19, 1, v12
	ds_load_u16 v16, v4
; %bb.102:
	s_or_b32 exec_lo, exec_lo, s4
	v_cmp_ge_u32_e64 s4, v18, v37
	s_mov_b32 s6, exec_lo
                                        ; implicit-def: $vgpr17
	v_cmpx_lt_u32_e64 v18, v37
; %bb.103:
	v_lshl_add_u32 v4, v18, 1, v12
	ds_load_u16 v17, v4
; %bb.104:
	s_or_b32 exec_lo, exec_lo, s6
	s_wait_dscnt 0x0
	v_cmp_le_i16_e64 s5, v17, v16
	s_and_b32 s3, s3, s5
	s_delay_alu instid0(SALU_CYCLE_1) | instskip(NEXT) | instid1(SALU_CYCLE_1)
	s_or_b32 s3, s4, s3
	v_dual_cndmask_b32 v4, v18, v19, s3 :: v_dual_cndmask_b32 v5, v37, v33, s3
	v_cndmask_b32_e64 v36, v17, v16, s3
	s_delay_alu instid0(VALU_DEP_2) | instskip(SKIP_1) | instid1(VALU_DEP_2)
	v_add_nc_u32_e32 v14, 1, v4
	v_lshl_add_u32 v4, v4, 3, v10
	v_add_min_u32_e64 v5, v5, -1, v14
	s_delay_alu instid0(VALU_DEP_1) | instskip(SKIP_4) | instid1(VALU_DEP_2)
	v_lshl_add_u32 v5, v5, 1, v12
	ds_load_u16 v5, v5
	s_wait_dscnt 0x0
	v_dual_cndmask_b32 v15, v19, v14, s3 :: v_dual_cndmask_b32 v26, v16, v5, s3
	v_dual_cndmask_b32 v19, v5, v17, s3 :: v_dual_cndmask_b32 v5, v14, v18, s3
	v_cmp_lt_u32_e64 s4, v15, v33
	s_delay_alu instid0(VALU_DEP_2) | instskip(NEXT) | instid1(VALU_DEP_3)
	v_cmp_le_i16_e64 s5, v19, v26
	v_cmp_ge_u32_e64 s6, v5, v37
	s_and_b32 s4, s4, s5
	s_delay_alu instid0(SALU_CYCLE_1) | instskip(NEXT) | instid1(SALU_CYCLE_1)
	s_or_b32 s4, s6, s4
	v_cndmask_b32_e64 v18, v37, v33, s4
	v_dual_cndmask_b32 v14, v5, v15, s4 :: v_dual_cndmask_b32 v34, v19, v26, s4
	s_delay_alu instid0(VALU_DEP_1) | instskip(NEXT) | instid1(VALU_DEP_1)
	v_add_nc_u32_e32 v20, 1, v14
	v_add_min_u32_e64 v18, v18, -1, v20
	s_delay_alu instid0(VALU_DEP_1)
	v_lshl_add_u32 v18, v18, 1, v12
	ds_load_u16 v18, v18
	s_wait_dscnt 0x0
	v_dual_cndmask_b32 v35, v18, v19, s4 :: v_dual_cndmask_b32 v15, v15, v20, s4
	v_dual_cndmask_b32 v18, v26, v18, s4 :: v_dual_cndmask_b32 v5, v20, v5, s4
	v_lshl_add_u32 v14, v14, 3, v10
	s_delay_alu instid0(VALU_DEP_3) | instskip(NEXT) | instid1(VALU_DEP_3)
	v_cmp_lt_u32_e64 s5, v15, v33
	v_cmp_le_i16_e64 s6, v35, v18
	s_delay_alu instid0(VALU_DEP_4) | instskip(SKIP_1) | instid1(SALU_CYCLE_1)
	v_cmp_ge_u32_e64 s7, v5, v37
	s_and_b32 s5, s5, s6
	s_or_b32 s5, s7, s5
	s_delay_alu instid0(SALU_CYCLE_1) | instskip(NEXT) | instid1(VALU_DEP_1)
	v_cndmask_b32_e64 v20, v5, v15, s5
	v_dual_cndmask_b32 v21, v37, v33, s5 :: v_dual_add_nc_u32 v22, 1, v20
	s_delay_alu instid0(VALU_DEP_1) | instskip(SKIP_1) | instid1(VALU_DEP_2)
	v_add_min_u32_e64 v21, v21, -1, v22
	v_dual_cndmask_b32 v15, v15, v22, s5 :: v_dual_cndmask_b32 v5, v22, v5, s5
	v_lshl_add_u32 v21, v21, 1, v12
	s_delay_alu instid0(VALU_DEP_2) | instskip(NEXT) | instid1(VALU_DEP_3)
	v_cmp_lt_u32_e64 s6, v15, v33
	v_cmp_ge_u32_e64 s8, v5, v37
	ds_load_u16 v21, v21
	s_wait_dscnt 0x0
	v_dual_cndmask_b32 v38, v21, v35, s5 :: v_dual_cndmask_b32 v39, v18, v21, s5
	s_delay_alu instid0(VALU_DEP_1) | instskip(SKIP_1) | instid1(SALU_CYCLE_1)
	v_cmp_le_i16_e64 s7, v38, v39
	s_and_b32 s6, s6, s7
	s_or_b32 s6, s8, s6
	s_delay_alu instid0(SALU_CYCLE_1) | instskip(SKIP_2) | instid1(VALU_DEP_2)
	v_dual_cndmask_b32 v26, v35, v18, s5 :: v_dual_cndmask_b32 v35, v38, v39, s6
	v_cndmask_b32_e64 v5, v5, v15, s6
	v_lshl_add_u32 v15, v20, 3, v10
	v_lshl_add_u32 v20, v5, 3, v10
	ds_load_b64 v[4:5], v4 offset:2048
	ds_load_b64 v[22:23], v14 offset:2048
	;; [unrolled: 1-line block ×4, first 2 shown]
.LBB917_105:
	s_or_b32 exec_lo, exec_lo, s9
	v_and_b32_e32 v38, 0x60, v30
	s_mov_b32 s4, exec_lo
	; wave barrier
	ds_store_b16 v11, v36
	s_wait_dscnt 0x4
	ds_store_b64 v32, v[4:5]
	v_or_b32_e32 v16, 16, v38
	ds_store_b16 v27, v34
	s_wait_dscnt 0x5
	ds_store_b64 v28, v[22:23]
	ds_store_b16 v29, v26
	s_wait_dscnt 0x6
	ds_store_b64 v31, v[14:15]
	ds_store_b16 v24, v35
	s_wait_dscnt 0x7
	ds_store_b64 v25, v[20:21]
	; wave barrier
	v_min_u32_e32 v33, v1, v16
	v_and_b32_e32 v16, 28, v30
	s_delay_alu instid0(VALU_DEP_2) | instskip(NEXT) | instid1(VALU_DEP_2)
	v_add_min_u32_e64 v37, v33, 16, v1
	v_min_u32_e32 v39, v1, v16
	v_sub_nc_u32_e32 v17, v33, v38
	s_delay_alu instid0(VALU_DEP_3) | instskip(NEXT) | instid1(VALU_DEP_2)
	v_sub_nc_u32_e32 v16, v37, v33
	v_min_u32_e32 v49, v39, v17
	s_delay_alu instid0(VALU_DEP_2) | instskip(NEXT) | instid1(VALU_DEP_1)
	v_sub_nc_u32_e64 v48, v39, v16 clamp
	v_cmpx_lt_u32_e64 v48, v49
	s_cbranch_execz .LBB917_109
; %bb.106:
	v_dual_mov_b32 v19, 0 :: v_dual_lshlrev_b32 v18, 1, v38
	s_mov_b32 s5, 0
	s_delay_alu instid0(VALU_DEP_1) | instskip(SKIP_1) | instid1(VALU_DEP_1)
	v_add_nc_u64_e32 v[16:17], v[12:13], v[18:19]
	v_lshlrev_b32_e32 v18, 1, v33
	v_add_nc_u64_e32 v[18:19], v[12:13], v[18:19]
.LBB917_107:                            ; =>This Inner Loop Header: Depth=1
	v_add_nc_u32_e32 v17, v49, v48
	s_delay_alu instid0(VALU_DEP_1) | instskip(NEXT) | instid1(VALU_DEP_1)
	v_lshrrev_b32_e32 v19, 1, v17
	v_dual_add_nc_u32 v51, 1, v19 :: v_dual_bitop2_b32 v17, -2, v17 bitop3:0x40
	v_xad_u32 v50, v19, -1, v39
	s_delay_alu instid0(VALU_DEP_2) | instskip(NEXT) | instid1(VALU_DEP_2)
	v_add_nc_u32_e32 v17, v16, v17
	v_lshl_add_u32 v50, v50, 1, v18
	ds_load_u16 v17, v17
	ds_load_u16 v50, v50
	s_wait_dscnt 0x0
	v_cmp_gt_i16_e64 s3, v50, v17
	s_delay_alu instid0(VALU_DEP_1) | instskip(NEXT) | instid1(VALU_DEP_1)
	v_dual_cndmask_b32 v49, v49, v19, s3 :: v_dual_cndmask_b32 v48, v51, v48, s3
	v_cmp_ge_u32_e64 s3, v48, v49
	s_or_b32 s5, s3, s5
	s_delay_alu instid0(SALU_CYCLE_1)
	s_and_not1_b32 exec_lo, exec_lo, s5
	s_cbranch_execnz .LBB917_107
; %bb.108:
	s_or_b32 exec_lo, exec_lo, s5
.LBB917_109:
	s_delay_alu instid0(SALU_CYCLE_1) | instskip(SKIP_1) | instid1(VALU_DEP_1)
	s_or_b32 exec_lo, exec_lo, s4
	v_dual_add_nc_u32 v16, v33, v39 :: v_dual_add_nc_u32 v19, v48, v38
	v_sub_nc_u32_e32 v18, v16, v48
	s_delay_alu instid0(VALU_DEP_2) | instskip(NEXT) | instid1(VALU_DEP_2)
	v_cmp_le_u32_e64 s3, v19, v33
	v_cmp_le_u32_e64 s4, v18, v37
	s_or_b32 s3, s3, s4
	s_delay_alu instid0(SALU_CYCLE_1)
	s_and_saveexec_b32 s9, s3
	s_cbranch_execz .LBB917_115
; %bb.110:
	v_cmp_lt_u32_e64 s3, v19, v33
                                        ; implicit-def: $vgpr16
	s_and_saveexec_b32 s4, s3
; %bb.111:
	v_lshl_add_u32 v4, v19, 1, v12
	ds_load_u16 v16, v4
; %bb.112:
	s_or_b32 exec_lo, exec_lo, s4
	v_cmp_ge_u32_e64 s4, v18, v37
	s_mov_b32 s6, exec_lo
                                        ; implicit-def: $vgpr17
	v_cmpx_lt_u32_e64 v18, v37
; %bb.113:
	v_lshl_add_u32 v4, v18, 1, v12
	ds_load_u16 v17, v4
; %bb.114:
	s_or_b32 exec_lo, exec_lo, s6
	s_wait_dscnt 0x0
	v_cmp_le_i16_e64 s5, v17, v16
	s_and_b32 s3, s3, s5
	s_delay_alu instid0(SALU_CYCLE_1) | instskip(NEXT) | instid1(SALU_CYCLE_1)
	s_or_b32 s3, s4, s3
	v_dual_cndmask_b32 v4, v18, v19, s3 :: v_dual_cndmask_b32 v5, v37, v33, s3
	v_cndmask_b32_e64 v36, v17, v16, s3
	s_delay_alu instid0(VALU_DEP_2) | instskip(SKIP_1) | instid1(VALU_DEP_2)
	v_add_nc_u32_e32 v14, 1, v4
	v_lshl_add_u32 v4, v4, 3, v10
	v_add_min_u32_e64 v5, v5, -1, v14
	s_delay_alu instid0(VALU_DEP_1) | instskip(SKIP_4) | instid1(VALU_DEP_2)
	v_lshl_add_u32 v5, v5, 1, v12
	ds_load_u16 v5, v5
	s_wait_dscnt 0x0
	v_dual_cndmask_b32 v15, v19, v14, s3 :: v_dual_cndmask_b32 v26, v16, v5, s3
	v_dual_cndmask_b32 v19, v5, v17, s3 :: v_dual_cndmask_b32 v5, v14, v18, s3
	v_cmp_lt_u32_e64 s4, v15, v33
	s_delay_alu instid0(VALU_DEP_2) | instskip(NEXT) | instid1(VALU_DEP_3)
	v_cmp_le_i16_e64 s5, v19, v26
	v_cmp_ge_u32_e64 s6, v5, v37
	s_and_b32 s4, s4, s5
	s_delay_alu instid0(SALU_CYCLE_1) | instskip(NEXT) | instid1(SALU_CYCLE_1)
	s_or_b32 s4, s6, s4
	v_cndmask_b32_e64 v18, v37, v33, s4
	v_dual_cndmask_b32 v14, v5, v15, s4 :: v_dual_cndmask_b32 v34, v19, v26, s4
	s_delay_alu instid0(VALU_DEP_1) | instskip(NEXT) | instid1(VALU_DEP_1)
	v_add_nc_u32_e32 v20, 1, v14
	v_add_min_u32_e64 v18, v18, -1, v20
	s_delay_alu instid0(VALU_DEP_1)
	v_lshl_add_u32 v18, v18, 1, v12
	ds_load_u16 v18, v18
	s_wait_dscnt 0x0
	v_dual_cndmask_b32 v35, v18, v19, s4 :: v_dual_cndmask_b32 v15, v15, v20, s4
	v_dual_cndmask_b32 v18, v26, v18, s4 :: v_dual_cndmask_b32 v5, v20, v5, s4
	v_lshl_add_u32 v14, v14, 3, v10
	s_delay_alu instid0(VALU_DEP_3) | instskip(NEXT) | instid1(VALU_DEP_3)
	v_cmp_lt_u32_e64 s5, v15, v33
	v_cmp_le_i16_e64 s6, v35, v18
	s_delay_alu instid0(VALU_DEP_4) | instskip(SKIP_1) | instid1(SALU_CYCLE_1)
	v_cmp_ge_u32_e64 s7, v5, v37
	s_and_b32 s5, s5, s6
	s_or_b32 s5, s7, s5
	s_delay_alu instid0(SALU_CYCLE_1) | instskip(NEXT) | instid1(VALU_DEP_1)
	v_cndmask_b32_e64 v20, v5, v15, s5
	v_dual_cndmask_b32 v21, v37, v33, s5 :: v_dual_add_nc_u32 v22, 1, v20
	s_delay_alu instid0(VALU_DEP_1) | instskip(SKIP_1) | instid1(VALU_DEP_2)
	v_add_min_u32_e64 v21, v21, -1, v22
	v_dual_cndmask_b32 v15, v15, v22, s5 :: v_dual_cndmask_b32 v5, v22, v5, s5
	v_lshl_add_u32 v21, v21, 1, v12
	s_delay_alu instid0(VALU_DEP_2) | instskip(NEXT) | instid1(VALU_DEP_3)
	v_cmp_lt_u32_e64 s6, v15, v33
	v_cmp_ge_u32_e64 s8, v5, v37
	ds_load_u16 v21, v21
	s_wait_dscnt 0x0
	v_dual_cndmask_b32 v38, v21, v35, s5 :: v_dual_cndmask_b32 v39, v18, v21, s5
	s_delay_alu instid0(VALU_DEP_1) | instskip(SKIP_1) | instid1(SALU_CYCLE_1)
	v_cmp_le_i16_e64 s7, v38, v39
	s_and_b32 s6, s6, s7
	s_or_b32 s6, s8, s6
	s_delay_alu instid0(SALU_CYCLE_1) | instskip(SKIP_2) | instid1(VALU_DEP_2)
	v_dual_cndmask_b32 v26, v35, v18, s5 :: v_dual_cndmask_b32 v35, v38, v39, s6
	v_cndmask_b32_e64 v5, v5, v15, s6
	v_lshl_add_u32 v15, v20, 3, v10
	v_lshl_add_u32 v20, v5, 3, v10
	ds_load_b64 v[4:5], v4 offset:2048
	ds_load_b64 v[22:23], v14 offset:2048
	;; [unrolled: 1-line block ×4, first 2 shown]
.LBB917_115:
	s_or_b32 exec_lo, exec_lo, s9
	v_and_b32_e32 v38, 64, v30
	s_mov_b32 s4, exec_lo
	; wave barrier
	ds_store_b16 v11, v36
	s_wait_dscnt 0x4
	ds_store_b64 v32, v[4:5]
	v_or_b32_e32 v16, 32, v38
	ds_store_b16 v27, v34
	s_wait_dscnt 0x5
	ds_store_b64 v28, v[22:23]
	ds_store_b16 v29, v26
	s_wait_dscnt 0x6
	ds_store_b64 v31, v[14:15]
	;; [unrolled: 3-line block ×3, first 2 shown]
	; wave barrier
	v_min_u32_e32 v33, v1, v16
	v_and_b32_e32 v16, 60, v30
	s_delay_alu instid0(VALU_DEP_2) | instskip(NEXT) | instid1(VALU_DEP_2)
	v_add_min_u32_e64 v37, v33, 32, v1
	v_min_u32_e32 v39, v1, v16
	s_delay_alu instid0(VALU_DEP_2) | instskip(SKIP_1) | instid1(VALU_DEP_2)
	v_sub_nc_u32_e32 v16, v37, v33
	v_sub_nc_u32_e32 v17, v33, v38
	v_sub_nc_u32_e64 v48, v39, v16 clamp
	s_delay_alu instid0(VALU_DEP_2) | instskip(NEXT) | instid1(VALU_DEP_1)
	v_min_u32_e32 v49, v39, v17
	v_cmpx_lt_u32_e64 v48, v49
	s_cbranch_execz .LBB917_119
; %bb.116:
	v_dual_mov_b32 v19, 0 :: v_dual_lshlrev_b32 v18, 1, v38
	s_mov_b32 s5, 0
	s_delay_alu instid0(VALU_DEP_1) | instskip(SKIP_1) | instid1(VALU_DEP_1)
	v_add_nc_u64_e32 v[16:17], v[12:13], v[18:19]
	v_lshlrev_b32_e32 v18, 1, v33
	v_add_nc_u64_e32 v[18:19], v[12:13], v[18:19]
.LBB917_117:                            ; =>This Inner Loop Header: Depth=1
	v_add_nc_u32_e32 v17, v49, v48
	s_delay_alu instid0(VALU_DEP_1) | instskip(NEXT) | instid1(VALU_DEP_1)
	v_lshrrev_b32_e32 v19, 1, v17
	v_dual_add_nc_u32 v51, 1, v19 :: v_dual_bitop2_b32 v17, -2, v17 bitop3:0x40
	v_xad_u32 v50, v19, -1, v39
	s_delay_alu instid0(VALU_DEP_2) | instskip(NEXT) | instid1(VALU_DEP_2)
	v_add_nc_u32_e32 v17, v16, v17
	v_lshl_add_u32 v50, v50, 1, v18
	ds_load_u16 v17, v17
	ds_load_u16 v50, v50
	s_wait_dscnt 0x0
	v_cmp_gt_i16_e64 s3, v50, v17
	s_delay_alu instid0(VALU_DEP_1) | instskip(NEXT) | instid1(VALU_DEP_1)
	v_dual_cndmask_b32 v49, v49, v19, s3 :: v_dual_cndmask_b32 v48, v51, v48, s3
	v_cmp_ge_u32_e64 s3, v48, v49
	s_or_b32 s5, s3, s5
	s_delay_alu instid0(SALU_CYCLE_1)
	s_and_not1_b32 exec_lo, exec_lo, s5
	s_cbranch_execnz .LBB917_117
; %bb.118:
	s_or_b32 exec_lo, exec_lo, s5
.LBB917_119:
	s_delay_alu instid0(SALU_CYCLE_1) | instskip(SKIP_1) | instid1(VALU_DEP_1)
	s_or_b32 exec_lo, exec_lo, s4
	v_dual_add_nc_u32 v16, v33, v39 :: v_dual_add_nc_u32 v19, v48, v38
	v_sub_nc_u32_e32 v18, v16, v48
	s_delay_alu instid0(VALU_DEP_2) | instskip(NEXT) | instid1(VALU_DEP_2)
	v_cmp_le_u32_e64 s3, v19, v33
	v_cmp_le_u32_e64 s4, v18, v37
	s_or_b32 s3, s3, s4
	s_delay_alu instid0(SALU_CYCLE_1)
	s_and_saveexec_b32 s9, s3
	s_cbranch_execz .LBB917_125
; %bb.120:
	v_cmp_lt_u32_e64 s3, v19, v33
                                        ; implicit-def: $vgpr16
	s_and_saveexec_b32 s4, s3
; %bb.121:
	v_lshl_add_u32 v4, v19, 1, v12
	ds_load_u16 v16, v4
; %bb.122:
	s_or_b32 exec_lo, exec_lo, s4
	v_cmp_ge_u32_e64 s4, v18, v37
	s_mov_b32 s6, exec_lo
                                        ; implicit-def: $vgpr17
	v_cmpx_lt_u32_e64 v18, v37
; %bb.123:
	v_lshl_add_u32 v4, v18, 1, v12
	ds_load_u16 v17, v4
; %bb.124:
	s_or_b32 exec_lo, exec_lo, s6
	s_wait_dscnt 0x0
	v_cmp_le_i16_e64 s5, v17, v16
	s_and_b32 s3, s3, s5
	s_delay_alu instid0(SALU_CYCLE_1) | instskip(NEXT) | instid1(SALU_CYCLE_1)
	s_or_b32 s3, s4, s3
	v_dual_cndmask_b32 v4, v18, v19, s3 :: v_dual_cndmask_b32 v5, v37, v33, s3
	v_cndmask_b32_e64 v36, v17, v16, s3
	s_delay_alu instid0(VALU_DEP_2) | instskip(SKIP_1) | instid1(VALU_DEP_2)
	v_add_nc_u32_e32 v14, 1, v4
	v_lshl_add_u32 v4, v4, 3, v10
	v_add_min_u32_e64 v5, v5, -1, v14
	s_delay_alu instid0(VALU_DEP_1) | instskip(SKIP_4) | instid1(VALU_DEP_2)
	v_lshl_add_u32 v5, v5, 1, v12
	ds_load_u16 v5, v5
	s_wait_dscnt 0x0
	v_dual_cndmask_b32 v15, v19, v14, s3 :: v_dual_cndmask_b32 v26, v16, v5, s3
	v_dual_cndmask_b32 v19, v5, v17, s3 :: v_dual_cndmask_b32 v5, v14, v18, s3
	v_cmp_lt_u32_e64 s4, v15, v33
	s_delay_alu instid0(VALU_DEP_2) | instskip(NEXT) | instid1(VALU_DEP_3)
	v_cmp_le_i16_e64 s5, v19, v26
	v_cmp_ge_u32_e64 s6, v5, v37
	s_and_b32 s4, s4, s5
	s_delay_alu instid0(SALU_CYCLE_1) | instskip(NEXT) | instid1(SALU_CYCLE_1)
	s_or_b32 s4, s6, s4
	v_cndmask_b32_e64 v18, v37, v33, s4
	v_dual_cndmask_b32 v14, v5, v15, s4 :: v_dual_cndmask_b32 v34, v19, v26, s4
	s_delay_alu instid0(VALU_DEP_1) | instskip(NEXT) | instid1(VALU_DEP_1)
	v_add_nc_u32_e32 v20, 1, v14
	v_add_min_u32_e64 v18, v18, -1, v20
	s_delay_alu instid0(VALU_DEP_1)
	v_lshl_add_u32 v18, v18, 1, v12
	ds_load_u16 v18, v18
	s_wait_dscnt 0x0
	v_dual_cndmask_b32 v35, v18, v19, s4 :: v_dual_cndmask_b32 v15, v15, v20, s4
	v_dual_cndmask_b32 v18, v26, v18, s4 :: v_dual_cndmask_b32 v5, v20, v5, s4
	v_lshl_add_u32 v14, v14, 3, v10
	s_delay_alu instid0(VALU_DEP_3) | instskip(NEXT) | instid1(VALU_DEP_3)
	v_cmp_lt_u32_e64 s5, v15, v33
	v_cmp_le_i16_e64 s6, v35, v18
	s_delay_alu instid0(VALU_DEP_4) | instskip(SKIP_1) | instid1(SALU_CYCLE_1)
	v_cmp_ge_u32_e64 s7, v5, v37
	s_and_b32 s5, s5, s6
	s_or_b32 s5, s7, s5
	s_delay_alu instid0(SALU_CYCLE_1) | instskip(NEXT) | instid1(VALU_DEP_1)
	v_cndmask_b32_e64 v20, v5, v15, s5
	v_dual_cndmask_b32 v21, v37, v33, s5 :: v_dual_add_nc_u32 v22, 1, v20
	s_delay_alu instid0(VALU_DEP_1) | instskip(SKIP_1) | instid1(VALU_DEP_2)
	v_add_min_u32_e64 v21, v21, -1, v22
	v_dual_cndmask_b32 v15, v15, v22, s5 :: v_dual_cndmask_b32 v5, v22, v5, s5
	v_lshl_add_u32 v21, v21, 1, v12
	s_delay_alu instid0(VALU_DEP_2) | instskip(NEXT) | instid1(VALU_DEP_3)
	v_cmp_lt_u32_e64 s6, v15, v33
	v_cmp_ge_u32_e64 s8, v5, v37
	ds_load_u16 v21, v21
	s_wait_dscnt 0x0
	v_dual_cndmask_b32 v38, v21, v35, s5 :: v_dual_cndmask_b32 v39, v18, v21, s5
	s_delay_alu instid0(VALU_DEP_1) | instskip(SKIP_1) | instid1(SALU_CYCLE_1)
	v_cmp_le_i16_e64 s7, v38, v39
	s_and_b32 s6, s6, s7
	s_or_b32 s6, s8, s6
	s_delay_alu instid0(SALU_CYCLE_1) | instskip(SKIP_2) | instid1(VALU_DEP_2)
	v_dual_cndmask_b32 v26, v35, v18, s5 :: v_dual_cndmask_b32 v35, v38, v39, s6
	v_cndmask_b32_e64 v5, v5, v15, s6
	v_lshl_add_u32 v15, v20, 3, v10
	v_lshl_add_u32 v20, v5, 3, v10
	ds_load_b64 v[4:5], v4 offset:2048
	ds_load_b64 v[22:23], v14 offset:2048
	;; [unrolled: 1-line block ×4, first 2 shown]
.LBB917_125:
	s_or_b32 exec_lo, exec_lo, s9
	v_min_u32_e32 v19, 64, v1
	v_min_u32_e32 v33, v1, v30
	; wave barrier
	ds_store_b16 v11, v36
	s_wait_dscnt 0x4
	ds_store_b64 v32, v[4:5]
	v_add_min_u32_e64 v18, v19, 64, v1
	v_min_u32_e32 v11, v33, v19
	s_mov_b32 s4, exec_lo
	ds_store_b16 v27, v34
	s_wait_dscnt 0x5
	ds_store_b64 v28, v[22:23]
	ds_store_b16 v29, v26
	s_wait_dscnt 0x6
	ds_store_b64 v31, v[14:15]
	;; [unrolled: 3-line block ×3, first 2 shown]
	v_sub_nc_u32_e32 v1, v18, v19
	; wave barrier
	s_delay_alu instid0(VALU_DEP_1) | instskip(NEXT) | instid1(VALU_DEP_1)
	v_sub_nc_u32_e64 v1, v33, v1 clamp
	v_cmpx_lt_u32_e64 v1, v11
	s_cbranch_execz .LBB917_129
; %bb.126:
	v_dual_mov_b32 v17, 0 :: v_dual_lshlrev_b32 v16, 1, v19
	s_mov_b32 s5, 0
	s_delay_alu instid0(VALU_DEP_1)
	v_add_nc_u64_e32 v[16:17], v[12:13], v[16:17]
.LBB917_127:                            ; =>This Inner Loop Header: Depth=1
	v_add_nc_u32_e32 v13, v11, v1
	s_delay_alu instid0(VALU_DEP_1) | instskip(NEXT) | instid1(VALU_DEP_1)
	v_dual_lshrrev_b32 v17, 1, v13 :: v_dual_bitop2_b32 v13, -2, v13 bitop3:0x40
	v_xad_u32 v24, v17, -1, v33
	s_delay_alu instid0(VALU_DEP_2) | instskip(NEXT) | instid1(VALU_DEP_2)
	v_add_nc_u32_e32 v13, v12, v13
	v_lshl_add_u32 v24, v24, 1, v16
	ds_load_u16 v13, v13
	ds_load_u16 v24, v24
	s_wait_dscnt 0x0
	v_cmp_gt_i16_e64 s3, v24, v13
	s_delay_alu instid0(VALU_DEP_1) | instskip(NEXT) | instid1(VALU_DEP_1)
	v_dual_add_nc_u32 v25, 1, v17 :: v_dual_cndmask_b32 v11, v11, v17, s3
	v_cndmask_b32_e64 v1, v25, v1, s3
	s_delay_alu instid0(VALU_DEP_1) | instskip(SKIP_1) | instid1(SALU_CYCLE_1)
	v_cmp_ge_u32_e64 s3, v1, v11
	s_or_b32 s5, s3, s5
	s_and_not1_b32 exec_lo, exec_lo, s5
	s_cbranch_execnz .LBB917_127
; %bb.128:
	s_or_b32 exec_lo, exec_lo, s5
.LBB917_129:
	s_delay_alu instid0(SALU_CYCLE_1) | instskip(SKIP_2) | instid1(VALU_DEP_2)
	s_or_b32 exec_lo, exec_lo, s4
	v_add_nc_u32_e32 v11, v19, v33
	v_cmp_le_u32_e64 s3, v1, v19
	v_sub_nc_u32_e32 v16, v11, v1
	s_delay_alu instid0(VALU_DEP_1) | instskip(SKIP_1) | instid1(SALU_CYCLE_1)
	v_cmp_le_u32_e64 s4, v16, v18
	s_or_b32 s3, s3, s4
	s_and_saveexec_b32 s9, s3
	s_cbranch_execz .LBB917_135
; %bb.130:
	v_cmp_lt_u32_e64 s3, v1, v19
                                        ; implicit-def: $vgpr11
	s_and_saveexec_b32 s4, s3
; %bb.131:
	v_lshl_add_u32 v4, v1, 1, v12
	ds_load_u16 v11, v4
; %bb.132:
	s_or_b32 exec_lo, exec_lo, s4
	v_cmp_ge_u32_e64 s4, v16, v18
	s_mov_b32 s6, exec_lo
                                        ; implicit-def: $vgpr13
	v_cmpx_lt_u32_e64 v16, v18
; %bb.133:
	v_lshl_add_u32 v4, v16, 1, v12
	ds_load_u16 v13, v4
; %bb.134:
	s_or_b32 exec_lo, exec_lo, s6
	s_wait_dscnt 0x0
	v_cmp_le_i16_e64 s5, v13, v11
	s_and_b32 s3, s3, s5
	s_delay_alu instid0(SALU_CYCLE_1) | instskip(NEXT) | instid1(SALU_CYCLE_1)
	s_or_b32 s3, s4, s3
	v_dual_cndmask_b32 v4, v16, v1, s3 :: v_dual_cndmask_b32 v5, v18, v19, s3
	s_delay_alu instid0(VALU_DEP_1) | instskip(SKIP_1) | instid1(VALU_DEP_2)
	v_add_nc_u32_e32 v14, 1, v4
	v_lshl_add_u32 v4, v4, 3, v10
	v_add_min_u32_e64 v5, v5, -1, v14
	s_delay_alu instid0(VALU_DEP_1)
	v_lshl_add_u32 v5, v5, 1, v12
	ds_load_u16 v5, v5
	s_wait_dscnt 0x0
	v_cndmask_b32_e64 v17, v5, v13, s3
	v_dual_cndmask_b32 v1, v1, v14, s3 :: v_dual_cndmask_b32 v24, v11, v5, s3
	v_cndmask_b32_e64 v5, v14, v16, s3
	s_delay_alu instid0(VALU_DEP_2) | instskip(NEXT) | instid1(VALU_DEP_3)
	v_cmp_lt_u32_e64 s4, v1, v19
	v_cmp_le_i16_e64 s5, v17, v24
	s_delay_alu instid0(VALU_DEP_3) | instskip(SKIP_1) | instid1(SALU_CYCLE_1)
	v_cmp_ge_u32_e64 s6, v5, v18
	s_and_b32 s4, s4, s5
	s_or_b32 s4, s6, s4
	s_delay_alu instid0(SALU_CYCLE_1) | instskip(NEXT) | instid1(VALU_DEP_1)
	v_dual_cndmask_b32 v14, v5, v1, s4 :: v_dual_cndmask_b32 v15, v18, v19, s4
	v_dual_cndmask_b32 v34, v17, v24, s4 :: v_dual_add_nc_u32 v16, 1, v14
	v_lshl_add_u32 v14, v14, 3, v10
	s_delay_alu instid0(VALU_DEP_2) | instskip(SKIP_1) | instid1(VALU_DEP_2)
	v_add_min_u32_e64 v15, v15, -1, v16
	v_cndmask_b32_e64 v5, v16, v5, s4
	v_lshl_add_u32 v15, v15, 1, v12
	s_delay_alu instid0(VALU_DEP_2) | instskip(SKIP_4) | instid1(VALU_DEP_2)
	v_cmp_ge_u32_e64 s7, v5, v18
	ds_load_u16 v15, v15
	s_wait_dscnt 0x0
	v_dual_cndmask_b32 v1, v1, v16, s4 :: v_dual_cndmask_b32 v25, v15, v17, s4
	v_cndmask_b32_e64 v26, v24, v15, s4
	v_cmp_lt_u32_e64 s5, v1, v19
	s_delay_alu instid0(VALU_DEP_2) | instskip(SKIP_1) | instid1(SALU_CYCLE_1)
	v_cmp_le_i16_e64 s6, v25, v26
	s_and_b32 s5, s5, s6
	s_or_b32 s5, s7, s5
	s_delay_alu instid0(SALU_CYCLE_1) | instskip(NEXT) | instid1(VALU_DEP_1)
	v_dual_cndmask_b32 v16, v18, v19, s5 :: v_dual_cndmask_b32 v15, v5, v1, s5
	v_add_nc_u32_e32 v20, 1, v15
	v_lshl_add_u32 v15, v15, 3, v10
	s_delay_alu instid0(VALU_DEP_2) | instskip(NEXT) | instid1(VALU_DEP_1)
	v_add_min_u32_e64 v16, v16, -1, v20
	v_lshl_add_u32 v12, v16, 1, v12
	ds_load_u16 v12, v12
	s_wait_dscnt 0x0
	v_dual_cndmask_b32 v16, v12, v25, s5 :: v_dual_cndmask_b32 v1, v1, v20, s5
	v_dual_cndmask_b32 v5, v20, v5, s5 :: v_dual_cndmask_b32 v12, v26, v12, s5
	v_cndmask_b32_e64 v26, v25, v26, s5
	s_delay_alu instid0(VALU_DEP_3) | instskip(NEXT) | instid1(VALU_DEP_3)
	v_cmp_lt_u32_e64 s6, v1, v19
	v_cmp_ge_u32_e64 s8, v5, v18
	s_delay_alu instid0(VALU_DEP_4) | instskip(SKIP_1) | instid1(SALU_CYCLE_1)
	v_cmp_le_i16_e64 s7, v16, v12
	s_and_b32 s6, s6, s7
	s_or_b32 s6, s8, s6
	s_delay_alu instid0(SALU_CYCLE_1) | instskip(SKIP_1) | instid1(VALU_DEP_2)
	v_cndmask_b32_e64 v1, v5, v1, s6
	v_dual_cndmask_b32 v36, v13, v11, s3 :: v_dual_cndmask_b32 v35, v16, v12, s6
	v_lshl_add_u32 v1, v1, 3, v10
	ds_load_b64 v[4:5], v4 offset:2048
	ds_load_b64 v[22:23], v14 offset:2048
	;; [unrolled: 1-line block ×4, first 2 shown]
.LBB917_135:
	s_or_b32 exec_lo, exec_lo, s9
	; wave barrier
	s_wait_storecnt_dscnt 0x0
	s_barrier_signal -1
	s_barrier_wait -1
.LBB917_136:
	s_or_b32 exec_lo, exec_lo, s10
	v_lshl_add_u64 v[2:3], v[8:9], 1, v[2:3]
	v_dual_mov_b32 v11, 0 :: v_dual_lshlrev_b32 v10, 1, v30
	s_wait_storecnt 0x0
	; wave barrier
	s_wait_loadcnt_dscnt 0x0
	s_delay_alu instid0(VALU_DEP_1)
	v_add_nc_u64_e32 v[2:3], v[2:3], v[10:11]
	s_and_saveexec_b32 s3, vcc_lo
	s_cbranch_execnz .LBB917_146
; %bb.137:
	s_or_b32 exec_lo, exec_lo, s3
	s_and_saveexec_b32 s3, s0
	s_cbranch_execnz .LBB917_147
.LBB917_138:
	s_or_b32 exec_lo, exec_lo, s3
	s_and_saveexec_b32 s3, s1
	s_cbranch_execnz .LBB917_148
.LBB917_139:
	s_or_b32 exec_lo, exec_lo, s3
	s_and_saveexec_b32 s3, s2
	s_cbranch_execz .LBB917_141
.LBB917_140:
	flat_store_b16 v[2:3], v35 offset:6
.LBB917_141:
	s_wait_xcnt 0x0
	s_or_b32 exec_lo, exec_lo, s3
	v_lshl_add_u64 v[2:3], v[8:9], 3, v[6:7]
	v_mov_b32_e32 v1, 0
	; wave barrier
	s_delay_alu instid0(VALU_DEP_1)
	v_add_nc_u64_e32 v[0:1], v[2:3], v[0:1]
	s_and_saveexec_b32 s3, vcc_lo
	s_cbranch_execnz .LBB917_149
; %bb.142:
	s_or_b32 exec_lo, exec_lo, s3
	s_and_saveexec_b32 s3, s0
	s_cbranch_execnz .LBB917_150
.LBB917_143:
	s_or_b32 exec_lo, exec_lo, s3
	s_and_saveexec_b32 s0, s1
	s_cbranch_execnz .LBB917_151
.LBB917_144:
	s_or_b32 exec_lo, exec_lo, s0
	s_and_saveexec_b32 s0, s2
	s_cbranch_execnz .LBB917_152
.LBB917_145:
	s_or_b32 exec_lo, exec_lo, s0
	s_wait_dscnt 0x0
	s_set_pc_i64 s[30:31]
.LBB917_146:
	flat_store_b16 v[2:3], v36
	s_wait_xcnt 0x0
	s_or_b32 exec_lo, exec_lo, s3
	s_and_saveexec_b32 s3, s0
	s_cbranch_execz .LBB917_138
.LBB917_147:
	flat_store_b16 v[2:3], v34 offset:2
	s_wait_xcnt 0x0
	s_or_b32 exec_lo, exec_lo, s3
	s_and_saveexec_b32 s3, s1
	s_cbranch_execz .LBB917_139
.LBB917_148:
	flat_store_b16 v[2:3], v26 offset:4
	s_wait_xcnt 0x0
	s_or_b32 exec_lo, exec_lo, s3
	s_and_saveexec_b32 s3, s2
	s_cbranch_execnz .LBB917_140
	s_branch .LBB917_141
.LBB917_149:
	flat_store_b64 v[0:1], v[4:5]
	s_wait_xcnt 0x0
	s_or_b32 exec_lo, exec_lo, s3
	s_and_saveexec_b32 s3, s0
	s_cbranch_execz .LBB917_143
.LBB917_150:
	flat_store_b64 v[0:1], v[22:23] offset:8
	s_wait_xcnt 0x0
	s_or_b32 exec_lo, exec_lo, s3
	s_and_saveexec_b32 s0, s1
	s_cbranch_execz .LBB917_144
.LBB917_151:
	flat_store_b64 v[0:1], v[14:15] offset:16
	s_wait_xcnt 0x0
	s_or_b32 exec_lo, exec_lo, s0
	s_and_saveexec_b32 s0, s2
	s_cbranch_execz .LBB917_145
.LBB917_152:
	flat_store_b64 v[0:1], v[20:21] offset:24
	s_wait_xcnt 0x0
	s_or_b32 exec_lo, exec_lo, s0
	s_wait_dscnt 0x0
	s_set_pc_i64 s[30:31]
.Lfunc_end917:
	.size	_ZN7rocprim17ROCPRIM_400000_NS6detail26segmented_warp_sort_helperINS1_20WarpSortHelperConfigILj32ELj4ELj256EEEslLi256ELb1EvE4sortIPKsPsPKlPlEEvT_T0_T1_T2_jjjjRNS5_12storage_typeE, .Lfunc_end917-_ZN7rocprim17ROCPRIM_400000_NS6detail26segmented_warp_sort_helperINS1_20WarpSortHelperConfigILj32ELj4ELj256EEEslLi256ELb1EvE4sortIPKsPsPKlPlEEvT_T0_T1_T2_jjjjRNS5_12storage_typeE
                                        ; -- End function
	.set .L_ZN7rocprim17ROCPRIM_400000_NS6detail26segmented_warp_sort_helperINS1_20WarpSortHelperConfigILj32ELj4ELj256EEEslLi256ELb1EvE4sortIPKsPsPKlPlEEvT_T0_T1_T2_jjjjRNS5_12storage_typeE.num_vgpr, 53
	.set .L_ZN7rocprim17ROCPRIM_400000_NS6detail26segmented_warp_sort_helperINS1_20WarpSortHelperConfigILj32ELj4ELj256EEEslLi256ELb1EvE4sortIPKsPsPKlPlEEvT_T0_T1_T2_jjjjRNS5_12storage_typeE.num_agpr, 0
	.set .L_ZN7rocprim17ROCPRIM_400000_NS6detail26segmented_warp_sort_helperINS1_20WarpSortHelperConfigILj32ELj4ELj256EEEslLi256ELb1EvE4sortIPKsPsPKlPlEEvT_T0_T1_T2_jjjjRNS5_12storage_typeE.numbered_sgpr, 32
	.set .L_ZN7rocprim17ROCPRIM_400000_NS6detail26segmented_warp_sort_helperINS1_20WarpSortHelperConfigILj32ELj4ELj256EEEslLi256ELb1EvE4sortIPKsPsPKlPlEEvT_T0_T1_T2_jjjjRNS5_12storage_typeE.num_named_barrier, 0
	.set .L_ZN7rocprim17ROCPRIM_400000_NS6detail26segmented_warp_sort_helperINS1_20WarpSortHelperConfigILj32ELj4ELj256EEEslLi256ELb1EvE4sortIPKsPsPKlPlEEvT_T0_T1_T2_jjjjRNS5_12storage_typeE.private_seg_size, 0
	.set .L_ZN7rocprim17ROCPRIM_400000_NS6detail26segmented_warp_sort_helperINS1_20WarpSortHelperConfigILj32ELj4ELj256EEEslLi256ELb1EvE4sortIPKsPsPKlPlEEvT_T0_T1_T2_jjjjRNS5_12storage_typeE.uses_vcc, 1
	.set .L_ZN7rocprim17ROCPRIM_400000_NS6detail26segmented_warp_sort_helperINS1_20WarpSortHelperConfigILj32ELj4ELj256EEEslLi256ELb1EvE4sortIPKsPsPKlPlEEvT_T0_T1_T2_jjjjRNS5_12storage_typeE.uses_flat_scratch, 0
	.set .L_ZN7rocprim17ROCPRIM_400000_NS6detail26segmented_warp_sort_helperINS1_20WarpSortHelperConfigILj32ELj4ELj256EEEslLi256ELb1EvE4sortIPKsPsPKlPlEEvT_T0_T1_T2_jjjjRNS5_12storage_typeE.has_dyn_sized_stack, 0
	.set .L_ZN7rocprim17ROCPRIM_400000_NS6detail26segmented_warp_sort_helperINS1_20WarpSortHelperConfigILj32ELj4ELj256EEEslLi256ELb1EvE4sortIPKsPsPKlPlEEvT_T0_T1_T2_jjjjRNS5_12storage_typeE.has_recursion, 0
	.set .L_ZN7rocprim17ROCPRIM_400000_NS6detail26segmented_warp_sort_helperINS1_20WarpSortHelperConfigILj32ELj4ELj256EEEslLi256ELb1EvE4sortIPKsPsPKlPlEEvT_T0_T1_T2_jjjjRNS5_12storage_typeE.has_indirect_call, 0
	.section	.AMDGPU.csdata,"",@progbits
; Function info:
; codeLenInByte = 11808
; TotalNumSgprs: 34
; NumVgprs: 53
; ScratchSize: 0
; MemoryBound: 1
	.section	.text._ZN7rocprim17ROCPRIM_400000_NS6detail17trampoline_kernelINS0_14default_configENS1_36segmented_radix_sort_config_selectorIslEEZNS1_25segmented_radix_sort_implIS3_Lb1EPKsPsPKlPlN2at6native12_GLOBAL__N_18offset_tEEE10hipError_tPvRmT1_PNSt15iterator_traitsISK_E10value_typeET2_T3_PNSL_ISQ_E10value_typeET4_jRbjT5_SW_jjP12ihipStream_tbEUlT_E0_NS1_11comp_targetILNS1_3genE0ELNS1_11target_archE4294967295ELNS1_3gpuE0ELNS1_3repE0EEENS1_60segmented_radix_sort_warp_sort_medium_config_static_selectorELNS0_4arch9wavefront6targetE0EEEvSK_,"axG",@progbits,_ZN7rocprim17ROCPRIM_400000_NS6detail17trampoline_kernelINS0_14default_configENS1_36segmented_radix_sort_config_selectorIslEEZNS1_25segmented_radix_sort_implIS3_Lb1EPKsPsPKlPlN2at6native12_GLOBAL__N_18offset_tEEE10hipError_tPvRmT1_PNSt15iterator_traitsISK_E10value_typeET2_T3_PNSL_ISQ_E10value_typeET4_jRbjT5_SW_jjP12ihipStream_tbEUlT_E0_NS1_11comp_targetILNS1_3genE0ELNS1_11target_archE4294967295ELNS1_3gpuE0ELNS1_3repE0EEENS1_60segmented_radix_sort_warp_sort_medium_config_static_selectorELNS0_4arch9wavefront6targetE0EEEvSK_,comdat
	.globl	_ZN7rocprim17ROCPRIM_400000_NS6detail17trampoline_kernelINS0_14default_configENS1_36segmented_radix_sort_config_selectorIslEEZNS1_25segmented_radix_sort_implIS3_Lb1EPKsPsPKlPlN2at6native12_GLOBAL__N_18offset_tEEE10hipError_tPvRmT1_PNSt15iterator_traitsISK_E10value_typeET2_T3_PNSL_ISQ_E10value_typeET4_jRbjT5_SW_jjP12ihipStream_tbEUlT_E0_NS1_11comp_targetILNS1_3genE0ELNS1_11target_archE4294967295ELNS1_3gpuE0ELNS1_3repE0EEENS1_60segmented_radix_sort_warp_sort_medium_config_static_selectorELNS0_4arch9wavefront6targetE0EEEvSK_ ; -- Begin function _ZN7rocprim17ROCPRIM_400000_NS6detail17trampoline_kernelINS0_14default_configENS1_36segmented_radix_sort_config_selectorIslEEZNS1_25segmented_radix_sort_implIS3_Lb1EPKsPsPKlPlN2at6native12_GLOBAL__N_18offset_tEEE10hipError_tPvRmT1_PNSt15iterator_traitsISK_E10value_typeET2_T3_PNSL_ISQ_E10value_typeET4_jRbjT5_SW_jjP12ihipStream_tbEUlT_E0_NS1_11comp_targetILNS1_3genE0ELNS1_11target_archE4294967295ELNS1_3gpuE0ELNS1_3repE0EEENS1_60segmented_radix_sort_warp_sort_medium_config_static_selectorELNS0_4arch9wavefront6targetE0EEEvSK_
	.p2align	8
	.type	_ZN7rocprim17ROCPRIM_400000_NS6detail17trampoline_kernelINS0_14default_configENS1_36segmented_radix_sort_config_selectorIslEEZNS1_25segmented_radix_sort_implIS3_Lb1EPKsPsPKlPlN2at6native12_GLOBAL__N_18offset_tEEE10hipError_tPvRmT1_PNSt15iterator_traitsISK_E10value_typeET2_T3_PNSL_ISQ_E10value_typeET4_jRbjT5_SW_jjP12ihipStream_tbEUlT_E0_NS1_11comp_targetILNS1_3genE0ELNS1_11target_archE4294967295ELNS1_3gpuE0ELNS1_3repE0EEENS1_60segmented_radix_sort_warp_sort_medium_config_static_selectorELNS0_4arch9wavefront6targetE0EEEvSK_,@function
_ZN7rocprim17ROCPRIM_400000_NS6detail17trampoline_kernelINS0_14default_configENS1_36segmented_radix_sort_config_selectorIslEEZNS1_25segmented_radix_sort_implIS3_Lb1EPKsPsPKlPlN2at6native12_GLOBAL__N_18offset_tEEE10hipError_tPvRmT1_PNSt15iterator_traitsISK_E10value_typeET2_T3_PNSL_ISQ_E10value_typeET4_jRbjT5_SW_jjP12ihipStream_tbEUlT_E0_NS1_11comp_targetILNS1_3genE0ELNS1_11target_archE4294967295ELNS1_3gpuE0ELNS1_3repE0EEENS1_60segmented_radix_sort_warp_sort_medium_config_static_selectorELNS0_4arch9wavefront6targetE0EEEvSK_: ; @_ZN7rocprim17ROCPRIM_400000_NS6detail17trampoline_kernelINS0_14default_configENS1_36segmented_radix_sort_config_selectorIslEEZNS1_25segmented_radix_sort_implIS3_Lb1EPKsPsPKlPlN2at6native12_GLOBAL__N_18offset_tEEE10hipError_tPvRmT1_PNSt15iterator_traitsISK_E10value_typeET2_T3_PNSL_ISQ_E10value_typeET4_jRbjT5_SW_jjP12ihipStream_tbEUlT_E0_NS1_11comp_targetILNS1_3genE0ELNS1_11target_archE4294967295ELNS1_3gpuE0ELNS1_3repE0EEENS1_60segmented_radix_sort_warp_sort_medium_config_static_selectorELNS0_4arch9wavefront6targetE0EEEvSK_
; %bb.0:
	s_load_b32 s4, s[2:3], 0x64
	v_bfe_u32 v1, v0, 10, 10
	v_bfe_u32 v2, v0, 20, 10
	v_and_b32_e32 v3, 0x3ff, v0
	s_and_b32 s6, ttmp6, 15
	s_getreg_b32 s7, hwreg(HW_REG_IB_STS2, 6, 4)
	s_mov_b32 s32, 0
	s_wait_kmcnt 0x0
	s_lshr_b32 s5, s4, 16
	s_and_b32 s4, s4, 0xffff
	v_mad_u32_u24 v1, v2, s5, v1
	s_bfe_u32 s5, ttmp6, 0x4000c
	s_delay_alu instid0(SALU_CYCLE_1) | instskip(NEXT) | instid1(SALU_CYCLE_1)
	s_add_co_i32 s5, s5, 1
	s_mul_i32 s5, ttmp9, s5
	s_delay_alu instid0(VALU_DEP_1) | instskip(SKIP_4) | instid1(VALU_DEP_1)
	v_mad_u32 v1, v1, s4, v3
	s_load_b32 s4, s[2:3], 0x34
	s_add_co_i32 s6, s6, s5
	s_cmp_eq_u32 s7, 0
	s_cselect_b32 s5, ttmp9, s6
	v_lshrrev_b32_e32 v1, 5, v1
	s_delay_alu instid0(VALU_DEP_1) | instskip(SKIP_1) | instid1(VALU_DEP_1)
	v_lshl_add_u32 v1, s5, 3, v1
	s_wait_kmcnt 0x0
	v_cmp_gt_u32_e32 vcc_lo, s4, v1
	s_and_saveexec_b32 s4, vcc_lo
	s_cbranch_execz .LBB918_6
; %bb.1:
	s_clause 0x1
	s_load_b64 s[8:9], s[2:3], 0x38
	s_load_b128 s[4:7], s[2:3], 0x40
	s_wait_kmcnt 0x0
	global_load_b32 v1, v1, s[8:9] scale_offset
	s_wait_loadcnt 0x0
	v_dual_add_nc_u32 v2, s5, v1 :: v_dual_add_nc_u32 v1, s7, v1
	s_delay_alu instid0(VALU_DEP_1) | instskip(NEXT) | instid1(VALU_DEP_2)
	v_mul_lo_u32 v8, v2, s4
	v_mul_lo_u32 v40, v1, s6
	s_delay_alu instid0(VALU_DEP_1)
	v_cmp_gt_u32_e32 vcc_lo, v40, v8
	s_and_b32 exec_lo, exec_lo, vcc_lo
	s_cbranch_execz .LBB918_6
; %bb.2:
	s_clause 0x3
	s_load_b32 s4, s[2:3], 0x30
	s_load_b128 s[36:39], s[2:3], 0x20
	s_load_b256 s[20:27], s[2:3], 0x0
	s_load_b64 s[18:19], s[2:3], 0x50
	s_add_nc_u64 s[16:17], s[2:3], 0x58
	s_get_pc_i64 s[28:29]
	s_add_nc_u64 s[28:29], s[28:29], _ZN7rocprim17ROCPRIM_400000_NS6detail26segmented_warp_sort_helperINS1_20WarpSortHelperConfigILj32ELj4ELj256EEEslLi256ELb1EvE4sortIPKsPsPKlPlEEvT_T0_T1_T2_jjjjRNS5_12storage_typeE@rel64+4
	s_wait_kmcnt 0x0
	s_bitcmp0_b32 s4, 0
	s_mov_b32 s4, -1
	s_cbranch_scc0 .LBB918_4
; %bb.3:
	s_mov_b64 s[2:3], src_shared_base
	v_dual_mov_b32 v31, v0 :: v_dual_mov_b32 v41, v0
	v_dual_mov_b32 v0, s20 :: v_dual_mov_b32 v1, s21
	;; [unrolled: 1-line block ×7, first 2 shown]
	v_mov_b32_e32 v13, s3
	s_mov_b64 s[6:7], s[0:1]
	s_mov_b64 s[8:9], s[16:17]
	;; [unrolled: 1-line block ×3, first 2 shown]
	s_swap_pc_i64 s[30:31], s[28:29]
	v_mov_b32_e32 v0, v41
	s_mov_b64 s[0:1], s[22:23]
	s_mov_b32 s4, 0
.LBB918_4:
	s_delay_alu instid0(SALU_CYCLE_1)
	s_and_not1_b32 vcc_lo, exec_lo, s4
	s_cbranch_vccnz .LBB918_6
; %bb.5:
	s_mov_b64 s[2:3], src_shared_base
	v_dual_mov_b32 v31, v0 :: v_dual_mov_b32 v0, s20
	v_dual_mov_b32 v1, s21 :: v_dual_mov_b32 v2, s24
	;; [unrolled: 1-line block ×7, first 2 shown]
	s_mov_b64 s[6:7], s[0:1]
	s_mov_b64 s[8:9], s[16:17]
	s_swap_pc_i64 s[30:31], s[28:29]
.LBB918_6:
	s_endpgm
	.section	.rodata,"a",@progbits
	.p2align	6, 0x0
	.amdhsa_kernel _ZN7rocprim17ROCPRIM_400000_NS6detail17trampoline_kernelINS0_14default_configENS1_36segmented_radix_sort_config_selectorIslEEZNS1_25segmented_radix_sort_implIS3_Lb1EPKsPsPKlPlN2at6native12_GLOBAL__N_18offset_tEEE10hipError_tPvRmT1_PNSt15iterator_traitsISK_E10value_typeET2_T3_PNSL_ISQ_E10value_typeET4_jRbjT5_SW_jjP12ihipStream_tbEUlT_E0_NS1_11comp_targetILNS1_3genE0ELNS1_11target_archE4294967295ELNS1_3gpuE0ELNS1_3repE0EEENS1_60segmented_radix_sort_warp_sort_medium_config_static_selectorELNS0_4arch9wavefront6targetE0EEEvSK_
		.amdhsa_group_segment_fixed_size 10240
		.amdhsa_private_segment_fixed_size 0
		.amdhsa_kernarg_size 344
		.amdhsa_user_sgpr_count 4
		.amdhsa_user_sgpr_dispatch_ptr 0
		.amdhsa_user_sgpr_queue_ptr 1
		.amdhsa_user_sgpr_kernarg_segment_ptr 1
		.amdhsa_user_sgpr_dispatch_id 0
		.amdhsa_user_sgpr_kernarg_preload_length 0
		.amdhsa_user_sgpr_kernarg_preload_offset 0
		.amdhsa_user_sgpr_private_segment_size 0
		.amdhsa_wavefront_size32 1
		.amdhsa_uses_dynamic_stack 0
		.amdhsa_enable_private_segment 0
		.amdhsa_system_sgpr_workgroup_id_x 1
		.amdhsa_system_sgpr_workgroup_id_y 1
		.amdhsa_system_sgpr_workgroup_id_z 0
		.amdhsa_system_sgpr_workgroup_info 0
		.amdhsa_system_vgpr_workitem_id 2
		.amdhsa_next_free_vgpr 53
		.amdhsa_next_free_sgpr 40
		.amdhsa_named_barrier_count 0
		.amdhsa_reserve_vcc 1
		.amdhsa_float_round_mode_32 0
		.amdhsa_float_round_mode_16_64 0
		.amdhsa_float_denorm_mode_32 3
		.amdhsa_float_denorm_mode_16_64 3
		.amdhsa_fp16_overflow 0
		.amdhsa_memory_ordered 1
		.amdhsa_forward_progress 1
		.amdhsa_inst_pref_size 4
		.amdhsa_round_robin_scheduling 0
		.amdhsa_exception_fp_ieee_invalid_op 0
		.amdhsa_exception_fp_denorm_src 0
		.amdhsa_exception_fp_ieee_div_zero 0
		.amdhsa_exception_fp_ieee_overflow 0
		.amdhsa_exception_fp_ieee_underflow 0
		.amdhsa_exception_fp_ieee_inexact 0
		.amdhsa_exception_int_div_zero 0
	.end_amdhsa_kernel
	.section	.text._ZN7rocprim17ROCPRIM_400000_NS6detail17trampoline_kernelINS0_14default_configENS1_36segmented_radix_sort_config_selectorIslEEZNS1_25segmented_radix_sort_implIS3_Lb1EPKsPsPKlPlN2at6native12_GLOBAL__N_18offset_tEEE10hipError_tPvRmT1_PNSt15iterator_traitsISK_E10value_typeET2_T3_PNSL_ISQ_E10value_typeET4_jRbjT5_SW_jjP12ihipStream_tbEUlT_E0_NS1_11comp_targetILNS1_3genE0ELNS1_11target_archE4294967295ELNS1_3gpuE0ELNS1_3repE0EEENS1_60segmented_radix_sort_warp_sort_medium_config_static_selectorELNS0_4arch9wavefront6targetE0EEEvSK_,"axG",@progbits,_ZN7rocprim17ROCPRIM_400000_NS6detail17trampoline_kernelINS0_14default_configENS1_36segmented_radix_sort_config_selectorIslEEZNS1_25segmented_radix_sort_implIS3_Lb1EPKsPsPKlPlN2at6native12_GLOBAL__N_18offset_tEEE10hipError_tPvRmT1_PNSt15iterator_traitsISK_E10value_typeET2_T3_PNSL_ISQ_E10value_typeET4_jRbjT5_SW_jjP12ihipStream_tbEUlT_E0_NS1_11comp_targetILNS1_3genE0ELNS1_11target_archE4294967295ELNS1_3gpuE0ELNS1_3repE0EEENS1_60segmented_radix_sort_warp_sort_medium_config_static_selectorELNS0_4arch9wavefront6targetE0EEEvSK_,comdat
.Lfunc_end918:
	.size	_ZN7rocprim17ROCPRIM_400000_NS6detail17trampoline_kernelINS0_14default_configENS1_36segmented_radix_sort_config_selectorIslEEZNS1_25segmented_radix_sort_implIS3_Lb1EPKsPsPKlPlN2at6native12_GLOBAL__N_18offset_tEEE10hipError_tPvRmT1_PNSt15iterator_traitsISK_E10value_typeET2_T3_PNSL_ISQ_E10value_typeET4_jRbjT5_SW_jjP12ihipStream_tbEUlT_E0_NS1_11comp_targetILNS1_3genE0ELNS1_11target_archE4294967295ELNS1_3gpuE0ELNS1_3repE0EEENS1_60segmented_radix_sort_warp_sort_medium_config_static_selectorELNS0_4arch9wavefront6targetE0EEEvSK_, .Lfunc_end918-_ZN7rocprim17ROCPRIM_400000_NS6detail17trampoline_kernelINS0_14default_configENS1_36segmented_radix_sort_config_selectorIslEEZNS1_25segmented_radix_sort_implIS3_Lb1EPKsPsPKlPlN2at6native12_GLOBAL__N_18offset_tEEE10hipError_tPvRmT1_PNSt15iterator_traitsISK_E10value_typeET2_T3_PNSL_ISQ_E10value_typeET4_jRbjT5_SW_jjP12ihipStream_tbEUlT_E0_NS1_11comp_targetILNS1_3genE0ELNS1_11target_archE4294967295ELNS1_3gpuE0ELNS1_3repE0EEENS1_60segmented_radix_sort_warp_sort_medium_config_static_selectorELNS0_4arch9wavefront6targetE0EEEvSK_
                                        ; -- End function
	.set _ZN7rocprim17ROCPRIM_400000_NS6detail17trampoline_kernelINS0_14default_configENS1_36segmented_radix_sort_config_selectorIslEEZNS1_25segmented_radix_sort_implIS3_Lb1EPKsPsPKlPlN2at6native12_GLOBAL__N_18offset_tEEE10hipError_tPvRmT1_PNSt15iterator_traitsISK_E10value_typeET2_T3_PNSL_ISQ_E10value_typeET4_jRbjT5_SW_jjP12ihipStream_tbEUlT_E0_NS1_11comp_targetILNS1_3genE0ELNS1_11target_archE4294967295ELNS1_3gpuE0ELNS1_3repE0EEENS1_60segmented_radix_sort_warp_sort_medium_config_static_selectorELNS0_4arch9wavefront6targetE0EEEvSK_.num_vgpr, max(42, .L_ZN7rocprim17ROCPRIM_400000_NS6detail26segmented_warp_sort_helperINS1_20WarpSortHelperConfigILj32ELj4ELj256EEEslLi256ELb1EvE4sortIPKsPsPKlPlEEvT_T0_T1_T2_jjjjRNS5_12storage_typeE.num_vgpr)
	.set _ZN7rocprim17ROCPRIM_400000_NS6detail17trampoline_kernelINS0_14default_configENS1_36segmented_radix_sort_config_selectorIslEEZNS1_25segmented_radix_sort_implIS3_Lb1EPKsPsPKlPlN2at6native12_GLOBAL__N_18offset_tEEE10hipError_tPvRmT1_PNSt15iterator_traitsISK_E10value_typeET2_T3_PNSL_ISQ_E10value_typeET4_jRbjT5_SW_jjP12ihipStream_tbEUlT_E0_NS1_11comp_targetILNS1_3genE0ELNS1_11target_archE4294967295ELNS1_3gpuE0ELNS1_3repE0EEENS1_60segmented_radix_sort_warp_sort_medium_config_static_selectorELNS0_4arch9wavefront6targetE0EEEvSK_.num_agpr, max(0, .L_ZN7rocprim17ROCPRIM_400000_NS6detail26segmented_warp_sort_helperINS1_20WarpSortHelperConfigILj32ELj4ELj256EEEslLi256ELb1EvE4sortIPKsPsPKlPlEEvT_T0_T1_T2_jjjjRNS5_12storage_typeE.num_agpr)
	.set _ZN7rocprim17ROCPRIM_400000_NS6detail17trampoline_kernelINS0_14default_configENS1_36segmented_radix_sort_config_selectorIslEEZNS1_25segmented_radix_sort_implIS3_Lb1EPKsPsPKlPlN2at6native12_GLOBAL__N_18offset_tEEE10hipError_tPvRmT1_PNSt15iterator_traitsISK_E10value_typeET2_T3_PNSL_ISQ_E10value_typeET4_jRbjT5_SW_jjP12ihipStream_tbEUlT_E0_NS1_11comp_targetILNS1_3genE0ELNS1_11target_archE4294967295ELNS1_3gpuE0ELNS1_3repE0EEENS1_60segmented_radix_sort_warp_sort_medium_config_static_selectorELNS0_4arch9wavefront6targetE0EEEvSK_.numbered_sgpr, max(40, .L_ZN7rocprim17ROCPRIM_400000_NS6detail26segmented_warp_sort_helperINS1_20WarpSortHelperConfigILj32ELj4ELj256EEEslLi256ELb1EvE4sortIPKsPsPKlPlEEvT_T0_T1_T2_jjjjRNS5_12storage_typeE.numbered_sgpr)
	.set _ZN7rocprim17ROCPRIM_400000_NS6detail17trampoline_kernelINS0_14default_configENS1_36segmented_radix_sort_config_selectorIslEEZNS1_25segmented_radix_sort_implIS3_Lb1EPKsPsPKlPlN2at6native12_GLOBAL__N_18offset_tEEE10hipError_tPvRmT1_PNSt15iterator_traitsISK_E10value_typeET2_T3_PNSL_ISQ_E10value_typeET4_jRbjT5_SW_jjP12ihipStream_tbEUlT_E0_NS1_11comp_targetILNS1_3genE0ELNS1_11target_archE4294967295ELNS1_3gpuE0ELNS1_3repE0EEENS1_60segmented_radix_sort_warp_sort_medium_config_static_selectorELNS0_4arch9wavefront6targetE0EEEvSK_.num_named_barrier, max(0, .L_ZN7rocprim17ROCPRIM_400000_NS6detail26segmented_warp_sort_helperINS1_20WarpSortHelperConfigILj32ELj4ELj256EEEslLi256ELb1EvE4sortIPKsPsPKlPlEEvT_T0_T1_T2_jjjjRNS5_12storage_typeE.num_named_barrier)
	.set _ZN7rocprim17ROCPRIM_400000_NS6detail17trampoline_kernelINS0_14default_configENS1_36segmented_radix_sort_config_selectorIslEEZNS1_25segmented_radix_sort_implIS3_Lb1EPKsPsPKlPlN2at6native12_GLOBAL__N_18offset_tEEE10hipError_tPvRmT1_PNSt15iterator_traitsISK_E10value_typeET2_T3_PNSL_ISQ_E10value_typeET4_jRbjT5_SW_jjP12ihipStream_tbEUlT_E0_NS1_11comp_targetILNS1_3genE0ELNS1_11target_archE4294967295ELNS1_3gpuE0ELNS1_3repE0EEENS1_60segmented_radix_sort_warp_sort_medium_config_static_selectorELNS0_4arch9wavefront6targetE0EEEvSK_.private_seg_size, 0+max(.L_ZN7rocprim17ROCPRIM_400000_NS6detail26segmented_warp_sort_helperINS1_20WarpSortHelperConfigILj32ELj4ELj256EEEslLi256ELb1EvE4sortIPKsPsPKlPlEEvT_T0_T1_T2_jjjjRNS5_12storage_typeE.private_seg_size)
	.set _ZN7rocprim17ROCPRIM_400000_NS6detail17trampoline_kernelINS0_14default_configENS1_36segmented_radix_sort_config_selectorIslEEZNS1_25segmented_radix_sort_implIS3_Lb1EPKsPsPKlPlN2at6native12_GLOBAL__N_18offset_tEEE10hipError_tPvRmT1_PNSt15iterator_traitsISK_E10value_typeET2_T3_PNSL_ISQ_E10value_typeET4_jRbjT5_SW_jjP12ihipStream_tbEUlT_E0_NS1_11comp_targetILNS1_3genE0ELNS1_11target_archE4294967295ELNS1_3gpuE0ELNS1_3repE0EEENS1_60segmented_radix_sort_warp_sort_medium_config_static_selectorELNS0_4arch9wavefront6targetE0EEEvSK_.uses_vcc, or(1, .L_ZN7rocprim17ROCPRIM_400000_NS6detail26segmented_warp_sort_helperINS1_20WarpSortHelperConfigILj32ELj4ELj256EEEslLi256ELb1EvE4sortIPKsPsPKlPlEEvT_T0_T1_T2_jjjjRNS5_12storage_typeE.uses_vcc)
	.set _ZN7rocprim17ROCPRIM_400000_NS6detail17trampoline_kernelINS0_14default_configENS1_36segmented_radix_sort_config_selectorIslEEZNS1_25segmented_radix_sort_implIS3_Lb1EPKsPsPKlPlN2at6native12_GLOBAL__N_18offset_tEEE10hipError_tPvRmT1_PNSt15iterator_traitsISK_E10value_typeET2_T3_PNSL_ISQ_E10value_typeET4_jRbjT5_SW_jjP12ihipStream_tbEUlT_E0_NS1_11comp_targetILNS1_3genE0ELNS1_11target_archE4294967295ELNS1_3gpuE0ELNS1_3repE0EEENS1_60segmented_radix_sort_warp_sort_medium_config_static_selectorELNS0_4arch9wavefront6targetE0EEEvSK_.uses_flat_scratch, or(0, .L_ZN7rocprim17ROCPRIM_400000_NS6detail26segmented_warp_sort_helperINS1_20WarpSortHelperConfigILj32ELj4ELj256EEEslLi256ELb1EvE4sortIPKsPsPKlPlEEvT_T0_T1_T2_jjjjRNS5_12storage_typeE.uses_flat_scratch)
	.set _ZN7rocprim17ROCPRIM_400000_NS6detail17trampoline_kernelINS0_14default_configENS1_36segmented_radix_sort_config_selectorIslEEZNS1_25segmented_radix_sort_implIS3_Lb1EPKsPsPKlPlN2at6native12_GLOBAL__N_18offset_tEEE10hipError_tPvRmT1_PNSt15iterator_traitsISK_E10value_typeET2_T3_PNSL_ISQ_E10value_typeET4_jRbjT5_SW_jjP12ihipStream_tbEUlT_E0_NS1_11comp_targetILNS1_3genE0ELNS1_11target_archE4294967295ELNS1_3gpuE0ELNS1_3repE0EEENS1_60segmented_radix_sort_warp_sort_medium_config_static_selectorELNS0_4arch9wavefront6targetE0EEEvSK_.has_dyn_sized_stack, or(0, .L_ZN7rocprim17ROCPRIM_400000_NS6detail26segmented_warp_sort_helperINS1_20WarpSortHelperConfigILj32ELj4ELj256EEEslLi256ELb1EvE4sortIPKsPsPKlPlEEvT_T0_T1_T2_jjjjRNS5_12storage_typeE.has_dyn_sized_stack)
	.set _ZN7rocprim17ROCPRIM_400000_NS6detail17trampoline_kernelINS0_14default_configENS1_36segmented_radix_sort_config_selectorIslEEZNS1_25segmented_radix_sort_implIS3_Lb1EPKsPsPKlPlN2at6native12_GLOBAL__N_18offset_tEEE10hipError_tPvRmT1_PNSt15iterator_traitsISK_E10value_typeET2_T3_PNSL_ISQ_E10value_typeET4_jRbjT5_SW_jjP12ihipStream_tbEUlT_E0_NS1_11comp_targetILNS1_3genE0ELNS1_11target_archE4294967295ELNS1_3gpuE0ELNS1_3repE0EEENS1_60segmented_radix_sort_warp_sort_medium_config_static_selectorELNS0_4arch9wavefront6targetE0EEEvSK_.has_recursion, or(0, .L_ZN7rocprim17ROCPRIM_400000_NS6detail26segmented_warp_sort_helperINS1_20WarpSortHelperConfigILj32ELj4ELj256EEEslLi256ELb1EvE4sortIPKsPsPKlPlEEvT_T0_T1_T2_jjjjRNS5_12storage_typeE.has_recursion)
	.set _ZN7rocprim17ROCPRIM_400000_NS6detail17trampoline_kernelINS0_14default_configENS1_36segmented_radix_sort_config_selectorIslEEZNS1_25segmented_radix_sort_implIS3_Lb1EPKsPsPKlPlN2at6native12_GLOBAL__N_18offset_tEEE10hipError_tPvRmT1_PNSt15iterator_traitsISK_E10value_typeET2_T3_PNSL_ISQ_E10value_typeET4_jRbjT5_SW_jjP12ihipStream_tbEUlT_E0_NS1_11comp_targetILNS1_3genE0ELNS1_11target_archE4294967295ELNS1_3gpuE0ELNS1_3repE0EEENS1_60segmented_radix_sort_warp_sort_medium_config_static_selectorELNS0_4arch9wavefront6targetE0EEEvSK_.has_indirect_call, or(0, .L_ZN7rocprim17ROCPRIM_400000_NS6detail26segmented_warp_sort_helperINS1_20WarpSortHelperConfigILj32ELj4ELj256EEEslLi256ELb1EvE4sortIPKsPsPKlPlEEvT_T0_T1_T2_jjjjRNS5_12storage_typeE.has_indirect_call)
	.section	.AMDGPU.csdata,"",@progbits
; Kernel info:
; codeLenInByte = 504
; TotalNumSgprs: 42
; NumVgprs: 53
; ScratchSize: 0
; MemoryBound: 0
; FloatMode: 240
; IeeeMode: 1
; LDSByteSize: 10240 bytes/workgroup (compile time only)
; SGPRBlocks: 0
; VGPRBlocks: 3
; NumSGPRsForWavesPerEU: 42
; NumVGPRsForWavesPerEU: 53
; NamedBarCnt: 0
; Occupancy: 16
; WaveLimiterHint : 0
; COMPUTE_PGM_RSRC2:SCRATCH_EN: 0
; COMPUTE_PGM_RSRC2:USER_SGPR: 4
; COMPUTE_PGM_RSRC2:TRAP_HANDLER: 0
; COMPUTE_PGM_RSRC2:TGID_X_EN: 1
; COMPUTE_PGM_RSRC2:TGID_Y_EN: 1
; COMPUTE_PGM_RSRC2:TGID_Z_EN: 0
; COMPUTE_PGM_RSRC2:TIDIG_COMP_CNT: 2
	.section	.text._ZN7rocprim17ROCPRIM_400000_NS6detail17trampoline_kernelINS0_14default_configENS1_36segmented_radix_sort_config_selectorIslEEZNS1_25segmented_radix_sort_implIS3_Lb1EPKsPsPKlPlN2at6native12_GLOBAL__N_18offset_tEEE10hipError_tPvRmT1_PNSt15iterator_traitsISK_E10value_typeET2_T3_PNSL_ISQ_E10value_typeET4_jRbjT5_SW_jjP12ihipStream_tbEUlT_E0_NS1_11comp_targetILNS1_3genE5ELNS1_11target_archE942ELNS1_3gpuE9ELNS1_3repE0EEENS1_60segmented_radix_sort_warp_sort_medium_config_static_selectorELNS0_4arch9wavefront6targetE0EEEvSK_,"axG",@progbits,_ZN7rocprim17ROCPRIM_400000_NS6detail17trampoline_kernelINS0_14default_configENS1_36segmented_radix_sort_config_selectorIslEEZNS1_25segmented_radix_sort_implIS3_Lb1EPKsPsPKlPlN2at6native12_GLOBAL__N_18offset_tEEE10hipError_tPvRmT1_PNSt15iterator_traitsISK_E10value_typeET2_T3_PNSL_ISQ_E10value_typeET4_jRbjT5_SW_jjP12ihipStream_tbEUlT_E0_NS1_11comp_targetILNS1_3genE5ELNS1_11target_archE942ELNS1_3gpuE9ELNS1_3repE0EEENS1_60segmented_radix_sort_warp_sort_medium_config_static_selectorELNS0_4arch9wavefront6targetE0EEEvSK_,comdat
	.globl	_ZN7rocprim17ROCPRIM_400000_NS6detail17trampoline_kernelINS0_14default_configENS1_36segmented_radix_sort_config_selectorIslEEZNS1_25segmented_radix_sort_implIS3_Lb1EPKsPsPKlPlN2at6native12_GLOBAL__N_18offset_tEEE10hipError_tPvRmT1_PNSt15iterator_traitsISK_E10value_typeET2_T3_PNSL_ISQ_E10value_typeET4_jRbjT5_SW_jjP12ihipStream_tbEUlT_E0_NS1_11comp_targetILNS1_3genE5ELNS1_11target_archE942ELNS1_3gpuE9ELNS1_3repE0EEENS1_60segmented_radix_sort_warp_sort_medium_config_static_selectorELNS0_4arch9wavefront6targetE0EEEvSK_ ; -- Begin function _ZN7rocprim17ROCPRIM_400000_NS6detail17trampoline_kernelINS0_14default_configENS1_36segmented_radix_sort_config_selectorIslEEZNS1_25segmented_radix_sort_implIS3_Lb1EPKsPsPKlPlN2at6native12_GLOBAL__N_18offset_tEEE10hipError_tPvRmT1_PNSt15iterator_traitsISK_E10value_typeET2_T3_PNSL_ISQ_E10value_typeET4_jRbjT5_SW_jjP12ihipStream_tbEUlT_E0_NS1_11comp_targetILNS1_3genE5ELNS1_11target_archE942ELNS1_3gpuE9ELNS1_3repE0EEENS1_60segmented_radix_sort_warp_sort_medium_config_static_selectorELNS0_4arch9wavefront6targetE0EEEvSK_
	.p2align	8
	.type	_ZN7rocprim17ROCPRIM_400000_NS6detail17trampoline_kernelINS0_14default_configENS1_36segmented_radix_sort_config_selectorIslEEZNS1_25segmented_radix_sort_implIS3_Lb1EPKsPsPKlPlN2at6native12_GLOBAL__N_18offset_tEEE10hipError_tPvRmT1_PNSt15iterator_traitsISK_E10value_typeET2_T3_PNSL_ISQ_E10value_typeET4_jRbjT5_SW_jjP12ihipStream_tbEUlT_E0_NS1_11comp_targetILNS1_3genE5ELNS1_11target_archE942ELNS1_3gpuE9ELNS1_3repE0EEENS1_60segmented_radix_sort_warp_sort_medium_config_static_selectorELNS0_4arch9wavefront6targetE0EEEvSK_,@function
_ZN7rocprim17ROCPRIM_400000_NS6detail17trampoline_kernelINS0_14default_configENS1_36segmented_radix_sort_config_selectorIslEEZNS1_25segmented_radix_sort_implIS3_Lb1EPKsPsPKlPlN2at6native12_GLOBAL__N_18offset_tEEE10hipError_tPvRmT1_PNSt15iterator_traitsISK_E10value_typeET2_T3_PNSL_ISQ_E10value_typeET4_jRbjT5_SW_jjP12ihipStream_tbEUlT_E0_NS1_11comp_targetILNS1_3genE5ELNS1_11target_archE942ELNS1_3gpuE9ELNS1_3repE0EEENS1_60segmented_radix_sort_warp_sort_medium_config_static_selectorELNS0_4arch9wavefront6targetE0EEEvSK_: ; @_ZN7rocprim17ROCPRIM_400000_NS6detail17trampoline_kernelINS0_14default_configENS1_36segmented_radix_sort_config_selectorIslEEZNS1_25segmented_radix_sort_implIS3_Lb1EPKsPsPKlPlN2at6native12_GLOBAL__N_18offset_tEEE10hipError_tPvRmT1_PNSt15iterator_traitsISK_E10value_typeET2_T3_PNSL_ISQ_E10value_typeET4_jRbjT5_SW_jjP12ihipStream_tbEUlT_E0_NS1_11comp_targetILNS1_3genE5ELNS1_11target_archE942ELNS1_3gpuE9ELNS1_3repE0EEENS1_60segmented_radix_sort_warp_sort_medium_config_static_selectorELNS0_4arch9wavefront6targetE0EEEvSK_
; %bb.0:
	.section	.rodata,"a",@progbits
	.p2align	6, 0x0
	.amdhsa_kernel _ZN7rocprim17ROCPRIM_400000_NS6detail17trampoline_kernelINS0_14default_configENS1_36segmented_radix_sort_config_selectorIslEEZNS1_25segmented_radix_sort_implIS3_Lb1EPKsPsPKlPlN2at6native12_GLOBAL__N_18offset_tEEE10hipError_tPvRmT1_PNSt15iterator_traitsISK_E10value_typeET2_T3_PNSL_ISQ_E10value_typeET4_jRbjT5_SW_jjP12ihipStream_tbEUlT_E0_NS1_11comp_targetILNS1_3genE5ELNS1_11target_archE942ELNS1_3gpuE9ELNS1_3repE0EEENS1_60segmented_radix_sort_warp_sort_medium_config_static_selectorELNS0_4arch9wavefront6targetE0EEEvSK_
		.amdhsa_group_segment_fixed_size 0
		.amdhsa_private_segment_fixed_size 0
		.amdhsa_kernarg_size 88
		.amdhsa_user_sgpr_count 2
		.amdhsa_user_sgpr_dispatch_ptr 0
		.amdhsa_user_sgpr_queue_ptr 0
		.amdhsa_user_sgpr_kernarg_segment_ptr 1
		.amdhsa_user_sgpr_dispatch_id 0
		.amdhsa_user_sgpr_kernarg_preload_length 0
		.amdhsa_user_sgpr_kernarg_preload_offset 0
		.amdhsa_user_sgpr_private_segment_size 0
		.amdhsa_wavefront_size32 1
		.amdhsa_uses_dynamic_stack 0
		.amdhsa_enable_private_segment 0
		.amdhsa_system_sgpr_workgroup_id_x 1
		.amdhsa_system_sgpr_workgroup_id_y 0
		.amdhsa_system_sgpr_workgroup_id_z 0
		.amdhsa_system_sgpr_workgroup_info 0
		.amdhsa_system_vgpr_workitem_id 0
		.amdhsa_next_free_vgpr 1
		.amdhsa_next_free_sgpr 1
		.amdhsa_named_barrier_count 0
		.amdhsa_reserve_vcc 0
		.amdhsa_float_round_mode_32 0
		.amdhsa_float_round_mode_16_64 0
		.amdhsa_float_denorm_mode_32 3
		.amdhsa_float_denorm_mode_16_64 3
		.amdhsa_fp16_overflow 0
		.amdhsa_memory_ordered 1
		.amdhsa_forward_progress 1
		.amdhsa_inst_pref_size 0
		.amdhsa_round_robin_scheduling 0
		.amdhsa_exception_fp_ieee_invalid_op 0
		.amdhsa_exception_fp_denorm_src 0
		.amdhsa_exception_fp_ieee_div_zero 0
		.amdhsa_exception_fp_ieee_overflow 0
		.amdhsa_exception_fp_ieee_underflow 0
		.amdhsa_exception_fp_ieee_inexact 0
		.amdhsa_exception_int_div_zero 0
	.end_amdhsa_kernel
	.section	.text._ZN7rocprim17ROCPRIM_400000_NS6detail17trampoline_kernelINS0_14default_configENS1_36segmented_radix_sort_config_selectorIslEEZNS1_25segmented_radix_sort_implIS3_Lb1EPKsPsPKlPlN2at6native12_GLOBAL__N_18offset_tEEE10hipError_tPvRmT1_PNSt15iterator_traitsISK_E10value_typeET2_T3_PNSL_ISQ_E10value_typeET4_jRbjT5_SW_jjP12ihipStream_tbEUlT_E0_NS1_11comp_targetILNS1_3genE5ELNS1_11target_archE942ELNS1_3gpuE9ELNS1_3repE0EEENS1_60segmented_radix_sort_warp_sort_medium_config_static_selectorELNS0_4arch9wavefront6targetE0EEEvSK_,"axG",@progbits,_ZN7rocprim17ROCPRIM_400000_NS6detail17trampoline_kernelINS0_14default_configENS1_36segmented_radix_sort_config_selectorIslEEZNS1_25segmented_radix_sort_implIS3_Lb1EPKsPsPKlPlN2at6native12_GLOBAL__N_18offset_tEEE10hipError_tPvRmT1_PNSt15iterator_traitsISK_E10value_typeET2_T3_PNSL_ISQ_E10value_typeET4_jRbjT5_SW_jjP12ihipStream_tbEUlT_E0_NS1_11comp_targetILNS1_3genE5ELNS1_11target_archE942ELNS1_3gpuE9ELNS1_3repE0EEENS1_60segmented_radix_sort_warp_sort_medium_config_static_selectorELNS0_4arch9wavefront6targetE0EEEvSK_,comdat
.Lfunc_end919:
	.size	_ZN7rocprim17ROCPRIM_400000_NS6detail17trampoline_kernelINS0_14default_configENS1_36segmented_radix_sort_config_selectorIslEEZNS1_25segmented_radix_sort_implIS3_Lb1EPKsPsPKlPlN2at6native12_GLOBAL__N_18offset_tEEE10hipError_tPvRmT1_PNSt15iterator_traitsISK_E10value_typeET2_T3_PNSL_ISQ_E10value_typeET4_jRbjT5_SW_jjP12ihipStream_tbEUlT_E0_NS1_11comp_targetILNS1_3genE5ELNS1_11target_archE942ELNS1_3gpuE9ELNS1_3repE0EEENS1_60segmented_radix_sort_warp_sort_medium_config_static_selectorELNS0_4arch9wavefront6targetE0EEEvSK_, .Lfunc_end919-_ZN7rocprim17ROCPRIM_400000_NS6detail17trampoline_kernelINS0_14default_configENS1_36segmented_radix_sort_config_selectorIslEEZNS1_25segmented_radix_sort_implIS3_Lb1EPKsPsPKlPlN2at6native12_GLOBAL__N_18offset_tEEE10hipError_tPvRmT1_PNSt15iterator_traitsISK_E10value_typeET2_T3_PNSL_ISQ_E10value_typeET4_jRbjT5_SW_jjP12ihipStream_tbEUlT_E0_NS1_11comp_targetILNS1_3genE5ELNS1_11target_archE942ELNS1_3gpuE9ELNS1_3repE0EEENS1_60segmented_radix_sort_warp_sort_medium_config_static_selectorELNS0_4arch9wavefront6targetE0EEEvSK_
                                        ; -- End function
	.set _ZN7rocprim17ROCPRIM_400000_NS6detail17trampoline_kernelINS0_14default_configENS1_36segmented_radix_sort_config_selectorIslEEZNS1_25segmented_radix_sort_implIS3_Lb1EPKsPsPKlPlN2at6native12_GLOBAL__N_18offset_tEEE10hipError_tPvRmT1_PNSt15iterator_traitsISK_E10value_typeET2_T3_PNSL_ISQ_E10value_typeET4_jRbjT5_SW_jjP12ihipStream_tbEUlT_E0_NS1_11comp_targetILNS1_3genE5ELNS1_11target_archE942ELNS1_3gpuE9ELNS1_3repE0EEENS1_60segmented_radix_sort_warp_sort_medium_config_static_selectorELNS0_4arch9wavefront6targetE0EEEvSK_.num_vgpr, 0
	.set _ZN7rocprim17ROCPRIM_400000_NS6detail17trampoline_kernelINS0_14default_configENS1_36segmented_radix_sort_config_selectorIslEEZNS1_25segmented_radix_sort_implIS3_Lb1EPKsPsPKlPlN2at6native12_GLOBAL__N_18offset_tEEE10hipError_tPvRmT1_PNSt15iterator_traitsISK_E10value_typeET2_T3_PNSL_ISQ_E10value_typeET4_jRbjT5_SW_jjP12ihipStream_tbEUlT_E0_NS1_11comp_targetILNS1_3genE5ELNS1_11target_archE942ELNS1_3gpuE9ELNS1_3repE0EEENS1_60segmented_radix_sort_warp_sort_medium_config_static_selectorELNS0_4arch9wavefront6targetE0EEEvSK_.num_agpr, 0
	.set _ZN7rocprim17ROCPRIM_400000_NS6detail17trampoline_kernelINS0_14default_configENS1_36segmented_radix_sort_config_selectorIslEEZNS1_25segmented_radix_sort_implIS3_Lb1EPKsPsPKlPlN2at6native12_GLOBAL__N_18offset_tEEE10hipError_tPvRmT1_PNSt15iterator_traitsISK_E10value_typeET2_T3_PNSL_ISQ_E10value_typeET4_jRbjT5_SW_jjP12ihipStream_tbEUlT_E0_NS1_11comp_targetILNS1_3genE5ELNS1_11target_archE942ELNS1_3gpuE9ELNS1_3repE0EEENS1_60segmented_radix_sort_warp_sort_medium_config_static_selectorELNS0_4arch9wavefront6targetE0EEEvSK_.numbered_sgpr, 0
	.set _ZN7rocprim17ROCPRIM_400000_NS6detail17trampoline_kernelINS0_14default_configENS1_36segmented_radix_sort_config_selectorIslEEZNS1_25segmented_radix_sort_implIS3_Lb1EPKsPsPKlPlN2at6native12_GLOBAL__N_18offset_tEEE10hipError_tPvRmT1_PNSt15iterator_traitsISK_E10value_typeET2_T3_PNSL_ISQ_E10value_typeET4_jRbjT5_SW_jjP12ihipStream_tbEUlT_E0_NS1_11comp_targetILNS1_3genE5ELNS1_11target_archE942ELNS1_3gpuE9ELNS1_3repE0EEENS1_60segmented_radix_sort_warp_sort_medium_config_static_selectorELNS0_4arch9wavefront6targetE0EEEvSK_.num_named_barrier, 0
	.set _ZN7rocprim17ROCPRIM_400000_NS6detail17trampoline_kernelINS0_14default_configENS1_36segmented_radix_sort_config_selectorIslEEZNS1_25segmented_radix_sort_implIS3_Lb1EPKsPsPKlPlN2at6native12_GLOBAL__N_18offset_tEEE10hipError_tPvRmT1_PNSt15iterator_traitsISK_E10value_typeET2_T3_PNSL_ISQ_E10value_typeET4_jRbjT5_SW_jjP12ihipStream_tbEUlT_E0_NS1_11comp_targetILNS1_3genE5ELNS1_11target_archE942ELNS1_3gpuE9ELNS1_3repE0EEENS1_60segmented_radix_sort_warp_sort_medium_config_static_selectorELNS0_4arch9wavefront6targetE0EEEvSK_.private_seg_size, 0
	.set _ZN7rocprim17ROCPRIM_400000_NS6detail17trampoline_kernelINS0_14default_configENS1_36segmented_radix_sort_config_selectorIslEEZNS1_25segmented_radix_sort_implIS3_Lb1EPKsPsPKlPlN2at6native12_GLOBAL__N_18offset_tEEE10hipError_tPvRmT1_PNSt15iterator_traitsISK_E10value_typeET2_T3_PNSL_ISQ_E10value_typeET4_jRbjT5_SW_jjP12ihipStream_tbEUlT_E0_NS1_11comp_targetILNS1_3genE5ELNS1_11target_archE942ELNS1_3gpuE9ELNS1_3repE0EEENS1_60segmented_radix_sort_warp_sort_medium_config_static_selectorELNS0_4arch9wavefront6targetE0EEEvSK_.uses_vcc, 0
	.set _ZN7rocprim17ROCPRIM_400000_NS6detail17trampoline_kernelINS0_14default_configENS1_36segmented_radix_sort_config_selectorIslEEZNS1_25segmented_radix_sort_implIS3_Lb1EPKsPsPKlPlN2at6native12_GLOBAL__N_18offset_tEEE10hipError_tPvRmT1_PNSt15iterator_traitsISK_E10value_typeET2_T3_PNSL_ISQ_E10value_typeET4_jRbjT5_SW_jjP12ihipStream_tbEUlT_E0_NS1_11comp_targetILNS1_3genE5ELNS1_11target_archE942ELNS1_3gpuE9ELNS1_3repE0EEENS1_60segmented_radix_sort_warp_sort_medium_config_static_selectorELNS0_4arch9wavefront6targetE0EEEvSK_.uses_flat_scratch, 0
	.set _ZN7rocprim17ROCPRIM_400000_NS6detail17trampoline_kernelINS0_14default_configENS1_36segmented_radix_sort_config_selectorIslEEZNS1_25segmented_radix_sort_implIS3_Lb1EPKsPsPKlPlN2at6native12_GLOBAL__N_18offset_tEEE10hipError_tPvRmT1_PNSt15iterator_traitsISK_E10value_typeET2_T3_PNSL_ISQ_E10value_typeET4_jRbjT5_SW_jjP12ihipStream_tbEUlT_E0_NS1_11comp_targetILNS1_3genE5ELNS1_11target_archE942ELNS1_3gpuE9ELNS1_3repE0EEENS1_60segmented_radix_sort_warp_sort_medium_config_static_selectorELNS0_4arch9wavefront6targetE0EEEvSK_.has_dyn_sized_stack, 0
	.set _ZN7rocprim17ROCPRIM_400000_NS6detail17trampoline_kernelINS0_14default_configENS1_36segmented_radix_sort_config_selectorIslEEZNS1_25segmented_radix_sort_implIS3_Lb1EPKsPsPKlPlN2at6native12_GLOBAL__N_18offset_tEEE10hipError_tPvRmT1_PNSt15iterator_traitsISK_E10value_typeET2_T3_PNSL_ISQ_E10value_typeET4_jRbjT5_SW_jjP12ihipStream_tbEUlT_E0_NS1_11comp_targetILNS1_3genE5ELNS1_11target_archE942ELNS1_3gpuE9ELNS1_3repE0EEENS1_60segmented_radix_sort_warp_sort_medium_config_static_selectorELNS0_4arch9wavefront6targetE0EEEvSK_.has_recursion, 0
	.set _ZN7rocprim17ROCPRIM_400000_NS6detail17trampoline_kernelINS0_14default_configENS1_36segmented_radix_sort_config_selectorIslEEZNS1_25segmented_radix_sort_implIS3_Lb1EPKsPsPKlPlN2at6native12_GLOBAL__N_18offset_tEEE10hipError_tPvRmT1_PNSt15iterator_traitsISK_E10value_typeET2_T3_PNSL_ISQ_E10value_typeET4_jRbjT5_SW_jjP12ihipStream_tbEUlT_E0_NS1_11comp_targetILNS1_3genE5ELNS1_11target_archE942ELNS1_3gpuE9ELNS1_3repE0EEENS1_60segmented_radix_sort_warp_sort_medium_config_static_selectorELNS0_4arch9wavefront6targetE0EEEvSK_.has_indirect_call, 0
	.section	.AMDGPU.csdata,"",@progbits
; Kernel info:
; codeLenInByte = 0
; TotalNumSgprs: 0
; NumVgprs: 0
; ScratchSize: 0
; MemoryBound: 0
; FloatMode: 240
; IeeeMode: 1
; LDSByteSize: 0 bytes/workgroup (compile time only)
; SGPRBlocks: 0
; VGPRBlocks: 0
; NumSGPRsForWavesPerEU: 1
; NumVGPRsForWavesPerEU: 1
; NamedBarCnt: 0
; Occupancy: 16
; WaveLimiterHint : 0
; COMPUTE_PGM_RSRC2:SCRATCH_EN: 0
; COMPUTE_PGM_RSRC2:USER_SGPR: 2
; COMPUTE_PGM_RSRC2:TRAP_HANDLER: 0
; COMPUTE_PGM_RSRC2:TGID_X_EN: 1
; COMPUTE_PGM_RSRC2:TGID_Y_EN: 0
; COMPUTE_PGM_RSRC2:TGID_Z_EN: 0
; COMPUTE_PGM_RSRC2:TIDIG_COMP_CNT: 0
	.section	.text._ZN7rocprim17ROCPRIM_400000_NS6detail17trampoline_kernelINS0_14default_configENS1_36segmented_radix_sort_config_selectorIslEEZNS1_25segmented_radix_sort_implIS3_Lb1EPKsPsPKlPlN2at6native12_GLOBAL__N_18offset_tEEE10hipError_tPvRmT1_PNSt15iterator_traitsISK_E10value_typeET2_T3_PNSL_ISQ_E10value_typeET4_jRbjT5_SW_jjP12ihipStream_tbEUlT_E0_NS1_11comp_targetILNS1_3genE4ELNS1_11target_archE910ELNS1_3gpuE8ELNS1_3repE0EEENS1_60segmented_radix_sort_warp_sort_medium_config_static_selectorELNS0_4arch9wavefront6targetE0EEEvSK_,"axG",@progbits,_ZN7rocprim17ROCPRIM_400000_NS6detail17trampoline_kernelINS0_14default_configENS1_36segmented_radix_sort_config_selectorIslEEZNS1_25segmented_radix_sort_implIS3_Lb1EPKsPsPKlPlN2at6native12_GLOBAL__N_18offset_tEEE10hipError_tPvRmT1_PNSt15iterator_traitsISK_E10value_typeET2_T3_PNSL_ISQ_E10value_typeET4_jRbjT5_SW_jjP12ihipStream_tbEUlT_E0_NS1_11comp_targetILNS1_3genE4ELNS1_11target_archE910ELNS1_3gpuE8ELNS1_3repE0EEENS1_60segmented_radix_sort_warp_sort_medium_config_static_selectorELNS0_4arch9wavefront6targetE0EEEvSK_,comdat
	.globl	_ZN7rocprim17ROCPRIM_400000_NS6detail17trampoline_kernelINS0_14default_configENS1_36segmented_radix_sort_config_selectorIslEEZNS1_25segmented_radix_sort_implIS3_Lb1EPKsPsPKlPlN2at6native12_GLOBAL__N_18offset_tEEE10hipError_tPvRmT1_PNSt15iterator_traitsISK_E10value_typeET2_T3_PNSL_ISQ_E10value_typeET4_jRbjT5_SW_jjP12ihipStream_tbEUlT_E0_NS1_11comp_targetILNS1_3genE4ELNS1_11target_archE910ELNS1_3gpuE8ELNS1_3repE0EEENS1_60segmented_radix_sort_warp_sort_medium_config_static_selectorELNS0_4arch9wavefront6targetE0EEEvSK_ ; -- Begin function _ZN7rocprim17ROCPRIM_400000_NS6detail17trampoline_kernelINS0_14default_configENS1_36segmented_radix_sort_config_selectorIslEEZNS1_25segmented_radix_sort_implIS3_Lb1EPKsPsPKlPlN2at6native12_GLOBAL__N_18offset_tEEE10hipError_tPvRmT1_PNSt15iterator_traitsISK_E10value_typeET2_T3_PNSL_ISQ_E10value_typeET4_jRbjT5_SW_jjP12ihipStream_tbEUlT_E0_NS1_11comp_targetILNS1_3genE4ELNS1_11target_archE910ELNS1_3gpuE8ELNS1_3repE0EEENS1_60segmented_radix_sort_warp_sort_medium_config_static_selectorELNS0_4arch9wavefront6targetE0EEEvSK_
	.p2align	8
	.type	_ZN7rocprim17ROCPRIM_400000_NS6detail17trampoline_kernelINS0_14default_configENS1_36segmented_radix_sort_config_selectorIslEEZNS1_25segmented_radix_sort_implIS3_Lb1EPKsPsPKlPlN2at6native12_GLOBAL__N_18offset_tEEE10hipError_tPvRmT1_PNSt15iterator_traitsISK_E10value_typeET2_T3_PNSL_ISQ_E10value_typeET4_jRbjT5_SW_jjP12ihipStream_tbEUlT_E0_NS1_11comp_targetILNS1_3genE4ELNS1_11target_archE910ELNS1_3gpuE8ELNS1_3repE0EEENS1_60segmented_radix_sort_warp_sort_medium_config_static_selectorELNS0_4arch9wavefront6targetE0EEEvSK_,@function
_ZN7rocprim17ROCPRIM_400000_NS6detail17trampoline_kernelINS0_14default_configENS1_36segmented_radix_sort_config_selectorIslEEZNS1_25segmented_radix_sort_implIS3_Lb1EPKsPsPKlPlN2at6native12_GLOBAL__N_18offset_tEEE10hipError_tPvRmT1_PNSt15iterator_traitsISK_E10value_typeET2_T3_PNSL_ISQ_E10value_typeET4_jRbjT5_SW_jjP12ihipStream_tbEUlT_E0_NS1_11comp_targetILNS1_3genE4ELNS1_11target_archE910ELNS1_3gpuE8ELNS1_3repE0EEENS1_60segmented_radix_sort_warp_sort_medium_config_static_selectorELNS0_4arch9wavefront6targetE0EEEvSK_: ; @_ZN7rocprim17ROCPRIM_400000_NS6detail17trampoline_kernelINS0_14default_configENS1_36segmented_radix_sort_config_selectorIslEEZNS1_25segmented_radix_sort_implIS3_Lb1EPKsPsPKlPlN2at6native12_GLOBAL__N_18offset_tEEE10hipError_tPvRmT1_PNSt15iterator_traitsISK_E10value_typeET2_T3_PNSL_ISQ_E10value_typeET4_jRbjT5_SW_jjP12ihipStream_tbEUlT_E0_NS1_11comp_targetILNS1_3genE4ELNS1_11target_archE910ELNS1_3gpuE8ELNS1_3repE0EEENS1_60segmented_radix_sort_warp_sort_medium_config_static_selectorELNS0_4arch9wavefront6targetE0EEEvSK_
; %bb.0:
	.section	.rodata,"a",@progbits
	.p2align	6, 0x0
	.amdhsa_kernel _ZN7rocprim17ROCPRIM_400000_NS6detail17trampoline_kernelINS0_14default_configENS1_36segmented_radix_sort_config_selectorIslEEZNS1_25segmented_radix_sort_implIS3_Lb1EPKsPsPKlPlN2at6native12_GLOBAL__N_18offset_tEEE10hipError_tPvRmT1_PNSt15iterator_traitsISK_E10value_typeET2_T3_PNSL_ISQ_E10value_typeET4_jRbjT5_SW_jjP12ihipStream_tbEUlT_E0_NS1_11comp_targetILNS1_3genE4ELNS1_11target_archE910ELNS1_3gpuE8ELNS1_3repE0EEENS1_60segmented_radix_sort_warp_sort_medium_config_static_selectorELNS0_4arch9wavefront6targetE0EEEvSK_
		.amdhsa_group_segment_fixed_size 0
		.amdhsa_private_segment_fixed_size 0
		.amdhsa_kernarg_size 88
		.amdhsa_user_sgpr_count 2
		.amdhsa_user_sgpr_dispatch_ptr 0
		.amdhsa_user_sgpr_queue_ptr 0
		.amdhsa_user_sgpr_kernarg_segment_ptr 1
		.amdhsa_user_sgpr_dispatch_id 0
		.amdhsa_user_sgpr_kernarg_preload_length 0
		.amdhsa_user_sgpr_kernarg_preload_offset 0
		.amdhsa_user_sgpr_private_segment_size 0
		.amdhsa_wavefront_size32 1
		.amdhsa_uses_dynamic_stack 0
		.amdhsa_enable_private_segment 0
		.amdhsa_system_sgpr_workgroup_id_x 1
		.amdhsa_system_sgpr_workgroup_id_y 0
		.amdhsa_system_sgpr_workgroup_id_z 0
		.amdhsa_system_sgpr_workgroup_info 0
		.amdhsa_system_vgpr_workitem_id 0
		.amdhsa_next_free_vgpr 1
		.amdhsa_next_free_sgpr 1
		.amdhsa_named_barrier_count 0
		.amdhsa_reserve_vcc 0
		.amdhsa_float_round_mode_32 0
		.amdhsa_float_round_mode_16_64 0
		.amdhsa_float_denorm_mode_32 3
		.amdhsa_float_denorm_mode_16_64 3
		.amdhsa_fp16_overflow 0
		.amdhsa_memory_ordered 1
		.amdhsa_forward_progress 1
		.amdhsa_inst_pref_size 0
		.amdhsa_round_robin_scheduling 0
		.amdhsa_exception_fp_ieee_invalid_op 0
		.amdhsa_exception_fp_denorm_src 0
		.amdhsa_exception_fp_ieee_div_zero 0
		.amdhsa_exception_fp_ieee_overflow 0
		.amdhsa_exception_fp_ieee_underflow 0
		.amdhsa_exception_fp_ieee_inexact 0
		.amdhsa_exception_int_div_zero 0
	.end_amdhsa_kernel
	.section	.text._ZN7rocprim17ROCPRIM_400000_NS6detail17trampoline_kernelINS0_14default_configENS1_36segmented_radix_sort_config_selectorIslEEZNS1_25segmented_radix_sort_implIS3_Lb1EPKsPsPKlPlN2at6native12_GLOBAL__N_18offset_tEEE10hipError_tPvRmT1_PNSt15iterator_traitsISK_E10value_typeET2_T3_PNSL_ISQ_E10value_typeET4_jRbjT5_SW_jjP12ihipStream_tbEUlT_E0_NS1_11comp_targetILNS1_3genE4ELNS1_11target_archE910ELNS1_3gpuE8ELNS1_3repE0EEENS1_60segmented_radix_sort_warp_sort_medium_config_static_selectorELNS0_4arch9wavefront6targetE0EEEvSK_,"axG",@progbits,_ZN7rocprim17ROCPRIM_400000_NS6detail17trampoline_kernelINS0_14default_configENS1_36segmented_radix_sort_config_selectorIslEEZNS1_25segmented_radix_sort_implIS3_Lb1EPKsPsPKlPlN2at6native12_GLOBAL__N_18offset_tEEE10hipError_tPvRmT1_PNSt15iterator_traitsISK_E10value_typeET2_T3_PNSL_ISQ_E10value_typeET4_jRbjT5_SW_jjP12ihipStream_tbEUlT_E0_NS1_11comp_targetILNS1_3genE4ELNS1_11target_archE910ELNS1_3gpuE8ELNS1_3repE0EEENS1_60segmented_radix_sort_warp_sort_medium_config_static_selectorELNS0_4arch9wavefront6targetE0EEEvSK_,comdat
.Lfunc_end920:
	.size	_ZN7rocprim17ROCPRIM_400000_NS6detail17trampoline_kernelINS0_14default_configENS1_36segmented_radix_sort_config_selectorIslEEZNS1_25segmented_radix_sort_implIS3_Lb1EPKsPsPKlPlN2at6native12_GLOBAL__N_18offset_tEEE10hipError_tPvRmT1_PNSt15iterator_traitsISK_E10value_typeET2_T3_PNSL_ISQ_E10value_typeET4_jRbjT5_SW_jjP12ihipStream_tbEUlT_E0_NS1_11comp_targetILNS1_3genE4ELNS1_11target_archE910ELNS1_3gpuE8ELNS1_3repE0EEENS1_60segmented_radix_sort_warp_sort_medium_config_static_selectorELNS0_4arch9wavefront6targetE0EEEvSK_, .Lfunc_end920-_ZN7rocprim17ROCPRIM_400000_NS6detail17trampoline_kernelINS0_14default_configENS1_36segmented_radix_sort_config_selectorIslEEZNS1_25segmented_radix_sort_implIS3_Lb1EPKsPsPKlPlN2at6native12_GLOBAL__N_18offset_tEEE10hipError_tPvRmT1_PNSt15iterator_traitsISK_E10value_typeET2_T3_PNSL_ISQ_E10value_typeET4_jRbjT5_SW_jjP12ihipStream_tbEUlT_E0_NS1_11comp_targetILNS1_3genE4ELNS1_11target_archE910ELNS1_3gpuE8ELNS1_3repE0EEENS1_60segmented_radix_sort_warp_sort_medium_config_static_selectorELNS0_4arch9wavefront6targetE0EEEvSK_
                                        ; -- End function
	.set _ZN7rocprim17ROCPRIM_400000_NS6detail17trampoline_kernelINS0_14default_configENS1_36segmented_radix_sort_config_selectorIslEEZNS1_25segmented_radix_sort_implIS3_Lb1EPKsPsPKlPlN2at6native12_GLOBAL__N_18offset_tEEE10hipError_tPvRmT1_PNSt15iterator_traitsISK_E10value_typeET2_T3_PNSL_ISQ_E10value_typeET4_jRbjT5_SW_jjP12ihipStream_tbEUlT_E0_NS1_11comp_targetILNS1_3genE4ELNS1_11target_archE910ELNS1_3gpuE8ELNS1_3repE0EEENS1_60segmented_radix_sort_warp_sort_medium_config_static_selectorELNS0_4arch9wavefront6targetE0EEEvSK_.num_vgpr, 0
	.set _ZN7rocprim17ROCPRIM_400000_NS6detail17trampoline_kernelINS0_14default_configENS1_36segmented_radix_sort_config_selectorIslEEZNS1_25segmented_radix_sort_implIS3_Lb1EPKsPsPKlPlN2at6native12_GLOBAL__N_18offset_tEEE10hipError_tPvRmT1_PNSt15iterator_traitsISK_E10value_typeET2_T3_PNSL_ISQ_E10value_typeET4_jRbjT5_SW_jjP12ihipStream_tbEUlT_E0_NS1_11comp_targetILNS1_3genE4ELNS1_11target_archE910ELNS1_3gpuE8ELNS1_3repE0EEENS1_60segmented_radix_sort_warp_sort_medium_config_static_selectorELNS0_4arch9wavefront6targetE0EEEvSK_.num_agpr, 0
	.set _ZN7rocprim17ROCPRIM_400000_NS6detail17trampoline_kernelINS0_14default_configENS1_36segmented_radix_sort_config_selectorIslEEZNS1_25segmented_radix_sort_implIS3_Lb1EPKsPsPKlPlN2at6native12_GLOBAL__N_18offset_tEEE10hipError_tPvRmT1_PNSt15iterator_traitsISK_E10value_typeET2_T3_PNSL_ISQ_E10value_typeET4_jRbjT5_SW_jjP12ihipStream_tbEUlT_E0_NS1_11comp_targetILNS1_3genE4ELNS1_11target_archE910ELNS1_3gpuE8ELNS1_3repE0EEENS1_60segmented_radix_sort_warp_sort_medium_config_static_selectorELNS0_4arch9wavefront6targetE0EEEvSK_.numbered_sgpr, 0
	.set _ZN7rocprim17ROCPRIM_400000_NS6detail17trampoline_kernelINS0_14default_configENS1_36segmented_radix_sort_config_selectorIslEEZNS1_25segmented_radix_sort_implIS3_Lb1EPKsPsPKlPlN2at6native12_GLOBAL__N_18offset_tEEE10hipError_tPvRmT1_PNSt15iterator_traitsISK_E10value_typeET2_T3_PNSL_ISQ_E10value_typeET4_jRbjT5_SW_jjP12ihipStream_tbEUlT_E0_NS1_11comp_targetILNS1_3genE4ELNS1_11target_archE910ELNS1_3gpuE8ELNS1_3repE0EEENS1_60segmented_radix_sort_warp_sort_medium_config_static_selectorELNS0_4arch9wavefront6targetE0EEEvSK_.num_named_barrier, 0
	.set _ZN7rocprim17ROCPRIM_400000_NS6detail17trampoline_kernelINS0_14default_configENS1_36segmented_radix_sort_config_selectorIslEEZNS1_25segmented_radix_sort_implIS3_Lb1EPKsPsPKlPlN2at6native12_GLOBAL__N_18offset_tEEE10hipError_tPvRmT1_PNSt15iterator_traitsISK_E10value_typeET2_T3_PNSL_ISQ_E10value_typeET4_jRbjT5_SW_jjP12ihipStream_tbEUlT_E0_NS1_11comp_targetILNS1_3genE4ELNS1_11target_archE910ELNS1_3gpuE8ELNS1_3repE0EEENS1_60segmented_radix_sort_warp_sort_medium_config_static_selectorELNS0_4arch9wavefront6targetE0EEEvSK_.private_seg_size, 0
	.set _ZN7rocprim17ROCPRIM_400000_NS6detail17trampoline_kernelINS0_14default_configENS1_36segmented_radix_sort_config_selectorIslEEZNS1_25segmented_radix_sort_implIS3_Lb1EPKsPsPKlPlN2at6native12_GLOBAL__N_18offset_tEEE10hipError_tPvRmT1_PNSt15iterator_traitsISK_E10value_typeET2_T3_PNSL_ISQ_E10value_typeET4_jRbjT5_SW_jjP12ihipStream_tbEUlT_E0_NS1_11comp_targetILNS1_3genE4ELNS1_11target_archE910ELNS1_3gpuE8ELNS1_3repE0EEENS1_60segmented_radix_sort_warp_sort_medium_config_static_selectorELNS0_4arch9wavefront6targetE0EEEvSK_.uses_vcc, 0
	.set _ZN7rocprim17ROCPRIM_400000_NS6detail17trampoline_kernelINS0_14default_configENS1_36segmented_radix_sort_config_selectorIslEEZNS1_25segmented_radix_sort_implIS3_Lb1EPKsPsPKlPlN2at6native12_GLOBAL__N_18offset_tEEE10hipError_tPvRmT1_PNSt15iterator_traitsISK_E10value_typeET2_T3_PNSL_ISQ_E10value_typeET4_jRbjT5_SW_jjP12ihipStream_tbEUlT_E0_NS1_11comp_targetILNS1_3genE4ELNS1_11target_archE910ELNS1_3gpuE8ELNS1_3repE0EEENS1_60segmented_radix_sort_warp_sort_medium_config_static_selectorELNS0_4arch9wavefront6targetE0EEEvSK_.uses_flat_scratch, 0
	.set _ZN7rocprim17ROCPRIM_400000_NS6detail17trampoline_kernelINS0_14default_configENS1_36segmented_radix_sort_config_selectorIslEEZNS1_25segmented_radix_sort_implIS3_Lb1EPKsPsPKlPlN2at6native12_GLOBAL__N_18offset_tEEE10hipError_tPvRmT1_PNSt15iterator_traitsISK_E10value_typeET2_T3_PNSL_ISQ_E10value_typeET4_jRbjT5_SW_jjP12ihipStream_tbEUlT_E0_NS1_11comp_targetILNS1_3genE4ELNS1_11target_archE910ELNS1_3gpuE8ELNS1_3repE0EEENS1_60segmented_radix_sort_warp_sort_medium_config_static_selectorELNS0_4arch9wavefront6targetE0EEEvSK_.has_dyn_sized_stack, 0
	.set _ZN7rocprim17ROCPRIM_400000_NS6detail17trampoline_kernelINS0_14default_configENS1_36segmented_radix_sort_config_selectorIslEEZNS1_25segmented_radix_sort_implIS3_Lb1EPKsPsPKlPlN2at6native12_GLOBAL__N_18offset_tEEE10hipError_tPvRmT1_PNSt15iterator_traitsISK_E10value_typeET2_T3_PNSL_ISQ_E10value_typeET4_jRbjT5_SW_jjP12ihipStream_tbEUlT_E0_NS1_11comp_targetILNS1_3genE4ELNS1_11target_archE910ELNS1_3gpuE8ELNS1_3repE0EEENS1_60segmented_radix_sort_warp_sort_medium_config_static_selectorELNS0_4arch9wavefront6targetE0EEEvSK_.has_recursion, 0
	.set _ZN7rocprim17ROCPRIM_400000_NS6detail17trampoline_kernelINS0_14default_configENS1_36segmented_radix_sort_config_selectorIslEEZNS1_25segmented_radix_sort_implIS3_Lb1EPKsPsPKlPlN2at6native12_GLOBAL__N_18offset_tEEE10hipError_tPvRmT1_PNSt15iterator_traitsISK_E10value_typeET2_T3_PNSL_ISQ_E10value_typeET4_jRbjT5_SW_jjP12ihipStream_tbEUlT_E0_NS1_11comp_targetILNS1_3genE4ELNS1_11target_archE910ELNS1_3gpuE8ELNS1_3repE0EEENS1_60segmented_radix_sort_warp_sort_medium_config_static_selectorELNS0_4arch9wavefront6targetE0EEEvSK_.has_indirect_call, 0
	.section	.AMDGPU.csdata,"",@progbits
; Kernel info:
; codeLenInByte = 0
; TotalNumSgprs: 0
; NumVgprs: 0
; ScratchSize: 0
; MemoryBound: 0
; FloatMode: 240
; IeeeMode: 1
; LDSByteSize: 0 bytes/workgroup (compile time only)
; SGPRBlocks: 0
; VGPRBlocks: 0
; NumSGPRsForWavesPerEU: 1
; NumVGPRsForWavesPerEU: 1
; NamedBarCnt: 0
; Occupancy: 16
; WaveLimiterHint : 0
; COMPUTE_PGM_RSRC2:SCRATCH_EN: 0
; COMPUTE_PGM_RSRC2:USER_SGPR: 2
; COMPUTE_PGM_RSRC2:TRAP_HANDLER: 0
; COMPUTE_PGM_RSRC2:TGID_X_EN: 1
; COMPUTE_PGM_RSRC2:TGID_Y_EN: 0
; COMPUTE_PGM_RSRC2:TGID_Z_EN: 0
; COMPUTE_PGM_RSRC2:TIDIG_COMP_CNT: 0
	.section	.text._ZN7rocprim17ROCPRIM_400000_NS6detail17trampoline_kernelINS0_14default_configENS1_36segmented_radix_sort_config_selectorIslEEZNS1_25segmented_radix_sort_implIS3_Lb1EPKsPsPKlPlN2at6native12_GLOBAL__N_18offset_tEEE10hipError_tPvRmT1_PNSt15iterator_traitsISK_E10value_typeET2_T3_PNSL_ISQ_E10value_typeET4_jRbjT5_SW_jjP12ihipStream_tbEUlT_E0_NS1_11comp_targetILNS1_3genE3ELNS1_11target_archE908ELNS1_3gpuE7ELNS1_3repE0EEENS1_60segmented_radix_sort_warp_sort_medium_config_static_selectorELNS0_4arch9wavefront6targetE0EEEvSK_,"axG",@progbits,_ZN7rocprim17ROCPRIM_400000_NS6detail17trampoline_kernelINS0_14default_configENS1_36segmented_radix_sort_config_selectorIslEEZNS1_25segmented_radix_sort_implIS3_Lb1EPKsPsPKlPlN2at6native12_GLOBAL__N_18offset_tEEE10hipError_tPvRmT1_PNSt15iterator_traitsISK_E10value_typeET2_T3_PNSL_ISQ_E10value_typeET4_jRbjT5_SW_jjP12ihipStream_tbEUlT_E0_NS1_11comp_targetILNS1_3genE3ELNS1_11target_archE908ELNS1_3gpuE7ELNS1_3repE0EEENS1_60segmented_radix_sort_warp_sort_medium_config_static_selectorELNS0_4arch9wavefront6targetE0EEEvSK_,comdat
	.globl	_ZN7rocprim17ROCPRIM_400000_NS6detail17trampoline_kernelINS0_14default_configENS1_36segmented_radix_sort_config_selectorIslEEZNS1_25segmented_radix_sort_implIS3_Lb1EPKsPsPKlPlN2at6native12_GLOBAL__N_18offset_tEEE10hipError_tPvRmT1_PNSt15iterator_traitsISK_E10value_typeET2_T3_PNSL_ISQ_E10value_typeET4_jRbjT5_SW_jjP12ihipStream_tbEUlT_E0_NS1_11comp_targetILNS1_3genE3ELNS1_11target_archE908ELNS1_3gpuE7ELNS1_3repE0EEENS1_60segmented_radix_sort_warp_sort_medium_config_static_selectorELNS0_4arch9wavefront6targetE0EEEvSK_ ; -- Begin function _ZN7rocprim17ROCPRIM_400000_NS6detail17trampoline_kernelINS0_14default_configENS1_36segmented_radix_sort_config_selectorIslEEZNS1_25segmented_radix_sort_implIS3_Lb1EPKsPsPKlPlN2at6native12_GLOBAL__N_18offset_tEEE10hipError_tPvRmT1_PNSt15iterator_traitsISK_E10value_typeET2_T3_PNSL_ISQ_E10value_typeET4_jRbjT5_SW_jjP12ihipStream_tbEUlT_E0_NS1_11comp_targetILNS1_3genE3ELNS1_11target_archE908ELNS1_3gpuE7ELNS1_3repE0EEENS1_60segmented_radix_sort_warp_sort_medium_config_static_selectorELNS0_4arch9wavefront6targetE0EEEvSK_
	.p2align	8
	.type	_ZN7rocprim17ROCPRIM_400000_NS6detail17trampoline_kernelINS0_14default_configENS1_36segmented_radix_sort_config_selectorIslEEZNS1_25segmented_radix_sort_implIS3_Lb1EPKsPsPKlPlN2at6native12_GLOBAL__N_18offset_tEEE10hipError_tPvRmT1_PNSt15iterator_traitsISK_E10value_typeET2_T3_PNSL_ISQ_E10value_typeET4_jRbjT5_SW_jjP12ihipStream_tbEUlT_E0_NS1_11comp_targetILNS1_3genE3ELNS1_11target_archE908ELNS1_3gpuE7ELNS1_3repE0EEENS1_60segmented_radix_sort_warp_sort_medium_config_static_selectorELNS0_4arch9wavefront6targetE0EEEvSK_,@function
_ZN7rocprim17ROCPRIM_400000_NS6detail17trampoline_kernelINS0_14default_configENS1_36segmented_radix_sort_config_selectorIslEEZNS1_25segmented_radix_sort_implIS3_Lb1EPKsPsPKlPlN2at6native12_GLOBAL__N_18offset_tEEE10hipError_tPvRmT1_PNSt15iterator_traitsISK_E10value_typeET2_T3_PNSL_ISQ_E10value_typeET4_jRbjT5_SW_jjP12ihipStream_tbEUlT_E0_NS1_11comp_targetILNS1_3genE3ELNS1_11target_archE908ELNS1_3gpuE7ELNS1_3repE0EEENS1_60segmented_radix_sort_warp_sort_medium_config_static_selectorELNS0_4arch9wavefront6targetE0EEEvSK_: ; @_ZN7rocprim17ROCPRIM_400000_NS6detail17trampoline_kernelINS0_14default_configENS1_36segmented_radix_sort_config_selectorIslEEZNS1_25segmented_radix_sort_implIS3_Lb1EPKsPsPKlPlN2at6native12_GLOBAL__N_18offset_tEEE10hipError_tPvRmT1_PNSt15iterator_traitsISK_E10value_typeET2_T3_PNSL_ISQ_E10value_typeET4_jRbjT5_SW_jjP12ihipStream_tbEUlT_E0_NS1_11comp_targetILNS1_3genE3ELNS1_11target_archE908ELNS1_3gpuE7ELNS1_3repE0EEENS1_60segmented_radix_sort_warp_sort_medium_config_static_selectorELNS0_4arch9wavefront6targetE0EEEvSK_
; %bb.0:
	.section	.rodata,"a",@progbits
	.p2align	6, 0x0
	.amdhsa_kernel _ZN7rocprim17ROCPRIM_400000_NS6detail17trampoline_kernelINS0_14default_configENS1_36segmented_radix_sort_config_selectorIslEEZNS1_25segmented_radix_sort_implIS3_Lb1EPKsPsPKlPlN2at6native12_GLOBAL__N_18offset_tEEE10hipError_tPvRmT1_PNSt15iterator_traitsISK_E10value_typeET2_T3_PNSL_ISQ_E10value_typeET4_jRbjT5_SW_jjP12ihipStream_tbEUlT_E0_NS1_11comp_targetILNS1_3genE3ELNS1_11target_archE908ELNS1_3gpuE7ELNS1_3repE0EEENS1_60segmented_radix_sort_warp_sort_medium_config_static_selectorELNS0_4arch9wavefront6targetE0EEEvSK_
		.amdhsa_group_segment_fixed_size 0
		.amdhsa_private_segment_fixed_size 0
		.amdhsa_kernarg_size 88
		.amdhsa_user_sgpr_count 2
		.amdhsa_user_sgpr_dispatch_ptr 0
		.amdhsa_user_sgpr_queue_ptr 0
		.amdhsa_user_sgpr_kernarg_segment_ptr 1
		.amdhsa_user_sgpr_dispatch_id 0
		.amdhsa_user_sgpr_kernarg_preload_length 0
		.amdhsa_user_sgpr_kernarg_preload_offset 0
		.amdhsa_user_sgpr_private_segment_size 0
		.amdhsa_wavefront_size32 1
		.amdhsa_uses_dynamic_stack 0
		.amdhsa_enable_private_segment 0
		.amdhsa_system_sgpr_workgroup_id_x 1
		.amdhsa_system_sgpr_workgroup_id_y 0
		.amdhsa_system_sgpr_workgroup_id_z 0
		.amdhsa_system_sgpr_workgroup_info 0
		.amdhsa_system_vgpr_workitem_id 0
		.amdhsa_next_free_vgpr 1
		.amdhsa_next_free_sgpr 1
		.amdhsa_named_barrier_count 0
		.amdhsa_reserve_vcc 0
		.amdhsa_float_round_mode_32 0
		.amdhsa_float_round_mode_16_64 0
		.amdhsa_float_denorm_mode_32 3
		.amdhsa_float_denorm_mode_16_64 3
		.amdhsa_fp16_overflow 0
		.amdhsa_memory_ordered 1
		.amdhsa_forward_progress 1
		.amdhsa_inst_pref_size 0
		.amdhsa_round_robin_scheduling 0
		.amdhsa_exception_fp_ieee_invalid_op 0
		.amdhsa_exception_fp_denorm_src 0
		.amdhsa_exception_fp_ieee_div_zero 0
		.amdhsa_exception_fp_ieee_overflow 0
		.amdhsa_exception_fp_ieee_underflow 0
		.amdhsa_exception_fp_ieee_inexact 0
		.amdhsa_exception_int_div_zero 0
	.end_amdhsa_kernel
	.section	.text._ZN7rocprim17ROCPRIM_400000_NS6detail17trampoline_kernelINS0_14default_configENS1_36segmented_radix_sort_config_selectorIslEEZNS1_25segmented_radix_sort_implIS3_Lb1EPKsPsPKlPlN2at6native12_GLOBAL__N_18offset_tEEE10hipError_tPvRmT1_PNSt15iterator_traitsISK_E10value_typeET2_T3_PNSL_ISQ_E10value_typeET4_jRbjT5_SW_jjP12ihipStream_tbEUlT_E0_NS1_11comp_targetILNS1_3genE3ELNS1_11target_archE908ELNS1_3gpuE7ELNS1_3repE0EEENS1_60segmented_radix_sort_warp_sort_medium_config_static_selectorELNS0_4arch9wavefront6targetE0EEEvSK_,"axG",@progbits,_ZN7rocprim17ROCPRIM_400000_NS6detail17trampoline_kernelINS0_14default_configENS1_36segmented_radix_sort_config_selectorIslEEZNS1_25segmented_radix_sort_implIS3_Lb1EPKsPsPKlPlN2at6native12_GLOBAL__N_18offset_tEEE10hipError_tPvRmT1_PNSt15iterator_traitsISK_E10value_typeET2_T3_PNSL_ISQ_E10value_typeET4_jRbjT5_SW_jjP12ihipStream_tbEUlT_E0_NS1_11comp_targetILNS1_3genE3ELNS1_11target_archE908ELNS1_3gpuE7ELNS1_3repE0EEENS1_60segmented_radix_sort_warp_sort_medium_config_static_selectorELNS0_4arch9wavefront6targetE0EEEvSK_,comdat
.Lfunc_end921:
	.size	_ZN7rocprim17ROCPRIM_400000_NS6detail17trampoline_kernelINS0_14default_configENS1_36segmented_radix_sort_config_selectorIslEEZNS1_25segmented_radix_sort_implIS3_Lb1EPKsPsPKlPlN2at6native12_GLOBAL__N_18offset_tEEE10hipError_tPvRmT1_PNSt15iterator_traitsISK_E10value_typeET2_T3_PNSL_ISQ_E10value_typeET4_jRbjT5_SW_jjP12ihipStream_tbEUlT_E0_NS1_11comp_targetILNS1_3genE3ELNS1_11target_archE908ELNS1_3gpuE7ELNS1_3repE0EEENS1_60segmented_radix_sort_warp_sort_medium_config_static_selectorELNS0_4arch9wavefront6targetE0EEEvSK_, .Lfunc_end921-_ZN7rocprim17ROCPRIM_400000_NS6detail17trampoline_kernelINS0_14default_configENS1_36segmented_radix_sort_config_selectorIslEEZNS1_25segmented_radix_sort_implIS3_Lb1EPKsPsPKlPlN2at6native12_GLOBAL__N_18offset_tEEE10hipError_tPvRmT1_PNSt15iterator_traitsISK_E10value_typeET2_T3_PNSL_ISQ_E10value_typeET4_jRbjT5_SW_jjP12ihipStream_tbEUlT_E0_NS1_11comp_targetILNS1_3genE3ELNS1_11target_archE908ELNS1_3gpuE7ELNS1_3repE0EEENS1_60segmented_radix_sort_warp_sort_medium_config_static_selectorELNS0_4arch9wavefront6targetE0EEEvSK_
                                        ; -- End function
	.set _ZN7rocprim17ROCPRIM_400000_NS6detail17trampoline_kernelINS0_14default_configENS1_36segmented_radix_sort_config_selectorIslEEZNS1_25segmented_radix_sort_implIS3_Lb1EPKsPsPKlPlN2at6native12_GLOBAL__N_18offset_tEEE10hipError_tPvRmT1_PNSt15iterator_traitsISK_E10value_typeET2_T3_PNSL_ISQ_E10value_typeET4_jRbjT5_SW_jjP12ihipStream_tbEUlT_E0_NS1_11comp_targetILNS1_3genE3ELNS1_11target_archE908ELNS1_3gpuE7ELNS1_3repE0EEENS1_60segmented_radix_sort_warp_sort_medium_config_static_selectorELNS0_4arch9wavefront6targetE0EEEvSK_.num_vgpr, 0
	.set _ZN7rocprim17ROCPRIM_400000_NS6detail17trampoline_kernelINS0_14default_configENS1_36segmented_radix_sort_config_selectorIslEEZNS1_25segmented_radix_sort_implIS3_Lb1EPKsPsPKlPlN2at6native12_GLOBAL__N_18offset_tEEE10hipError_tPvRmT1_PNSt15iterator_traitsISK_E10value_typeET2_T3_PNSL_ISQ_E10value_typeET4_jRbjT5_SW_jjP12ihipStream_tbEUlT_E0_NS1_11comp_targetILNS1_3genE3ELNS1_11target_archE908ELNS1_3gpuE7ELNS1_3repE0EEENS1_60segmented_radix_sort_warp_sort_medium_config_static_selectorELNS0_4arch9wavefront6targetE0EEEvSK_.num_agpr, 0
	.set _ZN7rocprim17ROCPRIM_400000_NS6detail17trampoline_kernelINS0_14default_configENS1_36segmented_radix_sort_config_selectorIslEEZNS1_25segmented_radix_sort_implIS3_Lb1EPKsPsPKlPlN2at6native12_GLOBAL__N_18offset_tEEE10hipError_tPvRmT1_PNSt15iterator_traitsISK_E10value_typeET2_T3_PNSL_ISQ_E10value_typeET4_jRbjT5_SW_jjP12ihipStream_tbEUlT_E0_NS1_11comp_targetILNS1_3genE3ELNS1_11target_archE908ELNS1_3gpuE7ELNS1_3repE0EEENS1_60segmented_radix_sort_warp_sort_medium_config_static_selectorELNS0_4arch9wavefront6targetE0EEEvSK_.numbered_sgpr, 0
	.set _ZN7rocprim17ROCPRIM_400000_NS6detail17trampoline_kernelINS0_14default_configENS1_36segmented_radix_sort_config_selectorIslEEZNS1_25segmented_radix_sort_implIS3_Lb1EPKsPsPKlPlN2at6native12_GLOBAL__N_18offset_tEEE10hipError_tPvRmT1_PNSt15iterator_traitsISK_E10value_typeET2_T3_PNSL_ISQ_E10value_typeET4_jRbjT5_SW_jjP12ihipStream_tbEUlT_E0_NS1_11comp_targetILNS1_3genE3ELNS1_11target_archE908ELNS1_3gpuE7ELNS1_3repE0EEENS1_60segmented_radix_sort_warp_sort_medium_config_static_selectorELNS0_4arch9wavefront6targetE0EEEvSK_.num_named_barrier, 0
	.set _ZN7rocprim17ROCPRIM_400000_NS6detail17trampoline_kernelINS0_14default_configENS1_36segmented_radix_sort_config_selectorIslEEZNS1_25segmented_radix_sort_implIS3_Lb1EPKsPsPKlPlN2at6native12_GLOBAL__N_18offset_tEEE10hipError_tPvRmT1_PNSt15iterator_traitsISK_E10value_typeET2_T3_PNSL_ISQ_E10value_typeET4_jRbjT5_SW_jjP12ihipStream_tbEUlT_E0_NS1_11comp_targetILNS1_3genE3ELNS1_11target_archE908ELNS1_3gpuE7ELNS1_3repE0EEENS1_60segmented_radix_sort_warp_sort_medium_config_static_selectorELNS0_4arch9wavefront6targetE0EEEvSK_.private_seg_size, 0
	.set _ZN7rocprim17ROCPRIM_400000_NS6detail17trampoline_kernelINS0_14default_configENS1_36segmented_radix_sort_config_selectorIslEEZNS1_25segmented_radix_sort_implIS3_Lb1EPKsPsPKlPlN2at6native12_GLOBAL__N_18offset_tEEE10hipError_tPvRmT1_PNSt15iterator_traitsISK_E10value_typeET2_T3_PNSL_ISQ_E10value_typeET4_jRbjT5_SW_jjP12ihipStream_tbEUlT_E0_NS1_11comp_targetILNS1_3genE3ELNS1_11target_archE908ELNS1_3gpuE7ELNS1_3repE0EEENS1_60segmented_radix_sort_warp_sort_medium_config_static_selectorELNS0_4arch9wavefront6targetE0EEEvSK_.uses_vcc, 0
	.set _ZN7rocprim17ROCPRIM_400000_NS6detail17trampoline_kernelINS0_14default_configENS1_36segmented_radix_sort_config_selectorIslEEZNS1_25segmented_radix_sort_implIS3_Lb1EPKsPsPKlPlN2at6native12_GLOBAL__N_18offset_tEEE10hipError_tPvRmT1_PNSt15iterator_traitsISK_E10value_typeET2_T3_PNSL_ISQ_E10value_typeET4_jRbjT5_SW_jjP12ihipStream_tbEUlT_E0_NS1_11comp_targetILNS1_3genE3ELNS1_11target_archE908ELNS1_3gpuE7ELNS1_3repE0EEENS1_60segmented_radix_sort_warp_sort_medium_config_static_selectorELNS0_4arch9wavefront6targetE0EEEvSK_.uses_flat_scratch, 0
	.set _ZN7rocprim17ROCPRIM_400000_NS6detail17trampoline_kernelINS0_14default_configENS1_36segmented_radix_sort_config_selectorIslEEZNS1_25segmented_radix_sort_implIS3_Lb1EPKsPsPKlPlN2at6native12_GLOBAL__N_18offset_tEEE10hipError_tPvRmT1_PNSt15iterator_traitsISK_E10value_typeET2_T3_PNSL_ISQ_E10value_typeET4_jRbjT5_SW_jjP12ihipStream_tbEUlT_E0_NS1_11comp_targetILNS1_3genE3ELNS1_11target_archE908ELNS1_3gpuE7ELNS1_3repE0EEENS1_60segmented_radix_sort_warp_sort_medium_config_static_selectorELNS0_4arch9wavefront6targetE0EEEvSK_.has_dyn_sized_stack, 0
	.set _ZN7rocprim17ROCPRIM_400000_NS6detail17trampoline_kernelINS0_14default_configENS1_36segmented_radix_sort_config_selectorIslEEZNS1_25segmented_radix_sort_implIS3_Lb1EPKsPsPKlPlN2at6native12_GLOBAL__N_18offset_tEEE10hipError_tPvRmT1_PNSt15iterator_traitsISK_E10value_typeET2_T3_PNSL_ISQ_E10value_typeET4_jRbjT5_SW_jjP12ihipStream_tbEUlT_E0_NS1_11comp_targetILNS1_3genE3ELNS1_11target_archE908ELNS1_3gpuE7ELNS1_3repE0EEENS1_60segmented_radix_sort_warp_sort_medium_config_static_selectorELNS0_4arch9wavefront6targetE0EEEvSK_.has_recursion, 0
	.set _ZN7rocprim17ROCPRIM_400000_NS6detail17trampoline_kernelINS0_14default_configENS1_36segmented_radix_sort_config_selectorIslEEZNS1_25segmented_radix_sort_implIS3_Lb1EPKsPsPKlPlN2at6native12_GLOBAL__N_18offset_tEEE10hipError_tPvRmT1_PNSt15iterator_traitsISK_E10value_typeET2_T3_PNSL_ISQ_E10value_typeET4_jRbjT5_SW_jjP12ihipStream_tbEUlT_E0_NS1_11comp_targetILNS1_3genE3ELNS1_11target_archE908ELNS1_3gpuE7ELNS1_3repE0EEENS1_60segmented_radix_sort_warp_sort_medium_config_static_selectorELNS0_4arch9wavefront6targetE0EEEvSK_.has_indirect_call, 0
	.section	.AMDGPU.csdata,"",@progbits
; Kernel info:
; codeLenInByte = 0
; TotalNumSgprs: 0
; NumVgprs: 0
; ScratchSize: 0
; MemoryBound: 0
; FloatMode: 240
; IeeeMode: 1
; LDSByteSize: 0 bytes/workgroup (compile time only)
; SGPRBlocks: 0
; VGPRBlocks: 0
; NumSGPRsForWavesPerEU: 1
; NumVGPRsForWavesPerEU: 1
; NamedBarCnt: 0
; Occupancy: 16
; WaveLimiterHint : 0
; COMPUTE_PGM_RSRC2:SCRATCH_EN: 0
; COMPUTE_PGM_RSRC2:USER_SGPR: 2
; COMPUTE_PGM_RSRC2:TRAP_HANDLER: 0
; COMPUTE_PGM_RSRC2:TGID_X_EN: 1
; COMPUTE_PGM_RSRC2:TGID_Y_EN: 0
; COMPUTE_PGM_RSRC2:TGID_Z_EN: 0
; COMPUTE_PGM_RSRC2:TIDIG_COMP_CNT: 0
	.section	.text._ZN7rocprim17ROCPRIM_400000_NS6detail17trampoline_kernelINS0_14default_configENS1_36segmented_radix_sort_config_selectorIslEEZNS1_25segmented_radix_sort_implIS3_Lb1EPKsPsPKlPlN2at6native12_GLOBAL__N_18offset_tEEE10hipError_tPvRmT1_PNSt15iterator_traitsISK_E10value_typeET2_T3_PNSL_ISQ_E10value_typeET4_jRbjT5_SW_jjP12ihipStream_tbEUlT_E0_NS1_11comp_targetILNS1_3genE2ELNS1_11target_archE906ELNS1_3gpuE6ELNS1_3repE0EEENS1_60segmented_radix_sort_warp_sort_medium_config_static_selectorELNS0_4arch9wavefront6targetE0EEEvSK_,"axG",@progbits,_ZN7rocprim17ROCPRIM_400000_NS6detail17trampoline_kernelINS0_14default_configENS1_36segmented_radix_sort_config_selectorIslEEZNS1_25segmented_radix_sort_implIS3_Lb1EPKsPsPKlPlN2at6native12_GLOBAL__N_18offset_tEEE10hipError_tPvRmT1_PNSt15iterator_traitsISK_E10value_typeET2_T3_PNSL_ISQ_E10value_typeET4_jRbjT5_SW_jjP12ihipStream_tbEUlT_E0_NS1_11comp_targetILNS1_3genE2ELNS1_11target_archE906ELNS1_3gpuE6ELNS1_3repE0EEENS1_60segmented_radix_sort_warp_sort_medium_config_static_selectorELNS0_4arch9wavefront6targetE0EEEvSK_,comdat
	.globl	_ZN7rocprim17ROCPRIM_400000_NS6detail17trampoline_kernelINS0_14default_configENS1_36segmented_radix_sort_config_selectorIslEEZNS1_25segmented_radix_sort_implIS3_Lb1EPKsPsPKlPlN2at6native12_GLOBAL__N_18offset_tEEE10hipError_tPvRmT1_PNSt15iterator_traitsISK_E10value_typeET2_T3_PNSL_ISQ_E10value_typeET4_jRbjT5_SW_jjP12ihipStream_tbEUlT_E0_NS1_11comp_targetILNS1_3genE2ELNS1_11target_archE906ELNS1_3gpuE6ELNS1_3repE0EEENS1_60segmented_radix_sort_warp_sort_medium_config_static_selectorELNS0_4arch9wavefront6targetE0EEEvSK_ ; -- Begin function _ZN7rocprim17ROCPRIM_400000_NS6detail17trampoline_kernelINS0_14default_configENS1_36segmented_radix_sort_config_selectorIslEEZNS1_25segmented_radix_sort_implIS3_Lb1EPKsPsPKlPlN2at6native12_GLOBAL__N_18offset_tEEE10hipError_tPvRmT1_PNSt15iterator_traitsISK_E10value_typeET2_T3_PNSL_ISQ_E10value_typeET4_jRbjT5_SW_jjP12ihipStream_tbEUlT_E0_NS1_11comp_targetILNS1_3genE2ELNS1_11target_archE906ELNS1_3gpuE6ELNS1_3repE0EEENS1_60segmented_radix_sort_warp_sort_medium_config_static_selectorELNS0_4arch9wavefront6targetE0EEEvSK_
	.p2align	8
	.type	_ZN7rocprim17ROCPRIM_400000_NS6detail17trampoline_kernelINS0_14default_configENS1_36segmented_radix_sort_config_selectorIslEEZNS1_25segmented_radix_sort_implIS3_Lb1EPKsPsPKlPlN2at6native12_GLOBAL__N_18offset_tEEE10hipError_tPvRmT1_PNSt15iterator_traitsISK_E10value_typeET2_T3_PNSL_ISQ_E10value_typeET4_jRbjT5_SW_jjP12ihipStream_tbEUlT_E0_NS1_11comp_targetILNS1_3genE2ELNS1_11target_archE906ELNS1_3gpuE6ELNS1_3repE0EEENS1_60segmented_radix_sort_warp_sort_medium_config_static_selectorELNS0_4arch9wavefront6targetE0EEEvSK_,@function
_ZN7rocprim17ROCPRIM_400000_NS6detail17trampoline_kernelINS0_14default_configENS1_36segmented_radix_sort_config_selectorIslEEZNS1_25segmented_radix_sort_implIS3_Lb1EPKsPsPKlPlN2at6native12_GLOBAL__N_18offset_tEEE10hipError_tPvRmT1_PNSt15iterator_traitsISK_E10value_typeET2_T3_PNSL_ISQ_E10value_typeET4_jRbjT5_SW_jjP12ihipStream_tbEUlT_E0_NS1_11comp_targetILNS1_3genE2ELNS1_11target_archE906ELNS1_3gpuE6ELNS1_3repE0EEENS1_60segmented_radix_sort_warp_sort_medium_config_static_selectorELNS0_4arch9wavefront6targetE0EEEvSK_: ; @_ZN7rocprim17ROCPRIM_400000_NS6detail17trampoline_kernelINS0_14default_configENS1_36segmented_radix_sort_config_selectorIslEEZNS1_25segmented_radix_sort_implIS3_Lb1EPKsPsPKlPlN2at6native12_GLOBAL__N_18offset_tEEE10hipError_tPvRmT1_PNSt15iterator_traitsISK_E10value_typeET2_T3_PNSL_ISQ_E10value_typeET4_jRbjT5_SW_jjP12ihipStream_tbEUlT_E0_NS1_11comp_targetILNS1_3genE2ELNS1_11target_archE906ELNS1_3gpuE6ELNS1_3repE0EEENS1_60segmented_radix_sort_warp_sort_medium_config_static_selectorELNS0_4arch9wavefront6targetE0EEEvSK_
; %bb.0:
	.section	.rodata,"a",@progbits
	.p2align	6, 0x0
	.amdhsa_kernel _ZN7rocprim17ROCPRIM_400000_NS6detail17trampoline_kernelINS0_14default_configENS1_36segmented_radix_sort_config_selectorIslEEZNS1_25segmented_radix_sort_implIS3_Lb1EPKsPsPKlPlN2at6native12_GLOBAL__N_18offset_tEEE10hipError_tPvRmT1_PNSt15iterator_traitsISK_E10value_typeET2_T3_PNSL_ISQ_E10value_typeET4_jRbjT5_SW_jjP12ihipStream_tbEUlT_E0_NS1_11comp_targetILNS1_3genE2ELNS1_11target_archE906ELNS1_3gpuE6ELNS1_3repE0EEENS1_60segmented_radix_sort_warp_sort_medium_config_static_selectorELNS0_4arch9wavefront6targetE0EEEvSK_
		.amdhsa_group_segment_fixed_size 0
		.amdhsa_private_segment_fixed_size 0
		.amdhsa_kernarg_size 88
		.amdhsa_user_sgpr_count 2
		.amdhsa_user_sgpr_dispatch_ptr 0
		.amdhsa_user_sgpr_queue_ptr 0
		.amdhsa_user_sgpr_kernarg_segment_ptr 1
		.amdhsa_user_sgpr_dispatch_id 0
		.amdhsa_user_sgpr_kernarg_preload_length 0
		.amdhsa_user_sgpr_kernarg_preload_offset 0
		.amdhsa_user_sgpr_private_segment_size 0
		.amdhsa_wavefront_size32 1
		.amdhsa_uses_dynamic_stack 0
		.amdhsa_enable_private_segment 0
		.amdhsa_system_sgpr_workgroup_id_x 1
		.amdhsa_system_sgpr_workgroup_id_y 0
		.amdhsa_system_sgpr_workgroup_id_z 0
		.amdhsa_system_sgpr_workgroup_info 0
		.amdhsa_system_vgpr_workitem_id 0
		.amdhsa_next_free_vgpr 1
		.amdhsa_next_free_sgpr 1
		.amdhsa_named_barrier_count 0
		.amdhsa_reserve_vcc 0
		.amdhsa_float_round_mode_32 0
		.amdhsa_float_round_mode_16_64 0
		.amdhsa_float_denorm_mode_32 3
		.amdhsa_float_denorm_mode_16_64 3
		.amdhsa_fp16_overflow 0
		.amdhsa_memory_ordered 1
		.amdhsa_forward_progress 1
		.amdhsa_inst_pref_size 0
		.amdhsa_round_robin_scheduling 0
		.amdhsa_exception_fp_ieee_invalid_op 0
		.amdhsa_exception_fp_denorm_src 0
		.amdhsa_exception_fp_ieee_div_zero 0
		.amdhsa_exception_fp_ieee_overflow 0
		.amdhsa_exception_fp_ieee_underflow 0
		.amdhsa_exception_fp_ieee_inexact 0
		.amdhsa_exception_int_div_zero 0
	.end_amdhsa_kernel
	.section	.text._ZN7rocprim17ROCPRIM_400000_NS6detail17trampoline_kernelINS0_14default_configENS1_36segmented_radix_sort_config_selectorIslEEZNS1_25segmented_radix_sort_implIS3_Lb1EPKsPsPKlPlN2at6native12_GLOBAL__N_18offset_tEEE10hipError_tPvRmT1_PNSt15iterator_traitsISK_E10value_typeET2_T3_PNSL_ISQ_E10value_typeET4_jRbjT5_SW_jjP12ihipStream_tbEUlT_E0_NS1_11comp_targetILNS1_3genE2ELNS1_11target_archE906ELNS1_3gpuE6ELNS1_3repE0EEENS1_60segmented_radix_sort_warp_sort_medium_config_static_selectorELNS0_4arch9wavefront6targetE0EEEvSK_,"axG",@progbits,_ZN7rocprim17ROCPRIM_400000_NS6detail17trampoline_kernelINS0_14default_configENS1_36segmented_radix_sort_config_selectorIslEEZNS1_25segmented_radix_sort_implIS3_Lb1EPKsPsPKlPlN2at6native12_GLOBAL__N_18offset_tEEE10hipError_tPvRmT1_PNSt15iterator_traitsISK_E10value_typeET2_T3_PNSL_ISQ_E10value_typeET4_jRbjT5_SW_jjP12ihipStream_tbEUlT_E0_NS1_11comp_targetILNS1_3genE2ELNS1_11target_archE906ELNS1_3gpuE6ELNS1_3repE0EEENS1_60segmented_radix_sort_warp_sort_medium_config_static_selectorELNS0_4arch9wavefront6targetE0EEEvSK_,comdat
.Lfunc_end922:
	.size	_ZN7rocprim17ROCPRIM_400000_NS6detail17trampoline_kernelINS0_14default_configENS1_36segmented_radix_sort_config_selectorIslEEZNS1_25segmented_radix_sort_implIS3_Lb1EPKsPsPKlPlN2at6native12_GLOBAL__N_18offset_tEEE10hipError_tPvRmT1_PNSt15iterator_traitsISK_E10value_typeET2_T3_PNSL_ISQ_E10value_typeET4_jRbjT5_SW_jjP12ihipStream_tbEUlT_E0_NS1_11comp_targetILNS1_3genE2ELNS1_11target_archE906ELNS1_3gpuE6ELNS1_3repE0EEENS1_60segmented_radix_sort_warp_sort_medium_config_static_selectorELNS0_4arch9wavefront6targetE0EEEvSK_, .Lfunc_end922-_ZN7rocprim17ROCPRIM_400000_NS6detail17trampoline_kernelINS0_14default_configENS1_36segmented_radix_sort_config_selectorIslEEZNS1_25segmented_radix_sort_implIS3_Lb1EPKsPsPKlPlN2at6native12_GLOBAL__N_18offset_tEEE10hipError_tPvRmT1_PNSt15iterator_traitsISK_E10value_typeET2_T3_PNSL_ISQ_E10value_typeET4_jRbjT5_SW_jjP12ihipStream_tbEUlT_E0_NS1_11comp_targetILNS1_3genE2ELNS1_11target_archE906ELNS1_3gpuE6ELNS1_3repE0EEENS1_60segmented_radix_sort_warp_sort_medium_config_static_selectorELNS0_4arch9wavefront6targetE0EEEvSK_
                                        ; -- End function
	.set _ZN7rocprim17ROCPRIM_400000_NS6detail17trampoline_kernelINS0_14default_configENS1_36segmented_radix_sort_config_selectorIslEEZNS1_25segmented_radix_sort_implIS3_Lb1EPKsPsPKlPlN2at6native12_GLOBAL__N_18offset_tEEE10hipError_tPvRmT1_PNSt15iterator_traitsISK_E10value_typeET2_T3_PNSL_ISQ_E10value_typeET4_jRbjT5_SW_jjP12ihipStream_tbEUlT_E0_NS1_11comp_targetILNS1_3genE2ELNS1_11target_archE906ELNS1_3gpuE6ELNS1_3repE0EEENS1_60segmented_radix_sort_warp_sort_medium_config_static_selectorELNS0_4arch9wavefront6targetE0EEEvSK_.num_vgpr, 0
	.set _ZN7rocprim17ROCPRIM_400000_NS6detail17trampoline_kernelINS0_14default_configENS1_36segmented_radix_sort_config_selectorIslEEZNS1_25segmented_radix_sort_implIS3_Lb1EPKsPsPKlPlN2at6native12_GLOBAL__N_18offset_tEEE10hipError_tPvRmT1_PNSt15iterator_traitsISK_E10value_typeET2_T3_PNSL_ISQ_E10value_typeET4_jRbjT5_SW_jjP12ihipStream_tbEUlT_E0_NS1_11comp_targetILNS1_3genE2ELNS1_11target_archE906ELNS1_3gpuE6ELNS1_3repE0EEENS1_60segmented_radix_sort_warp_sort_medium_config_static_selectorELNS0_4arch9wavefront6targetE0EEEvSK_.num_agpr, 0
	.set _ZN7rocprim17ROCPRIM_400000_NS6detail17trampoline_kernelINS0_14default_configENS1_36segmented_radix_sort_config_selectorIslEEZNS1_25segmented_radix_sort_implIS3_Lb1EPKsPsPKlPlN2at6native12_GLOBAL__N_18offset_tEEE10hipError_tPvRmT1_PNSt15iterator_traitsISK_E10value_typeET2_T3_PNSL_ISQ_E10value_typeET4_jRbjT5_SW_jjP12ihipStream_tbEUlT_E0_NS1_11comp_targetILNS1_3genE2ELNS1_11target_archE906ELNS1_3gpuE6ELNS1_3repE0EEENS1_60segmented_radix_sort_warp_sort_medium_config_static_selectorELNS0_4arch9wavefront6targetE0EEEvSK_.numbered_sgpr, 0
	.set _ZN7rocprim17ROCPRIM_400000_NS6detail17trampoline_kernelINS0_14default_configENS1_36segmented_radix_sort_config_selectorIslEEZNS1_25segmented_radix_sort_implIS3_Lb1EPKsPsPKlPlN2at6native12_GLOBAL__N_18offset_tEEE10hipError_tPvRmT1_PNSt15iterator_traitsISK_E10value_typeET2_T3_PNSL_ISQ_E10value_typeET4_jRbjT5_SW_jjP12ihipStream_tbEUlT_E0_NS1_11comp_targetILNS1_3genE2ELNS1_11target_archE906ELNS1_3gpuE6ELNS1_3repE0EEENS1_60segmented_radix_sort_warp_sort_medium_config_static_selectorELNS0_4arch9wavefront6targetE0EEEvSK_.num_named_barrier, 0
	.set _ZN7rocprim17ROCPRIM_400000_NS6detail17trampoline_kernelINS0_14default_configENS1_36segmented_radix_sort_config_selectorIslEEZNS1_25segmented_radix_sort_implIS3_Lb1EPKsPsPKlPlN2at6native12_GLOBAL__N_18offset_tEEE10hipError_tPvRmT1_PNSt15iterator_traitsISK_E10value_typeET2_T3_PNSL_ISQ_E10value_typeET4_jRbjT5_SW_jjP12ihipStream_tbEUlT_E0_NS1_11comp_targetILNS1_3genE2ELNS1_11target_archE906ELNS1_3gpuE6ELNS1_3repE0EEENS1_60segmented_radix_sort_warp_sort_medium_config_static_selectorELNS0_4arch9wavefront6targetE0EEEvSK_.private_seg_size, 0
	.set _ZN7rocprim17ROCPRIM_400000_NS6detail17trampoline_kernelINS0_14default_configENS1_36segmented_radix_sort_config_selectorIslEEZNS1_25segmented_radix_sort_implIS3_Lb1EPKsPsPKlPlN2at6native12_GLOBAL__N_18offset_tEEE10hipError_tPvRmT1_PNSt15iterator_traitsISK_E10value_typeET2_T3_PNSL_ISQ_E10value_typeET4_jRbjT5_SW_jjP12ihipStream_tbEUlT_E0_NS1_11comp_targetILNS1_3genE2ELNS1_11target_archE906ELNS1_3gpuE6ELNS1_3repE0EEENS1_60segmented_radix_sort_warp_sort_medium_config_static_selectorELNS0_4arch9wavefront6targetE0EEEvSK_.uses_vcc, 0
	.set _ZN7rocprim17ROCPRIM_400000_NS6detail17trampoline_kernelINS0_14default_configENS1_36segmented_radix_sort_config_selectorIslEEZNS1_25segmented_radix_sort_implIS3_Lb1EPKsPsPKlPlN2at6native12_GLOBAL__N_18offset_tEEE10hipError_tPvRmT1_PNSt15iterator_traitsISK_E10value_typeET2_T3_PNSL_ISQ_E10value_typeET4_jRbjT5_SW_jjP12ihipStream_tbEUlT_E0_NS1_11comp_targetILNS1_3genE2ELNS1_11target_archE906ELNS1_3gpuE6ELNS1_3repE0EEENS1_60segmented_radix_sort_warp_sort_medium_config_static_selectorELNS0_4arch9wavefront6targetE0EEEvSK_.uses_flat_scratch, 0
	.set _ZN7rocprim17ROCPRIM_400000_NS6detail17trampoline_kernelINS0_14default_configENS1_36segmented_radix_sort_config_selectorIslEEZNS1_25segmented_radix_sort_implIS3_Lb1EPKsPsPKlPlN2at6native12_GLOBAL__N_18offset_tEEE10hipError_tPvRmT1_PNSt15iterator_traitsISK_E10value_typeET2_T3_PNSL_ISQ_E10value_typeET4_jRbjT5_SW_jjP12ihipStream_tbEUlT_E0_NS1_11comp_targetILNS1_3genE2ELNS1_11target_archE906ELNS1_3gpuE6ELNS1_3repE0EEENS1_60segmented_radix_sort_warp_sort_medium_config_static_selectorELNS0_4arch9wavefront6targetE0EEEvSK_.has_dyn_sized_stack, 0
	.set _ZN7rocprim17ROCPRIM_400000_NS6detail17trampoline_kernelINS0_14default_configENS1_36segmented_radix_sort_config_selectorIslEEZNS1_25segmented_radix_sort_implIS3_Lb1EPKsPsPKlPlN2at6native12_GLOBAL__N_18offset_tEEE10hipError_tPvRmT1_PNSt15iterator_traitsISK_E10value_typeET2_T3_PNSL_ISQ_E10value_typeET4_jRbjT5_SW_jjP12ihipStream_tbEUlT_E0_NS1_11comp_targetILNS1_3genE2ELNS1_11target_archE906ELNS1_3gpuE6ELNS1_3repE0EEENS1_60segmented_radix_sort_warp_sort_medium_config_static_selectorELNS0_4arch9wavefront6targetE0EEEvSK_.has_recursion, 0
	.set _ZN7rocprim17ROCPRIM_400000_NS6detail17trampoline_kernelINS0_14default_configENS1_36segmented_radix_sort_config_selectorIslEEZNS1_25segmented_radix_sort_implIS3_Lb1EPKsPsPKlPlN2at6native12_GLOBAL__N_18offset_tEEE10hipError_tPvRmT1_PNSt15iterator_traitsISK_E10value_typeET2_T3_PNSL_ISQ_E10value_typeET4_jRbjT5_SW_jjP12ihipStream_tbEUlT_E0_NS1_11comp_targetILNS1_3genE2ELNS1_11target_archE906ELNS1_3gpuE6ELNS1_3repE0EEENS1_60segmented_radix_sort_warp_sort_medium_config_static_selectorELNS0_4arch9wavefront6targetE0EEEvSK_.has_indirect_call, 0
	.section	.AMDGPU.csdata,"",@progbits
; Kernel info:
; codeLenInByte = 0
; TotalNumSgprs: 0
; NumVgprs: 0
; ScratchSize: 0
; MemoryBound: 0
; FloatMode: 240
; IeeeMode: 1
; LDSByteSize: 0 bytes/workgroup (compile time only)
; SGPRBlocks: 0
; VGPRBlocks: 0
; NumSGPRsForWavesPerEU: 1
; NumVGPRsForWavesPerEU: 1
; NamedBarCnt: 0
; Occupancy: 16
; WaveLimiterHint : 0
; COMPUTE_PGM_RSRC2:SCRATCH_EN: 0
; COMPUTE_PGM_RSRC2:USER_SGPR: 2
; COMPUTE_PGM_RSRC2:TRAP_HANDLER: 0
; COMPUTE_PGM_RSRC2:TGID_X_EN: 1
; COMPUTE_PGM_RSRC2:TGID_Y_EN: 0
; COMPUTE_PGM_RSRC2:TGID_Z_EN: 0
; COMPUTE_PGM_RSRC2:TIDIG_COMP_CNT: 0
	.section	.text._ZN7rocprim17ROCPRIM_400000_NS6detail17trampoline_kernelINS0_14default_configENS1_36segmented_radix_sort_config_selectorIslEEZNS1_25segmented_radix_sort_implIS3_Lb1EPKsPsPKlPlN2at6native12_GLOBAL__N_18offset_tEEE10hipError_tPvRmT1_PNSt15iterator_traitsISK_E10value_typeET2_T3_PNSL_ISQ_E10value_typeET4_jRbjT5_SW_jjP12ihipStream_tbEUlT_E0_NS1_11comp_targetILNS1_3genE10ELNS1_11target_archE1201ELNS1_3gpuE5ELNS1_3repE0EEENS1_60segmented_radix_sort_warp_sort_medium_config_static_selectorELNS0_4arch9wavefront6targetE0EEEvSK_,"axG",@progbits,_ZN7rocprim17ROCPRIM_400000_NS6detail17trampoline_kernelINS0_14default_configENS1_36segmented_radix_sort_config_selectorIslEEZNS1_25segmented_radix_sort_implIS3_Lb1EPKsPsPKlPlN2at6native12_GLOBAL__N_18offset_tEEE10hipError_tPvRmT1_PNSt15iterator_traitsISK_E10value_typeET2_T3_PNSL_ISQ_E10value_typeET4_jRbjT5_SW_jjP12ihipStream_tbEUlT_E0_NS1_11comp_targetILNS1_3genE10ELNS1_11target_archE1201ELNS1_3gpuE5ELNS1_3repE0EEENS1_60segmented_radix_sort_warp_sort_medium_config_static_selectorELNS0_4arch9wavefront6targetE0EEEvSK_,comdat
	.globl	_ZN7rocprim17ROCPRIM_400000_NS6detail17trampoline_kernelINS0_14default_configENS1_36segmented_radix_sort_config_selectorIslEEZNS1_25segmented_radix_sort_implIS3_Lb1EPKsPsPKlPlN2at6native12_GLOBAL__N_18offset_tEEE10hipError_tPvRmT1_PNSt15iterator_traitsISK_E10value_typeET2_T3_PNSL_ISQ_E10value_typeET4_jRbjT5_SW_jjP12ihipStream_tbEUlT_E0_NS1_11comp_targetILNS1_3genE10ELNS1_11target_archE1201ELNS1_3gpuE5ELNS1_3repE0EEENS1_60segmented_radix_sort_warp_sort_medium_config_static_selectorELNS0_4arch9wavefront6targetE0EEEvSK_ ; -- Begin function _ZN7rocprim17ROCPRIM_400000_NS6detail17trampoline_kernelINS0_14default_configENS1_36segmented_radix_sort_config_selectorIslEEZNS1_25segmented_radix_sort_implIS3_Lb1EPKsPsPKlPlN2at6native12_GLOBAL__N_18offset_tEEE10hipError_tPvRmT1_PNSt15iterator_traitsISK_E10value_typeET2_T3_PNSL_ISQ_E10value_typeET4_jRbjT5_SW_jjP12ihipStream_tbEUlT_E0_NS1_11comp_targetILNS1_3genE10ELNS1_11target_archE1201ELNS1_3gpuE5ELNS1_3repE0EEENS1_60segmented_radix_sort_warp_sort_medium_config_static_selectorELNS0_4arch9wavefront6targetE0EEEvSK_
	.p2align	8
	.type	_ZN7rocprim17ROCPRIM_400000_NS6detail17trampoline_kernelINS0_14default_configENS1_36segmented_radix_sort_config_selectorIslEEZNS1_25segmented_radix_sort_implIS3_Lb1EPKsPsPKlPlN2at6native12_GLOBAL__N_18offset_tEEE10hipError_tPvRmT1_PNSt15iterator_traitsISK_E10value_typeET2_T3_PNSL_ISQ_E10value_typeET4_jRbjT5_SW_jjP12ihipStream_tbEUlT_E0_NS1_11comp_targetILNS1_3genE10ELNS1_11target_archE1201ELNS1_3gpuE5ELNS1_3repE0EEENS1_60segmented_radix_sort_warp_sort_medium_config_static_selectorELNS0_4arch9wavefront6targetE0EEEvSK_,@function
_ZN7rocprim17ROCPRIM_400000_NS6detail17trampoline_kernelINS0_14default_configENS1_36segmented_radix_sort_config_selectorIslEEZNS1_25segmented_radix_sort_implIS3_Lb1EPKsPsPKlPlN2at6native12_GLOBAL__N_18offset_tEEE10hipError_tPvRmT1_PNSt15iterator_traitsISK_E10value_typeET2_T3_PNSL_ISQ_E10value_typeET4_jRbjT5_SW_jjP12ihipStream_tbEUlT_E0_NS1_11comp_targetILNS1_3genE10ELNS1_11target_archE1201ELNS1_3gpuE5ELNS1_3repE0EEENS1_60segmented_radix_sort_warp_sort_medium_config_static_selectorELNS0_4arch9wavefront6targetE0EEEvSK_: ; @_ZN7rocprim17ROCPRIM_400000_NS6detail17trampoline_kernelINS0_14default_configENS1_36segmented_radix_sort_config_selectorIslEEZNS1_25segmented_radix_sort_implIS3_Lb1EPKsPsPKlPlN2at6native12_GLOBAL__N_18offset_tEEE10hipError_tPvRmT1_PNSt15iterator_traitsISK_E10value_typeET2_T3_PNSL_ISQ_E10value_typeET4_jRbjT5_SW_jjP12ihipStream_tbEUlT_E0_NS1_11comp_targetILNS1_3genE10ELNS1_11target_archE1201ELNS1_3gpuE5ELNS1_3repE0EEENS1_60segmented_radix_sort_warp_sort_medium_config_static_selectorELNS0_4arch9wavefront6targetE0EEEvSK_
; %bb.0:
	.section	.rodata,"a",@progbits
	.p2align	6, 0x0
	.amdhsa_kernel _ZN7rocprim17ROCPRIM_400000_NS6detail17trampoline_kernelINS0_14default_configENS1_36segmented_radix_sort_config_selectorIslEEZNS1_25segmented_radix_sort_implIS3_Lb1EPKsPsPKlPlN2at6native12_GLOBAL__N_18offset_tEEE10hipError_tPvRmT1_PNSt15iterator_traitsISK_E10value_typeET2_T3_PNSL_ISQ_E10value_typeET4_jRbjT5_SW_jjP12ihipStream_tbEUlT_E0_NS1_11comp_targetILNS1_3genE10ELNS1_11target_archE1201ELNS1_3gpuE5ELNS1_3repE0EEENS1_60segmented_radix_sort_warp_sort_medium_config_static_selectorELNS0_4arch9wavefront6targetE0EEEvSK_
		.amdhsa_group_segment_fixed_size 0
		.amdhsa_private_segment_fixed_size 0
		.amdhsa_kernarg_size 88
		.amdhsa_user_sgpr_count 2
		.amdhsa_user_sgpr_dispatch_ptr 0
		.amdhsa_user_sgpr_queue_ptr 0
		.amdhsa_user_sgpr_kernarg_segment_ptr 1
		.amdhsa_user_sgpr_dispatch_id 0
		.amdhsa_user_sgpr_kernarg_preload_length 0
		.amdhsa_user_sgpr_kernarg_preload_offset 0
		.amdhsa_user_sgpr_private_segment_size 0
		.amdhsa_wavefront_size32 1
		.amdhsa_uses_dynamic_stack 0
		.amdhsa_enable_private_segment 0
		.amdhsa_system_sgpr_workgroup_id_x 1
		.amdhsa_system_sgpr_workgroup_id_y 0
		.amdhsa_system_sgpr_workgroup_id_z 0
		.amdhsa_system_sgpr_workgroup_info 0
		.amdhsa_system_vgpr_workitem_id 0
		.amdhsa_next_free_vgpr 1
		.amdhsa_next_free_sgpr 1
		.amdhsa_named_barrier_count 0
		.amdhsa_reserve_vcc 0
		.amdhsa_float_round_mode_32 0
		.amdhsa_float_round_mode_16_64 0
		.amdhsa_float_denorm_mode_32 3
		.amdhsa_float_denorm_mode_16_64 3
		.amdhsa_fp16_overflow 0
		.amdhsa_memory_ordered 1
		.amdhsa_forward_progress 1
		.amdhsa_inst_pref_size 0
		.amdhsa_round_robin_scheduling 0
		.amdhsa_exception_fp_ieee_invalid_op 0
		.amdhsa_exception_fp_denorm_src 0
		.amdhsa_exception_fp_ieee_div_zero 0
		.amdhsa_exception_fp_ieee_overflow 0
		.amdhsa_exception_fp_ieee_underflow 0
		.amdhsa_exception_fp_ieee_inexact 0
		.amdhsa_exception_int_div_zero 0
	.end_amdhsa_kernel
	.section	.text._ZN7rocprim17ROCPRIM_400000_NS6detail17trampoline_kernelINS0_14default_configENS1_36segmented_radix_sort_config_selectorIslEEZNS1_25segmented_radix_sort_implIS3_Lb1EPKsPsPKlPlN2at6native12_GLOBAL__N_18offset_tEEE10hipError_tPvRmT1_PNSt15iterator_traitsISK_E10value_typeET2_T3_PNSL_ISQ_E10value_typeET4_jRbjT5_SW_jjP12ihipStream_tbEUlT_E0_NS1_11comp_targetILNS1_3genE10ELNS1_11target_archE1201ELNS1_3gpuE5ELNS1_3repE0EEENS1_60segmented_radix_sort_warp_sort_medium_config_static_selectorELNS0_4arch9wavefront6targetE0EEEvSK_,"axG",@progbits,_ZN7rocprim17ROCPRIM_400000_NS6detail17trampoline_kernelINS0_14default_configENS1_36segmented_radix_sort_config_selectorIslEEZNS1_25segmented_radix_sort_implIS3_Lb1EPKsPsPKlPlN2at6native12_GLOBAL__N_18offset_tEEE10hipError_tPvRmT1_PNSt15iterator_traitsISK_E10value_typeET2_T3_PNSL_ISQ_E10value_typeET4_jRbjT5_SW_jjP12ihipStream_tbEUlT_E0_NS1_11comp_targetILNS1_3genE10ELNS1_11target_archE1201ELNS1_3gpuE5ELNS1_3repE0EEENS1_60segmented_radix_sort_warp_sort_medium_config_static_selectorELNS0_4arch9wavefront6targetE0EEEvSK_,comdat
.Lfunc_end923:
	.size	_ZN7rocprim17ROCPRIM_400000_NS6detail17trampoline_kernelINS0_14default_configENS1_36segmented_radix_sort_config_selectorIslEEZNS1_25segmented_radix_sort_implIS3_Lb1EPKsPsPKlPlN2at6native12_GLOBAL__N_18offset_tEEE10hipError_tPvRmT1_PNSt15iterator_traitsISK_E10value_typeET2_T3_PNSL_ISQ_E10value_typeET4_jRbjT5_SW_jjP12ihipStream_tbEUlT_E0_NS1_11comp_targetILNS1_3genE10ELNS1_11target_archE1201ELNS1_3gpuE5ELNS1_3repE0EEENS1_60segmented_radix_sort_warp_sort_medium_config_static_selectorELNS0_4arch9wavefront6targetE0EEEvSK_, .Lfunc_end923-_ZN7rocprim17ROCPRIM_400000_NS6detail17trampoline_kernelINS0_14default_configENS1_36segmented_radix_sort_config_selectorIslEEZNS1_25segmented_radix_sort_implIS3_Lb1EPKsPsPKlPlN2at6native12_GLOBAL__N_18offset_tEEE10hipError_tPvRmT1_PNSt15iterator_traitsISK_E10value_typeET2_T3_PNSL_ISQ_E10value_typeET4_jRbjT5_SW_jjP12ihipStream_tbEUlT_E0_NS1_11comp_targetILNS1_3genE10ELNS1_11target_archE1201ELNS1_3gpuE5ELNS1_3repE0EEENS1_60segmented_radix_sort_warp_sort_medium_config_static_selectorELNS0_4arch9wavefront6targetE0EEEvSK_
                                        ; -- End function
	.set _ZN7rocprim17ROCPRIM_400000_NS6detail17trampoline_kernelINS0_14default_configENS1_36segmented_radix_sort_config_selectorIslEEZNS1_25segmented_radix_sort_implIS3_Lb1EPKsPsPKlPlN2at6native12_GLOBAL__N_18offset_tEEE10hipError_tPvRmT1_PNSt15iterator_traitsISK_E10value_typeET2_T3_PNSL_ISQ_E10value_typeET4_jRbjT5_SW_jjP12ihipStream_tbEUlT_E0_NS1_11comp_targetILNS1_3genE10ELNS1_11target_archE1201ELNS1_3gpuE5ELNS1_3repE0EEENS1_60segmented_radix_sort_warp_sort_medium_config_static_selectorELNS0_4arch9wavefront6targetE0EEEvSK_.num_vgpr, 0
	.set _ZN7rocprim17ROCPRIM_400000_NS6detail17trampoline_kernelINS0_14default_configENS1_36segmented_radix_sort_config_selectorIslEEZNS1_25segmented_radix_sort_implIS3_Lb1EPKsPsPKlPlN2at6native12_GLOBAL__N_18offset_tEEE10hipError_tPvRmT1_PNSt15iterator_traitsISK_E10value_typeET2_T3_PNSL_ISQ_E10value_typeET4_jRbjT5_SW_jjP12ihipStream_tbEUlT_E0_NS1_11comp_targetILNS1_3genE10ELNS1_11target_archE1201ELNS1_3gpuE5ELNS1_3repE0EEENS1_60segmented_radix_sort_warp_sort_medium_config_static_selectorELNS0_4arch9wavefront6targetE0EEEvSK_.num_agpr, 0
	.set _ZN7rocprim17ROCPRIM_400000_NS6detail17trampoline_kernelINS0_14default_configENS1_36segmented_radix_sort_config_selectorIslEEZNS1_25segmented_radix_sort_implIS3_Lb1EPKsPsPKlPlN2at6native12_GLOBAL__N_18offset_tEEE10hipError_tPvRmT1_PNSt15iterator_traitsISK_E10value_typeET2_T3_PNSL_ISQ_E10value_typeET4_jRbjT5_SW_jjP12ihipStream_tbEUlT_E0_NS1_11comp_targetILNS1_3genE10ELNS1_11target_archE1201ELNS1_3gpuE5ELNS1_3repE0EEENS1_60segmented_radix_sort_warp_sort_medium_config_static_selectorELNS0_4arch9wavefront6targetE0EEEvSK_.numbered_sgpr, 0
	.set _ZN7rocprim17ROCPRIM_400000_NS6detail17trampoline_kernelINS0_14default_configENS1_36segmented_radix_sort_config_selectorIslEEZNS1_25segmented_radix_sort_implIS3_Lb1EPKsPsPKlPlN2at6native12_GLOBAL__N_18offset_tEEE10hipError_tPvRmT1_PNSt15iterator_traitsISK_E10value_typeET2_T3_PNSL_ISQ_E10value_typeET4_jRbjT5_SW_jjP12ihipStream_tbEUlT_E0_NS1_11comp_targetILNS1_3genE10ELNS1_11target_archE1201ELNS1_3gpuE5ELNS1_3repE0EEENS1_60segmented_radix_sort_warp_sort_medium_config_static_selectorELNS0_4arch9wavefront6targetE0EEEvSK_.num_named_barrier, 0
	.set _ZN7rocprim17ROCPRIM_400000_NS6detail17trampoline_kernelINS0_14default_configENS1_36segmented_radix_sort_config_selectorIslEEZNS1_25segmented_radix_sort_implIS3_Lb1EPKsPsPKlPlN2at6native12_GLOBAL__N_18offset_tEEE10hipError_tPvRmT1_PNSt15iterator_traitsISK_E10value_typeET2_T3_PNSL_ISQ_E10value_typeET4_jRbjT5_SW_jjP12ihipStream_tbEUlT_E0_NS1_11comp_targetILNS1_3genE10ELNS1_11target_archE1201ELNS1_3gpuE5ELNS1_3repE0EEENS1_60segmented_radix_sort_warp_sort_medium_config_static_selectorELNS0_4arch9wavefront6targetE0EEEvSK_.private_seg_size, 0
	.set _ZN7rocprim17ROCPRIM_400000_NS6detail17trampoline_kernelINS0_14default_configENS1_36segmented_radix_sort_config_selectorIslEEZNS1_25segmented_radix_sort_implIS3_Lb1EPKsPsPKlPlN2at6native12_GLOBAL__N_18offset_tEEE10hipError_tPvRmT1_PNSt15iterator_traitsISK_E10value_typeET2_T3_PNSL_ISQ_E10value_typeET4_jRbjT5_SW_jjP12ihipStream_tbEUlT_E0_NS1_11comp_targetILNS1_3genE10ELNS1_11target_archE1201ELNS1_3gpuE5ELNS1_3repE0EEENS1_60segmented_radix_sort_warp_sort_medium_config_static_selectorELNS0_4arch9wavefront6targetE0EEEvSK_.uses_vcc, 0
	.set _ZN7rocprim17ROCPRIM_400000_NS6detail17trampoline_kernelINS0_14default_configENS1_36segmented_radix_sort_config_selectorIslEEZNS1_25segmented_radix_sort_implIS3_Lb1EPKsPsPKlPlN2at6native12_GLOBAL__N_18offset_tEEE10hipError_tPvRmT1_PNSt15iterator_traitsISK_E10value_typeET2_T3_PNSL_ISQ_E10value_typeET4_jRbjT5_SW_jjP12ihipStream_tbEUlT_E0_NS1_11comp_targetILNS1_3genE10ELNS1_11target_archE1201ELNS1_3gpuE5ELNS1_3repE0EEENS1_60segmented_radix_sort_warp_sort_medium_config_static_selectorELNS0_4arch9wavefront6targetE0EEEvSK_.uses_flat_scratch, 0
	.set _ZN7rocprim17ROCPRIM_400000_NS6detail17trampoline_kernelINS0_14default_configENS1_36segmented_radix_sort_config_selectorIslEEZNS1_25segmented_radix_sort_implIS3_Lb1EPKsPsPKlPlN2at6native12_GLOBAL__N_18offset_tEEE10hipError_tPvRmT1_PNSt15iterator_traitsISK_E10value_typeET2_T3_PNSL_ISQ_E10value_typeET4_jRbjT5_SW_jjP12ihipStream_tbEUlT_E0_NS1_11comp_targetILNS1_3genE10ELNS1_11target_archE1201ELNS1_3gpuE5ELNS1_3repE0EEENS1_60segmented_radix_sort_warp_sort_medium_config_static_selectorELNS0_4arch9wavefront6targetE0EEEvSK_.has_dyn_sized_stack, 0
	.set _ZN7rocprim17ROCPRIM_400000_NS6detail17trampoline_kernelINS0_14default_configENS1_36segmented_radix_sort_config_selectorIslEEZNS1_25segmented_radix_sort_implIS3_Lb1EPKsPsPKlPlN2at6native12_GLOBAL__N_18offset_tEEE10hipError_tPvRmT1_PNSt15iterator_traitsISK_E10value_typeET2_T3_PNSL_ISQ_E10value_typeET4_jRbjT5_SW_jjP12ihipStream_tbEUlT_E0_NS1_11comp_targetILNS1_3genE10ELNS1_11target_archE1201ELNS1_3gpuE5ELNS1_3repE0EEENS1_60segmented_radix_sort_warp_sort_medium_config_static_selectorELNS0_4arch9wavefront6targetE0EEEvSK_.has_recursion, 0
	.set _ZN7rocprim17ROCPRIM_400000_NS6detail17trampoline_kernelINS0_14default_configENS1_36segmented_radix_sort_config_selectorIslEEZNS1_25segmented_radix_sort_implIS3_Lb1EPKsPsPKlPlN2at6native12_GLOBAL__N_18offset_tEEE10hipError_tPvRmT1_PNSt15iterator_traitsISK_E10value_typeET2_T3_PNSL_ISQ_E10value_typeET4_jRbjT5_SW_jjP12ihipStream_tbEUlT_E0_NS1_11comp_targetILNS1_3genE10ELNS1_11target_archE1201ELNS1_3gpuE5ELNS1_3repE0EEENS1_60segmented_radix_sort_warp_sort_medium_config_static_selectorELNS0_4arch9wavefront6targetE0EEEvSK_.has_indirect_call, 0
	.section	.AMDGPU.csdata,"",@progbits
; Kernel info:
; codeLenInByte = 0
; TotalNumSgprs: 0
; NumVgprs: 0
; ScratchSize: 0
; MemoryBound: 0
; FloatMode: 240
; IeeeMode: 1
; LDSByteSize: 0 bytes/workgroup (compile time only)
; SGPRBlocks: 0
; VGPRBlocks: 0
; NumSGPRsForWavesPerEU: 1
; NumVGPRsForWavesPerEU: 1
; NamedBarCnt: 0
; Occupancy: 16
; WaveLimiterHint : 0
; COMPUTE_PGM_RSRC2:SCRATCH_EN: 0
; COMPUTE_PGM_RSRC2:USER_SGPR: 2
; COMPUTE_PGM_RSRC2:TRAP_HANDLER: 0
; COMPUTE_PGM_RSRC2:TGID_X_EN: 1
; COMPUTE_PGM_RSRC2:TGID_Y_EN: 0
; COMPUTE_PGM_RSRC2:TGID_Z_EN: 0
; COMPUTE_PGM_RSRC2:TIDIG_COMP_CNT: 0
	.section	.text._ZN7rocprim17ROCPRIM_400000_NS6detail17trampoline_kernelINS0_14default_configENS1_36segmented_radix_sort_config_selectorIslEEZNS1_25segmented_radix_sort_implIS3_Lb1EPKsPsPKlPlN2at6native12_GLOBAL__N_18offset_tEEE10hipError_tPvRmT1_PNSt15iterator_traitsISK_E10value_typeET2_T3_PNSL_ISQ_E10value_typeET4_jRbjT5_SW_jjP12ihipStream_tbEUlT_E0_NS1_11comp_targetILNS1_3genE10ELNS1_11target_archE1200ELNS1_3gpuE4ELNS1_3repE0EEENS1_60segmented_radix_sort_warp_sort_medium_config_static_selectorELNS0_4arch9wavefront6targetE0EEEvSK_,"axG",@progbits,_ZN7rocprim17ROCPRIM_400000_NS6detail17trampoline_kernelINS0_14default_configENS1_36segmented_radix_sort_config_selectorIslEEZNS1_25segmented_radix_sort_implIS3_Lb1EPKsPsPKlPlN2at6native12_GLOBAL__N_18offset_tEEE10hipError_tPvRmT1_PNSt15iterator_traitsISK_E10value_typeET2_T3_PNSL_ISQ_E10value_typeET4_jRbjT5_SW_jjP12ihipStream_tbEUlT_E0_NS1_11comp_targetILNS1_3genE10ELNS1_11target_archE1200ELNS1_3gpuE4ELNS1_3repE0EEENS1_60segmented_radix_sort_warp_sort_medium_config_static_selectorELNS0_4arch9wavefront6targetE0EEEvSK_,comdat
	.globl	_ZN7rocprim17ROCPRIM_400000_NS6detail17trampoline_kernelINS0_14default_configENS1_36segmented_radix_sort_config_selectorIslEEZNS1_25segmented_radix_sort_implIS3_Lb1EPKsPsPKlPlN2at6native12_GLOBAL__N_18offset_tEEE10hipError_tPvRmT1_PNSt15iterator_traitsISK_E10value_typeET2_T3_PNSL_ISQ_E10value_typeET4_jRbjT5_SW_jjP12ihipStream_tbEUlT_E0_NS1_11comp_targetILNS1_3genE10ELNS1_11target_archE1200ELNS1_3gpuE4ELNS1_3repE0EEENS1_60segmented_radix_sort_warp_sort_medium_config_static_selectorELNS0_4arch9wavefront6targetE0EEEvSK_ ; -- Begin function _ZN7rocprim17ROCPRIM_400000_NS6detail17trampoline_kernelINS0_14default_configENS1_36segmented_radix_sort_config_selectorIslEEZNS1_25segmented_radix_sort_implIS3_Lb1EPKsPsPKlPlN2at6native12_GLOBAL__N_18offset_tEEE10hipError_tPvRmT1_PNSt15iterator_traitsISK_E10value_typeET2_T3_PNSL_ISQ_E10value_typeET4_jRbjT5_SW_jjP12ihipStream_tbEUlT_E0_NS1_11comp_targetILNS1_3genE10ELNS1_11target_archE1200ELNS1_3gpuE4ELNS1_3repE0EEENS1_60segmented_radix_sort_warp_sort_medium_config_static_selectorELNS0_4arch9wavefront6targetE0EEEvSK_
	.p2align	8
	.type	_ZN7rocprim17ROCPRIM_400000_NS6detail17trampoline_kernelINS0_14default_configENS1_36segmented_radix_sort_config_selectorIslEEZNS1_25segmented_radix_sort_implIS3_Lb1EPKsPsPKlPlN2at6native12_GLOBAL__N_18offset_tEEE10hipError_tPvRmT1_PNSt15iterator_traitsISK_E10value_typeET2_T3_PNSL_ISQ_E10value_typeET4_jRbjT5_SW_jjP12ihipStream_tbEUlT_E0_NS1_11comp_targetILNS1_3genE10ELNS1_11target_archE1200ELNS1_3gpuE4ELNS1_3repE0EEENS1_60segmented_radix_sort_warp_sort_medium_config_static_selectorELNS0_4arch9wavefront6targetE0EEEvSK_,@function
_ZN7rocprim17ROCPRIM_400000_NS6detail17trampoline_kernelINS0_14default_configENS1_36segmented_radix_sort_config_selectorIslEEZNS1_25segmented_radix_sort_implIS3_Lb1EPKsPsPKlPlN2at6native12_GLOBAL__N_18offset_tEEE10hipError_tPvRmT1_PNSt15iterator_traitsISK_E10value_typeET2_T3_PNSL_ISQ_E10value_typeET4_jRbjT5_SW_jjP12ihipStream_tbEUlT_E0_NS1_11comp_targetILNS1_3genE10ELNS1_11target_archE1200ELNS1_3gpuE4ELNS1_3repE0EEENS1_60segmented_radix_sort_warp_sort_medium_config_static_selectorELNS0_4arch9wavefront6targetE0EEEvSK_: ; @_ZN7rocprim17ROCPRIM_400000_NS6detail17trampoline_kernelINS0_14default_configENS1_36segmented_radix_sort_config_selectorIslEEZNS1_25segmented_radix_sort_implIS3_Lb1EPKsPsPKlPlN2at6native12_GLOBAL__N_18offset_tEEE10hipError_tPvRmT1_PNSt15iterator_traitsISK_E10value_typeET2_T3_PNSL_ISQ_E10value_typeET4_jRbjT5_SW_jjP12ihipStream_tbEUlT_E0_NS1_11comp_targetILNS1_3genE10ELNS1_11target_archE1200ELNS1_3gpuE4ELNS1_3repE0EEENS1_60segmented_radix_sort_warp_sort_medium_config_static_selectorELNS0_4arch9wavefront6targetE0EEEvSK_
; %bb.0:
	.section	.rodata,"a",@progbits
	.p2align	6, 0x0
	.amdhsa_kernel _ZN7rocprim17ROCPRIM_400000_NS6detail17trampoline_kernelINS0_14default_configENS1_36segmented_radix_sort_config_selectorIslEEZNS1_25segmented_radix_sort_implIS3_Lb1EPKsPsPKlPlN2at6native12_GLOBAL__N_18offset_tEEE10hipError_tPvRmT1_PNSt15iterator_traitsISK_E10value_typeET2_T3_PNSL_ISQ_E10value_typeET4_jRbjT5_SW_jjP12ihipStream_tbEUlT_E0_NS1_11comp_targetILNS1_3genE10ELNS1_11target_archE1200ELNS1_3gpuE4ELNS1_3repE0EEENS1_60segmented_radix_sort_warp_sort_medium_config_static_selectorELNS0_4arch9wavefront6targetE0EEEvSK_
		.amdhsa_group_segment_fixed_size 0
		.amdhsa_private_segment_fixed_size 0
		.amdhsa_kernarg_size 88
		.amdhsa_user_sgpr_count 2
		.amdhsa_user_sgpr_dispatch_ptr 0
		.amdhsa_user_sgpr_queue_ptr 0
		.amdhsa_user_sgpr_kernarg_segment_ptr 1
		.amdhsa_user_sgpr_dispatch_id 0
		.amdhsa_user_sgpr_kernarg_preload_length 0
		.amdhsa_user_sgpr_kernarg_preload_offset 0
		.amdhsa_user_sgpr_private_segment_size 0
		.amdhsa_wavefront_size32 1
		.amdhsa_uses_dynamic_stack 0
		.amdhsa_enable_private_segment 0
		.amdhsa_system_sgpr_workgroup_id_x 1
		.amdhsa_system_sgpr_workgroup_id_y 0
		.amdhsa_system_sgpr_workgroup_id_z 0
		.amdhsa_system_sgpr_workgroup_info 0
		.amdhsa_system_vgpr_workitem_id 0
		.amdhsa_next_free_vgpr 1
		.amdhsa_next_free_sgpr 1
		.amdhsa_named_barrier_count 0
		.amdhsa_reserve_vcc 0
		.amdhsa_float_round_mode_32 0
		.amdhsa_float_round_mode_16_64 0
		.amdhsa_float_denorm_mode_32 3
		.amdhsa_float_denorm_mode_16_64 3
		.amdhsa_fp16_overflow 0
		.amdhsa_memory_ordered 1
		.amdhsa_forward_progress 1
		.amdhsa_inst_pref_size 0
		.amdhsa_round_robin_scheduling 0
		.amdhsa_exception_fp_ieee_invalid_op 0
		.amdhsa_exception_fp_denorm_src 0
		.amdhsa_exception_fp_ieee_div_zero 0
		.amdhsa_exception_fp_ieee_overflow 0
		.amdhsa_exception_fp_ieee_underflow 0
		.amdhsa_exception_fp_ieee_inexact 0
		.amdhsa_exception_int_div_zero 0
	.end_amdhsa_kernel
	.section	.text._ZN7rocprim17ROCPRIM_400000_NS6detail17trampoline_kernelINS0_14default_configENS1_36segmented_radix_sort_config_selectorIslEEZNS1_25segmented_radix_sort_implIS3_Lb1EPKsPsPKlPlN2at6native12_GLOBAL__N_18offset_tEEE10hipError_tPvRmT1_PNSt15iterator_traitsISK_E10value_typeET2_T3_PNSL_ISQ_E10value_typeET4_jRbjT5_SW_jjP12ihipStream_tbEUlT_E0_NS1_11comp_targetILNS1_3genE10ELNS1_11target_archE1200ELNS1_3gpuE4ELNS1_3repE0EEENS1_60segmented_radix_sort_warp_sort_medium_config_static_selectorELNS0_4arch9wavefront6targetE0EEEvSK_,"axG",@progbits,_ZN7rocprim17ROCPRIM_400000_NS6detail17trampoline_kernelINS0_14default_configENS1_36segmented_radix_sort_config_selectorIslEEZNS1_25segmented_radix_sort_implIS3_Lb1EPKsPsPKlPlN2at6native12_GLOBAL__N_18offset_tEEE10hipError_tPvRmT1_PNSt15iterator_traitsISK_E10value_typeET2_T3_PNSL_ISQ_E10value_typeET4_jRbjT5_SW_jjP12ihipStream_tbEUlT_E0_NS1_11comp_targetILNS1_3genE10ELNS1_11target_archE1200ELNS1_3gpuE4ELNS1_3repE0EEENS1_60segmented_radix_sort_warp_sort_medium_config_static_selectorELNS0_4arch9wavefront6targetE0EEEvSK_,comdat
.Lfunc_end924:
	.size	_ZN7rocprim17ROCPRIM_400000_NS6detail17trampoline_kernelINS0_14default_configENS1_36segmented_radix_sort_config_selectorIslEEZNS1_25segmented_radix_sort_implIS3_Lb1EPKsPsPKlPlN2at6native12_GLOBAL__N_18offset_tEEE10hipError_tPvRmT1_PNSt15iterator_traitsISK_E10value_typeET2_T3_PNSL_ISQ_E10value_typeET4_jRbjT5_SW_jjP12ihipStream_tbEUlT_E0_NS1_11comp_targetILNS1_3genE10ELNS1_11target_archE1200ELNS1_3gpuE4ELNS1_3repE0EEENS1_60segmented_radix_sort_warp_sort_medium_config_static_selectorELNS0_4arch9wavefront6targetE0EEEvSK_, .Lfunc_end924-_ZN7rocprim17ROCPRIM_400000_NS6detail17trampoline_kernelINS0_14default_configENS1_36segmented_radix_sort_config_selectorIslEEZNS1_25segmented_radix_sort_implIS3_Lb1EPKsPsPKlPlN2at6native12_GLOBAL__N_18offset_tEEE10hipError_tPvRmT1_PNSt15iterator_traitsISK_E10value_typeET2_T3_PNSL_ISQ_E10value_typeET4_jRbjT5_SW_jjP12ihipStream_tbEUlT_E0_NS1_11comp_targetILNS1_3genE10ELNS1_11target_archE1200ELNS1_3gpuE4ELNS1_3repE0EEENS1_60segmented_radix_sort_warp_sort_medium_config_static_selectorELNS0_4arch9wavefront6targetE0EEEvSK_
                                        ; -- End function
	.set _ZN7rocprim17ROCPRIM_400000_NS6detail17trampoline_kernelINS0_14default_configENS1_36segmented_radix_sort_config_selectorIslEEZNS1_25segmented_radix_sort_implIS3_Lb1EPKsPsPKlPlN2at6native12_GLOBAL__N_18offset_tEEE10hipError_tPvRmT1_PNSt15iterator_traitsISK_E10value_typeET2_T3_PNSL_ISQ_E10value_typeET4_jRbjT5_SW_jjP12ihipStream_tbEUlT_E0_NS1_11comp_targetILNS1_3genE10ELNS1_11target_archE1200ELNS1_3gpuE4ELNS1_3repE0EEENS1_60segmented_radix_sort_warp_sort_medium_config_static_selectorELNS0_4arch9wavefront6targetE0EEEvSK_.num_vgpr, 0
	.set _ZN7rocprim17ROCPRIM_400000_NS6detail17trampoline_kernelINS0_14default_configENS1_36segmented_radix_sort_config_selectorIslEEZNS1_25segmented_radix_sort_implIS3_Lb1EPKsPsPKlPlN2at6native12_GLOBAL__N_18offset_tEEE10hipError_tPvRmT1_PNSt15iterator_traitsISK_E10value_typeET2_T3_PNSL_ISQ_E10value_typeET4_jRbjT5_SW_jjP12ihipStream_tbEUlT_E0_NS1_11comp_targetILNS1_3genE10ELNS1_11target_archE1200ELNS1_3gpuE4ELNS1_3repE0EEENS1_60segmented_radix_sort_warp_sort_medium_config_static_selectorELNS0_4arch9wavefront6targetE0EEEvSK_.num_agpr, 0
	.set _ZN7rocprim17ROCPRIM_400000_NS6detail17trampoline_kernelINS0_14default_configENS1_36segmented_radix_sort_config_selectorIslEEZNS1_25segmented_radix_sort_implIS3_Lb1EPKsPsPKlPlN2at6native12_GLOBAL__N_18offset_tEEE10hipError_tPvRmT1_PNSt15iterator_traitsISK_E10value_typeET2_T3_PNSL_ISQ_E10value_typeET4_jRbjT5_SW_jjP12ihipStream_tbEUlT_E0_NS1_11comp_targetILNS1_3genE10ELNS1_11target_archE1200ELNS1_3gpuE4ELNS1_3repE0EEENS1_60segmented_radix_sort_warp_sort_medium_config_static_selectorELNS0_4arch9wavefront6targetE0EEEvSK_.numbered_sgpr, 0
	.set _ZN7rocprim17ROCPRIM_400000_NS6detail17trampoline_kernelINS0_14default_configENS1_36segmented_radix_sort_config_selectorIslEEZNS1_25segmented_radix_sort_implIS3_Lb1EPKsPsPKlPlN2at6native12_GLOBAL__N_18offset_tEEE10hipError_tPvRmT1_PNSt15iterator_traitsISK_E10value_typeET2_T3_PNSL_ISQ_E10value_typeET4_jRbjT5_SW_jjP12ihipStream_tbEUlT_E0_NS1_11comp_targetILNS1_3genE10ELNS1_11target_archE1200ELNS1_3gpuE4ELNS1_3repE0EEENS1_60segmented_radix_sort_warp_sort_medium_config_static_selectorELNS0_4arch9wavefront6targetE0EEEvSK_.num_named_barrier, 0
	.set _ZN7rocprim17ROCPRIM_400000_NS6detail17trampoline_kernelINS0_14default_configENS1_36segmented_radix_sort_config_selectorIslEEZNS1_25segmented_radix_sort_implIS3_Lb1EPKsPsPKlPlN2at6native12_GLOBAL__N_18offset_tEEE10hipError_tPvRmT1_PNSt15iterator_traitsISK_E10value_typeET2_T3_PNSL_ISQ_E10value_typeET4_jRbjT5_SW_jjP12ihipStream_tbEUlT_E0_NS1_11comp_targetILNS1_3genE10ELNS1_11target_archE1200ELNS1_3gpuE4ELNS1_3repE0EEENS1_60segmented_radix_sort_warp_sort_medium_config_static_selectorELNS0_4arch9wavefront6targetE0EEEvSK_.private_seg_size, 0
	.set _ZN7rocprim17ROCPRIM_400000_NS6detail17trampoline_kernelINS0_14default_configENS1_36segmented_radix_sort_config_selectorIslEEZNS1_25segmented_radix_sort_implIS3_Lb1EPKsPsPKlPlN2at6native12_GLOBAL__N_18offset_tEEE10hipError_tPvRmT1_PNSt15iterator_traitsISK_E10value_typeET2_T3_PNSL_ISQ_E10value_typeET4_jRbjT5_SW_jjP12ihipStream_tbEUlT_E0_NS1_11comp_targetILNS1_3genE10ELNS1_11target_archE1200ELNS1_3gpuE4ELNS1_3repE0EEENS1_60segmented_radix_sort_warp_sort_medium_config_static_selectorELNS0_4arch9wavefront6targetE0EEEvSK_.uses_vcc, 0
	.set _ZN7rocprim17ROCPRIM_400000_NS6detail17trampoline_kernelINS0_14default_configENS1_36segmented_radix_sort_config_selectorIslEEZNS1_25segmented_radix_sort_implIS3_Lb1EPKsPsPKlPlN2at6native12_GLOBAL__N_18offset_tEEE10hipError_tPvRmT1_PNSt15iterator_traitsISK_E10value_typeET2_T3_PNSL_ISQ_E10value_typeET4_jRbjT5_SW_jjP12ihipStream_tbEUlT_E0_NS1_11comp_targetILNS1_3genE10ELNS1_11target_archE1200ELNS1_3gpuE4ELNS1_3repE0EEENS1_60segmented_radix_sort_warp_sort_medium_config_static_selectorELNS0_4arch9wavefront6targetE0EEEvSK_.uses_flat_scratch, 0
	.set _ZN7rocprim17ROCPRIM_400000_NS6detail17trampoline_kernelINS0_14default_configENS1_36segmented_radix_sort_config_selectorIslEEZNS1_25segmented_radix_sort_implIS3_Lb1EPKsPsPKlPlN2at6native12_GLOBAL__N_18offset_tEEE10hipError_tPvRmT1_PNSt15iterator_traitsISK_E10value_typeET2_T3_PNSL_ISQ_E10value_typeET4_jRbjT5_SW_jjP12ihipStream_tbEUlT_E0_NS1_11comp_targetILNS1_3genE10ELNS1_11target_archE1200ELNS1_3gpuE4ELNS1_3repE0EEENS1_60segmented_radix_sort_warp_sort_medium_config_static_selectorELNS0_4arch9wavefront6targetE0EEEvSK_.has_dyn_sized_stack, 0
	.set _ZN7rocprim17ROCPRIM_400000_NS6detail17trampoline_kernelINS0_14default_configENS1_36segmented_radix_sort_config_selectorIslEEZNS1_25segmented_radix_sort_implIS3_Lb1EPKsPsPKlPlN2at6native12_GLOBAL__N_18offset_tEEE10hipError_tPvRmT1_PNSt15iterator_traitsISK_E10value_typeET2_T3_PNSL_ISQ_E10value_typeET4_jRbjT5_SW_jjP12ihipStream_tbEUlT_E0_NS1_11comp_targetILNS1_3genE10ELNS1_11target_archE1200ELNS1_3gpuE4ELNS1_3repE0EEENS1_60segmented_radix_sort_warp_sort_medium_config_static_selectorELNS0_4arch9wavefront6targetE0EEEvSK_.has_recursion, 0
	.set _ZN7rocprim17ROCPRIM_400000_NS6detail17trampoline_kernelINS0_14default_configENS1_36segmented_radix_sort_config_selectorIslEEZNS1_25segmented_radix_sort_implIS3_Lb1EPKsPsPKlPlN2at6native12_GLOBAL__N_18offset_tEEE10hipError_tPvRmT1_PNSt15iterator_traitsISK_E10value_typeET2_T3_PNSL_ISQ_E10value_typeET4_jRbjT5_SW_jjP12ihipStream_tbEUlT_E0_NS1_11comp_targetILNS1_3genE10ELNS1_11target_archE1200ELNS1_3gpuE4ELNS1_3repE0EEENS1_60segmented_radix_sort_warp_sort_medium_config_static_selectorELNS0_4arch9wavefront6targetE0EEEvSK_.has_indirect_call, 0
	.section	.AMDGPU.csdata,"",@progbits
; Kernel info:
; codeLenInByte = 0
; TotalNumSgprs: 0
; NumVgprs: 0
; ScratchSize: 0
; MemoryBound: 0
; FloatMode: 240
; IeeeMode: 1
; LDSByteSize: 0 bytes/workgroup (compile time only)
; SGPRBlocks: 0
; VGPRBlocks: 0
; NumSGPRsForWavesPerEU: 1
; NumVGPRsForWavesPerEU: 1
; NamedBarCnt: 0
; Occupancy: 16
; WaveLimiterHint : 0
; COMPUTE_PGM_RSRC2:SCRATCH_EN: 0
; COMPUTE_PGM_RSRC2:USER_SGPR: 2
; COMPUTE_PGM_RSRC2:TRAP_HANDLER: 0
; COMPUTE_PGM_RSRC2:TGID_X_EN: 1
; COMPUTE_PGM_RSRC2:TGID_Y_EN: 0
; COMPUTE_PGM_RSRC2:TGID_Z_EN: 0
; COMPUTE_PGM_RSRC2:TIDIG_COMP_CNT: 0
	.section	.text._ZN7rocprim17ROCPRIM_400000_NS6detail17trampoline_kernelINS0_14default_configENS1_36segmented_radix_sort_config_selectorIslEEZNS1_25segmented_radix_sort_implIS3_Lb1EPKsPsPKlPlN2at6native12_GLOBAL__N_18offset_tEEE10hipError_tPvRmT1_PNSt15iterator_traitsISK_E10value_typeET2_T3_PNSL_ISQ_E10value_typeET4_jRbjT5_SW_jjP12ihipStream_tbEUlT_E0_NS1_11comp_targetILNS1_3genE9ELNS1_11target_archE1100ELNS1_3gpuE3ELNS1_3repE0EEENS1_60segmented_radix_sort_warp_sort_medium_config_static_selectorELNS0_4arch9wavefront6targetE0EEEvSK_,"axG",@progbits,_ZN7rocprim17ROCPRIM_400000_NS6detail17trampoline_kernelINS0_14default_configENS1_36segmented_radix_sort_config_selectorIslEEZNS1_25segmented_radix_sort_implIS3_Lb1EPKsPsPKlPlN2at6native12_GLOBAL__N_18offset_tEEE10hipError_tPvRmT1_PNSt15iterator_traitsISK_E10value_typeET2_T3_PNSL_ISQ_E10value_typeET4_jRbjT5_SW_jjP12ihipStream_tbEUlT_E0_NS1_11comp_targetILNS1_3genE9ELNS1_11target_archE1100ELNS1_3gpuE3ELNS1_3repE0EEENS1_60segmented_radix_sort_warp_sort_medium_config_static_selectorELNS0_4arch9wavefront6targetE0EEEvSK_,comdat
	.globl	_ZN7rocprim17ROCPRIM_400000_NS6detail17trampoline_kernelINS0_14default_configENS1_36segmented_radix_sort_config_selectorIslEEZNS1_25segmented_radix_sort_implIS3_Lb1EPKsPsPKlPlN2at6native12_GLOBAL__N_18offset_tEEE10hipError_tPvRmT1_PNSt15iterator_traitsISK_E10value_typeET2_T3_PNSL_ISQ_E10value_typeET4_jRbjT5_SW_jjP12ihipStream_tbEUlT_E0_NS1_11comp_targetILNS1_3genE9ELNS1_11target_archE1100ELNS1_3gpuE3ELNS1_3repE0EEENS1_60segmented_radix_sort_warp_sort_medium_config_static_selectorELNS0_4arch9wavefront6targetE0EEEvSK_ ; -- Begin function _ZN7rocprim17ROCPRIM_400000_NS6detail17trampoline_kernelINS0_14default_configENS1_36segmented_radix_sort_config_selectorIslEEZNS1_25segmented_radix_sort_implIS3_Lb1EPKsPsPKlPlN2at6native12_GLOBAL__N_18offset_tEEE10hipError_tPvRmT1_PNSt15iterator_traitsISK_E10value_typeET2_T3_PNSL_ISQ_E10value_typeET4_jRbjT5_SW_jjP12ihipStream_tbEUlT_E0_NS1_11comp_targetILNS1_3genE9ELNS1_11target_archE1100ELNS1_3gpuE3ELNS1_3repE0EEENS1_60segmented_radix_sort_warp_sort_medium_config_static_selectorELNS0_4arch9wavefront6targetE0EEEvSK_
	.p2align	8
	.type	_ZN7rocprim17ROCPRIM_400000_NS6detail17trampoline_kernelINS0_14default_configENS1_36segmented_radix_sort_config_selectorIslEEZNS1_25segmented_radix_sort_implIS3_Lb1EPKsPsPKlPlN2at6native12_GLOBAL__N_18offset_tEEE10hipError_tPvRmT1_PNSt15iterator_traitsISK_E10value_typeET2_T3_PNSL_ISQ_E10value_typeET4_jRbjT5_SW_jjP12ihipStream_tbEUlT_E0_NS1_11comp_targetILNS1_3genE9ELNS1_11target_archE1100ELNS1_3gpuE3ELNS1_3repE0EEENS1_60segmented_radix_sort_warp_sort_medium_config_static_selectorELNS0_4arch9wavefront6targetE0EEEvSK_,@function
_ZN7rocprim17ROCPRIM_400000_NS6detail17trampoline_kernelINS0_14default_configENS1_36segmented_radix_sort_config_selectorIslEEZNS1_25segmented_radix_sort_implIS3_Lb1EPKsPsPKlPlN2at6native12_GLOBAL__N_18offset_tEEE10hipError_tPvRmT1_PNSt15iterator_traitsISK_E10value_typeET2_T3_PNSL_ISQ_E10value_typeET4_jRbjT5_SW_jjP12ihipStream_tbEUlT_E0_NS1_11comp_targetILNS1_3genE9ELNS1_11target_archE1100ELNS1_3gpuE3ELNS1_3repE0EEENS1_60segmented_radix_sort_warp_sort_medium_config_static_selectorELNS0_4arch9wavefront6targetE0EEEvSK_: ; @_ZN7rocprim17ROCPRIM_400000_NS6detail17trampoline_kernelINS0_14default_configENS1_36segmented_radix_sort_config_selectorIslEEZNS1_25segmented_radix_sort_implIS3_Lb1EPKsPsPKlPlN2at6native12_GLOBAL__N_18offset_tEEE10hipError_tPvRmT1_PNSt15iterator_traitsISK_E10value_typeET2_T3_PNSL_ISQ_E10value_typeET4_jRbjT5_SW_jjP12ihipStream_tbEUlT_E0_NS1_11comp_targetILNS1_3genE9ELNS1_11target_archE1100ELNS1_3gpuE3ELNS1_3repE0EEENS1_60segmented_radix_sort_warp_sort_medium_config_static_selectorELNS0_4arch9wavefront6targetE0EEEvSK_
; %bb.0:
	.section	.rodata,"a",@progbits
	.p2align	6, 0x0
	.amdhsa_kernel _ZN7rocprim17ROCPRIM_400000_NS6detail17trampoline_kernelINS0_14default_configENS1_36segmented_radix_sort_config_selectorIslEEZNS1_25segmented_radix_sort_implIS3_Lb1EPKsPsPKlPlN2at6native12_GLOBAL__N_18offset_tEEE10hipError_tPvRmT1_PNSt15iterator_traitsISK_E10value_typeET2_T3_PNSL_ISQ_E10value_typeET4_jRbjT5_SW_jjP12ihipStream_tbEUlT_E0_NS1_11comp_targetILNS1_3genE9ELNS1_11target_archE1100ELNS1_3gpuE3ELNS1_3repE0EEENS1_60segmented_radix_sort_warp_sort_medium_config_static_selectorELNS0_4arch9wavefront6targetE0EEEvSK_
		.amdhsa_group_segment_fixed_size 0
		.amdhsa_private_segment_fixed_size 0
		.amdhsa_kernarg_size 88
		.amdhsa_user_sgpr_count 2
		.amdhsa_user_sgpr_dispatch_ptr 0
		.amdhsa_user_sgpr_queue_ptr 0
		.amdhsa_user_sgpr_kernarg_segment_ptr 1
		.amdhsa_user_sgpr_dispatch_id 0
		.amdhsa_user_sgpr_kernarg_preload_length 0
		.amdhsa_user_sgpr_kernarg_preload_offset 0
		.amdhsa_user_sgpr_private_segment_size 0
		.amdhsa_wavefront_size32 1
		.amdhsa_uses_dynamic_stack 0
		.amdhsa_enable_private_segment 0
		.amdhsa_system_sgpr_workgroup_id_x 1
		.amdhsa_system_sgpr_workgroup_id_y 0
		.amdhsa_system_sgpr_workgroup_id_z 0
		.amdhsa_system_sgpr_workgroup_info 0
		.amdhsa_system_vgpr_workitem_id 0
		.amdhsa_next_free_vgpr 1
		.amdhsa_next_free_sgpr 1
		.amdhsa_named_barrier_count 0
		.amdhsa_reserve_vcc 0
		.amdhsa_float_round_mode_32 0
		.amdhsa_float_round_mode_16_64 0
		.amdhsa_float_denorm_mode_32 3
		.amdhsa_float_denorm_mode_16_64 3
		.amdhsa_fp16_overflow 0
		.amdhsa_memory_ordered 1
		.amdhsa_forward_progress 1
		.amdhsa_inst_pref_size 0
		.amdhsa_round_robin_scheduling 0
		.amdhsa_exception_fp_ieee_invalid_op 0
		.amdhsa_exception_fp_denorm_src 0
		.amdhsa_exception_fp_ieee_div_zero 0
		.amdhsa_exception_fp_ieee_overflow 0
		.amdhsa_exception_fp_ieee_underflow 0
		.amdhsa_exception_fp_ieee_inexact 0
		.amdhsa_exception_int_div_zero 0
	.end_amdhsa_kernel
	.section	.text._ZN7rocprim17ROCPRIM_400000_NS6detail17trampoline_kernelINS0_14default_configENS1_36segmented_radix_sort_config_selectorIslEEZNS1_25segmented_radix_sort_implIS3_Lb1EPKsPsPKlPlN2at6native12_GLOBAL__N_18offset_tEEE10hipError_tPvRmT1_PNSt15iterator_traitsISK_E10value_typeET2_T3_PNSL_ISQ_E10value_typeET4_jRbjT5_SW_jjP12ihipStream_tbEUlT_E0_NS1_11comp_targetILNS1_3genE9ELNS1_11target_archE1100ELNS1_3gpuE3ELNS1_3repE0EEENS1_60segmented_radix_sort_warp_sort_medium_config_static_selectorELNS0_4arch9wavefront6targetE0EEEvSK_,"axG",@progbits,_ZN7rocprim17ROCPRIM_400000_NS6detail17trampoline_kernelINS0_14default_configENS1_36segmented_radix_sort_config_selectorIslEEZNS1_25segmented_radix_sort_implIS3_Lb1EPKsPsPKlPlN2at6native12_GLOBAL__N_18offset_tEEE10hipError_tPvRmT1_PNSt15iterator_traitsISK_E10value_typeET2_T3_PNSL_ISQ_E10value_typeET4_jRbjT5_SW_jjP12ihipStream_tbEUlT_E0_NS1_11comp_targetILNS1_3genE9ELNS1_11target_archE1100ELNS1_3gpuE3ELNS1_3repE0EEENS1_60segmented_radix_sort_warp_sort_medium_config_static_selectorELNS0_4arch9wavefront6targetE0EEEvSK_,comdat
.Lfunc_end925:
	.size	_ZN7rocprim17ROCPRIM_400000_NS6detail17trampoline_kernelINS0_14default_configENS1_36segmented_radix_sort_config_selectorIslEEZNS1_25segmented_radix_sort_implIS3_Lb1EPKsPsPKlPlN2at6native12_GLOBAL__N_18offset_tEEE10hipError_tPvRmT1_PNSt15iterator_traitsISK_E10value_typeET2_T3_PNSL_ISQ_E10value_typeET4_jRbjT5_SW_jjP12ihipStream_tbEUlT_E0_NS1_11comp_targetILNS1_3genE9ELNS1_11target_archE1100ELNS1_3gpuE3ELNS1_3repE0EEENS1_60segmented_radix_sort_warp_sort_medium_config_static_selectorELNS0_4arch9wavefront6targetE0EEEvSK_, .Lfunc_end925-_ZN7rocprim17ROCPRIM_400000_NS6detail17trampoline_kernelINS0_14default_configENS1_36segmented_radix_sort_config_selectorIslEEZNS1_25segmented_radix_sort_implIS3_Lb1EPKsPsPKlPlN2at6native12_GLOBAL__N_18offset_tEEE10hipError_tPvRmT1_PNSt15iterator_traitsISK_E10value_typeET2_T3_PNSL_ISQ_E10value_typeET4_jRbjT5_SW_jjP12ihipStream_tbEUlT_E0_NS1_11comp_targetILNS1_3genE9ELNS1_11target_archE1100ELNS1_3gpuE3ELNS1_3repE0EEENS1_60segmented_radix_sort_warp_sort_medium_config_static_selectorELNS0_4arch9wavefront6targetE0EEEvSK_
                                        ; -- End function
	.set _ZN7rocprim17ROCPRIM_400000_NS6detail17trampoline_kernelINS0_14default_configENS1_36segmented_radix_sort_config_selectorIslEEZNS1_25segmented_radix_sort_implIS3_Lb1EPKsPsPKlPlN2at6native12_GLOBAL__N_18offset_tEEE10hipError_tPvRmT1_PNSt15iterator_traitsISK_E10value_typeET2_T3_PNSL_ISQ_E10value_typeET4_jRbjT5_SW_jjP12ihipStream_tbEUlT_E0_NS1_11comp_targetILNS1_3genE9ELNS1_11target_archE1100ELNS1_3gpuE3ELNS1_3repE0EEENS1_60segmented_radix_sort_warp_sort_medium_config_static_selectorELNS0_4arch9wavefront6targetE0EEEvSK_.num_vgpr, 0
	.set _ZN7rocprim17ROCPRIM_400000_NS6detail17trampoline_kernelINS0_14default_configENS1_36segmented_radix_sort_config_selectorIslEEZNS1_25segmented_radix_sort_implIS3_Lb1EPKsPsPKlPlN2at6native12_GLOBAL__N_18offset_tEEE10hipError_tPvRmT1_PNSt15iterator_traitsISK_E10value_typeET2_T3_PNSL_ISQ_E10value_typeET4_jRbjT5_SW_jjP12ihipStream_tbEUlT_E0_NS1_11comp_targetILNS1_3genE9ELNS1_11target_archE1100ELNS1_3gpuE3ELNS1_3repE0EEENS1_60segmented_radix_sort_warp_sort_medium_config_static_selectorELNS0_4arch9wavefront6targetE0EEEvSK_.num_agpr, 0
	.set _ZN7rocprim17ROCPRIM_400000_NS6detail17trampoline_kernelINS0_14default_configENS1_36segmented_radix_sort_config_selectorIslEEZNS1_25segmented_radix_sort_implIS3_Lb1EPKsPsPKlPlN2at6native12_GLOBAL__N_18offset_tEEE10hipError_tPvRmT1_PNSt15iterator_traitsISK_E10value_typeET2_T3_PNSL_ISQ_E10value_typeET4_jRbjT5_SW_jjP12ihipStream_tbEUlT_E0_NS1_11comp_targetILNS1_3genE9ELNS1_11target_archE1100ELNS1_3gpuE3ELNS1_3repE0EEENS1_60segmented_radix_sort_warp_sort_medium_config_static_selectorELNS0_4arch9wavefront6targetE0EEEvSK_.numbered_sgpr, 0
	.set _ZN7rocprim17ROCPRIM_400000_NS6detail17trampoline_kernelINS0_14default_configENS1_36segmented_radix_sort_config_selectorIslEEZNS1_25segmented_radix_sort_implIS3_Lb1EPKsPsPKlPlN2at6native12_GLOBAL__N_18offset_tEEE10hipError_tPvRmT1_PNSt15iterator_traitsISK_E10value_typeET2_T3_PNSL_ISQ_E10value_typeET4_jRbjT5_SW_jjP12ihipStream_tbEUlT_E0_NS1_11comp_targetILNS1_3genE9ELNS1_11target_archE1100ELNS1_3gpuE3ELNS1_3repE0EEENS1_60segmented_radix_sort_warp_sort_medium_config_static_selectorELNS0_4arch9wavefront6targetE0EEEvSK_.num_named_barrier, 0
	.set _ZN7rocprim17ROCPRIM_400000_NS6detail17trampoline_kernelINS0_14default_configENS1_36segmented_radix_sort_config_selectorIslEEZNS1_25segmented_radix_sort_implIS3_Lb1EPKsPsPKlPlN2at6native12_GLOBAL__N_18offset_tEEE10hipError_tPvRmT1_PNSt15iterator_traitsISK_E10value_typeET2_T3_PNSL_ISQ_E10value_typeET4_jRbjT5_SW_jjP12ihipStream_tbEUlT_E0_NS1_11comp_targetILNS1_3genE9ELNS1_11target_archE1100ELNS1_3gpuE3ELNS1_3repE0EEENS1_60segmented_radix_sort_warp_sort_medium_config_static_selectorELNS0_4arch9wavefront6targetE0EEEvSK_.private_seg_size, 0
	.set _ZN7rocprim17ROCPRIM_400000_NS6detail17trampoline_kernelINS0_14default_configENS1_36segmented_radix_sort_config_selectorIslEEZNS1_25segmented_radix_sort_implIS3_Lb1EPKsPsPKlPlN2at6native12_GLOBAL__N_18offset_tEEE10hipError_tPvRmT1_PNSt15iterator_traitsISK_E10value_typeET2_T3_PNSL_ISQ_E10value_typeET4_jRbjT5_SW_jjP12ihipStream_tbEUlT_E0_NS1_11comp_targetILNS1_3genE9ELNS1_11target_archE1100ELNS1_3gpuE3ELNS1_3repE0EEENS1_60segmented_radix_sort_warp_sort_medium_config_static_selectorELNS0_4arch9wavefront6targetE0EEEvSK_.uses_vcc, 0
	.set _ZN7rocprim17ROCPRIM_400000_NS6detail17trampoline_kernelINS0_14default_configENS1_36segmented_radix_sort_config_selectorIslEEZNS1_25segmented_radix_sort_implIS3_Lb1EPKsPsPKlPlN2at6native12_GLOBAL__N_18offset_tEEE10hipError_tPvRmT1_PNSt15iterator_traitsISK_E10value_typeET2_T3_PNSL_ISQ_E10value_typeET4_jRbjT5_SW_jjP12ihipStream_tbEUlT_E0_NS1_11comp_targetILNS1_3genE9ELNS1_11target_archE1100ELNS1_3gpuE3ELNS1_3repE0EEENS1_60segmented_radix_sort_warp_sort_medium_config_static_selectorELNS0_4arch9wavefront6targetE0EEEvSK_.uses_flat_scratch, 0
	.set _ZN7rocprim17ROCPRIM_400000_NS6detail17trampoline_kernelINS0_14default_configENS1_36segmented_radix_sort_config_selectorIslEEZNS1_25segmented_radix_sort_implIS3_Lb1EPKsPsPKlPlN2at6native12_GLOBAL__N_18offset_tEEE10hipError_tPvRmT1_PNSt15iterator_traitsISK_E10value_typeET2_T3_PNSL_ISQ_E10value_typeET4_jRbjT5_SW_jjP12ihipStream_tbEUlT_E0_NS1_11comp_targetILNS1_3genE9ELNS1_11target_archE1100ELNS1_3gpuE3ELNS1_3repE0EEENS1_60segmented_radix_sort_warp_sort_medium_config_static_selectorELNS0_4arch9wavefront6targetE0EEEvSK_.has_dyn_sized_stack, 0
	.set _ZN7rocprim17ROCPRIM_400000_NS6detail17trampoline_kernelINS0_14default_configENS1_36segmented_radix_sort_config_selectorIslEEZNS1_25segmented_radix_sort_implIS3_Lb1EPKsPsPKlPlN2at6native12_GLOBAL__N_18offset_tEEE10hipError_tPvRmT1_PNSt15iterator_traitsISK_E10value_typeET2_T3_PNSL_ISQ_E10value_typeET4_jRbjT5_SW_jjP12ihipStream_tbEUlT_E0_NS1_11comp_targetILNS1_3genE9ELNS1_11target_archE1100ELNS1_3gpuE3ELNS1_3repE0EEENS1_60segmented_radix_sort_warp_sort_medium_config_static_selectorELNS0_4arch9wavefront6targetE0EEEvSK_.has_recursion, 0
	.set _ZN7rocprim17ROCPRIM_400000_NS6detail17trampoline_kernelINS0_14default_configENS1_36segmented_radix_sort_config_selectorIslEEZNS1_25segmented_radix_sort_implIS3_Lb1EPKsPsPKlPlN2at6native12_GLOBAL__N_18offset_tEEE10hipError_tPvRmT1_PNSt15iterator_traitsISK_E10value_typeET2_T3_PNSL_ISQ_E10value_typeET4_jRbjT5_SW_jjP12ihipStream_tbEUlT_E0_NS1_11comp_targetILNS1_3genE9ELNS1_11target_archE1100ELNS1_3gpuE3ELNS1_3repE0EEENS1_60segmented_radix_sort_warp_sort_medium_config_static_selectorELNS0_4arch9wavefront6targetE0EEEvSK_.has_indirect_call, 0
	.section	.AMDGPU.csdata,"",@progbits
; Kernel info:
; codeLenInByte = 0
; TotalNumSgprs: 0
; NumVgprs: 0
; ScratchSize: 0
; MemoryBound: 0
; FloatMode: 240
; IeeeMode: 1
; LDSByteSize: 0 bytes/workgroup (compile time only)
; SGPRBlocks: 0
; VGPRBlocks: 0
; NumSGPRsForWavesPerEU: 1
; NumVGPRsForWavesPerEU: 1
; NamedBarCnt: 0
; Occupancy: 16
; WaveLimiterHint : 0
; COMPUTE_PGM_RSRC2:SCRATCH_EN: 0
; COMPUTE_PGM_RSRC2:USER_SGPR: 2
; COMPUTE_PGM_RSRC2:TRAP_HANDLER: 0
; COMPUTE_PGM_RSRC2:TGID_X_EN: 1
; COMPUTE_PGM_RSRC2:TGID_Y_EN: 0
; COMPUTE_PGM_RSRC2:TGID_Z_EN: 0
; COMPUTE_PGM_RSRC2:TIDIG_COMP_CNT: 0
	.section	.text._ZN7rocprim17ROCPRIM_400000_NS6detail17trampoline_kernelINS0_14default_configENS1_36segmented_radix_sort_config_selectorIslEEZNS1_25segmented_radix_sort_implIS3_Lb1EPKsPsPKlPlN2at6native12_GLOBAL__N_18offset_tEEE10hipError_tPvRmT1_PNSt15iterator_traitsISK_E10value_typeET2_T3_PNSL_ISQ_E10value_typeET4_jRbjT5_SW_jjP12ihipStream_tbEUlT_E0_NS1_11comp_targetILNS1_3genE8ELNS1_11target_archE1030ELNS1_3gpuE2ELNS1_3repE0EEENS1_60segmented_radix_sort_warp_sort_medium_config_static_selectorELNS0_4arch9wavefront6targetE0EEEvSK_,"axG",@progbits,_ZN7rocprim17ROCPRIM_400000_NS6detail17trampoline_kernelINS0_14default_configENS1_36segmented_radix_sort_config_selectorIslEEZNS1_25segmented_radix_sort_implIS3_Lb1EPKsPsPKlPlN2at6native12_GLOBAL__N_18offset_tEEE10hipError_tPvRmT1_PNSt15iterator_traitsISK_E10value_typeET2_T3_PNSL_ISQ_E10value_typeET4_jRbjT5_SW_jjP12ihipStream_tbEUlT_E0_NS1_11comp_targetILNS1_3genE8ELNS1_11target_archE1030ELNS1_3gpuE2ELNS1_3repE0EEENS1_60segmented_radix_sort_warp_sort_medium_config_static_selectorELNS0_4arch9wavefront6targetE0EEEvSK_,comdat
	.globl	_ZN7rocprim17ROCPRIM_400000_NS6detail17trampoline_kernelINS0_14default_configENS1_36segmented_radix_sort_config_selectorIslEEZNS1_25segmented_radix_sort_implIS3_Lb1EPKsPsPKlPlN2at6native12_GLOBAL__N_18offset_tEEE10hipError_tPvRmT1_PNSt15iterator_traitsISK_E10value_typeET2_T3_PNSL_ISQ_E10value_typeET4_jRbjT5_SW_jjP12ihipStream_tbEUlT_E0_NS1_11comp_targetILNS1_3genE8ELNS1_11target_archE1030ELNS1_3gpuE2ELNS1_3repE0EEENS1_60segmented_radix_sort_warp_sort_medium_config_static_selectorELNS0_4arch9wavefront6targetE0EEEvSK_ ; -- Begin function _ZN7rocprim17ROCPRIM_400000_NS6detail17trampoline_kernelINS0_14default_configENS1_36segmented_radix_sort_config_selectorIslEEZNS1_25segmented_radix_sort_implIS3_Lb1EPKsPsPKlPlN2at6native12_GLOBAL__N_18offset_tEEE10hipError_tPvRmT1_PNSt15iterator_traitsISK_E10value_typeET2_T3_PNSL_ISQ_E10value_typeET4_jRbjT5_SW_jjP12ihipStream_tbEUlT_E0_NS1_11comp_targetILNS1_3genE8ELNS1_11target_archE1030ELNS1_3gpuE2ELNS1_3repE0EEENS1_60segmented_radix_sort_warp_sort_medium_config_static_selectorELNS0_4arch9wavefront6targetE0EEEvSK_
	.p2align	8
	.type	_ZN7rocprim17ROCPRIM_400000_NS6detail17trampoline_kernelINS0_14default_configENS1_36segmented_radix_sort_config_selectorIslEEZNS1_25segmented_radix_sort_implIS3_Lb1EPKsPsPKlPlN2at6native12_GLOBAL__N_18offset_tEEE10hipError_tPvRmT1_PNSt15iterator_traitsISK_E10value_typeET2_T3_PNSL_ISQ_E10value_typeET4_jRbjT5_SW_jjP12ihipStream_tbEUlT_E0_NS1_11comp_targetILNS1_3genE8ELNS1_11target_archE1030ELNS1_3gpuE2ELNS1_3repE0EEENS1_60segmented_radix_sort_warp_sort_medium_config_static_selectorELNS0_4arch9wavefront6targetE0EEEvSK_,@function
_ZN7rocprim17ROCPRIM_400000_NS6detail17trampoline_kernelINS0_14default_configENS1_36segmented_radix_sort_config_selectorIslEEZNS1_25segmented_radix_sort_implIS3_Lb1EPKsPsPKlPlN2at6native12_GLOBAL__N_18offset_tEEE10hipError_tPvRmT1_PNSt15iterator_traitsISK_E10value_typeET2_T3_PNSL_ISQ_E10value_typeET4_jRbjT5_SW_jjP12ihipStream_tbEUlT_E0_NS1_11comp_targetILNS1_3genE8ELNS1_11target_archE1030ELNS1_3gpuE2ELNS1_3repE0EEENS1_60segmented_radix_sort_warp_sort_medium_config_static_selectorELNS0_4arch9wavefront6targetE0EEEvSK_: ; @_ZN7rocprim17ROCPRIM_400000_NS6detail17trampoline_kernelINS0_14default_configENS1_36segmented_radix_sort_config_selectorIslEEZNS1_25segmented_radix_sort_implIS3_Lb1EPKsPsPKlPlN2at6native12_GLOBAL__N_18offset_tEEE10hipError_tPvRmT1_PNSt15iterator_traitsISK_E10value_typeET2_T3_PNSL_ISQ_E10value_typeET4_jRbjT5_SW_jjP12ihipStream_tbEUlT_E0_NS1_11comp_targetILNS1_3genE8ELNS1_11target_archE1030ELNS1_3gpuE2ELNS1_3repE0EEENS1_60segmented_radix_sort_warp_sort_medium_config_static_selectorELNS0_4arch9wavefront6targetE0EEEvSK_
; %bb.0:
	.section	.rodata,"a",@progbits
	.p2align	6, 0x0
	.amdhsa_kernel _ZN7rocprim17ROCPRIM_400000_NS6detail17trampoline_kernelINS0_14default_configENS1_36segmented_radix_sort_config_selectorIslEEZNS1_25segmented_radix_sort_implIS3_Lb1EPKsPsPKlPlN2at6native12_GLOBAL__N_18offset_tEEE10hipError_tPvRmT1_PNSt15iterator_traitsISK_E10value_typeET2_T3_PNSL_ISQ_E10value_typeET4_jRbjT5_SW_jjP12ihipStream_tbEUlT_E0_NS1_11comp_targetILNS1_3genE8ELNS1_11target_archE1030ELNS1_3gpuE2ELNS1_3repE0EEENS1_60segmented_radix_sort_warp_sort_medium_config_static_selectorELNS0_4arch9wavefront6targetE0EEEvSK_
		.amdhsa_group_segment_fixed_size 0
		.amdhsa_private_segment_fixed_size 0
		.amdhsa_kernarg_size 88
		.amdhsa_user_sgpr_count 2
		.amdhsa_user_sgpr_dispatch_ptr 0
		.amdhsa_user_sgpr_queue_ptr 0
		.amdhsa_user_sgpr_kernarg_segment_ptr 1
		.amdhsa_user_sgpr_dispatch_id 0
		.amdhsa_user_sgpr_kernarg_preload_length 0
		.amdhsa_user_sgpr_kernarg_preload_offset 0
		.amdhsa_user_sgpr_private_segment_size 0
		.amdhsa_wavefront_size32 1
		.amdhsa_uses_dynamic_stack 0
		.amdhsa_enable_private_segment 0
		.amdhsa_system_sgpr_workgroup_id_x 1
		.amdhsa_system_sgpr_workgroup_id_y 0
		.amdhsa_system_sgpr_workgroup_id_z 0
		.amdhsa_system_sgpr_workgroup_info 0
		.amdhsa_system_vgpr_workitem_id 0
		.amdhsa_next_free_vgpr 1
		.amdhsa_next_free_sgpr 1
		.amdhsa_named_barrier_count 0
		.amdhsa_reserve_vcc 0
		.amdhsa_float_round_mode_32 0
		.amdhsa_float_round_mode_16_64 0
		.amdhsa_float_denorm_mode_32 3
		.amdhsa_float_denorm_mode_16_64 3
		.amdhsa_fp16_overflow 0
		.amdhsa_memory_ordered 1
		.amdhsa_forward_progress 1
		.amdhsa_inst_pref_size 0
		.amdhsa_round_robin_scheduling 0
		.amdhsa_exception_fp_ieee_invalid_op 0
		.amdhsa_exception_fp_denorm_src 0
		.amdhsa_exception_fp_ieee_div_zero 0
		.amdhsa_exception_fp_ieee_overflow 0
		.amdhsa_exception_fp_ieee_underflow 0
		.amdhsa_exception_fp_ieee_inexact 0
		.amdhsa_exception_int_div_zero 0
	.end_amdhsa_kernel
	.section	.text._ZN7rocprim17ROCPRIM_400000_NS6detail17trampoline_kernelINS0_14default_configENS1_36segmented_radix_sort_config_selectorIslEEZNS1_25segmented_radix_sort_implIS3_Lb1EPKsPsPKlPlN2at6native12_GLOBAL__N_18offset_tEEE10hipError_tPvRmT1_PNSt15iterator_traitsISK_E10value_typeET2_T3_PNSL_ISQ_E10value_typeET4_jRbjT5_SW_jjP12ihipStream_tbEUlT_E0_NS1_11comp_targetILNS1_3genE8ELNS1_11target_archE1030ELNS1_3gpuE2ELNS1_3repE0EEENS1_60segmented_radix_sort_warp_sort_medium_config_static_selectorELNS0_4arch9wavefront6targetE0EEEvSK_,"axG",@progbits,_ZN7rocprim17ROCPRIM_400000_NS6detail17trampoline_kernelINS0_14default_configENS1_36segmented_radix_sort_config_selectorIslEEZNS1_25segmented_radix_sort_implIS3_Lb1EPKsPsPKlPlN2at6native12_GLOBAL__N_18offset_tEEE10hipError_tPvRmT1_PNSt15iterator_traitsISK_E10value_typeET2_T3_PNSL_ISQ_E10value_typeET4_jRbjT5_SW_jjP12ihipStream_tbEUlT_E0_NS1_11comp_targetILNS1_3genE8ELNS1_11target_archE1030ELNS1_3gpuE2ELNS1_3repE0EEENS1_60segmented_radix_sort_warp_sort_medium_config_static_selectorELNS0_4arch9wavefront6targetE0EEEvSK_,comdat
.Lfunc_end926:
	.size	_ZN7rocprim17ROCPRIM_400000_NS6detail17trampoline_kernelINS0_14default_configENS1_36segmented_radix_sort_config_selectorIslEEZNS1_25segmented_radix_sort_implIS3_Lb1EPKsPsPKlPlN2at6native12_GLOBAL__N_18offset_tEEE10hipError_tPvRmT1_PNSt15iterator_traitsISK_E10value_typeET2_T3_PNSL_ISQ_E10value_typeET4_jRbjT5_SW_jjP12ihipStream_tbEUlT_E0_NS1_11comp_targetILNS1_3genE8ELNS1_11target_archE1030ELNS1_3gpuE2ELNS1_3repE0EEENS1_60segmented_radix_sort_warp_sort_medium_config_static_selectorELNS0_4arch9wavefront6targetE0EEEvSK_, .Lfunc_end926-_ZN7rocprim17ROCPRIM_400000_NS6detail17trampoline_kernelINS0_14default_configENS1_36segmented_radix_sort_config_selectorIslEEZNS1_25segmented_radix_sort_implIS3_Lb1EPKsPsPKlPlN2at6native12_GLOBAL__N_18offset_tEEE10hipError_tPvRmT1_PNSt15iterator_traitsISK_E10value_typeET2_T3_PNSL_ISQ_E10value_typeET4_jRbjT5_SW_jjP12ihipStream_tbEUlT_E0_NS1_11comp_targetILNS1_3genE8ELNS1_11target_archE1030ELNS1_3gpuE2ELNS1_3repE0EEENS1_60segmented_radix_sort_warp_sort_medium_config_static_selectorELNS0_4arch9wavefront6targetE0EEEvSK_
                                        ; -- End function
	.set _ZN7rocprim17ROCPRIM_400000_NS6detail17trampoline_kernelINS0_14default_configENS1_36segmented_radix_sort_config_selectorIslEEZNS1_25segmented_radix_sort_implIS3_Lb1EPKsPsPKlPlN2at6native12_GLOBAL__N_18offset_tEEE10hipError_tPvRmT1_PNSt15iterator_traitsISK_E10value_typeET2_T3_PNSL_ISQ_E10value_typeET4_jRbjT5_SW_jjP12ihipStream_tbEUlT_E0_NS1_11comp_targetILNS1_3genE8ELNS1_11target_archE1030ELNS1_3gpuE2ELNS1_3repE0EEENS1_60segmented_radix_sort_warp_sort_medium_config_static_selectorELNS0_4arch9wavefront6targetE0EEEvSK_.num_vgpr, 0
	.set _ZN7rocprim17ROCPRIM_400000_NS6detail17trampoline_kernelINS0_14default_configENS1_36segmented_radix_sort_config_selectorIslEEZNS1_25segmented_radix_sort_implIS3_Lb1EPKsPsPKlPlN2at6native12_GLOBAL__N_18offset_tEEE10hipError_tPvRmT1_PNSt15iterator_traitsISK_E10value_typeET2_T3_PNSL_ISQ_E10value_typeET4_jRbjT5_SW_jjP12ihipStream_tbEUlT_E0_NS1_11comp_targetILNS1_3genE8ELNS1_11target_archE1030ELNS1_3gpuE2ELNS1_3repE0EEENS1_60segmented_radix_sort_warp_sort_medium_config_static_selectorELNS0_4arch9wavefront6targetE0EEEvSK_.num_agpr, 0
	.set _ZN7rocprim17ROCPRIM_400000_NS6detail17trampoline_kernelINS0_14default_configENS1_36segmented_radix_sort_config_selectorIslEEZNS1_25segmented_radix_sort_implIS3_Lb1EPKsPsPKlPlN2at6native12_GLOBAL__N_18offset_tEEE10hipError_tPvRmT1_PNSt15iterator_traitsISK_E10value_typeET2_T3_PNSL_ISQ_E10value_typeET4_jRbjT5_SW_jjP12ihipStream_tbEUlT_E0_NS1_11comp_targetILNS1_3genE8ELNS1_11target_archE1030ELNS1_3gpuE2ELNS1_3repE0EEENS1_60segmented_radix_sort_warp_sort_medium_config_static_selectorELNS0_4arch9wavefront6targetE0EEEvSK_.numbered_sgpr, 0
	.set _ZN7rocprim17ROCPRIM_400000_NS6detail17trampoline_kernelINS0_14default_configENS1_36segmented_radix_sort_config_selectorIslEEZNS1_25segmented_radix_sort_implIS3_Lb1EPKsPsPKlPlN2at6native12_GLOBAL__N_18offset_tEEE10hipError_tPvRmT1_PNSt15iterator_traitsISK_E10value_typeET2_T3_PNSL_ISQ_E10value_typeET4_jRbjT5_SW_jjP12ihipStream_tbEUlT_E0_NS1_11comp_targetILNS1_3genE8ELNS1_11target_archE1030ELNS1_3gpuE2ELNS1_3repE0EEENS1_60segmented_radix_sort_warp_sort_medium_config_static_selectorELNS0_4arch9wavefront6targetE0EEEvSK_.num_named_barrier, 0
	.set _ZN7rocprim17ROCPRIM_400000_NS6detail17trampoline_kernelINS0_14default_configENS1_36segmented_radix_sort_config_selectorIslEEZNS1_25segmented_radix_sort_implIS3_Lb1EPKsPsPKlPlN2at6native12_GLOBAL__N_18offset_tEEE10hipError_tPvRmT1_PNSt15iterator_traitsISK_E10value_typeET2_T3_PNSL_ISQ_E10value_typeET4_jRbjT5_SW_jjP12ihipStream_tbEUlT_E0_NS1_11comp_targetILNS1_3genE8ELNS1_11target_archE1030ELNS1_3gpuE2ELNS1_3repE0EEENS1_60segmented_radix_sort_warp_sort_medium_config_static_selectorELNS0_4arch9wavefront6targetE0EEEvSK_.private_seg_size, 0
	.set _ZN7rocprim17ROCPRIM_400000_NS6detail17trampoline_kernelINS0_14default_configENS1_36segmented_radix_sort_config_selectorIslEEZNS1_25segmented_radix_sort_implIS3_Lb1EPKsPsPKlPlN2at6native12_GLOBAL__N_18offset_tEEE10hipError_tPvRmT1_PNSt15iterator_traitsISK_E10value_typeET2_T3_PNSL_ISQ_E10value_typeET4_jRbjT5_SW_jjP12ihipStream_tbEUlT_E0_NS1_11comp_targetILNS1_3genE8ELNS1_11target_archE1030ELNS1_3gpuE2ELNS1_3repE0EEENS1_60segmented_radix_sort_warp_sort_medium_config_static_selectorELNS0_4arch9wavefront6targetE0EEEvSK_.uses_vcc, 0
	.set _ZN7rocprim17ROCPRIM_400000_NS6detail17trampoline_kernelINS0_14default_configENS1_36segmented_radix_sort_config_selectorIslEEZNS1_25segmented_radix_sort_implIS3_Lb1EPKsPsPKlPlN2at6native12_GLOBAL__N_18offset_tEEE10hipError_tPvRmT1_PNSt15iterator_traitsISK_E10value_typeET2_T3_PNSL_ISQ_E10value_typeET4_jRbjT5_SW_jjP12ihipStream_tbEUlT_E0_NS1_11comp_targetILNS1_3genE8ELNS1_11target_archE1030ELNS1_3gpuE2ELNS1_3repE0EEENS1_60segmented_radix_sort_warp_sort_medium_config_static_selectorELNS0_4arch9wavefront6targetE0EEEvSK_.uses_flat_scratch, 0
	.set _ZN7rocprim17ROCPRIM_400000_NS6detail17trampoline_kernelINS0_14default_configENS1_36segmented_radix_sort_config_selectorIslEEZNS1_25segmented_radix_sort_implIS3_Lb1EPKsPsPKlPlN2at6native12_GLOBAL__N_18offset_tEEE10hipError_tPvRmT1_PNSt15iterator_traitsISK_E10value_typeET2_T3_PNSL_ISQ_E10value_typeET4_jRbjT5_SW_jjP12ihipStream_tbEUlT_E0_NS1_11comp_targetILNS1_3genE8ELNS1_11target_archE1030ELNS1_3gpuE2ELNS1_3repE0EEENS1_60segmented_radix_sort_warp_sort_medium_config_static_selectorELNS0_4arch9wavefront6targetE0EEEvSK_.has_dyn_sized_stack, 0
	.set _ZN7rocprim17ROCPRIM_400000_NS6detail17trampoline_kernelINS0_14default_configENS1_36segmented_radix_sort_config_selectorIslEEZNS1_25segmented_radix_sort_implIS3_Lb1EPKsPsPKlPlN2at6native12_GLOBAL__N_18offset_tEEE10hipError_tPvRmT1_PNSt15iterator_traitsISK_E10value_typeET2_T3_PNSL_ISQ_E10value_typeET4_jRbjT5_SW_jjP12ihipStream_tbEUlT_E0_NS1_11comp_targetILNS1_3genE8ELNS1_11target_archE1030ELNS1_3gpuE2ELNS1_3repE0EEENS1_60segmented_radix_sort_warp_sort_medium_config_static_selectorELNS0_4arch9wavefront6targetE0EEEvSK_.has_recursion, 0
	.set _ZN7rocprim17ROCPRIM_400000_NS6detail17trampoline_kernelINS0_14default_configENS1_36segmented_radix_sort_config_selectorIslEEZNS1_25segmented_radix_sort_implIS3_Lb1EPKsPsPKlPlN2at6native12_GLOBAL__N_18offset_tEEE10hipError_tPvRmT1_PNSt15iterator_traitsISK_E10value_typeET2_T3_PNSL_ISQ_E10value_typeET4_jRbjT5_SW_jjP12ihipStream_tbEUlT_E0_NS1_11comp_targetILNS1_3genE8ELNS1_11target_archE1030ELNS1_3gpuE2ELNS1_3repE0EEENS1_60segmented_radix_sort_warp_sort_medium_config_static_selectorELNS0_4arch9wavefront6targetE0EEEvSK_.has_indirect_call, 0
	.section	.AMDGPU.csdata,"",@progbits
; Kernel info:
; codeLenInByte = 0
; TotalNumSgprs: 0
; NumVgprs: 0
; ScratchSize: 0
; MemoryBound: 0
; FloatMode: 240
; IeeeMode: 1
; LDSByteSize: 0 bytes/workgroup (compile time only)
; SGPRBlocks: 0
; VGPRBlocks: 0
; NumSGPRsForWavesPerEU: 1
; NumVGPRsForWavesPerEU: 1
; NamedBarCnt: 0
; Occupancy: 16
; WaveLimiterHint : 0
; COMPUTE_PGM_RSRC2:SCRATCH_EN: 0
; COMPUTE_PGM_RSRC2:USER_SGPR: 2
; COMPUTE_PGM_RSRC2:TRAP_HANDLER: 0
; COMPUTE_PGM_RSRC2:TGID_X_EN: 1
; COMPUTE_PGM_RSRC2:TGID_Y_EN: 0
; COMPUTE_PGM_RSRC2:TGID_Z_EN: 0
; COMPUTE_PGM_RSRC2:TIDIG_COMP_CNT: 0
	.section	.text._ZN7rocprim17ROCPRIM_400000_NS6detail17trampoline_kernelINS0_14default_configENS1_36segmented_radix_sort_config_selectorIslEEZNS1_25segmented_radix_sort_implIS3_Lb1EPKsPsPKlPlN2at6native12_GLOBAL__N_18offset_tEEE10hipError_tPvRmT1_PNSt15iterator_traitsISK_E10value_typeET2_T3_PNSL_ISQ_E10value_typeET4_jRbjT5_SW_jjP12ihipStream_tbEUlT_E1_NS1_11comp_targetILNS1_3genE0ELNS1_11target_archE4294967295ELNS1_3gpuE0ELNS1_3repE0EEENS1_59segmented_radix_sort_warp_sort_small_config_static_selectorELNS0_4arch9wavefront6targetE0EEEvSK_,"axG",@progbits,_ZN7rocprim17ROCPRIM_400000_NS6detail17trampoline_kernelINS0_14default_configENS1_36segmented_radix_sort_config_selectorIslEEZNS1_25segmented_radix_sort_implIS3_Lb1EPKsPsPKlPlN2at6native12_GLOBAL__N_18offset_tEEE10hipError_tPvRmT1_PNSt15iterator_traitsISK_E10value_typeET2_T3_PNSL_ISQ_E10value_typeET4_jRbjT5_SW_jjP12ihipStream_tbEUlT_E1_NS1_11comp_targetILNS1_3genE0ELNS1_11target_archE4294967295ELNS1_3gpuE0ELNS1_3repE0EEENS1_59segmented_radix_sort_warp_sort_small_config_static_selectorELNS0_4arch9wavefront6targetE0EEEvSK_,comdat
	.globl	_ZN7rocprim17ROCPRIM_400000_NS6detail17trampoline_kernelINS0_14default_configENS1_36segmented_radix_sort_config_selectorIslEEZNS1_25segmented_radix_sort_implIS3_Lb1EPKsPsPKlPlN2at6native12_GLOBAL__N_18offset_tEEE10hipError_tPvRmT1_PNSt15iterator_traitsISK_E10value_typeET2_T3_PNSL_ISQ_E10value_typeET4_jRbjT5_SW_jjP12ihipStream_tbEUlT_E1_NS1_11comp_targetILNS1_3genE0ELNS1_11target_archE4294967295ELNS1_3gpuE0ELNS1_3repE0EEENS1_59segmented_radix_sort_warp_sort_small_config_static_selectorELNS0_4arch9wavefront6targetE0EEEvSK_ ; -- Begin function _ZN7rocprim17ROCPRIM_400000_NS6detail17trampoline_kernelINS0_14default_configENS1_36segmented_radix_sort_config_selectorIslEEZNS1_25segmented_radix_sort_implIS3_Lb1EPKsPsPKlPlN2at6native12_GLOBAL__N_18offset_tEEE10hipError_tPvRmT1_PNSt15iterator_traitsISK_E10value_typeET2_T3_PNSL_ISQ_E10value_typeET4_jRbjT5_SW_jjP12ihipStream_tbEUlT_E1_NS1_11comp_targetILNS1_3genE0ELNS1_11target_archE4294967295ELNS1_3gpuE0ELNS1_3repE0EEENS1_59segmented_radix_sort_warp_sort_small_config_static_selectorELNS0_4arch9wavefront6targetE0EEEvSK_
	.p2align	8
	.type	_ZN7rocprim17ROCPRIM_400000_NS6detail17trampoline_kernelINS0_14default_configENS1_36segmented_radix_sort_config_selectorIslEEZNS1_25segmented_radix_sort_implIS3_Lb1EPKsPsPKlPlN2at6native12_GLOBAL__N_18offset_tEEE10hipError_tPvRmT1_PNSt15iterator_traitsISK_E10value_typeET2_T3_PNSL_ISQ_E10value_typeET4_jRbjT5_SW_jjP12ihipStream_tbEUlT_E1_NS1_11comp_targetILNS1_3genE0ELNS1_11target_archE4294967295ELNS1_3gpuE0ELNS1_3repE0EEENS1_59segmented_radix_sort_warp_sort_small_config_static_selectorELNS0_4arch9wavefront6targetE0EEEvSK_,@function
_ZN7rocprim17ROCPRIM_400000_NS6detail17trampoline_kernelINS0_14default_configENS1_36segmented_radix_sort_config_selectorIslEEZNS1_25segmented_radix_sort_implIS3_Lb1EPKsPsPKlPlN2at6native12_GLOBAL__N_18offset_tEEE10hipError_tPvRmT1_PNSt15iterator_traitsISK_E10value_typeET2_T3_PNSL_ISQ_E10value_typeET4_jRbjT5_SW_jjP12ihipStream_tbEUlT_E1_NS1_11comp_targetILNS1_3genE0ELNS1_11target_archE4294967295ELNS1_3gpuE0ELNS1_3repE0EEENS1_59segmented_radix_sort_warp_sort_small_config_static_selectorELNS0_4arch9wavefront6targetE0EEEvSK_: ; @_ZN7rocprim17ROCPRIM_400000_NS6detail17trampoline_kernelINS0_14default_configENS1_36segmented_radix_sort_config_selectorIslEEZNS1_25segmented_radix_sort_implIS3_Lb1EPKsPsPKlPlN2at6native12_GLOBAL__N_18offset_tEEE10hipError_tPvRmT1_PNSt15iterator_traitsISK_E10value_typeET2_T3_PNSL_ISQ_E10value_typeET4_jRbjT5_SW_jjP12ihipStream_tbEUlT_E1_NS1_11comp_targetILNS1_3genE0ELNS1_11target_archE4294967295ELNS1_3gpuE0ELNS1_3repE0EEENS1_59segmented_radix_sort_warp_sort_small_config_static_selectorELNS0_4arch9wavefront6targetE0EEEvSK_
; %bb.0:
	s_load_b32 s4, s[2:3], 0x64
	v_bfe_u32 v1, v0, 10, 10
	v_bfe_u32 v2, v0, 20, 10
	v_and_b32_e32 v3, 0x3ff, v0
	s_and_b32 s6, ttmp6, 15
	s_getreg_b32 s7, hwreg(HW_REG_IB_STS2, 6, 4)
	s_mov_b32 s32, 0
	s_wait_kmcnt 0x0
	s_lshr_b32 s5, s4, 16
	s_and_b32 s4, s4, 0xffff
	v_mad_u32_u24 v1, v2, s5, v1
	s_bfe_u32 s5, ttmp6, 0x4000c
	s_delay_alu instid0(SALU_CYCLE_1) | instskip(NEXT) | instid1(SALU_CYCLE_1)
	s_add_co_i32 s5, s5, 1
	s_mul_i32 s5, ttmp9, s5
	s_delay_alu instid0(VALU_DEP_1) | instskip(SKIP_4) | instid1(VALU_DEP_1)
	v_mad_u32 v1, v1, s4, v3
	s_load_b32 s4, s[2:3], 0x34
	s_add_co_i32 s6, s6, s5
	s_cmp_eq_u32 s7, 0
	s_cselect_b32 s5, ttmp9, s6
	v_lshrrev_b32_e32 v1, 5, v1
	s_delay_alu instid0(VALU_DEP_1) | instskip(SKIP_1) | instid1(VALU_DEP_1)
	v_lshl_add_u32 v2, s5, 3, v1
	s_wait_kmcnt 0x0
	v_cmp_gt_u32_e32 vcc_lo, s4, v2
	s_and_saveexec_b32 s4, vcc_lo
	s_cbranch_execz .LBB927_6
; %bb.1:
	s_clause 0x1
	s_load_b64 s[8:9], s[2:3], 0x38
	s_load_b128 s[4:7], s[2:3], 0x40
	v_mov_b32_e32 v3, 0
	s_delay_alu instid0(VALU_DEP_1) | instskip(SKIP_1) | instid1(VALU_DEP_1)
	v_lshlrev_b64_e32 v[2:3], 2, v[2:3]
	s_wait_kmcnt 0x0
	v_sub_nc_u64_e32 v[2:3], s[8:9], v[2:3]
	global_load_b32 v1, v[2:3], off offset:-4
	s_wait_loadcnt 0x0
	v_dual_add_nc_u32 v2, s5, v1 :: v_dual_add_nc_u32 v1, s7, v1
	s_delay_alu instid0(VALU_DEP_1) | instskip(NEXT) | instid1(VALU_DEP_2)
	v_mul_lo_u32 v8, v2, s4
	v_mul_lo_u32 v40, v1, s6
	s_delay_alu instid0(VALU_DEP_1)
	v_cmp_gt_u32_e32 vcc_lo, v40, v8
	s_and_b32 exec_lo, exec_lo, vcc_lo
	s_cbranch_execz .LBB927_6
; %bb.2:
	s_clause 0x3
	s_load_b32 s4, s[2:3], 0x30
	s_load_b128 s[36:39], s[2:3], 0x20
	s_load_b256 s[20:27], s[2:3], 0x0
	s_load_b64 s[18:19], s[2:3], 0x50
	s_add_nc_u64 s[16:17], s[2:3], 0x58
	s_get_pc_i64 s[28:29]
	s_add_nc_u64 s[28:29], s[28:29], _ZN7rocprim17ROCPRIM_400000_NS6detail26segmented_warp_sort_helperINS1_20WarpSortHelperConfigILj32ELj4ELj256EEEslLi256ELb1EvE4sortIPKsPsPKlPlEEvT_T0_T1_T2_jjjjRNS5_12storage_typeE@rel64+4
	s_wait_kmcnt 0x0
	s_bitcmp0_b32 s4, 0
	s_mov_b32 s4, -1
	s_cbranch_scc0 .LBB927_4
; %bb.3:
	s_mov_b64 s[2:3], src_shared_base
	v_dual_mov_b32 v31, v0 :: v_dual_mov_b32 v41, v0
	v_dual_mov_b32 v0, s20 :: v_dual_mov_b32 v1, s21
	;; [unrolled: 1-line block ×7, first 2 shown]
	v_mov_b32_e32 v13, s3
	s_mov_b64 s[6:7], s[0:1]
	s_mov_b64 s[8:9], s[16:17]
	s_mov_b64 s[22:23], s[0:1]
	s_swap_pc_i64 s[30:31], s[28:29]
	v_mov_b32_e32 v0, v41
	s_mov_b64 s[0:1], s[22:23]
	s_mov_b32 s4, 0
.LBB927_4:
	s_delay_alu instid0(SALU_CYCLE_1)
	s_and_not1_b32 vcc_lo, exec_lo, s4
	s_cbranch_vccnz .LBB927_6
; %bb.5:
	s_mov_b64 s[2:3], src_shared_base
	v_dual_mov_b32 v31, v0 :: v_dual_mov_b32 v0, s20
	v_dual_mov_b32 v1, s21 :: v_dual_mov_b32 v2, s24
	;; [unrolled: 1-line block ×7, first 2 shown]
	s_mov_b64 s[6:7], s[0:1]
	s_mov_b64 s[8:9], s[16:17]
	s_swap_pc_i64 s[30:31], s[28:29]
.LBB927_6:
	s_endpgm
	.section	.rodata,"a",@progbits
	.p2align	6, 0x0
	.amdhsa_kernel _ZN7rocprim17ROCPRIM_400000_NS6detail17trampoline_kernelINS0_14default_configENS1_36segmented_radix_sort_config_selectorIslEEZNS1_25segmented_radix_sort_implIS3_Lb1EPKsPsPKlPlN2at6native12_GLOBAL__N_18offset_tEEE10hipError_tPvRmT1_PNSt15iterator_traitsISK_E10value_typeET2_T3_PNSL_ISQ_E10value_typeET4_jRbjT5_SW_jjP12ihipStream_tbEUlT_E1_NS1_11comp_targetILNS1_3genE0ELNS1_11target_archE4294967295ELNS1_3gpuE0ELNS1_3repE0EEENS1_59segmented_radix_sort_warp_sort_small_config_static_selectorELNS0_4arch9wavefront6targetE0EEEvSK_
		.amdhsa_group_segment_fixed_size 10240
		.amdhsa_private_segment_fixed_size 0
		.amdhsa_kernarg_size 344
		.amdhsa_user_sgpr_count 4
		.amdhsa_user_sgpr_dispatch_ptr 0
		.amdhsa_user_sgpr_queue_ptr 1
		.amdhsa_user_sgpr_kernarg_segment_ptr 1
		.amdhsa_user_sgpr_dispatch_id 0
		.amdhsa_user_sgpr_kernarg_preload_length 0
		.amdhsa_user_sgpr_kernarg_preload_offset 0
		.amdhsa_user_sgpr_private_segment_size 0
		.amdhsa_wavefront_size32 1
		.amdhsa_uses_dynamic_stack 0
		.amdhsa_enable_private_segment 0
		.amdhsa_system_sgpr_workgroup_id_x 1
		.amdhsa_system_sgpr_workgroup_id_y 1
		.amdhsa_system_sgpr_workgroup_id_z 0
		.amdhsa_system_sgpr_workgroup_info 0
		.amdhsa_system_vgpr_workitem_id 2
		.amdhsa_next_free_vgpr 53
		.amdhsa_next_free_sgpr 40
		.amdhsa_named_barrier_count 0
		.amdhsa_reserve_vcc 1
		.amdhsa_float_round_mode_32 0
		.amdhsa_float_round_mode_16_64 0
		.amdhsa_float_denorm_mode_32 3
		.amdhsa_float_denorm_mode_16_64 3
		.amdhsa_fp16_overflow 0
		.amdhsa_memory_ordered 1
		.amdhsa_forward_progress 1
		.amdhsa_inst_pref_size 5
		.amdhsa_round_robin_scheduling 0
		.amdhsa_exception_fp_ieee_invalid_op 0
		.amdhsa_exception_fp_denorm_src 0
		.amdhsa_exception_fp_ieee_div_zero 0
		.amdhsa_exception_fp_ieee_overflow 0
		.amdhsa_exception_fp_ieee_underflow 0
		.amdhsa_exception_fp_ieee_inexact 0
		.amdhsa_exception_int_div_zero 0
	.end_amdhsa_kernel
	.section	.text._ZN7rocprim17ROCPRIM_400000_NS6detail17trampoline_kernelINS0_14default_configENS1_36segmented_radix_sort_config_selectorIslEEZNS1_25segmented_radix_sort_implIS3_Lb1EPKsPsPKlPlN2at6native12_GLOBAL__N_18offset_tEEE10hipError_tPvRmT1_PNSt15iterator_traitsISK_E10value_typeET2_T3_PNSL_ISQ_E10value_typeET4_jRbjT5_SW_jjP12ihipStream_tbEUlT_E1_NS1_11comp_targetILNS1_3genE0ELNS1_11target_archE4294967295ELNS1_3gpuE0ELNS1_3repE0EEENS1_59segmented_radix_sort_warp_sort_small_config_static_selectorELNS0_4arch9wavefront6targetE0EEEvSK_,"axG",@progbits,_ZN7rocprim17ROCPRIM_400000_NS6detail17trampoline_kernelINS0_14default_configENS1_36segmented_radix_sort_config_selectorIslEEZNS1_25segmented_radix_sort_implIS3_Lb1EPKsPsPKlPlN2at6native12_GLOBAL__N_18offset_tEEE10hipError_tPvRmT1_PNSt15iterator_traitsISK_E10value_typeET2_T3_PNSL_ISQ_E10value_typeET4_jRbjT5_SW_jjP12ihipStream_tbEUlT_E1_NS1_11comp_targetILNS1_3genE0ELNS1_11target_archE4294967295ELNS1_3gpuE0ELNS1_3repE0EEENS1_59segmented_radix_sort_warp_sort_small_config_static_selectorELNS0_4arch9wavefront6targetE0EEEvSK_,comdat
.Lfunc_end927:
	.size	_ZN7rocprim17ROCPRIM_400000_NS6detail17trampoline_kernelINS0_14default_configENS1_36segmented_radix_sort_config_selectorIslEEZNS1_25segmented_radix_sort_implIS3_Lb1EPKsPsPKlPlN2at6native12_GLOBAL__N_18offset_tEEE10hipError_tPvRmT1_PNSt15iterator_traitsISK_E10value_typeET2_T3_PNSL_ISQ_E10value_typeET4_jRbjT5_SW_jjP12ihipStream_tbEUlT_E1_NS1_11comp_targetILNS1_3genE0ELNS1_11target_archE4294967295ELNS1_3gpuE0ELNS1_3repE0EEENS1_59segmented_radix_sort_warp_sort_small_config_static_selectorELNS0_4arch9wavefront6targetE0EEEvSK_, .Lfunc_end927-_ZN7rocprim17ROCPRIM_400000_NS6detail17trampoline_kernelINS0_14default_configENS1_36segmented_radix_sort_config_selectorIslEEZNS1_25segmented_radix_sort_implIS3_Lb1EPKsPsPKlPlN2at6native12_GLOBAL__N_18offset_tEEE10hipError_tPvRmT1_PNSt15iterator_traitsISK_E10value_typeET2_T3_PNSL_ISQ_E10value_typeET4_jRbjT5_SW_jjP12ihipStream_tbEUlT_E1_NS1_11comp_targetILNS1_3genE0ELNS1_11target_archE4294967295ELNS1_3gpuE0ELNS1_3repE0EEENS1_59segmented_radix_sort_warp_sort_small_config_static_selectorELNS0_4arch9wavefront6targetE0EEEvSK_
                                        ; -- End function
	.set _ZN7rocprim17ROCPRIM_400000_NS6detail17trampoline_kernelINS0_14default_configENS1_36segmented_radix_sort_config_selectorIslEEZNS1_25segmented_radix_sort_implIS3_Lb1EPKsPsPKlPlN2at6native12_GLOBAL__N_18offset_tEEE10hipError_tPvRmT1_PNSt15iterator_traitsISK_E10value_typeET2_T3_PNSL_ISQ_E10value_typeET4_jRbjT5_SW_jjP12ihipStream_tbEUlT_E1_NS1_11comp_targetILNS1_3genE0ELNS1_11target_archE4294967295ELNS1_3gpuE0ELNS1_3repE0EEENS1_59segmented_radix_sort_warp_sort_small_config_static_selectorELNS0_4arch9wavefront6targetE0EEEvSK_.num_vgpr, max(42, .L_ZN7rocprim17ROCPRIM_400000_NS6detail26segmented_warp_sort_helperINS1_20WarpSortHelperConfigILj32ELj4ELj256EEEslLi256ELb1EvE4sortIPKsPsPKlPlEEvT_T0_T1_T2_jjjjRNS5_12storage_typeE.num_vgpr)
	.set _ZN7rocprim17ROCPRIM_400000_NS6detail17trampoline_kernelINS0_14default_configENS1_36segmented_radix_sort_config_selectorIslEEZNS1_25segmented_radix_sort_implIS3_Lb1EPKsPsPKlPlN2at6native12_GLOBAL__N_18offset_tEEE10hipError_tPvRmT1_PNSt15iterator_traitsISK_E10value_typeET2_T3_PNSL_ISQ_E10value_typeET4_jRbjT5_SW_jjP12ihipStream_tbEUlT_E1_NS1_11comp_targetILNS1_3genE0ELNS1_11target_archE4294967295ELNS1_3gpuE0ELNS1_3repE0EEENS1_59segmented_radix_sort_warp_sort_small_config_static_selectorELNS0_4arch9wavefront6targetE0EEEvSK_.num_agpr, max(0, .L_ZN7rocprim17ROCPRIM_400000_NS6detail26segmented_warp_sort_helperINS1_20WarpSortHelperConfigILj32ELj4ELj256EEEslLi256ELb1EvE4sortIPKsPsPKlPlEEvT_T0_T1_T2_jjjjRNS5_12storage_typeE.num_agpr)
	.set _ZN7rocprim17ROCPRIM_400000_NS6detail17trampoline_kernelINS0_14default_configENS1_36segmented_radix_sort_config_selectorIslEEZNS1_25segmented_radix_sort_implIS3_Lb1EPKsPsPKlPlN2at6native12_GLOBAL__N_18offset_tEEE10hipError_tPvRmT1_PNSt15iterator_traitsISK_E10value_typeET2_T3_PNSL_ISQ_E10value_typeET4_jRbjT5_SW_jjP12ihipStream_tbEUlT_E1_NS1_11comp_targetILNS1_3genE0ELNS1_11target_archE4294967295ELNS1_3gpuE0ELNS1_3repE0EEENS1_59segmented_radix_sort_warp_sort_small_config_static_selectorELNS0_4arch9wavefront6targetE0EEEvSK_.numbered_sgpr, max(40, .L_ZN7rocprim17ROCPRIM_400000_NS6detail26segmented_warp_sort_helperINS1_20WarpSortHelperConfigILj32ELj4ELj256EEEslLi256ELb1EvE4sortIPKsPsPKlPlEEvT_T0_T1_T2_jjjjRNS5_12storage_typeE.numbered_sgpr)
	.set _ZN7rocprim17ROCPRIM_400000_NS6detail17trampoline_kernelINS0_14default_configENS1_36segmented_radix_sort_config_selectorIslEEZNS1_25segmented_radix_sort_implIS3_Lb1EPKsPsPKlPlN2at6native12_GLOBAL__N_18offset_tEEE10hipError_tPvRmT1_PNSt15iterator_traitsISK_E10value_typeET2_T3_PNSL_ISQ_E10value_typeET4_jRbjT5_SW_jjP12ihipStream_tbEUlT_E1_NS1_11comp_targetILNS1_3genE0ELNS1_11target_archE4294967295ELNS1_3gpuE0ELNS1_3repE0EEENS1_59segmented_radix_sort_warp_sort_small_config_static_selectorELNS0_4arch9wavefront6targetE0EEEvSK_.num_named_barrier, max(0, .L_ZN7rocprim17ROCPRIM_400000_NS6detail26segmented_warp_sort_helperINS1_20WarpSortHelperConfigILj32ELj4ELj256EEEslLi256ELb1EvE4sortIPKsPsPKlPlEEvT_T0_T1_T2_jjjjRNS5_12storage_typeE.num_named_barrier)
	.set _ZN7rocprim17ROCPRIM_400000_NS6detail17trampoline_kernelINS0_14default_configENS1_36segmented_radix_sort_config_selectorIslEEZNS1_25segmented_radix_sort_implIS3_Lb1EPKsPsPKlPlN2at6native12_GLOBAL__N_18offset_tEEE10hipError_tPvRmT1_PNSt15iterator_traitsISK_E10value_typeET2_T3_PNSL_ISQ_E10value_typeET4_jRbjT5_SW_jjP12ihipStream_tbEUlT_E1_NS1_11comp_targetILNS1_3genE0ELNS1_11target_archE4294967295ELNS1_3gpuE0ELNS1_3repE0EEENS1_59segmented_radix_sort_warp_sort_small_config_static_selectorELNS0_4arch9wavefront6targetE0EEEvSK_.private_seg_size, 0+max(.L_ZN7rocprim17ROCPRIM_400000_NS6detail26segmented_warp_sort_helperINS1_20WarpSortHelperConfigILj32ELj4ELj256EEEslLi256ELb1EvE4sortIPKsPsPKlPlEEvT_T0_T1_T2_jjjjRNS5_12storage_typeE.private_seg_size)
	.set _ZN7rocprim17ROCPRIM_400000_NS6detail17trampoline_kernelINS0_14default_configENS1_36segmented_radix_sort_config_selectorIslEEZNS1_25segmented_radix_sort_implIS3_Lb1EPKsPsPKlPlN2at6native12_GLOBAL__N_18offset_tEEE10hipError_tPvRmT1_PNSt15iterator_traitsISK_E10value_typeET2_T3_PNSL_ISQ_E10value_typeET4_jRbjT5_SW_jjP12ihipStream_tbEUlT_E1_NS1_11comp_targetILNS1_3genE0ELNS1_11target_archE4294967295ELNS1_3gpuE0ELNS1_3repE0EEENS1_59segmented_radix_sort_warp_sort_small_config_static_selectorELNS0_4arch9wavefront6targetE0EEEvSK_.uses_vcc, or(1, .L_ZN7rocprim17ROCPRIM_400000_NS6detail26segmented_warp_sort_helperINS1_20WarpSortHelperConfigILj32ELj4ELj256EEEslLi256ELb1EvE4sortIPKsPsPKlPlEEvT_T0_T1_T2_jjjjRNS5_12storage_typeE.uses_vcc)
	.set _ZN7rocprim17ROCPRIM_400000_NS6detail17trampoline_kernelINS0_14default_configENS1_36segmented_radix_sort_config_selectorIslEEZNS1_25segmented_radix_sort_implIS3_Lb1EPKsPsPKlPlN2at6native12_GLOBAL__N_18offset_tEEE10hipError_tPvRmT1_PNSt15iterator_traitsISK_E10value_typeET2_T3_PNSL_ISQ_E10value_typeET4_jRbjT5_SW_jjP12ihipStream_tbEUlT_E1_NS1_11comp_targetILNS1_3genE0ELNS1_11target_archE4294967295ELNS1_3gpuE0ELNS1_3repE0EEENS1_59segmented_radix_sort_warp_sort_small_config_static_selectorELNS0_4arch9wavefront6targetE0EEEvSK_.uses_flat_scratch, or(0, .L_ZN7rocprim17ROCPRIM_400000_NS6detail26segmented_warp_sort_helperINS1_20WarpSortHelperConfigILj32ELj4ELj256EEEslLi256ELb1EvE4sortIPKsPsPKlPlEEvT_T0_T1_T2_jjjjRNS5_12storage_typeE.uses_flat_scratch)
	.set _ZN7rocprim17ROCPRIM_400000_NS6detail17trampoline_kernelINS0_14default_configENS1_36segmented_radix_sort_config_selectorIslEEZNS1_25segmented_radix_sort_implIS3_Lb1EPKsPsPKlPlN2at6native12_GLOBAL__N_18offset_tEEE10hipError_tPvRmT1_PNSt15iterator_traitsISK_E10value_typeET2_T3_PNSL_ISQ_E10value_typeET4_jRbjT5_SW_jjP12ihipStream_tbEUlT_E1_NS1_11comp_targetILNS1_3genE0ELNS1_11target_archE4294967295ELNS1_3gpuE0ELNS1_3repE0EEENS1_59segmented_radix_sort_warp_sort_small_config_static_selectorELNS0_4arch9wavefront6targetE0EEEvSK_.has_dyn_sized_stack, or(0, .L_ZN7rocprim17ROCPRIM_400000_NS6detail26segmented_warp_sort_helperINS1_20WarpSortHelperConfigILj32ELj4ELj256EEEslLi256ELb1EvE4sortIPKsPsPKlPlEEvT_T0_T1_T2_jjjjRNS5_12storage_typeE.has_dyn_sized_stack)
	.set _ZN7rocprim17ROCPRIM_400000_NS6detail17trampoline_kernelINS0_14default_configENS1_36segmented_radix_sort_config_selectorIslEEZNS1_25segmented_radix_sort_implIS3_Lb1EPKsPsPKlPlN2at6native12_GLOBAL__N_18offset_tEEE10hipError_tPvRmT1_PNSt15iterator_traitsISK_E10value_typeET2_T3_PNSL_ISQ_E10value_typeET4_jRbjT5_SW_jjP12ihipStream_tbEUlT_E1_NS1_11comp_targetILNS1_3genE0ELNS1_11target_archE4294967295ELNS1_3gpuE0ELNS1_3repE0EEENS1_59segmented_radix_sort_warp_sort_small_config_static_selectorELNS0_4arch9wavefront6targetE0EEEvSK_.has_recursion, or(0, .L_ZN7rocprim17ROCPRIM_400000_NS6detail26segmented_warp_sort_helperINS1_20WarpSortHelperConfigILj32ELj4ELj256EEEslLi256ELb1EvE4sortIPKsPsPKlPlEEvT_T0_T1_T2_jjjjRNS5_12storage_typeE.has_recursion)
	.set _ZN7rocprim17ROCPRIM_400000_NS6detail17trampoline_kernelINS0_14default_configENS1_36segmented_radix_sort_config_selectorIslEEZNS1_25segmented_radix_sort_implIS3_Lb1EPKsPsPKlPlN2at6native12_GLOBAL__N_18offset_tEEE10hipError_tPvRmT1_PNSt15iterator_traitsISK_E10value_typeET2_T3_PNSL_ISQ_E10value_typeET4_jRbjT5_SW_jjP12ihipStream_tbEUlT_E1_NS1_11comp_targetILNS1_3genE0ELNS1_11target_archE4294967295ELNS1_3gpuE0ELNS1_3repE0EEENS1_59segmented_radix_sort_warp_sort_small_config_static_selectorELNS0_4arch9wavefront6targetE0EEEvSK_.has_indirect_call, or(0, .L_ZN7rocprim17ROCPRIM_400000_NS6detail26segmented_warp_sort_helperINS1_20WarpSortHelperConfigILj32ELj4ELj256EEEslLi256ELb1EvE4sortIPKsPsPKlPlEEvT_T0_T1_T2_jjjjRNS5_12storage_typeE.has_indirect_call)
	.section	.AMDGPU.csdata,"",@progbits
; Kernel info:
; codeLenInByte = 520
; TotalNumSgprs: 42
; NumVgprs: 53
; ScratchSize: 0
; MemoryBound: 0
; FloatMode: 240
; IeeeMode: 1
; LDSByteSize: 10240 bytes/workgroup (compile time only)
; SGPRBlocks: 0
; VGPRBlocks: 3
; NumSGPRsForWavesPerEU: 42
; NumVGPRsForWavesPerEU: 53
; NamedBarCnt: 0
; Occupancy: 16
; WaveLimiterHint : 0
; COMPUTE_PGM_RSRC2:SCRATCH_EN: 0
; COMPUTE_PGM_RSRC2:USER_SGPR: 4
; COMPUTE_PGM_RSRC2:TRAP_HANDLER: 0
; COMPUTE_PGM_RSRC2:TGID_X_EN: 1
; COMPUTE_PGM_RSRC2:TGID_Y_EN: 1
; COMPUTE_PGM_RSRC2:TGID_Z_EN: 0
; COMPUTE_PGM_RSRC2:TIDIG_COMP_CNT: 2
	.section	.text._ZN7rocprim17ROCPRIM_400000_NS6detail17trampoline_kernelINS0_14default_configENS1_36segmented_radix_sort_config_selectorIslEEZNS1_25segmented_radix_sort_implIS3_Lb1EPKsPsPKlPlN2at6native12_GLOBAL__N_18offset_tEEE10hipError_tPvRmT1_PNSt15iterator_traitsISK_E10value_typeET2_T3_PNSL_ISQ_E10value_typeET4_jRbjT5_SW_jjP12ihipStream_tbEUlT_E1_NS1_11comp_targetILNS1_3genE5ELNS1_11target_archE942ELNS1_3gpuE9ELNS1_3repE0EEENS1_59segmented_radix_sort_warp_sort_small_config_static_selectorELNS0_4arch9wavefront6targetE0EEEvSK_,"axG",@progbits,_ZN7rocprim17ROCPRIM_400000_NS6detail17trampoline_kernelINS0_14default_configENS1_36segmented_radix_sort_config_selectorIslEEZNS1_25segmented_radix_sort_implIS3_Lb1EPKsPsPKlPlN2at6native12_GLOBAL__N_18offset_tEEE10hipError_tPvRmT1_PNSt15iterator_traitsISK_E10value_typeET2_T3_PNSL_ISQ_E10value_typeET4_jRbjT5_SW_jjP12ihipStream_tbEUlT_E1_NS1_11comp_targetILNS1_3genE5ELNS1_11target_archE942ELNS1_3gpuE9ELNS1_3repE0EEENS1_59segmented_radix_sort_warp_sort_small_config_static_selectorELNS0_4arch9wavefront6targetE0EEEvSK_,comdat
	.globl	_ZN7rocprim17ROCPRIM_400000_NS6detail17trampoline_kernelINS0_14default_configENS1_36segmented_radix_sort_config_selectorIslEEZNS1_25segmented_radix_sort_implIS3_Lb1EPKsPsPKlPlN2at6native12_GLOBAL__N_18offset_tEEE10hipError_tPvRmT1_PNSt15iterator_traitsISK_E10value_typeET2_T3_PNSL_ISQ_E10value_typeET4_jRbjT5_SW_jjP12ihipStream_tbEUlT_E1_NS1_11comp_targetILNS1_3genE5ELNS1_11target_archE942ELNS1_3gpuE9ELNS1_3repE0EEENS1_59segmented_radix_sort_warp_sort_small_config_static_selectorELNS0_4arch9wavefront6targetE0EEEvSK_ ; -- Begin function _ZN7rocprim17ROCPRIM_400000_NS6detail17trampoline_kernelINS0_14default_configENS1_36segmented_radix_sort_config_selectorIslEEZNS1_25segmented_radix_sort_implIS3_Lb1EPKsPsPKlPlN2at6native12_GLOBAL__N_18offset_tEEE10hipError_tPvRmT1_PNSt15iterator_traitsISK_E10value_typeET2_T3_PNSL_ISQ_E10value_typeET4_jRbjT5_SW_jjP12ihipStream_tbEUlT_E1_NS1_11comp_targetILNS1_3genE5ELNS1_11target_archE942ELNS1_3gpuE9ELNS1_3repE0EEENS1_59segmented_radix_sort_warp_sort_small_config_static_selectorELNS0_4arch9wavefront6targetE0EEEvSK_
	.p2align	8
	.type	_ZN7rocprim17ROCPRIM_400000_NS6detail17trampoline_kernelINS0_14default_configENS1_36segmented_radix_sort_config_selectorIslEEZNS1_25segmented_radix_sort_implIS3_Lb1EPKsPsPKlPlN2at6native12_GLOBAL__N_18offset_tEEE10hipError_tPvRmT1_PNSt15iterator_traitsISK_E10value_typeET2_T3_PNSL_ISQ_E10value_typeET4_jRbjT5_SW_jjP12ihipStream_tbEUlT_E1_NS1_11comp_targetILNS1_3genE5ELNS1_11target_archE942ELNS1_3gpuE9ELNS1_3repE0EEENS1_59segmented_radix_sort_warp_sort_small_config_static_selectorELNS0_4arch9wavefront6targetE0EEEvSK_,@function
_ZN7rocprim17ROCPRIM_400000_NS6detail17trampoline_kernelINS0_14default_configENS1_36segmented_radix_sort_config_selectorIslEEZNS1_25segmented_radix_sort_implIS3_Lb1EPKsPsPKlPlN2at6native12_GLOBAL__N_18offset_tEEE10hipError_tPvRmT1_PNSt15iterator_traitsISK_E10value_typeET2_T3_PNSL_ISQ_E10value_typeET4_jRbjT5_SW_jjP12ihipStream_tbEUlT_E1_NS1_11comp_targetILNS1_3genE5ELNS1_11target_archE942ELNS1_3gpuE9ELNS1_3repE0EEENS1_59segmented_radix_sort_warp_sort_small_config_static_selectorELNS0_4arch9wavefront6targetE0EEEvSK_: ; @_ZN7rocprim17ROCPRIM_400000_NS6detail17trampoline_kernelINS0_14default_configENS1_36segmented_radix_sort_config_selectorIslEEZNS1_25segmented_radix_sort_implIS3_Lb1EPKsPsPKlPlN2at6native12_GLOBAL__N_18offset_tEEE10hipError_tPvRmT1_PNSt15iterator_traitsISK_E10value_typeET2_T3_PNSL_ISQ_E10value_typeET4_jRbjT5_SW_jjP12ihipStream_tbEUlT_E1_NS1_11comp_targetILNS1_3genE5ELNS1_11target_archE942ELNS1_3gpuE9ELNS1_3repE0EEENS1_59segmented_radix_sort_warp_sort_small_config_static_selectorELNS0_4arch9wavefront6targetE0EEEvSK_
; %bb.0:
	.section	.rodata,"a",@progbits
	.p2align	6, 0x0
	.amdhsa_kernel _ZN7rocprim17ROCPRIM_400000_NS6detail17trampoline_kernelINS0_14default_configENS1_36segmented_radix_sort_config_selectorIslEEZNS1_25segmented_radix_sort_implIS3_Lb1EPKsPsPKlPlN2at6native12_GLOBAL__N_18offset_tEEE10hipError_tPvRmT1_PNSt15iterator_traitsISK_E10value_typeET2_T3_PNSL_ISQ_E10value_typeET4_jRbjT5_SW_jjP12ihipStream_tbEUlT_E1_NS1_11comp_targetILNS1_3genE5ELNS1_11target_archE942ELNS1_3gpuE9ELNS1_3repE0EEENS1_59segmented_radix_sort_warp_sort_small_config_static_selectorELNS0_4arch9wavefront6targetE0EEEvSK_
		.amdhsa_group_segment_fixed_size 0
		.amdhsa_private_segment_fixed_size 0
		.amdhsa_kernarg_size 88
		.amdhsa_user_sgpr_count 2
		.amdhsa_user_sgpr_dispatch_ptr 0
		.amdhsa_user_sgpr_queue_ptr 0
		.amdhsa_user_sgpr_kernarg_segment_ptr 1
		.amdhsa_user_sgpr_dispatch_id 0
		.amdhsa_user_sgpr_kernarg_preload_length 0
		.amdhsa_user_sgpr_kernarg_preload_offset 0
		.amdhsa_user_sgpr_private_segment_size 0
		.amdhsa_wavefront_size32 1
		.amdhsa_uses_dynamic_stack 0
		.amdhsa_enable_private_segment 0
		.amdhsa_system_sgpr_workgroup_id_x 1
		.amdhsa_system_sgpr_workgroup_id_y 0
		.amdhsa_system_sgpr_workgroup_id_z 0
		.amdhsa_system_sgpr_workgroup_info 0
		.amdhsa_system_vgpr_workitem_id 0
		.amdhsa_next_free_vgpr 1
		.amdhsa_next_free_sgpr 1
		.amdhsa_named_barrier_count 0
		.amdhsa_reserve_vcc 0
		.amdhsa_float_round_mode_32 0
		.amdhsa_float_round_mode_16_64 0
		.amdhsa_float_denorm_mode_32 3
		.amdhsa_float_denorm_mode_16_64 3
		.amdhsa_fp16_overflow 0
		.amdhsa_memory_ordered 1
		.amdhsa_forward_progress 1
		.amdhsa_inst_pref_size 0
		.amdhsa_round_robin_scheduling 0
		.amdhsa_exception_fp_ieee_invalid_op 0
		.amdhsa_exception_fp_denorm_src 0
		.amdhsa_exception_fp_ieee_div_zero 0
		.amdhsa_exception_fp_ieee_overflow 0
		.amdhsa_exception_fp_ieee_underflow 0
		.amdhsa_exception_fp_ieee_inexact 0
		.amdhsa_exception_int_div_zero 0
	.end_amdhsa_kernel
	.section	.text._ZN7rocprim17ROCPRIM_400000_NS6detail17trampoline_kernelINS0_14default_configENS1_36segmented_radix_sort_config_selectorIslEEZNS1_25segmented_radix_sort_implIS3_Lb1EPKsPsPKlPlN2at6native12_GLOBAL__N_18offset_tEEE10hipError_tPvRmT1_PNSt15iterator_traitsISK_E10value_typeET2_T3_PNSL_ISQ_E10value_typeET4_jRbjT5_SW_jjP12ihipStream_tbEUlT_E1_NS1_11comp_targetILNS1_3genE5ELNS1_11target_archE942ELNS1_3gpuE9ELNS1_3repE0EEENS1_59segmented_radix_sort_warp_sort_small_config_static_selectorELNS0_4arch9wavefront6targetE0EEEvSK_,"axG",@progbits,_ZN7rocprim17ROCPRIM_400000_NS6detail17trampoline_kernelINS0_14default_configENS1_36segmented_radix_sort_config_selectorIslEEZNS1_25segmented_radix_sort_implIS3_Lb1EPKsPsPKlPlN2at6native12_GLOBAL__N_18offset_tEEE10hipError_tPvRmT1_PNSt15iterator_traitsISK_E10value_typeET2_T3_PNSL_ISQ_E10value_typeET4_jRbjT5_SW_jjP12ihipStream_tbEUlT_E1_NS1_11comp_targetILNS1_3genE5ELNS1_11target_archE942ELNS1_3gpuE9ELNS1_3repE0EEENS1_59segmented_radix_sort_warp_sort_small_config_static_selectorELNS0_4arch9wavefront6targetE0EEEvSK_,comdat
.Lfunc_end928:
	.size	_ZN7rocprim17ROCPRIM_400000_NS6detail17trampoline_kernelINS0_14default_configENS1_36segmented_radix_sort_config_selectorIslEEZNS1_25segmented_radix_sort_implIS3_Lb1EPKsPsPKlPlN2at6native12_GLOBAL__N_18offset_tEEE10hipError_tPvRmT1_PNSt15iterator_traitsISK_E10value_typeET2_T3_PNSL_ISQ_E10value_typeET4_jRbjT5_SW_jjP12ihipStream_tbEUlT_E1_NS1_11comp_targetILNS1_3genE5ELNS1_11target_archE942ELNS1_3gpuE9ELNS1_3repE0EEENS1_59segmented_radix_sort_warp_sort_small_config_static_selectorELNS0_4arch9wavefront6targetE0EEEvSK_, .Lfunc_end928-_ZN7rocprim17ROCPRIM_400000_NS6detail17trampoline_kernelINS0_14default_configENS1_36segmented_radix_sort_config_selectorIslEEZNS1_25segmented_radix_sort_implIS3_Lb1EPKsPsPKlPlN2at6native12_GLOBAL__N_18offset_tEEE10hipError_tPvRmT1_PNSt15iterator_traitsISK_E10value_typeET2_T3_PNSL_ISQ_E10value_typeET4_jRbjT5_SW_jjP12ihipStream_tbEUlT_E1_NS1_11comp_targetILNS1_3genE5ELNS1_11target_archE942ELNS1_3gpuE9ELNS1_3repE0EEENS1_59segmented_radix_sort_warp_sort_small_config_static_selectorELNS0_4arch9wavefront6targetE0EEEvSK_
                                        ; -- End function
	.set _ZN7rocprim17ROCPRIM_400000_NS6detail17trampoline_kernelINS0_14default_configENS1_36segmented_radix_sort_config_selectorIslEEZNS1_25segmented_radix_sort_implIS3_Lb1EPKsPsPKlPlN2at6native12_GLOBAL__N_18offset_tEEE10hipError_tPvRmT1_PNSt15iterator_traitsISK_E10value_typeET2_T3_PNSL_ISQ_E10value_typeET4_jRbjT5_SW_jjP12ihipStream_tbEUlT_E1_NS1_11comp_targetILNS1_3genE5ELNS1_11target_archE942ELNS1_3gpuE9ELNS1_3repE0EEENS1_59segmented_radix_sort_warp_sort_small_config_static_selectorELNS0_4arch9wavefront6targetE0EEEvSK_.num_vgpr, 0
	.set _ZN7rocprim17ROCPRIM_400000_NS6detail17trampoline_kernelINS0_14default_configENS1_36segmented_radix_sort_config_selectorIslEEZNS1_25segmented_radix_sort_implIS3_Lb1EPKsPsPKlPlN2at6native12_GLOBAL__N_18offset_tEEE10hipError_tPvRmT1_PNSt15iterator_traitsISK_E10value_typeET2_T3_PNSL_ISQ_E10value_typeET4_jRbjT5_SW_jjP12ihipStream_tbEUlT_E1_NS1_11comp_targetILNS1_3genE5ELNS1_11target_archE942ELNS1_3gpuE9ELNS1_3repE0EEENS1_59segmented_radix_sort_warp_sort_small_config_static_selectorELNS0_4arch9wavefront6targetE0EEEvSK_.num_agpr, 0
	.set _ZN7rocprim17ROCPRIM_400000_NS6detail17trampoline_kernelINS0_14default_configENS1_36segmented_radix_sort_config_selectorIslEEZNS1_25segmented_radix_sort_implIS3_Lb1EPKsPsPKlPlN2at6native12_GLOBAL__N_18offset_tEEE10hipError_tPvRmT1_PNSt15iterator_traitsISK_E10value_typeET2_T3_PNSL_ISQ_E10value_typeET4_jRbjT5_SW_jjP12ihipStream_tbEUlT_E1_NS1_11comp_targetILNS1_3genE5ELNS1_11target_archE942ELNS1_3gpuE9ELNS1_3repE0EEENS1_59segmented_radix_sort_warp_sort_small_config_static_selectorELNS0_4arch9wavefront6targetE0EEEvSK_.numbered_sgpr, 0
	.set _ZN7rocprim17ROCPRIM_400000_NS6detail17trampoline_kernelINS0_14default_configENS1_36segmented_radix_sort_config_selectorIslEEZNS1_25segmented_radix_sort_implIS3_Lb1EPKsPsPKlPlN2at6native12_GLOBAL__N_18offset_tEEE10hipError_tPvRmT1_PNSt15iterator_traitsISK_E10value_typeET2_T3_PNSL_ISQ_E10value_typeET4_jRbjT5_SW_jjP12ihipStream_tbEUlT_E1_NS1_11comp_targetILNS1_3genE5ELNS1_11target_archE942ELNS1_3gpuE9ELNS1_3repE0EEENS1_59segmented_radix_sort_warp_sort_small_config_static_selectorELNS0_4arch9wavefront6targetE0EEEvSK_.num_named_barrier, 0
	.set _ZN7rocprim17ROCPRIM_400000_NS6detail17trampoline_kernelINS0_14default_configENS1_36segmented_radix_sort_config_selectorIslEEZNS1_25segmented_radix_sort_implIS3_Lb1EPKsPsPKlPlN2at6native12_GLOBAL__N_18offset_tEEE10hipError_tPvRmT1_PNSt15iterator_traitsISK_E10value_typeET2_T3_PNSL_ISQ_E10value_typeET4_jRbjT5_SW_jjP12ihipStream_tbEUlT_E1_NS1_11comp_targetILNS1_3genE5ELNS1_11target_archE942ELNS1_3gpuE9ELNS1_3repE0EEENS1_59segmented_radix_sort_warp_sort_small_config_static_selectorELNS0_4arch9wavefront6targetE0EEEvSK_.private_seg_size, 0
	.set _ZN7rocprim17ROCPRIM_400000_NS6detail17trampoline_kernelINS0_14default_configENS1_36segmented_radix_sort_config_selectorIslEEZNS1_25segmented_radix_sort_implIS3_Lb1EPKsPsPKlPlN2at6native12_GLOBAL__N_18offset_tEEE10hipError_tPvRmT1_PNSt15iterator_traitsISK_E10value_typeET2_T3_PNSL_ISQ_E10value_typeET4_jRbjT5_SW_jjP12ihipStream_tbEUlT_E1_NS1_11comp_targetILNS1_3genE5ELNS1_11target_archE942ELNS1_3gpuE9ELNS1_3repE0EEENS1_59segmented_radix_sort_warp_sort_small_config_static_selectorELNS0_4arch9wavefront6targetE0EEEvSK_.uses_vcc, 0
	.set _ZN7rocprim17ROCPRIM_400000_NS6detail17trampoline_kernelINS0_14default_configENS1_36segmented_radix_sort_config_selectorIslEEZNS1_25segmented_radix_sort_implIS3_Lb1EPKsPsPKlPlN2at6native12_GLOBAL__N_18offset_tEEE10hipError_tPvRmT1_PNSt15iterator_traitsISK_E10value_typeET2_T3_PNSL_ISQ_E10value_typeET4_jRbjT5_SW_jjP12ihipStream_tbEUlT_E1_NS1_11comp_targetILNS1_3genE5ELNS1_11target_archE942ELNS1_3gpuE9ELNS1_3repE0EEENS1_59segmented_radix_sort_warp_sort_small_config_static_selectorELNS0_4arch9wavefront6targetE0EEEvSK_.uses_flat_scratch, 0
	.set _ZN7rocprim17ROCPRIM_400000_NS6detail17trampoline_kernelINS0_14default_configENS1_36segmented_radix_sort_config_selectorIslEEZNS1_25segmented_radix_sort_implIS3_Lb1EPKsPsPKlPlN2at6native12_GLOBAL__N_18offset_tEEE10hipError_tPvRmT1_PNSt15iterator_traitsISK_E10value_typeET2_T3_PNSL_ISQ_E10value_typeET4_jRbjT5_SW_jjP12ihipStream_tbEUlT_E1_NS1_11comp_targetILNS1_3genE5ELNS1_11target_archE942ELNS1_3gpuE9ELNS1_3repE0EEENS1_59segmented_radix_sort_warp_sort_small_config_static_selectorELNS0_4arch9wavefront6targetE0EEEvSK_.has_dyn_sized_stack, 0
	.set _ZN7rocprim17ROCPRIM_400000_NS6detail17trampoline_kernelINS0_14default_configENS1_36segmented_radix_sort_config_selectorIslEEZNS1_25segmented_radix_sort_implIS3_Lb1EPKsPsPKlPlN2at6native12_GLOBAL__N_18offset_tEEE10hipError_tPvRmT1_PNSt15iterator_traitsISK_E10value_typeET2_T3_PNSL_ISQ_E10value_typeET4_jRbjT5_SW_jjP12ihipStream_tbEUlT_E1_NS1_11comp_targetILNS1_3genE5ELNS1_11target_archE942ELNS1_3gpuE9ELNS1_3repE0EEENS1_59segmented_radix_sort_warp_sort_small_config_static_selectorELNS0_4arch9wavefront6targetE0EEEvSK_.has_recursion, 0
	.set _ZN7rocprim17ROCPRIM_400000_NS6detail17trampoline_kernelINS0_14default_configENS1_36segmented_radix_sort_config_selectorIslEEZNS1_25segmented_radix_sort_implIS3_Lb1EPKsPsPKlPlN2at6native12_GLOBAL__N_18offset_tEEE10hipError_tPvRmT1_PNSt15iterator_traitsISK_E10value_typeET2_T3_PNSL_ISQ_E10value_typeET4_jRbjT5_SW_jjP12ihipStream_tbEUlT_E1_NS1_11comp_targetILNS1_3genE5ELNS1_11target_archE942ELNS1_3gpuE9ELNS1_3repE0EEENS1_59segmented_radix_sort_warp_sort_small_config_static_selectorELNS0_4arch9wavefront6targetE0EEEvSK_.has_indirect_call, 0
	.section	.AMDGPU.csdata,"",@progbits
; Kernel info:
; codeLenInByte = 0
; TotalNumSgprs: 0
; NumVgprs: 0
; ScratchSize: 0
; MemoryBound: 0
; FloatMode: 240
; IeeeMode: 1
; LDSByteSize: 0 bytes/workgroup (compile time only)
; SGPRBlocks: 0
; VGPRBlocks: 0
; NumSGPRsForWavesPerEU: 1
; NumVGPRsForWavesPerEU: 1
; NamedBarCnt: 0
; Occupancy: 16
; WaveLimiterHint : 0
; COMPUTE_PGM_RSRC2:SCRATCH_EN: 0
; COMPUTE_PGM_RSRC2:USER_SGPR: 2
; COMPUTE_PGM_RSRC2:TRAP_HANDLER: 0
; COMPUTE_PGM_RSRC2:TGID_X_EN: 1
; COMPUTE_PGM_RSRC2:TGID_Y_EN: 0
; COMPUTE_PGM_RSRC2:TGID_Z_EN: 0
; COMPUTE_PGM_RSRC2:TIDIG_COMP_CNT: 0
	.section	.text._ZN7rocprim17ROCPRIM_400000_NS6detail17trampoline_kernelINS0_14default_configENS1_36segmented_radix_sort_config_selectorIslEEZNS1_25segmented_radix_sort_implIS3_Lb1EPKsPsPKlPlN2at6native12_GLOBAL__N_18offset_tEEE10hipError_tPvRmT1_PNSt15iterator_traitsISK_E10value_typeET2_T3_PNSL_ISQ_E10value_typeET4_jRbjT5_SW_jjP12ihipStream_tbEUlT_E1_NS1_11comp_targetILNS1_3genE4ELNS1_11target_archE910ELNS1_3gpuE8ELNS1_3repE0EEENS1_59segmented_radix_sort_warp_sort_small_config_static_selectorELNS0_4arch9wavefront6targetE0EEEvSK_,"axG",@progbits,_ZN7rocprim17ROCPRIM_400000_NS6detail17trampoline_kernelINS0_14default_configENS1_36segmented_radix_sort_config_selectorIslEEZNS1_25segmented_radix_sort_implIS3_Lb1EPKsPsPKlPlN2at6native12_GLOBAL__N_18offset_tEEE10hipError_tPvRmT1_PNSt15iterator_traitsISK_E10value_typeET2_T3_PNSL_ISQ_E10value_typeET4_jRbjT5_SW_jjP12ihipStream_tbEUlT_E1_NS1_11comp_targetILNS1_3genE4ELNS1_11target_archE910ELNS1_3gpuE8ELNS1_3repE0EEENS1_59segmented_radix_sort_warp_sort_small_config_static_selectorELNS0_4arch9wavefront6targetE0EEEvSK_,comdat
	.globl	_ZN7rocprim17ROCPRIM_400000_NS6detail17trampoline_kernelINS0_14default_configENS1_36segmented_radix_sort_config_selectorIslEEZNS1_25segmented_radix_sort_implIS3_Lb1EPKsPsPKlPlN2at6native12_GLOBAL__N_18offset_tEEE10hipError_tPvRmT1_PNSt15iterator_traitsISK_E10value_typeET2_T3_PNSL_ISQ_E10value_typeET4_jRbjT5_SW_jjP12ihipStream_tbEUlT_E1_NS1_11comp_targetILNS1_3genE4ELNS1_11target_archE910ELNS1_3gpuE8ELNS1_3repE0EEENS1_59segmented_radix_sort_warp_sort_small_config_static_selectorELNS0_4arch9wavefront6targetE0EEEvSK_ ; -- Begin function _ZN7rocprim17ROCPRIM_400000_NS6detail17trampoline_kernelINS0_14default_configENS1_36segmented_radix_sort_config_selectorIslEEZNS1_25segmented_radix_sort_implIS3_Lb1EPKsPsPKlPlN2at6native12_GLOBAL__N_18offset_tEEE10hipError_tPvRmT1_PNSt15iterator_traitsISK_E10value_typeET2_T3_PNSL_ISQ_E10value_typeET4_jRbjT5_SW_jjP12ihipStream_tbEUlT_E1_NS1_11comp_targetILNS1_3genE4ELNS1_11target_archE910ELNS1_3gpuE8ELNS1_3repE0EEENS1_59segmented_radix_sort_warp_sort_small_config_static_selectorELNS0_4arch9wavefront6targetE0EEEvSK_
	.p2align	8
	.type	_ZN7rocprim17ROCPRIM_400000_NS6detail17trampoline_kernelINS0_14default_configENS1_36segmented_radix_sort_config_selectorIslEEZNS1_25segmented_radix_sort_implIS3_Lb1EPKsPsPKlPlN2at6native12_GLOBAL__N_18offset_tEEE10hipError_tPvRmT1_PNSt15iterator_traitsISK_E10value_typeET2_T3_PNSL_ISQ_E10value_typeET4_jRbjT5_SW_jjP12ihipStream_tbEUlT_E1_NS1_11comp_targetILNS1_3genE4ELNS1_11target_archE910ELNS1_3gpuE8ELNS1_3repE0EEENS1_59segmented_radix_sort_warp_sort_small_config_static_selectorELNS0_4arch9wavefront6targetE0EEEvSK_,@function
_ZN7rocprim17ROCPRIM_400000_NS6detail17trampoline_kernelINS0_14default_configENS1_36segmented_radix_sort_config_selectorIslEEZNS1_25segmented_radix_sort_implIS3_Lb1EPKsPsPKlPlN2at6native12_GLOBAL__N_18offset_tEEE10hipError_tPvRmT1_PNSt15iterator_traitsISK_E10value_typeET2_T3_PNSL_ISQ_E10value_typeET4_jRbjT5_SW_jjP12ihipStream_tbEUlT_E1_NS1_11comp_targetILNS1_3genE4ELNS1_11target_archE910ELNS1_3gpuE8ELNS1_3repE0EEENS1_59segmented_radix_sort_warp_sort_small_config_static_selectorELNS0_4arch9wavefront6targetE0EEEvSK_: ; @_ZN7rocprim17ROCPRIM_400000_NS6detail17trampoline_kernelINS0_14default_configENS1_36segmented_radix_sort_config_selectorIslEEZNS1_25segmented_radix_sort_implIS3_Lb1EPKsPsPKlPlN2at6native12_GLOBAL__N_18offset_tEEE10hipError_tPvRmT1_PNSt15iterator_traitsISK_E10value_typeET2_T3_PNSL_ISQ_E10value_typeET4_jRbjT5_SW_jjP12ihipStream_tbEUlT_E1_NS1_11comp_targetILNS1_3genE4ELNS1_11target_archE910ELNS1_3gpuE8ELNS1_3repE0EEENS1_59segmented_radix_sort_warp_sort_small_config_static_selectorELNS0_4arch9wavefront6targetE0EEEvSK_
; %bb.0:
	.section	.rodata,"a",@progbits
	.p2align	6, 0x0
	.amdhsa_kernel _ZN7rocprim17ROCPRIM_400000_NS6detail17trampoline_kernelINS0_14default_configENS1_36segmented_radix_sort_config_selectorIslEEZNS1_25segmented_radix_sort_implIS3_Lb1EPKsPsPKlPlN2at6native12_GLOBAL__N_18offset_tEEE10hipError_tPvRmT1_PNSt15iterator_traitsISK_E10value_typeET2_T3_PNSL_ISQ_E10value_typeET4_jRbjT5_SW_jjP12ihipStream_tbEUlT_E1_NS1_11comp_targetILNS1_3genE4ELNS1_11target_archE910ELNS1_3gpuE8ELNS1_3repE0EEENS1_59segmented_radix_sort_warp_sort_small_config_static_selectorELNS0_4arch9wavefront6targetE0EEEvSK_
		.amdhsa_group_segment_fixed_size 0
		.amdhsa_private_segment_fixed_size 0
		.amdhsa_kernarg_size 88
		.amdhsa_user_sgpr_count 2
		.amdhsa_user_sgpr_dispatch_ptr 0
		.amdhsa_user_sgpr_queue_ptr 0
		.amdhsa_user_sgpr_kernarg_segment_ptr 1
		.amdhsa_user_sgpr_dispatch_id 0
		.amdhsa_user_sgpr_kernarg_preload_length 0
		.amdhsa_user_sgpr_kernarg_preload_offset 0
		.amdhsa_user_sgpr_private_segment_size 0
		.amdhsa_wavefront_size32 1
		.amdhsa_uses_dynamic_stack 0
		.amdhsa_enable_private_segment 0
		.amdhsa_system_sgpr_workgroup_id_x 1
		.amdhsa_system_sgpr_workgroup_id_y 0
		.amdhsa_system_sgpr_workgroup_id_z 0
		.amdhsa_system_sgpr_workgroup_info 0
		.amdhsa_system_vgpr_workitem_id 0
		.amdhsa_next_free_vgpr 1
		.amdhsa_next_free_sgpr 1
		.amdhsa_named_barrier_count 0
		.amdhsa_reserve_vcc 0
		.amdhsa_float_round_mode_32 0
		.amdhsa_float_round_mode_16_64 0
		.amdhsa_float_denorm_mode_32 3
		.amdhsa_float_denorm_mode_16_64 3
		.amdhsa_fp16_overflow 0
		.amdhsa_memory_ordered 1
		.amdhsa_forward_progress 1
		.amdhsa_inst_pref_size 0
		.amdhsa_round_robin_scheduling 0
		.amdhsa_exception_fp_ieee_invalid_op 0
		.amdhsa_exception_fp_denorm_src 0
		.amdhsa_exception_fp_ieee_div_zero 0
		.amdhsa_exception_fp_ieee_overflow 0
		.amdhsa_exception_fp_ieee_underflow 0
		.amdhsa_exception_fp_ieee_inexact 0
		.amdhsa_exception_int_div_zero 0
	.end_amdhsa_kernel
	.section	.text._ZN7rocprim17ROCPRIM_400000_NS6detail17trampoline_kernelINS0_14default_configENS1_36segmented_radix_sort_config_selectorIslEEZNS1_25segmented_radix_sort_implIS3_Lb1EPKsPsPKlPlN2at6native12_GLOBAL__N_18offset_tEEE10hipError_tPvRmT1_PNSt15iterator_traitsISK_E10value_typeET2_T3_PNSL_ISQ_E10value_typeET4_jRbjT5_SW_jjP12ihipStream_tbEUlT_E1_NS1_11comp_targetILNS1_3genE4ELNS1_11target_archE910ELNS1_3gpuE8ELNS1_3repE0EEENS1_59segmented_radix_sort_warp_sort_small_config_static_selectorELNS0_4arch9wavefront6targetE0EEEvSK_,"axG",@progbits,_ZN7rocprim17ROCPRIM_400000_NS6detail17trampoline_kernelINS0_14default_configENS1_36segmented_radix_sort_config_selectorIslEEZNS1_25segmented_radix_sort_implIS3_Lb1EPKsPsPKlPlN2at6native12_GLOBAL__N_18offset_tEEE10hipError_tPvRmT1_PNSt15iterator_traitsISK_E10value_typeET2_T3_PNSL_ISQ_E10value_typeET4_jRbjT5_SW_jjP12ihipStream_tbEUlT_E1_NS1_11comp_targetILNS1_3genE4ELNS1_11target_archE910ELNS1_3gpuE8ELNS1_3repE0EEENS1_59segmented_radix_sort_warp_sort_small_config_static_selectorELNS0_4arch9wavefront6targetE0EEEvSK_,comdat
.Lfunc_end929:
	.size	_ZN7rocprim17ROCPRIM_400000_NS6detail17trampoline_kernelINS0_14default_configENS1_36segmented_radix_sort_config_selectorIslEEZNS1_25segmented_radix_sort_implIS3_Lb1EPKsPsPKlPlN2at6native12_GLOBAL__N_18offset_tEEE10hipError_tPvRmT1_PNSt15iterator_traitsISK_E10value_typeET2_T3_PNSL_ISQ_E10value_typeET4_jRbjT5_SW_jjP12ihipStream_tbEUlT_E1_NS1_11comp_targetILNS1_3genE4ELNS1_11target_archE910ELNS1_3gpuE8ELNS1_3repE0EEENS1_59segmented_radix_sort_warp_sort_small_config_static_selectorELNS0_4arch9wavefront6targetE0EEEvSK_, .Lfunc_end929-_ZN7rocprim17ROCPRIM_400000_NS6detail17trampoline_kernelINS0_14default_configENS1_36segmented_radix_sort_config_selectorIslEEZNS1_25segmented_radix_sort_implIS3_Lb1EPKsPsPKlPlN2at6native12_GLOBAL__N_18offset_tEEE10hipError_tPvRmT1_PNSt15iterator_traitsISK_E10value_typeET2_T3_PNSL_ISQ_E10value_typeET4_jRbjT5_SW_jjP12ihipStream_tbEUlT_E1_NS1_11comp_targetILNS1_3genE4ELNS1_11target_archE910ELNS1_3gpuE8ELNS1_3repE0EEENS1_59segmented_radix_sort_warp_sort_small_config_static_selectorELNS0_4arch9wavefront6targetE0EEEvSK_
                                        ; -- End function
	.set _ZN7rocprim17ROCPRIM_400000_NS6detail17trampoline_kernelINS0_14default_configENS1_36segmented_radix_sort_config_selectorIslEEZNS1_25segmented_radix_sort_implIS3_Lb1EPKsPsPKlPlN2at6native12_GLOBAL__N_18offset_tEEE10hipError_tPvRmT1_PNSt15iterator_traitsISK_E10value_typeET2_T3_PNSL_ISQ_E10value_typeET4_jRbjT5_SW_jjP12ihipStream_tbEUlT_E1_NS1_11comp_targetILNS1_3genE4ELNS1_11target_archE910ELNS1_3gpuE8ELNS1_3repE0EEENS1_59segmented_radix_sort_warp_sort_small_config_static_selectorELNS0_4arch9wavefront6targetE0EEEvSK_.num_vgpr, 0
	.set _ZN7rocprim17ROCPRIM_400000_NS6detail17trampoline_kernelINS0_14default_configENS1_36segmented_radix_sort_config_selectorIslEEZNS1_25segmented_radix_sort_implIS3_Lb1EPKsPsPKlPlN2at6native12_GLOBAL__N_18offset_tEEE10hipError_tPvRmT1_PNSt15iterator_traitsISK_E10value_typeET2_T3_PNSL_ISQ_E10value_typeET4_jRbjT5_SW_jjP12ihipStream_tbEUlT_E1_NS1_11comp_targetILNS1_3genE4ELNS1_11target_archE910ELNS1_3gpuE8ELNS1_3repE0EEENS1_59segmented_radix_sort_warp_sort_small_config_static_selectorELNS0_4arch9wavefront6targetE0EEEvSK_.num_agpr, 0
	.set _ZN7rocprim17ROCPRIM_400000_NS6detail17trampoline_kernelINS0_14default_configENS1_36segmented_radix_sort_config_selectorIslEEZNS1_25segmented_radix_sort_implIS3_Lb1EPKsPsPKlPlN2at6native12_GLOBAL__N_18offset_tEEE10hipError_tPvRmT1_PNSt15iterator_traitsISK_E10value_typeET2_T3_PNSL_ISQ_E10value_typeET4_jRbjT5_SW_jjP12ihipStream_tbEUlT_E1_NS1_11comp_targetILNS1_3genE4ELNS1_11target_archE910ELNS1_3gpuE8ELNS1_3repE0EEENS1_59segmented_radix_sort_warp_sort_small_config_static_selectorELNS0_4arch9wavefront6targetE0EEEvSK_.numbered_sgpr, 0
	.set _ZN7rocprim17ROCPRIM_400000_NS6detail17trampoline_kernelINS0_14default_configENS1_36segmented_radix_sort_config_selectorIslEEZNS1_25segmented_radix_sort_implIS3_Lb1EPKsPsPKlPlN2at6native12_GLOBAL__N_18offset_tEEE10hipError_tPvRmT1_PNSt15iterator_traitsISK_E10value_typeET2_T3_PNSL_ISQ_E10value_typeET4_jRbjT5_SW_jjP12ihipStream_tbEUlT_E1_NS1_11comp_targetILNS1_3genE4ELNS1_11target_archE910ELNS1_3gpuE8ELNS1_3repE0EEENS1_59segmented_radix_sort_warp_sort_small_config_static_selectorELNS0_4arch9wavefront6targetE0EEEvSK_.num_named_barrier, 0
	.set _ZN7rocprim17ROCPRIM_400000_NS6detail17trampoline_kernelINS0_14default_configENS1_36segmented_radix_sort_config_selectorIslEEZNS1_25segmented_radix_sort_implIS3_Lb1EPKsPsPKlPlN2at6native12_GLOBAL__N_18offset_tEEE10hipError_tPvRmT1_PNSt15iterator_traitsISK_E10value_typeET2_T3_PNSL_ISQ_E10value_typeET4_jRbjT5_SW_jjP12ihipStream_tbEUlT_E1_NS1_11comp_targetILNS1_3genE4ELNS1_11target_archE910ELNS1_3gpuE8ELNS1_3repE0EEENS1_59segmented_radix_sort_warp_sort_small_config_static_selectorELNS0_4arch9wavefront6targetE0EEEvSK_.private_seg_size, 0
	.set _ZN7rocprim17ROCPRIM_400000_NS6detail17trampoline_kernelINS0_14default_configENS1_36segmented_radix_sort_config_selectorIslEEZNS1_25segmented_radix_sort_implIS3_Lb1EPKsPsPKlPlN2at6native12_GLOBAL__N_18offset_tEEE10hipError_tPvRmT1_PNSt15iterator_traitsISK_E10value_typeET2_T3_PNSL_ISQ_E10value_typeET4_jRbjT5_SW_jjP12ihipStream_tbEUlT_E1_NS1_11comp_targetILNS1_3genE4ELNS1_11target_archE910ELNS1_3gpuE8ELNS1_3repE0EEENS1_59segmented_radix_sort_warp_sort_small_config_static_selectorELNS0_4arch9wavefront6targetE0EEEvSK_.uses_vcc, 0
	.set _ZN7rocprim17ROCPRIM_400000_NS6detail17trampoline_kernelINS0_14default_configENS1_36segmented_radix_sort_config_selectorIslEEZNS1_25segmented_radix_sort_implIS3_Lb1EPKsPsPKlPlN2at6native12_GLOBAL__N_18offset_tEEE10hipError_tPvRmT1_PNSt15iterator_traitsISK_E10value_typeET2_T3_PNSL_ISQ_E10value_typeET4_jRbjT5_SW_jjP12ihipStream_tbEUlT_E1_NS1_11comp_targetILNS1_3genE4ELNS1_11target_archE910ELNS1_3gpuE8ELNS1_3repE0EEENS1_59segmented_radix_sort_warp_sort_small_config_static_selectorELNS0_4arch9wavefront6targetE0EEEvSK_.uses_flat_scratch, 0
	.set _ZN7rocprim17ROCPRIM_400000_NS6detail17trampoline_kernelINS0_14default_configENS1_36segmented_radix_sort_config_selectorIslEEZNS1_25segmented_radix_sort_implIS3_Lb1EPKsPsPKlPlN2at6native12_GLOBAL__N_18offset_tEEE10hipError_tPvRmT1_PNSt15iterator_traitsISK_E10value_typeET2_T3_PNSL_ISQ_E10value_typeET4_jRbjT5_SW_jjP12ihipStream_tbEUlT_E1_NS1_11comp_targetILNS1_3genE4ELNS1_11target_archE910ELNS1_3gpuE8ELNS1_3repE0EEENS1_59segmented_radix_sort_warp_sort_small_config_static_selectorELNS0_4arch9wavefront6targetE0EEEvSK_.has_dyn_sized_stack, 0
	.set _ZN7rocprim17ROCPRIM_400000_NS6detail17trampoline_kernelINS0_14default_configENS1_36segmented_radix_sort_config_selectorIslEEZNS1_25segmented_radix_sort_implIS3_Lb1EPKsPsPKlPlN2at6native12_GLOBAL__N_18offset_tEEE10hipError_tPvRmT1_PNSt15iterator_traitsISK_E10value_typeET2_T3_PNSL_ISQ_E10value_typeET4_jRbjT5_SW_jjP12ihipStream_tbEUlT_E1_NS1_11comp_targetILNS1_3genE4ELNS1_11target_archE910ELNS1_3gpuE8ELNS1_3repE0EEENS1_59segmented_radix_sort_warp_sort_small_config_static_selectorELNS0_4arch9wavefront6targetE0EEEvSK_.has_recursion, 0
	.set _ZN7rocprim17ROCPRIM_400000_NS6detail17trampoline_kernelINS0_14default_configENS1_36segmented_radix_sort_config_selectorIslEEZNS1_25segmented_radix_sort_implIS3_Lb1EPKsPsPKlPlN2at6native12_GLOBAL__N_18offset_tEEE10hipError_tPvRmT1_PNSt15iterator_traitsISK_E10value_typeET2_T3_PNSL_ISQ_E10value_typeET4_jRbjT5_SW_jjP12ihipStream_tbEUlT_E1_NS1_11comp_targetILNS1_3genE4ELNS1_11target_archE910ELNS1_3gpuE8ELNS1_3repE0EEENS1_59segmented_radix_sort_warp_sort_small_config_static_selectorELNS0_4arch9wavefront6targetE0EEEvSK_.has_indirect_call, 0
	.section	.AMDGPU.csdata,"",@progbits
; Kernel info:
; codeLenInByte = 0
; TotalNumSgprs: 0
; NumVgprs: 0
; ScratchSize: 0
; MemoryBound: 0
; FloatMode: 240
; IeeeMode: 1
; LDSByteSize: 0 bytes/workgroup (compile time only)
; SGPRBlocks: 0
; VGPRBlocks: 0
; NumSGPRsForWavesPerEU: 1
; NumVGPRsForWavesPerEU: 1
; NamedBarCnt: 0
; Occupancy: 16
; WaveLimiterHint : 0
; COMPUTE_PGM_RSRC2:SCRATCH_EN: 0
; COMPUTE_PGM_RSRC2:USER_SGPR: 2
; COMPUTE_PGM_RSRC2:TRAP_HANDLER: 0
; COMPUTE_PGM_RSRC2:TGID_X_EN: 1
; COMPUTE_PGM_RSRC2:TGID_Y_EN: 0
; COMPUTE_PGM_RSRC2:TGID_Z_EN: 0
; COMPUTE_PGM_RSRC2:TIDIG_COMP_CNT: 0
	.section	.text._ZN7rocprim17ROCPRIM_400000_NS6detail17trampoline_kernelINS0_14default_configENS1_36segmented_radix_sort_config_selectorIslEEZNS1_25segmented_radix_sort_implIS3_Lb1EPKsPsPKlPlN2at6native12_GLOBAL__N_18offset_tEEE10hipError_tPvRmT1_PNSt15iterator_traitsISK_E10value_typeET2_T3_PNSL_ISQ_E10value_typeET4_jRbjT5_SW_jjP12ihipStream_tbEUlT_E1_NS1_11comp_targetILNS1_3genE3ELNS1_11target_archE908ELNS1_3gpuE7ELNS1_3repE0EEENS1_59segmented_radix_sort_warp_sort_small_config_static_selectorELNS0_4arch9wavefront6targetE0EEEvSK_,"axG",@progbits,_ZN7rocprim17ROCPRIM_400000_NS6detail17trampoline_kernelINS0_14default_configENS1_36segmented_radix_sort_config_selectorIslEEZNS1_25segmented_radix_sort_implIS3_Lb1EPKsPsPKlPlN2at6native12_GLOBAL__N_18offset_tEEE10hipError_tPvRmT1_PNSt15iterator_traitsISK_E10value_typeET2_T3_PNSL_ISQ_E10value_typeET4_jRbjT5_SW_jjP12ihipStream_tbEUlT_E1_NS1_11comp_targetILNS1_3genE3ELNS1_11target_archE908ELNS1_3gpuE7ELNS1_3repE0EEENS1_59segmented_radix_sort_warp_sort_small_config_static_selectorELNS0_4arch9wavefront6targetE0EEEvSK_,comdat
	.globl	_ZN7rocprim17ROCPRIM_400000_NS6detail17trampoline_kernelINS0_14default_configENS1_36segmented_radix_sort_config_selectorIslEEZNS1_25segmented_radix_sort_implIS3_Lb1EPKsPsPKlPlN2at6native12_GLOBAL__N_18offset_tEEE10hipError_tPvRmT1_PNSt15iterator_traitsISK_E10value_typeET2_T3_PNSL_ISQ_E10value_typeET4_jRbjT5_SW_jjP12ihipStream_tbEUlT_E1_NS1_11comp_targetILNS1_3genE3ELNS1_11target_archE908ELNS1_3gpuE7ELNS1_3repE0EEENS1_59segmented_radix_sort_warp_sort_small_config_static_selectorELNS0_4arch9wavefront6targetE0EEEvSK_ ; -- Begin function _ZN7rocprim17ROCPRIM_400000_NS6detail17trampoline_kernelINS0_14default_configENS1_36segmented_radix_sort_config_selectorIslEEZNS1_25segmented_radix_sort_implIS3_Lb1EPKsPsPKlPlN2at6native12_GLOBAL__N_18offset_tEEE10hipError_tPvRmT1_PNSt15iterator_traitsISK_E10value_typeET2_T3_PNSL_ISQ_E10value_typeET4_jRbjT5_SW_jjP12ihipStream_tbEUlT_E1_NS1_11comp_targetILNS1_3genE3ELNS1_11target_archE908ELNS1_3gpuE7ELNS1_3repE0EEENS1_59segmented_radix_sort_warp_sort_small_config_static_selectorELNS0_4arch9wavefront6targetE0EEEvSK_
	.p2align	8
	.type	_ZN7rocprim17ROCPRIM_400000_NS6detail17trampoline_kernelINS0_14default_configENS1_36segmented_radix_sort_config_selectorIslEEZNS1_25segmented_radix_sort_implIS3_Lb1EPKsPsPKlPlN2at6native12_GLOBAL__N_18offset_tEEE10hipError_tPvRmT1_PNSt15iterator_traitsISK_E10value_typeET2_T3_PNSL_ISQ_E10value_typeET4_jRbjT5_SW_jjP12ihipStream_tbEUlT_E1_NS1_11comp_targetILNS1_3genE3ELNS1_11target_archE908ELNS1_3gpuE7ELNS1_3repE0EEENS1_59segmented_radix_sort_warp_sort_small_config_static_selectorELNS0_4arch9wavefront6targetE0EEEvSK_,@function
_ZN7rocprim17ROCPRIM_400000_NS6detail17trampoline_kernelINS0_14default_configENS1_36segmented_radix_sort_config_selectorIslEEZNS1_25segmented_radix_sort_implIS3_Lb1EPKsPsPKlPlN2at6native12_GLOBAL__N_18offset_tEEE10hipError_tPvRmT1_PNSt15iterator_traitsISK_E10value_typeET2_T3_PNSL_ISQ_E10value_typeET4_jRbjT5_SW_jjP12ihipStream_tbEUlT_E1_NS1_11comp_targetILNS1_3genE3ELNS1_11target_archE908ELNS1_3gpuE7ELNS1_3repE0EEENS1_59segmented_radix_sort_warp_sort_small_config_static_selectorELNS0_4arch9wavefront6targetE0EEEvSK_: ; @_ZN7rocprim17ROCPRIM_400000_NS6detail17trampoline_kernelINS0_14default_configENS1_36segmented_radix_sort_config_selectorIslEEZNS1_25segmented_radix_sort_implIS3_Lb1EPKsPsPKlPlN2at6native12_GLOBAL__N_18offset_tEEE10hipError_tPvRmT1_PNSt15iterator_traitsISK_E10value_typeET2_T3_PNSL_ISQ_E10value_typeET4_jRbjT5_SW_jjP12ihipStream_tbEUlT_E1_NS1_11comp_targetILNS1_3genE3ELNS1_11target_archE908ELNS1_3gpuE7ELNS1_3repE0EEENS1_59segmented_radix_sort_warp_sort_small_config_static_selectorELNS0_4arch9wavefront6targetE0EEEvSK_
; %bb.0:
	.section	.rodata,"a",@progbits
	.p2align	6, 0x0
	.amdhsa_kernel _ZN7rocprim17ROCPRIM_400000_NS6detail17trampoline_kernelINS0_14default_configENS1_36segmented_radix_sort_config_selectorIslEEZNS1_25segmented_radix_sort_implIS3_Lb1EPKsPsPKlPlN2at6native12_GLOBAL__N_18offset_tEEE10hipError_tPvRmT1_PNSt15iterator_traitsISK_E10value_typeET2_T3_PNSL_ISQ_E10value_typeET4_jRbjT5_SW_jjP12ihipStream_tbEUlT_E1_NS1_11comp_targetILNS1_3genE3ELNS1_11target_archE908ELNS1_3gpuE7ELNS1_3repE0EEENS1_59segmented_radix_sort_warp_sort_small_config_static_selectorELNS0_4arch9wavefront6targetE0EEEvSK_
		.amdhsa_group_segment_fixed_size 0
		.amdhsa_private_segment_fixed_size 0
		.amdhsa_kernarg_size 88
		.amdhsa_user_sgpr_count 2
		.amdhsa_user_sgpr_dispatch_ptr 0
		.amdhsa_user_sgpr_queue_ptr 0
		.amdhsa_user_sgpr_kernarg_segment_ptr 1
		.amdhsa_user_sgpr_dispatch_id 0
		.amdhsa_user_sgpr_kernarg_preload_length 0
		.amdhsa_user_sgpr_kernarg_preload_offset 0
		.amdhsa_user_sgpr_private_segment_size 0
		.amdhsa_wavefront_size32 1
		.amdhsa_uses_dynamic_stack 0
		.amdhsa_enable_private_segment 0
		.amdhsa_system_sgpr_workgroup_id_x 1
		.amdhsa_system_sgpr_workgroup_id_y 0
		.amdhsa_system_sgpr_workgroup_id_z 0
		.amdhsa_system_sgpr_workgroup_info 0
		.amdhsa_system_vgpr_workitem_id 0
		.amdhsa_next_free_vgpr 1
		.amdhsa_next_free_sgpr 1
		.amdhsa_named_barrier_count 0
		.amdhsa_reserve_vcc 0
		.amdhsa_float_round_mode_32 0
		.amdhsa_float_round_mode_16_64 0
		.amdhsa_float_denorm_mode_32 3
		.amdhsa_float_denorm_mode_16_64 3
		.amdhsa_fp16_overflow 0
		.amdhsa_memory_ordered 1
		.amdhsa_forward_progress 1
		.amdhsa_inst_pref_size 0
		.amdhsa_round_robin_scheduling 0
		.amdhsa_exception_fp_ieee_invalid_op 0
		.amdhsa_exception_fp_denorm_src 0
		.amdhsa_exception_fp_ieee_div_zero 0
		.amdhsa_exception_fp_ieee_overflow 0
		.amdhsa_exception_fp_ieee_underflow 0
		.amdhsa_exception_fp_ieee_inexact 0
		.amdhsa_exception_int_div_zero 0
	.end_amdhsa_kernel
	.section	.text._ZN7rocprim17ROCPRIM_400000_NS6detail17trampoline_kernelINS0_14default_configENS1_36segmented_radix_sort_config_selectorIslEEZNS1_25segmented_radix_sort_implIS3_Lb1EPKsPsPKlPlN2at6native12_GLOBAL__N_18offset_tEEE10hipError_tPvRmT1_PNSt15iterator_traitsISK_E10value_typeET2_T3_PNSL_ISQ_E10value_typeET4_jRbjT5_SW_jjP12ihipStream_tbEUlT_E1_NS1_11comp_targetILNS1_3genE3ELNS1_11target_archE908ELNS1_3gpuE7ELNS1_3repE0EEENS1_59segmented_radix_sort_warp_sort_small_config_static_selectorELNS0_4arch9wavefront6targetE0EEEvSK_,"axG",@progbits,_ZN7rocprim17ROCPRIM_400000_NS6detail17trampoline_kernelINS0_14default_configENS1_36segmented_radix_sort_config_selectorIslEEZNS1_25segmented_radix_sort_implIS3_Lb1EPKsPsPKlPlN2at6native12_GLOBAL__N_18offset_tEEE10hipError_tPvRmT1_PNSt15iterator_traitsISK_E10value_typeET2_T3_PNSL_ISQ_E10value_typeET4_jRbjT5_SW_jjP12ihipStream_tbEUlT_E1_NS1_11comp_targetILNS1_3genE3ELNS1_11target_archE908ELNS1_3gpuE7ELNS1_3repE0EEENS1_59segmented_radix_sort_warp_sort_small_config_static_selectorELNS0_4arch9wavefront6targetE0EEEvSK_,comdat
.Lfunc_end930:
	.size	_ZN7rocprim17ROCPRIM_400000_NS6detail17trampoline_kernelINS0_14default_configENS1_36segmented_radix_sort_config_selectorIslEEZNS1_25segmented_radix_sort_implIS3_Lb1EPKsPsPKlPlN2at6native12_GLOBAL__N_18offset_tEEE10hipError_tPvRmT1_PNSt15iterator_traitsISK_E10value_typeET2_T3_PNSL_ISQ_E10value_typeET4_jRbjT5_SW_jjP12ihipStream_tbEUlT_E1_NS1_11comp_targetILNS1_3genE3ELNS1_11target_archE908ELNS1_3gpuE7ELNS1_3repE0EEENS1_59segmented_radix_sort_warp_sort_small_config_static_selectorELNS0_4arch9wavefront6targetE0EEEvSK_, .Lfunc_end930-_ZN7rocprim17ROCPRIM_400000_NS6detail17trampoline_kernelINS0_14default_configENS1_36segmented_radix_sort_config_selectorIslEEZNS1_25segmented_radix_sort_implIS3_Lb1EPKsPsPKlPlN2at6native12_GLOBAL__N_18offset_tEEE10hipError_tPvRmT1_PNSt15iterator_traitsISK_E10value_typeET2_T3_PNSL_ISQ_E10value_typeET4_jRbjT5_SW_jjP12ihipStream_tbEUlT_E1_NS1_11comp_targetILNS1_3genE3ELNS1_11target_archE908ELNS1_3gpuE7ELNS1_3repE0EEENS1_59segmented_radix_sort_warp_sort_small_config_static_selectorELNS0_4arch9wavefront6targetE0EEEvSK_
                                        ; -- End function
	.set _ZN7rocprim17ROCPRIM_400000_NS6detail17trampoline_kernelINS0_14default_configENS1_36segmented_radix_sort_config_selectorIslEEZNS1_25segmented_radix_sort_implIS3_Lb1EPKsPsPKlPlN2at6native12_GLOBAL__N_18offset_tEEE10hipError_tPvRmT1_PNSt15iterator_traitsISK_E10value_typeET2_T3_PNSL_ISQ_E10value_typeET4_jRbjT5_SW_jjP12ihipStream_tbEUlT_E1_NS1_11comp_targetILNS1_3genE3ELNS1_11target_archE908ELNS1_3gpuE7ELNS1_3repE0EEENS1_59segmented_radix_sort_warp_sort_small_config_static_selectorELNS0_4arch9wavefront6targetE0EEEvSK_.num_vgpr, 0
	.set _ZN7rocprim17ROCPRIM_400000_NS6detail17trampoline_kernelINS0_14default_configENS1_36segmented_radix_sort_config_selectorIslEEZNS1_25segmented_radix_sort_implIS3_Lb1EPKsPsPKlPlN2at6native12_GLOBAL__N_18offset_tEEE10hipError_tPvRmT1_PNSt15iterator_traitsISK_E10value_typeET2_T3_PNSL_ISQ_E10value_typeET4_jRbjT5_SW_jjP12ihipStream_tbEUlT_E1_NS1_11comp_targetILNS1_3genE3ELNS1_11target_archE908ELNS1_3gpuE7ELNS1_3repE0EEENS1_59segmented_radix_sort_warp_sort_small_config_static_selectorELNS0_4arch9wavefront6targetE0EEEvSK_.num_agpr, 0
	.set _ZN7rocprim17ROCPRIM_400000_NS6detail17trampoline_kernelINS0_14default_configENS1_36segmented_radix_sort_config_selectorIslEEZNS1_25segmented_radix_sort_implIS3_Lb1EPKsPsPKlPlN2at6native12_GLOBAL__N_18offset_tEEE10hipError_tPvRmT1_PNSt15iterator_traitsISK_E10value_typeET2_T3_PNSL_ISQ_E10value_typeET4_jRbjT5_SW_jjP12ihipStream_tbEUlT_E1_NS1_11comp_targetILNS1_3genE3ELNS1_11target_archE908ELNS1_3gpuE7ELNS1_3repE0EEENS1_59segmented_radix_sort_warp_sort_small_config_static_selectorELNS0_4arch9wavefront6targetE0EEEvSK_.numbered_sgpr, 0
	.set _ZN7rocprim17ROCPRIM_400000_NS6detail17trampoline_kernelINS0_14default_configENS1_36segmented_radix_sort_config_selectorIslEEZNS1_25segmented_radix_sort_implIS3_Lb1EPKsPsPKlPlN2at6native12_GLOBAL__N_18offset_tEEE10hipError_tPvRmT1_PNSt15iterator_traitsISK_E10value_typeET2_T3_PNSL_ISQ_E10value_typeET4_jRbjT5_SW_jjP12ihipStream_tbEUlT_E1_NS1_11comp_targetILNS1_3genE3ELNS1_11target_archE908ELNS1_3gpuE7ELNS1_3repE0EEENS1_59segmented_radix_sort_warp_sort_small_config_static_selectorELNS0_4arch9wavefront6targetE0EEEvSK_.num_named_barrier, 0
	.set _ZN7rocprim17ROCPRIM_400000_NS6detail17trampoline_kernelINS0_14default_configENS1_36segmented_radix_sort_config_selectorIslEEZNS1_25segmented_radix_sort_implIS3_Lb1EPKsPsPKlPlN2at6native12_GLOBAL__N_18offset_tEEE10hipError_tPvRmT1_PNSt15iterator_traitsISK_E10value_typeET2_T3_PNSL_ISQ_E10value_typeET4_jRbjT5_SW_jjP12ihipStream_tbEUlT_E1_NS1_11comp_targetILNS1_3genE3ELNS1_11target_archE908ELNS1_3gpuE7ELNS1_3repE0EEENS1_59segmented_radix_sort_warp_sort_small_config_static_selectorELNS0_4arch9wavefront6targetE0EEEvSK_.private_seg_size, 0
	.set _ZN7rocprim17ROCPRIM_400000_NS6detail17trampoline_kernelINS0_14default_configENS1_36segmented_radix_sort_config_selectorIslEEZNS1_25segmented_radix_sort_implIS3_Lb1EPKsPsPKlPlN2at6native12_GLOBAL__N_18offset_tEEE10hipError_tPvRmT1_PNSt15iterator_traitsISK_E10value_typeET2_T3_PNSL_ISQ_E10value_typeET4_jRbjT5_SW_jjP12ihipStream_tbEUlT_E1_NS1_11comp_targetILNS1_3genE3ELNS1_11target_archE908ELNS1_3gpuE7ELNS1_3repE0EEENS1_59segmented_radix_sort_warp_sort_small_config_static_selectorELNS0_4arch9wavefront6targetE0EEEvSK_.uses_vcc, 0
	.set _ZN7rocprim17ROCPRIM_400000_NS6detail17trampoline_kernelINS0_14default_configENS1_36segmented_radix_sort_config_selectorIslEEZNS1_25segmented_radix_sort_implIS3_Lb1EPKsPsPKlPlN2at6native12_GLOBAL__N_18offset_tEEE10hipError_tPvRmT1_PNSt15iterator_traitsISK_E10value_typeET2_T3_PNSL_ISQ_E10value_typeET4_jRbjT5_SW_jjP12ihipStream_tbEUlT_E1_NS1_11comp_targetILNS1_3genE3ELNS1_11target_archE908ELNS1_3gpuE7ELNS1_3repE0EEENS1_59segmented_radix_sort_warp_sort_small_config_static_selectorELNS0_4arch9wavefront6targetE0EEEvSK_.uses_flat_scratch, 0
	.set _ZN7rocprim17ROCPRIM_400000_NS6detail17trampoline_kernelINS0_14default_configENS1_36segmented_radix_sort_config_selectorIslEEZNS1_25segmented_radix_sort_implIS3_Lb1EPKsPsPKlPlN2at6native12_GLOBAL__N_18offset_tEEE10hipError_tPvRmT1_PNSt15iterator_traitsISK_E10value_typeET2_T3_PNSL_ISQ_E10value_typeET4_jRbjT5_SW_jjP12ihipStream_tbEUlT_E1_NS1_11comp_targetILNS1_3genE3ELNS1_11target_archE908ELNS1_3gpuE7ELNS1_3repE0EEENS1_59segmented_radix_sort_warp_sort_small_config_static_selectorELNS0_4arch9wavefront6targetE0EEEvSK_.has_dyn_sized_stack, 0
	.set _ZN7rocprim17ROCPRIM_400000_NS6detail17trampoline_kernelINS0_14default_configENS1_36segmented_radix_sort_config_selectorIslEEZNS1_25segmented_radix_sort_implIS3_Lb1EPKsPsPKlPlN2at6native12_GLOBAL__N_18offset_tEEE10hipError_tPvRmT1_PNSt15iterator_traitsISK_E10value_typeET2_T3_PNSL_ISQ_E10value_typeET4_jRbjT5_SW_jjP12ihipStream_tbEUlT_E1_NS1_11comp_targetILNS1_3genE3ELNS1_11target_archE908ELNS1_3gpuE7ELNS1_3repE0EEENS1_59segmented_radix_sort_warp_sort_small_config_static_selectorELNS0_4arch9wavefront6targetE0EEEvSK_.has_recursion, 0
	.set _ZN7rocprim17ROCPRIM_400000_NS6detail17trampoline_kernelINS0_14default_configENS1_36segmented_radix_sort_config_selectorIslEEZNS1_25segmented_radix_sort_implIS3_Lb1EPKsPsPKlPlN2at6native12_GLOBAL__N_18offset_tEEE10hipError_tPvRmT1_PNSt15iterator_traitsISK_E10value_typeET2_T3_PNSL_ISQ_E10value_typeET4_jRbjT5_SW_jjP12ihipStream_tbEUlT_E1_NS1_11comp_targetILNS1_3genE3ELNS1_11target_archE908ELNS1_3gpuE7ELNS1_3repE0EEENS1_59segmented_radix_sort_warp_sort_small_config_static_selectorELNS0_4arch9wavefront6targetE0EEEvSK_.has_indirect_call, 0
	.section	.AMDGPU.csdata,"",@progbits
; Kernel info:
; codeLenInByte = 0
; TotalNumSgprs: 0
; NumVgprs: 0
; ScratchSize: 0
; MemoryBound: 0
; FloatMode: 240
; IeeeMode: 1
; LDSByteSize: 0 bytes/workgroup (compile time only)
; SGPRBlocks: 0
; VGPRBlocks: 0
; NumSGPRsForWavesPerEU: 1
; NumVGPRsForWavesPerEU: 1
; NamedBarCnt: 0
; Occupancy: 16
; WaveLimiterHint : 0
; COMPUTE_PGM_RSRC2:SCRATCH_EN: 0
; COMPUTE_PGM_RSRC2:USER_SGPR: 2
; COMPUTE_PGM_RSRC2:TRAP_HANDLER: 0
; COMPUTE_PGM_RSRC2:TGID_X_EN: 1
; COMPUTE_PGM_RSRC2:TGID_Y_EN: 0
; COMPUTE_PGM_RSRC2:TGID_Z_EN: 0
; COMPUTE_PGM_RSRC2:TIDIG_COMP_CNT: 0
	.section	.text._ZN7rocprim17ROCPRIM_400000_NS6detail17trampoline_kernelINS0_14default_configENS1_36segmented_radix_sort_config_selectorIslEEZNS1_25segmented_radix_sort_implIS3_Lb1EPKsPsPKlPlN2at6native12_GLOBAL__N_18offset_tEEE10hipError_tPvRmT1_PNSt15iterator_traitsISK_E10value_typeET2_T3_PNSL_ISQ_E10value_typeET4_jRbjT5_SW_jjP12ihipStream_tbEUlT_E1_NS1_11comp_targetILNS1_3genE2ELNS1_11target_archE906ELNS1_3gpuE6ELNS1_3repE0EEENS1_59segmented_radix_sort_warp_sort_small_config_static_selectorELNS0_4arch9wavefront6targetE0EEEvSK_,"axG",@progbits,_ZN7rocprim17ROCPRIM_400000_NS6detail17trampoline_kernelINS0_14default_configENS1_36segmented_radix_sort_config_selectorIslEEZNS1_25segmented_radix_sort_implIS3_Lb1EPKsPsPKlPlN2at6native12_GLOBAL__N_18offset_tEEE10hipError_tPvRmT1_PNSt15iterator_traitsISK_E10value_typeET2_T3_PNSL_ISQ_E10value_typeET4_jRbjT5_SW_jjP12ihipStream_tbEUlT_E1_NS1_11comp_targetILNS1_3genE2ELNS1_11target_archE906ELNS1_3gpuE6ELNS1_3repE0EEENS1_59segmented_radix_sort_warp_sort_small_config_static_selectorELNS0_4arch9wavefront6targetE0EEEvSK_,comdat
	.globl	_ZN7rocprim17ROCPRIM_400000_NS6detail17trampoline_kernelINS0_14default_configENS1_36segmented_radix_sort_config_selectorIslEEZNS1_25segmented_radix_sort_implIS3_Lb1EPKsPsPKlPlN2at6native12_GLOBAL__N_18offset_tEEE10hipError_tPvRmT1_PNSt15iterator_traitsISK_E10value_typeET2_T3_PNSL_ISQ_E10value_typeET4_jRbjT5_SW_jjP12ihipStream_tbEUlT_E1_NS1_11comp_targetILNS1_3genE2ELNS1_11target_archE906ELNS1_3gpuE6ELNS1_3repE0EEENS1_59segmented_radix_sort_warp_sort_small_config_static_selectorELNS0_4arch9wavefront6targetE0EEEvSK_ ; -- Begin function _ZN7rocprim17ROCPRIM_400000_NS6detail17trampoline_kernelINS0_14default_configENS1_36segmented_radix_sort_config_selectorIslEEZNS1_25segmented_radix_sort_implIS3_Lb1EPKsPsPKlPlN2at6native12_GLOBAL__N_18offset_tEEE10hipError_tPvRmT1_PNSt15iterator_traitsISK_E10value_typeET2_T3_PNSL_ISQ_E10value_typeET4_jRbjT5_SW_jjP12ihipStream_tbEUlT_E1_NS1_11comp_targetILNS1_3genE2ELNS1_11target_archE906ELNS1_3gpuE6ELNS1_3repE0EEENS1_59segmented_radix_sort_warp_sort_small_config_static_selectorELNS0_4arch9wavefront6targetE0EEEvSK_
	.p2align	8
	.type	_ZN7rocprim17ROCPRIM_400000_NS6detail17trampoline_kernelINS0_14default_configENS1_36segmented_radix_sort_config_selectorIslEEZNS1_25segmented_radix_sort_implIS3_Lb1EPKsPsPKlPlN2at6native12_GLOBAL__N_18offset_tEEE10hipError_tPvRmT1_PNSt15iterator_traitsISK_E10value_typeET2_T3_PNSL_ISQ_E10value_typeET4_jRbjT5_SW_jjP12ihipStream_tbEUlT_E1_NS1_11comp_targetILNS1_3genE2ELNS1_11target_archE906ELNS1_3gpuE6ELNS1_3repE0EEENS1_59segmented_radix_sort_warp_sort_small_config_static_selectorELNS0_4arch9wavefront6targetE0EEEvSK_,@function
_ZN7rocprim17ROCPRIM_400000_NS6detail17trampoline_kernelINS0_14default_configENS1_36segmented_radix_sort_config_selectorIslEEZNS1_25segmented_radix_sort_implIS3_Lb1EPKsPsPKlPlN2at6native12_GLOBAL__N_18offset_tEEE10hipError_tPvRmT1_PNSt15iterator_traitsISK_E10value_typeET2_T3_PNSL_ISQ_E10value_typeET4_jRbjT5_SW_jjP12ihipStream_tbEUlT_E1_NS1_11comp_targetILNS1_3genE2ELNS1_11target_archE906ELNS1_3gpuE6ELNS1_3repE0EEENS1_59segmented_radix_sort_warp_sort_small_config_static_selectorELNS0_4arch9wavefront6targetE0EEEvSK_: ; @_ZN7rocprim17ROCPRIM_400000_NS6detail17trampoline_kernelINS0_14default_configENS1_36segmented_radix_sort_config_selectorIslEEZNS1_25segmented_radix_sort_implIS3_Lb1EPKsPsPKlPlN2at6native12_GLOBAL__N_18offset_tEEE10hipError_tPvRmT1_PNSt15iterator_traitsISK_E10value_typeET2_T3_PNSL_ISQ_E10value_typeET4_jRbjT5_SW_jjP12ihipStream_tbEUlT_E1_NS1_11comp_targetILNS1_3genE2ELNS1_11target_archE906ELNS1_3gpuE6ELNS1_3repE0EEENS1_59segmented_radix_sort_warp_sort_small_config_static_selectorELNS0_4arch9wavefront6targetE0EEEvSK_
; %bb.0:
	.section	.rodata,"a",@progbits
	.p2align	6, 0x0
	.amdhsa_kernel _ZN7rocprim17ROCPRIM_400000_NS6detail17trampoline_kernelINS0_14default_configENS1_36segmented_radix_sort_config_selectorIslEEZNS1_25segmented_radix_sort_implIS3_Lb1EPKsPsPKlPlN2at6native12_GLOBAL__N_18offset_tEEE10hipError_tPvRmT1_PNSt15iterator_traitsISK_E10value_typeET2_T3_PNSL_ISQ_E10value_typeET4_jRbjT5_SW_jjP12ihipStream_tbEUlT_E1_NS1_11comp_targetILNS1_3genE2ELNS1_11target_archE906ELNS1_3gpuE6ELNS1_3repE0EEENS1_59segmented_radix_sort_warp_sort_small_config_static_selectorELNS0_4arch9wavefront6targetE0EEEvSK_
		.amdhsa_group_segment_fixed_size 0
		.amdhsa_private_segment_fixed_size 0
		.amdhsa_kernarg_size 88
		.amdhsa_user_sgpr_count 2
		.amdhsa_user_sgpr_dispatch_ptr 0
		.amdhsa_user_sgpr_queue_ptr 0
		.amdhsa_user_sgpr_kernarg_segment_ptr 1
		.amdhsa_user_sgpr_dispatch_id 0
		.amdhsa_user_sgpr_kernarg_preload_length 0
		.amdhsa_user_sgpr_kernarg_preload_offset 0
		.amdhsa_user_sgpr_private_segment_size 0
		.amdhsa_wavefront_size32 1
		.amdhsa_uses_dynamic_stack 0
		.amdhsa_enable_private_segment 0
		.amdhsa_system_sgpr_workgroup_id_x 1
		.amdhsa_system_sgpr_workgroup_id_y 0
		.amdhsa_system_sgpr_workgroup_id_z 0
		.amdhsa_system_sgpr_workgroup_info 0
		.amdhsa_system_vgpr_workitem_id 0
		.amdhsa_next_free_vgpr 1
		.amdhsa_next_free_sgpr 1
		.amdhsa_named_barrier_count 0
		.amdhsa_reserve_vcc 0
		.amdhsa_float_round_mode_32 0
		.amdhsa_float_round_mode_16_64 0
		.amdhsa_float_denorm_mode_32 3
		.amdhsa_float_denorm_mode_16_64 3
		.amdhsa_fp16_overflow 0
		.amdhsa_memory_ordered 1
		.amdhsa_forward_progress 1
		.amdhsa_inst_pref_size 0
		.amdhsa_round_robin_scheduling 0
		.amdhsa_exception_fp_ieee_invalid_op 0
		.amdhsa_exception_fp_denorm_src 0
		.amdhsa_exception_fp_ieee_div_zero 0
		.amdhsa_exception_fp_ieee_overflow 0
		.amdhsa_exception_fp_ieee_underflow 0
		.amdhsa_exception_fp_ieee_inexact 0
		.amdhsa_exception_int_div_zero 0
	.end_amdhsa_kernel
	.section	.text._ZN7rocprim17ROCPRIM_400000_NS6detail17trampoline_kernelINS0_14default_configENS1_36segmented_radix_sort_config_selectorIslEEZNS1_25segmented_radix_sort_implIS3_Lb1EPKsPsPKlPlN2at6native12_GLOBAL__N_18offset_tEEE10hipError_tPvRmT1_PNSt15iterator_traitsISK_E10value_typeET2_T3_PNSL_ISQ_E10value_typeET4_jRbjT5_SW_jjP12ihipStream_tbEUlT_E1_NS1_11comp_targetILNS1_3genE2ELNS1_11target_archE906ELNS1_3gpuE6ELNS1_3repE0EEENS1_59segmented_radix_sort_warp_sort_small_config_static_selectorELNS0_4arch9wavefront6targetE0EEEvSK_,"axG",@progbits,_ZN7rocprim17ROCPRIM_400000_NS6detail17trampoline_kernelINS0_14default_configENS1_36segmented_radix_sort_config_selectorIslEEZNS1_25segmented_radix_sort_implIS3_Lb1EPKsPsPKlPlN2at6native12_GLOBAL__N_18offset_tEEE10hipError_tPvRmT1_PNSt15iterator_traitsISK_E10value_typeET2_T3_PNSL_ISQ_E10value_typeET4_jRbjT5_SW_jjP12ihipStream_tbEUlT_E1_NS1_11comp_targetILNS1_3genE2ELNS1_11target_archE906ELNS1_3gpuE6ELNS1_3repE0EEENS1_59segmented_radix_sort_warp_sort_small_config_static_selectorELNS0_4arch9wavefront6targetE0EEEvSK_,comdat
.Lfunc_end931:
	.size	_ZN7rocprim17ROCPRIM_400000_NS6detail17trampoline_kernelINS0_14default_configENS1_36segmented_radix_sort_config_selectorIslEEZNS1_25segmented_radix_sort_implIS3_Lb1EPKsPsPKlPlN2at6native12_GLOBAL__N_18offset_tEEE10hipError_tPvRmT1_PNSt15iterator_traitsISK_E10value_typeET2_T3_PNSL_ISQ_E10value_typeET4_jRbjT5_SW_jjP12ihipStream_tbEUlT_E1_NS1_11comp_targetILNS1_3genE2ELNS1_11target_archE906ELNS1_3gpuE6ELNS1_3repE0EEENS1_59segmented_radix_sort_warp_sort_small_config_static_selectorELNS0_4arch9wavefront6targetE0EEEvSK_, .Lfunc_end931-_ZN7rocprim17ROCPRIM_400000_NS6detail17trampoline_kernelINS0_14default_configENS1_36segmented_radix_sort_config_selectorIslEEZNS1_25segmented_radix_sort_implIS3_Lb1EPKsPsPKlPlN2at6native12_GLOBAL__N_18offset_tEEE10hipError_tPvRmT1_PNSt15iterator_traitsISK_E10value_typeET2_T3_PNSL_ISQ_E10value_typeET4_jRbjT5_SW_jjP12ihipStream_tbEUlT_E1_NS1_11comp_targetILNS1_3genE2ELNS1_11target_archE906ELNS1_3gpuE6ELNS1_3repE0EEENS1_59segmented_radix_sort_warp_sort_small_config_static_selectorELNS0_4arch9wavefront6targetE0EEEvSK_
                                        ; -- End function
	.set _ZN7rocprim17ROCPRIM_400000_NS6detail17trampoline_kernelINS0_14default_configENS1_36segmented_radix_sort_config_selectorIslEEZNS1_25segmented_radix_sort_implIS3_Lb1EPKsPsPKlPlN2at6native12_GLOBAL__N_18offset_tEEE10hipError_tPvRmT1_PNSt15iterator_traitsISK_E10value_typeET2_T3_PNSL_ISQ_E10value_typeET4_jRbjT5_SW_jjP12ihipStream_tbEUlT_E1_NS1_11comp_targetILNS1_3genE2ELNS1_11target_archE906ELNS1_3gpuE6ELNS1_3repE0EEENS1_59segmented_radix_sort_warp_sort_small_config_static_selectorELNS0_4arch9wavefront6targetE0EEEvSK_.num_vgpr, 0
	.set _ZN7rocprim17ROCPRIM_400000_NS6detail17trampoline_kernelINS0_14default_configENS1_36segmented_radix_sort_config_selectorIslEEZNS1_25segmented_radix_sort_implIS3_Lb1EPKsPsPKlPlN2at6native12_GLOBAL__N_18offset_tEEE10hipError_tPvRmT1_PNSt15iterator_traitsISK_E10value_typeET2_T3_PNSL_ISQ_E10value_typeET4_jRbjT5_SW_jjP12ihipStream_tbEUlT_E1_NS1_11comp_targetILNS1_3genE2ELNS1_11target_archE906ELNS1_3gpuE6ELNS1_3repE0EEENS1_59segmented_radix_sort_warp_sort_small_config_static_selectorELNS0_4arch9wavefront6targetE0EEEvSK_.num_agpr, 0
	.set _ZN7rocprim17ROCPRIM_400000_NS6detail17trampoline_kernelINS0_14default_configENS1_36segmented_radix_sort_config_selectorIslEEZNS1_25segmented_radix_sort_implIS3_Lb1EPKsPsPKlPlN2at6native12_GLOBAL__N_18offset_tEEE10hipError_tPvRmT1_PNSt15iterator_traitsISK_E10value_typeET2_T3_PNSL_ISQ_E10value_typeET4_jRbjT5_SW_jjP12ihipStream_tbEUlT_E1_NS1_11comp_targetILNS1_3genE2ELNS1_11target_archE906ELNS1_3gpuE6ELNS1_3repE0EEENS1_59segmented_radix_sort_warp_sort_small_config_static_selectorELNS0_4arch9wavefront6targetE0EEEvSK_.numbered_sgpr, 0
	.set _ZN7rocprim17ROCPRIM_400000_NS6detail17trampoline_kernelINS0_14default_configENS1_36segmented_radix_sort_config_selectorIslEEZNS1_25segmented_radix_sort_implIS3_Lb1EPKsPsPKlPlN2at6native12_GLOBAL__N_18offset_tEEE10hipError_tPvRmT1_PNSt15iterator_traitsISK_E10value_typeET2_T3_PNSL_ISQ_E10value_typeET4_jRbjT5_SW_jjP12ihipStream_tbEUlT_E1_NS1_11comp_targetILNS1_3genE2ELNS1_11target_archE906ELNS1_3gpuE6ELNS1_3repE0EEENS1_59segmented_radix_sort_warp_sort_small_config_static_selectorELNS0_4arch9wavefront6targetE0EEEvSK_.num_named_barrier, 0
	.set _ZN7rocprim17ROCPRIM_400000_NS6detail17trampoline_kernelINS0_14default_configENS1_36segmented_radix_sort_config_selectorIslEEZNS1_25segmented_radix_sort_implIS3_Lb1EPKsPsPKlPlN2at6native12_GLOBAL__N_18offset_tEEE10hipError_tPvRmT1_PNSt15iterator_traitsISK_E10value_typeET2_T3_PNSL_ISQ_E10value_typeET4_jRbjT5_SW_jjP12ihipStream_tbEUlT_E1_NS1_11comp_targetILNS1_3genE2ELNS1_11target_archE906ELNS1_3gpuE6ELNS1_3repE0EEENS1_59segmented_radix_sort_warp_sort_small_config_static_selectorELNS0_4arch9wavefront6targetE0EEEvSK_.private_seg_size, 0
	.set _ZN7rocprim17ROCPRIM_400000_NS6detail17trampoline_kernelINS0_14default_configENS1_36segmented_radix_sort_config_selectorIslEEZNS1_25segmented_radix_sort_implIS3_Lb1EPKsPsPKlPlN2at6native12_GLOBAL__N_18offset_tEEE10hipError_tPvRmT1_PNSt15iterator_traitsISK_E10value_typeET2_T3_PNSL_ISQ_E10value_typeET4_jRbjT5_SW_jjP12ihipStream_tbEUlT_E1_NS1_11comp_targetILNS1_3genE2ELNS1_11target_archE906ELNS1_3gpuE6ELNS1_3repE0EEENS1_59segmented_radix_sort_warp_sort_small_config_static_selectorELNS0_4arch9wavefront6targetE0EEEvSK_.uses_vcc, 0
	.set _ZN7rocprim17ROCPRIM_400000_NS6detail17trampoline_kernelINS0_14default_configENS1_36segmented_radix_sort_config_selectorIslEEZNS1_25segmented_radix_sort_implIS3_Lb1EPKsPsPKlPlN2at6native12_GLOBAL__N_18offset_tEEE10hipError_tPvRmT1_PNSt15iterator_traitsISK_E10value_typeET2_T3_PNSL_ISQ_E10value_typeET4_jRbjT5_SW_jjP12ihipStream_tbEUlT_E1_NS1_11comp_targetILNS1_3genE2ELNS1_11target_archE906ELNS1_3gpuE6ELNS1_3repE0EEENS1_59segmented_radix_sort_warp_sort_small_config_static_selectorELNS0_4arch9wavefront6targetE0EEEvSK_.uses_flat_scratch, 0
	.set _ZN7rocprim17ROCPRIM_400000_NS6detail17trampoline_kernelINS0_14default_configENS1_36segmented_radix_sort_config_selectorIslEEZNS1_25segmented_radix_sort_implIS3_Lb1EPKsPsPKlPlN2at6native12_GLOBAL__N_18offset_tEEE10hipError_tPvRmT1_PNSt15iterator_traitsISK_E10value_typeET2_T3_PNSL_ISQ_E10value_typeET4_jRbjT5_SW_jjP12ihipStream_tbEUlT_E1_NS1_11comp_targetILNS1_3genE2ELNS1_11target_archE906ELNS1_3gpuE6ELNS1_3repE0EEENS1_59segmented_radix_sort_warp_sort_small_config_static_selectorELNS0_4arch9wavefront6targetE0EEEvSK_.has_dyn_sized_stack, 0
	.set _ZN7rocprim17ROCPRIM_400000_NS6detail17trampoline_kernelINS0_14default_configENS1_36segmented_radix_sort_config_selectorIslEEZNS1_25segmented_radix_sort_implIS3_Lb1EPKsPsPKlPlN2at6native12_GLOBAL__N_18offset_tEEE10hipError_tPvRmT1_PNSt15iterator_traitsISK_E10value_typeET2_T3_PNSL_ISQ_E10value_typeET4_jRbjT5_SW_jjP12ihipStream_tbEUlT_E1_NS1_11comp_targetILNS1_3genE2ELNS1_11target_archE906ELNS1_3gpuE6ELNS1_3repE0EEENS1_59segmented_radix_sort_warp_sort_small_config_static_selectorELNS0_4arch9wavefront6targetE0EEEvSK_.has_recursion, 0
	.set _ZN7rocprim17ROCPRIM_400000_NS6detail17trampoline_kernelINS0_14default_configENS1_36segmented_radix_sort_config_selectorIslEEZNS1_25segmented_radix_sort_implIS3_Lb1EPKsPsPKlPlN2at6native12_GLOBAL__N_18offset_tEEE10hipError_tPvRmT1_PNSt15iterator_traitsISK_E10value_typeET2_T3_PNSL_ISQ_E10value_typeET4_jRbjT5_SW_jjP12ihipStream_tbEUlT_E1_NS1_11comp_targetILNS1_3genE2ELNS1_11target_archE906ELNS1_3gpuE6ELNS1_3repE0EEENS1_59segmented_radix_sort_warp_sort_small_config_static_selectorELNS0_4arch9wavefront6targetE0EEEvSK_.has_indirect_call, 0
	.section	.AMDGPU.csdata,"",@progbits
; Kernel info:
; codeLenInByte = 0
; TotalNumSgprs: 0
; NumVgprs: 0
; ScratchSize: 0
; MemoryBound: 0
; FloatMode: 240
; IeeeMode: 1
; LDSByteSize: 0 bytes/workgroup (compile time only)
; SGPRBlocks: 0
; VGPRBlocks: 0
; NumSGPRsForWavesPerEU: 1
; NumVGPRsForWavesPerEU: 1
; NamedBarCnt: 0
; Occupancy: 16
; WaveLimiterHint : 0
; COMPUTE_PGM_RSRC2:SCRATCH_EN: 0
; COMPUTE_PGM_RSRC2:USER_SGPR: 2
; COMPUTE_PGM_RSRC2:TRAP_HANDLER: 0
; COMPUTE_PGM_RSRC2:TGID_X_EN: 1
; COMPUTE_PGM_RSRC2:TGID_Y_EN: 0
; COMPUTE_PGM_RSRC2:TGID_Z_EN: 0
; COMPUTE_PGM_RSRC2:TIDIG_COMP_CNT: 0
	.section	.text._ZN7rocprim17ROCPRIM_400000_NS6detail17trampoline_kernelINS0_14default_configENS1_36segmented_radix_sort_config_selectorIslEEZNS1_25segmented_radix_sort_implIS3_Lb1EPKsPsPKlPlN2at6native12_GLOBAL__N_18offset_tEEE10hipError_tPvRmT1_PNSt15iterator_traitsISK_E10value_typeET2_T3_PNSL_ISQ_E10value_typeET4_jRbjT5_SW_jjP12ihipStream_tbEUlT_E1_NS1_11comp_targetILNS1_3genE10ELNS1_11target_archE1201ELNS1_3gpuE5ELNS1_3repE0EEENS1_59segmented_radix_sort_warp_sort_small_config_static_selectorELNS0_4arch9wavefront6targetE0EEEvSK_,"axG",@progbits,_ZN7rocprim17ROCPRIM_400000_NS6detail17trampoline_kernelINS0_14default_configENS1_36segmented_radix_sort_config_selectorIslEEZNS1_25segmented_radix_sort_implIS3_Lb1EPKsPsPKlPlN2at6native12_GLOBAL__N_18offset_tEEE10hipError_tPvRmT1_PNSt15iterator_traitsISK_E10value_typeET2_T3_PNSL_ISQ_E10value_typeET4_jRbjT5_SW_jjP12ihipStream_tbEUlT_E1_NS1_11comp_targetILNS1_3genE10ELNS1_11target_archE1201ELNS1_3gpuE5ELNS1_3repE0EEENS1_59segmented_radix_sort_warp_sort_small_config_static_selectorELNS0_4arch9wavefront6targetE0EEEvSK_,comdat
	.globl	_ZN7rocprim17ROCPRIM_400000_NS6detail17trampoline_kernelINS0_14default_configENS1_36segmented_radix_sort_config_selectorIslEEZNS1_25segmented_radix_sort_implIS3_Lb1EPKsPsPKlPlN2at6native12_GLOBAL__N_18offset_tEEE10hipError_tPvRmT1_PNSt15iterator_traitsISK_E10value_typeET2_T3_PNSL_ISQ_E10value_typeET4_jRbjT5_SW_jjP12ihipStream_tbEUlT_E1_NS1_11comp_targetILNS1_3genE10ELNS1_11target_archE1201ELNS1_3gpuE5ELNS1_3repE0EEENS1_59segmented_radix_sort_warp_sort_small_config_static_selectorELNS0_4arch9wavefront6targetE0EEEvSK_ ; -- Begin function _ZN7rocprim17ROCPRIM_400000_NS6detail17trampoline_kernelINS0_14default_configENS1_36segmented_radix_sort_config_selectorIslEEZNS1_25segmented_radix_sort_implIS3_Lb1EPKsPsPKlPlN2at6native12_GLOBAL__N_18offset_tEEE10hipError_tPvRmT1_PNSt15iterator_traitsISK_E10value_typeET2_T3_PNSL_ISQ_E10value_typeET4_jRbjT5_SW_jjP12ihipStream_tbEUlT_E1_NS1_11comp_targetILNS1_3genE10ELNS1_11target_archE1201ELNS1_3gpuE5ELNS1_3repE0EEENS1_59segmented_radix_sort_warp_sort_small_config_static_selectorELNS0_4arch9wavefront6targetE0EEEvSK_
	.p2align	8
	.type	_ZN7rocprim17ROCPRIM_400000_NS6detail17trampoline_kernelINS0_14default_configENS1_36segmented_radix_sort_config_selectorIslEEZNS1_25segmented_radix_sort_implIS3_Lb1EPKsPsPKlPlN2at6native12_GLOBAL__N_18offset_tEEE10hipError_tPvRmT1_PNSt15iterator_traitsISK_E10value_typeET2_T3_PNSL_ISQ_E10value_typeET4_jRbjT5_SW_jjP12ihipStream_tbEUlT_E1_NS1_11comp_targetILNS1_3genE10ELNS1_11target_archE1201ELNS1_3gpuE5ELNS1_3repE0EEENS1_59segmented_radix_sort_warp_sort_small_config_static_selectorELNS0_4arch9wavefront6targetE0EEEvSK_,@function
_ZN7rocprim17ROCPRIM_400000_NS6detail17trampoline_kernelINS0_14default_configENS1_36segmented_radix_sort_config_selectorIslEEZNS1_25segmented_radix_sort_implIS3_Lb1EPKsPsPKlPlN2at6native12_GLOBAL__N_18offset_tEEE10hipError_tPvRmT1_PNSt15iterator_traitsISK_E10value_typeET2_T3_PNSL_ISQ_E10value_typeET4_jRbjT5_SW_jjP12ihipStream_tbEUlT_E1_NS1_11comp_targetILNS1_3genE10ELNS1_11target_archE1201ELNS1_3gpuE5ELNS1_3repE0EEENS1_59segmented_radix_sort_warp_sort_small_config_static_selectorELNS0_4arch9wavefront6targetE0EEEvSK_: ; @_ZN7rocprim17ROCPRIM_400000_NS6detail17trampoline_kernelINS0_14default_configENS1_36segmented_radix_sort_config_selectorIslEEZNS1_25segmented_radix_sort_implIS3_Lb1EPKsPsPKlPlN2at6native12_GLOBAL__N_18offset_tEEE10hipError_tPvRmT1_PNSt15iterator_traitsISK_E10value_typeET2_T3_PNSL_ISQ_E10value_typeET4_jRbjT5_SW_jjP12ihipStream_tbEUlT_E1_NS1_11comp_targetILNS1_3genE10ELNS1_11target_archE1201ELNS1_3gpuE5ELNS1_3repE0EEENS1_59segmented_radix_sort_warp_sort_small_config_static_selectorELNS0_4arch9wavefront6targetE0EEEvSK_
; %bb.0:
	.section	.rodata,"a",@progbits
	.p2align	6, 0x0
	.amdhsa_kernel _ZN7rocprim17ROCPRIM_400000_NS6detail17trampoline_kernelINS0_14default_configENS1_36segmented_radix_sort_config_selectorIslEEZNS1_25segmented_radix_sort_implIS3_Lb1EPKsPsPKlPlN2at6native12_GLOBAL__N_18offset_tEEE10hipError_tPvRmT1_PNSt15iterator_traitsISK_E10value_typeET2_T3_PNSL_ISQ_E10value_typeET4_jRbjT5_SW_jjP12ihipStream_tbEUlT_E1_NS1_11comp_targetILNS1_3genE10ELNS1_11target_archE1201ELNS1_3gpuE5ELNS1_3repE0EEENS1_59segmented_radix_sort_warp_sort_small_config_static_selectorELNS0_4arch9wavefront6targetE0EEEvSK_
		.amdhsa_group_segment_fixed_size 0
		.amdhsa_private_segment_fixed_size 0
		.amdhsa_kernarg_size 88
		.amdhsa_user_sgpr_count 2
		.amdhsa_user_sgpr_dispatch_ptr 0
		.amdhsa_user_sgpr_queue_ptr 0
		.amdhsa_user_sgpr_kernarg_segment_ptr 1
		.amdhsa_user_sgpr_dispatch_id 0
		.amdhsa_user_sgpr_kernarg_preload_length 0
		.amdhsa_user_sgpr_kernarg_preload_offset 0
		.amdhsa_user_sgpr_private_segment_size 0
		.amdhsa_wavefront_size32 1
		.amdhsa_uses_dynamic_stack 0
		.amdhsa_enable_private_segment 0
		.amdhsa_system_sgpr_workgroup_id_x 1
		.amdhsa_system_sgpr_workgroup_id_y 0
		.amdhsa_system_sgpr_workgroup_id_z 0
		.amdhsa_system_sgpr_workgroup_info 0
		.amdhsa_system_vgpr_workitem_id 0
		.amdhsa_next_free_vgpr 1
		.amdhsa_next_free_sgpr 1
		.amdhsa_named_barrier_count 0
		.amdhsa_reserve_vcc 0
		.amdhsa_float_round_mode_32 0
		.amdhsa_float_round_mode_16_64 0
		.amdhsa_float_denorm_mode_32 3
		.amdhsa_float_denorm_mode_16_64 3
		.amdhsa_fp16_overflow 0
		.amdhsa_memory_ordered 1
		.amdhsa_forward_progress 1
		.amdhsa_inst_pref_size 0
		.amdhsa_round_robin_scheduling 0
		.amdhsa_exception_fp_ieee_invalid_op 0
		.amdhsa_exception_fp_denorm_src 0
		.amdhsa_exception_fp_ieee_div_zero 0
		.amdhsa_exception_fp_ieee_overflow 0
		.amdhsa_exception_fp_ieee_underflow 0
		.amdhsa_exception_fp_ieee_inexact 0
		.amdhsa_exception_int_div_zero 0
	.end_amdhsa_kernel
	.section	.text._ZN7rocprim17ROCPRIM_400000_NS6detail17trampoline_kernelINS0_14default_configENS1_36segmented_radix_sort_config_selectorIslEEZNS1_25segmented_radix_sort_implIS3_Lb1EPKsPsPKlPlN2at6native12_GLOBAL__N_18offset_tEEE10hipError_tPvRmT1_PNSt15iterator_traitsISK_E10value_typeET2_T3_PNSL_ISQ_E10value_typeET4_jRbjT5_SW_jjP12ihipStream_tbEUlT_E1_NS1_11comp_targetILNS1_3genE10ELNS1_11target_archE1201ELNS1_3gpuE5ELNS1_3repE0EEENS1_59segmented_radix_sort_warp_sort_small_config_static_selectorELNS0_4arch9wavefront6targetE0EEEvSK_,"axG",@progbits,_ZN7rocprim17ROCPRIM_400000_NS6detail17trampoline_kernelINS0_14default_configENS1_36segmented_radix_sort_config_selectorIslEEZNS1_25segmented_radix_sort_implIS3_Lb1EPKsPsPKlPlN2at6native12_GLOBAL__N_18offset_tEEE10hipError_tPvRmT1_PNSt15iterator_traitsISK_E10value_typeET2_T3_PNSL_ISQ_E10value_typeET4_jRbjT5_SW_jjP12ihipStream_tbEUlT_E1_NS1_11comp_targetILNS1_3genE10ELNS1_11target_archE1201ELNS1_3gpuE5ELNS1_3repE0EEENS1_59segmented_radix_sort_warp_sort_small_config_static_selectorELNS0_4arch9wavefront6targetE0EEEvSK_,comdat
.Lfunc_end932:
	.size	_ZN7rocprim17ROCPRIM_400000_NS6detail17trampoline_kernelINS0_14default_configENS1_36segmented_radix_sort_config_selectorIslEEZNS1_25segmented_radix_sort_implIS3_Lb1EPKsPsPKlPlN2at6native12_GLOBAL__N_18offset_tEEE10hipError_tPvRmT1_PNSt15iterator_traitsISK_E10value_typeET2_T3_PNSL_ISQ_E10value_typeET4_jRbjT5_SW_jjP12ihipStream_tbEUlT_E1_NS1_11comp_targetILNS1_3genE10ELNS1_11target_archE1201ELNS1_3gpuE5ELNS1_3repE0EEENS1_59segmented_radix_sort_warp_sort_small_config_static_selectorELNS0_4arch9wavefront6targetE0EEEvSK_, .Lfunc_end932-_ZN7rocprim17ROCPRIM_400000_NS6detail17trampoline_kernelINS0_14default_configENS1_36segmented_radix_sort_config_selectorIslEEZNS1_25segmented_radix_sort_implIS3_Lb1EPKsPsPKlPlN2at6native12_GLOBAL__N_18offset_tEEE10hipError_tPvRmT1_PNSt15iterator_traitsISK_E10value_typeET2_T3_PNSL_ISQ_E10value_typeET4_jRbjT5_SW_jjP12ihipStream_tbEUlT_E1_NS1_11comp_targetILNS1_3genE10ELNS1_11target_archE1201ELNS1_3gpuE5ELNS1_3repE0EEENS1_59segmented_radix_sort_warp_sort_small_config_static_selectorELNS0_4arch9wavefront6targetE0EEEvSK_
                                        ; -- End function
	.set _ZN7rocprim17ROCPRIM_400000_NS6detail17trampoline_kernelINS0_14default_configENS1_36segmented_radix_sort_config_selectorIslEEZNS1_25segmented_radix_sort_implIS3_Lb1EPKsPsPKlPlN2at6native12_GLOBAL__N_18offset_tEEE10hipError_tPvRmT1_PNSt15iterator_traitsISK_E10value_typeET2_T3_PNSL_ISQ_E10value_typeET4_jRbjT5_SW_jjP12ihipStream_tbEUlT_E1_NS1_11comp_targetILNS1_3genE10ELNS1_11target_archE1201ELNS1_3gpuE5ELNS1_3repE0EEENS1_59segmented_radix_sort_warp_sort_small_config_static_selectorELNS0_4arch9wavefront6targetE0EEEvSK_.num_vgpr, 0
	.set _ZN7rocprim17ROCPRIM_400000_NS6detail17trampoline_kernelINS0_14default_configENS1_36segmented_radix_sort_config_selectorIslEEZNS1_25segmented_radix_sort_implIS3_Lb1EPKsPsPKlPlN2at6native12_GLOBAL__N_18offset_tEEE10hipError_tPvRmT1_PNSt15iterator_traitsISK_E10value_typeET2_T3_PNSL_ISQ_E10value_typeET4_jRbjT5_SW_jjP12ihipStream_tbEUlT_E1_NS1_11comp_targetILNS1_3genE10ELNS1_11target_archE1201ELNS1_3gpuE5ELNS1_3repE0EEENS1_59segmented_radix_sort_warp_sort_small_config_static_selectorELNS0_4arch9wavefront6targetE0EEEvSK_.num_agpr, 0
	.set _ZN7rocprim17ROCPRIM_400000_NS6detail17trampoline_kernelINS0_14default_configENS1_36segmented_radix_sort_config_selectorIslEEZNS1_25segmented_radix_sort_implIS3_Lb1EPKsPsPKlPlN2at6native12_GLOBAL__N_18offset_tEEE10hipError_tPvRmT1_PNSt15iterator_traitsISK_E10value_typeET2_T3_PNSL_ISQ_E10value_typeET4_jRbjT5_SW_jjP12ihipStream_tbEUlT_E1_NS1_11comp_targetILNS1_3genE10ELNS1_11target_archE1201ELNS1_3gpuE5ELNS1_3repE0EEENS1_59segmented_radix_sort_warp_sort_small_config_static_selectorELNS0_4arch9wavefront6targetE0EEEvSK_.numbered_sgpr, 0
	.set _ZN7rocprim17ROCPRIM_400000_NS6detail17trampoline_kernelINS0_14default_configENS1_36segmented_radix_sort_config_selectorIslEEZNS1_25segmented_radix_sort_implIS3_Lb1EPKsPsPKlPlN2at6native12_GLOBAL__N_18offset_tEEE10hipError_tPvRmT1_PNSt15iterator_traitsISK_E10value_typeET2_T3_PNSL_ISQ_E10value_typeET4_jRbjT5_SW_jjP12ihipStream_tbEUlT_E1_NS1_11comp_targetILNS1_3genE10ELNS1_11target_archE1201ELNS1_3gpuE5ELNS1_3repE0EEENS1_59segmented_radix_sort_warp_sort_small_config_static_selectorELNS0_4arch9wavefront6targetE0EEEvSK_.num_named_barrier, 0
	.set _ZN7rocprim17ROCPRIM_400000_NS6detail17trampoline_kernelINS0_14default_configENS1_36segmented_radix_sort_config_selectorIslEEZNS1_25segmented_radix_sort_implIS3_Lb1EPKsPsPKlPlN2at6native12_GLOBAL__N_18offset_tEEE10hipError_tPvRmT1_PNSt15iterator_traitsISK_E10value_typeET2_T3_PNSL_ISQ_E10value_typeET4_jRbjT5_SW_jjP12ihipStream_tbEUlT_E1_NS1_11comp_targetILNS1_3genE10ELNS1_11target_archE1201ELNS1_3gpuE5ELNS1_3repE0EEENS1_59segmented_radix_sort_warp_sort_small_config_static_selectorELNS0_4arch9wavefront6targetE0EEEvSK_.private_seg_size, 0
	.set _ZN7rocprim17ROCPRIM_400000_NS6detail17trampoline_kernelINS0_14default_configENS1_36segmented_radix_sort_config_selectorIslEEZNS1_25segmented_radix_sort_implIS3_Lb1EPKsPsPKlPlN2at6native12_GLOBAL__N_18offset_tEEE10hipError_tPvRmT1_PNSt15iterator_traitsISK_E10value_typeET2_T3_PNSL_ISQ_E10value_typeET4_jRbjT5_SW_jjP12ihipStream_tbEUlT_E1_NS1_11comp_targetILNS1_3genE10ELNS1_11target_archE1201ELNS1_3gpuE5ELNS1_3repE0EEENS1_59segmented_radix_sort_warp_sort_small_config_static_selectorELNS0_4arch9wavefront6targetE0EEEvSK_.uses_vcc, 0
	.set _ZN7rocprim17ROCPRIM_400000_NS6detail17trampoline_kernelINS0_14default_configENS1_36segmented_radix_sort_config_selectorIslEEZNS1_25segmented_radix_sort_implIS3_Lb1EPKsPsPKlPlN2at6native12_GLOBAL__N_18offset_tEEE10hipError_tPvRmT1_PNSt15iterator_traitsISK_E10value_typeET2_T3_PNSL_ISQ_E10value_typeET4_jRbjT5_SW_jjP12ihipStream_tbEUlT_E1_NS1_11comp_targetILNS1_3genE10ELNS1_11target_archE1201ELNS1_3gpuE5ELNS1_3repE0EEENS1_59segmented_radix_sort_warp_sort_small_config_static_selectorELNS0_4arch9wavefront6targetE0EEEvSK_.uses_flat_scratch, 0
	.set _ZN7rocprim17ROCPRIM_400000_NS6detail17trampoline_kernelINS0_14default_configENS1_36segmented_radix_sort_config_selectorIslEEZNS1_25segmented_radix_sort_implIS3_Lb1EPKsPsPKlPlN2at6native12_GLOBAL__N_18offset_tEEE10hipError_tPvRmT1_PNSt15iterator_traitsISK_E10value_typeET2_T3_PNSL_ISQ_E10value_typeET4_jRbjT5_SW_jjP12ihipStream_tbEUlT_E1_NS1_11comp_targetILNS1_3genE10ELNS1_11target_archE1201ELNS1_3gpuE5ELNS1_3repE0EEENS1_59segmented_radix_sort_warp_sort_small_config_static_selectorELNS0_4arch9wavefront6targetE0EEEvSK_.has_dyn_sized_stack, 0
	.set _ZN7rocprim17ROCPRIM_400000_NS6detail17trampoline_kernelINS0_14default_configENS1_36segmented_radix_sort_config_selectorIslEEZNS1_25segmented_radix_sort_implIS3_Lb1EPKsPsPKlPlN2at6native12_GLOBAL__N_18offset_tEEE10hipError_tPvRmT1_PNSt15iterator_traitsISK_E10value_typeET2_T3_PNSL_ISQ_E10value_typeET4_jRbjT5_SW_jjP12ihipStream_tbEUlT_E1_NS1_11comp_targetILNS1_3genE10ELNS1_11target_archE1201ELNS1_3gpuE5ELNS1_3repE0EEENS1_59segmented_radix_sort_warp_sort_small_config_static_selectorELNS0_4arch9wavefront6targetE0EEEvSK_.has_recursion, 0
	.set _ZN7rocprim17ROCPRIM_400000_NS6detail17trampoline_kernelINS0_14default_configENS1_36segmented_radix_sort_config_selectorIslEEZNS1_25segmented_radix_sort_implIS3_Lb1EPKsPsPKlPlN2at6native12_GLOBAL__N_18offset_tEEE10hipError_tPvRmT1_PNSt15iterator_traitsISK_E10value_typeET2_T3_PNSL_ISQ_E10value_typeET4_jRbjT5_SW_jjP12ihipStream_tbEUlT_E1_NS1_11comp_targetILNS1_3genE10ELNS1_11target_archE1201ELNS1_3gpuE5ELNS1_3repE0EEENS1_59segmented_radix_sort_warp_sort_small_config_static_selectorELNS0_4arch9wavefront6targetE0EEEvSK_.has_indirect_call, 0
	.section	.AMDGPU.csdata,"",@progbits
; Kernel info:
; codeLenInByte = 0
; TotalNumSgprs: 0
; NumVgprs: 0
; ScratchSize: 0
; MemoryBound: 0
; FloatMode: 240
; IeeeMode: 1
; LDSByteSize: 0 bytes/workgroup (compile time only)
; SGPRBlocks: 0
; VGPRBlocks: 0
; NumSGPRsForWavesPerEU: 1
; NumVGPRsForWavesPerEU: 1
; NamedBarCnt: 0
; Occupancy: 16
; WaveLimiterHint : 0
; COMPUTE_PGM_RSRC2:SCRATCH_EN: 0
; COMPUTE_PGM_RSRC2:USER_SGPR: 2
; COMPUTE_PGM_RSRC2:TRAP_HANDLER: 0
; COMPUTE_PGM_RSRC2:TGID_X_EN: 1
; COMPUTE_PGM_RSRC2:TGID_Y_EN: 0
; COMPUTE_PGM_RSRC2:TGID_Z_EN: 0
; COMPUTE_PGM_RSRC2:TIDIG_COMP_CNT: 0
	.section	.text._ZN7rocprim17ROCPRIM_400000_NS6detail17trampoline_kernelINS0_14default_configENS1_36segmented_radix_sort_config_selectorIslEEZNS1_25segmented_radix_sort_implIS3_Lb1EPKsPsPKlPlN2at6native12_GLOBAL__N_18offset_tEEE10hipError_tPvRmT1_PNSt15iterator_traitsISK_E10value_typeET2_T3_PNSL_ISQ_E10value_typeET4_jRbjT5_SW_jjP12ihipStream_tbEUlT_E1_NS1_11comp_targetILNS1_3genE10ELNS1_11target_archE1200ELNS1_3gpuE4ELNS1_3repE0EEENS1_59segmented_radix_sort_warp_sort_small_config_static_selectorELNS0_4arch9wavefront6targetE0EEEvSK_,"axG",@progbits,_ZN7rocprim17ROCPRIM_400000_NS6detail17trampoline_kernelINS0_14default_configENS1_36segmented_radix_sort_config_selectorIslEEZNS1_25segmented_radix_sort_implIS3_Lb1EPKsPsPKlPlN2at6native12_GLOBAL__N_18offset_tEEE10hipError_tPvRmT1_PNSt15iterator_traitsISK_E10value_typeET2_T3_PNSL_ISQ_E10value_typeET4_jRbjT5_SW_jjP12ihipStream_tbEUlT_E1_NS1_11comp_targetILNS1_3genE10ELNS1_11target_archE1200ELNS1_3gpuE4ELNS1_3repE0EEENS1_59segmented_radix_sort_warp_sort_small_config_static_selectorELNS0_4arch9wavefront6targetE0EEEvSK_,comdat
	.globl	_ZN7rocprim17ROCPRIM_400000_NS6detail17trampoline_kernelINS0_14default_configENS1_36segmented_radix_sort_config_selectorIslEEZNS1_25segmented_radix_sort_implIS3_Lb1EPKsPsPKlPlN2at6native12_GLOBAL__N_18offset_tEEE10hipError_tPvRmT1_PNSt15iterator_traitsISK_E10value_typeET2_T3_PNSL_ISQ_E10value_typeET4_jRbjT5_SW_jjP12ihipStream_tbEUlT_E1_NS1_11comp_targetILNS1_3genE10ELNS1_11target_archE1200ELNS1_3gpuE4ELNS1_3repE0EEENS1_59segmented_radix_sort_warp_sort_small_config_static_selectorELNS0_4arch9wavefront6targetE0EEEvSK_ ; -- Begin function _ZN7rocprim17ROCPRIM_400000_NS6detail17trampoline_kernelINS0_14default_configENS1_36segmented_radix_sort_config_selectorIslEEZNS1_25segmented_radix_sort_implIS3_Lb1EPKsPsPKlPlN2at6native12_GLOBAL__N_18offset_tEEE10hipError_tPvRmT1_PNSt15iterator_traitsISK_E10value_typeET2_T3_PNSL_ISQ_E10value_typeET4_jRbjT5_SW_jjP12ihipStream_tbEUlT_E1_NS1_11comp_targetILNS1_3genE10ELNS1_11target_archE1200ELNS1_3gpuE4ELNS1_3repE0EEENS1_59segmented_radix_sort_warp_sort_small_config_static_selectorELNS0_4arch9wavefront6targetE0EEEvSK_
	.p2align	8
	.type	_ZN7rocprim17ROCPRIM_400000_NS6detail17trampoline_kernelINS0_14default_configENS1_36segmented_radix_sort_config_selectorIslEEZNS1_25segmented_radix_sort_implIS3_Lb1EPKsPsPKlPlN2at6native12_GLOBAL__N_18offset_tEEE10hipError_tPvRmT1_PNSt15iterator_traitsISK_E10value_typeET2_T3_PNSL_ISQ_E10value_typeET4_jRbjT5_SW_jjP12ihipStream_tbEUlT_E1_NS1_11comp_targetILNS1_3genE10ELNS1_11target_archE1200ELNS1_3gpuE4ELNS1_3repE0EEENS1_59segmented_radix_sort_warp_sort_small_config_static_selectorELNS0_4arch9wavefront6targetE0EEEvSK_,@function
_ZN7rocprim17ROCPRIM_400000_NS6detail17trampoline_kernelINS0_14default_configENS1_36segmented_radix_sort_config_selectorIslEEZNS1_25segmented_radix_sort_implIS3_Lb1EPKsPsPKlPlN2at6native12_GLOBAL__N_18offset_tEEE10hipError_tPvRmT1_PNSt15iterator_traitsISK_E10value_typeET2_T3_PNSL_ISQ_E10value_typeET4_jRbjT5_SW_jjP12ihipStream_tbEUlT_E1_NS1_11comp_targetILNS1_3genE10ELNS1_11target_archE1200ELNS1_3gpuE4ELNS1_3repE0EEENS1_59segmented_radix_sort_warp_sort_small_config_static_selectorELNS0_4arch9wavefront6targetE0EEEvSK_: ; @_ZN7rocprim17ROCPRIM_400000_NS6detail17trampoline_kernelINS0_14default_configENS1_36segmented_radix_sort_config_selectorIslEEZNS1_25segmented_radix_sort_implIS3_Lb1EPKsPsPKlPlN2at6native12_GLOBAL__N_18offset_tEEE10hipError_tPvRmT1_PNSt15iterator_traitsISK_E10value_typeET2_T3_PNSL_ISQ_E10value_typeET4_jRbjT5_SW_jjP12ihipStream_tbEUlT_E1_NS1_11comp_targetILNS1_3genE10ELNS1_11target_archE1200ELNS1_3gpuE4ELNS1_3repE0EEENS1_59segmented_radix_sort_warp_sort_small_config_static_selectorELNS0_4arch9wavefront6targetE0EEEvSK_
; %bb.0:
	.section	.rodata,"a",@progbits
	.p2align	6, 0x0
	.amdhsa_kernel _ZN7rocprim17ROCPRIM_400000_NS6detail17trampoline_kernelINS0_14default_configENS1_36segmented_radix_sort_config_selectorIslEEZNS1_25segmented_radix_sort_implIS3_Lb1EPKsPsPKlPlN2at6native12_GLOBAL__N_18offset_tEEE10hipError_tPvRmT1_PNSt15iterator_traitsISK_E10value_typeET2_T3_PNSL_ISQ_E10value_typeET4_jRbjT5_SW_jjP12ihipStream_tbEUlT_E1_NS1_11comp_targetILNS1_3genE10ELNS1_11target_archE1200ELNS1_3gpuE4ELNS1_3repE0EEENS1_59segmented_radix_sort_warp_sort_small_config_static_selectorELNS0_4arch9wavefront6targetE0EEEvSK_
		.amdhsa_group_segment_fixed_size 0
		.amdhsa_private_segment_fixed_size 0
		.amdhsa_kernarg_size 88
		.amdhsa_user_sgpr_count 2
		.amdhsa_user_sgpr_dispatch_ptr 0
		.amdhsa_user_sgpr_queue_ptr 0
		.amdhsa_user_sgpr_kernarg_segment_ptr 1
		.amdhsa_user_sgpr_dispatch_id 0
		.amdhsa_user_sgpr_kernarg_preload_length 0
		.amdhsa_user_sgpr_kernarg_preload_offset 0
		.amdhsa_user_sgpr_private_segment_size 0
		.amdhsa_wavefront_size32 1
		.amdhsa_uses_dynamic_stack 0
		.amdhsa_enable_private_segment 0
		.amdhsa_system_sgpr_workgroup_id_x 1
		.amdhsa_system_sgpr_workgroup_id_y 0
		.amdhsa_system_sgpr_workgroup_id_z 0
		.amdhsa_system_sgpr_workgroup_info 0
		.amdhsa_system_vgpr_workitem_id 0
		.amdhsa_next_free_vgpr 1
		.amdhsa_next_free_sgpr 1
		.amdhsa_named_barrier_count 0
		.amdhsa_reserve_vcc 0
		.amdhsa_float_round_mode_32 0
		.amdhsa_float_round_mode_16_64 0
		.amdhsa_float_denorm_mode_32 3
		.amdhsa_float_denorm_mode_16_64 3
		.amdhsa_fp16_overflow 0
		.amdhsa_memory_ordered 1
		.amdhsa_forward_progress 1
		.amdhsa_inst_pref_size 0
		.amdhsa_round_robin_scheduling 0
		.amdhsa_exception_fp_ieee_invalid_op 0
		.amdhsa_exception_fp_denorm_src 0
		.amdhsa_exception_fp_ieee_div_zero 0
		.amdhsa_exception_fp_ieee_overflow 0
		.amdhsa_exception_fp_ieee_underflow 0
		.amdhsa_exception_fp_ieee_inexact 0
		.amdhsa_exception_int_div_zero 0
	.end_amdhsa_kernel
	.section	.text._ZN7rocprim17ROCPRIM_400000_NS6detail17trampoline_kernelINS0_14default_configENS1_36segmented_radix_sort_config_selectorIslEEZNS1_25segmented_radix_sort_implIS3_Lb1EPKsPsPKlPlN2at6native12_GLOBAL__N_18offset_tEEE10hipError_tPvRmT1_PNSt15iterator_traitsISK_E10value_typeET2_T3_PNSL_ISQ_E10value_typeET4_jRbjT5_SW_jjP12ihipStream_tbEUlT_E1_NS1_11comp_targetILNS1_3genE10ELNS1_11target_archE1200ELNS1_3gpuE4ELNS1_3repE0EEENS1_59segmented_radix_sort_warp_sort_small_config_static_selectorELNS0_4arch9wavefront6targetE0EEEvSK_,"axG",@progbits,_ZN7rocprim17ROCPRIM_400000_NS6detail17trampoline_kernelINS0_14default_configENS1_36segmented_radix_sort_config_selectorIslEEZNS1_25segmented_radix_sort_implIS3_Lb1EPKsPsPKlPlN2at6native12_GLOBAL__N_18offset_tEEE10hipError_tPvRmT1_PNSt15iterator_traitsISK_E10value_typeET2_T3_PNSL_ISQ_E10value_typeET4_jRbjT5_SW_jjP12ihipStream_tbEUlT_E1_NS1_11comp_targetILNS1_3genE10ELNS1_11target_archE1200ELNS1_3gpuE4ELNS1_3repE0EEENS1_59segmented_radix_sort_warp_sort_small_config_static_selectorELNS0_4arch9wavefront6targetE0EEEvSK_,comdat
.Lfunc_end933:
	.size	_ZN7rocprim17ROCPRIM_400000_NS6detail17trampoline_kernelINS0_14default_configENS1_36segmented_radix_sort_config_selectorIslEEZNS1_25segmented_radix_sort_implIS3_Lb1EPKsPsPKlPlN2at6native12_GLOBAL__N_18offset_tEEE10hipError_tPvRmT1_PNSt15iterator_traitsISK_E10value_typeET2_T3_PNSL_ISQ_E10value_typeET4_jRbjT5_SW_jjP12ihipStream_tbEUlT_E1_NS1_11comp_targetILNS1_3genE10ELNS1_11target_archE1200ELNS1_3gpuE4ELNS1_3repE0EEENS1_59segmented_radix_sort_warp_sort_small_config_static_selectorELNS0_4arch9wavefront6targetE0EEEvSK_, .Lfunc_end933-_ZN7rocprim17ROCPRIM_400000_NS6detail17trampoline_kernelINS0_14default_configENS1_36segmented_radix_sort_config_selectorIslEEZNS1_25segmented_radix_sort_implIS3_Lb1EPKsPsPKlPlN2at6native12_GLOBAL__N_18offset_tEEE10hipError_tPvRmT1_PNSt15iterator_traitsISK_E10value_typeET2_T3_PNSL_ISQ_E10value_typeET4_jRbjT5_SW_jjP12ihipStream_tbEUlT_E1_NS1_11comp_targetILNS1_3genE10ELNS1_11target_archE1200ELNS1_3gpuE4ELNS1_3repE0EEENS1_59segmented_radix_sort_warp_sort_small_config_static_selectorELNS0_4arch9wavefront6targetE0EEEvSK_
                                        ; -- End function
	.set _ZN7rocprim17ROCPRIM_400000_NS6detail17trampoline_kernelINS0_14default_configENS1_36segmented_radix_sort_config_selectorIslEEZNS1_25segmented_radix_sort_implIS3_Lb1EPKsPsPKlPlN2at6native12_GLOBAL__N_18offset_tEEE10hipError_tPvRmT1_PNSt15iterator_traitsISK_E10value_typeET2_T3_PNSL_ISQ_E10value_typeET4_jRbjT5_SW_jjP12ihipStream_tbEUlT_E1_NS1_11comp_targetILNS1_3genE10ELNS1_11target_archE1200ELNS1_3gpuE4ELNS1_3repE0EEENS1_59segmented_radix_sort_warp_sort_small_config_static_selectorELNS0_4arch9wavefront6targetE0EEEvSK_.num_vgpr, 0
	.set _ZN7rocprim17ROCPRIM_400000_NS6detail17trampoline_kernelINS0_14default_configENS1_36segmented_radix_sort_config_selectorIslEEZNS1_25segmented_radix_sort_implIS3_Lb1EPKsPsPKlPlN2at6native12_GLOBAL__N_18offset_tEEE10hipError_tPvRmT1_PNSt15iterator_traitsISK_E10value_typeET2_T3_PNSL_ISQ_E10value_typeET4_jRbjT5_SW_jjP12ihipStream_tbEUlT_E1_NS1_11comp_targetILNS1_3genE10ELNS1_11target_archE1200ELNS1_3gpuE4ELNS1_3repE0EEENS1_59segmented_radix_sort_warp_sort_small_config_static_selectorELNS0_4arch9wavefront6targetE0EEEvSK_.num_agpr, 0
	.set _ZN7rocprim17ROCPRIM_400000_NS6detail17trampoline_kernelINS0_14default_configENS1_36segmented_radix_sort_config_selectorIslEEZNS1_25segmented_radix_sort_implIS3_Lb1EPKsPsPKlPlN2at6native12_GLOBAL__N_18offset_tEEE10hipError_tPvRmT1_PNSt15iterator_traitsISK_E10value_typeET2_T3_PNSL_ISQ_E10value_typeET4_jRbjT5_SW_jjP12ihipStream_tbEUlT_E1_NS1_11comp_targetILNS1_3genE10ELNS1_11target_archE1200ELNS1_3gpuE4ELNS1_3repE0EEENS1_59segmented_radix_sort_warp_sort_small_config_static_selectorELNS0_4arch9wavefront6targetE0EEEvSK_.numbered_sgpr, 0
	.set _ZN7rocprim17ROCPRIM_400000_NS6detail17trampoline_kernelINS0_14default_configENS1_36segmented_radix_sort_config_selectorIslEEZNS1_25segmented_radix_sort_implIS3_Lb1EPKsPsPKlPlN2at6native12_GLOBAL__N_18offset_tEEE10hipError_tPvRmT1_PNSt15iterator_traitsISK_E10value_typeET2_T3_PNSL_ISQ_E10value_typeET4_jRbjT5_SW_jjP12ihipStream_tbEUlT_E1_NS1_11comp_targetILNS1_3genE10ELNS1_11target_archE1200ELNS1_3gpuE4ELNS1_3repE0EEENS1_59segmented_radix_sort_warp_sort_small_config_static_selectorELNS0_4arch9wavefront6targetE0EEEvSK_.num_named_barrier, 0
	.set _ZN7rocprim17ROCPRIM_400000_NS6detail17trampoline_kernelINS0_14default_configENS1_36segmented_radix_sort_config_selectorIslEEZNS1_25segmented_radix_sort_implIS3_Lb1EPKsPsPKlPlN2at6native12_GLOBAL__N_18offset_tEEE10hipError_tPvRmT1_PNSt15iterator_traitsISK_E10value_typeET2_T3_PNSL_ISQ_E10value_typeET4_jRbjT5_SW_jjP12ihipStream_tbEUlT_E1_NS1_11comp_targetILNS1_3genE10ELNS1_11target_archE1200ELNS1_3gpuE4ELNS1_3repE0EEENS1_59segmented_radix_sort_warp_sort_small_config_static_selectorELNS0_4arch9wavefront6targetE0EEEvSK_.private_seg_size, 0
	.set _ZN7rocprim17ROCPRIM_400000_NS6detail17trampoline_kernelINS0_14default_configENS1_36segmented_radix_sort_config_selectorIslEEZNS1_25segmented_radix_sort_implIS3_Lb1EPKsPsPKlPlN2at6native12_GLOBAL__N_18offset_tEEE10hipError_tPvRmT1_PNSt15iterator_traitsISK_E10value_typeET2_T3_PNSL_ISQ_E10value_typeET4_jRbjT5_SW_jjP12ihipStream_tbEUlT_E1_NS1_11comp_targetILNS1_3genE10ELNS1_11target_archE1200ELNS1_3gpuE4ELNS1_3repE0EEENS1_59segmented_radix_sort_warp_sort_small_config_static_selectorELNS0_4arch9wavefront6targetE0EEEvSK_.uses_vcc, 0
	.set _ZN7rocprim17ROCPRIM_400000_NS6detail17trampoline_kernelINS0_14default_configENS1_36segmented_radix_sort_config_selectorIslEEZNS1_25segmented_radix_sort_implIS3_Lb1EPKsPsPKlPlN2at6native12_GLOBAL__N_18offset_tEEE10hipError_tPvRmT1_PNSt15iterator_traitsISK_E10value_typeET2_T3_PNSL_ISQ_E10value_typeET4_jRbjT5_SW_jjP12ihipStream_tbEUlT_E1_NS1_11comp_targetILNS1_3genE10ELNS1_11target_archE1200ELNS1_3gpuE4ELNS1_3repE0EEENS1_59segmented_radix_sort_warp_sort_small_config_static_selectorELNS0_4arch9wavefront6targetE0EEEvSK_.uses_flat_scratch, 0
	.set _ZN7rocprim17ROCPRIM_400000_NS6detail17trampoline_kernelINS0_14default_configENS1_36segmented_radix_sort_config_selectorIslEEZNS1_25segmented_radix_sort_implIS3_Lb1EPKsPsPKlPlN2at6native12_GLOBAL__N_18offset_tEEE10hipError_tPvRmT1_PNSt15iterator_traitsISK_E10value_typeET2_T3_PNSL_ISQ_E10value_typeET4_jRbjT5_SW_jjP12ihipStream_tbEUlT_E1_NS1_11comp_targetILNS1_3genE10ELNS1_11target_archE1200ELNS1_3gpuE4ELNS1_3repE0EEENS1_59segmented_radix_sort_warp_sort_small_config_static_selectorELNS0_4arch9wavefront6targetE0EEEvSK_.has_dyn_sized_stack, 0
	.set _ZN7rocprim17ROCPRIM_400000_NS6detail17trampoline_kernelINS0_14default_configENS1_36segmented_radix_sort_config_selectorIslEEZNS1_25segmented_radix_sort_implIS3_Lb1EPKsPsPKlPlN2at6native12_GLOBAL__N_18offset_tEEE10hipError_tPvRmT1_PNSt15iterator_traitsISK_E10value_typeET2_T3_PNSL_ISQ_E10value_typeET4_jRbjT5_SW_jjP12ihipStream_tbEUlT_E1_NS1_11comp_targetILNS1_3genE10ELNS1_11target_archE1200ELNS1_3gpuE4ELNS1_3repE0EEENS1_59segmented_radix_sort_warp_sort_small_config_static_selectorELNS0_4arch9wavefront6targetE0EEEvSK_.has_recursion, 0
	.set _ZN7rocprim17ROCPRIM_400000_NS6detail17trampoline_kernelINS0_14default_configENS1_36segmented_radix_sort_config_selectorIslEEZNS1_25segmented_radix_sort_implIS3_Lb1EPKsPsPKlPlN2at6native12_GLOBAL__N_18offset_tEEE10hipError_tPvRmT1_PNSt15iterator_traitsISK_E10value_typeET2_T3_PNSL_ISQ_E10value_typeET4_jRbjT5_SW_jjP12ihipStream_tbEUlT_E1_NS1_11comp_targetILNS1_3genE10ELNS1_11target_archE1200ELNS1_3gpuE4ELNS1_3repE0EEENS1_59segmented_radix_sort_warp_sort_small_config_static_selectorELNS0_4arch9wavefront6targetE0EEEvSK_.has_indirect_call, 0
	.section	.AMDGPU.csdata,"",@progbits
; Kernel info:
; codeLenInByte = 0
; TotalNumSgprs: 0
; NumVgprs: 0
; ScratchSize: 0
; MemoryBound: 0
; FloatMode: 240
; IeeeMode: 1
; LDSByteSize: 0 bytes/workgroup (compile time only)
; SGPRBlocks: 0
; VGPRBlocks: 0
; NumSGPRsForWavesPerEU: 1
; NumVGPRsForWavesPerEU: 1
; NamedBarCnt: 0
; Occupancy: 16
; WaveLimiterHint : 0
; COMPUTE_PGM_RSRC2:SCRATCH_EN: 0
; COMPUTE_PGM_RSRC2:USER_SGPR: 2
; COMPUTE_PGM_RSRC2:TRAP_HANDLER: 0
; COMPUTE_PGM_RSRC2:TGID_X_EN: 1
; COMPUTE_PGM_RSRC2:TGID_Y_EN: 0
; COMPUTE_PGM_RSRC2:TGID_Z_EN: 0
; COMPUTE_PGM_RSRC2:TIDIG_COMP_CNT: 0
	.section	.text._ZN7rocprim17ROCPRIM_400000_NS6detail17trampoline_kernelINS0_14default_configENS1_36segmented_radix_sort_config_selectorIslEEZNS1_25segmented_radix_sort_implIS3_Lb1EPKsPsPKlPlN2at6native12_GLOBAL__N_18offset_tEEE10hipError_tPvRmT1_PNSt15iterator_traitsISK_E10value_typeET2_T3_PNSL_ISQ_E10value_typeET4_jRbjT5_SW_jjP12ihipStream_tbEUlT_E1_NS1_11comp_targetILNS1_3genE9ELNS1_11target_archE1100ELNS1_3gpuE3ELNS1_3repE0EEENS1_59segmented_radix_sort_warp_sort_small_config_static_selectorELNS0_4arch9wavefront6targetE0EEEvSK_,"axG",@progbits,_ZN7rocprim17ROCPRIM_400000_NS6detail17trampoline_kernelINS0_14default_configENS1_36segmented_radix_sort_config_selectorIslEEZNS1_25segmented_radix_sort_implIS3_Lb1EPKsPsPKlPlN2at6native12_GLOBAL__N_18offset_tEEE10hipError_tPvRmT1_PNSt15iterator_traitsISK_E10value_typeET2_T3_PNSL_ISQ_E10value_typeET4_jRbjT5_SW_jjP12ihipStream_tbEUlT_E1_NS1_11comp_targetILNS1_3genE9ELNS1_11target_archE1100ELNS1_3gpuE3ELNS1_3repE0EEENS1_59segmented_radix_sort_warp_sort_small_config_static_selectorELNS0_4arch9wavefront6targetE0EEEvSK_,comdat
	.globl	_ZN7rocprim17ROCPRIM_400000_NS6detail17trampoline_kernelINS0_14default_configENS1_36segmented_radix_sort_config_selectorIslEEZNS1_25segmented_radix_sort_implIS3_Lb1EPKsPsPKlPlN2at6native12_GLOBAL__N_18offset_tEEE10hipError_tPvRmT1_PNSt15iterator_traitsISK_E10value_typeET2_T3_PNSL_ISQ_E10value_typeET4_jRbjT5_SW_jjP12ihipStream_tbEUlT_E1_NS1_11comp_targetILNS1_3genE9ELNS1_11target_archE1100ELNS1_3gpuE3ELNS1_3repE0EEENS1_59segmented_radix_sort_warp_sort_small_config_static_selectorELNS0_4arch9wavefront6targetE0EEEvSK_ ; -- Begin function _ZN7rocprim17ROCPRIM_400000_NS6detail17trampoline_kernelINS0_14default_configENS1_36segmented_radix_sort_config_selectorIslEEZNS1_25segmented_radix_sort_implIS3_Lb1EPKsPsPKlPlN2at6native12_GLOBAL__N_18offset_tEEE10hipError_tPvRmT1_PNSt15iterator_traitsISK_E10value_typeET2_T3_PNSL_ISQ_E10value_typeET4_jRbjT5_SW_jjP12ihipStream_tbEUlT_E1_NS1_11comp_targetILNS1_3genE9ELNS1_11target_archE1100ELNS1_3gpuE3ELNS1_3repE0EEENS1_59segmented_radix_sort_warp_sort_small_config_static_selectorELNS0_4arch9wavefront6targetE0EEEvSK_
	.p2align	8
	.type	_ZN7rocprim17ROCPRIM_400000_NS6detail17trampoline_kernelINS0_14default_configENS1_36segmented_radix_sort_config_selectorIslEEZNS1_25segmented_radix_sort_implIS3_Lb1EPKsPsPKlPlN2at6native12_GLOBAL__N_18offset_tEEE10hipError_tPvRmT1_PNSt15iterator_traitsISK_E10value_typeET2_T3_PNSL_ISQ_E10value_typeET4_jRbjT5_SW_jjP12ihipStream_tbEUlT_E1_NS1_11comp_targetILNS1_3genE9ELNS1_11target_archE1100ELNS1_3gpuE3ELNS1_3repE0EEENS1_59segmented_radix_sort_warp_sort_small_config_static_selectorELNS0_4arch9wavefront6targetE0EEEvSK_,@function
_ZN7rocprim17ROCPRIM_400000_NS6detail17trampoline_kernelINS0_14default_configENS1_36segmented_radix_sort_config_selectorIslEEZNS1_25segmented_radix_sort_implIS3_Lb1EPKsPsPKlPlN2at6native12_GLOBAL__N_18offset_tEEE10hipError_tPvRmT1_PNSt15iterator_traitsISK_E10value_typeET2_T3_PNSL_ISQ_E10value_typeET4_jRbjT5_SW_jjP12ihipStream_tbEUlT_E1_NS1_11comp_targetILNS1_3genE9ELNS1_11target_archE1100ELNS1_3gpuE3ELNS1_3repE0EEENS1_59segmented_radix_sort_warp_sort_small_config_static_selectorELNS0_4arch9wavefront6targetE0EEEvSK_: ; @_ZN7rocprim17ROCPRIM_400000_NS6detail17trampoline_kernelINS0_14default_configENS1_36segmented_radix_sort_config_selectorIslEEZNS1_25segmented_radix_sort_implIS3_Lb1EPKsPsPKlPlN2at6native12_GLOBAL__N_18offset_tEEE10hipError_tPvRmT1_PNSt15iterator_traitsISK_E10value_typeET2_T3_PNSL_ISQ_E10value_typeET4_jRbjT5_SW_jjP12ihipStream_tbEUlT_E1_NS1_11comp_targetILNS1_3genE9ELNS1_11target_archE1100ELNS1_3gpuE3ELNS1_3repE0EEENS1_59segmented_radix_sort_warp_sort_small_config_static_selectorELNS0_4arch9wavefront6targetE0EEEvSK_
; %bb.0:
	.section	.rodata,"a",@progbits
	.p2align	6, 0x0
	.amdhsa_kernel _ZN7rocprim17ROCPRIM_400000_NS6detail17trampoline_kernelINS0_14default_configENS1_36segmented_radix_sort_config_selectorIslEEZNS1_25segmented_radix_sort_implIS3_Lb1EPKsPsPKlPlN2at6native12_GLOBAL__N_18offset_tEEE10hipError_tPvRmT1_PNSt15iterator_traitsISK_E10value_typeET2_T3_PNSL_ISQ_E10value_typeET4_jRbjT5_SW_jjP12ihipStream_tbEUlT_E1_NS1_11comp_targetILNS1_3genE9ELNS1_11target_archE1100ELNS1_3gpuE3ELNS1_3repE0EEENS1_59segmented_radix_sort_warp_sort_small_config_static_selectorELNS0_4arch9wavefront6targetE0EEEvSK_
		.amdhsa_group_segment_fixed_size 0
		.amdhsa_private_segment_fixed_size 0
		.amdhsa_kernarg_size 88
		.amdhsa_user_sgpr_count 2
		.amdhsa_user_sgpr_dispatch_ptr 0
		.amdhsa_user_sgpr_queue_ptr 0
		.amdhsa_user_sgpr_kernarg_segment_ptr 1
		.amdhsa_user_sgpr_dispatch_id 0
		.amdhsa_user_sgpr_kernarg_preload_length 0
		.amdhsa_user_sgpr_kernarg_preload_offset 0
		.amdhsa_user_sgpr_private_segment_size 0
		.amdhsa_wavefront_size32 1
		.amdhsa_uses_dynamic_stack 0
		.amdhsa_enable_private_segment 0
		.amdhsa_system_sgpr_workgroup_id_x 1
		.amdhsa_system_sgpr_workgroup_id_y 0
		.amdhsa_system_sgpr_workgroup_id_z 0
		.amdhsa_system_sgpr_workgroup_info 0
		.amdhsa_system_vgpr_workitem_id 0
		.amdhsa_next_free_vgpr 1
		.amdhsa_next_free_sgpr 1
		.amdhsa_named_barrier_count 0
		.amdhsa_reserve_vcc 0
		.amdhsa_float_round_mode_32 0
		.amdhsa_float_round_mode_16_64 0
		.amdhsa_float_denorm_mode_32 3
		.amdhsa_float_denorm_mode_16_64 3
		.amdhsa_fp16_overflow 0
		.amdhsa_memory_ordered 1
		.amdhsa_forward_progress 1
		.amdhsa_inst_pref_size 0
		.amdhsa_round_robin_scheduling 0
		.amdhsa_exception_fp_ieee_invalid_op 0
		.amdhsa_exception_fp_denorm_src 0
		.amdhsa_exception_fp_ieee_div_zero 0
		.amdhsa_exception_fp_ieee_overflow 0
		.amdhsa_exception_fp_ieee_underflow 0
		.amdhsa_exception_fp_ieee_inexact 0
		.amdhsa_exception_int_div_zero 0
	.end_amdhsa_kernel
	.section	.text._ZN7rocprim17ROCPRIM_400000_NS6detail17trampoline_kernelINS0_14default_configENS1_36segmented_radix_sort_config_selectorIslEEZNS1_25segmented_radix_sort_implIS3_Lb1EPKsPsPKlPlN2at6native12_GLOBAL__N_18offset_tEEE10hipError_tPvRmT1_PNSt15iterator_traitsISK_E10value_typeET2_T3_PNSL_ISQ_E10value_typeET4_jRbjT5_SW_jjP12ihipStream_tbEUlT_E1_NS1_11comp_targetILNS1_3genE9ELNS1_11target_archE1100ELNS1_3gpuE3ELNS1_3repE0EEENS1_59segmented_radix_sort_warp_sort_small_config_static_selectorELNS0_4arch9wavefront6targetE0EEEvSK_,"axG",@progbits,_ZN7rocprim17ROCPRIM_400000_NS6detail17trampoline_kernelINS0_14default_configENS1_36segmented_radix_sort_config_selectorIslEEZNS1_25segmented_radix_sort_implIS3_Lb1EPKsPsPKlPlN2at6native12_GLOBAL__N_18offset_tEEE10hipError_tPvRmT1_PNSt15iterator_traitsISK_E10value_typeET2_T3_PNSL_ISQ_E10value_typeET4_jRbjT5_SW_jjP12ihipStream_tbEUlT_E1_NS1_11comp_targetILNS1_3genE9ELNS1_11target_archE1100ELNS1_3gpuE3ELNS1_3repE0EEENS1_59segmented_radix_sort_warp_sort_small_config_static_selectorELNS0_4arch9wavefront6targetE0EEEvSK_,comdat
.Lfunc_end934:
	.size	_ZN7rocprim17ROCPRIM_400000_NS6detail17trampoline_kernelINS0_14default_configENS1_36segmented_radix_sort_config_selectorIslEEZNS1_25segmented_radix_sort_implIS3_Lb1EPKsPsPKlPlN2at6native12_GLOBAL__N_18offset_tEEE10hipError_tPvRmT1_PNSt15iterator_traitsISK_E10value_typeET2_T3_PNSL_ISQ_E10value_typeET4_jRbjT5_SW_jjP12ihipStream_tbEUlT_E1_NS1_11comp_targetILNS1_3genE9ELNS1_11target_archE1100ELNS1_3gpuE3ELNS1_3repE0EEENS1_59segmented_radix_sort_warp_sort_small_config_static_selectorELNS0_4arch9wavefront6targetE0EEEvSK_, .Lfunc_end934-_ZN7rocprim17ROCPRIM_400000_NS6detail17trampoline_kernelINS0_14default_configENS1_36segmented_radix_sort_config_selectorIslEEZNS1_25segmented_radix_sort_implIS3_Lb1EPKsPsPKlPlN2at6native12_GLOBAL__N_18offset_tEEE10hipError_tPvRmT1_PNSt15iterator_traitsISK_E10value_typeET2_T3_PNSL_ISQ_E10value_typeET4_jRbjT5_SW_jjP12ihipStream_tbEUlT_E1_NS1_11comp_targetILNS1_3genE9ELNS1_11target_archE1100ELNS1_3gpuE3ELNS1_3repE0EEENS1_59segmented_radix_sort_warp_sort_small_config_static_selectorELNS0_4arch9wavefront6targetE0EEEvSK_
                                        ; -- End function
	.set _ZN7rocprim17ROCPRIM_400000_NS6detail17trampoline_kernelINS0_14default_configENS1_36segmented_radix_sort_config_selectorIslEEZNS1_25segmented_radix_sort_implIS3_Lb1EPKsPsPKlPlN2at6native12_GLOBAL__N_18offset_tEEE10hipError_tPvRmT1_PNSt15iterator_traitsISK_E10value_typeET2_T3_PNSL_ISQ_E10value_typeET4_jRbjT5_SW_jjP12ihipStream_tbEUlT_E1_NS1_11comp_targetILNS1_3genE9ELNS1_11target_archE1100ELNS1_3gpuE3ELNS1_3repE0EEENS1_59segmented_radix_sort_warp_sort_small_config_static_selectorELNS0_4arch9wavefront6targetE0EEEvSK_.num_vgpr, 0
	.set _ZN7rocprim17ROCPRIM_400000_NS6detail17trampoline_kernelINS0_14default_configENS1_36segmented_radix_sort_config_selectorIslEEZNS1_25segmented_radix_sort_implIS3_Lb1EPKsPsPKlPlN2at6native12_GLOBAL__N_18offset_tEEE10hipError_tPvRmT1_PNSt15iterator_traitsISK_E10value_typeET2_T3_PNSL_ISQ_E10value_typeET4_jRbjT5_SW_jjP12ihipStream_tbEUlT_E1_NS1_11comp_targetILNS1_3genE9ELNS1_11target_archE1100ELNS1_3gpuE3ELNS1_3repE0EEENS1_59segmented_radix_sort_warp_sort_small_config_static_selectorELNS0_4arch9wavefront6targetE0EEEvSK_.num_agpr, 0
	.set _ZN7rocprim17ROCPRIM_400000_NS6detail17trampoline_kernelINS0_14default_configENS1_36segmented_radix_sort_config_selectorIslEEZNS1_25segmented_radix_sort_implIS3_Lb1EPKsPsPKlPlN2at6native12_GLOBAL__N_18offset_tEEE10hipError_tPvRmT1_PNSt15iterator_traitsISK_E10value_typeET2_T3_PNSL_ISQ_E10value_typeET4_jRbjT5_SW_jjP12ihipStream_tbEUlT_E1_NS1_11comp_targetILNS1_3genE9ELNS1_11target_archE1100ELNS1_3gpuE3ELNS1_3repE0EEENS1_59segmented_radix_sort_warp_sort_small_config_static_selectorELNS0_4arch9wavefront6targetE0EEEvSK_.numbered_sgpr, 0
	.set _ZN7rocprim17ROCPRIM_400000_NS6detail17trampoline_kernelINS0_14default_configENS1_36segmented_radix_sort_config_selectorIslEEZNS1_25segmented_radix_sort_implIS3_Lb1EPKsPsPKlPlN2at6native12_GLOBAL__N_18offset_tEEE10hipError_tPvRmT1_PNSt15iterator_traitsISK_E10value_typeET2_T3_PNSL_ISQ_E10value_typeET4_jRbjT5_SW_jjP12ihipStream_tbEUlT_E1_NS1_11comp_targetILNS1_3genE9ELNS1_11target_archE1100ELNS1_3gpuE3ELNS1_3repE0EEENS1_59segmented_radix_sort_warp_sort_small_config_static_selectorELNS0_4arch9wavefront6targetE0EEEvSK_.num_named_barrier, 0
	.set _ZN7rocprim17ROCPRIM_400000_NS6detail17trampoline_kernelINS0_14default_configENS1_36segmented_radix_sort_config_selectorIslEEZNS1_25segmented_radix_sort_implIS3_Lb1EPKsPsPKlPlN2at6native12_GLOBAL__N_18offset_tEEE10hipError_tPvRmT1_PNSt15iterator_traitsISK_E10value_typeET2_T3_PNSL_ISQ_E10value_typeET4_jRbjT5_SW_jjP12ihipStream_tbEUlT_E1_NS1_11comp_targetILNS1_3genE9ELNS1_11target_archE1100ELNS1_3gpuE3ELNS1_3repE0EEENS1_59segmented_radix_sort_warp_sort_small_config_static_selectorELNS0_4arch9wavefront6targetE0EEEvSK_.private_seg_size, 0
	.set _ZN7rocprim17ROCPRIM_400000_NS6detail17trampoline_kernelINS0_14default_configENS1_36segmented_radix_sort_config_selectorIslEEZNS1_25segmented_radix_sort_implIS3_Lb1EPKsPsPKlPlN2at6native12_GLOBAL__N_18offset_tEEE10hipError_tPvRmT1_PNSt15iterator_traitsISK_E10value_typeET2_T3_PNSL_ISQ_E10value_typeET4_jRbjT5_SW_jjP12ihipStream_tbEUlT_E1_NS1_11comp_targetILNS1_3genE9ELNS1_11target_archE1100ELNS1_3gpuE3ELNS1_3repE0EEENS1_59segmented_radix_sort_warp_sort_small_config_static_selectorELNS0_4arch9wavefront6targetE0EEEvSK_.uses_vcc, 0
	.set _ZN7rocprim17ROCPRIM_400000_NS6detail17trampoline_kernelINS0_14default_configENS1_36segmented_radix_sort_config_selectorIslEEZNS1_25segmented_radix_sort_implIS3_Lb1EPKsPsPKlPlN2at6native12_GLOBAL__N_18offset_tEEE10hipError_tPvRmT1_PNSt15iterator_traitsISK_E10value_typeET2_T3_PNSL_ISQ_E10value_typeET4_jRbjT5_SW_jjP12ihipStream_tbEUlT_E1_NS1_11comp_targetILNS1_3genE9ELNS1_11target_archE1100ELNS1_3gpuE3ELNS1_3repE0EEENS1_59segmented_radix_sort_warp_sort_small_config_static_selectorELNS0_4arch9wavefront6targetE0EEEvSK_.uses_flat_scratch, 0
	.set _ZN7rocprim17ROCPRIM_400000_NS6detail17trampoline_kernelINS0_14default_configENS1_36segmented_radix_sort_config_selectorIslEEZNS1_25segmented_radix_sort_implIS3_Lb1EPKsPsPKlPlN2at6native12_GLOBAL__N_18offset_tEEE10hipError_tPvRmT1_PNSt15iterator_traitsISK_E10value_typeET2_T3_PNSL_ISQ_E10value_typeET4_jRbjT5_SW_jjP12ihipStream_tbEUlT_E1_NS1_11comp_targetILNS1_3genE9ELNS1_11target_archE1100ELNS1_3gpuE3ELNS1_3repE0EEENS1_59segmented_radix_sort_warp_sort_small_config_static_selectorELNS0_4arch9wavefront6targetE0EEEvSK_.has_dyn_sized_stack, 0
	.set _ZN7rocprim17ROCPRIM_400000_NS6detail17trampoline_kernelINS0_14default_configENS1_36segmented_radix_sort_config_selectorIslEEZNS1_25segmented_radix_sort_implIS3_Lb1EPKsPsPKlPlN2at6native12_GLOBAL__N_18offset_tEEE10hipError_tPvRmT1_PNSt15iterator_traitsISK_E10value_typeET2_T3_PNSL_ISQ_E10value_typeET4_jRbjT5_SW_jjP12ihipStream_tbEUlT_E1_NS1_11comp_targetILNS1_3genE9ELNS1_11target_archE1100ELNS1_3gpuE3ELNS1_3repE0EEENS1_59segmented_radix_sort_warp_sort_small_config_static_selectorELNS0_4arch9wavefront6targetE0EEEvSK_.has_recursion, 0
	.set _ZN7rocprim17ROCPRIM_400000_NS6detail17trampoline_kernelINS0_14default_configENS1_36segmented_radix_sort_config_selectorIslEEZNS1_25segmented_radix_sort_implIS3_Lb1EPKsPsPKlPlN2at6native12_GLOBAL__N_18offset_tEEE10hipError_tPvRmT1_PNSt15iterator_traitsISK_E10value_typeET2_T3_PNSL_ISQ_E10value_typeET4_jRbjT5_SW_jjP12ihipStream_tbEUlT_E1_NS1_11comp_targetILNS1_3genE9ELNS1_11target_archE1100ELNS1_3gpuE3ELNS1_3repE0EEENS1_59segmented_radix_sort_warp_sort_small_config_static_selectorELNS0_4arch9wavefront6targetE0EEEvSK_.has_indirect_call, 0
	.section	.AMDGPU.csdata,"",@progbits
; Kernel info:
; codeLenInByte = 0
; TotalNumSgprs: 0
; NumVgprs: 0
; ScratchSize: 0
; MemoryBound: 0
; FloatMode: 240
; IeeeMode: 1
; LDSByteSize: 0 bytes/workgroup (compile time only)
; SGPRBlocks: 0
; VGPRBlocks: 0
; NumSGPRsForWavesPerEU: 1
; NumVGPRsForWavesPerEU: 1
; NamedBarCnt: 0
; Occupancy: 16
; WaveLimiterHint : 0
; COMPUTE_PGM_RSRC2:SCRATCH_EN: 0
; COMPUTE_PGM_RSRC2:USER_SGPR: 2
; COMPUTE_PGM_RSRC2:TRAP_HANDLER: 0
; COMPUTE_PGM_RSRC2:TGID_X_EN: 1
; COMPUTE_PGM_RSRC2:TGID_Y_EN: 0
; COMPUTE_PGM_RSRC2:TGID_Z_EN: 0
; COMPUTE_PGM_RSRC2:TIDIG_COMP_CNT: 0
	.section	.text._ZN7rocprim17ROCPRIM_400000_NS6detail17trampoline_kernelINS0_14default_configENS1_36segmented_radix_sort_config_selectorIslEEZNS1_25segmented_radix_sort_implIS3_Lb1EPKsPsPKlPlN2at6native12_GLOBAL__N_18offset_tEEE10hipError_tPvRmT1_PNSt15iterator_traitsISK_E10value_typeET2_T3_PNSL_ISQ_E10value_typeET4_jRbjT5_SW_jjP12ihipStream_tbEUlT_E1_NS1_11comp_targetILNS1_3genE8ELNS1_11target_archE1030ELNS1_3gpuE2ELNS1_3repE0EEENS1_59segmented_radix_sort_warp_sort_small_config_static_selectorELNS0_4arch9wavefront6targetE0EEEvSK_,"axG",@progbits,_ZN7rocprim17ROCPRIM_400000_NS6detail17trampoline_kernelINS0_14default_configENS1_36segmented_radix_sort_config_selectorIslEEZNS1_25segmented_radix_sort_implIS3_Lb1EPKsPsPKlPlN2at6native12_GLOBAL__N_18offset_tEEE10hipError_tPvRmT1_PNSt15iterator_traitsISK_E10value_typeET2_T3_PNSL_ISQ_E10value_typeET4_jRbjT5_SW_jjP12ihipStream_tbEUlT_E1_NS1_11comp_targetILNS1_3genE8ELNS1_11target_archE1030ELNS1_3gpuE2ELNS1_3repE0EEENS1_59segmented_radix_sort_warp_sort_small_config_static_selectorELNS0_4arch9wavefront6targetE0EEEvSK_,comdat
	.globl	_ZN7rocprim17ROCPRIM_400000_NS6detail17trampoline_kernelINS0_14default_configENS1_36segmented_radix_sort_config_selectorIslEEZNS1_25segmented_radix_sort_implIS3_Lb1EPKsPsPKlPlN2at6native12_GLOBAL__N_18offset_tEEE10hipError_tPvRmT1_PNSt15iterator_traitsISK_E10value_typeET2_T3_PNSL_ISQ_E10value_typeET4_jRbjT5_SW_jjP12ihipStream_tbEUlT_E1_NS1_11comp_targetILNS1_3genE8ELNS1_11target_archE1030ELNS1_3gpuE2ELNS1_3repE0EEENS1_59segmented_radix_sort_warp_sort_small_config_static_selectorELNS0_4arch9wavefront6targetE0EEEvSK_ ; -- Begin function _ZN7rocprim17ROCPRIM_400000_NS6detail17trampoline_kernelINS0_14default_configENS1_36segmented_radix_sort_config_selectorIslEEZNS1_25segmented_radix_sort_implIS3_Lb1EPKsPsPKlPlN2at6native12_GLOBAL__N_18offset_tEEE10hipError_tPvRmT1_PNSt15iterator_traitsISK_E10value_typeET2_T3_PNSL_ISQ_E10value_typeET4_jRbjT5_SW_jjP12ihipStream_tbEUlT_E1_NS1_11comp_targetILNS1_3genE8ELNS1_11target_archE1030ELNS1_3gpuE2ELNS1_3repE0EEENS1_59segmented_radix_sort_warp_sort_small_config_static_selectorELNS0_4arch9wavefront6targetE0EEEvSK_
	.p2align	8
	.type	_ZN7rocprim17ROCPRIM_400000_NS6detail17trampoline_kernelINS0_14default_configENS1_36segmented_radix_sort_config_selectorIslEEZNS1_25segmented_radix_sort_implIS3_Lb1EPKsPsPKlPlN2at6native12_GLOBAL__N_18offset_tEEE10hipError_tPvRmT1_PNSt15iterator_traitsISK_E10value_typeET2_T3_PNSL_ISQ_E10value_typeET4_jRbjT5_SW_jjP12ihipStream_tbEUlT_E1_NS1_11comp_targetILNS1_3genE8ELNS1_11target_archE1030ELNS1_3gpuE2ELNS1_3repE0EEENS1_59segmented_radix_sort_warp_sort_small_config_static_selectorELNS0_4arch9wavefront6targetE0EEEvSK_,@function
_ZN7rocprim17ROCPRIM_400000_NS6detail17trampoline_kernelINS0_14default_configENS1_36segmented_radix_sort_config_selectorIslEEZNS1_25segmented_radix_sort_implIS3_Lb1EPKsPsPKlPlN2at6native12_GLOBAL__N_18offset_tEEE10hipError_tPvRmT1_PNSt15iterator_traitsISK_E10value_typeET2_T3_PNSL_ISQ_E10value_typeET4_jRbjT5_SW_jjP12ihipStream_tbEUlT_E1_NS1_11comp_targetILNS1_3genE8ELNS1_11target_archE1030ELNS1_3gpuE2ELNS1_3repE0EEENS1_59segmented_radix_sort_warp_sort_small_config_static_selectorELNS0_4arch9wavefront6targetE0EEEvSK_: ; @_ZN7rocprim17ROCPRIM_400000_NS6detail17trampoline_kernelINS0_14default_configENS1_36segmented_radix_sort_config_selectorIslEEZNS1_25segmented_radix_sort_implIS3_Lb1EPKsPsPKlPlN2at6native12_GLOBAL__N_18offset_tEEE10hipError_tPvRmT1_PNSt15iterator_traitsISK_E10value_typeET2_T3_PNSL_ISQ_E10value_typeET4_jRbjT5_SW_jjP12ihipStream_tbEUlT_E1_NS1_11comp_targetILNS1_3genE8ELNS1_11target_archE1030ELNS1_3gpuE2ELNS1_3repE0EEENS1_59segmented_radix_sort_warp_sort_small_config_static_selectorELNS0_4arch9wavefront6targetE0EEEvSK_
; %bb.0:
	.section	.rodata,"a",@progbits
	.p2align	6, 0x0
	.amdhsa_kernel _ZN7rocprim17ROCPRIM_400000_NS6detail17trampoline_kernelINS0_14default_configENS1_36segmented_radix_sort_config_selectorIslEEZNS1_25segmented_radix_sort_implIS3_Lb1EPKsPsPKlPlN2at6native12_GLOBAL__N_18offset_tEEE10hipError_tPvRmT1_PNSt15iterator_traitsISK_E10value_typeET2_T3_PNSL_ISQ_E10value_typeET4_jRbjT5_SW_jjP12ihipStream_tbEUlT_E1_NS1_11comp_targetILNS1_3genE8ELNS1_11target_archE1030ELNS1_3gpuE2ELNS1_3repE0EEENS1_59segmented_radix_sort_warp_sort_small_config_static_selectorELNS0_4arch9wavefront6targetE0EEEvSK_
		.amdhsa_group_segment_fixed_size 0
		.amdhsa_private_segment_fixed_size 0
		.amdhsa_kernarg_size 88
		.amdhsa_user_sgpr_count 2
		.amdhsa_user_sgpr_dispatch_ptr 0
		.amdhsa_user_sgpr_queue_ptr 0
		.amdhsa_user_sgpr_kernarg_segment_ptr 1
		.amdhsa_user_sgpr_dispatch_id 0
		.amdhsa_user_sgpr_kernarg_preload_length 0
		.amdhsa_user_sgpr_kernarg_preload_offset 0
		.amdhsa_user_sgpr_private_segment_size 0
		.amdhsa_wavefront_size32 1
		.amdhsa_uses_dynamic_stack 0
		.amdhsa_enable_private_segment 0
		.amdhsa_system_sgpr_workgroup_id_x 1
		.amdhsa_system_sgpr_workgroup_id_y 0
		.amdhsa_system_sgpr_workgroup_id_z 0
		.amdhsa_system_sgpr_workgroup_info 0
		.amdhsa_system_vgpr_workitem_id 0
		.amdhsa_next_free_vgpr 1
		.amdhsa_next_free_sgpr 1
		.amdhsa_named_barrier_count 0
		.amdhsa_reserve_vcc 0
		.amdhsa_float_round_mode_32 0
		.amdhsa_float_round_mode_16_64 0
		.amdhsa_float_denorm_mode_32 3
		.amdhsa_float_denorm_mode_16_64 3
		.amdhsa_fp16_overflow 0
		.amdhsa_memory_ordered 1
		.amdhsa_forward_progress 1
		.amdhsa_inst_pref_size 0
		.amdhsa_round_robin_scheduling 0
		.amdhsa_exception_fp_ieee_invalid_op 0
		.amdhsa_exception_fp_denorm_src 0
		.amdhsa_exception_fp_ieee_div_zero 0
		.amdhsa_exception_fp_ieee_overflow 0
		.amdhsa_exception_fp_ieee_underflow 0
		.amdhsa_exception_fp_ieee_inexact 0
		.amdhsa_exception_int_div_zero 0
	.end_amdhsa_kernel
	.section	.text._ZN7rocprim17ROCPRIM_400000_NS6detail17trampoline_kernelINS0_14default_configENS1_36segmented_radix_sort_config_selectorIslEEZNS1_25segmented_radix_sort_implIS3_Lb1EPKsPsPKlPlN2at6native12_GLOBAL__N_18offset_tEEE10hipError_tPvRmT1_PNSt15iterator_traitsISK_E10value_typeET2_T3_PNSL_ISQ_E10value_typeET4_jRbjT5_SW_jjP12ihipStream_tbEUlT_E1_NS1_11comp_targetILNS1_3genE8ELNS1_11target_archE1030ELNS1_3gpuE2ELNS1_3repE0EEENS1_59segmented_radix_sort_warp_sort_small_config_static_selectorELNS0_4arch9wavefront6targetE0EEEvSK_,"axG",@progbits,_ZN7rocprim17ROCPRIM_400000_NS6detail17trampoline_kernelINS0_14default_configENS1_36segmented_radix_sort_config_selectorIslEEZNS1_25segmented_radix_sort_implIS3_Lb1EPKsPsPKlPlN2at6native12_GLOBAL__N_18offset_tEEE10hipError_tPvRmT1_PNSt15iterator_traitsISK_E10value_typeET2_T3_PNSL_ISQ_E10value_typeET4_jRbjT5_SW_jjP12ihipStream_tbEUlT_E1_NS1_11comp_targetILNS1_3genE8ELNS1_11target_archE1030ELNS1_3gpuE2ELNS1_3repE0EEENS1_59segmented_radix_sort_warp_sort_small_config_static_selectorELNS0_4arch9wavefront6targetE0EEEvSK_,comdat
.Lfunc_end935:
	.size	_ZN7rocprim17ROCPRIM_400000_NS6detail17trampoline_kernelINS0_14default_configENS1_36segmented_radix_sort_config_selectorIslEEZNS1_25segmented_radix_sort_implIS3_Lb1EPKsPsPKlPlN2at6native12_GLOBAL__N_18offset_tEEE10hipError_tPvRmT1_PNSt15iterator_traitsISK_E10value_typeET2_T3_PNSL_ISQ_E10value_typeET4_jRbjT5_SW_jjP12ihipStream_tbEUlT_E1_NS1_11comp_targetILNS1_3genE8ELNS1_11target_archE1030ELNS1_3gpuE2ELNS1_3repE0EEENS1_59segmented_radix_sort_warp_sort_small_config_static_selectorELNS0_4arch9wavefront6targetE0EEEvSK_, .Lfunc_end935-_ZN7rocprim17ROCPRIM_400000_NS6detail17trampoline_kernelINS0_14default_configENS1_36segmented_radix_sort_config_selectorIslEEZNS1_25segmented_radix_sort_implIS3_Lb1EPKsPsPKlPlN2at6native12_GLOBAL__N_18offset_tEEE10hipError_tPvRmT1_PNSt15iterator_traitsISK_E10value_typeET2_T3_PNSL_ISQ_E10value_typeET4_jRbjT5_SW_jjP12ihipStream_tbEUlT_E1_NS1_11comp_targetILNS1_3genE8ELNS1_11target_archE1030ELNS1_3gpuE2ELNS1_3repE0EEENS1_59segmented_radix_sort_warp_sort_small_config_static_selectorELNS0_4arch9wavefront6targetE0EEEvSK_
                                        ; -- End function
	.set _ZN7rocprim17ROCPRIM_400000_NS6detail17trampoline_kernelINS0_14default_configENS1_36segmented_radix_sort_config_selectorIslEEZNS1_25segmented_radix_sort_implIS3_Lb1EPKsPsPKlPlN2at6native12_GLOBAL__N_18offset_tEEE10hipError_tPvRmT1_PNSt15iterator_traitsISK_E10value_typeET2_T3_PNSL_ISQ_E10value_typeET4_jRbjT5_SW_jjP12ihipStream_tbEUlT_E1_NS1_11comp_targetILNS1_3genE8ELNS1_11target_archE1030ELNS1_3gpuE2ELNS1_3repE0EEENS1_59segmented_radix_sort_warp_sort_small_config_static_selectorELNS0_4arch9wavefront6targetE0EEEvSK_.num_vgpr, 0
	.set _ZN7rocprim17ROCPRIM_400000_NS6detail17trampoline_kernelINS0_14default_configENS1_36segmented_radix_sort_config_selectorIslEEZNS1_25segmented_radix_sort_implIS3_Lb1EPKsPsPKlPlN2at6native12_GLOBAL__N_18offset_tEEE10hipError_tPvRmT1_PNSt15iterator_traitsISK_E10value_typeET2_T3_PNSL_ISQ_E10value_typeET4_jRbjT5_SW_jjP12ihipStream_tbEUlT_E1_NS1_11comp_targetILNS1_3genE8ELNS1_11target_archE1030ELNS1_3gpuE2ELNS1_3repE0EEENS1_59segmented_radix_sort_warp_sort_small_config_static_selectorELNS0_4arch9wavefront6targetE0EEEvSK_.num_agpr, 0
	.set _ZN7rocprim17ROCPRIM_400000_NS6detail17trampoline_kernelINS0_14default_configENS1_36segmented_radix_sort_config_selectorIslEEZNS1_25segmented_radix_sort_implIS3_Lb1EPKsPsPKlPlN2at6native12_GLOBAL__N_18offset_tEEE10hipError_tPvRmT1_PNSt15iterator_traitsISK_E10value_typeET2_T3_PNSL_ISQ_E10value_typeET4_jRbjT5_SW_jjP12ihipStream_tbEUlT_E1_NS1_11comp_targetILNS1_3genE8ELNS1_11target_archE1030ELNS1_3gpuE2ELNS1_3repE0EEENS1_59segmented_radix_sort_warp_sort_small_config_static_selectorELNS0_4arch9wavefront6targetE0EEEvSK_.numbered_sgpr, 0
	.set _ZN7rocprim17ROCPRIM_400000_NS6detail17trampoline_kernelINS0_14default_configENS1_36segmented_radix_sort_config_selectorIslEEZNS1_25segmented_radix_sort_implIS3_Lb1EPKsPsPKlPlN2at6native12_GLOBAL__N_18offset_tEEE10hipError_tPvRmT1_PNSt15iterator_traitsISK_E10value_typeET2_T3_PNSL_ISQ_E10value_typeET4_jRbjT5_SW_jjP12ihipStream_tbEUlT_E1_NS1_11comp_targetILNS1_3genE8ELNS1_11target_archE1030ELNS1_3gpuE2ELNS1_3repE0EEENS1_59segmented_radix_sort_warp_sort_small_config_static_selectorELNS0_4arch9wavefront6targetE0EEEvSK_.num_named_barrier, 0
	.set _ZN7rocprim17ROCPRIM_400000_NS6detail17trampoline_kernelINS0_14default_configENS1_36segmented_radix_sort_config_selectorIslEEZNS1_25segmented_radix_sort_implIS3_Lb1EPKsPsPKlPlN2at6native12_GLOBAL__N_18offset_tEEE10hipError_tPvRmT1_PNSt15iterator_traitsISK_E10value_typeET2_T3_PNSL_ISQ_E10value_typeET4_jRbjT5_SW_jjP12ihipStream_tbEUlT_E1_NS1_11comp_targetILNS1_3genE8ELNS1_11target_archE1030ELNS1_3gpuE2ELNS1_3repE0EEENS1_59segmented_radix_sort_warp_sort_small_config_static_selectorELNS0_4arch9wavefront6targetE0EEEvSK_.private_seg_size, 0
	.set _ZN7rocprim17ROCPRIM_400000_NS6detail17trampoline_kernelINS0_14default_configENS1_36segmented_radix_sort_config_selectorIslEEZNS1_25segmented_radix_sort_implIS3_Lb1EPKsPsPKlPlN2at6native12_GLOBAL__N_18offset_tEEE10hipError_tPvRmT1_PNSt15iterator_traitsISK_E10value_typeET2_T3_PNSL_ISQ_E10value_typeET4_jRbjT5_SW_jjP12ihipStream_tbEUlT_E1_NS1_11comp_targetILNS1_3genE8ELNS1_11target_archE1030ELNS1_3gpuE2ELNS1_3repE0EEENS1_59segmented_radix_sort_warp_sort_small_config_static_selectorELNS0_4arch9wavefront6targetE0EEEvSK_.uses_vcc, 0
	.set _ZN7rocprim17ROCPRIM_400000_NS6detail17trampoline_kernelINS0_14default_configENS1_36segmented_radix_sort_config_selectorIslEEZNS1_25segmented_radix_sort_implIS3_Lb1EPKsPsPKlPlN2at6native12_GLOBAL__N_18offset_tEEE10hipError_tPvRmT1_PNSt15iterator_traitsISK_E10value_typeET2_T3_PNSL_ISQ_E10value_typeET4_jRbjT5_SW_jjP12ihipStream_tbEUlT_E1_NS1_11comp_targetILNS1_3genE8ELNS1_11target_archE1030ELNS1_3gpuE2ELNS1_3repE0EEENS1_59segmented_radix_sort_warp_sort_small_config_static_selectorELNS0_4arch9wavefront6targetE0EEEvSK_.uses_flat_scratch, 0
	.set _ZN7rocprim17ROCPRIM_400000_NS6detail17trampoline_kernelINS0_14default_configENS1_36segmented_radix_sort_config_selectorIslEEZNS1_25segmented_radix_sort_implIS3_Lb1EPKsPsPKlPlN2at6native12_GLOBAL__N_18offset_tEEE10hipError_tPvRmT1_PNSt15iterator_traitsISK_E10value_typeET2_T3_PNSL_ISQ_E10value_typeET4_jRbjT5_SW_jjP12ihipStream_tbEUlT_E1_NS1_11comp_targetILNS1_3genE8ELNS1_11target_archE1030ELNS1_3gpuE2ELNS1_3repE0EEENS1_59segmented_radix_sort_warp_sort_small_config_static_selectorELNS0_4arch9wavefront6targetE0EEEvSK_.has_dyn_sized_stack, 0
	.set _ZN7rocprim17ROCPRIM_400000_NS6detail17trampoline_kernelINS0_14default_configENS1_36segmented_radix_sort_config_selectorIslEEZNS1_25segmented_radix_sort_implIS3_Lb1EPKsPsPKlPlN2at6native12_GLOBAL__N_18offset_tEEE10hipError_tPvRmT1_PNSt15iterator_traitsISK_E10value_typeET2_T3_PNSL_ISQ_E10value_typeET4_jRbjT5_SW_jjP12ihipStream_tbEUlT_E1_NS1_11comp_targetILNS1_3genE8ELNS1_11target_archE1030ELNS1_3gpuE2ELNS1_3repE0EEENS1_59segmented_radix_sort_warp_sort_small_config_static_selectorELNS0_4arch9wavefront6targetE0EEEvSK_.has_recursion, 0
	.set _ZN7rocprim17ROCPRIM_400000_NS6detail17trampoline_kernelINS0_14default_configENS1_36segmented_radix_sort_config_selectorIslEEZNS1_25segmented_radix_sort_implIS3_Lb1EPKsPsPKlPlN2at6native12_GLOBAL__N_18offset_tEEE10hipError_tPvRmT1_PNSt15iterator_traitsISK_E10value_typeET2_T3_PNSL_ISQ_E10value_typeET4_jRbjT5_SW_jjP12ihipStream_tbEUlT_E1_NS1_11comp_targetILNS1_3genE8ELNS1_11target_archE1030ELNS1_3gpuE2ELNS1_3repE0EEENS1_59segmented_radix_sort_warp_sort_small_config_static_selectorELNS0_4arch9wavefront6targetE0EEEvSK_.has_indirect_call, 0
	.section	.AMDGPU.csdata,"",@progbits
; Kernel info:
; codeLenInByte = 0
; TotalNumSgprs: 0
; NumVgprs: 0
; ScratchSize: 0
; MemoryBound: 0
; FloatMode: 240
; IeeeMode: 1
; LDSByteSize: 0 bytes/workgroup (compile time only)
; SGPRBlocks: 0
; VGPRBlocks: 0
; NumSGPRsForWavesPerEU: 1
; NumVGPRsForWavesPerEU: 1
; NamedBarCnt: 0
; Occupancy: 16
; WaveLimiterHint : 0
; COMPUTE_PGM_RSRC2:SCRATCH_EN: 0
; COMPUTE_PGM_RSRC2:USER_SGPR: 2
; COMPUTE_PGM_RSRC2:TRAP_HANDLER: 0
; COMPUTE_PGM_RSRC2:TGID_X_EN: 1
; COMPUTE_PGM_RSRC2:TGID_Y_EN: 0
; COMPUTE_PGM_RSRC2:TGID_Z_EN: 0
; COMPUTE_PGM_RSRC2:TIDIG_COMP_CNT: 0
	.section	.text._ZN7rocprim17ROCPRIM_400000_NS6detail17trampoline_kernelINS0_14default_configENS1_36segmented_radix_sort_config_selectorIslEEZNS1_25segmented_radix_sort_implIS3_Lb1EPKsPsPKlPlN2at6native12_GLOBAL__N_18offset_tEEE10hipError_tPvRmT1_PNSt15iterator_traitsISK_E10value_typeET2_T3_PNSL_ISQ_E10value_typeET4_jRbjT5_SW_jjP12ihipStream_tbEUlT_E2_NS1_11comp_targetILNS1_3genE0ELNS1_11target_archE4294967295ELNS1_3gpuE0ELNS1_3repE0EEENS1_30default_config_static_selectorELNS0_4arch9wavefront6targetE0EEEvSK_,"axG",@progbits,_ZN7rocprim17ROCPRIM_400000_NS6detail17trampoline_kernelINS0_14default_configENS1_36segmented_radix_sort_config_selectorIslEEZNS1_25segmented_radix_sort_implIS3_Lb1EPKsPsPKlPlN2at6native12_GLOBAL__N_18offset_tEEE10hipError_tPvRmT1_PNSt15iterator_traitsISK_E10value_typeET2_T3_PNSL_ISQ_E10value_typeET4_jRbjT5_SW_jjP12ihipStream_tbEUlT_E2_NS1_11comp_targetILNS1_3genE0ELNS1_11target_archE4294967295ELNS1_3gpuE0ELNS1_3repE0EEENS1_30default_config_static_selectorELNS0_4arch9wavefront6targetE0EEEvSK_,comdat
	.globl	_ZN7rocprim17ROCPRIM_400000_NS6detail17trampoline_kernelINS0_14default_configENS1_36segmented_radix_sort_config_selectorIslEEZNS1_25segmented_radix_sort_implIS3_Lb1EPKsPsPKlPlN2at6native12_GLOBAL__N_18offset_tEEE10hipError_tPvRmT1_PNSt15iterator_traitsISK_E10value_typeET2_T3_PNSL_ISQ_E10value_typeET4_jRbjT5_SW_jjP12ihipStream_tbEUlT_E2_NS1_11comp_targetILNS1_3genE0ELNS1_11target_archE4294967295ELNS1_3gpuE0ELNS1_3repE0EEENS1_30default_config_static_selectorELNS0_4arch9wavefront6targetE0EEEvSK_ ; -- Begin function _ZN7rocprim17ROCPRIM_400000_NS6detail17trampoline_kernelINS0_14default_configENS1_36segmented_radix_sort_config_selectorIslEEZNS1_25segmented_radix_sort_implIS3_Lb1EPKsPsPKlPlN2at6native12_GLOBAL__N_18offset_tEEE10hipError_tPvRmT1_PNSt15iterator_traitsISK_E10value_typeET2_T3_PNSL_ISQ_E10value_typeET4_jRbjT5_SW_jjP12ihipStream_tbEUlT_E2_NS1_11comp_targetILNS1_3genE0ELNS1_11target_archE4294967295ELNS1_3gpuE0ELNS1_3repE0EEENS1_30default_config_static_selectorELNS0_4arch9wavefront6targetE0EEEvSK_
	.p2align	8
	.type	_ZN7rocprim17ROCPRIM_400000_NS6detail17trampoline_kernelINS0_14default_configENS1_36segmented_radix_sort_config_selectorIslEEZNS1_25segmented_radix_sort_implIS3_Lb1EPKsPsPKlPlN2at6native12_GLOBAL__N_18offset_tEEE10hipError_tPvRmT1_PNSt15iterator_traitsISK_E10value_typeET2_T3_PNSL_ISQ_E10value_typeET4_jRbjT5_SW_jjP12ihipStream_tbEUlT_E2_NS1_11comp_targetILNS1_3genE0ELNS1_11target_archE4294967295ELNS1_3gpuE0ELNS1_3repE0EEENS1_30default_config_static_selectorELNS0_4arch9wavefront6targetE0EEEvSK_,@function
_ZN7rocprim17ROCPRIM_400000_NS6detail17trampoline_kernelINS0_14default_configENS1_36segmented_radix_sort_config_selectorIslEEZNS1_25segmented_radix_sort_implIS3_Lb1EPKsPsPKlPlN2at6native12_GLOBAL__N_18offset_tEEE10hipError_tPvRmT1_PNSt15iterator_traitsISK_E10value_typeET2_T3_PNSL_ISQ_E10value_typeET4_jRbjT5_SW_jjP12ihipStream_tbEUlT_E2_NS1_11comp_targetILNS1_3genE0ELNS1_11target_archE4294967295ELNS1_3gpuE0ELNS1_3repE0EEENS1_30default_config_static_selectorELNS0_4arch9wavefront6targetE0EEEvSK_: ; @_ZN7rocprim17ROCPRIM_400000_NS6detail17trampoline_kernelINS0_14default_configENS1_36segmented_radix_sort_config_selectorIslEEZNS1_25segmented_radix_sort_implIS3_Lb1EPKsPsPKlPlN2at6native12_GLOBAL__N_18offset_tEEE10hipError_tPvRmT1_PNSt15iterator_traitsISK_E10value_typeET2_T3_PNSL_ISQ_E10value_typeET4_jRbjT5_SW_jjP12ihipStream_tbEUlT_E2_NS1_11comp_targetILNS1_3genE0ELNS1_11target_archE4294967295ELNS1_3gpuE0ELNS1_3repE0EEENS1_30default_config_static_selectorELNS0_4arch9wavefront6targetE0EEEvSK_
; %bb.0:
	s_load_b128 s[4:7], s[2:3], 0x34
	s_bfe_u32 s8, ttmp6, 0x4000c
	s_and_b32 s9, ttmp6, 15
	s_add_co_i32 s8, s8, 1
	s_getreg_b32 s25, hwreg(HW_REG_IB_STS2, 6, 4)
	s_mul_i32 s8, ttmp9, s8
	s_mov_b32 s32, 0
	s_add_co_i32 s9, s9, s8
	s_cmp_eq_u32 s25, 0
	s_cselect_b32 s51, ttmp9, s9
	s_wait_kmcnt 0x0
	s_add_co_i32 s54, s7, s51
	s_add_co_i32 s55, s5, s51
	s_mul_i32 s54, s54, s6
	s_mul_i32 s55, s55, s4
	s_delay_alu instid0(SALU_CYCLE_1)
	s_cmp_le_u32 s54, s55
	s_cbranch_scc1 .LBB936_1262
; %bb.1:
	s_clause 0x3
	s_load_b32 s4, s[2:3], 0x30
	s_load_b128 s[44:47], s[2:3], 0x20
	s_load_b96 s[48:50], s[2:3], 0x44
	s_load_b256 s[36:43], s[2:3], 0x0
	s_wait_kmcnt 0x0
	s_bitcmp1_b32 s4, 0
	s_mov_b32 s4, -1
	s_cselect_b32 s56, -1, 0
	s_sub_co_i32 s57, s54, s55
	s_delay_alu instid0(SALU_CYCLE_1)
	s_cmp_lt_u32 s57, 0x1101
	s_cbranch_scc0 .LBB936_15
; %bb.2:
	s_cmp_lt_u32 s57, 0x81
	s_cbranch_scc0 .LBB936_9
; %bb.3:
	s_load_b32 s4, s[2:3], 0x5c
	v_bfe_u32 v1, v0, 10, 10
	v_bfe_u32 v2, v0, 20, 10
	s_mov_b32 s15, exec_lo
	s_wait_kmcnt 0x0
	s_lshr_b32 s5, s4, 16
	s_and_b32 s4, s4, 0xffff
	v_mad_u32_u24 v1, v2, s5, v1
	v_and_b32_e32 v2, 0x3ff, v0
	s_delay_alu instid0(VALU_DEP_1) | instskip(NEXT) | instid1(VALU_DEP_1)
	v_mad_u32 v1, v1, s4, v2
	v_cmpx_gt_u32_e32 32, v1
	s_cbranch_execz .LBB936_8
; %bb.4:
	v_cndmask_b32_e64 v1, 0, 1, s56
	s_and_b32 s4, s48, 1
	s_get_pc_i64 s[16:17]
	s_add_nc_u64 s[16:17], s[16:17], _ZN7rocprim17ROCPRIM_400000_NS6detail26segmented_warp_sort_helperINS1_20WarpSortHelperConfigILj32ELj4ELj256EEEslLi256ELb1EvE4sortIPKsPsPKlPlEEvT_T0_T1_T2_jjjjRNS5_12storage_typeE@rel64+4
	s_delay_alu instid0(VALU_DEP_1)
	v_cmp_ne_u32_e32 vcc_lo, s4, v1
	s_mov_b32 s4, -1
	s_cbranch_vccnz .LBB936_6
; %bb.5:
	s_mov_b64 s[4:5], src_shared_base
	v_dual_mov_b32 v31, v0 :: v_dual_mov_b32 v40, v0
	v_dual_mov_b32 v0, s36 :: v_dual_mov_b32 v1, s37
	;; [unrolled: 1-line block ×8, first 2 shown]
	s_add_nc_u64 s[8:9], s[2:3], 0x50
	s_mov_b64 s[6:7], s[0:1]
	s_mov_b64 s[18:19], s[2:3]
	;; [unrolled: 1-line block ×3, first 2 shown]
	s_swap_pc_i64 s[30:31], s[16:17]
	v_mov_b32_e32 v0, v40
	s_mov_b64 s[0:1], s[20:21]
	s_mov_b64 s[2:3], s[18:19]
	s_mov_b32 s4, 0
.LBB936_6:
	s_delay_alu instid0(SALU_CYCLE_1)
	s_and_not1_b32 vcc_lo, exec_lo, s4
	s_cbranch_vccnz .LBB936_8
; %bb.7:
	s_mov_b64 s[4:5], src_shared_base
	v_dual_mov_b32 v31, v0 :: v_dual_mov_b32 v40, v0
	v_dual_mov_b32 v0, s36 :: v_dual_mov_b32 v1, s37
	;; [unrolled: 1-line block ×8, first 2 shown]
	s_add_nc_u64 s[8:9], s[2:3], 0x50
	s_mov_b64 s[6:7], s[0:1]
	s_mov_b64 s[18:19], s[2:3]
	;; [unrolled: 1-line block ×3, first 2 shown]
	s_swap_pc_i64 s[30:31], s[16:17]
	v_mov_b32_e32 v0, v40
	s_mov_b64 s[0:1], s[20:21]
	s_mov_b64 s[2:3], s[18:19]
.LBB936_8:
	s_or_b32 exec_lo, exec_lo, s15
	s_mov_b32 s4, 0
.LBB936_9:
	s_delay_alu instid0(SALU_CYCLE_1)
	s_and_not1_b32 vcc_lo, exec_lo, s4
	s_cbranch_vccnz .LBB936_14
; %bb.10:
	v_cndmask_b32_e64 v1, 0, 1, s56
	s_and_b32 s4, s48, 1
	s_get_pc_i64 s[26:27]
	s_add_nc_u64 s[26:27], s[26:27], _ZN7rocprim17ROCPRIM_400000_NS6detail40segmented_radix_sort_single_block_helperIslLj256ELj17ELb1EE4sortIPKsPsPKlPlEEbT_T0_T1_T2_jjjjRNS3_12storage_typeE@rel64+4
	s_delay_alu instid0(VALU_DEP_1)
	v_cmp_ne_u32_e32 vcc_lo, s4, v1
	s_mov_b32 s4, -1
	s_cbranch_vccnz .LBB936_12
; %bb.11:
	s_mov_b64 s[4:5], src_shared_base
	v_dual_mov_b32 v31, v0 :: v_dual_mov_b32 v40, v0
	v_dual_mov_b32 v0, s36 :: v_dual_mov_b32 v1, s37
	;; [unrolled: 1-line block ×8, first 2 shown]
	s_add_nc_u64 s[8:9], s[2:3], 0x50
	s_mov_b64 s[6:7], s[0:1]
	s_mov_b64 s[28:29], s[2:3]
	;; [unrolled: 1-line block ×3, first 2 shown]
	s_swap_pc_i64 s[30:31], s[26:27]
	v_mov_b32_e32 v0, v40
	s_mov_b64 s[0:1], s[34:35]
	s_mov_b64 s[2:3], s[28:29]
	s_mov_b32 s4, 0
.LBB936_12:
	s_delay_alu instid0(SALU_CYCLE_1)
	s_and_not1_b32 vcc_lo, exec_lo, s4
	s_cbranch_vccnz .LBB936_14
; %bb.13:
	s_mov_b64 s[4:5], src_shared_base
	v_dual_mov_b32 v31, v0 :: v_dual_mov_b32 v40, v0
	v_dual_mov_b32 v0, s36 :: v_dual_mov_b32 v1, s37
	;; [unrolled: 1-line block ×8, first 2 shown]
	s_add_nc_u64 s[8:9], s[2:3], 0x50
	s_mov_b64 s[6:7], s[0:1]
	s_mov_b64 s[28:29], s[2:3]
	s_swap_pc_i64 s[30:31], s[26:27]
	v_mov_b32_e32 v0, v40
	s_mov_b64 s[2:3], s[28:29]
.LBB936_14:
	s_mov_b32 s4, 0
.LBB936_15:
	s_delay_alu instid0(SALU_CYCLE_1)
	s_and_not1_b32 vcc_lo, exec_lo, s4
	s_cbranch_vccnz .LBB936_1262
; %bb.16:
	s_cmp_ge_u32 s49, s50
	s_cbranch_scc1 .LBB936_1262
; %bb.17:
	v_and_b32_e32 v2, 0x3ff, v0
	v_and_b32_e32 v8, 0xe0, v0
	v_dual_mov_b32 v5, 0 :: v_dual_bitop2_b32 v1, 3, v0 bitop3:0x40
	v_bfe_u32 v88, v0, 20, 10
	s_delay_alu instid0(VALU_DEP_4) | instskip(NEXT) | instid1(VALU_DEP_4)
	v_dual_lshlrev_b32 v3, 2, v2 :: v_dual_lshlrev_b32 v4, 1, v2
	v_min_u32_e32 v9, 0x60, v8
	v_lshrrev_b32_e32 v10, 3, v0
	v_mul_u32_u24_e32 v22, 17, v8
	s_delay_alu instid0(VALU_DEP_4) | instskip(SKIP_3) | instid1(VALU_DEP_4)
	v_mad_u32_u24 v84, v2, 12, v3
	v_lshlrev_b32_e32 v83, 2, v1
	v_or_b32_e32 v9, 31, v9
	v_and_b32_e32 v82, 28, v10
	v_dual_add_nc_u32 v89, v84, v3 :: v_dual_bitop2_b32 v1, 31, v8 bitop3:0x54
	v_lshlrev_b32_e32 v8, 4, v2
	v_bfe_u32 v90, v0, 10, 10
	v_add_nc_u32_e32 v0, 1, v2
	v_mbcnt_lo_u32_b32 v96, -1, 0
	s_bfe_u32 s6, ttmp6, 0x40010
	v_dual_sub_nc_u32 v91, v89, v8 :: v_dual_lshlrev_b32 v18, 3, v22
	v_dual_mov_b32 v19, v5 :: v_dual_add_nc_u32 v86, 0x8a00, v3
	v_dual_mov_b32 v21, v5 :: v_dual_lshlrev_b32 v20, 1, v22
	s_add_co_i32 s6, s6, 1
	s_delay_alu instid0(VALU_DEP_3)
	v_lshl_add_u32 v92, v2, 5, v91
	v_dual_lshlrev_b32 v22, 1, v96 :: v_dual_bitop2_b32 v102, v96, v22 bitop3:0x54
	s_mul_i32 s6, ttmp7, s6
	s_bfe_u32 s7, ttmp6, 0x40004
	v_add_nc_u64_e32 v[6:7], s[40:41], v[4:5]
	v_cmp_eq_u32_e64 s1, v2, v9
	s_add_nc_u64 s[52:53], s[2:3], 0x50
	s_add_co_i32 s9, s7, s6
	v_cmp_eq_u32_e64 s2, v2, v1
	v_mul_u32_u24_e32 v93, 36, v0
	v_cmp_ne_u32_e64 s7, 0x80, v0
	v_add_nc_u64_e32 v[0:1], s[46:47], v[18:19]
	v_add_nc_u64_e32 v[8:9], s[40:41], v[20:21]
	;; [unrolled: 1-line block ×8, first 2 shown]
	v_or_b32_e32 v66, 0x100, v2
	v_or_b32_e32 v67, 0x200, v2
	;; [unrolled: 1-line block ×16, first 2 shown]
	v_cmp_gt_u32_e64 s0, 0x80, v2
	v_or_b32_e32 v85, 0x8a00, v82
	v_cmp_gt_u32_e64 s4, 4, v2
	v_cmp_lt_u32_e64 s5, 31, v2
	v_add_nc_u32_e32 v87, 0x89fc, v82
	v_cmp_gt_u32_e64 s3, 8, v2
	v_cmp_eq_u32_e64 s6, 0, v2
	v_mad_i32_i24 v94, 0xffffffde, v2, v92
	v_mul_u32_u24_e32 v95, 6, v2
	v_dual_mov_b32 v97, 1 :: v_dual_bitop2_b32 v98, 15, v96 bitop3:0x40
	v_bfe_i32 v99, v96, 4, 1
	v_dual_lshlrev_b32 v4, 3, v96 :: v_dual_bitop2_b32 v100, 16, v96 bitop3:0x40
	v_dual_add_nc_u32 v105, 32, v102 :: v_dual_bitop2_b32 v101, 3, v96 bitop3:0x40
	v_sub_co_u32 v103, s8, v96, 1
	v_dual_add_nc_u32 v106, 64, v102 :: v_dual_bitop2_b32 v104, 7, v96 bitop3:0x40
	v_add_nc_u32_e32 v107, 0x60, v102
	v_add_nc_u32_e32 v108, 0x80, v102
	;; [unrolled: 1-line block ×14, first 2 shown]
	s_cmp_eq_u32 s25, 0
	s_mov_b32 s35, 0
	s_cselect_b32 s42, ttmp7, s9
	s_mov_b32 s43, s49
	s_branch .LBB936_20
.LBB936_18:                             ;   in Loop: Header=BB936_20 Depth=1
	s_wait_dscnt 0x0
	s_barrier_signal -1
	s_barrier_wait -1
.LBB936_19:                             ;   in Loop: Header=BB936_20 Depth=1
	s_add_co_i32 s43, s43, 7
	s_delay_alu instid0(SALU_CYCLE_1)
	s_cmp_ge_u32 s43, s50
	s_cbranch_scc1 .LBB936_1262
.LBB936_20:                             ; =>This Loop Header: Depth=1
                                        ;     Child Loop BB936_24 Depth 2
                                        ;     Child Loop BB936_108 Depth 2
	;; [unrolled: 1-line block ×8, first 2 shown]
	s_sub_co_i32 s9, s50, s43
	s_xor_b32 s56, s56, -1
	s_min_u32 s9, s9, 7
	ds_store_2addr_stride64_b32 v3, v5, v5 offset1:4
	s_lshl_b32 s9, -1, s9
	s_wait_storecnt_dscnt 0x0
	s_not_b32 s48, s9
	s_cmp_lg_u32 s43, s49
	s_mov_b32 s9, -1
	s_cbranch_scc0 .LBB936_642
; %bb.21:                               ;   in Loop: Header=BB936_20 Depth=1
	s_and_b32 vcc_lo, exec_lo, s56
	s_cbranch_vccz .LBB936_331
; %bb.22:                               ;   in Loop: Header=BB936_20 Depth=1
	s_mov_b32 s9, s57
	s_mov_b32 s34, s55
	s_barrier_signal -1
	s_barrier_wait -1
                                        ; implicit-def: $vgpr23
                                        ; implicit-def: $vgpr24
                                        ; implicit-def: $vgpr25
                                        ; implicit-def: $vgpr26
                                        ; implicit-def: $vgpr27
                                        ; implicit-def: $vgpr28
                                        ; implicit-def: $vgpr29
                                        ; implicit-def: $vgpr30
                                        ; implicit-def: $vgpr31
                                        ; implicit-def: $vgpr32
                                        ; implicit-def: $vgpr33
                                        ; implicit-def: $vgpr34
                                        ; implicit-def: $vgpr35
                                        ; implicit-def: $vgpr36
                                        ; implicit-def: $vgpr37
                                        ; implicit-def: $vgpr38
                                        ; implicit-def: $vgpr39
	s_branch .LBB936_24
.LBB936_23:                             ;   in Loop: Header=BB936_24 Depth=2
	s_or_b32 exec_lo, exec_lo, s10
	s_addk_co_i32 s9, 0xef00
	s_cmp_ge_u32 s12, s54
	s_mov_b32 s34, s12
	s_cbranch_scc1 .LBB936_96
.LBB936_24:                             ;   Parent Loop BB936_20 Depth=1
                                        ; =>  This Inner Loop Header: Depth=2
	s_add_co_i32 s12, s34, 0x1100
	s_mov_b32 s10, -1
	s_cmp_gt_u32 s12, s54
                                        ; implicit-def: $vgpr40
                                        ; implicit-def: $vgpr41
                                        ; implicit-def: $vgpr42
                                        ; implicit-def: $vgpr43
                                        ; implicit-def: $vgpr44
                                        ; implicit-def: $vgpr45
                                        ; implicit-def: $vgpr46
                                        ; implicit-def: $vgpr47
                                        ; implicit-def: $vgpr48
                                        ; implicit-def: $vgpr49
                                        ; implicit-def: $vgpr50
                                        ; implicit-def: $vgpr51
                                        ; implicit-def: $vgpr52
                                        ; implicit-def: $vgpr53
                                        ; implicit-def: $vgpr54
                                        ; implicit-def: $vgpr55
                                        ; implicit-def: $vgpr56
	s_cbranch_scc1 .LBB936_26
; %bb.25:                               ;   in Loop: Header=BB936_24 Depth=2
	v_lshl_add_u64 v[58:59], s[34:35], 1, v[6:7]
	s_mov_b32 s10, 0
	s_clause 0x10
	global_load_u16 v40, v[58:59], off
	global_load_u16 v41, v[58:59], off offset:512
	global_load_u16 v42, v[58:59], off offset:1024
	;; [unrolled: 1-line block ×16, first 2 shown]
.LBB936_26:                             ;   in Loop: Header=BB936_24 Depth=2
	s_and_not1_b32 vcc_lo, exec_lo, s10
	s_movk_i32 s10, 0x1100
	s_cbranch_vccnz .LBB936_46
; %bb.27:                               ;   in Loop: Header=BB936_24 Depth=2
	s_lshl_b64 s[10:11], s[34:35], 1
	s_mov_b32 s13, exec_lo
	s_add_nc_u64 s[10:11], s[40:41], s[10:11]
	s_wait_xcnt 0x0
	v_cmpx_gt_u32_e64 s9, v2
	s_cbranch_execnz .LBB936_80
; %bb.28:                               ;   in Loop: Header=BB936_24 Depth=2
	s_or_b32 exec_lo, exec_lo, s13
	s_delay_alu instid0(SALU_CYCLE_1)
	s_mov_b32 s13, exec_lo
	v_cmpx_gt_u32_e64 s9, v66
	s_cbranch_execnz .LBB936_81
.LBB936_29:                             ;   in Loop: Header=BB936_24 Depth=2
	s_or_b32 exec_lo, exec_lo, s13
	s_delay_alu instid0(SALU_CYCLE_1)
	s_mov_b32 s13, exec_lo
	v_cmpx_gt_u32_e64 s9, v67
	s_cbranch_execnz .LBB936_82
.LBB936_30:                             ;   in Loop: Header=BB936_24 Depth=2
	s_or_b32 exec_lo, exec_lo, s13
	s_delay_alu instid0(SALU_CYCLE_1)
	s_mov_b32 s13, exec_lo
	v_cmpx_gt_u32_e64 s9, v68
	s_cbranch_execnz .LBB936_83
.LBB936_31:                             ;   in Loop: Header=BB936_24 Depth=2
	s_or_b32 exec_lo, exec_lo, s13
	s_delay_alu instid0(SALU_CYCLE_1)
	s_mov_b32 s13, exec_lo
	v_cmpx_gt_u32_e64 s9, v69
	s_cbranch_execnz .LBB936_84
.LBB936_32:                             ;   in Loop: Header=BB936_24 Depth=2
	s_or_b32 exec_lo, exec_lo, s13
	s_delay_alu instid0(SALU_CYCLE_1)
	s_mov_b32 s13, exec_lo
	v_cmpx_gt_u32_e64 s9, v70
	s_cbranch_execnz .LBB936_85
.LBB936_33:                             ;   in Loop: Header=BB936_24 Depth=2
	s_or_b32 exec_lo, exec_lo, s13
	s_delay_alu instid0(SALU_CYCLE_1)
	s_mov_b32 s13, exec_lo
	v_cmpx_gt_u32_e64 s9, v71
	s_cbranch_execnz .LBB936_86
.LBB936_34:                             ;   in Loop: Header=BB936_24 Depth=2
	s_or_b32 exec_lo, exec_lo, s13
	s_delay_alu instid0(SALU_CYCLE_1)
	s_mov_b32 s13, exec_lo
	v_cmpx_gt_u32_e64 s9, v72
	s_cbranch_execnz .LBB936_87
.LBB936_35:                             ;   in Loop: Header=BB936_24 Depth=2
	s_or_b32 exec_lo, exec_lo, s13
	s_delay_alu instid0(SALU_CYCLE_1)
	s_mov_b32 s13, exec_lo
	v_cmpx_gt_u32_e64 s9, v73
	s_cbranch_execnz .LBB936_88
.LBB936_36:                             ;   in Loop: Header=BB936_24 Depth=2
	s_or_b32 exec_lo, exec_lo, s13
	s_delay_alu instid0(SALU_CYCLE_1)
	s_mov_b32 s13, exec_lo
	v_cmpx_gt_u32_e64 s9, v74
	s_cbranch_execnz .LBB936_89
.LBB936_37:                             ;   in Loop: Header=BB936_24 Depth=2
	s_or_b32 exec_lo, exec_lo, s13
	s_delay_alu instid0(SALU_CYCLE_1)
	s_mov_b32 s13, exec_lo
	v_cmpx_gt_u32_e64 s9, v75
	s_cbranch_execnz .LBB936_90
.LBB936_38:                             ;   in Loop: Header=BB936_24 Depth=2
	s_or_b32 exec_lo, exec_lo, s13
	s_delay_alu instid0(SALU_CYCLE_1)
	s_mov_b32 s13, exec_lo
	v_cmpx_gt_u32_e64 s9, v76
	s_cbranch_execnz .LBB936_91
.LBB936_39:                             ;   in Loop: Header=BB936_24 Depth=2
	s_or_b32 exec_lo, exec_lo, s13
	s_delay_alu instid0(SALU_CYCLE_1)
	s_mov_b32 s13, exec_lo
	v_cmpx_gt_u32_e64 s9, v77
	s_cbranch_execnz .LBB936_92
.LBB936_40:                             ;   in Loop: Header=BB936_24 Depth=2
	s_or_b32 exec_lo, exec_lo, s13
	s_delay_alu instid0(SALU_CYCLE_1)
	s_mov_b32 s13, exec_lo
	v_cmpx_gt_u32_e64 s9, v78
	s_cbranch_execnz .LBB936_93
.LBB936_41:                             ;   in Loop: Header=BB936_24 Depth=2
	s_or_b32 exec_lo, exec_lo, s13
	s_delay_alu instid0(SALU_CYCLE_1)
	s_mov_b32 s13, exec_lo
	v_cmpx_gt_u32_e64 s9, v79
	s_cbranch_execnz .LBB936_94
.LBB936_42:                             ;   in Loop: Header=BB936_24 Depth=2
	s_or_b32 exec_lo, exec_lo, s13
	s_delay_alu instid0(SALU_CYCLE_1)
	s_mov_b32 s13, exec_lo
	v_cmpx_gt_u32_e64 s9, v80
	s_cbranch_execnz .LBB936_95
.LBB936_43:                             ;   in Loop: Header=BB936_24 Depth=2
	s_or_b32 exec_lo, exec_lo, s13
	s_delay_alu instid0(SALU_CYCLE_1)
	s_mov_b32 s13, exec_lo
	v_cmpx_gt_u32_e64 s9, v81
	s_cbranch_execz .LBB936_45
.LBB936_44:                             ;   in Loop: Header=BB936_24 Depth=2
	global_load_u16 v23, v2, s[10:11] offset:8192 scale_offset
.LBB936_45:                             ;   in Loop: Header=BB936_24 Depth=2
	s_wait_xcnt 0x0
	s_or_b32 exec_lo, exec_lo, s13
	s_wait_loadcnt 0x0
	v_dual_mov_b32 v40, v39 :: v_dual_mov_b32 v41, v38
	v_dual_mov_b32 v42, v37 :: v_dual_mov_b32 v43, v36
	;; [unrolled: 1-line block ×8, first 2 shown]
	v_mov_b32_e32 v56, v23
	s_mov_b32 s10, s9
.LBB936_46:                             ;   in Loop: Header=BB936_24 Depth=2
	s_wait_loadcnt 0x0
	s_delay_alu instid0(VALU_DEP_1)
	v_dual_mov_b32 v23, v56 :: v_dual_mov_b32 v24, v55
	v_dual_mov_b32 v25, v54 :: v_dual_mov_b32 v26, v53
	;; [unrolled: 1-line block ×8, first 2 shown]
	v_mov_b32_e32 v39, v40
	s_mov_b32 s11, exec_lo
	s_wait_xcnt 0x0
	v_cmpx_gt_u32_e64 s10, v2
	s_cbranch_execnz .LBB936_63
; %bb.47:                               ;   in Loop: Header=BB936_24 Depth=2
	s_or_b32 exec_lo, exec_lo, s11
	s_delay_alu instid0(SALU_CYCLE_1)
	s_mov_b32 s11, exec_lo
	v_cmpx_gt_u32_e64 s10, v66
	s_cbranch_execnz .LBB936_64
.LBB936_48:                             ;   in Loop: Header=BB936_24 Depth=2
	s_or_b32 exec_lo, exec_lo, s11
	s_delay_alu instid0(SALU_CYCLE_1)
	s_mov_b32 s11, exec_lo
	v_cmpx_gt_u32_e64 s10, v67
	s_cbranch_execnz .LBB936_65
.LBB936_49:                             ;   in Loop: Header=BB936_24 Depth=2
	s_or_b32 exec_lo, exec_lo, s11
	s_delay_alu instid0(SALU_CYCLE_1)
	s_mov_b32 s11, exec_lo
	v_cmpx_gt_u32_e64 s10, v68
	s_cbranch_execnz .LBB936_66
.LBB936_50:                             ;   in Loop: Header=BB936_24 Depth=2
	s_or_b32 exec_lo, exec_lo, s11
	s_delay_alu instid0(SALU_CYCLE_1)
	s_mov_b32 s11, exec_lo
	v_cmpx_gt_u32_e64 s10, v69
	s_cbranch_execnz .LBB936_67
.LBB936_51:                             ;   in Loop: Header=BB936_24 Depth=2
	s_or_b32 exec_lo, exec_lo, s11
	s_delay_alu instid0(SALU_CYCLE_1)
	s_mov_b32 s11, exec_lo
	v_cmpx_gt_u32_e64 s10, v70
	s_cbranch_execnz .LBB936_68
.LBB936_52:                             ;   in Loop: Header=BB936_24 Depth=2
	s_or_b32 exec_lo, exec_lo, s11
	s_delay_alu instid0(SALU_CYCLE_1)
	s_mov_b32 s11, exec_lo
	v_cmpx_gt_u32_e64 s10, v71
	s_cbranch_execnz .LBB936_69
.LBB936_53:                             ;   in Loop: Header=BB936_24 Depth=2
	s_or_b32 exec_lo, exec_lo, s11
	s_delay_alu instid0(SALU_CYCLE_1)
	s_mov_b32 s11, exec_lo
	v_cmpx_gt_u32_e64 s10, v72
	s_cbranch_execnz .LBB936_70
.LBB936_54:                             ;   in Loop: Header=BB936_24 Depth=2
	s_or_b32 exec_lo, exec_lo, s11
	s_delay_alu instid0(SALU_CYCLE_1)
	s_mov_b32 s11, exec_lo
	v_cmpx_gt_u32_e64 s10, v73
	s_cbranch_execnz .LBB936_71
.LBB936_55:                             ;   in Loop: Header=BB936_24 Depth=2
	s_or_b32 exec_lo, exec_lo, s11
	s_delay_alu instid0(SALU_CYCLE_1)
	s_mov_b32 s11, exec_lo
	v_cmpx_gt_u32_e64 s10, v74
	s_cbranch_execnz .LBB936_72
.LBB936_56:                             ;   in Loop: Header=BB936_24 Depth=2
	s_or_b32 exec_lo, exec_lo, s11
	s_delay_alu instid0(SALU_CYCLE_1)
	s_mov_b32 s11, exec_lo
	v_cmpx_gt_u32_e64 s10, v75
	s_cbranch_execnz .LBB936_73
.LBB936_57:                             ;   in Loop: Header=BB936_24 Depth=2
	s_or_b32 exec_lo, exec_lo, s11
	s_delay_alu instid0(SALU_CYCLE_1)
	s_mov_b32 s11, exec_lo
	v_cmpx_gt_u32_e64 s10, v76
	s_cbranch_execnz .LBB936_74
.LBB936_58:                             ;   in Loop: Header=BB936_24 Depth=2
	s_or_b32 exec_lo, exec_lo, s11
	s_delay_alu instid0(SALU_CYCLE_1)
	s_mov_b32 s11, exec_lo
	v_cmpx_gt_u32_e64 s10, v77
	s_cbranch_execnz .LBB936_75
.LBB936_59:                             ;   in Loop: Header=BB936_24 Depth=2
	s_or_b32 exec_lo, exec_lo, s11
	s_delay_alu instid0(SALU_CYCLE_1)
	s_mov_b32 s11, exec_lo
	v_cmpx_gt_u32_e64 s10, v78
	s_cbranch_execnz .LBB936_76
.LBB936_60:                             ;   in Loop: Header=BB936_24 Depth=2
	s_or_b32 exec_lo, exec_lo, s11
	s_delay_alu instid0(SALU_CYCLE_1)
	s_mov_b32 s11, exec_lo
	v_cmpx_gt_u32_e64 s10, v79
	s_cbranch_execnz .LBB936_77
.LBB936_61:                             ;   in Loop: Header=BB936_24 Depth=2
	s_or_b32 exec_lo, exec_lo, s11
	s_delay_alu instid0(SALU_CYCLE_1)
	s_mov_b32 s11, exec_lo
	v_cmpx_gt_u32_e64 s10, v80
	s_cbranch_execnz .LBB936_78
.LBB936_62:                             ;   in Loop: Header=BB936_24 Depth=2
	s_or_b32 exec_lo, exec_lo, s11
	v_cmp_gt_u32_e32 vcc_lo, s10, v81
	s_and_saveexec_b32 s10, vcc_lo
	s_cbranch_execz .LBB936_23
	s_branch .LBB936_79
.LBB936_63:                             ;   in Loop: Header=BB936_24 Depth=2
	v_xor_b32_e32 v40, 0x7fff, v39
	s_delay_alu instid0(VALU_DEP_1) | instskip(NEXT) | instid1(VALU_DEP_1)
	v_and_b32_e32 v40, 0xffff, v40
	v_lshrrev_b32_e32 v40, s43, v40
	s_delay_alu instid0(VALU_DEP_1) | instskip(NEXT) | instid1(VALU_DEP_1)
	v_and_b32_e32 v40, s48, v40
	v_lshl_or_b32 v40, v40, 4, v83
	ds_add_u32 v40, v97
	s_or_b32 exec_lo, exec_lo, s11
	s_delay_alu instid0(SALU_CYCLE_1)
	s_mov_b32 s11, exec_lo
	v_cmpx_gt_u32_e64 s10, v66
	s_cbranch_execz .LBB936_48
.LBB936_64:                             ;   in Loop: Header=BB936_24 Depth=2
	v_xor_b32_e32 v40, 0x7fff, v38
	s_delay_alu instid0(VALU_DEP_1) | instskip(NEXT) | instid1(VALU_DEP_1)
	v_and_b32_e32 v40, 0xffff, v40
	v_lshrrev_b32_e32 v40, s43, v40
	s_delay_alu instid0(VALU_DEP_1) | instskip(NEXT) | instid1(VALU_DEP_1)
	v_and_b32_e32 v40, s48, v40
	v_lshl_or_b32 v40, v40, 4, v83
	ds_add_u32 v40, v97
	s_or_b32 exec_lo, exec_lo, s11
	s_delay_alu instid0(SALU_CYCLE_1)
	s_mov_b32 s11, exec_lo
	v_cmpx_gt_u32_e64 s10, v67
	s_cbranch_execz .LBB936_49
.LBB936_65:                             ;   in Loop: Header=BB936_24 Depth=2
	v_xor_b32_e32 v40, 0x7fff, v37
	s_delay_alu instid0(VALU_DEP_1) | instskip(NEXT) | instid1(VALU_DEP_1)
	v_and_b32_e32 v40, 0xffff, v40
	v_lshrrev_b32_e32 v40, s43, v40
	s_delay_alu instid0(VALU_DEP_1) | instskip(NEXT) | instid1(VALU_DEP_1)
	v_and_b32_e32 v40, s48, v40
	v_lshl_or_b32 v40, v40, 4, v83
	ds_add_u32 v40, v97
	s_or_b32 exec_lo, exec_lo, s11
	s_delay_alu instid0(SALU_CYCLE_1)
	s_mov_b32 s11, exec_lo
	v_cmpx_gt_u32_e64 s10, v68
	s_cbranch_execz .LBB936_50
.LBB936_66:                             ;   in Loop: Header=BB936_24 Depth=2
	v_xor_b32_e32 v40, 0x7fff, v36
	s_delay_alu instid0(VALU_DEP_1) | instskip(NEXT) | instid1(VALU_DEP_1)
	v_and_b32_e32 v40, 0xffff, v40
	v_lshrrev_b32_e32 v40, s43, v40
	s_delay_alu instid0(VALU_DEP_1) | instskip(NEXT) | instid1(VALU_DEP_1)
	v_and_b32_e32 v40, s48, v40
	v_lshl_or_b32 v40, v40, 4, v83
	ds_add_u32 v40, v97
	s_or_b32 exec_lo, exec_lo, s11
	s_delay_alu instid0(SALU_CYCLE_1)
	s_mov_b32 s11, exec_lo
	v_cmpx_gt_u32_e64 s10, v69
	s_cbranch_execz .LBB936_51
.LBB936_67:                             ;   in Loop: Header=BB936_24 Depth=2
	v_xor_b32_e32 v40, 0x7fff, v35
	s_delay_alu instid0(VALU_DEP_1) | instskip(NEXT) | instid1(VALU_DEP_1)
	v_and_b32_e32 v40, 0xffff, v40
	v_lshrrev_b32_e32 v40, s43, v40
	s_delay_alu instid0(VALU_DEP_1) | instskip(NEXT) | instid1(VALU_DEP_1)
	v_and_b32_e32 v40, s48, v40
	v_lshl_or_b32 v40, v40, 4, v83
	ds_add_u32 v40, v97
	s_or_b32 exec_lo, exec_lo, s11
	s_delay_alu instid0(SALU_CYCLE_1)
	s_mov_b32 s11, exec_lo
	v_cmpx_gt_u32_e64 s10, v70
	s_cbranch_execz .LBB936_52
.LBB936_68:                             ;   in Loop: Header=BB936_24 Depth=2
	v_xor_b32_e32 v40, 0x7fff, v34
	s_delay_alu instid0(VALU_DEP_1) | instskip(NEXT) | instid1(VALU_DEP_1)
	v_and_b32_e32 v40, 0xffff, v40
	v_lshrrev_b32_e32 v40, s43, v40
	s_delay_alu instid0(VALU_DEP_1) | instskip(NEXT) | instid1(VALU_DEP_1)
	v_and_b32_e32 v40, s48, v40
	v_lshl_or_b32 v40, v40, 4, v83
	ds_add_u32 v40, v97
	s_or_b32 exec_lo, exec_lo, s11
	s_delay_alu instid0(SALU_CYCLE_1)
	s_mov_b32 s11, exec_lo
	v_cmpx_gt_u32_e64 s10, v71
	s_cbranch_execz .LBB936_53
.LBB936_69:                             ;   in Loop: Header=BB936_24 Depth=2
	v_xor_b32_e32 v40, 0x7fff, v33
	s_delay_alu instid0(VALU_DEP_1) | instskip(NEXT) | instid1(VALU_DEP_1)
	v_and_b32_e32 v40, 0xffff, v40
	v_lshrrev_b32_e32 v40, s43, v40
	s_delay_alu instid0(VALU_DEP_1) | instskip(NEXT) | instid1(VALU_DEP_1)
	v_and_b32_e32 v40, s48, v40
	v_lshl_or_b32 v40, v40, 4, v83
	ds_add_u32 v40, v97
	s_or_b32 exec_lo, exec_lo, s11
	s_delay_alu instid0(SALU_CYCLE_1)
	s_mov_b32 s11, exec_lo
	v_cmpx_gt_u32_e64 s10, v72
	s_cbranch_execz .LBB936_54
.LBB936_70:                             ;   in Loop: Header=BB936_24 Depth=2
	v_xor_b32_e32 v40, 0x7fff, v32
	s_delay_alu instid0(VALU_DEP_1) | instskip(NEXT) | instid1(VALU_DEP_1)
	v_and_b32_e32 v40, 0xffff, v40
	v_lshrrev_b32_e32 v40, s43, v40
	s_delay_alu instid0(VALU_DEP_1) | instskip(NEXT) | instid1(VALU_DEP_1)
	v_and_b32_e32 v40, s48, v40
	v_lshl_or_b32 v40, v40, 4, v83
	ds_add_u32 v40, v97
	s_or_b32 exec_lo, exec_lo, s11
	s_delay_alu instid0(SALU_CYCLE_1)
	s_mov_b32 s11, exec_lo
	v_cmpx_gt_u32_e64 s10, v73
	s_cbranch_execz .LBB936_55
.LBB936_71:                             ;   in Loop: Header=BB936_24 Depth=2
	v_xor_b32_e32 v40, 0x7fff, v31
	s_delay_alu instid0(VALU_DEP_1) | instskip(NEXT) | instid1(VALU_DEP_1)
	v_and_b32_e32 v40, 0xffff, v40
	v_lshrrev_b32_e32 v40, s43, v40
	s_delay_alu instid0(VALU_DEP_1) | instskip(NEXT) | instid1(VALU_DEP_1)
	v_and_b32_e32 v40, s48, v40
	v_lshl_or_b32 v40, v40, 4, v83
	ds_add_u32 v40, v97
	s_or_b32 exec_lo, exec_lo, s11
	s_delay_alu instid0(SALU_CYCLE_1)
	s_mov_b32 s11, exec_lo
	v_cmpx_gt_u32_e64 s10, v74
	s_cbranch_execz .LBB936_56
.LBB936_72:                             ;   in Loop: Header=BB936_24 Depth=2
	v_xor_b32_e32 v40, 0x7fff, v30
	s_delay_alu instid0(VALU_DEP_1) | instskip(NEXT) | instid1(VALU_DEP_1)
	v_and_b32_e32 v40, 0xffff, v40
	v_lshrrev_b32_e32 v40, s43, v40
	s_delay_alu instid0(VALU_DEP_1) | instskip(NEXT) | instid1(VALU_DEP_1)
	v_and_b32_e32 v40, s48, v40
	v_lshl_or_b32 v40, v40, 4, v83
	ds_add_u32 v40, v97
	s_or_b32 exec_lo, exec_lo, s11
	s_delay_alu instid0(SALU_CYCLE_1)
	s_mov_b32 s11, exec_lo
	v_cmpx_gt_u32_e64 s10, v75
	s_cbranch_execz .LBB936_57
.LBB936_73:                             ;   in Loop: Header=BB936_24 Depth=2
	v_xor_b32_e32 v40, 0x7fff, v29
	s_delay_alu instid0(VALU_DEP_1) | instskip(NEXT) | instid1(VALU_DEP_1)
	v_and_b32_e32 v40, 0xffff, v40
	v_lshrrev_b32_e32 v40, s43, v40
	s_delay_alu instid0(VALU_DEP_1) | instskip(NEXT) | instid1(VALU_DEP_1)
	v_and_b32_e32 v40, s48, v40
	v_lshl_or_b32 v40, v40, 4, v83
	ds_add_u32 v40, v97
	s_or_b32 exec_lo, exec_lo, s11
	s_delay_alu instid0(SALU_CYCLE_1)
	s_mov_b32 s11, exec_lo
	v_cmpx_gt_u32_e64 s10, v76
	s_cbranch_execz .LBB936_58
.LBB936_74:                             ;   in Loop: Header=BB936_24 Depth=2
	v_xor_b32_e32 v40, 0x7fff, v28
	s_delay_alu instid0(VALU_DEP_1) | instskip(NEXT) | instid1(VALU_DEP_1)
	v_and_b32_e32 v40, 0xffff, v40
	v_lshrrev_b32_e32 v40, s43, v40
	s_delay_alu instid0(VALU_DEP_1) | instskip(NEXT) | instid1(VALU_DEP_1)
	v_and_b32_e32 v40, s48, v40
	v_lshl_or_b32 v40, v40, 4, v83
	ds_add_u32 v40, v97
	s_or_b32 exec_lo, exec_lo, s11
	s_delay_alu instid0(SALU_CYCLE_1)
	s_mov_b32 s11, exec_lo
	v_cmpx_gt_u32_e64 s10, v77
	s_cbranch_execz .LBB936_59
.LBB936_75:                             ;   in Loop: Header=BB936_24 Depth=2
	v_xor_b32_e32 v40, 0x7fff, v27
	s_delay_alu instid0(VALU_DEP_1) | instskip(NEXT) | instid1(VALU_DEP_1)
	v_and_b32_e32 v40, 0xffff, v40
	v_lshrrev_b32_e32 v40, s43, v40
	s_delay_alu instid0(VALU_DEP_1) | instskip(NEXT) | instid1(VALU_DEP_1)
	v_and_b32_e32 v40, s48, v40
	v_lshl_or_b32 v40, v40, 4, v83
	ds_add_u32 v40, v97
	s_or_b32 exec_lo, exec_lo, s11
	s_delay_alu instid0(SALU_CYCLE_1)
	s_mov_b32 s11, exec_lo
	v_cmpx_gt_u32_e64 s10, v78
	s_cbranch_execz .LBB936_60
.LBB936_76:                             ;   in Loop: Header=BB936_24 Depth=2
	v_xor_b32_e32 v40, 0x7fff, v26
	s_delay_alu instid0(VALU_DEP_1) | instskip(NEXT) | instid1(VALU_DEP_1)
	v_and_b32_e32 v40, 0xffff, v40
	v_lshrrev_b32_e32 v40, s43, v40
	s_delay_alu instid0(VALU_DEP_1) | instskip(NEXT) | instid1(VALU_DEP_1)
	v_and_b32_e32 v40, s48, v40
	v_lshl_or_b32 v40, v40, 4, v83
	ds_add_u32 v40, v97
	s_or_b32 exec_lo, exec_lo, s11
	s_delay_alu instid0(SALU_CYCLE_1)
	s_mov_b32 s11, exec_lo
	v_cmpx_gt_u32_e64 s10, v79
	s_cbranch_execz .LBB936_61
.LBB936_77:                             ;   in Loop: Header=BB936_24 Depth=2
	v_xor_b32_e32 v40, 0x7fff, v25
	s_delay_alu instid0(VALU_DEP_1) | instskip(NEXT) | instid1(VALU_DEP_1)
	v_and_b32_e32 v40, 0xffff, v40
	v_lshrrev_b32_e32 v40, s43, v40
	s_delay_alu instid0(VALU_DEP_1) | instskip(NEXT) | instid1(VALU_DEP_1)
	v_and_b32_e32 v40, s48, v40
	v_lshl_or_b32 v40, v40, 4, v83
	ds_add_u32 v40, v97
	s_or_b32 exec_lo, exec_lo, s11
	s_delay_alu instid0(SALU_CYCLE_1)
	s_mov_b32 s11, exec_lo
	v_cmpx_gt_u32_e64 s10, v80
	s_cbranch_execz .LBB936_62
.LBB936_78:                             ;   in Loop: Header=BB936_24 Depth=2
	v_xor_b32_e32 v40, 0x7fff, v24
	s_delay_alu instid0(VALU_DEP_1) | instskip(NEXT) | instid1(VALU_DEP_1)
	v_and_b32_e32 v40, 0xffff, v40
	v_lshrrev_b32_e32 v40, s43, v40
	s_delay_alu instid0(VALU_DEP_1) | instskip(NEXT) | instid1(VALU_DEP_1)
	v_and_b32_e32 v40, s48, v40
	v_lshl_or_b32 v40, v40, 4, v83
	ds_add_u32 v40, v97
	s_or_b32 exec_lo, exec_lo, s11
	v_cmp_gt_u32_e32 vcc_lo, s10, v81
	s_and_saveexec_b32 s10, vcc_lo
	s_cbranch_execz .LBB936_23
.LBB936_79:                             ;   in Loop: Header=BB936_24 Depth=2
	v_xor_b32_e32 v40, 0x7fff, v23
	s_delay_alu instid0(VALU_DEP_1) | instskip(NEXT) | instid1(VALU_DEP_1)
	v_and_b32_e32 v40, 0xffff, v40
	v_lshrrev_b32_e32 v40, s43, v40
	s_delay_alu instid0(VALU_DEP_1) | instskip(NEXT) | instid1(VALU_DEP_1)
	v_and_b32_e32 v40, s48, v40
	v_lshl_or_b32 v40, v40, 4, v83
	ds_add_u32 v40, v97
	s_branch .LBB936_23
.LBB936_80:                             ;   in Loop: Header=BB936_24 Depth=2
	global_load_u16 v39, v2, s[10:11] scale_offset
	s_wait_xcnt 0x0
	s_or_b32 exec_lo, exec_lo, s13
	s_delay_alu instid0(SALU_CYCLE_1)
	s_mov_b32 s13, exec_lo
	v_cmpx_gt_u32_e64 s9, v66
	s_cbranch_execz .LBB936_29
.LBB936_81:                             ;   in Loop: Header=BB936_24 Depth=2
	global_load_u16 v38, v2, s[10:11] offset:512 scale_offset
	s_wait_xcnt 0x0
	s_or_b32 exec_lo, exec_lo, s13
	s_delay_alu instid0(SALU_CYCLE_1)
	s_mov_b32 s13, exec_lo
	v_cmpx_gt_u32_e64 s9, v67
	s_cbranch_execz .LBB936_30
.LBB936_82:                             ;   in Loop: Header=BB936_24 Depth=2
	global_load_u16 v37, v2, s[10:11] offset:1024 scale_offset
	s_wait_xcnt 0x0
	s_or_b32 exec_lo, exec_lo, s13
	s_delay_alu instid0(SALU_CYCLE_1)
	s_mov_b32 s13, exec_lo
	v_cmpx_gt_u32_e64 s9, v68
	s_cbranch_execz .LBB936_31
.LBB936_83:                             ;   in Loop: Header=BB936_24 Depth=2
	global_load_u16 v36, v2, s[10:11] offset:1536 scale_offset
	s_wait_xcnt 0x0
	s_or_b32 exec_lo, exec_lo, s13
	s_delay_alu instid0(SALU_CYCLE_1)
	s_mov_b32 s13, exec_lo
	v_cmpx_gt_u32_e64 s9, v69
	s_cbranch_execz .LBB936_32
.LBB936_84:                             ;   in Loop: Header=BB936_24 Depth=2
	global_load_u16 v35, v2, s[10:11] offset:2048 scale_offset
	s_wait_xcnt 0x0
	s_or_b32 exec_lo, exec_lo, s13
	s_delay_alu instid0(SALU_CYCLE_1)
	s_mov_b32 s13, exec_lo
	v_cmpx_gt_u32_e64 s9, v70
	s_cbranch_execz .LBB936_33
.LBB936_85:                             ;   in Loop: Header=BB936_24 Depth=2
	global_load_u16 v34, v2, s[10:11] offset:2560 scale_offset
	s_wait_xcnt 0x0
	s_or_b32 exec_lo, exec_lo, s13
	s_delay_alu instid0(SALU_CYCLE_1)
	s_mov_b32 s13, exec_lo
	v_cmpx_gt_u32_e64 s9, v71
	s_cbranch_execz .LBB936_34
.LBB936_86:                             ;   in Loop: Header=BB936_24 Depth=2
	global_load_u16 v33, v2, s[10:11] offset:3072 scale_offset
	s_wait_xcnt 0x0
	s_or_b32 exec_lo, exec_lo, s13
	s_delay_alu instid0(SALU_CYCLE_1)
	s_mov_b32 s13, exec_lo
	v_cmpx_gt_u32_e64 s9, v72
	s_cbranch_execz .LBB936_35
.LBB936_87:                             ;   in Loop: Header=BB936_24 Depth=2
	global_load_u16 v32, v2, s[10:11] offset:3584 scale_offset
	s_wait_xcnt 0x0
	s_or_b32 exec_lo, exec_lo, s13
	s_delay_alu instid0(SALU_CYCLE_1)
	s_mov_b32 s13, exec_lo
	v_cmpx_gt_u32_e64 s9, v73
	s_cbranch_execz .LBB936_36
.LBB936_88:                             ;   in Loop: Header=BB936_24 Depth=2
	global_load_u16 v31, v2, s[10:11] offset:4096 scale_offset
	s_wait_xcnt 0x0
	s_or_b32 exec_lo, exec_lo, s13
	s_delay_alu instid0(SALU_CYCLE_1)
	s_mov_b32 s13, exec_lo
	v_cmpx_gt_u32_e64 s9, v74
	s_cbranch_execz .LBB936_37
.LBB936_89:                             ;   in Loop: Header=BB936_24 Depth=2
	global_load_u16 v30, v2, s[10:11] offset:4608 scale_offset
	s_wait_xcnt 0x0
	s_or_b32 exec_lo, exec_lo, s13
	s_delay_alu instid0(SALU_CYCLE_1)
	s_mov_b32 s13, exec_lo
	v_cmpx_gt_u32_e64 s9, v75
	s_cbranch_execz .LBB936_38
.LBB936_90:                             ;   in Loop: Header=BB936_24 Depth=2
	global_load_u16 v29, v2, s[10:11] offset:5120 scale_offset
	s_wait_xcnt 0x0
	s_or_b32 exec_lo, exec_lo, s13
	s_delay_alu instid0(SALU_CYCLE_1)
	s_mov_b32 s13, exec_lo
	v_cmpx_gt_u32_e64 s9, v76
	s_cbranch_execz .LBB936_39
.LBB936_91:                             ;   in Loop: Header=BB936_24 Depth=2
	global_load_u16 v28, v2, s[10:11] offset:5632 scale_offset
	s_wait_xcnt 0x0
	s_or_b32 exec_lo, exec_lo, s13
	s_delay_alu instid0(SALU_CYCLE_1)
	s_mov_b32 s13, exec_lo
	v_cmpx_gt_u32_e64 s9, v77
	s_cbranch_execz .LBB936_40
.LBB936_92:                             ;   in Loop: Header=BB936_24 Depth=2
	global_load_u16 v27, v2, s[10:11] offset:6144 scale_offset
	s_wait_xcnt 0x0
	s_or_b32 exec_lo, exec_lo, s13
	s_delay_alu instid0(SALU_CYCLE_1)
	s_mov_b32 s13, exec_lo
	v_cmpx_gt_u32_e64 s9, v78
	s_cbranch_execz .LBB936_41
.LBB936_93:                             ;   in Loop: Header=BB936_24 Depth=2
	global_load_u16 v26, v2, s[10:11] offset:6656 scale_offset
	s_wait_xcnt 0x0
	s_or_b32 exec_lo, exec_lo, s13
	s_delay_alu instid0(SALU_CYCLE_1)
	s_mov_b32 s13, exec_lo
	v_cmpx_gt_u32_e64 s9, v79
	s_cbranch_execz .LBB936_42
.LBB936_94:                             ;   in Loop: Header=BB936_24 Depth=2
	global_load_u16 v25, v2, s[10:11] offset:7168 scale_offset
	s_wait_xcnt 0x0
	s_or_b32 exec_lo, exec_lo, s13
	s_delay_alu instid0(SALU_CYCLE_1)
	s_mov_b32 s13, exec_lo
	v_cmpx_gt_u32_e64 s9, v80
	s_cbranch_execz .LBB936_43
.LBB936_95:                             ;   in Loop: Header=BB936_24 Depth=2
	global_load_u16 v24, v2, s[10:11] offset:7680 scale_offset
	s_wait_xcnt 0x0
	s_or_b32 exec_lo, exec_lo, s13
	s_delay_alu instid0(SALU_CYCLE_1)
	s_mov_b32 s13, exec_lo
	v_cmpx_gt_u32_e64 s9, v81
	s_cbranch_execnz .LBB936_44
	s_branch .LBB936_45
.LBB936_96:                             ;   in Loop: Header=BB936_20 Depth=1
	v_mov_b32_e32 v23, 0
	s_wait_dscnt 0x0
	s_barrier_signal -1
	s_barrier_wait -1
	s_and_saveexec_b32 s9, s0
	s_cbranch_execz .LBB936_98
; %bb.97:                               ;   in Loop: Header=BB936_20 Depth=1
	ds_load_2addr_b64 v[24:27], v84 offset1:1
	s_wait_dscnt 0x0
	v_add_nc_u32_e32 v23, v25, v24
	s_delay_alu instid0(VALU_DEP_1)
	v_add3_u32 v23, v23, v26, v27
.LBB936_98:                             ;   in Loop: Header=BB936_20 Depth=1
	s_or_b32 exec_lo, exec_lo, s9
	s_delay_alu instid0(VALU_DEP_1)
	v_mov_b32_dpp v24, v23 row_shr:1 row_mask:0xf bank_mask:0xf
	v_cmp_eq_u32_e64 s9, 0, v98
	v_cmp_lt_u32_e64 s10, 1, v98
	v_cmp_lt_u32_e64 s11, 3, v98
	;; [unrolled: 1-line block ×3, first 2 shown]
	v_cmp_eq_u32_e64 s13, 0, v100
	v_cndmask_b32_e64 v24, v24, 0, s9
	s_delay_alu instid0(VALU_DEP_1) | instskip(NEXT) | instid1(VALU_DEP_1)
	v_add_nc_u32_e32 v23, v24, v23
	v_mov_b32_dpp v24, v23 row_shr:2 row_mask:0xf bank_mask:0xf
	s_delay_alu instid0(VALU_DEP_1) | instskip(NEXT) | instid1(VALU_DEP_1)
	v_cndmask_b32_e64 v24, 0, v24, s10
	v_add_nc_u32_e32 v23, v23, v24
	s_delay_alu instid0(VALU_DEP_1) | instskip(NEXT) | instid1(VALU_DEP_1)
	v_mov_b32_dpp v24, v23 row_shr:4 row_mask:0xf bank_mask:0xf
	v_cndmask_b32_e64 v24, 0, v24, s11
	s_delay_alu instid0(VALU_DEP_1) | instskip(NEXT) | instid1(VALU_DEP_1)
	v_add_nc_u32_e32 v23, v23, v24
	v_mov_b32_dpp v24, v23 row_shr:8 row_mask:0xf bank_mask:0xf
	s_delay_alu instid0(VALU_DEP_1) | instskip(NEXT) | instid1(VALU_DEP_1)
	v_cndmask_b32_e64 v24, 0, v24, s12
	v_add_nc_u32_e32 v23, v23, v24
	ds_swizzle_b32 v24, v23 offset:swizzle(BROADCAST,32,15)
	s_wait_dscnt 0x0
	v_and_b32_e32 v24, v99, v24
	s_delay_alu instid0(VALU_DEP_1)
	v_add_nc_u32_e32 v23, v23, v24
	s_and_saveexec_b32 s14, s1
; %bb.99:                               ;   in Loop: Header=BB936_20 Depth=1
	ds_store_b32 v85, v23
; %bb.100:                              ;   in Loop: Header=BB936_20 Depth=1
	s_or_b32 exec_lo, exec_lo, s14
	s_wait_dscnt 0x0
	s_barrier_signal -1
	s_barrier_wait -1
	s_and_saveexec_b32 s14, s4
	s_cbranch_execz .LBB936_102
; %bb.101:                              ;   in Loop: Header=BB936_20 Depth=1
	ds_load_b32 v24, v86
	v_cmp_ne_u32_e32 vcc_lo, 0, v101
	s_wait_dscnt 0x0
	v_mov_b32_dpp v25, v24 row_shr:1 row_mask:0xf bank_mask:0xf
	s_delay_alu instid0(VALU_DEP_1) | instskip(SKIP_1) | instid1(VALU_DEP_2)
	v_cndmask_b32_e32 v25, 0, v25, vcc_lo
	v_cmp_lt_u32_e32 vcc_lo, 1, v101
	v_add_nc_u32_e32 v24, v25, v24
	s_delay_alu instid0(VALU_DEP_1) | instskip(NEXT) | instid1(VALU_DEP_1)
	v_mov_b32_dpp v25, v24 row_shr:2 row_mask:0xf bank_mask:0xf
	v_cndmask_b32_e32 v25, 0, v25, vcc_lo
	s_delay_alu instid0(VALU_DEP_1)
	v_add_nc_u32_e32 v24, v24, v25
	ds_store_b32 v86, v24
.LBB936_102:                            ;   in Loop: Header=BB936_20 Depth=1
	s_or_b32 exec_lo, exec_lo, s14
	v_mov_b32_e32 v24, 0
	s_wait_dscnt 0x0
	s_barrier_signal -1
	s_barrier_wait -1
	s_and_saveexec_b32 s14, s5
; %bb.103:                              ;   in Loop: Header=BB936_20 Depth=1
	ds_load_b32 v24, v87
; %bb.104:                              ;   in Loop: Header=BB936_20 Depth=1
	s_or_b32 exec_lo, exec_lo, s14
	v_cmp_gt_i32_e32 vcc_lo, 0, v103
	s_wait_dscnt 0x0
	s_barrier_signal -1
	s_barrier_wait -1
	v_dual_cndmask_b32 v25, v103, v96, vcc_lo :: v_dual_add_nc_u32 v23, v24, v23
	s_delay_alu instid0(VALU_DEP_1)
	v_lshlrev_b32_e32 v121, 2, v25
	ds_bpermute_b32 v23, v121, v23
	s_and_saveexec_b32 s14, s0
	s_cbranch_execz .LBB936_106
; %bb.105:                              ;   in Loop: Header=BB936_20 Depth=1
	s_wait_dscnt 0x0
	v_cndmask_b32_e64 v23, v23, v24, s8
	s_delay_alu instid0(VALU_DEP_1)
	v_add_nc_u32_e32 v23, s55, v23
	ds_store_b32 v3, v23
.LBB936_106:                            ;   in Loop: Header=BB936_20 Depth=1
	s_or_b32 exec_lo, exec_lo, s14
	s_clause 0x1
	s_load_b32 s14, s[52:53], 0x4
	s_load_b32 s16, s[52:53], 0xc
	s_mov_b32 s58, s57
                                        ; implicit-def: $vgpr30_vgpr31
                                        ; implicit-def: $vgpr32_vgpr33
                                        ; implicit-def: $vgpr34_vgpr35
                                        ; implicit-def: $vgpr36_vgpr37
                                        ; implicit-def: $vgpr38_vgpr39
                                        ; implicit-def: $vgpr40_vgpr41
                                        ; implicit-def: $vgpr42_vgpr43
                                        ; implicit-def: $vgpr44_vgpr45
                                        ; implicit-def: $vgpr46_vgpr47
                                        ; implicit-def: $vgpr48_vgpr49
                                        ; implicit-def: $vgpr50_vgpr51
                                        ; implicit-def: $vgpr52_vgpr53
                                        ; implicit-def: $vgpr54_vgpr55
                                        ; implicit-def: $vgpr56_vgpr57
                                        ; implicit-def: $vgpr58_vgpr59
                                        ; implicit-def: $vgpr60_vgpr61
                                        ; implicit-def: $vgpr122
                                        ; implicit-def: $vgpr123
                                        ; implicit-def: $vgpr124
                                        ; implicit-def: $vgpr125
                                        ; implicit-def: $vgpr126
                                        ; implicit-def: $vgpr127
                                        ; implicit-def: $vgpr128
                                        ; implicit-def: $vgpr129
                                        ; implicit-def: $vgpr130
                                        ; implicit-def: $vgpr131
                                        ; implicit-def: $vgpr132
                                        ; implicit-def: $vgpr133
                                        ; implicit-def: $vgpr134
                                        ; implicit-def: $vgpr135
                                        ; implicit-def: $vgpr136
                                        ; implicit-def: $vgpr138
                                        ; implicit-def: $vgpr139
                                        ; implicit-def: $vgpr137
                                        ; implicit-def: $vgpr140
	s_wait_kmcnt 0x0
	s_cmp_lt_u32 s42, s14
	s_cselect_b32 s34, 14, 20
	s_delay_alu instid0(SALU_CYCLE_1)
	s_add_nc_u64 s[14:15], s[52:53], s[34:35]
	s_mov_b32 s34, s55
	s_load_u16 s14, s[14:15], 0x0
	s_wait_xcnt 0x0
	v_cmp_lt_u32_e64 s15, 1, v104
	s_wait_dscnt 0x0
	s_wait_kmcnt 0x0
	v_mad_u32_u24 v23, v88, s14, v90
	s_and_b32 s14, s16, 0xffff
	v_cmp_lt_u32_e64 s16, 3, v104
	s_delay_alu instid0(VALU_DEP_2) | instskip(SKIP_2) | instid1(VALU_DEP_3)
	v_mad_u32 v24, v23, s14, v2
	v_mov_b32_e32 v23, v5
	v_cmp_eq_u32_e64 s14, 0, v104
	v_lshrrev_b32_e32 v28, 3, v24
	v_add_nc_u64_e32 v[24:25], v[0:1], v[4:5]
	s_delay_alu instid0(VALU_DEP_4) | instskip(NEXT) | instid1(VALU_DEP_3)
	v_add_nc_u64_e32 v[26:27], v[8:9], v[22:23]
	v_and_b32_e32 v23, 0x1ffffffc, v28
                                        ; implicit-def: $vgpr28_vgpr29
	s_branch .LBB936_108
.LBB936_107:                            ;   in Loop: Header=BB936_108 Depth=2
	s_or_b32 exec_lo, exec_lo, s17
	s_addk_co_i32 s58, 0xef00
	s_cmp_lt_u32 s59, s54
	s_mov_b32 s34, s59
	s_cbranch_scc0 .LBB936_330
.LBB936_108:                            ;   Parent Loop BB936_20 Depth=1
                                        ; =>  This Inner Loop Header: Depth=2
	s_add_co_i32 s59, s34, 0x1100
	s_delay_alu instid0(SALU_CYCLE_1)
	s_cmp_gt_u32 s59, s54
	s_cbranch_scc1 .LBB936_110
; %bb.109:                              ;   in Loop: Header=BB936_108 Depth=2
	s_delay_alu instid0(VALU_DEP_2)
	v_lshl_add_u64 v[62:63], s[34:35], 1, v[26:27]
	s_mov_b32 s17, -1
	s_clause 0xf
	global_load_u16 v143, v[62:63], off
	global_load_u16 v145, v[62:63], off offset:64
	global_load_u16 v147, v[62:63], off offset:128
	;; [unrolled: 1-line block ×15, first 2 shown]
	s_movk_i32 s18, 0x1100
	s_cbranch_execz .LBB936_111
	s_branch .LBB936_144
.LBB936_110:                            ;   in Loop: Header=BB936_108 Depth=2
	s_mov_b32 s17, 0
                                        ; implicit-def: $vgpr143
                                        ; implicit-def: $vgpr145
                                        ; implicit-def: $vgpr147
                                        ; implicit-def: $vgpr151
                                        ; implicit-def: $vgpr155
                                        ; implicit-def: $vgpr160
                                        ; implicit-def: $vgpr166
                                        ; implicit-def: $vgpr171
                                        ; implicit-def: $vgpr176
                                        ; implicit-def: $vgpr174
                                        ; implicit-def: $vgpr169
                                        ; implicit-def: $vgpr164
                                        ; implicit-def: $vgpr161
                                        ; implicit-def: $vgpr156
                                        ; implicit-def: $vgpr65
                                        ; implicit-def: $vgpr64
	s_movk_i32 s18, 0x1100
.LBB936_111:                            ;   in Loop: Header=BB936_108 Depth=2
	s_wait_xcnt 0x0
	v_lshl_add_u64 v[62:63], s[34:35], 1, v[26:27]
	s_wait_loadcnt 0xe
	v_mov_b32_e32 v145, 0xffff8000
	v_mov_b32_e32 v143, 0xffff8000
	s_mov_b32 s17, exec_lo
	v_cmpx_gt_u32_e64 s58, v102
	s_cbranch_execz .LBB936_113
; %bb.112:                              ;   in Loop: Header=BB936_108 Depth=2
	global_load_u16 v143, v[62:63], off
.LBB936_113:                            ;   in Loop: Header=BB936_108 Depth=2
	s_wait_xcnt 0x0
	s_or_b32 exec_lo, exec_lo, s17
	s_delay_alu instid0(SALU_CYCLE_1)
	s_mov_b32 s17, exec_lo
	v_cmpx_gt_u32_e64 s58, v105
	s_cbranch_execz .LBB936_115
; %bb.114:                              ;   in Loop: Header=BB936_108 Depth=2
	global_load_u16 v145, v[62:63], off offset:64
.LBB936_115:                            ;   in Loop: Header=BB936_108 Depth=2
	s_wait_xcnt 0x0
	s_or_b32 exec_lo, exec_lo, s17
	s_wait_loadcnt 0xc
	v_mov_b32_e32 v151, 0xffff8000
	v_mov_b32_e32 v147, 0xffff8000
	s_mov_b32 s17, exec_lo
	v_cmpx_gt_u32_e64 s58, v106
	s_cbranch_execz .LBB936_117
; %bb.116:                              ;   in Loop: Header=BB936_108 Depth=2
	global_load_u16 v147, v[62:63], off offset:128
.LBB936_117:                            ;   in Loop: Header=BB936_108 Depth=2
	s_wait_xcnt 0x0
	s_or_b32 exec_lo, exec_lo, s17
	s_delay_alu instid0(SALU_CYCLE_1)
	s_mov_b32 s17, exec_lo
	v_cmpx_gt_u32_e64 s58, v107
	s_cbranch_execz .LBB936_119
; %bb.118:                              ;   in Loop: Header=BB936_108 Depth=2
	global_load_u16 v151, v[62:63], off offset:192
.LBB936_119:                            ;   in Loop: Header=BB936_108 Depth=2
	s_wait_xcnt 0x0
	s_or_b32 exec_lo, exec_lo, s17
	s_wait_loadcnt 0xa
	v_dual_mov_b32 v160, 0xffff8000 :: v_dual_mov_b32 v155, 0xffff8000
	s_mov_b32 s17, exec_lo
	v_cmpx_gt_u32_e64 s58, v108
	s_cbranch_execz .LBB936_121
; %bb.120:                              ;   in Loop: Header=BB936_108 Depth=2
	global_load_u16 v155, v[62:63], off offset:256
.LBB936_121:                            ;   in Loop: Header=BB936_108 Depth=2
	s_wait_xcnt 0x0
	s_or_b32 exec_lo, exec_lo, s17
	s_delay_alu instid0(SALU_CYCLE_1)
	s_mov_b32 s17, exec_lo
	v_cmpx_gt_u32_e64 s58, v109
	s_cbranch_execz .LBB936_123
; %bb.122:                              ;   in Loop: Header=BB936_108 Depth=2
	global_load_u16 v160, v[62:63], off offset:320
.LBB936_123:                            ;   in Loop: Header=BB936_108 Depth=2
	s_wait_xcnt 0x0
	s_or_b32 exec_lo, exec_lo, s17
	s_wait_loadcnt 0x8
	v_dual_mov_b32 v171, 0xffff8000 :: v_dual_mov_b32 v166, 0xffff8000
	s_mov_b32 s17, exec_lo
	v_cmpx_gt_u32_e64 s58, v110
	s_cbranch_execz .LBB936_125
; %bb.124:                              ;   in Loop: Header=BB936_108 Depth=2
	global_load_u16 v166, v[62:63], off offset:384
.LBB936_125:                            ;   in Loop: Header=BB936_108 Depth=2
	s_wait_xcnt 0x0
	s_or_b32 exec_lo, exec_lo, s17
	s_delay_alu instid0(SALU_CYCLE_1)
	s_mov_b32 s17, exec_lo
	v_cmpx_gt_u32_e64 s58, v111
	s_cbranch_execz .LBB936_127
; %bb.126:                              ;   in Loop: Header=BB936_108 Depth=2
	global_load_u16 v171, v[62:63], off offset:448
.LBB936_127:                            ;   in Loop: Header=BB936_108 Depth=2
	s_wait_xcnt 0x0
	s_or_b32 exec_lo, exec_lo, s17
	s_wait_loadcnt 0x6
	v_mov_b32_e32 v174, 0xffff8000
	v_mov_b32_e32 v176, 0xffff8000
	s_mov_b32 s17, exec_lo
	v_cmpx_gt_u32_e64 s58, v112
	s_cbranch_execz .LBB936_129
; %bb.128:                              ;   in Loop: Header=BB936_108 Depth=2
	global_load_u16 v176, v[62:63], off offset:512
.LBB936_129:                            ;   in Loop: Header=BB936_108 Depth=2
	s_wait_xcnt 0x0
	s_or_b32 exec_lo, exec_lo, s17
	s_delay_alu instid0(SALU_CYCLE_1)
	s_mov_b32 s17, exec_lo
	v_cmpx_gt_u32_e64 s58, v113
	s_cbranch_execz .LBB936_131
; %bb.130:                              ;   in Loop: Header=BB936_108 Depth=2
	global_load_u16 v174, v[62:63], off offset:576
.LBB936_131:                            ;   in Loop: Header=BB936_108 Depth=2
	s_wait_xcnt 0x0
	s_or_b32 exec_lo, exec_lo, s17
	s_wait_loadcnt 0x4
	v_dual_mov_b32 v164, 0xffff8000 :: v_dual_mov_b32 v169, 0xffff8000
	s_mov_b32 s17, exec_lo
	v_cmpx_gt_u32_e64 s58, v114
	s_cbranch_execz .LBB936_133
; %bb.132:                              ;   in Loop: Header=BB936_108 Depth=2
	global_load_u16 v169, v[62:63], off offset:640
.LBB936_133:                            ;   in Loop: Header=BB936_108 Depth=2
	s_wait_xcnt 0x0
	s_or_b32 exec_lo, exec_lo, s17
	s_delay_alu instid0(SALU_CYCLE_1)
	s_mov_b32 s17, exec_lo
	v_cmpx_gt_u32_e64 s58, v115
	s_cbranch_execz .LBB936_135
; %bb.134:                              ;   in Loop: Header=BB936_108 Depth=2
	global_load_u16 v164, v[62:63], off offset:704
.LBB936_135:                            ;   in Loop: Header=BB936_108 Depth=2
	s_wait_xcnt 0x0
	s_or_b32 exec_lo, exec_lo, s17
	s_wait_loadcnt 0x2
	v_dual_mov_b32 v156, 0xffff8000 :: v_dual_mov_b32 v161, 0xffff8000
	;; [unrolled: 19-line block ×3, first 2 shown]
	s_mov_b32 s17, exec_lo
	v_cmpx_gt_u32_e64 s58, v118
	s_cbranch_execz .LBB936_141
; %bb.140:                              ;   in Loop: Header=BB936_108 Depth=2
	global_load_u16 v65, v[62:63], off offset:896
.LBB936_141:                            ;   in Loop: Header=BB936_108 Depth=2
	s_wait_xcnt 0x0
	s_or_b32 exec_lo, exec_lo, s17
	s_delay_alu instid0(SALU_CYCLE_1)
	s_mov_b32 s17, exec_lo
	v_cmpx_gt_u32_e64 s58, v119
	s_cbranch_execz .LBB936_143
; %bb.142:                              ;   in Loop: Header=BB936_108 Depth=2
	global_load_u16 v64, v[62:63], off offset:960
.LBB936_143:                            ;   in Loop: Header=BB936_108 Depth=2
	s_wait_xcnt 0x0
	s_or_b32 exec_lo, exec_lo, s17
	v_cmp_gt_u32_e64 s17, s58, v120
	s_sub_co_i32 s18, s54, s34
.LBB936_144:                            ;   in Loop: Header=BB936_108 Depth=2
	v_dual_mov_b32 v142, -1 :: v_dual_mov_b32 v141, s58
	s_wait_xcnt 0x0
	s_and_saveexec_b32 s19, s17
	s_cbranch_execz .LBB936_146
; %bb.145:                              ;   in Loop: Header=BB936_108 Depth=2
	v_lshl_add_u64 v[62:63], s[34:35], 1, v[26:27]
	v_mov_b32_e32 v141, s18
	global_load_u16 v62, v[62:63], off offset:1024
	s_wait_loadcnt 0x0
	v_xor_b32_e32 v142, 0x7fff, v62
.LBB936_146:                            ;   in Loop: Header=BB936_108 Depth=2
	s_wait_xcnt 0x0
	s_or_b32 exec_lo, exec_lo, s19
	s_wait_loadcnt 0xf
	v_xor_b32_e32 v143, 0x7fff, v143
	ds_store_2addr_b32 v89, v5, v5 offset0:136 offset1:137
	ds_store_2addr_b32 v89, v5, v5 offset0:138 offset1:139
	ds_store_b32 v89, v5 offset:560
	s_wait_loadcnt_dscnt 0x0
	s_barrier_signal -1
	s_barrier_wait -1
	v_and_b32_e32 v62, 0xffff, v143
	; wave barrier
	s_delay_alu instid0(VALU_DEP_1) | instskip(NEXT) | instid1(VALU_DEP_1)
	v_lshrrev_b32_e32 v62, s43, v62
	v_bitop3_b32 v63, v62, 1, s48 bitop3:0x80
	v_and_b32_e32 v146, s48, v62
	s_delay_alu instid0(VALU_DEP_2) | instskip(NEXT) | instid1(VALU_DEP_1)
	v_add_co_u32 v62, s17, v63, -1
	v_cndmask_b32_e64 v63, 0, 1, s17
	s_delay_alu instid0(VALU_DEP_3) | instskip(NEXT) | instid1(VALU_DEP_2)
	v_dual_lshlrev_b32 v144, 30, v146 :: v_dual_lshlrev_b32 v148, 29, v146
	v_cmp_ne_u32_e32 vcc_lo, 0, v63
	s_delay_alu instid0(VALU_DEP_2) | instskip(SKIP_1) | instid1(VALU_DEP_4)
	v_cmp_gt_i32_e64 s17, 0, v144
	v_not_b32_e32 v63, v144
	v_not_b32_e32 v144, v148
	v_cmp_gt_i32_e64 s18, 0, v148
	v_bitop3_b32 v62, vcc_lo, exec_lo, v62 bitop3:0x48
	s_delay_alu instid0(VALU_DEP_3) | instskip(SKIP_2) | instid1(VALU_DEP_3)
	v_dual_ashrrev_i32 v63, 31, v63 :: v_dual_ashrrev_i32 v144, 31, v144
	v_dual_lshlrev_b32 v149, 28, v146 :: v_dual_lshlrev_b32 v150, 27, v146
	v_dual_lshlrev_b32 v152, 26, v146 :: v_dual_lshlrev_b32 v153, 25, v146
	v_xor_b32_e32 v144, s18, v144
	s_delay_alu instid0(VALU_DEP_3)
	v_cmp_gt_i32_e64 s19, 0, v149
	v_not_b32_e32 v148, v149
	v_not_b32_e32 v149, v150
	v_cmp_gt_i32_e64 s20, 0, v150
	v_cmp_gt_i32_e64 s21, 0, v152
	v_not_b32_e32 v150, v152
	v_not_b32_e32 v152, v153
	v_dual_ashrrev_i32 v148, 31, v148 :: v_dual_ashrrev_i32 v149, 31, v149
	s_delay_alu instid0(VALU_DEP_3) | instskip(SKIP_1) | instid1(VALU_DEP_3)
	v_dual_ashrrev_i32 v150, 31, v150 :: v_dual_bitop2_b32 v63, s17, v63 bitop3:0x14
	v_cmp_gt_i32_e64 s22, 0, v153
	v_dual_ashrrev_i32 v152, 31, v152 :: v_dual_bitop2_b32 v149, s20, v149 bitop3:0x14
	s_delay_alu instid0(VALU_DEP_4) | instskip(NEXT) | instid1(VALU_DEP_4)
	v_xor_b32_e32 v148, s19, v148
	v_bitop3_b32 v62, v62, v144, v63 bitop3:0x80
	v_xor_b32_e32 v63, s21, v150
	s_delay_alu instid0(VALU_DEP_4) | instskip(NEXT) | instid1(VALU_DEP_3)
	v_xor_b32_e32 v144, s22, v152
	v_bitop3_b32 v62, v62, v149, v148 bitop3:0x80
	s_delay_alu instid0(VALU_DEP_1) | instskip(SKIP_1) | instid1(VALU_DEP_2)
	v_bitop3_b32 v62, v62, v144, v63 bitop3:0x80
	v_mul_u32_u24_e32 v63, 36, v146
	v_mbcnt_lo_u32_b32 v144, v62, 0
	v_cmp_ne_u32_e64 s17, 0, v62
	s_delay_alu instid0(VALU_DEP_3) | instskip(NEXT) | instid1(VALU_DEP_3)
	v_add_nc_u32_e32 v146, v23, v63
	v_cmp_eq_u32_e32 vcc_lo, 0, v144
	s_and_b32 s18, s17, vcc_lo
	s_delay_alu instid0(SALU_CYCLE_1)
	s_and_saveexec_b32 s17, s18
; %bb.147:                              ;   in Loop: Header=BB936_108 Depth=2
	v_bcnt_u32_b32 v62, v62, 0
	ds_store_b32 v146, v62 offset:544
; %bb.148:                              ;   in Loop: Header=BB936_108 Depth=2
	s_or_b32 exec_lo, exec_lo, s17
	v_xor_b32_e32 v145, 0x7fff, v145
	; wave barrier
	s_delay_alu instid0(VALU_DEP_1) | instskip(NEXT) | instid1(VALU_DEP_1)
	v_and_b32_e32 v62, 0xffff, v145
	v_lshrrev_b32_e32 v62, s43, v62
	s_delay_alu instid0(VALU_DEP_1) | instskip(SKIP_1) | instid1(VALU_DEP_2)
	v_bitop3_b32 v63, v62, 1, s48 bitop3:0x80
	v_and_b32_e32 v150, s48, v62
	v_add_co_u32 v62, s17, v63, -1
	s_delay_alu instid0(VALU_DEP_1) | instskip(NEXT) | instid1(VALU_DEP_3)
	v_cndmask_b32_e64 v63, 0, 1, s17
	v_dual_lshlrev_b32 v148, 30, v150 :: v_dual_lshlrev_b32 v149, 29, v150
	s_delay_alu instid0(VALU_DEP_2) | instskip(NEXT) | instid1(VALU_DEP_2)
	v_cmp_ne_u32_e32 vcc_lo, 0, v63
	v_cmp_gt_i32_e64 s17, 0, v148
	v_not_b32_e32 v63, v148
	s_delay_alu instid0(VALU_DEP_4) | instskip(SKIP_2) | instid1(VALU_DEP_3)
	v_not_b32_e32 v148, v149
	v_cmp_gt_i32_e64 s18, 0, v149
	v_bitop3_b32 v62, vcc_lo, exec_lo, v62 bitop3:0x48
	v_dual_ashrrev_i32 v63, 31, v63 :: v_dual_ashrrev_i32 v148, 31, v148
	v_dual_lshlrev_b32 v152, 28, v150 :: v_dual_lshlrev_b32 v153, 27, v150
	v_dual_lshlrev_b32 v154, 26, v150 :: v_dual_lshlrev_b32 v157, 25, v150
	s_delay_alu instid0(VALU_DEP_2) | instskip(SKIP_1) | instid1(VALU_DEP_4)
	v_cmp_gt_i32_e64 s19, 0, v152
	v_not_b32_e32 v149, v152
	v_cmp_gt_i32_e64 s20, 0, v153
	v_not_b32_e32 v152, v153
	;; [unrolled: 2-line block ×3, first 2 shown]
	v_not_b32_e32 v154, v157
	v_xor_b32_e32 v63, s17, v63
	v_dual_ashrrev_i32 v149, 31, v149 :: v_dual_bitop2_b32 v148, s18, v148 bitop3:0x14
	s_delay_alu instid0(VALU_DEP_4) | instskip(NEXT) | instid1(VALU_DEP_4)
	v_dual_ashrrev_i32 v152, 31, v152 :: v_dual_ashrrev_i32 v153, 31, v153
	v_ashrrev_i32_e32 v154, 31, v154
	s_delay_alu instid0(VALU_DEP_3)
	v_bitop3_b32 v62, v62, v148, v63 bitop3:0x80
	v_mad_u32_u24 v63, v150, 36, v23
	v_cmp_gt_i32_e64 s22, 0, v157
	v_xor_b32_e32 v152, s20, v152
	v_xor_b32_e32 v153, s21, v153
	ds_load_b32 v148, v63 offset:544
	v_mul_u32_u24_e32 v63, 36, v150
	v_xor_b32_e32 v149, s19, v149
	v_xor_b32_e32 v154, s22, v154
	; wave barrier
	s_delay_alu instid0(VALU_DEP_3) | instskip(NEXT) | instid1(VALU_DEP_3)
	v_add_nc_u32_e32 v150, v23, v63
	v_bitop3_b32 v62, v62, v152, v149 bitop3:0x80
	s_delay_alu instid0(VALU_DEP_1) | instskip(NEXT) | instid1(VALU_DEP_1)
	v_bitop3_b32 v62, v62, v154, v153 bitop3:0x80
	v_mbcnt_lo_u32_b32 v149, v62, 0
	v_cmp_ne_u32_e64 s17, 0, v62
	s_delay_alu instid0(VALU_DEP_2) | instskip(SKIP_1) | instid1(SALU_CYCLE_1)
	v_cmp_eq_u32_e32 vcc_lo, 0, v149
	s_and_b32 s18, s17, vcc_lo
	s_and_saveexec_b32 s17, s18
	s_cbranch_execz .LBB936_150
; %bb.149:                              ;   in Loop: Header=BB936_108 Depth=2
	s_wait_dscnt 0x0
	v_bcnt_u32_b32 v62, v62, v148
	ds_store_b32 v150, v62 offset:544
.LBB936_150:                            ;   in Loop: Header=BB936_108 Depth=2
	s_or_b32 exec_lo, exec_lo, s17
	v_xor_b32_e32 v147, 0x7fff, v147
	; wave barrier
	s_delay_alu instid0(VALU_DEP_1) | instskip(NEXT) | instid1(VALU_DEP_1)
	v_and_b32_e32 v62, 0xffff, v147
	v_lshrrev_b32_e32 v62, s43, v62
	s_delay_alu instid0(VALU_DEP_1) | instskip(SKIP_1) | instid1(VALU_DEP_2)
	v_bitop3_b32 v63, v62, 1, s48 bitop3:0x80
	v_and_b32_e32 v154, s48, v62
	v_add_co_u32 v62, s17, v63, -1
	s_delay_alu instid0(VALU_DEP_1) | instskip(NEXT) | instid1(VALU_DEP_3)
	v_cndmask_b32_e64 v63, 0, 1, s17
	v_dual_lshlrev_b32 v152, 30, v154 :: v_dual_lshlrev_b32 v153, 29, v154
	s_delay_alu instid0(VALU_DEP_2) | instskip(NEXT) | instid1(VALU_DEP_2)
	v_cmp_ne_u32_e32 vcc_lo, 0, v63
	v_cmp_gt_i32_e64 s17, 0, v152
	v_not_b32_e32 v63, v152
	s_delay_alu instid0(VALU_DEP_4) | instskip(SKIP_2) | instid1(VALU_DEP_3)
	v_not_b32_e32 v152, v153
	v_cmp_gt_i32_e64 s18, 0, v153
	v_bitop3_b32 v62, vcc_lo, exec_lo, v62 bitop3:0x48
	v_dual_ashrrev_i32 v63, 31, v63 :: v_dual_ashrrev_i32 v152, 31, v152
	v_dual_lshlrev_b32 v157, 28, v154 :: v_dual_lshlrev_b32 v158, 27, v154
	v_dual_lshlrev_b32 v159, 26, v154 :: v_dual_lshlrev_b32 v162, 25, v154
	s_delay_alu instid0(VALU_DEP_3) | instskip(NEXT) | instid1(VALU_DEP_3)
	v_xor_b32_e32 v63, s17, v63
	v_cmp_gt_i32_e64 s19, 0, v157
	v_not_b32_e32 v153, v157
	v_not_b32_e32 v157, v158
	v_xor_b32_e32 v152, s18, v152
	v_cmp_gt_i32_e64 s20, 0, v158
	v_cmp_gt_i32_e64 s21, 0, v159
	v_ashrrev_i32_e32 v153, 31, v153
	v_ashrrev_i32_e32 v157, 31, v157
	v_not_b32_e32 v158, v159
	v_not_b32_e32 v159, v162
	v_bitop3_b32 v62, v62, v152, v63 bitop3:0x80
	v_mad_u32_u24 v63, v154, 36, v23
	v_cmp_gt_i32_e64 s22, 0, v162
	s_delay_alu instid0(VALU_DEP_4)
	v_dual_ashrrev_i32 v158, 31, v158 :: v_dual_ashrrev_i32 v159, 31, v159
	v_xor_b32_e32 v157, s20, v157
	ds_load_b32 v152, v63 offset:544
	v_mul_u32_u24_e32 v63, 36, v154
	v_xor_b32_e32 v153, s19, v153
	v_xor_b32_e32 v158, s21, v158
	;; [unrolled: 1-line block ×3, first 2 shown]
	s_delay_alu instid0(VALU_DEP_4) | instskip(NEXT) | instid1(VALU_DEP_4)
	v_add_nc_u32_e32 v154, v23, v63
	v_bitop3_b32 v62, v62, v157, v153 bitop3:0x80
	; wave barrier
	s_delay_alu instid0(VALU_DEP_1) | instskip(NEXT) | instid1(VALU_DEP_1)
	v_bitop3_b32 v62, v62, v159, v158 bitop3:0x80
	v_mbcnt_lo_u32_b32 v153, v62, 0
	v_cmp_ne_u32_e64 s17, 0, v62
	s_delay_alu instid0(VALU_DEP_2) | instskip(SKIP_1) | instid1(SALU_CYCLE_1)
	v_cmp_eq_u32_e32 vcc_lo, 0, v153
	s_and_b32 s18, s17, vcc_lo
	s_and_saveexec_b32 s17, s18
	s_cbranch_execz .LBB936_152
; %bb.151:                              ;   in Loop: Header=BB936_108 Depth=2
	s_wait_dscnt 0x0
	v_bcnt_u32_b32 v62, v62, v152
	ds_store_b32 v154, v62 offset:544
.LBB936_152:                            ;   in Loop: Header=BB936_108 Depth=2
	s_or_b32 exec_lo, exec_lo, s17
	v_xor_b32_e32 v151, 0x7fff, v151
	; wave barrier
	s_delay_alu instid0(VALU_DEP_1) | instskip(NEXT) | instid1(VALU_DEP_1)
	v_and_b32_e32 v62, 0xffff, v151
	v_lshrrev_b32_e32 v62, s43, v62
	s_delay_alu instid0(VALU_DEP_1) | instskip(NEXT) | instid1(VALU_DEP_1)
	v_and_b32_e32 v159, s48, v62
	v_lshlrev_b32_e32 v157, 30, v159
	v_bitop3_b32 v63, v62, 1, s48 bitop3:0x80
	s_delay_alu instid0(VALU_DEP_1) | instskip(NEXT) | instid1(VALU_DEP_1)
	v_add_co_u32 v62, s17, v63, -1
	v_cndmask_b32_e64 v63, 0, 1, s17
	s_delay_alu instid0(VALU_DEP_4) | instskip(NEXT) | instid1(VALU_DEP_2)
	v_cmp_gt_i32_e64 s17, 0, v157
	v_cmp_ne_u32_e32 vcc_lo, 0, v63
	v_not_b32_e32 v63, v157
	v_bitop3_b32 v62, vcc_lo, exec_lo, v62 bitop3:0x48
	s_delay_alu instid0(VALU_DEP_2) | instskip(SKIP_2) | instid1(VALU_DEP_3)
	v_ashrrev_i32_e32 v63, 31, v63
	v_dual_lshlrev_b32 v158, 29, v159 :: v_dual_lshlrev_b32 v162, 28, v159
	v_dual_lshlrev_b32 v163, 27, v159 :: v_dual_lshlrev_b32 v165, 26, v159
	v_xor_b32_e32 v63, s17, v63
	s_delay_alu instid0(VALU_DEP_3)
	v_not_b32_e32 v157, v158
	v_lshlrev_b32_e32 v167, 25, v159
	v_cmp_gt_i32_e64 s18, 0, v158
	v_cmp_gt_i32_e64 s19, 0, v162
	v_not_b32_e32 v158, v162
	v_not_b32_e32 v162, v163
	v_ashrrev_i32_e32 v157, 31, v157
	v_cmp_gt_i32_e64 s20, 0, v163
	v_cmp_gt_i32_e64 s21, 0, v165
	v_ashrrev_i32_e32 v158, 31, v158
	s_delay_alu instid0(VALU_DEP_4) | instskip(SKIP_3) | instid1(VALU_DEP_4)
	v_dual_ashrrev_i32 v162, 31, v162 :: v_dual_bitop2_b32 v157, s18, v157 bitop3:0x14
	v_not_b32_e32 v163, v165
	v_not_b32_e32 v165, v167
	v_cmp_gt_i32_e64 s22, 0, v167
	v_xor_b32_e32 v162, s20, v162
	v_bitop3_b32 v62, v62, v157, v63 bitop3:0x80
	v_mad_u32_u24 v63, v159, 36, v23
	v_dual_ashrrev_i32 v163, 31, v163 :: v_dual_ashrrev_i32 v165, 31, v165
	ds_load_b32 v157, v63 offset:544
	v_mul_u32_u24_e32 v63, 36, v159
	v_xor_b32_e32 v158, s19, v158
	v_xor_b32_e32 v163, s21, v163
	;; [unrolled: 1-line block ×3, first 2 shown]
	s_delay_alu instid0(VALU_DEP_4) | instskip(NEXT) | instid1(VALU_DEP_4)
	v_add_nc_u32_e32 v159, v23, v63
	v_bitop3_b32 v62, v62, v162, v158 bitop3:0x80
	; wave barrier
	s_delay_alu instid0(VALU_DEP_1) | instskip(NEXT) | instid1(VALU_DEP_1)
	v_bitop3_b32 v62, v62, v165, v163 bitop3:0x80
	v_mbcnt_lo_u32_b32 v158, v62, 0
	v_cmp_ne_u32_e64 s17, 0, v62
	s_delay_alu instid0(VALU_DEP_2) | instskip(SKIP_1) | instid1(SALU_CYCLE_1)
	v_cmp_eq_u32_e32 vcc_lo, 0, v158
	s_and_b32 s18, s17, vcc_lo
	s_and_saveexec_b32 s17, s18
	s_cbranch_execz .LBB936_154
; %bb.153:                              ;   in Loop: Header=BB936_108 Depth=2
	s_wait_dscnt 0x0
	v_bcnt_u32_b32 v62, v62, v157
	ds_store_b32 v159, v62 offset:544
.LBB936_154:                            ;   in Loop: Header=BB936_108 Depth=2
	s_or_b32 exec_lo, exec_lo, s17
	v_xor_b32_e32 v155, 0x7fff, v155
	; wave barrier
	s_delay_alu instid0(VALU_DEP_1) | instskip(NEXT) | instid1(VALU_DEP_1)
	v_and_b32_e32 v62, 0xffff, v155
	v_lshrrev_b32_e32 v62, s43, v62
	s_delay_alu instid0(VALU_DEP_1) | instskip(NEXT) | instid1(VALU_DEP_1)
	v_and_b32_e32 v165, s48, v62
	v_lshlrev_b32_e32 v162, 30, v165
	v_bitop3_b32 v63, v62, 1, s48 bitop3:0x80
	s_delay_alu instid0(VALU_DEP_1) | instskip(NEXT) | instid1(VALU_DEP_1)
	v_add_co_u32 v62, s17, v63, -1
	v_cndmask_b32_e64 v63, 0, 1, s17
	s_delay_alu instid0(VALU_DEP_4) | instskip(NEXT) | instid1(VALU_DEP_2)
	v_cmp_gt_i32_e64 s17, 0, v162
	v_cmp_ne_u32_e32 vcc_lo, 0, v63
	v_not_b32_e32 v63, v162
	v_bitop3_b32 v62, vcc_lo, exec_lo, v62 bitop3:0x48
	s_delay_alu instid0(VALU_DEP_2) | instskip(SKIP_2) | instid1(VALU_DEP_3)
	v_dual_ashrrev_i32 v63, 31, v63 :: v_dual_lshlrev_b32 v163, 29, v165
	v_dual_lshlrev_b32 v167, 28, v165 :: v_dual_lshlrev_b32 v168, 27, v165
	v_lshlrev_b32_e32 v170, 26, v165
	v_not_b32_e32 v162, v163
	v_lshlrev_b32_e32 v172, 25, v165
	v_cmp_gt_i32_e64 s18, 0, v163
	v_cmp_gt_i32_e64 s19, 0, v167
	v_not_b32_e32 v163, v167
	v_not_b32_e32 v167, v168
	v_ashrrev_i32_e32 v162, 31, v162
	v_cmp_gt_i32_e64 s20, 0, v168
	v_cmp_gt_i32_e64 s21, 0, v170
	v_not_b32_e32 v168, v170
	v_not_b32_e32 v170, v172
	v_dual_ashrrev_i32 v163, 31, v163 :: v_dual_bitop2_b32 v162, s18, v162 bitop3:0x14
	s_delay_alu instid0(VALU_DEP_3) | instskip(NEXT) | instid1(VALU_DEP_3)
	v_dual_ashrrev_i32 v167, 31, v167 :: v_dual_ashrrev_i32 v168, 31, v168
	v_dual_ashrrev_i32 v170, 31, v170 :: v_dual_bitop2_b32 v63, s17, v63 bitop3:0x14
	v_cmp_gt_i32_e64 s22, 0, v172
	s_delay_alu instid0(VALU_DEP_4) | instskip(NEXT) | instid1(VALU_DEP_4)
	v_xor_b32_e32 v163, s19, v163
	v_xor_b32_e32 v167, s20, v167
	s_delay_alu instid0(VALU_DEP_4) | instskip(SKIP_2) | instid1(VALU_DEP_3)
	v_bitop3_b32 v62, v62, v162, v63 bitop3:0x80
	v_mad_u32_u24 v63, v165, 36, v23
	v_xor_b32_e32 v170, s22, v170
	v_bitop3_b32 v62, v62, v167, v163 bitop3:0x80
	ds_load_b32 v162, v63 offset:544
	v_mul_u32_u24_e32 v63, 36, v165
	v_xor_b32_e32 v168, s21, v168
	; wave barrier
	s_delay_alu instid0(VALU_DEP_2) | instskip(NEXT) | instid1(VALU_DEP_2)
	v_add_nc_u32_e32 v165, v23, v63
	v_bitop3_b32 v62, v62, v170, v168 bitop3:0x80
	s_delay_alu instid0(VALU_DEP_1) | instskip(SKIP_1) | instid1(VALU_DEP_2)
	v_mbcnt_lo_u32_b32 v163, v62, 0
	v_cmp_ne_u32_e64 s17, 0, v62
	v_cmp_eq_u32_e32 vcc_lo, 0, v163
	s_and_b32 s18, s17, vcc_lo
	s_delay_alu instid0(SALU_CYCLE_1)
	s_and_saveexec_b32 s17, s18
	s_cbranch_execz .LBB936_156
; %bb.155:                              ;   in Loop: Header=BB936_108 Depth=2
	s_wait_dscnt 0x0
	v_bcnt_u32_b32 v62, v62, v162
	ds_store_b32 v165, v62 offset:544
.LBB936_156:                            ;   in Loop: Header=BB936_108 Depth=2
	s_or_b32 exec_lo, exec_lo, s17
	v_xor_b32_e32 v160, 0x7fff, v160
	; wave barrier
	s_delay_alu instid0(VALU_DEP_1) | instskip(NEXT) | instid1(VALU_DEP_1)
	v_and_b32_e32 v62, 0xffff, v160
	v_lshrrev_b32_e32 v62, s43, v62
	s_delay_alu instid0(VALU_DEP_1) | instskip(SKIP_1) | instid1(VALU_DEP_2)
	v_bitop3_b32 v63, v62, 1, s48 bitop3:0x80
	v_and_b32_e32 v170, s48, v62
	v_add_co_u32 v62, s17, v63, -1
	s_delay_alu instid0(VALU_DEP_1) | instskip(NEXT) | instid1(VALU_DEP_3)
	v_cndmask_b32_e64 v63, 0, 1, s17
	v_dual_lshlrev_b32 v167, 30, v170 :: v_dual_lshlrev_b32 v168, 29, v170
	s_delay_alu instid0(VALU_DEP_2) | instskip(NEXT) | instid1(VALU_DEP_2)
	v_cmp_ne_u32_e32 vcc_lo, 0, v63
	v_cmp_gt_i32_e64 s17, 0, v167
	v_not_b32_e32 v63, v167
	s_delay_alu instid0(VALU_DEP_4) | instskip(SKIP_2) | instid1(VALU_DEP_4)
	v_not_b32_e32 v167, v168
	v_cmp_gt_i32_e64 s18, 0, v168
	v_bitop3_b32 v62, vcc_lo, exec_lo, v62 bitop3:0x48
	v_ashrrev_i32_e32 v63, 31, v63
	s_delay_alu instid0(VALU_DEP_4) | instskip(SKIP_1) | instid1(VALU_DEP_3)
	v_dual_ashrrev_i32 v167, 31, v167 :: v_dual_lshlrev_b32 v172, 28, v170
	v_dual_lshlrev_b32 v173, 27, v170 :: v_dual_lshlrev_b32 v175, 26, v170
	v_dual_lshlrev_b32 v177, 25, v170 :: v_dual_bitop2_b32 v63, s17, v63 bitop3:0x14
	s_delay_alu instid0(VALU_DEP_3) | instskip(SKIP_1) | instid1(VALU_DEP_4)
	v_cmp_gt_i32_e64 s19, 0, v172
	v_not_b32_e32 v168, v172
	v_not_b32_e32 v172, v173
	v_xor_b32_e32 v167, s18, v167
	v_cmp_gt_i32_e64 s20, 0, v173
	v_cmp_gt_i32_e64 s21, 0, v175
	v_ashrrev_i32_e32 v168, 31, v168
	v_ashrrev_i32_e32 v172, 31, v172
	v_not_b32_e32 v173, v175
	v_not_b32_e32 v175, v177
	v_bitop3_b32 v62, v62, v167, v63 bitop3:0x80
	v_mad_u32_u24 v63, v170, 36, v23
	v_cmp_gt_i32_e64 s22, 0, v177
	s_delay_alu instid0(VALU_DEP_4)
	v_dual_ashrrev_i32 v173, 31, v173 :: v_dual_ashrrev_i32 v175, 31, v175
	v_xor_b32_e32 v172, s20, v172
	ds_load_b32 v167, v63 offset:544
	v_mul_u32_u24_e32 v63, 36, v170
	v_xor_b32_e32 v168, s19, v168
	v_xor_b32_e32 v173, s21, v173
	;; [unrolled: 1-line block ×3, first 2 shown]
	s_delay_alu instid0(VALU_DEP_4) | instskip(NEXT) | instid1(VALU_DEP_4)
	v_add_nc_u32_e32 v170, v23, v63
	v_bitop3_b32 v62, v62, v172, v168 bitop3:0x80
	; wave barrier
	s_delay_alu instid0(VALU_DEP_1) | instskip(NEXT) | instid1(VALU_DEP_1)
	v_bitop3_b32 v62, v62, v175, v173 bitop3:0x80
	v_mbcnt_lo_u32_b32 v168, v62, 0
	v_cmp_ne_u32_e64 s17, 0, v62
	s_delay_alu instid0(VALU_DEP_2) | instskip(SKIP_1) | instid1(SALU_CYCLE_1)
	v_cmp_eq_u32_e32 vcc_lo, 0, v168
	s_and_b32 s18, s17, vcc_lo
	s_and_saveexec_b32 s17, s18
	s_cbranch_execz .LBB936_158
; %bb.157:                              ;   in Loop: Header=BB936_108 Depth=2
	s_wait_dscnt 0x0
	v_bcnt_u32_b32 v62, v62, v167
	ds_store_b32 v170, v62 offset:544
.LBB936_158:                            ;   in Loop: Header=BB936_108 Depth=2
	s_or_b32 exec_lo, exec_lo, s17
	v_xor_b32_e32 v166, 0x7fff, v166
	; wave barrier
	s_delay_alu instid0(VALU_DEP_1) | instskip(NEXT) | instid1(VALU_DEP_1)
	v_and_b32_e32 v62, 0xffff, v166
	v_lshrrev_b32_e32 v62, s43, v62
	s_delay_alu instid0(VALU_DEP_1) | instskip(NEXT) | instid1(VALU_DEP_1)
	v_and_b32_e32 v175, s48, v62
	v_lshlrev_b32_e32 v172, 30, v175
	v_bitop3_b32 v63, v62, 1, s48 bitop3:0x80
	s_delay_alu instid0(VALU_DEP_1) | instskip(NEXT) | instid1(VALU_DEP_1)
	v_add_co_u32 v62, s17, v63, -1
	v_cndmask_b32_e64 v63, 0, 1, s17
	s_delay_alu instid0(VALU_DEP_4) | instskip(NEXT) | instid1(VALU_DEP_2)
	v_cmp_gt_i32_e64 s17, 0, v172
	v_cmp_ne_u32_e32 vcc_lo, 0, v63
	v_not_b32_e32 v63, v172
	v_bitop3_b32 v62, vcc_lo, exec_lo, v62 bitop3:0x48
	s_delay_alu instid0(VALU_DEP_2) | instskip(SKIP_2) | instid1(VALU_DEP_3)
	v_ashrrev_i32_e32 v63, 31, v63
	v_dual_lshlrev_b32 v173, 29, v175 :: v_dual_lshlrev_b32 v177, 28, v175
	v_dual_lshlrev_b32 v178, 27, v175 :: v_dual_lshlrev_b32 v179, 26, v175
	v_xor_b32_e32 v63, s17, v63
	s_delay_alu instid0(VALU_DEP_3)
	v_not_b32_e32 v172, v173
	v_lshlrev_b32_e32 v180, 25, v175
	v_cmp_gt_i32_e64 s18, 0, v173
	v_cmp_gt_i32_e64 s19, 0, v177
	v_not_b32_e32 v173, v177
	v_not_b32_e32 v177, v178
	v_ashrrev_i32_e32 v172, 31, v172
	v_cmp_gt_i32_e64 s20, 0, v178
	v_cmp_gt_i32_e64 s21, 0, v179
	v_ashrrev_i32_e32 v173, 31, v173
	s_delay_alu instid0(VALU_DEP_4) | instskip(SKIP_3) | instid1(VALU_DEP_4)
	v_dual_ashrrev_i32 v177, 31, v177 :: v_dual_bitop2_b32 v172, s18, v172 bitop3:0x14
	v_not_b32_e32 v178, v179
	v_not_b32_e32 v179, v180
	v_cmp_gt_i32_e64 s22, 0, v180
	v_xor_b32_e32 v177, s20, v177
	v_bitop3_b32 v62, v62, v172, v63 bitop3:0x80
	v_mad_u32_u24 v63, v175, 36, v23
	v_dual_ashrrev_i32 v178, 31, v178 :: v_dual_ashrrev_i32 v179, 31, v179
	ds_load_b32 v172, v63 offset:544
	v_mul_u32_u24_e32 v63, 36, v175
	v_xor_b32_e32 v173, s19, v173
	v_xor_b32_e32 v178, s21, v178
	;; [unrolled: 1-line block ×3, first 2 shown]
	s_delay_alu instid0(VALU_DEP_4) | instskip(NEXT) | instid1(VALU_DEP_4)
	v_add_nc_u32_e32 v175, v23, v63
	v_bitop3_b32 v62, v62, v177, v173 bitop3:0x80
	; wave barrier
	s_delay_alu instid0(VALU_DEP_1) | instskip(NEXT) | instid1(VALU_DEP_1)
	v_bitop3_b32 v62, v62, v179, v178 bitop3:0x80
	v_mbcnt_lo_u32_b32 v173, v62, 0
	v_cmp_ne_u32_e64 s17, 0, v62
	s_delay_alu instid0(VALU_DEP_2) | instskip(SKIP_1) | instid1(SALU_CYCLE_1)
	v_cmp_eq_u32_e32 vcc_lo, 0, v173
	s_and_b32 s18, s17, vcc_lo
	s_and_saveexec_b32 s17, s18
	s_cbranch_execz .LBB936_160
; %bb.159:                              ;   in Loop: Header=BB936_108 Depth=2
	s_wait_dscnt 0x0
	v_bcnt_u32_b32 v62, v62, v172
	ds_store_b32 v175, v62 offset:544
.LBB936_160:                            ;   in Loop: Header=BB936_108 Depth=2
	s_or_b32 exec_lo, exec_lo, s17
	v_xor_b32_e32 v171, 0x7fff, v171
	; wave barrier
	s_delay_alu instid0(VALU_DEP_1) | instskip(NEXT) | instid1(VALU_DEP_1)
	v_and_b32_e32 v62, 0xffff, v171
	v_lshrrev_b32_e32 v62, s43, v62
	s_delay_alu instid0(VALU_DEP_1) | instskip(NEXT) | instid1(VALU_DEP_1)
	v_and_b32_e32 v179, s48, v62
	v_lshlrev_b32_e32 v177, 30, v179
	v_bitop3_b32 v63, v62, 1, s48 bitop3:0x80
	s_delay_alu instid0(VALU_DEP_1) | instskip(NEXT) | instid1(VALU_DEP_1)
	v_add_co_u32 v62, s17, v63, -1
	v_cndmask_b32_e64 v63, 0, 1, s17
	s_delay_alu instid0(VALU_DEP_4) | instskip(NEXT) | instid1(VALU_DEP_2)
	v_cmp_gt_i32_e64 s17, 0, v177
	v_cmp_ne_u32_e32 vcc_lo, 0, v63
	v_not_b32_e32 v63, v177
	v_bitop3_b32 v62, vcc_lo, exec_lo, v62 bitop3:0x48
	s_delay_alu instid0(VALU_DEP_2) | instskip(SKIP_2) | instid1(VALU_DEP_2)
	v_ashrrev_i32_e32 v63, 31, v63
	v_dual_lshlrev_b32 v178, 29, v179 :: v_dual_lshlrev_b32 v180, 28, v179
	v_dual_lshlrev_b32 v181, 27, v179 :: v_dual_lshlrev_b32 v182, 26, v179
	v_not_b32_e32 v177, v178
	v_lshlrev_b32_e32 v183, 25, v179
	v_cmp_gt_i32_e64 s18, 0, v178
	v_cmp_gt_i32_e64 s19, 0, v180
	v_not_b32_e32 v178, v180
	v_ashrrev_i32_e32 v177, 31, v177
	v_cmp_gt_i32_e64 s20, 0, v181
	v_not_b32_e32 v180, v181
	v_cmp_gt_i32_e64 s21, 0, v182
	v_not_b32_e32 v181, v182
	v_not_b32_e32 v182, v183
	v_xor_b32_e32 v63, s17, v63
	v_dual_ashrrev_i32 v178, 31, v178 :: v_dual_bitop2_b32 v177, s18, v177 bitop3:0x14
	s_delay_alu instid0(VALU_DEP_4) | instskip(NEXT) | instid1(VALU_DEP_4)
	v_dual_ashrrev_i32 v180, 31, v180 :: v_dual_ashrrev_i32 v181, 31, v181
	v_ashrrev_i32_e32 v182, 31, v182
	s_delay_alu instid0(VALU_DEP_3)
	v_bitop3_b32 v62, v62, v177, v63 bitop3:0x80
	v_mad_u32_u24 v63, v179, 36, v23
	v_cmp_gt_i32_e64 s22, 0, v183
	v_xor_b32_e32 v180, s20, v180
	v_xor_b32_e32 v181, s21, v181
	ds_load_b32 v177, v63 offset:544
	v_mul_u32_u24_e32 v63, 36, v179
	v_xor_b32_e32 v178, s19, v178
	v_xor_b32_e32 v182, s22, v182
	; wave barrier
	s_delay_alu instid0(VALU_DEP_3) | instskip(NEXT) | instid1(VALU_DEP_3)
	v_add_nc_u32_e32 v179, v23, v63
	v_bitop3_b32 v62, v62, v180, v178 bitop3:0x80
	s_delay_alu instid0(VALU_DEP_1) | instskip(NEXT) | instid1(VALU_DEP_1)
	v_bitop3_b32 v62, v62, v182, v181 bitop3:0x80
	v_mbcnt_lo_u32_b32 v178, v62, 0
	v_cmp_ne_u32_e64 s17, 0, v62
	s_delay_alu instid0(VALU_DEP_2) | instskip(SKIP_1) | instid1(SALU_CYCLE_1)
	v_cmp_eq_u32_e32 vcc_lo, 0, v178
	s_and_b32 s18, s17, vcc_lo
	s_and_saveexec_b32 s17, s18
	s_cbranch_execz .LBB936_162
; %bb.161:                              ;   in Loop: Header=BB936_108 Depth=2
	s_wait_dscnt 0x0
	v_bcnt_u32_b32 v62, v62, v177
	ds_store_b32 v179, v62 offset:544
.LBB936_162:                            ;   in Loop: Header=BB936_108 Depth=2
	s_or_b32 exec_lo, exec_lo, s17
	v_xor_b32_e32 v176, 0x7fff, v176
	; wave barrier
	s_delay_alu instid0(VALU_DEP_1) | instskip(NEXT) | instid1(VALU_DEP_1)
	v_and_b32_e32 v62, 0xffff, v176
	v_lshrrev_b32_e32 v62, s43, v62
	s_delay_alu instid0(VALU_DEP_1) | instskip(SKIP_1) | instid1(VALU_DEP_2)
	v_bitop3_b32 v63, v62, 1, s48 bitop3:0x80
	v_and_b32_e32 v182, s48, v62
	v_add_co_u32 v62, s17, v63, -1
	s_delay_alu instid0(VALU_DEP_1) | instskip(NEXT) | instid1(VALU_DEP_3)
	v_cndmask_b32_e64 v63, 0, 1, s17
	v_dual_lshlrev_b32 v180, 30, v182 :: v_dual_lshlrev_b32 v181, 29, v182
	s_delay_alu instid0(VALU_DEP_2) | instskip(NEXT) | instid1(VALU_DEP_2)
	v_cmp_ne_u32_e32 vcc_lo, 0, v63
	v_cmp_gt_i32_e64 s17, 0, v180
	v_not_b32_e32 v63, v180
	s_delay_alu instid0(VALU_DEP_4) | instskip(SKIP_2) | instid1(VALU_DEP_3)
	v_not_b32_e32 v180, v181
	v_cmp_gt_i32_e64 s18, 0, v181
	v_bitop3_b32 v62, vcc_lo, exec_lo, v62 bitop3:0x48
	v_dual_ashrrev_i32 v63, 31, v63 :: v_dual_ashrrev_i32 v180, 31, v180
	v_dual_lshlrev_b32 v183, 28, v182 :: v_dual_lshlrev_b32 v184, 27, v182
	v_dual_lshlrev_b32 v185, 26, v182 :: v_dual_lshlrev_b32 v186, 25, v182
	s_delay_alu instid0(VALU_DEP_2) | instskip(SKIP_1) | instid1(VALU_DEP_4)
	v_cmp_gt_i32_e64 s19, 0, v183
	v_not_b32_e32 v181, v183
	v_cmp_gt_i32_e64 s20, 0, v184
	v_not_b32_e32 v183, v184
	;; [unrolled: 2-line block ×3, first 2 shown]
	v_not_b32_e32 v185, v186
	v_xor_b32_e32 v63, s17, v63
	v_dual_ashrrev_i32 v181, 31, v181 :: v_dual_bitop2_b32 v180, s18, v180 bitop3:0x14
	s_delay_alu instid0(VALU_DEP_4) | instskip(NEXT) | instid1(VALU_DEP_4)
	v_dual_ashrrev_i32 v183, 31, v183 :: v_dual_ashrrev_i32 v184, 31, v184
	v_ashrrev_i32_e32 v185, 31, v185
	s_delay_alu instid0(VALU_DEP_3)
	v_bitop3_b32 v62, v62, v180, v63 bitop3:0x80
	v_mad_u32_u24 v63, v182, 36, v23
	v_cmp_gt_i32_e64 s22, 0, v186
	v_xor_b32_e32 v183, s20, v183
	v_xor_b32_e32 v184, s21, v184
	ds_load_b32 v180, v63 offset:544
	v_mul_u32_u24_e32 v63, 36, v182
	v_xor_b32_e32 v181, s19, v181
	v_xor_b32_e32 v185, s22, v185
	; wave barrier
	s_delay_alu instid0(VALU_DEP_3) | instskip(NEXT) | instid1(VALU_DEP_3)
	v_add_nc_u32_e32 v182, v23, v63
	v_bitop3_b32 v62, v62, v183, v181 bitop3:0x80
	s_delay_alu instid0(VALU_DEP_1) | instskip(NEXT) | instid1(VALU_DEP_1)
	v_bitop3_b32 v62, v62, v185, v184 bitop3:0x80
	v_mbcnt_lo_u32_b32 v181, v62, 0
	v_cmp_ne_u32_e64 s17, 0, v62
	s_delay_alu instid0(VALU_DEP_2) | instskip(SKIP_1) | instid1(SALU_CYCLE_1)
	v_cmp_eq_u32_e32 vcc_lo, 0, v181
	s_and_b32 s18, s17, vcc_lo
	s_and_saveexec_b32 s17, s18
	s_cbranch_execz .LBB936_164
; %bb.163:                              ;   in Loop: Header=BB936_108 Depth=2
	s_wait_dscnt 0x0
	v_bcnt_u32_b32 v62, v62, v180
	ds_store_b32 v182, v62 offset:544
.LBB936_164:                            ;   in Loop: Header=BB936_108 Depth=2
	s_or_b32 exec_lo, exec_lo, s17
	v_xor_b32_e32 v174, 0x7fff, v174
	; wave barrier
	s_delay_alu instid0(VALU_DEP_1) | instskip(NEXT) | instid1(VALU_DEP_1)
	v_and_b32_e32 v62, 0xffff, v174
	v_lshrrev_b32_e32 v62, s43, v62
	s_delay_alu instid0(VALU_DEP_1) | instskip(NEXT) | instid1(VALU_DEP_1)
	v_and_b32_e32 v185, s48, v62
	v_lshlrev_b32_e32 v183, 30, v185
	v_bitop3_b32 v63, v62, 1, s48 bitop3:0x80
	s_delay_alu instid0(VALU_DEP_1) | instskip(NEXT) | instid1(VALU_DEP_1)
	v_add_co_u32 v62, s17, v63, -1
	v_cndmask_b32_e64 v63, 0, 1, s17
	s_delay_alu instid0(VALU_DEP_4) | instskip(NEXT) | instid1(VALU_DEP_2)
	v_cmp_gt_i32_e64 s17, 0, v183
	v_cmp_ne_u32_e32 vcc_lo, 0, v63
	v_not_b32_e32 v63, v183
	v_bitop3_b32 v62, vcc_lo, exec_lo, v62 bitop3:0x48
	s_delay_alu instid0(VALU_DEP_2) | instskip(SKIP_2) | instid1(VALU_DEP_3)
	v_dual_ashrrev_i32 v63, 31, v63 :: v_dual_lshlrev_b32 v184, 29, v185
	v_dual_lshlrev_b32 v186, 28, v185 :: v_dual_lshlrev_b32 v187, 27, v185
	v_lshlrev_b32_e32 v188, 26, v185
	v_not_b32_e32 v183, v184
	v_lshlrev_b32_e32 v189, 25, v185
	v_cmp_gt_i32_e64 s18, 0, v184
	v_cmp_gt_i32_e64 s19, 0, v186
	v_not_b32_e32 v184, v186
	v_ashrrev_i32_e32 v183, 31, v183
	v_cmp_gt_i32_e64 s20, 0, v187
	v_not_b32_e32 v186, v187
	v_cmp_gt_i32_e64 s21, 0, v188
	v_not_b32_e32 v187, v188
	v_not_b32_e32 v188, v189
	v_xor_b32_e32 v63, s17, v63
	v_dual_ashrrev_i32 v184, 31, v184 :: v_dual_bitop2_b32 v183, s18, v183 bitop3:0x14
	s_delay_alu instid0(VALU_DEP_3) | instskip(SKIP_1) | instid1(VALU_DEP_3)
	v_dual_ashrrev_i32 v186, 31, v186 :: v_dual_ashrrev_i32 v188, 31, v188
	v_cmp_gt_i32_e64 s22, 0, v189
	v_bitop3_b32 v62, v62, v183, v63 bitop3:0x80
	v_mad_u32_u24 v63, v185, 36, v23
	v_dual_ashrrev_i32 v187, 31, v187 :: v_dual_bitop2_b32 v184, s19, v184 bitop3:0x14
	s_delay_alu instid0(VALU_DEP_4) | instskip(SKIP_4) | instid1(VALU_DEP_3)
	v_xor_b32_e32 v188, s22, v188
	ds_load_b32 v183, v63 offset:544
	v_mul_u32_u24_e32 v63, 36, v185
	v_xor_b32_e32 v186, s20, v186
	v_xor_b32_e32 v187, s21, v187
	; wave barrier
	v_add_nc_u32_e32 v185, v23, v63
	s_delay_alu instid0(VALU_DEP_3) | instskip(NEXT) | instid1(VALU_DEP_1)
	v_bitop3_b32 v62, v62, v186, v184 bitop3:0x80
	v_bitop3_b32 v62, v62, v188, v187 bitop3:0x80
	s_delay_alu instid0(VALU_DEP_1) | instskip(SKIP_1) | instid1(VALU_DEP_2)
	v_mbcnt_lo_u32_b32 v184, v62, 0
	v_cmp_ne_u32_e64 s17, 0, v62
	v_cmp_eq_u32_e32 vcc_lo, 0, v184
	s_and_b32 s18, s17, vcc_lo
	s_delay_alu instid0(SALU_CYCLE_1)
	s_and_saveexec_b32 s17, s18
	s_cbranch_execz .LBB936_166
; %bb.165:                              ;   in Loop: Header=BB936_108 Depth=2
	s_wait_dscnt 0x0
	v_bcnt_u32_b32 v62, v62, v183
	ds_store_b32 v185, v62 offset:544
.LBB936_166:                            ;   in Loop: Header=BB936_108 Depth=2
	s_or_b32 exec_lo, exec_lo, s17
	v_xor_b32_e32 v169, 0x7fff, v169
	; wave barrier
	s_delay_alu instid0(VALU_DEP_1) | instskip(NEXT) | instid1(VALU_DEP_1)
	v_and_b32_e32 v62, 0xffff, v169
	v_lshrrev_b32_e32 v62, s43, v62
	s_delay_alu instid0(VALU_DEP_1) | instskip(SKIP_1) | instid1(VALU_DEP_2)
	v_bitop3_b32 v63, v62, 1, s48 bitop3:0x80
	v_and_b32_e32 v186, s48, v62
	v_add_co_u32 v62, s17, v63, -1
	s_delay_alu instid0(VALU_DEP_1) | instskip(NEXT) | instid1(VALU_DEP_3)
	v_cndmask_b32_e64 v63, 0, 1, s17
	v_dual_lshlrev_b32 v187, 30, v186 :: v_dual_lshlrev_b32 v188, 29, v186
	s_delay_alu instid0(VALU_DEP_2) | instskip(NEXT) | instid1(VALU_DEP_2)
	v_cmp_ne_u32_e32 vcc_lo, 0, v63
	v_cmp_gt_i32_e64 s17, 0, v187
	v_not_b32_e32 v63, v187
	s_delay_alu instid0(VALU_DEP_4) | instskip(SKIP_2) | instid1(VALU_DEP_4)
	v_not_b32_e32 v187, v188
	v_cmp_gt_i32_e64 s18, 0, v188
	v_bitop3_b32 v62, vcc_lo, exec_lo, v62 bitop3:0x48
	v_ashrrev_i32_e32 v63, 31, v63
	s_delay_alu instid0(VALU_DEP_4) | instskip(SKIP_1) | instid1(VALU_DEP_2)
	v_dual_ashrrev_i32 v187, 31, v187 :: v_dual_lshlrev_b32 v189, 28, v186
	v_dual_lshlrev_b32 v190, 27, v186 :: v_dual_lshlrev_b32 v191, 26, v186
	v_dual_lshlrev_b32 v192, 25, v186 :: v_dual_bitop2_b32 v187, s18, v187 bitop3:0x14
	s_delay_alu instid0(VALU_DEP_3) | instskip(SKIP_1) | instid1(VALU_DEP_4)
	v_cmp_gt_i32_e64 s19, 0, v189
	v_not_b32_e32 v188, v189
	v_cmp_gt_i32_e64 s20, 0, v190
	v_not_b32_e32 v189, v190
	v_not_b32_e32 v190, v191
	v_xor_b32_e32 v63, s17, v63
	v_cmp_gt_i32_e64 s21, 0, v191
	v_not_b32_e32 v191, v192
	v_dual_ashrrev_i32 v188, 31, v188 :: v_dual_ashrrev_i32 v189, 31, v189
	v_ashrrev_i32_e32 v190, 31, v190
	v_bitop3_b32 v62, v62, v187, v63 bitop3:0x80
	v_mad_u32_u24 v63, v186, 36, v23
	v_cmp_gt_i32_e64 s22, 0, v192
	v_dual_ashrrev_i32 v191, 31, v191 :: v_dual_bitop2_b32 v188, s19, v188 bitop3:0x14
	v_xor_b32_e32 v190, s21, v190
	ds_load_b32 v187, v63 offset:544
	v_mul_u32_u24_e32 v63, 36, v186
	v_xor_b32_e32 v189, s20, v189
	v_xor_b32_e32 v191, s22, v191
	; wave barrier
	s_delay_alu instid0(VALU_DEP_2) | instskip(NEXT) | instid1(VALU_DEP_1)
	v_bitop3_b32 v62, v62, v189, v188 bitop3:0x80
	v_bitop3_b32 v62, v62, v191, v190 bitop3:0x80
	v_add_nc_u32_e32 v190, v23, v63
	s_delay_alu instid0(VALU_DEP_2) | instskip(SKIP_1) | instid1(VALU_DEP_2)
	v_mbcnt_lo_u32_b32 v188, v62, 0
	v_cmp_ne_u32_e64 s17, 0, v62
	v_cmp_eq_u32_e32 vcc_lo, 0, v188
	s_and_b32 s18, s17, vcc_lo
	s_delay_alu instid0(SALU_CYCLE_1)
	s_and_saveexec_b32 s17, s18
	s_cbranch_execz .LBB936_168
; %bb.167:                              ;   in Loop: Header=BB936_108 Depth=2
	s_wait_dscnt 0x0
	v_bcnt_u32_b32 v62, v62, v187
	ds_store_b32 v190, v62 offset:544
.LBB936_168:                            ;   in Loop: Header=BB936_108 Depth=2
	s_or_b32 exec_lo, exec_lo, s17
	v_xor_b32_e32 v186, 0x7fff, v164
	; wave barrier
	s_delay_alu instid0(VALU_DEP_1) | instskip(NEXT) | instid1(VALU_DEP_1)
	v_and_b32_e32 v62, 0xffff, v186
	v_lshrrev_b32_e32 v62, s43, v62
	s_delay_alu instid0(VALU_DEP_1) | instskip(NEXT) | instid1(VALU_DEP_1)
	v_and_b32_e32 v164, s48, v62
	v_lshlrev_b32_e32 v189, 30, v164
	v_bitop3_b32 v63, v62, 1, s48 bitop3:0x80
	s_delay_alu instid0(VALU_DEP_1) | instskip(NEXT) | instid1(VALU_DEP_1)
	v_add_co_u32 v62, s17, v63, -1
	v_cndmask_b32_e64 v63, 0, 1, s17
	s_delay_alu instid0(VALU_DEP_4) | instskip(NEXT) | instid1(VALU_DEP_2)
	v_cmp_gt_i32_e64 s17, 0, v189
	v_cmp_ne_u32_e32 vcc_lo, 0, v63
	v_not_b32_e32 v63, v189
	v_bitop3_b32 v62, vcc_lo, exec_lo, v62 bitop3:0x48
	s_delay_alu instid0(VALU_DEP_2) | instskip(SKIP_2) | instid1(VALU_DEP_3)
	v_dual_ashrrev_i32 v63, 31, v63 :: v_dual_lshlrev_b32 v191, 29, v164
	v_dual_lshlrev_b32 v192, 28, v164 :: v_dual_lshlrev_b32 v193, 27, v164
	v_lshlrev_b32_e32 v194, 26, v164
	v_not_b32_e32 v189, v191
	v_lshlrev_b32_e32 v195, 25, v164
	v_cmp_gt_i32_e64 s18, 0, v191
	v_cmp_gt_i32_e64 s19, 0, v192
	v_not_b32_e32 v191, v192
	v_not_b32_e32 v192, v193
	v_ashrrev_i32_e32 v189, 31, v189
	v_cmp_gt_i32_e64 s20, 0, v193
	v_cmp_gt_i32_e64 s21, 0, v194
	v_not_b32_e32 v193, v194
	v_not_b32_e32 v194, v195
	v_dual_ashrrev_i32 v191, 31, v191 :: v_dual_ashrrev_i32 v192, 31, v192
	s_delay_alu instid0(VALU_DEP_3) | instskip(NEXT) | instid1(VALU_DEP_3)
	v_dual_ashrrev_i32 v193, 31, v193 :: v_dual_bitop2_b32 v63, s17, v63 bitop3:0x14
	v_dual_ashrrev_i32 v194, 31, v194 :: v_dual_bitop2_b32 v189, s18, v189 bitop3:0x14
	v_cmp_gt_i32_e64 s22, 0, v195
	s_delay_alu instid0(VALU_DEP_4) | instskip(SKIP_1) | instid1(VALU_DEP_4)
	v_xor_b32_e32 v191, s19, v191
	v_xor_b32_e32 v192, s20, v192
	v_bitop3_b32 v62, v62, v189, v63 bitop3:0x80
	v_mad_u32_u24 v63, v164, 36, v23
	v_xor_b32_e32 v189, s21, v193
	v_xor_b32_e32 v193, s22, v194
	s_delay_alu instid0(VALU_DEP_4) | instskip(SKIP_3) | instid1(VALU_DEP_2)
	v_bitop3_b32 v62, v62, v192, v191 bitop3:0x80
	ds_load_b32 v191, v63 offset:544
	v_mul_u32_u24_e32 v63, 36, v164
	; wave barrier
	v_bitop3_b32 v62, v62, v193, v189 bitop3:0x80
	v_add_nc_u32_e32 v164, v23, v63
	s_delay_alu instid0(VALU_DEP_2) | instskip(SKIP_1) | instid1(VALU_DEP_2)
	v_mbcnt_lo_u32_b32 v192, v62, 0
	v_cmp_ne_u32_e64 s17, 0, v62
	v_cmp_eq_u32_e32 vcc_lo, 0, v192
	s_and_b32 s18, s17, vcc_lo
	s_delay_alu instid0(SALU_CYCLE_1)
	s_and_saveexec_b32 s17, s18
	s_cbranch_execz .LBB936_170
; %bb.169:                              ;   in Loop: Header=BB936_108 Depth=2
	s_wait_dscnt 0x0
	v_bcnt_u32_b32 v62, v62, v191
	ds_store_b32 v164, v62 offset:544
.LBB936_170:                            ;   in Loop: Header=BB936_108 Depth=2
	s_or_b32 exec_lo, exec_lo, s17
	v_xor_b32_e32 v189, 0x7fff, v161
	; wave barrier
	s_delay_alu instid0(VALU_DEP_1) | instskip(NEXT) | instid1(VALU_DEP_1)
	v_and_b32_e32 v62, 0xffff, v189
	v_lshrrev_b32_e32 v62, s43, v62
	s_delay_alu instid0(VALU_DEP_1) | instskip(NEXT) | instid1(VALU_DEP_1)
	v_and_b32_e32 v161, s48, v62
	v_lshlrev_b32_e32 v193, 30, v161
	v_bitop3_b32 v63, v62, 1, s48 bitop3:0x80
	s_delay_alu instid0(VALU_DEP_1) | instskip(NEXT) | instid1(VALU_DEP_1)
	v_add_co_u32 v62, s17, v63, -1
	v_cndmask_b32_e64 v63, 0, 1, s17
	s_delay_alu instid0(VALU_DEP_4) | instskip(NEXT) | instid1(VALU_DEP_2)
	v_cmp_gt_i32_e64 s17, 0, v193
	v_cmp_ne_u32_e32 vcc_lo, 0, v63
	v_not_b32_e32 v63, v193
	v_bitop3_b32 v62, vcc_lo, exec_lo, v62 bitop3:0x48
	s_delay_alu instid0(VALU_DEP_2) | instskip(SKIP_2) | instid1(VALU_DEP_3)
	v_dual_ashrrev_i32 v63, 31, v63 :: v_dual_lshlrev_b32 v194, 29, v161
	v_dual_lshlrev_b32 v195, 28, v161 :: v_dual_lshlrev_b32 v196, 27, v161
	v_lshlrev_b32_e32 v197, 26, v161
	v_not_b32_e32 v193, v194
	v_cmp_gt_i32_e64 s18, 0, v194
	s_delay_alu instid0(VALU_DEP_4)
	v_cmp_gt_i32_e64 s19, 0, v195
	v_not_b32_e32 v194, v195
	v_lshlrev_b32_e32 v198, 25, v161
	v_not_b32_e32 v195, v196
	v_ashrrev_i32_e32 v193, 31, v193
	v_cmp_gt_i32_e64 s20, 0, v196
	v_cmp_gt_i32_e64 s21, 0, v197
	v_not_b32_e32 v196, v197
	v_ashrrev_i32_e32 v194, 31, v194
	v_not_b32_e32 v197, v198
	v_ashrrev_i32_e32 v195, 31, v195
	s_delay_alu instid0(VALU_DEP_4) | instskip(SKIP_4) | instid1(VALU_DEP_4)
	v_dual_ashrrev_i32 v196, 31, v196 :: v_dual_bitop2_b32 v63, s17, v63 bitop3:0x14
	v_xor_b32_e32 v193, s18, v193
	v_cmp_gt_i32_e64 s22, 0, v198
	v_dual_ashrrev_i32 v197, 31, v197 :: v_dual_bitop2_b32 v194, s19, v194 bitop3:0x14
	v_xor_b32_e32 v195, s20, v195
	v_bitop3_b32 v62, v62, v193, v63 bitop3:0x80
	v_mad_u32_u24 v63, v161, 36, v23
	v_xor_b32_e32 v193, s21, v196
	v_xor_b32_e32 v196, s22, v197
	s_delay_alu instid0(VALU_DEP_4) | instskip(SKIP_3) | instid1(VALU_DEP_2)
	v_bitop3_b32 v62, v62, v195, v194 bitop3:0x80
	ds_load_b32 v194, v63 offset:544
	v_mul_u32_u24_e32 v63, 36, v161
	; wave barrier
	v_bitop3_b32 v62, v62, v196, v193 bitop3:0x80
	v_add_nc_u32_e32 v161, v23, v63
	s_delay_alu instid0(VALU_DEP_2) | instskip(SKIP_1) | instid1(VALU_DEP_2)
	v_mbcnt_lo_u32_b32 v195, v62, 0
	v_cmp_ne_u32_e64 s17, 0, v62
	v_cmp_eq_u32_e32 vcc_lo, 0, v195
	s_and_b32 s18, s17, vcc_lo
	s_delay_alu instid0(SALU_CYCLE_1)
	s_and_saveexec_b32 s17, s18
	s_cbranch_execz .LBB936_172
; %bb.171:                              ;   in Loop: Header=BB936_108 Depth=2
	s_wait_dscnt 0x0
	v_bcnt_u32_b32 v62, v62, v194
	ds_store_b32 v161, v62 offset:544
.LBB936_172:                            ;   in Loop: Header=BB936_108 Depth=2
	s_or_b32 exec_lo, exec_lo, s17
	v_xor_b32_e32 v193, 0x7fff, v156
	; wave barrier
	s_delay_alu instid0(VALU_DEP_1) | instskip(NEXT) | instid1(VALU_DEP_1)
	v_and_b32_e32 v62, 0xffff, v193
	v_lshrrev_b32_e32 v62, s43, v62
	s_delay_alu instid0(VALU_DEP_1) | instskip(NEXT) | instid1(VALU_DEP_1)
	v_and_b32_e32 v156, s48, v62
	v_lshlrev_b32_e32 v196, 30, v156
	v_bitop3_b32 v63, v62, 1, s48 bitop3:0x80
	s_delay_alu instid0(VALU_DEP_1) | instskip(NEXT) | instid1(VALU_DEP_1)
	v_add_co_u32 v62, s17, v63, -1
	v_cndmask_b32_e64 v63, 0, 1, s17
	s_delay_alu instid0(VALU_DEP_4) | instskip(NEXT) | instid1(VALU_DEP_2)
	v_cmp_gt_i32_e64 s17, 0, v196
	v_cmp_ne_u32_e32 vcc_lo, 0, v63
	v_not_b32_e32 v63, v196
	v_bitop3_b32 v62, vcc_lo, exec_lo, v62 bitop3:0x48
	s_delay_alu instid0(VALU_DEP_2) | instskip(SKIP_2) | instid1(VALU_DEP_3)
	v_dual_ashrrev_i32 v63, 31, v63 :: v_dual_lshlrev_b32 v197, 29, v156
	v_dual_lshlrev_b32 v198, 28, v156 :: v_dual_lshlrev_b32 v199, 27, v156
	v_lshlrev_b32_e32 v200, 26, v156
	v_not_b32_e32 v196, v197
	v_cmp_gt_i32_e64 s18, 0, v197
	s_delay_alu instid0(VALU_DEP_4)
	v_cmp_gt_i32_e64 s19, 0, v198
	v_not_b32_e32 v197, v198
	v_lshlrev_b32_e32 v201, 25, v156
	v_not_b32_e32 v198, v199
	v_ashrrev_i32_e32 v196, 31, v196
	v_cmp_gt_i32_e64 s20, 0, v199
	v_cmp_gt_i32_e64 s21, 0, v200
	v_not_b32_e32 v199, v200
	v_ashrrev_i32_e32 v197, 31, v197
	v_not_b32_e32 v200, v201
	v_dual_ashrrev_i32 v198, 31, v198 :: v_dual_bitop2_b32 v63, s17, v63 bitop3:0x14
	s_delay_alu instid0(VALU_DEP_4) | instskip(SKIP_1) | instid1(VALU_DEP_4)
	v_dual_ashrrev_i32 v199, 31, v199 :: v_dual_bitop2_b32 v196, s18, v196 bitop3:0x14
	v_cmp_gt_i32_e64 s22, 0, v201
	v_dual_ashrrev_i32 v200, 31, v200 :: v_dual_bitop2_b32 v197, s19, v197 bitop3:0x14
	s_delay_alu instid0(VALU_DEP_4) | instskip(NEXT) | instid1(VALU_DEP_4)
	v_xor_b32_e32 v198, s20, v198
	v_bitop3_b32 v62, v62, v196, v63 bitop3:0x80
	v_mad_u32_u24 v63, v156, 36, v23
	v_xor_b32_e32 v196, s21, v199
	v_xor_b32_e32 v199, s22, v200
	s_delay_alu instid0(VALU_DEP_4) | instskip(SKIP_3) | instid1(VALU_DEP_2)
	v_bitop3_b32 v62, v62, v198, v197 bitop3:0x80
	ds_load_b32 v197, v63 offset:544
	v_mul_u32_u24_e32 v63, 36, v156
	; wave barrier
	v_bitop3_b32 v62, v62, v199, v196 bitop3:0x80
	v_add_nc_u32_e32 v156, v23, v63
	s_delay_alu instid0(VALU_DEP_2) | instskip(SKIP_1) | instid1(VALU_DEP_2)
	v_mbcnt_lo_u32_b32 v198, v62, 0
	v_cmp_ne_u32_e64 s17, 0, v62
	v_cmp_eq_u32_e32 vcc_lo, 0, v198
	s_and_b32 s18, s17, vcc_lo
	s_delay_alu instid0(SALU_CYCLE_1)
	s_and_saveexec_b32 s17, s18
	s_cbranch_execz .LBB936_174
; %bb.173:                              ;   in Loop: Header=BB936_108 Depth=2
	s_wait_dscnt 0x0
	v_bcnt_u32_b32 v62, v62, v197
	ds_store_b32 v156, v62 offset:544
.LBB936_174:                            ;   in Loop: Header=BB936_108 Depth=2
	s_or_b32 exec_lo, exec_lo, s17
	v_xor_b32_e32 v196, 0x7fff, v65
	; wave barrier
	s_delay_alu instid0(VALU_DEP_1) | instskip(NEXT) | instid1(VALU_DEP_1)
	v_and_b32_e32 v62, 0xffff, v196
	v_lshrrev_b32_e32 v62, s43, v62
	s_delay_alu instid0(VALU_DEP_1) | instskip(NEXT) | instid1(VALU_DEP_1)
	v_and_b32_e32 v65, s48, v62
	v_lshlrev_b32_e32 v199, 30, v65
	v_bitop3_b32 v63, v62, 1, s48 bitop3:0x80
	s_delay_alu instid0(VALU_DEP_1) | instskip(NEXT) | instid1(VALU_DEP_1)
	v_add_co_u32 v62, s17, v63, -1
	v_cndmask_b32_e64 v63, 0, 1, s17
	s_delay_alu instid0(VALU_DEP_4) | instskip(NEXT) | instid1(VALU_DEP_2)
	v_cmp_gt_i32_e64 s17, 0, v199
	v_cmp_ne_u32_e32 vcc_lo, 0, v63
	v_not_b32_e32 v63, v199
	v_bitop3_b32 v62, vcc_lo, exec_lo, v62 bitop3:0x48
	s_delay_alu instid0(VALU_DEP_2) | instskip(SKIP_2) | instid1(VALU_DEP_3)
	v_dual_ashrrev_i32 v63, 31, v63 :: v_dual_lshlrev_b32 v200, 29, v65
	v_dual_lshlrev_b32 v201, 28, v65 :: v_dual_lshlrev_b32 v202, 27, v65
	v_lshlrev_b32_e32 v203, 26, v65
	v_not_b32_e32 v199, v200
	v_lshlrev_b32_e32 v204, 25, v65
	v_cmp_gt_i32_e64 s18, 0, v200
	v_cmp_gt_i32_e64 s19, 0, v201
	v_not_b32_e32 v200, v201
	v_not_b32_e32 v201, v202
	v_ashrrev_i32_e32 v199, 31, v199
	v_cmp_gt_i32_e64 s20, 0, v202
	v_cmp_gt_i32_e64 s21, 0, v203
	v_not_b32_e32 v202, v203
	v_not_b32_e32 v203, v204
	v_dual_ashrrev_i32 v200, 31, v200 :: v_dual_ashrrev_i32 v201, 31, v201
	s_delay_alu instid0(VALU_DEP_3) | instskip(SKIP_2) | instid1(VALU_DEP_4)
	v_dual_ashrrev_i32 v202, 31, v202 :: v_dual_bitop2_b32 v63, s17, v63 bitop3:0x14
	v_xor_b32_e32 v199, s18, v199
	v_cmp_gt_i32_e64 s22, 0, v204
	v_dual_ashrrev_i32 v203, 31, v203 :: v_dual_bitop2_b32 v200, s19, v200 bitop3:0x14
	v_xor_b32_e32 v201, s20, v201
	s_delay_alu instid0(VALU_DEP_4) | instskip(SKIP_3) | instid1(VALU_DEP_4)
	v_bitop3_b32 v62, v62, v199, v63 bitop3:0x80
	v_mad_u32_u24 v63, v65, 36, v23
	v_xor_b32_e32 v199, s21, v202
	v_xor_b32_e32 v202, s22, v203
	v_bitop3_b32 v62, v62, v201, v200 bitop3:0x80
	ds_load_b32 v200, v63 offset:544
	v_mul_u32_u24_e32 v63, 36, v65
	; wave barrier
	v_bitop3_b32 v62, v62, v202, v199 bitop3:0x80
	s_delay_alu instid0(VALU_DEP_2) | instskip(NEXT) | instid1(VALU_DEP_2)
	v_add_nc_u32_e32 v202, v23, v63
	v_mbcnt_lo_u32_b32 v201, v62, 0
	v_cmp_ne_u32_e64 s17, 0, v62
	s_delay_alu instid0(VALU_DEP_2) | instskip(SKIP_1) | instid1(SALU_CYCLE_1)
	v_cmp_eq_u32_e32 vcc_lo, 0, v201
	s_and_b32 s18, s17, vcc_lo
	s_and_saveexec_b32 s17, s18
	s_cbranch_execz .LBB936_176
; %bb.175:                              ;   in Loop: Header=BB936_108 Depth=2
	s_wait_dscnt 0x0
	v_bcnt_u32_b32 v62, v62, v200
	ds_store_b32 v202, v62 offset:544
.LBB936_176:                            ;   in Loop: Header=BB936_108 Depth=2
	s_or_b32 exec_lo, exec_lo, s17
	v_xor_b32_e32 v199, 0x7fff, v64
	; wave barrier
	s_delay_alu instid0(VALU_DEP_1) | instskip(NEXT) | instid1(VALU_DEP_1)
	v_and_b32_e32 v62, 0xffff, v199
	v_lshrrev_b32_e32 v62, s43, v62
	s_delay_alu instid0(VALU_DEP_1) | instskip(NEXT) | instid1(VALU_DEP_1)
	v_and_b32_e32 v64, s48, v62
	v_lshlrev_b32_e32 v65, 30, v64
	v_bitop3_b32 v63, v62, 1, s48 bitop3:0x80
	s_delay_alu instid0(VALU_DEP_1) | instskip(NEXT) | instid1(VALU_DEP_1)
	v_add_co_u32 v62, s17, v63, -1
	v_cndmask_b32_e64 v63, 0, 1, s17
	s_delay_alu instid0(VALU_DEP_4) | instskip(NEXT) | instid1(VALU_DEP_2)
	v_cmp_gt_i32_e64 s17, 0, v65
	v_cmp_ne_u32_e32 vcc_lo, 0, v63
	v_not_b32_e32 v63, v65
	v_bitop3_b32 v62, vcc_lo, exec_lo, v62 bitop3:0x48
	s_delay_alu instid0(VALU_DEP_2) | instskip(SKIP_2) | instid1(VALU_DEP_3)
	v_dual_ashrrev_i32 v63, 31, v63 :: v_dual_lshlrev_b32 v203, 29, v64
	v_dual_lshlrev_b32 v204, 28, v64 :: v_dual_lshlrev_b32 v205, 27, v64
	v_lshlrev_b32_e32 v206, 26, v64
	v_not_b32_e32 v65, v203
	v_lshlrev_b32_e32 v207, 25, v64
	v_cmp_gt_i32_e64 s18, 0, v203
	v_cmp_gt_i32_e64 s19, 0, v204
	v_not_b32_e32 v203, v204
	v_not_b32_e32 v204, v205
	v_ashrrev_i32_e32 v65, 31, v65
	v_cmp_gt_i32_e64 s20, 0, v205
	v_cmp_gt_i32_e64 s21, 0, v206
	v_not_b32_e32 v205, v206
	v_not_b32_e32 v206, v207
	v_dual_ashrrev_i32 v203, 31, v203 :: v_dual_ashrrev_i32 v204, 31, v204
	s_delay_alu instid0(VALU_DEP_3) | instskip(NEXT) | instid1(VALU_DEP_3)
	v_dual_ashrrev_i32 v205, 31, v205 :: v_dual_bitop2_b32 v63, s17, v63 bitop3:0x14
	v_dual_ashrrev_i32 v206, 31, v206 :: v_dual_bitop2_b32 v65, s18, v65 bitop3:0x14
	v_cmp_gt_i32_e64 s22, 0, v207
	s_delay_alu instid0(VALU_DEP_4) | instskip(SKIP_1) | instid1(VALU_DEP_4)
	v_xor_b32_e32 v203, s19, v203
	v_xor_b32_e32 v204, s20, v204
	v_bitop3_b32 v62, v62, v65, v63 bitop3:0x80
	v_mad_u32_u24 v63, v64, 36, v23
	v_xor_b32_e32 v65, s21, v205
	v_xor_b32_e32 v205, s22, v206
	s_delay_alu instid0(VALU_DEP_4) | instskip(SKIP_3) | instid1(VALU_DEP_2)
	v_bitop3_b32 v62, v62, v204, v203 bitop3:0x80
	ds_load_b32 v203, v63 offset:544
	v_mul_u32_u24_e32 v63, 36, v64
	; wave barrier
	v_bitop3_b32 v62, v62, v205, v65 bitop3:0x80
	v_add_nc_u32_e32 v205, v23, v63
	s_delay_alu instid0(VALU_DEP_2) | instskip(SKIP_1) | instid1(VALU_DEP_2)
	v_mbcnt_lo_u32_b32 v204, v62, 0
	v_cmp_ne_u32_e64 s17, 0, v62
	v_cmp_eq_u32_e32 vcc_lo, 0, v204
	s_and_b32 s18, s17, vcc_lo
	s_delay_alu instid0(SALU_CYCLE_1)
	s_and_saveexec_b32 s17, s18
	s_cbranch_execz .LBB936_178
; %bb.177:                              ;   in Loop: Header=BB936_108 Depth=2
	s_wait_dscnt 0x0
	v_bcnt_u32_b32 v62, v62, v203
	ds_store_b32 v205, v62 offset:544
.LBB936_178:                            ;   in Loop: Header=BB936_108 Depth=2
	s_or_b32 exec_lo, exec_lo, s17
	v_and_b32_e32 v62, 0xffff, v142
	; wave barrier
	s_delay_alu instid0(VALU_DEP_1) | instskip(NEXT) | instid1(VALU_DEP_1)
	v_lshrrev_b32_e32 v62, s43, v62
	v_and_b32_e32 v64, s48, v62
	s_delay_alu instid0(VALU_DEP_1) | instskip(SKIP_1) | instid1(VALU_DEP_1)
	v_lshlrev_b32_e32 v65, 30, v64
	v_bitop3_b32 v63, v62, 1, s48 bitop3:0x80
	v_add_co_u32 v62, s17, v63, -1
	s_delay_alu instid0(VALU_DEP_1) | instskip(NEXT) | instid1(VALU_DEP_4)
	v_cndmask_b32_e64 v63, 0, 1, s17
	v_cmp_gt_i32_e64 s17, 0, v65
	s_delay_alu instid0(VALU_DEP_2) | instskip(SKIP_2) | instid1(VALU_DEP_2)
	v_cmp_ne_u32_e32 vcc_lo, 0, v63
	v_not_b32_e32 v63, v65
	v_bitop3_b32 v62, vcc_lo, exec_lo, v62 bitop3:0x48
	v_dual_ashrrev_i32 v63, 31, v63 :: v_dual_lshlrev_b32 v206, 29, v64
	v_dual_lshlrev_b32 v207, 28, v64 :: v_dual_lshlrev_b32 v208, 27, v64
	v_lshlrev_b32_e32 v209, 26, v64
	s_delay_alu instid0(VALU_DEP_3)
	v_not_b32_e32 v65, v206
	v_lshlrev_b32_e32 v210, 25, v64
	v_cmp_gt_i32_e64 s18, 0, v206
	v_cmp_gt_i32_e64 s19, 0, v207
	v_not_b32_e32 v206, v207
	v_not_b32_e32 v207, v208
	v_ashrrev_i32_e32 v65, 31, v65
	v_cmp_gt_i32_e64 s20, 0, v208
	v_cmp_gt_i32_e64 s21, 0, v209
	v_not_b32_e32 v208, v209
	v_dual_ashrrev_i32 v206, 31, v206 :: v_dual_ashrrev_i32 v207, 31, v207
	v_xor_b32_e32 v63, s17, v63
	v_xor_b32_e32 v65, s18, v65
	v_not_b32_e32 v209, v210
	s_delay_alu instid0(VALU_DEP_4) | instskip(SKIP_1) | instid1(VALU_DEP_4)
	v_dual_ashrrev_i32 v208, 31, v208 :: v_dual_bitop2_b32 v206, s19, v206 bitop3:0x14
	v_xor_b32_e32 v207, s20, v207
	v_bitop3_b32 v62, v62, v65, v63 bitop3:0x80
	v_cmp_gt_i32_e32 vcc_lo, 0, v210
	v_ashrrev_i32_e32 v63, 31, v209
	v_mad_u32_u24 v65, v64, 36, v23
	v_xor_b32_e32 v208, s21, v208
	v_bitop3_b32 v62, v62, v207, v206 bitop3:0x80
	s_delay_alu instid0(VALU_DEP_4) | instskip(SKIP_3) | instid1(VALU_DEP_2)
	v_xor_b32_e32 v63, vcc_lo, v63
	ds_load_b32 v206, v65 offset:544
	; wave barrier
	v_bitop3_b32 v62, v62, v63, v208 bitop3:0x80
	v_mul_u32_u24_e32 v63, 36, v64
	v_mbcnt_lo_u32_b32 v207, v62, 0
	v_cmp_ne_u32_e64 s17, 0, v62
	s_delay_alu instid0(VALU_DEP_3) | instskip(NEXT) | instid1(VALU_DEP_3)
	v_add_nc_u32_e32 v208, v23, v63
	v_cmp_eq_u32_e32 vcc_lo, 0, v207
	s_and_b32 s18, s17, vcc_lo
	s_delay_alu instid0(SALU_CYCLE_1)
	s_and_saveexec_b32 s17, s18
	s_cbranch_execz .LBB936_180
; %bb.179:                              ;   in Loop: Header=BB936_108 Depth=2
	s_wait_dscnt 0x0
	v_bcnt_u32_b32 v62, v62, v206
	ds_store_b32 v208, v62 offset:544
.LBB936_180:                            ;   in Loop: Header=BB936_108 Depth=2
	s_or_b32 exec_lo, exec_lo, s17
	; wave barrier
	s_wait_dscnt 0x0
	s_barrier_signal -1
	s_barrier_wait -1
	ds_load_2addr_b32 v[64:65], v89 offset0:136 offset1:137
	ds_load_2addr_b32 v[62:63], v89 offset0:138 offset1:139
	ds_load_b32 v209, v89 offset:560
	s_wait_dscnt 0x1
	v_add3_u32 v210, v65, v64, v62
	s_wait_dscnt 0x0
	s_delay_alu instid0(VALU_DEP_1) | instskip(NEXT) | instid1(VALU_DEP_1)
	v_add3_u32 v209, v210, v63, v209
	v_mov_b32_dpp v210, v209 row_shr:1 row_mask:0xf bank_mask:0xf
	s_delay_alu instid0(VALU_DEP_1) | instskip(NEXT) | instid1(VALU_DEP_1)
	v_cndmask_b32_e64 v210, v210, 0, s9
	v_add_nc_u32_e32 v209, v210, v209
	s_delay_alu instid0(VALU_DEP_1) | instskip(NEXT) | instid1(VALU_DEP_1)
	v_mov_b32_dpp v210, v209 row_shr:2 row_mask:0xf bank_mask:0xf
	v_cndmask_b32_e64 v210, 0, v210, s10
	s_delay_alu instid0(VALU_DEP_1) | instskip(NEXT) | instid1(VALU_DEP_1)
	v_add_nc_u32_e32 v209, v209, v210
	v_mov_b32_dpp v210, v209 row_shr:4 row_mask:0xf bank_mask:0xf
	s_delay_alu instid0(VALU_DEP_1) | instskip(NEXT) | instid1(VALU_DEP_1)
	v_cndmask_b32_e64 v210, 0, v210, s11
	v_add_nc_u32_e32 v209, v209, v210
	s_delay_alu instid0(VALU_DEP_1) | instskip(NEXT) | instid1(VALU_DEP_1)
	v_mov_b32_dpp v210, v209 row_shr:8 row_mask:0xf bank_mask:0xf
	v_cndmask_b32_e64 v210, 0, v210, s12
	s_delay_alu instid0(VALU_DEP_1) | instskip(SKIP_3) | instid1(VALU_DEP_1)
	v_add_nc_u32_e32 v209, v209, v210
	ds_swizzle_b32 v210, v209 offset:swizzle(BROADCAST,32,15)
	s_wait_dscnt 0x0
	v_cndmask_b32_e64 v210, v210, 0, s13
	v_add_nc_u32_e32 v209, v209, v210
	s_and_saveexec_b32 s17, s2
; %bb.181:                              ;   in Loop: Header=BB936_108 Depth=2
	ds_store_b32 v82, v209 offset:512
; %bb.182:                              ;   in Loop: Header=BB936_108 Depth=2
	s_or_b32 exec_lo, exec_lo, s17
	s_wait_dscnt 0x0
	s_barrier_signal -1
	s_barrier_wait -1
	s_and_saveexec_b32 s17, s3
	s_cbranch_execz .LBB936_184
; %bb.183:                              ;   in Loop: Header=BB936_108 Depth=2
	ds_load_b32 v210, v91 offset:512
	s_wait_dscnt 0x0
	v_mov_b32_dpp v211, v210 row_shr:1 row_mask:0xf bank_mask:0xf
	s_delay_alu instid0(VALU_DEP_1) | instskip(NEXT) | instid1(VALU_DEP_1)
	v_cndmask_b32_e64 v211, v211, 0, s14
	v_add_nc_u32_e32 v210, v211, v210
	s_delay_alu instid0(VALU_DEP_1) | instskip(NEXT) | instid1(VALU_DEP_1)
	v_mov_b32_dpp v211, v210 row_shr:2 row_mask:0xf bank_mask:0xf
	v_cndmask_b32_e64 v211, 0, v211, s15
	s_delay_alu instid0(VALU_DEP_1) | instskip(NEXT) | instid1(VALU_DEP_1)
	v_add_nc_u32_e32 v210, v210, v211
	v_mov_b32_dpp v211, v210 row_shr:4 row_mask:0xf bank_mask:0xf
	s_delay_alu instid0(VALU_DEP_1) | instskip(NEXT) | instid1(VALU_DEP_1)
	v_cndmask_b32_e64 v211, 0, v211, s16
	v_add_nc_u32_e32 v210, v210, v211
	ds_store_b32 v91, v210 offset:512
.LBB936_184:                            ;   in Loop: Header=BB936_108 Depth=2
	s_or_b32 exec_lo, exec_lo, s17
	v_mov_b32_e32 v210, 0
	s_wait_dscnt 0x0
	s_barrier_signal -1
	s_barrier_wait -1
	s_and_saveexec_b32 s17, s5
; %bb.185:                              ;   in Loop: Header=BB936_108 Depth=2
	ds_load_b32 v210, v82 offset:508
; %bb.186:                              ;   in Loop: Header=BB936_108 Depth=2
	s_or_b32 exec_lo, exec_lo, s17
	s_wait_dscnt 0x0
	v_add_nc_u32_e32 v209, v210, v209
	ds_bpermute_b32 v209, v121, v209
	s_wait_dscnt 0x0
	v_cndmask_b32_e64 v209, v209, v210, s8
	s_delay_alu instid0(VALU_DEP_1) | instskip(NEXT) | instid1(VALU_DEP_1)
	v_cndmask_b32_e64 v209, v209, 0, s6
	v_add_nc_u32_e32 v64, v209, v64
	s_delay_alu instid0(VALU_DEP_1) | instskip(NEXT) | instid1(VALU_DEP_1)
	v_add_nc_u32_e32 v65, v64, v65
	v_add_nc_u32_e32 v62, v65, v62
	s_delay_alu instid0(VALU_DEP_1)
	v_add_nc_u32_e32 v63, v62, v63
	ds_store_2addr_b32 v89, v209, v64 offset0:136 offset1:137
	ds_store_2addr_b32 v89, v65, v62 offset0:138 offset1:139
	ds_store_b32 v89, v63 offset:560
	s_wait_dscnt 0x0
	s_barrier_signal -1
	s_barrier_wait -1
	ds_load_b32 v64, v146 offset:544
	ds_load_b32 v65, v150 offset:544
	;; [unrolled: 1-line block ×17, first 2 shown]
	s_and_saveexec_b32 s17, s0
	s_cbranch_execz .LBB936_190
; %bb.187:                              ;   in Loop: Header=BB936_108 Depth=2
	ds_load_b32 v137, v92 offset:544
	v_mov_b32_e32 v140, 0x1100
	s_and_saveexec_b32 s18, s7
; %bb.188:                              ;   in Loop: Header=BB936_108 Depth=2
	ds_load_b32 v140, v93 offset:544
; %bb.189:                              ;   in Loop: Header=BB936_108 Depth=2
	s_or_b32 exec_lo, exec_lo, s18
	s_wait_dscnt 0x0
	v_sub_nc_u32_e32 v140, v140, v137
.LBB936_190:                            ;   in Loop: Header=BB936_108 Depth=2
	s_or_b32 exec_lo, exec_lo, s17
	s_wait_dscnt 0x0
	s_barrier_signal -1
	s_barrier_wait -1
	s_and_saveexec_b32 s17, s0
	s_cbranch_execz .LBB936_192
; %bb.191:                              ;   in Loop: Header=BB936_108 Depth=2
	ds_load_b32 v156, v3
	s_wait_dscnt 0x0
	v_sub_nc_u32_e32 v156, v156, v137
	ds_store_b32 v3, v156
.LBB936_192:                            ;   in Loop: Header=BB936_108 Depth=2
	s_or_b32 exec_lo, exec_lo, s17
	v_add3_u32 v161, v153, v152, v146
	v_add_nc_u32_e32 v165, v64, v144
	v_add3_u32 v164, v149, v148, v65
	v_add3_u32 v159, v158, v157, v150
	;; [unrolled: 1-line block ×4, first 2 shown]
	v_lshlrev_b32_e32 v62, 1, v161
	v_dual_lshlrev_b32 v162, 1, v165 :: v_dual_lshlrev_b32 v163, 1, v164
	v_add3_u32 v157, v168, v167, v209
	v_add3_u32 v156, v173, v172, v175
	;; [unrolled: 1-line block ×5, first 2 shown]
	v_lshlrev_b32_e32 v63, 1, v159
	v_add3_u32 v152, v184, v183, v185
	ds_store_b16 v162, v143 offset:512
	ds_store_b16 v163, v145 offset:512
	v_lshlrev_b32_e32 v143, 1, v158
	v_add3_u32 v150, v188, v187, v190
	v_dual_lshlrev_b32 v145, 1, v157 :: v_dual_lshlrev_b32 v162, 1, v156
	v_add3_u32 v149, v192, v191, v210
	v_add3_u32 v65, v195, v194, v211
	ds_store_b16 v62, v147 offset:512
	ds_store_b16 v63, v151 offset:512
	;; [unrolled: 1-line block ×5, first 2 shown]
	v_dual_lshlrev_b32 v62, 1, v154 :: v_dual_lshlrev_b32 v63, 1, v153
	v_add3_u32 v64, v198, v197, v212
	v_dual_lshlrev_b32 v143, 1, v152 :: v_dual_lshlrev_b32 v145, 1, v150
	v_add3_u32 v144, v207, v206, v170
	v_lshlrev_b32_e32 v147, 1, v149
	ds_store_b16 v62, v171 offset:512
	ds_store_b16 v63, v176 offset:512
	;; [unrolled: 1-line block ×5, first 2 shown]
	v_dual_lshlrev_b32 v62, 1, v65 :: v_dual_lshlrev_b32 v143, 1, v148
	v_cmp_lt_u32_e32 vcc_lo, v2, v141
	v_dual_lshlrev_b32 v63, 1, v64 :: v_dual_lshlrev_b32 v145, 1, v146
	v_lshlrev_b32_e32 v147, 1, v144
	ds_store_b16 v62, v189 offset:512
	ds_store_b16 v63, v193 offset:512
	;; [unrolled: 1-line block ×5, first 2 shown]
	s_wait_dscnt 0x0
	s_barrier_signal -1
	s_barrier_wait -1
	s_and_saveexec_b32 s17, vcc_lo
	s_cbranch_execnz .LBB936_265
; %bb.193:                              ;   in Loop: Header=BB936_108 Depth=2
	s_or_b32 exec_lo, exec_lo, s17
	v_cmp_lt_u32_e64 s17, v66, v141
	s_and_saveexec_b32 s18, s17
	s_cbranch_execnz .LBB936_266
.LBB936_194:                            ;   in Loop: Header=BB936_108 Depth=2
	s_or_b32 exec_lo, exec_lo, s18
	v_cmp_lt_u32_e64 s18, v67, v141
	s_and_saveexec_b32 s19, s18
	s_cbranch_execnz .LBB936_267
.LBB936_195:                            ;   in Loop: Header=BB936_108 Depth=2
	s_or_b32 exec_lo, exec_lo, s19
	v_cmp_lt_u32_e64 s19, v68, v141
	s_and_saveexec_b32 s20, s19
	s_cbranch_execnz .LBB936_268
.LBB936_196:                            ;   in Loop: Header=BB936_108 Depth=2
	s_or_b32 exec_lo, exec_lo, s20
	v_cmp_lt_u32_e64 s20, v69, v141
	s_and_saveexec_b32 s21, s20
	s_cbranch_execnz .LBB936_269
.LBB936_197:                            ;   in Loop: Header=BB936_108 Depth=2
	s_or_b32 exec_lo, exec_lo, s21
	v_cmp_lt_u32_e64 s21, v70, v141
	s_and_saveexec_b32 s22, s21
	s_cbranch_execnz .LBB936_270
.LBB936_198:                            ;   in Loop: Header=BB936_108 Depth=2
	s_or_b32 exec_lo, exec_lo, s22
	v_cmp_lt_u32_e64 s22, v71, v141
	s_and_saveexec_b32 s23, s22
	s_cbranch_execnz .LBB936_271
.LBB936_199:                            ;   in Loop: Header=BB936_108 Depth=2
	s_or_b32 exec_lo, exec_lo, s23
	v_cmp_lt_u32_e64 s23, v72, v141
	s_and_saveexec_b32 s24, s23
	s_cbranch_execnz .LBB936_272
.LBB936_200:                            ;   in Loop: Header=BB936_108 Depth=2
	s_or_b32 exec_lo, exec_lo, s24
	v_cmp_lt_u32_e64 s24, v73, v141
	s_and_saveexec_b32 s25, s24
	s_cbranch_execnz .LBB936_273
.LBB936_201:                            ;   in Loop: Header=BB936_108 Depth=2
	s_or_b32 exec_lo, exec_lo, s25
	v_cmp_lt_u32_e64 s25, v74, v141
	s_and_saveexec_b32 s26, s25
	s_cbranch_execnz .LBB936_274
.LBB936_202:                            ;   in Loop: Header=BB936_108 Depth=2
	s_or_b32 exec_lo, exec_lo, s26
	v_cmp_lt_u32_e64 s26, v75, v141
	s_and_saveexec_b32 s27, s26
	s_cbranch_execnz .LBB936_275
.LBB936_203:                            ;   in Loop: Header=BB936_108 Depth=2
	s_or_b32 exec_lo, exec_lo, s27
	v_cmp_lt_u32_e64 s27, v76, v141
	s_and_saveexec_b32 s28, s27
	s_cbranch_execnz .LBB936_276
.LBB936_204:                            ;   in Loop: Header=BB936_108 Depth=2
	s_or_b32 exec_lo, exec_lo, s28
	v_cmp_lt_u32_e64 s28, v77, v141
	s_and_saveexec_b32 s29, s28
	s_cbranch_execnz .LBB936_277
.LBB936_205:                            ;   in Loop: Header=BB936_108 Depth=2
	s_or_b32 exec_lo, exec_lo, s29
	v_cmp_lt_u32_e64 s29, v78, v141
	s_and_saveexec_b32 s30, s29
	s_cbranch_execnz .LBB936_278
.LBB936_206:                            ;   in Loop: Header=BB936_108 Depth=2
	s_or_b32 exec_lo, exec_lo, s30
	v_cmp_lt_u32_e64 s30, v79, v141
	s_and_saveexec_b32 s31, s30
	s_cbranch_execnz .LBB936_279
.LBB936_207:                            ;   in Loop: Header=BB936_108 Depth=2
	s_or_b32 exec_lo, exec_lo, s31
	v_cmp_lt_u32_e64 s31, v80, v141
	s_and_saveexec_b32 s33, s31
	s_cbranch_execnz .LBB936_280
.LBB936_208:                            ;   in Loop: Header=BB936_108 Depth=2
	s_or_b32 exec_lo, exec_lo, s33
	v_cmp_lt_u32_e64 s33, v81, v141
	s_and_saveexec_b32 s60, s33
	s_cbranch_execz .LBB936_210
.LBB936_209:                            ;   in Loop: Header=BB936_108 Depth=2
	ds_load_u16 v62, v94 offset:8704
	s_wait_dscnt 0x0
	v_and_b32_e32 v63, 0xffff, v62
	v_xor_b32_e32 v62, 0x7fff, v62
	s_delay_alu instid0(VALU_DEP_2) | instskip(NEXT) | instid1(VALU_DEP_1)
	v_lshrrev_b32_e32 v63, s43, v63
	v_and_b32_e32 v63, s48, v63
	s_delay_alu instid0(VALU_DEP_1)
	v_lshlrev_b32_e32 v63, 2, v63
	ds_load_b32 v63, v63
	s_wait_dscnt 0x0
	v_add_nc_u32_e32 v63, v63, v81
	global_store_b16 v63, v62, s[38:39] scale_offset
.LBB936_210:                            ;   in Loop: Header=BB936_108 Depth=2
	s_wait_xcnt 0x0
	s_or_b32 exec_lo, exec_lo, s60
	v_lshl_add_u64 v[62:63], s[34:35], 3, v[24:25]
	v_cmp_lt_u32_e64 s34, v102, v141
	s_and_saveexec_b32 s60, s34
	s_delay_alu instid0(SALU_CYCLE_1)
	s_xor_b32 s34, exec_lo, s60
	s_cbranch_execnz .LBB936_281
; %bb.211:                              ;   in Loop: Header=BB936_108 Depth=2
	s_or_b32 exec_lo, exec_lo, s34
	s_delay_alu instid0(SALU_CYCLE_1)
	s_mov_b32 s60, exec_lo
	v_cmpx_lt_u32_e64 v105, v141
	s_cbranch_execnz .LBB936_282
.LBB936_212:                            ;   in Loop: Header=BB936_108 Depth=2
	s_or_b32 exec_lo, exec_lo, s60
	s_delay_alu instid0(SALU_CYCLE_1)
	s_mov_b32 s60, exec_lo
	v_cmpx_lt_u32_e64 v106, v141
	s_cbranch_execnz .LBB936_283
.LBB936_213:                            ;   in Loop: Header=BB936_108 Depth=2
	s_or_b32 exec_lo, exec_lo, s60
	s_delay_alu instid0(SALU_CYCLE_1)
	s_mov_b32 s60, exec_lo
	v_cmpx_lt_u32_e64 v107, v141
	s_cbranch_execnz .LBB936_284
.LBB936_214:                            ;   in Loop: Header=BB936_108 Depth=2
	s_or_b32 exec_lo, exec_lo, s60
	s_delay_alu instid0(SALU_CYCLE_1)
	s_mov_b32 s60, exec_lo
	v_cmpx_lt_u32_e64 v108, v141
	s_cbranch_execnz .LBB936_285
.LBB936_215:                            ;   in Loop: Header=BB936_108 Depth=2
	s_or_b32 exec_lo, exec_lo, s60
	s_delay_alu instid0(SALU_CYCLE_1)
	s_mov_b32 s60, exec_lo
	v_cmpx_lt_u32_e64 v109, v141
	s_cbranch_execnz .LBB936_286
.LBB936_216:                            ;   in Loop: Header=BB936_108 Depth=2
	s_or_b32 exec_lo, exec_lo, s60
	s_delay_alu instid0(SALU_CYCLE_1)
	s_mov_b32 s60, exec_lo
	v_cmpx_lt_u32_e64 v110, v141
	s_cbranch_execnz .LBB936_287
.LBB936_217:                            ;   in Loop: Header=BB936_108 Depth=2
	s_or_b32 exec_lo, exec_lo, s60
	s_delay_alu instid0(SALU_CYCLE_1)
	s_mov_b32 s60, exec_lo
	v_cmpx_lt_u32_e64 v111, v141
	s_cbranch_execnz .LBB936_288
.LBB936_218:                            ;   in Loop: Header=BB936_108 Depth=2
	s_or_b32 exec_lo, exec_lo, s60
	s_delay_alu instid0(SALU_CYCLE_1)
	s_mov_b32 s60, exec_lo
	v_cmpx_lt_u32_e64 v112, v141
	s_cbranch_execnz .LBB936_289
.LBB936_219:                            ;   in Loop: Header=BB936_108 Depth=2
	s_or_b32 exec_lo, exec_lo, s60
	s_delay_alu instid0(SALU_CYCLE_1)
	s_mov_b32 s60, exec_lo
	v_cmpx_lt_u32_e64 v113, v141
	s_cbranch_execnz .LBB936_290
.LBB936_220:                            ;   in Loop: Header=BB936_108 Depth=2
	s_or_b32 exec_lo, exec_lo, s60
	s_delay_alu instid0(SALU_CYCLE_1)
	s_mov_b32 s60, exec_lo
	v_cmpx_lt_u32_e64 v114, v141
	s_cbranch_execnz .LBB936_291
.LBB936_221:                            ;   in Loop: Header=BB936_108 Depth=2
	s_or_b32 exec_lo, exec_lo, s60
	s_delay_alu instid0(SALU_CYCLE_1)
	s_mov_b32 s60, exec_lo
	v_cmpx_lt_u32_e64 v115, v141
	s_cbranch_execnz .LBB936_292
.LBB936_222:                            ;   in Loop: Header=BB936_108 Depth=2
	s_or_b32 exec_lo, exec_lo, s60
	s_delay_alu instid0(SALU_CYCLE_1)
	s_mov_b32 s60, exec_lo
	v_cmpx_lt_u32_e64 v116, v141
	s_cbranch_execnz .LBB936_293
.LBB936_223:                            ;   in Loop: Header=BB936_108 Depth=2
	s_or_b32 exec_lo, exec_lo, s60
	s_delay_alu instid0(SALU_CYCLE_1)
	s_mov_b32 s60, exec_lo
	v_cmpx_lt_u32_e64 v117, v141
	s_cbranch_execnz .LBB936_294
.LBB936_224:                            ;   in Loop: Header=BB936_108 Depth=2
	s_or_b32 exec_lo, exec_lo, s60
	s_delay_alu instid0(SALU_CYCLE_1)
	s_mov_b32 s60, exec_lo
	v_cmpx_lt_u32_e64 v118, v141
	s_cbranch_execnz .LBB936_295
.LBB936_225:                            ;   in Loop: Header=BB936_108 Depth=2
	s_or_b32 exec_lo, exec_lo, s60
	s_delay_alu instid0(SALU_CYCLE_1)
	s_mov_b32 s60, exec_lo
	v_cmpx_lt_u32_e64 v119, v141
	s_cbranch_execnz .LBB936_296
.LBB936_226:                            ;   in Loop: Header=BB936_108 Depth=2
	s_or_b32 exec_lo, exec_lo, s60
	s_delay_alu instid0(SALU_CYCLE_1)
	s_mov_b32 s60, exec_lo
	v_cmpx_lt_u32_e64 v120, v141
	s_cbranch_execnz .LBB936_297
.LBB936_227:                            ;   in Loop: Header=BB936_108 Depth=2
	s_or_b32 exec_lo, exec_lo, s60
	s_and_saveexec_b32 s34, vcc_lo
	s_cbranch_execnz .LBB936_298
.LBB936_228:                            ;   in Loop: Header=BB936_108 Depth=2
	s_or_b32 exec_lo, exec_lo, s34
	s_and_saveexec_b32 s34, s17
	s_cbranch_execnz .LBB936_299
.LBB936_229:                            ;   in Loop: Header=BB936_108 Depth=2
	s_or_b32 exec_lo, exec_lo, s34
	s_and_saveexec_b32 s34, s18
	s_cbranch_execnz .LBB936_300
.LBB936_230:                            ;   in Loop: Header=BB936_108 Depth=2
	s_or_b32 exec_lo, exec_lo, s34
	s_and_saveexec_b32 s34, s19
	s_cbranch_execnz .LBB936_301
.LBB936_231:                            ;   in Loop: Header=BB936_108 Depth=2
	s_or_b32 exec_lo, exec_lo, s34
	s_and_saveexec_b32 s34, s20
	s_cbranch_execnz .LBB936_302
.LBB936_232:                            ;   in Loop: Header=BB936_108 Depth=2
	s_or_b32 exec_lo, exec_lo, s34
	s_and_saveexec_b32 s34, s21
	s_cbranch_execnz .LBB936_303
.LBB936_233:                            ;   in Loop: Header=BB936_108 Depth=2
	s_or_b32 exec_lo, exec_lo, s34
	s_and_saveexec_b32 s34, s22
	s_cbranch_execnz .LBB936_304
.LBB936_234:                            ;   in Loop: Header=BB936_108 Depth=2
	s_or_b32 exec_lo, exec_lo, s34
	s_and_saveexec_b32 s34, s23
	s_cbranch_execnz .LBB936_305
.LBB936_235:                            ;   in Loop: Header=BB936_108 Depth=2
	s_or_b32 exec_lo, exec_lo, s34
	s_and_saveexec_b32 s34, s24
	s_cbranch_execnz .LBB936_306
.LBB936_236:                            ;   in Loop: Header=BB936_108 Depth=2
	s_or_b32 exec_lo, exec_lo, s34
	s_and_saveexec_b32 s34, s25
	s_cbranch_execnz .LBB936_307
.LBB936_237:                            ;   in Loop: Header=BB936_108 Depth=2
	s_or_b32 exec_lo, exec_lo, s34
	s_and_saveexec_b32 s34, s26
	s_cbranch_execnz .LBB936_308
.LBB936_238:                            ;   in Loop: Header=BB936_108 Depth=2
	s_or_b32 exec_lo, exec_lo, s34
	s_and_saveexec_b32 s34, s27
	s_cbranch_execnz .LBB936_309
.LBB936_239:                            ;   in Loop: Header=BB936_108 Depth=2
	s_or_b32 exec_lo, exec_lo, s34
	s_and_saveexec_b32 s34, s28
	s_cbranch_execnz .LBB936_310
.LBB936_240:                            ;   in Loop: Header=BB936_108 Depth=2
	s_or_b32 exec_lo, exec_lo, s34
	s_and_saveexec_b32 s34, s29
	s_cbranch_execnz .LBB936_311
.LBB936_241:                            ;   in Loop: Header=BB936_108 Depth=2
	s_or_b32 exec_lo, exec_lo, s34
	s_and_saveexec_b32 s34, s30
	s_cbranch_execnz .LBB936_312
.LBB936_242:                            ;   in Loop: Header=BB936_108 Depth=2
	s_or_b32 exec_lo, exec_lo, s34
	s_and_saveexec_b32 s34, s31
	s_cbranch_execnz .LBB936_313
.LBB936_243:                            ;   in Loop: Header=BB936_108 Depth=2
	s_or_b32 exec_lo, exec_lo, s34
	s_and_saveexec_b32 s34, s33
	s_cbranch_execz .LBB936_245
.LBB936_244:                            ;   in Loop: Header=BB936_108 Depth=2
	ds_load_u16 v62, v94 offset:8704
	s_wait_dscnt 0x0
	v_lshrrev_b32_e32 v62, s43, v62
	s_delay_alu instid0(VALU_DEP_1)
	v_and_b32_e32 v122, s48, v62
.LBB936_245:                            ;   in Loop: Header=BB936_108 Depth=2
	s_or_b32 exec_lo, exec_lo, s34
	v_dual_lshlrev_b32 v62, 3, v165 :: v_dual_lshlrev_b32 v63, 3, v164
	s_wait_loadcnt 0x0
	s_wait_storecnt 0x0
	s_barrier_signal -1
	s_barrier_wait -1
	ds_store_b64 v62, v[60:61] offset:512
	ds_store_b64 v63, v[58:59] offset:512
	v_dual_lshlrev_b32 v62, 3, v161 :: v_dual_lshlrev_b32 v63, 3, v159
	v_dual_lshlrev_b32 v141, 3, v158 :: v_dual_lshlrev_b32 v142, 3, v157
	v_lshlrev_b32_e32 v143, 3, v156
	ds_store_b64 v62, v[56:57] offset:512
	ds_store_b64 v63, v[54:55] offset:512
	ds_store_b64 v141, v[52:53] offset:512
	ds_store_b64 v142, v[50:51] offset:512
	ds_store_b64 v143, v[48:49] offset:512
	v_dual_lshlrev_b32 v62, 3, v154 :: v_dual_lshlrev_b32 v63, 3, v153
	v_dual_lshlrev_b32 v141, 3, v152 :: v_dual_lshlrev_b32 v142, 3, v150
	v_lshlrev_b32_e32 v143, 3, v149
	ds_store_b64 v62, v[46:47] offset:512
	ds_store_b64 v63, v[44:45] offset:512
	ds_store_b64 v141, v[42:43] offset:512
	;; [unrolled: 8-line block ×3, first 2 shown]
	ds_store_b64 v65, v[30:31] offset:512
	ds_store_b64 v141, v[28:29] offset:512
	s_wait_dscnt 0x0
	s_barrier_signal -1
	s_barrier_wait -1
	s_and_saveexec_b32 s34, vcc_lo
	s_cbranch_execnz .LBB936_314
; %bb.246:                              ;   in Loop: Header=BB936_108 Depth=2
	s_or_b32 exec_lo, exec_lo, s34
	s_and_saveexec_b32 s34, s17
	s_cbranch_execnz .LBB936_315
.LBB936_247:                            ;   in Loop: Header=BB936_108 Depth=2
	s_or_b32 exec_lo, exec_lo, s34
	s_and_saveexec_b32 s17, s18
	s_cbranch_execnz .LBB936_316
.LBB936_248:                            ;   in Loop: Header=BB936_108 Depth=2
	s_or_b32 exec_lo, exec_lo, s17
	s_and_saveexec_b32 s17, s19
	s_cbranch_execnz .LBB936_317
.LBB936_249:                            ;   in Loop: Header=BB936_108 Depth=2
	s_or_b32 exec_lo, exec_lo, s17
	s_and_saveexec_b32 s17, s20
	s_cbranch_execnz .LBB936_318
.LBB936_250:                            ;   in Loop: Header=BB936_108 Depth=2
	s_or_b32 exec_lo, exec_lo, s17
	s_and_saveexec_b32 s17, s21
	s_cbranch_execnz .LBB936_319
.LBB936_251:                            ;   in Loop: Header=BB936_108 Depth=2
	s_or_b32 exec_lo, exec_lo, s17
	s_and_saveexec_b32 s17, s22
	s_cbranch_execnz .LBB936_320
.LBB936_252:                            ;   in Loop: Header=BB936_108 Depth=2
	s_or_b32 exec_lo, exec_lo, s17
	s_and_saveexec_b32 s17, s23
	s_cbranch_execnz .LBB936_321
.LBB936_253:                            ;   in Loop: Header=BB936_108 Depth=2
	s_or_b32 exec_lo, exec_lo, s17
	s_and_saveexec_b32 s17, s24
	s_cbranch_execnz .LBB936_322
.LBB936_254:                            ;   in Loop: Header=BB936_108 Depth=2
	s_or_b32 exec_lo, exec_lo, s17
	s_and_saveexec_b32 s17, s25
	s_cbranch_execnz .LBB936_323
.LBB936_255:                            ;   in Loop: Header=BB936_108 Depth=2
	s_or_b32 exec_lo, exec_lo, s17
	s_and_saveexec_b32 s17, s26
	s_cbranch_execnz .LBB936_324
.LBB936_256:                            ;   in Loop: Header=BB936_108 Depth=2
	s_or_b32 exec_lo, exec_lo, s17
	s_and_saveexec_b32 s17, s27
	s_cbranch_execnz .LBB936_325
.LBB936_257:                            ;   in Loop: Header=BB936_108 Depth=2
	s_or_b32 exec_lo, exec_lo, s17
	s_and_saveexec_b32 s17, s28
	s_cbranch_execnz .LBB936_326
.LBB936_258:                            ;   in Loop: Header=BB936_108 Depth=2
	s_or_b32 exec_lo, exec_lo, s17
	s_and_saveexec_b32 s17, s29
	s_cbranch_execnz .LBB936_327
.LBB936_259:                            ;   in Loop: Header=BB936_108 Depth=2
	s_or_b32 exec_lo, exec_lo, s17
	s_and_saveexec_b32 s17, s30
	s_cbranch_execnz .LBB936_328
.LBB936_260:                            ;   in Loop: Header=BB936_108 Depth=2
	s_or_b32 exec_lo, exec_lo, s17
	s_and_saveexec_b32 s17, s31
	s_cbranch_execnz .LBB936_329
.LBB936_261:                            ;   in Loop: Header=BB936_108 Depth=2
	s_or_b32 exec_lo, exec_lo, s17
	s_and_saveexec_b32 s17, s33
	s_cbranch_execz .LBB936_263
.LBB936_262:                            ;   in Loop: Header=BB936_108 Depth=2
	v_dual_lshlrev_b32 v62, 2, v122 :: v_dual_add_nc_u32 v63, v94, v95
	ds_load_b32 v64, v62
	ds_load_b64 v[62:63], v63 offset:33280
	s_wait_dscnt 0x1
	v_add_nc_u32_e32 v64, v64, v81
	s_wait_dscnt 0x0
	global_store_b64 v64, v[62:63], s[44:45] scale_offset
.LBB936_263:                            ;   in Loop: Header=BB936_108 Depth=2
	s_wait_xcnt 0x0
	s_or_b32 exec_lo, exec_lo, s17
	s_wait_storecnt 0x0
	s_barrier_signal -1
	s_barrier_wait -1
	s_and_saveexec_b32 s17, s0
	s_cbranch_execz .LBB936_107
; %bb.264:                              ;   in Loop: Header=BB936_108 Depth=2
	ds_load_b32 v62, v3
	s_wait_dscnt 0x0
	v_add3_u32 v62, v137, v140, v62
	ds_store_b32 v3, v62
	s_branch .LBB936_107
.LBB936_265:                            ;   in Loop: Header=BB936_108 Depth=2
	ds_load_u16 v62, v94 offset:512
	s_wait_dscnt 0x0
	v_and_b32_e32 v63, 0xffff, v62
	v_xor_b32_e32 v62, 0x7fff, v62
	s_delay_alu instid0(VALU_DEP_2) | instskip(NEXT) | instid1(VALU_DEP_1)
	v_lshrrev_b32_e32 v63, s43, v63
	v_and_b32_e32 v63, s48, v63
	s_delay_alu instid0(VALU_DEP_1)
	v_lshlrev_b32_e32 v63, 2, v63
	ds_load_b32 v63, v63
	s_wait_dscnt 0x0
	v_add_nc_u32_e32 v63, v63, v2
	global_store_b16 v63, v62, s[38:39] scale_offset
	s_wait_xcnt 0x0
	s_or_b32 exec_lo, exec_lo, s17
	v_cmp_lt_u32_e64 s17, v66, v141
	s_and_saveexec_b32 s18, s17
	s_cbranch_execz .LBB936_194
.LBB936_266:                            ;   in Loop: Header=BB936_108 Depth=2
	ds_load_u16 v62, v94 offset:1024
	s_wait_dscnt 0x0
	v_and_b32_e32 v63, 0xffff, v62
	v_xor_b32_e32 v62, 0x7fff, v62
	s_delay_alu instid0(VALU_DEP_2) | instskip(NEXT) | instid1(VALU_DEP_1)
	v_lshrrev_b32_e32 v63, s43, v63
	v_and_b32_e32 v63, s48, v63
	s_delay_alu instid0(VALU_DEP_1)
	v_lshlrev_b32_e32 v63, 2, v63
	ds_load_b32 v63, v63
	s_wait_dscnt 0x0
	v_add_nc_u32_e32 v63, v63, v66
	global_store_b16 v63, v62, s[38:39] scale_offset
	s_wait_xcnt 0x0
	s_or_b32 exec_lo, exec_lo, s18
	v_cmp_lt_u32_e64 s18, v67, v141
	s_and_saveexec_b32 s19, s18
	s_cbranch_execz .LBB936_195
.LBB936_267:                            ;   in Loop: Header=BB936_108 Depth=2
	ds_load_u16 v62, v94 offset:1536
	s_wait_dscnt 0x0
	v_and_b32_e32 v63, 0xffff, v62
	v_xor_b32_e32 v62, 0x7fff, v62
	s_delay_alu instid0(VALU_DEP_2) | instskip(NEXT) | instid1(VALU_DEP_1)
	v_lshrrev_b32_e32 v63, s43, v63
	v_and_b32_e32 v63, s48, v63
	s_delay_alu instid0(VALU_DEP_1)
	v_lshlrev_b32_e32 v63, 2, v63
	ds_load_b32 v63, v63
	s_wait_dscnt 0x0
	v_add_nc_u32_e32 v63, v63, v67
	global_store_b16 v63, v62, s[38:39] scale_offset
	s_wait_xcnt 0x0
	s_or_b32 exec_lo, exec_lo, s19
	v_cmp_lt_u32_e64 s19, v68, v141
	s_and_saveexec_b32 s20, s19
	s_cbranch_execz .LBB936_196
.LBB936_268:                            ;   in Loop: Header=BB936_108 Depth=2
	ds_load_u16 v62, v94 offset:2048
	s_wait_dscnt 0x0
	v_and_b32_e32 v63, 0xffff, v62
	v_xor_b32_e32 v62, 0x7fff, v62
	s_delay_alu instid0(VALU_DEP_2) | instskip(NEXT) | instid1(VALU_DEP_1)
	v_lshrrev_b32_e32 v63, s43, v63
	v_and_b32_e32 v63, s48, v63
	s_delay_alu instid0(VALU_DEP_1)
	v_lshlrev_b32_e32 v63, 2, v63
	ds_load_b32 v63, v63
	s_wait_dscnt 0x0
	v_add_nc_u32_e32 v63, v63, v68
	global_store_b16 v63, v62, s[38:39] scale_offset
	s_wait_xcnt 0x0
	s_or_b32 exec_lo, exec_lo, s20
	v_cmp_lt_u32_e64 s20, v69, v141
	s_and_saveexec_b32 s21, s20
	s_cbranch_execz .LBB936_197
.LBB936_269:                            ;   in Loop: Header=BB936_108 Depth=2
	ds_load_u16 v62, v94 offset:2560
	s_wait_dscnt 0x0
	v_and_b32_e32 v63, 0xffff, v62
	v_xor_b32_e32 v62, 0x7fff, v62
	s_delay_alu instid0(VALU_DEP_2) | instskip(NEXT) | instid1(VALU_DEP_1)
	v_lshrrev_b32_e32 v63, s43, v63
	v_and_b32_e32 v63, s48, v63
	s_delay_alu instid0(VALU_DEP_1)
	v_lshlrev_b32_e32 v63, 2, v63
	ds_load_b32 v63, v63
	s_wait_dscnt 0x0
	v_add_nc_u32_e32 v63, v63, v69
	global_store_b16 v63, v62, s[38:39] scale_offset
	s_wait_xcnt 0x0
	s_or_b32 exec_lo, exec_lo, s21
	v_cmp_lt_u32_e64 s21, v70, v141
	s_and_saveexec_b32 s22, s21
	s_cbranch_execz .LBB936_198
.LBB936_270:                            ;   in Loop: Header=BB936_108 Depth=2
	ds_load_u16 v62, v94 offset:3072
	s_wait_dscnt 0x0
	v_and_b32_e32 v63, 0xffff, v62
	v_xor_b32_e32 v62, 0x7fff, v62
	s_delay_alu instid0(VALU_DEP_2) | instskip(NEXT) | instid1(VALU_DEP_1)
	v_lshrrev_b32_e32 v63, s43, v63
	v_and_b32_e32 v63, s48, v63
	s_delay_alu instid0(VALU_DEP_1)
	v_lshlrev_b32_e32 v63, 2, v63
	ds_load_b32 v63, v63
	s_wait_dscnt 0x0
	v_add_nc_u32_e32 v63, v63, v70
	global_store_b16 v63, v62, s[38:39] scale_offset
	s_wait_xcnt 0x0
	s_or_b32 exec_lo, exec_lo, s22
	v_cmp_lt_u32_e64 s22, v71, v141
	s_and_saveexec_b32 s23, s22
	s_cbranch_execz .LBB936_199
.LBB936_271:                            ;   in Loop: Header=BB936_108 Depth=2
	ds_load_u16 v62, v94 offset:3584
	s_wait_dscnt 0x0
	v_and_b32_e32 v63, 0xffff, v62
	v_xor_b32_e32 v62, 0x7fff, v62
	s_delay_alu instid0(VALU_DEP_2) | instskip(NEXT) | instid1(VALU_DEP_1)
	v_lshrrev_b32_e32 v63, s43, v63
	v_and_b32_e32 v63, s48, v63
	s_delay_alu instid0(VALU_DEP_1)
	v_lshlrev_b32_e32 v63, 2, v63
	ds_load_b32 v63, v63
	s_wait_dscnt 0x0
	v_add_nc_u32_e32 v63, v63, v71
	global_store_b16 v63, v62, s[38:39] scale_offset
	s_wait_xcnt 0x0
	s_or_b32 exec_lo, exec_lo, s23
	v_cmp_lt_u32_e64 s23, v72, v141
	s_and_saveexec_b32 s24, s23
	s_cbranch_execz .LBB936_200
.LBB936_272:                            ;   in Loop: Header=BB936_108 Depth=2
	ds_load_u16 v62, v94 offset:4096
	s_wait_dscnt 0x0
	v_and_b32_e32 v63, 0xffff, v62
	v_xor_b32_e32 v62, 0x7fff, v62
	s_delay_alu instid0(VALU_DEP_2) | instskip(NEXT) | instid1(VALU_DEP_1)
	v_lshrrev_b32_e32 v63, s43, v63
	v_and_b32_e32 v63, s48, v63
	s_delay_alu instid0(VALU_DEP_1)
	v_lshlrev_b32_e32 v63, 2, v63
	ds_load_b32 v63, v63
	s_wait_dscnt 0x0
	v_add_nc_u32_e32 v63, v63, v72
	global_store_b16 v63, v62, s[38:39] scale_offset
	s_wait_xcnt 0x0
	s_or_b32 exec_lo, exec_lo, s24
	v_cmp_lt_u32_e64 s24, v73, v141
	s_and_saveexec_b32 s25, s24
	s_cbranch_execz .LBB936_201
.LBB936_273:                            ;   in Loop: Header=BB936_108 Depth=2
	ds_load_u16 v62, v94 offset:4608
	s_wait_dscnt 0x0
	v_and_b32_e32 v63, 0xffff, v62
	v_xor_b32_e32 v62, 0x7fff, v62
	s_delay_alu instid0(VALU_DEP_2) | instskip(NEXT) | instid1(VALU_DEP_1)
	v_lshrrev_b32_e32 v63, s43, v63
	v_and_b32_e32 v63, s48, v63
	s_delay_alu instid0(VALU_DEP_1)
	v_lshlrev_b32_e32 v63, 2, v63
	ds_load_b32 v63, v63
	s_wait_dscnt 0x0
	v_add_nc_u32_e32 v63, v63, v73
	global_store_b16 v63, v62, s[38:39] scale_offset
	s_wait_xcnt 0x0
	s_or_b32 exec_lo, exec_lo, s25
	v_cmp_lt_u32_e64 s25, v74, v141
	s_and_saveexec_b32 s26, s25
	s_cbranch_execz .LBB936_202
.LBB936_274:                            ;   in Loop: Header=BB936_108 Depth=2
	ds_load_u16 v62, v94 offset:5120
	s_wait_dscnt 0x0
	v_and_b32_e32 v63, 0xffff, v62
	v_xor_b32_e32 v62, 0x7fff, v62
	s_delay_alu instid0(VALU_DEP_2) | instskip(NEXT) | instid1(VALU_DEP_1)
	v_lshrrev_b32_e32 v63, s43, v63
	v_and_b32_e32 v63, s48, v63
	s_delay_alu instid0(VALU_DEP_1)
	v_lshlrev_b32_e32 v63, 2, v63
	ds_load_b32 v63, v63
	s_wait_dscnt 0x0
	v_add_nc_u32_e32 v63, v63, v74
	global_store_b16 v63, v62, s[38:39] scale_offset
	s_wait_xcnt 0x0
	s_or_b32 exec_lo, exec_lo, s26
	v_cmp_lt_u32_e64 s26, v75, v141
	s_and_saveexec_b32 s27, s26
	s_cbranch_execz .LBB936_203
.LBB936_275:                            ;   in Loop: Header=BB936_108 Depth=2
	ds_load_u16 v62, v94 offset:5632
	s_wait_dscnt 0x0
	v_and_b32_e32 v63, 0xffff, v62
	v_xor_b32_e32 v62, 0x7fff, v62
	s_delay_alu instid0(VALU_DEP_2) | instskip(NEXT) | instid1(VALU_DEP_1)
	v_lshrrev_b32_e32 v63, s43, v63
	v_and_b32_e32 v63, s48, v63
	s_delay_alu instid0(VALU_DEP_1)
	v_lshlrev_b32_e32 v63, 2, v63
	ds_load_b32 v63, v63
	s_wait_dscnt 0x0
	v_add_nc_u32_e32 v63, v63, v75
	global_store_b16 v63, v62, s[38:39] scale_offset
	s_wait_xcnt 0x0
	s_or_b32 exec_lo, exec_lo, s27
	v_cmp_lt_u32_e64 s27, v76, v141
	s_and_saveexec_b32 s28, s27
	s_cbranch_execz .LBB936_204
.LBB936_276:                            ;   in Loop: Header=BB936_108 Depth=2
	ds_load_u16 v62, v94 offset:6144
	s_wait_dscnt 0x0
	v_and_b32_e32 v63, 0xffff, v62
	v_xor_b32_e32 v62, 0x7fff, v62
	s_delay_alu instid0(VALU_DEP_2) | instskip(NEXT) | instid1(VALU_DEP_1)
	v_lshrrev_b32_e32 v63, s43, v63
	v_and_b32_e32 v63, s48, v63
	s_delay_alu instid0(VALU_DEP_1)
	v_lshlrev_b32_e32 v63, 2, v63
	ds_load_b32 v63, v63
	s_wait_dscnt 0x0
	v_add_nc_u32_e32 v63, v63, v76
	global_store_b16 v63, v62, s[38:39] scale_offset
	s_wait_xcnt 0x0
	s_or_b32 exec_lo, exec_lo, s28
	v_cmp_lt_u32_e64 s28, v77, v141
	s_and_saveexec_b32 s29, s28
	s_cbranch_execz .LBB936_205
.LBB936_277:                            ;   in Loop: Header=BB936_108 Depth=2
	ds_load_u16 v62, v94 offset:6656
	s_wait_dscnt 0x0
	v_and_b32_e32 v63, 0xffff, v62
	v_xor_b32_e32 v62, 0x7fff, v62
	s_delay_alu instid0(VALU_DEP_2) | instskip(NEXT) | instid1(VALU_DEP_1)
	v_lshrrev_b32_e32 v63, s43, v63
	v_and_b32_e32 v63, s48, v63
	s_delay_alu instid0(VALU_DEP_1)
	v_lshlrev_b32_e32 v63, 2, v63
	ds_load_b32 v63, v63
	s_wait_dscnt 0x0
	v_add_nc_u32_e32 v63, v63, v77
	global_store_b16 v63, v62, s[38:39] scale_offset
	s_wait_xcnt 0x0
	s_or_b32 exec_lo, exec_lo, s29
	v_cmp_lt_u32_e64 s29, v78, v141
	s_and_saveexec_b32 s30, s29
	s_cbranch_execz .LBB936_206
.LBB936_278:                            ;   in Loop: Header=BB936_108 Depth=2
	ds_load_u16 v62, v94 offset:7168
	s_wait_dscnt 0x0
	v_and_b32_e32 v63, 0xffff, v62
	v_xor_b32_e32 v62, 0x7fff, v62
	s_delay_alu instid0(VALU_DEP_2) | instskip(NEXT) | instid1(VALU_DEP_1)
	v_lshrrev_b32_e32 v63, s43, v63
	v_and_b32_e32 v63, s48, v63
	s_delay_alu instid0(VALU_DEP_1)
	v_lshlrev_b32_e32 v63, 2, v63
	ds_load_b32 v63, v63
	s_wait_dscnt 0x0
	v_add_nc_u32_e32 v63, v63, v78
	global_store_b16 v63, v62, s[38:39] scale_offset
	s_wait_xcnt 0x0
	s_or_b32 exec_lo, exec_lo, s30
	v_cmp_lt_u32_e64 s30, v79, v141
	s_and_saveexec_b32 s31, s30
	s_cbranch_execz .LBB936_207
.LBB936_279:                            ;   in Loop: Header=BB936_108 Depth=2
	ds_load_u16 v62, v94 offset:7680
	s_wait_dscnt 0x0
	v_and_b32_e32 v63, 0xffff, v62
	v_xor_b32_e32 v62, 0x7fff, v62
	s_delay_alu instid0(VALU_DEP_2) | instskip(NEXT) | instid1(VALU_DEP_1)
	v_lshrrev_b32_e32 v63, s43, v63
	v_and_b32_e32 v63, s48, v63
	s_delay_alu instid0(VALU_DEP_1)
	v_lshlrev_b32_e32 v63, 2, v63
	ds_load_b32 v63, v63
	s_wait_dscnt 0x0
	v_add_nc_u32_e32 v63, v63, v79
	global_store_b16 v63, v62, s[38:39] scale_offset
	s_wait_xcnt 0x0
	s_or_b32 exec_lo, exec_lo, s31
	v_cmp_lt_u32_e64 s31, v80, v141
	s_and_saveexec_b32 s33, s31
	s_cbranch_execz .LBB936_208
.LBB936_280:                            ;   in Loop: Header=BB936_108 Depth=2
	ds_load_u16 v62, v94 offset:8192
	s_wait_dscnt 0x0
	v_and_b32_e32 v63, 0xffff, v62
	v_xor_b32_e32 v62, 0x7fff, v62
	s_delay_alu instid0(VALU_DEP_2) | instskip(NEXT) | instid1(VALU_DEP_1)
	v_lshrrev_b32_e32 v63, s43, v63
	v_and_b32_e32 v63, s48, v63
	s_delay_alu instid0(VALU_DEP_1)
	v_lshlrev_b32_e32 v63, 2, v63
	ds_load_b32 v63, v63
	s_wait_dscnt 0x0
	v_add_nc_u32_e32 v63, v63, v80
	global_store_b16 v63, v62, s[38:39] scale_offset
	s_wait_xcnt 0x0
	s_or_b32 exec_lo, exec_lo, s33
	v_cmp_lt_u32_e64 s33, v81, v141
	s_and_saveexec_b32 s60, s33
	s_cbranch_execnz .LBB936_209
	s_branch .LBB936_210
.LBB936_281:                            ;   in Loop: Header=BB936_108 Depth=2
	global_load_b64 v[60:61], v[62:63], off
	s_wait_xcnt 0x0
	s_or_b32 exec_lo, exec_lo, s34
	s_delay_alu instid0(SALU_CYCLE_1)
	s_mov_b32 s60, exec_lo
	v_cmpx_lt_u32_e64 v105, v141
	s_cbranch_execz .LBB936_212
.LBB936_282:                            ;   in Loop: Header=BB936_108 Depth=2
	global_load_b64 v[58:59], v[62:63], off offset:256
	s_wait_xcnt 0x0
	s_or_b32 exec_lo, exec_lo, s60
	s_delay_alu instid0(SALU_CYCLE_1)
	s_mov_b32 s60, exec_lo
	v_cmpx_lt_u32_e64 v106, v141
	s_cbranch_execz .LBB936_213
.LBB936_283:                            ;   in Loop: Header=BB936_108 Depth=2
	global_load_b64 v[56:57], v[62:63], off offset:512
	s_wait_xcnt 0x0
	s_or_b32 exec_lo, exec_lo, s60
	s_delay_alu instid0(SALU_CYCLE_1)
	s_mov_b32 s60, exec_lo
	v_cmpx_lt_u32_e64 v107, v141
	s_cbranch_execz .LBB936_214
.LBB936_284:                            ;   in Loop: Header=BB936_108 Depth=2
	global_load_b64 v[54:55], v[62:63], off offset:768
	s_wait_xcnt 0x0
	s_or_b32 exec_lo, exec_lo, s60
	s_delay_alu instid0(SALU_CYCLE_1)
	s_mov_b32 s60, exec_lo
	v_cmpx_lt_u32_e64 v108, v141
	s_cbranch_execz .LBB936_215
.LBB936_285:                            ;   in Loop: Header=BB936_108 Depth=2
	global_load_b64 v[52:53], v[62:63], off offset:1024
	s_wait_xcnt 0x0
	s_or_b32 exec_lo, exec_lo, s60
	s_delay_alu instid0(SALU_CYCLE_1)
	s_mov_b32 s60, exec_lo
	v_cmpx_lt_u32_e64 v109, v141
	s_cbranch_execz .LBB936_216
.LBB936_286:                            ;   in Loop: Header=BB936_108 Depth=2
	global_load_b64 v[50:51], v[62:63], off offset:1280
	s_wait_xcnt 0x0
	s_or_b32 exec_lo, exec_lo, s60
	s_delay_alu instid0(SALU_CYCLE_1)
	s_mov_b32 s60, exec_lo
	v_cmpx_lt_u32_e64 v110, v141
	s_cbranch_execz .LBB936_217
.LBB936_287:                            ;   in Loop: Header=BB936_108 Depth=2
	global_load_b64 v[48:49], v[62:63], off offset:1536
	s_wait_xcnt 0x0
	s_or_b32 exec_lo, exec_lo, s60
	s_delay_alu instid0(SALU_CYCLE_1)
	s_mov_b32 s60, exec_lo
	v_cmpx_lt_u32_e64 v111, v141
	s_cbranch_execz .LBB936_218
.LBB936_288:                            ;   in Loop: Header=BB936_108 Depth=2
	global_load_b64 v[46:47], v[62:63], off offset:1792
	s_wait_xcnt 0x0
	s_or_b32 exec_lo, exec_lo, s60
	s_delay_alu instid0(SALU_CYCLE_1)
	s_mov_b32 s60, exec_lo
	v_cmpx_lt_u32_e64 v112, v141
	s_cbranch_execz .LBB936_219
.LBB936_289:                            ;   in Loop: Header=BB936_108 Depth=2
	global_load_b64 v[44:45], v[62:63], off offset:2048
	s_wait_xcnt 0x0
	s_or_b32 exec_lo, exec_lo, s60
	s_delay_alu instid0(SALU_CYCLE_1)
	s_mov_b32 s60, exec_lo
	v_cmpx_lt_u32_e64 v113, v141
	s_cbranch_execz .LBB936_220
.LBB936_290:                            ;   in Loop: Header=BB936_108 Depth=2
	global_load_b64 v[42:43], v[62:63], off offset:2304
	s_wait_xcnt 0x0
	s_or_b32 exec_lo, exec_lo, s60
	s_delay_alu instid0(SALU_CYCLE_1)
	s_mov_b32 s60, exec_lo
	v_cmpx_lt_u32_e64 v114, v141
	s_cbranch_execz .LBB936_221
.LBB936_291:                            ;   in Loop: Header=BB936_108 Depth=2
	global_load_b64 v[40:41], v[62:63], off offset:2560
	s_wait_xcnt 0x0
	s_or_b32 exec_lo, exec_lo, s60
	s_delay_alu instid0(SALU_CYCLE_1)
	s_mov_b32 s60, exec_lo
	v_cmpx_lt_u32_e64 v115, v141
	s_cbranch_execz .LBB936_222
.LBB936_292:                            ;   in Loop: Header=BB936_108 Depth=2
	global_load_b64 v[38:39], v[62:63], off offset:2816
	s_wait_xcnt 0x0
	s_or_b32 exec_lo, exec_lo, s60
	s_delay_alu instid0(SALU_CYCLE_1)
	s_mov_b32 s60, exec_lo
	v_cmpx_lt_u32_e64 v116, v141
	s_cbranch_execz .LBB936_223
.LBB936_293:                            ;   in Loop: Header=BB936_108 Depth=2
	global_load_b64 v[36:37], v[62:63], off offset:3072
	s_wait_xcnt 0x0
	s_or_b32 exec_lo, exec_lo, s60
	s_delay_alu instid0(SALU_CYCLE_1)
	s_mov_b32 s60, exec_lo
	v_cmpx_lt_u32_e64 v117, v141
	s_cbranch_execz .LBB936_224
.LBB936_294:                            ;   in Loop: Header=BB936_108 Depth=2
	global_load_b64 v[34:35], v[62:63], off offset:3328
	s_wait_xcnt 0x0
	s_or_b32 exec_lo, exec_lo, s60
	s_delay_alu instid0(SALU_CYCLE_1)
	s_mov_b32 s60, exec_lo
	v_cmpx_lt_u32_e64 v118, v141
	s_cbranch_execz .LBB936_225
.LBB936_295:                            ;   in Loop: Header=BB936_108 Depth=2
	global_load_b64 v[32:33], v[62:63], off offset:3584
	s_wait_xcnt 0x0
	s_or_b32 exec_lo, exec_lo, s60
	s_delay_alu instid0(SALU_CYCLE_1)
	s_mov_b32 s60, exec_lo
	v_cmpx_lt_u32_e64 v119, v141
	s_cbranch_execz .LBB936_226
.LBB936_296:                            ;   in Loop: Header=BB936_108 Depth=2
	global_load_b64 v[30:31], v[62:63], off offset:3840
	s_wait_xcnt 0x0
	s_or_b32 exec_lo, exec_lo, s60
	s_delay_alu instid0(SALU_CYCLE_1)
	s_mov_b32 s60, exec_lo
	v_cmpx_lt_u32_e64 v120, v141
	s_cbranch_execz .LBB936_227
.LBB936_297:                            ;   in Loop: Header=BB936_108 Depth=2
	global_load_b64 v[28:29], v[62:63], off offset:4096
	s_wait_xcnt 0x0
	s_or_b32 exec_lo, exec_lo, s60
	s_and_saveexec_b32 s34, vcc_lo
	s_cbranch_execz .LBB936_228
.LBB936_298:                            ;   in Loop: Header=BB936_108 Depth=2
	ds_load_u16 v62, v94 offset:512
	s_wait_dscnt 0x0
	v_lshrrev_b32_e32 v62, s43, v62
	s_delay_alu instid0(VALU_DEP_1)
	v_and_b32_e32 v139, s48, v62
	s_or_b32 exec_lo, exec_lo, s34
	s_and_saveexec_b32 s34, s17
	s_cbranch_execz .LBB936_229
.LBB936_299:                            ;   in Loop: Header=BB936_108 Depth=2
	ds_load_u16 v62, v94 offset:1024
	s_wait_dscnt 0x0
	v_lshrrev_b32_e32 v62, s43, v62
	s_delay_alu instid0(VALU_DEP_1)
	v_and_b32_e32 v138, s48, v62
	s_or_b32 exec_lo, exec_lo, s34
	s_and_saveexec_b32 s34, s18
	s_cbranch_execz .LBB936_230
.LBB936_300:                            ;   in Loop: Header=BB936_108 Depth=2
	ds_load_u16 v62, v94 offset:1536
	s_wait_dscnt 0x0
	v_lshrrev_b32_e32 v62, s43, v62
	s_delay_alu instid0(VALU_DEP_1)
	v_and_b32_e32 v136, s48, v62
	s_or_b32 exec_lo, exec_lo, s34
	s_and_saveexec_b32 s34, s19
	s_cbranch_execz .LBB936_231
.LBB936_301:                            ;   in Loop: Header=BB936_108 Depth=2
	ds_load_u16 v62, v94 offset:2048
	s_wait_dscnt 0x0
	v_lshrrev_b32_e32 v62, s43, v62
	s_delay_alu instid0(VALU_DEP_1)
	v_and_b32_e32 v135, s48, v62
	s_or_b32 exec_lo, exec_lo, s34
	s_and_saveexec_b32 s34, s20
	s_cbranch_execz .LBB936_232
.LBB936_302:                            ;   in Loop: Header=BB936_108 Depth=2
	ds_load_u16 v62, v94 offset:2560
	s_wait_dscnt 0x0
	v_lshrrev_b32_e32 v62, s43, v62
	s_delay_alu instid0(VALU_DEP_1)
	v_and_b32_e32 v134, s48, v62
	s_or_b32 exec_lo, exec_lo, s34
	s_and_saveexec_b32 s34, s21
	s_cbranch_execz .LBB936_233
.LBB936_303:                            ;   in Loop: Header=BB936_108 Depth=2
	ds_load_u16 v62, v94 offset:3072
	s_wait_dscnt 0x0
	v_lshrrev_b32_e32 v62, s43, v62
	s_delay_alu instid0(VALU_DEP_1)
	v_and_b32_e32 v133, s48, v62
	s_or_b32 exec_lo, exec_lo, s34
	s_and_saveexec_b32 s34, s22
	s_cbranch_execz .LBB936_234
.LBB936_304:                            ;   in Loop: Header=BB936_108 Depth=2
	ds_load_u16 v62, v94 offset:3584
	s_wait_dscnt 0x0
	v_lshrrev_b32_e32 v62, s43, v62
	s_delay_alu instid0(VALU_DEP_1)
	v_and_b32_e32 v132, s48, v62
	s_or_b32 exec_lo, exec_lo, s34
	s_and_saveexec_b32 s34, s23
	s_cbranch_execz .LBB936_235
.LBB936_305:                            ;   in Loop: Header=BB936_108 Depth=2
	ds_load_u16 v62, v94 offset:4096
	s_wait_dscnt 0x0
	v_lshrrev_b32_e32 v62, s43, v62
	s_delay_alu instid0(VALU_DEP_1)
	v_and_b32_e32 v131, s48, v62
	s_or_b32 exec_lo, exec_lo, s34
	s_and_saveexec_b32 s34, s24
	s_cbranch_execz .LBB936_236
.LBB936_306:                            ;   in Loop: Header=BB936_108 Depth=2
	ds_load_u16 v62, v94 offset:4608
	s_wait_dscnt 0x0
	v_lshrrev_b32_e32 v62, s43, v62
	s_delay_alu instid0(VALU_DEP_1)
	v_and_b32_e32 v130, s48, v62
	s_or_b32 exec_lo, exec_lo, s34
	s_and_saveexec_b32 s34, s25
	s_cbranch_execz .LBB936_237
.LBB936_307:                            ;   in Loop: Header=BB936_108 Depth=2
	ds_load_u16 v62, v94 offset:5120
	s_wait_dscnt 0x0
	v_lshrrev_b32_e32 v62, s43, v62
	s_delay_alu instid0(VALU_DEP_1)
	v_and_b32_e32 v129, s48, v62
	s_or_b32 exec_lo, exec_lo, s34
	s_and_saveexec_b32 s34, s26
	s_cbranch_execz .LBB936_238
.LBB936_308:                            ;   in Loop: Header=BB936_108 Depth=2
	ds_load_u16 v62, v94 offset:5632
	s_wait_dscnt 0x0
	v_lshrrev_b32_e32 v62, s43, v62
	s_delay_alu instid0(VALU_DEP_1)
	v_and_b32_e32 v128, s48, v62
	s_or_b32 exec_lo, exec_lo, s34
	s_and_saveexec_b32 s34, s27
	s_cbranch_execz .LBB936_239
.LBB936_309:                            ;   in Loop: Header=BB936_108 Depth=2
	ds_load_u16 v62, v94 offset:6144
	s_wait_dscnt 0x0
	v_lshrrev_b32_e32 v62, s43, v62
	s_delay_alu instid0(VALU_DEP_1)
	v_and_b32_e32 v127, s48, v62
	s_or_b32 exec_lo, exec_lo, s34
	s_and_saveexec_b32 s34, s28
	s_cbranch_execz .LBB936_240
.LBB936_310:                            ;   in Loop: Header=BB936_108 Depth=2
	ds_load_u16 v62, v94 offset:6656
	s_wait_dscnt 0x0
	v_lshrrev_b32_e32 v62, s43, v62
	s_delay_alu instid0(VALU_DEP_1)
	v_and_b32_e32 v126, s48, v62
	s_or_b32 exec_lo, exec_lo, s34
	s_and_saveexec_b32 s34, s29
	s_cbranch_execz .LBB936_241
.LBB936_311:                            ;   in Loop: Header=BB936_108 Depth=2
	ds_load_u16 v62, v94 offset:7168
	s_wait_dscnt 0x0
	v_lshrrev_b32_e32 v62, s43, v62
	s_delay_alu instid0(VALU_DEP_1)
	v_and_b32_e32 v125, s48, v62
	s_or_b32 exec_lo, exec_lo, s34
	s_and_saveexec_b32 s34, s30
	s_cbranch_execz .LBB936_242
.LBB936_312:                            ;   in Loop: Header=BB936_108 Depth=2
	ds_load_u16 v62, v94 offset:7680
	s_wait_dscnt 0x0
	v_lshrrev_b32_e32 v62, s43, v62
	s_delay_alu instid0(VALU_DEP_1)
	v_and_b32_e32 v124, s48, v62
	s_or_b32 exec_lo, exec_lo, s34
	s_and_saveexec_b32 s34, s31
	s_cbranch_execz .LBB936_243
.LBB936_313:                            ;   in Loop: Header=BB936_108 Depth=2
	ds_load_u16 v62, v94 offset:8192
	s_wait_dscnt 0x0
	v_lshrrev_b32_e32 v62, s43, v62
	s_delay_alu instid0(VALU_DEP_1)
	v_and_b32_e32 v123, s48, v62
	s_or_b32 exec_lo, exec_lo, s34
	s_and_saveexec_b32 s34, s33
	s_cbranch_execnz .LBB936_244
	s_branch .LBB936_245
.LBB936_314:                            ;   in Loop: Header=BB936_108 Depth=2
	v_lshlrev_b32_e32 v62, 2, v139
	v_add_nc_u32_e32 v63, v94, v95
	ds_load_b32 v64, v62
	ds_load_b64 v[62:63], v63 offset:512
	s_wait_dscnt 0x1
	v_add_nc_u32_e32 v64, v64, v2
	s_wait_dscnt 0x0
	global_store_b64 v64, v[62:63], s[44:45] scale_offset
	s_wait_xcnt 0x0
	s_or_b32 exec_lo, exec_lo, s34
	s_and_saveexec_b32 s34, s17
	s_cbranch_execz .LBB936_247
.LBB936_315:                            ;   in Loop: Header=BB936_108 Depth=2
	v_dual_lshlrev_b32 v62, 2, v138 :: v_dual_add_nc_u32 v63, v94, v95
	ds_load_b32 v64, v62
	ds_load_b64 v[62:63], v63 offset:2560
	s_wait_dscnt 0x1
	v_add_nc_u32_e32 v64, v64, v66
	s_wait_dscnt 0x0
	global_store_b64 v64, v[62:63], s[44:45] scale_offset
	s_wait_xcnt 0x0
	s_or_b32 exec_lo, exec_lo, s34
	s_and_saveexec_b32 s17, s18
	s_cbranch_execz .LBB936_248
.LBB936_316:                            ;   in Loop: Header=BB936_108 Depth=2
	v_dual_lshlrev_b32 v62, 2, v136 :: v_dual_add_nc_u32 v63, v94, v95
	ds_load_b32 v64, v62
	ds_load_b64 v[62:63], v63 offset:4608
	s_wait_dscnt 0x1
	v_add_nc_u32_e32 v64, v64, v67
	s_wait_dscnt 0x0
	global_store_b64 v64, v[62:63], s[44:45] scale_offset
	s_wait_xcnt 0x0
	s_or_b32 exec_lo, exec_lo, s17
	s_and_saveexec_b32 s17, s19
	s_cbranch_execz .LBB936_249
.LBB936_317:                            ;   in Loop: Header=BB936_108 Depth=2
	v_lshlrev_b32_e32 v62, 2, v135
	v_add_nc_u32_e32 v63, v94, v95
	ds_load_b32 v64, v62
	ds_load_b64 v[62:63], v63 offset:6656
	s_wait_dscnt 0x1
	v_add_nc_u32_e32 v64, v64, v68
	s_wait_dscnt 0x0
	global_store_b64 v64, v[62:63], s[44:45] scale_offset
	s_wait_xcnt 0x0
	s_or_b32 exec_lo, exec_lo, s17
	s_and_saveexec_b32 s17, s20
	s_cbranch_execz .LBB936_250
.LBB936_318:                            ;   in Loop: Header=BB936_108 Depth=2
	v_dual_lshlrev_b32 v62, 2, v134 :: v_dual_add_nc_u32 v63, v94, v95
	ds_load_b32 v64, v62
	ds_load_b64 v[62:63], v63 offset:8704
	s_wait_dscnt 0x1
	v_add_nc_u32_e32 v64, v64, v69
	s_wait_dscnt 0x0
	global_store_b64 v64, v[62:63], s[44:45] scale_offset
	s_wait_xcnt 0x0
	s_or_b32 exec_lo, exec_lo, s17
	s_and_saveexec_b32 s17, s21
	s_cbranch_execz .LBB936_251
.LBB936_319:                            ;   in Loop: Header=BB936_108 Depth=2
	v_dual_lshlrev_b32 v62, 2, v133 :: v_dual_add_nc_u32 v63, v94, v95
	ds_load_b32 v64, v62
	ds_load_b64 v[62:63], v63 offset:10752
	s_wait_dscnt 0x1
	v_add_nc_u32_e32 v64, v64, v70
	s_wait_dscnt 0x0
	global_store_b64 v64, v[62:63], s[44:45] scale_offset
	s_wait_xcnt 0x0
	s_or_b32 exec_lo, exec_lo, s17
	s_and_saveexec_b32 s17, s22
	s_cbranch_execz .LBB936_252
.LBB936_320:                            ;   in Loop: Header=BB936_108 Depth=2
	v_dual_lshlrev_b32 v62, 2, v132 :: v_dual_add_nc_u32 v63, v94, v95
	ds_load_b32 v64, v62
	ds_load_b64 v[62:63], v63 offset:12800
	s_wait_dscnt 0x1
	v_add_nc_u32_e32 v64, v64, v71
	s_wait_dscnt 0x0
	global_store_b64 v64, v[62:63], s[44:45] scale_offset
	s_wait_xcnt 0x0
	s_or_b32 exec_lo, exec_lo, s17
	s_and_saveexec_b32 s17, s23
	s_cbranch_execz .LBB936_253
.LBB936_321:                            ;   in Loop: Header=BB936_108 Depth=2
	v_lshlrev_b32_e32 v62, 2, v131
	v_add_nc_u32_e32 v63, v94, v95
	ds_load_b32 v64, v62
	ds_load_b64 v[62:63], v63 offset:14848
	s_wait_dscnt 0x1
	v_add_nc_u32_e32 v64, v64, v72
	s_wait_dscnt 0x0
	global_store_b64 v64, v[62:63], s[44:45] scale_offset
	s_wait_xcnt 0x0
	s_or_b32 exec_lo, exec_lo, s17
	s_and_saveexec_b32 s17, s24
	s_cbranch_execz .LBB936_254
.LBB936_322:                            ;   in Loop: Header=BB936_108 Depth=2
	v_dual_lshlrev_b32 v62, 2, v130 :: v_dual_add_nc_u32 v63, v94, v95
	ds_load_b32 v64, v62
	ds_load_b64 v[62:63], v63 offset:16896
	s_wait_dscnt 0x1
	v_add_nc_u32_e32 v64, v64, v73
	s_wait_dscnt 0x0
	global_store_b64 v64, v[62:63], s[44:45] scale_offset
	s_wait_xcnt 0x0
	s_or_b32 exec_lo, exec_lo, s17
	s_and_saveexec_b32 s17, s25
	s_cbranch_execz .LBB936_255
.LBB936_323:                            ;   in Loop: Header=BB936_108 Depth=2
	v_dual_lshlrev_b32 v62, 2, v129 :: v_dual_add_nc_u32 v63, v94, v95
	ds_load_b32 v64, v62
	ds_load_b64 v[62:63], v63 offset:18944
	s_wait_dscnt 0x1
	v_add_nc_u32_e32 v64, v64, v74
	s_wait_dscnt 0x0
	global_store_b64 v64, v[62:63], s[44:45] scale_offset
	s_wait_xcnt 0x0
	s_or_b32 exec_lo, exec_lo, s17
	s_and_saveexec_b32 s17, s26
	s_cbranch_execz .LBB936_256
.LBB936_324:                            ;   in Loop: Header=BB936_108 Depth=2
	v_dual_lshlrev_b32 v62, 2, v128 :: v_dual_add_nc_u32 v63, v94, v95
	ds_load_b32 v64, v62
	ds_load_b64 v[62:63], v63 offset:20992
	s_wait_dscnt 0x1
	v_add_nc_u32_e32 v64, v64, v75
	s_wait_dscnt 0x0
	global_store_b64 v64, v[62:63], s[44:45] scale_offset
	s_wait_xcnt 0x0
	s_or_b32 exec_lo, exec_lo, s17
	s_and_saveexec_b32 s17, s27
	s_cbranch_execz .LBB936_257
.LBB936_325:                            ;   in Loop: Header=BB936_108 Depth=2
	v_lshlrev_b32_e32 v62, 2, v127
	v_add_nc_u32_e32 v63, v94, v95
	ds_load_b32 v64, v62
	ds_load_b64 v[62:63], v63 offset:23040
	s_wait_dscnt 0x1
	v_add_nc_u32_e32 v64, v64, v76
	s_wait_dscnt 0x0
	global_store_b64 v64, v[62:63], s[44:45] scale_offset
	s_wait_xcnt 0x0
	s_or_b32 exec_lo, exec_lo, s17
	s_and_saveexec_b32 s17, s28
	s_cbranch_execz .LBB936_258
.LBB936_326:                            ;   in Loop: Header=BB936_108 Depth=2
	v_dual_lshlrev_b32 v62, 2, v126 :: v_dual_add_nc_u32 v63, v94, v95
	ds_load_b32 v64, v62
	ds_load_b64 v[62:63], v63 offset:25088
	s_wait_dscnt 0x1
	v_add_nc_u32_e32 v64, v64, v77
	s_wait_dscnt 0x0
	global_store_b64 v64, v[62:63], s[44:45] scale_offset
	s_wait_xcnt 0x0
	s_or_b32 exec_lo, exec_lo, s17
	s_and_saveexec_b32 s17, s29
	s_cbranch_execz .LBB936_259
.LBB936_327:                            ;   in Loop: Header=BB936_108 Depth=2
	v_dual_lshlrev_b32 v62, 2, v125 :: v_dual_add_nc_u32 v63, v94, v95
	ds_load_b32 v64, v62
	ds_load_b64 v[62:63], v63 offset:27136
	s_wait_dscnt 0x1
	v_add_nc_u32_e32 v64, v64, v78
	s_wait_dscnt 0x0
	global_store_b64 v64, v[62:63], s[44:45] scale_offset
	s_wait_xcnt 0x0
	s_or_b32 exec_lo, exec_lo, s17
	s_and_saveexec_b32 s17, s30
	s_cbranch_execz .LBB936_260
.LBB936_328:                            ;   in Loop: Header=BB936_108 Depth=2
	v_dual_lshlrev_b32 v62, 2, v124 :: v_dual_add_nc_u32 v63, v94, v95
	ds_load_b32 v64, v62
	ds_load_b64 v[62:63], v63 offset:29184
	s_wait_dscnt 0x1
	v_add_nc_u32_e32 v64, v64, v79
	s_wait_dscnt 0x0
	global_store_b64 v64, v[62:63], s[44:45] scale_offset
	s_wait_xcnt 0x0
	s_or_b32 exec_lo, exec_lo, s17
	s_and_saveexec_b32 s17, s31
	s_cbranch_execz .LBB936_261
.LBB936_329:                            ;   in Loop: Header=BB936_108 Depth=2
	v_lshlrev_b32_e32 v62, 2, v123
	v_add_nc_u32_e32 v63, v94, v95
	ds_load_b32 v64, v62
	ds_load_b64 v[62:63], v63 offset:31232
	s_wait_dscnt 0x1
	v_add_nc_u32_e32 v64, v64, v80
	s_wait_dscnt 0x0
	global_store_b64 v64, v[62:63], s[44:45] scale_offset
	s_wait_xcnt 0x0
	s_or_b32 exec_lo, exec_lo, s17
	s_and_saveexec_b32 s17, s33
	s_cbranch_execnz .LBB936_262
	s_branch .LBB936_263
.LBB936_330:                            ;   in Loop: Header=BB936_20 Depth=1
	s_wait_dscnt 0x0
	s_barrier_signal -1
	s_mov_b32 s9, 0
	s_barrier_wait -1
.LBB936_331:                            ;   in Loop: Header=BB936_20 Depth=1
	s_and_b32 vcc_lo, exec_lo, s9
	s_cbranch_vccz .LBB936_641
; %bb.332:                              ;   in Loop: Header=BB936_20 Depth=1
	s_mov_b32 s9, s57
	s_mov_b32 s34, s55
	s_barrier_signal -1
	s_barrier_wait -1
                                        ; implicit-def: $vgpr23
                                        ; implicit-def: $vgpr24
                                        ; implicit-def: $vgpr25
                                        ; implicit-def: $vgpr26
                                        ; implicit-def: $vgpr27
                                        ; implicit-def: $vgpr28
                                        ; implicit-def: $vgpr29
                                        ; implicit-def: $vgpr30
                                        ; implicit-def: $vgpr31
                                        ; implicit-def: $vgpr32
                                        ; implicit-def: $vgpr33
                                        ; implicit-def: $vgpr34
                                        ; implicit-def: $vgpr35
                                        ; implicit-def: $vgpr36
                                        ; implicit-def: $vgpr37
                                        ; implicit-def: $vgpr38
                                        ; implicit-def: $vgpr39
	s_branch .LBB936_334
.LBB936_333:                            ;   in Loop: Header=BB936_334 Depth=2
	s_or_b32 exec_lo, exec_lo, s10
	s_addk_co_i32 s9, 0xef00
	s_cmp_ge_u32 s12, s54
	s_mov_b32 s34, s12
	s_cbranch_scc1 .LBB936_406
.LBB936_334:                            ;   Parent Loop BB936_20 Depth=1
                                        ; =>  This Inner Loop Header: Depth=2
	s_add_co_i32 s12, s34, 0x1100
	s_mov_b32 s10, -1
	s_cmp_gt_u32 s12, s54
                                        ; implicit-def: $vgpr40
                                        ; implicit-def: $vgpr41
                                        ; implicit-def: $vgpr42
                                        ; implicit-def: $vgpr43
                                        ; implicit-def: $vgpr44
                                        ; implicit-def: $vgpr45
                                        ; implicit-def: $vgpr46
                                        ; implicit-def: $vgpr47
                                        ; implicit-def: $vgpr48
                                        ; implicit-def: $vgpr49
                                        ; implicit-def: $vgpr50
                                        ; implicit-def: $vgpr51
                                        ; implicit-def: $vgpr52
                                        ; implicit-def: $vgpr53
                                        ; implicit-def: $vgpr54
                                        ; implicit-def: $vgpr55
                                        ; implicit-def: $vgpr56
	s_cbranch_scc1 .LBB936_336
; %bb.335:                              ;   in Loop: Header=BB936_334 Depth=2
	v_lshl_add_u64 v[58:59], s[34:35], 1, v[10:11]
	s_mov_b32 s10, 0
	s_clause 0x10
	global_load_u16 v40, v[58:59], off
	global_load_u16 v41, v[58:59], off offset:512
	global_load_u16 v42, v[58:59], off offset:1024
	global_load_u16 v43, v[58:59], off offset:1536
	global_load_u16 v44, v[58:59], off offset:2048
	global_load_u16 v45, v[58:59], off offset:2560
	global_load_u16 v46, v[58:59], off offset:3072
	global_load_u16 v47, v[58:59], off offset:3584
	global_load_u16 v48, v[58:59], off offset:4096
	global_load_u16 v49, v[58:59], off offset:4608
	global_load_u16 v50, v[58:59], off offset:5120
	global_load_u16 v51, v[58:59], off offset:5632
	global_load_u16 v52, v[58:59], off offset:6144
	global_load_u16 v53, v[58:59], off offset:6656
	global_load_u16 v54, v[58:59], off offset:7168
	global_load_u16 v55, v[58:59], off offset:7680
	global_load_u16 v56, v[58:59], off offset:8192
.LBB936_336:                            ;   in Loop: Header=BB936_334 Depth=2
	s_and_not1_b32 vcc_lo, exec_lo, s10
	s_movk_i32 s10, 0x1100
	s_cbranch_vccnz .LBB936_356
; %bb.337:                              ;   in Loop: Header=BB936_334 Depth=2
	s_lshl_b64 s[10:11], s[34:35], 1
	s_mov_b32 s13, exec_lo
	s_add_nc_u64 s[10:11], s[38:39], s[10:11]
	s_wait_xcnt 0x0
	v_cmpx_gt_u32_e64 s9, v2
	s_cbranch_execnz .LBB936_390
; %bb.338:                              ;   in Loop: Header=BB936_334 Depth=2
	s_or_b32 exec_lo, exec_lo, s13
	s_delay_alu instid0(SALU_CYCLE_1)
	s_mov_b32 s13, exec_lo
	v_cmpx_gt_u32_e64 s9, v66
	s_cbranch_execnz .LBB936_391
.LBB936_339:                            ;   in Loop: Header=BB936_334 Depth=2
	s_or_b32 exec_lo, exec_lo, s13
	s_delay_alu instid0(SALU_CYCLE_1)
	s_mov_b32 s13, exec_lo
	v_cmpx_gt_u32_e64 s9, v67
	s_cbranch_execnz .LBB936_392
.LBB936_340:                            ;   in Loop: Header=BB936_334 Depth=2
	s_or_b32 exec_lo, exec_lo, s13
	s_delay_alu instid0(SALU_CYCLE_1)
	s_mov_b32 s13, exec_lo
	v_cmpx_gt_u32_e64 s9, v68
	s_cbranch_execnz .LBB936_393
.LBB936_341:                            ;   in Loop: Header=BB936_334 Depth=2
	s_or_b32 exec_lo, exec_lo, s13
	s_delay_alu instid0(SALU_CYCLE_1)
	s_mov_b32 s13, exec_lo
	v_cmpx_gt_u32_e64 s9, v69
	s_cbranch_execnz .LBB936_394
.LBB936_342:                            ;   in Loop: Header=BB936_334 Depth=2
	s_or_b32 exec_lo, exec_lo, s13
	s_delay_alu instid0(SALU_CYCLE_1)
	s_mov_b32 s13, exec_lo
	v_cmpx_gt_u32_e64 s9, v70
	s_cbranch_execnz .LBB936_395
.LBB936_343:                            ;   in Loop: Header=BB936_334 Depth=2
	s_or_b32 exec_lo, exec_lo, s13
	s_delay_alu instid0(SALU_CYCLE_1)
	s_mov_b32 s13, exec_lo
	v_cmpx_gt_u32_e64 s9, v71
	s_cbranch_execnz .LBB936_396
.LBB936_344:                            ;   in Loop: Header=BB936_334 Depth=2
	s_or_b32 exec_lo, exec_lo, s13
	s_delay_alu instid0(SALU_CYCLE_1)
	s_mov_b32 s13, exec_lo
	v_cmpx_gt_u32_e64 s9, v72
	s_cbranch_execnz .LBB936_397
.LBB936_345:                            ;   in Loop: Header=BB936_334 Depth=2
	s_or_b32 exec_lo, exec_lo, s13
	s_delay_alu instid0(SALU_CYCLE_1)
	s_mov_b32 s13, exec_lo
	v_cmpx_gt_u32_e64 s9, v73
	s_cbranch_execnz .LBB936_398
.LBB936_346:                            ;   in Loop: Header=BB936_334 Depth=2
	s_or_b32 exec_lo, exec_lo, s13
	s_delay_alu instid0(SALU_CYCLE_1)
	s_mov_b32 s13, exec_lo
	v_cmpx_gt_u32_e64 s9, v74
	s_cbranch_execnz .LBB936_399
.LBB936_347:                            ;   in Loop: Header=BB936_334 Depth=2
	s_or_b32 exec_lo, exec_lo, s13
	s_delay_alu instid0(SALU_CYCLE_1)
	s_mov_b32 s13, exec_lo
	v_cmpx_gt_u32_e64 s9, v75
	s_cbranch_execnz .LBB936_400
.LBB936_348:                            ;   in Loop: Header=BB936_334 Depth=2
	s_or_b32 exec_lo, exec_lo, s13
	s_delay_alu instid0(SALU_CYCLE_1)
	s_mov_b32 s13, exec_lo
	v_cmpx_gt_u32_e64 s9, v76
	s_cbranch_execnz .LBB936_401
.LBB936_349:                            ;   in Loop: Header=BB936_334 Depth=2
	s_or_b32 exec_lo, exec_lo, s13
	s_delay_alu instid0(SALU_CYCLE_1)
	s_mov_b32 s13, exec_lo
	v_cmpx_gt_u32_e64 s9, v77
	s_cbranch_execnz .LBB936_402
.LBB936_350:                            ;   in Loop: Header=BB936_334 Depth=2
	s_or_b32 exec_lo, exec_lo, s13
	s_delay_alu instid0(SALU_CYCLE_1)
	s_mov_b32 s13, exec_lo
	v_cmpx_gt_u32_e64 s9, v78
	s_cbranch_execnz .LBB936_403
.LBB936_351:                            ;   in Loop: Header=BB936_334 Depth=2
	s_or_b32 exec_lo, exec_lo, s13
	s_delay_alu instid0(SALU_CYCLE_1)
	s_mov_b32 s13, exec_lo
	v_cmpx_gt_u32_e64 s9, v79
	s_cbranch_execnz .LBB936_404
.LBB936_352:                            ;   in Loop: Header=BB936_334 Depth=2
	s_or_b32 exec_lo, exec_lo, s13
	s_delay_alu instid0(SALU_CYCLE_1)
	s_mov_b32 s13, exec_lo
	v_cmpx_gt_u32_e64 s9, v80
	s_cbranch_execnz .LBB936_405
.LBB936_353:                            ;   in Loop: Header=BB936_334 Depth=2
	s_or_b32 exec_lo, exec_lo, s13
	s_delay_alu instid0(SALU_CYCLE_1)
	s_mov_b32 s13, exec_lo
	v_cmpx_gt_u32_e64 s9, v81
	s_cbranch_execz .LBB936_355
.LBB936_354:                            ;   in Loop: Header=BB936_334 Depth=2
	global_load_u16 v23, v2, s[10:11] offset:8192 scale_offset
.LBB936_355:                            ;   in Loop: Header=BB936_334 Depth=2
	s_wait_xcnt 0x0
	s_or_b32 exec_lo, exec_lo, s13
	s_wait_loadcnt 0x0
	v_dual_mov_b32 v40, v39 :: v_dual_mov_b32 v41, v38
	v_dual_mov_b32 v42, v37 :: v_dual_mov_b32 v43, v36
	;; [unrolled: 1-line block ×8, first 2 shown]
	v_mov_b32_e32 v56, v23
	s_mov_b32 s10, s9
.LBB936_356:                            ;   in Loop: Header=BB936_334 Depth=2
	s_wait_loadcnt 0x0
	s_delay_alu instid0(VALU_DEP_1)
	v_dual_mov_b32 v23, v56 :: v_dual_mov_b32 v24, v55
	v_dual_mov_b32 v25, v54 :: v_dual_mov_b32 v26, v53
	;; [unrolled: 1-line block ×8, first 2 shown]
	v_mov_b32_e32 v39, v40
	s_mov_b32 s11, exec_lo
	s_wait_xcnt 0x0
	v_cmpx_gt_u32_e64 s10, v2
	s_cbranch_execnz .LBB936_373
; %bb.357:                              ;   in Loop: Header=BB936_334 Depth=2
	s_or_b32 exec_lo, exec_lo, s11
	s_delay_alu instid0(SALU_CYCLE_1)
	s_mov_b32 s11, exec_lo
	v_cmpx_gt_u32_e64 s10, v66
	s_cbranch_execnz .LBB936_374
.LBB936_358:                            ;   in Loop: Header=BB936_334 Depth=2
	s_or_b32 exec_lo, exec_lo, s11
	s_delay_alu instid0(SALU_CYCLE_1)
	s_mov_b32 s11, exec_lo
	v_cmpx_gt_u32_e64 s10, v67
	s_cbranch_execnz .LBB936_375
.LBB936_359:                            ;   in Loop: Header=BB936_334 Depth=2
	s_or_b32 exec_lo, exec_lo, s11
	s_delay_alu instid0(SALU_CYCLE_1)
	s_mov_b32 s11, exec_lo
	v_cmpx_gt_u32_e64 s10, v68
	s_cbranch_execnz .LBB936_376
.LBB936_360:                            ;   in Loop: Header=BB936_334 Depth=2
	s_or_b32 exec_lo, exec_lo, s11
	s_delay_alu instid0(SALU_CYCLE_1)
	s_mov_b32 s11, exec_lo
	v_cmpx_gt_u32_e64 s10, v69
	s_cbranch_execnz .LBB936_377
.LBB936_361:                            ;   in Loop: Header=BB936_334 Depth=2
	s_or_b32 exec_lo, exec_lo, s11
	s_delay_alu instid0(SALU_CYCLE_1)
	s_mov_b32 s11, exec_lo
	v_cmpx_gt_u32_e64 s10, v70
	s_cbranch_execnz .LBB936_378
.LBB936_362:                            ;   in Loop: Header=BB936_334 Depth=2
	s_or_b32 exec_lo, exec_lo, s11
	s_delay_alu instid0(SALU_CYCLE_1)
	s_mov_b32 s11, exec_lo
	v_cmpx_gt_u32_e64 s10, v71
	s_cbranch_execnz .LBB936_379
.LBB936_363:                            ;   in Loop: Header=BB936_334 Depth=2
	s_or_b32 exec_lo, exec_lo, s11
	s_delay_alu instid0(SALU_CYCLE_1)
	s_mov_b32 s11, exec_lo
	v_cmpx_gt_u32_e64 s10, v72
	s_cbranch_execnz .LBB936_380
.LBB936_364:                            ;   in Loop: Header=BB936_334 Depth=2
	s_or_b32 exec_lo, exec_lo, s11
	s_delay_alu instid0(SALU_CYCLE_1)
	s_mov_b32 s11, exec_lo
	v_cmpx_gt_u32_e64 s10, v73
	s_cbranch_execnz .LBB936_381
.LBB936_365:                            ;   in Loop: Header=BB936_334 Depth=2
	s_or_b32 exec_lo, exec_lo, s11
	s_delay_alu instid0(SALU_CYCLE_1)
	s_mov_b32 s11, exec_lo
	v_cmpx_gt_u32_e64 s10, v74
	s_cbranch_execnz .LBB936_382
.LBB936_366:                            ;   in Loop: Header=BB936_334 Depth=2
	s_or_b32 exec_lo, exec_lo, s11
	s_delay_alu instid0(SALU_CYCLE_1)
	s_mov_b32 s11, exec_lo
	v_cmpx_gt_u32_e64 s10, v75
	s_cbranch_execnz .LBB936_383
.LBB936_367:                            ;   in Loop: Header=BB936_334 Depth=2
	s_or_b32 exec_lo, exec_lo, s11
	s_delay_alu instid0(SALU_CYCLE_1)
	s_mov_b32 s11, exec_lo
	v_cmpx_gt_u32_e64 s10, v76
	s_cbranch_execnz .LBB936_384
.LBB936_368:                            ;   in Loop: Header=BB936_334 Depth=2
	s_or_b32 exec_lo, exec_lo, s11
	s_delay_alu instid0(SALU_CYCLE_1)
	s_mov_b32 s11, exec_lo
	v_cmpx_gt_u32_e64 s10, v77
	s_cbranch_execnz .LBB936_385
.LBB936_369:                            ;   in Loop: Header=BB936_334 Depth=2
	s_or_b32 exec_lo, exec_lo, s11
	s_delay_alu instid0(SALU_CYCLE_1)
	s_mov_b32 s11, exec_lo
	v_cmpx_gt_u32_e64 s10, v78
	s_cbranch_execnz .LBB936_386
.LBB936_370:                            ;   in Loop: Header=BB936_334 Depth=2
	s_or_b32 exec_lo, exec_lo, s11
	s_delay_alu instid0(SALU_CYCLE_1)
	s_mov_b32 s11, exec_lo
	v_cmpx_gt_u32_e64 s10, v79
	s_cbranch_execnz .LBB936_387
.LBB936_371:                            ;   in Loop: Header=BB936_334 Depth=2
	s_or_b32 exec_lo, exec_lo, s11
	s_delay_alu instid0(SALU_CYCLE_1)
	s_mov_b32 s11, exec_lo
	v_cmpx_gt_u32_e64 s10, v80
	s_cbranch_execnz .LBB936_388
.LBB936_372:                            ;   in Loop: Header=BB936_334 Depth=2
	s_or_b32 exec_lo, exec_lo, s11
	v_cmp_gt_u32_e32 vcc_lo, s10, v81
	s_and_saveexec_b32 s10, vcc_lo
	s_cbranch_execz .LBB936_333
	s_branch .LBB936_389
.LBB936_373:                            ;   in Loop: Header=BB936_334 Depth=2
	v_xor_b32_e32 v40, 0x7fff, v39
	s_delay_alu instid0(VALU_DEP_1) | instskip(NEXT) | instid1(VALU_DEP_1)
	v_and_b32_e32 v40, 0xffff, v40
	v_lshrrev_b32_e32 v40, s43, v40
	s_delay_alu instid0(VALU_DEP_1) | instskip(NEXT) | instid1(VALU_DEP_1)
	v_and_b32_e32 v40, s48, v40
	v_lshl_or_b32 v40, v40, 4, v83
	ds_add_u32 v40, v97
	s_or_b32 exec_lo, exec_lo, s11
	s_delay_alu instid0(SALU_CYCLE_1)
	s_mov_b32 s11, exec_lo
	v_cmpx_gt_u32_e64 s10, v66
	s_cbranch_execz .LBB936_358
.LBB936_374:                            ;   in Loop: Header=BB936_334 Depth=2
	v_xor_b32_e32 v40, 0x7fff, v38
	s_delay_alu instid0(VALU_DEP_1) | instskip(NEXT) | instid1(VALU_DEP_1)
	v_and_b32_e32 v40, 0xffff, v40
	v_lshrrev_b32_e32 v40, s43, v40
	s_delay_alu instid0(VALU_DEP_1) | instskip(NEXT) | instid1(VALU_DEP_1)
	v_and_b32_e32 v40, s48, v40
	v_lshl_or_b32 v40, v40, 4, v83
	ds_add_u32 v40, v97
	s_or_b32 exec_lo, exec_lo, s11
	s_delay_alu instid0(SALU_CYCLE_1)
	s_mov_b32 s11, exec_lo
	v_cmpx_gt_u32_e64 s10, v67
	s_cbranch_execz .LBB936_359
.LBB936_375:                            ;   in Loop: Header=BB936_334 Depth=2
	v_xor_b32_e32 v40, 0x7fff, v37
	s_delay_alu instid0(VALU_DEP_1) | instskip(NEXT) | instid1(VALU_DEP_1)
	v_and_b32_e32 v40, 0xffff, v40
	v_lshrrev_b32_e32 v40, s43, v40
	s_delay_alu instid0(VALU_DEP_1) | instskip(NEXT) | instid1(VALU_DEP_1)
	v_and_b32_e32 v40, s48, v40
	v_lshl_or_b32 v40, v40, 4, v83
	ds_add_u32 v40, v97
	s_or_b32 exec_lo, exec_lo, s11
	s_delay_alu instid0(SALU_CYCLE_1)
	s_mov_b32 s11, exec_lo
	v_cmpx_gt_u32_e64 s10, v68
	s_cbranch_execz .LBB936_360
.LBB936_376:                            ;   in Loop: Header=BB936_334 Depth=2
	v_xor_b32_e32 v40, 0x7fff, v36
	s_delay_alu instid0(VALU_DEP_1) | instskip(NEXT) | instid1(VALU_DEP_1)
	v_and_b32_e32 v40, 0xffff, v40
	v_lshrrev_b32_e32 v40, s43, v40
	s_delay_alu instid0(VALU_DEP_1) | instskip(NEXT) | instid1(VALU_DEP_1)
	v_and_b32_e32 v40, s48, v40
	v_lshl_or_b32 v40, v40, 4, v83
	ds_add_u32 v40, v97
	s_or_b32 exec_lo, exec_lo, s11
	s_delay_alu instid0(SALU_CYCLE_1)
	s_mov_b32 s11, exec_lo
	v_cmpx_gt_u32_e64 s10, v69
	s_cbranch_execz .LBB936_361
.LBB936_377:                            ;   in Loop: Header=BB936_334 Depth=2
	v_xor_b32_e32 v40, 0x7fff, v35
	s_delay_alu instid0(VALU_DEP_1) | instskip(NEXT) | instid1(VALU_DEP_1)
	v_and_b32_e32 v40, 0xffff, v40
	v_lshrrev_b32_e32 v40, s43, v40
	s_delay_alu instid0(VALU_DEP_1) | instskip(NEXT) | instid1(VALU_DEP_1)
	v_and_b32_e32 v40, s48, v40
	v_lshl_or_b32 v40, v40, 4, v83
	ds_add_u32 v40, v97
	s_or_b32 exec_lo, exec_lo, s11
	s_delay_alu instid0(SALU_CYCLE_1)
	s_mov_b32 s11, exec_lo
	v_cmpx_gt_u32_e64 s10, v70
	s_cbranch_execz .LBB936_362
.LBB936_378:                            ;   in Loop: Header=BB936_334 Depth=2
	v_xor_b32_e32 v40, 0x7fff, v34
	s_delay_alu instid0(VALU_DEP_1) | instskip(NEXT) | instid1(VALU_DEP_1)
	v_and_b32_e32 v40, 0xffff, v40
	v_lshrrev_b32_e32 v40, s43, v40
	s_delay_alu instid0(VALU_DEP_1) | instskip(NEXT) | instid1(VALU_DEP_1)
	v_and_b32_e32 v40, s48, v40
	v_lshl_or_b32 v40, v40, 4, v83
	ds_add_u32 v40, v97
	s_or_b32 exec_lo, exec_lo, s11
	s_delay_alu instid0(SALU_CYCLE_1)
	s_mov_b32 s11, exec_lo
	v_cmpx_gt_u32_e64 s10, v71
	s_cbranch_execz .LBB936_363
.LBB936_379:                            ;   in Loop: Header=BB936_334 Depth=2
	v_xor_b32_e32 v40, 0x7fff, v33
	s_delay_alu instid0(VALU_DEP_1) | instskip(NEXT) | instid1(VALU_DEP_1)
	v_and_b32_e32 v40, 0xffff, v40
	v_lshrrev_b32_e32 v40, s43, v40
	s_delay_alu instid0(VALU_DEP_1) | instskip(NEXT) | instid1(VALU_DEP_1)
	v_and_b32_e32 v40, s48, v40
	v_lshl_or_b32 v40, v40, 4, v83
	ds_add_u32 v40, v97
	s_or_b32 exec_lo, exec_lo, s11
	s_delay_alu instid0(SALU_CYCLE_1)
	s_mov_b32 s11, exec_lo
	v_cmpx_gt_u32_e64 s10, v72
	s_cbranch_execz .LBB936_364
.LBB936_380:                            ;   in Loop: Header=BB936_334 Depth=2
	v_xor_b32_e32 v40, 0x7fff, v32
	s_delay_alu instid0(VALU_DEP_1) | instskip(NEXT) | instid1(VALU_DEP_1)
	v_and_b32_e32 v40, 0xffff, v40
	v_lshrrev_b32_e32 v40, s43, v40
	s_delay_alu instid0(VALU_DEP_1) | instskip(NEXT) | instid1(VALU_DEP_1)
	v_and_b32_e32 v40, s48, v40
	v_lshl_or_b32 v40, v40, 4, v83
	ds_add_u32 v40, v97
	s_or_b32 exec_lo, exec_lo, s11
	s_delay_alu instid0(SALU_CYCLE_1)
	s_mov_b32 s11, exec_lo
	v_cmpx_gt_u32_e64 s10, v73
	s_cbranch_execz .LBB936_365
.LBB936_381:                            ;   in Loop: Header=BB936_334 Depth=2
	v_xor_b32_e32 v40, 0x7fff, v31
	s_delay_alu instid0(VALU_DEP_1) | instskip(NEXT) | instid1(VALU_DEP_1)
	v_and_b32_e32 v40, 0xffff, v40
	v_lshrrev_b32_e32 v40, s43, v40
	s_delay_alu instid0(VALU_DEP_1) | instskip(NEXT) | instid1(VALU_DEP_1)
	v_and_b32_e32 v40, s48, v40
	v_lshl_or_b32 v40, v40, 4, v83
	ds_add_u32 v40, v97
	s_or_b32 exec_lo, exec_lo, s11
	s_delay_alu instid0(SALU_CYCLE_1)
	s_mov_b32 s11, exec_lo
	v_cmpx_gt_u32_e64 s10, v74
	s_cbranch_execz .LBB936_366
.LBB936_382:                            ;   in Loop: Header=BB936_334 Depth=2
	v_xor_b32_e32 v40, 0x7fff, v30
	s_delay_alu instid0(VALU_DEP_1) | instskip(NEXT) | instid1(VALU_DEP_1)
	v_and_b32_e32 v40, 0xffff, v40
	v_lshrrev_b32_e32 v40, s43, v40
	s_delay_alu instid0(VALU_DEP_1) | instskip(NEXT) | instid1(VALU_DEP_1)
	v_and_b32_e32 v40, s48, v40
	v_lshl_or_b32 v40, v40, 4, v83
	ds_add_u32 v40, v97
	s_or_b32 exec_lo, exec_lo, s11
	s_delay_alu instid0(SALU_CYCLE_1)
	s_mov_b32 s11, exec_lo
	v_cmpx_gt_u32_e64 s10, v75
	s_cbranch_execz .LBB936_367
.LBB936_383:                            ;   in Loop: Header=BB936_334 Depth=2
	v_xor_b32_e32 v40, 0x7fff, v29
	s_delay_alu instid0(VALU_DEP_1) | instskip(NEXT) | instid1(VALU_DEP_1)
	v_and_b32_e32 v40, 0xffff, v40
	v_lshrrev_b32_e32 v40, s43, v40
	s_delay_alu instid0(VALU_DEP_1) | instskip(NEXT) | instid1(VALU_DEP_1)
	v_and_b32_e32 v40, s48, v40
	v_lshl_or_b32 v40, v40, 4, v83
	ds_add_u32 v40, v97
	s_or_b32 exec_lo, exec_lo, s11
	s_delay_alu instid0(SALU_CYCLE_1)
	s_mov_b32 s11, exec_lo
	v_cmpx_gt_u32_e64 s10, v76
	s_cbranch_execz .LBB936_368
.LBB936_384:                            ;   in Loop: Header=BB936_334 Depth=2
	v_xor_b32_e32 v40, 0x7fff, v28
	s_delay_alu instid0(VALU_DEP_1) | instskip(NEXT) | instid1(VALU_DEP_1)
	v_and_b32_e32 v40, 0xffff, v40
	v_lshrrev_b32_e32 v40, s43, v40
	s_delay_alu instid0(VALU_DEP_1) | instskip(NEXT) | instid1(VALU_DEP_1)
	v_and_b32_e32 v40, s48, v40
	v_lshl_or_b32 v40, v40, 4, v83
	ds_add_u32 v40, v97
	s_or_b32 exec_lo, exec_lo, s11
	s_delay_alu instid0(SALU_CYCLE_1)
	s_mov_b32 s11, exec_lo
	v_cmpx_gt_u32_e64 s10, v77
	s_cbranch_execz .LBB936_369
.LBB936_385:                            ;   in Loop: Header=BB936_334 Depth=2
	v_xor_b32_e32 v40, 0x7fff, v27
	s_delay_alu instid0(VALU_DEP_1) | instskip(NEXT) | instid1(VALU_DEP_1)
	v_and_b32_e32 v40, 0xffff, v40
	v_lshrrev_b32_e32 v40, s43, v40
	s_delay_alu instid0(VALU_DEP_1) | instskip(NEXT) | instid1(VALU_DEP_1)
	v_and_b32_e32 v40, s48, v40
	v_lshl_or_b32 v40, v40, 4, v83
	ds_add_u32 v40, v97
	s_or_b32 exec_lo, exec_lo, s11
	s_delay_alu instid0(SALU_CYCLE_1)
	s_mov_b32 s11, exec_lo
	v_cmpx_gt_u32_e64 s10, v78
	s_cbranch_execz .LBB936_370
.LBB936_386:                            ;   in Loop: Header=BB936_334 Depth=2
	v_xor_b32_e32 v40, 0x7fff, v26
	s_delay_alu instid0(VALU_DEP_1) | instskip(NEXT) | instid1(VALU_DEP_1)
	v_and_b32_e32 v40, 0xffff, v40
	v_lshrrev_b32_e32 v40, s43, v40
	s_delay_alu instid0(VALU_DEP_1) | instskip(NEXT) | instid1(VALU_DEP_1)
	v_and_b32_e32 v40, s48, v40
	v_lshl_or_b32 v40, v40, 4, v83
	ds_add_u32 v40, v97
	s_or_b32 exec_lo, exec_lo, s11
	s_delay_alu instid0(SALU_CYCLE_1)
	s_mov_b32 s11, exec_lo
	v_cmpx_gt_u32_e64 s10, v79
	s_cbranch_execz .LBB936_371
.LBB936_387:                            ;   in Loop: Header=BB936_334 Depth=2
	v_xor_b32_e32 v40, 0x7fff, v25
	s_delay_alu instid0(VALU_DEP_1) | instskip(NEXT) | instid1(VALU_DEP_1)
	v_and_b32_e32 v40, 0xffff, v40
	v_lshrrev_b32_e32 v40, s43, v40
	s_delay_alu instid0(VALU_DEP_1) | instskip(NEXT) | instid1(VALU_DEP_1)
	v_and_b32_e32 v40, s48, v40
	v_lshl_or_b32 v40, v40, 4, v83
	ds_add_u32 v40, v97
	s_or_b32 exec_lo, exec_lo, s11
	s_delay_alu instid0(SALU_CYCLE_1)
	s_mov_b32 s11, exec_lo
	v_cmpx_gt_u32_e64 s10, v80
	s_cbranch_execz .LBB936_372
.LBB936_388:                            ;   in Loop: Header=BB936_334 Depth=2
	v_xor_b32_e32 v40, 0x7fff, v24
	s_delay_alu instid0(VALU_DEP_1) | instskip(NEXT) | instid1(VALU_DEP_1)
	v_and_b32_e32 v40, 0xffff, v40
	v_lshrrev_b32_e32 v40, s43, v40
	s_delay_alu instid0(VALU_DEP_1) | instskip(NEXT) | instid1(VALU_DEP_1)
	v_and_b32_e32 v40, s48, v40
	v_lshl_or_b32 v40, v40, 4, v83
	ds_add_u32 v40, v97
	s_or_b32 exec_lo, exec_lo, s11
	v_cmp_gt_u32_e32 vcc_lo, s10, v81
	s_and_saveexec_b32 s10, vcc_lo
	s_cbranch_execz .LBB936_333
.LBB936_389:                            ;   in Loop: Header=BB936_334 Depth=2
	v_xor_b32_e32 v40, 0x7fff, v23
	s_delay_alu instid0(VALU_DEP_1) | instskip(NEXT) | instid1(VALU_DEP_1)
	v_and_b32_e32 v40, 0xffff, v40
	v_lshrrev_b32_e32 v40, s43, v40
	s_delay_alu instid0(VALU_DEP_1) | instskip(NEXT) | instid1(VALU_DEP_1)
	v_and_b32_e32 v40, s48, v40
	v_lshl_or_b32 v40, v40, 4, v83
	ds_add_u32 v40, v97
	s_branch .LBB936_333
.LBB936_390:                            ;   in Loop: Header=BB936_334 Depth=2
	global_load_u16 v39, v2, s[10:11] scale_offset
	s_wait_xcnt 0x0
	s_or_b32 exec_lo, exec_lo, s13
	s_delay_alu instid0(SALU_CYCLE_1)
	s_mov_b32 s13, exec_lo
	v_cmpx_gt_u32_e64 s9, v66
	s_cbranch_execz .LBB936_339
.LBB936_391:                            ;   in Loop: Header=BB936_334 Depth=2
	global_load_u16 v38, v2, s[10:11] offset:512 scale_offset
	s_wait_xcnt 0x0
	s_or_b32 exec_lo, exec_lo, s13
	s_delay_alu instid0(SALU_CYCLE_1)
	s_mov_b32 s13, exec_lo
	v_cmpx_gt_u32_e64 s9, v67
	s_cbranch_execz .LBB936_340
.LBB936_392:                            ;   in Loop: Header=BB936_334 Depth=2
	global_load_u16 v37, v2, s[10:11] offset:1024 scale_offset
	s_wait_xcnt 0x0
	s_or_b32 exec_lo, exec_lo, s13
	s_delay_alu instid0(SALU_CYCLE_1)
	s_mov_b32 s13, exec_lo
	v_cmpx_gt_u32_e64 s9, v68
	s_cbranch_execz .LBB936_341
.LBB936_393:                            ;   in Loop: Header=BB936_334 Depth=2
	global_load_u16 v36, v2, s[10:11] offset:1536 scale_offset
	s_wait_xcnt 0x0
	s_or_b32 exec_lo, exec_lo, s13
	s_delay_alu instid0(SALU_CYCLE_1)
	s_mov_b32 s13, exec_lo
	v_cmpx_gt_u32_e64 s9, v69
	s_cbranch_execz .LBB936_342
.LBB936_394:                            ;   in Loop: Header=BB936_334 Depth=2
	global_load_u16 v35, v2, s[10:11] offset:2048 scale_offset
	s_wait_xcnt 0x0
	s_or_b32 exec_lo, exec_lo, s13
	s_delay_alu instid0(SALU_CYCLE_1)
	s_mov_b32 s13, exec_lo
	v_cmpx_gt_u32_e64 s9, v70
	s_cbranch_execz .LBB936_343
.LBB936_395:                            ;   in Loop: Header=BB936_334 Depth=2
	global_load_u16 v34, v2, s[10:11] offset:2560 scale_offset
	s_wait_xcnt 0x0
	s_or_b32 exec_lo, exec_lo, s13
	s_delay_alu instid0(SALU_CYCLE_1)
	s_mov_b32 s13, exec_lo
	v_cmpx_gt_u32_e64 s9, v71
	s_cbranch_execz .LBB936_344
.LBB936_396:                            ;   in Loop: Header=BB936_334 Depth=2
	global_load_u16 v33, v2, s[10:11] offset:3072 scale_offset
	s_wait_xcnt 0x0
	s_or_b32 exec_lo, exec_lo, s13
	s_delay_alu instid0(SALU_CYCLE_1)
	s_mov_b32 s13, exec_lo
	v_cmpx_gt_u32_e64 s9, v72
	s_cbranch_execz .LBB936_345
.LBB936_397:                            ;   in Loop: Header=BB936_334 Depth=2
	global_load_u16 v32, v2, s[10:11] offset:3584 scale_offset
	s_wait_xcnt 0x0
	s_or_b32 exec_lo, exec_lo, s13
	s_delay_alu instid0(SALU_CYCLE_1)
	s_mov_b32 s13, exec_lo
	v_cmpx_gt_u32_e64 s9, v73
	s_cbranch_execz .LBB936_346
.LBB936_398:                            ;   in Loop: Header=BB936_334 Depth=2
	global_load_u16 v31, v2, s[10:11] offset:4096 scale_offset
	s_wait_xcnt 0x0
	s_or_b32 exec_lo, exec_lo, s13
	s_delay_alu instid0(SALU_CYCLE_1)
	s_mov_b32 s13, exec_lo
	v_cmpx_gt_u32_e64 s9, v74
	s_cbranch_execz .LBB936_347
.LBB936_399:                            ;   in Loop: Header=BB936_334 Depth=2
	global_load_u16 v30, v2, s[10:11] offset:4608 scale_offset
	s_wait_xcnt 0x0
	s_or_b32 exec_lo, exec_lo, s13
	s_delay_alu instid0(SALU_CYCLE_1)
	s_mov_b32 s13, exec_lo
	v_cmpx_gt_u32_e64 s9, v75
	s_cbranch_execz .LBB936_348
.LBB936_400:                            ;   in Loop: Header=BB936_334 Depth=2
	global_load_u16 v29, v2, s[10:11] offset:5120 scale_offset
	s_wait_xcnt 0x0
	s_or_b32 exec_lo, exec_lo, s13
	s_delay_alu instid0(SALU_CYCLE_1)
	s_mov_b32 s13, exec_lo
	v_cmpx_gt_u32_e64 s9, v76
	s_cbranch_execz .LBB936_349
.LBB936_401:                            ;   in Loop: Header=BB936_334 Depth=2
	global_load_u16 v28, v2, s[10:11] offset:5632 scale_offset
	s_wait_xcnt 0x0
	s_or_b32 exec_lo, exec_lo, s13
	s_delay_alu instid0(SALU_CYCLE_1)
	s_mov_b32 s13, exec_lo
	v_cmpx_gt_u32_e64 s9, v77
	s_cbranch_execz .LBB936_350
.LBB936_402:                            ;   in Loop: Header=BB936_334 Depth=2
	global_load_u16 v27, v2, s[10:11] offset:6144 scale_offset
	s_wait_xcnt 0x0
	s_or_b32 exec_lo, exec_lo, s13
	s_delay_alu instid0(SALU_CYCLE_1)
	s_mov_b32 s13, exec_lo
	v_cmpx_gt_u32_e64 s9, v78
	s_cbranch_execz .LBB936_351
.LBB936_403:                            ;   in Loop: Header=BB936_334 Depth=2
	global_load_u16 v26, v2, s[10:11] offset:6656 scale_offset
	s_wait_xcnt 0x0
	s_or_b32 exec_lo, exec_lo, s13
	s_delay_alu instid0(SALU_CYCLE_1)
	s_mov_b32 s13, exec_lo
	v_cmpx_gt_u32_e64 s9, v79
	s_cbranch_execz .LBB936_352
.LBB936_404:                            ;   in Loop: Header=BB936_334 Depth=2
	global_load_u16 v25, v2, s[10:11] offset:7168 scale_offset
	s_wait_xcnt 0x0
	s_or_b32 exec_lo, exec_lo, s13
	s_delay_alu instid0(SALU_CYCLE_1)
	s_mov_b32 s13, exec_lo
	v_cmpx_gt_u32_e64 s9, v80
	s_cbranch_execz .LBB936_353
.LBB936_405:                            ;   in Loop: Header=BB936_334 Depth=2
	global_load_u16 v24, v2, s[10:11] offset:7680 scale_offset
	s_wait_xcnt 0x0
	s_or_b32 exec_lo, exec_lo, s13
	s_delay_alu instid0(SALU_CYCLE_1)
	s_mov_b32 s13, exec_lo
	v_cmpx_gt_u32_e64 s9, v81
	s_cbranch_execnz .LBB936_354
	s_branch .LBB936_355
.LBB936_406:                            ;   in Loop: Header=BB936_20 Depth=1
	v_mov_b32_e32 v23, 0
	s_wait_dscnt 0x0
	s_barrier_signal -1
	s_barrier_wait -1
	s_and_saveexec_b32 s9, s0
	s_cbranch_execz .LBB936_408
; %bb.407:                              ;   in Loop: Header=BB936_20 Depth=1
	ds_load_2addr_b64 v[24:27], v84 offset1:1
	s_wait_dscnt 0x0
	v_add_nc_u32_e32 v23, v25, v24
	s_delay_alu instid0(VALU_DEP_1)
	v_add3_u32 v23, v23, v26, v27
.LBB936_408:                            ;   in Loop: Header=BB936_20 Depth=1
	s_or_b32 exec_lo, exec_lo, s9
	s_delay_alu instid0(VALU_DEP_1)
	v_mov_b32_dpp v24, v23 row_shr:1 row_mask:0xf bank_mask:0xf
	v_cmp_eq_u32_e64 s9, 0, v98
	v_cmp_lt_u32_e64 s10, 1, v98
	v_cmp_lt_u32_e64 s11, 3, v98
	v_cmp_lt_u32_e64 s12, 7, v98
	v_cmp_eq_u32_e64 s13, 0, v100
	v_cndmask_b32_e64 v24, v24, 0, s9
	s_delay_alu instid0(VALU_DEP_1) | instskip(NEXT) | instid1(VALU_DEP_1)
	v_add_nc_u32_e32 v23, v24, v23
	v_mov_b32_dpp v24, v23 row_shr:2 row_mask:0xf bank_mask:0xf
	s_delay_alu instid0(VALU_DEP_1) | instskip(NEXT) | instid1(VALU_DEP_1)
	v_cndmask_b32_e64 v24, 0, v24, s10
	v_add_nc_u32_e32 v23, v23, v24
	s_delay_alu instid0(VALU_DEP_1) | instskip(NEXT) | instid1(VALU_DEP_1)
	v_mov_b32_dpp v24, v23 row_shr:4 row_mask:0xf bank_mask:0xf
	v_cndmask_b32_e64 v24, 0, v24, s11
	s_delay_alu instid0(VALU_DEP_1) | instskip(NEXT) | instid1(VALU_DEP_1)
	v_add_nc_u32_e32 v23, v23, v24
	v_mov_b32_dpp v24, v23 row_shr:8 row_mask:0xf bank_mask:0xf
	s_delay_alu instid0(VALU_DEP_1) | instskip(NEXT) | instid1(VALU_DEP_1)
	v_cndmask_b32_e64 v24, 0, v24, s12
	v_add_nc_u32_e32 v23, v23, v24
	ds_swizzle_b32 v24, v23 offset:swizzle(BROADCAST,32,15)
	s_wait_dscnt 0x0
	v_and_b32_e32 v24, v99, v24
	s_delay_alu instid0(VALU_DEP_1)
	v_add_nc_u32_e32 v23, v23, v24
	s_and_saveexec_b32 s14, s1
; %bb.409:                              ;   in Loop: Header=BB936_20 Depth=1
	ds_store_b32 v85, v23
; %bb.410:                              ;   in Loop: Header=BB936_20 Depth=1
	s_or_b32 exec_lo, exec_lo, s14
	s_wait_dscnt 0x0
	s_barrier_signal -1
	s_barrier_wait -1
	s_and_saveexec_b32 s14, s4
	s_cbranch_execz .LBB936_412
; %bb.411:                              ;   in Loop: Header=BB936_20 Depth=1
	ds_load_b32 v24, v86
	v_cmp_ne_u32_e32 vcc_lo, 0, v101
	s_wait_dscnt 0x0
	v_mov_b32_dpp v25, v24 row_shr:1 row_mask:0xf bank_mask:0xf
	s_delay_alu instid0(VALU_DEP_1) | instskip(SKIP_1) | instid1(VALU_DEP_2)
	v_cndmask_b32_e32 v25, 0, v25, vcc_lo
	v_cmp_lt_u32_e32 vcc_lo, 1, v101
	v_add_nc_u32_e32 v24, v25, v24
	s_delay_alu instid0(VALU_DEP_1) | instskip(NEXT) | instid1(VALU_DEP_1)
	v_mov_b32_dpp v25, v24 row_shr:2 row_mask:0xf bank_mask:0xf
	v_cndmask_b32_e32 v25, 0, v25, vcc_lo
	s_delay_alu instid0(VALU_DEP_1)
	v_add_nc_u32_e32 v24, v24, v25
	ds_store_b32 v86, v24
.LBB936_412:                            ;   in Loop: Header=BB936_20 Depth=1
	s_or_b32 exec_lo, exec_lo, s14
	v_mov_b32_e32 v24, 0
	s_wait_dscnt 0x0
	s_barrier_signal -1
	s_barrier_wait -1
	s_and_saveexec_b32 s14, s5
; %bb.413:                              ;   in Loop: Header=BB936_20 Depth=1
	ds_load_b32 v24, v87
; %bb.414:                              ;   in Loop: Header=BB936_20 Depth=1
	s_or_b32 exec_lo, exec_lo, s14
	v_cmp_gt_i32_e32 vcc_lo, 0, v103
	s_wait_dscnt 0x0
	s_barrier_signal -1
	s_barrier_wait -1
	v_dual_cndmask_b32 v25, v103, v96, vcc_lo :: v_dual_add_nc_u32 v23, v24, v23
	s_delay_alu instid0(VALU_DEP_1)
	v_lshlrev_b32_e32 v121, 2, v25
	ds_bpermute_b32 v23, v121, v23
	s_and_saveexec_b32 s14, s0
	s_cbranch_execz .LBB936_416
; %bb.415:                              ;   in Loop: Header=BB936_20 Depth=1
	s_wait_dscnt 0x0
	v_cndmask_b32_e64 v23, v23, v24, s8
	s_delay_alu instid0(VALU_DEP_1)
	v_add_nc_u32_e32 v23, s55, v23
	ds_store_b32 v3, v23
.LBB936_416:                            ;   in Loop: Header=BB936_20 Depth=1
	s_or_b32 exec_lo, exec_lo, s14
	s_load_b64 s[14:15], s[52:53], 0x0
	s_mov_b32 s58, s57
                                        ; implicit-def: $vgpr30_vgpr31
                                        ; implicit-def: $vgpr32_vgpr33
                                        ; implicit-def: $vgpr34_vgpr35
                                        ; implicit-def: $vgpr36_vgpr37
                                        ; implicit-def: $vgpr38_vgpr39
                                        ; implicit-def: $vgpr40_vgpr41
                                        ; implicit-def: $vgpr42_vgpr43
                                        ; implicit-def: $vgpr44_vgpr45
                                        ; implicit-def: $vgpr46_vgpr47
                                        ; implicit-def: $vgpr48_vgpr49
                                        ; implicit-def: $vgpr50_vgpr51
                                        ; implicit-def: $vgpr52_vgpr53
                                        ; implicit-def: $vgpr54_vgpr55
                                        ; implicit-def: $vgpr56_vgpr57
                                        ; implicit-def: $vgpr58_vgpr59
                                        ; implicit-def: $vgpr60_vgpr61
                                        ; implicit-def: $vgpr122
                                        ; implicit-def: $vgpr123
                                        ; implicit-def: $vgpr124
                                        ; implicit-def: $vgpr125
                                        ; implicit-def: $vgpr126
                                        ; implicit-def: $vgpr127
                                        ; implicit-def: $vgpr128
                                        ; implicit-def: $vgpr129
                                        ; implicit-def: $vgpr130
                                        ; implicit-def: $vgpr131
                                        ; implicit-def: $vgpr132
                                        ; implicit-def: $vgpr133
                                        ; implicit-def: $vgpr134
                                        ; implicit-def: $vgpr135
                                        ; implicit-def: $vgpr136
                                        ; implicit-def: $vgpr138
                                        ; implicit-def: $vgpr139
                                        ; implicit-def: $vgpr137
                                        ; implicit-def: $vgpr140
	s_wait_kmcnt 0x0
	s_cmp_lt_u32 s51, s14
	s_cselect_b32 s34, 12, 18
	s_cmp_lt_u32 s42, s15
	s_mov_b32 s15, s35
	s_cselect_b32 s14, 14, 20
	s_delay_alu instid0(SALU_CYCLE_1)
	s_add_nc_u64 s[14:15], s[52:53], s[14:15]
	s_load_u16 s16, s[14:15], 0x0
	s_wait_xcnt 0x0
	s_add_nc_u64 s[14:15], s[52:53], s[34:35]
	s_mov_b32 s34, s55
	s_load_u16 s14, s[14:15], 0x0
	s_wait_xcnt 0x0
	v_cmp_lt_u32_e64 s15, 1, v104
	s_wait_dscnt 0x0
	s_wait_kmcnt 0x0
	v_mad_u32_u24 v23, v88, s16, v90
	v_cmp_lt_u32_e64 s16, 3, v104
	s_delay_alu instid0(VALU_DEP_2) | instskip(SKIP_2) | instid1(VALU_DEP_3)
	v_mad_u32 v24, v23, s14, v2
	v_mov_b32_e32 v23, v5
	v_cmp_eq_u32_e64 s14, 0, v104
	v_lshrrev_b32_e32 v28, 3, v24
	v_add_nc_u64_e32 v[24:25], v[12:13], v[4:5]
	s_delay_alu instid0(VALU_DEP_4) | instskip(NEXT) | instid1(VALU_DEP_3)
	v_add_nc_u64_e32 v[26:27], v[14:15], v[22:23]
	v_and_b32_e32 v23, 0x1ffffffc, v28
                                        ; implicit-def: $vgpr28_vgpr29
	s_branch .LBB936_418
.LBB936_417:                            ;   in Loop: Header=BB936_418 Depth=2
	s_or_b32 exec_lo, exec_lo, s17
	s_addk_co_i32 s58, 0xef00
	s_cmp_lt_u32 s59, s54
	s_mov_b32 s34, s59
	s_cbranch_scc0 .LBB936_640
.LBB936_418:                            ;   Parent Loop BB936_20 Depth=1
                                        ; =>  This Inner Loop Header: Depth=2
	s_add_co_i32 s59, s34, 0x1100
	s_delay_alu instid0(SALU_CYCLE_1)
	s_cmp_gt_u32 s59, s54
	s_cbranch_scc1 .LBB936_420
; %bb.419:                              ;   in Loop: Header=BB936_418 Depth=2
	s_delay_alu instid0(VALU_DEP_2)
	v_lshl_add_u64 v[62:63], s[34:35], 1, v[26:27]
	s_mov_b32 s17, -1
	s_clause 0xf
	global_load_u16 v143, v[62:63], off
	global_load_u16 v145, v[62:63], off offset:64
	global_load_u16 v147, v[62:63], off offset:128
	;; [unrolled: 1-line block ×15, first 2 shown]
	s_movk_i32 s18, 0x1100
	s_cbranch_execz .LBB936_421
	s_branch .LBB936_454
.LBB936_420:                            ;   in Loop: Header=BB936_418 Depth=2
	s_mov_b32 s17, 0
                                        ; implicit-def: $vgpr143
                                        ; implicit-def: $vgpr145
                                        ; implicit-def: $vgpr147
                                        ; implicit-def: $vgpr151
                                        ; implicit-def: $vgpr155
                                        ; implicit-def: $vgpr160
                                        ; implicit-def: $vgpr166
                                        ; implicit-def: $vgpr171
                                        ; implicit-def: $vgpr176
                                        ; implicit-def: $vgpr174
                                        ; implicit-def: $vgpr169
                                        ; implicit-def: $vgpr164
                                        ; implicit-def: $vgpr161
                                        ; implicit-def: $vgpr156
                                        ; implicit-def: $vgpr65
                                        ; implicit-def: $vgpr64
	s_movk_i32 s18, 0x1100
.LBB936_421:                            ;   in Loop: Header=BB936_418 Depth=2
	s_wait_xcnt 0x0
	v_lshl_add_u64 v[62:63], s[34:35], 1, v[26:27]
	s_wait_loadcnt 0xe
	v_mov_b32_e32 v145, 0xffff8000
	v_mov_b32_e32 v143, 0xffff8000
	s_mov_b32 s17, exec_lo
	v_cmpx_gt_u32_e64 s58, v102
	s_cbranch_execz .LBB936_423
; %bb.422:                              ;   in Loop: Header=BB936_418 Depth=2
	global_load_u16 v143, v[62:63], off
.LBB936_423:                            ;   in Loop: Header=BB936_418 Depth=2
	s_wait_xcnt 0x0
	s_or_b32 exec_lo, exec_lo, s17
	s_delay_alu instid0(SALU_CYCLE_1)
	s_mov_b32 s17, exec_lo
	v_cmpx_gt_u32_e64 s58, v105
	s_cbranch_execz .LBB936_425
; %bb.424:                              ;   in Loop: Header=BB936_418 Depth=2
	global_load_u16 v145, v[62:63], off offset:64
.LBB936_425:                            ;   in Loop: Header=BB936_418 Depth=2
	s_wait_xcnt 0x0
	s_or_b32 exec_lo, exec_lo, s17
	s_wait_loadcnt 0xc
	v_mov_b32_e32 v151, 0xffff8000
	v_mov_b32_e32 v147, 0xffff8000
	s_mov_b32 s17, exec_lo
	v_cmpx_gt_u32_e64 s58, v106
	s_cbranch_execz .LBB936_427
; %bb.426:                              ;   in Loop: Header=BB936_418 Depth=2
	global_load_u16 v147, v[62:63], off offset:128
.LBB936_427:                            ;   in Loop: Header=BB936_418 Depth=2
	s_wait_xcnt 0x0
	s_or_b32 exec_lo, exec_lo, s17
	s_delay_alu instid0(SALU_CYCLE_1)
	s_mov_b32 s17, exec_lo
	v_cmpx_gt_u32_e64 s58, v107
	s_cbranch_execz .LBB936_429
; %bb.428:                              ;   in Loop: Header=BB936_418 Depth=2
	global_load_u16 v151, v[62:63], off offset:192
.LBB936_429:                            ;   in Loop: Header=BB936_418 Depth=2
	s_wait_xcnt 0x0
	s_or_b32 exec_lo, exec_lo, s17
	s_wait_loadcnt 0xa
	v_dual_mov_b32 v160, 0xffff8000 :: v_dual_mov_b32 v155, 0xffff8000
	s_mov_b32 s17, exec_lo
	v_cmpx_gt_u32_e64 s58, v108
	s_cbranch_execz .LBB936_431
; %bb.430:                              ;   in Loop: Header=BB936_418 Depth=2
	global_load_u16 v155, v[62:63], off offset:256
.LBB936_431:                            ;   in Loop: Header=BB936_418 Depth=2
	s_wait_xcnt 0x0
	s_or_b32 exec_lo, exec_lo, s17
	s_delay_alu instid0(SALU_CYCLE_1)
	s_mov_b32 s17, exec_lo
	v_cmpx_gt_u32_e64 s58, v109
	s_cbranch_execz .LBB936_433
; %bb.432:                              ;   in Loop: Header=BB936_418 Depth=2
	global_load_u16 v160, v[62:63], off offset:320
.LBB936_433:                            ;   in Loop: Header=BB936_418 Depth=2
	s_wait_xcnt 0x0
	s_or_b32 exec_lo, exec_lo, s17
	s_wait_loadcnt 0x8
	v_dual_mov_b32 v171, 0xffff8000 :: v_dual_mov_b32 v166, 0xffff8000
	s_mov_b32 s17, exec_lo
	v_cmpx_gt_u32_e64 s58, v110
	s_cbranch_execz .LBB936_435
; %bb.434:                              ;   in Loop: Header=BB936_418 Depth=2
	global_load_u16 v166, v[62:63], off offset:384
.LBB936_435:                            ;   in Loop: Header=BB936_418 Depth=2
	s_wait_xcnt 0x0
	s_or_b32 exec_lo, exec_lo, s17
	s_delay_alu instid0(SALU_CYCLE_1)
	s_mov_b32 s17, exec_lo
	v_cmpx_gt_u32_e64 s58, v111
	s_cbranch_execz .LBB936_437
; %bb.436:                              ;   in Loop: Header=BB936_418 Depth=2
	global_load_u16 v171, v[62:63], off offset:448
.LBB936_437:                            ;   in Loop: Header=BB936_418 Depth=2
	s_wait_xcnt 0x0
	s_or_b32 exec_lo, exec_lo, s17
	s_wait_loadcnt 0x6
	v_mov_b32_e32 v174, 0xffff8000
	v_mov_b32_e32 v176, 0xffff8000
	s_mov_b32 s17, exec_lo
	v_cmpx_gt_u32_e64 s58, v112
	s_cbranch_execz .LBB936_439
; %bb.438:                              ;   in Loop: Header=BB936_418 Depth=2
	global_load_u16 v176, v[62:63], off offset:512
.LBB936_439:                            ;   in Loop: Header=BB936_418 Depth=2
	s_wait_xcnt 0x0
	s_or_b32 exec_lo, exec_lo, s17
	s_delay_alu instid0(SALU_CYCLE_1)
	s_mov_b32 s17, exec_lo
	v_cmpx_gt_u32_e64 s58, v113
	s_cbranch_execz .LBB936_441
; %bb.440:                              ;   in Loop: Header=BB936_418 Depth=2
	global_load_u16 v174, v[62:63], off offset:576
.LBB936_441:                            ;   in Loop: Header=BB936_418 Depth=2
	s_wait_xcnt 0x0
	s_or_b32 exec_lo, exec_lo, s17
	s_wait_loadcnt 0x4
	v_dual_mov_b32 v164, 0xffff8000 :: v_dual_mov_b32 v169, 0xffff8000
	s_mov_b32 s17, exec_lo
	v_cmpx_gt_u32_e64 s58, v114
	s_cbranch_execz .LBB936_443
; %bb.442:                              ;   in Loop: Header=BB936_418 Depth=2
	global_load_u16 v169, v[62:63], off offset:640
.LBB936_443:                            ;   in Loop: Header=BB936_418 Depth=2
	s_wait_xcnt 0x0
	s_or_b32 exec_lo, exec_lo, s17
	s_delay_alu instid0(SALU_CYCLE_1)
	s_mov_b32 s17, exec_lo
	v_cmpx_gt_u32_e64 s58, v115
	s_cbranch_execz .LBB936_445
; %bb.444:                              ;   in Loop: Header=BB936_418 Depth=2
	global_load_u16 v164, v[62:63], off offset:704
.LBB936_445:                            ;   in Loop: Header=BB936_418 Depth=2
	s_wait_xcnt 0x0
	s_or_b32 exec_lo, exec_lo, s17
	s_wait_loadcnt 0x2
	v_dual_mov_b32 v156, 0xffff8000 :: v_dual_mov_b32 v161, 0xffff8000
	;; [unrolled: 19-line block ×3, first 2 shown]
	s_mov_b32 s17, exec_lo
	v_cmpx_gt_u32_e64 s58, v118
	s_cbranch_execz .LBB936_451
; %bb.450:                              ;   in Loop: Header=BB936_418 Depth=2
	global_load_u16 v65, v[62:63], off offset:896
.LBB936_451:                            ;   in Loop: Header=BB936_418 Depth=2
	s_wait_xcnt 0x0
	s_or_b32 exec_lo, exec_lo, s17
	s_delay_alu instid0(SALU_CYCLE_1)
	s_mov_b32 s17, exec_lo
	v_cmpx_gt_u32_e64 s58, v119
	s_cbranch_execz .LBB936_453
; %bb.452:                              ;   in Loop: Header=BB936_418 Depth=2
	global_load_u16 v64, v[62:63], off offset:960
.LBB936_453:                            ;   in Loop: Header=BB936_418 Depth=2
	s_wait_xcnt 0x0
	s_or_b32 exec_lo, exec_lo, s17
	v_cmp_gt_u32_e64 s17, s58, v120
	s_sub_co_i32 s18, s54, s34
.LBB936_454:                            ;   in Loop: Header=BB936_418 Depth=2
	v_dual_mov_b32 v142, -1 :: v_dual_mov_b32 v141, s58
	s_wait_xcnt 0x0
	s_and_saveexec_b32 s19, s17
	s_cbranch_execz .LBB936_456
; %bb.455:                              ;   in Loop: Header=BB936_418 Depth=2
	v_lshl_add_u64 v[62:63], s[34:35], 1, v[26:27]
	v_mov_b32_e32 v141, s18
	global_load_u16 v62, v[62:63], off offset:1024
	s_wait_loadcnt 0x0
	v_xor_b32_e32 v142, 0x7fff, v62
.LBB936_456:                            ;   in Loop: Header=BB936_418 Depth=2
	s_wait_xcnt 0x0
	s_or_b32 exec_lo, exec_lo, s19
	s_wait_loadcnt 0xf
	v_xor_b32_e32 v143, 0x7fff, v143
	ds_store_2addr_b32 v89, v5, v5 offset0:136 offset1:137
	ds_store_2addr_b32 v89, v5, v5 offset0:138 offset1:139
	ds_store_b32 v89, v5 offset:560
	s_wait_loadcnt_dscnt 0x0
	s_barrier_signal -1
	s_barrier_wait -1
	v_and_b32_e32 v62, 0xffff, v143
	; wave barrier
	s_delay_alu instid0(VALU_DEP_1) | instskip(NEXT) | instid1(VALU_DEP_1)
	v_lshrrev_b32_e32 v62, s43, v62
	v_bitop3_b32 v63, v62, 1, s48 bitop3:0x80
	v_and_b32_e32 v146, s48, v62
	s_delay_alu instid0(VALU_DEP_2) | instskip(NEXT) | instid1(VALU_DEP_1)
	v_add_co_u32 v62, s17, v63, -1
	v_cndmask_b32_e64 v63, 0, 1, s17
	s_delay_alu instid0(VALU_DEP_3) | instskip(NEXT) | instid1(VALU_DEP_2)
	v_dual_lshlrev_b32 v144, 30, v146 :: v_dual_lshlrev_b32 v148, 29, v146
	v_cmp_ne_u32_e32 vcc_lo, 0, v63
	s_delay_alu instid0(VALU_DEP_2) | instskip(SKIP_1) | instid1(VALU_DEP_4)
	v_cmp_gt_i32_e64 s17, 0, v144
	v_not_b32_e32 v63, v144
	v_not_b32_e32 v144, v148
	v_cmp_gt_i32_e64 s18, 0, v148
	v_bitop3_b32 v62, vcc_lo, exec_lo, v62 bitop3:0x48
	s_delay_alu instid0(VALU_DEP_3) | instskip(SKIP_2) | instid1(VALU_DEP_3)
	v_dual_ashrrev_i32 v63, 31, v63 :: v_dual_ashrrev_i32 v144, 31, v144
	v_dual_lshlrev_b32 v149, 28, v146 :: v_dual_lshlrev_b32 v150, 27, v146
	v_dual_lshlrev_b32 v152, 26, v146 :: v_dual_lshlrev_b32 v153, 25, v146
	v_xor_b32_e32 v144, s18, v144
	s_delay_alu instid0(VALU_DEP_3)
	v_cmp_gt_i32_e64 s19, 0, v149
	v_not_b32_e32 v148, v149
	v_not_b32_e32 v149, v150
	v_cmp_gt_i32_e64 s20, 0, v150
	v_cmp_gt_i32_e64 s21, 0, v152
	v_not_b32_e32 v150, v152
	v_not_b32_e32 v152, v153
	v_dual_ashrrev_i32 v148, 31, v148 :: v_dual_ashrrev_i32 v149, 31, v149
	s_delay_alu instid0(VALU_DEP_3) | instskip(SKIP_1) | instid1(VALU_DEP_3)
	v_dual_ashrrev_i32 v150, 31, v150 :: v_dual_bitop2_b32 v63, s17, v63 bitop3:0x14
	v_cmp_gt_i32_e64 s22, 0, v153
	v_dual_ashrrev_i32 v152, 31, v152 :: v_dual_bitop2_b32 v149, s20, v149 bitop3:0x14
	s_delay_alu instid0(VALU_DEP_4) | instskip(NEXT) | instid1(VALU_DEP_4)
	v_xor_b32_e32 v148, s19, v148
	v_bitop3_b32 v62, v62, v144, v63 bitop3:0x80
	v_xor_b32_e32 v63, s21, v150
	s_delay_alu instid0(VALU_DEP_4) | instskip(NEXT) | instid1(VALU_DEP_3)
	v_xor_b32_e32 v144, s22, v152
	v_bitop3_b32 v62, v62, v149, v148 bitop3:0x80
	s_delay_alu instid0(VALU_DEP_1) | instskip(SKIP_1) | instid1(VALU_DEP_2)
	v_bitop3_b32 v62, v62, v144, v63 bitop3:0x80
	v_mul_u32_u24_e32 v63, 36, v146
	v_mbcnt_lo_u32_b32 v144, v62, 0
	v_cmp_ne_u32_e64 s17, 0, v62
	s_delay_alu instid0(VALU_DEP_3) | instskip(NEXT) | instid1(VALU_DEP_3)
	v_add_nc_u32_e32 v146, v23, v63
	v_cmp_eq_u32_e32 vcc_lo, 0, v144
	s_and_b32 s18, s17, vcc_lo
	s_delay_alu instid0(SALU_CYCLE_1)
	s_and_saveexec_b32 s17, s18
; %bb.457:                              ;   in Loop: Header=BB936_418 Depth=2
	v_bcnt_u32_b32 v62, v62, 0
	ds_store_b32 v146, v62 offset:544
; %bb.458:                              ;   in Loop: Header=BB936_418 Depth=2
	s_or_b32 exec_lo, exec_lo, s17
	v_xor_b32_e32 v145, 0x7fff, v145
	; wave barrier
	s_delay_alu instid0(VALU_DEP_1) | instskip(NEXT) | instid1(VALU_DEP_1)
	v_and_b32_e32 v62, 0xffff, v145
	v_lshrrev_b32_e32 v62, s43, v62
	s_delay_alu instid0(VALU_DEP_1) | instskip(SKIP_1) | instid1(VALU_DEP_2)
	v_bitop3_b32 v63, v62, 1, s48 bitop3:0x80
	v_and_b32_e32 v150, s48, v62
	v_add_co_u32 v62, s17, v63, -1
	s_delay_alu instid0(VALU_DEP_1) | instskip(NEXT) | instid1(VALU_DEP_3)
	v_cndmask_b32_e64 v63, 0, 1, s17
	v_dual_lshlrev_b32 v148, 30, v150 :: v_dual_lshlrev_b32 v149, 29, v150
	s_delay_alu instid0(VALU_DEP_2) | instskip(NEXT) | instid1(VALU_DEP_2)
	v_cmp_ne_u32_e32 vcc_lo, 0, v63
	v_cmp_gt_i32_e64 s17, 0, v148
	v_not_b32_e32 v63, v148
	s_delay_alu instid0(VALU_DEP_4) | instskip(SKIP_2) | instid1(VALU_DEP_3)
	v_not_b32_e32 v148, v149
	v_cmp_gt_i32_e64 s18, 0, v149
	v_bitop3_b32 v62, vcc_lo, exec_lo, v62 bitop3:0x48
	v_dual_ashrrev_i32 v63, 31, v63 :: v_dual_ashrrev_i32 v148, 31, v148
	v_dual_lshlrev_b32 v152, 28, v150 :: v_dual_lshlrev_b32 v153, 27, v150
	v_dual_lshlrev_b32 v154, 26, v150 :: v_dual_lshlrev_b32 v157, 25, v150
	s_delay_alu instid0(VALU_DEP_2) | instskip(SKIP_1) | instid1(VALU_DEP_4)
	v_cmp_gt_i32_e64 s19, 0, v152
	v_not_b32_e32 v149, v152
	v_cmp_gt_i32_e64 s20, 0, v153
	v_not_b32_e32 v152, v153
	;; [unrolled: 2-line block ×3, first 2 shown]
	v_not_b32_e32 v154, v157
	v_xor_b32_e32 v63, s17, v63
	v_dual_ashrrev_i32 v149, 31, v149 :: v_dual_bitop2_b32 v148, s18, v148 bitop3:0x14
	s_delay_alu instid0(VALU_DEP_4) | instskip(NEXT) | instid1(VALU_DEP_4)
	v_dual_ashrrev_i32 v152, 31, v152 :: v_dual_ashrrev_i32 v153, 31, v153
	v_ashrrev_i32_e32 v154, 31, v154
	s_delay_alu instid0(VALU_DEP_3)
	v_bitop3_b32 v62, v62, v148, v63 bitop3:0x80
	v_mad_u32_u24 v63, v150, 36, v23
	v_cmp_gt_i32_e64 s22, 0, v157
	v_xor_b32_e32 v152, s20, v152
	v_xor_b32_e32 v153, s21, v153
	ds_load_b32 v148, v63 offset:544
	v_mul_u32_u24_e32 v63, 36, v150
	v_xor_b32_e32 v149, s19, v149
	v_xor_b32_e32 v154, s22, v154
	; wave barrier
	s_delay_alu instid0(VALU_DEP_3) | instskip(NEXT) | instid1(VALU_DEP_3)
	v_add_nc_u32_e32 v150, v23, v63
	v_bitop3_b32 v62, v62, v152, v149 bitop3:0x80
	s_delay_alu instid0(VALU_DEP_1) | instskip(NEXT) | instid1(VALU_DEP_1)
	v_bitop3_b32 v62, v62, v154, v153 bitop3:0x80
	v_mbcnt_lo_u32_b32 v149, v62, 0
	v_cmp_ne_u32_e64 s17, 0, v62
	s_delay_alu instid0(VALU_DEP_2) | instskip(SKIP_1) | instid1(SALU_CYCLE_1)
	v_cmp_eq_u32_e32 vcc_lo, 0, v149
	s_and_b32 s18, s17, vcc_lo
	s_and_saveexec_b32 s17, s18
	s_cbranch_execz .LBB936_460
; %bb.459:                              ;   in Loop: Header=BB936_418 Depth=2
	s_wait_dscnt 0x0
	v_bcnt_u32_b32 v62, v62, v148
	ds_store_b32 v150, v62 offset:544
.LBB936_460:                            ;   in Loop: Header=BB936_418 Depth=2
	s_or_b32 exec_lo, exec_lo, s17
	v_xor_b32_e32 v147, 0x7fff, v147
	; wave barrier
	s_delay_alu instid0(VALU_DEP_1) | instskip(NEXT) | instid1(VALU_DEP_1)
	v_and_b32_e32 v62, 0xffff, v147
	v_lshrrev_b32_e32 v62, s43, v62
	s_delay_alu instid0(VALU_DEP_1) | instskip(SKIP_1) | instid1(VALU_DEP_2)
	v_bitop3_b32 v63, v62, 1, s48 bitop3:0x80
	v_and_b32_e32 v154, s48, v62
	v_add_co_u32 v62, s17, v63, -1
	s_delay_alu instid0(VALU_DEP_1) | instskip(NEXT) | instid1(VALU_DEP_3)
	v_cndmask_b32_e64 v63, 0, 1, s17
	v_dual_lshlrev_b32 v152, 30, v154 :: v_dual_lshlrev_b32 v153, 29, v154
	s_delay_alu instid0(VALU_DEP_2) | instskip(NEXT) | instid1(VALU_DEP_2)
	v_cmp_ne_u32_e32 vcc_lo, 0, v63
	v_cmp_gt_i32_e64 s17, 0, v152
	v_not_b32_e32 v63, v152
	s_delay_alu instid0(VALU_DEP_4) | instskip(SKIP_2) | instid1(VALU_DEP_3)
	v_not_b32_e32 v152, v153
	v_cmp_gt_i32_e64 s18, 0, v153
	v_bitop3_b32 v62, vcc_lo, exec_lo, v62 bitop3:0x48
	v_dual_ashrrev_i32 v63, 31, v63 :: v_dual_ashrrev_i32 v152, 31, v152
	v_dual_lshlrev_b32 v157, 28, v154 :: v_dual_lshlrev_b32 v158, 27, v154
	v_dual_lshlrev_b32 v159, 26, v154 :: v_dual_lshlrev_b32 v162, 25, v154
	s_delay_alu instid0(VALU_DEP_3) | instskip(NEXT) | instid1(VALU_DEP_3)
	v_xor_b32_e32 v63, s17, v63
	v_cmp_gt_i32_e64 s19, 0, v157
	v_not_b32_e32 v153, v157
	v_not_b32_e32 v157, v158
	v_xor_b32_e32 v152, s18, v152
	v_cmp_gt_i32_e64 s20, 0, v158
	v_cmp_gt_i32_e64 s21, 0, v159
	v_ashrrev_i32_e32 v153, 31, v153
	v_ashrrev_i32_e32 v157, 31, v157
	v_not_b32_e32 v158, v159
	v_not_b32_e32 v159, v162
	v_bitop3_b32 v62, v62, v152, v63 bitop3:0x80
	v_mad_u32_u24 v63, v154, 36, v23
	v_cmp_gt_i32_e64 s22, 0, v162
	s_delay_alu instid0(VALU_DEP_4)
	v_dual_ashrrev_i32 v158, 31, v158 :: v_dual_ashrrev_i32 v159, 31, v159
	v_xor_b32_e32 v157, s20, v157
	ds_load_b32 v152, v63 offset:544
	v_mul_u32_u24_e32 v63, 36, v154
	v_xor_b32_e32 v153, s19, v153
	v_xor_b32_e32 v158, s21, v158
	;; [unrolled: 1-line block ×3, first 2 shown]
	s_delay_alu instid0(VALU_DEP_4) | instskip(NEXT) | instid1(VALU_DEP_4)
	v_add_nc_u32_e32 v154, v23, v63
	v_bitop3_b32 v62, v62, v157, v153 bitop3:0x80
	; wave barrier
	s_delay_alu instid0(VALU_DEP_1) | instskip(NEXT) | instid1(VALU_DEP_1)
	v_bitop3_b32 v62, v62, v159, v158 bitop3:0x80
	v_mbcnt_lo_u32_b32 v153, v62, 0
	v_cmp_ne_u32_e64 s17, 0, v62
	s_delay_alu instid0(VALU_DEP_2) | instskip(SKIP_1) | instid1(SALU_CYCLE_1)
	v_cmp_eq_u32_e32 vcc_lo, 0, v153
	s_and_b32 s18, s17, vcc_lo
	s_and_saveexec_b32 s17, s18
	s_cbranch_execz .LBB936_462
; %bb.461:                              ;   in Loop: Header=BB936_418 Depth=2
	s_wait_dscnt 0x0
	v_bcnt_u32_b32 v62, v62, v152
	ds_store_b32 v154, v62 offset:544
.LBB936_462:                            ;   in Loop: Header=BB936_418 Depth=2
	s_or_b32 exec_lo, exec_lo, s17
	v_xor_b32_e32 v151, 0x7fff, v151
	; wave barrier
	s_delay_alu instid0(VALU_DEP_1) | instskip(NEXT) | instid1(VALU_DEP_1)
	v_and_b32_e32 v62, 0xffff, v151
	v_lshrrev_b32_e32 v62, s43, v62
	s_delay_alu instid0(VALU_DEP_1) | instskip(NEXT) | instid1(VALU_DEP_1)
	v_and_b32_e32 v159, s48, v62
	v_lshlrev_b32_e32 v157, 30, v159
	v_bitop3_b32 v63, v62, 1, s48 bitop3:0x80
	s_delay_alu instid0(VALU_DEP_1) | instskip(NEXT) | instid1(VALU_DEP_1)
	v_add_co_u32 v62, s17, v63, -1
	v_cndmask_b32_e64 v63, 0, 1, s17
	s_delay_alu instid0(VALU_DEP_4) | instskip(NEXT) | instid1(VALU_DEP_2)
	v_cmp_gt_i32_e64 s17, 0, v157
	v_cmp_ne_u32_e32 vcc_lo, 0, v63
	v_not_b32_e32 v63, v157
	v_bitop3_b32 v62, vcc_lo, exec_lo, v62 bitop3:0x48
	s_delay_alu instid0(VALU_DEP_2) | instskip(SKIP_2) | instid1(VALU_DEP_3)
	v_ashrrev_i32_e32 v63, 31, v63
	v_dual_lshlrev_b32 v158, 29, v159 :: v_dual_lshlrev_b32 v162, 28, v159
	v_dual_lshlrev_b32 v163, 27, v159 :: v_dual_lshlrev_b32 v165, 26, v159
	v_xor_b32_e32 v63, s17, v63
	s_delay_alu instid0(VALU_DEP_3)
	v_not_b32_e32 v157, v158
	v_lshlrev_b32_e32 v167, 25, v159
	v_cmp_gt_i32_e64 s18, 0, v158
	v_cmp_gt_i32_e64 s19, 0, v162
	v_not_b32_e32 v158, v162
	v_not_b32_e32 v162, v163
	v_ashrrev_i32_e32 v157, 31, v157
	v_cmp_gt_i32_e64 s20, 0, v163
	v_cmp_gt_i32_e64 s21, 0, v165
	v_ashrrev_i32_e32 v158, 31, v158
	s_delay_alu instid0(VALU_DEP_4) | instskip(SKIP_3) | instid1(VALU_DEP_4)
	v_dual_ashrrev_i32 v162, 31, v162 :: v_dual_bitop2_b32 v157, s18, v157 bitop3:0x14
	v_not_b32_e32 v163, v165
	v_not_b32_e32 v165, v167
	v_cmp_gt_i32_e64 s22, 0, v167
	v_xor_b32_e32 v162, s20, v162
	v_bitop3_b32 v62, v62, v157, v63 bitop3:0x80
	v_mad_u32_u24 v63, v159, 36, v23
	v_dual_ashrrev_i32 v163, 31, v163 :: v_dual_ashrrev_i32 v165, 31, v165
	ds_load_b32 v157, v63 offset:544
	v_mul_u32_u24_e32 v63, 36, v159
	v_xor_b32_e32 v158, s19, v158
	v_xor_b32_e32 v163, s21, v163
	;; [unrolled: 1-line block ×3, first 2 shown]
	s_delay_alu instid0(VALU_DEP_4) | instskip(NEXT) | instid1(VALU_DEP_4)
	v_add_nc_u32_e32 v159, v23, v63
	v_bitop3_b32 v62, v62, v162, v158 bitop3:0x80
	; wave barrier
	s_delay_alu instid0(VALU_DEP_1) | instskip(NEXT) | instid1(VALU_DEP_1)
	v_bitop3_b32 v62, v62, v165, v163 bitop3:0x80
	v_mbcnt_lo_u32_b32 v158, v62, 0
	v_cmp_ne_u32_e64 s17, 0, v62
	s_delay_alu instid0(VALU_DEP_2) | instskip(SKIP_1) | instid1(SALU_CYCLE_1)
	v_cmp_eq_u32_e32 vcc_lo, 0, v158
	s_and_b32 s18, s17, vcc_lo
	s_and_saveexec_b32 s17, s18
	s_cbranch_execz .LBB936_464
; %bb.463:                              ;   in Loop: Header=BB936_418 Depth=2
	s_wait_dscnt 0x0
	v_bcnt_u32_b32 v62, v62, v157
	ds_store_b32 v159, v62 offset:544
.LBB936_464:                            ;   in Loop: Header=BB936_418 Depth=2
	s_or_b32 exec_lo, exec_lo, s17
	v_xor_b32_e32 v155, 0x7fff, v155
	; wave barrier
	s_delay_alu instid0(VALU_DEP_1) | instskip(NEXT) | instid1(VALU_DEP_1)
	v_and_b32_e32 v62, 0xffff, v155
	v_lshrrev_b32_e32 v62, s43, v62
	s_delay_alu instid0(VALU_DEP_1) | instskip(NEXT) | instid1(VALU_DEP_1)
	v_and_b32_e32 v165, s48, v62
	v_lshlrev_b32_e32 v162, 30, v165
	v_bitop3_b32 v63, v62, 1, s48 bitop3:0x80
	s_delay_alu instid0(VALU_DEP_1) | instskip(NEXT) | instid1(VALU_DEP_1)
	v_add_co_u32 v62, s17, v63, -1
	v_cndmask_b32_e64 v63, 0, 1, s17
	s_delay_alu instid0(VALU_DEP_4) | instskip(NEXT) | instid1(VALU_DEP_2)
	v_cmp_gt_i32_e64 s17, 0, v162
	v_cmp_ne_u32_e32 vcc_lo, 0, v63
	v_not_b32_e32 v63, v162
	v_bitop3_b32 v62, vcc_lo, exec_lo, v62 bitop3:0x48
	s_delay_alu instid0(VALU_DEP_2) | instskip(SKIP_2) | instid1(VALU_DEP_3)
	v_dual_ashrrev_i32 v63, 31, v63 :: v_dual_lshlrev_b32 v163, 29, v165
	v_dual_lshlrev_b32 v167, 28, v165 :: v_dual_lshlrev_b32 v168, 27, v165
	v_lshlrev_b32_e32 v170, 26, v165
	v_not_b32_e32 v162, v163
	v_lshlrev_b32_e32 v172, 25, v165
	v_cmp_gt_i32_e64 s18, 0, v163
	v_cmp_gt_i32_e64 s19, 0, v167
	v_not_b32_e32 v163, v167
	v_not_b32_e32 v167, v168
	v_ashrrev_i32_e32 v162, 31, v162
	v_cmp_gt_i32_e64 s20, 0, v168
	v_cmp_gt_i32_e64 s21, 0, v170
	v_not_b32_e32 v168, v170
	v_not_b32_e32 v170, v172
	v_dual_ashrrev_i32 v163, 31, v163 :: v_dual_bitop2_b32 v162, s18, v162 bitop3:0x14
	s_delay_alu instid0(VALU_DEP_3) | instskip(NEXT) | instid1(VALU_DEP_3)
	v_dual_ashrrev_i32 v167, 31, v167 :: v_dual_ashrrev_i32 v168, 31, v168
	v_dual_ashrrev_i32 v170, 31, v170 :: v_dual_bitop2_b32 v63, s17, v63 bitop3:0x14
	v_cmp_gt_i32_e64 s22, 0, v172
	s_delay_alu instid0(VALU_DEP_4) | instskip(NEXT) | instid1(VALU_DEP_4)
	v_xor_b32_e32 v163, s19, v163
	v_xor_b32_e32 v167, s20, v167
	s_delay_alu instid0(VALU_DEP_4) | instskip(SKIP_2) | instid1(VALU_DEP_3)
	v_bitop3_b32 v62, v62, v162, v63 bitop3:0x80
	v_mad_u32_u24 v63, v165, 36, v23
	v_xor_b32_e32 v170, s22, v170
	v_bitop3_b32 v62, v62, v167, v163 bitop3:0x80
	ds_load_b32 v162, v63 offset:544
	v_mul_u32_u24_e32 v63, 36, v165
	v_xor_b32_e32 v168, s21, v168
	; wave barrier
	s_delay_alu instid0(VALU_DEP_2) | instskip(NEXT) | instid1(VALU_DEP_2)
	v_add_nc_u32_e32 v165, v23, v63
	v_bitop3_b32 v62, v62, v170, v168 bitop3:0x80
	s_delay_alu instid0(VALU_DEP_1) | instskip(SKIP_1) | instid1(VALU_DEP_2)
	v_mbcnt_lo_u32_b32 v163, v62, 0
	v_cmp_ne_u32_e64 s17, 0, v62
	v_cmp_eq_u32_e32 vcc_lo, 0, v163
	s_and_b32 s18, s17, vcc_lo
	s_delay_alu instid0(SALU_CYCLE_1)
	s_and_saveexec_b32 s17, s18
	s_cbranch_execz .LBB936_466
; %bb.465:                              ;   in Loop: Header=BB936_418 Depth=2
	s_wait_dscnt 0x0
	v_bcnt_u32_b32 v62, v62, v162
	ds_store_b32 v165, v62 offset:544
.LBB936_466:                            ;   in Loop: Header=BB936_418 Depth=2
	s_or_b32 exec_lo, exec_lo, s17
	v_xor_b32_e32 v160, 0x7fff, v160
	; wave barrier
	s_delay_alu instid0(VALU_DEP_1) | instskip(NEXT) | instid1(VALU_DEP_1)
	v_and_b32_e32 v62, 0xffff, v160
	v_lshrrev_b32_e32 v62, s43, v62
	s_delay_alu instid0(VALU_DEP_1) | instskip(SKIP_1) | instid1(VALU_DEP_2)
	v_bitop3_b32 v63, v62, 1, s48 bitop3:0x80
	v_and_b32_e32 v170, s48, v62
	v_add_co_u32 v62, s17, v63, -1
	s_delay_alu instid0(VALU_DEP_1) | instskip(NEXT) | instid1(VALU_DEP_3)
	v_cndmask_b32_e64 v63, 0, 1, s17
	v_dual_lshlrev_b32 v167, 30, v170 :: v_dual_lshlrev_b32 v168, 29, v170
	s_delay_alu instid0(VALU_DEP_2) | instskip(NEXT) | instid1(VALU_DEP_2)
	v_cmp_ne_u32_e32 vcc_lo, 0, v63
	v_cmp_gt_i32_e64 s17, 0, v167
	v_not_b32_e32 v63, v167
	s_delay_alu instid0(VALU_DEP_4) | instskip(SKIP_2) | instid1(VALU_DEP_4)
	v_not_b32_e32 v167, v168
	v_cmp_gt_i32_e64 s18, 0, v168
	v_bitop3_b32 v62, vcc_lo, exec_lo, v62 bitop3:0x48
	v_ashrrev_i32_e32 v63, 31, v63
	s_delay_alu instid0(VALU_DEP_4) | instskip(SKIP_1) | instid1(VALU_DEP_3)
	v_dual_ashrrev_i32 v167, 31, v167 :: v_dual_lshlrev_b32 v172, 28, v170
	v_dual_lshlrev_b32 v173, 27, v170 :: v_dual_lshlrev_b32 v175, 26, v170
	v_dual_lshlrev_b32 v177, 25, v170 :: v_dual_bitop2_b32 v63, s17, v63 bitop3:0x14
	s_delay_alu instid0(VALU_DEP_3) | instskip(SKIP_1) | instid1(VALU_DEP_4)
	v_cmp_gt_i32_e64 s19, 0, v172
	v_not_b32_e32 v168, v172
	v_not_b32_e32 v172, v173
	v_xor_b32_e32 v167, s18, v167
	v_cmp_gt_i32_e64 s20, 0, v173
	v_cmp_gt_i32_e64 s21, 0, v175
	v_ashrrev_i32_e32 v168, 31, v168
	v_ashrrev_i32_e32 v172, 31, v172
	v_not_b32_e32 v173, v175
	v_not_b32_e32 v175, v177
	v_bitop3_b32 v62, v62, v167, v63 bitop3:0x80
	v_mad_u32_u24 v63, v170, 36, v23
	v_cmp_gt_i32_e64 s22, 0, v177
	s_delay_alu instid0(VALU_DEP_4)
	v_dual_ashrrev_i32 v173, 31, v173 :: v_dual_ashrrev_i32 v175, 31, v175
	v_xor_b32_e32 v172, s20, v172
	ds_load_b32 v167, v63 offset:544
	v_mul_u32_u24_e32 v63, 36, v170
	v_xor_b32_e32 v168, s19, v168
	v_xor_b32_e32 v173, s21, v173
	;; [unrolled: 1-line block ×3, first 2 shown]
	s_delay_alu instid0(VALU_DEP_4) | instskip(NEXT) | instid1(VALU_DEP_4)
	v_add_nc_u32_e32 v170, v23, v63
	v_bitop3_b32 v62, v62, v172, v168 bitop3:0x80
	; wave barrier
	s_delay_alu instid0(VALU_DEP_1) | instskip(NEXT) | instid1(VALU_DEP_1)
	v_bitop3_b32 v62, v62, v175, v173 bitop3:0x80
	v_mbcnt_lo_u32_b32 v168, v62, 0
	v_cmp_ne_u32_e64 s17, 0, v62
	s_delay_alu instid0(VALU_DEP_2) | instskip(SKIP_1) | instid1(SALU_CYCLE_1)
	v_cmp_eq_u32_e32 vcc_lo, 0, v168
	s_and_b32 s18, s17, vcc_lo
	s_and_saveexec_b32 s17, s18
	s_cbranch_execz .LBB936_468
; %bb.467:                              ;   in Loop: Header=BB936_418 Depth=2
	s_wait_dscnt 0x0
	v_bcnt_u32_b32 v62, v62, v167
	ds_store_b32 v170, v62 offset:544
.LBB936_468:                            ;   in Loop: Header=BB936_418 Depth=2
	s_or_b32 exec_lo, exec_lo, s17
	v_xor_b32_e32 v166, 0x7fff, v166
	; wave barrier
	s_delay_alu instid0(VALU_DEP_1) | instskip(NEXT) | instid1(VALU_DEP_1)
	v_and_b32_e32 v62, 0xffff, v166
	v_lshrrev_b32_e32 v62, s43, v62
	s_delay_alu instid0(VALU_DEP_1) | instskip(NEXT) | instid1(VALU_DEP_1)
	v_and_b32_e32 v175, s48, v62
	v_lshlrev_b32_e32 v172, 30, v175
	v_bitop3_b32 v63, v62, 1, s48 bitop3:0x80
	s_delay_alu instid0(VALU_DEP_1) | instskip(NEXT) | instid1(VALU_DEP_1)
	v_add_co_u32 v62, s17, v63, -1
	v_cndmask_b32_e64 v63, 0, 1, s17
	s_delay_alu instid0(VALU_DEP_4) | instskip(NEXT) | instid1(VALU_DEP_2)
	v_cmp_gt_i32_e64 s17, 0, v172
	v_cmp_ne_u32_e32 vcc_lo, 0, v63
	v_not_b32_e32 v63, v172
	v_bitop3_b32 v62, vcc_lo, exec_lo, v62 bitop3:0x48
	s_delay_alu instid0(VALU_DEP_2) | instskip(SKIP_2) | instid1(VALU_DEP_3)
	v_ashrrev_i32_e32 v63, 31, v63
	v_dual_lshlrev_b32 v173, 29, v175 :: v_dual_lshlrev_b32 v177, 28, v175
	v_dual_lshlrev_b32 v178, 27, v175 :: v_dual_lshlrev_b32 v179, 26, v175
	v_xor_b32_e32 v63, s17, v63
	s_delay_alu instid0(VALU_DEP_3)
	v_not_b32_e32 v172, v173
	v_lshlrev_b32_e32 v180, 25, v175
	v_cmp_gt_i32_e64 s18, 0, v173
	v_cmp_gt_i32_e64 s19, 0, v177
	v_not_b32_e32 v173, v177
	v_not_b32_e32 v177, v178
	v_ashrrev_i32_e32 v172, 31, v172
	v_cmp_gt_i32_e64 s20, 0, v178
	v_cmp_gt_i32_e64 s21, 0, v179
	v_ashrrev_i32_e32 v173, 31, v173
	s_delay_alu instid0(VALU_DEP_4) | instskip(SKIP_3) | instid1(VALU_DEP_4)
	v_dual_ashrrev_i32 v177, 31, v177 :: v_dual_bitop2_b32 v172, s18, v172 bitop3:0x14
	v_not_b32_e32 v178, v179
	v_not_b32_e32 v179, v180
	v_cmp_gt_i32_e64 s22, 0, v180
	v_xor_b32_e32 v177, s20, v177
	v_bitop3_b32 v62, v62, v172, v63 bitop3:0x80
	v_mad_u32_u24 v63, v175, 36, v23
	v_dual_ashrrev_i32 v178, 31, v178 :: v_dual_ashrrev_i32 v179, 31, v179
	ds_load_b32 v172, v63 offset:544
	v_mul_u32_u24_e32 v63, 36, v175
	v_xor_b32_e32 v173, s19, v173
	v_xor_b32_e32 v178, s21, v178
	;; [unrolled: 1-line block ×3, first 2 shown]
	s_delay_alu instid0(VALU_DEP_4) | instskip(NEXT) | instid1(VALU_DEP_4)
	v_add_nc_u32_e32 v175, v23, v63
	v_bitop3_b32 v62, v62, v177, v173 bitop3:0x80
	; wave barrier
	s_delay_alu instid0(VALU_DEP_1) | instskip(NEXT) | instid1(VALU_DEP_1)
	v_bitop3_b32 v62, v62, v179, v178 bitop3:0x80
	v_mbcnt_lo_u32_b32 v173, v62, 0
	v_cmp_ne_u32_e64 s17, 0, v62
	s_delay_alu instid0(VALU_DEP_2) | instskip(SKIP_1) | instid1(SALU_CYCLE_1)
	v_cmp_eq_u32_e32 vcc_lo, 0, v173
	s_and_b32 s18, s17, vcc_lo
	s_and_saveexec_b32 s17, s18
	s_cbranch_execz .LBB936_470
; %bb.469:                              ;   in Loop: Header=BB936_418 Depth=2
	s_wait_dscnt 0x0
	v_bcnt_u32_b32 v62, v62, v172
	ds_store_b32 v175, v62 offset:544
.LBB936_470:                            ;   in Loop: Header=BB936_418 Depth=2
	s_or_b32 exec_lo, exec_lo, s17
	v_xor_b32_e32 v171, 0x7fff, v171
	; wave barrier
	s_delay_alu instid0(VALU_DEP_1) | instskip(NEXT) | instid1(VALU_DEP_1)
	v_and_b32_e32 v62, 0xffff, v171
	v_lshrrev_b32_e32 v62, s43, v62
	s_delay_alu instid0(VALU_DEP_1) | instskip(NEXT) | instid1(VALU_DEP_1)
	v_and_b32_e32 v179, s48, v62
	v_lshlrev_b32_e32 v177, 30, v179
	v_bitop3_b32 v63, v62, 1, s48 bitop3:0x80
	s_delay_alu instid0(VALU_DEP_1) | instskip(NEXT) | instid1(VALU_DEP_1)
	v_add_co_u32 v62, s17, v63, -1
	v_cndmask_b32_e64 v63, 0, 1, s17
	s_delay_alu instid0(VALU_DEP_4) | instskip(NEXT) | instid1(VALU_DEP_2)
	v_cmp_gt_i32_e64 s17, 0, v177
	v_cmp_ne_u32_e32 vcc_lo, 0, v63
	v_not_b32_e32 v63, v177
	v_bitop3_b32 v62, vcc_lo, exec_lo, v62 bitop3:0x48
	s_delay_alu instid0(VALU_DEP_2) | instskip(SKIP_2) | instid1(VALU_DEP_2)
	v_ashrrev_i32_e32 v63, 31, v63
	v_dual_lshlrev_b32 v178, 29, v179 :: v_dual_lshlrev_b32 v180, 28, v179
	v_dual_lshlrev_b32 v181, 27, v179 :: v_dual_lshlrev_b32 v182, 26, v179
	v_not_b32_e32 v177, v178
	v_lshlrev_b32_e32 v183, 25, v179
	v_cmp_gt_i32_e64 s18, 0, v178
	v_cmp_gt_i32_e64 s19, 0, v180
	v_not_b32_e32 v178, v180
	v_ashrrev_i32_e32 v177, 31, v177
	v_cmp_gt_i32_e64 s20, 0, v181
	v_not_b32_e32 v180, v181
	v_cmp_gt_i32_e64 s21, 0, v182
	v_not_b32_e32 v181, v182
	v_not_b32_e32 v182, v183
	v_xor_b32_e32 v63, s17, v63
	v_dual_ashrrev_i32 v178, 31, v178 :: v_dual_bitop2_b32 v177, s18, v177 bitop3:0x14
	s_delay_alu instid0(VALU_DEP_4) | instskip(NEXT) | instid1(VALU_DEP_4)
	v_dual_ashrrev_i32 v180, 31, v180 :: v_dual_ashrrev_i32 v181, 31, v181
	v_ashrrev_i32_e32 v182, 31, v182
	s_delay_alu instid0(VALU_DEP_3)
	v_bitop3_b32 v62, v62, v177, v63 bitop3:0x80
	v_mad_u32_u24 v63, v179, 36, v23
	v_cmp_gt_i32_e64 s22, 0, v183
	v_xor_b32_e32 v180, s20, v180
	v_xor_b32_e32 v181, s21, v181
	ds_load_b32 v177, v63 offset:544
	v_mul_u32_u24_e32 v63, 36, v179
	v_xor_b32_e32 v178, s19, v178
	v_xor_b32_e32 v182, s22, v182
	; wave barrier
	s_delay_alu instid0(VALU_DEP_3) | instskip(NEXT) | instid1(VALU_DEP_3)
	v_add_nc_u32_e32 v179, v23, v63
	v_bitop3_b32 v62, v62, v180, v178 bitop3:0x80
	s_delay_alu instid0(VALU_DEP_1) | instskip(NEXT) | instid1(VALU_DEP_1)
	v_bitop3_b32 v62, v62, v182, v181 bitop3:0x80
	v_mbcnt_lo_u32_b32 v178, v62, 0
	v_cmp_ne_u32_e64 s17, 0, v62
	s_delay_alu instid0(VALU_DEP_2) | instskip(SKIP_1) | instid1(SALU_CYCLE_1)
	v_cmp_eq_u32_e32 vcc_lo, 0, v178
	s_and_b32 s18, s17, vcc_lo
	s_and_saveexec_b32 s17, s18
	s_cbranch_execz .LBB936_472
; %bb.471:                              ;   in Loop: Header=BB936_418 Depth=2
	s_wait_dscnt 0x0
	v_bcnt_u32_b32 v62, v62, v177
	ds_store_b32 v179, v62 offset:544
.LBB936_472:                            ;   in Loop: Header=BB936_418 Depth=2
	s_or_b32 exec_lo, exec_lo, s17
	v_xor_b32_e32 v176, 0x7fff, v176
	; wave barrier
	s_delay_alu instid0(VALU_DEP_1) | instskip(NEXT) | instid1(VALU_DEP_1)
	v_and_b32_e32 v62, 0xffff, v176
	v_lshrrev_b32_e32 v62, s43, v62
	s_delay_alu instid0(VALU_DEP_1) | instskip(SKIP_1) | instid1(VALU_DEP_2)
	v_bitop3_b32 v63, v62, 1, s48 bitop3:0x80
	v_and_b32_e32 v182, s48, v62
	v_add_co_u32 v62, s17, v63, -1
	s_delay_alu instid0(VALU_DEP_1) | instskip(NEXT) | instid1(VALU_DEP_3)
	v_cndmask_b32_e64 v63, 0, 1, s17
	v_dual_lshlrev_b32 v180, 30, v182 :: v_dual_lshlrev_b32 v181, 29, v182
	s_delay_alu instid0(VALU_DEP_2) | instskip(NEXT) | instid1(VALU_DEP_2)
	v_cmp_ne_u32_e32 vcc_lo, 0, v63
	v_cmp_gt_i32_e64 s17, 0, v180
	v_not_b32_e32 v63, v180
	s_delay_alu instid0(VALU_DEP_4) | instskip(SKIP_2) | instid1(VALU_DEP_3)
	v_not_b32_e32 v180, v181
	v_cmp_gt_i32_e64 s18, 0, v181
	v_bitop3_b32 v62, vcc_lo, exec_lo, v62 bitop3:0x48
	v_dual_ashrrev_i32 v63, 31, v63 :: v_dual_ashrrev_i32 v180, 31, v180
	v_dual_lshlrev_b32 v183, 28, v182 :: v_dual_lshlrev_b32 v184, 27, v182
	v_dual_lshlrev_b32 v185, 26, v182 :: v_dual_lshlrev_b32 v186, 25, v182
	s_delay_alu instid0(VALU_DEP_2) | instskip(SKIP_1) | instid1(VALU_DEP_4)
	v_cmp_gt_i32_e64 s19, 0, v183
	v_not_b32_e32 v181, v183
	v_cmp_gt_i32_e64 s20, 0, v184
	v_not_b32_e32 v183, v184
	;; [unrolled: 2-line block ×3, first 2 shown]
	v_not_b32_e32 v185, v186
	v_xor_b32_e32 v63, s17, v63
	v_dual_ashrrev_i32 v181, 31, v181 :: v_dual_bitop2_b32 v180, s18, v180 bitop3:0x14
	s_delay_alu instid0(VALU_DEP_4) | instskip(NEXT) | instid1(VALU_DEP_4)
	v_dual_ashrrev_i32 v183, 31, v183 :: v_dual_ashrrev_i32 v184, 31, v184
	v_ashrrev_i32_e32 v185, 31, v185
	s_delay_alu instid0(VALU_DEP_3)
	v_bitop3_b32 v62, v62, v180, v63 bitop3:0x80
	v_mad_u32_u24 v63, v182, 36, v23
	v_cmp_gt_i32_e64 s22, 0, v186
	v_xor_b32_e32 v183, s20, v183
	v_xor_b32_e32 v184, s21, v184
	ds_load_b32 v180, v63 offset:544
	v_mul_u32_u24_e32 v63, 36, v182
	v_xor_b32_e32 v181, s19, v181
	v_xor_b32_e32 v185, s22, v185
	; wave barrier
	s_delay_alu instid0(VALU_DEP_3) | instskip(NEXT) | instid1(VALU_DEP_3)
	v_add_nc_u32_e32 v182, v23, v63
	v_bitop3_b32 v62, v62, v183, v181 bitop3:0x80
	s_delay_alu instid0(VALU_DEP_1) | instskip(NEXT) | instid1(VALU_DEP_1)
	v_bitop3_b32 v62, v62, v185, v184 bitop3:0x80
	v_mbcnt_lo_u32_b32 v181, v62, 0
	v_cmp_ne_u32_e64 s17, 0, v62
	s_delay_alu instid0(VALU_DEP_2) | instskip(SKIP_1) | instid1(SALU_CYCLE_1)
	v_cmp_eq_u32_e32 vcc_lo, 0, v181
	s_and_b32 s18, s17, vcc_lo
	s_and_saveexec_b32 s17, s18
	s_cbranch_execz .LBB936_474
; %bb.473:                              ;   in Loop: Header=BB936_418 Depth=2
	s_wait_dscnt 0x0
	v_bcnt_u32_b32 v62, v62, v180
	ds_store_b32 v182, v62 offset:544
.LBB936_474:                            ;   in Loop: Header=BB936_418 Depth=2
	s_or_b32 exec_lo, exec_lo, s17
	v_xor_b32_e32 v174, 0x7fff, v174
	; wave barrier
	s_delay_alu instid0(VALU_DEP_1) | instskip(NEXT) | instid1(VALU_DEP_1)
	v_and_b32_e32 v62, 0xffff, v174
	v_lshrrev_b32_e32 v62, s43, v62
	s_delay_alu instid0(VALU_DEP_1) | instskip(NEXT) | instid1(VALU_DEP_1)
	v_and_b32_e32 v185, s48, v62
	v_lshlrev_b32_e32 v183, 30, v185
	v_bitop3_b32 v63, v62, 1, s48 bitop3:0x80
	s_delay_alu instid0(VALU_DEP_1) | instskip(NEXT) | instid1(VALU_DEP_1)
	v_add_co_u32 v62, s17, v63, -1
	v_cndmask_b32_e64 v63, 0, 1, s17
	s_delay_alu instid0(VALU_DEP_4) | instskip(NEXT) | instid1(VALU_DEP_2)
	v_cmp_gt_i32_e64 s17, 0, v183
	v_cmp_ne_u32_e32 vcc_lo, 0, v63
	v_not_b32_e32 v63, v183
	v_bitop3_b32 v62, vcc_lo, exec_lo, v62 bitop3:0x48
	s_delay_alu instid0(VALU_DEP_2) | instskip(SKIP_2) | instid1(VALU_DEP_3)
	v_dual_ashrrev_i32 v63, 31, v63 :: v_dual_lshlrev_b32 v184, 29, v185
	v_dual_lshlrev_b32 v186, 28, v185 :: v_dual_lshlrev_b32 v187, 27, v185
	v_lshlrev_b32_e32 v188, 26, v185
	v_not_b32_e32 v183, v184
	v_lshlrev_b32_e32 v189, 25, v185
	v_cmp_gt_i32_e64 s18, 0, v184
	v_cmp_gt_i32_e64 s19, 0, v186
	v_not_b32_e32 v184, v186
	v_ashrrev_i32_e32 v183, 31, v183
	v_cmp_gt_i32_e64 s20, 0, v187
	v_not_b32_e32 v186, v187
	v_cmp_gt_i32_e64 s21, 0, v188
	v_not_b32_e32 v187, v188
	v_not_b32_e32 v188, v189
	v_xor_b32_e32 v63, s17, v63
	v_dual_ashrrev_i32 v184, 31, v184 :: v_dual_bitop2_b32 v183, s18, v183 bitop3:0x14
	s_delay_alu instid0(VALU_DEP_3) | instskip(SKIP_1) | instid1(VALU_DEP_3)
	v_dual_ashrrev_i32 v186, 31, v186 :: v_dual_ashrrev_i32 v188, 31, v188
	v_cmp_gt_i32_e64 s22, 0, v189
	v_bitop3_b32 v62, v62, v183, v63 bitop3:0x80
	v_mad_u32_u24 v63, v185, 36, v23
	v_dual_ashrrev_i32 v187, 31, v187 :: v_dual_bitop2_b32 v184, s19, v184 bitop3:0x14
	s_delay_alu instid0(VALU_DEP_4) | instskip(SKIP_4) | instid1(VALU_DEP_3)
	v_xor_b32_e32 v188, s22, v188
	ds_load_b32 v183, v63 offset:544
	v_mul_u32_u24_e32 v63, 36, v185
	v_xor_b32_e32 v186, s20, v186
	v_xor_b32_e32 v187, s21, v187
	; wave barrier
	v_add_nc_u32_e32 v185, v23, v63
	s_delay_alu instid0(VALU_DEP_3) | instskip(NEXT) | instid1(VALU_DEP_1)
	v_bitop3_b32 v62, v62, v186, v184 bitop3:0x80
	v_bitop3_b32 v62, v62, v188, v187 bitop3:0x80
	s_delay_alu instid0(VALU_DEP_1) | instskip(SKIP_1) | instid1(VALU_DEP_2)
	v_mbcnt_lo_u32_b32 v184, v62, 0
	v_cmp_ne_u32_e64 s17, 0, v62
	v_cmp_eq_u32_e32 vcc_lo, 0, v184
	s_and_b32 s18, s17, vcc_lo
	s_delay_alu instid0(SALU_CYCLE_1)
	s_and_saveexec_b32 s17, s18
	s_cbranch_execz .LBB936_476
; %bb.475:                              ;   in Loop: Header=BB936_418 Depth=2
	s_wait_dscnt 0x0
	v_bcnt_u32_b32 v62, v62, v183
	ds_store_b32 v185, v62 offset:544
.LBB936_476:                            ;   in Loop: Header=BB936_418 Depth=2
	s_or_b32 exec_lo, exec_lo, s17
	v_xor_b32_e32 v169, 0x7fff, v169
	; wave barrier
	s_delay_alu instid0(VALU_DEP_1) | instskip(NEXT) | instid1(VALU_DEP_1)
	v_and_b32_e32 v62, 0xffff, v169
	v_lshrrev_b32_e32 v62, s43, v62
	s_delay_alu instid0(VALU_DEP_1) | instskip(SKIP_1) | instid1(VALU_DEP_2)
	v_bitop3_b32 v63, v62, 1, s48 bitop3:0x80
	v_and_b32_e32 v186, s48, v62
	v_add_co_u32 v62, s17, v63, -1
	s_delay_alu instid0(VALU_DEP_1) | instskip(NEXT) | instid1(VALU_DEP_3)
	v_cndmask_b32_e64 v63, 0, 1, s17
	v_dual_lshlrev_b32 v187, 30, v186 :: v_dual_lshlrev_b32 v188, 29, v186
	s_delay_alu instid0(VALU_DEP_2) | instskip(NEXT) | instid1(VALU_DEP_2)
	v_cmp_ne_u32_e32 vcc_lo, 0, v63
	v_cmp_gt_i32_e64 s17, 0, v187
	v_not_b32_e32 v63, v187
	s_delay_alu instid0(VALU_DEP_4) | instskip(SKIP_2) | instid1(VALU_DEP_4)
	v_not_b32_e32 v187, v188
	v_cmp_gt_i32_e64 s18, 0, v188
	v_bitop3_b32 v62, vcc_lo, exec_lo, v62 bitop3:0x48
	v_ashrrev_i32_e32 v63, 31, v63
	s_delay_alu instid0(VALU_DEP_4) | instskip(SKIP_1) | instid1(VALU_DEP_2)
	v_dual_ashrrev_i32 v187, 31, v187 :: v_dual_lshlrev_b32 v189, 28, v186
	v_dual_lshlrev_b32 v190, 27, v186 :: v_dual_lshlrev_b32 v191, 26, v186
	v_dual_lshlrev_b32 v192, 25, v186 :: v_dual_bitop2_b32 v187, s18, v187 bitop3:0x14
	s_delay_alu instid0(VALU_DEP_3) | instskip(SKIP_1) | instid1(VALU_DEP_4)
	v_cmp_gt_i32_e64 s19, 0, v189
	v_not_b32_e32 v188, v189
	v_cmp_gt_i32_e64 s20, 0, v190
	v_not_b32_e32 v189, v190
	v_not_b32_e32 v190, v191
	v_xor_b32_e32 v63, s17, v63
	v_cmp_gt_i32_e64 s21, 0, v191
	v_not_b32_e32 v191, v192
	v_dual_ashrrev_i32 v188, 31, v188 :: v_dual_ashrrev_i32 v189, 31, v189
	v_ashrrev_i32_e32 v190, 31, v190
	v_bitop3_b32 v62, v62, v187, v63 bitop3:0x80
	v_mad_u32_u24 v63, v186, 36, v23
	v_cmp_gt_i32_e64 s22, 0, v192
	v_dual_ashrrev_i32 v191, 31, v191 :: v_dual_bitop2_b32 v188, s19, v188 bitop3:0x14
	v_xor_b32_e32 v190, s21, v190
	ds_load_b32 v187, v63 offset:544
	v_mul_u32_u24_e32 v63, 36, v186
	v_xor_b32_e32 v189, s20, v189
	v_xor_b32_e32 v191, s22, v191
	; wave barrier
	s_delay_alu instid0(VALU_DEP_2) | instskip(NEXT) | instid1(VALU_DEP_1)
	v_bitop3_b32 v62, v62, v189, v188 bitop3:0x80
	v_bitop3_b32 v62, v62, v191, v190 bitop3:0x80
	v_add_nc_u32_e32 v190, v23, v63
	s_delay_alu instid0(VALU_DEP_2) | instskip(SKIP_1) | instid1(VALU_DEP_2)
	v_mbcnt_lo_u32_b32 v188, v62, 0
	v_cmp_ne_u32_e64 s17, 0, v62
	v_cmp_eq_u32_e32 vcc_lo, 0, v188
	s_and_b32 s18, s17, vcc_lo
	s_delay_alu instid0(SALU_CYCLE_1)
	s_and_saveexec_b32 s17, s18
	s_cbranch_execz .LBB936_478
; %bb.477:                              ;   in Loop: Header=BB936_418 Depth=2
	s_wait_dscnt 0x0
	v_bcnt_u32_b32 v62, v62, v187
	ds_store_b32 v190, v62 offset:544
.LBB936_478:                            ;   in Loop: Header=BB936_418 Depth=2
	s_or_b32 exec_lo, exec_lo, s17
	v_xor_b32_e32 v186, 0x7fff, v164
	; wave barrier
	s_delay_alu instid0(VALU_DEP_1) | instskip(NEXT) | instid1(VALU_DEP_1)
	v_and_b32_e32 v62, 0xffff, v186
	v_lshrrev_b32_e32 v62, s43, v62
	s_delay_alu instid0(VALU_DEP_1) | instskip(NEXT) | instid1(VALU_DEP_1)
	v_and_b32_e32 v164, s48, v62
	v_lshlrev_b32_e32 v189, 30, v164
	v_bitop3_b32 v63, v62, 1, s48 bitop3:0x80
	s_delay_alu instid0(VALU_DEP_1) | instskip(NEXT) | instid1(VALU_DEP_1)
	v_add_co_u32 v62, s17, v63, -1
	v_cndmask_b32_e64 v63, 0, 1, s17
	s_delay_alu instid0(VALU_DEP_4) | instskip(NEXT) | instid1(VALU_DEP_2)
	v_cmp_gt_i32_e64 s17, 0, v189
	v_cmp_ne_u32_e32 vcc_lo, 0, v63
	v_not_b32_e32 v63, v189
	v_bitop3_b32 v62, vcc_lo, exec_lo, v62 bitop3:0x48
	s_delay_alu instid0(VALU_DEP_2) | instskip(SKIP_2) | instid1(VALU_DEP_3)
	v_dual_ashrrev_i32 v63, 31, v63 :: v_dual_lshlrev_b32 v191, 29, v164
	v_dual_lshlrev_b32 v192, 28, v164 :: v_dual_lshlrev_b32 v193, 27, v164
	v_lshlrev_b32_e32 v194, 26, v164
	v_not_b32_e32 v189, v191
	v_lshlrev_b32_e32 v195, 25, v164
	v_cmp_gt_i32_e64 s18, 0, v191
	v_cmp_gt_i32_e64 s19, 0, v192
	v_not_b32_e32 v191, v192
	v_not_b32_e32 v192, v193
	v_ashrrev_i32_e32 v189, 31, v189
	v_cmp_gt_i32_e64 s20, 0, v193
	v_cmp_gt_i32_e64 s21, 0, v194
	v_not_b32_e32 v193, v194
	v_not_b32_e32 v194, v195
	v_dual_ashrrev_i32 v191, 31, v191 :: v_dual_ashrrev_i32 v192, 31, v192
	s_delay_alu instid0(VALU_DEP_3) | instskip(NEXT) | instid1(VALU_DEP_3)
	v_dual_ashrrev_i32 v193, 31, v193 :: v_dual_bitop2_b32 v63, s17, v63 bitop3:0x14
	v_dual_ashrrev_i32 v194, 31, v194 :: v_dual_bitop2_b32 v189, s18, v189 bitop3:0x14
	v_cmp_gt_i32_e64 s22, 0, v195
	s_delay_alu instid0(VALU_DEP_4) | instskip(SKIP_1) | instid1(VALU_DEP_4)
	v_xor_b32_e32 v191, s19, v191
	v_xor_b32_e32 v192, s20, v192
	v_bitop3_b32 v62, v62, v189, v63 bitop3:0x80
	v_mad_u32_u24 v63, v164, 36, v23
	v_xor_b32_e32 v189, s21, v193
	v_xor_b32_e32 v193, s22, v194
	s_delay_alu instid0(VALU_DEP_4) | instskip(SKIP_3) | instid1(VALU_DEP_2)
	v_bitop3_b32 v62, v62, v192, v191 bitop3:0x80
	ds_load_b32 v191, v63 offset:544
	v_mul_u32_u24_e32 v63, 36, v164
	; wave barrier
	v_bitop3_b32 v62, v62, v193, v189 bitop3:0x80
	v_add_nc_u32_e32 v164, v23, v63
	s_delay_alu instid0(VALU_DEP_2) | instskip(SKIP_1) | instid1(VALU_DEP_2)
	v_mbcnt_lo_u32_b32 v192, v62, 0
	v_cmp_ne_u32_e64 s17, 0, v62
	v_cmp_eq_u32_e32 vcc_lo, 0, v192
	s_and_b32 s18, s17, vcc_lo
	s_delay_alu instid0(SALU_CYCLE_1)
	s_and_saveexec_b32 s17, s18
	s_cbranch_execz .LBB936_480
; %bb.479:                              ;   in Loop: Header=BB936_418 Depth=2
	s_wait_dscnt 0x0
	v_bcnt_u32_b32 v62, v62, v191
	ds_store_b32 v164, v62 offset:544
.LBB936_480:                            ;   in Loop: Header=BB936_418 Depth=2
	s_or_b32 exec_lo, exec_lo, s17
	v_xor_b32_e32 v189, 0x7fff, v161
	; wave barrier
	s_delay_alu instid0(VALU_DEP_1) | instskip(NEXT) | instid1(VALU_DEP_1)
	v_and_b32_e32 v62, 0xffff, v189
	v_lshrrev_b32_e32 v62, s43, v62
	s_delay_alu instid0(VALU_DEP_1) | instskip(NEXT) | instid1(VALU_DEP_1)
	v_and_b32_e32 v161, s48, v62
	v_lshlrev_b32_e32 v193, 30, v161
	v_bitop3_b32 v63, v62, 1, s48 bitop3:0x80
	s_delay_alu instid0(VALU_DEP_1) | instskip(NEXT) | instid1(VALU_DEP_1)
	v_add_co_u32 v62, s17, v63, -1
	v_cndmask_b32_e64 v63, 0, 1, s17
	s_delay_alu instid0(VALU_DEP_4) | instskip(NEXT) | instid1(VALU_DEP_2)
	v_cmp_gt_i32_e64 s17, 0, v193
	v_cmp_ne_u32_e32 vcc_lo, 0, v63
	v_not_b32_e32 v63, v193
	v_bitop3_b32 v62, vcc_lo, exec_lo, v62 bitop3:0x48
	s_delay_alu instid0(VALU_DEP_2) | instskip(SKIP_2) | instid1(VALU_DEP_3)
	v_dual_ashrrev_i32 v63, 31, v63 :: v_dual_lshlrev_b32 v194, 29, v161
	v_dual_lshlrev_b32 v195, 28, v161 :: v_dual_lshlrev_b32 v196, 27, v161
	v_lshlrev_b32_e32 v197, 26, v161
	v_not_b32_e32 v193, v194
	v_cmp_gt_i32_e64 s18, 0, v194
	s_delay_alu instid0(VALU_DEP_4)
	v_cmp_gt_i32_e64 s19, 0, v195
	v_not_b32_e32 v194, v195
	v_lshlrev_b32_e32 v198, 25, v161
	v_not_b32_e32 v195, v196
	v_ashrrev_i32_e32 v193, 31, v193
	v_cmp_gt_i32_e64 s20, 0, v196
	v_cmp_gt_i32_e64 s21, 0, v197
	v_not_b32_e32 v196, v197
	v_ashrrev_i32_e32 v194, 31, v194
	v_not_b32_e32 v197, v198
	v_ashrrev_i32_e32 v195, 31, v195
	s_delay_alu instid0(VALU_DEP_4) | instskip(SKIP_4) | instid1(VALU_DEP_4)
	v_dual_ashrrev_i32 v196, 31, v196 :: v_dual_bitop2_b32 v63, s17, v63 bitop3:0x14
	v_xor_b32_e32 v193, s18, v193
	v_cmp_gt_i32_e64 s22, 0, v198
	v_dual_ashrrev_i32 v197, 31, v197 :: v_dual_bitop2_b32 v194, s19, v194 bitop3:0x14
	v_xor_b32_e32 v195, s20, v195
	v_bitop3_b32 v62, v62, v193, v63 bitop3:0x80
	v_mad_u32_u24 v63, v161, 36, v23
	v_xor_b32_e32 v193, s21, v196
	v_xor_b32_e32 v196, s22, v197
	s_delay_alu instid0(VALU_DEP_4) | instskip(SKIP_3) | instid1(VALU_DEP_2)
	v_bitop3_b32 v62, v62, v195, v194 bitop3:0x80
	ds_load_b32 v194, v63 offset:544
	v_mul_u32_u24_e32 v63, 36, v161
	; wave barrier
	v_bitop3_b32 v62, v62, v196, v193 bitop3:0x80
	v_add_nc_u32_e32 v161, v23, v63
	s_delay_alu instid0(VALU_DEP_2) | instskip(SKIP_1) | instid1(VALU_DEP_2)
	v_mbcnt_lo_u32_b32 v195, v62, 0
	v_cmp_ne_u32_e64 s17, 0, v62
	v_cmp_eq_u32_e32 vcc_lo, 0, v195
	s_and_b32 s18, s17, vcc_lo
	s_delay_alu instid0(SALU_CYCLE_1)
	s_and_saveexec_b32 s17, s18
	s_cbranch_execz .LBB936_482
; %bb.481:                              ;   in Loop: Header=BB936_418 Depth=2
	s_wait_dscnt 0x0
	v_bcnt_u32_b32 v62, v62, v194
	ds_store_b32 v161, v62 offset:544
.LBB936_482:                            ;   in Loop: Header=BB936_418 Depth=2
	s_or_b32 exec_lo, exec_lo, s17
	v_xor_b32_e32 v193, 0x7fff, v156
	; wave barrier
	s_delay_alu instid0(VALU_DEP_1) | instskip(NEXT) | instid1(VALU_DEP_1)
	v_and_b32_e32 v62, 0xffff, v193
	v_lshrrev_b32_e32 v62, s43, v62
	s_delay_alu instid0(VALU_DEP_1) | instskip(NEXT) | instid1(VALU_DEP_1)
	v_and_b32_e32 v156, s48, v62
	v_lshlrev_b32_e32 v196, 30, v156
	v_bitop3_b32 v63, v62, 1, s48 bitop3:0x80
	s_delay_alu instid0(VALU_DEP_1) | instskip(NEXT) | instid1(VALU_DEP_1)
	v_add_co_u32 v62, s17, v63, -1
	v_cndmask_b32_e64 v63, 0, 1, s17
	s_delay_alu instid0(VALU_DEP_4) | instskip(NEXT) | instid1(VALU_DEP_2)
	v_cmp_gt_i32_e64 s17, 0, v196
	v_cmp_ne_u32_e32 vcc_lo, 0, v63
	v_not_b32_e32 v63, v196
	v_bitop3_b32 v62, vcc_lo, exec_lo, v62 bitop3:0x48
	s_delay_alu instid0(VALU_DEP_2) | instskip(SKIP_2) | instid1(VALU_DEP_3)
	v_dual_ashrrev_i32 v63, 31, v63 :: v_dual_lshlrev_b32 v197, 29, v156
	v_dual_lshlrev_b32 v198, 28, v156 :: v_dual_lshlrev_b32 v199, 27, v156
	v_lshlrev_b32_e32 v200, 26, v156
	v_not_b32_e32 v196, v197
	v_cmp_gt_i32_e64 s18, 0, v197
	s_delay_alu instid0(VALU_DEP_4)
	v_cmp_gt_i32_e64 s19, 0, v198
	v_not_b32_e32 v197, v198
	v_lshlrev_b32_e32 v201, 25, v156
	v_not_b32_e32 v198, v199
	v_ashrrev_i32_e32 v196, 31, v196
	v_cmp_gt_i32_e64 s20, 0, v199
	v_cmp_gt_i32_e64 s21, 0, v200
	v_not_b32_e32 v199, v200
	v_ashrrev_i32_e32 v197, 31, v197
	v_not_b32_e32 v200, v201
	v_dual_ashrrev_i32 v198, 31, v198 :: v_dual_bitop2_b32 v63, s17, v63 bitop3:0x14
	s_delay_alu instid0(VALU_DEP_4) | instskip(SKIP_1) | instid1(VALU_DEP_4)
	v_dual_ashrrev_i32 v199, 31, v199 :: v_dual_bitop2_b32 v196, s18, v196 bitop3:0x14
	v_cmp_gt_i32_e64 s22, 0, v201
	v_dual_ashrrev_i32 v200, 31, v200 :: v_dual_bitop2_b32 v197, s19, v197 bitop3:0x14
	s_delay_alu instid0(VALU_DEP_4) | instskip(NEXT) | instid1(VALU_DEP_4)
	v_xor_b32_e32 v198, s20, v198
	v_bitop3_b32 v62, v62, v196, v63 bitop3:0x80
	v_mad_u32_u24 v63, v156, 36, v23
	v_xor_b32_e32 v196, s21, v199
	v_xor_b32_e32 v199, s22, v200
	s_delay_alu instid0(VALU_DEP_4) | instskip(SKIP_3) | instid1(VALU_DEP_2)
	v_bitop3_b32 v62, v62, v198, v197 bitop3:0x80
	ds_load_b32 v197, v63 offset:544
	v_mul_u32_u24_e32 v63, 36, v156
	; wave barrier
	v_bitop3_b32 v62, v62, v199, v196 bitop3:0x80
	v_add_nc_u32_e32 v156, v23, v63
	s_delay_alu instid0(VALU_DEP_2) | instskip(SKIP_1) | instid1(VALU_DEP_2)
	v_mbcnt_lo_u32_b32 v198, v62, 0
	v_cmp_ne_u32_e64 s17, 0, v62
	v_cmp_eq_u32_e32 vcc_lo, 0, v198
	s_and_b32 s18, s17, vcc_lo
	s_delay_alu instid0(SALU_CYCLE_1)
	s_and_saveexec_b32 s17, s18
	s_cbranch_execz .LBB936_484
; %bb.483:                              ;   in Loop: Header=BB936_418 Depth=2
	s_wait_dscnt 0x0
	v_bcnt_u32_b32 v62, v62, v197
	ds_store_b32 v156, v62 offset:544
.LBB936_484:                            ;   in Loop: Header=BB936_418 Depth=2
	s_or_b32 exec_lo, exec_lo, s17
	v_xor_b32_e32 v196, 0x7fff, v65
	; wave barrier
	s_delay_alu instid0(VALU_DEP_1) | instskip(NEXT) | instid1(VALU_DEP_1)
	v_and_b32_e32 v62, 0xffff, v196
	v_lshrrev_b32_e32 v62, s43, v62
	s_delay_alu instid0(VALU_DEP_1) | instskip(NEXT) | instid1(VALU_DEP_1)
	v_and_b32_e32 v65, s48, v62
	v_lshlrev_b32_e32 v199, 30, v65
	v_bitop3_b32 v63, v62, 1, s48 bitop3:0x80
	s_delay_alu instid0(VALU_DEP_1) | instskip(NEXT) | instid1(VALU_DEP_1)
	v_add_co_u32 v62, s17, v63, -1
	v_cndmask_b32_e64 v63, 0, 1, s17
	s_delay_alu instid0(VALU_DEP_4) | instskip(NEXT) | instid1(VALU_DEP_2)
	v_cmp_gt_i32_e64 s17, 0, v199
	v_cmp_ne_u32_e32 vcc_lo, 0, v63
	v_not_b32_e32 v63, v199
	v_bitop3_b32 v62, vcc_lo, exec_lo, v62 bitop3:0x48
	s_delay_alu instid0(VALU_DEP_2) | instskip(SKIP_2) | instid1(VALU_DEP_3)
	v_dual_ashrrev_i32 v63, 31, v63 :: v_dual_lshlrev_b32 v200, 29, v65
	v_dual_lshlrev_b32 v201, 28, v65 :: v_dual_lshlrev_b32 v202, 27, v65
	v_lshlrev_b32_e32 v203, 26, v65
	v_not_b32_e32 v199, v200
	v_lshlrev_b32_e32 v204, 25, v65
	v_cmp_gt_i32_e64 s18, 0, v200
	v_cmp_gt_i32_e64 s19, 0, v201
	v_not_b32_e32 v200, v201
	v_not_b32_e32 v201, v202
	v_ashrrev_i32_e32 v199, 31, v199
	v_cmp_gt_i32_e64 s20, 0, v202
	v_cmp_gt_i32_e64 s21, 0, v203
	v_not_b32_e32 v202, v203
	v_not_b32_e32 v203, v204
	v_dual_ashrrev_i32 v200, 31, v200 :: v_dual_ashrrev_i32 v201, 31, v201
	s_delay_alu instid0(VALU_DEP_3) | instskip(SKIP_2) | instid1(VALU_DEP_4)
	v_dual_ashrrev_i32 v202, 31, v202 :: v_dual_bitop2_b32 v63, s17, v63 bitop3:0x14
	v_xor_b32_e32 v199, s18, v199
	v_cmp_gt_i32_e64 s22, 0, v204
	v_dual_ashrrev_i32 v203, 31, v203 :: v_dual_bitop2_b32 v200, s19, v200 bitop3:0x14
	v_xor_b32_e32 v201, s20, v201
	s_delay_alu instid0(VALU_DEP_4) | instskip(SKIP_3) | instid1(VALU_DEP_4)
	v_bitop3_b32 v62, v62, v199, v63 bitop3:0x80
	v_mad_u32_u24 v63, v65, 36, v23
	v_xor_b32_e32 v199, s21, v202
	v_xor_b32_e32 v202, s22, v203
	v_bitop3_b32 v62, v62, v201, v200 bitop3:0x80
	ds_load_b32 v200, v63 offset:544
	v_mul_u32_u24_e32 v63, 36, v65
	; wave barrier
	v_bitop3_b32 v62, v62, v202, v199 bitop3:0x80
	s_delay_alu instid0(VALU_DEP_2) | instskip(NEXT) | instid1(VALU_DEP_2)
	v_add_nc_u32_e32 v202, v23, v63
	v_mbcnt_lo_u32_b32 v201, v62, 0
	v_cmp_ne_u32_e64 s17, 0, v62
	s_delay_alu instid0(VALU_DEP_2) | instskip(SKIP_1) | instid1(SALU_CYCLE_1)
	v_cmp_eq_u32_e32 vcc_lo, 0, v201
	s_and_b32 s18, s17, vcc_lo
	s_and_saveexec_b32 s17, s18
	s_cbranch_execz .LBB936_486
; %bb.485:                              ;   in Loop: Header=BB936_418 Depth=2
	s_wait_dscnt 0x0
	v_bcnt_u32_b32 v62, v62, v200
	ds_store_b32 v202, v62 offset:544
.LBB936_486:                            ;   in Loop: Header=BB936_418 Depth=2
	s_or_b32 exec_lo, exec_lo, s17
	v_xor_b32_e32 v199, 0x7fff, v64
	; wave barrier
	s_delay_alu instid0(VALU_DEP_1) | instskip(NEXT) | instid1(VALU_DEP_1)
	v_and_b32_e32 v62, 0xffff, v199
	v_lshrrev_b32_e32 v62, s43, v62
	s_delay_alu instid0(VALU_DEP_1) | instskip(NEXT) | instid1(VALU_DEP_1)
	v_and_b32_e32 v64, s48, v62
	v_lshlrev_b32_e32 v65, 30, v64
	v_bitop3_b32 v63, v62, 1, s48 bitop3:0x80
	s_delay_alu instid0(VALU_DEP_1) | instskip(NEXT) | instid1(VALU_DEP_1)
	v_add_co_u32 v62, s17, v63, -1
	v_cndmask_b32_e64 v63, 0, 1, s17
	s_delay_alu instid0(VALU_DEP_4) | instskip(NEXT) | instid1(VALU_DEP_2)
	v_cmp_gt_i32_e64 s17, 0, v65
	v_cmp_ne_u32_e32 vcc_lo, 0, v63
	v_not_b32_e32 v63, v65
	v_bitop3_b32 v62, vcc_lo, exec_lo, v62 bitop3:0x48
	s_delay_alu instid0(VALU_DEP_2) | instskip(SKIP_2) | instid1(VALU_DEP_3)
	v_dual_ashrrev_i32 v63, 31, v63 :: v_dual_lshlrev_b32 v203, 29, v64
	v_dual_lshlrev_b32 v204, 28, v64 :: v_dual_lshlrev_b32 v205, 27, v64
	v_lshlrev_b32_e32 v206, 26, v64
	v_not_b32_e32 v65, v203
	v_lshlrev_b32_e32 v207, 25, v64
	v_cmp_gt_i32_e64 s18, 0, v203
	v_cmp_gt_i32_e64 s19, 0, v204
	v_not_b32_e32 v203, v204
	v_not_b32_e32 v204, v205
	v_ashrrev_i32_e32 v65, 31, v65
	v_cmp_gt_i32_e64 s20, 0, v205
	v_cmp_gt_i32_e64 s21, 0, v206
	v_not_b32_e32 v205, v206
	v_not_b32_e32 v206, v207
	v_dual_ashrrev_i32 v203, 31, v203 :: v_dual_ashrrev_i32 v204, 31, v204
	s_delay_alu instid0(VALU_DEP_3) | instskip(NEXT) | instid1(VALU_DEP_3)
	v_dual_ashrrev_i32 v205, 31, v205 :: v_dual_bitop2_b32 v63, s17, v63 bitop3:0x14
	v_dual_ashrrev_i32 v206, 31, v206 :: v_dual_bitop2_b32 v65, s18, v65 bitop3:0x14
	v_cmp_gt_i32_e64 s22, 0, v207
	s_delay_alu instid0(VALU_DEP_4) | instskip(SKIP_1) | instid1(VALU_DEP_4)
	v_xor_b32_e32 v203, s19, v203
	v_xor_b32_e32 v204, s20, v204
	v_bitop3_b32 v62, v62, v65, v63 bitop3:0x80
	v_mad_u32_u24 v63, v64, 36, v23
	v_xor_b32_e32 v65, s21, v205
	v_xor_b32_e32 v205, s22, v206
	s_delay_alu instid0(VALU_DEP_4) | instskip(SKIP_3) | instid1(VALU_DEP_2)
	v_bitop3_b32 v62, v62, v204, v203 bitop3:0x80
	ds_load_b32 v203, v63 offset:544
	v_mul_u32_u24_e32 v63, 36, v64
	; wave barrier
	v_bitop3_b32 v62, v62, v205, v65 bitop3:0x80
	v_add_nc_u32_e32 v205, v23, v63
	s_delay_alu instid0(VALU_DEP_2) | instskip(SKIP_1) | instid1(VALU_DEP_2)
	v_mbcnt_lo_u32_b32 v204, v62, 0
	v_cmp_ne_u32_e64 s17, 0, v62
	v_cmp_eq_u32_e32 vcc_lo, 0, v204
	s_and_b32 s18, s17, vcc_lo
	s_delay_alu instid0(SALU_CYCLE_1)
	s_and_saveexec_b32 s17, s18
	s_cbranch_execz .LBB936_488
; %bb.487:                              ;   in Loop: Header=BB936_418 Depth=2
	s_wait_dscnt 0x0
	v_bcnt_u32_b32 v62, v62, v203
	ds_store_b32 v205, v62 offset:544
.LBB936_488:                            ;   in Loop: Header=BB936_418 Depth=2
	s_or_b32 exec_lo, exec_lo, s17
	v_and_b32_e32 v62, 0xffff, v142
	; wave barrier
	s_delay_alu instid0(VALU_DEP_1) | instskip(NEXT) | instid1(VALU_DEP_1)
	v_lshrrev_b32_e32 v62, s43, v62
	v_and_b32_e32 v64, s48, v62
	s_delay_alu instid0(VALU_DEP_1) | instskip(SKIP_1) | instid1(VALU_DEP_1)
	v_lshlrev_b32_e32 v65, 30, v64
	v_bitop3_b32 v63, v62, 1, s48 bitop3:0x80
	v_add_co_u32 v62, s17, v63, -1
	s_delay_alu instid0(VALU_DEP_1) | instskip(NEXT) | instid1(VALU_DEP_4)
	v_cndmask_b32_e64 v63, 0, 1, s17
	v_cmp_gt_i32_e64 s17, 0, v65
	s_delay_alu instid0(VALU_DEP_2) | instskip(SKIP_2) | instid1(VALU_DEP_2)
	v_cmp_ne_u32_e32 vcc_lo, 0, v63
	v_not_b32_e32 v63, v65
	v_bitop3_b32 v62, vcc_lo, exec_lo, v62 bitop3:0x48
	v_dual_ashrrev_i32 v63, 31, v63 :: v_dual_lshlrev_b32 v206, 29, v64
	v_dual_lshlrev_b32 v207, 28, v64 :: v_dual_lshlrev_b32 v208, 27, v64
	v_lshlrev_b32_e32 v209, 26, v64
	s_delay_alu instid0(VALU_DEP_3)
	v_not_b32_e32 v65, v206
	v_lshlrev_b32_e32 v210, 25, v64
	v_cmp_gt_i32_e64 s18, 0, v206
	v_cmp_gt_i32_e64 s19, 0, v207
	v_not_b32_e32 v206, v207
	v_not_b32_e32 v207, v208
	v_ashrrev_i32_e32 v65, 31, v65
	v_cmp_gt_i32_e64 s20, 0, v208
	v_cmp_gt_i32_e64 s21, 0, v209
	v_not_b32_e32 v208, v209
	v_dual_ashrrev_i32 v206, 31, v206 :: v_dual_ashrrev_i32 v207, 31, v207
	v_xor_b32_e32 v63, s17, v63
	v_xor_b32_e32 v65, s18, v65
	v_not_b32_e32 v209, v210
	s_delay_alu instid0(VALU_DEP_4) | instskip(SKIP_1) | instid1(VALU_DEP_4)
	v_dual_ashrrev_i32 v208, 31, v208 :: v_dual_bitop2_b32 v206, s19, v206 bitop3:0x14
	v_xor_b32_e32 v207, s20, v207
	v_bitop3_b32 v62, v62, v65, v63 bitop3:0x80
	v_cmp_gt_i32_e32 vcc_lo, 0, v210
	v_ashrrev_i32_e32 v63, 31, v209
	v_mad_u32_u24 v65, v64, 36, v23
	v_xor_b32_e32 v208, s21, v208
	v_bitop3_b32 v62, v62, v207, v206 bitop3:0x80
	s_delay_alu instid0(VALU_DEP_4) | instskip(SKIP_3) | instid1(VALU_DEP_2)
	v_xor_b32_e32 v63, vcc_lo, v63
	ds_load_b32 v206, v65 offset:544
	; wave barrier
	v_bitop3_b32 v62, v62, v63, v208 bitop3:0x80
	v_mul_u32_u24_e32 v63, 36, v64
	v_mbcnt_lo_u32_b32 v207, v62, 0
	v_cmp_ne_u32_e64 s17, 0, v62
	s_delay_alu instid0(VALU_DEP_3) | instskip(NEXT) | instid1(VALU_DEP_3)
	v_add_nc_u32_e32 v208, v23, v63
	v_cmp_eq_u32_e32 vcc_lo, 0, v207
	s_and_b32 s18, s17, vcc_lo
	s_delay_alu instid0(SALU_CYCLE_1)
	s_and_saveexec_b32 s17, s18
	s_cbranch_execz .LBB936_490
; %bb.489:                              ;   in Loop: Header=BB936_418 Depth=2
	s_wait_dscnt 0x0
	v_bcnt_u32_b32 v62, v62, v206
	ds_store_b32 v208, v62 offset:544
.LBB936_490:                            ;   in Loop: Header=BB936_418 Depth=2
	s_or_b32 exec_lo, exec_lo, s17
	; wave barrier
	s_wait_dscnt 0x0
	s_barrier_signal -1
	s_barrier_wait -1
	ds_load_2addr_b32 v[64:65], v89 offset0:136 offset1:137
	ds_load_2addr_b32 v[62:63], v89 offset0:138 offset1:139
	ds_load_b32 v209, v89 offset:560
	s_wait_dscnt 0x1
	v_add3_u32 v210, v65, v64, v62
	s_wait_dscnt 0x0
	s_delay_alu instid0(VALU_DEP_1) | instskip(NEXT) | instid1(VALU_DEP_1)
	v_add3_u32 v209, v210, v63, v209
	v_mov_b32_dpp v210, v209 row_shr:1 row_mask:0xf bank_mask:0xf
	s_delay_alu instid0(VALU_DEP_1) | instskip(NEXT) | instid1(VALU_DEP_1)
	v_cndmask_b32_e64 v210, v210, 0, s9
	v_add_nc_u32_e32 v209, v210, v209
	s_delay_alu instid0(VALU_DEP_1) | instskip(NEXT) | instid1(VALU_DEP_1)
	v_mov_b32_dpp v210, v209 row_shr:2 row_mask:0xf bank_mask:0xf
	v_cndmask_b32_e64 v210, 0, v210, s10
	s_delay_alu instid0(VALU_DEP_1) | instskip(NEXT) | instid1(VALU_DEP_1)
	v_add_nc_u32_e32 v209, v209, v210
	v_mov_b32_dpp v210, v209 row_shr:4 row_mask:0xf bank_mask:0xf
	s_delay_alu instid0(VALU_DEP_1) | instskip(NEXT) | instid1(VALU_DEP_1)
	v_cndmask_b32_e64 v210, 0, v210, s11
	v_add_nc_u32_e32 v209, v209, v210
	s_delay_alu instid0(VALU_DEP_1) | instskip(NEXT) | instid1(VALU_DEP_1)
	v_mov_b32_dpp v210, v209 row_shr:8 row_mask:0xf bank_mask:0xf
	v_cndmask_b32_e64 v210, 0, v210, s12
	s_delay_alu instid0(VALU_DEP_1) | instskip(SKIP_3) | instid1(VALU_DEP_1)
	v_add_nc_u32_e32 v209, v209, v210
	ds_swizzle_b32 v210, v209 offset:swizzle(BROADCAST,32,15)
	s_wait_dscnt 0x0
	v_cndmask_b32_e64 v210, v210, 0, s13
	v_add_nc_u32_e32 v209, v209, v210
	s_and_saveexec_b32 s17, s2
; %bb.491:                              ;   in Loop: Header=BB936_418 Depth=2
	ds_store_b32 v82, v209 offset:512
; %bb.492:                              ;   in Loop: Header=BB936_418 Depth=2
	s_or_b32 exec_lo, exec_lo, s17
	s_wait_dscnt 0x0
	s_barrier_signal -1
	s_barrier_wait -1
	s_and_saveexec_b32 s17, s3
	s_cbranch_execz .LBB936_494
; %bb.493:                              ;   in Loop: Header=BB936_418 Depth=2
	ds_load_b32 v210, v91 offset:512
	s_wait_dscnt 0x0
	v_mov_b32_dpp v211, v210 row_shr:1 row_mask:0xf bank_mask:0xf
	s_delay_alu instid0(VALU_DEP_1) | instskip(NEXT) | instid1(VALU_DEP_1)
	v_cndmask_b32_e64 v211, v211, 0, s14
	v_add_nc_u32_e32 v210, v211, v210
	s_delay_alu instid0(VALU_DEP_1) | instskip(NEXT) | instid1(VALU_DEP_1)
	v_mov_b32_dpp v211, v210 row_shr:2 row_mask:0xf bank_mask:0xf
	v_cndmask_b32_e64 v211, 0, v211, s15
	s_delay_alu instid0(VALU_DEP_1) | instskip(NEXT) | instid1(VALU_DEP_1)
	v_add_nc_u32_e32 v210, v210, v211
	v_mov_b32_dpp v211, v210 row_shr:4 row_mask:0xf bank_mask:0xf
	s_delay_alu instid0(VALU_DEP_1) | instskip(NEXT) | instid1(VALU_DEP_1)
	v_cndmask_b32_e64 v211, 0, v211, s16
	v_add_nc_u32_e32 v210, v210, v211
	ds_store_b32 v91, v210 offset:512
.LBB936_494:                            ;   in Loop: Header=BB936_418 Depth=2
	s_or_b32 exec_lo, exec_lo, s17
	v_mov_b32_e32 v210, 0
	s_wait_dscnt 0x0
	s_barrier_signal -1
	s_barrier_wait -1
	s_and_saveexec_b32 s17, s5
; %bb.495:                              ;   in Loop: Header=BB936_418 Depth=2
	ds_load_b32 v210, v82 offset:508
; %bb.496:                              ;   in Loop: Header=BB936_418 Depth=2
	s_or_b32 exec_lo, exec_lo, s17
	s_wait_dscnt 0x0
	v_add_nc_u32_e32 v209, v210, v209
	ds_bpermute_b32 v209, v121, v209
	s_wait_dscnt 0x0
	v_cndmask_b32_e64 v209, v209, v210, s8
	s_delay_alu instid0(VALU_DEP_1) | instskip(NEXT) | instid1(VALU_DEP_1)
	v_cndmask_b32_e64 v209, v209, 0, s6
	v_add_nc_u32_e32 v64, v209, v64
	s_delay_alu instid0(VALU_DEP_1) | instskip(NEXT) | instid1(VALU_DEP_1)
	v_add_nc_u32_e32 v65, v64, v65
	v_add_nc_u32_e32 v62, v65, v62
	s_delay_alu instid0(VALU_DEP_1)
	v_add_nc_u32_e32 v63, v62, v63
	ds_store_2addr_b32 v89, v209, v64 offset0:136 offset1:137
	ds_store_2addr_b32 v89, v65, v62 offset0:138 offset1:139
	ds_store_b32 v89, v63 offset:560
	s_wait_dscnt 0x0
	s_barrier_signal -1
	s_barrier_wait -1
	ds_load_b32 v64, v146 offset:544
	ds_load_b32 v65, v150 offset:544
	;; [unrolled: 1-line block ×17, first 2 shown]
	s_and_saveexec_b32 s17, s0
	s_cbranch_execz .LBB936_500
; %bb.497:                              ;   in Loop: Header=BB936_418 Depth=2
	ds_load_b32 v137, v92 offset:544
	v_mov_b32_e32 v140, 0x1100
	s_and_saveexec_b32 s18, s7
; %bb.498:                              ;   in Loop: Header=BB936_418 Depth=2
	ds_load_b32 v140, v93 offset:544
; %bb.499:                              ;   in Loop: Header=BB936_418 Depth=2
	s_or_b32 exec_lo, exec_lo, s18
	s_wait_dscnt 0x0
	v_sub_nc_u32_e32 v140, v140, v137
.LBB936_500:                            ;   in Loop: Header=BB936_418 Depth=2
	s_or_b32 exec_lo, exec_lo, s17
	s_wait_dscnt 0x0
	s_barrier_signal -1
	s_barrier_wait -1
	s_and_saveexec_b32 s17, s0
	s_cbranch_execz .LBB936_502
; %bb.501:                              ;   in Loop: Header=BB936_418 Depth=2
	ds_load_b32 v156, v3
	s_wait_dscnt 0x0
	v_sub_nc_u32_e32 v156, v156, v137
	ds_store_b32 v3, v156
.LBB936_502:                            ;   in Loop: Header=BB936_418 Depth=2
	s_or_b32 exec_lo, exec_lo, s17
	v_add3_u32 v161, v153, v152, v146
	v_add_nc_u32_e32 v165, v64, v144
	v_add3_u32 v164, v149, v148, v65
	v_add3_u32 v159, v158, v157, v150
	;; [unrolled: 1-line block ×4, first 2 shown]
	v_lshlrev_b32_e32 v62, 1, v161
	v_dual_lshlrev_b32 v162, 1, v165 :: v_dual_lshlrev_b32 v163, 1, v164
	v_add3_u32 v157, v168, v167, v209
	v_add3_u32 v156, v173, v172, v175
	;; [unrolled: 1-line block ×5, first 2 shown]
	v_lshlrev_b32_e32 v63, 1, v159
	v_add3_u32 v152, v184, v183, v185
	ds_store_b16 v162, v143 offset:512
	ds_store_b16 v163, v145 offset:512
	v_lshlrev_b32_e32 v143, 1, v158
	v_add3_u32 v150, v188, v187, v190
	v_dual_lshlrev_b32 v145, 1, v157 :: v_dual_lshlrev_b32 v162, 1, v156
	v_add3_u32 v149, v192, v191, v210
	v_add3_u32 v65, v195, v194, v211
	ds_store_b16 v62, v147 offset:512
	ds_store_b16 v63, v151 offset:512
	ds_store_b16 v143, v155 offset:512
	ds_store_b16 v145, v160 offset:512
	ds_store_b16 v162, v166 offset:512
	v_dual_lshlrev_b32 v62, 1, v154 :: v_dual_lshlrev_b32 v63, 1, v153
	v_add3_u32 v64, v198, v197, v212
	v_dual_lshlrev_b32 v143, 1, v152 :: v_dual_lshlrev_b32 v145, 1, v150
	v_add3_u32 v144, v207, v206, v170
	v_lshlrev_b32_e32 v147, 1, v149
	ds_store_b16 v62, v171 offset:512
	ds_store_b16 v63, v176 offset:512
	;; [unrolled: 1-line block ×5, first 2 shown]
	v_dual_lshlrev_b32 v62, 1, v65 :: v_dual_lshlrev_b32 v143, 1, v148
	v_cmp_lt_u32_e32 vcc_lo, v2, v141
	v_dual_lshlrev_b32 v63, 1, v64 :: v_dual_lshlrev_b32 v145, 1, v146
	v_lshlrev_b32_e32 v147, 1, v144
	ds_store_b16 v62, v189 offset:512
	ds_store_b16 v63, v193 offset:512
	;; [unrolled: 1-line block ×5, first 2 shown]
	s_wait_dscnt 0x0
	s_barrier_signal -1
	s_barrier_wait -1
	s_and_saveexec_b32 s17, vcc_lo
	s_cbranch_execnz .LBB936_575
; %bb.503:                              ;   in Loop: Header=BB936_418 Depth=2
	s_or_b32 exec_lo, exec_lo, s17
	v_cmp_lt_u32_e64 s17, v66, v141
	s_and_saveexec_b32 s18, s17
	s_cbranch_execnz .LBB936_576
.LBB936_504:                            ;   in Loop: Header=BB936_418 Depth=2
	s_or_b32 exec_lo, exec_lo, s18
	v_cmp_lt_u32_e64 s18, v67, v141
	s_and_saveexec_b32 s19, s18
	s_cbranch_execnz .LBB936_577
.LBB936_505:                            ;   in Loop: Header=BB936_418 Depth=2
	s_or_b32 exec_lo, exec_lo, s19
	v_cmp_lt_u32_e64 s19, v68, v141
	s_and_saveexec_b32 s20, s19
	s_cbranch_execnz .LBB936_578
.LBB936_506:                            ;   in Loop: Header=BB936_418 Depth=2
	s_or_b32 exec_lo, exec_lo, s20
	v_cmp_lt_u32_e64 s20, v69, v141
	s_and_saveexec_b32 s21, s20
	s_cbranch_execnz .LBB936_579
.LBB936_507:                            ;   in Loop: Header=BB936_418 Depth=2
	s_or_b32 exec_lo, exec_lo, s21
	v_cmp_lt_u32_e64 s21, v70, v141
	s_and_saveexec_b32 s22, s21
	s_cbranch_execnz .LBB936_580
.LBB936_508:                            ;   in Loop: Header=BB936_418 Depth=2
	s_or_b32 exec_lo, exec_lo, s22
	v_cmp_lt_u32_e64 s22, v71, v141
	s_and_saveexec_b32 s23, s22
	s_cbranch_execnz .LBB936_581
.LBB936_509:                            ;   in Loop: Header=BB936_418 Depth=2
	s_or_b32 exec_lo, exec_lo, s23
	v_cmp_lt_u32_e64 s23, v72, v141
	s_and_saveexec_b32 s24, s23
	s_cbranch_execnz .LBB936_582
.LBB936_510:                            ;   in Loop: Header=BB936_418 Depth=2
	s_or_b32 exec_lo, exec_lo, s24
	v_cmp_lt_u32_e64 s24, v73, v141
	s_and_saveexec_b32 s25, s24
	s_cbranch_execnz .LBB936_583
.LBB936_511:                            ;   in Loop: Header=BB936_418 Depth=2
	s_or_b32 exec_lo, exec_lo, s25
	v_cmp_lt_u32_e64 s25, v74, v141
	s_and_saveexec_b32 s26, s25
	s_cbranch_execnz .LBB936_584
.LBB936_512:                            ;   in Loop: Header=BB936_418 Depth=2
	s_or_b32 exec_lo, exec_lo, s26
	v_cmp_lt_u32_e64 s26, v75, v141
	s_and_saveexec_b32 s27, s26
	s_cbranch_execnz .LBB936_585
.LBB936_513:                            ;   in Loop: Header=BB936_418 Depth=2
	s_or_b32 exec_lo, exec_lo, s27
	v_cmp_lt_u32_e64 s27, v76, v141
	s_and_saveexec_b32 s28, s27
	s_cbranch_execnz .LBB936_586
.LBB936_514:                            ;   in Loop: Header=BB936_418 Depth=2
	s_or_b32 exec_lo, exec_lo, s28
	v_cmp_lt_u32_e64 s28, v77, v141
	s_and_saveexec_b32 s29, s28
	s_cbranch_execnz .LBB936_587
.LBB936_515:                            ;   in Loop: Header=BB936_418 Depth=2
	s_or_b32 exec_lo, exec_lo, s29
	v_cmp_lt_u32_e64 s29, v78, v141
	s_and_saveexec_b32 s30, s29
	s_cbranch_execnz .LBB936_588
.LBB936_516:                            ;   in Loop: Header=BB936_418 Depth=2
	s_or_b32 exec_lo, exec_lo, s30
	v_cmp_lt_u32_e64 s30, v79, v141
	s_and_saveexec_b32 s31, s30
	s_cbranch_execnz .LBB936_589
.LBB936_517:                            ;   in Loop: Header=BB936_418 Depth=2
	s_or_b32 exec_lo, exec_lo, s31
	v_cmp_lt_u32_e64 s31, v80, v141
	s_and_saveexec_b32 s33, s31
	s_cbranch_execnz .LBB936_590
.LBB936_518:                            ;   in Loop: Header=BB936_418 Depth=2
	s_or_b32 exec_lo, exec_lo, s33
	v_cmp_lt_u32_e64 s33, v81, v141
	s_and_saveexec_b32 s60, s33
	s_cbranch_execz .LBB936_520
.LBB936_519:                            ;   in Loop: Header=BB936_418 Depth=2
	ds_load_u16 v62, v94 offset:8704
	s_wait_dscnt 0x0
	v_and_b32_e32 v63, 0xffff, v62
	v_xor_b32_e32 v62, 0x7fff, v62
	s_delay_alu instid0(VALU_DEP_2) | instskip(NEXT) | instid1(VALU_DEP_1)
	v_lshrrev_b32_e32 v63, s43, v63
	v_and_b32_e32 v63, s48, v63
	s_delay_alu instid0(VALU_DEP_1)
	v_lshlrev_b32_e32 v63, 2, v63
	ds_load_b32 v63, v63
	s_wait_dscnt 0x0
	v_add_nc_u32_e32 v63, v63, v81
	global_store_b16 v63, v62, s[40:41] scale_offset
.LBB936_520:                            ;   in Loop: Header=BB936_418 Depth=2
	s_wait_xcnt 0x0
	s_or_b32 exec_lo, exec_lo, s60
	v_lshl_add_u64 v[62:63], s[34:35], 3, v[24:25]
	v_cmp_lt_u32_e64 s34, v102, v141
	s_and_saveexec_b32 s60, s34
	s_delay_alu instid0(SALU_CYCLE_1)
	s_xor_b32 s34, exec_lo, s60
	s_cbranch_execnz .LBB936_591
; %bb.521:                              ;   in Loop: Header=BB936_418 Depth=2
	s_or_b32 exec_lo, exec_lo, s34
	s_delay_alu instid0(SALU_CYCLE_1)
	s_mov_b32 s60, exec_lo
	v_cmpx_lt_u32_e64 v105, v141
	s_cbranch_execnz .LBB936_592
.LBB936_522:                            ;   in Loop: Header=BB936_418 Depth=2
	s_or_b32 exec_lo, exec_lo, s60
	s_delay_alu instid0(SALU_CYCLE_1)
	s_mov_b32 s60, exec_lo
	v_cmpx_lt_u32_e64 v106, v141
	s_cbranch_execnz .LBB936_593
.LBB936_523:                            ;   in Loop: Header=BB936_418 Depth=2
	s_or_b32 exec_lo, exec_lo, s60
	s_delay_alu instid0(SALU_CYCLE_1)
	s_mov_b32 s60, exec_lo
	v_cmpx_lt_u32_e64 v107, v141
	s_cbranch_execnz .LBB936_594
.LBB936_524:                            ;   in Loop: Header=BB936_418 Depth=2
	s_or_b32 exec_lo, exec_lo, s60
	s_delay_alu instid0(SALU_CYCLE_1)
	s_mov_b32 s60, exec_lo
	v_cmpx_lt_u32_e64 v108, v141
	s_cbranch_execnz .LBB936_595
.LBB936_525:                            ;   in Loop: Header=BB936_418 Depth=2
	s_or_b32 exec_lo, exec_lo, s60
	s_delay_alu instid0(SALU_CYCLE_1)
	s_mov_b32 s60, exec_lo
	v_cmpx_lt_u32_e64 v109, v141
	s_cbranch_execnz .LBB936_596
.LBB936_526:                            ;   in Loop: Header=BB936_418 Depth=2
	s_or_b32 exec_lo, exec_lo, s60
	s_delay_alu instid0(SALU_CYCLE_1)
	s_mov_b32 s60, exec_lo
	v_cmpx_lt_u32_e64 v110, v141
	s_cbranch_execnz .LBB936_597
.LBB936_527:                            ;   in Loop: Header=BB936_418 Depth=2
	s_or_b32 exec_lo, exec_lo, s60
	s_delay_alu instid0(SALU_CYCLE_1)
	s_mov_b32 s60, exec_lo
	v_cmpx_lt_u32_e64 v111, v141
	s_cbranch_execnz .LBB936_598
.LBB936_528:                            ;   in Loop: Header=BB936_418 Depth=2
	s_or_b32 exec_lo, exec_lo, s60
	s_delay_alu instid0(SALU_CYCLE_1)
	s_mov_b32 s60, exec_lo
	v_cmpx_lt_u32_e64 v112, v141
	s_cbranch_execnz .LBB936_599
.LBB936_529:                            ;   in Loop: Header=BB936_418 Depth=2
	s_or_b32 exec_lo, exec_lo, s60
	s_delay_alu instid0(SALU_CYCLE_1)
	s_mov_b32 s60, exec_lo
	v_cmpx_lt_u32_e64 v113, v141
	s_cbranch_execnz .LBB936_600
.LBB936_530:                            ;   in Loop: Header=BB936_418 Depth=2
	s_or_b32 exec_lo, exec_lo, s60
	s_delay_alu instid0(SALU_CYCLE_1)
	s_mov_b32 s60, exec_lo
	v_cmpx_lt_u32_e64 v114, v141
	s_cbranch_execnz .LBB936_601
.LBB936_531:                            ;   in Loop: Header=BB936_418 Depth=2
	s_or_b32 exec_lo, exec_lo, s60
	s_delay_alu instid0(SALU_CYCLE_1)
	s_mov_b32 s60, exec_lo
	v_cmpx_lt_u32_e64 v115, v141
	s_cbranch_execnz .LBB936_602
.LBB936_532:                            ;   in Loop: Header=BB936_418 Depth=2
	s_or_b32 exec_lo, exec_lo, s60
	s_delay_alu instid0(SALU_CYCLE_1)
	s_mov_b32 s60, exec_lo
	v_cmpx_lt_u32_e64 v116, v141
	s_cbranch_execnz .LBB936_603
.LBB936_533:                            ;   in Loop: Header=BB936_418 Depth=2
	s_or_b32 exec_lo, exec_lo, s60
	s_delay_alu instid0(SALU_CYCLE_1)
	s_mov_b32 s60, exec_lo
	v_cmpx_lt_u32_e64 v117, v141
	s_cbranch_execnz .LBB936_604
.LBB936_534:                            ;   in Loop: Header=BB936_418 Depth=2
	s_or_b32 exec_lo, exec_lo, s60
	s_delay_alu instid0(SALU_CYCLE_1)
	s_mov_b32 s60, exec_lo
	v_cmpx_lt_u32_e64 v118, v141
	s_cbranch_execnz .LBB936_605
.LBB936_535:                            ;   in Loop: Header=BB936_418 Depth=2
	s_or_b32 exec_lo, exec_lo, s60
	s_delay_alu instid0(SALU_CYCLE_1)
	s_mov_b32 s60, exec_lo
	v_cmpx_lt_u32_e64 v119, v141
	s_cbranch_execnz .LBB936_606
.LBB936_536:                            ;   in Loop: Header=BB936_418 Depth=2
	s_or_b32 exec_lo, exec_lo, s60
	s_delay_alu instid0(SALU_CYCLE_1)
	s_mov_b32 s60, exec_lo
	v_cmpx_lt_u32_e64 v120, v141
	s_cbranch_execnz .LBB936_607
.LBB936_537:                            ;   in Loop: Header=BB936_418 Depth=2
	s_or_b32 exec_lo, exec_lo, s60
	s_and_saveexec_b32 s34, vcc_lo
	s_cbranch_execnz .LBB936_608
.LBB936_538:                            ;   in Loop: Header=BB936_418 Depth=2
	s_or_b32 exec_lo, exec_lo, s34
	s_and_saveexec_b32 s34, s17
	s_cbranch_execnz .LBB936_609
.LBB936_539:                            ;   in Loop: Header=BB936_418 Depth=2
	s_or_b32 exec_lo, exec_lo, s34
	s_and_saveexec_b32 s34, s18
	s_cbranch_execnz .LBB936_610
.LBB936_540:                            ;   in Loop: Header=BB936_418 Depth=2
	s_or_b32 exec_lo, exec_lo, s34
	s_and_saveexec_b32 s34, s19
	s_cbranch_execnz .LBB936_611
.LBB936_541:                            ;   in Loop: Header=BB936_418 Depth=2
	s_or_b32 exec_lo, exec_lo, s34
	s_and_saveexec_b32 s34, s20
	s_cbranch_execnz .LBB936_612
.LBB936_542:                            ;   in Loop: Header=BB936_418 Depth=2
	s_or_b32 exec_lo, exec_lo, s34
	s_and_saveexec_b32 s34, s21
	s_cbranch_execnz .LBB936_613
.LBB936_543:                            ;   in Loop: Header=BB936_418 Depth=2
	s_or_b32 exec_lo, exec_lo, s34
	s_and_saveexec_b32 s34, s22
	s_cbranch_execnz .LBB936_614
.LBB936_544:                            ;   in Loop: Header=BB936_418 Depth=2
	s_or_b32 exec_lo, exec_lo, s34
	s_and_saveexec_b32 s34, s23
	s_cbranch_execnz .LBB936_615
.LBB936_545:                            ;   in Loop: Header=BB936_418 Depth=2
	s_or_b32 exec_lo, exec_lo, s34
	s_and_saveexec_b32 s34, s24
	s_cbranch_execnz .LBB936_616
.LBB936_546:                            ;   in Loop: Header=BB936_418 Depth=2
	s_or_b32 exec_lo, exec_lo, s34
	s_and_saveexec_b32 s34, s25
	s_cbranch_execnz .LBB936_617
.LBB936_547:                            ;   in Loop: Header=BB936_418 Depth=2
	s_or_b32 exec_lo, exec_lo, s34
	s_and_saveexec_b32 s34, s26
	s_cbranch_execnz .LBB936_618
.LBB936_548:                            ;   in Loop: Header=BB936_418 Depth=2
	s_or_b32 exec_lo, exec_lo, s34
	s_and_saveexec_b32 s34, s27
	s_cbranch_execnz .LBB936_619
.LBB936_549:                            ;   in Loop: Header=BB936_418 Depth=2
	s_or_b32 exec_lo, exec_lo, s34
	s_and_saveexec_b32 s34, s28
	s_cbranch_execnz .LBB936_620
.LBB936_550:                            ;   in Loop: Header=BB936_418 Depth=2
	s_or_b32 exec_lo, exec_lo, s34
	s_and_saveexec_b32 s34, s29
	s_cbranch_execnz .LBB936_621
.LBB936_551:                            ;   in Loop: Header=BB936_418 Depth=2
	s_or_b32 exec_lo, exec_lo, s34
	s_and_saveexec_b32 s34, s30
	s_cbranch_execnz .LBB936_622
.LBB936_552:                            ;   in Loop: Header=BB936_418 Depth=2
	s_or_b32 exec_lo, exec_lo, s34
	s_and_saveexec_b32 s34, s31
	s_cbranch_execnz .LBB936_623
.LBB936_553:                            ;   in Loop: Header=BB936_418 Depth=2
	s_or_b32 exec_lo, exec_lo, s34
	s_and_saveexec_b32 s34, s33
	s_cbranch_execz .LBB936_555
.LBB936_554:                            ;   in Loop: Header=BB936_418 Depth=2
	ds_load_u16 v62, v94 offset:8704
	s_wait_dscnt 0x0
	v_lshrrev_b32_e32 v62, s43, v62
	s_delay_alu instid0(VALU_DEP_1)
	v_and_b32_e32 v122, s48, v62
.LBB936_555:                            ;   in Loop: Header=BB936_418 Depth=2
	s_or_b32 exec_lo, exec_lo, s34
	v_dual_lshlrev_b32 v62, 3, v165 :: v_dual_lshlrev_b32 v63, 3, v164
	s_wait_loadcnt 0x0
	s_wait_storecnt 0x0
	s_barrier_signal -1
	s_barrier_wait -1
	ds_store_b64 v62, v[60:61] offset:512
	ds_store_b64 v63, v[58:59] offset:512
	v_dual_lshlrev_b32 v62, 3, v161 :: v_dual_lshlrev_b32 v63, 3, v159
	v_dual_lshlrev_b32 v141, 3, v158 :: v_dual_lshlrev_b32 v142, 3, v157
	v_lshlrev_b32_e32 v143, 3, v156
	ds_store_b64 v62, v[56:57] offset:512
	ds_store_b64 v63, v[54:55] offset:512
	ds_store_b64 v141, v[52:53] offset:512
	ds_store_b64 v142, v[50:51] offset:512
	ds_store_b64 v143, v[48:49] offset:512
	v_dual_lshlrev_b32 v62, 3, v154 :: v_dual_lshlrev_b32 v63, 3, v153
	v_dual_lshlrev_b32 v141, 3, v152 :: v_dual_lshlrev_b32 v142, 3, v150
	v_lshlrev_b32_e32 v143, 3, v149
	ds_store_b64 v62, v[46:47] offset:512
	ds_store_b64 v63, v[44:45] offset:512
	ds_store_b64 v141, v[42:43] offset:512
	ds_store_b64 v142, v[40:41] offset:512
	ds_store_b64 v143, v[38:39] offset:512
	v_dual_lshlrev_b32 v62, 3, v65 :: v_dual_lshlrev_b32 v63, 3, v64
	v_dual_lshlrev_b32 v64, 3, v148 :: v_dual_lshlrev_b32 v65, 3, v146
	v_lshlrev_b32_e32 v141, 3, v144
	ds_store_b64 v62, v[36:37] offset:512
	ds_store_b64 v63, v[34:35] offset:512
	ds_store_b64 v64, v[32:33] offset:512
	ds_store_b64 v65, v[30:31] offset:512
	ds_store_b64 v141, v[28:29] offset:512
	s_wait_dscnt 0x0
	s_barrier_signal -1
	s_barrier_wait -1
	s_and_saveexec_b32 s34, vcc_lo
	s_cbranch_execnz .LBB936_624
; %bb.556:                              ;   in Loop: Header=BB936_418 Depth=2
	s_or_b32 exec_lo, exec_lo, s34
	s_and_saveexec_b32 s34, s17
	s_cbranch_execnz .LBB936_625
.LBB936_557:                            ;   in Loop: Header=BB936_418 Depth=2
	s_or_b32 exec_lo, exec_lo, s34
	s_and_saveexec_b32 s17, s18
	s_cbranch_execnz .LBB936_626
.LBB936_558:                            ;   in Loop: Header=BB936_418 Depth=2
	s_or_b32 exec_lo, exec_lo, s17
	s_and_saveexec_b32 s17, s19
	s_cbranch_execnz .LBB936_627
.LBB936_559:                            ;   in Loop: Header=BB936_418 Depth=2
	s_or_b32 exec_lo, exec_lo, s17
	s_and_saveexec_b32 s17, s20
	s_cbranch_execnz .LBB936_628
.LBB936_560:                            ;   in Loop: Header=BB936_418 Depth=2
	s_or_b32 exec_lo, exec_lo, s17
	s_and_saveexec_b32 s17, s21
	s_cbranch_execnz .LBB936_629
.LBB936_561:                            ;   in Loop: Header=BB936_418 Depth=2
	s_or_b32 exec_lo, exec_lo, s17
	s_and_saveexec_b32 s17, s22
	s_cbranch_execnz .LBB936_630
.LBB936_562:                            ;   in Loop: Header=BB936_418 Depth=2
	s_or_b32 exec_lo, exec_lo, s17
	s_and_saveexec_b32 s17, s23
	s_cbranch_execnz .LBB936_631
.LBB936_563:                            ;   in Loop: Header=BB936_418 Depth=2
	s_or_b32 exec_lo, exec_lo, s17
	s_and_saveexec_b32 s17, s24
	s_cbranch_execnz .LBB936_632
.LBB936_564:                            ;   in Loop: Header=BB936_418 Depth=2
	s_or_b32 exec_lo, exec_lo, s17
	s_and_saveexec_b32 s17, s25
	s_cbranch_execnz .LBB936_633
.LBB936_565:                            ;   in Loop: Header=BB936_418 Depth=2
	s_or_b32 exec_lo, exec_lo, s17
	s_and_saveexec_b32 s17, s26
	s_cbranch_execnz .LBB936_634
.LBB936_566:                            ;   in Loop: Header=BB936_418 Depth=2
	s_or_b32 exec_lo, exec_lo, s17
	s_and_saveexec_b32 s17, s27
	s_cbranch_execnz .LBB936_635
.LBB936_567:                            ;   in Loop: Header=BB936_418 Depth=2
	s_or_b32 exec_lo, exec_lo, s17
	s_and_saveexec_b32 s17, s28
	s_cbranch_execnz .LBB936_636
.LBB936_568:                            ;   in Loop: Header=BB936_418 Depth=2
	s_or_b32 exec_lo, exec_lo, s17
	s_and_saveexec_b32 s17, s29
	s_cbranch_execnz .LBB936_637
.LBB936_569:                            ;   in Loop: Header=BB936_418 Depth=2
	s_or_b32 exec_lo, exec_lo, s17
	s_and_saveexec_b32 s17, s30
	s_cbranch_execnz .LBB936_638
.LBB936_570:                            ;   in Loop: Header=BB936_418 Depth=2
	s_or_b32 exec_lo, exec_lo, s17
	s_and_saveexec_b32 s17, s31
	s_cbranch_execnz .LBB936_639
.LBB936_571:                            ;   in Loop: Header=BB936_418 Depth=2
	s_or_b32 exec_lo, exec_lo, s17
	s_and_saveexec_b32 s17, s33
	s_cbranch_execz .LBB936_573
.LBB936_572:                            ;   in Loop: Header=BB936_418 Depth=2
	v_dual_lshlrev_b32 v62, 2, v122 :: v_dual_add_nc_u32 v63, v94, v95
	ds_load_b32 v64, v62
	ds_load_b64 v[62:63], v63 offset:33280
	s_wait_dscnt 0x1
	v_add_nc_u32_e32 v64, v64, v81
	s_wait_dscnt 0x0
	global_store_b64 v64, v[62:63], s[46:47] scale_offset
.LBB936_573:                            ;   in Loop: Header=BB936_418 Depth=2
	s_wait_xcnt 0x0
	s_or_b32 exec_lo, exec_lo, s17
	s_wait_storecnt 0x0
	s_barrier_signal -1
	s_barrier_wait -1
	s_and_saveexec_b32 s17, s0
	s_cbranch_execz .LBB936_417
; %bb.574:                              ;   in Loop: Header=BB936_418 Depth=2
	ds_load_b32 v62, v3
	s_wait_dscnt 0x0
	v_add3_u32 v62, v137, v140, v62
	ds_store_b32 v3, v62
	s_branch .LBB936_417
.LBB936_575:                            ;   in Loop: Header=BB936_418 Depth=2
	ds_load_u16 v62, v94 offset:512
	s_wait_dscnt 0x0
	v_and_b32_e32 v63, 0xffff, v62
	v_xor_b32_e32 v62, 0x7fff, v62
	s_delay_alu instid0(VALU_DEP_2) | instskip(NEXT) | instid1(VALU_DEP_1)
	v_lshrrev_b32_e32 v63, s43, v63
	v_and_b32_e32 v63, s48, v63
	s_delay_alu instid0(VALU_DEP_1)
	v_lshlrev_b32_e32 v63, 2, v63
	ds_load_b32 v63, v63
	s_wait_dscnt 0x0
	v_add_nc_u32_e32 v63, v63, v2
	global_store_b16 v63, v62, s[40:41] scale_offset
	s_wait_xcnt 0x0
	s_or_b32 exec_lo, exec_lo, s17
	v_cmp_lt_u32_e64 s17, v66, v141
	s_and_saveexec_b32 s18, s17
	s_cbranch_execz .LBB936_504
.LBB936_576:                            ;   in Loop: Header=BB936_418 Depth=2
	ds_load_u16 v62, v94 offset:1024
	s_wait_dscnt 0x0
	v_and_b32_e32 v63, 0xffff, v62
	v_xor_b32_e32 v62, 0x7fff, v62
	s_delay_alu instid0(VALU_DEP_2) | instskip(NEXT) | instid1(VALU_DEP_1)
	v_lshrrev_b32_e32 v63, s43, v63
	v_and_b32_e32 v63, s48, v63
	s_delay_alu instid0(VALU_DEP_1)
	v_lshlrev_b32_e32 v63, 2, v63
	ds_load_b32 v63, v63
	s_wait_dscnt 0x0
	v_add_nc_u32_e32 v63, v63, v66
	global_store_b16 v63, v62, s[40:41] scale_offset
	s_wait_xcnt 0x0
	s_or_b32 exec_lo, exec_lo, s18
	v_cmp_lt_u32_e64 s18, v67, v141
	s_and_saveexec_b32 s19, s18
	s_cbranch_execz .LBB936_505
.LBB936_577:                            ;   in Loop: Header=BB936_418 Depth=2
	ds_load_u16 v62, v94 offset:1536
	s_wait_dscnt 0x0
	v_and_b32_e32 v63, 0xffff, v62
	v_xor_b32_e32 v62, 0x7fff, v62
	s_delay_alu instid0(VALU_DEP_2) | instskip(NEXT) | instid1(VALU_DEP_1)
	v_lshrrev_b32_e32 v63, s43, v63
	v_and_b32_e32 v63, s48, v63
	s_delay_alu instid0(VALU_DEP_1)
	v_lshlrev_b32_e32 v63, 2, v63
	ds_load_b32 v63, v63
	s_wait_dscnt 0x0
	v_add_nc_u32_e32 v63, v63, v67
	global_store_b16 v63, v62, s[40:41] scale_offset
	s_wait_xcnt 0x0
	s_or_b32 exec_lo, exec_lo, s19
	v_cmp_lt_u32_e64 s19, v68, v141
	s_and_saveexec_b32 s20, s19
	s_cbranch_execz .LBB936_506
.LBB936_578:                            ;   in Loop: Header=BB936_418 Depth=2
	ds_load_u16 v62, v94 offset:2048
	s_wait_dscnt 0x0
	v_and_b32_e32 v63, 0xffff, v62
	v_xor_b32_e32 v62, 0x7fff, v62
	s_delay_alu instid0(VALU_DEP_2) | instskip(NEXT) | instid1(VALU_DEP_1)
	v_lshrrev_b32_e32 v63, s43, v63
	v_and_b32_e32 v63, s48, v63
	s_delay_alu instid0(VALU_DEP_1)
	v_lshlrev_b32_e32 v63, 2, v63
	ds_load_b32 v63, v63
	s_wait_dscnt 0x0
	v_add_nc_u32_e32 v63, v63, v68
	global_store_b16 v63, v62, s[40:41] scale_offset
	s_wait_xcnt 0x0
	s_or_b32 exec_lo, exec_lo, s20
	v_cmp_lt_u32_e64 s20, v69, v141
	s_and_saveexec_b32 s21, s20
	s_cbranch_execz .LBB936_507
.LBB936_579:                            ;   in Loop: Header=BB936_418 Depth=2
	ds_load_u16 v62, v94 offset:2560
	s_wait_dscnt 0x0
	v_and_b32_e32 v63, 0xffff, v62
	v_xor_b32_e32 v62, 0x7fff, v62
	s_delay_alu instid0(VALU_DEP_2) | instskip(NEXT) | instid1(VALU_DEP_1)
	v_lshrrev_b32_e32 v63, s43, v63
	v_and_b32_e32 v63, s48, v63
	s_delay_alu instid0(VALU_DEP_1)
	v_lshlrev_b32_e32 v63, 2, v63
	ds_load_b32 v63, v63
	s_wait_dscnt 0x0
	v_add_nc_u32_e32 v63, v63, v69
	global_store_b16 v63, v62, s[40:41] scale_offset
	s_wait_xcnt 0x0
	s_or_b32 exec_lo, exec_lo, s21
	v_cmp_lt_u32_e64 s21, v70, v141
	s_and_saveexec_b32 s22, s21
	s_cbranch_execz .LBB936_508
.LBB936_580:                            ;   in Loop: Header=BB936_418 Depth=2
	ds_load_u16 v62, v94 offset:3072
	s_wait_dscnt 0x0
	v_and_b32_e32 v63, 0xffff, v62
	v_xor_b32_e32 v62, 0x7fff, v62
	s_delay_alu instid0(VALU_DEP_2) | instskip(NEXT) | instid1(VALU_DEP_1)
	v_lshrrev_b32_e32 v63, s43, v63
	v_and_b32_e32 v63, s48, v63
	s_delay_alu instid0(VALU_DEP_1)
	v_lshlrev_b32_e32 v63, 2, v63
	ds_load_b32 v63, v63
	s_wait_dscnt 0x0
	v_add_nc_u32_e32 v63, v63, v70
	global_store_b16 v63, v62, s[40:41] scale_offset
	s_wait_xcnt 0x0
	s_or_b32 exec_lo, exec_lo, s22
	v_cmp_lt_u32_e64 s22, v71, v141
	s_and_saveexec_b32 s23, s22
	s_cbranch_execz .LBB936_509
.LBB936_581:                            ;   in Loop: Header=BB936_418 Depth=2
	ds_load_u16 v62, v94 offset:3584
	s_wait_dscnt 0x0
	v_and_b32_e32 v63, 0xffff, v62
	v_xor_b32_e32 v62, 0x7fff, v62
	s_delay_alu instid0(VALU_DEP_2) | instskip(NEXT) | instid1(VALU_DEP_1)
	v_lshrrev_b32_e32 v63, s43, v63
	v_and_b32_e32 v63, s48, v63
	s_delay_alu instid0(VALU_DEP_1)
	v_lshlrev_b32_e32 v63, 2, v63
	ds_load_b32 v63, v63
	s_wait_dscnt 0x0
	v_add_nc_u32_e32 v63, v63, v71
	global_store_b16 v63, v62, s[40:41] scale_offset
	s_wait_xcnt 0x0
	s_or_b32 exec_lo, exec_lo, s23
	v_cmp_lt_u32_e64 s23, v72, v141
	s_and_saveexec_b32 s24, s23
	s_cbranch_execz .LBB936_510
.LBB936_582:                            ;   in Loop: Header=BB936_418 Depth=2
	ds_load_u16 v62, v94 offset:4096
	s_wait_dscnt 0x0
	v_and_b32_e32 v63, 0xffff, v62
	v_xor_b32_e32 v62, 0x7fff, v62
	s_delay_alu instid0(VALU_DEP_2) | instskip(NEXT) | instid1(VALU_DEP_1)
	v_lshrrev_b32_e32 v63, s43, v63
	v_and_b32_e32 v63, s48, v63
	s_delay_alu instid0(VALU_DEP_1)
	v_lshlrev_b32_e32 v63, 2, v63
	ds_load_b32 v63, v63
	s_wait_dscnt 0x0
	v_add_nc_u32_e32 v63, v63, v72
	global_store_b16 v63, v62, s[40:41] scale_offset
	s_wait_xcnt 0x0
	s_or_b32 exec_lo, exec_lo, s24
	v_cmp_lt_u32_e64 s24, v73, v141
	s_and_saveexec_b32 s25, s24
	s_cbranch_execz .LBB936_511
.LBB936_583:                            ;   in Loop: Header=BB936_418 Depth=2
	ds_load_u16 v62, v94 offset:4608
	s_wait_dscnt 0x0
	v_and_b32_e32 v63, 0xffff, v62
	v_xor_b32_e32 v62, 0x7fff, v62
	s_delay_alu instid0(VALU_DEP_2) | instskip(NEXT) | instid1(VALU_DEP_1)
	v_lshrrev_b32_e32 v63, s43, v63
	v_and_b32_e32 v63, s48, v63
	s_delay_alu instid0(VALU_DEP_1)
	v_lshlrev_b32_e32 v63, 2, v63
	ds_load_b32 v63, v63
	s_wait_dscnt 0x0
	v_add_nc_u32_e32 v63, v63, v73
	global_store_b16 v63, v62, s[40:41] scale_offset
	s_wait_xcnt 0x0
	s_or_b32 exec_lo, exec_lo, s25
	v_cmp_lt_u32_e64 s25, v74, v141
	s_and_saveexec_b32 s26, s25
	s_cbranch_execz .LBB936_512
.LBB936_584:                            ;   in Loop: Header=BB936_418 Depth=2
	ds_load_u16 v62, v94 offset:5120
	s_wait_dscnt 0x0
	v_and_b32_e32 v63, 0xffff, v62
	v_xor_b32_e32 v62, 0x7fff, v62
	s_delay_alu instid0(VALU_DEP_2) | instskip(NEXT) | instid1(VALU_DEP_1)
	v_lshrrev_b32_e32 v63, s43, v63
	v_and_b32_e32 v63, s48, v63
	s_delay_alu instid0(VALU_DEP_1)
	v_lshlrev_b32_e32 v63, 2, v63
	ds_load_b32 v63, v63
	s_wait_dscnt 0x0
	v_add_nc_u32_e32 v63, v63, v74
	global_store_b16 v63, v62, s[40:41] scale_offset
	s_wait_xcnt 0x0
	s_or_b32 exec_lo, exec_lo, s26
	v_cmp_lt_u32_e64 s26, v75, v141
	s_and_saveexec_b32 s27, s26
	s_cbranch_execz .LBB936_513
.LBB936_585:                            ;   in Loop: Header=BB936_418 Depth=2
	ds_load_u16 v62, v94 offset:5632
	s_wait_dscnt 0x0
	v_and_b32_e32 v63, 0xffff, v62
	v_xor_b32_e32 v62, 0x7fff, v62
	s_delay_alu instid0(VALU_DEP_2) | instskip(NEXT) | instid1(VALU_DEP_1)
	v_lshrrev_b32_e32 v63, s43, v63
	v_and_b32_e32 v63, s48, v63
	s_delay_alu instid0(VALU_DEP_1)
	v_lshlrev_b32_e32 v63, 2, v63
	ds_load_b32 v63, v63
	s_wait_dscnt 0x0
	v_add_nc_u32_e32 v63, v63, v75
	global_store_b16 v63, v62, s[40:41] scale_offset
	s_wait_xcnt 0x0
	s_or_b32 exec_lo, exec_lo, s27
	v_cmp_lt_u32_e64 s27, v76, v141
	s_and_saveexec_b32 s28, s27
	s_cbranch_execz .LBB936_514
.LBB936_586:                            ;   in Loop: Header=BB936_418 Depth=2
	ds_load_u16 v62, v94 offset:6144
	s_wait_dscnt 0x0
	v_and_b32_e32 v63, 0xffff, v62
	v_xor_b32_e32 v62, 0x7fff, v62
	s_delay_alu instid0(VALU_DEP_2) | instskip(NEXT) | instid1(VALU_DEP_1)
	v_lshrrev_b32_e32 v63, s43, v63
	v_and_b32_e32 v63, s48, v63
	s_delay_alu instid0(VALU_DEP_1)
	v_lshlrev_b32_e32 v63, 2, v63
	ds_load_b32 v63, v63
	s_wait_dscnt 0x0
	v_add_nc_u32_e32 v63, v63, v76
	global_store_b16 v63, v62, s[40:41] scale_offset
	s_wait_xcnt 0x0
	s_or_b32 exec_lo, exec_lo, s28
	v_cmp_lt_u32_e64 s28, v77, v141
	s_and_saveexec_b32 s29, s28
	s_cbranch_execz .LBB936_515
.LBB936_587:                            ;   in Loop: Header=BB936_418 Depth=2
	ds_load_u16 v62, v94 offset:6656
	s_wait_dscnt 0x0
	v_and_b32_e32 v63, 0xffff, v62
	v_xor_b32_e32 v62, 0x7fff, v62
	s_delay_alu instid0(VALU_DEP_2) | instskip(NEXT) | instid1(VALU_DEP_1)
	v_lshrrev_b32_e32 v63, s43, v63
	v_and_b32_e32 v63, s48, v63
	s_delay_alu instid0(VALU_DEP_1)
	v_lshlrev_b32_e32 v63, 2, v63
	ds_load_b32 v63, v63
	s_wait_dscnt 0x0
	v_add_nc_u32_e32 v63, v63, v77
	global_store_b16 v63, v62, s[40:41] scale_offset
	s_wait_xcnt 0x0
	s_or_b32 exec_lo, exec_lo, s29
	v_cmp_lt_u32_e64 s29, v78, v141
	s_and_saveexec_b32 s30, s29
	s_cbranch_execz .LBB936_516
.LBB936_588:                            ;   in Loop: Header=BB936_418 Depth=2
	ds_load_u16 v62, v94 offset:7168
	s_wait_dscnt 0x0
	v_and_b32_e32 v63, 0xffff, v62
	v_xor_b32_e32 v62, 0x7fff, v62
	s_delay_alu instid0(VALU_DEP_2) | instskip(NEXT) | instid1(VALU_DEP_1)
	v_lshrrev_b32_e32 v63, s43, v63
	v_and_b32_e32 v63, s48, v63
	s_delay_alu instid0(VALU_DEP_1)
	v_lshlrev_b32_e32 v63, 2, v63
	ds_load_b32 v63, v63
	s_wait_dscnt 0x0
	v_add_nc_u32_e32 v63, v63, v78
	global_store_b16 v63, v62, s[40:41] scale_offset
	s_wait_xcnt 0x0
	s_or_b32 exec_lo, exec_lo, s30
	v_cmp_lt_u32_e64 s30, v79, v141
	s_and_saveexec_b32 s31, s30
	s_cbranch_execz .LBB936_517
.LBB936_589:                            ;   in Loop: Header=BB936_418 Depth=2
	ds_load_u16 v62, v94 offset:7680
	s_wait_dscnt 0x0
	v_and_b32_e32 v63, 0xffff, v62
	v_xor_b32_e32 v62, 0x7fff, v62
	s_delay_alu instid0(VALU_DEP_2) | instskip(NEXT) | instid1(VALU_DEP_1)
	v_lshrrev_b32_e32 v63, s43, v63
	v_and_b32_e32 v63, s48, v63
	s_delay_alu instid0(VALU_DEP_1)
	v_lshlrev_b32_e32 v63, 2, v63
	ds_load_b32 v63, v63
	s_wait_dscnt 0x0
	v_add_nc_u32_e32 v63, v63, v79
	global_store_b16 v63, v62, s[40:41] scale_offset
	s_wait_xcnt 0x0
	s_or_b32 exec_lo, exec_lo, s31
	v_cmp_lt_u32_e64 s31, v80, v141
	s_and_saveexec_b32 s33, s31
	s_cbranch_execz .LBB936_518
.LBB936_590:                            ;   in Loop: Header=BB936_418 Depth=2
	ds_load_u16 v62, v94 offset:8192
	s_wait_dscnt 0x0
	v_and_b32_e32 v63, 0xffff, v62
	v_xor_b32_e32 v62, 0x7fff, v62
	s_delay_alu instid0(VALU_DEP_2) | instskip(NEXT) | instid1(VALU_DEP_1)
	v_lshrrev_b32_e32 v63, s43, v63
	v_and_b32_e32 v63, s48, v63
	s_delay_alu instid0(VALU_DEP_1)
	v_lshlrev_b32_e32 v63, 2, v63
	ds_load_b32 v63, v63
	s_wait_dscnt 0x0
	v_add_nc_u32_e32 v63, v63, v80
	global_store_b16 v63, v62, s[40:41] scale_offset
	s_wait_xcnt 0x0
	s_or_b32 exec_lo, exec_lo, s33
	v_cmp_lt_u32_e64 s33, v81, v141
	s_and_saveexec_b32 s60, s33
	s_cbranch_execnz .LBB936_519
	s_branch .LBB936_520
.LBB936_591:                            ;   in Loop: Header=BB936_418 Depth=2
	global_load_b64 v[60:61], v[62:63], off
	s_wait_xcnt 0x0
	s_or_b32 exec_lo, exec_lo, s34
	s_delay_alu instid0(SALU_CYCLE_1)
	s_mov_b32 s60, exec_lo
	v_cmpx_lt_u32_e64 v105, v141
	s_cbranch_execz .LBB936_522
.LBB936_592:                            ;   in Loop: Header=BB936_418 Depth=2
	global_load_b64 v[58:59], v[62:63], off offset:256
	s_wait_xcnt 0x0
	s_or_b32 exec_lo, exec_lo, s60
	s_delay_alu instid0(SALU_CYCLE_1)
	s_mov_b32 s60, exec_lo
	v_cmpx_lt_u32_e64 v106, v141
	s_cbranch_execz .LBB936_523
.LBB936_593:                            ;   in Loop: Header=BB936_418 Depth=2
	global_load_b64 v[56:57], v[62:63], off offset:512
	s_wait_xcnt 0x0
	s_or_b32 exec_lo, exec_lo, s60
	s_delay_alu instid0(SALU_CYCLE_1)
	s_mov_b32 s60, exec_lo
	v_cmpx_lt_u32_e64 v107, v141
	s_cbranch_execz .LBB936_524
.LBB936_594:                            ;   in Loop: Header=BB936_418 Depth=2
	global_load_b64 v[54:55], v[62:63], off offset:768
	s_wait_xcnt 0x0
	s_or_b32 exec_lo, exec_lo, s60
	s_delay_alu instid0(SALU_CYCLE_1)
	s_mov_b32 s60, exec_lo
	v_cmpx_lt_u32_e64 v108, v141
	s_cbranch_execz .LBB936_525
.LBB936_595:                            ;   in Loop: Header=BB936_418 Depth=2
	global_load_b64 v[52:53], v[62:63], off offset:1024
	s_wait_xcnt 0x0
	s_or_b32 exec_lo, exec_lo, s60
	s_delay_alu instid0(SALU_CYCLE_1)
	s_mov_b32 s60, exec_lo
	v_cmpx_lt_u32_e64 v109, v141
	s_cbranch_execz .LBB936_526
.LBB936_596:                            ;   in Loop: Header=BB936_418 Depth=2
	global_load_b64 v[50:51], v[62:63], off offset:1280
	s_wait_xcnt 0x0
	s_or_b32 exec_lo, exec_lo, s60
	s_delay_alu instid0(SALU_CYCLE_1)
	s_mov_b32 s60, exec_lo
	v_cmpx_lt_u32_e64 v110, v141
	s_cbranch_execz .LBB936_527
.LBB936_597:                            ;   in Loop: Header=BB936_418 Depth=2
	global_load_b64 v[48:49], v[62:63], off offset:1536
	s_wait_xcnt 0x0
	s_or_b32 exec_lo, exec_lo, s60
	s_delay_alu instid0(SALU_CYCLE_1)
	s_mov_b32 s60, exec_lo
	v_cmpx_lt_u32_e64 v111, v141
	s_cbranch_execz .LBB936_528
.LBB936_598:                            ;   in Loop: Header=BB936_418 Depth=2
	global_load_b64 v[46:47], v[62:63], off offset:1792
	s_wait_xcnt 0x0
	s_or_b32 exec_lo, exec_lo, s60
	s_delay_alu instid0(SALU_CYCLE_1)
	s_mov_b32 s60, exec_lo
	v_cmpx_lt_u32_e64 v112, v141
	s_cbranch_execz .LBB936_529
.LBB936_599:                            ;   in Loop: Header=BB936_418 Depth=2
	global_load_b64 v[44:45], v[62:63], off offset:2048
	s_wait_xcnt 0x0
	s_or_b32 exec_lo, exec_lo, s60
	s_delay_alu instid0(SALU_CYCLE_1)
	s_mov_b32 s60, exec_lo
	v_cmpx_lt_u32_e64 v113, v141
	s_cbranch_execz .LBB936_530
.LBB936_600:                            ;   in Loop: Header=BB936_418 Depth=2
	global_load_b64 v[42:43], v[62:63], off offset:2304
	s_wait_xcnt 0x0
	s_or_b32 exec_lo, exec_lo, s60
	s_delay_alu instid0(SALU_CYCLE_1)
	s_mov_b32 s60, exec_lo
	v_cmpx_lt_u32_e64 v114, v141
	s_cbranch_execz .LBB936_531
.LBB936_601:                            ;   in Loop: Header=BB936_418 Depth=2
	global_load_b64 v[40:41], v[62:63], off offset:2560
	s_wait_xcnt 0x0
	s_or_b32 exec_lo, exec_lo, s60
	s_delay_alu instid0(SALU_CYCLE_1)
	s_mov_b32 s60, exec_lo
	v_cmpx_lt_u32_e64 v115, v141
	s_cbranch_execz .LBB936_532
.LBB936_602:                            ;   in Loop: Header=BB936_418 Depth=2
	global_load_b64 v[38:39], v[62:63], off offset:2816
	s_wait_xcnt 0x0
	s_or_b32 exec_lo, exec_lo, s60
	s_delay_alu instid0(SALU_CYCLE_1)
	s_mov_b32 s60, exec_lo
	v_cmpx_lt_u32_e64 v116, v141
	s_cbranch_execz .LBB936_533
.LBB936_603:                            ;   in Loop: Header=BB936_418 Depth=2
	global_load_b64 v[36:37], v[62:63], off offset:3072
	s_wait_xcnt 0x0
	s_or_b32 exec_lo, exec_lo, s60
	s_delay_alu instid0(SALU_CYCLE_1)
	s_mov_b32 s60, exec_lo
	v_cmpx_lt_u32_e64 v117, v141
	s_cbranch_execz .LBB936_534
.LBB936_604:                            ;   in Loop: Header=BB936_418 Depth=2
	global_load_b64 v[34:35], v[62:63], off offset:3328
	s_wait_xcnt 0x0
	s_or_b32 exec_lo, exec_lo, s60
	s_delay_alu instid0(SALU_CYCLE_1)
	s_mov_b32 s60, exec_lo
	v_cmpx_lt_u32_e64 v118, v141
	s_cbranch_execz .LBB936_535
.LBB936_605:                            ;   in Loop: Header=BB936_418 Depth=2
	global_load_b64 v[32:33], v[62:63], off offset:3584
	s_wait_xcnt 0x0
	s_or_b32 exec_lo, exec_lo, s60
	s_delay_alu instid0(SALU_CYCLE_1)
	s_mov_b32 s60, exec_lo
	v_cmpx_lt_u32_e64 v119, v141
	s_cbranch_execz .LBB936_536
.LBB936_606:                            ;   in Loop: Header=BB936_418 Depth=2
	global_load_b64 v[30:31], v[62:63], off offset:3840
	s_wait_xcnt 0x0
	s_or_b32 exec_lo, exec_lo, s60
	s_delay_alu instid0(SALU_CYCLE_1)
	s_mov_b32 s60, exec_lo
	v_cmpx_lt_u32_e64 v120, v141
	s_cbranch_execz .LBB936_537
.LBB936_607:                            ;   in Loop: Header=BB936_418 Depth=2
	global_load_b64 v[28:29], v[62:63], off offset:4096
	s_wait_xcnt 0x0
	s_or_b32 exec_lo, exec_lo, s60
	s_and_saveexec_b32 s34, vcc_lo
	s_cbranch_execz .LBB936_538
.LBB936_608:                            ;   in Loop: Header=BB936_418 Depth=2
	ds_load_u16 v62, v94 offset:512
	s_wait_dscnt 0x0
	v_lshrrev_b32_e32 v62, s43, v62
	s_delay_alu instid0(VALU_DEP_1)
	v_and_b32_e32 v139, s48, v62
	s_or_b32 exec_lo, exec_lo, s34
	s_and_saveexec_b32 s34, s17
	s_cbranch_execz .LBB936_539
.LBB936_609:                            ;   in Loop: Header=BB936_418 Depth=2
	ds_load_u16 v62, v94 offset:1024
	s_wait_dscnt 0x0
	v_lshrrev_b32_e32 v62, s43, v62
	s_delay_alu instid0(VALU_DEP_1)
	v_and_b32_e32 v138, s48, v62
	s_or_b32 exec_lo, exec_lo, s34
	s_and_saveexec_b32 s34, s18
	s_cbranch_execz .LBB936_540
.LBB936_610:                            ;   in Loop: Header=BB936_418 Depth=2
	ds_load_u16 v62, v94 offset:1536
	s_wait_dscnt 0x0
	v_lshrrev_b32_e32 v62, s43, v62
	s_delay_alu instid0(VALU_DEP_1)
	v_and_b32_e32 v136, s48, v62
	s_or_b32 exec_lo, exec_lo, s34
	s_and_saveexec_b32 s34, s19
	s_cbranch_execz .LBB936_541
.LBB936_611:                            ;   in Loop: Header=BB936_418 Depth=2
	ds_load_u16 v62, v94 offset:2048
	s_wait_dscnt 0x0
	v_lshrrev_b32_e32 v62, s43, v62
	s_delay_alu instid0(VALU_DEP_1)
	v_and_b32_e32 v135, s48, v62
	s_or_b32 exec_lo, exec_lo, s34
	s_and_saveexec_b32 s34, s20
	s_cbranch_execz .LBB936_542
.LBB936_612:                            ;   in Loop: Header=BB936_418 Depth=2
	ds_load_u16 v62, v94 offset:2560
	s_wait_dscnt 0x0
	v_lshrrev_b32_e32 v62, s43, v62
	s_delay_alu instid0(VALU_DEP_1)
	v_and_b32_e32 v134, s48, v62
	s_or_b32 exec_lo, exec_lo, s34
	s_and_saveexec_b32 s34, s21
	s_cbranch_execz .LBB936_543
.LBB936_613:                            ;   in Loop: Header=BB936_418 Depth=2
	ds_load_u16 v62, v94 offset:3072
	s_wait_dscnt 0x0
	v_lshrrev_b32_e32 v62, s43, v62
	s_delay_alu instid0(VALU_DEP_1)
	v_and_b32_e32 v133, s48, v62
	s_or_b32 exec_lo, exec_lo, s34
	s_and_saveexec_b32 s34, s22
	s_cbranch_execz .LBB936_544
.LBB936_614:                            ;   in Loop: Header=BB936_418 Depth=2
	ds_load_u16 v62, v94 offset:3584
	s_wait_dscnt 0x0
	v_lshrrev_b32_e32 v62, s43, v62
	s_delay_alu instid0(VALU_DEP_1)
	v_and_b32_e32 v132, s48, v62
	s_or_b32 exec_lo, exec_lo, s34
	s_and_saveexec_b32 s34, s23
	s_cbranch_execz .LBB936_545
.LBB936_615:                            ;   in Loop: Header=BB936_418 Depth=2
	ds_load_u16 v62, v94 offset:4096
	s_wait_dscnt 0x0
	v_lshrrev_b32_e32 v62, s43, v62
	s_delay_alu instid0(VALU_DEP_1)
	v_and_b32_e32 v131, s48, v62
	s_or_b32 exec_lo, exec_lo, s34
	s_and_saveexec_b32 s34, s24
	s_cbranch_execz .LBB936_546
.LBB936_616:                            ;   in Loop: Header=BB936_418 Depth=2
	ds_load_u16 v62, v94 offset:4608
	s_wait_dscnt 0x0
	v_lshrrev_b32_e32 v62, s43, v62
	s_delay_alu instid0(VALU_DEP_1)
	v_and_b32_e32 v130, s48, v62
	s_or_b32 exec_lo, exec_lo, s34
	s_and_saveexec_b32 s34, s25
	s_cbranch_execz .LBB936_547
.LBB936_617:                            ;   in Loop: Header=BB936_418 Depth=2
	ds_load_u16 v62, v94 offset:5120
	s_wait_dscnt 0x0
	v_lshrrev_b32_e32 v62, s43, v62
	s_delay_alu instid0(VALU_DEP_1)
	v_and_b32_e32 v129, s48, v62
	s_or_b32 exec_lo, exec_lo, s34
	s_and_saveexec_b32 s34, s26
	s_cbranch_execz .LBB936_548
.LBB936_618:                            ;   in Loop: Header=BB936_418 Depth=2
	ds_load_u16 v62, v94 offset:5632
	s_wait_dscnt 0x0
	v_lshrrev_b32_e32 v62, s43, v62
	s_delay_alu instid0(VALU_DEP_1)
	v_and_b32_e32 v128, s48, v62
	s_or_b32 exec_lo, exec_lo, s34
	s_and_saveexec_b32 s34, s27
	s_cbranch_execz .LBB936_549
.LBB936_619:                            ;   in Loop: Header=BB936_418 Depth=2
	ds_load_u16 v62, v94 offset:6144
	s_wait_dscnt 0x0
	v_lshrrev_b32_e32 v62, s43, v62
	s_delay_alu instid0(VALU_DEP_1)
	v_and_b32_e32 v127, s48, v62
	s_or_b32 exec_lo, exec_lo, s34
	s_and_saveexec_b32 s34, s28
	s_cbranch_execz .LBB936_550
.LBB936_620:                            ;   in Loop: Header=BB936_418 Depth=2
	ds_load_u16 v62, v94 offset:6656
	s_wait_dscnt 0x0
	v_lshrrev_b32_e32 v62, s43, v62
	s_delay_alu instid0(VALU_DEP_1)
	v_and_b32_e32 v126, s48, v62
	s_or_b32 exec_lo, exec_lo, s34
	s_and_saveexec_b32 s34, s29
	s_cbranch_execz .LBB936_551
.LBB936_621:                            ;   in Loop: Header=BB936_418 Depth=2
	ds_load_u16 v62, v94 offset:7168
	s_wait_dscnt 0x0
	v_lshrrev_b32_e32 v62, s43, v62
	s_delay_alu instid0(VALU_DEP_1)
	v_and_b32_e32 v125, s48, v62
	s_or_b32 exec_lo, exec_lo, s34
	s_and_saveexec_b32 s34, s30
	s_cbranch_execz .LBB936_552
.LBB936_622:                            ;   in Loop: Header=BB936_418 Depth=2
	ds_load_u16 v62, v94 offset:7680
	s_wait_dscnt 0x0
	v_lshrrev_b32_e32 v62, s43, v62
	s_delay_alu instid0(VALU_DEP_1)
	v_and_b32_e32 v124, s48, v62
	s_or_b32 exec_lo, exec_lo, s34
	s_and_saveexec_b32 s34, s31
	s_cbranch_execz .LBB936_553
.LBB936_623:                            ;   in Loop: Header=BB936_418 Depth=2
	ds_load_u16 v62, v94 offset:8192
	s_wait_dscnt 0x0
	v_lshrrev_b32_e32 v62, s43, v62
	s_delay_alu instid0(VALU_DEP_1)
	v_and_b32_e32 v123, s48, v62
	s_or_b32 exec_lo, exec_lo, s34
	s_and_saveexec_b32 s34, s33
	s_cbranch_execnz .LBB936_554
	s_branch .LBB936_555
.LBB936_624:                            ;   in Loop: Header=BB936_418 Depth=2
	v_lshlrev_b32_e32 v62, 2, v139
	v_add_nc_u32_e32 v63, v94, v95
	ds_load_b32 v64, v62
	ds_load_b64 v[62:63], v63 offset:512
	s_wait_dscnt 0x1
	v_add_nc_u32_e32 v64, v64, v2
	s_wait_dscnt 0x0
	global_store_b64 v64, v[62:63], s[46:47] scale_offset
	s_wait_xcnt 0x0
	s_or_b32 exec_lo, exec_lo, s34
	s_and_saveexec_b32 s34, s17
	s_cbranch_execz .LBB936_557
.LBB936_625:                            ;   in Loop: Header=BB936_418 Depth=2
	v_dual_lshlrev_b32 v62, 2, v138 :: v_dual_add_nc_u32 v63, v94, v95
	ds_load_b32 v64, v62
	ds_load_b64 v[62:63], v63 offset:2560
	s_wait_dscnt 0x1
	v_add_nc_u32_e32 v64, v64, v66
	s_wait_dscnt 0x0
	global_store_b64 v64, v[62:63], s[46:47] scale_offset
	s_wait_xcnt 0x0
	s_or_b32 exec_lo, exec_lo, s34
	s_and_saveexec_b32 s17, s18
	s_cbranch_execz .LBB936_558
.LBB936_626:                            ;   in Loop: Header=BB936_418 Depth=2
	v_dual_lshlrev_b32 v62, 2, v136 :: v_dual_add_nc_u32 v63, v94, v95
	ds_load_b32 v64, v62
	ds_load_b64 v[62:63], v63 offset:4608
	s_wait_dscnt 0x1
	v_add_nc_u32_e32 v64, v64, v67
	s_wait_dscnt 0x0
	global_store_b64 v64, v[62:63], s[46:47] scale_offset
	s_wait_xcnt 0x0
	s_or_b32 exec_lo, exec_lo, s17
	s_and_saveexec_b32 s17, s19
	s_cbranch_execz .LBB936_559
.LBB936_627:                            ;   in Loop: Header=BB936_418 Depth=2
	v_lshlrev_b32_e32 v62, 2, v135
	v_add_nc_u32_e32 v63, v94, v95
	ds_load_b32 v64, v62
	ds_load_b64 v[62:63], v63 offset:6656
	s_wait_dscnt 0x1
	v_add_nc_u32_e32 v64, v64, v68
	s_wait_dscnt 0x0
	global_store_b64 v64, v[62:63], s[46:47] scale_offset
	s_wait_xcnt 0x0
	s_or_b32 exec_lo, exec_lo, s17
	s_and_saveexec_b32 s17, s20
	s_cbranch_execz .LBB936_560
.LBB936_628:                            ;   in Loop: Header=BB936_418 Depth=2
	v_dual_lshlrev_b32 v62, 2, v134 :: v_dual_add_nc_u32 v63, v94, v95
	ds_load_b32 v64, v62
	ds_load_b64 v[62:63], v63 offset:8704
	s_wait_dscnt 0x1
	v_add_nc_u32_e32 v64, v64, v69
	s_wait_dscnt 0x0
	global_store_b64 v64, v[62:63], s[46:47] scale_offset
	s_wait_xcnt 0x0
	s_or_b32 exec_lo, exec_lo, s17
	s_and_saveexec_b32 s17, s21
	s_cbranch_execz .LBB936_561
.LBB936_629:                            ;   in Loop: Header=BB936_418 Depth=2
	v_dual_lshlrev_b32 v62, 2, v133 :: v_dual_add_nc_u32 v63, v94, v95
	ds_load_b32 v64, v62
	ds_load_b64 v[62:63], v63 offset:10752
	s_wait_dscnt 0x1
	v_add_nc_u32_e32 v64, v64, v70
	s_wait_dscnt 0x0
	global_store_b64 v64, v[62:63], s[46:47] scale_offset
	s_wait_xcnt 0x0
	s_or_b32 exec_lo, exec_lo, s17
	s_and_saveexec_b32 s17, s22
	s_cbranch_execz .LBB936_562
.LBB936_630:                            ;   in Loop: Header=BB936_418 Depth=2
	v_dual_lshlrev_b32 v62, 2, v132 :: v_dual_add_nc_u32 v63, v94, v95
	ds_load_b32 v64, v62
	ds_load_b64 v[62:63], v63 offset:12800
	s_wait_dscnt 0x1
	v_add_nc_u32_e32 v64, v64, v71
	s_wait_dscnt 0x0
	global_store_b64 v64, v[62:63], s[46:47] scale_offset
	s_wait_xcnt 0x0
	s_or_b32 exec_lo, exec_lo, s17
	s_and_saveexec_b32 s17, s23
	s_cbranch_execz .LBB936_563
.LBB936_631:                            ;   in Loop: Header=BB936_418 Depth=2
	v_lshlrev_b32_e32 v62, 2, v131
	v_add_nc_u32_e32 v63, v94, v95
	ds_load_b32 v64, v62
	ds_load_b64 v[62:63], v63 offset:14848
	s_wait_dscnt 0x1
	v_add_nc_u32_e32 v64, v64, v72
	s_wait_dscnt 0x0
	global_store_b64 v64, v[62:63], s[46:47] scale_offset
	s_wait_xcnt 0x0
	s_or_b32 exec_lo, exec_lo, s17
	s_and_saveexec_b32 s17, s24
	s_cbranch_execz .LBB936_564
.LBB936_632:                            ;   in Loop: Header=BB936_418 Depth=2
	v_dual_lshlrev_b32 v62, 2, v130 :: v_dual_add_nc_u32 v63, v94, v95
	ds_load_b32 v64, v62
	ds_load_b64 v[62:63], v63 offset:16896
	s_wait_dscnt 0x1
	v_add_nc_u32_e32 v64, v64, v73
	s_wait_dscnt 0x0
	global_store_b64 v64, v[62:63], s[46:47] scale_offset
	s_wait_xcnt 0x0
	s_or_b32 exec_lo, exec_lo, s17
	s_and_saveexec_b32 s17, s25
	s_cbranch_execz .LBB936_565
.LBB936_633:                            ;   in Loop: Header=BB936_418 Depth=2
	v_dual_lshlrev_b32 v62, 2, v129 :: v_dual_add_nc_u32 v63, v94, v95
	ds_load_b32 v64, v62
	ds_load_b64 v[62:63], v63 offset:18944
	s_wait_dscnt 0x1
	v_add_nc_u32_e32 v64, v64, v74
	s_wait_dscnt 0x0
	global_store_b64 v64, v[62:63], s[46:47] scale_offset
	s_wait_xcnt 0x0
	s_or_b32 exec_lo, exec_lo, s17
	s_and_saveexec_b32 s17, s26
	s_cbranch_execz .LBB936_566
.LBB936_634:                            ;   in Loop: Header=BB936_418 Depth=2
	v_dual_lshlrev_b32 v62, 2, v128 :: v_dual_add_nc_u32 v63, v94, v95
	ds_load_b32 v64, v62
	ds_load_b64 v[62:63], v63 offset:20992
	s_wait_dscnt 0x1
	v_add_nc_u32_e32 v64, v64, v75
	s_wait_dscnt 0x0
	global_store_b64 v64, v[62:63], s[46:47] scale_offset
	s_wait_xcnt 0x0
	s_or_b32 exec_lo, exec_lo, s17
	s_and_saveexec_b32 s17, s27
	s_cbranch_execz .LBB936_567
.LBB936_635:                            ;   in Loop: Header=BB936_418 Depth=2
	v_lshlrev_b32_e32 v62, 2, v127
	v_add_nc_u32_e32 v63, v94, v95
	ds_load_b32 v64, v62
	ds_load_b64 v[62:63], v63 offset:23040
	s_wait_dscnt 0x1
	v_add_nc_u32_e32 v64, v64, v76
	s_wait_dscnt 0x0
	global_store_b64 v64, v[62:63], s[46:47] scale_offset
	s_wait_xcnt 0x0
	s_or_b32 exec_lo, exec_lo, s17
	s_and_saveexec_b32 s17, s28
	s_cbranch_execz .LBB936_568
.LBB936_636:                            ;   in Loop: Header=BB936_418 Depth=2
	v_dual_lshlrev_b32 v62, 2, v126 :: v_dual_add_nc_u32 v63, v94, v95
	ds_load_b32 v64, v62
	ds_load_b64 v[62:63], v63 offset:25088
	s_wait_dscnt 0x1
	v_add_nc_u32_e32 v64, v64, v77
	s_wait_dscnt 0x0
	global_store_b64 v64, v[62:63], s[46:47] scale_offset
	s_wait_xcnt 0x0
	s_or_b32 exec_lo, exec_lo, s17
	s_and_saveexec_b32 s17, s29
	s_cbranch_execz .LBB936_569
.LBB936_637:                            ;   in Loop: Header=BB936_418 Depth=2
	v_dual_lshlrev_b32 v62, 2, v125 :: v_dual_add_nc_u32 v63, v94, v95
	ds_load_b32 v64, v62
	ds_load_b64 v[62:63], v63 offset:27136
	s_wait_dscnt 0x1
	v_add_nc_u32_e32 v64, v64, v78
	s_wait_dscnt 0x0
	global_store_b64 v64, v[62:63], s[46:47] scale_offset
	s_wait_xcnt 0x0
	s_or_b32 exec_lo, exec_lo, s17
	s_and_saveexec_b32 s17, s30
	s_cbranch_execz .LBB936_570
.LBB936_638:                            ;   in Loop: Header=BB936_418 Depth=2
	v_dual_lshlrev_b32 v62, 2, v124 :: v_dual_add_nc_u32 v63, v94, v95
	ds_load_b32 v64, v62
	ds_load_b64 v[62:63], v63 offset:29184
	s_wait_dscnt 0x1
	v_add_nc_u32_e32 v64, v64, v79
	s_wait_dscnt 0x0
	global_store_b64 v64, v[62:63], s[46:47] scale_offset
	s_wait_xcnt 0x0
	s_or_b32 exec_lo, exec_lo, s17
	s_and_saveexec_b32 s17, s31
	s_cbranch_execz .LBB936_571
.LBB936_639:                            ;   in Loop: Header=BB936_418 Depth=2
	v_lshlrev_b32_e32 v62, 2, v123
	v_add_nc_u32_e32 v63, v94, v95
	ds_load_b32 v64, v62
	ds_load_b64 v[62:63], v63 offset:31232
	s_wait_dscnt 0x1
	v_add_nc_u32_e32 v64, v64, v80
	s_wait_dscnt 0x0
	global_store_b64 v64, v[62:63], s[46:47] scale_offset
	s_wait_xcnt 0x0
	s_or_b32 exec_lo, exec_lo, s17
	s_and_saveexec_b32 s17, s33
	s_cbranch_execnz .LBB936_572
	s_branch .LBB936_573
.LBB936_640:                            ;   in Loop: Header=BB936_20 Depth=1
	s_wait_dscnt 0x0
	s_barrier_signal -1
	s_barrier_wait -1
.LBB936_641:                            ;   in Loop: Header=BB936_20 Depth=1
	s_mov_b32 s9, 0
.LBB936_642:                            ;   in Loop: Header=BB936_20 Depth=1
	s_delay_alu instid0(SALU_CYCLE_1)
	s_and_not1_b32 vcc_lo, exec_lo, s9
	s_cbranch_vccnz .LBB936_19
; %bb.643:                              ;   in Loop: Header=BB936_20 Depth=1
	s_and_b32 vcc_lo, exec_lo, s56
	s_mov_b32 s9, -1
	s_cbranch_vccz .LBB936_953
; %bb.644:                              ;   in Loop: Header=BB936_20 Depth=1
	s_mov_b32 s9, s57
	s_mov_b32 s34, s55
	s_barrier_signal -1
	s_barrier_wait -1
                                        ; implicit-def: $vgpr23
                                        ; implicit-def: $vgpr24
                                        ; implicit-def: $vgpr25
                                        ; implicit-def: $vgpr26
                                        ; implicit-def: $vgpr27
                                        ; implicit-def: $vgpr28
                                        ; implicit-def: $vgpr29
                                        ; implicit-def: $vgpr30
                                        ; implicit-def: $vgpr31
                                        ; implicit-def: $vgpr32
                                        ; implicit-def: $vgpr33
                                        ; implicit-def: $vgpr34
                                        ; implicit-def: $vgpr35
                                        ; implicit-def: $vgpr36
                                        ; implicit-def: $vgpr37
                                        ; implicit-def: $vgpr38
                                        ; implicit-def: $vgpr39
	s_branch .LBB936_646
.LBB936_645:                            ;   in Loop: Header=BB936_646 Depth=2
	s_or_b32 exec_lo, exec_lo, s10
	s_addk_co_i32 s9, 0xef00
	s_cmp_ge_u32 s12, s54
	s_mov_b32 s34, s12
	s_cbranch_scc1 .LBB936_718
.LBB936_646:                            ;   Parent Loop BB936_20 Depth=1
                                        ; =>  This Inner Loop Header: Depth=2
	s_add_co_i32 s12, s34, 0x1100
	s_mov_b32 s10, -1
	s_cmp_gt_u32 s12, s54
                                        ; implicit-def: $vgpr40
                                        ; implicit-def: $vgpr41
                                        ; implicit-def: $vgpr42
                                        ; implicit-def: $vgpr43
                                        ; implicit-def: $vgpr44
                                        ; implicit-def: $vgpr45
                                        ; implicit-def: $vgpr46
                                        ; implicit-def: $vgpr47
                                        ; implicit-def: $vgpr48
                                        ; implicit-def: $vgpr49
                                        ; implicit-def: $vgpr50
                                        ; implicit-def: $vgpr51
                                        ; implicit-def: $vgpr52
                                        ; implicit-def: $vgpr53
                                        ; implicit-def: $vgpr54
                                        ; implicit-def: $vgpr55
                                        ; implicit-def: $vgpr56
	s_cbranch_scc1 .LBB936_648
; %bb.647:                              ;   in Loop: Header=BB936_646 Depth=2
	v_lshl_add_u64 v[58:59], s[34:35], 1, v[16:17]
	s_mov_b32 s10, 0
	s_clause 0x10
	global_load_u16 v40, v[58:59], off
	global_load_u16 v41, v[58:59], off offset:512
	global_load_u16 v42, v[58:59], off offset:1024
	;; [unrolled: 1-line block ×16, first 2 shown]
.LBB936_648:                            ;   in Loop: Header=BB936_646 Depth=2
	s_and_not1_b32 vcc_lo, exec_lo, s10
	s_movk_i32 s10, 0x1100
	s_cbranch_vccnz .LBB936_668
; %bb.649:                              ;   in Loop: Header=BB936_646 Depth=2
	s_lshl_b64 s[10:11], s[34:35], 1
	s_mov_b32 s13, exec_lo
	s_add_nc_u64 s[10:11], s[36:37], s[10:11]
	s_wait_xcnt 0x0
	v_cmpx_gt_u32_e64 s9, v2
	s_cbranch_execnz .LBB936_702
; %bb.650:                              ;   in Loop: Header=BB936_646 Depth=2
	s_or_b32 exec_lo, exec_lo, s13
	s_delay_alu instid0(SALU_CYCLE_1)
	s_mov_b32 s13, exec_lo
	v_cmpx_gt_u32_e64 s9, v66
	s_cbranch_execnz .LBB936_703
.LBB936_651:                            ;   in Loop: Header=BB936_646 Depth=2
	s_or_b32 exec_lo, exec_lo, s13
	s_delay_alu instid0(SALU_CYCLE_1)
	s_mov_b32 s13, exec_lo
	v_cmpx_gt_u32_e64 s9, v67
	s_cbranch_execnz .LBB936_704
.LBB936_652:                            ;   in Loop: Header=BB936_646 Depth=2
	s_or_b32 exec_lo, exec_lo, s13
	s_delay_alu instid0(SALU_CYCLE_1)
	s_mov_b32 s13, exec_lo
	v_cmpx_gt_u32_e64 s9, v68
	s_cbranch_execnz .LBB936_705
.LBB936_653:                            ;   in Loop: Header=BB936_646 Depth=2
	s_or_b32 exec_lo, exec_lo, s13
	s_delay_alu instid0(SALU_CYCLE_1)
	s_mov_b32 s13, exec_lo
	v_cmpx_gt_u32_e64 s9, v69
	s_cbranch_execnz .LBB936_706
.LBB936_654:                            ;   in Loop: Header=BB936_646 Depth=2
	s_or_b32 exec_lo, exec_lo, s13
	s_delay_alu instid0(SALU_CYCLE_1)
	s_mov_b32 s13, exec_lo
	v_cmpx_gt_u32_e64 s9, v70
	s_cbranch_execnz .LBB936_707
.LBB936_655:                            ;   in Loop: Header=BB936_646 Depth=2
	s_or_b32 exec_lo, exec_lo, s13
	s_delay_alu instid0(SALU_CYCLE_1)
	s_mov_b32 s13, exec_lo
	v_cmpx_gt_u32_e64 s9, v71
	s_cbranch_execnz .LBB936_708
.LBB936_656:                            ;   in Loop: Header=BB936_646 Depth=2
	s_or_b32 exec_lo, exec_lo, s13
	s_delay_alu instid0(SALU_CYCLE_1)
	s_mov_b32 s13, exec_lo
	v_cmpx_gt_u32_e64 s9, v72
	s_cbranch_execnz .LBB936_709
.LBB936_657:                            ;   in Loop: Header=BB936_646 Depth=2
	s_or_b32 exec_lo, exec_lo, s13
	s_delay_alu instid0(SALU_CYCLE_1)
	s_mov_b32 s13, exec_lo
	v_cmpx_gt_u32_e64 s9, v73
	s_cbranch_execnz .LBB936_710
.LBB936_658:                            ;   in Loop: Header=BB936_646 Depth=2
	s_or_b32 exec_lo, exec_lo, s13
	s_delay_alu instid0(SALU_CYCLE_1)
	s_mov_b32 s13, exec_lo
	v_cmpx_gt_u32_e64 s9, v74
	s_cbranch_execnz .LBB936_711
.LBB936_659:                            ;   in Loop: Header=BB936_646 Depth=2
	s_or_b32 exec_lo, exec_lo, s13
	s_delay_alu instid0(SALU_CYCLE_1)
	s_mov_b32 s13, exec_lo
	v_cmpx_gt_u32_e64 s9, v75
	s_cbranch_execnz .LBB936_712
.LBB936_660:                            ;   in Loop: Header=BB936_646 Depth=2
	s_or_b32 exec_lo, exec_lo, s13
	s_delay_alu instid0(SALU_CYCLE_1)
	s_mov_b32 s13, exec_lo
	v_cmpx_gt_u32_e64 s9, v76
	s_cbranch_execnz .LBB936_713
.LBB936_661:                            ;   in Loop: Header=BB936_646 Depth=2
	s_or_b32 exec_lo, exec_lo, s13
	s_delay_alu instid0(SALU_CYCLE_1)
	s_mov_b32 s13, exec_lo
	v_cmpx_gt_u32_e64 s9, v77
	s_cbranch_execnz .LBB936_714
.LBB936_662:                            ;   in Loop: Header=BB936_646 Depth=2
	s_or_b32 exec_lo, exec_lo, s13
	s_delay_alu instid0(SALU_CYCLE_1)
	s_mov_b32 s13, exec_lo
	v_cmpx_gt_u32_e64 s9, v78
	s_cbranch_execnz .LBB936_715
.LBB936_663:                            ;   in Loop: Header=BB936_646 Depth=2
	s_or_b32 exec_lo, exec_lo, s13
	s_delay_alu instid0(SALU_CYCLE_1)
	s_mov_b32 s13, exec_lo
	v_cmpx_gt_u32_e64 s9, v79
	s_cbranch_execnz .LBB936_716
.LBB936_664:                            ;   in Loop: Header=BB936_646 Depth=2
	s_or_b32 exec_lo, exec_lo, s13
	s_delay_alu instid0(SALU_CYCLE_1)
	s_mov_b32 s13, exec_lo
	v_cmpx_gt_u32_e64 s9, v80
	s_cbranch_execnz .LBB936_717
.LBB936_665:                            ;   in Loop: Header=BB936_646 Depth=2
	s_or_b32 exec_lo, exec_lo, s13
	s_delay_alu instid0(SALU_CYCLE_1)
	s_mov_b32 s13, exec_lo
	v_cmpx_gt_u32_e64 s9, v81
	s_cbranch_execz .LBB936_667
.LBB936_666:                            ;   in Loop: Header=BB936_646 Depth=2
	global_load_u16 v23, v2, s[10:11] offset:8192 scale_offset
.LBB936_667:                            ;   in Loop: Header=BB936_646 Depth=2
	s_wait_xcnt 0x0
	s_or_b32 exec_lo, exec_lo, s13
	s_wait_loadcnt 0x0
	v_dual_mov_b32 v40, v39 :: v_dual_mov_b32 v41, v38
	v_dual_mov_b32 v42, v37 :: v_dual_mov_b32 v43, v36
	;; [unrolled: 1-line block ×8, first 2 shown]
	v_mov_b32_e32 v56, v23
	s_mov_b32 s10, s9
.LBB936_668:                            ;   in Loop: Header=BB936_646 Depth=2
	s_wait_loadcnt 0x0
	s_delay_alu instid0(VALU_DEP_1)
	v_dual_mov_b32 v23, v56 :: v_dual_mov_b32 v24, v55
	v_dual_mov_b32 v25, v54 :: v_dual_mov_b32 v26, v53
	;; [unrolled: 1-line block ×8, first 2 shown]
	v_mov_b32_e32 v39, v40
	s_mov_b32 s11, exec_lo
	s_wait_xcnt 0x0
	v_cmpx_gt_u32_e64 s10, v2
	s_cbranch_execnz .LBB936_685
; %bb.669:                              ;   in Loop: Header=BB936_646 Depth=2
	s_or_b32 exec_lo, exec_lo, s11
	s_delay_alu instid0(SALU_CYCLE_1)
	s_mov_b32 s11, exec_lo
	v_cmpx_gt_u32_e64 s10, v66
	s_cbranch_execnz .LBB936_686
.LBB936_670:                            ;   in Loop: Header=BB936_646 Depth=2
	s_or_b32 exec_lo, exec_lo, s11
	s_delay_alu instid0(SALU_CYCLE_1)
	s_mov_b32 s11, exec_lo
	v_cmpx_gt_u32_e64 s10, v67
	s_cbranch_execnz .LBB936_687
.LBB936_671:                            ;   in Loop: Header=BB936_646 Depth=2
	s_or_b32 exec_lo, exec_lo, s11
	s_delay_alu instid0(SALU_CYCLE_1)
	s_mov_b32 s11, exec_lo
	v_cmpx_gt_u32_e64 s10, v68
	s_cbranch_execnz .LBB936_688
.LBB936_672:                            ;   in Loop: Header=BB936_646 Depth=2
	s_or_b32 exec_lo, exec_lo, s11
	s_delay_alu instid0(SALU_CYCLE_1)
	s_mov_b32 s11, exec_lo
	v_cmpx_gt_u32_e64 s10, v69
	s_cbranch_execnz .LBB936_689
.LBB936_673:                            ;   in Loop: Header=BB936_646 Depth=2
	s_or_b32 exec_lo, exec_lo, s11
	s_delay_alu instid0(SALU_CYCLE_1)
	s_mov_b32 s11, exec_lo
	v_cmpx_gt_u32_e64 s10, v70
	s_cbranch_execnz .LBB936_690
.LBB936_674:                            ;   in Loop: Header=BB936_646 Depth=2
	s_or_b32 exec_lo, exec_lo, s11
	s_delay_alu instid0(SALU_CYCLE_1)
	s_mov_b32 s11, exec_lo
	v_cmpx_gt_u32_e64 s10, v71
	s_cbranch_execnz .LBB936_691
.LBB936_675:                            ;   in Loop: Header=BB936_646 Depth=2
	s_or_b32 exec_lo, exec_lo, s11
	s_delay_alu instid0(SALU_CYCLE_1)
	s_mov_b32 s11, exec_lo
	v_cmpx_gt_u32_e64 s10, v72
	s_cbranch_execnz .LBB936_692
.LBB936_676:                            ;   in Loop: Header=BB936_646 Depth=2
	s_or_b32 exec_lo, exec_lo, s11
	s_delay_alu instid0(SALU_CYCLE_1)
	s_mov_b32 s11, exec_lo
	v_cmpx_gt_u32_e64 s10, v73
	s_cbranch_execnz .LBB936_693
.LBB936_677:                            ;   in Loop: Header=BB936_646 Depth=2
	s_or_b32 exec_lo, exec_lo, s11
	s_delay_alu instid0(SALU_CYCLE_1)
	s_mov_b32 s11, exec_lo
	v_cmpx_gt_u32_e64 s10, v74
	s_cbranch_execnz .LBB936_694
.LBB936_678:                            ;   in Loop: Header=BB936_646 Depth=2
	s_or_b32 exec_lo, exec_lo, s11
	s_delay_alu instid0(SALU_CYCLE_1)
	s_mov_b32 s11, exec_lo
	v_cmpx_gt_u32_e64 s10, v75
	s_cbranch_execnz .LBB936_695
.LBB936_679:                            ;   in Loop: Header=BB936_646 Depth=2
	s_or_b32 exec_lo, exec_lo, s11
	s_delay_alu instid0(SALU_CYCLE_1)
	s_mov_b32 s11, exec_lo
	v_cmpx_gt_u32_e64 s10, v76
	s_cbranch_execnz .LBB936_696
.LBB936_680:                            ;   in Loop: Header=BB936_646 Depth=2
	s_or_b32 exec_lo, exec_lo, s11
	s_delay_alu instid0(SALU_CYCLE_1)
	s_mov_b32 s11, exec_lo
	v_cmpx_gt_u32_e64 s10, v77
	s_cbranch_execnz .LBB936_697
.LBB936_681:                            ;   in Loop: Header=BB936_646 Depth=2
	s_or_b32 exec_lo, exec_lo, s11
	s_delay_alu instid0(SALU_CYCLE_1)
	s_mov_b32 s11, exec_lo
	v_cmpx_gt_u32_e64 s10, v78
	s_cbranch_execnz .LBB936_698
.LBB936_682:                            ;   in Loop: Header=BB936_646 Depth=2
	s_or_b32 exec_lo, exec_lo, s11
	s_delay_alu instid0(SALU_CYCLE_1)
	s_mov_b32 s11, exec_lo
	v_cmpx_gt_u32_e64 s10, v79
	s_cbranch_execnz .LBB936_699
.LBB936_683:                            ;   in Loop: Header=BB936_646 Depth=2
	s_or_b32 exec_lo, exec_lo, s11
	s_delay_alu instid0(SALU_CYCLE_1)
	s_mov_b32 s11, exec_lo
	v_cmpx_gt_u32_e64 s10, v80
	s_cbranch_execnz .LBB936_700
.LBB936_684:                            ;   in Loop: Header=BB936_646 Depth=2
	s_or_b32 exec_lo, exec_lo, s11
	v_cmp_gt_u32_e32 vcc_lo, s10, v81
	s_and_saveexec_b32 s10, vcc_lo
	s_cbranch_execz .LBB936_645
	s_branch .LBB936_701
.LBB936_685:                            ;   in Loop: Header=BB936_646 Depth=2
	v_xor_b32_e32 v40, 0x7fff, v39
	s_delay_alu instid0(VALU_DEP_1) | instskip(NEXT) | instid1(VALU_DEP_1)
	v_and_b32_e32 v40, 0xffff, v40
	v_lshrrev_b32_e32 v40, s49, v40
	s_delay_alu instid0(VALU_DEP_1) | instskip(NEXT) | instid1(VALU_DEP_1)
	v_and_b32_e32 v40, s48, v40
	v_lshl_or_b32 v40, v40, 4, v83
	ds_add_u32 v40, v97
	s_or_b32 exec_lo, exec_lo, s11
	s_delay_alu instid0(SALU_CYCLE_1)
	s_mov_b32 s11, exec_lo
	v_cmpx_gt_u32_e64 s10, v66
	s_cbranch_execz .LBB936_670
.LBB936_686:                            ;   in Loop: Header=BB936_646 Depth=2
	v_xor_b32_e32 v40, 0x7fff, v38
	s_delay_alu instid0(VALU_DEP_1) | instskip(NEXT) | instid1(VALU_DEP_1)
	v_and_b32_e32 v40, 0xffff, v40
	v_lshrrev_b32_e32 v40, s49, v40
	s_delay_alu instid0(VALU_DEP_1) | instskip(NEXT) | instid1(VALU_DEP_1)
	v_and_b32_e32 v40, s48, v40
	v_lshl_or_b32 v40, v40, 4, v83
	ds_add_u32 v40, v97
	s_or_b32 exec_lo, exec_lo, s11
	s_delay_alu instid0(SALU_CYCLE_1)
	s_mov_b32 s11, exec_lo
	v_cmpx_gt_u32_e64 s10, v67
	s_cbranch_execz .LBB936_671
.LBB936_687:                            ;   in Loop: Header=BB936_646 Depth=2
	v_xor_b32_e32 v40, 0x7fff, v37
	s_delay_alu instid0(VALU_DEP_1) | instskip(NEXT) | instid1(VALU_DEP_1)
	v_and_b32_e32 v40, 0xffff, v40
	v_lshrrev_b32_e32 v40, s49, v40
	s_delay_alu instid0(VALU_DEP_1) | instskip(NEXT) | instid1(VALU_DEP_1)
	v_and_b32_e32 v40, s48, v40
	v_lshl_or_b32 v40, v40, 4, v83
	ds_add_u32 v40, v97
	s_or_b32 exec_lo, exec_lo, s11
	s_delay_alu instid0(SALU_CYCLE_1)
	s_mov_b32 s11, exec_lo
	v_cmpx_gt_u32_e64 s10, v68
	s_cbranch_execz .LBB936_672
.LBB936_688:                            ;   in Loop: Header=BB936_646 Depth=2
	v_xor_b32_e32 v40, 0x7fff, v36
	s_delay_alu instid0(VALU_DEP_1) | instskip(NEXT) | instid1(VALU_DEP_1)
	v_and_b32_e32 v40, 0xffff, v40
	v_lshrrev_b32_e32 v40, s49, v40
	s_delay_alu instid0(VALU_DEP_1) | instskip(NEXT) | instid1(VALU_DEP_1)
	v_and_b32_e32 v40, s48, v40
	v_lshl_or_b32 v40, v40, 4, v83
	ds_add_u32 v40, v97
	s_or_b32 exec_lo, exec_lo, s11
	s_delay_alu instid0(SALU_CYCLE_1)
	s_mov_b32 s11, exec_lo
	v_cmpx_gt_u32_e64 s10, v69
	s_cbranch_execz .LBB936_673
.LBB936_689:                            ;   in Loop: Header=BB936_646 Depth=2
	v_xor_b32_e32 v40, 0x7fff, v35
	s_delay_alu instid0(VALU_DEP_1) | instskip(NEXT) | instid1(VALU_DEP_1)
	v_and_b32_e32 v40, 0xffff, v40
	v_lshrrev_b32_e32 v40, s49, v40
	s_delay_alu instid0(VALU_DEP_1) | instskip(NEXT) | instid1(VALU_DEP_1)
	v_and_b32_e32 v40, s48, v40
	v_lshl_or_b32 v40, v40, 4, v83
	ds_add_u32 v40, v97
	s_or_b32 exec_lo, exec_lo, s11
	s_delay_alu instid0(SALU_CYCLE_1)
	s_mov_b32 s11, exec_lo
	v_cmpx_gt_u32_e64 s10, v70
	s_cbranch_execz .LBB936_674
.LBB936_690:                            ;   in Loop: Header=BB936_646 Depth=2
	v_xor_b32_e32 v40, 0x7fff, v34
	s_delay_alu instid0(VALU_DEP_1) | instskip(NEXT) | instid1(VALU_DEP_1)
	v_and_b32_e32 v40, 0xffff, v40
	v_lshrrev_b32_e32 v40, s49, v40
	s_delay_alu instid0(VALU_DEP_1) | instskip(NEXT) | instid1(VALU_DEP_1)
	v_and_b32_e32 v40, s48, v40
	v_lshl_or_b32 v40, v40, 4, v83
	ds_add_u32 v40, v97
	s_or_b32 exec_lo, exec_lo, s11
	s_delay_alu instid0(SALU_CYCLE_1)
	s_mov_b32 s11, exec_lo
	v_cmpx_gt_u32_e64 s10, v71
	s_cbranch_execz .LBB936_675
.LBB936_691:                            ;   in Loop: Header=BB936_646 Depth=2
	v_xor_b32_e32 v40, 0x7fff, v33
	s_delay_alu instid0(VALU_DEP_1) | instskip(NEXT) | instid1(VALU_DEP_1)
	v_and_b32_e32 v40, 0xffff, v40
	v_lshrrev_b32_e32 v40, s49, v40
	s_delay_alu instid0(VALU_DEP_1) | instskip(NEXT) | instid1(VALU_DEP_1)
	v_and_b32_e32 v40, s48, v40
	v_lshl_or_b32 v40, v40, 4, v83
	ds_add_u32 v40, v97
	s_or_b32 exec_lo, exec_lo, s11
	s_delay_alu instid0(SALU_CYCLE_1)
	s_mov_b32 s11, exec_lo
	v_cmpx_gt_u32_e64 s10, v72
	s_cbranch_execz .LBB936_676
.LBB936_692:                            ;   in Loop: Header=BB936_646 Depth=2
	v_xor_b32_e32 v40, 0x7fff, v32
	s_delay_alu instid0(VALU_DEP_1) | instskip(NEXT) | instid1(VALU_DEP_1)
	v_and_b32_e32 v40, 0xffff, v40
	v_lshrrev_b32_e32 v40, s49, v40
	s_delay_alu instid0(VALU_DEP_1) | instskip(NEXT) | instid1(VALU_DEP_1)
	v_and_b32_e32 v40, s48, v40
	v_lshl_or_b32 v40, v40, 4, v83
	ds_add_u32 v40, v97
	s_or_b32 exec_lo, exec_lo, s11
	s_delay_alu instid0(SALU_CYCLE_1)
	s_mov_b32 s11, exec_lo
	v_cmpx_gt_u32_e64 s10, v73
	s_cbranch_execz .LBB936_677
.LBB936_693:                            ;   in Loop: Header=BB936_646 Depth=2
	v_xor_b32_e32 v40, 0x7fff, v31
	s_delay_alu instid0(VALU_DEP_1) | instskip(NEXT) | instid1(VALU_DEP_1)
	v_and_b32_e32 v40, 0xffff, v40
	v_lshrrev_b32_e32 v40, s49, v40
	s_delay_alu instid0(VALU_DEP_1) | instskip(NEXT) | instid1(VALU_DEP_1)
	v_and_b32_e32 v40, s48, v40
	v_lshl_or_b32 v40, v40, 4, v83
	ds_add_u32 v40, v97
	s_or_b32 exec_lo, exec_lo, s11
	s_delay_alu instid0(SALU_CYCLE_1)
	s_mov_b32 s11, exec_lo
	v_cmpx_gt_u32_e64 s10, v74
	s_cbranch_execz .LBB936_678
.LBB936_694:                            ;   in Loop: Header=BB936_646 Depth=2
	v_xor_b32_e32 v40, 0x7fff, v30
	s_delay_alu instid0(VALU_DEP_1) | instskip(NEXT) | instid1(VALU_DEP_1)
	v_and_b32_e32 v40, 0xffff, v40
	v_lshrrev_b32_e32 v40, s49, v40
	s_delay_alu instid0(VALU_DEP_1) | instskip(NEXT) | instid1(VALU_DEP_1)
	v_and_b32_e32 v40, s48, v40
	v_lshl_or_b32 v40, v40, 4, v83
	ds_add_u32 v40, v97
	s_or_b32 exec_lo, exec_lo, s11
	s_delay_alu instid0(SALU_CYCLE_1)
	s_mov_b32 s11, exec_lo
	v_cmpx_gt_u32_e64 s10, v75
	s_cbranch_execz .LBB936_679
.LBB936_695:                            ;   in Loop: Header=BB936_646 Depth=2
	v_xor_b32_e32 v40, 0x7fff, v29
	s_delay_alu instid0(VALU_DEP_1) | instskip(NEXT) | instid1(VALU_DEP_1)
	v_and_b32_e32 v40, 0xffff, v40
	v_lshrrev_b32_e32 v40, s49, v40
	s_delay_alu instid0(VALU_DEP_1) | instskip(NEXT) | instid1(VALU_DEP_1)
	v_and_b32_e32 v40, s48, v40
	v_lshl_or_b32 v40, v40, 4, v83
	ds_add_u32 v40, v97
	s_or_b32 exec_lo, exec_lo, s11
	s_delay_alu instid0(SALU_CYCLE_1)
	s_mov_b32 s11, exec_lo
	v_cmpx_gt_u32_e64 s10, v76
	s_cbranch_execz .LBB936_680
.LBB936_696:                            ;   in Loop: Header=BB936_646 Depth=2
	v_xor_b32_e32 v40, 0x7fff, v28
	s_delay_alu instid0(VALU_DEP_1) | instskip(NEXT) | instid1(VALU_DEP_1)
	v_and_b32_e32 v40, 0xffff, v40
	v_lshrrev_b32_e32 v40, s49, v40
	s_delay_alu instid0(VALU_DEP_1) | instskip(NEXT) | instid1(VALU_DEP_1)
	v_and_b32_e32 v40, s48, v40
	v_lshl_or_b32 v40, v40, 4, v83
	ds_add_u32 v40, v97
	s_or_b32 exec_lo, exec_lo, s11
	s_delay_alu instid0(SALU_CYCLE_1)
	s_mov_b32 s11, exec_lo
	v_cmpx_gt_u32_e64 s10, v77
	s_cbranch_execz .LBB936_681
.LBB936_697:                            ;   in Loop: Header=BB936_646 Depth=2
	v_xor_b32_e32 v40, 0x7fff, v27
	s_delay_alu instid0(VALU_DEP_1) | instskip(NEXT) | instid1(VALU_DEP_1)
	v_and_b32_e32 v40, 0xffff, v40
	v_lshrrev_b32_e32 v40, s49, v40
	s_delay_alu instid0(VALU_DEP_1) | instskip(NEXT) | instid1(VALU_DEP_1)
	v_and_b32_e32 v40, s48, v40
	v_lshl_or_b32 v40, v40, 4, v83
	ds_add_u32 v40, v97
	s_or_b32 exec_lo, exec_lo, s11
	s_delay_alu instid0(SALU_CYCLE_1)
	s_mov_b32 s11, exec_lo
	v_cmpx_gt_u32_e64 s10, v78
	s_cbranch_execz .LBB936_682
.LBB936_698:                            ;   in Loop: Header=BB936_646 Depth=2
	v_xor_b32_e32 v40, 0x7fff, v26
	s_delay_alu instid0(VALU_DEP_1) | instskip(NEXT) | instid1(VALU_DEP_1)
	v_and_b32_e32 v40, 0xffff, v40
	v_lshrrev_b32_e32 v40, s49, v40
	s_delay_alu instid0(VALU_DEP_1) | instskip(NEXT) | instid1(VALU_DEP_1)
	v_and_b32_e32 v40, s48, v40
	v_lshl_or_b32 v40, v40, 4, v83
	ds_add_u32 v40, v97
	s_or_b32 exec_lo, exec_lo, s11
	s_delay_alu instid0(SALU_CYCLE_1)
	s_mov_b32 s11, exec_lo
	v_cmpx_gt_u32_e64 s10, v79
	s_cbranch_execz .LBB936_683
.LBB936_699:                            ;   in Loop: Header=BB936_646 Depth=2
	v_xor_b32_e32 v40, 0x7fff, v25
	s_delay_alu instid0(VALU_DEP_1) | instskip(NEXT) | instid1(VALU_DEP_1)
	v_and_b32_e32 v40, 0xffff, v40
	v_lshrrev_b32_e32 v40, s49, v40
	s_delay_alu instid0(VALU_DEP_1) | instskip(NEXT) | instid1(VALU_DEP_1)
	v_and_b32_e32 v40, s48, v40
	v_lshl_or_b32 v40, v40, 4, v83
	ds_add_u32 v40, v97
	s_or_b32 exec_lo, exec_lo, s11
	s_delay_alu instid0(SALU_CYCLE_1)
	s_mov_b32 s11, exec_lo
	v_cmpx_gt_u32_e64 s10, v80
	s_cbranch_execz .LBB936_684
.LBB936_700:                            ;   in Loop: Header=BB936_646 Depth=2
	v_xor_b32_e32 v40, 0x7fff, v24
	s_delay_alu instid0(VALU_DEP_1) | instskip(NEXT) | instid1(VALU_DEP_1)
	v_and_b32_e32 v40, 0xffff, v40
	v_lshrrev_b32_e32 v40, s49, v40
	s_delay_alu instid0(VALU_DEP_1) | instskip(NEXT) | instid1(VALU_DEP_1)
	v_and_b32_e32 v40, s48, v40
	v_lshl_or_b32 v40, v40, 4, v83
	ds_add_u32 v40, v97
	s_or_b32 exec_lo, exec_lo, s11
	v_cmp_gt_u32_e32 vcc_lo, s10, v81
	s_and_saveexec_b32 s10, vcc_lo
	s_cbranch_execz .LBB936_645
.LBB936_701:                            ;   in Loop: Header=BB936_646 Depth=2
	v_xor_b32_e32 v40, 0x7fff, v23
	s_delay_alu instid0(VALU_DEP_1) | instskip(NEXT) | instid1(VALU_DEP_1)
	v_and_b32_e32 v40, 0xffff, v40
	v_lshrrev_b32_e32 v40, s49, v40
	s_delay_alu instid0(VALU_DEP_1) | instskip(NEXT) | instid1(VALU_DEP_1)
	v_and_b32_e32 v40, s48, v40
	v_lshl_or_b32 v40, v40, 4, v83
	ds_add_u32 v40, v97
	s_branch .LBB936_645
.LBB936_702:                            ;   in Loop: Header=BB936_646 Depth=2
	global_load_u16 v39, v2, s[10:11] scale_offset
	s_wait_xcnt 0x0
	s_or_b32 exec_lo, exec_lo, s13
	s_delay_alu instid0(SALU_CYCLE_1)
	s_mov_b32 s13, exec_lo
	v_cmpx_gt_u32_e64 s9, v66
	s_cbranch_execz .LBB936_651
.LBB936_703:                            ;   in Loop: Header=BB936_646 Depth=2
	global_load_u16 v38, v2, s[10:11] offset:512 scale_offset
	s_wait_xcnt 0x0
	s_or_b32 exec_lo, exec_lo, s13
	s_delay_alu instid0(SALU_CYCLE_1)
	s_mov_b32 s13, exec_lo
	v_cmpx_gt_u32_e64 s9, v67
	s_cbranch_execz .LBB936_652
.LBB936_704:                            ;   in Loop: Header=BB936_646 Depth=2
	global_load_u16 v37, v2, s[10:11] offset:1024 scale_offset
	s_wait_xcnt 0x0
	s_or_b32 exec_lo, exec_lo, s13
	s_delay_alu instid0(SALU_CYCLE_1)
	s_mov_b32 s13, exec_lo
	v_cmpx_gt_u32_e64 s9, v68
	s_cbranch_execz .LBB936_653
.LBB936_705:                            ;   in Loop: Header=BB936_646 Depth=2
	global_load_u16 v36, v2, s[10:11] offset:1536 scale_offset
	s_wait_xcnt 0x0
	s_or_b32 exec_lo, exec_lo, s13
	s_delay_alu instid0(SALU_CYCLE_1)
	s_mov_b32 s13, exec_lo
	v_cmpx_gt_u32_e64 s9, v69
	s_cbranch_execz .LBB936_654
.LBB936_706:                            ;   in Loop: Header=BB936_646 Depth=2
	global_load_u16 v35, v2, s[10:11] offset:2048 scale_offset
	s_wait_xcnt 0x0
	s_or_b32 exec_lo, exec_lo, s13
	s_delay_alu instid0(SALU_CYCLE_1)
	s_mov_b32 s13, exec_lo
	v_cmpx_gt_u32_e64 s9, v70
	s_cbranch_execz .LBB936_655
.LBB936_707:                            ;   in Loop: Header=BB936_646 Depth=2
	global_load_u16 v34, v2, s[10:11] offset:2560 scale_offset
	s_wait_xcnt 0x0
	s_or_b32 exec_lo, exec_lo, s13
	s_delay_alu instid0(SALU_CYCLE_1)
	s_mov_b32 s13, exec_lo
	v_cmpx_gt_u32_e64 s9, v71
	s_cbranch_execz .LBB936_656
.LBB936_708:                            ;   in Loop: Header=BB936_646 Depth=2
	global_load_u16 v33, v2, s[10:11] offset:3072 scale_offset
	s_wait_xcnt 0x0
	s_or_b32 exec_lo, exec_lo, s13
	s_delay_alu instid0(SALU_CYCLE_1)
	s_mov_b32 s13, exec_lo
	v_cmpx_gt_u32_e64 s9, v72
	s_cbranch_execz .LBB936_657
.LBB936_709:                            ;   in Loop: Header=BB936_646 Depth=2
	global_load_u16 v32, v2, s[10:11] offset:3584 scale_offset
	s_wait_xcnt 0x0
	s_or_b32 exec_lo, exec_lo, s13
	s_delay_alu instid0(SALU_CYCLE_1)
	s_mov_b32 s13, exec_lo
	v_cmpx_gt_u32_e64 s9, v73
	s_cbranch_execz .LBB936_658
.LBB936_710:                            ;   in Loop: Header=BB936_646 Depth=2
	global_load_u16 v31, v2, s[10:11] offset:4096 scale_offset
	s_wait_xcnt 0x0
	s_or_b32 exec_lo, exec_lo, s13
	s_delay_alu instid0(SALU_CYCLE_1)
	s_mov_b32 s13, exec_lo
	v_cmpx_gt_u32_e64 s9, v74
	s_cbranch_execz .LBB936_659
.LBB936_711:                            ;   in Loop: Header=BB936_646 Depth=2
	global_load_u16 v30, v2, s[10:11] offset:4608 scale_offset
	s_wait_xcnt 0x0
	s_or_b32 exec_lo, exec_lo, s13
	s_delay_alu instid0(SALU_CYCLE_1)
	s_mov_b32 s13, exec_lo
	v_cmpx_gt_u32_e64 s9, v75
	s_cbranch_execz .LBB936_660
.LBB936_712:                            ;   in Loop: Header=BB936_646 Depth=2
	global_load_u16 v29, v2, s[10:11] offset:5120 scale_offset
	s_wait_xcnt 0x0
	s_or_b32 exec_lo, exec_lo, s13
	s_delay_alu instid0(SALU_CYCLE_1)
	s_mov_b32 s13, exec_lo
	v_cmpx_gt_u32_e64 s9, v76
	s_cbranch_execz .LBB936_661
.LBB936_713:                            ;   in Loop: Header=BB936_646 Depth=2
	global_load_u16 v28, v2, s[10:11] offset:5632 scale_offset
	s_wait_xcnt 0x0
	s_or_b32 exec_lo, exec_lo, s13
	s_delay_alu instid0(SALU_CYCLE_1)
	s_mov_b32 s13, exec_lo
	v_cmpx_gt_u32_e64 s9, v77
	s_cbranch_execz .LBB936_662
.LBB936_714:                            ;   in Loop: Header=BB936_646 Depth=2
	global_load_u16 v27, v2, s[10:11] offset:6144 scale_offset
	s_wait_xcnt 0x0
	s_or_b32 exec_lo, exec_lo, s13
	s_delay_alu instid0(SALU_CYCLE_1)
	s_mov_b32 s13, exec_lo
	v_cmpx_gt_u32_e64 s9, v78
	s_cbranch_execz .LBB936_663
.LBB936_715:                            ;   in Loop: Header=BB936_646 Depth=2
	global_load_u16 v26, v2, s[10:11] offset:6656 scale_offset
	s_wait_xcnt 0x0
	s_or_b32 exec_lo, exec_lo, s13
	s_delay_alu instid0(SALU_CYCLE_1)
	s_mov_b32 s13, exec_lo
	v_cmpx_gt_u32_e64 s9, v79
	s_cbranch_execz .LBB936_664
.LBB936_716:                            ;   in Loop: Header=BB936_646 Depth=2
	global_load_u16 v25, v2, s[10:11] offset:7168 scale_offset
	s_wait_xcnt 0x0
	s_or_b32 exec_lo, exec_lo, s13
	s_delay_alu instid0(SALU_CYCLE_1)
	s_mov_b32 s13, exec_lo
	v_cmpx_gt_u32_e64 s9, v80
	s_cbranch_execz .LBB936_665
.LBB936_717:                            ;   in Loop: Header=BB936_646 Depth=2
	global_load_u16 v24, v2, s[10:11] offset:7680 scale_offset
	s_wait_xcnt 0x0
	s_or_b32 exec_lo, exec_lo, s13
	s_delay_alu instid0(SALU_CYCLE_1)
	s_mov_b32 s13, exec_lo
	v_cmpx_gt_u32_e64 s9, v81
	s_cbranch_execnz .LBB936_666
	s_branch .LBB936_667
.LBB936_718:                            ;   in Loop: Header=BB936_20 Depth=1
	v_mov_b32_e32 v23, 0
	s_wait_dscnt 0x0
	s_barrier_signal -1
	s_barrier_wait -1
	s_and_saveexec_b32 s9, s0
	s_cbranch_execz .LBB936_720
; %bb.719:                              ;   in Loop: Header=BB936_20 Depth=1
	ds_load_2addr_b64 v[24:27], v84 offset1:1
	s_wait_dscnt 0x0
	v_add_nc_u32_e32 v23, v25, v24
	s_delay_alu instid0(VALU_DEP_1)
	v_add3_u32 v23, v23, v26, v27
.LBB936_720:                            ;   in Loop: Header=BB936_20 Depth=1
	s_or_b32 exec_lo, exec_lo, s9
	s_delay_alu instid0(VALU_DEP_1)
	v_mov_b32_dpp v24, v23 row_shr:1 row_mask:0xf bank_mask:0xf
	v_cmp_eq_u32_e64 s9, 0, v98
	v_cmp_lt_u32_e64 s10, 1, v98
	v_cmp_lt_u32_e64 s11, 3, v98
	;; [unrolled: 1-line block ×3, first 2 shown]
	v_cmp_eq_u32_e64 s13, 0, v100
	v_cndmask_b32_e64 v24, v24, 0, s9
	s_delay_alu instid0(VALU_DEP_1) | instskip(NEXT) | instid1(VALU_DEP_1)
	v_add_nc_u32_e32 v23, v24, v23
	v_mov_b32_dpp v24, v23 row_shr:2 row_mask:0xf bank_mask:0xf
	s_delay_alu instid0(VALU_DEP_1) | instskip(NEXT) | instid1(VALU_DEP_1)
	v_cndmask_b32_e64 v24, 0, v24, s10
	v_add_nc_u32_e32 v23, v23, v24
	s_delay_alu instid0(VALU_DEP_1) | instskip(NEXT) | instid1(VALU_DEP_1)
	v_mov_b32_dpp v24, v23 row_shr:4 row_mask:0xf bank_mask:0xf
	v_cndmask_b32_e64 v24, 0, v24, s11
	s_delay_alu instid0(VALU_DEP_1) | instskip(NEXT) | instid1(VALU_DEP_1)
	v_add_nc_u32_e32 v23, v23, v24
	v_mov_b32_dpp v24, v23 row_shr:8 row_mask:0xf bank_mask:0xf
	s_delay_alu instid0(VALU_DEP_1) | instskip(NEXT) | instid1(VALU_DEP_1)
	v_cndmask_b32_e64 v24, 0, v24, s12
	v_add_nc_u32_e32 v23, v23, v24
	ds_swizzle_b32 v24, v23 offset:swizzle(BROADCAST,32,15)
	s_wait_dscnt 0x0
	v_and_b32_e32 v24, v99, v24
	s_delay_alu instid0(VALU_DEP_1)
	v_add_nc_u32_e32 v23, v23, v24
	s_and_saveexec_b32 s14, s1
; %bb.721:                              ;   in Loop: Header=BB936_20 Depth=1
	ds_store_b32 v85, v23
; %bb.722:                              ;   in Loop: Header=BB936_20 Depth=1
	s_or_b32 exec_lo, exec_lo, s14
	s_wait_dscnt 0x0
	s_barrier_signal -1
	s_barrier_wait -1
	s_and_saveexec_b32 s14, s4
	s_cbranch_execz .LBB936_724
; %bb.723:                              ;   in Loop: Header=BB936_20 Depth=1
	ds_load_b32 v24, v86
	v_cmp_ne_u32_e32 vcc_lo, 0, v101
	s_wait_dscnt 0x0
	v_mov_b32_dpp v25, v24 row_shr:1 row_mask:0xf bank_mask:0xf
	s_delay_alu instid0(VALU_DEP_1) | instskip(SKIP_1) | instid1(VALU_DEP_2)
	v_cndmask_b32_e32 v25, 0, v25, vcc_lo
	v_cmp_lt_u32_e32 vcc_lo, 1, v101
	v_add_nc_u32_e32 v24, v25, v24
	s_delay_alu instid0(VALU_DEP_1) | instskip(NEXT) | instid1(VALU_DEP_1)
	v_mov_b32_dpp v25, v24 row_shr:2 row_mask:0xf bank_mask:0xf
	v_cndmask_b32_e32 v25, 0, v25, vcc_lo
	s_delay_alu instid0(VALU_DEP_1)
	v_add_nc_u32_e32 v24, v24, v25
	ds_store_b32 v86, v24
.LBB936_724:                            ;   in Loop: Header=BB936_20 Depth=1
	s_or_b32 exec_lo, exec_lo, s14
	v_mov_b32_e32 v24, 0
	s_wait_dscnt 0x0
	s_barrier_signal -1
	s_barrier_wait -1
	s_and_saveexec_b32 s14, s5
; %bb.725:                              ;   in Loop: Header=BB936_20 Depth=1
	ds_load_b32 v24, v87
; %bb.726:                              ;   in Loop: Header=BB936_20 Depth=1
	s_or_b32 exec_lo, exec_lo, s14
	v_cmp_gt_i32_e32 vcc_lo, 0, v103
	s_wait_dscnt 0x0
	s_barrier_signal -1
	s_barrier_wait -1
	v_dual_cndmask_b32 v25, v103, v96, vcc_lo :: v_dual_add_nc_u32 v23, v24, v23
	s_delay_alu instid0(VALU_DEP_1)
	v_lshlrev_b32_e32 v121, 2, v25
	ds_bpermute_b32 v23, v121, v23
	s_and_saveexec_b32 s14, s0
	s_cbranch_execz .LBB936_728
; %bb.727:                              ;   in Loop: Header=BB936_20 Depth=1
	s_wait_dscnt 0x0
	v_cndmask_b32_e64 v23, v23, v24, s8
	s_delay_alu instid0(VALU_DEP_1)
	v_add_nc_u32_e32 v23, s55, v23
	ds_store_b32 v3, v23
.LBB936_728:                            ;   in Loop: Header=BB936_20 Depth=1
	s_or_b32 exec_lo, exec_lo, s14
	s_load_b64 s[14:15], s[52:53], 0x0
	s_mov_b32 s58, s57
                                        ; implicit-def: $vgpr30_vgpr31
                                        ; implicit-def: $vgpr32_vgpr33
                                        ; implicit-def: $vgpr34_vgpr35
                                        ; implicit-def: $vgpr36_vgpr37
                                        ; implicit-def: $vgpr38_vgpr39
                                        ; implicit-def: $vgpr40_vgpr41
                                        ; implicit-def: $vgpr42_vgpr43
                                        ; implicit-def: $vgpr44_vgpr45
                                        ; implicit-def: $vgpr46_vgpr47
                                        ; implicit-def: $vgpr48_vgpr49
                                        ; implicit-def: $vgpr50_vgpr51
                                        ; implicit-def: $vgpr52_vgpr53
                                        ; implicit-def: $vgpr54_vgpr55
                                        ; implicit-def: $vgpr56_vgpr57
                                        ; implicit-def: $vgpr58_vgpr59
                                        ; implicit-def: $vgpr60_vgpr61
                                        ; implicit-def: $vgpr122
                                        ; implicit-def: $vgpr123
                                        ; implicit-def: $vgpr124
                                        ; implicit-def: $vgpr125
                                        ; implicit-def: $vgpr126
                                        ; implicit-def: $vgpr127
                                        ; implicit-def: $vgpr128
                                        ; implicit-def: $vgpr129
                                        ; implicit-def: $vgpr130
                                        ; implicit-def: $vgpr131
                                        ; implicit-def: $vgpr132
                                        ; implicit-def: $vgpr133
                                        ; implicit-def: $vgpr134
                                        ; implicit-def: $vgpr135
                                        ; implicit-def: $vgpr136
                                        ; implicit-def: $vgpr138
                                        ; implicit-def: $vgpr139
                                        ; implicit-def: $vgpr137
                                        ; implicit-def: $vgpr140
	s_wait_kmcnt 0x0
	s_cmp_lt_u32 s51, s14
	s_cselect_b32 s34, 12, 18
	s_cmp_lt_u32 s42, s15
	s_mov_b32 s15, s35
	s_cselect_b32 s14, 14, 20
	s_delay_alu instid0(SALU_CYCLE_1)
	s_add_nc_u64 s[14:15], s[52:53], s[14:15]
	s_load_u16 s16, s[14:15], 0x0
	s_wait_xcnt 0x0
	s_add_nc_u64 s[14:15], s[52:53], s[34:35]
	s_mov_b32 s34, s55
	s_load_u16 s14, s[14:15], 0x0
	s_wait_xcnt 0x0
	v_cmp_lt_u32_e64 s15, 1, v104
	s_wait_dscnt 0x0
	s_wait_kmcnt 0x0
	v_mad_u32_u24 v23, v88, s16, v90
	v_cmp_lt_u32_e64 s16, 3, v104
	s_delay_alu instid0(VALU_DEP_2) | instskip(SKIP_2) | instid1(VALU_DEP_3)
	v_mad_u32 v24, v23, s14, v2
	v_mov_b32_e32 v23, v5
	v_cmp_eq_u32_e64 s14, 0, v104
	v_lshrrev_b32_e32 v28, 3, v24
	v_add_nc_u64_e32 v[24:25], v[18:19], v[4:5]
	s_delay_alu instid0(VALU_DEP_4) | instskip(NEXT) | instid1(VALU_DEP_3)
	v_add_nc_u64_e32 v[26:27], v[20:21], v[22:23]
	v_and_b32_e32 v23, 0x1ffffffc, v28
                                        ; implicit-def: $vgpr28_vgpr29
	s_branch .LBB936_730
.LBB936_729:                            ;   in Loop: Header=BB936_730 Depth=2
	s_or_b32 exec_lo, exec_lo, s17
	s_addk_co_i32 s58, 0xef00
	s_cmp_lt_u32 s59, s54
	s_mov_b32 s34, s59
	s_cbranch_scc0 .LBB936_952
.LBB936_730:                            ;   Parent Loop BB936_20 Depth=1
                                        ; =>  This Inner Loop Header: Depth=2
	s_add_co_i32 s59, s34, 0x1100
	s_delay_alu instid0(SALU_CYCLE_1)
	s_cmp_gt_u32 s59, s54
	s_cbranch_scc1 .LBB936_732
; %bb.731:                              ;   in Loop: Header=BB936_730 Depth=2
	s_delay_alu instid0(VALU_DEP_2)
	v_lshl_add_u64 v[62:63], s[34:35], 1, v[26:27]
	s_mov_b32 s17, -1
	s_clause 0xf
	global_load_u16 v143, v[62:63], off
	global_load_u16 v145, v[62:63], off offset:64
	global_load_u16 v147, v[62:63], off offset:128
	;; [unrolled: 1-line block ×15, first 2 shown]
	s_movk_i32 s18, 0x1100
	s_cbranch_execz .LBB936_733
	s_branch .LBB936_766
.LBB936_732:                            ;   in Loop: Header=BB936_730 Depth=2
	s_mov_b32 s17, 0
                                        ; implicit-def: $vgpr143
                                        ; implicit-def: $vgpr145
                                        ; implicit-def: $vgpr147
                                        ; implicit-def: $vgpr151
                                        ; implicit-def: $vgpr155
                                        ; implicit-def: $vgpr160
                                        ; implicit-def: $vgpr166
                                        ; implicit-def: $vgpr171
                                        ; implicit-def: $vgpr176
                                        ; implicit-def: $vgpr174
                                        ; implicit-def: $vgpr169
                                        ; implicit-def: $vgpr164
                                        ; implicit-def: $vgpr161
                                        ; implicit-def: $vgpr156
                                        ; implicit-def: $vgpr65
                                        ; implicit-def: $vgpr64
	s_movk_i32 s18, 0x1100
.LBB936_733:                            ;   in Loop: Header=BB936_730 Depth=2
	s_wait_xcnt 0x0
	v_lshl_add_u64 v[62:63], s[34:35], 1, v[26:27]
	s_wait_loadcnt 0xe
	v_mov_b32_e32 v145, 0xffff8000
	v_mov_b32_e32 v143, 0xffff8000
	s_mov_b32 s17, exec_lo
	v_cmpx_gt_u32_e64 s58, v102
	s_cbranch_execz .LBB936_735
; %bb.734:                              ;   in Loop: Header=BB936_730 Depth=2
	global_load_u16 v143, v[62:63], off
.LBB936_735:                            ;   in Loop: Header=BB936_730 Depth=2
	s_wait_xcnt 0x0
	s_or_b32 exec_lo, exec_lo, s17
	s_delay_alu instid0(SALU_CYCLE_1)
	s_mov_b32 s17, exec_lo
	v_cmpx_gt_u32_e64 s58, v105
	s_cbranch_execz .LBB936_737
; %bb.736:                              ;   in Loop: Header=BB936_730 Depth=2
	global_load_u16 v145, v[62:63], off offset:64
.LBB936_737:                            ;   in Loop: Header=BB936_730 Depth=2
	s_wait_xcnt 0x0
	s_or_b32 exec_lo, exec_lo, s17
	s_wait_loadcnt 0xc
	v_mov_b32_e32 v151, 0xffff8000
	v_mov_b32_e32 v147, 0xffff8000
	s_mov_b32 s17, exec_lo
	v_cmpx_gt_u32_e64 s58, v106
	s_cbranch_execz .LBB936_739
; %bb.738:                              ;   in Loop: Header=BB936_730 Depth=2
	global_load_u16 v147, v[62:63], off offset:128
.LBB936_739:                            ;   in Loop: Header=BB936_730 Depth=2
	s_wait_xcnt 0x0
	s_or_b32 exec_lo, exec_lo, s17
	s_delay_alu instid0(SALU_CYCLE_1)
	s_mov_b32 s17, exec_lo
	v_cmpx_gt_u32_e64 s58, v107
	s_cbranch_execz .LBB936_741
; %bb.740:                              ;   in Loop: Header=BB936_730 Depth=2
	global_load_u16 v151, v[62:63], off offset:192
.LBB936_741:                            ;   in Loop: Header=BB936_730 Depth=2
	s_wait_xcnt 0x0
	s_or_b32 exec_lo, exec_lo, s17
	s_wait_loadcnt 0xa
	v_dual_mov_b32 v160, 0xffff8000 :: v_dual_mov_b32 v155, 0xffff8000
	s_mov_b32 s17, exec_lo
	v_cmpx_gt_u32_e64 s58, v108
	s_cbranch_execz .LBB936_743
; %bb.742:                              ;   in Loop: Header=BB936_730 Depth=2
	global_load_u16 v155, v[62:63], off offset:256
.LBB936_743:                            ;   in Loop: Header=BB936_730 Depth=2
	s_wait_xcnt 0x0
	s_or_b32 exec_lo, exec_lo, s17
	s_delay_alu instid0(SALU_CYCLE_1)
	s_mov_b32 s17, exec_lo
	v_cmpx_gt_u32_e64 s58, v109
	s_cbranch_execz .LBB936_745
; %bb.744:                              ;   in Loop: Header=BB936_730 Depth=2
	global_load_u16 v160, v[62:63], off offset:320
.LBB936_745:                            ;   in Loop: Header=BB936_730 Depth=2
	s_wait_xcnt 0x0
	s_or_b32 exec_lo, exec_lo, s17
	s_wait_loadcnt 0x8
	v_dual_mov_b32 v171, 0xffff8000 :: v_dual_mov_b32 v166, 0xffff8000
	s_mov_b32 s17, exec_lo
	v_cmpx_gt_u32_e64 s58, v110
	s_cbranch_execz .LBB936_747
; %bb.746:                              ;   in Loop: Header=BB936_730 Depth=2
	global_load_u16 v166, v[62:63], off offset:384
.LBB936_747:                            ;   in Loop: Header=BB936_730 Depth=2
	s_wait_xcnt 0x0
	s_or_b32 exec_lo, exec_lo, s17
	s_delay_alu instid0(SALU_CYCLE_1)
	s_mov_b32 s17, exec_lo
	v_cmpx_gt_u32_e64 s58, v111
	s_cbranch_execz .LBB936_749
; %bb.748:                              ;   in Loop: Header=BB936_730 Depth=2
	global_load_u16 v171, v[62:63], off offset:448
.LBB936_749:                            ;   in Loop: Header=BB936_730 Depth=2
	s_wait_xcnt 0x0
	s_or_b32 exec_lo, exec_lo, s17
	s_wait_loadcnt 0x6
	v_mov_b32_e32 v174, 0xffff8000
	v_mov_b32_e32 v176, 0xffff8000
	s_mov_b32 s17, exec_lo
	v_cmpx_gt_u32_e64 s58, v112
	s_cbranch_execz .LBB936_751
; %bb.750:                              ;   in Loop: Header=BB936_730 Depth=2
	global_load_u16 v176, v[62:63], off offset:512
.LBB936_751:                            ;   in Loop: Header=BB936_730 Depth=2
	s_wait_xcnt 0x0
	s_or_b32 exec_lo, exec_lo, s17
	s_delay_alu instid0(SALU_CYCLE_1)
	s_mov_b32 s17, exec_lo
	v_cmpx_gt_u32_e64 s58, v113
	s_cbranch_execz .LBB936_753
; %bb.752:                              ;   in Loop: Header=BB936_730 Depth=2
	global_load_u16 v174, v[62:63], off offset:576
.LBB936_753:                            ;   in Loop: Header=BB936_730 Depth=2
	s_wait_xcnt 0x0
	s_or_b32 exec_lo, exec_lo, s17
	s_wait_loadcnt 0x4
	v_dual_mov_b32 v164, 0xffff8000 :: v_dual_mov_b32 v169, 0xffff8000
	s_mov_b32 s17, exec_lo
	v_cmpx_gt_u32_e64 s58, v114
	s_cbranch_execz .LBB936_755
; %bb.754:                              ;   in Loop: Header=BB936_730 Depth=2
	global_load_u16 v169, v[62:63], off offset:640
.LBB936_755:                            ;   in Loop: Header=BB936_730 Depth=2
	s_wait_xcnt 0x0
	s_or_b32 exec_lo, exec_lo, s17
	s_delay_alu instid0(SALU_CYCLE_1)
	s_mov_b32 s17, exec_lo
	v_cmpx_gt_u32_e64 s58, v115
	s_cbranch_execz .LBB936_757
; %bb.756:                              ;   in Loop: Header=BB936_730 Depth=2
	global_load_u16 v164, v[62:63], off offset:704
.LBB936_757:                            ;   in Loop: Header=BB936_730 Depth=2
	s_wait_xcnt 0x0
	s_or_b32 exec_lo, exec_lo, s17
	s_wait_loadcnt 0x2
	v_dual_mov_b32 v156, 0xffff8000 :: v_dual_mov_b32 v161, 0xffff8000
	;; [unrolled: 19-line block ×3, first 2 shown]
	s_mov_b32 s17, exec_lo
	v_cmpx_gt_u32_e64 s58, v118
	s_cbranch_execz .LBB936_763
; %bb.762:                              ;   in Loop: Header=BB936_730 Depth=2
	global_load_u16 v65, v[62:63], off offset:896
.LBB936_763:                            ;   in Loop: Header=BB936_730 Depth=2
	s_wait_xcnt 0x0
	s_or_b32 exec_lo, exec_lo, s17
	s_delay_alu instid0(SALU_CYCLE_1)
	s_mov_b32 s17, exec_lo
	v_cmpx_gt_u32_e64 s58, v119
	s_cbranch_execz .LBB936_765
; %bb.764:                              ;   in Loop: Header=BB936_730 Depth=2
	global_load_u16 v64, v[62:63], off offset:960
.LBB936_765:                            ;   in Loop: Header=BB936_730 Depth=2
	s_wait_xcnt 0x0
	s_or_b32 exec_lo, exec_lo, s17
	v_cmp_gt_u32_e64 s17, s58, v120
	s_sub_co_i32 s18, s54, s34
.LBB936_766:                            ;   in Loop: Header=BB936_730 Depth=2
	v_dual_mov_b32 v142, -1 :: v_dual_mov_b32 v141, s58
	s_wait_xcnt 0x0
	s_and_saveexec_b32 s19, s17
	s_cbranch_execz .LBB936_768
; %bb.767:                              ;   in Loop: Header=BB936_730 Depth=2
	v_lshl_add_u64 v[62:63], s[34:35], 1, v[26:27]
	v_mov_b32_e32 v141, s18
	global_load_u16 v62, v[62:63], off offset:1024
	s_wait_loadcnt 0x0
	v_xor_b32_e32 v142, 0x7fff, v62
.LBB936_768:                            ;   in Loop: Header=BB936_730 Depth=2
	s_wait_xcnt 0x0
	s_or_b32 exec_lo, exec_lo, s19
	s_wait_loadcnt 0xf
	v_xor_b32_e32 v143, 0x7fff, v143
	ds_store_2addr_b32 v89, v5, v5 offset0:136 offset1:137
	ds_store_2addr_b32 v89, v5, v5 offset0:138 offset1:139
	ds_store_b32 v89, v5 offset:560
	s_wait_loadcnt_dscnt 0x0
	s_barrier_signal -1
	s_barrier_wait -1
	v_and_b32_e32 v62, 0xffff, v143
	; wave barrier
	s_delay_alu instid0(VALU_DEP_1) | instskip(NEXT) | instid1(VALU_DEP_1)
	v_lshrrev_b32_e32 v62, s49, v62
	v_bitop3_b32 v63, v62, 1, s48 bitop3:0x80
	v_and_b32_e32 v146, s48, v62
	s_delay_alu instid0(VALU_DEP_2) | instskip(NEXT) | instid1(VALU_DEP_1)
	v_add_co_u32 v62, s17, v63, -1
	v_cndmask_b32_e64 v63, 0, 1, s17
	s_delay_alu instid0(VALU_DEP_3) | instskip(NEXT) | instid1(VALU_DEP_2)
	v_dual_lshlrev_b32 v144, 30, v146 :: v_dual_lshlrev_b32 v148, 29, v146
	v_cmp_ne_u32_e32 vcc_lo, 0, v63
	s_delay_alu instid0(VALU_DEP_2) | instskip(SKIP_1) | instid1(VALU_DEP_4)
	v_cmp_gt_i32_e64 s17, 0, v144
	v_not_b32_e32 v63, v144
	v_not_b32_e32 v144, v148
	v_cmp_gt_i32_e64 s18, 0, v148
	v_bitop3_b32 v62, vcc_lo, exec_lo, v62 bitop3:0x48
	s_delay_alu instid0(VALU_DEP_3) | instskip(SKIP_2) | instid1(VALU_DEP_3)
	v_dual_ashrrev_i32 v63, 31, v63 :: v_dual_ashrrev_i32 v144, 31, v144
	v_dual_lshlrev_b32 v149, 28, v146 :: v_dual_lshlrev_b32 v150, 27, v146
	v_dual_lshlrev_b32 v152, 26, v146 :: v_dual_lshlrev_b32 v153, 25, v146
	v_xor_b32_e32 v144, s18, v144
	s_delay_alu instid0(VALU_DEP_3)
	v_cmp_gt_i32_e64 s19, 0, v149
	v_not_b32_e32 v148, v149
	v_not_b32_e32 v149, v150
	v_cmp_gt_i32_e64 s20, 0, v150
	v_cmp_gt_i32_e64 s21, 0, v152
	v_not_b32_e32 v150, v152
	v_not_b32_e32 v152, v153
	v_dual_ashrrev_i32 v148, 31, v148 :: v_dual_ashrrev_i32 v149, 31, v149
	s_delay_alu instid0(VALU_DEP_3) | instskip(SKIP_1) | instid1(VALU_DEP_3)
	v_dual_ashrrev_i32 v150, 31, v150 :: v_dual_bitop2_b32 v63, s17, v63 bitop3:0x14
	v_cmp_gt_i32_e64 s22, 0, v153
	v_dual_ashrrev_i32 v152, 31, v152 :: v_dual_bitop2_b32 v149, s20, v149 bitop3:0x14
	s_delay_alu instid0(VALU_DEP_4) | instskip(NEXT) | instid1(VALU_DEP_4)
	v_xor_b32_e32 v148, s19, v148
	v_bitop3_b32 v62, v62, v144, v63 bitop3:0x80
	v_xor_b32_e32 v63, s21, v150
	s_delay_alu instid0(VALU_DEP_4) | instskip(NEXT) | instid1(VALU_DEP_3)
	v_xor_b32_e32 v144, s22, v152
	v_bitop3_b32 v62, v62, v149, v148 bitop3:0x80
	s_delay_alu instid0(VALU_DEP_1) | instskip(SKIP_1) | instid1(VALU_DEP_2)
	v_bitop3_b32 v62, v62, v144, v63 bitop3:0x80
	v_mul_u32_u24_e32 v63, 36, v146
	v_mbcnt_lo_u32_b32 v144, v62, 0
	v_cmp_ne_u32_e64 s17, 0, v62
	s_delay_alu instid0(VALU_DEP_3) | instskip(NEXT) | instid1(VALU_DEP_3)
	v_add_nc_u32_e32 v146, v23, v63
	v_cmp_eq_u32_e32 vcc_lo, 0, v144
	s_and_b32 s18, s17, vcc_lo
	s_delay_alu instid0(SALU_CYCLE_1)
	s_and_saveexec_b32 s17, s18
; %bb.769:                              ;   in Loop: Header=BB936_730 Depth=2
	v_bcnt_u32_b32 v62, v62, 0
	ds_store_b32 v146, v62 offset:544
; %bb.770:                              ;   in Loop: Header=BB936_730 Depth=2
	s_or_b32 exec_lo, exec_lo, s17
	v_xor_b32_e32 v145, 0x7fff, v145
	; wave barrier
	s_delay_alu instid0(VALU_DEP_1) | instskip(NEXT) | instid1(VALU_DEP_1)
	v_and_b32_e32 v62, 0xffff, v145
	v_lshrrev_b32_e32 v62, s49, v62
	s_delay_alu instid0(VALU_DEP_1) | instskip(SKIP_1) | instid1(VALU_DEP_2)
	v_bitop3_b32 v63, v62, 1, s48 bitop3:0x80
	v_and_b32_e32 v150, s48, v62
	v_add_co_u32 v62, s17, v63, -1
	s_delay_alu instid0(VALU_DEP_1) | instskip(NEXT) | instid1(VALU_DEP_3)
	v_cndmask_b32_e64 v63, 0, 1, s17
	v_dual_lshlrev_b32 v148, 30, v150 :: v_dual_lshlrev_b32 v149, 29, v150
	s_delay_alu instid0(VALU_DEP_2) | instskip(NEXT) | instid1(VALU_DEP_2)
	v_cmp_ne_u32_e32 vcc_lo, 0, v63
	v_cmp_gt_i32_e64 s17, 0, v148
	v_not_b32_e32 v63, v148
	s_delay_alu instid0(VALU_DEP_4) | instskip(SKIP_2) | instid1(VALU_DEP_3)
	v_not_b32_e32 v148, v149
	v_cmp_gt_i32_e64 s18, 0, v149
	v_bitop3_b32 v62, vcc_lo, exec_lo, v62 bitop3:0x48
	v_dual_ashrrev_i32 v63, 31, v63 :: v_dual_ashrrev_i32 v148, 31, v148
	v_dual_lshlrev_b32 v152, 28, v150 :: v_dual_lshlrev_b32 v153, 27, v150
	v_dual_lshlrev_b32 v154, 26, v150 :: v_dual_lshlrev_b32 v157, 25, v150
	s_delay_alu instid0(VALU_DEP_2) | instskip(SKIP_1) | instid1(VALU_DEP_4)
	v_cmp_gt_i32_e64 s19, 0, v152
	v_not_b32_e32 v149, v152
	v_cmp_gt_i32_e64 s20, 0, v153
	v_not_b32_e32 v152, v153
	;; [unrolled: 2-line block ×3, first 2 shown]
	v_not_b32_e32 v154, v157
	v_xor_b32_e32 v63, s17, v63
	v_dual_ashrrev_i32 v149, 31, v149 :: v_dual_bitop2_b32 v148, s18, v148 bitop3:0x14
	s_delay_alu instid0(VALU_DEP_4) | instskip(NEXT) | instid1(VALU_DEP_4)
	v_dual_ashrrev_i32 v152, 31, v152 :: v_dual_ashrrev_i32 v153, 31, v153
	v_ashrrev_i32_e32 v154, 31, v154
	s_delay_alu instid0(VALU_DEP_3)
	v_bitop3_b32 v62, v62, v148, v63 bitop3:0x80
	v_mad_u32_u24 v63, v150, 36, v23
	v_cmp_gt_i32_e64 s22, 0, v157
	v_xor_b32_e32 v152, s20, v152
	v_xor_b32_e32 v153, s21, v153
	ds_load_b32 v148, v63 offset:544
	v_mul_u32_u24_e32 v63, 36, v150
	v_xor_b32_e32 v149, s19, v149
	v_xor_b32_e32 v154, s22, v154
	; wave barrier
	s_delay_alu instid0(VALU_DEP_3) | instskip(NEXT) | instid1(VALU_DEP_3)
	v_add_nc_u32_e32 v150, v23, v63
	v_bitop3_b32 v62, v62, v152, v149 bitop3:0x80
	s_delay_alu instid0(VALU_DEP_1) | instskip(NEXT) | instid1(VALU_DEP_1)
	v_bitop3_b32 v62, v62, v154, v153 bitop3:0x80
	v_mbcnt_lo_u32_b32 v149, v62, 0
	v_cmp_ne_u32_e64 s17, 0, v62
	s_delay_alu instid0(VALU_DEP_2) | instskip(SKIP_1) | instid1(SALU_CYCLE_1)
	v_cmp_eq_u32_e32 vcc_lo, 0, v149
	s_and_b32 s18, s17, vcc_lo
	s_and_saveexec_b32 s17, s18
	s_cbranch_execz .LBB936_772
; %bb.771:                              ;   in Loop: Header=BB936_730 Depth=2
	s_wait_dscnt 0x0
	v_bcnt_u32_b32 v62, v62, v148
	ds_store_b32 v150, v62 offset:544
.LBB936_772:                            ;   in Loop: Header=BB936_730 Depth=2
	s_or_b32 exec_lo, exec_lo, s17
	v_xor_b32_e32 v147, 0x7fff, v147
	; wave barrier
	s_delay_alu instid0(VALU_DEP_1) | instskip(NEXT) | instid1(VALU_DEP_1)
	v_and_b32_e32 v62, 0xffff, v147
	v_lshrrev_b32_e32 v62, s49, v62
	s_delay_alu instid0(VALU_DEP_1) | instskip(SKIP_1) | instid1(VALU_DEP_2)
	v_bitop3_b32 v63, v62, 1, s48 bitop3:0x80
	v_and_b32_e32 v154, s48, v62
	v_add_co_u32 v62, s17, v63, -1
	s_delay_alu instid0(VALU_DEP_1) | instskip(NEXT) | instid1(VALU_DEP_3)
	v_cndmask_b32_e64 v63, 0, 1, s17
	v_dual_lshlrev_b32 v152, 30, v154 :: v_dual_lshlrev_b32 v153, 29, v154
	s_delay_alu instid0(VALU_DEP_2) | instskip(NEXT) | instid1(VALU_DEP_2)
	v_cmp_ne_u32_e32 vcc_lo, 0, v63
	v_cmp_gt_i32_e64 s17, 0, v152
	v_not_b32_e32 v63, v152
	s_delay_alu instid0(VALU_DEP_4) | instskip(SKIP_2) | instid1(VALU_DEP_3)
	v_not_b32_e32 v152, v153
	v_cmp_gt_i32_e64 s18, 0, v153
	v_bitop3_b32 v62, vcc_lo, exec_lo, v62 bitop3:0x48
	v_dual_ashrrev_i32 v63, 31, v63 :: v_dual_ashrrev_i32 v152, 31, v152
	v_dual_lshlrev_b32 v157, 28, v154 :: v_dual_lshlrev_b32 v158, 27, v154
	v_dual_lshlrev_b32 v159, 26, v154 :: v_dual_lshlrev_b32 v162, 25, v154
	s_delay_alu instid0(VALU_DEP_3) | instskip(NEXT) | instid1(VALU_DEP_3)
	v_xor_b32_e32 v63, s17, v63
	v_cmp_gt_i32_e64 s19, 0, v157
	v_not_b32_e32 v153, v157
	v_not_b32_e32 v157, v158
	v_xor_b32_e32 v152, s18, v152
	v_cmp_gt_i32_e64 s20, 0, v158
	v_cmp_gt_i32_e64 s21, 0, v159
	v_ashrrev_i32_e32 v153, 31, v153
	v_ashrrev_i32_e32 v157, 31, v157
	v_not_b32_e32 v158, v159
	v_not_b32_e32 v159, v162
	v_bitop3_b32 v62, v62, v152, v63 bitop3:0x80
	v_mad_u32_u24 v63, v154, 36, v23
	v_cmp_gt_i32_e64 s22, 0, v162
	s_delay_alu instid0(VALU_DEP_4)
	v_dual_ashrrev_i32 v158, 31, v158 :: v_dual_ashrrev_i32 v159, 31, v159
	v_xor_b32_e32 v157, s20, v157
	ds_load_b32 v152, v63 offset:544
	v_mul_u32_u24_e32 v63, 36, v154
	v_xor_b32_e32 v153, s19, v153
	v_xor_b32_e32 v158, s21, v158
	;; [unrolled: 1-line block ×3, first 2 shown]
	s_delay_alu instid0(VALU_DEP_4) | instskip(NEXT) | instid1(VALU_DEP_4)
	v_add_nc_u32_e32 v154, v23, v63
	v_bitop3_b32 v62, v62, v157, v153 bitop3:0x80
	; wave barrier
	s_delay_alu instid0(VALU_DEP_1) | instskip(NEXT) | instid1(VALU_DEP_1)
	v_bitop3_b32 v62, v62, v159, v158 bitop3:0x80
	v_mbcnt_lo_u32_b32 v153, v62, 0
	v_cmp_ne_u32_e64 s17, 0, v62
	s_delay_alu instid0(VALU_DEP_2) | instskip(SKIP_1) | instid1(SALU_CYCLE_1)
	v_cmp_eq_u32_e32 vcc_lo, 0, v153
	s_and_b32 s18, s17, vcc_lo
	s_and_saveexec_b32 s17, s18
	s_cbranch_execz .LBB936_774
; %bb.773:                              ;   in Loop: Header=BB936_730 Depth=2
	s_wait_dscnt 0x0
	v_bcnt_u32_b32 v62, v62, v152
	ds_store_b32 v154, v62 offset:544
.LBB936_774:                            ;   in Loop: Header=BB936_730 Depth=2
	s_or_b32 exec_lo, exec_lo, s17
	v_xor_b32_e32 v151, 0x7fff, v151
	; wave barrier
	s_delay_alu instid0(VALU_DEP_1) | instskip(NEXT) | instid1(VALU_DEP_1)
	v_and_b32_e32 v62, 0xffff, v151
	v_lshrrev_b32_e32 v62, s49, v62
	s_delay_alu instid0(VALU_DEP_1) | instskip(NEXT) | instid1(VALU_DEP_1)
	v_and_b32_e32 v159, s48, v62
	v_lshlrev_b32_e32 v157, 30, v159
	v_bitop3_b32 v63, v62, 1, s48 bitop3:0x80
	s_delay_alu instid0(VALU_DEP_1) | instskip(NEXT) | instid1(VALU_DEP_1)
	v_add_co_u32 v62, s17, v63, -1
	v_cndmask_b32_e64 v63, 0, 1, s17
	s_delay_alu instid0(VALU_DEP_4) | instskip(NEXT) | instid1(VALU_DEP_2)
	v_cmp_gt_i32_e64 s17, 0, v157
	v_cmp_ne_u32_e32 vcc_lo, 0, v63
	v_not_b32_e32 v63, v157
	v_bitop3_b32 v62, vcc_lo, exec_lo, v62 bitop3:0x48
	s_delay_alu instid0(VALU_DEP_2) | instskip(SKIP_2) | instid1(VALU_DEP_3)
	v_ashrrev_i32_e32 v63, 31, v63
	v_dual_lshlrev_b32 v158, 29, v159 :: v_dual_lshlrev_b32 v162, 28, v159
	v_dual_lshlrev_b32 v163, 27, v159 :: v_dual_lshlrev_b32 v165, 26, v159
	v_xor_b32_e32 v63, s17, v63
	s_delay_alu instid0(VALU_DEP_3)
	v_not_b32_e32 v157, v158
	v_lshlrev_b32_e32 v167, 25, v159
	v_cmp_gt_i32_e64 s18, 0, v158
	v_cmp_gt_i32_e64 s19, 0, v162
	v_not_b32_e32 v158, v162
	v_not_b32_e32 v162, v163
	v_ashrrev_i32_e32 v157, 31, v157
	v_cmp_gt_i32_e64 s20, 0, v163
	v_cmp_gt_i32_e64 s21, 0, v165
	v_ashrrev_i32_e32 v158, 31, v158
	s_delay_alu instid0(VALU_DEP_4) | instskip(SKIP_3) | instid1(VALU_DEP_4)
	v_dual_ashrrev_i32 v162, 31, v162 :: v_dual_bitop2_b32 v157, s18, v157 bitop3:0x14
	v_not_b32_e32 v163, v165
	v_not_b32_e32 v165, v167
	v_cmp_gt_i32_e64 s22, 0, v167
	v_xor_b32_e32 v162, s20, v162
	v_bitop3_b32 v62, v62, v157, v63 bitop3:0x80
	v_mad_u32_u24 v63, v159, 36, v23
	v_dual_ashrrev_i32 v163, 31, v163 :: v_dual_ashrrev_i32 v165, 31, v165
	ds_load_b32 v157, v63 offset:544
	v_mul_u32_u24_e32 v63, 36, v159
	v_xor_b32_e32 v158, s19, v158
	v_xor_b32_e32 v163, s21, v163
	;; [unrolled: 1-line block ×3, first 2 shown]
	s_delay_alu instid0(VALU_DEP_4) | instskip(NEXT) | instid1(VALU_DEP_4)
	v_add_nc_u32_e32 v159, v23, v63
	v_bitop3_b32 v62, v62, v162, v158 bitop3:0x80
	; wave barrier
	s_delay_alu instid0(VALU_DEP_1) | instskip(NEXT) | instid1(VALU_DEP_1)
	v_bitop3_b32 v62, v62, v165, v163 bitop3:0x80
	v_mbcnt_lo_u32_b32 v158, v62, 0
	v_cmp_ne_u32_e64 s17, 0, v62
	s_delay_alu instid0(VALU_DEP_2) | instskip(SKIP_1) | instid1(SALU_CYCLE_1)
	v_cmp_eq_u32_e32 vcc_lo, 0, v158
	s_and_b32 s18, s17, vcc_lo
	s_and_saveexec_b32 s17, s18
	s_cbranch_execz .LBB936_776
; %bb.775:                              ;   in Loop: Header=BB936_730 Depth=2
	s_wait_dscnt 0x0
	v_bcnt_u32_b32 v62, v62, v157
	ds_store_b32 v159, v62 offset:544
.LBB936_776:                            ;   in Loop: Header=BB936_730 Depth=2
	s_or_b32 exec_lo, exec_lo, s17
	v_xor_b32_e32 v155, 0x7fff, v155
	; wave barrier
	s_delay_alu instid0(VALU_DEP_1) | instskip(NEXT) | instid1(VALU_DEP_1)
	v_and_b32_e32 v62, 0xffff, v155
	v_lshrrev_b32_e32 v62, s49, v62
	s_delay_alu instid0(VALU_DEP_1) | instskip(NEXT) | instid1(VALU_DEP_1)
	v_and_b32_e32 v165, s48, v62
	v_lshlrev_b32_e32 v162, 30, v165
	v_bitop3_b32 v63, v62, 1, s48 bitop3:0x80
	s_delay_alu instid0(VALU_DEP_1) | instskip(NEXT) | instid1(VALU_DEP_1)
	v_add_co_u32 v62, s17, v63, -1
	v_cndmask_b32_e64 v63, 0, 1, s17
	s_delay_alu instid0(VALU_DEP_4) | instskip(NEXT) | instid1(VALU_DEP_2)
	v_cmp_gt_i32_e64 s17, 0, v162
	v_cmp_ne_u32_e32 vcc_lo, 0, v63
	v_not_b32_e32 v63, v162
	v_bitop3_b32 v62, vcc_lo, exec_lo, v62 bitop3:0x48
	s_delay_alu instid0(VALU_DEP_2) | instskip(SKIP_2) | instid1(VALU_DEP_3)
	v_dual_ashrrev_i32 v63, 31, v63 :: v_dual_lshlrev_b32 v163, 29, v165
	v_dual_lshlrev_b32 v167, 28, v165 :: v_dual_lshlrev_b32 v168, 27, v165
	v_lshlrev_b32_e32 v170, 26, v165
	v_not_b32_e32 v162, v163
	v_lshlrev_b32_e32 v172, 25, v165
	v_cmp_gt_i32_e64 s18, 0, v163
	v_cmp_gt_i32_e64 s19, 0, v167
	v_not_b32_e32 v163, v167
	v_not_b32_e32 v167, v168
	v_ashrrev_i32_e32 v162, 31, v162
	v_cmp_gt_i32_e64 s20, 0, v168
	v_cmp_gt_i32_e64 s21, 0, v170
	v_not_b32_e32 v168, v170
	v_not_b32_e32 v170, v172
	v_dual_ashrrev_i32 v163, 31, v163 :: v_dual_bitop2_b32 v162, s18, v162 bitop3:0x14
	s_delay_alu instid0(VALU_DEP_3) | instskip(NEXT) | instid1(VALU_DEP_3)
	v_dual_ashrrev_i32 v167, 31, v167 :: v_dual_ashrrev_i32 v168, 31, v168
	v_dual_ashrrev_i32 v170, 31, v170 :: v_dual_bitop2_b32 v63, s17, v63 bitop3:0x14
	v_cmp_gt_i32_e64 s22, 0, v172
	s_delay_alu instid0(VALU_DEP_4) | instskip(NEXT) | instid1(VALU_DEP_4)
	v_xor_b32_e32 v163, s19, v163
	v_xor_b32_e32 v167, s20, v167
	s_delay_alu instid0(VALU_DEP_4) | instskip(SKIP_2) | instid1(VALU_DEP_3)
	v_bitop3_b32 v62, v62, v162, v63 bitop3:0x80
	v_mad_u32_u24 v63, v165, 36, v23
	v_xor_b32_e32 v170, s22, v170
	v_bitop3_b32 v62, v62, v167, v163 bitop3:0x80
	ds_load_b32 v162, v63 offset:544
	v_mul_u32_u24_e32 v63, 36, v165
	v_xor_b32_e32 v168, s21, v168
	; wave barrier
	s_delay_alu instid0(VALU_DEP_2) | instskip(NEXT) | instid1(VALU_DEP_2)
	v_add_nc_u32_e32 v165, v23, v63
	v_bitop3_b32 v62, v62, v170, v168 bitop3:0x80
	s_delay_alu instid0(VALU_DEP_1) | instskip(SKIP_1) | instid1(VALU_DEP_2)
	v_mbcnt_lo_u32_b32 v163, v62, 0
	v_cmp_ne_u32_e64 s17, 0, v62
	v_cmp_eq_u32_e32 vcc_lo, 0, v163
	s_and_b32 s18, s17, vcc_lo
	s_delay_alu instid0(SALU_CYCLE_1)
	s_and_saveexec_b32 s17, s18
	s_cbranch_execz .LBB936_778
; %bb.777:                              ;   in Loop: Header=BB936_730 Depth=2
	s_wait_dscnt 0x0
	v_bcnt_u32_b32 v62, v62, v162
	ds_store_b32 v165, v62 offset:544
.LBB936_778:                            ;   in Loop: Header=BB936_730 Depth=2
	s_or_b32 exec_lo, exec_lo, s17
	v_xor_b32_e32 v160, 0x7fff, v160
	; wave barrier
	s_delay_alu instid0(VALU_DEP_1) | instskip(NEXT) | instid1(VALU_DEP_1)
	v_and_b32_e32 v62, 0xffff, v160
	v_lshrrev_b32_e32 v62, s49, v62
	s_delay_alu instid0(VALU_DEP_1) | instskip(SKIP_1) | instid1(VALU_DEP_2)
	v_bitop3_b32 v63, v62, 1, s48 bitop3:0x80
	v_and_b32_e32 v170, s48, v62
	v_add_co_u32 v62, s17, v63, -1
	s_delay_alu instid0(VALU_DEP_1) | instskip(NEXT) | instid1(VALU_DEP_3)
	v_cndmask_b32_e64 v63, 0, 1, s17
	v_dual_lshlrev_b32 v167, 30, v170 :: v_dual_lshlrev_b32 v168, 29, v170
	s_delay_alu instid0(VALU_DEP_2) | instskip(NEXT) | instid1(VALU_DEP_2)
	v_cmp_ne_u32_e32 vcc_lo, 0, v63
	v_cmp_gt_i32_e64 s17, 0, v167
	v_not_b32_e32 v63, v167
	s_delay_alu instid0(VALU_DEP_4) | instskip(SKIP_2) | instid1(VALU_DEP_4)
	v_not_b32_e32 v167, v168
	v_cmp_gt_i32_e64 s18, 0, v168
	v_bitop3_b32 v62, vcc_lo, exec_lo, v62 bitop3:0x48
	v_ashrrev_i32_e32 v63, 31, v63
	s_delay_alu instid0(VALU_DEP_4) | instskip(SKIP_1) | instid1(VALU_DEP_3)
	v_dual_ashrrev_i32 v167, 31, v167 :: v_dual_lshlrev_b32 v172, 28, v170
	v_dual_lshlrev_b32 v173, 27, v170 :: v_dual_lshlrev_b32 v175, 26, v170
	v_dual_lshlrev_b32 v177, 25, v170 :: v_dual_bitop2_b32 v63, s17, v63 bitop3:0x14
	s_delay_alu instid0(VALU_DEP_3) | instskip(SKIP_1) | instid1(VALU_DEP_4)
	v_cmp_gt_i32_e64 s19, 0, v172
	v_not_b32_e32 v168, v172
	v_not_b32_e32 v172, v173
	v_xor_b32_e32 v167, s18, v167
	v_cmp_gt_i32_e64 s20, 0, v173
	v_cmp_gt_i32_e64 s21, 0, v175
	v_ashrrev_i32_e32 v168, 31, v168
	v_ashrrev_i32_e32 v172, 31, v172
	v_not_b32_e32 v173, v175
	v_not_b32_e32 v175, v177
	v_bitop3_b32 v62, v62, v167, v63 bitop3:0x80
	v_mad_u32_u24 v63, v170, 36, v23
	v_cmp_gt_i32_e64 s22, 0, v177
	s_delay_alu instid0(VALU_DEP_4)
	v_dual_ashrrev_i32 v173, 31, v173 :: v_dual_ashrrev_i32 v175, 31, v175
	v_xor_b32_e32 v172, s20, v172
	ds_load_b32 v167, v63 offset:544
	v_mul_u32_u24_e32 v63, 36, v170
	v_xor_b32_e32 v168, s19, v168
	v_xor_b32_e32 v173, s21, v173
	;; [unrolled: 1-line block ×3, first 2 shown]
	s_delay_alu instid0(VALU_DEP_4) | instskip(NEXT) | instid1(VALU_DEP_4)
	v_add_nc_u32_e32 v170, v23, v63
	v_bitop3_b32 v62, v62, v172, v168 bitop3:0x80
	; wave barrier
	s_delay_alu instid0(VALU_DEP_1) | instskip(NEXT) | instid1(VALU_DEP_1)
	v_bitop3_b32 v62, v62, v175, v173 bitop3:0x80
	v_mbcnt_lo_u32_b32 v168, v62, 0
	v_cmp_ne_u32_e64 s17, 0, v62
	s_delay_alu instid0(VALU_DEP_2) | instskip(SKIP_1) | instid1(SALU_CYCLE_1)
	v_cmp_eq_u32_e32 vcc_lo, 0, v168
	s_and_b32 s18, s17, vcc_lo
	s_and_saveexec_b32 s17, s18
	s_cbranch_execz .LBB936_780
; %bb.779:                              ;   in Loop: Header=BB936_730 Depth=2
	s_wait_dscnt 0x0
	v_bcnt_u32_b32 v62, v62, v167
	ds_store_b32 v170, v62 offset:544
.LBB936_780:                            ;   in Loop: Header=BB936_730 Depth=2
	s_or_b32 exec_lo, exec_lo, s17
	v_xor_b32_e32 v166, 0x7fff, v166
	; wave barrier
	s_delay_alu instid0(VALU_DEP_1) | instskip(NEXT) | instid1(VALU_DEP_1)
	v_and_b32_e32 v62, 0xffff, v166
	v_lshrrev_b32_e32 v62, s49, v62
	s_delay_alu instid0(VALU_DEP_1) | instskip(NEXT) | instid1(VALU_DEP_1)
	v_and_b32_e32 v175, s48, v62
	v_lshlrev_b32_e32 v172, 30, v175
	v_bitop3_b32 v63, v62, 1, s48 bitop3:0x80
	s_delay_alu instid0(VALU_DEP_1) | instskip(NEXT) | instid1(VALU_DEP_1)
	v_add_co_u32 v62, s17, v63, -1
	v_cndmask_b32_e64 v63, 0, 1, s17
	s_delay_alu instid0(VALU_DEP_4) | instskip(NEXT) | instid1(VALU_DEP_2)
	v_cmp_gt_i32_e64 s17, 0, v172
	v_cmp_ne_u32_e32 vcc_lo, 0, v63
	v_not_b32_e32 v63, v172
	v_bitop3_b32 v62, vcc_lo, exec_lo, v62 bitop3:0x48
	s_delay_alu instid0(VALU_DEP_2) | instskip(SKIP_2) | instid1(VALU_DEP_3)
	v_ashrrev_i32_e32 v63, 31, v63
	v_dual_lshlrev_b32 v173, 29, v175 :: v_dual_lshlrev_b32 v177, 28, v175
	v_dual_lshlrev_b32 v178, 27, v175 :: v_dual_lshlrev_b32 v179, 26, v175
	v_xor_b32_e32 v63, s17, v63
	s_delay_alu instid0(VALU_DEP_3)
	v_not_b32_e32 v172, v173
	v_lshlrev_b32_e32 v180, 25, v175
	v_cmp_gt_i32_e64 s18, 0, v173
	v_cmp_gt_i32_e64 s19, 0, v177
	v_not_b32_e32 v173, v177
	v_not_b32_e32 v177, v178
	v_ashrrev_i32_e32 v172, 31, v172
	v_cmp_gt_i32_e64 s20, 0, v178
	v_cmp_gt_i32_e64 s21, 0, v179
	v_ashrrev_i32_e32 v173, 31, v173
	s_delay_alu instid0(VALU_DEP_4) | instskip(SKIP_3) | instid1(VALU_DEP_4)
	v_dual_ashrrev_i32 v177, 31, v177 :: v_dual_bitop2_b32 v172, s18, v172 bitop3:0x14
	v_not_b32_e32 v178, v179
	v_not_b32_e32 v179, v180
	v_cmp_gt_i32_e64 s22, 0, v180
	v_xor_b32_e32 v177, s20, v177
	v_bitop3_b32 v62, v62, v172, v63 bitop3:0x80
	v_mad_u32_u24 v63, v175, 36, v23
	v_dual_ashrrev_i32 v178, 31, v178 :: v_dual_ashrrev_i32 v179, 31, v179
	ds_load_b32 v172, v63 offset:544
	v_mul_u32_u24_e32 v63, 36, v175
	v_xor_b32_e32 v173, s19, v173
	v_xor_b32_e32 v178, s21, v178
	;; [unrolled: 1-line block ×3, first 2 shown]
	s_delay_alu instid0(VALU_DEP_4) | instskip(NEXT) | instid1(VALU_DEP_4)
	v_add_nc_u32_e32 v175, v23, v63
	v_bitop3_b32 v62, v62, v177, v173 bitop3:0x80
	; wave barrier
	s_delay_alu instid0(VALU_DEP_1) | instskip(NEXT) | instid1(VALU_DEP_1)
	v_bitop3_b32 v62, v62, v179, v178 bitop3:0x80
	v_mbcnt_lo_u32_b32 v173, v62, 0
	v_cmp_ne_u32_e64 s17, 0, v62
	s_delay_alu instid0(VALU_DEP_2) | instskip(SKIP_1) | instid1(SALU_CYCLE_1)
	v_cmp_eq_u32_e32 vcc_lo, 0, v173
	s_and_b32 s18, s17, vcc_lo
	s_and_saveexec_b32 s17, s18
	s_cbranch_execz .LBB936_782
; %bb.781:                              ;   in Loop: Header=BB936_730 Depth=2
	s_wait_dscnt 0x0
	v_bcnt_u32_b32 v62, v62, v172
	ds_store_b32 v175, v62 offset:544
.LBB936_782:                            ;   in Loop: Header=BB936_730 Depth=2
	s_or_b32 exec_lo, exec_lo, s17
	v_xor_b32_e32 v171, 0x7fff, v171
	; wave barrier
	s_delay_alu instid0(VALU_DEP_1) | instskip(NEXT) | instid1(VALU_DEP_1)
	v_and_b32_e32 v62, 0xffff, v171
	v_lshrrev_b32_e32 v62, s49, v62
	s_delay_alu instid0(VALU_DEP_1) | instskip(NEXT) | instid1(VALU_DEP_1)
	v_and_b32_e32 v179, s48, v62
	v_lshlrev_b32_e32 v177, 30, v179
	v_bitop3_b32 v63, v62, 1, s48 bitop3:0x80
	s_delay_alu instid0(VALU_DEP_1) | instskip(NEXT) | instid1(VALU_DEP_1)
	v_add_co_u32 v62, s17, v63, -1
	v_cndmask_b32_e64 v63, 0, 1, s17
	s_delay_alu instid0(VALU_DEP_4) | instskip(NEXT) | instid1(VALU_DEP_2)
	v_cmp_gt_i32_e64 s17, 0, v177
	v_cmp_ne_u32_e32 vcc_lo, 0, v63
	v_not_b32_e32 v63, v177
	v_bitop3_b32 v62, vcc_lo, exec_lo, v62 bitop3:0x48
	s_delay_alu instid0(VALU_DEP_2) | instskip(SKIP_2) | instid1(VALU_DEP_2)
	v_ashrrev_i32_e32 v63, 31, v63
	v_dual_lshlrev_b32 v178, 29, v179 :: v_dual_lshlrev_b32 v180, 28, v179
	v_dual_lshlrev_b32 v181, 27, v179 :: v_dual_lshlrev_b32 v182, 26, v179
	v_not_b32_e32 v177, v178
	v_lshlrev_b32_e32 v183, 25, v179
	v_cmp_gt_i32_e64 s18, 0, v178
	v_cmp_gt_i32_e64 s19, 0, v180
	v_not_b32_e32 v178, v180
	v_ashrrev_i32_e32 v177, 31, v177
	v_cmp_gt_i32_e64 s20, 0, v181
	v_not_b32_e32 v180, v181
	v_cmp_gt_i32_e64 s21, 0, v182
	v_not_b32_e32 v181, v182
	v_not_b32_e32 v182, v183
	v_xor_b32_e32 v63, s17, v63
	v_dual_ashrrev_i32 v178, 31, v178 :: v_dual_bitop2_b32 v177, s18, v177 bitop3:0x14
	s_delay_alu instid0(VALU_DEP_4) | instskip(NEXT) | instid1(VALU_DEP_4)
	v_dual_ashrrev_i32 v180, 31, v180 :: v_dual_ashrrev_i32 v181, 31, v181
	v_ashrrev_i32_e32 v182, 31, v182
	s_delay_alu instid0(VALU_DEP_3)
	v_bitop3_b32 v62, v62, v177, v63 bitop3:0x80
	v_mad_u32_u24 v63, v179, 36, v23
	v_cmp_gt_i32_e64 s22, 0, v183
	v_xor_b32_e32 v180, s20, v180
	v_xor_b32_e32 v181, s21, v181
	ds_load_b32 v177, v63 offset:544
	v_mul_u32_u24_e32 v63, 36, v179
	v_xor_b32_e32 v178, s19, v178
	v_xor_b32_e32 v182, s22, v182
	; wave barrier
	s_delay_alu instid0(VALU_DEP_3) | instskip(NEXT) | instid1(VALU_DEP_3)
	v_add_nc_u32_e32 v179, v23, v63
	v_bitop3_b32 v62, v62, v180, v178 bitop3:0x80
	s_delay_alu instid0(VALU_DEP_1) | instskip(NEXT) | instid1(VALU_DEP_1)
	v_bitop3_b32 v62, v62, v182, v181 bitop3:0x80
	v_mbcnt_lo_u32_b32 v178, v62, 0
	v_cmp_ne_u32_e64 s17, 0, v62
	s_delay_alu instid0(VALU_DEP_2) | instskip(SKIP_1) | instid1(SALU_CYCLE_1)
	v_cmp_eq_u32_e32 vcc_lo, 0, v178
	s_and_b32 s18, s17, vcc_lo
	s_and_saveexec_b32 s17, s18
	s_cbranch_execz .LBB936_784
; %bb.783:                              ;   in Loop: Header=BB936_730 Depth=2
	s_wait_dscnt 0x0
	v_bcnt_u32_b32 v62, v62, v177
	ds_store_b32 v179, v62 offset:544
.LBB936_784:                            ;   in Loop: Header=BB936_730 Depth=2
	s_or_b32 exec_lo, exec_lo, s17
	v_xor_b32_e32 v176, 0x7fff, v176
	; wave barrier
	s_delay_alu instid0(VALU_DEP_1) | instskip(NEXT) | instid1(VALU_DEP_1)
	v_and_b32_e32 v62, 0xffff, v176
	v_lshrrev_b32_e32 v62, s49, v62
	s_delay_alu instid0(VALU_DEP_1) | instskip(SKIP_1) | instid1(VALU_DEP_2)
	v_bitop3_b32 v63, v62, 1, s48 bitop3:0x80
	v_and_b32_e32 v182, s48, v62
	v_add_co_u32 v62, s17, v63, -1
	s_delay_alu instid0(VALU_DEP_1) | instskip(NEXT) | instid1(VALU_DEP_3)
	v_cndmask_b32_e64 v63, 0, 1, s17
	v_dual_lshlrev_b32 v180, 30, v182 :: v_dual_lshlrev_b32 v181, 29, v182
	s_delay_alu instid0(VALU_DEP_2) | instskip(NEXT) | instid1(VALU_DEP_2)
	v_cmp_ne_u32_e32 vcc_lo, 0, v63
	v_cmp_gt_i32_e64 s17, 0, v180
	v_not_b32_e32 v63, v180
	s_delay_alu instid0(VALU_DEP_4) | instskip(SKIP_2) | instid1(VALU_DEP_3)
	v_not_b32_e32 v180, v181
	v_cmp_gt_i32_e64 s18, 0, v181
	v_bitop3_b32 v62, vcc_lo, exec_lo, v62 bitop3:0x48
	v_dual_ashrrev_i32 v63, 31, v63 :: v_dual_ashrrev_i32 v180, 31, v180
	v_dual_lshlrev_b32 v183, 28, v182 :: v_dual_lshlrev_b32 v184, 27, v182
	v_dual_lshlrev_b32 v185, 26, v182 :: v_dual_lshlrev_b32 v186, 25, v182
	s_delay_alu instid0(VALU_DEP_2) | instskip(SKIP_1) | instid1(VALU_DEP_4)
	v_cmp_gt_i32_e64 s19, 0, v183
	v_not_b32_e32 v181, v183
	v_cmp_gt_i32_e64 s20, 0, v184
	v_not_b32_e32 v183, v184
	;; [unrolled: 2-line block ×3, first 2 shown]
	v_not_b32_e32 v185, v186
	v_xor_b32_e32 v63, s17, v63
	v_dual_ashrrev_i32 v181, 31, v181 :: v_dual_bitop2_b32 v180, s18, v180 bitop3:0x14
	s_delay_alu instid0(VALU_DEP_4) | instskip(NEXT) | instid1(VALU_DEP_4)
	v_dual_ashrrev_i32 v183, 31, v183 :: v_dual_ashrrev_i32 v184, 31, v184
	v_ashrrev_i32_e32 v185, 31, v185
	s_delay_alu instid0(VALU_DEP_3)
	v_bitop3_b32 v62, v62, v180, v63 bitop3:0x80
	v_mad_u32_u24 v63, v182, 36, v23
	v_cmp_gt_i32_e64 s22, 0, v186
	v_xor_b32_e32 v183, s20, v183
	v_xor_b32_e32 v184, s21, v184
	ds_load_b32 v180, v63 offset:544
	v_mul_u32_u24_e32 v63, 36, v182
	v_xor_b32_e32 v181, s19, v181
	v_xor_b32_e32 v185, s22, v185
	; wave barrier
	s_delay_alu instid0(VALU_DEP_3) | instskip(NEXT) | instid1(VALU_DEP_3)
	v_add_nc_u32_e32 v182, v23, v63
	v_bitop3_b32 v62, v62, v183, v181 bitop3:0x80
	s_delay_alu instid0(VALU_DEP_1) | instskip(NEXT) | instid1(VALU_DEP_1)
	v_bitop3_b32 v62, v62, v185, v184 bitop3:0x80
	v_mbcnt_lo_u32_b32 v181, v62, 0
	v_cmp_ne_u32_e64 s17, 0, v62
	s_delay_alu instid0(VALU_DEP_2) | instskip(SKIP_1) | instid1(SALU_CYCLE_1)
	v_cmp_eq_u32_e32 vcc_lo, 0, v181
	s_and_b32 s18, s17, vcc_lo
	s_and_saveexec_b32 s17, s18
	s_cbranch_execz .LBB936_786
; %bb.785:                              ;   in Loop: Header=BB936_730 Depth=2
	s_wait_dscnt 0x0
	v_bcnt_u32_b32 v62, v62, v180
	ds_store_b32 v182, v62 offset:544
.LBB936_786:                            ;   in Loop: Header=BB936_730 Depth=2
	s_or_b32 exec_lo, exec_lo, s17
	v_xor_b32_e32 v174, 0x7fff, v174
	; wave barrier
	s_delay_alu instid0(VALU_DEP_1) | instskip(NEXT) | instid1(VALU_DEP_1)
	v_and_b32_e32 v62, 0xffff, v174
	v_lshrrev_b32_e32 v62, s49, v62
	s_delay_alu instid0(VALU_DEP_1) | instskip(NEXT) | instid1(VALU_DEP_1)
	v_and_b32_e32 v185, s48, v62
	v_lshlrev_b32_e32 v183, 30, v185
	v_bitop3_b32 v63, v62, 1, s48 bitop3:0x80
	s_delay_alu instid0(VALU_DEP_1) | instskip(NEXT) | instid1(VALU_DEP_1)
	v_add_co_u32 v62, s17, v63, -1
	v_cndmask_b32_e64 v63, 0, 1, s17
	s_delay_alu instid0(VALU_DEP_4) | instskip(NEXT) | instid1(VALU_DEP_2)
	v_cmp_gt_i32_e64 s17, 0, v183
	v_cmp_ne_u32_e32 vcc_lo, 0, v63
	v_not_b32_e32 v63, v183
	v_bitop3_b32 v62, vcc_lo, exec_lo, v62 bitop3:0x48
	s_delay_alu instid0(VALU_DEP_2) | instskip(SKIP_2) | instid1(VALU_DEP_3)
	v_dual_ashrrev_i32 v63, 31, v63 :: v_dual_lshlrev_b32 v184, 29, v185
	v_dual_lshlrev_b32 v186, 28, v185 :: v_dual_lshlrev_b32 v187, 27, v185
	v_lshlrev_b32_e32 v188, 26, v185
	v_not_b32_e32 v183, v184
	v_lshlrev_b32_e32 v189, 25, v185
	v_cmp_gt_i32_e64 s18, 0, v184
	v_cmp_gt_i32_e64 s19, 0, v186
	v_not_b32_e32 v184, v186
	v_ashrrev_i32_e32 v183, 31, v183
	v_cmp_gt_i32_e64 s20, 0, v187
	v_not_b32_e32 v186, v187
	v_cmp_gt_i32_e64 s21, 0, v188
	v_not_b32_e32 v187, v188
	v_not_b32_e32 v188, v189
	v_xor_b32_e32 v63, s17, v63
	v_dual_ashrrev_i32 v184, 31, v184 :: v_dual_bitop2_b32 v183, s18, v183 bitop3:0x14
	s_delay_alu instid0(VALU_DEP_3) | instskip(SKIP_1) | instid1(VALU_DEP_3)
	v_dual_ashrrev_i32 v186, 31, v186 :: v_dual_ashrrev_i32 v188, 31, v188
	v_cmp_gt_i32_e64 s22, 0, v189
	v_bitop3_b32 v62, v62, v183, v63 bitop3:0x80
	v_mad_u32_u24 v63, v185, 36, v23
	v_dual_ashrrev_i32 v187, 31, v187 :: v_dual_bitop2_b32 v184, s19, v184 bitop3:0x14
	s_delay_alu instid0(VALU_DEP_4) | instskip(SKIP_4) | instid1(VALU_DEP_3)
	v_xor_b32_e32 v188, s22, v188
	ds_load_b32 v183, v63 offset:544
	v_mul_u32_u24_e32 v63, 36, v185
	v_xor_b32_e32 v186, s20, v186
	v_xor_b32_e32 v187, s21, v187
	; wave barrier
	v_add_nc_u32_e32 v185, v23, v63
	s_delay_alu instid0(VALU_DEP_3) | instskip(NEXT) | instid1(VALU_DEP_1)
	v_bitop3_b32 v62, v62, v186, v184 bitop3:0x80
	v_bitop3_b32 v62, v62, v188, v187 bitop3:0x80
	s_delay_alu instid0(VALU_DEP_1) | instskip(SKIP_1) | instid1(VALU_DEP_2)
	v_mbcnt_lo_u32_b32 v184, v62, 0
	v_cmp_ne_u32_e64 s17, 0, v62
	v_cmp_eq_u32_e32 vcc_lo, 0, v184
	s_and_b32 s18, s17, vcc_lo
	s_delay_alu instid0(SALU_CYCLE_1)
	s_and_saveexec_b32 s17, s18
	s_cbranch_execz .LBB936_788
; %bb.787:                              ;   in Loop: Header=BB936_730 Depth=2
	s_wait_dscnt 0x0
	v_bcnt_u32_b32 v62, v62, v183
	ds_store_b32 v185, v62 offset:544
.LBB936_788:                            ;   in Loop: Header=BB936_730 Depth=2
	s_or_b32 exec_lo, exec_lo, s17
	v_xor_b32_e32 v169, 0x7fff, v169
	; wave barrier
	s_delay_alu instid0(VALU_DEP_1) | instskip(NEXT) | instid1(VALU_DEP_1)
	v_and_b32_e32 v62, 0xffff, v169
	v_lshrrev_b32_e32 v62, s49, v62
	s_delay_alu instid0(VALU_DEP_1) | instskip(SKIP_1) | instid1(VALU_DEP_2)
	v_bitop3_b32 v63, v62, 1, s48 bitop3:0x80
	v_and_b32_e32 v186, s48, v62
	v_add_co_u32 v62, s17, v63, -1
	s_delay_alu instid0(VALU_DEP_1) | instskip(NEXT) | instid1(VALU_DEP_3)
	v_cndmask_b32_e64 v63, 0, 1, s17
	v_dual_lshlrev_b32 v187, 30, v186 :: v_dual_lshlrev_b32 v188, 29, v186
	s_delay_alu instid0(VALU_DEP_2) | instskip(NEXT) | instid1(VALU_DEP_2)
	v_cmp_ne_u32_e32 vcc_lo, 0, v63
	v_cmp_gt_i32_e64 s17, 0, v187
	v_not_b32_e32 v63, v187
	s_delay_alu instid0(VALU_DEP_4) | instskip(SKIP_2) | instid1(VALU_DEP_4)
	v_not_b32_e32 v187, v188
	v_cmp_gt_i32_e64 s18, 0, v188
	v_bitop3_b32 v62, vcc_lo, exec_lo, v62 bitop3:0x48
	v_ashrrev_i32_e32 v63, 31, v63
	s_delay_alu instid0(VALU_DEP_4) | instskip(SKIP_1) | instid1(VALU_DEP_2)
	v_dual_ashrrev_i32 v187, 31, v187 :: v_dual_lshlrev_b32 v189, 28, v186
	v_dual_lshlrev_b32 v190, 27, v186 :: v_dual_lshlrev_b32 v191, 26, v186
	v_dual_lshlrev_b32 v192, 25, v186 :: v_dual_bitop2_b32 v187, s18, v187 bitop3:0x14
	s_delay_alu instid0(VALU_DEP_3) | instskip(SKIP_1) | instid1(VALU_DEP_4)
	v_cmp_gt_i32_e64 s19, 0, v189
	v_not_b32_e32 v188, v189
	v_cmp_gt_i32_e64 s20, 0, v190
	v_not_b32_e32 v189, v190
	v_not_b32_e32 v190, v191
	v_xor_b32_e32 v63, s17, v63
	v_cmp_gt_i32_e64 s21, 0, v191
	v_not_b32_e32 v191, v192
	v_dual_ashrrev_i32 v188, 31, v188 :: v_dual_ashrrev_i32 v189, 31, v189
	v_ashrrev_i32_e32 v190, 31, v190
	v_bitop3_b32 v62, v62, v187, v63 bitop3:0x80
	v_mad_u32_u24 v63, v186, 36, v23
	v_cmp_gt_i32_e64 s22, 0, v192
	v_dual_ashrrev_i32 v191, 31, v191 :: v_dual_bitop2_b32 v188, s19, v188 bitop3:0x14
	v_xor_b32_e32 v190, s21, v190
	ds_load_b32 v187, v63 offset:544
	v_mul_u32_u24_e32 v63, 36, v186
	v_xor_b32_e32 v189, s20, v189
	v_xor_b32_e32 v191, s22, v191
	; wave barrier
	s_delay_alu instid0(VALU_DEP_2) | instskip(NEXT) | instid1(VALU_DEP_1)
	v_bitop3_b32 v62, v62, v189, v188 bitop3:0x80
	v_bitop3_b32 v62, v62, v191, v190 bitop3:0x80
	v_add_nc_u32_e32 v190, v23, v63
	s_delay_alu instid0(VALU_DEP_2) | instskip(SKIP_1) | instid1(VALU_DEP_2)
	v_mbcnt_lo_u32_b32 v188, v62, 0
	v_cmp_ne_u32_e64 s17, 0, v62
	v_cmp_eq_u32_e32 vcc_lo, 0, v188
	s_and_b32 s18, s17, vcc_lo
	s_delay_alu instid0(SALU_CYCLE_1)
	s_and_saveexec_b32 s17, s18
	s_cbranch_execz .LBB936_790
; %bb.789:                              ;   in Loop: Header=BB936_730 Depth=2
	s_wait_dscnt 0x0
	v_bcnt_u32_b32 v62, v62, v187
	ds_store_b32 v190, v62 offset:544
.LBB936_790:                            ;   in Loop: Header=BB936_730 Depth=2
	s_or_b32 exec_lo, exec_lo, s17
	v_xor_b32_e32 v186, 0x7fff, v164
	; wave barrier
	s_delay_alu instid0(VALU_DEP_1) | instskip(NEXT) | instid1(VALU_DEP_1)
	v_and_b32_e32 v62, 0xffff, v186
	v_lshrrev_b32_e32 v62, s49, v62
	s_delay_alu instid0(VALU_DEP_1) | instskip(NEXT) | instid1(VALU_DEP_1)
	v_and_b32_e32 v164, s48, v62
	v_lshlrev_b32_e32 v189, 30, v164
	v_bitop3_b32 v63, v62, 1, s48 bitop3:0x80
	s_delay_alu instid0(VALU_DEP_1) | instskip(NEXT) | instid1(VALU_DEP_1)
	v_add_co_u32 v62, s17, v63, -1
	v_cndmask_b32_e64 v63, 0, 1, s17
	s_delay_alu instid0(VALU_DEP_4) | instskip(NEXT) | instid1(VALU_DEP_2)
	v_cmp_gt_i32_e64 s17, 0, v189
	v_cmp_ne_u32_e32 vcc_lo, 0, v63
	v_not_b32_e32 v63, v189
	v_bitop3_b32 v62, vcc_lo, exec_lo, v62 bitop3:0x48
	s_delay_alu instid0(VALU_DEP_2) | instskip(SKIP_2) | instid1(VALU_DEP_3)
	v_dual_ashrrev_i32 v63, 31, v63 :: v_dual_lshlrev_b32 v191, 29, v164
	v_dual_lshlrev_b32 v192, 28, v164 :: v_dual_lshlrev_b32 v193, 27, v164
	v_lshlrev_b32_e32 v194, 26, v164
	v_not_b32_e32 v189, v191
	v_lshlrev_b32_e32 v195, 25, v164
	v_cmp_gt_i32_e64 s18, 0, v191
	v_cmp_gt_i32_e64 s19, 0, v192
	v_not_b32_e32 v191, v192
	v_not_b32_e32 v192, v193
	v_ashrrev_i32_e32 v189, 31, v189
	v_cmp_gt_i32_e64 s20, 0, v193
	v_cmp_gt_i32_e64 s21, 0, v194
	v_not_b32_e32 v193, v194
	v_not_b32_e32 v194, v195
	v_dual_ashrrev_i32 v191, 31, v191 :: v_dual_ashrrev_i32 v192, 31, v192
	s_delay_alu instid0(VALU_DEP_3) | instskip(NEXT) | instid1(VALU_DEP_3)
	v_dual_ashrrev_i32 v193, 31, v193 :: v_dual_bitop2_b32 v63, s17, v63 bitop3:0x14
	v_dual_ashrrev_i32 v194, 31, v194 :: v_dual_bitop2_b32 v189, s18, v189 bitop3:0x14
	v_cmp_gt_i32_e64 s22, 0, v195
	s_delay_alu instid0(VALU_DEP_4) | instskip(SKIP_1) | instid1(VALU_DEP_4)
	v_xor_b32_e32 v191, s19, v191
	v_xor_b32_e32 v192, s20, v192
	v_bitop3_b32 v62, v62, v189, v63 bitop3:0x80
	v_mad_u32_u24 v63, v164, 36, v23
	v_xor_b32_e32 v189, s21, v193
	v_xor_b32_e32 v193, s22, v194
	s_delay_alu instid0(VALU_DEP_4) | instskip(SKIP_3) | instid1(VALU_DEP_2)
	v_bitop3_b32 v62, v62, v192, v191 bitop3:0x80
	ds_load_b32 v191, v63 offset:544
	v_mul_u32_u24_e32 v63, 36, v164
	; wave barrier
	v_bitop3_b32 v62, v62, v193, v189 bitop3:0x80
	v_add_nc_u32_e32 v164, v23, v63
	s_delay_alu instid0(VALU_DEP_2) | instskip(SKIP_1) | instid1(VALU_DEP_2)
	v_mbcnt_lo_u32_b32 v192, v62, 0
	v_cmp_ne_u32_e64 s17, 0, v62
	v_cmp_eq_u32_e32 vcc_lo, 0, v192
	s_and_b32 s18, s17, vcc_lo
	s_delay_alu instid0(SALU_CYCLE_1)
	s_and_saveexec_b32 s17, s18
	s_cbranch_execz .LBB936_792
; %bb.791:                              ;   in Loop: Header=BB936_730 Depth=2
	s_wait_dscnt 0x0
	v_bcnt_u32_b32 v62, v62, v191
	ds_store_b32 v164, v62 offset:544
.LBB936_792:                            ;   in Loop: Header=BB936_730 Depth=2
	s_or_b32 exec_lo, exec_lo, s17
	v_xor_b32_e32 v189, 0x7fff, v161
	; wave barrier
	s_delay_alu instid0(VALU_DEP_1) | instskip(NEXT) | instid1(VALU_DEP_1)
	v_and_b32_e32 v62, 0xffff, v189
	v_lshrrev_b32_e32 v62, s49, v62
	s_delay_alu instid0(VALU_DEP_1) | instskip(NEXT) | instid1(VALU_DEP_1)
	v_and_b32_e32 v161, s48, v62
	v_lshlrev_b32_e32 v193, 30, v161
	v_bitop3_b32 v63, v62, 1, s48 bitop3:0x80
	s_delay_alu instid0(VALU_DEP_1) | instskip(NEXT) | instid1(VALU_DEP_1)
	v_add_co_u32 v62, s17, v63, -1
	v_cndmask_b32_e64 v63, 0, 1, s17
	s_delay_alu instid0(VALU_DEP_4) | instskip(NEXT) | instid1(VALU_DEP_2)
	v_cmp_gt_i32_e64 s17, 0, v193
	v_cmp_ne_u32_e32 vcc_lo, 0, v63
	v_not_b32_e32 v63, v193
	v_bitop3_b32 v62, vcc_lo, exec_lo, v62 bitop3:0x48
	s_delay_alu instid0(VALU_DEP_2) | instskip(SKIP_2) | instid1(VALU_DEP_3)
	v_dual_ashrrev_i32 v63, 31, v63 :: v_dual_lshlrev_b32 v194, 29, v161
	v_dual_lshlrev_b32 v195, 28, v161 :: v_dual_lshlrev_b32 v196, 27, v161
	v_lshlrev_b32_e32 v197, 26, v161
	v_not_b32_e32 v193, v194
	v_cmp_gt_i32_e64 s18, 0, v194
	s_delay_alu instid0(VALU_DEP_4)
	v_cmp_gt_i32_e64 s19, 0, v195
	v_not_b32_e32 v194, v195
	v_lshlrev_b32_e32 v198, 25, v161
	v_not_b32_e32 v195, v196
	v_ashrrev_i32_e32 v193, 31, v193
	v_cmp_gt_i32_e64 s20, 0, v196
	v_cmp_gt_i32_e64 s21, 0, v197
	v_not_b32_e32 v196, v197
	v_ashrrev_i32_e32 v194, 31, v194
	v_not_b32_e32 v197, v198
	v_ashrrev_i32_e32 v195, 31, v195
	s_delay_alu instid0(VALU_DEP_4) | instskip(SKIP_4) | instid1(VALU_DEP_4)
	v_dual_ashrrev_i32 v196, 31, v196 :: v_dual_bitop2_b32 v63, s17, v63 bitop3:0x14
	v_xor_b32_e32 v193, s18, v193
	v_cmp_gt_i32_e64 s22, 0, v198
	v_dual_ashrrev_i32 v197, 31, v197 :: v_dual_bitop2_b32 v194, s19, v194 bitop3:0x14
	v_xor_b32_e32 v195, s20, v195
	v_bitop3_b32 v62, v62, v193, v63 bitop3:0x80
	v_mad_u32_u24 v63, v161, 36, v23
	v_xor_b32_e32 v193, s21, v196
	v_xor_b32_e32 v196, s22, v197
	s_delay_alu instid0(VALU_DEP_4) | instskip(SKIP_3) | instid1(VALU_DEP_2)
	v_bitop3_b32 v62, v62, v195, v194 bitop3:0x80
	ds_load_b32 v194, v63 offset:544
	v_mul_u32_u24_e32 v63, 36, v161
	; wave barrier
	v_bitop3_b32 v62, v62, v196, v193 bitop3:0x80
	v_add_nc_u32_e32 v161, v23, v63
	s_delay_alu instid0(VALU_DEP_2) | instskip(SKIP_1) | instid1(VALU_DEP_2)
	v_mbcnt_lo_u32_b32 v195, v62, 0
	v_cmp_ne_u32_e64 s17, 0, v62
	v_cmp_eq_u32_e32 vcc_lo, 0, v195
	s_and_b32 s18, s17, vcc_lo
	s_delay_alu instid0(SALU_CYCLE_1)
	s_and_saveexec_b32 s17, s18
	s_cbranch_execz .LBB936_794
; %bb.793:                              ;   in Loop: Header=BB936_730 Depth=2
	s_wait_dscnt 0x0
	v_bcnt_u32_b32 v62, v62, v194
	ds_store_b32 v161, v62 offset:544
.LBB936_794:                            ;   in Loop: Header=BB936_730 Depth=2
	s_or_b32 exec_lo, exec_lo, s17
	v_xor_b32_e32 v193, 0x7fff, v156
	; wave barrier
	s_delay_alu instid0(VALU_DEP_1) | instskip(NEXT) | instid1(VALU_DEP_1)
	v_and_b32_e32 v62, 0xffff, v193
	v_lshrrev_b32_e32 v62, s49, v62
	s_delay_alu instid0(VALU_DEP_1) | instskip(NEXT) | instid1(VALU_DEP_1)
	v_and_b32_e32 v156, s48, v62
	v_lshlrev_b32_e32 v196, 30, v156
	v_bitop3_b32 v63, v62, 1, s48 bitop3:0x80
	s_delay_alu instid0(VALU_DEP_1) | instskip(NEXT) | instid1(VALU_DEP_1)
	v_add_co_u32 v62, s17, v63, -1
	v_cndmask_b32_e64 v63, 0, 1, s17
	s_delay_alu instid0(VALU_DEP_4) | instskip(NEXT) | instid1(VALU_DEP_2)
	v_cmp_gt_i32_e64 s17, 0, v196
	v_cmp_ne_u32_e32 vcc_lo, 0, v63
	v_not_b32_e32 v63, v196
	v_bitop3_b32 v62, vcc_lo, exec_lo, v62 bitop3:0x48
	s_delay_alu instid0(VALU_DEP_2) | instskip(SKIP_2) | instid1(VALU_DEP_3)
	v_dual_ashrrev_i32 v63, 31, v63 :: v_dual_lshlrev_b32 v197, 29, v156
	v_dual_lshlrev_b32 v198, 28, v156 :: v_dual_lshlrev_b32 v199, 27, v156
	v_lshlrev_b32_e32 v200, 26, v156
	v_not_b32_e32 v196, v197
	v_cmp_gt_i32_e64 s18, 0, v197
	s_delay_alu instid0(VALU_DEP_4)
	v_cmp_gt_i32_e64 s19, 0, v198
	v_not_b32_e32 v197, v198
	v_lshlrev_b32_e32 v201, 25, v156
	v_not_b32_e32 v198, v199
	v_ashrrev_i32_e32 v196, 31, v196
	v_cmp_gt_i32_e64 s20, 0, v199
	v_cmp_gt_i32_e64 s21, 0, v200
	v_not_b32_e32 v199, v200
	v_ashrrev_i32_e32 v197, 31, v197
	v_not_b32_e32 v200, v201
	v_dual_ashrrev_i32 v198, 31, v198 :: v_dual_bitop2_b32 v63, s17, v63 bitop3:0x14
	s_delay_alu instid0(VALU_DEP_4) | instskip(SKIP_1) | instid1(VALU_DEP_4)
	v_dual_ashrrev_i32 v199, 31, v199 :: v_dual_bitop2_b32 v196, s18, v196 bitop3:0x14
	v_cmp_gt_i32_e64 s22, 0, v201
	v_dual_ashrrev_i32 v200, 31, v200 :: v_dual_bitop2_b32 v197, s19, v197 bitop3:0x14
	s_delay_alu instid0(VALU_DEP_4) | instskip(NEXT) | instid1(VALU_DEP_4)
	v_xor_b32_e32 v198, s20, v198
	v_bitop3_b32 v62, v62, v196, v63 bitop3:0x80
	v_mad_u32_u24 v63, v156, 36, v23
	v_xor_b32_e32 v196, s21, v199
	v_xor_b32_e32 v199, s22, v200
	s_delay_alu instid0(VALU_DEP_4) | instskip(SKIP_3) | instid1(VALU_DEP_2)
	v_bitop3_b32 v62, v62, v198, v197 bitop3:0x80
	ds_load_b32 v197, v63 offset:544
	v_mul_u32_u24_e32 v63, 36, v156
	; wave barrier
	v_bitop3_b32 v62, v62, v199, v196 bitop3:0x80
	v_add_nc_u32_e32 v156, v23, v63
	s_delay_alu instid0(VALU_DEP_2) | instskip(SKIP_1) | instid1(VALU_DEP_2)
	v_mbcnt_lo_u32_b32 v198, v62, 0
	v_cmp_ne_u32_e64 s17, 0, v62
	v_cmp_eq_u32_e32 vcc_lo, 0, v198
	s_and_b32 s18, s17, vcc_lo
	s_delay_alu instid0(SALU_CYCLE_1)
	s_and_saveexec_b32 s17, s18
	s_cbranch_execz .LBB936_796
; %bb.795:                              ;   in Loop: Header=BB936_730 Depth=2
	s_wait_dscnt 0x0
	v_bcnt_u32_b32 v62, v62, v197
	ds_store_b32 v156, v62 offset:544
.LBB936_796:                            ;   in Loop: Header=BB936_730 Depth=2
	s_or_b32 exec_lo, exec_lo, s17
	v_xor_b32_e32 v196, 0x7fff, v65
	; wave barrier
	s_delay_alu instid0(VALU_DEP_1) | instskip(NEXT) | instid1(VALU_DEP_1)
	v_and_b32_e32 v62, 0xffff, v196
	v_lshrrev_b32_e32 v62, s49, v62
	s_delay_alu instid0(VALU_DEP_1) | instskip(NEXT) | instid1(VALU_DEP_1)
	v_and_b32_e32 v65, s48, v62
	v_lshlrev_b32_e32 v199, 30, v65
	v_bitop3_b32 v63, v62, 1, s48 bitop3:0x80
	s_delay_alu instid0(VALU_DEP_1) | instskip(NEXT) | instid1(VALU_DEP_1)
	v_add_co_u32 v62, s17, v63, -1
	v_cndmask_b32_e64 v63, 0, 1, s17
	s_delay_alu instid0(VALU_DEP_4) | instskip(NEXT) | instid1(VALU_DEP_2)
	v_cmp_gt_i32_e64 s17, 0, v199
	v_cmp_ne_u32_e32 vcc_lo, 0, v63
	v_not_b32_e32 v63, v199
	v_bitop3_b32 v62, vcc_lo, exec_lo, v62 bitop3:0x48
	s_delay_alu instid0(VALU_DEP_2) | instskip(SKIP_2) | instid1(VALU_DEP_3)
	v_dual_ashrrev_i32 v63, 31, v63 :: v_dual_lshlrev_b32 v200, 29, v65
	v_dual_lshlrev_b32 v201, 28, v65 :: v_dual_lshlrev_b32 v202, 27, v65
	v_lshlrev_b32_e32 v203, 26, v65
	v_not_b32_e32 v199, v200
	v_lshlrev_b32_e32 v204, 25, v65
	v_cmp_gt_i32_e64 s18, 0, v200
	v_cmp_gt_i32_e64 s19, 0, v201
	v_not_b32_e32 v200, v201
	v_not_b32_e32 v201, v202
	v_ashrrev_i32_e32 v199, 31, v199
	v_cmp_gt_i32_e64 s20, 0, v202
	v_cmp_gt_i32_e64 s21, 0, v203
	v_not_b32_e32 v202, v203
	v_not_b32_e32 v203, v204
	v_dual_ashrrev_i32 v200, 31, v200 :: v_dual_ashrrev_i32 v201, 31, v201
	s_delay_alu instid0(VALU_DEP_3) | instskip(SKIP_2) | instid1(VALU_DEP_4)
	v_dual_ashrrev_i32 v202, 31, v202 :: v_dual_bitop2_b32 v63, s17, v63 bitop3:0x14
	v_xor_b32_e32 v199, s18, v199
	v_cmp_gt_i32_e64 s22, 0, v204
	v_dual_ashrrev_i32 v203, 31, v203 :: v_dual_bitop2_b32 v200, s19, v200 bitop3:0x14
	v_xor_b32_e32 v201, s20, v201
	s_delay_alu instid0(VALU_DEP_4) | instskip(SKIP_3) | instid1(VALU_DEP_4)
	v_bitop3_b32 v62, v62, v199, v63 bitop3:0x80
	v_mad_u32_u24 v63, v65, 36, v23
	v_xor_b32_e32 v199, s21, v202
	v_xor_b32_e32 v202, s22, v203
	v_bitop3_b32 v62, v62, v201, v200 bitop3:0x80
	ds_load_b32 v200, v63 offset:544
	v_mul_u32_u24_e32 v63, 36, v65
	; wave barrier
	v_bitop3_b32 v62, v62, v202, v199 bitop3:0x80
	s_delay_alu instid0(VALU_DEP_2) | instskip(NEXT) | instid1(VALU_DEP_2)
	v_add_nc_u32_e32 v202, v23, v63
	v_mbcnt_lo_u32_b32 v201, v62, 0
	v_cmp_ne_u32_e64 s17, 0, v62
	s_delay_alu instid0(VALU_DEP_2) | instskip(SKIP_1) | instid1(SALU_CYCLE_1)
	v_cmp_eq_u32_e32 vcc_lo, 0, v201
	s_and_b32 s18, s17, vcc_lo
	s_and_saveexec_b32 s17, s18
	s_cbranch_execz .LBB936_798
; %bb.797:                              ;   in Loop: Header=BB936_730 Depth=2
	s_wait_dscnt 0x0
	v_bcnt_u32_b32 v62, v62, v200
	ds_store_b32 v202, v62 offset:544
.LBB936_798:                            ;   in Loop: Header=BB936_730 Depth=2
	s_or_b32 exec_lo, exec_lo, s17
	v_xor_b32_e32 v199, 0x7fff, v64
	; wave barrier
	s_delay_alu instid0(VALU_DEP_1) | instskip(NEXT) | instid1(VALU_DEP_1)
	v_and_b32_e32 v62, 0xffff, v199
	v_lshrrev_b32_e32 v62, s49, v62
	s_delay_alu instid0(VALU_DEP_1) | instskip(NEXT) | instid1(VALU_DEP_1)
	v_and_b32_e32 v64, s48, v62
	v_lshlrev_b32_e32 v65, 30, v64
	v_bitop3_b32 v63, v62, 1, s48 bitop3:0x80
	s_delay_alu instid0(VALU_DEP_1) | instskip(NEXT) | instid1(VALU_DEP_1)
	v_add_co_u32 v62, s17, v63, -1
	v_cndmask_b32_e64 v63, 0, 1, s17
	s_delay_alu instid0(VALU_DEP_4) | instskip(NEXT) | instid1(VALU_DEP_2)
	v_cmp_gt_i32_e64 s17, 0, v65
	v_cmp_ne_u32_e32 vcc_lo, 0, v63
	v_not_b32_e32 v63, v65
	v_bitop3_b32 v62, vcc_lo, exec_lo, v62 bitop3:0x48
	s_delay_alu instid0(VALU_DEP_2) | instskip(SKIP_2) | instid1(VALU_DEP_3)
	v_dual_ashrrev_i32 v63, 31, v63 :: v_dual_lshlrev_b32 v203, 29, v64
	v_dual_lshlrev_b32 v204, 28, v64 :: v_dual_lshlrev_b32 v205, 27, v64
	v_lshlrev_b32_e32 v206, 26, v64
	v_not_b32_e32 v65, v203
	v_lshlrev_b32_e32 v207, 25, v64
	v_cmp_gt_i32_e64 s18, 0, v203
	v_cmp_gt_i32_e64 s19, 0, v204
	v_not_b32_e32 v203, v204
	v_not_b32_e32 v204, v205
	v_ashrrev_i32_e32 v65, 31, v65
	v_cmp_gt_i32_e64 s20, 0, v205
	v_cmp_gt_i32_e64 s21, 0, v206
	v_not_b32_e32 v205, v206
	v_not_b32_e32 v206, v207
	v_dual_ashrrev_i32 v203, 31, v203 :: v_dual_ashrrev_i32 v204, 31, v204
	s_delay_alu instid0(VALU_DEP_3) | instskip(NEXT) | instid1(VALU_DEP_3)
	v_dual_ashrrev_i32 v205, 31, v205 :: v_dual_bitop2_b32 v63, s17, v63 bitop3:0x14
	v_dual_ashrrev_i32 v206, 31, v206 :: v_dual_bitop2_b32 v65, s18, v65 bitop3:0x14
	v_cmp_gt_i32_e64 s22, 0, v207
	s_delay_alu instid0(VALU_DEP_4) | instskip(SKIP_1) | instid1(VALU_DEP_4)
	v_xor_b32_e32 v203, s19, v203
	v_xor_b32_e32 v204, s20, v204
	v_bitop3_b32 v62, v62, v65, v63 bitop3:0x80
	v_mad_u32_u24 v63, v64, 36, v23
	v_xor_b32_e32 v65, s21, v205
	v_xor_b32_e32 v205, s22, v206
	s_delay_alu instid0(VALU_DEP_4) | instskip(SKIP_3) | instid1(VALU_DEP_2)
	v_bitop3_b32 v62, v62, v204, v203 bitop3:0x80
	ds_load_b32 v203, v63 offset:544
	v_mul_u32_u24_e32 v63, 36, v64
	; wave barrier
	v_bitop3_b32 v62, v62, v205, v65 bitop3:0x80
	v_add_nc_u32_e32 v205, v23, v63
	s_delay_alu instid0(VALU_DEP_2) | instskip(SKIP_1) | instid1(VALU_DEP_2)
	v_mbcnt_lo_u32_b32 v204, v62, 0
	v_cmp_ne_u32_e64 s17, 0, v62
	v_cmp_eq_u32_e32 vcc_lo, 0, v204
	s_and_b32 s18, s17, vcc_lo
	s_delay_alu instid0(SALU_CYCLE_1)
	s_and_saveexec_b32 s17, s18
	s_cbranch_execz .LBB936_800
; %bb.799:                              ;   in Loop: Header=BB936_730 Depth=2
	s_wait_dscnt 0x0
	v_bcnt_u32_b32 v62, v62, v203
	ds_store_b32 v205, v62 offset:544
.LBB936_800:                            ;   in Loop: Header=BB936_730 Depth=2
	s_or_b32 exec_lo, exec_lo, s17
	v_and_b32_e32 v62, 0xffff, v142
	; wave barrier
	s_delay_alu instid0(VALU_DEP_1) | instskip(NEXT) | instid1(VALU_DEP_1)
	v_lshrrev_b32_e32 v62, s49, v62
	v_and_b32_e32 v64, s48, v62
	s_delay_alu instid0(VALU_DEP_1) | instskip(SKIP_1) | instid1(VALU_DEP_1)
	v_lshlrev_b32_e32 v65, 30, v64
	v_bitop3_b32 v63, v62, 1, s48 bitop3:0x80
	v_add_co_u32 v62, s17, v63, -1
	s_delay_alu instid0(VALU_DEP_1) | instskip(NEXT) | instid1(VALU_DEP_4)
	v_cndmask_b32_e64 v63, 0, 1, s17
	v_cmp_gt_i32_e64 s17, 0, v65
	s_delay_alu instid0(VALU_DEP_2) | instskip(SKIP_2) | instid1(VALU_DEP_2)
	v_cmp_ne_u32_e32 vcc_lo, 0, v63
	v_not_b32_e32 v63, v65
	v_bitop3_b32 v62, vcc_lo, exec_lo, v62 bitop3:0x48
	v_dual_ashrrev_i32 v63, 31, v63 :: v_dual_lshlrev_b32 v206, 29, v64
	v_dual_lshlrev_b32 v207, 28, v64 :: v_dual_lshlrev_b32 v208, 27, v64
	v_lshlrev_b32_e32 v209, 26, v64
	s_delay_alu instid0(VALU_DEP_3)
	v_not_b32_e32 v65, v206
	v_lshlrev_b32_e32 v210, 25, v64
	v_cmp_gt_i32_e64 s18, 0, v206
	v_cmp_gt_i32_e64 s19, 0, v207
	v_not_b32_e32 v206, v207
	v_not_b32_e32 v207, v208
	v_ashrrev_i32_e32 v65, 31, v65
	v_cmp_gt_i32_e64 s20, 0, v208
	v_cmp_gt_i32_e64 s21, 0, v209
	v_not_b32_e32 v208, v209
	v_dual_ashrrev_i32 v206, 31, v206 :: v_dual_ashrrev_i32 v207, 31, v207
	v_xor_b32_e32 v63, s17, v63
	v_xor_b32_e32 v65, s18, v65
	v_not_b32_e32 v209, v210
	s_delay_alu instid0(VALU_DEP_4) | instskip(SKIP_1) | instid1(VALU_DEP_4)
	v_dual_ashrrev_i32 v208, 31, v208 :: v_dual_bitop2_b32 v206, s19, v206 bitop3:0x14
	v_xor_b32_e32 v207, s20, v207
	v_bitop3_b32 v62, v62, v65, v63 bitop3:0x80
	v_cmp_gt_i32_e32 vcc_lo, 0, v210
	v_ashrrev_i32_e32 v63, 31, v209
	v_mad_u32_u24 v65, v64, 36, v23
	v_xor_b32_e32 v208, s21, v208
	v_bitop3_b32 v62, v62, v207, v206 bitop3:0x80
	s_delay_alu instid0(VALU_DEP_4) | instskip(SKIP_3) | instid1(VALU_DEP_2)
	v_xor_b32_e32 v63, vcc_lo, v63
	ds_load_b32 v206, v65 offset:544
	; wave barrier
	v_bitop3_b32 v62, v62, v63, v208 bitop3:0x80
	v_mul_u32_u24_e32 v63, 36, v64
	v_mbcnt_lo_u32_b32 v207, v62, 0
	v_cmp_ne_u32_e64 s17, 0, v62
	s_delay_alu instid0(VALU_DEP_3) | instskip(NEXT) | instid1(VALU_DEP_3)
	v_add_nc_u32_e32 v208, v23, v63
	v_cmp_eq_u32_e32 vcc_lo, 0, v207
	s_and_b32 s18, s17, vcc_lo
	s_delay_alu instid0(SALU_CYCLE_1)
	s_and_saveexec_b32 s17, s18
	s_cbranch_execz .LBB936_802
; %bb.801:                              ;   in Loop: Header=BB936_730 Depth=2
	s_wait_dscnt 0x0
	v_bcnt_u32_b32 v62, v62, v206
	ds_store_b32 v208, v62 offset:544
.LBB936_802:                            ;   in Loop: Header=BB936_730 Depth=2
	s_or_b32 exec_lo, exec_lo, s17
	; wave barrier
	s_wait_dscnt 0x0
	s_barrier_signal -1
	s_barrier_wait -1
	ds_load_2addr_b32 v[64:65], v89 offset0:136 offset1:137
	ds_load_2addr_b32 v[62:63], v89 offset0:138 offset1:139
	ds_load_b32 v209, v89 offset:560
	s_wait_dscnt 0x1
	v_add3_u32 v210, v65, v64, v62
	s_wait_dscnt 0x0
	s_delay_alu instid0(VALU_DEP_1) | instskip(NEXT) | instid1(VALU_DEP_1)
	v_add3_u32 v209, v210, v63, v209
	v_mov_b32_dpp v210, v209 row_shr:1 row_mask:0xf bank_mask:0xf
	s_delay_alu instid0(VALU_DEP_1) | instskip(NEXT) | instid1(VALU_DEP_1)
	v_cndmask_b32_e64 v210, v210, 0, s9
	v_add_nc_u32_e32 v209, v210, v209
	s_delay_alu instid0(VALU_DEP_1) | instskip(NEXT) | instid1(VALU_DEP_1)
	v_mov_b32_dpp v210, v209 row_shr:2 row_mask:0xf bank_mask:0xf
	v_cndmask_b32_e64 v210, 0, v210, s10
	s_delay_alu instid0(VALU_DEP_1) | instskip(NEXT) | instid1(VALU_DEP_1)
	v_add_nc_u32_e32 v209, v209, v210
	v_mov_b32_dpp v210, v209 row_shr:4 row_mask:0xf bank_mask:0xf
	s_delay_alu instid0(VALU_DEP_1) | instskip(NEXT) | instid1(VALU_DEP_1)
	v_cndmask_b32_e64 v210, 0, v210, s11
	v_add_nc_u32_e32 v209, v209, v210
	s_delay_alu instid0(VALU_DEP_1) | instskip(NEXT) | instid1(VALU_DEP_1)
	v_mov_b32_dpp v210, v209 row_shr:8 row_mask:0xf bank_mask:0xf
	v_cndmask_b32_e64 v210, 0, v210, s12
	s_delay_alu instid0(VALU_DEP_1) | instskip(SKIP_3) | instid1(VALU_DEP_1)
	v_add_nc_u32_e32 v209, v209, v210
	ds_swizzle_b32 v210, v209 offset:swizzle(BROADCAST,32,15)
	s_wait_dscnt 0x0
	v_cndmask_b32_e64 v210, v210, 0, s13
	v_add_nc_u32_e32 v209, v209, v210
	s_and_saveexec_b32 s17, s2
; %bb.803:                              ;   in Loop: Header=BB936_730 Depth=2
	ds_store_b32 v82, v209 offset:512
; %bb.804:                              ;   in Loop: Header=BB936_730 Depth=2
	s_or_b32 exec_lo, exec_lo, s17
	s_wait_dscnt 0x0
	s_barrier_signal -1
	s_barrier_wait -1
	s_and_saveexec_b32 s17, s3
	s_cbranch_execz .LBB936_806
; %bb.805:                              ;   in Loop: Header=BB936_730 Depth=2
	ds_load_b32 v210, v91 offset:512
	s_wait_dscnt 0x0
	v_mov_b32_dpp v211, v210 row_shr:1 row_mask:0xf bank_mask:0xf
	s_delay_alu instid0(VALU_DEP_1) | instskip(NEXT) | instid1(VALU_DEP_1)
	v_cndmask_b32_e64 v211, v211, 0, s14
	v_add_nc_u32_e32 v210, v211, v210
	s_delay_alu instid0(VALU_DEP_1) | instskip(NEXT) | instid1(VALU_DEP_1)
	v_mov_b32_dpp v211, v210 row_shr:2 row_mask:0xf bank_mask:0xf
	v_cndmask_b32_e64 v211, 0, v211, s15
	s_delay_alu instid0(VALU_DEP_1) | instskip(NEXT) | instid1(VALU_DEP_1)
	v_add_nc_u32_e32 v210, v210, v211
	v_mov_b32_dpp v211, v210 row_shr:4 row_mask:0xf bank_mask:0xf
	s_delay_alu instid0(VALU_DEP_1) | instskip(NEXT) | instid1(VALU_DEP_1)
	v_cndmask_b32_e64 v211, 0, v211, s16
	v_add_nc_u32_e32 v210, v210, v211
	ds_store_b32 v91, v210 offset:512
.LBB936_806:                            ;   in Loop: Header=BB936_730 Depth=2
	s_or_b32 exec_lo, exec_lo, s17
	v_mov_b32_e32 v210, 0
	s_wait_dscnt 0x0
	s_barrier_signal -1
	s_barrier_wait -1
	s_and_saveexec_b32 s17, s5
; %bb.807:                              ;   in Loop: Header=BB936_730 Depth=2
	ds_load_b32 v210, v82 offset:508
; %bb.808:                              ;   in Loop: Header=BB936_730 Depth=2
	s_or_b32 exec_lo, exec_lo, s17
	s_wait_dscnt 0x0
	v_add_nc_u32_e32 v209, v210, v209
	ds_bpermute_b32 v209, v121, v209
	s_wait_dscnt 0x0
	v_cndmask_b32_e64 v209, v209, v210, s8
	s_delay_alu instid0(VALU_DEP_1) | instskip(NEXT) | instid1(VALU_DEP_1)
	v_cndmask_b32_e64 v209, v209, 0, s6
	v_add_nc_u32_e32 v64, v209, v64
	s_delay_alu instid0(VALU_DEP_1) | instskip(NEXT) | instid1(VALU_DEP_1)
	v_add_nc_u32_e32 v65, v64, v65
	v_add_nc_u32_e32 v62, v65, v62
	s_delay_alu instid0(VALU_DEP_1)
	v_add_nc_u32_e32 v63, v62, v63
	ds_store_2addr_b32 v89, v209, v64 offset0:136 offset1:137
	ds_store_2addr_b32 v89, v65, v62 offset0:138 offset1:139
	ds_store_b32 v89, v63 offset:560
	s_wait_dscnt 0x0
	s_barrier_signal -1
	s_barrier_wait -1
	ds_load_b32 v64, v146 offset:544
	ds_load_b32 v65, v150 offset:544
	;; [unrolled: 1-line block ×17, first 2 shown]
	s_and_saveexec_b32 s17, s0
	s_cbranch_execz .LBB936_812
; %bb.809:                              ;   in Loop: Header=BB936_730 Depth=2
	ds_load_b32 v137, v92 offset:544
	v_mov_b32_e32 v140, 0x1100
	s_and_saveexec_b32 s18, s7
; %bb.810:                              ;   in Loop: Header=BB936_730 Depth=2
	ds_load_b32 v140, v93 offset:544
; %bb.811:                              ;   in Loop: Header=BB936_730 Depth=2
	s_or_b32 exec_lo, exec_lo, s18
	s_wait_dscnt 0x0
	v_sub_nc_u32_e32 v140, v140, v137
.LBB936_812:                            ;   in Loop: Header=BB936_730 Depth=2
	s_or_b32 exec_lo, exec_lo, s17
	s_wait_dscnt 0x0
	s_barrier_signal -1
	s_barrier_wait -1
	s_and_saveexec_b32 s17, s0
	s_cbranch_execz .LBB936_814
; %bb.813:                              ;   in Loop: Header=BB936_730 Depth=2
	ds_load_b32 v156, v3
	s_wait_dscnt 0x0
	v_sub_nc_u32_e32 v156, v156, v137
	ds_store_b32 v3, v156
.LBB936_814:                            ;   in Loop: Header=BB936_730 Depth=2
	s_or_b32 exec_lo, exec_lo, s17
	v_add3_u32 v161, v153, v152, v146
	v_add_nc_u32_e32 v165, v64, v144
	v_add3_u32 v164, v149, v148, v65
	v_add3_u32 v159, v158, v157, v150
	;; [unrolled: 1-line block ×4, first 2 shown]
	v_lshlrev_b32_e32 v62, 1, v161
	v_dual_lshlrev_b32 v162, 1, v165 :: v_dual_lshlrev_b32 v163, 1, v164
	v_add3_u32 v157, v168, v167, v209
	v_add3_u32 v156, v173, v172, v175
	;; [unrolled: 1-line block ×5, first 2 shown]
	v_lshlrev_b32_e32 v63, 1, v159
	v_add3_u32 v152, v184, v183, v185
	ds_store_b16 v162, v143 offset:512
	ds_store_b16 v163, v145 offset:512
	v_lshlrev_b32_e32 v143, 1, v158
	v_add3_u32 v150, v188, v187, v190
	v_dual_lshlrev_b32 v145, 1, v157 :: v_dual_lshlrev_b32 v162, 1, v156
	v_add3_u32 v149, v192, v191, v210
	v_add3_u32 v65, v195, v194, v211
	ds_store_b16 v62, v147 offset:512
	ds_store_b16 v63, v151 offset:512
	;; [unrolled: 1-line block ×5, first 2 shown]
	v_dual_lshlrev_b32 v62, 1, v154 :: v_dual_lshlrev_b32 v63, 1, v153
	v_add3_u32 v64, v198, v197, v212
	v_dual_lshlrev_b32 v143, 1, v152 :: v_dual_lshlrev_b32 v145, 1, v150
	v_add3_u32 v144, v207, v206, v170
	v_lshlrev_b32_e32 v147, 1, v149
	ds_store_b16 v62, v171 offset:512
	ds_store_b16 v63, v176 offset:512
	;; [unrolled: 1-line block ×5, first 2 shown]
	v_dual_lshlrev_b32 v62, 1, v65 :: v_dual_lshlrev_b32 v143, 1, v148
	v_cmp_lt_u32_e32 vcc_lo, v2, v141
	v_dual_lshlrev_b32 v63, 1, v64 :: v_dual_lshlrev_b32 v145, 1, v146
	v_lshlrev_b32_e32 v147, 1, v144
	ds_store_b16 v62, v189 offset:512
	ds_store_b16 v63, v193 offset:512
	;; [unrolled: 1-line block ×5, first 2 shown]
	s_wait_dscnt 0x0
	s_barrier_signal -1
	s_barrier_wait -1
	s_and_saveexec_b32 s17, vcc_lo
	s_cbranch_execnz .LBB936_887
; %bb.815:                              ;   in Loop: Header=BB936_730 Depth=2
	s_or_b32 exec_lo, exec_lo, s17
	v_cmp_lt_u32_e64 s17, v66, v141
	s_and_saveexec_b32 s18, s17
	s_cbranch_execnz .LBB936_888
.LBB936_816:                            ;   in Loop: Header=BB936_730 Depth=2
	s_or_b32 exec_lo, exec_lo, s18
	v_cmp_lt_u32_e64 s18, v67, v141
	s_and_saveexec_b32 s19, s18
	s_cbranch_execnz .LBB936_889
.LBB936_817:                            ;   in Loop: Header=BB936_730 Depth=2
	s_or_b32 exec_lo, exec_lo, s19
	v_cmp_lt_u32_e64 s19, v68, v141
	s_and_saveexec_b32 s20, s19
	s_cbranch_execnz .LBB936_890
.LBB936_818:                            ;   in Loop: Header=BB936_730 Depth=2
	s_or_b32 exec_lo, exec_lo, s20
	v_cmp_lt_u32_e64 s20, v69, v141
	s_and_saveexec_b32 s21, s20
	s_cbranch_execnz .LBB936_891
.LBB936_819:                            ;   in Loop: Header=BB936_730 Depth=2
	s_or_b32 exec_lo, exec_lo, s21
	v_cmp_lt_u32_e64 s21, v70, v141
	s_and_saveexec_b32 s22, s21
	s_cbranch_execnz .LBB936_892
.LBB936_820:                            ;   in Loop: Header=BB936_730 Depth=2
	s_or_b32 exec_lo, exec_lo, s22
	v_cmp_lt_u32_e64 s22, v71, v141
	s_and_saveexec_b32 s23, s22
	s_cbranch_execnz .LBB936_893
.LBB936_821:                            ;   in Loop: Header=BB936_730 Depth=2
	s_or_b32 exec_lo, exec_lo, s23
	v_cmp_lt_u32_e64 s23, v72, v141
	s_and_saveexec_b32 s24, s23
	s_cbranch_execnz .LBB936_894
.LBB936_822:                            ;   in Loop: Header=BB936_730 Depth=2
	s_or_b32 exec_lo, exec_lo, s24
	v_cmp_lt_u32_e64 s24, v73, v141
	s_and_saveexec_b32 s25, s24
	s_cbranch_execnz .LBB936_895
.LBB936_823:                            ;   in Loop: Header=BB936_730 Depth=2
	s_or_b32 exec_lo, exec_lo, s25
	v_cmp_lt_u32_e64 s25, v74, v141
	s_and_saveexec_b32 s26, s25
	s_cbranch_execnz .LBB936_896
.LBB936_824:                            ;   in Loop: Header=BB936_730 Depth=2
	s_or_b32 exec_lo, exec_lo, s26
	v_cmp_lt_u32_e64 s26, v75, v141
	s_and_saveexec_b32 s27, s26
	s_cbranch_execnz .LBB936_897
.LBB936_825:                            ;   in Loop: Header=BB936_730 Depth=2
	s_or_b32 exec_lo, exec_lo, s27
	v_cmp_lt_u32_e64 s27, v76, v141
	s_and_saveexec_b32 s28, s27
	s_cbranch_execnz .LBB936_898
.LBB936_826:                            ;   in Loop: Header=BB936_730 Depth=2
	s_or_b32 exec_lo, exec_lo, s28
	v_cmp_lt_u32_e64 s28, v77, v141
	s_and_saveexec_b32 s29, s28
	s_cbranch_execnz .LBB936_899
.LBB936_827:                            ;   in Loop: Header=BB936_730 Depth=2
	s_or_b32 exec_lo, exec_lo, s29
	v_cmp_lt_u32_e64 s29, v78, v141
	s_and_saveexec_b32 s30, s29
	s_cbranch_execnz .LBB936_900
.LBB936_828:                            ;   in Loop: Header=BB936_730 Depth=2
	s_or_b32 exec_lo, exec_lo, s30
	v_cmp_lt_u32_e64 s30, v79, v141
	s_and_saveexec_b32 s31, s30
	s_cbranch_execnz .LBB936_901
.LBB936_829:                            ;   in Loop: Header=BB936_730 Depth=2
	s_or_b32 exec_lo, exec_lo, s31
	v_cmp_lt_u32_e64 s31, v80, v141
	s_and_saveexec_b32 s33, s31
	s_cbranch_execnz .LBB936_902
.LBB936_830:                            ;   in Loop: Header=BB936_730 Depth=2
	s_or_b32 exec_lo, exec_lo, s33
	v_cmp_lt_u32_e64 s33, v81, v141
	s_and_saveexec_b32 s60, s33
	s_cbranch_execz .LBB936_832
.LBB936_831:                            ;   in Loop: Header=BB936_730 Depth=2
	ds_load_u16 v62, v94 offset:8704
	s_wait_dscnt 0x0
	v_and_b32_e32 v63, 0xffff, v62
	v_xor_b32_e32 v62, 0x7fff, v62
	s_delay_alu instid0(VALU_DEP_2) | instskip(NEXT) | instid1(VALU_DEP_1)
	v_lshrrev_b32_e32 v63, s49, v63
	v_and_b32_e32 v63, s48, v63
	s_delay_alu instid0(VALU_DEP_1)
	v_lshlrev_b32_e32 v63, 2, v63
	ds_load_b32 v63, v63
	s_wait_dscnt 0x0
	v_add_nc_u32_e32 v63, v63, v81
	global_store_b16 v63, v62, s[38:39] scale_offset
.LBB936_832:                            ;   in Loop: Header=BB936_730 Depth=2
	s_wait_xcnt 0x0
	s_or_b32 exec_lo, exec_lo, s60
	v_lshl_add_u64 v[62:63], s[34:35], 3, v[24:25]
	v_cmp_lt_u32_e64 s34, v102, v141
	s_and_saveexec_b32 s60, s34
	s_delay_alu instid0(SALU_CYCLE_1)
	s_xor_b32 s34, exec_lo, s60
	s_cbranch_execnz .LBB936_903
; %bb.833:                              ;   in Loop: Header=BB936_730 Depth=2
	s_or_b32 exec_lo, exec_lo, s34
	s_delay_alu instid0(SALU_CYCLE_1)
	s_mov_b32 s60, exec_lo
	v_cmpx_lt_u32_e64 v105, v141
	s_cbranch_execnz .LBB936_904
.LBB936_834:                            ;   in Loop: Header=BB936_730 Depth=2
	s_or_b32 exec_lo, exec_lo, s60
	s_delay_alu instid0(SALU_CYCLE_1)
	s_mov_b32 s60, exec_lo
	v_cmpx_lt_u32_e64 v106, v141
	s_cbranch_execnz .LBB936_905
.LBB936_835:                            ;   in Loop: Header=BB936_730 Depth=2
	s_or_b32 exec_lo, exec_lo, s60
	s_delay_alu instid0(SALU_CYCLE_1)
	s_mov_b32 s60, exec_lo
	v_cmpx_lt_u32_e64 v107, v141
	s_cbranch_execnz .LBB936_906
.LBB936_836:                            ;   in Loop: Header=BB936_730 Depth=2
	s_or_b32 exec_lo, exec_lo, s60
	s_delay_alu instid0(SALU_CYCLE_1)
	s_mov_b32 s60, exec_lo
	v_cmpx_lt_u32_e64 v108, v141
	s_cbranch_execnz .LBB936_907
.LBB936_837:                            ;   in Loop: Header=BB936_730 Depth=2
	s_or_b32 exec_lo, exec_lo, s60
	s_delay_alu instid0(SALU_CYCLE_1)
	s_mov_b32 s60, exec_lo
	v_cmpx_lt_u32_e64 v109, v141
	s_cbranch_execnz .LBB936_908
.LBB936_838:                            ;   in Loop: Header=BB936_730 Depth=2
	s_or_b32 exec_lo, exec_lo, s60
	s_delay_alu instid0(SALU_CYCLE_1)
	s_mov_b32 s60, exec_lo
	v_cmpx_lt_u32_e64 v110, v141
	s_cbranch_execnz .LBB936_909
.LBB936_839:                            ;   in Loop: Header=BB936_730 Depth=2
	s_or_b32 exec_lo, exec_lo, s60
	s_delay_alu instid0(SALU_CYCLE_1)
	s_mov_b32 s60, exec_lo
	v_cmpx_lt_u32_e64 v111, v141
	s_cbranch_execnz .LBB936_910
.LBB936_840:                            ;   in Loop: Header=BB936_730 Depth=2
	s_or_b32 exec_lo, exec_lo, s60
	s_delay_alu instid0(SALU_CYCLE_1)
	s_mov_b32 s60, exec_lo
	v_cmpx_lt_u32_e64 v112, v141
	s_cbranch_execnz .LBB936_911
.LBB936_841:                            ;   in Loop: Header=BB936_730 Depth=2
	s_or_b32 exec_lo, exec_lo, s60
	s_delay_alu instid0(SALU_CYCLE_1)
	s_mov_b32 s60, exec_lo
	v_cmpx_lt_u32_e64 v113, v141
	s_cbranch_execnz .LBB936_912
.LBB936_842:                            ;   in Loop: Header=BB936_730 Depth=2
	s_or_b32 exec_lo, exec_lo, s60
	s_delay_alu instid0(SALU_CYCLE_1)
	s_mov_b32 s60, exec_lo
	v_cmpx_lt_u32_e64 v114, v141
	s_cbranch_execnz .LBB936_913
.LBB936_843:                            ;   in Loop: Header=BB936_730 Depth=2
	s_or_b32 exec_lo, exec_lo, s60
	s_delay_alu instid0(SALU_CYCLE_1)
	s_mov_b32 s60, exec_lo
	v_cmpx_lt_u32_e64 v115, v141
	s_cbranch_execnz .LBB936_914
.LBB936_844:                            ;   in Loop: Header=BB936_730 Depth=2
	s_or_b32 exec_lo, exec_lo, s60
	s_delay_alu instid0(SALU_CYCLE_1)
	s_mov_b32 s60, exec_lo
	v_cmpx_lt_u32_e64 v116, v141
	s_cbranch_execnz .LBB936_915
.LBB936_845:                            ;   in Loop: Header=BB936_730 Depth=2
	s_or_b32 exec_lo, exec_lo, s60
	s_delay_alu instid0(SALU_CYCLE_1)
	s_mov_b32 s60, exec_lo
	v_cmpx_lt_u32_e64 v117, v141
	s_cbranch_execnz .LBB936_916
.LBB936_846:                            ;   in Loop: Header=BB936_730 Depth=2
	s_or_b32 exec_lo, exec_lo, s60
	s_delay_alu instid0(SALU_CYCLE_1)
	s_mov_b32 s60, exec_lo
	v_cmpx_lt_u32_e64 v118, v141
	s_cbranch_execnz .LBB936_917
.LBB936_847:                            ;   in Loop: Header=BB936_730 Depth=2
	s_or_b32 exec_lo, exec_lo, s60
	s_delay_alu instid0(SALU_CYCLE_1)
	s_mov_b32 s60, exec_lo
	v_cmpx_lt_u32_e64 v119, v141
	s_cbranch_execnz .LBB936_918
.LBB936_848:                            ;   in Loop: Header=BB936_730 Depth=2
	s_or_b32 exec_lo, exec_lo, s60
	s_delay_alu instid0(SALU_CYCLE_1)
	s_mov_b32 s60, exec_lo
	v_cmpx_lt_u32_e64 v120, v141
	s_cbranch_execnz .LBB936_919
.LBB936_849:                            ;   in Loop: Header=BB936_730 Depth=2
	s_or_b32 exec_lo, exec_lo, s60
	s_and_saveexec_b32 s34, vcc_lo
	s_cbranch_execnz .LBB936_920
.LBB936_850:                            ;   in Loop: Header=BB936_730 Depth=2
	s_or_b32 exec_lo, exec_lo, s34
	s_and_saveexec_b32 s34, s17
	s_cbranch_execnz .LBB936_921
.LBB936_851:                            ;   in Loop: Header=BB936_730 Depth=2
	s_or_b32 exec_lo, exec_lo, s34
	s_and_saveexec_b32 s34, s18
	s_cbranch_execnz .LBB936_922
.LBB936_852:                            ;   in Loop: Header=BB936_730 Depth=2
	s_or_b32 exec_lo, exec_lo, s34
	s_and_saveexec_b32 s34, s19
	s_cbranch_execnz .LBB936_923
.LBB936_853:                            ;   in Loop: Header=BB936_730 Depth=2
	s_or_b32 exec_lo, exec_lo, s34
	s_and_saveexec_b32 s34, s20
	s_cbranch_execnz .LBB936_924
.LBB936_854:                            ;   in Loop: Header=BB936_730 Depth=2
	s_or_b32 exec_lo, exec_lo, s34
	s_and_saveexec_b32 s34, s21
	s_cbranch_execnz .LBB936_925
.LBB936_855:                            ;   in Loop: Header=BB936_730 Depth=2
	s_or_b32 exec_lo, exec_lo, s34
	s_and_saveexec_b32 s34, s22
	s_cbranch_execnz .LBB936_926
.LBB936_856:                            ;   in Loop: Header=BB936_730 Depth=2
	s_or_b32 exec_lo, exec_lo, s34
	s_and_saveexec_b32 s34, s23
	s_cbranch_execnz .LBB936_927
.LBB936_857:                            ;   in Loop: Header=BB936_730 Depth=2
	s_or_b32 exec_lo, exec_lo, s34
	s_and_saveexec_b32 s34, s24
	s_cbranch_execnz .LBB936_928
.LBB936_858:                            ;   in Loop: Header=BB936_730 Depth=2
	s_or_b32 exec_lo, exec_lo, s34
	s_and_saveexec_b32 s34, s25
	s_cbranch_execnz .LBB936_929
.LBB936_859:                            ;   in Loop: Header=BB936_730 Depth=2
	s_or_b32 exec_lo, exec_lo, s34
	s_and_saveexec_b32 s34, s26
	s_cbranch_execnz .LBB936_930
.LBB936_860:                            ;   in Loop: Header=BB936_730 Depth=2
	s_or_b32 exec_lo, exec_lo, s34
	s_and_saveexec_b32 s34, s27
	s_cbranch_execnz .LBB936_931
.LBB936_861:                            ;   in Loop: Header=BB936_730 Depth=2
	s_or_b32 exec_lo, exec_lo, s34
	s_and_saveexec_b32 s34, s28
	s_cbranch_execnz .LBB936_932
.LBB936_862:                            ;   in Loop: Header=BB936_730 Depth=2
	s_or_b32 exec_lo, exec_lo, s34
	s_and_saveexec_b32 s34, s29
	s_cbranch_execnz .LBB936_933
.LBB936_863:                            ;   in Loop: Header=BB936_730 Depth=2
	s_or_b32 exec_lo, exec_lo, s34
	s_and_saveexec_b32 s34, s30
	s_cbranch_execnz .LBB936_934
.LBB936_864:                            ;   in Loop: Header=BB936_730 Depth=2
	s_or_b32 exec_lo, exec_lo, s34
	s_and_saveexec_b32 s34, s31
	s_cbranch_execnz .LBB936_935
.LBB936_865:                            ;   in Loop: Header=BB936_730 Depth=2
	s_or_b32 exec_lo, exec_lo, s34
	s_and_saveexec_b32 s34, s33
	s_cbranch_execz .LBB936_867
.LBB936_866:                            ;   in Loop: Header=BB936_730 Depth=2
	ds_load_u16 v62, v94 offset:8704
	s_wait_dscnt 0x0
	v_lshrrev_b32_e32 v62, s49, v62
	s_delay_alu instid0(VALU_DEP_1)
	v_and_b32_e32 v122, s48, v62
.LBB936_867:                            ;   in Loop: Header=BB936_730 Depth=2
	s_or_b32 exec_lo, exec_lo, s34
	v_dual_lshlrev_b32 v62, 3, v165 :: v_dual_lshlrev_b32 v63, 3, v164
	s_wait_loadcnt 0x0
	s_wait_storecnt 0x0
	s_barrier_signal -1
	s_barrier_wait -1
	ds_store_b64 v62, v[60:61] offset:512
	ds_store_b64 v63, v[58:59] offset:512
	v_dual_lshlrev_b32 v62, 3, v161 :: v_dual_lshlrev_b32 v63, 3, v159
	v_dual_lshlrev_b32 v141, 3, v158 :: v_dual_lshlrev_b32 v142, 3, v157
	v_lshlrev_b32_e32 v143, 3, v156
	ds_store_b64 v62, v[56:57] offset:512
	ds_store_b64 v63, v[54:55] offset:512
	ds_store_b64 v141, v[52:53] offset:512
	ds_store_b64 v142, v[50:51] offset:512
	ds_store_b64 v143, v[48:49] offset:512
	v_dual_lshlrev_b32 v62, 3, v154 :: v_dual_lshlrev_b32 v63, 3, v153
	v_dual_lshlrev_b32 v141, 3, v152 :: v_dual_lshlrev_b32 v142, 3, v150
	v_lshlrev_b32_e32 v143, 3, v149
	ds_store_b64 v62, v[46:47] offset:512
	ds_store_b64 v63, v[44:45] offset:512
	ds_store_b64 v141, v[42:43] offset:512
	;; [unrolled: 8-line block ×3, first 2 shown]
	ds_store_b64 v65, v[30:31] offset:512
	ds_store_b64 v141, v[28:29] offset:512
	s_wait_dscnt 0x0
	s_barrier_signal -1
	s_barrier_wait -1
	s_and_saveexec_b32 s34, vcc_lo
	s_cbranch_execnz .LBB936_936
; %bb.868:                              ;   in Loop: Header=BB936_730 Depth=2
	s_or_b32 exec_lo, exec_lo, s34
	s_and_saveexec_b32 s34, s17
	s_cbranch_execnz .LBB936_937
.LBB936_869:                            ;   in Loop: Header=BB936_730 Depth=2
	s_or_b32 exec_lo, exec_lo, s34
	s_and_saveexec_b32 s17, s18
	s_cbranch_execnz .LBB936_938
.LBB936_870:                            ;   in Loop: Header=BB936_730 Depth=2
	s_or_b32 exec_lo, exec_lo, s17
	s_and_saveexec_b32 s17, s19
	s_cbranch_execnz .LBB936_939
.LBB936_871:                            ;   in Loop: Header=BB936_730 Depth=2
	s_or_b32 exec_lo, exec_lo, s17
	s_and_saveexec_b32 s17, s20
	s_cbranch_execnz .LBB936_940
.LBB936_872:                            ;   in Loop: Header=BB936_730 Depth=2
	s_or_b32 exec_lo, exec_lo, s17
	s_and_saveexec_b32 s17, s21
	s_cbranch_execnz .LBB936_941
.LBB936_873:                            ;   in Loop: Header=BB936_730 Depth=2
	s_or_b32 exec_lo, exec_lo, s17
	s_and_saveexec_b32 s17, s22
	s_cbranch_execnz .LBB936_942
.LBB936_874:                            ;   in Loop: Header=BB936_730 Depth=2
	s_or_b32 exec_lo, exec_lo, s17
	s_and_saveexec_b32 s17, s23
	s_cbranch_execnz .LBB936_943
.LBB936_875:                            ;   in Loop: Header=BB936_730 Depth=2
	s_or_b32 exec_lo, exec_lo, s17
	s_and_saveexec_b32 s17, s24
	s_cbranch_execnz .LBB936_944
.LBB936_876:                            ;   in Loop: Header=BB936_730 Depth=2
	s_or_b32 exec_lo, exec_lo, s17
	s_and_saveexec_b32 s17, s25
	s_cbranch_execnz .LBB936_945
.LBB936_877:                            ;   in Loop: Header=BB936_730 Depth=2
	s_or_b32 exec_lo, exec_lo, s17
	s_and_saveexec_b32 s17, s26
	s_cbranch_execnz .LBB936_946
.LBB936_878:                            ;   in Loop: Header=BB936_730 Depth=2
	s_or_b32 exec_lo, exec_lo, s17
	s_and_saveexec_b32 s17, s27
	s_cbranch_execnz .LBB936_947
.LBB936_879:                            ;   in Loop: Header=BB936_730 Depth=2
	s_or_b32 exec_lo, exec_lo, s17
	s_and_saveexec_b32 s17, s28
	s_cbranch_execnz .LBB936_948
.LBB936_880:                            ;   in Loop: Header=BB936_730 Depth=2
	s_or_b32 exec_lo, exec_lo, s17
	s_and_saveexec_b32 s17, s29
	s_cbranch_execnz .LBB936_949
.LBB936_881:                            ;   in Loop: Header=BB936_730 Depth=2
	s_or_b32 exec_lo, exec_lo, s17
	s_and_saveexec_b32 s17, s30
	s_cbranch_execnz .LBB936_950
.LBB936_882:                            ;   in Loop: Header=BB936_730 Depth=2
	s_or_b32 exec_lo, exec_lo, s17
	s_and_saveexec_b32 s17, s31
	s_cbranch_execnz .LBB936_951
.LBB936_883:                            ;   in Loop: Header=BB936_730 Depth=2
	s_or_b32 exec_lo, exec_lo, s17
	s_and_saveexec_b32 s17, s33
	s_cbranch_execz .LBB936_885
.LBB936_884:                            ;   in Loop: Header=BB936_730 Depth=2
	v_dual_lshlrev_b32 v62, 2, v122 :: v_dual_add_nc_u32 v63, v94, v95
	ds_load_b32 v64, v62
	ds_load_b64 v[62:63], v63 offset:33280
	s_wait_dscnt 0x1
	v_add_nc_u32_e32 v64, v64, v81
	s_wait_dscnt 0x0
	global_store_b64 v64, v[62:63], s[44:45] scale_offset
.LBB936_885:                            ;   in Loop: Header=BB936_730 Depth=2
	s_wait_xcnt 0x0
	s_or_b32 exec_lo, exec_lo, s17
	s_wait_storecnt 0x0
	s_barrier_signal -1
	s_barrier_wait -1
	s_and_saveexec_b32 s17, s0
	s_cbranch_execz .LBB936_729
; %bb.886:                              ;   in Loop: Header=BB936_730 Depth=2
	ds_load_b32 v62, v3
	s_wait_dscnt 0x0
	v_add3_u32 v62, v137, v140, v62
	ds_store_b32 v3, v62
	s_branch .LBB936_729
.LBB936_887:                            ;   in Loop: Header=BB936_730 Depth=2
	ds_load_u16 v62, v94 offset:512
	s_wait_dscnt 0x0
	v_and_b32_e32 v63, 0xffff, v62
	v_xor_b32_e32 v62, 0x7fff, v62
	s_delay_alu instid0(VALU_DEP_2) | instskip(NEXT) | instid1(VALU_DEP_1)
	v_lshrrev_b32_e32 v63, s49, v63
	v_and_b32_e32 v63, s48, v63
	s_delay_alu instid0(VALU_DEP_1)
	v_lshlrev_b32_e32 v63, 2, v63
	ds_load_b32 v63, v63
	s_wait_dscnt 0x0
	v_add_nc_u32_e32 v63, v63, v2
	global_store_b16 v63, v62, s[38:39] scale_offset
	s_wait_xcnt 0x0
	s_or_b32 exec_lo, exec_lo, s17
	v_cmp_lt_u32_e64 s17, v66, v141
	s_and_saveexec_b32 s18, s17
	s_cbranch_execz .LBB936_816
.LBB936_888:                            ;   in Loop: Header=BB936_730 Depth=2
	ds_load_u16 v62, v94 offset:1024
	s_wait_dscnt 0x0
	v_and_b32_e32 v63, 0xffff, v62
	v_xor_b32_e32 v62, 0x7fff, v62
	s_delay_alu instid0(VALU_DEP_2) | instskip(NEXT) | instid1(VALU_DEP_1)
	v_lshrrev_b32_e32 v63, s49, v63
	v_and_b32_e32 v63, s48, v63
	s_delay_alu instid0(VALU_DEP_1)
	v_lshlrev_b32_e32 v63, 2, v63
	ds_load_b32 v63, v63
	s_wait_dscnt 0x0
	v_add_nc_u32_e32 v63, v63, v66
	global_store_b16 v63, v62, s[38:39] scale_offset
	s_wait_xcnt 0x0
	s_or_b32 exec_lo, exec_lo, s18
	v_cmp_lt_u32_e64 s18, v67, v141
	s_and_saveexec_b32 s19, s18
	s_cbranch_execz .LBB936_817
.LBB936_889:                            ;   in Loop: Header=BB936_730 Depth=2
	ds_load_u16 v62, v94 offset:1536
	s_wait_dscnt 0x0
	v_and_b32_e32 v63, 0xffff, v62
	v_xor_b32_e32 v62, 0x7fff, v62
	s_delay_alu instid0(VALU_DEP_2) | instskip(NEXT) | instid1(VALU_DEP_1)
	v_lshrrev_b32_e32 v63, s49, v63
	v_and_b32_e32 v63, s48, v63
	s_delay_alu instid0(VALU_DEP_1)
	v_lshlrev_b32_e32 v63, 2, v63
	ds_load_b32 v63, v63
	s_wait_dscnt 0x0
	v_add_nc_u32_e32 v63, v63, v67
	global_store_b16 v63, v62, s[38:39] scale_offset
	s_wait_xcnt 0x0
	s_or_b32 exec_lo, exec_lo, s19
	v_cmp_lt_u32_e64 s19, v68, v141
	s_and_saveexec_b32 s20, s19
	s_cbranch_execz .LBB936_818
.LBB936_890:                            ;   in Loop: Header=BB936_730 Depth=2
	ds_load_u16 v62, v94 offset:2048
	s_wait_dscnt 0x0
	v_and_b32_e32 v63, 0xffff, v62
	v_xor_b32_e32 v62, 0x7fff, v62
	s_delay_alu instid0(VALU_DEP_2) | instskip(NEXT) | instid1(VALU_DEP_1)
	v_lshrrev_b32_e32 v63, s49, v63
	v_and_b32_e32 v63, s48, v63
	s_delay_alu instid0(VALU_DEP_1)
	v_lshlrev_b32_e32 v63, 2, v63
	ds_load_b32 v63, v63
	s_wait_dscnt 0x0
	v_add_nc_u32_e32 v63, v63, v68
	global_store_b16 v63, v62, s[38:39] scale_offset
	s_wait_xcnt 0x0
	s_or_b32 exec_lo, exec_lo, s20
	v_cmp_lt_u32_e64 s20, v69, v141
	s_and_saveexec_b32 s21, s20
	s_cbranch_execz .LBB936_819
.LBB936_891:                            ;   in Loop: Header=BB936_730 Depth=2
	ds_load_u16 v62, v94 offset:2560
	s_wait_dscnt 0x0
	v_and_b32_e32 v63, 0xffff, v62
	v_xor_b32_e32 v62, 0x7fff, v62
	s_delay_alu instid0(VALU_DEP_2) | instskip(NEXT) | instid1(VALU_DEP_1)
	v_lshrrev_b32_e32 v63, s49, v63
	v_and_b32_e32 v63, s48, v63
	s_delay_alu instid0(VALU_DEP_1)
	v_lshlrev_b32_e32 v63, 2, v63
	ds_load_b32 v63, v63
	s_wait_dscnt 0x0
	v_add_nc_u32_e32 v63, v63, v69
	global_store_b16 v63, v62, s[38:39] scale_offset
	s_wait_xcnt 0x0
	s_or_b32 exec_lo, exec_lo, s21
	v_cmp_lt_u32_e64 s21, v70, v141
	s_and_saveexec_b32 s22, s21
	s_cbranch_execz .LBB936_820
.LBB936_892:                            ;   in Loop: Header=BB936_730 Depth=2
	ds_load_u16 v62, v94 offset:3072
	s_wait_dscnt 0x0
	v_and_b32_e32 v63, 0xffff, v62
	v_xor_b32_e32 v62, 0x7fff, v62
	s_delay_alu instid0(VALU_DEP_2) | instskip(NEXT) | instid1(VALU_DEP_1)
	v_lshrrev_b32_e32 v63, s49, v63
	v_and_b32_e32 v63, s48, v63
	s_delay_alu instid0(VALU_DEP_1)
	v_lshlrev_b32_e32 v63, 2, v63
	ds_load_b32 v63, v63
	s_wait_dscnt 0x0
	v_add_nc_u32_e32 v63, v63, v70
	global_store_b16 v63, v62, s[38:39] scale_offset
	s_wait_xcnt 0x0
	s_or_b32 exec_lo, exec_lo, s22
	v_cmp_lt_u32_e64 s22, v71, v141
	s_and_saveexec_b32 s23, s22
	s_cbranch_execz .LBB936_821
.LBB936_893:                            ;   in Loop: Header=BB936_730 Depth=2
	ds_load_u16 v62, v94 offset:3584
	s_wait_dscnt 0x0
	v_and_b32_e32 v63, 0xffff, v62
	v_xor_b32_e32 v62, 0x7fff, v62
	s_delay_alu instid0(VALU_DEP_2) | instskip(NEXT) | instid1(VALU_DEP_1)
	v_lshrrev_b32_e32 v63, s49, v63
	v_and_b32_e32 v63, s48, v63
	s_delay_alu instid0(VALU_DEP_1)
	v_lshlrev_b32_e32 v63, 2, v63
	ds_load_b32 v63, v63
	s_wait_dscnt 0x0
	v_add_nc_u32_e32 v63, v63, v71
	global_store_b16 v63, v62, s[38:39] scale_offset
	s_wait_xcnt 0x0
	s_or_b32 exec_lo, exec_lo, s23
	v_cmp_lt_u32_e64 s23, v72, v141
	s_and_saveexec_b32 s24, s23
	s_cbranch_execz .LBB936_822
.LBB936_894:                            ;   in Loop: Header=BB936_730 Depth=2
	ds_load_u16 v62, v94 offset:4096
	s_wait_dscnt 0x0
	v_and_b32_e32 v63, 0xffff, v62
	v_xor_b32_e32 v62, 0x7fff, v62
	s_delay_alu instid0(VALU_DEP_2) | instskip(NEXT) | instid1(VALU_DEP_1)
	v_lshrrev_b32_e32 v63, s49, v63
	v_and_b32_e32 v63, s48, v63
	s_delay_alu instid0(VALU_DEP_1)
	v_lshlrev_b32_e32 v63, 2, v63
	ds_load_b32 v63, v63
	s_wait_dscnt 0x0
	v_add_nc_u32_e32 v63, v63, v72
	global_store_b16 v63, v62, s[38:39] scale_offset
	s_wait_xcnt 0x0
	s_or_b32 exec_lo, exec_lo, s24
	v_cmp_lt_u32_e64 s24, v73, v141
	s_and_saveexec_b32 s25, s24
	s_cbranch_execz .LBB936_823
.LBB936_895:                            ;   in Loop: Header=BB936_730 Depth=2
	ds_load_u16 v62, v94 offset:4608
	s_wait_dscnt 0x0
	v_and_b32_e32 v63, 0xffff, v62
	v_xor_b32_e32 v62, 0x7fff, v62
	s_delay_alu instid0(VALU_DEP_2) | instskip(NEXT) | instid1(VALU_DEP_1)
	v_lshrrev_b32_e32 v63, s49, v63
	v_and_b32_e32 v63, s48, v63
	s_delay_alu instid0(VALU_DEP_1)
	v_lshlrev_b32_e32 v63, 2, v63
	ds_load_b32 v63, v63
	s_wait_dscnt 0x0
	v_add_nc_u32_e32 v63, v63, v73
	global_store_b16 v63, v62, s[38:39] scale_offset
	s_wait_xcnt 0x0
	s_or_b32 exec_lo, exec_lo, s25
	v_cmp_lt_u32_e64 s25, v74, v141
	s_and_saveexec_b32 s26, s25
	s_cbranch_execz .LBB936_824
.LBB936_896:                            ;   in Loop: Header=BB936_730 Depth=2
	ds_load_u16 v62, v94 offset:5120
	s_wait_dscnt 0x0
	v_and_b32_e32 v63, 0xffff, v62
	v_xor_b32_e32 v62, 0x7fff, v62
	s_delay_alu instid0(VALU_DEP_2) | instskip(NEXT) | instid1(VALU_DEP_1)
	v_lshrrev_b32_e32 v63, s49, v63
	v_and_b32_e32 v63, s48, v63
	s_delay_alu instid0(VALU_DEP_1)
	v_lshlrev_b32_e32 v63, 2, v63
	ds_load_b32 v63, v63
	s_wait_dscnt 0x0
	v_add_nc_u32_e32 v63, v63, v74
	global_store_b16 v63, v62, s[38:39] scale_offset
	s_wait_xcnt 0x0
	s_or_b32 exec_lo, exec_lo, s26
	v_cmp_lt_u32_e64 s26, v75, v141
	s_and_saveexec_b32 s27, s26
	s_cbranch_execz .LBB936_825
.LBB936_897:                            ;   in Loop: Header=BB936_730 Depth=2
	ds_load_u16 v62, v94 offset:5632
	s_wait_dscnt 0x0
	v_and_b32_e32 v63, 0xffff, v62
	v_xor_b32_e32 v62, 0x7fff, v62
	s_delay_alu instid0(VALU_DEP_2) | instskip(NEXT) | instid1(VALU_DEP_1)
	v_lshrrev_b32_e32 v63, s49, v63
	v_and_b32_e32 v63, s48, v63
	s_delay_alu instid0(VALU_DEP_1)
	v_lshlrev_b32_e32 v63, 2, v63
	ds_load_b32 v63, v63
	s_wait_dscnt 0x0
	v_add_nc_u32_e32 v63, v63, v75
	global_store_b16 v63, v62, s[38:39] scale_offset
	s_wait_xcnt 0x0
	s_or_b32 exec_lo, exec_lo, s27
	v_cmp_lt_u32_e64 s27, v76, v141
	s_and_saveexec_b32 s28, s27
	s_cbranch_execz .LBB936_826
.LBB936_898:                            ;   in Loop: Header=BB936_730 Depth=2
	ds_load_u16 v62, v94 offset:6144
	s_wait_dscnt 0x0
	v_and_b32_e32 v63, 0xffff, v62
	v_xor_b32_e32 v62, 0x7fff, v62
	s_delay_alu instid0(VALU_DEP_2) | instskip(NEXT) | instid1(VALU_DEP_1)
	v_lshrrev_b32_e32 v63, s49, v63
	v_and_b32_e32 v63, s48, v63
	s_delay_alu instid0(VALU_DEP_1)
	v_lshlrev_b32_e32 v63, 2, v63
	ds_load_b32 v63, v63
	s_wait_dscnt 0x0
	v_add_nc_u32_e32 v63, v63, v76
	global_store_b16 v63, v62, s[38:39] scale_offset
	s_wait_xcnt 0x0
	s_or_b32 exec_lo, exec_lo, s28
	v_cmp_lt_u32_e64 s28, v77, v141
	s_and_saveexec_b32 s29, s28
	s_cbranch_execz .LBB936_827
.LBB936_899:                            ;   in Loop: Header=BB936_730 Depth=2
	ds_load_u16 v62, v94 offset:6656
	s_wait_dscnt 0x0
	v_and_b32_e32 v63, 0xffff, v62
	v_xor_b32_e32 v62, 0x7fff, v62
	s_delay_alu instid0(VALU_DEP_2) | instskip(NEXT) | instid1(VALU_DEP_1)
	v_lshrrev_b32_e32 v63, s49, v63
	v_and_b32_e32 v63, s48, v63
	s_delay_alu instid0(VALU_DEP_1)
	v_lshlrev_b32_e32 v63, 2, v63
	ds_load_b32 v63, v63
	s_wait_dscnt 0x0
	v_add_nc_u32_e32 v63, v63, v77
	global_store_b16 v63, v62, s[38:39] scale_offset
	s_wait_xcnt 0x0
	s_or_b32 exec_lo, exec_lo, s29
	v_cmp_lt_u32_e64 s29, v78, v141
	s_and_saveexec_b32 s30, s29
	s_cbranch_execz .LBB936_828
.LBB936_900:                            ;   in Loop: Header=BB936_730 Depth=2
	ds_load_u16 v62, v94 offset:7168
	s_wait_dscnt 0x0
	v_and_b32_e32 v63, 0xffff, v62
	v_xor_b32_e32 v62, 0x7fff, v62
	s_delay_alu instid0(VALU_DEP_2) | instskip(NEXT) | instid1(VALU_DEP_1)
	v_lshrrev_b32_e32 v63, s49, v63
	v_and_b32_e32 v63, s48, v63
	s_delay_alu instid0(VALU_DEP_1)
	v_lshlrev_b32_e32 v63, 2, v63
	ds_load_b32 v63, v63
	s_wait_dscnt 0x0
	v_add_nc_u32_e32 v63, v63, v78
	global_store_b16 v63, v62, s[38:39] scale_offset
	s_wait_xcnt 0x0
	s_or_b32 exec_lo, exec_lo, s30
	v_cmp_lt_u32_e64 s30, v79, v141
	s_and_saveexec_b32 s31, s30
	s_cbranch_execz .LBB936_829
.LBB936_901:                            ;   in Loop: Header=BB936_730 Depth=2
	ds_load_u16 v62, v94 offset:7680
	s_wait_dscnt 0x0
	v_and_b32_e32 v63, 0xffff, v62
	v_xor_b32_e32 v62, 0x7fff, v62
	s_delay_alu instid0(VALU_DEP_2) | instskip(NEXT) | instid1(VALU_DEP_1)
	v_lshrrev_b32_e32 v63, s49, v63
	v_and_b32_e32 v63, s48, v63
	s_delay_alu instid0(VALU_DEP_1)
	v_lshlrev_b32_e32 v63, 2, v63
	ds_load_b32 v63, v63
	s_wait_dscnt 0x0
	v_add_nc_u32_e32 v63, v63, v79
	global_store_b16 v63, v62, s[38:39] scale_offset
	s_wait_xcnt 0x0
	s_or_b32 exec_lo, exec_lo, s31
	v_cmp_lt_u32_e64 s31, v80, v141
	s_and_saveexec_b32 s33, s31
	s_cbranch_execz .LBB936_830
.LBB936_902:                            ;   in Loop: Header=BB936_730 Depth=2
	ds_load_u16 v62, v94 offset:8192
	s_wait_dscnt 0x0
	v_and_b32_e32 v63, 0xffff, v62
	v_xor_b32_e32 v62, 0x7fff, v62
	s_delay_alu instid0(VALU_DEP_2) | instskip(NEXT) | instid1(VALU_DEP_1)
	v_lshrrev_b32_e32 v63, s49, v63
	v_and_b32_e32 v63, s48, v63
	s_delay_alu instid0(VALU_DEP_1)
	v_lshlrev_b32_e32 v63, 2, v63
	ds_load_b32 v63, v63
	s_wait_dscnt 0x0
	v_add_nc_u32_e32 v63, v63, v80
	global_store_b16 v63, v62, s[38:39] scale_offset
	s_wait_xcnt 0x0
	s_or_b32 exec_lo, exec_lo, s33
	v_cmp_lt_u32_e64 s33, v81, v141
	s_and_saveexec_b32 s60, s33
	s_cbranch_execnz .LBB936_831
	s_branch .LBB936_832
.LBB936_903:                            ;   in Loop: Header=BB936_730 Depth=2
	global_load_b64 v[60:61], v[62:63], off
	s_wait_xcnt 0x0
	s_or_b32 exec_lo, exec_lo, s34
	s_delay_alu instid0(SALU_CYCLE_1)
	s_mov_b32 s60, exec_lo
	v_cmpx_lt_u32_e64 v105, v141
	s_cbranch_execz .LBB936_834
.LBB936_904:                            ;   in Loop: Header=BB936_730 Depth=2
	global_load_b64 v[58:59], v[62:63], off offset:256
	s_wait_xcnt 0x0
	s_or_b32 exec_lo, exec_lo, s60
	s_delay_alu instid0(SALU_CYCLE_1)
	s_mov_b32 s60, exec_lo
	v_cmpx_lt_u32_e64 v106, v141
	s_cbranch_execz .LBB936_835
.LBB936_905:                            ;   in Loop: Header=BB936_730 Depth=2
	global_load_b64 v[56:57], v[62:63], off offset:512
	s_wait_xcnt 0x0
	s_or_b32 exec_lo, exec_lo, s60
	s_delay_alu instid0(SALU_CYCLE_1)
	s_mov_b32 s60, exec_lo
	v_cmpx_lt_u32_e64 v107, v141
	s_cbranch_execz .LBB936_836
.LBB936_906:                            ;   in Loop: Header=BB936_730 Depth=2
	global_load_b64 v[54:55], v[62:63], off offset:768
	s_wait_xcnt 0x0
	s_or_b32 exec_lo, exec_lo, s60
	s_delay_alu instid0(SALU_CYCLE_1)
	s_mov_b32 s60, exec_lo
	v_cmpx_lt_u32_e64 v108, v141
	s_cbranch_execz .LBB936_837
.LBB936_907:                            ;   in Loop: Header=BB936_730 Depth=2
	global_load_b64 v[52:53], v[62:63], off offset:1024
	s_wait_xcnt 0x0
	s_or_b32 exec_lo, exec_lo, s60
	s_delay_alu instid0(SALU_CYCLE_1)
	s_mov_b32 s60, exec_lo
	v_cmpx_lt_u32_e64 v109, v141
	s_cbranch_execz .LBB936_838
.LBB936_908:                            ;   in Loop: Header=BB936_730 Depth=2
	global_load_b64 v[50:51], v[62:63], off offset:1280
	s_wait_xcnt 0x0
	s_or_b32 exec_lo, exec_lo, s60
	s_delay_alu instid0(SALU_CYCLE_1)
	s_mov_b32 s60, exec_lo
	v_cmpx_lt_u32_e64 v110, v141
	s_cbranch_execz .LBB936_839
.LBB936_909:                            ;   in Loop: Header=BB936_730 Depth=2
	global_load_b64 v[48:49], v[62:63], off offset:1536
	s_wait_xcnt 0x0
	s_or_b32 exec_lo, exec_lo, s60
	s_delay_alu instid0(SALU_CYCLE_1)
	s_mov_b32 s60, exec_lo
	v_cmpx_lt_u32_e64 v111, v141
	s_cbranch_execz .LBB936_840
.LBB936_910:                            ;   in Loop: Header=BB936_730 Depth=2
	global_load_b64 v[46:47], v[62:63], off offset:1792
	s_wait_xcnt 0x0
	s_or_b32 exec_lo, exec_lo, s60
	s_delay_alu instid0(SALU_CYCLE_1)
	s_mov_b32 s60, exec_lo
	v_cmpx_lt_u32_e64 v112, v141
	s_cbranch_execz .LBB936_841
.LBB936_911:                            ;   in Loop: Header=BB936_730 Depth=2
	global_load_b64 v[44:45], v[62:63], off offset:2048
	s_wait_xcnt 0x0
	s_or_b32 exec_lo, exec_lo, s60
	s_delay_alu instid0(SALU_CYCLE_1)
	s_mov_b32 s60, exec_lo
	v_cmpx_lt_u32_e64 v113, v141
	s_cbranch_execz .LBB936_842
.LBB936_912:                            ;   in Loop: Header=BB936_730 Depth=2
	global_load_b64 v[42:43], v[62:63], off offset:2304
	s_wait_xcnt 0x0
	s_or_b32 exec_lo, exec_lo, s60
	s_delay_alu instid0(SALU_CYCLE_1)
	s_mov_b32 s60, exec_lo
	v_cmpx_lt_u32_e64 v114, v141
	s_cbranch_execz .LBB936_843
.LBB936_913:                            ;   in Loop: Header=BB936_730 Depth=2
	global_load_b64 v[40:41], v[62:63], off offset:2560
	s_wait_xcnt 0x0
	s_or_b32 exec_lo, exec_lo, s60
	s_delay_alu instid0(SALU_CYCLE_1)
	s_mov_b32 s60, exec_lo
	v_cmpx_lt_u32_e64 v115, v141
	s_cbranch_execz .LBB936_844
.LBB936_914:                            ;   in Loop: Header=BB936_730 Depth=2
	global_load_b64 v[38:39], v[62:63], off offset:2816
	s_wait_xcnt 0x0
	s_or_b32 exec_lo, exec_lo, s60
	s_delay_alu instid0(SALU_CYCLE_1)
	s_mov_b32 s60, exec_lo
	v_cmpx_lt_u32_e64 v116, v141
	s_cbranch_execz .LBB936_845
.LBB936_915:                            ;   in Loop: Header=BB936_730 Depth=2
	global_load_b64 v[36:37], v[62:63], off offset:3072
	s_wait_xcnt 0x0
	s_or_b32 exec_lo, exec_lo, s60
	s_delay_alu instid0(SALU_CYCLE_1)
	s_mov_b32 s60, exec_lo
	v_cmpx_lt_u32_e64 v117, v141
	s_cbranch_execz .LBB936_846
.LBB936_916:                            ;   in Loop: Header=BB936_730 Depth=2
	global_load_b64 v[34:35], v[62:63], off offset:3328
	s_wait_xcnt 0x0
	s_or_b32 exec_lo, exec_lo, s60
	s_delay_alu instid0(SALU_CYCLE_1)
	s_mov_b32 s60, exec_lo
	v_cmpx_lt_u32_e64 v118, v141
	s_cbranch_execz .LBB936_847
.LBB936_917:                            ;   in Loop: Header=BB936_730 Depth=2
	global_load_b64 v[32:33], v[62:63], off offset:3584
	s_wait_xcnt 0x0
	s_or_b32 exec_lo, exec_lo, s60
	s_delay_alu instid0(SALU_CYCLE_1)
	s_mov_b32 s60, exec_lo
	v_cmpx_lt_u32_e64 v119, v141
	s_cbranch_execz .LBB936_848
.LBB936_918:                            ;   in Loop: Header=BB936_730 Depth=2
	global_load_b64 v[30:31], v[62:63], off offset:3840
	s_wait_xcnt 0x0
	s_or_b32 exec_lo, exec_lo, s60
	s_delay_alu instid0(SALU_CYCLE_1)
	s_mov_b32 s60, exec_lo
	v_cmpx_lt_u32_e64 v120, v141
	s_cbranch_execz .LBB936_849
.LBB936_919:                            ;   in Loop: Header=BB936_730 Depth=2
	global_load_b64 v[28:29], v[62:63], off offset:4096
	s_wait_xcnt 0x0
	s_or_b32 exec_lo, exec_lo, s60
	s_and_saveexec_b32 s34, vcc_lo
	s_cbranch_execz .LBB936_850
.LBB936_920:                            ;   in Loop: Header=BB936_730 Depth=2
	ds_load_u16 v62, v94 offset:512
	s_wait_dscnt 0x0
	v_lshrrev_b32_e32 v62, s49, v62
	s_delay_alu instid0(VALU_DEP_1)
	v_and_b32_e32 v139, s48, v62
	s_or_b32 exec_lo, exec_lo, s34
	s_and_saveexec_b32 s34, s17
	s_cbranch_execz .LBB936_851
.LBB936_921:                            ;   in Loop: Header=BB936_730 Depth=2
	ds_load_u16 v62, v94 offset:1024
	s_wait_dscnt 0x0
	v_lshrrev_b32_e32 v62, s49, v62
	s_delay_alu instid0(VALU_DEP_1)
	v_and_b32_e32 v138, s48, v62
	s_or_b32 exec_lo, exec_lo, s34
	s_and_saveexec_b32 s34, s18
	s_cbranch_execz .LBB936_852
.LBB936_922:                            ;   in Loop: Header=BB936_730 Depth=2
	ds_load_u16 v62, v94 offset:1536
	s_wait_dscnt 0x0
	v_lshrrev_b32_e32 v62, s49, v62
	s_delay_alu instid0(VALU_DEP_1)
	v_and_b32_e32 v136, s48, v62
	s_or_b32 exec_lo, exec_lo, s34
	s_and_saveexec_b32 s34, s19
	s_cbranch_execz .LBB936_853
.LBB936_923:                            ;   in Loop: Header=BB936_730 Depth=2
	ds_load_u16 v62, v94 offset:2048
	s_wait_dscnt 0x0
	v_lshrrev_b32_e32 v62, s49, v62
	s_delay_alu instid0(VALU_DEP_1)
	v_and_b32_e32 v135, s48, v62
	s_or_b32 exec_lo, exec_lo, s34
	s_and_saveexec_b32 s34, s20
	s_cbranch_execz .LBB936_854
.LBB936_924:                            ;   in Loop: Header=BB936_730 Depth=2
	ds_load_u16 v62, v94 offset:2560
	s_wait_dscnt 0x0
	v_lshrrev_b32_e32 v62, s49, v62
	s_delay_alu instid0(VALU_DEP_1)
	v_and_b32_e32 v134, s48, v62
	s_or_b32 exec_lo, exec_lo, s34
	s_and_saveexec_b32 s34, s21
	s_cbranch_execz .LBB936_855
.LBB936_925:                            ;   in Loop: Header=BB936_730 Depth=2
	ds_load_u16 v62, v94 offset:3072
	s_wait_dscnt 0x0
	v_lshrrev_b32_e32 v62, s49, v62
	s_delay_alu instid0(VALU_DEP_1)
	v_and_b32_e32 v133, s48, v62
	s_or_b32 exec_lo, exec_lo, s34
	s_and_saveexec_b32 s34, s22
	s_cbranch_execz .LBB936_856
.LBB936_926:                            ;   in Loop: Header=BB936_730 Depth=2
	ds_load_u16 v62, v94 offset:3584
	s_wait_dscnt 0x0
	v_lshrrev_b32_e32 v62, s49, v62
	s_delay_alu instid0(VALU_DEP_1)
	v_and_b32_e32 v132, s48, v62
	s_or_b32 exec_lo, exec_lo, s34
	s_and_saveexec_b32 s34, s23
	s_cbranch_execz .LBB936_857
.LBB936_927:                            ;   in Loop: Header=BB936_730 Depth=2
	ds_load_u16 v62, v94 offset:4096
	s_wait_dscnt 0x0
	v_lshrrev_b32_e32 v62, s49, v62
	s_delay_alu instid0(VALU_DEP_1)
	v_and_b32_e32 v131, s48, v62
	s_or_b32 exec_lo, exec_lo, s34
	s_and_saveexec_b32 s34, s24
	s_cbranch_execz .LBB936_858
.LBB936_928:                            ;   in Loop: Header=BB936_730 Depth=2
	ds_load_u16 v62, v94 offset:4608
	s_wait_dscnt 0x0
	v_lshrrev_b32_e32 v62, s49, v62
	s_delay_alu instid0(VALU_DEP_1)
	v_and_b32_e32 v130, s48, v62
	s_or_b32 exec_lo, exec_lo, s34
	s_and_saveexec_b32 s34, s25
	s_cbranch_execz .LBB936_859
.LBB936_929:                            ;   in Loop: Header=BB936_730 Depth=2
	ds_load_u16 v62, v94 offset:5120
	s_wait_dscnt 0x0
	v_lshrrev_b32_e32 v62, s49, v62
	s_delay_alu instid0(VALU_DEP_1)
	v_and_b32_e32 v129, s48, v62
	s_or_b32 exec_lo, exec_lo, s34
	s_and_saveexec_b32 s34, s26
	s_cbranch_execz .LBB936_860
.LBB936_930:                            ;   in Loop: Header=BB936_730 Depth=2
	ds_load_u16 v62, v94 offset:5632
	s_wait_dscnt 0x0
	v_lshrrev_b32_e32 v62, s49, v62
	s_delay_alu instid0(VALU_DEP_1)
	v_and_b32_e32 v128, s48, v62
	s_or_b32 exec_lo, exec_lo, s34
	s_and_saveexec_b32 s34, s27
	s_cbranch_execz .LBB936_861
.LBB936_931:                            ;   in Loop: Header=BB936_730 Depth=2
	ds_load_u16 v62, v94 offset:6144
	s_wait_dscnt 0x0
	v_lshrrev_b32_e32 v62, s49, v62
	s_delay_alu instid0(VALU_DEP_1)
	v_and_b32_e32 v127, s48, v62
	s_or_b32 exec_lo, exec_lo, s34
	s_and_saveexec_b32 s34, s28
	s_cbranch_execz .LBB936_862
.LBB936_932:                            ;   in Loop: Header=BB936_730 Depth=2
	ds_load_u16 v62, v94 offset:6656
	s_wait_dscnt 0x0
	v_lshrrev_b32_e32 v62, s49, v62
	s_delay_alu instid0(VALU_DEP_1)
	v_and_b32_e32 v126, s48, v62
	s_or_b32 exec_lo, exec_lo, s34
	s_and_saveexec_b32 s34, s29
	s_cbranch_execz .LBB936_863
.LBB936_933:                            ;   in Loop: Header=BB936_730 Depth=2
	ds_load_u16 v62, v94 offset:7168
	s_wait_dscnt 0x0
	v_lshrrev_b32_e32 v62, s49, v62
	s_delay_alu instid0(VALU_DEP_1)
	v_and_b32_e32 v125, s48, v62
	s_or_b32 exec_lo, exec_lo, s34
	s_and_saveexec_b32 s34, s30
	s_cbranch_execz .LBB936_864
.LBB936_934:                            ;   in Loop: Header=BB936_730 Depth=2
	ds_load_u16 v62, v94 offset:7680
	s_wait_dscnt 0x0
	v_lshrrev_b32_e32 v62, s49, v62
	s_delay_alu instid0(VALU_DEP_1)
	v_and_b32_e32 v124, s48, v62
	s_or_b32 exec_lo, exec_lo, s34
	s_and_saveexec_b32 s34, s31
	s_cbranch_execz .LBB936_865
.LBB936_935:                            ;   in Loop: Header=BB936_730 Depth=2
	ds_load_u16 v62, v94 offset:8192
	s_wait_dscnt 0x0
	v_lshrrev_b32_e32 v62, s49, v62
	s_delay_alu instid0(VALU_DEP_1)
	v_and_b32_e32 v123, s48, v62
	s_or_b32 exec_lo, exec_lo, s34
	s_and_saveexec_b32 s34, s33
	s_cbranch_execnz .LBB936_866
	s_branch .LBB936_867
.LBB936_936:                            ;   in Loop: Header=BB936_730 Depth=2
	v_lshlrev_b32_e32 v62, 2, v139
	v_add_nc_u32_e32 v63, v94, v95
	ds_load_b32 v64, v62
	ds_load_b64 v[62:63], v63 offset:512
	s_wait_dscnt 0x1
	v_add_nc_u32_e32 v64, v64, v2
	s_wait_dscnt 0x0
	global_store_b64 v64, v[62:63], s[44:45] scale_offset
	s_wait_xcnt 0x0
	s_or_b32 exec_lo, exec_lo, s34
	s_and_saveexec_b32 s34, s17
	s_cbranch_execz .LBB936_869
.LBB936_937:                            ;   in Loop: Header=BB936_730 Depth=2
	v_dual_lshlrev_b32 v62, 2, v138 :: v_dual_add_nc_u32 v63, v94, v95
	ds_load_b32 v64, v62
	ds_load_b64 v[62:63], v63 offset:2560
	s_wait_dscnt 0x1
	v_add_nc_u32_e32 v64, v64, v66
	s_wait_dscnt 0x0
	global_store_b64 v64, v[62:63], s[44:45] scale_offset
	s_wait_xcnt 0x0
	s_or_b32 exec_lo, exec_lo, s34
	s_and_saveexec_b32 s17, s18
	s_cbranch_execz .LBB936_870
.LBB936_938:                            ;   in Loop: Header=BB936_730 Depth=2
	v_dual_lshlrev_b32 v62, 2, v136 :: v_dual_add_nc_u32 v63, v94, v95
	ds_load_b32 v64, v62
	ds_load_b64 v[62:63], v63 offset:4608
	s_wait_dscnt 0x1
	v_add_nc_u32_e32 v64, v64, v67
	s_wait_dscnt 0x0
	global_store_b64 v64, v[62:63], s[44:45] scale_offset
	s_wait_xcnt 0x0
	s_or_b32 exec_lo, exec_lo, s17
	s_and_saveexec_b32 s17, s19
	s_cbranch_execz .LBB936_871
.LBB936_939:                            ;   in Loop: Header=BB936_730 Depth=2
	v_lshlrev_b32_e32 v62, 2, v135
	v_add_nc_u32_e32 v63, v94, v95
	ds_load_b32 v64, v62
	ds_load_b64 v[62:63], v63 offset:6656
	s_wait_dscnt 0x1
	v_add_nc_u32_e32 v64, v64, v68
	s_wait_dscnt 0x0
	global_store_b64 v64, v[62:63], s[44:45] scale_offset
	s_wait_xcnt 0x0
	s_or_b32 exec_lo, exec_lo, s17
	s_and_saveexec_b32 s17, s20
	s_cbranch_execz .LBB936_872
.LBB936_940:                            ;   in Loop: Header=BB936_730 Depth=2
	v_dual_lshlrev_b32 v62, 2, v134 :: v_dual_add_nc_u32 v63, v94, v95
	ds_load_b32 v64, v62
	ds_load_b64 v[62:63], v63 offset:8704
	s_wait_dscnt 0x1
	v_add_nc_u32_e32 v64, v64, v69
	s_wait_dscnt 0x0
	global_store_b64 v64, v[62:63], s[44:45] scale_offset
	s_wait_xcnt 0x0
	s_or_b32 exec_lo, exec_lo, s17
	s_and_saveexec_b32 s17, s21
	s_cbranch_execz .LBB936_873
.LBB936_941:                            ;   in Loop: Header=BB936_730 Depth=2
	v_dual_lshlrev_b32 v62, 2, v133 :: v_dual_add_nc_u32 v63, v94, v95
	ds_load_b32 v64, v62
	ds_load_b64 v[62:63], v63 offset:10752
	s_wait_dscnt 0x1
	v_add_nc_u32_e32 v64, v64, v70
	s_wait_dscnt 0x0
	global_store_b64 v64, v[62:63], s[44:45] scale_offset
	s_wait_xcnt 0x0
	s_or_b32 exec_lo, exec_lo, s17
	s_and_saveexec_b32 s17, s22
	s_cbranch_execz .LBB936_874
.LBB936_942:                            ;   in Loop: Header=BB936_730 Depth=2
	v_dual_lshlrev_b32 v62, 2, v132 :: v_dual_add_nc_u32 v63, v94, v95
	ds_load_b32 v64, v62
	ds_load_b64 v[62:63], v63 offset:12800
	s_wait_dscnt 0x1
	v_add_nc_u32_e32 v64, v64, v71
	s_wait_dscnt 0x0
	global_store_b64 v64, v[62:63], s[44:45] scale_offset
	s_wait_xcnt 0x0
	s_or_b32 exec_lo, exec_lo, s17
	s_and_saveexec_b32 s17, s23
	s_cbranch_execz .LBB936_875
.LBB936_943:                            ;   in Loop: Header=BB936_730 Depth=2
	v_lshlrev_b32_e32 v62, 2, v131
	v_add_nc_u32_e32 v63, v94, v95
	ds_load_b32 v64, v62
	ds_load_b64 v[62:63], v63 offset:14848
	s_wait_dscnt 0x1
	v_add_nc_u32_e32 v64, v64, v72
	s_wait_dscnt 0x0
	global_store_b64 v64, v[62:63], s[44:45] scale_offset
	s_wait_xcnt 0x0
	s_or_b32 exec_lo, exec_lo, s17
	s_and_saveexec_b32 s17, s24
	s_cbranch_execz .LBB936_876
.LBB936_944:                            ;   in Loop: Header=BB936_730 Depth=2
	v_dual_lshlrev_b32 v62, 2, v130 :: v_dual_add_nc_u32 v63, v94, v95
	ds_load_b32 v64, v62
	ds_load_b64 v[62:63], v63 offset:16896
	s_wait_dscnt 0x1
	v_add_nc_u32_e32 v64, v64, v73
	s_wait_dscnt 0x0
	global_store_b64 v64, v[62:63], s[44:45] scale_offset
	s_wait_xcnt 0x0
	s_or_b32 exec_lo, exec_lo, s17
	s_and_saveexec_b32 s17, s25
	s_cbranch_execz .LBB936_877
.LBB936_945:                            ;   in Loop: Header=BB936_730 Depth=2
	v_dual_lshlrev_b32 v62, 2, v129 :: v_dual_add_nc_u32 v63, v94, v95
	ds_load_b32 v64, v62
	ds_load_b64 v[62:63], v63 offset:18944
	s_wait_dscnt 0x1
	v_add_nc_u32_e32 v64, v64, v74
	s_wait_dscnt 0x0
	global_store_b64 v64, v[62:63], s[44:45] scale_offset
	s_wait_xcnt 0x0
	s_or_b32 exec_lo, exec_lo, s17
	s_and_saveexec_b32 s17, s26
	s_cbranch_execz .LBB936_878
.LBB936_946:                            ;   in Loop: Header=BB936_730 Depth=2
	v_dual_lshlrev_b32 v62, 2, v128 :: v_dual_add_nc_u32 v63, v94, v95
	ds_load_b32 v64, v62
	ds_load_b64 v[62:63], v63 offset:20992
	s_wait_dscnt 0x1
	v_add_nc_u32_e32 v64, v64, v75
	s_wait_dscnt 0x0
	global_store_b64 v64, v[62:63], s[44:45] scale_offset
	s_wait_xcnt 0x0
	s_or_b32 exec_lo, exec_lo, s17
	s_and_saveexec_b32 s17, s27
	s_cbranch_execz .LBB936_879
.LBB936_947:                            ;   in Loop: Header=BB936_730 Depth=2
	v_lshlrev_b32_e32 v62, 2, v127
	v_add_nc_u32_e32 v63, v94, v95
	ds_load_b32 v64, v62
	ds_load_b64 v[62:63], v63 offset:23040
	s_wait_dscnt 0x1
	v_add_nc_u32_e32 v64, v64, v76
	s_wait_dscnt 0x0
	global_store_b64 v64, v[62:63], s[44:45] scale_offset
	s_wait_xcnt 0x0
	s_or_b32 exec_lo, exec_lo, s17
	s_and_saveexec_b32 s17, s28
	s_cbranch_execz .LBB936_880
.LBB936_948:                            ;   in Loop: Header=BB936_730 Depth=2
	v_dual_lshlrev_b32 v62, 2, v126 :: v_dual_add_nc_u32 v63, v94, v95
	ds_load_b32 v64, v62
	ds_load_b64 v[62:63], v63 offset:25088
	s_wait_dscnt 0x1
	v_add_nc_u32_e32 v64, v64, v77
	s_wait_dscnt 0x0
	global_store_b64 v64, v[62:63], s[44:45] scale_offset
	s_wait_xcnt 0x0
	s_or_b32 exec_lo, exec_lo, s17
	s_and_saveexec_b32 s17, s29
	s_cbranch_execz .LBB936_881
.LBB936_949:                            ;   in Loop: Header=BB936_730 Depth=2
	v_dual_lshlrev_b32 v62, 2, v125 :: v_dual_add_nc_u32 v63, v94, v95
	ds_load_b32 v64, v62
	ds_load_b64 v[62:63], v63 offset:27136
	s_wait_dscnt 0x1
	v_add_nc_u32_e32 v64, v64, v78
	s_wait_dscnt 0x0
	global_store_b64 v64, v[62:63], s[44:45] scale_offset
	s_wait_xcnt 0x0
	s_or_b32 exec_lo, exec_lo, s17
	s_and_saveexec_b32 s17, s30
	s_cbranch_execz .LBB936_882
.LBB936_950:                            ;   in Loop: Header=BB936_730 Depth=2
	v_dual_lshlrev_b32 v62, 2, v124 :: v_dual_add_nc_u32 v63, v94, v95
	ds_load_b32 v64, v62
	ds_load_b64 v[62:63], v63 offset:29184
	s_wait_dscnt 0x1
	v_add_nc_u32_e32 v64, v64, v79
	s_wait_dscnt 0x0
	global_store_b64 v64, v[62:63], s[44:45] scale_offset
	s_wait_xcnt 0x0
	s_or_b32 exec_lo, exec_lo, s17
	s_and_saveexec_b32 s17, s31
	s_cbranch_execz .LBB936_883
.LBB936_951:                            ;   in Loop: Header=BB936_730 Depth=2
	v_lshlrev_b32_e32 v62, 2, v123
	v_add_nc_u32_e32 v63, v94, v95
	ds_load_b32 v64, v62
	ds_load_b64 v[62:63], v63 offset:31232
	s_wait_dscnt 0x1
	v_add_nc_u32_e32 v64, v64, v80
	s_wait_dscnt 0x0
	global_store_b64 v64, v[62:63], s[44:45] scale_offset
	s_wait_xcnt 0x0
	s_or_b32 exec_lo, exec_lo, s17
	s_and_saveexec_b32 s17, s33
	s_cbranch_execnz .LBB936_884
	s_branch .LBB936_885
.LBB936_952:                            ;   in Loop: Header=BB936_20 Depth=1
	s_wait_dscnt 0x0
	s_barrier_signal -1
	s_mov_b32 s9, 0
	s_barrier_wait -1
.LBB936_953:                            ;   in Loop: Header=BB936_20 Depth=1
	s_and_b32 vcc_lo, exec_lo, s9
	s_cbranch_vccz .LBB936_19
; %bb.954:                              ;   in Loop: Header=BB936_20 Depth=1
	s_mov_b32 s9, s57
	s_mov_b32 s34, s55
	s_barrier_signal -1
	s_barrier_wait -1
                                        ; implicit-def: $vgpr23
                                        ; implicit-def: $vgpr24
                                        ; implicit-def: $vgpr25
                                        ; implicit-def: $vgpr26
                                        ; implicit-def: $vgpr27
                                        ; implicit-def: $vgpr28
                                        ; implicit-def: $vgpr29
                                        ; implicit-def: $vgpr30
                                        ; implicit-def: $vgpr31
                                        ; implicit-def: $vgpr32
                                        ; implicit-def: $vgpr33
                                        ; implicit-def: $vgpr34
                                        ; implicit-def: $vgpr35
                                        ; implicit-def: $vgpr36
                                        ; implicit-def: $vgpr37
                                        ; implicit-def: $vgpr38
                                        ; implicit-def: $vgpr39
	s_branch .LBB936_956
.LBB936_955:                            ;   in Loop: Header=BB936_956 Depth=2
	s_or_b32 exec_lo, exec_lo, s10
	s_addk_co_i32 s9, 0xef00
	s_cmp_ge_u32 s12, s54
	s_mov_b32 s34, s12
	s_cbranch_scc1 .LBB936_1028
.LBB936_956:                            ;   Parent Loop BB936_20 Depth=1
                                        ; =>  This Inner Loop Header: Depth=2
	s_add_co_i32 s12, s34, 0x1100
	s_mov_b32 s10, -1
	s_cmp_gt_u32 s12, s54
                                        ; implicit-def: $vgpr40
                                        ; implicit-def: $vgpr41
                                        ; implicit-def: $vgpr42
                                        ; implicit-def: $vgpr43
                                        ; implicit-def: $vgpr44
                                        ; implicit-def: $vgpr45
                                        ; implicit-def: $vgpr46
                                        ; implicit-def: $vgpr47
                                        ; implicit-def: $vgpr48
                                        ; implicit-def: $vgpr49
                                        ; implicit-def: $vgpr50
                                        ; implicit-def: $vgpr51
                                        ; implicit-def: $vgpr52
                                        ; implicit-def: $vgpr53
                                        ; implicit-def: $vgpr54
                                        ; implicit-def: $vgpr55
                                        ; implicit-def: $vgpr56
	s_cbranch_scc1 .LBB936_958
; %bb.957:                              ;   in Loop: Header=BB936_956 Depth=2
	v_lshl_add_u64 v[58:59], s[34:35], 1, v[16:17]
	s_mov_b32 s10, 0
	s_clause 0x10
	global_load_u16 v40, v[58:59], off
	global_load_u16 v41, v[58:59], off offset:512
	global_load_u16 v42, v[58:59], off offset:1024
	;; [unrolled: 1-line block ×16, first 2 shown]
.LBB936_958:                            ;   in Loop: Header=BB936_956 Depth=2
	s_and_not1_b32 vcc_lo, exec_lo, s10
	s_movk_i32 s10, 0x1100
	s_cbranch_vccnz .LBB936_978
; %bb.959:                              ;   in Loop: Header=BB936_956 Depth=2
	s_lshl_b64 s[10:11], s[34:35], 1
	s_mov_b32 s13, exec_lo
	s_add_nc_u64 s[10:11], s[36:37], s[10:11]
	s_wait_xcnt 0x0
	v_cmpx_gt_u32_e64 s9, v2
	s_cbranch_execnz .LBB936_1012
; %bb.960:                              ;   in Loop: Header=BB936_956 Depth=2
	s_or_b32 exec_lo, exec_lo, s13
	s_delay_alu instid0(SALU_CYCLE_1)
	s_mov_b32 s13, exec_lo
	v_cmpx_gt_u32_e64 s9, v66
	s_cbranch_execnz .LBB936_1013
.LBB936_961:                            ;   in Loop: Header=BB936_956 Depth=2
	s_or_b32 exec_lo, exec_lo, s13
	s_delay_alu instid0(SALU_CYCLE_1)
	s_mov_b32 s13, exec_lo
	v_cmpx_gt_u32_e64 s9, v67
	s_cbranch_execnz .LBB936_1014
.LBB936_962:                            ;   in Loop: Header=BB936_956 Depth=2
	s_or_b32 exec_lo, exec_lo, s13
	s_delay_alu instid0(SALU_CYCLE_1)
	s_mov_b32 s13, exec_lo
	v_cmpx_gt_u32_e64 s9, v68
	s_cbranch_execnz .LBB936_1015
.LBB936_963:                            ;   in Loop: Header=BB936_956 Depth=2
	s_or_b32 exec_lo, exec_lo, s13
	s_delay_alu instid0(SALU_CYCLE_1)
	s_mov_b32 s13, exec_lo
	v_cmpx_gt_u32_e64 s9, v69
	s_cbranch_execnz .LBB936_1016
.LBB936_964:                            ;   in Loop: Header=BB936_956 Depth=2
	s_or_b32 exec_lo, exec_lo, s13
	s_delay_alu instid0(SALU_CYCLE_1)
	s_mov_b32 s13, exec_lo
	v_cmpx_gt_u32_e64 s9, v70
	s_cbranch_execnz .LBB936_1017
.LBB936_965:                            ;   in Loop: Header=BB936_956 Depth=2
	s_or_b32 exec_lo, exec_lo, s13
	s_delay_alu instid0(SALU_CYCLE_1)
	s_mov_b32 s13, exec_lo
	v_cmpx_gt_u32_e64 s9, v71
	s_cbranch_execnz .LBB936_1018
.LBB936_966:                            ;   in Loop: Header=BB936_956 Depth=2
	s_or_b32 exec_lo, exec_lo, s13
	s_delay_alu instid0(SALU_CYCLE_1)
	s_mov_b32 s13, exec_lo
	v_cmpx_gt_u32_e64 s9, v72
	s_cbranch_execnz .LBB936_1019
.LBB936_967:                            ;   in Loop: Header=BB936_956 Depth=2
	s_or_b32 exec_lo, exec_lo, s13
	s_delay_alu instid0(SALU_CYCLE_1)
	s_mov_b32 s13, exec_lo
	v_cmpx_gt_u32_e64 s9, v73
	s_cbranch_execnz .LBB936_1020
.LBB936_968:                            ;   in Loop: Header=BB936_956 Depth=2
	s_or_b32 exec_lo, exec_lo, s13
	s_delay_alu instid0(SALU_CYCLE_1)
	s_mov_b32 s13, exec_lo
	v_cmpx_gt_u32_e64 s9, v74
	s_cbranch_execnz .LBB936_1021
.LBB936_969:                            ;   in Loop: Header=BB936_956 Depth=2
	s_or_b32 exec_lo, exec_lo, s13
	s_delay_alu instid0(SALU_CYCLE_1)
	s_mov_b32 s13, exec_lo
	v_cmpx_gt_u32_e64 s9, v75
	s_cbranch_execnz .LBB936_1022
.LBB936_970:                            ;   in Loop: Header=BB936_956 Depth=2
	s_or_b32 exec_lo, exec_lo, s13
	s_delay_alu instid0(SALU_CYCLE_1)
	s_mov_b32 s13, exec_lo
	v_cmpx_gt_u32_e64 s9, v76
	s_cbranch_execnz .LBB936_1023
.LBB936_971:                            ;   in Loop: Header=BB936_956 Depth=2
	s_or_b32 exec_lo, exec_lo, s13
	s_delay_alu instid0(SALU_CYCLE_1)
	s_mov_b32 s13, exec_lo
	v_cmpx_gt_u32_e64 s9, v77
	s_cbranch_execnz .LBB936_1024
.LBB936_972:                            ;   in Loop: Header=BB936_956 Depth=2
	s_or_b32 exec_lo, exec_lo, s13
	s_delay_alu instid0(SALU_CYCLE_1)
	s_mov_b32 s13, exec_lo
	v_cmpx_gt_u32_e64 s9, v78
	s_cbranch_execnz .LBB936_1025
.LBB936_973:                            ;   in Loop: Header=BB936_956 Depth=2
	s_or_b32 exec_lo, exec_lo, s13
	s_delay_alu instid0(SALU_CYCLE_1)
	s_mov_b32 s13, exec_lo
	v_cmpx_gt_u32_e64 s9, v79
	s_cbranch_execnz .LBB936_1026
.LBB936_974:                            ;   in Loop: Header=BB936_956 Depth=2
	s_or_b32 exec_lo, exec_lo, s13
	s_delay_alu instid0(SALU_CYCLE_1)
	s_mov_b32 s13, exec_lo
	v_cmpx_gt_u32_e64 s9, v80
	s_cbranch_execnz .LBB936_1027
.LBB936_975:                            ;   in Loop: Header=BB936_956 Depth=2
	s_or_b32 exec_lo, exec_lo, s13
	s_delay_alu instid0(SALU_CYCLE_1)
	s_mov_b32 s13, exec_lo
	v_cmpx_gt_u32_e64 s9, v81
	s_cbranch_execz .LBB936_977
.LBB936_976:                            ;   in Loop: Header=BB936_956 Depth=2
	global_load_u16 v23, v2, s[10:11] offset:8192 scale_offset
.LBB936_977:                            ;   in Loop: Header=BB936_956 Depth=2
	s_wait_xcnt 0x0
	s_or_b32 exec_lo, exec_lo, s13
	s_wait_loadcnt 0x0
	v_dual_mov_b32 v40, v39 :: v_dual_mov_b32 v41, v38
	v_dual_mov_b32 v42, v37 :: v_dual_mov_b32 v43, v36
	;; [unrolled: 1-line block ×8, first 2 shown]
	v_mov_b32_e32 v56, v23
	s_mov_b32 s10, s9
.LBB936_978:                            ;   in Loop: Header=BB936_956 Depth=2
	s_wait_loadcnt 0x0
	s_delay_alu instid0(VALU_DEP_1)
	v_dual_mov_b32 v23, v56 :: v_dual_mov_b32 v24, v55
	v_dual_mov_b32 v25, v54 :: v_dual_mov_b32 v26, v53
	;; [unrolled: 1-line block ×8, first 2 shown]
	v_mov_b32_e32 v39, v40
	s_mov_b32 s11, exec_lo
	s_wait_xcnt 0x0
	v_cmpx_gt_u32_e64 s10, v2
	s_cbranch_execnz .LBB936_995
; %bb.979:                              ;   in Loop: Header=BB936_956 Depth=2
	s_or_b32 exec_lo, exec_lo, s11
	s_delay_alu instid0(SALU_CYCLE_1)
	s_mov_b32 s11, exec_lo
	v_cmpx_gt_u32_e64 s10, v66
	s_cbranch_execnz .LBB936_996
.LBB936_980:                            ;   in Loop: Header=BB936_956 Depth=2
	s_or_b32 exec_lo, exec_lo, s11
	s_delay_alu instid0(SALU_CYCLE_1)
	s_mov_b32 s11, exec_lo
	v_cmpx_gt_u32_e64 s10, v67
	s_cbranch_execnz .LBB936_997
.LBB936_981:                            ;   in Loop: Header=BB936_956 Depth=2
	s_or_b32 exec_lo, exec_lo, s11
	s_delay_alu instid0(SALU_CYCLE_1)
	s_mov_b32 s11, exec_lo
	v_cmpx_gt_u32_e64 s10, v68
	s_cbranch_execnz .LBB936_998
.LBB936_982:                            ;   in Loop: Header=BB936_956 Depth=2
	s_or_b32 exec_lo, exec_lo, s11
	s_delay_alu instid0(SALU_CYCLE_1)
	s_mov_b32 s11, exec_lo
	v_cmpx_gt_u32_e64 s10, v69
	s_cbranch_execnz .LBB936_999
.LBB936_983:                            ;   in Loop: Header=BB936_956 Depth=2
	s_or_b32 exec_lo, exec_lo, s11
	s_delay_alu instid0(SALU_CYCLE_1)
	s_mov_b32 s11, exec_lo
	v_cmpx_gt_u32_e64 s10, v70
	s_cbranch_execnz .LBB936_1000
.LBB936_984:                            ;   in Loop: Header=BB936_956 Depth=2
	s_or_b32 exec_lo, exec_lo, s11
	s_delay_alu instid0(SALU_CYCLE_1)
	s_mov_b32 s11, exec_lo
	v_cmpx_gt_u32_e64 s10, v71
	s_cbranch_execnz .LBB936_1001
.LBB936_985:                            ;   in Loop: Header=BB936_956 Depth=2
	s_or_b32 exec_lo, exec_lo, s11
	s_delay_alu instid0(SALU_CYCLE_1)
	s_mov_b32 s11, exec_lo
	v_cmpx_gt_u32_e64 s10, v72
	s_cbranch_execnz .LBB936_1002
.LBB936_986:                            ;   in Loop: Header=BB936_956 Depth=2
	s_or_b32 exec_lo, exec_lo, s11
	s_delay_alu instid0(SALU_CYCLE_1)
	s_mov_b32 s11, exec_lo
	v_cmpx_gt_u32_e64 s10, v73
	s_cbranch_execnz .LBB936_1003
.LBB936_987:                            ;   in Loop: Header=BB936_956 Depth=2
	s_or_b32 exec_lo, exec_lo, s11
	s_delay_alu instid0(SALU_CYCLE_1)
	s_mov_b32 s11, exec_lo
	v_cmpx_gt_u32_e64 s10, v74
	s_cbranch_execnz .LBB936_1004
.LBB936_988:                            ;   in Loop: Header=BB936_956 Depth=2
	s_or_b32 exec_lo, exec_lo, s11
	s_delay_alu instid0(SALU_CYCLE_1)
	s_mov_b32 s11, exec_lo
	v_cmpx_gt_u32_e64 s10, v75
	s_cbranch_execnz .LBB936_1005
.LBB936_989:                            ;   in Loop: Header=BB936_956 Depth=2
	s_or_b32 exec_lo, exec_lo, s11
	s_delay_alu instid0(SALU_CYCLE_1)
	s_mov_b32 s11, exec_lo
	v_cmpx_gt_u32_e64 s10, v76
	s_cbranch_execnz .LBB936_1006
.LBB936_990:                            ;   in Loop: Header=BB936_956 Depth=2
	s_or_b32 exec_lo, exec_lo, s11
	s_delay_alu instid0(SALU_CYCLE_1)
	s_mov_b32 s11, exec_lo
	v_cmpx_gt_u32_e64 s10, v77
	s_cbranch_execnz .LBB936_1007
.LBB936_991:                            ;   in Loop: Header=BB936_956 Depth=2
	s_or_b32 exec_lo, exec_lo, s11
	s_delay_alu instid0(SALU_CYCLE_1)
	s_mov_b32 s11, exec_lo
	v_cmpx_gt_u32_e64 s10, v78
	s_cbranch_execnz .LBB936_1008
.LBB936_992:                            ;   in Loop: Header=BB936_956 Depth=2
	s_or_b32 exec_lo, exec_lo, s11
	s_delay_alu instid0(SALU_CYCLE_1)
	s_mov_b32 s11, exec_lo
	v_cmpx_gt_u32_e64 s10, v79
	s_cbranch_execnz .LBB936_1009
.LBB936_993:                            ;   in Loop: Header=BB936_956 Depth=2
	s_or_b32 exec_lo, exec_lo, s11
	s_delay_alu instid0(SALU_CYCLE_1)
	s_mov_b32 s11, exec_lo
	v_cmpx_gt_u32_e64 s10, v80
	s_cbranch_execnz .LBB936_1010
.LBB936_994:                            ;   in Loop: Header=BB936_956 Depth=2
	s_or_b32 exec_lo, exec_lo, s11
	v_cmp_gt_u32_e32 vcc_lo, s10, v81
	s_and_saveexec_b32 s10, vcc_lo
	s_cbranch_execz .LBB936_955
	s_branch .LBB936_1011
.LBB936_995:                            ;   in Loop: Header=BB936_956 Depth=2
	v_xor_b32_e32 v40, 0x7fff, v39
	s_delay_alu instid0(VALU_DEP_1) | instskip(NEXT) | instid1(VALU_DEP_1)
	v_and_b32_e32 v40, 0xffff, v40
	v_lshrrev_b32_e32 v40, s49, v40
	s_delay_alu instid0(VALU_DEP_1) | instskip(NEXT) | instid1(VALU_DEP_1)
	v_and_b32_e32 v40, s48, v40
	v_lshl_or_b32 v40, v40, 4, v83
	ds_add_u32 v40, v97
	s_or_b32 exec_lo, exec_lo, s11
	s_delay_alu instid0(SALU_CYCLE_1)
	s_mov_b32 s11, exec_lo
	v_cmpx_gt_u32_e64 s10, v66
	s_cbranch_execz .LBB936_980
.LBB936_996:                            ;   in Loop: Header=BB936_956 Depth=2
	v_xor_b32_e32 v40, 0x7fff, v38
	s_delay_alu instid0(VALU_DEP_1) | instskip(NEXT) | instid1(VALU_DEP_1)
	v_and_b32_e32 v40, 0xffff, v40
	v_lshrrev_b32_e32 v40, s49, v40
	s_delay_alu instid0(VALU_DEP_1) | instskip(NEXT) | instid1(VALU_DEP_1)
	v_and_b32_e32 v40, s48, v40
	v_lshl_or_b32 v40, v40, 4, v83
	ds_add_u32 v40, v97
	s_or_b32 exec_lo, exec_lo, s11
	s_delay_alu instid0(SALU_CYCLE_1)
	s_mov_b32 s11, exec_lo
	v_cmpx_gt_u32_e64 s10, v67
	s_cbranch_execz .LBB936_981
.LBB936_997:                            ;   in Loop: Header=BB936_956 Depth=2
	v_xor_b32_e32 v40, 0x7fff, v37
	s_delay_alu instid0(VALU_DEP_1) | instskip(NEXT) | instid1(VALU_DEP_1)
	v_and_b32_e32 v40, 0xffff, v40
	v_lshrrev_b32_e32 v40, s49, v40
	s_delay_alu instid0(VALU_DEP_1) | instskip(NEXT) | instid1(VALU_DEP_1)
	v_and_b32_e32 v40, s48, v40
	v_lshl_or_b32 v40, v40, 4, v83
	ds_add_u32 v40, v97
	s_or_b32 exec_lo, exec_lo, s11
	s_delay_alu instid0(SALU_CYCLE_1)
	s_mov_b32 s11, exec_lo
	v_cmpx_gt_u32_e64 s10, v68
	s_cbranch_execz .LBB936_982
.LBB936_998:                            ;   in Loop: Header=BB936_956 Depth=2
	v_xor_b32_e32 v40, 0x7fff, v36
	s_delay_alu instid0(VALU_DEP_1) | instskip(NEXT) | instid1(VALU_DEP_1)
	v_and_b32_e32 v40, 0xffff, v40
	v_lshrrev_b32_e32 v40, s49, v40
	s_delay_alu instid0(VALU_DEP_1) | instskip(NEXT) | instid1(VALU_DEP_1)
	v_and_b32_e32 v40, s48, v40
	v_lshl_or_b32 v40, v40, 4, v83
	ds_add_u32 v40, v97
	s_or_b32 exec_lo, exec_lo, s11
	s_delay_alu instid0(SALU_CYCLE_1)
	s_mov_b32 s11, exec_lo
	v_cmpx_gt_u32_e64 s10, v69
	s_cbranch_execz .LBB936_983
.LBB936_999:                            ;   in Loop: Header=BB936_956 Depth=2
	v_xor_b32_e32 v40, 0x7fff, v35
	s_delay_alu instid0(VALU_DEP_1) | instskip(NEXT) | instid1(VALU_DEP_1)
	v_and_b32_e32 v40, 0xffff, v40
	v_lshrrev_b32_e32 v40, s49, v40
	s_delay_alu instid0(VALU_DEP_1) | instskip(NEXT) | instid1(VALU_DEP_1)
	v_and_b32_e32 v40, s48, v40
	v_lshl_or_b32 v40, v40, 4, v83
	ds_add_u32 v40, v97
	s_or_b32 exec_lo, exec_lo, s11
	s_delay_alu instid0(SALU_CYCLE_1)
	s_mov_b32 s11, exec_lo
	v_cmpx_gt_u32_e64 s10, v70
	s_cbranch_execz .LBB936_984
.LBB936_1000:                           ;   in Loop: Header=BB936_956 Depth=2
	v_xor_b32_e32 v40, 0x7fff, v34
	s_delay_alu instid0(VALU_DEP_1) | instskip(NEXT) | instid1(VALU_DEP_1)
	v_and_b32_e32 v40, 0xffff, v40
	v_lshrrev_b32_e32 v40, s49, v40
	s_delay_alu instid0(VALU_DEP_1) | instskip(NEXT) | instid1(VALU_DEP_1)
	v_and_b32_e32 v40, s48, v40
	v_lshl_or_b32 v40, v40, 4, v83
	ds_add_u32 v40, v97
	s_or_b32 exec_lo, exec_lo, s11
	s_delay_alu instid0(SALU_CYCLE_1)
	s_mov_b32 s11, exec_lo
	v_cmpx_gt_u32_e64 s10, v71
	s_cbranch_execz .LBB936_985
.LBB936_1001:                           ;   in Loop: Header=BB936_956 Depth=2
	v_xor_b32_e32 v40, 0x7fff, v33
	s_delay_alu instid0(VALU_DEP_1) | instskip(NEXT) | instid1(VALU_DEP_1)
	v_and_b32_e32 v40, 0xffff, v40
	v_lshrrev_b32_e32 v40, s49, v40
	s_delay_alu instid0(VALU_DEP_1) | instskip(NEXT) | instid1(VALU_DEP_1)
	v_and_b32_e32 v40, s48, v40
	v_lshl_or_b32 v40, v40, 4, v83
	ds_add_u32 v40, v97
	s_or_b32 exec_lo, exec_lo, s11
	s_delay_alu instid0(SALU_CYCLE_1)
	s_mov_b32 s11, exec_lo
	v_cmpx_gt_u32_e64 s10, v72
	s_cbranch_execz .LBB936_986
.LBB936_1002:                           ;   in Loop: Header=BB936_956 Depth=2
	v_xor_b32_e32 v40, 0x7fff, v32
	s_delay_alu instid0(VALU_DEP_1) | instskip(NEXT) | instid1(VALU_DEP_1)
	v_and_b32_e32 v40, 0xffff, v40
	v_lshrrev_b32_e32 v40, s49, v40
	s_delay_alu instid0(VALU_DEP_1) | instskip(NEXT) | instid1(VALU_DEP_1)
	v_and_b32_e32 v40, s48, v40
	v_lshl_or_b32 v40, v40, 4, v83
	ds_add_u32 v40, v97
	s_or_b32 exec_lo, exec_lo, s11
	s_delay_alu instid0(SALU_CYCLE_1)
	s_mov_b32 s11, exec_lo
	v_cmpx_gt_u32_e64 s10, v73
	s_cbranch_execz .LBB936_987
.LBB936_1003:                           ;   in Loop: Header=BB936_956 Depth=2
	v_xor_b32_e32 v40, 0x7fff, v31
	s_delay_alu instid0(VALU_DEP_1) | instskip(NEXT) | instid1(VALU_DEP_1)
	v_and_b32_e32 v40, 0xffff, v40
	v_lshrrev_b32_e32 v40, s49, v40
	s_delay_alu instid0(VALU_DEP_1) | instskip(NEXT) | instid1(VALU_DEP_1)
	v_and_b32_e32 v40, s48, v40
	v_lshl_or_b32 v40, v40, 4, v83
	ds_add_u32 v40, v97
	s_or_b32 exec_lo, exec_lo, s11
	s_delay_alu instid0(SALU_CYCLE_1)
	s_mov_b32 s11, exec_lo
	v_cmpx_gt_u32_e64 s10, v74
	s_cbranch_execz .LBB936_988
.LBB936_1004:                           ;   in Loop: Header=BB936_956 Depth=2
	v_xor_b32_e32 v40, 0x7fff, v30
	s_delay_alu instid0(VALU_DEP_1) | instskip(NEXT) | instid1(VALU_DEP_1)
	v_and_b32_e32 v40, 0xffff, v40
	v_lshrrev_b32_e32 v40, s49, v40
	s_delay_alu instid0(VALU_DEP_1) | instskip(NEXT) | instid1(VALU_DEP_1)
	v_and_b32_e32 v40, s48, v40
	v_lshl_or_b32 v40, v40, 4, v83
	ds_add_u32 v40, v97
	s_or_b32 exec_lo, exec_lo, s11
	s_delay_alu instid0(SALU_CYCLE_1)
	s_mov_b32 s11, exec_lo
	v_cmpx_gt_u32_e64 s10, v75
	s_cbranch_execz .LBB936_989
.LBB936_1005:                           ;   in Loop: Header=BB936_956 Depth=2
	v_xor_b32_e32 v40, 0x7fff, v29
	s_delay_alu instid0(VALU_DEP_1) | instskip(NEXT) | instid1(VALU_DEP_1)
	v_and_b32_e32 v40, 0xffff, v40
	v_lshrrev_b32_e32 v40, s49, v40
	s_delay_alu instid0(VALU_DEP_1) | instskip(NEXT) | instid1(VALU_DEP_1)
	v_and_b32_e32 v40, s48, v40
	v_lshl_or_b32 v40, v40, 4, v83
	ds_add_u32 v40, v97
	s_or_b32 exec_lo, exec_lo, s11
	s_delay_alu instid0(SALU_CYCLE_1)
	s_mov_b32 s11, exec_lo
	v_cmpx_gt_u32_e64 s10, v76
	s_cbranch_execz .LBB936_990
.LBB936_1006:                           ;   in Loop: Header=BB936_956 Depth=2
	v_xor_b32_e32 v40, 0x7fff, v28
	s_delay_alu instid0(VALU_DEP_1) | instskip(NEXT) | instid1(VALU_DEP_1)
	v_and_b32_e32 v40, 0xffff, v40
	v_lshrrev_b32_e32 v40, s49, v40
	s_delay_alu instid0(VALU_DEP_1) | instskip(NEXT) | instid1(VALU_DEP_1)
	v_and_b32_e32 v40, s48, v40
	v_lshl_or_b32 v40, v40, 4, v83
	ds_add_u32 v40, v97
	s_or_b32 exec_lo, exec_lo, s11
	s_delay_alu instid0(SALU_CYCLE_1)
	s_mov_b32 s11, exec_lo
	v_cmpx_gt_u32_e64 s10, v77
	s_cbranch_execz .LBB936_991
.LBB936_1007:                           ;   in Loop: Header=BB936_956 Depth=2
	v_xor_b32_e32 v40, 0x7fff, v27
	s_delay_alu instid0(VALU_DEP_1) | instskip(NEXT) | instid1(VALU_DEP_1)
	v_and_b32_e32 v40, 0xffff, v40
	v_lshrrev_b32_e32 v40, s49, v40
	s_delay_alu instid0(VALU_DEP_1) | instskip(NEXT) | instid1(VALU_DEP_1)
	v_and_b32_e32 v40, s48, v40
	v_lshl_or_b32 v40, v40, 4, v83
	ds_add_u32 v40, v97
	s_or_b32 exec_lo, exec_lo, s11
	s_delay_alu instid0(SALU_CYCLE_1)
	s_mov_b32 s11, exec_lo
	v_cmpx_gt_u32_e64 s10, v78
	s_cbranch_execz .LBB936_992
.LBB936_1008:                           ;   in Loop: Header=BB936_956 Depth=2
	v_xor_b32_e32 v40, 0x7fff, v26
	s_delay_alu instid0(VALU_DEP_1) | instskip(NEXT) | instid1(VALU_DEP_1)
	v_and_b32_e32 v40, 0xffff, v40
	v_lshrrev_b32_e32 v40, s49, v40
	s_delay_alu instid0(VALU_DEP_1) | instskip(NEXT) | instid1(VALU_DEP_1)
	v_and_b32_e32 v40, s48, v40
	v_lshl_or_b32 v40, v40, 4, v83
	ds_add_u32 v40, v97
	s_or_b32 exec_lo, exec_lo, s11
	s_delay_alu instid0(SALU_CYCLE_1)
	s_mov_b32 s11, exec_lo
	v_cmpx_gt_u32_e64 s10, v79
	s_cbranch_execz .LBB936_993
.LBB936_1009:                           ;   in Loop: Header=BB936_956 Depth=2
	v_xor_b32_e32 v40, 0x7fff, v25
	s_delay_alu instid0(VALU_DEP_1) | instskip(NEXT) | instid1(VALU_DEP_1)
	v_and_b32_e32 v40, 0xffff, v40
	v_lshrrev_b32_e32 v40, s49, v40
	s_delay_alu instid0(VALU_DEP_1) | instskip(NEXT) | instid1(VALU_DEP_1)
	v_and_b32_e32 v40, s48, v40
	v_lshl_or_b32 v40, v40, 4, v83
	ds_add_u32 v40, v97
	s_or_b32 exec_lo, exec_lo, s11
	s_delay_alu instid0(SALU_CYCLE_1)
	s_mov_b32 s11, exec_lo
	v_cmpx_gt_u32_e64 s10, v80
	s_cbranch_execz .LBB936_994
.LBB936_1010:                           ;   in Loop: Header=BB936_956 Depth=2
	v_xor_b32_e32 v40, 0x7fff, v24
	s_delay_alu instid0(VALU_DEP_1) | instskip(NEXT) | instid1(VALU_DEP_1)
	v_and_b32_e32 v40, 0xffff, v40
	v_lshrrev_b32_e32 v40, s49, v40
	s_delay_alu instid0(VALU_DEP_1) | instskip(NEXT) | instid1(VALU_DEP_1)
	v_and_b32_e32 v40, s48, v40
	v_lshl_or_b32 v40, v40, 4, v83
	ds_add_u32 v40, v97
	s_or_b32 exec_lo, exec_lo, s11
	v_cmp_gt_u32_e32 vcc_lo, s10, v81
	s_and_saveexec_b32 s10, vcc_lo
	s_cbranch_execz .LBB936_955
.LBB936_1011:                           ;   in Loop: Header=BB936_956 Depth=2
	v_xor_b32_e32 v40, 0x7fff, v23
	s_delay_alu instid0(VALU_DEP_1) | instskip(NEXT) | instid1(VALU_DEP_1)
	v_and_b32_e32 v40, 0xffff, v40
	v_lshrrev_b32_e32 v40, s49, v40
	s_delay_alu instid0(VALU_DEP_1) | instskip(NEXT) | instid1(VALU_DEP_1)
	v_and_b32_e32 v40, s48, v40
	v_lshl_or_b32 v40, v40, 4, v83
	ds_add_u32 v40, v97
	s_branch .LBB936_955
.LBB936_1012:                           ;   in Loop: Header=BB936_956 Depth=2
	global_load_u16 v39, v2, s[10:11] scale_offset
	s_wait_xcnt 0x0
	s_or_b32 exec_lo, exec_lo, s13
	s_delay_alu instid0(SALU_CYCLE_1)
	s_mov_b32 s13, exec_lo
	v_cmpx_gt_u32_e64 s9, v66
	s_cbranch_execz .LBB936_961
.LBB936_1013:                           ;   in Loop: Header=BB936_956 Depth=2
	global_load_u16 v38, v2, s[10:11] offset:512 scale_offset
	s_wait_xcnt 0x0
	s_or_b32 exec_lo, exec_lo, s13
	s_delay_alu instid0(SALU_CYCLE_1)
	s_mov_b32 s13, exec_lo
	v_cmpx_gt_u32_e64 s9, v67
	s_cbranch_execz .LBB936_962
.LBB936_1014:                           ;   in Loop: Header=BB936_956 Depth=2
	global_load_u16 v37, v2, s[10:11] offset:1024 scale_offset
	s_wait_xcnt 0x0
	s_or_b32 exec_lo, exec_lo, s13
	s_delay_alu instid0(SALU_CYCLE_1)
	s_mov_b32 s13, exec_lo
	v_cmpx_gt_u32_e64 s9, v68
	s_cbranch_execz .LBB936_963
.LBB936_1015:                           ;   in Loop: Header=BB936_956 Depth=2
	global_load_u16 v36, v2, s[10:11] offset:1536 scale_offset
	s_wait_xcnt 0x0
	s_or_b32 exec_lo, exec_lo, s13
	s_delay_alu instid0(SALU_CYCLE_1)
	s_mov_b32 s13, exec_lo
	v_cmpx_gt_u32_e64 s9, v69
	s_cbranch_execz .LBB936_964
.LBB936_1016:                           ;   in Loop: Header=BB936_956 Depth=2
	global_load_u16 v35, v2, s[10:11] offset:2048 scale_offset
	s_wait_xcnt 0x0
	s_or_b32 exec_lo, exec_lo, s13
	s_delay_alu instid0(SALU_CYCLE_1)
	s_mov_b32 s13, exec_lo
	v_cmpx_gt_u32_e64 s9, v70
	s_cbranch_execz .LBB936_965
.LBB936_1017:                           ;   in Loop: Header=BB936_956 Depth=2
	global_load_u16 v34, v2, s[10:11] offset:2560 scale_offset
	s_wait_xcnt 0x0
	s_or_b32 exec_lo, exec_lo, s13
	s_delay_alu instid0(SALU_CYCLE_1)
	s_mov_b32 s13, exec_lo
	v_cmpx_gt_u32_e64 s9, v71
	s_cbranch_execz .LBB936_966
.LBB936_1018:                           ;   in Loop: Header=BB936_956 Depth=2
	global_load_u16 v33, v2, s[10:11] offset:3072 scale_offset
	s_wait_xcnt 0x0
	s_or_b32 exec_lo, exec_lo, s13
	s_delay_alu instid0(SALU_CYCLE_1)
	s_mov_b32 s13, exec_lo
	v_cmpx_gt_u32_e64 s9, v72
	s_cbranch_execz .LBB936_967
.LBB936_1019:                           ;   in Loop: Header=BB936_956 Depth=2
	global_load_u16 v32, v2, s[10:11] offset:3584 scale_offset
	s_wait_xcnt 0x0
	s_or_b32 exec_lo, exec_lo, s13
	s_delay_alu instid0(SALU_CYCLE_1)
	s_mov_b32 s13, exec_lo
	v_cmpx_gt_u32_e64 s9, v73
	s_cbranch_execz .LBB936_968
.LBB936_1020:                           ;   in Loop: Header=BB936_956 Depth=2
	global_load_u16 v31, v2, s[10:11] offset:4096 scale_offset
	s_wait_xcnt 0x0
	s_or_b32 exec_lo, exec_lo, s13
	s_delay_alu instid0(SALU_CYCLE_1)
	s_mov_b32 s13, exec_lo
	v_cmpx_gt_u32_e64 s9, v74
	s_cbranch_execz .LBB936_969
.LBB936_1021:                           ;   in Loop: Header=BB936_956 Depth=2
	global_load_u16 v30, v2, s[10:11] offset:4608 scale_offset
	s_wait_xcnt 0x0
	s_or_b32 exec_lo, exec_lo, s13
	s_delay_alu instid0(SALU_CYCLE_1)
	s_mov_b32 s13, exec_lo
	v_cmpx_gt_u32_e64 s9, v75
	s_cbranch_execz .LBB936_970
.LBB936_1022:                           ;   in Loop: Header=BB936_956 Depth=2
	global_load_u16 v29, v2, s[10:11] offset:5120 scale_offset
	s_wait_xcnt 0x0
	s_or_b32 exec_lo, exec_lo, s13
	s_delay_alu instid0(SALU_CYCLE_1)
	s_mov_b32 s13, exec_lo
	v_cmpx_gt_u32_e64 s9, v76
	s_cbranch_execz .LBB936_971
.LBB936_1023:                           ;   in Loop: Header=BB936_956 Depth=2
	global_load_u16 v28, v2, s[10:11] offset:5632 scale_offset
	s_wait_xcnt 0x0
	s_or_b32 exec_lo, exec_lo, s13
	s_delay_alu instid0(SALU_CYCLE_1)
	s_mov_b32 s13, exec_lo
	v_cmpx_gt_u32_e64 s9, v77
	s_cbranch_execz .LBB936_972
.LBB936_1024:                           ;   in Loop: Header=BB936_956 Depth=2
	global_load_u16 v27, v2, s[10:11] offset:6144 scale_offset
	s_wait_xcnt 0x0
	s_or_b32 exec_lo, exec_lo, s13
	s_delay_alu instid0(SALU_CYCLE_1)
	s_mov_b32 s13, exec_lo
	v_cmpx_gt_u32_e64 s9, v78
	s_cbranch_execz .LBB936_973
.LBB936_1025:                           ;   in Loop: Header=BB936_956 Depth=2
	global_load_u16 v26, v2, s[10:11] offset:6656 scale_offset
	s_wait_xcnt 0x0
	s_or_b32 exec_lo, exec_lo, s13
	s_delay_alu instid0(SALU_CYCLE_1)
	s_mov_b32 s13, exec_lo
	v_cmpx_gt_u32_e64 s9, v79
	s_cbranch_execz .LBB936_974
.LBB936_1026:                           ;   in Loop: Header=BB936_956 Depth=2
	global_load_u16 v25, v2, s[10:11] offset:7168 scale_offset
	s_wait_xcnt 0x0
	s_or_b32 exec_lo, exec_lo, s13
	s_delay_alu instid0(SALU_CYCLE_1)
	s_mov_b32 s13, exec_lo
	v_cmpx_gt_u32_e64 s9, v80
	s_cbranch_execz .LBB936_975
.LBB936_1027:                           ;   in Loop: Header=BB936_956 Depth=2
	global_load_u16 v24, v2, s[10:11] offset:7680 scale_offset
	s_wait_xcnt 0x0
	s_or_b32 exec_lo, exec_lo, s13
	s_delay_alu instid0(SALU_CYCLE_1)
	s_mov_b32 s13, exec_lo
	v_cmpx_gt_u32_e64 s9, v81
	s_cbranch_execnz .LBB936_976
	s_branch .LBB936_977
.LBB936_1028:                           ;   in Loop: Header=BB936_20 Depth=1
	v_mov_b32_e32 v23, 0
	s_wait_dscnt 0x0
	s_barrier_signal -1
	s_barrier_wait -1
	s_and_saveexec_b32 s9, s0
	s_cbranch_execz .LBB936_1030
; %bb.1029:                             ;   in Loop: Header=BB936_20 Depth=1
	ds_load_2addr_b64 v[24:27], v84 offset1:1
	s_wait_dscnt 0x0
	v_add_nc_u32_e32 v23, v25, v24
	s_delay_alu instid0(VALU_DEP_1)
	v_add3_u32 v23, v23, v26, v27
.LBB936_1030:                           ;   in Loop: Header=BB936_20 Depth=1
	s_or_b32 exec_lo, exec_lo, s9
	s_delay_alu instid0(VALU_DEP_1)
	v_mov_b32_dpp v24, v23 row_shr:1 row_mask:0xf bank_mask:0xf
	v_cmp_eq_u32_e64 s9, 0, v98
	v_cmp_lt_u32_e64 s10, 1, v98
	v_cmp_lt_u32_e64 s11, 3, v98
	;; [unrolled: 1-line block ×3, first 2 shown]
	v_cmp_eq_u32_e64 s13, 0, v100
	v_cndmask_b32_e64 v24, v24, 0, s9
	s_delay_alu instid0(VALU_DEP_1) | instskip(NEXT) | instid1(VALU_DEP_1)
	v_add_nc_u32_e32 v23, v24, v23
	v_mov_b32_dpp v24, v23 row_shr:2 row_mask:0xf bank_mask:0xf
	s_delay_alu instid0(VALU_DEP_1) | instskip(NEXT) | instid1(VALU_DEP_1)
	v_cndmask_b32_e64 v24, 0, v24, s10
	v_add_nc_u32_e32 v23, v23, v24
	s_delay_alu instid0(VALU_DEP_1) | instskip(NEXT) | instid1(VALU_DEP_1)
	v_mov_b32_dpp v24, v23 row_shr:4 row_mask:0xf bank_mask:0xf
	v_cndmask_b32_e64 v24, 0, v24, s11
	s_delay_alu instid0(VALU_DEP_1) | instskip(NEXT) | instid1(VALU_DEP_1)
	v_add_nc_u32_e32 v23, v23, v24
	v_mov_b32_dpp v24, v23 row_shr:8 row_mask:0xf bank_mask:0xf
	s_delay_alu instid0(VALU_DEP_1) | instskip(NEXT) | instid1(VALU_DEP_1)
	v_cndmask_b32_e64 v24, 0, v24, s12
	v_add_nc_u32_e32 v23, v23, v24
	ds_swizzle_b32 v24, v23 offset:swizzle(BROADCAST,32,15)
	s_wait_dscnt 0x0
	v_and_b32_e32 v24, v99, v24
	s_delay_alu instid0(VALU_DEP_1)
	v_add_nc_u32_e32 v23, v23, v24
	s_and_saveexec_b32 s14, s1
; %bb.1031:                             ;   in Loop: Header=BB936_20 Depth=1
	ds_store_b32 v85, v23
; %bb.1032:                             ;   in Loop: Header=BB936_20 Depth=1
	s_or_b32 exec_lo, exec_lo, s14
	s_wait_dscnt 0x0
	s_barrier_signal -1
	s_barrier_wait -1
	s_and_saveexec_b32 s14, s4
	s_cbranch_execz .LBB936_1034
; %bb.1033:                             ;   in Loop: Header=BB936_20 Depth=1
	ds_load_b32 v24, v86
	v_cmp_ne_u32_e32 vcc_lo, 0, v101
	s_wait_dscnt 0x0
	v_mov_b32_dpp v25, v24 row_shr:1 row_mask:0xf bank_mask:0xf
	s_delay_alu instid0(VALU_DEP_1) | instskip(SKIP_1) | instid1(VALU_DEP_2)
	v_cndmask_b32_e32 v25, 0, v25, vcc_lo
	v_cmp_lt_u32_e32 vcc_lo, 1, v101
	v_add_nc_u32_e32 v24, v25, v24
	s_delay_alu instid0(VALU_DEP_1) | instskip(NEXT) | instid1(VALU_DEP_1)
	v_mov_b32_dpp v25, v24 row_shr:2 row_mask:0xf bank_mask:0xf
	v_cndmask_b32_e32 v25, 0, v25, vcc_lo
	s_delay_alu instid0(VALU_DEP_1)
	v_add_nc_u32_e32 v24, v24, v25
	ds_store_b32 v86, v24
.LBB936_1034:                           ;   in Loop: Header=BB936_20 Depth=1
	s_or_b32 exec_lo, exec_lo, s14
	v_mov_b32_e32 v24, 0
	s_wait_dscnt 0x0
	s_barrier_signal -1
	s_barrier_wait -1
	s_and_saveexec_b32 s14, s5
; %bb.1035:                             ;   in Loop: Header=BB936_20 Depth=1
	ds_load_b32 v24, v87
; %bb.1036:                             ;   in Loop: Header=BB936_20 Depth=1
	s_or_b32 exec_lo, exec_lo, s14
	v_cmp_gt_i32_e32 vcc_lo, 0, v103
	s_wait_dscnt 0x0
	s_barrier_signal -1
	s_barrier_wait -1
	v_dual_cndmask_b32 v25, v103, v96, vcc_lo :: v_dual_add_nc_u32 v23, v24, v23
	s_delay_alu instid0(VALU_DEP_1)
	v_lshlrev_b32_e32 v121, 2, v25
	ds_bpermute_b32 v23, v121, v23
	s_and_saveexec_b32 s14, s0
	s_cbranch_execz .LBB936_1038
; %bb.1037:                             ;   in Loop: Header=BB936_20 Depth=1
	s_wait_dscnt 0x0
	v_cndmask_b32_e64 v23, v23, v24, s8
	s_delay_alu instid0(VALU_DEP_1)
	v_add_nc_u32_e32 v23, s55, v23
	ds_store_b32 v3, v23
.LBB936_1038:                           ;   in Loop: Header=BB936_20 Depth=1
	s_or_b32 exec_lo, exec_lo, s14
	s_load_b64 s[14:15], s[52:53], 0x0
	s_mov_b32 s58, s57
                                        ; implicit-def: $vgpr30_vgpr31
                                        ; implicit-def: $vgpr32_vgpr33
                                        ; implicit-def: $vgpr34_vgpr35
                                        ; implicit-def: $vgpr36_vgpr37
                                        ; implicit-def: $vgpr38_vgpr39
                                        ; implicit-def: $vgpr40_vgpr41
                                        ; implicit-def: $vgpr42_vgpr43
                                        ; implicit-def: $vgpr44_vgpr45
                                        ; implicit-def: $vgpr46_vgpr47
                                        ; implicit-def: $vgpr48_vgpr49
                                        ; implicit-def: $vgpr50_vgpr51
                                        ; implicit-def: $vgpr52_vgpr53
                                        ; implicit-def: $vgpr54_vgpr55
                                        ; implicit-def: $vgpr56_vgpr57
                                        ; implicit-def: $vgpr58_vgpr59
                                        ; implicit-def: $vgpr60_vgpr61
                                        ; implicit-def: $vgpr122
                                        ; implicit-def: $vgpr123
                                        ; implicit-def: $vgpr124
                                        ; implicit-def: $vgpr125
                                        ; implicit-def: $vgpr126
                                        ; implicit-def: $vgpr127
                                        ; implicit-def: $vgpr128
                                        ; implicit-def: $vgpr129
                                        ; implicit-def: $vgpr130
                                        ; implicit-def: $vgpr131
                                        ; implicit-def: $vgpr132
                                        ; implicit-def: $vgpr133
                                        ; implicit-def: $vgpr134
                                        ; implicit-def: $vgpr135
                                        ; implicit-def: $vgpr136
                                        ; implicit-def: $vgpr138
                                        ; implicit-def: $vgpr139
                                        ; implicit-def: $vgpr137
                                        ; implicit-def: $vgpr140
	s_wait_kmcnt 0x0
	s_cmp_lt_u32 s51, s14
	s_cselect_b32 s34, 12, 18
	s_cmp_lt_u32 s42, s15
	s_mov_b32 s15, s35
	s_cselect_b32 s14, 14, 20
	s_delay_alu instid0(SALU_CYCLE_1)
	s_add_nc_u64 s[14:15], s[52:53], s[14:15]
	s_load_u16 s16, s[14:15], 0x0
	s_wait_xcnt 0x0
	s_add_nc_u64 s[14:15], s[52:53], s[34:35]
	s_mov_b32 s34, s55
	s_load_u16 s14, s[14:15], 0x0
	s_wait_xcnt 0x0
	v_cmp_lt_u32_e64 s15, 1, v104
	s_wait_dscnt 0x0
	s_wait_kmcnt 0x0
	v_mad_u32_u24 v23, v88, s16, v90
	v_cmp_lt_u32_e64 s16, 3, v104
	s_delay_alu instid0(VALU_DEP_2) | instskip(SKIP_2) | instid1(VALU_DEP_3)
	v_mad_u32 v24, v23, s14, v2
	v_mov_b32_e32 v23, v5
	v_cmp_eq_u32_e64 s14, 0, v104
	v_lshrrev_b32_e32 v28, 3, v24
	v_add_nc_u64_e32 v[24:25], v[18:19], v[4:5]
	s_delay_alu instid0(VALU_DEP_4) | instskip(NEXT) | instid1(VALU_DEP_3)
	v_add_nc_u64_e32 v[26:27], v[20:21], v[22:23]
	v_and_b32_e32 v23, 0x1ffffffc, v28
                                        ; implicit-def: $vgpr28_vgpr29
	s_branch .LBB936_1040
.LBB936_1039:                           ;   in Loop: Header=BB936_1040 Depth=2
	s_or_b32 exec_lo, exec_lo, s17
	s_addk_co_i32 s58, 0xef00
	s_cmp_lt_u32 s59, s54
	s_mov_b32 s34, s59
	s_cbranch_scc0 .LBB936_18
.LBB936_1040:                           ;   Parent Loop BB936_20 Depth=1
                                        ; =>  This Inner Loop Header: Depth=2
	s_add_co_i32 s59, s34, 0x1100
	s_delay_alu instid0(SALU_CYCLE_1)
	s_cmp_gt_u32 s59, s54
	s_cbranch_scc1 .LBB936_1042
; %bb.1041:                             ;   in Loop: Header=BB936_1040 Depth=2
	s_delay_alu instid0(VALU_DEP_2)
	v_lshl_add_u64 v[62:63], s[34:35], 1, v[26:27]
	s_mov_b32 s17, -1
	s_clause 0xf
	global_load_u16 v143, v[62:63], off
	global_load_u16 v145, v[62:63], off offset:64
	global_load_u16 v147, v[62:63], off offset:128
	;; [unrolled: 1-line block ×15, first 2 shown]
	s_movk_i32 s18, 0x1100
	s_cbranch_execz .LBB936_1043
	s_branch .LBB936_1076
.LBB936_1042:                           ;   in Loop: Header=BB936_1040 Depth=2
	s_mov_b32 s17, 0
                                        ; implicit-def: $vgpr143
                                        ; implicit-def: $vgpr145
                                        ; implicit-def: $vgpr147
                                        ; implicit-def: $vgpr151
                                        ; implicit-def: $vgpr155
                                        ; implicit-def: $vgpr160
                                        ; implicit-def: $vgpr166
                                        ; implicit-def: $vgpr171
                                        ; implicit-def: $vgpr176
                                        ; implicit-def: $vgpr174
                                        ; implicit-def: $vgpr169
                                        ; implicit-def: $vgpr164
                                        ; implicit-def: $vgpr161
                                        ; implicit-def: $vgpr156
                                        ; implicit-def: $vgpr65
                                        ; implicit-def: $vgpr64
	s_movk_i32 s18, 0x1100
.LBB936_1043:                           ;   in Loop: Header=BB936_1040 Depth=2
	s_wait_xcnt 0x0
	v_lshl_add_u64 v[62:63], s[34:35], 1, v[26:27]
	s_wait_loadcnt 0xe
	v_mov_b32_e32 v145, 0xffff8000
	v_mov_b32_e32 v143, 0xffff8000
	s_mov_b32 s17, exec_lo
	v_cmpx_gt_u32_e64 s58, v102
	s_cbranch_execz .LBB936_1045
; %bb.1044:                             ;   in Loop: Header=BB936_1040 Depth=2
	global_load_u16 v143, v[62:63], off
.LBB936_1045:                           ;   in Loop: Header=BB936_1040 Depth=2
	s_wait_xcnt 0x0
	s_or_b32 exec_lo, exec_lo, s17
	s_delay_alu instid0(SALU_CYCLE_1)
	s_mov_b32 s17, exec_lo
	v_cmpx_gt_u32_e64 s58, v105
	s_cbranch_execz .LBB936_1047
; %bb.1046:                             ;   in Loop: Header=BB936_1040 Depth=2
	global_load_u16 v145, v[62:63], off offset:64
.LBB936_1047:                           ;   in Loop: Header=BB936_1040 Depth=2
	s_wait_xcnt 0x0
	s_or_b32 exec_lo, exec_lo, s17
	s_wait_loadcnt 0xc
	v_mov_b32_e32 v151, 0xffff8000
	v_mov_b32_e32 v147, 0xffff8000
	s_mov_b32 s17, exec_lo
	v_cmpx_gt_u32_e64 s58, v106
	s_cbranch_execz .LBB936_1049
; %bb.1048:                             ;   in Loop: Header=BB936_1040 Depth=2
	global_load_u16 v147, v[62:63], off offset:128
.LBB936_1049:                           ;   in Loop: Header=BB936_1040 Depth=2
	s_wait_xcnt 0x0
	s_or_b32 exec_lo, exec_lo, s17
	s_delay_alu instid0(SALU_CYCLE_1)
	s_mov_b32 s17, exec_lo
	v_cmpx_gt_u32_e64 s58, v107
	s_cbranch_execz .LBB936_1051
; %bb.1050:                             ;   in Loop: Header=BB936_1040 Depth=2
	global_load_u16 v151, v[62:63], off offset:192
.LBB936_1051:                           ;   in Loop: Header=BB936_1040 Depth=2
	s_wait_xcnt 0x0
	s_or_b32 exec_lo, exec_lo, s17
	s_wait_loadcnt 0xa
	v_dual_mov_b32 v160, 0xffff8000 :: v_dual_mov_b32 v155, 0xffff8000
	s_mov_b32 s17, exec_lo
	v_cmpx_gt_u32_e64 s58, v108
	s_cbranch_execz .LBB936_1053
; %bb.1052:                             ;   in Loop: Header=BB936_1040 Depth=2
	global_load_u16 v155, v[62:63], off offset:256
.LBB936_1053:                           ;   in Loop: Header=BB936_1040 Depth=2
	s_wait_xcnt 0x0
	s_or_b32 exec_lo, exec_lo, s17
	s_delay_alu instid0(SALU_CYCLE_1)
	s_mov_b32 s17, exec_lo
	v_cmpx_gt_u32_e64 s58, v109
	s_cbranch_execz .LBB936_1055
; %bb.1054:                             ;   in Loop: Header=BB936_1040 Depth=2
	global_load_u16 v160, v[62:63], off offset:320
.LBB936_1055:                           ;   in Loop: Header=BB936_1040 Depth=2
	s_wait_xcnt 0x0
	s_or_b32 exec_lo, exec_lo, s17
	s_wait_loadcnt 0x8
	v_dual_mov_b32 v171, 0xffff8000 :: v_dual_mov_b32 v166, 0xffff8000
	s_mov_b32 s17, exec_lo
	v_cmpx_gt_u32_e64 s58, v110
	s_cbranch_execz .LBB936_1057
; %bb.1056:                             ;   in Loop: Header=BB936_1040 Depth=2
	global_load_u16 v166, v[62:63], off offset:384
.LBB936_1057:                           ;   in Loop: Header=BB936_1040 Depth=2
	s_wait_xcnt 0x0
	s_or_b32 exec_lo, exec_lo, s17
	s_delay_alu instid0(SALU_CYCLE_1)
	s_mov_b32 s17, exec_lo
	v_cmpx_gt_u32_e64 s58, v111
	s_cbranch_execz .LBB936_1059
; %bb.1058:                             ;   in Loop: Header=BB936_1040 Depth=2
	global_load_u16 v171, v[62:63], off offset:448
.LBB936_1059:                           ;   in Loop: Header=BB936_1040 Depth=2
	s_wait_xcnt 0x0
	s_or_b32 exec_lo, exec_lo, s17
	s_wait_loadcnt 0x6
	v_mov_b32_e32 v174, 0xffff8000
	v_mov_b32_e32 v176, 0xffff8000
	s_mov_b32 s17, exec_lo
	v_cmpx_gt_u32_e64 s58, v112
	s_cbranch_execz .LBB936_1061
; %bb.1060:                             ;   in Loop: Header=BB936_1040 Depth=2
	global_load_u16 v176, v[62:63], off offset:512
.LBB936_1061:                           ;   in Loop: Header=BB936_1040 Depth=2
	s_wait_xcnt 0x0
	s_or_b32 exec_lo, exec_lo, s17
	s_delay_alu instid0(SALU_CYCLE_1)
	s_mov_b32 s17, exec_lo
	v_cmpx_gt_u32_e64 s58, v113
	s_cbranch_execz .LBB936_1063
; %bb.1062:                             ;   in Loop: Header=BB936_1040 Depth=2
	global_load_u16 v174, v[62:63], off offset:576
.LBB936_1063:                           ;   in Loop: Header=BB936_1040 Depth=2
	s_wait_xcnt 0x0
	s_or_b32 exec_lo, exec_lo, s17
	s_wait_loadcnt 0x4
	v_dual_mov_b32 v164, 0xffff8000 :: v_dual_mov_b32 v169, 0xffff8000
	s_mov_b32 s17, exec_lo
	v_cmpx_gt_u32_e64 s58, v114
	s_cbranch_execz .LBB936_1065
; %bb.1064:                             ;   in Loop: Header=BB936_1040 Depth=2
	global_load_u16 v169, v[62:63], off offset:640
.LBB936_1065:                           ;   in Loop: Header=BB936_1040 Depth=2
	s_wait_xcnt 0x0
	s_or_b32 exec_lo, exec_lo, s17
	s_delay_alu instid0(SALU_CYCLE_1)
	s_mov_b32 s17, exec_lo
	v_cmpx_gt_u32_e64 s58, v115
	s_cbranch_execz .LBB936_1067
; %bb.1066:                             ;   in Loop: Header=BB936_1040 Depth=2
	global_load_u16 v164, v[62:63], off offset:704
.LBB936_1067:                           ;   in Loop: Header=BB936_1040 Depth=2
	s_wait_xcnt 0x0
	s_or_b32 exec_lo, exec_lo, s17
	s_wait_loadcnt 0x2
	v_dual_mov_b32 v156, 0xffff8000 :: v_dual_mov_b32 v161, 0xffff8000
	s_mov_b32 s17, exec_lo
	v_cmpx_gt_u32_e64 s58, v116
	s_cbranch_execz .LBB936_1069
; %bb.1068:                             ;   in Loop: Header=BB936_1040 Depth=2
	global_load_u16 v161, v[62:63], off offset:768
.LBB936_1069:                           ;   in Loop: Header=BB936_1040 Depth=2
	s_wait_xcnt 0x0
	s_or_b32 exec_lo, exec_lo, s17
	s_delay_alu instid0(SALU_CYCLE_1)
	s_mov_b32 s17, exec_lo
	v_cmpx_gt_u32_e64 s58, v117
	s_cbranch_execz .LBB936_1071
; %bb.1070:                             ;   in Loop: Header=BB936_1040 Depth=2
	global_load_u16 v156, v[62:63], off offset:832
.LBB936_1071:                           ;   in Loop: Header=BB936_1040 Depth=2
	s_wait_xcnt 0x0
	s_or_b32 exec_lo, exec_lo, s17
	s_wait_loadcnt 0x0
	v_dual_mov_b32 v64, 0xffff8000 :: v_dual_mov_b32 v65, 0xffff8000
	s_mov_b32 s17, exec_lo
	v_cmpx_gt_u32_e64 s58, v118
	s_cbranch_execz .LBB936_1073
; %bb.1072:                             ;   in Loop: Header=BB936_1040 Depth=2
	global_load_u16 v65, v[62:63], off offset:896
.LBB936_1073:                           ;   in Loop: Header=BB936_1040 Depth=2
	s_wait_xcnt 0x0
	s_or_b32 exec_lo, exec_lo, s17
	s_delay_alu instid0(SALU_CYCLE_1)
	s_mov_b32 s17, exec_lo
	v_cmpx_gt_u32_e64 s58, v119
	s_cbranch_execz .LBB936_1075
; %bb.1074:                             ;   in Loop: Header=BB936_1040 Depth=2
	global_load_u16 v64, v[62:63], off offset:960
.LBB936_1075:                           ;   in Loop: Header=BB936_1040 Depth=2
	s_wait_xcnt 0x0
	s_or_b32 exec_lo, exec_lo, s17
	v_cmp_gt_u32_e64 s17, s58, v120
	s_sub_co_i32 s18, s54, s34
.LBB936_1076:                           ;   in Loop: Header=BB936_1040 Depth=2
	v_dual_mov_b32 v142, -1 :: v_dual_mov_b32 v141, s58
	s_wait_xcnt 0x0
	s_and_saveexec_b32 s19, s17
	s_cbranch_execz .LBB936_1078
; %bb.1077:                             ;   in Loop: Header=BB936_1040 Depth=2
	v_lshl_add_u64 v[62:63], s[34:35], 1, v[26:27]
	v_mov_b32_e32 v141, s18
	global_load_u16 v62, v[62:63], off offset:1024
	s_wait_loadcnt 0x0
	v_xor_b32_e32 v142, 0x7fff, v62
.LBB936_1078:                           ;   in Loop: Header=BB936_1040 Depth=2
	s_wait_xcnt 0x0
	s_or_b32 exec_lo, exec_lo, s19
	s_wait_loadcnt 0xf
	v_xor_b32_e32 v143, 0x7fff, v143
	ds_store_2addr_b32 v89, v5, v5 offset0:136 offset1:137
	ds_store_2addr_b32 v89, v5, v5 offset0:138 offset1:139
	ds_store_b32 v89, v5 offset:560
	s_wait_loadcnt_dscnt 0x0
	s_barrier_signal -1
	s_barrier_wait -1
	v_and_b32_e32 v62, 0xffff, v143
	; wave barrier
	s_delay_alu instid0(VALU_DEP_1) | instskip(NEXT) | instid1(VALU_DEP_1)
	v_lshrrev_b32_e32 v62, s49, v62
	v_bitop3_b32 v63, v62, 1, s48 bitop3:0x80
	v_and_b32_e32 v146, s48, v62
	s_delay_alu instid0(VALU_DEP_2) | instskip(NEXT) | instid1(VALU_DEP_1)
	v_add_co_u32 v62, s17, v63, -1
	v_cndmask_b32_e64 v63, 0, 1, s17
	s_delay_alu instid0(VALU_DEP_3) | instskip(NEXT) | instid1(VALU_DEP_2)
	v_dual_lshlrev_b32 v144, 30, v146 :: v_dual_lshlrev_b32 v148, 29, v146
	v_cmp_ne_u32_e32 vcc_lo, 0, v63
	s_delay_alu instid0(VALU_DEP_2) | instskip(SKIP_1) | instid1(VALU_DEP_4)
	v_cmp_gt_i32_e64 s17, 0, v144
	v_not_b32_e32 v63, v144
	v_not_b32_e32 v144, v148
	v_cmp_gt_i32_e64 s18, 0, v148
	v_bitop3_b32 v62, vcc_lo, exec_lo, v62 bitop3:0x48
	s_delay_alu instid0(VALU_DEP_3) | instskip(SKIP_2) | instid1(VALU_DEP_3)
	v_dual_ashrrev_i32 v63, 31, v63 :: v_dual_ashrrev_i32 v144, 31, v144
	v_dual_lshlrev_b32 v149, 28, v146 :: v_dual_lshlrev_b32 v150, 27, v146
	v_dual_lshlrev_b32 v152, 26, v146 :: v_dual_lshlrev_b32 v153, 25, v146
	v_xor_b32_e32 v144, s18, v144
	s_delay_alu instid0(VALU_DEP_3)
	v_cmp_gt_i32_e64 s19, 0, v149
	v_not_b32_e32 v148, v149
	v_not_b32_e32 v149, v150
	v_cmp_gt_i32_e64 s20, 0, v150
	v_cmp_gt_i32_e64 s21, 0, v152
	v_not_b32_e32 v150, v152
	v_not_b32_e32 v152, v153
	v_dual_ashrrev_i32 v148, 31, v148 :: v_dual_ashrrev_i32 v149, 31, v149
	s_delay_alu instid0(VALU_DEP_3) | instskip(SKIP_1) | instid1(VALU_DEP_3)
	v_dual_ashrrev_i32 v150, 31, v150 :: v_dual_bitop2_b32 v63, s17, v63 bitop3:0x14
	v_cmp_gt_i32_e64 s22, 0, v153
	v_dual_ashrrev_i32 v152, 31, v152 :: v_dual_bitop2_b32 v149, s20, v149 bitop3:0x14
	s_delay_alu instid0(VALU_DEP_4) | instskip(NEXT) | instid1(VALU_DEP_4)
	v_xor_b32_e32 v148, s19, v148
	v_bitop3_b32 v62, v62, v144, v63 bitop3:0x80
	v_xor_b32_e32 v63, s21, v150
	s_delay_alu instid0(VALU_DEP_4) | instskip(NEXT) | instid1(VALU_DEP_3)
	v_xor_b32_e32 v144, s22, v152
	v_bitop3_b32 v62, v62, v149, v148 bitop3:0x80
	s_delay_alu instid0(VALU_DEP_1) | instskip(SKIP_1) | instid1(VALU_DEP_2)
	v_bitop3_b32 v62, v62, v144, v63 bitop3:0x80
	v_mul_u32_u24_e32 v63, 36, v146
	v_mbcnt_lo_u32_b32 v144, v62, 0
	v_cmp_ne_u32_e64 s17, 0, v62
	s_delay_alu instid0(VALU_DEP_3) | instskip(NEXT) | instid1(VALU_DEP_3)
	v_add_nc_u32_e32 v146, v23, v63
	v_cmp_eq_u32_e32 vcc_lo, 0, v144
	s_and_b32 s18, s17, vcc_lo
	s_delay_alu instid0(SALU_CYCLE_1)
	s_and_saveexec_b32 s17, s18
; %bb.1079:                             ;   in Loop: Header=BB936_1040 Depth=2
	v_bcnt_u32_b32 v62, v62, 0
	ds_store_b32 v146, v62 offset:544
; %bb.1080:                             ;   in Loop: Header=BB936_1040 Depth=2
	s_or_b32 exec_lo, exec_lo, s17
	v_xor_b32_e32 v145, 0x7fff, v145
	; wave barrier
	s_delay_alu instid0(VALU_DEP_1) | instskip(NEXT) | instid1(VALU_DEP_1)
	v_and_b32_e32 v62, 0xffff, v145
	v_lshrrev_b32_e32 v62, s49, v62
	s_delay_alu instid0(VALU_DEP_1) | instskip(SKIP_1) | instid1(VALU_DEP_2)
	v_bitop3_b32 v63, v62, 1, s48 bitop3:0x80
	v_and_b32_e32 v150, s48, v62
	v_add_co_u32 v62, s17, v63, -1
	s_delay_alu instid0(VALU_DEP_1) | instskip(NEXT) | instid1(VALU_DEP_3)
	v_cndmask_b32_e64 v63, 0, 1, s17
	v_dual_lshlrev_b32 v148, 30, v150 :: v_dual_lshlrev_b32 v149, 29, v150
	s_delay_alu instid0(VALU_DEP_2) | instskip(NEXT) | instid1(VALU_DEP_2)
	v_cmp_ne_u32_e32 vcc_lo, 0, v63
	v_cmp_gt_i32_e64 s17, 0, v148
	v_not_b32_e32 v63, v148
	s_delay_alu instid0(VALU_DEP_4) | instskip(SKIP_2) | instid1(VALU_DEP_3)
	v_not_b32_e32 v148, v149
	v_cmp_gt_i32_e64 s18, 0, v149
	v_bitop3_b32 v62, vcc_lo, exec_lo, v62 bitop3:0x48
	v_dual_ashrrev_i32 v63, 31, v63 :: v_dual_ashrrev_i32 v148, 31, v148
	v_dual_lshlrev_b32 v152, 28, v150 :: v_dual_lshlrev_b32 v153, 27, v150
	v_dual_lshlrev_b32 v154, 26, v150 :: v_dual_lshlrev_b32 v157, 25, v150
	s_delay_alu instid0(VALU_DEP_2) | instskip(SKIP_1) | instid1(VALU_DEP_4)
	v_cmp_gt_i32_e64 s19, 0, v152
	v_not_b32_e32 v149, v152
	v_cmp_gt_i32_e64 s20, 0, v153
	v_not_b32_e32 v152, v153
	;; [unrolled: 2-line block ×3, first 2 shown]
	v_not_b32_e32 v154, v157
	v_xor_b32_e32 v63, s17, v63
	v_dual_ashrrev_i32 v149, 31, v149 :: v_dual_bitop2_b32 v148, s18, v148 bitop3:0x14
	s_delay_alu instid0(VALU_DEP_4) | instskip(NEXT) | instid1(VALU_DEP_4)
	v_dual_ashrrev_i32 v152, 31, v152 :: v_dual_ashrrev_i32 v153, 31, v153
	v_ashrrev_i32_e32 v154, 31, v154
	s_delay_alu instid0(VALU_DEP_3)
	v_bitop3_b32 v62, v62, v148, v63 bitop3:0x80
	v_mad_u32_u24 v63, v150, 36, v23
	v_cmp_gt_i32_e64 s22, 0, v157
	v_xor_b32_e32 v152, s20, v152
	v_xor_b32_e32 v153, s21, v153
	ds_load_b32 v148, v63 offset:544
	v_mul_u32_u24_e32 v63, 36, v150
	v_xor_b32_e32 v149, s19, v149
	v_xor_b32_e32 v154, s22, v154
	; wave barrier
	s_delay_alu instid0(VALU_DEP_3) | instskip(NEXT) | instid1(VALU_DEP_3)
	v_add_nc_u32_e32 v150, v23, v63
	v_bitop3_b32 v62, v62, v152, v149 bitop3:0x80
	s_delay_alu instid0(VALU_DEP_1) | instskip(NEXT) | instid1(VALU_DEP_1)
	v_bitop3_b32 v62, v62, v154, v153 bitop3:0x80
	v_mbcnt_lo_u32_b32 v149, v62, 0
	v_cmp_ne_u32_e64 s17, 0, v62
	s_delay_alu instid0(VALU_DEP_2) | instskip(SKIP_1) | instid1(SALU_CYCLE_1)
	v_cmp_eq_u32_e32 vcc_lo, 0, v149
	s_and_b32 s18, s17, vcc_lo
	s_and_saveexec_b32 s17, s18
	s_cbranch_execz .LBB936_1082
; %bb.1081:                             ;   in Loop: Header=BB936_1040 Depth=2
	s_wait_dscnt 0x0
	v_bcnt_u32_b32 v62, v62, v148
	ds_store_b32 v150, v62 offset:544
.LBB936_1082:                           ;   in Loop: Header=BB936_1040 Depth=2
	s_or_b32 exec_lo, exec_lo, s17
	v_xor_b32_e32 v147, 0x7fff, v147
	; wave barrier
	s_delay_alu instid0(VALU_DEP_1) | instskip(NEXT) | instid1(VALU_DEP_1)
	v_and_b32_e32 v62, 0xffff, v147
	v_lshrrev_b32_e32 v62, s49, v62
	s_delay_alu instid0(VALU_DEP_1) | instskip(SKIP_1) | instid1(VALU_DEP_2)
	v_bitop3_b32 v63, v62, 1, s48 bitop3:0x80
	v_and_b32_e32 v154, s48, v62
	v_add_co_u32 v62, s17, v63, -1
	s_delay_alu instid0(VALU_DEP_1) | instskip(NEXT) | instid1(VALU_DEP_3)
	v_cndmask_b32_e64 v63, 0, 1, s17
	v_dual_lshlrev_b32 v152, 30, v154 :: v_dual_lshlrev_b32 v153, 29, v154
	s_delay_alu instid0(VALU_DEP_2) | instskip(NEXT) | instid1(VALU_DEP_2)
	v_cmp_ne_u32_e32 vcc_lo, 0, v63
	v_cmp_gt_i32_e64 s17, 0, v152
	v_not_b32_e32 v63, v152
	s_delay_alu instid0(VALU_DEP_4) | instskip(SKIP_2) | instid1(VALU_DEP_3)
	v_not_b32_e32 v152, v153
	v_cmp_gt_i32_e64 s18, 0, v153
	v_bitop3_b32 v62, vcc_lo, exec_lo, v62 bitop3:0x48
	v_dual_ashrrev_i32 v63, 31, v63 :: v_dual_ashrrev_i32 v152, 31, v152
	v_dual_lshlrev_b32 v157, 28, v154 :: v_dual_lshlrev_b32 v158, 27, v154
	v_dual_lshlrev_b32 v159, 26, v154 :: v_dual_lshlrev_b32 v162, 25, v154
	s_delay_alu instid0(VALU_DEP_3) | instskip(NEXT) | instid1(VALU_DEP_3)
	v_xor_b32_e32 v63, s17, v63
	v_cmp_gt_i32_e64 s19, 0, v157
	v_not_b32_e32 v153, v157
	v_not_b32_e32 v157, v158
	v_xor_b32_e32 v152, s18, v152
	v_cmp_gt_i32_e64 s20, 0, v158
	v_cmp_gt_i32_e64 s21, 0, v159
	v_ashrrev_i32_e32 v153, 31, v153
	v_ashrrev_i32_e32 v157, 31, v157
	v_not_b32_e32 v158, v159
	v_not_b32_e32 v159, v162
	v_bitop3_b32 v62, v62, v152, v63 bitop3:0x80
	v_mad_u32_u24 v63, v154, 36, v23
	v_cmp_gt_i32_e64 s22, 0, v162
	s_delay_alu instid0(VALU_DEP_4)
	v_dual_ashrrev_i32 v158, 31, v158 :: v_dual_ashrrev_i32 v159, 31, v159
	v_xor_b32_e32 v157, s20, v157
	ds_load_b32 v152, v63 offset:544
	v_mul_u32_u24_e32 v63, 36, v154
	v_xor_b32_e32 v153, s19, v153
	v_xor_b32_e32 v158, s21, v158
	;; [unrolled: 1-line block ×3, first 2 shown]
	s_delay_alu instid0(VALU_DEP_4) | instskip(NEXT) | instid1(VALU_DEP_4)
	v_add_nc_u32_e32 v154, v23, v63
	v_bitop3_b32 v62, v62, v157, v153 bitop3:0x80
	; wave barrier
	s_delay_alu instid0(VALU_DEP_1) | instskip(NEXT) | instid1(VALU_DEP_1)
	v_bitop3_b32 v62, v62, v159, v158 bitop3:0x80
	v_mbcnt_lo_u32_b32 v153, v62, 0
	v_cmp_ne_u32_e64 s17, 0, v62
	s_delay_alu instid0(VALU_DEP_2) | instskip(SKIP_1) | instid1(SALU_CYCLE_1)
	v_cmp_eq_u32_e32 vcc_lo, 0, v153
	s_and_b32 s18, s17, vcc_lo
	s_and_saveexec_b32 s17, s18
	s_cbranch_execz .LBB936_1084
; %bb.1083:                             ;   in Loop: Header=BB936_1040 Depth=2
	s_wait_dscnt 0x0
	v_bcnt_u32_b32 v62, v62, v152
	ds_store_b32 v154, v62 offset:544
.LBB936_1084:                           ;   in Loop: Header=BB936_1040 Depth=2
	s_or_b32 exec_lo, exec_lo, s17
	v_xor_b32_e32 v151, 0x7fff, v151
	; wave barrier
	s_delay_alu instid0(VALU_DEP_1) | instskip(NEXT) | instid1(VALU_DEP_1)
	v_and_b32_e32 v62, 0xffff, v151
	v_lshrrev_b32_e32 v62, s49, v62
	s_delay_alu instid0(VALU_DEP_1) | instskip(NEXT) | instid1(VALU_DEP_1)
	v_and_b32_e32 v159, s48, v62
	v_lshlrev_b32_e32 v157, 30, v159
	v_bitop3_b32 v63, v62, 1, s48 bitop3:0x80
	s_delay_alu instid0(VALU_DEP_1) | instskip(NEXT) | instid1(VALU_DEP_1)
	v_add_co_u32 v62, s17, v63, -1
	v_cndmask_b32_e64 v63, 0, 1, s17
	s_delay_alu instid0(VALU_DEP_4) | instskip(NEXT) | instid1(VALU_DEP_2)
	v_cmp_gt_i32_e64 s17, 0, v157
	v_cmp_ne_u32_e32 vcc_lo, 0, v63
	v_not_b32_e32 v63, v157
	v_bitop3_b32 v62, vcc_lo, exec_lo, v62 bitop3:0x48
	s_delay_alu instid0(VALU_DEP_2) | instskip(SKIP_2) | instid1(VALU_DEP_3)
	v_ashrrev_i32_e32 v63, 31, v63
	v_dual_lshlrev_b32 v158, 29, v159 :: v_dual_lshlrev_b32 v162, 28, v159
	v_dual_lshlrev_b32 v163, 27, v159 :: v_dual_lshlrev_b32 v165, 26, v159
	v_xor_b32_e32 v63, s17, v63
	s_delay_alu instid0(VALU_DEP_3)
	v_not_b32_e32 v157, v158
	v_lshlrev_b32_e32 v167, 25, v159
	v_cmp_gt_i32_e64 s18, 0, v158
	v_cmp_gt_i32_e64 s19, 0, v162
	v_not_b32_e32 v158, v162
	v_not_b32_e32 v162, v163
	v_ashrrev_i32_e32 v157, 31, v157
	v_cmp_gt_i32_e64 s20, 0, v163
	v_cmp_gt_i32_e64 s21, 0, v165
	v_ashrrev_i32_e32 v158, 31, v158
	s_delay_alu instid0(VALU_DEP_4) | instskip(SKIP_3) | instid1(VALU_DEP_4)
	v_dual_ashrrev_i32 v162, 31, v162 :: v_dual_bitop2_b32 v157, s18, v157 bitop3:0x14
	v_not_b32_e32 v163, v165
	v_not_b32_e32 v165, v167
	v_cmp_gt_i32_e64 s22, 0, v167
	v_xor_b32_e32 v162, s20, v162
	v_bitop3_b32 v62, v62, v157, v63 bitop3:0x80
	v_mad_u32_u24 v63, v159, 36, v23
	v_dual_ashrrev_i32 v163, 31, v163 :: v_dual_ashrrev_i32 v165, 31, v165
	ds_load_b32 v157, v63 offset:544
	v_mul_u32_u24_e32 v63, 36, v159
	v_xor_b32_e32 v158, s19, v158
	v_xor_b32_e32 v163, s21, v163
	;; [unrolled: 1-line block ×3, first 2 shown]
	s_delay_alu instid0(VALU_DEP_4) | instskip(NEXT) | instid1(VALU_DEP_4)
	v_add_nc_u32_e32 v159, v23, v63
	v_bitop3_b32 v62, v62, v162, v158 bitop3:0x80
	; wave barrier
	s_delay_alu instid0(VALU_DEP_1) | instskip(NEXT) | instid1(VALU_DEP_1)
	v_bitop3_b32 v62, v62, v165, v163 bitop3:0x80
	v_mbcnt_lo_u32_b32 v158, v62, 0
	v_cmp_ne_u32_e64 s17, 0, v62
	s_delay_alu instid0(VALU_DEP_2) | instskip(SKIP_1) | instid1(SALU_CYCLE_1)
	v_cmp_eq_u32_e32 vcc_lo, 0, v158
	s_and_b32 s18, s17, vcc_lo
	s_and_saveexec_b32 s17, s18
	s_cbranch_execz .LBB936_1086
; %bb.1085:                             ;   in Loop: Header=BB936_1040 Depth=2
	s_wait_dscnt 0x0
	v_bcnt_u32_b32 v62, v62, v157
	ds_store_b32 v159, v62 offset:544
.LBB936_1086:                           ;   in Loop: Header=BB936_1040 Depth=2
	s_or_b32 exec_lo, exec_lo, s17
	v_xor_b32_e32 v155, 0x7fff, v155
	; wave barrier
	s_delay_alu instid0(VALU_DEP_1) | instskip(NEXT) | instid1(VALU_DEP_1)
	v_and_b32_e32 v62, 0xffff, v155
	v_lshrrev_b32_e32 v62, s49, v62
	s_delay_alu instid0(VALU_DEP_1) | instskip(NEXT) | instid1(VALU_DEP_1)
	v_and_b32_e32 v165, s48, v62
	v_lshlrev_b32_e32 v162, 30, v165
	v_bitop3_b32 v63, v62, 1, s48 bitop3:0x80
	s_delay_alu instid0(VALU_DEP_1) | instskip(NEXT) | instid1(VALU_DEP_1)
	v_add_co_u32 v62, s17, v63, -1
	v_cndmask_b32_e64 v63, 0, 1, s17
	s_delay_alu instid0(VALU_DEP_4) | instskip(NEXT) | instid1(VALU_DEP_2)
	v_cmp_gt_i32_e64 s17, 0, v162
	v_cmp_ne_u32_e32 vcc_lo, 0, v63
	v_not_b32_e32 v63, v162
	v_bitop3_b32 v62, vcc_lo, exec_lo, v62 bitop3:0x48
	s_delay_alu instid0(VALU_DEP_2) | instskip(SKIP_2) | instid1(VALU_DEP_3)
	v_dual_ashrrev_i32 v63, 31, v63 :: v_dual_lshlrev_b32 v163, 29, v165
	v_dual_lshlrev_b32 v167, 28, v165 :: v_dual_lshlrev_b32 v168, 27, v165
	v_lshlrev_b32_e32 v170, 26, v165
	v_not_b32_e32 v162, v163
	v_lshlrev_b32_e32 v172, 25, v165
	v_cmp_gt_i32_e64 s18, 0, v163
	v_cmp_gt_i32_e64 s19, 0, v167
	v_not_b32_e32 v163, v167
	v_not_b32_e32 v167, v168
	v_ashrrev_i32_e32 v162, 31, v162
	v_cmp_gt_i32_e64 s20, 0, v168
	v_cmp_gt_i32_e64 s21, 0, v170
	v_not_b32_e32 v168, v170
	v_not_b32_e32 v170, v172
	v_dual_ashrrev_i32 v163, 31, v163 :: v_dual_bitop2_b32 v162, s18, v162 bitop3:0x14
	s_delay_alu instid0(VALU_DEP_3) | instskip(NEXT) | instid1(VALU_DEP_3)
	v_dual_ashrrev_i32 v167, 31, v167 :: v_dual_ashrrev_i32 v168, 31, v168
	v_dual_ashrrev_i32 v170, 31, v170 :: v_dual_bitop2_b32 v63, s17, v63 bitop3:0x14
	v_cmp_gt_i32_e64 s22, 0, v172
	s_delay_alu instid0(VALU_DEP_4) | instskip(NEXT) | instid1(VALU_DEP_4)
	v_xor_b32_e32 v163, s19, v163
	v_xor_b32_e32 v167, s20, v167
	s_delay_alu instid0(VALU_DEP_4) | instskip(SKIP_2) | instid1(VALU_DEP_3)
	v_bitop3_b32 v62, v62, v162, v63 bitop3:0x80
	v_mad_u32_u24 v63, v165, 36, v23
	v_xor_b32_e32 v170, s22, v170
	v_bitop3_b32 v62, v62, v167, v163 bitop3:0x80
	ds_load_b32 v162, v63 offset:544
	v_mul_u32_u24_e32 v63, 36, v165
	v_xor_b32_e32 v168, s21, v168
	; wave barrier
	s_delay_alu instid0(VALU_DEP_2) | instskip(NEXT) | instid1(VALU_DEP_2)
	v_add_nc_u32_e32 v165, v23, v63
	v_bitop3_b32 v62, v62, v170, v168 bitop3:0x80
	s_delay_alu instid0(VALU_DEP_1) | instskip(SKIP_1) | instid1(VALU_DEP_2)
	v_mbcnt_lo_u32_b32 v163, v62, 0
	v_cmp_ne_u32_e64 s17, 0, v62
	v_cmp_eq_u32_e32 vcc_lo, 0, v163
	s_and_b32 s18, s17, vcc_lo
	s_delay_alu instid0(SALU_CYCLE_1)
	s_and_saveexec_b32 s17, s18
	s_cbranch_execz .LBB936_1088
; %bb.1087:                             ;   in Loop: Header=BB936_1040 Depth=2
	s_wait_dscnt 0x0
	v_bcnt_u32_b32 v62, v62, v162
	ds_store_b32 v165, v62 offset:544
.LBB936_1088:                           ;   in Loop: Header=BB936_1040 Depth=2
	s_or_b32 exec_lo, exec_lo, s17
	v_xor_b32_e32 v160, 0x7fff, v160
	; wave barrier
	s_delay_alu instid0(VALU_DEP_1) | instskip(NEXT) | instid1(VALU_DEP_1)
	v_and_b32_e32 v62, 0xffff, v160
	v_lshrrev_b32_e32 v62, s49, v62
	s_delay_alu instid0(VALU_DEP_1) | instskip(SKIP_1) | instid1(VALU_DEP_2)
	v_bitop3_b32 v63, v62, 1, s48 bitop3:0x80
	v_and_b32_e32 v170, s48, v62
	v_add_co_u32 v62, s17, v63, -1
	s_delay_alu instid0(VALU_DEP_1) | instskip(NEXT) | instid1(VALU_DEP_3)
	v_cndmask_b32_e64 v63, 0, 1, s17
	v_dual_lshlrev_b32 v167, 30, v170 :: v_dual_lshlrev_b32 v168, 29, v170
	s_delay_alu instid0(VALU_DEP_2) | instskip(NEXT) | instid1(VALU_DEP_2)
	v_cmp_ne_u32_e32 vcc_lo, 0, v63
	v_cmp_gt_i32_e64 s17, 0, v167
	v_not_b32_e32 v63, v167
	s_delay_alu instid0(VALU_DEP_4) | instskip(SKIP_2) | instid1(VALU_DEP_4)
	v_not_b32_e32 v167, v168
	v_cmp_gt_i32_e64 s18, 0, v168
	v_bitop3_b32 v62, vcc_lo, exec_lo, v62 bitop3:0x48
	v_ashrrev_i32_e32 v63, 31, v63
	s_delay_alu instid0(VALU_DEP_4) | instskip(SKIP_1) | instid1(VALU_DEP_3)
	v_dual_ashrrev_i32 v167, 31, v167 :: v_dual_lshlrev_b32 v172, 28, v170
	v_dual_lshlrev_b32 v173, 27, v170 :: v_dual_lshlrev_b32 v175, 26, v170
	v_dual_lshlrev_b32 v177, 25, v170 :: v_dual_bitop2_b32 v63, s17, v63 bitop3:0x14
	s_delay_alu instid0(VALU_DEP_3) | instskip(SKIP_1) | instid1(VALU_DEP_4)
	v_cmp_gt_i32_e64 s19, 0, v172
	v_not_b32_e32 v168, v172
	v_not_b32_e32 v172, v173
	v_xor_b32_e32 v167, s18, v167
	v_cmp_gt_i32_e64 s20, 0, v173
	v_cmp_gt_i32_e64 s21, 0, v175
	v_ashrrev_i32_e32 v168, 31, v168
	v_ashrrev_i32_e32 v172, 31, v172
	v_not_b32_e32 v173, v175
	v_not_b32_e32 v175, v177
	v_bitop3_b32 v62, v62, v167, v63 bitop3:0x80
	v_mad_u32_u24 v63, v170, 36, v23
	v_cmp_gt_i32_e64 s22, 0, v177
	s_delay_alu instid0(VALU_DEP_4)
	v_dual_ashrrev_i32 v173, 31, v173 :: v_dual_ashrrev_i32 v175, 31, v175
	v_xor_b32_e32 v172, s20, v172
	ds_load_b32 v167, v63 offset:544
	v_mul_u32_u24_e32 v63, 36, v170
	v_xor_b32_e32 v168, s19, v168
	v_xor_b32_e32 v173, s21, v173
	;; [unrolled: 1-line block ×3, first 2 shown]
	s_delay_alu instid0(VALU_DEP_4) | instskip(NEXT) | instid1(VALU_DEP_4)
	v_add_nc_u32_e32 v170, v23, v63
	v_bitop3_b32 v62, v62, v172, v168 bitop3:0x80
	; wave barrier
	s_delay_alu instid0(VALU_DEP_1) | instskip(NEXT) | instid1(VALU_DEP_1)
	v_bitop3_b32 v62, v62, v175, v173 bitop3:0x80
	v_mbcnt_lo_u32_b32 v168, v62, 0
	v_cmp_ne_u32_e64 s17, 0, v62
	s_delay_alu instid0(VALU_DEP_2) | instskip(SKIP_1) | instid1(SALU_CYCLE_1)
	v_cmp_eq_u32_e32 vcc_lo, 0, v168
	s_and_b32 s18, s17, vcc_lo
	s_and_saveexec_b32 s17, s18
	s_cbranch_execz .LBB936_1090
; %bb.1089:                             ;   in Loop: Header=BB936_1040 Depth=2
	s_wait_dscnt 0x0
	v_bcnt_u32_b32 v62, v62, v167
	ds_store_b32 v170, v62 offset:544
.LBB936_1090:                           ;   in Loop: Header=BB936_1040 Depth=2
	s_or_b32 exec_lo, exec_lo, s17
	v_xor_b32_e32 v166, 0x7fff, v166
	; wave barrier
	s_delay_alu instid0(VALU_DEP_1) | instskip(NEXT) | instid1(VALU_DEP_1)
	v_and_b32_e32 v62, 0xffff, v166
	v_lshrrev_b32_e32 v62, s49, v62
	s_delay_alu instid0(VALU_DEP_1) | instskip(NEXT) | instid1(VALU_DEP_1)
	v_and_b32_e32 v175, s48, v62
	v_lshlrev_b32_e32 v172, 30, v175
	v_bitop3_b32 v63, v62, 1, s48 bitop3:0x80
	s_delay_alu instid0(VALU_DEP_1) | instskip(NEXT) | instid1(VALU_DEP_1)
	v_add_co_u32 v62, s17, v63, -1
	v_cndmask_b32_e64 v63, 0, 1, s17
	s_delay_alu instid0(VALU_DEP_4) | instskip(NEXT) | instid1(VALU_DEP_2)
	v_cmp_gt_i32_e64 s17, 0, v172
	v_cmp_ne_u32_e32 vcc_lo, 0, v63
	v_not_b32_e32 v63, v172
	v_bitop3_b32 v62, vcc_lo, exec_lo, v62 bitop3:0x48
	s_delay_alu instid0(VALU_DEP_2) | instskip(SKIP_2) | instid1(VALU_DEP_3)
	v_ashrrev_i32_e32 v63, 31, v63
	v_dual_lshlrev_b32 v173, 29, v175 :: v_dual_lshlrev_b32 v177, 28, v175
	v_dual_lshlrev_b32 v178, 27, v175 :: v_dual_lshlrev_b32 v179, 26, v175
	v_xor_b32_e32 v63, s17, v63
	s_delay_alu instid0(VALU_DEP_3)
	v_not_b32_e32 v172, v173
	v_lshlrev_b32_e32 v180, 25, v175
	v_cmp_gt_i32_e64 s18, 0, v173
	v_cmp_gt_i32_e64 s19, 0, v177
	v_not_b32_e32 v173, v177
	v_not_b32_e32 v177, v178
	v_ashrrev_i32_e32 v172, 31, v172
	v_cmp_gt_i32_e64 s20, 0, v178
	v_cmp_gt_i32_e64 s21, 0, v179
	v_ashrrev_i32_e32 v173, 31, v173
	s_delay_alu instid0(VALU_DEP_4) | instskip(SKIP_3) | instid1(VALU_DEP_4)
	v_dual_ashrrev_i32 v177, 31, v177 :: v_dual_bitop2_b32 v172, s18, v172 bitop3:0x14
	v_not_b32_e32 v178, v179
	v_not_b32_e32 v179, v180
	v_cmp_gt_i32_e64 s22, 0, v180
	v_xor_b32_e32 v177, s20, v177
	v_bitop3_b32 v62, v62, v172, v63 bitop3:0x80
	v_mad_u32_u24 v63, v175, 36, v23
	v_dual_ashrrev_i32 v178, 31, v178 :: v_dual_ashrrev_i32 v179, 31, v179
	ds_load_b32 v172, v63 offset:544
	v_mul_u32_u24_e32 v63, 36, v175
	v_xor_b32_e32 v173, s19, v173
	v_xor_b32_e32 v178, s21, v178
	v_xor_b32_e32 v179, s22, v179
	s_delay_alu instid0(VALU_DEP_4) | instskip(NEXT) | instid1(VALU_DEP_4)
	v_add_nc_u32_e32 v175, v23, v63
	v_bitop3_b32 v62, v62, v177, v173 bitop3:0x80
	; wave barrier
	s_delay_alu instid0(VALU_DEP_1) | instskip(NEXT) | instid1(VALU_DEP_1)
	v_bitop3_b32 v62, v62, v179, v178 bitop3:0x80
	v_mbcnt_lo_u32_b32 v173, v62, 0
	v_cmp_ne_u32_e64 s17, 0, v62
	s_delay_alu instid0(VALU_DEP_2) | instskip(SKIP_1) | instid1(SALU_CYCLE_1)
	v_cmp_eq_u32_e32 vcc_lo, 0, v173
	s_and_b32 s18, s17, vcc_lo
	s_and_saveexec_b32 s17, s18
	s_cbranch_execz .LBB936_1092
; %bb.1091:                             ;   in Loop: Header=BB936_1040 Depth=2
	s_wait_dscnt 0x0
	v_bcnt_u32_b32 v62, v62, v172
	ds_store_b32 v175, v62 offset:544
.LBB936_1092:                           ;   in Loop: Header=BB936_1040 Depth=2
	s_or_b32 exec_lo, exec_lo, s17
	v_xor_b32_e32 v171, 0x7fff, v171
	; wave barrier
	s_delay_alu instid0(VALU_DEP_1) | instskip(NEXT) | instid1(VALU_DEP_1)
	v_and_b32_e32 v62, 0xffff, v171
	v_lshrrev_b32_e32 v62, s49, v62
	s_delay_alu instid0(VALU_DEP_1) | instskip(NEXT) | instid1(VALU_DEP_1)
	v_and_b32_e32 v179, s48, v62
	v_lshlrev_b32_e32 v177, 30, v179
	v_bitop3_b32 v63, v62, 1, s48 bitop3:0x80
	s_delay_alu instid0(VALU_DEP_1) | instskip(NEXT) | instid1(VALU_DEP_1)
	v_add_co_u32 v62, s17, v63, -1
	v_cndmask_b32_e64 v63, 0, 1, s17
	s_delay_alu instid0(VALU_DEP_4) | instskip(NEXT) | instid1(VALU_DEP_2)
	v_cmp_gt_i32_e64 s17, 0, v177
	v_cmp_ne_u32_e32 vcc_lo, 0, v63
	v_not_b32_e32 v63, v177
	v_bitop3_b32 v62, vcc_lo, exec_lo, v62 bitop3:0x48
	s_delay_alu instid0(VALU_DEP_2) | instskip(SKIP_2) | instid1(VALU_DEP_2)
	v_ashrrev_i32_e32 v63, 31, v63
	v_dual_lshlrev_b32 v178, 29, v179 :: v_dual_lshlrev_b32 v180, 28, v179
	v_dual_lshlrev_b32 v181, 27, v179 :: v_dual_lshlrev_b32 v182, 26, v179
	v_not_b32_e32 v177, v178
	v_lshlrev_b32_e32 v183, 25, v179
	v_cmp_gt_i32_e64 s18, 0, v178
	v_cmp_gt_i32_e64 s19, 0, v180
	v_not_b32_e32 v178, v180
	v_ashrrev_i32_e32 v177, 31, v177
	v_cmp_gt_i32_e64 s20, 0, v181
	v_not_b32_e32 v180, v181
	v_cmp_gt_i32_e64 s21, 0, v182
	v_not_b32_e32 v181, v182
	v_not_b32_e32 v182, v183
	v_xor_b32_e32 v63, s17, v63
	v_dual_ashrrev_i32 v178, 31, v178 :: v_dual_bitop2_b32 v177, s18, v177 bitop3:0x14
	s_delay_alu instid0(VALU_DEP_4) | instskip(NEXT) | instid1(VALU_DEP_4)
	v_dual_ashrrev_i32 v180, 31, v180 :: v_dual_ashrrev_i32 v181, 31, v181
	v_ashrrev_i32_e32 v182, 31, v182
	s_delay_alu instid0(VALU_DEP_3)
	v_bitop3_b32 v62, v62, v177, v63 bitop3:0x80
	v_mad_u32_u24 v63, v179, 36, v23
	v_cmp_gt_i32_e64 s22, 0, v183
	v_xor_b32_e32 v180, s20, v180
	v_xor_b32_e32 v181, s21, v181
	ds_load_b32 v177, v63 offset:544
	v_mul_u32_u24_e32 v63, 36, v179
	v_xor_b32_e32 v178, s19, v178
	v_xor_b32_e32 v182, s22, v182
	; wave barrier
	s_delay_alu instid0(VALU_DEP_3) | instskip(NEXT) | instid1(VALU_DEP_3)
	v_add_nc_u32_e32 v179, v23, v63
	v_bitop3_b32 v62, v62, v180, v178 bitop3:0x80
	s_delay_alu instid0(VALU_DEP_1) | instskip(NEXT) | instid1(VALU_DEP_1)
	v_bitop3_b32 v62, v62, v182, v181 bitop3:0x80
	v_mbcnt_lo_u32_b32 v178, v62, 0
	v_cmp_ne_u32_e64 s17, 0, v62
	s_delay_alu instid0(VALU_DEP_2) | instskip(SKIP_1) | instid1(SALU_CYCLE_1)
	v_cmp_eq_u32_e32 vcc_lo, 0, v178
	s_and_b32 s18, s17, vcc_lo
	s_and_saveexec_b32 s17, s18
	s_cbranch_execz .LBB936_1094
; %bb.1093:                             ;   in Loop: Header=BB936_1040 Depth=2
	s_wait_dscnt 0x0
	v_bcnt_u32_b32 v62, v62, v177
	ds_store_b32 v179, v62 offset:544
.LBB936_1094:                           ;   in Loop: Header=BB936_1040 Depth=2
	s_or_b32 exec_lo, exec_lo, s17
	v_xor_b32_e32 v176, 0x7fff, v176
	; wave barrier
	s_delay_alu instid0(VALU_DEP_1) | instskip(NEXT) | instid1(VALU_DEP_1)
	v_and_b32_e32 v62, 0xffff, v176
	v_lshrrev_b32_e32 v62, s49, v62
	s_delay_alu instid0(VALU_DEP_1) | instskip(SKIP_1) | instid1(VALU_DEP_2)
	v_bitop3_b32 v63, v62, 1, s48 bitop3:0x80
	v_and_b32_e32 v182, s48, v62
	v_add_co_u32 v62, s17, v63, -1
	s_delay_alu instid0(VALU_DEP_1) | instskip(NEXT) | instid1(VALU_DEP_3)
	v_cndmask_b32_e64 v63, 0, 1, s17
	v_dual_lshlrev_b32 v180, 30, v182 :: v_dual_lshlrev_b32 v181, 29, v182
	s_delay_alu instid0(VALU_DEP_2) | instskip(NEXT) | instid1(VALU_DEP_2)
	v_cmp_ne_u32_e32 vcc_lo, 0, v63
	v_cmp_gt_i32_e64 s17, 0, v180
	v_not_b32_e32 v63, v180
	s_delay_alu instid0(VALU_DEP_4) | instskip(SKIP_2) | instid1(VALU_DEP_3)
	v_not_b32_e32 v180, v181
	v_cmp_gt_i32_e64 s18, 0, v181
	v_bitop3_b32 v62, vcc_lo, exec_lo, v62 bitop3:0x48
	v_dual_ashrrev_i32 v63, 31, v63 :: v_dual_ashrrev_i32 v180, 31, v180
	v_dual_lshlrev_b32 v183, 28, v182 :: v_dual_lshlrev_b32 v184, 27, v182
	v_dual_lshlrev_b32 v185, 26, v182 :: v_dual_lshlrev_b32 v186, 25, v182
	s_delay_alu instid0(VALU_DEP_2) | instskip(SKIP_1) | instid1(VALU_DEP_4)
	v_cmp_gt_i32_e64 s19, 0, v183
	v_not_b32_e32 v181, v183
	v_cmp_gt_i32_e64 s20, 0, v184
	v_not_b32_e32 v183, v184
	v_cmp_gt_i32_e64 s21, 0, v185
	v_not_b32_e32 v184, v185
	v_not_b32_e32 v185, v186
	v_xor_b32_e32 v63, s17, v63
	v_dual_ashrrev_i32 v181, 31, v181 :: v_dual_bitop2_b32 v180, s18, v180 bitop3:0x14
	s_delay_alu instid0(VALU_DEP_4) | instskip(NEXT) | instid1(VALU_DEP_4)
	v_dual_ashrrev_i32 v183, 31, v183 :: v_dual_ashrrev_i32 v184, 31, v184
	v_ashrrev_i32_e32 v185, 31, v185
	s_delay_alu instid0(VALU_DEP_3)
	v_bitop3_b32 v62, v62, v180, v63 bitop3:0x80
	v_mad_u32_u24 v63, v182, 36, v23
	v_cmp_gt_i32_e64 s22, 0, v186
	v_xor_b32_e32 v183, s20, v183
	v_xor_b32_e32 v184, s21, v184
	ds_load_b32 v180, v63 offset:544
	v_mul_u32_u24_e32 v63, 36, v182
	v_xor_b32_e32 v181, s19, v181
	v_xor_b32_e32 v185, s22, v185
	; wave barrier
	s_delay_alu instid0(VALU_DEP_3) | instskip(NEXT) | instid1(VALU_DEP_3)
	v_add_nc_u32_e32 v182, v23, v63
	v_bitop3_b32 v62, v62, v183, v181 bitop3:0x80
	s_delay_alu instid0(VALU_DEP_1) | instskip(NEXT) | instid1(VALU_DEP_1)
	v_bitop3_b32 v62, v62, v185, v184 bitop3:0x80
	v_mbcnt_lo_u32_b32 v181, v62, 0
	v_cmp_ne_u32_e64 s17, 0, v62
	s_delay_alu instid0(VALU_DEP_2) | instskip(SKIP_1) | instid1(SALU_CYCLE_1)
	v_cmp_eq_u32_e32 vcc_lo, 0, v181
	s_and_b32 s18, s17, vcc_lo
	s_and_saveexec_b32 s17, s18
	s_cbranch_execz .LBB936_1096
; %bb.1095:                             ;   in Loop: Header=BB936_1040 Depth=2
	s_wait_dscnt 0x0
	v_bcnt_u32_b32 v62, v62, v180
	ds_store_b32 v182, v62 offset:544
.LBB936_1096:                           ;   in Loop: Header=BB936_1040 Depth=2
	s_or_b32 exec_lo, exec_lo, s17
	v_xor_b32_e32 v174, 0x7fff, v174
	; wave barrier
	s_delay_alu instid0(VALU_DEP_1) | instskip(NEXT) | instid1(VALU_DEP_1)
	v_and_b32_e32 v62, 0xffff, v174
	v_lshrrev_b32_e32 v62, s49, v62
	s_delay_alu instid0(VALU_DEP_1) | instskip(NEXT) | instid1(VALU_DEP_1)
	v_and_b32_e32 v185, s48, v62
	v_lshlrev_b32_e32 v183, 30, v185
	v_bitop3_b32 v63, v62, 1, s48 bitop3:0x80
	s_delay_alu instid0(VALU_DEP_1) | instskip(NEXT) | instid1(VALU_DEP_1)
	v_add_co_u32 v62, s17, v63, -1
	v_cndmask_b32_e64 v63, 0, 1, s17
	s_delay_alu instid0(VALU_DEP_4) | instskip(NEXT) | instid1(VALU_DEP_2)
	v_cmp_gt_i32_e64 s17, 0, v183
	v_cmp_ne_u32_e32 vcc_lo, 0, v63
	v_not_b32_e32 v63, v183
	v_bitop3_b32 v62, vcc_lo, exec_lo, v62 bitop3:0x48
	s_delay_alu instid0(VALU_DEP_2) | instskip(SKIP_2) | instid1(VALU_DEP_3)
	v_dual_ashrrev_i32 v63, 31, v63 :: v_dual_lshlrev_b32 v184, 29, v185
	v_dual_lshlrev_b32 v186, 28, v185 :: v_dual_lshlrev_b32 v187, 27, v185
	v_lshlrev_b32_e32 v188, 26, v185
	v_not_b32_e32 v183, v184
	v_lshlrev_b32_e32 v189, 25, v185
	v_cmp_gt_i32_e64 s18, 0, v184
	v_cmp_gt_i32_e64 s19, 0, v186
	v_not_b32_e32 v184, v186
	v_ashrrev_i32_e32 v183, 31, v183
	v_cmp_gt_i32_e64 s20, 0, v187
	v_not_b32_e32 v186, v187
	v_cmp_gt_i32_e64 s21, 0, v188
	v_not_b32_e32 v187, v188
	v_not_b32_e32 v188, v189
	v_xor_b32_e32 v63, s17, v63
	v_dual_ashrrev_i32 v184, 31, v184 :: v_dual_bitop2_b32 v183, s18, v183 bitop3:0x14
	s_delay_alu instid0(VALU_DEP_3) | instskip(SKIP_1) | instid1(VALU_DEP_3)
	v_dual_ashrrev_i32 v186, 31, v186 :: v_dual_ashrrev_i32 v188, 31, v188
	v_cmp_gt_i32_e64 s22, 0, v189
	v_bitop3_b32 v62, v62, v183, v63 bitop3:0x80
	v_mad_u32_u24 v63, v185, 36, v23
	v_dual_ashrrev_i32 v187, 31, v187 :: v_dual_bitop2_b32 v184, s19, v184 bitop3:0x14
	s_delay_alu instid0(VALU_DEP_4) | instskip(SKIP_4) | instid1(VALU_DEP_3)
	v_xor_b32_e32 v188, s22, v188
	ds_load_b32 v183, v63 offset:544
	v_mul_u32_u24_e32 v63, 36, v185
	v_xor_b32_e32 v186, s20, v186
	v_xor_b32_e32 v187, s21, v187
	; wave barrier
	v_add_nc_u32_e32 v185, v23, v63
	s_delay_alu instid0(VALU_DEP_3) | instskip(NEXT) | instid1(VALU_DEP_1)
	v_bitop3_b32 v62, v62, v186, v184 bitop3:0x80
	v_bitop3_b32 v62, v62, v188, v187 bitop3:0x80
	s_delay_alu instid0(VALU_DEP_1) | instskip(SKIP_1) | instid1(VALU_DEP_2)
	v_mbcnt_lo_u32_b32 v184, v62, 0
	v_cmp_ne_u32_e64 s17, 0, v62
	v_cmp_eq_u32_e32 vcc_lo, 0, v184
	s_and_b32 s18, s17, vcc_lo
	s_delay_alu instid0(SALU_CYCLE_1)
	s_and_saveexec_b32 s17, s18
	s_cbranch_execz .LBB936_1098
; %bb.1097:                             ;   in Loop: Header=BB936_1040 Depth=2
	s_wait_dscnt 0x0
	v_bcnt_u32_b32 v62, v62, v183
	ds_store_b32 v185, v62 offset:544
.LBB936_1098:                           ;   in Loop: Header=BB936_1040 Depth=2
	s_or_b32 exec_lo, exec_lo, s17
	v_xor_b32_e32 v169, 0x7fff, v169
	; wave barrier
	s_delay_alu instid0(VALU_DEP_1) | instskip(NEXT) | instid1(VALU_DEP_1)
	v_and_b32_e32 v62, 0xffff, v169
	v_lshrrev_b32_e32 v62, s49, v62
	s_delay_alu instid0(VALU_DEP_1) | instskip(SKIP_1) | instid1(VALU_DEP_2)
	v_and_b32_e32 v186, s48, v62
	v_bitop3_b32 v63, v62, 1, s48 bitop3:0x80
	v_lshlrev_b32_e32 v187, 29, v186
	s_delay_alu instid0(VALU_DEP_2) | instskip(NEXT) | instid1(VALU_DEP_1)
	v_add_co_u32 v62, s17, v63, -1
	v_cndmask_b32_e64 v192, 0, 1, s17
	s_delay_alu instid0(VALU_DEP_3) | instskip(SKIP_1) | instid1(VALU_DEP_3)
	v_cmp_gt_i32_e64 s17, 0, v187
	v_not_b32_e32 v187, v187
	v_cmp_ne_u32_e64 s22, 0, v192
	s_delay_alu instid0(VALU_DEP_2) | instskip(SKIP_2) | instid1(VALU_DEP_3)
	v_dual_ashrrev_i32 v187, 31, v187 :: v_dual_lshlrev_b32 v63, 30, v186
	v_dual_lshlrev_b32 v188, 28, v186 :: v_dual_lshlrev_b32 v189, 27, v186
	v_dual_lshlrev_b32 v190, 26, v186 :: v_dual_lshlrev_b32 v191, 25, v186
	v_cmp_gt_i32_e32 vcc_lo, 0, v63
	v_not_b32_e32 v63, v63
	s_delay_alu instid0(VALU_DEP_4)
	v_cmp_gt_i32_e64 s18, 0, v188
	v_not_b32_e32 v188, v188
	v_cmp_gt_i32_e64 s19, 0, v189
	v_not_b32_e32 v189, v189
	v_ashrrev_i32_e32 v63, 31, v63
	v_cmp_gt_i32_e64 s20, 0, v190
	v_not_b32_e32 v190, v190
	v_bitop3_b32 v62, s22, exec_lo, v62 bitop3:0x48
	v_xor_b32_e32 v187, s17, v187
	v_xor_b32_e32 v63, vcc_lo, v63
	v_cmp_gt_i32_e64 s21, 0, v191
	v_not_b32_e32 v191, v191
	v_dual_ashrrev_i32 v188, 31, v188 :: v_dual_ashrrev_i32 v189, 31, v189
	v_ashrrev_i32_e32 v190, 31, v190
	v_bitop3_b32 v62, v62, v187, v63 bitop3:0x80
	v_mad_u32_u24 v63, v186, 36, v23
	s_delay_alu instid0(VALU_DEP_4) | instskip(NEXT) | instid1(VALU_DEP_4)
	v_dual_ashrrev_i32 v191, 31, v191 :: v_dual_bitop2_b32 v188, s18, v188 bitop3:0x14
	v_xor_b32_e32 v190, s20, v190
	ds_load_b32 v187, v63 offset:544
	v_mul_u32_u24_e32 v63, 36, v186
	v_xor_b32_e32 v189, s19, v189
	v_xor_b32_e32 v191, s21, v191
	; wave barrier
	s_delay_alu instid0(VALU_DEP_2) | instskip(NEXT) | instid1(VALU_DEP_1)
	v_bitop3_b32 v62, v62, v189, v188 bitop3:0x80
	v_bitop3_b32 v62, v62, v191, v190 bitop3:0x80
	v_add_nc_u32_e32 v190, v23, v63
	s_delay_alu instid0(VALU_DEP_2) | instskip(SKIP_1) | instid1(VALU_DEP_2)
	v_mbcnt_lo_u32_b32 v188, v62, 0
	v_cmp_ne_u32_e64 s17, 0, v62
	v_cmp_eq_u32_e32 vcc_lo, 0, v188
	s_and_b32 s18, s17, vcc_lo
	s_delay_alu instid0(SALU_CYCLE_1)
	s_and_saveexec_b32 s17, s18
	s_cbranch_execz .LBB936_1100
; %bb.1099:                             ;   in Loop: Header=BB936_1040 Depth=2
	s_wait_dscnt 0x0
	v_bcnt_u32_b32 v62, v62, v187
	ds_store_b32 v190, v62 offset:544
.LBB936_1100:                           ;   in Loop: Header=BB936_1040 Depth=2
	s_or_b32 exec_lo, exec_lo, s17
	v_xor_b32_e32 v186, 0x7fff, v164
	; wave barrier
	s_delay_alu instid0(VALU_DEP_1) | instskip(NEXT) | instid1(VALU_DEP_1)
	v_and_b32_e32 v62, 0xffff, v186
	v_lshrrev_b32_e32 v62, s49, v62
	s_delay_alu instid0(VALU_DEP_1) | instskip(NEXT) | instid1(VALU_DEP_1)
	v_and_b32_e32 v164, s48, v62
	v_lshlrev_b32_e32 v189, 30, v164
	v_bitop3_b32 v63, v62, 1, s48 bitop3:0x80
	s_delay_alu instid0(VALU_DEP_1) | instskip(NEXT) | instid1(VALU_DEP_1)
	v_add_co_u32 v62, s17, v63, -1
	v_cndmask_b32_e64 v63, 0, 1, s17
	s_delay_alu instid0(VALU_DEP_4) | instskip(NEXT) | instid1(VALU_DEP_2)
	v_cmp_gt_i32_e64 s17, 0, v189
	v_cmp_ne_u32_e32 vcc_lo, 0, v63
	v_not_b32_e32 v63, v189
	v_bitop3_b32 v62, vcc_lo, exec_lo, v62 bitop3:0x48
	s_delay_alu instid0(VALU_DEP_2) | instskip(SKIP_2) | instid1(VALU_DEP_3)
	v_dual_ashrrev_i32 v63, 31, v63 :: v_dual_lshlrev_b32 v191, 29, v164
	v_dual_lshlrev_b32 v192, 28, v164 :: v_dual_lshlrev_b32 v193, 27, v164
	v_lshlrev_b32_e32 v194, 26, v164
	v_not_b32_e32 v189, v191
	v_lshlrev_b32_e32 v195, 25, v164
	v_cmp_gt_i32_e64 s18, 0, v191
	v_cmp_gt_i32_e64 s19, 0, v192
	v_not_b32_e32 v191, v192
	v_not_b32_e32 v192, v193
	v_ashrrev_i32_e32 v189, 31, v189
	v_cmp_gt_i32_e64 s20, 0, v193
	v_cmp_gt_i32_e64 s21, 0, v194
	v_not_b32_e32 v193, v194
	v_not_b32_e32 v194, v195
	v_dual_ashrrev_i32 v191, 31, v191 :: v_dual_ashrrev_i32 v192, 31, v192
	s_delay_alu instid0(VALU_DEP_3) | instskip(NEXT) | instid1(VALU_DEP_3)
	v_dual_ashrrev_i32 v193, 31, v193 :: v_dual_bitop2_b32 v63, s17, v63 bitop3:0x14
	v_dual_ashrrev_i32 v194, 31, v194 :: v_dual_bitop2_b32 v189, s18, v189 bitop3:0x14
	v_cmp_gt_i32_e64 s22, 0, v195
	s_delay_alu instid0(VALU_DEP_4) | instskip(SKIP_1) | instid1(VALU_DEP_4)
	v_xor_b32_e32 v191, s19, v191
	v_xor_b32_e32 v192, s20, v192
	v_bitop3_b32 v62, v62, v189, v63 bitop3:0x80
	v_mad_u32_u24 v63, v164, 36, v23
	v_xor_b32_e32 v189, s21, v193
	v_xor_b32_e32 v193, s22, v194
	s_delay_alu instid0(VALU_DEP_4) | instskip(SKIP_3) | instid1(VALU_DEP_2)
	v_bitop3_b32 v62, v62, v192, v191 bitop3:0x80
	ds_load_b32 v191, v63 offset:544
	v_mul_u32_u24_e32 v63, 36, v164
	; wave barrier
	v_bitop3_b32 v62, v62, v193, v189 bitop3:0x80
	v_add_nc_u32_e32 v164, v23, v63
	s_delay_alu instid0(VALU_DEP_2) | instskip(SKIP_1) | instid1(VALU_DEP_2)
	v_mbcnt_lo_u32_b32 v192, v62, 0
	v_cmp_ne_u32_e64 s17, 0, v62
	v_cmp_eq_u32_e32 vcc_lo, 0, v192
	s_and_b32 s18, s17, vcc_lo
	s_delay_alu instid0(SALU_CYCLE_1)
	s_and_saveexec_b32 s17, s18
	s_cbranch_execz .LBB936_1102
; %bb.1101:                             ;   in Loop: Header=BB936_1040 Depth=2
	s_wait_dscnt 0x0
	v_bcnt_u32_b32 v62, v62, v191
	ds_store_b32 v164, v62 offset:544
.LBB936_1102:                           ;   in Loop: Header=BB936_1040 Depth=2
	s_or_b32 exec_lo, exec_lo, s17
	v_xor_b32_e32 v189, 0x7fff, v161
	; wave barrier
	s_delay_alu instid0(VALU_DEP_1) | instskip(NEXT) | instid1(VALU_DEP_1)
	v_and_b32_e32 v62, 0xffff, v189
	v_lshrrev_b32_e32 v62, s49, v62
	s_delay_alu instid0(VALU_DEP_1) | instskip(NEXT) | instid1(VALU_DEP_1)
	v_and_b32_e32 v161, s48, v62
	v_lshlrev_b32_e32 v193, 30, v161
	v_bitop3_b32 v63, v62, 1, s48 bitop3:0x80
	s_delay_alu instid0(VALU_DEP_1) | instskip(NEXT) | instid1(VALU_DEP_1)
	v_add_co_u32 v62, s17, v63, -1
	v_cndmask_b32_e64 v63, 0, 1, s17
	s_delay_alu instid0(VALU_DEP_4) | instskip(NEXT) | instid1(VALU_DEP_2)
	v_cmp_gt_i32_e64 s17, 0, v193
	v_cmp_ne_u32_e32 vcc_lo, 0, v63
	v_not_b32_e32 v63, v193
	v_bitop3_b32 v62, vcc_lo, exec_lo, v62 bitop3:0x48
	s_delay_alu instid0(VALU_DEP_2) | instskip(SKIP_2) | instid1(VALU_DEP_3)
	v_dual_ashrrev_i32 v63, 31, v63 :: v_dual_lshlrev_b32 v194, 29, v161
	v_dual_lshlrev_b32 v195, 28, v161 :: v_dual_lshlrev_b32 v196, 27, v161
	v_lshlrev_b32_e32 v197, 26, v161
	v_not_b32_e32 v193, v194
	v_cmp_gt_i32_e64 s18, 0, v194
	s_delay_alu instid0(VALU_DEP_4)
	v_cmp_gt_i32_e64 s19, 0, v195
	v_not_b32_e32 v194, v195
	v_lshlrev_b32_e32 v198, 25, v161
	v_not_b32_e32 v195, v196
	v_ashrrev_i32_e32 v193, 31, v193
	v_cmp_gt_i32_e64 s20, 0, v196
	v_cmp_gt_i32_e64 s21, 0, v197
	v_not_b32_e32 v196, v197
	v_ashrrev_i32_e32 v194, 31, v194
	v_not_b32_e32 v197, v198
	v_ashrrev_i32_e32 v195, 31, v195
	s_delay_alu instid0(VALU_DEP_4) | instskip(SKIP_4) | instid1(VALU_DEP_4)
	v_dual_ashrrev_i32 v196, 31, v196 :: v_dual_bitop2_b32 v63, s17, v63 bitop3:0x14
	v_xor_b32_e32 v193, s18, v193
	v_cmp_gt_i32_e64 s22, 0, v198
	v_dual_ashrrev_i32 v197, 31, v197 :: v_dual_bitop2_b32 v194, s19, v194 bitop3:0x14
	v_xor_b32_e32 v195, s20, v195
	v_bitop3_b32 v62, v62, v193, v63 bitop3:0x80
	v_mad_u32_u24 v63, v161, 36, v23
	v_xor_b32_e32 v193, s21, v196
	v_xor_b32_e32 v196, s22, v197
	s_delay_alu instid0(VALU_DEP_4) | instskip(SKIP_3) | instid1(VALU_DEP_2)
	v_bitop3_b32 v62, v62, v195, v194 bitop3:0x80
	ds_load_b32 v194, v63 offset:544
	v_mul_u32_u24_e32 v63, 36, v161
	; wave barrier
	v_bitop3_b32 v62, v62, v196, v193 bitop3:0x80
	v_add_nc_u32_e32 v161, v23, v63
	s_delay_alu instid0(VALU_DEP_2) | instskip(SKIP_1) | instid1(VALU_DEP_2)
	v_mbcnt_lo_u32_b32 v195, v62, 0
	v_cmp_ne_u32_e64 s17, 0, v62
	v_cmp_eq_u32_e32 vcc_lo, 0, v195
	s_and_b32 s18, s17, vcc_lo
	s_delay_alu instid0(SALU_CYCLE_1)
	s_and_saveexec_b32 s17, s18
	s_cbranch_execz .LBB936_1104
; %bb.1103:                             ;   in Loop: Header=BB936_1040 Depth=2
	s_wait_dscnt 0x0
	v_bcnt_u32_b32 v62, v62, v194
	ds_store_b32 v161, v62 offset:544
.LBB936_1104:                           ;   in Loop: Header=BB936_1040 Depth=2
	s_or_b32 exec_lo, exec_lo, s17
	v_xor_b32_e32 v193, 0x7fff, v156
	; wave barrier
	s_delay_alu instid0(VALU_DEP_1) | instskip(NEXT) | instid1(VALU_DEP_1)
	v_and_b32_e32 v62, 0xffff, v193
	v_lshrrev_b32_e32 v62, s49, v62
	s_delay_alu instid0(VALU_DEP_1) | instskip(NEXT) | instid1(VALU_DEP_1)
	v_and_b32_e32 v156, s48, v62
	v_lshlrev_b32_e32 v196, 30, v156
	v_bitop3_b32 v63, v62, 1, s48 bitop3:0x80
	s_delay_alu instid0(VALU_DEP_1) | instskip(NEXT) | instid1(VALU_DEP_1)
	v_add_co_u32 v62, s17, v63, -1
	v_cndmask_b32_e64 v63, 0, 1, s17
	s_delay_alu instid0(VALU_DEP_4) | instskip(NEXT) | instid1(VALU_DEP_2)
	v_cmp_gt_i32_e64 s17, 0, v196
	v_cmp_ne_u32_e32 vcc_lo, 0, v63
	v_not_b32_e32 v63, v196
	v_bitop3_b32 v62, vcc_lo, exec_lo, v62 bitop3:0x48
	s_delay_alu instid0(VALU_DEP_2) | instskip(SKIP_2) | instid1(VALU_DEP_3)
	v_dual_ashrrev_i32 v63, 31, v63 :: v_dual_lshlrev_b32 v197, 29, v156
	v_dual_lshlrev_b32 v198, 28, v156 :: v_dual_lshlrev_b32 v199, 27, v156
	v_lshlrev_b32_e32 v200, 26, v156
	v_not_b32_e32 v196, v197
	v_cmp_gt_i32_e64 s18, 0, v197
	s_delay_alu instid0(VALU_DEP_4)
	v_cmp_gt_i32_e64 s19, 0, v198
	v_not_b32_e32 v197, v198
	v_lshlrev_b32_e32 v201, 25, v156
	v_not_b32_e32 v198, v199
	v_ashrrev_i32_e32 v196, 31, v196
	v_cmp_gt_i32_e64 s20, 0, v199
	v_cmp_gt_i32_e64 s21, 0, v200
	v_not_b32_e32 v199, v200
	v_ashrrev_i32_e32 v197, 31, v197
	v_not_b32_e32 v200, v201
	v_dual_ashrrev_i32 v198, 31, v198 :: v_dual_bitop2_b32 v63, s17, v63 bitop3:0x14
	s_delay_alu instid0(VALU_DEP_4) | instskip(SKIP_1) | instid1(VALU_DEP_4)
	v_dual_ashrrev_i32 v199, 31, v199 :: v_dual_bitop2_b32 v196, s18, v196 bitop3:0x14
	v_cmp_gt_i32_e64 s22, 0, v201
	v_dual_ashrrev_i32 v200, 31, v200 :: v_dual_bitop2_b32 v197, s19, v197 bitop3:0x14
	s_delay_alu instid0(VALU_DEP_4) | instskip(NEXT) | instid1(VALU_DEP_4)
	v_xor_b32_e32 v198, s20, v198
	v_bitop3_b32 v62, v62, v196, v63 bitop3:0x80
	v_mad_u32_u24 v63, v156, 36, v23
	v_xor_b32_e32 v196, s21, v199
	v_xor_b32_e32 v199, s22, v200
	s_delay_alu instid0(VALU_DEP_4) | instskip(SKIP_3) | instid1(VALU_DEP_2)
	v_bitop3_b32 v62, v62, v198, v197 bitop3:0x80
	ds_load_b32 v197, v63 offset:544
	v_mul_u32_u24_e32 v63, 36, v156
	; wave barrier
	v_bitop3_b32 v62, v62, v199, v196 bitop3:0x80
	v_add_nc_u32_e32 v156, v23, v63
	s_delay_alu instid0(VALU_DEP_2) | instskip(SKIP_1) | instid1(VALU_DEP_2)
	v_mbcnt_lo_u32_b32 v198, v62, 0
	v_cmp_ne_u32_e64 s17, 0, v62
	v_cmp_eq_u32_e32 vcc_lo, 0, v198
	s_and_b32 s18, s17, vcc_lo
	s_delay_alu instid0(SALU_CYCLE_1)
	s_and_saveexec_b32 s17, s18
	s_cbranch_execz .LBB936_1106
; %bb.1105:                             ;   in Loop: Header=BB936_1040 Depth=2
	s_wait_dscnt 0x0
	v_bcnt_u32_b32 v62, v62, v197
	ds_store_b32 v156, v62 offset:544
.LBB936_1106:                           ;   in Loop: Header=BB936_1040 Depth=2
	s_or_b32 exec_lo, exec_lo, s17
	v_xor_b32_e32 v196, 0x7fff, v65
	; wave barrier
	s_delay_alu instid0(VALU_DEP_1) | instskip(NEXT) | instid1(VALU_DEP_1)
	v_and_b32_e32 v62, 0xffff, v196
	v_lshrrev_b32_e32 v62, s49, v62
	s_delay_alu instid0(VALU_DEP_1) | instskip(NEXT) | instid1(VALU_DEP_1)
	v_and_b32_e32 v65, s48, v62
	v_lshlrev_b32_e32 v199, 30, v65
	v_bitop3_b32 v63, v62, 1, s48 bitop3:0x80
	s_delay_alu instid0(VALU_DEP_1) | instskip(NEXT) | instid1(VALU_DEP_1)
	v_add_co_u32 v62, s17, v63, -1
	v_cndmask_b32_e64 v63, 0, 1, s17
	s_delay_alu instid0(VALU_DEP_4) | instskip(NEXT) | instid1(VALU_DEP_2)
	v_cmp_gt_i32_e64 s17, 0, v199
	v_cmp_ne_u32_e32 vcc_lo, 0, v63
	v_not_b32_e32 v63, v199
	v_bitop3_b32 v62, vcc_lo, exec_lo, v62 bitop3:0x48
	s_delay_alu instid0(VALU_DEP_2) | instskip(SKIP_2) | instid1(VALU_DEP_3)
	v_dual_ashrrev_i32 v63, 31, v63 :: v_dual_lshlrev_b32 v200, 29, v65
	v_dual_lshlrev_b32 v201, 28, v65 :: v_dual_lshlrev_b32 v202, 27, v65
	v_lshlrev_b32_e32 v203, 26, v65
	v_not_b32_e32 v199, v200
	v_lshlrev_b32_e32 v204, 25, v65
	v_cmp_gt_i32_e64 s18, 0, v200
	v_cmp_gt_i32_e64 s19, 0, v201
	v_not_b32_e32 v200, v201
	v_not_b32_e32 v201, v202
	v_ashrrev_i32_e32 v199, 31, v199
	v_cmp_gt_i32_e64 s20, 0, v202
	v_cmp_gt_i32_e64 s21, 0, v203
	v_not_b32_e32 v202, v203
	v_not_b32_e32 v203, v204
	v_dual_ashrrev_i32 v200, 31, v200 :: v_dual_ashrrev_i32 v201, 31, v201
	s_delay_alu instid0(VALU_DEP_3) | instskip(SKIP_2) | instid1(VALU_DEP_4)
	v_dual_ashrrev_i32 v202, 31, v202 :: v_dual_bitop2_b32 v63, s17, v63 bitop3:0x14
	v_xor_b32_e32 v199, s18, v199
	v_cmp_gt_i32_e64 s22, 0, v204
	v_dual_ashrrev_i32 v203, 31, v203 :: v_dual_bitop2_b32 v200, s19, v200 bitop3:0x14
	v_xor_b32_e32 v201, s20, v201
	s_delay_alu instid0(VALU_DEP_4) | instskip(SKIP_3) | instid1(VALU_DEP_4)
	v_bitop3_b32 v62, v62, v199, v63 bitop3:0x80
	v_mad_u32_u24 v63, v65, 36, v23
	v_xor_b32_e32 v199, s21, v202
	v_xor_b32_e32 v202, s22, v203
	v_bitop3_b32 v62, v62, v201, v200 bitop3:0x80
	ds_load_b32 v200, v63 offset:544
	v_mul_u32_u24_e32 v63, 36, v65
	; wave barrier
	v_bitop3_b32 v62, v62, v202, v199 bitop3:0x80
	s_delay_alu instid0(VALU_DEP_2) | instskip(NEXT) | instid1(VALU_DEP_2)
	v_add_nc_u32_e32 v202, v23, v63
	v_mbcnt_lo_u32_b32 v201, v62, 0
	v_cmp_ne_u32_e64 s17, 0, v62
	s_delay_alu instid0(VALU_DEP_2) | instskip(SKIP_1) | instid1(SALU_CYCLE_1)
	v_cmp_eq_u32_e32 vcc_lo, 0, v201
	s_and_b32 s18, s17, vcc_lo
	s_and_saveexec_b32 s17, s18
	s_cbranch_execz .LBB936_1108
; %bb.1107:                             ;   in Loop: Header=BB936_1040 Depth=2
	s_wait_dscnt 0x0
	v_bcnt_u32_b32 v62, v62, v200
	ds_store_b32 v202, v62 offset:544
.LBB936_1108:                           ;   in Loop: Header=BB936_1040 Depth=2
	s_or_b32 exec_lo, exec_lo, s17
	v_xor_b32_e32 v199, 0x7fff, v64
	; wave barrier
	s_delay_alu instid0(VALU_DEP_1) | instskip(NEXT) | instid1(VALU_DEP_1)
	v_and_b32_e32 v62, 0xffff, v199
	v_lshrrev_b32_e32 v62, s49, v62
	s_delay_alu instid0(VALU_DEP_1) | instskip(NEXT) | instid1(VALU_DEP_1)
	v_and_b32_e32 v64, s48, v62
	v_lshlrev_b32_e32 v65, 30, v64
	v_bitop3_b32 v63, v62, 1, s48 bitop3:0x80
	s_delay_alu instid0(VALU_DEP_1) | instskip(NEXT) | instid1(VALU_DEP_1)
	v_add_co_u32 v62, s17, v63, -1
	v_cndmask_b32_e64 v63, 0, 1, s17
	s_delay_alu instid0(VALU_DEP_4) | instskip(NEXT) | instid1(VALU_DEP_2)
	v_cmp_gt_i32_e64 s17, 0, v65
	v_cmp_ne_u32_e32 vcc_lo, 0, v63
	v_not_b32_e32 v63, v65
	v_bitop3_b32 v62, vcc_lo, exec_lo, v62 bitop3:0x48
	s_delay_alu instid0(VALU_DEP_2) | instskip(SKIP_2) | instid1(VALU_DEP_3)
	v_dual_ashrrev_i32 v63, 31, v63 :: v_dual_lshlrev_b32 v203, 29, v64
	v_dual_lshlrev_b32 v204, 28, v64 :: v_dual_lshlrev_b32 v205, 27, v64
	v_lshlrev_b32_e32 v206, 26, v64
	v_not_b32_e32 v65, v203
	v_lshlrev_b32_e32 v207, 25, v64
	v_cmp_gt_i32_e64 s18, 0, v203
	v_cmp_gt_i32_e64 s19, 0, v204
	v_not_b32_e32 v203, v204
	v_not_b32_e32 v204, v205
	v_ashrrev_i32_e32 v65, 31, v65
	v_cmp_gt_i32_e64 s20, 0, v205
	v_cmp_gt_i32_e64 s21, 0, v206
	v_not_b32_e32 v205, v206
	v_not_b32_e32 v206, v207
	v_dual_ashrrev_i32 v203, 31, v203 :: v_dual_ashrrev_i32 v204, 31, v204
	s_delay_alu instid0(VALU_DEP_3) | instskip(NEXT) | instid1(VALU_DEP_3)
	v_dual_ashrrev_i32 v205, 31, v205 :: v_dual_bitop2_b32 v63, s17, v63 bitop3:0x14
	v_dual_ashrrev_i32 v206, 31, v206 :: v_dual_bitop2_b32 v65, s18, v65 bitop3:0x14
	v_cmp_gt_i32_e64 s22, 0, v207
	s_delay_alu instid0(VALU_DEP_4) | instskip(SKIP_1) | instid1(VALU_DEP_4)
	v_xor_b32_e32 v203, s19, v203
	v_xor_b32_e32 v204, s20, v204
	v_bitop3_b32 v62, v62, v65, v63 bitop3:0x80
	v_mad_u32_u24 v63, v64, 36, v23
	v_xor_b32_e32 v65, s21, v205
	v_xor_b32_e32 v205, s22, v206
	s_delay_alu instid0(VALU_DEP_4) | instskip(SKIP_3) | instid1(VALU_DEP_2)
	v_bitop3_b32 v62, v62, v204, v203 bitop3:0x80
	ds_load_b32 v203, v63 offset:544
	v_mul_u32_u24_e32 v63, 36, v64
	; wave barrier
	v_bitop3_b32 v62, v62, v205, v65 bitop3:0x80
	v_add_nc_u32_e32 v205, v23, v63
	s_delay_alu instid0(VALU_DEP_2) | instskip(SKIP_1) | instid1(VALU_DEP_2)
	v_mbcnt_lo_u32_b32 v204, v62, 0
	v_cmp_ne_u32_e64 s17, 0, v62
	v_cmp_eq_u32_e32 vcc_lo, 0, v204
	s_and_b32 s18, s17, vcc_lo
	s_delay_alu instid0(SALU_CYCLE_1)
	s_and_saveexec_b32 s17, s18
	s_cbranch_execz .LBB936_1110
; %bb.1109:                             ;   in Loop: Header=BB936_1040 Depth=2
	s_wait_dscnt 0x0
	v_bcnt_u32_b32 v62, v62, v203
	ds_store_b32 v205, v62 offset:544
.LBB936_1110:                           ;   in Loop: Header=BB936_1040 Depth=2
	s_or_b32 exec_lo, exec_lo, s17
	v_and_b32_e32 v62, 0xffff, v142
	; wave barrier
	s_delay_alu instid0(VALU_DEP_1) | instskip(NEXT) | instid1(VALU_DEP_1)
	v_lshrrev_b32_e32 v62, s49, v62
	v_and_b32_e32 v64, s48, v62
	s_delay_alu instid0(VALU_DEP_1) | instskip(SKIP_1) | instid1(VALU_DEP_1)
	v_lshlrev_b32_e32 v65, 30, v64
	v_bitop3_b32 v63, v62, 1, s48 bitop3:0x80
	v_add_co_u32 v62, s17, v63, -1
	s_delay_alu instid0(VALU_DEP_1) | instskip(NEXT) | instid1(VALU_DEP_4)
	v_cndmask_b32_e64 v63, 0, 1, s17
	v_cmp_gt_i32_e64 s17, 0, v65
	s_delay_alu instid0(VALU_DEP_2) | instskip(SKIP_2) | instid1(VALU_DEP_2)
	v_cmp_ne_u32_e32 vcc_lo, 0, v63
	v_not_b32_e32 v63, v65
	v_bitop3_b32 v62, vcc_lo, exec_lo, v62 bitop3:0x48
	v_dual_ashrrev_i32 v63, 31, v63 :: v_dual_lshlrev_b32 v206, 29, v64
	v_dual_lshlrev_b32 v207, 28, v64 :: v_dual_lshlrev_b32 v208, 27, v64
	v_lshlrev_b32_e32 v209, 26, v64
	s_delay_alu instid0(VALU_DEP_3)
	v_not_b32_e32 v65, v206
	v_lshlrev_b32_e32 v210, 25, v64
	v_cmp_gt_i32_e64 s18, 0, v206
	v_cmp_gt_i32_e64 s19, 0, v207
	v_not_b32_e32 v206, v207
	v_not_b32_e32 v207, v208
	v_ashrrev_i32_e32 v65, 31, v65
	v_cmp_gt_i32_e64 s20, 0, v208
	v_cmp_gt_i32_e64 s21, 0, v209
	v_not_b32_e32 v208, v209
	v_dual_ashrrev_i32 v206, 31, v206 :: v_dual_ashrrev_i32 v207, 31, v207
	v_xor_b32_e32 v63, s17, v63
	v_xor_b32_e32 v65, s18, v65
	v_not_b32_e32 v209, v210
	s_delay_alu instid0(VALU_DEP_4) | instskip(SKIP_1) | instid1(VALU_DEP_4)
	v_dual_ashrrev_i32 v208, 31, v208 :: v_dual_bitop2_b32 v206, s19, v206 bitop3:0x14
	v_xor_b32_e32 v207, s20, v207
	v_bitop3_b32 v62, v62, v65, v63 bitop3:0x80
	v_cmp_gt_i32_e32 vcc_lo, 0, v210
	v_ashrrev_i32_e32 v63, 31, v209
	v_mad_u32_u24 v65, v64, 36, v23
	v_xor_b32_e32 v208, s21, v208
	v_bitop3_b32 v62, v62, v207, v206 bitop3:0x80
	s_delay_alu instid0(VALU_DEP_4) | instskip(SKIP_3) | instid1(VALU_DEP_2)
	v_xor_b32_e32 v63, vcc_lo, v63
	ds_load_b32 v206, v65 offset:544
	; wave barrier
	v_bitop3_b32 v62, v62, v63, v208 bitop3:0x80
	v_mul_u32_u24_e32 v63, 36, v64
	v_mbcnt_lo_u32_b32 v207, v62, 0
	v_cmp_ne_u32_e64 s17, 0, v62
	s_delay_alu instid0(VALU_DEP_3) | instskip(NEXT) | instid1(VALU_DEP_3)
	v_add_nc_u32_e32 v208, v23, v63
	v_cmp_eq_u32_e32 vcc_lo, 0, v207
	s_and_b32 s18, s17, vcc_lo
	s_delay_alu instid0(SALU_CYCLE_1)
	s_and_saveexec_b32 s17, s18
	s_cbranch_execz .LBB936_1112
; %bb.1111:                             ;   in Loop: Header=BB936_1040 Depth=2
	s_wait_dscnt 0x0
	v_bcnt_u32_b32 v62, v62, v206
	ds_store_b32 v208, v62 offset:544
.LBB936_1112:                           ;   in Loop: Header=BB936_1040 Depth=2
	s_or_b32 exec_lo, exec_lo, s17
	; wave barrier
	s_wait_dscnt 0x0
	s_barrier_signal -1
	s_barrier_wait -1
	ds_load_2addr_b32 v[64:65], v89 offset0:136 offset1:137
	ds_load_2addr_b32 v[62:63], v89 offset0:138 offset1:139
	ds_load_b32 v209, v89 offset:560
	s_wait_dscnt 0x1
	v_add3_u32 v210, v65, v64, v62
	s_wait_dscnt 0x0
	s_delay_alu instid0(VALU_DEP_1) | instskip(NEXT) | instid1(VALU_DEP_1)
	v_add3_u32 v209, v210, v63, v209
	v_mov_b32_dpp v210, v209 row_shr:1 row_mask:0xf bank_mask:0xf
	s_delay_alu instid0(VALU_DEP_1) | instskip(NEXT) | instid1(VALU_DEP_1)
	v_cndmask_b32_e64 v210, v210, 0, s9
	v_add_nc_u32_e32 v209, v210, v209
	s_delay_alu instid0(VALU_DEP_1) | instskip(NEXT) | instid1(VALU_DEP_1)
	v_mov_b32_dpp v210, v209 row_shr:2 row_mask:0xf bank_mask:0xf
	v_cndmask_b32_e64 v210, 0, v210, s10
	s_delay_alu instid0(VALU_DEP_1) | instskip(NEXT) | instid1(VALU_DEP_1)
	v_add_nc_u32_e32 v209, v209, v210
	v_mov_b32_dpp v210, v209 row_shr:4 row_mask:0xf bank_mask:0xf
	s_delay_alu instid0(VALU_DEP_1) | instskip(NEXT) | instid1(VALU_DEP_1)
	v_cndmask_b32_e64 v210, 0, v210, s11
	v_add_nc_u32_e32 v209, v209, v210
	s_delay_alu instid0(VALU_DEP_1) | instskip(NEXT) | instid1(VALU_DEP_1)
	v_mov_b32_dpp v210, v209 row_shr:8 row_mask:0xf bank_mask:0xf
	v_cndmask_b32_e64 v210, 0, v210, s12
	s_delay_alu instid0(VALU_DEP_1) | instskip(SKIP_3) | instid1(VALU_DEP_1)
	v_add_nc_u32_e32 v209, v209, v210
	ds_swizzle_b32 v210, v209 offset:swizzle(BROADCAST,32,15)
	s_wait_dscnt 0x0
	v_cndmask_b32_e64 v210, v210, 0, s13
	v_add_nc_u32_e32 v209, v209, v210
	s_and_saveexec_b32 s17, s2
; %bb.1113:                             ;   in Loop: Header=BB936_1040 Depth=2
	ds_store_b32 v82, v209 offset:512
; %bb.1114:                             ;   in Loop: Header=BB936_1040 Depth=2
	s_or_b32 exec_lo, exec_lo, s17
	s_wait_dscnt 0x0
	s_barrier_signal -1
	s_barrier_wait -1
	s_and_saveexec_b32 s17, s3
	s_cbranch_execz .LBB936_1116
; %bb.1115:                             ;   in Loop: Header=BB936_1040 Depth=2
	ds_load_b32 v210, v91 offset:512
	s_wait_dscnt 0x0
	v_mov_b32_dpp v211, v210 row_shr:1 row_mask:0xf bank_mask:0xf
	s_delay_alu instid0(VALU_DEP_1) | instskip(NEXT) | instid1(VALU_DEP_1)
	v_cndmask_b32_e64 v211, v211, 0, s14
	v_add_nc_u32_e32 v210, v211, v210
	s_delay_alu instid0(VALU_DEP_1) | instskip(NEXT) | instid1(VALU_DEP_1)
	v_mov_b32_dpp v211, v210 row_shr:2 row_mask:0xf bank_mask:0xf
	v_cndmask_b32_e64 v211, 0, v211, s15
	s_delay_alu instid0(VALU_DEP_1) | instskip(NEXT) | instid1(VALU_DEP_1)
	v_add_nc_u32_e32 v210, v210, v211
	v_mov_b32_dpp v211, v210 row_shr:4 row_mask:0xf bank_mask:0xf
	s_delay_alu instid0(VALU_DEP_1) | instskip(NEXT) | instid1(VALU_DEP_1)
	v_cndmask_b32_e64 v211, 0, v211, s16
	v_add_nc_u32_e32 v210, v210, v211
	ds_store_b32 v91, v210 offset:512
.LBB936_1116:                           ;   in Loop: Header=BB936_1040 Depth=2
	s_or_b32 exec_lo, exec_lo, s17
	v_mov_b32_e32 v210, 0
	s_wait_dscnt 0x0
	s_barrier_signal -1
	s_barrier_wait -1
	s_and_saveexec_b32 s17, s5
; %bb.1117:                             ;   in Loop: Header=BB936_1040 Depth=2
	ds_load_b32 v210, v82 offset:508
; %bb.1118:                             ;   in Loop: Header=BB936_1040 Depth=2
	s_or_b32 exec_lo, exec_lo, s17
	s_wait_dscnt 0x0
	v_add_nc_u32_e32 v209, v210, v209
	ds_bpermute_b32 v209, v121, v209
	s_wait_dscnt 0x0
	v_cndmask_b32_e64 v209, v209, v210, s8
	s_delay_alu instid0(VALU_DEP_1) | instskip(NEXT) | instid1(VALU_DEP_1)
	v_cndmask_b32_e64 v209, v209, 0, s6
	v_add_nc_u32_e32 v64, v209, v64
	s_delay_alu instid0(VALU_DEP_1) | instskip(NEXT) | instid1(VALU_DEP_1)
	v_add_nc_u32_e32 v65, v64, v65
	v_add_nc_u32_e32 v62, v65, v62
	s_delay_alu instid0(VALU_DEP_1)
	v_add_nc_u32_e32 v63, v62, v63
	ds_store_2addr_b32 v89, v209, v64 offset0:136 offset1:137
	ds_store_2addr_b32 v89, v65, v62 offset0:138 offset1:139
	ds_store_b32 v89, v63 offset:560
	s_wait_dscnt 0x0
	s_barrier_signal -1
	s_barrier_wait -1
	ds_load_b32 v64, v146 offset:544
	ds_load_b32 v65, v150 offset:544
	;; [unrolled: 1-line block ×17, first 2 shown]
	s_and_saveexec_b32 s17, s0
	s_cbranch_execz .LBB936_1122
; %bb.1119:                             ;   in Loop: Header=BB936_1040 Depth=2
	ds_load_b32 v137, v92 offset:544
	v_mov_b32_e32 v140, 0x1100
	s_and_saveexec_b32 s18, s7
; %bb.1120:                             ;   in Loop: Header=BB936_1040 Depth=2
	ds_load_b32 v140, v93 offset:544
; %bb.1121:                             ;   in Loop: Header=BB936_1040 Depth=2
	s_or_b32 exec_lo, exec_lo, s18
	s_wait_dscnt 0x0
	v_sub_nc_u32_e32 v140, v140, v137
.LBB936_1122:                           ;   in Loop: Header=BB936_1040 Depth=2
	s_or_b32 exec_lo, exec_lo, s17
	s_wait_dscnt 0x0
	s_barrier_signal -1
	s_barrier_wait -1
	s_and_saveexec_b32 s17, s0
	s_cbranch_execz .LBB936_1124
; %bb.1123:                             ;   in Loop: Header=BB936_1040 Depth=2
	ds_load_b32 v156, v3
	s_wait_dscnt 0x0
	v_sub_nc_u32_e32 v156, v156, v137
	ds_store_b32 v3, v156
.LBB936_1124:                           ;   in Loop: Header=BB936_1040 Depth=2
	s_or_b32 exec_lo, exec_lo, s17
	v_add3_u32 v161, v153, v152, v146
	v_add_nc_u32_e32 v165, v64, v144
	v_add3_u32 v164, v149, v148, v65
	v_add3_u32 v159, v158, v157, v150
	;; [unrolled: 1-line block ×4, first 2 shown]
	v_lshlrev_b32_e32 v62, 1, v161
	v_dual_lshlrev_b32 v162, 1, v165 :: v_dual_lshlrev_b32 v163, 1, v164
	v_add3_u32 v157, v168, v167, v209
	v_add3_u32 v156, v173, v172, v175
	;; [unrolled: 1-line block ×5, first 2 shown]
	v_lshlrev_b32_e32 v63, 1, v159
	v_add3_u32 v152, v184, v183, v185
	ds_store_b16 v162, v143 offset:512
	ds_store_b16 v163, v145 offset:512
	v_lshlrev_b32_e32 v143, 1, v158
	v_add3_u32 v150, v188, v187, v190
	v_dual_lshlrev_b32 v145, 1, v157 :: v_dual_lshlrev_b32 v162, 1, v156
	v_add3_u32 v149, v192, v191, v210
	v_add3_u32 v65, v195, v194, v211
	ds_store_b16 v62, v147 offset:512
	ds_store_b16 v63, v151 offset:512
	;; [unrolled: 1-line block ×5, first 2 shown]
	v_dual_lshlrev_b32 v62, 1, v154 :: v_dual_lshlrev_b32 v63, 1, v153
	v_add3_u32 v64, v198, v197, v212
	v_dual_lshlrev_b32 v143, 1, v152 :: v_dual_lshlrev_b32 v145, 1, v150
	v_add3_u32 v144, v207, v206, v170
	v_lshlrev_b32_e32 v147, 1, v149
	ds_store_b16 v62, v171 offset:512
	ds_store_b16 v63, v176 offset:512
	;; [unrolled: 1-line block ×5, first 2 shown]
	v_dual_lshlrev_b32 v62, 1, v65 :: v_dual_lshlrev_b32 v143, 1, v148
	v_cmp_lt_u32_e32 vcc_lo, v2, v141
	v_dual_lshlrev_b32 v63, 1, v64 :: v_dual_lshlrev_b32 v145, 1, v146
	v_lshlrev_b32_e32 v147, 1, v144
	ds_store_b16 v62, v189 offset:512
	ds_store_b16 v63, v193 offset:512
	;; [unrolled: 1-line block ×5, first 2 shown]
	s_wait_dscnt 0x0
	s_barrier_signal -1
	s_barrier_wait -1
	s_and_saveexec_b32 s17, vcc_lo
	s_cbranch_execnz .LBB936_1197
; %bb.1125:                             ;   in Loop: Header=BB936_1040 Depth=2
	s_or_b32 exec_lo, exec_lo, s17
	v_cmp_lt_u32_e64 s17, v66, v141
	s_and_saveexec_b32 s18, s17
	s_cbranch_execnz .LBB936_1198
.LBB936_1126:                           ;   in Loop: Header=BB936_1040 Depth=2
	s_or_b32 exec_lo, exec_lo, s18
	v_cmp_lt_u32_e64 s18, v67, v141
	s_and_saveexec_b32 s19, s18
	s_cbranch_execnz .LBB936_1199
.LBB936_1127:                           ;   in Loop: Header=BB936_1040 Depth=2
	s_or_b32 exec_lo, exec_lo, s19
	v_cmp_lt_u32_e64 s19, v68, v141
	s_and_saveexec_b32 s20, s19
	s_cbranch_execnz .LBB936_1200
.LBB936_1128:                           ;   in Loop: Header=BB936_1040 Depth=2
	s_or_b32 exec_lo, exec_lo, s20
	v_cmp_lt_u32_e64 s20, v69, v141
	s_and_saveexec_b32 s21, s20
	s_cbranch_execnz .LBB936_1201
.LBB936_1129:                           ;   in Loop: Header=BB936_1040 Depth=2
	s_or_b32 exec_lo, exec_lo, s21
	v_cmp_lt_u32_e64 s21, v70, v141
	s_and_saveexec_b32 s22, s21
	s_cbranch_execnz .LBB936_1202
.LBB936_1130:                           ;   in Loop: Header=BB936_1040 Depth=2
	s_or_b32 exec_lo, exec_lo, s22
	v_cmp_lt_u32_e64 s22, v71, v141
	s_and_saveexec_b32 s23, s22
	s_cbranch_execnz .LBB936_1203
.LBB936_1131:                           ;   in Loop: Header=BB936_1040 Depth=2
	s_or_b32 exec_lo, exec_lo, s23
	v_cmp_lt_u32_e64 s23, v72, v141
	s_and_saveexec_b32 s24, s23
	s_cbranch_execnz .LBB936_1204
.LBB936_1132:                           ;   in Loop: Header=BB936_1040 Depth=2
	s_or_b32 exec_lo, exec_lo, s24
	v_cmp_lt_u32_e64 s24, v73, v141
	s_and_saveexec_b32 s25, s24
	s_cbranch_execnz .LBB936_1205
.LBB936_1133:                           ;   in Loop: Header=BB936_1040 Depth=2
	s_or_b32 exec_lo, exec_lo, s25
	v_cmp_lt_u32_e64 s25, v74, v141
	s_and_saveexec_b32 s26, s25
	s_cbranch_execnz .LBB936_1206
.LBB936_1134:                           ;   in Loop: Header=BB936_1040 Depth=2
	s_or_b32 exec_lo, exec_lo, s26
	v_cmp_lt_u32_e64 s26, v75, v141
	s_and_saveexec_b32 s27, s26
	s_cbranch_execnz .LBB936_1207
.LBB936_1135:                           ;   in Loop: Header=BB936_1040 Depth=2
	s_or_b32 exec_lo, exec_lo, s27
	v_cmp_lt_u32_e64 s27, v76, v141
	s_and_saveexec_b32 s28, s27
	s_cbranch_execnz .LBB936_1208
.LBB936_1136:                           ;   in Loop: Header=BB936_1040 Depth=2
	s_or_b32 exec_lo, exec_lo, s28
	v_cmp_lt_u32_e64 s28, v77, v141
	s_and_saveexec_b32 s29, s28
	s_cbranch_execnz .LBB936_1209
.LBB936_1137:                           ;   in Loop: Header=BB936_1040 Depth=2
	s_or_b32 exec_lo, exec_lo, s29
	v_cmp_lt_u32_e64 s29, v78, v141
	s_and_saveexec_b32 s30, s29
	s_cbranch_execnz .LBB936_1210
.LBB936_1138:                           ;   in Loop: Header=BB936_1040 Depth=2
	s_or_b32 exec_lo, exec_lo, s30
	v_cmp_lt_u32_e64 s30, v79, v141
	s_and_saveexec_b32 s31, s30
	s_cbranch_execnz .LBB936_1211
.LBB936_1139:                           ;   in Loop: Header=BB936_1040 Depth=2
	s_or_b32 exec_lo, exec_lo, s31
	v_cmp_lt_u32_e64 s31, v80, v141
	s_and_saveexec_b32 s33, s31
	s_cbranch_execnz .LBB936_1212
.LBB936_1140:                           ;   in Loop: Header=BB936_1040 Depth=2
	s_or_b32 exec_lo, exec_lo, s33
	v_cmp_lt_u32_e64 s33, v81, v141
	s_and_saveexec_b32 s60, s33
	s_cbranch_execz .LBB936_1142
.LBB936_1141:                           ;   in Loop: Header=BB936_1040 Depth=2
	ds_load_u16 v62, v94 offset:8704
	s_wait_dscnt 0x0
	v_and_b32_e32 v63, 0xffff, v62
	v_xor_b32_e32 v62, 0x7fff, v62
	s_delay_alu instid0(VALU_DEP_2) | instskip(NEXT) | instid1(VALU_DEP_1)
	v_lshrrev_b32_e32 v63, s49, v63
	v_and_b32_e32 v63, s48, v63
	s_delay_alu instid0(VALU_DEP_1)
	v_lshlrev_b32_e32 v63, 2, v63
	ds_load_b32 v63, v63
	s_wait_dscnt 0x0
	v_add_nc_u32_e32 v63, v63, v81
	global_store_b16 v63, v62, s[40:41] scale_offset
.LBB936_1142:                           ;   in Loop: Header=BB936_1040 Depth=2
	s_wait_xcnt 0x0
	s_or_b32 exec_lo, exec_lo, s60
	v_lshl_add_u64 v[62:63], s[34:35], 3, v[24:25]
	v_cmp_lt_u32_e64 s34, v102, v141
	s_and_saveexec_b32 s60, s34
	s_delay_alu instid0(SALU_CYCLE_1)
	s_xor_b32 s34, exec_lo, s60
	s_cbranch_execnz .LBB936_1213
; %bb.1143:                             ;   in Loop: Header=BB936_1040 Depth=2
	s_or_b32 exec_lo, exec_lo, s34
	s_delay_alu instid0(SALU_CYCLE_1)
	s_mov_b32 s60, exec_lo
	v_cmpx_lt_u32_e64 v105, v141
	s_cbranch_execnz .LBB936_1214
.LBB936_1144:                           ;   in Loop: Header=BB936_1040 Depth=2
	s_or_b32 exec_lo, exec_lo, s60
	s_delay_alu instid0(SALU_CYCLE_1)
	s_mov_b32 s60, exec_lo
	v_cmpx_lt_u32_e64 v106, v141
	s_cbranch_execnz .LBB936_1215
.LBB936_1145:                           ;   in Loop: Header=BB936_1040 Depth=2
	s_or_b32 exec_lo, exec_lo, s60
	s_delay_alu instid0(SALU_CYCLE_1)
	s_mov_b32 s60, exec_lo
	v_cmpx_lt_u32_e64 v107, v141
	s_cbranch_execnz .LBB936_1216
.LBB936_1146:                           ;   in Loop: Header=BB936_1040 Depth=2
	s_or_b32 exec_lo, exec_lo, s60
	s_delay_alu instid0(SALU_CYCLE_1)
	s_mov_b32 s60, exec_lo
	v_cmpx_lt_u32_e64 v108, v141
	s_cbranch_execnz .LBB936_1217
.LBB936_1147:                           ;   in Loop: Header=BB936_1040 Depth=2
	s_or_b32 exec_lo, exec_lo, s60
	s_delay_alu instid0(SALU_CYCLE_1)
	s_mov_b32 s60, exec_lo
	v_cmpx_lt_u32_e64 v109, v141
	s_cbranch_execnz .LBB936_1218
.LBB936_1148:                           ;   in Loop: Header=BB936_1040 Depth=2
	s_or_b32 exec_lo, exec_lo, s60
	s_delay_alu instid0(SALU_CYCLE_1)
	s_mov_b32 s60, exec_lo
	v_cmpx_lt_u32_e64 v110, v141
	s_cbranch_execnz .LBB936_1219
.LBB936_1149:                           ;   in Loop: Header=BB936_1040 Depth=2
	s_or_b32 exec_lo, exec_lo, s60
	s_delay_alu instid0(SALU_CYCLE_1)
	s_mov_b32 s60, exec_lo
	v_cmpx_lt_u32_e64 v111, v141
	s_cbranch_execnz .LBB936_1220
.LBB936_1150:                           ;   in Loop: Header=BB936_1040 Depth=2
	s_or_b32 exec_lo, exec_lo, s60
	s_delay_alu instid0(SALU_CYCLE_1)
	s_mov_b32 s60, exec_lo
	v_cmpx_lt_u32_e64 v112, v141
	s_cbranch_execnz .LBB936_1221
.LBB936_1151:                           ;   in Loop: Header=BB936_1040 Depth=2
	s_or_b32 exec_lo, exec_lo, s60
	s_delay_alu instid0(SALU_CYCLE_1)
	s_mov_b32 s60, exec_lo
	v_cmpx_lt_u32_e64 v113, v141
	s_cbranch_execnz .LBB936_1222
.LBB936_1152:                           ;   in Loop: Header=BB936_1040 Depth=2
	s_or_b32 exec_lo, exec_lo, s60
	s_delay_alu instid0(SALU_CYCLE_1)
	s_mov_b32 s60, exec_lo
	v_cmpx_lt_u32_e64 v114, v141
	s_cbranch_execnz .LBB936_1223
.LBB936_1153:                           ;   in Loop: Header=BB936_1040 Depth=2
	s_or_b32 exec_lo, exec_lo, s60
	s_delay_alu instid0(SALU_CYCLE_1)
	s_mov_b32 s60, exec_lo
	v_cmpx_lt_u32_e64 v115, v141
	s_cbranch_execnz .LBB936_1224
.LBB936_1154:                           ;   in Loop: Header=BB936_1040 Depth=2
	s_or_b32 exec_lo, exec_lo, s60
	s_delay_alu instid0(SALU_CYCLE_1)
	s_mov_b32 s60, exec_lo
	v_cmpx_lt_u32_e64 v116, v141
	s_cbranch_execnz .LBB936_1225
.LBB936_1155:                           ;   in Loop: Header=BB936_1040 Depth=2
	s_or_b32 exec_lo, exec_lo, s60
	s_delay_alu instid0(SALU_CYCLE_1)
	s_mov_b32 s60, exec_lo
	v_cmpx_lt_u32_e64 v117, v141
	s_cbranch_execnz .LBB936_1226
.LBB936_1156:                           ;   in Loop: Header=BB936_1040 Depth=2
	s_or_b32 exec_lo, exec_lo, s60
	s_delay_alu instid0(SALU_CYCLE_1)
	s_mov_b32 s60, exec_lo
	v_cmpx_lt_u32_e64 v118, v141
	s_cbranch_execnz .LBB936_1227
.LBB936_1157:                           ;   in Loop: Header=BB936_1040 Depth=2
	s_or_b32 exec_lo, exec_lo, s60
	s_delay_alu instid0(SALU_CYCLE_1)
	s_mov_b32 s60, exec_lo
	v_cmpx_lt_u32_e64 v119, v141
	s_cbranch_execnz .LBB936_1228
.LBB936_1158:                           ;   in Loop: Header=BB936_1040 Depth=2
	s_or_b32 exec_lo, exec_lo, s60
	s_delay_alu instid0(SALU_CYCLE_1)
	s_mov_b32 s60, exec_lo
	v_cmpx_lt_u32_e64 v120, v141
	s_cbranch_execnz .LBB936_1229
.LBB936_1159:                           ;   in Loop: Header=BB936_1040 Depth=2
	s_or_b32 exec_lo, exec_lo, s60
	s_and_saveexec_b32 s34, vcc_lo
	s_cbranch_execnz .LBB936_1230
.LBB936_1160:                           ;   in Loop: Header=BB936_1040 Depth=2
	s_or_b32 exec_lo, exec_lo, s34
	s_and_saveexec_b32 s34, s17
	s_cbranch_execnz .LBB936_1231
.LBB936_1161:                           ;   in Loop: Header=BB936_1040 Depth=2
	s_or_b32 exec_lo, exec_lo, s34
	s_and_saveexec_b32 s34, s18
	s_cbranch_execnz .LBB936_1232
.LBB936_1162:                           ;   in Loop: Header=BB936_1040 Depth=2
	s_or_b32 exec_lo, exec_lo, s34
	s_and_saveexec_b32 s34, s19
	s_cbranch_execnz .LBB936_1233
.LBB936_1163:                           ;   in Loop: Header=BB936_1040 Depth=2
	s_or_b32 exec_lo, exec_lo, s34
	s_and_saveexec_b32 s34, s20
	s_cbranch_execnz .LBB936_1234
.LBB936_1164:                           ;   in Loop: Header=BB936_1040 Depth=2
	s_or_b32 exec_lo, exec_lo, s34
	s_and_saveexec_b32 s34, s21
	s_cbranch_execnz .LBB936_1235
.LBB936_1165:                           ;   in Loop: Header=BB936_1040 Depth=2
	s_or_b32 exec_lo, exec_lo, s34
	s_and_saveexec_b32 s34, s22
	s_cbranch_execnz .LBB936_1236
.LBB936_1166:                           ;   in Loop: Header=BB936_1040 Depth=2
	s_or_b32 exec_lo, exec_lo, s34
	s_and_saveexec_b32 s34, s23
	s_cbranch_execnz .LBB936_1237
.LBB936_1167:                           ;   in Loop: Header=BB936_1040 Depth=2
	s_or_b32 exec_lo, exec_lo, s34
	s_and_saveexec_b32 s34, s24
	s_cbranch_execnz .LBB936_1238
.LBB936_1168:                           ;   in Loop: Header=BB936_1040 Depth=2
	s_or_b32 exec_lo, exec_lo, s34
	s_and_saveexec_b32 s34, s25
	s_cbranch_execnz .LBB936_1239
.LBB936_1169:                           ;   in Loop: Header=BB936_1040 Depth=2
	s_or_b32 exec_lo, exec_lo, s34
	s_and_saveexec_b32 s34, s26
	s_cbranch_execnz .LBB936_1240
.LBB936_1170:                           ;   in Loop: Header=BB936_1040 Depth=2
	s_or_b32 exec_lo, exec_lo, s34
	s_and_saveexec_b32 s34, s27
	s_cbranch_execnz .LBB936_1241
.LBB936_1171:                           ;   in Loop: Header=BB936_1040 Depth=2
	s_or_b32 exec_lo, exec_lo, s34
	s_and_saveexec_b32 s34, s28
	s_cbranch_execnz .LBB936_1242
.LBB936_1172:                           ;   in Loop: Header=BB936_1040 Depth=2
	s_or_b32 exec_lo, exec_lo, s34
	s_and_saveexec_b32 s34, s29
	s_cbranch_execnz .LBB936_1243
.LBB936_1173:                           ;   in Loop: Header=BB936_1040 Depth=2
	s_or_b32 exec_lo, exec_lo, s34
	s_and_saveexec_b32 s34, s30
	s_cbranch_execnz .LBB936_1244
.LBB936_1174:                           ;   in Loop: Header=BB936_1040 Depth=2
	s_or_b32 exec_lo, exec_lo, s34
	s_and_saveexec_b32 s34, s31
	s_cbranch_execnz .LBB936_1245
.LBB936_1175:                           ;   in Loop: Header=BB936_1040 Depth=2
	s_or_b32 exec_lo, exec_lo, s34
	s_and_saveexec_b32 s34, s33
	s_cbranch_execz .LBB936_1177
.LBB936_1176:                           ;   in Loop: Header=BB936_1040 Depth=2
	ds_load_u16 v62, v94 offset:8704
	s_wait_dscnt 0x0
	v_lshrrev_b32_e32 v62, s49, v62
	s_delay_alu instid0(VALU_DEP_1)
	v_and_b32_e32 v122, s48, v62
.LBB936_1177:                           ;   in Loop: Header=BB936_1040 Depth=2
	s_or_b32 exec_lo, exec_lo, s34
	v_dual_lshlrev_b32 v62, 3, v165 :: v_dual_lshlrev_b32 v63, 3, v164
	s_wait_loadcnt 0x0
	s_wait_storecnt 0x0
	s_barrier_signal -1
	s_barrier_wait -1
	ds_store_b64 v62, v[60:61] offset:512
	ds_store_b64 v63, v[58:59] offset:512
	v_dual_lshlrev_b32 v62, 3, v161 :: v_dual_lshlrev_b32 v63, 3, v159
	v_dual_lshlrev_b32 v141, 3, v158 :: v_dual_lshlrev_b32 v142, 3, v157
	v_lshlrev_b32_e32 v143, 3, v156
	ds_store_b64 v62, v[56:57] offset:512
	ds_store_b64 v63, v[54:55] offset:512
	ds_store_b64 v141, v[52:53] offset:512
	ds_store_b64 v142, v[50:51] offset:512
	ds_store_b64 v143, v[48:49] offset:512
	v_dual_lshlrev_b32 v62, 3, v154 :: v_dual_lshlrev_b32 v63, 3, v153
	v_dual_lshlrev_b32 v141, 3, v152 :: v_dual_lshlrev_b32 v142, 3, v150
	v_lshlrev_b32_e32 v143, 3, v149
	ds_store_b64 v62, v[46:47] offset:512
	ds_store_b64 v63, v[44:45] offset:512
	ds_store_b64 v141, v[42:43] offset:512
	;; [unrolled: 8-line block ×3, first 2 shown]
	ds_store_b64 v65, v[30:31] offset:512
	ds_store_b64 v141, v[28:29] offset:512
	v_add_nc_u32_e32 v62, v94, v95
	s_wait_dscnt 0x0
	s_barrier_signal -1
	s_barrier_wait -1
	s_and_saveexec_b32 s34, vcc_lo
	s_cbranch_execnz .LBB936_1246
; %bb.1178:                             ;   in Loop: Header=BB936_1040 Depth=2
	s_or_b32 exec_lo, exec_lo, s34
	s_and_saveexec_b32 s34, s17
	s_cbranch_execnz .LBB936_1247
.LBB936_1179:                           ;   in Loop: Header=BB936_1040 Depth=2
	s_or_b32 exec_lo, exec_lo, s34
	s_and_saveexec_b32 s17, s18
	s_cbranch_execnz .LBB936_1248
.LBB936_1180:                           ;   in Loop: Header=BB936_1040 Depth=2
	s_or_b32 exec_lo, exec_lo, s17
	s_and_saveexec_b32 s17, s19
	s_cbranch_execnz .LBB936_1249
.LBB936_1181:                           ;   in Loop: Header=BB936_1040 Depth=2
	s_or_b32 exec_lo, exec_lo, s17
	s_and_saveexec_b32 s17, s20
	s_cbranch_execnz .LBB936_1250
.LBB936_1182:                           ;   in Loop: Header=BB936_1040 Depth=2
	s_or_b32 exec_lo, exec_lo, s17
	s_and_saveexec_b32 s17, s21
	s_cbranch_execnz .LBB936_1251
.LBB936_1183:                           ;   in Loop: Header=BB936_1040 Depth=2
	s_or_b32 exec_lo, exec_lo, s17
	s_and_saveexec_b32 s17, s22
	s_cbranch_execnz .LBB936_1252
.LBB936_1184:                           ;   in Loop: Header=BB936_1040 Depth=2
	s_or_b32 exec_lo, exec_lo, s17
	s_and_saveexec_b32 s17, s23
	s_cbranch_execnz .LBB936_1253
.LBB936_1185:                           ;   in Loop: Header=BB936_1040 Depth=2
	s_or_b32 exec_lo, exec_lo, s17
	s_and_saveexec_b32 s17, s24
	s_cbranch_execnz .LBB936_1254
.LBB936_1186:                           ;   in Loop: Header=BB936_1040 Depth=2
	s_or_b32 exec_lo, exec_lo, s17
	s_and_saveexec_b32 s17, s25
	s_cbranch_execnz .LBB936_1255
.LBB936_1187:                           ;   in Loop: Header=BB936_1040 Depth=2
	s_or_b32 exec_lo, exec_lo, s17
	s_and_saveexec_b32 s17, s26
	s_cbranch_execnz .LBB936_1256
.LBB936_1188:                           ;   in Loop: Header=BB936_1040 Depth=2
	s_or_b32 exec_lo, exec_lo, s17
	s_and_saveexec_b32 s17, s27
	s_cbranch_execnz .LBB936_1257
.LBB936_1189:                           ;   in Loop: Header=BB936_1040 Depth=2
	s_or_b32 exec_lo, exec_lo, s17
	s_and_saveexec_b32 s17, s28
	s_cbranch_execnz .LBB936_1258
.LBB936_1190:                           ;   in Loop: Header=BB936_1040 Depth=2
	s_or_b32 exec_lo, exec_lo, s17
	s_and_saveexec_b32 s17, s29
	s_cbranch_execnz .LBB936_1259
.LBB936_1191:                           ;   in Loop: Header=BB936_1040 Depth=2
	s_or_b32 exec_lo, exec_lo, s17
	s_and_saveexec_b32 s17, s30
	s_cbranch_execnz .LBB936_1260
.LBB936_1192:                           ;   in Loop: Header=BB936_1040 Depth=2
	s_or_b32 exec_lo, exec_lo, s17
	s_and_saveexec_b32 s17, s31
	s_cbranch_execnz .LBB936_1261
.LBB936_1193:                           ;   in Loop: Header=BB936_1040 Depth=2
	s_or_b32 exec_lo, exec_lo, s17
	s_and_saveexec_b32 s17, s33
	s_cbranch_execz .LBB936_1195
.LBB936_1194:                           ;   in Loop: Header=BB936_1040 Depth=2
	v_lshlrev_b32_e32 v63, 2, v122
	ds_load_b32 v64, v63
	ds_load_b64 v[62:63], v62 offset:33280
	s_wait_dscnt 0x1
	v_add_nc_u32_e32 v64, v64, v81
	s_wait_dscnt 0x0
	global_store_b64 v64, v[62:63], s[46:47] scale_offset
.LBB936_1195:                           ;   in Loop: Header=BB936_1040 Depth=2
	s_wait_xcnt 0x0
	s_or_b32 exec_lo, exec_lo, s17
	s_wait_storecnt 0x0
	s_barrier_signal -1
	s_barrier_wait -1
	s_and_saveexec_b32 s17, s0
	s_cbranch_execz .LBB936_1039
; %bb.1196:                             ;   in Loop: Header=BB936_1040 Depth=2
	ds_load_b32 v62, v3
	s_wait_dscnt 0x0
	v_add3_u32 v62, v137, v140, v62
	ds_store_b32 v3, v62
	s_branch .LBB936_1039
.LBB936_1197:                           ;   in Loop: Header=BB936_1040 Depth=2
	ds_load_u16 v62, v94 offset:512
	s_wait_dscnt 0x0
	v_and_b32_e32 v63, 0xffff, v62
	v_xor_b32_e32 v62, 0x7fff, v62
	s_delay_alu instid0(VALU_DEP_2) | instskip(NEXT) | instid1(VALU_DEP_1)
	v_lshrrev_b32_e32 v63, s49, v63
	v_and_b32_e32 v63, s48, v63
	s_delay_alu instid0(VALU_DEP_1)
	v_lshlrev_b32_e32 v63, 2, v63
	ds_load_b32 v63, v63
	s_wait_dscnt 0x0
	v_add_nc_u32_e32 v63, v63, v2
	global_store_b16 v63, v62, s[40:41] scale_offset
	s_wait_xcnt 0x0
	s_or_b32 exec_lo, exec_lo, s17
	v_cmp_lt_u32_e64 s17, v66, v141
	s_and_saveexec_b32 s18, s17
	s_cbranch_execz .LBB936_1126
.LBB936_1198:                           ;   in Loop: Header=BB936_1040 Depth=2
	ds_load_u16 v62, v94 offset:1024
	s_wait_dscnt 0x0
	v_and_b32_e32 v63, 0xffff, v62
	v_xor_b32_e32 v62, 0x7fff, v62
	s_delay_alu instid0(VALU_DEP_2) | instskip(NEXT) | instid1(VALU_DEP_1)
	v_lshrrev_b32_e32 v63, s49, v63
	v_and_b32_e32 v63, s48, v63
	s_delay_alu instid0(VALU_DEP_1)
	v_lshlrev_b32_e32 v63, 2, v63
	ds_load_b32 v63, v63
	s_wait_dscnt 0x0
	v_add_nc_u32_e32 v63, v63, v66
	global_store_b16 v63, v62, s[40:41] scale_offset
	s_wait_xcnt 0x0
	s_or_b32 exec_lo, exec_lo, s18
	v_cmp_lt_u32_e64 s18, v67, v141
	s_and_saveexec_b32 s19, s18
	s_cbranch_execz .LBB936_1127
.LBB936_1199:                           ;   in Loop: Header=BB936_1040 Depth=2
	ds_load_u16 v62, v94 offset:1536
	s_wait_dscnt 0x0
	v_and_b32_e32 v63, 0xffff, v62
	v_xor_b32_e32 v62, 0x7fff, v62
	s_delay_alu instid0(VALU_DEP_2) | instskip(NEXT) | instid1(VALU_DEP_1)
	v_lshrrev_b32_e32 v63, s49, v63
	v_and_b32_e32 v63, s48, v63
	s_delay_alu instid0(VALU_DEP_1)
	v_lshlrev_b32_e32 v63, 2, v63
	ds_load_b32 v63, v63
	s_wait_dscnt 0x0
	v_add_nc_u32_e32 v63, v63, v67
	global_store_b16 v63, v62, s[40:41] scale_offset
	s_wait_xcnt 0x0
	s_or_b32 exec_lo, exec_lo, s19
	v_cmp_lt_u32_e64 s19, v68, v141
	s_and_saveexec_b32 s20, s19
	s_cbranch_execz .LBB936_1128
.LBB936_1200:                           ;   in Loop: Header=BB936_1040 Depth=2
	ds_load_u16 v62, v94 offset:2048
	s_wait_dscnt 0x0
	v_and_b32_e32 v63, 0xffff, v62
	v_xor_b32_e32 v62, 0x7fff, v62
	s_delay_alu instid0(VALU_DEP_2) | instskip(NEXT) | instid1(VALU_DEP_1)
	v_lshrrev_b32_e32 v63, s49, v63
	v_and_b32_e32 v63, s48, v63
	s_delay_alu instid0(VALU_DEP_1)
	v_lshlrev_b32_e32 v63, 2, v63
	ds_load_b32 v63, v63
	s_wait_dscnt 0x0
	v_add_nc_u32_e32 v63, v63, v68
	global_store_b16 v63, v62, s[40:41] scale_offset
	s_wait_xcnt 0x0
	s_or_b32 exec_lo, exec_lo, s20
	v_cmp_lt_u32_e64 s20, v69, v141
	s_and_saveexec_b32 s21, s20
	s_cbranch_execz .LBB936_1129
.LBB936_1201:                           ;   in Loop: Header=BB936_1040 Depth=2
	ds_load_u16 v62, v94 offset:2560
	s_wait_dscnt 0x0
	v_and_b32_e32 v63, 0xffff, v62
	v_xor_b32_e32 v62, 0x7fff, v62
	s_delay_alu instid0(VALU_DEP_2) | instskip(NEXT) | instid1(VALU_DEP_1)
	v_lshrrev_b32_e32 v63, s49, v63
	v_and_b32_e32 v63, s48, v63
	s_delay_alu instid0(VALU_DEP_1)
	v_lshlrev_b32_e32 v63, 2, v63
	ds_load_b32 v63, v63
	s_wait_dscnt 0x0
	v_add_nc_u32_e32 v63, v63, v69
	global_store_b16 v63, v62, s[40:41] scale_offset
	s_wait_xcnt 0x0
	s_or_b32 exec_lo, exec_lo, s21
	v_cmp_lt_u32_e64 s21, v70, v141
	s_and_saveexec_b32 s22, s21
	s_cbranch_execz .LBB936_1130
.LBB936_1202:                           ;   in Loop: Header=BB936_1040 Depth=2
	ds_load_u16 v62, v94 offset:3072
	s_wait_dscnt 0x0
	v_and_b32_e32 v63, 0xffff, v62
	v_xor_b32_e32 v62, 0x7fff, v62
	s_delay_alu instid0(VALU_DEP_2) | instskip(NEXT) | instid1(VALU_DEP_1)
	v_lshrrev_b32_e32 v63, s49, v63
	v_and_b32_e32 v63, s48, v63
	s_delay_alu instid0(VALU_DEP_1)
	v_lshlrev_b32_e32 v63, 2, v63
	ds_load_b32 v63, v63
	s_wait_dscnt 0x0
	v_add_nc_u32_e32 v63, v63, v70
	global_store_b16 v63, v62, s[40:41] scale_offset
	s_wait_xcnt 0x0
	s_or_b32 exec_lo, exec_lo, s22
	v_cmp_lt_u32_e64 s22, v71, v141
	s_and_saveexec_b32 s23, s22
	s_cbranch_execz .LBB936_1131
.LBB936_1203:                           ;   in Loop: Header=BB936_1040 Depth=2
	ds_load_u16 v62, v94 offset:3584
	s_wait_dscnt 0x0
	v_and_b32_e32 v63, 0xffff, v62
	v_xor_b32_e32 v62, 0x7fff, v62
	s_delay_alu instid0(VALU_DEP_2) | instskip(NEXT) | instid1(VALU_DEP_1)
	v_lshrrev_b32_e32 v63, s49, v63
	v_and_b32_e32 v63, s48, v63
	s_delay_alu instid0(VALU_DEP_1)
	v_lshlrev_b32_e32 v63, 2, v63
	ds_load_b32 v63, v63
	s_wait_dscnt 0x0
	v_add_nc_u32_e32 v63, v63, v71
	global_store_b16 v63, v62, s[40:41] scale_offset
	s_wait_xcnt 0x0
	s_or_b32 exec_lo, exec_lo, s23
	v_cmp_lt_u32_e64 s23, v72, v141
	s_and_saveexec_b32 s24, s23
	s_cbranch_execz .LBB936_1132
.LBB936_1204:                           ;   in Loop: Header=BB936_1040 Depth=2
	ds_load_u16 v62, v94 offset:4096
	s_wait_dscnt 0x0
	v_and_b32_e32 v63, 0xffff, v62
	v_xor_b32_e32 v62, 0x7fff, v62
	s_delay_alu instid0(VALU_DEP_2) | instskip(NEXT) | instid1(VALU_DEP_1)
	v_lshrrev_b32_e32 v63, s49, v63
	v_and_b32_e32 v63, s48, v63
	s_delay_alu instid0(VALU_DEP_1)
	v_lshlrev_b32_e32 v63, 2, v63
	ds_load_b32 v63, v63
	s_wait_dscnt 0x0
	v_add_nc_u32_e32 v63, v63, v72
	global_store_b16 v63, v62, s[40:41] scale_offset
	s_wait_xcnt 0x0
	s_or_b32 exec_lo, exec_lo, s24
	v_cmp_lt_u32_e64 s24, v73, v141
	s_and_saveexec_b32 s25, s24
	s_cbranch_execz .LBB936_1133
.LBB936_1205:                           ;   in Loop: Header=BB936_1040 Depth=2
	ds_load_u16 v62, v94 offset:4608
	s_wait_dscnt 0x0
	v_and_b32_e32 v63, 0xffff, v62
	v_xor_b32_e32 v62, 0x7fff, v62
	s_delay_alu instid0(VALU_DEP_2) | instskip(NEXT) | instid1(VALU_DEP_1)
	v_lshrrev_b32_e32 v63, s49, v63
	v_and_b32_e32 v63, s48, v63
	s_delay_alu instid0(VALU_DEP_1)
	v_lshlrev_b32_e32 v63, 2, v63
	ds_load_b32 v63, v63
	s_wait_dscnt 0x0
	v_add_nc_u32_e32 v63, v63, v73
	global_store_b16 v63, v62, s[40:41] scale_offset
	s_wait_xcnt 0x0
	s_or_b32 exec_lo, exec_lo, s25
	v_cmp_lt_u32_e64 s25, v74, v141
	s_and_saveexec_b32 s26, s25
	s_cbranch_execz .LBB936_1134
.LBB936_1206:                           ;   in Loop: Header=BB936_1040 Depth=2
	ds_load_u16 v62, v94 offset:5120
	s_wait_dscnt 0x0
	v_and_b32_e32 v63, 0xffff, v62
	v_xor_b32_e32 v62, 0x7fff, v62
	s_delay_alu instid0(VALU_DEP_2) | instskip(NEXT) | instid1(VALU_DEP_1)
	v_lshrrev_b32_e32 v63, s49, v63
	v_and_b32_e32 v63, s48, v63
	s_delay_alu instid0(VALU_DEP_1)
	v_lshlrev_b32_e32 v63, 2, v63
	ds_load_b32 v63, v63
	s_wait_dscnt 0x0
	v_add_nc_u32_e32 v63, v63, v74
	global_store_b16 v63, v62, s[40:41] scale_offset
	s_wait_xcnt 0x0
	s_or_b32 exec_lo, exec_lo, s26
	v_cmp_lt_u32_e64 s26, v75, v141
	s_and_saveexec_b32 s27, s26
	s_cbranch_execz .LBB936_1135
.LBB936_1207:                           ;   in Loop: Header=BB936_1040 Depth=2
	ds_load_u16 v62, v94 offset:5632
	s_wait_dscnt 0x0
	v_and_b32_e32 v63, 0xffff, v62
	v_xor_b32_e32 v62, 0x7fff, v62
	s_delay_alu instid0(VALU_DEP_2) | instskip(NEXT) | instid1(VALU_DEP_1)
	v_lshrrev_b32_e32 v63, s49, v63
	v_and_b32_e32 v63, s48, v63
	s_delay_alu instid0(VALU_DEP_1)
	v_lshlrev_b32_e32 v63, 2, v63
	ds_load_b32 v63, v63
	s_wait_dscnt 0x0
	v_add_nc_u32_e32 v63, v63, v75
	global_store_b16 v63, v62, s[40:41] scale_offset
	s_wait_xcnt 0x0
	s_or_b32 exec_lo, exec_lo, s27
	v_cmp_lt_u32_e64 s27, v76, v141
	s_and_saveexec_b32 s28, s27
	s_cbranch_execz .LBB936_1136
.LBB936_1208:                           ;   in Loop: Header=BB936_1040 Depth=2
	ds_load_u16 v62, v94 offset:6144
	s_wait_dscnt 0x0
	v_and_b32_e32 v63, 0xffff, v62
	v_xor_b32_e32 v62, 0x7fff, v62
	s_delay_alu instid0(VALU_DEP_2) | instskip(NEXT) | instid1(VALU_DEP_1)
	v_lshrrev_b32_e32 v63, s49, v63
	v_and_b32_e32 v63, s48, v63
	s_delay_alu instid0(VALU_DEP_1)
	v_lshlrev_b32_e32 v63, 2, v63
	ds_load_b32 v63, v63
	s_wait_dscnt 0x0
	v_add_nc_u32_e32 v63, v63, v76
	global_store_b16 v63, v62, s[40:41] scale_offset
	s_wait_xcnt 0x0
	s_or_b32 exec_lo, exec_lo, s28
	v_cmp_lt_u32_e64 s28, v77, v141
	s_and_saveexec_b32 s29, s28
	s_cbranch_execz .LBB936_1137
.LBB936_1209:                           ;   in Loop: Header=BB936_1040 Depth=2
	ds_load_u16 v62, v94 offset:6656
	s_wait_dscnt 0x0
	v_and_b32_e32 v63, 0xffff, v62
	v_xor_b32_e32 v62, 0x7fff, v62
	s_delay_alu instid0(VALU_DEP_2) | instskip(NEXT) | instid1(VALU_DEP_1)
	v_lshrrev_b32_e32 v63, s49, v63
	v_and_b32_e32 v63, s48, v63
	s_delay_alu instid0(VALU_DEP_1)
	v_lshlrev_b32_e32 v63, 2, v63
	ds_load_b32 v63, v63
	s_wait_dscnt 0x0
	v_add_nc_u32_e32 v63, v63, v77
	global_store_b16 v63, v62, s[40:41] scale_offset
	s_wait_xcnt 0x0
	s_or_b32 exec_lo, exec_lo, s29
	v_cmp_lt_u32_e64 s29, v78, v141
	s_and_saveexec_b32 s30, s29
	s_cbranch_execz .LBB936_1138
.LBB936_1210:                           ;   in Loop: Header=BB936_1040 Depth=2
	ds_load_u16 v62, v94 offset:7168
	s_wait_dscnt 0x0
	v_and_b32_e32 v63, 0xffff, v62
	v_xor_b32_e32 v62, 0x7fff, v62
	s_delay_alu instid0(VALU_DEP_2) | instskip(NEXT) | instid1(VALU_DEP_1)
	v_lshrrev_b32_e32 v63, s49, v63
	v_and_b32_e32 v63, s48, v63
	s_delay_alu instid0(VALU_DEP_1)
	v_lshlrev_b32_e32 v63, 2, v63
	ds_load_b32 v63, v63
	s_wait_dscnt 0x0
	v_add_nc_u32_e32 v63, v63, v78
	global_store_b16 v63, v62, s[40:41] scale_offset
	s_wait_xcnt 0x0
	s_or_b32 exec_lo, exec_lo, s30
	v_cmp_lt_u32_e64 s30, v79, v141
	s_and_saveexec_b32 s31, s30
	s_cbranch_execz .LBB936_1139
.LBB936_1211:                           ;   in Loop: Header=BB936_1040 Depth=2
	ds_load_u16 v62, v94 offset:7680
	s_wait_dscnt 0x0
	v_and_b32_e32 v63, 0xffff, v62
	v_xor_b32_e32 v62, 0x7fff, v62
	s_delay_alu instid0(VALU_DEP_2) | instskip(NEXT) | instid1(VALU_DEP_1)
	v_lshrrev_b32_e32 v63, s49, v63
	v_and_b32_e32 v63, s48, v63
	s_delay_alu instid0(VALU_DEP_1)
	v_lshlrev_b32_e32 v63, 2, v63
	ds_load_b32 v63, v63
	s_wait_dscnt 0x0
	v_add_nc_u32_e32 v63, v63, v79
	global_store_b16 v63, v62, s[40:41] scale_offset
	s_wait_xcnt 0x0
	s_or_b32 exec_lo, exec_lo, s31
	v_cmp_lt_u32_e64 s31, v80, v141
	s_and_saveexec_b32 s33, s31
	s_cbranch_execz .LBB936_1140
.LBB936_1212:                           ;   in Loop: Header=BB936_1040 Depth=2
	ds_load_u16 v62, v94 offset:8192
	s_wait_dscnt 0x0
	v_and_b32_e32 v63, 0xffff, v62
	v_xor_b32_e32 v62, 0x7fff, v62
	s_delay_alu instid0(VALU_DEP_2) | instskip(NEXT) | instid1(VALU_DEP_1)
	v_lshrrev_b32_e32 v63, s49, v63
	v_and_b32_e32 v63, s48, v63
	s_delay_alu instid0(VALU_DEP_1)
	v_lshlrev_b32_e32 v63, 2, v63
	ds_load_b32 v63, v63
	s_wait_dscnt 0x0
	v_add_nc_u32_e32 v63, v63, v80
	global_store_b16 v63, v62, s[40:41] scale_offset
	s_wait_xcnt 0x0
	s_or_b32 exec_lo, exec_lo, s33
	v_cmp_lt_u32_e64 s33, v81, v141
	s_and_saveexec_b32 s60, s33
	s_cbranch_execnz .LBB936_1141
	s_branch .LBB936_1142
.LBB936_1213:                           ;   in Loop: Header=BB936_1040 Depth=2
	global_load_b64 v[60:61], v[62:63], off
	s_wait_xcnt 0x0
	s_or_b32 exec_lo, exec_lo, s34
	s_delay_alu instid0(SALU_CYCLE_1)
	s_mov_b32 s60, exec_lo
	v_cmpx_lt_u32_e64 v105, v141
	s_cbranch_execz .LBB936_1144
.LBB936_1214:                           ;   in Loop: Header=BB936_1040 Depth=2
	global_load_b64 v[58:59], v[62:63], off offset:256
	s_wait_xcnt 0x0
	s_or_b32 exec_lo, exec_lo, s60
	s_delay_alu instid0(SALU_CYCLE_1)
	s_mov_b32 s60, exec_lo
	v_cmpx_lt_u32_e64 v106, v141
	s_cbranch_execz .LBB936_1145
.LBB936_1215:                           ;   in Loop: Header=BB936_1040 Depth=2
	global_load_b64 v[56:57], v[62:63], off offset:512
	s_wait_xcnt 0x0
	s_or_b32 exec_lo, exec_lo, s60
	s_delay_alu instid0(SALU_CYCLE_1)
	s_mov_b32 s60, exec_lo
	v_cmpx_lt_u32_e64 v107, v141
	s_cbranch_execz .LBB936_1146
.LBB936_1216:                           ;   in Loop: Header=BB936_1040 Depth=2
	global_load_b64 v[54:55], v[62:63], off offset:768
	s_wait_xcnt 0x0
	s_or_b32 exec_lo, exec_lo, s60
	s_delay_alu instid0(SALU_CYCLE_1)
	s_mov_b32 s60, exec_lo
	v_cmpx_lt_u32_e64 v108, v141
	s_cbranch_execz .LBB936_1147
.LBB936_1217:                           ;   in Loop: Header=BB936_1040 Depth=2
	global_load_b64 v[52:53], v[62:63], off offset:1024
	s_wait_xcnt 0x0
	s_or_b32 exec_lo, exec_lo, s60
	s_delay_alu instid0(SALU_CYCLE_1)
	s_mov_b32 s60, exec_lo
	v_cmpx_lt_u32_e64 v109, v141
	s_cbranch_execz .LBB936_1148
.LBB936_1218:                           ;   in Loop: Header=BB936_1040 Depth=2
	global_load_b64 v[50:51], v[62:63], off offset:1280
	s_wait_xcnt 0x0
	s_or_b32 exec_lo, exec_lo, s60
	s_delay_alu instid0(SALU_CYCLE_1)
	s_mov_b32 s60, exec_lo
	v_cmpx_lt_u32_e64 v110, v141
	s_cbranch_execz .LBB936_1149
.LBB936_1219:                           ;   in Loop: Header=BB936_1040 Depth=2
	global_load_b64 v[48:49], v[62:63], off offset:1536
	s_wait_xcnt 0x0
	s_or_b32 exec_lo, exec_lo, s60
	s_delay_alu instid0(SALU_CYCLE_1)
	s_mov_b32 s60, exec_lo
	v_cmpx_lt_u32_e64 v111, v141
	s_cbranch_execz .LBB936_1150
.LBB936_1220:                           ;   in Loop: Header=BB936_1040 Depth=2
	global_load_b64 v[46:47], v[62:63], off offset:1792
	s_wait_xcnt 0x0
	s_or_b32 exec_lo, exec_lo, s60
	s_delay_alu instid0(SALU_CYCLE_1)
	s_mov_b32 s60, exec_lo
	v_cmpx_lt_u32_e64 v112, v141
	s_cbranch_execz .LBB936_1151
.LBB936_1221:                           ;   in Loop: Header=BB936_1040 Depth=2
	global_load_b64 v[44:45], v[62:63], off offset:2048
	s_wait_xcnt 0x0
	s_or_b32 exec_lo, exec_lo, s60
	s_delay_alu instid0(SALU_CYCLE_1)
	s_mov_b32 s60, exec_lo
	v_cmpx_lt_u32_e64 v113, v141
	s_cbranch_execz .LBB936_1152
.LBB936_1222:                           ;   in Loop: Header=BB936_1040 Depth=2
	global_load_b64 v[42:43], v[62:63], off offset:2304
	s_wait_xcnt 0x0
	s_or_b32 exec_lo, exec_lo, s60
	s_delay_alu instid0(SALU_CYCLE_1)
	s_mov_b32 s60, exec_lo
	v_cmpx_lt_u32_e64 v114, v141
	s_cbranch_execz .LBB936_1153
.LBB936_1223:                           ;   in Loop: Header=BB936_1040 Depth=2
	global_load_b64 v[40:41], v[62:63], off offset:2560
	s_wait_xcnt 0x0
	s_or_b32 exec_lo, exec_lo, s60
	s_delay_alu instid0(SALU_CYCLE_1)
	s_mov_b32 s60, exec_lo
	v_cmpx_lt_u32_e64 v115, v141
	s_cbranch_execz .LBB936_1154
.LBB936_1224:                           ;   in Loop: Header=BB936_1040 Depth=2
	global_load_b64 v[38:39], v[62:63], off offset:2816
	s_wait_xcnt 0x0
	s_or_b32 exec_lo, exec_lo, s60
	s_delay_alu instid0(SALU_CYCLE_1)
	s_mov_b32 s60, exec_lo
	v_cmpx_lt_u32_e64 v116, v141
	s_cbranch_execz .LBB936_1155
.LBB936_1225:                           ;   in Loop: Header=BB936_1040 Depth=2
	global_load_b64 v[36:37], v[62:63], off offset:3072
	s_wait_xcnt 0x0
	s_or_b32 exec_lo, exec_lo, s60
	s_delay_alu instid0(SALU_CYCLE_1)
	s_mov_b32 s60, exec_lo
	v_cmpx_lt_u32_e64 v117, v141
	s_cbranch_execz .LBB936_1156
.LBB936_1226:                           ;   in Loop: Header=BB936_1040 Depth=2
	global_load_b64 v[34:35], v[62:63], off offset:3328
	s_wait_xcnt 0x0
	s_or_b32 exec_lo, exec_lo, s60
	s_delay_alu instid0(SALU_CYCLE_1)
	s_mov_b32 s60, exec_lo
	v_cmpx_lt_u32_e64 v118, v141
	s_cbranch_execz .LBB936_1157
.LBB936_1227:                           ;   in Loop: Header=BB936_1040 Depth=2
	global_load_b64 v[32:33], v[62:63], off offset:3584
	s_wait_xcnt 0x0
	s_or_b32 exec_lo, exec_lo, s60
	s_delay_alu instid0(SALU_CYCLE_1)
	s_mov_b32 s60, exec_lo
	v_cmpx_lt_u32_e64 v119, v141
	s_cbranch_execz .LBB936_1158
.LBB936_1228:                           ;   in Loop: Header=BB936_1040 Depth=2
	global_load_b64 v[30:31], v[62:63], off offset:3840
	s_wait_xcnt 0x0
	s_or_b32 exec_lo, exec_lo, s60
	s_delay_alu instid0(SALU_CYCLE_1)
	s_mov_b32 s60, exec_lo
	v_cmpx_lt_u32_e64 v120, v141
	s_cbranch_execz .LBB936_1159
.LBB936_1229:                           ;   in Loop: Header=BB936_1040 Depth=2
	global_load_b64 v[28:29], v[62:63], off offset:4096
	s_wait_xcnt 0x0
	s_or_b32 exec_lo, exec_lo, s60
	s_and_saveexec_b32 s34, vcc_lo
	s_cbranch_execz .LBB936_1160
.LBB936_1230:                           ;   in Loop: Header=BB936_1040 Depth=2
	ds_load_u16 v62, v94 offset:512
	s_wait_dscnt 0x0
	v_lshrrev_b32_e32 v62, s49, v62
	s_delay_alu instid0(VALU_DEP_1)
	v_and_b32_e32 v139, s48, v62
	s_or_b32 exec_lo, exec_lo, s34
	s_and_saveexec_b32 s34, s17
	s_cbranch_execz .LBB936_1161
.LBB936_1231:                           ;   in Loop: Header=BB936_1040 Depth=2
	ds_load_u16 v62, v94 offset:1024
	s_wait_dscnt 0x0
	v_lshrrev_b32_e32 v62, s49, v62
	s_delay_alu instid0(VALU_DEP_1)
	v_and_b32_e32 v138, s48, v62
	s_or_b32 exec_lo, exec_lo, s34
	s_and_saveexec_b32 s34, s18
	s_cbranch_execz .LBB936_1162
.LBB936_1232:                           ;   in Loop: Header=BB936_1040 Depth=2
	ds_load_u16 v62, v94 offset:1536
	s_wait_dscnt 0x0
	v_lshrrev_b32_e32 v62, s49, v62
	s_delay_alu instid0(VALU_DEP_1)
	v_and_b32_e32 v136, s48, v62
	s_or_b32 exec_lo, exec_lo, s34
	s_and_saveexec_b32 s34, s19
	s_cbranch_execz .LBB936_1163
.LBB936_1233:                           ;   in Loop: Header=BB936_1040 Depth=2
	ds_load_u16 v62, v94 offset:2048
	s_wait_dscnt 0x0
	v_lshrrev_b32_e32 v62, s49, v62
	s_delay_alu instid0(VALU_DEP_1)
	v_and_b32_e32 v135, s48, v62
	s_or_b32 exec_lo, exec_lo, s34
	s_and_saveexec_b32 s34, s20
	s_cbranch_execz .LBB936_1164
.LBB936_1234:                           ;   in Loop: Header=BB936_1040 Depth=2
	ds_load_u16 v62, v94 offset:2560
	s_wait_dscnt 0x0
	v_lshrrev_b32_e32 v62, s49, v62
	s_delay_alu instid0(VALU_DEP_1)
	v_and_b32_e32 v134, s48, v62
	s_or_b32 exec_lo, exec_lo, s34
	s_and_saveexec_b32 s34, s21
	s_cbranch_execz .LBB936_1165
.LBB936_1235:                           ;   in Loop: Header=BB936_1040 Depth=2
	ds_load_u16 v62, v94 offset:3072
	s_wait_dscnt 0x0
	v_lshrrev_b32_e32 v62, s49, v62
	s_delay_alu instid0(VALU_DEP_1)
	v_and_b32_e32 v133, s48, v62
	s_or_b32 exec_lo, exec_lo, s34
	s_and_saveexec_b32 s34, s22
	s_cbranch_execz .LBB936_1166
.LBB936_1236:                           ;   in Loop: Header=BB936_1040 Depth=2
	ds_load_u16 v62, v94 offset:3584
	s_wait_dscnt 0x0
	v_lshrrev_b32_e32 v62, s49, v62
	s_delay_alu instid0(VALU_DEP_1)
	v_and_b32_e32 v132, s48, v62
	s_or_b32 exec_lo, exec_lo, s34
	s_and_saveexec_b32 s34, s23
	s_cbranch_execz .LBB936_1167
.LBB936_1237:                           ;   in Loop: Header=BB936_1040 Depth=2
	ds_load_u16 v62, v94 offset:4096
	s_wait_dscnt 0x0
	v_lshrrev_b32_e32 v62, s49, v62
	s_delay_alu instid0(VALU_DEP_1)
	v_and_b32_e32 v131, s48, v62
	s_or_b32 exec_lo, exec_lo, s34
	s_and_saveexec_b32 s34, s24
	s_cbranch_execz .LBB936_1168
.LBB936_1238:                           ;   in Loop: Header=BB936_1040 Depth=2
	ds_load_u16 v62, v94 offset:4608
	s_wait_dscnt 0x0
	v_lshrrev_b32_e32 v62, s49, v62
	s_delay_alu instid0(VALU_DEP_1)
	v_and_b32_e32 v130, s48, v62
	s_or_b32 exec_lo, exec_lo, s34
	s_and_saveexec_b32 s34, s25
	s_cbranch_execz .LBB936_1169
.LBB936_1239:                           ;   in Loop: Header=BB936_1040 Depth=2
	ds_load_u16 v62, v94 offset:5120
	s_wait_dscnt 0x0
	v_lshrrev_b32_e32 v62, s49, v62
	s_delay_alu instid0(VALU_DEP_1)
	v_and_b32_e32 v129, s48, v62
	s_or_b32 exec_lo, exec_lo, s34
	s_and_saveexec_b32 s34, s26
	s_cbranch_execz .LBB936_1170
.LBB936_1240:                           ;   in Loop: Header=BB936_1040 Depth=2
	ds_load_u16 v62, v94 offset:5632
	s_wait_dscnt 0x0
	v_lshrrev_b32_e32 v62, s49, v62
	s_delay_alu instid0(VALU_DEP_1)
	v_and_b32_e32 v128, s48, v62
	s_or_b32 exec_lo, exec_lo, s34
	s_and_saveexec_b32 s34, s27
	s_cbranch_execz .LBB936_1171
.LBB936_1241:                           ;   in Loop: Header=BB936_1040 Depth=2
	ds_load_u16 v62, v94 offset:6144
	s_wait_dscnt 0x0
	v_lshrrev_b32_e32 v62, s49, v62
	s_delay_alu instid0(VALU_DEP_1)
	v_and_b32_e32 v127, s48, v62
	s_or_b32 exec_lo, exec_lo, s34
	s_and_saveexec_b32 s34, s28
	s_cbranch_execz .LBB936_1172
.LBB936_1242:                           ;   in Loop: Header=BB936_1040 Depth=2
	ds_load_u16 v62, v94 offset:6656
	s_wait_dscnt 0x0
	v_lshrrev_b32_e32 v62, s49, v62
	s_delay_alu instid0(VALU_DEP_1)
	v_and_b32_e32 v126, s48, v62
	s_or_b32 exec_lo, exec_lo, s34
	s_and_saveexec_b32 s34, s29
	s_cbranch_execz .LBB936_1173
.LBB936_1243:                           ;   in Loop: Header=BB936_1040 Depth=2
	ds_load_u16 v62, v94 offset:7168
	s_wait_dscnt 0x0
	v_lshrrev_b32_e32 v62, s49, v62
	s_delay_alu instid0(VALU_DEP_1)
	v_and_b32_e32 v125, s48, v62
	s_or_b32 exec_lo, exec_lo, s34
	s_and_saveexec_b32 s34, s30
	s_cbranch_execz .LBB936_1174
.LBB936_1244:                           ;   in Loop: Header=BB936_1040 Depth=2
	ds_load_u16 v62, v94 offset:7680
	s_wait_dscnt 0x0
	v_lshrrev_b32_e32 v62, s49, v62
	s_delay_alu instid0(VALU_DEP_1)
	v_and_b32_e32 v124, s48, v62
	s_or_b32 exec_lo, exec_lo, s34
	s_and_saveexec_b32 s34, s31
	s_cbranch_execz .LBB936_1175
.LBB936_1245:                           ;   in Loop: Header=BB936_1040 Depth=2
	ds_load_u16 v62, v94 offset:8192
	s_wait_dscnt 0x0
	v_lshrrev_b32_e32 v62, s49, v62
	s_delay_alu instid0(VALU_DEP_1)
	v_and_b32_e32 v123, s48, v62
	s_or_b32 exec_lo, exec_lo, s34
	s_and_saveexec_b32 s34, s33
	s_cbranch_execnz .LBB936_1176
	s_branch .LBB936_1177
.LBB936_1246:                           ;   in Loop: Header=BB936_1040 Depth=2
	v_lshlrev_b32_e32 v63, 2, v139
	ds_load_b32 v63, v63
	ds_load_b64 v[64:65], v62 offset:512
	s_wait_dscnt 0x1
	v_add_nc_u32_e32 v63, v63, v2
	s_wait_dscnt 0x0
	global_store_b64 v63, v[64:65], s[46:47] scale_offset
	s_wait_xcnt 0x0
	s_or_b32 exec_lo, exec_lo, s34
	s_and_saveexec_b32 s34, s17
	s_cbranch_execz .LBB936_1179
.LBB936_1247:                           ;   in Loop: Header=BB936_1040 Depth=2
	v_lshlrev_b32_e32 v63, 2, v138
	ds_load_b32 v63, v63
	ds_load_b64 v[64:65], v62 offset:2560
	s_wait_dscnt 0x1
	v_add_nc_u32_e32 v63, v63, v66
	s_wait_dscnt 0x0
	global_store_b64 v63, v[64:65], s[46:47] scale_offset
	s_wait_xcnt 0x0
	s_or_b32 exec_lo, exec_lo, s34
	s_and_saveexec_b32 s17, s18
	s_cbranch_execz .LBB936_1180
.LBB936_1248:                           ;   in Loop: Header=BB936_1040 Depth=2
	v_lshlrev_b32_e32 v63, 2, v136
	ds_load_b32 v63, v63
	ds_load_b64 v[64:65], v62 offset:4608
	s_wait_dscnt 0x1
	v_add_nc_u32_e32 v63, v63, v67
	s_wait_dscnt 0x0
	global_store_b64 v63, v[64:65], s[46:47] scale_offset
	s_wait_xcnt 0x0
	s_or_b32 exec_lo, exec_lo, s17
	s_and_saveexec_b32 s17, s19
	s_cbranch_execz .LBB936_1181
.LBB936_1249:                           ;   in Loop: Header=BB936_1040 Depth=2
	v_lshlrev_b32_e32 v63, 2, v135
	ds_load_b32 v63, v63
	ds_load_b64 v[64:65], v62 offset:6656
	s_wait_dscnt 0x1
	v_add_nc_u32_e32 v63, v63, v68
	s_wait_dscnt 0x0
	global_store_b64 v63, v[64:65], s[46:47] scale_offset
	s_wait_xcnt 0x0
	s_or_b32 exec_lo, exec_lo, s17
	s_and_saveexec_b32 s17, s20
	s_cbranch_execz .LBB936_1182
.LBB936_1250:                           ;   in Loop: Header=BB936_1040 Depth=2
	v_lshlrev_b32_e32 v63, 2, v134
	ds_load_b32 v63, v63
	ds_load_b64 v[64:65], v62 offset:8704
	s_wait_dscnt 0x1
	v_add_nc_u32_e32 v63, v63, v69
	s_wait_dscnt 0x0
	global_store_b64 v63, v[64:65], s[46:47] scale_offset
	s_wait_xcnt 0x0
	s_or_b32 exec_lo, exec_lo, s17
	s_and_saveexec_b32 s17, s21
	s_cbranch_execz .LBB936_1183
.LBB936_1251:                           ;   in Loop: Header=BB936_1040 Depth=2
	v_lshlrev_b32_e32 v63, 2, v133
	ds_load_b32 v63, v63
	ds_load_b64 v[64:65], v62 offset:10752
	s_wait_dscnt 0x1
	v_add_nc_u32_e32 v63, v63, v70
	s_wait_dscnt 0x0
	global_store_b64 v63, v[64:65], s[46:47] scale_offset
	s_wait_xcnt 0x0
	s_or_b32 exec_lo, exec_lo, s17
	s_and_saveexec_b32 s17, s22
	s_cbranch_execz .LBB936_1184
.LBB936_1252:                           ;   in Loop: Header=BB936_1040 Depth=2
	v_lshlrev_b32_e32 v63, 2, v132
	ds_load_b32 v63, v63
	ds_load_b64 v[64:65], v62 offset:12800
	s_wait_dscnt 0x1
	v_add_nc_u32_e32 v63, v63, v71
	s_wait_dscnt 0x0
	global_store_b64 v63, v[64:65], s[46:47] scale_offset
	s_wait_xcnt 0x0
	s_or_b32 exec_lo, exec_lo, s17
	s_and_saveexec_b32 s17, s23
	s_cbranch_execz .LBB936_1185
.LBB936_1253:                           ;   in Loop: Header=BB936_1040 Depth=2
	v_lshlrev_b32_e32 v63, 2, v131
	ds_load_b32 v63, v63
	ds_load_b64 v[64:65], v62 offset:14848
	s_wait_dscnt 0x1
	v_add_nc_u32_e32 v63, v63, v72
	s_wait_dscnt 0x0
	global_store_b64 v63, v[64:65], s[46:47] scale_offset
	s_wait_xcnt 0x0
	s_or_b32 exec_lo, exec_lo, s17
	s_and_saveexec_b32 s17, s24
	s_cbranch_execz .LBB936_1186
.LBB936_1254:                           ;   in Loop: Header=BB936_1040 Depth=2
	v_lshlrev_b32_e32 v63, 2, v130
	ds_load_b32 v63, v63
	ds_load_b64 v[64:65], v62 offset:16896
	s_wait_dscnt 0x1
	v_add_nc_u32_e32 v63, v63, v73
	s_wait_dscnt 0x0
	global_store_b64 v63, v[64:65], s[46:47] scale_offset
	s_wait_xcnt 0x0
	s_or_b32 exec_lo, exec_lo, s17
	s_and_saveexec_b32 s17, s25
	s_cbranch_execz .LBB936_1187
.LBB936_1255:                           ;   in Loop: Header=BB936_1040 Depth=2
	v_lshlrev_b32_e32 v63, 2, v129
	ds_load_b32 v63, v63
	ds_load_b64 v[64:65], v62 offset:18944
	s_wait_dscnt 0x1
	v_add_nc_u32_e32 v63, v63, v74
	s_wait_dscnt 0x0
	global_store_b64 v63, v[64:65], s[46:47] scale_offset
	s_wait_xcnt 0x0
	s_or_b32 exec_lo, exec_lo, s17
	s_and_saveexec_b32 s17, s26
	s_cbranch_execz .LBB936_1188
.LBB936_1256:                           ;   in Loop: Header=BB936_1040 Depth=2
	v_lshlrev_b32_e32 v63, 2, v128
	ds_load_b32 v63, v63
	ds_load_b64 v[64:65], v62 offset:20992
	s_wait_dscnt 0x1
	v_add_nc_u32_e32 v63, v63, v75
	s_wait_dscnt 0x0
	global_store_b64 v63, v[64:65], s[46:47] scale_offset
	s_wait_xcnt 0x0
	s_or_b32 exec_lo, exec_lo, s17
	s_and_saveexec_b32 s17, s27
	s_cbranch_execz .LBB936_1189
.LBB936_1257:                           ;   in Loop: Header=BB936_1040 Depth=2
	v_lshlrev_b32_e32 v63, 2, v127
	ds_load_b32 v63, v63
	ds_load_b64 v[64:65], v62 offset:23040
	s_wait_dscnt 0x1
	v_add_nc_u32_e32 v63, v63, v76
	s_wait_dscnt 0x0
	global_store_b64 v63, v[64:65], s[46:47] scale_offset
	s_wait_xcnt 0x0
	s_or_b32 exec_lo, exec_lo, s17
	s_and_saveexec_b32 s17, s28
	s_cbranch_execz .LBB936_1190
.LBB936_1258:                           ;   in Loop: Header=BB936_1040 Depth=2
	v_lshlrev_b32_e32 v63, 2, v126
	ds_load_b32 v63, v63
	ds_load_b64 v[64:65], v62 offset:25088
	s_wait_dscnt 0x1
	v_add_nc_u32_e32 v63, v63, v77
	s_wait_dscnt 0x0
	global_store_b64 v63, v[64:65], s[46:47] scale_offset
	s_wait_xcnt 0x0
	s_or_b32 exec_lo, exec_lo, s17
	s_and_saveexec_b32 s17, s29
	s_cbranch_execz .LBB936_1191
.LBB936_1259:                           ;   in Loop: Header=BB936_1040 Depth=2
	v_lshlrev_b32_e32 v63, 2, v125
	ds_load_b32 v63, v63
	ds_load_b64 v[64:65], v62 offset:27136
	s_wait_dscnt 0x1
	v_add_nc_u32_e32 v63, v63, v78
	s_wait_dscnt 0x0
	global_store_b64 v63, v[64:65], s[46:47] scale_offset
	s_wait_xcnt 0x0
	s_or_b32 exec_lo, exec_lo, s17
	s_and_saveexec_b32 s17, s30
	s_cbranch_execz .LBB936_1192
.LBB936_1260:                           ;   in Loop: Header=BB936_1040 Depth=2
	v_lshlrev_b32_e32 v63, 2, v124
	ds_load_b32 v63, v63
	ds_load_b64 v[64:65], v62 offset:29184
	s_wait_dscnt 0x1
	v_add_nc_u32_e32 v63, v63, v79
	s_wait_dscnt 0x0
	global_store_b64 v63, v[64:65], s[46:47] scale_offset
	s_wait_xcnt 0x0
	s_or_b32 exec_lo, exec_lo, s17
	s_and_saveexec_b32 s17, s31
	s_cbranch_execz .LBB936_1193
.LBB936_1261:                           ;   in Loop: Header=BB936_1040 Depth=2
	v_lshlrev_b32_e32 v63, 2, v123
	ds_load_b32 v63, v63
	ds_load_b64 v[64:65], v62 offset:31232
	s_wait_dscnt 0x1
	v_add_nc_u32_e32 v63, v63, v80
	s_wait_dscnt 0x0
	global_store_b64 v63, v[64:65], s[46:47] scale_offset
	s_wait_xcnt 0x0
	s_or_b32 exec_lo, exec_lo, s17
	s_and_saveexec_b32 s17, s33
	s_cbranch_execnz .LBB936_1194
	s_branch .LBB936_1195
.LBB936_1262:
	s_endpgm
	.section	.rodata,"a",@progbits
	.p2align	6, 0x0
	.amdhsa_kernel _ZN7rocprim17ROCPRIM_400000_NS6detail17trampoline_kernelINS0_14default_configENS1_36segmented_radix_sort_config_selectorIslEEZNS1_25segmented_radix_sort_implIS3_Lb1EPKsPsPKlPlN2at6native12_GLOBAL__N_18offset_tEEE10hipError_tPvRmT1_PNSt15iterator_traitsISK_E10value_typeET2_T3_PNSL_ISQ_E10value_typeET4_jRbjT5_SW_jjP12ihipStream_tbEUlT_E2_NS1_11comp_targetILNS1_3genE0ELNS1_11target_archE4294967295ELNS1_3gpuE0ELNS1_3repE0EEENS1_30default_config_static_selectorELNS0_4arch9wavefront6targetE0EEEvSK_
		.amdhsa_group_segment_fixed_size 35344
		.amdhsa_private_segment_fixed_size 0
		.amdhsa_kernarg_size 336
		.amdhsa_user_sgpr_count 4
		.amdhsa_user_sgpr_dispatch_ptr 0
		.amdhsa_user_sgpr_queue_ptr 1
		.amdhsa_user_sgpr_kernarg_segment_ptr 1
		.amdhsa_user_sgpr_dispatch_id 0
		.amdhsa_user_sgpr_kernarg_preload_length 0
		.amdhsa_user_sgpr_kernarg_preload_offset 0
		.amdhsa_user_sgpr_private_segment_size 0
		.amdhsa_wavefront_size32 1
		.amdhsa_uses_dynamic_stack 0
		.amdhsa_enable_private_segment 0
		.amdhsa_system_sgpr_workgroup_id_x 1
		.amdhsa_system_sgpr_workgroup_id_y 1
		.amdhsa_system_sgpr_workgroup_id_z 0
		.amdhsa_system_sgpr_workgroup_info 0
		.amdhsa_system_vgpr_workitem_id 2
		.amdhsa_next_free_vgpr 304
		.amdhsa_next_free_sgpr 61
		.amdhsa_named_barrier_count 0
		.amdhsa_reserve_vcc 1
		.amdhsa_float_round_mode_32 0
		.amdhsa_float_round_mode_16_64 0
		.amdhsa_float_denorm_mode_32 3
		.amdhsa_float_denorm_mode_16_64 3
		.amdhsa_fp16_overflow 0
		.amdhsa_memory_ordered 1
		.amdhsa_forward_progress 1
		.amdhsa_inst_pref_size 255
		.amdhsa_round_robin_scheduling 0
		.amdhsa_exception_fp_ieee_invalid_op 0
		.amdhsa_exception_fp_denorm_src 0
		.amdhsa_exception_fp_ieee_div_zero 0
		.amdhsa_exception_fp_ieee_overflow 0
		.amdhsa_exception_fp_ieee_underflow 0
		.amdhsa_exception_fp_ieee_inexact 0
		.amdhsa_exception_int_div_zero 0
	.end_amdhsa_kernel
	.section	.text._ZN7rocprim17ROCPRIM_400000_NS6detail17trampoline_kernelINS0_14default_configENS1_36segmented_radix_sort_config_selectorIslEEZNS1_25segmented_radix_sort_implIS3_Lb1EPKsPsPKlPlN2at6native12_GLOBAL__N_18offset_tEEE10hipError_tPvRmT1_PNSt15iterator_traitsISK_E10value_typeET2_T3_PNSL_ISQ_E10value_typeET4_jRbjT5_SW_jjP12ihipStream_tbEUlT_E2_NS1_11comp_targetILNS1_3genE0ELNS1_11target_archE4294967295ELNS1_3gpuE0ELNS1_3repE0EEENS1_30default_config_static_selectorELNS0_4arch9wavefront6targetE0EEEvSK_,"axG",@progbits,_ZN7rocprim17ROCPRIM_400000_NS6detail17trampoline_kernelINS0_14default_configENS1_36segmented_radix_sort_config_selectorIslEEZNS1_25segmented_radix_sort_implIS3_Lb1EPKsPsPKlPlN2at6native12_GLOBAL__N_18offset_tEEE10hipError_tPvRmT1_PNSt15iterator_traitsISK_E10value_typeET2_T3_PNSL_ISQ_E10value_typeET4_jRbjT5_SW_jjP12ihipStream_tbEUlT_E2_NS1_11comp_targetILNS1_3genE0ELNS1_11target_archE4294967295ELNS1_3gpuE0ELNS1_3repE0EEENS1_30default_config_static_selectorELNS0_4arch9wavefront6targetE0EEEvSK_,comdat
.Lfunc_end936:
	.size	_ZN7rocprim17ROCPRIM_400000_NS6detail17trampoline_kernelINS0_14default_configENS1_36segmented_radix_sort_config_selectorIslEEZNS1_25segmented_radix_sort_implIS3_Lb1EPKsPsPKlPlN2at6native12_GLOBAL__N_18offset_tEEE10hipError_tPvRmT1_PNSt15iterator_traitsISK_E10value_typeET2_T3_PNSL_ISQ_E10value_typeET4_jRbjT5_SW_jjP12ihipStream_tbEUlT_E2_NS1_11comp_targetILNS1_3genE0ELNS1_11target_archE4294967295ELNS1_3gpuE0ELNS1_3repE0EEENS1_30default_config_static_selectorELNS0_4arch9wavefront6targetE0EEEvSK_, .Lfunc_end936-_ZN7rocprim17ROCPRIM_400000_NS6detail17trampoline_kernelINS0_14default_configENS1_36segmented_radix_sort_config_selectorIslEEZNS1_25segmented_radix_sort_implIS3_Lb1EPKsPsPKlPlN2at6native12_GLOBAL__N_18offset_tEEE10hipError_tPvRmT1_PNSt15iterator_traitsISK_E10value_typeET2_T3_PNSL_ISQ_E10value_typeET4_jRbjT5_SW_jjP12ihipStream_tbEUlT_E2_NS1_11comp_targetILNS1_3genE0ELNS1_11target_archE4294967295ELNS1_3gpuE0ELNS1_3repE0EEENS1_30default_config_static_selectorELNS0_4arch9wavefront6targetE0EEEvSK_
                                        ; -- End function
	.set _ZN7rocprim17ROCPRIM_400000_NS6detail17trampoline_kernelINS0_14default_configENS1_36segmented_radix_sort_config_selectorIslEEZNS1_25segmented_radix_sort_implIS3_Lb1EPKsPsPKlPlN2at6native12_GLOBAL__N_18offset_tEEE10hipError_tPvRmT1_PNSt15iterator_traitsISK_E10value_typeET2_T3_PNSL_ISQ_E10value_typeET4_jRbjT5_SW_jjP12ihipStream_tbEUlT_E2_NS1_11comp_targetILNS1_3genE0ELNS1_11target_archE4294967295ELNS1_3gpuE0ELNS1_3repE0EEENS1_30default_config_static_selectorELNS0_4arch9wavefront6targetE0EEEvSK_.num_vgpr, max(213, .L_ZN7rocprim17ROCPRIM_400000_NS6detail26segmented_warp_sort_helperINS1_20WarpSortHelperConfigILj32ELj4ELj256EEEslLi256ELb1EvE4sortIPKsPsPKlPlEEvT_T0_T1_T2_jjjjRNS5_12storage_typeE.num_vgpr, .L_ZN7rocprim17ROCPRIM_400000_NS6detail40segmented_radix_sort_single_block_helperIslLj256ELj17ELb1EE4sortIPKsPsPKlPlEEbT_T0_T1_T2_jjjjRNS3_12storage_typeE.num_vgpr)
	.set _ZN7rocprim17ROCPRIM_400000_NS6detail17trampoline_kernelINS0_14default_configENS1_36segmented_radix_sort_config_selectorIslEEZNS1_25segmented_radix_sort_implIS3_Lb1EPKsPsPKlPlN2at6native12_GLOBAL__N_18offset_tEEE10hipError_tPvRmT1_PNSt15iterator_traitsISK_E10value_typeET2_T3_PNSL_ISQ_E10value_typeET4_jRbjT5_SW_jjP12ihipStream_tbEUlT_E2_NS1_11comp_targetILNS1_3genE0ELNS1_11target_archE4294967295ELNS1_3gpuE0ELNS1_3repE0EEENS1_30default_config_static_selectorELNS0_4arch9wavefront6targetE0EEEvSK_.num_agpr, max(0, .L_ZN7rocprim17ROCPRIM_400000_NS6detail26segmented_warp_sort_helperINS1_20WarpSortHelperConfigILj32ELj4ELj256EEEslLi256ELb1EvE4sortIPKsPsPKlPlEEvT_T0_T1_T2_jjjjRNS5_12storage_typeE.num_agpr, .L_ZN7rocprim17ROCPRIM_400000_NS6detail40segmented_radix_sort_single_block_helperIslLj256ELj17ELb1EE4sortIPKsPsPKlPlEEbT_T0_T1_T2_jjjjRNS3_12storage_typeE.num_agpr)
	.set _ZN7rocprim17ROCPRIM_400000_NS6detail17trampoline_kernelINS0_14default_configENS1_36segmented_radix_sort_config_selectorIslEEZNS1_25segmented_radix_sort_implIS3_Lb1EPKsPsPKlPlN2at6native12_GLOBAL__N_18offset_tEEE10hipError_tPvRmT1_PNSt15iterator_traitsISK_E10value_typeET2_T3_PNSL_ISQ_E10value_typeET4_jRbjT5_SW_jjP12ihipStream_tbEUlT_E2_NS1_11comp_targetILNS1_3genE0ELNS1_11target_archE4294967295ELNS1_3gpuE0ELNS1_3repE0EEENS1_30default_config_static_selectorELNS0_4arch9wavefront6targetE0EEEvSK_.numbered_sgpr, max(61, .L_ZN7rocprim17ROCPRIM_400000_NS6detail26segmented_warp_sort_helperINS1_20WarpSortHelperConfigILj32ELj4ELj256EEEslLi256ELb1EvE4sortIPKsPsPKlPlEEvT_T0_T1_T2_jjjjRNS5_12storage_typeE.numbered_sgpr, .L_ZN7rocprim17ROCPRIM_400000_NS6detail40segmented_radix_sort_single_block_helperIslLj256ELj17ELb1EE4sortIPKsPsPKlPlEEbT_T0_T1_T2_jjjjRNS3_12storage_typeE.numbered_sgpr)
	.set _ZN7rocprim17ROCPRIM_400000_NS6detail17trampoline_kernelINS0_14default_configENS1_36segmented_radix_sort_config_selectorIslEEZNS1_25segmented_radix_sort_implIS3_Lb1EPKsPsPKlPlN2at6native12_GLOBAL__N_18offset_tEEE10hipError_tPvRmT1_PNSt15iterator_traitsISK_E10value_typeET2_T3_PNSL_ISQ_E10value_typeET4_jRbjT5_SW_jjP12ihipStream_tbEUlT_E2_NS1_11comp_targetILNS1_3genE0ELNS1_11target_archE4294967295ELNS1_3gpuE0ELNS1_3repE0EEENS1_30default_config_static_selectorELNS0_4arch9wavefront6targetE0EEEvSK_.num_named_barrier, max(0, .L_ZN7rocprim17ROCPRIM_400000_NS6detail26segmented_warp_sort_helperINS1_20WarpSortHelperConfigILj32ELj4ELj256EEEslLi256ELb1EvE4sortIPKsPsPKlPlEEvT_T0_T1_T2_jjjjRNS5_12storage_typeE.num_named_barrier, .L_ZN7rocprim17ROCPRIM_400000_NS6detail40segmented_radix_sort_single_block_helperIslLj256ELj17ELb1EE4sortIPKsPsPKlPlEEbT_T0_T1_T2_jjjjRNS3_12storage_typeE.num_named_barrier)
	.set _ZN7rocprim17ROCPRIM_400000_NS6detail17trampoline_kernelINS0_14default_configENS1_36segmented_radix_sort_config_selectorIslEEZNS1_25segmented_radix_sort_implIS3_Lb1EPKsPsPKlPlN2at6native12_GLOBAL__N_18offset_tEEE10hipError_tPvRmT1_PNSt15iterator_traitsISK_E10value_typeET2_T3_PNSL_ISQ_E10value_typeET4_jRbjT5_SW_jjP12ihipStream_tbEUlT_E2_NS1_11comp_targetILNS1_3genE0ELNS1_11target_archE4294967295ELNS1_3gpuE0ELNS1_3repE0EEENS1_30default_config_static_selectorELNS0_4arch9wavefront6targetE0EEEvSK_.private_seg_size, 0+max(.L_ZN7rocprim17ROCPRIM_400000_NS6detail26segmented_warp_sort_helperINS1_20WarpSortHelperConfigILj32ELj4ELj256EEEslLi256ELb1EvE4sortIPKsPsPKlPlEEvT_T0_T1_T2_jjjjRNS5_12storage_typeE.private_seg_size, .L_ZN7rocprim17ROCPRIM_400000_NS6detail40segmented_radix_sort_single_block_helperIslLj256ELj17ELb1EE4sortIPKsPsPKlPlEEbT_T0_T1_T2_jjjjRNS3_12storage_typeE.private_seg_size)
	.set _ZN7rocprim17ROCPRIM_400000_NS6detail17trampoline_kernelINS0_14default_configENS1_36segmented_radix_sort_config_selectorIslEEZNS1_25segmented_radix_sort_implIS3_Lb1EPKsPsPKlPlN2at6native12_GLOBAL__N_18offset_tEEE10hipError_tPvRmT1_PNSt15iterator_traitsISK_E10value_typeET2_T3_PNSL_ISQ_E10value_typeET4_jRbjT5_SW_jjP12ihipStream_tbEUlT_E2_NS1_11comp_targetILNS1_3genE0ELNS1_11target_archE4294967295ELNS1_3gpuE0ELNS1_3repE0EEENS1_30default_config_static_selectorELNS0_4arch9wavefront6targetE0EEEvSK_.uses_vcc, or(1, .L_ZN7rocprim17ROCPRIM_400000_NS6detail26segmented_warp_sort_helperINS1_20WarpSortHelperConfigILj32ELj4ELj256EEEslLi256ELb1EvE4sortIPKsPsPKlPlEEvT_T0_T1_T2_jjjjRNS5_12storage_typeE.uses_vcc, .L_ZN7rocprim17ROCPRIM_400000_NS6detail40segmented_radix_sort_single_block_helperIslLj256ELj17ELb1EE4sortIPKsPsPKlPlEEbT_T0_T1_T2_jjjjRNS3_12storage_typeE.uses_vcc)
	.set _ZN7rocprim17ROCPRIM_400000_NS6detail17trampoline_kernelINS0_14default_configENS1_36segmented_radix_sort_config_selectorIslEEZNS1_25segmented_radix_sort_implIS3_Lb1EPKsPsPKlPlN2at6native12_GLOBAL__N_18offset_tEEE10hipError_tPvRmT1_PNSt15iterator_traitsISK_E10value_typeET2_T3_PNSL_ISQ_E10value_typeET4_jRbjT5_SW_jjP12ihipStream_tbEUlT_E2_NS1_11comp_targetILNS1_3genE0ELNS1_11target_archE4294967295ELNS1_3gpuE0ELNS1_3repE0EEENS1_30default_config_static_selectorELNS0_4arch9wavefront6targetE0EEEvSK_.uses_flat_scratch, or(0, .L_ZN7rocprim17ROCPRIM_400000_NS6detail26segmented_warp_sort_helperINS1_20WarpSortHelperConfigILj32ELj4ELj256EEEslLi256ELb1EvE4sortIPKsPsPKlPlEEvT_T0_T1_T2_jjjjRNS5_12storage_typeE.uses_flat_scratch, .L_ZN7rocprim17ROCPRIM_400000_NS6detail40segmented_radix_sort_single_block_helperIslLj256ELj17ELb1EE4sortIPKsPsPKlPlEEbT_T0_T1_T2_jjjjRNS3_12storage_typeE.uses_flat_scratch)
	.set _ZN7rocprim17ROCPRIM_400000_NS6detail17trampoline_kernelINS0_14default_configENS1_36segmented_radix_sort_config_selectorIslEEZNS1_25segmented_radix_sort_implIS3_Lb1EPKsPsPKlPlN2at6native12_GLOBAL__N_18offset_tEEE10hipError_tPvRmT1_PNSt15iterator_traitsISK_E10value_typeET2_T3_PNSL_ISQ_E10value_typeET4_jRbjT5_SW_jjP12ihipStream_tbEUlT_E2_NS1_11comp_targetILNS1_3genE0ELNS1_11target_archE4294967295ELNS1_3gpuE0ELNS1_3repE0EEENS1_30default_config_static_selectorELNS0_4arch9wavefront6targetE0EEEvSK_.has_dyn_sized_stack, or(0, .L_ZN7rocprim17ROCPRIM_400000_NS6detail26segmented_warp_sort_helperINS1_20WarpSortHelperConfigILj32ELj4ELj256EEEslLi256ELb1EvE4sortIPKsPsPKlPlEEvT_T0_T1_T2_jjjjRNS5_12storage_typeE.has_dyn_sized_stack, .L_ZN7rocprim17ROCPRIM_400000_NS6detail40segmented_radix_sort_single_block_helperIslLj256ELj17ELb1EE4sortIPKsPsPKlPlEEbT_T0_T1_T2_jjjjRNS3_12storage_typeE.has_dyn_sized_stack)
	.set _ZN7rocprim17ROCPRIM_400000_NS6detail17trampoline_kernelINS0_14default_configENS1_36segmented_radix_sort_config_selectorIslEEZNS1_25segmented_radix_sort_implIS3_Lb1EPKsPsPKlPlN2at6native12_GLOBAL__N_18offset_tEEE10hipError_tPvRmT1_PNSt15iterator_traitsISK_E10value_typeET2_T3_PNSL_ISQ_E10value_typeET4_jRbjT5_SW_jjP12ihipStream_tbEUlT_E2_NS1_11comp_targetILNS1_3genE0ELNS1_11target_archE4294967295ELNS1_3gpuE0ELNS1_3repE0EEENS1_30default_config_static_selectorELNS0_4arch9wavefront6targetE0EEEvSK_.has_recursion, or(0, .L_ZN7rocprim17ROCPRIM_400000_NS6detail26segmented_warp_sort_helperINS1_20WarpSortHelperConfigILj32ELj4ELj256EEEslLi256ELb1EvE4sortIPKsPsPKlPlEEvT_T0_T1_T2_jjjjRNS5_12storage_typeE.has_recursion, .L_ZN7rocprim17ROCPRIM_400000_NS6detail40segmented_radix_sort_single_block_helperIslLj256ELj17ELb1EE4sortIPKsPsPKlPlEEbT_T0_T1_T2_jjjjRNS3_12storage_typeE.has_recursion)
	.set _ZN7rocprim17ROCPRIM_400000_NS6detail17trampoline_kernelINS0_14default_configENS1_36segmented_radix_sort_config_selectorIslEEZNS1_25segmented_radix_sort_implIS3_Lb1EPKsPsPKlPlN2at6native12_GLOBAL__N_18offset_tEEE10hipError_tPvRmT1_PNSt15iterator_traitsISK_E10value_typeET2_T3_PNSL_ISQ_E10value_typeET4_jRbjT5_SW_jjP12ihipStream_tbEUlT_E2_NS1_11comp_targetILNS1_3genE0ELNS1_11target_archE4294967295ELNS1_3gpuE0ELNS1_3repE0EEENS1_30default_config_static_selectorELNS0_4arch9wavefront6targetE0EEEvSK_.has_indirect_call, or(0, .L_ZN7rocprim17ROCPRIM_400000_NS6detail26segmented_warp_sort_helperINS1_20WarpSortHelperConfigILj32ELj4ELj256EEEslLi256ELb1EvE4sortIPKsPsPKlPlEEvT_T0_T1_T2_jjjjRNS5_12storage_typeE.has_indirect_call, .L_ZN7rocprim17ROCPRIM_400000_NS6detail40segmented_radix_sort_single_block_helperIslLj256ELj17ELb1EE4sortIPKsPsPKlPlEEbT_T0_T1_T2_jjjjRNS3_12storage_typeE.has_indirect_call)
	.section	.AMDGPU.csdata,"",@progbits
; Kernel info:
; codeLenInByte = 72528
; TotalNumSgprs: 63
; NumVgprs: 304
; ScratchSize: 0
; MemoryBound: 0
; FloatMode: 240
; IeeeMode: 1
; LDSByteSize: 35344 bytes/workgroup (compile time only)
; SGPRBlocks: 0
; VGPRBlocks: 18
; NumSGPRsForWavesPerEU: 63
; NumVGPRsForWavesPerEU: 304
; NamedBarCnt: 0
; Occupancy: 3
; WaveLimiterHint : 1
; COMPUTE_PGM_RSRC2:SCRATCH_EN: 0
; COMPUTE_PGM_RSRC2:USER_SGPR: 4
; COMPUTE_PGM_RSRC2:TRAP_HANDLER: 0
; COMPUTE_PGM_RSRC2:TGID_X_EN: 1
; COMPUTE_PGM_RSRC2:TGID_Y_EN: 1
; COMPUTE_PGM_RSRC2:TGID_Z_EN: 0
; COMPUTE_PGM_RSRC2:TIDIG_COMP_CNT: 2
	.section	.text._ZN7rocprim17ROCPRIM_400000_NS6detail17trampoline_kernelINS0_14default_configENS1_36segmented_radix_sort_config_selectorIslEEZNS1_25segmented_radix_sort_implIS3_Lb1EPKsPsPKlPlN2at6native12_GLOBAL__N_18offset_tEEE10hipError_tPvRmT1_PNSt15iterator_traitsISK_E10value_typeET2_T3_PNSL_ISQ_E10value_typeET4_jRbjT5_SW_jjP12ihipStream_tbEUlT_E2_NS1_11comp_targetILNS1_3genE5ELNS1_11target_archE942ELNS1_3gpuE9ELNS1_3repE0EEENS1_30default_config_static_selectorELNS0_4arch9wavefront6targetE0EEEvSK_,"axG",@progbits,_ZN7rocprim17ROCPRIM_400000_NS6detail17trampoline_kernelINS0_14default_configENS1_36segmented_radix_sort_config_selectorIslEEZNS1_25segmented_radix_sort_implIS3_Lb1EPKsPsPKlPlN2at6native12_GLOBAL__N_18offset_tEEE10hipError_tPvRmT1_PNSt15iterator_traitsISK_E10value_typeET2_T3_PNSL_ISQ_E10value_typeET4_jRbjT5_SW_jjP12ihipStream_tbEUlT_E2_NS1_11comp_targetILNS1_3genE5ELNS1_11target_archE942ELNS1_3gpuE9ELNS1_3repE0EEENS1_30default_config_static_selectorELNS0_4arch9wavefront6targetE0EEEvSK_,comdat
	.globl	_ZN7rocprim17ROCPRIM_400000_NS6detail17trampoline_kernelINS0_14default_configENS1_36segmented_radix_sort_config_selectorIslEEZNS1_25segmented_radix_sort_implIS3_Lb1EPKsPsPKlPlN2at6native12_GLOBAL__N_18offset_tEEE10hipError_tPvRmT1_PNSt15iterator_traitsISK_E10value_typeET2_T3_PNSL_ISQ_E10value_typeET4_jRbjT5_SW_jjP12ihipStream_tbEUlT_E2_NS1_11comp_targetILNS1_3genE5ELNS1_11target_archE942ELNS1_3gpuE9ELNS1_3repE0EEENS1_30default_config_static_selectorELNS0_4arch9wavefront6targetE0EEEvSK_ ; -- Begin function _ZN7rocprim17ROCPRIM_400000_NS6detail17trampoline_kernelINS0_14default_configENS1_36segmented_radix_sort_config_selectorIslEEZNS1_25segmented_radix_sort_implIS3_Lb1EPKsPsPKlPlN2at6native12_GLOBAL__N_18offset_tEEE10hipError_tPvRmT1_PNSt15iterator_traitsISK_E10value_typeET2_T3_PNSL_ISQ_E10value_typeET4_jRbjT5_SW_jjP12ihipStream_tbEUlT_E2_NS1_11comp_targetILNS1_3genE5ELNS1_11target_archE942ELNS1_3gpuE9ELNS1_3repE0EEENS1_30default_config_static_selectorELNS0_4arch9wavefront6targetE0EEEvSK_
	.p2align	8
	.type	_ZN7rocprim17ROCPRIM_400000_NS6detail17trampoline_kernelINS0_14default_configENS1_36segmented_radix_sort_config_selectorIslEEZNS1_25segmented_radix_sort_implIS3_Lb1EPKsPsPKlPlN2at6native12_GLOBAL__N_18offset_tEEE10hipError_tPvRmT1_PNSt15iterator_traitsISK_E10value_typeET2_T3_PNSL_ISQ_E10value_typeET4_jRbjT5_SW_jjP12ihipStream_tbEUlT_E2_NS1_11comp_targetILNS1_3genE5ELNS1_11target_archE942ELNS1_3gpuE9ELNS1_3repE0EEENS1_30default_config_static_selectorELNS0_4arch9wavefront6targetE0EEEvSK_,@function
_ZN7rocprim17ROCPRIM_400000_NS6detail17trampoline_kernelINS0_14default_configENS1_36segmented_radix_sort_config_selectorIslEEZNS1_25segmented_radix_sort_implIS3_Lb1EPKsPsPKlPlN2at6native12_GLOBAL__N_18offset_tEEE10hipError_tPvRmT1_PNSt15iterator_traitsISK_E10value_typeET2_T3_PNSL_ISQ_E10value_typeET4_jRbjT5_SW_jjP12ihipStream_tbEUlT_E2_NS1_11comp_targetILNS1_3genE5ELNS1_11target_archE942ELNS1_3gpuE9ELNS1_3repE0EEENS1_30default_config_static_selectorELNS0_4arch9wavefront6targetE0EEEvSK_: ; @_ZN7rocprim17ROCPRIM_400000_NS6detail17trampoline_kernelINS0_14default_configENS1_36segmented_radix_sort_config_selectorIslEEZNS1_25segmented_radix_sort_implIS3_Lb1EPKsPsPKlPlN2at6native12_GLOBAL__N_18offset_tEEE10hipError_tPvRmT1_PNSt15iterator_traitsISK_E10value_typeET2_T3_PNSL_ISQ_E10value_typeET4_jRbjT5_SW_jjP12ihipStream_tbEUlT_E2_NS1_11comp_targetILNS1_3genE5ELNS1_11target_archE942ELNS1_3gpuE9ELNS1_3repE0EEENS1_30default_config_static_selectorELNS0_4arch9wavefront6targetE0EEEvSK_
; %bb.0:
	.section	.rodata,"a",@progbits
	.p2align	6, 0x0
	.amdhsa_kernel _ZN7rocprim17ROCPRIM_400000_NS6detail17trampoline_kernelINS0_14default_configENS1_36segmented_radix_sort_config_selectorIslEEZNS1_25segmented_radix_sort_implIS3_Lb1EPKsPsPKlPlN2at6native12_GLOBAL__N_18offset_tEEE10hipError_tPvRmT1_PNSt15iterator_traitsISK_E10value_typeET2_T3_PNSL_ISQ_E10value_typeET4_jRbjT5_SW_jjP12ihipStream_tbEUlT_E2_NS1_11comp_targetILNS1_3genE5ELNS1_11target_archE942ELNS1_3gpuE9ELNS1_3repE0EEENS1_30default_config_static_selectorELNS0_4arch9wavefront6targetE0EEEvSK_
		.amdhsa_group_segment_fixed_size 0
		.amdhsa_private_segment_fixed_size 0
		.amdhsa_kernarg_size 80
		.amdhsa_user_sgpr_count 2
		.amdhsa_user_sgpr_dispatch_ptr 0
		.amdhsa_user_sgpr_queue_ptr 0
		.amdhsa_user_sgpr_kernarg_segment_ptr 1
		.amdhsa_user_sgpr_dispatch_id 0
		.amdhsa_user_sgpr_kernarg_preload_length 0
		.amdhsa_user_sgpr_kernarg_preload_offset 0
		.amdhsa_user_sgpr_private_segment_size 0
		.amdhsa_wavefront_size32 1
		.amdhsa_uses_dynamic_stack 0
		.amdhsa_enable_private_segment 0
		.amdhsa_system_sgpr_workgroup_id_x 1
		.amdhsa_system_sgpr_workgroup_id_y 0
		.amdhsa_system_sgpr_workgroup_id_z 0
		.amdhsa_system_sgpr_workgroup_info 0
		.amdhsa_system_vgpr_workitem_id 0
		.amdhsa_next_free_vgpr 1
		.amdhsa_next_free_sgpr 1
		.amdhsa_named_barrier_count 0
		.amdhsa_reserve_vcc 0
		.amdhsa_float_round_mode_32 0
		.amdhsa_float_round_mode_16_64 0
		.amdhsa_float_denorm_mode_32 3
		.amdhsa_float_denorm_mode_16_64 3
		.amdhsa_fp16_overflow 0
		.amdhsa_memory_ordered 1
		.amdhsa_forward_progress 1
		.amdhsa_inst_pref_size 0
		.amdhsa_round_robin_scheduling 0
		.amdhsa_exception_fp_ieee_invalid_op 0
		.amdhsa_exception_fp_denorm_src 0
		.amdhsa_exception_fp_ieee_div_zero 0
		.amdhsa_exception_fp_ieee_overflow 0
		.amdhsa_exception_fp_ieee_underflow 0
		.amdhsa_exception_fp_ieee_inexact 0
		.amdhsa_exception_int_div_zero 0
	.end_amdhsa_kernel
	.section	.text._ZN7rocprim17ROCPRIM_400000_NS6detail17trampoline_kernelINS0_14default_configENS1_36segmented_radix_sort_config_selectorIslEEZNS1_25segmented_radix_sort_implIS3_Lb1EPKsPsPKlPlN2at6native12_GLOBAL__N_18offset_tEEE10hipError_tPvRmT1_PNSt15iterator_traitsISK_E10value_typeET2_T3_PNSL_ISQ_E10value_typeET4_jRbjT5_SW_jjP12ihipStream_tbEUlT_E2_NS1_11comp_targetILNS1_3genE5ELNS1_11target_archE942ELNS1_3gpuE9ELNS1_3repE0EEENS1_30default_config_static_selectorELNS0_4arch9wavefront6targetE0EEEvSK_,"axG",@progbits,_ZN7rocprim17ROCPRIM_400000_NS6detail17trampoline_kernelINS0_14default_configENS1_36segmented_radix_sort_config_selectorIslEEZNS1_25segmented_radix_sort_implIS3_Lb1EPKsPsPKlPlN2at6native12_GLOBAL__N_18offset_tEEE10hipError_tPvRmT1_PNSt15iterator_traitsISK_E10value_typeET2_T3_PNSL_ISQ_E10value_typeET4_jRbjT5_SW_jjP12ihipStream_tbEUlT_E2_NS1_11comp_targetILNS1_3genE5ELNS1_11target_archE942ELNS1_3gpuE9ELNS1_3repE0EEENS1_30default_config_static_selectorELNS0_4arch9wavefront6targetE0EEEvSK_,comdat
.Lfunc_end937:
	.size	_ZN7rocprim17ROCPRIM_400000_NS6detail17trampoline_kernelINS0_14default_configENS1_36segmented_radix_sort_config_selectorIslEEZNS1_25segmented_radix_sort_implIS3_Lb1EPKsPsPKlPlN2at6native12_GLOBAL__N_18offset_tEEE10hipError_tPvRmT1_PNSt15iterator_traitsISK_E10value_typeET2_T3_PNSL_ISQ_E10value_typeET4_jRbjT5_SW_jjP12ihipStream_tbEUlT_E2_NS1_11comp_targetILNS1_3genE5ELNS1_11target_archE942ELNS1_3gpuE9ELNS1_3repE0EEENS1_30default_config_static_selectorELNS0_4arch9wavefront6targetE0EEEvSK_, .Lfunc_end937-_ZN7rocprim17ROCPRIM_400000_NS6detail17trampoline_kernelINS0_14default_configENS1_36segmented_radix_sort_config_selectorIslEEZNS1_25segmented_radix_sort_implIS3_Lb1EPKsPsPKlPlN2at6native12_GLOBAL__N_18offset_tEEE10hipError_tPvRmT1_PNSt15iterator_traitsISK_E10value_typeET2_T3_PNSL_ISQ_E10value_typeET4_jRbjT5_SW_jjP12ihipStream_tbEUlT_E2_NS1_11comp_targetILNS1_3genE5ELNS1_11target_archE942ELNS1_3gpuE9ELNS1_3repE0EEENS1_30default_config_static_selectorELNS0_4arch9wavefront6targetE0EEEvSK_
                                        ; -- End function
	.set _ZN7rocprim17ROCPRIM_400000_NS6detail17trampoline_kernelINS0_14default_configENS1_36segmented_radix_sort_config_selectorIslEEZNS1_25segmented_radix_sort_implIS3_Lb1EPKsPsPKlPlN2at6native12_GLOBAL__N_18offset_tEEE10hipError_tPvRmT1_PNSt15iterator_traitsISK_E10value_typeET2_T3_PNSL_ISQ_E10value_typeET4_jRbjT5_SW_jjP12ihipStream_tbEUlT_E2_NS1_11comp_targetILNS1_3genE5ELNS1_11target_archE942ELNS1_3gpuE9ELNS1_3repE0EEENS1_30default_config_static_selectorELNS0_4arch9wavefront6targetE0EEEvSK_.num_vgpr, 0
	.set _ZN7rocprim17ROCPRIM_400000_NS6detail17trampoline_kernelINS0_14default_configENS1_36segmented_radix_sort_config_selectorIslEEZNS1_25segmented_radix_sort_implIS3_Lb1EPKsPsPKlPlN2at6native12_GLOBAL__N_18offset_tEEE10hipError_tPvRmT1_PNSt15iterator_traitsISK_E10value_typeET2_T3_PNSL_ISQ_E10value_typeET4_jRbjT5_SW_jjP12ihipStream_tbEUlT_E2_NS1_11comp_targetILNS1_3genE5ELNS1_11target_archE942ELNS1_3gpuE9ELNS1_3repE0EEENS1_30default_config_static_selectorELNS0_4arch9wavefront6targetE0EEEvSK_.num_agpr, 0
	.set _ZN7rocprim17ROCPRIM_400000_NS6detail17trampoline_kernelINS0_14default_configENS1_36segmented_radix_sort_config_selectorIslEEZNS1_25segmented_radix_sort_implIS3_Lb1EPKsPsPKlPlN2at6native12_GLOBAL__N_18offset_tEEE10hipError_tPvRmT1_PNSt15iterator_traitsISK_E10value_typeET2_T3_PNSL_ISQ_E10value_typeET4_jRbjT5_SW_jjP12ihipStream_tbEUlT_E2_NS1_11comp_targetILNS1_3genE5ELNS1_11target_archE942ELNS1_3gpuE9ELNS1_3repE0EEENS1_30default_config_static_selectorELNS0_4arch9wavefront6targetE0EEEvSK_.numbered_sgpr, 0
	.set _ZN7rocprim17ROCPRIM_400000_NS6detail17trampoline_kernelINS0_14default_configENS1_36segmented_radix_sort_config_selectorIslEEZNS1_25segmented_radix_sort_implIS3_Lb1EPKsPsPKlPlN2at6native12_GLOBAL__N_18offset_tEEE10hipError_tPvRmT1_PNSt15iterator_traitsISK_E10value_typeET2_T3_PNSL_ISQ_E10value_typeET4_jRbjT5_SW_jjP12ihipStream_tbEUlT_E2_NS1_11comp_targetILNS1_3genE5ELNS1_11target_archE942ELNS1_3gpuE9ELNS1_3repE0EEENS1_30default_config_static_selectorELNS0_4arch9wavefront6targetE0EEEvSK_.num_named_barrier, 0
	.set _ZN7rocprim17ROCPRIM_400000_NS6detail17trampoline_kernelINS0_14default_configENS1_36segmented_radix_sort_config_selectorIslEEZNS1_25segmented_radix_sort_implIS3_Lb1EPKsPsPKlPlN2at6native12_GLOBAL__N_18offset_tEEE10hipError_tPvRmT1_PNSt15iterator_traitsISK_E10value_typeET2_T3_PNSL_ISQ_E10value_typeET4_jRbjT5_SW_jjP12ihipStream_tbEUlT_E2_NS1_11comp_targetILNS1_3genE5ELNS1_11target_archE942ELNS1_3gpuE9ELNS1_3repE0EEENS1_30default_config_static_selectorELNS0_4arch9wavefront6targetE0EEEvSK_.private_seg_size, 0
	.set _ZN7rocprim17ROCPRIM_400000_NS6detail17trampoline_kernelINS0_14default_configENS1_36segmented_radix_sort_config_selectorIslEEZNS1_25segmented_radix_sort_implIS3_Lb1EPKsPsPKlPlN2at6native12_GLOBAL__N_18offset_tEEE10hipError_tPvRmT1_PNSt15iterator_traitsISK_E10value_typeET2_T3_PNSL_ISQ_E10value_typeET4_jRbjT5_SW_jjP12ihipStream_tbEUlT_E2_NS1_11comp_targetILNS1_3genE5ELNS1_11target_archE942ELNS1_3gpuE9ELNS1_3repE0EEENS1_30default_config_static_selectorELNS0_4arch9wavefront6targetE0EEEvSK_.uses_vcc, 0
	.set _ZN7rocprim17ROCPRIM_400000_NS6detail17trampoline_kernelINS0_14default_configENS1_36segmented_radix_sort_config_selectorIslEEZNS1_25segmented_radix_sort_implIS3_Lb1EPKsPsPKlPlN2at6native12_GLOBAL__N_18offset_tEEE10hipError_tPvRmT1_PNSt15iterator_traitsISK_E10value_typeET2_T3_PNSL_ISQ_E10value_typeET4_jRbjT5_SW_jjP12ihipStream_tbEUlT_E2_NS1_11comp_targetILNS1_3genE5ELNS1_11target_archE942ELNS1_3gpuE9ELNS1_3repE0EEENS1_30default_config_static_selectorELNS0_4arch9wavefront6targetE0EEEvSK_.uses_flat_scratch, 0
	.set _ZN7rocprim17ROCPRIM_400000_NS6detail17trampoline_kernelINS0_14default_configENS1_36segmented_radix_sort_config_selectorIslEEZNS1_25segmented_radix_sort_implIS3_Lb1EPKsPsPKlPlN2at6native12_GLOBAL__N_18offset_tEEE10hipError_tPvRmT1_PNSt15iterator_traitsISK_E10value_typeET2_T3_PNSL_ISQ_E10value_typeET4_jRbjT5_SW_jjP12ihipStream_tbEUlT_E2_NS1_11comp_targetILNS1_3genE5ELNS1_11target_archE942ELNS1_3gpuE9ELNS1_3repE0EEENS1_30default_config_static_selectorELNS0_4arch9wavefront6targetE0EEEvSK_.has_dyn_sized_stack, 0
	.set _ZN7rocprim17ROCPRIM_400000_NS6detail17trampoline_kernelINS0_14default_configENS1_36segmented_radix_sort_config_selectorIslEEZNS1_25segmented_radix_sort_implIS3_Lb1EPKsPsPKlPlN2at6native12_GLOBAL__N_18offset_tEEE10hipError_tPvRmT1_PNSt15iterator_traitsISK_E10value_typeET2_T3_PNSL_ISQ_E10value_typeET4_jRbjT5_SW_jjP12ihipStream_tbEUlT_E2_NS1_11comp_targetILNS1_3genE5ELNS1_11target_archE942ELNS1_3gpuE9ELNS1_3repE0EEENS1_30default_config_static_selectorELNS0_4arch9wavefront6targetE0EEEvSK_.has_recursion, 0
	.set _ZN7rocprim17ROCPRIM_400000_NS6detail17trampoline_kernelINS0_14default_configENS1_36segmented_radix_sort_config_selectorIslEEZNS1_25segmented_radix_sort_implIS3_Lb1EPKsPsPKlPlN2at6native12_GLOBAL__N_18offset_tEEE10hipError_tPvRmT1_PNSt15iterator_traitsISK_E10value_typeET2_T3_PNSL_ISQ_E10value_typeET4_jRbjT5_SW_jjP12ihipStream_tbEUlT_E2_NS1_11comp_targetILNS1_3genE5ELNS1_11target_archE942ELNS1_3gpuE9ELNS1_3repE0EEENS1_30default_config_static_selectorELNS0_4arch9wavefront6targetE0EEEvSK_.has_indirect_call, 0
	.section	.AMDGPU.csdata,"",@progbits
; Kernel info:
; codeLenInByte = 0
; TotalNumSgprs: 0
; NumVgprs: 0
; ScratchSize: 0
; MemoryBound: 0
; FloatMode: 240
; IeeeMode: 1
; LDSByteSize: 0 bytes/workgroup (compile time only)
; SGPRBlocks: 0
; VGPRBlocks: 0
; NumSGPRsForWavesPerEU: 1
; NumVGPRsForWavesPerEU: 1
; NamedBarCnt: 0
; Occupancy: 16
; WaveLimiterHint : 0
; COMPUTE_PGM_RSRC2:SCRATCH_EN: 0
; COMPUTE_PGM_RSRC2:USER_SGPR: 2
; COMPUTE_PGM_RSRC2:TRAP_HANDLER: 0
; COMPUTE_PGM_RSRC2:TGID_X_EN: 1
; COMPUTE_PGM_RSRC2:TGID_Y_EN: 0
; COMPUTE_PGM_RSRC2:TGID_Z_EN: 0
; COMPUTE_PGM_RSRC2:TIDIG_COMP_CNT: 0
	.section	.text._ZN7rocprim17ROCPRIM_400000_NS6detail17trampoline_kernelINS0_14default_configENS1_36segmented_radix_sort_config_selectorIslEEZNS1_25segmented_radix_sort_implIS3_Lb1EPKsPsPKlPlN2at6native12_GLOBAL__N_18offset_tEEE10hipError_tPvRmT1_PNSt15iterator_traitsISK_E10value_typeET2_T3_PNSL_ISQ_E10value_typeET4_jRbjT5_SW_jjP12ihipStream_tbEUlT_E2_NS1_11comp_targetILNS1_3genE4ELNS1_11target_archE910ELNS1_3gpuE8ELNS1_3repE0EEENS1_30default_config_static_selectorELNS0_4arch9wavefront6targetE0EEEvSK_,"axG",@progbits,_ZN7rocprim17ROCPRIM_400000_NS6detail17trampoline_kernelINS0_14default_configENS1_36segmented_radix_sort_config_selectorIslEEZNS1_25segmented_radix_sort_implIS3_Lb1EPKsPsPKlPlN2at6native12_GLOBAL__N_18offset_tEEE10hipError_tPvRmT1_PNSt15iterator_traitsISK_E10value_typeET2_T3_PNSL_ISQ_E10value_typeET4_jRbjT5_SW_jjP12ihipStream_tbEUlT_E2_NS1_11comp_targetILNS1_3genE4ELNS1_11target_archE910ELNS1_3gpuE8ELNS1_3repE0EEENS1_30default_config_static_selectorELNS0_4arch9wavefront6targetE0EEEvSK_,comdat
	.globl	_ZN7rocprim17ROCPRIM_400000_NS6detail17trampoline_kernelINS0_14default_configENS1_36segmented_radix_sort_config_selectorIslEEZNS1_25segmented_radix_sort_implIS3_Lb1EPKsPsPKlPlN2at6native12_GLOBAL__N_18offset_tEEE10hipError_tPvRmT1_PNSt15iterator_traitsISK_E10value_typeET2_T3_PNSL_ISQ_E10value_typeET4_jRbjT5_SW_jjP12ihipStream_tbEUlT_E2_NS1_11comp_targetILNS1_3genE4ELNS1_11target_archE910ELNS1_3gpuE8ELNS1_3repE0EEENS1_30default_config_static_selectorELNS0_4arch9wavefront6targetE0EEEvSK_ ; -- Begin function _ZN7rocprim17ROCPRIM_400000_NS6detail17trampoline_kernelINS0_14default_configENS1_36segmented_radix_sort_config_selectorIslEEZNS1_25segmented_radix_sort_implIS3_Lb1EPKsPsPKlPlN2at6native12_GLOBAL__N_18offset_tEEE10hipError_tPvRmT1_PNSt15iterator_traitsISK_E10value_typeET2_T3_PNSL_ISQ_E10value_typeET4_jRbjT5_SW_jjP12ihipStream_tbEUlT_E2_NS1_11comp_targetILNS1_3genE4ELNS1_11target_archE910ELNS1_3gpuE8ELNS1_3repE0EEENS1_30default_config_static_selectorELNS0_4arch9wavefront6targetE0EEEvSK_
	.p2align	8
	.type	_ZN7rocprim17ROCPRIM_400000_NS6detail17trampoline_kernelINS0_14default_configENS1_36segmented_radix_sort_config_selectorIslEEZNS1_25segmented_radix_sort_implIS3_Lb1EPKsPsPKlPlN2at6native12_GLOBAL__N_18offset_tEEE10hipError_tPvRmT1_PNSt15iterator_traitsISK_E10value_typeET2_T3_PNSL_ISQ_E10value_typeET4_jRbjT5_SW_jjP12ihipStream_tbEUlT_E2_NS1_11comp_targetILNS1_3genE4ELNS1_11target_archE910ELNS1_3gpuE8ELNS1_3repE0EEENS1_30default_config_static_selectorELNS0_4arch9wavefront6targetE0EEEvSK_,@function
_ZN7rocprim17ROCPRIM_400000_NS6detail17trampoline_kernelINS0_14default_configENS1_36segmented_radix_sort_config_selectorIslEEZNS1_25segmented_radix_sort_implIS3_Lb1EPKsPsPKlPlN2at6native12_GLOBAL__N_18offset_tEEE10hipError_tPvRmT1_PNSt15iterator_traitsISK_E10value_typeET2_T3_PNSL_ISQ_E10value_typeET4_jRbjT5_SW_jjP12ihipStream_tbEUlT_E2_NS1_11comp_targetILNS1_3genE4ELNS1_11target_archE910ELNS1_3gpuE8ELNS1_3repE0EEENS1_30default_config_static_selectorELNS0_4arch9wavefront6targetE0EEEvSK_: ; @_ZN7rocprim17ROCPRIM_400000_NS6detail17trampoline_kernelINS0_14default_configENS1_36segmented_radix_sort_config_selectorIslEEZNS1_25segmented_radix_sort_implIS3_Lb1EPKsPsPKlPlN2at6native12_GLOBAL__N_18offset_tEEE10hipError_tPvRmT1_PNSt15iterator_traitsISK_E10value_typeET2_T3_PNSL_ISQ_E10value_typeET4_jRbjT5_SW_jjP12ihipStream_tbEUlT_E2_NS1_11comp_targetILNS1_3genE4ELNS1_11target_archE910ELNS1_3gpuE8ELNS1_3repE0EEENS1_30default_config_static_selectorELNS0_4arch9wavefront6targetE0EEEvSK_
; %bb.0:
	.section	.rodata,"a",@progbits
	.p2align	6, 0x0
	.amdhsa_kernel _ZN7rocprim17ROCPRIM_400000_NS6detail17trampoline_kernelINS0_14default_configENS1_36segmented_radix_sort_config_selectorIslEEZNS1_25segmented_radix_sort_implIS3_Lb1EPKsPsPKlPlN2at6native12_GLOBAL__N_18offset_tEEE10hipError_tPvRmT1_PNSt15iterator_traitsISK_E10value_typeET2_T3_PNSL_ISQ_E10value_typeET4_jRbjT5_SW_jjP12ihipStream_tbEUlT_E2_NS1_11comp_targetILNS1_3genE4ELNS1_11target_archE910ELNS1_3gpuE8ELNS1_3repE0EEENS1_30default_config_static_selectorELNS0_4arch9wavefront6targetE0EEEvSK_
		.amdhsa_group_segment_fixed_size 0
		.amdhsa_private_segment_fixed_size 0
		.amdhsa_kernarg_size 80
		.amdhsa_user_sgpr_count 2
		.amdhsa_user_sgpr_dispatch_ptr 0
		.amdhsa_user_sgpr_queue_ptr 0
		.amdhsa_user_sgpr_kernarg_segment_ptr 1
		.amdhsa_user_sgpr_dispatch_id 0
		.amdhsa_user_sgpr_kernarg_preload_length 0
		.amdhsa_user_sgpr_kernarg_preload_offset 0
		.amdhsa_user_sgpr_private_segment_size 0
		.amdhsa_wavefront_size32 1
		.amdhsa_uses_dynamic_stack 0
		.amdhsa_enable_private_segment 0
		.amdhsa_system_sgpr_workgroup_id_x 1
		.amdhsa_system_sgpr_workgroup_id_y 0
		.amdhsa_system_sgpr_workgroup_id_z 0
		.amdhsa_system_sgpr_workgroup_info 0
		.amdhsa_system_vgpr_workitem_id 0
		.amdhsa_next_free_vgpr 1
		.amdhsa_next_free_sgpr 1
		.amdhsa_named_barrier_count 0
		.amdhsa_reserve_vcc 0
		.amdhsa_float_round_mode_32 0
		.amdhsa_float_round_mode_16_64 0
		.amdhsa_float_denorm_mode_32 3
		.amdhsa_float_denorm_mode_16_64 3
		.amdhsa_fp16_overflow 0
		.amdhsa_memory_ordered 1
		.amdhsa_forward_progress 1
		.amdhsa_inst_pref_size 0
		.amdhsa_round_robin_scheduling 0
		.amdhsa_exception_fp_ieee_invalid_op 0
		.amdhsa_exception_fp_denorm_src 0
		.amdhsa_exception_fp_ieee_div_zero 0
		.amdhsa_exception_fp_ieee_overflow 0
		.amdhsa_exception_fp_ieee_underflow 0
		.amdhsa_exception_fp_ieee_inexact 0
		.amdhsa_exception_int_div_zero 0
	.end_amdhsa_kernel
	.section	.text._ZN7rocprim17ROCPRIM_400000_NS6detail17trampoline_kernelINS0_14default_configENS1_36segmented_radix_sort_config_selectorIslEEZNS1_25segmented_radix_sort_implIS3_Lb1EPKsPsPKlPlN2at6native12_GLOBAL__N_18offset_tEEE10hipError_tPvRmT1_PNSt15iterator_traitsISK_E10value_typeET2_T3_PNSL_ISQ_E10value_typeET4_jRbjT5_SW_jjP12ihipStream_tbEUlT_E2_NS1_11comp_targetILNS1_3genE4ELNS1_11target_archE910ELNS1_3gpuE8ELNS1_3repE0EEENS1_30default_config_static_selectorELNS0_4arch9wavefront6targetE0EEEvSK_,"axG",@progbits,_ZN7rocprim17ROCPRIM_400000_NS6detail17trampoline_kernelINS0_14default_configENS1_36segmented_radix_sort_config_selectorIslEEZNS1_25segmented_radix_sort_implIS3_Lb1EPKsPsPKlPlN2at6native12_GLOBAL__N_18offset_tEEE10hipError_tPvRmT1_PNSt15iterator_traitsISK_E10value_typeET2_T3_PNSL_ISQ_E10value_typeET4_jRbjT5_SW_jjP12ihipStream_tbEUlT_E2_NS1_11comp_targetILNS1_3genE4ELNS1_11target_archE910ELNS1_3gpuE8ELNS1_3repE0EEENS1_30default_config_static_selectorELNS0_4arch9wavefront6targetE0EEEvSK_,comdat
.Lfunc_end938:
	.size	_ZN7rocprim17ROCPRIM_400000_NS6detail17trampoline_kernelINS0_14default_configENS1_36segmented_radix_sort_config_selectorIslEEZNS1_25segmented_radix_sort_implIS3_Lb1EPKsPsPKlPlN2at6native12_GLOBAL__N_18offset_tEEE10hipError_tPvRmT1_PNSt15iterator_traitsISK_E10value_typeET2_T3_PNSL_ISQ_E10value_typeET4_jRbjT5_SW_jjP12ihipStream_tbEUlT_E2_NS1_11comp_targetILNS1_3genE4ELNS1_11target_archE910ELNS1_3gpuE8ELNS1_3repE0EEENS1_30default_config_static_selectorELNS0_4arch9wavefront6targetE0EEEvSK_, .Lfunc_end938-_ZN7rocprim17ROCPRIM_400000_NS6detail17trampoline_kernelINS0_14default_configENS1_36segmented_radix_sort_config_selectorIslEEZNS1_25segmented_radix_sort_implIS3_Lb1EPKsPsPKlPlN2at6native12_GLOBAL__N_18offset_tEEE10hipError_tPvRmT1_PNSt15iterator_traitsISK_E10value_typeET2_T3_PNSL_ISQ_E10value_typeET4_jRbjT5_SW_jjP12ihipStream_tbEUlT_E2_NS1_11comp_targetILNS1_3genE4ELNS1_11target_archE910ELNS1_3gpuE8ELNS1_3repE0EEENS1_30default_config_static_selectorELNS0_4arch9wavefront6targetE0EEEvSK_
                                        ; -- End function
	.set _ZN7rocprim17ROCPRIM_400000_NS6detail17trampoline_kernelINS0_14default_configENS1_36segmented_radix_sort_config_selectorIslEEZNS1_25segmented_radix_sort_implIS3_Lb1EPKsPsPKlPlN2at6native12_GLOBAL__N_18offset_tEEE10hipError_tPvRmT1_PNSt15iterator_traitsISK_E10value_typeET2_T3_PNSL_ISQ_E10value_typeET4_jRbjT5_SW_jjP12ihipStream_tbEUlT_E2_NS1_11comp_targetILNS1_3genE4ELNS1_11target_archE910ELNS1_3gpuE8ELNS1_3repE0EEENS1_30default_config_static_selectorELNS0_4arch9wavefront6targetE0EEEvSK_.num_vgpr, 0
	.set _ZN7rocprim17ROCPRIM_400000_NS6detail17trampoline_kernelINS0_14default_configENS1_36segmented_radix_sort_config_selectorIslEEZNS1_25segmented_radix_sort_implIS3_Lb1EPKsPsPKlPlN2at6native12_GLOBAL__N_18offset_tEEE10hipError_tPvRmT1_PNSt15iterator_traitsISK_E10value_typeET2_T3_PNSL_ISQ_E10value_typeET4_jRbjT5_SW_jjP12ihipStream_tbEUlT_E2_NS1_11comp_targetILNS1_3genE4ELNS1_11target_archE910ELNS1_3gpuE8ELNS1_3repE0EEENS1_30default_config_static_selectorELNS0_4arch9wavefront6targetE0EEEvSK_.num_agpr, 0
	.set _ZN7rocprim17ROCPRIM_400000_NS6detail17trampoline_kernelINS0_14default_configENS1_36segmented_radix_sort_config_selectorIslEEZNS1_25segmented_radix_sort_implIS3_Lb1EPKsPsPKlPlN2at6native12_GLOBAL__N_18offset_tEEE10hipError_tPvRmT1_PNSt15iterator_traitsISK_E10value_typeET2_T3_PNSL_ISQ_E10value_typeET4_jRbjT5_SW_jjP12ihipStream_tbEUlT_E2_NS1_11comp_targetILNS1_3genE4ELNS1_11target_archE910ELNS1_3gpuE8ELNS1_3repE0EEENS1_30default_config_static_selectorELNS0_4arch9wavefront6targetE0EEEvSK_.numbered_sgpr, 0
	.set _ZN7rocprim17ROCPRIM_400000_NS6detail17trampoline_kernelINS0_14default_configENS1_36segmented_radix_sort_config_selectorIslEEZNS1_25segmented_radix_sort_implIS3_Lb1EPKsPsPKlPlN2at6native12_GLOBAL__N_18offset_tEEE10hipError_tPvRmT1_PNSt15iterator_traitsISK_E10value_typeET2_T3_PNSL_ISQ_E10value_typeET4_jRbjT5_SW_jjP12ihipStream_tbEUlT_E2_NS1_11comp_targetILNS1_3genE4ELNS1_11target_archE910ELNS1_3gpuE8ELNS1_3repE0EEENS1_30default_config_static_selectorELNS0_4arch9wavefront6targetE0EEEvSK_.num_named_barrier, 0
	.set _ZN7rocprim17ROCPRIM_400000_NS6detail17trampoline_kernelINS0_14default_configENS1_36segmented_radix_sort_config_selectorIslEEZNS1_25segmented_radix_sort_implIS3_Lb1EPKsPsPKlPlN2at6native12_GLOBAL__N_18offset_tEEE10hipError_tPvRmT1_PNSt15iterator_traitsISK_E10value_typeET2_T3_PNSL_ISQ_E10value_typeET4_jRbjT5_SW_jjP12ihipStream_tbEUlT_E2_NS1_11comp_targetILNS1_3genE4ELNS1_11target_archE910ELNS1_3gpuE8ELNS1_3repE0EEENS1_30default_config_static_selectorELNS0_4arch9wavefront6targetE0EEEvSK_.private_seg_size, 0
	.set _ZN7rocprim17ROCPRIM_400000_NS6detail17trampoline_kernelINS0_14default_configENS1_36segmented_radix_sort_config_selectorIslEEZNS1_25segmented_radix_sort_implIS3_Lb1EPKsPsPKlPlN2at6native12_GLOBAL__N_18offset_tEEE10hipError_tPvRmT1_PNSt15iterator_traitsISK_E10value_typeET2_T3_PNSL_ISQ_E10value_typeET4_jRbjT5_SW_jjP12ihipStream_tbEUlT_E2_NS1_11comp_targetILNS1_3genE4ELNS1_11target_archE910ELNS1_3gpuE8ELNS1_3repE0EEENS1_30default_config_static_selectorELNS0_4arch9wavefront6targetE0EEEvSK_.uses_vcc, 0
	.set _ZN7rocprim17ROCPRIM_400000_NS6detail17trampoline_kernelINS0_14default_configENS1_36segmented_radix_sort_config_selectorIslEEZNS1_25segmented_radix_sort_implIS3_Lb1EPKsPsPKlPlN2at6native12_GLOBAL__N_18offset_tEEE10hipError_tPvRmT1_PNSt15iterator_traitsISK_E10value_typeET2_T3_PNSL_ISQ_E10value_typeET4_jRbjT5_SW_jjP12ihipStream_tbEUlT_E2_NS1_11comp_targetILNS1_3genE4ELNS1_11target_archE910ELNS1_3gpuE8ELNS1_3repE0EEENS1_30default_config_static_selectorELNS0_4arch9wavefront6targetE0EEEvSK_.uses_flat_scratch, 0
	.set _ZN7rocprim17ROCPRIM_400000_NS6detail17trampoline_kernelINS0_14default_configENS1_36segmented_radix_sort_config_selectorIslEEZNS1_25segmented_radix_sort_implIS3_Lb1EPKsPsPKlPlN2at6native12_GLOBAL__N_18offset_tEEE10hipError_tPvRmT1_PNSt15iterator_traitsISK_E10value_typeET2_T3_PNSL_ISQ_E10value_typeET4_jRbjT5_SW_jjP12ihipStream_tbEUlT_E2_NS1_11comp_targetILNS1_3genE4ELNS1_11target_archE910ELNS1_3gpuE8ELNS1_3repE0EEENS1_30default_config_static_selectorELNS0_4arch9wavefront6targetE0EEEvSK_.has_dyn_sized_stack, 0
	.set _ZN7rocprim17ROCPRIM_400000_NS6detail17trampoline_kernelINS0_14default_configENS1_36segmented_radix_sort_config_selectorIslEEZNS1_25segmented_radix_sort_implIS3_Lb1EPKsPsPKlPlN2at6native12_GLOBAL__N_18offset_tEEE10hipError_tPvRmT1_PNSt15iterator_traitsISK_E10value_typeET2_T3_PNSL_ISQ_E10value_typeET4_jRbjT5_SW_jjP12ihipStream_tbEUlT_E2_NS1_11comp_targetILNS1_3genE4ELNS1_11target_archE910ELNS1_3gpuE8ELNS1_3repE0EEENS1_30default_config_static_selectorELNS0_4arch9wavefront6targetE0EEEvSK_.has_recursion, 0
	.set _ZN7rocprim17ROCPRIM_400000_NS6detail17trampoline_kernelINS0_14default_configENS1_36segmented_radix_sort_config_selectorIslEEZNS1_25segmented_radix_sort_implIS3_Lb1EPKsPsPKlPlN2at6native12_GLOBAL__N_18offset_tEEE10hipError_tPvRmT1_PNSt15iterator_traitsISK_E10value_typeET2_T3_PNSL_ISQ_E10value_typeET4_jRbjT5_SW_jjP12ihipStream_tbEUlT_E2_NS1_11comp_targetILNS1_3genE4ELNS1_11target_archE910ELNS1_3gpuE8ELNS1_3repE0EEENS1_30default_config_static_selectorELNS0_4arch9wavefront6targetE0EEEvSK_.has_indirect_call, 0
	.section	.AMDGPU.csdata,"",@progbits
; Kernel info:
; codeLenInByte = 0
; TotalNumSgprs: 0
; NumVgprs: 0
; ScratchSize: 0
; MemoryBound: 0
; FloatMode: 240
; IeeeMode: 1
; LDSByteSize: 0 bytes/workgroup (compile time only)
; SGPRBlocks: 0
; VGPRBlocks: 0
; NumSGPRsForWavesPerEU: 1
; NumVGPRsForWavesPerEU: 1
; NamedBarCnt: 0
; Occupancy: 16
; WaveLimiterHint : 0
; COMPUTE_PGM_RSRC2:SCRATCH_EN: 0
; COMPUTE_PGM_RSRC2:USER_SGPR: 2
; COMPUTE_PGM_RSRC2:TRAP_HANDLER: 0
; COMPUTE_PGM_RSRC2:TGID_X_EN: 1
; COMPUTE_PGM_RSRC2:TGID_Y_EN: 0
; COMPUTE_PGM_RSRC2:TGID_Z_EN: 0
; COMPUTE_PGM_RSRC2:TIDIG_COMP_CNT: 0
	.section	.text._ZN7rocprim17ROCPRIM_400000_NS6detail17trampoline_kernelINS0_14default_configENS1_36segmented_radix_sort_config_selectorIslEEZNS1_25segmented_radix_sort_implIS3_Lb1EPKsPsPKlPlN2at6native12_GLOBAL__N_18offset_tEEE10hipError_tPvRmT1_PNSt15iterator_traitsISK_E10value_typeET2_T3_PNSL_ISQ_E10value_typeET4_jRbjT5_SW_jjP12ihipStream_tbEUlT_E2_NS1_11comp_targetILNS1_3genE3ELNS1_11target_archE908ELNS1_3gpuE7ELNS1_3repE0EEENS1_30default_config_static_selectorELNS0_4arch9wavefront6targetE0EEEvSK_,"axG",@progbits,_ZN7rocprim17ROCPRIM_400000_NS6detail17trampoline_kernelINS0_14default_configENS1_36segmented_radix_sort_config_selectorIslEEZNS1_25segmented_radix_sort_implIS3_Lb1EPKsPsPKlPlN2at6native12_GLOBAL__N_18offset_tEEE10hipError_tPvRmT1_PNSt15iterator_traitsISK_E10value_typeET2_T3_PNSL_ISQ_E10value_typeET4_jRbjT5_SW_jjP12ihipStream_tbEUlT_E2_NS1_11comp_targetILNS1_3genE3ELNS1_11target_archE908ELNS1_3gpuE7ELNS1_3repE0EEENS1_30default_config_static_selectorELNS0_4arch9wavefront6targetE0EEEvSK_,comdat
	.globl	_ZN7rocprim17ROCPRIM_400000_NS6detail17trampoline_kernelINS0_14default_configENS1_36segmented_radix_sort_config_selectorIslEEZNS1_25segmented_radix_sort_implIS3_Lb1EPKsPsPKlPlN2at6native12_GLOBAL__N_18offset_tEEE10hipError_tPvRmT1_PNSt15iterator_traitsISK_E10value_typeET2_T3_PNSL_ISQ_E10value_typeET4_jRbjT5_SW_jjP12ihipStream_tbEUlT_E2_NS1_11comp_targetILNS1_3genE3ELNS1_11target_archE908ELNS1_3gpuE7ELNS1_3repE0EEENS1_30default_config_static_selectorELNS0_4arch9wavefront6targetE0EEEvSK_ ; -- Begin function _ZN7rocprim17ROCPRIM_400000_NS6detail17trampoline_kernelINS0_14default_configENS1_36segmented_radix_sort_config_selectorIslEEZNS1_25segmented_radix_sort_implIS3_Lb1EPKsPsPKlPlN2at6native12_GLOBAL__N_18offset_tEEE10hipError_tPvRmT1_PNSt15iterator_traitsISK_E10value_typeET2_T3_PNSL_ISQ_E10value_typeET4_jRbjT5_SW_jjP12ihipStream_tbEUlT_E2_NS1_11comp_targetILNS1_3genE3ELNS1_11target_archE908ELNS1_3gpuE7ELNS1_3repE0EEENS1_30default_config_static_selectorELNS0_4arch9wavefront6targetE0EEEvSK_
	.p2align	8
	.type	_ZN7rocprim17ROCPRIM_400000_NS6detail17trampoline_kernelINS0_14default_configENS1_36segmented_radix_sort_config_selectorIslEEZNS1_25segmented_radix_sort_implIS3_Lb1EPKsPsPKlPlN2at6native12_GLOBAL__N_18offset_tEEE10hipError_tPvRmT1_PNSt15iterator_traitsISK_E10value_typeET2_T3_PNSL_ISQ_E10value_typeET4_jRbjT5_SW_jjP12ihipStream_tbEUlT_E2_NS1_11comp_targetILNS1_3genE3ELNS1_11target_archE908ELNS1_3gpuE7ELNS1_3repE0EEENS1_30default_config_static_selectorELNS0_4arch9wavefront6targetE0EEEvSK_,@function
_ZN7rocprim17ROCPRIM_400000_NS6detail17trampoline_kernelINS0_14default_configENS1_36segmented_radix_sort_config_selectorIslEEZNS1_25segmented_radix_sort_implIS3_Lb1EPKsPsPKlPlN2at6native12_GLOBAL__N_18offset_tEEE10hipError_tPvRmT1_PNSt15iterator_traitsISK_E10value_typeET2_T3_PNSL_ISQ_E10value_typeET4_jRbjT5_SW_jjP12ihipStream_tbEUlT_E2_NS1_11comp_targetILNS1_3genE3ELNS1_11target_archE908ELNS1_3gpuE7ELNS1_3repE0EEENS1_30default_config_static_selectorELNS0_4arch9wavefront6targetE0EEEvSK_: ; @_ZN7rocprim17ROCPRIM_400000_NS6detail17trampoline_kernelINS0_14default_configENS1_36segmented_radix_sort_config_selectorIslEEZNS1_25segmented_radix_sort_implIS3_Lb1EPKsPsPKlPlN2at6native12_GLOBAL__N_18offset_tEEE10hipError_tPvRmT1_PNSt15iterator_traitsISK_E10value_typeET2_T3_PNSL_ISQ_E10value_typeET4_jRbjT5_SW_jjP12ihipStream_tbEUlT_E2_NS1_11comp_targetILNS1_3genE3ELNS1_11target_archE908ELNS1_3gpuE7ELNS1_3repE0EEENS1_30default_config_static_selectorELNS0_4arch9wavefront6targetE0EEEvSK_
; %bb.0:
	.section	.rodata,"a",@progbits
	.p2align	6, 0x0
	.amdhsa_kernel _ZN7rocprim17ROCPRIM_400000_NS6detail17trampoline_kernelINS0_14default_configENS1_36segmented_radix_sort_config_selectorIslEEZNS1_25segmented_radix_sort_implIS3_Lb1EPKsPsPKlPlN2at6native12_GLOBAL__N_18offset_tEEE10hipError_tPvRmT1_PNSt15iterator_traitsISK_E10value_typeET2_T3_PNSL_ISQ_E10value_typeET4_jRbjT5_SW_jjP12ihipStream_tbEUlT_E2_NS1_11comp_targetILNS1_3genE3ELNS1_11target_archE908ELNS1_3gpuE7ELNS1_3repE0EEENS1_30default_config_static_selectorELNS0_4arch9wavefront6targetE0EEEvSK_
		.amdhsa_group_segment_fixed_size 0
		.amdhsa_private_segment_fixed_size 0
		.amdhsa_kernarg_size 80
		.amdhsa_user_sgpr_count 2
		.amdhsa_user_sgpr_dispatch_ptr 0
		.amdhsa_user_sgpr_queue_ptr 0
		.amdhsa_user_sgpr_kernarg_segment_ptr 1
		.amdhsa_user_sgpr_dispatch_id 0
		.amdhsa_user_sgpr_kernarg_preload_length 0
		.amdhsa_user_sgpr_kernarg_preload_offset 0
		.amdhsa_user_sgpr_private_segment_size 0
		.amdhsa_wavefront_size32 1
		.amdhsa_uses_dynamic_stack 0
		.amdhsa_enable_private_segment 0
		.amdhsa_system_sgpr_workgroup_id_x 1
		.amdhsa_system_sgpr_workgroup_id_y 0
		.amdhsa_system_sgpr_workgroup_id_z 0
		.amdhsa_system_sgpr_workgroup_info 0
		.amdhsa_system_vgpr_workitem_id 0
		.amdhsa_next_free_vgpr 1
		.amdhsa_next_free_sgpr 1
		.amdhsa_named_barrier_count 0
		.amdhsa_reserve_vcc 0
		.amdhsa_float_round_mode_32 0
		.amdhsa_float_round_mode_16_64 0
		.amdhsa_float_denorm_mode_32 3
		.amdhsa_float_denorm_mode_16_64 3
		.amdhsa_fp16_overflow 0
		.amdhsa_memory_ordered 1
		.amdhsa_forward_progress 1
		.amdhsa_inst_pref_size 0
		.amdhsa_round_robin_scheduling 0
		.amdhsa_exception_fp_ieee_invalid_op 0
		.amdhsa_exception_fp_denorm_src 0
		.amdhsa_exception_fp_ieee_div_zero 0
		.amdhsa_exception_fp_ieee_overflow 0
		.amdhsa_exception_fp_ieee_underflow 0
		.amdhsa_exception_fp_ieee_inexact 0
		.amdhsa_exception_int_div_zero 0
	.end_amdhsa_kernel
	.section	.text._ZN7rocprim17ROCPRIM_400000_NS6detail17trampoline_kernelINS0_14default_configENS1_36segmented_radix_sort_config_selectorIslEEZNS1_25segmented_radix_sort_implIS3_Lb1EPKsPsPKlPlN2at6native12_GLOBAL__N_18offset_tEEE10hipError_tPvRmT1_PNSt15iterator_traitsISK_E10value_typeET2_T3_PNSL_ISQ_E10value_typeET4_jRbjT5_SW_jjP12ihipStream_tbEUlT_E2_NS1_11comp_targetILNS1_3genE3ELNS1_11target_archE908ELNS1_3gpuE7ELNS1_3repE0EEENS1_30default_config_static_selectorELNS0_4arch9wavefront6targetE0EEEvSK_,"axG",@progbits,_ZN7rocprim17ROCPRIM_400000_NS6detail17trampoline_kernelINS0_14default_configENS1_36segmented_radix_sort_config_selectorIslEEZNS1_25segmented_radix_sort_implIS3_Lb1EPKsPsPKlPlN2at6native12_GLOBAL__N_18offset_tEEE10hipError_tPvRmT1_PNSt15iterator_traitsISK_E10value_typeET2_T3_PNSL_ISQ_E10value_typeET4_jRbjT5_SW_jjP12ihipStream_tbEUlT_E2_NS1_11comp_targetILNS1_3genE3ELNS1_11target_archE908ELNS1_3gpuE7ELNS1_3repE0EEENS1_30default_config_static_selectorELNS0_4arch9wavefront6targetE0EEEvSK_,comdat
.Lfunc_end939:
	.size	_ZN7rocprim17ROCPRIM_400000_NS6detail17trampoline_kernelINS0_14default_configENS1_36segmented_radix_sort_config_selectorIslEEZNS1_25segmented_radix_sort_implIS3_Lb1EPKsPsPKlPlN2at6native12_GLOBAL__N_18offset_tEEE10hipError_tPvRmT1_PNSt15iterator_traitsISK_E10value_typeET2_T3_PNSL_ISQ_E10value_typeET4_jRbjT5_SW_jjP12ihipStream_tbEUlT_E2_NS1_11comp_targetILNS1_3genE3ELNS1_11target_archE908ELNS1_3gpuE7ELNS1_3repE0EEENS1_30default_config_static_selectorELNS0_4arch9wavefront6targetE0EEEvSK_, .Lfunc_end939-_ZN7rocprim17ROCPRIM_400000_NS6detail17trampoline_kernelINS0_14default_configENS1_36segmented_radix_sort_config_selectorIslEEZNS1_25segmented_radix_sort_implIS3_Lb1EPKsPsPKlPlN2at6native12_GLOBAL__N_18offset_tEEE10hipError_tPvRmT1_PNSt15iterator_traitsISK_E10value_typeET2_T3_PNSL_ISQ_E10value_typeET4_jRbjT5_SW_jjP12ihipStream_tbEUlT_E2_NS1_11comp_targetILNS1_3genE3ELNS1_11target_archE908ELNS1_3gpuE7ELNS1_3repE0EEENS1_30default_config_static_selectorELNS0_4arch9wavefront6targetE0EEEvSK_
                                        ; -- End function
	.set _ZN7rocprim17ROCPRIM_400000_NS6detail17trampoline_kernelINS0_14default_configENS1_36segmented_radix_sort_config_selectorIslEEZNS1_25segmented_radix_sort_implIS3_Lb1EPKsPsPKlPlN2at6native12_GLOBAL__N_18offset_tEEE10hipError_tPvRmT1_PNSt15iterator_traitsISK_E10value_typeET2_T3_PNSL_ISQ_E10value_typeET4_jRbjT5_SW_jjP12ihipStream_tbEUlT_E2_NS1_11comp_targetILNS1_3genE3ELNS1_11target_archE908ELNS1_3gpuE7ELNS1_3repE0EEENS1_30default_config_static_selectorELNS0_4arch9wavefront6targetE0EEEvSK_.num_vgpr, 0
	.set _ZN7rocprim17ROCPRIM_400000_NS6detail17trampoline_kernelINS0_14default_configENS1_36segmented_radix_sort_config_selectorIslEEZNS1_25segmented_radix_sort_implIS3_Lb1EPKsPsPKlPlN2at6native12_GLOBAL__N_18offset_tEEE10hipError_tPvRmT1_PNSt15iterator_traitsISK_E10value_typeET2_T3_PNSL_ISQ_E10value_typeET4_jRbjT5_SW_jjP12ihipStream_tbEUlT_E2_NS1_11comp_targetILNS1_3genE3ELNS1_11target_archE908ELNS1_3gpuE7ELNS1_3repE0EEENS1_30default_config_static_selectorELNS0_4arch9wavefront6targetE0EEEvSK_.num_agpr, 0
	.set _ZN7rocprim17ROCPRIM_400000_NS6detail17trampoline_kernelINS0_14default_configENS1_36segmented_radix_sort_config_selectorIslEEZNS1_25segmented_radix_sort_implIS3_Lb1EPKsPsPKlPlN2at6native12_GLOBAL__N_18offset_tEEE10hipError_tPvRmT1_PNSt15iterator_traitsISK_E10value_typeET2_T3_PNSL_ISQ_E10value_typeET4_jRbjT5_SW_jjP12ihipStream_tbEUlT_E2_NS1_11comp_targetILNS1_3genE3ELNS1_11target_archE908ELNS1_3gpuE7ELNS1_3repE0EEENS1_30default_config_static_selectorELNS0_4arch9wavefront6targetE0EEEvSK_.numbered_sgpr, 0
	.set _ZN7rocprim17ROCPRIM_400000_NS6detail17trampoline_kernelINS0_14default_configENS1_36segmented_radix_sort_config_selectorIslEEZNS1_25segmented_radix_sort_implIS3_Lb1EPKsPsPKlPlN2at6native12_GLOBAL__N_18offset_tEEE10hipError_tPvRmT1_PNSt15iterator_traitsISK_E10value_typeET2_T3_PNSL_ISQ_E10value_typeET4_jRbjT5_SW_jjP12ihipStream_tbEUlT_E2_NS1_11comp_targetILNS1_3genE3ELNS1_11target_archE908ELNS1_3gpuE7ELNS1_3repE0EEENS1_30default_config_static_selectorELNS0_4arch9wavefront6targetE0EEEvSK_.num_named_barrier, 0
	.set _ZN7rocprim17ROCPRIM_400000_NS6detail17trampoline_kernelINS0_14default_configENS1_36segmented_radix_sort_config_selectorIslEEZNS1_25segmented_radix_sort_implIS3_Lb1EPKsPsPKlPlN2at6native12_GLOBAL__N_18offset_tEEE10hipError_tPvRmT1_PNSt15iterator_traitsISK_E10value_typeET2_T3_PNSL_ISQ_E10value_typeET4_jRbjT5_SW_jjP12ihipStream_tbEUlT_E2_NS1_11comp_targetILNS1_3genE3ELNS1_11target_archE908ELNS1_3gpuE7ELNS1_3repE0EEENS1_30default_config_static_selectorELNS0_4arch9wavefront6targetE0EEEvSK_.private_seg_size, 0
	.set _ZN7rocprim17ROCPRIM_400000_NS6detail17trampoline_kernelINS0_14default_configENS1_36segmented_radix_sort_config_selectorIslEEZNS1_25segmented_radix_sort_implIS3_Lb1EPKsPsPKlPlN2at6native12_GLOBAL__N_18offset_tEEE10hipError_tPvRmT1_PNSt15iterator_traitsISK_E10value_typeET2_T3_PNSL_ISQ_E10value_typeET4_jRbjT5_SW_jjP12ihipStream_tbEUlT_E2_NS1_11comp_targetILNS1_3genE3ELNS1_11target_archE908ELNS1_3gpuE7ELNS1_3repE0EEENS1_30default_config_static_selectorELNS0_4arch9wavefront6targetE0EEEvSK_.uses_vcc, 0
	.set _ZN7rocprim17ROCPRIM_400000_NS6detail17trampoline_kernelINS0_14default_configENS1_36segmented_radix_sort_config_selectorIslEEZNS1_25segmented_radix_sort_implIS3_Lb1EPKsPsPKlPlN2at6native12_GLOBAL__N_18offset_tEEE10hipError_tPvRmT1_PNSt15iterator_traitsISK_E10value_typeET2_T3_PNSL_ISQ_E10value_typeET4_jRbjT5_SW_jjP12ihipStream_tbEUlT_E2_NS1_11comp_targetILNS1_3genE3ELNS1_11target_archE908ELNS1_3gpuE7ELNS1_3repE0EEENS1_30default_config_static_selectorELNS0_4arch9wavefront6targetE0EEEvSK_.uses_flat_scratch, 0
	.set _ZN7rocprim17ROCPRIM_400000_NS6detail17trampoline_kernelINS0_14default_configENS1_36segmented_radix_sort_config_selectorIslEEZNS1_25segmented_radix_sort_implIS3_Lb1EPKsPsPKlPlN2at6native12_GLOBAL__N_18offset_tEEE10hipError_tPvRmT1_PNSt15iterator_traitsISK_E10value_typeET2_T3_PNSL_ISQ_E10value_typeET4_jRbjT5_SW_jjP12ihipStream_tbEUlT_E2_NS1_11comp_targetILNS1_3genE3ELNS1_11target_archE908ELNS1_3gpuE7ELNS1_3repE0EEENS1_30default_config_static_selectorELNS0_4arch9wavefront6targetE0EEEvSK_.has_dyn_sized_stack, 0
	.set _ZN7rocprim17ROCPRIM_400000_NS6detail17trampoline_kernelINS0_14default_configENS1_36segmented_radix_sort_config_selectorIslEEZNS1_25segmented_radix_sort_implIS3_Lb1EPKsPsPKlPlN2at6native12_GLOBAL__N_18offset_tEEE10hipError_tPvRmT1_PNSt15iterator_traitsISK_E10value_typeET2_T3_PNSL_ISQ_E10value_typeET4_jRbjT5_SW_jjP12ihipStream_tbEUlT_E2_NS1_11comp_targetILNS1_3genE3ELNS1_11target_archE908ELNS1_3gpuE7ELNS1_3repE0EEENS1_30default_config_static_selectorELNS0_4arch9wavefront6targetE0EEEvSK_.has_recursion, 0
	.set _ZN7rocprim17ROCPRIM_400000_NS6detail17trampoline_kernelINS0_14default_configENS1_36segmented_radix_sort_config_selectorIslEEZNS1_25segmented_radix_sort_implIS3_Lb1EPKsPsPKlPlN2at6native12_GLOBAL__N_18offset_tEEE10hipError_tPvRmT1_PNSt15iterator_traitsISK_E10value_typeET2_T3_PNSL_ISQ_E10value_typeET4_jRbjT5_SW_jjP12ihipStream_tbEUlT_E2_NS1_11comp_targetILNS1_3genE3ELNS1_11target_archE908ELNS1_3gpuE7ELNS1_3repE0EEENS1_30default_config_static_selectorELNS0_4arch9wavefront6targetE0EEEvSK_.has_indirect_call, 0
	.section	.AMDGPU.csdata,"",@progbits
; Kernel info:
; codeLenInByte = 0
; TotalNumSgprs: 0
; NumVgprs: 0
; ScratchSize: 0
; MemoryBound: 0
; FloatMode: 240
; IeeeMode: 1
; LDSByteSize: 0 bytes/workgroup (compile time only)
; SGPRBlocks: 0
; VGPRBlocks: 0
; NumSGPRsForWavesPerEU: 1
; NumVGPRsForWavesPerEU: 1
; NamedBarCnt: 0
; Occupancy: 16
; WaveLimiterHint : 0
; COMPUTE_PGM_RSRC2:SCRATCH_EN: 0
; COMPUTE_PGM_RSRC2:USER_SGPR: 2
; COMPUTE_PGM_RSRC2:TRAP_HANDLER: 0
; COMPUTE_PGM_RSRC2:TGID_X_EN: 1
; COMPUTE_PGM_RSRC2:TGID_Y_EN: 0
; COMPUTE_PGM_RSRC2:TGID_Z_EN: 0
; COMPUTE_PGM_RSRC2:TIDIG_COMP_CNT: 0
	.section	.text._ZN7rocprim17ROCPRIM_400000_NS6detail17trampoline_kernelINS0_14default_configENS1_36segmented_radix_sort_config_selectorIslEEZNS1_25segmented_radix_sort_implIS3_Lb1EPKsPsPKlPlN2at6native12_GLOBAL__N_18offset_tEEE10hipError_tPvRmT1_PNSt15iterator_traitsISK_E10value_typeET2_T3_PNSL_ISQ_E10value_typeET4_jRbjT5_SW_jjP12ihipStream_tbEUlT_E2_NS1_11comp_targetILNS1_3genE2ELNS1_11target_archE906ELNS1_3gpuE6ELNS1_3repE0EEENS1_30default_config_static_selectorELNS0_4arch9wavefront6targetE0EEEvSK_,"axG",@progbits,_ZN7rocprim17ROCPRIM_400000_NS6detail17trampoline_kernelINS0_14default_configENS1_36segmented_radix_sort_config_selectorIslEEZNS1_25segmented_radix_sort_implIS3_Lb1EPKsPsPKlPlN2at6native12_GLOBAL__N_18offset_tEEE10hipError_tPvRmT1_PNSt15iterator_traitsISK_E10value_typeET2_T3_PNSL_ISQ_E10value_typeET4_jRbjT5_SW_jjP12ihipStream_tbEUlT_E2_NS1_11comp_targetILNS1_3genE2ELNS1_11target_archE906ELNS1_3gpuE6ELNS1_3repE0EEENS1_30default_config_static_selectorELNS0_4arch9wavefront6targetE0EEEvSK_,comdat
	.globl	_ZN7rocprim17ROCPRIM_400000_NS6detail17trampoline_kernelINS0_14default_configENS1_36segmented_radix_sort_config_selectorIslEEZNS1_25segmented_radix_sort_implIS3_Lb1EPKsPsPKlPlN2at6native12_GLOBAL__N_18offset_tEEE10hipError_tPvRmT1_PNSt15iterator_traitsISK_E10value_typeET2_T3_PNSL_ISQ_E10value_typeET4_jRbjT5_SW_jjP12ihipStream_tbEUlT_E2_NS1_11comp_targetILNS1_3genE2ELNS1_11target_archE906ELNS1_3gpuE6ELNS1_3repE0EEENS1_30default_config_static_selectorELNS0_4arch9wavefront6targetE0EEEvSK_ ; -- Begin function _ZN7rocprim17ROCPRIM_400000_NS6detail17trampoline_kernelINS0_14default_configENS1_36segmented_radix_sort_config_selectorIslEEZNS1_25segmented_radix_sort_implIS3_Lb1EPKsPsPKlPlN2at6native12_GLOBAL__N_18offset_tEEE10hipError_tPvRmT1_PNSt15iterator_traitsISK_E10value_typeET2_T3_PNSL_ISQ_E10value_typeET4_jRbjT5_SW_jjP12ihipStream_tbEUlT_E2_NS1_11comp_targetILNS1_3genE2ELNS1_11target_archE906ELNS1_3gpuE6ELNS1_3repE0EEENS1_30default_config_static_selectorELNS0_4arch9wavefront6targetE0EEEvSK_
	.p2align	8
	.type	_ZN7rocprim17ROCPRIM_400000_NS6detail17trampoline_kernelINS0_14default_configENS1_36segmented_radix_sort_config_selectorIslEEZNS1_25segmented_radix_sort_implIS3_Lb1EPKsPsPKlPlN2at6native12_GLOBAL__N_18offset_tEEE10hipError_tPvRmT1_PNSt15iterator_traitsISK_E10value_typeET2_T3_PNSL_ISQ_E10value_typeET4_jRbjT5_SW_jjP12ihipStream_tbEUlT_E2_NS1_11comp_targetILNS1_3genE2ELNS1_11target_archE906ELNS1_3gpuE6ELNS1_3repE0EEENS1_30default_config_static_selectorELNS0_4arch9wavefront6targetE0EEEvSK_,@function
_ZN7rocprim17ROCPRIM_400000_NS6detail17trampoline_kernelINS0_14default_configENS1_36segmented_radix_sort_config_selectorIslEEZNS1_25segmented_radix_sort_implIS3_Lb1EPKsPsPKlPlN2at6native12_GLOBAL__N_18offset_tEEE10hipError_tPvRmT1_PNSt15iterator_traitsISK_E10value_typeET2_T3_PNSL_ISQ_E10value_typeET4_jRbjT5_SW_jjP12ihipStream_tbEUlT_E2_NS1_11comp_targetILNS1_3genE2ELNS1_11target_archE906ELNS1_3gpuE6ELNS1_3repE0EEENS1_30default_config_static_selectorELNS0_4arch9wavefront6targetE0EEEvSK_: ; @_ZN7rocprim17ROCPRIM_400000_NS6detail17trampoline_kernelINS0_14default_configENS1_36segmented_radix_sort_config_selectorIslEEZNS1_25segmented_radix_sort_implIS3_Lb1EPKsPsPKlPlN2at6native12_GLOBAL__N_18offset_tEEE10hipError_tPvRmT1_PNSt15iterator_traitsISK_E10value_typeET2_T3_PNSL_ISQ_E10value_typeET4_jRbjT5_SW_jjP12ihipStream_tbEUlT_E2_NS1_11comp_targetILNS1_3genE2ELNS1_11target_archE906ELNS1_3gpuE6ELNS1_3repE0EEENS1_30default_config_static_selectorELNS0_4arch9wavefront6targetE0EEEvSK_
; %bb.0:
	.section	.rodata,"a",@progbits
	.p2align	6, 0x0
	.amdhsa_kernel _ZN7rocprim17ROCPRIM_400000_NS6detail17trampoline_kernelINS0_14default_configENS1_36segmented_radix_sort_config_selectorIslEEZNS1_25segmented_radix_sort_implIS3_Lb1EPKsPsPKlPlN2at6native12_GLOBAL__N_18offset_tEEE10hipError_tPvRmT1_PNSt15iterator_traitsISK_E10value_typeET2_T3_PNSL_ISQ_E10value_typeET4_jRbjT5_SW_jjP12ihipStream_tbEUlT_E2_NS1_11comp_targetILNS1_3genE2ELNS1_11target_archE906ELNS1_3gpuE6ELNS1_3repE0EEENS1_30default_config_static_selectorELNS0_4arch9wavefront6targetE0EEEvSK_
		.amdhsa_group_segment_fixed_size 0
		.amdhsa_private_segment_fixed_size 0
		.amdhsa_kernarg_size 80
		.amdhsa_user_sgpr_count 2
		.amdhsa_user_sgpr_dispatch_ptr 0
		.amdhsa_user_sgpr_queue_ptr 0
		.amdhsa_user_sgpr_kernarg_segment_ptr 1
		.amdhsa_user_sgpr_dispatch_id 0
		.amdhsa_user_sgpr_kernarg_preload_length 0
		.amdhsa_user_sgpr_kernarg_preload_offset 0
		.amdhsa_user_sgpr_private_segment_size 0
		.amdhsa_wavefront_size32 1
		.amdhsa_uses_dynamic_stack 0
		.amdhsa_enable_private_segment 0
		.amdhsa_system_sgpr_workgroup_id_x 1
		.amdhsa_system_sgpr_workgroup_id_y 0
		.amdhsa_system_sgpr_workgroup_id_z 0
		.amdhsa_system_sgpr_workgroup_info 0
		.amdhsa_system_vgpr_workitem_id 0
		.amdhsa_next_free_vgpr 1
		.amdhsa_next_free_sgpr 1
		.amdhsa_named_barrier_count 0
		.amdhsa_reserve_vcc 0
		.amdhsa_float_round_mode_32 0
		.amdhsa_float_round_mode_16_64 0
		.amdhsa_float_denorm_mode_32 3
		.amdhsa_float_denorm_mode_16_64 3
		.amdhsa_fp16_overflow 0
		.amdhsa_memory_ordered 1
		.amdhsa_forward_progress 1
		.amdhsa_inst_pref_size 0
		.amdhsa_round_robin_scheduling 0
		.amdhsa_exception_fp_ieee_invalid_op 0
		.amdhsa_exception_fp_denorm_src 0
		.amdhsa_exception_fp_ieee_div_zero 0
		.amdhsa_exception_fp_ieee_overflow 0
		.amdhsa_exception_fp_ieee_underflow 0
		.amdhsa_exception_fp_ieee_inexact 0
		.amdhsa_exception_int_div_zero 0
	.end_amdhsa_kernel
	.section	.text._ZN7rocprim17ROCPRIM_400000_NS6detail17trampoline_kernelINS0_14default_configENS1_36segmented_radix_sort_config_selectorIslEEZNS1_25segmented_radix_sort_implIS3_Lb1EPKsPsPKlPlN2at6native12_GLOBAL__N_18offset_tEEE10hipError_tPvRmT1_PNSt15iterator_traitsISK_E10value_typeET2_T3_PNSL_ISQ_E10value_typeET4_jRbjT5_SW_jjP12ihipStream_tbEUlT_E2_NS1_11comp_targetILNS1_3genE2ELNS1_11target_archE906ELNS1_3gpuE6ELNS1_3repE0EEENS1_30default_config_static_selectorELNS0_4arch9wavefront6targetE0EEEvSK_,"axG",@progbits,_ZN7rocprim17ROCPRIM_400000_NS6detail17trampoline_kernelINS0_14default_configENS1_36segmented_radix_sort_config_selectorIslEEZNS1_25segmented_radix_sort_implIS3_Lb1EPKsPsPKlPlN2at6native12_GLOBAL__N_18offset_tEEE10hipError_tPvRmT1_PNSt15iterator_traitsISK_E10value_typeET2_T3_PNSL_ISQ_E10value_typeET4_jRbjT5_SW_jjP12ihipStream_tbEUlT_E2_NS1_11comp_targetILNS1_3genE2ELNS1_11target_archE906ELNS1_3gpuE6ELNS1_3repE0EEENS1_30default_config_static_selectorELNS0_4arch9wavefront6targetE0EEEvSK_,comdat
.Lfunc_end940:
	.size	_ZN7rocprim17ROCPRIM_400000_NS6detail17trampoline_kernelINS0_14default_configENS1_36segmented_radix_sort_config_selectorIslEEZNS1_25segmented_radix_sort_implIS3_Lb1EPKsPsPKlPlN2at6native12_GLOBAL__N_18offset_tEEE10hipError_tPvRmT1_PNSt15iterator_traitsISK_E10value_typeET2_T3_PNSL_ISQ_E10value_typeET4_jRbjT5_SW_jjP12ihipStream_tbEUlT_E2_NS1_11comp_targetILNS1_3genE2ELNS1_11target_archE906ELNS1_3gpuE6ELNS1_3repE0EEENS1_30default_config_static_selectorELNS0_4arch9wavefront6targetE0EEEvSK_, .Lfunc_end940-_ZN7rocprim17ROCPRIM_400000_NS6detail17trampoline_kernelINS0_14default_configENS1_36segmented_radix_sort_config_selectorIslEEZNS1_25segmented_radix_sort_implIS3_Lb1EPKsPsPKlPlN2at6native12_GLOBAL__N_18offset_tEEE10hipError_tPvRmT1_PNSt15iterator_traitsISK_E10value_typeET2_T3_PNSL_ISQ_E10value_typeET4_jRbjT5_SW_jjP12ihipStream_tbEUlT_E2_NS1_11comp_targetILNS1_3genE2ELNS1_11target_archE906ELNS1_3gpuE6ELNS1_3repE0EEENS1_30default_config_static_selectorELNS0_4arch9wavefront6targetE0EEEvSK_
                                        ; -- End function
	.set _ZN7rocprim17ROCPRIM_400000_NS6detail17trampoline_kernelINS0_14default_configENS1_36segmented_radix_sort_config_selectorIslEEZNS1_25segmented_radix_sort_implIS3_Lb1EPKsPsPKlPlN2at6native12_GLOBAL__N_18offset_tEEE10hipError_tPvRmT1_PNSt15iterator_traitsISK_E10value_typeET2_T3_PNSL_ISQ_E10value_typeET4_jRbjT5_SW_jjP12ihipStream_tbEUlT_E2_NS1_11comp_targetILNS1_3genE2ELNS1_11target_archE906ELNS1_3gpuE6ELNS1_3repE0EEENS1_30default_config_static_selectorELNS0_4arch9wavefront6targetE0EEEvSK_.num_vgpr, 0
	.set _ZN7rocprim17ROCPRIM_400000_NS6detail17trampoline_kernelINS0_14default_configENS1_36segmented_radix_sort_config_selectorIslEEZNS1_25segmented_radix_sort_implIS3_Lb1EPKsPsPKlPlN2at6native12_GLOBAL__N_18offset_tEEE10hipError_tPvRmT1_PNSt15iterator_traitsISK_E10value_typeET2_T3_PNSL_ISQ_E10value_typeET4_jRbjT5_SW_jjP12ihipStream_tbEUlT_E2_NS1_11comp_targetILNS1_3genE2ELNS1_11target_archE906ELNS1_3gpuE6ELNS1_3repE0EEENS1_30default_config_static_selectorELNS0_4arch9wavefront6targetE0EEEvSK_.num_agpr, 0
	.set _ZN7rocprim17ROCPRIM_400000_NS6detail17trampoline_kernelINS0_14default_configENS1_36segmented_radix_sort_config_selectorIslEEZNS1_25segmented_radix_sort_implIS3_Lb1EPKsPsPKlPlN2at6native12_GLOBAL__N_18offset_tEEE10hipError_tPvRmT1_PNSt15iterator_traitsISK_E10value_typeET2_T3_PNSL_ISQ_E10value_typeET4_jRbjT5_SW_jjP12ihipStream_tbEUlT_E2_NS1_11comp_targetILNS1_3genE2ELNS1_11target_archE906ELNS1_3gpuE6ELNS1_3repE0EEENS1_30default_config_static_selectorELNS0_4arch9wavefront6targetE0EEEvSK_.numbered_sgpr, 0
	.set _ZN7rocprim17ROCPRIM_400000_NS6detail17trampoline_kernelINS0_14default_configENS1_36segmented_radix_sort_config_selectorIslEEZNS1_25segmented_radix_sort_implIS3_Lb1EPKsPsPKlPlN2at6native12_GLOBAL__N_18offset_tEEE10hipError_tPvRmT1_PNSt15iterator_traitsISK_E10value_typeET2_T3_PNSL_ISQ_E10value_typeET4_jRbjT5_SW_jjP12ihipStream_tbEUlT_E2_NS1_11comp_targetILNS1_3genE2ELNS1_11target_archE906ELNS1_3gpuE6ELNS1_3repE0EEENS1_30default_config_static_selectorELNS0_4arch9wavefront6targetE0EEEvSK_.num_named_barrier, 0
	.set _ZN7rocprim17ROCPRIM_400000_NS6detail17trampoline_kernelINS0_14default_configENS1_36segmented_radix_sort_config_selectorIslEEZNS1_25segmented_radix_sort_implIS3_Lb1EPKsPsPKlPlN2at6native12_GLOBAL__N_18offset_tEEE10hipError_tPvRmT1_PNSt15iterator_traitsISK_E10value_typeET2_T3_PNSL_ISQ_E10value_typeET4_jRbjT5_SW_jjP12ihipStream_tbEUlT_E2_NS1_11comp_targetILNS1_3genE2ELNS1_11target_archE906ELNS1_3gpuE6ELNS1_3repE0EEENS1_30default_config_static_selectorELNS0_4arch9wavefront6targetE0EEEvSK_.private_seg_size, 0
	.set _ZN7rocprim17ROCPRIM_400000_NS6detail17trampoline_kernelINS0_14default_configENS1_36segmented_radix_sort_config_selectorIslEEZNS1_25segmented_radix_sort_implIS3_Lb1EPKsPsPKlPlN2at6native12_GLOBAL__N_18offset_tEEE10hipError_tPvRmT1_PNSt15iterator_traitsISK_E10value_typeET2_T3_PNSL_ISQ_E10value_typeET4_jRbjT5_SW_jjP12ihipStream_tbEUlT_E2_NS1_11comp_targetILNS1_3genE2ELNS1_11target_archE906ELNS1_3gpuE6ELNS1_3repE0EEENS1_30default_config_static_selectorELNS0_4arch9wavefront6targetE0EEEvSK_.uses_vcc, 0
	.set _ZN7rocprim17ROCPRIM_400000_NS6detail17trampoline_kernelINS0_14default_configENS1_36segmented_radix_sort_config_selectorIslEEZNS1_25segmented_radix_sort_implIS3_Lb1EPKsPsPKlPlN2at6native12_GLOBAL__N_18offset_tEEE10hipError_tPvRmT1_PNSt15iterator_traitsISK_E10value_typeET2_T3_PNSL_ISQ_E10value_typeET4_jRbjT5_SW_jjP12ihipStream_tbEUlT_E2_NS1_11comp_targetILNS1_3genE2ELNS1_11target_archE906ELNS1_3gpuE6ELNS1_3repE0EEENS1_30default_config_static_selectorELNS0_4arch9wavefront6targetE0EEEvSK_.uses_flat_scratch, 0
	.set _ZN7rocprim17ROCPRIM_400000_NS6detail17trampoline_kernelINS0_14default_configENS1_36segmented_radix_sort_config_selectorIslEEZNS1_25segmented_radix_sort_implIS3_Lb1EPKsPsPKlPlN2at6native12_GLOBAL__N_18offset_tEEE10hipError_tPvRmT1_PNSt15iterator_traitsISK_E10value_typeET2_T3_PNSL_ISQ_E10value_typeET4_jRbjT5_SW_jjP12ihipStream_tbEUlT_E2_NS1_11comp_targetILNS1_3genE2ELNS1_11target_archE906ELNS1_3gpuE6ELNS1_3repE0EEENS1_30default_config_static_selectorELNS0_4arch9wavefront6targetE0EEEvSK_.has_dyn_sized_stack, 0
	.set _ZN7rocprim17ROCPRIM_400000_NS6detail17trampoline_kernelINS0_14default_configENS1_36segmented_radix_sort_config_selectorIslEEZNS1_25segmented_radix_sort_implIS3_Lb1EPKsPsPKlPlN2at6native12_GLOBAL__N_18offset_tEEE10hipError_tPvRmT1_PNSt15iterator_traitsISK_E10value_typeET2_T3_PNSL_ISQ_E10value_typeET4_jRbjT5_SW_jjP12ihipStream_tbEUlT_E2_NS1_11comp_targetILNS1_3genE2ELNS1_11target_archE906ELNS1_3gpuE6ELNS1_3repE0EEENS1_30default_config_static_selectorELNS0_4arch9wavefront6targetE0EEEvSK_.has_recursion, 0
	.set _ZN7rocprim17ROCPRIM_400000_NS6detail17trampoline_kernelINS0_14default_configENS1_36segmented_radix_sort_config_selectorIslEEZNS1_25segmented_radix_sort_implIS3_Lb1EPKsPsPKlPlN2at6native12_GLOBAL__N_18offset_tEEE10hipError_tPvRmT1_PNSt15iterator_traitsISK_E10value_typeET2_T3_PNSL_ISQ_E10value_typeET4_jRbjT5_SW_jjP12ihipStream_tbEUlT_E2_NS1_11comp_targetILNS1_3genE2ELNS1_11target_archE906ELNS1_3gpuE6ELNS1_3repE0EEENS1_30default_config_static_selectorELNS0_4arch9wavefront6targetE0EEEvSK_.has_indirect_call, 0
	.section	.AMDGPU.csdata,"",@progbits
; Kernel info:
; codeLenInByte = 0
; TotalNumSgprs: 0
; NumVgprs: 0
; ScratchSize: 0
; MemoryBound: 0
; FloatMode: 240
; IeeeMode: 1
; LDSByteSize: 0 bytes/workgroup (compile time only)
; SGPRBlocks: 0
; VGPRBlocks: 0
; NumSGPRsForWavesPerEU: 1
; NumVGPRsForWavesPerEU: 1
; NamedBarCnt: 0
; Occupancy: 16
; WaveLimiterHint : 0
; COMPUTE_PGM_RSRC2:SCRATCH_EN: 0
; COMPUTE_PGM_RSRC2:USER_SGPR: 2
; COMPUTE_PGM_RSRC2:TRAP_HANDLER: 0
; COMPUTE_PGM_RSRC2:TGID_X_EN: 1
; COMPUTE_PGM_RSRC2:TGID_Y_EN: 0
; COMPUTE_PGM_RSRC2:TGID_Z_EN: 0
; COMPUTE_PGM_RSRC2:TIDIG_COMP_CNT: 0
	.section	.text._ZN7rocprim17ROCPRIM_400000_NS6detail17trampoline_kernelINS0_14default_configENS1_36segmented_radix_sort_config_selectorIslEEZNS1_25segmented_radix_sort_implIS3_Lb1EPKsPsPKlPlN2at6native12_GLOBAL__N_18offset_tEEE10hipError_tPvRmT1_PNSt15iterator_traitsISK_E10value_typeET2_T3_PNSL_ISQ_E10value_typeET4_jRbjT5_SW_jjP12ihipStream_tbEUlT_E2_NS1_11comp_targetILNS1_3genE10ELNS1_11target_archE1201ELNS1_3gpuE5ELNS1_3repE0EEENS1_30default_config_static_selectorELNS0_4arch9wavefront6targetE0EEEvSK_,"axG",@progbits,_ZN7rocprim17ROCPRIM_400000_NS6detail17trampoline_kernelINS0_14default_configENS1_36segmented_radix_sort_config_selectorIslEEZNS1_25segmented_radix_sort_implIS3_Lb1EPKsPsPKlPlN2at6native12_GLOBAL__N_18offset_tEEE10hipError_tPvRmT1_PNSt15iterator_traitsISK_E10value_typeET2_T3_PNSL_ISQ_E10value_typeET4_jRbjT5_SW_jjP12ihipStream_tbEUlT_E2_NS1_11comp_targetILNS1_3genE10ELNS1_11target_archE1201ELNS1_3gpuE5ELNS1_3repE0EEENS1_30default_config_static_selectorELNS0_4arch9wavefront6targetE0EEEvSK_,comdat
	.globl	_ZN7rocprim17ROCPRIM_400000_NS6detail17trampoline_kernelINS0_14default_configENS1_36segmented_radix_sort_config_selectorIslEEZNS1_25segmented_radix_sort_implIS3_Lb1EPKsPsPKlPlN2at6native12_GLOBAL__N_18offset_tEEE10hipError_tPvRmT1_PNSt15iterator_traitsISK_E10value_typeET2_T3_PNSL_ISQ_E10value_typeET4_jRbjT5_SW_jjP12ihipStream_tbEUlT_E2_NS1_11comp_targetILNS1_3genE10ELNS1_11target_archE1201ELNS1_3gpuE5ELNS1_3repE0EEENS1_30default_config_static_selectorELNS0_4arch9wavefront6targetE0EEEvSK_ ; -- Begin function _ZN7rocprim17ROCPRIM_400000_NS6detail17trampoline_kernelINS0_14default_configENS1_36segmented_radix_sort_config_selectorIslEEZNS1_25segmented_radix_sort_implIS3_Lb1EPKsPsPKlPlN2at6native12_GLOBAL__N_18offset_tEEE10hipError_tPvRmT1_PNSt15iterator_traitsISK_E10value_typeET2_T3_PNSL_ISQ_E10value_typeET4_jRbjT5_SW_jjP12ihipStream_tbEUlT_E2_NS1_11comp_targetILNS1_3genE10ELNS1_11target_archE1201ELNS1_3gpuE5ELNS1_3repE0EEENS1_30default_config_static_selectorELNS0_4arch9wavefront6targetE0EEEvSK_
	.p2align	8
	.type	_ZN7rocprim17ROCPRIM_400000_NS6detail17trampoline_kernelINS0_14default_configENS1_36segmented_radix_sort_config_selectorIslEEZNS1_25segmented_radix_sort_implIS3_Lb1EPKsPsPKlPlN2at6native12_GLOBAL__N_18offset_tEEE10hipError_tPvRmT1_PNSt15iterator_traitsISK_E10value_typeET2_T3_PNSL_ISQ_E10value_typeET4_jRbjT5_SW_jjP12ihipStream_tbEUlT_E2_NS1_11comp_targetILNS1_3genE10ELNS1_11target_archE1201ELNS1_3gpuE5ELNS1_3repE0EEENS1_30default_config_static_selectorELNS0_4arch9wavefront6targetE0EEEvSK_,@function
_ZN7rocprim17ROCPRIM_400000_NS6detail17trampoline_kernelINS0_14default_configENS1_36segmented_radix_sort_config_selectorIslEEZNS1_25segmented_radix_sort_implIS3_Lb1EPKsPsPKlPlN2at6native12_GLOBAL__N_18offset_tEEE10hipError_tPvRmT1_PNSt15iterator_traitsISK_E10value_typeET2_T3_PNSL_ISQ_E10value_typeET4_jRbjT5_SW_jjP12ihipStream_tbEUlT_E2_NS1_11comp_targetILNS1_3genE10ELNS1_11target_archE1201ELNS1_3gpuE5ELNS1_3repE0EEENS1_30default_config_static_selectorELNS0_4arch9wavefront6targetE0EEEvSK_: ; @_ZN7rocprim17ROCPRIM_400000_NS6detail17trampoline_kernelINS0_14default_configENS1_36segmented_radix_sort_config_selectorIslEEZNS1_25segmented_radix_sort_implIS3_Lb1EPKsPsPKlPlN2at6native12_GLOBAL__N_18offset_tEEE10hipError_tPvRmT1_PNSt15iterator_traitsISK_E10value_typeET2_T3_PNSL_ISQ_E10value_typeET4_jRbjT5_SW_jjP12ihipStream_tbEUlT_E2_NS1_11comp_targetILNS1_3genE10ELNS1_11target_archE1201ELNS1_3gpuE5ELNS1_3repE0EEENS1_30default_config_static_selectorELNS0_4arch9wavefront6targetE0EEEvSK_
; %bb.0:
	.section	.rodata,"a",@progbits
	.p2align	6, 0x0
	.amdhsa_kernel _ZN7rocprim17ROCPRIM_400000_NS6detail17trampoline_kernelINS0_14default_configENS1_36segmented_radix_sort_config_selectorIslEEZNS1_25segmented_radix_sort_implIS3_Lb1EPKsPsPKlPlN2at6native12_GLOBAL__N_18offset_tEEE10hipError_tPvRmT1_PNSt15iterator_traitsISK_E10value_typeET2_T3_PNSL_ISQ_E10value_typeET4_jRbjT5_SW_jjP12ihipStream_tbEUlT_E2_NS1_11comp_targetILNS1_3genE10ELNS1_11target_archE1201ELNS1_3gpuE5ELNS1_3repE0EEENS1_30default_config_static_selectorELNS0_4arch9wavefront6targetE0EEEvSK_
		.amdhsa_group_segment_fixed_size 0
		.amdhsa_private_segment_fixed_size 0
		.amdhsa_kernarg_size 80
		.amdhsa_user_sgpr_count 2
		.amdhsa_user_sgpr_dispatch_ptr 0
		.amdhsa_user_sgpr_queue_ptr 0
		.amdhsa_user_sgpr_kernarg_segment_ptr 1
		.amdhsa_user_sgpr_dispatch_id 0
		.amdhsa_user_sgpr_kernarg_preload_length 0
		.amdhsa_user_sgpr_kernarg_preload_offset 0
		.amdhsa_user_sgpr_private_segment_size 0
		.amdhsa_wavefront_size32 1
		.amdhsa_uses_dynamic_stack 0
		.amdhsa_enable_private_segment 0
		.amdhsa_system_sgpr_workgroup_id_x 1
		.amdhsa_system_sgpr_workgroup_id_y 0
		.amdhsa_system_sgpr_workgroup_id_z 0
		.amdhsa_system_sgpr_workgroup_info 0
		.amdhsa_system_vgpr_workitem_id 0
		.amdhsa_next_free_vgpr 1
		.amdhsa_next_free_sgpr 1
		.amdhsa_named_barrier_count 0
		.amdhsa_reserve_vcc 0
		.amdhsa_float_round_mode_32 0
		.amdhsa_float_round_mode_16_64 0
		.amdhsa_float_denorm_mode_32 3
		.amdhsa_float_denorm_mode_16_64 3
		.amdhsa_fp16_overflow 0
		.amdhsa_memory_ordered 1
		.amdhsa_forward_progress 1
		.amdhsa_inst_pref_size 0
		.amdhsa_round_robin_scheduling 0
		.amdhsa_exception_fp_ieee_invalid_op 0
		.amdhsa_exception_fp_denorm_src 0
		.amdhsa_exception_fp_ieee_div_zero 0
		.amdhsa_exception_fp_ieee_overflow 0
		.amdhsa_exception_fp_ieee_underflow 0
		.amdhsa_exception_fp_ieee_inexact 0
		.amdhsa_exception_int_div_zero 0
	.end_amdhsa_kernel
	.section	.text._ZN7rocprim17ROCPRIM_400000_NS6detail17trampoline_kernelINS0_14default_configENS1_36segmented_radix_sort_config_selectorIslEEZNS1_25segmented_radix_sort_implIS3_Lb1EPKsPsPKlPlN2at6native12_GLOBAL__N_18offset_tEEE10hipError_tPvRmT1_PNSt15iterator_traitsISK_E10value_typeET2_T3_PNSL_ISQ_E10value_typeET4_jRbjT5_SW_jjP12ihipStream_tbEUlT_E2_NS1_11comp_targetILNS1_3genE10ELNS1_11target_archE1201ELNS1_3gpuE5ELNS1_3repE0EEENS1_30default_config_static_selectorELNS0_4arch9wavefront6targetE0EEEvSK_,"axG",@progbits,_ZN7rocprim17ROCPRIM_400000_NS6detail17trampoline_kernelINS0_14default_configENS1_36segmented_radix_sort_config_selectorIslEEZNS1_25segmented_radix_sort_implIS3_Lb1EPKsPsPKlPlN2at6native12_GLOBAL__N_18offset_tEEE10hipError_tPvRmT1_PNSt15iterator_traitsISK_E10value_typeET2_T3_PNSL_ISQ_E10value_typeET4_jRbjT5_SW_jjP12ihipStream_tbEUlT_E2_NS1_11comp_targetILNS1_3genE10ELNS1_11target_archE1201ELNS1_3gpuE5ELNS1_3repE0EEENS1_30default_config_static_selectorELNS0_4arch9wavefront6targetE0EEEvSK_,comdat
.Lfunc_end941:
	.size	_ZN7rocprim17ROCPRIM_400000_NS6detail17trampoline_kernelINS0_14default_configENS1_36segmented_radix_sort_config_selectorIslEEZNS1_25segmented_radix_sort_implIS3_Lb1EPKsPsPKlPlN2at6native12_GLOBAL__N_18offset_tEEE10hipError_tPvRmT1_PNSt15iterator_traitsISK_E10value_typeET2_T3_PNSL_ISQ_E10value_typeET4_jRbjT5_SW_jjP12ihipStream_tbEUlT_E2_NS1_11comp_targetILNS1_3genE10ELNS1_11target_archE1201ELNS1_3gpuE5ELNS1_3repE0EEENS1_30default_config_static_selectorELNS0_4arch9wavefront6targetE0EEEvSK_, .Lfunc_end941-_ZN7rocprim17ROCPRIM_400000_NS6detail17trampoline_kernelINS0_14default_configENS1_36segmented_radix_sort_config_selectorIslEEZNS1_25segmented_radix_sort_implIS3_Lb1EPKsPsPKlPlN2at6native12_GLOBAL__N_18offset_tEEE10hipError_tPvRmT1_PNSt15iterator_traitsISK_E10value_typeET2_T3_PNSL_ISQ_E10value_typeET4_jRbjT5_SW_jjP12ihipStream_tbEUlT_E2_NS1_11comp_targetILNS1_3genE10ELNS1_11target_archE1201ELNS1_3gpuE5ELNS1_3repE0EEENS1_30default_config_static_selectorELNS0_4arch9wavefront6targetE0EEEvSK_
                                        ; -- End function
	.set _ZN7rocprim17ROCPRIM_400000_NS6detail17trampoline_kernelINS0_14default_configENS1_36segmented_radix_sort_config_selectorIslEEZNS1_25segmented_radix_sort_implIS3_Lb1EPKsPsPKlPlN2at6native12_GLOBAL__N_18offset_tEEE10hipError_tPvRmT1_PNSt15iterator_traitsISK_E10value_typeET2_T3_PNSL_ISQ_E10value_typeET4_jRbjT5_SW_jjP12ihipStream_tbEUlT_E2_NS1_11comp_targetILNS1_3genE10ELNS1_11target_archE1201ELNS1_3gpuE5ELNS1_3repE0EEENS1_30default_config_static_selectorELNS0_4arch9wavefront6targetE0EEEvSK_.num_vgpr, 0
	.set _ZN7rocprim17ROCPRIM_400000_NS6detail17trampoline_kernelINS0_14default_configENS1_36segmented_radix_sort_config_selectorIslEEZNS1_25segmented_radix_sort_implIS3_Lb1EPKsPsPKlPlN2at6native12_GLOBAL__N_18offset_tEEE10hipError_tPvRmT1_PNSt15iterator_traitsISK_E10value_typeET2_T3_PNSL_ISQ_E10value_typeET4_jRbjT5_SW_jjP12ihipStream_tbEUlT_E2_NS1_11comp_targetILNS1_3genE10ELNS1_11target_archE1201ELNS1_3gpuE5ELNS1_3repE0EEENS1_30default_config_static_selectorELNS0_4arch9wavefront6targetE0EEEvSK_.num_agpr, 0
	.set _ZN7rocprim17ROCPRIM_400000_NS6detail17trampoline_kernelINS0_14default_configENS1_36segmented_radix_sort_config_selectorIslEEZNS1_25segmented_radix_sort_implIS3_Lb1EPKsPsPKlPlN2at6native12_GLOBAL__N_18offset_tEEE10hipError_tPvRmT1_PNSt15iterator_traitsISK_E10value_typeET2_T3_PNSL_ISQ_E10value_typeET4_jRbjT5_SW_jjP12ihipStream_tbEUlT_E2_NS1_11comp_targetILNS1_3genE10ELNS1_11target_archE1201ELNS1_3gpuE5ELNS1_3repE0EEENS1_30default_config_static_selectorELNS0_4arch9wavefront6targetE0EEEvSK_.numbered_sgpr, 0
	.set _ZN7rocprim17ROCPRIM_400000_NS6detail17trampoline_kernelINS0_14default_configENS1_36segmented_radix_sort_config_selectorIslEEZNS1_25segmented_radix_sort_implIS3_Lb1EPKsPsPKlPlN2at6native12_GLOBAL__N_18offset_tEEE10hipError_tPvRmT1_PNSt15iterator_traitsISK_E10value_typeET2_T3_PNSL_ISQ_E10value_typeET4_jRbjT5_SW_jjP12ihipStream_tbEUlT_E2_NS1_11comp_targetILNS1_3genE10ELNS1_11target_archE1201ELNS1_3gpuE5ELNS1_3repE0EEENS1_30default_config_static_selectorELNS0_4arch9wavefront6targetE0EEEvSK_.num_named_barrier, 0
	.set _ZN7rocprim17ROCPRIM_400000_NS6detail17trampoline_kernelINS0_14default_configENS1_36segmented_radix_sort_config_selectorIslEEZNS1_25segmented_radix_sort_implIS3_Lb1EPKsPsPKlPlN2at6native12_GLOBAL__N_18offset_tEEE10hipError_tPvRmT1_PNSt15iterator_traitsISK_E10value_typeET2_T3_PNSL_ISQ_E10value_typeET4_jRbjT5_SW_jjP12ihipStream_tbEUlT_E2_NS1_11comp_targetILNS1_3genE10ELNS1_11target_archE1201ELNS1_3gpuE5ELNS1_3repE0EEENS1_30default_config_static_selectorELNS0_4arch9wavefront6targetE0EEEvSK_.private_seg_size, 0
	.set _ZN7rocprim17ROCPRIM_400000_NS6detail17trampoline_kernelINS0_14default_configENS1_36segmented_radix_sort_config_selectorIslEEZNS1_25segmented_radix_sort_implIS3_Lb1EPKsPsPKlPlN2at6native12_GLOBAL__N_18offset_tEEE10hipError_tPvRmT1_PNSt15iterator_traitsISK_E10value_typeET2_T3_PNSL_ISQ_E10value_typeET4_jRbjT5_SW_jjP12ihipStream_tbEUlT_E2_NS1_11comp_targetILNS1_3genE10ELNS1_11target_archE1201ELNS1_3gpuE5ELNS1_3repE0EEENS1_30default_config_static_selectorELNS0_4arch9wavefront6targetE0EEEvSK_.uses_vcc, 0
	.set _ZN7rocprim17ROCPRIM_400000_NS6detail17trampoline_kernelINS0_14default_configENS1_36segmented_radix_sort_config_selectorIslEEZNS1_25segmented_radix_sort_implIS3_Lb1EPKsPsPKlPlN2at6native12_GLOBAL__N_18offset_tEEE10hipError_tPvRmT1_PNSt15iterator_traitsISK_E10value_typeET2_T3_PNSL_ISQ_E10value_typeET4_jRbjT5_SW_jjP12ihipStream_tbEUlT_E2_NS1_11comp_targetILNS1_3genE10ELNS1_11target_archE1201ELNS1_3gpuE5ELNS1_3repE0EEENS1_30default_config_static_selectorELNS0_4arch9wavefront6targetE0EEEvSK_.uses_flat_scratch, 0
	.set _ZN7rocprim17ROCPRIM_400000_NS6detail17trampoline_kernelINS0_14default_configENS1_36segmented_radix_sort_config_selectorIslEEZNS1_25segmented_radix_sort_implIS3_Lb1EPKsPsPKlPlN2at6native12_GLOBAL__N_18offset_tEEE10hipError_tPvRmT1_PNSt15iterator_traitsISK_E10value_typeET2_T3_PNSL_ISQ_E10value_typeET4_jRbjT5_SW_jjP12ihipStream_tbEUlT_E2_NS1_11comp_targetILNS1_3genE10ELNS1_11target_archE1201ELNS1_3gpuE5ELNS1_3repE0EEENS1_30default_config_static_selectorELNS0_4arch9wavefront6targetE0EEEvSK_.has_dyn_sized_stack, 0
	.set _ZN7rocprim17ROCPRIM_400000_NS6detail17trampoline_kernelINS0_14default_configENS1_36segmented_radix_sort_config_selectorIslEEZNS1_25segmented_radix_sort_implIS3_Lb1EPKsPsPKlPlN2at6native12_GLOBAL__N_18offset_tEEE10hipError_tPvRmT1_PNSt15iterator_traitsISK_E10value_typeET2_T3_PNSL_ISQ_E10value_typeET4_jRbjT5_SW_jjP12ihipStream_tbEUlT_E2_NS1_11comp_targetILNS1_3genE10ELNS1_11target_archE1201ELNS1_3gpuE5ELNS1_3repE0EEENS1_30default_config_static_selectorELNS0_4arch9wavefront6targetE0EEEvSK_.has_recursion, 0
	.set _ZN7rocprim17ROCPRIM_400000_NS6detail17trampoline_kernelINS0_14default_configENS1_36segmented_radix_sort_config_selectorIslEEZNS1_25segmented_radix_sort_implIS3_Lb1EPKsPsPKlPlN2at6native12_GLOBAL__N_18offset_tEEE10hipError_tPvRmT1_PNSt15iterator_traitsISK_E10value_typeET2_T3_PNSL_ISQ_E10value_typeET4_jRbjT5_SW_jjP12ihipStream_tbEUlT_E2_NS1_11comp_targetILNS1_3genE10ELNS1_11target_archE1201ELNS1_3gpuE5ELNS1_3repE0EEENS1_30default_config_static_selectorELNS0_4arch9wavefront6targetE0EEEvSK_.has_indirect_call, 0
	.section	.AMDGPU.csdata,"",@progbits
; Kernel info:
; codeLenInByte = 0
; TotalNumSgprs: 0
; NumVgprs: 0
; ScratchSize: 0
; MemoryBound: 0
; FloatMode: 240
; IeeeMode: 1
; LDSByteSize: 0 bytes/workgroup (compile time only)
; SGPRBlocks: 0
; VGPRBlocks: 0
; NumSGPRsForWavesPerEU: 1
; NumVGPRsForWavesPerEU: 1
; NamedBarCnt: 0
; Occupancy: 16
; WaveLimiterHint : 0
; COMPUTE_PGM_RSRC2:SCRATCH_EN: 0
; COMPUTE_PGM_RSRC2:USER_SGPR: 2
; COMPUTE_PGM_RSRC2:TRAP_HANDLER: 0
; COMPUTE_PGM_RSRC2:TGID_X_EN: 1
; COMPUTE_PGM_RSRC2:TGID_Y_EN: 0
; COMPUTE_PGM_RSRC2:TGID_Z_EN: 0
; COMPUTE_PGM_RSRC2:TIDIG_COMP_CNT: 0
	.section	.text._ZN7rocprim17ROCPRIM_400000_NS6detail17trampoline_kernelINS0_14default_configENS1_36segmented_radix_sort_config_selectorIslEEZNS1_25segmented_radix_sort_implIS3_Lb1EPKsPsPKlPlN2at6native12_GLOBAL__N_18offset_tEEE10hipError_tPvRmT1_PNSt15iterator_traitsISK_E10value_typeET2_T3_PNSL_ISQ_E10value_typeET4_jRbjT5_SW_jjP12ihipStream_tbEUlT_E2_NS1_11comp_targetILNS1_3genE10ELNS1_11target_archE1200ELNS1_3gpuE4ELNS1_3repE0EEENS1_30default_config_static_selectorELNS0_4arch9wavefront6targetE0EEEvSK_,"axG",@progbits,_ZN7rocprim17ROCPRIM_400000_NS6detail17trampoline_kernelINS0_14default_configENS1_36segmented_radix_sort_config_selectorIslEEZNS1_25segmented_radix_sort_implIS3_Lb1EPKsPsPKlPlN2at6native12_GLOBAL__N_18offset_tEEE10hipError_tPvRmT1_PNSt15iterator_traitsISK_E10value_typeET2_T3_PNSL_ISQ_E10value_typeET4_jRbjT5_SW_jjP12ihipStream_tbEUlT_E2_NS1_11comp_targetILNS1_3genE10ELNS1_11target_archE1200ELNS1_3gpuE4ELNS1_3repE0EEENS1_30default_config_static_selectorELNS0_4arch9wavefront6targetE0EEEvSK_,comdat
	.globl	_ZN7rocprim17ROCPRIM_400000_NS6detail17trampoline_kernelINS0_14default_configENS1_36segmented_radix_sort_config_selectorIslEEZNS1_25segmented_radix_sort_implIS3_Lb1EPKsPsPKlPlN2at6native12_GLOBAL__N_18offset_tEEE10hipError_tPvRmT1_PNSt15iterator_traitsISK_E10value_typeET2_T3_PNSL_ISQ_E10value_typeET4_jRbjT5_SW_jjP12ihipStream_tbEUlT_E2_NS1_11comp_targetILNS1_3genE10ELNS1_11target_archE1200ELNS1_3gpuE4ELNS1_3repE0EEENS1_30default_config_static_selectorELNS0_4arch9wavefront6targetE0EEEvSK_ ; -- Begin function _ZN7rocprim17ROCPRIM_400000_NS6detail17trampoline_kernelINS0_14default_configENS1_36segmented_radix_sort_config_selectorIslEEZNS1_25segmented_radix_sort_implIS3_Lb1EPKsPsPKlPlN2at6native12_GLOBAL__N_18offset_tEEE10hipError_tPvRmT1_PNSt15iterator_traitsISK_E10value_typeET2_T3_PNSL_ISQ_E10value_typeET4_jRbjT5_SW_jjP12ihipStream_tbEUlT_E2_NS1_11comp_targetILNS1_3genE10ELNS1_11target_archE1200ELNS1_3gpuE4ELNS1_3repE0EEENS1_30default_config_static_selectorELNS0_4arch9wavefront6targetE0EEEvSK_
	.p2align	8
	.type	_ZN7rocprim17ROCPRIM_400000_NS6detail17trampoline_kernelINS0_14default_configENS1_36segmented_radix_sort_config_selectorIslEEZNS1_25segmented_radix_sort_implIS3_Lb1EPKsPsPKlPlN2at6native12_GLOBAL__N_18offset_tEEE10hipError_tPvRmT1_PNSt15iterator_traitsISK_E10value_typeET2_T3_PNSL_ISQ_E10value_typeET4_jRbjT5_SW_jjP12ihipStream_tbEUlT_E2_NS1_11comp_targetILNS1_3genE10ELNS1_11target_archE1200ELNS1_3gpuE4ELNS1_3repE0EEENS1_30default_config_static_selectorELNS0_4arch9wavefront6targetE0EEEvSK_,@function
_ZN7rocprim17ROCPRIM_400000_NS6detail17trampoline_kernelINS0_14default_configENS1_36segmented_radix_sort_config_selectorIslEEZNS1_25segmented_radix_sort_implIS3_Lb1EPKsPsPKlPlN2at6native12_GLOBAL__N_18offset_tEEE10hipError_tPvRmT1_PNSt15iterator_traitsISK_E10value_typeET2_T3_PNSL_ISQ_E10value_typeET4_jRbjT5_SW_jjP12ihipStream_tbEUlT_E2_NS1_11comp_targetILNS1_3genE10ELNS1_11target_archE1200ELNS1_3gpuE4ELNS1_3repE0EEENS1_30default_config_static_selectorELNS0_4arch9wavefront6targetE0EEEvSK_: ; @_ZN7rocprim17ROCPRIM_400000_NS6detail17trampoline_kernelINS0_14default_configENS1_36segmented_radix_sort_config_selectorIslEEZNS1_25segmented_radix_sort_implIS3_Lb1EPKsPsPKlPlN2at6native12_GLOBAL__N_18offset_tEEE10hipError_tPvRmT1_PNSt15iterator_traitsISK_E10value_typeET2_T3_PNSL_ISQ_E10value_typeET4_jRbjT5_SW_jjP12ihipStream_tbEUlT_E2_NS1_11comp_targetILNS1_3genE10ELNS1_11target_archE1200ELNS1_3gpuE4ELNS1_3repE0EEENS1_30default_config_static_selectorELNS0_4arch9wavefront6targetE0EEEvSK_
; %bb.0:
	.section	.rodata,"a",@progbits
	.p2align	6, 0x0
	.amdhsa_kernel _ZN7rocprim17ROCPRIM_400000_NS6detail17trampoline_kernelINS0_14default_configENS1_36segmented_radix_sort_config_selectorIslEEZNS1_25segmented_radix_sort_implIS3_Lb1EPKsPsPKlPlN2at6native12_GLOBAL__N_18offset_tEEE10hipError_tPvRmT1_PNSt15iterator_traitsISK_E10value_typeET2_T3_PNSL_ISQ_E10value_typeET4_jRbjT5_SW_jjP12ihipStream_tbEUlT_E2_NS1_11comp_targetILNS1_3genE10ELNS1_11target_archE1200ELNS1_3gpuE4ELNS1_3repE0EEENS1_30default_config_static_selectorELNS0_4arch9wavefront6targetE0EEEvSK_
		.amdhsa_group_segment_fixed_size 0
		.amdhsa_private_segment_fixed_size 0
		.amdhsa_kernarg_size 80
		.amdhsa_user_sgpr_count 2
		.amdhsa_user_sgpr_dispatch_ptr 0
		.amdhsa_user_sgpr_queue_ptr 0
		.amdhsa_user_sgpr_kernarg_segment_ptr 1
		.amdhsa_user_sgpr_dispatch_id 0
		.amdhsa_user_sgpr_kernarg_preload_length 0
		.amdhsa_user_sgpr_kernarg_preload_offset 0
		.amdhsa_user_sgpr_private_segment_size 0
		.amdhsa_wavefront_size32 1
		.amdhsa_uses_dynamic_stack 0
		.amdhsa_enable_private_segment 0
		.amdhsa_system_sgpr_workgroup_id_x 1
		.amdhsa_system_sgpr_workgroup_id_y 0
		.amdhsa_system_sgpr_workgroup_id_z 0
		.amdhsa_system_sgpr_workgroup_info 0
		.amdhsa_system_vgpr_workitem_id 0
		.amdhsa_next_free_vgpr 1
		.amdhsa_next_free_sgpr 1
		.amdhsa_named_barrier_count 0
		.amdhsa_reserve_vcc 0
		.amdhsa_float_round_mode_32 0
		.amdhsa_float_round_mode_16_64 0
		.amdhsa_float_denorm_mode_32 3
		.amdhsa_float_denorm_mode_16_64 3
		.amdhsa_fp16_overflow 0
		.amdhsa_memory_ordered 1
		.amdhsa_forward_progress 1
		.amdhsa_inst_pref_size 0
		.amdhsa_round_robin_scheduling 0
		.amdhsa_exception_fp_ieee_invalid_op 0
		.amdhsa_exception_fp_denorm_src 0
		.amdhsa_exception_fp_ieee_div_zero 0
		.amdhsa_exception_fp_ieee_overflow 0
		.amdhsa_exception_fp_ieee_underflow 0
		.amdhsa_exception_fp_ieee_inexact 0
		.amdhsa_exception_int_div_zero 0
	.end_amdhsa_kernel
	.section	.text._ZN7rocprim17ROCPRIM_400000_NS6detail17trampoline_kernelINS0_14default_configENS1_36segmented_radix_sort_config_selectorIslEEZNS1_25segmented_radix_sort_implIS3_Lb1EPKsPsPKlPlN2at6native12_GLOBAL__N_18offset_tEEE10hipError_tPvRmT1_PNSt15iterator_traitsISK_E10value_typeET2_T3_PNSL_ISQ_E10value_typeET4_jRbjT5_SW_jjP12ihipStream_tbEUlT_E2_NS1_11comp_targetILNS1_3genE10ELNS1_11target_archE1200ELNS1_3gpuE4ELNS1_3repE0EEENS1_30default_config_static_selectorELNS0_4arch9wavefront6targetE0EEEvSK_,"axG",@progbits,_ZN7rocprim17ROCPRIM_400000_NS6detail17trampoline_kernelINS0_14default_configENS1_36segmented_radix_sort_config_selectorIslEEZNS1_25segmented_radix_sort_implIS3_Lb1EPKsPsPKlPlN2at6native12_GLOBAL__N_18offset_tEEE10hipError_tPvRmT1_PNSt15iterator_traitsISK_E10value_typeET2_T3_PNSL_ISQ_E10value_typeET4_jRbjT5_SW_jjP12ihipStream_tbEUlT_E2_NS1_11comp_targetILNS1_3genE10ELNS1_11target_archE1200ELNS1_3gpuE4ELNS1_3repE0EEENS1_30default_config_static_selectorELNS0_4arch9wavefront6targetE0EEEvSK_,comdat
.Lfunc_end942:
	.size	_ZN7rocprim17ROCPRIM_400000_NS6detail17trampoline_kernelINS0_14default_configENS1_36segmented_radix_sort_config_selectorIslEEZNS1_25segmented_radix_sort_implIS3_Lb1EPKsPsPKlPlN2at6native12_GLOBAL__N_18offset_tEEE10hipError_tPvRmT1_PNSt15iterator_traitsISK_E10value_typeET2_T3_PNSL_ISQ_E10value_typeET4_jRbjT5_SW_jjP12ihipStream_tbEUlT_E2_NS1_11comp_targetILNS1_3genE10ELNS1_11target_archE1200ELNS1_3gpuE4ELNS1_3repE0EEENS1_30default_config_static_selectorELNS0_4arch9wavefront6targetE0EEEvSK_, .Lfunc_end942-_ZN7rocprim17ROCPRIM_400000_NS6detail17trampoline_kernelINS0_14default_configENS1_36segmented_radix_sort_config_selectorIslEEZNS1_25segmented_radix_sort_implIS3_Lb1EPKsPsPKlPlN2at6native12_GLOBAL__N_18offset_tEEE10hipError_tPvRmT1_PNSt15iterator_traitsISK_E10value_typeET2_T3_PNSL_ISQ_E10value_typeET4_jRbjT5_SW_jjP12ihipStream_tbEUlT_E2_NS1_11comp_targetILNS1_3genE10ELNS1_11target_archE1200ELNS1_3gpuE4ELNS1_3repE0EEENS1_30default_config_static_selectorELNS0_4arch9wavefront6targetE0EEEvSK_
                                        ; -- End function
	.set _ZN7rocprim17ROCPRIM_400000_NS6detail17trampoline_kernelINS0_14default_configENS1_36segmented_radix_sort_config_selectorIslEEZNS1_25segmented_radix_sort_implIS3_Lb1EPKsPsPKlPlN2at6native12_GLOBAL__N_18offset_tEEE10hipError_tPvRmT1_PNSt15iterator_traitsISK_E10value_typeET2_T3_PNSL_ISQ_E10value_typeET4_jRbjT5_SW_jjP12ihipStream_tbEUlT_E2_NS1_11comp_targetILNS1_3genE10ELNS1_11target_archE1200ELNS1_3gpuE4ELNS1_3repE0EEENS1_30default_config_static_selectorELNS0_4arch9wavefront6targetE0EEEvSK_.num_vgpr, 0
	.set _ZN7rocprim17ROCPRIM_400000_NS6detail17trampoline_kernelINS0_14default_configENS1_36segmented_radix_sort_config_selectorIslEEZNS1_25segmented_radix_sort_implIS3_Lb1EPKsPsPKlPlN2at6native12_GLOBAL__N_18offset_tEEE10hipError_tPvRmT1_PNSt15iterator_traitsISK_E10value_typeET2_T3_PNSL_ISQ_E10value_typeET4_jRbjT5_SW_jjP12ihipStream_tbEUlT_E2_NS1_11comp_targetILNS1_3genE10ELNS1_11target_archE1200ELNS1_3gpuE4ELNS1_3repE0EEENS1_30default_config_static_selectorELNS0_4arch9wavefront6targetE0EEEvSK_.num_agpr, 0
	.set _ZN7rocprim17ROCPRIM_400000_NS6detail17trampoline_kernelINS0_14default_configENS1_36segmented_radix_sort_config_selectorIslEEZNS1_25segmented_radix_sort_implIS3_Lb1EPKsPsPKlPlN2at6native12_GLOBAL__N_18offset_tEEE10hipError_tPvRmT1_PNSt15iterator_traitsISK_E10value_typeET2_T3_PNSL_ISQ_E10value_typeET4_jRbjT5_SW_jjP12ihipStream_tbEUlT_E2_NS1_11comp_targetILNS1_3genE10ELNS1_11target_archE1200ELNS1_3gpuE4ELNS1_3repE0EEENS1_30default_config_static_selectorELNS0_4arch9wavefront6targetE0EEEvSK_.numbered_sgpr, 0
	.set _ZN7rocprim17ROCPRIM_400000_NS6detail17trampoline_kernelINS0_14default_configENS1_36segmented_radix_sort_config_selectorIslEEZNS1_25segmented_radix_sort_implIS3_Lb1EPKsPsPKlPlN2at6native12_GLOBAL__N_18offset_tEEE10hipError_tPvRmT1_PNSt15iterator_traitsISK_E10value_typeET2_T3_PNSL_ISQ_E10value_typeET4_jRbjT5_SW_jjP12ihipStream_tbEUlT_E2_NS1_11comp_targetILNS1_3genE10ELNS1_11target_archE1200ELNS1_3gpuE4ELNS1_3repE0EEENS1_30default_config_static_selectorELNS0_4arch9wavefront6targetE0EEEvSK_.num_named_barrier, 0
	.set _ZN7rocprim17ROCPRIM_400000_NS6detail17trampoline_kernelINS0_14default_configENS1_36segmented_radix_sort_config_selectorIslEEZNS1_25segmented_radix_sort_implIS3_Lb1EPKsPsPKlPlN2at6native12_GLOBAL__N_18offset_tEEE10hipError_tPvRmT1_PNSt15iterator_traitsISK_E10value_typeET2_T3_PNSL_ISQ_E10value_typeET4_jRbjT5_SW_jjP12ihipStream_tbEUlT_E2_NS1_11comp_targetILNS1_3genE10ELNS1_11target_archE1200ELNS1_3gpuE4ELNS1_3repE0EEENS1_30default_config_static_selectorELNS0_4arch9wavefront6targetE0EEEvSK_.private_seg_size, 0
	.set _ZN7rocprim17ROCPRIM_400000_NS6detail17trampoline_kernelINS0_14default_configENS1_36segmented_radix_sort_config_selectorIslEEZNS1_25segmented_radix_sort_implIS3_Lb1EPKsPsPKlPlN2at6native12_GLOBAL__N_18offset_tEEE10hipError_tPvRmT1_PNSt15iterator_traitsISK_E10value_typeET2_T3_PNSL_ISQ_E10value_typeET4_jRbjT5_SW_jjP12ihipStream_tbEUlT_E2_NS1_11comp_targetILNS1_3genE10ELNS1_11target_archE1200ELNS1_3gpuE4ELNS1_3repE0EEENS1_30default_config_static_selectorELNS0_4arch9wavefront6targetE0EEEvSK_.uses_vcc, 0
	.set _ZN7rocprim17ROCPRIM_400000_NS6detail17trampoline_kernelINS0_14default_configENS1_36segmented_radix_sort_config_selectorIslEEZNS1_25segmented_radix_sort_implIS3_Lb1EPKsPsPKlPlN2at6native12_GLOBAL__N_18offset_tEEE10hipError_tPvRmT1_PNSt15iterator_traitsISK_E10value_typeET2_T3_PNSL_ISQ_E10value_typeET4_jRbjT5_SW_jjP12ihipStream_tbEUlT_E2_NS1_11comp_targetILNS1_3genE10ELNS1_11target_archE1200ELNS1_3gpuE4ELNS1_3repE0EEENS1_30default_config_static_selectorELNS0_4arch9wavefront6targetE0EEEvSK_.uses_flat_scratch, 0
	.set _ZN7rocprim17ROCPRIM_400000_NS6detail17trampoline_kernelINS0_14default_configENS1_36segmented_radix_sort_config_selectorIslEEZNS1_25segmented_radix_sort_implIS3_Lb1EPKsPsPKlPlN2at6native12_GLOBAL__N_18offset_tEEE10hipError_tPvRmT1_PNSt15iterator_traitsISK_E10value_typeET2_T3_PNSL_ISQ_E10value_typeET4_jRbjT5_SW_jjP12ihipStream_tbEUlT_E2_NS1_11comp_targetILNS1_3genE10ELNS1_11target_archE1200ELNS1_3gpuE4ELNS1_3repE0EEENS1_30default_config_static_selectorELNS0_4arch9wavefront6targetE0EEEvSK_.has_dyn_sized_stack, 0
	.set _ZN7rocprim17ROCPRIM_400000_NS6detail17trampoline_kernelINS0_14default_configENS1_36segmented_radix_sort_config_selectorIslEEZNS1_25segmented_radix_sort_implIS3_Lb1EPKsPsPKlPlN2at6native12_GLOBAL__N_18offset_tEEE10hipError_tPvRmT1_PNSt15iterator_traitsISK_E10value_typeET2_T3_PNSL_ISQ_E10value_typeET4_jRbjT5_SW_jjP12ihipStream_tbEUlT_E2_NS1_11comp_targetILNS1_3genE10ELNS1_11target_archE1200ELNS1_3gpuE4ELNS1_3repE0EEENS1_30default_config_static_selectorELNS0_4arch9wavefront6targetE0EEEvSK_.has_recursion, 0
	.set _ZN7rocprim17ROCPRIM_400000_NS6detail17trampoline_kernelINS0_14default_configENS1_36segmented_radix_sort_config_selectorIslEEZNS1_25segmented_radix_sort_implIS3_Lb1EPKsPsPKlPlN2at6native12_GLOBAL__N_18offset_tEEE10hipError_tPvRmT1_PNSt15iterator_traitsISK_E10value_typeET2_T3_PNSL_ISQ_E10value_typeET4_jRbjT5_SW_jjP12ihipStream_tbEUlT_E2_NS1_11comp_targetILNS1_3genE10ELNS1_11target_archE1200ELNS1_3gpuE4ELNS1_3repE0EEENS1_30default_config_static_selectorELNS0_4arch9wavefront6targetE0EEEvSK_.has_indirect_call, 0
	.section	.AMDGPU.csdata,"",@progbits
; Kernel info:
; codeLenInByte = 0
; TotalNumSgprs: 0
; NumVgprs: 0
; ScratchSize: 0
; MemoryBound: 0
; FloatMode: 240
; IeeeMode: 1
; LDSByteSize: 0 bytes/workgroup (compile time only)
; SGPRBlocks: 0
; VGPRBlocks: 0
; NumSGPRsForWavesPerEU: 1
; NumVGPRsForWavesPerEU: 1
; NamedBarCnt: 0
; Occupancy: 16
; WaveLimiterHint : 0
; COMPUTE_PGM_RSRC2:SCRATCH_EN: 0
; COMPUTE_PGM_RSRC2:USER_SGPR: 2
; COMPUTE_PGM_RSRC2:TRAP_HANDLER: 0
; COMPUTE_PGM_RSRC2:TGID_X_EN: 1
; COMPUTE_PGM_RSRC2:TGID_Y_EN: 0
; COMPUTE_PGM_RSRC2:TGID_Z_EN: 0
; COMPUTE_PGM_RSRC2:TIDIG_COMP_CNT: 0
	.section	.text._ZN7rocprim17ROCPRIM_400000_NS6detail17trampoline_kernelINS0_14default_configENS1_36segmented_radix_sort_config_selectorIslEEZNS1_25segmented_radix_sort_implIS3_Lb1EPKsPsPKlPlN2at6native12_GLOBAL__N_18offset_tEEE10hipError_tPvRmT1_PNSt15iterator_traitsISK_E10value_typeET2_T3_PNSL_ISQ_E10value_typeET4_jRbjT5_SW_jjP12ihipStream_tbEUlT_E2_NS1_11comp_targetILNS1_3genE9ELNS1_11target_archE1100ELNS1_3gpuE3ELNS1_3repE0EEENS1_30default_config_static_selectorELNS0_4arch9wavefront6targetE0EEEvSK_,"axG",@progbits,_ZN7rocprim17ROCPRIM_400000_NS6detail17trampoline_kernelINS0_14default_configENS1_36segmented_radix_sort_config_selectorIslEEZNS1_25segmented_radix_sort_implIS3_Lb1EPKsPsPKlPlN2at6native12_GLOBAL__N_18offset_tEEE10hipError_tPvRmT1_PNSt15iterator_traitsISK_E10value_typeET2_T3_PNSL_ISQ_E10value_typeET4_jRbjT5_SW_jjP12ihipStream_tbEUlT_E2_NS1_11comp_targetILNS1_3genE9ELNS1_11target_archE1100ELNS1_3gpuE3ELNS1_3repE0EEENS1_30default_config_static_selectorELNS0_4arch9wavefront6targetE0EEEvSK_,comdat
	.globl	_ZN7rocprim17ROCPRIM_400000_NS6detail17trampoline_kernelINS0_14default_configENS1_36segmented_radix_sort_config_selectorIslEEZNS1_25segmented_radix_sort_implIS3_Lb1EPKsPsPKlPlN2at6native12_GLOBAL__N_18offset_tEEE10hipError_tPvRmT1_PNSt15iterator_traitsISK_E10value_typeET2_T3_PNSL_ISQ_E10value_typeET4_jRbjT5_SW_jjP12ihipStream_tbEUlT_E2_NS1_11comp_targetILNS1_3genE9ELNS1_11target_archE1100ELNS1_3gpuE3ELNS1_3repE0EEENS1_30default_config_static_selectorELNS0_4arch9wavefront6targetE0EEEvSK_ ; -- Begin function _ZN7rocprim17ROCPRIM_400000_NS6detail17trampoline_kernelINS0_14default_configENS1_36segmented_radix_sort_config_selectorIslEEZNS1_25segmented_radix_sort_implIS3_Lb1EPKsPsPKlPlN2at6native12_GLOBAL__N_18offset_tEEE10hipError_tPvRmT1_PNSt15iterator_traitsISK_E10value_typeET2_T3_PNSL_ISQ_E10value_typeET4_jRbjT5_SW_jjP12ihipStream_tbEUlT_E2_NS1_11comp_targetILNS1_3genE9ELNS1_11target_archE1100ELNS1_3gpuE3ELNS1_3repE0EEENS1_30default_config_static_selectorELNS0_4arch9wavefront6targetE0EEEvSK_
	.p2align	8
	.type	_ZN7rocprim17ROCPRIM_400000_NS6detail17trampoline_kernelINS0_14default_configENS1_36segmented_radix_sort_config_selectorIslEEZNS1_25segmented_radix_sort_implIS3_Lb1EPKsPsPKlPlN2at6native12_GLOBAL__N_18offset_tEEE10hipError_tPvRmT1_PNSt15iterator_traitsISK_E10value_typeET2_T3_PNSL_ISQ_E10value_typeET4_jRbjT5_SW_jjP12ihipStream_tbEUlT_E2_NS1_11comp_targetILNS1_3genE9ELNS1_11target_archE1100ELNS1_3gpuE3ELNS1_3repE0EEENS1_30default_config_static_selectorELNS0_4arch9wavefront6targetE0EEEvSK_,@function
_ZN7rocprim17ROCPRIM_400000_NS6detail17trampoline_kernelINS0_14default_configENS1_36segmented_radix_sort_config_selectorIslEEZNS1_25segmented_radix_sort_implIS3_Lb1EPKsPsPKlPlN2at6native12_GLOBAL__N_18offset_tEEE10hipError_tPvRmT1_PNSt15iterator_traitsISK_E10value_typeET2_T3_PNSL_ISQ_E10value_typeET4_jRbjT5_SW_jjP12ihipStream_tbEUlT_E2_NS1_11comp_targetILNS1_3genE9ELNS1_11target_archE1100ELNS1_3gpuE3ELNS1_3repE0EEENS1_30default_config_static_selectorELNS0_4arch9wavefront6targetE0EEEvSK_: ; @_ZN7rocprim17ROCPRIM_400000_NS6detail17trampoline_kernelINS0_14default_configENS1_36segmented_radix_sort_config_selectorIslEEZNS1_25segmented_radix_sort_implIS3_Lb1EPKsPsPKlPlN2at6native12_GLOBAL__N_18offset_tEEE10hipError_tPvRmT1_PNSt15iterator_traitsISK_E10value_typeET2_T3_PNSL_ISQ_E10value_typeET4_jRbjT5_SW_jjP12ihipStream_tbEUlT_E2_NS1_11comp_targetILNS1_3genE9ELNS1_11target_archE1100ELNS1_3gpuE3ELNS1_3repE0EEENS1_30default_config_static_selectorELNS0_4arch9wavefront6targetE0EEEvSK_
; %bb.0:
	.section	.rodata,"a",@progbits
	.p2align	6, 0x0
	.amdhsa_kernel _ZN7rocprim17ROCPRIM_400000_NS6detail17trampoline_kernelINS0_14default_configENS1_36segmented_radix_sort_config_selectorIslEEZNS1_25segmented_radix_sort_implIS3_Lb1EPKsPsPKlPlN2at6native12_GLOBAL__N_18offset_tEEE10hipError_tPvRmT1_PNSt15iterator_traitsISK_E10value_typeET2_T3_PNSL_ISQ_E10value_typeET4_jRbjT5_SW_jjP12ihipStream_tbEUlT_E2_NS1_11comp_targetILNS1_3genE9ELNS1_11target_archE1100ELNS1_3gpuE3ELNS1_3repE0EEENS1_30default_config_static_selectorELNS0_4arch9wavefront6targetE0EEEvSK_
		.amdhsa_group_segment_fixed_size 0
		.amdhsa_private_segment_fixed_size 0
		.amdhsa_kernarg_size 80
		.amdhsa_user_sgpr_count 2
		.amdhsa_user_sgpr_dispatch_ptr 0
		.amdhsa_user_sgpr_queue_ptr 0
		.amdhsa_user_sgpr_kernarg_segment_ptr 1
		.amdhsa_user_sgpr_dispatch_id 0
		.amdhsa_user_sgpr_kernarg_preload_length 0
		.amdhsa_user_sgpr_kernarg_preload_offset 0
		.amdhsa_user_sgpr_private_segment_size 0
		.amdhsa_wavefront_size32 1
		.amdhsa_uses_dynamic_stack 0
		.amdhsa_enable_private_segment 0
		.amdhsa_system_sgpr_workgroup_id_x 1
		.amdhsa_system_sgpr_workgroup_id_y 0
		.amdhsa_system_sgpr_workgroup_id_z 0
		.amdhsa_system_sgpr_workgroup_info 0
		.amdhsa_system_vgpr_workitem_id 0
		.amdhsa_next_free_vgpr 1
		.amdhsa_next_free_sgpr 1
		.amdhsa_named_barrier_count 0
		.amdhsa_reserve_vcc 0
		.amdhsa_float_round_mode_32 0
		.amdhsa_float_round_mode_16_64 0
		.amdhsa_float_denorm_mode_32 3
		.amdhsa_float_denorm_mode_16_64 3
		.amdhsa_fp16_overflow 0
		.amdhsa_memory_ordered 1
		.amdhsa_forward_progress 1
		.amdhsa_inst_pref_size 0
		.amdhsa_round_robin_scheduling 0
		.amdhsa_exception_fp_ieee_invalid_op 0
		.amdhsa_exception_fp_denorm_src 0
		.amdhsa_exception_fp_ieee_div_zero 0
		.amdhsa_exception_fp_ieee_overflow 0
		.amdhsa_exception_fp_ieee_underflow 0
		.amdhsa_exception_fp_ieee_inexact 0
		.amdhsa_exception_int_div_zero 0
	.end_amdhsa_kernel
	.section	.text._ZN7rocprim17ROCPRIM_400000_NS6detail17trampoline_kernelINS0_14default_configENS1_36segmented_radix_sort_config_selectorIslEEZNS1_25segmented_radix_sort_implIS3_Lb1EPKsPsPKlPlN2at6native12_GLOBAL__N_18offset_tEEE10hipError_tPvRmT1_PNSt15iterator_traitsISK_E10value_typeET2_T3_PNSL_ISQ_E10value_typeET4_jRbjT5_SW_jjP12ihipStream_tbEUlT_E2_NS1_11comp_targetILNS1_3genE9ELNS1_11target_archE1100ELNS1_3gpuE3ELNS1_3repE0EEENS1_30default_config_static_selectorELNS0_4arch9wavefront6targetE0EEEvSK_,"axG",@progbits,_ZN7rocprim17ROCPRIM_400000_NS6detail17trampoline_kernelINS0_14default_configENS1_36segmented_radix_sort_config_selectorIslEEZNS1_25segmented_radix_sort_implIS3_Lb1EPKsPsPKlPlN2at6native12_GLOBAL__N_18offset_tEEE10hipError_tPvRmT1_PNSt15iterator_traitsISK_E10value_typeET2_T3_PNSL_ISQ_E10value_typeET4_jRbjT5_SW_jjP12ihipStream_tbEUlT_E2_NS1_11comp_targetILNS1_3genE9ELNS1_11target_archE1100ELNS1_3gpuE3ELNS1_3repE0EEENS1_30default_config_static_selectorELNS0_4arch9wavefront6targetE0EEEvSK_,comdat
.Lfunc_end943:
	.size	_ZN7rocprim17ROCPRIM_400000_NS6detail17trampoline_kernelINS0_14default_configENS1_36segmented_radix_sort_config_selectorIslEEZNS1_25segmented_radix_sort_implIS3_Lb1EPKsPsPKlPlN2at6native12_GLOBAL__N_18offset_tEEE10hipError_tPvRmT1_PNSt15iterator_traitsISK_E10value_typeET2_T3_PNSL_ISQ_E10value_typeET4_jRbjT5_SW_jjP12ihipStream_tbEUlT_E2_NS1_11comp_targetILNS1_3genE9ELNS1_11target_archE1100ELNS1_3gpuE3ELNS1_3repE0EEENS1_30default_config_static_selectorELNS0_4arch9wavefront6targetE0EEEvSK_, .Lfunc_end943-_ZN7rocprim17ROCPRIM_400000_NS6detail17trampoline_kernelINS0_14default_configENS1_36segmented_radix_sort_config_selectorIslEEZNS1_25segmented_radix_sort_implIS3_Lb1EPKsPsPKlPlN2at6native12_GLOBAL__N_18offset_tEEE10hipError_tPvRmT1_PNSt15iterator_traitsISK_E10value_typeET2_T3_PNSL_ISQ_E10value_typeET4_jRbjT5_SW_jjP12ihipStream_tbEUlT_E2_NS1_11comp_targetILNS1_3genE9ELNS1_11target_archE1100ELNS1_3gpuE3ELNS1_3repE0EEENS1_30default_config_static_selectorELNS0_4arch9wavefront6targetE0EEEvSK_
                                        ; -- End function
	.set _ZN7rocprim17ROCPRIM_400000_NS6detail17trampoline_kernelINS0_14default_configENS1_36segmented_radix_sort_config_selectorIslEEZNS1_25segmented_radix_sort_implIS3_Lb1EPKsPsPKlPlN2at6native12_GLOBAL__N_18offset_tEEE10hipError_tPvRmT1_PNSt15iterator_traitsISK_E10value_typeET2_T3_PNSL_ISQ_E10value_typeET4_jRbjT5_SW_jjP12ihipStream_tbEUlT_E2_NS1_11comp_targetILNS1_3genE9ELNS1_11target_archE1100ELNS1_3gpuE3ELNS1_3repE0EEENS1_30default_config_static_selectorELNS0_4arch9wavefront6targetE0EEEvSK_.num_vgpr, 0
	.set _ZN7rocprim17ROCPRIM_400000_NS6detail17trampoline_kernelINS0_14default_configENS1_36segmented_radix_sort_config_selectorIslEEZNS1_25segmented_radix_sort_implIS3_Lb1EPKsPsPKlPlN2at6native12_GLOBAL__N_18offset_tEEE10hipError_tPvRmT1_PNSt15iterator_traitsISK_E10value_typeET2_T3_PNSL_ISQ_E10value_typeET4_jRbjT5_SW_jjP12ihipStream_tbEUlT_E2_NS1_11comp_targetILNS1_3genE9ELNS1_11target_archE1100ELNS1_3gpuE3ELNS1_3repE0EEENS1_30default_config_static_selectorELNS0_4arch9wavefront6targetE0EEEvSK_.num_agpr, 0
	.set _ZN7rocprim17ROCPRIM_400000_NS6detail17trampoline_kernelINS0_14default_configENS1_36segmented_radix_sort_config_selectorIslEEZNS1_25segmented_radix_sort_implIS3_Lb1EPKsPsPKlPlN2at6native12_GLOBAL__N_18offset_tEEE10hipError_tPvRmT1_PNSt15iterator_traitsISK_E10value_typeET2_T3_PNSL_ISQ_E10value_typeET4_jRbjT5_SW_jjP12ihipStream_tbEUlT_E2_NS1_11comp_targetILNS1_3genE9ELNS1_11target_archE1100ELNS1_3gpuE3ELNS1_3repE0EEENS1_30default_config_static_selectorELNS0_4arch9wavefront6targetE0EEEvSK_.numbered_sgpr, 0
	.set _ZN7rocprim17ROCPRIM_400000_NS6detail17trampoline_kernelINS0_14default_configENS1_36segmented_radix_sort_config_selectorIslEEZNS1_25segmented_radix_sort_implIS3_Lb1EPKsPsPKlPlN2at6native12_GLOBAL__N_18offset_tEEE10hipError_tPvRmT1_PNSt15iterator_traitsISK_E10value_typeET2_T3_PNSL_ISQ_E10value_typeET4_jRbjT5_SW_jjP12ihipStream_tbEUlT_E2_NS1_11comp_targetILNS1_3genE9ELNS1_11target_archE1100ELNS1_3gpuE3ELNS1_3repE0EEENS1_30default_config_static_selectorELNS0_4arch9wavefront6targetE0EEEvSK_.num_named_barrier, 0
	.set _ZN7rocprim17ROCPRIM_400000_NS6detail17trampoline_kernelINS0_14default_configENS1_36segmented_radix_sort_config_selectorIslEEZNS1_25segmented_radix_sort_implIS3_Lb1EPKsPsPKlPlN2at6native12_GLOBAL__N_18offset_tEEE10hipError_tPvRmT1_PNSt15iterator_traitsISK_E10value_typeET2_T3_PNSL_ISQ_E10value_typeET4_jRbjT5_SW_jjP12ihipStream_tbEUlT_E2_NS1_11comp_targetILNS1_3genE9ELNS1_11target_archE1100ELNS1_3gpuE3ELNS1_3repE0EEENS1_30default_config_static_selectorELNS0_4arch9wavefront6targetE0EEEvSK_.private_seg_size, 0
	.set _ZN7rocprim17ROCPRIM_400000_NS6detail17trampoline_kernelINS0_14default_configENS1_36segmented_radix_sort_config_selectorIslEEZNS1_25segmented_radix_sort_implIS3_Lb1EPKsPsPKlPlN2at6native12_GLOBAL__N_18offset_tEEE10hipError_tPvRmT1_PNSt15iterator_traitsISK_E10value_typeET2_T3_PNSL_ISQ_E10value_typeET4_jRbjT5_SW_jjP12ihipStream_tbEUlT_E2_NS1_11comp_targetILNS1_3genE9ELNS1_11target_archE1100ELNS1_3gpuE3ELNS1_3repE0EEENS1_30default_config_static_selectorELNS0_4arch9wavefront6targetE0EEEvSK_.uses_vcc, 0
	.set _ZN7rocprim17ROCPRIM_400000_NS6detail17trampoline_kernelINS0_14default_configENS1_36segmented_radix_sort_config_selectorIslEEZNS1_25segmented_radix_sort_implIS3_Lb1EPKsPsPKlPlN2at6native12_GLOBAL__N_18offset_tEEE10hipError_tPvRmT1_PNSt15iterator_traitsISK_E10value_typeET2_T3_PNSL_ISQ_E10value_typeET4_jRbjT5_SW_jjP12ihipStream_tbEUlT_E2_NS1_11comp_targetILNS1_3genE9ELNS1_11target_archE1100ELNS1_3gpuE3ELNS1_3repE0EEENS1_30default_config_static_selectorELNS0_4arch9wavefront6targetE0EEEvSK_.uses_flat_scratch, 0
	.set _ZN7rocprim17ROCPRIM_400000_NS6detail17trampoline_kernelINS0_14default_configENS1_36segmented_radix_sort_config_selectorIslEEZNS1_25segmented_radix_sort_implIS3_Lb1EPKsPsPKlPlN2at6native12_GLOBAL__N_18offset_tEEE10hipError_tPvRmT1_PNSt15iterator_traitsISK_E10value_typeET2_T3_PNSL_ISQ_E10value_typeET4_jRbjT5_SW_jjP12ihipStream_tbEUlT_E2_NS1_11comp_targetILNS1_3genE9ELNS1_11target_archE1100ELNS1_3gpuE3ELNS1_3repE0EEENS1_30default_config_static_selectorELNS0_4arch9wavefront6targetE0EEEvSK_.has_dyn_sized_stack, 0
	.set _ZN7rocprim17ROCPRIM_400000_NS6detail17trampoline_kernelINS0_14default_configENS1_36segmented_radix_sort_config_selectorIslEEZNS1_25segmented_radix_sort_implIS3_Lb1EPKsPsPKlPlN2at6native12_GLOBAL__N_18offset_tEEE10hipError_tPvRmT1_PNSt15iterator_traitsISK_E10value_typeET2_T3_PNSL_ISQ_E10value_typeET4_jRbjT5_SW_jjP12ihipStream_tbEUlT_E2_NS1_11comp_targetILNS1_3genE9ELNS1_11target_archE1100ELNS1_3gpuE3ELNS1_3repE0EEENS1_30default_config_static_selectorELNS0_4arch9wavefront6targetE0EEEvSK_.has_recursion, 0
	.set _ZN7rocprim17ROCPRIM_400000_NS6detail17trampoline_kernelINS0_14default_configENS1_36segmented_radix_sort_config_selectorIslEEZNS1_25segmented_radix_sort_implIS3_Lb1EPKsPsPKlPlN2at6native12_GLOBAL__N_18offset_tEEE10hipError_tPvRmT1_PNSt15iterator_traitsISK_E10value_typeET2_T3_PNSL_ISQ_E10value_typeET4_jRbjT5_SW_jjP12ihipStream_tbEUlT_E2_NS1_11comp_targetILNS1_3genE9ELNS1_11target_archE1100ELNS1_3gpuE3ELNS1_3repE0EEENS1_30default_config_static_selectorELNS0_4arch9wavefront6targetE0EEEvSK_.has_indirect_call, 0
	.section	.AMDGPU.csdata,"",@progbits
; Kernel info:
; codeLenInByte = 0
; TotalNumSgprs: 0
; NumVgprs: 0
; ScratchSize: 0
; MemoryBound: 0
; FloatMode: 240
; IeeeMode: 1
; LDSByteSize: 0 bytes/workgroup (compile time only)
; SGPRBlocks: 0
; VGPRBlocks: 0
; NumSGPRsForWavesPerEU: 1
; NumVGPRsForWavesPerEU: 1
; NamedBarCnt: 0
; Occupancy: 16
; WaveLimiterHint : 0
; COMPUTE_PGM_RSRC2:SCRATCH_EN: 0
; COMPUTE_PGM_RSRC2:USER_SGPR: 2
; COMPUTE_PGM_RSRC2:TRAP_HANDLER: 0
; COMPUTE_PGM_RSRC2:TGID_X_EN: 1
; COMPUTE_PGM_RSRC2:TGID_Y_EN: 0
; COMPUTE_PGM_RSRC2:TGID_Z_EN: 0
; COMPUTE_PGM_RSRC2:TIDIG_COMP_CNT: 0
	.section	.text._ZN7rocprim17ROCPRIM_400000_NS6detail17trampoline_kernelINS0_14default_configENS1_36segmented_radix_sort_config_selectorIslEEZNS1_25segmented_radix_sort_implIS3_Lb1EPKsPsPKlPlN2at6native12_GLOBAL__N_18offset_tEEE10hipError_tPvRmT1_PNSt15iterator_traitsISK_E10value_typeET2_T3_PNSL_ISQ_E10value_typeET4_jRbjT5_SW_jjP12ihipStream_tbEUlT_E2_NS1_11comp_targetILNS1_3genE8ELNS1_11target_archE1030ELNS1_3gpuE2ELNS1_3repE0EEENS1_30default_config_static_selectorELNS0_4arch9wavefront6targetE0EEEvSK_,"axG",@progbits,_ZN7rocprim17ROCPRIM_400000_NS6detail17trampoline_kernelINS0_14default_configENS1_36segmented_radix_sort_config_selectorIslEEZNS1_25segmented_radix_sort_implIS3_Lb1EPKsPsPKlPlN2at6native12_GLOBAL__N_18offset_tEEE10hipError_tPvRmT1_PNSt15iterator_traitsISK_E10value_typeET2_T3_PNSL_ISQ_E10value_typeET4_jRbjT5_SW_jjP12ihipStream_tbEUlT_E2_NS1_11comp_targetILNS1_3genE8ELNS1_11target_archE1030ELNS1_3gpuE2ELNS1_3repE0EEENS1_30default_config_static_selectorELNS0_4arch9wavefront6targetE0EEEvSK_,comdat
	.globl	_ZN7rocprim17ROCPRIM_400000_NS6detail17trampoline_kernelINS0_14default_configENS1_36segmented_radix_sort_config_selectorIslEEZNS1_25segmented_radix_sort_implIS3_Lb1EPKsPsPKlPlN2at6native12_GLOBAL__N_18offset_tEEE10hipError_tPvRmT1_PNSt15iterator_traitsISK_E10value_typeET2_T3_PNSL_ISQ_E10value_typeET4_jRbjT5_SW_jjP12ihipStream_tbEUlT_E2_NS1_11comp_targetILNS1_3genE8ELNS1_11target_archE1030ELNS1_3gpuE2ELNS1_3repE0EEENS1_30default_config_static_selectorELNS0_4arch9wavefront6targetE0EEEvSK_ ; -- Begin function _ZN7rocprim17ROCPRIM_400000_NS6detail17trampoline_kernelINS0_14default_configENS1_36segmented_radix_sort_config_selectorIslEEZNS1_25segmented_radix_sort_implIS3_Lb1EPKsPsPKlPlN2at6native12_GLOBAL__N_18offset_tEEE10hipError_tPvRmT1_PNSt15iterator_traitsISK_E10value_typeET2_T3_PNSL_ISQ_E10value_typeET4_jRbjT5_SW_jjP12ihipStream_tbEUlT_E2_NS1_11comp_targetILNS1_3genE8ELNS1_11target_archE1030ELNS1_3gpuE2ELNS1_3repE0EEENS1_30default_config_static_selectorELNS0_4arch9wavefront6targetE0EEEvSK_
	.p2align	8
	.type	_ZN7rocprim17ROCPRIM_400000_NS6detail17trampoline_kernelINS0_14default_configENS1_36segmented_radix_sort_config_selectorIslEEZNS1_25segmented_radix_sort_implIS3_Lb1EPKsPsPKlPlN2at6native12_GLOBAL__N_18offset_tEEE10hipError_tPvRmT1_PNSt15iterator_traitsISK_E10value_typeET2_T3_PNSL_ISQ_E10value_typeET4_jRbjT5_SW_jjP12ihipStream_tbEUlT_E2_NS1_11comp_targetILNS1_3genE8ELNS1_11target_archE1030ELNS1_3gpuE2ELNS1_3repE0EEENS1_30default_config_static_selectorELNS0_4arch9wavefront6targetE0EEEvSK_,@function
_ZN7rocprim17ROCPRIM_400000_NS6detail17trampoline_kernelINS0_14default_configENS1_36segmented_radix_sort_config_selectorIslEEZNS1_25segmented_radix_sort_implIS3_Lb1EPKsPsPKlPlN2at6native12_GLOBAL__N_18offset_tEEE10hipError_tPvRmT1_PNSt15iterator_traitsISK_E10value_typeET2_T3_PNSL_ISQ_E10value_typeET4_jRbjT5_SW_jjP12ihipStream_tbEUlT_E2_NS1_11comp_targetILNS1_3genE8ELNS1_11target_archE1030ELNS1_3gpuE2ELNS1_3repE0EEENS1_30default_config_static_selectorELNS0_4arch9wavefront6targetE0EEEvSK_: ; @_ZN7rocprim17ROCPRIM_400000_NS6detail17trampoline_kernelINS0_14default_configENS1_36segmented_radix_sort_config_selectorIslEEZNS1_25segmented_radix_sort_implIS3_Lb1EPKsPsPKlPlN2at6native12_GLOBAL__N_18offset_tEEE10hipError_tPvRmT1_PNSt15iterator_traitsISK_E10value_typeET2_T3_PNSL_ISQ_E10value_typeET4_jRbjT5_SW_jjP12ihipStream_tbEUlT_E2_NS1_11comp_targetILNS1_3genE8ELNS1_11target_archE1030ELNS1_3gpuE2ELNS1_3repE0EEENS1_30default_config_static_selectorELNS0_4arch9wavefront6targetE0EEEvSK_
; %bb.0:
	.section	.rodata,"a",@progbits
	.p2align	6, 0x0
	.amdhsa_kernel _ZN7rocprim17ROCPRIM_400000_NS6detail17trampoline_kernelINS0_14default_configENS1_36segmented_radix_sort_config_selectorIslEEZNS1_25segmented_radix_sort_implIS3_Lb1EPKsPsPKlPlN2at6native12_GLOBAL__N_18offset_tEEE10hipError_tPvRmT1_PNSt15iterator_traitsISK_E10value_typeET2_T3_PNSL_ISQ_E10value_typeET4_jRbjT5_SW_jjP12ihipStream_tbEUlT_E2_NS1_11comp_targetILNS1_3genE8ELNS1_11target_archE1030ELNS1_3gpuE2ELNS1_3repE0EEENS1_30default_config_static_selectorELNS0_4arch9wavefront6targetE0EEEvSK_
		.amdhsa_group_segment_fixed_size 0
		.amdhsa_private_segment_fixed_size 0
		.amdhsa_kernarg_size 80
		.amdhsa_user_sgpr_count 2
		.amdhsa_user_sgpr_dispatch_ptr 0
		.amdhsa_user_sgpr_queue_ptr 0
		.amdhsa_user_sgpr_kernarg_segment_ptr 1
		.amdhsa_user_sgpr_dispatch_id 0
		.amdhsa_user_sgpr_kernarg_preload_length 0
		.amdhsa_user_sgpr_kernarg_preload_offset 0
		.amdhsa_user_sgpr_private_segment_size 0
		.amdhsa_wavefront_size32 1
		.amdhsa_uses_dynamic_stack 0
		.amdhsa_enable_private_segment 0
		.amdhsa_system_sgpr_workgroup_id_x 1
		.amdhsa_system_sgpr_workgroup_id_y 0
		.amdhsa_system_sgpr_workgroup_id_z 0
		.amdhsa_system_sgpr_workgroup_info 0
		.amdhsa_system_vgpr_workitem_id 0
		.amdhsa_next_free_vgpr 1
		.amdhsa_next_free_sgpr 1
		.amdhsa_named_barrier_count 0
		.amdhsa_reserve_vcc 0
		.amdhsa_float_round_mode_32 0
		.amdhsa_float_round_mode_16_64 0
		.amdhsa_float_denorm_mode_32 3
		.amdhsa_float_denorm_mode_16_64 3
		.amdhsa_fp16_overflow 0
		.amdhsa_memory_ordered 1
		.amdhsa_forward_progress 1
		.amdhsa_inst_pref_size 0
		.amdhsa_round_robin_scheduling 0
		.amdhsa_exception_fp_ieee_invalid_op 0
		.amdhsa_exception_fp_denorm_src 0
		.amdhsa_exception_fp_ieee_div_zero 0
		.amdhsa_exception_fp_ieee_overflow 0
		.amdhsa_exception_fp_ieee_underflow 0
		.amdhsa_exception_fp_ieee_inexact 0
		.amdhsa_exception_int_div_zero 0
	.end_amdhsa_kernel
	.section	.text._ZN7rocprim17ROCPRIM_400000_NS6detail17trampoline_kernelINS0_14default_configENS1_36segmented_radix_sort_config_selectorIslEEZNS1_25segmented_radix_sort_implIS3_Lb1EPKsPsPKlPlN2at6native12_GLOBAL__N_18offset_tEEE10hipError_tPvRmT1_PNSt15iterator_traitsISK_E10value_typeET2_T3_PNSL_ISQ_E10value_typeET4_jRbjT5_SW_jjP12ihipStream_tbEUlT_E2_NS1_11comp_targetILNS1_3genE8ELNS1_11target_archE1030ELNS1_3gpuE2ELNS1_3repE0EEENS1_30default_config_static_selectorELNS0_4arch9wavefront6targetE0EEEvSK_,"axG",@progbits,_ZN7rocprim17ROCPRIM_400000_NS6detail17trampoline_kernelINS0_14default_configENS1_36segmented_radix_sort_config_selectorIslEEZNS1_25segmented_radix_sort_implIS3_Lb1EPKsPsPKlPlN2at6native12_GLOBAL__N_18offset_tEEE10hipError_tPvRmT1_PNSt15iterator_traitsISK_E10value_typeET2_T3_PNSL_ISQ_E10value_typeET4_jRbjT5_SW_jjP12ihipStream_tbEUlT_E2_NS1_11comp_targetILNS1_3genE8ELNS1_11target_archE1030ELNS1_3gpuE2ELNS1_3repE0EEENS1_30default_config_static_selectorELNS0_4arch9wavefront6targetE0EEEvSK_,comdat
.Lfunc_end944:
	.size	_ZN7rocprim17ROCPRIM_400000_NS6detail17trampoline_kernelINS0_14default_configENS1_36segmented_radix_sort_config_selectorIslEEZNS1_25segmented_radix_sort_implIS3_Lb1EPKsPsPKlPlN2at6native12_GLOBAL__N_18offset_tEEE10hipError_tPvRmT1_PNSt15iterator_traitsISK_E10value_typeET2_T3_PNSL_ISQ_E10value_typeET4_jRbjT5_SW_jjP12ihipStream_tbEUlT_E2_NS1_11comp_targetILNS1_3genE8ELNS1_11target_archE1030ELNS1_3gpuE2ELNS1_3repE0EEENS1_30default_config_static_selectorELNS0_4arch9wavefront6targetE0EEEvSK_, .Lfunc_end944-_ZN7rocprim17ROCPRIM_400000_NS6detail17trampoline_kernelINS0_14default_configENS1_36segmented_radix_sort_config_selectorIslEEZNS1_25segmented_radix_sort_implIS3_Lb1EPKsPsPKlPlN2at6native12_GLOBAL__N_18offset_tEEE10hipError_tPvRmT1_PNSt15iterator_traitsISK_E10value_typeET2_T3_PNSL_ISQ_E10value_typeET4_jRbjT5_SW_jjP12ihipStream_tbEUlT_E2_NS1_11comp_targetILNS1_3genE8ELNS1_11target_archE1030ELNS1_3gpuE2ELNS1_3repE0EEENS1_30default_config_static_selectorELNS0_4arch9wavefront6targetE0EEEvSK_
                                        ; -- End function
	.set _ZN7rocprim17ROCPRIM_400000_NS6detail17trampoline_kernelINS0_14default_configENS1_36segmented_radix_sort_config_selectorIslEEZNS1_25segmented_radix_sort_implIS3_Lb1EPKsPsPKlPlN2at6native12_GLOBAL__N_18offset_tEEE10hipError_tPvRmT1_PNSt15iterator_traitsISK_E10value_typeET2_T3_PNSL_ISQ_E10value_typeET4_jRbjT5_SW_jjP12ihipStream_tbEUlT_E2_NS1_11comp_targetILNS1_3genE8ELNS1_11target_archE1030ELNS1_3gpuE2ELNS1_3repE0EEENS1_30default_config_static_selectorELNS0_4arch9wavefront6targetE0EEEvSK_.num_vgpr, 0
	.set _ZN7rocprim17ROCPRIM_400000_NS6detail17trampoline_kernelINS0_14default_configENS1_36segmented_radix_sort_config_selectorIslEEZNS1_25segmented_radix_sort_implIS3_Lb1EPKsPsPKlPlN2at6native12_GLOBAL__N_18offset_tEEE10hipError_tPvRmT1_PNSt15iterator_traitsISK_E10value_typeET2_T3_PNSL_ISQ_E10value_typeET4_jRbjT5_SW_jjP12ihipStream_tbEUlT_E2_NS1_11comp_targetILNS1_3genE8ELNS1_11target_archE1030ELNS1_3gpuE2ELNS1_3repE0EEENS1_30default_config_static_selectorELNS0_4arch9wavefront6targetE0EEEvSK_.num_agpr, 0
	.set _ZN7rocprim17ROCPRIM_400000_NS6detail17trampoline_kernelINS0_14default_configENS1_36segmented_radix_sort_config_selectorIslEEZNS1_25segmented_radix_sort_implIS3_Lb1EPKsPsPKlPlN2at6native12_GLOBAL__N_18offset_tEEE10hipError_tPvRmT1_PNSt15iterator_traitsISK_E10value_typeET2_T3_PNSL_ISQ_E10value_typeET4_jRbjT5_SW_jjP12ihipStream_tbEUlT_E2_NS1_11comp_targetILNS1_3genE8ELNS1_11target_archE1030ELNS1_3gpuE2ELNS1_3repE0EEENS1_30default_config_static_selectorELNS0_4arch9wavefront6targetE0EEEvSK_.numbered_sgpr, 0
	.set _ZN7rocprim17ROCPRIM_400000_NS6detail17trampoline_kernelINS0_14default_configENS1_36segmented_radix_sort_config_selectorIslEEZNS1_25segmented_radix_sort_implIS3_Lb1EPKsPsPKlPlN2at6native12_GLOBAL__N_18offset_tEEE10hipError_tPvRmT1_PNSt15iterator_traitsISK_E10value_typeET2_T3_PNSL_ISQ_E10value_typeET4_jRbjT5_SW_jjP12ihipStream_tbEUlT_E2_NS1_11comp_targetILNS1_3genE8ELNS1_11target_archE1030ELNS1_3gpuE2ELNS1_3repE0EEENS1_30default_config_static_selectorELNS0_4arch9wavefront6targetE0EEEvSK_.num_named_barrier, 0
	.set _ZN7rocprim17ROCPRIM_400000_NS6detail17trampoline_kernelINS0_14default_configENS1_36segmented_radix_sort_config_selectorIslEEZNS1_25segmented_radix_sort_implIS3_Lb1EPKsPsPKlPlN2at6native12_GLOBAL__N_18offset_tEEE10hipError_tPvRmT1_PNSt15iterator_traitsISK_E10value_typeET2_T3_PNSL_ISQ_E10value_typeET4_jRbjT5_SW_jjP12ihipStream_tbEUlT_E2_NS1_11comp_targetILNS1_3genE8ELNS1_11target_archE1030ELNS1_3gpuE2ELNS1_3repE0EEENS1_30default_config_static_selectorELNS0_4arch9wavefront6targetE0EEEvSK_.private_seg_size, 0
	.set _ZN7rocprim17ROCPRIM_400000_NS6detail17trampoline_kernelINS0_14default_configENS1_36segmented_radix_sort_config_selectorIslEEZNS1_25segmented_radix_sort_implIS3_Lb1EPKsPsPKlPlN2at6native12_GLOBAL__N_18offset_tEEE10hipError_tPvRmT1_PNSt15iterator_traitsISK_E10value_typeET2_T3_PNSL_ISQ_E10value_typeET4_jRbjT5_SW_jjP12ihipStream_tbEUlT_E2_NS1_11comp_targetILNS1_3genE8ELNS1_11target_archE1030ELNS1_3gpuE2ELNS1_3repE0EEENS1_30default_config_static_selectorELNS0_4arch9wavefront6targetE0EEEvSK_.uses_vcc, 0
	.set _ZN7rocprim17ROCPRIM_400000_NS6detail17trampoline_kernelINS0_14default_configENS1_36segmented_radix_sort_config_selectorIslEEZNS1_25segmented_radix_sort_implIS3_Lb1EPKsPsPKlPlN2at6native12_GLOBAL__N_18offset_tEEE10hipError_tPvRmT1_PNSt15iterator_traitsISK_E10value_typeET2_T3_PNSL_ISQ_E10value_typeET4_jRbjT5_SW_jjP12ihipStream_tbEUlT_E2_NS1_11comp_targetILNS1_3genE8ELNS1_11target_archE1030ELNS1_3gpuE2ELNS1_3repE0EEENS1_30default_config_static_selectorELNS0_4arch9wavefront6targetE0EEEvSK_.uses_flat_scratch, 0
	.set _ZN7rocprim17ROCPRIM_400000_NS6detail17trampoline_kernelINS0_14default_configENS1_36segmented_radix_sort_config_selectorIslEEZNS1_25segmented_radix_sort_implIS3_Lb1EPKsPsPKlPlN2at6native12_GLOBAL__N_18offset_tEEE10hipError_tPvRmT1_PNSt15iterator_traitsISK_E10value_typeET2_T3_PNSL_ISQ_E10value_typeET4_jRbjT5_SW_jjP12ihipStream_tbEUlT_E2_NS1_11comp_targetILNS1_3genE8ELNS1_11target_archE1030ELNS1_3gpuE2ELNS1_3repE0EEENS1_30default_config_static_selectorELNS0_4arch9wavefront6targetE0EEEvSK_.has_dyn_sized_stack, 0
	.set _ZN7rocprim17ROCPRIM_400000_NS6detail17trampoline_kernelINS0_14default_configENS1_36segmented_radix_sort_config_selectorIslEEZNS1_25segmented_radix_sort_implIS3_Lb1EPKsPsPKlPlN2at6native12_GLOBAL__N_18offset_tEEE10hipError_tPvRmT1_PNSt15iterator_traitsISK_E10value_typeET2_T3_PNSL_ISQ_E10value_typeET4_jRbjT5_SW_jjP12ihipStream_tbEUlT_E2_NS1_11comp_targetILNS1_3genE8ELNS1_11target_archE1030ELNS1_3gpuE2ELNS1_3repE0EEENS1_30default_config_static_selectorELNS0_4arch9wavefront6targetE0EEEvSK_.has_recursion, 0
	.set _ZN7rocprim17ROCPRIM_400000_NS6detail17trampoline_kernelINS0_14default_configENS1_36segmented_radix_sort_config_selectorIslEEZNS1_25segmented_radix_sort_implIS3_Lb1EPKsPsPKlPlN2at6native12_GLOBAL__N_18offset_tEEE10hipError_tPvRmT1_PNSt15iterator_traitsISK_E10value_typeET2_T3_PNSL_ISQ_E10value_typeET4_jRbjT5_SW_jjP12ihipStream_tbEUlT_E2_NS1_11comp_targetILNS1_3genE8ELNS1_11target_archE1030ELNS1_3gpuE2ELNS1_3repE0EEENS1_30default_config_static_selectorELNS0_4arch9wavefront6targetE0EEEvSK_.has_indirect_call, 0
	.section	.AMDGPU.csdata,"",@progbits
; Kernel info:
; codeLenInByte = 0
; TotalNumSgprs: 0
; NumVgprs: 0
; ScratchSize: 0
; MemoryBound: 0
; FloatMode: 240
; IeeeMode: 1
; LDSByteSize: 0 bytes/workgroup (compile time only)
; SGPRBlocks: 0
; VGPRBlocks: 0
; NumSGPRsForWavesPerEU: 1
; NumVGPRsForWavesPerEU: 1
; NamedBarCnt: 0
; Occupancy: 16
; WaveLimiterHint : 0
; COMPUTE_PGM_RSRC2:SCRATCH_EN: 0
; COMPUTE_PGM_RSRC2:USER_SGPR: 2
; COMPUTE_PGM_RSRC2:TRAP_HANDLER: 0
; COMPUTE_PGM_RSRC2:TGID_X_EN: 1
; COMPUTE_PGM_RSRC2:TGID_Y_EN: 0
; COMPUTE_PGM_RSRC2:TGID_Z_EN: 0
; COMPUTE_PGM_RSRC2:TIDIG_COMP_CNT: 0
	.section	.text._ZN7rocprim17ROCPRIM_400000_NS6detail17trampoline_kernelINS0_13select_configILj256ELj13ELNS0_17block_load_methodE3ELS4_3ELS4_3ELNS0_20block_scan_algorithmE0ELj4294967295EEENS1_25partition_config_selectorILNS1_17partition_subalgoE4EjNS0_10empty_typeEbEEZZNS1_14partition_implILS8_4ELb0ES6_15HIP_vector_typeIjLj2EENS0_17counting_iteratorIjlEEPS9_SG_NS0_5tupleIJPjSI_NS0_16reverse_iteratorISI_EEEEENSH_IJSG_SG_SG_EEES9_SI_JZNS1_25segmented_radix_sort_implINS0_14default_configELb0EPKsPsPKlPlN2at6native12_GLOBAL__N_18offset_tEEE10hipError_tPvRmT1_PNSt15iterator_traitsIS12_E10value_typeET2_T3_PNS13_IS18_E10value_typeET4_jRbjT5_S1E_jjP12ihipStream_tbEUljE_ZNSN_ISO_Lb0ESQ_SR_ST_SU_SY_EESZ_S10_S11_S12_S16_S17_S18_S1B_S1C_jS1D_jS1E_S1E_jjS1G_bEUljE0_EEESZ_S10_S11_S18_S1C_S1E_T6_T7_T9_mT8_S1G_bDpT10_ENKUlT_T0_E_clISt17integral_constantIbLb0EES1U_EEDaS1P_S1Q_EUlS1P_E_NS1_11comp_targetILNS1_3genE0ELNS1_11target_archE4294967295ELNS1_3gpuE0ELNS1_3repE0EEENS1_30default_config_static_selectorELNS0_4arch9wavefront6targetE0EEEvS12_,"axG",@progbits,_ZN7rocprim17ROCPRIM_400000_NS6detail17trampoline_kernelINS0_13select_configILj256ELj13ELNS0_17block_load_methodE3ELS4_3ELS4_3ELNS0_20block_scan_algorithmE0ELj4294967295EEENS1_25partition_config_selectorILNS1_17partition_subalgoE4EjNS0_10empty_typeEbEEZZNS1_14partition_implILS8_4ELb0ES6_15HIP_vector_typeIjLj2EENS0_17counting_iteratorIjlEEPS9_SG_NS0_5tupleIJPjSI_NS0_16reverse_iteratorISI_EEEEENSH_IJSG_SG_SG_EEES9_SI_JZNS1_25segmented_radix_sort_implINS0_14default_configELb0EPKsPsPKlPlN2at6native12_GLOBAL__N_18offset_tEEE10hipError_tPvRmT1_PNSt15iterator_traitsIS12_E10value_typeET2_T3_PNS13_IS18_E10value_typeET4_jRbjT5_S1E_jjP12ihipStream_tbEUljE_ZNSN_ISO_Lb0ESQ_SR_ST_SU_SY_EESZ_S10_S11_S12_S16_S17_S18_S1B_S1C_jS1D_jS1E_S1E_jjS1G_bEUljE0_EEESZ_S10_S11_S18_S1C_S1E_T6_T7_T9_mT8_S1G_bDpT10_ENKUlT_T0_E_clISt17integral_constantIbLb0EES1U_EEDaS1P_S1Q_EUlS1P_E_NS1_11comp_targetILNS1_3genE0ELNS1_11target_archE4294967295ELNS1_3gpuE0ELNS1_3repE0EEENS1_30default_config_static_selectorELNS0_4arch9wavefront6targetE0EEEvS12_,comdat
	.globl	_ZN7rocprim17ROCPRIM_400000_NS6detail17trampoline_kernelINS0_13select_configILj256ELj13ELNS0_17block_load_methodE3ELS4_3ELS4_3ELNS0_20block_scan_algorithmE0ELj4294967295EEENS1_25partition_config_selectorILNS1_17partition_subalgoE4EjNS0_10empty_typeEbEEZZNS1_14partition_implILS8_4ELb0ES6_15HIP_vector_typeIjLj2EENS0_17counting_iteratorIjlEEPS9_SG_NS0_5tupleIJPjSI_NS0_16reverse_iteratorISI_EEEEENSH_IJSG_SG_SG_EEES9_SI_JZNS1_25segmented_radix_sort_implINS0_14default_configELb0EPKsPsPKlPlN2at6native12_GLOBAL__N_18offset_tEEE10hipError_tPvRmT1_PNSt15iterator_traitsIS12_E10value_typeET2_T3_PNS13_IS18_E10value_typeET4_jRbjT5_S1E_jjP12ihipStream_tbEUljE_ZNSN_ISO_Lb0ESQ_SR_ST_SU_SY_EESZ_S10_S11_S12_S16_S17_S18_S1B_S1C_jS1D_jS1E_S1E_jjS1G_bEUljE0_EEESZ_S10_S11_S18_S1C_S1E_T6_T7_T9_mT8_S1G_bDpT10_ENKUlT_T0_E_clISt17integral_constantIbLb0EES1U_EEDaS1P_S1Q_EUlS1P_E_NS1_11comp_targetILNS1_3genE0ELNS1_11target_archE4294967295ELNS1_3gpuE0ELNS1_3repE0EEENS1_30default_config_static_selectorELNS0_4arch9wavefront6targetE0EEEvS12_ ; -- Begin function _ZN7rocprim17ROCPRIM_400000_NS6detail17trampoline_kernelINS0_13select_configILj256ELj13ELNS0_17block_load_methodE3ELS4_3ELS4_3ELNS0_20block_scan_algorithmE0ELj4294967295EEENS1_25partition_config_selectorILNS1_17partition_subalgoE4EjNS0_10empty_typeEbEEZZNS1_14partition_implILS8_4ELb0ES6_15HIP_vector_typeIjLj2EENS0_17counting_iteratorIjlEEPS9_SG_NS0_5tupleIJPjSI_NS0_16reverse_iteratorISI_EEEEENSH_IJSG_SG_SG_EEES9_SI_JZNS1_25segmented_radix_sort_implINS0_14default_configELb0EPKsPsPKlPlN2at6native12_GLOBAL__N_18offset_tEEE10hipError_tPvRmT1_PNSt15iterator_traitsIS12_E10value_typeET2_T3_PNS13_IS18_E10value_typeET4_jRbjT5_S1E_jjP12ihipStream_tbEUljE_ZNSN_ISO_Lb0ESQ_SR_ST_SU_SY_EESZ_S10_S11_S12_S16_S17_S18_S1B_S1C_jS1D_jS1E_S1E_jjS1G_bEUljE0_EEESZ_S10_S11_S18_S1C_S1E_T6_T7_T9_mT8_S1G_bDpT10_ENKUlT_T0_E_clISt17integral_constantIbLb0EES1U_EEDaS1P_S1Q_EUlS1P_E_NS1_11comp_targetILNS1_3genE0ELNS1_11target_archE4294967295ELNS1_3gpuE0ELNS1_3repE0EEENS1_30default_config_static_selectorELNS0_4arch9wavefront6targetE0EEEvS12_
	.p2align	8
	.type	_ZN7rocprim17ROCPRIM_400000_NS6detail17trampoline_kernelINS0_13select_configILj256ELj13ELNS0_17block_load_methodE3ELS4_3ELS4_3ELNS0_20block_scan_algorithmE0ELj4294967295EEENS1_25partition_config_selectorILNS1_17partition_subalgoE4EjNS0_10empty_typeEbEEZZNS1_14partition_implILS8_4ELb0ES6_15HIP_vector_typeIjLj2EENS0_17counting_iteratorIjlEEPS9_SG_NS0_5tupleIJPjSI_NS0_16reverse_iteratorISI_EEEEENSH_IJSG_SG_SG_EEES9_SI_JZNS1_25segmented_radix_sort_implINS0_14default_configELb0EPKsPsPKlPlN2at6native12_GLOBAL__N_18offset_tEEE10hipError_tPvRmT1_PNSt15iterator_traitsIS12_E10value_typeET2_T3_PNS13_IS18_E10value_typeET4_jRbjT5_S1E_jjP12ihipStream_tbEUljE_ZNSN_ISO_Lb0ESQ_SR_ST_SU_SY_EESZ_S10_S11_S12_S16_S17_S18_S1B_S1C_jS1D_jS1E_S1E_jjS1G_bEUljE0_EEESZ_S10_S11_S18_S1C_S1E_T6_T7_T9_mT8_S1G_bDpT10_ENKUlT_T0_E_clISt17integral_constantIbLb0EES1U_EEDaS1P_S1Q_EUlS1P_E_NS1_11comp_targetILNS1_3genE0ELNS1_11target_archE4294967295ELNS1_3gpuE0ELNS1_3repE0EEENS1_30default_config_static_selectorELNS0_4arch9wavefront6targetE0EEEvS12_,@function
_ZN7rocprim17ROCPRIM_400000_NS6detail17trampoline_kernelINS0_13select_configILj256ELj13ELNS0_17block_load_methodE3ELS4_3ELS4_3ELNS0_20block_scan_algorithmE0ELj4294967295EEENS1_25partition_config_selectorILNS1_17partition_subalgoE4EjNS0_10empty_typeEbEEZZNS1_14partition_implILS8_4ELb0ES6_15HIP_vector_typeIjLj2EENS0_17counting_iteratorIjlEEPS9_SG_NS0_5tupleIJPjSI_NS0_16reverse_iteratorISI_EEEEENSH_IJSG_SG_SG_EEES9_SI_JZNS1_25segmented_radix_sort_implINS0_14default_configELb0EPKsPsPKlPlN2at6native12_GLOBAL__N_18offset_tEEE10hipError_tPvRmT1_PNSt15iterator_traitsIS12_E10value_typeET2_T3_PNS13_IS18_E10value_typeET4_jRbjT5_S1E_jjP12ihipStream_tbEUljE_ZNSN_ISO_Lb0ESQ_SR_ST_SU_SY_EESZ_S10_S11_S12_S16_S17_S18_S1B_S1C_jS1D_jS1E_S1E_jjS1G_bEUljE0_EEESZ_S10_S11_S18_S1C_S1E_T6_T7_T9_mT8_S1G_bDpT10_ENKUlT_T0_E_clISt17integral_constantIbLb0EES1U_EEDaS1P_S1Q_EUlS1P_E_NS1_11comp_targetILNS1_3genE0ELNS1_11target_archE4294967295ELNS1_3gpuE0ELNS1_3repE0EEENS1_30default_config_static_selectorELNS0_4arch9wavefront6targetE0EEEvS12_: ; @_ZN7rocprim17ROCPRIM_400000_NS6detail17trampoline_kernelINS0_13select_configILj256ELj13ELNS0_17block_load_methodE3ELS4_3ELS4_3ELNS0_20block_scan_algorithmE0ELj4294967295EEENS1_25partition_config_selectorILNS1_17partition_subalgoE4EjNS0_10empty_typeEbEEZZNS1_14partition_implILS8_4ELb0ES6_15HIP_vector_typeIjLj2EENS0_17counting_iteratorIjlEEPS9_SG_NS0_5tupleIJPjSI_NS0_16reverse_iteratorISI_EEEEENSH_IJSG_SG_SG_EEES9_SI_JZNS1_25segmented_radix_sort_implINS0_14default_configELb0EPKsPsPKlPlN2at6native12_GLOBAL__N_18offset_tEEE10hipError_tPvRmT1_PNSt15iterator_traitsIS12_E10value_typeET2_T3_PNS13_IS18_E10value_typeET4_jRbjT5_S1E_jjP12ihipStream_tbEUljE_ZNSN_ISO_Lb0ESQ_SR_ST_SU_SY_EESZ_S10_S11_S12_S16_S17_S18_S1B_S1C_jS1D_jS1E_S1E_jjS1G_bEUljE0_EEESZ_S10_S11_S18_S1C_S1E_T6_T7_T9_mT8_S1G_bDpT10_ENKUlT_T0_E_clISt17integral_constantIbLb0EES1U_EEDaS1P_S1Q_EUlS1P_E_NS1_11comp_targetILNS1_3genE0ELNS1_11target_archE4294967295ELNS1_3gpuE0ELNS1_3repE0EEENS1_30default_config_static_selectorELNS0_4arch9wavefront6targetE0EEEvS12_
; %bb.0:
	s_clause 0x4
	s_load_b128 s[24:27], s[0:1], 0x58
	s_load_b32 s4, s[0:1], 0x80
	s_load_b64 s[34:35], s[0:1], 0x10
	s_load_b64 s[2:3], s[0:1], 0x68
	s_load_b32 s8, s[0:1], 0x8
	s_bfe_u32 s5, ttmp6, 0x4000c
	s_and_b32 s6, ttmp6, 15
	s_add_co_i32 s5, s5, 1
	s_getreg_b32 s7, hwreg(HW_REG_IB_STS2, 6, 4)
	s_mul_i32 s5, ttmp9, s5
	s_load_b64 s[42:43], s[0:1], 0xa8
	s_add_co_i32 s6, s6, s5
	s_cmp_eq_u32 s7, 0
	s_load_b256 s[16:23], s[0:1], 0x88
	s_cselect_b32 s33, ttmp9, s6
	s_mov_b32 s5, 0
	s_mul_i32 s40, s33, 0xd00
	s_wait_kmcnt 0x0
	s_add_co_i32 s9, s4, -1
	s_mulk_i32 s4, 0xd00
	s_load_b128 s[28:31], s[26:27], 0x0
	s_cmp_eq_u32 s33, s9
	s_add_nc_u64 s[6:7], s[34:35], s[4:5]
	s_cselect_b32 s15, -1, 0
	s_cmp_lg_u32 s33, s9
	v_cmp_gt_u64_e64 s3, s[2:3], s[6:7]
	s_cselect_b32 s5, -1, 0
	s_add_co_i32 s6, s8, s40
	s_delay_alu instid0(SALU_CYCLE_1) | instskip(NEXT) | instid1(SALU_CYCLE_1)
	s_add_co_i32 s6, s6, s34
	v_add_nc_u32_e32 v1, s6, v0
	s_or_b32 s3, s5, s3
	s_mov_b32 s5, -1
	s_and_b32 vcc_lo, exec_lo, s3
	s_delay_alu instid0(VALU_DEP_1)
	v_add_nc_u32_e32 v2, 0x100, v1
	v_add_nc_u32_e32 v3, 0x200, v1
	;; [unrolled: 1-line block ×12, first 2 shown]
	s_cbranch_vccz .LBB945_2
; %bb.1:
	v_lshlrev_b32_e32 v14, 2, v0
	s_mov_b32 s5, 0
	ds_store_2addr_stride64_b32 v14, v1, v2 offset1:4
	ds_store_2addr_stride64_b32 v14, v3, v4 offset0:8 offset1:12
	ds_store_2addr_stride64_b32 v14, v5, v6 offset0:16 offset1:20
	;; [unrolled: 1-line block ×5, first 2 shown]
	ds_store_b32 v14, v13 offset:12288
	s_wait_dscnt 0x0
	s_barrier_signal -1
	s_barrier_wait -1
.LBB945_2:
	s_and_not1_b32 vcc_lo, exec_lo, s5
	s_add_co_i32 s4, s4, s34
	s_cbranch_vccnz .LBB945_4
; %bb.3:
	v_lshlrev_b32_e32 v14, 2, v0
	ds_store_2addr_stride64_b32 v14, v1, v2 offset1:4
	ds_store_2addr_stride64_b32 v14, v3, v4 offset0:8 offset1:12
	ds_store_2addr_stride64_b32 v14, v5, v6 offset0:16 offset1:20
	;; [unrolled: 1-line block ×5, first 2 shown]
	ds_store_b32 v14, v13 offset:12288
	s_wait_dscnt 0x0
	s_barrier_signal -1
	s_barrier_wait -1
.LBB945_4:
	v_mul_u32_u24_e32 v30, 13, v0
	s_load_b128 s[36:39], s[0:1], 0x28
	s_wait_xcnt 0x0
	s_load_b64 s[26:27], s[0:1], 0x38
	v_cndmask_b32_e64 v29, 0, 1, s3
	s_sub_co_i32 s41, s2, s4
	v_lshlrev_b32_e32 v1, 2, v30
	s_and_not1_b32 vcc_lo, exec_lo, s3
	ds_load_b32 v28, v1 offset:48
	ds_load_2addr_b32 v[10:11], v1 offset0:10 offset1:11
	ds_load_2addr_b32 v[12:13], v1 offset0:8 offset1:9
	;; [unrolled: 1-line block ×4, first 2 shown]
	ds_load_2addr_b32 v[20:21], v1 offset1:1
	ds_load_2addr_b32 v[18:19], v1 offset0:2 offset1:3
	s_wait_dscnt 0x0
	s_barrier_signal -1
	s_barrier_wait -1
	s_cbranch_vccnz .LBB945_32
; %bb.5:
	v_dual_add_nc_u32 v1, s17, v20 :: v_dual_add_nc_u32 v2, s19, v20
	s_mov_b32 s45, 0
	s_mov_b32 s44, 0
	s_mov_b32 s3, exec_lo
	s_delay_alu instid0(VALU_DEP_1) | instskip(SKIP_1) | instid1(VALU_DEP_1)
	v_mul_lo_u32 v1, v1, s16
	v_mul_lo_u32 v2, v2, s18
	v_sub_nc_u32_e32 v1, v1, v2
	s_delay_alu instid0(VALU_DEP_1)
	v_cmp_lt_u32_e32 vcc_lo, s20, v1
	v_cmpx_ge_u32_e64 s20, v1
	s_cbranch_execz .LBB945_7
; %bb.6:
	v_dual_add_nc_u32 v1, s22, v20 :: v_dual_add_nc_u32 v2, s42, v20
	s_delay_alu instid0(VALU_DEP_1) | instskip(NEXT) | instid1(VALU_DEP_2)
	v_mul_lo_u32 v1, v1, s21
	v_mul_lo_u32 v2, v2, s23
	s_delay_alu instid0(VALU_DEP_1) | instskip(NEXT) | instid1(VALU_DEP_1)
	v_sub_nc_u32_e32 v1, v1, v2
	v_cmp_lt_u32_e64 s2, s43, v1
	s_and_b32 s44, s2, exec_lo
.LBB945_7:
	s_or_b32 exec_lo, exec_lo, s3
	v_dual_add_nc_u32 v1, s17, v21 :: v_dual_add_nc_u32 v2, s19, v21
	s_mov_b32 s4, exec_lo
	s_delay_alu instid0(VALU_DEP_1) | instskip(NEXT) | instid1(VALU_DEP_2)
	v_mul_lo_u32 v1, v1, s16
	v_mul_lo_u32 v2, v2, s18
	s_delay_alu instid0(VALU_DEP_1) | instskip(NEXT) | instid1(VALU_DEP_1)
	v_sub_nc_u32_e32 v1, v1, v2
	v_cmp_lt_u32_e64 s2, s20, v1
	v_cmpx_ge_u32_e64 s20, v1
	s_cbranch_execz .LBB945_9
; %bb.8:
	v_dual_add_nc_u32 v1, s22, v21 :: v_dual_add_nc_u32 v2, s42, v21
	s_delay_alu instid0(VALU_DEP_1) | instskip(NEXT) | instid1(VALU_DEP_2)
	v_mul_lo_u32 v1, v1, s21
	v_mul_lo_u32 v2, v2, s23
	s_delay_alu instid0(VALU_DEP_1) | instskip(NEXT) | instid1(VALU_DEP_1)
	v_sub_nc_u32_e32 v1, v1, v2
	v_cmp_lt_u32_e64 s3, s43, v1
	s_and_b32 s45, s3, exec_lo
.LBB945_9:
	s_or_b32 exec_lo, exec_lo, s4
	v_dual_add_nc_u32 v1, s17, v18 :: v_dual_add_nc_u32 v2, s19, v18
	s_mov_b32 s47, 0
	s_mov_b32 s46, 0
	s_mov_b32 s5, exec_lo
	s_delay_alu instid0(VALU_DEP_1) | instskip(SKIP_1) | instid1(VALU_DEP_1)
	v_mul_lo_u32 v1, v1, s16
	v_mul_lo_u32 v2, v2, s18
	v_sub_nc_u32_e32 v1, v1, v2
	s_delay_alu instid0(VALU_DEP_1)
	v_cmp_lt_u32_e64 s3, s20, v1
	v_cmpx_ge_u32_e64 s20, v1
	s_cbranch_execz .LBB945_11
; %bb.10:
	v_dual_add_nc_u32 v1, s22, v18 :: v_dual_add_nc_u32 v2, s42, v18
	s_delay_alu instid0(VALU_DEP_1) | instskip(NEXT) | instid1(VALU_DEP_2)
	v_mul_lo_u32 v1, v1, s21
	v_mul_lo_u32 v2, v2, s23
	s_delay_alu instid0(VALU_DEP_1) | instskip(NEXT) | instid1(VALU_DEP_1)
	v_sub_nc_u32_e32 v1, v1, v2
	v_cmp_lt_u32_e64 s4, s43, v1
	s_and_b32 s46, s4, exec_lo
.LBB945_11:
	s_or_b32 exec_lo, exec_lo, s5
	v_dual_add_nc_u32 v1, s17, v19 :: v_dual_add_nc_u32 v2, s19, v19
	s_mov_b32 s6, exec_lo
	s_delay_alu instid0(VALU_DEP_1) | instskip(NEXT) | instid1(VALU_DEP_2)
	v_mul_lo_u32 v1, v1, s16
	v_mul_lo_u32 v2, v2, s18
	s_delay_alu instid0(VALU_DEP_1) | instskip(NEXT) | instid1(VALU_DEP_1)
	v_sub_nc_u32_e32 v1, v1, v2
	v_cmp_lt_u32_e64 s4, s20, v1
	v_cmpx_ge_u32_e64 s20, v1
	s_cbranch_execz .LBB945_13
; %bb.12:
	v_dual_add_nc_u32 v1, s22, v19 :: v_dual_add_nc_u32 v2, s42, v19
	s_delay_alu instid0(VALU_DEP_1) | instskip(NEXT) | instid1(VALU_DEP_2)
	v_mul_lo_u32 v1, v1, s21
	v_mul_lo_u32 v2, v2, s23
	s_delay_alu instid0(VALU_DEP_1) | instskip(NEXT) | instid1(VALU_DEP_1)
	v_sub_nc_u32_e32 v1, v1, v2
	v_cmp_lt_u32_e64 s5, s43, v1
	s_and_b32 s47, s5, exec_lo
.LBB945_13:
	s_or_b32 exec_lo, exec_lo, s6
	v_dual_add_nc_u32 v1, s17, v16 :: v_dual_add_nc_u32 v2, s19, v16
	s_mov_b32 s49, 0
	s_mov_b32 s48, 0
	s_mov_b32 s7, exec_lo
	s_delay_alu instid0(VALU_DEP_1) | instskip(SKIP_1) | instid1(VALU_DEP_1)
	v_mul_lo_u32 v1, v1, s16
	v_mul_lo_u32 v2, v2, s18
	v_sub_nc_u32_e32 v1, v1, v2
	s_delay_alu instid0(VALU_DEP_1)
	v_cmp_lt_u32_e64 s5, s20, v1
	;; [unrolled: 44-line block ×6, first 2 shown]
	v_cmpx_ge_u32_e64 s20, v1
	s_cbranch_execz .LBB945_31
; %bb.30:
	v_dual_add_nc_u32 v1, s22, v28 :: v_dual_add_nc_u32 v2, s42, v28
	s_delay_alu instid0(VALU_DEP_1) | instskip(NEXT) | instid1(VALU_DEP_2)
	v_mul_lo_u32 v1, v1, s21
	v_mul_lo_u32 v2, v2, s23
	s_delay_alu instid0(VALU_DEP_1) | instskip(NEXT) | instid1(VALU_DEP_1)
	v_sub_nc_u32_e32 v1, v1, v2
	v_cmp_lt_u32_e64 s14, s43, v1
	s_and_b32 s57, s14, exec_lo
.LBB945_31:
	s_or_b32 exec_lo, exec_lo, s58
	v_cndmask_b32_e64 v2, 0, 1, s2
	v_cndmask_b32_e64 v4, 0, 1, s4
	v_cndmask_b32_e64 v1, 0, 1, vcc_lo
	v_cndmask_b32_e64 v3, 0, 1, s3
	v_cndmask_b32_e64 v6, 0, 1, s6
	v_lshlrev_b16 v2, 8, v2
	v_lshlrev_b16 v4, 8, v4
	v_cndmask_b32_e64 v8, 0, 1, s8
	v_cndmask_b32_e64 v22, 0, 1, s10
	;; [unrolled: 1-line block ×3, first 2 shown]
	v_or_b32_e32 v1, v1, v2
	v_or_b32_e32 v2, v3, v4
	v_cndmask_b32_e64 v4, 0, 1, s46
	v_cndmask_b32_e64 v5, 0, 1, s5
	;; [unrolled: 1-line block ×4, first 2 shown]
	v_lshlrev_b32_e32 v2, 16, v2
	v_and_b32_e32 v1, 0xffff, v1
	v_cndmask_b32_e64 v33, 0, 1, s50
	v_cndmask_b32_e64 v36, 0, 1, s48
	;; [unrolled: 1-line block ×4, first 2 shown]
	v_or_b32_e32 v31, v1, v2
	v_lshlrev_b16 v1, 8, v6
	v_lshlrev_b16 v2, 8, v8
	;; [unrolled: 1-line block ×5, first 2 shown]
	v_cndmask_b32_e64 v7, 0, 1, s7
	v_cndmask_b32_e64 v24, 0, 1, s56
	;; [unrolled: 1-line block ×6, first 2 shown]
	v_lshlrev_b16 v22, 8, v39
	v_or_b32_e32 v4, v37, v4
	v_or_b32_e32 v1, v5, v1
	;; [unrolled: 1-line block ×4, first 2 shown]
	v_lshlrev_b16 v8, 8, v36
	v_lshlrev_b16 v9, 8, v33
	v_cndmask_b32_e64 v26, 0, 1, s54
	v_cndmask_b32_e64 v32, 0, 1, s51
	v_lshlrev_b16 v23, 8, v24
	v_or_b32_e32 v3, v3, v8
	v_or_b32_e32 v8, v35, v9
	v_or_b32_e32 v2, v7, v2
	v_or_b32_e32 v7, v40, v22
	v_lshlrev_b16 v22, 8, v27
	v_and_b32_e32 v5, 0xffff, v5
	v_lshlrev_b32_e32 v4, 16, v4
	v_and_b32_e32 v1, 0xffff, v1
	v_and_b32_e32 v7, 0xffff, v7
	v_or_b32_e32 v9, v32, v22
	v_or_b32_e32 v22, v26, v23
	v_and_b32_e32 v3, 0xffff, v3
	v_dual_lshlrev_b32 v8, 16, v8 :: v_dual_lshlrev_b32 v2, 16, v2
	s_delay_alu instid0(VALU_DEP_4) | instskip(NEXT) | instid1(VALU_DEP_4)
	v_and_b32_e32 v9, 0xffff, v9
	v_lshlrev_b32_e32 v22, 16, v22
	v_lshlrev_b32_e32 v6, 16, v6
	v_cndmask_b32_e64 v34, 0, 1, s55
	v_cndmask_b32_e64 v38, 0, 1, s57
	v_or_b32_e32 v33, v1, v2
	v_or_b32_e32 v37, v7, v4
	;; [unrolled: 1-line block ×5, first 2 shown]
	s_load_b64 s[4:5], s[0:1], 0x78
	s_and_b32 vcc_lo, exec_lo, s52
	s_add_co_i32 s6, s41, 0xd00
	s_cbranch_vccnz .LBB945_33
	s_branch .LBB945_110
.LBB945_32:
                                        ; implicit-def: $vgpr38
                                        ; implicit-def: $vgpr34
                                        ; implicit-def: $vgpr35
                                        ; implicit-def: $vgpr32
                                        ; implicit-def: $vgpr37
                                        ; implicit-def: $vgpr36
                                        ; implicit-def: $vgpr33
                                        ; implicit-def: $vgpr31
	s_load_b64 s[4:5], s[0:1], 0x78
	s_add_co_i32 s6, s41, 0xd00
	s_cbranch_execz .LBB945_110
.LBB945_33:
	v_dual_mov_b32 v2, 0 :: v_dual_mov_b32 v1, 0
	s_wait_xcnt 0x0
	s_mov_b32 s1, exec_lo
	v_cmpx_gt_u32_e64 s6, v30
	s_cbranch_execz .LBB945_37
; %bb.34:
	v_dual_add_nc_u32 v1, s17, v20 :: v_dual_add_nc_u32 v2, s19, v20
	s_mov_b32 s3, 0
	s_mov_b32 s2, exec_lo
	s_delay_alu instid0(VALU_DEP_1) | instskip(NEXT) | instid1(VALU_DEP_2)
	v_mul_lo_u32 v1, v1, s16
	v_mul_lo_u32 v2, v2, s18
	s_delay_alu instid0(VALU_DEP_1) | instskip(NEXT) | instid1(VALU_DEP_1)
	v_sub_nc_u32_e32 v1, v1, v2
	v_cmp_lt_u32_e32 vcc_lo, s20, v1
	v_cmpx_ge_u32_e64 s20, v1
	s_cbranch_execz .LBB945_36
; %bb.35:
	v_dual_add_nc_u32 v1, s22, v20 :: v_dual_add_nc_u32 v2, s42, v20
	s_delay_alu instid0(VALU_DEP_1) | instskip(NEXT) | instid1(VALU_DEP_2)
	v_mul_lo_u32 v1, v1, s21
	v_mul_lo_u32 v2, v2, s23
	s_delay_alu instid0(VALU_DEP_1) | instskip(NEXT) | instid1(VALU_DEP_1)
	v_sub_nc_u32_e32 v1, v1, v2
	v_cmp_lt_u32_e64 s0, s43, v1
	s_and_b32 s3, s0, exec_lo
.LBB945_36:
	s_or_b32 exec_lo, exec_lo, s2
	v_cndmask_b32_e64 v2, 0, 1, s3
	v_cndmask_b32_e64 v1, 0, 1, vcc_lo
.LBB945_37:
	s_or_b32 exec_lo, exec_lo, s1
	s_delay_alu instid0(VALU_DEP_2) | instskip(SKIP_2) | instid1(VALU_DEP_3)
	v_lshlrev_b16 v2, 8, v2
	v_add_nc_u32_e32 v3, 1, v30
	v_lshlrev_b16 v9, 8, 0
                                        ; implicit-def: $vgpr5
                                        ; implicit-def: $vgpr7
                                        ; implicit-def: $vgpr4
                                        ; implicit-def: $vgpr8
	v_and_b32_e32 v6, 0xffff, v2
	s_delay_alu instid0(VALU_DEP_3) | instskip(NEXT) | instid1(VALU_DEP_2)
	v_cmp_le_u32_e32 vcc_lo, s6, v3
                                        ; implicit-def: $vgpr3
                                        ; implicit-def: $vgpr2
	v_lshrrev_b32_e32 v22, 8, v6
	s_and_saveexec_b32 s0, vcc_lo
	s_delay_alu instid0(SALU_CYCLE_1)
	s_xor_b32 s0, exec_lo, s0
	s_cbranch_execz .LBB945_39
; %bb.38:
	s_delay_alu instid0(VALU_DEP_1) | instskip(SKIP_3) | instid1(VALU_DEP_4)
	v_lshlrev_b16 v2, 8, v22
	v_bitop3_b16 v3, 0, v9, 0xff bitop3:0xec
	v_and_b32_e32 v8, 0xff, v1
                                        ; implicit-def: $vgpr1
                                        ; implicit-def: $vgpr9
                                        ; implicit-def: $vgpr22
	v_mov_b32_e32 v5, 0
	v_bitop3_b16 v6, v6, v2, 0xff bitop3:0xec
	v_mov_b32_e32 v2, 0
	v_and_b32_e32 v4, 0xffff, v3
	v_and_b32_e32 v3, 0xffff, v3
	s_delay_alu instid0(VALU_DEP_4)
	v_and_b32_e32 v7, 0xffff, v6
                                        ; implicit-def: $vgpr6
.LBB945_39:
	s_and_not1_saveexec_b32 s1, s0
	s_cbranch_execz .LBB945_43
; %bb.40:
	v_dual_add_nc_u32 v2, s17, v21 :: v_dual_add_nc_u32 v3, s19, v21
	s_mov_b32 s2, 0
	s_mov_b32 s3, exec_lo
	s_delay_alu instid0(VALU_DEP_1) | instskip(NEXT) | instid1(VALU_DEP_2)
	v_mul_lo_u32 v2, v2, s16
	v_mul_lo_u32 v3, v3, s18
	s_delay_alu instid0(VALU_DEP_1) | instskip(NEXT) | instid1(VALU_DEP_1)
	v_sub_nc_u32_e32 v2, v2, v3
	v_cmp_lt_u32_e32 vcc_lo, s20, v2
	v_cmpx_ge_u32_e64 s20, v2
	s_cbranch_execz .LBB945_42
; %bb.41:
	v_dual_add_nc_u32 v2, s22, v21 :: v_dual_add_nc_u32 v3, s42, v21
	s_delay_alu instid0(VALU_DEP_1) | instskip(NEXT) | instid1(VALU_DEP_2)
	v_mul_lo_u32 v2, v2, s21
	v_mul_lo_u32 v3, v3, s23
	s_delay_alu instid0(VALU_DEP_1) | instskip(NEXT) | instid1(VALU_DEP_1)
	v_sub_nc_u32_e32 v2, v2, v3
	v_cmp_lt_u32_e64 s0, s43, v2
	s_and_b32 s2, s0, exec_lo
.LBB945_42:
	s_or_b32 exec_lo, exec_lo, s3
	v_cndmask_b32_e64 v2, 0, 1, vcc_lo
	v_lshlrev_b16 v3, 8, v22
	v_cndmask_b32_e64 v7, 0, 1, s2
	v_mov_b32_e32 v5, 0
	s_delay_alu instid0(VALU_DEP_4) | instskip(NEXT) | instid1(VALU_DEP_4)
	v_lshlrev_b16 v2, 8, v2
	v_bitop3_b16 v3, v6, v3, 0xff bitop3:0xec
	v_bitop3_b16 v6, 0, v9, 0xff bitop3:0xec
	s_delay_alu instid0(VALU_DEP_3) | instskip(NEXT) | instid1(VALU_DEP_3)
	v_bitop3_b16 v1, v1, v2, 0xff bitop3:0xec
	v_and_b32_e32 v3, 0xffff, v3
	v_mov_b32_e32 v2, 0
	s_delay_alu instid0(VALU_DEP_4) | instskip(NEXT) | instid1(VALU_DEP_4)
	v_and_b32_e32 v4, 0xffff, v6
	v_and_b32_e32 v8, 0xffff, v1
	s_delay_alu instid0(VALU_DEP_4)
	v_lshl_or_b32 v7, v7, 16, v3
	v_and_b32_e32 v3, 0xffff, v6
.LBB945_43:
	s_or_b32 exec_lo, exec_lo, s1
	s_delay_alu instid0(VALU_DEP_3) | instskip(NEXT) | instid1(VALU_DEP_1)
	v_dual_add_nc_u32 v1, 2, v30 :: v_dual_lshrrev_b32 v9, 8, v8
                                        ; implicit-def: $vgpr6
	v_cmp_le_u32_e32 vcc_lo, s6, v1
                                        ; implicit-def: $vgpr1
	s_and_saveexec_b32 s0, vcc_lo
	s_delay_alu instid0(SALU_CYCLE_1)
	s_xor_b32 s0, exec_lo, s0
	s_cbranch_execz .LBB945_45
; %bb.44:
	v_lshlrev_b16 v1, 8, v9
	v_and_b32_e32 v9, 0xff0000, v7
	v_perm_b32 v4, v4, v4, 0x3060504
	s_delay_alu instid0(VALU_DEP_3) | instskip(NEXT) | instid1(VALU_DEP_1)
	v_bitop3_b16 v1, v8, v1, 0xff bitop3:0xec
	v_and_b32_e32 v1, 0xffff, v1
	s_delay_alu instid0(VALU_DEP_1)
	v_and_or_b32 v6, 0xff000000, v8, v1
	v_perm_b32 v1, v7, v9, 0x3020504
                                        ; implicit-def: $vgpr9
                                        ; implicit-def: $vgpr8
                                        ; implicit-def: $vgpr7
.LBB945_45:
	s_and_not1_saveexec_b32 s1, s0
	s_cbranch_execz .LBB945_49
; %bb.46:
	v_dual_add_nc_u32 v1, s17, v18 :: v_dual_add_nc_u32 v6, s19, v18
	s_mov_b32 s2, 0
	s_mov_b32 s3, exec_lo
	s_delay_alu instid0(VALU_DEP_1) | instskip(NEXT) | instid1(VALU_DEP_2)
	v_mul_lo_u32 v1, v1, s16
	v_mul_lo_u32 v6, v6, s18
	s_delay_alu instid0(VALU_DEP_1) | instskip(NEXT) | instid1(VALU_DEP_1)
	v_sub_nc_u32_e32 v1, v1, v6
	v_cmp_lt_u32_e32 vcc_lo, s20, v1
	v_cmpx_ge_u32_e64 s20, v1
	s_cbranch_execz .LBB945_48
; %bb.47:
	v_dual_add_nc_u32 v1, s22, v18 :: v_dual_add_nc_u32 v6, s42, v18
	s_delay_alu instid0(VALU_DEP_1) | instskip(NEXT) | instid1(VALU_DEP_2)
	v_mul_lo_u32 v1, v1, s21
	v_mul_lo_u32 v6, v6, s23
	s_delay_alu instid0(VALU_DEP_1) | instskip(NEXT) | instid1(VALU_DEP_1)
	v_sub_nc_u32_e32 v1, v1, v6
	v_cmp_lt_u32_e64 s0, s43, v1
	s_and_b32 s2, s0, exec_lo
.LBB945_48:
	s_or_b32 exec_lo, exec_lo, s3
	v_dual_lshrrev_b32 v1, 24, v8 :: v_dual_lshrrev_b32 v23, 8, v7
	v_cndmask_b32_e64 v6, 0, 1, s2
	v_cndmask_b32_e64 v22, 0, 1, vcc_lo
	v_lshlrev_b16 v9, 8, v9
	s_delay_alu instid0(VALU_DEP_4)
	v_lshlrev_b16 v1, 8, v1
	v_lshrrev_b32_e32 v24, 16, v7
	v_lshlrev_b16 v6, 8, v6
	v_lshlrev_b16 v23, 8, v23
	v_bitop3_b16 v8, v8, v9, 0xff bitop3:0xec
	v_or_b32_e32 v1, v22, v1
	s_delay_alu instid0(VALU_DEP_4) | instskip(NEXT) | instid1(VALU_DEP_4)
	v_bitop3_b16 v6, v24, v6, 0xff bitop3:0xec
	v_bitop3_b16 v7, v7, v23, 0xff bitop3:0xec
	s_delay_alu instid0(VALU_DEP_4) | instskip(NEXT) | instid1(VALU_DEP_3)
	v_and_b32_e32 v8, 0xffff, v8
	v_dual_lshlrev_b32 v1, 16, v1 :: v_dual_lshlrev_b32 v9, 16, v6
	s_delay_alu instid0(VALU_DEP_3) | instskip(NEXT) | instid1(VALU_DEP_2)
	v_and_b32_e32 v7, 0xffff, v7
	v_or_b32_e32 v6, v8, v1
	s_delay_alu instid0(VALU_DEP_2)
	v_or_b32_e32 v1, v7, v9
.LBB945_49:
	s_or_b32 exec_lo, exec_lo, s1
	v_dual_add_nc_u32 v8, 3, v30 :: v_dual_lshrrev_b32 v9, 24, v5
	v_lshrrev_b32_e32 v7, 16, v5
                                        ; implicit-def: $vgpr31
	s_delay_alu instid0(VALU_DEP_2) | instskip(SKIP_2) | instid1(SALU_CYCLE_1)
	v_cmp_le_u32_e32 vcc_lo, s6, v8
	v_lshrrev_b32_e32 v8, 8, v5
                                        ; implicit-def: $vgpr5
	s_and_saveexec_b32 s0, vcc_lo
	s_xor_b32 s0, exec_lo, s0
	s_cbranch_execz .LBB945_51
; %bb.50:
	v_lshlrev_b16 v5, 8, v9
	v_lshlrev_b16 v8, 8, v8
	v_perm_b32 v4, v4, v4, 0x3060504
	v_perm_b32 v3, v3, v3, 0x3060504
                                        ; implicit-def: $vgpr9
	s_delay_alu instid0(VALU_DEP_4) | instskip(SKIP_2) | instid1(VALU_DEP_3)
	v_bitop3_b16 v5, v7, v5, 0xff bitop3:0xec
	v_and_b32_e32 v7, 0xff0000, v6
	v_and_b32_e32 v8, 0xffff, v8
	v_lshlrev_b32_e32 v5, 16, v5
	s_delay_alu instid0(VALU_DEP_3) | instskip(NEXT) | instid1(VALU_DEP_2)
	v_perm_b32 v31, v6, v7, 0x3020504
                                        ; implicit-def: $vgpr6
                                        ; implicit-def: $vgpr7
	v_or_b32_e32 v5, v8, v5
                                        ; implicit-def: $vgpr8
.LBB945_51:
	s_and_not1_saveexec_b32 s1, s0
	s_cbranch_execz .LBB945_55
; %bb.52:
	v_dual_add_nc_u32 v5, s17, v19 :: v_dual_add_nc_u32 v22, s19, v19
	s_mov_b32 s2, 0
	s_mov_b32 s3, exec_lo
	s_delay_alu instid0(VALU_DEP_1) | instskip(NEXT) | instid1(VALU_DEP_2)
	v_mul_lo_u32 v5, v5, s16
	v_mul_lo_u32 v22, v22, s18
	s_delay_alu instid0(VALU_DEP_1) | instskip(NEXT) | instid1(VALU_DEP_1)
	v_sub_nc_u32_e32 v5, v5, v22
	v_cmp_lt_u32_e32 vcc_lo, s20, v5
	v_cmpx_ge_u32_e64 s20, v5
	s_cbranch_execz .LBB945_54
; %bb.53:
	v_dual_add_nc_u32 v5, s22, v19 :: v_dual_add_nc_u32 v22, s42, v19
	s_delay_alu instid0(VALU_DEP_1) | instskip(NEXT) | instid1(VALU_DEP_2)
	v_mul_lo_u32 v5, v5, s21
	v_mul_lo_u32 v22, v22, s23
	s_delay_alu instid0(VALU_DEP_1) | instskip(NEXT) | instid1(VALU_DEP_1)
	v_sub_nc_u32_e32 v5, v5, v22
	v_cmp_lt_u32_e64 s0, s43, v5
	s_and_b32 s2, s0, exec_lo
.LBB945_54:
	s_or_b32 exec_lo, exec_lo, s3
	v_cndmask_b32_e64 v5, 0, 1, vcc_lo
	v_dual_lshrrev_b32 v22, 8, v6 :: v_dual_lshrrev_b32 v24, 16, v6
	v_cndmask_b32_e64 v23, 0, 1, s2
	v_lshlrev_b16 v9, 8, v9
	s_delay_alu instid0(VALU_DEP_4) | instskip(NEXT) | instid1(VALU_DEP_4)
	v_lshlrev_b16 v5, 8, v5
	v_lshlrev_b16 v22, 8, v22
	;; [unrolled: 1-line block ×3, first 2 shown]
	s_delay_alu instid0(VALU_DEP_4) | instskip(NEXT) | instid1(VALU_DEP_4)
	v_bitop3_b16 v7, v7, v9, 0xff bitop3:0xec
	v_bitop3_b16 v5, v24, v5, 0xff bitop3:0xec
	s_delay_alu instid0(VALU_DEP_4) | instskip(NEXT) | instid1(VALU_DEP_3)
	v_bitop3_b16 v6, v6, v22, 0xff bitop3:0xec
	v_dual_lshlrev_b32 v7, 16, v7 :: v_dual_bitop2_b32 v8, v23, v8 bitop3:0x54
	s_delay_alu instid0(VALU_DEP_3) | instskip(NEXT) | instid1(VALU_DEP_3)
	v_lshlrev_b32_e32 v5, 16, v5
	v_and_b32_e32 v6, 0xffff, v6
	s_delay_alu instid0(VALU_DEP_3) | instskip(NEXT) | instid1(VALU_DEP_2)
	v_and_b32_e32 v8, 0xffff, v8
	v_or_b32_e32 v31, v6, v5
	s_delay_alu instid0(VALU_DEP_2)
	v_or_b32_e32 v5, v8, v7
.LBB945_55:
	s_or_b32 exec_lo, exec_lo, s1
	v_dual_add_nc_u32 v6, 4, v30 :: v_dual_lshrrev_b32 v22, 8, v4
	v_dual_lshrrev_b32 v7, 16, v4 :: v_dual_lshrrev_b32 v23, 24, v4
	s_delay_alu instid0(VALU_DEP_3) | instskip(NEXT) | instid1(VALU_DEP_3)
	v_dual_lshrrev_b32 v9, 24, v5 :: v_dual_lshrrev_b32 v8, 16, v5
	v_cmp_le_u32_e32 vcc_lo, s6, v6
                                        ; implicit-def: $vgpr4
                                        ; implicit-def: $vgpr6
	s_and_saveexec_b32 s0, vcc_lo
	s_delay_alu instid0(SALU_CYCLE_1)
	s_xor_b32 s0, exec_lo, s0
	s_cbranch_execz .LBB945_57
; %bb.56:
	v_lshlrev_b16 v4, 8, v23
	v_lshlrev_b16 v6, 8, v22
	;; [unrolled: 1-line block ×3, first 2 shown]
	v_perm_b32 v3, v3, v3, 0x3060504
                                        ; implicit-def: $vgpr22
                                        ; implicit-def: $vgpr23
	s_delay_alu instid0(VALU_DEP_4) | instskip(NEXT) | instid1(VALU_DEP_4)
	v_bitop3_b16 v4, v7, v4, 0xff bitop3:0xec
	v_and_b32_e32 v6, 0xffff, v6
	s_delay_alu instid0(VALU_DEP_4) | instskip(NEXT) | instid1(VALU_DEP_3)
	v_bitop3_b16 v7, v8, v9, 0xff bitop3:0xec
                                        ; implicit-def: $vgpr9
	v_lshlrev_b32_e32 v8, 16, v4
	s_delay_alu instid0(VALU_DEP_2) | instskip(NEXT) | instid1(VALU_DEP_2)
	v_perm_b32 v4, v7, v5, 0x5040c00
                                        ; implicit-def: $vgpr5
                                        ; implicit-def: $vgpr7
	v_or_b32_e32 v6, v6, v8
                                        ; implicit-def: $vgpr8
.LBB945_57:
	s_and_not1_saveexec_b32 s1, s0
	s_cbranch_execz .LBB945_61
; %bb.58:
	v_dual_add_nc_u32 v4, s17, v16 :: v_dual_add_nc_u32 v6, s19, v16
	s_mov_b32 s2, 0
	s_mov_b32 s3, exec_lo
	s_delay_alu instid0(VALU_DEP_1) | instskip(NEXT) | instid1(VALU_DEP_2)
	v_mul_lo_u32 v4, v4, s16
	v_mul_lo_u32 v6, v6, s18
	s_delay_alu instid0(VALU_DEP_1) | instskip(NEXT) | instid1(VALU_DEP_1)
	v_sub_nc_u32_e32 v4, v4, v6
	v_cmp_lt_u32_e32 vcc_lo, s20, v4
	v_cmpx_ge_u32_e64 s20, v4
	s_cbranch_execz .LBB945_60
; %bb.59:
	v_dual_add_nc_u32 v4, s22, v16 :: v_dual_add_nc_u32 v6, s42, v16
	s_delay_alu instid0(VALU_DEP_1) | instskip(NEXT) | instid1(VALU_DEP_2)
	v_mul_lo_u32 v4, v4, s21
	v_mul_lo_u32 v6, v6, s23
	s_delay_alu instid0(VALU_DEP_1) | instskip(NEXT) | instid1(VALU_DEP_1)
	v_sub_nc_u32_e32 v4, v4, v6
	v_cmp_lt_u32_e64 s0, s43, v4
	s_and_b32 s2, s0, exec_lo
.LBB945_60:
	s_or_b32 exec_lo, exec_lo, s3
	v_cndmask_b32_e64 v4, 0, 1, s2
	v_cndmask_b32_e64 v6, 0, 1, vcc_lo
	v_lshlrev_b16 v23, 8, v23
	v_lshlrev_b16 v22, 8, v22
	;; [unrolled: 1-line block ×4, first 2 shown]
	s_delay_alu instid0(VALU_DEP_4) | instskip(NEXT) | instid1(VALU_DEP_4)
	v_bitop3_b16 v7, v7, v23, 0xff bitop3:0xec
	v_or_b32_e32 v6, v6, v22
	s_delay_alu instid0(VALU_DEP_4) | instskip(NEXT) | instid1(VALU_DEP_4)
	v_bitop3_b16 v8, v8, v9, 0xff bitop3:0xec
	v_bitop3_b16 v4, v5, v4, 0xff bitop3:0xec
	s_delay_alu instid0(VALU_DEP_4) | instskip(NEXT) | instid1(VALU_DEP_4)
	v_lshlrev_b32_e32 v5, 16, v7
	v_and_b32_e32 v6, 0xffff, v6
	s_delay_alu instid0(VALU_DEP_4) | instskip(NEXT) | instid1(VALU_DEP_4)
	v_lshlrev_b32_e32 v7, 16, v8
	v_and_b32_e32 v4, 0xffff, v4
	s_delay_alu instid0(VALU_DEP_3) | instskip(NEXT) | instid1(VALU_DEP_2)
	v_or_b32_e32 v6, v6, v5
	v_or_b32_e32 v4, v4, v7
.LBB945_61:
	s_or_b32 exec_lo, exec_lo, s1
	s_delay_alu instid0(VALU_DEP_1) | instskip(NEXT) | instid1(VALU_DEP_2)
	v_dual_add_nc_u32 v5, 5, v30 :: v_dual_lshrrev_b32 v22, 8, v4
	v_dual_lshrrev_b32 v8, 16, v6 :: v_dual_lshrrev_b32 v9, 24, v6
                                        ; implicit-def: $vgpr7
	s_delay_alu instid0(VALU_DEP_2) | instskip(SKIP_1) | instid1(SALU_CYCLE_1)
	v_cmp_le_u32_e32 vcc_lo, s6, v5
                                        ; implicit-def: $vgpr5
	s_and_saveexec_b32 s0, vcc_lo
	s_xor_b32 s0, exec_lo, s0
	s_cbranch_execz .LBB945_63
; %bb.62:
	v_lshlrev_b16 v5, 8, v22
	v_lshlrev_b16 v7, 8, v9
	v_perm_b32 v3, v3, v3, 0x3060504
                                        ; implicit-def: $vgpr9
                                        ; implicit-def: $vgpr22
	s_delay_alu instid0(VALU_DEP_3) | instskip(NEXT) | instid1(VALU_DEP_3)
	v_bitop3_b16 v5, v4, v5, 0xff bitop3:0xec
	v_bitop3_b16 v7, v8, v7, 0xff bitop3:0xec
                                        ; implicit-def: $vgpr8
	s_delay_alu instid0(VALU_DEP_2) | instskip(NEXT) | instid1(VALU_DEP_2)
	v_and_b32_e32 v5, 0xffff, v5
	v_perm_b32 v7, v7, v6, 0x5040c00
                                        ; implicit-def: $vgpr6
	s_delay_alu instid0(VALU_DEP_2)
	v_and_or_b32 v5, 0xff000000, v4, v5
                                        ; implicit-def: $vgpr4
.LBB945_63:
	s_and_not1_saveexec_b32 s1, s0
	s_cbranch_execz .LBB945_67
; %bb.64:
	v_dual_add_nc_u32 v5, s17, v17 :: v_dual_add_nc_u32 v7, s19, v17
	s_mov_b32 s2, 0
	s_mov_b32 s3, exec_lo
	s_delay_alu instid0(VALU_DEP_1) | instskip(NEXT) | instid1(VALU_DEP_2)
	v_mul_lo_u32 v5, v5, s16
	v_mul_lo_u32 v7, v7, s18
	s_delay_alu instid0(VALU_DEP_1) | instskip(NEXT) | instid1(VALU_DEP_1)
	v_sub_nc_u32_e32 v5, v5, v7
	v_cmp_lt_u32_e32 vcc_lo, s20, v5
	v_cmpx_ge_u32_e64 s20, v5
	s_cbranch_execz .LBB945_66
; %bb.65:
	v_dual_add_nc_u32 v5, s22, v17 :: v_dual_add_nc_u32 v7, s42, v17
	s_delay_alu instid0(VALU_DEP_1) | instskip(NEXT) | instid1(VALU_DEP_2)
	v_mul_lo_u32 v5, v5, s21
	v_mul_lo_u32 v7, v7, s23
	s_delay_alu instid0(VALU_DEP_1) | instskip(NEXT) | instid1(VALU_DEP_1)
	v_sub_nc_u32_e32 v5, v5, v7
	v_cmp_lt_u32_e64 s0, s43, v5
	s_and_b32 s2, s0, exec_lo
.LBB945_66:
	s_or_b32 exec_lo, exec_lo, s3
	v_cndmask_b32_e64 v5, 0, 1, vcc_lo
	v_lshrrev_b32_e32 v7, 24, v4
	v_cndmask_b32_e64 v23, 0, 1, s2
	v_lshlrev_b16 v9, 8, v9
	v_lshlrev_b16 v22, 8, v22
	;; [unrolled: 1-line block ×4, first 2 shown]
	s_delay_alu instid0(VALU_DEP_4) | instskip(NEXT) | instid1(VALU_DEP_4)
	v_bitop3_b16 v8, v8, v9, 0xff bitop3:0xec
	v_bitop3_b16 v4, v4, v22, 0xff bitop3:0xec
	s_delay_alu instid0(VALU_DEP_4) | instskip(NEXT) | instid1(VALU_DEP_3)
	v_bitop3_b16 v5, v6, v5, 0xff bitop3:0xec
	v_dual_lshlrev_b32 v7, 16, v8 :: v_dual_bitop2_b32 v6, v23, v7 bitop3:0x54
	s_delay_alu instid0(VALU_DEP_3) | instskip(NEXT) | instid1(VALU_DEP_3)
	v_and_b32_e32 v4, 0xffff, v4
	v_and_b32_e32 v5, 0xffff, v5
	s_delay_alu instid0(VALU_DEP_1) | instskip(NEXT) | instid1(VALU_DEP_1)
	v_dual_lshlrev_b32 v6, 16, v6 :: v_dual_bitop2_b32 v7, v5, v7 bitop3:0x54
	v_or_b32_e32 v5, v4, v6
.LBB945_67:
	s_or_b32 exec_lo, exec_lo, s1
	s_delay_alu instid0(VALU_DEP_2) | instskip(NEXT) | instid1(VALU_DEP_1)
	v_dual_add_nc_u32 v4, 6, v30 :: v_dual_lshrrev_b32 v6, 8, v7
                                        ; implicit-def: $vgpr32
	v_cmp_le_u32_e32 vcc_lo, s6, v4
                                        ; implicit-def: $vgpr4
	s_and_saveexec_b32 s0, vcc_lo
	s_delay_alu instid0(SALU_CYCLE_1)
	s_xor_b32 s0, exec_lo, s0
	s_cbranch_execz .LBB945_69
; %bb.68:
	v_lshlrev_b16 v4, 8, v6
	v_and_b32_e32 v6, 0xff0000, v5
	v_perm_b32 v3, v3, v3, 0x3060504
	s_delay_alu instid0(VALU_DEP_3) | instskip(NEXT) | instid1(VALU_DEP_3)
	v_bitop3_b16 v4, v7, v4, 0xff bitop3:0xec
	v_perm_b32 v32, v5, v6, 0x3020504
                                        ; implicit-def: $vgpr6
                                        ; implicit-def: $vgpr5
	s_delay_alu instid0(VALU_DEP_2) | instskip(NEXT) | instid1(VALU_DEP_1)
	v_and_b32_e32 v4, 0xffff, v4
	v_and_or_b32 v4, 0xff000000, v7, v4
                                        ; implicit-def: $vgpr7
.LBB945_69:
	s_and_not1_saveexec_b32 s1, s0
	s_cbranch_execz .LBB945_73
; %bb.70:
	v_dual_add_nc_u32 v4, s17, v14 :: v_dual_add_nc_u32 v8, s19, v14
	s_mov_b32 s2, 0
	s_mov_b32 s3, exec_lo
	s_delay_alu instid0(VALU_DEP_1) | instskip(NEXT) | instid1(VALU_DEP_2)
	v_mul_lo_u32 v4, v4, s16
	v_mul_lo_u32 v8, v8, s18
	s_delay_alu instid0(VALU_DEP_1) | instskip(NEXT) | instid1(VALU_DEP_1)
	v_sub_nc_u32_e32 v4, v4, v8
	v_cmp_lt_u32_e32 vcc_lo, s20, v4
	v_cmpx_ge_u32_e64 s20, v4
	s_cbranch_execz .LBB945_72
; %bb.71:
	v_dual_add_nc_u32 v4, s22, v14 :: v_dual_add_nc_u32 v8, s42, v14
	s_delay_alu instid0(VALU_DEP_1) | instskip(NEXT) | instid1(VALU_DEP_2)
	v_mul_lo_u32 v4, v4, s21
	v_mul_lo_u32 v8, v8, s23
	s_delay_alu instid0(VALU_DEP_1) | instskip(NEXT) | instid1(VALU_DEP_1)
	v_sub_nc_u32_e32 v4, v4, v8
	v_cmp_lt_u32_e64 s0, s43, v4
	s_and_b32 s2, s0, exec_lo
.LBB945_72:
	s_or_b32 exec_lo, exec_lo, s3
	v_dual_lshrrev_b32 v4, 24, v7 :: v_dual_lshrrev_b32 v22, 8, v5
	v_cndmask_b32_e64 v8, 0, 1, s2
	v_cndmask_b32_e64 v9, 0, 1, vcc_lo
	v_lshlrev_b16 v6, 8, v6
	s_delay_alu instid0(VALU_DEP_4)
	v_lshlrev_b16 v4, 8, v4
	v_lshrrev_b32_e32 v23, 16, v5
	v_lshlrev_b16 v8, 8, v8
	v_lshlrev_b16 v22, 8, v22
	v_bitop3_b16 v6, v7, v6, 0xff bitop3:0xec
	v_or_b32_e32 v4, v9, v4
	s_delay_alu instid0(VALU_DEP_4) | instskip(NEXT) | instid1(VALU_DEP_4)
	v_bitop3_b16 v7, v23, v8, 0xff bitop3:0xec
	v_bitop3_b16 v5, v5, v22, 0xff bitop3:0xec
	s_delay_alu instid0(VALU_DEP_4) | instskip(NEXT) | instid1(VALU_DEP_3)
	v_and_b32_e32 v6, 0xffff, v6
	v_dual_lshlrev_b32 v4, 16, v4 :: v_dual_lshlrev_b32 v7, 16, v7
	s_delay_alu instid0(VALU_DEP_3) | instskip(NEXT) | instid1(VALU_DEP_2)
	v_and_b32_e32 v5, 0xffff, v5
	v_or_b32_e32 v4, v6, v4
	s_delay_alu instid0(VALU_DEP_2)
	v_or_b32_e32 v32, v5, v7
.LBB945_73:
	s_or_b32 exec_lo, exec_lo, s1
	v_dual_add_nc_u32 v7, 7, v30 :: v_dual_lshrrev_b32 v5, 8, v3
	v_lshrrev_b32_e32 v6, 16, v3
                                        ; implicit-def: $vgpr33
	s_delay_alu instid0(VALU_DEP_2) | instskip(SKIP_2) | instid1(SALU_CYCLE_1)
	v_cmp_le_u32_e32 vcc_lo, s6, v7
	v_lshrrev_b32_e32 v7, 24, v3
                                        ; implicit-def: $vgpr3
	s_and_saveexec_b32 s0, vcc_lo
	s_xor_b32 s0, exec_lo, s0
	s_cbranch_execz .LBB945_75
; %bb.74:
	s_delay_alu instid0(VALU_DEP_1) | instskip(SKIP_1) | instid1(VALU_DEP_2)
	v_lshlrev_b16 v3, 8, v7
	v_lshlrev_b16 v5, 8, v5
                                        ; implicit-def: $vgpr7
	v_bitop3_b16 v3, v6, v3, 0xff bitop3:0xec
	v_and_b32_e32 v6, 0xff0000, v4
	s_delay_alu instid0(VALU_DEP_3) | instskip(NEXT) | instid1(VALU_DEP_3)
	v_and_b32_e32 v5, 0xffff, v5
	v_lshlrev_b32_e32 v3, 16, v3
	s_delay_alu instid0(VALU_DEP_3) | instskip(NEXT) | instid1(VALU_DEP_2)
	v_perm_b32 v33, v4, v6, 0x3020504
                                        ; implicit-def: $vgpr4
                                        ; implicit-def: $vgpr6
	v_or_b32_e32 v3, v5, v3
                                        ; implicit-def: $vgpr5
.LBB945_75:
	s_and_not1_saveexec_b32 s1, s0
	s_cbranch_execz .LBB945_79
; %bb.76:
	v_dual_add_nc_u32 v3, s17, v15 :: v_dual_add_nc_u32 v8, s19, v15
	s_mov_b32 s2, 0
	s_mov_b32 s3, exec_lo
	s_delay_alu instid0(VALU_DEP_1) | instskip(NEXT) | instid1(VALU_DEP_2)
	v_mul_lo_u32 v3, v3, s16
	v_mul_lo_u32 v8, v8, s18
	s_delay_alu instid0(VALU_DEP_1) | instskip(NEXT) | instid1(VALU_DEP_1)
	v_sub_nc_u32_e32 v3, v3, v8
	v_cmp_lt_u32_e32 vcc_lo, s20, v3
	v_cmpx_ge_u32_e64 s20, v3
	s_cbranch_execz .LBB945_78
; %bb.77:
	v_dual_add_nc_u32 v3, s22, v15 :: v_dual_add_nc_u32 v8, s42, v15
	s_delay_alu instid0(VALU_DEP_1) | instskip(NEXT) | instid1(VALU_DEP_2)
	v_mul_lo_u32 v3, v3, s21
	v_mul_lo_u32 v8, v8, s23
	s_delay_alu instid0(VALU_DEP_1) | instskip(NEXT) | instid1(VALU_DEP_1)
	v_sub_nc_u32_e32 v3, v3, v8
	v_cmp_lt_u32_e64 s0, s43, v3
	s_and_b32 s2, s0, exec_lo
.LBB945_78:
	s_or_b32 exec_lo, exec_lo, s3
	v_cndmask_b32_e64 v3, 0, 1, vcc_lo
	v_dual_lshrrev_b32 v8, 8, v4 :: v_dual_lshrrev_b32 v22, 16, v4
	v_cndmask_b32_e64 v9, 0, 1, s2
	v_lshlrev_b16 v7, 8, v7
	s_delay_alu instid0(VALU_DEP_4) | instskip(NEXT) | instid1(VALU_DEP_4)
	v_lshlrev_b16 v3, 8, v3
	v_lshlrev_b16 v8, 8, v8
	;; [unrolled: 1-line block ×3, first 2 shown]
	s_delay_alu instid0(VALU_DEP_4) | instskip(NEXT) | instid1(VALU_DEP_4)
	v_bitop3_b16 v6, v6, v7, 0xff bitop3:0xec
	v_bitop3_b16 v3, v22, v3, 0xff bitop3:0xec
	s_delay_alu instid0(VALU_DEP_4) | instskip(NEXT) | instid1(VALU_DEP_3)
	v_bitop3_b16 v4, v4, v8, 0xff bitop3:0xec
	v_dual_lshlrev_b32 v6, 16, v6 :: v_dual_bitop2_b32 v5, v9, v5 bitop3:0x54
	s_delay_alu instid0(VALU_DEP_3) | instskip(NEXT) | instid1(VALU_DEP_3)
	v_lshlrev_b32_e32 v3, 16, v3
	v_and_b32_e32 v4, 0xffff, v4
	s_delay_alu instid0(VALU_DEP_3) | instskip(NEXT) | instid1(VALU_DEP_2)
	v_and_b32_e32 v5, 0xffff, v5
	v_or_b32_e32 v33, v4, v3
	s_delay_alu instid0(VALU_DEP_2)
	v_or_b32_e32 v3, v5, v6
.LBB945_79:
	s_or_b32 exec_lo, exec_lo, s1
	s_delay_alu instid0(VALU_DEP_1) | instskip(SKIP_2) | instid1(VALU_DEP_3)
	v_dual_add_nc_u32 v4, 8, v30 :: v_dual_lshrrev_b32 v5, 16, v3
	v_dual_lshrrev_b32 v6, 24, v3 :: v_dual_lshrrev_b32 v9, 24, v2
	v_dual_lshrrev_b32 v7, 16, v2 :: v_dual_lshrrev_b32 v8, 8, v2
	v_cmp_le_u32_e32 vcc_lo, s6, v4
                                        ; implicit-def: $vgpr2
                                        ; implicit-def: $vgpr4
	s_and_saveexec_b32 s0, vcc_lo
	s_delay_alu instid0(SALU_CYCLE_1)
	s_xor_b32 s0, exec_lo, s0
	s_cbranch_execz .LBB945_81
; %bb.80:
	v_lshlrev_b16 v2, 8, v9
	v_lshlrev_b16 v4, 8, v8
	;; [unrolled: 1-line block ×3, first 2 shown]
	v_perm_b32 v1, v1, v1, 0x3060504
                                        ; implicit-def: $vgpr9
                                        ; implicit-def: $vgpr8
	s_delay_alu instid0(VALU_DEP_4) | instskip(NEXT) | instid1(VALU_DEP_4)
	v_bitop3_b16 v2, v7, v2, 0xff bitop3:0xec
	v_and_b32_e32 v4, 0xffff, v4
	s_delay_alu instid0(VALU_DEP_4) | instskip(NEXT) | instid1(VALU_DEP_3)
	v_bitop3_b16 v5, v5, v6, 0xff bitop3:0xec
                                        ; implicit-def: $vgpr6
                                        ; implicit-def: $vgpr7
	v_lshlrev_b32_e32 v2, 16, v2
	s_delay_alu instid0(VALU_DEP_1) | instskip(NEXT) | instid1(VALU_DEP_3)
	v_or_b32_e32 v4, v4, v2
	v_perm_b32 v2, v5, v3, 0x5040c00
                                        ; implicit-def: $vgpr3
                                        ; implicit-def: $vgpr5
.LBB945_81:
	s_and_not1_saveexec_b32 s1, s0
	s_cbranch_execz .LBB945_85
; %bb.82:
	v_dual_add_nc_u32 v2, s17, v12 :: v_dual_add_nc_u32 v4, s19, v12
	s_mov_b32 s2, 0
	s_mov_b32 s3, exec_lo
	s_delay_alu instid0(VALU_DEP_1) | instskip(NEXT) | instid1(VALU_DEP_2)
	v_mul_lo_u32 v2, v2, s16
	v_mul_lo_u32 v4, v4, s18
	s_delay_alu instid0(VALU_DEP_1) | instskip(NEXT) | instid1(VALU_DEP_1)
	v_sub_nc_u32_e32 v2, v2, v4
	v_cmp_lt_u32_e32 vcc_lo, s20, v2
	v_cmpx_ge_u32_e64 s20, v2
	s_cbranch_execz .LBB945_84
; %bb.83:
	v_dual_add_nc_u32 v2, s22, v12 :: v_dual_add_nc_u32 v4, s42, v12
	s_delay_alu instid0(VALU_DEP_1) | instskip(NEXT) | instid1(VALU_DEP_2)
	v_mul_lo_u32 v2, v2, s21
	v_mul_lo_u32 v4, v4, s23
	s_delay_alu instid0(VALU_DEP_1) | instskip(NEXT) | instid1(VALU_DEP_1)
	v_sub_nc_u32_e32 v2, v2, v4
	v_cmp_lt_u32_e64 s0, s43, v2
	s_and_b32 s2, s0, exec_lo
.LBB945_84:
	s_or_b32 exec_lo, exec_lo, s3
	v_cndmask_b32_e64 v2, 0, 1, s2
	v_cndmask_b32_e64 v4, 0, 1, vcc_lo
	v_lshlrev_b16 v9, 8, v9
	v_lshlrev_b16 v8, 8, v8
	;; [unrolled: 1-line block ×4, first 2 shown]
	s_delay_alu instid0(VALU_DEP_4) | instskip(NEXT) | instid1(VALU_DEP_4)
	v_bitop3_b16 v7, v7, v9, 0xff bitop3:0xec
	v_or_b32_e32 v4, v4, v8
	s_delay_alu instid0(VALU_DEP_4) | instskip(NEXT) | instid1(VALU_DEP_4)
	v_bitop3_b16 v5, v5, v6, 0xff bitop3:0xec
	v_bitop3_b16 v2, v3, v2, 0xff bitop3:0xec
	s_delay_alu instid0(VALU_DEP_4) | instskip(NEXT) | instid1(VALU_DEP_4)
	v_lshlrev_b32_e32 v3, 16, v7
	v_and_b32_e32 v4, 0xffff, v4
	s_delay_alu instid0(VALU_DEP_4) | instskip(NEXT) | instid1(VALU_DEP_4)
	v_lshlrev_b32_e32 v5, 16, v5
	v_and_b32_e32 v2, 0xffff, v2
	s_delay_alu instid0(VALU_DEP_3) | instskip(NEXT) | instid1(VALU_DEP_2)
	v_or_b32_e32 v4, v4, v3
	v_or_b32_e32 v2, v2, v5
.LBB945_85:
	s_or_b32 exec_lo, exec_lo, s1
	s_delay_alu instid0(VALU_DEP_2) | instskip(NEXT) | instid1(VALU_DEP_2)
	v_dual_add_nc_u32 v3, 9, v30 :: v_dual_lshrrev_b32 v8, 24, v4
	v_dual_lshrrev_b32 v7, 8, v2 :: v_dual_lshrrev_b32 v6, 16, v4
                                        ; implicit-def: $vgpr5
	s_delay_alu instid0(VALU_DEP_2) | instskip(SKIP_1) | instid1(SALU_CYCLE_1)
	v_cmp_le_u32_e32 vcc_lo, s6, v3
                                        ; implicit-def: $vgpr3
	s_and_saveexec_b32 s0, vcc_lo
	s_xor_b32 s0, exec_lo, s0
	s_cbranch_execz .LBB945_87
; %bb.86:
	v_lshlrev_b16 v3, 8, v7
	v_lshlrev_b16 v5, 8, v8
	v_perm_b32 v1, v1, v1, 0x3060504
                                        ; implicit-def: $vgpr7
                                        ; implicit-def: $vgpr8
	s_delay_alu instid0(VALU_DEP_3) | instskip(NEXT) | instid1(VALU_DEP_3)
	v_bitop3_b16 v3, v2, v3, 0xff bitop3:0xec
	v_bitop3_b16 v5, v6, v5, 0xff bitop3:0xec
                                        ; implicit-def: $vgpr6
	s_delay_alu instid0(VALU_DEP_2) | instskip(NEXT) | instid1(VALU_DEP_2)
	v_and_b32_e32 v3, 0xffff, v3
	v_perm_b32 v5, v5, v4, 0x5040c00
                                        ; implicit-def: $vgpr4
	s_delay_alu instid0(VALU_DEP_2)
	v_and_or_b32 v3, 0xff000000, v2, v3
                                        ; implicit-def: $vgpr2
.LBB945_87:
	s_and_not1_saveexec_b32 s1, s0
	s_cbranch_execz .LBB945_91
; %bb.88:
	v_dual_add_nc_u32 v3, s17, v13 :: v_dual_add_nc_u32 v5, s19, v13
	s_mov_b32 s2, 0
	s_mov_b32 s3, exec_lo
	s_delay_alu instid0(VALU_DEP_1) | instskip(NEXT) | instid1(VALU_DEP_2)
	v_mul_lo_u32 v3, v3, s16
	v_mul_lo_u32 v5, v5, s18
	s_delay_alu instid0(VALU_DEP_1) | instskip(NEXT) | instid1(VALU_DEP_1)
	v_sub_nc_u32_e32 v3, v3, v5
	v_cmp_lt_u32_e32 vcc_lo, s20, v3
	v_cmpx_ge_u32_e64 s20, v3
	s_cbranch_execz .LBB945_90
; %bb.89:
	v_dual_add_nc_u32 v3, s22, v13 :: v_dual_add_nc_u32 v5, s42, v13
	s_delay_alu instid0(VALU_DEP_1) | instskip(NEXT) | instid1(VALU_DEP_2)
	v_mul_lo_u32 v3, v3, s21
	v_mul_lo_u32 v5, v5, s23
	s_delay_alu instid0(VALU_DEP_1) | instskip(NEXT) | instid1(VALU_DEP_1)
	v_sub_nc_u32_e32 v3, v3, v5
	v_cmp_lt_u32_e64 s0, s43, v3
	s_and_b32 s2, s0, exec_lo
.LBB945_90:
	s_or_b32 exec_lo, exec_lo, s3
	v_cndmask_b32_e64 v3, 0, 1, vcc_lo
	v_lshrrev_b32_e32 v5, 24, v2
	v_cndmask_b32_e64 v9, 0, 1, s2
	v_lshlrev_b16 v8, 8, v8
	v_lshlrev_b16 v7, 8, v7
	v_lshlrev_b16 v3, 8, v3
	v_lshlrev_b16 v5, 8, v5
	s_delay_alu instid0(VALU_DEP_4) | instskip(NEXT) | instid1(VALU_DEP_4)
	v_bitop3_b16 v6, v6, v8, 0xff bitop3:0xec
	v_bitop3_b16 v2, v2, v7, 0xff bitop3:0xec
	s_delay_alu instid0(VALU_DEP_4) | instskip(NEXT) | instid1(VALU_DEP_3)
	v_bitop3_b16 v3, v4, v3, 0xff bitop3:0xec
	v_dual_lshlrev_b32 v5, 16, v6 :: v_dual_bitop2_b32 v4, v9, v5 bitop3:0x54
	s_delay_alu instid0(VALU_DEP_3) | instskip(NEXT) | instid1(VALU_DEP_3)
	v_and_b32_e32 v2, 0xffff, v2
	v_and_b32_e32 v3, 0xffff, v3
	s_delay_alu instid0(VALU_DEP_1) | instskip(NEXT) | instid1(VALU_DEP_1)
	v_dual_lshlrev_b32 v4, 16, v4 :: v_dual_bitop2_b32 v5, v3, v5 bitop3:0x54
	v_or_b32_e32 v3, v2, v4
.LBB945_91:
	s_or_b32 exec_lo, exec_lo, s1
	s_delay_alu instid0(VALU_DEP_2) | instskip(NEXT) | instid1(VALU_DEP_1)
	v_dual_add_nc_u32 v2, 10, v30 :: v_dual_lshrrev_b32 v4, 8, v5
                                        ; implicit-def: $vgpr35
	v_cmp_le_u32_e32 vcc_lo, s6, v2
                                        ; implicit-def: $vgpr2
	s_and_saveexec_b32 s0, vcc_lo
	s_delay_alu instid0(SALU_CYCLE_1)
	s_xor_b32 s0, exec_lo, s0
	s_cbranch_execz .LBB945_93
; %bb.92:
	v_lshlrev_b16 v2, 8, v4
	v_and_b32_e32 v4, 0xff0000, v3
	v_perm_b32 v1, v1, v1, 0x3060504
	s_delay_alu instid0(VALU_DEP_3) | instskip(NEXT) | instid1(VALU_DEP_3)
	v_bitop3_b16 v2, v5, v2, 0xff bitop3:0xec
	v_perm_b32 v35, v3, v4, 0x3020504
                                        ; implicit-def: $vgpr4
                                        ; implicit-def: $vgpr3
	s_delay_alu instid0(VALU_DEP_2) | instskip(NEXT) | instid1(VALU_DEP_1)
	v_and_b32_e32 v2, 0xffff, v2
	v_and_or_b32 v2, 0xff000000, v5, v2
                                        ; implicit-def: $vgpr5
.LBB945_93:
	s_and_not1_saveexec_b32 s1, s0
	s_cbranch_execz .LBB945_97
; %bb.94:
	v_dual_add_nc_u32 v2, s17, v10 :: v_dual_add_nc_u32 v6, s19, v10
	s_mov_b32 s2, 0
	s_mov_b32 s3, exec_lo
	s_delay_alu instid0(VALU_DEP_1) | instskip(NEXT) | instid1(VALU_DEP_2)
	v_mul_lo_u32 v2, v2, s16
	v_mul_lo_u32 v6, v6, s18
	s_delay_alu instid0(VALU_DEP_1) | instskip(NEXT) | instid1(VALU_DEP_1)
	v_sub_nc_u32_e32 v2, v2, v6
	v_cmp_lt_u32_e32 vcc_lo, s20, v2
	v_cmpx_ge_u32_e64 s20, v2
	s_cbranch_execz .LBB945_96
; %bb.95:
	v_dual_add_nc_u32 v2, s22, v10 :: v_dual_add_nc_u32 v6, s42, v10
	s_delay_alu instid0(VALU_DEP_1) | instskip(NEXT) | instid1(VALU_DEP_2)
	v_mul_lo_u32 v2, v2, s21
	v_mul_lo_u32 v6, v6, s23
	s_delay_alu instid0(VALU_DEP_1) | instskip(NEXT) | instid1(VALU_DEP_1)
	v_sub_nc_u32_e32 v2, v2, v6
	v_cmp_lt_u32_e64 s0, s43, v2
	s_and_b32 s2, s0, exec_lo
.LBB945_96:
	s_or_b32 exec_lo, exec_lo, s3
	v_dual_lshrrev_b32 v2, 24, v5 :: v_dual_lshrrev_b32 v8, 8, v3
	v_cndmask_b32_e64 v6, 0, 1, s2
	v_cndmask_b32_e64 v7, 0, 1, vcc_lo
	v_lshlrev_b16 v4, 8, v4
	s_delay_alu instid0(VALU_DEP_4)
	v_lshlrev_b16 v2, 8, v2
	v_lshrrev_b32_e32 v9, 16, v3
	v_lshlrev_b16 v6, 8, v6
	v_lshlrev_b16 v8, 8, v8
	v_bitop3_b16 v4, v5, v4, 0xff bitop3:0xec
	v_or_b32_e32 v2, v7, v2
	s_delay_alu instid0(VALU_DEP_4) | instskip(NEXT) | instid1(VALU_DEP_4)
	v_bitop3_b16 v5, v9, v6, 0xff bitop3:0xec
	v_bitop3_b16 v3, v3, v8, 0xff bitop3:0xec
	s_delay_alu instid0(VALU_DEP_4) | instskip(NEXT) | instid1(VALU_DEP_3)
	v_and_b32_e32 v4, 0xffff, v4
	v_dual_lshlrev_b32 v2, 16, v2 :: v_dual_lshlrev_b32 v5, 16, v5
	s_delay_alu instid0(VALU_DEP_3) | instskip(NEXT) | instid1(VALU_DEP_2)
	v_and_b32_e32 v3, 0xffff, v3
	v_or_b32_e32 v2, v4, v2
	s_delay_alu instid0(VALU_DEP_2)
	v_or_b32_e32 v35, v3, v5
.LBB945_97:
	s_or_b32 exec_lo, exec_lo, s1
	v_dual_mov_b32 v34, 0 :: v_dual_add_nc_u32 v3, 11, v30
	s_mov_b32 s0, exec_lo
                                        ; implicit-def: $vgpr36
	s_delay_alu instid0(VALU_DEP_1)
	v_cmpx_le_u32_e64 s6, v3
	s_xor_b32 s0, exec_lo, s0
; %bb.98:
	v_and_b32_e32 v3, 0xff0000, v2
	v_perm_b32 v1, v1, v1, 0x3060504
	s_delay_alu instid0(VALU_DEP_2)
	v_perm_b32 v36, v2, v3, 0x3020504
                                        ; implicit-def: $vgpr2
; %bb.99:
	s_and_not1_saveexec_b32 s1, s0
	s_cbranch_execz .LBB945_103
; %bb.100:
	v_dual_add_nc_u32 v3, s17, v11 :: v_dual_add_nc_u32 v4, s19, v11
	s_mov_b32 s2, 0
	s_mov_b32 s3, exec_lo
	s_delay_alu instid0(VALU_DEP_1) | instskip(NEXT) | instid1(VALU_DEP_2)
	v_mul_lo_u32 v3, v3, s16
	v_mul_lo_u32 v4, v4, s18
	s_delay_alu instid0(VALU_DEP_1) | instskip(NEXT) | instid1(VALU_DEP_1)
	v_sub_nc_u32_e32 v3, v3, v4
	v_cmp_lt_u32_e32 vcc_lo, s20, v3
	v_cmpx_ge_u32_e64 s20, v3
	s_cbranch_execz .LBB945_102
; %bb.101:
	v_dual_add_nc_u32 v3, s22, v11 :: v_dual_add_nc_u32 v4, s42, v11
	s_delay_alu instid0(VALU_DEP_1) | instskip(NEXT) | instid1(VALU_DEP_2)
	v_mul_lo_u32 v3, v3, s21
	v_mul_lo_u32 v4, v4, s23
	s_delay_alu instid0(VALU_DEP_1) | instskip(NEXT) | instid1(VALU_DEP_1)
	v_sub_nc_u32_e32 v3, v3, v4
	v_cmp_lt_u32_e64 s0, s43, v3
	s_and_b32 s2, s0, exec_lo
.LBB945_102:
	s_or_b32 exec_lo, exec_lo, s3
	v_cndmask_b32_e64 v3, 0, 1, vcc_lo
	v_dual_lshrrev_b32 v4, 8, v2 :: v_dual_lshrrev_b32 v5, 16, v2
	v_cndmask_b32_e64 v34, 0, 1, s2
	s_delay_alu instid0(VALU_DEP_3) | instskip(NEXT) | instid1(VALU_DEP_3)
	v_lshlrev_b16 v3, 8, v3
	v_lshlrev_b16 v4, 8, v4
	s_delay_alu instid0(VALU_DEP_2) | instskip(NEXT) | instid1(VALU_DEP_2)
	v_bitop3_b16 v3, v5, v3, 0xff bitop3:0xec
	v_bitop3_b16 v2, v2, v4, 0xff bitop3:0xec
	s_delay_alu instid0(VALU_DEP_2) | instskip(NEXT) | instid1(VALU_DEP_2)
	v_lshlrev_b32_e32 v3, 16, v3
	v_and_b32_e32 v2, 0xffff, v2
	s_delay_alu instid0(VALU_DEP_1)
	v_or_b32_e32 v36, v2, v3
.LBB945_103:
	s_or_b32 exec_lo, exec_lo, s1
	v_dual_add_nc_u32 v4, 12, v30 :: v_dual_lshrrev_b32 v2, 8, v1
	v_dual_lshrrev_b32 v3, 16, v1 :: v_dual_lshrrev_b32 v1, 24, v1
	s_mov_b32 s0, exec_lo
                                        ; implicit-def: $vgpr37
	s_delay_alu instid0(VALU_DEP_2)
	v_cmpx_le_u32_e64 s6, v4
	s_xor_b32 s0, exec_lo, s0
; %bb.104:
	s_delay_alu instid0(VALU_DEP_2) | instskip(SKIP_1) | instid1(VALU_DEP_2)
	v_lshlrev_b16 v1, 8, v1
	v_lshlrev_b16 v2, 8, v2
	v_bitop3_b16 v1, v3, v1, 0xff bitop3:0xec
	s_delay_alu instid0(VALU_DEP_2) | instskip(NEXT) | instid1(VALU_DEP_2)
	v_and_b32_e32 v2, 0xffff, v2
                                        ; implicit-def: $vgpr3
	v_lshlrev_b32_e32 v1, 16, v1
	s_delay_alu instid0(VALU_DEP_1)
	v_or_b32_e32 v37, v2, v1
                                        ; implicit-def: $vgpr1
                                        ; implicit-def: $vgpr2
; %bb.105:
	s_or_saveexec_b32 s1, s0
	v_mov_b32_e32 v38, 0
	s_xor_b32 exec_lo, exec_lo, s1
	s_cbranch_execz .LBB945_109
; %bb.106:
	v_dual_add_nc_u32 v4, s19, v28 :: v_dual_add_nc_u32 v5, s17, v28
	s_mov_b32 s2, 0
	s_mov_b32 s3, exec_lo
	s_delay_alu instid0(VALU_DEP_1) | instskip(NEXT) | instid1(VALU_DEP_2)
	v_mul_lo_u32 v4, v4, s18
	v_mul_lo_u32 v5, v5, s16
	s_delay_alu instid0(VALU_DEP_1) | instskip(NEXT) | instid1(VALU_DEP_1)
	v_sub_nc_u32_e32 v4, v5, v4
	v_cmp_lt_u32_e32 vcc_lo, s20, v4
	v_cmpx_ge_u32_e64 s20, v4
	s_cbranch_execz .LBB945_108
; %bb.107:
	v_dual_add_nc_u32 v4, s42, v28 :: v_dual_add_nc_u32 v5, s22, v28
	s_delay_alu instid0(VALU_DEP_1) | instskip(NEXT) | instid1(VALU_DEP_2)
	v_mul_lo_u32 v4, v4, s23
	v_mul_lo_u32 v5, v5, s21
	s_delay_alu instid0(VALU_DEP_1) | instskip(NEXT) | instid1(VALU_DEP_1)
	v_sub_nc_u32_e32 v4, v5, v4
	v_cmp_lt_u32_e64 s0, s43, v4
	s_and_b32 s2, s0, exec_lo
.LBB945_108:
	s_or_b32 exec_lo, exec_lo, s3
	v_cndmask_b32_e64 v4, 0, 1, vcc_lo
	v_lshlrev_b16 v1, 8, v1
	v_lshlrev_b16 v2, 8, v2
	v_cndmask_b32_e64 v38, 0, 1, s2
	s_delay_alu instid0(VALU_DEP_3) | instskip(NEXT) | instid1(VALU_DEP_1)
	v_bitop3_b16 v1, v3, v1, 0xff bitop3:0xec
	v_dual_lshlrev_b32 v1, 16, v1 :: v_dual_bitop2_b32 v2, v4, v2 bitop3:0x54
	s_delay_alu instid0(VALU_DEP_1) | instskip(NEXT) | instid1(VALU_DEP_1)
	v_and_b32_e32 v2, 0xffff, v2
	v_or_b32_e32 v37, v2, v1
.LBB945_109:
	s_or_b32 exec_lo, exec_lo, s1
.LBB945_110:
	v_and_b32_e32 v61, 0xff, v31
	s_delay_alu instid0(VALU_DEP_2)
	v_bfe_u32 v62, v37, 8, 8
	v_bfe_u32 v59, v31, 8, 8
	;; [unrolled: 1-line block ×4, first 2 shown]
	v_dual_lshrrev_b32 v44, 24, v37 :: v_dual_lshrrev_b32 v43, 24, v31
	v_and_b32_e32 v57, 0xff, v32
	v_and_b32_e32 v55, 0xff, v33
	v_bfe_u32 v56, v32, 8, 8
	v_add3_u32 v1, v59, v61, v58
	v_add3_u32 v2, v60, v62, v44
	v_bfe_u32 v53, v33, 8, 8
	v_bfe_u32 v54, v32, 16, 8
	;; [unrolled: 1-line block ×3, first 2 shown]
	v_dual_lshrrev_b32 v42, 24, v32 :: v_dual_lshrrev_b32 v41, 24, v33
	v_add3_u32 v1, v1, v43, v55
	v_add3_u32 v2, v2, v57, v56
	v_and_b32_e32 v52, 0xff, v35
	v_and_b32_e32 v48, 0xff, v36
	v_bfe_u32 v50, v35, 8, 8
	v_add3_u32 v1, v1, v53, v51
	v_add3_u32 v2, v2, v54, v42
	v_bfe_u32 v47, v36, 8, 8
	v_bfe_u32 v49, v35, 16, 8
	;; [unrolled: 1-line block ×3, first 2 shown]
	v_dual_lshrrev_b32 v40, 24, v35 :: v_dual_lshrrev_b32 v39, 24, v36
	v_add3_u32 v1, v1, v41, v48
	v_add3_u32 v2, v2, v52, v50
	v_mbcnt_lo_u32_b32 v63, -1, 0
	v_and_b32_e32 v45, 0xff, v34
	v_and_b32_e32 v3, 0xff, v37
	v_and_b32_e32 v4, 0xff, v38
	v_add3_u32 v1, v1, v47, v46
	v_add3_u32 v2, v2, v49, v40
	v_dual_lshrrev_b32 v64, 5, v0 :: v_dual_bitop2_b32 v65, 15, v63 bitop3:0x40
	v_and_b32_e32 v67, 16, v63
	s_delay_alu instid0(VALU_DEP_4) | instskip(NEXT) | instid1(VALU_DEP_4)
	v_add3_u32 v68, v1, v39, v3
	v_add3_u32 v69, v2, v45, v4
	s_wait_xcnt 0x0
	v_cmp_eq_u32_e64 s1, 0, v65
	v_cmp_lt_u32_e64 s0, 1, v65
	v_cmp_lt_u32_e64 s2, 3, v65
	v_or_b32_e32 v66, 31, v0
	s_cmp_lg_u32 s33, 0
	s_mov_b32 s3, -1
	v_cmp_lt_u32_e32 vcc_lo, 7, v65
	s_cbranch_scc0 .LBB945_131
; %bb.111:
	v_mov_b32_dpp v1, v69 row_shr:1 row_mask:0xf bank_mask:0xf
	v_mov_b32_dpp v2, v68 row_shr:1 row_mask:0xf bank_mask:0xf
	s_mov_b32 s3, exec_lo
	s_delay_alu instid0(VALU_DEP_1) | instskip(NEXT) | instid1(VALU_DEP_1)
	v_dual_add_nc_u32 v1, v1, v69 :: v_dual_add_nc_u32 v2, v2, v68
	v_dual_cndmask_b32 v1, v1, v69, s1 :: v_dual_cndmask_b32 v2, v2, v68, s1
	s_delay_alu instid0(VALU_DEP_1) | instskip(NEXT) | instid1(VALU_DEP_2)
	v_mov_b32_dpp v3, v1 row_shr:2 row_mask:0xf bank_mask:0xf
	v_mov_b32_dpp v4, v2 row_shr:2 row_mask:0xf bank_mask:0xf
	s_delay_alu instid0(VALU_DEP_1) | instskip(NEXT) | instid1(VALU_DEP_1)
	v_dual_add_nc_u32 v3, v1, v3 :: v_dual_add_nc_u32 v4, v2, v4
	v_dual_cndmask_b32 v1, v1, v3, s0 :: v_dual_cndmask_b32 v2, v2, v4, s0
	s_delay_alu instid0(VALU_DEP_1) | instskip(NEXT) | instid1(VALU_DEP_2)
	v_mov_b32_dpp v3, v1 row_shr:4 row_mask:0xf bank_mask:0xf
	v_mov_b32_dpp v4, v2 row_shr:4 row_mask:0xf bank_mask:0xf
	;; [unrolled: 6-line block ×3, first 2 shown]
	s_delay_alu instid0(VALU_DEP_1) | instskip(NEXT) | instid1(VALU_DEP_1)
	v_dual_add_nc_u32 v3, v1, v3 :: v_dual_add_nc_u32 v4, v2, v4
	v_dual_cndmask_b32 v1, v1, v3 :: v_dual_cndmask_b32 v2, v2, v4
	v_cmp_eq_u32_e32 vcc_lo, 0, v67
	ds_swizzle_b32 v3, v1 offset:swizzle(BROADCAST,32,15)
	ds_swizzle_b32 v4, v2 offset:swizzle(BROADCAST,32,15)
	s_wait_dscnt 0x0
	v_dual_add_nc_u32 v3, v1, v3 :: v_dual_add_nc_u32 v4, v2, v4
	v_cmpx_eq_u32_e64 v0, v66
; %bb.112:
	s_delay_alu instid0(VALU_DEP_2) | instskip(NEXT) | instid1(VALU_DEP_3)
	v_dual_lshlrev_b32 v5, 3, v64 :: v_dual_cndmask_b32 v7, v3, v1, vcc_lo
	v_cndmask_b32_e32 v6, v4, v2, vcc_lo
	ds_store_b64 v5, v[6:7]
; %bb.113:
	s_or_b32 exec_lo, exec_lo, s3
	s_delay_alu instid0(SALU_CYCLE_1)
	s_mov_b32 s3, exec_lo
	s_wait_dscnt 0x0
	s_barrier_signal -1
	s_barrier_wait -1
	v_cmpx_gt_u32_e32 8, v0
	s_cbranch_execz .LBB945_115
; %bb.114:
	v_dual_lshlrev_b32 v5, 3, v0 :: v_dual_bitop2_b32 v22, 7, v63 bitop3:0x40
	ds_load_b64 v[6:7], v5
	v_cmp_eq_u32_e64 s2, 0, v22
	s_wait_dscnt 0x0
	v_mov_b32_dpp v8, v6 row_shr:1 row_mask:0xf bank_mask:0xf
	v_mov_b32_dpp v9, v7 row_shr:1 row_mask:0xf bank_mask:0xf
	s_delay_alu instid0(VALU_DEP_1) | instskip(NEXT) | instid1(VALU_DEP_1)
	v_dual_add_nc_u32 v8, v8, v6 :: v_dual_add_nc_u32 v9, v9, v7
	v_dual_cndmask_b32 v6, v8, v6, s2 :: v_dual_cndmask_b32 v7, v9, v7, s2
	v_cmp_lt_u32_e64 s2, 1, v22
	s_delay_alu instid0(VALU_DEP_2) | instskip(NEXT) | instid1(VALU_DEP_3)
	v_mov_b32_dpp v8, v6 row_shr:2 row_mask:0xf bank_mask:0xf
	v_mov_b32_dpp v9, v7 row_shr:2 row_mask:0xf bank_mask:0xf
	s_delay_alu instid0(VALU_DEP_1) | instskip(NEXT) | instid1(VALU_DEP_1)
	v_dual_add_nc_u32 v8, v6, v8 :: v_dual_add_nc_u32 v9, v7, v9
	v_dual_cndmask_b32 v6, v6, v8, s2 :: v_dual_cndmask_b32 v7, v7, v9, s2
	v_cmp_lt_u32_e64 s2, 3, v22
	s_delay_alu instid0(VALU_DEP_2) | instskip(NEXT) | instid1(VALU_DEP_3)
	v_mov_b32_dpp v8, v6 row_shr:4 row_mask:0xf bank_mask:0xf
	v_mov_b32_dpp v9, v7 row_shr:4 row_mask:0xf bank_mask:0xf
	s_delay_alu instid0(VALU_DEP_1) | instskip(NEXT) | instid1(VALU_DEP_1)
	v_dual_cndmask_b32 v8, 0, v8, s2 :: v_dual_cndmask_b32 v9, 0, v9, s2
	v_dual_add_nc_u32 v6, v8, v6 :: v_dual_add_nc_u32 v7, v9, v7
	ds_store_b64 v5, v[6:7]
.LBB945_115:
	s_or_b32 exec_lo, exec_lo, s3
	v_dual_cndmask_b32 v1, v3, v1 :: v_dual_cndmask_b32 v2, v4, v2
	s_mov_b32 s3, exec_lo
	v_cmp_gt_u32_e32 vcc_lo, 32, v0
	s_wait_dscnt 0x0
	s_barrier_signal -1
	s_barrier_wait -1
                                        ; implicit-def: $vgpr22
	v_cmpx_lt_u32_e32 31, v0
	s_cbranch_execz .LBB945_117
; %bb.116:
	v_lshl_add_u32 v3, v64, 3, -8
	ds_load_b64 v[22:23], v3
	s_wait_dscnt 0x0
	v_dual_add_nc_u32 v1, v23, v1 :: v_dual_add_nc_u32 v2, v22, v2
.LBB945_117:
	s_or_b32 exec_lo, exec_lo, s3
	v_sub_co_u32 v3, s2, v63, 1
	s_delay_alu instid0(VALU_DEP_1) | instskip(NEXT) | instid1(VALU_DEP_1)
	v_cmp_gt_i32_e64 s3, 0, v3
	v_cndmask_b32_e64 v3, v3, v63, s3
	s_delay_alu instid0(VALU_DEP_1)
	v_lshlrev_b32_e32 v3, 2, v3
	ds_bpermute_b32 v70, v3, v2
	ds_bpermute_b32 v1, v3, v1
	s_and_saveexec_b32 s3, vcc_lo
	s_cbranch_execz .LBB945_136
; %bb.118:
	v_mov_b32_e32 v5, 0
	ds_load_b64 v[2:3], v5 offset:56
	s_and_saveexec_b32 s7, s2
	s_cbranch_execz .LBB945_120
; %bb.119:
	s_add_co_i32 s8, s33, 32
	s_mov_b32 s9, 0
	v_mov_b32_e32 v4, 1
	s_lshl_b64 s[8:9], s[8:9], 4
	s_wait_kmcnt 0x0
	s_add_nc_u64 s[8:9], s[4:5], s[8:9]
	s_delay_alu instid0(SALU_CYCLE_1)
	v_mov_b64_e32 v[6:7], s[8:9]
	s_wait_dscnt 0x0
	;;#ASMSTART
	global_store_b128 v[6:7], v[2:5] off scope:SCOPE_DEV	
s_wait_storecnt 0x0
	;;#ASMEND
.LBB945_120:
	s_or_b32 exec_lo, exec_lo, s7
	v_xad_u32 v24, v63, -1, s33
	s_mov_b32 s8, 0
	s_mov_b32 s7, exec_lo
	s_delay_alu instid0(VALU_DEP_1) | instskip(SKIP_1) | instid1(VALU_DEP_1)
	v_add_nc_u32_e32 v4, 32, v24
	s_wait_kmcnt 0x0
	v_lshl_add_u64 v[4:5], v[4:5], 4, s[4:5]
	;;#ASMSTART
	global_load_b128 v[6:9], v[4:5] off scope:SCOPE_DEV	
s_wait_loadcnt 0x0
	;;#ASMEND
	v_and_b32_e32 v9, 0xff, v8
	s_delay_alu instid0(VALU_DEP_1)
	v_cmpx_eq_u16_e32 0, v9
	s_cbranch_execz .LBB945_123
.LBB945_121:                            ; =>This Inner Loop Header: Depth=1
	;;#ASMSTART
	global_load_b128 v[6:9], v[4:5] off scope:SCOPE_DEV	
s_wait_loadcnt 0x0
	;;#ASMEND
	v_and_b32_e32 v9, 0xff, v8
	s_delay_alu instid0(VALU_DEP_1) | instskip(SKIP_1) | instid1(SALU_CYCLE_1)
	v_cmp_ne_u16_e32 vcc_lo, 0, v9
	s_or_b32 s8, vcc_lo, s8
	s_and_not1_b32 exec_lo, exec_lo, s8
	s_cbranch_execnz .LBB945_121
; %bb.122:
	s_or_b32 exec_lo, exec_lo, s8
.LBB945_123:
	s_delay_alu instid0(SALU_CYCLE_1)
	s_or_b32 exec_lo, exec_lo, s7
	v_cmp_ne_u32_e32 vcc_lo, 31, v63
	v_lshlrev_b32_e64 v72, v63, -1
	v_lshl_or_b32 v79, v63, 2, 64
	v_dual_add_nc_u32 v76, 4, v63 :: v_dual_add_nc_u32 v80, 16, v63
	v_add_co_ci_u32_e64 v4, null, 0, v63, vcc_lo
	s_delay_alu instid0(VALU_DEP_1)
	v_lshlrev_b32_e32 v71, 2, v4
	v_and_b32_e32 v4, 0xff, v8
	ds_bpermute_b32 v5, v71, v7
	v_cmp_eq_u16_e32 vcc_lo, 2, v4
	s_wait_dscnt 0x0
	v_add_nc_u32_e32 v5, v5, v7
	ds_bpermute_b32 v4, v71, v6
	v_and_b32_e32 v9, vcc_lo, v72
	v_cmp_gt_u32_e32 vcc_lo, 30, v63
	v_cndmask_b32_e64 v25, 0, 2, vcc_lo
	s_delay_alu instid0(VALU_DEP_1) | instskip(SKIP_3) | instid1(VALU_DEP_1)
	v_add_lshl_u32 v73, v25, v63, 2
	s_wait_dscnt 0x0
	v_add_nc_u32_e32 v4, v4, v6
	v_or_b32_e32 v9, 0x80000000, v9
	v_ctz_i32_b32_e32 v9, v9
	s_delay_alu instid0(VALU_DEP_1) | instskip(NEXT) | instid1(VALU_DEP_4)
	v_cmp_lt_u32_e32 vcc_lo, v63, v9
	v_dual_cndmask_b32 v5, v7, v5 :: v_dual_cndmask_b32 v4, v6, v4
	v_cmp_gt_u32_e32 vcc_lo, 28, v63
	ds_bpermute_b32 v6, v73, v5
	ds_bpermute_b32 v7, v73, v4
	v_add_nc_u32_e32 v74, 2, v63
	v_cndmask_b32_e64 v25, 0, 4, vcc_lo
	s_delay_alu instid0(VALU_DEP_1) | instskip(SKIP_4) | instid1(VALU_DEP_2)
	v_add_lshl_u32 v75, v25, v63, 2
	s_wait_dscnt 0x1
	v_add_nc_u32_e32 v6, v5, v6
	v_cmp_gt_u32_e32 vcc_lo, v74, v9
	s_wait_dscnt 0x0
	v_dual_add_nc_u32 v7, v4, v7 :: v_dual_cndmask_b32 v5, v6, v5, vcc_lo
	s_delay_alu instid0(VALU_DEP_1)
	v_cndmask_b32_e32 v4, v7, v4, vcc_lo
	v_cmp_gt_u32_e32 vcc_lo, 24, v63
	ds_bpermute_b32 v6, v75, v5
	ds_bpermute_b32 v7, v75, v4
	v_cndmask_b32_e64 v25, 0, 8, vcc_lo
	v_cmp_gt_u32_e32 vcc_lo, v76, v9
	s_delay_alu instid0(VALU_DEP_2) | instskip(SKIP_3) | instid1(VALU_DEP_1)
	v_add_lshl_u32 v77, v25, v63, 2
	s_wait_dscnt 0x1
	v_dual_mov_b32 v25, 0 :: v_dual_add_nc_u32 v6, v5, v6
	s_wait_dscnt 0x0
	v_dual_add_nc_u32 v7, v4, v7 :: v_dual_cndmask_b32 v5, v6, v5, vcc_lo
	s_delay_alu instid0(VALU_DEP_1) | instskip(SKIP_4) | instid1(VALU_DEP_1)
	v_cndmask_b32_e32 v4, v7, v4, vcc_lo
	ds_bpermute_b32 v6, v77, v5
	ds_bpermute_b32 v7, v77, v4
	s_wait_dscnt 0x1
	v_dual_add_nc_u32 v78, 8, v63 :: v_dual_add_nc_u32 v6, v5, v6
	v_cmp_gt_u32_e32 vcc_lo, v78, v9
	s_wait_dscnt 0x0
	s_delay_alu instid0(VALU_DEP_2) | instskip(NEXT) | instid1(VALU_DEP_1)
	v_dual_add_nc_u32 v7, v4, v7 :: v_dual_cndmask_b32 v5, v6, v5, vcc_lo
	v_cndmask_b32_e32 v4, v7, v4, vcc_lo
	v_cmp_le_u32_e32 vcc_lo, v80, v9
	ds_bpermute_b32 v7, v79, v5
	ds_bpermute_b32 v6, v79, v4
	s_wait_dscnt 0x0
	v_dual_cndmask_b32 v7, 0, v7 :: v_dual_cndmask_b32 v6, 0, v6
	s_delay_alu instid0(VALU_DEP_1)
	v_dual_add_nc_u32 v7, v7, v5 :: v_dual_add_nc_u32 v6, v6, v4
	s_branch .LBB945_127
.LBB945_124:                            ;   in Loop: Header=BB945_127 Depth=1
	s_or_b32 exec_lo, exec_lo, s8
.LBB945_125:                            ;   in Loop: Header=BB945_127 Depth=1
	s_delay_alu instid0(SALU_CYCLE_1)
	s_or_b32 exec_lo, exec_lo, s7
	ds_bpermute_b32 v9, v71, v6
	ds_bpermute_b32 v26, v71, v7
	v_and_b32_e32 v27, 0xff, v8
	v_subrev_nc_u32_e32 v24, 32, v24
	s_mov_b32 s7, 0
	s_delay_alu instid0(VALU_DEP_2) | instskip(SKIP_1) | instid1(VALU_DEP_1)
	v_cmp_eq_u16_e32 vcc_lo, 2, v27
	v_and_or_b32 v27, vcc_lo, v72, 0x80000000
	v_ctz_i32_b32_e32 v27, v27
	s_wait_dscnt 0x0
	v_dual_add_nc_u32 v9, v9, v6 :: v_dual_add_nc_u32 v26, v26, v7
	s_delay_alu instid0(VALU_DEP_2) | instskip(NEXT) | instid1(VALU_DEP_2)
	v_cmp_lt_u32_e32 vcc_lo, v63, v27
	v_dual_cndmask_b32 v7, v7, v26 :: v_dual_cndmask_b32 v6, v6, v9
	v_cmp_gt_u32_e32 vcc_lo, v74, v27
	ds_bpermute_b32 v26, v73, v7
	ds_bpermute_b32 v9, v73, v6
	s_wait_dscnt 0x0
	v_dual_add_nc_u32 v26, v7, v26 :: v_dual_add_nc_u32 v9, v6, v9
	s_delay_alu instid0(VALU_DEP_1)
	v_dual_cndmask_b32 v7, v26, v7 :: v_dual_cndmask_b32 v6, v9, v6
	v_cmp_gt_u32_e32 vcc_lo, v76, v27
	ds_bpermute_b32 v26, v75, v7
	ds_bpermute_b32 v9, v75, v6
	s_wait_dscnt 0x0
	v_dual_add_nc_u32 v26, v7, v26 :: v_dual_add_nc_u32 v9, v6, v9
	s_delay_alu instid0(VALU_DEP_1)
	;; [unrolled: 7-line block ×3, first 2 shown]
	v_dual_cndmask_b32 v7, v26, v7 :: v_dual_cndmask_b32 v6, v9, v6
	v_cmp_le_u32_e32 vcc_lo, v80, v27
	ds_bpermute_b32 v26, v79, v7
	ds_bpermute_b32 v9, v79, v6
	s_wait_dscnt 0x0
	v_dual_cndmask_b32 v26, 0, v26 :: v_dual_cndmask_b32 v9, 0, v9
	s_delay_alu instid0(VALU_DEP_1) | instskip(NEXT) | instid1(VALU_DEP_2)
	v_add3_u32 v7, v7, v5, v26
	v_add3_u32 v6, v6, v4, v9
.LBB945_126:                            ;   in Loop: Header=BB945_127 Depth=1
	s_and_b32 vcc_lo, exec_lo, s7
	s_cbranch_vccnz .LBB945_132
.LBB945_127:                            ; =>This Loop Header: Depth=1
                                        ;     Child Loop BB945_130 Depth 2
	v_and_b32_e32 v4, 0xff, v8
	s_mov_b32 s7, -1
                                        ; implicit-def: $vgpr8
	s_delay_alu instid0(VALU_DEP_1)
	v_cmp_ne_u16_e32 vcc_lo, 2, v4
	v_mov_b64_e32 v[4:5], v[6:7]
                                        ; implicit-def: $vgpr6_vgpr7
	s_cmp_lg_u32 vcc_lo, exec_lo
	s_cbranch_scc1 .LBB945_126
; %bb.128:                              ;   in Loop: Header=BB945_127 Depth=1
	v_lshl_add_u64 v[26:27], v[24:25], 4, s[4:5]
	;;#ASMSTART
	global_load_b128 v[6:9], v[26:27] off scope:SCOPE_DEV	
s_wait_loadcnt 0x0
	;;#ASMEND
	v_and_b32_e32 v9, 0xff, v8
	s_mov_b32 s7, exec_lo
	s_delay_alu instid0(VALU_DEP_1)
	v_cmpx_eq_u16_e32 0, v9
	s_cbranch_execz .LBB945_125
; %bb.129:                              ;   in Loop: Header=BB945_127 Depth=1
	s_mov_b32 s8, 0
.LBB945_130:                            ;   Parent Loop BB945_127 Depth=1
                                        ; =>  This Inner Loop Header: Depth=2
	;;#ASMSTART
	global_load_b128 v[6:9], v[26:27] off scope:SCOPE_DEV	
s_wait_loadcnt 0x0
	;;#ASMEND
	v_and_b32_e32 v9, 0xff, v8
	s_delay_alu instid0(VALU_DEP_1) | instskip(SKIP_1) | instid1(SALU_CYCLE_1)
	v_cmp_ne_u16_e32 vcc_lo, 0, v9
	s_or_b32 s8, vcc_lo, s8
	s_and_not1_b32 exec_lo, exec_lo, s8
	s_cbranch_execnz .LBB945_130
	s_branch .LBB945_124
.LBB945_131:
                                        ; implicit-def: $vgpr1
                                        ; implicit-def: $vgpr4
                                        ; implicit-def: $vgpr6
                                        ; implicit-def: $vgpr8
                                        ; implicit-def: $vgpr22
	s_and_b32 vcc_lo, exec_lo, s3
	s_cbranch_vccnz .LBB945_137
	s_branch .LBB945_146
.LBB945_132:
	s_and_saveexec_b32 s7, s2
	s_cbranch_execz .LBB945_134
; %bb.133:
	s_add_co_i32 s8, s33, 32
	s_mov_b32 s9, 0
	v_dual_mov_b32 v8, 2 :: v_dual_mov_b32 v9, 0
	s_lshl_b64 s[8:9], s[8:9], 4
	v_dual_add_nc_u32 v7, v5, v3 :: v_dual_add_nc_u32 v6, v4, v2
	s_add_nc_u64 s[8:9], s[4:5], s[8:9]
	s_delay_alu instid0(SALU_CYCLE_1)
	v_mov_b64_e32 v[24:25], s[8:9]
	;;#ASMSTART
	global_store_b128 v[24:25], v[6:9] off scope:SCOPE_DEV	
s_wait_storecnt 0x0
	;;#ASMEND
	ds_store_b128 v9, v[2:5] offset:13312
.LBB945_134:
	s_or_b32 exec_lo, exec_lo, s7
	v_cmp_eq_u32_e32 vcc_lo, 0, v0
	s_and_b32 exec_lo, exec_lo, vcc_lo
; %bb.135:
	v_mov_b32_e32 v2, 0
	ds_store_b64 v2, v[4:5] offset:56
.LBB945_136:
	s_or_b32 exec_lo, exec_lo, s3
	s_wait_dscnt 0x0
	v_dual_mov_b32 v2, 0 :: v_dual_cndmask_b32 v1, v1, v23, s2
	s_barrier_signal -1
	s_barrier_wait -1
	ds_load_b64 v[8:9], v2 offset:56
	s_wait_dscnt 0x0
	s_barrier_signal -1
	s_barrier_wait -1
	ds_load_b128 v[2:5], v2 offset:13312
	v_cndmask_b32_e64 v6, v70, v22, s2
	v_cmp_eq_u32_e32 vcc_lo, 0, v0
	s_delay_alu instid0(VALU_DEP_2) | instskip(SKIP_2) | instid1(VALU_DEP_2)
	v_dual_add_nc_u32 v1, v9, v1 :: v_dual_add_nc_u32 v7, v8, v6
	s_wait_dscnt 0x0
	v_mov_b32_e32 v6, v5
	v_dual_cndmask_b32 v1, v1, v9 :: v_dual_cndmask_b32 v22, v7, v8
	v_mov_b32_e32 v8, v3
	s_branch .LBB945_146
.LBB945_137:
	v_mov_b32_dpp v1, v68 row_shr:1 row_mask:0xf bank_mask:0xf
	v_mov_b32_dpp v2, v69 row_shr:1 row_mask:0xf bank_mask:0xf
	v_cmp_lt_u32_e32 vcc_lo, 3, v65
	s_delay_alu instid0(VALU_DEP_2) | instskip(NEXT) | instid1(VALU_DEP_1)
	v_dual_add_nc_u32 v1, v1, v68 :: v_dual_add_nc_u32 v2, v2, v69
	v_dual_cndmask_b32 v1, v1, v68, s1 :: v_dual_cndmask_b32 v2, v2, v69, s1
	s_mov_b32 s1, exec_lo
	s_delay_alu instid0(VALU_DEP_1) | instskip(NEXT) | instid1(VALU_DEP_2)
	v_mov_b32_dpp v3, v1 row_shr:2 row_mask:0xf bank_mask:0xf
	v_mov_b32_dpp v4, v2 row_shr:2 row_mask:0xf bank_mask:0xf
	s_delay_alu instid0(VALU_DEP_1) | instskip(NEXT) | instid1(VALU_DEP_1)
	v_dual_add_nc_u32 v3, v1, v3 :: v_dual_add_nc_u32 v4, v2, v4
	v_dual_cndmask_b32 v1, v1, v3, s0 :: v_dual_cndmask_b32 v2, v2, v4, s0
	s_delay_alu instid0(VALU_DEP_1) | instskip(NEXT) | instid1(VALU_DEP_2)
	v_mov_b32_dpp v3, v1 row_shr:4 row_mask:0xf bank_mask:0xf
	v_mov_b32_dpp v4, v2 row_shr:4 row_mask:0xf bank_mask:0xf
	s_delay_alu instid0(VALU_DEP_1) | instskip(NEXT) | instid1(VALU_DEP_1)
	v_dual_add_nc_u32 v3, v1, v3 :: v_dual_add_nc_u32 v4, v2, v4
	v_dual_cndmask_b32 v3, v1, v3 :: v_dual_cndmask_b32 v2, v2, v4
	v_cmp_lt_u32_e32 vcc_lo, 7, v65
	s_delay_alu instid0(VALU_DEP_2) | instskip(NEXT) | instid1(VALU_DEP_3)
	v_mov_b32_dpp v1, v3 row_shr:8 row_mask:0xf bank_mask:0xf
	v_mov_b32_dpp v4, v2 row_shr:8 row_mask:0xf bank_mask:0xf
	s_delay_alu instid0(VALU_DEP_1) | instskip(NEXT) | instid1(VALU_DEP_1)
	v_dual_add_nc_u32 v5, v3, v1 :: v_dual_add_nc_u32 v1, v2, v4
	v_cndmask_b32_e32 v1, v2, v1, vcc_lo
	s_delay_alu instid0(VALU_DEP_2)
	v_cndmask_b32_e32 v2, v3, v5, vcc_lo
	v_cmp_eq_u32_e32 vcc_lo, 0, v67
	ds_swizzle_b32 v4, v2 offset:swizzle(BROADCAST,32,15)
	s_wait_dscnt 0x0
	v_add_nc_u32_e32 v4, v2, v4
	ds_swizzle_b32 v3, v1 offset:swizzle(BROADCAST,32,15)
	s_wait_dscnt 0x0
	v_add_nc_u32_e32 v3, v1, v3
	v_cmpx_eq_u32_e64 v0, v66
; %bb.138:
	s_delay_alu instid0(VALU_DEP_2)
	v_dual_cndmask_b32 v6, v4, v2 :: v_dual_cndmask_b32 v7, v3, v1
	v_lshlrev_b32_e32 v5, 3, v64
	ds_store_b64 v5, v[6:7]
; %bb.139:
	s_or_b32 exec_lo, exec_lo, s1
	s_delay_alu instid0(SALU_CYCLE_1)
	s_mov_b32 s1, exec_lo
	s_wait_dscnt 0x0
	s_barrier_signal -1
	s_barrier_wait -1
	v_cmpx_gt_u32_e32 8, v0
	s_cbranch_execz .LBB945_141
; %bb.140:
	v_dual_lshlrev_b32 v5, 3, v0 :: v_dual_bitop2_b32 v22, 7, v63 bitop3:0x40
	ds_load_b64 v[6:7], v5
	v_cmp_eq_u32_e64 s0, 0, v22
	s_wait_dscnt 0x0
	v_mov_b32_dpp v8, v6 row_shr:1 row_mask:0xf bank_mask:0xf
	v_mov_b32_dpp v9, v7 row_shr:1 row_mask:0xf bank_mask:0xf
	s_delay_alu instid0(VALU_DEP_1) | instskip(NEXT) | instid1(VALU_DEP_1)
	v_dual_add_nc_u32 v8, v8, v6 :: v_dual_add_nc_u32 v9, v9, v7
	v_dual_cndmask_b32 v6, v8, v6, s0 :: v_dual_cndmask_b32 v7, v9, v7, s0
	v_cmp_lt_u32_e64 s0, 1, v22
	s_delay_alu instid0(VALU_DEP_2) | instskip(NEXT) | instid1(VALU_DEP_3)
	v_mov_b32_dpp v8, v6 row_shr:2 row_mask:0xf bank_mask:0xf
	v_mov_b32_dpp v9, v7 row_shr:2 row_mask:0xf bank_mask:0xf
	s_delay_alu instid0(VALU_DEP_1) | instskip(NEXT) | instid1(VALU_DEP_1)
	v_dual_add_nc_u32 v8, v6, v8 :: v_dual_add_nc_u32 v9, v7, v9
	v_dual_cndmask_b32 v6, v6, v8, s0 :: v_dual_cndmask_b32 v7, v7, v9, s0
	v_cmp_lt_u32_e64 s0, 3, v22
	s_delay_alu instid0(VALU_DEP_2) | instskip(NEXT) | instid1(VALU_DEP_3)
	v_mov_b32_dpp v8, v6 row_shr:4 row_mask:0xf bank_mask:0xf
	v_mov_b32_dpp v9, v7 row_shr:4 row_mask:0xf bank_mask:0xf
	s_delay_alu instid0(VALU_DEP_1) | instskip(NEXT) | instid1(VALU_DEP_1)
	v_dual_cndmask_b32 v8, 0, v8, s0 :: v_dual_cndmask_b32 v9, 0, v9, s0
	v_dual_add_nc_u32 v6, v8, v6 :: v_dual_add_nc_u32 v7, v9, v7
	ds_store_b64 v5, v[6:7]
.LBB945_141:
	s_or_b32 exec_lo, exec_lo, s1
	v_dual_mov_b32 v5, 0 :: v_dual_mov_b32 v6, 0
	v_mov_b32_e32 v7, 0
	s_mov_b32 s1, exec_lo
	s_wait_dscnt 0x0
	s_barrier_signal -1
	s_barrier_wait -1
	v_cmpx_lt_u32_e32 31, v0
; %bb.142:
	v_lshl_add_u32 v6, v64, 3, -8
	ds_load_b64 v[6:7], v6
; %bb.143:
	s_or_b32 exec_lo, exec_lo, s1
	v_sub_co_u32 v8, s0, v63, 1
	v_dual_cndmask_b32 v2, v4, v2 :: v_dual_cndmask_b32 v1, v3, v1
	v_cmp_eq_u32_e32 vcc_lo, 0, v0
	s_delay_alu instid0(VALU_DEP_3) | instskip(SKIP_1) | instid1(VALU_DEP_1)
	v_cmp_gt_i32_e64 s1, 0, v8
	s_wait_dscnt 0x0
	v_dual_add_nc_u32 v2, v6, v2 :: v_dual_cndmask_b32 v4, v8, v63, s1
	s_delay_alu instid0(VALU_DEP_1)
	v_dual_lshlrev_b32 v3, 2, v4 :: v_dual_add_nc_u32 v4, v7, v1
	ds_bpermute_b32 v1, v3, v2
	ds_bpermute_b32 v8, v3, v4
	ds_load_b64 v[2:3], v5 offset:56
	s_and_saveexec_b32 s1, vcc_lo
	s_cbranch_execz .LBB945_145
; %bb.144:
	s_wait_kmcnt 0x0
	s_add_nc_u64 s[2:3], s[4:5], 0x200
	v_dual_mov_b32 v4, 2 :: v_dual_mov_b32 v5, 0
	v_mov_b64_e32 v[22:23], s[2:3]
	s_wait_dscnt 0x0
	;;#ASMSTART
	global_store_b128 v[22:23], v[2:5] off scope:SCOPE_DEV	
s_wait_storecnt 0x0
	;;#ASMEND
.LBB945_145:
	s_or_b32 exec_lo, exec_lo, s1
	s_wait_dscnt 0x1
	v_dual_cndmask_b32 v5, v8, v7, s0 :: v_dual_cndmask_b32 v7, v1, v6, s0
	v_dual_mov_b32 v6, 0 :: v_dual_mov_b32 v4, 0
	s_wait_dscnt 0x0
	v_mov_b32_e32 v8, v3
	s_delay_alu instid0(VALU_DEP_3)
	v_cndmask_b32_e64 v1, v5, 0, vcc_lo
	v_cndmask_b32_e64 v22, v7, 0, vcc_lo
	s_barrier_signal -1
	s_barrier_wait -1
.LBB945_146:
	s_delay_alu instid0(VALU_DEP_1) | instskip(SKIP_1) | instid1(VALU_DEP_2)
	v_dual_add_nc_u32 v62, v1, v62 :: v_dual_add_nc_u32 v70, v22, v61
	v_dual_mov_b32 v5, 0 :: v_dual_lshrrev_b32 v68, 16, v37
	v_dual_lshrrev_b32 v3, 8, v37 :: v_dual_add_nc_u32 v71, v62, v60
	s_delay_alu instid0(VALU_DEP_3) | instskip(SKIP_1) | instid1(VALU_DEP_3)
	v_dual_add_nc_u32 v59, v70, v59 :: v_dual_lshlrev_b32 v60, 1, v2
	v_dual_sub_nc_u32 v72, v22, v4 :: v_dual_sub_nc_u32 v1, v1, v6
	v_dual_add_nc_u32 v73, v71, v44 :: v_dual_bitop2_b32 v74, 1, v31 bitop3:0x40
	s_delay_alu instid0(VALU_DEP_3) | instskip(NEXT) | instid1(VALU_DEP_3)
	v_dual_add_nc_u32 v58, v59, v58 :: v_dual_bitop2_b32 v75, 1, v3 bitop3:0x40
	v_dual_add_nc_u32 v1, v1, v2 :: v_dual_sub_nc_u32 v70, v70, v4
	s_delay_alu instid0(VALU_DEP_2)
	v_dual_add_nc_u32 v57, v73, v57 :: v_dual_add_nc_u32 v76, v58, v43
	v_mov_b32_e32 v61, v5
	s_wait_kmcnt 0x0
	v_add_nc_u64_e32 v[22:23], s[28:29], v[4:5]
	v_dual_mov_b32 v3, v5 :: v_dual_mov_b32 v7, v5
	v_dual_add_nc_u32 v55, v76, v55 :: v_dual_add_nc_u32 v56, v57, v56
	v_cmp_eq_u32_e32 vcc_lo, 1, v75
	v_dual_lshrrev_b32 v69, 8, v31 :: v_dual_lshrrev_b32 v67, 16, v31
	s_delay_alu instid0(VALU_DEP_3) | instskip(NEXT) | instid1(VALU_DEP_4)
	v_dual_add_nc_u32 v53, v55, v53 :: v_dual_mov_b32 v9, v5
	v_add_nc_u32_e32 v54, v56, v54
	v_add3_u32 v5, v60, v8, v30
	s_delay_alu instid0(VALU_DEP_3) | instskip(NEXT) | instid1(VALU_DEP_3)
	v_dual_sub_nc_u32 v62, v62, v6 :: v_dual_add_nc_u32 v51, v53, v51
	v_dual_add_nc_u32 v78, v72, v1 :: v_dual_add_nc_u32 v77, v54, v42
	s_delay_alu instid0(VALU_DEP_2) | instskip(NEXT) | instid1(VALU_DEP_2)
	v_dual_sub_nc_u32 v59, v59, v4 :: v_dual_add_nc_u32 v62, v62, v2
	v_dual_add_nc_u32 v79, v51, v41 :: v_dual_sub_nc_u32 v78, v5, v78
	s_delay_alu instid0(VALU_DEP_3) | instskip(SKIP_1) | instid1(VALU_DEP_3)
	v_add_nc_u32_e32 v52, v77, v52
	v_dual_sub_nc_u32 v73, v73, v6 :: v_dual_sub_nc_u32 v58, v58, v4
	v_add_nc_u32_e32 v48, v79, v48
	s_delay_alu instid0(VALU_DEP_4) | instskip(SKIP_2) | instid1(VALU_DEP_4)
	v_dual_sub_nc_u32 v71, v71, v6 :: v_dual_cndmask_b32 v1, v78, v1, vcc_lo
	v_cmp_eq_u32_e32 vcc_lo, 1, v74
	v_add_nc_u32_e32 v50, v52, v50
	v_dual_add_nc_u32 v80, v62, v70 :: v_dual_add_nc_u32 v47, v48, v47
	v_dual_lshrrev_b32 v66, 8, v32 :: v_dual_lshrrev_b32 v65, 16, v32
	v_dual_cndmask_b32 v1, v1, v72, vcc_lo :: v_dual_add_nc_u32 v71, v71, v2
	s_delay_alu instid0(VALU_DEP_3) | instskip(NEXT) | instid1(VALU_DEP_4)
	v_dual_add_nc_u32 v49, v50, v49 :: v_dual_add_nc_u32 v46, v47, v46
	v_sub_nc_u32_e32 v74, v5, v80
	s_delay_alu instid0(VALU_DEP_3) | instskip(NEXT) | instid1(VALU_DEP_3)
	v_dual_add_nc_u32 v75, v71, v59 :: v_dual_bitop2_b32 v68, 1, v68 bitop3:0x40
	v_dual_add_nc_u32 v72, v49, v40 :: v_dual_bitop2_b32 v69, 1, v69 bitop3:0x40
	s_delay_alu instid0(VALU_DEP_3) | instskip(NEXT) | instid1(VALU_DEP_3)
	v_add_nc_u32_e32 v74, 1, v74
	v_cmp_eq_u32_e32 vcc_lo, 1, v68
	s_delay_alu instid0(VALU_DEP_3) | instskip(SKIP_1) | instid1(VALU_DEP_4)
	v_dual_sub_nc_u32 v75, v5, v75 :: v_dual_add_nc_u32 v45, v72, v45
	v_dual_add_nc_u32 v68, v73, v2 :: v_dual_bitop2_b32 v44, 1, v44 bitop3:0x40
	v_cndmask_b32_e32 v62, v74, v62, vcc_lo
	v_cmp_eq_u32_e32 vcc_lo, 1, v69
	s_delay_alu instid0(VALU_DEP_3)
	v_dual_add_nc_u32 v73, 2, v75 :: v_dual_add_nc_u32 v69, v58, v68
	v_dual_lshlrev_b32 v1, 2, v1 :: v_dual_bitop2_b32 v67, 1, v67 bitop3:0x40
	v_add_nc_u32_e32 v78, v46, v39
	v_cndmask_b32_e32 v62, v62, v70, vcc_lo
	v_cmp_eq_u32_e32 vcc_lo, 1, v44
	v_dual_sub_nc_u32 v57, v57, v6 :: v_dual_bitop2_b32 v43, 1, v43 bitop3:0x40
	ds_store_b32 v1, v20
	v_dual_lshlrev_b32 v20, 2, v62 :: v_dual_cndmask_b32 v44, v73, v71, vcc_lo
	v_cmp_eq_u32_e32 vcc_lo, 1, v67
	v_sub_nc_u32_e32 v1, v5, v69
	v_dual_lshrrev_b32 v63, 16, v33 :: v_dual_lshrrev_b32 v64, 8, v33
	ds_store_b32 v20, v21
	v_dual_cndmask_b32 v44, v44, v59, vcc_lo :: v_dual_bitop2_b32 v32, 1, v32 bitop3:0x40
	v_dual_add_nc_u32 v1, 3, v1 :: v_dual_add_nc_u32 v57, v57, v2
	v_dual_sub_nc_u32 v54, v54, v6 :: v_dual_lshrrev_b32 v25, 16, v35
	v_lshrrev_b32_e32 v27, 8, v35
	s_delay_alu instid0(VALU_DEP_4)
	v_cmp_eq_u32_e32 vcc_lo, 1, v32
	v_sub_nc_u32_e32 v56, v56, v6
	v_sub_nc_u32_e32 v32, v76, v4
	v_dual_lshrrev_b32 v26, 8, v36 :: v_dual_lshrrev_b32 v24, 16, v36
	v_cndmask_b32_e32 v1, v1, v68, vcc_lo
	v_cmp_eq_u32_e32 vcc_lo, 1, v43
	v_dual_sub_nc_u32 v55, v55, v4 :: v_dual_add_nc_u32 v56, v56, v2
	v_dual_add_nc_u32 v43, v32, v57 :: v_dual_lshlrev_b32 v21, 2, v44
	s_delay_alu instid0(VALU_DEP_4) | instskip(NEXT) | instid1(VALU_DEP_2)
	v_dual_cndmask_b32 v1, v1, v58, vcc_lo :: v_dual_bitop2_b32 v58, 1, v65 bitop3:0x40
	v_dual_add_nc_u32 v20, v55, v56 :: v_dual_sub_nc_u32 v43, v5, v43
	s_delay_alu instid0(VALU_DEP_2) | instskip(NEXT) | instid1(VALU_DEP_2)
	v_dual_lshlrev_b32 v1, 2, v1 :: v_dual_bitop2_b32 v44, 1, v66 bitop3:0x40
	v_dual_sub_nc_u32 v20, v5, v20 :: v_dual_bitop2_b32 v33, 1, v33 bitop3:0x40
	s_delay_alu instid0(VALU_DEP_3) | instskip(NEXT) | instid1(VALU_DEP_3)
	v_add_nc_u32_e32 v43, 4, v43
	v_cmp_eq_u32_e32 vcc_lo, 1, v44
	v_dual_sub_nc_u32 v53, v53, v4 :: v_dual_add_nc_u32 v54, v54, v2
	s_delay_alu instid0(VALU_DEP_4)
	v_add_nc_u32_e32 v20, 5, v20
	ds_store_b32 v21, v18
	v_cndmask_b32_e32 v43, v43, v57, vcc_lo
	v_cmp_eq_u32_e32 vcc_lo, 1, v58
	v_and_b32_e32 v44, 1, v64
	ds_store_b32 v1, v19
	v_and_b32_e32 v21, 1, v63
	v_sub_nc_u64_e32 v[30:31], s[30:31], v[2:3]
	v_dual_cndmask_b32 v20, v20, v56, vcc_lo :: v_dual_add_nc_u32 v56, v53, v54
	v_cmp_eq_u32_e32 vcc_lo, 1, v33
	v_sub_nc_u32_e32 v33, v52, v6
	s_mov_b32 s41, 0
	s_delay_alu instid0(VALU_DEP_3)
	v_dual_sub_nc_u32 v18, v5, v56 :: v_dual_bitop2_b32 v27, 1, v27 bitop3:0x40
	v_cndmask_b32_e32 v32, v43, v32, vcc_lo
	v_cmp_eq_u32_e32 vcc_lo, 1, v44
	v_add_nc_u64_e32 v[30:31], v[30:31], v[6:7]
	s_add_nc_u64 s[0:1], s[34:35], s[40:41]
	v_dual_add_nc_u32 v18, 6, v18 :: v_dual_cndmask_b32 v20, v20, v55, vcc_lo
	v_dual_lshlrev_b32 v1, 2, v32 :: v_dual_sub_nc_u32 v32, v77, v6
	s_delay_alu instid0(VALU_DEP_2)
	v_dual_lshlrev_b32 v19, 2, v20 :: v_dual_bitop2_b32 v20, 1, v42 bitop3:0x40
	v_sub_nc_u32_e32 v42, v79, v4
	ds_store_b32 v1, v16
	ds_store_b32 v19, v17
	v_cmp_eq_u32_e32 vcc_lo, 1, v20
	v_dual_sub_nc_u32 v20, v51, v4 :: v_dual_add_nc_u32 v32, v32, v2
	v_dual_add_nc_u32 v33, v33, v2 :: v_dual_bitop2_b32 v19, 1, v35 bitop3:0x40
	v_cndmask_b32_e32 v18, v18, v54, vcc_lo
	v_cmp_eq_u32_e32 vcc_lo, 1, v21
	s_delay_alu instid0(VALU_DEP_4) | instskip(NEXT) | instid1(VALU_DEP_3)
	v_add_nc_u32_e32 v21, v20, v32
	v_dual_cndmask_b32 v18, v18, v53 :: v_dual_sub_nc_u32 v35, v48, v4
	v_add_nc_u32_e32 v1, v42, v33
	s_delay_alu instid0(VALU_DEP_3) | instskip(SKIP_1) | instid1(VALU_DEP_4)
	v_dual_sub_nc_u32 v17, v5, v21 :: v_dual_sub_nc_u32 v21, v50, v6
	v_cmp_eq_u32_e32 vcc_lo, 1, v19
	v_dual_lshlrev_b32 v16, 2, v18 :: v_dual_bitop2_b32 v18, 1, v41 bitop3:0x40
	s_delay_alu instid0(VALU_DEP_4) | instskip(NEXT) | instid1(VALU_DEP_4)
	v_sub_nc_u32_e32 v1, v5, v1
	v_dual_add_nc_u32 v17, 7, v17 :: v_dual_add_nc_u32 v21, v21, v2
	ds_store_b32 v16, v14
	v_dual_add_nc_u32 v1, 8, v1 :: v_dual_cndmask_b32 v17, v17, v32, vcc_lo
	v_cmp_eq_u32_e32 vcc_lo, 1, v27
	v_dual_add_nc_u32 v27, v35, v21 :: v_dual_bitop2_b32 v19, 1, v36 bitop3:0x40
	s_delay_alu instid0(VALU_DEP_3) | instskip(SKIP_1) | instid1(VALU_DEP_3)
	v_cndmask_b32_e32 v1, v1, v33, vcc_lo
	v_cmp_eq_u32_e32 vcc_lo, 1, v18
	v_dual_sub_nc_u32 v14, v5, v27 :: v_dual_bitop2_b32 v18, 1, v25 bitop3:0x40
	v_cndmask_b32_e32 v17, v17, v20, vcc_lo
	v_cmp_eq_u32_e32 vcc_lo, 1, v19
	v_dual_sub_nc_u32 v19, v47, v4 :: v_dual_cndmask_b32 v1, v1, v42, vcc_lo
	s_delay_alu instid0(VALU_DEP_4) | instskip(NEXT) | instid1(VALU_DEP_2)
	v_cmp_eq_u32_e32 vcc_lo, 1, v18
	v_lshlrev_b32_e32 v1, 2, v1
	v_dual_lshlrev_b32 v16, 2, v17 :: v_dual_sub_nc_u32 v17, v49, v6
	ds_store_b32 v16, v15
	v_add_nc_u32_e32 v17, v17, v2
	v_add_nc_u32_e32 v14, 9, v14
	ds_store_b32 v1, v12
	v_dual_sub_nc_u32 v16, v45, v6 :: v_dual_add_nc_u32 v15, v19, v17
	v_dual_cndmask_b32 v14, v14, v21, vcc_lo :: v_dual_bitop2_b32 v20, 1, v26 bitop3:0x40
	v_sub_nc_u32_e32 v12, v72, v6
	s_delay_alu instid0(VALU_DEP_3) | instskip(NEXT) | instid1(VALU_DEP_3)
	v_add_nc_u32_e32 v16, v16, v2
	v_cmp_eq_u32_e32 vcc_lo, 1, v20
	v_sub_nc_u32_e32 v20, v78, v4
	v_cndmask_b32_e32 v1, v14, v35, vcc_lo
	v_dual_sub_nc_u32 v14, v5, v15 :: v_dual_bitop2_b32 v15, 1, v40 bitop3:0x40
	v_dual_sub_nc_u32 v18, v46, v4 :: v_dual_add_nc_u32 v12, v12, v2
	s_delay_alu instid0(VALU_DEP_2) | instskip(NEXT) | instid1(VALU_DEP_3)
	v_dual_add_nc_u32 v14, 10, v14 :: v_dual_bitop2_b32 v4, 1, v24 bitop3:0x40
	v_cmp_eq_u32_e32 vcc_lo, 1, v15
	v_add_nc_u32_e32 v15, v20, v16
	s_delay_alu instid0(VALU_DEP_4) | instskip(NEXT) | instid1(VALU_DEP_4)
	v_dual_add_nc_u32 v21, v18, v12 :: v_dual_lshlrev_b32 v1, 2, v1
	v_cndmask_b32_e32 v14, v14, v17, vcc_lo
	v_cmp_eq_u32_e32 vcc_lo, 1, v4
	s_delay_alu instid0(VALU_DEP_3) | instskip(SKIP_4) | instid1(VALU_DEP_3)
	v_dual_sub_nc_u32 v17, v5, v21 :: v_dual_sub_nc_u32 v4, v5, v15
	ds_store_b32 v1, v13
	v_dual_cndmask_b32 v14, v14, v19, vcc_lo :: v_dual_bitop2_b32 v19, 1, v34 bitop3:0x40
	v_dual_add_nc_u32 v17, 11, v17 :: v_dual_bitop2_b32 v15, 1, v39 bitop3:0x40
	v_dual_add_nc_u32 v24, 12, v4 :: v_dual_bitop2_b32 v21, 1, v38 bitop3:0x40
	v_cmp_eq_u32_e32 vcc_lo, 1, v19
	v_add_nc_u64_e32 v[4:5], v[8:9], v[60:61]
	s_delay_alu instid0(VALU_DEP_4) | instskip(SKIP_2) | instid1(VALU_DEP_4)
	v_dual_lshlrev_b32 v14, 2, v14 :: v_dual_cndmask_b32 v12, v17, v12, vcc_lo
	v_and_b32_e32 v17, 1, v37
	v_cmp_eq_u32_e32 vcc_lo, 1, v21
	v_add_nc_u64_e32 v[4:5], v[4:5], v[30:31]
	ds_store_b32 v14, v10
	v_cndmask_b32_e32 v16, v24, v16, vcc_lo
	v_cmp_eq_u32_e32 vcc_lo, 1, v15
	v_add_nc_u64_e32 v[4:5], v[4:5], v[22:23]
	v_cndmask_b32_e32 v12, v12, v18, vcc_lo
	v_cmp_eq_u32_e32 vcc_lo, 1, v17
	v_cndmask_b32_e32 v15, v16, v20, vcc_lo
	v_cmp_ne_u32_e32 vcc_lo, 1, v29
	s_delay_alu instid0(VALU_DEP_2)
	v_dual_lshlrev_b32 v10, 2, v15 :: v_dual_lshlrev_b32 v1, 2, v12
	v_lshlrev_b64_e32 v[12:13], 2, v[30:31]
	v_lshlrev_b64_e32 v[14:15], 2, v[22:23]
	s_and_b32 vcc_lo, exec_lo, vcc_lo
	ds_store_b32 v1, v11
	ds_store_b32 v10, v28
	v_sub_nc_u64_e32 v[10:11], s[0:1], v[4:5]
	v_add_nc_u64_e32 v[4:5], s[38:39], v[12:13]
	v_add_nc_u64_e32 v[12:13], s[36:37], v[14:15]
	v_add_nc_u32_e32 v14, v2, v8
	s_mov_b32 s0, -1
	s_wait_dscnt 0x0
	s_barrier_signal -1
	s_barrier_wait -1
	s_cbranch_vccz .LBB945_150
; %bb.147:
	s_and_b32 vcc_lo, exec_lo, s0
	s_cbranch_vccnz .LBB945_255
.LBB945_148:
	v_cmp_eq_u32_e32 vcc_lo, 0, v0
	s_and_b32 s0, vcc_lo, s15
	s_delay_alu instid0(SALU_CYCLE_1)
	s_and_saveexec_b32 s1, s0
	s_cbranch_execnz .LBB945_373
.LBB945_149:
	s_sendmsg sendmsg(MSG_DEALLOC_VGPRS)
	s_endpgm
.LBB945_150:
	s_mov_b32 s0, exec_lo
	v_cmpx_ge_u32_e64 v0, v2
	s_xor_b32 s0, exec_lo, s0
	s_cbranch_execz .LBB945_156
; %bb.151:
	v_mov_b32_e32 v1, 0
	s_mov_b32 s1, exec_lo
	v_cmpx_ge_u32_e64 v0, v14
	s_xor_b32 s1, exec_lo, s1
	s_cbranch_execz .LBB945_153
; %bb.152:
	v_lshlrev_b32_e32 v15, 2, v0
	v_add_nc_u64_e32 v[16:17], v[10:11], v[0:1]
	ds_load_b32 v1, v15
	v_lshlrev_b64_e32 v[16:17], 2, v[16:17]
	s_delay_alu instid0(VALU_DEP_1)
	v_sub_nc_u64_e32 v[16:17], s[26:27], v[16:17]
	s_wait_dscnt 0x0
	global_store_b32 v[16:17], v1, off offset:-4
.LBB945_153:
	s_wait_xcnt 0x0
	s_and_not1_saveexec_b32 s1, s1
	s_cbranch_execz .LBB945_155
; %bb.154:
	v_lshlrev_b32_e32 v1, 2, v0
	v_readfirstlane_b32 s2, v4
	v_readfirstlane_b32 s3, v5
	ds_load_b32 v1, v1
	s_wait_dscnt 0x0
	global_store_b32 v0, v1, s[2:3] scale_offset
.LBB945_155:
	s_wait_xcnt 0x0
	s_or_b32 exec_lo, exec_lo, s1
.LBB945_156:
	s_and_not1_saveexec_b32 s0, s0
	s_cbranch_execz .LBB945_158
; %bb.157:
	v_lshlrev_b32_e32 v1, 2, v0
	v_readfirstlane_b32 s2, v12
	v_readfirstlane_b32 s3, v13
	ds_load_b32 v1, v1
	s_wait_dscnt 0x0
	global_store_b32 v0, v1, s[2:3] scale_offset
.LBB945_158:
	s_wait_xcnt 0x0
	s_or_b32 exec_lo, exec_lo, s0
	v_or_b32_e32 v1, 0x100, v0
	s_mov_b32 s0, exec_lo
	s_delay_alu instid0(VALU_DEP_1)
	v_cmpx_ge_u32_e64 v1, v2
	s_xor_b32 s0, exec_lo, s0
	s_cbranch_execz .LBB945_164
; %bb.159:
	s_mov_b32 s1, exec_lo
	v_cmpx_ge_u32_e64 v1, v14
	s_xor_b32 s1, exec_lo, s1
	s_cbranch_execz .LBB945_161
; %bb.160:
	v_dual_mov_b32 v1, 0 :: v_dual_lshlrev_b32 v15, 2, v0
	s_delay_alu instid0(VALU_DEP_1) | instskip(SKIP_2) | instid1(VALU_DEP_1)
	v_add_nc_u64_e32 v[16:17], v[10:11], v[0:1]
	ds_load_b32 v1, v15 offset:1024
	v_lshlrev_b64_e32 v[16:17], 2, v[16:17]
	v_sub_nc_u64_e32 v[16:17], s[26:27], v[16:17]
	s_wait_dscnt 0x0
	global_store_b32 v[16:17], v1, off offset:-1028
.LBB945_161:
	s_wait_xcnt 0x0
	s_and_not1_saveexec_b32 s1, s1
	s_cbranch_execz .LBB945_163
; %bb.162:
	v_lshlrev_b32_e32 v1, 2, v0
	v_readfirstlane_b32 s2, v4
	v_readfirstlane_b32 s3, v5
	ds_load_b32 v1, v1 offset:1024
	s_wait_dscnt 0x0
	global_store_b32 v0, v1, s[2:3] offset:1024 scale_offset
.LBB945_163:
	s_wait_xcnt 0x0
	s_or_b32 exec_lo, exec_lo, s1
.LBB945_164:
	s_and_not1_saveexec_b32 s0, s0
	s_cbranch_execz .LBB945_166
; %bb.165:
	v_lshlrev_b32_e32 v1, 2, v0
	v_readfirstlane_b32 s2, v12
	v_readfirstlane_b32 s3, v13
	ds_load_b32 v1, v1 offset:1024
	s_wait_dscnt 0x0
	global_store_b32 v0, v1, s[2:3] offset:1024 scale_offset
.LBB945_166:
	s_wait_xcnt 0x0
	s_or_b32 exec_lo, exec_lo, s0
	v_or_b32_e32 v1, 0x200, v0
	s_mov_b32 s0, exec_lo
	s_delay_alu instid0(VALU_DEP_1)
	v_cmpx_ge_u32_e64 v1, v2
	s_xor_b32 s0, exec_lo, s0
	s_cbranch_execz .LBB945_172
; %bb.167:
	s_mov_b32 s1, exec_lo
	v_cmpx_ge_u32_e64 v1, v14
	s_xor_b32 s1, exec_lo, s1
	s_cbranch_execz .LBB945_169
; %bb.168:
	v_dual_mov_b32 v1, 0 :: v_dual_lshlrev_b32 v15, 2, v0
	s_delay_alu instid0(VALU_DEP_1) | instskip(SKIP_2) | instid1(VALU_DEP_1)
	v_add_nc_u64_e32 v[16:17], v[10:11], v[0:1]
	ds_load_b32 v1, v15 offset:2048
	v_lshlrev_b64_e32 v[16:17], 2, v[16:17]
	v_sub_nc_u64_e32 v[16:17], s[26:27], v[16:17]
	s_wait_dscnt 0x0
	global_store_b32 v[16:17], v1, off offset:-2052
.LBB945_169:
	s_wait_xcnt 0x0
	s_and_not1_saveexec_b32 s1, s1
	s_cbranch_execz .LBB945_171
; %bb.170:
	v_lshlrev_b32_e32 v1, 2, v0
	v_readfirstlane_b32 s2, v4
	v_readfirstlane_b32 s3, v5
	ds_load_b32 v1, v1 offset:2048
	s_wait_dscnt 0x0
	global_store_b32 v0, v1, s[2:3] offset:2048 scale_offset
.LBB945_171:
	s_wait_xcnt 0x0
	s_or_b32 exec_lo, exec_lo, s1
.LBB945_172:
	s_and_not1_saveexec_b32 s0, s0
	s_cbranch_execz .LBB945_174
; %bb.173:
	v_lshlrev_b32_e32 v1, 2, v0
	v_readfirstlane_b32 s2, v12
	v_readfirstlane_b32 s3, v13
	ds_load_b32 v1, v1 offset:2048
	s_wait_dscnt 0x0
	global_store_b32 v0, v1, s[2:3] offset:2048 scale_offset
.LBB945_174:
	;; [unrolled: 47-line block ×12, first 2 shown]
	s_wait_xcnt 0x0
	s_or_b32 exec_lo, exec_lo, s0
	s_branch .LBB945_148
.LBB945_255:
	s_mov_b32 s0, exec_lo
	v_cmpx_gt_u32_e64 s6, v0
	s_cbranch_execz .LBB945_264
; %bb.256:
	s_mov_b32 s1, exec_lo
	v_cmpx_ge_u32_e64 v0, v2
	s_xor_b32 s1, exec_lo, s1
	s_cbranch_execz .LBB945_262
; %bb.257:
	v_mov_b32_e32 v1, 0
	s_mov_b32 s2, exec_lo
	v_cmpx_ge_u32_e64 v0, v14
	s_xor_b32 s2, exec_lo, s2
	s_cbranch_execz .LBB945_259
; %bb.258:
	v_lshlrev_b32_e32 v15, 2, v0
	v_add_nc_u64_e32 v[16:17], v[10:11], v[0:1]
	ds_load_b32 v1, v15
	v_lshlrev_b64_e32 v[16:17], 2, v[16:17]
	s_delay_alu instid0(VALU_DEP_1)
	v_sub_nc_u64_e32 v[16:17], s[26:27], v[16:17]
	s_wait_dscnt 0x0
	global_store_b32 v[16:17], v1, off offset:-4
.LBB945_259:
	s_wait_xcnt 0x0
	s_and_not1_saveexec_b32 s2, s2
	s_cbranch_execz .LBB945_261
; %bb.260:
	v_lshlrev_b32_e32 v1, 2, v0
	v_readfirstlane_b32 s4, v4
	v_readfirstlane_b32 s5, v5
	ds_load_b32 v1, v1
	s_wait_dscnt 0x0
	global_store_b32 v0, v1, s[4:5] scale_offset
.LBB945_261:
	s_wait_xcnt 0x0
	s_or_b32 exec_lo, exec_lo, s2
.LBB945_262:
	s_and_not1_saveexec_b32 s1, s1
	s_cbranch_execz .LBB945_264
; %bb.263:
	v_lshlrev_b32_e32 v1, 2, v0
	v_readfirstlane_b32 s2, v12
	v_readfirstlane_b32 s3, v13
	ds_load_b32 v1, v1
	s_wait_dscnt 0x0
	global_store_b32 v0, v1, s[2:3] scale_offset
.LBB945_264:
	s_wait_xcnt 0x0
	s_or_b32 exec_lo, exec_lo, s0
	v_or_b32_e32 v1, 0x100, v0
	s_mov_b32 s0, exec_lo
	s_delay_alu instid0(VALU_DEP_1)
	v_cmpx_gt_u32_e64 s6, v1
	s_cbranch_execz .LBB945_273
; %bb.265:
	s_mov_b32 s1, exec_lo
	v_cmpx_ge_u32_e64 v1, v2
	s_xor_b32 s1, exec_lo, s1
	s_cbranch_execz .LBB945_271
; %bb.266:
	s_mov_b32 s2, exec_lo
	v_cmpx_ge_u32_e64 v1, v14
	s_xor_b32 s2, exec_lo, s2
	s_cbranch_execz .LBB945_268
; %bb.267:
	v_dual_mov_b32 v1, 0 :: v_dual_lshlrev_b32 v15, 2, v0
	s_delay_alu instid0(VALU_DEP_1) | instskip(SKIP_2) | instid1(VALU_DEP_1)
	v_add_nc_u64_e32 v[16:17], v[10:11], v[0:1]
	ds_load_b32 v1, v15 offset:1024
	v_lshlrev_b64_e32 v[16:17], 2, v[16:17]
	v_sub_nc_u64_e32 v[16:17], s[26:27], v[16:17]
	s_wait_dscnt 0x0
	global_store_b32 v[16:17], v1, off offset:-1028
.LBB945_268:
	s_wait_xcnt 0x0
	s_and_not1_saveexec_b32 s2, s2
	s_cbranch_execz .LBB945_270
; %bb.269:
	v_lshlrev_b32_e32 v1, 2, v0
	v_readfirstlane_b32 s4, v4
	v_readfirstlane_b32 s5, v5
	ds_load_b32 v1, v1 offset:1024
	s_wait_dscnt 0x0
	global_store_b32 v0, v1, s[4:5] offset:1024 scale_offset
.LBB945_270:
	s_wait_xcnt 0x0
	s_or_b32 exec_lo, exec_lo, s2
.LBB945_271:
	s_and_not1_saveexec_b32 s1, s1
	s_cbranch_execz .LBB945_273
; %bb.272:
	v_lshlrev_b32_e32 v1, 2, v0
	v_readfirstlane_b32 s2, v12
	v_readfirstlane_b32 s3, v13
	ds_load_b32 v1, v1 offset:1024
	s_wait_dscnt 0x0
	global_store_b32 v0, v1, s[2:3] offset:1024 scale_offset
.LBB945_273:
	s_wait_xcnt 0x0
	s_or_b32 exec_lo, exec_lo, s0
	v_or_b32_e32 v1, 0x200, v0
	s_mov_b32 s0, exec_lo
	s_delay_alu instid0(VALU_DEP_1)
	v_cmpx_gt_u32_e64 s6, v1
	s_cbranch_execz .LBB945_282
; %bb.274:
	s_mov_b32 s1, exec_lo
	v_cmpx_ge_u32_e64 v1, v2
	s_xor_b32 s1, exec_lo, s1
	s_cbranch_execz .LBB945_280
; %bb.275:
	s_mov_b32 s2, exec_lo
	v_cmpx_ge_u32_e64 v1, v14
	s_xor_b32 s2, exec_lo, s2
	s_cbranch_execz .LBB945_277
; %bb.276:
	v_dual_mov_b32 v1, 0 :: v_dual_lshlrev_b32 v15, 2, v0
	s_delay_alu instid0(VALU_DEP_1) | instskip(SKIP_2) | instid1(VALU_DEP_1)
	v_add_nc_u64_e32 v[16:17], v[10:11], v[0:1]
	ds_load_b32 v1, v15 offset:2048
	v_lshlrev_b64_e32 v[16:17], 2, v[16:17]
	v_sub_nc_u64_e32 v[16:17], s[26:27], v[16:17]
	s_wait_dscnt 0x0
	global_store_b32 v[16:17], v1, off offset:-2052
.LBB945_277:
	s_wait_xcnt 0x0
	s_and_not1_saveexec_b32 s2, s2
	s_cbranch_execz .LBB945_279
; %bb.278:
	v_lshlrev_b32_e32 v1, 2, v0
	v_readfirstlane_b32 s4, v4
	v_readfirstlane_b32 s5, v5
	ds_load_b32 v1, v1 offset:2048
	s_wait_dscnt 0x0
	global_store_b32 v0, v1, s[4:5] offset:2048 scale_offset
.LBB945_279:
	s_wait_xcnt 0x0
	s_or_b32 exec_lo, exec_lo, s2
.LBB945_280:
	s_and_not1_saveexec_b32 s1, s1
	s_cbranch_execz .LBB945_282
; %bb.281:
	v_lshlrev_b32_e32 v1, 2, v0
	v_readfirstlane_b32 s2, v12
	v_readfirstlane_b32 s3, v13
	ds_load_b32 v1, v1 offset:2048
	s_wait_dscnt 0x0
	global_store_b32 v0, v1, s[2:3] offset:2048 scale_offset
.LBB945_282:
	;; [unrolled: 51-line block ×11, first 2 shown]
	s_wait_xcnt 0x0
	s_or_b32 exec_lo, exec_lo, s0
	v_or_b32_e32 v1, 0xc00, v0
	s_mov_b32 s0, exec_lo
	s_delay_alu instid0(VALU_DEP_1)
	v_cmpx_gt_u32_e64 s6, v1
	s_cbranch_execz .LBB945_372
; %bb.364:
	s_mov_b32 s1, exec_lo
	v_cmpx_ge_u32_e64 v1, v2
	s_xor_b32 s1, exec_lo, s1
	s_cbranch_execz .LBB945_370
; %bb.365:
	s_mov_b32 s2, exec_lo
	v_cmpx_ge_u32_e64 v1, v14
	s_xor_b32 s2, exec_lo, s2
	s_cbranch_execz .LBB945_367
; %bb.366:
	v_dual_mov_b32 v1, 0 :: v_dual_lshlrev_b32 v12, 2, v0
	s_delay_alu instid0(VALU_DEP_1) | instskip(SKIP_2) | instid1(VALU_DEP_1)
	v_add_nc_u64_e32 v[4:5], v[10:11], v[0:1]
	ds_load_b32 v1, v12 offset:12288
	v_lshlrev_b64_e32 v[4:5], 2, v[4:5]
	v_sub_nc_u64_e32 v[4:5], s[26:27], v[4:5]
	s_wait_dscnt 0x0
	global_store_b32 v[4:5], v1, off offset:-12292
                                        ; implicit-def: $vgpr4_vgpr5
.LBB945_367:
	s_wait_xcnt 0x0
	s_and_not1_saveexec_b32 s2, s2
	s_cbranch_execz .LBB945_369
; %bb.368:
	v_lshlrev_b32_e32 v1, 2, v0
	v_readfirstlane_b32 s4, v4
	v_readfirstlane_b32 s5, v5
	ds_load_b32 v1, v1 offset:12288
	s_wait_dscnt 0x0
	global_store_b32 v0, v1, s[4:5] offset:12288 scale_offset
.LBB945_369:
	s_wait_xcnt 0x0
	s_or_b32 exec_lo, exec_lo, s2
                                        ; implicit-def: $vgpr12_vgpr13
.LBB945_370:
	s_and_not1_saveexec_b32 s1, s1
	s_cbranch_execz .LBB945_372
; %bb.371:
	v_lshlrev_b32_e32 v1, 2, v0
	v_readfirstlane_b32 s2, v12
	v_readfirstlane_b32 s3, v13
	ds_load_b32 v1, v1 offset:12288
	s_wait_dscnt 0x0
	global_store_b32 v0, v1, s[2:3] offset:12288 scale_offset
.LBB945_372:
	s_wait_xcnt 0x0
	s_or_b32 exec_lo, exec_lo, s0
	v_cmp_eq_u32_e32 vcc_lo, 0, v0
	s_and_b32 s0, vcc_lo, s15
	s_delay_alu instid0(SALU_CYCLE_1)
	s_and_saveexec_b32 s1, s0
	s_cbranch_execz .LBB945_149
.LBB945_373:
	v_add_nc_u64_e32 v[0:1], s[30:31], v[8:9]
	v_add_nc_u64_e32 v[2:3], v[22:23], v[2:3]
	s_delay_alu instid0(VALU_DEP_2)
	v_add_nc_u64_e32 v[4:5], v[0:1], v[6:7]
	v_mov_b32_e32 v0, 0
	global_store_b128 v0, v[2:5], s[24:25]
	s_sendmsg sendmsg(MSG_DEALLOC_VGPRS)
	s_endpgm
	.section	.rodata,"a",@progbits
	.p2align	6, 0x0
	.amdhsa_kernel _ZN7rocprim17ROCPRIM_400000_NS6detail17trampoline_kernelINS0_13select_configILj256ELj13ELNS0_17block_load_methodE3ELS4_3ELS4_3ELNS0_20block_scan_algorithmE0ELj4294967295EEENS1_25partition_config_selectorILNS1_17partition_subalgoE4EjNS0_10empty_typeEbEEZZNS1_14partition_implILS8_4ELb0ES6_15HIP_vector_typeIjLj2EENS0_17counting_iteratorIjlEEPS9_SG_NS0_5tupleIJPjSI_NS0_16reverse_iteratorISI_EEEEENSH_IJSG_SG_SG_EEES9_SI_JZNS1_25segmented_radix_sort_implINS0_14default_configELb0EPKsPsPKlPlN2at6native12_GLOBAL__N_18offset_tEEE10hipError_tPvRmT1_PNSt15iterator_traitsIS12_E10value_typeET2_T3_PNS13_IS18_E10value_typeET4_jRbjT5_S1E_jjP12ihipStream_tbEUljE_ZNSN_ISO_Lb0ESQ_SR_ST_SU_SY_EESZ_S10_S11_S12_S16_S17_S18_S1B_S1C_jS1D_jS1E_S1E_jjS1G_bEUljE0_EEESZ_S10_S11_S18_S1C_S1E_T6_T7_T9_mT8_S1G_bDpT10_ENKUlT_T0_E_clISt17integral_constantIbLb0EES1U_EEDaS1P_S1Q_EUlS1P_E_NS1_11comp_targetILNS1_3genE0ELNS1_11target_archE4294967295ELNS1_3gpuE0ELNS1_3repE0EEENS1_30default_config_static_selectorELNS0_4arch9wavefront6targetE0EEEvS12_
		.amdhsa_group_segment_fixed_size 13328
		.amdhsa_private_segment_fixed_size 0
		.amdhsa_kernarg_size 176
		.amdhsa_user_sgpr_count 2
		.amdhsa_user_sgpr_dispatch_ptr 0
		.amdhsa_user_sgpr_queue_ptr 0
		.amdhsa_user_sgpr_kernarg_segment_ptr 1
		.amdhsa_user_sgpr_dispatch_id 0
		.amdhsa_user_sgpr_kernarg_preload_length 0
		.amdhsa_user_sgpr_kernarg_preload_offset 0
		.amdhsa_user_sgpr_private_segment_size 0
		.amdhsa_wavefront_size32 1
		.amdhsa_uses_dynamic_stack 0
		.amdhsa_enable_private_segment 0
		.amdhsa_system_sgpr_workgroup_id_x 1
		.amdhsa_system_sgpr_workgroup_id_y 0
		.amdhsa_system_sgpr_workgroup_id_z 0
		.amdhsa_system_sgpr_workgroup_info 0
		.amdhsa_system_vgpr_workitem_id 0
		.amdhsa_next_free_vgpr 81
		.amdhsa_next_free_sgpr 59
		.amdhsa_named_barrier_count 0
		.amdhsa_reserve_vcc 1
		.amdhsa_float_round_mode_32 0
		.amdhsa_float_round_mode_16_64 0
		.amdhsa_float_denorm_mode_32 3
		.amdhsa_float_denorm_mode_16_64 3
		.amdhsa_fp16_overflow 0
		.amdhsa_memory_ordered 1
		.amdhsa_forward_progress 1
		.amdhsa_inst_pref_size 139
		.amdhsa_round_robin_scheduling 0
		.amdhsa_exception_fp_ieee_invalid_op 0
		.amdhsa_exception_fp_denorm_src 0
		.amdhsa_exception_fp_ieee_div_zero 0
		.amdhsa_exception_fp_ieee_overflow 0
		.amdhsa_exception_fp_ieee_underflow 0
		.amdhsa_exception_fp_ieee_inexact 0
		.amdhsa_exception_int_div_zero 0
	.end_amdhsa_kernel
	.section	.text._ZN7rocprim17ROCPRIM_400000_NS6detail17trampoline_kernelINS0_13select_configILj256ELj13ELNS0_17block_load_methodE3ELS4_3ELS4_3ELNS0_20block_scan_algorithmE0ELj4294967295EEENS1_25partition_config_selectorILNS1_17partition_subalgoE4EjNS0_10empty_typeEbEEZZNS1_14partition_implILS8_4ELb0ES6_15HIP_vector_typeIjLj2EENS0_17counting_iteratorIjlEEPS9_SG_NS0_5tupleIJPjSI_NS0_16reverse_iteratorISI_EEEEENSH_IJSG_SG_SG_EEES9_SI_JZNS1_25segmented_radix_sort_implINS0_14default_configELb0EPKsPsPKlPlN2at6native12_GLOBAL__N_18offset_tEEE10hipError_tPvRmT1_PNSt15iterator_traitsIS12_E10value_typeET2_T3_PNS13_IS18_E10value_typeET4_jRbjT5_S1E_jjP12ihipStream_tbEUljE_ZNSN_ISO_Lb0ESQ_SR_ST_SU_SY_EESZ_S10_S11_S12_S16_S17_S18_S1B_S1C_jS1D_jS1E_S1E_jjS1G_bEUljE0_EEESZ_S10_S11_S18_S1C_S1E_T6_T7_T9_mT8_S1G_bDpT10_ENKUlT_T0_E_clISt17integral_constantIbLb0EES1U_EEDaS1P_S1Q_EUlS1P_E_NS1_11comp_targetILNS1_3genE0ELNS1_11target_archE4294967295ELNS1_3gpuE0ELNS1_3repE0EEENS1_30default_config_static_selectorELNS0_4arch9wavefront6targetE0EEEvS12_,"axG",@progbits,_ZN7rocprim17ROCPRIM_400000_NS6detail17trampoline_kernelINS0_13select_configILj256ELj13ELNS0_17block_load_methodE3ELS4_3ELS4_3ELNS0_20block_scan_algorithmE0ELj4294967295EEENS1_25partition_config_selectorILNS1_17partition_subalgoE4EjNS0_10empty_typeEbEEZZNS1_14partition_implILS8_4ELb0ES6_15HIP_vector_typeIjLj2EENS0_17counting_iteratorIjlEEPS9_SG_NS0_5tupleIJPjSI_NS0_16reverse_iteratorISI_EEEEENSH_IJSG_SG_SG_EEES9_SI_JZNS1_25segmented_radix_sort_implINS0_14default_configELb0EPKsPsPKlPlN2at6native12_GLOBAL__N_18offset_tEEE10hipError_tPvRmT1_PNSt15iterator_traitsIS12_E10value_typeET2_T3_PNS13_IS18_E10value_typeET4_jRbjT5_S1E_jjP12ihipStream_tbEUljE_ZNSN_ISO_Lb0ESQ_SR_ST_SU_SY_EESZ_S10_S11_S12_S16_S17_S18_S1B_S1C_jS1D_jS1E_S1E_jjS1G_bEUljE0_EEESZ_S10_S11_S18_S1C_S1E_T6_T7_T9_mT8_S1G_bDpT10_ENKUlT_T0_E_clISt17integral_constantIbLb0EES1U_EEDaS1P_S1Q_EUlS1P_E_NS1_11comp_targetILNS1_3genE0ELNS1_11target_archE4294967295ELNS1_3gpuE0ELNS1_3repE0EEENS1_30default_config_static_selectorELNS0_4arch9wavefront6targetE0EEEvS12_,comdat
.Lfunc_end945:
	.size	_ZN7rocprim17ROCPRIM_400000_NS6detail17trampoline_kernelINS0_13select_configILj256ELj13ELNS0_17block_load_methodE3ELS4_3ELS4_3ELNS0_20block_scan_algorithmE0ELj4294967295EEENS1_25partition_config_selectorILNS1_17partition_subalgoE4EjNS0_10empty_typeEbEEZZNS1_14partition_implILS8_4ELb0ES6_15HIP_vector_typeIjLj2EENS0_17counting_iteratorIjlEEPS9_SG_NS0_5tupleIJPjSI_NS0_16reverse_iteratorISI_EEEEENSH_IJSG_SG_SG_EEES9_SI_JZNS1_25segmented_radix_sort_implINS0_14default_configELb0EPKsPsPKlPlN2at6native12_GLOBAL__N_18offset_tEEE10hipError_tPvRmT1_PNSt15iterator_traitsIS12_E10value_typeET2_T3_PNS13_IS18_E10value_typeET4_jRbjT5_S1E_jjP12ihipStream_tbEUljE_ZNSN_ISO_Lb0ESQ_SR_ST_SU_SY_EESZ_S10_S11_S12_S16_S17_S18_S1B_S1C_jS1D_jS1E_S1E_jjS1G_bEUljE0_EEESZ_S10_S11_S18_S1C_S1E_T6_T7_T9_mT8_S1G_bDpT10_ENKUlT_T0_E_clISt17integral_constantIbLb0EES1U_EEDaS1P_S1Q_EUlS1P_E_NS1_11comp_targetILNS1_3genE0ELNS1_11target_archE4294967295ELNS1_3gpuE0ELNS1_3repE0EEENS1_30default_config_static_selectorELNS0_4arch9wavefront6targetE0EEEvS12_, .Lfunc_end945-_ZN7rocprim17ROCPRIM_400000_NS6detail17trampoline_kernelINS0_13select_configILj256ELj13ELNS0_17block_load_methodE3ELS4_3ELS4_3ELNS0_20block_scan_algorithmE0ELj4294967295EEENS1_25partition_config_selectorILNS1_17partition_subalgoE4EjNS0_10empty_typeEbEEZZNS1_14partition_implILS8_4ELb0ES6_15HIP_vector_typeIjLj2EENS0_17counting_iteratorIjlEEPS9_SG_NS0_5tupleIJPjSI_NS0_16reverse_iteratorISI_EEEEENSH_IJSG_SG_SG_EEES9_SI_JZNS1_25segmented_radix_sort_implINS0_14default_configELb0EPKsPsPKlPlN2at6native12_GLOBAL__N_18offset_tEEE10hipError_tPvRmT1_PNSt15iterator_traitsIS12_E10value_typeET2_T3_PNS13_IS18_E10value_typeET4_jRbjT5_S1E_jjP12ihipStream_tbEUljE_ZNSN_ISO_Lb0ESQ_SR_ST_SU_SY_EESZ_S10_S11_S12_S16_S17_S18_S1B_S1C_jS1D_jS1E_S1E_jjS1G_bEUljE0_EEESZ_S10_S11_S18_S1C_S1E_T6_T7_T9_mT8_S1G_bDpT10_ENKUlT_T0_E_clISt17integral_constantIbLb0EES1U_EEDaS1P_S1Q_EUlS1P_E_NS1_11comp_targetILNS1_3genE0ELNS1_11target_archE4294967295ELNS1_3gpuE0ELNS1_3repE0EEENS1_30default_config_static_selectorELNS0_4arch9wavefront6targetE0EEEvS12_
                                        ; -- End function
	.set _ZN7rocprim17ROCPRIM_400000_NS6detail17trampoline_kernelINS0_13select_configILj256ELj13ELNS0_17block_load_methodE3ELS4_3ELS4_3ELNS0_20block_scan_algorithmE0ELj4294967295EEENS1_25partition_config_selectorILNS1_17partition_subalgoE4EjNS0_10empty_typeEbEEZZNS1_14partition_implILS8_4ELb0ES6_15HIP_vector_typeIjLj2EENS0_17counting_iteratorIjlEEPS9_SG_NS0_5tupleIJPjSI_NS0_16reverse_iteratorISI_EEEEENSH_IJSG_SG_SG_EEES9_SI_JZNS1_25segmented_radix_sort_implINS0_14default_configELb0EPKsPsPKlPlN2at6native12_GLOBAL__N_18offset_tEEE10hipError_tPvRmT1_PNSt15iterator_traitsIS12_E10value_typeET2_T3_PNS13_IS18_E10value_typeET4_jRbjT5_S1E_jjP12ihipStream_tbEUljE_ZNSN_ISO_Lb0ESQ_SR_ST_SU_SY_EESZ_S10_S11_S12_S16_S17_S18_S1B_S1C_jS1D_jS1E_S1E_jjS1G_bEUljE0_EEESZ_S10_S11_S18_S1C_S1E_T6_T7_T9_mT8_S1G_bDpT10_ENKUlT_T0_E_clISt17integral_constantIbLb0EES1U_EEDaS1P_S1Q_EUlS1P_E_NS1_11comp_targetILNS1_3genE0ELNS1_11target_archE4294967295ELNS1_3gpuE0ELNS1_3repE0EEENS1_30default_config_static_selectorELNS0_4arch9wavefront6targetE0EEEvS12_.num_vgpr, 81
	.set _ZN7rocprim17ROCPRIM_400000_NS6detail17trampoline_kernelINS0_13select_configILj256ELj13ELNS0_17block_load_methodE3ELS4_3ELS4_3ELNS0_20block_scan_algorithmE0ELj4294967295EEENS1_25partition_config_selectorILNS1_17partition_subalgoE4EjNS0_10empty_typeEbEEZZNS1_14partition_implILS8_4ELb0ES6_15HIP_vector_typeIjLj2EENS0_17counting_iteratorIjlEEPS9_SG_NS0_5tupleIJPjSI_NS0_16reverse_iteratorISI_EEEEENSH_IJSG_SG_SG_EEES9_SI_JZNS1_25segmented_radix_sort_implINS0_14default_configELb0EPKsPsPKlPlN2at6native12_GLOBAL__N_18offset_tEEE10hipError_tPvRmT1_PNSt15iterator_traitsIS12_E10value_typeET2_T3_PNS13_IS18_E10value_typeET4_jRbjT5_S1E_jjP12ihipStream_tbEUljE_ZNSN_ISO_Lb0ESQ_SR_ST_SU_SY_EESZ_S10_S11_S12_S16_S17_S18_S1B_S1C_jS1D_jS1E_S1E_jjS1G_bEUljE0_EEESZ_S10_S11_S18_S1C_S1E_T6_T7_T9_mT8_S1G_bDpT10_ENKUlT_T0_E_clISt17integral_constantIbLb0EES1U_EEDaS1P_S1Q_EUlS1P_E_NS1_11comp_targetILNS1_3genE0ELNS1_11target_archE4294967295ELNS1_3gpuE0ELNS1_3repE0EEENS1_30default_config_static_selectorELNS0_4arch9wavefront6targetE0EEEvS12_.num_agpr, 0
	.set _ZN7rocprim17ROCPRIM_400000_NS6detail17trampoline_kernelINS0_13select_configILj256ELj13ELNS0_17block_load_methodE3ELS4_3ELS4_3ELNS0_20block_scan_algorithmE0ELj4294967295EEENS1_25partition_config_selectorILNS1_17partition_subalgoE4EjNS0_10empty_typeEbEEZZNS1_14partition_implILS8_4ELb0ES6_15HIP_vector_typeIjLj2EENS0_17counting_iteratorIjlEEPS9_SG_NS0_5tupleIJPjSI_NS0_16reverse_iteratorISI_EEEEENSH_IJSG_SG_SG_EEES9_SI_JZNS1_25segmented_radix_sort_implINS0_14default_configELb0EPKsPsPKlPlN2at6native12_GLOBAL__N_18offset_tEEE10hipError_tPvRmT1_PNSt15iterator_traitsIS12_E10value_typeET2_T3_PNS13_IS18_E10value_typeET4_jRbjT5_S1E_jjP12ihipStream_tbEUljE_ZNSN_ISO_Lb0ESQ_SR_ST_SU_SY_EESZ_S10_S11_S12_S16_S17_S18_S1B_S1C_jS1D_jS1E_S1E_jjS1G_bEUljE0_EEESZ_S10_S11_S18_S1C_S1E_T6_T7_T9_mT8_S1G_bDpT10_ENKUlT_T0_E_clISt17integral_constantIbLb0EES1U_EEDaS1P_S1Q_EUlS1P_E_NS1_11comp_targetILNS1_3genE0ELNS1_11target_archE4294967295ELNS1_3gpuE0ELNS1_3repE0EEENS1_30default_config_static_selectorELNS0_4arch9wavefront6targetE0EEEvS12_.numbered_sgpr, 59
	.set _ZN7rocprim17ROCPRIM_400000_NS6detail17trampoline_kernelINS0_13select_configILj256ELj13ELNS0_17block_load_methodE3ELS4_3ELS4_3ELNS0_20block_scan_algorithmE0ELj4294967295EEENS1_25partition_config_selectorILNS1_17partition_subalgoE4EjNS0_10empty_typeEbEEZZNS1_14partition_implILS8_4ELb0ES6_15HIP_vector_typeIjLj2EENS0_17counting_iteratorIjlEEPS9_SG_NS0_5tupleIJPjSI_NS0_16reverse_iteratorISI_EEEEENSH_IJSG_SG_SG_EEES9_SI_JZNS1_25segmented_radix_sort_implINS0_14default_configELb0EPKsPsPKlPlN2at6native12_GLOBAL__N_18offset_tEEE10hipError_tPvRmT1_PNSt15iterator_traitsIS12_E10value_typeET2_T3_PNS13_IS18_E10value_typeET4_jRbjT5_S1E_jjP12ihipStream_tbEUljE_ZNSN_ISO_Lb0ESQ_SR_ST_SU_SY_EESZ_S10_S11_S12_S16_S17_S18_S1B_S1C_jS1D_jS1E_S1E_jjS1G_bEUljE0_EEESZ_S10_S11_S18_S1C_S1E_T6_T7_T9_mT8_S1G_bDpT10_ENKUlT_T0_E_clISt17integral_constantIbLb0EES1U_EEDaS1P_S1Q_EUlS1P_E_NS1_11comp_targetILNS1_3genE0ELNS1_11target_archE4294967295ELNS1_3gpuE0ELNS1_3repE0EEENS1_30default_config_static_selectorELNS0_4arch9wavefront6targetE0EEEvS12_.num_named_barrier, 0
	.set _ZN7rocprim17ROCPRIM_400000_NS6detail17trampoline_kernelINS0_13select_configILj256ELj13ELNS0_17block_load_methodE3ELS4_3ELS4_3ELNS0_20block_scan_algorithmE0ELj4294967295EEENS1_25partition_config_selectorILNS1_17partition_subalgoE4EjNS0_10empty_typeEbEEZZNS1_14partition_implILS8_4ELb0ES6_15HIP_vector_typeIjLj2EENS0_17counting_iteratorIjlEEPS9_SG_NS0_5tupleIJPjSI_NS0_16reverse_iteratorISI_EEEEENSH_IJSG_SG_SG_EEES9_SI_JZNS1_25segmented_radix_sort_implINS0_14default_configELb0EPKsPsPKlPlN2at6native12_GLOBAL__N_18offset_tEEE10hipError_tPvRmT1_PNSt15iterator_traitsIS12_E10value_typeET2_T3_PNS13_IS18_E10value_typeET4_jRbjT5_S1E_jjP12ihipStream_tbEUljE_ZNSN_ISO_Lb0ESQ_SR_ST_SU_SY_EESZ_S10_S11_S12_S16_S17_S18_S1B_S1C_jS1D_jS1E_S1E_jjS1G_bEUljE0_EEESZ_S10_S11_S18_S1C_S1E_T6_T7_T9_mT8_S1G_bDpT10_ENKUlT_T0_E_clISt17integral_constantIbLb0EES1U_EEDaS1P_S1Q_EUlS1P_E_NS1_11comp_targetILNS1_3genE0ELNS1_11target_archE4294967295ELNS1_3gpuE0ELNS1_3repE0EEENS1_30default_config_static_selectorELNS0_4arch9wavefront6targetE0EEEvS12_.private_seg_size, 0
	.set _ZN7rocprim17ROCPRIM_400000_NS6detail17trampoline_kernelINS0_13select_configILj256ELj13ELNS0_17block_load_methodE3ELS4_3ELS4_3ELNS0_20block_scan_algorithmE0ELj4294967295EEENS1_25partition_config_selectorILNS1_17partition_subalgoE4EjNS0_10empty_typeEbEEZZNS1_14partition_implILS8_4ELb0ES6_15HIP_vector_typeIjLj2EENS0_17counting_iteratorIjlEEPS9_SG_NS0_5tupleIJPjSI_NS0_16reverse_iteratorISI_EEEEENSH_IJSG_SG_SG_EEES9_SI_JZNS1_25segmented_radix_sort_implINS0_14default_configELb0EPKsPsPKlPlN2at6native12_GLOBAL__N_18offset_tEEE10hipError_tPvRmT1_PNSt15iterator_traitsIS12_E10value_typeET2_T3_PNS13_IS18_E10value_typeET4_jRbjT5_S1E_jjP12ihipStream_tbEUljE_ZNSN_ISO_Lb0ESQ_SR_ST_SU_SY_EESZ_S10_S11_S12_S16_S17_S18_S1B_S1C_jS1D_jS1E_S1E_jjS1G_bEUljE0_EEESZ_S10_S11_S18_S1C_S1E_T6_T7_T9_mT8_S1G_bDpT10_ENKUlT_T0_E_clISt17integral_constantIbLb0EES1U_EEDaS1P_S1Q_EUlS1P_E_NS1_11comp_targetILNS1_3genE0ELNS1_11target_archE4294967295ELNS1_3gpuE0ELNS1_3repE0EEENS1_30default_config_static_selectorELNS0_4arch9wavefront6targetE0EEEvS12_.uses_vcc, 1
	.set _ZN7rocprim17ROCPRIM_400000_NS6detail17trampoline_kernelINS0_13select_configILj256ELj13ELNS0_17block_load_methodE3ELS4_3ELS4_3ELNS0_20block_scan_algorithmE0ELj4294967295EEENS1_25partition_config_selectorILNS1_17partition_subalgoE4EjNS0_10empty_typeEbEEZZNS1_14partition_implILS8_4ELb0ES6_15HIP_vector_typeIjLj2EENS0_17counting_iteratorIjlEEPS9_SG_NS0_5tupleIJPjSI_NS0_16reverse_iteratorISI_EEEEENSH_IJSG_SG_SG_EEES9_SI_JZNS1_25segmented_radix_sort_implINS0_14default_configELb0EPKsPsPKlPlN2at6native12_GLOBAL__N_18offset_tEEE10hipError_tPvRmT1_PNSt15iterator_traitsIS12_E10value_typeET2_T3_PNS13_IS18_E10value_typeET4_jRbjT5_S1E_jjP12ihipStream_tbEUljE_ZNSN_ISO_Lb0ESQ_SR_ST_SU_SY_EESZ_S10_S11_S12_S16_S17_S18_S1B_S1C_jS1D_jS1E_S1E_jjS1G_bEUljE0_EEESZ_S10_S11_S18_S1C_S1E_T6_T7_T9_mT8_S1G_bDpT10_ENKUlT_T0_E_clISt17integral_constantIbLb0EES1U_EEDaS1P_S1Q_EUlS1P_E_NS1_11comp_targetILNS1_3genE0ELNS1_11target_archE4294967295ELNS1_3gpuE0ELNS1_3repE0EEENS1_30default_config_static_selectorELNS0_4arch9wavefront6targetE0EEEvS12_.uses_flat_scratch, 0
	.set _ZN7rocprim17ROCPRIM_400000_NS6detail17trampoline_kernelINS0_13select_configILj256ELj13ELNS0_17block_load_methodE3ELS4_3ELS4_3ELNS0_20block_scan_algorithmE0ELj4294967295EEENS1_25partition_config_selectorILNS1_17partition_subalgoE4EjNS0_10empty_typeEbEEZZNS1_14partition_implILS8_4ELb0ES6_15HIP_vector_typeIjLj2EENS0_17counting_iteratorIjlEEPS9_SG_NS0_5tupleIJPjSI_NS0_16reverse_iteratorISI_EEEEENSH_IJSG_SG_SG_EEES9_SI_JZNS1_25segmented_radix_sort_implINS0_14default_configELb0EPKsPsPKlPlN2at6native12_GLOBAL__N_18offset_tEEE10hipError_tPvRmT1_PNSt15iterator_traitsIS12_E10value_typeET2_T3_PNS13_IS18_E10value_typeET4_jRbjT5_S1E_jjP12ihipStream_tbEUljE_ZNSN_ISO_Lb0ESQ_SR_ST_SU_SY_EESZ_S10_S11_S12_S16_S17_S18_S1B_S1C_jS1D_jS1E_S1E_jjS1G_bEUljE0_EEESZ_S10_S11_S18_S1C_S1E_T6_T7_T9_mT8_S1G_bDpT10_ENKUlT_T0_E_clISt17integral_constantIbLb0EES1U_EEDaS1P_S1Q_EUlS1P_E_NS1_11comp_targetILNS1_3genE0ELNS1_11target_archE4294967295ELNS1_3gpuE0ELNS1_3repE0EEENS1_30default_config_static_selectorELNS0_4arch9wavefront6targetE0EEEvS12_.has_dyn_sized_stack, 0
	.set _ZN7rocprim17ROCPRIM_400000_NS6detail17trampoline_kernelINS0_13select_configILj256ELj13ELNS0_17block_load_methodE3ELS4_3ELS4_3ELNS0_20block_scan_algorithmE0ELj4294967295EEENS1_25partition_config_selectorILNS1_17partition_subalgoE4EjNS0_10empty_typeEbEEZZNS1_14partition_implILS8_4ELb0ES6_15HIP_vector_typeIjLj2EENS0_17counting_iteratorIjlEEPS9_SG_NS0_5tupleIJPjSI_NS0_16reverse_iteratorISI_EEEEENSH_IJSG_SG_SG_EEES9_SI_JZNS1_25segmented_radix_sort_implINS0_14default_configELb0EPKsPsPKlPlN2at6native12_GLOBAL__N_18offset_tEEE10hipError_tPvRmT1_PNSt15iterator_traitsIS12_E10value_typeET2_T3_PNS13_IS18_E10value_typeET4_jRbjT5_S1E_jjP12ihipStream_tbEUljE_ZNSN_ISO_Lb0ESQ_SR_ST_SU_SY_EESZ_S10_S11_S12_S16_S17_S18_S1B_S1C_jS1D_jS1E_S1E_jjS1G_bEUljE0_EEESZ_S10_S11_S18_S1C_S1E_T6_T7_T9_mT8_S1G_bDpT10_ENKUlT_T0_E_clISt17integral_constantIbLb0EES1U_EEDaS1P_S1Q_EUlS1P_E_NS1_11comp_targetILNS1_3genE0ELNS1_11target_archE4294967295ELNS1_3gpuE0ELNS1_3repE0EEENS1_30default_config_static_selectorELNS0_4arch9wavefront6targetE0EEEvS12_.has_recursion, 0
	.set _ZN7rocprim17ROCPRIM_400000_NS6detail17trampoline_kernelINS0_13select_configILj256ELj13ELNS0_17block_load_methodE3ELS4_3ELS4_3ELNS0_20block_scan_algorithmE0ELj4294967295EEENS1_25partition_config_selectorILNS1_17partition_subalgoE4EjNS0_10empty_typeEbEEZZNS1_14partition_implILS8_4ELb0ES6_15HIP_vector_typeIjLj2EENS0_17counting_iteratorIjlEEPS9_SG_NS0_5tupleIJPjSI_NS0_16reverse_iteratorISI_EEEEENSH_IJSG_SG_SG_EEES9_SI_JZNS1_25segmented_radix_sort_implINS0_14default_configELb0EPKsPsPKlPlN2at6native12_GLOBAL__N_18offset_tEEE10hipError_tPvRmT1_PNSt15iterator_traitsIS12_E10value_typeET2_T3_PNS13_IS18_E10value_typeET4_jRbjT5_S1E_jjP12ihipStream_tbEUljE_ZNSN_ISO_Lb0ESQ_SR_ST_SU_SY_EESZ_S10_S11_S12_S16_S17_S18_S1B_S1C_jS1D_jS1E_S1E_jjS1G_bEUljE0_EEESZ_S10_S11_S18_S1C_S1E_T6_T7_T9_mT8_S1G_bDpT10_ENKUlT_T0_E_clISt17integral_constantIbLb0EES1U_EEDaS1P_S1Q_EUlS1P_E_NS1_11comp_targetILNS1_3genE0ELNS1_11target_archE4294967295ELNS1_3gpuE0ELNS1_3repE0EEENS1_30default_config_static_selectorELNS0_4arch9wavefront6targetE0EEEvS12_.has_indirect_call, 0
	.section	.AMDGPU.csdata,"",@progbits
; Kernel info:
; codeLenInByte = 17784
; TotalNumSgprs: 61
; NumVgprs: 81
; ScratchSize: 0
; MemoryBound: 0
; FloatMode: 240
; IeeeMode: 1
; LDSByteSize: 13328 bytes/workgroup (compile time only)
; SGPRBlocks: 0
; VGPRBlocks: 5
; NumSGPRsForWavesPerEU: 61
; NumVGPRsForWavesPerEU: 81
; NamedBarCnt: 0
; Occupancy: 10
; WaveLimiterHint : 1
; COMPUTE_PGM_RSRC2:SCRATCH_EN: 0
; COMPUTE_PGM_RSRC2:USER_SGPR: 2
; COMPUTE_PGM_RSRC2:TRAP_HANDLER: 0
; COMPUTE_PGM_RSRC2:TGID_X_EN: 1
; COMPUTE_PGM_RSRC2:TGID_Y_EN: 0
; COMPUTE_PGM_RSRC2:TGID_Z_EN: 0
; COMPUTE_PGM_RSRC2:TIDIG_COMP_CNT: 0
	.section	.text._ZN7rocprim17ROCPRIM_400000_NS6detail17trampoline_kernelINS0_13select_configILj256ELj13ELNS0_17block_load_methodE3ELS4_3ELS4_3ELNS0_20block_scan_algorithmE0ELj4294967295EEENS1_25partition_config_selectorILNS1_17partition_subalgoE4EjNS0_10empty_typeEbEEZZNS1_14partition_implILS8_4ELb0ES6_15HIP_vector_typeIjLj2EENS0_17counting_iteratorIjlEEPS9_SG_NS0_5tupleIJPjSI_NS0_16reverse_iteratorISI_EEEEENSH_IJSG_SG_SG_EEES9_SI_JZNS1_25segmented_radix_sort_implINS0_14default_configELb0EPKsPsPKlPlN2at6native12_GLOBAL__N_18offset_tEEE10hipError_tPvRmT1_PNSt15iterator_traitsIS12_E10value_typeET2_T3_PNS13_IS18_E10value_typeET4_jRbjT5_S1E_jjP12ihipStream_tbEUljE_ZNSN_ISO_Lb0ESQ_SR_ST_SU_SY_EESZ_S10_S11_S12_S16_S17_S18_S1B_S1C_jS1D_jS1E_S1E_jjS1G_bEUljE0_EEESZ_S10_S11_S18_S1C_S1E_T6_T7_T9_mT8_S1G_bDpT10_ENKUlT_T0_E_clISt17integral_constantIbLb0EES1U_EEDaS1P_S1Q_EUlS1P_E_NS1_11comp_targetILNS1_3genE5ELNS1_11target_archE942ELNS1_3gpuE9ELNS1_3repE0EEENS1_30default_config_static_selectorELNS0_4arch9wavefront6targetE0EEEvS12_,"axG",@progbits,_ZN7rocprim17ROCPRIM_400000_NS6detail17trampoline_kernelINS0_13select_configILj256ELj13ELNS0_17block_load_methodE3ELS4_3ELS4_3ELNS0_20block_scan_algorithmE0ELj4294967295EEENS1_25partition_config_selectorILNS1_17partition_subalgoE4EjNS0_10empty_typeEbEEZZNS1_14partition_implILS8_4ELb0ES6_15HIP_vector_typeIjLj2EENS0_17counting_iteratorIjlEEPS9_SG_NS0_5tupleIJPjSI_NS0_16reverse_iteratorISI_EEEEENSH_IJSG_SG_SG_EEES9_SI_JZNS1_25segmented_radix_sort_implINS0_14default_configELb0EPKsPsPKlPlN2at6native12_GLOBAL__N_18offset_tEEE10hipError_tPvRmT1_PNSt15iterator_traitsIS12_E10value_typeET2_T3_PNS13_IS18_E10value_typeET4_jRbjT5_S1E_jjP12ihipStream_tbEUljE_ZNSN_ISO_Lb0ESQ_SR_ST_SU_SY_EESZ_S10_S11_S12_S16_S17_S18_S1B_S1C_jS1D_jS1E_S1E_jjS1G_bEUljE0_EEESZ_S10_S11_S18_S1C_S1E_T6_T7_T9_mT8_S1G_bDpT10_ENKUlT_T0_E_clISt17integral_constantIbLb0EES1U_EEDaS1P_S1Q_EUlS1P_E_NS1_11comp_targetILNS1_3genE5ELNS1_11target_archE942ELNS1_3gpuE9ELNS1_3repE0EEENS1_30default_config_static_selectorELNS0_4arch9wavefront6targetE0EEEvS12_,comdat
	.globl	_ZN7rocprim17ROCPRIM_400000_NS6detail17trampoline_kernelINS0_13select_configILj256ELj13ELNS0_17block_load_methodE3ELS4_3ELS4_3ELNS0_20block_scan_algorithmE0ELj4294967295EEENS1_25partition_config_selectorILNS1_17partition_subalgoE4EjNS0_10empty_typeEbEEZZNS1_14partition_implILS8_4ELb0ES6_15HIP_vector_typeIjLj2EENS0_17counting_iteratorIjlEEPS9_SG_NS0_5tupleIJPjSI_NS0_16reverse_iteratorISI_EEEEENSH_IJSG_SG_SG_EEES9_SI_JZNS1_25segmented_radix_sort_implINS0_14default_configELb0EPKsPsPKlPlN2at6native12_GLOBAL__N_18offset_tEEE10hipError_tPvRmT1_PNSt15iterator_traitsIS12_E10value_typeET2_T3_PNS13_IS18_E10value_typeET4_jRbjT5_S1E_jjP12ihipStream_tbEUljE_ZNSN_ISO_Lb0ESQ_SR_ST_SU_SY_EESZ_S10_S11_S12_S16_S17_S18_S1B_S1C_jS1D_jS1E_S1E_jjS1G_bEUljE0_EEESZ_S10_S11_S18_S1C_S1E_T6_T7_T9_mT8_S1G_bDpT10_ENKUlT_T0_E_clISt17integral_constantIbLb0EES1U_EEDaS1P_S1Q_EUlS1P_E_NS1_11comp_targetILNS1_3genE5ELNS1_11target_archE942ELNS1_3gpuE9ELNS1_3repE0EEENS1_30default_config_static_selectorELNS0_4arch9wavefront6targetE0EEEvS12_ ; -- Begin function _ZN7rocprim17ROCPRIM_400000_NS6detail17trampoline_kernelINS0_13select_configILj256ELj13ELNS0_17block_load_methodE3ELS4_3ELS4_3ELNS0_20block_scan_algorithmE0ELj4294967295EEENS1_25partition_config_selectorILNS1_17partition_subalgoE4EjNS0_10empty_typeEbEEZZNS1_14partition_implILS8_4ELb0ES6_15HIP_vector_typeIjLj2EENS0_17counting_iteratorIjlEEPS9_SG_NS0_5tupleIJPjSI_NS0_16reverse_iteratorISI_EEEEENSH_IJSG_SG_SG_EEES9_SI_JZNS1_25segmented_radix_sort_implINS0_14default_configELb0EPKsPsPKlPlN2at6native12_GLOBAL__N_18offset_tEEE10hipError_tPvRmT1_PNSt15iterator_traitsIS12_E10value_typeET2_T3_PNS13_IS18_E10value_typeET4_jRbjT5_S1E_jjP12ihipStream_tbEUljE_ZNSN_ISO_Lb0ESQ_SR_ST_SU_SY_EESZ_S10_S11_S12_S16_S17_S18_S1B_S1C_jS1D_jS1E_S1E_jjS1G_bEUljE0_EEESZ_S10_S11_S18_S1C_S1E_T6_T7_T9_mT8_S1G_bDpT10_ENKUlT_T0_E_clISt17integral_constantIbLb0EES1U_EEDaS1P_S1Q_EUlS1P_E_NS1_11comp_targetILNS1_3genE5ELNS1_11target_archE942ELNS1_3gpuE9ELNS1_3repE0EEENS1_30default_config_static_selectorELNS0_4arch9wavefront6targetE0EEEvS12_
	.p2align	8
	.type	_ZN7rocprim17ROCPRIM_400000_NS6detail17trampoline_kernelINS0_13select_configILj256ELj13ELNS0_17block_load_methodE3ELS4_3ELS4_3ELNS0_20block_scan_algorithmE0ELj4294967295EEENS1_25partition_config_selectorILNS1_17partition_subalgoE4EjNS0_10empty_typeEbEEZZNS1_14partition_implILS8_4ELb0ES6_15HIP_vector_typeIjLj2EENS0_17counting_iteratorIjlEEPS9_SG_NS0_5tupleIJPjSI_NS0_16reverse_iteratorISI_EEEEENSH_IJSG_SG_SG_EEES9_SI_JZNS1_25segmented_radix_sort_implINS0_14default_configELb0EPKsPsPKlPlN2at6native12_GLOBAL__N_18offset_tEEE10hipError_tPvRmT1_PNSt15iterator_traitsIS12_E10value_typeET2_T3_PNS13_IS18_E10value_typeET4_jRbjT5_S1E_jjP12ihipStream_tbEUljE_ZNSN_ISO_Lb0ESQ_SR_ST_SU_SY_EESZ_S10_S11_S12_S16_S17_S18_S1B_S1C_jS1D_jS1E_S1E_jjS1G_bEUljE0_EEESZ_S10_S11_S18_S1C_S1E_T6_T7_T9_mT8_S1G_bDpT10_ENKUlT_T0_E_clISt17integral_constantIbLb0EES1U_EEDaS1P_S1Q_EUlS1P_E_NS1_11comp_targetILNS1_3genE5ELNS1_11target_archE942ELNS1_3gpuE9ELNS1_3repE0EEENS1_30default_config_static_selectorELNS0_4arch9wavefront6targetE0EEEvS12_,@function
_ZN7rocprim17ROCPRIM_400000_NS6detail17trampoline_kernelINS0_13select_configILj256ELj13ELNS0_17block_load_methodE3ELS4_3ELS4_3ELNS0_20block_scan_algorithmE0ELj4294967295EEENS1_25partition_config_selectorILNS1_17partition_subalgoE4EjNS0_10empty_typeEbEEZZNS1_14partition_implILS8_4ELb0ES6_15HIP_vector_typeIjLj2EENS0_17counting_iteratorIjlEEPS9_SG_NS0_5tupleIJPjSI_NS0_16reverse_iteratorISI_EEEEENSH_IJSG_SG_SG_EEES9_SI_JZNS1_25segmented_radix_sort_implINS0_14default_configELb0EPKsPsPKlPlN2at6native12_GLOBAL__N_18offset_tEEE10hipError_tPvRmT1_PNSt15iterator_traitsIS12_E10value_typeET2_T3_PNS13_IS18_E10value_typeET4_jRbjT5_S1E_jjP12ihipStream_tbEUljE_ZNSN_ISO_Lb0ESQ_SR_ST_SU_SY_EESZ_S10_S11_S12_S16_S17_S18_S1B_S1C_jS1D_jS1E_S1E_jjS1G_bEUljE0_EEESZ_S10_S11_S18_S1C_S1E_T6_T7_T9_mT8_S1G_bDpT10_ENKUlT_T0_E_clISt17integral_constantIbLb0EES1U_EEDaS1P_S1Q_EUlS1P_E_NS1_11comp_targetILNS1_3genE5ELNS1_11target_archE942ELNS1_3gpuE9ELNS1_3repE0EEENS1_30default_config_static_selectorELNS0_4arch9wavefront6targetE0EEEvS12_: ; @_ZN7rocprim17ROCPRIM_400000_NS6detail17trampoline_kernelINS0_13select_configILj256ELj13ELNS0_17block_load_methodE3ELS4_3ELS4_3ELNS0_20block_scan_algorithmE0ELj4294967295EEENS1_25partition_config_selectorILNS1_17partition_subalgoE4EjNS0_10empty_typeEbEEZZNS1_14partition_implILS8_4ELb0ES6_15HIP_vector_typeIjLj2EENS0_17counting_iteratorIjlEEPS9_SG_NS0_5tupleIJPjSI_NS0_16reverse_iteratorISI_EEEEENSH_IJSG_SG_SG_EEES9_SI_JZNS1_25segmented_radix_sort_implINS0_14default_configELb0EPKsPsPKlPlN2at6native12_GLOBAL__N_18offset_tEEE10hipError_tPvRmT1_PNSt15iterator_traitsIS12_E10value_typeET2_T3_PNS13_IS18_E10value_typeET4_jRbjT5_S1E_jjP12ihipStream_tbEUljE_ZNSN_ISO_Lb0ESQ_SR_ST_SU_SY_EESZ_S10_S11_S12_S16_S17_S18_S1B_S1C_jS1D_jS1E_S1E_jjS1G_bEUljE0_EEESZ_S10_S11_S18_S1C_S1E_T6_T7_T9_mT8_S1G_bDpT10_ENKUlT_T0_E_clISt17integral_constantIbLb0EES1U_EEDaS1P_S1Q_EUlS1P_E_NS1_11comp_targetILNS1_3genE5ELNS1_11target_archE942ELNS1_3gpuE9ELNS1_3repE0EEENS1_30default_config_static_selectorELNS0_4arch9wavefront6targetE0EEEvS12_
; %bb.0:
	.section	.rodata,"a",@progbits
	.p2align	6, 0x0
	.amdhsa_kernel _ZN7rocprim17ROCPRIM_400000_NS6detail17trampoline_kernelINS0_13select_configILj256ELj13ELNS0_17block_load_methodE3ELS4_3ELS4_3ELNS0_20block_scan_algorithmE0ELj4294967295EEENS1_25partition_config_selectorILNS1_17partition_subalgoE4EjNS0_10empty_typeEbEEZZNS1_14partition_implILS8_4ELb0ES6_15HIP_vector_typeIjLj2EENS0_17counting_iteratorIjlEEPS9_SG_NS0_5tupleIJPjSI_NS0_16reverse_iteratorISI_EEEEENSH_IJSG_SG_SG_EEES9_SI_JZNS1_25segmented_radix_sort_implINS0_14default_configELb0EPKsPsPKlPlN2at6native12_GLOBAL__N_18offset_tEEE10hipError_tPvRmT1_PNSt15iterator_traitsIS12_E10value_typeET2_T3_PNS13_IS18_E10value_typeET4_jRbjT5_S1E_jjP12ihipStream_tbEUljE_ZNSN_ISO_Lb0ESQ_SR_ST_SU_SY_EESZ_S10_S11_S12_S16_S17_S18_S1B_S1C_jS1D_jS1E_S1E_jjS1G_bEUljE0_EEESZ_S10_S11_S18_S1C_S1E_T6_T7_T9_mT8_S1G_bDpT10_ENKUlT_T0_E_clISt17integral_constantIbLb0EES1U_EEDaS1P_S1Q_EUlS1P_E_NS1_11comp_targetILNS1_3genE5ELNS1_11target_archE942ELNS1_3gpuE9ELNS1_3repE0EEENS1_30default_config_static_selectorELNS0_4arch9wavefront6targetE0EEEvS12_
		.amdhsa_group_segment_fixed_size 0
		.amdhsa_private_segment_fixed_size 0
		.amdhsa_kernarg_size 176
		.amdhsa_user_sgpr_count 2
		.amdhsa_user_sgpr_dispatch_ptr 0
		.amdhsa_user_sgpr_queue_ptr 0
		.amdhsa_user_sgpr_kernarg_segment_ptr 1
		.amdhsa_user_sgpr_dispatch_id 0
		.amdhsa_user_sgpr_kernarg_preload_length 0
		.amdhsa_user_sgpr_kernarg_preload_offset 0
		.amdhsa_user_sgpr_private_segment_size 0
		.amdhsa_wavefront_size32 1
		.amdhsa_uses_dynamic_stack 0
		.amdhsa_enable_private_segment 0
		.amdhsa_system_sgpr_workgroup_id_x 1
		.amdhsa_system_sgpr_workgroup_id_y 0
		.amdhsa_system_sgpr_workgroup_id_z 0
		.amdhsa_system_sgpr_workgroup_info 0
		.amdhsa_system_vgpr_workitem_id 0
		.amdhsa_next_free_vgpr 1
		.amdhsa_next_free_sgpr 1
		.amdhsa_named_barrier_count 0
		.amdhsa_reserve_vcc 0
		.amdhsa_float_round_mode_32 0
		.amdhsa_float_round_mode_16_64 0
		.amdhsa_float_denorm_mode_32 3
		.amdhsa_float_denorm_mode_16_64 3
		.amdhsa_fp16_overflow 0
		.amdhsa_memory_ordered 1
		.amdhsa_forward_progress 1
		.amdhsa_inst_pref_size 0
		.amdhsa_round_robin_scheduling 0
		.amdhsa_exception_fp_ieee_invalid_op 0
		.amdhsa_exception_fp_denorm_src 0
		.amdhsa_exception_fp_ieee_div_zero 0
		.amdhsa_exception_fp_ieee_overflow 0
		.amdhsa_exception_fp_ieee_underflow 0
		.amdhsa_exception_fp_ieee_inexact 0
		.amdhsa_exception_int_div_zero 0
	.end_amdhsa_kernel
	.section	.text._ZN7rocprim17ROCPRIM_400000_NS6detail17trampoline_kernelINS0_13select_configILj256ELj13ELNS0_17block_load_methodE3ELS4_3ELS4_3ELNS0_20block_scan_algorithmE0ELj4294967295EEENS1_25partition_config_selectorILNS1_17partition_subalgoE4EjNS0_10empty_typeEbEEZZNS1_14partition_implILS8_4ELb0ES6_15HIP_vector_typeIjLj2EENS0_17counting_iteratorIjlEEPS9_SG_NS0_5tupleIJPjSI_NS0_16reverse_iteratorISI_EEEEENSH_IJSG_SG_SG_EEES9_SI_JZNS1_25segmented_radix_sort_implINS0_14default_configELb0EPKsPsPKlPlN2at6native12_GLOBAL__N_18offset_tEEE10hipError_tPvRmT1_PNSt15iterator_traitsIS12_E10value_typeET2_T3_PNS13_IS18_E10value_typeET4_jRbjT5_S1E_jjP12ihipStream_tbEUljE_ZNSN_ISO_Lb0ESQ_SR_ST_SU_SY_EESZ_S10_S11_S12_S16_S17_S18_S1B_S1C_jS1D_jS1E_S1E_jjS1G_bEUljE0_EEESZ_S10_S11_S18_S1C_S1E_T6_T7_T9_mT8_S1G_bDpT10_ENKUlT_T0_E_clISt17integral_constantIbLb0EES1U_EEDaS1P_S1Q_EUlS1P_E_NS1_11comp_targetILNS1_3genE5ELNS1_11target_archE942ELNS1_3gpuE9ELNS1_3repE0EEENS1_30default_config_static_selectorELNS0_4arch9wavefront6targetE0EEEvS12_,"axG",@progbits,_ZN7rocprim17ROCPRIM_400000_NS6detail17trampoline_kernelINS0_13select_configILj256ELj13ELNS0_17block_load_methodE3ELS4_3ELS4_3ELNS0_20block_scan_algorithmE0ELj4294967295EEENS1_25partition_config_selectorILNS1_17partition_subalgoE4EjNS0_10empty_typeEbEEZZNS1_14partition_implILS8_4ELb0ES6_15HIP_vector_typeIjLj2EENS0_17counting_iteratorIjlEEPS9_SG_NS0_5tupleIJPjSI_NS0_16reverse_iteratorISI_EEEEENSH_IJSG_SG_SG_EEES9_SI_JZNS1_25segmented_radix_sort_implINS0_14default_configELb0EPKsPsPKlPlN2at6native12_GLOBAL__N_18offset_tEEE10hipError_tPvRmT1_PNSt15iterator_traitsIS12_E10value_typeET2_T3_PNS13_IS18_E10value_typeET4_jRbjT5_S1E_jjP12ihipStream_tbEUljE_ZNSN_ISO_Lb0ESQ_SR_ST_SU_SY_EESZ_S10_S11_S12_S16_S17_S18_S1B_S1C_jS1D_jS1E_S1E_jjS1G_bEUljE0_EEESZ_S10_S11_S18_S1C_S1E_T6_T7_T9_mT8_S1G_bDpT10_ENKUlT_T0_E_clISt17integral_constantIbLb0EES1U_EEDaS1P_S1Q_EUlS1P_E_NS1_11comp_targetILNS1_3genE5ELNS1_11target_archE942ELNS1_3gpuE9ELNS1_3repE0EEENS1_30default_config_static_selectorELNS0_4arch9wavefront6targetE0EEEvS12_,comdat
.Lfunc_end946:
	.size	_ZN7rocprim17ROCPRIM_400000_NS6detail17trampoline_kernelINS0_13select_configILj256ELj13ELNS0_17block_load_methodE3ELS4_3ELS4_3ELNS0_20block_scan_algorithmE0ELj4294967295EEENS1_25partition_config_selectorILNS1_17partition_subalgoE4EjNS0_10empty_typeEbEEZZNS1_14partition_implILS8_4ELb0ES6_15HIP_vector_typeIjLj2EENS0_17counting_iteratorIjlEEPS9_SG_NS0_5tupleIJPjSI_NS0_16reverse_iteratorISI_EEEEENSH_IJSG_SG_SG_EEES9_SI_JZNS1_25segmented_radix_sort_implINS0_14default_configELb0EPKsPsPKlPlN2at6native12_GLOBAL__N_18offset_tEEE10hipError_tPvRmT1_PNSt15iterator_traitsIS12_E10value_typeET2_T3_PNS13_IS18_E10value_typeET4_jRbjT5_S1E_jjP12ihipStream_tbEUljE_ZNSN_ISO_Lb0ESQ_SR_ST_SU_SY_EESZ_S10_S11_S12_S16_S17_S18_S1B_S1C_jS1D_jS1E_S1E_jjS1G_bEUljE0_EEESZ_S10_S11_S18_S1C_S1E_T6_T7_T9_mT8_S1G_bDpT10_ENKUlT_T0_E_clISt17integral_constantIbLb0EES1U_EEDaS1P_S1Q_EUlS1P_E_NS1_11comp_targetILNS1_3genE5ELNS1_11target_archE942ELNS1_3gpuE9ELNS1_3repE0EEENS1_30default_config_static_selectorELNS0_4arch9wavefront6targetE0EEEvS12_, .Lfunc_end946-_ZN7rocprim17ROCPRIM_400000_NS6detail17trampoline_kernelINS0_13select_configILj256ELj13ELNS0_17block_load_methodE3ELS4_3ELS4_3ELNS0_20block_scan_algorithmE0ELj4294967295EEENS1_25partition_config_selectorILNS1_17partition_subalgoE4EjNS0_10empty_typeEbEEZZNS1_14partition_implILS8_4ELb0ES6_15HIP_vector_typeIjLj2EENS0_17counting_iteratorIjlEEPS9_SG_NS0_5tupleIJPjSI_NS0_16reverse_iteratorISI_EEEEENSH_IJSG_SG_SG_EEES9_SI_JZNS1_25segmented_radix_sort_implINS0_14default_configELb0EPKsPsPKlPlN2at6native12_GLOBAL__N_18offset_tEEE10hipError_tPvRmT1_PNSt15iterator_traitsIS12_E10value_typeET2_T3_PNS13_IS18_E10value_typeET4_jRbjT5_S1E_jjP12ihipStream_tbEUljE_ZNSN_ISO_Lb0ESQ_SR_ST_SU_SY_EESZ_S10_S11_S12_S16_S17_S18_S1B_S1C_jS1D_jS1E_S1E_jjS1G_bEUljE0_EEESZ_S10_S11_S18_S1C_S1E_T6_T7_T9_mT8_S1G_bDpT10_ENKUlT_T0_E_clISt17integral_constantIbLb0EES1U_EEDaS1P_S1Q_EUlS1P_E_NS1_11comp_targetILNS1_3genE5ELNS1_11target_archE942ELNS1_3gpuE9ELNS1_3repE0EEENS1_30default_config_static_selectorELNS0_4arch9wavefront6targetE0EEEvS12_
                                        ; -- End function
	.set _ZN7rocprim17ROCPRIM_400000_NS6detail17trampoline_kernelINS0_13select_configILj256ELj13ELNS0_17block_load_methodE3ELS4_3ELS4_3ELNS0_20block_scan_algorithmE0ELj4294967295EEENS1_25partition_config_selectorILNS1_17partition_subalgoE4EjNS0_10empty_typeEbEEZZNS1_14partition_implILS8_4ELb0ES6_15HIP_vector_typeIjLj2EENS0_17counting_iteratorIjlEEPS9_SG_NS0_5tupleIJPjSI_NS0_16reverse_iteratorISI_EEEEENSH_IJSG_SG_SG_EEES9_SI_JZNS1_25segmented_radix_sort_implINS0_14default_configELb0EPKsPsPKlPlN2at6native12_GLOBAL__N_18offset_tEEE10hipError_tPvRmT1_PNSt15iterator_traitsIS12_E10value_typeET2_T3_PNS13_IS18_E10value_typeET4_jRbjT5_S1E_jjP12ihipStream_tbEUljE_ZNSN_ISO_Lb0ESQ_SR_ST_SU_SY_EESZ_S10_S11_S12_S16_S17_S18_S1B_S1C_jS1D_jS1E_S1E_jjS1G_bEUljE0_EEESZ_S10_S11_S18_S1C_S1E_T6_T7_T9_mT8_S1G_bDpT10_ENKUlT_T0_E_clISt17integral_constantIbLb0EES1U_EEDaS1P_S1Q_EUlS1P_E_NS1_11comp_targetILNS1_3genE5ELNS1_11target_archE942ELNS1_3gpuE9ELNS1_3repE0EEENS1_30default_config_static_selectorELNS0_4arch9wavefront6targetE0EEEvS12_.num_vgpr, 0
	.set _ZN7rocprim17ROCPRIM_400000_NS6detail17trampoline_kernelINS0_13select_configILj256ELj13ELNS0_17block_load_methodE3ELS4_3ELS4_3ELNS0_20block_scan_algorithmE0ELj4294967295EEENS1_25partition_config_selectorILNS1_17partition_subalgoE4EjNS0_10empty_typeEbEEZZNS1_14partition_implILS8_4ELb0ES6_15HIP_vector_typeIjLj2EENS0_17counting_iteratorIjlEEPS9_SG_NS0_5tupleIJPjSI_NS0_16reverse_iteratorISI_EEEEENSH_IJSG_SG_SG_EEES9_SI_JZNS1_25segmented_radix_sort_implINS0_14default_configELb0EPKsPsPKlPlN2at6native12_GLOBAL__N_18offset_tEEE10hipError_tPvRmT1_PNSt15iterator_traitsIS12_E10value_typeET2_T3_PNS13_IS18_E10value_typeET4_jRbjT5_S1E_jjP12ihipStream_tbEUljE_ZNSN_ISO_Lb0ESQ_SR_ST_SU_SY_EESZ_S10_S11_S12_S16_S17_S18_S1B_S1C_jS1D_jS1E_S1E_jjS1G_bEUljE0_EEESZ_S10_S11_S18_S1C_S1E_T6_T7_T9_mT8_S1G_bDpT10_ENKUlT_T0_E_clISt17integral_constantIbLb0EES1U_EEDaS1P_S1Q_EUlS1P_E_NS1_11comp_targetILNS1_3genE5ELNS1_11target_archE942ELNS1_3gpuE9ELNS1_3repE0EEENS1_30default_config_static_selectorELNS0_4arch9wavefront6targetE0EEEvS12_.num_agpr, 0
	.set _ZN7rocprim17ROCPRIM_400000_NS6detail17trampoline_kernelINS0_13select_configILj256ELj13ELNS0_17block_load_methodE3ELS4_3ELS4_3ELNS0_20block_scan_algorithmE0ELj4294967295EEENS1_25partition_config_selectorILNS1_17partition_subalgoE4EjNS0_10empty_typeEbEEZZNS1_14partition_implILS8_4ELb0ES6_15HIP_vector_typeIjLj2EENS0_17counting_iteratorIjlEEPS9_SG_NS0_5tupleIJPjSI_NS0_16reverse_iteratorISI_EEEEENSH_IJSG_SG_SG_EEES9_SI_JZNS1_25segmented_radix_sort_implINS0_14default_configELb0EPKsPsPKlPlN2at6native12_GLOBAL__N_18offset_tEEE10hipError_tPvRmT1_PNSt15iterator_traitsIS12_E10value_typeET2_T3_PNS13_IS18_E10value_typeET4_jRbjT5_S1E_jjP12ihipStream_tbEUljE_ZNSN_ISO_Lb0ESQ_SR_ST_SU_SY_EESZ_S10_S11_S12_S16_S17_S18_S1B_S1C_jS1D_jS1E_S1E_jjS1G_bEUljE0_EEESZ_S10_S11_S18_S1C_S1E_T6_T7_T9_mT8_S1G_bDpT10_ENKUlT_T0_E_clISt17integral_constantIbLb0EES1U_EEDaS1P_S1Q_EUlS1P_E_NS1_11comp_targetILNS1_3genE5ELNS1_11target_archE942ELNS1_3gpuE9ELNS1_3repE0EEENS1_30default_config_static_selectorELNS0_4arch9wavefront6targetE0EEEvS12_.numbered_sgpr, 0
	.set _ZN7rocprim17ROCPRIM_400000_NS6detail17trampoline_kernelINS0_13select_configILj256ELj13ELNS0_17block_load_methodE3ELS4_3ELS4_3ELNS0_20block_scan_algorithmE0ELj4294967295EEENS1_25partition_config_selectorILNS1_17partition_subalgoE4EjNS0_10empty_typeEbEEZZNS1_14partition_implILS8_4ELb0ES6_15HIP_vector_typeIjLj2EENS0_17counting_iteratorIjlEEPS9_SG_NS0_5tupleIJPjSI_NS0_16reverse_iteratorISI_EEEEENSH_IJSG_SG_SG_EEES9_SI_JZNS1_25segmented_radix_sort_implINS0_14default_configELb0EPKsPsPKlPlN2at6native12_GLOBAL__N_18offset_tEEE10hipError_tPvRmT1_PNSt15iterator_traitsIS12_E10value_typeET2_T3_PNS13_IS18_E10value_typeET4_jRbjT5_S1E_jjP12ihipStream_tbEUljE_ZNSN_ISO_Lb0ESQ_SR_ST_SU_SY_EESZ_S10_S11_S12_S16_S17_S18_S1B_S1C_jS1D_jS1E_S1E_jjS1G_bEUljE0_EEESZ_S10_S11_S18_S1C_S1E_T6_T7_T9_mT8_S1G_bDpT10_ENKUlT_T0_E_clISt17integral_constantIbLb0EES1U_EEDaS1P_S1Q_EUlS1P_E_NS1_11comp_targetILNS1_3genE5ELNS1_11target_archE942ELNS1_3gpuE9ELNS1_3repE0EEENS1_30default_config_static_selectorELNS0_4arch9wavefront6targetE0EEEvS12_.num_named_barrier, 0
	.set _ZN7rocprim17ROCPRIM_400000_NS6detail17trampoline_kernelINS0_13select_configILj256ELj13ELNS0_17block_load_methodE3ELS4_3ELS4_3ELNS0_20block_scan_algorithmE0ELj4294967295EEENS1_25partition_config_selectorILNS1_17partition_subalgoE4EjNS0_10empty_typeEbEEZZNS1_14partition_implILS8_4ELb0ES6_15HIP_vector_typeIjLj2EENS0_17counting_iteratorIjlEEPS9_SG_NS0_5tupleIJPjSI_NS0_16reverse_iteratorISI_EEEEENSH_IJSG_SG_SG_EEES9_SI_JZNS1_25segmented_radix_sort_implINS0_14default_configELb0EPKsPsPKlPlN2at6native12_GLOBAL__N_18offset_tEEE10hipError_tPvRmT1_PNSt15iterator_traitsIS12_E10value_typeET2_T3_PNS13_IS18_E10value_typeET4_jRbjT5_S1E_jjP12ihipStream_tbEUljE_ZNSN_ISO_Lb0ESQ_SR_ST_SU_SY_EESZ_S10_S11_S12_S16_S17_S18_S1B_S1C_jS1D_jS1E_S1E_jjS1G_bEUljE0_EEESZ_S10_S11_S18_S1C_S1E_T6_T7_T9_mT8_S1G_bDpT10_ENKUlT_T0_E_clISt17integral_constantIbLb0EES1U_EEDaS1P_S1Q_EUlS1P_E_NS1_11comp_targetILNS1_3genE5ELNS1_11target_archE942ELNS1_3gpuE9ELNS1_3repE0EEENS1_30default_config_static_selectorELNS0_4arch9wavefront6targetE0EEEvS12_.private_seg_size, 0
	.set _ZN7rocprim17ROCPRIM_400000_NS6detail17trampoline_kernelINS0_13select_configILj256ELj13ELNS0_17block_load_methodE3ELS4_3ELS4_3ELNS0_20block_scan_algorithmE0ELj4294967295EEENS1_25partition_config_selectorILNS1_17partition_subalgoE4EjNS0_10empty_typeEbEEZZNS1_14partition_implILS8_4ELb0ES6_15HIP_vector_typeIjLj2EENS0_17counting_iteratorIjlEEPS9_SG_NS0_5tupleIJPjSI_NS0_16reverse_iteratorISI_EEEEENSH_IJSG_SG_SG_EEES9_SI_JZNS1_25segmented_radix_sort_implINS0_14default_configELb0EPKsPsPKlPlN2at6native12_GLOBAL__N_18offset_tEEE10hipError_tPvRmT1_PNSt15iterator_traitsIS12_E10value_typeET2_T3_PNS13_IS18_E10value_typeET4_jRbjT5_S1E_jjP12ihipStream_tbEUljE_ZNSN_ISO_Lb0ESQ_SR_ST_SU_SY_EESZ_S10_S11_S12_S16_S17_S18_S1B_S1C_jS1D_jS1E_S1E_jjS1G_bEUljE0_EEESZ_S10_S11_S18_S1C_S1E_T6_T7_T9_mT8_S1G_bDpT10_ENKUlT_T0_E_clISt17integral_constantIbLb0EES1U_EEDaS1P_S1Q_EUlS1P_E_NS1_11comp_targetILNS1_3genE5ELNS1_11target_archE942ELNS1_3gpuE9ELNS1_3repE0EEENS1_30default_config_static_selectorELNS0_4arch9wavefront6targetE0EEEvS12_.uses_vcc, 0
	.set _ZN7rocprim17ROCPRIM_400000_NS6detail17trampoline_kernelINS0_13select_configILj256ELj13ELNS0_17block_load_methodE3ELS4_3ELS4_3ELNS0_20block_scan_algorithmE0ELj4294967295EEENS1_25partition_config_selectorILNS1_17partition_subalgoE4EjNS0_10empty_typeEbEEZZNS1_14partition_implILS8_4ELb0ES6_15HIP_vector_typeIjLj2EENS0_17counting_iteratorIjlEEPS9_SG_NS0_5tupleIJPjSI_NS0_16reverse_iteratorISI_EEEEENSH_IJSG_SG_SG_EEES9_SI_JZNS1_25segmented_radix_sort_implINS0_14default_configELb0EPKsPsPKlPlN2at6native12_GLOBAL__N_18offset_tEEE10hipError_tPvRmT1_PNSt15iterator_traitsIS12_E10value_typeET2_T3_PNS13_IS18_E10value_typeET4_jRbjT5_S1E_jjP12ihipStream_tbEUljE_ZNSN_ISO_Lb0ESQ_SR_ST_SU_SY_EESZ_S10_S11_S12_S16_S17_S18_S1B_S1C_jS1D_jS1E_S1E_jjS1G_bEUljE0_EEESZ_S10_S11_S18_S1C_S1E_T6_T7_T9_mT8_S1G_bDpT10_ENKUlT_T0_E_clISt17integral_constantIbLb0EES1U_EEDaS1P_S1Q_EUlS1P_E_NS1_11comp_targetILNS1_3genE5ELNS1_11target_archE942ELNS1_3gpuE9ELNS1_3repE0EEENS1_30default_config_static_selectorELNS0_4arch9wavefront6targetE0EEEvS12_.uses_flat_scratch, 0
	.set _ZN7rocprim17ROCPRIM_400000_NS6detail17trampoline_kernelINS0_13select_configILj256ELj13ELNS0_17block_load_methodE3ELS4_3ELS4_3ELNS0_20block_scan_algorithmE0ELj4294967295EEENS1_25partition_config_selectorILNS1_17partition_subalgoE4EjNS0_10empty_typeEbEEZZNS1_14partition_implILS8_4ELb0ES6_15HIP_vector_typeIjLj2EENS0_17counting_iteratorIjlEEPS9_SG_NS0_5tupleIJPjSI_NS0_16reverse_iteratorISI_EEEEENSH_IJSG_SG_SG_EEES9_SI_JZNS1_25segmented_radix_sort_implINS0_14default_configELb0EPKsPsPKlPlN2at6native12_GLOBAL__N_18offset_tEEE10hipError_tPvRmT1_PNSt15iterator_traitsIS12_E10value_typeET2_T3_PNS13_IS18_E10value_typeET4_jRbjT5_S1E_jjP12ihipStream_tbEUljE_ZNSN_ISO_Lb0ESQ_SR_ST_SU_SY_EESZ_S10_S11_S12_S16_S17_S18_S1B_S1C_jS1D_jS1E_S1E_jjS1G_bEUljE0_EEESZ_S10_S11_S18_S1C_S1E_T6_T7_T9_mT8_S1G_bDpT10_ENKUlT_T0_E_clISt17integral_constantIbLb0EES1U_EEDaS1P_S1Q_EUlS1P_E_NS1_11comp_targetILNS1_3genE5ELNS1_11target_archE942ELNS1_3gpuE9ELNS1_3repE0EEENS1_30default_config_static_selectorELNS0_4arch9wavefront6targetE0EEEvS12_.has_dyn_sized_stack, 0
	.set _ZN7rocprim17ROCPRIM_400000_NS6detail17trampoline_kernelINS0_13select_configILj256ELj13ELNS0_17block_load_methodE3ELS4_3ELS4_3ELNS0_20block_scan_algorithmE0ELj4294967295EEENS1_25partition_config_selectorILNS1_17partition_subalgoE4EjNS0_10empty_typeEbEEZZNS1_14partition_implILS8_4ELb0ES6_15HIP_vector_typeIjLj2EENS0_17counting_iteratorIjlEEPS9_SG_NS0_5tupleIJPjSI_NS0_16reverse_iteratorISI_EEEEENSH_IJSG_SG_SG_EEES9_SI_JZNS1_25segmented_radix_sort_implINS0_14default_configELb0EPKsPsPKlPlN2at6native12_GLOBAL__N_18offset_tEEE10hipError_tPvRmT1_PNSt15iterator_traitsIS12_E10value_typeET2_T3_PNS13_IS18_E10value_typeET4_jRbjT5_S1E_jjP12ihipStream_tbEUljE_ZNSN_ISO_Lb0ESQ_SR_ST_SU_SY_EESZ_S10_S11_S12_S16_S17_S18_S1B_S1C_jS1D_jS1E_S1E_jjS1G_bEUljE0_EEESZ_S10_S11_S18_S1C_S1E_T6_T7_T9_mT8_S1G_bDpT10_ENKUlT_T0_E_clISt17integral_constantIbLb0EES1U_EEDaS1P_S1Q_EUlS1P_E_NS1_11comp_targetILNS1_3genE5ELNS1_11target_archE942ELNS1_3gpuE9ELNS1_3repE0EEENS1_30default_config_static_selectorELNS0_4arch9wavefront6targetE0EEEvS12_.has_recursion, 0
	.set _ZN7rocprim17ROCPRIM_400000_NS6detail17trampoline_kernelINS0_13select_configILj256ELj13ELNS0_17block_load_methodE3ELS4_3ELS4_3ELNS0_20block_scan_algorithmE0ELj4294967295EEENS1_25partition_config_selectorILNS1_17partition_subalgoE4EjNS0_10empty_typeEbEEZZNS1_14partition_implILS8_4ELb0ES6_15HIP_vector_typeIjLj2EENS0_17counting_iteratorIjlEEPS9_SG_NS0_5tupleIJPjSI_NS0_16reverse_iteratorISI_EEEEENSH_IJSG_SG_SG_EEES9_SI_JZNS1_25segmented_radix_sort_implINS0_14default_configELb0EPKsPsPKlPlN2at6native12_GLOBAL__N_18offset_tEEE10hipError_tPvRmT1_PNSt15iterator_traitsIS12_E10value_typeET2_T3_PNS13_IS18_E10value_typeET4_jRbjT5_S1E_jjP12ihipStream_tbEUljE_ZNSN_ISO_Lb0ESQ_SR_ST_SU_SY_EESZ_S10_S11_S12_S16_S17_S18_S1B_S1C_jS1D_jS1E_S1E_jjS1G_bEUljE0_EEESZ_S10_S11_S18_S1C_S1E_T6_T7_T9_mT8_S1G_bDpT10_ENKUlT_T0_E_clISt17integral_constantIbLb0EES1U_EEDaS1P_S1Q_EUlS1P_E_NS1_11comp_targetILNS1_3genE5ELNS1_11target_archE942ELNS1_3gpuE9ELNS1_3repE0EEENS1_30default_config_static_selectorELNS0_4arch9wavefront6targetE0EEEvS12_.has_indirect_call, 0
	.section	.AMDGPU.csdata,"",@progbits
; Kernel info:
; codeLenInByte = 0
; TotalNumSgprs: 0
; NumVgprs: 0
; ScratchSize: 0
; MemoryBound: 0
; FloatMode: 240
; IeeeMode: 1
; LDSByteSize: 0 bytes/workgroup (compile time only)
; SGPRBlocks: 0
; VGPRBlocks: 0
; NumSGPRsForWavesPerEU: 1
; NumVGPRsForWavesPerEU: 1
; NamedBarCnt: 0
; Occupancy: 16
; WaveLimiterHint : 0
; COMPUTE_PGM_RSRC2:SCRATCH_EN: 0
; COMPUTE_PGM_RSRC2:USER_SGPR: 2
; COMPUTE_PGM_RSRC2:TRAP_HANDLER: 0
; COMPUTE_PGM_RSRC2:TGID_X_EN: 1
; COMPUTE_PGM_RSRC2:TGID_Y_EN: 0
; COMPUTE_PGM_RSRC2:TGID_Z_EN: 0
; COMPUTE_PGM_RSRC2:TIDIG_COMP_CNT: 0
	.section	.text._ZN7rocprim17ROCPRIM_400000_NS6detail17trampoline_kernelINS0_13select_configILj256ELj13ELNS0_17block_load_methodE3ELS4_3ELS4_3ELNS0_20block_scan_algorithmE0ELj4294967295EEENS1_25partition_config_selectorILNS1_17partition_subalgoE4EjNS0_10empty_typeEbEEZZNS1_14partition_implILS8_4ELb0ES6_15HIP_vector_typeIjLj2EENS0_17counting_iteratorIjlEEPS9_SG_NS0_5tupleIJPjSI_NS0_16reverse_iteratorISI_EEEEENSH_IJSG_SG_SG_EEES9_SI_JZNS1_25segmented_radix_sort_implINS0_14default_configELb0EPKsPsPKlPlN2at6native12_GLOBAL__N_18offset_tEEE10hipError_tPvRmT1_PNSt15iterator_traitsIS12_E10value_typeET2_T3_PNS13_IS18_E10value_typeET4_jRbjT5_S1E_jjP12ihipStream_tbEUljE_ZNSN_ISO_Lb0ESQ_SR_ST_SU_SY_EESZ_S10_S11_S12_S16_S17_S18_S1B_S1C_jS1D_jS1E_S1E_jjS1G_bEUljE0_EEESZ_S10_S11_S18_S1C_S1E_T6_T7_T9_mT8_S1G_bDpT10_ENKUlT_T0_E_clISt17integral_constantIbLb0EES1U_EEDaS1P_S1Q_EUlS1P_E_NS1_11comp_targetILNS1_3genE4ELNS1_11target_archE910ELNS1_3gpuE8ELNS1_3repE0EEENS1_30default_config_static_selectorELNS0_4arch9wavefront6targetE0EEEvS12_,"axG",@progbits,_ZN7rocprim17ROCPRIM_400000_NS6detail17trampoline_kernelINS0_13select_configILj256ELj13ELNS0_17block_load_methodE3ELS4_3ELS4_3ELNS0_20block_scan_algorithmE0ELj4294967295EEENS1_25partition_config_selectorILNS1_17partition_subalgoE4EjNS0_10empty_typeEbEEZZNS1_14partition_implILS8_4ELb0ES6_15HIP_vector_typeIjLj2EENS0_17counting_iteratorIjlEEPS9_SG_NS0_5tupleIJPjSI_NS0_16reverse_iteratorISI_EEEEENSH_IJSG_SG_SG_EEES9_SI_JZNS1_25segmented_radix_sort_implINS0_14default_configELb0EPKsPsPKlPlN2at6native12_GLOBAL__N_18offset_tEEE10hipError_tPvRmT1_PNSt15iterator_traitsIS12_E10value_typeET2_T3_PNS13_IS18_E10value_typeET4_jRbjT5_S1E_jjP12ihipStream_tbEUljE_ZNSN_ISO_Lb0ESQ_SR_ST_SU_SY_EESZ_S10_S11_S12_S16_S17_S18_S1B_S1C_jS1D_jS1E_S1E_jjS1G_bEUljE0_EEESZ_S10_S11_S18_S1C_S1E_T6_T7_T9_mT8_S1G_bDpT10_ENKUlT_T0_E_clISt17integral_constantIbLb0EES1U_EEDaS1P_S1Q_EUlS1P_E_NS1_11comp_targetILNS1_3genE4ELNS1_11target_archE910ELNS1_3gpuE8ELNS1_3repE0EEENS1_30default_config_static_selectorELNS0_4arch9wavefront6targetE0EEEvS12_,comdat
	.globl	_ZN7rocprim17ROCPRIM_400000_NS6detail17trampoline_kernelINS0_13select_configILj256ELj13ELNS0_17block_load_methodE3ELS4_3ELS4_3ELNS0_20block_scan_algorithmE0ELj4294967295EEENS1_25partition_config_selectorILNS1_17partition_subalgoE4EjNS0_10empty_typeEbEEZZNS1_14partition_implILS8_4ELb0ES6_15HIP_vector_typeIjLj2EENS0_17counting_iteratorIjlEEPS9_SG_NS0_5tupleIJPjSI_NS0_16reverse_iteratorISI_EEEEENSH_IJSG_SG_SG_EEES9_SI_JZNS1_25segmented_radix_sort_implINS0_14default_configELb0EPKsPsPKlPlN2at6native12_GLOBAL__N_18offset_tEEE10hipError_tPvRmT1_PNSt15iterator_traitsIS12_E10value_typeET2_T3_PNS13_IS18_E10value_typeET4_jRbjT5_S1E_jjP12ihipStream_tbEUljE_ZNSN_ISO_Lb0ESQ_SR_ST_SU_SY_EESZ_S10_S11_S12_S16_S17_S18_S1B_S1C_jS1D_jS1E_S1E_jjS1G_bEUljE0_EEESZ_S10_S11_S18_S1C_S1E_T6_T7_T9_mT8_S1G_bDpT10_ENKUlT_T0_E_clISt17integral_constantIbLb0EES1U_EEDaS1P_S1Q_EUlS1P_E_NS1_11comp_targetILNS1_3genE4ELNS1_11target_archE910ELNS1_3gpuE8ELNS1_3repE0EEENS1_30default_config_static_selectorELNS0_4arch9wavefront6targetE0EEEvS12_ ; -- Begin function _ZN7rocprim17ROCPRIM_400000_NS6detail17trampoline_kernelINS0_13select_configILj256ELj13ELNS0_17block_load_methodE3ELS4_3ELS4_3ELNS0_20block_scan_algorithmE0ELj4294967295EEENS1_25partition_config_selectorILNS1_17partition_subalgoE4EjNS0_10empty_typeEbEEZZNS1_14partition_implILS8_4ELb0ES6_15HIP_vector_typeIjLj2EENS0_17counting_iteratorIjlEEPS9_SG_NS0_5tupleIJPjSI_NS0_16reverse_iteratorISI_EEEEENSH_IJSG_SG_SG_EEES9_SI_JZNS1_25segmented_radix_sort_implINS0_14default_configELb0EPKsPsPKlPlN2at6native12_GLOBAL__N_18offset_tEEE10hipError_tPvRmT1_PNSt15iterator_traitsIS12_E10value_typeET2_T3_PNS13_IS18_E10value_typeET4_jRbjT5_S1E_jjP12ihipStream_tbEUljE_ZNSN_ISO_Lb0ESQ_SR_ST_SU_SY_EESZ_S10_S11_S12_S16_S17_S18_S1B_S1C_jS1D_jS1E_S1E_jjS1G_bEUljE0_EEESZ_S10_S11_S18_S1C_S1E_T6_T7_T9_mT8_S1G_bDpT10_ENKUlT_T0_E_clISt17integral_constantIbLb0EES1U_EEDaS1P_S1Q_EUlS1P_E_NS1_11comp_targetILNS1_3genE4ELNS1_11target_archE910ELNS1_3gpuE8ELNS1_3repE0EEENS1_30default_config_static_selectorELNS0_4arch9wavefront6targetE0EEEvS12_
	.p2align	8
	.type	_ZN7rocprim17ROCPRIM_400000_NS6detail17trampoline_kernelINS0_13select_configILj256ELj13ELNS0_17block_load_methodE3ELS4_3ELS4_3ELNS0_20block_scan_algorithmE0ELj4294967295EEENS1_25partition_config_selectorILNS1_17partition_subalgoE4EjNS0_10empty_typeEbEEZZNS1_14partition_implILS8_4ELb0ES6_15HIP_vector_typeIjLj2EENS0_17counting_iteratorIjlEEPS9_SG_NS0_5tupleIJPjSI_NS0_16reverse_iteratorISI_EEEEENSH_IJSG_SG_SG_EEES9_SI_JZNS1_25segmented_radix_sort_implINS0_14default_configELb0EPKsPsPKlPlN2at6native12_GLOBAL__N_18offset_tEEE10hipError_tPvRmT1_PNSt15iterator_traitsIS12_E10value_typeET2_T3_PNS13_IS18_E10value_typeET4_jRbjT5_S1E_jjP12ihipStream_tbEUljE_ZNSN_ISO_Lb0ESQ_SR_ST_SU_SY_EESZ_S10_S11_S12_S16_S17_S18_S1B_S1C_jS1D_jS1E_S1E_jjS1G_bEUljE0_EEESZ_S10_S11_S18_S1C_S1E_T6_T7_T9_mT8_S1G_bDpT10_ENKUlT_T0_E_clISt17integral_constantIbLb0EES1U_EEDaS1P_S1Q_EUlS1P_E_NS1_11comp_targetILNS1_3genE4ELNS1_11target_archE910ELNS1_3gpuE8ELNS1_3repE0EEENS1_30default_config_static_selectorELNS0_4arch9wavefront6targetE0EEEvS12_,@function
_ZN7rocprim17ROCPRIM_400000_NS6detail17trampoline_kernelINS0_13select_configILj256ELj13ELNS0_17block_load_methodE3ELS4_3ELS4_3ELNS0_20block_scan_algorithmE0ELj4294967295EEENS1_25partition_config_selectorILNS1_17partition_subalgoE4EjNS0_10empty_typeEbEEZZNS1_14partition_implILS8_4ELb0ES6_15HIP_vector_typeIjLj2EENS0_17counting_iteratorIjlEEPS9_SG_NS0_5tupleIJPjSI_NS0_16reverse_iteratorISI_EEEEENSH_IJSG_SG_SG_EEES9_SI_JZNS1_25segmented_radix_sort_implINS0_14default_configELb0EPKsPsPKlPlN2at6native12_GLOBAL__N_18offset_tEEE10hipError_tPvRmT1_PNSt15iterator_traitsIS12_E10value_typeET2_T3_PNS13_IS18_E10value_typeET4_jRbjT5_S1E_jjP12ihipStream_tbEUljE_ZNSN_ISO_Lb0ESQ_SR_ST_SU_SY_EESZ_S10_S11_S12_S16_S17_S18_S1B_S1C_jS1D_jS1E_S1E_jjS1G_bEUljE0_EEESZ_S10_S11_S18_S1C_S1E_T6_T7_T9_mT8_S1G_bDpT10_ENKUlT_T0_E_clISt17integral_constantIbLb0EES1U_EEDaS1P_S1Q_EUlS1P_E_NS1_11comp_targetILNS1_3genE4ELNS1_11target_archE910ELNS1_3gpuE8ELNS1_3repE0EEENS1_30default_config_static_selectorELNS0_4arch9wavefront6targetE0EEEvS12_: ; @_ZN7rocprim17ROCPRIM_400000_NS6detail17trampoline_kernelINS0_13select_configILj256ELj13ELNS0_17block_load_methodE3ELS4_3ELS4_3ELNS0_20block_scan_algorithmE0ELj4294967295EEENS1_25partition_config_selectorILNS1_17partition_subalgoE4EjNS0_10empty_typeEbEEZZNS1_14partition_implILS8_4ELb0ES6_15HIP_vector_typeIjLj2EENS0_17counting_iteratorIjlEEPS9_SG_NS0_5tupleIJPjSI_NS0_16reverse_iteratorISI_EEEEENSH_IJSG_SG_SG_EEES9_SI_JZNS1_25segmented_radix_sort_implINS0_14default_configELb0EPKsPsPKlPlN2at6native12_GLOBAL__N_18offset_tEEE10hipError_tPvRmT1_PNSt15iterator_traitsIS12_E10value_typeET2_T3_PNS13_IS18_E10value_typeET4_jRbjT5_S1E_jjP12ihipStream_tbEUljE_ZNSN_ISO_Lb0ESQ_SR_ST_SU_SY_EESZ_S10_S11_S12_S16_S17_S18_S1B_S1C_jS1D_jS1E_S1E_jjS1G_bEUljE0_EEESZ_S10_S11_S18_S1C_S1E_T6_T7_T9_mT8_S1G_bDpT10_ENKUlT_T0_E_clISt17integral_constantIbLb0EES1U_EEDaS1P_S1Q_EUlS1P_E_NS1_11comp_targetILNS1_3genE4ELNS1_11target_archE910ELNS1_3gpuE8ELNS1_3repE0EEENS1_30default_config_static_selectorELNS0_4arch9wavefront6targetE0EEEvS12_
; %bb.0:
	.section	.rodata,"a",@progbits
	.p2align	6, 0x0
	.amdhsa_kernel _ZN7rocprim17ROCPRIM_400000_NS6detail17trampoline_kernelINS0_13select_configILj256ELj13ELNS0_17block_load_methodE3ELS4_3ELS4_3ELNS0_20block_scan_algorithmE0ELj4294967295EEENS1_25partition_config_selectorILNS1_17partition_subalgoE4EjNS0_10empty_typeEbEEZZNS1_14partition_implILS8_4ELb0ES6_15HIP_vector_typeIjLj2EENS0_17counting_iteratorIjlEEPS9_SG_NS0_5tupleIJPjSI_NS0_16reverse_iteratorISI_EEEEENSH_IJSG_SG_SG_EEES9_SI_JZNS1_25segmented_radix_sort_implINS0_14default_configELb0EPKsPsPKlPlN2at6native12_GLOBAL__N_18offset_tEEE10hipError_tPvRmT1_PNSt15iterator_traitsIS12_E10value_typeET2_T3_PNS13_IS18_E10value_typeET4_jRbjT5_S1E_jjP12ihipStream_tbEUljE_ZNSN_ISO_Lb0ESQ_SR_ST_SU_SY_EESZ_S10_S11_S12_S16_S17_S18_S1B_S1C_jS1D_jS1E_S1E_jjS1G_bEUljE0_EEESZ_S10_S11_S18_S1C_S1E_T6_T7_T9_mT8_S1G_bDpT10_ENKUlT_T0_E_clISt17integral_constantIbLb0EES1U_EEDaS1P_S1Q_EUlS1P_E_NS1_11comp_targetILNS1_3genE4ELNS1_11target_archE910ELNS1_3gpuE8ELNS1_3repE0EEENS1_30default_config_static_selectorELNS0_4arch9wavefront6targetE0EEEvS12_
		.amdhsa_group_segment_fixed_size 0
		.amdhsa_private_segment_fixed_size 0
		.amdhsa_kernarg_size 176
		.amdhsa_user_sgpr_count 2
		.amdhsa_user_sgpr_dispatch_ptr 0
		.amdhsa_user_sgpr_queue_ptr 0
		.amdhsa_user_sgpr_kernarg_segment_ptr 1
		.amdhsa_user_sgpr_dispatch_id 0
		.amdhsa_user_sgpr_kernarg_preload_length 0
		.amdhsa_user_sgpr_kernarg_preload_offset 0
		.amdhsa_user_sgpr_private_segment_size 0
		.amdhsa_wavefront_size32 1
		.amdhsa_uses_dynamic_stack 0
		.amdhsa_enable_private_segment 0
		.amdhsa_system_sgpr_workgroup_id_x 1
		.amdhsa_system_sgpr_workgroup_id_y 0
		.amdhsa_system_sgpr_workgroup_id_z 0
		.amdhsa_system_sgpr_workgroup_info 0
		.amdhsa_system_vgpr_workitem_id 0
		.amdhsa_next_free_vgpr 1
		.amdhsa_next_free_sgpr 1
		.amdhsa_named_barrier_count 0
		.amdhsa_reserve_vcc 0
		.amdhsa_float_round_mode_32 0
		.amdhsa_float_round_mode_16_64 0
		.amdhsa_float_denorm_mode_32 3
		.amdhsa_float_denorm_mode_16_64 3
		.amdhsa_fp16_overflow 0
		.amdhsa_memory_ordered 1
		.amdhsa_forward_progress 1
		.amdhsa_inst_pref_size 0
		.amdhsa_round_robin_scheduling 0
		.amdhsa_exception_fp_ieee_invalid_op 0
		.amdhsa_exception_fp_denorm_src 0
		.amdhsa_exception_fp_ieee_div_zero 0
		.amdhsa_exception_fp_ieee_overflow 0
		.amdhsa_exception_fp_ieee_underflow 0
		.amdhsa_exception_fp_ieee_inexact 0
		.amdhsa_exception_int_div_zero 0
	.end_amdhsa_kernel
	.section	.text._ZN7rocprim17ROCPRIM_400000_NS6detail17trampoline_kernelINS0_13select_configILj256ELj13ELNS0_17block_load_methodE3ELS4_3ELS4_3ELNS0_20block_scan_algorithmE0ELj4294967295EEENS1_25partition_config_selectorILNS1_17partition_subalgoE4EjNS0_10empty_typeEbEEZZNS1_14partition_implILS8_4ELb0ES6_15HIP_vector_typeIjLj2EENS0_17counting_iteratorIjlEEPS9_SG_NS0_5tupleIJPjSI_NS0_16reverse_iteratorISI_EEEEENSH_IJSG_SG_SG_EEES9_SI_JZNS1_25segmented_radix_sort_implINS0_14default_configELb0EPKsPsPKlPlN2at6native12_GLOBAL__N_18offset_tEEE10hipError_tPvRmT1_PNSt15iterator_traitsIS12_E10value_typeET2_T3_PNS13_IS18_E10value_typeET4_jRbjT5_S1E_jjP12ihipStream_tbEUljE_ZNSN_ISO_Lb0ESQ_SR_ST_SU_SY_EESZ_S10_S11_S12_S16_S17_S18_S1B_S1C_jS1D_jS1E_S1E_jjS1G_bEUljE0_EEESZ_S10_S11_S18_S1C_S1E_T6_T7_T9_mT8_S1G_bDpT10_ENKUlT_T0_E_clISt17integral_constantIbLb0EES1U_EEDaS1P_S1Q_EUlS1P_E_NS1_11comp_targetILNS1_3genE4ELNS1_11target_archE910ELNS1_3gpuE8ELNS1_3repE0EEENS1_30default_config_static_selectorELNS0_4arch9wavefront6targetE0EEEvS12_,"axG",@progbits,_ZN7rocprim17ROCPRIM_400000_NS6detail17trampoline_kernelINS0_13select_configILj256ELj13ELNS0_17block_load_methodE3ELS4_3ELS4_3ELNS0_20block_scan_algorithmE0ELj4294967295EEENS1_25partition_config_selectorILNS1_17partition_subalgoE4EjNS0_10empty_typeEbEEZZNS1_14partition_implILS8_4ELb0ES6_15HIP_vector_typeIjLj2EENS0_17counting_iteratorIjlEEPS9_SG_NS0_5tupleIJPjSI_NS0_16reverse_iteratorISI_EEEEENSH_IJSG_SG_SG_EEES9_SI_JZNS1_25segmented_radix_sort_implINS0_14default_configELb0EPKsPsPKlPlN2at6native12_GLOBAL__N_18offset_tEEE10hipError_tPvRmT1_PNSt15iterator_traitsIS12_E10value_typeET2_T3_PNS13_IS18_E10value_typeET4_jRbjT5_S1E_jjP12ihipStream_tbEUljE_ZNSN_ISO_Lb0ESQ_SR_ST_SU_SY_EESZ_S10_S11_S12_S16_S17_S18_S1B_S1C_jS1D_jS1E_S1E_jjS1G_bEUljE0_EEESZ_S10_S11_S18_S1C_S1E_T6_T7_T9_mT8_S1G_bDpT10_ENKUlT_T0_E_clISt17integral_constantIbLb0EES1U_EEDaS1P_S1Q_EUlS1P_E_NS1_11comp_targetILNS1_3genE4ELNS1_11target_archE910ELNS1_3gpuE8ELNS1_3repE0EEENS1_30default_config_static_selectorELNS0_4arch9wavefront6targetE0EEEvS12_,comdat
.Lfunc_end947:
	.size	_ZN7rocprim17ROCPRIM_400000_NS6detail17trampoline_kernelINS0_13select_configILj256ELj13ELNS0_17block_load_methodE3ELS4_3ELS4_3ELNS0_20block_scan_algorithmE0ELj4294967295EEENS1_25partition_config_selectorILNS1_17partition_subalgoE4EjNS0_10empty_typeEbEEZZNS1_14partition_implILS8_4ELb0ES6_15HIP_vector_typeIjLj2EENS0_17counting_iteratorIjlEEPS9_SG_NS0_5tupleIJPjSI_NS0_16reverse_iteratorISI_EEEEENSH_IJSG_SG_SG_EEES9_SI_JZNS1_25segmented_radix_sort_implINS0_14default_configELb0EPKsPsPKlPlN2at6native12_GLOBAL__N_18offset_tEEE10hipError_tPvRmT1_PNSt15iterator_traitsIS12_E10value_typeET2_T3_PNS13_IS18_E10value_typeET4_jRbjT5_S1E_jjP12ihipStream_tbEUljE_ZNSN_ISO_Lb0ESQ_SR_ST_SU_SY_EESZ_S10_S11_S12_S16_S17_S18_S1B_S1C_jS1D_jS1E_S1E_jjS1G_bEUljE0_EEESZ_S10_S11_S18_S1C_S1E_T6_T7_T9_mT8_S1G_bDpT10_ENKUlT_T0_E_clISt17integral_constantIbLb0EES1U_EEDaS1P_S1Q_EUlS1P_E_NS1_11comp_targetILNS1_3genE4ELNS1_11target_archE910ELNS1_3gpuE8ELNS1_3repE0EEENS1_30default_config_static_selectorELNS0_4arch9wavefront6targetE0EEEvS12_, .Lfunc_end947-_ZN7rocprim17ROCPRIM_400000_NS6detail17trampoline_kernelINS0_13select_configILj256ELj13ELNS0_17block_load_methodE3ELS4_3ELS4_3ELNS0_20block_scan_algorithmE0ELj4294967295EEENS1_25partition_config_selectorILNS1_17partition_subalgoE4EjNS0_10empty_typeEbEEZZNS1_14partition_implILS8_4ELb0ES6_15HIP_vector_typeIjLj2EENS0_17counting_iteratorIjlEEPS9_SG_NS0_5tupleIJPjSI_NS0_16reverse_iteratorISI_EEEEENSH_IJSG_SG_SG_EEES9_SI_JZNS1_25segmented_radix_sort_implINS0_14default_configELb0EPKsPsPKlPlN2at6native12_GLOBAL__N_18offset_tEEE10hipError_tPvRmT1_PNSt15iterator_traitsIS12_E10value_typeET2_T3_PNS13_IS18_E10value_typeET4_jRbjT5_S1E_jjP12ihipStream_tbEUljE_ZNSN_ISO_Lb0ESQ_SR_ST_SU_SY_EESZ_S10_S11_S12_S16_S17_S18_S1B_S1C_jS1D_jS1E_S1E_jjS1G_bEUljE0_EEESZ_S10_S11_S18_S1C_S1E_T6_T7_T9_mT8_S1G_bDpT10_ENKUlT_T0_E_clISt17integral_constantIbLb0EES1U_EEDaS1P_S1Q_EUlS1P_E_NS1_11comp_targetILNS1_3genE4ELNS1_11target_archE910ELNS1_3gpuE8ELNS1_3repE0EEENS1_30default_config_static_selectorELNS0_4arch9wavefront6targetE0EEEvS12_
                                        ; -- End function
	.set _ZN7rocprim17ROCPRIM_400000_NS6detail17trampoline_kernelINS0_13select_configILj256ELj13ELNS0_17block_load_methodE3ELS4_3ELS4_3ELNS0_20block_scan_algorithmE0ELj4294967295EEENS1_25partition_config_selectorILNS1_17partition_subalgoE4EjNS0_10empty_typeEbEEZZNS1_14partition_implILS8_4ELb0ES6_15HIP_vector_typeIjLj2EENS0_17counting_iteratorIjlEEPS9_SG_NS0_5tupleIJPjSI_NS0_16reverse_iteratorISI_EEEEENSH_IJSG_SG_SG_EEES9_SI_JZNS1_25segmented_radix_sort_implINS0_14default_configELb0EPKsPsPKlPlN2at6native12_GLOBAL__N_18offset_tEEE10hipError_tPvRmT1_PNSt15iterator_traitsIS12_E10value_typeET2_T3_PNS13_IS18_E10value_typeET4_jRbjT5_S1E_jjP12ihipStream_tbEUljE_ZNSN_ISO_Lb0ESQ_SR_ST_SU_SY_EESZ_S10_S11_S12_S16_S17_S18_S1B_S1C_jS1D_jS1E_S1E_jjS1G_bEUljE0_EEESZ_S10_S11_S18_S1C_S1E_T6_T7_T9_mT8_S1G_bDpT10_ENKUlT_T0_E_clISt17integral_constantIbLb0EES1U_EEDaS1P_S1Q_EUlS1P_E_NS1_11comp_targetILNS1_3genE4ELNS1_11target_archE910ELNS1_3gpuE8ELNS1_3repE0EEENS1_30default_config_static_selectorELNS0_4arch9wavefront6targetE0EEEvS12_.num_vgpr, 0
	.set _ZN7rocprim17ROCPRIM_400000_NS6detail17trampoline_kernelINS0_13select_configILj256ELj13ELNS0_17block_load_methodE3ELS4_3ELS4_3ELNS0_20block_scan_algorithmE0ELj4294967295EEENS1_25partition_config_selectorILNS1_17partition_subalgoE4EjNS0_10empty_typeEbEEZZNS1_14partition_implILS8_4ELb0ES6_15HIP_vector_typeIjLj2EENS0_17counting_iteratorIjlEEPS9_SG_NS0_5tupleIJPjSI_NS0_16reverse_iteratorISI_EEEEENSH_IJSG_SG_SG_EEES9_SI_JZNS1_25segmented_radix_sort_implINS0_14default_configELb0EPKsPsPKlPlN2at6native12_GLOBAL__N_18offset_tEEE10hipError_tPvRmT1_PNSt15iterator_traitsIS12_E10value_typeET2_T3_PNS13_IS18_E10value_typeET4_jRbjT5_S1E_jjP12ihipStream_tbEUljE_ZNSN_ISO_Lb0ESQ_SR_ST_SU_SY_EESZ_S10_S11_S12_S16_S17_S18_S1B_S1C_jS1D_jS1E_S1E_jjS1G_bEUljE0_EEESZ_S10_S11_S18_S1C_S1E_T6_T7_T9_mT8_S1G_bDpT10_ENKUlT_T0_E_clISt17integral_constantIbLb0EES1U_EEDaS1P_S1Q_EUlS1P_E_NS1_11comp_targetILNS1_3genE4ELNS1_11target_archE910ELNS1_3gpuE8ELNS1_3repE0EEENS1_30default_config_static_selectorELNS0_4arch9wavefront6targetE0EEEvS12_.num_agpr, 0
	.set _ZN7rocprim17ROCPRIM_400000_NS6detail17trampoline_kernelINS0_13select_configILj256ELj13ELNS0_17block_load_methodE3ELS4_3ELS4_3ELNS0_20block_scan_algorithmE0ELj4294967295EEENS1_25partition_config_selectorILNS1_17partition_subalgoE4EjNS0_10empty_typeEbEEZZNS1_14partition_implILS8_4ELb0ES6_15HIP_vector_typeIjLj2EENS0_17counting_iteratorIjlEEPS9_SG_NS0_5tupleIJPjSI_NS0_16reverse_iteratorISI_EEEEENSH_IJSG_SG_SG_EEES9_SI_JZNS1_25segmented_radix_sort_implINS0_14default_configELb0EPKsPsPKlPlN2at6native12_GLOBAL__N_18offset_tEEE10hipError_tPvRmT1_PNSt15iterator_traitsIS12_E10value_typeET2_T3_PNS13_IS18_E10value_typeET4_jRbjT5_S1E_jjP12ihipStream_tbEUljE_ZNSN_ISO_Lb0ESQ_SR_ST_SU_SY_EESZ_S10_S11_S12_S16_S17_S18_S1B_S1C_jS1D_jS1E_S1E_jjS1G_bEUljE0_EEESZ_S10_S11_S18_S1C_S1E_T6_T7_T9_mT8_S1G_bDpT10_ENKUlT_T0_E_clISt17integral_constantIbLb0EES1U_EEDaS1P_S1Q_EUlS1P_E_NS1_11comp_targetILNS1_3genE4ELNS1_11target_archE910ELNS1_3gpuE8ELNS1_3repE0EEENS1_30default_config_static_selectorELNS0_4arch9wavefront6targetE0EEEvS12_.numbered_sgpr, 0
	.set _ZN7rocprim17ROCPRIM_400000_NS6detail17trampoline_kernelINS0_13select_configILj256ELj13ELNS0_17block_load_methodE3ELS4_3ELS4_3ELNS0_20block_scan_algorithmE0ELj4294967295EEENS1_25partition_config_selectorILNS1_17partition_subalgoE4EjNS0_10empty_typeEbEEZZNS1_14partition_implILS8_4ELb0ES6_15HIP_vector_typeIjLj2EENS0_17counting_iteratorIjlEEPS9_SG_NS0_5tupleIJPjSI_NS0_16reverse_iteratorISI_EEEEENSH_IJSG_SG_SG_EEES9_SI_JZNS1_25segmented_radix_sort_implINS0_14default_configELb0EPKsPsPKlPlN2at6native12_GLOBAL__N_18offset_tEEE10hipError_tPvRmT1_PNSt15iterator_traitsIS12_E10value_typeET2_T3_PNS13_IS18_E10value_typeET4_jRbjT5_S1E_jjP12ihipStream_tbEUljE_ZNSN_ISO_Lb0ESQ_SR_ST_SU_SY_EESZ_S10_S11_S12_S16_S17_S18_S1B_S1C_jS1D_jS1E_S1E_jjS1G_bEUljE0_EEESZ_S10_S11_S18_S1C_S1E_T6_T7_T9_mT8_S1G_bDpT10_ENKUlT_T0_E_clISt17integral_constantIbLb0EES1U_EEDaS1P_S1Q_EUlS1P_E_NS1_11comp_targetILNS1_3genE4ELNS1_11target_archE910ELNS1_3gpuE8ELNS1_3repE0EEENS1_30default_config_static_selectorELNS0_4arch9wavefront6targetE0EEEvS12_.num_named_barrier, 0
	.set _ZN7rocprim17ROCPRIM_400000_NS6detail17trampoline_kernelINS0_13select_configILj256ELj13ELNS0_17block_load_methodE3ELS4_3ELS4_3ELNS0_20block_scan_algorithmE0ELj4294967295EEENS1_25partition_config_selectorILNS1_17partition_subalgoE4EjNS0_10empty_typeEbEEZZNS1_14partition_implILS8_4ELb0ES6_15HIP_vector_typeIjLj2EENS0_17counting_iteratorIjlEEPS9_SG_NS0_5tupleIJPjSI_NS0_16reverse_iteratorISI_EEEEENSH_IJSG_SG_SG_EEES9_SI_JZNS1_25segmented_radix_sort_implINS0_14default_configELb0EPKsPsPKlPlN2at6native12_GLOBAL__N_18offset_tEEE10hipError_tPvRmT1_PNSt15iterator_traitsIS12_E10value_typeET2_T3_PNS13_IS18_E10value_typeET4_jRbjT5_S1E_jjP12ihipStream_tbEUljE_ZNSN_ISO_Lb0ESQ_SR_ST_SU_SY_EESZ_S10_S11_S12_S16_S17_S18_S1B_S1C_jS1D_jS1E_S1E_jjS1G_bEUljE0_EEESZ_S10_S11_S18_S1C_S1E_T6_T7_T9_mT8_S1G_bDpT10_ENKUlT_T0_E_clISt17integral_constantIbLb0EES1U_EEDaS1P_S1Q_EUlS1P_E_NS1_11comp_targetILNS1_3genE4ELNS1_11target_archE910ELNS1_3gpuE8ELNS1_3repE0EEENS1_30default_config_static_selectorELNS0_4arch9wavefront6targetE0EEEvS12_.private_seg_size, 0
	.set _ZN7rocprim17ROCPRIM_400000_NS6detail17trampoline_kernelINS0_13select_configILj256ELj13ELNS0_17block_load_methodE3ELS4_3ELS4_3ELNS0_20block_scan_algorithmE0ELj4294967295EEENS1_25partition_config_selectorILNS1_17partition_subalgoE4EjNS0_10empty_typeEbEEZZNS1_14partition_implILS8_4ELb0ES6_15HIP_vector_typeIjLj2EENS0_17counting_iteratorIjlEEPS9_SG_NS0_5tupleIJPjSI_NS0_16reverse_iteratorISI_EEEEENSH_IJSG_SG_SG_EEES9_SI_JZNS1_25segmented_radix_sort_implINS0_14default_configELb0EPKsPsPKlPlN2at6native12_GLOBAL__N_18offset_tEEE10hipError_tPvRmT1_PNSt15iterator_traitsIS12_E10value_typeET2_T3_PNS13_IS18_E10value_typeET4_jRbjT5_S1E_jjP12ihipStream_tbEUljE_ZNSN_ISO_Lb0ESQ_SR_ST_SU_SY_EESZ_S10_S11_S12_S16_S17_S18_S1B_S1C_jS1D_jS1E_S1E_jjS1G_bEUljE0_EEESZ_S10_S11_S18_S1C_S1E_T6_T7_T9_mT8_S1G_bDpT10_ENKUlT_T0_E_clISt17integral_constantIbLb0EES1U_EEDaS1P_S1Q_EUlS1P_E_NS1_11comp_targetILNS1_3genE4ELNS1_11target_archE910ELNS1_3gpuE8ELNS1_3repE0EEENS1_30default_config_static_selectorELNS0_4arch9wavefront6targetE0EEEvS12_.uses_vcc, 0
	.set _ZN7rocprim17ROCPRIM_400000_NS6detail17trampoline_kernelINS0_13select_configILj256ELj13ELNS0_17block_load_methodE3ELS4_3ELS4_3ELNS0_20block_scan_algorithmE0ELj4294967295EEENS1_25partition_config_selectorILNS1_17partition_subalgoE4EjNS0_10empty_typeEbEEZZNS1_14partition_implILS8_4ELb0ES6_15HIP_vector_typeIjLj2EENS0_17counting_iteratorIjlEEPS9_SG_NS0_5tupleIJPjSI_NS0_16reverse_iteratorISI_EEEEENSH_IJSG_SG_SG_EEES9_SI_JZNS1_25segmented_radix_sort_implINS0_14default_configELb0EPKsPsPKlPlN2at6native12_GLOBAL__N_18offset_tEEE10hipError_tPvRmT1_PNSt15iterator_traitsIS12_E10value_typeET2_T3_PNS13_IS18_E10value_typeET4_jRbjT5_S1E_jjP12ihipStream_tbEUljE_ZNSN_ISO_Lb0ESQ_SR_ST_SU_SY_EESZ_S10_S11_S12_S16_S17_S18_S1B_S1C_jS1D_jS1E_S1E_jjS1G_bEUljE0_EEESZ_S10_S11_S18_S1C_S1E_T6_T7_T9_mT8_S1G_bDpT10_ENKUlT_T0_E_clISt17integral_constantIbLb0EES1U_EEDaS1P_S1Q_EUlS1P_E_NS1_11comp_targetILNS1_3genE4ELNS1_11target_archE910ELNS1_3gpuE8ELNS1_3repE0EEENS1_30default_config_static_selectorELNS0_4arch9wavefront6targetE0EEEvS12_.uses_flat_scratch, 0
	.set _ZN7rocprim17ROCPRIM_400000_NS6detail17trampoline_kernelINS0_13select_configILj256ELj13ELNS0_17block_load_methodE3ELS4_3ELS4_3ELNS0_20block_scan_algorithmE0ELj4294967295EEENS1_25partition_config_selectorILNS1_17partition_subalgoE4EjNS0_10empty_typeEbEEZZNS1_14partition_implILS8_4ELb0ES6_15HIP_vector_typeIjLj2EENS0_17counting_iteratorIjlEEPS9_SG_NS0_5tupleIJPjSI_NS0_16reverse_iteratorISI_EEEEENSH_IJSG_SG_SG_EEES9_SI_JZNS1_25segmented_radix_sort_implINS0_14default_configELb0EPKsPsPKlPlN2at6native12_GLOBAL__N_18offset_tEEE10hipError_tPvRmT1_PNSt15iterator_traitsIS12_E10value_typeET2_T3_PNS13_IS18_E10value_typeET4_jRbjT5_S1E_jjP12ihipStream_tbEUljE_ZNSN_ISO_Lb0ESQ_SR_ST_SU_SY_EESZ_S10_S11_S12_S16_S17_S18_S1B_S1C_jS1D_jS1E_S1E_jjS1G_bEUljE0_EEESZ_S10_S11_S18_S1C_S1E_T6_T7_T9_mT8_S1G_bDpT10_ENKUlT_T0_E_clISt17integral_constantIbLb0EES1U_EEDaS1P_S1Q_EUlS1P_E_NS1_11comp_targetILNS1_3genE4ELNS1_11target_archE910ELNS1_3gpuE8ELNS1_3repE0EEENS1_30default_config_static_selectorELNS0_4arch9wavefront6targetE0EEEvS12_.has_dyn_sized_stack, 0
	.set _ZN7rocprim17ROCPRIM_400000_NS6detail17trampoline_kernelINS0_13select_configILj256ELj13ELNS0_17block_load_methodE3ELS4_3ELS4_3ELNS0_20block_scan_algorithmE0ELj4294967295EEENS1_25partition_config_selectorILNS1_17partition_subalgoE4EjNS0_10empty_typeEbEEZZNS1_14partition_implILS8_4ELb0ES6_15HIP_vector_typeIjLj2EENS0_17counting_iteratorIjlEEPS9_SG_NS0_5tupleIJPjSI_NS0_16reverse_iteratorISI_EEEEENSH_IJSG_SG_SG_EEES9_SI_JZNS1_25segmented_radix_sort_implINS0_14default_configELb0EPKsPsPKlPlN2at6native12_GLOBAL__N_18offset_tEEE10hipError_tPvRmT1_PNSt15iterator_traitsIS12_E10value_typeET2_T3_PNS13_IS18_E10value_typeET4_jRbjT5_S1E_jjP12ihipStream_tbEUljE_ZNSN_ISO_Lb0ESQ_SR_ST_SU_SY_EESZ_S10_S11_S12_S16_S17_S18_S1B_S1C_jS1D_jS1E_S1E_jjS1G_bEUljE0_EEESZ_S10_S11_S18_S1C_S1E_T6_T7_T9_mT8_S1G_bDpT10_ENKUlT_T0_E_clISt17integral_constantIbLb0EES1U_EEDaS1P_S1Q_EUlS1P_E_NS1_11comp_targetILNS1_3genE4ELNS1_11target_archE910ELNS1_3gpuE8ELNS1_3repE0EEENS1_30default_config_static_selectorELNS0_4arch9wavefront6targetE0EEEvS12_.has_recursion, 0
	.set _ZN7rocprim17ROCPRIM_400000_NS6detail17trampoline_kernelINS0_13select_configILj256ELj13ELNS0_17block_load_methodE3ELS4_3ELS4_3ELNS0_20block_scan_algorithmE0ELj4294967295EEENS1_25partition_config_selectorILNS1_17partition_subalgoE4EjNS0_10empty_typeEbEEZZNS1_14partition_implILS8_4ELb0ES6_15HIP_vector_typeIjLj2EENS0_17counting_iteratorIjlEEPS9_SG_NS0_5tupleIJPjSI_NS0_16reverse_iteratorISI_EEEEENSH_IJSG_SG_SG_EEES9_SI_JZNS1_25segmented_radix_sort_implINS0_14default_configELb0EPKsPsPKlPlN2at6native12_GLOBAL__N_18offset_tEEE10hipError_tPvRmT1_PNSt15iterator_traitsIS12_E10value_typeET2_T3_PNS13_IS18_E10value_typeET4_jRbjT5_S1E_jjP12ihipStream_tbEUljE_ZNSN_ISO_Lb0ESQ_SR_ST_SU_SY_EESZ_S10_S11_S12_S16_S17_S18_S1B_S1C_jS1D_jS1E_S1E_jjS1G_bEUljE0_EEESZ_S10_S11_S18_S1C_S1E_T6_T7_T9_mT8_S1G_bDpT10_ENKUlT_T0_E_clISt17integral_constantIbLb0EES1U_EEDaS1P_S1Q_EUlS1P_E_NS1_11comp_targetILNS1_3genE4ELNS1_11target_archE910ELNS1_3gpuE8ELNS1_3repE0EEENS1_30default_config_static_selectorELNS0_4arch9wavefront6targetE0EEEvS12_.has_indirect_call, 0
	.section	.AMDGPU.csdata,"",@progbits
; Kernel info:
; codeLenInByte = 0
; TotalNumSgprs: 0
; NumVgprs: 0
; ScratchSize: 0
; MemoryBound: 0
; FloatMode: 240
; IeeeMode: 1
; LDSByteSize: 0 bytes/workgroup (compile time only)
; SGPRBlocks: 0
; VGPRBlocks: 0
; NumSGPRsForWavesPerEU: 1
; NumVGPRsForWavesPerEU: 1
; NamedBarCnt: 0
; Occupancy: 16
; WaveLimiterHint : 0
; COMPUTE_PGM_RSRC2:SCRATCH_EN: 0
; COMPUTE_PGM_RSRC2:USER_SGPR: 2
; COMPUTE_PGM_RSRC2:TRAP_HANDLER: 0
; COMPUTE_PGM_RSRC2:TGID_X_EN: 1
; COMPUTE_PGM_RSRC2:TGID_Y_EN: 0
; COMPUTE_PGM_RSRC2:TGID_Z_EN: 0
; COMPUTE_PGM_RSRC2:TIDIG_COMP_CNT: 0
	.section	.text._ZN7rocprim17ROCPRIM_400000_NS6detail17trampoline_kernelINS0_13select_configILj256ELj13ELNS0_17block_load_methodE3ELS4_3ELS4_3ELNS0_20block_scan_algorithmE0ELj4294967295EEENS1_25partition_config_selectorILNS1_17partition_subalgoE4EjNS0_10empty_typeEbEEZZNS1_14partition_implILS8_4ELb0ES6_15HIP_vector_typeIjLj2EENS0_17counting_iteratorIjlEEPS9_SG_NS0_5tupleIJPjSI_NS0_16reverse_iteratorISI_EEEEENSH_IJSG_SG_SG_EEES9_SI_JZNS1_25segmented_radix_sort_implINS0_14default_configELb0EPKsPsPKlPlN2at6native12_GLOBAL__N_18offset_tEEE10hipError_tPvRmT1_PNSt15iterator_traitsIS12_E10value_typeET2_T3_PNS13_IS18_E10value_typeET4_jRbjT5_S1E_jjP12ihipStream_tbEUljE_ZNSN_ISO_Lb0ESQ_SR_ST_SU_SY_EESZ_S10_S11_S12_S16_S17_S18_S1B_S1C_jS1D_jS1E_S1E_jjS1G_bEUljE0_EEESZ_S10_S11_S18_S1C_S1E_T6_T7_T9_mT8_S1G_bDpT10_ENKUlT_T0_E_clISt17integral_constantIbLb0EES1U_EEDaS1P_S1Q_EUlS1P_E_NS1_11comp_targetILNS1_3genE3ELNS1_11target_archE908ELNS1_3gpuE7ELNS1_3repE0EEENS1_30default_config_static_selectorELNS0_4arch9wavefront6targetE0EEEvS12_,"axG",@progbits,_ZN7rocprim17ROCPRIM_400000_NS6detail17trampoline_kernelINS0_13select_configILj256ELj13ELNS0_17block_load_methodE3ELS4_3ELS4_3ELNS0_20block_scan_algorithmE0ELj4294967295EEENS1_25partition_config_selectorILNS1_17partition_subalgoE4EjNS0_10empty_typeEbEEZZNS1_14partition_implILS8_4ELb0ES6_15HIP_vector_typeIjLj2EENS0_17counting_iteratorIjlEEPS9_SG_NS0_5tupleIJPjSI_NS0_16reverse_iteratorISI_EEEEENSH_IJSG_SG_SG_EEES9_SI_JZNS1_25segmented_radix_sort_implINS0_14default_configELb0EPKsPsPKlPlN2at6native12_GLOBAL__N_18offset_tEEE10hipError_tPvRmT1_PNSt15iterator_traitsIS12_E10value_typeET2_T3_PNS13_IS18_E10value_typeET4_jRbjT5_S1E_jjP12ihipStream_tbEUljE_ZNSN_ISO_Lb0ESQ_SR_ST_SU_SY_EESZ_S10_S11_S12_S16_S17_S18_S1B_S1C_jS1D_jS1E_S1E_jjS1G_bEUljE0_EEESZ_S10_S11_S18_S1C_S1E_T6_T7_T9_mT8_S1G_bDpT10_ENKUlT_T0_E_clISt17integral_constantIbLb0EES1U_EEDaS1P_S1Q_EUlS1P_E_NS1_11comp_targetILNS1_3genE3ELNS1_11target_archE908ELNS1_3gpuE7ELNS1_3repE0EEENS1_30default_config_static_selectorELNS0_4arch9wavefront6targetE0EEEvS12_,comdat
	.globl	_ZN7rocprim17ROCPRIM_400000_NS6detail17trampoline_kernelINS0_13select_configILj256ELj13ELNS0_17block_load_methodE3ELS4_3ELS4_3ELNS0_20block_scan_algorithmE0ELj4294967295EEENS1_25partition_config_selectorILNS1_17partition_subalgoE4EjNS0_10empty_typeEbEEZZNS1_14partition_implILS8_4ELb0ES6_15HIP_vector_typeIjLj2EENS0_17counting_iteratorIjlEEPS9_SG_NS0_5tupleIJPjSI_NS0_16reverse_iteratorISI_EEEEENSH_IJSG_SG_SG_EEES9_SI_JZNS1_25segmented_radix_sort_implINS0_14default_configELb0EPKsPsPKlPlN2at6native12_GLOBAL__N_18offset_tEEE10hipError_tPvRmT1_PNSt15iterator_traitsIS12_E10value_typeET2_T3_PNS13_IS18_E10value_typeET4_jRbjT5_S1E_jjP12ihipStream_tbEUljE_ZNSN_ISO_Lb0ESQ_SR_ST_SU_SY_EESZ_S10_S11_S12_S16_S17_S18_S1B_S1C_jS1D_jS1E_S1E_jjS1G_bEUljE0_EEESZ_S10_S11_S18_S1C_S1E_T6_T7_T9_mT8_S1G_bDpT10_ENKUlT_T0_E_clISt17integral_constantIbLb0EES1U_EEDaS1P_S1Q_EUlS1P_E_NS1_11comp_targetILNS1_3genE3ELNS1_11target_archE908ELNS1_3gpuE7ELNS1_3repE0EEENS1_30default_config_static_selectorELNS0_4arch9wavefront6targetE0EEEvS12_ ; -- Begin function _ZN7rocprim17ROCPRIM_400000_NS6detail17trampoline_kernelINS0_13select_configILj256ELj13ELNS0_17block_load_methodE3ELS4_3ELS4_3ELNS0_20block_scan_algorithmE0ELj4294967295EEENS1_25partition_config_selectorILNS1_17partition_subalgoE4EjNS0_10empty_typeEbEEZZNS1_14partition_implILS8_4ELb0ES6_15HIP_vector_typeIjLj2EENS0_17counting_iteratorIjlEEPS9_SG_NS0_5tupleIJPjSI_NS0_16reverse_iteratorISI_EEEEENSH_IJSG_SG_SG_EEES9_SI_JZNS1_25segmented_radix_sort_implINS0_14default_configELb0EPKsPsPKlPlN2at6native12_GLOBAL__N_18offset_tEEE10hipError_tPvRmT1_PNSt15iterator_traitsIS12_E10value_typeET2_T3_PNS13_IS18_E10value_typeET4_jRbjT5_S1E_jjP12ihipStream_tbEUljE_ZNSN_ISO_Lb0ESQ_SR_ST_SU_SY_EESZ_S10_S11_S12_S16_S17_S18_S1B_S1C_jS1D_jS1E_S1E_jjS1G_bEUljE0_EEESZ_S10_S11_S18_S1C_S1E_T6_T7_T9_mT8_S1G_bDpT10_ENKUlT_T0_E_clISt17integral_constantIbLb0EES1U_EEDaS1P_S1Q_EUlS1P_E_NS1_11comp_targetILNS1_3genE3ELNS1_11target_archE908ELNS1_3gpuE7ELNS1_3repE0EEENS1_30default_config_static_selectorELNS0_4arch9wavefront6targetE0EEEvS12_
	.p2align	8
	.type	_ZN7rocprim17ROCPRIM_400000_NS6detail17trampoline_kernelINS0_13select_configILj256ELj13ELNS0_17block_load_methodE3ELS4_3ELS4_3ELNS0_20block_scan_algorithmE0ELj4294967295EEENS1_25partition_config_selectorILNS1_17partition_subalgoE4EjNS0_10empty_typeEbEEZZNS1_14partition_implILS8_4ELb0ES6_15HIP_vector_typeIjLj2EENS0_17counting_iteratorIjlEEPS9_SG_NS0_5tupleIJPjSI_NS0_16reverse_iteratorISI_EEEEENSH_IJSG_SG_SG_EEES9_SI_JZNS1_25segmented_radix_sort_implINS0_14default_configELb0EPKsPsPKlPlN2at6native12_GLOBAL__N_18offset_tEEE10hipError_tPvRmT1_PNSt15iterator_traitsIS12_E10value_typeET2_T3_PNS13_IS18_E10value_typeET4_jRbjT5_S1E_jjP12ihipStream_tbEUljE_ZNSN_ISO_Lb0ESQ_SR_ST_SU_SY_EESZ_S10_S11_S12_S16_S17_S18_S1B_S1C_jS1D_jS1E_S1E_jjS1G_bEUljE0_EEESZ_S10_S11_S18_S1C_S1E_T6_T7_T9_mT8_S1G_bDpT10_ENKUlT_T0_E_clISt17integral_constantIbLb0EES1U_EEDaS1P_S1Q_EUlS1P_E_NS1_11comp_targetILNS1_3genE3ELNS1_11target_archE908ELNS1_3gpuE7ELNS1_3repE0EEENS1_30default_config_static_selectorELNS0_4arch9wavefront6targetE0EEEvS12_,@function
_ZN7rocprim17ROCPRIM_400000_NS6detail17trampoline_kernelINS0_13select_configILj256ELj13ELNS0_17block_load_methodE3ELS4_3ELS4_3ELNS0_20block_scan_algorithmE0ELj4294967295EEENS1_25partition_config_selectorILNS1_17partition_subalgoE4EjNS0_10empty_typeEbEEZZNS1_14partition_implILS8_4ELb0ES6_15HIP_vector_typeIjLj2EENS0_17counting_iteratorIjlEEPS9_SG_NS0_5tupleIJPjSI_NS0_16reverse_iteratorISI_EEEEENSH_IJSG_SG_SG_EEES9_SI_JZNS1_25segmented_radix_sort_implINS0_14default_configELb0EPKsPsPKlPlN2at6native12_GLOBAL__N_18offset_tEEE10hipError_tPvRmT1_PNSt15iterator_traitsIS12_E10value_typeET2_T3_PNS13_IS18_E10value_typeET4_jRbjT5_S1E_jjP12ihipStream_tbEUljE_ZNSN_ISO_Lb0ESQ_SR_ST_SU_SY_EESZ_S10_S11_S12_S16_S17_S18_S1B_S1C_jS1D_jS1E_S1E_jjS1G_bEUljE0_EEESZ_S10_S11_S18_S1C_S1E_T6_T7_T9_mT8_S1G_bDpT10_ENKUlT_T0_E_clISt17integral_constantIbLb0EES1U_EEDaS1P_S1Q_EUlS1P_E_NS1_11comp_targetILNS1_3genE3ELNS1_11target_archE908ELNS1_3gpuE7ELNS1_3repE0EEENS1_30default_config_static_selectorELNS0_4arch9wavefront6targetE0EEEvS12_: ; @_ZN7rocprim17ROCPRIM_400000_NS6detail17trampoline_kernelINS0_13select_configILj256ELj13ELNS0_17block_load_methodE3ELS4_3ELS4_3ELNS0_20block_scan_algorithmE0ELj4294967295EEENS1_25partition_config_selectorILNS1_17partition_subalgoE4EjNS0_10empty_typeEbEEZZNS1_14partition_implILS8_4ELb0ES6_15HIP_vector_typeIjLj2EENS0_17counting_iteratorIjlEEPS9_SG_NS0_5tupleIJPjSI_NS0_16reverse_iteratorISI_EEEEENSH_IJSG_SG_SG_EEES9_SI_JZNS1_25segmented_radix_sort_implINS0_14default_configELb0EPKsPsPKlPlN2at6native12_GLOBAL__N_18offset_tEEE10hipError_tPvRmT1_PNSt15iterator_traitsIS12_E10value_typeET2_T3_PNS13_IS18_E10value_typeET4_jRbjT5_S1E_jjP12ihipStream_tbEUljE_ZNSN_ISO_Lb0ESQ_SR_ST_SU_SY_EESZ_S10_S11_S12_S16_S17_S18_S1B_S1C_jS1D_jS1E_S1E_jjS1G_bEUljE0_EEESZ_S10_S11_S18_S1C_S1E_T6_T7_T9_mT8_S1G_bDpT10_ENKUlT_T0_E_clISt17integral_constantIbLb0EES1U_EEDaS1P_S1Q_EUlS1P_E_NS1_11comp_targetILNS1_3genE3ELNS1_11target_archE908ELNS1_3gpuE7ELNS1_3repE0EEENS1_30default_config_static_selectorELNS0_4arch9wavefront6targetE0EEEvS12_
; %bb.0:
	.section	.rodata,"a",@progbits
	.p2align	6, 0x0
	.amdhsa_kernel _ZN7rocprim17ROCPRIM_400000_NS6detail17trampoline_kernelINS0_13select_configILj256ELj13ELNS0_17block_load_methodE3ELS4_3ELS4_3ELNS0_20block_scan_algorithmE0ELj4294967295EEENS1_25partition_config_selectorILNS1_17partition_subalgoE4EjNS0_10empty_typeEbEEZZNS1_14partition_implILS8_4ELb0ES6_15HIP_vector_typeIjLj2EENS0_17counting_iteratorIjlEEPS9_SG_NS0_5tupleIJPjSI_NS0_16reverse_iteratorISI_EEEEENSH_IJSG_SG_SG_EEES9_SI_JZNS1_25segmented_radix_sort_implINS0_14default_configELb0EPKsPsPKlPlN2at6native12_GLOBAL__N_18offset_tEEE10hipError_tPvRmT1_PNSt15iterator_traitsIS12_E10value_typeET2_T3_PNS13_IS18_E10value_typeET4_jRbjT5_S1E_jjP12ihipStream_tbEUljE_ZNSN_ISO_Lb0ESQ_SR_ST_SU_SY_EESZ_S10_S11_S12_S16_S17_S18_S1B_S1C_jS1D_jS1E_S1E_jjS1G_bEUljE0_EEESZ_S10_S11_S18_S1C_S1E_T6_T7_T9_mT8_S1G_bDpT10_ENKUlT_T0_E_clISt17integral_constantIbLb0EES1U_EEDaS1P_S1Q_EUlS1P_E_NS1_11comp_targetILNS1_3genE3ELNS1_11target_archE908ELNS1_3gpuE7ELNS1_3repE0EEENS1_30default_config_static_selectorELNS0_4arch9wavefront6targetE0EEEvS12_
		.amdhsa_group_segment_fixed_size 0
		.amdhsa_private_segment_fixed_size 0
		.amdhsa_kernarg_size 176
		.amdhsa_user_sgpr_count 2
		.amdhsa_user_sgpr_dispatch_ptr 0
		.amdhsa_user_sgpr_queue_ptr 0
		.amdhsa_user_sgpr_kernarg_segment_ptr 1
		.amdhsa_user_sgpr_dispatch_id 0
		.amdhsa_user_sgpr_kernarg_preload_length 0
		.amdhsa_user_sgpr_kernarg_preload_offset 0
		.amdhsa_user_sgpr_private_segment_size 0
		.amdhsa_wavefront_size32 1
		.amdhsa_uses_dynamic_stack 0
		.amdhsa_enable_private_segment 0
		.amdhsa_system_sgpr_workgroup_id_x 1
		.amdhsa_system_sgpr_workgroup_id_y 0
		.amdhsa_system_sgpr_workgroup_id_z 0
		.amdhsa_system_sgpr_workgroup_info 0
		.amdhsa_system_vgpr_workitem_id 0
		.amdhsa_next_free_vgpr 1
		.amdhsa_next_free_sgpr 1
		.amdhsa_named_barrier_count 0
		.amdhsa_reserve_vcc 0
		.amdhsa_float_round_mode_32 0
		.amdhsa_float_round_mode_16_64 0
		.amdhsa_float_denorm_mode_32 3
		.amdhsa_float_denorm_mode_16_64 3
		.amdhsa_fp16_overflow 0
		.amdhsa_memory_ordered 1
		.amdhsa_forward_progress 1
		.amdhsa_inst_pref_size 0
		.amdhsa_round_robin_scheduling 0
		.amdhsa_exception_fp_ieee_invalid_op 0
		.amdhsa_exception_fp_denorm_src 0
		.amdhsa_exception_fp_ieee_div_zero 0
		.amdhsa_exception_fp_ieee_overflow 0
		.amdhsa_exception_fp_ieee_underflow 0
		.amdhsa_exception_fp_ieee_inexact 0
		.amdhsa_exception_int_div_zero 0
	.end_amdhsa_kernel
	.section	.text._ZN7rocprim17ROCPRIM_400000_NS6detail17trampoline_kernelINS0_13select_configILj256ELj13ELNS0_17block_load_methodE3ELS4_3ELS4_3ELNS0_20block_scan_algorithmE0ELj4294967295EEENS1_25partition_config_selectorILNS1_17partition_subalgoE4EjNS0_10empty_typeEbEEZZNS1_14partition_implILS8_4ELb0ES6_15HIP_vector_typeIjLj2EENS0_17counting_iteratorIjlEEPS9_SG_NS0_5tupleIJPjSI_NS0_16reverse_iteratorISI_EEEEENSH_IJSG_SG_SG_EEES9_SI_JZNS1_25segmented_radix_sort_implINS0_14default_configELb0EPKsPsPKlPlN2at6native12_GLOBAL__N_18offset_tEEE10hipError_tPvRmT1_PNSt15iterator_traitsIS12_E10value_typeET2_T3_PNS13_IS18_E10value_typeET4_jRbjT5_S1E_jjP12ihipStream_tbEUljE_ZNSN_ISO_Lb0ESQ_SR_ST_SU_SY_EESZ_S10_S11_S12_S16_S17_S18_S1B_S1C_jS1D_jS1E_S1E_jjS1G_bEUljE0_EEESZ_S10_S11_S18_S1C_S1E_T6_T7_T9_mT8_S1G_bDpT10_ENKUlT_T0_E_clISt17integral_constantIbLb0EES1U_EEDaS1P_S1Q_EUlS1P_E_NS1_11comp_targetILNS1_3genE3ELNS1_11target_archE908ELNS1_3gpuE7ELNS1_3repE0EEENS1_30default_config_static_selectorELNS0_4arch9wavefront6targetE0EEEvS12_,"axG",@progbits,_ZN7rocprim17ROCPRIM_400000_NS6detail17trampoline_kernelINS0_13select_configILj256ELj13ELNS0_17block_load_methodE3ELS4_3ELS4_3ELNS0_20block_scan_algorithmE0ELj4294967295EEENS1_25partition_config_selectorILNS1_17partition_subalgoE4EjNS0_10empty_typeEbEEZZNS1_14partition_implILS8_4ELb0ES6_15HIP_vector_typeIjLj2EENS0_17counting_iteratorIjlEEPS9_SG_NS0_5tupleIJPjSI_NS0_16reverse_iteratorISI_EEEEENSH_IJSG_SG_SG_EEES9_SI_JZNS1_25segmented_radix_sort_implINS0_14default_configELb0EPKsPsPKlPlN2at6native12_GLOBAL__N_18offset_tEEE10hipError_tPvRmT1_PNSt15iterator_traitsIS12_E10value_typeET2_T3_PNS13_IS18_E10value_typeET4_jRbjT5_S1E_jjP12ihipStream_tbEUljE_ZNSN_ISO_Lb0ESQ_SR_ST_SU_SY_EESZ_S10_S11_S12_S16_S17_S18_S1B_S1C_jS1D_jS1E_S1E_jjS1G_bEUljE0_EEESZ_S10_S11_S18_S1C_S1E_T6_T7_T9_mT8_S1G_bDpT10_ENKUlT_T0_E_clISt17integral_constantIbLb0EES1U_EEDaS1P_S1Q_EUlS1P_E_NS1_11comp_targetILNS1_3genE3ELNS1_11target_archE908ELNS1_3gpuE7ELNS1_3repE0EEENS1_30default_config_static_selectorELNS0_4arch9wavefront6targetE0EEEvS12_,comdat
.Lfunc_end948:
	.size	_ZN7rocprim17ROCPRIM_400000_NS6detail17trampoline_kernelINS0_13select_configILj256ELj13ELNS0_17block_load_methodE3ELS4_3ELS4_3ELNS0_20block_scan_algorithmE0ELj4294967295EEENS1_25partition_config_selectorILNS1_17partition_subalgoE4EjNS0_10empty_typeEbEEZZNS1_14partition_implILS8_4ELb0ES6_15HIP_vector_typeIjLj2EENS0_17counting_iteratorIjlEEPS9_SG_NS0_5tupleIJPjSI_NS0_16reverse_iteratorISI_EEEEENSH_IJSG_SG_SG_EEES9_SI_JZNS1_25segmented_radix_sort_implINS0_14default_configELb0EPKsPsPKlPlN2at6native12_GLOBAL__N_18offset_tEEE10hipError_tPvRmT1_PNSt15iterator_traitsIS12_E10value_typeET2_T3_PNS13_IS18_E10value_typeET4_jRbjT5_S1E_jjP12ihipStream_tbEUljE_ZNSN_ISO_Lb0ESQ_SR_ST_SU_SY_EESZ_S10_S11_S12_S16_S17_S18_S1B_S1C_jS1D_jS1E_S1E_jjS1G_bEUljE0_EEESZ_S10_S11_S18_S1C_S1E_T6_T7_T9_mT8_S1G_bDpT10_ENKUlT_T0_E_clISt17integral_constantIbLb0EES1U_EEDaS1P_S1Q_EUlS1P_E_NS1_11comp_targetILNS1_3genE3ELNS1_11target_archE908ELNS1_3gpuE7ELNS1_3repE0EEENS1_30default_config_static_selectorELNS0_4arch9wavefront6targetE0EEEvS12_, .Lfunc_end948-_ZN7rocprim17ROCPRIM_400000_NS6detail17trampoline_kernelINS0_13select_configILj256ELj13ELNS0_17block_load_methodE3ELS4_3ELS4_3ELNS0_20block_scan_algorithmE0ELj4294967295EEENS1_25partition_config_selectorILNS1_17partition_subalgoE4EjNS0_10empty_typeEbEEZZNS1_14partition_implILS8_4ELb0ES6_15HIP_vector_typeIjLj2EENS0_17counting_iteratorIjlEEPS9_SG_NS0_5tupleIJPjSI_NS0_16reverse_iteratorISI_EEEEENSH_IJSG_SG_SG_EEES9_SI_JZNS1_25segmented_radix_sort_implINS0_14default_configELb0EPKsPsPKlPlN2at6native12_GLOBAL__N_18offset_tEEE10hipError_tPvRmT1_PNSt15iterator_traitsIS12_E10value_typeET2_T3_PNS13_IS18_E10value_typeET4_jRbjT5_S1E_jjP12ihipStream_tbEUljE_ZNSN_ISO_Lb0ESQ_SR_ST_SU_SY_EESZ_S10_S11_S12_S16_S17_S18_S1B_S1C_jS1D_jS1E_S1E_jjS1G_bEUljE0_EEESZ_S10_S11_S18_S1C_S1E_T6_T7_T9_mT8_S1G_bDpT10_ENKUlT_T0_E_clISt17integral_constantIbLb0EES1U_EEDaS1P_S1Q_EUlS1P_E_NS1_11comp_targetILNS1_3genE3ELNS1_11target_archE908ELNS1_3gpuE7ELNS1_3repE0EEENS1_30default_config_static_selectorELNS0_4arch9wavefront6targetE0EEEvS12_
                                        ; -- End function
	.set _ZN7rocprim17ROCPRIM_400000_NS6detail17trampoline_kernelINS0_13select_configILj256ELj13ELNS0_17block_load_methodE3ELS4_3ELS4_3ELNS0_20block_scan_algorithmE0ELj4294967295EEENS1_25partition_config_selectorILNS1_17partition_subalgoE4EjNS0_10empty_typeEbEEZZNS1_14partition_implILS8_4ELb0ES6_15HIP_vector_typeIjLj2EENS0_17counting_iteratorIjlEEPS9_SG_NS0_5tupleIJPjSI_NS0_16reverse_iteratorISI_EEEEENSH_IJSG_SG_SG_EEES9_SI_JZNS1_25segmented_radix_sort_implINS0_14default_configELb0EPKsPsPKlPlN2at6native12_GLOBAL__N_18offset_tEEE10hipError_tPvRmT1_PNSt15iterator_traitsIS12_E10value_typeET2_T3_PNS13_IS18_E10value_typeET4_jRbjT5_S1E_jjP12ihipStream_tbEUljE_ZNSN_ISO_Lb0ESQ_SR_ST_SU_SY_EESZ_S10_S11_S12_S16_S17_S18_S1B_S1C_jS1D_jS1E_S1E_jjS1G_bEUljE0_EEESZ_S10_S11_S18_S1C_S1E_T6_T7_T9_mT8_S1G_bDpT10_ENKUlT_T0_E_clISt17integral_constantIbLb0EES1U_EEDaS1P_S1Q_EUlS1P_E_NS1_11comp_targetILNS1_3genE3ELNS1_11target_archE908ELNS1_3gpuE7ELNS1_3repE0EEENS1_30default_config_static_selectorELNS0_4arch9wavefront6targetE0EEEvS12_.num_vgpr, 0
	.set _ZN7rocprim17ROCPRIM_400000_NS6detail17trampoline_kernelINS0_13select_configILj256ELj13ELNS0_17block_load_methodE3ELS4_3ELS4_3ELNS0_20block_scan_algorithmE0ELj4294967295EEENS1_25partition_config_selectorILNS1_17partition_subalgoE4EjNS0_10empty_typeEbEEZZNS1_14partition_implILS8_4ELb0ES6_15HIP_vector_typeIjLj2EENS0_17counting_iteratorIjlEEPS9_SG_NS0_5tupleIJPjSI_NS0_16reverse_iteratorISI_EEEEENSH_IJSG_SG_SG_EEES9_SI_JZNS1_25segmented_radix_sort_implINS0_14default_configELb0EPKsPsPKlPlN2at6native12_GLOBAL__N_18offset_tEEE10hipError_tPvRmT1_PNSt15iterator_traitsIS12_E10value_typeET2_T3_PNS13_IS18_E10value_typeET4_jRbjT5_S1E_jjP12ihipStream_tbEUljE_ZNSN_ISO_Lb0ESQ_SR_ST_SU_SY_EESZ_S10_S11_S12_S16_S17_S18_S1B_S1C_jS1D_jS1E_S1E_jjS1G_bEUljE0_EEESZ_S10_S11_S18_S1C_S1E_T6_T7_T9_mT8_S1G_bDpT10_ENKUlT_T0_E_clISt17integral_constantIbLb0EES1U_EEDaS1P_S1Q_EUlS1P_E_NS1_11comp_targetILNS1_3genE3ELNS1_11target_archE908ELNS1_3gpuE7ELNS1_3repE0EEENS1_30default_config_static_selectorELNS0_4arch9wavefront6targetE0EEEvS12_.num_agpr, 0
	.set _ZN7rocprim17ROCPRIM_400000_NS6detail17trampoline_kernelINS0_13select_configILj256ELj13ELNS0_17block_load_methodE3ELS4_3ELS4_3ELNS0_20block_scan_algorithmE0ELj4294967295EEENS1_25partition_config_selectorILNS1_17partition_subalgoE4EjNS0_10empty_typeEbEEZZNS1_14partition_implILS8_4ELb0ES6_15HIP_vector_typeIjLj2EENS0_17counting_iteratorIjlEEPS9_SG_NS0_5tupleIJPjSI_NS0_16reverse_iteratorISI_EEEEENSH_IJSG_SG_SG_EEES9_SI_JZNS1_25segmented_radix_sort_implINS0_14default_configELb0EPKsPsPKlPlN2at6native12_GLOBAL__N_18offset_tEEE10hipError_tPvRmT1_PNSt15iterator_traitsIS12_E10value_typeET2_T3_PNS13_IS18_E10value_typeET4_jRbjT5_S1E_jjP12ihipStream_tbEUljE_ZNSN_ISO_Lb0ESQ_SR_ST_SU_SY_EESZ_S10_S11_S12_S16_S17_S18_S1B_S1C_jS1D_jS1E_S1E_jjS1G_bEUljE0_EEESZ_S10_S11_S18_S1C_S1E_T6_T7_T9_mT8_S1G_bDpT10_ENKUlT_T0_E_clISt17integral_constantIbLb0EES1U_EEDaS1P_S1Q_EUlS1P_E_NS1_11comp_targetILNS1_3genE3ELNS1_11target_archE908ELNS1_3gpuE7ELNS1_3repE0EEENS1_30default_config_static_selectorELNS0_4arch9wavefront6targetE0EEEvS12_.numbered_sgpr, 0
	.set _ZN7rocprim17ROCPRIM_400000_NS6detail17trampoline_kernelINS0_13select_configILj256ELj13ELNS0_17block_load_methodE3ELS4_3ELS4_3ELNS0_20block_scan_algorithmE0ELj4294967295EEENS1_25partition_config_selectorILNS1_17partition_subalgoE4EjNS0_10empty_typeEbEEZZNS1_14partition_implILS8_4ELb0ES6_15HIP_vector_typeIjLj2EENS0_17counting_iteratorIjlEEPS9_SG_NS0_5tupleIJPjSI_NS0_16reverse_iteratorISI_EEEEENSH_IJSG_SG_SG_EEES9_SI_JZNS1_25segmented_radix_sort_implINS0_14default_configELb0EPKsPsPKlPlN2at6native12_GLOBAL__N_18offset_tEEE10hipError_tPvRmT1_PNSt15iterator_traitsIS12_E10value_typeET2_T3_PNS13_IS18_E10value_typeET4_jRbjT5_S1E_jjP12ihipStream_tbEUljE_ZNSN_ISO_Lb0ESQ_SR_ST_SU_SY_EESZ_S10_S11_S12_S16_S17_S18_S1B_S1C_jS1D_jS1E_S1E_jjS1G_bEUljE0_EEESZ_S10_S11_S18_S1C_S1E_T6_T7_T9_mT8_S1G_bDpT10_ENKUlT_T0_E_clISt17integral_constantIbLb0EES1U_EEDaS1P_S1Q_EUlS1P_E_NS1_11comp_targetILNS1_3genE3ELNS1_11target_archE908ELNS1_3gpuE7ELNS1_3repE0EEENS1_30default_config_static_selectorELNS0_4arch9wavefront6targetE0EEEvS12_.num_named_barrier, 0
	.set _ZN7rocprim17ROCPRIM_400000_NS6detail17trampoline_kernelINS0_13select_configILj256ELj13ELNS0_17block_load_methodE3ELS4_3ELS4_3ELNS0_20block_scan_algorithmE0ELj4294967295EEENS1_25partition_config_selectorILNS1_17partition_subalgoE4EjNS0_10empty_typeEbEEZZNS1_14partition_implILS8_4ELb0ES6_15HIP_vector_typeIjLj2EENS0_17counting_iteratorIjlEEPS9_SG_NS0_5tupleIJPjSI_NS0_16reverse_iteratorISI_EEEEENSH_IJSG_SG_SG_EEES9_SI_JZNS1_25segmented_radix_sort_implINS0_14default_configELb0EPKsPsPKlPlN2at6native12_GLOBAL__N_18offset_tEEE10hipError_tPvRmT1_PNSt15iterator_traitsIS12_E10value_typeET2_T3_PNS13_IS18_E10value_typeET4_jRbjT5_S1E_jjP12ihipStream_tbEUljE_ZNSN_ISO_Lb0ESQ_SR_ST_SU_SY_EESZ_S10_S11_S12_S16_S17_S18_S1B_S1C_jS1D_jS1E_S1E_jjS1G_bEUljE0_EEESZ_S10_S11_S18_S1C_S1E_T6_T7_T9_mT8_S1G_bDpT10_ENKUlT_T0_E_clISt17integral_constantIbLb0EES1U_EEDaS1P_S1Q_EUlS1P_E_NS1_11comp_targetILNS1_3genE3ELNS1_11target_archE908ELNS1_3gpuE7ELNS1_3repE0EEENS1_30default_config_static_selectorELNS0_4arch9wavefront6targetE0EEEvS12_.private_seg_size, 0
	.set _ZN7rocprim17ROCPRIM_400000_NS6detail17trampoline_kernelINS0_13select_configILj256ELj13ELNS0_17block_load_methodE3ELS4_3ELS4_3ELNS0_20block_scan_algorithmE0ELj4294967295EEENS1_25partition_config_selectorILNS1_17partition_subalgoE4EjNS0_10empty_typeEbEEZZNS1_14partition_implILS8_4ELb0ES6_15HIP_vector_typeIjLj2EENS0_17counting_iteratorIjlEEPS9_SG_NS0_5tupleIJPjSI_NS0_16reverse_iteratorISI_EEEEENSH_IJSG_SG_SG_EEES9_SI_JZNS1_25segmented_radix_sort_implINS0_14default_configELb0EPKsPsPKlPlN2at6native12_GLOBAL__N_18offset_tEEE10hipError_tPvRmT1_PNSt15iterator_traitsIS12_E10value_typeET2_T3_PNS13_IS18_E10value_typeET4_jRbjT5_S1E_jjP12ihipStream_tbEUljE_ZNSN_ISO_Lb0ESQ_SR_ST_SU_SY_EESZ_S10_S11_S12_S16_S17_S18_S1B_S1C_jS1D_jS1E_S1E_jjS1G_bEUljE0_EEESZ_S10_S11_S18_S1C_S1E_T6_T7_T9_mT8_S1G_bDpT10_ENKUlT_T0_E_clISt17integral_constantIbLb0EES1U_EEDaS1P_S1Q_EUlS1P_E_NS1_11comp_targetILNS1_3genE3ELNS1_11target_archE908ELNS1_3gpuE7ELNS1_3repE0EEENS1_30default_config_static_selectorELNS0_4arch9wavefront6targetE0EEEvS12_.uses_vcc, 0
	.set _ZN7rocprim17ROCPRIM_400000_NS6detail17trampoline_kernelINS0_13select_configILj256ELj13ELNS0_17block_load_methodE3ELS4_3ELS4_3ELNS0_20block_scan_algorithmE0ELj4294967295EEENS1_25partition_config_selectorILNS1_17partition_subalgoE4EjNS0_10empty_typeEbEEZZNS1_14partition_implILS8_4ELb0ES6_15HIP_vector_typeIjLj2EENS0_17counting_iteratorIjlEEPS9_SG_NS0_5tupleIJPjSI_NS0_16reverse_iteratorISI_EEEEENSH_IJSG_SG_SG_EEES9_SI_JZNS1_25segmented_radix_sort_implINS0_14default_configELb0EPKsPsPKlPlN2at6native12_GLOBAL__N_18offset_tEEE10hipError_tPvRmT1_PNSt15iterator_traitsIS12_E10value_typeET2_T3_PNS13_IS18_E10value_typeET4_jRbjT5_S1E_jjP12ihipStream_tbEUljE_ZNSN_ISO_Lb0ESQ_SR_ST_SU_SY_EESZ_S10_S11_S12_S16_S17_S18_S1B_S1C_jS1D_jS1E_S1E_jjS1G_bEUljE0_EEESZ_S10_S11_S18_S1C_S1E_T6_T7_T9_mT8_S1G_bDpT10_ENKUlT_T0_E_clISt17integral_constantIbLb0EES1U_EEDaS1P_S1Q_EUlS1P_E_NS1_11comp_targetILNS1_3genE3ELNS1_11target_archE908ELNS1_3gpuE7ELNS1_3repE0EEENS1_30default_config_static_selectorELNS0_4arch9wavefront6targetE0EEEvS12_.uses_flat_scratch, 0
	.set _ZN7rocprim17ROCPRIM_400000_NS6detail17trampoline_kernelINS0_13select_configILj256ELj13ELNS0_17block_load_methodE3ELS4_3ELS4_3ELNS0_20block_scan_algorithmE0ELj4294967295EEENS1_25partition_config_selectorILNS1_17partition_subalgoE4EjNS0_10empty_typeEbEEZZNS1_14partition_implILS8_4ELb0ES6_15HIP_vector_typeIjLj2EENS0_17counting_iteratorIjlEEPS9_SG_NS0_5tupleIJPjSI_NS0_16reverse_iteratorISI_EEEEENSH_IJSG_SG_SG_EEES9_SI_JZNS1_25segmented_radix_sort_implINS0_14default_configELb0EPKsPsPKlPlN2at6native12_GLOBAL__N_18offset_tEEE10hipError_tPvRmT1_PNSt15iterator_traitsIS12_E10value_typeET2_T3_PNS13_IS18_E10value_typeET4_jRbjT5_S1E_jjP12ihipStream_tbEUljE_ZNSN_ISO_Lb0ESQ_SR_ST_SU_SY_EESZ_S10_S11_S12_S16_S17_S18_S1B_S1C_jS1D_jS1E_S1E_jjS1G_bEUljE0_EEESZ_S10_S11_S18_S1C_S1E_T6_T7_T9_mT8_S1G_bDpT10_ENKUlT_T0_E_clISt17integral_constantIbLb0EES1U_EEDaS1P_S1Q_EUlS1P_E_NS1_11comp_targetILNS1_3genE3ELNS1_11target_archE908ELNS1_3gpuE7ELNS1_3repE0EEENS1_30default_config_static_selectorELNS0_4arch9wavefront6targetE0EEEvS12_.has_dyn_sized_stack, 0
	.set _ZN7rocprim17ROCPRIM_400000_NS6detail17trampoline_kernelINS0_13select_configILj256ELj13ELNS0_17block_load_methodE3ELS4_3ELS4_3ELNS0_20block_scan_algorithmE0ELj4294967295EEENS1_25partition_config_selectorILNS1_17partition_subalgoE4EjNS0_10empty_typeEbEEZZNS1_14partition_implILS8_4ELb0ES6_15HIP_vector_typeIjLj2EENS0_17counting_iteratorIjlEEPS9_SG_NS0_5tupleIJPjSI_NS0_16reverse_iteratorISI_EEEEENSH_IJSG_SG_SG_EEES9_SI_JZNS1_25segmented_radix_sort_implINS0_14default_configELb0EPKsPsPKlPlN2at6native12_GLOBAL__N_18offset_tEEE10hipError_tPvRmT1_PNSt15iterator_traitsIS12_E10value_typeET2_T3_PNS13_IS18_E10value_typeET4_jRbjT5_S1E_jjP12ihipStream_tbEUljE_ZNSN_ISO_Lb0ESQ_SR_ST_SU_SY_EESZ_S10_S11_S12_S16_S17_S18_S1B_S1C_jS1D_jS1E_S1E_jjS1G_bEUljE0_EEESZ_S10_S11_S18_S1C_S1E_T6_T7_T9_mT8_S1G_bDpT10_ENKUlT_T0_E_clISt17integral_constantIbLb0EES1U_EEDaS1P_S1Q_EUlS1P_E_NS1_11comp_targetILNS1_3genE3ELNS1_11target_archE908ELNS1_3gpuE7ELNS1_3repE0EEENS1_30default_config_static_selectorELNS0_4arch9wavefront6targetE0EEEvS12_.has_recursion, 0
	.set _ZN7rocprim17ROCPRIM_400000_NS6detail17trampoline_kernelINS0_13select_configILj256ELj13ELNS0_17block_load_methodE3ELS4_3ELS4_3ELNS0_20block_scan_algorithmE0ELj4294967295EEENS1_25partition_config_selectorILNS1_17partition_subalgoE4EjNS0_10empty_typeEbEEZZNS1_14partition_implILS8_4ELb0ES6_15HIP_vector_typeIjLj2EENS0_17counting_iteratorIjlEEPS9_SG_NS0_5tupleIJPjSI_NS0_16reverse_iteratorISI_EEEEENSH_IJSG_SG_SG_EEES9_SI_JZNS1_25segmented_radix_sort_implINS0_14default_configELb0EPKsPsPKlPlN2at6native12_GLOBAL__N_18offset_tEEE10hipError_tPvRmT1_PNSt15iterator_traitsIS12_E10value_typeET2_T3_PNS13_IS18_E10value_typeET4_jRbjT5_S1E_jjP12ihipStream_tbEUljE_ZNSN_ISO_Lb0ESQ_SR_ST_SU_SY_EESZ_S10_S11_S12_S16_S17_S18_S1B_S1C_jS1D_jS1E_S1E_jjS1G_bEUljE0_EEESZ_S10_S11_S18_S1C_S1E_T6_T7_T9_mT8_S1G_bDpT10_ENKUlT_T0_E_clISt17integral_constantIbLb0EES1U_EEDaS1P_S1Q_EUlS1P_E_NS1_11comp_targetILNS1_3genE3ELNS1_11target_archE908ELNS1_3gpuE7ELNS1_3repE0EEENS1_30default_config_static_selectorELNS0_4arch9wavefront6targetE0EEEvS12_.has_indirect_call, 0
	.section	.AMDGPU.csdata,"",@progbits
; Kernel info:
; codeLenInByte = 0
; TotalNumSgprs: 0
; NumVgprs: 0
; ScratchSize: 0
; MemoryBound: 0
; FloatMode: 240
; IeeeMode: 1
; LDSByteSize: 0 bytes/workgroup (compile time only)
; SGPRBlocks: 0
; VGPRBlocks: 0
; NumSGPRsForWavesPerEU: 1
; NumVGPRsForWavesPerEU: 1
; NamedBarCnt: 0
; Occupancy: 16
; WaveLimiterHint : 0
; COMPUTE_PGM_RSRC2:SCRATCH_EN: 0
; COMPUTE_PGM_RSRC2:USER_SGPR: 2
; COMPUTE_PGM_RSRC2:TRAP_HANDLER: 0
; COMPUTE_PGM_RSRC2:TGID_X_EN: 1
; COMPUTE_PGM_RSRC2:TGID_Y_EN: 0
; COMPUTE_PGM_RSRC2:TGID_Z_EN: 0
; COMPUTE_PGM_RSRC2:TIDIG_COMP_CNT: 0
	.section	.text._ZN7rocprim17ROCPRIM_400000_NS6detail17trampoline_kernelINS0_13select_configILj256ELj13ELNS0_17block_load_methodE3ELS4_3ELS4_3ELNS0_20block_scan_algorithmE0ELj4294967295EEENS1_25partition_config_selectorILNS1_17partition_subalgoE4EjNS0_10empty_typeEbEEZZNS1_14partition_implILS8_4ELb0ES6_15HIP_vector_typeIjLj2EENS0_17counting_iteratorIjlEEPS9_SG_NS0_5tupleIJPjSI_NS0_16reverse_iteratorISI_EEEEENSH_IJSG_SG_SG_EEES9_SI_JZNS1_25segmented_radix_sort_implINS0_14default_configELb0EPKsPsPKlPlN2at6native12_GLOBAL__N_18offset_tEEE10hipError_tPvRmT1_PNSt15iterator_traitsIS12_E10value_typeET2_T3_PNS13_IS18_E10value_typeET4_jRbjT5_S1E_jjP12ihipStream_tbEUljE_ZNSN_ISO_Lb0ESQ_SR_ST_SU_SY_EESZ_S10_S11_S12_S16_S17_S18_S1B_S1C_jS1D_jS1E_S1E_jjS1G_bEUljE0_EEESZ_S10_S11_S18_S1C_S1E_T6_T7_T9_mT8_S1G_bDpT10_ENKUlT_T0_E_clISt17integral_constantIbLb0EES1U_EEDaS1P_S1Q_EUlS1P_E_NS1_11comp_targetILNS1_3genE2ELNS1_11target_archE906ELNS1_3gpuE6ELNS1_3repE0EEENS1_30default_config_static_selectorELNS0_4arch9wavefront6targetE0EEEvS12_,"axG",@progbits,_ZN7rocprim17ROCPRIM_400000_NS6detail17trampoline_kernelINS0_13select_configILj256ELj13ELNS0_17block_load_methodE3ELS4_3ELS4_3ELNS0_20block_scan_algorithmE0ELj4294967295EEENS1_25partition_config_selectorILNS1_17partition_subalgoE4EjNS0_10empty_typeEbEEZZNS1_14partition_implILS8_4ELb0ES6_15HIP_vector_typeIjLj2EENS0_17counting_iteratorIjlEEPS9_SG_NS0_5tupleIJPjSI_NS0_16reverse_iteratorISI_EEEEENSH_IJSG_SG_SG_EEES9_SI_JZNS1_25segmented_radix_sort_implINS0_14default_configELb0EPKsPsPKlPlN2at6native12_GLOBAL__N_18offset_tEEE10hipError_tPvRmT1_PNSt15iterator_traitsIS12_E10value_typeET2_T3_PNS13_IS18_E10value_typeET4_jRbjT5_S1E_jjP12ihipStream_tbEUljE_ZNSN_ISO_Lb0ESQ_SR_ST_SU_SY_EESZ_S10_S11_S12_S16_S17_S18_S1B_S1C_jS1D_jS1E_S1E_jjS1G_bEUljE0_EEESZ_S10_S11_S18_S1C_S1E_T6_T7_T9_mT8_S1G_bDpT10_ENKUlT_T0_E_clISt17integral_constantIbLb0EES1U_EEDaS1P_S1Q_EUlS1P_E_NS1_11comp_targetILNS1_3genE2ELNS1_11target_archE906ELNS1_3gpuE6ELNS1_3repE0EEENS1_30default_config_static_selectorELNS0_4arch9wavefront6targetE0EEEvS12_,comdat
	.globl	_ZN7rocprim17ROCPRIM_400000_NS6detail17trampoline_kernelINS0_13select_configILj256ELj13ELNS0_17block_load_methodE3ELS4_3ELS4_3ELNS0_20block_scan_algorithmE0ELj4294967295EEENS1_25partition_config_selectorILNS1_17partition_subalgoE4EjNS0_10empty_typeEbEEZZNS1_14partition_implILS8_4ELb0ES6_15HIP_vector_typeIjLj2EENS0_17counting_iteratorIjlEEPS9_SG_NS0_5tupleIJPjSI_NS0_16reverse_iteratorISI_EEEEENSH_IJSG_SG_SG_EEES9_SI_JZNS1_25segmented_radix_sort_implINS0_14default_configELb0EPKsPsPKlPlN2at6native12_GLOBAL__N_18offset_tEEE10hipError_tPvRmT1_PNSt15iterator_traitsIS12_E10value_typeET2_T3_PNS13_IS18_E10value_typeET4_jRbjT5_S1E_jjP12ihipStream_tbEUljE_ZNSN_ISO_Lb0ESQ_SR_ST_SU_SY_EESZ_S10_S11_S12_S16_S17_S18_S1B_S1C_jS1D_jS1E_S1E_jjS1G_bEUljE0_EEESZ_S10_S11_S18_S1C_S1E_T6_T7_T9_mT8_S1G_bDpT10_ENKUlT_T0_E_clISt17integral_constantIbLb0EES1U_EEDaS1P_S1Q_EUlS1P_E_NS1_11comp_targetILNS1_3genE2ELNS1_11target_archE906ELNS1_3gpuE6ELNS1_3repE0EEENS1_30default_config_static_selectorELNS0_4arch9wavefront6targetE0EEEvS12_ ; -- Begin function _ZN7rocprim17ROCPRIM_400000_NS6detail17trampoline_kernelINS0_13select_configILj256ELj13ELNS0_17block_load_methodE3ELS4_3ELS4_3ELNS0_20block_scan_algorithmE0ELj4294967295EEENS1_25partition_config_selectorILNS1_17partition_subalgoE4EjNS0_10empty_typeEbEEZZNS1_14partition_implILS8_4ELb0ES6_15HIP_vector_typeIjLj2EENS0_17counting_iteratorIjlEEPS9_SG_NS0_5tupleIJPjSI_NS0_16reverse_iteratorISI_EEEEENSH_IJSG_SG_SG_EEES9_SI_JZNS1_25segmented_radix_sort_implINS0_14default_configELb0EPKsPsPKlPlN2at6native12_GLOBAL__N_18offset_tEEE10hipError_tPvRmT1_PNSt15iterator_traitsIS12_E10value_typeET2_T3_PNS13_IS18_E10value_typeET4_jRbjT5_S1E_jjP12ihipStream_tbEUljE_ZNSN_ISO_Lb0ESQ_SR_ST_SU_SY_EESZ_S10_S11_S12_S16_S17_S18_S1B_S1C_jS1D_jS1E_S1E_jjS1G_bEUljE0_EEESZ_S10_S11_S18_S1C_S1E_T6_T7_T9_mT8_S1G_bDpT10_ENKUlT_T0_E_clISt17integral_constantIbLb0EES1U_EEDaS1P_S1Q_EUlS1P_E_NS1_11comp_targetILNS1_3genE2ELNS1_11target_archE906ELNS1_3gpuE6ELNS1_3repE0EEENS1_30default_config_static_selectorELNS0_4arch9wavefront6targetE0EEEvS12_
	.p2align	8
	.type	_ZN7rocprim17ROCPRIM_400000_NS6detail17trampoline_kernelINS0_13select_configILj256ELj13ELNS0_17block_load_methodE3ELS4_3ELS4_3ELNS0_20block_scan_algorithmE0ELj4294967295EEENS1_25partition_config_selectorILNS1_17partition_subalgoE4EjNS0_10empty_typeEbEEZZNS1_14partition_implILS8_4ELb0ES6_15HIP_vector_typeIjLj2EENS0_17counting_iteratorIjlEEPS9_SG_NS0_5tupleIJPjSI_NS0_16reverse_iteratorISI_EEEEENSH_IJSG_SG_SG_EEES9_SI_JZNS1_25segmented_radix_sort_implINS0_14default_configELb0EPKsPsPKlPlN2at6native12_GLOBAL__N_18offset_tEEE10hipError_tPvRmT1_PNSt15iterator_traitsIS12_E10value_typeET2_T3_PNS13_IS18_E10value_typeET4_jRbjT5_S1E_jjP12ihipStream_tbEUljE_ZNSN_ISO_Lb0ESQ_SR_ST_SU_SY_EESZ_S10_S11_S12_S16_S17_S18_S1B_S1C_jS1D_jS1E_S1E_jjS1G_bEUljE0_EEESZ_S10_S11_S18_S1C_S1E_T6_T7_T9_mT8_S1G_bDpT10_ENKUlT_T0_E_clISt17integral_constantIbLb0EES1U_EEDaS1P_S1Q_EUlS1P_E_NS1_11comp_targetILNS1_3genE2ELNS1_11target_archE906ELNS1_3gpuE6ELNS1_3repE0EEENS1_30default_config_static_selectorELNS0_4arch9wavefront6targetE0EEEvS12_,@function
_ZN7rocprim17ROCPRIM_400000_NS6detail17trampoline_kernelINS0_13select_configILj256ELj13ELNS0_17block_load_methodE3ELS4_3ELS4_3ELNS0_20block_scan_algorithmE0ELj4294967295EEENS1_25partition_config_selectorILNS1_17partition_subalgoE4EjNS0_10empty_typeEbEEZZNS1_14partition_implILS8_4ELb0ES6_15HIP_vector_typeIjLj2EENS0_17counting_iteratorIjlEEPS9_SG_NS0_5tupleIJPjSI_NS0_16reverse_iteratorISI_EEEEENSH_IJSG_SG_SG_EEES9_SI_JZNS1_25segmented_radix_sort_implINS0_14default_configELb0EPKsPsPKlPlN2at6native12_GLOBAL__N_18offset_tEEE10hipError_tPvRmT1_PNSt15iterator_traitsIS12_E10value_typeET2_T3_PNS13_IS18_E10value_typeET4_jRbjT5_S1E_jjP12ihipStream_tbEUljE_ZNSN_ISO_Lb0ESQ_SR_ST_SU_SY_EESZ_S10_S11_S12_S16_S17_S18_S1B_S1C_jS1D_jS1E_S1E_jjS1G_bEUljE0_EEESZ_S10_S11_S18_S1C_S1E_T6_T7_T9_mT8_S1G_bDpT10_ENKUlT_T0_E_clISt17integral_constantIbLb0EES1U_EEDaS1P_S1Q_EUlS1P_E_NS1_11comp_targetILNS1_3genE2ELNS1_11target_archE906ELNS1_3gpuE6ELNS1_3repE0EEENS1_30default_config_static_selectorELNS0_4arch9wavefront6targetE0EEEvS12_: ; @_ZN7rocprim17ROCPRIM_400000_NS6detail17trampoline_kernelINS0_13select_configILj256ELj13ELNS0_17block_load_methodE3ELS4_3ELS4_3ELNS0_20block_scan_algorithmE0ELj4294967295EEENS1_25partition_config_selectorILNS1_17partition_subalgoE4EjNS0_10empty_typeEbEEZZNS1_14partition_implILS8_4ELb0ES6_15HIP_vector_typeIjLj2EENS0_17counting_iteratorIjlEEPS9_SG_NS0_5tupleIJPjSI_NS0_16reverse_iteratorISI_EEEEENSH_IJSG_SG_SG_EEES9_SI_JZNS1_25segmented_radix_sort_implINS0_14default_configELb0EPKsPsPKlPlN2at6native12_GLOBAL__N_18offset_tEEE10hipError_tPvRmT1_PNSt15iterator_traitsIS12_E10value_typeET2_T3_PNS13_IS18_E10value_typeET4_jRbjT5_S1E_jjP12ihipStream_tbEUljE_ZNSN_ISO_Lb0ESQ_SR_ST_SU_SY_EESZ_S10_S11_S12_S16_S17_S18_S1B_S1C_jS1D_jS1E_S1E_jjS1G_bEUljE0_EEESZ_S10_S11_S18_S1C_S1E_T6_T7_T9_mT8_S1G_bDpT10_ENKUlT_T0_E_clISt17integral_constantIbLb0EES1U_EEDaS1P_S1Q_EUlS1P_E_NS1_11comp_targetILNS1_3genE2ELNS1_11target_archE906ELNS1_3gpuE6ELNS1_3repE0EEENS1_30default_config_static_selectorELNS0_4arch9wavefront6targetE0EEEvS12_
; %bb.0:
	.section	.rodata,"a",@progbits
	.p2align	6, 0x0
	.amdhsa_kernel _ZN7rocprim17ROCPRIM_400000_NS6detail17trampoline_kernelINS0_13select_configILj256ELj13ELNS0_17block_load_methodE3ELS4_3ELS4_3ELNS0_20block_scan_algorithmE0ELj4294967295EEENS1_25partition_config_selectorILNS1_17partition_subalgoE4EjNS0_10empty_typeEbEEZZNS1_14partition_implILS8_4ELb0ES6_15HIP_vector_typeIjLj2EENS0_17counting_iteratorIjlEEPS9_SG_NS0_5tupleIJPjSI_NS0_16reverse_iteratorISI_EEEEENSH_IJSG_SG_SG_EEES9_SI_JZNS1_25segmented_radix_sort_implINS0_14default_configELb0EPKsPsPKlPlN2at6native12_GLOBAL__N_18offset_tEEE10hipError_tPvRmT1_PNSt15iterator_traitsIS12_E10value_typeET2_T3_PNS13_IS18_E10value_typeET4_jRbjT5_S1E_jjP12ihipStream_tbEUljE_ZNSN_ISO_Lb0ESQ_SR_ST_SU_SY_EESZ_S10_S11_S12_S16_S17_S18_S1B_S1C_jS1D_jS1E_S1E_jjS1G_bEUljE0_EEESZ_S10_S11_S18_S1C_S1E_T6_T7_T9_mT8_S1G_bDpT10_ENKUlT_T0_E_clISt17integral_constantIbLb0EES1U_EEDaS1P_S1Q_EUlS1P_E_NS1_11comp_targetILNS1_3genE2ELNS1_11target_archE906ELNS1_3gpuE6ELNS1_3repE0EEENS1_30default_config_static_selectorELNS0_4arch9wavefront6targetE0EEEvS12_
		.amdhsa_group_segment_fixed_size 0
		.amdhsa_private_segment_fixed_size 0
		.amdhsa_kernarg_size 176
		.amdhsa_user_sgpr_count 2
		.amdhsa_user_sgpr_dispatch_ptr 0
		.amdhsa_user_sgpr_queue_ptr 0
		.amdhsa_user_sgpr_kernarg_segment_ptr 1
		.amdhsa_user_sgpr_dispatch_id 0
		.amdhsa_user_sgpr_kernarg_preload_length 0
		.amdhsa_user_sgpr_kernarg_preload_offset 0
		.amdhsa_user_sgpr_private_segment_size 0
		.amdhsa_wavefront_size32 1
		.amdhsa_uses_dynamic_stack 0
		.amdhsa_enable_private_segment 0
		.amdhsa_system_sgpr_workgroup_id_x 1
		.amdhsa_system_sgpr_workgroup_id_y 0
		.amdhsa_system_sgpr_workgroup_id_z 0
		.amdhsa_system_sgpr_workgroup_info 0
		.amdhsa_system_vgpr_workitem_id 0
		.amdhsa_next_free_vgpr 1
		.amdhsa_next_free_sgpr 1
		.amdhsa_named_barrier_count 0
		.amdhsa_reserve_vcc 0
		.amdhsa_float_round_mode_32 0
		.amdhsa_float_round_mode_16_64 0
		.amdhsa_float_denorm_mode_32 3
		.amdhsa_float_denorm_mode_16_64 3
		.amdhsa_fp16_overflow 0
		.amdhsa_memory_ordered 1
		.amdhsa_forward_progress 1
		.amdhsa_inst_pref_size 0
		.amdhsa_round_robin_scheduling 0
		.amdhsa_exception_fp_ieee_invalid_op 0
		.amdhsa_exception_fp_denorm_src 0
		.amdhsa_exception_fp_ieee_div_zero 0
		.amdhsa_exception_fp_ieee_overflow 0
		.amdhsa_exception_fp_ieee_underflow 0
		.amdhsa_exception_fp_ieee_inexact 0
		.amdhsa_exception_int_div_zero 0
	.end_amdhsa_kernel
	.section	.text._ZN7rocprim17ROCPRIM_400000_NS6detail17trampoline_kernelINS0_13select_configILj256ELj13ELNS0_17block_load_methodE3ELS4_3ELS4_3ELNS0_20block_scan_algorithmE0ELj4294967295EEENS1_25partition_config_selectorILNS1_17partition_subalgoE4EjNS0_10empty_typeEbEEZZNS1_14partition_implILS8_4ELb0ES6_15HIP_vector_typeIjLj2EENS0_17counting_iteratorIjlEEPS9_SG_NS0_5tupleIJPjSI_NS0_16reverse_iteratorISI_EEEEENSH_IJSG_SG_SG_EEES9_SI_JZNS1_25segmented_radix_sort_implINS0_14default_configELb0EPKsPsPKlPlN2at6native12_GLOBAL__N_18offset_tEEE10hipError_tPvRmT1_PNSt15iterator_traitsIS12_E10value_typeET2_T3_PNS13_IS18_E10value_typeET4_jRbjT5_S1E_jjP12ihipStream_tbEUljE_ZNSN_ISO_Lb0ESQ_SR_ST_SU_SY_EESZ_S10_S11_S12_S16_S17_S18_S1B_S1C_jS1D_jS1E_S1E_jjS1G_bEUljE0_EEESZ_S10_S11_S18_S1C_S1E_T6_T7_T9_mT8_S1G_bDpT10_ENKUlT_T0_E_clISt17integral_constantIbLb0EES1U_EEDaS1P_S1Q_EUlS1P_E_NS1_11comp_targetILNS1_3genE2ELNS1_11target_archE906ELNS1_3gpuE6ELNS1_3repE0EEENS1_30default_config_static_selectorELNS0_4arch9wavefront6targetE0EEEvS12_,"axG",@progbits,_ZN7rocprim17ROCPRIM_400000_NS6detail17trampoline_kernelINS0_13select_configILj256ELj13ELNS0_17block_load_methodE3ELS4_3ELS4_3ELNS0_20block_scan_algorithmE0ELj4294967295EEENS1_25partition_config_selectorILNS1_17partition_subalgoE4EjNS0_10empty_typeEbEEZZNS1_14partition_implILS8_4ELb0ES6_15HIP_vector_typeIjLj2EENS0_17counting_iteratorIjlEEPS9_SG_NS0_5tupleIJPjSI_NS0_16reverse_iteratorISI_EEEEENSH_IJSG_SG_SG_EEES9_SI_JZNS1_25segmented_radix_sort_implINS0_14default_configELb0EPKsPsPKlPlN2at6native12_GLOBAL__N_18offset_tEEE10hipError_tPvRmT1_PNSt15iterator_traitsIS12_E10value_typeET2_T3_PNS13_IS18_E10value_typeET4_jRbjT5_S1E_jjP12ihipStream_tbEUljE_ZNSN_ISO_Lb0ESQ_SR_ST_SU_SY_EESZ_S10_S11_S12_S16_S17_S18_S1B_S1C_jS1D_jS1E_S1E_jjS1G_bEUljE0_EEESZ_S10_S11_S18_S1C_S1E_T6_T7_T9_mT8_S1G_bDpT10_ENKUlT_T0_E_clISt17integral_constantIbLb0EES1U_EEDaS1P_S1Q_EUlS1P_E_NS1_11comp_targetILNS1_3genE2ELNS1_11target_archE906ELNS1_3gpuE6ELNS1_3repE0EEENS1_30default_config_static_selectorELNS0_4arch9wavefront6targetE0EEEvS12_,comdat
.Lfunc_end949:
	.size	_ZN7rocprim17ROCPRIM_400000_NS6detail17trampoline_kernelINS0_13select_configILj256ELj13ELNS0_17block_load_methodE3ELS4_3ELS4_3ELNS0_20block_scan_algorithmE0ELj4294967295EEENS1_25partition_config_selectorILNS1_17partition_subalgoE4EjNS0_10empty_typeEbEEZZNS1_14partition_implILS8_4ELb0ES6_15HIP_vector_typeIjLj2EENS0_17counting_iteratorIjlEEPS9_SG_NS0_5tupleIJPjSI_NS0_16reverse_iteratorISI_EEEEENSH_IJSG_SG_SG_EEES9_SI_JZNS1_25segmented_radix_sort_implINS0_14default_configELb0EPKsPsPKlPlN2at6native12_GLOBAL__N_18offset_tEEE10hipError_tPvRmT1_PNSt15iterator_traitsIS12_E10value_typeET2_T3_PNS13_IS18_E10value_typeET4_jRbjT5_S1E_jjP12ihipStream_tbEUljE_ZNSN_ISO_Lb0ESQ_SR_ST_SU_SY_EESZ_S10_S11_S12_S16_S17_S18_S1B_S1C_jS1D_jS1E_S1E_jjS1G_bEUljE0_EEESZ_S10_S11_S18_S1C_S1E_T6_T7_T9_mT8_S1G_bDpT10_ENKUlT_T0_E_clISt17integral_constantIbLb0EES1U_EEDaS1P_S1Q_EUlS1P_E_NS1_11comp_targetILNS1_3genE2ELNS1_11target_archE906ELNS1_3gpuE6ELNS1_3repE0EEENS1_30default_config_static_selectorELNS0_4arch9wavefront6targetE0EEEvS12_, .Lfunc_end949-_ZN7rocprim17ROCPRIM_400000_NS6detail17trampoline_kernelINS0_13select_configILj256ELj13ELNS0_17block_load_methodE3ELS4_3ELS4_3ELNS0_20block_scan_algorithmE0ELj4294967295EEENS1_25partition_config_selectorILNS1_17partition_subalgoE4EjNS0_10empty_typeEbEEZZNS1_14partition_implILS8_4ELb0ES6_15HIP_vector_typeIjLj2EENS0_17counting_iteratorIjlEEPS9_SG_NS0_5tupleIJPjSI_NS0_16reverse_iteratorISI_EEEEENSH_IJSG_SG_SG_EEES9_SI_JZNS1_25segmented_radix_sort_implINS0_14default_configELb0EPKsPsPKlPlN2at6native12_GLOBAL__N_18offset_tEEE10hipError_tPvRmT1_PNSt15iterator_traitsIS12_E10value_typeET2_T3_PNS13_IS18_E10value_typeET4_jRbjT5_S1E_jjP12ihipStream_tbEUljE_ZNSN_ISO_Lb0ESQ_SR_ST_SU_SY_EESZ_S10_S11_S12_S16_S17_S18_S1B_S1C_jS1D_jS1E_S1E_jjS1G_bEUljE0_EEESZ_S10_S11_S18_S1C_S1E_T6_T7_T9_mT8_S1G_bDpT10_ENKUlT_T0_E_clISt17integral_constantIbLb0EES1U_EEDaS1P_S1Q_EUlS1P_E_NS1_11comp_targetILNS1_3genE2ELNS1_11target_archE906ELNS1_3gpuE6ELNS1_3repE0EEENS1_30default_config_static_selectorELNS0_4arch9wavefront6targetE0EEEvS12_
                                        ; -- End function
	.set _ZN7rocprim17ROCPRIM_400000_NS6detail17trampoline_kernelINS0_13select_configILj256ELj13ELNS0_17block_load_methodE3ELS4_3ELS4_3ELNS0_20block_scan_algorithmE0ELj4294967295EEENS1_25partition_config_selectorILNS1_17partition_subalgoE4EjNS0_10empty_typeEbEEZZNS1_14partition_implILS8_4ELb0ES6_15HIP_vector_typeIjLj2EENS0_17counting_iteratorIjlEEPS9_SG_NS0_5tupleIJPjSI_NS0_16reverse_iteratorISI_EEEEENSH_IJSG_SG_SG_EEES9_SI_JZNS1_25segmented_radix_sort_implINS0_14default_configELb0EPKsPsPKlPlN2at6native12_GLOBAL__N_18offset_tEEE10hipError_tPvRmT1_PNSt15iterator_traitsIS12_E10value_typeET2_T3_PNS13_IS18_E10value_typeET4_jRbjT5_S1E_jjP12ihipStream_tbEUljE_ZNSN_ISO_Lb0ESQ_SR_ST_SU_SY_EESZ_S10_S11_S12_S16_S17_S18_S1B_S1C_jS1D_jS1E_S1E_jjS1G_bEUljE0_EEESZ_S10_S11_S18_S1C_S1E_T6_T7_T9_mT8_S1G_bDpT10_ENKUlT_T0_E_clISt17integral_constantIbLb0EES1U_EEDaS1P_S1Q_EUlS1P_E_NS1_11comp_targetILNS1_3genE2ELNS1_11target_archE906ELNS1_3gpuE6ELNS1_3repE0EEENS1_30default_config_static_selectorELNS0_4arch9wavefront6targetE0EEEvS12_.num_vgpr, 0
	.set _ZN7rocprim17ROCPRIM_400000_NS6detail17trampoline_kernelINS0_13select_configILj256ELj13ELNS0_17block_load_methodE3ELS4_3ELS4_3ELNS0_20block_scan_algorithmE0ELj4294967295EEENS1_25partition_config_selectorILNS1_17partition_subalgoE4EjNS0_10empty_typeEbEEZZNS1_14partition_implILS8_4ELb0ES6_15HIP_vector_typeIjLj2EENS0_17counting_iteratorIjlEEPS9_SG_NS0_5tupleIJPjSI_NS0_16reverse_iteratorISI_EEEEENSH_IJSG_SG_SG_EEES9_SI_JZNS1_25segmented_radix_sort_implINS0_14default_configELb0EPKsPsPKlPlN2at6native12_GLOBAL__N_18offset_tEEE10hipError_tPvRmT1_PNSt15iterator_traitsIS12_E10value_typeET2_T3_PNS13_IS18_E10value_typeET4_jRbjT5_S1E_jjP12ihipStream_tbEUljE_ZNSN_ISO_Lb0ESQ_SR_ST_SU_SY_EESZ_S10_S11_S12_S16_S17_S18_S1B_S1C_jS1D_jS1E_S1E_jjS1G_bEUljE0_EEESZ_S10_S11_S18_S1C_S1E_T6_T7_T9_mT8_S1G_bDpT10_ENKUlT_T0_E_clISt17integral_constantIbLb0EES1U_EEDaS1P_S1Q_EUlS1P_E_NS1_11comp_targetILNS1_3genE2ELNS1_11target_archE906ELNS1_3gpuE6ELNS1_3repE0EEENS1_30default_config_static_selectorELNS0_4arch9wavefront6targetE0EEEvS12_.num_agpr, 0
	.set _ZN7rocprim17ROCPRIM_400000_NS6detail17trampoline_kernelINS0_13select_configILj256ELj13ELNS0_17block_load_methodE3ELS4_3ELS4_3ELNS0_20block_scan_algorithmE0ELj4294967295EEENS1_25partition_config_selectorILNS1_17partition_subalgoE4EjNS0_10empty_typeEbEEZZNS1_14partition_implILS8_4ELb0ES6_15HIP_vector_typeIjLj2EENS0_17counting_iteratorIjlEEPS9_SG_NS0_5tupleIJPjSI_NS0_16reverse_iteratorISI_EEEEENSH_IJSG_SG_SG_EEES9_SI_JZNS1_25segmented_radix_sort_implINS0_14default_configELb0EPKsPsPKlPlN2at6native12_GLOBAL__N_18offset_tEEE10hipError_tPvRmT1_PNSt15iterator_traitsIS12_E10value_typeET2_T3_PNS13_IS18_E10value_typeET4_jRbjT5_S1E_jjP12ihipStream_tbEUljE_ZNSN_ISO_Lb0ESQ_SR_ST_SU_SY_EESZ_S10_S11_S12_S16_S17_S18_S1B_S1C_jS1D_jS1E_S1E_jjS1G_bEUljE0_EEESZ_S10_S11_S18_S1C_S1E_T6_T7_T9_mT8_S1G_bDpT10_ENKUlT_T0_E_clISt17integral_constantIbLb0EES1U_EEDaS1P_S1Q_EUlS1P_E_NS1_11comp_targetILNS1_3genE2ELNS1_11target_archE906ELNS1_3gpuE6ELNS1_3repE0EEENS1_30default_config_static_selectorELNS0_4arch9wavefront6targetE0EEEvS12_.numbered_sgpr, 0
	.set _ZN7rocprim17ROCPRIM_400000_NS6detail17trampoline_kernelINS0_13select_configILj256ELj13ELNS0_17block_load_methodE3ELS4_3ELS4_3ELNS0_20block_scan_algorithmE0ELj4294967295EEENS1_25partition_config_selectorILNS1_17partition_subalgoE4EjNS0_10empty_typeEbEEZZNS1_14partition_implILS8_4ELb0ES6_15HIP_vector_typeIjLj2EENS0_17counting_iteratorIjlEEPS9_SG_NS0_5tupleIJPjSI_NS0_16reverse_iteratorISI_EEEEENSH_IJSG_SG_SG_EEES9_SI_JZNS1_25segmented_radix_sort_implINS0_14default_configELb0EPKsPsPKlPlN2at6native12_GLOBAL__N_18offset_tEEE10hipError_tPvRmT1_PNSt15iterator_traitsIS12_E10value_typeET2_T3_PNS13_IS18_E10value_typeET4_jRbjT5_S1E_jjP12ihipStream_tbEUljE_ZNSN_ISO_Lb0ESQ_SR_ST_SU_SY_EESZ_S10_S11_S12_S16_S17_S18_S1B_S1C_jS1D_jS1E_S1E_jjS1G_bEUljE0_EEESZ_S10_S11_S18_S1C_S1E_T6_T7_T9_mT8_S1G_bDpT10_ENKUlT_T0_E_clISt17integral_constantIbLb0EES1U_EEDaS1P_S1Q_EUlS1P_E_NS1_11comp_targetILNS1_3genE2ELNS1_11target_archE906ELNS1_3gpuE6ELNS1_3repE0EEENS1_30default_config_static_selectorELNS0_4arch9wavefront6targetE0EEEvS12_.num_named_barrier, 0
	.set _ZN7rocprim17ROCPRIM_400000_NS6detail17trampoline_kernelINS0_13select_configILj256ELj13ELNS0_17block_load_methodE3ELS4_3ELS4_3ELNS0_20block_scan_algorithmE0ELj4294967295EEENS1_25partition_config_selectorILNS1_17partition_subalgoE4EjNS0_10empty_typeEbEEZZNS1_14partition_implILS8_4ELb0ES6_15HIP_vector_typeIjLj2EENS0_17counting_iteratorIjlEEPS9_SG_NS0_5tupleIJPjSI_NS0_16reverse_iteratorISI_EEEEENSH_IJSG_SG_SG_EEES9_SI_JZNS1_25segmented_radix_sort_implINS0_14default_configELb0EPKsPsPKlPlN2at6native12_GLOBAL__N_18offset_tEEE10hipError_tPvRmT1_PNSt15iterator_traitsIS12_E10value_typeET2_T3_PNS13_IS18_E10value_typeET4_jRbjT5_S1E_jjP12ihipStream_tbEUljE_ZNSN_ISO_Lb0ESQ_SR_ST_SU_SY_EESZ_S10_S11_S12_S16_S17_S18_S1B_S1C_jS1D_jS1E_S1E_jjS1G_bEUljE0_EEESZ_S10_S11_S18_S1C_S1E_T6_T7_T9_mT8_S1G_bDpT10_ENKUlT_T0_E_clISt17integral_constantIbLb0EES1U_EEDaS1P_S1Q_EUlS1P_E_NS1_11comp_targetILNS1_3genE2ELNS1_11target_archE906ELNS1_3gpuE6ELNS1_3repE0EEENS1_30default_config_static_selectorELNS0_4arch9wavefront6targetE0EEEvS12_.private_seg_size, 0
	.set _ZN7rocprim17ROCPRIM_400000_NS6detail17trampoline_kernelINS0_13select_configILj256ELj13ELNS0_17block_load_methodE3ELS4_3ELS4_3ELNS0_20block_scan_algorithmE0ELj4294967295EEENS1_25partition_config_selectorILNS1_17partition_subalgoE4EjNS0_10empty_typeEbEEZZNS1_14partition_implILS8_4ELb0ES6_15HIP_vector_typeIjLj2EENS0_17counting_iteratorIjlEEPS9_SG_NS0_5tupleIJPjSI_NS0_16reverse_iteratorISI_EEEEENSH_IJSG_SG_SG_EEES9_SI_JZNS1_25segmented_radix_sort_implINS0_14default_configELb0EPKsPsPKlPlN2at6native12_GLOBAL__N_18offset_tEEE10hipError_tPvRmT1_PNSt15iterator_traitsIS12_E10value_typeET2_T3_PNS13_IS18_E10value_typeET4_jRbjT5_S1E_jjP12ihipStream_tbEUljE_ZNSN_ISO_Lb0ESQ_SR_ST_SU_SY_EESZ_S10_S11_S12_S16_S17_S18_S1B_S1C_jS1D_jS1E_S1E_jjS1G_bEUljE0_EEESZ_S10_S11_S18_S1C_S1E_T6_T7_T9_mT8_S1G_bDpT10_ENKUlT_T0_E_clISt17integral_constantIbLb0EES1U_EEDaS1P_S1Q_EUlS1P_E_NS1_11comp_targetILNS1_3genE2ELNS1_11target_archE906ELNS1_3gpuE6ELNS1_3repE0EEENS1_30default_config_static_selectorELNS0_4arch9wavefront6targetE0EEEvS12_.uses_vcc, 0
	.set _ZN7rocprim17ROCPRIM_400000_NS6detail17trampoline_kernelINS0_13select_configILj256ELj13ELNS0_17block_load_methodE3ELS4_3ELS4_3ELNS0_20block_scan_algorithmE0ELj4294967295EEENS1_25partition_config_selectorILNS1_17partition_subalgoE4EjNS0_10empty_typeEbEEZZNS1_14partition_implILS8_4ELb0ES6_15HIP_vector_typeIjLj2EENS0_17counting_iteratorIjlEEPS9_SG_NS0_5tupleIJPjSI_NS0_16reverse_iteratorISI_EEEEENSH_IJSG_SG_SG_EEES9_SI_JZNS1_25segmented_radix_sort_implINS0_14default_configELb0EPKsPsPKlPlN2at6native12_GLOBAL__N_18offset_tEEE10hipError_tPvRmT1_PNSt15iterator_traitsIS12_E10value_typeET2_T3_PNS13_IS18_E10value_typeET4_jRbjT5_S1E_jjP12ihipStream_tbEUljE_ZNSN_ISO_Lb0ESQ_SR_ST_SU_SY_EESZ_S10_S11_S12_S16_S17_S18_S1B_S1C_jS1D_jS1E_S1E_jjS1G_bEUljE0_EEESZ_S10_S11_S18_S1C_S1E_T6_T7_T9_mT8_S1G_bDpT10_ENKUlT_T0_E_clISt17integral_constantIbLb0EES1U_EEDaS1P_S1Q_EUlS1P_E_NS1_11comp_targetILNS1_3genE2ELNS1_11target_archE906ELNS1_3gpuE6ELNS1_3repE0EEENS1_30default_config_static_selectorELNS0_4arch9wavefront6targetE0EEEvS12_.uses_flat_scratch, 0
	.set _ZN7rocprim17ROCPRIM_400000_NS6detail17trampoline_kernelINS0_13select_configILj256ELj13ELNS0_17block_load_methodE3ELS4_3ELS4_3ELNS0_20block_scan_algorithmE0ELj4294967295EEENS1_25partition_config_selectorILNS1_17partition_subalgoE4EjNS0_10empty_typeEbEEZZNS1_14partition_implILS8_4ELb0ES6_15HIP_vector_typeIjLj2EENS0_17counting_iteratorIjlEEPS9_SG_NS0_5tupleIJPjSI_NS0_16reverse_iteratorISI_EEEEENSH_IJSG_SG_SG_EEES9_SI_JZNS1_25segmented_radix_sort_implINS0_14default_configELb0EPKsPsPKlPlN2at6native12_GLOBAL__N_18offset_tEEE10hipError_tPvRmT1_PNSt15iterator_traitsIS12_E10value_typeET2_T3_PNS13_IS18_E10value_typeET4_jRbjT5_S1E_jjP12ihipStream_tbEUljE_ZNSN_ISO_Lb0ESQ_SR_ST_SU_SY_EESZ_S10_S11_S12_S16_S17_S18_S1B_S1C_jS1D_jS1E_S1E_jjS1G_bEUljE0_EEESZ_S10_S11_S18_S1C_S1E_T6_T7_T9_mT8_S1G_bDpT10_ENKUlT_T0_E_clISt17integral_constantIbLb0EES1U_EEDaS1P_S1Q_EUlS1P_E_NS1_11comp_targetILNS1_3genE2ELNS1_11target_archE906ELNS1_3gpuE6ELNS1_3repE0EEENS1_30default_config_static_selectorELNS0_4arch9wavefront6targetE0EEEvS12_.has_dyn_sized_stack, 0
	.set _ZN7rocprim17ROCPRIM_400000_NS6detail17trampoline_kernelINS0_13select_configILj256ELj13ELNS0_17block_load_methodE3ELS4_3ELS4_3ELNS0_20block_scan_algorithmE0ELj4294967295EEENS1_25partition_config_selectorILNS1_17partition_subalgoE4EjNS0_10empty_typeEbEEZZNS1_14partition_implILS8_4ELb0ES6_15HIP_vector_typeIjLj2EENS0_17counting_iteratorIjlEEPS9_SG_NS0_5tupleIJPjSI_NS0_16reverse_iteratorISI_EEEEENSH_IJSG_SG_SG_EEES9_SI_JZNS1_25segmented_radix_sort_implINS0_14default_configELb0EPKsPsPKlPlN2at6native12_GLOBAL__N_18offset_tEEE10hipError_tPvRmT1_PNSt15iterator_traitsIS12_E10value_typeET2_T3_PNS13_IS18_E10value_typeET4_jRbjT5_S1E_jjP12ihipStream_tbEUljE_ZNSN_ISO_Lb0ESQ_SR_ST_SU_SY_EESZ_S10_S11_S12_S16_S17_S18_S1B_S1C_jS1D_jS1E_S1E_jjS1G_bEUljE0_EEESZ_S10_S11_S18_S1C_S1E_T6_T7_T9_mT8_S1G_bDpT10_ENKUlT_T0_E_clISt17integral_constantIbLb0EES1U_EEDaS1P_S1Q_EUlS1P_E_NS1_11comp_targetILNS1_3genE2ELNS1_11target_archE906ELNS1_3gpuE6ELNS1_3repE0EEENS1_30default_config_static_selectorELNS0_4arch9wavefront6targetE0EEEvS12_.has_recursion, 0
	.set _ZN7rocprim17ROCPRIM_400000_NS6detail17trampoline_kernelINS0_13select_configILj256ELj13ELNS0_17block_load_methodE3ELS4_3ELS4_3ELNS0_20block_scan_algorithmE0ELj4294967295EEENS1_25partition_config_selectorILNS1_17partition_subalgoE4EjNS0_10empty_typeEbEEZZNS1_14partition_implILS8_4ELb0ES6_15HIP_vector_typeIjLj2EENS0_17counting_iteratorIjlEEPS9_SG_NS0_5tupleIJPjSI_NS0_16reverse_iteratorISI_EEEEENSH_IJSG_SG_SG_EEES9_SI_JZNS1_25segmented_radix_sort_implINS0_14default_configELb0EPKsPsPKlPlN2at6native12_GLOBAL__N_18offset_tEEE10hipError_tPvRmT1_PNSt15iterator_traitsIS12_E10value_typeET2_T3_PNS13_IS18_E10value_typeET4_jRbjT5_S1E_jjP12ihipStream_tbEUljE_ZNSN_ISO_Lb0ESQ_SR_ST_SU_SY_EESZ_S10_S11_S12_S16_S17_S18_S1B_S1C_jS1D_jS1E_S1E_jjS1G_bEUljE0_EEESZ_S10_S11_S18_S1C_S1E_T6_T7_T9_mT8_S1G_bDpT10_ENKUlT_T0_E_clISt17integral_constantIbLb0EES1U_EEDaS1P_S1Q_EUlS1P_E_NS1_11comp_targetILNS1_3genE2ELNS1_11target_archE906ELNS1_3gpuE6ELNS1_3repE0EEENS1_30default_config_static_selectorELNS0_4arch9wavefront6targetE0EEEvS12_.has_indirect_call, 0
	.section	.AMDGPU.csdata,"",@progbits
; Kernel info:
; codeLenInByte = 0
; TotalNumSgprs: 0
; NumVgprs: 0
; ScratchSize: 0
; MemoryBound: 0
; FloatMode: 240
; IeeeMode: 1
; LDSByteSize: 0 bytes/workgroup (compile time only)
; SGPRBlocks: 0
; VGPRBlocks: 0
; NumSGPRsForWavesPerEU: 1
; NumVGPRsForWavesPerEU: 1
; NamedBarCnt: 0
; Occupancy: 16
; WaveLimiterHint : 0
; COMPUTE_PGM_RSRC2:SCRATCH_EN: 0
; COMPUTE_PGM_RSRC2:USER_SGPR: 2
; COMPUTE_PGM_RSRC2:TRAP_HANDLER: 0
; COMPUTE_PGM_RSRC2:TGID_X_EN: 1
; COMPUTE_PGM_RSRC2:TGID_Y_EN: 0
; COMPUTE_PGM_RSRC2:TGID_Z_EN: 0
; COMPUTE_PGM_RSRC2:TIDIG_COMP_CNT: 0
	.section	.text._ZN7rocprim17ROCPRIM_400000_NS6detail17trampoline_kernelINS0_13select_configILj256ELj13ELNS0_17block_load_methodE3ELS4_3ELS4_3ELNS0_20block_scan_algorithmE0ELj4294967295EEENS1_25partition_config_selectorILNS1_17partition_subalgoE4EjNS0_10empty_typeEbEEZZNS1_14partition_implILS8_4ELb0ES6_15HIP_vector_typeIjLj2EENS0_17counting_iteratorIjlEEPS9_SG_NS0_5tupleIJPjSI_NS0_16reverse_iteratorISI_EEEEENSH_IJSG_SG_SG_EEES9_SI_JZNS1_25segmented_radix_sort_implINS0_14default_configELb0EPKsPsPKlPlN2at6native12_GLOBAL__N_18offset_tEEE10hipError_tPvRmT1_PNSt15iterator_traitsIS12_E10value_typeET2_T3_PNS13_IS18_E10value_typeET4_jRbjT5_S1E_jjP12ihipStream_tbEUljE_ZNSN_ISO_Lb0ESQ_SR_ST_SU_SY_EESZ_S10_S11_S12_S16_S17_S18_S1B_S1C_jS1D_jS1E_S1E_jjS1G_bEUljE0_EEESZ_S10_S11_S18_S1C_S1E_T6_T7_T9_mT8_S1G_bDpT10_ENKUlT_T0_E_clISt17integral_constantIbLb0EES1U_EEDaS1P_S1Q_EUlS1P_E_NS1_11comp_targetILNS1_3genE10ELNS1_11target_archE1200ELNS1_3gpuE4ELNS1_3repE0EEENS1_30default_config_static_selectorELNS0_4arch9wavefront6targetE0EEEvS12_,"axG",@progbits,_ZN7rocprim17ROCPRIM_400000_NS6detail17trampoline_kernelINS0_13select_configILj256ELj13ELNS0_17block_load_methodE3ELS4_3ELS4_3ELNS0_20block_scan_algorithmE0ELj4294967295EEENS1_25partition_config_selectorILNS1_17partition_subalgoE4EjNS0_10empty_typeEbEEZZNS1_14partition_implILS8_4ELb0ES6_15HIP_vector_typeIjLj2EENS0_17counting_iteratorIjlEEPS9_SG_NS0_5tupleIJPjSI_NS0_16reverse_iteratorISI_EEEEENSH_IJSG_SG_SG_EEES9_SI_JZNS1_25segmented_radix_sort_implINS0_14default_configELb0EPKsPsPKlPlN2at6native12_GLOBAL__N_18offset_tEEE10hipError_tPvRmT1_PNSt15iterator_traitsIS12_E10value_typeET2_T3_PNS13_IS18_E10value_typeET4_jRbjT5_S1E_jjP12ihipStream_tbEUljE_ZNSN_ISO_Lb0ESQ_SR_ST_SU_SY_EESZ_S10_S11_S12_S16_S17_S18_S1B_S1C_jS1D_jS1E_S1E_jjS1G_bEUljE0_EEESZ_S10_S11_S18_S1C_S1E_T6_T7_T9_mT8_S1G_bDpT10_ENKUlT_T0_E_clISt17integral_constantIbLb0EES1U_EEDaS1P_S1Q_EUlS1P_E_NS1_11comp_targetILNS1_3genE10ELNS1_11target_archE1200ELNS1_3gpuE4ELNS1_3repE0EEENS1_30default_config_static_selectorELNS0_4arch9wavefront6targetE0EEEvS12_,comdat
	.globl	_ZN7rocprim17ROCPRIM_400000_NS6detail17trampoline_kernelINS0_13select_configILj256ELj13ELNS0_17block_load_methodE3ELS4_3ELS4_3ELNS0_20block_scan_algorithmE0ELj4294967295EEENS1_25partition_config_selectorILNS1_17partition_subalgoE4EjNS0_10empty_typeEbEEZZNS1_14partition_implILS8_4ELb0ES6_15HIP_vector_typeIjLj2EENS0_17counting_iteratorIjlEEPS9_SG_NS0_5tupleIJPjSI_NS0_16reverse_iteratorISI_EEEEENSH_IJSG_SG_SG_EEES9_SI_JZNS1_25segmented_radix_sort_implINS0_14default_configELb0EPKsPsPKlPlN2at6native12_GLOBAL__N_18offset_tEEE10hipError_tPvRmT1_PNSt15iterator_traitsIS12_E10value_typeET2_T3_PNS13_IS18_E10value_typeET4_jRbjT5_S1E_jjP12ihipStream_tbEUljE_ZNSN_ISO_Lb0ESQ_SR_ST_SU_SY_EESZ_S10_S11_S12_S16_S17_S18_S1B_S1C_jS1D_jS1E_S1E_jjS1G_bEUljE0_EEESZ_S10_S11_S18_S1C_S1E_T6_T7_T9_mT8_S1G_bDpT10_ENKUlT_T0_E_clISt17integral_constantIbLb0EES1U_EEDaS1P_S1Q_EUlS1P_E_NS1_11comp_targetILNS1_3genE10ELNS1_11target_archE1200ELNS1_3gpuE4ELNS1_3repE0EEENS1_30default_config_static_selectorELNS0_4arch9wavefront6targetE0EEEvS12_ ; -- Begin function _ZN7rocprim17ROCPRIM_400000_NS6detail17trampoline_kernelINS0_13select_configILj256ELj13ELNS0_17block_load_methodE3ELS4_3ELS4_3ELNS0_20block_scan_algorithmE0ELj4294967295EEENS1_25partition_config_selectorILNS1_17partition_subalgoE4EjNS0_10empty_typeEbEEZZNS1_14partition_implILS8_4ELb0ES6_15HIP_vector_typeIjLj2EENS0_17counting_iteratorIjlEEPS9_SG_NS0_5tupleIJPjSI_NS0_16reverse_iteratorISI_EEEEENSH_IJSG_SG_SG_EEES9_SI_JZNS1_25segmented_radix_sort_implINS0_14default_configELb0EPKsPsPKlPlN2at6native12_GLOBAL__N_18offset_tEEE10hipError_tPvRmT1_PNSt15iterator_traitsIS12_E10value_typeET2_T3_PNS13_IS18_E10value_typeET4_jRbjT5_S1E_jjP12ihipStream_tbEUljE_ZNSN_ISO_Lb0ESQ_SR_ST_SU_SY_EESZ_S10_S11_S12_S16_S17_S18_S1B_S1C_jS1D_jS1E_S1E_jjS1G_bEUljE0_EEESZ_S10_S11_S18_S1C_S1E_T6_T7_T9_mT8_S1G_bDpT10_ENKUlT_T0_E_clISt17integral_constantIbLb0EES1U_EEDaS1P_S1Q_EUlS1P_E_NS1_11comp_targetILNS1_3genE10ELNS1_11target_archE1200ELNS1_3gpuE4ELNS1_3repE0EEENS1_30default_config_static_selectorELNS0_4arch9wavefront6targetE0EEEvS12_
	.p2align	8
	.type	_ZN7rocprim17ROCPRIM_400000_NS6detail17trampoline_kernelINS0_13select_configILj256ELj13ELNS0_17block_load_methodE3ELS4_3ELS4_3ELNS0_20block_scan_algorithmE0ELj4294967295EEENS1_25partition_config_selectorILNS1_17partition_subalgoE4EjNS0_10empty_typeEbEEZZNS1_14partition_implILS8_4ELb0ES6_15HIP_vector_typeIjLj2EENS0_17counting_iteratorIjlEEPS9_SG_NS0_5tupleIJPjSI_NS0_16reverse_iteratorISI_EEEEENSH_IJSG_SG_SG_EEES9_SI_JZNS1_25segmented_radix_sort_implINS0_14default_configELb0EPKsPsPKlPlN2at6native12_GLOBAL__N_18offset_tEEE10hipError_tPvRmT1_PNSt15iterator_traitsIS12_E10value_typeET2_T3_PNS13_IS18_E10value_typeET4_jRbjT5_S1E_jjP12ihipStream_tbEUljE_ZNSN_ISO_Lb0ESQ_SR_ST_SU_SY_EESZ_S10_S11_S12_S16_S17_S18_S1B_S1C_jS1D_jS1E_S1E_jjS1G_bEUljE0_EEESZ_S10_S11_S18_S1C_S1E_T6_T7_T9_mT8_S1G_bDpT10_ENKUlT_T0_E_clISt17integral_constantIbLb0EES1U_EEDaS1P_S1Q_EUlS1P_E_NS1_11comp_targetILNS1_3genE10ELNS1_11target_archE1200ELNS1_3gpuE4ELNS1_3repE0EEENS1_30default_config_static_selectorELNS0_4arch9wavefront6targetE0EEEvS12_,@function
_ZN7rocprim17ROCPRIM_400000_NS6detail17trampoline_kernelINS0_13select_configILj256ELj13ELNS0_17block_load_methodE3ELS4_3ELS4_3ELNS0_20block_scan_algorithmE0ELj4294967295EEENS1_25partition_config_selectorILNS1_17partition_subalgoE4EjNS0_10empty_typeEbEEZZNS1_14partition_implILS8_4ELb0ES6_15HIP_vector_typeIjLj2EENS0_17counting_iteratorIjlEEPS9_SG_NS0_5tupleIJPjSI_NS0_16reverse_iteratorISI_EEEEENSH_IJSG_SG_SG_EEES9_SI_JZNS1_25segmented_radix_sort_implINS0_14default_configELb0EPKsPsPKlPlN2at6native12_GLOBAL__N_18offset_tEEE10hipError_tPvRmT1_PNSt15iterator_traitsIS12_E10value_typeET2_T3_PNS13_IS18_E10value_typeET4_jRbjT5_S1E_jjP12ihipStream_tbEUljE_ZNSN_ISO_Lb0ESQ_SR_ST_SU_SY_EESZ_S10_S11_S12_S16_S17_S18_S1B_S1C_jS1D_jS1E_S1E_jjS1G_bEUljE0_EEESZ_S10_S11_S18_S1C_S1E_T6_T7_T9_mT8_S1G_bDpT10_ENKUlT_T0_E_clISt17integral_constantIbLb0EES1U_EEDaS1P_S1Q_EUlS1P_E_NS1_11comp_targetILNS1_3genE10ELNS1_11target_archE1200ELNS1_3gpuE4ELNS1_3repE0EEENS1_30default_config_static_selectorELNS0_4arch9wavefront6targetE0EEEvS12_: ; @_ZN7rocprim17ROCPRIM_400000_NS6detail17trampoline_kernelINS0_13select_configILj256ELj13ELNS0_17block_load_methodE3ELS4_3ELS4_3ELNS0_20block_scan_algorithmE0ELj4294967295EEENS1_25partition_config_selectorILNS1_17partition_subalgoE4EjNS0_10empty_typeEbEEZZNS1_14partition_implILS8_4ELb0ES6_15HIP_vector_typeIjLj2EENS0_17counting_iteratorIjlEEPS9_SG_NS0_5tupleIJPjSI_NS0_16reverse_iteratorISI_EEEEENSH_IJSG_SG_SG_EEES9_SI_JZNS1_25segmented_radix_sort_implINS0_14default_configELb0EPKsPsPKlPlN2at6native12_GLOBAL__N_18offset_tEEE10hipError_tPvRmT1_PNSt15iterator_traitsIS12_E10value_typeET2_T3_PNS13_IS18_E10value_typeET4_jRbjT5_S1E_jjP12ihipStream_tbEUljE_ZNSN_ISO_Lb0ESQ_SR_ST_SU_SY_EESZ_S10_S11_S12_S16_S17_S18_S1B_S1C_jS1D_jS1E_S1E_jjS1G_bEUljE0_EEESZ_S10_S11_S18_S1C_S1E_T6_T7_T9_mT8_S1G_bDpT10_ENKUlT_T0_E_clISt17integral_constantIbLb0EES1U_EEDaS1P_S1Q_EUlS1P_E_NS1_11comp_targetILNS1_3genE10ELNS1_11target_archE1200ELNS1_3gpuE4ELNS1_3repE0EEENS1_30default_config_static_selectorELNS0_4arch9wavefront6targetE0EEEvS12_
; %bb.0:
	.section	.rodata,"a",@progbits
	.p2align	6, 0x0
	.amdhsa_kernel _ZN7rocprim17ROCPRIM_400000_NS6detail17trampoline_kernelINS0_13select_configILj256ELj13ELNS0_17block_load_methodE3ELS4_3ELS4_3ELNS0_20block_scan_algorithmE0ELj4294967295EEENS1_25partition_config_selectorILNS1_17partition_subalgoE4EjNS0_10empty_typeEbEEZZNS1_14partition_implILS8_4ELb0ES6_15HIP_vector_typeIjLj2EENS0_17counting_iteratorIjlEEPS9_SG_NS0_5tupleIJPjSI_NS0_16reverse_iteratorISI_EEEEENSH_IJSG_SG_SG_EEES9_SI_JZNS1_25segmented_radix_sort_implINS0_14default_configELb0EPKsPsPKlPlN2at6native12_GLOBAL__N_18offset_tEEE10hipError_tPvRmT1_PNSt15iterator_traitsIS12_E10value_typeET2_T3_PNS13_IS18_E10value_typeET4_jRbjT5_S1E_jjP12ihipStream_tbEUljE_ZNSN_ISO_Lb0ESQ_SR_ST_SU_SY_EESZ_S10_S11_S12_S16_S17_S18_S1B_S1C_jS1D_jS1E_S1E_jjS1G_bEUljE0_EEESZ_S10_S11_S18_S1C_S1E_T6_T7_T9_mT8_S1G_bDpT10_ENKUlT_T0_E_clISt17integral_constantIbLb0EES1U_EEDaS1P_S1Q_EUlS1P_E_NS1_11comp_targetILNS1_3genE10ELNS1_11target_archE1200ELNS1_3gpuE4ELNS1_3repE0EEENS1_30default_config_static_selectorELNS0_4arch9wavefront6targetE0EEEvS12_
		.amdhsa_group_segment_fixed_size 0
		.amdhsa_private_segment_fixed_size 0
		.amdhsa_kernarg_size 176
		.amdhsa_user_sgpr_count 2
		.amdhsa_user_sgpr_dispatch_ptr 0
		.amdhsa_user_sgpr_queue_ptr 0
		.amdhsa_user_sgpr_kernarg_segment_ptr 1
		.amdhsa_user_sgpr_dispatch_id 0
		.amdhsa_user_sgpr_kernarg_preload_length 0
		.amdhsa_user_sgpr_kernarg_preload_offset 0
		.amdhsa_user_sgpr_private_segment_size 0
		.amdhsa_wavefront_size32 1
		.amdhsa_uses_dynamic_stack 0
		.amdhsa_enable_private_segment 0
		.amdhsa_system_sgpr_workgroup_id_x 1
		.amdhsa_system_sgpr_workgroup_id_y 0
		.amdhsa_system_sgpr_workgroup_id_z 0
		.amdhsa_system_sgpr_workgroup_info 0
		.amdhsa_system_vgpr_workitem_id 0
		.amdhsa_next_free_vgpr 1
		.amdhsa_next_free_sgpr 1
		.amdhsa_named_barrier_count 0
		.amdhsa_reserve_vcc 0
		.amdhsa_float_round_mode_32 0
		.amdhsa_float_round_mode_16_64 0
		.amdhsa_float_denorm_mode_32 3
		.amdhsa_float_denorm_mode_16_64 3
		.amdhsa_fp16_overflow 0
		.amdhsa_memory_ordered 1
		.amdhsa_forward_progress 1
		.amdhsa_inst_pref_size 0
		.amdhsa_round_robin_scheduling 0
		.amdhsa_exception_fp_ieee_invalid_op 0
		.amdhsa_exception_fp_denorm_src 0
		.amdhsa_exception_fp_ieee_div_zero 0
		.amdhsa_exception_fp_ieee_overflow 0
		.amdhsa_exception_fp_ieee_underflow 0
		.amdhsa_exception_fp_ieee_inexact 0
		.amdhsa_exception_int_div_zero 0
	.end_amdhsa_kernel
	.section	.text._ZN7rocprim17ROCPRIM_400000_NS6detail17trampoline_kernelINS0_13select_configILj256ELj13ELNS0_17block_load_methodE3ELS4_3ELS4_3ELNS0_20block_scan_algorithmE0ELj4294967295EEENS1_25partition_config_selectorILNS1_17partition_subalgoE4EjNS0_10empty_typeEbEEZZNS1_14partition_implILS8_4ELb0ES6_15HIP_vector_typeIjLj2EENS0_17counting_iteratorIjlEEPS9_SG_NS0_5tupleIJPjSI_NS0_16reverse_iteratorISI_EEEEENSH_IJSG_SG_SG_EEES9_SI_JZNS1_25segmented_radix_sort_implINS0_14default_configELb0EPKsPsPKlPlN2at6native12_GLOBAL__N_18offset_tEEE10hipError_tPvRmT1_PNSt15iterator_traitsIS12_E10value_typeET2_T3_PNS13_IS18_E10value_typeET4_jRbjT5_S1E_jjP12ihipStream_tbEUljE_ZNSN_ISO_Lb0ESQ_SR_ST_SU_SY_EESZ_S10_S11_S12_S16_S17_S18_S1B_S1C_jS1D_jS1E_S1E_jjS1G_bEUljE0_EEESZ_S10_S11_S18_S1C_S1E_T6_T7_T9_mT8_S1G_bDpT10_ENKUlT_T0_E_clISt17integral_constantIbLb0EES1U_EEDaS1P_S1Q_EUlS1P_E_NS1_11comp_targetILNS1_3genE10ELNS1_11target_archE1200ELNS1_3gpuE4ELNS1_3repE0EEENS1_30default_config_static_selectorELNS0_4arch9wavefront6targetE0EEEvS12_,"axG",@progbits,_ZN7rocprim17ROCPRIM_400000_NS6detail17trampoline_kernelINS0_13select_configILj256ELj13ELNS0_17block_load_methodE3ELS4_3ELS4_3ELNS0_20block_scan_algorithmE0ELj4294967295EEENS1_25partition_config_selectorILNS1_17partition_subalgoE4EjNS0_10empty_typeEbEEZZNS1_14partition_implILS8_4ELb0ES6_15HIP_vector_typeIjLj2EENS0_17counting_iteratorIjlEEPS9_SG_NS0_5tupleIJPjSI_NS0_16reverse_iteratorISI_EEEEENSH_IJSG_SG_SG_EEES9_SI_JZNS1_25segmented_radix_sort_implINS0_14default_configELb0EPKsPsPKlPlN2at6native12_GLOBAL__N_18offset_tEEE10hipError_tPvRmT1_PNSt15iterator_traitsIS12_E10value_typeET2_T3_PNS13_IS18_E10value_typeET4_jRbjT5_S1E_jjP12ihipStream_tbEUljE_ZNSN_ISO_Lb0ESQ_SR_ST_SU_SY_EESZ_S10_S11_S12_S16_S17_S18_S1B_S1C_jS1D_jS1E_S1E_jjS1G_bEUljE0_EEESZ_S10_S11_S18_S1C_S1E_T6_T7_T9_mT8_S1G_bDpT10_ENKUlT_T0_E_clISt17integral_constantIbLb0EES1U_EEDaS1P_S1Q_EUlS1P_E_NS1_11comp_targetILNS1_3genE10ELNS1_11target_archE1200ELNS1_3gpuE4ELNS1_3repE0EEENS1_30default_config_static_selectorELNS0_4arch9wavefront6targetE0EEEvS12_,comdat
.Lfunc_end950:
	.size	_ZN7rocprim17ROCPRIM_400000_NS6detail17trampoline_kernelINS0_13select_configILj256ELj13ELNS0_17block_load_methodE3ELS4_3ELS4_3ELNS0_20block_scan_algorithmE0ELj4294967295EEENS1_25partition_config_selectorILNS1_17partition_subalgoE4EjNS0_10empty_typeEbEEZZNS1_14partition_implILS8_4ELb0ES6_15HIP_vector_typeIjLj2EENS0_17counting_iteratorIjlEEPS9_SG_NS0_5tupleIJPjSI_NS0_16reverse_iteratorISI_EEEEENSH_IJSG_SG_SG_EEES9_SI_JZNS1_25segmented_radix_sort_implINS0_14default_configELb0EPKsPsPKlPlN2at6native12_GLOBAL__N_18offset_tEEE10hipError_tPvRmT1_PNSt15iterator_traitsIS12_E10value_typeET2_T3_PNS13_IS18_E10value_typeET4_jRbjT5_S1E_jjP12ihipStream_tbEUljE_ZNSN_ISO_Lb0ESQ_SR_ST_SU_SY_EESZ_S10_S11_S12_S16_S17_S18_S1B_S1C_jS1D_jS1E_S1E_jjS1G_bEUljE0_EEESZ_S10_S11_S18_S1C_S1E_T6_T7_T9_mT8_S1G_bDpT10_ENKUlT_T0_E_clISt17integral_constantIbLb0EES1U_EEDaS1P_S1Q_EUlS1P_E_NS1_11comp_targetILNS1_3genE10ELNS1_11target_archE1200ELNS1_3gpuE4ELNS1_3repE0EEENS1_30default_config_static_selectorELNS0_4arch9wavefront6targetE0EEEvS12_, .Lfunc_end950-_ZN7rocprim17ROCPRIM_400000_NS6detail17trampoline_kernelINS0_13select_configILj256ELj13ELNS0_17block_load_methodE3ELS4_3ELS4_3ELNS0_20block_scan_algorithmE0ELj4294967295EEENS1_25partition_config_selectorILNS1_17partition_subalgoE4EjNS0_10empty_typeEbEEZZNS1_14partition_implILS8_4ELb0ES6_15HIP_vector_typeIjLj2EENS0_17counting_iteratorIjlEEPS9_SG_NS0_5tupleIJPjSI_NS0_16reverse_iteratorISI_EEEEENSH_IJSG_SG_SG_EEES9_SI_JZNS1_25segmented_radix_sort_implINS0_14default_configELb0EPKsPsPKlPlN2at6native12_GLOBAL__N_18offset_tEEE10hipError_tPvRmT1_PNSt15iterator_traitsIS12_E10value_typeET2_T3_PNS13_IS18_E10value_typeET4_jRbjT5_S1E_jjP12ihipStream_tbEUljE_ZNSN_ISO_Lb0ESQ_SR_ST_SU_SY_EESZ_S10_S11_S12_S16_S17_S18_S1B_S1C_jS1D_jS1E_S1E_jjS1G_bEUljE0_EEESZ_S10_S11_S18_S1C_S1E_T6_T7_T9_mT8_S1G_bDpT10_ENKUlT_T0_E_clISt17integral_constantIbLb0EES1U_EEDaS1P_S1Q_EUlS1P_E_NS1_11comp_targetILNS1_3genE10ELNS1_11target_archE1200ELNS1_3gpuE4ELNS1_3repE0EEENS1_30default_config_static_selectorELNS0_4arch9wavefront6targetE0EEEvS12_
                                        ; -- End function
	.set _ZN7rocprim17ROCPRIM_400000_NS6detail17trampoline_kernelINS0_13select_configILj256ELj13ELNS0_17block_load_methodE3ELS4_3ELS4_3ELNS0_20block_scan_algorithmE0ELj4294967295EEENS1_25partition_config_selectorILNS1_17partition_subalgoE4EjNS0_10empty_typeEbEEZZNS1_14partition_implILS8_4ELb0ES6_15HIP_vector_typeIjLj2EENS0_17counting_iteratorIjlEEPS9_SG_NS0_5tupleIJPjSI_NS0_16reverse_iteratorISI_EEEEENSH_IJSG_SG_SG_EEES9_SI_JZNS1_25segmented_radix_sort_implINS0_14default_configELb0EPKsPsPKlPlN2at6native12_GLOBAL__N_18offset_tEEE10hipError_tPvRmT1_PNSt15iterator_traitsIS12_E10value_typeET2_T3_PNS13_IS18_E10value_typeET4_jRbjT5_S1E_jjP12ihipStream_tbEUljE_ZNSN_ISO_Lb0ESQ_SR_ST_SU_SY_EESZ_S10_S11_S12_S16_S17_S18_S1B_S1C_jS1D_jS1E_S1E_jjS1G_bEUljE0_EEESZ_S10_S11_S18_S1C_S1E_T6_T7_T9_mT8_S1G_bDpT10_ENKUlT_T0_E_clISt17integral_constantIbLb0EES1U_EEDaS1P_S1Q_EUlS1P_E_NS1_11comp_targetILNS1_3genE10ELNS1_11target_archE1200ELNS1_3gpuE4ELNS1_3repE0EEENS1_30default_config_static_selectorELNS0_4arch9wavefront6targetE0EEEvS12_.num_vgpr, 0
	.set _ZN7rocprim17ROCPRIM_400000_NS6detail17trampoline_kernelINS0_13select_configILj256ELj13ELNS0_17block_load_methodE3ELS4_3ELS4_3ELNS0_20block_scan_algorithmE0ELj4294967295EEENS1_25partition_config_selectorILNS1_17partition_subalgoE4EjNS0_10empty_typeEbEEZZNS1_14partition_implILS8_4ELb0ES6_15HIP_vector_typeIjLj2EENS0_17counting_iteratorIjlEEPS9_SG_NS0_5tupleIJPjSI_NS0_16reverse_iteratorISI_EEEEENSH_IJSG_SG_SG_EEES9_SI_JZNS1_25segmented_radix_sort_implINS0_14default_configELb0EPKsPsPKlPlN2at6native12_GLOBAL__N_18offset_tEEE10hipError_tPvRmT1_PNSt15iterator_traitsIS12_E10value_typeET2_T3_PNS13_IS18_E10value_typeET4_jRbjT5_S1E_jjP12ihipStream_tbEUljE_ZNSN_ISO_Lb0ESQ_SR_ST_SU_SY_EESZ_S10_S11_S12_S16_S17_S18_S1B_S1C_jS1D_jS1E_S1E_jjS1G_bEUljE0_EEESZ_S10_S11_S18_S1C_S1E_T6_T7_T9_mT8_S1G_bDpT10_ENKUlT_T0_E_clISt17integral_constantIbLb0EES1U_EEDaS1P_S1Q_EUlS1P_E_NS1_11comp_targetILNS1_3genE10ELNS1_11target_archE1200ELNS1_3gpuE4ELNS1_3repE0EEENS1_30default_config_static_selectorELNS0_4arch9wavefront6targetE0EEEvS12_.num_agpr, 0
	.set _ZN7rocprim17ROCPRIM_400000_NS6detail17trampoline_kernelINS0_13select_configILj256ELj13ELNS0_17block_load_methodE3ELS4_3ELS4_3ELNS0_20block_scan_algorithmE0ELj4294967295EEENS1_25partition_config_selectorILNS1_17partition_subalgoE4EjNS0_10empty_typeEbEEZZNS1_14partition_implILS8_4ELb0ES6_15HIP_vector_typeIjLj2EENS0_17counting_iteratorIjlEEPS9_SG_NS0_5tupleIJPjSI_NS0_16reverse_iteratorISI_EEEEENSH_IJSG_SG_SG_EEES9_SI_JZNS1_25segmented_radix_sort_implINS0_14default_configELb0EPKsPsPKlPlN2at6native12_GLOBAL__N_18offset_tEEE10hipError_tPvRmT1_PNSt15iterator_traitsIS12_E10value_typeET2_T3_PNS13_IS18_E10value_typeET4_jRbjT5_S1E_jjP12ihipStream_tbEUljE_ZNSN_ISO_Lb0ESQ_SR_ST_SU_SY_EESZ_S10_S11_S12_S16_S17_S18_S1B_S1C_jS1D_jS1E_S1E_jjS1G_bEUljE0_EEESZ_S10_S11_S18_S1C_S1E_T6_T7_T9_mT8_S1G_bDpT10_ENKUlT_T0_E_clISt17integral_constantIbLb0EES1U_EEDaS1P_S1Q_EUlS1P_E_NS1_11comp_targetILNS1_3genE10ELNS1_11target_archE1200ELNS1_3gpuE4ELNS1_3repE0EEENS1_30default_config_static_selectorELNS0_4arch9wavefront6targetE0EEEvS12_.numbered_sgpr, 0
	.set _ZN7rocprim17ROCPRIM_400000_NS6detail17trampoline_kernelINS0_13select_configILj256ELj13ELNS0_17block_load_methodE3ELS4_3ELS4_3ELNS0_20block_scan_algorithmE0ELj4294967295EEENS1_25partition_config_selectorILNS1_17partition_subalgoE4EjNS0_10empty_typeEbEEZZNS1_14partition_implILS8_4ELb0ES6_15HIP_vector_typeIjLj2EENS0_17counting_iteratorIjlEEPS9_SG_NS0_5tupleIJPjSI_NS0_16reverse_iteratorISI_EEEEENSH_IJSG_SG_SG_EEES9_SI_JZNS1_25segmented_radix_sort_implINS0_14default_configELb0EPKsPsPKlPlN2at6native12_GLOBAL__N_18offset_tEEE10hipError_tPvRmT1_PNSt15iterator_traitsIS12_E10value_typeET2_T3_PNS13_IS18_E10value_typeET4_jRbjT5_S1E_jjP12ihipStream_tbEUljE_ZNSN_ISO_Lb0ESQ_SR_ST_SU_SY_EESZ_S10_S11_S12_S16_S17_S18_S1B_S1C_jS1D_jS1E_S1E_jjS1G_bEUljE0_EEESZ_S10_S11_S18_S1C_S1E_T6_T7_T9_mT8_S1G_bDpT10_ENKUlT_T0_E_clISt17integral_constantIbLb0EES1U_EEDaS1P_S1Q_EUlS1P_E_NS1_11comp_targetILNS1_3genE10ELNS1_11target_archE1200ELNS1_3gpuE4ELNS1_3repE0EEENS1_30default_config_static_selectorELNS0_4arch9wavefront6targetE0EEEvS12_.num_named_barrier, 0
	.set _ZN7rocprim17ROCPRIM_400000_NS6detail17trampoline_kernelINS0_13select_configILj256ELj13ELNS0_17block_load_methodE3ELS4_3ELS4_3ELNS0_20block_scan_algorithmE0ELj4294967295EEENS1_25partition_config_selectorILNS1_17partition_subalgoE4EjNS0_10empty_typeEbEEZZNS1_14partition_implILS8_4ELb0ES6_15HIP_vector_typeIjLj2EENS0_17counting_iteratorIjlEEPS9_SG_NS0_5tupleIJPjSI_NS0_16reverse_iteratorISI_EEEEENSH_IJSG_SG_SG_EEES9_SI_JZNS1_25segmented_radix_sort_implINS0_14default_configELb0EPKsPsPKlPlN2at6native12_GLOBAL__N_18offset_tEEE10hipError_tPvRmT1_PNSt15iterator_traitsIS12_E10value_typeET2_T3_PNS13_IS18_E10value_typeET4_jRbjT5_S1E_jjP12ihipStream_tbEUljE_ZNSN_ISO_Lb0ESQ_SR_ST_SU_SY_EESZ_S10_S11_S12_S16_S17_S18_S1B_S1C_jS1D_jS1E_S1E_jjS1G_bEUljE0_EEESZ_S10_S11_S18_S1C_S1E_T6_T7_T9_mT8_S1G_bDpT10_ENKUlT_T0_E_clISt17integral_constantIbLb0EES1U_EEDaS1P_S1Q_EUlS1P_E_NS1_11comp_targetILNS1_3genE10ELNS1_11target_archE1200ELNS1_3gpuE4ELNS1_3repE0EEENS1_30default_config_static_selectorELNS0_4arch9wavefront6targetE0EEEvS12_.private_seg_size, 0
	.set _ZN7rocprim17ROCPRIM_400000_NS6detail17trampoline_kernelINS0_13select_configILj256ELj13ELNS0_17block_load_methodE3ELS4_3ELS4_3ELNS0_20block_scan_algorithmE0ELj4294967295EEENS1_25partition_config_selectorILNS1_17partition_subalgoE4EjNS0_10empty_typeEbEEZZNS1_14partition_implILS8_4ELb0ES6_15HIP_vector_typeIjLj2EENS0_17counting_iteratorIjlEEPS9_SG_NS0_5tupleIJPjSI_NS0_16reverse_iteratorISI_EEEEENSH_IJSG_SG_SG_EEES9_SI_JZNS1_25segmented_radix_sort_implINS0_14default_configELb0EPKsPsPKlPlN2at6native12_GLOBAL__N_18offset_tEEE10hipError_tPvRmT1_PNSt15iterator_traitsIS12_E10value_typeET2_T3_PNS13_IS18_E10value_typeET4_jRbjT5_S1E_jjP12ihipStream_tbEUljE_ZNSN_ISO_Lb0ESQ_SR_ST_SU_SY_EESZ_S10_S11_S12_S16_S17_S18_S1B_S1C_jS1D_jS1E_S1E_jjS1G_bEUljE0_EEESZ_S10_S11_S18_S1C_S1E_T6_T7_T9_mT8_S1G_bDpT10_ENKUlT_T0_E_clISt17integral_constantIbLb0EES1U_EEDaS1P_S1Q_EUlS1P_E_NS1_11comp_targetILNS1_3genE10ELNS1_11target_archE1200ELNS1_3gpuE4ELNS1_3repE0EEENS1_30default_config_static_selectorELNS0_4arch9wavefront6targetE0EEEvS12_.uses_vcc, 0
	.set _ZN7rocprim17ROCPRIM_400000_NS6detail17trampoline_kernelINS0_13select_configILj256ELj13ELNS0_17block_load_methodE3ELS4_3ELS4_3ELNS0_20block_scan_algorithmE0ELj4294967295EEENS1_25partition_config_selectorILNS1_17partition_subalgoE4EjNS0_10empty_typeEbEEZZNS1_14partition_implILS8_4ELb0ES6_15HIP_vector_typeIjLj2EENS0_17counting_iteratorIjlEEPS9_SG_NS0_5tupleIJPjSI_NS0_16reverse_iteratorISI_EEEEENSH_IJSG_SG_SG_EEES9_SI_JZNS1_25segmented_radix_sort_implINS0_14default_configELb0EPKsPsPKlPlN2at6native12_GLOBAL__N_18offset_tEEE10hipError_tPvRmT1_PNSt15iterator_traitsIS12_E10value_typeET2_T3_PNS13_IS18_E10value_typeET4_jRbjT5_S1E_jjP12ihipStream_tbEUljE_ZNSN_ISO_Lb0ESQ_SR_ST_SU_SY_EESZ_S10_S11_S12_S16_S17_S18_S1B_S1C_jS1D_jS1E_S1E_jjS1G_bEUljE0_EEESZ_S10_S11_S18_S1C_S1E_T6_T7_T9_mT8_S1G_bDpT10_ENKUlT_T0_E_clISt17integral_constantIbLb0EES1U_EEDaS1P_S1Q_EUlS1P_E_NS1_11comp_targetILNS1_3genE10ELNS1_11target_archE1200ELNS1_3gpuE4ELNS1_3repE0EEENS1_30default_config_static_selectorELNS0_4arch9wavefront6targetE0EEEvS12_.uses_flat_scratch, 0
	.set _ZN7rocprim17ROCPRIM_400000_NS6detail17trampoline_kernelINS0_13select_configILj256ELj13ELNS0_17block_load_methodE3ELS4_3ELS4_3ELNS0_20block_scan_algorithmE0ELj4294967295EEENS1_25partition_config_selectorILNS1_17partition_subalgoE4EjNS0_10empty_typeEbEEZZNS1_14partition_implILS8_4ELb0ES6_15HIP_vector_typeIjLj2EENS0_17counting_iteratorIjlEEPS9_SG_NS0_5tupleIJPjSI_NS0_16reverse_iteratorISI_EEEEENSH_IJSG_SG_SG_EEES9_SI_JZNS1_25segmented_radix_sort_implINS0_14default_configELb0EPKsPsPKlPlN2at6native12_GLOBAL__N_18offset_tEEE10hipError_tPvRmT1_PNSt15iterator_traitsIS12_E10value_typeET2_T3_PNS13_IS18_E10value_typeET4_jRbjT5_S1E_jjP12ihipStream_tbEUljE_ZNSN_ISO_Lb0ESQ_SR_ST_SU_SY_EESZ_S10_S11_S12_S16_S17_S18_S1B_S1C_jS1D_jS1E_S1E_jjS1G_bEUljE0_EEESZ_S10_S11_S18_S1C_S1E_T6_T7_T9_mT8_S1G_bDpT10_ENKUlT_T0_E_clISt17integral_constantIbLb0EES1U_EEDaS1P_S1Q_EUlS1P_E_NS1_11comp_targetILNS1_3genE10ELNS1_11target_archE1200ELNS1_3gpuE4ELNS1_3repE0EEENS1_30default_config_static_selectorELNS0_4arch9wavefront6targetE0EEEvS12_.has_dyn_sized_stack, 0
	.set _ZN7rocprim17ROCPRIM_400000_NS6detail17trampoline_kernelINS0_13select_configILj256ELj13ELNS0_17block_load_methodE3ELS4_3ELS4_3ELNS0_20block_scan_algorithmE0ELj4294967295EEENS1_25partition_config_selectorILNS1_17partition_subalgoE4EjNS0_10empty_typeEbEEZZNS1_14partition_implILS8_4ELb0ES6_15HIP_vector_typeIjLj2EENS0_17counting_iteratorIjlEEPS9_SG_NS0_5tupleIJPjSI_NS0_16reverse_iteratorISI_EEEEENSH_IJSG_SG_SG_EEES9_SI_JZNS1_25segmented_radix_sort_implINS0_14default_configELb0EPKsPsPKlPlN2at6native12_GLOBAL__N_18offset_tEEE10hipError_tPvRmT1_PNSt15iterator_traitsIS12_E10value_typeET2_T3_PNS13_IS18_E10value_typeET4_jRbjT5_S1E_jjP12ihipStream_tbEUljE_ZNSN_ISO_Lb0ESQ_SR_ST_SU_SY_EESZ_S10_S11_S12_S16_S17_S18_S1B_S1C_jS1D_jS1E_S1E_jjS1G_bEUljE0_EEESZ_S10_S11_S18_S1C_S1E_T6_T7_T9_mT8_S1G_bDpT10_ENKUlT_T0_E_clISt17integral_constantIbLb0EES1U_EEDaS1P_S1Q_EUlS1P_E_NS1_11comp_targetILNS1_3genE10ELNS1_11target_archE1200ELNS1_3gpuE4ELNS1_3repE0EEENS1_30default_config_static_selectorELNS0_4arch9wavefront6targetE0EEEvS12_.has_recursion, 0
	.set _ZN7rocprim17ROCPRIM_400000_NS6detail17trampoline_kernelINS0_13select_configILj256ELj13ELNS0_17block_load_methodE3ELS4_3ELS4_3ELNS0_20block_scan_algorithmE0ELj4294967295EEENS1_25partition_config_selectorILNS1_17partition_subalgoE4EjNS0_10empty_typeEbEEZZNS1_14partition_implILS8_4ELb0ES6_15HIP_vector_typeIjLj2EENS0_17counting_iteratorIjlEEPS9_SG_NS0_5tupleIJPjSI_NS0_16reverse_iteratorISI_EEEEENSH_IJSG_SG_SG_EEES9_SI_JZNS1_25segmented_radix_sort_implINS0_14default_configELb0EPKsPsPKlPlN2at6native12_GLOBAL__N_18offset_tEEE10hipError_tPvRmT1_PNSt15iterator_traitsIS12_E10value_typeET2_T3_PNS13_IS18_E10value_typeET4_jRbjT5_S1E_jjP12ihipStream_tbEUljE_ZNSN_ISO_Lb0ESQ_SR_ST_SU_SY_EESZ_S10_S11_S12_S16_S17_S18_S1B_S1C_jS1D_jS1E_S1E_jjS1G_bEUljE0_EEESZ_S10_S11_S18_S1C_S1E_T6_T7_T9_mT8_S1G_bDpT10_ENKUlT_T0_E_clISt17integral_constantIbLb0EES1U_EEDaS1P_S1Q_EUlS1P_E_NS1_11comp_targetILNS1_3genE10ELNS1_11target_archE1200ELNS1_3gpuE4ELNS1_3repE0EEENS1_30default_config_static_selectorELNS0_4arch9wavefront6targetE0EEEvS12_.has_indirect_call, 0
	.section	.AMDGPU.csdata,"",@progbits
; Kernel info:
; codeLenInByte = 0
; TotalNumSgprs: 0
; NumVgprs: 0
; ScratchSize: 0
; MemoryBound: 0
; FloatMode: 240
; IeeeMode: 1
; LDSByteSize: 0 bytes/workgroup (compile time only)
; SGPRBlocks: 0
; VGPRBlocks: 0
; NumSGPRsForWavesPerEU: 1
; NumVGPRsForWavesPerEU: 1
; NamedBarCnt: 0
; Occupancy: 16
; WaveLimiterHint : 0
; COMPUTE_PGM_RSRC2:SCRATCH_EN: 0
; COMPUTE_PGM_RSRC2:USER_SGPR: 2
; COMPUTE_PGM_RSRC2:TRAP_HANDLER: 0
; COMPUTE_PGM_RSRC2:TGID_X_EN: 1
; COMPUTE_PGM_RSRC2:TGID_Y_EN: 0
; COMPUTE_PGM_RSRC2:TGID_Z_EN: 0
; COMPUTE_PGM_RSRC2:TIDIG_COMP_CNT: 0
	.section	.text._ZN7rocprim17ROCPRIM_400000_NS6detail17trampoline_kernelINS0_13select_configILj256ELj13ELNS0_17block_load_methodE3ELS4_3ELS4_3ELNS0_20block_scan_algorithmE0ELj4294967295EEENS1_25partition_config_selectorILNS1_17partition_subalgoE4EjNS0_10empty_typeEbEEZZNS1_14partition_implILS8_4ELb0ES6_15HIP_vector_typeIjLj2EENS0_17counting_iteratorIjlEEPS9_SG_NS0_5tupleIJPjSI_NS0_16reverse_iteratorISI_EEEEENSH_IJSG_SG_SG_EEES9_SI_JZNS1_25segmented_radix_sort_implINS0_14default_configELb0EPKsPsPKlPlN2at6native12_GLOBAL__N_18offset_tEEE10hipError_tPvRmT1_PNSt15iterator_traitsIS12_E10value_typeET2_T3_PNS13_IS18_E10value_typeET4_jRbjT5_S1E_jjP12ihipStream_tbEUljE_ZNSN_ISO_Lb0ESQ_SR_ST_SU_SY_EESZ_S10_S11_S12_S16_S17_S18_S1B_S1C_jS1D_jS1E_S1E_jjS1G_bEUljE0_EEESZ_S10_S11_S18_S1C_S1E_T6_T7_T9_mT8_S1G_bDpT10_ENKUlT_T0_E_clISt17integral_constantIbLb0EES1U_EEDaS1P_S1Q_EUlS1P_E_NS1_11comp_targetILNS1_3genE9ELNS1_11target_archE1100ELNS1_3gpuE3ELNS1_3repE0EEENS1_30default_config_static_selectorELNS0_4arch9wavefront6targetE0EEEvS12_,"axG",@progbits,_ZN7rocprim17ROCPRIM_400000_NS6detail17trampoline_kernelINS0_13select_configILj256ELj13ELNS0_17block_load_methodE3ELS4_3ELS4_3ELNS0_20block_scan_algorithmE0ELj4294967295EEENS1_25partition_config_selectorILNS1_17partition_subalgoE4EjNS0_10empty_typeEbEEZZNS1_14partition_implILS8_4ELb0ES6_15HIP_vector_typeIjLj2EENS0_17counting_iteratorIjlEEPS9_SG_NS0_5tupleIJPjSI_NS0_16reverse_iteratorISI_EEEEENSH_IJSG_SG_SG_EEES9_SI_JZNS1_25segmented_radix_sort_implINS0_14default_configELb0EPKsPsPKlPlN2at6native12_GLOBAL__N_18offset_tEEE10hipError_tPvRmT1_PNSt15iterator_traitsIS12_E10value_typeET2_T3_PNS13_IS18_E10value_typeET4_jRbjT5_S1E_jjP12ihipStream_tbEUljE_ZNSN_ISO_Lb0ESQ_SR_ST_SU_SY_EESZ_S10_S11_S12_S16_S17_S18_S1B_S1C_jS1D_jS1E_S1E_jjS1G_bEUljE0_EEESZ_S10_S11_S18_S1C_S1E_T6_T7_T9_mT8_S1G_bDpT10_ENKUlT_T0_E_clISt17integral_constantIbLb0EES1U_EEDaS1P_S1Q_EUlS1P_E_NS1_11comp_targetILNS1_3genE9ELNS1_11target_archE1100ELNS1_3gpuE3ELNS1_3repE0EEENS1_30default_config_static_selectorELNS0_4arch9wavefront6targetE0EEEvS12_,comdat
	.globl	_ZN7rocprim17ROCPRIM_400000_NS6detail17trampoline_kernelINS0_13select_configILj256ELj13ELNS0_17block_load_methodE3ELS4_3ELS4_3ELNS0_20block_scan_algorithmE0ELj4294967295EEENS1_25partition_config_selectorILNS1_17partition_subalgoE4EjNS0_10empty_typeEbEEZZNS1_14partition_implILS8_4ELb0ES6_15HIP_vector_typeIjLj2EENS0_17counting_iteratorIjlEEPS9_SG_NS0_5tupleIJPjSI_NS0_16reverse_iteratorISI_EEEEENSH_IJSG_SG_SG_EEES9_SI_JZNS1_25segmented_radix_sort_implINS0_14default_configELb0EPKsPsPKlPlN2at6native12_GLOBAL__N_18offset_tEEE10hipError_tPvRmT1_PNSt15iterator_traitsIS12_E10value_typeET2_T3_PNS13_IS18_E10value_typeET4_jRbjT5_S1E_jjP12ihipStream_tbEUljE_ZNSN_ISO_Lb0ESQ_SR_ST_SU_SY_EESZ_S10_S11_S12_S16_S17_S18_S1B_S1C_jS1D_jS1E_S1E_jjS1G_bEUljE0_EEESZ_S10_S11_S18_S1C_S1E_T6_T7_T9_mT8_S1G_bDpT10_ENKUlT_T0_E_clISt17integral_constantIbLb0EES1U_EEDaS1P_S1Q_EUlS1P_E_NS1_11comp_targetILNS1_3genE9ELNS1_11target_archE1100ELNS1_3gpuE3ELNS1_3repE0EEENS1_30default_config_static_selectorELNS0_4arch9wavefront6targetE0EEEvS12_ ; -- Begin function _ZN7rocprim17ROCPRIM_400000_NS6detail17trampoline_kernelINS0_13select_configILj256ELj13ELNS0_17block_load_methodE3ELS4_3ELS4_3ELNS0_20block_scan_algorithmE0ELj4294967295EEENS1_25partition_config_selectorILNS1_17partition_subalgoE4EjNS0_10empty_typeEbEEZZNS1_14partition_implILS8_4ELb0ES6_15HIP_vector_typeIjLj2EENS0_17counting_iteratorIjlEEPS9_SG_NS0_5tupleIJPjSI_NS0_16reverse_iteratorISI_EEEEENSH_IJSG_SG_SG_EEES9_SI_JZNS1_25segmented_radix_sort_implINS0_14default_configELb0EPKsPsPKlPlN2at6native12_GLOBAL__N_18offset_tEEE10hipError_tPvRmT1_PNSt15iterator_traitsIS12_E10value_typeET2_T3_PNS13_IS18_E10value_typeET4_jRbjT5_S1E_jjP12ihipStream_tbEUljE_ZNSN_ISO_Lb0ESQ_SR_ST_SU_SY_EESZ_S10_S11_S12_S16_S17_S18_S1B_S1C_jS1D_jS1E_S1E_jjS1G_bEUljE0_EEESZ_S10_S11_S18_S1C_S1E_T6_T7_T9_mT8_S1G_bDpT10_ENKUlT_T0_E_clISt17integral_constantIbLb0EES1U_EEDaS1P_S1Q_EUlS1P_E_NS1_11comp_targetILNS1_3genE9ELNS1_11target_archE1100ELNS1_3gpuE3ELNS1_3repE0EEENS1_30default_config_static_selectorELNS0_4arch9wavefront6targetE0EEEvS12_
	.p2align	8
	.type	_ZN7rocprim17ROCPRIM_400000_NS6detail17trampoline_kernelINS0_13select_configILj256ELj13ELNS0_17block_load_methodE3ELS4_3ELS4_3ELNS0_20block_scan_algorithmE0ELj4294967295EEENS1_25partition_config_selectorILNS1_17partition_subalgoE4EjNS0_10empty_typeEbEEZZNS1_14partition_implILS8_4ELb0ES6_15HIP_vector_typeIjLj2EENS0_17counting_iteratorIjlEEPS9_SG_NS0_5tupleIJPjSI_NS0_16reverse_iteratorISI_EEEEENSH_IJSG_SG_SG_EEES9_SI_JZNS1_25segmented_radix_sort_implINS0_14default_configELb0EPKsPsPKlPlN2at6native12_GLOBAL__N_18offset_tEEE10hipError_tPvRmT1_PNSt15iterator_traitsIS12_E10value_typeET2_T3_PNS13_IS18_E10value_typeET4_jRbjT5_S1E_jjP12ihipStream_tbEUljE_ZNSN_ISO_Lb0ESQ_SR_ST_SU_SY_EESZ_S10_S11_S12_S16_S17_S18_S1B_S1C_jS1D_jS1E_S1E_jjS1G_bEUljE0_EEESZ_S10_S11_S18_S1C_S1E_T6_T7_T9_mT8_S1G_bDpT10_ENKUlT_T0_E_clISt17integral_constantIbLb0EES1U_EEDaS1P_S1Q_EUlS1P_E_NS1_11comp_targetILNS1_3genE9ELNS1_11target_archE1100ELNS1_3gpuE3ELNS1_3repE0EEENS1_30default_config_static_selectorELNS0_4arch9wavefront6targetE0EEEvS12_,@function
_ZN7rocprim17ROCPRIM_400000_NS6detail17trampoline_kernelINS0_13select_configILj256ELj13ELNS0_17block_load_methodE3ELS4_3ELS4_3ELNS0_20block_scan_algorithmE0ELj4294967295EEENS1_25partition_config_selectorILNS1_17partition_subalgoE4EjNS0_10empty_typeEbEEZZNS1_14partition_implILS8_4ELb0ES6_15HIP_vector_typeIjLj2EENS0_17counting_iteratorIjlEEPS9_SG_NS0_5tupleIJPjSI_NS0_16reverse_iteratorISI_EEEEENSH_IJSG_SG_SG_EEES9_SI_JZNS1_25segmented_radix_sort_implINS0_14default_configELb0EPKsPsPKlPlN2at6native12_GLOBAL__N_18offset_tEEE10hipError_tPvRmT1_PNSt15iterator_traitsIS12_E10value_typeET2_T3_PNS13_IS18_E10value_typeET4_jRbjT5_S1E_jjP12ihipStream_tbEUljE_ZNSN_ISO_Lb0ESQ_SR_ST_SU_SY_EESZ_S10_S11_S12_S16_S17_S18_S1B_S1C_jS1D_jS1E_S1E_jjS1G_bEUljE0_EEESZ_S10_S11_S18_S1C_S1E_T6_T7_T9_mT8_S1G_bDpT10_ENKUlT_T0_E_clISt17integral_constantIbLb0EES1U_EEDaS1P_S1Q_EUlS1P_E_NS1_11comp_targetILNS1_3genE9ELNS1_11target_archE1100ELNS1_3gpuE3ELNS1_3repE0EEENS1_30default_config_static_selectorELNS0_4arch9wavefront6targetE0EEEvS12_: ; @_ZN7rocprim17ROCPRIM_400000_NS6detail17trampoline_kernelINS0_13select_configILj256ELj13ELNS0_17block_load_methodE3ELS4_3ELS4_3ELNS0_20block_scan_algorithmE0ELj4294967295EEENS1_25partition_config_selectorILNS1_17partition_subalgoE4EjNS0_10empty_typeEbEEZZNS1_14partition_implILS8_4ELb0ES6_15HIP_vector_typeIjLj2EENS0_17counting_iteratorIjlEEPS9_SG_NS0_5tupleIJPjSI_NS0_16reverse_iteratorISI_EEEEENSH_IJSG_SG_SG_EEES9_SI_JZNS1_25segmented_radix_sort_implINS0_14default_configELb0EPKsPsPKlPlN2at6native12_GLOBAL__N_18offset_tEEE10hipError_tPvRmT1_PNSt15iterator_traitsIS12_E10value_typeET2_T3_PNS13_IS18_E10value_typeET4_jRbjT5_S1E_jjP12ihipStream_tbEUljE_ZNSN_ISO_Lb0ESQ_SR_ST_SU_SY_EESZ_S10_S11_S12_S16_S17_S18_S1B_S1C_jS1D_jS1E_S1E_jjS1G_bEUljE0_EEESZ_S10_S11_S18_S1C_S1E_T6_T7_T9_mT8_S1G_bDpT10_ENKUlT_T0_E_clISt17integral_constantIbLb0EES1U_EEDaS1P_S1Q_EUlS1P_E_NS1_11comp_targetILNS1_3genE9ELNS1_11target_archE1100ELNS1_3gpuE3ELNS1_3repE0EEENS1_30default_config_static_selectorELNS0_4arch9wavefront6targetE0EEEvS12_
; %bb.0:
	.section	.rodata,"a",@progbits
	.p2align	6, 0x0
	.amdhsa_kernel _ZN7rocprim17ROCPRIM_400000_NS6detail17trampoline_kernelINS0_13select_configILj256ELj13ELNS0_17block_load_methodE3ELS4_3ELS4_3ELNS0_20block_scan_algorithmE0ELj4294967295EEENS1_25partition_config_selectorILNS1_17partition_subalgoE4EjNS0_10empty_typeEbEEZZNS1_14partition_implILS8_4ELb0ES6_15HIP_vector_typeIjLj2EENS0_17counting_iteratorIjlEEPS9_SG_NS0_5tupleIJPjSI_NS0_16reverse_iteratorISI_EEEEENSH_IJSG_SG_SG_EEES9_SI_JZNS1_25segmented_radix_sort_implINS0_14default_configELb0EPKsPsPKlPlN2at6native12_GLOBAL__N_18offset_tEEE10hipError_tPvRmT1_PNSt15iterator_traitsIS12_E10value_typeET2_T3_PNS13_IS18_E10value_typeET4_jRbjT5_S1E_jjP12ihipStream_tbEUljE_ZNSN_ISO_Lb0ESQ_SR_ST_SU_SY_EESZ_S10_S11_S12_S16_S17_S18_S1B_S1C_jS1D_jS1E_S1E_jjS1G_bEUljE0_EEESZ_S10_S11_S18_S1C_S1E_T6_T7_T9_mT8_S1G_bDpT10_ENKUlT_T0_E_clISt17integral_constantIbLb0EES1U_EEDaS1P_S1Q_EUlS1P_E_NS1_11comp_targetILNS1_3genE9ELNS1_11target_archE1100ELNS1_3gpuE3ELNS1_3repE0EEENS1_30default_config_static_selectorELNS0_4arch9wavefront6targetE0EEEvS12_
		.amdhsa_group_segment_fixed_size 0
		.amdhsa_private_segment_fixed_size 0
		.amdhsa_kernarg_size 176
		.amdhsa_user_sgpr_count 2
		.amdhsa_user_sgpr_dispatch_ptr 0
		.amdhsa_user_sgpr_queue_ptr 0
		.amdhsa_user_sgpr_kernarg_segment_ptr 1
		.amdhsa_user_sgpr_dispatch_id 0
		.amdhsa_user_sgpr_kernarg_preload_length 0
		.amdhsa_user_sgpr_kernarg_preload_offset 0
		.amdhsa_user_sgpr_private_segment_size 0
		.amdhsa_wavefront_size32 1
		.amdhsa_uses_dynamic_stack 0
		.amdhsa_enable_private_segment 0
		.amdhsa_system_sgpr_workgroup_id_x 1
		.amdhsa_system_sgpr_workgroup_id_y 0
		.amdhsa_system_sgpr_workgroup_id_z 0
		.amdhsa_system_sgpr_workgroup_info 0
		.amdhsa_system_vgpr_workitem_id 0
		.amdhsa_next_free_vgpr 1
		.amdhsa_next_free_sgpr 1
		.amdhsa_named_barrier_count 0
		.amdhsa_reserve_vcc 0
		.amdhsa_float_round_mode_32 0
		.amdhsa_float_round_mode_16_64 0
		.amdhsa_float_denorm_mode_32 3
		.amdhsa_float_denorm_mode_16_64 3
		.amdhsa_fp16_overflow 0
		.amdhsa_memory_ordered 1
		.amdhsa_forward_progress 1
		.amdhsa_inst_pref_size 0
		.amdhsa_round_robin_scheduling 0
		.amdhsa_exception_fp_ieee_invalid_op 0
		.amdhsa_exception_fp_denorm_src 0
		.amdhsa_exception_fp_ieee_div_zero 0
		.amdhsa_exception_fp_ieee_overflow 0
		.amdhsa_exception_fp_ieee_underflow 0
		.amdhsa_exception_fp_ieee_inexact 0
		.amdhsa_exception_int_div_zero 0
	.end_amdhsa_kernel
	.section	.text._ZN7rocprim17ROCPRIM_400000_NS6detail17trampoline_kernelINS0_13select_configILj256ELj13ELNS0_17block_load_methodE3ELS4_3ELS4_3ELNS0_20block_scan_algorithmE0ELj4294967295EEENS1_25partition_config_selectorILNS1_17partition_subalgoE4EjNS0_10empty_typeEbEEZZNS1_14partition_implILS8_4ELb0ES6_15HIP_vector_typeIjLj2EENS0_17counting_iteratorIjlEEPS9_SG_NS0_5tupleIJPjSI_NS0_16reverse_iteratorISI_EEEEENSH_IJSG_SG_SG_EEES9_SI_JZNS1_25segmented_radix_sort_implINS0_14default_configELb0EPKsPsPKlPlN2at6native12_GLOBAL__N_18offset_tEEE10hipError_tPvRmT1_PNSt15iterator_traitsIS12_E10value_typeET2_T3_PNS13_IS18_E10value_typeET4_jRbjT5_S1E_jjP12ihipStream_tbEUljE_ZNSN_ISO_Lb0ESQ_SR_ST_SU_SY_EESZ_S10_S11_S12_S16_S17_S18_S1B_S1C_jS1D_jS1E_S1E_jjS1G_bEUljE0_EEESZ_S10_S11_S18_S1C_S1E_T6_T7_T9_mT8_S1G_bDpT10_ENKUlT_T0_E_clISt17integral_constantIbLb0EES1U_EEDaS1P_S1Q_EUlS1P_E_NS1_11comp_targetILNS1_3genE9ELNS1_11target_archE1100ELNS1_3gpuE3ELNS1_3repE0EEENS1_30default_config_static_selectorELNS0_4arch9wavefront6targetE0EEEvS12_,"axG",@progbits,_ZN7rocprim17ROCPRIM_400000_NS6detail17trampoline_kernelINS0_13select_configILj256ELj13ELNS0_17block_load_methodE3ELS4_3ELS4_3ELNS0_20block_scan_algorithmE0ELj4294967295EEENS1_25partition_config_selectorILNS1_17partition_subalgoE4EjNS0_10empty_typeEbEEZZNS1_14partition_implILS8_4ELb0ES6_15HIP_vector_typeIjLj2EENS0_17counting_iteratorIjlEEPS9_SG_NS0_5tupleIJPjSI_NS0_16reverse_iteratorISI_EEEEENSH_IJSG_SG_SG_EEES9_SI_JZNS1_25segmented_radix_sort_implINS0_14default_configELb0EPKsPsPKlPlN2at6native12_GLOBAL__N_18offset_tEEE10hipError_tPvRmT1_PNSt15iterator_traitsIS12_E10value_typeET2_T3_PNS13_IS18_E10value_typeET4_jRbjT5_S1E_jjP12ihipStream_tbEUljE_ZNSN_ISO_Lb0ESQ_SR_ST_SU_SY_EESZ_S10_S11_S12_S16_S17_S18_S1B_S1C_jS1D_jS1E_S1E_jjS1G_bEUljE0_EEESZ_S10_S11_S18_S1C_S1E_T6_T7_T9_mT8_S1G_bDpT10_ENKUlT_T0_E_clISt17integral_constantIbLb0EES1U_EEDaS1P_S1Q_EUlS1P_E_NS1_11comp_targetILNS1_3genE9ELNS1_11target_archE1100ELNS1_3gpuE3ELNS1_3repE0EEENS1_30default_config_static_selectorELNS0_4arch9wavefront6targetE0EEEvS12_,comdat
.Lfunc_end951:
	.size	_ZN7rocprim17ROCPRIM_400000_NS6detail17trampoline_kernelINS0_13select_configILj256ELj13ELNS0_17block_load_methodE3ELS4_3ELS4_3ELNS0_20block_scan_algorithmE0ELj4294967295EEENS1_25partition_config_selectorILNS1_17partition_subalgoE4EjNS0_10empty_typeEbEEZZNS1_14partition_implILS8_4ELb0ES6_15HIP_vector_typeIjLj2EENS0_17counting_iteratorIjlEEPS9_SG_NS0_5tupleIJPjSI_NS0_16reverse_iteratorISI_EEEEENSH_IJSG_SG_SG_EEES9_SI_JZNS1_25segmented_radix_sort_implINS0_14default_configELb0EPKsPsPKlPlN2at6native12_GLOBAL__N_18offset_tEEE10hipError_tPvRmT1_PNSt15iterator_traitsIS12_E10value_typeET2_T3_PNS13_IS18_E10value_typeET4_jRbjT5_S1E_jjP12ihipStream_tbEUljE_ZNSN_ISO_Lb0ESQ_SR_ST_SU_SY_EESZ_S10_S11_S12_S16_S17_S18_S1B_S1C_jS1D_jS1E_S1E_jjS1G_bEUljE0_EEESZ_S10_S11_S18_S1C_S1E_T6_T7_T9_mT8_S1G_bDpT10_ENKUlT_T0_E_clISt17integral_constantIbLb0EES1U_EEDaS1P_S1Q_EUlS1P_E_NS1_11comp_targetILNS1_3genE9ELNS1_11target_archE1100ELNS1_3gpuE3ELNS1_3repE0EEENS1_30default_config_static_selectorELNS0_4arch9wavefront6targetE0EEEvS12_, .Lfunc_end951-_ZN7rocprim17ROCPRIM_400000_NS6detail17trampoline_kernelINS0_13select_configILj256ELj13ELNS0_17block_load_methodE3ELS4_3ELS4_3ELNS0_20block_scan_algorithmE0ELj4294967295EEENS1_25partition_config_selectorILNS1_17partition_subalgoE4EjNS0_10empty_typeEbEEZZNS1_14partition_implILS8_4ELb0ES6_15HIP_vector_typeIjLj2EENS0_17counting_iteratorIjlEEPS9_SG_NS0_5tupleIJPjSI_NS0_16reverse_iteratorISI_EEEEENSH_IJSG_SG_SG_EEES9_SI_JZNS1_25segmented_radix_sort_implINS0_14default_configELb0EPKsPsPKlPlN2at6native12_GLOBAL__N_18offset_tEEE10hipError_tPvRmT1_PNSt15iterator_traitsIS12_E10value_typeET2_T3_PNS13_IS18_E10value_typeET4_jRbjT5_S1E_jjP12ihipStream_tbEUljE_ZNSN_ISO_Lb0ESQ_SR_ST_SU_SY_EESZ_S10_S11_S12_S16_S17_S18_S1B_S1C_jS1D_jS1E_S1E_jjS1G_bEUljE0_EEESZ_S10_S11_S18_S1C_S1E_T6_T7_T9_mT8_S1G_bDpT10_ENKUlT_T0_E_clISt17integral_constantIbLb0EES1U_EEDaS1P_S1Q_EUlS1P_E_NS1_11comp_targetILNS1_3genE9ELNS1_11target_archE1100ELNS1_3gpuE3ELNS1_3repE0EEENS1_30default_config_static_selectorELNS0_4arch9wavefront6targetE0EEEvS12_
                                        ; -- End function
	.set _ZN7rocprim17ROCPRIM_400000_NS6detail17trampoline_kernelINS0_13select_configILj256ELj13ELNS0_17block_load_methodE3ELS4_3ELS4_3ELNS0_20block_scan_algorithmE0ELj4294967295EEENS1_25partition_config_selectorILNS1_17partition_subalgoE4EjNS0_10empty_typeEbEEZZNS1_14partition_implILS8_4ELb0ES6_15HIP_vector_typeIjLj2EENS0_17counting_iteratorIjlEEPS9_SG_NS0_5tupleIJPjSI_NS0_16reverse_iteratorISI_EEEEENSH_IJSG_SG_SG_EEES9_SI_JZNS1_25segmented_radix_sort_implINS0_14default_configELb0EPKsPsPKlPlN2at6native12_GLOBAL__N_18offset_tEEE10hipError_tPvRmT1_PNSt15iterator_traitsIS12_E10value_typeET2_T3_PNS13_IS18_E10value_typeET4_jRbjT5_S1E_jjP12ihipStream_tbEUljE_ZNSN_ISO_Lb0ESQ_SR_ST_SU_SY_EESZ_S10_S11_S12_S16_S17_S18_S1B_S1C_jS1D_jS1E_S1E_jjS1G_bEUljE0_EEESZ_S10_S11_S18_S1C_S1E_T6_T7_T9_mT8_S1G_bDpT10_ENKUlT_T0_E_clISt17integral_constantIbLb0EES1U_EEDaS1P_S1Q_EUlS1P_E_NS1_11comp_targetILNS1_3genE9ELNS1_11target_archE1100ELNS1_3gpuE3ELNS1_3repE0EEENS1_30default_config_static_selectorELNS0_4arch9wavefront6targetE0EEEvS12_.num_vgpr, 0
	.set _ZN7rocprim17ROCPRIM_400000_NS6detail17trampoline_kernelINS0_13select_configILj256ELj13ELNS0_17block_load_methodE3ELS4_3ELS4_3ELNS0_20block_scan_algorithmE0ELj4294967295EEENS1_25partition_config_selectorILNS1_17partition_subalgoE4EjNS0_10empty_typeEbEEZZNS1_14partition_implILS8_4ELb0ES6_15HIP_vector_typeIjLj2EENS0_17counting_iteratorIjlEEPS9_SG_NS0_5tupleIJPjSI_NS0_16reverse_iteratorISI_EEEEENSH_IJSG_SG_SG_EEES9_SI_JZNS1_25segmented_radix_sort_implINS0_14default_configELb0EPKsPsPKlPlN2at6native12_GLOBAL__N_18offset_tEEE10hipError_tPvRmT1_PNSt15iterator_traitsIS12_E10value_typeET2_T3_PNS13_IS18_E10value_typeET4_jRbjT5_S1E_jjP12ihipStream_tbEUljE_ZNSN_ISO_Lb0ESQ_SR_ST_SU_SY_EESZ_S10_S11_S12_S16_S17_S18_S1B_S1C_jS1D_jS1E_S1E_jjS1G_bEUljE0_EEESZ_S10_S11_S18_S1C_S1E_T6_T7_T9_mT8_S1G_bDpT10_ENKUlT_T0_E_clISt17integral_constantIbLb0EES1U_EEDaS1P_S1Q_EUlS1P_E_NS1_11comp_targetILNS1_3genE9ELNS1_11target_archE1100ELNS1_3gpuE3ELNS1_3repE0EEENS1_30default_config_static_selectorELNS0_4arch9wavefront6targetE0EEEvS12_.num_agpr, 0
	.set _ZN7rocprim17ROCPRIM_400000_NS6detail17trampoline_kernelINS0_13select_configILj256ELj13ELNS0_17block_load_methodE3ELS4_3ELS4_3ELNS0_20block_scan_algorithmE0ELj4294967295EEENS1_25partition_config_selectorILNS1_17partition_subalgoE4EjNS0_10empty_typeEbEEZZNS1_14partition_implILS8_4ELb0ES6_15HIP_vector_typeIjLj2EENS0_17counting_iteratorIjlEEPS9_SG_NS0_5tupleIJPjSI_NS0_16reverse_iteratorISI_EEEEENSH_IJSG_SG_SG_EEES9_SI_JZNS1_25segmented_radix_sort_implINS0_14default_configELb0EPKsPsPKlPlN2at6native12_GLOBAL__N_18offset_tEEE10hipError_tPvRmT1_PNSt15iterator_traitsIS12_E10value_typeET2_T3_PNS13_IS18_E10value_typeET4_jRbjT5_S1E_jjP12ihipStream_tbEUljE_ZNSN_ISO_Lb0ESQ_SR_ST_SU_SY_EESZ_S10_S11_S12_S16_S17_S18_S1B_S1C_jS1D_jS1E_S1E_jjS1G_bEUljE0_EEESZ_S10_S11_S18_S1C_S1E_T6_T7_T9_mT8_S1G_bDpT10_ENKUlT_T0_E_clISt17integral_constantIbLb0EES1U_EEDaS1P_S1Q_EUlS1P_E_NS1_11comp_targetILNS1_3genE9ELNS1_11target_archE1100ELNS1_3gpuE3ELNS1_3repE0EEENS1_30default_config_static_selectorELNS0_4arch9wavefront6targetE0EEEvS12_.numbered_sgpr, 0
	.set _ZN7rocprim17ROCPRIM_400000_NS6detail17trampoline_kernelINS0_13select_configILj256ELj13ELNS0_17block_load_methodE3ELS4_3ELS4_3ELNS0_20block_scan_algorithmE0ELj4294967295EEENS1_25partition_config_selectorILNS1_17partition_subalgoE4EjNS0_10empty_typeEbEEZZNS1_14partition_implILS8_4ELb0ES6_15HIP_vector_typeIjLj2EENS0_17counting_iteratorIjlEEPS9_SG_NS0_5tupleIJPjSI_NS0_16reverse_iteratorISI_EEEEENSH_IJSG_SG_SG_EEES9_SI_JZNS1_25segmented_radix_sort_implINS0_14default_configELb0EPKsPsPKlPlN2at6native12_GLOBAL__N_18offset_tEEE10hipError_tPvRmT1_PNSt15iterator_traitsIS12_E10value_typeET2_T3_PNS13_IS18_E10value_typeET4_jRbjT5_S1E_jjP12ihipStream_tbEUljE_ZNSN_ISO_Lb0ESQ_SR_ST_SU_SY_EESZ_S10_S11_S12_S16_S17_S18_S1B_S1C_jS1D_jS1E_S1E_jjS1G_bEUljE0_EEESZ_S10_S11_S18_S1C_S1E_T6_T7_T9_mT8_S1G_bDpT10_ENKUlT_T0_E_clISt17integral_constantIbLb0EES1U_EEDaS1P_S1Q_EUlS1P_E_NS1_11comp_targetILNS1_3genE9ELNS1_11target_archE1100ELNS1_3gpuE3ELNS1_3repE0EEENS1_30default_config_static_selectorELNS0_4arch9wavefront6targetE0EEEvS12_.num_named_barrier, 0
	.set _ZN7rocprim17ROCPRIM_400000_NS6detail17trampoline_kernelINS0_13select_configILj256ELj13ELNS0_17block_load_methodE3ELS4_3ELS4_3ELNS0_20block_scan_algorithmE0ELj4294967295EEENS1_25partition_config_selectorILNS1_17partition_subalgoE4EjNS0_10empty_typeEbEEZZNS1_14partition_implILS8_4ELb0ES6_15HIP_vector_typeIjLj2EENS0_17counting_iteratorIjlEEPS9_SG_NS0_5tupleIJPjSI_NS0_16reverse_iteratorISI_EEEEENSH_IJSG_SG_SG_EEES9_SI_JZNS1_25segmented_radix_sort_implINS0_14default_configELb0EPKsPsPKlPlN2at6native12_GLOBAL__N_18offset_tEEE10hipError_tPvRmT1_PNSt15iterator_traitsIS12_E10value_typeET2_T3_PNS13_IS18_E10value_typeET4_jRbjT5_S1E_jjP12ihipStream_tbEUljE_ZNSN_ISO_Lb0ESQ_SR_ST_SU_SY_EESZ_S10_S11_S12_S16_S17_S18_S1B_S1C_jS1D_jS1E_S1E_jjS1G_bEUljE0_EEESZ_S10_S11_S18_S1C_S1E_T6_T7_T9_mT8_S1G_bDpT10_ENKUlT_T0_E_clISt17integral_constantIbLb0EES1U_EEDaS1P_S1Q_EUlS1P_E_NS1_11comp_targetILNS1_3genE9ELNS1_11target_archE1100ELNS1_3gpuE3ELNS1_3repE0EEENS1_30default_config_static_selectorELNS0_4arch9wavefront6targetE0EEEvS12_.private_seg_size, 0
	.set _ZN7rocprim17ROCPRIM_400000_NS6detail17trampoline_kernelINS0_13select_configILj256ELj13ELNS0_17block_load_methodE3ELS4_3ELS4_3ELNS0_20block_scan_algorithmE0ELj4294967295EEENS1_25partition_config_selectorILNS1_17partition_subalgoE4EjNS0_10empty_typeEbEEZZNS1_14partition_implILS8_4ELb0ES6_15HIP_vector_typeIjLj2EENS0_17counting_iteratorIjlEEPS9_SG_NS0_5tupleIJPjSI_NS0_16reverse_iteratorISI_EEEEENSH_IJSG_SG_SG_EEES9_SI_JZNS1_25segmented_radix_sort_implINS0_14default_configELb0EPKsPsPKlPlN2at6native12_GLOBAL__N_18offset_tEEE10hipError_tPvRmT1_PNSt15iterator_traitsIS12_E10value_typeET2_T3_PNS13_IS18_E10value_typeET4_jRbjT5_S1E_jjP12ihipStream_tbEUljE_ZNSN_ISO_Lb0ESQ_SR_ST_SU_SY_EESZ_S10_S11_S12_S16_S17_S18_S1B_S1C_jS1D_jS1E_S1E_jjS1G_bEUljE0_EEESZ_S10_S11_S18_S1C_S1E_T6_T7_T9_mT8_S1G_bDpT10_ENKUlT_T0_E_clISt17integral_constantIbLb0EES1U_EEDaS1P_S1Q_EUlS1P_E_NS1_11comp_targetILNS1_3genE9ELNS1_11target_archE1100ELNS1_3gpuE3ELNS1_3repE0EEENS1_30default_config_static_selectorELNS0_4arch9wavefront6targetE0EEEvS12_.uses_vcc, 0
	.set _ZN7rocprim17ROCPRIM_400000_NS6detail17trampoline_kernelINS0_13select_configILj256ELj13ELNS0_17block_load_methodE3ELS4_3ELS4_3ELNS0_20block_scan_algorithmE0ELj4294967295EEENS1_25partition_config_selectorILNS1_17partition_subalgoE4EjNS0_10empty_typeEbEEZZNS1_14partition_implILS8_4ELb0ES6_15HIP_vector_typeIjLj2EENS0_17counting_iteratorIjlEEPS9_SG_NS0_5tupleIJPjSI_NS0_16reverse_iteratorISI_EEEEENSH_IJSG_SG_SG_EEES9_SI_JZNS1_25segmented_radix_sort_implINS0_14default_configELb0EPKsPsPKlPlN2at6native12_GLOBAL__N_18offset_tEEE10hipError_tPvRmT1_PNSt15iterator_traitsIS12_E10value_typeET2_T3_PNS13_IS18_E10value_typeET4_jRbjT5_S1E_jjP12ihipStream_tbEUljE_ZNSN_ISO_Lb0ESQ_SR_ST_SU_SY_EESZ_S10_S11_S12_S16_S17_S18_S1B_S1C_jS1D_jS1E_S1E_jjS1G_bEUljE0_EEESZ_S10_S11_S18_S1C_S1E_T6_T7_T9_mT8_S1G_bDpT10_ENKUlT_T0_E_clISt17integral_constantIbLb0EES1U_EEDaS1P_S1Q_EUlS1P_E_NS1_11comp_targetILNS1_3genE9ELNS1_11target_archE1100ELNS1_3gpuE3ELNS1_3repE0EEENS1_30default_config_static_selectorELNS0_4arch9wavefront6targetE0EEEvS12_.uses_flat_scratch, 0
	.set _ZN7rocprim17ROCPRIM_400000_NS6detail17trampoline_kernelINS0_13select_configILj256ELj13ELNS0_17block_load_methodE3ELS4_3ELS4_3ELNS0_20block_scan_algorithmE0ELj4294967295EEENS1_25partition_config_selectorILNS1_17partition_subalgoE4EjNS0_10empty_typeEbEEZZNS1_14partition_implILS8_4ELb0ES6_15HIP_vector_typeIjLj2EENS0_17counting_iteratorIjlEEPS9_SG_NS0_5tupleIJPjSI_NS0_16reverse_iteratorISI_EEEEENSH_IJSG_SG_SG_EEES9_SI_JZNS1_25segmented_radix_sort_implINS0_14default_configELb0EPKsPsPKlPlN2at6native12_GLOBAL__N_18offset_tEEE10hipError_tPvRmT1_PNSt15iterator_traitsIS12_E10value_typeET2_T3_PNS13_IS18_E10value_typeET4_jRbjT5_S1E_jjP12ihipStream_tbEUljE_ZNSN_ISO_Lb0ESQ_SR_ST_SU_SY_EESZ_S10_S11_S12_S16_S17_S18_S1B_S1C_jS1D_jS1E_S1E_jjS1G_bEUljE0_EEESZ_S10_S11_S18_S1C_S1E_T6_T7_T9_mT8_S1G_bDpT10_ENKUlT_T0_E_clISt17integral_constantIbLb0EES1U_EEDaS1P_S1Q_EUlS1P_E_NS1_11comp_targetILNS1_3genE9ELNS1_11target_archE1100ELNS1_3gpuE3ELNS1_3repE0EEENS1_30default_config_static_selectorELNS0_4arch9wavefront6targetE0EEEvS12_.has_dyn_sized_stack, 0
	.set _ZN7rocprim17ROCPRIM_400000_NS6detail17trampoline_kernelINS0_13select_configILj256ELj13ELNS0_17block_load_methodE3ELS4_3ELS4_3ELNS0_20block_scan_algorithmE0ELj4294967295EEENS1_25partition_config_selectorILNS1_17partition_subalgoE4EjNS0_10empty_typeEbEEZZNS1_14partition_implILS8_4ELb0ES6_15HIP_vector_typeIjLj2EENS0_17counting_iteratorIjlEEPS9_SG_NS0_5tupleIJPjSI_NS0_16reverse_iteratorISI_EEEEENSH_IJSG_SG_SG_EEES9_SI_JZNS1_25segmented_radix_sort_implINS0_14default_configELb0EPKsPsPKlPlN2at6native12_GLOBAL__N_18offset_tEEE10hipError_tPvRmT1_PNSt15iterator_traitsIS12_E10value_typeET2_T3_PNS13_IS18_E10value_typeET4_jRbjT5_S1E_jjP12ihipStream_tbEUljE_ZNSN_ISO_Lb0ESQ_SR_ST_SU_SY_EESZ_S10_S11_S12_S16_S17_S18_S1B_S1C_jS1D_jS1E_S1E_jjS1G_bEUljE0_EEESZ_S10_S11_S18_S1C_S1E_T6_T7_T9_mT8_S1G_bDpT10_ENKUlT_T0_E_clISt17integral_constantIbLb0EES1U_EEDaS1P_S1Q_EUlS1P_E_NS1_11comp_targetILNS1_3genE9ELNS1_11target_archE1100ELNS1_3gpuE3ELNS1_3repE0EEENS1_30default_config_static_selectorELNS0_4arch9wavefront6targetE0EEEvS12_.has_recursion, 0
	.set _ZN7rocprim17ROCPRIM_400000_NS6detail17trampoline_kernelINS0_13select_configILj256ELj13ELNS0_17block_load_methodE3ELS4_3ELS4_3ELNS0_20block_scan_algorithmE0ELj4294967295EEENS1_25partition_config_selectorILNS1_17partition_subalgoE4EjNS0_10empty_typeEbEEZZNS1_14partition_implILS8_4ELb0ES6_15HIP_vector_typeIjLj2EENS0_17counting_iteratorIjlEEPS9_SG_NS0_5tupleIJPjSI_NS0_16reverse_iteratorISI_EEEEENSH_IJSG_SG_SG_EEES9_SI_JZNS1_25segmented_radix_sort_implINS0_14default_configELb0EPKsPsPKlPlN2at6native12_GLOBAL__N_18offset_tEEE10hipError_tPvRmT1_PNSt15iterator_traitsIS12_E10value_typeET2_T3_PNS13_IS18_E10value_typeET4_jRbjT5_S1E_jjP12ihipStream_tbEUljE_ZNSN_ISO_Lb0ESQ_SR_ST_SU_SY_EESZ_S10_S11_S12_S16_S17_S18_S1B_S1C_jS1D_jS1E_S1E_jjS1G_bEUljE0_EEESZ_S10_S11_S18_S1C_S1E_T6_T7_T9_mT8_S1G_bDpT10_ENKUlT_T0_E_clISt17integral_constantIbLb0EES1U_EEDaS1P_S1Q_EUlS1P_E_NS1_11comp_targetILNS1_3genE9ELNS1_11target_archE1100ELNS1_3gpuE3ELNS1_3repE0EEENS1_30default_config_static_selectorELNS0_4arch9wavefront6targetE0EEEvS12_.has_indirect_call, 0
	.section	.AMDGPU.csdata,"",@progbits
; Kernel info:
; codeLenInByte = 0
; TotalNumSgprs: 0
; NumVgprs: 0
; ScratchSize: 0
; MemoryBound: 0
; FloatMode: 240
; IeeeMode: 1
; LDSByteSize: 0 bytes/workgroup (compile time only)
; SGPRBlocks: 0
; VGPRBlocks: 0
; NumSGPRsForWavesPerEU: 1
; NumVGPRsForWavesPerEU: 1
; NamedBarCnt: 0
; Occupancy: 16
; WaveLimiterHint : 0
; COMPUTE_PGM_RSRC2:SCRATCH_EN: 0
; COMPUTE_PGM_RSRC2:USER_SGPR: 2
; COMPUTE_PGM_RSRC2:TRAP_HANDLER: 0
; COMPUTE_PGM_RSRC2:TGID_X_EN: 1
; COMPUTE_PGM_RSRC2:TGID_Y_EN: 0
; COMPUTE_PGM_RSRC2:TGID_Z_EN: 0
; COMPUTE_PGM_RSRC2:TIDIG_COMP_CNT: 0
	.section	.text._ZN7rocprim17ROCPRIM_400000_NS6detail17trampoline_kernelINS0_13select_configILj256ELj13ELNS0_17block_load_methodE3ELS4_3ELS4_3ELNS0_20block_scan_algorithmE0ELj4294967295EEENS1_25partition_config_selectorILNS1_17partition_subalgoE4EjNS0_10empty_typeEbEEZZNS1_14partition_implILS8_4ELb0ES6_15HIP_vector_typeIjLj2EENS0_17counting_iteratorIjlEEPS9_SG_NS0_5tupleIJPjSI_NS0_16reverse_iteratorISI_EEEEENSH_IJSG_SG_SG_EEES9_SI_JZNS1_25segmented_radix_sort_implINS0_14default_configELb0EPKsPsPKlPlN2at6native12_GLOBAL__N_18offset_tEEE10hipError_tPvRmT1_PNSt15iterator_traitsIS12_E10value_typeET2_T3_PNS13_IS18_E10value_typeET4_jRbjT5_S1E_jjP12ihipStream_tbEUljE_ZNSN_ISO_Lb0ESQ_SR_ST_SU_SY_EESZ_S10_S11_S12_S16_S17_S18_S1B_S1C_jS1D_jS1E_S1E_jjS1G_bEUljE0_EEESZ_S10_S11_S18_S1C_S1E_T6_T7_T9_mT8_S1G_bDpT10_ENKUlT_T0_E_clISt17integral_constantIbLb0EES1U_EEDaS1P_S1Q_EUlS1P_E_NS1_11comp_targetILNS1_3genE8ELNS1_11target_archE1030ELNS1_3gpuE2ELNS1_3repE0EEENS1_30default_config_static_selectorELNS0_4arch9wavefront6targetE0EEEvS12_,"axG",@progbits,_ZN7rocprim17ROCPRIM_400000_NS6detail17trampoline_kernelINS0_13select_configILj256ELj13ELNS0_17block_load_methodE3ELS4_3ELS4_3ELNS0_20block_scan_algorithmE0ELj4294967295EEENS1_25partition_config_selectorILNS1_17partition_subalgoE4EjNS0_10empty_typeEbEEZZNS1_14partition_implILS8_4ELb0ES6_15HIP_vector_typeIjLj2EENS0_17counting_iteratorIjlEEPS9_SG_NS0_5tupleIJPjSI_NS0_16reverse_iteratorISI_EEEEENSH_IJSG_SG_SG_EEES9_SI_JZNS1_25segmented_radix_sort_implINS0_14default_configELb0EPKsPsPKlPlN2at6native12_GLOBAL__N_18offset_tEEE10hipError_tPvRmT1_PNSt15iterator_traitsIS12_E10value_typeET2_T3_PNS13_IS18_E10value_typeET4_jRbjT5_S1E_jjP12ihipStream_tbEUljE_ZNSN_ISO_Lb0ESQ_SR_ST_SU_SY_EESZ_S10_S11_S12_S16_S17_S18_S1B_S1C_jS1D_jS1E_S1E_jjS1G_bEUljE0_EEESZ_S10_S11_S18_S1C_S1E_T6_T7_T9_mT8_S1G_bDpT10_ENKUlT_T0_E_clISt17integral_constantIbLb0EES1U_EEDaS1P_S1Q_EUlS1P_E_NS1_11comp_targetILNS1_3genE8ELNS1_11target_archE1030ELNS1_3gpuE2ELNS1_3repE0EEENS1_30default_config_static_selectorELNS0_4arch9wavefront6targetE0EEEvS12_,comdat
	.globl	_ZN7rocprim17ROCPRIM_400000_NS6detail17trampoline_kernelINS0_13select_configILj256ELj13ELNS0_17block_load_methodE3ELS4_3ELS4_3ELNS0_20block_scan_algorithmE0ELj4294967295EEENS1_25partition_config_selectorILNS1_17partition_subalgoE4EjNS0_10empty_typeEbEEZZNS1_14partition_implILS8_4ELb0ES6_15HIP_vector_typeIjLj2EENS0_17counting_iteratorIjlEEPS9_SG_NS0_5tupleIJPjSI_NS0_16reverse_iteratorISI_EEEEENSH_IJSG_SG_SG_EEES9_SI_JZNS1_25segmented_radix_sort_implINS0_14default_configELb0EPKsPsPKlPlN2at6native12_GLOBAL__N_18offset_tEEE10hipError_tPvRmT1_PNSt15iterator_traitsIS12_E10value_typeET2_T3_PNS13_IS18_E10value_typeET4_jRbjT5_S1E_jjP12ihipStream_tbEUljE_ZNSN_ISO_Lb0ESQ_SR_ST_SU_SY_EESZ_S10_S11_S12_S16_S17_S18_S1B_S1C_jS1D_jS1E_S1E_jjS1G_bEUljE0_EEESZ_S10_S11_S18_S1C_S1E_T6_T7_T9_mT8_S1G_bDpT10_ENKUlT_T0_E_clISt17integral_constantIbLb0EES1U_EEDaS1P_S1Q_EUlS1P_E_NS1_11comp_targetILNS1_3genE8ELNS1_11target_archE1030ELNS1_3gpuE2ELNS1_3repE0EEENS1_30default_config_static_selectorELNS0_4arch9wavefront6targetE0EEEvS12_ ; -- Begin function _ZN7rocprim17ROCPRIM_400000_NS6detail17trampoline_kernelINS0_13select_configILj256ELj13ELNS0_17block_load_methodE3ELS4_3ELS4_3ELNS0_20block_scan_algorithmE0ELj4294967295EEENS1_25partition_config_selectorILNS1_17partition_subalgoE4EjNS0_10empty_typeEbEEZZNS1_14partition_implILS8_4ELb0ES6_15HIP_vector_typeIjLj2EENS0_17counting_iteratorIjlEEPS9_SG_NS0_5tupleIJPjSI_NS0_16reverse_iteratorISI_EEEEENSH_IJSG_SG_SG_EEES9_SI_JZNS1_25segmented_radix_sort_implINS0_14default_configELb0EPKsPsPKlPlN2at6native12_GLOBAL__N_18offset_tEEE10hipError_tPvRmT1_PNSt15iterator_traitsIS12_E10value_typeET2_T3_PNS13_IS18_E10value_typeET4_jRbjT5_S1E_jjP12ihipStream_tbEUljE_ZNSN_ISO_Lb0ESQ_SR_ST_SU_SY_EESZ_S10_S11_S12_S16_S17_S18_S1B_S1C_jS1D_jS1E_S1E_jjS1G_bEUljE0_EEESZ_S10_S11_S18_S1C_S1E_T6_T7_T9_mT8_S1G_bDpT10_ENKUlT_T0_E_clISt17integral_constantIbLb0EES1U_EEDaS1P_S1Q_EUlS1P_E_NS1_11comp_targetILNS1_3genE8ELNS1_11target_archE1030ELNS1_3gpuE2ELNS1_3repE0EEENS1_30default_config_static_selectorELNS0_4arch9wavefront6targetE0EEEvS12_
	.p2align	8
	.type	_ZN7rocprim17ROCPRIM_400000_NS6detail17trampoline_kernelINS0_13select_configILj256ELj13ELNS0_17block_load_methodE3ELS4_3ELS4_3ELNS0_20block_scan_algorithmE0ELj4294967295EEENS1_25partition_config_selectorILNS1_17partition_subalgoE4EjNS0_10empty_typeEbEEZZNS1_14partition_implILS8_4ELb0ES6_15HIP_vector_typeIjLj2EENS0_17counting_iteratorIjlEEPS9_SG_NS0_5tupleIJPjSI_NS0_16reverse_iteratorISI_EEEEENSH_IJSG_SG_SG_EEES9_SI_JZNS1_25segmented_radix_sort_implINS0_14default_configELb0EPKsPsPKlPlN2at6native12_GLOBAL__N_18offset_tEEE10hipError_tPvRmT1_PNSt15iterator_traitsIS12_E10value_typeET2_T3_PNS13_IS18_E10value_typeET4_jRbjT5_S1E_jjP12ihipStream_tbEUljE_ZNSN_ISO_Lb0ESQ_SR_ST_SU_SY_EESZ_S10_S11_S12_S16_S17_S18_S1B_S1C_jS1D_jS1E_S1E_jjS1G_bEUljE0_EEESZ_S10_S11_S18_S1C_S1E_T6_T7_T9_mT8_S1G_bDpT10_ENKUlT_T0_E_clISt17integral_constantIbLb0EES1U_EEDaS1P_S1Q_EUlS1P_E_NS1_11comp_targetILNS1_3genE8ELNS1_11target_archE1030ELNS1_3gpuE2ELNS1_3repE0EEENS1_30default_config_static_selectorELNS0_4arch9wavefront6targetE0EEEvS12_,@function
_ZN7rocprim17ROCPRIM_400000_NS6detail17trampoline_kernelINS0_13select_configILj256ELj13ELNS0_17block_load_methodE3ELS4_3ELS4_3ELNS0_20block_scan_algorithmE0ELj4294967295EEENS1_25partition_config_selectorILNS1_17partition_subalgoE4EjNS0_10empty_typeEbEEZZNS1_14partition_implILS8_4ELb0ES6_15HIP_vector_typeIjLj2EENS0_17counting_iteratorIjlEEPS9_SG_NS0_5tupleIJPjSI_NS0_16reverse_iteratorISI_EEEEENSH_IJSG_SG_SG_EEES9_SI_JZNS1_25segmented_radix_sort_implINS0_14default_configELb0EPKsPsPKlPlN2at6native12_GLOBAL__N_18offset_tEEE10hipError_tPvRmT1_PNSt15iterator_traitsIS12_E10value_typeET2_T3_PNS13_IS18_E10value_typeET4_jRbjT5_S1E_jjP12ihipStream_tbEUljE_ZNSN_ISO_Lb0ESQ_SR_ST_SU_SY_EESZ_S10_S11_S12_S16_S17_S18_S1B_S1C_jS1D_jS1E_S1E_jjS1G_bEUljE0_EEESZ_S10_S11_S18_S1C_S1E_T6_T7_T9_mT8_S1G_bDpT10_ENKUlT_T0_E_clISt17integral_constantIbLb0EES1U_EEDaS1P_S1Q_EUlS1P_E_NS1_11comp_targetILNS1_3genE8ELNS1_11target_archE1030ELNS1_3gpuE2ELNS1_3repE0EEENS1_30default_config_static_selectorELNS0_4arch9wavefront6targetE0EEEvS12_: ; @_ZN7rocprim17ROCPRIM_400000_NS6detail17trampoline_kernelINS0_13select_configILj256ELj13ELNS0_17block_load_methodE3ELS4_3ELS4_3ELNS0_20block_scan_algorithmE0ELj4294967295EEENS1_25partition_config_selectorILNS1_17partition_subalgoE4EjNS0_10empty_typeEbEEZZNS1_14partition_implILS8_4ELb0ES6_15HIP_vector_typeIjLj2EENS0_17counting_iteratorIjlEEPS9_SG_NS0_5tupleIJPjSI_NS0_16reverse_iteratorISI_EEEEENSH_IJSG_SG_SG_EEES9_SI_JZNS1_25segmented_radix_sort_implINS0_14default_configELb0EPKsPsPKlPlN2at6native12_GLOBAL__N_18offset_tEEE10hipError_tPvRmT1_PNSt15iterator_traitsIS12_E10value_typeET2_T3_PNS13_IS18_E10value_typeET4_jRbjT5_S1E_jjP12ihipStream_tbEUljE_ZNSN_ISO_Lb0ESQ_SR_ST_SU_SY_EESZ_S10_S11_S12_S16_S17_S18_S1B_S1C_jS1D_jS1E_S1E_jjS1G_bEUljE0_EEESZ_S10_S11_S18_S1C_S1E_T6_T7_T9_mT8_S1G_bDpT10_ENKUlT_T0_E_clISt17integral_constantIbLb0EES1U_EEDaS1P_S1Q_EUlS1P_E_NS1_11comp_targetILNS1_3genE8ELNS1_11target_archE1030ELNS1_3gpuE2ELNS1_3repE0EEENS1_30default_config_static_selectorELNS0_4arch9wavefront6targetE0EEEvS12_
; %bb.0:
	.section	.rodata,"a",@progbits
	.p2align	6, 0x0
	.amdhsa_kernel _ZN7rocprim17ROCPRIM_400000_NS6detail17trampoline_kernelINS0_13select_configILj256ELj13ELNS0_17block_load_methodE3ELS4_3ELS4_3ELNS0_20block_scan_algorithmE0ELj4294967295EEENS1_25partition_config_selectorILNS1_17partition_subalgoE4EjNS0_10empty_typeEbEEZZNS1_14partition_implILS8_4ELb0ES6_15HIP_vector_typeIjLj2EENS0_17counting_iteratorIjlEEPS9_SG_NS0_5tupleIJPjSI_NS0_16reverse_iteratorISI_EEEEENSH_IJSG_SG_SG_EEES9_SI_JZNS1_25segmented_radix_sort_implINS0_14default_configELb0EPKsPsPKlPlN2at6native12_GLOBAL__N_18offset_tEEE10hipError_tPvRmT1_PNSt15iterator_traitsIS12_E10value_typeET2_T3_PNS13_IS18_E10value_typeET4_jRbjT5_S1E_jjP12ihipStream_tbEUljE_ZNSN_ISO_Lb0ESQ_SR_ST_SU_SY_EESZ_S10_S11_S12_S16_S17_S18_S1B_S1C_jS1D_jS1E_S1E_jjS1G_bEUljE0_EEESZ_S10_S11_S18_S1C_S1E_T6_T7_T9_mT8_S1G_bDpT10_ENKUlT_T0_E_clISt17integral_constantIbLb0EES1U_EEDaS1P_S1Q_EUlS1P_E_NS1_11comp_targetILNS1_3genE8ELNS1_11target_archE1030ELNS1_3gpuE2ELNS1_3repE0EEENS1_30default_config_static_selectorELNS0_4arch9wavefront6targetE0EEEvS12_
		.amdhsa_group_segment_fixed_size 0
		.amdhsa_private_segment_fixed_size 0
		.amdhsa_kernarg_size 176
		.amdhsa_user_sgpr_count 2
		.amdhsa_user_sgpr_dispatch_ptr 0
		.amdhsa_user_sgpr_queue_ptr 0
		.amdhsa_user_sgpr_kernarg_segment_ptr 1
		.amdhsa_user_sgpr_dispatch_id 0
		.amdhsa_user_sgpr_kernarg_preload_length 0
		.amdhsa_user_sgpr_kernarg_preload_offset 0
		.amdhsa_user_sgpr_private_segment_size 0
		.amdhsa_wavefront_size32 1
		.amdhsa_uses_dynamic_stack 0
		.amdhsa_enable_private_segment 0
		.amdhsa_system_sgpr_workgroup_id_x 1
		.amdhsa_system_sgpr_workgroup_id_y 0
		.amdhsa_system_sgpr_workgroup_id_z 0
		.amdhsa_system_sgpr_workgroup_info 0
		.amdhsa_system_vgpr_workitem_id 0
		.amdhsa_next_free_vgpr 1
		.amdhsa_next_free_sgpr 1
		.amdhsa_named_barrier_count 0
		.amdhsa_reserve_vcc 0
		.amdhsa_float_round_mode_32 0
		.amdhsa_float_round_mode_16_64 0
		.amdhsa_float_denorm_mode_32 3
		.amdhsa_float_denorm_mode_16_64 3
		.amdhsa_fp16_overflow 0
		.amdhsa_memory_ordered 1
		.amdhsa_forward_progress 1
		.amdhsa_inst_pref_size 0
		.amdhsa_round_robin_scheduling 0
		.amdhsa_exception_fp_ieee_invalid_op 0
		.amdhsa_exception_fp_denorm_src 0
		.amdhsa_exception_fp_ieee_div_zero 0
		.amdhsa_exception_fp_ieee_overflow 0
		.amdhsa_exception_fp_ieee_underflow 0
		.amdhsa_exception_fp_ieee_inexact 0
		.amdhsa_exception_int_div_zero 0
	.end_amdhsa_kernel
	.section	.text._ZN7rocprim17ROCPRIM_400000_NS6detail17trampoline_kernelINS0_13select_configILj256ELj13ELNS0_17block_load_methodE3ELS4_3ELS4_3ELNS0_20block_scan_algorithmE0ELj4294967295EEENS1_25partition_config_selectorILNS1_17partition_subalgoE4EjNS0_10empty_typeEbEEZZNS1_14partition_implILS8_4ELb0ES6_15HIP_vector_typeIjLj2EENS0_17counting_iteratorIjlEEPS9_SG_NS0_5tupleIJPjSI_NS0_16reverse_iteratorISI_EEEEENSH_IJSG_SG_SG_EEES9_SI_JZNS1_25segmented_radix_sort_implINS0_14default_configELb0EPKsPsPKlPlN2at6native12_GLOBAL__N_18offset_tEEE10hipError_tPvRmT1_PNSt15iterator_traitsIS12_E10value_typeET2_T3_PNS13_IS18_E10value_typeET4_jRbjT5_S1E_jjP12ihipStream_tbEUljE_ZNSN_ISO_Lb0ESQ_SR_ST_SU_SY_EESZ_S10_S11_S12_S16_S17_S18_S1B_S1C_jS1D_jS1E_S1E_jjS1G_bEUljE0_EEESZ_S10_S11_S18_S1C_S1E_T6_T7_T9_mT8_S1G_bDpT10_ENKUlT_T0_E_clISt17integral_constantIbLb0EES1U_EEDaS1P_S1Q_EUlS1P_E_NS1_11comp_targetILNS1_3genE8ELNS1_11target_archE1030ELNS1_3gpuE2ELNS1_3repE0EEENS1_30default_config_static_selectorELNS0_4arch9wavefront6targetE0EEEvS12_,"axG",@progbits,_ZN7rocprim17ROCPRIM_400000_NS6detail17trampoline_kernelINS0_13select_configILj256ELj13ELNS0_17block_load_methodE3ELS4_3ELS4_3ELNS0_20block_scan_algorithmE0ELj4294967295EEENS1_25partition_config_selectorILNS1_17partition_subalgoE4EjNS0_10empty_typeEbEEZZNS1_14partition_implILS8_4ELb0ES6_15HIP_vector_typeIjLj2EENS0_17counting_iteratorIjlEEPS9_SG_NS0_5tupleIJPjSI_NS0_16reverse_iteratorISI_EEEEENSH_IJSG_SG_SG_EEES9_SI_JZNS1_25segmented_radix_sort_implINS0_14default_configELb0EPKsPsPKlPlN2at6native12_GLOBAL__N_18offset_tEEE10hipError_tPvRmT1_PNSt15iterator_traitsIS12_E10value_typeET2_T3_PNS13_IS18_E10value_typeET4_jRbjT5_S1E_jjP12ihipStream_tbEUljE_ZNSN_ISO_Lb0ESQ_SR_ST_SU_SY_EESZ_S10_S11_S12_S16_S17_S18_S1B_S1C_jS1D_jS1E_S1E_jjS1G_bEUljE0_EEESZ_S10_S11_S18_S1C_S1E_T6_T7_T9_mT8_S1G_bDpT10_ENKUlT_T0_E_clISt17integral_constantIbLb0EES1U_EEDaS1P_S1Q_EUlS1P_E_NS1_11comp_targetILNS1_3genE8ELNS1_11target_archE1030ELNS1_3gpuE2ELNS1_3repE0EEENS1_30default_config_static_selectorELNS0_4arch9wavefront6targetE0EEEvS12_,comdat
.Lfunc_end952:
	.size	_ZN7rocprim17ROCPRIM_400000_NS6detail17trampoline_kernelINS0_13select_configILj256ELj13ELNS0_17block_load_methodE3ELS4_3ELS4_3ELNS0_20block_scan_algorithmE0ELj4294967295EEENS1_25partition_config_selectorILNS1_17partition_subalgoE4EjNS0_10empty_typeEbEEZZNS1_14partition_implILS8_4ELb0ES6_15HIP_vector_typeIjLj2EENS0_17counting_iteratorIjlEEPS9_SG_NS0_5tupleIJPjSI_NS0_16reverse_iteratorISI_EEEEENSH_IJSG_SG_SG_EEES9_SI_JZNS1_25segmented_radix_sort_implINS0_14default_configELb0EPKsPsPKlPlN2at6native12_GLOBAL__N_18offset_tEEE10hipError_tPvRmT1_PNSt15iterator_traitsIS12_E10value_typeET2_T3_PNS13_IS18_E10value_typeET4_jRbjT5_S1E_jjP12ihipStream_tbEUljE_ZNSN_ISO_Lb0ESQ_SR_ST_SU_SY_EESZ_S10_S11_S12_S16_S17_S18_S1B_S1C_jS1D_jS1E_S1E_jjS1G_bEUljE0_EEESZ_S10_S11_S18_S1C_S1E_T6_T7_T9_mT8_S1G_bDpT10_ENKUlT_T0_E_clISt17integral_constantIbLb0EES1U_EEDaS1P_S1Q_EUlS1P_E_NS1_11comp_targetILNS1_3genE8ELNS1_11target_archE1030ELNS1_3gpuE2ELNS1_3repE0EEENS1_30default_config_static_selectorELNS0_4arch9wavefront6targetE0EEEvS12_, .Lfunc_end952-_ZN7rocprim17ROCPRIM_400000_NS6detail17trampoline_kernelINS0_13select_configILj256ELj13ELNS0_17block_load_methodE3ELS4_3ELS4_3ELNS0_20block_scan_algorithmE0ELj4294967295EEENS1_25partition_config_selectorILNS1_17partition_subalgoE4EjNS0_10empty_typeEbEEZZNS1_14partition_implILS8_4ELb0ES6_15HIP_vector_typeIjLj2EENS0_17counting_iteratorIjlEEPS9_SG_NS0_5tupleIJPjSI_NS0_16reverse_iteratorISI_EEEEENSH_IJSG_SG_SG_EEES9_SI_JZNS1_25segmented_radix_sort_implINS0_14default_configELb0EPKsPsPKlPlN2at6native12_GLOBAL__N_18offset_tEEE10hipError_tPvRmT1_PNSt15iterator_traitsIS12_E10value_typeET2_T3_PNS13_IS18_E10value_typeET4_jRbjT5_S1E_jjP12ihipStream_tbEUljE_ZNSN_ISO_Lb0ESQ_SR_ST_SU_SY_EESZ_S10_S11_S12_S16_S17_S18_S1B_S1C_jS1D_jS1E_S1E_jjS1G_bEUljE0_EEESZ_S10_S11_S18_S1C_S1E_T6_T7_T9_mT8_S1G_bDpT10_ENKUlT_T0_E_clISt17integral_constantIbLb0EES1U_EEDaS1P_S1Q_EUlS1P_E_NS1_11comp_targetILNS1_3genE8ELNS1_11target_archE1030ELNS1_3gpuE2ELNS1_3repE0EEENS1_30default_config_static_selectorELNS0_4arch9wavefront6targetE0EEEvS12_
                                        ; -- End function
	.set _ZN7rocprim17ROCPRIM_400000_NS6detail17trampoline_kernelINS0_13select_configILj256ELj13ELNS0_17block_load_methodE3ELS4_3ELS4_3ELNS0_20block_scan_algorithmE0ELj4294967295EEENS1_25partition_config_selectorILNS1_17partition_subalgoE4EjNS0_10empty_typeEbEEZZNS1_14partition_implILS8_4ELb0ES6_15HIP_vector_typeIjLj2EENS0_17counting_iteratorIjlEEPS9_SG_NS0_5tupleIJPjSI_NS0_16reverse_iteratorISI_EEEEENSH_IJSG_SG_SG_EEES9_SI_JZNS1_25segmented_radix_sort_implINS0_14default_configELb0EPKsPsPKlPlN2at6native12_GLOBAL__N_18offset_tEEE10hipError_tPvRmT1_PNSt15iterator_traitsIS12_E10value_typeET2_T3_PNS13_IS18_E10value_typeET4_jRbjT5_S1E_jjP12ihipStream_tbEUljE_ZNSN_ISO_Lb0ESQ_SR_ST_SU_SY_EESZ_S10_S11_S12_S16_S17_S18_S1B_S1C_jS1D_jS1E_S1E_jjS1G_bEUljE0_EEESZ_S10_S11_S18_S1C_S1E_T6_T7_T9_mT8_S1G_bDpT10_ENKUlT_T0_E_clISt17integral_constantIbLb0EES1U_EEDaS1P_S1Q_EUlS1P_E_NS1_11comp_targetILNS1_3genE8ELNS1_11target_archE1030ELNS1_3gpuE2ELNS1_3repE0EEENS1_30default_config_static_selectorELNS0_4arch9wavefront6targetE0EEEvS12_.num_vgpr, 0
	.set _ZN7rocprim17ROCPRIM_400000_NS6detail17trampoline_kernelINS0_13select_configILj256ELj13ELNS0_17block_load_methodE3ELS4_3ELS4_3ELNS0_20block_scan_algorithmE0ELj4294967295EEENS1_25partition_config_selectorILNS1_17partition_subalgoE4EjNS0_10empty_typeEbEEZZNS1_14partition_implILS8_4ELb0ES6_15HIP_vector_typeIjLj2EENS0_17counting_iteratorIjlEEPS9_SG_NS0_5tupleIJPjSI_NS0_16reverse_iteratorISI_EEEEENSH_IJSG_SG_SG_EEES9_SI_JZNS1_25segmented_radix_sort_implINS0_14default_configELb0EPKsPsPKlPlN2at6native12_GLOBAL__N_18offset_tEEE10hipError_tPvRmT1_PNSt15iterator_traitsIS12_E10value_typeET2_T3_PNS13_IS18_E10value_typeET4_jRbjT5_S1E_jjP12ihipStream_tbEUljE_ZNSN_ISO_Lb0ESQ_SR_ST_SU_SY_EESZ_S10_S11_S12_S16_S17_S18_S1B_S1C_jS1D_jS1E_S1E_jjS1G_bEUljE0_EEESZ_S10_S11_S18_S1C_S1E_T6_T7_T9_mT8_S1G_bDpT10_ENKUlT_T0_E_clISt17integral_constantIbLb0EES1U_EEDaS1P_S1Q_EUlS1P_E_NS1_11comp_targetILNS1_3genE8ELNS1_11target_archE1030ELNS1_3gpuE2ELNS1_3repE0EEENS1_30default_config_static_selectorELNS0_4arch9wavefront6targetE0EEEvS12_.num_agpr, 0
	.set _ZN7rocprim17ROCPRIM_400000_NS6detail17trampoline_kernelINS0_13select_configILj256ELj13ELNS0_17block_load_methodE3ELS4_3ELS4_3ELNS0_20block_scan_algorithmE0ELj4294967295EEENS1_25partition_config_selectorILNS1_17partition_subalgoE4EjNS0_10empty_typeEbEEZZNS1_14partition_implILS8_4ELb0ES6_15HIP_vector_typeIjLj2EENS0_17counting_iteratorIjlEEPS9_SG_NS0_5tupleIJPjSI_NS0_16reverse_iteratorISI_EEEEENSH_IJSG_SG_SG_EEES9_SI_JZNS1_25segmented_radix_sort_implINS0_14default_configELb0EPKsPsPKlPlN2at6native12_GLOBAL__N_18offset_tEEE10hipError_tPvRmT1_PNSt15iterator_traitsIS12_E10value_typeET2_T3_PNS13_IS18_E10value_typeET4_jRbjT5_S1E_jjP12ihipStream_tbEUljE_ZNSN_ISO_Lb0ESQ_SR_ST_SU_SY_EESZ_S10_S11_S12_S16_S17_S18_S1B_S1C_jS1D_jS1E_S1E_jjS1G_bEUljE0_EEESZ_S10_S11_S18_S1C_S1E_T6_T7_T9_mT8_S1G_bDpT10_ENKUlT_T0_E_clISt17integral_constantIbLb0EES1U_EEDaS1P_S1Q_EUlS1P_E_NS1_11comp_targetILNS1_3genE8ELNS1_11target_archE1030ELNS1_3gpuE2ELNS1_3repE0EEENS1_30default_config_static_selectorELNS0_4arch9wavefront6targetE0EEEvS12_.numbered_sgpr, 0
	.set _ZN7rocprim17ROCPRIM_400000_NS6detail17trampoline_kernelINS0_13select_configILj256ELj13ELNS0_17block_load_methodE3ELS4_3ELS4_3ELNS0_20block_scan_algorithmE0ELj4294967295EEENS1_25partition_config_selectorILNS1_17partition_subalgoE4EjNS0_10empty_typeEbEEZZNS1_14partition_implILS8_4ELb0ES6_15HIP_vector_typeIjLj2EENS0_17counting_iteratorIjlEEPS9_SG_NS0_5tupleIJPjSI_NS0_16reverse_iteratorISI_EEEEENSH_IJSG_SG_SG_EEES9_SI_JZNS1_25segmented_radix_sort_implINS0_14default_configELb0EPKsPsPKlPlN2at6native12_GLOBAL__N_18offset_tEEE10hipError_tPvRmT1_PNSt15iterator_traitsIS12_E10value_typeET2_T3_PNS13_IS18_E10value_typeET4_jRbjT5_S1E_jjP12ihipStream_tbEUljE_ZNSN_ISO_Lb0ESQ_SR_ST_SU_SY_EESZ_S10_S11_S12_S16_S17_S18_S1B_S1C_jS1D_jS1E_S1E_jjS1G_bEUljE0_EEESZ_S10_S11_S18_S1C_S1E_T6_T7_T9_mT8_S1G_bDpT10_ENKUlT_T0_E_clISt17integral_constantIbLb0EES1U_EEDaS1P_S1Q_EUlS1P_E_NS1_11comp_targetILNS1_3genE8ELNS1_11target_archE1030ELNS1_3gpuE2ELNS1_3repE0EEENS1_30default_config_static_selectorELNS0_4arch9wavefront6targetE0EEEvS12_.num_named_barrier, 0
	.set _ZN7rocprim17ROCPRIM_400000_NS6detail17trampoline_kernelINS0_13select_configILj256ELj13ELNS0_17block_load_methodE3ELS4_3ELS4_3ELNS0_20block_scan_algorithmE0ELj4294967295EEENS1_25partition_config_selectorILNS1_17partition_subalgoE4EjNS0_10empty_typeEbEEZZNS1_14partition_implILS8_4ELb0ES6_15HIP_vector_typeIjLj2EENS0_17counting_iteratorIjlEEPS9_SG_NS0_5tupleIJPjSI_NS0_16reverse_iteratorISI_EEEEENSH_IJSG_SG_SG_EEES9_SI_JZNS1_25segmented_radix_sort_implINS0_14default_configELb0EPKsPsPKlPlN2at6native12_GLOBAL__N_18offset_tEEE10hipError_tPvRmT1_PNSt15iterator_traitsIS12_E10value_typeET2_T3_PNS13_IS18_E10value_typeET4_jRbjT5_S1E_jjP12ihipStream_tbEUljE_ZNSN_ISO_Lb0ESQ_SR_ST_SU_SY_EESZ_S10_S11_S12_S16_S17_S18_S1B_S1C_jS1D_jS1E_S1E_jjS1G_bEUljE0_EEESZ_S10_S11_S18_S1C_S1E_T6_T7_T9_mT8_S1G_bDpT10_ENKUlT_T0_E_clISt17integral_constantIbLb0EES1U_EEDaS1P_S1Q_EUlS1P_E_NS1_11comp_targetILNS1_3genE8ELNS1_11target_archE1030ELNS1_3gpuE2ELNS1_3repE0EEENS1_30default_config_static_selectorELNS0_4arch9wavefront6targetE0EEEvS12_.private_seg_size, 0
	.set _ZN7rocprim17ROCPRIM_400000_NS6detail17trampoline_kernelINS0_13select_configILj256ELj13ELNS0_17block_load_methodE3ELS4_3ELS4_3ELNS0_20block_scan_algorithmE0ELj4294967295EEENS1_25partition_config_selectorILNS1_17partition_subalgoE4EjNS0_10empty_typeEbEEZZNS1_14partition_implILS8_4ELb0ES6_15HIP_vector_typeIjLj2EENS0_17counting_iteratorIjlEEPS9_SG_NS0_5tupleIJPjSI_NS0_16reverse_iteratorISI_EEEEENSH_IJSG_SG_SG_EEES9_SI_JZNS1_25segmented_radix_sort_implINS0_14default_configELb0EPKsPsPKlPlN2at6native12_GLOBAL__N_18offset_tEEE10hipError_tPvRmT1_PNSt15iterator_traitsIS12_E10value_typeET2_T3_PNS13_IS18_E10value_typeET4_jRbjT5_S1E_jjP12ihipStream_tbEUljE_ZNSN_ISO_Lb0ESQ_SR_ST_SU_SY_EESZ_S10_S11_S12_S16_S17_S18_S1B_S1C_jS1D_jS1E_S1E_jjS1G_bEUljE0_EEESZ_S10_S11_S18_S1C_S1E_T6_T7_T9_mT8_S1G_bDpT10_ENKUlT_T0_E_clISt17integral_constantIbLb0EES1U_EEDaS1P_S1Q_EUlS1P_E_NS1_11comp_targetILNS1_3genE8ELNS1_11target_archE1030ELNS1_3gpuE2ELNS1_3repE0EEENS1_30default_config_static_selectorELNS0_4arch9wavefront6targetE0EEEvS12_.uses_vcc, 0
	.set _ZN7rocprim17ROCPRIM_400000_NS6detail17trampoline_kernelINS0_13select_configILj256ELj13ELNS0_17block_load_methodE3ELS4_3ELS4_3ELNS0_20block_scan_algorithmE0ELj4294967295EEENS1_25partition_config_selectorILNS1_17partition_subalgoE4EjNS0_10empty_typeEbEEZZNS1_14partition_implILS8_4ELb0ES6_15HIP_vector_typeIjLj2EENS0_17counting_iteratorIjlEEPS9_SG_NS0_5tupleIJPjSI_NS0_16reverse_iteratorISI_EEEEENSH_IJSG_SG_SG_EEES9_SI_JZNS1_25segmented_radix_sort_implINS0_14default_configELb0EPKsPsPKlPlN2at6native12_GLOBAL__N_18offset_tEEE10hipError_tPvRmT1_PNSt15iterator_traitsIS12_E10value_typeET2_T3_PNS13_IS18_E10value_typeET4_jRbjT5_S1E_jjP12ihipStream_tbEUljE_ZNSN_ISO_Lb0ESQ_SR_ST_SU_SY_EESZ_S10_S11_S12_S16_S17_S18_S1B_S1C_jS1D_jS1E_S1E_jjS1G_bEUljE0_EEESZ_S10_S11_S18_S1C_S1E_T6_T7_T9_mT8_S1G_bDpT10_ENKUlT_T0_E_clISt17integral_constantIbLb0EES1U_EEDaS1P_S1Q_EUlS1P_E_NS1_11comp_targetILNS1_3genE8ELNS1_11target_archE1030ELNS1_3gpuE2ELNS1_3repE0EEENS1_30default_config_static_selectorELNS0_4arch9wavefront6targetE0EEEvS12_.uses_flat_scratch, 0
	.set _ZN7rocprim17ROCPRIM_400000_NS6detail17trampoline_kernelINS0_13select_configILj256ELj13ELNS0_17block_load_methodE3ELS4_3ELS4_3ELNS0_20block_scan_algorithmE0ELj4294967295EEENS1_25partition_config_selectorILNS1_17partition_subalgoE4EjNS0_10empty_typeEbEEZZNS1_14partition_implILS8_4ELb0ES6_15HIP_vector_typeIjLj2EENS0_17counting_iteratorIjlEEPS9_SG_NS0_5tupleIJPjSI_NS0_16reverse_iteratorISI_EEEEENSH_IJSG_SG_SG_EEES9_SI_JZNS1_25segmented_radix_sort_implINS0_14default_configELb0EPKsPsPKlPlN2at6native12_GLOBAL__N_18offset_tEEE10hipError_tPvRmT1_PNSt15iterator_traitsIS12_E10value_typeET2_T3_PNS13_IS18_E10value_typeET4_jRbjT5_S1E_jjP12ihipStream_tbEUljE_ZNSN_ISO_Lb0ESQ_SR_ST_SU_SY_EESZ_S10_S11_S12_S16_S17_S18_S1B_S1C_jS1D_jS1E_S1E_jjS1G_bEUljE0_EEESZ_S10_S11_S18_S1C_S1E_T6_T7_T9_mT8_S1G_bDpT10_ENKUlT_T0_E_clISt17integral_constantIbLb0EES1U_EEDaS1P_S1Q_EUlS1P_E_NS1_11comp_targetILNS1_3genE8ELNS1_11target_archE1030ELNS1_3gpuE2ELNS1_3repE0EEENS1_30default_config_static_selectorELNS0_4arch9wavefront6targetE0EEEvS12_.has_dyn_sized_stack, 0
	.set _ZN7rocprim17ROCPRIM_400000_NS6detail17trampoline_kernelINS0_13select_configILj256ELj13ELNS0_17block_load_methodE3ELS4_3ELS4_3ELNS0_20block_scan_algorithmE0ELj4294967295EEENS1_25partition_config_selectorILNS1_17partition_subalgoE4EjNS0_10empty_typeEbEEZZNS1_14partition_implILS8_4ELb0ES6_15HIP_vector_typeIjLj2EENS0_17counting_iteratorIjlEEPS9_SG_NS0_5tupleIJPjSI_NS0_16reverse_iteratorISI_EEEEENSH_IJSG_SG_SG_EEES9_SI_JZNS1_25segmented_radix_sort_implINS0_14default_configELb0EPKsPsPKlPlN2at6native12_GLOBAL__N_18offset_tEEE10hipError_tPvRmT1_PNSt15iterator_traitsIS12_E10value_typeET2_T3_PNS13_IS18_E10value_typeET4_jRbjT5_S1E_jjP12ihipStream_tbEUljE_ZNSN_ISO_Lb0ESQ_SR_ST_SU_SY_EESZ_S10_S11_S12_S16_S17_S18_S1B_S1C_jS1D_jS1E_S1E_jjS1G_bEUljE0_EEESZ_S10_S11_S18_S1C_S1E_T6_T7_T9_mT8_S1G_bDpT10_ENKUlT_T0_E_clISt17integral_constantIbLb0EES1U_EEDaS1P_S1Q_EUlS1P_E_NS1_11comp_targetILNS1_3genE8ELNS1_11target_archE1030ELNS1_3gpuE2ELNS1_3repE0EEENS1_30default_config_static_selectorELNS0_4arch9wavefront6targetE0EEEvS12_.has_recursion, 0
	.set _ZN7rocprim17ROCPRIM_400000_NS6detail17trampoline_kernelINS0_13select_configILj256ELj13ELNS0_17block_load_methodE3ELS4_3ELS4_3ELNS0_20block_scan_algorithmE0ELj4294967295EEENS1_25partition_config_selectorILNS1_17partition_subalgoE4EjNS0_10empty_typeEbEEZZNS1_14partition_implILS8_4ELb0ES6_15HIP_vector_typeIjLj2EENS0_17counting_iteratorIjlEEPS9_SG_NS0_5tupleIJPjSI_NS0_16reverse_iteratorISI_EEEEENSH_IJSG_SG_SG_EEES9_SI_JZNS1_25segmented_radix_sort_implINS0_14default_configELb0EPKsPsPKlPlN2at6native12_GLOBAL__N_18offset_tEEE10hipError_tPvRmT1_PNSt15iterator_traitsIS12_E10value_typeET2_T3_PNS13_IS18_E10value_typeET4_jRbjT5_S1E_jjP12ihipStream_tbEUljE_ZNSN_ISO_Lb0ESQ_SR_ST_SU_SY_EESZ_S10_S11_S12_S16_S17_S18_S1B_S1C_jS1D_jS1E_S1E_jjS1G_bEUljE0_EEESZ_S10_S11_S18_S1C_S1E_T6_T7_T9_mT8_S1G_bDpT10_ENKUlT_T0_E_clISt17integral_constantIbLb0EES1U_EEDaS1P_S1Q_EUlS1P_E_NS1_11comp_targetILNS1_3genE8ELNS1_11target_archE1030ELNS1_3gpuE2ELNS1_3repE0EEENS1_30default_config_static_selectorELNS0_4arch9wavefront6targetE0EEEvS12_.has_indirect_call, 0
	.section	.AMDGPU.csdata,"",@progbits
; Kernel info:
; codeLenInByte = 0
; TotalNumSgprs: 0
; NumVgprs: 0
; ScratchSize: 0
; MemoryBound: 0
; FloatMode: 240
; IeeeMode: 1
; LDSByteSize: 0 bytes/workgroup (compile time only)
; SGPRBlocks: 0
; VGPRBlocks: 0
; NumSGPRsForWavesPerEU: 1
; NumVGPRsForWavesPerEU: 1
; NamedBarCnt: 0
; Occupancy: 16
; WaveLimiterHint : 0
; COMPUTE_PGM_RSRC2:SCRATCH_EN: 0
; COMPUTE_PGM_RSRC2:USER_SGPR: 2
; COMPUTE_PGM_RSRC2:TRAP_HANDLER: 0
; COMPUTE_PGM_RSRC2:TGID_X_EN: 1
; COMPUTE_PGM_RSRC2:TGID_Y_EN: 0
; COMPUTE_PGM_RSRC2:TGID_Z_EN: 0
; COMPUTE_PGM_RSRC2:TIDIG_COMP_CNT: 0
	.section	.text._ZN7rocprim17ROCPRIM_400000_NS6detail17trampoline_kernelINS0_13select_configILj256ELj13ELNS0_17block_load_methodE3ELS4_3ELS4_3ELNS0_20block_scan_algorithmE0ELj4294967295EEENS1_25partition_config_selectorILNS1_17partition_subalgoE4EjNS0_10empty_typeEbEEZZNS1_14partition_implILS8_4ELb0ES6_15HIP_vector_typeIjLj2EENS0_17counting_iteratorIjlEEPS9_SG_NS0_5tupleIJPjSI_NS0_16reverse_iteratorISI_EEEEENSH_IJSG_SG_SG_EEES9_SI_JZNS1_25segmented_radix_sort_implINS0_14default_configELb0EPKsPsPKlPlN2at6native12_GLOBAL__N_18offset_tEEE10hipError_tPvRmT1_PNSt15iterator_traitsIS12_E10value_typeET2_T3_PNS13_IS18_E10value_typeET4_jRbjT5_S1E_jjP12ihipStream_tbEUljE_ZNSN_ISO_Lb0ESQ_SR_ST_SU_SY_EESZ_S10_S11_S12_S16_S17_S18_S1B_S1C_jS1D_jS1E_S1E_jjS1G_bEUljE0_EEESZ_S10_S11_S18_S1C_S1E_T6_T7_T9_mT8_S1G_bDpT10_ENKUlT_T0_E_clISt17integral_constantIbLb1EES1U_EEDaS1P_S1Q_EUlS1P_E_NS1_11comp_targetILNS1_3genE0ELNS1_11target_archE4294967295ELNS1_3gpuE0ELNS1_3repE0EEENS1_30default_config_static_selectorELNS0_4arch9wavefront6targetE0EEEvS12_,"axG",@progbits,_ZN7rocprim17ROCPRIM_400000_NS6detail17trampoline_kernelINS0_13select_configILj256ELj13ELNS0_17block_load_methodE3ELS4_3ELS4_3ELNS0_20block_scan_algorithmE0ELj4294967295EEENS1_25partition_config_selectorILNS1_17partition_subalgoE4EjNS0_10empty_typeEbEEZZNS1_14partition_implILS8_4ELb0ES6_15HIP_vector_typeIjLj2EENS0_17counting_iteratorIjlEEPS9_SG_NS0_5tupleIJPjSI_NS0_16reverse_iteratorISI_EEEEENSH_IJSG_SG_SG_EEES9_SI_JZNS1_25segmented_radix_sort_implINS0_14default_configELb0EPKsPsPKlPlN2at6native12_GLOBAL__N_18offset_tEEE10hipError_tPvRmT1_PNSt15iterator_traitsIS12_E10value_typeET2_T3_PNS13_IS18_E10value_typeET4_jRbjT5_S1E_jjP12ihipStream_tbEUljE_ZNSN_ISO_Lb0ESQ_SR_ST_SU_SY_EESZ_S10_S11_S12_S16_S17_S18_S1B_S1C_jS1D_jS1E_S1E_jjS1G_bEUljE0_EEESZ_S10_S11_S18_S1C_S1E_T6_T7_T9_mT8_S1G_bDpT10_ENKUlT_T0_E_clISt17integral_constantIbLb1EES1U_EEDaS1P_S1Q_EUlS1P_E_NS1_11comp_targetILNS1_3genE0ELNS1_11target_archE4294967295ELNS1_3gpuE0ELNS1_3repE0EEENS1_30default_config_static_selectorELNS0_4arch9wavefront6targetE0EEEvS12_,comdat
	.globl	_ZN7rocprim17ROCPRIM_400000_NS6detail17trampoline_kernelINS0_13select_configILj256ELj13ELNS0_17block_load_methodE3ELS4_3ELS4_3ELNS0_20block_scan_algorithmE0ELj4294967295EEENS1_25partition_config_selectorILNS1_17partition_subalgoE4EjNS0_10empty_typeEbEEZZNS1_14partition_implILS8_4ELb0ES6_15HIP_vector_typeIjLj2EENS0_17counting_iteratorIjlEEPS9_SG_NS0_5tupleIJPjSI_NS0_16reverse_iteratorISI_EEEEENSH_IJSG_SG_SG_EEES9_SI_JZNS1_25segmented_radix_sort_implINS0_14default_configELb0EPKsPsPKlPlN2at6native12_GLOBAL__N_18offset_tEEE10hipError_tPvRmT1_PNSt15iterator_traitsIS12_E10value_typeET2_T3_PNS13_IS18_E10value_typeET4_jRbjT5_S1E_jjP12ihipStream_tbEUljE_ZNSN_ISO_Lb0ESQ_SR_ST_SU_SY_EESZ_S10_S11_S12_S16_S17_S18_S1B_S1C_jS1D_jS1E_S1E_jjS1G_bEUljE0_EEESZ_S10_S11_S18_S1C_S1E_T6_T7_T9_mT8_S1G_bDpT10_ENKUlT_T0_E_clISt17integral_constantIbLb1EES1U_EEDaS1P_S1Q_EUlS1P_E_NS1_11comp_targetILNS1_3genE0ELNS1_11target_archE4294967295ELNS1_3gpuE0ELNS1_3repE0EEENS1_30default_config_static_selectorELNS0_4arch9wavefront6targetE0EEEvS12_ ; -- Begin function _ZN7rocprim17ROCPRIM_400000_NS6detail17trampoline_kernelINS0_13select_configILj256ELj13ELNS0_17block_load_methodE3ELS4_3ELS4_3ELNS0_20block_scan_algorithmE0ELj4294967295EEENS1_25partition_config_selectorILNS1_17partition_subalgoE4EjNS0_10empty_typeEbEEZZNS1_14partition_implILS8_4ELb0ES6_15HIP_vector_typeIjLj2EENS0_17counting_iteratorIjlEEPS9_SG_NS0_5tupleIJPjSI_NS0_16reverse_iteratorISI_EEEEENSH_IJSG_SG_SG_EEES9_SI_JZNS1_25segmented_radix_sort_implINS0_14default_configELb0EPKsPsPKlPlN2at6native12_GLOBAL__N_18offset_tEEE10hipError_tPvRmT1_PNSt15iterator_traitsIS12_E10value_typeET2_T3_PNS13_IS18_E10value_typeET4_jRbjT5_S1E_jjP12ihipStream_tbEUljE_ZNSN_ISO_Lb0ESQ_SR_ST_SU_SY_EESZ_S10_S11_S12_S16_S17_S18_S1B_S1C_jS1D_jS1E_S1E_jjS1G_bEUljE0_EEESZ_S10_S11_S18_S1C_S1E_T6_T7_T9_mT8_S1G_bDpT10_ENKUlT_T0_E_clISt17integral_constantIbLb1EES1U_EEDaS1P_S1Q_EUlS1P_E_NS1_11comp_targetILNS1_3genE0ELNS1_11target_archE4294967295ELNS1_3gpuE0ELNS1_3repE0EEENS1_30default_config_static_selectorELNS0_4arch9wavefront6targetE0EEEvS12_
	.p2align	8
	.type	_ZN7rocprim17ROCPRIM_400000_NS6detail17trampoline_kernelINS0_13select_configILj256ELj13ELNS0_17block_load_methodE3ELS4_3ELS4_3ELNS0_20block_scan_algorithmE0ELj4294967295EEENS1_25partition_config_selectorILNS1_17partition_subalgoE4EjNS0_10empty_typeEbEEZZNS1_14partition_implILS8_4ELb0ES6_15HIP_vector_typeIjLj2EENS0_17counting_iteratorIjlEEPS9_SG_NS0_5tupleIJPjSI_NS0_16reverse_iteratorISI_EEEEENSH_IJSG_SG_SG_EEES9_SI_JZNS1_25segmented_radix_sort_implINS0_14default_configELb0EPKsPsPKlPlN2at6native12_GLOBAL__N_18offset_tEEE10hipError_tPvRmT1_PNSt15iterator_traitsIS12_E10value_typeET2_T3_PNS13_IS18_E10value_typeET4_jRbjT5_S1E_jjP12ihipStream_tbEUljE_ZNSN_ISO_Lb0ESQ_SR_ST_SU_SY_EESZ_S10_S11_S12_S16_S17_S18_S1B_S1C_jS1D_jS1E_S1E_jjS1G_bEUljE0_EEESZ_S10_S11_S18_S1C_S1E_T6_T7_T9_mT8_S1G_bDpT10_ENKUlT_T0_E_clISt17integral_constantIbLb1EES1U_EEDaS1P_S1Q_EUlS1P_E_NS1_11comp_targetILNS1_3genE0ELNS1_11target_archE4294967295ELNS1_3gpuE0ELNS1_3repE0EEENS1_30default_config_static_selectorELNS0_4arch9wavefront6targetE0EEEvS12_,@function
_ZN7rocprim17ROCPRIM_400000_NS6detail17trampoline_kernelINS0_13select_configILj256ELj13ELNS0_17block_load_methodE3ELS4_3ELS4_3ELNS0_20block_scan_algorithmE0ELj4294967295EEENS1_25partition_config_selectorILNS1_17partition_subalgoE4EjNS0_10empty_typeEbEEZZNS1_14partition_implILS8_4ELb0ES6_15HIP_vector_typeIjLj2EENS0_17counting_iteratorIjlEEPS9_SG_NS0_5tupleIJPjSI_NS0_16reverse_iteratorISI_EEEEENSH_IJSG_SG_SG_EEES9_SI_JZNS1_25segmented_radix_sort_implINS0_14default_configELb0EPKsPsPKlPlN2at6native12_GLOBAL__N_18offset_tEEE10hipError_tPvRmT1_PNSt15iterator_traitsIS12_E10value_typeET2_T3_PNS13_IS18_E10value_typeET4_jRbjT5_S1E_jjP12ihipStream_tbEUljE_ZNSN_ISO_Lb0ESQ_SR_ST_SU_SY_EESZ_S10_S11_S12_S16_S17_S18_S1B_S1C_jS1D_jS1E_S1E_jjS1G_bEUljE0_EEESZ_S10_S11_S18_S1C_S1E_T6_T7_T9_mT8_S1G_bDpT10_ENKUlT_T0_E_clISt17integral_constantIbLb1EES1U_EEDaS1P_S1Q_EUlS1P_E_NS1_11comp_targetILNS1_3genE0ELNS1_11target_archE4294967295ELNS1_3gpuE0ELNS1_3repE0EEENS1_30default_config_static_selectorELNS0_4arch9wavefront6targetE0EEEvS12_: ; @_ZN7rocprim17ROCPRIM_400000_NS6detail17trampoline_kernelINS0_13select_configILj256ELj13ELNS0_17block_load_methodE3ELS4_3ELS4_3ELNS0_20block_scan_algorithmE0ELj4294967295EEENS1_25partition_config_selectorILNS1_17partition_subalgoE4EjNS0_10empty_typeEbEEZZNS1_14partition_implILS8_4ELb0ES6_15HIP_vector_typeIjLj2EENS0_17counting_iteratorIjlEEPS9_SG_NS0_5tupleIJPjSI_NS0_16reverse_iteratorISI_EEEEENSH_IJSG_SG_SG_EEES9_SI_JZNS1_25segmented_radix_sort_implINS0_14default_configELb0EPKsPsPKlPlN2at6native12_GLOBAL__N_18offset_tEEE10hipError_tPvRmT1_PNSt15iterator_traitsIS12_E10value_typeET2_T3_PNS13_IS18_E10value_typeET4_jRbjT5_S1E_jjP12ihipStream_tbEUljE_ZNSN_ISO_Lb0ESQ_SR_ST_SU_SY_EESZ_S10_S11_S12_S16_S17_S18_S1B_S1C_jS1D_jS1E_S1E_jjS1G_bEUljE0_EEESZ_S10_S11_S18_S1C_S1E_T6_T7_T9_mT8_S1G_bDpT10_ENKUlT_T0_E_clISt17integral_constantIbLb1EES1U_EEDaS1P_S1Q_EUlS1P_E_NS1_11comp_targetILNS1_3genE0ELNS1_11target_archE4294967295ELNS1_3gpuE0ELNS1_3repE0EEENS1_30default_config_static_selectorELNS0_4arch9wavefront6targetE0EEEvS12_
; %bb.0:
	s_endpgm
	.section	.rodata,"a",@progbits
	.p2align	6, 0x0
	.amdhsa_kernel _ZN7rocprim17ROCPRIM_400000_NS6detail17trampoline_kernelINS0_13select_configILj256ELj13ELNS0_17block_load_methodE3ELS4_3ELS4_3ELNS0_20block_scan_algorithmE0ELj4294967295EEENS1_25partition_config_selectorILNS1_17partition_subalgoE4EjNS0_10empty_typeEbEEZZNS1_14partition_implILS8_4ELb0ES6_15HIP_vector_typeIjLj2EENS0_17counting_iteratorIjlEEPS9_SG_NS0_5tupleIJPjSI_NS0_16reverse_iteratorISI_EEEEENSH_IJSG_SG_SG_EEES9_SI_JZNS1_25segmented_radix_sort_implINS0_14default_configELb0EPKsPsPKlPlN2at6native12_GLOBAL__N_18offset_tEEE10hipError_tPvRmT1_PNSt15iterator_traitsIS12_E10value_typeET2_T3_PNS13_IS18_E10value_typeET4_jRbjT5_S1E_jjP12ihipStream_tbEUljE_ZNSN_ISO_Lb0ESQ_SR_ST_SU_SY_EESZ_S10_S11_S12_S16_S17_S18_S1B_S1C_jS1D_jS1E_S1E_jjS1G_bEUljE0_EEESZ_S10_S11_S18_S1C_S1E_T6_T7_T9_mT8_S1G_bDpT10_ENKUlT_T0_E_clISt17integral_constantIbLb1EES1U_EEDaS1P_S1Q_EUlS1P_E_NS1_11comp_targetILNS1_3genE0ELNS1_11target_archE4294967295ELNS1_3gpuE0ELNS1_3repE0EEENS1_30default_config_static_selectorELNS0_4arch9wavefront6targetE0EEEvS12_
		.amdhsa_group_segment_fixed_size 0
		.amdhsa_private_segment_fixed_size 0
		.amdhsa_kernarg_size 184
		.amdhsa_user_sgpr_count 2
		.amdhsa_user_sgpr_dispatch_ptr 0
		.amdhsa_user_sgpr_queue_ptr 0
		.amdhsa_user_sgpr_kernarg_segment_ptr 1
		.amdhsa_user_sgpr_dispatch_id 0
		.amdhsa_user_sgpr_kernarg_preload_length 0
		.amdhsa_user_sgpr_kernarg_preload_offset 0
		.amdhsa_user_sgpr_private_segment_size 0
		.amdhsa_wavefront_size32 1
		.amdhsa_uses_dynamic_stack 0
		.amdhsa_enable_private_segment 0
		.amdhsa_system_sgpr_workgroup_id_x 1
		.amdhsa_system_sgpr_workgroup_id_y 0
		.amdhsa_system_sgpr_workgroup_id_z 0
		.amdhsa_system_sgpr_workgroup_info 0
		.amdhsa_system_vgpr_workitem_id 0
		.amdhsa_next_free_vgpr 1
		.amdhsa_next_free_sgpr 1
		.amdhsa_named_barrier_count 0
		.amdhsa_reserve_vcc 0
		.amdhsa_float_round_mode_32 0
		.amdhsa_float_round_mode_16_64 0
		.amdhsa_float_denorm_mode_32 3
		.amdhsa_float_denorm_mode_16_64 3
		.amdhsa_fp16_overflow 0
		.amdhsa_memory_ordered 1
		.amdhsa_forward_progress 1
		.amdhsa_inst_pref_size 1
		.amdhsa_round_robin_scheduling 0
		.amdhsa_exception_fp_ieee_invalid_op 0
		.amdhsa_exception_fp_denorm_src 0
		.amdhsa_exception_fp_ieee_div_zero 0
		.amdhsa_exception_fp_ieee_overflow 0
		.amdhsa_exception_fp_ieee_underflow 0
		.amdhsa_exception_fp_ieee_inexact 0
		.amdhsa_exception_int_div_zero 0
	.end_amdhsa_kernel
	.section	.text._ZN7rocprim17ROCPRIM_400000_NS6detail17trampoline_kernelINS0_13select_configILj256ELj13ELNS0_17block_load_methodE3ELS4_3ELS4_3ELNS0_20block_scan_algorithmE0ELj4294967295EEENS1_25partition_config_selectorILNS1_17partition_subalgoE4EjNS0_10empty_typeEbEEZZNS1_14partition_implILS8_4ELb0ES6_15HIP_vector_typeIjLj2EENS0_17counting_iteratorIjlEEPS9_SG_NS0_5tupleIJPjSI_NS0_16reverse_iteratorISI_EEEEENSH_IJSG_SG_SG_EEES9_SI_JZNS1_25segmented_radix_sort_implINS0_14default_configELb0EPKsPsPKlPlN2at6native12_GLOBAL__N_18offset_tEEE10hipError_tPvRmT1_PNSt15iterator_traitsIS12_E10value_typeET2_T3_PNS13_IS18_E10value_typeET4_jRbjT5_S1E_jjP12ihipStream_tbEUljE_ZNSN_ISO_Lb0ESQ_SR_ST_SU_SY_EESZ_S10_S11_S12_S16_S17_S18_S1B_S1C_jS1D_jS1E_S1E_jjS1G_bEUljE0_EEESZ_S10_S11_S18_S1C_S1E_T6_T7_T9_mT8_S1G_bDpT10_ENKUlT_T0_E_clISt17integral_constantIbLb1EES1U_EEDaS1P_S1Q_EUlS1P_E_NS1_11comp_targetILNS1_3genE0ELNS1_11target_archE4294967295ELNS1_3gpuE0ELNS1_3repE0EEENS1_30default_config_static_selectorELNS0_4arch9wavefront6targetE0EEEvS12_,"axG",@progbits,_ZN7rocprim17ROCPRIM_400000_NS6detail17trampoline_kernelINS0_13select_configILj256ELj13ELNS0_17block_load_methodE3ELS4_3ELS4_3ELNS0_20block_scan_algorithmE0ELj4294967295EEENS1_25partition_config_selectorILNS1_17partition_subalgoE4EjNS0_10empty_typeEbEEZZNS1_14partition_implILS8_4ELb0ES6_15HIP_vector_typeIjLj2EENS0_17counting_iteratorIjlEEPS9_SG_NS0_5tupleIJPjSI_NS0_16reverse_iteratorISI_EEEEENSH_IJSG_SG_SG_EEES9_SI_JZNS1_25segmented_radix_sort_implINS0_14default_configELb0EPKsPsPKlPlN2at6native12_GLOBAL__N_18offset_tEEE10hipError_tPvRmT1_PNSt15iterator_traitsIS12_E10value_typeET2_T3_PNS13_IS18_E10value_typeET4_jRbjT5_S1E_jjP12ihipStream_tbEUljE_ZNSN_ISO_Lb0ESQ_SR_ST_SU_SY_EESZ_S10_S11_S12_S16_S17_S18_S1B_S1C_jS1D_jS1E_S1E_jjS1G_bEUljE0_EEESZ_S10_S11_S18_S1C_S1E_T6_T7_T9_mT8_S1G_bDpT10_ENKUlT_T0_E_clISt17integral_constantIbLb1EES1U_EEDaS1P_S1Q_EUlS1P_E_NS1_11comp_targetILNS1_3genE0ELNS1_11target_archE4294967295ELNS1_3gpuE0ELNS1_3repE0EEENS1_30default_config_static_selectorELNS0_4arch9wavefront6targetE0EEEvS12_,comdat
.Lfunc_end953:
	.size	_ZN7rocprim17ROCPRIM_400000_NS6detail17trampoline_kernelINS0_13select_configILj256ELj13ELNS0_17block_load_methodE3ELS4_3ELS4_3ELNS0_20block_scan_algorithmE0ELj4294967295EEENS1_25partition_config_selectorILNS1_17partition_subalgoE4EjNS0_10empty_typeEbEEZZNS1_14partition_implILS8_4ELb0ES6_15HIP_vector_typeIjLj2EENS0_17counting_iteratorIjlEEPS9_SG_NS0_5tupleIJPjSI_NS0_16reverse_iteratorISI_EEEEENSH_IJSG_SG_SG_EEES9_SI_JZNS1_25segmented_radix_sort_implINS0_14default_configELb0EPKsPsPKlPlN2at6native12_GLOBAL__N_18offset_tEEE10hipError_tPvRmT1_PNSt15iterator_traitsIS12_E10value_typeET2_T3_PNS13_IS18_E10value_typeET4_jRbjT5_S1E_jjP12ihipStream_tbEUljE_ZNSN_ISO_Lb0ESQ_SR_ST_SU_SY_EESZ_S10_S11_S12_S16_S17_S18_S1B_S1C_jS1D_jS1E_S1E_jjS1G_bEUljE0_EEESZ_S10_S11_S18_S1C_S1E_T6_T7_T9_mT8_S1G_bDpT10_ENKUlT_T0_E_clISt17integral_constantIbLb1EES1U_EEDaS1P_S1Q_EUlS1P_E_NS1_11comp_targetILNS1_3genE0ELNS1_11target_archE4294967295ELNS1_3gpuE0ELNS1_3repE0EEENS1_30default_config_static_selectorELNS0_4arch9wavefront6targetE0EEEvS12_, .Lfunc_end953-_ZN7rocprim17ROCPRIM_400000_NS6detail17trampoline_kernelINS0_13select_configILj256ELj13ELNS0_17block_load_methodE3ELS4_3ELS4_3ELNS0_20block_scan_algorithmE0ELj4294967295EEENS1_25partition_config_selectorILNS1_17partition_subalgoE4EjNS0_10empty_typeEbEEZZNS1_14partition_implILS8_4ELb0ES6_15HIP_vector_typeIjLj2EENS0_17counting_iteratorIjlEEPS9_SG_NS0_5tupleIJPjSI_NS0_16reverse_iteratorISI_EEEEENSH_IJSG_SG_SG_EEES9_SI_JZNS1_25segmented_radix_sort_implINS0_14default_configELb0EPKsPsPKlPlN2at6native12_GLOBAL__N_18offset_tEEE10hipError_tPvRmT1_PNSt15iterator_traitsIS12_E10value_typeET2_T3_PNS13_IS18_E10value_typeET4_jRbjT5_S1E_jjP12ihipStream_tbEUljE_ZNSN_ISO_Lb0ESQ_SR_ST_SU_SY_EESZ_S10_S11_S12_S16_S17_S18_S1B_S1C_jS1D_jS1E_S1E_jjS1G_bEUljE0_EEESZ_S10_S11_S18_S1C_S1E_T6_T7_T9_mT8_S1G_bDpT10_ENKUlT_T0_E_clISt17integral_constantIbLb1EES1U_EEDaS1P_S1Q_EUlS1P_E_NS1_11comp_targetILNS1_3genE0ELNS1_11target_archE4294967295ELNS1_3gpuE0ELNS1_3repE0EEENS1_30default_config_static_selectorELNS0_4arch9wavefront6targetE0EEEvS12_
                                        ; -- End function
	.set _ZN7rocprim17ROCPRIM_400000_NS6detail17trampoline_kernelINS0_13select_configILj256ELj13ELNS0_17block_load_methodE3ELS4_3ELS4_3ELNS0_20block_scan_algorithmE0ELj4294967295EEENS1_25partition_config_selectorILNS1_17partition_subalgoE4EjNS0_10empty_typeEbEEZZNS1_14partition_implILS8_4ELb0ES6_15HIP_vector_typeIjLj2EENS0_17counting_iteratorIjlEEPS9_SG_NS0_5tupleIJPjSI_NS0_16reverse_iteratorISI_EEEEENSH_IJSG_SG_SG_EEES9_SI_JZNS1_25segmented_radix_sort_implINS0_14default_configELb0EPKsPsPKlPlN2at6native12_GLOBAL__N_18offset_tEEE10hipError_tPvRmT1_PNSt15iterator_traitsIS12_E10value_typeET2_T3_PNS13_IS18_E10value_typeET4_jRbjT5_S1E_jjP12ihipStream_tbEUljE_ZNSN_ISO_Lb0ESQ_SR_ST_SU_SY_EESZ_S10_S11_S12_S16_S17_S18_S1B_S1C_jS1D_jS1E_S1E_jjS1G_bEUljE0_EEESZ_S10_S11_S18_S1C_S1E_T6_T7_T9_mT8_S1G_bDpT10_ENKUlT_T0_E_clISt17integral_constantIbLb1EES1U_EEDaS1P_S1Q_EUlS1P_E_NS1_11comp_targetILNS1_3genE0ELNS1_11target_archE4294967295ELNS1_3gpuE0ELNS1_3repE0EEENS1_30default_config_static_selectorELNS0_4arch9wavefront6targetE0EEEvS12_.num_vgpr, 0
	.set _ZN7rocprim17ROCPRIM_400000_NS6detail17trampoline_kernelINS0_13select_configILj256ELj13ELNS0_17block_load_methodE3ELS4_3ELS4_3ELNS0_20block_scan_algorithmE0ELj4294967295EEENS1_25partition_config_selectorILNS1_17partition_subalgoE4EjNS0_10empty_typeEbEEZZNS1_14partition_implILS8_4ELb0ES6_15HIP_vector_typeIjLj2EENS0_17counting_iteratorIjlEEPS9_SG_NS0_5tupleIJPjSI_NS0_16reverse_iteratorISI_EEEEENSH_IJSG_SG_SG_EEES9_SI_JZNS1_25segmented_radix_sort_implINS0_14default_configELb0EPKsPsPKlPlN2at6native12_GLOBAL__N_18offset_tEEE10hipError_tPvRmT1_PNSt15iterator_traitsIS12_E10value_typeET2_T3_PNS13_IS18_E10value_typeET4_jRbjT5_S1E_jjP12ihipStream_tbEUljE_ZNSN_ISO_Lb0ESQ_SR_ST_SU_SY_EESZ_S10_S11_S12_S16_S17_S18_S1B_S1C_jS1D_jS1E_S1E_jjS1G_bEUljE0_EEESZ_S10_S11_S18_S1C_S1E_T6_T7_T9_mT8_S1G_bDpT10_ENKUlT_T0_E_clISt17integral_constantIbLb1EES1U_EEDaS1P_S1Q_EUlS1P_E_NS1_11comp_targetILNS1_3genE0ELNS1_11target_archE4294967295ELNS1_3gpuE0ELNS1_3repE0EEENS1_30default_config_static_selectorELNS0_4arch9wavefront6targetE0EEEvS12_.num_agpr, 0
	.set _ZN7rocprim17ROCPRIM_400000_NS6detail17trampoline_kernelINS0_13select_configILj256ELj13ELNS0_17block_load_methodE3ELS4_3ELS4_3ELNS0_20block_scan_algorithmE0ELj4294967295EEENS1_25partition_config_selectorILNS1_17partition_subalgoE4EjNS0_10empty_typeEbEEZZNS1_14partition_implILS8_4ELb0ES6_15HIP_vector_typeIjLj2EENS0_17counting_iteratorIjlEEPS9_SG_NS0_5tupleIJPjSI_NS0_16reverse_iteratorISI_EEEEENSH_IJSG_SG_SG_EEES9_SI_JZNS1_25segmented_radix_sort_implINS0_14default_configELb0EPKsPsPKlPlN2at6native12_GLOBAL__N_18offset_tEEE10hipError_tPvRmT1_PNSt15iterator_traitsIS12_E10value_typeET2_T3_PNS13_IS18_E10value_typeET4_jRbjT5_S1E_jjP12ihipStream_tbEUljE_ZNSN_ISO_Lb0ESQ_SR_ST_SU_SY_EESZ_S10_S11_S12_S16_S17_S18_S1B_S1C_jS1D_jS1E_S1E_jjS1G_bEUljE0_EEESZ_S10_S11_S18_S1C_S1E_T6_T7_T9_mT8_S1G_bDpT10_ENKUlT_T0_E_clISt17integral_constantIbLb1EES1U_EEDaS1P_S1Q_EUlS1P_E_NS1_11comp_targetILNS1_3genE0ELNS1_11target_archE4294967295ELNS1_3gpuE0ELNS1_3repE0EEENS1_30default_config_static_selectorELNS0_4arch9wavefront6targetE0EEEvS12_.numbered_sgpr, 0
	.set _ZN7rocprim17ROCPRIM_400000_NS6detail17trampoline_kernelINS0_13select_configILj256ELj13ELNS0_17block_load_methodE3ELS4_3ELS4_3ELNS0_20block_scan_algorithmE0ELj4294967295EEENS1_25partition_config_selectorILNS1_17partition_subalgoE4EjNS0_10empty_typeEbEEZZNS1_14partition_implILS8_4ELb0ES6_15HIP_vector_typeIjLj2EENS0_17counting_iteratorIjlEEPS9_SG_NS0_5tupleIJPjSI_NS0_16reverse_iteratorISI_EEEEENSH_IJSG_SG_SG_EEES9_SI_JZNS1_25segmented_radix_sort_implINS0_14default_configELb0EPKsPsPKlPlN2at6native12_GLOBAL__N_18offset_tEEE10hipError_tPvRmT1_PNSt15iterator_traitsIS12_E10value_typeET2_T3_PNS13_IS18_E10value_typeET4_jRbjT5_S1E_jjP12ihipStream_tbEUljE_ZNSN_ISO_Lb0ESQ_SR_ST_SU_SY_EESZ_S10_S11_S12_S16_S17_S18_S1B_S1C_jS1D_jS1E_S1E_jjS1G_bEUljE0_EEESZ_S10_S11_S18_S1C_S1E_T6_T7_T9_mT8_S1G_bDpT10_ENKUlT_T0_E_clISt17integral_constantIbLb1EES1U_EEDaS1P_S1Q_EUlS1P_E_NS1_11comp_targetILNS1_3genE0ELNS1_11target_archE4294967295ELNS1_3gpuE0ELNS1_3repE0EEENS1_30default_config_static_selectorELNS0_4arch9wavefront6targetE0EEEvS12_.num_named_barrier, 0
	.set _ZN7rocprim17ROCPRIM_400000_NS6detail17trampoline_kernelINS0_13select_configILj256ELj13ELNS0_17block_load_methodE3ELS4_3ELS4_3ELNS0_20block_scan_algorithmE0ELj4294967295EEENS1_25partition_config_selectorILNS1_17partition_subalgoE4EjNS0_10empty_typeEbEEZZNS1_14partition_implILS8_4ELb0ES6_15HIP_vector_typeIjLj2EENS0_17counting_iteratorIjlEEPS9_SG_NS0_5tupleIJPjSI_NS0_16reverse_iteratorISI_EEEEENSH_IJSG_SG_SG_EEES9_SI_JZNS1_25segmented_radix_sort_implINS0_14default_configELb0EPKsPsPKlPlN2at6native12_GLOBAL__N_18offset_tEEE10hipError_tPvRmT1_PNSt15iterator_traitsIS12_E10value_typeET2_T3_PNS13_IS18_E10value_typeET4_jRbjT5_S1E_jjP12ihipStream_tbEUljE_ZNSN_ISO_Lb0ESQ_SR_ST_SU_SY_EESZ_S10_S11_S12_S16_S17_S18_S1B_S1C_jS1D_jS1E_S1E_jjS1G_bEUljE0_EEESZ_S10_S11_S18_S1C_S1E_T6_T7_T9_mT8_S1G_bDpT10_ENKUlT_T0_E_clISt17integral_constantIbLb1EES1U_EEDaS1P_S1Q_EUlS1P_E_NS1_11comp_targetILNS1_3genE0ELNS1_11target_archE4294967295ELNS1_3gpuE0ELNS1_3repE0EEENS1_30default_config_static_selectorELNS0_4arch9wavefront6targetE0EEEvS12_.private_seg_size, 0
	.set _ZN7rocprim17ROCPRIM_400000_NS6detail17trampoline_kernelINS0_13select_configILj256ELj13ELNS0_17block_load_methodE3ELS4_3ELS4_3ELNS0_20block_scan_algorithmE0ELj4294967295EEENS1_25partition_config_selectorILNS1_17partition_subalgoE4EjNS0_10empty_typeEbEEZZNS1_14partition_implILS8_4ELb0ES6_15HIP_vector_typeIjLj2EENS0_17counting_iteratorIjlEEPS9_SG_NS0_5tupleIJPjSI_NS0_16reverse_iteratorISI_EEEEENSH_IJSG_SG_SG_EEES9_SI_JZNS1_25segmented_radix_sort_implINS0_14default_configELb0EPKsPsPKlPlN2at6native12_GLOBAL__N_18offset_tEEE10hipError_tPvRmT1_PNSt15iterator_traitsIS12_E10value_typeET2_T3_PNS13_IS18_E10value_typeET4_jRbjT5_S1E_jjP12ihipStream_tbEUljE_ZNSN_ISO_Lb0ESQ_SR_ST_SU_SY_EESZ_S10_S11_S12_S16_S17_S18_S1B_S1C_jS1D_jS1E_S1E_jjS1G_bEUljE0_EEESZ_S10_S11_S18_S1C_S1E_T6_T7_T9_mT8_S1G_bDpT10_ENKUlT_T0_E_clISt17integral_constantIbLb1EES1U_EEDaS1P_S1Q_EUlS1P_E_NS1_11comp_targetILNS1_3genE0ELNS1_11target_archE4294967295ELNS1_3gpuE0ELNS1_3repE0EEENS1_30default_config_static_selectorELNS0_4arch9wavefront6targetE0EEEvS12_.uses_vcc, 0
	.set _ZN7rocprim17ROCPRIM_400000_NS6detail17trampoline_kernelINS0_13select_configILj256ELj13ELNS0_17block_load_methodE3ELS4_3ELS4_3ELNS0_20block_scan_algorithmE0ELj4294967295EEENS1_25partition_config_selectorILNS1_17partition_subalgoE4EjNS0_10empty_typeEbEEZZNS1_14partition_implILS8_4ELb0ES6_15HIP_vector_typeIjLj2EENS0_17counting_iteratorIjlEEPS9_SG_NS0_5tupleIJPjSI_NS0_16reverse_iteratorISI_EEEEENSH_IJSG_SG_SG_EEES9_SI_JZNS1_25segmented_radix_sort_implINS0_14default_configELb0EPKsPsPKlPlN2at6native12_GLOBAL__N_18offset_tEEE10hipError_tPvRmT1_PNSt15iterator_traitsIS12_E10value_typeET2_T3_PNS13_IS18_E10value_typeET4_jRbjT5_S1E_jjP12ihipStream_tbEUljE_ZNSN_ISO_Lb0ESQ_SR_ST_SU_SY_EESZ_S10_S11_S12_S16_S17_S18_S1B_S1C_jS1D_jS1E_S1E_jjS1G_bEUljE0_EEESZ_S10_S11_S18_S1C_S1E_T6_T7_T9_mT8_S1G_bDpT10_ENKUlT_T0_E_clISt17integral_constantIbLb1EES1U_EEDaS1P_S1Q_EUlS1P_E_NS1_11comp_targetILNS1_3genE0ELNS1_11target_archE4294967295ELNS1_3gpuE0ELNS1_3repE0EEENS1_30default_config_static_selectorELNS0_4arch9wavefront6targetE0EEEvS12_.uses_flat_scratch, 0
	.set _ZN7rocprim17ROCPRIM_400000_NS6detail17trampoline_kernelINS0_13select_configILj256ELj13ELNS0_17block_load_methodE3ELS4_3ELS4_3ELNS0_20block_scan_algorithmE0ELj4294967295EEENS1_25partition_config_selectorILNS1_17partition_subalgoE4EjNS0_10empty_typeEbEEZZNS1_14partition_implILS8_4ELb0ES6_15HIP_vector_typeIjLj2EENS0_17counting_iteratorIjlEEPS9_SG_NS0_5tupleIJPjSI_NS0_16reverse_iteratorISI_EEEEENSH_IJSG_SG_SG_EEES9_SI_JZNS1_25segmented_radix_sort_implINS0_14default_configELb0EPKsPsPKlPlN2at6native12_GLOBAL__N_18offset_tEEE10hipError_tPvRmT1_PNSt15iterator_traitsIS12_E10value_typeET2_T3_PNS13_IS18_E10value_typeET4_jRbjT5_S1E_jjP12ihipStream_tbEUljE_ZNSN_ISO_Lb0ESQ_SR_ST_SU_SY_EESZ_S10_S11_S12_S16_S17_S18_S1B_S1C_jS1D_jS1E_S1E_jjS1G_bEUljE0_EEESZ_S10_S11_S18_S1C_S1E_T6_T7_T9_mT8_S1G_bDpT10_ENKUlT_T0_E_clISt17integral_constantIbLb1EES1U_EEDaS1P_S1Q_EUlS1P_E_NS1_11comp_targetILNS1_3genE0ELNS1_11target_archE4294967295ELNS1_3gpuE0ELNS1_3repE0EEENS1_30default_config_static_selectorELNS0_4arch9wavefront6targetE0EEEvS12_.has_dyn_sized_stack, 0
	.set _ZN7rocprim17ROCPRIM_400000_NS6detail17trampoline_kernelINS0_13select_configILj256ELj13ELNS0_17block_load_methodE3ELS4_3ELS4_3ELNS0_20block_scan_algorithmE0ELj4294967295EEENS1_25partition_config_selectorILNS1_17partition_subalgoE4EjNS0_10empty_typeEbEEZZNS1_14partition_implILS8_4ELb0ES6_15HIP_vector_typeIjLj2EENS0_17counting_iteratorIjlEEPS9_SG_NS0_5tupleIJPjSI_NS0_16reverse_iteratorISI_EEEEENSH_IJSG_SG_SG_EEES9_SI_JZNS1_25segmented_radix_sort_implINS0_14default_configELb0EPKsPsPKlPlN2at6native12_GLOBAL__N_18offset_tEEE10hipError_tPvRmT1_PNSt15iterator_traitsIS12_E10value_typeET2_T3_PNS13_IS18_E10value_typeET4_jRbjT5_S1E_jjP12ihipStream_tbEUljE_ZNSN_ISO_Lb0ESQ_SR_ST_SU_SY_EESZ_S10_S11_S12_S16_S17_S18_S1B_S1C_jS1D_jS1E_S1E_jjS1G_bEUljE0_EEESZ_S10_S11_S18_S1C_S1E_T6_T7_T9_mT8_S1G_bDpT10_ENKUlT_T0_E_clISt17integral_constantIbLb1EES1U_EEDaS1P_S1Q_EUlS1P_E_NS1_11comp_targetILNS1_3genE0ELNS1_11target_archE4294967295ELNS1_3gpuE0ELNS1_3repE0EEENS1_30default_config_static_selectorELNS0_4arch9wavefront6targetE0EEEvS12_.has_recursion, 0
	.set _ZN7rocprim17ROCPRIM_400000_NS6detail17trampoline_kernelINS0_13select_configILj256ELj13ELNS0_17block_load_methodE3ELS4_3ELS4_3ELNS0_20block_scan_algorithmE0ELj4294967295EEENS1_25partition_config_selectorILNS1_17partition_subalgoE4EjNS0_10empty_typeEbEEZZNS1_14partition_implILS8_4ELb0ES6_15HIP_vector_typeIjLj2EENS0_17counting_iteratorIjlEEPS9_SG_NS0_5tupleIJPjSI_NS0_16reverse_iteratorISI_EEEEENSH_IJSG_SG_SG_EEES9_SI_JZNS1_25segmented_radix_sort_implINS0_14default_configELb0EPKsPsPKlPlN2at6native12_GLOBAL__N_18offset_tEEE10hipError_tPvRmT1_PNSt15iterator_traitsIS12_E10value_typeET2_T3_PNS13_IS18_E10value_typeET4_jRbjT5_S1E_jjP12ihipStream_tbEUljE_ZNSN_ISO_Lb0ESQ_SR_ST_SU_SY_EESZ_S10_S11_S12_S16_S17_S18_S1B_S1C_jS1D_jS1E_S1E_jjS1G_bEUljE0_EEESZ_S10_S11_S18_S1C_S1E_T6_T7_T9_mT8_S1G_bDpT10_ENKUlT_T0_E_clISt17integral_constantIbLb1EES1U_EEDaS1P_S1Q_EUlS1P_E_NS1_11comp_targetILNS1_3genE0ELNS1_11target_archE4294967295ELNS1_3gpuE0ELNS1_3repE0EEENS1_30default_config_static_selectorELNS0_4arch9wavefront6targetE0EEEvS12_.has_indirect_call, 0
	.section	.AMDGPU.csdata,"",@progbits
; Kernel info:
; codeLenInByte = 4
; TotalNumSgprs: 0
; NumVgprs: 0
; ScratchSize: 0
; MemoryBound: 0
; FloatMode: 240
; IeeeMode: 1
; LDSByteSize: 0 bytes/workgroup (compile time only)
; SGPRBlocks: 0
; VGPRBlocks: 0
; NumSGPRsForWavesPerEU: 1
; NumVGPRsForWavesPerEU: 1
; NamedBarCnt: 0
; Occupancy: 16
; WaveLimiterHint : 0
; COMPUTE_PGM_RSRC2:SCRATCH_EN: 0
; COMPUTE_PGM_RSRC2:USER_SGPR: 2
; COMPUTE_PGM_RSRC2:TRAP_HANDLER: 0
; COMPUTE_PGM_RSRC2:TGID_X_EN: 1
; COMPUTE_PGM_RSRC2:TGID_Y_EN: 0
; COMPUTE_PGM_RSRC2:TGID_Z_EN: 0
; COMPUTE_PGM_RSRC2:TIDIG_COMP_CNT: 0
	.section	.text._ZN7rocprim17ROCPRIM_400000_NS6detail17trampoline_kernelINS0_13select_configILj256ELj13ELNS0_17block_load_methodE3ELS4_3ELS4_3ELNS0_20block_scan_algorithmE0ELj4294967295EEENS1_25partition_config_selectorILNS1_17partition_subalgoE4EjNS0_10empty_typeEbEEZZNS1_14partition_implILS8_4ELb0ES6_15HIP_vector_typeIjLj2EENS0_17counting_iteratorIjlEEPS9_SG_NS0_5tupleIJPjSI_NS0_16reverse_iteratorISI_EEEEENSH_IJSG_SG_SG_EEES9_SI_JZNS1_25segmented_radix_sort_implINS0_14default_configELb0EPKsPsPKlPlN2at6native12_GLOBAL__N_18offset_tEEE10hipError_tPvRmT1_PNSt15iterator_traitsIS12_E10value_typeET2_T3_PNS13_IS18_E10value_typeET4_jRbjT5_S1E_jjP12ihipStream_tbEUljE_ZNSN_ISO_Lb0ESQ_SR_ST_SU_SY_EESZ_S10_S11_S12_S16_S17_S18_S1B_S1C_jS1D_jS1E_S1E_jjS1G_bEUljE0_EEESZ_S10_S11_S18_S1C_S1E_T6_T7_T9_mT8_S1G_bDpT10_ENKUlT_T0_E_clISt17integral_constantIbLb1EES1U_EEDaS1P_S1Q_EUlS1P_E_NS1_11comp_targetILNS1_3genE5ELNS1_11target_archE942ELNS1_3gpuE9ELNS1_3repE0EEENS1_30default_config_static_selectorELNS0_4arch9wavefront6targetE0EEEvS12_,"axG",@progbits,_ZN7rocprim17ROCPRIM_400000_NS6detail17trampoline_kernelINS0_13select_configILj256ELj13ELNS0_17block_load_methodE3ELS4_3ELS4_3ELNS0_20block_scan_algorithmE0ELj4294967295EEENS1_25partition_config_selectorILNS1_17partition_subalgoE4EjNS0_10empty_typeEbEEZZNS1_14partition_implILS8_4ELb0ES6_15HIP_vector_typeIjLj2EENS0_17counting_iteratorIjlEEPS9_SG_NS0_5tupleIJPjSI_NS0_16reverse_iteratorISI_EEEEENSH_IJSG_SG_SG_EEES9_SI_JZNS1_25segmented_radix_sort_implINS0_14default_configELb0EPKsPsPKlPlN2at6native12_GLOBAL__N_18offset_tEEE10hipError_tPvRmT1_PNSt15iterator_traitsIS12_E10value_typeET2_T3_PNS13_IS18_E10value_typeET4_jRbjT5_S1E_jjP12ihipStream_tbEUljE_ZNSN_ISO_Lb0ESQ_SR_ST_SU_SY_EESZ_S10_S11_S12_S16_S17_S18_S1B_S1C_jS1D_jS1E_S1E_jjS1G_bEUljE0_EEESZ_S10_S11_S18_S1C_S1E_T6_T7_T9_mT8_S1G_bDpT10_ENKUlT_T0_E_clISt17integral_constantIbLb1EES1U_EEDaS1P_S1Q_EUlS1P_E_NS1_11comp_targetILNS1_3genE5ELNS1_11target_archE942ELNS1_3gpuE9ELNS1_3repE0EEENS1_30default_config_static_selectorELNS0_4arch9wavefront6targetE0EEEvS12_,comdat
	.globl	_ZN7rocprim17ROCPRIM_400000_NS6detail17trampoline_kernelINS0_13select_configILj256ELj13ELNS0_17block_load_methodE3ELS4_3ELS4_3ELNS0_20block_scan_algorithmE0ELj4294967295EEENS1_25partition_config_selectorILNS1_17partition_subalgoE4EjNS0_10empty_typeEbEEZZNS1_14partition_implILS8_4ELb0ES6_15HIP_vector_typeIjLj2EENS0_17counting_iteratorIjlEEPS9_SG_NS0_5tupleIJPjSI_NS0_16reverse_iteratorISI_EEEEENSH_IJSG_SG_SG_EEES9_SI_JZNS1_25segmented_radix_sort_implINS0_14default_configELb0EPKsPsPKlPlN2at6native12_GLOBAL__N_18offset_tEEE10hipError_tPvRmT1_PNSt15iterator_traitsIS12_E10value_typeET2_T3_PNS13_IS18_E10value_typeET4_jRbjT5_S1E_jjP12ihipStream_tbEUljE_ZNSN_ISO_Lb0ESQ_SR_ST_SU_SY_EESZ_S10_S11_S12_S16_S17_S18_S1B_S1C_jS1D_jS1E_S1E_jjS1G_bEUljE0_EEESZ_S10_S11_S18_S1C_S1E_T6_T7_T9_mT8_S1G_bDpT10_ENKUlT_T0_E_clISt17integral_constantIbLb1EES1U_EEDaS1P_S1Q_EUlS1P_E_NS1_11comp_targetILNS1_3genE5ELNS1_11target_archE942ELNS1_3gpuE9ELNS1_3repE0EEENS1_30default_config_static_selectorELNS0_4arch9wavefront6targetE0EEEvS12_ ; -- Begin function _ZN7rocprim17ROCPRIM_400000_NS6detail17trampoline_kernelINS0_13select_configILj256ELj13ELNS0_17block_load_methodE3ELS4_3ELS4_3ELNS0_20block_scan_algorithmE0ELj4294967295EEENS1_25partition_config_selectorILNS1_17partition_subalgoE4EjNS0_10empty_typeEbEEZZNS1_14partition_implILS8_4ELb0ES6_15HIP_vector_typeIjLj2EENS0_17counting_iteratorIjlEEPS9_SG_NS0_5tupleIJPjSI_NS0_16reverse_iteratorISI_EEEEENSH_IJSG_SG_SG_EEES9_SI_JZNS1_25segmented_radix_sort_implINS0_14default_configELb0EPKsPsPKlPlN2at6native12_GLOBAL__N_18offset_tEEE10hipError_tPvRmT1_PNSt15iterator_traitsIS12_E10value_typeET2_T3_PNS13_IS18_E10value_typeET4_jRbjT5_S1E_jjP12ihipStream_tbEUljE_ZNSN_ISO_Lb0ESQ_SR_ST_SU_SY_EESZ_S10_S11_S12_S16_S17_S18_S1B_S1C_jS1D_jS1E_S1E_jjS1G_bEUljE0_EEESZ_S10_S11_S18_S1C_S1E_T6_T7_T9_mT8_S1G_bDpT10_ENKUlT_T0_E_clISt17integral_constantIbLb1EES1U_EEDaS1P_S1Q_EUlS1P_E_NS1_11comp_targetILNS1_3genE5ELNS1_11target_archE942ELNS1_3gpuE9ELNS1_3repE0EEENS1_30default_config_static_selectorELNS0_4arch9wavefront6targetE0EEEvS12_
	.p2align	8
	.type	_ZN7rocprim17ROCPRIM_400000_NS6detail17trampoline_kernelINS0_13select_configILj256ELj13ELNS0_17block_load_methodE3ELS4_3ELS4_3ELNS0_20block_scan_algorithmE0ELj4294967295EEENS1_25partition_config_selectorILNS1_17partition_subalgoE4EjNS0_10empty_typeEbEEZZNS1_14partition_implILS8_4ELb0ES6_15HIP_vector_typeIjLj2EENS0_17counting_iteratorIjlEEPS9_SG_NS0_5tupleIJPjSI_NS0_16reverse_iteratorISI_EEEEENSH_IJSG_SG_SG_EEES9_SI_JZNS1_25segmented_radix_sort_implINS0_14default_configELb0EPKsPsPKlPlN2at6native12_GLOBAL__N_18offset_tEEE10hipError_tPvRmT1_PNSt15iterator_traitsIS12_E10value_typeET2_T3_PNS13_IS18_E10value_typeET4_jRbjT5_S1E_jjP12ihipStream_tbEUljE_ZNSN_ISO_Lb0ESQ_SR_ST_SU_SY_EESZ_S10_S11_S12_S16_S17_S18_S1B_S1C_jS1D_jS1E_S1E_jjS1G_bEUljE0_EEESZ_S10_S11_S18_S1C_S1E_T6_T7_T9_mT8_S1G_bDpT10_ENKUlT_T0_E_clISt17integral_constantIbLb1EES1U_EEDaS1P_S1Q_EUlS1P_E_NS1_11comp_targetILNS1_3genE5ELNS1_11target_archE942ELNS1_3gpuE9ELNS1_3repE0EEENS1_30default_config_static_selectorELNS0_4arch9wavefront6targetE0EEEvS12_,@function
_ZN7rocprim17ROCPRIM_400000_NS6detail17trampoline_kernelINS0_13select_configILj256ELj13ELNS0_17block_load_methodE3ELS4_3ELS4_3ELNS0_20block_scan_algorithmE0ELj4294967295EEENS1_25partition_config_selectorILNS1_17partition_subalgoE4EjNS0_10empty_typeEbEEZZNS1_14partition_implILS8_4ELb0ES6_15HIP_vector_typeIjLj2EENS0_17counting_iteratorIjlEEPS9_SG_NS0_5tupleIJPjSI_NS0_16reverse_iteratorISI_EEEEENSH_IJSG_SG_SG_EEES9_SI_JZNS1_25segmented_radix_sort_implINS0_14default_configELb0EPKsPsPKlPlN2at6native12_GLOBAL__N_18offset_tEEE10hipError_tPvRmT1_PNSt15iterator_traitsIS12_E10value_typeET2_T3_PNS13_IS18_E10value_typeET4_jRbjT5_S1E_jjP12ihipStream_tbEUljE_ZNSN_ISO_Lb0ESQ_SR_ST_SU_SY_EESZ_S10_S11_S12_S16_S17_S18_S1B_S1C_jS1D_jS1E_S1E_jjS1G_bEUljE0_EEESZ_S10_S11_S18_S1C_S1E_T6_T7_T9_mT8_S1G_bDpT10_ENKUlT_T0_E_clISt17integral_constantIbLb1EES1U_EEDaS1P_S1Q_EUlS1P_E_NS1_11comp_targetILNS1_3genE5ELNS1_11target_archE942ELNS1_3gpuE9ELNS1_3repE0EEENS1_30default_config_static_selectorELNS0_4arch9wavefront6targetE0EEEvS12_: ; @_ZN7rocprim17ROCPRIM_400000_NS6detail17trampoline_kernelINS0_13select_configILj256ELj13ELNS0_17block_load_methodE3ELS4_3ELS4_3ELNS0_20block_scan_algorithmE0ELj4294967295EEENS1_25partition_config_selectorILNS1_17partition_subalgoE4EjNS0_10empty_typeEbEEZZNS1_14partition_implILS8_4ELb0ES6_15HIP_vector_typeIjLj2EENS0_17counting_iteratorIjlEEPS9_SG_NS0_5tupleIJPjSI_NS0_16reverse_iteratorISI_EEEEENSH_IJSG_SG_SG_EEES9_SI_JZNS1_25segmented_radix_sort_implINS0_14default_configELb0EPKsPsPKlPlN2at6native12_GLOBAL__N_18offset_tEEE10hipError_tPvRmT1_PNSt15iterator_traitsIS12_E10value_typeET2_T3_PNS13_IS18_E10value_typeET4_jRbjT5_S1E_jjP12ihipStream_tbEUljE_ZNSN_ISO_Lb0ESQ_SR_ST_SU_SY_EESZ_S10_S11_S12_S16_S17_S18_S1B_S1C_jS1D_jS1E_S1E_jjS1G_bEUljE0_EEESZ_S10_S11_S18_S1C_S1E_T6_T7_T9_mT8_S1G_bDpT10_ENKUlT_T0_E_clISt17integral_constantIbLb1EES1U_EEDaS1P_S1Q_EUlS1P_E_NS1_11comp_targetILNS1_3genE5ELNS1_11target_archE942ELNS1_3gpuE9ELNS1_3repE0EEENS1_30default_config_static_selectorELNS0_4arch9wavefront6targetE0EEEvS12_
; %bb.0:
	.section	.rodata,"a",@progbits
	.p2align	6, 0x0
	.amdhsa_kernel _ZN7rocprim17ROCPRIM_400000_NS6detail17trampoline_kernelINS0_13select_configILj256ELj13ELNS0_17block_load_methodE3ELS4_3ELS4_3ELNS0_20block_scan_algorithmE0ELj4294967295EEENS1_25partition_config_selectorILNS1_17partition_subalgoE4EjNS0_10empty_typeEbEEZZNS1_14partition_implILS8_4ELb0ES6_15HIP_vector_typeIjLj2EENS0_17counting_iteratorIjlEEPS9_SG_NS0_5tupleIJPjSI_NS0_16reverse_iteratorISI_EEEEENSH_IJSG_SG_SG_EEES9_SI_JZNS1_25segmented_radix_sort_implINS0_14default_configELb0EPKsPsPKlPlN2at6native12_GLOBAL__N_18offset_tEEE10hipError_tPvRmT1_PNSt15iterator_traitsIS12_E10value_typeET2_T3_PNS13_IS18_E10value_typeET4_jRbjT5_S1E_jjP12ihipStream_tbEUljE_ZNSN_ISO_Lb0ESQ_SR_ST_SU_SY_EESZ_S10_S11_S12_S16_S17_S18_S1B_S1C_jS1D_jS1E_S1E_jjS1G_bEUljE0_EEESZ_S10_S11_S18_S1C_S1E_T6_T7_T9_mT8_S1G_bDpT10_ENKUlT_T0_E_clISt17integral_constantIbLb1EES1U_EEDaS1P_S1Q_EUlS1P_E_NS1_11comp_targetILNS1_3genE5ELNS1_11target_archE942ELNS1_3gpuE9ELNS1_3repE0EEENS1_30default_config_static_selectorELNS0_4arch9wavefront6targetE0EEEvS12_
		.amdhsa_group_segment_fixed_size 0
		.amdhsa_private_segment_fixed_size 0
		.amdhsa_kernarg_size 184
		.amdhsa_user_sgpr_count 2
		.amdhsa_user_sgpr_dispatch_ptr 0
		.amdhsa_user_sgpr_queue_ptr 0
		.amdhsa_user_sgpr_kernarg_segment_ptr 1
		.amdhsa_user_sgpr_dispatch_id 0
		.amdhsa_user_sgpr_kernarg_preload_length 0
		.amdhsa_user_sgpr_kernarg_preload_offset 0
		.amdhsa_user_sgpr_private_segment_size 0
		.amdhsa_wavefront_size32 1
		.amdhsa_uses_dynamic_stack 0
		.amdhsa_enable_private_segment 0
		.amdhsa_system_sgpr_workgroup_id_x 1
		.amdhsa_system_sgpr_workgroup_id_y 0
		.amdhsa_system_sgpr_workgroup_id_z 0
		.amdhsa_system_sgpr_workgroup_info 0
		.amdhsa_system_vgpr_workitem_id 0
		.amdhsa_next_free_vgpr 1
		.amdhsa_next_free_sgpr 1
		.amdhsa_named_barrier_count 0
		.amdhsa_reserve_vcc 0
		.amdhsa_float_round_mode_32 0
		.amdhsa_float_round_mode_16_64 0
		.amdhsa_float_denorm_mode_32 3
		.amdhsa_float_denorm_mode_16_64 3
		.amdhsa_fp16_overflow 0
		.amdhsa_memory_ordered 1
		.amdhsa_forward_progress 1
		.amdhsa_inst_pref_size 0
		.amdhsa_round_robin_scheduling 0
		.amdhsa_exception_fp_ieee_invalid_op 0
		.amdhsa_exception_fp_denorm_src 0
		.amdhsa_exception_fp_ieee_div_zero 0
		.amdhsa_exception_fp_ieee_overflow 0
		.amdhsa_exception_fp_ieee_underflow 0
		.amdhsa_exception_fp_ieee_inexact 0
		.amdhsa_exception_int_div_zero 0
	.end_amdhsa_kernel
	.section	.text._ZN7rocprim17ROCPRIM_400000_NS6detail17trampoline_kernelINS0_13select_configILj256ELj13ELNS0_17block_load_methodE3ELS4_3ELS4_3ELNS0_20block_scan_algorithmE0ELj4294967295EEENS1_25partition_config_selectorILNS1_17partition_subalgoE4EjNS0_10empty_typeEbEEZZNS1_14partition_implILS8_4ELb0ES6_15HIP_vector_typeIjLj2EENS0_17counting_iteratorIjlEEPS9_SG_NS0_5tupleIJPjSI_NS0_16reverse_iteratorISI_EEEEENSH_IJSG_SG_SG_EEES9_SI_JZNS1_25segmented_radix_sort_implINS0_14default_configELb0EPKsPsPKlPlN2at6native12_GLOBAL__N_18offset_tEEE10hipError_tPvRmT1_PNSt15iterator_traitsIS12_E10value_typeET2_T3_PNS13_IS18_E10value_typeET4_jRbjT5_S1E_jjP12ihipStream_tbEUljE_ZNSN_ISO_Lb0ESQ_SR_ST_SU_SY_EESZ_S10_S11_S12_S16_S17_S18_S1B_S1C_jS1D_jS1E_S1E_jjS1G_bEUljE0_EEESZ_S10_S11_S18_S1C_S1E_T6_T7_T9_mT8_S1G_bDpT10_ENKUlT_T0_E_clISt17integral_constantIbLb1EES1U_EEDaS1P_S1Q_EUlS1P_E_NS1_11comp_targetILNS1_3genE5ELNS1_11target_archE942ELNS1_3gpuE9ELNS1_3repE0EEENS1_30default_config_static_selectorELNS0_4arch9wavefront6targetE0EEEvS12_,"axG",@progbits,_ZN7rocprim17ROCPRIM_400000_NS6detail17trampoline_kernelINS0_13select_configILj256ELj13ELNS0_17block_load_methodE3ELS4_3ELS4_3ELNS0_20block_scan_algorithmE0ELj4294967295EEENS1_25partition_config_selectorILNS1_17partition_subalgoE4EjNS0_10empty_typeEbEEZZNS1_14partition_implILS8_4ELb0ES6_15HIP_vector_typeIjLj2EENS0_17counting_iteratorIjlEEPS9_SG_NS0_5tupleIJPjSI_NS0_16reverse_iteratorISI_EEEEENSH_IJSG_SG_SG_EEES9_SI_JZNS1_25segmented_radix_sort_implINS0_14default_configELb0EPKsPsPKlPlN2at6native12_GLOBAL__N_18offset_tEEE10hipError_tPvRmT1_PNSt15iterator_traitsIS12_E10value_typeET2_T3_PNS13_IS18_E10value_typeET4_jRbjT5_S1E_jjP12ihipStream_tbEUljE_ZNSN_ISO_Lb0ESQ_SR_ST_SU_SY_EESZ_S10_S11_S12_S16_S17_S18_S1B_S1C_jS1D_jS1E_S1E_jjS1G_bEUljE0_EEESZ_S10_S11_S18_S1C_S1E_T6_T7_T9_mT8_S1G_bDpT10_ENKUlT_T0_E_clISt17integral_constantIbLb1EES1U_EEDaS1P_S1Q_EUlS1P_E_NS1_11comp_targetILNS1_3genE5ELNS1_11target_archE942ELNS1_3gpuE9ELNS1_3repE0EEENS1_30default_config_static_selectorELNS0_4arch9wavefront6targetE0EEEvS12_,comdat
.Lfunc_end954:
	.size	_ZN7rocprim17ROCPRIM_400000_NS6detail17trampoline_kernelINS0_13select_configILj256ELj13ELNS0_17block_load_methodE3ELS4_3ELS4_3ELNS0_20block_scan_algorithmE0ELj4294967295EEENS1_25partition_config_selectorILNS1_17partition_subalgoE4EjNS0_10empty_typeEbEEZZNS1_14partition_implILS8_4ELb0ES6_15HIP_vector_typeIjLj2EENS0_17counting_iteratorIjlEEPS9_SG_NS0_5tupleIJPjSI_NS0_16reverse_iteratorISI_EEEEENSH_IJSG_SG_SG_EEES9_SI_JZNS1_25segmented_radix_sort_implINS0_14default_configELb0EPKsPsPKlPlN2at6native12_GLOBAL__N_18offset_tEEE10hipError_tPvRmT1_PNSt15iterator_traitsIS12_E10value_typeET2_T3_PNS13_IS18_E10value_typeET4_jRbjT5_S1E_jjP12ihipStream_tbEUljE_ZNSN_ISO_Lb0ESQ_SR_ST_SU_SY_EESZ_S10_S11_S12_S16_S17_S18_S1B_S1C_jS1D_jS1E_S1E_jjS1G_bEUljE0_EEESZ_S10_S11_S18_S1C_S1E_T6_T7_T9_mT8_S1G_bDpT10_ENKUlT_T0_E_clISt17integral_constantIbLb1EES1U_EEDaS1P_S1Q_EUlS1P_E_NS1_11comp_targetILNS1_3genE5ELNS1_11target_archE942ELNS1_3gpuE9ELNS1_3repE0EEENS1_30default_config_static_selectorELNS0_4arch9wavefront6targetE0EEEvS12_, .Lfunc_end954-_ZN7rocprim17ROCPRIM_400000_NS6detail17trampoline_kernelINS0_13select_configILj256ELj13ELNS0_17block_load_methodE3ELS4_3ELS4_3ELNS0_20block_scan_algorithmE0ELj4294967295EEENS1_25partition_config_selectorILNS1_17partition_subalgoE4EjNS0_10empty_typeEbEEZZNS1_14partition_implILS8_4ELb0ES6_15HIP_vector_typeIjLj2EENS0_17counting_iteratorIjlEEPS9_SG_NS0_5tupleIJPjSI_NS0_16reverse_iteratorISI_EEEEENSH_IJSG_SG_SG_EEES9_SI_JZNS1_25segmented_radix_sort_implINS0_14default_configELb0EPKsPsPKlPlN2at6native12_GLOBAL__N_18offset_tEEE10hipError_tPvRmT1_PNSt15iterator_traitsIS12_E10value_typeET2_T3_PNS13_IS18_E10value_typeET4_jRbjT5_S1E_jjP12ihipStream_tbEUljE_ZNSN_ISO_Lb0ESQ_SR_ST_SU_SY_EESZ_S10_S11_S12_S16_S17_S18_S1B_S1C_jS1D_jS1E_S1E_jjS1G_bEUljE0_EEESZ_S10_S11_S18_S1C_S1E_T6_T7_T9_mT8_S1G_bDpT10_ENKUlT_T0_E_clISt17integral_constantIbLb1EES1U_EEDaS1P_S1Q_EUlS1P_E_NS1_11comp_targetILNS1_3genE5ELNS1_11target_archE942ELNS1_3gpuE9ELNS1_3repE0EEENS1_30default_config_static_selectorELNS0_4arch9wavefront6targetE0EEEvS12_
                                        ; -- End function
	.set _ZN7rocprim17ROCPRIM_400000_NS6detail17trampoline_kernelINS0_13select_configILj256ELj13ELNS0_17block_load_methodE3ELS4_3ELS4_3ELNS0_20block_scan_algorithmE0ELj4294967295EEENS1_25partition_config_selectorILNS1_17partition_subalgoE4EjNS0_10empty_typeEbEEZZNS1_14partition_implILS8_4ELb0ES6_15HIP_vector_typeIjLj2EENS0_17counting_iteratorIjlEEPS9_SG_NS0_5tupleIJPjSI_NS0_16reverse_iteratorISI_EEEEENSH_IJSG_SG_SG_EEES9_SI_JZNS1_25segmented_radix_sort_implINS0_14default_configELb0EPKsPsPKlPlN2at6native12_GLOBAL__N_18offset_tEEE10hipError_tPvRmT1_PNSt15iterator_traitsIS12_E10value_typeET2_T3_PNS13_IS18_E10value_typeET4_jRbjT5_S1E_jjP12ihipStream_tbEUljE_ZNSN_ISO_Lb0ESQ_SR_ST_SU_SY_EESZ_S10_S11_S12_S16_S17_S18_S1B_S1C_jS1D_jS1E_S1E_jjS1G_bEUljE0_EEESZ_S10_S11_S18_S1C_S1E_T6_T7_T9_mT8_S1G_bDpT10_ENKUlT_T0_E_clISt17integral_constantIbLb1EES1U_EEDaS1P_S1Q_EUlS1P_E_NS1_11comp_targetILNS1_3genE5ELNS1_11target_archE942ELNS1_3gpuE9ELNS1_3repE0EEENS1_30default_config_static_selectorELNS0_4arch9wavefront6targetE0EEEvS12_.num_vgpr, 0
	.set _ZN7rocprim17ROCPRIM_400000_NS6detail17trampoline_kernelINS0_13select_configILj256ELj13ELNS0_17block_load_methodE3ELS4_3ELS4_3ELNS0_20block_scan_algorithmE0ELj4294967295EEENS1_25partition_config_selectorILNS1_17partition_subalgoE4EjNS0_10empty_typeEbEEZZNS1_14partition_implILS8_4ELb0ES6_15HIP_vector_typeIjLj2EENS0_17counting_iteratorIjlEEPS9_SG_NS0_5tupleIJPjSI_NS0_16reverse_iteratorISI_EEEEENSH_IJSG_SG_SG_EEES9_SI_JZNS1_25segmented_radix_sort_implINS0_14default_configELb0EPKsPsPKlPlN2at6native12_GLOBAL__N_18offset_tEEE10hipError_tPvRmT1_PNSt15iterator_traitsIS12_E10value_typeET2_T3_PNS13_IS18_E10value_typeET4_jRbjT5_S1E_jjP12ihipStream_tbEUljE_ZNSN_ISO_Lb0ESQ_SR_ST_SU_SY_EESZ_S10_S11_S12_S16_S17_S18_S1B_S1C_jS1D_jS1E_S1E_jjS1G_bEUljE0_EEESZ_S10_S11_S18_S1C_S1E_T6_T7_T9_mT8_S1G_bDpT10_ENKUlT_T0_E_clISt17integral_constantIbLb1EES1U_EEDaS1P_S1Q_EUlS1P_E_NS1_11comp_targetILNS1_3genE5ELNS1_11target_archE942ELNS1_3gpuE9ELNS1_3repE0EEENS1_30default_config_static_selectorELNS0_4arch9wavefront6targetE0EEEvS12_.num_agpr, 0
	.set _ZN7rocprim17ROCPRIM_400000_NS6detail17trampoline_kernelINS0_13select_configILj256ELj13ELNS0_17block_load_methodE3ELS4_3ELS4_3ELNS0_20block_scan_algorithmE0ELj4294967295EEENS1_25partition_config_selectorILNS1_17partition_subalgoE4EjNS0_10empty_typeEbEEZZNS1_14partition_implILS8_4ELb0ES6_15HIP_vector_typeIjLj2EENS0_17counting_iteratorIjlEEPS9_SG_NS0_5tupleIJPjSI_NS0_16reverse_iteratorISI_EEEEENSH_IJSG_SG_SG_EEES9_SI_JZNS1_25segmented_radix_sort_implINS0_14default_configELb0EPKsPsPKlPlN2at6native12_GLOBAL__N_18offset_tEEE10hipError_tPvRmT1_PNSt15iterator_traitsIS12_E10value_typeET2_T3_PNS13_IS18_E10value_typeET4_jRbjT5_S1E_jjP12ihipStream_tbEUljE_ZNSN_ISO_Lb0ESQ_SR_ST_SU_SY_EESZ_S10_S11_S12_S16_S17_S18_S1B_S1C_jS1D_jS1E_S1E_jjS1G_bEUljE0_EEESZ_S10_S11_S18_S1C_S1E_T6_T7_T9_mT8_S1G_bDpT10_ENKUlT_T0_E_clISt17integral_constantIbLb1EES1U_EEDaS1P_S1Q_EUlS1P_E_NS1_11comp_targetILNS1_3genE5ELNS1_11target_archE942ELNS1_3gpuE9ELNS1_3repE0EEENS1_30default_config_static_selectorELNS0_4arch9wavefront6targetE0EEEvS12_.numbered_sgpr, 0
	.set _ZN7rocprim17ROCPRIM_400000_NS6detail17trampoline_kernelINS0_13select_configILj256ELj13ELNS0_17block_load_methodE3ELS4_3ELS4_3ELNS0_20block_scan_algorithmE0ELj4294967295EEENS1_25partition_config_selectorILNS1_17partition_subalgoE4EjNS0_10empty_typeEbEEZZNS1_14partition_implILS8_4ELb0ES6_15HIP_vector_typeIjLj2EENS0_17counting_iteratorIjlEEPS9_SG_NS0_5tupleIJPjSI_NS0_16reverse_iteratorISI_EEEEENSH_IJSG_SG_SG_EEES9_SI_JZNS1_25segmented_radix_sort_implINS0_14default_configELb0EPKsPsPKlPlN2at6native12_GLOBAL__N_18offset_tEEE10hipError_tPvRmT1_PNSt15iterator_traitsIS12_E10value_typeET2_T3_PNS13_IS18_E10value_typeET4_jRbjT5_S1E_jjP12ihipStream_tbEUljE_ZNSN_ISO_Lb0ESQ_SR_ST_SU_SY_EESZ_S10_S11_S12_S16_S17_S18_S1B_S1C_jS1D_jS1E_S1E_jjS1G_bEUljE0_EEESZ_S10_S11_S18_S1C_S1E_T6_T7_T9_mT8_S1G_bDpT10_ENKUlT_T0_E_clISt17integral_constantIbLb1EES1U_EEDaS1P_S1Q_EUlS1P_E_NS1_11comp_targetILNS1_3genE5ELNS1_11target_archE942ELNS1_3gpuE9ELNS1_3repE0EEENS1_30default_config_static_selectorELNS0_4arch9wavefront6targetE0EEEvS12_.num_named_barrier, 0
	.set _ZN7rocprim17ROCPRIM_400000_NS6detail17trampoline_kernelINS0_13select_configILj256ELj13ELNS0_17block_load_methodE3ELS4_3ELS4_3ELNS0_20block_scan_algorithmE0ELj4294967295EEENS1_25partition_config_selectorILNS1_17partition_subalgoE4EjNS0_10empty_typeEbEEZZNS1_14partition_implILS8_4ELb0ES6_15HIP_vector_typeIjLj2EENS0_17counting_iteratorIjlEEPS9_SG_NS0_5tupleIJPjSI_NS0_16reverse_iteratorISI_EEEEENSH_IJSG_SG_SG_EEES9_SI_JZNS1_25segmented_radix_sort_implINS0_14default_configELb0EPKsPsPKlPlN2at6native12_GLOBAL__N_18offset_tEEE10hipError_tPvRmT1_PNSt15iterator_traitsIS12_E10value_typeET2_T3_PNS13_IS18_E10value_typeET4_jRbjT5_S1E_jjP12ihipStream_tbEUljE_ZNSN_ISO_Lb0ESQ_SR_ST_SU_SY_EESZ_S10_S11_S12_S16_S17_S18_S1B_S1C_jS1D_jS1E_S1E_jjS1G_bEUljE0_EEESZ_S10_S11_S18_S1C_S1E_T6_T7_T9_mT8_S1G_bDpT10_ENKUlT_T0_E_clISt17integral_constantIbLb1EES1U_EEDaS1P_S1Q_EUlS1P_E_NS1_11comp_targetILNS1_3genE5ELNS1_11target_archE942ELNS1_3gpuE9ELNS1_3repE0EEENS1_30default_config_static_selectorELNS0_4arch9wavefront6targetE0EEEvS12_.private_seg_size, 0
	.set _ZN7rocprim17ROCPRIM_400000_NS6detail17trampoline_kernelINS0_13select_configILj256ELj13ELNS0_17block_load_methodE3ELS4_3ELS4_3ELNS0_20block_scan_algorithmE0ELj4294967295EEENS1_25partition_config_selectorILNS1_17partition_subalgoE4EjNS0_10empty_typeEbEEZZNS1_14partition_implILS8_4ELb0ES6_15HIP_vector_typeIjLj2EENS0_17counting_iteratorIjlEEPS9_SG_NS0_5tupleIJPjSI_NS0_16reverse_iteratorISI_EEEEENSH_IJSG_SG_SG_EEES9_SI_JZNS1_25segmented_radix_sort_implINS0_14default_configELb0EPKsPsPKlPlN2at6native12_GLOBAL__N_18offset_tEEE10hipError_tPvRmT1_PNSt15iterator_traitsIS12_E10value_typeET2_T3_PNS13_IS18_E10value_typeET4_jRbjT5_S1E_jjP12ihipStream_tbEUljE_ZNSN_ISO_Lb0ESQ_SR_ST_SU_SY_EESZ_S10_S11_S12_S16_S17_S18_S1B_S1C_jS1D_jS1E_S1E_jjS1G_bEUljE0_EEESZ_S10_S11_S18_S1C_S1E_T6_T7_T9_mT8_S1G_bDpT10_ENKUlT_T0_E_clISt17integral_constantIbLb1EES1U_EEDaS1P_S1Q_EUlS1P_E_NS1_11comp_targetILNS1_3genE5ELNS1_11target_archE942ELNS1_3gpuE9ELNS1_3repE0EEENS1_30default_config_static_selectorELNS0_4arch9wavefront6targetE0EEEvS12_.uses_vcc, 0
	.set _ZN7rocprim17ROCPRIM_400000_NS6detail17trampoline_kernelINS0_13select_configILj256ELj13ELNS0_17block_load_methodE3ELS4_3ELS4_3ELNS0_20block_scan_algorithmE0ELj4294967295EEENS1_25partition_config_selectorILNS1_17partition_subalgoE4EjNS0_10empty_typeEbEEZZNS1_14partition_implILS8_4ELb0ES6_15HIP_vector_typeIjLj2EENS0_17counting_iteratorIjlEEPS9_SG_NS0_5tupleIJPjSI_NS0_16reverse_iteratorISI_EEEEENSH_IJSG_SG_SG_EEES9_SI_JZNS1_25segmented_radix_sort_implINS0_14default_configELb0EPKsPsPKlPlN2at6native12_GLOBAL__N_18offset_tEEE10hipError_tPvRmT1_PNSt15iterator_traitsIS12_E10value_typeET2_T3_PNS13_IS18_E10value_typeET4_jRbjT5_S1E_jjP12ihipStream_tbEUljE_ZNSN_ISO_Lb0ESQ_SR_ST_SU_SY_EESZ_S10_S11_S12_S16_S17_S18_S1B_S1C_jS1D_jS1E_S1E_jjS1G_bEUljE0_EEESZ_S10_S11_S18_S1C_S1E_T6_T7_T9_mT8_S1G_bDpT10_ENKUlT_T0_E_clISt17integral_constantIbLb1EES1U_EEDaS1P_S1Q_EUlS1P_E_NS1_11comp_targetILNS1_3genE5ELNS1_11target_archE942ELNS1_3gpuE9ELNS1_3repE0EEENS1_30default_config_static_selectorELNS0_4arch9wavefront6targetE0EEEvS12_.uses_flat_scratch, 0
	.set _ZN7rocprim17ROCPRIM_400000_NS6detail17trampoline_kernelINS0_13select_configILj256ELj13ELNS0_17block_load_methodE3ELS4_3ELS4_3ELNS0_20block_scan_algorithmE0ELj4294967295EEENS1_25partition_config_selectorILNS1_17partition_subalgoE4EjNS0_10empty_typeEbEEZZNS1_14partition_implILS8_4ELb0ES6_15HIP_vector_typeIjLj2EENS0_17counting_iteratorIjlEEPS9_SG_NS0_5tupleIJPjSI_NS0_16reverse_iteratorISI_EEEEENSH_IJSG_SG_SG_EEES9_SI_JZNS1_25segmented_radix_sort_implINS0_14default_configELb0EPKsPsPKlPlN2at6native12_GLOBAL__N_18offset_tEEE10hipError_tPvRmT1_PNSt15iterator_traitsIS12_E10value_typeET2_T3_PNS13_IS18_E10value_typeET4_jRbjT5_S1E_jjP12ihipStream_tbEUljE_ZNSN_ISO_Lb0ESQ_SR_ST_SU_SY_EESZ_S10_S11_S12_S16_S17_S18_S1B_S1C_jS1D_jS1E_S1E_jjS1G_bEUljE0_EEESZ_S10_S11_S18_S1C_S1E_T6_T7_T9_mT8_S1G_bDpT10_ENKUlT_T0_E_clISt17integral_constantIbLb1EES1U_EEDaS1P_S1Q_EUlS1P_E_NS1_11comp_targetILNS1_3genE5ELNS1_11target_archE942ELNS1_3gpuE9ELNS1_3repE0EEENS1_30default_config_static_selectorELNS0_4arch9wavefront6targetE0EEEvS12_.has_dyn_sized_stack, 0
	.set _ZN7rocprim17ROCPRIM_400000_NS6detail17trampoline_kernelINS0_13select_configILj256ELj13ELNS0_17block_load_methodE3ELS4_3ELS4_3ELNS0_20block_scan_algorithmE0ELj4294967295EEENS1_25partition_config_selectorILNS1_17partition_subalgoE4EjNS0_10empty_typeEbEEZZNS1_14partition_implILS8_4ELb0ES6_15HIP_vector_typeIjLj2EENS0_17counting_iteratorIjlEEPS9_SG_NS0_5tupleIJPjSI_NS0_16reverse_iteratorISI_EEEEENSH_IJSG_SG_SG_EEES9_SI_JZNS1_25segmented_radix_sort_implINS0_14default_configELb0EPKsPsPKlPlN2at6native12_GLOBAL__N_18offset_tEEE10hipError_tPvRmT1_PNSt15iterator_traitsIS12_E10value_typeET2_T3_PNS13_IS18_E10value_typeET4_jRbjT5_S1E_jjP12ihipStream_tbEUljE_ZNSN_ISO_Lb0ESQ_SR_ST_SU_SY_EESZ_S10_S11_S12_S16_S17_S18_S1B_S1C_jS1D_jS1E_S1E_jjS1G_bEUljE0_EEESZ_S10_S11_S18_S1C_S1E_T6_T7_T9_mT8_S1G_bDpT10_ENKUlT_T0_E_clISt17integral_constantIbLb1EES1U_EEDaS1P_S1Q_EUlS1P_E_NS1_11comp_targetILNS1_3genE5ELNS1_11target_archE942ELNS1_3gpuE9ELNS1_3repE0EEENS1_30default_config_static_selectorELNS0_4arch9wavefront6targetE0EEEvS12_.has_recursion, 0
	.set _ZN7rocprim17ROCPRIM_400000_NS6detail17trampoline_kernelINS0_13select_configILj256ELj13ELNS0_17block_load_methodE3ELS4_3ELS4_3ELNS0_20block_scan_algorithmE0ELj4294967295EEENS1_25partition_config_selectorILNS1_17partition_subalgoE4EjNS0_10empty_typeEbEEZZNS1_14partition_implILS8_4ELb0ES6_15HIP_vector_typeIjLj2EENS0_17counting_iteratorIjlEEPS9_SG_NS0_5tupleIJPjSI_NS0_16reverse_iteratorISI_EEEEENSH_IJSG_SG_SG_EEES9_SI_JZNS1_25segmented_radix_sort_implINS0_14default_configELb0EPKsPsPKlPlN2at6native12_GLOBAL__N_18offset_tEEE10hipError_tPvRmT1_PNSt15iterator_traitsIS12_E10value_typeET2_T3_PNS13_IS18_E10value_typeET4_jRbjT5_S1E_jjP12ihipStream_tbEUljE_ZNSN_ISO_Lb0ESQ_SR_ST_SU_SY_EESZ_S10_S11_S12_S16_S17_S18_S1B_S1C_jS1D_jS1E_S1E_jjS1G_bEUljE0_EEESZ_S10_S11_S18_S1C_S1E_T6_T7_T9_mT8_S1G_bDpT10_ENKUlT_T0_E_clISt17integral_constantIbLb1EES1U_EEDaS1P_S1Q_EUlS1P_E_NS1_11comp_targetILNS1_3genE5ELNS1_11target_archE942ELNS1_3gpuE9ELNS1_3repE0EEENS1_30default_config_static_selectorELNS0_4arch9wavefront6targetE0EEEvS12_.has_indirect_call, 0
	.section	.AMDGPU.csdata,"",@progbits
; Kernel info:
; codeLenInByte = 0
; TotalNumSgprs: 0
; NumVgprs: 0
; ScratchSize: 0
; MemoryBound: 0
; FloatMode: 240
; IeeeMode: 1
; LDSByteSize: 0 bytes/workgroup (compile time only)
; SGPRBlocks: 0
; VGPRBlocks: 0
; NumSGPRsForWavesPerEU: 1
; NumVGPRsForWavesPerEU: 1
; NamedBarCnt: 0
; Occupancy: 16
; WaveLimiterHint : 0
; COMPUTE_PGM_RSRC2:SCRATCH_EN: 0
; COMPUTE_PGM_RSRC2:USER_SGPR: 2
; COMPUTE_PGM_RSRC2:TRAP_HANDLER: 0
; COMPUTE_PGM_RSRC2:TGID_X_EN: 1
; COMPUTE_PGM_RSRC2:TGID_Y_EN: 0
; COMPUTE_PGM_RSRC2:TGID_Z_EN: 0
; COMPUTE_PGM_RSRC2:TIDIG_COMP_CNT: 0
	.section	.text._ZN7rocprim17ROCPRIM_400000_NS6detail17trampoline_kernelINS0_13select_configILj256ELj13ELNS0_17block_load_methodE3ELS4_3ELS4_3ELNS0_20block_scan_algorithmE0ELj4294967295EEENS1_25partition_config_selectorILNS1_17partition_subalgoE4EjNS0_10empty_typeEbEEZZNS1_14partition_implILS8_4ELb0ES6_15HIP_vector_typeIjLj2EENS0_17counting_iteratorIjlEEPS9_SG_NS0_5tupleIJPjSI_NS0_16reverse_iteratorISI_EEEEENSH_IJSG_SG_SG_EEES9_SI_JZNS1_25segmented_radix_sort_implINS0_14default_configELb0EPKsPsPKlPlN2at6native12_GLOBAL__N_18offset_tEEE10hipError_tPvRmT1_PNSt15iterator_traitsIS12_E10value_typeET2_T3_PNS13_IS18_E10value_typeET4_jRbjT5_S1E_jjP12ihipStream_tbEUljE_ZNSN_ISO_Lb0ESQ_SR_ST_SU_SY_EESZ_S10_S11_S12_S16_S17_S18_S1B_S1C_jS1D_jS1E_S1E_jjS1G_bEUljE0_EEESZ_S10_S11_S18_S1C_S1E_T6_T7_T9_mT8_S1G_bDpT10_ENKUlT_T0_E_clISt17integral_constantIbLb1EES1U_EEDaS1P_S1Q_EUlS1P_E_NS1_11comp_targetILNS1_3genE4ELNS1_11target_archE910ELNS1_3gpuE8ELNS1_3repE0EEENS1_30default_config_static_selectorELNS0_4arch9wavefront6targetE0EEEvS12_,"axG",@progbits,_ZN7rocprim17ROCPRIM_400000_NS6detail17trampoline_kernelINS0_13select_configILj256ELj13ELNS0_17block_load_methodE3ELS4_3ELS4_3ELNS0_20block_scan_algorithmE0ELj4294967295EEENS1_25partition_config_selectorILNS1_17partition_subalgoE4EjNS0_10empty_typeEbEEZZNS1_14partition_implILS8_4ELb0ES6_15HIP_vector_typeIjLj2EENS0_17counting_iteratorIjlEEPS9_SG_NS0_5tupleIJPjSI_NS0_16reverse_iteratorISI_EEEEENSH_IJSG_SG_SG_EEES9_SI_JZNS1_25segmented_radix_sort_implINS0_14default_configELb0EPKsPsPKlPlN2at6native12_GLOBAL__N_18offset_tEEE10hipError_tPvRmT1_PNSt15iterator_traitsIS12_E10value_typeET2_T3_PNS13_IS18_E10value_typeET4_jRbjT5_S1E_jjP12ihipStream_tbEUljE_ZNSN_ISO_Lb0ESQ_SR_ST_SU_SY_EESZ_S10_S11_S12_S16_S17_S18_S1B_S1C_jS1D_jS1E_S1E_jjS1G_bEUljE0_EEESZ_S10_S11_S18_S1C_S1E_T6_T7_T9_mT8_S1G_bDpT10_ENKUlT_T0_E_clISt17integral_constantIbLb1EES1U_EEDaS1P_S1Q_EUlS1P_E_NS1_11comp_targetILNS1_3genE4ELNS1_11target_archE910ELNS1_3gpuE8ELNS1_3repE0EEENS1_30default_config_static_selectorELNS0_4arch9wavefront6targetE0EEEvS12_,comdat
	.globl	_ZN7rocprim17ROCPRIM_400000_NS6detail17trampoline_kernelINS0_13select_configILj256ELj13ELNS0_17block_load_methodE3ELS4_3ELS4_3ELNS0_20block_scan_algorithmE0ELj4294967295EEENS1_25partition_config_selectorILNS1_17partition_subalgoE4EjNS0_10empty_typeEbEEZZNS1_14partition_implILS8_4ELb0ES6_15HIP_vector_typeIjLj2EENS0_17counting_iteratorIjlEEPS9_SG_NS0_5tupleIJPjSI_NS0_16reverse_iteratorISI_EEEEENSH_IJSG_SG_SG_EEES9_SI_JZNS1_25segmented_radix_sort_implINS0_14default_configELb0EPKsPsPKlPlN2at6native12_GLOBAL__N_18offset_tEEE10hipError_tPvRmT1_PNSt15iterator_traitsIS12_E10value_typeET2_T3_PNS13_IS18_E10value_typeET4_jRbjT5_S1E_jjP12ihipStream_tbEUljE_ZNSN_ISO_Lb0ESQ_SR_ST_SU_SY_EESZ_S10_S11_S12_S16_S17_S18_S1B_S1C_jS1D_jS1E_S1E_jjS1G_bEUljE0_EEESZ_S10_S11_S18_S1C_S1E_T6_T7_T9_mT8_S1G_bDpT10_ENKUlT_T0_E_clISt17integral_constantIbLb1EES1U_EEDaS1P_S1Q_EUlS1P_E_NS1_11comp_targetILNS1_3genE4ELNS1_11target_archE910ELNS1_3gpuE8ELNS1_3repE0EEENS1_30default_config_static_selectorELNS0_4arch9wavefront6targetE0EEEvS12_ ; -- Begin function _ZN7rocprim17ROCPRIM_400000_NS6detail17trampoline_kernelINS0_13select_configILj256ELj13ELNS0_17block_load_methodE3ELS4_3ELS4_3ELNS0_20block_scan_algorithmE0ELj4294967295EEENS1_25partition_config_selectorILNS1_17partition_subalgoE4EjNS0_10empty_typeEbEEZZNS1_14partition_implILS8_4ELb0ES6_15HIP_vector_typeIjLj2EENS0_17counting_iteratorIjlEEPS9_SG_NS0_5tupleIJPjSI_NS0_16reverse_iteratorISI_EEEEENSH_IJSG_SG_SG_EEES9_SI_JZNS1_25segmented_radix_sort_implINS0_14default_configELb0EPKsPsPKlPlN2at6native12_GLOBAL__N_18offset_tEEE10hipError_tPvRmT1_PNSt15iterator_traitsIS12_E10value_typeET2_T3_PNS13_IS18_E10value_typeET4_jRbjT5_S1E_jjP12ihipStream_tbEUljE_ZNSN_ISO_Lb0ESQ_SR_ST_SU_SY_EESZ_S10_S11_S12_S16_S17_S18_S1B_S1C_jS1D_jS1E_S1E_jjS1G_bEUljE0_EEESZ_S10_S11_S18_S1C_S1E_T6_T7_T9_mT8_S1G_bDpT10_ENKUlT_T0_E_clISt17integral_constantIbLb1EES1U_EEDaS1P_S1Q_EUlS1P_E_NS1_11comp_targetILNS1_3genE4ELNS1_11target_archE910ELNS1_3gpuE8ELNS1_3repE0EEENS1_30default_config_static_selectorELNS0_4arch9wavefront6targetE0EEEvS12_
	.p2align	8
	.type	_ZN7rocprim17ROCPRIM_400000_NS6detail17trampoline_kernelINS0_13select_configILj256ELj13ELNS0_17block_load_methodE3ELS4_3ELS4_3ELNS0_20block_scan_algorithmE0ELj4294967295EEENS1_25partition_config_selectorILNS1_17partition_subalgoE4EjNS0_10empty_typeEbEEZZNS1_14partition_implILS8_4ELb0ES6_15HIP_vector_typeIjLj2EENS0_17counting_iteratorIjlEEPS9_SG_NS0_5tupleIJPjSI_NS0_16reverse_iteratorISI_EEEEENSH_IJSG_SG_SG_EEES9_SI_JZNS1_25segmented_radix_sort_implINS0_14default_configELb0EPKsPsPKlPlN2at6native12_GLOBAL__N_18offset_tEEE10hipError_tPvRmT1_PNSt15iterator_traitsIS12_E10value_typeET2_T3_PNS13_IS18_E10value_typeET4_jRbjT5_S1E_jjP12ihipStream_tbEUljE_ZNSN_ISO_Lb0ESQ_SR_ST_SU_SY_EESZ_S10_S11_S12_S16_S17_S18_S1B_S1C_jS1D_jS1E_S1E_jjS1G_bEUljE0_EEESZ_S10_S11_S18_S1C_S1E_T6_T7_T9_mT8_S1G_bDpT10_ENKUlT_T0_E_clISt17integral_constantIbLb1EES1U_EEDaS1P_S1Q_EUlS1P_E_NS1_11comp_targetILNS1_3genE4ELNS1_11target_archE910ELNS1_3gpuE8ELNS1_3repE0EEENS1_30default_config_static_selectorELNS0_4arch9wavefront6targetE0EEEvS12_,@function
_ZN7rocprim17ROCPRIM_400000_NS6detail17trampoline_kernelINS0_13select_configILj256ELj13ELNS0_17block_load_methodE3ELS4_3ELS4_3ELNS0_20block_scan_algorithmE0ELj4294967295EEENS1_25partition_config_selectorILNS1_17partition_subalgoE4EjNS0_10empty_typeEbEEZZNS1_14partition_implILS8_4ELb0ES6_15HIP_vector_typeIjLj2EENS0_17counting_iteratorIjlEEPS9_SG_NS0_5tupleIJPjSI_NS0_16reverse_iteratorISI_EEEEENSH_IJSG_SG_SG_EEES9_SI_JZNS1_25segmented_radix_sort_implINS0_14default_configELb0EPKsPsPKlPlN2at6native12_GLOBAL__N_18offset_tEEE10hipError_tPvRmT1_PNSt15iterator_traitsIS12_E10value_typeET2_T3_PNS13_IS18_E10value_typeET4_jRbjT5_S1E_jjP12ihipStream_tbEUljE_ZNSN_ISO_Lb0ESQ_SR_ST_SU_SY_EESZ_S10_S11_S12_S16_S17_S18_S1B_S1C_jS1D_jS1E_S1E_jjS1G_bEUljE0_EEESZ_S10_S11_S18_S1C_S1E_T6_T7_T9_mT8_S1G_bDpT10_ENKUlT_T0_E_clISt17integral_constantIbLb1EES1U_EEDaS1P_S1Q_EUlS1P_E_NS1_11comp_targetILNS1_3genE4ELNS1_11target_archE910ELNS1_3gpuE8ELNS1_3repE0EEENS1_30default_config_static_selectorELNS0_4arch9wavefront6targetE0EEEvS12_: ; @_ZN7rocprim17ROCPRIM_400000_NS6detail17trampoline_kernelINS0_13select_configILj256ELj13ELNS0_17block_load_methodE3ELS4_3ELS4_3ELNS0_20block_scan_algorithmE0ELj4294967295EEENS1_25partition_config_selectorILNS1_17partition_subalgoE4EjNS0_10empty_typeEbEEZZNS1_14partition_implILS8_4ELb0ES6_15HIP_vector_typeIjLj2EENS0_17counting_iteratorIjlEEPS9_SG_NS0_5tupleIJPjSI_NS0_16reverse_iteratorISI_EEEEENSH_IJSG_SG_SG_EEES9_SI_JZNS1_25segmented_radix_sort_implINS0_14default_configELb0EPKsPsPKlPlN2at6native12_GLOBAL__N_18offset_tEEE10hipError_tPvRmT1_PNSt15iterator_traitsIS12_E10value_typeET2_T3_PNS13_IS18_E10value_typeET4_jRbjT5_S1E_jjP12ihipStream_tbEUljE_ZNSN_ISO_Lb0ESQ_SR_ST_SU_SY_EESZ_S10_S11_S12_S16_S17_S18_S1B_S1C_jS1D_jS1E_S1E_jjS1G_bEUljE0_EEESZ_S10_S11_S18_S1C_S1E_T6_T7_T9_mT8_S1G_bDpT10_ENKUlT_T0_E_clISt17integral_constantIbLb1EES1U_EEDaS1P_S1Q_EUlS1P_E_NS1_11comp_targetILNS1_3genE4ELNS1_11target_archE910ELNS1_3gpuE8ELNS1_3repE0EEENS1_30default_config_static_selectorELNS0_4arch9wavefront6targetE0EEEvS12_
; %bb.0:
	.section	.rodata,"a",@progbits
	.p2align	6, 0x0
	.amdhsa_kernel _ZN7rocprim17ROCPRIM_400000_NS6detail17trampoline_kernelINS0_13select_configILj256ELj13ELNS0_17block_load_methodE3ELS4_3ELS4_3ELNS0_20block_scan_algorithmE0ELj4294967295EEENS1_25partition_config_selectorILNS1_17partition_subalgoE4EjNS0_10empty_typeEbEEZZNS1_14partition_implILS8_4ELb0ES6_15HIP_vector_typeIjLj2EENS0_17counting_iteratorIjlEEPS9_SG_NS0_5tupleIJPjSI_NS0_16reverse_iteratorISI_EEEEENSH_IJSG_SG_SG_EEES9_SI_JZNS1_25segmented_radix_sort_implINS0_14default_configELb0EPKsPsPKlPlN2at6native12_GLOBAL__N_18offset_tEEE10hipError_tPvRmT1_PNSt15iterator_traitsIS12_E10value_typeET2_T3_PNS13_IS18_E10value_typeET4_jRbjT5_S1E_jjP12ihipStream_tbEUljE_ZNSN_ISO_Lb0ESQ_SR_ST_SU_SY_EESZ_S10_S11_S12_S16_S17_S18_S1B_S1C_jS1D_jS1E_S1E_jjS1G_bEUljE0_EEESZ_S10_S11_S18_S1C_S1E_T6_T7_T9_mT8_S1G_bDpT10_ENKUlT_T0_E_clISt17integral_constantIbLb1EES1U_EEDaS1P_S1Q_EUlS1P_E_NS1_11comp_targetILNS1_3genE4ELNS1_11target_archE910ELNS1_3gpuE8ELNS1_3repE0EEENS1_30default_config_static_selectorELNS0_4arch9wavefront6targetE0EEEvS12_
		.amdhsa_group_segment_fixed_size 0
		.amdhsa_private_segment_fixed_size 0
		.amdhsa_kernarg_size 184
		.amdhsa_user_sgpr_count 2
		.amdhsa_user_sgpr_dispatch_ptr 0
		.amdhsa_user_sgpr_queue_ptr 0
		.amdhsa_user_sgpr_kernarg_segment_ptr 1
		.amdhsa_user_sgpr_dispatch_id 0
		.amdhsa_user_sgpr_kernarg_preload_length 0
		.amdhsa_user_sgpr_kernarg_preload_offset 0
		.amdhsa_user_sgpr_private_segment_size 0
		.amdhsa_wavefront_size32 1
		.amdhsa_uses_dynamic_stack 0
		.amdhsa_enable_private_segment 0
		.amdhsa_system_sgpr_workgroup_id_x 1
		.amdhsa_system_sgpr_workgroup_id_y 0
		.amdhsa_system_sgpr_workgroup_id_z 0
		.amdhsa_system_sgpr_workgroup_info 0
		.amdhsa_system_vgpr_workitem_id 0
		.amdhsa_next_free_vgpr 1
		.amdhsa_next_free_sgpr 1
		.amdhsa_named_barrier_count 0
		.amdhsa_reserve_vcc 0
		.amdhsa_float_round_mode_32 0
		.amdhsa_float_round_mode_16_64 0
		.amdhsa_float_denorm_mode_32 3
		.amdhsa_float_denorm_mode_16_64 3
		.amdhsa_fp16_overflow 0
		.amdhsa_memory_ordered 1
		.amdhsa_forward_progress 1
		.amdhsa_inst_pref_size 0
		.amdhsa_round_robin_scheduling 0
		.amdhsa_exception_fp_ieee_invalid_op 0
		.amdhsa_exception_fp_denorm_src 0
		.amdhsa_exception_fp_ieee_div_zero 0
		.amdhsa_exception_fp_ieee_overflow 0
		.amdhsa_exception_fp_ieee_underflow 0
		.amdhsa_exception_fp_ieee_inexact 0
		.amdhsa_exception_int_div_zero 0
	.end_amdhsa_kernel
	.section	.text._ZN7rocprim17ROCPRIM_400000_NS6detail17trampoline_kernelINS0_13select_configILj256ELj13ELNS0_17block_load_methodE3ELS4_3ELS4_3ELNS0_20block_scan_algorithmE0ELj4294967295EEENS1_25partition_config_selectorILNS1_17partition_subalgoE4EjNS0_10empty_typeEbEEZZNS1_14partition_implILS8_4ELb0ES6_15HIP_vector_typeIjLj2EENS0_17counting_iteratorIjlEEPS9_SG_NS0_5tupleIJPjSI_NS0_16reverse_iteratorISI_EEEEENSH_IJSG_SG_SG_EEES9_SI_JZNS1_25segmented_radix_sort_implINS0_14default_configELb0EPKsPsPKlPlN2at6native12_GLOBAL__N_18offset_tEEE10hipError_tPvRmT1_PNSt15iterator_traitsIS12_E10value_typeET2_T3_PNS13_IS18_E10value_typeET4_jRbjT5_S1E_jjP12ihipStream_tbEUljE_ZNSN_ISO_Lb0ESQ_SR_ST_SU_SY_EESZ_S10_S11_S12_S16_S17_S18_S1B_S1C_jS1D_jS1E_S1E_jjS1G_bEUljE0_EEESZ_S10_S11_S18_S1C_S1E_T6_T7_T9_mT8_S1G_bDpT10_ENKUlT_T0_E_clISt17integral_constantIbLb1EES1U_EEDaS1P_S1Q_EUlS1P_E_NS1_11comp_targetILNS1_3genE4ELNS1_11target_archE910ELNS1_3gpuE8ELNS1_3repE0EEENS1_30default_config_static_selectorELNS0_4arch9wavefront6targetE0EEEvS12_,"axG",@progbits,_ZN7rocprim17ROCPRIM_400000_NS6detail17trampoline_kernelINS0_13select_configILj256ELj13ELNS0_17block_load_methodE3ELS4_3ELS4_3ELNS0_20block_scan_algorithmE0ELj4294967295EEENS1_25partition_config_selectorILNS1_17partition_subalgoE4EjNS0_10empty_typeEbEEZZNS1_14partition_implILS8_4ELb0ES6_15HIP_vector_typeIjLj2EENS0_17counting_iteratorIjlEEPS9_SG_NS0_5tupleIJPjSI_NS0_16reverse_iteratorISI_EEEEENSH_IJSG_SG_SG_EEES9_SI_JZNS1_25segmented_radix_sort_implINS0_14default_configELb0EPKsPsPKlPlN2at6native12_GLOBAL__N_18offset_tEEE10hipError_tPvRmT1_PNSt15iterator_traitsIS12_E10value_typeET2_T3_PNS13_IS18_E10value_typeET4_jRbjT5_S1E_jjP12ihipStream_tbEUljE_ZNSN_ISO_Lb0ESQ_SR_ST_SU_SY_EESZ_S10_S11_S12_S16_S17_S18_S1B_S1C_jS1D_jS1E_S1E_jjS1G_bEUljE0_EEESZ_S10_S11_S18_S1C_S1E_T6_T7_T9_mT8_S1G_bDpT10_ENKUlT_T0_E_clISt17integral_constantIbLb1EES1U_EEDaS1P_S1Q_EUlS1P_E_NS1_11comp_targetILNS1_3genE4ELNS1_11target_archE910ELNS1_3gpuE8ELNS1_3repE0EEENS1_30default_config_static_selectorELNS0_4arch9wavefront6targetE0EEEvS12_,comdat
.Lfunc_end955:
	.size	_ZN7rocprim17ROCPRIM_400000_NS6detail17trampoline_kernelINS0_13select_configILj256ELj13ELNS0_17block_load_methodE3ELS4_3ELS4_3ELNS0_20block_scan_algorithmE0ELj4294967295EEENS1_25partition_config_selectorILNS1_17partition_subalgoE4EjNS0_10empty_typeEbEEZZNS1_14partition_implILS8_4ELb0ES6_15HIP_vector_typeIjLj2EENS0_17counting_iteratorIjlEEPS9_SG_NS0_5tupleIJPjSI_NS0_16reverse_iteratorISI_EEEEENSH_IJSG_SG_SG_EEES9_SI_JZNS1_25segmented_radix_sort_implINS0_14default_configELb0EPKsPsPKlPlN2at6native12_GLOBAL__N_18offset_tEEE10hipError_tPvRmT1_PNSt15iterator_traitsIS12_E10value_typeET2_T3_PNS13_IS18_E10value_typeET4_jRbjT5_S1E_jjP12ihipStream_tbEUljE_ZNSN_ISO_Lb0ESQ_SR_ST_SU_SY_EESZ_S10_S11_S12_S16_S17_S18_S1B_S1C_jS1D_jS1E_S1E_jjS1G_bEUljE0_EEESZ_S10_S11_S18_S1C_S1E_T6_T7_T9_mT8_S1G_bDpT10_ENKUlT_T0_E_clISt17integral_constantIbLb1EES1U_EEDaS1P_S1Q_EUlS1P_E_NS1_11comp_targetILNS1_3genE4ELNS1_11target_archE910ELNS1_3gpuE8ELNS1_3repE0EEENS1_30default_config_static_selectorELNS0_4arch9wavefront6targetE0EEEvS12_, .Lfunc_end955-_ZN7rocprim17ROCPRIM_400000_NS6detail17trampoline_kernelINS0_13select_configILj256ELj13ELNS0_17block_load_methodE3ELS4_3ELS4_3ELNS0_20block_scan_algorithmE0ELj4294967295EEENS1_25partition_config_selectorILNS1_17partition_subalgoE4EjNS0_10empty_typeEbEEZZNS1_14partition_implILS8_4ELb0ES6_15HIP_vector_typeIjLj2EENS0_17counting_iteratorIjlEEPS9_SG_NS0_5tupleIJPjSI_NS0_16reverse_iteratorISI_EEEEENSH_IJSG_SG_SG_EEES9_SI_JZNS1_25segmented_radix_sort_implINS0_14default_configELb0EPKsPsPKlPlN2at6native12_GLOBAL__N_18offset_tEEE10hipError_tPvRmT1_PNSt15iterator_traitsIS12_E10value_typeET2_T3_PNS13_IS18_E10value_typeET4_jRbjT5_S1E_jjP12ihipStream_tbEUljE_ZNSN_ISO_Lb0ESQ_SR_ST_SU_SY_EESZ_S10_S11_S12_S16_S17_S18_S1B_S1C_jS1D_jS1E_S1E_jjS1G_bEUljE0_EEESZ_S10_S11_S18_S1C_S1E_T6_T7_T9_mT8_S1G_bDpT10_ENKUlT_T0_E_clISt17integral_constantIbLb1EES1U_EEDaS1P_S1Q_EUlS1P_E_NS1_11comp_targetILNS1_3genE4ELNS1_11target_archE910ELNS1_3gpuE8ELNS1_3repE0EEENS1_30default_config_static_selectorELNS0_4arch9wavefront6targetE0EEEvS12_
                                        ; -- End function
	.set _ZN7rocprim17ROCPRIM_400000_NS6detail17trampoline_kernelINS0_13select_configILj256ELj13ELNS0_17block_load_methodE3ELS4_3ELS4_3ELNS0_20block_scan_algorithmE0ELj4294967295EEENS1_25partition_config_selectorILNS1_17partition_subalgoE4EjNS0_10empty_typeEbEEZZNS1_14partition_implILS8_4ELb0ES6_15HIP_vector_typeIjLj2EENS0_17counting_iteratorIjlEEPS9_SG_NS0_5tupleIJPjSI_NS0_16reverse_iteratorISI_EEEEENSH_IJSG_SG_SG_EEES9_SI_JZNS1_25segmented_radix_sort_implINS0_14default_configELb0EPKsPsPKlPlN2at6native12_GLOBAL__N_18offset_tEEE10hipError_tPvRmT1_PNSt15iterator_traitsIS12_E10value_typeET2_T3_PNS13_IS18_E10value_typeET4_jRbjT5_S1E_jjP12ihipStream_tbEUljE_ZNSN_ISO_Lb0ESQ_SR_ST_SU_SY_EESZ_S10_S11_S12_S16_S17_S18_S1B_S1C_jS1D_jS1E_S1E_jjS1G_bEUljE0_EEESZ_S10_S11_S18_S1C_S1E_T6_T7_T9_mT8_S1G_bDpT10_ENKUlT_T0_E_clISt17integral_constantIbLb1EES1U_EEDaS1P_S1Q_EUlS1P_E_NS1_11comp_targetILNS1_3genE4ELNS1_11target_archE910ELNS1_3gpuE8ELNS1_3repE0EEENS1_30default_config_static_selectorELNS0_4arch9wavefront6targetE0EEEvS12_.num_vgpr, 0
	.set _ZN7rocprim17ROCPRIM_400000_NS6detail17trampoline_kernelINS0_13select_configILj256ELj13ELNS0_17block_load_methodE3ELS4_3ELS4_3ELNS0_20block_scan_algorithmE0ELj4294967295EEENS1_25partition_config_selectorILNS1_17partition_subalgoE4EjNS0_10empty_typeEbEEZZNS1_14partition_implILS8_4ELb0ES6_15HIP_vector_typeIjLj2EENS0_17counting_iteratorIjlEEPS9_SG_NS0_5tupleIJPjSI_NS0_16reverse_iteratorISI_EEEEENSH_IJSG_SG_SG_EEES9_SI_JZNS1_25segmented_radix_sort_implINS0_14default_configELb0EPKsPsPKlPlN2at6native12_GLOBAL__N_18offset_tEEE10hipError_tPvRmT1_PNSt15iterator_traitsIS12_E10value_typeET2_T3_PNS13_IS18_E10value_typeET4_jRbjT5_S1E_jjP12ihipStream_tbEUljE_ZNSN_ISO_Lb0ESQ_SR_ST_SU_SY_EESZ_S10_S11_S12_S16_S17_S18_S1B_S1C_jS1D_jS1E_S1E_jjS1G_bEUljE0_EEESZ_S10_S11_S18_S1C_S1E_T6_T7_T9_mT8_S1G_bDpT10_ENKUlT_T0_E_clISt17integral_constantIbLb1EES1U_EEDaS1P_S1Q_EUlS1P_E_NS1_11comp_targetILNS1_3genE4ELNS1_11target_archE910ELNS1_3gpuE8ELNS1_3repE0EEENS1_30default_config_static_selectorELNS0_4arch9wavefront6targetE0EEEvS12_.num_agpr, 0
	.set _ZN7rocprim17ROCPRIM_400000_NS6detail17trampoline_kernelINS0_13select_configILj256ELj13ELNS0_17block_load_methodE3ELS4_3ELS4_3ELNS0_20block_scan_algorithmE0ELj4294967295EEENS1_25partition_config_selectorILNS1_17partition_subalgoE4EjNS0_10empty_typeEbEEZZNS1_14partition_implILS8_4ELb0ES6_15HIP_vector_typeIjLj2EENS0_17counting_iteratorIjlEEPS9_SG_NS0_5tupleIJPjSI_NS0_16reverse_iteratorISI_EEEEENSH_IJSG_SG_SG_EEES9_SI_JZNS1_25segmented_radix_sort_implINS0_14default_configELb0EPKsPsPKlPlN2at6native12_GLOBAL__N_18offset_tEEE10hipError_tPvRmT1_PNSt15iterator_traitsIS12_E10value_typeET2_T3_PNS13_IS18_E10value_typeET4_jRbjT5_S1E_jjP12ihipStream_tbEUljE_ZNSN_ISO_Lb0ESQ_SR_ST_SU_SY_EESZ_S10_S11_S12_S16_S17_S18_S1B_S1C_jS1D_jS1E_S1E_jjS1G_bEUljE0_EEESZ_S10_S11_S18_S1C_S1E_T6_T7_T9_mT8_S1G_bDpT10_ENKUlT_T0_E_clISt17integral_constantIbLb1EES1U_EEDaS1P_S1Q_EUlS1P_E_NS1_11comp_targetILNS1_3genE4ELNS1_11target_archE910ELNS1_3gpuE8ELNS1_3repE0EEENS1_30default_config_static_selectorELNS0_4arch9wavefront6targetE0EEEvS12_.numbered_sgpr, 0
	.set _ZN7rocprim17ROCPRIM_400000_NS6detail17trampoline_kernelINS0_13select_configILj256ELj13ELNS0_17block_load_methodE3ELS4_3ELS4_3ELNS0_20block_scan_algorithmE0ELj4294967295EEENS1_25partition_config_selectorILNS1_17partition_subalgoE4EjNS0_10empty_typeEbEEZZNS1_14partition_implILS8_4ELb0ES6_15HIP_vector_typeIjLj2EENS0_17counting_iteratorIjlEEPS9_SG_NS0_5tupleIJPjSI_NS0_16reverse_iteratorISI_EEEEENSH_IJSG_SG_SG_EEES9_SI_JZNS1_25segmented_radix_sort_implINS0_14default_configELb0EPKsPsPKlPlN2at6native12_GLOBAL__N_18offset_tEEE10hipError_tPvRmT1_PNSt15iterator_traitsIS12_E10value_typeET2_T3_PNS13_IS18_E10value_typeET4_jRbjT5_S1E_jjP12ihipStream_tbEUljE_ZNSN_ISO_Lb0ESQ_SR_ST_SU_SY_EESZ_S10_S11_S12_S16_S17_S18_S1B_S1C_jS1D_jS1E_S1E_jjS1G_bEUljE0_EEESZ_S10_S11_S18_S1C_S1E_T6_T7_T9_mT8_S1G_bDpT10_ENKUlT_T0_E_clISt17integral_constantIbLb1EES1U_EEDaS1P_S1Q_EUlS1P_E_NS1_11comp_targetILNS1_3genE4ELNS1_11target_archE910ELNS1_3gpuE8ELNS1_3repE0EEENS1_30default_config_static_selectorELNS0_4arch9wavefront6targetE0EEEvS12_.num_named_barrier, 0
	.set _ZN7rocprim17ROCPRIM_400000_NS6detail17trampoline_kernelINS0_13select_configILj256ELj13ELNS0_17block_load_methodE3ELS4_3ELS4_3ELNS0_20block_scan_algorithmE0ELj4294967295EEENS1_25partition_config_selectorILNS1_17partition_subalgoE4EjNS0_10empty_typeEbEEZZNS1_14partition_implILS8_4ELb0ES6_15HIP_vector_typeIjLj2EENS0_17counting_iteratorIjlEEPS9_SG_NS0_5tupleIJPjSI_NS0_16reverse_iteratorISI_EEEEENSH_IJSG_SG_SG_EEES9_SI_JZNS1_25segmented_radix_sort_implINS0_14default_configELb0EPKsPsPKlPlN2at6native12_GLOBAL__N_18offset_tEEE10hipError_tPvRmT1_PNSt15iterator_traitsIS12_E10value_typeET2_T3_PNS13_IS18_E10value_typeET4_jRbjT5_S1E_jjP12ihipStream_tbEUljE_ZNSN_ISO_Lb0ESQ_SR_ST_SU_SY_EESZ_S10_S11_S12_S16_S17_S18_S1B_S1C_jS1D_jS1E_S1E_jjS1G_bEUljE0_EEESZ_S10_S11_S18_S1C_S1E_T6_T7_T9_mT8_S1G_bDpT10_ENKUlT_T0_E_clISt17integral_constantIbLb1EES1U_EEDaS1P_S1Q_EUlS1P_E_NS1_11comp_targetILNS1_3genE4ELNS1_11target_archE910ELNS1_3gpuE8ELNS1_3repE0EEENS1_30default_config_static_selectorELNS0_4arch9wavefront6targetE0EEEvS12_.private_seg_size, 0
	.set _ZN7rocprim17ROCPRIM_400000_NS6detail17trampoline_kernelINS0_13select_configILj256ELj13ELNS0_17block_load_methodE3ELS4_3ELS4_3ELNS0_20block_scan_algorithmE0ELj4294967295EEENS1_25partition_config_selectorILNS1_17partition_subalgoE4EjNS0_10empty_typeEbEEZZNS1_14partition_implILS8_4ELb0ES6_15HIP_vector_typeIjLj2EENS0_17counting_iteratorIjlEEPS9_SG_NS0_5tupleIJPjSI_NS0_16reverse_iteratorISI_EEEEENSH_IJSG_SG_SG_EEES9_SI_JZNS1_25segmented_radix_sort_implINS0_14default_configELb0EPKsPsPKlPlN2at6native12_GLOBAL__N_18offset_tEEE10hipError_tPvRmT1_PNSt15iterator_traitsIS12_E10value_typeET2_T3_PNS13_IS18_E10value_typeET4_jRbjT5_S1E_jjP12ihipStream_tbEUljE_ZNSN_ISO_Lb0ESQ_SR_ST_SU_SY_EESZ_S10_S11_S12_S16_S17_S18_S1B_S1C_jS1D_jS1E_S1E_jjS1G_bEUljE0_EEESZ_S10_S11_S18_S1C_S1E_T6_T7_T9_mT8_S1G_bDpT10_ENKUlT_T0_E_clISt17integral_constantIbLb1EES1U_EEDaS1P_S1Q_EUlS1P_E_NS1_11comp_targetILNS1_3genE4ELNS1_11target_archE910ELNS1_3gpuE8ELNS1_3repE0EEENS1_30default_config_static_selectorELNS0_4arch9wavefront6targetE0EEEvS12_.uses_vcc, 0
	.set _ZN7rocprim17ROCPRIM_400000_NS6detail17trampoline_kernelINS0_13select_configILj256ELj13ELNS0_17block_load_methodE3ELS4_3ELS4_3ELNS0_20block_scan_algorithmE0ELj4294967295EEENS1_25partition_config_selectorILNS1_17partition_subalgoE4EjNS0_10empty_typeEbEEZZNS1_14partition_implILS8_4ELb0ES6_15HIP_vector_typeIjLj2EENS0_17counting_iteratorIjlEEPS9_SG_NS0_5tupleIJPjSI_NS0_16reverse_iteratorISI_EEEEENSH_IJSG_SG_SG_EEES9_SI_JZNS1_25segmented_radix_sort_implINS0_14default_configELb0EPKsPsPKlPlN2at6native12_GLOBAL__N_18offset_tEEE10hipError_tPvRmT1_PNSt15iterator_traitsIS12_E10value_typeET2_T3_PNS13_IS18_E10value_typeET4_jRbjT5_S1E_jjP12ihipStream_tbEUljE_ZNSN_ISO_Lb0ESQ_SR_ST_SU_SY_EESZ_S10_S11_S12_S16_S17_S18_S1B_S1C_jS1D_jS1E_S1E_jjS1G_bEUljE0_EEESZ_S10_S11_S18_S1C_S1E_T6_T7_T9_mT8_S1G_bDpT10_ENKUlT_T0_E_clISt17integral_constantIbLb1EES1U_EEDaS1P_S1Q_EUlS1P_E_NS1_11comp_targetILNS1_3genE4ELNS1_11target_archE910ELNS1_3gpuE8ELNS1_3repE0EEENS1_30default_config_static_selectorELNS0_4arch9wavefront6targetE0EEEvS12_.uses_flat_scratch, 0
	.set _ZN7rocprim17ROCPRIM_400000_NS6detail17trampoline_kernelINS0_13select_configILj256ELj13ELNS0_17block_load_methodE3ELS4_3ELS4_3ELNS0_20block_scan_algorithmE0ELj4294967295EEENS1_25partition_config_selectorILNS1_17partition_subalgoE4EjNS0_10empty_typeEbEEZZNS1_14partition_implILS8_4ELb0ES6_15HIP_vector_typeIjLj2EENS0_17counting_iteratorIjlEEPS9_SG_NS0_5tupleIJPjSI_NS0_16reverse_iteratorISI_EEEEENSH_IJSG_SG_SG_EEES9_SI_JZNS1_25segmented_radix_sort_implINS0_14default_configELb0EPKsPsPKlPlN2at6native12_GLOBAL__N_18offset_tEEE10hipError_tPvRmT1_PNSt15iterator_traitsIS12_E10value_typeET2_T3_PNS13_IS18_E10value_typeET4_jRbjT5_S1E_jjP12ihipStream_tbEUljE_ZNSN_ISO_Lb0ESQ_SR_ST_SU_SY_EESZ_S10_S11_S12_S16_S17_S18_S1B_S1C_jS1D_jS1E_S1E_jjS1G_bEUljE0_EEESZ_S10_S11_S18_S1C_S1E_T6_T7_T9_mT8_S1G_bDpT10_ENKUlT_T0_E_clISt17integral_constantIbLb1EES1U_EEDaS1P_S1Q_EUlS1P_E_NS1_11comp_targetILNS1_3genE4ELNS1_11target_archE910ELNS1_3gpuE8ELNS1_3repE0EEENS1_30default_config_static_selectorELNS0_4arch9wavefront6targetE0EEEvS12_.has_dyn_sized_stack, 0
	.set _ZN7rocprim17ROCPRIM_400000_NS6detail17trampoline_kernelINS0_13select_configILj256ELj13ELNS0_17block_load_methodE3ELS4_3ELS4_3ELNS0_20block_scan_algorithmE0ELj4294967295EEENS1_25partition_config_selectorILNS1_17partition_subalgoE4EjNS0_10empty_typeEbEEZZNS1_14partition_implILS8_4ELb0ES6_15HIP_vector_typeIjLj2EENS0_17counting_iteratorIjlEEPS9_SG_NS0_5tupleIJPjSI_NS0_16reverse_iteratorISI_EEEEENSH_IJSG_SG_SG_EEES9_SI_JZNS1_25segmented_radix_sort_implINS0_14default_configELb0EPKsPsPKlPlN2at6native12_GLOBAL__N_18offset_tEEE10hipError_tPvRmT1_PNSt15iterator_traitsIS12_E10value_typeET2_T3_PNS13_IS18_E10value_typeET4_jRbjT5_S1E_jjP12ihipStream_tbEUljE_ZNSN_ISO_Lb0ESQ_SR_ST_SU_SY_EESZ_S10_S11_S12_S16_S17_S18_S1B_S1C_jS1D_jS1E_S1E_jjS1G_bEUljE0_EEESZ_S10_S11_S18_S1C_S1E_T6_T7_T9_mT8_S1G_bDpT10_ENKUlT_T0_E_clISt17integral_constantIbLb1EES1U_EEDaS1P_S1Q_EUlS1P_E_NS1_11comp_targetILNS1_3genE4ELNS1_11target_archE910ELNS1_3gpuE8ELNS1_3repE0EEENS1_30default_config_static_selectorELNS0_4arch9wavefront6targetE0EEEvS12_.has_recursion, 0
	.set _ZN7rocprim17ROCPRIM_400000_NS6detail17trampoline_kernelINS0_13select_configILj256ELj13ELNS0_17block_load_methodE3ELS4_3ELS4_3ELNS0_20block_scan_algorithmE0ELj4294967295EEENS1_25partition_config_selectorILNS1_17partition_subalgoE4EjNS0_10empty_typeEbEEZZNS1_14partition_implILS8_4ELb0ES6_15HIP_vector_typeIjLj2EENS0_17counting_iteratorIjlEEPS9_SG_NS0_5tupleIJPjSI_NS0_16reverse_iteratorISI_EEEEENSH_IJSG_SG_SG_EEES9_SI_JZNS1_25segmented_radix_sort_implINS0_14default_configELb0EPKsPsPKlPlN2at6native12_GLOBAL__N_18offset_tEEE10hipError_tPvRmT1_PNSt15iterator_traitsIS12_E10value_typeET2_T3_PNS13_IS18_E10value_typeET4_jRbjT5_S1E_jjP12ihipStream_tbEUljE_ZNSN_ISO_Lb0ESQ_SR_ST_SU_SY_EESZ_S10_S11_S12_S16_S17_S18_S1B_S1C_jS1D_jS1E_S1E_jjS1G_bEUljE0_EEESZ_S10_S11_S18_S1C_S1E_T6_T7_T9_mT8_S1G_bDpT10_ENKUlT_T0_E_clISt17integral_constantIbLb1EES1U_EEDaS1P_S1Q_EUlS1P_E_NS1_11comp_targetILNS1_3genE4ELNS1_11target_archE910ELNS1_3gpuE8ELNS1_3repE0EEENS1_30default_config_static_selectorELNS0_4arch9wavefront6targetE0EEEvS12_.has_indirect_call, 0
	.section	.AMDGPU.csdata,"",@progbits
; Kernel info:
; codeLenInByte = 0
; TotalNumSgprs: 0
; NumVgprs: 0
; ScratchSize: 0
; MemoryBound: 0
; FloatMode: 240
; IeeeMode: 1
; LDSByteSize: 0 bytes/workgroup (compile time only)
; SGPRBlocks: 0
; VGPRBlocks: 0
; NumSGPRsForWavesPerEU: 1
; NumVGPRsForWavesPerEU: 1
; NamedBarCnt: 0
; Occupancy: 16
; WaveLimiterHint : 0
; COMPUTE_PGM_RSRC2:SCRATCH_EN: 0
; COMPUTE_PGM_RSRC2:USER_SGPR: 2
; COMPUTE_PGM_RSRC2:TRAP_HANDLER: 0
; COMPUTE_PGM_RSRC2:TGID_X_EN: 1
; COMPUTE_PGM_RSRC2:TGID_Y_EN: 0
; COMPUTE_PGM_RSRC2:TGID_Z_EN: 0
; COMPUTE_PGM_RSRC2:TIDIG_COMP_CNT: 0
	.section	.text._ZN7rocprim17ROCPRIM_400000_NS6detail17trampoline_kernelINS0_13select_configILj256ELj13ELNS0_17block_load_methodE3ELS4_3ELS4_3ELNS0_20block_scan_algorithmE0ELj4294967295EEENS1_25partition_config_selectorILNS1_17partition_subalgoE4EjNS0_10empty_typeEbEEZZNS1_14partition_implILS8_4ELb0ES6_15HIP_vector_typeIjLj2EENS0_17counting_iteratorIjlEEPS9_SG_NS0_5tupleIJPjSI_NS0_16reverse_iteratorISI_EEEEENSH_IJSG_SG_SG_EEES9_SI_JZNS1_25segmented_radix_sort_implINS0_14default_configELb0EPKsPsPKlPlN2at6native12_GLOBAL__N_18offset_tEEE10hipError_tPvRmT1_PNSt15iterator_traitsIS12_E10value_typeET2_T3_PNS13_IS18_E10value_typeET4_jRbjT5_S1E_jjP12ihipStream_tbEUljE_ZNSN_ISO_Lb0ESQ_SR_ST_SU_SY_EESZ_S10_S11_S12_S16_S17_S18_S1B_S1C_jS1D_jS1E_S1E_jjS1G_bEUljE0_EEESZ_S10_S11_S18_S1C_S1E_T6_T7_T9_mT8_S1G_bDpT10_ENKUlT_T0_E_clISt17integral_constantIbLb1EES1U_EEDaS1P_S1Q_EUlS1P_E_NS1_11comp_targetILNS1_3genE3ELNS1_11target_archE908ELNS1_3gpuE7ELNS1_3repE0EEENS1_30default_config_static_selectorELNS0_4arch9wavefront6targetE0EEEvS12_,"axG",@progbits,_ZN7rocprim17ROCPRIM_400000_NS6detail17trampoline_kernelINS0_13select_configILj256ELj13ELNS0_17block_load_methodE3ELS4_3ELS4_3ELNS0_20block_scan_algorithmE0ELj4294967295EEENS1_25partition_config_selectorILNS1_17partition_subalgoE4EjNS0_10empty_typeEbEEZZNS1_14partition_implILS8_4ELb0ES6_15HIP_vector_typeIjLj2EENS0_17counting_iteratorIjlEEPS9_SG_NS0_5tupleIJPjSI_NS0_16reverse_iteratorISI_EEEEENSH_IJSG_SG_SG_EEES9_SI_JZNS1_25segmented_radix_sort_implINS0_14default_configELb0EPKsPsPKlPlN2at6native12_GLOBAL__N_18offset_tEEE10hipError_tPvRmT1_PNSt15iterator_traitsIS12_E10value_typeET2_T3_PNS13_IS18_E10value_typeET4_jRbjT5_S1E_jjP12ihipStream_tbEUljE_ZNSN_ISO_Lb0ESQ_SR_ST_SU_SY_EESZ_S10_S11_S12_S16_S17_S18_S1B_S1C_jS1D_jS1E_S1E_jjS1G_bEUljE0_EEESZ_S10_S11_S18_S1C_S1E_T6_T7_T9_mT8_S1G_bDpT10_ENKUlT_T0_E_clISt17integral_constantIbLb1EES1U_EEDaS1P_S1Q_EUlS1P_E_NS1_11comp_targetILNS1_3genE3ELNS1_11target_archE908ELNS1_3gpuE7ELNS1_3repE0EEENS1_30default_config_static_selectorELNS0_4arch9wavefront6targetE0EEEvS12_,comdat
	.globl	_ZN7rocprim17ROCPRIM_400000_NS6detail17trampoline_kernelINS0_13select_configILj256ELj13ELNS0_17block_load_methodE3ELS4_3ELS4_3ELNS0_20block_scan_algorithmE0ELj4294967295EEENS1_25partition_config_selectorILNS1_17partition_subalgoE4EjNS0_10empty_typeEbEEZZNS1_14partition_implILS8_4ELb0ES6_15HIP_vector_typeIjLj2EENS0_17counting_iteratorIjlEEPS9_SG_NS0_5tupleIJPjSI_NS0_16reverse_iteratorISI_EEEEENSH_IJSG_SG_SG_EEES9_SI_JZNS1_25segmented_radix_sort_implINS0_14default_configELb0EPKsPsPKlPlN2at6native12_GLOBAL__N_18offset_tEEE10hipError_tPvRmT1_PNSt15iterator_traitsIS12_E10value_typeET2_T3_PNS13_IS18_E10value_typeET4_jRbjT5_S1E_jjP12ihipStream_tbEUljE_ZNSN_ISO_Lb0ESQ_SR_ST_SU_SY_EESZ_S10_S11_S12_S16_S17_S18_S1B_S1C_jS1D_jS1E_S1E_jjS1G_bEUljE0_EEESZ_S10_S11_S18_S1C_S1E_T6_T7_T9_mT8_S1G_bDpT10_ENKUlT_T0_E_clISt17integral_constantIbLb1EES1U_EEDaS1P_S1Q_EUlS1P_E_NS1_11comp_targetILNS1_3genE3ELNS1_11target_archE908ELNS1_3gpuE7ELNS1_3repE0EEENS1_30default_config_static_selectorELNS0_4arch9wavefront6targetE0EEEvS12_ ; -- Begin function _ZN7rocprim17ROCPRIM_400000_NS6detail17trampoline_kernelINS0_13select_configILj256ELj13ELNS0_17block_load_methodE3ELS4_3ELS4_3ELNS0_20block_scan_algorithmE0ELj4294967295EEENS1_25partition_config_selectorILNS1_17partition_subalgoE4EjNS0_10empty_typeEbEEZZNS1_14partition_implILS8_4ELb0ES6_15HIP_vector_typeIjLj2EENS0_17counting_iteratorIjlEEPS9_SG_NS0_5tupleIJPjSI_NS0_16reverse_iteratorISI_EEEEENSH_IJSG_SG_SG_EEES9_SI_JZNS1_25segmented_radix_sort_implINS0_14default_configELb0EPKsPsPKlPlN2at6native12_GLOBAL__N_18offset_tEEE10hipError_tPvRmT1_PNSt15iterator_traitsIS12_E10value_typeET2_T3_PNS13_IS18_E10value_typeET4_jRbjT5_S1E_jjP12ihipStream_tbEUljE_ZNSN_ISO_Lb0ESQ_SR_ST_SU_SY_EESZ_S10_S11_S12_S16_S17_S18_S1B_S1C_jS1D_jS1E_S1E_jjS1G_bEUljE0_EEESZ_S10_S11_S18_S1C_S1E_T6_T7_T9_mT8_S1G_bDpT10_ENKUlT_T0_E_clISt17integral_constantIbLb1EES1U_EEDaS1P_S1Q_EUlS1P_E_NS1_11comp_targetILNS1_3genE3ELNS1_11target_archE908ELNS1_3gpuE7ELNS1_3repE0EEENS1_30default_config_static_selectorELNS0_4arch9wavefront6targetE0EEEvS12_
	.p2align	8
	.type	_ZN7rocprim17ROCPRIM_400000_NS6detail17trampoline_kernelINS0_13select_configILj256ELj13ELNS0_17block_load_methodE3ELS4_3ELS4_3ELNS0_20block_scan_algorithmE0ELj4294967295EEENS1_25partition_config_selectorILNS1_17partition_subalgoE4EjNS0_10empty_typeEbEEZZNS1_14partition_implILS8_4ELb0ES6_15HIP_vector_typeIjLj2EENS0_17counting_iteratorIjlEEPS9_SG_NS0_5tupleIJPjSI_NS0_16reverse_iteratorISI_EEEEENSH_IJSG_SG_SG_EEES9_SI_JZNS1_25segmented_radix_sort_implINS0_14default_configELb0EPKsPsPKlPlN2at6native12_GLOBAL__N_18offset_tEEE10hipError_tPvRmT1_PNSt15iterator_traitsIS12_E10value_typeET2_T3_PNS13_IS18_E10value_typeET4_jRbjT5_S1E_jjP12ihipStream_tbEUljE_ZNSN_ISO_Lb0ESQ_SR_ST_SU_SY_EESZ_S10_S11_S12_S16_S17_S18_S1B_S1C_jS1D_jS1E_S1E_jjS1G_bEUljE0_EEESZ_S10_S11_S18_S1C_S1E_T6_T7_T9_mT8_S1G_bDpT10_ENKUlT_T0_E_clISt17integral_constantIbLb1EES1U_EEDaS1P_S1Q_EUlS1P_E_NS1_11comp_targetILNS1_3genE3ELNS1_11target_archE908ELNS1_3gpuE7ELNS1_3repE0EEENS1_30default_config_static_selectorELNS0_4arch9wavefront6targetE0EEEvS12_,@function
_ZN7rocprim17ROCPRIM_400000_NS6detail17trampoline_kernelINS0_13select_configILj256ELj13ELNS0_17block_load_methodE3ELS4_3ELS4_3ELNS0_20block_scan_algorithmE0ELj4294967295EEENS1_25partition_config_selectorILNS1_17partition_subalgoE4EjNS0_10empty_typeEbEEZZNS1_14partition_implILS8_4ELb0ES6_15HIP_vector_typeIjLj2EENS0_17counting_iteratorIjlEEPS9_SG_NS0_5tupleIJPjSI_NS0_16reverse_iteratorISI_EEEEENSH_IJSG_SG_SG_EEES9_SI_JZNS1_25segmented_radix_sort_implINS0_14default_configELb0EPKsPsPKlPlN2at6native12_GLOBAL__N_18offset_tEEE10hipError_tPvRmT1_PNSt15iterator_traitsIS12_E10value_typeET2_T3_PNS13_IS18_E10value_typeET4_jRbjT5_S1E_jjP12ihipStream_tbEUljE_ZNSN_ISO_Lb0ESQ_SR_ST_SU_SY_EESZ_S10_S11_S12_S16_S17_S18_S1B_S1C_jS1D_jS1E_S1E_jjS1G_bEUljE0_EEESZ_S10_S11_S18_S1C_S1E_T6_T7_T9_mT8_S1G_bDpT10_ENKUlT_T0_E_clISt17integral_constantIbLb1EES1U_EEDaS1P_S1Q_EUlS1P_E_NS1_11comp_targetILNS1_3genE3ELNS1_11target_archE908ELNS1_3gpuE7ELNS1_3repE0EEENS1_30default_config_static_selectorELNS0_4arch9wavefront6targetE0EEEvS12_: ; @_ZN7rocprim17ROCPRIM_400000_NS6detail17trampoline_kernelINS0_13select_configILj256ELj13ELNS0_17block_load_methodE3ELS4_3ELS4_3ELNS0_20block_scan_algorithmE0ELj4294967295EEENS1_25partition_config_selectorILNS1_17partition_subalgoE4EjNS0_10empty_typeEbEEZZNS1_14partition_implILS8_4ELb0ES6_15HIP_vector_typeIjLj2EENS0_17counting_iteratorIjlEEPS9_SG_NS0_5tupleIJPjSI_NS0_16reverse_iteratorISI_EEEEENSH_IJSG_SG_SG_EEES9_SI_JZNS1_25segmented_radix_sort_implINS0_14default_configELb0EPKsPsPKlPlN2at6native12_GLOBAL__N_18offset_tEEE10hipError_tPvRmT1_PNSt15iterator_traitsIS12_E10value_typeET2_T3_PNS13_IS18_E10value_typeET4_jRbjT5_S1E_jjP12ihipStream_tbEUljE_ZNSN_ISO_Lb0ESQ_SR_ST_SU_SY_EESZ_S10_S11_S12_S16_S17_S18_S1B_S1C_jS1D_jS1E_S1E_jjS1G_bEUljE0_EEESZ_S10_S11_S18_S1C_S1E_T6_T7_T9_mT8_S1G_bDpT10_ENKUlT_T0_E_clISt17integral_constantIbLb1EES1U_EEDaS1P_S1Q_EUlS1P_E_NS1_11comp_targetILNS1_3genE3ELNS1_11target_archE908ELNS1_3gpuE7ELNS1_3repE0EEENS1_30default_config_static_selectorELNS0_4arch9wavefront6targetE0EEEvS12_
; %bb.0:
	.section	.rodata,"a",@progbits
	.p2align	6, 0x0
	.amdhsa_kernel _ZN7rocprim17ROCPRIM_400000_NS6detail17trampoline_kernelINS0_13select_configILj256ELj13ELNS0_17block_load_methodE3ELS4_3ELS4_3ELNS0_20block_scan_algorithmE0ELj4294967295EEENS1_25partition_config_selectorILNS1_17partition_subalgoE4EjNS0_10empty_typeEbEEZZNS1_14partition_implILS8_4ELb0ES6_15HIP_vector_typeIjLj2EENS0_17counting_iteratorIjlEEPS9_SG_NS0_5tupleIJPjSI_NS0_16reverse_iteratorISI_EEEEENSH_IJSG_SG_SG_EEES9_SI_JZNS1_25segmented_radix_sort_implINS0_14default_configELb0EPKsPsPKlPlN2at6native12_GLOBAL__N_18offset_tEEE10hipError_tPvRmT1_PNSt15iterator_traitsIS12_E10value_typeET2_T3_PNS13_IS18_E10value_typeET4_jRbjT5_S1E_jjP12ihipStream_tbEUljE_ZNSN_ISO_Lb0ESQ_SR_ST_SU_SY_EESZ_S10_S11_S12_S16_S17_S18_S1B_S1C_jS1D_jS1E_S1E_jjS1G_bEUljE0_EEESZ_S10_S11_S18_S1C_S1E_T6_T7_T9_mT8_S1G_bDpT10_ENKUlT_T0_E_clISt17integral_constantIbLb1EES1U_EEDaS1P_S1Q_EUlS1P_E_NS1_11comp_targetILNS1_3genE3ELNS1_11target_archE908ELNS1_3gpuE7ELNS1_3repE0EEENS1_30default_config_static_selectorELNS0_4arch9wavefront6targetE0EEEvS12_
		.amdhsa_group_segment_fixed_size 0
		.amdhsa_private_segment_fixed_size 0
		.amdhsa_kernarg_size 184
		.amdhsa_user_sgpr_count 2
		.amdhsa_user_sgpr_dispatch_ptr 0
		.amdhsa_user_sgpr_queue_ptr 0
		.amdhsa_user_sgpr_kernarg_segment_ptr 1
		.amdhsa_user_sgpr_dispatch_id 0
		.amdhsa_user_sgpr_kernarg_preload_length 0
		.amdhsa_user_sgpr_kernarg_preload_offset 0
		.amdhsa_user_sgpr_private_segment_size 0
		.amdhsa_wavefront_size32 1
		.amdhsa_uses_dynamic_stack 0
		.amdhsa_enable_private_segment 0
		.amdhsa_system_sgpr_workgroup_id_x 1
		.amdhsa_system_sgpr_workgroup_id_y 0
		.amdhsa_system_sgpr_workgroup_id_z 0
		.amdhsa_system_sgpr_workgroup_info 0
		.amdhsa_system_vgpr_workitem_id 0
		.amdhsa_next_free_vgpr 1
		.amdhsa_next_free_sgpr 1
		.amdhsa_named_barrier_count 0
		.amdhsa_reserve_vcc 0
		.amdhsa_float_round_mode_32 0
		.amdhsa_float_round_mode_16_64 0
		.amdhsa_float_denorm_mode_32 3
		.amdhsa_float_denorm_mode_16_64 3
		.amdhsa_fp16_overflow 0
		.amdhsa_memory_ordered 1
		.amdhsa_forward_progress 1
		.amdhsa_inst_pref_size 0
		.amdhsa_round_robin_scheduling 0
		.amdhsa_exception_fp_ieee_invalid_op 0
		.amdhsa_exception_fp_denorm_src 0
		.amdhsa_exception_fp_ieee_div_zero 0
		.amdhsa_exception_fp_ieee_overflow 0
		.amdhsa_exception_fp_ieee_underflow 0
		.amdhsa_exception_fp_ieee_inexact 0
		.amdhsa_exception_int_div_zero 0
	.end_amdhsa_kernel
	.section	.text._ZN7rocprim17ROCPRIM_400000_NS6detail17trampoline_kernelINS0_13select_configILj256ELj13ELNS0_17block_load_methodE3ELS4_3ELS4_3ELNS0_20block_scan_algorithmE0ELj4294967295EEENS1_25partition_config_selectorILNS1_17partition_subalgoE4EjNS0_10empty_typeEbEEZZNS1_14partition_implILS8_4ELb0ES6_15HIP_vector_typeIjLj2EENS0_17counting_iteratorIjlEEPS9_SG_NS0_5tupleIJPjSI_NS0_16reverse_iteratorISI_EEEEENSH_IJSG_SG_SG_EEES9_SI_JZNS1_25segmented_radix_sort_implINS0_14default_configELb0EPKsPsPKlPlN2at6native12_GLOBAL__N_18offset_tEEE10hipError_tPvRmT1_PNSt15iterator_traitsIS12_E10value_typeET2_T3_PNS13_IS18_E10value_typeET4_jRbjT5_S1E_jjP12ihipStream_tbEUljE_ZNSN_ISO_Lb0ESQ_SR_ST_SU_SY_EESZ_S10_S11_S12_S16_S17_S18_S1B_S1C_jS1D_jS1E_S1E_jjS1G_bEUljE0_EEESZ_S10_S11_S18_S1C_S1E_T6_T7_T9_mT8_S1G_bDpT10_ENKUlT_T0_E_clISt17integral_constantIbLb1EES1U_EEDaS1P_S1Q_EUlS1P_E_NS1_11comp_targetILNS1_3genE3ELNS1_11target_archE908ELNS1_3gpuE7ELNS1_3repE0EEENS1_30default_config_static_selectorELNS0_4arch9wavefront6targetE0EEEvS12_,"axG",@progbits,_ZN7rocprim17ROCPRIM_400000_NS6detail17trampoline_kernelINS0_13select_configILj256ELj13ELNS0_17block_load_methodE3ELS4_3ELS4_3ELNS0_20block_scan_algorithmE0ELj4294967295EEENS1_25partition_config_selectorILNS1_17partition_subalgoE4EjNS0_10empty_typeEbEEZZNS1_14partition_implILS8_4ELb0ES6_15HIP_vector_typeIjLj2EENS0_17counting_iteratorIjlEEPS9_SG_NS0_5tupleIJPjSI_NS0_16reverse_iteratorISI_EEEEENSH_IJSG_SG_SG_EEES9_SI_JZNS1_25segmented_radix_sort_implINS0_14default_configELb0EPKsPsPKlPlN2at6native12_GLOBAL__N_18offset_tEEE10hipError_tPvRmT1_PNSt15iterator_traitsIS12_E10value_typeET2_T3_PNS13_IS18_E10value_typeET4_jRbjT5_S1E_jjP12ihipStream_tbEUljE_ZNSN_ISO_Lb0ESQ_SR_ST_SU_SY_EESZ_S10_S11_S12_S16_S17_S18_S1B_S1C_jS1D_jS1E_S1E_jjS1G_bEUljE0_EEESZ_S10_S11_S18_S1C_S1E_T6_T7_T9_mT8_S1G_bDpT10_ENKUlT_T0_E_clISt17integral_constantIbLb1EES1U_EEDaS1P_S1Q_EUlS1P_E_NS1_11comp_targetILNS1_3genE3ELNS1_11target_archE908ELNS1_3gpuE7ELNS1_3repE0EEENS1_30default_config_static_selectorELNS0_4arch9wavefront6targetE0EEEvS12_,comdat
.Lfunc_end956:
	.size	_ZN7rocprim17ROCPRIM_400000_NS6detail17trampoline_kernelINS0_13select_configILj256ELj13ELNS0_17block_load_methodE3ELS4_3ELS4_3ELNS0_20block_scan_algorithmE0ELj4294967295EEENS1_25partition_config_selectorILNS1_17partition_subalgoE4EjNS0_10empty_typeEbEEZZNS1_14partition_implILS8_4ELb0ES6_15HIP_vector_typeIjLj2EENS0_17counting_iteratorIjlEEPS9_SG_NS0_5tupleIJPjSI_NS0_16reverse_iteratorISI_EEEEENSH_IJSG_SG_SG_EEES9_SI_JZNS1_25segmented_radix_sort_implINS0_14default_configELb0EPKsPsPKlPlN2at6native12_GLOBAL__N_18offset_tEEE10hipError_tPvRmT1_PNSt15iterator_traitsIS12_E10value_typeET2_T3_PNS13_IS18_E10value_typeET4_jRbjT5_S1E_jjP12ihipStream_tbEUljE_ZNSN_ISO_Lb0ESQ_SR_ST_SU_SY_EESZ_S10_S11_S12_S16_S17_S18_S1B_S1C_jS1D_jS1E_S1E_jjS1G_bEUljE0_EEESZ_S10_S11_S18_S1C_S1E_T6_T7_T9_mT8_S1G_bDpT10_ENKUlT_T0_E_clISt17integral_constantIbLb1EES1U_EEDaS1P_S1Q_EUlS1P_E_NS1_11comp_targetILNS1_3genE3ELNS1_11target_archE908ELNS1_3gpuE7ELNS1_3repE0EEENS1_30default_config_static_selectorELNS0_4arch9wavefront6targetE0EEEvS12_, .Lfunc_end956-_ZN7rocprim17ROCPRIM_400000_NS6detail17trampoline_kernelINS0_13select_configILj256ELj13ELNS0_17block_load_methodE3ELS4_3ELS4_3ELNS0_20block_scan_algorithmE0ELj4294967295EEENS1_25partition_config_selectorILNS1_17partition_subalgoE4EjNS0_10empty_typeEbEEZZNS1_14partition_implILS8_4ELb0ES6_15HIP_vector_typeIjLj2EENS0_17counting_iteratorIjlEEPS9_SG_NS0_5tupleIJPjSI_NS0_16reverse_iteratorISI_EEEEENSH_IJSG_SG_SG_EEES9_SI_JZNS1_25segmented_radix_sort_implINS0_14default_configELb0EPKsPsPKlPlN2at6native12_GLOBAL__N_18offset_tEEE10hipError_tPvRmT1_PNSt15iterator_traitsIS12_E10value_typeET2_T3_PNS13_IS18_E10value_typeET4_jRbjT5_S1E_jjP12ihipStream_tbEUljE_ZNSN_ISO_Lb0ESQ_SR_ST_SU_SY_EESZ_S10_S11_S12_S16_S17_S18_S1B_S1C_jS1D_jS1E_S1E_jjS1G_bEUljE0_EEESZ_S10_S11_S18_S1C_S1E_T6_T7_T9_mT8_S1G_bDpT10_ENKUlT_T0_E_clISt17integral_constantIbLb1EES1U_EEDaS1P_S1Q_EUlS1P_E_NS1_11comp_targetILNS1_3genE3ELNS1_11target_archE908ELNS1_3gpuE7ELNS1_3repE0EEENS1_30default_config_static_selectorELNS0_4arch9wavefront6targetE0EEEvS12_
                                        ; -- End function
	.set _ZN7rocprim17ROCPRIM_400000_NS6detail17trampoline_kernelINS0_13select_configILj256ELj13ELNS0_17block_load_methodE3ELS4_3ELS4_3ELNS0_20block_scan_algorithmE0ELj4294967295EEENS1_25partition_config_selectorILNS1_17partition_subalgoE4EjNS0_10empty_typeEbEEZZNS1_14partition_implILS8_4ELb0ES6_15HIP_vector_typeIjLj2EENS0_17counting_iteratorIjlEEPS9_SG_NS0_5tupleIJPjSI_NS0_16reverse_iteratorISI_EEEEENSH_IJSG_SG_SG_EEES9_SI_JZNS1_25segmented_radix_sort_implINS0_14default_configELb0EPKsPsPKlPlN2at6native12_GLOBAL__N_18offset_tEEE10hipError_tPvRmT1_PNSt15iterator_traitsIS12_E10value_typeET2_T3_PNS13_IS18_E10value_typeET4_jRbjT5_S1E_jjP12ihipStream_tbEUljE_ZNSN_ISO_Lb0ESQ_SR_ST_SU_SY_EESZ_S10_S11_S12_S16_S17_S18_S1B_S1C_jS1D_jS1E_S1E_jjS1G_bEUljE0_EEESZ_S10_S11_S18_S1C_S1E_T6_T7_T9_mT8_S1G_bDpT10_ENKUlT_T0_E_clISt17integral_constantIbLb1EES1U_EEDaS1P_S1Q_EUlS1P_E_NS1_11comp_targetILNS1_3genE3ELNS1_11target_archE908ELNS1_3gpuE7ELNS1_3repE0EEENS1_30default_config_static_selectorELNS0_4arch9wavefront6targetE0EEEvS12_.num_vgpr, 0
	.set _ZN7rocprim17ROCPRIM_400000_NS6detail17trampoline_kernelINS0_13select_configILj256ELj13ELNS0_17block_load_methodE3ELS4_3ELS4_3ELNS0_20block_scan_algorithmE0ELj4294967295EEENS1_25partition_config_selectorILNS1_17partition_subalgoE4EjNS0_10empty_typeEbEEZZNS1_14partition_implILS8_4ELb0ES6_15HIP_vector_typeIjLj2EENS0_17counting_iteratorIjlEEPS9_SG_NS0_5tupleIJPjSI_NS0_16reverse_iteratorISI_EEEEENSH_IJSG_SG_SG_EEES9_SI_JZNS1_25segmented_radix_sort_implINS0_14default_configELb0EPKsPsPKlPlN2at6native12_GLOBAL__N_18offset_tEEE10hipError_tPvRmT1_PNSt15iterator_traitsIS12_E10value_typeET2_T3_PNS13_IS18_E10value_typeET4_jRbjT5_S1E_jjP12ihipStream_tbEUljE_ZNSN_ISO_Lb0ESQ_SR_ST_SU_SY_EESZ_S10_S11_S12_S16_S17_S18_S1B_S1C_jS1D_jS1E_S1E_jjS1G_bEUljE0_EEESZ_S10_S11_S18_S1C_S1E_T6_T7_T9_mT8_S1G_bDpT10_ENKUlT_T0_E_clISt17integral_constantIbLb1EES1U_EEDaS1P_S1Q_EUlS1P_E_NS1_11comp_targetILNS1_3genE3ELNS1_11target_archE908ELNS1_3gpuE7ELNS1_3repE0EEENS1_30default_config_static_selectorELNS0_4arch9wavefront6targetE0EEEvS12_.num_agpr, 0
	.set _ZN7rocprim17ROCPRIM_400000_NS6detail17trampoline_kernelINS0_13select_configILj256ELj13ELNS0_17block_load_methodE3ELS4_3ELS4_3ELNS0_20block_scan_algorithmE0ELj4294967295EEENS1_25partition_config_selectorILNS1_17partition_subalgoE4EjNS0_10empty_typeEbEEZZNS1_14partition_implILS8_4ELb0ES6_15HIP_vector_typeIjLj2EENS0_17counting_iteratorIjlEEPS9_SG_NS0_5tupleIJPjSI_NS0_16reverse_iteratorISI_EEEEENSH_IJSG_SG_SG_EEES9_SI_JZNS1_25segmented_radix_sort_implINS0_14default_configELb0EPKsPsPKlPlN2at6native12_GLOBAL__N_18offset_tEEE10hipError_tPvRmT1_PNSt15iterator_traitsIS12_E10value_typeET2_T3_PNS13_IS18_E10value_typeET4_jRbjT5_S1E_jjP12ihipStream_tbEUljE_ZNSN_ISO_Lb0ESQ_SR_ST_SU_SY_EESZ_S10_S11_S12_S16_S17_S18_S1B_S1C_jS1D_jS1E_S1E_jjS1G_bEUljE0_EEESZ_S10_S11_S18_S1C_S1E_T6_T7_T9_mT8_S1G_bDpT10_ENKUlT_T0_E_clISt17integral_constantIbLb1EES1U_EEDaS1P_S1Q_EUlS1P_E_NS1_11comp_targetILNS1_3genE3ELNS1_11target_archE908ELNS1_3gpuE7ELNS1_3repE0EEENS1_30default_config_static_selectorELNS0_4arch9wavefront6targetE0EEEvS12_.numbered_sgpr, 0
	.set _ZN7rocprim17ROCPRIM_400000_NS6detail17trampoline_kernelINS0_13select_configILj256ELj13ELNS0_17block_load_methodE3ELS4_3ELS4_3ELNS0_20block_scan_algorithmE0ELj4294967295EEENS1_25partition_config_selectorILNS1_17partition_subalgoE4EjNS0_10empty_typeEbEEZZNS1_14partition_implILS8_4ELb0ES6_15HIP_vector_typeIjLj2EENS0_17counting_iteratorIjlEEPS9_SG_NS0_5tupleIJPjSI_NS0_16reverse_iteratorISI_EEEEENSH_IJSG_SG_SG_EEES9_SI_JZNS1_25segmented_radix_sort_implINS0_14default_configELb0EPKsPsPKlPlN2at6native12_GLOBAL__N_18offset_tEEE10hipError_tPvRmT1_PNSt15iterator_traitsIS12_E10value_typeET2_T3_PNS13_IS18_E10value_typeET4_jRbjT5_S1E_jjP12ihipStream_tbEUljE_ZNSN_ISO_Lb0ESQ_SR_ST_SU_SY_EESZ_S10_S11_S12_S16_S17_S18_S1B_S1C_jS1D_jS1E_S1E_jjS1G_bEUljE0_EEESZ_S10_S11_S18_S1C_S1E_T6_T7_T9_mT8_S1G_bDpT10_ENKUlT_T0_E_clISt17integral_constantIbLb1EES1U_EEDaS1P_S1Q_EUlS1P_E_NS1_11comp_targetILNS1_3genE3ELNS1_11target_archE908ELNS1_3gpuE7ELNS1_3repE0EEENS1_30default_config_static_selectorELNS0_4arch9wavefront6targetE0EEEvS12_.num_named_barrier, 0
	.set _ZN7rocprim17ROCPRIM_400000_NS6detail17trampoline_kernelINS0_13select_configILj256ELj13ELNS0_17block_load_methodE3ELS4_3ELS4_3ELNS0_20block_scan_algorithmE0ELj4294967295EEENS1_25partition_config_selectorILNS1_17partition_subalgoE4EjNS0_10empty_typeEbEEZZNS1_14partition_implILS8_4ELb0ES6_15HIP_vector_typeIjLj2EENS0_17counting_iteratorIjlEEPS9_SG_NS0_5tupleIJPjSI_NS0_16reverse_iteratorISI_EEEEENSH_IJSG_SG_SG_EEES9_SI_JZNS1_25segmented_radix_sort_implINS0_14default_configELb0EPKsPsPKlPlN2at6native12_GLOBAL__N_18offset_tEEE10hipError_tPvRmT1_PNSt15iterator_traitsIS12_E10value_typeET2_T3_PNS13_IS18_E10value_typeET4_jRbjT5_S1E_jjP12ihipStream_tbEUljE_ZNSN_ISO_Lb0ESQ_SR_ST_SU_SY_EESZ_S10_S11_S12_S16_S17_S18_S1B_S1C_jS1D_jS1E_S1E_jjS1G_bEUljE0_EEESZ_S10_S11_S18_S1C_S1E_T6_T7_T9_mT8_S1G_bDpT10_ENKUlT_T0_E_clISt17integral_constantIbLb1EES1U_EEDaS1P_S1Q_EUlS1P_E_NS1_11comp_targetILNS1_3genE3ELNS1_11target_archE908ELNS1_3gpuE7ELNS1_3repE0EEENS1_30default_config_static_selectorELNS0_4arch9wavefront6targetE0EEEvS12_.private_seg_size, 0
	.set _ZN7rocprim17ROCPRIM_400000_NS6detail17trampoline_kernelINS0_13select_configILj256ELj13ELNS0_17block_load_methodE3ELS4_3ELS4_3ELNS0_20block_scan_algorithmE0ELj4294967295EEENS1_25partition_config_selectorILNS1_17partition_subalgoE4EjNS0_10empty_typeEbEEZZNS1_14partition_implILS8_4ELb0ES6_15HIP_vector_typeIjLj2EENS0_17counting_iteratorIjlEEPS9_SG_NS0_5tupleIJPjSI_NS0_16reverse_iteratorISI_EEEEENSH_IJSG_SG_SG_EEES9_SI_JZNS1_25segmented_radix_sort_implINS0_14default_configELb0EPKsPsPKlPlN2at6native12_GLOBAL__N_18offset_tEEE10hipError_tPvRmT1_PNSt15iterator_traitsIS12_E10value_typeET2_T3_PNS13_IS18_E10value_typeET4_jRbjT5_S1E_jjP12ihipStream_tbEUljE_ZNSN_ISO_Lb0ESQ_SR_ST_SU_SY_EESZ_S10_S11_S12_S16_S17_S18_S1B_S1C_jS1D_jS1E_S1E_jjS1G_bEUljE0_EEESZ_S10_S11_S18_S1C_S1E_T6_T7_T9_mT8_S1G_bDpT10_ENKUlT_T0_E_clISt17integral_constantIbLb1EES1U_EEDaS1P_S1Q_EUlS1P_E_NS1_11comp_targetILNS1_3genE3ELNS1_11target_archE908ELNS1_3gpuE7ELNS1_3repE0EEENS1_30default_config_static_selectorELNS0_4arch9wavefront6targetE0EEEvS12_.uses_vcc, 0
	.set _ZN7rocprim17ROCPRIM_400000_NS6detail17trampoline_kernelINS0_13select_configILj256ELj13ELNS0_17block_load_methodE3ELS4_3ELS4_3ELNS0_20block_scan_algorithmE0ELj4294967295EEENS1_25partition_config_selectorILNS1_17partition_subalgoE4EjNS0_10empty_typeEbEEZZNS1_14partition_implILS8_4ELb0ES6_15HIP_vector_typeIjLj2EENS0_17counting_iteratorIjlEEPS9_SG_NS0_5tupleIJPjSI_NS0_16reverse_iteratorISI_EEEEENSH_IJSG_SG_SG_EEES9_SI_JZNS1_25segmented_radix_sort_implINS0_14default_configELb0EPKsPsPKlPlN2at6native12_GLOBAL__N_18offset_tEEE10hipError_tPvRmT1_PNSt15iterator_traitsIS12_E10value_typeET2_T3_PNS13_IS18_E10value_typeET4_jRbjT5_S1E_jjP12ihipStream_tbEUljE_ZNSN_ISO_Lb0ESQ_SR_ST_SU_SY_EESZ_S10_S11_S12_S16_S17_S18_S1B_S1C_jS1D_jS1E_S1E_jjS1G_bEUljE0_EEESZ_S10_S11_S18_S1C_S1E_T6_T7_T9_mT8_S1G_bDpT10_ENKUlT_T0_E_clISt17integral_constantIbLb1EES1U_EEDaS1P_S1Q_EUlS1P_E_NS1_11comp_targetILNS1_3genE3ELNS1_11target_archE908ELNS1_3gpuE7ELNS1_3repE0EEENS1_30default_config_static_selectorELNS0_4arch9wavefront6targetE0EEEvS12_.uses_flat_scratch, 0
	.set _ZN7rocprim17ROCPRIM_400000_NS6detail17trampoline_kernelINS0_13select_configILj256ELj13ELNS0_17block_load_methodE3ELS4_3ELS4_3ELNS0_20block_scan_algorithmE0ELj4294967295EEENS1_25partition_config_selectorILNS1_17partition_subalgoE4EjNS0_10empty_typeEbEEZZNS1_14partition_implILS8_4ELb0ES6_15HIP_vector_typeIjLj2EENS0_17counting_iteratorIjlEEPS9_SG_NS0_5tupleIJPjSI_NS0_16reverse_iteratorISI_EEEEENSH_IJSG_SG_SG_EEES9_SI_JZNS1_25segmented_radix_sort_implINS0_14default_configELb0EPKsPsPKlPlN2at6native12_GLOBAL__N_18offset_tEEE10hipError_tPvRmT1_PNSt15iterator_traitsIS12_E10value_typeET2_T3_PNS13_IS18_E10value_typeET4_jRbjT5_S1E_jjP12ihipStream_tbEUljE_ZNSN_ISO_Lb0ESQ_SR_ST_SU_SY_EESZ_S10_S11_S12_S16_S17_S18_S1B_S1C_jS1D_jS1E_S1E_jjS1G_bEUljE0_EEESZ_S10_S11_S18_S1C_S1E_T6_T7_T9_mT8_S1G_bDpT10_ENKUlT_T0_E_clISt17integral_constantIbLb1EES1U_EEDaS1P_S1Q_EUlS1P_E_NS1_11comp_targetILNS1_3genE3ELNS1_11target_archE908ELNS1_3gpuE7ELNS1_3repE0EEENS1_30default_config_static_selectorELNS0_4arch9wavefront6targetE0EEEvS12_.has_dyn_sized_stack, 0
	.set _ZN7rocprim17ROCPRIM_400000_NS6detail17trampoline_kernelINS0_13select_configILj256ELj13ELNS0_17block_load_methodE3ELS4_3ELS4_3ELNS0_20block_scan_algorithmE0ELj4294967295EEENS1_25partition_config_selectorILNS1_17partition_subalgoE4EjNS0_10empty_typeEbEEZZNS1_14partition_implILS8_4ELb0ES6_15HIP_vector_typeIjLj2EENS0_17counting_iteratorIjlEEPS9_SG_NS0_5tupleIJPjSI_NS0_16reverse_iteratorISI_EEEEENSH_IJSG_SG_SG_EEES9_SI_JZNS1_25segmented_radix_sort_implINS0_14default_configELb0EPKsPsPKlPlN2at6native12_GLOBAL__N_18offset_tEEE10hipError_tPvRmT1_PNSt15iterator_traitsIS12_E10value_typeET2_T3_PNS13_IS18_E10value_typeET4_jRbjT5_S1E_jjP12ihipStream_tbEUljE_ZNSN_ISO_Lb0ESQ_SR_ST_SU_SY_EESZ_S10_S11_S12_S16_S17_S18_S1B_S1C_jS1D_jS1E_S1E_jjS1G_bEUljE0_EEESZ_S10_S11_S18_S1C_S1E_T6_T7_T9_mT8_S1G_bDpT10_ENKUlT_T0_E_clISt17integral_constantIbLb1EES1U_EEDaS1P_S1Q_EUlS1P_E_NS1_11comp_targetILNS1_3genE3ELNS1_11target_archE908ELNS1_3gpuE7ELNS1_3repE0EEENS1_30default_config_static_selectorELNS0_4arch9wavefront6targetE0EEEvS12_.has_recursion, 0
	.set _ZN7rocprim17ROCPRIM_400000_NS6detail17trampoline_kernelINS0_13select_configILj256ELj13ELNS0_17block_load_methodE3ELS4_3ELS4_3ELNS0_20block_scan_algorithmE0ELj4294967295EEENS1_25partition_config_selectorILNS1_17partition_subalgoE4EjNS0_10empty_typeEbEEZZNS1_14partition_implILS8_4ELb0ES6_15HIP_vector_typeIjLj2EENS0_17counting_iteratorIjlEEPS9_SG_NS0_5tupleIJPjSI_NS0_16reverse_iteratorISI_EEEEENSH_IJSG_SG_SG_EEES9_SI_JZNS1_25segmented_radix_sort_implINS0_14default_configELb0EPKsPsPKlPlN2at6native12_GLOBAL__N_18offset_tEEE10hipError_tPvRmT1_PNSt15iterator_traitsIS12_E10value_typeET2_T3_PNS13_IS18_E10value_typeET4_jRbjT5_S1E_jjP12ihipStream_tbEUljE_ZNSN_ISO_Lb0ESQ_SR_ST_SU_SY_EESZ_S10_S11_S12_S16_S17_S18_S1B_S1C_jS1D_jS1E_S1E_jjS1G_bEUljE0_EEESZ_S10_S11_S18_S1C_S1E_T6_T7_T9_mT8_S1G_bDpT10_ENKUlT_T0_E_clISt17integral_constantIbLb1EES1U_EEDaS1P_S1Q_EUlS1P_E_NS1_11comp_targetILNS1_3genE3ELNS1_11target_archE908ELNS1_3gpuE7ELNS1_3repE0EEENS1_30default_config_static_selectorELNS0_4arch9wavefront6targetE0EEEvS12_.has_indirect_call, 0
	.section	.AMDGPU.csdata,"",@progbits
; Kernel info:
; codeLenInByte = 0
; TotalNumSgprs: 0
; NumVgprs: 0
; ScratchSize: 0
; MemoryBound: 0
; FloatMode: 240
; IeeeMode: 1
; LDSByteSize: 0 bytes/workgroup (compile time only)
; SGPRBlocks: 0
; VGPRBlocks: 0
; NumSGPRsForWavesPerEU: 1
; NumVGPRsForWavesPerEU: 1
; NamedBarCnt: 0
; Occupancy: 16
; WaveLimiterHint : 0
; COMPUTE_PGM_RSRC2:SCRATCH_EN: 0
; COMPUTE_PGM_RSRC2:USER_SGPR: 2
; COMPUTE_PGM_RSRC2:TRAP_HANDLER: 0
; COMPUTE_PGM_RSRC2:TGID_X_EN: 1
; COMPUTE_PGM_RSRC2:TGID_Y_EN: 0
; COMPUTE_PGM_RSRC2:TGID_Z_EN: 0
; COMPUTE_PGM_RSRC2:TIDIG_COMP_CNT: 0
	.section	.text._ZN7rocprim17ROCPRIM_400000_NS6detail17trampoline_kernelINS0_13select_configILj256ELj13ELNS0_17block_load_methodE3ELS4_3ELS4_3ELNS0_20block_scan_algorithmE0ELj4294967295EEENS1_25partition_config_selectorILNS1_17partition_subalgoE4EjNS0_10empty_typeEbEEZZNS1_14partition_implILS8_4ELb0ES6_15HIP_vector_typeIjLj2EENS0_17counting_iteratorIjlEEPS9_SG_NS0_5tupleIJPjSI_NS0_16reverse_iteratorISI_EEEEENSH_IJSG_SG_SG_EEES9_SI_JZNS1_25segmented_radix_sort_implINS0_14default_configELb0EPKsPsPKlPlN2at6native12_GLOBAL__N_18offset_tEEE10hipError_tPvRmT1_PNSt15iterator_traitsIS12_E10value_typeET2_T3_PNS13_IS18_E10value_typeET4_jRbjT5_S1E_jjP12ihipStream_tbEUljE_ZNSN_ISO_Lb0ESQ_SR_ST_SU_SY_EESZ_S10_S11_S12_S16_S17_S18_S1B_S1C_jS1D_jS1E_S1E_jjS1G_bEUljE0_EEESZ_S10_S11_S18_S1C_S1E_T6_T7_T9_mT8_S1G_bDpT10_ENKUlT_T0_E_clISt17integral_constantIbLb1EES1U_EEDaS1P_S1Q_EUlS1P_E_NS1_11comp_targetILNS1_3genE2ELNS1_11target_archE906ELNS1_3gpuE6ELNS1_3repE0EEENS1_30default_config_static_selectorELNS0_4arch9wavefront6targetE0EEEvS12_,"axG",@progbits,_ZN7rocprim17ROCPRIM_400000_NS6detail17trampoline_kernelINS0_13select_configILj256ELj13ELNS0_17block_load_methodE3ELS4_3ELS4_3ELNS0_20block_scan_algorithmE0ELj4294967295EEENS1_25partition_config_selectorILNS1_17partition_subalgoE4EjNS0_10empty_typeEbEEZZNS1_14partition_implILS8_4ELb0ES6_15HIP_vector_typeIjLj2EENS0_17counting_iteratorIjlEEPS9_SG_NS0_5tupleIJPjSI_NS0_16reverse_iteratorISI_EEEEENSH_IJSG_SG_SG_EEES9_SI_JZNS1_25segmented_radix_sort_implINS0_14default_configELb0EPKsPsPKlPlN2at6native12_GLOBAL__N_18offset_tEEE10hipError_tPvRmT1_PNSt15iterator_traitsIS12_E10value_typeET2_T3_PNS13_IS18_E10value_typeET4_jRbjT5_S1E_jjP12ihipStream_tbEUljE_ZNSN_ISO_Lb0ESQ_SR_ST_SU_SY_EESZ_S10_S11_S12_S16_S17_S18_S1B_S1C_jS1D_jS1E_S1E_jjS1G_bEUljE0_EEESZ_S10_S11_S18_S1C_S1E_T6_T7_T9_mT8_S1G_bDpT10_ENKUlT_T0_E_clISt17integral_constantIbLb1EES1U_EEDaS1P_S1Q_EUlS1P_E_NS1_11comp_targetILNS1_3genE2ELNS1_11target_archE906ELNS1_3gpuE6ELNS1_3repE0EEENS1_30default_config_static_selectorELNS0_4arch9wavefront6targetE0EEEvS12_,comdat
	.globl	_ZN7rocprim17ROCPRIM_400000_NS6detail17trampoline_kernelINS0_13select_configILj256ELj13ELNS0_17block_load_methodE3ELS4_3ELS4_3ELNS0_20block_scan_algorithmE0ELj4294967295EEENS1_25partition_config_selectorILNS1_17partition_subalgoE4EjNS0_10empty_typeEbEEZZNS1_14partition_implILS8_4ELb0ES6_15HIP_vector_typeIjLj2EENS0_17counting_iteratorIjlEEPS9_SG_NS0_5tupleIJPjSI_NS0_16reverse_iteratorISI_EEEEENSH_IJSG_SG_SG_EEES9_SI_JZNS1_25segmented_radix_sort_implINS0_14default_configELb0EPKsPsPKlPlN2at6native12_GLOBAL__N_18offset_tEEE10hipError_tPvRmT1_PNSt15iterator_traitsIS12_E10value_typeET2_T3_PNS13_IS18_E10value_typeET4_jRbjT5_S1E_jjP12ihipStream_tbEUljE_ZNSN_ISO_Lb0ESQ_SR_ST_SU_SY_EESZ_S10_S11_S12_S16_S17_S18_S1B_S1C_jS1D_jS1E_S1E_jjS1G_bEUljE0_EEESZ_S10_S11_S18_S1C_S1E_T6_T7_T9_mT8_S1G_bDpT10_ENKUlT_T0_E_clISt17integral_constantIbLb1EES1U_EEDaS1P_S1Q_EUlS1P_E_NS1_11comp_targetILNS1_3genE2ELNS1_11target_archE906ELNS1_3gpuE6ELNS1_3repE0EEENS1_30default_config_static_selectorELNS0_4arch9wavefront6targetE0EEEvS12_ ; -- Begin function _ZN7rocprim17ROCPRIM_400000_NS6detail17trampoline_kernelINS0_13select_configILj256ELj13ELNS0_17block_load_methodE3ELS4_3ELS4_3ELNS0_20block_scan_algorithmE0ELj4294967295EEENS1_25partition_config_selectorILNS1_17partition_subalgoE4EjNS0_10empty_typeEbEEZZNS1_14partition_implILS8_4ELb0ES6_15HIP_vector_typeIjLj2EENS0_17counting_iteratorIjlEEPS9_SG_NS0_5tupleIJPjSI_NS0_16reverse_iteratorISI_EEEEENSH_IJSG_SG_SG_EEES9_SI_JZNS1_25segmented_radix_sort_implINS0_14default_configELb0EPKsPsPKlPlN2at6native12_GLOBAL__N_18offset_tEEE10hipError_tPvRmT1_PNSt15iterator_traitsIS12_E10value_typeET2_T3_PNS13_IS18_E10value_typeET4_jRbjT5_S1E_jjP12ihipStream_tbEUljE_ZNSN_ISO_Lb0ESQ_SR_ST_SU_SY_EESZ_S10_S11_S12_S16_S17_S18_S1B_S1C_jS1D_jS1E_S1E_jjS1G_bEUljE0_EEESZ_S10_S11_S18_S1C_S1E_T6_T7_T9_mT8_S1G_bDpT10_ENKUlT_T0_E_clISt17integral_constantIbLb1EES1U_EEDaS1P_S1Q_EUlS1P_E_NS1_11comp_targetILNS1_3genE2ELNS1_11target_archE906ELNS1_3gpuE6ELNS1_3repE0EEENS1_30default_config_static_selectorELNS0_4arch9wavefront6targetE0EEEvS12_
	.p2align	8
	.type	_ZN7rocprim17ROCPRIM_400000_NS6detail17trampoline_kernelINS0_13select_configILj256ELj13ELNS0_17block_load_methodE3ELS4_3ELS4_3ELNS0_20block_scan_algorithmE0ELj4294967295EEENS1_25partition_config_selectorILNS1_17partition_subalgoE4EjNS0_10empty_typeEbEEZZNS1_14partition_implILS8_4ELb0ES6_15HIP_vector_typeIjLj2EENS0_17counting_iteratorIjlEEPS9_SG_NS0_5tupleIJPjSI_NS0_16reverse_iteratorISI_EEEEENSH_IJSG_SG_SG_EEES9_SI_JZNS1_25segmented_radix_sort_implINS0_14default_configELb0EPKsPsPKlPlN2at6native12_GLOBAL__N_18offset_tEEE10hipError_tPvRmT1_PNSt15iterator_traitsIS12_E10value_typeET2_T3_PNS13_IS18_E10value_typeET4_jRbjT5_S1E_jjP12ihipStream_tbEUljE_ZNSN_ISO_Lb0ESQ_SR_ST_SU_SY_EESZ_S10_S11_S12_S16_S17_S18_S1B_S1C_jS1D_jS1E_S1E_jjS1G_bEUljE0_EEESZ_S10_S11_S18_S1C_S1E_T6_T7_T9_mT8_S1G_bDpT10_ENKUlT_T0_E_clISt17integral_constantIbLb1EES1U_EEDaS1P_S1Q_EUlS1P_E_NS1_11comp_targetILNS1_3genE2ELNS1_11target_archE906ELNS1_3gpuE6ELNS1_3repE0EEENS1_30default_config_static_selectorELNS0_4arch9wavefront6targetE0EEEvS12_,@function
_ZN7rocprim17ROCPRIM_400000_NS6detail17trampoline_kernelINS0_13select_configILj256ELj13ELNS0_17block_load_methodE3ELS4_3ELS4_3ELNS0_20block_scan_algorithmE0ELj4294967295EEENS1_25partition_config_selectorILNS1_17partition_subalgoE4EjNS0_10empty_typeEbEEZZNS1_14partition_implILS8_4ELb0ES6_15HIP_vector_typeIjLj2EENS0_17counting_iteratorIjlEEPS9_SG_NS0_5tupleIJPjSI_NS0_16reverse_iteratorISI_EEEEENSH_IJSG_SG_SG_EEES9_SI_JZNS1_25segmented_radix_sort_implINS0_14default_configELb0EPKsPsPKlPlN2at6native12_GLOBAL__N_18offset_tEEE10hipError_tPvRmT1_PNSt15iterator_traitsIS12_E10value_typeET2_T3_PNS13_IS18_E10value_typeET4_jRbjT5_S1E_jjP12ihipStream_tbEUljE_ZNSN_ISO_Lb0ESQ_SR_ST_SU_SY_EESZ_S10_S11_S12_S16_S17_S18_S1B_S1C_jS1D_jS1E_S1E_jjS1G_bEUljE0_EEESZ_S10_S11_S18_S1C_S1E_T6_T7_T9_mT8_S1G_bDpT10_ENKUlT_T0_E_clISt17integral_constantIbLb1EES1U_EEDaS1P_S1Q_EUlS1P_E_NS1_11comp_targetILNS1_3genE2ELNS1_11target_archE906ELNS1_3gpuE6ELNS1_3repE0EEENS1_30default_config_static_selectorELNS0_4arch9wavefront6targetE0EEEvS12_: ; @_ZN7rocprim17ROCPRIM_400000_NS6detail17trampoline_kernelINS0_13select_configILj256ELj13ELNS0_17block_load_methodE3ELS4_3ELS4_3ELNS0_20block_scan_algorithmE0ELj4294967295EEENS1_25partition_config_selectorILNS1_17partition_subalgoE4EjNS0_10empty_typeEbEEZZNS1_14partition_implILS8_4ELb0ES6_15HIP_vector_typeIjLj2EENS0_17counting_iteratorIjlEEPS9_SG_NS0_5tupleIJPjSI_NS0_16reverse_iteratorISI_EEEEENSH_IJSG_SG_SG_EEES9_SI_JZNS1_25segmented_radix_sort_implINS0_14default_configELb0EPKsPsPKlPlN2at6native12_GLOBAL__N_18offset_tEEE10hipError_tPvRmT1_PNSt15iterator_traitsIS12_E10value_typeET2_T3_PNS13_IS18_E10value_typeET4_jRbjT5_S1E_jjP12ihipStream_tbEUljE_ZNSN_ISO_Lb0ESQ_SR_ST_SU_SY_EESZ_S10_S11_S12_S16_S17_S18_S1B_S1C_jS1D_jS1E_S1E_jjS1G_bEUljE0_EEESZ_S10_S11_S18_S1C_S1E_T6_T7_T9_mT8_S1G_bDpT10_ENKUlT_T0_E_clISt17integral_constantIbLb1EES1U_EEDaS1P_S1Q_EUlS1P_E_NS1_11comp_targetILNS1_3genE2ELNS1_11target_archE906ELNS1_3gpuE6ELNS1_3repE0EEENS1_30default_config_static_selectorELNS0_4arch9wavefront6targetE0EEEvS12_
; %bb.0:
	.section	.rodata,"a",@progbits
	.p2align	6, 0x0
	.amdhsa_kernel _ZN7rocprim17ROCPRIM_400000_NS6detail17trampoline_kernelINS0_13select_configILj256ELj13ELNS0_17block_load_methodE3ELS4_3ELS4_3ELNS0_20block_scan_algorithmE0ELj4294967295EEENS1_25partition_config_selectorILNS1_17partition_subalgoE4EjNS0_10empty_typeEbEEZZNS1_14partition_implILS8_4ELb0ES6_15HIP_vector_typeIjLj2EENS0_17counting_iteratorIjlEEPS9_SG_NS0_5tupleIJPjSI_NS0_16reverse_iteratorISI_EEEEENSH_IJSG_SG_SG_EEES9_SI_JZNS1_25segmented_radix_sort_implINS0_14default_configELb0EPKsPsPKlPlN2at6native12_GLOBAL__N_18offset_tEEE10hipError_tPvRmT1_PNSt15iterator_traitsIS12_E10value_typeET2_T3_PNS13_IS18_E10value_typeET4_jRbjT5_S1E_jjP12ihipStream_tbEUljE_ZNSN_ISO_Lb0ESQ_SR_ST_SU_SY_EESZ_S10_S11_S12_S16_S17_S18_S1B_S1C_jS1D_jS1E_S1E_jjS1G_bEUljE0_EEESZ_S10_S11_S18_S1C_S1E_T6_T7_T9_mT8_S1G_bDpT10_ENKUlT_T0_E_clISt17integral_constantIbLb1EES1U_EEDaS1P_S1Q_EUlS1P_E_NS1_11comp_targetILNS1_3genE2ELNS1_11target_archE906ELNS1_3gpuE6ELNS1_3repE0EEENS1_30default_config_static_selectorELNS0_4arch9wavefront6targetE0EEEvS12_
		.amdhsa_group_segment_fixed_size 0
		.amdhsa_private_segment_fixed_size 0
		.amdhsa_kernarg_size 184
		.amdhsa_user_sgpr_count 2
		.amdhsa_user_sgpr_dispatch_ptr 0
		.amdhsa_user_sgpr_queue_ptr 0
		.amdhsa_user_sgpr_kernarg_segment_ptr 1
		.amdhsa_user_sgpr_dispatch_id 0
		.amdhsa_user_sgpr_kernarg_preload_length 0
		.amdhsa_user_sgpr_kernarg_preload_offset 0
		.amdhsa_user_sgpr_private_segment_size 0
		.amdhsa_wavefront_size32 1
		.amdhsa_uses_dynamic_stack 0
		.amdhsa_enable_private_segment 0
		.amdhsa_system_sgpr_workgroup_id_x 1
		.amdhsa_system_sgpr_workgroup_id_y 0
		.amdhsa_system_sgpr_workgroup_id_z 0
		.amdhsa_system_sgpr_workgroup_info 0
		.amdhsa_system_vgpr_workitem_id 0
		.amdhsa_next_free_vgpr 1
		.amdhsa_next_free_sgpr 1
		.amdhsa_named_barrier_count 0
		.amdhsa_reserve_vcc 0
		.amdhsa_float_round_mode_32 0
		.amdhsa_float_round_mode_16_64 0
		.amdhsa_float_denorm_mode_32 3
		.amdhsa_float_denorm_mode_16_64 3
		.amdhsa_fp16_overflow 0
		.amdhsa_memory_ordered 1
		.amdhsa_forward_progress 1
		.amdhsa_inst_pref_size 0
		.amdhsa_round_robin_scheduling 0
		.amdhsa_exception_fp_ieee_invalid_op 0
		.amdhsa_exception_fp_denorm_src 0
		.amdhsa_exception_fp_ieee_div_zero 0
		.amdhsa_exception_fp_ieee_overflow 0
		.amdhsa_exception_fp_ieee_underflow 0
		.amdhsa_exception_fp_ieee_inexact 0
		.amdhsa_exception_int_div_zero 0
	.end_amdhsa_kernel
	.section	.text._ZN7rocprim17ROCPRIM_400000_NS6detail17trampoline_kernelINS0_13select_configILj256ELj13ELNS0_17block_load_methodE3ELS4_3ELS4_3ELNS0_20block_scan_algorithmE0ELj4294967295EEENS1_25partition_config_selectorILNS1_17partition_subalgoE4EjNS0_10empty_typeEbEEZZNS1_14partition_implILS8_4ELb0ES6_15HIP_vector_typeIjLj2EENS0_17counting_iteratorIjlEEPS9_SG_NS0_5tupleIJPjSI_NS0_16reverse_iteratorISI_EEEEENSH_IJSG_SG_SG_EEES9_SI_JZNS1_25segmented_radix_sort_implINS0_14default_configELb0EPKsPsPKlPlN2at6native12_GLOBAL__N_18offset_tEEE10hipError_tPvRmT1_PNSt15iterator_traitsIS12_E10value_typeET2_T3_PNS13_IS18_E10value_typeET4_jRbjT5_S1E_jjP12ihipStream_tbEUljE_ZNSN_ISO_Lb0ESQ_SR_ST_SU_SY_EESZ_S10_S11_S12_S16_S17_S18_S1B_S1C_jS1D_jS1E_S1E_jjS1G_bEUljE0_EEESZ_S10_S11_S18_S1C_S1E_T6_T7_T9_mT8_S1G_bDpT10_ENKUlT_T0_E_clISt17integral_constantIbLb1EES1U_EEDaS1P_S1Q_EUlS1P_E_NS1_11comp_targetILNS1_3genE2ELNS1_11target_archE906ELNS1_3gpuE6ELNS1_3repE0EEENS1_30default_config_static_selectorELNS0_4arch9wavefront6targetE0EEEvS12_,"axG",@progbits,_ZN7rocprim17ROCPRIM_400000_NS6detail17trampoline_kernelINS0_13select_configILj256ELj13ELNS0_17block_load_methodE3ELS4_3ELS4_3ELNS0_20block_scan_algorithmE0ELj4294967295EEENS1_25partition_config_selectorILNS1_17partition_subalgoE4EjNS0_10empty_typeEbEEZZNS1_14partition_implILS8_4ELb0ES6_15HIP_vector_typeIjLj2EENS0_17counting_iteratorIjlEEPS9_SG_NS0_5tupleIJPjSI_NS0_16reverse_iteratorISI_EEEEENSH_IJSG_SG_SG_EEES9_SI_JZNS1_25segmented_radix_sort_implINS0_14default_configELb0EPKsPsPKlPlN2at6native12_GLOBAL__N_18offset_tEEE10hipError_tPvRmT1_PNSt15iterator_traitsIS12_E10value_typeET2_T3_PNS13_IS18_E10value_typeET4_jRbjT5_S1E_jjP12ihipStream_tbEUljE_ZNSN_ISO_Lb0ESQ_SR_ST_SU_SY_EESZ_S10_S11_S12_S16_S17_S18_S1B_S1C_jS1D_jS1E_S1E_jjS1G_bEUljE0_EEESZ_S10_S11_S18_S1C_S1E_T6_T7_T9_mT8_S1G_bDpT10_ENKUlT_T0_E_clISt17integral_constantIbLb1EES1U_EEDaS1P_S1Q_EUlS1P_E_NS1_11comp_targetILNS1_3genE2ELNS1_11target_archE906ELNS1_3gpuE6ELNS1_3repE0EEENS1_30default_config_static_selectorELNS0_4arch9wavefront6targetE0EEEvS12_,comdat
.Lfunc_end957:
	.size	_ZN7rocprim17ROCPRIM_400000_NS6detail17trampoline_kernelINS0_13select_configILj256ELj13ELNS0_17block_load_methodE3ELS4_3ELS4_3ELNS0_20block_scan_algorithmE0ELj4294967295EEENS1_25partition_config_selectorILNS1_17partition_subalgoE4EjNS0_10empty_typeEbEEZZNS1_14partition_implILS8_4ELb0ES6_15HIP_vector_typeIjLj2EENS0_17counting_iteratorIjlEEPS9_SG_NS0_5tupleIJPjSI_NS0_16reverse_iteratorISI_EEEEENSH_IJSG_SG_SG_EEES9_SI_JZNS1_25segmented_radix_sort_implINS0_14default_configELb0EPKsPsPKlPlN2at6native12_GLOBAL__N_18offset_tEEE10hipError_tPvRmT1_PNSt15iterator_traitsIS12_E10value_typeET2_T3_PNS13_IS18_E10value_typeET4_jRbjT5_S1E_jjP12ihipStream_tbEUljE_ZNSN_ISO_Lb0ESQ_SR_ST_SU_SY_EESZ_S10_S11_S12_S16_S17_S18_S1B_S1C_jS1D_jS1E_S1E_jjS1G_bEUljE0_EEESZ_S10_S11_S18_S1C_S1E_T6_T7_T9_mT8_S1G_bDpT10_ENKUlT_T0_E_clISt17integral_constantIbLb1EES1U_EEDaS1P_S1Q_EUlS1P_E_NS1_11comp_targetILNS1_3genE2ELNS1_11target_archE906ELNS1_3gpuE6ELNS1_3repE0EEENS1_30default_config_static_selectorELNS0_4arch9wavefront6targetE0EEEvS12_, .Lfunc_end957-_ZN7rocprim17ROCPRIM_400000_NS6detail17trampoline_kernelINS0_13select_configILj256ELj13ELNS0_17block_load_methodE3ELS4_3ELS4_3ELNS0_20block_scan_algorithmE0ELj4294967295EEENS1_25partition_config_selectorILNS1_17partition_subalgoE4EjNS0_10empty_typeEbEEZZNS1_14partition_implILS8_4ELb0ES6_15HIP_vector_typeIjLj2EENS0_17counting_iteratorIjlEEPS9_SG_NS0_5tupleIJPjSI_NS0_16reverse_iteratorISI_EEEEENSH_IJSG_SG_SG_EEES9_SI_JZNS1_25segmented_radix_sort_implINS0_14default_configELb0EPKsPsPKlPlN2at6native12_GLOBAL__N_18offset_tEEE10hipError_tPvRmT1_PNSt15iterator_traitsIS12_E10value_typeET2_T3_PNS13_IS18_E10value_typeET4_jRbjT5_S1E_jjP12ihipStream_tbEUljE_ZNSN_ISO_Lb0ESQ_SR_ST_SU_SY_EESZ_S10_S11_S12_S16_S17_S18_S1B_S1C_jS1D_jS1E_S1E_jjS1G_bEUljE0_EEESZ_S10_S11_S18_S1C_S1E_T6_T7_T9_mT8_S1G_bDpT10_ENKUlT_T0_E_clISt17integral_constantIbLb1EES1U_EEDaS1P_S1Q_EUlS1P_E_NS1_11comp_targetILNS1_3genE2ELNS1_11target_archE906ELNS1_3gpuE6ELNS1_3repE0EEENS1_30default_config_static_selectorELNS0_4arch9wavefront6targetE0EEEvS12_
                                        ; -- End function
	.set _ZN7rocprim17ROCPRIM_400000_NS6detail17trampoline_kernelINS0_13select_configILj256ELj13ELNS0_17block_load_methodE3ELS4_3ELS4_3ELNS0_20block_scan_algorithmE0ELj4294967295EEENS1_25partition_config_selectorILNS1_17partition_subalgoE4EjNS0_10empty_typeEbEEZZNS1_14partition_implILS8_4ELb0ES6_15HIP_vector_typeIjLj2EENS0_17counting_iteratorIjlEEPS9_SG_NS0_5tupleIJPjSI_NS0_16reverse_iteratorISI_EEEEENSH_IJSG_SG_SG_EEES9_SI_JZNS1_25segmented_radix_sort_implINS0_14default_configELb0EPKsPsPKlPlN2at6native12_GLOBAL__N_18offset_tEEE10hipError_tPvRmT1_PNSt15iterator_traitsIS12_E10value_typeET2_T3_PNS13_IS18_E10value_typeET4_jRbjT5_S1E_jjP12ihipStream_tbEUljE_ZNSN_ISO_Lb0ESQ_SR_ST_SU_SY_EESZ_S10_S11_S12_S16_S17_S18_S1B_S1C_jS1D_jS1E_S1E_jjS1G_bEUljE0_EEESZ_S10_S11_S18_S1C_S1E_T6_T7_T9_mT8_S1G_bDpT10_ENKUlT_T0_E_clISt17integral_constantIbLb1EES1U_EEDaS1P_S1Q_EUlS1P_E_NS1_11comp_targetILNS1_3genE2ELNS1_11target_archE906ELNS1_3gpuE6ELNS1_3repE0EEENS1_30default_config_static_selectorELNS0_4arch9wavefront6targetE0EEEvS12_.num_vgpr, 0
	.set _ZN7rocprim17ROCPRIM_400000_NS6detail17trampoline_kernelINS0_13select_configILj256ELj13ELNS0_17block_load_methodE3ELS4_3ELS4_3ELNS0_20block_scan_algorithmE0ELj4294967295EEENS1_25partition_config_selectorILNS1_17partition_subalgoE4EjNS0_10empty_typeEbEEZZNS1_14partition_implILS8_4ELb0ES6_15HIP_vector_typeIjLj2EENS0_17counting_iteratorIjlEEPS9_SG_NS0_5tupleIJPjSI_NS0_16reverse_iteratorISI_EEEEENSH_IJSG_SG_SG_EEES9_SI_JZNS1_25segmented_radix_sort_implINS0_14default_configELb0EPKsPsPKlPlN2at6native12_GLOBAL__N_18offset_tEEE10hipError_tPvRmT1_PNSt15iterator_traitsIS12_E10value_typeET2_T3_PNS13_IS18_E10value_typeET4_jRbjT5_S1E_jjP12ihipStream_tbEUljE_ZNSN_ISO_Lb0ESQ_SR_ST_SU_SY_EESZ_S10_S11_S12_S16_S17_S18_S1B_S1C_jS1D_jS1E_S1E_jjS1G_bEUljE0_EEESZ_S10_S11_S18_S1C_S1E_T6_T7_T9_mT8_S1G_bDpT10_ENKUlT_T0_E_clISt17integral_constantIbLb1EES1U_EEDaS1P_S1Q_EUlS1P_E_NS1_11comp_targetILNS1_3genE2ELNS1_11target_archE906ELNS1_3gpuE6ELNS1_3repE0EEENS1_30default_config_static_selectorELNS0_4arch9wavefront6targetE0EEEvS12_.num_agpr, 0
	.set _ZN7rocprim17ROCPRIM_400000_NS6detail17trampoline_kernelINS0_13select_configILj256ELj13ELNS0_17block_load_methodE3ELS4_3ELS4_3ELNS0_20block_scan_algorithmE0ELj4294967295EEENS1_25partition_config_selectorILNS1_17partition_subalgoE4EjNS0_10empty_typeEbEEZZNS1_14partition_implILS8_4ELb0ES6_15HIP_vector_typeIjLj2EENS0_17counting_iteratorIjlEEPS9_SG_NS0_5tupleIJPjSI_NS0_16reverse_iteratorISI_EEEEENSH_IJSG_SG_SG_EEES9_SI_JZNS1_25segmented_radix_sort_implINS0_14default_configELb0EPKsPsPKlPlN2at6native12_GLOBAL__N_18offset_tEEE10hipError_tPvRmT1_PNSt15iterator_traitsIS12_E10value_typeET2_T3_PNS13_IS18_E10value_typeET4_jRbjT5_S1E_jjP12ihipStream_tbEUljE_ZNSN_ISO_Lb0ESQ_SR_ST_SU_SY_EESZ_S10_S11_S12_S16_S17_S18_S1B_S1C_jS1D_jS1E_S1E_jjS1G_bEUljE0_EEESZ_S10_S11_S18_S1C_S1E_T6_T7_T9_mT8_S1G_bDpT10_ENKUlT_T0_E_clISt17integral_constantIbLb1EES1U_EEDaS1P_S1Q_EUlS1P_E_NS1_11comp_targetILNS1_3genE2ELNS1_11target_archE906ELNS1_3gpuE6ELNS1_3repE0EEENS1_30default_config_static_selectorELNS0_4arch9wavefront6targetE0EEEvS12_.numbered_sgpr, 0
	.set _ZN7rocprim17ROCPRIM_400000_NS6detail17trampoline_kernelINS0_13select_configILj256ELj13ELNS0_17block_load_methodE3ELS4_3ELS4_3ELNS0_20block_scan_algorithmE0ELj4294967295EEENS1_25partition_config_selectorILNS1_17partition_subalgoE4EjNS0_10empty_typeEbEEZZNS1_14partition_implILS8_4ELb0ES6_15HIP_vector_typeIjLj2EENS0_17counting_iteratorIjlEEPS9_SG_NS0_5tupleIJPjSI_NS0_16reverse_iteratorISI_EEEEENSH_IJSG_SG_SG_EEES9_SI_JZNS1_25segmented_radix_sort_implINS0_14default_configELb0EPKsPsPKlPlN2at6native12_GLOBAL__N_18offset_tEEE10hipError_tPvRmT1_PNSt15iterator_traitsIS12_E10value_typeET2_T3_PNS13_IS18_E10value_typeET4_jRbjT5_S1E_jjP12ihipStream_tbEUljE_ZNSN_ISO_Lb0ESQ_SR_ST_SU_SY_EESZ_S10_S11_S12_S16_S17_S18_S1B_S1C_jS1D_jS1E_S1E_jjS1G_bEUljE0_EEESZ_S10_S11_S18_S1C_S1E_T6_T7_T9_mT8_S1G_bDpT10_ENKUlT_T0_E_clISt17integral_constantIbLb1EES1U_EEDaS1P_S1Q_EUlS1P_E_NS1_11comp_targetILNS1_3genE2ELNS1_11target_archE906ELNS1_3gpuE6ELNS1_3repE0EEENS1_30default_config_static_selectorELNS0_4arch9wavefront6targetE0EEEvS12_.num_named_barrier, 0
	.set _ZN7rocprim17ROCPRIM_400000_NS6detail17trampoline_kernelINS0_13select_configILj256ELj13ELNS0_17block_load_methodE3ELS4_3ELS4_3ELNS0_20block_scan_algorithmE0ELj4294967295EEENS1_25partition_config_selectorILNS1_17partition_subalgoE4EjNS0_10empty_typeEbEEZZNS1_14partition_implILS8_4ELb0ES6_15HIP_vector_typeIjLj2EENS0_17counting_iteratorIjlEEPS9_SG_NS0_5tupleIJPjSI_NS0_16reverse_iteratorISI_EEEEENSH_IJSG_SG_SG_EEES9_SI_JZNS1_25segmented_radix_sort_implINS0_14default_configELb0EPKsPsPKlPlN2at6native12_GLOBAL__N_18offset_tEEE10hipError_tPvRmT1_PNSt15iterator_traitsIS12_E10value_typeET2_T3_PNS13_IS18_E10value_typeET4_jRbjT5_S1E_jjP12ihipStream_tbEUljE_ZNSN_ISO_Lb0ESQ_SR_ST_SU_SY_EESZ_S10_S11_S12_S16_S17_S18_S1B_S1C_jS1D_jS1E_S1E_jjS1G_bEUljE0_EEESZ_S10_S11_S18_S1C_S1E_T6_T7_T9_mT8_S1G_bDpT10_ENKUlT_T0_E_clISt17integral_constantIbLb1EES1U_EEDaS1P_S1Q_EUlS1P_E_NS1_11comp_targetILNS1_3genE2ELNS1_11target_archE906ELNS1_3gpuE6ELNS1_3repE0EEENS1_30default_config_static_selectorELNS0_4arch9wavefront6targetE0EEEvS12_.private_seg_size, 0
	.set _ZN7rocprim17ROCPRIM_400000_NS6detail17trampoline_kernelINS0_13select_configILj256ELj13ELNS0_17block_load_methodE3ELS4_3ELS4_3ELNS0_20block_scan_algorithmE0ELj4294967295EEENS1_25partition_config_selectorILNS1_17partition_subalgoE4EjNS0_10empty_typeEbEEZZNS1_14partition_implILS8_4ELb0ES6_15HIP_vector_typeIjLj2EENS0_17counting_iteratorIjlEEPS9_SG_NS0_5tupleIJPjSI_NS0_16reverse_iteratorISI_EEEEENSH_IJSG_SG_SG_EEES9_SI_JZNS1_25segmented_radix_sort_implINS0_14default_configELb0EPKsPsPKlPlN2at6native12_GLOBAL__N_18offset_tEEE10hipError_tPvRmT1_PNSt15iterator_traitsIS12_E10value_typeET2_T3_PNS13_IS18_E10value_typeET4_jRbjT5_S1E_jjP12ihipStream_tbEUljE_ZNSN_ISO_Lb0ESQ_SR_ST_SU_SY_EESZ_S10_S11_S12_S16_S17_S18_S1B_S1C_jS1D_jS1E_S1E_jjS1G_bEUljE0_EEESZ_S10_S11_S18_S1C_S1E_T6_T7_T9_mT8_S1G_bDpT10_ENKUlT_T0_E_clISt17integral_constantIbLb1EES1U_EEDaS1P_S1Q_EUlS1P_E_NS1_11comp_targetILNS1_3genE2ELNS1_11target_archE906ELNS1_3gpuE6ELNS1_3repE0EEENS1_30default_config_static_selectorELNS0_4arch9wavefront6targetE0EEEvS12_.uses_vcc, 0
	.set _ZN7rocprim17ROCPRIM_400000_NS6detail17trampoline_kernelINS0_13select_configILj256ELj13ELNS0_17block_load_methodE3ELS4_3ELS4_3ELNS0_20block_scan_algorithmE0ELj4294967295EEENS1_25partition_config_selectorILNS1_17partition_subalgoE4EjNS0_10empty_typeEbEEZZNS1_14partition_implILS8_4ELb0ES6_15HIP_vector_typeIjLj2EENS0_17counting_iteratorIjlEEPS9_SG_NS0_5tupleIJPjSI_NS0_16reverse_iteratorISI_EEEEENSH_IJSG_SG_SG_EEES9_SI_JZNS1_25segmented_radix_sort_implINS0_14default_configELb0EPKsPsPKlPlN2at6native12_GLOBAL__N_18offset_tEEE10hipError_tPvRmT1_PNSt15iterator_traitsIS12_E10value_typeET2_T3_PNS13_IS18_E10value_typeET4_jRbjT5_S1E_jjP12ihipStream_tbEUljE_ZNSN_ISO_Lb0ESQ_SR_ST_SU_SY_EESZ_S10_S11_S12_S16_S17_S18_S1B_S1C_jS1D_jS1E_S1E_jjS1G_bEUljE0_EEESZ_S10_S11_S18_S1C_S1E_T6_T7_T9_mT8_S1G_bDpT10_ENKUlT_T0_E_clISt17integral_constantIbLb1EES1U_EEDaS1P_S1Q_EUlS1P_E_NS1_11comp_targetILNS1_3genE2ELNS1_11target_archE906ELNS1_3gpuE6ELNS1_3repE0EEENS1_30default_config_static_selectorELNS0_4arch9wavefront6targetE0EEEvS12_.uses_flat_scratch, 0
	.set _ZN7rocprim17ROCPRIM_400000_NS6detail17trampoline_kernelINS0_13select_configILj256ELj13ELNS0_17block_load_methodE3ELS4_3ELS4_3ELNS0_20block_scan_algorithmE0ELj4294967295EEENS1_25partition_config_selectorILNS1_17partition_subalgoE4EjNS0_10empty_typeEbEEZZNS1_14partition_implILS8_4ELb0ES6_15HIP_vector_typeIjLj2EENS0_17counting_iteratorIjlEEPS9_SG_NS0_5tupleIJPjSI_NS0_16reverse_iteratorISI_EEEEENSH_IJSG_SG_SG_EEES9_SI_JZNS1_25segmented_radix_sort_implINS0_14default_configELb0EPKsPsPKlPlN2at6native12_GLOBAL__N_18offset_tEEE10hipError_tPvRmT1_PNSt15iterator_traitsIS12_E10value_typeET2_T3_PNS13_IS18_E10value_typeET4_jRbjT5_S1E_jjP12ihipStream_tbEUljE_ZNSN_ISO_Lb0ESQ_SR_ST_SU_SY_EESZ_S10_S11_S12_S16_S17_S18_S1B_S1C_jS1D_jS1E_S1E_jjS1G_bEUljE0_EEESZ_S10_S11_S18_S1C_S1E_T6_T7_T9_mT8_S1G_bDpT10_ENKUlT_T0_E_clISt17integral_constantIbLb1EES1U_EEDaS1P_S1Q_EUlS1P_E_NS1_11comp_targetILNS1_3genE2ELNS1_11target_archE906ELNS1_3gpuE6ELNS1_3repE0EEENS1_30default_config_static_selectorELNS0_4arch9wavefront6targetE0EEEvS12_.has_dyn_sized_stack, 0
	.set _ZN7rocprim17ROCPRIM_400000_NS6detail17trampoline_kernelINS0_13select_configILj256ELj13ELNS0_17block_load_methodE3ELS4_3ELS4_3ELNS0_20block_scan_algorithmE0ELj4294967295EEENS1_25partition_config_selectorILNS1_17partition_subalgoE4EjNS0_10empty_typeEbEEZZNS1_14partition_implILS8_4ELb0ES6_15HIP_vector_typeIjLj2EENS0_17counting_iteratorIjlEEPS9_SG_NS0_5tupleIJPjSI_NS0_16reverse_iteratorISI_EEEEENSH_IJSG_SG_SG_EEES9_SI_JZNS1_25segmented_radix_sort_implINS0_14default_configELb0EPKsPsPKlPlN2at6native12_GLOBAL__N_18offset_tEEE10hipError_tPvRmT1_PNSt15iterator_traitsIS12_E10value_typeET2_T3_PNS13_IS18_E10value_typeET4_jRbjT5_S1E_jjP12ihipStream_tbEUljE_ZNSN_ISO_Lb0ESQ_SR_ST_SU_SY_EESZ_S10_S11_S12_S16_S17_S18_S1B_S1C_jS1D_jS1E_S1E_jjS1G_bEUljE0_EEESZ_S10_S11_S18_S1C_S1E_T6_T7_T9_mT8_S1G_bDpT10_ENKUlT_T0_E_clISt17integral_constantIbLb1EES1U_EEDaS1P_S1Q_EUlS1P_E_NS1_11comp_targetILNS1_3genE2ELNS1_11target_archE906ELNS1_3gpuE6ELNS1_3repE0EEENS1_30default_config_static_selectorELNS0_4arch9wavefront6targetE0EEEvS12_.has_recursion, 0
	.set _ZN7rocprim17ROCPRIM_400000_NS6detail17trampoline_kernelINS0_13select_configILj256ELj13ELNS0_17block_load_methodE3ELS4_3ELS4_3ELNS0_20block_scan_algorithmE0ELj4294967295EEENS1_25partition_config_selectorILNS1_17partition_subalgoE4EjNS0_10empty_typeEbEEZZNS1_14partition_implILS8_4ELb0ES6_15HIP_vector_typeIjLj2EENS0_17counting_iteratorIjlEEPS9_SG_NS0_5tupleIJPjSI_NS0_16reverse_iteratorISI_EEEEENSH_IJSG_SG_SG_EEES9_SI_JZNS1_25segmented_radix_sort_implINS0_14default_configELb0EPKsPsPKlPlN2at6native12_GLOBAL__N_18offset_tEEE10hipError_tPvRmT1_PNSt15iterator_traitsIS12_E10value_typeET2_T3_PNS13_IS18_E10value_typeET4_jRbjT5_S1E_jjP12ihipStream_tbEUljE_ZNSN_ISO_Lb0ESQ_SR_ST_SU_SY_EESZ_S10_S11_S12_S16_S17_S18_S1B_S1C_jS1D_jS1E_S1E_jjS1G_bEUljE0_EEESZ_S10_S11_S18_S1C_S1E_T6_T7_T9_mT8_S1G_bDpT10_ENKUlT_T0_E_clISt17integral_constantIbLb1EES1U_EEDaS1P_S1Q_EUlS1P_E_NS1_11comp_targetILNS1_3genE2ELNS1_11target_archE906ELNS1_3gpuE6ELNS1_3repE0EEENS1_30default_config_static_selectorELNS0_4arch9wavefront6targetE0EEEvS12_.has_indirect_call, 0
	.section	.AMDGPU.csdata,"",@progbits
; Kernel info:
; codeLenInByte = 0
; TotalNumSgprs: 0
; NumVgprs: 0
; ScratchSize: 0
; MemoryBound: 0
; FloatMode: 240
; IeeeMode: 1
; LDSByteSize: 0 bytes/workgroup (compile time only)
; SGPRBlocks: 0
; VGPRBlocks: 0
; NumSGPRsForWavesPerEU: 1
; NumVGPRsForWavesPerEU: 1
; NamedBarCnt: 0
; Occupancy: 16
; WaveLimiterHint : 0
; COMPUTE_PGM_RSRC2:SCRATCH_EN: 0
; COMPUTE_PGM_RSRC2:USER_SGPR: 2
; COMPUTE_PGM_RSRC2:TRAP_HANDLER: 0
; COMPUTE_PGM_RSRC2:TGID_X_EN: 1
; COMPUTE_PGM_RSRC2:TGID_Y_EN: 0
; COMPUTE_PGM_RSRC2:TGID_Z_EN: 0
; COMPUTE_PGM_RSRC2:TIDIG_COMP_CNT: 0
	.section	.text._ZN7rocprim17ROCPRIM_400000_NS6detail17trampoline_kernelINS0_13select_configILj256ELj13ELNS0_17block_load_methodE3ELS4_3ELS4_3ELNS0_20block_scan_algorithmE0ELj4294967295EEENS1_25partition_config_selectorILNS1_17partition_subalgoE4EjNS0_10empty_typeEbEEZZNS1_14partition_implILS8_4ELb0ES6_15HIP_vector_typeIjLj2EENS0_17counting_iteratorIjlEEPS9_SG_NS0_5tupleIJPjSI_NS0_16reverse_iteratorISI_EEEEENSH_IJSG_SG_SG_EEES9_SI_JZNS1_25segmented_radix_sort_implINS0_14default_configELb0EPKsPsPKlPlN2at6native12_GLOBAL__N_18offset_tEEE10hipError_tPvRmT1_PNSt15iterator_traitsIS12_E10value_typeET2_T3_PNS13_IS18_E10value_typeET4_jRbjT5_S1E_jjP12ihipStream_tbEUljE_ZNSN_ISO_Lb0ESQ_SR_ST_SU_SY_EESZ_S10_S11_S12_S16_S17_S18_S1B_S1C_jS1D_jS1E_S1E_jjS1G_bEUljE0_EEESZ_S10_S11_S18_S1C_S1E_T6_T7_T9_mT8_S1G_bDpT10_ENKUlT_T0_E_clISt17integral_constantIbLb1EES1U_EEDaS1P_S1Q_EUlS1P_E_NS1_11comp_targetILNS1_3genE10ELNS1_11target_archE1200ELNS1_3gpuE4ELNS1_3repE0EEENS1_30default_config_static_selectorELNS0_4arch9wavefront6targetE0EEEvS12_,"axG",@progbits,_ZN7rocprim17ROCPRIM_400000_NS6detail17trampoline_kernelINS0_13select_configILj256ELj13ELNS0_17block_load_methodE3ELS4_3ELS4_3ELNS0_20block_scan_algorithmE0ELj4294967295EEENS1_25partition_config_selectorILNS1_17partition_subalgoE4EjNS0_10empty_typeEbEEZZNS1_14partition_implILS8_4ELb0ES6_15HIP_vector_typeIjLj2EENS0_17counting_iteratorIjlEEPS9_SG_NS0_5tupleIJPjSI_NS0_16reverse_iteratorISI_EEEEENSH_IJSG_SG_SG_EEES9_SI_JZNS1_25segmented_radix_sort_implINS0_14default_configELb0EPKsPsPKlPlN2at6native12_GLOBAL__N_18offset_tEEE10hipError_tPvRmT1_PNSt15iterator_traitsIS12_E10value_typeET2_T3_PNS13_IS18_E10value_typeET4_jRbjT5_S1E_jjP12ihipStream_tbEUljE_ZNSN_ISO_Lb0ESQ_SR_ST_SU_SY_EESZ_S10_S11_S12_S16_S17_S18_S1B_S1C_jS1D_jS1E_S1E_jjS1G_bEUljE0_EEESZ_S10_S11_S18_S1C_S1E_T6_T7_T9_mT8_S1G_bDpT10_ENKUlT_T0_E_clISt17integral_constantIbLb1EES1U_EEDaS1P_S1Q_EUlS1P_E_NS1_11comp_targetILNS1_3genE10ELNS1_11target_archE1200ELNS1_3gpuE4ELNS1_3repE0EEENS1_30default_config_static_selectorELNS0_4arch9wavefront6targetE0EEEvS12_,comdat
	.globl	_ZN7rocprim17ROCPRIM_400000_NS6detail17trampoline_kernelINS0_13select_configILj256ELj13ELNS0_17block_load_methodE3ELS4_3ELS4_3ELNS0_20block_scan_algorithmE0ELj4294967295EEENS1_25partition_config_selectorILNS1_17partition_subalgoE4EjNS0_10empty_typeEbEEZZNS1_14partition_implILS8_4ELb0ES6_15HIP_vector_typeIjLj2EENS0_17counting_iteratorIjlEEPS9_SG_NS0_5tupleIJPjSI_NS0_16reverse_iteratorISI_EEEEENSH_IJSG_SG_SG_EEES9_SI_JZNS1_25segmented_radix_sort_implINS0_14default_configELb0EPKsPsPKlPlN2at6native12_GLOBAL__N_18offset_tEEE10hipError_tPvRmT1_PNSt15iterator_traitsIS12_E10value_typeET2_T3_PNS13_IS18_E10value_typeET4_jRbjT5_S1E_jjP12ihipStream_tbEUljE_ZNSN_ISO_Lb0ESQ_SR_ST_SU_SY_EESZ_S10_S11_S12_S16_S17_S18_S1B_S1C_jS1D_jS1E_S1E_jjS1G_bEUljE0_EEESZ_S10_S11_S18_S1C_S1E_T6_T7_T9_mT8_S1G_bDpT10_ENKUlT_T0_E_clISt17integral_constantIbLb1EES1U_EEDaS1P_S1Q_EUlS1P_E_NS1_11comp_targetILNS1_3genE10ELNS1_11target_archE1200ELNS1_3gpuE4ELNS1_3repE0EEENS1_30default_config_static_selectorELNS0_4arch9wavefront6targetE0EEEvS12_ ; -- Begin function _ZN7rocprim17ROCPRIM_400000_NS6detail17trampoline_kernelINS0_13select_configILj256ELj13ELNS0_17block_load_methodE3ELS4_3ELS4_3ELNS0_20block_scan_algorithmE0ELj4294967295EEENS1_25partition_config_selectorILNS1_17partition_subalgoE4EjNS0_10empty_typeEbEEZZNS1_14partition_implILS8_4ELb0ES6_15HIP_vector_typeIjLj2EENS0_17counting_iteratorIjlEEPS9_SG_NS0_5tupleIJPjSI_NS0_16reverse_iteratorISI_EEEEENSH_IJSG_SG_SG_EEES9_SI_JZNS1_25segmented_radix_sort_implINS0_14default_configELb0EPKsPsPKlPlN2at6native12_GLOBAL__N_18offset_tEEE10hipError_tPvRmT1_PNSt15iterator_traitsIS12_E10value_typeET2_T3_PNS13_IS18_E10value_typeET4_jRbjT5_S1E_jjP12ihipStream_tbEUljE_ZNSN_ISO_Lb0ESQ_SR_ST_SU_SY_EESZ_S10_S11_S12_S16_S17_S18_S1B_S1C_jS1D_jS1E_S1E_jjS1G_bEUljE0_EEESZ_S10_S11_S18_S1C_S1E_T6_T7_T9_mT8_S1G_bDpT10_ENKUlT_T0_E_clISt17integral_constantIbLb1EES1U_EEDaS1P_S1Q_EUlS1P_E_NS1_11comp_targetILNS1_3genE10ELNS1_11target_archE1200ELNS1_3gpuE4ELNS1_3repE0EEENS1_30default_config_static_selectorELNS0_4arch9wavefront6targetE0EEEvS12_
	.p2align	8
	.type	_ZN7rocprim17ROCPRIM_400000_NS6detail17trampoline_kernelINS0_13select_configILj256ELj13ELNS0_17block_load_methodE3ELS4_3ELS4_3ELNS0_20block_scan_algorithmE0ELj4294967295EEENS1_25partition_config_selectorILNS1_17partition_subalgoE4EjNS0_10empty_typeEbEEZZNS1_14partition_implILS8_4ELb0ES6_15HIP_vector_typeIjLj2EENS0_17counting_iteratorIjlEEPS9_SG_NS0_5tupleIJPjSI_NS0_16reverse_iteratorISI_EEEEENSH_IJSG_SG_SG_EEES9_SI_JZNS1_25segmented_radix_sort_implINS0_14default_configELb0EPKsPsPKlPlN2at6native12_GLOBAL__N_18offset_tEEE10hipError_tPvRmT1_PNSt15iterator_traitsIS12_E10value_typeET2_T3_PNS13_IS18_E10value_typeET4_jRbjT5_S1E_jjP12ihipStream_tbEUljE_ZNSN_ISO_Lb0ESQ_SR_ST_SU_SY_EESZ_S10_S11_S12_S16_S17_S18_S1B_S1C_jS1D_jS1E_S1E_jjS1G_bEUljE0_EEESZ_S10_S11_S18_S1C_S1E_T6_T7_T9_mT8_S1G_bDpT10_ENKUlT_T0_E_clISt17integral_constantIbLb1EES1U_EEDaS1P_S1Q_EUlS1P_E_NS1_11comp_targetILNS1_3genE10ELNS1_11target_archE1200ELNS1_3gpuE4ELNS1_3repE0EEENS1_30default_config_static_selectorELNS0_4arch9wavefront6targetE0EEEvS12_,@function
_ZN7rocprim17ROCPRIM_400000_NS6detail17trampoline_kernelINS0_13select_configILj256ELj13ELNS0_17block_load_methodE3ELS4_3ELS4_3ELNS0_20block_scan_algorithmE0ELj4294967295EEENS1_25partition_config_selectorILNS1_17partition_subalgoE4EjNS0_10empty_typeEbEEZZNS1_14partition_implILS8_4ELb0ES6_15HIP_vector_typeIjLj2EENS0_17counting_iteratorIjlEEPS9_SG_NS0_5tupleIJPjSI_NS0_16reverse_iteratorISI_EEEEENSH_IJSG_SG_SG_EEES9_SI_JZNS1_25segmented_radix_sort_implINS0_14default_configELb0EPKsPsPKlPlN2at6native12_GLOBAL__N_18offset_tEEE10hipError_tPvRmT1_PNSt15iterator_traitsIS12_E10value_typeET2_T3_PNS13_IS18_E10value_typeET4_jRbjT5_S1E_jjP12ihipStream_tbEUljE_ZNSN_ISO_Lb0ESQ_SR_ST_SU_SY_EESZ_S10_S11_S12_S16_S17_S18_S1B_S1C_jS1D_jS1E_S1E_jjS1G_bEUljE0_EEESZ_S10_S11_S18_S1C_S1E_T6_T7_T9_mT8_S1G_bDpT10_ENKUlT_T0_E_clISt17integral_constantIbLb1EES1U_EEDaS1P_S1Q_EUlS1P_E_NS1_11comp_targetILNS1_3genE10ELNS1_11target_archE1200ELNS1_3gpuE4ELNS1_3repE0EEENS1_30default_config_static_selectorELNS0_4arch9wavefront6targetE0EEEvS12_: ; @_ZN7rocprim17ROCPRIM_400000_NS6detail17trampoline_kernelINS0_13select_configILj256ELj13ELNS0_17block_load_methodE3ELS4_3ELS4_3ELNS0_20block_scan_algorithmE0ELj4294967295EEENS1_25partition_config_selectorILNS1_17partition_subalgoE4EjNS0_10empty_typeEbEEZZNS1_14partition_implILS8_4ELb0ES6_15HIP_vector_typeIjLj2EENS0_17counting_iteratorIjlEEPS9_SG_NS0_5tupleIJPjSI_NS0_16reverse_iteratorISI_EEEEENSH_IJSG_SG_SG_EEES9_SI_JZNS1_25segmented_radix_sort_implINS0_14default_configELb0EPKsPsPKlPlN2at6native12_GLOBAL__N_18offset_tEEE10hipError_tPvRmT1_PNSt15iterator_traitsIS12_E10value_typeET2_T3_PNS13_IS18_E10value_typeET4_jRbjT5_S1E_jjP12ihipStream_tbEUljE_ZNSN_ISO_Lb0ESQ_SR_ST_SU_SY_EESZ_S10_S11_S12_S16_S17_S18_S1B_S1C_jS1D_jS1E_S1E_jjS1G_bEUljE0_EEESZ_S10_S11_S18_S1C_S1E_T6_T7_T9_mT8_S1G_bDpT10_ENKUlT_T0_E_clISt17integral_constantIbLb1EES1U_EEDaS1P_S1Q_EUlS1P_E_NS1_11comp_targetILNS1_3genE10ELNS1_11target_archE1200ELNS1_3gpuE4ELNS1_3repE0EEENS1_30default_config_static_selectorELNS0_4arch9wavefront6targetE0EEEvS12_
; %bb.0:
	.section	.rodata,"a",@progbits
	.p2align	6, 0x0
	.amdhsa_kernel _ZN7rocprim17ROCPRIM_400000_NS6detail17trampoline_kernelINS0_13select_configILj256ELj13ELNS0_17block_load_methodE3ELS4_3ELS4_3ELNS0_20block_scan_algorithmE0ELj4294967295EEENS1_25partition_config_selectorILNS1_17partition_subalgoE4EjNS0_10empty_typeEbEEZZNS1_14partition_implILS8_4ELb0ES6_15HIP_vector_typeIjLj2EENS0_17counting_iteratorIjlEEPS9_SG_NS0_5tupleIJPjSI_NS0_16reverse_iteratorISI_EEEEENSH_IJSG_SG_SG_EEES9_SI_JZNS1_25segmented_radix_sort_implINS0_14default_configELb0EPKsPsPKlPlN2at6native12_GLOBAL__N_18offset_tEEE10hipError_tPvRmT1_PNSt15iterator_traitsIS12_E10value_typeET2_T3_PNS13_IS18_E10value_typeET4_jRbjT5_S1E_jjP12ihipStream_tbEUljE_ZNSN_ISO_Lb0ESQ_SR_ST_SU_SY_EESZ_S10_S11_S12_S16_S17_S18_S1B_S1C_jS1D_jS1E_S1E_jjS1G_bEUljE0_EEESZ_S10_S11_S18_S1C_S1E_T6_T7_T9_mT8_S1G_bDpT10_ENKUlT_T0_E_clISt17integral_constantIbLb1EES1U_EEDaS1P_S1Q_EUlS1P_E_NS1_11comp_targetILNS1_3genE10ELNS1_11target_archE1200ELNS1_3gpuE4ELNS1_3repE0EEENS1_30default_config_static_selectorELNS0_4arch9wavefront6targetE0EEEvS12_
		.amdhsa_group_segment_fixed_size 0
		.amdhsa_private_segment_fixed_size 0
		.amdhsa_kernarg_size 184
		.amdhsa_user_sgpr_count 2
		.amdhsa_user_sgpr_dispatch_ptr 0
		.amdhsa_user_sgpr_queue_ptr 0
		.amdhsa_user_sgpr_kernarg_segment_ptr 1
		.amdhsa_user_sgpr_dispatch_id 0
		.amdhsa_user_sgpr_kernarg_preload_length 0
		.amdhsa_user_sgpr_kernarg_preload_offset 0
		.amdhsa_user_sgpr_private_segment_size 0
		.amdhsa_wavefront_size32 1
		.amdhsa_uses_dynamic_stack 0
		.amdhsa_enable_private_segment 0
		.amdhsa_system_sgpr_workgroup_id_x 1
		.amdhsa_system_sgpr_workgroup_id_y 0
		.amdhsa_system_sgpr_workgroup_id_z 0
		.amdhsa_system_sgpr_workgroup_info 0
		.amdhsa_system_vgpr_workitem_id 0
		.amdhsa_next_free_vgpr 1
		.amdhsa_next_free_sgpr 1
		.amdhsa_named_barrier_count 0
		.amdhsa_reserve_vcc 0
		.amdhsa_float_round_mode_32 0
		.amdhsa_float_round_mode_16_64 0
		.amdhsa_float_denorm_mode_32 3
		.amdhsa_float_denorm_mode_16_64 3
		.amdhsa_fp16_overflow 0
		.amdhsa_memory_ordered 1
		.amdhsa_forward_progress 1
		.amdhsa_inst_pref_size 0
		.amdhsa_round_robin_scheduling 0
		.amdhsa_exception_fp_ieee_invalid_op 0
		.amdhsa_exception_fp_denorm_src 0
		.amdhsa_exception_fp_ieee_div_zero 0
		.amdhsa_exception_fp_ieee_overflow 0
		.amdhsa_exception_fp_ieee_underflow 0
		.amdhsa_exception_fp_ieee_inexact 0
		.amdhsa_exception_int_div_zero 0
	.end_amdhsa_kernel
	.section	.text._ZN7rocprim17ROCPRIM_400000_NS6detail17trampoline_kernelINS0_13select_configILj256ELj13ELNS0_17block_load_methodE3ELS4_3ELS4_3ELNS0_20block_scan_algorithmE0ELj4294967295EEENS1_25partition_config_selectorILNS1_17partition_subalgoE4EjNS0_10empty_typeEbEEZZNS1_14partition_implILS8_4ELb0ES6_15HIP_vector_typeIjLj2EENS0_17counting_iteratorIjlEEPS9_SG_NS0_5tupleIJPjSI_NS0_16reverse_iteratorISI_EEEEENSH_IJSG_SG_SG_EEES9_SI_JZNS1_25segmented_radix_sort_implINS0_14default_configELb0EPKsPsPKlPlN2at6native12_GLOBAL__N_18offset_tEEE10hipError_tPvRmT1_PNSt15iterator_traitsIS12_E10value_typeET2_T3_PNS13_IS18_E10value_typeET4_jRbjT5_S1E_jjP12ihipStream_tbEUljE_ZNSN_ISO_Lb0ESQ_SR_ST_SU_SY_EESZ_S10_S11_S12_S16_S17_S18_S1B_S1C_jS1D_jS1E_S1E_jjS1G_bEUljE0_EEESZ_S10_S11_S18_S1C_S1E_T6_T7_T9_mT8_S1G_bDpT10_ENKUlT_T0_E_clISt17integral_constantIbLb1EES1U_EEDaS1P_S1Q_EUlS1P_E_NS1_11comp_targetILNS1_3genE10ELNS1_11target_archE1200ELNS1_3gpuE4ELNS1_3repE0EEENS1_30default_config_static_selectorELNS0_4arch9wavefront6targetE0EEEvS12_,"axG",@progbits,_ZN7rocprim17ROCPRIM_400000_NS6detail17trampoline_kernelINS0_13select_configILj256ELj13ELNS0_17block_load_methodE3ELS4_3ELS4_3ELNS0_20block_scan_algorithmE0ELj4294967295EEENS1_25partition_config_selectorILNS1_17partition_subalgoE4EjNS0_10empty_typeEbEEZZNS1_14partition_implILS8_4ELb0ES6_15HIP_vector_typeIjLj2EENS0_17counting_iteratorIjlEEPS9_SG_NS0_5tupleIJPjSI_NS0_16reverse_iteratorISI_EEEEENSH_IJSG_SG_SG_EEES9_SI_JZNS1_25segmented_radix_sort_implINS0_14default_configELb0EPKsPsPKlPlN2at6native12_GLOBAL__N_18offset_tEEE10hipError_tPvRmT1_PNSt15iterator_traitsIS12_E10value_typeET2_T3_PNS13_IS18_E10value_typeET4_jRbjT5_S1E_jjP12ihipStream_tbEUljE_ZNSN_ISO_Lb0ESQ_SR_ST_SU_SY_EESZ_S10_S11_S12_S16_S17_S18_S1B_S1C_jS1D_jS1E_S1E_jjS1G_bEUljE0_EEESZ_S10_S11_S18_S1C_S1E_T6_T7_T9_mT8_S1G_bDpT10_ENKUlT_T0_E_clISt17integral_constantIbLb1EES1U_EEDaS1P_S1Q_EUlS1P_E_NS1_11comp_targetILNS1_3genE10ELNS1_11target_archE1200ELNS1_3gpuE4ELNS1_3repE0EEENS1_30default_config_static_selectorELNS0_4arch9wavefront6targetE0EEEvS12_,comdat
.Lfunc_end958:
	.size	_ZN7rocprim17ROCPRIM_400000_NS6detail17trampoline_kernelINS0_13select_configILj256ELj13ELNS0_17block_load_methodE3ELS4_3ELS4_3ELNS0_20block_scan_algorithmE0ELj4294967295EEENS1_25partition_config_selectorILNS1_17partition_subalgoE4EjNS0_10empty_typeEbEEZZNS1_14partition_implILS8_4ELb0ES6_15HIP_vector_typeIjLj2EENS0_17counting_iteratorIjlEEPS9_SG_NS0_5tupleIJPjSI_NS0_16reverse_iteratorISI_EEEEENSH_IJSG_SG_SG_EEES9_SI_JZNS1_25segmented_radix_sort_implINS0_14default_configELb0EPKsPsPKlPlN2at6native12_GLOBAL__N_18offset_tEEE10hipError_tPvRmT1_PNSt15iterator_traitsIS12_E10value_typeET2_T3_PNS13_IS18_E10value_typeET4_jRbjT5_S1E_jjP12ihipStream_tbEUljE_ZNSN_ISO_Lb0ESQ_SR_ST_SU_SY_EESZ_S10_S11_S12_S16_S17_S18_S1B_S1C_jS1D_jS1E_S1E_jjS1G_bEUljE0_EEESZ_S10_S11_S18_S1C_S1E_T6_T7_T9_mT8_S1G_bDpT10_ENKUlT_T0_E_clISt17integral_constantIbLb1EES1U_EEDaS1P_S1Q_EUlS1P_E_NS1_11comp_targetILNS1_3genE10ELNS1_11target_archE1200ELNS1_3gpuE4ELNS1_3repE0EEENS1_30default_config_static_selectorELNS0_4arch9wavefront6targetE0EEEvS12_, .Lfunc_end958-_ZN7rocprim17ROCPRIM_400000_NS6detail17trampoline_kernelINS0_13select_configILj256ELj13ELNS0_17block_load_methodE3ELS4_3ELS4_3ELNS0_20block_scan_algorithmE0ELj4294967295EEENS1_25partition_config_selectorILNS1_17partition_subalgoE4EjNS0_10empty_typeEbEEZZNS1_14partition_implILS8_4ELb0ES6_15HIP_vector_typeIjLj2EENS0_17counting_iteratorIjlEEPS9_SG_NS0_5tupleIJPjSI_NS0_16reverse_iteratorISI_EEEEENSH_IJSG_SG_SG_EEES9_SI_JZNS1_25segmented_radix_sort_implINS0_14default_configELb0EPKsPsPKlPlN2at6native12_GLOBAL__N_18offset_tEEE10hipError_tPvRmT1_PNSt15iterator_traitsIS12_E10value_typeET2_T3_PNS13_IS18_E10value_typeET4_jRbjT5_S1E_jjP12ihipStream_tbEUljE_ZNSN_ISO_Lb0ESQ_SR_ST_SU_SY_EESZ_S10_S11_S12_S16_S17_S18_S1B_S1C_jS1D_jS1E_S1E_jjS1G_bEUljE0_EEESZ_S10_S11_S18_S1C_S1E_T6_T7_T9_mT8_S1G_bDpT10_ENKUlT_T0_E_clISt17integral_constantIbLb1EES1U_EEDaS1P_S1Q_EUlS1P_E_NS1_11comp_targetILNS1_3genE10ELNS1_11target_archE1200ELNS1_3gpuE4ELNS1_3repE0EEENS1_30default_config_static_selectorELNS0_4arch9wavefront6targetE0EEEvS12_
                                        ; -- End function
	.set _ZN7rocprim17ROCPRIM_400000_NS6detail17trampoline_kernelINS0_13select_configILj256ELj13ELNS0_17block_load_methodE3ELS4_3ELS4_3ELNS0_20block_scan_algorithmE0ELj4294967295EEENS1_25partition_config_selectorILNS1_17partition_subalgoE4EjNS0_10empty_typeEbEEZZNS1_14partition_implILS8_4ELb0ES6_15HIP_vector_typeIjLj2EENS0_17counting_iteratorIjlEEPS9_SG_NS0_5tupleIJPjSI_NS0_16reverse_iteratorISI_EEEEENSH_IJSG_SG_SG_EEES9_SI_JZNS1_25segmented_radix_sort_implINS0_14default_configELb0EPKsPsPKlPlN2at6native12_GLOBAL__N_18offset_tEEE10hipError_tPvRmT1_PNSt15iterator_traitsIS12_E10value_typeET2_T3_PNS13_IS18_E10value_typeET4_jRbjT5_S1E_jjP12ihipStream_tbEUljE_ZNSN_ISO_Lb0ESQ_SR_ST_SU_SY_EESZ_S10_S11_S12_S16_S17_S18_S1B_S1C_jS1D_jS1E_S1E_jjS1G_bEUljE0_EEESZ_S10_S11_S18_S1C_S1E_T6_T7_T9_mT8_S1G_bDpT10_ENKUlT_T0_E_clISt17integral_constantIbLb1EES1U_EEDaS1P_S1Q_EUlS1P_E_NS1_11comp_targetILNS1_3genE10ELNS1_11target_archE1200ELNS1_3gpuE4ELNS1_3repE0EEENS1_30default_config_static_selectorELNS0_4arch9wavefront6targetE0EEEvS12_.num_vgpr, 0
	.set _ZN7rocprim17ROCPRIM_400000_NS6detail17trampoline_kernelINS0_13select_configILj256ELj13ELNS0_17block_load_methodE3ELS4_3ELS4_3ELNS0_20block_scan_algorithmE0ELj4294967295EEENS1_25partition_config_selectorILNS1_17partition_subalgoE4EjNS0_10empty_typeEbEEZZNS1_14partition_implILS8_4ELb0ES6_15HIP_vector_typeIjLj2EENS0_17counting_iteratorIjlEEPS9_SG_NS0_5tupleIJPjSI_NS0_16reverse_iteratorISI_EEEEENSH_IJSG_SG_SG_EEES9_SI_JZNS1_25segmented_radix_sort_implINS0_14default_configELb0EPKsPsPKlPlN2at6native12_GLOBAL__N_18offset_tEEE10hipError_tPvRmT1_PNSt15iterator_traitsIS12_E10value_typeET2_T3_PNS13_IS18_E10value_typeET4_jRbjT5_S1E_jjP12ihipStream_tbEUljE_ZNSN_ISO_Lb0ESQ_SR_ST_SU_SY_EESZ_S10_S11_S12_S16_S17_S18_S1B_S1C_jS1D_jS1E_S1E_jjS1G_bEUljE0_EEESZ_S10_S11_S18_S1C_S1E_T6_T7_T9_mT8_S1G_bDpT10_ENKUlT_T0_E_clISt17integral_constantIbLb1EES1U_EEDaS1P_S1Q_EUlS1P_E_NS1_11comp_targetILNS1_3genE10ELNS1_11target_archE1200ELNS1_3gpuE4ELNS1_3repE0EEENS1_30default_config_static_selectorELNS0_4arch9wavefront6targetE0EEEvS12_.num_agpr, 0
	.set _ZN7rocprim17ROCPRIM_400000_NS6detail17trampoline_kernelINS0_13select_configILj256ELj13ELNS0_17block_load_methodE3ELS4_3ELS4_3ELNS0_20block_scan_algorithmE0ELj4294967295EEENS1_25partition_config_selectorILNS1_17partition_subalgoE4EjNS0_10empty_typeEbEEZZNS1_14partition_implILS8_4ELb0ES6_15HIP_vector_typeIjLj2EENS0_17counting_iteratorIjlEEPS9_SG_NS0_5tupleIJPjSI_NS0_16reverse_iteratorISI_EEEEENSH_IJSG_SG_SG_EEES9_SI_JZNS1_25segmented_radix_sort_implINS0_14default_configELb0EPKsPsPKlPlN2at6native12_GLOBAL__N_18offset_tEEE10hipError_tPvRmT1_PNSt15iterator_traitsIS12_E10value_typeET2_T3_PNS13_IS18_E10value_typeET4_jRbjT5_S1E_jjP12ihipStream_tbEUljE_ZNSN_ISO_Lb0ESQ_SR_ST_SU_SY_EESZ_S10_S11_S12_S16_S17_S18_S1B_S1C_jS1D_jS1E_S1E_jjS1G_bEUljE0_EEESZ_S10_S11_S18_S1C_S1E_T6_T7_T9_mT8_S1G_bDpT10_ENKUlT_T0_E_clISt17integral_constantIbLb1EES1U_EEDaS1P_S1Q_EUlS1P_E_NS1_11comp_targetILNS1_3genE10ELNS1_11target_archE1200ELNS1_3gpuE4ELNS1_3repE0EEENS1_30default_config_static_selectorELNS0_4arch9wavefront6targetE0EEEvS12_.numbered_sgpr, 0
	.set _ZN7rocprim17ROCPRIM_400000_NS6detail17trampoline_kernelINS0_13select_configILj256ELj13ELNS0_17block_load_methodE3ELS4_3ELS4_3ELNS0_20block_scan_algorithmE0ELj4294967295EEENS1_25partition_config_selectorILNS1_17partition_subalgoE4EjNS0_10empty_typeEbEEZZNS1_14partition_implILS8_4ELb0ES6_15HIP_vector_typeIjLj2EENS0_17counting_iteratorIjlEEPS9_SG_NS0_5tupleIJPjSI_NS0_16reverse_iteratorISI_EEEEENSH_IJSG_SG_SG_EEES9_SI_JZNS1_25segmented_radix_sort_implINS0_14default_configELb0EPKsPsPKlPlN2at6native12_GLOBAL__N_18offset_tEEE10hipError_tPvRmT1_PNSt15iterator_traitsIS12_E10value_typeET2_T3_PNS13_IS18_E10value_typeET4_jRbjT5_S1E_jjP12ihipStream_tbEUljE_ZNSN_ISO_Lb0ESQ_SR_ST_SU_SY_EESZ_S10_S11_S12_S16_S17_S18_S1B_S1C_jS1D_jS1E_S1E_jjS1G_bEUljE0_EEESZ_S10_S11_S18_S1C_S1E_T6_T7_T9_mT8_S1G_bDpT10_ENKUlT_T0_E_clISt17integral_constantIbLb1EES1U_EEDaS1P_S1Q_EUlS1P_E_NS1_11comp_targetILNS1_3genE10ELNS1_11target_archE1200ELNS1_3gpuE4ELNS1_3repE0EEENS1_30default_config_static_selectorELNS0_4arch9wavefront6targetE0EEEvS12_.num_named_barrier, 0
	.set _ZN7rocprim17ROCPRIM_400000_NS6detail17trampoline_kernelINS0_13select_configILj256ELj13ELNS0_17block_load_methodE3ELS4_3ELS4_3ELNS0_20block_scan_algorithmE0ELj4294967295EEENS1_25partition_config_selectorILNS1_17partition_subalgoE4EjNS0_10empty_typeEbEEZZNS1_14partition_implILS8_4ELb0ES6_15HIP_vector_typeIjLj2EENS0_17counting_iteratorIjlEEPS9_SG_NS0_5tupleIJPjSI_NS0_16reverse_iteratorISI_EEEEENSH_IJSG_SG_SG_EEES9_SI_JZNS1_25segmented_radix_sort_implINS0_14default_configELb0EPKsPsPKlPlN2at6native12_GLOBAL__N_18offset_tEEE10hipError_tPvRmT1_PNSt15iterator_traitsIS12_E10value_typeET2_T3_PNS13_IS18_E10value_typeET4_jRbjT5_S1E_jjP12ihipStream_tbEUljE_ZNSN_ISO_Lb0ESQ_SR_ST_SU_SY_EESZ_S10_S11_S12_S16_S17_S18_S1B_S1C_jS1D_jS1E_S1E_jjS1G_bEUljE0_EEESZ_S10_S11_S18_S1C_S1E_T6_T7_T9_mT8_S1G_bDpT10_ENKUlT_T0_E_clISt17integral_constantIbLb1EES1U_EEDaS1P_S1Q_EUlS1P_E_NS1_11comp_targetILNS1_3genE10ELNS1_11target_archE1200ELNS1_3gpuE4ELNS1_3repE0EEENS1_30default_config_static_selectorELNS0_4arch9wavefront6targetE0EEEvS12_.private_seg_size, 0
	.set _ZN7rocprim17ROCPRIM_400000_NS6detail17trampoline_kernelINS0_13select_configILj256ELj13ELNS0_17block_load_methodE3ELS4_3ELS4_3ELNS0_20block_scan_algorithmE0ELj4294967295EEENS1_25partition_config_selectorILNS1_17partition_subalgoE4EjNS0_10empty_typeEbEEZZNS1_14partition_implILS8_4ELb0ES6_15HIP_vector_typeIjLj2EENS0_17counting_iteratorIjlEEPS9_SG_NS0_5tupleIJPjSI_NS0_16reverse_iteratorISI_EEEEENSH_IJSG_SG_SG_EEES9_SI_JZNS1_25segmented_radix_sort_implINS0_14default_configELb0EPKsPsPKlPlN2at6native12_GLOBAL__N_18offset_tEEE10hipError_tPvRmT1_PNSt15iterator_traitsIS12_E10value_typeET2_T3_PNS13_IS18_E10value_typeET4_jRbjT5_S1E_jjP12ihipStream_tbEUljE_ZNSN_ISO_Lb0ESQ_SR_ST_SU_SY_EESZ_S10_S11_S12_S16_S17_S18_S1B_S1C_jS1D_jS1E_S1E_jjS1G_bEUljE0_EEESZ_S10_S11_S18_S1C_S1E_T6_T7_T9_mT8_S1G_bDpT10_ENKUlT_T0_E_clISt17integral_constantIbLb1EES1U_EEDaS1P_S1Q_EUlS1P_E_NS1_11comp_targetILNS1_3genE10ELNS1_11target_archE1200ELNS1_3gpuE4ELNS1_3repE0EEENS1_30default_config_static_selectorELNS0_4arch9wavefront6targetE0EEEvS12_.uses_vcc, 0
	.set _ZN7rocprim17ROCPRIM_400000_NS6detail17trampoline_kernelINS0_13select_configILj256ELj13ELNS0_17block_load_methodE3ELS4_3ELS4_3ELNS0_20block_scan_algorithmE0ELj4294967295EEENS1_25partition_config_selectorILNS1_17partition_subalgoE4EjNS0_10empty_typeEbEEZZNS1_14partition_implILS8_4ELb0ES6_15HIP_vector_typeIjLj2EENS0_17counting_iteratorIjlEEPS9_SG_NS0_5tupleIJPjSI_NS0_16reverse_iteratorISI_EEEEENSH_IJSG_SG_SG_EEES9_SI_JZNS1_25segmented_radix_sort_implINS0_14default_configELb0EPKsPsPKlPlN2at6native12_GLOBAL__N_18offset_tEEE10hipError_tPvRmT1_PNSt15iterator_traitsIS12_E10value_typeET2_T3_PNS13_IS18_E10value_typeET4_jRbjT5_S1E_jjP12ihipStream_tbEUljE_ZNSN_ISO_Lb0ESQ_SR_ST_SU_SY_EESZ_S10_S11_S12_S16_S17_S18_S1B_S1C_jS1D_jS1E_S1E_jjS1G_bEUljE0_EEESZ_S10_S11_S18_S1C_S1E_T6_T7_T9_mT8_S1G_bDpT10_ENKUlT_T0_E_clISt17integral_constantIbLb1EES1U_EEDaS1P_S1Q_EUlS1P_E_NS1_11comp_targetILNS1_3genE10ELNS1_11target_archE1200ELNS1_3gpuE4ELNS1_3repE0EEENS1_30default_config_static_selectorELNS0_4arch9wavefront6targetE0EEEvS12_.uses_flat_scratch, 0
	.set _ZN7rocprim17ROCPRIM_400000_NS6detail17trampoline_kernelINS0_13select_configILj256ELj13ELNS0_17block_load_methodE3ELS4_3ELS4_3ELNS0_20block_scan_algorithmE0ELj4294967295EEENS1_25partition_config_selectorILNS1_17partition_subalgoE4EjNS0_10empty_typeEbEEZZNS1_14partition_implILS8_4ELb0ES6_15HIP_vector_typeIjLj2EENS0_17counting_iteratorIjlEEPS9_SG_NS0_5tupleIJPjSI_NS0_16reverse_iteratorISI_EEEEENSH_IJSG_SG_SG_EEES9_SI_JZNS1_25segmented_radix_sort_implINS0_14default_configELb0EPKsPsPKlPlN2at6native12_GLOBAL__N_18offset_tEEE10hipError_tPvRmT1_PNSt15iterator_traitsIS12_E10value_typeET2_T3_PNS13_IS18_E10value_typeET4_jRbjT5_S1E_jjP12ihipStream_tbEUljE_ZNSN_ISO_Lb0ESQ_SR_ST_SU_SY_EESZ_S10_S11_S12_S16_S17_S18_S1B_S1C_jS1D_jS1E_S1E_jjS1G_bEUljE0_EEESZ_S10_S11_S18_S1C_S1E_T6_T7_T9_mT8_S1G_bDpT10_ENKUlT_T0_E_clISt17integral_constantIbLb1EES1U_EEDaS1P_S1Q_EUlS1P_E_NS1_11comp_targetILNS1_3genE10ELNS1_11target_archE1200ELNS1_3gpuE4ELNS1_3repE0EEENS1_30default_config_static_selectorELNS0_4arch9wavefront6targetE0EEEvS12_.has_dyn_sized_stack, 0
	.set _ZN7rocprim17ROCPRIM_400000_NS6detail17trampoline_kernelINS0_13select_configILj256ELj13ELNS0_17block_load_methodE3ELS4_3ELS4_3ELNS0_20block_scan_algorithmE0ELj4294967295EEENS1_25partition_config_selectorILNS1_17partition_subalgoE4EjNS0_10empty_typeEbEEZZNS1_14partition_implILS8_4ELb0ES6_15HIP_vector_typeIjLj2EENS0_17counting_iteratorIjlEEPS9_SG_NS0_5tupleIJPjSI_NS0_16reverse_iteratorISI_EEEEENSH_IJSG_SG_SG_EEES9_SI_JZNS1_25segmented_radix_sort_implINS0_14default_configELb0EPKsPsPKlPlN2at6native12_GLOBAL__N_18offset_tEEE10hipError_tPvRmT1_PNSt15iterator_traitsIS12_E10value_typeET2_T3_PNS13_IS18_E10value_typeET4_jRbjT5_S1E_jjP12ihipStream_tbEUljE_ZNSN_ISO_Lb0ESQ_SR_ST_SU_SY_EESZ_S10_S11_S12_S16_S17_S18_S1B_S1C_jS1D_jS1E_S1E_jjS1G_bEUljE0_EEESZ_S10_S11_S18_S1C_S1E_T6_T7_T9_mT8_S1G_bDpT10_ENKUlT_T0_E_clISt17integral_constantIbLb1EES1U_EEDaS1P_S1Q_EUlS1P_E_NS1_11comp_targetILNS1_3genE10ELNS1_11target_archE1200ELNS1_3gpuE4ELNS1_3repE0EEENS1_30default_config_static_selectorELNS0_4arch9wavefront6targetE0EEEvS12_.has_recursion, 0
	.set _ZN7rocprim17ROCPRIM_400000_NS6detail17trampoline_kernelINS0_13select_configILj256ELj13ELNS0_17block_load_methodE3ELS4_3ELS4_3ELNS0_20block_scan_algorithmE0ELj4294967295EEENS1_25partition_config_selectorILNS1_17partition_subalgoE4EjNS0_10empty_typeEbEEZZNS1_14partition_implILS8_4ELb0ES6_15HIP_vector_typeIjLj2EENS0_17counting_iteratorIjlEEPS9_SG_NS0_5tupleIJPjSI_NS0_16reverse_iteratorISI_EEEEENSH_IJSG_SG_SG_EEES9_SI_JZNS1_25segmented_radix_sort_implINS0_14default_configELb0EPKsPsPKlPlN2at6native12_GLOBAL__N_18offset_tEEE10hipError_tPvRmT1_PNSt15iterator_traitsIS12_E10value_typeET2_T3_PNS13_IS18_E10value_typeET4_jRbjT5_S1E_jjP12ihipStream_tbEUljE_ZNSN_ISO_Lb0ESQ_SR_ST_SU_SY_EESZ_S10_S11_S12_S16_S17_S18_S1B_S1C_jS1D_jS1E_S1E_jjS1G_bEUljE0_EEESZ_S10_S11_S18_S1C_S1E_T6_T7_T9_mT8_S1G_bDpT10_ENKUlT_T0_E_clISt17integral_constantIbLb1EES1U_EEDaS1P_S1Q_EUlS1P_E_NS1_11comp_targetILNS1_3genE10ELNS1_11target_archE1200ELNS1_3gpuE4ELNS1_3repE0EEENS1_30default_config_static_selectorELNS0_4arch9wavefront6targetE0EEEvS12_.has_indirect_call, 0
	.section	.AMDGPU.csdata,"",@progbits
; Kernel info:
; codeLenInByte = 0
; TotalNumSgprs: 0
; NumVgprs: 0
; ScratchSize: 0
; MemoryBound: 0
; FloatMode: 240
; IeeeMode: 1
; LDSByteSize: 0 bytes/workgroup (compile time only)
; SGPRBlocks: 0
; VGPRBlocks: 0
; NumSGPRsForWavesPerEU: 1
; NumVGPRsForWavesPerEU: 1
; NamedBarCnt: 0
; Occupancy: 16
; WaveLimiterHint : 0
; COMPUTE_PGM_RSRC2:SCRATCH_EN: 0
; COMPUTE_PGM_RSRC2:USER_SGPR: 2
; COMPUTE_PGM_RSRC2:TRAP_HANDLER: 0
; COMPUTE_PGM_RSRC2:TGID_X_EN: 1
; COMPUTE_PGM_RSRC2:TGID_Y_EN: 0
; COMPUTE_PGM_RSRC2:TGID_Z_EN: 0
; COMPUTE_PGM_RSRC2:TIDIG_COMP_CNT: 0
	.section	.text._ZN7rocprim17ROCPRIM_400000_NS6detail17trampoline_kernelINS0_13select_configILj256ELj13ELNS0_17block_load_methodE3ELS4_3ELS4_3ELNS0_20block_scan_algorithmE0ELj4294967295EEENS1_25partition_config_selectorILNS1_17partition_subalgoE4EjNS0_10empty_typeEbEEZZNS1_14partition_implILS8_4ELb0ES6_15HIP_vector_typeIjLj2EENS0_17counting_iteratorIjlEEPS9_SG_NS0_5tupleIJPjSI_NS0_16reverse_iteratorISI_EEEEENSH_IJSG_SG_SG_EEES9_SI_JZNS1_25segmented_radix_sort_implINS0_14default_configELb0EPKsPsPKlPlN2at6native12_GLOBAL__N_18offset_tEEE10hipError_tPvRmT1_PNSt15iterator_traitsIS12_E10value_typeET2_T3_PNS13_IS18_E10value_typeET4_jRbjT5_S1E_jjP12ihipStream_tbEUljE_ZNSN_ISO_Lb0ESQ_SR_ST_SU_SY_EESZ_S10_S11_S12_S16_S17_S18_S1B_S1C_jS1D_jS1E_S1E_jjS1G_bEUljE0_EEESZ_S10_S11_S18_S1C_S1E_T6_T7_T9_mT8_S1G_bDpT10_ENKUlT_T0_E_clISt17integral_constantIbLb1EES1U_EEDaS1P_S1Q_EUlS1P_E_NS1_11comp_targetILNS1_3genE9ELNS1_11target_archE1100ELNS1_3gpuE3ELNS1_3repE0EEENS1_30default_config_static_selectorELNS0_4arch9wavefront6targetE0EEEvS12_,"axG",@progbits,_ZN7rocprim17ROCPRIM_400000_NS6detail17trampoline_kernelINS0_13select_configILj256ELj13ELNS0_17block_load_methodE3ELS4_3ELS4_3ELNS0_20block_scan_algorithmE0ELj4294967295EEENS1_25partition_config_selectorILNS1_17partition_subalgoE4EjNS0_10empty_typeEbEEZZNS1_14partition_implILS8_4ELb0ES6_15HIP_vector_typeIjLj2EENS0_17counting_iteratorIjlEEPS9_SG_NS0_5tupleIJPjSI_NS0_16reverse_iteratorISI_EEEEENSH_IJSG_SG_SG_EEES9_SI_JZNS1_25segmented_radix_sort_implINS0_14default_configELb0EPKsPsPKlPlN2at6native12_GLOBAL__N_18offset_tEEE10hipError_tPvRmT1_PNSt15iterator_traitsIS12_E10value_typeET2_T3_PNS13_IS18_E10value_typeET4_jRbjT5_S1E_jjP12ihipStream_tbEUljE_ZNSN_ISO_Lb0ESQ_SR_ST_SU_SY_EESZ_S10_S11_S12_S16_S17_S18_S1B_S1C_jS1D_jS1E_S1E_jjS1G_bEUljE0_EEESZ_S10_S11_S18_S1C_S1E_T6_T7_T9_mT8_S1G_bDpT10_ENKUlT_T0_E_clISt17integral_constantIbLb1EES1U_EEDaS1P_S1Q_EUlS1P_E_NS1_11comp_targetILNS1_3genE9ELNS1_11target_archE1100ELNS1_3gpuE3ELNS1_3repE0EEENS1_30default_config_static_selectorELNS0_4arch9wavefront6targetE0EEEvS12_,comdat
	.globl	_ZN7rocprim17ROCPRIM_400000_NS6detail17trampoline_kernelINS0_13select_configILj256ELj13ELNS0_17block_load_methodE3ELS4_3ELS4_3ELNS0_20block_scan_algorithmE0ELj4294967295EEENS1_25partition_config_selectorILNS1_17partition_subalgoE4EjNS0_10empty_typeEbEEZZNS1_14partition_implILS8_4ELb0ES6_15HIP_vector_typeIjLj2EENS0_17counting_iteratorIjlEEPS9_SG_NS0_5tupleIJPjSI_NS0_16reverse_iteratorISI_EEEEENSH_IJSG_SG_SG_EEES9_SI_JZNS1_25segmented_radix_sort_implINS0_14default_configELb0EPKsPsPKlPlN2at6native12_GLOBAL__N_18offset_tEEE10hipError_tPvRmT1_PNSt15iterator_traitsIS12_E10value_typeET2_T3_PNS13_IS18_E10value_typeET4_jRbjT5_S1E_jjP12ihipStream_tbEUljE_ZNSN_ISO_Lb0ESQ_SR_ST_SU_SY_EESZ_S10_S11_S12_S16_S17_S18_S1B_S1C_jS1D_jS1E_S1E_jjS1G_bEUljE0_EEESZ_S10_S11_S18_S1C_S1E_T6_T7_T9_mT8_S1G_bDpT10_ENKUlT_T0_E_clISt17integral_constantIbLb1EES1U_EEDaS1P_S1Q_EUlS1P_E_NS1_11comp_targetILNS1_3genE9ELNS1_11target_archE1100ELNS1_3gpuE3ELNS1_3repE0EEENS1_30default_config_static_selectorELNS0_4arch9wavefront6targetE0EEEvS12_ ; -- Begin function _ZN7rocprim17ROCPRIM_400000_NS6detail17trampoline_kernelINS0_13select_configILj256ELj13ELNS0_17block_load_methodE3ELS4_3ELS4_3ELNS0_20block_scan_algorithmE0ELj4294967295EEENS1_25partition_config_selectorILNS1_17partition_subalgoE4EjNS0_10empty_typeEbEEZZNS1_14partition_implILS8_4ELb0ES6_15HIP_vector_typeIjLj2EENS0_17counting_iteratorIjlEEPS9_SG_NS0_5tupleIJPjSI_NS0_16reverse_iteratorISI_EEEEENSH_IJSG_SG_SG_EEES9_SI_JZNS1_25segmented_radix_sort_implINS0_14default_configELb0EPKsPsPKlPlN2at6native12_GLOBAL__N_18offset_tEEE10hipError_tPvRmT1_PNSt15iterator_traitsIS12_E10value_typeET2_T3_PNS13_IS18_E10value_typeET4_jRbjT5_S1E_jjP12ihipStream_tbEUljE_ZNSN_ISO_Lb0ESQ_SR_ST_SU_SY_EESZ_S10_S11_S12_S16_S17_S18_S1B_S1C_jS1D_jS1E_S1E_jjS1G_bEUljE0_EEESZ_S10_S11_S18_S1C_S1E_T6_T7_T9_mT8_S1G_bDpT10_ENKUlT_T0_E_clISt17integral_constantIbLb1EES1U_EEDaS1P_S1Q_EUlS1P_E_NS1_11comp_targetILNS1_3genE9ELNS1_11target_archE1100ELNS1_3gpuE3ELNS1_3repE0EEENS1_30default_config_static_selectorELNS0_4arch9wavefront6targetE0EEEvS12_
	.p2align	8
	.type	_ZN7rocprim17ROCPRIM_400000_NS6detail17trampoline_kernelINS0_13select_configILj256ELj13ELNS0_17block_load_methodE3ELS4_3ELS4_3ELNS0_20block_scan_algorithmE0ELj4294967295EEENS1_25partition_config_selectorILNS1_17partition_subalgoE4EjNS0_10empty_typeEbEEZZNS1_14partition_implILS8_4ELb0ES6_15HIP_vector_typeIjLj2EENS0_17counting_iteratorIjlEEPS9_SG_NS0_5tupleIJPjSI_NS0_16reverse_iteratorISI_EEEEENSH_IJSG_SG_SG_EEES9_SI_JZNS1_25segmented_radix_sort_implINS0_14default_configELb0EPKsPsPKlPlN2at6native12_GLOBAL__N_18offset_tEEE10hipError_tPvRmT1_PNSt15iterator_traitsIS12_E10value_typeET2_T3_PNS13_IS18_E10value_typeET4_jRbjT5_S1E_jjP12ihipStream_tbEUljE_ZNSN_ISO_Lb0ESQ_SR_ST_SU_SY_EESZ_S10_S11_S12_S16_S17_S18_S1B_S1C_jS1D_jS1E_S1E_jjS1G_bEUljE0_EEESZ_S10_S11_S18_S1C_S1E_T6_T7_T9_mT8_S1G_bDpT10_ENKUlT_T0_E_clISt17integral_constantIbLb1EES1U_EEDaS1P_S1Q_EUlS1P_E_NS1_11comp_targetILNS1_3genE9ELNS1_11target_archE1100ELNS1_3gpuE3ELNS1_3repE0EEENS1_30default_config_static_selectorELNS0_4arch9wavefront6targetE0EEEvS12_,@function
_ZN7rocprim17ROCPRIM_400000_NS6detail17trampoline_kernelINS0_13select_configILj256ELj13ELNS0_17block_load_methodE3ELS4_3ELS4_3ELNS0_20block_scan_algorithmE0ELj4294967295EEENS1_25partition_config_selectorILNS1_17partition_subalgoE4EjNS0_10empty_typeEbEEZZNS1_14partition_implILS8_4ELb0ES6_15HIP_vector_typeIjLj2EENS0_17counting_iteratorIjlEEPS9_SG_NS0_5tupleIJPjSI_NS0_16reverse_iteratorISI_EEEEENSH_IJSG_SG_SG_EEES9_SI_JZNS1_25segmented_radix_sort_implINS0_14default_configELb0EPKsPsPKlPlN2at6native12_GLOBAL__N_18offset_tEEE10hipError_tPvRmT1_PNSt15iterator_traitsIS12_E10value_typeET2_T3_PNS13_IS18_E10value_typeET4_jRbjT5_S1E_jjP12ihipStream_tbEUljE_ZNSN_ISO_Lb0ESQ_SR_ST_SU_SY_EESZ_S10_S11_S12_S16_S17_S18_S1B_S1C_jS1D_jS1E_S1E_jjS1G_bEUljE0_EEESZ_S10_S11_S18_S1C_S1E_T6_T7_T9_mT8_S1G_bDpT10_ENKUlT_T0_E_clISt17integral_constantIbLb1EES1U_EEDaS1P_S1Q_EUlS1P_E_NS1_11comp_targetILNS1_3genE9ELNS1_11target_archE1100ELNS1_3gpuE3ELNS1_3repE0EEENS1_30default_config_static_selectorELNS0_4arch9wavefront6targetE0EEEvS12_: ; @_ZN7rocprim17ROCPRIM_400000_NS6detail17trampoline_kernelINS0_13select_configILj256ELj13ELNS0_17block_load_methodE3ELS4_3ELS4_3ELNS0_20block_scan_algorithmE0ELj4294967295EEENS1_25partition_config_selectorILNS1_17partition_subalgoE4EjNS0_10empty_typeEbEEZZNS1_14partition_implILS8_4ELb0ES6_15HIP_vector_typeIjLj2EENS0_17counting_iteratorIjlEEPS9_SG_NS0_5tupleIJPjSI_NS0_16reverse_iteratorISI_EEEEENSH_IJSG_SG_SG_EEES9_SI_JZNS1_25segmented_radix_sort_implINS0_14default_configELb0EPKsPsPKlPlN2at6native12_GLOBAL__N_18offset_tEEE10hipError_tPvRmT1_PNSt15iterator_traitsIS12_E10value_typeET2_T3_PNS13_IS18_E10value_typeET4_jRbjT5_S1E_jjP12ihipStream_tbEUljE_ZNSN_ISO_Lb0ESQ_SR_ST_SU_SY_EESZ_S10_S11_S12_S16_S17_S18_S1B_S1C_jS1D_jS1E_S1E_jjS1G_bEUljE0_EEESZ_S10_S11_S18_S1C_S1E_T6_T7_T9_mT8_S1G_bDpT10_ENKUlT_T0_E_clISt17integral_constantIbLb1EES1U_EEDaS1P_S1Q_EUlS1P_E_NS1_11comp_targetILNS1_3genE9ELNS1_11target_archE1100ELNS1_3gpuE3ELNS1_3repE0EEENS1_30default_config_static_selectorELNS0_4arch9wavefront6targetE0EEEvS12_
; %bb.0:
	.section	.rodata,"a",@progbits
	.p2align	6, 0x0
	.amdhsa_kernel _ZN7rocprim17ROCPRIM_400000_NS6detail17trampoline_kernelINS0_13select_configILj256ELj13ELNS0_17block_load_methodE3ELS4_3ELS4_3ELNS0_20block_scan_algorithmE0ELj4294967295EEENS1_25partition_config_selectorILNS1_17partition_subalgoE4EjNS0_10empty_typeEbEEZZNS1_14partition_implILS8_4ELb0ES6_15HIP_vector_typeIjLj2EENS0_17counting_iteratorIjlEEPS9_SG_NS0_5tupleIJPjSI_NS0_16reverse_iteratorISI_EEEEENSH_IJSG_SG_SG_EEES9_SI_JZNS1_25segmented_radix_sort_implINS0_14default_configELb0EPKsPsPKlPlN2at6native12_GLOBAL__N_18offset_tEEE10hipError_tPvRmT1_PNSt15iterator_traitsIS12_E10value_typeET2_T3_PNS13_IS18_E10value_typeET4_jRbjT5_S1E_jjP12ihipStream_tbEUljE_ZNSN_ISO_Lb0ESQ_SR_ST_SU_SY_EESZ_S10_S11_S12_S16_S17_S18_S1B_S1C_jS1D_jS1E_S1E_jjS1G_bEUljE0_EEESZ_S10_S11_S18_S1C_S1E_T6_T7_T9_mT8_S1G_bDpT10_ENKUlT_T0_E_clISt17integral_constantIbLb1EES1U_EEDaS1P_S1Q_EUlS1P_E_NS1_11comp_targetILNS1_3genE9ELNS1_11target_archE1100ELNS1_3gpuE3ELNS1_3repE0EEENS1_30default_config_static_selectorELNS0_4arch9wavefront6targetE0EEEvS12_
		.amdhsa_group_segment_fixed_size 0
		.amdhsa_private_segment_fixed_size 0
		.amdhsa_kernarg_size 184
		.amdhsa_user_sgpr_count 2
		.amdhsa_user_sgpr_dispatch_ptr 0
		.amdhsa_user_sgpr_queue_ptr 0
		.amdhsa_user_sgpr_kernarg_segment_ptr 1
		.amdhsa_user_sgpr_dispatch_id 0
		.amdhsa_user_sgpr_kernarg_preload_length 0
		.amdhsa_user_sgpr_kernarg_preload_offset 0
		.amdhsa_user_sgpr_private_segment_size 0
		.amdhsa_wavefront_size32 1
		.amdhsa_uses_dynamic_stack 0
		.amdhsa_enable_private_segment 0
		.amdhsa_system_sgpr_workgroup_id_x 1
		.amdhsa_system_sgpr_workgroup_id_y 0
		.amdhsa_system_sgpr_workgroup_id_z 0
		.amdhsa_system_sgpr_workgroup_info 0
		.amdhsa_system_vgpr_workitem_id 0
		.amdhsa_next_free_vgpr 1
		.amdhsa_next_free_sgpr 1
		.amdhsa_named_barrier_count 0
		.amdhsa_reserve_vcc 0
		.amdhsa_float_round_mode_32 0
		.amdhsa_float_round_mode_16_64 0
		.amdhsa_float_denorm_mode_32 3
		.amdhsa_float_denorm_mode_16_64 3
		.amdhsa_fp16_overflow 0
		.amdhsa_memory_ordered 1
		.amdhsa_forward_progress 1
		.amdhsa_inst_pref_size 0
		.amdhsa_round_robin_scheduling 0
		.amdhsa_exception_fp_ieee_invalid_op 0
		.amdhsa_exception_fp_denorm_src 0
		.amdhsa_exception_fp_ieee_div_zero 0
		.amdhsa_exception_fp_ieee_overflow 0
		.amdhsa_exception_fp_ieee_underflow 0
		.amdhsa_exception_fp_ieee_inexact 0
		.amdhsa_exception_int_div_zero 0
	.end_amdhsa_kernel
	.section	.text._ZN7rocprim17ROCPRIM_400000_NS6detail17trampoline_kernelINS0_13select_configILj256ELj13ELNS0_17block_load_methodE3ELS4_3ELS4_3ELNS0_20block_scan_algorithmE0ELj4294967295EEENS1_25partition_config_selectorILNS1_17partition_subalgoE4EjNS0_10empty_typeEbEEZZNS1_14partition_implILS8_4ELb0ES6_15HIP_vector_typeIjLj2EENS0_17counting_iteratorIjlEEPS9_SG_NS0_5tupleIJPjSI_NS0_16reverse_iteratorISI_EEEEENSH_IJSG_SG_SG_EEES9_SI_JZNS1_25segmented_radix_sort_implINS0_14default_configELb0EPKsPsPKlPlN2at6native12_GLOBAL__N_18offset_tEEE10hipError_tPvRmT1_PNSt15iterator_traitsIS12_E10value_typeET2_T3_PNS13_IS18_E10value_typeET4_jRbjT5_S1E_jjP12ihipStream_tbEUljE_ZNSN_ISO_Lb0ESQ_SR_ST_SU_SY_EESZ_S10_S11_S12_S16_S17_S18_S1B_S1C_jS1D_jS1E_S1E_jjS1G_bEUljE0_EEESZ_S10_S11_S18_S1C_S1E_T6_T7_T9_mT8_S1G_bDpT10_ENKUlT_T0_E_clISt17integral_constantIbLb1EES1U_EEDaS1P_S1Q_EUlS1P_E_NS1_11comp_targetILNS1_3genE9ELNS1_11target_archE1100ELNS1_3gpuE3ELNS1_3repE0EEENS1_30default_config_static_selectorELNS0_4arch9wavefront6targetE0EEEvS12_,"axG",@progbits,_ZN7rocprim17ROCPRIM_400000_NS6detail17trampoline_kernelINS0_13select_configILj256ELj13ELNS0_17block_load_methodE3ELS4_3ELS4_3ELNS0_20block_scan_algorithmE0ELj4294967295EEENS1_25partition_config_selectorILNS1_17partition_subalgoE4EjNS0_10empty_typeEbEEZZNS1_14partition_implILS8_4ELb0ES6_15HIP_vector_typeIjLj2EENS0_17counting_iteratorIjlEEPS9_SG_NS0_5tupleIJPjSI_NS0_16reverse_iteratorISI_EEEEENSH_IJSG_SG_SG_EEES9_SI_JZNS1_25segmented_radix_sort_implINS0_14default_configELb0EPKsPsPKlPlN2at6native12_GLOBAL__N_18offset_tEEE10hipError_tPvRmT1_PNSt15iterator_traitsIS12_E10value_typeET2_T3_PNS13_IS18_E10value_typeET4_jRbjT5_S1E_jjP12ihipStream_tbEUljE_ZNSN_ISO_Lb0ESQ_SR_ST_SU_SY_EESZ_S10_S11_S12_S16_S17_S18_S1B_S1C_jS1D_jS1E_S1E_jjS1G_bEUljE0_EEESZ_S10_S11_S18_S1C_S1E_T6_T7_T9_mT8_S1G_bDpT10_ENKUlT_T0_E_clISt17integral_constantIbLb1EES1U_EEDaS1P_S1Q_EUlS1P_E_NS1_11comp_targetILNS1_3genE9ELNS1_11target_archE1100ELNS1_3gpuE3ELNS1_3repE0EEENS1_30default_config_static_selectorELNS0_4arch9wavefront6targetE0EEEvS12_,comdat
.Lfunc_end959:
	.size	_ZN7rocprim17ROCPRIM_400000_NS6detail17trampoline_kernelINS0_13select_configILj256ELj13ELNS0_17block_load_methodE3ELS4_3ELS4_3ELNS0_20block_scan_algorithmE0ELj4294967295EEENS1_25partition_config_selectorILNS1_17partition_subalgoE4EjNS0_10empty_typeEbEEZZNS1_14partition_implILS8_4ELb0ES6_15HIP_vector_typeIjLj2EENS0_17counting_iteratorIjlEEPS9_SG_NS0_5tupleIJPjSI_NS0_16reverse_iteratorISI_EEEEENSH_IJSG_SG_SG_EEES9_SI_JZNS1_25segmented_radix_sort_implINS0_14default_configELb0EPKsPsPKlPlN2at6native12_GLOBAL__N_18offset_tEEE10hipError_tPvRmT1_PNSt15iterator_traitsIS12_E10value_typeET2_T3_PNS13_IS18_E10value_typeET4_jRbjT5_S1E_jjP12ihipStream_tbEUljE_ZNSN_ISO_Lb0ESQ_SR_ST_SU_SY_EESZ_S10_S11_S12_S16_S17_S18_S1B_S1C_jS1D_jS1E_S1E_jjS1G_bEUljE0_EEESZ_S10_S11_S18_S1C_S1E_T6_T7_T9_mT8_S1G_bDpT10_ENKUlT_T0_E_clISt17integral_constantIbLb1EES1U_EEDaS1P_S1Q_EUlS1P_E_NS1_11comp_targetILNS1_3genE9ELNS1_11target_archE1100ELNS1_3gpuE3ELNS1_3repE0EEENS1_30default_config_static_selectorELNS0_4arch9wavefront6targetE0EEEvS12_, .Lfunc_end959-_ZN7rocprim17ROCPRIM_400000_NS6detail17trampoline_kernelINS0_13select_configILj256ELj13ELNS0_17block_load_methodE3ELS4_3ELS4_3ELNS0_20block_scan_algorithmE0ELj4294967295EEENS1_25partition_config_selectorILNS1_17partition_subalgoE4EjNS0_10empty_typeEbEEZZNS1_14partition_implILS8_4ELb0ES6_15HIP_vector_typeIjLj2EENS0_17counting_iteratorIjlEEPS9_SG_NS0_5tupleIJPjSI_NS0_16reverse_iteratorISI_EEEEENSH_IJSG_SG_SG_EEES9_SI_JZNS1_25segmented_radix_sort_implINS0_14default_configELb0EPKsPsPKlPlN2at6native12_GLOBAL__N_18offset_tEEE10hipError_tPvRmT1_PNSt15iterator_traitsIS12_E10value_typeET2_T3_PNS13_IS18_E10value_typeET4_jRbjT5_S1E_jjP12ihipStream_tbEUljE_ZNSN_ISO_Lb0ESQ_SR_ST_SU_SY_EESZ_S10_S11_S12_S16_S17_S18_S1B_S1C_jS1D_jS1E_S1E_jjS1G_bEUljE0_EEESZ_S10_S11_S18_S1C_S1E_T6_T7_T9_mT8_S1G_bDpT10_ENKUlT_T0_E_clISt17integral_constantIbLb1EES1U_EEDaS1P_S1Q_EUlS1P_E_NS1_11comp_targetILNS1_3genE9ELNS1_11target_archE1100ELNS1_3gpuE3ELNS1_3repE0EEENS1_30default_config_static_selectorELNS0_4arch9wavefront6targetE0EEEvS12_
                                        ; -- End function
	.set _ZN7rocprim17ROCPRIM_400000_NS6detail17trampoline_kernelINS0_13select_configILj256ELj13ELNS0_17block_load_methodE3ELS4_3ELS4_3ELNS0_20block_scan_algorithmE0ELj4294967295EEENS1_25partition_config_selectorILNS1_17partition_subalgoE4EjNS0_10empty_typeEbEEZZNS1_14partition_implILS8_4ELb0ES6_15HIP_vector_typeIjLj2EENS0_17counting_iteratorIjlEEPS9_SG_NS0_5tupleIJPjSI_NS0_16reverse_iteratorISI_EEEEENSH_IJSG_SG_SG_EEES9_SI_JZNS1_25segmented_radix_sort_implINS0_14default_configELb0EPKsPsPKlPlN2at6native12_GLOBAL__N_18offset_tEEE10hipError_tPvRmT1_PNSt15iterator_traitsIS12_E10value_typeET2_T3_PNS13_IS18_E10value_typeET4_jRbjT5_S1E_jjP12ihipStream_tbEUljE_ZNSN_ISO_Lb0ESQ_SR_ST_SU_SY_EESZ_S10_S11_S12_S16_S17_S18_S1B_S1C_jS1D_jS1E_S1E_jjS1G_bEUljE0_EEESZ_S10_S11_S18_S1C_S1E_T6_T7_T9_mT8_S1G_bDpT10_ENKUlT_T0_E_clISt17integral_constantIbLb1EES1U_EEDaS1P_S1Q_EUlS1P_E_NS1_11comp_targetILNS1_3genE9ELNS1_11target_archE1100ELNS1_3gpuE3ELNS1_3repE0EEENS1_30default_config_static_selectorELNS0_4arch9wavefront6targetE0EEEvS12_.num_vgpr, 0
	.set _ZN7rocprim17ROCPRIM_400000_NS6detail17trampoline_kernelINS0_13select_configILj256ELj13ELNS0_17block_load_methodE3ELS4_3ELS4_3ELNS0_20block_scan_algorithmE0ELj4294967295EEENS1_25partition_config_selectorILNS1_17partition_subalgoE4EjNS0_10empty_typeEbEEZZNS1_14partition_implILS8_4ELb0ES6_15HIP_vector_typeIjLj2EENS0_17counting_iteratorIjlEEPS9_SG_NS0_5tupleIJPjSI_NS0_16reverse_iteratorISI_EEEEENSH_IJSG_SG_SG_EEES9_SI_JZNS1_25segmented_radix_sort_implINS0_14default_configELb0EPKsPsPKlPlN2at6native12_GLOBAL__N_18offset_tEEE10hipError_tPvRmT1_PNSt15iterator_traitsIS12_E10value_typeET2_T3_PNS13_IS18_E10value_typeET4_jRbjT5_S1E_jjP12ihipStream_tbEUljE_ZNSN_ISO_Lb0ESQ_SR_ST_SU_SY_EESZ_S10_S11_S12_S16_S17_S18_S1B_S1C_jS1D_jS1E_S1E_jjS1G_bEUljE0_EEESZ_S10_S11_S18_S1C_S1E_T6_T7_T9_mT8_S1G_bDpT10_ENKUlT_T0_E_clISt17integral_constantIbLb1EES1U_EEDaS1P_S1Q_EUlS1P_E_NS1_11comp_targetILNS1_3genE9ELNS1_11target_archE1100ELNS1_3gpuE3ELNS1_3repE0EEENS1_30default_config_static_selectorELNS0_4arch9wavefront6targetE0EEEvS12_.num_agpr, 0
	.set _ZN7rocprim17ROCPRIM_400000_NS6detail17trampoline_kernelINS0_13select_configILj256ELj13ELNS0_17block_load_methodE3ELS4_3ELS4_3ELNS0_20block_scan_algorithmE0ELj4294967295EEENS1_25partition_config_selectorILNS1_17partition_subalgoE4EjNS0_10empty_typeEbEEZZNS1_14partition_implILS8_4ELb0ES6_15HIP_vector_typeIjLj2EENS0_17counting_iteratorIjlEEPS9_SG_NS0_5tupleIJPjSI_NS0_16reverse_iteratorISI_EEEEENSH_IJSG_SG_SG_EEES9_SI_JZNS1_25segmented_radix_sort_implINS0_14default_configELb0EPKsPsPKlPlN2at6native12_GLOBAL__N_18offset_tEEE10hipError_tPvRmT1_PNSt15iterator_traitsIS12_E10value_typeET2_T3_PNS13_IS18_E10value_typeET4_jRbjT5_S1E_jjP12ihipStream_tbEUljE_ZNSN_ISO_Lb0ESQ_SR_ST_SU_SY_EESZ_S10_S11_S12_S16_S17_S18_S1B_S1C_jS1D_jS1E_S1E_jjS1G_bEUljE0_EEESZ_S10_S11_S18_S1C_S1E_T6_T7_T9_mT8_S1G_bDpT10_ENKUlT_T0_E_clISt17integral_constantIbLb1EES1U_EEDaS1P_S1Q_EUlS1P_E_NS1_11comp_targetILNS1_3genE9ELNS1_11target_archE1100ELNS1_3gpuE3ELNS1_3repE0EEENS1_30default_config_static_selectorELNS0_4arch9wavefront6targetE0EEEvS12_.numbered_sgpr, 0
	.set _ZN7rocprim17ROCPRIM_400000_NS6detail17trampoline_kernelINS0_13select_configILj256ELj13ELNS0_17block_load_methodE3ELS4_3ELS4_3ELNS0_20block_scan_algorithmE0ELj4294967295EEENS1_25partition_config_selectorILNS1_17partition_subalgoE4EjNS0_10empty_typeEbEEZZNS1_14partition_implILS8_4ELb0ES6_15HIP_vector_typeIjLj2EENS0_17counting_iteratorIjlEEPS9_SG_NS0_5tupleIJPjSI_NS0_16reverse_iteratorISI_EEEEENSH_IJSG_SG_SG_EEES9_SI_JZNS1_25segmented_radix_sort_implINS0_14default_configELb0EPKsPsPKlPlN2at6native12_GLOBAL__N_18offset_tEEE10hipError_tPvRmT1_PNSt15iterator_traitsIS12_E10value_typeET2_T3_PNS13_IS18_E10value_typeET4_jRbjT5_S1E_jjP12ihipStream_tbEUljE_ZNSN_ISO_Lb0ESQ_SR_ST_SU_SY_EESZ_S10_S11_S12_S16_S17_S18_S1B_S1C_jS1D_jS1E_S1E_jjS1G_bEUljE0_EEESZ_S10_S11_S18_S1C_S1E_T6_T7_T9_mT8_S1G_bDpT10_ENKUlT_T0_E_clISt17integral_constantIbLb1EES1U_EEDaS1P_S1Q_EUlS1P_E_NS1_11comp_targetILNS1_3genE9ELNS1_11target_archE1100ELNS1_3gpuE3ELNS1_3repE0EEENS1_30default_config_static_selectorELNS0_4arch9wavefront6targetE0EEEvS12_.num_named_barrier, 0
	.set _ZN7rocprim17ROCPRIM_400000_NS6detail17trampoline_kernelINS0_13select_configILj256ELj13ELNS0_17block_load_methodE3ELS4_3ELS4_3ELNS0_20block_scan_algorithmE0ELj4294967295EEENS1_25partition_config_selectorILNS1_17partition_subalgoE4EjNS0_10empty_typeEbEEZZNS1_14partition_implILS8_4ELb0ES6_15HIP_vector_typeIjLj2EENS0_17counting_iteratorIjlEEPS9_SG_NS0_5tupleIJPjSI_NS0_16reverse_iteratorISI_EEEEENSH_IJSG_SG_SG_EEES9_SI_JZNS1_25segmented_radix_sort_implINS0_14default_configELb0EPKsPsPKlPlN2at6native12_GLOBAL__N_18offset_tEEE10hipError_tPvRmT1_PNSt15iterator_traitsIS12_E10value_typeET2_T3_PNS13_IS18_E10value_typeET4_jRbjT5_S1E_jjP12ihipStream_tbEUljE_ZNSN_ISO_Lb0ESQ_SR_ST_SU_SY_EESZ_S10_S11_S12_S16_S17_S18_S1B_S1C_jS1D_jS1E_S1E_jjS1G_bEUljE0_EEESZ_S10_S11_S18_S1C_S1E_T6_T7_T9_mT8_S1G_bDpT10_ENKUlT_T0_E_clISt17integral_constantIbLb1EES1U_EEDaS1P_S1Q_EUlS1P_E_NS1_11comp_targetILNS1_3genE9ELNS1_11target_archE1100ELNS1_3gpuE3ELNS1_3repE0EEENS1_30default_config_static_selectorELNS0_4arch9wavefront6targetE0EEEvS12_.private_seg_size, 0
	.set _ZN7rocprim17ROCPRIM_400000_NS6detail17trampoline_kernelINS0_13select_configILj256ELj13ELNS0_17block_load_methodE3ELS4_3ELS4_3ELNS0_20block_scan_algorithmE0ELj4294967295EEENS1_25partition_config_selectorILNS1_17partition_subalgoE4EjNS0_10empty_typeEbEEZZNS1_14partition_implILS8_4ELb0ES6_15HIP_vector_typeIjLj2EENS0_17counting_iteratorIjlEEPS9_SG_NS0_5tupleIJPjSI_NS0_16reverse_iteratorISI_EEEEENSH_IJSG_SG_SG_EEES9_SI_JZNS1_25segmented_radix_sort_implINS0_14default_configELb0EPKsPsPKlPlN2at6native12_GLOBAL__N_18offset_tEEE10hipError_tPvRmT1_PNSt15iterator_traitsIS12_E10value_typeET2_T3_PNS13_IS18_E10value_typeET4_jRbjT5_S1E_jjP12ihipStream_tbEUljE_ZNSN_ISO_Lb0ESQ_SR_ST_SU_SY_EESZ_S10_S11_S12_S16_S17_S18_S1B_S1C_jS1D_jS1E_S1E_jjS1G_bEUljE0_EEESZ_S10_S11_S18_S1C_S1E_T6_T7_T9_mT8_S1G_bDpT10_ENKUlT_T0_E_clISt17integral_constantIbLb1EES1U_EEDaS1P_S1Q_EUlS1P_E_NS1_11comp_targetILNS1_3genE9ELNS1_11target_archE1100ELNS1_3gpuE3ELNS1_3repE0EEENS1_30default_config_static_selectorELNS0_4arch9wavefront6targetE0EEEvS12_.uses_vcc, 0
	.set _ZN7rocprim17ROCPRIM_400000_NS6detail17trampoline_kernelINS0_13select_configILj256ELj13ELNS0_17block_load_methodE3ELS4_3ELS4_3ELNS0_20block_scan_algorithmE0ELj4294967295EEENS1_25partition_config_selectorILNS1_17partition_subalgoE4EjNS0_10empty_typeEbEEZZNS1_14partition_implILS8_4ELb0ES6_15HIP_vector_typeIjLj2EENS0_17counting_iteratorIjlEEPS9_SG_NS0_5tupleIJPjSI_NS0_16reverse_iteratorISI_EEEEENSH_IJSG_SG_SG_EEES9_SI_JZNS1_25segmented_radix_sort_implINS0_14default_configELb0EPKsPsPKlPlN2at6native12_GLOBAL__N_18offset_tEEE10hipError_tPvRmT1_PNSt15iterator_traitsIS12_E10value_typeET2_T3_PNS13_IS18_E10value_typeET4_jRbjT5_S1E_jjP12ihipStream_tbEUljE_ZNSN_ISO_Lb0ESQ_SR_ST_SU_SY_EESZ_S10_S11_S12_S16_S17_S18_S1B_S1C_jS1D_jS1E_S1E_jjS1G_bEUljE0_EEESZ_S10_S11_S18_S1C_S1E_T6_T7_T9_mT8_S1G_bDpT10_ENKUlT_T0_E_clISt17integral_constantIbLb1EES1U_EEDaS1P_S1Q_EUlS1P_E_NS1_11comp_targetILNS1_3genE9ELNS1_11target_archE1100ELNS1_3gpuE3ELNS1_3repE0EEENS1_30default_config_static_selectorELNS0_4arch9wavefront6targetE0EEEvS12_.uses_flat_scratch, 0
	.set _ZN7rocprim17ROCPRIM_400000_NS6detail17trampoline_kernelINS0_13select_configILj256ELj13ELNS0_17block_load_methodE3ELS4_3ELS4_3ELNS0_20block_scan_algorithmE0ELj4294967295EEENS1_25partition_config_selectorILNS1_17partition_subalgoE4EjNS0_10empty_typeEbEEZZNS1_14partition_implILS8_4ELb0ES6_15HIP_vector_typeIjLj2EENS0_17counting_iteratorIjlEEPS9_SG_NS0_5tupleIJPjSI_NS0_16reverse_iteratorISI_EEEEENSH_IJSG_SG_SG_EEES9_SI_JZNS1_25segmented_radix_sort_implINS0_14default_configELb0EPKsPsPKlPlN2at6native12_GLOBAL__N_18offset_tEEE10hipError_tPvRmT1_PNSt15iterator_traitsIS12_E10value_typeET2_T3_PNS13_IS18_E10value_typeET4_jRbjT5_S1E_jjP12ihipStream_tbEUljE_ZNSN_ISO_Lb0ESQ_SR_ST_SU_SY_EESZ_S10_S11_S12_S16_S17_S18_S1B_S1C_jS1D_jS1E_S1E_jjS1G_bEUljE0_EEESZ_S10_S11_S18_S1C_S1E_T6_T7_T9_mT8_S1G_bDpT10_ENKUlT_T0_E_clISt17integral_constantIbLb1EES1U_EEDaS1P_S1Q_EUlS1P_E_NS1_11comp_targetILNS1_3genE9ELNS1_11target_archE1100ELNS1_3gpuE3ELNS1_3repE0EEENS1_30default_config_static_selectorELNS0_4arch9wavefront6targetE0EEEvS12_.has_dyn_sized_stack, 0
	.set _ZN7rocprim17ROCPRIM_400000_NS6detail17trampoline_kernelINS0_13select_configILj256ELj13ELNS0_17block_load_methodE3ELS4_3ELS4_3ELNS0_20block_scan_algorithmE0ELj4294967295EEENS1_25partition_config_selectorILNS1_17partition_subalgoE4EjNS0_10empty_typeEbEEZZNS1_14partition_implILS8_4ELb0ES6_15HIP_vector_typeIjLj2EENS0_17counting_iteratorIjlEEPS9_SG_NS0_5tupleIJPjSI_NS0_16reverse_iteratorISI_EEEEENSH_IJSG_SG_SG_EEES9_SI_JZNS1_25segmented_radix_sort_implINS0_14default_configELb0EPKsPsPKlPlN2at6native12_GLOBAL__N_18offset_tEEE10hipError_tPvRmT1_PNSt15iterator_traitsIS12_E10value_typeET2_T3_PNS13_IS18_E10value_typeET4_jRbjT5_S1E_jjP12ihipStream_tbEUljE_ZNSN_ISO_Lb0ESQ_SR_ST_SU_SY_EESZ_S10_S11_S12_S16_S17_S18_S1B_S1C_jS1D_jS1E_S1E_jjS1G_bEUljE0_EEESZ_S10_S11_S18_S1C_S1E_T6_T7_T9_mT8_S1G_bDpT10_ENKUlT_T0_E_clISt17integral_constantIbLb1EES1U_EEDaS1P_S1Q_EUlS1P_E_NS1_11comp_targetILNS1_3genE9ELNS1_11target_archE1100ELNS1_3gpuE3ELNS1_3repE0EEENS1_30default_config_static_selectorELNS0_4arch9wavefront6targetE0EEEvS12_.has_recursion, 0
	.set _ZN7rocprim17ROCPRIM_400000_NS6detail17trampoline_kernelINS0_13select_configILj256ELj13ELNS0_17block_load_methodE3ELS4_3ELS4_3ELNS0_20block_scan_algorithmE0ELj4294967295EEENS1_25partition_config_selectorILNS1_17partition_subalgoE4EjNS0_10empty_typeEbEEZZNS1_14partition_implILS8_4ELb0ES6_15HIP_vector_typeIjLj2EENS0_17counting_iteratorIjlEEPS9_SG_NS0_5tupleIJPjSI_NS0_16reverse_iteratorISI_EEEEENSH_IJSG_SG_SG_EEES9_SI_JZNS1_25segmented_radix_sort_implINS0_14default_configELb0EPKsPsPKlPlN2at6native12_GLOBAL__N_18offset_tEEE10hipError_tPvRmT1_PNSt15iterator_traitsIS12_E10value_typeET2_T3_PNS13_IS18_E10value_typeET4_jRbjT5_S1E_jjP12ihipStream_tbEUljE_ZNSN_ISO_Lb0ESQ_SR_ST_SU_SY_EESZ_S10_S11_S12_S16_S17_S18_S1B_S1C_jS1D_jS1E_S1E_jjS1G_bEUljE0_EEESZ_S10_S11_S18_S1C_S1E_T6_T7_T9_mT8_S1G_bDpT10_ENKUlT_T0_E_clISt17integral_constantIbLb1EES1U_EEDaS1P_S1Q_EUlS1P_E_NS1_11comp_targetILNS1_3genE9ELNS1_11target_archE1100ELNS1_3gpuE3ELNS1_3repE0EEENS1_30default_config_static_selectorELNS0_4arch9wavefront6targetE0EEEvS12_.has_indirect_call, 0
	.section	.AMDGPU.csdata,"",@progbits
; Kernel info:
; codeLenInByte = 0
; TotalNumSgprs: 0
; NumVgprs: 0
; ScratchSize: 0
; MemoryBound: 0
; FloatMode: 240
; IeeeMode: 1
; LDSByteSize: 0 bytes/workgroup (compile time only)
; SGPRBlocks: 0
; VGPRBlocks: 0
; NumSGPRsForWavesPerEU: 1
; NumVGPRsForWavesPerEU: 1
; NamedBarCnt: 0
; Occupancy: 16
; WaveLimiterHint : 0
; COMPUTE_PGM_RSRC2:SCRATCH_EN: 0
; COMPUTE_PGM_RSRC2:USER_SGPR: 2
; COMPUTE_PGM_RSRC2:TRAP_HANDLER: 0
; COMPUTE_PGM_RSRC2:TGID_X_EN: 1
; COMPUTE_PGM_RSRC2:TGID_Y_EN: 0
; COMPUTE_PGM_RSRC2:TGID_Z_EN: 0
; COMPUTE_PGM_RSRC2:TIDIG_COMP_CNT: 0
	.section	.text._ZN7rocprim17ROCPRIM_400000_NS6detail17trampoline_kernelINS0_13select_configILj256ELj13ELNS0_17block_load_methodE3ELS4_3ELS4_3ELNS0_20block_scan_algorithmE0ELj4294967295EEENS1_25partition_config_selectorILNS1_17partition_subalgoE4EjNS0_10empty_typeEbEEZZNS1_14partition_implILS8_4ELb0ES6_15HIP_vector_typeIjLj2EENS0_17counting_iteratorIjlEEPS9_SG_NS0_5tupleIJPjSI_NS0_16reverse_iteratorISI_EEEEENSH_IJSG_SG_SG_EEES9_SI_JZNS1_25segmented_radix_sort_implINS0_14default_configELb0EPKsPsPKlPlN2at6native12_GLOBAL__N_18offset_tEEE10hipError_tPvRmT1_PNSt15iterator_traitsIS12_E10value_typeET2_T3_PNS13_IS18_E10value_typeET4_jRbjT5_S1E_jjP12ihipStream_tbEUljE_ZNSN_ISO_Lb0ESQ_SR_ST_SU_SY_EESZ_S10_S11_S12_S16_S17_S18_S1B_S1C_jS1D_jS1E_S1E_jjS1G_bEUljE0_EEESZ_S10_S11_S18_S1C_S1E_T6_T7_T9_mT8_S1G_bDpT10_ENKUlT_T0_E_clISt17integral_constantIbLb1EES1U_EEDaS1P_S1Q_EUlS1P_E_NS1_11comp_targetILNS1_3genE8ELNS1_11target_archE1030ELNS1_3gpuE2ELNS1_3repE0EEENS1_30default_config_static_selectorELNS0_4arch9wavefront6targetE0EEEvS12_,"axG",@progbits,_ZN7rocprim17ROCPRIM_400000_NS6detail17trampoline_kernelINS0_13select_configILj256ELj13ELNS0_17block_load_methodE3ELS4_3ELS4_3ELNS0_20block_scan_algorithmE0ELj4294967295EEENS1_25partition_config_selectorILNS1_17partition_subalgoE4EjNS0_10empty_typeEbEEZZNS1_14partition_implILS8_4ELb0ES6_15HIP_vector_typeIjLj2EENS0_17counting_iteratorIjlEEPS9_SG_NS0_5tupleIJPjSI_NS0_16reverse_iteratorISI_EEEEENSH_IJSG_SG_SG_EEES9_SI_JZNS1_25segmented_radix_sort_implINS0_14default_configELb0EPKsPsPKlPlN2at6native12_GLOBAL__N_18offset_tEEE10hipError_tPvRmT1_PNSt15iterator_traitsIS12_E10value_typeET2_T3_PNS13_IS18_E10value_typeET4_jRbjT5_S1E_jjP12ihipStream_tbEUljE_ZNSN_ISO_Lb0ESQ_SR_ST_SU_SY_EESZ_S10_S11_S12_S16_S17_S18_S1B_S1C_jS1D_jS1E_S1E_jjS1G_bEUljE0_EEESZ_S10_S11_S18_S1C_S1E_T6_T7_T9_mT8_S1G_bDpT10_ENKUlT_T0_E_clISt17integral_constantIbLb1EES1U_EEDaS1P_S1Q_EUlS1P_E_NS1_11comp_targetILNS1_3genE8ELNS1_11target_archE1030ELNS1_3gpuE2ELNS1_3repE0EEENS1_30default_config_static_selectorELNS0_4arch9wavefront6targetE0EEEvS12_,comdat
	.globl	_ZN7rocprim17ROCPRIM_400000_NS6detail17trampoline_kernelINS0_13select_configILj256ELj13ELNS0_17block_load_methodE3ELS4_3ELS4_3ELNS0_20block_scan_algorithmE0ELj4294967295EEENS1_25partition_config_selectorILNS1_17partition_subalgoE4EjNS0_10empty_typeEbEEZZNS1_14partition_implILS8_4ELb0ES6_15HIP_vector_typeIjLj2EENS0_17counting_iteratorIjlEEPS9_SG_NS0_5tupleIJPjSI_NS0_16reverse_iteratorISI_EEEEENSH_IJSG_SG_SG_EEES9_SI_JZNS1_25segmented_radix_sort_implINS0_14default_configELb0EPKsPsPKlPlN2at6native12_GLOBAL__N_18offset_tEEE10hipError_tPvRmT1_PNSt15iterator_traitsIS12_E10value_typeET2_T3_PNS13_IS18_E10value_typeET4_jRbjT5_S1E_jjP12ihipStream_tbEUljE_ZNSN_ISO_Lb0ESQ_SR_ST_SU_SY_EESZ_S10_S11_S12_S16_S17_S18_S1B_S1C_jS1D_jS1E_S1E_jjS1G_bEUljE0_EEESZ_S10_S11_S18_S1C_S1E_T6_T7_T9_mT8_S1G_bDpT10_ENKUlT_T0_E_clISt17integral_constantIbLb1EES1U_EEDaS1P_S1Q_EUlS1P_E_NS1_11comp_targetILNS1_3genE8ELNS1_11target_archE1030ELNS1_3gpuE2ELNS1_3repE0EEENS1_30default_config_static_selectorELNS0_4arch9wavefront6targetE0EEEvS12_ ; -- Begin function _ZN7rocprim17ROCPRIM_400000_NS6detail17trampoline_kernelINS0_13select_configILj256ELj13ELNS0_17block_load_methodE3ELS4_3ELS4_3ELNS0_20block_scan_algorithmE0ELj4294967295EEENS1_25partition_config_selectorILNS1_17partition_subalgoE4EjNS0_10empty_typeEbEEZZNS1_14partition_implILS8_4ELb0ES6_15HIP_vector_typeIjLj2EENS0_17counting_iteratorIjlEEPS9_SG_NS0_5tupleIJPjSI_NS0_16reverse_iteratorISI_EEEEENSH_IJSG_SG_SG_EEES9_SI_JZNS1_25segmented_radix_sort_implINS0_14default_configELb0EPKsPsPKlPlN2at6native12_GLOBAL__N_18offset_tEEE10hipError_tPvRmT1_PNSt15iterator_traitsIS12_E10value_typeET2_T3_PNS13_IS18_E10value_typeET4_jRbjT5_S1E_jjP12ihipStream_tbEUljE_ZNSN_ISO_Lb0ESQ_SR_ST_SU_SY_EESZ_S10_S11_S12_S16_S17_S18_S1B_S1C_jS1D_jS1E_S1E_jjS1G_bEUljE0_EEESZ_S10_S11_S18_S1C_S1E_T6_T7_T9_mT8_S1G_bDpT10_ENKUlT_T0_E_clISt17integral_constantIbLb1EES1U_EEDaS1P_S1Q_EUlS1P_E_NS1_11comp_targetILNS1_3genE8ELNS1_11target_archE1030ELNS1_3gpuE2ELNS1_3repE0EEENS1_30default_config_static_selectorELNS0_4arch9wavefront6targetE0EEEvS12_
	.p2align	8
	.type	_ZN7rocprim17ROCPRIM_400000_NS6detail17trampoline_kernelINS0_13select_configILj256ELj13ELNS0_17block_load_methodE3ELS4_3ELS4_3ELNS0_20block_scan_algorithmE0ELj4294967295EEENS1_25partition_config_selectorILNS1_17partition_subalgoE4EjNS0_10empty_typeEbEEZZNS1_14partition_implILS8_4ELb0ES6_15HIP_vector_typeIjLj2EENS0_17counting_iteratorIjlEEPS9_SG_NS0_5tupleIJPjSI_NS0_16reverse_iteratorISI_EEEEENSH_IJSG_SG_SG_EEES9_SI_JZNS1_25segmented_radix_sort_implINS0_14default_configELb0EPKsPsPKlPlN2at6native12_GLOBAL__N_18offset_tEEE10hipError_tPvRmT1_PNSt15iterator_traitsIS12_E10value_typeET2_T3_PNS13_IS18_E10value_typeET4_jRbjT5_S1E_jjP12ihipStream_tbEUljE_ZNSN_ISO_Lb0ESQ_SR_ST_SU_SY_EESZ_S10_S11_S12_S16_S17_S18_S1B_S1C_jS1D_jS1E_S1E_jjS1G_bEUljE0_EEESZ_S10_S11_S18_S1C_S1E_T6_T7_T9_mT8_S1G_bDpT10_ENKUlT_T0_E_clISt17integral_constantIbLb1EES1U_EEDaS1P_S1Q_EUlS1P_E_NS1_11comp_targetILNS1_3genE8ELNS1_11target_archE1030ELNS1_3gpuE2ELNS1_3repE0EEENS1_30default_config_static_selectorELNS0_4arch9wavefront6targetE0EEEvS12_,@function
_ZN7rocprim17ROCPRIM_400000_NS6detail17trampoline_kernelINS0_13select_configILj256ELj13ELNS0_17block_load_methodE3ELS4_3ELS4_3ELNS0_20block_scan_algorithmE0ELj4294967295EEENS1_25partition_config_selectorILNS1_17partition_subalgoE4EjNS0_10empty_typeEbEEZZNS1_14partition_implILS8_4ELb0ES6_15HIP_vector_typeIjLj2EENS0_17counting_iteratorIjlEEPS9_SG_NS0_5tupleIJPjSI_NS0_16reverse_iteratorISI_EEEEENSH_IJSG_SG_SG_EEES9_SI_JZNS1_25segmented_radix_sort_implINS0_14default_configELb0EPKsPsPKlPlN2at6native12_GLOBAL__N_18offset_tEEE10hipError_tPvRmT1_PNSt15iterator_traitsIS12_E10value_typeET2_T3_PNS13_IS18_E10value_typeET4_jRbjT5_S1E_jjP12ihipStream_tbEUljE_ZNSN_ISO_Lb0ESQ_SR_ST_SU_SY_EESZ_S10_S11_S12_S16_S17_S18_S1B_S1C_jS1D_jS1E_S1E_jjS1G_bEUljE0_EEESZ_S10_S11_S18_S1C_S1E_T6_T7_T9_mT8_S1G_bDpT10_ENKUlT_T0_E_clISt17integral_constantIbLb1EES1U_EEDaS1P_S1Q_EUlS1P_E_NS1_11comp_targetILNS1_3genE8ELNS1_11target_archE1030ELNS1_3gpuE2ELNS1_3repE0EEENS1_30default_config_static_selectorELNS0_4arch9wavefront6targetE0EEEvS12_: ; @_ZN7rocprim17ROCPRIM_400000_NS6detail17trampoline_kernelINS0_13select_configILj256ELj13ELNS0_17block_load_methodE3ELS4_3ELS4_3ELNS0_20block_scan_algorithmE0ELj4294967295EEENS1_25partition_config_selectorILNS1_17partition_subalgoE4EjNS0_10empty_typeEbEEZZNS1_14partition_implILS8_4ELb0ES6_15HIP_vector_typeIjLj2EENS0_17counting_iteratorIjlEEPS9_SG_NS0_5tupleIJPjSI_NS0_16reverse_iteratorISI_EEEEENSH_IJSG_SG_SG_EEES9_SI_JZNS1_25segmented_radix_sort_implINS0_14default_configELb0EPKsPsPKlPlN2at6native12_GLOBAL__N_18offset_tEEE10hipError_tPvRmT1_PNSt15iterator_traitsIS12_E10value_typeET2_T3_PNS13_IS18_E10value_typeET4_jRbjT5_S1E_jjP12ihipStream_tbEUljE_ZNSN_ISO_Lb0ESQ_SR_ST_SU_SY_EESZ_S10_S11_S12_S16_S17_S18_S1B_S1C_jS1D_jS1E_S1E_jjS1G_bEUljE0_EEESZ_S10_S11_S18_S1C_S1E_T6_T7_T9_mT8_S1G_bDpT10_ENKUlT_T0_E_clISt17integral_constantIbLb1EES1U_EEDaS1P_S1Q_EUlS1P_E_NS1_11comp_targetILNS1_3genE8ELNS1_11target_archE1030ELNS1_3gpuE2ELNS1_3repE0EEENS1_30default_config_static_selectorELNS0_4arch9wavefront6targetE0EEEvS12_
; %bb.0:
	.section	.rodata,"a",@progbits
	.p2align	6, 0x0
	.amdhsa_kernel _ZN7rocprim17ROCPRIM_400000_NS6detail17trampoline_kernelINS0_13select_configILj256ELj13ELNS0_17block_load_methodE3ELS4_3ELS4_3ELNS0_20block_scan_algorithmE0ELj4294967295EEENS1_25partition_config_selectorILNS1_17partition_subalgoE4EjNS0_10empty_typeEbEEZZNS1_14partition_implILS8_4ELb0ES6_15HIP_vector_typeIjLj2EENS0_17counting_iteratorIjlEEPS9_SG_NS0_5tupleIJPjSI_NS0_16reverse_iteratorISI_EEEEENSH_IJSG_SG_SG_EEES9_SI_JZNS1_25segmented_radix_sort_implINS0_14default_configELb0EPKsPsPKlPlN2at6native12_GLOBAL__N_18offset_tEEE10hipError_tPvRmT1_PNSt15iterator_traitsIS12_E10value_typeET2_T3_PNS13_IS18_E10value_typeET4_jRbjT5_S1E_jjP12ihipStream_tbEUljE_ZNSN_ISO_Lb0ESQ_SR_ST_SU_SY_EESZ_S10_S11_S12_S16_S17_S18_S1B_S1C_jS1D_jS1E_S1E_jjS1G_bEUljE0_EEESZ_S10_S11_S18_S1C_S1E_T6_T7_T9_mT8_S1G_bDpT10_ENKUlT_T0_E_clISt17integral_constantIbLb1EES1U_EEDaS1P_S1Q_EUlS1P_E_NS1_11comp_targetILNS1_3genE8ELNS1_11target_archE1030ELNS1_3gpuE2ELNS1_3repE0EEENS1_30default_config_static_selectorELNS0_4arch9wavefront6targetE0EEEvS12_
		.amdhsa_group_segment_fixed_size 0
		.amdhsa_private_segment_fixed_size 0
		.amdhsa_kernarg_size 184
		.amdhsa_user_sgpr_count 2
		.amdhsa_user_sgpr_dispatch_ptr 0
		.amdhsa_user_sgpr_queue_ptr 0
		.amdhsa_user_sgpr_kernarg_segment_ptr 1
		.amdhsa_user_sgpr_dispatch_id 0
		.amdhsa_user_sgpr_kernarg_preload_length 0
		.amdhsa_user_sgpr_kernarg_preload_offset 0
		.amdhsa_user_sgpr_private_segment_size 0
		.amdhsa_wavefront_size32 1
		.amdhsa_uses_dynamic_stack 0
		.amdhsa_enable_private_segment 0
		.amdhsa_system_sgpr_workgroup_id_x 1
		.amdhsa_system_sgpr_workgroup_id_y 0
		.amdhsa_system_sgpr_workgroup_id_z 0
		.amdhsa_system_sgpr_workgroup_info 0
		.amdhsa_system_vgpr_workitem_id 0
		.amdhsa_next_free_vgpr 1
		.amdhsa_next_free_sgpr 1
		.amdhsa_named_barrier_count 0
		.amdhsa_reserve_vcc 0
		.amdhsa_float_round_mode_32 0
		.amdhsa_float_round_mode_16_64 0
		.amdhsa_float_denorm_mode_32 3
		.amdhsa_float_denorm_mode_16_64 3
		.amdhsa_fp16_overflow 0
		.amdhsa_memory_ordered 1
		.amdhsa_forward_progress 1
		.amdhsa_inst_pref_size 0
		.amdhsa_round_robin_scheduling 0
		.amdhsa_exception_fp_ieee_invalid_op 0
		.amdhsa_exception_fp_denorm_src 0
		.amdhsa_exception_fp_ieee_div_zero 0
		.amdhsa_exception_fp_ieee_overflow 0
		.amdhsa_exception_fp_ieee_underflow 0
		.amdhsa_exception_fp_ieee_inexact 0
		.amdhsa_exception_int_div_zero 0
	.end_amdhsa_kernel
	.section	.text._ZN7rocprim17ROCPRIM_400000_NS6detail17trampoline_kernelINS0_13select_configILj256ELj13ELNS0_17block_load_methodE3ELS4_3ELS4_3ELNS0_20block_scan_algorithmE0ELj4294967295EEENS1_25partition_config_selectorILNS1_17partition_subalgoE4EjNS0_10empty_typeEbEEZZNS1_14partition_implILS8_4ELb0ES6_15HIP_vector_typeIjLj2EENS0_17counting_iteratorIjlEEPS9_SG_NS0_5tupleIJPjSI_NS0_16reverse_iteratorISI_EEEEENSH_IJSG_SG_SG_EEES9_SI_JZNS1_25segmented_radix_sort_implINS0_14default_configELb0EPKsPsPKlPlN2at6native12_GLOBAL__N_18offset_tEEE10hipError_tPvRmT1_PNSt15iterator_traitsIS12_E10value_typeET2_T3_PNS13_IS18_E10value_typeET4_jRbjT5_S1E_jjP12ihipStream_tbEUljE_ZNSN_ISO_Lb0ESQ_SR_ST_SU_SY_EESZ_S10_S11_S12_S16_S17_S18_S1B_S1C_jS1D_jS1E_S1E_jjS1G_bEUljE0_EEESZ_S10_S11_S18_S1C_S1E_T6_T7_T9_mT8_S1G_bDpT10_ENKUlT_T0_E_clISt17integral_constantIbLb1EES1U_EEDaS1P_S1Q_EUlS1P_E_NS1_11comp_targetILNS1_3genE8ELNS1_11target_archE1030ELNS1_3gpuE2ELNS1_3repE0EEENS1_30default_config_static_selectorELNS0_4arch9wavefront6targetE0EEEvS12_,"axG",@progbits,_ZN7rocprim17ROCPRIM_400000_NS6detail17trampoline_kernelINS0_13select_configILj256ELj13ELNS0_17block_load_methodE3ELS4_3ELS4_3ELNS0_20block_scan_algorithmE0ELj4294967295EEENS1_25partition_config_selectorILNS1_17partition_subalgoE4EjNS0_10empty_typeEbEEZZNS1_14partition_implILS8_4ELb0ES6_15HIP_vector_typeIjLj2EENS0_17counting_iteratorIjlEEPS9_SG_NS0_5tupleIJPjSI_NS0_16reverse_iteratorISI_EEEEENSH_IJSG_SG_SG_EEES9_SI_JZNS1_25segmented_radix_sort_implINS0_14default_configELb0EPKsPsPKlPlN2at6native12_GLOBAL__N_18offset_tEEE10hipError_tPvRmT1_PNSt15iterator_traitsIS12_E10value_typeET2_T3_PNS13_IS18_E10value_typeET4_jRbjT5_S1E_jjP12ihipStream_tbEUljE_ZNSN_ISO_Lb0ESQ_SR_ST_SU_SY_EESZ_S10_S11_S12_S16_S17_S18_S1B_S1C_jS1D_jS1E_S1E_jjS1G_bEUljE0_EEESZ_S10_S11_S18_S1C_S1E_T6_T7_T9_mT8_S1G_bDpT10_ENKUlT_T0_E_clISt17integral_constantIbLb1EES1U_EEDaS1P_S1Q_EUlS1P_E_NS1_11comp_targetILNS1_3genE8ELNS1_11target_archE1030ELNS1_3gpuE2ELNS1_3repE0EEENS1_30default_config_static_selectorELNS0_4arch9wavefront6targetE0EEEvS12_,comdat
.Lfunc_end960:
	.size	_ZN7rocprim17ROCPRIM_400000_NS6detail17trampoline_kernelINS0_13select_configILj256ELj13ELNS0_17block_load_methodE3ELS4_3ELS4_3ELNS0_20block_scan_algorithmE0ELj4294967295EEENS1_25partition_config_selectorILNS1_17partition_subalgoE4EjNS0_10empty_typeEbEEZZNS1_14partition_implILS8_4ELb0ES6_15HIP_vector_typeIjLj2EENS0_17counting_iteratorIjlEEPS9_SG_NS0_5tupleIJPjSI_NS0_16reverse_iteratorISI_EEEEENSH_IJSG_SG_SG_EEES9_SI_JZNS1_25segmented_radix_sort_implINS0_14default_configELb0EPKsPsPKlPlN2at6native12_GLOBAL__N_18offset_tEEE10hipError_tPvRmT1_PNSt15iterator_traitsIS12_E10value_typeET2_T3_PNS13_IS18_E10value_typeET4_jRbjT5_S1E_jjP12ihipStream_tbEUljE_ZNSN_ISO_Lb0ESQ_SR_ST_SU_SY_EESZ_S10_S11_S12_S16_S17_S18_S1B_S1C_jS1D_jS1E_S1E_jjS1G_bEUljE0_EEESZ_S10_S11_S18_S1C_S1E_T6_T7_T9_mT8_S1G_bDpT10_ENKUlT_T0_E_clISt17integral_constantIbLb1EES1U_EEDaS1P_S1Q_EUlS1P_E_NS1_11comp_targetILNS1_3genE8ELNS1_11target_archE1030ELNS1_3gpuE2ELNS1_3repE0EEENS1_30default_config_static_selectorELNS0_4arch9wavefront6targetE0EEEvS12_, .Lfunc_end960-_ZN7rocprim17ROCPRIM_400000_NS6detail17trampoline_kernelINS0_13select_configILj256ELj13ELNS0_17block_load_methodE3ELS4_3ELS4_3ELNS0_20block_scan_algorithmE0ELj4294967295EEENS1_25partition_config_selectorILNS1_17partition_subalgoE4EjNS0_10empty_typeEbEEZZNS1_14partition_implILS8_4ELb0ES6_15HIP_vector_typeIjLj2EENS0_17counting_iteratorIjlEEPS9_SG_NS0_5tupleIJPjSI_NS0_16reverse_iteratorISI_EEEEENSH_IJSG_SG_SG_EEES9_SI_JZNS1_25segmented_radix_sort_implINS0_14default_configELb0EPKsPsPKlPlN2at6native12_GLOBAL__N_18offset_tEEE10hipError_tPvRmT1_PNSt15iterator_traitsIS12_E10value_typeET2_T3_PNS13_IS18_E10value_typeET4_jRbjT5_S1E_jjP12ihipStream_tbEUljE_ZNSN_ISO_Lb0ESQ_SR_ST_SU_SY_EESZ_S10_S11_S12_S16_S17_S18_S1B_S1C_jS1D_jS1E_S1E_jjS1G_bEUljE0_EEESZ_S10_S11_S18_S1C_S1E_T6_T7_T9_mT8_S1G_bDpT10_ENKUlT_T0_E_clISt17integral_constantIbLb1EES1U_EEDaS1P_S1Q_EUlS1P_E_NS1_11comp_targetILNS1_3genE8ELNS1_11target_archE1030ELNS1_3gpuE2ELNS1_3repE0EEENS1_30default_config_static_selectorELNS0_4arch9wavefront6targetE0EEEvS12_
                                        ; -- End function
	.set _ZN7rocprim17ROCPRIM_400000_NS6detail17trampoline_kernelINS0_13select_configILj256ELj13ELNS0_17block_load_methodE3ELS4_3ELS4_3ELNS0_20block_scan_algorithmE0ELj4294967295EEENS1_25partition_config_selectorILNS1_17partition_subalgoE4EjNS0_10empty_typeEbEEZZNS1_14partition_implILS8_4ELb0ES6_15HIP_vector_typeIjLj2EENS0_17counting_iteratorIjlEEPS9_SG_NS0_5tupleIJPjSI_NS0_16reverse_iteratorISI_EEEEENSH_IJSG_SG_SG_EEES9_SI_JZNS1_25segmented_radix_sort_implINS0_14default_configELb0EPKsPsPKlPlN2at6native12_GLOBAL__N_18offset_tEEE10hipError_tPvRmT1_PNSt15iterator_traitsIS12_E10value_typeET2_T3_PNS13_IS18_E10value_typeET4_jRbjT5_S1E_jjP12ihipStream_tbEUljE_ZNSN_ISO_Lb0ESQ_SR_ST_SU_SY_EESZ_S10_S11_S12_S16_S17_S18_S1B_S1C_jS1D_jS1E_S1E_jjS1G_bEUljE0_EEESZ_S10_S11_S18_S1C_S1E_T6_T7_T9_mT8_S1G_bDpT10_ENKUlT_T0_E_clISt17integral_constantIbLb1EES1U_EEDaS1P_S1Q_EUlS1P_E_NS1_11comp_targetILNS1_3genE8ELNS1_11target_archE1030ELNS1_3gpuE2ELNS1_3repE0EEENS1_30default_config_static_selectorELNS0_4arch9wavefront6targetE0EEEvS12_.num_vgpr, 0
	.set _ZN7rocprim17ROCPRIM_400000_NS6detail17trampoline_kernelINS0_13select_configILj256ELj13ELNS0_17block_load_methodE3ELS4_3ELS4_3ELNS0_20block_scan_algorithmE0ELj4294967295EEENS1_25partition_config_selectorILNS1_17partition_subalgoE4EjNS0_10empty_typeEbEEZZNS1_14partition_implILS8_4ELb0ES6_15HIP_vector_typeIjLj2EENS0_17counting_iteratorIjlEEPS9_SG_NS0_5tupleIJPjSI_NS0_16reverse_iteratorISI_EEEEENSH_IJSG_SG_SG_EEES9_SI_JZNS1_25segmented_radix_sort_implINS0_14default_configELb0EPKsPsPKlPlN2at6native12_GLOBAL__N_18offset_tEEE10hipError_tPvRmT1_PNSt15iterator_traitsIS12_E10value_typeET2_T3_PNS13_IS18_E10value_typeET4_jRbjT5_S1E_jjP12ihipStream_tbEUljE_ZNSN_ISO_Lb0ESQ_SR_ST_SU_SY_EESZ_S10_S11_S12_S16_S17_S18_S1B_S1C_jS1D_jS1E_S1E_jjS1G_bEUljE0_EEESZ_S10_S11_S18_S1C_S1E_T6_T7_T9_mT8_S1G_bDpT10_ENKUlT_T0_E_clISt17integral_constantIbLb1EES1U_EEDaS1P_S1Q_EUlS1P_E_NS1_11comp_targetILNS1_3genE8ELNS1_11target_archE1030ELNS1_3gpuE2ELNS1_3repE0EEENS1_30default_config_static_selectorELNS0_4arch9wavefront6targetE0EEEvS12_.num_agpr, 0
	.set _ZN7rocprim17ROCPRIM_400000_NS6detail17trampoline_kernelINS0_13select_configILj256ELj13ELNS0_17block_load_methodE3ELS4_3ELS4_3ELNS0_20block_scan_algorithmE0ELj4294967295EEENS1_25partition_config_selectorILNS1_17partition_subalgoE4EjNS0_10empty_typeEbEEZZNS1_14partition_implILS8_4ELb0ES6_15HIP_vector_typeIjLj2EENS0_17counting_iteratorIjlEEPS9_SG_NS0_5tupleIJPjSI_NS0_16reverse_iteratorISI_EEEEENSH_IJSG_SG_SG_EEES9_SI_JZNS1_25segmented_radix_sort_implINS0_14default_configELb0EPKsPsPKlPlN2at6native12_GLOBAL__N_18offset_tEEE10hipError_tPvRmT1_PNSt15iterator_traitsIS12_E10value_typeET2_T3_PNS13_IS18_E10value_typeET4_jRbjT5_S1E_jjP12ihipStream_tbEUljE_ZNSN_ISO_Lb0ESQ_SR_ST_SU_SY_EESZ_S10_S11_S12_S16_S17_S18_S1B_S1C_jS1D_jS1E_S1E_jjS1G_bEUljE0_EEESZ_S10_S11_S18_S1C_S1E_T6_T7_T9_mT8_S1G_bDpT10_ENKUlT_T0_E_clISt17integral_constantIbLb1EES1U_EEDaS1P_S1Q_EUlS1P_E_NS1_11comp_targetILNS1_3genE8ELNS1_11target_archE1030ELNS1_3gpuE2ELNS1_3repE0EEENS1_30default_config_static_selectorELNS0_4arch9wavefront6targetE0EEEvS12_.numbered_sgpr, 0
	.set _ZN7rocprim17ROCPRIM_400000_NS6detail17trampoline_kernelINS0_13select_configILj256ELj13ELNS0_17block_load_methodE3ELS4_3ELS4_3ELNS0_20block_scan_algorithmE0ELj4294967295EEENS1_25partition_config_selectorILNS1_17partition_subalgoE4EjNS0_10empty_typeEbEEZZNS1_14partition_implILS8_4ELb0ES6_15HIP_vector_typeIjLj2EENS0_17counting_iteratorIjlEEPS9_SG_NS0_5tupleIJPjSI_NS0_16reverse_iteratorISI_EEEEENSH_IJSG_SG_SG_EEES9_SI_JZNS1_25segmented_radix_sort_implINS0_14default_configELb0EPKsPsPKlPlN2at6native12_GLOBAL__N_18offset_tEEE10hipError_tPvRmT1_PNSt15iterator_traitsIS12_E10value_typeET2_T3_PNS13_IS18_E10value_typeET4_jRbjT5_S1E_jjP12ihipStream_tbEUljE_ZNSN_ISO_Lb0ESQ_SR_ST_SU_SY_EESZ_S10_S11_S12_S16_S17_S18_S1B_S1C_jS1D_jS1E_S1E_jjS1G_bEUljE0_EEESZ_S10_S11_S18_S1C_S1E_T6_T7_T9_mT8_S1G_bDpT10_ENKUlT_T0_E_clISt17integral_constantIbLb1EES1U_EEDaS1P_S1Q_EUlS1P_E_NS1_11comp_targetILNS1_3genE8ELNS1_11target_archE1030ELNS1_3gpuE2ELNS1_3repE0EEENS1_30default_config_static_selectorELNS0_4arch9wavefront6targetE0EEEvS12_.num_named_barrier, 0
	.set _ZN7rocprim17ROCPRIM_400000_NS6detail17trampoline_kernelINS0_13select_configILj256ELj13ELNS0_17block_load_methodE3ELS4_3ELS4_3ELNS0_20block_scan_algorithmE0ELj4294967295EEENS1_25partition_config_selectorILNS1_17partition_subalgoE4EjNS0_10empty_typeEbEEZZNS1_14partition_implILS8_4ELb0ES6_15HIP_vector_typeIjLj2EENS0_17counting_iteratorIjlEEPS9_SG_NS0_5tupleIJPjSI_NS0_16reverse_iteratorISI_EEEEENSH_IJSG_SG_SG_EEES9_SI_JZNS1_25segmented_radix_sort_implINS0_14default_configELb0EPKsPsPKlPlN2at6native12_GLOBAL__N_18offset_tEEE10hipError_tPvRmT1_PNSt15iterator_traitsIS12_E10value_typeET2_T3_PNS13_IS18_E10value_typeET4_jRbjT5_S1E_jjP12ihipStream_tbEUljE_ZNSN_ISO_Lb0ESQ_SR_ST_SU_SY_EESZ_S10_S11_S12_S16_S17_S18_S1B_S1C_jS1D_jS1E_S1E_jjS1G_bEUljE0_EEESZ_S10_S11_S18_S1C_S1E_T6_T7_T9_mT8_S1G_bDpT10_ENKUlT_T0_E_clISt17integral_constantIbLb1EES1U_EEDaS1P_S1Q_EUlS1P_E_NS1_11comp_targetILNS1_3genE8ELNS1_11target_archE1030ELNS1_3gpuE2ELNS1_3repE0EEENS1_30default_config_static_selectorELNS0_4arch9wavefront6targetE0EEEvS12_.private_seg_size, 0
	.set _ZN7rocprim17ROCPRIM_400000_NS6detail17trampoline_kernelINS0_13select_configILj256ELj13ELNS0_17block_load_methodE3ELS4_3ELS4_3ELNS0_20block_scan_algorithmE0ELj4294967295EEENS1_25partition_config_selectorILNS1_17partition_subalgoE4EjNS0_10empty_typeEbEEZZNS1_14partition_implILS8_4ELb0ES6_15HIP_vector_typeIjLj2EENS0_17counting_iteratorIjlEEPS9_SG_NS0_5tupleIJPjSI_NS0_16reverse_iteratorISI_EEEEENSH_IJSG_SG_SG_EEES9_SI_JZNS1_25segmented_radix_sort_implINS0_14default_configELb0EPKsPsPKlPlN2at6native12_GLOBAL__N_18offset_tEEE10hipError_tPvRmT1_PNSt15iterator_traitsIS12_E10value_typeET2_T3_PNS13_IS18_E10value_typeET4_jRbjT5_S1E_jjP12ihipStream_tbEUljE_ZNSN_ISO_Lb0ESQ_SR_ST_SU_SY_EESZ_S10_S11_S12_S16_S17_S18_S1B_S1C_jS1D_jS1E_S1E_jjS1G_bEUljE0_EEESZ_S10_S11_S18_S1C_S1E_T6_T7_T9_mT8_S1G_bDpT10_ENKUlT_T0_E_clISt17integral_constantIbLb1EES1U_EEDaS1P_S1Q_EUlS1P_E_NS1_11comp_targetILNS1_3genE8ELNS1_11target_archE1030ELNS1_3gpuE2ELNS1_3repE0EEENS1_30default_config_static_selectorELNS0_4arch9wavefront6targetE0EEEvS12_.uses_vcc, 0
	.set _ZN7rocprim17ROCPRIM_400000_NS6detail17trampoline_kernelINS0_13select_configILj256ELj13ELNS0_17block_load_methodE3ELS4_3ELS4_3ELNS0_20block_scan_algorithmE0ELj4294967295EEENS1_25partition_config_selectorILNS1_17partition_subalgoE4EjNS0_10empty_typeEbEEZZNS1_14partition_implILS8_4ELb0ES6_15HIP_vector_typeIjLj2EENS0_17counting_iteratorIjlEEPS9_SG_NS0_5tupleIJPjSI_NS0_16reverse_iteratorISI_EEEEENSH_IJSG_SG_SG_EEES9_SI_JZNS1_25segmented_radix_sort_implINS0_14default_configELb0EPKsPsPKlPlN2at6native12_GLOBAL__N_18offset_tEEE10hipError_tPvRmT1_PNSt15iterator_traitsIS12_E10value_typeET2_T3_PNS13_IS18_E10value_typeET4_jRbjT5_S1E_jjP12ihipStream_tbEUljE_ZNSN_ISO_Lb0ESQ_SR_ST_SU_SY_EESZ_S10_S11_S12_S16_S17_S18_S1B_S1C_jS1D_jS1E_S1E_jjS1G_bEUljE0_EEESZ_S10_S11_S18_S1C_S1E_T6_T7_T9_mT8_S1G_bDpT10_ENKUlT_T0_E_clISt17integral_constantIbLb1EES1U_EEDaS1P_S1Q_EUlS1P_E_NS1_11comp_targetILNS1_3genE8ELNS1_11target_archE1030ELNS1_3gpuE2ELNS1_3repE0EEENS1_30default_config_static_selectorELNS0_4arch9wavefront6targetE0EEEvS12_.uses_flat_scratch, 0
	.set _ZN7rocprim17ROCPRIM_400000_NS6detail17trampoline_kernelINS0_13select_configILj256ELj13ELNS0_17block_load_methodE3ELS4_3ELS4_3ELNS0_20block_scan_algorithmE0ELj4294967295EEENS1_25partition_config_selectorILNS1_17partition_subalgoE4EjNS0_10empty_typeEbEEZZNS1_14partition_implILS8_4ELb0ES6_15HIP_vector_typeIjLj2EENS0_17counting_iteratorIjlEEPS9_SG_NS0_5tupleIJPjSI_NS0_16reverse_iteratorISI_EEEEENSH_IJSG_SG_SG_EEES9_SI_JZNS1_25segmented_radix_sort_implINS0_14default_configELb0EPKsPsPKlPlN2at6native12_GLOBAL__N_18offset_tEEE10hipError_tPvRmT1_PNSt15iterator_traitsIS12_E10value_typeET2_T3_PNS13_IS18_E10value_typeET4_jRbjT5_S1E_jjP12ihipStream_tbEUljE_ZNSN_ISO_Lb0ESQ_SR_ST_SU_SY_EESZ_S10_S11_S12_S16_S17_S18_S1B_S1C_jS1D_jS1E_S1E_jjS1G_bEUljE0_EEESZ_S10_S11_S18_S1C_S1E_T6_T7_T9_mT8_S1G_bDpT10_ENKUlT_T0_E_clISt17integral_constantIbLb1EES1U_EEDaS1P_S1Q_EUlS1P_E_NS1_11comp_targetILNS1_3genE8ELNS1_11target_archE1030ELNS1_3gpuE2ELNS1_3repE0EEENS1_30default_config_static_selectorELNS0_4arch9wavefront6targetE0EEEvS12_.has_dyn_sized_stack, 0
	.set _ZN7rocprim17ROCPRIM_400000_NS6detail17trampoline_kernelINS0_13select_configILj256ELj13ELNS0_17block_load_methodE3ELS4_3ELS4_3ELNS0_20block_scan_algorithmE0ELj4294967295EEENS1_25partition_config_selectorILNS1_17partition_subalgoE4EjNS0_10empty_typeEbEEZZNS1_14partition_implILS8_4ELb0ES6_15HIP_vector_typeIjLj2EENS0_17counting_iteratorIjlEEPS9_SG_NS0_5tupleIJPjSI_NS0_16reverse_iteratorISI_EEEEENSH_IJSG_SG_SG_EEES9_SI_JZNS1_25segmented_radix_sort_implINS0_14default_configELb0EPKsPsPKlPlN2at6native12_GLOBAL__N_18offset_tEEE10hipError_tPvRmT1_PNSt15iterator_traitsIS12_E10value_typeET2_T3_PNS13_IS18_E10value_typeET4_jRbjT5_S1E_jjP12ihipStream_tbEUljE_ZNSN_ISO_Lb0ESQ_SR_ST_SU_SY_EESZ_S10_S11_S12_S16_S17_S18_S1B_S1C_jS1D_jS1E_S1E_jjS1G_bEUljE0_EEESZ_S10_S11_S18_S1C_S1E_T6_T7_T9_mT8_S1G_bDpT10_ENKUlT_T0_E_clISt17integral_constantIbLb1EES1U_EEDaS1P_S1Q_EUlS1P_E_NS1_11comp_targetILNS1_3genE8ELNS1_11target_archE1030ELNS1_3gpuE2ELNS1_3repE0EEENS1_30default_config_static_selectorELNS0_4arch9wavefront6targetE0EEEvS12_.has_recursion, 0
	.set _ZN7rocprim17ROCPRIM_400000_NS6detail17trampoline_kernelINS0_13select_configILj256ELj13ELNS0_17block_load_methodE3ELS4_3ELS4_3ELNS0_20block_scan_algorithmE0ELj4294967295EEENS1_25partition_config_selectorILNS1_17partition_subalgoE4EjNS0_10empty_typeEbEEZZNS1_14partition_implILS8_4ELb0ES6_15HIP_vector_typeIjLj2EENS0_17counting_iteratorIjlEEPS9_SG_NS0_5tupleIJPjSI_NS0_16reverse_iteratorISI_EEEEENSH_IJSG_SG_SG_EEES9_SI_JZNS1_25segmented_radix_sort_implINS0_14default_configELb0EPKsPsPKlPlN2at6native12_GLOBAL__N_18offset_tEEE10hipError_tPvRmT1_PNSt15iterator_traitsIS12_E10value_typeET2_T3_PNS13_IS18_E10value_typeET4_jRbjT5_S1E_jjP12ihipStream_tbEUljE_ZNSN_ISO_Lb0ESQ_SR_ST_SU_SY_EESZ_S10_S11_S12_S16_S17_S18_S1B_S1C_jS1D_jS1E_S1E_jjS1G_bEUljE0_EEESZ_S10_S11_S18_S1C_S1E_T6_T7_T9_mT8_S1G_bDpT10_ENKUlT_T0_E_clISt17integral_constantIbLb1EES1U_EEDaS1P_S1Q_EUlS1P_E_NS1_11comp_targetILNS1_3genE8ELNS1_11target_archE1030ELNS1_3gpuE2ELNS1_3repE0EEENS1_30default_config_static_selectorELNS0_4arch9wavefront6targetE0EEEvS12_.has_indirect_call, 0
	.section	.AMDGPU.csdata,"",@progbits
; Kernel info:
; codeLenInByte = 0
; TotalNumSgprs: 0
; NumVgprs: 0
; ScratchSize: 0
; MemoryBound: 0
; FloatMode: 240
; IeeeMode: 1
; LDSByteSize: 0 bytes/workgroup (compile time only)
; SGPRBlocks: 0
; VGPRBlocks: 0
; NumSGPRsForWavesPerEU: 1
; NumVGPRsForWavesPerEU: 1
; NamedBarCnt: 0
; Occupancy: 16
; WaveLimiterHint : 0
; COMPUTE_PGM_RSRC2:SCRATCH_EN: 0
; COMPUTE_PGM_RSRC2:USER_SGPR: 2
; COMPUTE_PGM_RSRC2:TRAP_HANDLER: 0
; COMPUTE_PGM_RSRC2:TGID_X_EN: 1
; COMPUTE_PGM_RSRC2:TGID_Y_EN: 0
; COMPUTE_PGM_RSRC2:TGID_Z_EN: 0
; COMPUTE_PGM_RSRC2:TIDIG_COMP_CNT: 0
	.section	.text._ZN7rocprim17ROCPRIM_400000_NS6detail17trampoline_kernelINS0_13select_configILj256ELj13ELNS0_17block_load_methodE3ELS4_3ELS4_3ELNS0_20block_scan_algorithmE0ELj4294967295EEENS1_25partition_config_selectorILNS1_17partition_subalgoE4EjNS0_10empty_typeEbEEZZNS1_14partition_implILS8_4ELb0ES6_15HIP_vector_typeIjLj2EENS0_17counting_iteratorIjlEEPS9_SG_NS0_5tupleIJPjSI_NS0_16reverse_iteratorISI_EEEEENSH_IJSG_SG_SG_EEES9_SI_JZNS1_25segmented_radix_sort_implINS0_14default_configELb0EPKsPsPKlPlN2at6native12_GLOBAL__N_18offset_tEEE10hipError_tPvRmT1_PNSt15iterator_traitsIS12_E10value_typeET2_T3_PNS13_IS18_E10value_typeET4_jRbjT5_S1E_jjP12ihipStream_tbEUljE_ZNSN_ISO_Lb0ESQ_SR_ST_SU_SY_EESZ_S10_S11_S12_S16_S17_S18_S1B_S1C_jS1D_jS1E_S1E_jjS1G_bEUljE0_EEESZ_S10_S11_S18_S1C_S1E_T6_T7_T9_mT8_S1G_bDpT10_ENKUlT_T0_E_clISt17integral_constantIbLb1EES1T_IbLb0EEEEDaS1P_S1Q_EUlS1P_E_NS1_11comp_targetILNS1_3genE0ELNS1_11target_archE4294967295ELNS1_3gpuE0ELNS1_3repE0EEENS1_30default_config_static_selectorELNS0_4arch9wavefront6targetE0EEEvS12_,"axG",@progbits,_ZN7rocprim17ROCPRIM_400000_NS6detail17trampoline_kernelINS0_13select_configILj256ELj13ELNS0_17block_load_methodE3ELS4_3ELS4_3ELNS0_20block_scan_algorithmE0ELj4294967295EEENS1_25partition_config_selectorILNS1_17partition_subalgoE4EjNS0_10empty_typeEbEEZZNS1_14partition_implILS8_4ELb0ES6_15HIP_vector_typeIjLj2EENS0_17counting_iteratorIjlEEPS9_SG_NS0_5tupleIJPjSI_NS0_16reverse_iteratorISI_EEEEENSH_IJSG_SG_SG_EEES9_SI_JZNS1_25segmented_radix_sort_implINS0_14default_configELb0EPKsPsPKlPlN2at6native12_GLOBAL__N_18offset_tEEE10hipError_tPvRmT1_PNSt15iterator_traitsIS12_E10value_typeET2_T3_PNS13_IS18_E10value_typeET4_jRbjT5_S1E_jjP12ihipStream_tbEUljE_ZNSN_ISO_Lb0ESQ_SR_ST_SU_SY_EESZ_S10_S11_S12_S16_S17_S18_S1B_S1C_jS1D_jS1E_S1E_jjS1G_bEUljE0_EEESZ_S10_S11_S18_S1C_S1E_T6_T7_T9_mT8_S1G_bDpT10_ENKUlT_T0_E_clISt17integral_constantIbLb1EES1T_IbLb0EEEEDaS1P_S1Q_EUlS1P_E_NS1_11comp_targetILNS1_3genE0ELNS1_11target_archE4294967295ELNS1_3gpuE0ELNS1_3repE0EEENS1_30default_config_static_selectorELNS0_4arch9wavefront6targetE0EEEvS12_,comdat
	.globl	_ZN7rocprim17ROCPRIM_400000_NS6detail17trampoline_kernelINS0_13select_configILj256ELj13ELNS0_17block_load_methodE3ELS4_3ELS4_3ELNS0_20block_scan_algorithmE0ELj4294967295EEENS1_25partition_config_selectorILNS1_17partition_subalgoE4EjNS0_10empty_typeEbEEZZNS1_14partition_implILS8_4ELb0ES6_15HIP_vector_typeIjLj2EENS0_17counting_iteratorIjlEEPS9_SG_NS0_5tupleIJPjSI_NS0_16reverse_iteratorISI_EEEEENSH_IJSG_SG_SG_EEES9_SI_JZNS1_25segmented_radix_sort_implINS0_14default_configELb0EPKsPsPKlPlN2at6native12_GLOBAL__N_18offset_tEEE10hipError_tPvRmT1_PNSt15iterator_traitsIS12_E10value_typeET2_T3_PNS13_IS18_E10value_typeET4_jRbjT5_S1E_jjP12ihipStream_tbEUljE_ZNSN_ISO_Lb0ESQ_SR_ST_SU_SY_EESZ_S10_S11_S12_S16_S17_S18_S1B_S1C_jS1D_jS1E_S1E_jjS1G_bEUljE0_EEESZ_S10_S11_S18_S1C_S1E_T6_T7_T9_mT8_S1G_bDpT10_ENKUlT_T0_E_clISt17integral_constantIbLb1EES1T_IbLb0EEEEDaS1P_S1Q_EUlS1P_E_NS1_11comp_targetILNS1_3genE0ELNS1_11target_archE4294967295ELNS1_3gpuE0ELNS1_3repE0EEENS1_30default_config_static_selectorELNS0_4arch9wavefront6targetE0EEEvS12_ ; -- Begin function _ZN7rocprim17ROCPRIM_400000_NS6detail17trampoline_kernelINS0_13select_configILj256ELj13ELNS0_17block_load_methodE3ELS4_3ELS4_3ELNS0_20block_scan_algorithmE0ELj4294967295EEENS1_25partition_config_selectorILNS1_17partition_subalgoE4EjNS0_10empty_typeEbEEZZNS1_14partition_implILS8_4ELb0ES6_15HIP_vector_typeIjLj2EENS0_17counting_iteratorIjlEEPS9_SG_NS0_5tupleIJPjSI_NS0_16reverse_iteratorISI_EEEEENSH_IJSG_SG_SG_EEES9_SI_JZNS1_25segmented_radix_sort_implINS0_14default_configELb0EPKsPsPKlPlN2at6native12_GLOBAL__N_18offset_tEEE10hipError_tPvRmT1_PNSt15iterator_traitsIS12_E10value_typeET2_T3_PNS13_IS18_E10value_typeET4_jRbjT5_S1E_jjP12ihipStream_tbEUljE_ZNSN_ISO_Lb0ESQ_SR_ST_SU_SY_EESZ_S10_S11_S12_S16_S17_S18_S1B_S1C_jS1D_jS1E_S1E_jjS1G_bEUljE0_EEESZ_S10_S11_S18_S1C_S1E_T6_T7_T9_mT8_S1G_bDpT10_ENKUlT_T0_E_clISt17integral_constantIbLb1EES1T_IbLb0EEEEDaS1P_S1Q_EUlS1P_E_NS1_11comp_targetILNS1_3genE0ELNS1_11target_archE4294967295ELNS1_3gpuE0ELNS1_3repE0EEENS1_30default_config_static_selectorELNS0_4arch9wavefront6targetE0EEEvS12_
	.p2align	8
	.type	_ZN7rocprim17ROCPRIM_400000_NS6detail17trampoline_kernelINS0_13select_configILj256ELj13ELNS0_17block_load_methodE3ELS4_3ELS4_3ELNS0_20block_scan_algorithmE0ELj4294967295EEENS1_25partition_config_selectorILNS1_17partition_subalgoE4EjNS0_10empty_typeEbEEZZNS1_14partition_implILS8_4ELb0ES6_15HIP_vector_typeIjLj2EENS0_17counting_iteratorIjlEEPS9_SG_NS0_5tupleIJPjSI_NS0_16reverse_iteratorISI_EEEEENSH_IJSG_SG_SG_EEES9_SI_JZNS1_25segmented_radix_sort_implINS0_14default_configELb0EPKsPsPKlPlN2at6native12_GLOBAL__N_18offset_tEEE10hipError_tPvRmT1_PNSt15iterator_traitsIS12_E10value_typeET2_T3_PNS13_IS18_E10value_typeET4_jRbjT5_S1E_jjP12ihipStream_tbEUljE_ZNSN_ISO_Lb0ESQ_SR_ST_SU_SY_EESZ_S10_S11_S12_S16_S17_S18_S1B_S1C_jS1D_jS1E_S1E_jjS1G_bEUljE0_EEESZ_S10_S11_S18_S1C_S1E_T6_T7_T9_mT8_S1G_bDpT10_ENKUlT_T0_E_clISt17integral_constantIbLb1EES1T_IbLb0EEEEDaS1P_S1Q_EUlS1P_E_NS1_11comp_targetILNS1_3genE0ELNS1_11target_archE4294967295ELNS1_3gpuE0ELNS1_3repE0EEENS1_30default_config_static_selectorELNS0_4arch9wavefront6targetE0EEEvS12_,@function
_ZN7rocprim17ROCPRIM_400000_NS6detail17trampoline_kernelINS0_13select_configILj256ELj13ELNS0_17block_load_methodE3ELS4_3ELS4_3ELNS0_20block_scan_algorithmE0ELj4294967295EEENS1_25partition_config_selectorILNS1_17partition_subalgoE4EjNS0_10empty_typeEbEEZZNS1_14partition_implILS8_4ELb0ES6_15HIP_vector_typeIjLj2EENS0_17counting_iteratorIjlEEPS9_SG_NS0_5tupleIJPjSI_NS0_16reverse_iteratorISI_EEEEENSH_IJSG_SG_SG_EEES9_SI_JZNS1_25segmented_radix_sort_implINS0_14default_configELb0EPKsPsPKlPlN2at6native12_GLOBAL__N_18offset_tEEE10hipError_tPvRmT1_PNSt15iterator_traitsIS12_E10value_typeET2_T3_PNS13_IS18_E10value_typeET4_jRbjT5_S1E_jjP12ihipStream_tbEUljE_ZNSN_ISO_Lb0ESQ_SR_ST_SU_SY_EESZ_S10_S11_S12_S16_S17_S18_S1B_S1C_jS1D_jS1E_S1E_jjS1G_bEUljE0_EEESZ_S10_S11_S18_S1C_S1E_T6_T7_T9_mT8_S1G_bDpT10_ENKUlT_T0_E_clISt17integral_constantIbLb1EES1T_IbLb0EEEEDaS1P_S1Q_EUlS1P_E_NS1_11comp_targetILNS1_3genE0ELNS1_11target_archE4294967295ELNS1_3gpuE0ELNS1_3repE0EEENS1_30default_config_static_selectorELNS0_4arch9wavefront6targetE0EEEvS12_: ; @_ZN7rocprim17ROCPRIM_400000_NS6detail17trampoline_kernelINS0_13select_configILj256ELj13ELNS0_17block_load_methodE3ELS4_3ELS4_3ELNS0_20block_scan_algorithmE0ELj4294967295EEENS1_25partition_config_selectorILNS1_17partition_subalgoE4EjNS0_10empty_typeEbEEZZNS1_14partition_implILS8_4ELb0ES6_15HIP_vector_typeIjLj2EENS0_17counting_iteratorIjlEEPS9_SG_NS0_5tupleIJPjSI_NS0_16reverse_iteratorISI_EEEEENSH_IJSG_SG_SG_EEES9_SI_JZNS1_25segmented_radix_sort_implINS0_14default_configELb0EPKsPsPKlPlN2at6native12_GLOBAL__N_18offset_tEEE10hipError_tPvRmT1_PNSt15iterator_traitsIS12_E10value_typeET2_T3_PNS13_IS18_E10value_typeET4_jRbjT5_S1E_jjP12ihipStream_tbEUljE_ZNSN_ISO_Lb0ESQ_SR_ST_SU_SY_EESZ_S10_S11_S12_S16_S17_S18_S1B_S1C_jS1D_jS1E_S1E_jjS1G_bEUljE0_EEESZ_S10_S11_S18_S1C_S1E_T6_T7_T9_mT8_S1G_bDpT10_ENKUlT_T0_E_clISt17integral_constantIbLb1EES1T_IbLb0EEEEDaS1P_S1Q_EUlS1P_E_NS1_11comp_targetILNS1_3genE0ELNS1_11target_archE4294967295ELNS1_3gpuE0ELNS1_3repE0EEENS1_30default_config_static_selectorELNS0_4arch9wavefront6targetE0EEEvS12_
; %bb.0:
	s_endpgm
	.section	.rodata,"a",@progbits
	.p2align	6, 0x0
	.amdhsa_kernel _ZN7rocprim17ROCPRIM_400000_NS6detail17trampoline_kernelINS0_13select_configILj256ELj13ELNS0_17block_load_methodE3ELS4_3ELS4_3ELNS0_20block_scan_algorithmE0ELj4294967295EEENS1_25partition_config_selectorILNS1_17partition_subalgoE4EjNS0_10empty_typeEbEEZZNS1_14partition_implILS8_4ELb0ES6_15HIP_vector_typeIjLj2EENS0_17counting_iteratorIjlEEPS9_SG_NS0_5tupleIJPjSI_NS0_16reverse_iteratorISI_EEEEENSH_IJSG_SG_SG_EEES9_SI_JZNS1_25segmented_radix_sort_implINS0_14default_configELb0EPKsPsPKlPlN2at6native12_GLOBAL__N_18offset_tEEE10hipError_tPvRmT1_PNSt15iterator_traitsIS12_E10value_typeET2_T3_PNS13_IS18_E10value_typeET4_jRbjT5_S1E_jjP12ihipStream_tbEUljE_ZNSN_ISO_Lb0ESQ_SR_ST_SU_SY_EESZ_S10_S11_S12_S16_S17_S18_S1B_S1C_jS1D_jS1E_S1E_jjS1G_bEUljE0_EEESZ_S10_S11_S18_S1C_S1E_T6_T7_T9_mT8_S1G_bDpT10_ENKUlT_T0_E_clISt17integral_constantIbLb1EES1T_IbLb0EEEEDaS1P_S1Q_EUlS1P_E_NS1_11comp_targetILNS1_3genE0ELNS1_11target_archE4294967295ELNS1_3gpuE0ELNS1_3repE0EEENS1_30default_config_static_selectorELNS0_4arch9wavefront6targetE0EEEvS12_
		.amdhsa_group_segment_fixed_size 0
		.amdhsa_private_segment_fixed_size 0
		.amdhsa_kernarg_size 176
		.amdhsa_user_sgpr_count 2
		.amdhsa_user_sgpr_dispatch_ptr 0
		.amdhsa_user_sgpr_queue_ptr 0
		.amdhsa_user_sgpr_kernarg_segment_ptr 1
		.amdhsa_user_sgpr_dispatch_id 0
		.amdhsa_user_sgpr_kernarg_preload_length 0
		.amdhsa_user_sgpr_kernarg_preload_offset 0
		.amdhsa_user_sgpr_private_segment_size 0
		.amdhsa_wavefront_size32 1
		.amdhsa_uses_dynamic_stack 0
		.amdhsa_enable_private_segment 0
		.amdhsa_system_sgpr_workgroup_id_x 1
		.amdhsa_system_sgpr_workgroup_id_y 0
		.amdhsa_system_sgpr_workgroup_id_z 0
		.amdhsa_system_sgpr_workgroup_info 0
		.amdhsa_system_vgpr_workitem_id 0
		.amdhsa_next_free_vgpr 1
		.amdhsa_next_free_sgpr 1
		.amdhsa_named_barrier_count 0
		.amdhsa_reserve_vcc 0
		.amdhsa_float_round_mode_32 0
		.amdhsa_float_round_mode_16_64 0
		.amdhsa_float_denorm_mode_32 3
		.amdhsa_float_denorm_mode_16_64 3
		.amdhsa_fp16_overflow 0
		.amdhsa_memory_ordered 1
		.amdhsa_forward_progress 1
		.amdhsa_inst_pref_size 1
		.amdhsa_round_robin_scheduling 0
		.amdhsa_exception_fp_ieee_invalid_op 0
		.amdhsa_exception_fp_denorm_src 0
		.amdhsa_exception_fp_ieee_div_zero 0
		.amdhsa_exception_fp_ieee_overflow 0
		.amdhsa_exception_fp_ieee_underflow 0
		.amdhsa_exception_fp_ieee_inexact 0
		.amdhsa_exception_int_div_zero 0
	.end_amdhsa_kernel
	.section	.text._ZN7rocprim17ROCPRIM_400000_NS6detail17trampoline_kernelINS0_13select_configILj256ELj13ELNS0_17block_load_methodE3ELS4_3ELS4_3ELNS0_20block_scan_algorithmE0ELj4294967295EEENS1_25partition_config_selectorILNS1_17partition_subalgoE4EjNS0_10empty_typeEbEEZZNS1_14partition_implILS8_4ELb0ES6_15HIP_vector_typeIjLj2EENS0_17counting_iteratorIjlEEPS9_SG_NS0_5tupleIJPjSI_NS0_16reverse_iteratorISI_EEEEENSH_IJSG_SG_SG_EEES9_SI_JZNS1_25segmented_radix_sort_implINS0_14default_configELb0EPKsPsPKlPlN2at6native12_GLOBAL__N_18offset_tEEE10hipError_tPvRmT1_PNSt15iterator_traitsIS12_E10value_typeET2_T3_PNS13_IS18_E10value_typeET4_jRbjT5_S1E_jjP12ihipStream_tbEUljE_ZNSN_ISO_Lb0ESQ_SR_ST_SU_SY_EESZ_S10_S11_S12_S16_S17_S18_S1B_S1C_jS1D_jS1E_S1E_jjS1G_bEUljE0_EEESZ_S10_S11_S18_S1C_S1E_T6_T7_T9_mT8_S1G_bDpT10_ENKUlT_T0_E_clISt17integral_constantIbLb1EES1T_IbLb0EEEEDaS1P_S1Q_EUlS1P_E_NS1_11comp_targetILNS1_3genE0ELNS1_11target_archE4294967295ELNS1_3gpuE0ELNS1_3repE0EEENS1_30default_config_static_selectorELNS0_4arch9wavefront6targetE0EEEvS12_,"axG",@progbits,_ZN7rocprim17ROCPRIM_400000_NS6detail17trampoline_kernelINS0_13select_configILj256ELj13ELNS0_17block_load_methodE3ELS4_3ELS4_3ELNS0_20block_scan_algorithmE0ELj4294967295EEENS1_25partition_config_selectorILNS1_17partition_subalgoE4EjNS0_10empty_typeEbEEZZNS1_14partition_implILS8_4ELb0ES6_15HIP_vector_typeIjLj2EENS0_17counting_iteratorIjlEEPS9_SG_NS0_5tupleIJPjSI_NS0_16reverse_iteratorISI_EEEEENSH_IJSG_SG_SG_EEES9_SI_JZNS1_25segmented_radix_sort_implINS0_14default_configELb0EPKsPsPKlPlN2at6native12_GLOBAL__N_18offset_tEEE10hipError_tPvRmT1_PNSt15iterator_traitsIS12_E10value_typeET2_T3_PNS13_IS18_E10value_typeET4_jRbjT5_S1E_jjP12ihipStream_tbEUljE_ZNSN_ISO_Lb0ESQ_SR_ST_SU_SY_EESZ_S10_S11_S12_S16_S17_S18_S1B_S1C_jS1D_jS1E_S1E_jjS1G_bEUljE0_EEESZ_S10_S11_S18_S1C_S1E_T6_T7_T9_mT8_S1G_bDpT10_ENKUlT_T0_E_clISt17integral_constantIbLb1EES1T_IbLb0EEEEDaS1P_S1Q_EUlS1P_E_NS1_11comp_targetILNS1_3genE0ELNS1_11target_archE4294967295ELNS1_3gpuE0ELNS1_3repE0EEENS1_30default_config_static_selectorELNS0_4arch9wavefront6targetE0EEEvS12_,comdat
.Lfunc_end961:
	.size	_ZN7rocprim17ROCPRIM_400000_NS6detail17trampoline_kernelINS0_13select_configILj256ELj13ELNS0_17block_load_methodE3ELS4_3ELS4_3ELNS0_20block_scan_algorithmE0ELj4294967295EEENS1_25partition_config_selectorILNS1_17partition_subalgoE4EjNS0_10empty_typeEbEEZZNS1_14partition_implILS8_4ELb0ES6_15HIP_vector_typeIjLj2EENS0_17counting_iteratorIjlEEPS9_SG_NS0_5tupleIJPjSI_NS0_16reverse_iteratorISI_EEEEENSH_IJSG_SG_SG_EEES9_SI_JZNS1_25segmented_radix_sort_implINS0_14default_configELb0EPKsPsPKlPlN2at6native12_GLOBAL__N_18offset_tEEE10hipError_tPvRmT1_PNSt15iterator_traitsIS12_E10value_typeET2_T3_PNS13_IS18_E10value_typeET4_jRbjT5_S1E_jjP12ihipStream_tbEUljE_ZNSN_ISO_Lb0ESQ_SR_ST_SU_SY_EESZ_S10_S11_S12_S16_S17_S18_S1B_S1C_jS1D_jS1E_S1E_jjS1G_bEUljE0_EEESZ_S10_S11_S18_S1C_S1E_T6_T7_T9_mT8_S1G_bDpT10_ENKUlT_T0_E_clISt17integral_constantIbLb1EES1T_IbLb0EEEEDaS1P_S1Q_EUlS1P_E_NS1_11comp_targetILNS1_3genE0ELNS1_11target_archE4294967295ELNS1_3gpuE0ELNS1_3repE0EEENS1_30default_config_static_selectorELNS0_4arch9wavefront6targetE0EEEvS12_, .Lfunc_end961-_ZN7rocprim17ROCPRIM_400000_NS6detail17trampoline_kernelINS0_13select_configILj256ELj13ELNS0_17block_load_methodE3ELS4_3ELS4_3ELNS0_20block_scan_algorithmE0ELj4294967295EEENS1_25partition_config_selectorILNS1_17partition_subalgoE4EjNS0_10empty_typeEbEEZZNS1_14partition_implILS8_4ELb0ES6_15HIP_vector_typeIjLj2EENS0_17counting_iteratorIjlEEPS9_SG_NS0_5tupleIJPjSI_NS0_16reverse_iteratorISI_EEEEENSH_IJSG_SG_SG_EEES9_SI_JZNS1_25segmented_radix_sort_implINS0_14default_configELb0EPKsPsPKlPlN2at6native12_GLOBAL__N_18offset_tEEE10hipError_tPvRmT1_PNSt15iterator_traitsIS12_E10value_typeET2_T3_PNS13_IS18_E10value_typeET4_jRbjT5_S1E_jjP12ihipStream_tbEUljE_ZNSN_ISO_Lb0ESQ_SR_ST_SU_SY_EESZ_S10_S11_S12_S16_S17_S18_S1B_S1C_jS1D_jS1E_S1E_jjS1G_bEUljE0_EEESZ_S10_S11_S18_S1C_S1E_T6_T7_T9_mT8_S1G_bDpT10_ENKUlT_T0_E_clISt17integral_constantIbLb1EES1T_IbLb0EEEEDaS1P_S1Q_EUlS1P_E_NS1_11comp_targetILNS1_3genE0ELNS1_11target_archE4294967295ELNS1_3gpuE0ELNS1_3repE0EEENS1_30default_config_static_selectorELNS0_4arch9wavefront6targetE0EEEvS12_
                                        ; -- End function
	.set _ZN7rocprim17ROCPRIM_400000_NS6detail17trampoline_kernelINS0_13select_configILj256ELj13ELNS0_17block_load_methodE3ELS4_3ELS4_3ELNS0_20block_scan_algorithmE0ELj4294967295EEENS1_25partition_config_selectorILNS1_17partition_subalgoE4EjNS0_10empty_typeEbEEZZNS1_14partition_implILS8_4ELb0ES6_15HIP_vector_typeIjLj2EENS0_17counting_iteratorIjlEEPS9_SG_NS0_5tupleIJPjSI_NS0_16reverse_iteratorISI_EEEEENSH_IJSG_SG_SG_EEES9_SI_JZNS1_25segmented_radix_sort_implINS0_14default_configELb0EPKsPsPKlPlN2at6native12_GLOBAL__N_18offset_tEEE10hipError_tPvRmT1_PNSt15iterator_traitsIS12_E10value_typeET2_T3_PNS13_IS18_E10value_typeET4_jRbjT5_S1E_jjP12ihipStream_tbEUljE_ZNSN_ISO_Lb0ESQ_SR_ST_SU_SY_EESZ_S10_S11_S12_S16_S17_S18_S1B_S1C_jS1D_jS1E_S1E_jjS1G_bEUljE0_EEESZ_S10_S11_S18_S1C_S1E_T6_T7_T9_mT8_S1G_bDpT10_ENKUlT_T0_E_clISt17integral_constantIbLb1EES1T_IbLb0EEEEDaS1P_S1Q_EUlS1P_E_NS1_11comp_targetILNS1_3genE0ELNS1_11target_archE4294967295ELNS1_3gpuE0ELNS1_3repE0EEENS1_30default_config_static_selectorELNS0_4arch9wavefront6targetE0EEEvS12_.num_vgpr, 0
	.set _ZN7rocprim17ROCPRIM_400000_NS6detail17trampoline_kernelINS0_13select_configILj256ELj13ELNS0_17block_load_methodE3ELS4_3ELS4_3ELNS0_20block_scan_algorithmE0ELj4294967295EEENS1_25partition_config_selectorILNS1_17partition_subalgoE4EjNS0_10empty_typeEbEEZZNS1_14partition_implILS8_4ELb0ES6_15HIP_vector_typeIjLj2EENS0_17counting_iteratorIjlEEPS9_SG_NS0_5tupleIJPjSI_NS0_16reverse_iteratorISI_EEEEENSH_IJSG_SG_SG_EEES9_SI_JZNS1_25segmented_radix_sort_implINS0_14default_configELb0EPKsPsPKlPlN2at6native12_GLOBAL__N_18offset_tEEE10hipError_tPvRmT1_PNSt15iterator_traitsIS12_E10value_typeET2_T3_PNS13_IS18_E10value_typeET4_jRbjT5_S1E_jjP12ihipStream_tbEUljE_ZNSN_ISO_Lb0ESQ_SR_ST_SU_SY_EESZ_S10_S11_S12_S16_S17_S18_S1B_S1C_jS1D_jS1E_S1E_jjS1G_bEUljE0_EEESZ_S10_S11_S18_S1C_S1E_T6_T7_T9_mT8_S1G_bDpT10_ENKUlT_T0_E_clISt17integral_constantIbLb1EES1T_IbLb0EEEEDaS1P_S1Q_EUlS1P_E_NS1_11comp_targetILNS1_3genE0ELNS1_11target_archE4294967295ELNS1_3gpuE0ELNS1_3repE0EEENS1_30default_config_static_selectorELNS0_4arch9wavefront6targetE0EEEvS12_.num_agpr, 0
	.set _ZN7rocprim17ROCPRIM_400000_NS6detail17trampoline_kernelINS0_13select_configILj256ELj13ELNS0_17block_load_methodE3ELS4_3ELS4_3ELNS0_20block_scan_algorithmE0ELj4294967295EEENS1_25partition_config_selectorILNS1_17partition_subalgoE4EjNS0_10empty_typeEbEEZZNS1_14partition_implILS8_4ELb0ES6_15HIP_vector_typeIjLj2EENS0_17counting_iteratorIjlEEPS9_SG_NS0_5tupleIJPjSI_NS0_16reverse_iteratorISI_EEEEENSH_IJSG_SG_SG_EEES9_SI_JZNS1_25segmented_radix_sort_implINS0_14default_configELb0EPKsPsPKlPlN2at6native12_GLOBAL__N_18offset_tEEE10hipError_tPvRmT1_PNSt15iterator_traitsIS12_E10value_typeET2_T3_PNS13_IS18_E10value_typeET4_jRbjT5_S1E_jjP12ihipStream_tbEUljE_ZNSN_ISO_Lb0ESQ_SR_ST_SU_SY_EESZ_S10_S11_S12_S16_S17_S18_S1B_S1C_jS1D_jS1E_S1E_jjS1G_bEUljE0_EEESZ_S10_S11_S18_S1C_S1E_T6_T7_T9_mT8_S1G_bDpT10_ENKUlT_T0_E_clISt17integral_constantIbLb1EES1T_IbLb0EEEEDaS1P_S1Q_EUlS1P_E_NS1_11comp_targetILNS1_3genE0ELNS1_11target_archE4294967295ELNS1_3gpuE0ELNS1_3repE0EEENS1_30default_config_static_selectorELNS0_4arch9wavefront6targetE0EEEvS12_.numbered_sgpr, 0
	.set _ZN7rocprim17ROCPRIM_400000_NS6detail17trampoline_kernelINS0_13select_configILj256ELj13ELNS0_17block_load_methodE3ELS4_3ELS4_3ELNS0_20block_scan_algorithmE0ELj4294967295EEENS1_25partition_config_selectorILNS1_17partition_subalgoE4EjNS0_10empty_typeEbEEZZNS1_14partition_implILS8_4ELb0ES6_15HIP_vector_typeIjLj2EENS0_17counting_iteratorIjlEEPS9_SG_NS0_5tupleIJPjSI_NS0_16reverse_iteratorISI_EEEEENSH_IJSG_SG_SG_EEES9_SI_JZNS1_25segmented_radix_sort_implINS0_14default_configELb0EPKsPsPKlPlN2at6native12_GLOBAL__N_18offset_tEEE10hipError_tPvRmT1_PNSt15iterator_traitsIS12_E10value_typeET2_T3_PNS13_IS18_E10value_typeET4_jRbjT5_S1E_jjP12ihipStream_tbEUljE_ZNSN_ISO_Lb0ESQ_SR_ST_SU_SY_EESZ_S10_S11_S12_S16_S17_S18_S1B_S1C_jS1D_jS1E_S1E_jjS1G_bEUljE0_EEESZ_S10_S11_S18_S1C_S1E_T6_T7_T9_mT8_S1G_bDpT10_ENKUlT_T0_E_clISt17integral_constantIbLb1EES1T_IbLb0EEEEDaS1P_S1Q_EUlS1P_E_NS1_11comp_targetILNS1_3genE0ELNS1_11target_archE4294967295ELNS1_3gpuE0ELNS1_3repE0EEENS1_30default_config_static_selectorELNS0_4arch9wavefront6targetE0EEEvS12_.num_named_barrier, 0
	.set _ZN7rocprim17ROCPRIM_400000_NS6detail17trampoline_kernelINS0_13select_configILj256ELj13ELNS0_17block_load_methodE3ELS4_3ELS4_3ELNS0_20block_scan_algorithmE0ELj4294967295EEENS1_25partition_config_selectorILNS1_17partition_subalgoE4EjNS0_10empty_typeEbEEZZNS1_14partition_implILS8_4ELb0ES6_15HIP_vector_typeIjLj2EENS0_17counting_iteratorIjlEEPS9_SG_NS0_5tupleIJPjSI_NS0_16reverse_iteratorISI_EEEEENSH_IJSG_SG_SG_EEES9_SI_JZNS1_25segmented_radix_sort_implINS0_14default_configELb0EPKsPsPKlPlN2at6native12_GLOBAL__N_18offset_tEEE10hipError_tPvRmT1_PNSt15iterator_traitsIS12_E10value_typeET2_T3_PNS13_IS18_E10value_typeET4_jRbjT5_S1E_jjP12ihipStream_tbEUljE_ZNSN_ISO_Lb0ESQ_SR_ST_SU_SY_EESZ_S10_S11_S12_S16_S17_S18_S1B_S1C_jS1D_jS1E_S1E_jjS1G_bEUljE0_EEESZ_S10_S11_S18_S1C_S1E_T6_T7_T9_mT8_S1G_bDpT10_ENKUlT_T0_E_clISt17integral_constantIbLb1EES1T_IbLb0EEEEDaS1P_S1Q_EUlS1P_E_NS1_11comp_targetILNS1_3genE0ELNS1_11target_archE4294967295ELNS1_3gpuE0ELNS1_3repE0EEENS1_30default_config_static_selectorELNS0_4arch9wavefront6targetE0EEEvS12_.private_seg_size, 0
	.set _ZN7rocprim17ROCPRIM_400000_NS6detail17trampoline_kernelINS0_13select_configILj256ELj13ELNS0_17block_load_methodE3ELS4_3ELS4_3ELNS0_20block_scan_algorithmE0ELj4294967295EEENS1_25partition_config_selectorILNS1_17partition_subalgoE4EjNS0_10empty_typeEbEEZZNS1_14partition_implILS8_4ELb0ES6_15HIP_vector_typeIjLj2EENS0_17counting_iteratorIjlEEPS9_SG_NS0_5tupleIJPjSI_NS0_16reverse_iteratorISI_EEEEENSH_IJSG_SG_SG_EEES9_SI_JZNS1_25segmented_radix_sort_implINS0_14default_configELb0EPKsPsPKlPlN2at6native12_GLOBAL__N_18offset_tEEE10hipError_tPvRmT1_PNSt15iterator_traitsIS12_E10value_typeET2_T3_PNS13_IS18_E10value_typeET4_jRbjT5_S1E_jjP12ihipStream_tbEUljE_ZNSN_ISO_Lb0ESQ_SR_ST_SU_SY_EESZ_S10_S11_S12_S16_S17_S18_S1B_S1C_jS1D_jS1E_S1E_jjS1G_bEUljE0_EEESZ_S10_S11_S18_S1C_S1E_T6_T7_T9_mT8_S1G_bDpT10_ENKUlT_T0_E_clISt17integral_constantIbLb1EES1T_IbLb0EEEEDaS1P_S1Q_EUlS1P_E_NS1_11comp_targetILNS1_3genE0ELNS1_11target_archE4294967295ELNS1_3gpuE0ELNS1_3repE0EEENS1_30default_config_static_selectorELNS0_4arch9wavefront6targetE0EEEvS12_.uses_vcc, 0
	.set _ZN7rocprim17ROCPRIM_400000_NS6detail17trampoline_kernelINS0_13select_configILj256ELj13ELNS0_17block_load_methodE3ELS4_3ELS4_3ELNS0_20block_scan_algorithmE0ELj4294967295EEENS1_25partition_config_selectorILNS1_17partition_subalgoE4EjNS0_10empty_typeEbEEZZNS1_14partition_implILS8_4ELb0ES6_15HIP_vector_typeIjLj2EENS0_17counting_iteratorIjlEEPS9_SG_NS0_5tupleIJPjSI_NS0_16reverse_iteratorISI_EEEEENSH_IJSG_SG_SG_EEES9_SI_JZNS1_25segmented_radix_sort_implINS0_14default_configELb0EPKsPsPKlPlN2at6native12_GLOBAL__N_18offset_tEEE10hipError_tPvRmT1_PNSt15iterator_traitsIS12_E10value_typeET2_T3_PNS13_IS18_E10value_typeET4_jRbjT5_S1E_jjP12ihipStream_tbEUljE_ZNSN_ISO_Lb0ESQ_SR_ST_SU_SY_EESZ_S10_S11_S12_S16_S17_S18_S1B_S1C_jS1D_jS1E_S1E_jjS1G_bEUljE0_EEESZ_S10_S11_S18_S1C_S1E_T6_T7_T9_mT8_S1G_bDpT10_ENKUlT_T0_E_clISt17integral_constantIbLb1EES1T_IbLb0EEEEDaS1P_S1Q_EUlS1P_E_NS1_11comp_targetILNS1_3genE0ELNS1_11target_archE4294967295ELNS1_3gpuE0ELNS1_3repE0EEENS1_30default_config_static_selectorELNS0_4arch9wavefront6targetE0EEEvS12_.uses_flat_scratch, 0
	.set _ZN7rocprim17ROCPRIM_400000_NS6detail17trampoline_kernelINS0_13select_configILj256ELj13ELNS0_17block_load_methodE3ELS4_3ELS4_3ELNS0_20block_scan_algorithmE0ELj4294967295EEENS1_25partition_config_selectorILNS1_17partition_subalgoE4EjNS0_10empty_typeEbEEZZNS1_14partition_implILS8_4ELb0ES6_15HIP_vector_typeIjLj2EENS0_17counting_iteratorIjlEEPS9_SG_NS0_5tupleIJPjSI_NS0_16reverse_iteratorISI_EEEEENSH_IJSG_SG_SG_EEES9_SI_JZNS1_25segmented_radix_sort_implINS0_14default_configELb0EPKsPsPKlPlN2at6native12_GLOBAL__N_18offset_tEEE10hipError_tPvRmT1_PNSt15iterator_traitsIS12_E10value_typeET2_T3_PNS13_IS18_E10value_typeET4_jRbjT5_S1E_jjP12ihipStream_tbEUljE_ZNSN_ISO_Lb0ESQ_SR_ST_SU_SY_EESZ_S10_S11_S12_S16_S17_S18_S1B_S1C_jS1D_jS1E_S1E_jjS1G_bEUljE0_EEESZ_S10_S11_S18_S1C_S1E_T6_T7_T9_mT8_S1G_bDpT10_ENKUlT_T0_E_clISt17integral_constantIbLb1EES1T_IbLb0EEEEDaS1P_S1Q_EUlS1P_E_NS1_11comp_targetILNS1_3genE0ELNS1_11target_archE4294967295ELNS1_3gpuE0ELNS1_3repE0EEENS1_30default_config_static_selectorELNS0_4arch9wavefront6targetE0EEEvS12_.has_dyn_sized_stack, 0
	.set _ZN7rocprim17ROCPRIM_400000_NS6detail17trampoline_kernelINS0_13select_configILj256ELj13ELNS0_17block_load_methodE3ELS4_3ELS4_3ELNS0_20block_scan_algorithmE0ELj4294967295EEENS1_25partition_config_selectorILNS1_17partition_subalgoE4EjNS0_10empty_typeEbEEZZNS1_14partition_implILS8_4ELb0ES6_15HIP_vector_typeIjLj2EENS0_17counting_iteratorIjlEEPS9_SG_NS0_5tupleIJPjSI_NS0_16reverse_iteratorISI_EEEEENSH_IJSG_SG_SG_EEES9_SI_JZNS1_25segmented_radix_sort_implINS0_14default_configELb0EPKsPsPKlPlN2at6native12_GLOBAL__N_18offset_tEEE10hipError_tPvRmT1_PNSt15iterator_traitsIS12_E10value_typeET2_T3_PNS13_IS18_E10value_typeET4_jRbjT5_S1E_jjP12ihipStream_tbEUljE_ZNSN_ISO_Lb0ESQ_SR_ST_SU_SY_EESZ_S10_S11_S12_S16_S17_S18_S1B_S1C_jS1D_jS1E_S1E_jjS1G_bEUljE0_EEESZ_S10_S11_S18_S1C_S1E_T6_T7_T9_mT8_S1G_bDpT10_ENKUlT_T0_E_clISt17integral_constantIbLb1EES1T_IbLb0EEEEDaS1P_S1Q_EUlS1P_E_NS1_11comp_targetILNS1_3genE0ELNS1_11target_archE4294967295ELNS1_3gpuE0ELNS1_3repE0EEENS1_30default_config_static_selectorELNS0_4arch9wavefront6targetE0EEEvS12_.has_recursion, 0
	.set _ZN7rocprim17ROCPRIM_400000_NS6detail17trampoline_kernelINS0_13select_configILj256ELj13ELNS0_17block_load_methodE3ELS4_3ELS4_3ELNS0_20block_scan_algorithmE0ELj4294967295EEENS1_25partition_config_selectorILNS1_17partition_subalgoE4EjNS0_10empty_typeEbEEZZNS1_14partition_implILS8_4ELb0ES6_15HIP_vector_typeIjLj2EENS0_17counting_iteratorIjlEEPS9_SG_NS0_5tupleIJPjSI_NS0_16reverse_iteratorISI_EEEEENSH_IJSG_SG_SG_EEES9_SI_JZNS1_25segmented_radix_sort_implINS0_14default_configELb0EPKsPsPKlPlN2at6native12_GLOBAL__N_18offset_tEEE10hipError_tPvRmT1_PNSt15iterator_traitsIS12_E10value_typeET2_T3_PNS13_IS18_E10value_typeET4_jRbjT5_S1E_jjP12ihipStream_tbEUljE_ZNSN_ISO_Lb0ESQ_SR_ST_SU_SY_EESZ_S10_S11_S12_S16_S17_S18_S1B_S1C_jS1D_jS1E_S1E_jjS1G_bEUljE0_EEESZ_S10_S11_S18_S1C_S1E_T6_T7_T9_mT8_S1G_bDpT10_ENKUlT_T0_E_clISt17integral_constantIbLb1EES1T_IbLb0EEEEDaS1P_S1Q_EUlS1P_E_NS1_11comp_targetILNS1_3genE0ELNS1_11target_archE4294967295ELNS1_3gpuE0ELNS1_3repE0EEENS1_30default_config_static_selectorELNS0_4arch9wavefront6targetE0EEEvS12_.has_indirect_call, 0
	.section	.AMDGPU.csdata,"",@progbits
; Kernel info:
; codeLenInByte = 4
; TotalNumSgprs: 0
; NumVgprs: 0
; ScratchSize: 0
; MemoryBound: 0
; FloatMode: 240
; IeeeMode: 1
; LDSByteSize: 0 bytes/workgroup (compile time only)
; SGPRBlocks: 0
; VGPRBlocks: 0
; NumSGPRsForWavesPerEU: 1
; NumVGPRsForWavesPerEU: 1
; NamedBarCnt: 0
; Occupancy: 16
; WaveLimiterHint : 0
; COMPUTE_PGM_RSRC2:SCRATCH_EN: 0
; COMPUTE_PGM_RSRC2:USER_SGPR: 2
; COMPUTE_PGM_RSRC2:TRAP_HANDLER: 0
; COMPUTE_PGM_RSRC2:TGID_X_EN: 1
; COMPUTE_PGM_RSRC2:TGID_Y_EN: 0
; COMPUTE_PGM_RSRC2:TGID_Z_EN: 0
; COMPUTE_PGM_RSRC2:TIDIG_COMP_CNT: 0
	.section	.text._ZN7rocprim17ROCPRIM_400000_NS6detail17trampoline_kernelINS0_13select_configILj256ELj13ELNS0_17block_load_methodE3ELS4_3ELS4_3ELNS0_20block_scan_algorithmE0ELj4294967295EEENS1_25partition_config_selectorILNS1_17partition_subalgoE4EjNS0_10empty_typeEbEEZZNS1_14partition_implILS8_4ELb0ES6_15HIP_vector_typeIjLj2EENS0_17counting_iteratorIjlEEPS9_SG_NS0_5tupleIJPjSI_NS0_16reverse_iteratorISI_EEEEENSH_IJSG_SG_SG_EEES9_SI_JZNS1_25segmented_radix_sort_implINS0_14default_configELb0EPKsPsPKlPlN2at6native12_GLOBAL__N_18offset_tEEE10hipError_tPvRmT1_PNSt15iterator_traitsIS12_E10value_typeET2_T3_PNS13_IS18_E10value_typeET4_jRbjT5_S1E_jjP12ihipStream_tbEUljE_ZNSN_ISO_Lb0ESQ_SR_ST_SU_SY_EESZ_S10_S11_S12_S16_S17_S18_S1B_S1C_jS1D_jS1E_S1E_jjS1G_bEUljE0_EEESZ_S10_S11_S18_S1C_S1E_T6_T7_T9_mT8_S1G_bDpT10_ENKUlT_T0_E_clISt17integral_constantIbLb1EES1T_IbLb0EEEEDaS1P_S1Q_EUlS1P_E_NS1_11comp_targetILNS1_3genE5ELNS1_11target_archE942ELNS1_3gpuE9ELNS1_3repE0EEENS1_30default_config_static_selectorELNS0_4arch9wavefront6targetE0EEEvS12_,"axG",@progbits,_ZN7rocprim17ROCPRIM_400000_NS6detail17trampoline_kernelINS0_13select_configILj256ELj13ELNS0_17block_load_methodE3ELS4_3ELS4_3ELNS0_20block_scan_algorithmE0ELj4294967295EEENS1_25partition_config_selectorILNS1_17partition_subalgoE4EjNS0_10empty_typeEbEEZZNS1_14partition_implILS8_4ELb0ES6_15HIP_vector_typeIjLj2EENS0_17counting_iteratorIjlEEPS9_SG_NS0_5tupleIJPjSI_NS0_16reverse_iteratorISI_EEEEENSH_IJSG_SG_SG_EEES9_SI_JZNS1_25segmented_radix_sort_implINS0_14default_configELb0EPKsPsPKlPlN2at6native12_GLOBAL__N_18offset_tEEE10hipError_tPvRmT1_PNSt15iterator_traitsIS12_E10value_typeET2_T3_PNS13_IS18_E10value_typeET4_jRbjT5_S1E_jjP12ihipStream_tbEUljE_ZNSN_ISO_Lb0ESQ_SR_ST_SU_SY_EESZ_S10_S11_S12_S16_S17_S18_S1B_S1C_jS1D_jS1E_S1E_jjS1G_bEUljE0_EEESZ_S10_S11_S18_S1C_S1E_T6_T7_T9_mT8_S1G_bDpT10_ENKUlT_T0_E_clISt17integral_constantIbLb1EES1T_IbLb0EEEEDaS1P_S1Q_EUlS1P_E_NS1_11comp_targetILNS1_3genE5ELNS1_11target_archE942ELNS1_3gpuE9ELNS1_3repE0EEENS1_30default_config_static_selectorELNS0_4arch9wavefront6targetE0EEEvS12_,comdat
	.globl	_ZN7rocprim17ROCPRIM_400000_NS6detail17trampoline_kernelINS0_13select_configILj256ELj13ELNS0_17block_load_methodE3ELS4_3ELS4_3ELNS0_20block_scan_algorithmE0ELj4294967295EEENS1_25partition_config_selectorILNS1_17partition_subalgoE4EjNS0_10empty_typeEbEEZZNS1_14partition_implILS8_4ELb0ES6_15HIP_vector_typeIjLj2EENS0_17counting_iteratorIjlEEPS9_SG_NS0_5tupleIJPjSI_NS0_16reverse_iteratorISI_EEEEENSH_IJSG_SG_SG_EEES9_SI_JZNS1_25segmented_radix_sort_implINS0_14default_configELb0EPKsPsPKlPlN2at6native12_GLOBAL__N_18offset_tEEE10hipError_tPvRmT1_PNSt15iterator_traitsIS12_E10value_typeET2_T3_PNS13_IS18_E10value_typeET4_jRbjT5_S1E_jjP12ihipStream_tbEUljE_ZNSN_ISO_Lb0ESQ_SR_ST_SU_SY_EESZ_S10_S11_S12_S16_S17_S18_S1B_S1C_jS1D_jS1E_S1E_jjS1G_bEUljE0_EEESZ_S10_S11_S18_S1C_S1E_T6_T7_T9_mT8_S1G_bDpT10_ENKUlT_T0_E_clISt17integral_constantIbLb1EES1T_IbLb0EEEEDaS1P_S1Q_EUlS1P_E_NS1_11comp_targetILNS1_3genE5ELNS1_11target_archE942ELNS1_3gpuE9ELNS1_3repE0EEENS1_30default_config_static_selectorELNS0_4arch9wavefront6targetE0EEEvS12_ ; -- Begin function _ZN7rocprim17ROCPRIM_400000_NS6detail17trampoline_kernelINS0_13select_configILj256ELj13ELNS0_17block_load_methodE3ELS4_3ELS4_3ELNS0_20block_scan_algorithmE0ELj4294967295EEENS1_25partition_config_selectorILNS1_17partition_subalgoE4EjNS0_10empty_typeEbEEZZNS1_14partition_implILS8_4ELb0ES6_15HIP_vector_typeIjLj2EENS0_17counting_iteratorIjlEEPS9_SG_NS0_5tupleIJPjSI_NS0_16reverse_iteratorISI_EEEEENSH_IJSG_SG_SG_EEES9_SI_JZNS1_25segmented_radix_sort_implINS0_14default_configELb0EPKsPsPKlPlN2at6native12_GLOBAL__N_18offset_tEEE10hipError_tPvRmT1_PNSt15iterator_traitsIS12_E10value_typeET2_T3_PNS13_IS18_E10value_typeET4_jRbjT5_S1E_jjP12ihipStream_tbEUljE_ZNSN_ISO_Lb0ESQ_SR_ST_SU_SY_EESZ_S10_S11_S12_S16_S17_S18_S1B_S1C_jS1D_jS1E_S1E_jjS1G_bEUljE0_EEESZ_S10_S11_S18_S1C_S1E_T6_T7_T9_mT8_S1G_bDpT10_ENKUlT_T0_E_clISt17integral_constantIbLb1EES1T_IbLb0EEEEDaS1P_S1Q_EUlS1P_E_NS1_11comp_targetILNS1_3genE5ELNS1_11target_archE942ELNS1_3gpuE9ELNS1_3repE0EEENS1_30default_config_static_selectorELNS0_4arch9wavefront6targetE0EEEvS12_
	.p2align	8
	.type	_ZN7rocprim17ROCPRIM_400000_NS6detail17trampoline_kernelINS0_13select_configILj256ELj13ELNS0_17block_load_methodE3ELS4_3ELS4_3ELNS0_20block_scan_algorithmE0ELj4294967295EEENS1_25partition_config_selectorILNS1_17partition_subalgoE4EjNS0_10empty_typeEbEEZZNS1_14partition_implILS8_4ELb0ES6_15HIP_vector_typeIjLj2EENS0_17counting_iteratorIjlEEPS9_SG_NS0_5tupleIJPjSI_NS0_16reverse_iteratorISI_EEEEENSH_IJSG_SG_SG_EEES9_SI_JZNS1_25segmented_radix_sort_implINS0_14default_configELb0EPKsPsPKlPlN2at6native12_GLOBAL__N_18offset_tEEE10hipError_tPvRmT1_PNSt15iterator_traitsIS12_E10value_typeET2_T3_PNS13_IS18_E10value_typeET4_jRbjT5_S1E_jjP12ihipStream_tbEUljE_ZNSN_ISO_Lb0ESQ_SR_ST_SU_SY_EESZ_S10_S11_S12_S16_S17_S18_S1B_S1C_jS1D_jS1E_S1E_jjS1G_bEUljE0_EEESZ_S10_S11_S18_S1C_S1E_T6_T7_T9_mT8_S1G_bDpT10_ENKUlT_T0_E_clISt17integral_constantIbLb1EES1T_IbLb0EEEEDaS1P_S1Q_EUlS1P_E_NS1_11comp_targetILNS1_3genE5ELNS1_11target_archE942ELNS1_3gpuE9ELNS1_3repE0EEENS1_30default_config_static_selectorELNS0_4arch9wavefront6targetE0EEEvS12_,@function
_ZN7rocprim17ROCPRIM_400000_NS6detail17trampoline_kernelINS0_13select_configILj256ELj13ELNS0_17block_load_methodE3ELS4_3ELS4_3ELNS0_20block_scan_algorithmE0ELj4294967295EEENS1_25partition_config_selectorILNS1_17partition_subalgoE4EjNS0_10empty_typeEbEEZZNS1_14partition_implILS8_4ELb0ES6_15HIP_vector_typeIjLj2EENS0_17counting_iteratorIjlEEPS9_SG_NS0_5tupleIJPjSI_NS0_16reverse_iteratorISI_EEEEENSH_IJSG_SG_SG_EEES9_SI_JZNS1_25segmented_radix_sort_implINS0_14default_configELb0EPKsPsPKlPlN2at6native12_GLOBAL__N_18offset_tEEE10hipError_tPvRmT1_PNSt15iterator_traitsIS12_E10value_typeET2_T3_PNS13_IS18_E10value_typeET4_jRbjT5_S1E_jjP12ihipStream_tbEUljE_ZNSN_ISO_Lb0ESQ_SR_ST_SU_SY_EESZ_S10_S11_S12_S16_S17_S18_S1B_S1C_jS1D_jS1E_S1E_jjS1G_bEUljE0_EEESZ_S10_S11_S18_S1C_S1E_T6_T7_T9_mT8_S1G_bDpT10_ENKUlT_T0_E_clISt17integral_constantIbLb1EES1T_IbLb0EEEEDaS1P_S1Q_EUlS1P_E_NS1_11comp_targetILNS1_3genE5ELNS1_11target_archE942ELNS1_3gpuE9ELNS1_3repE0EEENS1_30default_config_static_selectorELNS0_4arch9wavefront6targetE0EEEvS12_: ; @_ZN7rocprim17ROCPRIM_400000_NS6detail17trampoline_kernelINS0_13select_configILj256ELj13ELNS0_17block_load_methodE3ELS4_3ELS4_3ELNS0_20block_scan_algorithmE0ELj4294967295EEENS1_25partition_config_selectorILNS1_17partition_subalgoE4EjNS0_10empty_typeEbEEZZNS1_14partition_implILS8_4ELb0ES6_15HIP_vector_typeIjLj2EENS0_17counting_iteratorIjlEEPS9_SG_NS0_5tupleIJPjSI_NS0_16reverse_iteratorISI_EEEEENSH_IJSG_SG_SG_EEES9_SI_JZNS1_25segmented_radix_sort_implINS0_14default_configELb0EPKsPsPKlPlN2at6native12_GLOBAL__N_18offset_tEEE10hipError_tPvRmT1_PNSt15iterator_traitsIS12_E10value_typeET2_T3_PNS13_IS18_E10value_typeET4_jRbjT5_S1E_jjP12ihipStream_tbEUljE_ZNSN_ISO_Lb0ESQ_SR_ST_SU_SY_EESZ_S10_S11_S12_S16_S17_S18_S1B_S1C_jS1D_jS1E_S1E_jjS1G_bEUljE0_EEESZ_S10_S11_S18_S1C_S1E_T6_T7_T9_mT8_S1G_bDpT10_ENKUlT_T0_E_clISt17integral_constantIbLb1EES1T_IbLb0EEEEDaS1P_S1Q_EUlS1P_E_NS1_11comp_targetILNS1_3genE5ELNS1_11target_archE942ELNS1_3gpuE9ELNS1_3repE0EEENS1_30default_config_static_selectorELNS0_4arch9wavefront6targetE0EEEvS12_
; %bb.0:
	.section	.rodata,"a",@progbits
	.p2align	6, 0x0
	.amdhsa_kernel _ZN7rocprim17ROCPRIM_400000_NS6detail17trampoline_kernelINS0_13select_configILj256ELj13ELNS0_17block_load_methodE3ELS4_3ELS4_3ELNS0_20block_scan_algorithmE0ELj4294967295EEENS1_25partition_config_selectorILNS1_17partition_subalgoE4EjNS0_10empty_typeEbEEZZNS1_14partition_implILS8_4ELb0ES6_15HIP_vector_typeIjLj2EENS0_17counting_iteratorIjlEEPS9_SG_NS0_5tupleIJPjSI_NS0_16reverse_iteratorISI_EEEEENSH_IJSG_SG_SG_EEES9_SI_JZNS1_25segmented_radix_sort_implINS0_14default_configELb0EPKsPsPKlPlN2at6native12_GLOBAL__N_18offset_tEEE10hipError_tPvRmT1_PNSt15iterator_traitsIS12_E10value_typeET2_T3_PNS13_IS18_E10value_typeET4_jRbjT5_S1E_jjP12ihipStream_tbEUljE_ZNSN_ISO_Lb0ESQ_SR_ST_SU_SY_EESZ_S10_S11_S12_S16_S17_S18_S1B_S1C_jS1D_jS1E_S1E_jjS1G_bEUljE0_EEESZ_S10_S11_S18_S1C_S1E_T6_T7_T9_mT8_S1G_bDpT10_ENKUlT_T0_E_clISt17integral_constantIbLb1EES1T_IbLb0EEEEDaS1P_S1Q_EUlS1P_E_NS1_11comp_targetILNS1_3genE5ELNS1_11target_archE942ELNS1_3gpuE9ELNS1_3repE0EEENS1_30default_config_static_selectorELNS0_4arch9wavefront6targetE0EEEvS12_
		.amdhsa_group_segment_fixed_size 0
		.amdhsa_private_segment_fixed_size 0
		.amdhsa_kernarg_size 176
		.amdhsa_user_sgpr_count 2
		.amdhsa_user_sgpr_dispatch_ptr 0
		.amdhsa_user_sgpr_queue_ptr 0
		.amdhsa_user_sgpr_kernarg_segment_ptr 1
		.amdhsa_user_sgpr_dispatch_id 0
		.amdhsa_user_sgpr_kernarg_preload_length 0
		.amdhsa_user_sgpr_kernarg_preload_offset 0
		.amdhsa_user_sgpr_private_segment_size 0
		.amdhsa_wavefront_size32 1
		.amdhsa_uses_dynamic_stack 0
		.amdhsa_enable_private_segment 0
		.amdhsa_system_sgpr_workgroup_id_x 1
		.amdhsa_system_sgpr_workgroup_id_y 0
		.amdhsa_system_sgpr_workgroup_id_z 0
		.amdhsa_system_sgpr_workgroup_info 0
		.amdhsa_system_vgpr_workitem_id 0
		.amdhsa_next_free_vgpr 1
		.amdhsa_next_free_sgpr 1
		.amdhsa_named_barrier_count 0
		.amdhsa_reserve_vcc 0
		.amdhsa_float_round_mode_32 0
		.amdhsa_float_round_mode_16_64 0
		.amdhsa_float_denorm_mode_32 3
		.amdhsa_float_denorm_mode_16_64 3
		.amdhsa_fp16_overflow 0
		.amdhsa_memory_ordered 1
		.amdhsa_forward_progress 1
		.amdhsa_inst_pref_size 0
		.amdhsa_round_robin_scheduling 0
		.amdhsa_exception_fp_ieee_invalid_op 0
		.amdhsa_exception_fp_denorm_src 0
		.amdhsa_exception_fp_ieee_div_zero 0
		.amdhsa_exception_fp_ieee_overflow 0
		.amdhsa_exception_fp_ieee_underflow 0
		.amdhsa_exception_fp_ieee_inexact 0
		.amdhsa_exception_int_div_zero 0
	.end_amdhsa_kernel
	.section	.text._ZN7rocprim17ROCPRIM_400000_NS6detail17trampoline_kernelINS0_13select_configILj256ELj13ELNS0_17block_load_methodE3ELS4_3ELS4_3ELNS0_20block_scan_algorithmE0ELj4294967295EEENS1_25partition_config_selectorILNS1_17partition_subalgoE4EjNS0_10empty_typeEbEEZZNS1_14partition_implILS8_4ELb0ES6_15HIP_vector_typeIjLj2EENS0_17counting_iteratorIjlEEPS9_SG_NS0_5tupleIJPjSI_NS0_16reverse_iteratorISI_EEEEENSH_IJSG_SG_SG_EEES9_SI_JZNS1_25segmented_radix_sort_implINS0_14default_configELb0EPKsPsPKlPlN2at6native12_GLOBAL__N_18offset_tEEE10hipError_tPvRmT1_PNSt15iterator_traitsIS12_E10value_typeET2_T3_PNS13_IS18_E10value_typeET4_jRbjT5_S1E_jjP12ihipStream_tbEUljE_ZNSN_ISO_Lb0ESQ_SR_ST_SU_SY_EESZ_S10_S11_S12_S16_S17_S18_S1B_S1C_jS1D_jS1E_S1E_jjS1G_bEUljE0_EEESZ_S10_S11_S18_S1C_S1E_T6_T7_T9_mT8_S1G_bDpT10_ENKUlT_T0_E_clISt17integral_constantIbLb1EES1T_IbLb0EEEEDaS1P_S1Q_EUlS1P_E_NS1_11comp_targetILNS1_3genE5ELNS1_11target_archE942ELNS1_3gpuE9ELNS1_3repE0EEENS1_30default_config_static_selectorELNS0_4arch9wavefront6targetE0EEEvS12_,"axG",@progbits,_ZN7rocprim17ROCPRIM_400000_NS6detail17trampoline_kernelINS0_13select_configILj256ELj13ELNS0_17block_load_methodE3ELS4_3ELS4_3ELNS0_20block_scan_algorithmE0ELj4294967295EEENS1_25partition_config_selectorILNS1_17partition_subalgoE4EjNS0_10empty_typeEbEEZZNS1_14partition_implILS8_4ELb0ES6_15HIP_vector_typeIjLj2EENS0_17counting_iteratorIjlEEPS9_SG_NS0_5tupleIJPjSI_NS0_16reverse_iteratorISI_EEEEENSH_IJSG_SG_SG_EEES9_SI_JZNS1_25segmented_radix_sort_implINS0_14default_configELb0EPKsPsPKlPlN2at6native12_GLOBAL__N_18offset_tEEE10hipError_tPvRmT1_PNSt15iterator_traitsIS12_E10value_typeET2_T3_PNS13_IS18_E10value_typeET4_jRbjT5_S1E_jjP12ihipStream_tbEUljE_ZNSN_ISO_Lb0ESQ_SR_ST_SU_SY_EESZ_S10_S11_S12_S16_S17_S18_S1B_S1C_jS1D_jS1E_S1E_jjS1G_bEUljE0_EEESZ_S10_S11_S18_S1C_S1E_T6_T7_T9_mT8_S1G_bDpT10_ENKUlT_T0_E_clISt17integral_constantIbLb1EES1T_IbLb0EEEEDaS1P_S1Q_EUlS1P_E_NS1_11comp_targetILNS1_3genE5ELNS1_11target_archE942ELNS1_3gpuE9ELNS1_3repE0EEENS1_30default_config_static_selectorELNS0_4arch9wavefront6targetE0EEEvS12_,comdat
.Lfunc_end962:
	.size	_ZN7rocprim17ROCPRIM_400000_NS6detail17trampoline_kernelINS0_13select_configILj256ELj13ELNS0_17block_load_methodE3ELS4_3ELS4_3ELNS0_20block_scan_algorithmE0ELj4294967295EEENS1_25partition_config_selectorILNS1_17partition_subalgoE4EjNS0_10empty_typeEbEEZZNS1_14partition_implILS8_4ELb0ES6_15HIP_vector_typeIjLj2EENS0_17counting_iteratorIjlEEPS9_SG_NS0_5tupleIJPjSI_NS0_16reverse_iteratorISI_EEEEENSH_IJSG_SG_SG_EEES9_SI_JZNS1_25segmented_radix_sort_implINS0_14default_configELb0EPKsPsPKlPlN2at6native12_GLOBAL__N_18offset_tEEE10hipError_tPvRmT1_PNSt15iterator_traitsIS12_E10value_typeET2_T3_PNS13_IS18_E10value_typeET4_jRbjT5_S1E_jjP12ihipStream_tbEUljE_ZNSN_ISO_Lb0ESQ_SR_ST_SU_SY_EESZ_S10_S11_S12_S16_S17_S18_S1B_S1C_jS1D_jS1E_S1E_jjS1G_bEUljE0_EEESZ_S10_S11_S18_S1C_S1E_T6_T7_T9_mT8_S1G_bDpT10_ENKUlT_T0_E_clISt17integral_constantIbLb1EES1T_IbLb0EEEEDaS1P_S1Q_EUlS1P_E_NS1_11comp_targetILNS1_3genE5ELNS1_11target_archE942ELNS1_3gpuE9ELNS1_3repE0EEENS1_30default_config_static_selectorELNS0_4arch9wavefront6targetE0EEEvS12_, .Lfunc_end962-_ZN7rocprim17ROCPRIM_400000_NS6detail17trampoline_kernelINS0_13select_configILj256ELj13ELNS0_17block_load_methodE3ELS4_3ELS4_3ELNS0_20block_scan_algorithmE0ELj4294967295EEENS1_25partition_config_selectorILNS1_17partition_subalgoE4EjNS0_10empty_typeEbEEZZNS1_14partition_implILS8_4ELb0ES6_15HIP_vector_typeIjLj2EENS0_17counting_iteratorIjlEEPS9_SG_NS0_5tupleIJPjSI_NS0_16reverse_iteratorISI_EEEEENSH_IJSG_SG_SG_EEES9_SI_JZNS1_25segmented_radix_sort_implINS0_14default_configELb0EPKsPsPKlPlN2at6native12_GLOBAL__N_18offset_tEEE10hipError_tPvRmT1_PNSt15iterator_traitsIS12_E10value_typeET2_T3_PNS13_IS18_E10value_typeET4_jRbjT5_S1E_jjP12ihipStream_tbEUljE_ZNSN_ISO_Lb0ESQ_SR_ST_SU_SY_EESZ_S10_S11_S12_S16_S17_S18_S1B_S1C_jS1D_jS1E_S1E_jjS1G_bEUljE0_EEESZ_S10_S11_S18_S1C_S1E_T6_T7_T9_mT8_S1G_bDpT10_ENKUlT_T0_E_clISt17integral_constantIbLb1EES1T_IbLb0EEEEDaS1P_S1Q_EUlS1P_E_NS1_11comp_targetILNS1_3genE5ELNS1_11target_archE942ELNS1_3gpuE9ELNS1_3repE0EEENS1_30default_config_static_selectorELNS0_4arch9wavefront6targetE0EEEvS12_
                                        ; -- End function
	.set _ZN7rocprim17ROCPRIM_400000_NS6detail17trampoline_kernelINS0_13select_configILj256ELj13ELNS0_17block_load_methodE3ELS4_3ELS4_3ELNS0_20block_scan_algorithmE0ELj4294967295EEENS1_25partition_config_selectorILNS1_17partition_subalgoE4EjNS0_10empty_typeEbEEZZNS1_14partition_implILS8_4ELb0ES6_15HIP_vector_typeIjLj2EENS0_17counting_iteratorIjlEEPS9_SG_NS0_5tupleIJPjSI_NS0_16reverse_iteratorISI_EEEEENSH_IJSG_SG_SG_EEES9_SI_JZNS1_25segmented_radix_sort_implINS0_14default_configELb0EPKsPsPKlPlN2at6native12_GLOBAL__N_18offset_tEEE10hipError_tPvRmT1_PNSt15iterator_traitsIS12_E10value_typeET2_T3_PNS13_IS18_E10value_typeET4_jRbjT5_S1E_jjP12ihipStream_tbEUljE_ZNSN_ISO_Lb0ESQ_SR_ST_SU_SY_EESZ_S10_S11_S12_S16_S17_S18_S1B_S1C_jS1D_jS1E_S1E_jjS1G_bEUljE0_EEESZ_S10_S11_S18_S1C_S1E_T6_T7_T9_mT8_S1G_bDpT10_ENKUlT_T0_E_clISt17integral_constantIbLb1EES1T_IbLb0EEEEDaS1P_S1Q_EUlS1P_E_NS1_11comp_targetILNS1_3genE5ELNS1_11target_archE942ELNS1_3gpuE9ELNS1_3repE0EEENS1_30default_config_static_selectorELNS0_4arch9wavefront6targetE0EEEvS12_.num_vgpr, 0
	.set _ZN7rocprim17ROCPRIM_400000_NS6detail17trampoline_kernelINS0_13select_configILj256ELj13ELNS0_17block_load_methodE3ELS4_3ELS4_3ELNS0_20block_scan_algorithmE0ELj4294967295EEENS1_25partition_config_selectorILNS1_17partition_subalgoE4EjNS0_10empty_typeEbEEZZNS1_14partition_implILS8_4ELb0ES6_15HIP_vector_typeIjLj2EENS0_17counting_iteratorIjlEEPS9_SG_NS0_5tupleIJPjSI_NS0_16reverse_iteratorISI_EEEEENSH_IJSG_SG_SG_EEES9_SI_JZNS1_25segmented_radix_sort_implINS0_14default_configELb0EPKsPsPKlPlN2at6native12_GLOBAL__N_18offset_tEEE10hipError_tPvRmT1_PNSt15iterator_traitsIS12_E10value_typeET2_T3_PNS13_IS18_E10value_typeET4_jRbjT5_S1E_jjP12ihipStream_tbEUljE_ZNSN_ISO_Lb0ESQ_SR_ST_SU_SY_EESZ_S10_S11_S12_S16_S17_S18_S1B_S1C_jS1D_jS1E_S1E_jjS1G_bEUljE0_EEESZ_S10_S11_S18_S1C_S1E_T6_T7_T9_mT8_S1G_bDpT10_ENKUlT_T0_E_clISt17integral_constantIbLb1EES1T_IbLb0EEEEDaS1P_S1Q_EUlS1P_E_NS1_11comp_targetILNS1_3genE5ELNS1_11target_archE942ELNS1_3gpuE9ELNS1_3repE0EEENS1_30default_config_static_selectorELNS0_4arch9wavefront6targetE0EEEvS12_.num_agpr, 0
	.set _ZN7rocprim17ROCPRIM_400000_NS6detail17trampoline_kernelINS0_13select_configILj256ELj13ELNS0_17block_load_methodE3ELS4_3ELS4_3ELNS0_20block_scan_algorithmE0ELj4294967295EEENS1_25partition_config_selectorILNS1_17partition_subalgoE4EjNS0_10empty_typeEbEEZZNS1_14partition_implILS8_4ELb0ES6_15HIP_vector_typeIjLj2EENS0_17counting_iteratorIjlEEPS9_SG_NS0_5tupleIJPjSI_NS0_16reverse_iteratorISI_EEEEENSH_IJSG_SG_SG_EEES9_SI_JZNS1_25segmented_radix_sort_implINS0_14default_configELb0EPKsPsPKlPlN2at6native12_GLOBAL__N_18offset_tEEE10hipError_tPvRmT1_PNSt15iterator_traitsIS12_E10value_typeET2_T3_PNS13_IS18_E10value_typeET4_jRbjT5_S1E_jjP12ihipStream_tbEUljE_ZNSN_ISO_Lb0ESQ_SR_ST_SU_SY_EESZ_S10_S11_S12_S16_S17_S18_S1B_S1C_jS1D_jS1E_S1E_jjS1G_bEUljE0_EEESZ_S10_S11_S18_S1C_S1E_T6_T7_T9_mT8_S1G_bDpT10_ENKUlT_T0_E_clISt17integral_constantIbLb1EES1T_IbLb0EEEEDaS1P_S1Q_EUlS1P_E_NS1_11comp_targetILNS1_3genE5ELNS1_11target_archE942ELNS1_3gpuE9ELNS1_3repE0EEENS1_30default_config_static_selectorELNS0_4arch9wavefront6targetE0EEEvS12_.numbered_sgpr, 0
	.set _ZN7rocprim17ROCPRIM_400000_NS6detail17trampoline_kernelINS0_13select_configILj256ELj13ELNS0_17block_load_methodE3ELS4_3ELS4_3ELNS0_20block_scan_algorithmE0ELj4294967295EEENS1_25partition_config_selectorILNS1_17partition_subalgoE4EjNS0_10empty_typeEbEEZZNS1_14partition_implILS8_4ELb0ES6_15HIP_vector_typeIjLj2EENS0_17counting_iteratorIjlEEPS9_SG_NS0_5tupleIJPjSI_NS0_16reverse_iteratorISI_EEEEENSH_IJSG_SG_SG_EEES9_SI_JZNS1_25segmented_radix_sort_implINS0_14default_configELb0EPKsPsPKlPlN2at6native12_GLOBAL__N_18offset_tEEE10hipError_tPvRmT1_PNSt15iterator_traitsIS12_E10value_typeET2_T3_PNS13_IS18_E10value_typeET4_jRbjT5_S1E_jjP12ihipStream_tbEUljE_ZNSN_ISO_Lb0ESQ_SR_ST_SU_SY_EESZ_S10_S11_S12_S16_S17_S18_S1B_S1C_jS1D_jS1E_S1E_jjS1G_bEUljE0_EEESZ_S10_S11_S18_S1C_S1E_T6_T7_T9_mT8_S1G_bDpT10_ENKUlT_T0_E_clISt17integral_constantIbLb1EES1T_IbLb0EEEEDaS1P_S1Q_EUlS1P_E_NS1_11comp_targetILNS1_3genE5ELNS1_11target_archE942ELNS1_3gpuE9ELNS1_3repE0EEENS1_30default_config_static_selectorELNS0_4arch9wavefront6targetE0EEEvS12_.num_named_barrier, 0
	.set _ZN7rocprim17ROCPRIM_400000_NS6detail17trampoline_kernelINS0_13select_configILj256ELj13ELNS0_17block_load_methodE3ELS4_3ELS4_3ELNS0_20block_scan_algorithmE0ELj4294967295EEENS1_25partition_config_selectorILNS1_17partition_subalgoE4EjNS0_10empty_typeEbEEZZNS1_14partition_implILS8_4ELb0ES6_15HIP_vector_typeIjLj2EENS0_17counting_iteratorIjlEEPS9_SG_NS0_5tupleIJPjSI_NS0_16reverse_iteratorISI_EEEEENSH_IJSG_SG_SG_EEES9_SI_JZNS1_25segmented_radix_sort_implINS0_14default_configELb0EPKsPsPKlPlN2at6native12_GLOBAL__N_18offset_tEEE10hipError_tPvRmT1_PNSt15iterator_traitsIS12_E10value_typeET2_T3_PNS13_IS18_E10value_typeET4_jRbjT5_S1E_jjP12ihipStream_tbEUljE_ZNSN_ISO_Lb0ESQ_SR_ST_SU_SY_EESZ_S10_S11_S12_S16_S17_S18_S1B_S1C_jS1D_jS1E_S1E_jjS1G_bEUljE0_EEESZ_S10_S11_S18_S1C_S1E_T6_T7_T9_mT8_S1G_bDpT10_ENKUlT_T0_E_clISt17integral_constantIbLb1EES1T_IbLb0EEEEDaS1P_S1Q_EUlS1P_E_NS1_11comp_targetILNS1_3genE5ELNS1_11target_archE942ELNS1_3gpuE9ELNS1_3repE0EEENS1_30default_config_static_selectorELNS0_4arch9wavefront6targetE0EEEvS12_.private_seg_size, 0
	.set _ZN7rocprim17ROCPRIM_400000_NS6detail17trampoline_kernelINS0_13select_configILj256ELj13ELNS0_17block_load_methodE3ELS4_3ELS4_3ELNS0_20block_scan_algorithmE0ELj4294967295EEENS1_25partition_config_selectorILNS1_17partition_subalgoE4EjNS0_10empty_typeEbEEZZNS1_14partition_implILS8_4ELb0ES6_15HIP_vector_typeIjLj2EENS0_17counting_iteratorIjlEEPS9_SG_NS0_5tupleIJPjSI_NS0_16reverse_iteratorISI_EEEEENSH_IJSG_SG_SG_EEES9_SI_JZNS1_25segmented_radix_sort_implINS0_14default_configELb0EPKsPsPKlPlN2at6native12_GLOBAL__N_18offset_tEEE10hipError_tPvRmT1_PNSt15iterator_traitsIS12_E10value_typeET2_T3_PNS13_IS18_E10value_typeET4_jRbjT5_S1E_jjP12ihipStream_tbEUljE_ZNSN_ISO_Lb0ESQ_SR_ST_SU_SY_EESZ_S10_S11_S12_S16_S17_S18_S1B_S1C_jS1D_jS1E_S1E_jjS1G_bEUljE0_EEESZ_S10_S11_S18_S1C_S1E_T6_T7_T9_mT8_S1G_bDpT10_ENKUlT_T0_E_clISt17integral_constantIbLb1EES1T_IbLb0EEEEDaS1P_S1Q_EUlS1P_E_NS1_11comp_targetILNS1_3genE5ELNS1_11target_archE942ELNS1_3gpuE9ELNS1_3repE0EEENS1_30default_config_static_selectorELNS0_4arch9wavefront6targetE0EEEvS12_.uses_vcc, 0
	.set _ZN7rocprim17ROCPRIM_400000_NS6detail17trampoline_kernelINS0_13select_configILj256ELj13ELNS0_17block_load_methodE3ELS4_3ELS4_3ELNS0_20block_scan_algorithmE0ELj4294967295EEENS1_25partition_config_selectorILNS1_17partition_subalgoE4EjNS0_10empty_typeEbEEZZNS1_14partition_implILS8_4ELb0ES6_15HIP_vector_typeIjLj2EENS0_17counting_iteratorIjlEEPS9_SG_NS0_5tupleIJPjSI_NS0_16reverse_iteratorISI_EEEEENSH_IJSG_SG_SG_EEES9_SI_JZNS1_25segmented_radix_sort_implINS0_14default_configELb0EPKsPsPKlPlN2at6native12_GLOBAL__N_18offset_tEEE10hipError_tPvRmT1_PNSt15iterator_traitsIS12_E10value_typeET2_T3_PNS13_IS18_E10value_typeET4_jRbjT5_S1E_jjP12ihipStream_tbEUljE_ZNSN_ISO_Lb0ESQ_SR_ST_SU_SY_EESZ_S10_S11_S12_S16_S17_S18_S1B_S1C_jS1D_jS1E_S1E_jjS1G_bEUljE0_EEESZ_S10_S11_S18_S1C_S1E_T6_T7_T9_mT8_S1G_bDpT10_ENKUlT_T0_E_clISt17integral_constantIbLb1EES1T_IbLb0EEEEDaS1P_S1Q_EUlS1P_E_NS1_11comp_targetILNS1_3genE5ELNS1_11target_archE942ELNS1_3gpuE9ELNS1_3repE0EEENS1_30default_config_static_selectorELNS0_4arch9wavefront6targetE0EEEvS12_.uses_flat_scratch, 0
	.set _ZN7rocprim17ROCPRIM_400000_NS6detail17trampoline_kernelINS0_13select_configILj256ELj13ELNS0_17block_load_methodE3ELS4_3ELS4_3ELNS0_20block_scan_algorithmE0ELj4294967295EEENS1_25partition_config_selectorILNS1_17partition_subalgoE4EjNS0_10empty_typeEbEEZZNS1_14partition_implILS8_4ELb0ES6_15HIP_vector_typeIjLj2EENS0_17counting_iteratorIjlEEPS9_SG_NS0_5tupleIJPjSI_NS0_16reverse_iteratorISI_EEEEENSH_IJSG_SG_SG_EEES9_SI_JZNS1_25segmented_radix_sort_implINS0_14default_configELb0EPKsPsPKlPlN2at6native12_GLOBAL__N_18offset_tEEE10hipError_tPvRmT1_PNSt15iterator_traitsIS12_E10value_typeET2_T3_PNS13_IS18_E10value_typeET4_jRbjT5_S1E_jjP12ihipStream_tbEUljE_ZNSN_ISO_Lb0ESQ_SR_ST_SU_SY_EESZ_S10_S11_S12_S16_S17_S18_S1B_S1C_jS1D_jS1E_S1E_jjS1G_bEUljE0_EEESZ_S10_S11_S18_S1C_S1E_T6_T7_T9_mT8_S1G_bDpT10_ENKUlT_T0_E_clISt17integral_constantIbLb1EES1T_IbLb0EEEEDaS1P_S1Q_EUlS1P_E_NS1_11comp_targetILNS1_3genE5ELNS1_11target_archE942ELNS1_3gpuE9ELNS1_3repE0EEENS1_30default_config_static_selectorELNS0_4arch9wavefront6targetE0EEEvS12_.has_dyn_sized_stack, 0
	.set _ZN7rocprim17ROCPRIM_400000_NS6detail17trampoline_kernelINS0_13select_configILj256ELj13ELNS0_17block_load_methodE3ELS4_3ELS4_3ELNS0_20block_scan_algorithmE0ELj4294967295EEENS1_25partition_config_selectorILNS1_17partition_subalgoE4EjNS0_10empty_typeEbEEZZNS1_14partition_implILS8_4ELb0ES6_15HIP_vector_typeIjLj2EENS0_17counting_iteratorIjlEEPS9_SG_NS0_5tupleIJPjSI_NS0_16reverse_iteratorISI_EEEEENSH_IJSG_SG_SG_EEES9_SI_JZNS1_25segmented_radix_sort_implINS0_14default_configELb0EPKsPsPKlPlN2at6native12_GLOBAL__N_18offset_tEEE10hipError_tPvRmT1_PNSt15iterator_traitsIS12_E10value_typeET2_T3_PNS13_IS18_E10value_typeET4_jRbjT5_S1E_jjP12ihipStream_tbEUljE_ZNSN_ISO_Lb0ESQ_SR_ST_SU_SY_EESZ_S10_S11_S12_S16_S17_S18_S1B_S1C_jS1D_jS1E_S1E_jjS1G_bEUljE0_EEESZ_S10_S11_S18_S1C_S1E_T6_T7_T9_mT8_S1G_bDpT10_ENKUlT_T0_E_clISt17integral_constantIbLb1EES1T_IbLb0EEEEDaS1P_S1Q_EUlS1P_E_NS1_11comp_targetILNS1_3genE5ELNS1_11target_archE942ELNS1_3gpuE9ELNS1_3repE0EEENS1_30default_config_static_selectorELNS0_4arch9wavefront6targetE0EEEvS12_.has_recursion, 0
	.set _ZN7rocprim17ROCPRIM_400000_NS6detail17trampoline_kernelINS0_13select_configILj256ELj13ELNS0_17block_load_methodE3ELS4_3ELS4_3ELNS0_20block_scan_algorithmE0ELj4294967295EEENS1_25partition_config_selectorILNS1_17partition_subalgoE4EjNS0_10empty_typeEbEEZZNS1_14partition_implILS8_4ELb0ES6_15HIP_vector_typeIjLj2EENS0_17counting_iteratorIjlEEPS9_SG_NS0_5tupleIJPjSI_NS0_16reverse_iteratorISI_EEEEENSH_IJSG_SG_SG_EEES9_SI_JZNS1_25segmented_radix_sort_implINS0_14default_configELb0EPKsPsPKlPlN2at6native12_GLOBAL__N_18offset_tEEE10hipError_tPvRmT1_PNSt15iterator_traitsIS12_E10value_typeET2_T3_PNS13_IS18_E10value_typeET4_jRbjT5_S1E_jjP12ihipStream_tbEUljE_ZNSN_ISO_Lb0ESQ_SR_ST_SU_SY_EESZ_S10_S11_S12_S16_S17_S18_S1B_S1C_jS1D_jS1E_S1E_jjS1G_bEUljE0_EEESZ_S10_S11_S18_S1C_S1E_T6_T7_T9_mT8_S1G_bDpT10_ENKUlT_T0_E_clISt17integral_constantIbLb1EES1T_IbLb0EEEEDaS1P_S1Q_EUlS1P_E_NS1_11comp_targetILNS1_3genE5ELNS1_11target_archE942ELNS1_3gpuE9ELNS1_3repE0EEENS1_30default_config_static_selectorELNS0_4arch9wavefront6targetE0EEEvS12_.has_indirect_call, 0
	.section	.AMDGPU.csdata,"",@progbits
; Kernel info:
; codeLenInByte = 0
; TotalNumSgprs: 0
; NumVgprs: 0
; ScratchSize: 0
; MemoryBound: 0
; FloatMode: 240
; IeeeMode: 1
; LDSByteSize: 0 bytes/workgroup (compile time only)
; SGPRBlocks: 0
; VGPRBlocks: 0
; NumSGPRsForWavesPerEU: 1
; NumVGPRsForWavesPerEU: 1
; NamedBarCnt: 0
; Occupancy: 16
; WaveLimiterHint : 0
; COMPUTE_PGM_RSRC2:SCRATCH_EN: 0
; COMPUTE_PGM_RSRC2:USER_SGPR: 2
; COMPUTE_PGM_RSRC2:TRAP_HANDLER: 0
; COMPUTE_PGM_RSRC2:TGID_X_EN: 1
; COMPUTE_PGM_RSRC2:TGID_Y_EN: 0
; COMPUTE_PGM_RSRC2:TGID_Z_EN: 0
; COMPUTE_PGM_RSRC2:TIDIG_COMP_CNT: 0
	.section	.text._ZN7rocprim17ROCPRIM_400000_NS6detail17trampoline_kernelINS0_13select_configILj256ELj13ELNS0_17block_load_methodE3ELS4_3ELS4_3ELNS0_20block_scan_algorithmE0ELj4294967295EEENS1_25partition_config_selectorILNS1_17partition_subalgoE4EjNS0_10empty_typeEbEEZZNS1_14partition_implILS8_4ELb0ES6_15HIP_vector_typeIjLj2EENS0_17counting_iteratorIjlEEPS9_SG_NS0_5tupleIJPjSI_NS0_16reverse_iteratorISI_EEEEENSH_IJSG_SG_SG_EEES9_SI_JZNS1_25segmented_radix_sort_implINS0_14default_configELb0EPKsPsPKlPlN2at6native12_GLOBAL__N_18offset_tEEE10hipError_tPvRmT1_PNSt15iterator_traitsIS12_E10value_typeET2_T3_PNS13_IS18_E10value_typeET4_jRbjT5_S1E_jjP12ihipStream_tbEUljE_ZNSN_ISO_Lb0ESQ_SR_ST_SU_SY_EESZ_S10_S11_S12_S16_S17_S18_S1B_S1C_jS1D_jS1E_S1E_jjS1G_bEUljE0_EEESZ_S10_S11_S18_S1C_S1E_T6_T7_T9_mT8_S1G_bDpT10_ENKUlT_T0_E_clISt17integral_constantIbLb1EES1T_IbLb0EEEEDaS1P_S1Q_EUlS1P_E_NS1_11comp_targetILNS1_3genE4ELNS1_11target_archE910ELNS1_3gpuE8ELNS1_3repE0EEENS1_30default_config_static_selectorELNS0_4arch9wavefront6targetE0EEEvS12_,"axG",@progbits,_ZN7rocprim17ROCPRIM_400000_NS6detail17trampoline_kernelINS0_13select_configILj256ELj13ELNS0_17block_load_methodE3ELS4_3ELS4_3ELNS0_20block_scan_algorithmE0ELj4294967295EEENS1_25partition_config_selectorILNS1_17partition_subalgoE4EjNS0_10empty_typeEbEEZZNS1_14partition_implILS8_4ELb0ES6_15HIP_vector_typeIjLj2EENS0_17counting_iteratorIjlEEPS9_SG_NS0_5tupleIJPjSI_NS0_16reverse_iteratorISI_EEEEENSH_IJSG_SG_SG_EEES9_SI_JZNS1_25segmented_radix_sort_implINS0_14default_configELb0EPKsPsPKlPlN2at6native12_GLOBAL__N_18offset_tEEE10hipError_tPvRmT1_PNSt15iterator_traitsIS12_E10value_typeET2_T3_PNS13_IS18_E10value_typeET4_jRbjT5_S1E_jjP12ihipStream_tbEUljE_ZNSN_ISO_Lb0ESQ_SR_ST_SU_SY_EESZ_S10_S11_S12_S16_S17_S18_S1B_S1C_jS1D_jS1E_S1E_jjS1G_bEUljE0_EEESZ_S10_S11_S18_S1C_S1E_T6_T7_T9_mT8_S1G_bDpT10_ENKUlT_T0_E_clISt17integral_constantIbLb1EES1T_IbLb0EEEEDaS1P_S1Q_EUlS1P_E_NS1_11comp_targetILNS1_3genE4ELNS1_11target_archE910ELNS1_3gpuE8ELNS1_3repE0EEENS1_30default_config_static_selectorELNS0_4arch9wavefront6targetE0EEEvS12_,comdat
	.globl	_ZN7rocprim17ROCPRIM_400000_NS6detail17trampoline_kernelINS0_13select_configILj256ELj13ELNS0_17block_load_methodE3ELS4_3ELS4_3ELNS0_20block_scan_algorithmE0ELj4294967295EEENS1_25partition_config_selectorILNS1_17partition_subalgoE4EjNS0_10empty_typeEbEEZZNS1_14partition_implILS8_4ELb0ES6_15HIP_vector_typeIjLj2EENS0_17counting_iteratorIjlEEPS9_SG_NS0_5tupleIJPjSI_NS0_16reverse_iteratorISI_EEEEENSH_IJSG_SG_SG_EEES9_SI_JZNS1_25segmented_radix_sort_implINS0_14default_configELb0EPKsPsPKlPlN2at6native12_GLOBAL__N_18offset_tEEE10hipError_tPvRmT1_PNSt15iterator_traitsIS12_E10value_typeET2_T3_PNS13_IS18_E10value_typeET4_jRbjT5_S1E_jjP12ihipStream_tbEUljE_ZNSN_ISO_Lb0ESQ_SR_ST_SU_SY_EESZ_S10_S11_S12_S16_S17_S18_S1B_S1C_jS1D_jS1E_S1E_jjS1G_bEUljE0_EEESZ_S10_S11_S18_S1C_S1E_T6_T7_T9_mT8_S1G_bDpT10_ENKUlT_T0_E_clISt17integral_constantIbLb1EES1T_IbLb0EEEEDaS1P_S1Q_EUlS1P_E_NS1_11comp_targetILNS1_3genE4ELNS1_11target_archE910ELNS1_3gpuE8ELNS1_3repE0EEENS1_30default_config_static_selectorELNS0_4arch9wavefront6targetE0EEEvS12_ ; -- Begin function _ZN7rocprim17ROCPRIM_400000_NS6detail17trampoline_kernelINS0_13select_configILj256ELj13ELNS0_17block_load_methodE3ELS4_3ELS4_3ELNS0_20block_scan_algorithmE0ELj4294967295EEENS1_25partition_config_selectorILNS1_17partition_subalgoE4EjNS0_10empty_typeEbEEZZNS1_14partition_implILS8_4ELb0ES6_15HIP_vector_typeIjLj2EENS0_17counting_iteratorIjlEEPS9_SG_NS0_5tupleIJPjSI_NS0_16reverse_iteratorISI_EEEEENSH_IJSG_SG_SG_EEES9_SI_JZNS1_25segmented_radix_sort_implINS0_14default_configELb0EPKsPsPKlPlN2at6native12_GLOBAL__N_18offset_tEEE10hipError_tPvRmT1_PNSt15iterator_traitsIS12_E10value_typeET2_T3_PNS13_IS18_E10value_typeET4_jRbjT5_S1E_jjP12ihipStream_tbEUljE_ZNSN_ISO_Lb0ESQ_SR_ST_SU_SY_EESZ_S10_S11_S12_S16_S17_S18_S1B_S1C_jS1D_jS1E_S1E_jjS1G_bEUljE0_EEESZ_S10_S11_S18_S1C_S1E_T6_T7_T9_mT8_S1G_bDpT10_ENKUlT_T0_E_clISt17integral_constantIbLb1EES1T_IbLb0EEEEDaS1P_S1Q_EUlS1P_E_NS1_11comp_targetILNS1_3genE4ELNS1_11target_archE910ELNS1_3gpuE8ELNS1_3repE0EEENS1_30default_config_static_selectorELNS0_4arch9wavefront6targetE0EEEvS12_
	.p2align	8
	.type	_ZN7rocprim17ROCPRIM_400000_NS6detail17trampoline_kernelINS0_13select_configILj256ELj13ELNS0_17block_load_methodE3ELS4_3ELS4_3ELNS0_20block_scan_algorithmE0ELj4294967295EEENS1_25partition_config_selectorILNS1_17partition_subalgoE4EjNS0_10empty_typeEbEEZZNS1_14partition_implILS8_4ELb0ES6_15HIP_vector_typeIjLj2EENS0_17counting_iteratorIjlEEPS9_SG_NS0_5tupleIJPjSI_NS0_16reverse_iteratorISI_EEEEENSH_IJSG_SG_SG_EEES9_SI_JZNS1_25segmented_radix_sort_implINS0_14default_configELb0EPKsPsPKlPlN2at6native12_GLOBAL__N_18offset_tEEE10hipError_tPvRmT1_PNSt15iterator_traitsIS12_E10value_typeET2_T3_PNS13_IS18_E10value_typeET4_jRbjT5_S1E_jjP12ihipStream_tbEUljE_ZNSN_ISO_Lb0ESQ_SR_ST_SU_SY_EESZ_S10_S11_S12_S16_S17_S18_S1B_S1C_jS1D_jS1E_S1E_jjS1G_bEUljE0_EEESZ_S10_S11_S18_S1C_S1E_T6_T7_T9_mT8_S1G_bDpT10_ENKUlT_T0_E_clISt17integral_constantIbLb1EES1T_IbLb0EEEEDaS1P_S1Q_EUlS1P_E_NS1_11comp_targetILNS1_3genE4ELNS1_11target_archE910ELNS1_3gpuE8ELNS1_3repE0EEENS1_30default_config_static_selectorELNS0_4arch9wavefront6targetE0EEEvS12_,@function
_ZN7rocprim17ROCPRIM_400000_NS6detail17trampoline_kernelINS0_13select_configILj256ELj13ELNS0_17block_load_methodE3ELS4_3ELS4_3ELNS0_20block_scan_algorithmE0ELj4294967295EEENS1_25partition_config_selectorILNS1_17partition_subalgoE4EjNS0_10empty_typeEbEEZZNS1_14partition_implILS8_4ELb0ES6_15HIP_vector_typeIjLj2EENS0_17counting_iteratorIjlEEPS9_SG_NS0_5tupleIJPjSI_NS0_16reverse_iteratorISI_EEEEENSH_IJSG_SG_SG_EEES9_SI_JZNS1_25segmented_radix_sort_implINS0_14default_configELb0EPKsPsPKlPlN2at6native12_GLOBAL__N_18offset_tEEE10hipError_tPvRmT1_PNSt15iterator_traitsIS12_E10value_typeET2_T3_PNS13_IS18_E10value_typeET4_jRbjT5_S1E_jjP12ihipStream_tbEUljE_ZNSN_ISO_Lb0ESQ_SR_ST_SU_SY_EESZ_S10_S11_S12_S16_S17_S18_S1B_S1C_jS1D_jS1E_S1E_jjS1G_bEUljE0_EEESZ_S10_S11_S18_S1C_S1E_T6_T7_T9_mT8_S1G_bDpT10_ENKUlT_T0_E_clISt17integral_constantIbLb1EES1T_IbLb0EEEEDaS1P_S1Q_EUlS1P_E_NS1_11comp_targetILNS1_3genE4ELNS1_11target_archE910ELNS1_3gpuE8ELNS1_3repE0EEENS1_30default_config_static_selectorELNS0_4arch9wavefront6targetE0EEEvS12_: ; @_ZN7rocprim17ROCPRIM_400000_NS6detail17trampoline_kernelINS0_13select_configILj256ELj13ELNS0_17block_load_methodE3ELS4_3ELS4_3ELNS0_20block_scan_algorithmE0ELj4294967295EEENS1_25partition_config_selectorILNS1_17partition_subalgoE4EjNS0_10empty_typeEbEEZZNS1_14partition_implILS8_4ELb0ES6_15HIP_vector_typeIjLj2EENS0_17counting_iteratorIjlEEPS9_SG_NS0_5tupleIJPjSI_NS0_16reverse_iteratorISI_EEEEENSH_IJSG_SG_SG_EEES9_SI_JZNS1_25segmented_radix_sort_implINS0_14default_configELb0EPKsPsPKlPlN2at6native12_GLOBAL__N_18offset_tEEE10hipError_tPvRmT1_PNSt15iterator_traitsIS12_E10value_typeET2_T3_PNS13_IS18_E10value_typeET4_jRbjT5_S1E_jjP12ihipStream_tbEUljE_ZNSN_ISO_Lb0ESQ_SR_ST_SU_SY_EESZ_S10_S11_S12_S16_S17_S18_S1B_S1C_jS1D_jS1E_S1E_jjS1G_bEUljE0_EEESZ_S10_S11_S18_S1C_S1E_T6_T7_T9_mT8_S1G_bDpT10_ENKUlT_T0_E_clISt17integral_constantIbLb1EES1T_IbLb0EEEEDaS1P_S1Q_EUlS1P_E_NS1_11comp_targetILNS1_3genE4ELNS1_11target_archE910ELNS1_3gpuE8ELNS1_3repE0EEENS1_30default_config_static_selectorELNS0_4arch9wavefront6targetE0EEEvS12_
; %bb.0:
	.section	.rodata,"a",@progbits
	.p2align	6, 0x0
	.amdhsa_kernel _ZN7rocprim17ROCPRIM_400000_NS6detail17trampoline_kernelINS0_13select_configILj256ELj13ELNS0_17block_load_methodE3ELS4_3ELS4_3ELNS0_20block_scan_algorithmE0ELj4294967295EEENS1_25partition_config_selectorILNS1_17partition_subalgoE4EjNS0_10empty_typeEbEEZZNS1_14partition_implILS8_4ELb0ES6_15HIP_vector_typeIjLj2EENS0_17counting_iteratorIjlEEPS9_SG_NS0_5tupleIJPjSI_NS0_16reverse_iteratorISI_EEEEENSH_IJSG_SG_SG_EEES9_SI_JZNS1_25segmented_radix_sort_implINS0_14default_configELb0EPKsPsPKlPlN2at6native12_GLOBAL__N_18offset_tEEE10hipError_tPvRmT1_PNSt15iterator_traitsIS12_E10value_typeET2_T3_PNS13_IS18_E10value_typeET4_jRbjT5_S1E_jjP12ihipStream_tbEUljE_ZNSN_ISO_Lb0ESQ_SR_ST_SU_SY_EESZ_S10_S11_S12_S16_S17_S18_S1B_S1C_jS1D_jS1E_S1E_jjS1G_bEUljE0_EEESZ_S10_S11_S18_S1C_S1E_T6_T7_T9_mT8_S1G_bDpT10_ENKUlT_T0_E_clISt17integral_constantIbLb1EES1T_IbLb0EEEEDaS1P_S1Q_EUlS1P_E_NS1_11comp_targetILNS1_3genE4ELNS1_11target_archE910ELNS1_3gpuE8ELNS1_3repE0EEENS1_30default_config_static_selectorELNS0_4arch9wavefront6targetE0EEEvS12_
		.amdhsa_group_segment_fixed_size 0
		.amdhsa_private_segment_fixed_size 0
		.amdhsa_kernarg_size 176
		.amdhsa_user_sgpr_count 2
		.amdhsa_user_sgpr_dispatch_ptr 0
		.amdhsa_user_sgpr_queue_ptr 0
		.amdhsa_user_sgpr_kernarg_segment_ptr 1
		.amdhsa_user_sgpr_dispatch_id 0
		.amdhsa_user_sgpr_kernarg_preload_length 0
		.amdhsa_user_sgpr_kernarg_preload_offset 0
		.amdhsa_user_sgpr_private_segment_size 0
		.amdhsa_wavefront_size32 1
		.amdhsa_uses_dynamic_stack 0
		.amdhsa_enable_private_segment 0
		.amdhsa_system_sgpr_workgroup_id_x 1
		.amdhsa_system_sgpr_workgroup_id_y 0
		.amdhsa_system_sgpr_workgroup_id_z 0
		.amdhsa_system_sgpr_workgroup_info 0
		.amdhsa_system_vgpr_workitem_id 0
		.amdhsa_next_free_vgpr 1
		.amdhsa_next_free_sgpr 1
		.amdhsa_named_barrier_count 0
		.amdhsa_reserve_vcc 0
		.amdhsa_float_round_mode_32 0
		.amdhsa_float_round_mode_16_64 0
		.amdhsa_float_denorm_mode_32 3
		.amdhsa_float_denorm_mode_16_64 3
		.amdhsa_fp16_overflow 0
		.amdhsa_memory_ordered 1
		.amdhsa_forward_progress 1
		.amdhsa_inst_pref_size 0
		.amdhsa_round_robin_scheduling 0
		.amdhsa_exception_fp_ieee_invalid_op 0
		.amdhsa_exception_fp_denorm_src 0
		.amdhsa_exception_fp_ieee_div_zero 0
		.amdhsa_exception_fp_ieee_overflow 0
		.amdhsa_exception_fp_ieee_underflow 0
		.amdhsa_exception_fp_ieee_inexact 0
		.amdhsa_exception_int_div_zero 0
	.end_amdhsa_kernel
	.section	.text._ZN7rocprim17ROCPRIM_400000_NS6detail17trampoline_kernelINS0_13select_configILj256ELj13ELNS0_17block_load_methodE3ELS4_3ELS4_3ELNS0_20block_scan_algorithmE0ELj4294967295EEENS1_25partition_config_selectorILNS1_17partition_subalgoE4EjNS0_10empty_typeEbEEZZNS1_14partition_implILS8_4ELb0ES6_15HIP_vector_typeIjLj2EENS0_17counting_iteratorIjlEEPS9_SG_NS0_5tupleIJPjSI_NS0_16reverse_iteratorISI_EEEEENSH_IJSG_SG_SG_EEES9_SI_JZNS1_25segmented_radix_sort_implINS0_14default_configELb0EPKsPsPKlPlN2at6native12_GLOBAL__N_18offset_tEEE10hipError_tPvRmT1_PNSt15iterator_traitsIS12_E10value_typeET2_T3_PNS13_IS18_E10value_typeET4_jRbjT5_S1E_jjP12ihipStream_tbEUljE_ZNSN_ISO_Lb0ESQ_SR_ST_SU_SY_EESZ_S10_S11_S12_S16_S17_S18_S1B_S1C_jS1D_jS1E_S1E_jjS1G_bEUljE0_EEESZ_S10_S11_S18_S1C_S1E_T6_T7_T9_mT8_S1G_bDpT10_ENKUlT_T0_E_clISt17integral_constantIbLb1EES1T_IbLb0EEEEDaS1P_S1Q_EUlS1P_E_NS1_11comp_targetILNS1_3genE4ELNS1_11target_archE910ELNS1_3gpuE8ELNS1_3repE0EEENS1_30default_config_static_selectorELNS0_4arch9wavefront6targetE0EEEvS12_,"axG",@progbits,_ZN7rocprim17ROCPRIM_400000_NS6detail17trampoline_kernelINS0_13select_configILj256ELj13ELNS0_17block_load_methodE3ELS4_3ELS4_3ELNS0_20block_scan_algorithmE0ELj4294967295EEENS1_25partition_config_selectorILNS1_17partition_subalgoE4EjNS0_10empty_typeEbEEZZNS1_14partition_implILS8_4ELb0ES6_15HIP_vector_typeIjLj2EENS0_17counting_iteratorIjlEEPS9_SG_NS0_5tupleIJPjSI_NS0_16reverse_iteratorISI_EEEEENSH_IJSG_SG_SG_EEES9_SI_JZNS1_25segmented_radix_sort_implINS0_14default_configELb0EPKsPsPKlPlN2at6native12_GLOBAL__N_18offset_tEEE10hipError_tPvRmT1_PNSt15iterator_traitsIS12_E10value_typeET2_T3_PNS13_IS18_E10value_typeET4_jRbjT5_S1E_jjP12ihipStream_tbEUljE_ZNSN_ISO_Lb0ESQ_SR_ST_SU_SY_EESZ_S10_S11_S12_S16_S17_S18_S1B_S1C_jS1D_jS1E_S1E_jjS1G_bEUljE0_EEESZ_S10_S11_S18_S1C_S1E_T6_T7_T9_mT8_S1G_bDpT10_ENKUlT_T0_E_clISt17integral_constantIbLb1EES1T_IbLb0EEEEDaS1P_S1Q_EUlS1P_E_NS1_11comp_targetILNS1_3genE4ELNS1_11target_archE910ELNS1_3gpuE8ELNS1_3repE0EEENS1_30default_config_static_selectorELNS0_4arch9wavefront6targetE0EEEvS12_,comdat
.Lfunc_end963:
	.size	_ZN7rocprim17ROCPRIM_400000_NS6detail17trampoline_kernelINS0_13select_configILj256ELj13ELNS0_17block_load_methodE3ELS4_3ELS4_3ELNS0_20block_scan_algorithmE0ELj4294967295EEENS1_25partition_config_selectorILNS1_17partition_subalgoE4EjNS0_10empty_typeEbEEZZNS1_14partition_implILS8_4ELb0ES6_15HIP_vector_typeIjLj2EENS0_17counting_iteratorIjlEEPS9_SG_NS0_5tupleIJPjSI_NS0_16reverse_iteratorISI_EEEEENSH_IJSG_SG_SG_EEES9_SI_JZNS1_25segmented_radix_sort_implINS0_14default_configELb0EPKsPsPKlPlN2at6native12_GLOBAL__N_18offset_tEEE10hipError_tPvRmT1_PNSt15iterator_traitsIS12_E10value_typeET2_T3_PNS13_IS18_E10value_typeET4_jRbjT5_S1E_jjP12ihipStream_tbEUljE_ZNSN_ISO_Lb0ESQ_SR_ST_SU_SY_EESZ_S10_S11_S12_S16_S17_S18_S1B_S1C_jS1D_jS1E_S1E_jjS1G_bEUljE0_EEESZ_S10_S11_S18_S1C_S1E_T6_T7_T9_mT8_S1G_bDpT10_ENKUlT_T0_E_clISt17integral_constantIbLb1EES1T_IbLb0EEEEDaS1P_S1Q_EUlS1P_E_NS1_11comp_targetILNS1_3genE4ELNS1_11target_archE910ELNS1_3gpuE8ELNS1_3repE0EEENS1_30default_config_static_selectorELNS0_4arch9wavefront6targetE0EEEvS12_, .Lfunc_end963-_ZN7rocprim17ROCPRIM_400000_NS6detail17trampoline_kernelINS0_13select_configILj256ELj13ELNS0_17block_load_methodE3ELS4_3ELS4_3ELNS0_20block_scan_algorithmE0ELj4294967295EEENS1_25partition_config_selectorILNS1_17partition_subalgoE4EjNS0_10empty_typeEbEEZZNS1_14partition_implILS8_4ELb0ES6_15HIP_vector_typeIjLj2EENS0_17counting_iteratorIjlEEPS9_SG_NS0_5tupleIJPjSI_NS0_16reverse_iteratorISI_EEEEENSH_IJSG_SG_SG_EEES9_SI_JZNS1_25segmented_radix_sort_implINS0_14default_configELb0EPKsPsPKlPlN2at6native12_GLOBAL__N_18offset_tEEE10hipError_tPvRmT1_PNSt15iterator_traitsIS12_E10value_typeET2_T3_PNS13_IS18_E10value_typeET4_jRbjT5_S1E_jjP12ihipStream_tbEUljE_ZNSN_ISO_Lb0ESQ_SR_ST_SU_SY_EESZ_S10_S11_S12_S16_S17_S18_S1B_S1C_jS1D_jS1E_S1E_jjS1G_bEUljE0_EEESZ_S10_S11_S18_S1C_S1E_T6_T7_T9_mT8_S1G_bDpT10_ENKUlT_T0_E_clISt17integral_constantIbLb1EES1T_IbLb0EEEEDaS1P_S1Q_EUlS1P_E_NS1_11comp_targetILNS1_3genE4ELNS1_11target_archE910ELNS1_3gpuE8ELNS1_3repE0EEENS1_30default_config_static_selectorELNS0_4arch9wavefront6targetE0EEEvS12_
                                        ; -- End function
	.set _ZN7rocprim17ROCPRIM_400000_NS6detail17trampoline_kernelINS0_13select_configILj256ELj13ELNS0_17block_load_methodE3ELS4_3ELS4_3ELNS0_20block_scan_algorithmE0ELj4294967295EEENS1_25partition_config_selectorILNS1_17partition_subalgoE4EjNS0_10empty_typeEbEEZZNS1_14partition_implILS8_4ELb0ES6_15HIP_vector_typeIjLj2EENS0_17counting_iteratorIjlEEPS9_SG_NS0_5tupleIJPjSI_NS0_16reverse_iteratorISI_EEEEENSH_IJSG_SG_SG_EEES9_SI_JZNS1_25segmented_radix_sort_implINS0_14default_configELb0EPKsPsPKlPlN2at6native12_GLOBAL__N_18offset_tEEE10hipError_tPvRmT1_PNSt15iterator_traitsIS12_E10value_typeET2_T3_PNS13_IS18_E10value_typeET4_jRbjT5_S1E_jjP12ihipStream_tbEUljE_ZNSN_ISO_Lb0ESQ_SR_ST_SU_SY_EESZ_S10_S11_S12_S16_S17_S18_S1B_S1C_jS1D_jS1E_S1E_jjS1G_bEUljE0_EEESZ_S10_S11_S18_S1C_S1E_T6_T7_T9_mT8_S1G_bDpT10_ENKUlT_T0_E_clISt17integral_constantIbLb1EES1T_IbLb0EEEEDaS1P_S1Q_EUlS1P_E_NS1_11comp_targetILNS1_3genE4ELNS1_11target_archE910ELNS1_3gpuE8ELNS1_3repE0EEENS1_30default_config_static_selectorELNS0_4arch9wavefront6targetE0EEEvS12_.num_vgpr, 0
	.set _ZN7rocprim17ROCPRIM_400000_NS6detail17trampoline_kernelINS0_13select_configILj256ELj13ELNS0_17block_load_methodE3ELS4_3ELS4_3ELNS0_20block_scan_algorithmE0ELj4294967295EEENS1_25partition_config_selectorILNS1_17partition_subalgoE4EjNS0_10empty_typeEbEEZZNS1_14partition_implILS8_4ELb0ES6_15HIP_vector_typeIjLj2EENS0_17counting_iteratorIjlEEPS9_SG_NS0_5tupleIJPjSI_NS0_16reverse_iteratorISI_EEEEENSH_IJSG_SG_SG_EEES9_SI_JZNS1_25segmented_radix_sort_implINS0_14default_configELb0EPKsPsPKlPlN2at6native12_GLOBAL__N_18offset_tEEE10hipError_tPvRmT1_PNSt15iterator_traitsIS12_E10value_typeET2_T3_PNS13_IS18_E10value_typeET4_jRbjT5_S1E_jjP12ihipStream_tbEUljE_ZNSN_ISO_Lb0ESQ_SR_ST_SU_SY_EESZ_S10_S11_S12_S16_S17_S18_S1B_S1C_jS1D_jS1E_S1E_jjS1G_bEUljE0_EEESZ_S10_S11_S18_S1C_S1E_T6_T7_T9_mT8_S1G_bDpT10_ENKUlT_T0_E_clISt17integral_constantIbLb1EES1T_IbLb0EEEEDaS1P_S1Q_EUlS1P_E_NS1_11comp_targetILNS1_3genE4ELNS1_11target_archE910ELNS1_3gpuE8ELNS1_3repE0EEENS1_30default_config_static_selectorELNS0_4arch9wavefront6targetE0EEEvS12_.num_agpr, 0
	.set _ZN7rocprim17ROCPRIM_400000_NS6detail17trampoline_kernelINS0_13select_configILj256ELj13ELNS0_17block_load_methodE3ELS4_3ELS4_3ELNS0_20block_scan_algorithmE0ELj4294967295EEENS1_25partition_config_selectorILNS1_17partition_subalgoE4EjNS0_10empty_typeEbEEZZNS1_14partition_implILS8_4ELb0ES6_15HIP_vector_typeIjLj2EENS0_17counting_iteratorIjlEEPS9_SG_NS0_5tupleIJPjSI_NS0_16reverse_iteratorISI_EEEEENSH_IJSG_SG_SG_EEES9_SI_JZNS1_25segmented_radix_sort_implINS0_14default_configELb0EPKsPsPKlPlN2at6native12_GLOBAL__N_18offset_tEEE10hipError_tPvRmT1_PNSt15iterator_traitsIS12_E10value_typeET2_T3_PNS13_IS18_E10value_typeET4_jRbjT5_S1E_jjP12ihipStream_tbEUljE_ZNSN_ISO_Lb0ESQ_SR_ST_SU_SY_EESZ_S10_S11_S12_S16_S17_S18_S1B_S1C_jS1D_jS1E_S1E_jjS1G_bEUljE0_EEESZ_S10_S11_S18_S1C_S1E_T6_T7_T9_mT8_S1G_bDpT10_ENKUlT_T0_E_clISt17integral_constantIbLb1EES1T_IbLb0EEEEDaS1P_S1Q_EUlS1P_E_NS1_11comp_targetILNS1_3genE4ELNS1_11target_archE910ELNS1_3gpuE8ELNS1_3repE0EEENS1_30default_config_static_selectorELNS0_4arch9wavefront6targetE0EEEvS12_.numbered_sgpr, 0
	.set _ZN7rocprim17ROCPRIM_400000_NS6detail17trampoline_kernelINS0_13select_configILj256ELj13ELNS0_17block_load_methodE3ELS4_3ELS4_3ELNS0_20block_scan_algorithmE0ELj4294967295EEENS1_25partition_config_selectorILNS1_17partition_subalgoE4EjNS0_10empty_typeEbEEZZNS1_14partition_implILS8_4ELb0ES6_15HIP_vector_typeIjLj2EENS0_17counting_iteratorIjlEEPS9_SG_NS0_5tupleIJPjSI_NS0_16reverse_iteratorISI_EEEEENSH_IJSG_SG_SG_EEES9_SI_JZNS1_25segmented_radix_sort_implINS0_14default_configELb0EPKsPsPKlPlN2at6native12_GLOBAL__N_18offset_tEEE10hipError_tPvRmT1_PNSt15iterator_traitsIS12_E10value_typeET2_T3_PNS13_IS18_E10value_typeET4_jRbjT5_S1E_jjP12ihipStream_tbEUljE_ZNSN_ISO_Lb0ESQ_SR_ST_SU_SY_EESZ_S10_S11_S12_S16_S17_S18_S1B_S1C_jS1D_jS1E_S1E_jjS1G_bEUljE0_EEESZ_S10_S11_S18_S1C_S1E_T6_T7_T9_mT8_S1G_bDpT10_ENKUlT_T0_E_clISt17integral_constantIbLb1EES1T_IbLb0EEEEDaS1P_S1Q_EUlS1P_E_NS1_11comp_targetILNS1_3genE4ELNS1_11target_archE910ELNS1_3gpuE8ELNS1_3repE0EEENS1_30default_config_static_selectorELNS0_4arch9wavefront6targetE0EEEvS12_.num_named_barrier, 0
	.set _ZN7rocprim17ROCPRIM_400000_NS6detail17trampoline_kernelINS0_13select_configILj256ELj13ELNS0_17block_load_methodE3ELS4_3ELS4_3ELNS0_20block_scan_algorithmE0ELj4294967295EEENS1_25partition_config_selectorILNS1_17partition_subalgoE4EjNS0_10empty_typeEbEEZZNS1_14partition_implILS8_4ELb0ES6_15HIP_vector_typeIjLj2EENS0_17counting_iteratorIjlEEPS9_SG_NS0_5tupleIJPjSI_NS0_16reverse_iteratorISI_EEEEENSH_IJSG_SG_SG_EEES9_SI_JZNS1_25segmented_radix_sort_implINS0_14default_configELb0EPKsPsPKlPlN2at6native12_GLOBAL__N_18offset_tEEE10hipError_tPvRmT1_PNSt15iterator_traitsIS12_E10value_typeET2_T3_PNS13_IS18_E10value_typeET4_jRbjT5_S1E_jjP12ihipStream_tbEUljE_ZNSN_ISO_Lb0ESQ_SR_ST_SU_SY_EESZ_S10_S11_S12_S16_S17_S18_S1B_S1C_jS1D_jS1E_S1E_jjS1G_bEUljE0_EEESZ_S10_S11_S18_S1C_S1E_T6_T7_T9_mT8_S1G_bDpT10_ENKUlT_T0_E_clISt17integral_constantIbLb1EES1T_IbLb0EEEEDaS1P_S1Q_EUlS1P_E_NS1_11comp_targetILNS1_3genE4ELNS1_11target_archE910ELNS1_3gpuE8ELNS1_3repE0EEENS1_30default_config_static_selectorELNS0_4arch9wavefront6targetE0EEEvS12_.private_seg_size, 0
	.set _ZN7rocprim17ROCPRIM_400000_NS6detail17trampoline_kernelINS0_13select_configILj256ELj13ELNS0_17block_load_methodE3ELS4_3ELS4_3ELNS0_20block_scan_algorithmE0ELj4294967295EEENS1_25partition_config_selectorILNS1_17partition_subalgoE4EjNS0_10empty_typeEbEEZZNS1_14partition_implILS8_4ELb0ES6_15HIP_vector_typeIjLj2EENS0_17counting_iteratorIjlEEPS9_SG_NS0_5tupleIJPjSI_NS0_16reverse_iteratorISI_EEEEENSH_IJSG_SG_SG_EEES9_SI_JZNS1_25segmented_radix_sort_implINS0_14default_configELb0EPKsPsPKlPlN2at6native12_GLOBAL__N_18offset_tEEE10hipError_tPvRmT1_PNSt15iterator_traitsIS12_E10value_typeET2_T3_PNS13_IS18_E10value_typeET4_jRbjT5_S1E_jjP12ihipStream_tbEUljE_ZNSN_ISO_Lb0ESQ_SR_ST_SU_SY_EESZ_S10_S11_S12_S16_S17_S18_S1B_S1C_jS1D_jS1E_S1E_jjS1G_bEUljE0_EEESZ_S10_S11_S18_S1C_S1E_T6_T7_T9_mT8_S1G_bDpT10_ENKUlT_T0_E_clISt17integral_constantIbLb1EES1T_IbLb0EEEEDaS1P_S1Q_EUlS1P_E_NS1_11comp_targetILNS1_3genE4ELNS1_11target_archE910ELNS1_3gpuE8ELNS1_3repE0EEENS1_30default_config_static_selectorELNS0_4arch9wavefront6targetE0EEEvS12_.uses_vcc, 0
	.set _ZN7rocprim17ROCPRIM_400000_NS6detail17trampoline_kernelINS0_13select_configILj256ELj13ELNS0_17block_load_methodE3ELS4_3ELS4_3ELNS0_20block_scan_algorithmE0ELj4294967295EEENS1_25partition_config_selectorILNS1_17partition_subalgoE4EjNS0_10empty_typeEbEEZZNS1_14partition_implILS8_4ELb0ES6_15HIP_vector_typeIjLj2EENS0_17counting_iteratorIjlEEPS9_SG_NS0_5tupleIJPjSI_NS0_16reverse_iteratorISI_EEEEENSH_IJSG_SG_SG_EEES9_SI_JZNS1_25segmented_radix_sort_implINS0_14default_configELb0EPKsPsPKlPlN2at6native12_GLOBAL__N_18offset_tEEE10hipError_tPvRmT1_PNSt15iterator_traitsIS12_E10value_typeET2_T3_PNS13_IS18_E10value_typeET4_jRbjT5_S1E_jjP12ihipStream_tbEUljE_ZNSN_ISO_Lb0ESQ_SR_ST_SU_SY_EESZ_S10_S11_S12_S16_S17_S18_S1B_S1C_jS1D_jS1E_S1E_jjS1G_bEUljE0_EEESZ_S10_S11_S18_S1C_S1E_T6_T7_T9_mT8_S1G_bDpT10_ENKUlT_T0_E_clISt17integral_constantIbLb1EES1T_IbLb0EEEEDaS1P_S1Q_EUlS1P_E_NS1_11comp_targetILNS1_3genE4ELNS1_11target_archE910ELNS1_3gpuE8ELNS1_3repE0EEENS1_30default_config_static_selectorELNS0_4arch9wavefront6targetE0EEEvS12_.uses_flat_scratch, 0
	.set _ZN7rocprim17ROCPRIM_400000_NS6detail17trampoline_kernelINS0_13select_configILj256ELj13ELNS0_17block_load_methodE3ELS4_3ELS4_3ELNS0_20block_scan_algorithmE0ELj4294967295EEENS1_25partition_config_selectorILNS1_17partition_subalgoE4EjNS0_10empty_typeEbEEZZNS1_14partition_implILS8_4ELb0ES6_15HIP_vector_typeIjLj2EENS0_17counting_iteratorIjlEEPS9_SG_NS0_5tupleIJPjSI_NS0_16reverse_iteratorISI_EEEEENSH_IJSG_SG_SG_EEES9_SI_JZNS1_25segmented_radix_sort_implINS0_14default_configELb0EPKsPsPKlPlN2at6native12_GLOBAL__N_18offset_tEEE10hipError_tPvRmT1_PNSt15iterator_traitsIS12_E10value_typeET2_T3_PNS13_IS18_E10value_typeET4_jRbjT5_S1E_jjP12ihipStream_tbEUljE_ZNSN_ISO_Lb0ESQ_SR_ST_SU_SY_EESZ_S10_S11_S12_S16_S17_S18_S1B_S1C_jS1D_jS1E_S1E_jjS1G_bEUljE0_EEESZ_S10_S11_S18_S1C_S1E_T6_T7_T9_mT8_S1G_bDpT10_ENKUlT_T0_E_clISt17integral_constantIbLb1EES1T_IbLb0EEEEDaS1P_S1Q_EUlS1P_E_NS1_11comp_targetILNS1_3genE4ELNS1_11target_archE910ELNS1_3gpuE8ELNS1_3repE0EEENS1_30default_config_static_selectorELNS0_4arch9wavefront6targetE0EEEvS12_.has_dyn_sized_stack, 0
	.set _ZN7rocprim17ROCPRIM_400000_NS6detail17trampoline_kernelINS0_13select_configILj256ELj13ELNS0_17block_load_methodE3ELS4_3ELS4_3ELNS0_20block_scan_algorithmE0ELj4294967295EEENS1_25partition_config_selectorILNS1_17partition_subalgoE4EjNS0_10empty_typeEbEEZZNS1_14partition_implILS8_4ELb0ES6_15HIP_vector_typeIjLj2EENS0_17counting_iteratorIjlEEPS9_SG_NS0_5tupleIJPjSI_NS0_16reverse_iteratorISI_EEEEENSH_IJSG_SG_SG_EEES9_SI_JZNS1_25segmented_radix_sort_implINS0_14default_configELb0EPKsPsPKlPlN2at6native12_GLOBAL__N_18offset_tEEE10hipError_tPvRmT1_PNSt15iterator_traitsIS12_E10value_typeET2_T3_PNS13_IS18_E10value_typeET4_jRbjT5_S1E_jjP12ihipStream_tbEUljE_ZNSN_ISO_Lb0ESQ_SR_ST_SU_SY_EESZ_S10_S11_S12_S16_S17_S18_S1B_S1C_jS1D_jS1E_S1E_jjS1G_bEUljE0_EEESZ_S10_S11_S18_S1C_S1E_T6_T7_T9_mT8_S1G_bDpT10_ENKUlT_T0_E_clISt17integral_constantIbLb1EES1T_IbLb0EEEEDaS1P_S1Q_EUlS1P_E_NS1_11comp_targetILNS1_3genE4ELNS1_11target_archE910ELNS1_3gpuE8ELNS1_3repE0EEENS1_30default_config_static_selectorELNS0_4arch9wavefront6targetE0EEEvS12_.has_recursion, 0
	.set _ZN7rocprim17ROCPRIM_400000_NS6detail17trampoline_kernelINS0_13select_configILj256ELj13ELNS0_17block_load_methodE3ELS4_3ELS4_3ELNS0_20block_scan_algorithmE0ELj4294967295EEENS1_25partition_config_selectorILNS1_17partition_subalgoE4EjNS0_10empty_typeEbEEZZNS1_14partition_implILS8_4ELb0ES6_15HIP_vector_typeIjLj2EENS0_17counting_iteratorIjlEEPS9_SG_NS0_5tupleIJPjSI_NS0_16reverse_iteratorISI_EEEEENSH_IJSG_SG_SG_EEES9_SI_JZNS1_25segmented_radix_sort_implINS0_14default_configELb0EPKsPsPKlPlN2at6native12_GLOBAL__N_18offset_tEEE10hipError_tPvRmT1_PNSt15iterator_traitsIS12_E10value_typeET2_T3_PNS13_IS18_E10value_typeET4_jRbjT5_S1E_jjP12ihipStream_tbEUljE_ZNSN_ISO_Lb0ESQ_SR_ST_SU_SY_EESZ_S10_S11_S12_S16_S17_S18_S1B_S1C_jS1D_jS1E_S1E_jjS1G_bEUljE0_EEESZ_S10_S11_S18_S1C_S1E_T6_T7_T9_mT8_S1G_bDpT10_ENKUlT_T0_E_clISt17integral_constantIbLb1EES1T_IbLb0EEEEDaS1P_S1Q_EUlS1P_E_NS1_11comp_targetILNS1_3genE4ELNS1_11target_archE910ELNS1_3gpuE8ELNS1_3repE0EEENS1_30default_config_static_selectorELNS0_4arch9wavefront6targetE0EEEvS12_.has_indirect_call, 0
	.section	.AMDGPU.csdata,"",@progbits
; Kernel info:
; codeLenInByte = 0
; TotalNumSgprs: 0
; NumVgprs: 0
; ScratchSize: 0
; MemoryBound: 0
; FloatMode: 240
; IeeeMode: 1
; LDSByteSize: 0 bytes/workgroup (compile time only)
; SGPRBlocks: 0
; VGPRBlocks: 0
; NumSGPRsForWavesPerEU: 1
; NumVGPRsForWavesPerEU: 1
; NamedBarCnt: 0
; Occupancy: 16
; WaveLimiterHint : 0
; COMPUTE_PGM_RSRC2:SCRATCH_EN: 0
; COMPUTE_PGM_RSRC2:USER_SGPR: 2
; COMPUTE_PGM_RSRC2:TRAP_HANDLER: 0
; COMPUTE_PGM_RSRC2:TGID_X_EN: 1
; COMPUTE_PGM_RSRC2:TGID_Y_EN: 0
; COMPUTE_PGM_RSRC2:TGID_Z_EN: 0
; COMPUTE_PGM_RSRC2:TIDIG_COMP_CNT: 0
	.section	.text._ZN7rocprim17ROCPRIM_400000_NS6detail17trampoline_kernelINS0_13select_configILj256ELj13ELNS0_17block_load_methodE3ELS4_3ELS4_3ELNS0_20block_scan_algorithmE0ELj4294967295EEENS1_25partition_config_selectorILNS1_17partition_subalgoE4EjNS0_10empty_typeEbEEZZNS1_14partition_implILS8_4ELb0ES6_15HIP_vector_typeIjLj2EENS0_17counting_iteratorIjlEEPS9_SG_NS0_5tupleIJPjSI_NS0_16reverse_iteratorISI_EEEEENSH_IJSG_SG_SG_EEES9_SI_JZNS1_25segmented_radix_sort_implINS0_14default_configELb0EPKsPsPKlPlN2at6native12_GLOBAL__N_18offset_tEEE10hipError_tPvRmT1_PNSt15iterator_traitsIS12_E10value_typeET2_T3_PNS13_IS18_E10value_typeET4_jRbjT5_S1E_jjP12ihipStream_tbEUljE_ZNSN_ISO_Lb0ESQ_SR_ST_SU_SY_EESZ_S10_S11_S12_S16_S17_S18_S1B_S1C_jS1D_jS1E_S1E_jjS1G_bEUljE0_EEESZ_S10_S11_S18_S1C_S1E_T6_T7_T9_mT8_S1G_bDpT10_ENKUlT_T0_E_clISt17integral_constantIbLb1EES1T_IbLb0EEEEDaS1P_S1Q_EUlS1P_E_NS1_11comp_targetILNS1_3genE3ELNS1_11target_archE908ELNS1_3gpuE7ELNS1_3repE0EEENS1_30default_config_static_selectorELNS0_4arch9wavefront6targetE0EEEvS12_,"axG",@progbits,_ZN7rocprim17ROCPRIM_400000_NS6detail17trampoline_kernelINS0_13select_configILj256ELj13ELNS0_17block_load_methodE3ELS4_3ELS4_3ELNS0_20block_scan_algorithmE0ELj4294967295EEENS1_25partition_config_selectorILNS1_17partition_subalgoE4EjNS0_10empty_typeEbEEZZNS1_14partition_implILS8_4ELb0ES6_15HIP_vector_typeIjLj2EENS0_17counting_iteratorIjlEEPS9_SG_NS0_5tupleIJPjSI_NS0_16reverse_iteratorISI_EEEEENSH_IJSG_SG_SG_EEES9_SI_JZNS1_25segmented_radix_sort_implINS0_14default_configELb0EPKsPsPKlPlN2at6native12_GLOBAL__N_18offset_tEEE10hipError_tPvRmT1_PNSt15iterator_traitsIS12_E10value_typeET2_T3_PNS13_IS18_E10value_typeET4_jRbjT5_S1E_jjP12ihipStream_tbEUljE_ZNSN_ISO_Lb0ESQ_SR_ST_SU_SY_EESZ_S10_S11_S12_S16_S17_S18_S1B_S1C_jS1D_jS1E_S1E_jjS1G_bEUljE0_EEESZ_S10_S11_S18_S1C_S1E_T6_T7_T9_mT8_S1G_bDpT10_ENKUlT_T0_E_clISt17integral_constantIbLb1EES1T_IbLb0EEEEDaS1P_S1Q_EUlS1P_E_NS1_11comp_targetILNS1_3genE3ELNS1_11target_archE908ELNS1_3gpuE7ELNS1_3repE0EEENS1_30default_config_static_selectorELNS0_4arch9wavefront6targetE0EEEvS12_,comdat
	.globl	_ZN7rocprim17ROCPRIM_400000_NS6detail17trampoline_kernelINS0_13select_configILj256ELj13ELNS0_17block_load_methodE3ELS4_3ELS4_3ELNS0_20block_scan_algorithmE0ELj4294967295EEENS1_25partition_config_selectorILNS1_17partition_subalgoE4EjNS0_10empty_typeEbEEZZNS1_14partition_implILS8_4ELb0ES6_15HIP_vector_typeIjLj2EENS0_17counting_iteratorIjlEEPS9_SG_NS0_5tupleIJPjSI_NS0_16reverse_iteratorISI_EEEEENSH_IJSG_SG_SG_EEES9_SI_JZNS1_25segmented_radix_sort_implINS0_14default_configELb0EPKsPsPKlPlN2at6native12_GLOBAL__N_18offset_tEEE10hipError_tPvRmT1_PNSt15iterator_traitsIS12_E10value_typeET2_T3_PNS13_IS18_E10value_typeET4_jRbjT5_S1E_jjP12ihipStream_tbEUljE_ZNSN_ISO_Lb0ESQ_SR_ST_SU_SY_EESZ_S10_S11_S12_S16_S17_S18_S1B_S1C_jS1D_jS1E_S1E_jjS1G_bEUljE0_EEESZ_S10_S11_S18_S1C_S1E_T6_T7_T9_mT8_S1G_bDpT10_ENKUlT_T0_E_clISt17integral_constantIbLb1EES1T_IbLb0EEEEDaS1P_S1Q_EUlS1P_E_NS1_11comp_targetILNS1_3genE3ELNS1_11target_archE908ELNS1_3gpuE7ELNS1_3repE0EEENS1_30default_config_static_selectorELNS0_4arch9wavefront6targetE0EEEvS12_ ; -- Begin function _ZN7rocprim17ROCPRIM_400000_NS6detail17trampoline_kernelINS0_13select_configILj256ELj13ELNS0_17block_load_methodE3ELS4_3ELS4_3ELNS0_20block_scan_algorithmE0ELj4294967295EEENS1_25partition_config_selectorILNS1_17partition_subalgoE4EjNS0_10empty_typeEbEEZZNS1_14partition_implILS8_4ELb0ES6_15HIP_vector_typeIjLj2EENS0_17counting_iteratorIjlEEPS9_SG_NS0_5tupleIJPjSI_NS0_16reverse_iteratorISI_EEEEENSH_IJSG_SG_SG_EEES9_SI_JZNS1_25segmented_radix_sort_implINS0_14default_configELb0EPKsPsPKlPlN2at6native12_GLOBAL__N_18offset_tEEE10hipError_tPvRmT1_PNSt15iterator_traitsIS12_E10value_typeET2_T3_PNS13_IS18_E10value_typeET4_jRbjT5_S1E_jjP12ihipStream_tbEUljE_ZNSN_ISO_Lb0ESQ_SR_ST_SU_SY_EESZ_S10_S11_S12_S16_S17_S18_S1B_S1C_jS1D_jS1E_S1E_jjS1G_bEUljE0_EEESZ_S10_S11_S18_S1C_S1E_T6_T7_T9_mT8_S1G_bDpT10_ENKUlT_T0_E_clISt17integral_constantIbLb1EES1T_IbLb0EEEEDaS1P_S1Q_EUlS1P_E_NS1_11comp_targetILNS1_3genE3ELNS1_11target_archE908ELNS1_3gpuE7ELNS1_3repE0EEENS1_30default_config_static_selectorELNS0_4arch9wavefront6targetE0EEEvS12_
	.p2align	8
	.type	_ZN7rocprim17ROCPRIM_400000_NS6detail17trampoline_kernelINS0_13select_configILj256ELj13ELNS0_17block_load_methodE3ELS4_3ELS4_3ELNS0_20block_scan_algorithmE0ELj4294967295EEENS1_25partition_config_selectorILNS1_17partition_subalgoE4EjNS0_10empty_typeEbEEZZNS1_14partition_implILS8_4ELb0ES6_15HIP_vector_typeIjLj2EENS0_17counting_iteratorIjlEEPS9_SG_NS0_5tupleIJPjSI_NS0_16reverse_iteratorISI_EEEEENSH_IJSG_SG_SG_EEES9_SI_JZNS1_25segmented_radix_sort_implINS0_14default_configELb0EPKsPsPKlPlN2at6native12_GLOBAL__N_18offset_tEEE10hipError_tPvRmT1_PNSt15iterator_traitsIS12_E10value_typeET2_T3_PNS13_IS18_E10value_typeET4_jRbjT5_S1E_jjP12ihipStream_tbEUljE_ZNSN_ISO_Lb0ESQ_SR_ST_SU_SY_EESZ_S10_S11_S12_S16_S17_S18_S1B_S1C_jS1D_jS1E_S1E_jjS1G_bEUljE0_EEESZ_S10_S11_S18_S1C_S1E_T6_T7_T9_mT8_S1G_bDpT10_ENKUlT_T0_E_clISt17integral_constantIbLb1EES1T_IbLb0EEEEDaS1P_S1Q_EUlS1P_E_NS1_11comp_targetILNS1_3genE3ELNS1_11target_archE908ELNS1_3gpuE7ELNS1_3repE0EEENS1_30default_config_static_selectorELNS0_4arch9wavefront6targetE0EEEvS12_,@function
_ZN7rocprim17ROCPRIM_400000_NS6detail17trampoline_kernelINS0_13select_configILj256ELj13ELNS0_17block_load_methodE3ELS4_3ELS4_3ELNS0_20block_scan_algorithmE0ELj4294967295EEENS1_25partition_config_selectorILNS1_17partition_subalgoE4EjNS0_10empty_typeEbEEZZNS1_14partition_implILS8_4ELb0ES6_15HIP_vector_typeIjLj2EENS0_17counting_iteratorIjlEEPS9_SG_NS0_5tupleIJPjSI_NS0_16reverse_iteratorISI_EEEEENSH_IJSG_SG_SG_EEES9_SI_JZNS1_25segmented_radix_sort_implINS0_14default_configELb0EPKsPsPKlPlN2at6native12_GLOBAL__N_18offset_tEEE10hipError_tPvRmT1_PNSt15iterator_traitsIS12_E10value_typeET2_T3_PNS13_IS18_E10value_typeET4_jRbjT5_S1E_jjP12ihipStream_tbEUljE_ZNSN_ISO_Lb0ESQ_SR_ST_SU_SY_EESZ_S10_S11_S12_S16_S17_S18_S1B_S1C_jS1D_jS1E_S1E_jjS1G_bEUljE0_EEESZ_S10_S11_S18_S1C_S1E_T6_T7_T9_mT8_S1G_bDpT10_ENKUlT_T0_E_clISt17integral_constantIbLb1EES1T_IbLb0EEEEDaS1P_S1Q_EUlS1P_E_NS1_11comp_targetILNS1_3genE3ELNS1_11target_archE908ELNS1_3gpuE7ELNS1_3repE0EEENS1_30default_config_static_selectorELNS0_4arch9wavefront6targetE0EEEvS12_: ; @_ZN7rocprim17ROCPRIM_400000_NS6detail17trampoline_kernelINS0_13select_configILj256ELj13ELNS0_17block_load_methodE3ELS4_3ELS4_3ELNS0_20block_scan_algorithmE0ELj4294967295EEENS1_25partition_config_selectorILNS1_17partition_subalgoE4EjNS0_10empty_typeEbEEZZNS1_14partition_implILS8_4ELb0ES6_15HIP_vector_typeIjLj2EENS0_17counting_iteratorIjlEEPS9_SG_NS0_5tupleIJPjSI_NS0_16reverse_iteratorISI_EEEEENSH_IJSG_SG_SG_EEES9_SI_JZNS1_25segmented_radix_sort_implINS0_14default_configELb0EPKsPsPKlPlN2at6native12_GLOBAL__N_18offset_tEEE10hipError_tPvRmT1_PNSt15iterator_traitsIS12_E10value_typeET2_T3_PNS13_IS18_E10value_typeET4_jRbjT5_S1E_jjP12ihipStream_tbEUljE_ZNSN_ISO_Lb0ESQ_SR_ST_SU_SY_EESZ_S10_S11_S12_S16_S17_S18_S1B_S1C_jS1D_jS1E_S1E_jjS1G_bEUljE0_EEESZ_S10_S11_S18_S1C_S1E_T6_T7_T9_mT8_S1G_bDpT10_ENKUlT_T0_E_clISt17integral_constantIbLb1EES1T_IbLb0EEEEDaS1P_S1Q_EUlS1P_E_NS1_11comp_targetILNS1_3genE3ELNS1_11target_archE908ELNS1_3gpuE7ELNS1_3repE0EEENS1_30default_config_static_selectorELNS0_4arch9wavefront6targetE0EEEvS12_
; %bb.0:
	.section	.rodata,"a",@progbits
	.p2align	6, 0x0
	.amdhsa_kernel _ZN7rocprim17ROCPRIM_400000_NS6detail17trampoline_kernelINS0_13select_configILj256ELj13ELNS0_17block_load_methodE3ELS4_3ELS4_3ELNS0_20block_scan_algorithmE0ELj4294967295EEENS1_25partition_config_selectorILNS1_17partition_subalgoE4EjNS0_10empty_typeEbEEZZNS1_14partition_implILS8_4ELb0ES6_15HIP_vector_typeIjLj2EENS0_17counting_iteratorIjlEEPS9_SG_NS0_5tupleIJPjSI_NS0_16reverse_iteratorISI_EEEEENSH_IJSG_SG_SG_EEES9_SI_JZNS1_25segmented_radix_sort_implINS0_14default_configELb0EPKsPsPKlPlN2at6native12_GLOBAL__N_18offset_tEEE10hipError_tPvRmT1_PNSt15iterator_traitsIS12_E10value_typeET2_T3_PNS13_IS18_E10value_typeET4_jRbjT5_S1E_jjP12ihipStream_tbEUljE_ZNSN_ISO_Lb0ESQ_SR_ST_SU_SY_EESZ_S10_S11_S12_S16_S17_S18_S1B_S1C_jS1D_jS1E_S1E_jjS1G_bEUljE0_EEESZ_S10_S11_S18_S1C_S1E_T6_T7_T9_mT8_S1G_bDpT10_ENKUlT_T0_E_clISt17integral_constantIbLb1EES1T_IbLb0EEEEDaS1P_S1Q_EUlS1P_E_NS1_11comp_targetILNS1_3genE3ELNS1_11target_archE908ELNS1_3gpuE7ELNS1_3repE0EEENS1_30default_config_static_selectorELNS0_4arch9wavefront6targetE0EEEvS12_
		.amdhsa_group_segment_fixed_size 0
		.amdhsa_private_segment_fixed_size 0
		.amdhsa_kernarg_size 176
		.amdhsa_user_sgpr_count 2
		.amdhsa_user_sgpr_dispatch_ptr 0
		.amdhsa_user_sgpr_queue_ptr 0
		.amdhsa_user_sgpr_kernarg_segment_ptr 1
		.amdhsa_user_sgpr_dispatch_id 0
		.amdhsa_user_sgpr_kernarg_preload_length 0
		.amdhsa_user_sgpr_kernarg_preload_offset 0
		.amdhsa_user_sgpr_private_segment_size 0
		.amdhsa_wavefront_size32 1
		.amdhsa_uses_dynamic_stack 0
		.amdhsa_enable_private_segment 0
		.amdhsa_system_sgpr_workgroup_id_x 1
		.amdhsa_system_sgpr_workgroup_id_y 0
		.amdhsa_system_sgpr_workgroup_id_z 0
		.amdhsa_system_sgpr_workgroup_info 0
		.amdhsa_system_vgpr_workitem_id 0
		.amdhsa_next_free_vgpr 1
		.amdhsa_next_free_sgpr 1
		.amdhsa_named_barrier_count 0
		.amdhsa_reserve_vcc 0
		.amdhsa_float_round_mode_32 0
		.amdhsa_float_round_mode_16_64 0
		.amdhsa_float_denorm_mode_32 3
		.amdhsa_float_denorm_mode_16_64 3
		.amdhsa_fp16_overflow 0
		.amdhsa_memory_ordered 1
		.amdhsa_forward_progress 1
		.amdhsa_inst_pref_size 0
		.amdhsa_round_robin_scheduling 0
		.amdhsa_exception_fp_ieee_invalid_op 0
		.amdhsa_exception_fp_denorm_src 0
		.amdhsa_exception_fp_ieee_div_zero 0
		.amdhsa_exception_fp_ieee_overflow 0
		.amdhsa_exception_fp_ieee_underflow 0
		.amdhsa_exception_fp_ieee_inexact 0
		.amdhsa_exception_int_div_zero 0
	.end_amdhsa_kernel
	.section	.text._ZN7rocprim17ROCPRIM_400000_NS6detail17trampoline_kernelINS0_13select_configILj256ELj13ELNS0_17block_load_methodE3ELS4_3ELS4_3ELNS0_20block_scan_algorithmE0ELj4294967295EEENS1_25partition_config_selectorILNS1_17partition_subalgoE4EjNS0_10empty_typeEbEEZZNS1_14partition_implILS8_4ELb0ES6_15HIP_vector_typeIjLj2EENS0_17counting_iteratorIjlEEPS9_SG_NS0_5tupleIJPjSI_NS0_16reverse_iteratorISI_EEEEENSH_IJSG_SG_SG_EEES9_SI_JZNS1_25segmented_radix_sort_implINS0_14default_configELb0EPKsPsPKlPlN2at6native12_GLOBAL__N_18offset_tEEE10hipError_tPvRmT1_PNSt15iterator_traitsIS12_E10value_typeET2_T3_PNS13_IS18_E10value_typeET4_jRbjT5_S1E_jjP12ihipStream_tbEUljE_ZNSN_ISO_Lb0ESQ_SR_ST_SU_SY_EESZ_S10_S11_S12_S16_S17_S18_S1B_S1C_jS1D_jS1E_S1E_jjS1G_bEUljE0_EEESZ_S10_S11_S18_S1C_S1E_T6_T7_T9_mT8_S1G_bDpT10_ENKUlT_T0_E_clISt17integral_constantIbLb1EES1T_IbLb0EEEEDaS1P_S1Q_EUlS1P_E_NS1_11comp_targetILNS1_3genE3ELNS1_11target_archE908ELNS1_3gpuE7ELNS1_3repE0EEENS1_30default_config_static_selectorELNS0_4arch9wavefront6targetE0EEEvS12_,"axG",@progbits,_ZN7rocprim17ROCPRIM_400000_NS6detail17trampoline_kernelINS0_13select_configILj256ELj13ELNS0_17block_load_methodE3ELS4_3ELS4_3ELNS0_20block_scan_algorithmE0ELj4294967295EEENS1_25partition_config_selectorILNS1_17partition_subalgoE4EjNS0_10empty_typeEbEEZZNS1_14partition_implILS8_4ELb0ES6_15HIP_vector_typeIjLj2EENS0_17counting_iteratorIjlEEPS9_SG_NS0_5tupleIJPjSI_NS0_16reverse_iteratorISI_EEEEENSH_IJSG_SG_SG_EEES9_SI_JZNS1_25segmented_radix_sort_implINS0_14default_configELb0EPKsPsPKlPlN2at6native12_GLOBAL__N_18offset_tEEE10hipError_tPvRmT1_PNSt15iterator_traitsIS12_E10value_typeET2_T3_PNS13_IS18_E10value_typeET4_jRbjT5_S1E_jjP12ihipStream_tbEUljE_ZNSN_ISO_Lb0ESQ_SR_ST_SU_SY_EESZ_S10_S11_S12_S16_S17_S18_S1B_S1C_jS1D_jS1E_S1E_jjS1G_bEUljE0_EEESZ_S10_S11_S18_S1C_S1E_T6_T7_T9_mT8_S1G_bDpT10_ENKUlT_T0_E_clISt17integral_constantIbLb1EES1T_IbLb0EEEEDaS1P_S1Q_EUlS1P_E_NS1_11comp_targetILNS1_3genE3ELNS1_11target_archE908ELNS1_3gpuE7ELNS1_3repE0EEENS1_30default_config_static_selectorELNS0_4arch9wavefront6targetE0EEEvS12_,comdat
.Lfunc_end964:
	.size	_ZN7rocprim17ROCPRIM_400000_NS6detail17trampoline_kernelINS0_13select_configILj256ELj13ELNS0_17block_load_methodE3ELS4_3ELS4_3ELNS0_20block_scan_algorithmE0ELj4294967295EEENS1_25partition_config_selectorILNS1_17partition_subalgoE4EjNS0_10empty_typeEbEEZZNS1_14partition_implILS8_4ELb0ES6_15HIP_vector_typeIjLj2EENS0_17counting_iteratorIjlEEPS9_SG_NS0_5tupleIJPjSI_NS0_16reverse_iteratorISI_EEEEENSH_IJSG_SG_SG_EEES9_SI_JZNS1_25segmented_radix_sort_implINS0_14default_configELb0EPKsPsPKlPlN2at6native12_GLOBAL__N_18offset_tEEE10hipError_tPvRmT1_PNSt15iterator_traitsIS12_E10value_typeET2_T3_PNS13_IS18_E10value_typeET4_jRbjT5_S1E_jjP12ihipStream_tbEUljE_ZNSN_ISO_Lb0ESQ_SR_ST_SU_SY_EESZ_S10_S11_S12_S16_S17_S18_S1B_S1C_jS1D_jS1E_S1E_jjS1G_bEUljE0_EEESZ_S10_S11_S18_S1C_S1E_T6_T7_T9_mT8_S1G_bDpT10_ENKUlT_T0_E_clISt17integral_constantIbLb1EES1T_IbLb0EEEEDaS1P_S1Q_EUlS1P_E_NS1_11comp_targetILNS1_3genE3ELNS1_11target_archE908ELNS1_3gpuE7ELNS1_3repE0EEENS1_30default_config_static_selectorELNS0_4arch9wavefront6targetE0EEEvS12_, .Lfunc_end964-_ZN7rocprim17ROCPRIM_400000_NS6detail17trampoline_kernelINS0_13select_configILj256ELj13ELNS0_17block_load_methodE3ELS4_3ELS4_3ELNS0_20block_scan_algorithmE0ELj4294967295EEENS1_25partition_config_selectorILNS1_17partition_subalgoE4EjNS0_10empty_typeEbEEZZNS1_14partition_implILS8_4ELb0ES6_15HIP_vector_typeIjLj2EENS0_17counting_iteratorIjlEEPS9_SG_NS0_5tupleIJPjSI_NS0_16reverse_iteratorISI_EEEEENSH_IJSG_SG_SG_EEES9_SI_JZNS1_25segmented_radix_sort_implINS0_14default_configELb0EPKsPsPKlPlN2at6native12_GLOBAL__N_18offset_tEEE10hipError_tPvRmT1_PNSt15iterator_traitsIS12_E10value_typeET2_T3_PNS13_IS18_E10value_typeET4_jRbjT5_S1E_jjP12ihipStream_tbEUljE_ZNSN_ISO_Lb0ESQ_SR_ST_SU_SY_EESZ_S10_S11_S12_S16_S17_S18_S1B_S1C_jS1D_jS1E_S1E_jjS1G_bEUljE0_EEESZ_S10_S11_S18_S1C_S1E_T6_T7_T9_mT8_S1G_bDpT10_ENKUlT_T0_E_clISt17integral_constantIbLb1EES1T_IbLb0EEEEDaS1P_S1Q_EUlS1P_E_NS1_11comp_targetILNS1_3genE3ELNS1_11target_archE908ELNS1_3gpuE7ELNS1_3repE0EEENS1_30default_config_static_selectorELNS0_4arch9wavefront6targetE0EEEvS12_
                                        ; -- End function
	.set _ZN7rocprim17ROCPRIM_400000_NS6detail17trampoline_kernelINS0_13select_configILj256ELj13ELNS0_17block_load_methodE3ELS4_3ELS4_3ELNS0_20block_scan_algorithmE0ELj4294967295EEENS1_25partition_config_selectorILNS1_17partition_subalgoE4EjNS0_10empty_typeEbEEZZNS1_14partition_implILS8_4ELb0ES6_15HIP_vector_typeIjLj2EENS0_17counting_iteratorIjlEEPS9_SG_NS0_5tupleIJPjSI_NS0_16reverse_iteratorISI_EEEEENSH_IJSG_SG_SG_EEES9_SI_JZNS1_25segmented_radix_sort_implINS0_14default_configELb0EPKsPsPKlPlN2at6native12_GLOBAL__N_18offset_tEEE10hipError_tPvRmT1_PNSt15iterator_traitsIS12_E10value_typeET2_T3_PNS13_IS18_E10value_typeET4_jRbjT5_S1E_jjP12ihipStream_tbEUljE_ZNSN_ISO_Lb0ESQ_SR_ST_SU_SY_EESZ_S10_S11_S12_S16_S17_S18_S1B_S1C_jS1D_jS1E_S1E_jjS1G_bEUljE0_EEESZ_S10_S11_S18_S1C_S1E_T6_T7_T9_mT8_S1G_bDpT10_ENKUlT_T0_E_clISt17integral_constantIbLb1EES1T_IbLb0EEEEDaS1P_S1Q_EUlS1P_E_NS1_11comp_targetILNS1_3genE3ELNS1_11target_archE908ELNS1_3gpuE7ELNS1_3repE0EEENS1_30default_config_static_selectorELNS0_4arch9wavefront6targetE0EEEvS12_.num_vgpr, 0
	.set _ZN7rocprim17ROCPRIM_400000_NS6detail17trampoline_kernelINS0_13select_configILj256ELj13ELNS0_17block_load_methodE3ELS4_3ELS4_3ELNS0_20block_scan_algorithmE0ELj4294967295EEENS1_25partition_config_selectorILNS1_17partition_subalgoE4EjNS0_10empty_typeEbEEZZNS1_14partition_implILS8_4ELb0ES6_15HIP_vector_typeIjLj2EENS0_17counting_iteratorIjlEEPS9_SG_NS0_5tupleIJPjSI_NS0_16reverse_iteratorISI_EEEEENSH_IJSG_SG_SG_EEES9_SI_JZNS1_25segmented_radix_sort_implINS0_14default_configELb0EPKsPsPKlPlN2at6native12_GLOBAL__N_18offset_tEEE10hipError_tPvRmT1_PNSt15iterator_traitsIS12_E10value_typeET2_T3_PNS13_IS18_E10value_typeET4_jRbjT5_S1E_jjP12ihipStream_tbEUljE_ZNSN_ISO_Lb0ESQ_SR_ST_SU_SY_EESZ_S10_S11_S12_S16_S17_S18_S1B_S1C_jS1D_jS1E_S1E_jjS1G_bEUljE0_EEESZ_S10_S11_S18_S1C_S1E_T6_T7_T9_mT8_S1G_bDpT10_ENKUlT_T0_E_clISt17integral_constantIbLb1EES1T_IbLb0EEEEDaS1P_S1Q_EUlS1P_E_NS1_11comp_targetILNS1_3genE3ELNS1_11target_archE908ELNS1_3gpuE7ELNS1_3repE0EEENS1_30default_config_static_selectorELNS0_4arch9wavefront6targetE0EEEvS12_.num_agpr, 0
	.set _ZN7rocprim17ROCPRIM_400000_NS6detail17trampoline_kernelINS0_13select_configILj256ELj13ELNS0_17block_load_methodE3ELS4_3ELS4_3ELNS0_20block_scan_algorithmE0ELj4294967295EEENS1_25partition_config_selectorILNS1_17partition_subalgoE4EjNS0_10empty_typeEbEEZZNS1_14partition_implILS8_4ELb0ES6_15HIP_vector_typeIjLj2EENS0_17counting_iteratorIjlEEPS9_SG_NS0_5tupleIJPjSI_NS0_16reverse_iteratorISI_EEEEENSH_IJSG_SG_SG_EEES9_SI_JZNS1_25segmented_radix_sort_implINS0_14default_configELb0EPKsPsPKlPlN2at6native12_GLOBAL__N_18offset_tEEE10hipError_tPvRmT1_PNSt15iterator_traitsIS12_E10value_typeET2_T3_PNS13_IS18_E10value_typeET4_jRbjT5_S1E_jjP12ihipStream_tbEUljE_ZNSN_ISO_Lb0ESQ_SR_ST_SU_SY_EESZ_S10_S11_S12_S16_S17_S18_S1B_S1C_jS1D_jS1E_S1E_jjS1G_bEUljE0_EEESZ_S10_S11_S18_S1C_S1E_T6_T7_T9_mT8_S1G_bDpT10_ENKUlT_T0_E_clISt17integral_constantIbLb1EES1T_IbLb0EEEEDaS1P_S1Q_EUlS1P_E_NS1_11comp_targetILNS1_3genE3ELNS1_11target_archE908ELNS1_3gpuE7ELNS1_3repE0EEENS1_30default_config_static_selectorELNS0_4arch9wavefront6targetE0EEEvS12_.numbered_sgpr, 0
	.set _ZN7rocprim17ROCPRIM_400000_NS6detail17trampoline_kernelINS0_13select_configILj256ELj13ELNS0_17block_load_methodE3ELS4_3ELS4_3ELNS0_20block_scan_algorithmE0ELj4294967295EEENS1_25partition_config_selectorILNS1_17partition_subalgoE4EjNS0_10empty_typeEbEEZZNS1_14partition_implILS8_4ELb0ES6_15HIP_vector_typeIjLj2EENS0_17counting_iteratorIjlEEPS9_SG_NS0_5tupleIJPjSI_NS0_16reverse_iteratorISI_EEEEENSH_IJSG_SG_SG_EEES9_SI_JZNS1_25segmented_radix_sort_implINS0_14default_configELb0EPKsPsPKlPlN2at6native12_GLOBAL__N_18offset_tEEE10hipError_tPvRmT1_PNSt15iterator_traitsIS12_E10value_typeET2_T3_PNS13_IS18_E10value_typeET4_jRbjT5_S1E_jjP12ihipStream_tbEUljE_ZNSN_ISO_Lb0ESQ_SR_ST_SU_SY_EESZ_S10_S11_S12_S16_S17_S18_S1B_S1C_jS1D_jS1E_S1E_jjS1G_bEUljE0_EEESZ_S10_S11_S18_S1C_S1E_T6_T7_T9_mT8_S1G_bDpT10_ENKUlT_T0_E_clISt17integral_constantIbLb1EES1T_IbLb0EEEEDaS1P_S1Q_EUlS1P_E_NS1_11comp_targetILNS1_3genE3ELNS1_11target_archE908ELNS1_3gpuE7ELNS1_3repE0EEENS1_30default_config_static_selectorELNS0_4arch9wavefront6targetE0EEEvS12_.num_named_barrier, 0
	.set _ZN7rocprim17ROCPRIM_400000_NS6detail17trampoline_kernelINS0_13select_configILj256ELj13ELNS0_17block_load_methodE3ELS4_3ELS4_3ELNS0_20block_scan_algorithmE0ELj4294967295EEENS1_25partition_config_selectorILNS1_17partition_subalgoE4EjNS0_10empty_typeEbEEZZNS1_14partition_implILS8_4ELb0ES6_15HIP_vector_typeIjLj2EENS0_17counting_iteratorIjlEEPS9_SG_NS0_5tupleIJPjSI_NS0_16reverse_iteratorISI_EEEEENSH_IJSG_SG_SG_EEES9_SI_JZNS1_25segmented_radix_sort_implINS0_14default_configELb0EPKsPsPKlPlN2at6native12_GLOBAL__N_18offset_tEEE10hipError_tPvRmT1_PNSt15iterator_traitsIS12_E10value_typeET2_T3_PNS13_IS18_E10value_typeET4_jRbjT5_S1E_jjP12ihipStream_tbEUljE_ZNSN_ISO_Lb0ESQ_SR_ST_SU_SY_EESZ_S10_S11_S12_S16_S17_S18_S1B_S1C_jS1D_jS1E_S1E_jjS1G_bEUljE0_EEESZ_S10_S11_S18_S1C_S1E_T6_T7_T9_mT8_S1G_bDpT10_ENKUlT_T0_E_clISt17integral_constantIbLb1EES1T_IbLb0EEEEDaS1P_S1Q_EUlS1P_E_NS1_11comp_targetILNS1_3genE3ELNS1_11target_archE908ELNS1_3gpuE7ELNS1_3repE0EEENS1_30default_config_static_selectorELNS0_4arch9wavefront6targetE0EEEvS12_.private_seg_size, 0
	.set _ZN7rocprim17ROCPRIM_400000_NS6detail17trampoline_kernelINS0_13select_configILj256ELj13ELNS0_17block_load_methodE3ELS4_3ELS4_3ELNS0_20block_scan_algorithmE0ELj4294967295EEENS1_25partition_config_selectorILNS1_17partition_subalgoE4EjNS0_10empty_typeEbEEZZNS1_14partition_implILS8_4ELb0ES6_15HIP_vector_typeIjLj2EENS0_17counting_iteratorIjlEEPS9_SG_NS0_5tupleIJPjSI_NS0_16reverse_iteratorISI_EEEEENSH_IJSG_SG_SG_EEES9_SI_JZNS1_25segmented_radix_sort_implINS0_14default_configELb0EPKsPsPKlPlN2at6native12_GLOBAL__N_18offset_tEEE10hipError_tPvRmT1_PNSt15iterator_traitsIS12_E10value_typeET2_T3_PNS13_IS18_E10value_typeET4_jRbjT5_S1E_jjP12ihipStream_tbEUljE_ZNSN_ISO_Lb0ESQ_SR_ST_SU_SY_EESZ_S10_S11_S12_S16_S17_S18_S1B_S1C_jS1D_jS1E_S1E_jjS1G_bEUljE0_EEESZ_S10_S11_S18_S1C_S1E_T6_T7_T9_mT8_S1G_bDpT10_ENKUlT_T0_E_clISt17integral_constantIbLb1EES1T_IbLb0EEEEDaS1P_S1Q_EUlS1P_E_NS1_11comp_targetILNS1_3genE3ELNS1_11target_archE908ELNS1_3gpuE7ELNS1_3repE0EEENS1_30default_config_static_selectorELNS0_4arch9wavefront6targetE0EEEvS12_.uses_vcc, 0
	.set _ZN7rocprim17ROCPRIM_400000_NS6detail17trampoline_kernelINS0_13select_configILj256ELj13ELNS0_17block_load_methodE3ELS4_3ELS4_3ELNS0_20block_scan_algorithmE0ELj4294967295EEENS1_25partition_config_selectorILNS1_17partition_subalgoE4EjNS0_10empty_typeEbEEZZNS1_14partition_implILS8_4ELb0ES6_15HIP_vector_typeIjLj2EENS0_17counting_iteratorIjlEEPS9_SG_NS0_5tupleIJPjSI_NS0_16reverse_iteratorISI_EEEEENSH_IJSG_SG_SG_EEES9_SI_JZNS1_25segmented_radix_sort_implINS0_14default_configELb0EPKsPsPKlPlN2at6native12_GLOBAL__N_18offset_tEEE10hipError_tPvRmT1_PNSt15iterator_traitsIS12_E10value_typeET2_T3_PNS13_IS18_E10value_typeET4_jRbjT5_S1E_jjP12ihipStream_tbEUljE_ZNSN_ISO_Lb0ESQ_SR_ST_SU_SY_EESZ_S10_S11_S12_S16_S17_S18_S1B_S1C_jS1D_jS1E_S1E_jjS1G_bEUljE0_EEESZ_S10_S11_S18_S1C_S1E_T6_T7_T9_mT8_S1G_bDpT10_ENKUlT_T0_E_clISt17integral_constantIbLb1EES1T_IbLb0EEEEDaS1P_S1Q_EUlS1P_E_NS1_11comp_targetILNS1_3genE3ELNS1_11target_archE908ELNS1_3gpuE7ELNS1_3repE0EEENS1_30default_config_static_selectorELNS0_4arch9wavefront6targetE0EEEvS12_.uses_flat_scratch, 0
	.set _ZN7rocprim17ROCPRIM_400000_NS6detail17trampoline_kernelINS0_13select_configILj256ELj13ELNS0_17block_load_methodE3ELS4_3ELS4_3ELNS0_20block_scan_algorithmE0ELj4294967295EEENS1_25partition_config_selectorILNS1_17partition_subalgoE4EjNS0_10empty_typeEbEEZZNS1_14partition_implILS8_4ELb0ES6_15HIP_vector_typeIjLj2EENS0_17counting_iteratorIjlEEPS9_SG_NS0_5tupleIJPjSI_NS0_16reverse_iteratorISI_EEEEENSH_IJSG_SG_SG_EEES9_SI_JZNS1_25segmented_radix_sort_implINS0_14default_configELb0EPKsPsPKlPlN2at6native12_GLOBAL__N_18offset_tEEE10hipError_tPvRmT1_PNSt15iterator_traitsIS12_E10value_typeET2_T3_PNS13_IS18_E10value_typeET4_jRbjT5_S1E_jjP12ihipStream_tbEUljE_ZNSN_ISO_Lb0ESQ_SR_ST_SU_SY_EESZ_S10_S11_S12_S16_S17_S18_S1B_S1C_jS1D_jS1E_S1E_jjS1G_bEUljE0_EEESZ_S10_S11_S18_S1C_S1E_T6_T7_T9_mT8_S1G_bDpT10_ENKUlT_T0_E_clISt17integral_constantIbLb1EES1T_IbLb0EEEEDaS1P_S1Q_EUlS1P_E_NS1_11comp_targetILNS1_3genE3ELNS1_11target_archE908ELNS1_3gpuE7ELNS1_3repE0EEENS1_30default_config_static_selectorELNS0_4arch9wavefront6targetE0EEEvS12_.has_dyn_sized_stack, 0
	.set _ZN7rocprim17ROCPRIM_400000_NS6detail17trampoline_kernelINS0_13select_configILj256ELj13ELNS0_17block_load_methodE3ELS4_3ELS4_3ELNS0_20block_scan_algorithmE0ELj4294967295EEENS1_25partition_config_selectorILNS1_17partition_subalgoE4EjNS0_10empty_typeEbEEZZNS1_14partition_implILS8_4ELb0ES6_15HIP_vector_typeIjLj2EENS0_17counting_iteratorIjlEEPS9_SG_NS0_5tupleIJPjSI_NS0_16reverse_iteratorISI_EEEEENSH_IJSG_SG_SG_EEES9_SI_JZNS1_25segmented_radix_sort_implINS0_14default_configELb0EPKsPsPKlPlN2at6native12_GLOBAL__N_18offset_tEEE10hipError_tPvRmT1_PNSt15iterator_traitsIS12_E10value_typeET2_T3_PNS13_IS18_E10value_typeET4_jRbjT5_S1E_jjP12ihipStream_tbEUljE_ZNSN_ISO_Lb0ESQ_SR_ST_SU_SY_EESZ_S10_S11_S12_S16_S17_S18_S1B_S1C_jS1D_jS1E_S1E_jjS1G_bEUljE0_EEESZ_S10_S11_S18_S1C_S1E_T6_T7_T9_mT8_S1G_bDpT10_ENKUlT_T0_E_clISt17integral_constantIbLb1EES1T_IbLb0EEEEDaS1P_S1Q_EUlS1P_E_NS1_11comp_targetILNS1_3genE3ELNS1_11target_archE908ELNS1_3gpuE7ELNS1_3repE0EEENS1_30default_config_static_selectorELNS0_4arch9wavefront6targetE0EEEvS12_.has_recursion, 0
	.set _ZN7rocprim17ROCPRIM_400000_NS6detail17trampoline_kernelINS0_13select_configILj256ELj13ELNS0_17block_load_methodE3ELS4_3ELS4_3ELNS0_20block_scan_algorithmE0ELj4294967295EEENS1_25partition_config_selectorILNS1_17partition_subalgoE4EjNS0_10empty_typeEbEEZZNS1_14partition_implILS8_4ELb0ES6_15HIP_vector_typeIjLj2EENS0_17counting_iteratorIjlEEPS9_SG_NS0_5tupleIJPjSI_NS0_16reverse_iteratorISI_EEEEENSH_IJSG_SG_SG_EEES9_SI_JZNS1_25segmented_radix_sort_implINS0_14default_configELb0EPKsPsPKlPlN2at6native12_GLOBAL__N_18offset_tEEE10hipError_tPvRmT1_PNSt15iterator_traitsIS12_E10value_typeET2_T3_PNS13_IS18_E10value_typeET4_jRbjT5_S1E_jjP12ihipStream_tbEUljE_ZNSN_ISO_Lb0ESQ_SR_ST_SU_SY_EESZ_S10_S11_S12_S16_S17_S18_S1B_S1C_jS1D_jS1E_S1E_jjS1G_bEUljE0_EEESZ_S10_S11_S18_S1C_S1E_T6_T7_T9_mT8_S1G_bDpT10_ENKUlT_T0_E_clISt17integral_constantIbLb1EES1T_IbLb0EEEEDaS1P_S1Q_EUlS1P_E_NS1_11comp_targetILNS1_3genE3ELNS1_11target_archE908ELNS1_3gpuE7ELNS1_3repE0EEENS1_30default_config_static_selectorELNS0_4arch9wavefront6targetE0EEEvS12_.has_indirect_call, 0
	.section	.AMDGPU.csdata,"",@progbits
; Kernel info:
; codeLenInByte = 0
; TotalNumSgprs: 0
; NumVgprs: 0
; ScratchSize: 0
; MemoryBound: 0
; FloatMode: 240
; IeeeMode: 1
; LDSByteSize: 0 bytes/workgroup (compile time only)
; SGPRBlocks: 0
; VGPRBlocks: 0
; NumSGPRsForWavesPerEU: 1
; NumVGPRsForWavesPerEU: 1
; NamedBarCnt: 0
; Occupancy: 16
; WaveLimiterHint : 0
; COMPUTE_PGM_RSRC2:SCRATCH_EN: 0
; COMPUTE_PGM_RSRC2:USER_SGPR: 2
; COMPUTE_PGM_RSRC2:TRAP_HANDLER: 0
; COMPUTE_PGM_RSRC2:TGID_X_EN: 1
; COMPUTE_PGM_RSRC2:TGID_Y_EN: 0
; COMPUTE_PGM_RSRC2:TGID_Z_EN: 0
; COMPUTE_PGM_RSRC2:TIDIG_COMP_CNT: 0
	.section	.text._ZN7rocprim17ROCPRIM_400000_NS6detail17trampoline_kernelINS0_13select_configILj256ELj13ELNS0_17block_load_methodE3ELS4_3ELS4_3ELNS0_20block_scan_algorithmE0ELj4294967295EEENS1_25partition_config_selectorILNS1_17partition_subalgoE4EjNS0_10empty_typeEbEEZZNS1_14partition_implILS8_4ELb0ES6_15HIP_vector_typeIjLj2EENS0_17counting_iteratorIjlEEPS9_SG_NS0_5tupleIJPjSI_NS0_16reverse_iteratorISI_EEEEENSH_IJSG_SG_SG_EEES9_SI_JZNS1_25segmented_radix_sort_implINS0_14default_configELb0EPKsPsPKlPlN2at6native12_GLOBAL__N_18offset_tEEE10hipError_tPvRmT1_PNSt15iterator_traitsIS12_E10value_typeET2_T3_PNS13_IS18_E10value_typeET4_jRbjT5_S1E_jjP12ihipStream_tbEUljE_ZNSN_ISO_Lb0ESQ_SR_ST_SU_SY_EESZ_S10_S11_S12_S16_S17_S18_S1B_S1C_jS1D_jS1E_S1E_jjS1G_bEUljE0_EEESZ_S10_S11_S18_S1C_S1E_T6_T7_T9_mT8_S1G_bDpT10_ENKUlT_T0_E_clISt17integral_constantIbLb1EES1T_IbLb0EEEEDaS1P_S1Q_EUlS1P_E_NS1_11comp_targetILNS1_3genE2ELNS1_11target_archE906ELNS1_3gpuE6ELNS1_3repE0EEENS1_30default_config_static_selectorELNS0_4arch9wavefront6targetE0EEEvS12_,"axG",@progbits,_ZN7rocprim17ROCPRIM_400000_NS6detail17trampoline_kernelINS0_13select_configILj256ELj13ELNS0_17block_load_methodE3ELS4_3ELS4_3ELNS0_20block_scan_algorithmE0ELj4294967295EEENS1_25partition_config_selectorILNS1_17partition_subalgoE4EjNS0_10empty_typeEbEEZZNS1_14partition_implILS8_4ELb0ES6_15HIP_vector_typeIjLj2EENS0_17counting_iteratorIjlEEPS9_SG_NS0_5tupleIJPjSI_NS0_16reverse_iteratorISI_EEEEENSH_IJSG_SG_SG_EEES9_SI_JZNS1_25segmented_radix_sort_implINS0_14default_configELb0EPKsPsPKlPlN2at6native12_GLOBAL__N_18offset_tEEE10hipError_tPvRmT1_PNSt15iterator_traitsIS12_E10value_typeET2_T3_PNS13_IS18_E10value_typeET4_jRbjT5_S1E_jjP12ihipStream_tbEUljE_ZNSN_ISO_Lb0ESQ_SR_ST_SU_SY_EESZ_S10_S11_S12_S16_S17_S18_S1B_S1C_jS1D_jS1E_S1E_jjS1G_bEUljE0_EEESZ_S10_S11_S18_S1C_S1E_T6_T7_T9_mT8_S1G_bDpT10_ENKUlT_T0_E_clISt17integral_constantIbLb1EES1T_IbLb0EEEEDaS1P_S1Q_EUlS1P_E_NS1_11comp_targetILNS1_3genE2ELNS1_11target_archE906ELNS1_3gpuE6ELNS1_3repE0EEENS1_30default_config_static_selectorELNS0_4arch9wavefront6targetE0EEEvS12_,comdat
	.globl	_ZN7rocprim17ROCPRIM_400000_NS6detail17trampoline_kernelINS0_13select_configILj256ELj13ELNS0_17block_load_methodE3ELS4_3ELS4_3ELNS0_20block_scan_algorithmE0ELj4294967295EEENS1_25partition_config_selectorILNS1_17partition_subalgoE4EjNS0_10empty_typeEbEEZZNS1_14partition_implILS8_4ELb0ES6_15HIP_vector_typeIjLj2EENS0_17counting_iteratorIjlEEPS9_SG_NS0_5tupleIJPjSI_NS0_16reverse_iteratorISI_EEEEENSH_IJSG_SG_SG_EEES9_SI_JZNS1_25segmented_radix_sort_implINS0_14default_configELb0EPKsPsPKlPlN2at6native12_GLOBAL__N_18offset_tEEE10hipError_tPvRmT1_PNSt15iterator_traitsIS12_E10value_typeET2_T3_PNS13_IS18_E10value_typeET4_jRbjT5_S1E_jjP12ihipStream_tbEUljE_ZNSN_ISO_Lb0ESQ_SR_ST_SU_SY_EESZ_S10_S11_S12_S16_S17_S18_S1B_S1C_jS1D_jS1E_S1E_jjS1G_bEUljE0_EEESZ_S10_S11_S18_S1C_S1E_T6_T7_T9_mT8_S1G_bDpT10_ENKUlT_T0_E_clISt17integral_constantIbLb1EES1T_IbLb0EEEEDaS1P_S1Q_EUlS1P_E_NS1_11comp_targetILNS1_3genE2ELNS1_11target_archE906ELNS1_3gpuE6ELNS1_3repE0EEENS1_30default_config_static_selectorELNS0_4arch9wavefront6targetE0EEEvS12_ ; -- Begin function _ZN7rocprim17ROCPRIM_400000_NS6detail17trampoline_kernelINS0_13select_configILj256ELj13ELNS0_17block_load_methodE3ELS4_3ELS4_3ELNS0_20block_scan_algorithmE0ELj4294967295EEENS1_25partition_config_selectorILNS1_17partition_subalgoE4EjNS0_10empty_typeEbEEZZNS1_14partition_implILS8_4ELb0ES6_15HIP_vector_typeIjLj2EENS0_17counting_iteratorIjlEEPS9_SG_NS0_5tupleIJPjSI_NS0_16reverse_iteratorISI_EEEEENSH_IJSG_SG_SG_EEES9_SI_JZNS1_25segmented_radix_sort_implINS0_14default_configELb0EPKsPsPKlPlN2at6native12_GLOBAL__N_18offset_tEEE10hipError_tPvRmT1_PNSt15iterator_traitsIS12_E10value_typeET2_T3_PNS13_IS18_E10value_typeET4_jRbjT5_S1E_jjP12ihipStream_tbEUljE_ZNSN_ISO_Lb0ESQ_SR_ST_SU_SY_EESZ_S10_S11_S12_S16_S17_S18_S1B_S1C_jS1D_jS1E_S1E_jjS1G_bEUljE0_EEESZ_S10_S11_S18_S1C_S1E_T6_T7_T9_mT8_S1G_bDpT10_ENKUlT_T0_E_clISt17integral_constantIbLb1EES1T_IbLb0EEEEDaS1P_S1Q_EUlS1P_E_NS1_11comp_targetILNS1_3genE2ELNS1_11target_archE906ELNS1_3gpuE6ELNS1_3repE0EEENS1_30default_config_static_selectorELNS0_4arch9wavefront6targetE0EEEvS12_
	.p2align	8
	.type	_ZN7rocprim17ROCPRIM_400000_NS6detail17trampoline_kernelINS0_13select_configILj256ELj13ELNS0_17block_load_methodE3ELS4_3ELS4_3ELNS0_20block_scan_algorithmE0ELj4294967295EEENS1_25partition_config_selectorILNS1_17partition_subalgoE4EjNS0_10empty_typeEbEEZZNS1_14partition_implILS8_4ELb0ES6_15HIP_vector_typeIjLj2EENS0_17counting_iteratorIjlEEPS9_SG_NS0_5tupleIJPjSI_NS0_16reverse_iteratorISI_EEEEENSH_IJSG_SG_SG_EEES9_SI_JZNS1_25segmented_radix_sort_implINS0_14default_configELb0EPKsPsPKlPlN2at6native12_GLOBAL__N_18offset_tEEE10hipError_tPvRmT1_PNSt15iterator_traitsIS12_E10value_typeET2_T3_PNS13_IS18_E10value_typeET4_jRbjT5_S1E_jjP12ihipStream_tbEUljE_ZNSN_ISO_Lb0ESQ_SR_ST_SU_SY_EESZ_S10_S11_S12_S16_S17_S18_S1B_S1C_jS1D_jS1E_S1E_jjS1G_bEUljE0_EEESZ_S10_S11_S18_S1C_S1E_T6_T7_T9_mT8_S1G_bDpT10_ENKUlT_T0_E_clISt17integral_constantIbLb1EES1T_IbLb0EEEEDaS1P_S1Q_EUlS1P_E_NS1_11comp_targetILNS1_3genE2ELNS1_11target_archE906ELNS1_3gpuE6ELNS1_3repE0EEENS1_30default_config_static_selectorELNS0_4arch9wavefront6targetE0EEEvS12_,@function
_ZN7rocprim17ROCPRIM_400000_NS6detail17trampoline_kernelINS0_13select_configILj256ELj13ELNS0_17block_load_methodE3ELS4_3ELS4_3ELNS0_20block_scan_algorithmE0ELj4294967295EEENS1_25partition_config_selectorILNS1_17partition_subalgoE4EjNS0_10empty_typeEbEEZZNS1_14partition_implILS8_4ELb0ES6_15HIP_vector_typeIjLj2EENS0_17counting_iteratorIjlEEPS9_SG_NS0_5tupleIJPjSI_NS0_16reverse_iteratorISI_EEEEENSH_IJSG_SG_SG_EEES9_SI_JZNS1_25segmented_radix_sort_implINS0_14default_configELb0EPKsPsPKlPlN2at6native12_GLOBAL__N_18offset_tEEE10hipError_tPvRmT1_PNSt15iterator_traitsIS12_E10value_typeET2_T3_PNS13_IS18_E10value_typeET4_jRbjT5_S1E_jjP12ihipStream_tbEUljE_ZNSN_ISO_Lb0ESQ_SR_ST_SU_SY_EESZ_S10_S11_S12_S16_S17_S18_S1B_S1C_jS1D_jS1E_S1E_jjS1G_bEUljE0_EEESZ_S10_S11_S18_S1C_S1E_T6_T7_T9_mT8_S1G_bDpT10_ENKUlT_T0_E_clISt17integral_constantIbLb1EES1T_IbLb0EEEEDaS1P_S1Q_EUlS1P_E_NS1_11comp_targetILNS1_3genE2ELNS1_11target_archE906ELNS1_3gpuE6ELNS1_3repE0EEENS1_30default_config_static_selectorELNS0_4arch9wavefront6targetE0EEEvS12_: ; @_ZN7rocprim17ROCPRIM_400000_NS6detail17trampoline_kernelINS0_13select_configILj256ELj13ELNS0_17block_load_methodE3ELS4_3ELS4_3ELNS0_20block_scan_algorithmE0ELj4294967295EEENS1_25partition_config_selectorILNS1_17partition_subalgoE4EjNS0_10empty_typeEbEEZZNS1_14partition_implILS8_4ELb0ES6_15HIP_vector_typeIjLj2EENS0_17counting_iteratorIjlEEPS9_SG_NS0_5tupleIJPjSI_NS0_16reverse_iteratorISI_EEEEENSH_IJSG_SG_SG_EEES9_SI_JZNS1_25segmented_radix_sort_implINS0_14default_configELb0EPKsPsPKlPlN2at6native12_GLOBAL__N_18offset_tEEE10hipError_tPvRmT1_PNSt15iterator_traitsIS12_E10value_typeET2_T3_PNS13_IS18_E10value_typeET4_jRbjT5_S1E_jjP12ihipStream_tbEUljE_ZNSN_ISO_Lb0ESQ_SR_ST_SU_SY_EESZ_S10_S11_S12_S16_S17_S18_S1B_S1C_jS1D_jS1E_S1E_jjS1G_bEUljE0_EEESZ_S10_S11_S18_S1C_S1E_T6_T7_T9_mT8_S1G_bDpT10_ENKUlT_T0_E_clISt17integral_constantIbLb1EES1T_IbLb0EEEEDaS1P_S1Q_EUlS1P_E_NS1_11comp_targetILNS1_3genE2ELNS1_11target_archE906ELNS1_3gpuE6ELNS1_3repE0EEENS1_30default_config_static_selectorELNS0_4arch9wavefront6targetE0EEEvS12_
; %bb.0:
	.section	.rodata,"a",@progbits
	.p2align	6, 0x0
	.amdhsa_kernel _ZN7rocprim17ROCPRIM_400000_NS6detail17trampoline_kernelINS0_13select_configILj256ELj13ELNS0_17block_load_methodE3ELS4_3ELS4_3ELNS0_20block_scan_algorithmE0ELj4294967295EEENS1_25partition_config_selectorILNS1_17partition_subalgoE4EjNS0_10empty_typeEbEEZZNS1_14partition_implILS8_4ELb0ES6_15HIP_vector_typeIjLj2EENS0_17counting_iteratorIjlEEPS9_SG_NS0_5tupleIJPjSI_NS0_16reverse_iteratorISI_EEEEENSH_IJSG_SG_SG_EEES9_SI_JZNS1_25segmented_radix_sort_implINS0_14default_configELb0EPKsPsPKlPlN2at6native12_GLOBAL__N_18offset_tEEE10hipError_tPvRmT1_PNSt15iterator_traitsIS12_E10value_typeET2_T3_PNS13_IS18_E10value_typeET4_jRbjT5_S1E_jjP12ihipStream_tbEUljE_ZNSN_ISO_Lb0ESQ_SR_ST_SU_SY_EESZ_S10_S11_S12_S16_S17_S18_S1B_S1C_jS1D_jS1E_S1E_jjS1G_bEUljE0_EEESZ_S10_S11_S18_S1C_S1E_T6_T7_T9_mT8_S1G_bDpT10_ENKUlT_T0_E_clISt17integral_constantIbLb1EES1T_IbLb0EEEEDaS1P_S1Q_EUlS1P_E_NS1_11comp_targetILNS1_3genE2ELNS1_11target_archE906ELNS1_3gpuE6ELNS1_3repE0EEENS1_30default_config_static_selectorELNS0_4arch9wavefront6targetE0EEEvS12_
		.amdhsa_group_segment_fixed_size 0
		.amdhsa_private_segment_fixed_size 0
		.amdhsa_kernarg_size 176
		.amdhsa_user_sgpr_count 2
		.amdhsa_user_sgpr_dispatch_ptr 0
		.amdhsa_user_sgpr_queue_ptr 0
		.amdhsa_user_sgpr_kernarg_segment_ptr 1
		.amdhsa_user_sgpr_dispatch_id 0
		.amdhsa_user_sgpr_kernarg_preload_length 0
		.amdhsa_user_sgpr_kernarg_preload_offset 0
		.amdhsa_user_sgpr_private_segment_size 0
		.amdhsa_wavefront_size32 1
		.amdhsa_uses_dynamic_stack 0
		.amdhsa_enable_private_segment 0
		.amdhsa_system_sgpr_workgroup_id_x 1
		.amdhsa_system_sgpr_workgroup_id_y 0
		.amdhsa_system_sgpr_workgroup_id_z 0
		.amdhsa_system_sgpr_workgroup_info 0
		.amdhsa_system_vgpr_workitem_id 0
		.amdhsa_next_free_vgpr 1
		.amdhsa_next_free_sgpr 1
		.amdhsa_named_barrier_count 0
		.amdhsa_reserve_vcc 0
		.amdhsa_float_round_mode_32 0
		.amdhsa_float_round_mode_16_64 0
		.amdhsa_float_denorm_mode_32 3
		.amdhsa_float_denorm_mode_16_64 3
		.amdhsa_fp16_overflow 0
		.amdhsa_memory_ordered 1
		.amdhsa_forward_progress 1
		.amdhsa_inst_pref_size 0
		.amdhsa_round_robin_scheduling 0
		.amdhsa_exception_fp_ieee_invalid_op 0
		.amdhsa_exception_fp_denorm_src 0
		.amdhsa_exception_fp_ieee_div_zero 0
		.amdhsa_exception_fp_ieee_overflow 0
		.amdhsa_exception_fp_ieee_underflow 0
		.amdhsa_exception_fp_ieee_inexact 0
		.amdhsa_exception_int_div_zero 0
	.end_amdhsa_kernel
	.section	.text._ZN7rocprim17ROCPRIM_400000_NS6detail17trampoline_kernelINS0_13select_configILj256ELj13ELNS0_17block_load_methodE3ELS4_3ELS4_3ELNS0_20block_scan_algorithmE0ELj4294967295EEENS1_25partition_config_selectorILNS1_17partition_subalgoE4EjNS0_10empty_typeEbEEZZNS1_14partition_implILS8_4ELb0ES6_15HIP_vector_typeIjLj2EENS0_17counting_iteratorIjlEEPS9_SG_NS0_5tupleIJPjSI_NS0_16reverse_iteratorISI_EEEEENSH_IJSG_SG_SG_EEES9_SI_JZNS1_25segmented_radix_sort_implINS0_14default_configELb0EPKsPsPKlPlN2at6native12_GLOBAL__N_18offset_tEEE10hipError_tPvRmT1_PNSt15iterator_traitsIS12_E10value_typeET2_T3_PNS13_IS18_E10value_typeET4_jRbjT5_S1E_jjP12ihipStream_tbEUljE_ZNSN_ISO_Lb0ESQ_SR_ST_SU_SY_EESZ_S10_S11_S12_S16_S17_S18_S1B_S1C_jS1D_jS1E_S1E_jjS1G_bEUljE0_EEESZ_S10_S11_S18_S1C_S1E_T6_T7_T9_mT8_S1G_bDpT10_ENKUlT_T0_E_clISt17integral_constantIbLb1EES1T_IbLb0EEEEDaS1P_S1Q_EUlS1P_E_NS1_11comp_targetILNS1_3genE2ELNS1_11target_archE906ELNS1_3gpuE6ELNS1_3repE0EEENS1_30default_config_static_selectorELNS0_4arch9wavefront6targetE0EEEvS12_,"axG",@progbits,_ZN7rocprim17ROCPRIM_400000_NS6detail17trampoline_kernelINS0_13select_configILj256ELj13ELNS0_17block_load_methodE3ELS4_3ELS4_3ELNS0_20block_scan_algorithmE0ELj4294967295EEENS1_25partition_config_selectorILNS1_17partition_subalgoE4EjNS0_10empty_typeEbEEZZNS1_14partition_implILS8_4ELb0ES6_15HIP_vector_typeIjLj2EENS0_17counting_iteratorIjlEEPS9_SG_NS0_5tupleIJPjSI_NS0_16reverse_iteratorISI_EEEEENSH_IJSG_SG_SG_EEES9_SI_JZNS1_25segmented_radix_sort_implINS0_14default_configELb0EPKsPsPKlPlN2at6native12_GLOBAL__N_18offset_tEEE10hipError_tPvRmT1_PNSt15iterator_traitsIS12_E10value_typeET2_T3_PNS13_IS18_E10value_typeET4_jRbjT5_S1E_jjP12ihipStream_tbEUljE_ZNSN_ISO_Lb0ESQ_SR_ST_SU_SY_EESZ_S10_S11_S12_S16_S17_S18_S1B_S1C_jS1D_jS1E_S1E_jjS1G_bEUljE0_EEESZ_S10_S11_S18_S1C_S1E_T6_T7_T9_mT8_S1G_bDpT10_ENKUlT_T0_E_clISt17integral_constantIbLb1EES1T_IbLb0EEEEDaS1P_S1Q_EUlS1P_E_NS1_11comp_targetILNS1_3genE2ELNS1_11target_archE906ELNS1_3gpuE6ELNS1_3repE0EEENS1_30default_config_static_selectorELNS0_4arch9wavefront6targetE0EEEvS12_,comdat
.Lfunc_end965:
	.size	_ZN7rocprim17ROCPRIM_400000_NS6detail17trampoline_kernelINS0_13select_configILj256ELj13ELNS0_17block_load_methodE3ELS4_3ELS4_3ELNS0_20block_scan_algorithmE0ELj4294967295EEENS1_25partition_config_selectorILNS1_17partition_subalgoE4EjNS0_10empty_typeEbEEZZNS1_14partition_implILS8_4ELb0ES6_15HIP_vector_typeIjLj2EENS0_17counting_iteratorIjlEEPS9_SG_NS0_5tupleIJPjSI_NS0_16reverse_iteratorISI_EEEEENSH_IJSG_SG_SG_EEES9_SI_JZNS1_25segmented_radix_sort_implINS0_14default_configELb0EPKsPsPKlPlN2at6native12_GLOBAL__N_18offset_tEEE10hipError_tPvRmT1_PNSt15iterator_traitsIS12_E10value_typeET2_T3_PNS13_IS18_E10value_typeET4_jRbjT5_S1E_jjP12ihipStream_tbEUljE_ZNSN_ISO_Lb0ESQ_SR_ST_SU_SY_EESZ_S10_S11_S12_S16_S17_S18_S1B_S1C_jS1D_jS1E_S1E_jjS1G_bEUljE0_EEESZ_S10_S11_S18_S1C_S1E_T6_T7_T9_mT8_S1G_bDpT10_ENKUlT_T0_E_clISt17integral_constantIbLb1EES1T_IbLb0EEEEDaS1P_S1Q_EUlS1P_E_NS1_11comp_targetILNS1_3genE2ELNS1_11target_archE906ELNS1_3gpuE6ELNS1_3repE0EEENS1_30default_config_static_selectorELNS0_4arch9wavefront6targetE0EEEvS12_, .Lfunc_end965-_ZN7rocprim17ROCPRIM_400000_NS6detail17trampoline_kernelINS0_13select_configILj256ELj13ELNS0_17block_load_methodE3ELS4_3ELS4_3ELNS0_20block_scan_algorithmE0ELj4294967295EEENS1_25partition_config_selectorILNS1_17partition_subalgoE4EjNS0_10empty_typeEbEEZZNS1_14partition_implILS8_4ELb0ES6_15HIP_vector_typeIjLj2EENS0_17counting_iteratorIjlEEPS9_SG_NS0_5tupleIJPjSI_NS0_16reverse_iteratorISI_EEEEENSH_IJSG_SG_SG_EEES9_SI_JZNS1_25segmented_radix_sort_implINS0_14default_configELb0EPKsPsPKlPlN2at6native12_GLOBAL__N_18offset_tEEE10hipError_tPvRmT1_PNSt15iterator_traitsIS12_E10value_typeET2_T3_PNS13_IS18_E10value_typeET4_jRbjT5_S1E_jjP12ihipStream_tbEUljE_ZNSN_ISO_Lb0ESQ_SR_ST_SU_SY_EESZ_S10_S11_S12_S16_S17_S18_S1B_S1C_jS1D_jS1E_S1E_jjS1G_bEUljE0_EEESZ_S10_S11_S18_S1C_S1E_T6_T7_T9_mT8_S1G_bDpT10_ENKUlT_T0_E_clISt17integral_constantIbLb1EES1T_IbLb0EEEEDaS1P_S1Q_EUlS1P_E_NS1_11comp_targetILNS1_3genE2ELNS1_11target_archE906ELNS1_3gpuE6ELNS1_3repE0EEENS1_30default_config_static_selectorELNS0_4arch9wavefront6targetE0EEEvS12_
                                        ; -- End function
	.set _ZN7rocprim17ROCPRIM_400000_NS6detail17trampoline_kernelINS0_13select_configILj256ELj13ELNS0_17block_load_methodE3ELS4_3ELS4_3ELNS0_20block_scan_algorithmE0ELj4294967295EEENS1_25partition_config_selectorILNS1_17partition_subalgoE4EjNS0_10empty_typeEbEEZZNS1_14partition_implILS8_4ELb0ES6_15HIP_vector_typeIjLj2EENS0_17counting_iteratorIjlEEPS9_SG_NS0_5tupleIJPjSI_NS0_16reverse_iteratorISI_EEEEENSH_IJSG_SG_SG_EEES9_SI_JZNS1_25segmented_radix_sort_implINS0_14default_configELb0EPKsPsPKlPlN2at6native12_GLOBAL__N_18offset_tEEE10hipError_tPvRmT1_PNSt15iterator_traitsIS12_E10value_typeET2_T3_PNS13_IS18_E10value_typeET4_jRbjT5_S1E_jjP12ihipStream_tbEUljE_ZNSN_ISO_Lb0ESQ_SR_ST_SU_SY_EESZ_S10_S11_S12_S16_S17_S18_S1B_S1C_jS1D_jS1E_S1E_jjS1G_bEUljE0_EEESZ_S10_S11_S18_S1C_S1E_T6_T7_T9_mT8_S1G_bDpT10_ENKUlT_T0_E_clISt17integral_constantIbLb1EES1T_IbLb0EEEEDaS1P_S1Q_EUlS1P_E_NS1_11comp_targetILNS1_3genE2ELNS1_11target_archE906ELNS1_3gpuE6ELNS1_3repE0EEENS1_30default_config_static_selectorELNS0_4arch9wavefront6targetE0EEEvS12_.num_vgpr, 0
	.set _ZN7rocprim17ROCPRIM_400000_NS6detail17trampoline_kernelINS0_13select_configILj256ELj13ELNS0_17block_load_methodE3ELS4_3ELS4_3ELNS0_20block_scan_algorithmE0ELj4294967295EEENS1_25partition_config_selectorILNS1_17partition_subalgoE4EjNS0_10empty_typeEbEEZZNS1_14partition_implILS8_4ELb0ES6_15HIP_vector_typeIjLj2EENS0_17counting_iteratorIjlEEPS9_SG_NS0_5tupleIJPjSI_NS0_16reverse_iteratorISI_EEEEENSH_IJSG_SG_SG_EEES9_SI_JZNS1_25segmented_radix_sort_implINS0_14default_configELb0EPKsPsPKlPlN2at6native12_GLOBAL__N_18offset_tEEE10hipError_tPvRmT1_PNSt15iterator_traitsIS12_E10value_typeET2_T3_PNS13_IS18_E10value_typeET4_jRbjT5_S1E_jjP12ihipStream_tbEUljE_ZNSN_ISO_Lb0ESQ_SR_ST_SU_SY_EESZ_S10_S11_S12_S16_S17_S18_S1B_S1C_jS1D_jS1E_S1E_jjS1G_bEUljE0_EEESZ_S10_S11_S18_S1C_S1E_T6_T7_T9_mT8_S1G_bDpT10_ENKUlT_T0_E_clISt17integral_constantIbLb1EES1T_IbLb0EEEEDaS1P_S1Q_EUlS1P_E_NS1_11comp_targetILNS1_3genE2ELNS1_11target_archE906ELNS1_3gpuE6ELNS1_3repE0EEENS1_30default_config_static_selectorELNS0_4arch9wavefront6targetE0EEEvS12_.num_agpr, 0
	.set _ZN7rocprim17ROCPRIM_400000_NS6detail17trampoline_kernelINS0_13select_configILj256ELj13ELNS0_17block_load_methodE3ELS4_3ELS4_3ELNS0_20block_scan_algorithmE0ELj4294967295EEENS1_25partition_config_selectorILNS1_17partition_subalgoE4EjNS0_10empty_typeEbEEZZNS1_14partition_implILS8_4ELb0ES6_15HIP_vector_typeIjLj2EENS0_17counting_iteratorIjlEEPS9_SG_NS0_5tupleIJPjSI_NS0_16reverse_iteratorISI_EEEEENSH_IJSG_SG_SG_EEES9_SI_JZNS1_25segmented_radix_sort_implINS0_14default_configELb0EPKsPsPKlPlN2at6native12_GLOBAL__N_18offset_tEEE10hipError_tPvRmT1_PNSt15iterator_traitsIS12_E10value_typeET2_T3_PNS13_IS18_E10value_typeET4_jRbjT5_S1E_jjP12ihipStream_tbEUljE_ZNSN_ISO_Lb0ESQ_SR_ST_SU_SY_EESZ_S10_S11_S12_S16_S17_S18_S1B_S1C_jS1D_jS1E_S1E_jjS1G_bEUljE0_EEESZ_S10_S11_S18_S1C_S1E_T6_T7_T9_mT8_S1G_bDpT10_ENKUlT_T0_E_clISt17integral_constantIbLb1EES1T_IbLb0EEEEDaS1P_S1Q_EUlS1P_E_NS1_11comp_targetILNS1_3genE2ELNS1_11target_archE906ELNS1_3gpuE6ELNS1_3repE0EEENS1_30default_config_static_selectorELNS0_4arch9wavefront6targetE0EEEvS12_.numbered_sgpr, 0
	.set _ZN7rocprim17ROCPRIM_400000_NS6detail17trampoline_kernelINS0_13select_configILj256ELj13ELNS0_17block_load_methodE3ELS4_3ELS4_3ELNS0_20block_scan_algorithmE0ELj4294967295EEENS1_25partition_config_selectorILNS1_17partition_subalgoE4EjNS0_10empty_typeEbEEZZNS1_14partition_implILS8_4ELb0ES6_15HIP_vector_typeIjLj2EENS0_17counting_iteratorIjlEEPS9_SG_NS0_5tupleIJPjSI_NS0_16reverse_iteratorISI_EEEEENSH_IJSG_SG_SG_EEES9_SI_JZNS1_25segmented_radix_sort_implINS0_14default_configELb0EPKsPsPKlPlN2at6native12_GLOBAL__N_18offset_tEEE10hipError_tPvRmT1_PNSt15iterator_traitsIS12_E10value_typeET2_T3_PNS13_IS18_E10value_typeET4_jRbjT5_S1E_jjP12ihipStream_tbEUljE_ZNSN_ISO_Lb0ESQ_SR_ST_SU_SY_EESZ_S10_S11_S12_S16_S17_S18_S1B_S1C_jS1D_jS1E_S1E_jjS1G_bEUljE0_EEESZ_S10_S11_S18_S1C_S1E_T6_T7_T9_mT8_S1G_bDpT10_ENKUlT_T0_E_clISt17integral_constantIbLb1EES1T_IbLb0EEEEDaS1P_S1Q_EUlS1P_E_NS1_11comp_targetILNS1_3genE2ELNS1_11target_archE906ELNS1_3gpuE6ELNS1_3repE0EEENS1_30default_config_static_selectorELNS0_4arch9wavefront6targetE0EEEvS12_.num_named_barrier, 0
	.set _ZN7rocprim17ROCPRIM_400000_NS6detail17trampoline_kernelINS0_13select_configILj256ELj13ELNS0_17block_load_methodE3ELS4_3ELS4_3ELNS0_20block_scan_algorithmE0ELj4294967295EEENS1_25partition_config_selectorILNS1_17partition_subalgoE4EjNS0_10empty_typeEbEEZZNS1_14partition_implILS8_4ELb0ES6_15HIP_vector_typeIjLj2EENS0_17counting_iteratorIjlEEPS9_SG_NS0_5tupleIJPjSI_NS0_16reverse_iteratorISI_EEEEENSH_IJSG_SG_SG_EEES9_SI_JZNS1_25segmented_radix_sort_implINS0_14default_configELb0EPKsPsPKlPlN2at6native12_GLOBAL__N_18offset_tEEE10hipError_tPvRmT1_PNSt15iterator_traitsIS12_E10value_typeET2_T3_PNS13_IS18_E10value_typeET4_jRbjT5_S1E_jjP12ihipStream_tbEUljE_ZNSN_ISO_Lb0ESQ_SR_ST_SU_SY_EESZ_S10_S11_S12_S16_S17_S18_S1B_S1C_jS1D_jS1E_S1E_jjS1G_bEUljE0_EEESZ_S10_S11_S18_S1C_S1E_T6_T7_T9_mT8_S1G_bDpT10_ENKUlT_T0_E_clISt17integral_constantIbLb1EES1T_IbLb0EEEEDaS1P_S1Q_EUlS1P_E_NS1_11comp_targetILNS1_3genE2ELNS1_11target_archE906ELNS1_3gpuE6ELNS1_3repE0EEENS1_30default_config_static_selectorELNS0_4arch9wavefront6targetE0EEEvS12_.private_seg_size, 0
	.set _ZN7rocprim17ROCPRIM_400000_NS6detail17trampoline_kernelINS0_13select_configILj256ELj13ELNS0_17block_load_methodE3ELS4_3ELS4_3ELNS0_20block_scan_algorithmE0ELj4294967295EEENS1_25partition_config_selectorILNS1_17partition_subalgoE4EjNS0_10empty_typeEbEEZZNS1_14partition_implILS8_4ELb0ES6_15HIP_vector_typeIjLj2EENS0_17counting_iteratorIjlEEPS9_SG_NS0_5tupleIJPjSI_NS0_16reverse_iteratorISI_EEEEENSH_IJSG_SG_SG_EEES9_SI_JZNS1_25segmented_radix_sort_implINS0_14default_configELb0EPKsPsPKlPlN2at6native12_GLOBAL__N_18offset_tEEE10hipError_tPvRmT1_PNSt15iterator_traitsIS12_E10value_typeET2_T3_PNS13_IS18_E10value_typeET4_jRbjT5_S1E_jjP12ihipStream_tbEUljE_ZNSN_ISO_Lb0ESQ_SR_ST_SU_SY_EESZ_S10_S11_S12_S16_S17_S18_S1B_S1C_jS1D_jS1E_S1E_jjS1G_bEUljE0_EEESZ_S10_S11_S18_S1C_S1E_T6_T7_T9_mT8_S1G_bDpT10_ENKUlT_T0_E_clISt17integral_constantIbLb1EES1T_IbLb0EEEEDaS1P_S1Q_EUlS1P_E_NS1_11comp_targetILNS1_3genE2ELNS1_11target_archE906ELNS1_3gpuE6ELNS1_3repE0EEENS1_30default_config_static_selectorELNS0_4arch9wavefront6targetE0EEEvS12_.uses_vcc, 0
	.set _ZN7rocprim17ROCPRIM_400000_NS6detail17trampoline_kernelINS0_13select_configILj256ELj13ELNS0_17block_load_methodE3ELS4_3ELS4_3ELNS0_20block_scan_algorithmE0ELj4294967295EEENS1_25partition_config_selectorILNS1_17partition_subalgoE4EjNS0_10empty_typeEbEEZZNS1_14partition_implILS8_4ELb0ES6_15HIP_vector_typeIjLj2EENS0_17counting_iteratorIjlEEPS9_SG_NS0_5tupleIJPjSI_NS0_16reverse_iteratorISI_EEEEENSH_IJSG_SG_SG_EEES9_SI_JZNS1_25segmented_radix_sort_implINS0_14default_configELb0EPKsPsPKlPlN2at6native12_GLOBAL__N_18offset_tEEE10hipError_tPvRmT1_PNSt15iterator_traitsIS12_E10value_typeET2_T3_PNS13_IS18_E10value_typeET4_jRbjT5_S1E_jjP12ihipStream_tbEUljE_ZNSN_ISO_Lb0ESQ_SR_ST_SU_SY_EESZ_S10_S11_S12_S16_S17_S18_S1B_S1C_jS1D_jS1E_S1E_jjS1G_bEUljE0_EEESZ_S10_S11_S18_S1C_S1E_T6_T7_T9_mT8_S1G_bDpT10_ENKUlT_T0_E_clISt17integral_constantIbLb1EES1T_IbLb0EEEEDaS1P_S1Q_EUlS1P_E_NS1_11comp_targetILNS1_3genE2ELNS1_11target_archE906ELNS1_3gpuE6ELNS1_3repE0EEENS1_30default_config_static_selectorELNS0_4arch9wavefront6targetE0EEEvS12_.uses_flat_scratch, 0
	.set _ZN7rocprim17ROCPRIM_400000_NS6detail17trampoline_kernelINS0_13select_configILj256ELj13ELNS0_17block_load_methodE3ELS4_3ELS4_3ELNS0_20block_scan_algorithmE0ELj4294967295EEENS1_25partition_config_selectorILNS1_17partition_subalgoE4EjNS0_10empty_typeEbEEZZNS1_14partition_implILS8_4ELb0ES6_15HIP_vector_typeIjLj2EENS0_17counting_iteratorIjlEEPS9_SG_NS0_5tupleIJPjSI_NS0_16reverse_iteratorISI_EEEEENSH_IJSG_SG_SG_EEES9_SI_JZNS1_25segmented_radix_sort_implINS0_14default_configELb0EPKsPsPKlPlN2at6native12_GLOBAL__N_18offset_tEEE10hipError_tPvRmT1_PNSt15iterator_traitsIS12_E10value_typeET2_T3_PNS13_IS18_E10value_typeET4_jRbjT5_S1E_jjP12ihipStream_tbEUljE_ZNSN_ISO_Lb0ESQ_SR_ST_SU_SY_EESZ_S10_S11_S12_S16_S17_S18_S1B_S1C_jS1D_jS1E_S1E_jjS1G_bEUljE0_EEESZ_S10_S11_S18_S1C_S1E_T6_T7_T9_mT8_S1G_bDpT10_ENKUlT_T0_E_clISt17integral_constantIbLb1EES1T_IbLb0EEEEDaS1P_S1Q_EUlS1P_E_NS1_11comp_targetILNS1_3genE2ELNS1_11target_archE906ELNS1_3gpuE6ELNS1_3repE0EEENS1_30default_config_static_selectorELNS0_4arch9wavefront6targetE0EEEvS12_.has_dyn_sized_stack, 0
	.set _ZN7rocprim17ROCPRIM_400000_NS6detail17trampoline_kernelINS0_13select_configILj256ELj13ELNS0_17block_load_methodE3ELS4_3ELS4_3ELNS0_20block_scan_algorithmE0ELj4294967295EEENS1_25partition_config_selectorILNS1_17partition_subalgoE4EjNS0_10empty_typeEbEEZZNS1_14partition_implILS8_4ELb0ES6_15HIP_vector_typeIjLj2EENS0_17counting_iteratorIjlEEPS9_SG_NS0_5tupleIJPjSI_NS0_16reverse_iteratorISI_EEEEENSH_IJSG_SG_SG_EEES9_SI_JZNS1_25segmented_radix_sort_implINS0_14default_configELb0EPKsPsPKlPlN2at6native12_GLOBAL__N_18offset_tEEE10hipError_tPvRmT1_PNSt15iterator_traitsIS12_E10value_typeET2_T3_PNS13_IS18_E10value_typeET4_jRbjT5_S1E_jjP12ihipStream_tbEUljE_ZNSN_ISO_Lb0ESQ_SR_ST_SU_SY_EESZ_S10_S11_S12_S16_S17_S18_S1B_S1C_jS1D_jS1E_S1E_jjS1G_bEUljE0_EEESZ_S10_S11_S18_S1C_S1E_T6_T7_T9_mT8_S1G_bDpT10_ENKUlT_T0_E_clISt17integral_constantIbLb1EES1T_IbLb0EEEEDaS1P_S1Q_EUlS1P_E_NS1_11comp_targetILNS1_3genE2ELNS1_11target_archE906ELNS1_3gpuE6ELNS1_3repE0EEENS1_30default_config_static_selectorELNS0_4arch9wavefront6targetE0EEEvS12_.has_recursion, 0
	.set _ZN7rocprim17ROCPRIM_400000_NS6detail17trampoline_kernelINS0_13select_configILj256ELj13ELNS0_17block_load_methodE3ELS4_3ELS4_3ELNS0_20block_scan_algorithmE0ELj4294967295EEENS1_25partition_config_selectorILNS1_17partition_subalgoE4EjNS0_10empty_typeEbEEZZNS1_14partition_implILS8_4ELb0ES6_15HIP_vector_typeIjLj2EENS0_17counting_iteratorIjlEEPS9_SG_NS0_5tupleIJPjSI_NS0_16reverse_iteratorISI_EEEEENSH_IJSG_SG_SG_EEES9_SI_JZNS1_25segmented_radix_sort_implINS0_14default_configELb0EPKsPsPKlPlN2at6native12_GLOBAL__N_18offset_tEEE10hipError_tPvRmT1_PNSt15iterator_traitsIS12_E10value_typeET2_T3_PNS13_IS18_E10value_typeET4_jRbjT5_S1E_jjP12ihipStream_tbEUljE_ZNSN_ISO_Lb0ESQ_SR_ST_SU_SY_EESZ_S10_S11_S12_S16_S17_S18_S1B_S1C_jS1D_jS1E_S1E_jjS1G_bEUljE0_EEESZ_S10_S11_S18_S1C_S1E_T6_T7_T9_mT8_S1G_bDpT10_ENKUlT_T0_E_clISt17integral_constantIbLb1EES1T_IbLb0EEEEDaS1P_S1Q_EUlS1P_E_NS1_11comp_targetILNS1_3genE2ELNS1_11target_archE906ELNS1_3gpuE6ELNS1_3repE0EEENS1_30default_config_static_selectorELNS0_4arch9wavefront6targetE0EEEvS12_.has_indirect_call, 0
	.section	.AMDGPU.csdata,"",@progbits
; Kernel info:
; codeLenInByte = 0
; TotalNumSgprs: 0
; NumVgprs: 0
; ScratchSize: 0
; MemoryBound: 0
; FloatMode: 240
; IeeeMode: 1
; LDSByteSize: 0 bytes/workgroup (compile time only)
; SGPRBlocks: 0
; VGPRBlocks: 0
; NumSGPRsForWavesPerEU: 1
; NumVGPRsForWavesPerEU: 1
; NamedBarCnt: 0
; Occupancy: 16
; WaveLimiterHint : 0
; COMPUTE_PGM_RSRC2:SCRATCH_EN: 0
; COMPUTE_PGM_RSRC2:USER_SGPR: 2
; COMPUTE_PGM_RSRC2:TRAP_HANDLER: 0
; COMPUTE_PGM_RSRC2:TGID_X_EN: 1
; COMPUTE_PGM_RSRC2:TGID_Y_EN: 0
; COMPUTE_PGM_RSRC2:TGID_Z_EN: 0
; COMPUTE_PGM_RSRC2:TIDIG_COMP_CNT: 0
	.section	.text._ZN7rocprim17ROCPRIM_400000_NS6detail17trampoline_kernelINS0_13select_configILj256ELj13ELNS0_17block_load_methodE3ELS4_3ELS4_3ELNS0_20block_scan_algorithmE0ELj4294967295EEENS1_25partition_config_selectorILNS1_17partition_subalgoE4EjNS0_10empty_typeEbEEZZNS1_14partition_implILS8_4ELb0ES6_15HIP_vector_typeIjLj2EENS0_17counting_iteratorIjlEEPS9_SG_NS0_5tupleIJPjSI_NS0_16reverse_iteratorISI_EEEEENSH_IJSG_SG_SG_EEES9_SI_JZNS1_25segmented_radix_sort_implINS0_14default_configELb0EPKsPsPKlPlN2at6native12_GLOBAL__N_18offset_tEEE10hipError_tPvRmT1_PNSt15iterator_traitsIS12_E10value_typeET2_T3_PNS13_IS18_E10value_typeET4_jRbjT5_S1E_jjP12ihipStream_tbEUljE_ZNSN_ISO_Lb0ESQ_SR_ST_SU_SY_EESZ_S10_S11_S12_S16_S17_S18_S1B_S1C_jS1D_jS1E_S1E_jjS1G_bEUljE0_EEESZ_S10_S11_S18_S1C_S1E_T6_T7_T9_mT8_S1G_bDpT10_ENKUlT_T0_E_clISt17integral_constantIbLb1EES1T_IbLb0EEEEDaS1P_S1Q_EUlS1P_E_NS1_11comp_targetILNS1_3genE10ELNS1_11target_archE1200ELNS1_3gpuE4ELNS1_3repE0EEENS1_30default_config_static_selectorELNS0_4arch9wavefront6targetE0EEEvS12_,"axG",@progbits,_ZN7rocprim17ROCPRIM_400000_NS6detail17trampoline_kernelINS0_13select_configILj256ELj13ELNS0_17block_load_methodE3ELS4_3ELS4_3ELNS0_20block_scan_algorithmE0ELj4294967295EEENS1_25partition_config_selectorILNS1_17partition_subalgoE4EjNS0_10empty_typeEbEEZZNS1_14partition_implILS8_4ELb0ES6_15HIP_vector_typeIjLj2EENS0_17counting_iteratorIjlEEPS9_SG_NS0_5tupleIJPjSI_NS0_16reverse_iteratorISI_EEEEENSH_IJSG_SG_SG_EEES9_SI_JZNS1_25segmented_radix_sort_implINS0_14default_configELb0EPKsPsPKlPlN2at6native12_GLOBAL__N_18offset_tEEE10hipError_tPvRmT1_PNSt15iterator_traitsIS12_E10value_typeET2_T3_PNS13_IS18_E10value_typeET4_jRbjT5_S1E_jjP12ihipStream_tbEUljE_ZNSN_ISO_Lb0ESQ_SR_ST_SU_SY_EESZ_S10_S11_S12_S16_S17_S18_S1B_S1C_jS1D_jS1E_S1E_jjS1G_bEUljE0_EEESZ_S10_S11_S18_S1C_S1E_T6_T7_T9_mT8_S1G_bDpT10_ENKUlT_T0_E_clISt17integral_constantIbLb1EES1T_IbLb0EEEEDaS1P_S1Q_EUlS1P_E_NS1_11comp_targetILNS1_3genE10ELNS1_11target_archE1200ELNS1_3gpuE4ELNS1_3repE0EEENS1_30default_config_static_selectorELNS0_4arch9wavefront6targetE0EEEvS12_,comdat
	.globl	_ZN7rocprim17ROCPRIM_400000_NS6detail17trampoline_kernelINS0_13select_configILj256ELj13ELNS0_17block_load_methodE3ELS4_3ELS4_3ELNS0_20block_scan_algorithmE0ELj4294967295EEENS1_25partition_config_selectorILNS1_17partition_subalgoE4EjNS0_10empty_typeEbEEZZNS1_14partition_implILS8_4ELb0ES6_15HIP_vector_typeIjLj2EENS0_17counting_iteratorIjlEEPS9_SG_NS0_5tupleIJPjSI_NS0_16reverse_iteratorISI_EEEEENSH_IJSG_SG_SG_EEES9_SI_JZNS1_25segmented_radix_sort_implINS0_14default_configELb0EPKsPsPKlPlN2at6native12_GLOBAL__N_18offset_tEEE10hipError_tPvRmT1_PNSt15iterator_traitsIS12_E10value_typeET2_T3_PNS13_IS18_E10value_typeET4_jRbjT5_S1E_jjP12ihipStream_tbEUljE_ZNSN_ISO_Lb0ESQ_SR_ST_SU_SY_EESZ_S10_S11_S12_S16_S17_S18_S1B_S1C_jS1D_jS1E_S1E_jjS1G_bEUljE0_EEESZ_S10_S11_S18_S1C_S1E_T6_T7_T9_mT8_S1G_bDpT10_ENKUlT_T0_E_clISt17integral_constantIbLb1EES1T_IbLb0EEEEDaS1P_S1Q_EUlS1P_E_NS1_11comp_targetILNS1_3genE10ELNS1_11target_archE1200ELNS1_3gpuE4ELNS1_3repE0EEENS1_30default_config_static_selectorELNS0_4arch9wavefront6targetE0EEEvS12_ ; -- Begin function _ZN7rocprim17ROCPRIM_400000_NS6detail17trampoline_kernelINS0_13select_configILj256ELj13ELNS0_17block_load_methodE3ELS4_3ELS4_3ELNS0_20block_scan_algorithmE0ELj4294967295EEENS1_25partition_config_selectorILNS1_17partition_subalgoE4EjNS0_10empty_typeEbEEZZNS1_14partition_implILS8_4ELb0ES6_15HIP_vector_typeIjLj2EENS0_17counting_iteratorIjlEEPS9_SG_NS0_5tupleIJPjSI_NS0_16reverse_iteratorISI_EEEEENSH_IJSG_SG_SG_EEES9_SI_JZNS1_25segmented_radix_sort_implINS0_14default_configELb0EPKsPsPKlPlN2at6native12_GLOBAL__N_18offset_tEEE10hipError_tPvRmT1_PNSt15iterator_traitsIS12_E10value_typeET2_T3_PNS13_IS18_E10value_typeET4_jRbjT5_S1E_jjP12ihipStream_tbEUljE_ZNSN_ISO_Lb0ESQ_SR_ST_SU_SY_EESZ_S10_S11_S12_S16_S17_S18_S1B_S1C_jS1D_jS1E_S1E_jjS1G_bEUljE0_EEESZ_S10_S11_S18_S1C_S1E_T6_T7_T9_mT8_S1G_bDpT10_ENKUlT_T0_E_clISt17integral_constantIbLb1EES1T_IbLb0EEEEDaS1P_S1Q_EUlS1P_E_NS1_11comp_targetILNS1_3genE10ELNS1_11target_archE1200ELNS1_3gpuE4ELNS1_3repE0EEENS1_30default_config_static_selectorELNS0_4arch9wavefront6targetE0EEEvS12_
	.p2align	8
	.type	_ZN7rocprim17ROCPRIM_400000_NS6detail17trampoline_kernelINS0_13select_configILj256ELj13ELNS0_17block_load_methodE3ELS4_3ELS4_3ELNS0_20block_scan_algorithmE0ELj4294967295EEENS1_25partition_config_selectorILNS1_17partition_subalgoE4EjNS0_10empty_typeEbEEZZNS1_14partition_implILS8_4ELb0ES6_15HIP_vector_typeIjLj2EENS0_17counting_iteratorIjlEEPS9_SG_NS0_5tupleIJPjSI_NS0_16reverse_iteratorISI_EEEEENSH_IJSG_SG_SG_EEES9_SI_JZNS1_25segmented_radix_sort_implINS0_14default_configELb0EPKsPsPKlPlN2at6native12_GLOBAL__N_18offset_tEEE10hipError_tPvRmT1_PNSt15iterator_traitsIS12_E10value_typeET2_T3_PNS13_IS18_E10value_typeET4_jRbjT5_S1E_jjP12ihipStream_tbEUljE_ZNSN_ISO_Lb0ESQ_SR_ST_SU_SY_EESZ_S10_S11_S12_S16_S17_S18_S1B_S1C_jS1D_jS1E_S1E_jjS1G_bEUljE0_EEESZ_S10_S11_S18_S1C_S1E_T6_T7_T9_mT8_S1G_bDpT10_ENKUlT_T0_E_clISt17integral_constantIbLb1EES1T_IbLb0EEEEDaS1P_S1Q_EUlS1P_E_NS1_11comp_targetILNS1_3genE10ELNS1_11target_archE1200ELNS1_3gpuE4ELNS1_3repE0EEENS1_30default_config_static_selectorELNS0_4arch9wavefront6targetE0EEEvS12_,@function
_ZN7rocprim17ROCPRIM_400000_NS6detail17trampoline_kernelINS0_13select_configILj256ELj13ELNS0_17block_load_methodE3ELS4_3ELS4_3ELNS0_20block_scan_algorithmE0ELj4294967295EEENS1_25partition_config_selectorILNS1_17partition_subalgoE4EjNS0_10empty_typeEbEEZZNS1_14partition_implILS8_4ELb0ES6_15HIP_vector_typeIjLj2EENS0_17counting_iteratorIjlEEPS9_SG_NS0_5tupleIJPjSI_NS0_16reverse_iteratorISI_EEEEENSH_IJSG_SG_SG_EEES9_SI_JZNS1_25segmented_radix_sort_implINS0_14default_configELb0EPKsPsPKlPlN2at6native12_GLOBAL__N_18offset_tEEE10hipError_tPvRmT1_PNSt15iterator_traitsIS12_E10value_typeET2_T3_PNS13_IS18_E10value_typeET4_jRbjT5_S1E_jjP12ihipStream_tbEUljE_ZNSN_ISO_Lb0ESQ_SR_ST_SU_SY_EESZ_S10_S11_S12_S16_S17_S18_S1B_S1C_jS1D_jS1E_S1E_jjS1G_bEUljE0_EEESZ_S10_S11_S18_S1C_S1E_T6_T7_T9_mT8_S1G_bDpT10_ENKUlT_T0_E_clISt17integral_constantIbLb1EES1T_IbLb0EEEEDaS1P_S1Q_EUlS1P_E_NS1_11comp_targetILNS1_3genE10ELNS1_11target_archE1200ELNS1_3gpuE4ELNS1_3repE0EEENS1_30default_config_static_selectorELNS0_4arch9wavefront6targetE0EEEvS12_: ; @_ZN7rocprim17ROCPRIM_400000_NS6detail17trampoline_kernelINS0_13select_configILj256ELj13ELNS0_17block_load_methodE3ELS4_3ELS4_3ELNS0_20block_scan_algorithmE0ELj4294967295EEENS1_25partition_config_selectorILNS1_17partition_subalgoE4EjNS0_10empty_typeEbEEZZNS1_14partition_implILS8_4ELb0ES6_15HIP_vector_typeIjLj2EENS0_17counting_iteratorIjlEEPS9_SG_NS0_5tupleIJPjSI_NS0_16reverse_iteratorISI_EEEEENSH_IJSG_SG_SG_EEES9_SI_JZNS1_25segmented_radix_sort_implINS0_14default_configELb0EPKsPsPKlPlN2at6native12_GLOBAL__N_18offset_tEEE10hipError_tPvRmT1_PNSt15iterator_traitsIS12_E10value_typeET2_T3_PNS13_IS18_E10value_typeET4_jRbjT5_S1E_jjP12ihipStream_tbEUljE_ZNSN_ISO_Lb0ESQ_SR_ST_SU_SY_EESZ_S10_S11_S12_S16_S17_S18_S1B_S1C_jS1D_jS1E_S1E_jjS1G_bEUljE0_EEESZ_S10_S11_S18_S1C_S1E_T6_T7_T9_mT8_S1G_bDpT10_ENKUlT_T0_E_clISt17integral_constantIbLb1EES1T_IbLb0EEEEDaS1P_S1Q_EUlS1P_E_NS1_11comp_targetILNS1_3genE10ELNS1_11target_archE1200ELNS1_3gpuE4ELNS1_3repE0EEENS1_30default_config_static_selectorELNS0_4arch9wavefront6targetE0EEEvS12_
; %bb.0:
	.section	.rodata,"a",@progbits
	.p2align	6, 0x0
	.amdhsa_kernel _ZN7rocprim17ROCPRIM_400000_NS6detail17trampoline_kernelINS0_13select_configILj256ELj13ELNS0_17block_load_methodE3ELS4_3ELS4_3ELNS0_20block_scan_algorithmE0ELj4294967295EEENS1_25partition_config_selectorILNS1_17partition_subalgoE4EjNS0_10empty_typeEbEEZZNS1_14partition_implILS8_4ELb0ES6_15HIP_vector_typeIjLj2EENS0_17counting_iteratorIjlEEPS9_SG_NS0_5tupleIJPjSI_NS0_16reverse_iteratorISI_EEEEENSH_IJSG_SG_SG_EEES9_SI_JZNS1_25segmented_radix_sort_implINS0_14default_configELb0EPKsPsPKlPlN2at6native12_GLOBAL__N_18offset_tEEE10hipError_tPvRmT1_PNSt15iterator_traitsIS12_E10value_typeET2_T3_PNS13_IS18_E10value_typeET4_jRbjT5_S1E_jjP12ihipStream_tbEUljE_ZNSN_ISO_Lb0ESQ_SR_ST_SU_SY_EESZ_S10_S11_S12_S16_S17_S18_S1B_S1C_jS1D_jS1E_S1E_jjS1G_bEUljE0_EEESZ_S10_S11_S18_S1C_S1E_T6_T7_T9_mT8_S1G_bDpT10_ENKUlT_T0_E_clISt17integral_constantIbLb1EES1T_IbLb0EEEEDaS1P_S1Q_EUlS1P_E_NS1_11comp_targetILNS1_3genE10ELNS1_11target_archE1200ELNS1_3gpuE4ELNS1_3repE0EEENS1_30default_config_static_selectorELNS0_4arch9wavefront6targetE0EEEvS12_
		.amdhsa_group_segment_fixed_size 0
		.amdhsa_private_segment_fixed_size 0
		.amdhsa_kernarg_size 176
		.amdhsa_user_sgpr_count 2
		.amdhsa_user_sgpr_dispatch_ptr 0
		.amdhsa_user_sgpr_queue_ptr 0
		.amdhsa_user_sgpr_kernarg_segment_ptr 1
		.amdhsa_user_sgpr_dispatch_id 0
		.amdhsa_user_sgpr_kernarg_preload_length 0
		.amdhsa_user_sgpr_kernarg_preload_offset 0
		.amdhsa_user_sgpr_private_segment_size 0
		.amdhsa_wavefront_size32 1
		.amdhsa_uses_dynamic_stack 0
		.amdhsa_enable_private_segment 0
		.amdhsa_system_sgpr_workgroup_id_x 1
		.amdhsa_system_sgpr_workgroup_id_y 0
		.amdhsa_system_sgpr_workgroup_id_z 0
		.amdhsa_system_sgpr_workgroup_info 0
		.amdhsa_system_vgpr_workitem_id 0
		.amdhsa_next_free_vgpr 1
		.amdhsa_next_free_sgpr 1
		.amdhsa_named_barrier_count 0
		.amdhsa_reserve_vcc 0
		.amdhsa_float_round_mode_32 0
		.amdhsa_float_round_mode_16_64 0
		.amdhsa_float_denorm_mode_32 3
		.amdhsa_float_denorm_mode_16_64 3
		.amdhsa_fp16_overflow 0
		.amdhsa_memory_ordered 1
		.amdhsa_forward_progress 1
		.amdhsa_inst_pref_size 0
		.amdhsa_round_robin_scheduling 0
		.amdhsa_exception_fp_ieee_invalid_op 0
		.amdhsa_exception_fp_denorm_src 0
		.amdhsa_exception_fp_ieee_div_zero 0
		.amdhsa_exception_fp_ieee_overflow 0
		.amdhsa_exception_fp_ieee_underflow 0
		.amdhsa_exception_fp_ieee_inexact 0
		.amdhsa_exception_int_div_zero 0
	.end_amdhsa_kernel
	.section	.text._ZN7rocprim17ROCPRIM_400000_NS6detail17trampoline_kernelINS0_13select_configILj256ELj13ELNS0_17block_load_methodE3ELS4_3ELS4_3ELNS0_20block_scan_algorithmE0ELj4294967295EEENS1_25partition_config_selectorILNS1_17partition_subalgoE4EjNS0_10empty_typeEbEEZZNS1_14partition_implILS8_4ELb0ES6_15HIP_vector_typeIjLj2EENS0_17counting_iteratorIjlEEPS9_SG_NS0_5tupleIJPjSI_NS0_16reverse_iteratorISI_EEEEENSH_IJSG_SG_SG_EEES9_SI_JZNS1_25segmented_radix_sort_implINS0_14default_configELb0EPKsPsPKlPlN2at6native12_GLOBAL__N_18offset_tEEE10hipError_tPvRmT1_PNSt15iterator_traitsIS12_E10value_typeET2_T3_PNS13_IS18_E10value_typeET4_jRbjT5_S1E_jjP12ihipStream_tbEUljE_ZNSN_ISO_Lb0ESQ_SR_ST_SU_SY_EESZ_S10_S11_S12_S16_S17_S18_S1B_S1C_jS1D_jS1E_S1E_jjS1G_bEUljE0_EEESZ_S10_S11_S18_S1C_S1E_T6_T7_T9_mT8_S1G_bDpT10_ENKUlT_T0_E_clISt17integral_constantIbLb1EES1T_IbLb0EEEEDaS1P_S1Q_EUlS1P_E_NS1_11comp_targetILNS1_3genE10ELNS1_11target_archE1200ELNS1_3gpuE4ELNS1_3repE0EEENS1_30default_config_static_selectorELNS0_4arch9wavefront6targetE0EEEvS12_,"axG",@progbits,_ZN7rocprim17ROCPRIM_400000_NS6detail17trampoline_kernelINS0_13select_configILj256ELj13ELNS0_17block_load_methodE3ELS4_3ELS4_3ELNS0_20block_scan_algorithmE0ELj4294967295EEENS1_25partition_config_selectorILNS1_17partition_subalgoE4EjNS0_10empty_typeEbEEZZNS1_14partition_implILS8_4ELb0ES6_15HIP_vector_typeIjLj2EENS0_17counting_iteratorIjlEEPS9_SG_NS0_5tupleIJPjSI_NS0_16reverse_iteratorISI_EEEEENSH_IJSG_SG_SG_EEES9_SI_JZNS1_25segmented_radix_sort_implINS0_14default_configELb0EPKsPsPKlPlN2at6native12_GLOBAL__N_18offset_tEEE10hipError_tPvRmT1_PNSt15iterator_traitsIS12_E10value_typeET2_T3_PNS13_IS18_E10value_typeET4_jRbjT5_S1E_jjP12ihipStream_tbEUljE_ZNSN_ISO_Lb0ESQ_SR_ST_SU_SY_EESZ_S10_S11_S12_S16_S17_S18_S1B_S1C_jS1D_jS1E_S1E_jjS1G_bEUljE0_EEESZ_S10_S11_S18_S1C_S1E_T6_T7_T9_mT8_S1G_bDpT10_ENKUlT_T0_E_clISt17integral_constantIbLb1EES1T_IbLb0EEEEDaS1P_S1Q_EUlS1P_E_NS1_11comp_targetILNS1_3genE10ELNS1_11target_archE1200ELNS1_3gpuE4ELNS1_3repE0EEENS1_30default_config_static_selectorELNS0_4arch9wavefront6targetE0EEEvS12_,comdat
.Lfunc_end966:
	.size	_ZN7rocprim17ROCPRIM_400000_NS6detail17trampoline_kernelINS0_13select_configILj256ELj13ELNS0_17block_load_methodE3ELS4_3ELS4_3ELNS0_20block_scan_algorithmE0ELj4294967295EEENS1_25partition_config_selectorILNS1_17partition_subalgoE4EjNS0_10empty_typeEbEEZZNS1_14partition_implILS8_4ELb0ES6_15HIP_vector_typeIjLj2EENS0_17counting_iteratorIjlEEPS9_SG_NS0_5tupleIJPjSI_NS0_16reverse_iteratorISI_EEEEENSH_IJSG_SG_SG_EEES9_SI_JZNS1_25segmented_radix_sort_implINS0_14default_configELb0EPKsPsPKlPlN2at6native12_GLOBAL__N_18offset_tEEE10hipError_tPvRmT1_PNSt15iterator_traitsIS12_E10value_typeET2_T3_PNS13_IS18_E10value_typeET4_jRbjT5_S1E_jjP12ihipStream_tbEUljE_ZNSN_ISO_Lb0ESQ_SR_ST_SU_SY_EESZ_S10_S11_S12_S16_S17_S18_S1B_S1C_jS1D_jS1E_S1E_jjS1G_bEUljE0_EEESZ_S10_S11_S18_S1C_S1E_T6_T7_T9_mT8_S1G_bDpT10_ENKUlT_T0_E_clISt17integral_constantIbLb1EES1T_IbLb0EEEEDaS1P_S1Q_EUlS1P_E_NS1_11comp_targetILNS1_3genE10ELNS1_11target_archE1200ELNS1_3gpuE4ELNS1_3repE0EEENS1_30default_config_static_selectorELNS0_4arch9wavefront6targetE0EEEvS12_, .Lfunc_end966-_ZN7rocprim17ROCPRIM_400000_NS6detail17trampoline_kernelINS0_13select_configILj256ELj13ELNS0_17block_load_methodE3ELS4_3ELS4_3ELNS0_20block_scan_algorithmE0ELj4294967295EEENS1_25partition_config_selectorILNS1_17partition_subalgoE4EjNS0_10empty_typeEbEEZZNS1_14partition_implILS8_4ELb0ES6_15HIP_vector_typeIjLj2EENS0_17counting_iteratorIjlEEPS9_SG_NS0_5tupleIJPjSI_NS0_16reverse_iteratorISI_EEEEENSH_IJSG_SG_SG_EEES9_SI_JZNS1_25segmented_radix_sort_implINS0_14default_configELb0EPKsPsPKlPlN2at6native12_GLOBAL__N_18offset_tEEE10hipError_tPvRmT1_PNSt15iterator_traitsIS12_E10value_typeET2_T3_PNS13_IS18_E10value_typeET4_jRbjT5_S1E_jjP12ihipStream_tbEUljE_ZNSN_ISO_Lb0ESQ_SR_ST_SU_SY_EESZ_S10_S11_S12_S16_S17_S18_S1B_S1C_jS1D_jS1E_S1E_jjS1G_bEUljE0_EEESZ_S10_S11_S18_S1C_S1E_T6_T7_T9_mT8_S1G_bDpT10_ENKUlT_T0_E_clISt17integral_constantIbLb1EES1T_IbLb0EEEEDaS1P_S1Q_EUlS1P_E_NS1_11comp_targetILNS1_3genE10ELNS1_11target_archE1200ELNS1_3gpuE4ELNS1_3repE0EEENS1_30default_config_static_selectorELNS0_4arch9wavefront6targetE0EEEvS12_
                                        ; -- End function
	.set _ZN7rocprim17ROCPRIM_400000_NS6detail17trampoline_kernelINS0_13select_configILj256ELj13ELNS0_17block_load_methodE3ELS4_3ELS4_3ELNS0_20block_scan_algorithmE0ELj4294967295EEENS1_25partition_config_selectorILNS1_17partition_subalgoE4EjNS0_10empty_typeEbEEZZNS1_14partition_implILS8_4ELb0ES6_15HIP_vector_typeIjLj2EENS0_17counting_iteratorIjlEEPS9_SG_NS0_5tupleIJPjSI_NS0_16reverse_iteratorISI_EEEEENSH_IJSG_SG_SG_EEES9_SI_JZNS1_25segmented_radix_sort_implINS0_14default_configELb0EPKsPsPKlPlN2at6native12_GLOBAL__N_18offset_tEEE10hipError_tPvRmT1_PNSt15iterator_traitsIS12_E10value_typeET2_T3_PNS13_IS18_E10value_typeET4_jRbjT5_S1E_jjP12ihipStream_tbEUljE_ZNSN_ISO_Lb0ESQ_SR_ST_SU_SY_EESZ_S10_S11_S12_S16_S17_S18_S1B_S1C_jS1D_jS1E_S1E_jjS1G_bEUljE0_EEESZ_S10_S11_S18_S1C_S1E_T6_T7_T9_mT8_S1G_bDpT10_ENKUlT_T0_E_clISt17integral_constantIbLb1EES1T_IbLb0EEEEDaS1P_S1Q_EUlS1P_E_NS1_11comp_targetILNS1_3genE10ELNS1_11target_archE1200ELNS1_3gpuE4ELNS1_3repE0EEENS1_30default_config_static_selectorELNS0_4arch9wavefront6targetE0EEEvS12_.num_vgpr, 0
	.set _ZN7rocprim17ROCPRIM_400000_NS6detail17trampoline_kernelINS0_13select_configILj256ELj13ELNS0_17block_load_methodE3ELS4_3ELS4_3ELNS0_20block_scan_algorithmE0ELj4294967295EEENS1_25partition_config_selectorILNS1_17partition_subalgoE4EjNS0_10empty_typeEbEEZZNS1_14partition_implILS8_4ELb0ES6_15HIP_vector_typeIjLj2EENS0_17counting_iteratorIjlEEPS9_SG_NS0_5tupleIJPjSI_NS0_16reverse_iteratorISI_EEEEENSH_IJSG_SG_SG_EEES9_SI_JZNS1_25segmented_radix_sort_implINS0_14default_configELb0EPKsPsPKlPlN2at6native12_GLOBAL__N_18offset_tEEE10hipError_tPvRmT1_PNSt15iterator_traitsIS12_E10value_typeET2_T3_PNS13_IS18_E10value_typeET4_jRbjT5_S1E_jjP12ihipStream_tbEUljE_ZNSN_ISO_Lb0ESQ_SR_ST_SU_SY_EESZ_S10_S11_S12_S16_S17_S18_S1B_S1C_jS1D_jS1E_S1E_jjS1G_bEUljE0_EEESZ_S10_S11_S18_S1C_S1E_T6_T7_T9_mT8_S1G_bDpT10_ENKUlT_T0_E_clISt17integral_constantIbLb1EES1T_IbLb0EEEEDaS1P_S1Q_EUlS1P_E_NS1_11comp_targetILNS1_3genE10ELNS1_11target_archE1200ELNS1_3gpuE4ELNS1_3repE0EEENS1_30default_config_static_selectorELNS0_4arch9wavefront6targetE0EEEvS12_.num_agpr, 0
	.set _ZN7rocprim17ROCPRIM_400000_NS6detail17trampoline_kernelINS0_13select_configILj256ELj13ELNS0_17block_load_methodE3ELS4_3ELS4_3ELNS0_20block_scan_algorithmE0ELj4294967295EEENS1_25partition_config_selectorILNS1_17partition_subalgoE4EjNS0_10empty_typeEbEEZZNS1_14partition_implILS8_4ELb0ES6_15HIP_vector_typeIjLj2EENS0_17counting_iteratorIjlEEPS9_SG_NS0_5tupleIJPjSI_NS0_16reverse_iteratorISI_EEEEENSH_IJSG_SG_SG_EEES9_SI_JZNS1_25segmented_radix_sort_implINS0_14default_configELb0EPKsPsPKlPlN2at6native12_GLOBAL__N_18offset_tEEE10hipError_tPvRmT1_PNSt15iterator_traitsIS12_E10value_typeET2_T3_PNS13_IS18_E10value_typeET4_jRbjT5_S1E_jjP12ihipStream_tbEUljE_ZNSN_ISO_Lb0ESQ_SR_ST_SU_SY_EESZ_S10_S11_S12_S16_S17_S18_S1B_S1C_jS1D_jS1E_S1E_jjS1G_bEUljE0_EEESZ_S10_S11_S18_S1C_S1E_T6_T7_T9_mT8_S1G_bDpT10_ENKUlT_T0_E_clISt17integral_constantIbLb1EES1T_IbLb0EEEEDaS1P_S1Q_EUlS1P_E_NS1_11comp_targetILNS1_3genE10ELNS1_11target_archE1200ELNS1_3gpuE4ELNS1_3repE0EEENS1_30default_config_static_selectorELNS0_4arch9wavefront6targetE0EEEvS12_.numbered_sgpr, 0
	.set _ZN7rocprim17ROCPRIM_400000_NS6detail17trampoline_kernelINS0_13select_configILj256ELj13ELNS0_17block_load_methodE3ELS4_3ELS4_3ELNS0_20block_scan_algorithmE0ELj4294967295EEENS1_25partition_config_selectorILNS1_17partition_subalgoE4EjNS0_10empty_typeEbEEZZNS1_14partition_implILS8_4ELb0ES6_15HIP_vector_typeIjLj2EENS0_17counting_iteratorIjlEEPS9_SG_NS0_5tupleIJPjSI_NS0_16reverse_iteratorISI_EEEEENSH_IJSG_SG_SG_EEES9_SI_JZNS1_25segmented_radix_sort_implINS0_14default_configELb0EPKsPsPKlPlN2at6native12_GLOBAL__N_18offset_tEEE10hipError_tPvRmT1_PNSt15iterator_traitsIS12_E10value_typeET2_T3_PNS13_IS18_E10value_typeET4_jRbjT5_S1E_jjP12ihipStream_tbEUljE_ZNSN_ISO_Lb0ESQ_SR_ST_SU_SY_EESZ_S10_S11_S12_S16_S17_S18_S1B_S1C_jS1D_jS1E_S1E_jjS1G_bEUljE0_EEESZ_S10_S11_S18_S1C_S1E_T6_T7_T9_mT8_S1G_bDpT10_ENKUlT_T0_E_clISt17integral_constantIbLb1EES1T_IbLb0EEEEDaS1P_S1Q_EUlS1P_E_NS1_11comp_targetILNS1_3genE10ELNS1_11target_archE1200ELNS1_3gpuE4ELNS1_3repE0EEENS1_30default_config_static_selectorELNS0_4arch9wavefront6targetE0EEEvS12_.num_named_barrier, 0
	.set _ZN7rocprim17ROCPRIM_400000_NS6detail17trampoline_kernelINS0_13select_configILj256ELj13ELNS0_17block_load_methodE3ELS4_3ELS4_3ELNS0_20block_scan_algorithmE0ELj4294967295EEENS1_25partition_config_selectorILNS1_17partition_subalgoE4EjNS0_10empty_typeEbEEZZNS1_14partition_implILS8_4ELb0ES6_15HIP_vector_typeIjLj2EENS0_17counting_iteratorIjlEEPS9_SG_NS0_5tupleIJPjSI_NS0_16reverse_iteratorISI_EEEEENSH_IJSG_SG_SG_EEES9_SI_JZNS1_25segmented_radix_sort_implINS0_14default_configELb0EPKsPsPKlPlN2at6native12_GLOBAL__N_18offset_tEEE10hipError_tPvRmT1_PNSt15iterator_traitsIS12_E10value_typeET2_T3_PNS13_IS18_E10value_typeET4_jRbjT5_S1E_jjP12ihipStream_tbEUljE_ZNSN_ISO_Lb0ESQ_SR_ST_SU_SY_EESZ_S10_S11_S12_S16_S17_S18_S1B_S1C_jS1D_jS1E_S1E_jjS1G_bEUljE0_EEESZ_S10_S11_S18_S1C_S1E_T6_T7_T9_mT8_S1G_bDpT10_ENKUlT_T0_E_clISt17integral_constantIbLb1EES1T_IbLb0EEEEDaS1P_S1Q_EUlS1P_E_NS1_11comp_targetILNS1_3genE10ELNS1_11target_archE1200ELNS1_3gpuE4ELNS1_3repE0EEENS1_30default_config_static_selectorELNS0_4arch9wavefront6targetE0EEEvS12_.private_seg_size, 0
	.set _ZN7rocprim17ROCPRIM_400000_NS6detail17trampoline_kernelINS0_13select_configILj256ELj13ELNS0_17block_load_methodE3ELS4_3ELS4_3ELNS0_20block_scan_algorithmE0ELj4294967295EEENS1_25partition_config_selectorILNS1_17partition_subalgoE4EjNS0_10empty_typeEbEEZZNS1_14partition_implILS8_4ELb0ES6_15HIP_vector_typeIjLj2EENS0_17counting_iteratorIjlEEPS9_SG_NS0_5tupleIJPjSI_NS0_16reverse_iteratorISI_EEEEENSH_IJSG_SG_SG_EEES9_SI_JZNS1_25segmented_radix_sort_implINS0_14default_configELb0EPKsPsPKlPlN2at6native12_GLOBAL__N_18offset_tEEE10hipError_tPvRmT1_PNSt15iterator_traitsIS12_E10value_typeET2_T3_PNS13_IS18_E10value_typeET4_jRbjT5_S1E_jjP12ihipStream_tbEUljE_ZNSN_ISO_Lb0ESQ_SR_ST_SU_SY_EESZ_S10_S11_S12_S16_S17_S18_S1B_S1C_jS1D_jS1E_S1E_jjS1G_bEUljE0_EEESZ_S10_S11_S18_S1C_S1E_T6_T7_T9_mT8_S1G_bDpT10_ENKUlT_T0_E_clISt17integral_constantIbLb1EES1T_IbLb0EEEEDaS1P_S1Q_EUlS1P_E_NS1_11comp_targetILNS1_3genE10ELNS1_11target_archE1200ELNS1_3gpuE4ELNS1_3repE0EEENS1_30default_config_static_selectorELNS0_4arch9wavefront6targetE0EEEvS12_.uses_vcc, 0
	.set _ZN7rocprim17ROCPRIM_400000_NS6detail17trampoline_kernelINS0_13select_configILj256ELj13ELNS0_17block_load_methodE3ELS4_3ELS4_3ELNS0_20block_scan_algorithmE0ELj4294967295EEENS1_25partition_config_selectorILNS1_17partition_subalgoE4EjNS0_10empty_typeEbEEZZNS1_14partition_implILS8_4ELb0ES6_15HIP_vector_typeIjLj2EENS0_17counting_iteratorIjlEEPS9_SG_NS0_5tupleIJPjSI_NS0_16reverse_iteratorISI_EEEEENSH_IJSG_SG_SG_EEES9_SI_JZNS1_25segmented_radix_sort_implINS0_14default_configELb0EPKsPsPKlPlN2at6native12_GLOBAL__N_18offset_tEEE10hipError_tPvRmT1_PNSt15iterator_traitsIS12_E10value_typeET2_T3_PNS13_IS18_E10value_typeET4_jRbjT5_S1E_jjP12ihipStream_tbEUljE_ZNSN_ISO_Lb0ESQ_SR_ST_SU_SY_EESZ_S10_S11_S12_S16_S17_S18_S1B_S1C_jS1D_jS1E_S1E_jjS1G_bEUljE0_EEESZ_S10_S11_S18_S1C_S1E_T6_T7_T9_mT8_S1G_bDpT10_ENKUlT_T0_E_clISt17integral_constantIbLb1EES1T_IbLb0EEEEDaS1P_S1Q_EUlS1P_E_NS1_11comp_targetILNS1_3genE10ELNS1_11target_archE1200ELNS1_3gpuE4ELNS1_3repE0EEENS1_30default_config_static_selectorELNS0_4arch9wavefront6targetE0EEEvS12_.uses_flat_scratch, 0
	.set _ZN7rocprim17ROCPRIM_400000_NS6detail17trampoline_kernelINS0_13select_configILj256ELj13ELNS0_17block_load_methodE3ELS4_3ELS4_3ELNS0_20block_scan_algorithmE0ELj4294967295EEENS1_25partition_config_selectorILNS1_17partition_subalgoE4EjNS0_10empty_typeEbEEZZNS1_14partition_implILS8_4ELb0ES6_15HIP_vector_typeIjLj2EENS0_17counting_iteratorIjlEEPS9_SG_NS0_5tupleIJPjSI_NS0_16reverse_iteratorISI_EEEEENSH_IJSG_SG_SG_EEES9_SI_JZNS1_25segmented_radix_sort_implINS0_14default_configELb0EPKsPsPKlPlN2at6native12_GLOBAL__N_18offset_tEEE10hipError_tPvRmT1_PNSt15iterator_traitsIS12_E10value_typeET2_T3_PNS13_IS18_E10value_typeET4_jRbjT5_S1E_jjP12ihipStream_tbEUljE_ZNSN_ISO_Lb0ESQ_SR_ST_SU_SY_EESZ_S10_S11_S12_S16_S17_S18_S1B_S1C_jS1D_jS1E_S1E_jjS1G_bEUljE0_EEESZ_S10_S11_S18_S1C_S1E_T6_T7_T9_mT8_S1G_bDpT10_ENKUlT_T0_E_clISt17integral_constantIbLb1EES1T_IbLb0EEEEDaS1P_S1Q_EUlS1P_E_NS1_11comp_targetILNS1_3genE10ELNS1_11target_archE1200ELNS1_3gpuE4ELNS1_3repE0EEENS1_30default_config_static_selectorELNS0_4arch9wavefront6targetE0EEEvS12_.has_dyn_sized_stack, 0
	.set _ZN7rocprim17ROCPRIM_400000_NS6detail17trampoline_kernelINS0_13select_configILj256ELj13ELNS0_17block_load_methodE3ELS4_3ELS4_3ELNS0_20block_scan_algorithmE0ELj4294967295EEENS1_25partition_config_selectorILNS1_17partition_subalgoE4EjNS0_10empty_typeEbEEZZNS1_14partition_implILS8_4ELb0ES6_15HIP_vector_typeIjLj2EENS0_17counting_iteratorIjlEEPS9_SG_NS0_5tupleIJPjSI_NS0_16reverse_iteratorISI_EEEEENSH_IJSG_SG_SG_EEES9_SI_JZNS1_25segmented_radix_sort_implINS0_14default_configELb0EPKsPsPKlPlN2at6native12_GLOBAL__N_18offset_tEEE10hipError_tPvRmT1_PNSt15iterator_traitsIS12_E10value_typeET2_T3_PNS13_IS18_E10value_typeET4_jRbjT5_S1E_jjP12ihipStream_tbEUljE_ZNSN_ISO_Lb0ESQ_SR_ST_SU_SY_EESZ_S10_S11_S12_S16_S17_S18_S1B_S1C_jS1D_jS1E_S1E_jjS1G_bEUljE0_EEESZ_S10_S11_S18_S1C_S1E_T6_T7_T9_mT8_S1G_bDpT10_ENKUlT_T0_E_clISt17integral_constantIbLb1EES1T_IbLb0EEEEDaS1P_S1Q_EUlS1P_E_NS1_11comp_targetILNS1_3genE10ELNS1_11target_archE1200ELNS1_3gpuE4ELNS1_3repE0EEENS1_30default_config_static_selectorELNS0_4arch9wavefront6targetE0EEEvS12_.has_recursion, 0
	.set _ZN7rocprim17ROCPRIM_400000_NS6detail17trampoline_kernelINS0_13select_configILj256ELj13ELNS0_17block_load_methodE3ELS4_3ELS4_3ELNS0_20block_scan_algorithmE0ELj4294967295EEENS1_25partition_config_selectorILNS1_17partition_subalgoE4EjNS0_10empty_typeEbEEZZNS1_14partition_implILS8_4ELb0ES6_15HIP_vector_typeIjLj2EENS0_17counting_iteratorIjlEEPS9_SG_NS0_5tupleIJPjSI_NS0_16reverse_iteratorISI_EEEEENSH_IJSG_SG_SG_EEES9_SI_JZNS1_25segmented_radix_sort_implINS0_14default_configELb0EPKsPsPKlPlN2at6native12_GLOBAL__N_18offset_tEEE10hipError_tPvRmT1_PNSt15iterator_traitsIS12_E10value_typeET2_T3_PNS13_IS18_E10value_typeET4_jRbjT5_S1E_jjP12ihipStream_tbEUljE_ZNSN_ISO_Lb0ESQ_SR_ST_SU_SY_EESZ_S10_S11_S12_S16_S17_S18_S1B_S1C_jS1D_jS1E_S1E_jjS1G_bEUljE0_EEESZ_S10_S11_S18_S1C_S1E_T6_T7_T9_mT8_S1G_bDpT10_ENKUlT_T0_E_clISt17integral_constantIbLb1EES1T_IbLb0EEEEDaS1P_S1Q_EUlS1P_E_NS1_11comp_targetILNS1_3genE10ELNS1_11target_archE1200ELNS1_3gpuE4ELNS1_3repE0EEENS1_30default_config_static_selectorELNS0_4arch9wavefront6targetE0EEEvS12_.has_indirect_call, 0
	.section	.AMDGPU.csdata,"",@progbits
; Kernel info:
; codeLenInByte = 0
; TotalNumSgprs: 0
; NumVgprs: 0
; ScratchSize: 0
; MemoryBound: 0
; FloatMode: 240
; IeeeMode: 1
; LDSByteSize: 0 bytes/workgroup (compile time only)
; SGPRBlocks: 0
; VGPRBlocks: 0
; NumSGPRsForWavesPerEU: 1
; NumVGPRsForWavesPerEU: 1
; NamedBarCnt: 0
; Occupancy: 16
; WaveLimiterHint : 0
; COMPUTE_PGM_RSRC2:SCRATCH_EN: 0
; COMPUTE_PGM_RSRC2:USER_SGPR: 2
; COMPUTE_PGM_RSRC2:TRAP_HANDLER: 0
; COMPUTE_PGM_RSRC2:TGID_X_EN: 1
; COMPUTE_PGM_RSRC2:TGID_Y_EN: 0
; COMPUTE_PGM_RSRC2:TGID_Z_EN: 0
; COMPUTE_PGM_RSRC2:TIDIG_COMP_CNT: 0
	.section	.text._ZN7rocprim17ROCPRIM_400000_NS6detail17trampoline_kernelINS0_13select_configILj256ELj13ELNS0_17block_load_methodE3ELS4_3ELS4_3ELNS0_20block_scan_algorithmE0ELj4294967295EEENS1_25partition_config_selectorILNS1_17partition_subalgoE4EjNS0_10empty_typeEbEEZZNS1_14partition_implILS8_4ELb0ES6_15HIP_vector_typeIjLj2EENS0_17counting_iteratorIjlEEPS9_SG_NS0_5tupleIJPjSI_NS0_16reverse_iteratorISI_EEEEENSH_IJSG_SG_SG_EEES9_SI_JZNS1_25segmented_radix_sort_implINS0_14default_configELb0EPKsPsPKlPlN2at6native12_GLOBAL__N_18offset_tEEE10hipError_tPvRmT1_PNSt15iterator_traitsIS12_E10value_typeET2_T3_PNS13_IS18_E10value_typeET4_jRbjT5_S1E_jjP12ihipStream_tbEUljE_ZNSN_ISO_Lb0ESQ_SR_ST_SU_SY_EESZ_S10_S11_S12_S16_S17_S18_S1B_S1C_jS1D_jS1E_S1E_jjS1G_bEUljE0_EEESZ_S10_S11_S18_S1C_S1E_T6_T7_T9_mT8_S1G_bDpT10_ENKUlT_T0_E_clISt17integral_constantIbLb1EES1T_IbLb0EEEEDaS1P_S1Q_EUlS1P_E_NS1_11comp_targetILNS1_3genE9ELNS1_11target_archE1100ELNS1_3gpuE3ELNS1_3repE0EEENS1_30default_config_static_selectorELNS0_4arch9wavefront6targetE0EEEvS12_,"axG",@progbits,_ZN7rocprim17ROCPRIM_400000_NS6detail17trampoline_kernelINS0_13select_configILj256ELj13ELNS0_17block_load_methodE3ELS4_3ELS4_3ELNS0_20block_scan_algorithmE0ELj4294967295EEENS1_25partition_config_selectorILNS1_17partition_subalgoE4EjNS0_10empty_typeEbEEZZNS1_14partition_implILS8_4ELb0ES6_15HIP_vector_typeIjLj2EENS0_17counting_iteratorIjlEEPS9_SG_NS0_5tupleIJPjSI_NS0_16reverse_iteratorISI_EEEEENSH_IJSG_SG_SG_EEES9_SI_JZNS1_25segmented_radix_sort_implINS0_14default_configELb0EPKsPsPKlPlN2at6native12_GLOBAL__N_18offset_tEEE10hipError_tPvRmT1_PNSt15iterator_traitsIS12_E10value_typeET2_T3_PNS13_IS18_E10value_typeET4_jRbjT5_S1E_jjP12ihipStream_tbEUljE_ZNSN_ISO_Lb0ESQ_SR_ST_SU_SY_EESZ_S10_S11_S12_S16_S17_S18_S1B_S1C_jS1D_jS1E_S1E_jjS1G_bEUljE0_EEESZ_S10_S11_S18_S1C_S1E_T6_T7_T9_mT8_S1G_bDpT10_ENKUlT_T0_E_clISt17integral_constantIbLb1EES1T_IbLb0EEEEDaS1P_S1Q_EUlS1P_E_NS1_11comp_targetILNS1_3genE9ELNS1_11target_archE1100ELNS1_3gpuE3ELNS1_3repE0EEENS1_30default_config_static_selectorELNS0_4arch9wavefront6targetE0EEEvS12_,comdat
	.globl	_ZN7rocprim17ROCPRIM_400000_NS6detail17trampoline_kernelINS0_13select_configILj256ELj13ELNS0_17block_load_methodE3ELS4_3ELS4_3ELNS0_20block_scan_algorithmE0ELj4294967295EEENS1_25partition_config_selectorILNS1_17partition_subalgoE4EjNS0_10empty_typeEbEEZZNS1_14partition_implILS8_4ELb0ES6_15HIP_vector_typeIjLj2EENS0_17counting_iteratorIjlEEPS9_SG_NS0_5tupleIJPjSI_NS0_16reverse_iteratorISI_EEEEENSH_IJSG_SG_SG_EEES9_SI_JZNS1_25segmented_radix_sort_implINS0_14default_configELb0EPKsPsPKlPlN2at6native12_GLOBAL__N_18offset_tEEE10hipError_tPvRmT1_PNSt15iterator_traitsIS12_E10value_typeET2_T3_PNS13_IS18_E10value_typeET4_jRbjT5_S1E_jjP12ihipStream_tbEUljE_ZNSN_ISO_Lb0ESQ_SR_ST_SU_SY_EESZ_S10_S11_S12_S16_S17_S18_S1B_S1C_jS1D_jS1E_S1E_jjS1G_bEUljE0_EEESZ_S10_S11_S18_S1C_S1E_T6_T7_T9_mT8_S1G_bDpT10_ENKUlT_T0_E_clISt17integral_constantIbLb1EES1T_IbLb0EEEEDaS1P_S1Q_EUlS1P_E_NS1_11comp_targetILNS1_3genE9ELNS1_11target_archE1100ELNS1_3gpuE3ELNS1_3repE0EEENS1_30default_config_static_selectorELNS0_4arch9wavefront6targetE0EEEvS12_ ; -- Begin function _ZN7rocprim17ROCPRIM_400000_NS6detail17trampoline_kernelINS0_13select_configILj256ELj13ELNS0_17block_load_methodE3ELS4_3ELS4_3ELNS0_20block_scan_algorithmE0ELj4294967295EEENS1_25partition_config_selectorILNS1_17partition_subalgoE4EjNS0_10empty_typeEbEEZZNS1_14partition_implILS8_4ELb0ES6_15HIP_vector_typeIjLj2EENS0_17counting_iteratorIjlEEPS9_SG_NS0_5tupleIJPjSI_NS0_16reverse_iteratorISI_EEEEENSH_IJSG_SG_SG_EEES9_SI_JZNS1_25segmented_radix_sort_implINS0_14default_configELb0EPKsPsPKlPlN2at6native12_GLOBAL__N_18offset_tEEE10hipError_tPvRmT1_PNSt15iterator_traitsIS12_E10value_typeET2_T3_PNS13_IS18_E10value_typeET4_jRbjT5_S1E_jjP12ihipStream_tbEUljE_ZNSN_ISO_Lb0ESQ_SR_ST_SU_SY_EESZ_S10_S11_S12_S16_S17_S18_S1B_S1C_jS1D_jS1E_S1E_jjS1G_bEUljE0_EEESZ_S10_S11_S18_S1C_S1E_T6_T7_T9_mT8_S1G_bDpT10_ENKUlT_T0_E_clISt17integral_constantIbLb1EES1T_IbLb0EEEEDaS1P_S1Q_EUlS1P_E_NS1_11comp_targetILNS1_3genE9ELNS1_11target_archE1100ELNS1_3gpuE3ELNS1_3repE0EEENS1_30default_config_static_selectorELNS0_4arch9wavefront6targetE0EEEvS12_
	.p2align	8
	.type	_ZN7rocprim17ROCPRIM_400000_NS6detail17trampoline_kernelINS0_13select_configILj256ELj13ELNS0_17block_load_methodE3ELS4_3ELS4_3ELNS0_20block_scan_algorithmE0ELj4294967295EEENS1_25partition_config_selectorILNS1_17partition_subalgoE4EjNS0_10empty_typeEbEEZZNS1_14partition_implILS8_4ELb0ES6_15HIP_vector_typeIjLj2EENS0_17counting_iteratorIjlEEPS9_SG_NS0_5tupleIJPjSI_NS0_16reverse_iteratorISI_EEEEENSH_IJSG_SG_SG_EEES9_SI_JZNS1_25segmented_radix_sort_implINS0_14default_configELb0EPKsPsPKlPlN2at6native12_GLOBAL__N_18offset_tEEE10hipError_tPvRmT1_PNSt15iterator_traitsIS12_E10value_typeET2_T3_PNS13_IS18_E10value_typeET4_jRbjT5_S1E_jjP12ihipStream_tbEUljE_ZNSN_ISO_Lb0ESQ_SR_ST_SU_SY_EESZ_S10_S11_S12_S16_S17_S18_S1B_S1C_jS1D_jS1E_S1E_jjS1G_bEUljE0_EEESZ_S10_S11_S18_S1C_S1E_T6_T7_T9_mT8_S1G_bDpT10_ENKUlT_T0_E_clISt17integral_constantIbLb1EES1T_IbLb0EEEEDaS1P_S1Q_EUlS1P_E_NS1_11comp_targetILNS1_3genE9ELNS1_11target_archE1100ELNS1_3gpuE3ELNS1_3repE0EEENS1_30default_config_static_selectorELNS0_4arch9wavefront6targetE0EEEvS12_,@function
_ZN7rocprim17ROCPRIM_400000_NS6detail17trampoline_kernelINS0_13select_configILj256ELj13ELNS0_17block_load_methodE3ELS4_3ELS4_3ELNS0_20block_scan_algorithmE0ELj4294967295EEENS1_25partition_config_selectorILNS1_17partition_subalgoE4EjNS0_10empty_typeEbEEZZNS1_14partition_implILS8_4ELb0ES6_15HIP_vector_typeIjLj2EENS0_17counting_iteratorIjlEEPS9_SG_NS0_5tupleIJPjSI_NS0_16reverse_iteratorISI_EEEEENSH_IJSG_SG_SG_EEES9_SI_JZNS1_25segmented_radix_sort_implINS0_14default_configELb0EPKsPsPKlPlN2at6native12_GLOBAL__N_18offset_tEEE10hipError_tPvRmT1_PNSt15iterator_traitsIS12_E10value_typeET2_T3_PNS13_IS18_E10value_typeET4_jRbjT5_S1E_jjP12ihipStream_tbEUljE_ZNSN_ISO_Lb0ESQ_SR_ST_SU_SY_EESZ_S10_S11_S12_S16_S17_S18_S1B_S1C_jS1D_jS1E_S1E_jjS1G_bEUljE0_EEESZ_S10_S11_S18_S1C_S1E_T6_T7_T9_mT8_S1G_bDpT10_ENKUlT_T0_E_clISt17integral_constantIbLb1EES1T_IbLb0EEEEDaS1P_S1Q_EUlS1P_E_NS1_11comp_targetILNS1_3genE9ELNS1_11target_archE1100ELNS1_3gpuE3ELNS1_3repE0EEENS1_30default_config_static_selectorELNS0_4arch9wavefront6targetE0EEEvS12_: ; @_ZN7rocprim17ROCPRIM_400000_NS6detail17trampoline_kernelINS0_13select_configILj256ELj13ELNS0_17block_load_methodE3ELS4_3ELS4_3ELNS0_20block_scan_algorithmE0ELj4294967295EEENS1_25partition_config_selectorILNS1_17partition_subalgoE4EjNS0_10empty_typeEbEEZZNS1_14partition_implILS8_4ELb0ES6_15HIP_vector_typeIjLj2EENS0_17counting_iteratorIjlEEPS9_SG_NS0_5tupleIJPjSI_NS0_16reverse_iteratorISI_EEEEENSH_IJSG_SG_SG_EEES9_SI_JZNS1_25segmented_radix_sort_implINS0_14default_configELb0EPKsPsPKlPlN2at6native12_GLOBAL__N_18offset_tEEE10hipError_tPvRmT1_PNSt15iterator_traitsIS12_E10value_typeET2_T3_PNS13_IS18_E10value_typeET4_jRbjT5_S1E_jjP12ihipStream_tbEUljE_ZNSN_ISO_Lb0ESQ_SR_ST_SU_SY_EESZ_S10_S11_S12_S16_S17_S18_S1B_S1C_jS1D_jS1E_S1E_jjS1G_bEUljE0_EEESZ_S10_S11_S18_S1C_S1E_T6_T7_T9_mT8_S1G_bDpT10_ENKUlT_T0_E_clISt17integral_constantIbLb1EES1T_IbLb0EEEEDaS1P_S1Q_EUlS1P_E_NS1_11comp_targetILNS1_3genE9ELNS1_11target_archE1100ELNS1_3gpuE3ELNS1_3repE0EEENS1_30default_config_static_selectorELNS0_4arch9wavefront6targetE0EEEvS12_
; %bb.0:
	.section	.rodata,"a",@progbits
	.p2align	6, 0x0
	.amdhsa_kernel _ZN7rocprim17ROCPRIM_400000_NS6detail17trampoline_kernelINS0_13select_configILj256ELj13ELNS0_17block_load_methodE3ELS4_3ELS4_3ELNS0_20block_scan_algorithmE0ELj4294967295EEENS1_25partition_config_selectorILNS1_17partition_subalgoE4EjNS0_10empty_typeEbEEZZNS1_14partition_implILS8_4ELb0ES6_15HIP_vector_typeIjLj2EENS0_17counting_iteratorIjlEEPS9_SG_NS0_5tupleIJPjSI_NS0_16reverse_iteratorISI_EEEEENSH_IJSG_SG_SG_EEES9_SI_JZNS1_25segmented_radix_sort_implINS0_14default_configELb0EPKsPsPKlPlN2at6native12_GLOBAL__N_18offset_tEEE10hipError_tPvRmT1_PNSt15iterator_traitsIS12_E10value_typeET2_T3_PNS13_IS18_E10value_typeET4_jRbjT5_S1E_jjP12ihipStream_tbEUljE_ZNSN_ISO_Lb0ESQ_SR_ST_SU_SY_EESZ_S10_S11_S12_S16_S17_S18_S1B_S1C_jS1D_jS1E_S1E_jjS1G_bEUljE0_EEESZ_S10_S11_S18_S1C_S1E_T6_T7_T9_mT8_S1G_bDpT10_ENKUlT_T0_E_clISt17integral_constantIbLb1EES1T_IbLb0EEEEDaS1P_S1Q_EUlS1P_E_NS1_11comp_targetILNS1_3genE9ELNS1_11target_archE1100ELNS1_3gpuE3ELNS1_3repE0EEENS1_30default_config_static_selectorELNS0_4arch9wavefront6targetE0EEEvS12_
		.amdhsa_group_segment_fixed_size 0
		.amdhsa_private_segment_fixed_size 0
		.amdhsa_kernarg_size 176
		.amdhsa_user_sgpr_count 2
		.amdhsa_user_sgpr_dispatch_ptr 0
		.amdhsa_user_sgpr_queue_ptr 0
		.amdhsa_user_sgpr_kernarg_segment_ptr 1
		.amdhsa_user_sgpr_dispatch_id 0
		.amdhsa_user_sgpr_kernarg_preload_length 0
		.amdhsa_user_sgpr_kernarg_preload_offset 0
		.amdhsa_user_sgpr_private_segment_size 0
		.amdhsa_wavefront_size32 1
		.amdhsa_uses_dynamic_stack 0
		.amdhsa_enable_private_segment 0
		.amdhsa_system_sgpr_workgroup_id_x 1
		.amdhsa_system_sgpr_workgroup_id_y 0
		.amdhsa_system_sgpr_workgroup_id_z 0
		.amdhsa_system_sgpr_workgroup_info 0
		.amdhsa_system_vgpr_workitem_id 0
		.amdhsa_next_free_vgpr 1
		.amdhsa_next_free_sgpr 1
		.amdhsa_named_barrier_count 0
		.amdhsa_reserve_vcc 0
		.amdhsa_float_round_mode_32 0
		.amdhsa_float_round_mode_16_64 0
		.amdhsa_float_denorm_mode_32 3
		.amdhsa_float_denorm_mode_16_64 3
		.amdhsa_fp16_overflow 0
		.amdhsa_memory_ordered 1
		.amdhsa_forward_progress 1
		.amdhsa_inst_pref_size 0
		.amdhsa_round_robin_scheduling 0
		.amdhsa_exception_fp_ieee_invalid_op 0
		.amdhsa_exception_fp_denorm_src 0
		.amdhsa_exception_fp_ieee_div_zero 0
		.amdhsa_exception_fp_ieee_overflow 0
		.amdhsa_exception_fp_ieee_underflow 0
		.amdhsa_exception_fp_ieee_inexact 0
		.amdhsa_exception_int_div_zero 0
	.end_amdhsa_kernel
	.section	.text._ZN7rocprim17ROCPRIM_400000_NS6detail17trampoline_kernelINS0_13select_configILj256ELj13ELNS0_17block_load_methodE3ELS4_3ELS4_3ELNS0_20block_scan_algorithmE0ELj4294967295EEENS1_25partition_config_selectorILNS1_17partition_subalgoE4EjNS0_10empty_typeEbEEZZNS1_14partition_implILS8_4ELb0ES6_15HIP_vector_typeIjLj2EENS0_17counting_iteratorIjlEEPS9_SG_NS0_5tupleIJPjSI_NS0_16reverse_iteratorISI_EEEEENSH_IJSG_SG_SG_EEES9_SI_JZNS1_25segmented_radix_sort_implINS0_14default_configELb0EPKsPsPKlPlN2at6native12_GLOBAL__N_18offset_tEEE10hipError_tPvRmT1_PNSt15iterator_traitsIS12_E10value_typeET2_T3_PNS13_IS18_E10value_typeET4_jRbjT5_S1E_jjP12ihipStream_tbEUljE_ZNSN_ISO_Lb0ESQ_SR_ST_SU_SY_EESZ_S10_S11_S12_S16_S17_S18_S1B_S1C_jS1D_jS1E_S1E_jjS1G_bEUljE0_EEESZ_S10_S11_S18_S1C_S1E_T6_T7_T9_mT8_S1G_bDpT10_ENKUlT_T0_E_clISt17integral_constantIbLb1EES1T_IbLb0EEEEDaS1P_S1Q_EUlS1P_E_NS1_11comp_targetILNS1_3genE9ELNS1_11target_archE1100ELNS1_3gpuE3ELNS1_3repE0EEENS1_30default_config_static_selectorELNS0_4arch9wavefront6targetE0EEEvS12_,"axG",@progbits,_ZN7rocprim17ROCPRIM_400000_NS6detail17trampoline_kernelINS0_13select_configILj256ELj13ELNS0_17block_load_methodE3ELS4_3ELS4_3ELNS0_20block_scan_algorithmE0ELj4294967295EEENS1_25partition_config_selectorILNS1_17partition_subalgoE4EjNS0_10empty_typeEbEEZZNS1_14partition_implILS8_4ELb0ES6_15HIP_vector_typeIjLj2EENS0_17counting_iteratorIjlEEPS9_SG_NS0_5tupleIJPjSI_NS0_16reverse_iteratorISI_EEEEENSH_IJSG_SG_SG_EEES9_SI_JZNS1_25segmented_radix_sort_implINS0_14default_configELb0EPKsPsPKlPlN2at6native12_GLOBAL__N_18offset_tEEE10hipError_tPvRmT1_PNSt15iterator_traitsIS12_E10value_typeET2_T3_PNS13_IS18_E10value_typeET4_jRbjT5_S1E_jjP12ihipStream_tbEUljE_ZNSN_ISO_Lb0ESQ_SR_ST_SU_SY_EESZ_S10_S11_S12_S16_S17_S18_S1B_S1C_jS1D_jS1E_S1E_jjS1G_bEUljE0_EEESZ_S10_S11_S18_S1C_S1E_T6_T7_T9_mT8_S1G_bDpT10_ENKUlT_T0_E_clISt17integral_constantIbLb1EES1T_IbLb0EEEEDaS1P_S1Q_EUlS1P_E_NS1_11comp_targetILNS1_3genE9ELNS1_11target_archE1100ELNS1_3gpuE3ELNS1_3repE0EEENS1_30default_config_static_selectorELNS0_4arch9wavefront6targetE0EEEvS12_,comdat
.Lfunc_end967:
	.size	_ZN7rocprim17ROCPRIM_400000_NS6detail17trampoline_kernelINS0_13select_configILj256ELj13ELNS0_17block_load_methodE3ELS4_3ELS4_3ELNS0_20block_scan_algorithmE0ELj4294967295EEENS1_25partition_config_selectorILNS1_17partition_subalgoE4EjNS0_10empty_typeEbEEZZNS1_14partition_implILS8_4ELb0ES6_15HIP_vector_typeIjLj2EENS0_17counting_iteratorIjlEEPS9_SG_NS0_5tupleIJPjSI_NS0_16reverse_iteratorISI_EEEEENSH_IJSG_SG_SG_EEES9_SI_JZNS1_25segmented_radix_sort_implINS0_14default_configELb0EPKsPsPKlPlN2at6native12_GLOBAL__N_18offset_tEEE10hipError_tPvRmT1_PNSt15iterator_traitsIS12_E10value_typeET2_T3_PNS13_IS18_E10value_typeET4_jRbjT5_S1E_jjP12ihipStream_tbEUljE_ZNSN_ISO_Lb0ESQ_SR_ST_SU_SY_EESZ_S10_S11_S12_S16_S17_S18_S1B_S1C_jS1D_jS1E_S1E_jjS1G_bEUljE0_EEESZ_S10_S11_S18_S1C_S1E_T6_T7_T9_mT8_S1G_bDpT10_ENKUlT_T0_E_clISt17integral_constantIbLb1EES1T_IbLb0EEEEDaS1P_S1Q_EUlS1P_E_NS1_11comp_targetILNS1_3genE9ELNS1_11target_archE1100ELNS1_3gpuE3ELNS1_3repE0EEENS1_30default_config_static_selectorELNS0_4arch9wavefront6targetE0EEEvS12_, .Lfunc_end967-_ZN7rocprim17ROCPRIM_400000_NS6detail17trampoline_kernelINS0_13select_configILj256ELj13ELNS0_17block_load_methodE3ELS4_3ELS4_3ELNS0_20block_scan_algorithmE0ELj4294967295EEENS1_25partition_config_selectorILNS1_17partition_subalgoE4EjNS0_10empty_typeEbEEZZNS1_14partition_implILS8_4ELb0ES6_15HIP_vector_typeIjLj2EENS0_17counting_iteratorIjlEEPS9_SG_NS0_5tupleIJPjSI_NS0_16reverse_iteratorISI_EEEEENSH_IJSG_SG_SG_EEES9_SI_JZNS1_25segmented_radix_sort_implINS0_14default_configELb0EPKsPsPKlPlN2at6native12_GLOBAL__N_18offset_tEEE10hipError_tPvRmT1_PNSt15iterator_traitsIS12_E10value_typeET2_T3_PNS13_IS18_E10value_typeET4_jRbjT5_S1E_jjP12ihipStream_tbEUljE_ZNSN_ISO_Lb0ESQ_SR_ST_SU_SY_EESZ_S10_S11_S12_S16_S17_S18_S1B_S1C_jS1D_jS1E_S1E_jjS1G_bEUljE0_EEESZ_S10_S11_S18_S1C_S1E_T6_T7_T9_mT8_S1G_bDpT10_ENKUlT_T0_E_clISt17integral_constantIbLb1EES1T_IbLb0EEEEDaS1P_S1Q_EUlS1P_E_NS1_11comp_targetILNS1_3genE9ELNS1_11target_archE1100ELNS1_3gpuE3ELNS1_3repE0EEENS1_30default_config_static_selectorELNS0_4arch9wavefront6targetE0EEEvS12_
                                        ; -- End function
	.set _ZN7rocprim17ROCPRIM_400000_NS6detail17trampoline_kernelINS0_13select_configILj256ELj13ELNS0_17block_load_methodE3ELS4_3ELS4_3ELNS0_20block_scan_algorithmE0ELj4294967295EEENS1_25partition_config_selectorILNS1_17partition_subalgoE4EjNS0_10empty_typeEbEEZZNS1_14partition_implILS8_4ELb0ES6_15HIP_vector_typeIjLj2EENS0_17counting_iteratorIjlEEPS9_SG_NS0_5tupleIJPjSI_NS0_16reverse_iteratorISI_EEEEENSH_IJSG_SG_SG_EEES9_SI_JZNS1_25segmented_radix_sort_implINS0_14default_configELb0EPKsPsPKlPlN2at6native12_GLOBAL__N_18offset_tEEE10hipError_tPvRmT1_PNSt15iterator_traitsIS12_E10value_typeET2_T3_PNS13_IS18_E10value_typeET4_jRbjT5_S1E_jjP12ihipStream_tbEUljE_ZNSN_ISO_Lb0ESQ_SR_ST_SU_SY_EESZ_S10_S11_S12_S16_S17_S18_S1B_S1C_jS1D_jS1E_S1E_jjS1G_bEUljE0_EEESZ_S10_S11_S18_S1C_S1E_T6_T7_T9_mT8_S1G_bDpT10_ENKUlT_T0_E_clISt17integral_constantIbLb1EES1T_IbLb0EEEEDaS1P_S1Q_EUlS1P_E_NS1_11comp_targetILNS1_3genE9ELNS1_11target_archE1100ELNS1_3gpuE3ELNS1_3repE0EEENS1_30default_config_static_selectorELNS0_4arch9wavefront6targetE0EEEvS12_.num_vgpr, 0
	.set _ZN7rocprim17ROCPRIM_400000_NS6detail17trampoline_kernelINS0_13select_configILj256ELj13ELNS0_17block_load_methodE3ELS4_3ELS4_3ELNS0_20block_scan_algorithmE0ELj4294967295EEENS1_25partition_config_selectorILNS1_17partition_subalgoE4EjNS0_10empty_typeEbEEZZNS1_14partition_implILS8_4ELb0ES6_15HIP_vector_typeIjLj2EENS0_17counting_iteratorIjlEEPS9_SG_NS0_5tupleIJPjSI_NS0_16reverse_iteratorISI_EEEEENSH_IJSG_SG_SG_EEES9_SI_JZNS1_25segmented_radix_sort_implINS0_14default_configELb0EPKsPsPKlPlN2at6native12_GLOBAL__N_18offset_tEEE10hipError_tPvRmT1_PNSt15iterator_traitsIS12_E10value_typeET2_T3_PNS13_IS18_E10value_typeET4_jRbjT5_S1E_jjP12ihipStream_tbEUljE_ZNSN_ISO_Lb0ESQ_SR_ST_SU_SY_EESZ_S10_S11_S12_S16_S17_S18_S1B_S1C_jS1D_jS1E_S1E_jjS1G_bEUljE0_EEESZ_S10_S11_S18_S1C_S1E_T6_T7_T9_mT8_S1G_bDpT10_ENKUlT_T0_E_clISt17integral_constantIbLb1EES1T_IbLb0EEEEDaS1P_S1Q_EUlS1P_E_NS1_11comp_targetILNS1_3genE9ELNS1_11target_archE1100ELNS1_3gpuE3ELNS1_3repE0EEENS1_30default_config_static_selectorELNS0_4arch9wavefront6targetE0EEEvS12_.num_agpr, 0
	.set _ZN7rocprim17ROCPRIM_400000_NS6detail17trampoline_kernelINS0_13select_configILj256ELj13ELNS0_17block_load_methodE3ELS4_3ELS4_3ELNS0_20block_scan_algorithmE0ELj4294967295EEENS1_25partition_config_selectorILNS1_17partition_subalgoE4EjNS0_10empty_typeEbEEZZNS1_14partition_implILS8_4ELb0ES6_15HIP_vector_typeIjLj2EENS0_17counting_iteratorIjlEEPS9_SG_NS0_5tupleIJPjSI_NS0_16reverse_iteratorISI_EEEEENSH_IJSG_SG_SG_EEES9_SI_JZNS1_25segmented_radix_sort_implINS0_14default_configELb0EPKsPsPKlPlN2at6native12_GLOBAL__N_18offset_tEEE10hipError_tPvRmT1_PNSt15iterator_traitsIS12_E10value_typeET2_T3_PNS13_IS18_E10value_typeET4_jRbjT5_S1E_jjP12ihipStream_tbEUljE_ZNSN_ISO_Lb0ESQ_SR_ST_SU_SY_EESZ_S10_S11_S12_S16_S17_S18_S1B_S1C_jS1D_jS1E_S1E_jjS1G_bEUljE0_EEESZ_S10_S11_S18_S1C_S1E_T6_T7_T9_mT8_S1G_bDpT10_ENKUlT_T0_E_clISt17integral_constantIbLb1EES1T_IbLb0EEEEDaS1P_S1Q_EUlS1P_E_NS1_11comp_targetILNS1_3genE9ELNS1_11target_archE1100ELNS1_3gpuE3ELNS1_3repE0EEENS1_30default_config_static_selectorELNS0_4arch9wavefront6targetE0EEEvS12_.numbered_sgpr, 0
	.set _ZN7rocprim17ROCPRIM_400000_NS6detail17trampoline_kernelINS0_13select_configILj256ELj13ELNS0_17block_load_methodE3ELS4_3ELS4_3ELNS0_20block_scan_algorithmE0ELj4294967295EEENS1_25partition_config_selectorILNS1_17partition_subalgoE4EjNS0_10empty_typeEbEEZZNS1_14partition_implILS8_4ELb0ES6_15HIP_vector_typeIjLj2EENS0_17counting_iteratorIjlEEPS9_SG_NS0_5tupleIJPjSI_NS0_16reverse_iteratorISI_EEEEENSH_IJSG_SG_SG_EEES9_SI_JZNS1_25segmented_radix_sort_implINS0_14default_configELb0EPKsPsPKlPlN2at6native12_GLOBAL__N_18offset_tEEE10hipError_tPvRmT1_PNSt15iterator_traitsIS12_E10value_typeET2_T3_PNS13_IS18_E10value_typeET4_jRbjT5_S1E_jjP12ihipStream_tbEUljE_ZNSN_ISO_Lb0ESQ_SR_ST_SU_SY_EESZ_S10_S11_S12_S16_S17_S18_S1B_S1C_jS1D_jS1E_S1E_jjS1G_bEUljE0_EEESZ_S10_S11_S18_S1C_S1E_T6_T7_T9_mT8_S1G_bDpT10_ENKUlT_T0_E_clISt17integral_constantIbLb1EES1T_IbLb0EEEEDaS1P_S1Q_EUlS1P_E_NS1_11comp_targetILNS1_3genE9ELNS1_11target_archE1100ELNS1_3gpuE3ELNS1_3repE0EEENS1_30default_config_static_selectorELNS0_4arch9wavefront6targetE0EEEvS12_.num_named_barrier, 0
	.set _ZN7rocprim17ROCPRIM_400000_NS6detail17trampoline_kernelINS0_13select_configILj256ELj13ELNS0_17block_load_methodE3ELS4_3ELS4_3ELNS0_20block_scan_algorithmE0ELj4294967295EEENS1_25partition_config_selectorILNS1_17partition_subalgoE4EjNS0_10empty_typeEbEEZZNS1_14partition_implILS8_4ELb0ES6_15HIP_vector_typeIjLj2EENS0_17counting_iteratorIjlEEPS9_SG_NS0_5tupleIJPjSI_NS0_16reverse_iteratorISI_EEEEENSH_IJSG_SG_SG_EEES9_SI_JZNS1_25segmented_radix_sort_implINS0_14default_configELb0EPKsPsPKlPlN2at6native12_GLOBAL__N_18offset_tEEE10hipError_tPvRmT1_PNSt15iterator_traitsIS12_E10value_typeET2_T3_PNS13_IS18_E10value_typeET4_jRbjT5_S1E_jjP12ihipStream_tbEUljE_ZNSN_ISO_Lb0ESQ_SR_ST_SU_SY_EESZ_S10_S11_S12_S16_S17_S18_S1B_S1C_jS1D_jS1E_S1E_jjS1G_bEUljE0_EEESZ_S10_S11_S18_S1C_S1E_T6_T7_T9_mT8_S1G_bDpT10_ENKUlT_T0_E_clISt17integral_constantIbLb1EES1T_IbLb0EEEEDaS1P_S1Q_EUlS1P_E_NS1_11comp_targetILNS1_3genE9ELNS1_11target_archE1100ELNS1_3gpuE3ELNS1_3repE0EEENS1_30default_config_static_selectorELNS0_4arch9wavefront6targetE0EEEvS12_.private_seg_size, 0
	.set _ZN7rocprim17ROCPRIM_400000_NS6detail17trampoline_kernelINS0_13select_configILj256ELj13ELNS0_17block_load_methodE3ELS4_3ELS4_3ELNS0_20block_scan_algorithmE0ELj4294967295EEENS1_25partition_config_selectorILNS1_17partition_subalgoE4EjNS0_10empty_typeEbEEZZNS1_14partition_implILS8_4ELb0ES6_15HIP_vector_typeIjLj2EENS0_17counting_iteratorIjlEEPS9_SG_NS0_5tupleIJPjSI_NS0_16reverse_iteratorISI_EEEEENSH_IJSG_SG_SG_EEES9_SI_JZNS1_25segmented_radix_sort_implINS0_14default_configELb0EPKsPsPKlPlN2at6native12_GLOBAL__N_18offset_tEEE10hipError_tPvRmT1_PNSt15iterator_traitsIS12_E10value_typeET2_T3_PNS13_IS18_E10value_typeET4_jRbjT5_S1E_jjP12ihipStream_tbEUljE_ZNSN_ISO_Lb0ESQ_SR_ST_SU_SY_EESZ_S10_S11_S12_S16_S17_S18_S1B_S1C_jS1D_jS1E_S1E_jjS1G_bEUljE0_EEESZ_S10_S11_S18_S1C_S1E_T6_T7_T9_mT8_S1G_bDpT10_ENKUlT_T0_E_clISt17integral_constantIbLb1EES1T_IbLb0EEEEDaS1P_S1Q_EUlS1P_E_NS1_11comp_targetILNS1_3genE9ELNS1_11target_archE1100ELNS1_3gpuE3ELNS1_3repE0EEENS1_30default_config_static_selectorELNS0_4arch9wavefront6targetE0EEEvS12_.uses_vcc, 0
	.set _ZN7rocprim17ROCPRIM_400000_NS6detail17trampoline_kernelINS0_13select_configILj256ELj13ELNS0_17block_load_methodE3ELS4_3ELS4_3ELNS0_20block_scan_algorithmE0ELj4294967295EEENS1_25partition_config_selectorILNS1_17partition_subalgoE4EjNS0_10empty_typeEbEEZZNS1_14partition_implILS8_4ELb0ES6_15HIP_vector_typeIjLj2EENS0_17counting_iteratorIjlEEPS9_SG_NS0_5tupleIJPjSI_NS0_16reverse_iteratorISI_EEEEENSH_IJSG_SG_SG_EEES9_SI_JZNS1_25segmented_radix_sort_implINS0_14default_configELb0EPKsPsPKlPlN2at6native12_GLOBAL__N_18offset_tEEE10hipError_tPvRmT1_PNSt15iterator_traitsIS12_E10value_typeET2_T3_PNS13_IS18_E10value_typeET4_jRbjT5_S1E_jjP12ihipStream_tbEUljE_ZNSN_ISO_Lb0ESQ_SR_ST_SU_SY_EESZ_S10_S11_S12_S16_S17_S18_S1B_S1C_jS1D_jS1E_S1E_jjS1G_bEUljE0_EEESZ_S10_S11_S18_S1C_S1E_T6_T7_T9_mT8_S1G_bDpT10_ENKUlT_T0_E_clISt17integral_constantIbLb1EES1T_IbLb0EEEEDaS1P_S1Q_EUlS1P_E_NS1_11comp_targetILNS1_3genE9ELNS1_11target_archE1100ELNS1_3gpuE3ELNS1_3repE0EEENS1_30default_config_static_selectorELNS0_4arch9wavefront6targetE0EEEvS12_.uses_flat_scratch, 0
	.set _ZN7rocprim17ROCPRIM_400000_NS6detail17trampoline_kernelINS0_13select_configILj256ELj13ELNS0_17block_load_methodE3ELS4_3ELS4_3ELNS0_20block_scan_algorithmE0ELj4294967295EEENS1_25partition_config_selectorILNS1_17partition_subalgoE4EjNS0_10empty_typeEbEEZZNS1_14partition_implILS8_4ELb0ES6_15HIP_vector_typeIjLj2EENS0_17counting_iteratorIjlEEPS9_SG_NS0_5tupleIJPjSI_NS0_16reverse_iteratorISI_EEEEENSH_IJSG_SG_SG_EEES9_SI_JZNS1_25segmented_radix_sort_implINS0_14default_configELb0EPKsPsPKlPlN2at6native12_GLOBAL__N_18offset_tEEE10hipError_tPvRmT1_PNSt15iterator_traitsIS12_E10value_typeET2_T3_PNS13_IS18_E10value_typeET4_jRbjT5_S1E_jjP12ihipStream_tbEUljE_ZNSN_ISO_Lb0ESQ_SR_ST_SU_SY_EESZ_S10_S11_S12_S16_S17_S18_S1B_S1C_jS1D_jS1E_S1E_jjS1G_bEUljE0_EEESZ_S10_S11_S18_S1C_S1E_T6_T7_T9_mT8_S1G_bDpT10_ENKUlT_T0_E_clISt17integral_constantIbLb1EES1T_IbLb0EEEEDaS1P_S1Q_EUlS1P_E_NS1_11comp_targetILNS1_3genE9ELNS1_11target_archE1100ELNS1_3gpuE3ELNS1_3repE0EEENS1_30default_config_static_selectorELNS0_4arch9wavefront6targetE0EEEvS12_.has_dyn_sized_stack, 0
	.set _ZN7rocprim17ROCPRIM_400000_NS6detail17trampoline_kernelINS0_13select_configILj256ELj13ELNS0_17block_load_methodE3ELS4_3ELS4_3ELNS0_20block_scan_algorithmE0ELj4294967295EEENS1_25partition_config_selectorILNS1_17partition_subalgoE4EjNS0_10empty_typeEbEEZZNS1_14partition_implILS8_4ELb0ES6_15HIP_vector_typeIjLj2EENS0_17counting_iteratorIjlEEPS9_SG_NS0_5tupleIJPjSI_NS0_16reverse_iteratorISI_EEEEENSH_IJSG_SG_SG_EEES9_SI_JZNS1_25segmented_radix_sort_implINS0_14default_configELb0EPKsPsPKlPlN2at6native12_GLOBAL__N_18offset_tEEE10hipError_tPvRmT1_PNSt15iterator_traitsIS12_E10value_typeET2_T3_PNS13_IS18_E10value_typeET4_jRbjT5_S1E_jjP12ihipStream_tbEUljE_ZNSN_ISO_Lb0ESQ_SR_ST_SU_SY_EESZ_S10_S11_S12_S16_S17_S18_S1B_S1C_jS1D_jS1E_S1E_jjS1G_bEUljE0_EEESZ_S10_S11_S18_S1C_S1E_T6_T7_T9_mT8_S1G_bDpT10_ENKUlT_T0_E_clISt17integral_constantIbLb1EES1T_IbLb0EEEEDaS1P_S1Q_EUlS1P_E_NS1_11comp_targetILNS1_3genE9ELNS1_11target_archE1100ELNS1_3gpuE3ELNS1_3repE0EEENS1_30default_config_static_selectorELNS0_4arch9wavefront6targetE0EEEvS12_.has_recursion, 0
	.set _ZN7rocprim17ROCPRIM_400000_NS6detail17trampoline_kernelINS0_13select_configILj256ELj13ELNS0_17block_load_methodE3ELS4_3ELS4_3ELNS0_20block_scan_algorithmE0ELj4294967295EEENS1_25partition_config_selectorILNS1_17partition_subalgoE4EjNS0_10empty_typeEbEEZZNS1_14partition_implILS8_4ELb0ES6_15HIP_vector_typeIjLj2EENS0_17counting_iteratorIjlEEPS9_SG_NS0_5tupleIJPjSI_NS0_16reverse_iteratorISI_EEEEENSH_IJSG_SG_SG_EEES9_SI_JZNS1_25segmented_radix_sort_implINS0_14default_configELb0EPKsPsPKlPlN2at6native12_GLOBAL__N_18offset_tEEE10hipError_tPvRmT1_PNSt15iterator_traitsIS12_E10value_typeET2_T3_PNS13_IS18_E10value_typeET4_jRbjT5_S1E_jjP12ihipStream_tbEUljE_ZNSN_ISO_Lb0ESQ_SR_ST_SU_SY_EESZ_S10_S11_S12_S16_S17_S18_S1B_S1C_jS1D_jS1E_S1E_jjS1G_bEUljE0_EEESZ_S10_S11_S18_S1C_S1E_T6_T7_T9_mT8_S1G_bDpT10_ENKUlT_T0_E_clISt17integral_constantIbLb1EES1T_IbLb0EEEEDaS1P_S1Q_EUlS1P_E_NS1_11comp_targetILNS1_3genE9ELNS1_11target_archE1100ELNS1_3gpuE3ELNS1_3repE0EEENS1_30default_config_static_selectorELNS0_4arch9wavefront6targetE0EEEvS12_.has_indirect_call, 0
	.section	.AMDGPU.csdata,"",@progbits
; Kernel info:
; codeLenInByte = 0
; TotalNumSgprs: 0
; NumVgprs: 0
; ScratchSize: 0
; MemoryBound: 0
; FloatMode: 240
; IeeeMode: 1
; LDSByteSize: 0 bytes/workgroup (compile time only)
; SGPRBlocks: 0
; VGPRBlocks: 0
; NumSGPRsForWavesPerEU: 1
; NumVGPRsForWavesPerEU: 1
; NamedBarCnt: 0
; Occupancy: 16
; WaveLimiterHint : 0
; COMPUTE_PGM_RSRC2:SCRATCH_EN: 0
; COMPUTE_PGM_RSRC2:USER_SGPR: 2
; COMPUTE_PGM_RSRC2:TRAP_HANDLER: 0
; COMPUTE_PGM_RSRC2:TGID_X_EN: 1
; COMPUTE_PGM_RSRC2:TGID_Y_EN: 0
; COMPUTE_PGM_RSRC2:TGID_Z_EN: 0
; COMPUTE_PGM_RSRC2:TIDIG_COMP_CNT: 0
	.section	.text._ZN7rocprim17ROCPRIM_400000_NS6detail17trampoline_kernelINS0_13select_configILj256ELj13ELNS0_17block_load_methodE3ELS4_3ELS4_3ELNS0_20block_scan_algorithmE0ELj4294967295EEENS1_25partition_config_selectorILNS1_17partition_subalgoE4EjNS0_10empty_typeEbEEZZNS1_14partition_implILS8_4ELb0ES6_15HIP_vector_typeIjLj2EENS0_17counting_iteratorIjlEEPS9_SG_NS0_5tupleIJPjSI_NS0_16reverse_iteratorISI_EEEEENSH_IJSG_SG_SG_EEES9_SI_JZNS1_25segmented_radix_sort_implINS0_14default_configELb0EPKsPsPKlPlN2at6native12_GLOBAL__N_18offset_tEEE10hipError_tPvRmT1_PNSt15iterator_traitsIS12_E10value_typeET2_T3_PNS13_IS18_E10value_typeET4_jRbjT5_S1E_jjP12ihipStream_tbEUljE_ZNSN_ISO_Lb0ESQ_SR_ST_SU_SY_EESZ_S10_S11_S12_S16_S17_S18_S1B_S1C_jS1D_jS1E_S1E_jjS1G_bEUljE0_EEESZ_S10_S11_S18_S1C_S1E_T6_T7_T9_mT8_S1G_bDpT10_ENKUlT_T0_E_clISt17integral_constantIbLb1EES1T_IbLb0EEEEDaS1P_S1Q_EUlS1P_E_NS1_11comp_targetILNS1_3genE8ELNS1_11target_archE1030ELNS1_3gpuE2ELNS1_3repE0EEENS1_30default_config_static_selectorELNS0_4arch9wavefront6targetE0EEEvS12_,"axG",@progbits,_ZN7rocprim17ROCPRIM_400000_NS6detail17trampoline_kernelINS0_13select_configILj256ELj13ELNS0_17block_load_methodE3ELS4_3ELS4_3ELNS0_20block_scan_algorithmE0ELj4294967295EEENS1_25partition_config_selectorILNS1_17partition_subalgoE4EjNS0_10empty_typeEbEEZZNS1_14partition_implILS8_4ELb0ES6_15HIP_vector_typeIjLj2EENS0_17counting_iteratorIjlEEPS9_SG_NS0_5tupleIJPjSI_NS0_16reverse_iteratorISI_EEEEENSH_IJSG_SG_SG_EEES9_SI_JZNS1_25segmented_radix_sort_implINS0_14default_configELb0EPKsPsPKlPlN2at6native12_GLOBAL__N_18offset_tEEE10hipError_tPvRmT1_PNSt15iterator_traitsIS12_E10value_typeET2_T3_PNS13_IS18_E10value_typeET4_jRbjT5_S1E_jjP12ihipStream_tbEUljE_ZNSN_ISO_Lb0ESQ_SR_ST_SU_SY_EESZ_S10_S11_S12_S16_S17_S18_S1B_S1C_jS1D_jS1E_S1E_jjS1G_bEUljE0_EEESZ_S10_S11_S18_S1C_S1E_T6_T7_T9_mT8_S1G_bDpT10_ENKUlT_T0_E_clISt17integral_constantIbLb1EES1T_IbLb0EEEEDaS1P_S1Q_EUlS1P_E_NS1_11comp_targetILNS1_3genE8ELNS1_11target_archE1030ELNS1_3gpuE2ELNS1_3repE0EEENS1_30default_config_static_selectorELNS0_4arch9wavefront6targetE0EEEvS12_,comdat
	.globl	_ZN7rocprim17ROCPRIM_400000_NS6detail17trampoline_kernelINS0_13select_configILj256ELj13ELNS0_17block_load_methodE3ELS4_3ELS4_3ELNS0_20block_scan_algorithmE0ELj4294967295EEENS1_25partition_config_selectorILNS1_17partition_subalgoE4EjNS0_10empty_typeEbEEZZNS1_14partition_implILS8_4ELb0ES6_15HIP_vector_typeIjLj2EENS0_17counting_iteratorIjlEEPS9_SG_NS0_5tupleIJPjSI_NS0_16reverse_iteratorISI_EEEEENSH_IJSG_SG_SG_EEES9_SI_JZNS1_25segmented_radix_sort_implINS0_14default_configELb0EPKsPsPKlPlN2at6native12_GLOBAL__N_18offset_tEEE10hipError_tPvRmT1_PNSt15iterator_traitsIS12_E10value_typeET2_T3_PNS13_IS18_E10value_typeET4_jRbjT5_S1E_jjP12ihipStream_tbEUljE_ZNSN_ISO_Lb0ESQ_SR_ST_SU_SY_EESZ_S10_S11_S12_S16_S17_S18_S1B_S1C_jS1D_jS1E_S1E_jjS1G_bEUljE0_EEESZ_S10_S11_S18_S1C_S1E_T6_T7_T9_mT8_S1G_bDpT10_ENKUlT_T0_E_clISt17integral_constantIbLb1EES1T_IbLb0EEEEDaS1P_S1Q_EUlS1P_E_NS1_11comp_targetILNS1_3genE8ELNS1_11target_archE1030ELNS1_3gpuE2ELNS1_3repE0EEENS1_30default_config_static_selectorELNS0_4arch9wavefront6targetE0EEEvS12_ ; -- Begin function _ZN7rocprim17ROCPRIM_400000_NS6detail17trampoline_kernelINS0_13select_configILj256ELj13ELNS0_17block_load_methodE3ELS4_3ELS4_3ELNS0_20block_scan_algorithmE0ELj4294967295EEENS1_25partition_config_selectorILNS1_17partition_subalgoE4EjNS0_10empty_typeEbEEZZNS1_14partition_implILS8_4ELb0ES6_15HIP_vector_typeIjLj2EENS0_17counting_iteratorIjlEEPS9_SG_NS0_5tupleIJPjSI_NS0_16reverse_iteratorISI_EEEEENSH_IJSG_SG_SG_EEES9_SI_JZNS1_25segmented_radix_sort_implINS0_14default_configELb0EPKsPsPKlPlN2at6native12_GLOBAL__N_18offset_tEEE10hipError_tPvRmT1_PNSt15iterator_traitsIS12_E10value_typeET2_T3_PNS13_IS18_E10value_typeET4_jRbjT5_S1E_jjP12ihipStream_tbEUljE_ZNSN_ISO_Lb0ESQ_SR_ST_SU_SY_EESZ_S10_S11_S12_S16_S17_S18_S1B_S1C_jS1D_jS1E_S1E_jjS1G_bEUljE0_EEESZ_S10_S11_S18_S1C_S1E_T6_T7_T9_mT8_S1G_bDpT10_ENKUlT_T0_E_clISt17integral_constantIbLb1EES1T_IbLb0EEEEDaS1P_S1Q_EUlS1P_E_NS1_11comp_targetILNS1_3genE8ELNS1_11target_archE1030ELNS1_3gpuE2ELNS1_3repE0EEENS1_30default_config_static_selectorELNS0_4arch9wavefront6targetE0EEEvS12_
	.p2align	8
	.type	_ZN7rocprim17ROCPRIM_400000_NS6detail17trampoline_kernelINS0_13select_configILj256ELj13ELNS0_17block_load_methodE3ELS4_3ELS4_3ELNS0_20block_scan_algorithmE0ELj4294967295EEENS1_25partition_config_selectorILNS1_17partition_subalgoE4EjNS0_10empty_typeEbEEZZNS1_14partition_implILS8_4ELb0ES6_15HIP_vector_typeIjLj2EENS0_17counting_iteratorIjlEEPS9_SG_NS0_5tupleIJPjSI_NS0_16reverse_iteratorISI_EEEEENSH_IJSG_SG_SG_EEES9_SI_JZNS1_25segmented_radix_sort_implINS0_14default_configELb0EPKsPsPKlPlN2at6native12_GLOBAL__N_18offset_tEEE10hipError_tPvRmT1_PNSt15iterator_traitsIS12_E10value_typeET2_T3_PNS13_IS18_E10value_typeET4_jRbjT5_S1E_jjP12ihipStream_tbEUljE_ZNSN_ISO_Lb0ESQ_SR_ST_SU_SY_EESZ_S10_S11_S12_S16_S17_S18_S1B_S1C_jS1D_jS1E_S1E_jjS1G_bEUljE0_EEESZ_S10_S11_S18_S1C_S1E_T6_T7_T9_mT8_S1G_bDpT10_ENKUlT_T0_E_clISt17integral_constantIbLb1EES1T_IbLb0EEEEDaS1P_S1Q_EUlS1P_E_NS1_11comp_targetILNS1_3genE8ELNS1_11target_archE1030ELNS1_3gpuE2ELNS1_3repE0EEENS1_30default_config_static_selectorELNS0_4arch9wavefront6targetE0EEEvS12_,@function
_ZN7rocprim17ROCPRIM_400000_NS6detail17trampoline_kernelINS0_13select_configILj256ELj13ELNS0_17block_load_methodE3ELS4_3ELS4_3ELNS0_20block_scan_algorithmE0ELj4294967295EEENS1_25partition_config_selectorILNS1_17partition_subalgoE4EjNS0_10empty_typeEbEEZZNS1_14partition_implILS8_4ELb0ES6_15HIP_vector_typeIjLj2EENS0_17counting_iteratorIjlEEPS9_SG_NS0_5tupleIJPjSI_NS0_16reverse_iteratorISI_EEEEENSH_IJSG_SG_SG_EEES9_SI_JZNS1_25segmented_radix_sort_implINS0_14default_configELb0EPKsPsPKlPlN2at6native12_GLOBAL__N_18offset_tEEE10hipError_tPvRmT1_PNSt15iterator_traitsIS12_E10value_typeET2_T3_PNS13_IS18_E10value_typeET4_jRbjT5_S1E_jjP12ihipStream_tbEUljE_ZNSN_ISO_Lb0ESQ_SR_ST_SU_SY_EESZ_S10_S11_S12_S16_S17_S18_S1B_S1C_jS1D_jS1E_S1E_jjS1G_bEUljE0_EEESZ_S10_S11_S18_S1C_S1E_T6_T7_T9_mT8_S1G_bDpT10_ENKUlT_T0_E_clISt17integral_constantIbLb1EES1T_IbLb0EEEEDaS1P_S1Q_EUlS1P_E_NS1_11comp_targetILNS1_3genE8ELNS1_11target_archE1030ELNS1_3gpuE2ELNS1_3repE0EEENS1_30default_config_static_selectorELNS0_4arch9wavefront6targetE0EEEvS12_: ; @_ZN7rocprim17ROCPRIM_400000_NS6detail17trampoline_kernelINS0_13select_configILj256ELj13ELNS0_17block_load_methodE3ELS4_3ELS4_3ELNS0_20block_scan_algorithmE0ELj4294967295EEENS1_25partition_config_selectorILNS1_17partition_subalgoE4EjNS0_10empty_typeEbEEZZNS1_14partition_implILS8_4ELb0ES6_15HIP_vector_typeIjLj2EENS0_17counting_iteratorIjlEEPS9_SG_NS0_5tupleIJPjSI_NS0_16reverse_iteratorISI_EEEEENSH_IJSG_SG_SG_EEES9_SI_JZNS1_25segmented_radix_sort_implINS0_14default_configELb0EPKsPsPKlPlN2at6native12_GLOBAL__N_18offset_tEEE10hipError_tPvRmT1_PNSt15iterator_traitsIS12_E10value_typeET2_T3_PNS13_IS18_E10value_typeET4_jRbjT5_S1E_jjP12ihipStream_tbEUljE_ZNSN_ISO_Lb0ESQ_SR_ST_SU_SY_EESZ_S10_S11_S12_S16_S17_S18_S1B_S1C_jS1D_jS1E_S1E_jjS1G_bEUljE0_EEESZ_S10_S11_S18_S1C_S1E_T6_T7_T9_mT8_S1G_bDpT10_ENKUlT_T0_E_clISt17integral_constantIbLb1EES1T_IbLb0EEEEDaS1P_S1Q_EUlS1P_E_NS1_11comp_targetILNS1_3genE8ELNS1_11target_archE1030ELNS1_3gpuE2ELNS1_3repE0EEENS1_30default_config_static_selectorELNS0_4arch9wavefront6targetE0EEEvS12_
; %bb.0:
	.section	.rodata,"a",@progbits
	.p2align	6, 0x0
	.amdhsa_kernel _ZN7rocprim17ROCPRIM_400000_NS6detail17trampoline_kernelINS0_13select_configILj256ELj13ELNS0_17block_load_methodE3ELS4_3ELS4_3ELNS0_20block_scan_algorithmE0ELj4294967295EEENS1_25partition_config_selectorILNS1_17partition_subalgoE4EjNS0_10empty_typeEbEEZZNS1_14partition_implILS8_4ELb0ES6_15HIP_vector_typeIjLj2EENS0_17counting_iteratorIjlEEPS9_SG_NS0_5tupleIJPjSI_NS0_16reverse_iteratorISI_EEEEENSH_IJSG_SG_SG_EEES9_SI_JZNS1_25segmented_radix_sort_implINS0_14default_configELb0EPKsPsPKlPlN2at6native12_GLOBAL__N_18offset_tEEE10hipError_tPvRmT1_PNSt15iterator_traitsIS12_E10value_typeET2_T3_PNS13_IS18_E10value_typeET4_jRbjT5_S1E_jjP12ihipStream_tbEUljE_ZNSN_ISO_Lb0ESQ_SR_ST_SU_SY_EESZ_S10_S11_S12_S16_S17_S18_S1B_S1C_jS1D_jS1E_S1E_jjS1G_bEUljE0_EEESZ_S10_S11_S18_S1C_S1E_T6_T7_T9_mT8_S1G_bDpT10_ENKUlT_T0_E_clISt17integral_constantIbLb1EES1T_IbLb0EEEEDaS1P_S1Q_EUlS1P_E_NS1_11comp_targetILNS1_3genE8ELNS1_11target_archE1030ELNS1_3gpuE2ELNS1_3repE0EEENS1_30default_config_static_selectorELNS0_4arch9wavefront6targetE0EEEvS12_
		.amdhsa_group_segment_fixed_size 0
		.amdhsa_private_segment_fixed_size 0
		.amdhsa_kernarg_size 176
		.amdhsa_user_sgpr_count 2
		.amdhsa_user_sgpr_dispatch_ptr 0
		.amdhsa_user_sgpr_queue_ptr 0
		.amdhsa_user_sgpr_kernarg_segment_ptr 1
		.amdhsa_user_sgpr_dispatch_id 0
		.amdhsa_user_sgpr_kernarg_preload_length 0
		.amdhsa_user_sgpr_kernarg_preload_offset 0
		.amdhsa_user_sgpr_private_segment_size 0
		.amdhsa_wavefront_size32 1
		.amdhsa_uses_dynamic_stack 0
		.amdhsa_enable_private_segment 0
		.amdhsa_system_sgpr_workgroup_id_x 1
		.amdhsa_system_sgpr_workgroup_id_y 0
		.amdhsa_system_sgpr_workgroup_id_z 0
		.amdhsa_system_sgpr_workgroup_info 0
		.amdhsa_system_vgpr_workitem_id 0
		.amdhsa_next_free_vgpr 1
		.amdhsa_next_free_sgpr 1
		.amdhsa_named_barrier_count 0
		.amdhsa_reserve_vcc 0
		.amdhsa_float_round_mode_32 0
		.amdhsa_float_round_mode_16_64 0
		.amdhsa_float_denorm_mode_32 3
		.amdhsa_float_denorm_mode_16_64 3
		.amdhsa_fp16_overflow 0
		.amdhsa_memory_ordered 1
		.amdhsa_forward_progress 1
		.amdhsa_inst_pref_size 0
		.amdhsa_round_robin_scheduling 0
		.amdhsa_exception_fp_ieee_invalid_op 0
		.amdhsa_exception_fp_denorm_src 0
		.amdhsa_exception_fp_ieee_div_zero 0
		.amdhsa_exception_fp_ieee_overflow 0
		.amdhsa_exception_fp_ieee_underflow 0
		.amdhsa_exception_fp_ieee_inexact 0
		.amdhsa_exception_int_div_zero 0
	.end_amdhsa_kernel
	.section	.text._ZN7rocprim17ROCPRIM_400000_NS6detail17trampoline_kernelINS0_13select_configILj256ELj13ELNS0_17block_load_methodE3ELS4_3ELS4_3ELNS0_20block_scan_algorithmE0ELj4294967295EEENS1_25partition_config_selectorILNS1_17partition_subalgoE4EjNS0_10empty_typeEbEEZZNS1_14partition_implILS8_4ELb0ES6_15HIP_vector_typeIjLj2EENS0_17counting_iteratorIjlEEPS9_SG_NS0_5tupleIJPjSI_NS0_16reverse_iteratorISI_EEEEENSH_IJSG_SG_SG_EEES9_SI_JZNS1_25segmented_radix_sort_implINS0_14default_configELb0EPKsPsPKlPlN2at6native12_GLOBAL__N_18offset_tEEE10hipError_tPvRmT1_PNSt15iterator_traitsIS12_E10value_typeET2_T3_PNS13_IS18_E10value_typeET4_jRbjT5_S1E_jjP12ihipStream_tbEUljE_ZNSN_ISO_Lb0ESQ_SR_ST_SU_SY_EESZ_S10_S11_S12_S16_S17_S18_S1B_S1C_jS1D_jS1E_S1E_jjS1G_bEUljE0_EEESZ_S10_S11_S18_S1C_S1E_T6_T7_T9_mT8_S1G_bDpT10_ENKUlT_T0_E_clISt17integral_constantIbLb1EES1T_IbLb0EEEEDaS1P_S1Q_EUlS1P_E_NS1_11comp_targetILNS1_3genE8ELNS1_11target_archE1030ELNS1_3gpuE2ELNS1_3repE0EEENS1_30default_config_static_selectorELNS0_4arch9wavefront6targetE0EEEvS12_,"axG",@progbits,_ZN7rocprim17ROCPRIM_400000_NS6detail17trampoline_kernelINS0_13select_configILj256ELj13ELNS0_17block_load_methodE3ELS4_3ELS4_3ELNS0_20block_scan_algorithmE0ELj4294967295EEENS1_25partition_config_selectorILNS1_17partition_subalgoE4EjNS0_10empty_typeEbEEZZNS1_14partition_implILS8_4ELb0ES6_15HIP_vector_typeIjLj2EENS0_17counting_iteratorIjlEEPS9_SG_NS0_5tupleIJPjSI_NS0_16reverse_iteratorISI_EEEEENSH_IJSG_SG_SG_EEES9_SI_JZNS1_25segmented_radix_sort_implINS0_14default_configELb0EPKsPsPKlPlN2at6native12_GLOBAL__N_18offset_tEEE10hipError_tPvRmT1_PNSt15iterator_traitsIS12_E10value_typeET2_T3_PNS13_IS18_E10value_typeET4_jRbjT5_S1E_jjP12ihipStream_tbEUljE_ZNSN_ISO_Lb0ESQ_SR_ST_SU_SY_EESZ_S10_S11_S12_S16_S17_S18_S1B_S1C_jS1D_jS1E_S1E_jjS1G_bEUljE0_EEESZ_S10_S11_S18_S1C_S1E_T6_T7_T9_mT8_S1G_bDpT10_ENKUlT_T0_E_clISt17integral_constantIbLb1EES1T_IbLb0EEEEDaS1P_S1Q_EUlS1P_E_NS1_11comp_targetILNS1_3genE8ELNS1_11target_archE1030ELNS1_3gpuE2ELNS1_3repE0EEENS1_30default_config_static_selectorELNS0_4arch9wavefront6targetE0EEEvS12_,comdat
.Lfunc_end968:
	.size	_ZN7rocprim17ROCPRIM_400000_NS6detail17trampoline_kernelINS0_13select_configILj256ELj13ELNS0_17block_load_methodE3ELS4_3ELS4_3ELNS0_20block_scan_algorithmE0ELj4294967295EEENS1_25partition_config_selectorILNS1_17partition_subalgoE4EjNS0_10empty_typeEbEEZZNS1_14partition_implILS8_4ELb0ES6_15HIP_vector_typeIjLj2EENS0_17counting_iteratorIjlEEPS9_SG_NS0_5tupleIJPjSI_NS0_16reverse_iteratorISI_EEEEENSH_IJSG_SG_SG_EEES9_SI_JZNS1_25segmented_radix_sort_implINS0_14default_configELb0EPKsPsPKlPlN2at6native12_GLOBAL__N_18offset_tEEE10hipError_tPvRmT1_PNSt15iterator_traitsIS12_E10value_typeET2_T3_PNS13_IS18_E10value_typeET4_jRbjT5_S1E_jjP12ihipStream_tbEUljE_ZNSN_ISO_Lb0ESQ_SR_ST_SU_SY_EESZ_S10_S11_S12_S16_S17_S18_S1B_S1C_jS1D_jS1E_S1E_jjS1G_bEUljE0_EEESZ_S10_S11_S18_S1C_S1E_T6_T7_T9_mT8_S1G_bDpT10_ENKUlT_T0_E_clISt17integral_constantIbLb1EES1T_IbLb0EEEEDaS1P_S1Q_EUlS1P_E_NS1_11comp_targetILNS1_3genE8ELNS1_11target_archE1030ELNS1_3gpuE2ELNS1_3repE0EEENS1_30default_config_static_selectorELNS0_4arch9wavefront6targetE0EEEvS12_, .Lfunc_end968-_ZN7rocprim17ROCPRIM_400000_NS6detail17trampoline_kernelINS0_13select_configILj256ELj13ELNS0_17block_load_methodE3ELS4_3ELS4_3ELNS0_20block_scan_algorithmE0ELj4294967295EEENS1_25partition_config_selectorILNS1_17partition_subalgoE4EjNS0_10empty_typeEbEEZZNS1_14partition_implILS8_4ELb0ES6_15HIP_vector_typeIjLj2EENS0_17counting_iteratorIjlEEPS9_SG_NS0_5tupleIJPjSI_NS0_16reverse_iteratorISI_EEEEENSH_IJSG_SG_SG_EEES9_SI_JZNS1_25segmented_radix_sort_implINS0_14default_configELb0EPKsPsPKlPlN2at6native12_GLOBAL__N_18offset_tEEE10hipError_tPvRmT1_PNSt15iterator_traitsIS12_E10value_typeET2_T3_PNS13_IS18_E10value_typeET4_jRbjT5_S1E_jjP12ihipStream_tbEUljE_ZNSN_ISO_Lb0ESQ_SR_ST_SU_SY_EESZ_S10_S11_S12_S16_S17_S18_S1B_S1C_jS1D_jS1E_S1E_jjS1G_bEUljE0_EEESZ_S10_S11_S18_S1C_S1E_T6_T7_T9_mT8_S1G_bDpT10_ENKUlT_T0_E_clISt17integral_constantIbLb1EES1T_IbLb0EEEEDaS1P_S1Q_EUlS1P_E_NS1_11comp_targetILNS1_3genE8ELNS1_11target_archE1030ELNS1_3gpuE2ELNS1_3repE0EEENS1_30default_config_static_selectorELNS0_4arch9wavefront6targetE0EEEvS12_
                                        ; -- End function
	.set _ZN7rocprim17ROCPRIM_400000_NS6detail17trampoline_kernelINS0_13select_configILj256ELj13ELNS0_17block_load_methodE3ELS4_3ELS4_3ELNS0_20block_scan_algorithmE0ELj4294967295EEENS1_25partition_config_selectorILNS1_17partition_subalgoE4EjNS0_10empty_typeEbEEZZNS1_14partition_implILS8_4ELb0ES6_15HIP_vector_typeIjLj2EENS0_17counting_iteratorIjlEEPS9_SG_NS0_5tupleIJPjSI_NS0_16reverse_iteratorISI_EEEEENSH_IJSG_SG_SG_EEES9_SI_JZNS1_25segmented_radix_sort_implINS0_14default_configELb0EPKsPsPKlPlN2at6native12_GLOBAL__N_18offset_tEEE10hipError_tPvRmT1_PNSt15iterator_traitsIS12_E10value_typeET2_T3_PNS13_IS18_E10value_typeET4_jRbjT5_S1E_jjP12ihipStream_tbEUljE_ZNSN_ISO_Lb0ESQ_SR_ST_SU_SY_EESZ_S10_S11_S12_S16_S17_S18_S1B_S1C_jS1D_jS1E_S1E_jjS1G_bEUljE0_EEESZ_S10_S11_S18_S1C_S1E_T6_T7_T9_mT8_S1G_bDpT10_ENKUlT_T0_E_clISt17integral_constantIbLb1EES1T_IbLb0EEEEDaS1P_S1Q_EUlS1P_E_NS1_11comp_targetILNS1_3genE8ELNS1_11target_archE1030ELNS1_3gpuE2ELNS1_3repE0EEENS1_30default_config_static_selectorELNS0_4arch9wavefront6targetE0EEEvS12_.num_vgpr, 0
	.set _ZN7rocprim17ROCPRIM_400000_NS6detail17trampoline_kernelINS0_13select_configILj256ELj13ELNS0_17block_load_methodE3ELS4_3ELS4_3ELNS0_20block_scan_algorithmE0ELj4294967295EEENS1_25partition_config_selectorILNS1_17partition_subalgoE4EjNS0_10empty_typeEbEEZZNS1_14partition_implILS8_4ELb0ES6_15HIP_vector_typeIjLj2EENS0_17counting_iteratorIjlEEPS9_SG_NS0_5tupleIJPjSI_NS0_16reverse_iteratorISI_EEEEENSH_IJSG_SG_SG_EEES9_SI_JZNS1_25segmented_radix_sort_implINS0_14default_configELb0EPKsPsPKlPlN2at6native12_GLOBAL__N_18offset_tEEE10hipError_tPvRmT1_PNSt15iterator_traitsIS12_E10value_typeET2_T3_PNS13_IS18_E10value_typeET4_jRbjT5_S1E_jjP12ihipStream_tbEUljE_ZNSN_ISO_Lb0ESQ_SR_ST_SU_SY_EESZ_S10_S11_S12_S16_S17_S18_S1B_S1C_jS1D_jS1E_S1E_jjS1G_bEUljE0_EEESZ_S10_S11_S18_S1C_S1E_T6_T7_T9_mT8_S1G_bDpT10_ENKUlT_T0_E_clISt17integral_constantIbLb1EES1T_IbLb0EEEEDaS1P_S1Q_EUlS1P_E_NS1_11comp_targetILNS1_3genE8ELNS1_11target_archE1030ELNS1_3gpuE2ELNS1_3repE0EEENS1_30default_config_static_selectorELNS0_4arch9wavefront6targetE0EEEvS12_.num_agpr, 0
	.set _ZN7rocprim17ROCPRIM_400000_NS6detail17trampoline_kernelINS0_13select_configILj256ELj13ELNS0_17block_load_methodE3ELS4_3ELS4_3ELNS0_20block_scan_algorithmE0ELj4294967295EEENS1_25partition_config_selectorILNS1_17partition_subalgoE4EjNS0_10empty_typeEbEEZZNS1_14partition_implILS8_4ELb0ES6_15HIP_vector_typeIjLj2EENS0_17counting_iteratorIjlEEPS9_SG_NS0_5tupleIJPjSI_NS0_16reverse_iteratorISI_EEEEENSH_IJSG_SG_SG_EEES9_SI_JZNS1_25segmented_radix_sort_implINS0_14default_configELb0EPKsPsPKlPlN2at6native12_GLOBAL__N_18offset_tEEE10hipError_tPvRmT1_PNSt15iterator_traitsIS12_E10value_typeET2_T3_PNS13_IS18_E10value_typeET4_jRbjT5_S1E_jjP12ihipStream_tbEUljE_ZNSN_ISO_Lb0ESQ_SR_ST_SU_SY_EESZ_S10_S11_S12_S16_S17_S18_S1B_S1C_jS1D_jS1E_S1E_jjS1G_bEUljE0_EEESZ_S10_S11_S18_S1C_S1E_T6_T7_T9_mT8_S1G_bDpT10_ENKUlT_T0_E_clISt17integral_constantIbLb1EES1T_IbLb0EEEEDaS1P_S1Q_EUlS1P_E_NS1_11comp_targetILNS1_3genE8ELNS1_11target_archE1030ELNS1_3gpuE2ELNS1_3repE0EEENS1_30default_config_static_selectorELNS0_4arch9wavefront6targetE0EEEvS12_.numbered_sgpr, 0
	.set _ZN7rocprim17ROCPRIM_400000_NS6detail17trampoline_kernelINS0_13select_configILj256ELj13ELNS0_17block_load_methodE3ELS4_3ELS4_3ELNS0_20block_scan_algorithmE0ELj4294967295EEENS1_25partition_config_selectorILNS1_17partition_subalgoE4EjNS0_10empty_typeEbEEZZNS1_14partition_implILS8_4ELb0ES6_15HIP_vector_typeIjLj2EENS0_17counting_iteratorIjlEEPS9_SG_NS0_5tupleIJPjSI_NS0_16reverse_iteratorISI_EEEEENSH_IJSG_SG_SG_EEES9_SI_JZNS1_25segmented_radix_sort_implINS0_14default_configELb0EPKsPsPKlPlN2at6native12_GLOBAL__N_18offset_tEEE10hipError_tPvRmT1_PNSt15iterator_traitsIS12_E10value_typeET2_T3_PNS13_IS18_E10value_typeET4_jRbjT5_S1E_jjP12ihipStream_tbEUljE_ZNSN_ISO_Lb0ESQ_SR_ST_SU_SY_EESZ_S10_S11_S12_S16_S17_S18_S1B_S1C_jS1D_jS1E_S1E_jjS1G_bEUljE0_EEESZ_S10_S11_S18_S1C_S1E_T6_T7_T9_mT8_S1G_bDpT10_ENKUlT_T0_E_clISt17integral_constantIbLb1EES1T_IbLb0EEEEDaS1P_S1Q_EUlS1P_E_NS1_11comp_targetILNS1_3genE8ELNS1_11target_archE1030ELNS1_3gpuE2ELNS1_3repE0EEENS1_30default_config_static_selectorELNS0_4arch9wavefront6targetE0EEEvS12_.num_named_barrier, 0
	.set _ZN7rocprim17ROCPRIM_400000_NS6detail17trampoline_kernelINS0_13select_configILj256ELj13ELNS0_17block_load_methodE3ELS4_3ELS4_3ELNS0_20block_scan_algorithmE0ELj4294967295EEENS1_25partition_config_selectorILNS1_17partition_subalgoE4EjNS0_10empty_typeEbEEZZNS1_14partition_implILS8_4ELb0ES6_15HIP_vector_typeIjLj2EENS0_17counting_iteratorIjlEEPS9_SG_NS0_5tupleIJPjSI_NS0_16reverse_iteratorISI_EEEEENSH_IJSG_SG_SG_EEES9_SI_JZNS1_25segmented_radix_sort_implINS0_14default_configELb0EPKsPsPKlPlN2at6native12_GLOBAL__N_18offset_tEEE10hipError_tPvRmT1_PNSt15iterator_traitsIS12_E10value_typeET2_T3_PNS13_IS18_E10value_typeET4_jRbjT5_S1E_jjP12ihipStream_tbEUljE_ZNSN_ISO_Lb0ESQ_SR_ST_SU_SY_EESZ_S10_S11_S12_S16_S17_S18_S1B_S1C_jS1D_jS1E_S1E_jjS1G_bEUljE0_EEESZ_S10_S11_S18_S1C_S1E_T6_T7_T9_mT8_S1G_bDpT10_ENKUlT_T0_E_clISt17integral_constantIbLb1EES1T_IbLb0EEEEDaS1P_S1Q_EUlS1P_E_NS1_11comp_targetILNS1_3genE8ELNS1_11target_archE1030ELNS1_3gpuE2ELNS1_3repE0EEENS1_30default_config_static_selectorELNS0_4arch9wavefront6targetE0EEEvS12_.private_seg_size, 0
	.set _ZN7rocprim17ROCPRIM_400000_NS6detail17trampoline_kernelINS0_13select_configILj256ELj13ELNS0_17block_load_methodE3ELS4_3ELS4_3ELNS0_20block_scan_algorithmE0ELj4294967295EEENS1_25partition_config_selectorILNS1_17partition_subalgoE4EjNS0_10empty_typeEbEEZZNS1_14partition_implILS8_4ELb0ES6_15HIP_vector_typeIjLj2EENS0_17counting_iteratorIjlEEPS9_SG_NS0_5tupleIJPjSI_NS0_16reverse_iteratorISI_EEEEENSH_IJSG_SG_SG_EEES9_SI_JZNS1_25segmented_radix_sort_implINS0_14default_configELb0EPKsPsPKlPlN2at6native12_GLOBAL__N_18offset_tEEE10hipError_tPvRmT1_PNSt15iterator_traitsIS12_E10value_typeET2_T3_PNS13_IS18_E10value_typeET4_jRbjT5_S1E_jjP12ihipStream_tbEUljE_ZNSN_ISO_Lb0ESQ_SR_ST_SU_SY_EESZ_S10_S11_S12_S16_S17_S18_S1B_S1C_jS1D_jS1E_S1E_jjS1G_bEUljE0_EEESZ_S10_S11_S18_S1C_S1E_T6_T7_T9_mT8_S1G_bDpT10_ENKUlT_T0_E_clISt17integral_constantIbLb1EES1T_IbLb0EEEEDaS1P_S1Q_EUlS1P_E_NS1_11comp_targetILNS1_3genE8ELNS1_11target_archE1030ELNS1_3gpuE2ELNS1_3repE0EEENS1_30default_config_static_selectorELNS0_4arch9wavefront6targetE0EEEvS12_.uses_vcc, 0
	.set _ZN7rocprim17ROCPRIM_400000_NS6detail17trampoline_kernelINS0_13select_configILj256ELj13ELNS0_17block_load_methodE3ELS4_3ELS4_3ELNS0_20block_scan_algorithmE0ELj4294967295EEENS1_25partition_config_selectorILNS1_17partition_subalgoE4EjNS0_10empty_typeEbEEZZNS1_14partition_implILS8_4ELb0ES6_15HIP_vector_typeIjLj2EENS0_17counting_iteratorIjlEEPS9_SG_NS0_5tupleIJPjSI_NS0_16reverse_iteratorISI_EEEEENSH_IJSG_SG_SG_EEES9_SI_JZNS1_25segmented_radix_sort_implINS0_14default_configELb0EPKsPsPKlPlN2at6native12_GLOBAL__N_18offset_tEEE10hipError_tPvRmT1_PNSt15iterator_traitsIS12_E10value_typeET2_T3_PNS13_IS18_E10value_typeET4_jRbjT5_S1E_jjP12ihipStream_tbEUljE_ZNSN_ISO_Lb0ESQ_SR_ST_SU_SY_EESZ_S10_S11_S12_S16_S17_S18_S1B_S1C_jS1D_jS1E_S1E_jjS1G_bEUljE0_EEESZ_S10_S11_S18_S1C_S1E_T6_T7_T9_mT8_S1G_bDpT10_ENKUlT_T0_E_clISt17integral_constantIbLb1EES1T_IbLb0EEEEDaS1P_S1Q_EUlS1P_E_NS1_11comp_targetILNS1_3genE8ELNS1_11target_archE1030ELNS1_3gpuE2ELNS1_3repE0EEENS1_30default_config_static_selectorELNS0_4arch9wavefront6targetE0EEEvS12_.uses_flat_scratch, 0
	.set _ZN7rocprim17ROCPRIM_400000_NS6detail17trampoline_kernelINS0_13select_configILj256ELj13ELNS0_17block_load_methodE3ELS4_3ELS4_3ELNS0_20block_scan_algorithmE0ELj4294967295EEENS1_25partition_config_selectorILNS1_17partition_subalgoE4EjNS0_10empty_typeEbEEZZNS1_14partition_implILS8_4ELb0ES6_15HIP_vector_typeIjLj2EENS0_17counting_iteratorIjlEEPS9_SG_NS0_5tupleIJPjSI_NS0_16reverse_iteratorISI_EEEEENSH_IJSG_SG_SG_EEES9_SI_JZNS1_25segmented_radix_sort_implINS0_14default_configELb0EPKsPsPKlPlN2at6native12_GLOBAL__N_18offset_tEEE10hipError_tPvRmT1_PNSt15iterator_traitsIS12_E10value_typeET2_T3_PNS13_IS18_E10value_typeET4_jRbjT5_S1E_jjP12ihipStream_tbEUljE_ZNSN_ISO_Lb0ESQ_SR_ST_SU_SY_EESZ_S10_S11_S12_S16_S17_S18_S1B_S1C_jS1D_jS1E_S1E_jjS1G_bEUljE0_EEESZ_S10_S11_S18_S1C_S1E_T6_T7_T9_mT8_S1G_bDpT10_ENKUlT_T0_E_clISt17integral_constantIbLb1EES1T_IbLb0EEEEDaS1P_S1Q_EUlS1P_E_NS1_11comp_targetILNS1_3genE8ELNS1_11target_archE1030ELNS1_3gpuE2ELNS1_3repE0EEENS1_30default_config_static_selectorELNS0_4arch9wavefront6targetE0EEEvS12_.has_dyn_sized_stack, 0
	.set _ZN7rocprim17ROCPRIM_400000_NS6detail17trampoline_kernelINS0_13select_configILj256ELj13ELNS0_17block_load_methodE3ELS4_3ELS4_3ELNS0_20block_scan_algorithmE0ELj4294967295EEENS1_25partition_config_selectorILNS1_17partition_subalgoE4EjNS0_10empty_typeEbEEZZNS1_14partition_implILS8_4ELb0ES6_15HIP_vector_typeIjLj2EENS0_17counting_iteratorIjlEEPS9_SG_NS0_5tupleIJPjSI_NS0_16reverse_iteratorISI_EEEEENSH_IJSG_SG_SG_EEES9_SI_JZNS1_25segmented_radix_sort_implINS0_14default_configELb0EPKsPsPKlPlN2at6native12_GLOBAL__N_18offset_tEEE10hipError_tPvRmT1_PNSt15iterator_traitsIS12_E10value_typeET2_T3_PNS13_IS18_E10value_typeET4_jRbjT5_S1E_jjP12ihipStream_tbEUljE_ZNSN_ISO_Lb0ESQ_SR_ST_SU_SY_EESZ_S10_S11_S12_S16_S17_S18_S1B_S1C_jS1D_jS1E_S1E_jjS1G_bEUljE0_EEESZ_S10_S11_S18_S1C_S1E_T6_T7_T9_mT8_S1G_bDpT10_ENKUlT_T0_E_clISt17integral_constantIbLb1EES1T_IbLb0EEEEDaS1P_S1Q_EUlS1P_E_NS1_11comp_targetILNS1_3genE8ELNS1_11target_archE1030ELNS1_3gpuE2ELNS1_3repE0EEENS1_30default_config_static_selectorELNS0_4arch9wavefront6targetE0EEEvS12_.has_recursion, 0
	.set _ZN7rocprim17ROCPRIM_400000_NS6detail17trampoline_kernelINS0_13select_configILj256ELj13ELNS0_17block_load_methodE3ELS4_3ELS4_3ELNS0_20block_scan_algorithmE0ELj4294967295EEENS1_25partition_config_selectorILNS1_17partition_subalgoE4EjNS0_10empty_typeEbEEZZNS1_14partition_implILS8_4ELb0ES6_15HIP_vector_typeIjLj2EENS0_17counting_iteratorIjlEEPS9_SG_NS0_5tupleIJPjSI_NS0_16reverse_iteratorISI_EEEEENSH_IJSG_SG_SG_EEES9_SI_JZNS1_25segmented_radix_sort_implINS0_14default_configELb0EPKsPsPKlPlN2at6native12_GLOBAL__N_18offset_tEEE10hipError_tPvRmT1_PNSt15iterator_traitsIS12_E10value_typeET2_T3_PNS13_IS18_E10value_typeET4_jRbjT5_S1E_jjP12ihipStream_tbEUljE_ZNSN_ISO_Lb0ESQ_SR_ST_SU_SY_EESZ_S10_S11_S12_S16_S17_S18_S1B_S1C_jS1D_jS1E_S1E_jjS1G_bEUljE0_EEESZ_S10_S11_S18_S1C_S1E_T6_T7_T9_mT8_S1G_bDpT10_ENKUlT_T0_E_clISt17integral_constantIbLb1EES1T_IbLb0EEEEDaS1P_S1Q_EUlS1P_E_NS1_11comp_targetILNS1_3genE8ELNS1_11target_archE1030ELNS1_3gpuE2ELNS1_3repE0EEENS1_30default_config_static_selectorELNS0_4arch9wavefront6targetE0EEEvS12_.has_indirect_call, 0
	.section	.AMDGPU.csdata,"",@progbits
; Kernel info:
; codeLenInByte = 0
; TotalNumSgprs: 0
; NumVgprs: 0
; ScratchSize: 0
; MemoryBound: 0
; FloatMode: 240
; IeeeMode: 1
; LDSByteSize: 0 bytes/workgroup (compile time only)
; SGPRBlocks: 0
; VGPRBlocks: 0
; NumSGPRsForWavesPerEU: 1
; NumVGPRsForWavesPerEU: 1
; NamedBarCnt: 0
; Occupancy: 16
; WaveLimiterHint : 0
; COMPUTE_PGM_RSRC2:SCRATCH_EN: 0
; COMPUTE_PGM_RSRC2:USER_SGPR: 2
; COMPUTE_PGM_RSRC2:TRAP_HANDLER: 0
; COMPUTE_PGM_RSRC2:TGID_X_EN: 1
; COMPUTE_PGM_RSRC2:TGID_Y_EN: 0
; COMPUTE_PGM_RSRC2:TGID_Z_EN: 0
; COMPUTE_PGM_RSRC2:TIDIG_COMP_CNT: 0
	.section	.text._ZN7rocprim17ROCPRIM_400000_NS6detail17trampoline_kernelINS0_13select_configILj256ELj13ELNS0_17block_load_methodE3ELS4_3ELS4_3ELNS0_20block_scan_algorithmE0ELj4294967295EEENS1_25partition_config_selectorILNS1_17partition_subalgoE4EjNS0_10empty_typeEbEEZZNS1_14partition_implILS8_4ELb0ES6_15HIP_vector_typeIjLj2EENS0_17counting_iteratorIjlEEPS9_SG_NS0_5tupleIJPjSI_NS0_16reverse_iteratorISI_EEEEENSH_IJSG_SG_SG_EEES9_SI_JZNS1_25segmented_radix_sort_implINS0_14default_configELb0EPKsPsPKlPlN2at6native12_GLOBAL__N_18offset_tEEE10hipError_tPvRmT1_PNSt15iterator_traitsIS12_E10value_typeET2_T3_PNS13_IS18_E10value_typeET4_jRbjT5_S1E_jjP12ihipStream_tbEUljE_ZNSN_ISO_Lb0ESQ_SR_ST_SU_SY_EESZ_S10_S11_S12_S16_S17_S18_S1B_S1C_jS1D_jS1E_S1E_jjS1G_bEUljE0_EEESZ_S10_S11_S18_S1C_S1E_T6_T7_T9_mT8_S1G_bDpT10_ENKUlT_T0_E_clISt17integral_constantIbLb0EES1T_IbLb1EEEEDaS1P_S1Q_EUlS1P_E_NS1_11comp_targetILNS1_3genE0ELNS1_11target_archE4294967295ELNS1_3gpuE0ELNS1_3repE0EEENS1_30default_config_static_selectorELNS0_4arch9wavefront6targetE0EEEvS12_,"axG",@progbits,_ZN7rocprim17ROCPRIM_400000_NS6detail17trampoline_kernelINS0_13select_configILj256ELj13ELNS0_17block_load_methodE3ELS4_3ELS4_3ELNS0_20block_scan_algorithmE0ELj4294967295EEENS1_25partition_config_selectorILNS1_17partition_subalgoE4EjNS0_10empty_typeEbEEZZNS1_14partition_implILS8_4ELb0ES6_15HIP_vector_typeIjLj2EENS0_17counting_iteratorIjlEEPS9_SG_NS0_5tupleIJPjSI_NS0_16reverse_iteratorISI_EEEEENSH_IJSG_SG_SG_EEES9_SI_JZNS1_25segmented_radix_sort_implINS0_14default_configELb0EPKsPsPKlPlN2at6native12_GLOBAL__N_18offset_tEEE10hipError_tPvRmT1_PNSt15iterator_traitsIS12_E10value_typeET2_T3_PNS13_IS18_E10value_typeET4_jRbjT5_S1E_jjP12ihipStream_tbEUljE_ZNSN_ISO_Lb0ESQ_SR_ST_SU_SY_EESZ_S10_S11_S12_S16_S17_S18_S1B_S1C_jS1D_jS1E_S1E_jjS1G_bEUljE0_EEESZ_S10_S11_S18_S1C_S1E_T6_T7_T9_mT8_S1G_bDpT10_ENKUlT_T0_E_clISt17integral_constantIbLb0EES1T_IbLb1EEEEDaS1P_S1Q_EUlS1P_E_NS1_11comp_targetILNS1_3genE0ELNS1_11target_archE4294967295ELNS1_3gpuE0ELNS1_3repE0EEENS1_30default_config_static_selectorELNS0_4arch9wavefront6targetE0EEEvS12_,comdat
	.globl	_ZN7rocprim17ROCPRIM_400000_NS6detail17trampoline_kernelINS0_13select_configILj256ELj13ELNS0_17block_load_methodE3ELS4_3ELS4_3ELNS0_20block_scan_algorithmE0ELj4294967295EEENS1_25partition_config_selectorILNS1_17partition_subalgoE4EjNS0_10empty_typeEbEEZZNS1_14partition_implILS8_4ELb0ES6_15HIP_vector_typeIjLj2EENS0_17counting_iteratorIjlEEPS9_SG_NS0_5tupleIJPjSI_NS0_16reverse_iteratorISI_EEEEENSH_IJSG_SG_SG_EEES9_SI_JZNS1_25segmented_radix_sort_implINS0_14default_configELb0EPKsPsPKlPlN2at6native12_GLOBAL__N_18offset_tEEE10hipError_tPvRmT1_PNSt15iterator_traitsIS12_E10value_typeET2_T3_PNS13_IS18_E10value_typeET4_jRbjT5_S1E_jjP12ihipStream_tbEUljE_ZNSN_ISO_Lb0ESQ_SR_ST_SU_SY_EESZ_S10_S11_S12_S16_S17_S18_S1B_S1C_jS1D_jS1E_S1E_jjS1G_bEUljE0_EEESZ_S10_S11_S18_S1C_S1E_T6_T7_T9_mT8_S1G_bDpT10_ENKUlT_T0_E_clISt17integral_constantIbLb0EES1T_IbLb1EEEEDaS1P_S1Q_EUlS1P_E_NS1_11comp_targetILNS1_3genE0ELNS1_11target_archE4294967295ELNS1_3gpuE0ELNS1_3repE0EEENS1_30default_config_static_selectorELNS0_4arch9wavefront6targetE0EEEvS12_ ; -- Begin function _ZN7rocprim17ROCPRIM_400000_NS6detail17trampoline_kernelINS0_13select_configILj256ELj13ELNS0_17block_load_methodE3ELS4_3ELS4_3ELNS0_20block_scan_algorithmE0ELj4294967295EEENS1_25partition_config_selectorILNS1_17partition_subalgoE4EjNS0_10empty_typeEbEEZZNS1_14partition_implILS8_4ELb0ES6_15HIP_vector_typeIjLj2EENS0_17counting_iteratorIjlEEPS9_SG_NS0_5tupleIJPjSI_NS0_16reverse_iteratorISI_EEEEENSH_IJSG_SG_SG_EEES9_SI_JZNS1_25segmented_radix_sort_implINS0_14default_configELb0EPKsPsPKlPlN2at6native12_GLOBAL__N_18offset_tEEE10hipError_tPvRmT1_PNSt15iterator_traitsIS12_E10value_typeET2_T3_PNS13_IS18_E10value_typeET4_jRbjT5_S1E_jjP12ihipStream_tbEUljE_ZNSN_ISO_Lb0ESQ_SR_ST_SU_SY_EESZ_S10_S11_S12_S16_S17_S18_S1B_S1C_jS1D_jS1E_S1E_jjS1G_bEUljE0_EEESZ_S10_S11_S18_S1C_S1E_T6_T7_T9_mT8_S1G_bDpT10_ENKUlT_T0_E_clISt17integral_constantIbLb0EES1T_IbLb1EEEEDaS1P_S1Q_EUlS1P_E_NS1_11comp_targetILNS1_3genE0ELNS1_11target_archE4294967295ELNS1_3gpuE0ELNS1_3repE0EEENS1_30default_config_static_selectorELNS0_4arch9wavefront6targetE0EEEvS12_
	.p2align	8
	.type	_ZN7rocprim17ROCPRIM_400000_NS6detail17trampoline_kernelINS0_13select_configILj256ELj13ELNS0_17block_load_methodE3ELS4_3ELS4_3ELNS0_20block_scan_algorithmE0ELj4294967295EEENS1_25partition_config_selectorILNS1_17partition_subalgoE4EjNS0_10empty_typeEbEEZZNS1_14partition_implILS8_4ELb0ES6_15HIP_vector_typeIjLj2EENS0_17counting_iteratorIjlEEPS9_SG_NS0_5tupleIJPjSI_NS0_16reverse_iteratorISI_EEEEENSH_IJSG_SG_SG_EEES9_SI_JZNS1_25segmented_radix_sort_implINS0_14default_configELb0EPKsPsPKlPlN2at6native12_GLOBAL__N_18offset_tEEE10hipError_tPvRmT1_PNSt15iterator_traitsIS12_E10value_typeET2_T3_PNS13_IS18_E10value_typeET4_jRbjT5_S1E_jjP12ihipStream_tbEUljE_ZNSN_ISO_Lb0ESQ_SR_ST_SU_SY_EESZ_S10_S11_S12_S16_S17_S18_S1B_S1C_jS1D_jS1E_S1E_jjS1G_bEUljE0_EEESZ_S10_S11_S18_S1C_S1E_T6_T7_T9_mT8_S1G_bDpT10_ENKUlT_T0_E_clISt17integral_constantIbLb0EES1T_IbLb1EEEEDaS1P_S1Q_EUlS1P_E_NS1_11comp_targetILNS1_3genE0ELNS1_11target_archE4294967295ELNS1_3gpuE0ELNS1_3repE0EEENS1_30default_config_static_selectorELNS0_4arch9wavefront6targetE0EEEvS12_,@function
_ZN7rocprim17ROCPRIM_400000_NS6detail17trampoline_kernelINS0_13select_configILj256ELj13ELNS0_17block_load_methodE3ELS4_3ELS4_3ELNS0_20block_scan_algorithmE0ELj4294967295EEENS1_25partition_config_selectorILNS1_17partition_subalgoE4EjNS0_10empty_typeEbEEZZNS1_14partition_implILS8_4ELb0ES6_15HIP_vector_typeIjLj2EENS0_17counting_iteratorIjlEEPS9_SG_NS0_5tupleIJPjSI_NS0_16reverse_iteratorISI_EEEEENSH_IJSG_SG_SG_EEES9_SI_JZNS1_25segmented_radix_sort_implINS0_14default_configELb0EPKsPsPKlPlN2at6native12_GLOBAL__N_18offset_tEEE10hipError_tPvRmT1_PNSt15iterator_traitsIS12_E10value_typeET2_T3_PNS13_IS18_E10value_typeET4_jRbjT5_S1E_jjP12ihipStream_tbEUljE_ZNSN_ISO_Lb0ESQ_SR_ST_SU_SY_EESZ_S10_S11_S12_S16_S17_S18_S1B_S1C_jS1D_jS1E_S1E_jjS1G_bEUljE0_EEESZ_S10_S11_S18_S1C_S1E_T6_T7_T9_mT8_S1G_bDpT10_ENKUlT_T0_E_clISt17integral_constantIbLb0EES1T_IbLb1EEEEDaS1P_S1Q_EUlS1P_E_NS1_11comp_targetILNS1_3genE0ELNS1_11target_archE4294967295ELNS1_3gpuE0ELNS1_3repE0EEENS1_30default_config_static_selectorELNS0_4arch9wavefront6targetE0EEEvS12_: ; @_ZN7rocprim17ROCPRIM_400000_NS6detail17trampoline_kernelINS0_13select_configILj256ELj13ELNS0_17block_load_methodE3ELS4_3ELS4_3ELNS0_20block_scan_algorithmE0ELj4294967295EEENS1_25partition_config_selectorILNS1_17partition_subalgoE4EjNS0_10empty_typeEbEEZZNS1_14partition_implILS8_4ELb0ES6_15HIP_vector_typeIjLj2EENS0_17counting_iteratorIjlEEPS9_SG_NS0_5tupleIJPjSI_NS0_16reverse_iteratorISI_EEEEENSH_IJSG_SG_SG_EEES9_SI_JZNS1_25segmented_radix_sort_implINS0_14default_configELb0EPKsPsPKlPlN2at6native12_GLOBAL__N_18offset_tEEE10hipError_tPvRmT1_PNSt15iterator_traitsIS12_E10value_typeET2_T3_PNS13_IS18_E10value_typeET4_jRbjT5_S1E_jjP12ihipStream_tbEUljE_ZNSN_ISO_Lb0ESQ_SR_ST_SU_SY_EESZ_S10_S11_S12_S16_S17_S18_S1B_S1C_jS1D_jS1E_S1E_jjS1G_bEUljE0_EEESZ_S10_S11_S18_S1C_S1E_T6_T7_T9_mT8_S1G_bDpT10_ENKUlT_T0_E_clISt17integral_constantIbLb0EES1T_IbLb1EEEEDaS1P_S1Q_EUlS1P_E_NS1_11comp_targetILNS1_3genE0ELNS1_11target_archE4294967295ELNS1_3gpuE0ELNS1_3repE0EEENS1_30default_config_static_selectorELNS0_4arch9wavefront6targetE0EEEvS12_
; %bb.0:
	s_clause 0x7
	s_load_b64 s[34:35], s[0:1], 0x10
	s_load_b128 s[28:31], s[0:1], 0x28
	s_load_b64 s[14:15], s[0:1], 0x38
	s_load_b128 s[24:27], s[0:1], 0x58
	s_load_b64 s[4:5], s[0:1], 0x68
	s_load_b64 s[36:37], s[0:1], 0x78
	;; [unrolled: 1-line block ×3, first 2 shown]
	s_load_b256 s[16:23], s[0:1], 0x90
	v_cmp_eq_u32_e64 s2, 0, v0
	s_and_saveexec_b32 s3, s2
	s_cbranch_execz .LBB969_4
; %bb.1:
	s_mov_b32 s7, exec_lo
	s_mov_b32 s6, exec_lo
	v_mbcnt_lo_u32_b32 v1, s7, 0
                                        ; implicit-def: $vgpr2
	s_delay_alu instid0(VALU_DEP_1)
	v_cmpx_eq_u32_e32 0, v1
	s_cbranch_execz .LBB969_3
; %bb.2:
	s_load_b64 s[8:9], s[0:1], 0x88
	s_bcnt1_i32_b32 s7, s7
	s_delay_alu instid0(SALU_CYCLE_1)
	v_dual_mov_b32 v2, 0 :: v_dual_mov_b32 v3, s7
	s_wait_xcnt 0x0
	s_wait_kmcnt 0x0
	global_atomic_add_u32 v2, v2, v3, s[8:9] th:TH_ATOMIC_RETURN scope:SCOPE_DEV
.LBB969_3:
	s_wait_xcnt 0x0
	s_or_b32 exec_lo, exec_lo, s6
	s_wait_loadcnt 0x0
	v_readfirstlane_b32 s6, v2
	s_delay_alu instid0(VALU_DEP_1)
	v_dual_mov_b32 v2, 0 :: v_dual_add_nc_u32 v1, s6, v1
	ds_store_b32 v2, v1
.LBB969_4:
	s_or_b32 exec_lo, exec_lo, s3
	v_mov_b32_e32 v1, 0
	s_clause 0x1
	s_load_b32 s3, s[0:1], 0x8
	s_load_b32 s6, s[0:1], 0x80
	s_wait_dscnt 0x0
	s_barrier_signal -1
	s_barrier_wait -1
	ds_load_b32 v6, v1
	s_wait_dscnt 0x0
	s_barrier_signal -1
	s_barrier_wait -1
	s_wait_kmcnt 0x0
	global_load_b128 v[2:5], v1, s[26:27]
	s_mov_b32 s1, 0
	s_add_co_i32 s3, s3, s34
	s_mul_i32 s0, s6, 0xd00
	s_add_co_i32 s6, s6, -1
	s_add_nc_u64 s[8:9], s[34:35], s[0:1]
	s_delay_alu instid0(SALU_CYCLE_1)
	v_cmp_gt_u64_e64 s1, s[4:5], s[8:9]
	v_mul_lo_u32 v14, 0xd00, v6
	s_wait_xcnt 0x0
	v_readfirstlane_b32 s27, v6
	v_cmp_ne_u32_e32 vcc_lo, s6, v6
	s_cmp_eq_u32 s27, s6
	s_cselect_b32 s26, -1, 0
	s_or_b32 s1, s1, vcc_lo
	v_add3_u32 v1, v14, s3, v0
	s_and_b32 vcc_lo, exec_lo, s1
	s_mov_b32 s3, -1
	s_delay_alu instid0(VALU_DEP_1)
	v_add_nc_u32_e32 v6, 0x100, v1
	v_add_nc_u32_e32 v7, 0x200, v1
	;; [unrolled: 1-line block ×12, first 2 shown]
	s_cbranch_vccz .LBB969_6
; %bb.5:
	v_lshlrev_b32_e32 v19, 2, v0
	s_mov_b32 s3, 0
	ds_store_2addr_stride64_b32 v19, v1, v6 offset1:4
	ds_store_2addr_stride64_b32 v19, v7, v8 offset0:8 offset1:12
	ds_store_2addr_stride64_b32 v19, v9, v10 offset0:16 offset1:20
	;; [unrolled: 1-line block ×5, first 2 shown]
	ds_store_b32 v19, v18 offset:12288
	s_wait_loadcnt_dscnt 0x0
	s_barrier_signal -1
	s_barrier_wait -1
.LBB969_6:
	s_and_not1_b32 vcc_lo, exec_lo, s3
	s_add_co_i32 s0, s0, s34
	s_cbranch_vccnz .LBB969_8
; %bb.7:
	v_lshlrev_b32_e32 v19, 2, v0
	ds_store_2addr_stride64_b32 v19, v1, v6 offset1:4
	ds_store_2addr_stride64_b32 v19, v7, v8 offset0:8 offset1:12
	ds_store_2addr_stride64_b32 v19, v9, v10 offset0:16 offset1:20
	;; [unrolled: 1-line block ×5, first 2 shown]
	ds_store_b32 v19, v18 offset:12288
	s_wait_loadcnt_dscnt 0x0
	s_barrier_signal -1
	s_barrier_wait -1
.LBB969_8:
	v_mul_u32_u24_e32 v15, 13, v0
	s_wait_loadcnt 0x0
	v_cndmask_b32_e64 v35, 0, 1, s1
	s_sub_co_i32 s33, s4, s0
	s_and_not1_b32 vcc_lo, exec_lo, s1
	v_lshlrev_b32_e32 v1, 2, v15
	ds_load_b32 v34, v1 offset:48
	ds_load_2addr_b32 v[16:17], v1 offset0:10 offset1:11
	ds_load_2addr_b32 v[18:19], v1 offset0:8 offset1:9
	;; [unrolled: 1-line block ×4, first 2 shown]
	ds_load_2addr_b32 v[26:27], v1 offset1:1
	ds_load_2addr_b32 v[24:25], v1 offset0:2 offset1:3
	s_wait_dscnt 0x0
	s_barrier_signal -1
	s_barrier_wait -1
	s_cbranch_vccnz .LBB969_36
; %bb.9:
	v_dual_add_nc_u32 v1, s17, v26 :: v_dual_add_nc_u32 v6, s19, v26
	s_mov_b32 s41, 0
	s_mov_b32 s40, 0
	s_mov_b32 s1, exec_lo
	s_delay_alu instid0(VALU_DEP_1) | instskip(SKIP_1) | instid1(VALU_DEP_1)
	v_mul_lo_u32 v1, v1, s16
	v_mul_lo_u32 v6, v6, s18
	v_sub_nc_u32_e32 v1, v1, v6
	s_delay_alu instid0(VALU_DEP_1)
	v_cmp_lt_u32_e32 vcc_lo, s20, v1
	v_cmpx_ge_u32_e64 s20, v1
	s_cbranch_execz .LBB969_11
; %bb.10:
	v_dual_add_nc_u32 v1, s22, v26 :: v_dual_add_nc_u32 v6, s38, v26
	s_delay_alu instid0(VALU_DEP_1) | instskip(NEXT) | instid1(VALU_DEP_2)
	v_mul_lo_u32 v1, v1, s21
	v_mul_lo_u32 v6, v6, s23
	s_delay_alu instid0(VALU_DEP_1) | instskip(NEXT) | instid1(VALU_DEP_1)
	v_sub_nc_u32_e32 v1, v1, v6
	v_cmp_lt_u32_e64 s0, s39, v1
	s_and_b32 s40, s0, exec_lo
.LBB969_11:
	s_or_b32 exec_lo, exec_lo, s1
	v_dual_add_nc_u32 v1, s17, v27 :: v_dual_add_nc_u32 v6, s19, v27
	s_mov_b32 s3, exec_lo
	s_delay_alu instid0(VALU_DEP_1) | instskip(NEXT) | instid1(VALU_DEP_2)
	v_mul_lo_u32 v1, v1, s16
	v_mul_lo_u32 v6, v6, s18
	s_delay_alu instid0(VALU_DEP_1) | instskip(NEXT) | instid1(VALU_DEP_1)
	v_sub_nc_u32_e32 v1, v1, v6
	v_cmp_lt_u32_e64 s0, s20, v1
	v_cmpx_ge_u32_e64 s20, v1
	s_cbranch_execz .LBB969_13
; %bb.12:
	v_dual_add_nc_u32 v1, s22, v27 :: v_dual_add_nc_u32 v6, s38, v27
	s_delay_alu instid0(VALU_DEP_1) | instskip(NEXT) | instid1(VALU_DEP_2)
	v_mul_lo_u32 v1, v1, s21
	v_mul_lo_u32 v6, v6, s23
	s_delay_alu instid0(VALU_DEP_1) | instskip(NEXT) | instid1(VALU_DEP_1)
	v_sub_nc_u32_e32 v1, v1, v6
	v_cmp_lt_u32_e64 s1, s39, v1
	s_and_b32 s41, s1, exec_lo
.LBB969_13:
	s_or_b32 exec_lo, exec_lo, s3
	v_dual_add_nc_u32 v1, s17, v24 :: v_dual_add_nc_u32 v6, s19, v24
	s_mov_b32 s43, 0
	s_mov_b32 s42, 0
	s_mov_b32 s4, exec_lo
	s_delay_alu instid0(VALU_DEP_1) | instskip(SKIP_1) | instid1(VALU_DEP_1)
	v_mul_lo_u32 v1, v1, s16
	v_mul_lo_u32 v6, v6, s18
	v_sub_nc_u32_e32 v1, v1, v6
	s_delay_alu instid0(VALU_DEP_1)
	v_cmp_lt_u32_e64 s1, s20, v1
	v_cmpx_ge_u32_e64 s20, v1
	s_cbranch_execz .LBB969_15
; %bb.14:
	v_dual_add_nc_u32 v1, s22, v24 :: v_dual_add_nc_u32 v6, s38, v24
	s_delay_alu instid0(VALU_DEP_1) | instskip(NEXT) | instid1(VALU_DEP_2)
	v_mul_lo_u32 v1, v1, s21
	v_mul_lo_u32 v6, v6, s23
	s_delay_alu instid0(VALU_DEP_1) | instskip(NEXT) | instid1(VALU_DEP_1)
	v_sub_nc_u32_e32 v1, v1, v6
	v_cmp_lt_u32_e64 s3, s39, v1
	s_and_b32 s42, s3, exec_lo
.LBB969_15:
	s_or_b32 exec_lo, exec_lo, s4
	v_dual_add_nc_u32 v1, s17, v25 :: v_dual_add_nc_u32 v6, s19, v25
	s_mov_b32 s5, exec_lo
	s_delay_alu instid0(VALU_DEP_1) | instskip(NEXT) | instid1(VALU_DEP_2)
	v_mul_lo_u32 v1, v1, s16
	v_mul_lo_u32 v6, v6, s18
	s_delay_alu instid0(VALU_DEP_1) | instskip(NEXT) | instid1(VALU_DEP_1)
	v_sub_nc_u32_e32 v1, v1, v6
	v_cmp_lt_u32_e64 s3, s20, v1
	v_cmpx_ge_u32_e64 s20, v1
	s_cbranch_execz .LBB969_17
; %bb.16:
	v_dual_add_nc_u32 v1, s22, v25 :: v_dual_add_nc_u32 v6, s38, v25
	s_delay_alu instid0(VALU_DEP_1) | instskip(NEXT) | instid1(VALU_DEP_2)
	v_mul_lo_u32 v1, v1, s21
	v_mul_lo_u32 v6, v6, s23
	s_delay_alu instid0(VALU_DEP_1) | instskip(NEXT) | instid1(VALU_DEP_1)
	v_sub_nc_u32_e32 v1, v1, v6
	v_cmp_lt_u32_e64 s4, s39, v1
	s_and_b32 s43, s4, exec_lo
.LBB969_17:
	s_or_b32 exec_lo, exec_lo, s5
	v_dual_add_nc_u32 v1, s17, v22 :: v_dual_add_nc_u32 v6, s19, v22
	s_mov_b32 s45, 0
	s_mov_b32 s44, 0
	s_mov_b32 s6, exec_lo
	s_delay_alu instid0(VALU_DEP_1) | instskip(SKIP_1) | instid1(VALU_DEP_1)
	v_mul_lo_u32 v1, v1, s16
	v_mul_lo_u32 v6, v6, s18
	v_sub_nc_u32_e32 v1, v1, v6
	s_delay_alu instid0(VALU_DEP_1)
	v_cmp_lt_u32_e64 s4, s20, v1
	;; [unrolled: 44-line block ×6, first 2 shown]
	v_cmpx_ge_u32_e64 s20, v1
	s_cbranch_execz .LBB969_35
; %bb.34:
	v_dual_add_nc_u32 v1, s22, v34 :: v_dual_add_nc_u32 v6, s38, v34
	s_delay_alu instid0(VALU_DEP_1) | instskip(NEXT) | instid1(VALU_DEP_2)
	v_mul_lo_u32 v1, v1, s21
	v_mul_lo_u32 v6, v6, s23
	s_delay_alu instid0(VALU_DEP_1) | instskip(NEXT) | instid1(VALU_DEP_1)
	v_sub_nc_u32_e32 v1, v1, v6
	v_cmp_lt_u32_e64 s13, s39, v1
	s_and_b32 s53, s13, exec_lo
.LBB969_35:
	s_or_b32 exec_lo, exec_lo, s54
	v_cndmask_b32_e64 v6, 0, 1, s0
	v_cndmask_b32_e64 v8, 0, 1, s3
	v_cndmask_b32_e64 v1, 0, 1, vcc_lo
	v_cndmask_b32_e64 v7, 0, 1, s1
	v_cndmask_b32_e64 v10, 0, 1, s5
	v_lshlrev_b16 v6, 8, v6
	v_lshlrev_b16 v8, 8, v8
	v_cndmask_b32_e64 v12, 0, 1, s7
	v_cndmask_b32_e64 v28, 0, 1, s9
	;; [unrolled: 1-line block ×3, first 2 shown]
	v_or_b32_e32 v1, v1, v6
	v_or_b32_e32 v6, v7, v8
	v_cndmask_b32_e64 v8, 0, 1, s42
	v_cndmask_b32_e64 v9, 0, 1, s4
	;; [unrolled: 1-line block ×4, first 2 shown]
	v_lshlrev_b32_e32 v6, 16, v6
	v_and_b32_e32 v1, 0xffff, v1
	v_cndmask_b32_e64 v38, 0, 1, s46
	v_cndmask_b32_e64 v41, 0, 1, s44
	;; [unrolled: 1-line block ×4, first 2 shown]
	v_or_b32_e32 v36, v1, v6
	v_lshlrev_b16 v1, 8, v10
	v_lshlrev_b16 v6, 8, v12
	;; [unrolled: 1-line block ×5, first 2 shown]
	v_cndmask_b32_e64 v11, 0, 1, s6
	v_cndmask_b32_e64 v30, 0, 1, s52
	;; [unrolled: 1-line block ×6, first 2 shown]
	v_lshlrev_b16 v28, 8, v44
	v_or_b32_e32 v8, v42, v8
	v_or_b32_e32 v1, v9, v1
	;; [unrolled: 1-line block ×4, first 2 shown]
	v_lshlrev_b16 v12, 8, v41
	v_lshlrev_b16 v13, 8, v38
	v_cndmask_b32_e64 v32, 0, 1, s50
	v_cndmask_b32_e64 v37, 0, 1, s47
	v_lshlrev_b16 v29, 8, v30
	v_or_b32_e32 v7, v7, v12
	v_or_b32_e32 v12, v40, v13
	;; [unrolled: 1-line block ×4, first 2 shown]
	v_lshlrev_b16 v28, 8, v33
	v_dual_lshlrev_b32 v10, 16, v10 :: v_dual_lshlrev_b32 v8, 16, v8
	v_and_b32_e32 v1, 0xffff, v1
	s_delay_alu instid0(VALU_DEP_4) | instskip(NEXT) | instid1(VALU_DEP_4)
	v_and_b32_e32 v11, 0xffff, v11
	v_or_b32_e32 v13, v37, v28
	v_or_b32_e32 v28, v32, v29
	v_and_b32_e32 v7, 0xffff, v7
	v_dual_lshlrev_b32 v12, 16, v12 :: v_dual_lshlrev_b32 v6, 16, v6
	s_delay_alu instid0(VALU_DEP_4) | instskip(NEXT) | instid1(VALU_DEP_4)
	v_and_b32_e32 v13, 0xffff, v13
	v_lshlrev_b32_e32 v28, 16, v28
	v_and_b32_e32 v9, 0xffff, v9
	v_cndmask_b32_e64 v39, 0, 1, s51
	v_cndmask_b32_e64 v43, 0, 1, s53
	v_or_b32_e32 v38, v1, v6
	v_or_b32_e32 v42, v11, v8
	;; [unrolled: 1-line block ×5, first 2 shown]
	s_and_b32 vcc_lo, exec_lo, s48
	s_add_co_i32 s5, s33, 0xd00
	s_cbranch_vccnz .LBB969_37
	s_branch .LBB969_114
.LBB969_36:
                                        ; implicit-def: $vgpr43
                                        ; implicit-def: $vgpr39
                                        ; implicit-def: $vgpr40
                                        ; implicit-def: $vgpr37
                                        ; implicit-def: $vgpr42
                                        ; implicit-def: $vgpr41
                                        ; implicit-def: $vgpr38
                                        ; implicit-def: $vgpr36
	s_add_co_i32 s5, s33, 0xd00
	s_cbranch_execz .LBB969_114
.LBB969_37:
	v_dual_mov_b32 v6, 0 :: v_dual_mov_b32 v1, 0
	s_mov_b32 s1, exec_lo
	v_cmpx_gt_u32_e64 s5, v15
	s_cbranch_execz .LBB969_41
; %bb.38:
	v_dual_add_nc_u32 v1, s17, v26 :: v_dual_add_nc_u32 v6, s19, v26
	s_mov_b32 s4, 0
	s_mov_b32 s3, exec_lo
	s_delay_alu instid0(VALU_DEP_1) | instskip(NEXT) | instid1(VALU_DEP_2)
	v_mul_lo_u32 v1, v1, s16
	v_mul_lo_u32 v6, v6, s18
	s_delay_alu instid0(VALU_DEP_1) | instskip(NEXT) | instid1(VALU_DEP_1)
	v_sub_nc_u32_e32 v1, v1, v6
	v_cmp_lt_u32_e32 vcc_lo, s20, v1
	v_cmpx_ge_u32_e64 s20, v1
	s_cbranch_execz .LBB969_40
; %bb.39:
	v_dual_add_nc_u32 v1, s22, v26 :: v_dual_add_nc_u32 v6, s38, v26
	s_delay_alu instid0(VALU_DEP_1) | instskip(NEXT) | instid1(VALU_DEP_2)
	v_mul_lo_u32 v1, v1, s21
	v_mul_lo_u32 v6, v6, s23
	s_delay_alu instid0(VALU_DEP_1) | instskip(NEXT) | instid1(VALU_DEP_1)
	v_sub_nc_u32_e32 v1, v1, v6
	v_cmp_lt_u32_e64 s0, s39, v1
	s_and_b32 s4, s0, exec_lo
.LBB969_40:
	s_or_b32 exec_lo, exec_lo, s3
	v_cndmask_b32_e64 v6, 0, 1, s4
	v_cndmask_b32_e64 v1, 0, 1, vcc_lo
.LBB969_41:
	s_or_b32 exec_lo, exec_lo, s1
	s_delay_alu instid0(VALU_DEP_2) | instskip(SKIP_1) | instid1(VALU_DEP_2)
	v_lshlrev_b16 v6, 8, v6
	v_lshlrev_b16 v13, 8, 0
                                        ; implicit-def: $vgpr9
                                        ; implicit-def: $vgpr11
                                        ; implicit-def: $vgpr8
                                        ; implicit-def: $vgpr12
	v_and_b32_e32 v10, 0xffff, v6
	v_add_nc_u32_e32 v7, 1, v15
                                        ; implicit-def: $vgpr6
	s_delay_alu instid0(VALU_DEP_2) | instskip(NEXT) | instid1(VALU_DEP_2)
	v_lshrrev_b32_e32 v28, 8, v10
	v_cmp_le_u32_e32 vcc_lo, s5, v7
                                        ; implicit-def: $vgpr7
	s_and_saveexec_b32 s0, vcc_lo
	s_delay_alu instid0(SALU_CYCLE_1)
	s_xor_b32 s0, exec_lo, s0
	s_cbranch_execz .LBB969_43
; %bb.42:
	v_lshlrev_b16 v6, 8, v28
	v_bitop3_b16 v7, 0, v13, 0xff bitop3:0xec
	v_and_b32_e32 v12, 0xff, v1
                                        ; implicit-def: $vgpr1
                                        ; implicit-def: $vgpr13
                                        ; implicit-def: $vgpr28
	v_mov_b32_e32 v9, 0
	s_delay_alu instid0(VALU_DEP_4) | instskip(SKIP_3) | instid1(VALU_DEP_4)
	v_bitop3_b16 v10, v10, v6, 0xff bitop3:0xec
	v_mov_b32_e32 v6, 0
	v_and_b32_e32 v8, 0xffff, v7
	v_and_b32_e32 v7, 0xffff, v7
	;; [unrolled: 1-line block ×3, first 2 shown]
                                        ; implicit-def: $vgpr10
.LBB969_43:
	s_and_not1_saveexec_b32 s1, s0
	s_cbranch_execz .LBB969_47
; %bb.44:
	v_dual_add_nc_u32 v6, s17, v27 :: v_dual_add_nc_u32 v7, s19, v27
	s_mov_b32 s3, 0
	s_mov_b32 s4, exec_lo
	s_delay_alu instid0(VALU_DEP_1) | instskip(NEXT) | instid1(VALU_DEP_2)
	v_mul_lo_u32 v6, v6, s16
	v_mul_lo_u32 v7, v7, s18
	s_delay_alu instid0(VALU_DEP_1) | instskip(NEXT) | instid1(VALU_DEP_1)
	v_sub_nc_u32_e32 v6, v6, v7
	v_cmp_lt_u32_e32 vcc_lo, s20, v6
	v_cmpx_ge_u32_e64 s20, v6
	s_cbranch_execz .LBB969_46
; %bb.45:
	v_dual_add_nc_u32 v6, s22, v27 :: v_dual_add_nc_u32 v7, s38, v27
	s_delay_alu instid0(VALU_DEP_1) | instskip(NEXT) | instid1(VALU_DEP_2)
	v_mul_lo_u32 v6, v6, s21
	v_mul_lo_u32 v7, v7, s23
	s_delay_alu instid0(VALU_DEP_1) | instskip(NEXT) | instid1(VALU_DEP_1)
	v_sub_nc_u32_e32 v6, v6, v7
	v_cmp_lt_u32_e64 s0, s39, v6
	s_and_b32 s3, s0, exec_lo
.LBB969_46:
	s_or_b32 exec_lo, exec_lo, s4
	v_cndmask_b32_e64 v6, 0, 1, vcc_lo
	v_lshlrev_b16 v7, 8, v28
	v_cndmask_b32_e64 v11, 0, 1, s3
	v_mov_b32_e32 v9, 0
	s_delay_alu instid0(VALU_DEP_4) | instskip(NEXT) | instid1(VALU_DEP_4)
	v_lshlrev_b16 v6, 8, v6
	v_bitop3_b16 v7, v10, v7, 0xff bitop3:0xec
	v_bitop3_b16 v10, 0, v13, 0xff bitop3:0xec
	s_delay_alu instid0(VALU_DEP_3) | instskip(NEXT) | instid1(VALU_DEP_3)
	v_bitop3_b16 v1, v1, v6, 0xff bitop3:0xec
	v_and_b32_e32 v7, 0xffff, v7
	v_mov_b32_e32 v6, 0
	s_delay_alu instid0(VALU_DEP_4) | instskip(NEXT) | instid1(VALU_DEP_4)
	v_and_b32_e32 v8, 0xffff, v10
	v_and_b32_e32 v12, 0xffff, v1
	s_delay_alu instid0(VALU_DEP_4)
	v_lshl_or_b32 v11, v11, 16, v7
	v_and_b32_e32 v7, 0xffff, v10
.LBB969_47:
	s_or_b32 exec_lo, exec_lo, s1
	s_delay_alu instid0(VALU_DEP_3) | instskip(NEXT) | instid1(VALU_DEP_1)
	v_dual_add_nc_u32 v1, 2, v15 :: v_dual_lshrrev_b32 v13, 8, v12
                                        ; implicit-def: $vgpr10
	v_cmp_le_u32_e32 vcc_lo, s5, v1
                                        ; implicit-def: $vgpr1
	s_and_saveexec_b32 s0, vcc_lo
	s_delay_alu instid0(SALU_CYCLE_1)
	s_xor_b32 s0, exec_lo, s0
	s_cbranch_execz .LBB969_49
; %bb.48:
	v_lshlrev_b16 v1, 8, v13
	v_and_b32_e32 v13, 0xff0000, v11
	v_perm_b32 v8, v8, v8, 0x3060504
	s_delay_alu instid0(VALU_DEP_3) | instskip(NEXT) | instid1(VALU_DEP_1)
	v_bitop3_b16 v1, v12, v1, 0xff bitop3:0xec
	v_and_b32_e32 v1, 0xffff, v1
	s_delay_alu instid0(VALU_DEP_1)
	v_and_or_b32 v10, 0xff000000, v12, v1
	v_perm_b32 v1, v11, v13, 0x3020504
                                        ; implicit-def: $vgpr13
                                        ; implicit-def: $vgpr12
                                        ; implicit-def: $vgpr11
.LBB969_49:
	s_and_not1_saveexec_b32 s1, s0
	s_cbranch_execz .LBB969_53
; %bb.50:
	v_dual_add_nc_u32 v1, s17, v24 :: v_dual_add_nc_u32 v10, s19, v24
	s_mov_b32 s3, 0
	s_mov_b32 s4, exec_lo
	s_delay_alu instid0(VALU_DEP_1) | instskip(NEXT) | instid1(VALU_DEP_2)
	v_mul_lo_u32 v1, v1, s16
	v_mul_lo_u32 v10, v10, s18
	s_delay_alu instid0(VALU_DEP_1) | instskip(NEXT) | instid1(VALU_DEP_1)
	v_sub_nc_u32_e32 v1, v1, v10
	v_cmp_lt_u32_e32 vcc_lo, s20, v1
	v_cmpx_ge_u32_e64 s20, v1
	s_cbranch_execz .LBB969_52
; %bb.51:
	v_dual_add_nc_u32 v1, s22, v24 :: v_dual_add_nc_u32 v10, s38, v24
	s_delay_alu instid0(VALU_DEP_1) | instskip(NEXT) | instid1(VALU_DEP_2)
	v_mul_lo_u32 v1, v1, s21
	v_mul_lo_u32 v10, v10, s23
	s_delay_alu instid0(VALU_DEP_1) | instskip(NEXT) | instid1(VALU_DEP_1)
	v_sub_nc_u32_e32 v1, v1, v10
	v_cmp_lt_u32_e64 s0, s39, v1
	s_and_b32 s3, s0, exec_lo
.LBB969_52:
	s_or_b32 exec_lo, exec_lo, s4
	v_dual_lshrrev_b32 v1, 24, v12 :: v_dual_lshrrev_b32 v29, 8, v11
	v_cndmask_b32_e64 v10, 0, 1, s3
	v_cndmask_b32_e64 v28, 0, 1, vcc_lo
	v_lshlrev_b16 v13, 8, v13
	s_delay_alu instid0(VALU_DEP_4)
	v_lshlrev_b16 v1, 8, v1
	v_lshrrev_b32_e32 v30, 16, v11
	v_lshlrev_b16 v10, 8, v10
	v_lshlrev_b16 v29, 8, v29
	v_bitop3_b16 v12, v12, v13, 0xff bitop3:0xec
	v_or_b32_e32 v1, v28, v1
	s_delay_alu instid0(VALU_DEP_4) | instskip(NEXT) | instid1(VALU_DEP_4)
	v_bitop3_b16 v10, v30, v10, 0xff bitop3:0xec
	v_bitop3_b16 v11, v11, v29, 0xff bitop3:0xec
	s_delay_alu instid0(VALU_DEP_4) | instskip(NEXT) | instid1(VALU_DEP_3)
	v_and_b32_e32 v12, 0xffff, v12
	v_dual_lshlrev_b32 v1, 16, v1 :: v_dual_lshlrev_b32 v13, 16, v10
	s_delay_alu instid0(VALU_DEP_3) | instskip(NEXT) | instid1(VALU_DEP_2)
	v_and_b32_e32 v11, 0xffff, v11
	v_or_b32_e32 v10, v12, v1
	s_delay_alu instid0(VALU_DEP_2)
	v_or_b32_e32 v1, v11, v13
.LBB969_53:
	s_or_b32 exec_lo, exec_lo, s1
	v_dual_add_nc_u32 v12, 3, v15 :: v_dual_lshrrev_b32 v13, 24, v9
	v_lshrrev_b32_e32 v11, 16, v9
                                        ; implicit-def: $vgpr36
	s_delay_alu instid0(VALU_DEP_2) | instskip(SKIP_2) | instid1(SALU_CYCLE_1)
	v_cmp_le_u32_e32 vcc_lo, s5, v12
	v_lshrrev_b32_e32 v12, 8, v9
                                        ; implicit-def: $vgpr9
	s_and_saveexec_b32 s0, vcc_lo
	s_xor_b32 s0, exec_lo, s0
	s_cbranch_execz .LBB969_55
; %bb.54:
	v_lshlrev_b16 v9, 8, v13
	v_lshlrev_b16 v12, 8, v12
	v_perm_b32 v8, v8, v8, 0x3060504
	v_perm_b32 v7, v7, v7, 0x3060504
                                        ; implicit-def: $vgpr13
	s_delay_alu instid0(VALU_DEP_4) | instskip(SKIP_2) | instid1(VALU_DEP_3)
	v_bitop3_b16 v9, v11, v9, 0xff bitop3:0xec
	v_and_b32_e32 v11, 0xff0000, v10
	v_and_b32_e32 v12, 0xffff, v12
	v_lshlrev_b32_e32 v9, 16, v9
	s_delay_alu instid0(VALU_DEP_3) | instskip(NEXT) | instid1(VALU_DEP_2)
	v_perm_b32 v36, v10, v11, 0x3020504
                                        ; implicit-def: $vgpr10
                                        ; implicit-def: $vgpr11
	v_or_b32_e32 v9, v12, v9
                                        ; implicit-def: $vgpr12
.LBB969_55:
	s_and_not1_saveexec_b32 s1, s0
	s_cbranch_execz .LBB969_59
; %bb.56:
	v_dual_add_nc_u32 v9, s17, v25 :: v_dual_add_nc_u32 v28, s19, v25
	s_mov_b32 s3, 0
	s_mov_b32 s4, exec_lo
	s_delay_alu instid0(VALU_DEP_1) | instskip(NEXT) | instid1(VALU_DEP_2)
	v_mul_lo_u32 v9, v9, s16
	v_mul_lo_u32 v28, v28, s18
	s_delay_alu instid0(VALU_DEP_1) | instskip(NEXT) | instid1(VALU_DEP_1)
	v_sub_nc_u32_e32 v9, v9, v28
	v_cmp_lt_u32_e32 vcc_lo, s20, v9
	v_cmpx_ge_u32_e64 s20, v9
	s_cbranch_execz .LBB969_58
; %bb.57:
	v_dual_add_nc_u32 v9, s22, v25 :: v_dual_add_nc_u32 v28, s38, v25
	s_delay_alu instid0(VALU_DEP_1) | instskip(NEXT) | instid1(VALU_DEP_2)
	v_mul_lo_u32 v9, v9, s21
	v_mul_lo_u32 v28, v28, s23
	s_delay_alu instid0(VALU_DEP_1) | instskip(NEXT) | instid1(VALU_DEP_1)
	v_sub_nc_u32_e32 v9, v9, v28
	v_cmp_lt_u32_e64 s0, s39, v9
	s_and_b32 s3, s0, exec_lo
.LBB969_58:
	s_or_b32 exec_lo, exec_lo, s4
	v_cndmask_b32_e64 v9, 0, 1, vcc_lo
	v_dual_lshrrev_b32 v28, 8, v10 :: v_dual_lshrrev_b32 v30, 16, v10
	v_cndmask_b32_e64 v29, 0, 1, s3
	v_lshlrev_b16 v13, 8, v13
	s_delay_alu instid0(VALU_DEP_4) | instskip(NEXT) | instid1(VALU_DEP_4)
	v_lshlrev_b16 v9, 8, v9
	v_lshlrev_b16 v28, 8, v28
	;; [unrolled: 1-line block ×3, first 2 shown]
	s_delay_alu instid0(VALU_DEP_4) | instskip(NEXT) | instid1(VALU_DEP_4)
	v_bitop3_b16 v11, v11, v13, 0xff bitop3:0xec
	v_bitop3_b16 v9, v30, v9, 0xff bitop3:0xec
	s_delay_alu instid0(VALU_DEP_4) | instskip(NEXT) | instid1(VALU_DEP_3)
	v_bitop3_b16 v10, v10, v28, 0xff bitop3:0xec
	v_dual_lshlrev_b32 v11, 16, v11 :: v_dual_bitop2_b32 v12, v29, v12 bitop3:0x54
	s_delay_alu instid0(VALU_DEP_3) | instskip(NEXT) | instid1(VALU_DEP_3)
	v_lshlrev_b32_e32 v9, 16, v9
	v_and_b32_e32 v10, 0xffff, v10
	s_delay_alu instid0(VALU_DEP_3) | instskip(NEXT) | instid1(VALU_DEP_2)
	v_and_b32_e32 v12, 0xffff, v12
	v_or_b32_e32 v36, v10, v9
	s_delay_alu instid0(VALU_DEP_2)
	v_or_b32_e32 v9, v12, v11
.LBB969_59:
	s_or_b32 exec_lo, exec_lo, s1
	v_dual_add_nc_u32 v10, 4, v15 :: v_dual_lshrrev_b32 v28, 8, v8
	v_dual_lshrrev_b32 v11, 16, v8 :: v_dual_lshrrev_b32 v29, 24, v8
	s_delay_alu instid0(VALU_DEP_3) | instskip(NEXT) | instid1(VALU_DEP_3)
	v_dual_lshrrev_b32 v13, 24, v9 :: v_dual_lshrrev_b32 v12, 16, v9
	v_cmp_le_u32_e32 vcc_lo, s5, v10
                                        ; implicit-def: $vgpr8
                                        ; implicit-def: $vgpr10
	s_and_saveexec_b32 s0, vcc_lo
	s_delay_alu instid0(SALU_CYCLE_1)
	s_xor_b32 s0, exec_lo, s0
	s_cbranch_execz .LBB969_61
; %bb.60:
	v_lshlrev_b16 v8, 8, v29
	v_lshlrev_b16 v10, 8, v28
	v_lshlrev_b16 v13, 8, v13
	v_perm_b32 v7, v7, v7, 0x3060504
                                        ; implicit-def: $vgpr28
                                        ; implicit-def: $vgpr29
	s_delay_alu instid0(VALU_DEP_4) | instskip(NEXT) | instid1(VALU_DEP_4)
	v_bitop3_b16 v8, v11, v8, 0xff bitop3:0xec
	v_and_b32_e32 v10, 0xffff, v10
	s_delay_alu instid0(VALU_DEP_4) | instskip(NEXT) | instid1(VALU_DEP_3)
	v_bitop3_b16 v11, v12, v13, 0xff bitop3:0xec
                                        ; implicit-def: $vgpr13
	v_lshlrev_b32_e32 v12, 16, v8
	s_delay_alu instid0(VALU_DEP_2) | instskip(NEXT) | instid1(VALU_DEP_2)
	v_perm_b32 v8, v11, v9, 0x5040c00
                                        ; implicit-def: $vgpr9
                                        ; implicit-def: $vgpr11
	v_or_b32_e32 v10, v10, v12
                                        ; implicit-def: $vgpr12
.LBB969_61:
	s_and_not1_saveexec_b32 s1, s0
	s_cbranch_execz .LBB969_65
; %bb.62:
	v_dual_add_nc_u32 v8, s17, v22 :: v_dual_add_nc_u32 v10, s19, v22
	s_mov_b32 s3, 0
	s_mov_b32 s4, exec_lo
	s_delay_alu instid0(VALU_DEP_1) | instskip(NEXT) | instid1(VALU_DEP_2)
	v_mul_lo_u32 v8, v8, s16
	v_mul_lo_u32 v10, v10, s18
	s_delay_alu instid0(VALU_DEP_1) | instskip(NEXT) | instid1(VALU_DEP_1)
	v_sub_nc_u32_e32 v8, v8, v10
	v_cmp_lt_u32_e32 vcc_lo, s20, v8
	v_cmpx_ge_u32_e64 s20, v8
	s_cbranch_execz .LBB969_64
; %bb.63:
	v_dual_add_nc_u32 v8, s22, v22 :: v_dual_add_nc_u32 v10, s38, v22
	s_delay_alu instid0(VALU_DEP_1) | instskip(NEXT) | instid1(VALU_DEP_2)
	v_mul_lo_u32 v8, v8, s21
	v_mul_lo_u32 v10, v10, s23
	s_delay_alu instid0(VALU_DEP_1) | instskip(NEXT) | instid1(VALU_DEP_1)
	v_sub_nc_u32_e32 v8, v8, v10
	v_cmp_lt_u32_e64 s0, s39, v8
	s_and_b32 s3, s0, exec_lo
.LBB969_64:
	s_or_b32 exec_lo, exec_lo, s4
	v_cndmask_b32_e64 v8, 0, 1, s3
	v_cndmask_b32_e64 v10, 0, 1, vcc_lo
	v_lshlrev_b16 v29, 8, v29
	v_lshlrev_b16 v28, 8, v28
	v_lshlrev_b16 v13, 8, v13
	v_lshlrev_b16 v8, 8, v8
	s_delay_alu instid0(VALU_DEP_4) | instskip(NEXT) | instid1(VALU_DEP_4)
	v_bitop3_b16 v11, v11, v29, 0xff bitop3:0xec
	v_or_b32_e32 v10, v10, v28
	s_delay_alu instid0(VALU_DEP_4) | instskip(NEXT) | instid1(VALU_DEP_4)
	v_bitop3_b16 v12, v12, v13, 0xff bitop3:0xec
	v_bitop3_b16 v8, v9, v8, 0xff bitop3:0xec
	s_delay_alu instid0(VALU_DEP_4) | instskip(NEXT) | instid1(VALU_DEP_4)
	v_lshlrev_b32_e32 v9, 16, v11
	v_and_b32_e32 v10, 0xffff, v10
	s_delay_alu instid0(VALU_DEP_4) | instskip(NEXT) | instid1(VALU_DEP_4)
	v_lshlrev_b32_e32 v11, 16, v12
	v_and_b32_e32 v8, 0xffff, v8
	s_delay_alu instid0(VALU_DEP_3) | instskip(NEXT) | instid1(VALU_DEP_2)
	v_or_b32_e32 v10, v10, v9
	v_or_b32_e32 v8, v8, v11
.LBB969_65:
	s_or_b32 exec_lo, exec_lo, s1
	s_delay_alu instid0(VALU_DEP_1) | instskip(NEXT) | instid1(VALU_DEP_2)
	v_dual_add_nc_u32 v9, 5, v15 :: v_dual_lshrrev_b32 v12, 16, v10
	v_dual_lshrrev_b32 v13, 24, v10 :: v_dual_lshrrev_b32 v28, 8, v8
                                        ; implicit-def: $vgpr11
	s_delay_alu instid0(VALU_DEP_2) | instskip(SKIP_1) | instid1(SALU_CYCLE_1)
	v_cmp_le_u32_e32 vcc_lo, s5, v9
                                        ; implicit-def: $vgpr9
	s_and_saveexec_b32 s0, vcc_lo
	s_xor_b32 s0, exec_lo, s0
	s_cbranch_execz .LBB969_67
; %bb.66:
	v_lshlrev_b16 v9, 8, v28
	v_lshlrev_b16 v11, 8, v13
	v_perm_b32 v7, v7, v7, 0x3060504
                                        ; implicit-def: $vgpr13
                                        ; implicit-def: $vgpr28
	s_delay_alu instid0(VALU_DEP_3) | instskip(NEXT) | instid1(VALU_DEP_3)
	v_bitop3_b16 v9, v8, v9, 0xff bitop3:0xec
	v_bitop3_b16 v11, v12, v11, 0xff bitop3:0xec
                                        ; implicit-def: $vgpr12
	s_delay_alu instid0(VALU_DEP_2) | instskip(NEXT) | instid1(VALU_DEP_2)
	v_and_b32_e32 v9, 0xffff, v9
	v_perm_b32 v11, v11, v10, 0x5040c00
                                        ; implicit-def: $vgpr10
	s_delay_alu instid0(VALU_DEP_2)
	v_and_or_b32 v9, 0xff000000, v8, v9
                                        ; implicit-def: $vgpr8
.LBB969_67:
	s_and_not1_saveexec_b32 s1, s0
	s_cbranch_execz .LBB969_71
; %bb.68:
	v_dual_add_nc_u32 v9, s17, v23 :: v_dual_add_nc_u32 v11, s19, v23
	s_mov_b32 s3, 0
	s_mov_b32 s4, exec_lo
	s_delay_alu instid0(VALU_DEP_1) | instskip(NEXT) | instid1(VALU_DEP_2)
	v_mul_lo_u32 v9, v9, s16
	v_mul_lo_u32 v11, v11, s18
	s_delay_alu instid0(VALU_DEP_1) | instskip(NEXT) | instid1(VALU_DEP_1)
	v_sub_nc_u32_e32 v9, v9, v11
	v_cmp_lt_u32_e32 vcc_lo, s20, v9
	v_cmpx_ge_u32_e64 s20, v9
	s_cbranch_execz .LBB969_70
; %bb.69:
	v_dual_add_nc_u32 v9, s22, v23 :: v_dual_add_nc_u32 v11, s38, v23
	s_delay_alu instid0(VALU_DEP_1) | instskip(NEXT) | instid1(VALU_DEP_2)
	v_mul_lo_u32 v9, v9, s21
	v_mul_lo_u32 v11, v11, s23
	s_delay_alu instid0(VALU_DEP_1) | instskip(NEXT) | instid1(VALU_DEP_1)
	v_sub_nc_u32_e32 v9, v9, v11
	v_cmp_lt_u32_e64 s0, s39, v9
	s_and_b32 s3, s0, exec_lo
.LBB969_70:
	s_or_b32 exec_lo, exec_lo, s4
	v_cndmask_b32_e64 v9, 0, 1, vcc_lo
	v_lshrrev_b32_e32 v11, 24, v8
	v_cndmask_b32_e64 v29, 0, 1, s3
	v_lshlrev_b16 v13, 8, v13
	v_lshlrev_b16 v28, 8, v28
	;; [unrolled: 1-line block ×4, first 2 shown]
	s_delay_alu instid0(VALU_DEP_4) | instskip(NEXT) | instid1(VALU_DEP_4)
	v_bitop3_b16 v12, v12, v13, 0xff bitop3:0xec
	v_bitop3_b16 v8, v8, v28, 0xff bitop3:0xec
	s_delay_alu instid0(VALU_DEP_4) | instskip(NEXT) | instid1(VALU_DEP_3)
	v_bitop3_b16 v9, v10, v9, 0xff bitop3:0xec
	v_dual_lshlrev_b32 v11, 16, v12 :: v_dual_bitop2_b32 v10, v29, v11 bitop3:0x54
	s_delay_alu instid0(VALU_DEP_3) | instskip(NEXT) | instid1(VALU_DEP_3)
	v_and_b32_e32 v8, 0xffff, v8
	v_and_b32_e32 v9, 0xffff, v9
	s_delay_alu instid0(VALU_DEP_1) | instskip(NEXT) | instid1(VALU_DEP_1)
	v_dual_lshlrev_b32 v10, 16, v10 :: v_dual_bitop2_b32 v11, v9, v11 bitop3:0x54
	v_or_b32_e32 v9, v8, v10
.LBB969_71:
	s_or_b32 exec_lo, exec_lo, s1
	v_add_nc_u32_e32 v8, 6, v15
	s_delay_alu instid0(VALU_DEP_3) | instskip(NEXT) | instid1(VALU_DEP_2)
	v_lshrrev_b32_e32 v10, 8, v11
                                        ; implicit-def: $vgpr37
	v_cmp_le_u32_e32 vcc_lo, s5, v8
                                        ; implicit-def: $vgpr8
	s_and_saveexec_b32 s0, vcc_lo
	s_delay_alu instid0(SALU_CYCLE_1)
	s_xor_b32 s0, exec_lo, s0
	s_cbranch_execz .LBB969_73
; %bb.72:
	v_lshlrev_b16 v8, 8, v10
	v_and_b32_e32 v10, 0xff0000, v9
	v_perm_b32 v7, v7, v7, 0x3060504
	s_delay_alu instid0(VALU_DEP_3) | instskip(NEXT) | instid1(VALU_DEP_3)
	v_bitop3_b16 v8, v11, v8, 0xff bitop3:0xec
	v_perm_b32 v37, v9, v10, 0x3020504
                                        ; implicit-def: $vgpr10
                                        ; implicit-def: $vgpr9
	s_delay_alu instid0(VALU_DEP_2) | instskip(NEXT) | instid1(VALU_DEP_1)
	v_and_b32_e32 v8, 0xffff, v8
	v_and_or_b32 v8, 0xff000000, v11, v8
                                        ; implicit-def: $vgpr11
.LBB969_73:
	s_and_not1_saveexec_b32 s1, s0
	s_cbranch_execz .LBB969_77
; %bb.74:
	v_dual_add_nc_u32 v8, s17, v20 :: v_dual_add_nc_u32 v12, s19, v20
	s_mov_b32 s3, 0
	s_mov_b32 s4, exec_lo
	s_delay_alu instid0(VALU_DEP_1) | instskip(NEXT) | instid1(VALU_DEP_2)
	v_mul_lo_u32 v8, v8, s16
	v_mul_lo_u32 v12, v12, s18
	s_delay_alu instid0(VALU_DEP_1) | instskip(NEXT) | instid1(VALU_DEP_1)
	v_sub_nc_u32_e32 v8, v8, v12
	v_cmp_lt_u32_e32 vcc_lo, s20, v8
	v_cmpx_ge_u32_e64 s20, v8
	s_cbranch_execz .LBB969_76
; %bb.75:
	v_dual_add_nc_u32 v8, s22, v20 :: v_dual_add_nc_u32 v12, s38, v20
	s_delay_alu instid0(VALU_DEP_1) | instskip(NEXT) | instid1(VALU_DEP_2)
	v_mul_lo_u32 v8, v8, s21
	v_mul_lo_u32 v12, v12, s23
	s_delay_alu instid0(VALU_DEP_1) | instskip(NEXT) | instid1(VALU_DEP_1)
	v_sub_nc_u32_e32 v8, v8, v12
	v_cmp_lt_u32_e64 s0, s39, v8
	s_and_b32 s3, s0, exec_lo
.LBB969_76:
	s_or_b32 exec_lo, exec_lo, s4
	v_dual_lshrrev_b32 v8, 24, v11 :: v_dual_lshrrev_b32 v28, 8, v9
	v_cndmask_b32_e64 v12, 0, 1, s3
	v_cndmask_b32_e64 v13, 0, 1, vcc_lo
	v_lshlrev_b16 v10, 8, v10
	s_delay_alu instid0(VALU_DEP_4)
	v_lshlrev_b16 v8, 8, v8
	v_lshrrev_b32_e32 v29, 16, v9
	v_lshlrev_b16 v12, 8, v12
	v_lshlrev_b16 v28, 8, v28
	v_bitop3_b16 v10, v11, v10, 0xff bitop3:0xec
	v_or_b32_e32 v8, v13, v8
	s_delay_alu instid0(VALU_DEP_4) | instskip(NEXT) | instid1(VALU_DEP_4)
	v_bitop3_b16 v11, v29, v12, 0xff bitop3:0xec
	v_bitop3_b16 v9, v9, v28, 0xff bitop3:0xec
	s_delay_alu instid0(VALU_DEP_4) | instskip(NEXT) | instid1(VALU_DEP_3)
	v_and_b32_e32 v10, 0xffff, v10
	v_dual_lshlrev_b32 v8, 16, v8 :: v_dual_lshlrev_b32 v11, 16, v11
	s_delay_alu instid0(VALU_DEP_3) | instskip(NEXT) | instid1(VALU_DEP_2)
	v_and_b32_e32 v9, 0xffff, v9
	v_or_b32_e32 v8, v10, v8
	s_delay_alu instid0(VALU_DEP_2)
	v_or_b32_e32 v37, v9, v11
.LBB969_77:
	s_or_b32 exec_lo, exec_lo, s1
	v_add_nc_u32_e32 v11, 7, v15
	v_dual_lshrrev_b32 v9, 8, v7 :: v_dual_lshrrev_b32 v10, 16, v7
                                        ; implicit-def: $vgpr38
	s_delay_alu instid0(VALU_DEP_2) | instskip(SKIP_2) | instid1(SALU_CYCLE_1)
	v_cmp_le_u32_e32 vcc_lo, s5, v11
	v_lshrrev_b32_e32 v11, 24, v7
                                        ; implicit-def: $vgpr7
	s_and_saveexec_b32 s0, vcc_lo
	s_xor_b32 s0, exec_lo, s0
	s_cbranch_execz .LBB969_79
; %bb.78:
	s_delay_alu instid0(VALU_DEP_1) | instskip(SKIP_1) | instid1(VALU_DEP_2)
	v_lshlrev_b16 v7, 8, v11
	v_lshlrev_b16 v9, 8, v9
                                        ; implicit-def: $vgpr11
	v_bitop3_b16 v7, v10, v7, 0xff bitop3:0xec
	v_and_b32_e32 v10, 0xff0000, v8
	s_delay_alu instid0(VALU_DEP_3) | instskip(NEXT) | instid1(VALU_DEP_3)
	v_and_b32_e32 v9, 0xffff, v9
	v_lshlrev_b32_e32 v7, 16, v7
	s_delay_alu instid0(VALU_DEP_3) | instskip(NEXT) | instid1(VALU_DEP_2)
	v_perm_b32 v38, v8, v10, 0x3020504
                                        ; implicit-def: $vgpr8
                                        ; implicit-def: $vgpr10
	v_or_b32_e32 v7, v9, v7
                                        ; implicit-def: $vgpr9
.LBB969_79:
	s_and_not1_saveexec_b32 s1, s0
	s_cbranch_execz .LBB969_83
; %bb.80:
	v_dual_add_nc_u32 v7, s17, v21 :: v_dual_add_nc_u32 v12, s19, v21
	s_mov_b32 s3, 0
	s_mov_b32 s4, exec_lo
	s_delay_alu instid0(VALU_DEP_1) | instskip(NEXT) | instid1(VALU_DEP_2)
	v_mul_lo_u32 v7, v7, s16
	v_mul_lo_u32 v12, v12, s18
	s_delay_alu instid0(VALU_DEP_1) | instskip(NEXT) | instid1(VALU_DEP_1)
	v_sub_nc_u32_e32 v7, v7, v12
	v_cmp_lt_u32_e32 vcc_lo, s20, v7
	v_cmpx_ge_u32_e64 s20, v7
	s_cbranch_execz .LBB969_82
; %bb.81:
	v_dual_add_nc_u32 v7, s22, v21 :: v_dual_add_nc_u32 v12, s38, v21
	s_delay_alu instid0(VALU_DEP_1) | instskip(NEXT) | instid1(VALU_DEP_2)
	v_mul_lo_u32 v7, v7, s21
	v_mul_lo_u32 v12, v12, s23
	s_delay_alu instid0(VALU_DEP_1) | instskip(NEXT) | instid1(VALU_DEP_1)
	v_sub_nc_u32_e32 v7, v7, v12
	v_cmp_lt_u32_e64 s0, s39, v7
	s_and_b32 s3, s0, exec_lo
.LBB969_82:
	s_or_b32 exec_lo, exec_lo, s4
	v_cndmask_b32_e64 v7, 0, 1, vcc_lo
	v_dual_lshrrev_b32 v12, 8, v8 :: v_dual_lshrrev_b32 v28, 16, v8
	v_cndmask_b32_e64 v13, 0, 1, s3
	v_lshlrev_b16 v11, 8, v11
	s_delay_alu instid0(VALU_DEP_4) | instskip(NEXT) | instid1(VALU_DEP_4)
	v_lshlrev_b16 v7, 8, v7
	v_lshlrev_b16 v12, 8, v12
	;; [unrolled: 1-line block ×3, first 2 shown]
	s_delay_alu instid0(VALU_DEP_4) | instskip(NEXT) | instid1(VALU_DEP_4)
	v_bitop3_b16 v10, v10, v11, 0xff bitop3:0xec
	v_bitop3_b16 v7, v28, v7, 0xff bitop3:0xec
	s_delay_alu instid0(VALU_DEP_4) | instskip(NEXT) | instid1(VALU_DEP_3)
	v_bitop3_b16 v8, v8, v12, 0xff bitop3:0xec
	v_dual_lshlrev_b32 v10, 16, v10 :: v_dual_bitop2_b32 v9, v13, v9 bitop3:0x54
	s_delay_alu instid0(VALU_DEP_3) | instskip(NEXT) | instid1(VALU_DEP_3)
	v_lshlrev_b32_e32 v7, 16, v7
	v_and_b32_e32 v8, 0xffff, v8
	s_delay_alu instid0(VALU_DEP_3) | instskip(NEXT) | instid1(VALU_DEP_2)
	v_and_b32_e32 v9, 0xffff, v9
	v_or_b32_e32 v38, v8, v7
	s_delay_alu instid0(VALU_DEP_2)
	v_or_b32_e32 v7, v9, v10
.LBB969_83:
	s_or_b32 exec_lo, exec_lo, s1
	v_dual_add_nc_u32 v8, 8, v15 :: v_dual_lshrrev_b32 v13, 24, v6
	s_delay_alu instid0(VALU_DEP_2) | instskip(SKIP_1) | instid1(VALU_DEP_3)
	v_dual_lshrrev_b32 v9, 16, v7 :: v_dual_lshrrev_b32 v10, 24, v7
	v_dual_lshrrev_b32 v11, 16, v6 :: v_dual_lshrrev_b32 v12, 8, v6
	v_cmp_le_u32_e32 vcc_lo, s5, v8
                                        ; implicit-def: $vgpr6
                                        ; implicit-def: $vgpr8
	s_and_saveexec_b32 s0, vcc_lo
	s_delay_alu instid0(SALU_CYCLE_1)
	s_xor_b32 s0, exec_lo, s0
	s_cbranch_execz .LBB969_85
; %bb.84:
	v_lshlrev_b16 v6, 8, v13
	v_lshlrev_b16 v8, 8, v12
	;; [unrolled: 1-line block ×3, first 2 shown]
	v_perm_b32 v1, v1, v1, 0x3060504
                                        ; implicit-def: $vgpr13
                                        ; implicit-def: $vgpr12
	s_delay_alu instid0(VALU_DEP_4) | instskip(NEXT) | instid1(VALU_DEP_4)
	v_bitop3_b16 v6, v11, v6, 0xff bitop3:0xec
	v_and_b32_e32 v8, 0xffff, v8
	s_delay_alu instid0(VALU_DEP_4) | instskip(NEXT) | instid1(VALU_DEP_3)
	v_bitop3_b16 v9, v9, v10, 0xff bitop3:0xec
                                        ; implicit-def: $vgpr10
                                        ; implicit-def: $vgpr11
	v_lshlrev_b32_e32 v6, 16, v6
	s_delay_alu instid0(VALU_DEP_1) | instskip(NEXT) | instid1(VALU_DEP_3)
	v_or_b32_e32 v8, v8, v6
	v_perm_b32 v6, v9, v7, 0x5040c00
                                        ; implicit-def: $vgpr7
                                        ; implicit-def: $vgpr9
.LBB969_85:
	s_and_not1_saveexec_b32 s1, s0
	s_cbranch_execz .LBB969_89
; %bb.86:
	v_dual_add_nc_u32 v6, s17, v18 :: v_dual_add_nc_u32 v8, s19, v18
	s_mov_b32 s3, 0
	s_mov_b32 s4, exec_lo
	s_delay_alu instid0(VALU_DEP_1) | instskip(NEXT) | instid1(VALU_DEP_2)
	v_mul_lo_u32 v6, v6, s16
	v_mul_lo_u32 v8, v8, s18
	s_delay_alu instid0(VALU_DEP_1) | instskip(NEXT) | instid1(VALU_DEP_1)
	v_sub_nc_u32_e32 v6, v6, v8
	v_cmp_lt_u32_e32 vcc_lo, s20, v6
	v_cmpx_ge_u32_e64 s20, v6
	s_cbranch_execz .LBB969_88
; %bb.87:
	v_dual_add_nc_u32 v6, s22, v18 :: v_dual_add_nc_u32 v8, s38, v18
	s_delay_alu instid0(VALU_DEP_1) | instskip(NEXT) | instid1(VALU_DEP_2)
	v_mul_lo_u32 v6, v6, s21
	v_mul_lo_u32 v8, v8, s23
	s_delay_alu instid0(VALU_DEP_1) | instskip(NEXT) | instid1(VALU_DEP_1)
	v_sub_nc_u32_e32 v6, v6, v8
	v_cmp_lt_u32_e64 s0, s39, v6
	s_and_b32 s3, s0, exec_lo
.LBB969_88:
	s_or_b32 exec_lo, exec_lo, s4
	v_cndmask_b32_e64 v6, 0, 1, s3
	v_cndmask_b32_e64 v8, 0, 1, vcc_lo
	v_lshlrev_b16 v13, 8, v13
	v_lshlrev_b16 v12, 8, v12
	;; [unrolled: 1-line block ×4, first 2 shown]
	s_delay_alu instid0(VALU_DEP_4) | instskip(NEXT) | instid1(VALU_DEP_4)
	v_bitop3_b16 v11, v11, v13, 0xff bitop3:0xec
	v_or_b32_e32 v8, v8, v12
	s_delay_alu instid0(VALU_DEP_4) | instskip(NEXT) | instid1(VALU_DEP_4)
	v_bitop3_b16 v9, v9, v10, 0xff bitop3:0xec
	v_bitop3_b16 v6, v7, v6, 0xff bitop3:0xec
	s_delay_alu instid0(VALU_DEP_4) | instskip(NEXT) | instid1(VALU_DEP_4)
	v_lshlrev_b32_e32 v7, 16, v11
	v_and_b32_e32 v8, 0xffff, v8
	s_delay_alu instid0(VALU_DEP_4) | instskip(NEXT) | instid1(VALU_DEP_4)
	v_lshlrev_b32_e32 v9, 16, v9
	v_and_b32_e32 v6, 0xffff, v6
	s_delay_alu instid0(VALU_DEP_3) | instskip(NEXT) | instid1(VALU_DEP_2)
	v_or_b32_e32 v8, v8, v7
	v_or_b32_e32 v6, v6, v9
.LBB969_89:
	s_or_b32 exec_lo, exec_lo, s1
	s_delay_alu instid0(VALU_DEP_1) | instskip(NEXT) | instid1(VALU_DEP_3)
	v_dual_add_nc_u32 v7, 9, v15 :: v_dual_lshrrev_b32 v11, 8, v6
	v_dual_lshrrev_b32 v12, 24, v8 :: v_dual_lshrrev_b32 v10, 16, v8
                                        ; implicit-def: $vgpr9
	s_delay_alu instid0(VALU_DEP_2) | instskip(SKIP_1) | instid1(SALU_CYCLE_1)
	v_cmp_le_u32_e32 vcc_lo, s5, v7
                                        ; implicit-def: $vgpr7
	s_and_saveexec_b32 s0, vcc_lo
	s_xor_b32 s0, exec_lo, s0
	s_cbranch_execz .LBB969_91
; %bb.90:
	v_lshlrev_b16 v7, 8, v11
	v_lshlrev_b16 v9, 8, v12
	v_perm_b32 v1, v1, v1, 0x3060504
                                        ; implicit-def: $vgpr11
                                        ; implicit-def: $vgpr12
	s_delay_alu instid0(VALU_DEP_3) | instskip(NEXT) | instid1(VALU_DEP_3)
	v_bitop3_b16 v7, v6, v7, 0xff bitop3:0xec
	v_bitop3_b16 v9, v10, v9, 0xff bitop3:0xec
                                        ; implicit-def: $vgpr10
	s_delay_alu instid0(VALU_DEP_2) | instskip(NEXT) | instid1(VALU_DEP_2)
	v_and_b32_e32 v7, 0xffff, v7
	v_perm_b32 v9, v9, v8, 0x5040c00
                                        ; implicit-def: $vgpr8
	s_delay_alu instid0(VALU_DEP_2)
	v_and_or_b32 v7, 0xff000000, v6, v7
                                        ; implicit-def: $vgpr6
.LBB969_91:
	s_and_not1_saveexec_b32 s1, s0
	s_cbranch_execz .LBB969_95
; %bb.92:
	v_dual_add_nc_u32 v7, s17, v19 :: v_dual_add_nc_u32 v9, s19, v19
	s_mov_b32 s3, 0
	s_mov_b32 s4, exec_lo
	s_delay_alu instid0(VALU_DEP_1) | instskip(NEXT) | instid1(VALU_DEP_2)
	v_mul_lo_u32 v7, v7, s16
	v_mul_lo_u32 v9, v9, s18
	s_delay_alu instid0(VALU_DEP_1) | instskip(NEXT) | instid1(VALU_DEP_1)
	v_sub_nc_u32_e32 v7, v7, v9
	v_cmp_lt_u32_e32 vcc_lo, s20, v7
	v_cmpx_ge_u32_e64 s20, v7
	s_cbranch_execz .LBB969_94
; %bb.93:
	v_dual_add_nc_u32 v7, s22, v19 :: v_dual_add_nc_u32 v9, s38, v19
	s_delay_alu instid0(VALU_DEP_1) | instskip(NEXT) | instid1(VALU_DEP_2)
	v_mul_lo_u32 v7, v7, s21
	v_mul_lo_u32 v9, v9, s23
	s_delay_alu instid0(VALU_DEP_1) | instskip(NEXT) | instid1(VALU_DEP_1)
	v_sub_nc_u32_e32 v7, v7, v9
	v_cmp_lt_u32_e64 s0, s39, v7
	s_and_b32 s3, s0, exec_lo
.LBB969_94:
	s_or_b32 exec_lo, exec_lo, s4
	v_cndmask_b32_e64 v7, 0, 1, vcc_lo
	v_lshrrev_b32_e32 v9, 24, v6
	v_cndmask_b32_e64 v13, 0, 1, s3
	v_lshlrev_b16 v12, 8, v12
	v_lshlrev_b16 v11, 8, v11
	;; [unrolled: 1-line block ×4, first 2 shown]
	s_delay_alu instid0(VALU_DEP_4) | instskip(NEXT) | instid1(VALU_DEP_4)
	v_bitop3_b16 v10, v10, v12, 0xff bitop3:0xec
	v_bitop3_b16 v6, v6, v11, 0xff bitop3:0xec
	s_delay_alu instid0(VALU_DEP_4) | instskip(NEXT) | instid1(VALU_DEP_3)
	v_bitop3_b16 v7, v8, v7, 0xff bitop3:0xec
	v_dual_lshlrev_b32 v9, 16, v10 :: v_dual_bitop2_b32 v8, v13, v9 bitop3:0x54
	s_delay_alu instid0(VALU_DEP_3) | instskip(NEXT) | instid1(VALU_DEP_3)
	v_and_b32_e32 v6, 0xffff, v6
	v_and_b32_e32 v7, 0xffff, v7
	s_delay_alu instid0(VALU_DEP_1) | instskip(NEXT) | instid1(VALU_DEP_1)
	v_dual_lshlrev_b32 v8, 16, v8 :: v_dual_bitop2_b32 v9, v7, v9 bitop3:0x54
	v_or_b32_e32 v7, v6, v8
.LBB969_95:
	s_or_b32 exec_lo, exec_lo, s1
	s_delay_alu instid0(VALU_DEP_2) | instskip(NEXT) | instid1(VALU_DEP_1)
	v_dual_add_nc_u32 v6, 10, v15 :: v_dual_lshrrev_b32 v8, 8, v9
                                        ; implicit-def: $vgpr40
	v_cmp_le_u32_e32 vcc_lo, s5, v6
                                        ; implicit-def: $vgpr6
	s_and_saveexec_b32 s0, vcc_lo
	s_delay_alu instid0(SALU_CYCLE_1)
	s_xor_b32 s0, exec_lo, s0
	s_cbranch_execz .LBB969_97
; %bb.96:
	v_lshlrev_b16 v6, 8, v8
	v_and_b32_e32 v8, 0xff0000, v7
	v_perm_b32 v1, v1, v1, 0x3060504
	s_delay_alu instid0(VALU_DEP_3) | instskip(NEXT) | instid1(VALU_DEP_3)
	v_bitop3_b16 v6, v9, v6, 0xff bitop3:0xec
	v_perm_b32 v40, v7, v8, 0x3020504
                                        ; implicit-def: $vgpr8
                                        ; implicit-def: $vgpr7
	s_delay_alu instid0(VALU_DEP_2) | instskip(NEXT) | instid1(VALU_DEP_1)
	v_and_b32_e32 v6, 0xffff, v6
	v_and_or_b32 v6, 0xff000000, v9, v6
                                        ; implicit-def: $vgpr9
.LBB969_97:
	s_and_not1_saveexec_b32 s1, s0
	s_cbranch_execz .LBB969_101
; %bb.98:
	v_dual_add_nc_u32 v6, s17, v16 :: v_dual_add_nc_u32 v10, s19, v16
	s_mov_b32 s3, 0
	s_mov_b32 s4, exec_lo
	s_delay_alu instid0(VALU_DEP_1) | instskip(NEXT) | instid1(VALU_DEP_2)
	v_mul_lo_u32 v6, v6, s16
	v_mul_lo_u32 v10, v10, s18
	s_delay_alu instid0(VALU_DEP_1) | instskip(NEXT) | instid1(VALU_DEP_1)
	v_sub_nc_u32_e32 v6, v6, v10
	v_cmp_lt_u32_e32 vcc_lo, s20, v6
	v_cmpx_ge_u32_e64 s20, v6
	s_cbranch_execz .LBB969_100
; %bb.99:
	v_dual_add_nc_u32 v6, s22, v16 :: v_dual_add_nc_u32 v10, s38, v16
	s_delay_alu instid0(VALU_DEP_1) | instskip(NEXT) | instid1(VALU_DEP_2)
	v_mul_lo_u32 v6, v6, s21
	v_mul_lo_u32 v10, v10, s23
	s_delay_alu instid0(VALU_DEP_1) | instskip(NEXT) | instid1(VALU_DEP_1)
	v_sub_nc_u32_e32 v6, v6, v10
	v_cmp_lt_u32_e64 s0, s39, v6
	s_and_b32 s3, s0, exec_lo
.LBB969_100:
	s_or_b32 exec_lo, exec_lo, s4
	v_dual_lshrrev_b32 v6, 24, v9 :: v_dual_lshrrev_b32 v12, 8, v7
	v_cndmask_b32_e64 v10, 0, 1, s3
	v_cndmask_b32_e64 v11, 0, 1, vcc_lo
	v_lshlrev_b16 v8, 8, v8
	s_delay_alu instid0(VALU_DEP_4)
	v_lshlrev_b16 v6, 8, v6
	v_lshrrev_b32_e32 v13, 16, v7
	v_lshlrev_b16 v10, 8, v10
	v_lshlrev_b16 v12, 8, v12
	v_bitop3_b16 v8, v9, v8, 0xff bitop3:0xec
	v_or_b32_e32 v6, v11, v6
	s_delay_alu instid0(VALU_DEP_4) | instskip(NEXT) | instid1(VALU_DEP_4)
	v_bitop3_b16 v9, v13, v10, 0xff bitop3:0xec
	v_bitop3_b16 v7, v7, v12, 0xff bitop3:0xec
	s_delay_alu instid0(VALU_DEP_4) | instskip(NEXT) | instid1(VALU_DEP_3)
	v_and_b32_e32 v8, 0xffff, v8
	v_dual_lshlrev_b32 v6, 16, v6 :: v_dual_lshlrev_b32 v9, 16, v9
	s_delay_alu instid0(VALU_DEP_3) | instskip(NEXT) | instid1(VALU_DEP_2)
	v_and_b32_e32 v7, 0xffff, v7
	v_or_b32_e32 v6, v8, v6
	s_delay_alu instid0(VALU_DEP_2)
	v_or_b32_e32 v40, v7, v9
.LBB969_101:
	s_or_b32 exec_lo, exec_lo, s1
	v_dual_add_nc_u32 v7, 11, v15 :: v_dual_mov_b32 v39, 0
	s_mov_b32 s0, exec_lo
                                        ; implicit-def: $vgpr41
	s_delay_alu instid0(VALU_DEP_1)
	v_cmpx_le_u32_e64 s5, v7
	s_xor_b32 s0, exec_lo, s0
; %bb.102:
	v_and_b32_e32 v7, 0xff0000, v6
	v_perm_b32 v1, v1, v1, 0x3060504
	s_delay_alu instid0(VALU_DEP_2)
	v_perm_b32 v41, v6, v7, 0x3020504
                                        ; implicit-def: $vgpr6
; %bb.103:
	s_and_not1_saveexec_b32 s1, s0
	s_cbranch_execz .LBB969_107
; %bb.104:
	v_dual_add_nc_u32 v7, s17, v17 :: v_dual_add_nc_u32 v8, s19, v17
	s_mov_b32 s3, 0
	s_mov_b32 s4, exec_lo
	s_delay_alu instid0(VALU_DEP_1) | instskip(NEXT) | instid1(VALU_DEP_2)
	v_mul_lo_u32 v7, v7, s16
	v_mul_lo_u32 v8, v8, s18
	s_delay_alu instid0(VALU_DEP_1) | instskip(NEXT) | instid1(VALU_DEP_1)
	v_sub_nc_u32_e32 v7, v7, v8
	v_cmp_lt_u32_e32 vcc_lo, s20, v7
	v_cmpx_ge_u32_e64 s20, v7
	s_cbranch_execz .LBB969_106
; %bb.105:
	v_dual_add_nc_u32 v7, s22, v17 :: v_dual_add_nc_u32 v8, s38, v17
	s_delay_alu instid0(VALU_DEP_1) | instskip(NEXT) | instid1(VALU_DEP_2)
	v_mul_lo_u32 v7, v7, s21
	v_mul_lo_u32 v8, v8, s23
	s_delay_alu instid0(VALU_DEP_1) | instskip(NEXT) | instid1(VALU_DEP_1)
	v_sub_nc_u32_e32 v7, v7, v8
	v_cmp_lt_u32_e64 s0, s39, v7
	s_and_b32 s3, s0, exec_lo
.LBB969_106:
	s_or_b32 exec_lo, exec_lo, s4
	v_cndmask_b32_e64 v7, 0, 1, vcc_lo
	v_dual_lshrrev_b32 v8, 8, v6 :: v_dual_lshrrev_b32 v9, 16, v6
	v_cndmask_b32_e64 v39, 0, 1, s3
	s_delay_alu instid0(VALU_DEP_3) | instskip(NEXT) | instid1(VALU_DEP_3)
	v_lshlrev_b16 v7, 8, v7
	v_lshlrev_b16 v8, 8, v8
	s_delay_alu instid0(VALU_DEP_2) | instskip(NEXT) | instid1(VALU_DEP_2)
	v_bitop3_b16 v7, v9, v7, 0xff bitop3:0xec
	v_bitop3_b16 v6, v6, v8, 0xff bitop3:0xec
	s_delay_alu instid0(VALU_DEP_2) | instskip(NEXT) | instid1(VALU_DEP_2)
	v_lshlrev_b32_e32 v7, 16, v7
	v_and_b32_e32 v6, 0xffff, v6
	s_delay_alu instid0(VALU_DEP_1)
	v_or_b32_e32 v41, v6, v7
.LBB969_107:
	s_or_b32 exec_lo, exec_lo, s1
	v_dual_add_nc_u32 v8, 12, v15 :: v_dual_lshrrev_b32 v6, 8, v1
	v_dual_lshrrev_b32 v7, 16, v1 :: v_dual_lshrrev_b32 v1, 24, v1
	s_mov_b32 s0, exec_lo
                                        ; implicit-def: $vgpr42
	s_delay_alu instid0(VALU_DEP_2)
	v_cmpx_le_u32_e64 s5, v8
	s_xor_b32 s0, exec_lo, s0
; %bb.108:
	s_delay_alu instid0(VALU_DEP_2) | instskip(SKIP_1) | instid1(VALU_DEP_2)
	v_lshlrev_b16 v1, 8, v1
	v_lshlrev_b16 v6, 8, v6
	v_bitop3_b16 v1, v7, v1, 0xff bitop3:0xec
	s_delay_alu instid0(VALU_DEP_2) | instskip(NEXT) | instid1(VALU_DEP_2)
	v_and_b32_e32 v6, 0xffff, v6
                                        ; implicit-def: $vgpr7
	v_lshlrev_b32_e32 v1, 16, v1
	s_delay_alu instid0(VALU_DEP_1)
	v_or_b32_e32 v42, v6, v1
                                        ; implicit-def: $vgpr1
                                        ; implicit-def: $vgpr6
; %bb.109:
	s_or_saveexec_b32 s1, s0
	v_mov_b32_e32 v43, 0
	s_xor_b32 exec_lo, exec_lo, s1
	s_cbranch_execz .LBB969_113
; %bb.110:
	v_dual_add_nc_u32 v8, s19, v34 :: v_dual_add_nc_u32 v9, s17, v34
	s_mov_b32 s3, 0
	s_mov_b32 s4, exec_lo
	s_delay_alu instid0(VALU_DEP_1) | instskip(NEXT) | instid1(VALU_DEP_2)
	v_mul_lo_u32 v8, v8, s18
	v_mul_lo_u32 v9, v9, s16
	s_delay_alu instid0(VALU_DEP_1) | instskip(NEXT) | instid1(VALU_DEP_1)
	v_sub_nc_u32_e32 v8, v9, v8
	v_cmp_lt_u32_e32 vcc_lo, s20, v8
	v_cmpx_ge_u32_e64 s20, v8
	s_cbranch_execz .LBB969_112
; %bb.111:
	v_dual_add_nc_u32 v8, s38, v34 :: v_dual_add_nc_u32 v9, s22, v34
	s_delay_alu instid0(VALU_DEP_1) | instskip(NEXT) | instid1(VALU_DEP_2)
	v_mul_lo_u32 v8, v8, s23
	v_mul_lo_u32 v9, v9, s21
	s_delay_alu instid0(VALU_DEP_1) | instskip(NEXT) | instid1(VALU_DEP_1)
	v_sub_nc_u32_e32 v8, v9, v8
	v_cmp_lt_u32_e64 s0, s39, v8
	s_and_b32 s3, s0, exec_lo
.LBB969_112:
	s_or_b32 exec_lo, exec_lo, s4
	v_cndmask_b32_e64 v8, 0, 1, vcc_lo
	v_lshlrev_b16 v1, 8, v1
	v_lshlrev_b16 v6, 8, v6
	v_cndmask_b32_e64 v43, 0, 1, s3
	s_delay_alu instid0(VALU_DEP_3) | instskip(NEXT) | instid1(VALU_DEP_1)
	v_bitop3_b16 v1, v7, v1, 0xff bitop3:0xec
	v_dual_lshlrev_b32 v1, 16, v1 :: v_dual_bitop2_b32 v6, v8, v6 bitop3:0x54
	s_delay_alu instid0(VALU_DEP_1) | instskip(NEXT) | instid1(VALU_DEP_1)
	v_and_b32_e32 v6, 0xffff, v6
	v_or_b32_e32 v42, v6, v1
.LBB969_113:
	s_or_b32 exec_lo, exec_lo, s1
.LBB969_114:
	v_and_b32_e32 v66, 0xff, v36
	s_delay_alu instid0(VALU_DEP_2)
	v_bfe_u32 v67, v42, 8, 8
	v_bfe_u32 v64, v36, 8, 8
	;; [unrolled: 1-line block ×4, first 2 shown]
	v_dual_lshrrev_b32 v49, 24, v42 :: v_dual_lshrrev_b32 v48, 24, v36
	v_and_b32_e32 v62, 0xff, v37
	v_and_b32_e32 v60, 0xff, v38
	v_bfe_u32 v61, v37, 8, 8
	v_add3_u32 v1, v64, v66, v63
	v_add3_u32 v6, v65, v67, v49
	v_bfe_u32 v58, v38, 8, 8
	v_bfe_u32 v59, v37, 16, 8
	;; [unrolled: 1-line block ×3, first 2 shown]
	v_dual_lshrrev_b32 v47, 24, v37 :: v_dual_lshrrev_b32 v46, 24, v38
	v_add3_u32 v1, v1, v48, v60
	v_add3_u32 v6, v6, v62, v61
	v_and_b32_e32 v57, 0xff, v40
	v_and_b32_e32 v53, 0xff, v41
	v_bfe_u32 v55, v40, 8, 8
	v_add3_u32 v1, v1, v58, v56
	v_add3_u32 v6, v6, v59, v47
	v_bfe_u32 v52, v41, 8, 8
	v_bfe_u32 v54, v40, 16, 8
	v_bfe_u32 v51, v41, 16, 8
	v_dual_lshrrev_b32 v45, 24, v40 :: v_dual_lshrrev_b32 v44, 24, v41
	v_add3_u32 v1, v1, v46, v53
	v_add3_u32 v6, v6, v57, v55
	v_mbcnt_lo_u32_b32 v68, -1, 0
	v_and_b32_e32 v50, 0xff, v39
	v_and_b32_e32 v7, 0xff, v42
	;; [unrolled: 1-line block ×3, first 2 shown]
	v_add3_u32 v1, v1, v52, v51
	v_add3_u32 v6, v6, v54, v45
	v_and_b32_e32 v70, 15, v68
	v_and_b32_e32 v72, 16, v68
	v_dual_lshrrev_b32 v69, 5, v0 :: v_dual_bitop2_b32 v71, 31, v0 bitop3:0x54
	v_add3_u32 v73, v1, v44, v7
	v_add3_u32 v74, v6, v50, v8
	v_cmp_eq_u32_e64 s1, 0, v70
	v_cmp_lt_u32_e64 s0, 1, v70
	v_cmp_lt_u32_e64 s3, 3, v70
	s_cmp_lg_u32 s27, 0
	s_mov_b32 s4, -1
	v_cmp_lt_u32_e32 vcc_lo, 7, v70
	s_cbranch_scc0 .LBB969_135
; %bb.115:
	v_mov_b32_dpp v1, v74 row_shr:1 row_mask:0xf bank_mask:0xf
	v_mov_b32_dpp v6, v73 row_shr:1 row_mask:0xf bank_mask:0xf
	s_mov_b32 s4, exec_lo
	s_delay_alu instid0(VALU_DEP_1) | instskip(NEXT) | instid1(VALU_DEP_1)
	v_dual_add_nc_u32 v1, v1, v74 :: v_dual_add_nc_u32 v6, v6, v73
	v_dual_cndmask_b32 v1, v1, v74, s1 :: v_dual_cndmask_b32 v6, v6, v73, s1
	s_delay_alu instid0(VALU_DEP_1) | instskip(NEXT) | instid1(VALU_DEP_2)
	v_mov_b32_dpp v7, v1 row_shr:2 row_mask:0xf bank_mask:0xf
	v_mov_b32_dpp v8, v6 row_shr:2 row_mask:0xf bank_mask:0xf
	s_delay_alu instid0(VALU_DEP_1) | instskip(NEXT) | instid1(VALU_DEP_1)
	v_dual_add_nc_u32 v7, v1, v7 :: v_dual_add_nc_u32 v8, v6, v8
	v_dual_cndmask_b32 v1, v1, v7, s0 :: v_dual_cndmask_b32 v6, v6, v8, s0
	s_delay_alu instid0(VALU_DEP_1) | instskip(NEXT) | instid1(VALU_DEP_2)
	v_mov_b32_dpp v7, v1 row_shr:4 row_mask:0xf bank_mask:0xf
	v_mov_b32_dpp v8, v6 row_shr:4 row_mask:0xf bank_mask:0xf
	;; [unrolled: 6-line block ×3, first 2 shown]
	s_delay_alu instid0(VALU_DEP_1) | instskip(NEXT) | instid1(VALU_DEP_1)
	v_dual_add_nc_u32 v7, v1, v7 :: v_dual_add_nc_u32 v8, v6, v8
	v_dual_cndmask_b32 v1, v1, v7 :: v_dual_cndmask_b32 v6, v6, v8
	v_cmp_eq_u32_e32 vcc_lo, 0, v72
	ds_swizzle_b32 v7, v1 offset:swizzle(BROADCAST,32,15)
	ds_swizzle_b32 v8, v6 offset:swizzle(BROADCAST,32,15)
	s_wait_dscnt 0x0
	v_dual_add_nc_u32 v7, v1, v7 :: v_dual_add_nc_u32 v8, v6, v8
	v_cmpx_eq_u32_e64 v0, v71
; %bb.116:
	s_delay_alu instid0(VALU_DEP_2) | instskip(NEXT) | instid1(VALU_DEP_3)
	v_dual_cndmask_b32 v10, v8, v6 :: v_dual_lshlrev_b32 v9, 3, v69
	v_cndmask_b32_e32 v11, v7, v1, vcc_lo
	ds_store_b64 v9, v[10:11]
; %bb.117:
	s_or_b32 exec_lo, exec_lo, s4
	s_delay_alu instid0(SALU_CYCLE_1)
	s_mov_b32 s4, exec_lo
	s_wait_dscnt 0x0
	s_barrier_signal -1
	s_barrier_wait -1
	v_cmpx_gt_u32_e32 8, v0
	s_cbranch_execz .LBB969_119
; %bb.118:
	v_lshlrev_b32_e32 v9, 3, v0
	ds_load_b64 v[10:11], v9
	s_wait_dscnt 0x0
	v_mov_b32_dpp v12, v10 row_shr:1 row_mask:0xf bank_mask:0xf
	v_mov_b32_dpp v13, v11 row_shr:1 row_mask:0xf bank_mask:0xf
	s_delay_alu instid0(VALU_DEP_2) | instskip(NEXT) | instid1(VALU_DEP_2)
	v_dual_add_nc_u32 v12, v12, v10 :: v_dual_bitop2_b32 v28, 7, v68 bitop3:0x40
	v_add_nc_u32_e32 v13, v13, v11
	s_delay_alu instid0(VALU_DEP_2) | instskip(NEXT) | instid1(VALU_DEP_1)
	v_cmp_eq_u32_e64 s3, 0, v28
	v_dual_cndmask_b32 v11, v13, v11, s3 :: v_dual_cndmask_b32 v10, v12, v10, s3
	v_cmp_lt_u32_e64 s3, 1, v28
	s_delay_alu instid0(VALU_DEP_2) | instskip(NEXT) | instid1(VALU_DEP_3)
	v_mov_b32_dpp v13, v11 row_shr:2 row_mask:0xf bank_mask:0xf
	v_mov_b32_dpp v12, v10 row_shr:2 row_mask:0xf bank_mask:0xf
	s_delay_alu instid0(VALU_DEP_1) | instskip(NEXT) | instid1(VALU_DEP_1)
	v_dual_add_nc_u32 v13, v11, v13 :: v_dual_add_nc_u32 v12, v10, v12
	v_dual_cndmask_b32 v11, v11, v13, s3 :: v_dual_cndmask_b32 v10, v10, v12, s3
	v_cmp_lt_u32_e64 s3, 3, v28
	s_delay_alu instid0(VALU_DEP_2) | instskip(NEXT) | instid1(VALU_DEP_3)
	v_mov_b32_dpp v13, v11 row_shr:4 row_mask:0xf bank_mask:0xf
	v_mov_b32_dpp v12, v10 row_shr:4 row_mask:0xf bank_mask:0xf
	s_delay_alu instid0(VALU_DEP_1) | instskip(NEXT) | instid1(VALU_DEP_1)
	v_dual_cndmask_b32 v13, 0, v13, s3 :: v_dual_cndmask_b32 v12, 0, v12, s3
	v_dual_add_nc_u32 v11, v13, v11 :: v_dual_add_nc_u32 v10, v12, v10
	ds_store_b64 v9, v[10:11]
.LBB969_119:
	s_or_b32 exec_lo, exec_lo, s4
	v_dual_cndmask_b32 v1, v7, v1 :: v_dual_cndmask_b32 v6, v8, v6
	s_mov_b32 s4, exec_lo
	v_cmp_gt_u32_e32 vcc_lo, 32, v0
	s_wait_dscnt 0x0
	s_barrier_signal -1
	s_barrier_wait -1
                                        ; implicit-def: $vgpr28
	v_cmpx_lt_u32_e32 31, v0
	s_cbranch_execz .LBB969_121
; %bb.120:
	v_lshl_add_u32 v7, v69, 3, -8
	ds_load_b64 v[28:29], v7
	s_wait_dscnt 0x0
	v_dual_add_nc_u32 v1, v29, v1 :: v_dual_add_nc_u32 v6, v28, v6
.LBB969_121:
	s_or_b32 exec_lo, exec_lo, s4
	v_sub_co_u32 v7, s3, v68, 1
	s_delay_alu instid0(VALU_DEP_1) | instskip(NEXT) | instid1(VALU_DEP_1)
	v_cmp_gt_i32_e64 s4, 0, v7
	v_cndmask_b32_e64 v7, v7, v68, s4
	s_delay_alu instid0(VALU_DEP_1)
	v_lshlrev_b32_e32 v7, 2, v7
	ds_bpermute_b32 v75, v7, v6
	ds_bpermute_b32 v1, v7, v1
	s_and_saveexec_b32 s4, vcc_lo
	s_cbranch_execz .LBB969_140
; %bb.122:
	v_mov_b32_e32 v9, 0
	ds_load_b64 v[6:7], v9 offset:56
	s_and_saveexec_b32 s6, s3
	s_cbranch_execz .LBB969_124
; %bb.123:
	s_add_co_i32 s8, s27, 32
	s_mov_b32 s9, 0
	v_mov_b32_e32 v8, 1
	s_lshl_b64 s[8:9], s[8:9], 4
	s_delay_alu instid0(SALU_CYCLE_1) | instskip(NEXT) | instid1(SALU_CYCLE_1)
	s_add_nc_u64 s[8:9], s[36:37], s[8:9]
	v_mov_b64_e32 v[10:11], s[8:9]
	s_wait_dscnt 0x0
	;;#ASMSTART
	global_store_b128 v[10:11], v[6:9] off scope:SCOPE_DEV	
s_wait_storecnt 0x0
	;;#ASMEND
.LBB969_124:
	s_or_b32 exec_lo, exec_lo, s6
	v_xad_u32 v30, v68, -1, s27
	s_mov_b32 s7, 0
	s_mov_b32 s6, exec_lo
	s_delay_alu instid0(VALU_DEP_1) | instskip(NEXT) | instid1(VALU_DEP_1)
	v_add_nc_u32_e32 v8, 32, v30
	v_lshl_add_u64 v[8:9], v[8:9], 4, s[36:37]
	;;#ASMSTART
	global_load_b128 v[10:13], v[8:9] off scope:SCOPE_DEV	
s_wait_loadcnt 0x0
	;;#ASMEND
	v_and_b32_e32 v13, 0xff, v12
	s_delay_alu instid0(VALU_DEP_1)
	v_cmpx_eq_u16_e32 0, v13
	s_cbranch_execz .LBB969_127
.LBB969_125:                            ; =>This Inner Loop Header: Depth=1
	;;#ASMSTART
	global_load_b128 v[10:13], v[8:9] off scope:SCOPE_DEV	
s_wait_loadcnt 0x0
	;;#ASMEND
	v_and_b32_e32 v13, 0xff, v12
	s_delay_alu instid0(VALU_DEP_1) | instskip(SKIP_1) | instid1(SALU_CYCLE_1)
	v_cmp_ne_u16_e32 vcc_lo, 0, v13
	s_or_b32 s7, vcc_lo, s7
	s_and_not1_b32 exec_lo, exec_lo, s7
	s_cbranch_execnz .LBB969_125
; %bb.126:
	s_or_b32 exec_lo, exec_lo, s7
.LBB969_127:
	s_delay_alu instid0(SALU_CYCLE_1) | instskip(SKIP_4) | instid1(VALU_DEP_1)
	s_or_b32 exec_lo, exec_lo, s6
	v_cmp_ne_u32_e32 vcc_lo, 31, v68
	v_lshlrev_b32_e64 v77, v68, -1
	v_lshl_or_b32 v84, v68, 2, 64
	v_add_co_ci_u32_e64 v8, null, 0, v68, vcc_lo
	v_lshlrev_b32_e32 v76, 2, v8
	v_and_b32_e32 v8, 0xff, v12
	s_delay_alu instid0(VALU_DEP_1)
	v_cmp_eq_u16_e32 vcc_lo, 2, v8
	v_and_b32_e32 v13, vcc_lo, v77
	ds_bpermute_b32 v9, v76, v11
	ds_bpermute_b32 v8, v76, v10
	v_cmp_gt_u32_e32 vcc_lo, 30, v68
	v_or_b32_e32 v13, 0x80000000, v13
	v_cndmask_b32_e64 v31, 0, 2, vcc_lo
	s_delay_alu instid0(VALU_DEP_2) | instskip(NEXT) | instid1(VALU_DEP_2)
	v_ctz_i32_b32_e32 v13, v13
	v_add_lshl_u32 v78, v31, v68, 2
	s_delay_alu instid0(VALU_DEP_2) | instskip(SKIP_2) | instid1(VALU_DEP_1)
	v_cmp_lt_u32_e32 vcc_lo, v68, v13
	s_wait_dscnt 0x0
	v_dual_add_nc_u32 v9, v9, v11 :: v_dual_add_nc_u32 v8, v8, v10
	v_dual_cndmask_b32 v9, v11, v9 :: v_dual_cndmask_b32 v8, v10, v8
	v_cmp_gt_u32_e32 vcc_lo, 28, v68
	ds_bpermute_b32 v10, v78, v9
	ds_bpermute_b32 v11, v78, v8
	v_add_nc_u32_e32 v79, 2, v68
	v_cndmask_b32_e64 v31, 0, 4, vcc_lo
	s_delay_alu instid0(VALU_DEP_1) | instskip(SKIP_4) | instid1(VALU_DEP_2)
	v_add_lshl_u32 v80, v31, v68, 2
	s_wait_dscnt 0x1
	v_add_nc_u32_e32 v10, v9, v10
	v_cmp_gt_u32_e32 vcc_lo, v79, v13
	s_wait_dscnt 0x0
	v_dual_add_nc_u32 v11, v8, v11 :: v_dual_cndmask_b32 v9, v10, v9, vcc_lo
	ds_bpermute_b32 v10, v80, v9
	v_cndmask_b32_e32 v8, v11, v8, vcc_lo
	v_cmp_gt_u32_e32 vcc_lo, 24, v68
	v_cndmask_b32_e64 v31, 0, 8, vcc_lo
	s_delay_alu instid0(VALU_DEP_1)
	v_add_lshl_u32 v82, v31, v68, 2
	s_wait_dscnt 0x0
	v_dual_mov_b32 v31, 0 :: v_dual_add_nc_u32 v10, v9, v10
	ds_bpermute_b32 v11, v80, v8
	s_wait_dscnt 0x0
	v_dual_add_nc_u32 v81, 4, v68 :: v_dual_add_nc_u32 v11, v8, v11
	s_delay_alu instid0(VALU_DEP_1) | instskip(NEXT) | instid1(VALU_DEP_2)
	v_cmp_gt_u32_e32 vcc_lo, v81, v13
	v_dual_cndmask_b32 v9, v10, v9 :: v_dual_cndmask_b32 v8, v11, v8
	ds_bpermute_b32 v10, v82, v9
	ds_bpermute_b32 v11, v82, v8
	s_wait_dscnt 0x1
	v_dual_add_nc_u32 v83, 8, v68 :: v_dual_add_nc_u32 v10, v9, v10
	s_delay_alu instid0(VALU_DEP_1) | instskip(SKIP_1) | instid1(VALU_DEP_2)
	v_cmp_gt_u32_e32 vcc_lo, v83, v13
	s_wait_dscnt 0x0
	v_dual_add_nc_u32 v11, v8, v11 :: v_dual_cndmask_b32 v9, v10, v9, vcc_lo
	s_delay_alu instid0(VALU_DEP_1) | instskip(SKIP_3) | instid1(VALU_DEP_1)
	v_cndmask_b32_e32 v8, v11, v8, vcc_lo
	ds_bpermute_b32 v11, v84, v9
	ds_bpermute_b32 v10, v84, v8
	v_add_nc_u32_e32 v85, 16, v68
	v_cmp_le_u32_e32 vcc_lo, v85, v13
	s_wait_dscnt 0x0
	v_dual_cndmask_b32 v11, 0, v11 :: v_dual_cndmask_b32 v10, 0, v10
	s_delay_alu instid0(VALU_DEP_1)
	v_dual_add_nc_u32 v11, v11, v9 :: v_dual_add_nc_u32 v10, v10, v8
	s_branch .LBB969_131
.LBB969_128:                            ;   in Loop: Header=BB969_131 Depth=1
	s_or_b32 exec_lo, exec_lo, s7
.LBB969_129:                            ;   in Loop: Header=BB969_131 Depth=1
	s_delay_alu instid0(SALU_CYCLE_1)
	s_or_b32 exec_lo, exec_lo, s6
	ds_bpermute_b32 v13, v76, v10
	ds_bpermute_b32 v32, v76, v11
	v_and_b32_e32 v33, 0xff, v12
	v_subrev_nc_u32_e32 v30, 32, v30
	s_mov_b32 s6, 0
	s_delay_alu instid0(VALU_DEP_2) | instskip(SKIP_1) | instid1(VALU_DEP_1)
	v_cmp_eq_u16_e32 vcc_lo, 2, v33
	v_and_or_b32 v33, vcc_lo, v77, 0x80000000
	v_ctz_i32_b32_e32 v33, v33
	s_wait_dscnt 0x0
	v_dual_add_nc_u32 v13, v13, v10 :: v_dual_add_nc_u32 v32, v32, v11
	s_delay_alu instid0(VALU_DEP_2) | instskip(NEXT) | instid1(VALU_DEP_2)
	v_cmp_lt_u32_e32 vcc_lo, v68, v33
	v_dual_cndmask_b32 v11, v11, v32 :: v_dual_cndmask_b32 v10, v10, v13
	v_cmp_gt_u32_e32 vcc_lo, v79, v33
	ds_bpermute_b32 v32, v78, v11
	ds_bpermute_b32 v13, v78, v10
	s_wait_dscnt 0x0
	v_dual_add_nc_u32 v32, v11, v32 :: v_dual_add_nc_u32 v13, v10, v13
	s_delay_alu instid0(VALU_DEP_1)
	v_dual_cndmask_b32 v11, v32, v11 :: v_dual_cndmask_b32 v10, v13, v10
	v_cmp_gt_u32_e32 vcc_lo, v81, v33
	ds_bpermute_b32 v32, v80, v11
	ds_bpermute_b32 v13, v80, v10
	s_wait_dscnt 0x0
	v_dual_add_nc_u32 v32, v11, v32 :: v_dual_add_nc_u32 v13, v10, v13
	s_delay_alu instid0(VALU_DEP_1)
	;; [unrolled: 7-line block ×3, first 2 shown]
	v_dual_cndmask_b32 v11, v32, v11 :: v_dual_cndmask_b32 v10, v13, v10
	v_cmp_le_u32_e32 vcc_lo, v85, v33
	ds_bpermute_b32 v32, v84, v11
	ds_bpermute_b32 v13, v84, v10
	s_wait_dscnt 0x0
	v_dual_cndmask_b32 v32, 0, v32 :: v_dual_cndmask_b32 v13, 0, v13
	s_delay_alu instid0(VALU_DEP_1) | instskip(NEXT) | instid1(VALU_DEP_2)
	v_add3_u32 v11, v11, v9, v32
	v_add3_u32 v10, v10, v8, v13
.LBB969_130:                            ;   in Loop: Header=BB969_131 Depth=1
	s_and_b32 vcc_lo, exec_lo, s6
	s_cbranch_vccnz .LBB969_136
.LBB969_131:                            ; =>This Loop Header: Depth=1
                                        ;     Child Loop BB969_134 Depth 2
	v_and_b32_e32 v8, 0xff, v12
	s_mov_b32 s6, -1
                                        ; implicit-def: $vgpr12
	s_delay_alu instid0(VALU_DEP_1)
	v_cmp_ne_u16_e32 vcc_lo, 2, v8
	v_mov_b64_e32 v[8:9], v[10:11]
                                        ; implicit-def: $vgpr10_vgpr11
	s_cmp_lg_u32 vcc_lo, exec_lo
	s_cbranch_scc1 .LBB969_130
; %bb.132:                              ;   in Loop: Header=BB969_131 Depth=1
	v_lshl_add_u64 v[32:33], v[30:31], 4, s[36:37]
	;;#ASMSTART
	global_load_b128 v[10:13], v[32:33] off scope:SCOPE_DEV	
s_wait_loadcnt 0x0
	;;#ASMEND
	v_and_b32_e32 v13, 0xff, v12
	s_mov_b32 s6, exec_lo
	s_delay_alu instid0(VALU_DEP_1)
	v_cmpx_eq_u16_e32 0, v13
	s_cbranch_execz .LBB969_129
; %bb.133:                              ;   in Loop: Header=BB969_131 Depth=1
	s_mov_b32 s7, 0
.LBB969_134:                            ;   Parent Loop BB969_131 Depth=1
                                        ; =>  This Inner Loop Header: Depth=2
	;;#ASMSTART
	global_load_b128 v[10:13], v[32:33] off scope:SCOPE_DEV	
s_wait_loadcnt 0x0
	;;#ASMEND
	v_and_b32_e32 v13, 0xff, v12
	s_delay_alu instid0(VALU_DEP_1) | instskip(SKIP_1) | instid1(SALU_CYCLE_1)
	v_cmp_ne_u16_e32 vcc_lo, 0, v13
	s_or_b32 s7, vcc_lo, s7
	s_and_not1_b32 exec_lo, exec_lo, s7
	s_cbranch_execnz .LBB969_134
	s_branch .LBB969_128
.LBB969_135:
                                        ; implicit-def: $vgpr1
                                        ; implicit-def: $vgpr8
                                        ; implicit-def: $vgpr10
                                        ; implicit-def: $vgpr12
                                        ; implicit-def: $vgpr28
	s_and_b32 vcc_lo, exec_lo, s4
	s_cbranch_vccnz .LBB969_141
	s_branch .LBB969_150
.LBB969_136:
	s_and_saveexec_b32 s6, s3
	s_cbranch_execz .LBB969_138
; %bb.137:
	s_add_co_i32 s8, s27, 32
	s_mov_b32 s9, 0
	v_dual_mov_b32 v12, 2 :: v_dual_mov_b32 v13, 0
	s_lshl_b64 s[8:9], s[8:9], 4
	v_dual_add_nc_u32 v11, v9, v7 :: v_dual_add_nc_u32 v10, v8, v6
	s_add_nc_u64 s[8:9], s[36:37], s[8:9]
	s_delay_alu instid0(SALU_CYCLE_1)
	v_mov_b64_e32 v[30:31], s[8:9]
	;;#ASMSTART
	global_store_b128 v[30:31], v[10:13] off scope:SCOPE_DEV	
s_wait_storecnt 0x0
	;;#ASMEND
	ds_store_b128 v13, v[6:9] offset:13312
.LBB969_138:
	s_or_b32 exec_lo, exec_lo, s6
	s_delay_alu instid0(SALU_CYCLE_1)
	s_and_b32 exec_lo, exec_lo, s2
; %bb.139:
	v_mov_b32_e32 v6, 0
	ds_store_b64 v6, v[8:9] offset:56
.LBB969_140:
	s_or_b32 exec_lo, exec_lo, s4
	s_wait_dscnt 0x0
	v_dual_mov_b32 v6, 0 :: v_dual_cndmask_b32 v1, v1, v29, s3
	s_barrier_signal -1
	s_barrier_wait -1
	ds_load_b64 v[12:13], v6 offset:56
	s_wait_dscnt 0x0
	s_barrier_signal -1
	s_barrier_wait -1
	ds_load_b128 v[6:9], v6 offset:13312
	v_cndmask_b32_e64 v10, v75, v28, s3
	s_delay_alu instid0(VALU_DEP_1) | instskip(SKIP_2) | instid1(VALU_DEP_2)
	v_dual_add_nc_u32 v1, v13, v1 :: v_dual_add_nc_u32 v11, v12, v10
	s_wait_dscnt 0x0
	v_mov_b32_e32 v10, v9
	v_dual_cndmask_b32 v1, v1, v13, s2 :: v_dual_cndmask_b32 v28, v11, v12, s2
	v_mov_b32_e32 v12, v7
	s_branch .LBB969_150
.LBB969_141:
	v_mov_b32_dpp v1, v73 row_shr:1 row_mask:0xf bank_mask:0xf
	v_mov_b32_dpp v6, v74 row_shr:1 row_mask:0xf bank_mask:0xf
	v_cmp_lt_u32_e32 vcc_lo, 3, v70
	s_delay_alu instid0(VALU_DEP_2) | instskip(NEXT) | instid1(VALU_DEP_1)
	v_dual_add_nc_u32 v1, v1, v73 :: v_dual_add_nc_u32 v6, v6, v74
	v_dual_cndmask_b32 v1, v1, v73, s1 :: v_dual_cndmask_b32 v6, v6, v74, s1
	s_mov_b32 s1, exec_lo
	s_delay_alu instid0(VALU_DEP_1) | instskip(NEXT) | instid1(VALU_DEP_2)
	v_mov_b32_dpp v7, v1 row_shr:2 row_mask:0xf bank_mask:0xf
	v_mov_b32_dpp v8, v6 row_shr:2 row_mask:0xf bank_mask:0xf
	s_delay_alu instid0(VALU_DEP_1) | instskip(NEXT) | instid1(VALU_DEP_1)
	v_dual_add_nc_u32 v7, v1, v7 :: v_dual_add_nc_u32 v8, v6, v8
	v_dual_cndmask_b32 v1, v1, v7, s0 :: v_dual_cndmask_b32 v6, v6, v8, s0
	s_delay_alu instid0(VALU_DEP_1) | instskip(NEXT) | instid1(VALU_DEP_2)
	v_mov_b32_dpp v7, v1 row_shr:4 row_mask:0xf bank_mask:0xf
	v_mov_b32_dpp v8, v6 row_shr:4 row_mask:0xf bank_mask:0xf
	s_delay_alu instid0(VALU_DEP_1) | instskip(NEXT) | instid1(VALU_DEP_1)
	v_dual_add_nc_u32 v7, v1, v7 :: v_dual_add_nc_u32 v8, v6, v8
	v_dual_cndmask_b32 v7, v1, v7 :: v_dual_cndmask_b32 v6, v6, v8
	v_cmp_lt_u32_e32 vcc_lo, 7, v70
	s_delay_alu instid0(VALU_DEP_2) | instskip(NEXT) | instid1(VALU_DEP_3)
	v_mov_b32_dpp v1, v7 row_shr:8 row_mask:0xf bank_mask:0xf
	v_mov_b32_dpp v8, v6 row_shr:8 row_mask:0xf bank_mask:0xf
	s_delay_alu instid0(VALU_DEP_1) | instskip(NEXT) | instid1(VALU_DEP_1)
	v_dual_add_nc_u32 v9, v7, v1 :: v_dual_add_nc_u32 v1, v6, v8
	v_cndmask_b32_e32 v1, v6, v1, vcc_lo
	s_delay_alu instid0(VALU_DEP_2)
	v_cndmask_b32_e32 v6, v7, v9, vcc_lo
	v_cmp_eq_u32_e32 vcc_lo, 0, v72
	ds_swizzle_b32 v8, v6 offset:swizzle(BROADCAST,32,15)
	s_wait_dscnt 0x0
	v_add_nc_u32_e32 v8, v6, v8
	ds_swizzle_b32 v7, v1 offset:swizzle(BROADCAST,32,15)
	s_wait_dscnt 0x0
	v_add_nc_u32_e32 v7, v1, v7
	v_cmpx_eq_u32_e64 v0, v71
; %bb.142:
	s_delay_alu instid0(VALU_DEP_2)
	v_dual_cndmask_b32 v10, v8, v6 :: v_dual_cndmask_b32 v11, v7, v1
	v_lshlrev_b32_e32 v9, 3, v69
	ds_store_b64 v9, v[10:11]
; %bb.143:
	s_or_b32 exec_lo, exec_lo, s1
	s_delay_alu instid0(SALU_CYCLE_1)
	s_mov_b32 s1, exec_lo
	s_wait_dscnt 0x0
	s_barrier_signal -1
	s_barrier_wait -1
	v_cmpx_gt_u32_e32 8, v0
	s_cbranch_execz .LBB969_145
; %bb.144:
	v_lshlrev_b32_e32 v9, 3, v0
	ds_load_b64 v[10:11], v9
	s_wait_dscnt 0x0
	v_mov_b32_dpp v12, v10 row_shr:1 row_mask:0xf bank_mask:0xf
	v_mov_b32_dpp v13, v11 row_shr:1 row_mask:0xf bank_mask:0xf
	s_delay_alu instid0(VALU_DEP_2) | instskip(NEXT) | instid1(VALU_DEP_2)
	v_dual_add_nc_u32 v12, v12, v10 :: v_dual_bitop2_b32 v28, 7, v68 bitop3:0x40
	v_add_nc_u32_e32 v13, v13, v11
	s_delay_alu instid0(VALU_DEP_2) | instskip(NEXT) | instid1(VALU_DEP_1)
	v_cmp_eq_u32_e64 s0, 0, v28
	v_dual_cndmask_b32 v11, v13, v11, s0 :: v_dual_cndmask_b32 v10, v12, v10, s0
	v_cmp_lt_u32_e64 s0, 1, v28
	s_delay_alu instid0(VALU_DEP_2) | instskip(NEXT) | instid1(VALU_DEP_3)
	v_mov_b32_dpp v13, v11 row_shr:2 row_mask:0xf bank_mask:0xf
	v_mov_b32_dpp v12, v10 row_shr:2 row_mask:0xf bank_mask:0xf
	s_delay_alu instid0(VALU_DEP_1) | instskip(NEXT) | instid1(VALU_DEP_1)
	v_dual_add_nc_u32 v13, v11, v13 :: v_dual_add_nc_u32 v12, v10, v12
	v_dual_cndmask_b32 v11, v11, v13, s0 :: v_dual_cndmask_b32 v10, v10, v12, s0
	v_cmp_lt_u32_e64 s0, 3, v28
	s_delay_alu instid0(VALU_DEP_2) | instskip(NEXT) | instid1(VALU_DEP_3)
	v_mov_b32_dpp v13, v11 row_shr:4 row_mask:0xf bank_mask:0xf
	v_mov_b32_dpp v12, v10 row_shr:4 row_mask:0xf bank_mask:0xf
	s_delay_alu instid0(VALU_DEP_1) | instskip(NEXT) | instid1(VALU_DEP_1)
	v_dual_cndmask_b32 v13, 0, v13, s0 :: v_dual_cndmask_b32 v12, 0, v12, s0
	v_dual_add_nc_u32 v11, v13, v11 :: v_dual_add_nc_u32 v10, v12, v10
	ds_store_b64 v9, v[10:11]
.LBB969_145:
	s_or_b32 exec_lo, exec_lo, s1
	v_dual_mov_b32 v9, 0 :: v_dual_mov_b32 v10, 0
	v_mov_b32_e32 v11, 0
	s_mov_b32 s1, exec_lo
	s_wait_dscnt 0x0
	s_barrier_signal -1
	s_barrier_wait -1
	v_cmpx_lt_u32_e32 31, v0
; %bb.146:
	v_lshl_add_u32 v10, v69, 3, -8
	ds_load_b64 v[10:11], v10
; %bb.147:
	s_or_b32 exec_lo, exec_lo, s1
	v_sub_co_u32 v12, s0, v68, 1
	v_dual_cndmask_b32 v6, v8, v6 :: v_dual_cndmask_b32 v1, v7, v1
	s_delay_alu instid0(VALU_DEP_2) | instskip(SKIP_1) | instid1(VALU_DEP_1)
	v_cmp_gt_i32_e64 s1, 0, v12
	s_wait_dscnt 0x0
	v_dual_add_nc_u32 v6, v10, v6 :: v_dual_cndmask_b32 v8, v12, v68, s1
	s_delay_alu instid0(VALU_DEP_1)
	v_dual_lshlrev_b32 v7, 2, v8 :: v_dual_add_nc_u32 v8, v11, v1
	ds_bpermute_b32 v1, v7, v6
	ds_bpermute_b32 v12, v7, v8
	ds_load_b64 v[6:7], v9 offset:56
	s_and_saveexec_b32 s1, s2
	s_cbranch_execz .LBB969_149
; %bb.148:
	s_add_nc_u64 s[6:7], s[36:37], 0x200
	v_dual_mov_b32 v8, 2 :: v_dual_mov_b32 v9, 0
	v_mov_b64_e32 v[28:29], s[6:7]
	s_wait_dscnt 0x0
	;;#ASMSTART
	global_store_b128 v[28:29], v[6:9] off scope:SCOPE_DEV	
s_wait_storecnt 0x0
	;;#ASMEND
.LBB969_149:
	s_or_b32 exec_lo, exec_lo, s1
	s_wait_dscnt 0x1
	v_dual_cndmask_b32 v9, v12, v11, s0 :: v_dual_cndmask_b32 v11, v1, v10, s0
	v_dual_mov_b32 v10, 0 :: v_dual_mov_b32 v8, 0
	s_wait_dscnt 0x0
	v_mov_b32_e32 v12, v7
	s_delay_alu instid0(VALU_DEP_3)
	v_cndmask_b32_e64 v1, v9, 0, s2
	v_cndmask_b32_e64 v28, v11, 0, s2
	s_barrier_signal -1
	s_barrier_wait -1
.LBB969_150:
	s_delay_alu instid0(VALU_DEP_1) | instskip(SKIP_2) | instid1(VALU_DEP_3)
	v_dual_add_nc_u32 v74, v1, v67 :: v_dual_add_nc_u32 v75, v28, v66
	v_dual_lshrrev_b32 v72, 16, v42 :: v_dual_lshrrev_b32 v7, 8, v42
	v_dual_lshrrev_b32 v73, 8, v36 :: v_dual_lshrrev_b32 v71, 16, v36
	v_dual_add_nc_u32 v65, v74, v65 :: v_dual_add_nc_u32 v64, v75, v64
	v_dual_mov_b32 v9, 0 :: v_dual_lshlrev_b32 v66, 1, v6
	s_delay_alu instid0(VALU_DEP_2) | instskip(NEXT) | instid1(VALU_DEP_3)
	v_dual_add_nc_u32 v76, v65, v49 :: v_dual_bitop2_b32 v36, 1, v36 bitop3:0x40
	v_add_nc_u32_e32 v63, v64, v63
	v_dual_sub_nc_u32 v28, v28, v8 :: v_dual_sub_nc_u32 v1, v1, v10
	s_delay_alu instid0(VALU_DEP_3) | instskip(NEXT) | instid1(VALU_DEP_3)
	v_dual_add_nc_u32 v62, v76, v62 :: v_dual_bitop2_b32 v77, 1, v7 bitop3:0x40
	v_dual_mov_b32 v7, v9 :: v_dual_add_nc_u32 v78, v63, v48
	v_mov_b32_e32 v11, v9
	s_delay_alu instid0(VALU_DEP_3) | instskip(SKIP_1) | instid1(VALU_DEP_4)
	v_dual_add_nc_u32 v1, v1, v6 :: v_dual_add_nc_u32 v61, v62, v61
	v_add3_u32 v15, v66, v12, v15
	v_add_nc_u32_e32 v60, v78, v60
	s_delay_alu instid0(VALU_DEP_3) | instskip(NEXT) | instid1(VALU_DEP_4)
	v_dual_sub_nc_u32 v74, v74, v10 :: v_dual_add_nc_u32 v81, v28, v1
	v_dual_add_nc_u32 v79, v61, v59 :: v_dual_sub_nc_u32 v75, v75, v8
	s_delay_alu instid0(VALU_DEP_3) | instskip(SKIP_1) | instid1(VALU_DEP_4)
	v_add_nc_u32_e32 v80, v60, v58
	v_cmp_eq_u32_e32 vcc_lo, 1, v77
	v_dual_add_nc_u32 v74, v74, v6 :: v_dual_sub_nc_u32 v64, v64, v8
	s_delay_alu instid0(VALU_DEP_3) | instskip(SKIP_2) | instid1(VALU_DEP_3)
	v_dual_add_nc_u32 v82, v79, v47 :: v_dual_add_nc_u32 v56, v80, v56
	v_dual_sub_nc_u32 v81, v15, v81 :: v_dual_sub_nc_u32 v65, v65, v10
	v_sub_nc_u64_e32 v[58:59], v[4:5], v[6:7]
	v_dual_add_nc_u32 v57, v82, v57 :: v_dual_add_nc_u32 v83, v56, v46
	s_delay_alu instid0(VALU_DEP_3) | instskip(SKIP_1) | instid1(VALU_DEP_3)
	v_dual_cndmask_b32 v1, v81, v1, vcc_lo :: v_dual_add_nc_u32 v81, v74, v75
	v_cmp_eq_u32_e32 vcc_lo, 1, v36
	v_dual_add_nc_u32 v55, v57, v55 :: v_dual_add_nc_u32 v77, v83, v53
	v_and_b32_e32 v72, 1, v72
	v_dual_sub_nc_u32 v63, v63, v8 :: v_dual_bitop2_b32 v49, 1, v49 bitop3:0x40
	s_delay_alu instid0(VALU_DEP_3) | instskip(NEXT) | instid1(VALU_DEP_4)
	v_dual_cndmask_b32 v1, v1, v28 :: v_dual_add_nc_u32 v28, v55, v54
	v_add_nc_u32_e32 v36, v77, v52
	v_add_nc_u32_e32 v54, v65, v6
	v_add_nc_u64_e32 v[52:53], v[58:59], v[10:11]
	s_delay_alu instid0(VALU_DEP_4)
	v_lshlrev_b32_e32 v1, 2, v1
	v_add_nc_u32_e32 v58, v28, v45
	v_dual_add_nc_u32 v51, v36, v51 :: v_dual_sub_nc_u32 v59, v15, v81
	v_add_nc_u32_e32 v65, v54, v64
	ds_store_b32 v1, v26
	v_dual_add_nc_u32 v1, v58, v50 :: v_dual_add_nc_u32 v26, v51, v44
	v_dual_sub_nc_u32 v73, v76, v10 :: v_dual_bitop2_b32 v50, 1, v73 bitop3:0x40
	v_dual_sub_nc_u32 v65, v15, v65 :: v_dual_add_nc_u32 v59, 1, v59
	v_cmp_eq_u32_e32 vcc_lo, 1, v72
	s_delay_alu instid0(VALU_DEP_3) | instskip(NEXT) | instid1(VALU_DEP_3)
	v_dual_add_nc_u32 v73, v73, v6 :: v_dual_bitop2_b32 v71, 1, v71 bitop3:0x40
	v_add_nc_u32_e32 v65, 2, v65
	v_dual_lshrrev_b32 v70, 8, v37 :: v_dual_lshrrev_b32 v69, 16, v37
	v_cndmask_b32_e32 v59, v59, v74, vcc_lo
	v_cmp_eq_u32_e32 vcc_lo, 1, v49
	v_dual_add_nc_u32 v72, v63, v73 :: v_dual_lshrrev_b32 v33, 16, v38
	v_dual_lshrrev_b32 v68, 8, v38 :: v_dual_lshrrev_b32 v31, 16, v40
	v_dual_cndmask_b32 v49, v65, v54 :: v_dual_lshrrev_b32 v32, 8, v40
	v_cmp_eq_u32_e32 vcc_lo, 1, v50
	s_delay_alu instid0(VALU_DEP_4)
	v_dual_sub_nc_u32 v54, v15, v72 :: v_dual_lshrrev_b32 v30, 8, v41
	v_dual_lshrrev_b32 v29, 16, v41 :: v_dual_sub_nc_u32 v1, v1, v10
	v_cndmask_b32_e32 v50, v59, v75, vcc_lo
	v_cmp_eq_u32_e32 vcc_lo, 1, v71
	v_dual_sub_nc_u32 v59, v62, v10 :: v_dual_bitop2_b32 v37, 1, v37 bitop3:0x40
	v_dual_add_nc_u32 v54, 3, v54 :: v_dual_bitop2_b32 v48, 1, v48 bitop3:0x40
	v_cndmask_b32_e32 v49, v49, v64, vcc_lo
	v_dual_sub_nc_u32 v62, v78, v8 :: v_dual_lshlrev_b32 v50, 2, v50
	s_delay_alu instid0(VALU_DEP_4) | instskip(SKIP_1) | instid1(VALU_DEP_4)
	v_add_nc_u32_e32 v59, v59, v6
	v_cmp_eq_u32_e32 vcc_lo, 1, v37
	v_lshlrev_b32_e32 v49, 2, v49
	v_add_nc_u64_e32 v[2:3], v[2:3], v[8:9]
	ds_store_b32 v50, v27
	v_dual_sub_nc_u32 v27, v61, v10 :: v_dual_cndmask_b32 v37, v54, v73, vcc_lo
	v_add_nc_u32_e32 v54, v62, v59
	v_cmp_eq_u32_e32 vcc_lo, 1, v48
	ds_store_b32 v49, v24
	v_dual_sub_nc_u32 v48, v60, v8 :: v_dual_sub_nc_u32 v50, v79, v10
	v_dual_cndmask_b32 v37, v37, v63 :: v_dual_sub_nc_u32 v24, v15, v54
	v_dual_add_nc_u32 v27, v27, v6 :: v_dual_mov_b32 v67, v9
	s_delay_alu instid0(VALU_DEP_2) | instskip(NEXT) | instid1(VALU_DEP_3)
	v_dual_mov_b32 v13, v9 :: v_dual_add_nc_u32 v24, 4, v24
	v_dual_lshlrev_b32 v37, 2, v37 :: v_dual_bitop2_b32 v49, 1, v70 bitop3:0x40
	s_delay_alu instid0(VALU_DEP_3)
	v_add_nc_u32_e32 v54, v48, v27
	s_mov_b32 s0, -1
	v_and_b32_e32 v40, 1, v40
	ds_store_b32 v37, v25
	v_cmp_eq_u32_e32 vcc_lo, 1, v49
	v_dual_sub_nc_u32 v49, v80, v8 :: v_dual_bitop2_b32 v38, 1, v38 bitop3:0x40
	v_dual_add_nc_u32 v50, v50, v6 :: v_dual_bitop2_b32 v37, 1, v69 bitop3:0x40
	v_cndmask_b32_e32 v24, v24, v59, vcc_lo
	s_delay_alu instid0(VALU_DEP_3) | instskip(SKIP_1) | instid1(VALU_DEP_3)
	v_cmp_eq_u32_e32 vcc_lo, 1, v38
	v_and_b32_e32 v32, 1, v32
	v_dual_cndmask_b32 v24, v24, v62, vcc_lo :: v_dual_bitop2_b32 v31, 1, v31 bitop3:0x40
	v_sub_nc_u32_e32 v54, v15, v54
	v_cmp_eq_u32_e32 vcc_lo, 1, v37
	s_delay_alu instid0(VALU_DEP_3) | instskip(NEXT) | instid1(VALU_DEP_3)
	v_dual_sub_nc_u32 v37, v57, v10 :: v_dual_lshlrev_b32 v24, 2, v24
	v_add_nc_u32_e32 v38, 5, v54
	v_dual_add_nc_u32 v25, v49, v50 :: v_dual_bitop2_b32 v54, 1, v68 bitop3:0x40
	ds_store_b32 v24, v22
	v_dual_cndmask_b32 v27, v38, v27, vcc_lo :: v_dual_sub_nc_u32 v25, v15, v25
	v_and_b32_e32 v22, 1, v47
	v_cmp_eq_u32_e32 vcc_lo, 1, v54
	v_dual_sub_nc_u32 v38, v55, v10 :: v_dual_sub_nc_u32 v47, v77, v8
	s_delay_alu instid0(VALU_DEP_4) | instskip(SKIP_3) | instid1(VALU_DEP_3)
	v_dual_cndmask_b32 v25, v27, v48 :: v_dual_add_nc_u32 v24, 6, v25
	v_sub_nc_u32_e32 v27, v82, v10
	v_cmp_eq_u32_e32 vcc_lo, 1, v22
	v_and_b32_e32 v33, 1, v33
	v_dual_lshlrev_b32 v25, 2, v25 :: v_dual_add_nc_u32 v27, v27, v6
	v_cndmask_b32_e32 v22, v24, v50, vcc_lo
	v_sub_nc_u32_e32 v24, v56, v8
	s_delay_alu instid0(VALU_DEP_4)
	v_cmp_eq_u32_e32 vcc_lo, 1, v33
	ds_store_b32 v25, v23
	v_dual_sub_nc_u32 v23, v83, v8 :: v_dual_add_nc_u32 v25, v37, v6
	v_dual_cndmask_b32 v22, v22, v49 :: v_dual_add_nc_u32 v33, v24, v27
	v_and_b32_e32 v37, 1, v46
	v_cmp_eq_u32_e32 vcc_lo, 1, v40
	s_delay_alu instid0(VALU_DEP_4) | instskip(NEXT) | instid1(VALU_DEP_4)
	v_add_nc_u32_e32 v46, v23, v25
	v_dual_sub_nc_u32 v33, v15, v33 :: v_dual_lshlrev_b32 v22, 2, v22
	s_delay_alu instid0(VALU_DEP_1)
	v_dual_sub_nc_u32 v46, v15, v46 :: v_dual_add_nc_u32 v33, 7, v33
	v_add_nc_u32_e32 v38, v38, v6
	ds_store_b32 v22, v20
	v_dual_cndmask_b32 v27, v33, v27, vcc_lo :: v_dual_bitop2_b32 v22, 1, v45 bitop3:0x40
	v_cmp_eq_u32_e32 vcc_lo, 1, v37
	v_add_nc_u32_e32 v33, v47, v38
	s_delay_alu instid0(VALU_DEP_3) | instskip(SKIP_2) | instid1(VALU_DEP_3)
	v_dual_add_nc_u32 v40, 8, v46 :: v_dual_cndmask_b32 v24, v27, v24, vcc_lo
	v_and_b32_e32 v27, 1, v41
	v_cmp_eq_u32_e32 vcc_lo, 1, v32
	v_dual_sub_nc_u32 v33, v15, v33 :: v_dual_lshlrev_b32 v24, 2, v24
	s_delay_alu instid0(VALU_DEP_4) | instskip(NEXT) | instid1(VALU_DEP_4)
	v_cndmask_b32_e32 v25, v40, v25, vcc_lo
	v_cmp_eq_u32_e32 vcc_lo, 1, v27
	s_delay_alu instid0(VALU_DEP_3) | instskip(NEXT) | instid1(VALU_DEP_3)
	v_dual_add_nc_u32 v32, 9, v33 :: v_dual_bitop2_b32 v27, 1, v30 bitop3:0x40
	v_dual_cndmask_b32 v23, v25, v23 :: v_dual_sub_nc_u32 v30, v36, v8
	v_sub_nc_u32_e32 v25, v28, v10
	v_cmp_eq_u32_e32 vcc_lo, 1, v31
	s_delay_alu instid0(VALU_DEP_2)
	v_dual_lshlrev_b32 v23, 2, v23 :: v_dual_add_nc_u32 v25, v25, v6
	v_cndmask_b32_e32 v28, v32, v38, vcc_lo
	v_cmp_eq_u32_e32 vcc_lo, 1, v27
	ds_store_b32 v24, v21
	ds_store_b32 v23, v18
	v_sub_nc_u32_e32 v21, v58, v10
	v_dual_add_nc_u32 v20, v30, v25 :: v_dual_sub_nc_u32 v23, v51, v8
	v_dual_cndmask_b32 v27, v28, v47 :: v_dual_sub_nc_u32 v8, v26, v8
	s_delay_alu instid0(VALU_DEP_2) | instskip(NEXT) | instid1(VALU_DEP_2)
	v_dual_add_nc_u32 v1, v1, v6 :: v_dual_sub_nc_u32 v20, v15, v20
	v_dual_add_nc_u32 v21, v21, v6 :: v_dual_lshlrev_b32 v18, 2, v27
	v_cmp_eq_u32_e32 vcc_lo, 1, v22
	s_delay_alu instid0(VALU_DEP_3) | instskip(SKIP_3) | instid1(VALU_DEP_1)
	v_dual_add_nc_u32 v22, v8, v1 :: v_dual_add_nc_u32 v20, 10, v20
	ds_store_b32 v18, v19
	v_cndmask_b32_e32 v20, v20, v25, vcc_lo
	v_add_nc_u32_e32 v26, v23, v21
	v_dual_sub_nc_u32 v18, v15, v26 :: v_dual_bitop2_b32 v24, 1, v29 bitop3:0x40
	s_delay_alu instid0(VALU_DEP_1) | instskip(SKIP_1) | instid1(VALU_DEP_3)
	v_cmp_eq_u32_e32 vcc_lo, 1, v24
	v_dual_sub_nc_u32 v15, v15, v22 :: v_dual_bitop2_b32 v24, 1, v39 bitop3:0x40
	v_dual_add_nc_u32 v25, 11, v18 :: v_dual_bitop2_b32 v22, 1, v44 bitop3:0x40
	v_cndmask_b32_e32 v20, v20, v30, vcc_lo
	s_delay_alu instid0(VALU_DEP_3) | instskip(SKIP_4) | instid1(VALU_DEP_4)
	v_cmp_eq_u32_e32 vcc_lo, 1, v24
	v_and_b32_e32 v26, 1, v43
	v_dual_add_nc_u32 v15, 12, v15 :: v_dual_bitop2_b32 v24, 1, v42 bitop3:0x40
	v_add_nc_u64_e32 v[18:19], v[12:13], v[66:67]
	v_cndmask_b32_e32 v21, v25, v21, vcc_lo
	v_cmp_eq_u32_e32 vcc_lo, 1, v26
	s_delay_alu instid0(VALU_DEP_4)
	v_dual_cndmask_b32 v1, v15, v1 :: v_dual_lshlrev_b32 v20, 2, v20
	v_cmp_eq_u32_e32 vcc_lo, 1, v22
	v_add_nc_u64_e32 v[18:19], v[18:19], v[52:53]
	v_mov_b32_e32 v15, v9
	ds_store_b32 v20, v16
	v_cndmask_b32_e32 v21, v21, v23, vcc_lo
	v_cmp_eq_u32_e32 vcc_lo, 1, v24
	s_delay_alu instid0(VALU_DEP_2)
	v_dual_cndmask_b32 v1, v1, v8 :: v_dual_lshlrev_b32 v22, 2, v21
	v_add_nc_u64_e32 v[8:9], s[34:35], v[14:15]
	v_add_nc_u64_e32 v[14:15], v[18:19], v[2:3]
	v_lshlrev_b64_e32 v[18:19], 2, v[52:53]
	v_lshlrev_b64_e32 v[20:21], 2, v[2:3]
	v_lshlrev_b32_e32 v1, 2, v1
	v_cmp_ne_u32_e32 vcc_lo, 1, v35
	v_sub_nc_u64_e32 v[14:15], v[8:9], v[14:15]
	v_add_nc_u64_e32 v[8:9], s[30:31], v[18:19]
	v_add_nc_u32_e32 v18, v6, v12
	ds_store_b32 v22, v17
	ds_store_b32 v1, v34
	v_add_nc_u64_e32 v[16:17], s[28:29], v[20:21]
	s_wait_dscnt 0x0
	s_barrier_signal -1
	s_barrier_wait -1
	s_cbranch_vccz .LBB969_154
; %bb.151:
	s_and_b32 vcc_lo, exec_lo, s0
	s_cbranch_vccnz .LBB969_259
.LBB969_152:
	s_and_b32 s0, s2, s26
	s_delay_alu instid0(SALU_CYCLE_1)
	s_and_saveexec_b32 s1, s0
	s_cbranch_execnz .LBB969_377
.LBB969_153:
	s_sendmsg sendmsg(MSG_DEALLOC_VGPRS)
	s_endpgm
.LBB969_154:
	s_mov_b32 s0, exec_lo
	v_cmpx_ge_u32_e64 v0, v6
	s_xor_b32 s0, exec_lo, s0
	s_cbranch_execz .LBB969_160
; %bb.155:
	v_mov_b32_e32 v1, 0
	s_mov_b32 s1, exec_lo
	v_cmpx_ge_u32_e64 v0, v18
	s_xor_b32 s1, exec_lo, s1
	s_cbranch_execz .LBB969_157
; %bb.156:
	v_lshlrev_b32_e32 v19, 2, v0
	v_add_nc_u64_e32 v[20:21], v[14:15], v[0:1]
	ds_load_b32 v1, v19
	v_lshlrev_b64_e32 v[20:21], 2, v[20:21]
	s_delay_alu instid0(VALU_DEP_1)
	v_sub_nc_u64_e32 v[20:21], s[14:15], v[20:21]
	s_wait_dscnt 0x0
	global_store_b32 v[20:21], v1, off offset:-4
.LBB969_157:
	s_wait_xcnt 0x0
	s_and_not1_saveexec_b32 s1, s1
	s_cbranch_execz .LBB969_159
; %bb.158:
	v_lshlrev_b32_e32 v1, 2, v0
	v_readfirstlane_b32 s6, v8
	v_readfirstlane_b32 s7, v9
	ds_load_b32 v1, v1
	s_wait_dscnt 0x0
	global_store_b32 v0, v1, s[6:7] scale_offset
.LBB969_159:
	s_wait_xcnt 0x0
	s_or_b32 exec_lo, exec_lo, s1
.LBB969_160:
	s_and_not1_saveexec_b32 s0, s0
	s_cbranch_execz .LBB969_162
; %bb.161:
	v_lshlrev_b32_e32 v1, 2, v0
	v_readfirstlane_b32 s6, v16
	v_readfirstlane_b32 s7, v17
	ds_load_b32 v1, v1
	s_wait_dscnt 0x0
	global_store_b32 v0, v1, s[6:7] scale_offset
.LBB969_162:
	s_wait_xcnt 0x0
	s_or_b32 exec_lo, exec_lo, s0
	v_or_b32_e32 v1, 0x100, v0
	s_mov_b32 s0, exec_lo
	s_delay_alu instid0(VALU_DEP_1)
	v_cmpx_ge_u32_e64 v1, v6
	s_xor_b32 s0, exec_lo, s0
	s_cbranch_execz .LBB969_168
; %bb.163:
	s_mov_b32 s1, exec_lo
	v_cmpx_ge_u32_e64 v1, v18
	s_xor_b32 s1, exec_lo, s1
	s_cbranch_execz .LBB969_165
; %bb.164:
	v_dual_mov_b32 v1, 0 :: v_dual_lshlrev_b32 v19, 2, v0
	s_delay_alu instid0(VALU_DEP_1) | instskip(SKIP_2) | instid1(VALU_DEP_1)
	v_add_nc_u64_e32 v[20:21], v[14:15], v[0:1]
	ds_load_b32 v1, v19 offset:1024
	v_lshlrev_b64_e32 v[20:21], 2, v[20:21]
	v_sub_nc_u64_e32 v[20:21], s[14:15], v[20:21]
	s_wait_dscnt 0x0
	global_store_b32 v[20:21], v1, off offset:-1028
.LBB969_165:
	s_wait_xcnt 0x0
	s_and_not1_saveexec_b32 s1, s1
	s_cbranch_execz .LBB969_167
; %bb.166:
	v_lshlrev_b32_e32 v1, 2, v0
	v_readfirstlane_b32 s6, v8
	v_readfirstlane_b32 s7, v9
	ds_load_b32 v1, v1 offset:1024
	s_wait_dscnt 0x0
	global_store_b32 v0, v1, s[6:7] offset:1024 scale_offset
.LBB969_167:
	s_wait_xcnt 0x0
	s_or_b32 exec_lo, exec_lo, s1
.LBB969_168:
	s_and_not1_saveexec_b32 s0, s0
	s_cbranch_execz .LBB969_170
; %bb.169:
	v_lshlrev_b32_e32 v1, 2, v0
	v_readfirstlane_b32 s6, v16
	v_readfirstlane_b32 s7, v17
	ds_load_b32 v1, v1 offset:1024
	s_wait_dscnt 0x0
	global_store_b32 v0, v1, s[6:7] offset:1024 scale_offset
.LBB969_170:
	s_wait_xcnt 0x0
	s_or_b32 exec_lo, exec_lo, s0
	v_or_b32_e32 v1, 0x200, v0
	s_mov_b32 s0, exec_lo
	s_delay_alu instid0(VALU_DEP_1)
	v_cmpx_ge_u32_e64 v1, v6
	s_xor_b32 s0, exec_lo, s0
	s_cbranch_execz .LBB969_176
; %bb.171:
	s_mov_b32 s1, exec_lo
	v_cmpx_ge_u32_e64 v1, v18
	s_xor_b32 s1, exec_lo, s1
	s_cbranch_execz .LBB969_173
; %bb.172:
	v_dual_mov_b32 v1, 0 :: v_dual_lshlrev_b32 v19, 2, v0
	s_delay_alu instid0(VALU_DEP_1) | instskip(SKIP_2) | instid1(VALU_DEP_1)
	v_add_nc_u64_e32 v[20:21], v[14:15], v[0:1]
	ds_load_b32 v1, v19 offset:2048
	v_lshlrev_b64_e32 v[20:21], 2, v[20:21]
	v_sub_nc_u64_e32 v[20:21], s[14:15], v[20:21]
	s_wait_dscnt 0x0
	global_store_b32 v[20:21], v1, off offset:-2052
.LBB969_173:
	s_wait_xcnt 0x0
	s_and_not1_saveexec_b32 s1, s1
	s_cbranch_execz .LBB969_175
; %bb.174:
	v_lshlrev_b32_e32 v1, 2, v0
	v_readfirstlane_b32 s6, v8
	v_readfirstlane_b32 s7, v9
	ds_load_b32 v1, v1 offset:2048
	s_wait_dscnt 0x0
	global_store_b32 v0, v1, s[6:7] offset:2048 scale_offset
.LBB969_175:
	s_wait_xcnt 0x0
	s_or_b32 exec_lo, exec_lo, s1
.LBB969_176:
	s_and_not1_saveexec_b32 s0, s0
	s_cbranch_execz .LBB969_178
; %bb.177:
	v_lshlrev_b32_e32 v1, 2, v0
	v_readfirstlane_b32 s6, v16
	v_readfirstlane_b32 s7, v17
	ds_load_b32 v1, v1 offset:2048
	s_wait_dscnt 0x0
	global_store_b32 v0, v1, s[6:7] offset:2048 scale_offset
.LBB969_178:
	;; [unrolled: 47-line block ×12, first 2 shown]
	s_wait_xcnt 0x0
	s_or_b32 exec_lo, exec_lo, s0
	s_branch .LBB969_152
.LBB969_259:
	s_mov_b32 s0, exec_lo
	v_cmpx_gt_u32_e64 s5, v0
	s_cbranch_execz .LBB969_268
; %bb.260:
	s_mov_b32 s1, exec_lo
	v_cmpx_ge_u32_e64 v0, v6
	s_xor_b32 s1, exec_lo, s1
	s_cbranch_execz .LBB969_266
; %bb.261:
	v_mov_b32_e32 v1, 0
	s_mov_b32 s3, exec_lo
	v_cmpx_ge_u32_e64 v0, v18
	s_xor_b32 s3, exec_lo, s3
	s_cbranch_execz .LBB969_263
; %bb.262:
	v_lshlrev_b32_e32 v19, 2, v0
	v_add_nc_u64_e32 v[20:21], v[14:15], v[0:1]
	ds_load_b32 v1, v19
	v_lshlrev_b64_e32 v[20:21], 2, v[20:21]
	s_delay_alu instid0(VALU_DEP_1)
	v_sub_nc_u64_e32 v[20:21], s[14:15], v[20:21]
	s_wait_dscnt 0x0
	global_store_b32 v[20:21], v1, off offset:-4
.LBB969_263:
	s_wait_xcnt 0x0
	s_and_not1_saveexec_b32 s3, s3
	s_cbranch_execz .LBB969_265
; %bb.264:
	v_lshlrev_b32_e32 v1, 2, v0
	v_readfirstlane_b32 s6, v8
	v_readfirstlane_b32 s7, v9
	ds_load_b32 v1, v1
	s_wait_dscnt 0x0
	global_store_b32 v0, v1, s[6:7] scale_offset
.LBB969_265:
	s_wait_xcnt 0x0
	s_or_b32 exec_lo, exec_lo, s3
.LBB969_266:
	s_and_not1_saveexec_b32 s1, s1
	s_cbranch_execz .LBB969_268
; %bb.267:
	v_lshlrev_b32_e32 v1, 2, v0
	v_readfirstlane_b32 s6, v16
	v_readfirstlane_b32 s7, v17
	ds_load_b32 v1, v1
	s_wait_dscnt 0x0
	global_store_b32 v0, v1, s[6:7] scale_offset
.LBB969_268:
	s_wait_xcnt 0x0
	s_or_b32 exec_lo, exec_lo, s0
	v_or_b32_e32 v1, 0x100, v0
	s_mov_b32 s0, exec_lo
	s_delay_alu instid0(VALU_DEP_1)
	v_cmpx_gt_u32_e64 s5, v1
	s_cbranch_execz .LBB969_277
; %bb.269:
	s_mov_b32 s1, exec_lo
	v_cmpx_ge_u32_e64 v1, v6
	s_xor_b32 s1, exec_lo, s1
	s_cbranch_execz .LBB969_275
; %bb.270:
	s_mov_b32 s3, exec_lo
	v_cmpx_ge_u32_e64 v1, v18
	s_xor_b32 s3, exec_lo, s3
	s_cbranch_execz .LBB969_272
; %bb.271:
	v_dual_mov_b32 v1, 0 :: v_dual_lshlrev_b32 v19, 2, v0
	s_delay_alu instid0(VALU_DEP_1) | instskip(SKIP_2) | instid1(VALU_DEP_1)
	v_add_nc_u64_e32 v[20:21], v[14:15], v[0:1]
	ds_load_b32 v1, v19 offset:1024
	v_lshlrev_b64_e32 v[20:21], 2, v[20:21]
	v_sub_nc_u64_e32 v[20:21], s[14:15], v[20:21]
	s_wait_dscnt 0x0
	global_store_b32 v[20:21], v1, off offset:-1028
.LBB969_272:
	s_wait_xcnt 0x0
	s_and_not1_saveexec_b32 s3, s3
	s_cbranch_execz .LBB969_274
; %bb.273:
	v_lshlrev_b32_e32 v1, 2, v0
	v_readfirstlane_b32 s6, v8
	v_readfirstlane_b32 s7, v9
	ds_load_b32 v1, v1 offset:1024
	s_wait_dscnt 0x0
	global_store_b32 v0, v1, s[6:7] offset:1024 scale_offset
.LBB969_274:
	s_wait_xcnt 0x0
	s_or_b32 exec_lo, exec_lo, s3
.LBB969_275:
	s_and_not1_saveexec_b32 s1, s1
	s_cbranch_execz .LBB969_277
; %bb.276:
	v_lshlrev_b32_e32 v1, 2, v0
	v_readfirstlane_b32 s6, v16
	v_readfirstlane_b32 s7, v17
	ds_load_b32 v1, v1 offset:1024
	s_wait_dscnt 0x0
	global_store_b32 v0, v1, s[6:7] offset:1024 scale_offset
.LBB969_277:
	s_wait_xcnt 0x0
	s_or_b32 exec_lo, exec_lo, s0
	v_or_b32_e32 v1, 0x200, v0
	s_mov_b32 s0, exec_lo
	s_delay_alu instid0(VALU_DEP_1)
	v_cmpx_gt_u32_e64 s5, v1
	s_cbranch_execz .LBB969_286
; %bb.278:
	s_mov_b32 s1, exec_lo
	v_cmpx_ge_u32_e64 v1, v6
	s_xor_b32 s1, exec_lo, s1
	s_cbranch_execz .LBB969_284
; %bb.279:
	s_mov_b32 s3, exec_lo
	v_cmpx_ge_u32_e64 v1, v18
	s_xor_b32 s3, exec_lo, s3
	s_cbranch_execz .LBB969_281
; %bb.280:
	v_dual_mov_b32 v1, 0 :: v_dual_lshlrev_b32 v19, 2, v0
	s_delay_alu instid0(VALU_DEP_1) | instskip(SKIP_2) | instid1(VALU_DEP_1)
	v_add_nc_u64_e32 v[20:21], v[14:15], v[0:1]
	ds_load_b32 v1, v19 offset:2048
	v_lshlrev_b64_e32 v[20:21], 2, v[20:21]
	v_sub_nc_u64_e32 v[20:21], s[14:15], v[20:21]
	s_wait_dscnt 0x0
	global_store_b32 v[20:21], v1, off offset:-2052
.LBB969_281:
	s_wait_xcnt 0x0
	s_and_not1_saveexec_b32 s3, s3
	s_cbranch_execz .LBB969_283
; %bb.282:
	v_lshlrev_b32_e32 v1, 2, v0
	v_readfirstlane_b32 s6, v8
	v_readfirstlane_b32 s7, v9
	ds_load_b32 v1, v1 offset:2048
	s_wait_dscnt 0x0
	global_store_b32 v0, v1, s[6:7] offset:2048 scale_offset
.LBB969_283:
	s_wait_xcnt 0x0
	s_or_b32 exec_lo, exec_lo, s3
.LBB969_284:
	s_and_not1_saveexec_b32 s1, s1
	s_cbranch_execz .LBB969_286
; %bb.285:
	v_lshlrev_b32_e32 v1, 2, v0
	v_readfirstlane_b32 s6, v16
	v_readfirstlane_b32 s7, v17
	ds_load_b32 v1, v1 offset:2048
	s_wait_dscnt 0x0
	global_store_b32 v0, v1, s[6:7] offset:2048 scale_offset
.LBB969_286:
	s_wait_xcnt 0x0
	s_or_b32 exec_lo, exec_lo, s0
	v_or_b32_e32 v1, 0x300, v0
	s_mov_b32 s0, exec_lo
	s_delay_alu instid0(VALU_DEP_1)
	v_cmpx_gt_u32_e64 s5, v1
	s_cbranch_execz .LBB969_295
; %bb.287:
	s_mov_b32 s1, exec_lo
	v_cmpx_ge_u32_e64 v1, v6
	s_xor_b32 s1, exec_lo, s1
	s_cbranch_execz .LBB969_293
; %bb.288:
	s_mov_b32 s3, exec_lo
	v_cmpx_ge_u32_e64 v1, v18
	s_xor_b32 s3, exec_lo, s3
	s_cbranch_execz .LBB969_290
; %bb.289:
	v_dual_mov_b32 v1, 0 :: v_dual_lshlrev_b32 v19, 2, v0
	s_delay_alu instid0(VALU_DEP_1) | instskip(SKIP_2) | instid1(VALU_DEP_1)
	v_add_nc_u64_e32 v[20:21], v[14:15], v[0:1]
	ds_load_b32 v1, v19 offset:3072
	v_lshlrev_b64_e32 v[20:21], 2, v[20:21]
	v_sub_nc_u64_e32 v[20:21], s[14:15], v[20:21]
	s_wait_dscnt 0x0
	global_store_b32 v[20:21], v1, off offset:-3076
.LBB969_290:
	s_wait_xcnt 0x0
	s_and_not1_saveexec_b32 s3, s3
	s_cbranch_execz .LBB969_292
; %bb.291:
	v_lshlrev_b32_e32 v1, 2, v0
	v_readfirstlane_b32 s6, v8
	v_readfirstlane_b32 s7, v9
	ds_load_b32 v1, v1 offset:3072
	s_wait_dscnt 0x0
	global_store_b32 v0, v1, s[6:7] offset:3072 scale_offset
.LBB969_292:
	s_wait_xcnt 0x0
	s_or_b32 exec_lo, exec_lo, s3
.LBB969_293:
	s_and_not1_saveexec_b32 s1, s1
	s_cbranch_execz .LBB969_295
; %bb.294:
	v_lshlrev_b32_e32 v1, 2, v0
	v_readfirstlane_b32 s6, v16
	v_readfirstlane_b32 s7, v17
	ds_load_b32 v1, v1 offset:3072
	s_wait_dscnt 0x0
	global_store_b32 v0, v1, s[6:7] offset:3072 scale_offset
.LBB969_295:
	s_wait_xcnt 0x0
	s_or_b32 exec_lo, exec_lo, s0
	v_or_b32_e32 v1, 0x400, v0
	s_mov_b32 s0, exec_lo
	s_delay_alu instid0(VALU_DEP_1)
	v_cmpx_gt_u32_e64 s5, v1
	s_cbranch_execz .LBB969_304
; %bb.296:
	s_mov_b32 s1, exec_lo
	v_cmpx_ge_u32_e64 v1, v6
	s_xor_b32 s1, exec_lo, s1
	s_cbranch_execz .LBB969_302
; %bb.297:
	s_mov_b32 s3, exec_lo
	v_cmpx_ge_u32_e64 v1, v18
	s_xor_b32 s3, exec_lo, s3
	s_cbranch_execz .LBB969_299
; %bb.298:
	v_dual_mov_b32 v1, 0 :: v_dual_lshlrev_b32 v19, 2, v0
	s_delay_alu instid0(VALU_DEP_1) | instskip(SKIP_2) | instid1(VALU_DEP_1)
	v_add_nc_u64_e32 v[20:21], v[14:15], v[0:1]
	ds_load_b32 v1, v19 offset:4096
	v_lshlrev_b64_e32 v[20:21], 2, v[20:21]
	v_sub_nc_u64_e32 v[20:21], s[14:15], v[20:21]
	s_wait_dscnt 0x0
	global_store_b32 v[20:21], v1, off offset:-4100
.LBB969_299:
	s_wait_xcnt 0x0
	s_and_not1_saveexec_b32 s3, s3
	s_cbranch_execz .LBB969_301
; %bb.300:
	v_lshlrev_b32_e32 v1, 2, v0
	v_readfirstlane_b32 s6, v8
	v_readfirstlane_b32 s7, v9
	ds_load_b32 v1, v1 offset:4096
	s_wait_dscnt 0x0
	global_store_b32 v0, v1, s[6:7] offset:4096 scale_offset
.LBB969_301:
	s_wait_xcnt 0x0
	s_or_b32 exec_lo, exec_lo, s3
.LBB969_302:
	s_and_not1_saveexec_b32 s1, s1
	s_cbranch_execz .LBB969_304
; %bb.303:
	v_lshlrev_b32_e32 v1, 2, v0
	v_readfirstlane_b32 s6, v16
	v_readfirstlane_b32 s7, v17
	ds_load_b32 v1, v1 offset:4096
	s_wait_dscnt 0x0
	global_store_b32 v0, v1, s[6:7] offset:4096 scale_offset
.LBB969_304:
	s_wait_xcnt 0x0
	s_or_b32 exec_lo, exec_lo, s0
	v_or_b32_e32 v1, 0x500, v0
	s_mov_b32 s0, exec_lo
	s_delay_alu instid0(VALU_DEP_1)
	v_cmpx_gt_u32_e64 s5, v1
	s_cbranch_execz .LBB969_313
; %bb.305:
	s_mov_b32 s1, exec_lo
	v_cmpx_ge_u32_e64 v1, v6
	s_xor_b32 s1, exec_lo, s1
	s_cbranch_execz .LBB969_311
; %bb.306:
	s_mov_b32 s3, exec_lo
	v_cmpx_ge_u32_e64 v1, v18
	s_xor_b32 s3, exec_lo, s3
	s_cbranch_execz .LBB969_308
; %bb.307:
	v_dual_mov_b32 v1, 0 :: v_dual_lshlrev_b32 v19, 2, v0
	s_delay_alu instid0(VALU_DEP_1) | instskip(SKIP_2) | instid1(VALU_DEP_1)
	v_add_nc_u64_e32 v[20:21], v[14:15], v[0:1]
	ds_load_b32 v1, v19 offset:5120
	v_lshlrev_b64_e32 v[20:21], 2, v[20:21]
	v_sub_nc_u64_e32 v[20:21], s[14:15], v[20:21]
	s_wait_dscnt 0x0
	global_store_b32 v[20:21], v1, off offset:-5124
.LBB969_308:
	s_wait_xcnt 0x0
	s_and_not1_saveexec_b32 s3, s3
	s_cbranch_execz .LBB969_310
; %bb.309:
	v_lshlrev_b32_e32 v1, 2, v0
	v_readfirstlane_b32 s6, v8
	v_readfirstlane_b32 s7, v9
	ds_load_b32 v1, v1 offset:5120
	s_wait_dscnt 0x0
	global_store_b32 v0, v1, s[6:7] offset:5120 scale_offset
.LBB969_310:
	s_wait_xcnt 0x0
	s_or_b32 exec_lo, exec_lo, s3
.LBB969_311:
	s_and_not1_saveexec_b32 s1, s1
	s_cbranch_execz .LBB969_313
; %bb.312:
	v_lshlrev_b32_e32 v1, 2, v0
	v_readfirstlane_b32 s6, v16
	v_readfirstlane_b32 s7, v17
	ds_load_b32 v1, v1 offset:5120
	s_wait_dscnt 0x0
	global_store_b32 v0, v1, s[6:7] offset:5120 scale_offset
.LBB969_313:
	s_wait_xcnt 0x0
	s_or_b32 exec_lo, exec_lo, s0
	v_or_b32_e32 v1, 0x600, v0
	s_mov_b32 s0, exec_lo
	s_delay_alu instid0(VALU_DEP_1)
	v_cmpx_gt_u32_e64 s5, v1
	s_cbranch_execz .LBB969_322
; %bb.314:
	s_mov_b32 s1, exec_lo
	v_cmpx_ge_u32_e64 v1, v6
	s_xor_b32 s1, exec_lo, s1
	s_cbranch_execz .LBB969_320
; %bb.315:
	s_mov_b32 s3, exec_lo
	v_cmpx_ge_u32_e64 v1, v18
	s_xor_b32 s3, exec_lo, s3
	s_cbranch_execz .LBB969_317
; %bb.316:
	v_dual_mov_b32 v1, 0 :: v_dual_lshlrev_b32 v19, 2, v0
	s_delay_alu instid0(VALU_DEP_1) | instskip(SKIP_2) | instid1(VALU_DEP_1)
	v_add_nc_u64_e32 v[20:21], v[14:15], v[0:1]
	ds_load_b32 v1, v19 offset:6144
	v_lshlrev_b64_e32 v[20:21], 2, v[20:21]
	v_sub_nc_u64_e32 v[20:21], s[14:15], v[20:21]
	s_wait_dscnt 0x0
	global_store_b32 v[20:21], v1, off offset:-6148
.LBB969_317:
	s_wait_xcnt 0x0
	s_and_not1_saveexec_b32 s3, s3
	s_cbranch_execz .LBB969_319
; %bb.318:
	v_lshlrev_b32_e32 v1, 2, v0
	v_readfirstlane_b32 s6, v8
	v_readfirstlane_b32 s7, v9
	ds_load_b32 v1, v1 offset:6144
	s_wait_dscnt 0x0
	global_store_b32 v0, v1, s[6:7] offset:6144 scale_offset
.LBB969_319:
	s_wait_xcnt 0x0
	s_or_b32 exec_lo, exec_lo, s3
.LBB969_320:
	s_and_not1_saveexec_b32 s1, s1
	s_cbranch_execz .LBB969_322
; %bb.321:
	v_lshlrev_b32_e32 v1, 2, v0
	v_readfirstlane_b32 s6, v16
	v_readfirstlane_b32 s7, v17
	ds_load_b32 v1, v1 offset:6144
	s_wait_dscnt 0x0
	global_store_b32 v0, v1, s[6:7] offset:6144 scale_offset
.LBB969_322:
	s_wait_xcnt 0x0
	s_or_b32 exec_lo, exec_lo, s0
	v_or_b32_e32 v1, 0x700, v0
	s_mov_b32 s0, exec_lo
	s_delay_alu instid0(VALU_DEP_1)
	v_cmpx_gt_u32_e64 s5, v1
	s_cbranch_execz .LBB969_331
; %bb.323:
	s_mov_b32 s1, exec_lo
	v_cmpx_ge_u32_e64 v1, v6
	s_xor_b32 s1, exec_lo, s1
	s_cbranch_execz .LBB969_329
; %bb.324:
	s_mov_b32 s3, exec_lo
	v_cmpx_ge_u32_e64 v1, v18
	s_xor_b32 s3, exec_lo, s3
	s_cbranch_execz .LBB969_326
; %bb.325:
	v_dual_mov_b32 v1, 0 :: v_dual_lshlrev_b32 v19, 2, v0
	s_delay_alu instid0(VALU_DEP_1) | instskip(SKIP_2) | instid1(VALU_DEP_1)
	v_add_nc_u64_e32 v[20:21], v[14:15], v[0:1]
	ds_load_b32 v1, v19 offset:7168
	v_lshlrev_b64_e32 v[20:21], 2, v[20:21]
	v_sub_nc_u64_e32 v[20:21], s[14:15], v[20:21]
	s_wait_dscnt 0x0
	global_store_b32 v[20:21], v1, off offset:-7172
.LBB969_326:
	s_wait_xcnt 0x0
	s_and_not1_saveexec_b32 s3, s3
	s_cbranch_execz .LBB969_328
; %bb.327:
	v_lshlrev_b32_e32 v1, 2, v0
	v_readfirstlane_b32 s6, v8
	v_readfirstlane_b32 s7, v9
	ds_load_b32 v1, v1 offset:7168
	s_wait_dscnt 0x0
	global_store_b32 v0, v1, s[6:7] offset:7168 scale_offset
.LBB969_328:
	s_wait_xcnt 0x0
	s_or_b32 exec_lo, exec_lo, s3
.LBB969_329:
	s_and_not1_saveexec_b32 s1, s1
	s_cbranch_execz .LBB969_331
; %bb.330:
	v_lshlrev_b32_e32 v1, 2, v0
	v_readfirstlane_b32 s6, v16
	v_readfirstlane_b32 s7, v17
	ds_load_b32 v1, v1 offset:7168
	s_wait_dscnt 0x0
	global_store_b32 v0, v1, s[6:7] offset:7168 scale_offset
.LBB969_331:
	s_wait_xcnt 0x0
	s_or_b32 exec_lo, exec_lo, s0
	v_or_b32_e32 v1, 0x800, v0
	s_mov_b32 s0, exec_lo
	s_delay_alu instid0(VALU_DEP_1)
	v_cmpx_gt_u32_e64 s5, v1
	s_cbranch_execz .LBB969_340
; %bb.332:
	s_mov_b32 s1, exec_lo
	v_cmpx_ge_u32_e64 v1, v6
	s_xor_b32 s1, exec_lo, s1
	s_cbranch_execz .LBB969_338
; %bb.333:
	s_mov_b32 s3, exec_lo
	v_cmpx_ge_u32_e64 v1, v18
	s_xor_b32 s3, exec_lo, s3
	s_cbranch_execz .LBB969_335
; %bb.334:
	v_dual_mov_b32 v1, 0 :: v_dual_lshlrev_b32 v19, 2, v0
	s_delay_alu instid0(VALU_DEP_1) | instskip(SKIP_2) | instid1(VALU_DEP_1)
	v_add_nc_u64_e32 v[20:21], v[14:15], v[0:1]
	ds_load_b32 v1, v19 offset:8192
	v_lshlrev_b64_e32 v[20:21], 2, v[20:21]
	v_sub_nc_u64_e32 v[20:21], s[14:15], v[20:21]
	s_wait_dscnt 0x0
	global_store_b32 v[20:21], v1, off offset:-8196
.LBB969_335:
	s_wait_xcnt 0x0
	s_and_not1_saveexec_b32 s3, s3
	s_cbranch_execz .LBB969_337
; %bb.336:
	v_lshlrev_b32_e32 v1, 2, v0
	v_readfirstlane_b32 s6, v8
	v_readfirstlane_b32 s7, v9
	ds_load_b32 v1, v1 offset:8192
	s_wait_dscnt 0x0
	global_store_b32 v0, v1, s[6:7] offset:8192 scale_offset
.LBB969_337:
	s_wait_xcnt 0x0
	s_or_b32 exec_lo, exec_lo, s3
.LBB969_338:
	s_and_not1_saveexec_b32 s1, s1
	s_cbranch_execz .LBB969_340
; %bb.339:
	v_lshlrev_b32_e32 v1, 2, v0
	v_readfirstlane_b32 s6, v16
	v_readfirstlane_b32 s7, v17
	ds_load_b32 v1, v1 offset:8192
	s_wait_dscnt 0x0
	global_store_b32 v0, v1, s[6:7] offset:8192 scale_offset
.LBB969_340:
	s_wait_xcnt 0x0
	s_or_b32 exec_lo, exec_lo, s0
	v_or_b32_e32 v1, 0x900, v0
	s_mov_b32 s0, exec_lo
	s_delay_alu instid0(VALU_DEP_1)
	v_cmpx_gt_u32_e64 s5, v1
	s_cbranch_execz .LBB969_349
; %bb.341:
	s_mov_b32 s1, exec_lo
	v_cmpx_ge_u32_e64 v1, v6
	s_xor_b32 s1, exec_lo, s1
	s_cbranch_execz .LBB969_347
; %bb.342:
	s_mov_b32 s3, exec_lo
	v_cmpx_ge_u32_e64 v1, v18
	s_xor_b32 s3, exec_lo, s3
	s_cbranch_execz .LBB969_344
; %bb.343:
	v_dual_mov_b32 v1, 0 :: v_dual_lshlrev_b32 v19, 2, v0
	s_delay_alu instid0(VALU_DEP_1) | instskip(SKIP_2) | instid1(VALU_DEP_1)
	v_add_nc_u64_e32 v[20:21], v[14:15], v[0:1]
	ds_load_b32 v1, v19 offset:9216
	v_lshlrev_b64_e32 v[20:21], 2, v[20:21]
	v_sub_nc_u64_e32 v[20:21], s[14:15], v[20:21]
	s_wait_dscnt 0x0
	global_store_b32 v[20:21], v1, off offset:-9220
.LBB969_344:
	s_wait_xcnt 0x0
	s_and_not1_saveexec_b32 s3, s3
	s_cbranch_execz .LBB969_346
; %bb.345:
	v_lshlrev_b32_e32 v1, 2, v0
	v_readfirstlane_b32 s6, v8
	v_readfirstlane_b32 s7, v9
	ds_load_b32 v1, v1 offset:9216
	s_wait_dscnt 0x0
	global_store_b32 v0, v1, s[6:7] offset:9216 scale_offset
.LBB969_346:
	s_wait_xcnt 0x0
	s_or_b32 exec_lo, exec_lo, s3
.LBB969_347:
	s_and_not1_saveexec_b32 s1, s1
	s_cbranch_execz .LBB969_349
; %bb.348:
	v_lshlrev_b32_e32 v1, 2, v0
	v_readfirstlane_b32 s6, v16
	v_readfirstlane_b32 s7, v17
	ds_load_b32 v1, v1 offset:9216
	s_wait_dscnt 0x0
	global_store_b32 v0, v1, s[6:7] offset:9216 scale_offset
.LBB969_349:
	s_wait_xcnt 0x0
	s_or_b32 exec_lo, exec_lo, s0
	v_or_b32_e32 v1, 0xa00, v0
	s_mov_b32 s0, exec_lo
	s_delay_alu instid0(VALU_DEP_1)
	v_cmpx_gt_u32_e64 s5, v1
	s_cbranch_execz .LBB969_358
; %bb.350:
	s_mov_b32 s1, exec_lo
	v_cmpx_ge_u32_e64 v1, v6
	s_xor_b32 s1, exec_lo, s1
	s_cbranch_execz .LBB969_356
; %bb.351:
	s_mov_b32 s3, exec_lo
	v_cmpx_ge_u32_e64 v1, v18
	s_xor_b32 s3, exec_lo, s3
	s_cbranch_execz .LBB969_353
; %bb.352:
	v_dual_mov_b32 v1, 0 :: v_dual_lshlrev_b32 v19, 2, v0
	s_delay_alu instid0(VALU_DEP_1) | instskip(SKIP_2) | instid1(VALU_DEP_1)
	v_add_nc_u64_e32 v[20:21], v[14:15], v[0:1]
	ds_load_b32 v1, v19 offset:10240
	v_lshlrev_b64_e32 v[20:21], 2, v[20:21]
	v_sub_nc_u64_e32 v[20:21], s[14:15], v[20:21]
	s_wait_dscnt 0x0
	global_store_b32 v[20:21], v1, off offset:-10244
.LBB969_353:
	s_wait_xcnt 0x0
	s_and_not1_saveexec_b32 s3, s3
	s_cbranch_execz .LBB969_355
; %bb.354:
	v_lshlrev_b32_e32 v1, 2, v0
	v_readfirstlane_b32 s6, v8
	v_readfirstlane_b32 s7, v9
	ds_load_b32 v1, v1 offset:10240
	s_wait_dscnt 0x0
	global_store_b32 v0, v1, s[6:7] offset:10240 scale_offset
.LBB969_355:
	s_wait_xcnt 0x0
	s_or_b32 exec_lo, exec_lo, s3
.LBB969_356:
	s_and_not1_saveexec_b32 s1, s1
	s_cbranch_execz .LBB969_358
; %bb.357:
	v_lshlrev_b32_e32 v1, 2, v0
	v_readfirstlane_b32 s6, v16
	v_readfirstlane_b32 s7, v17
	ds_load_b32 v1, v1 offset:10240
	s_wait_dscnt 0x0
	global_store_b32 v0, v1, s[6:7] offset:10240 scale_offset
.LBB969_358:
	s_wait_xcnt 0x0
	s_or_b32 exec_lo, exec_lo, s0
	v_or_b32_e32 v1, 0xb00, v0
	s_mov_b32 s0, exec_lo
	s_delay_alu instid0(VALU_DEP_1)
	v_cmpx_gt_u32_e64 s5, v1
	s_cbranch_execz .LBB969_367
; %bb.359:
	s_mov_b32 s1, exec_lo
	v_cmpx_ge_u32_e64 v1, v6
	s_xor_b32 s1, exec_lo, s1
	s_cbranch_execz .LBB969_365
; %bb.360:
	s_mov_b32 s3, exec_lo
	v_cmpx_ge_u32_e64 v1, v18
	s_xor_b32 s3, exec_lo, s3
	s_cbranch_execz .LBB969_362
; %bb.361:
	v_dual_mov_b32 v1, 0 :: v_dual_lshlrev_b32 v19, 2, v0
	s_delay_alu instid0(VALU_DEP_1) | instskip(SKIP_2) | instid1(VALU_DEP_1)
	v_add_nc_u64_e32 v[20:21], v[14:15], v[0:1]
	ds_load_b32 v1, v19 offset:11264
	v_lshlrev_b64_e32 v[20:21], 2, v[20:21]
	v_sub_nc_u64_e32 v[20:21], s[14:15], v[20:21]
	s_wait_dscnt 0x0
	global_store_b32 v[20:21], v1, off offset:-11268
.LBB969_362:
	s_wait_xcnt 0x0
	s_and_not1_saveexec_b32 s3, s3
	s_cbranch_execz .LBB969_364
; %bb.363:
	v_lshlrev_b32_e32 v1, 2, v0
	v_readfirstlane_b32 s6, v8
	v_readfirstlane_b32 s7, v9
	ds_load_b32 v1, v1 offset:11264
	s_wait_dscnt 0x0
	global_store_b32 v0, v1, s[6:7] offset:11264 scale_offset
.LBB969_364:
	s_wait_xcnt 0x0
	s_or_b32 exec_lo, exec_lo, s3
.LBB969_365:
	s_and_not1_saveexec_b32 s1, s1
	s_cbranch_execz .LBB969_367
; %bb.366:
	v_lshlrev_b32_e32 v1, 2, v0
	v_readfirstlane_b32 s6, v16
	v_readfirstlane_b32 s7, v17
	ds_load_b32 v1, v1 offset:11264
	s_wait_dscnt 0x0
	global_store_b32 v0, v1, s[6:7] offset:11264 scale_offset
.LBB969_367:
	s_wait_xcnt 0x0
	s_or_b32 exec_lo, exec_lo, s0
	v_or_b32_e32 v1, 0xc00, v0
	s_mov_b32 s0, exec_lo
	s_delay_alu instid0(VALU_DEP_1)
	v_cmpx_gt_u32_e64 s5, v1
	s_cbranch_execz .LBB969_376
; %bb.368:
	s_mov_b32 s1, exec_lo
	v_cmpx_ge_u32_e64 v1, v6
	s_xor_b32 s1, exec_lo, s1
	s_cbranch_execz .LBB969_374
; %bb.369:
	s_mov_b32 s3, exec_lo
	v_cmpx_ge_u32_e64 v1, v18
	s_xor_b32 s3, exec_lo, s3
	s_cbranch_execz .LBB969_371
; %bb.370:
	v_dual_mov_b32 v1, 0 :: v_dual_lshlrev_b32 v8, 2, v0
	s_delay_alu instid0(VALU_DEP_1) | instskip(SKIP_2) | instid1(VALU_DEP_1)
	v_add_nc_u64_e32 v[0:1], v[14:15], v[0:1]
	ds_load_b32 v8, v8 offset:12288
	v_lshlrev_b64_e32 v[0:1], 2, v[0:1]
	v_sub_nc_u64_e32 v[0:1], s[14:15], v[0:1]
	s_wait_dscnt 0x0
	global_store_b32 v[0:1], v8, off offset:-12292
                                        ; implicit-def: $vgpr0
                                        ; implicit-def: $vgpr8_vgpr9
.LBB969_371:
	s_wait_xcnt 0x0
	s_and_not1_saveexec_b32 s3, s3
	s_cbranch_execz .LBB969_373
; %bb.372:
	v_lshlrev_b32_e32 v1, 2, v0
	v_readfirstlane_b32 s4, v8
	v_readfirstlane_b32 s5, v9
	ds_load_b32 v1, v1 offset:12288
	s_wait_dscnt 0x0
	global_store_b32 v0, v1, s[4:5] offset:12288 scale_offset
.LBB969_373:
	s_wait_xcnt 0x0
	s_or_b32 exec_lo, exec_lo, s3
                                        ; implicit-def: $vgpr0
                                        ; implicit-def: $vgpr16_vgpr17
.LBB969_374:
	s_and_not1_saveexec_b32 s1, s1
	s_cbranch_execz .LBB969_376
; %bb.375:
	v_lshlrev_b32_e32 v1, 2, v0
	v_readfirstlane_b32 s4, v16
	v_readfirstlane_b32 s5, v17
	ds_load_b32 v1, v1 offset:12288
	s_wait_dscnt 0x0
	global_store_b32 v0, v1, s[4:5] offset:12288 scale_offset
.LBB969_376:
	s_wait_xcnt 0x0
	s_or_b32 exec_lo, exec_lo, s0
	s_and_b32 s0, s2, s26
	s_delay_alu instid0(SALU_CYCLE_1)
	s_and_saveexec_b32 s1, s0
	s_cbranch_execz .LBB969_153
.LBB969_377:
	v_add_nc_u64_e32 v[0:1], v[4:5], v[12:13]
	v_add_nc_u64_e32 v[2:3], v[2:3], v[6:7]
	s_delay_alu instid0(VALU_DEP_2)
	v_add_nc_u64_e32 v[4:5], v[0:1], v[10:11]
	v_mov_b32_e32 v0, 0
	global_store_b128 v0, v[2:5], s[24:25]
	s_sendmsg sendmsg(MSG_DEALLOC_VGPRS)
	s_endpgm
	.section	.rodata,"a",@progbits
	.p2align	6, 0x0
	.amdhsa_kernel _ZN7rocprim17ROCPRIM_400000_NS6detail17trampoline_kernelINS0_13select_configILj256ELj13ELNS0_17block_load_methodE3ELS4_3ELS4_3ELNS0_20block_scan_algorithmE0ELj4294967295EEENS1_25partition_config_selectorILNS1_17partition_subalgoE4EjNS0_10empty_typeEbEEZZNS1_14partition_implILS8_4ELb0ES6_15HIP_vector_typeIjLj2EENS0_17counting_iteratorIjlEEPS9_SG_NS0_5tupleIJPjSI_NS0_16reverse_iteratorISI_EEEEENSH_IJSG_SG_SG_EEES9_SI_JZNS1_25segmented_radix_sort_implINS0_14default_configELb0EPKsPsPKlPlN2at6native12_GLOBAL__N_18offset_tEEE10hipError_tPvRmT1_PNSt15iterator_traitsIS12_E10value_typeET2_T3_PNS13_IS18_E10value_typeET4_jRbjT5_S1E_jjP12ihipStream_tbEUljE_ZNSN_ISO_Lb0ESQ_SR_ST_SU_SY_EESZ_S10_S11_S12_S16_S17_S18_S1B_S1C_jS1D_jS1E_S1E_jjS1G_bEUljE0_EEESZ_S10_S11_S18_S1C_S1E_T6_T7_T9_mT8_S1G_bDpT10_ENKUlT_T0_E_clISt17integral_constantIbLb0EES1T_IbLb1EEEEDaS1P_S1Q_EUlS1P_E_NS1_11comp_targetILNS1_3genE0ELNS1_11target_archE4294967295ELNS1_3gpuE0ELNS1_3repE0EEENS1_30default_config_static_selectorELNS0_4arch9wavefront6targetE0EEEvS12_
		.amdhsa_group_segment_fixed_size 13328
		.amdhsa_private_segment_fixed_size 0
		.amdhsa_kernarg_size 184
		.amdhsa_user_sgpr_count 2
		.amdhsa_user_sgpr_dispatch_ptr 0
		.amdhsa_user_sgpr_queue_ptr 0
		.amdhsa_user_sgpr_kernarg_segment_ptr 1
		.amdhsa_user_sgpr_dispatch_id 0
		.amdhsa_user_sgpr_kernarg_preload_length 0
		.amdhsa_user_sgpr_kernarg_preload_offset 0
		.amdhsa_user_sgpr_private_segment_size 0
		.amdhsa_wavefront_size32 1
		.amdhsa_uses_dynamic_stack 0
		.amdhsa_enable_private_segment 0
		.amdhsa_system_sgpr_workgroup_id_x 1
		.amdhsa_system_sgpr_workgroup_id_y 0
		.amdhsa_system_sgpr_workgroup_id_z 0
		.amdhsa_system_sgpr_workgroup_info 0
		.amdhsa_system_vgpr_workitem_id 0
		.amdhsa_next_free_vgpr 86
		.amdhsa_next_free_sgpr 55
		.amdhsa_named_barrier_count 0
		.amdhsa_reserve_vcc 1
		.amdhsa_float_round_mode_32 0
		.amdhsa_float_round_mode_16_64 0
		.amdhsa_float_denorm_mode_32 3
		.amdhsa_float_denorm_mode_16_64 3
		.amdhsa_fp16_overflow 0
		.amdhsa_memory_ordered 1
		.amdhsa_forward_progress 1
		.amdhsa_inst_pref_size 140
		.amdhsa_round_robin_scheduling 0
		.amdhsa_exception_fp_ieee_invalid_op 0
		.amdhsa_exception_fp_denorm_src 0
		.amdhsa_exception_fp_ieee_div_zero 0
		.amdhsa_exception_fp_ieee_overflow 0
		.amdhsa_exception_fp_ieee_underflow 0
		.amdhsa_exception_fp_ieee_inexact 0
		.amdhsa_exception_int_div_zero 0
	.end_amdhsa_kernel
	.section	.text._ZN7rocprim17ROCPRIM_400000_NS6detail17trampoline_kernelINS0_13select_configILj256ELj13ELNS0_17block_load_methodE3ELS4_3ELS4_3ELNS0_20block_scan_algorithmE0ELj4294967295EEENS1_25partition_config_selectorILNS1_17partition_subalgoE4EjNS0_10empty_typeEbEEZZNS1_14partition_implILS8_4ELb0ES6_15HIP_vector_typeIjLj2EENS0_17counting_iteratorIjlEEPS9_SG_NS0_5tupleIJPjSI_NS0_16reverse_iteratorISI_EEEEENSH_IJSG_SG_SG_EEES9_SI_JZNS1_25segmented_radix_sort_implINS0_14default_configELb0EPKsPsPKlPlN2at6native12_GLOBAL__N_18offset_tEEE10hipError_tPvRmT1_PNSt15iterator_traitsIS12_E10value_typeET2_T3_PNS13_IS18_E10value_typeET4_jRbjT5_S1E_jjP12ihipStream_tbEUljE_ZNSN_ISO_Lb0ESQ_SR_ST_SU_SY_EESZ_S10_S11_S12_S16_S17_S18_S1B_S1C_jS1D_jS1E_S1E_jjS1G_bEUljE0_EEESZ_S10_S11_S18_S1C_S1E_T6_T7_T9_mT8_S1G_bDpT10_ENKUlT_T0_E_clISt17integral_constantIbLb0EES1T_IbLb1EEEEDaS1P_S1Q_EUlS1P_E_NS1_11comp_targetILNS1_3genE0ELNS1_11target_archE4294967295ELNS1_3gpuE0ELNS1_3repE0EEENS1_30default_config_static_selectorELNS0_4arch9wavefront6targetE0EEEvS12_,"axG",@progbits,_ZN7rocprim17ROCPRIM_400000_NS6detail17trampoline_kernelINS0_13select_configILj256ELj13ELNS0_17block_load_methodE3ELS4_3ELS4_3ELNS0_20block_scan_algorithmE0ELj4294967295EEENS1_25partition_config_selectorILNS1_17partition_subalgoE4EjNS0_10empty_typeEbEEZZNS1_14partition_implILS8_4ELb0ES6_15HIP_vector_typeIjLj2EENS0_17counting_iteratorIjlEEPS9_SG_NS0_5tupleIJPjSI_NS0_16reverse_iteratorISI_EEEEENSH_IJSG_SG_SG_EEES9_SI_JZNS1_25segmented_radix_sort_implINS0_14default_configELb0EPKsPsPKlPlN2at6native12_GLOBAL__N_18offset_tEEE10hipError_tPvRmT1_PNSt15iterator_traitsIS12_E10value_typeET2_T3_PNS13_IS18_E10value_typeET4_jRbjT5_S1E_jjP12ihipStream_tbEUljE_ZNSN_ISO_Lb0ESQ_SR_ST_SU_SY_EESZ_S10_S11_S12_S16_S17_S18_S1B_S1C_jS1D_jS1E_S1E_jjS1G_bEUljE0_EEESZ_S10_S11_S18_S1C_S1E_T6_T7_T9_mT8_S1G_bDpT10_ENKUlT_T0_E_clISt17integral_constantIbLb0EES1T_IbLb1EEEEDaS1P_S1Q_EUlS1P_E_NS1_11comp_targetILNS1_3genE0ELNS1_11target_archE4294967295ELNS1_3gpuE0ELNS1_3repE0EEENS1_30default_config_static_selectorELNS0_4arch9wavefront6targetE0EEEvS12_,comdat
.Lfunc_end969:
	.size	_ZN7rocprim17ROCPRIM_400000_NS6detail17trampoline_kernelINS0_13select_configILj256ELj13ELNS0_17block_load_methodE3ELS4_3ELS4_3ELNS0_20block_scan_algorithmE0ELj4294967295EEENS1_25partition_config_selectorILNS1_17partition_subalgoE4EjNS0_10empty_typeEbEEZZNS1_14partition_implILS8_4ELb0ES6_15HIP_vector_typeIjLj2EENS0_17counting_iteratorIjlEEPS9_SG_NS0_5tupleIJPjSI_NS0_16reverse_iteratorISI_EEEEENSH_IJSG_SG_SG_EEES9_SI_JZNS1_25segmented_radix_sort_implINS0_14default_configELb0EPKsPsPKlPlN2at6native12_GLOBAL__N_18offset_tEEE10hipError_tPvRmT1_PNSt15iterator_traitsIS12_E10value_typeET2_T3_PNS13_IS18_E10value_typeET4_jRbjT5_S1E_jjP12ihipStream_tbEUljE_ZNSN_ISO_Lb0ESQ_SR_ST_SU_SY_EESZ_S10_S11_S12_S16_S17_S18_S1B_S1C_jS1D_jS1E_S1E_jjS1G_bEUljE0_EEESZ_S10_S11_S18_S1C_S1E_T6_T7_T9_mT8_S1G_bDpT10_ENKUlT_T0_E_clISt17integral_constantIbLb0EES1T_IbLb1EEEEDaS1P_S1Q_EUlS1P_E_NS1_11comp_targetILNS1_3genE0ELNS1_11target_archE4294967295ELNS1_3gpuE0ELNS1_3repE0EEENS1_30default_config_static_selectorELNS0_4arch9wavefront6targetE0EEEvS12_, .Lfunc_end969-_ZN7rocprim17ROCPRIM_400000_NS6detail17trampoline_kernelINS0_13select_configILj256ELj13ELNS0_17block_load_methodE3ELS4_3ELS4_3ELNS0_20block_scan_algorithmE0ELj4294967295EEENS1_25partition_config_selectorILNS1_17partition_subalgoE4EjNS0_10empty_typeEbEEZZNS1_14partition_implILS8_4ELb0ES6_15HIP_vector_typeIjLj2EENS0_17counting_iteratorIjlEEPS9_SG_NS0_5tupleIJPjSI_NS0_16reverse_iteratorISI_EEEEENSH_IJSG_SG_SG_EEES9_SI_JZNS1_25segmented_radix_sort_implINS0_14default_configELb0EPKsPsPKlPlN2at6native12_GLOBAL__N_18offset_tEEE10hipError_tPvRmT1_PNSt15iterator_traitsIS12_E10value_typeET2_T3_PNS13_IS18_E10value_typeET4_jRbjT5_S1E_jjP12ihipStream_tbEUljE_ZNSN_ISO_Lb0ESQ_SR_ST_SU_SY_EESZ_S10_S11_S12_S16_S17_S18_S1B_S1C_jS1D_jS1E_S1E_jjS1G_bEUljE0_EEESZ_S10_S11_S18_S1C_S1E_T6_T7_T9_mT8_S1G_bDpT10_ENKUlT_T0_E_clISt17integral_constantIbLb0EES1T_IbLb1EEEEDaS1P_S1Q_EUlS1P_E_NS1_11comp_targetILNS1_3genE0ELNS1_11target_archE4294967295ELNS1_3gpuE0ELNS1_3repE0EEENS1_30default_config_static_selectorELNS0_4arch9wavefront6targetE0EEEvS12_
                                        ; -- End function
	.set _ZN7rocprim17ROCPRIM_400000_NS6detail17trampoline_kernelINS0_13select_configILj256ELj13ELNS0_17block_load_methodE3ELS4_3ELS4_3ELNS0_20block_scan_algorithmE0ELj4294967295EEENS1_25partition_config_selectorILNS1_17partition_subalgoE4EjNS0_10empty_typeEbEEZZNS1_14partition_implILS8_4ELb0ES6_15HIP_vector_typeIjLj2EENS0_17counting_iteratorIjlEEPS9_SG_NS0_5tupleIJPjSI_NS0_16reverse_iteratorISI_EEEEENSH_IJSG_SG_SG_EEES9_SI_JZNS1_25segmented_radix_sort_implINS0_14default_configELb0EPKsPsPKlPlN2at6native12_GLOBAL__N_18offset_tEEE10hipError_tPvRmT1_PNSt15iterator_traitsIS12_E10value_typeET2_T3_PNS13_IS18_E10value_typeET4_jRbjT5_S1E_jjP12ihipStream_tbEUljE_ZNSN_ISO_Lb0ESQ_SR_ST_SU_SY_EESZ_S10_S11_S12_S16_S17_S18_S1B_S1C_jS1D_jS1E_S1E_jjS1G_bEUljE0_EEESZ_S10_S11_S18_S1C_S1E_T6_T7_T9_mT8_S1G_bDpT10_ENKUlT_T0_E_clISt17integral_constantIbLb0EES1T_IbLb1EEEEDaS1P_S1Q_EUlS1P_E_NS1_11comp_targetILNS1_3genE0ELNS1_11target_archE4294967295ELNS1_3gpuE0ELNS1_3repE0EEENS1_30default_config_static_selectorELNS0_4arch9wavefront6targetE0EEEvS12_.num_vgpr, 86
	.set _ZN7rocprim17ROCPRIM_400000_NS6detail17trampoline_kernelINS0_13select_configILj256ELj13ELNS0_17block_load_methodE3ELS4_3ELS4_3ELNS0_20block_scan_algorithmE0ELj4294967295EEENS1_25partition_config_selectorILNS1_17partition_subalgoE4EjNS0_10empty_typeEbEEZZNS1_14partition_implILS8_4ELb0ES6_15HIP_vector_typeIjLj2EENS0_17counting_iteratorIjlEEPS9_SG_NS0_5tupleIJPjSI_NS0_16reverse_iteratorISI_EEEEENSH_IJSG_SG_SG_EEES9_SI_JZNS1_25segmented_radix_sort_implINS0_14default_configELb0EPKsPsPKlPlN2at6native12_GLOBAL__N_18offset_tEEE10hipError_tPvRmT1_PNSt15iterator_traitsIS12_E10value_typeET2_T3_PNS13_IS18_E10value_typeET4_jRbjT5_S1E_jjP12ihipStream_tbEUljE_ZNSN_ISO_Lb0ESQ_SR_ST_SU_SY_EESZ_S10_S11_S12_S16_S17_S18_S1B_S1C_jS1D_jS1E_S1E_jjS1G_bEUljE0_EEESZ_S10_S11_S18_S1C_S1E_T6_T7_T9_mT8_S1G_bDpT10_ENKUlT_T0_E_clISt17integral_constantIbLb0EES1T_IbLb1EEEEDaS1P_S1Q_EUlS1P_E_NS1_11comp_targetILNS1_3genE0ELNS1_11target_archE4294967295ELNS1_3gpuE0ELNS1_3repE0EEENS1_30default_config_static_selectorELNS0_4arch9wavefront6targetE0EEEvS12_.num_agpr, 0
	.set _ZN7rocprim17ROCPRIM_400000_NS6detail17trampoline_kernelINS0_13select_configILj256ELj13ELNS0_17block_load_methodE3ELS4_3ELS4_3ELNS0_20block_scan_algorithmE0ELj4294967295EEENS1_25partition_config_selectorILNS1_17partition_subalgoE4EjNS0_10empty_typeEbEEZZNS1_14partition_implILS8_4ELb0ES6_15HIP_vector_typeIjLj2EENS0_17counting_iteratorIjlEEPS9_SG_NS0_5tupleIJPjSI_NS0_16reverse_iteratorISI_EEEEENSH_IJSG_SG_SG_EEES9_SI_JZNS1_25segmented_radix_sort_implINS0_14default_configELb0EPKsPsPKlPlN2at6native12_GLOBAL__N_18offset_tEEE10hipError_tPvRmT1_PNSt15iterator_traitsIS12_E10value_typeET2_T3_PNS13_IS18_E10value_typeET4_jRbjT5_S1E_jjP12ihipStream_tbEUljE_ZNSN_ISO_Lb0ESQ_SR_ST_SU_SY_EESZ_S10_S11_S12_S16_S17_S18_S1B_S1C_jS1D_jS1E_S1E_jjS1G_bEUljE0_EEESZ_S10_S11_S18_S1C_S1E_T6_T7_T9_mT8_S1G_bDpT10_ENKUlT_T0_E_clISt17integral_constantIbLb0EES1T_IbLb1EEEEDaS1P_S1Q_EUlS1P_E_NS1_11comp_targetILNS1_3genE0ELNS1_11target_archE4294967295ELNS1_3gpuE0ELNS1_3repE0EEENS1_30default_config_static_selectorELNS0_4arch9wavefront6targetE0EEEvS12_.numbered_sgpr, 55
	.set _ZN7rocprim17ROCPRIM_400000_NS6detail17trampoline_kernelINS0_13select_configILj256ELj13ELNS0_17block_load_methodE3ELS4_3ELS4_3ELNS0_20block_scan_algorithmE0ELj4294967295EEENS1_25partition_config_selectorILNS1_17partition_subalgoE4EjNS0_10empty_typeEbEEZZNS1_14partition_implILS8_4ELb0ES6_15HIP_vector_typeIjLj2EENS0_17counting_iteratorIjlEEPS9_SG_NS0_5tupleIJPjSI_NS0_16reverse_iteratorISI_EEEEENSH_IJSG_SG_SG_EEES9_SI_JZNS1_25segmented_radix_sort_implINS0_14default_configELb0EPKsPsPKlPlN2at6native12_GLOBAL__N_18offset_tEEE10hipError_tPvRmT1_PNSt15iterator_traitsIS12_E10value_typeET2_T3_PNS13_IS18_E10value_typeET4_jRbjT5_S1E_jjP12ihipStream_tbEUljE_ZNSN_ISO_Lb0ESQ_SR_ST_SU_SY_EESZ_S10_S11_S12_S16_S17_S18_S1B_S1C_jS1D_jS1E_S1E_jjS1G_bEUljE0_EEESZ_S10_S11_S18_S1C_S1E_T6_T7_T9_mT8_S1G_bDpT10_ENKUlT_T0_E_clISt17integral_constantIbLb0EES1T_IbLb1EEEEDaS1P_S1Q_EUlS1P_E_NS1_11comp_targetILNS1_3genE0ELNS1_11target_archE4294967295ELNS1_3gpuE0ELNS1_3repE0EEENS1_30default_config_static_selectorELNS0_4arch9wavefront6targetE0EEEvS12_.num_named_barrier, 0
	.set _ZN7rocprim17ROCPRIM_400000_NS6detail17trampoline_kernelINS0_13select_configILj256ELj13ELNS0_17block_load_methodE3ELS4_3ELS4_3ELNS0_20block_scan_algorithmE0ELj4294967295EEENS1_25partition_config_selectorILNS1_17partition_subalgoE4EjNS0_10empty_typeEbEEZZNS1_14partition_implILS8_4ELb0ES6_15HIP_vector_typeIjLj2EENS0_17counting_iteratorIjlEEPS9_SG_NS0_5tupleIJPjSI_NS0_16reverse_iteratorISI_EEEEENSH_IJSG_SG_SG_EEES9_SI_JZNS1_25segmented_radix_sort_implINS0_14default_configELb0EPKsPsPKlPlN2at6native12_GLOBAL__N_18offset_tEEE10hipError_tPvRmT1_PNSt15iterator_traitsIS12_E10value_typeET2_T3_PNS13_IS18_E10value_typeET4_jRbjT5_S1E_jjP12ihipStream_tbEUljE_ZNSN_ISO_Lb0ESQ_SR_ST_SU_SY_EESZ_S10_S11_S12_S16_S17_S18_S1B_S1C_jS1D_jS1E_S1E_jjS1G_bEUljE0_EEESZ_S10_S11_S18_S1C_S1E_T6_T7_T9_mT8_S1G_bDpT10_ENKUlT_T0_E_clISt17integral_constantIbLb0EES1T_IbLb1EEEEDaS1P_S1Q_EUlS1P_E_NS1_11comp_targetILNS1_3genE0ELNS1_11target_archE4294967295ELNS1_3gpuE0ELNS1_3repE0EEENS1_30default_config_static_selectorELNS0_4arch9wavefront6targetE0EEEvS12_.private_seg_size, 0
	.set _ZN7rocprim17ROCPRIM_400000_NS6detail17trampoline_kernelINS0_13select_configILj256ELj13ELNS0_17block_load_methodE3ELS4_3ELS4_3ELNS0_20block_scan_algorithmE0ELj4294967295EEENS1_25partition_config_selectorILNS1_17partition_subalgoE4EjNS0_10empty_typeEbEEZZNS1_14partition_implILS8_4ELb0ES6_15HIP_vector_typeIjLj2EENS0_17counting_iteratorIjlEEPS9_SG_NS0_5tupleIJPjSI_NS0_16reverse_iteratorISI_EEEEENSH_IJSG_SG_SG_EEES9_SI_JZNS1_25segmented_radix_sort_implINS0_14default_configELb0EPKsPsPKlPlN2at6native12_GLOBAL__N_18offset_tEEE10hipError_tPvRmT1_PNSt15iterator_traitsIS12_E10value_typeET2_T3_PNS13_IS18_E10value_typeET4_jRbjT5_S1E_jjP12ihipStream_tbEUljE_ZNSN_ISO_Lb0ESQ_SR_ST_SU_SY_EESZ_S10_S11_S12_S16_S17_S18_S1B_S1C_jS1D_jS1E_S1E_jjS1G_bEUljE0_EEESZ_S10_S11_S18_S1C_S1E_T6_T7_T9_mT8_S1G_bDpT10_ENKUlT_T0_E_clISt17integral_constantIbLb0EES1T_IbLb1EEEEDaS1P_S1Q_EUlS1P_E_NS1_11comp_targetILNS1_3genE0ELNS1_11target_archE4294967295ELNS1_3gpuE0ELNS1_3repE0EEENS1_30default_config_static_selectorELNS0_4arch9wavefront6targetE0EEEvS12_.uses_vcc, 1
	.set _ZN7rocprim17ROCPRIM_400000_NS6detail17trampoline_kernelINS0_13select_configILj256ELj13ELNS0_17block_load_methodE3ELS4_3ELS4_3ELNS0_20block_scan_algorithmE0ELj4294967295EEENS1_25partition_config_selectorILNS1_17partition_subalgoE4EjNS0_10empty_typeEbEEZZNS1_14partition_implILS8_4ELb0ES6_15HIP_vector_typeIjLj2EENS0_17counting_iteratorIjlEEPS9_SG_NS0_5tupleIJPjSI_NS0_16reverse_iteratorISI_EEEEENSH_IJSG_SG_SG_EEES9_SI_JZNS1_25segmented_radix_sort_implINS0_14default_configELb0EPKsPsPKlPlN2at6native12_GLOBAL__N_18offset_tEEE10hipError_tPvRmT1_PNSt15iterator_traitsIS12_E10value_typeET2_T3_PNS13_IS18_E10value_typeET4_jRbjT5_S1E_jjP12ihipStream_tbEUljE_ZNSN_ISO_Lb0ESQ_SR_ST_SU_SY_EESZ_S10_S11_S12_S16_S17_S18_S1B_S1C_jS1D_jS1E_S1E_jjS1G_bEUljE0_EEESZ_S10_S11_S18_S1C_S1E_T6_T7_T9_mT8_S1G_bDpT10_ENKUlT_T0_E_clISt17integral_constantIbLb0EES1T_IbLb1EEEEDaS1P_S1Q_EUlS1P_E_NS1_11comp_targetILNS1_3genE0ELNS1_11target_archE4294967295ELNS1_3gpuE0ELNS1_3repE0EEENS1_30default_config_static_selectorELNS0_4arch9wavefront6targetE0EEEvS12_.uses_flat_scratch, 0
	.set _ZN7rocprim17ROCPRIM_400000_NS6detail17trampoline_kernelINS0_13select_configILj256ELj13ELNS0_17block_load_methodE3ELS4_3ELS4_3ELNS0_20block_scan_algorithmE0ELj4294967295EEENS1_25partition_config_selectorILNS1_17partition_subalgoE4EjNS0_10empty_typeEbEEZZNS1_14partition_implILS8_4ELb0ES6_15HIP_vector_typeIjLj2EENS0_17counting_iteratorIjlEEPS9_SG_NS0_5tupleIJPjSI_NS0_16reverse_iteratorISI_EEEEENSH_IJSG_SG_SG_EEES9_SI_JZNS1_25segmented_radix_sort_implINS0_14default_configELb0EPKsPsPKlPlN2at6native12_GLOBAL__N_18offset_tEEE10hipError_tPvRmT1_PNSt15iterator_traitsIS12_E10value_typeET2_T3_PNS13_IS18_E10value_typeET4_jRbjT5_S1E_jjP12ihipStream_tbEUljE_ZNSN_ISO_Lb0ESQ_SR_ST_SU_SY_EESZ_S10_S11_S12_S16_S17_S18_S1B_S1C_jS1D_jS1E_S1E_jjS1G_bEUljE0_EEESZ_S10_S11_S18_S1C_S1E_T6_T7_T9_mT8_S1G_bDpT10_ENKUlT_T0_E_clISt17integral_constantIbLb0EES1T_IbLb1EEEEDaS1P_S1Q_EUlS1P_E_NS1_11comp_targetILNS1_3genE0ELNS1_11target_archE4294967295ELNS1_3gpuE0ELNS1_3repE0EEENS1_30default_config_static_selectorELNS0_4arch9wavefront6targetE0EEEvS12_.has_dyn_sized_stack, 0
	.set _ZN7rocprim17ROCPRIM_400000_NS6detail17trampoline_kernelINS0_13select_configILj256ELj13ELNS0_17block_load_methodE3ELS4_3ELS4_3ELNS0_20block_scan_algorithmE0ELj4294967295EEENS1_25partition_config_selectorILNS1_17partition_subalgoE4EjNS0_10empty_typeEbEEZZNS1_14partition_implILS8_4ELb0ES6_15HIP_vector_typeIjLj2EENS0_17counting_iteratorIjlEEPS9_SG_NS0_5tupleIJPjSI_NS0_16reverse_iteratorISI_EEEEENSH_IJSG_SG_SG_EEES9_SI_JZNS1_25segmented_radix_sort_implINS0_14default_configELb0EPKsPsPKlPlN2at6native12_GLOBAL__N_18offset_tEEE10hipError_tPvRmT1_PNSt15iterator_traitsIS12_E10value_typeET2_T3_PNS13_IS18_E10value_typeET4_jRbjT5_S1E_jjP12ihipStream_tbEUljE_ZNSN_ISO_Lb0ESQ_SR_ST_SU_SY_EESZ_S10_S11_S12_S16_S17_S18_S1B_S1C_jS1D_jS1E_S1E_jjS1G_bEUljE0_EEESZ_S10_S11_S18_S1C_S1E_T6_T7_T9_mT8_S1G_bDpT10_ENKUlT_T0_E_clISt17integral_constantIbLb0EES1T_IbLb1EEEEDaS1P_S1Q_EUlS1P_E_NS1_11comp_targetILNS1_3genE0ELNS1_11target_archE4294967295ELNS1_3gpuE0ELNS1_3repE0EEENS1_30default_config_static_selectorELNS0_4arch9wavefront6targetE0EEEvS12_.has_recursion, 0
	.set _ZN7rocprim17ROCPRIM_400000_NS6detail17trampoline_kernelINS0_13select_configILj256ELj13ELNS0_17block_load_methodE3ELS4_3ELS4_3ELNS0_20block_scan_algorithmE0ELj4294967295EEENS1_25partition_config_selectorILNS1_17partition_subalgoE4EjNS0_10empty_typeEbEEZZNS1_14partition_implILS8_4ELb0ES6_15HIP_vector_typeIjLj2EENS0_17counting_iteratorIjlEEPS9_SG_NS0_5tupleIJPjSI_NS0_16reverse_iteratorISI_EEEEENSH_IJSG_SG_SG_EEES9_SI_JZNS1_25segmented_radix_sort_implINS0_14default_configELb0EPKsPsPKlPlN2at6native12_GLOBAL__N_18offset_tEEE10hipError_tPvRmT1_PNSt15iterator_traitsIS12_E10value_typeET2_T3_PNS13_IS18_E10value_typeET4_jRbjT5_S1E_jjP12ihipStream_tbEUljE_ZNSN_ISO_Lb0ESQ_SR_ST_SU_SY_EESZ_S10_S11_S12_S16_S17_S18_S1B_S1C_jS1D_jS1E_S1E_jjS1G_bEUljE0_EEESZ_S10_S11_S18_S1C_S1E_T6_T7_T9_mT8_S1G_bDpT10_ENKUlT_T0_E_clISt17integral_constantIbLb0EES1T_IbLb1EEEEDaS1P_S1Q_EUlS1P_E_NS1_11comp_targetILNS1_3genE0ELNS1_11target_archE4294967295ELNS1_3gpuE0ELNS1_3repE0EEENS1_30default_config_static_selectorELNS0_4arch9wavefront6targetE0EEEvS12_.has_indirect_call, 0
	.section	.AMDGPU.csdata,"",@progbits
; Kernel info:
; codeLenInByte = 17828
; TotalNumSgprs: 57
; NumVgprs: 86
; ScratchSize: 0
; MemoryBound: 0
; FloatMode: 240
; IeeeMode: 1
; LDSByteSize: 13328 bytes/workgroup (compile time only)
; SGPRBlocks: 0
; VGPRBlocks: 5
; NumSGPRsForWavesPerEU: 57
; NumVGPRsForWavesPerEU: 86
; NamedBarCnt: 0
; Occupancy: 10
; WaveLimiterHint : 1
; COMPUTE_PGM_RSRC2:SCRATCH_EN: 0
; COMPUTE_PGM_RSRC2:USER_SGPR: 2
; COMPUTE_PGM_RSRC2:TRAP_HANDLER: 0
; COMPUTE_PGM_RSRC2:TGID_X_EN: 1
; COMPUTE_PGM_RSRC2:TGID_Y_EN: 0
; COMPUTE_PGM_RSRC2:TGID_Z_EN: 0
; COMPUTE_PGM_RSRC2:TIDIG_COMP_CNT: 0
	.section	.text._ZN7rocprim17ROCPRIM_400000_NS6detail17trampoline_kernelINS0_13select_configILj256ELj13ELNS0_17block_load_methodE3ELS4_3ELS4_3ELNS0_20block_scan_algorithmE0ELj4294967295EEENS1_25partition_config_selectorILNS1_17partition_subalgoE4EjNS0_10empty_typeEbEEZZNS1_14partition_implILS8_4ELb0ES6_15HIP_vector_typeIjLj2EENS0_17counting_iteratorIjlEEPS9_SG_NS0_5tupleIJPjSI_NS0_16reverse_iteratorISI_EEEEENSH_IJSG_SG_SG_EEES9_SI_JZNS1_25segmented_radix_sort_implINS0_14default_configELb0EPKsPsPKlPlN2at6native12_GLOBAL__N_18offset_tEEE10hipError_tPvRmT1_PNSt15iterator_traitsIS12_E10value_typeET2_T3_PNS13_IS18_E10value_typeET4_jRbjT5_S1E_jjP12ihipStream_tbEUljE_ZNSN_ISO_Lb0ESQ_SR_ST_SU_SY_EESZ_S10_S11_S12_S16_S17_S18_S1B_S1C_jS1D_jS1E_S1E_jjS1G_bEUljE0_EEESZ_S10_S11_S18_S1C_S1E_T6_T7_T9_mT8_S1G_bDpT10_ENKUlT_T0_E_clISt17integral_constantIbLb0EES1T_IbLb1EEEEDaS1P_S1Q_EUlS1P_E_NS1_11comp_targetILNS1_3genE5ELNS1_11target_archE942ELNS1_3gpuE9ELNS1_3repE0EEENS1_30default_config_static_selectorELNS0_4arch9wavefront6targetE0EEEvS12_,"axG",@progbits,_ZN7rocprim17ROCPRIM_400000_NS6detail17trampoline_kernelINS0_13select_configILj256ELj13ELNS0_17block_load_methodE3ELS4_3ELS4_3ELNS0_20block_scan_algorithmE0ELj4294967295EEENS1_25partition_config_selectorILNS1_17partition_subalgoE4EjNS0_10empty_typeEbEEZZNS1_14partition_implILS8_4ELb0ES6_15HIP_vector_typeIjLj2EENS0_17counting_iteratorIjlEEPS9_SG_NS0_5tupleIJPjSI_NS0_16reverse_iteratorISI_EEEEENSH_IJSG_SG_SG_EEES9_SI_JZNS1_25segmented_radix_sort_implINS0_14default_configELb0EPKsPsPKlPlN2at6native12_GLOBAL__N_18offset_tEEE10hipError_tPvRmT1_PNSt15iterator_traitsIS12_E10value_typeET2_T3_PNS13_IS18_E10value_typeET4_jRbjT5_S1E_jjP12ihipStream_tbEUljE_ZNSN_ISO_Lb0ESQ_SR_ST_SU_SY_EESZ_S10_S11_S12_S16_S17_S18_S1B_S1C_jS1D_jS1E_S1E_jjS1G_bEUljE0_EEESZ_S10_S11_S18_S1C_S1E_T6_T7_T9_mT8_S1G_bDpT10_ENKUlT_T0_E_clISt17integral_constantIbLb0EES1T_IbLb1EEEEDaS1P_S1Q_EUlS1P_E_NS1_11comp_targetILNS1_3genE5ELNS1_11target_archE942ELNS1_3gpuE9ELNS1_3repE0EEENS1_30default_config_static_selectorELNS0_4arch9wavefront6targetE0EEEvS12_,comdat
	.globl	_ZN7rocprim17ROCPRIM_400000_NS6detail17trampoline_kernelINS0_13select_configILj256ELj13ELNS0_17block_load_methodE3ELS4_3ELS4_3ELNS0_20block_scan_algorithmE0ELj4294967295EEENS1_25partition_config_selectorILNS1_17partition_subalgoE4EjNS0_10empty_typeEbEEZZNS1_14partition_implILS8_4ELb0ES6_15HIP_vector_typeIjLj2EENS0_17counting_iteratorIjlEEPS9_SG_NS0_5tupleIJPjSI_NS0_16reverse_iteratorISI_EEEEENSH_IJSG_SG_SG_EEES9_SI_JZNS1_25segmented_radix_sort_implINS0_14default_configELb0EPKsPsPKlPlN2at6native12_GLOBAL__N_18offset_tEEE10hipError_tPvRmT1_PNSt15iterator_traitsIS12_E10value_typeET2_T3_PNS13_IS18_E10value_typeET4_jRbjT5_S1E_jjP12ihipStream_tbEUljE_ZNSN_ISO_Lb0ESQ_SR_ST_SU_SY_EESZ_S10_S11_S12_S16_S17_S18_S1B_S1C_jS1D_jS1E_S1E_jjS1G_bEUljE0_EEESZ_S10_S11_S18_S1C_S1E_T6_T7_T9_mT8_S1G_bDpT10_ENKUlT_T0_E_clISt17integral_constantIbLb0EES1T_IbLb1EEEEDaS1P_S1Q_EUlS1P_E_NS1_11comp_targetILNS1_3genE5ELNS1_11target_archE942ELNS1_3gpuE9ELNS1_3repE0EEENS1_30default_config_static_selectorELNS0_4arch9wavefront6targetE0EEEvS12_ ; -- Begin function _ZN7rocprim17ROCPRIM_400000_NS6detail17trampoline_kernelINS0_13select_configILj256ELj13ELNS0_17block_load_methodE3ELS4_3ELS4_3ELNS0_20block_scan_algorithmE0ELj4294967295EEENS1_25partition_config_selectorILNS1_17partition_subalgoE4EjNS0_10empty_typeEbEEZZNS1_14partition_implILS8_4ELb0ES6_15HIP_vector_typeIjLj2EENS0_17counting_iteratorIjlEEPS9_SG_NS0_5tupleIJPjSI_NS0_16reverse_iteratorISI_EEEEENSH_IJSG_SG_SG_EEES9_SI_JZNS1_25segmented_radix_sort_implINS0_14default_configELb0EPKsPsPKlPlN2at6native12_GLOBAL__N_18offset_tEEE10hipError_tPvRmT1_PNSt15iterator_traitsIS12_E10value_typeET2_T3_PNS13_IS18_E10value_typeET4_jRbjT5_S1E_jjP12ihipStream_tbEUljE_ZNSN_ISO_Lb0ESQ_SR_ST_SU_SY_EESZ_S10_S11_S12_S16_S17_S18_S1B_S1C_jS1D_jS1E_S1E_jjS1G_bEUljE0_EEESZ_S10_S11_S18_S1C_S1E_T6_T7_T9_mT8_S1G_bDpT10_ENKUlT_T0_E_clISt17integral_constantIbLb0EES1T_IbLb1EEEEDaS1P_S1Q_EUlS1P_E_NS1_11comp_targetILNS1_3genE5ELNS1_11target_archE942ELNS1_3gpuE9ELNS1_3repE0EEENS1_30default_config_static_selectorELNS0_4arch9wavefront6targetE0EEEvS12_
	.p2align	8
	.type	_ZN7rocprim17ROCPRIM_400000_NS6detail17trampoline_kernelINS0_13select_configILj256ELj13ELNS0_17block_load_methodE3ELS4_3ELS4_3ELNS0_20block_scan_algorithmE0ELj4294967295EEENS1_25partition_config_selectorILNS1_17partition_subalgoE4EjNS0_10empty_typeEbEEZZNS1_14partition_implILS8_4ELb0ES6_15HIP_vector_typeIjLj2EENS0_17counting_iteratorIjlEEPS9_SG_NS0_5tupleIJPjSI_NS0_16reverse_iteratorISI_EEEEENSH_IJSG_SG_SG_EEES9_SI_JZNS1_25segmented_radix_sort_implINS0_14default_configELb0EPKsPsPKlPlN2at6native12_GLOBAL__N_18offset_tEEE10hipError_tPvRmT1_PNSt15iterator_traitsIS12_E10value_typeET2_T3_PNS13_IS18_E10value_typeET4_jRbjT5_S1E_jjP12ihipStream_tbEUljE_ZNSN_ISO_Lb0ESQ_SR_ST_SU_SY_EESZ_S10_S11_S12_S16_S17_S18_S1B_S1C_jS1D_jS1E_S1E_jjS1G_bEUljE0_EEESZ_S10_S11_S18_S1C_S1E_T6_T7_T9_mT8_S1G_bDpT10_ENKUlT_T0_E_clISt17integral_constantIbLb0EES1T_IbLb1EEEEDaS1P_S1Q_EUlS1P_E_NS1_11comp_targetILNS1_3genE5ELNS1_11target_archE942ELNS1_3gpuE9ELNS1_3repE0EEENS1_30default_config_static_selectorELNS0_4arch9wavefront6targetE0EEEvS12_,@function
_ZN7rocprim17ROCPRIM_400000_NS6detail17trampoline_kernelINS0_13select_configILj256ELj13ELNS0_17block_load_methodE3ELS4_3ELS4_3ELNS0_20block_scan_algorithmE0ELj4294967295EEENS1_25partition_config_selectorILNS1_17partition_subalgoE4EjNS0_10empty_typeEbEEZZNS1_14partition_implILS8_4ELb0ES6_15HIP_vector_typeIjLj2EENS0_17counting_iteratorIjlEEPS9_SG_NS0_5tupleIJPjSI_NS0_16reverse_iteratorISI_EEEEENSH_IJSG_SG_SG_EEES9_SI_JZNS1_25segmented_radix_sort_implINS0_14default_configELb0EPKsPsPKlPlN2at6native12_GLOBAL__N_18offset_tEEE10hipError_tPvRmT1_PNSt15iterator_traitsIS12_E10value_typeET2_T3_PNS13_IS18_E10value_typeET4_jRbjT5_S1E_jjP12ihipStream_tbEUljE_ZNSN_ISO_Lb0ESQ_SR_ST_SU_SY_EESZ_S10_S11_S12_S16_S17_S18_S1B_S1C_jS1D_jS1E_S1E_jjS1G_bEUljE0_EEESZ_S10_S11_S18_S1C_S1E_T6_T7_T9_mT8_S1G_bDpT10_ENKUlT_T0_E_clISt17integral_constantIbLb0EES1T_IbLb1EEEEDaS1P_S1Q_EUlS1P_E_NS1_11comp_targetILNS1_3genE5ELNS1_11target_archE942ELNS1_3gpuE9ELNS1_3repE0EEENS1_30default_config_static_selectorELNS0_4arch9wavefront6targetE0EEEvS12_: ; @_ZN7rocprim17ROCPRIM_400000_NS6detail17trampoline_kernelINS0_13select_configILj256ELj13ELNS0_17block_load_methodE3ELS4_3ELS4_3ELNS0_20block_scan_algorithmE0ELj4294967295EEENS1_25partition_config_selectorILNS1_17partition_subalgoE4EjNS0_10empty_typeEbEEZZNS1_14partition_implILS8_4ELb0ES6_15HIP_vector_typeIjLj2EENS0_17counting_iteratorIjlEEPS9_SG_NS0_5tupleIJPjSI_NS0_16reverse_iteratorISI_EEEEENSH_IJSG_SG_SG_EEES9_SI_JZNS1_25segmented_radix_sort_implINS0_14default_configELb0EPKsPsPKlPlN2at6native12_GLOBAL__N_18offset_tEEE10hipError_tPvRmT1_PNSt15iterator_traitsIS12_E10value_typeET2_T3_PNS13_IS18_E10value_typeET4_jRbjT5_S1E_jjP12ihipStream_tbEUljE_ZNSN_ISO_Lb0ESQ_SR_ST_SU_SY_EESZ_S10_S11_S12_S16_S17_S18_S1B_S1C_jS1D_jS1E_S1E_jjS1G_bEUljE0_EEESZ_S10_S11_S18_S1C_S1E_T6_T7_T9_mT8_S1G_bDpT10_ENKUlT_T0_E_clISt17integral_constantIbLb0EES1T_IbLb1EEEEDaS1P_S1Q_EUlS1P_E_NS1_11comp_targetILNS1_3genE5ELNS1_11target_archE942ELNS1_3gpuE9ELNS1_3repE0EEENS1_30default_config_static_selectorELNS0_4arch9wavefront6targetE0EEEvS12_
; %bb.0:
	.section	.rodata,"a",@progbits
	.p2align	6, 0x0
	.amdhsa_kernel _ZN7rocprim17ROCPRIM_400000_NS6detail17trampoline_kernelINS0_13select_configILj256ELj13ELNS0_17block_load_methodE3ELS4_3ELS4_3ELNS0_20block_scan_algorithmE0ELj4294967295EEENS1_25partition_config_selectorILNS1_17partition_subalgoE4EjNS0_10empty_typeEbEEZZNS1_14partition_implILS8_4ELb0ES6_15HIP_vector_typeIjLj2EENS0_17counting_iteratorIjlEEPS9_SG_NS0_5tupleIJPjSI_NS0_16reverse_iteratorISI_EEEEENSH_IJSG_SG_SG_EEES9_SI_JZNS1_25segmented_radix_sort_implINS0_14default_configELb0EPKsPsPKlPlN2at6native12_GLOBAL__N_18offset_tEEE10hipError_tPvRmT1_PNSt15iterator_traitsIS12_E10value_typeET2_T3_PNS13_IS18_E10value_typeET4_jRbjT5_S1E_jjP12ihipStream_tbEUljE_ZNSN_ISO_Lb0ESQ_SR_ST_SU_SY_EESZ_S10_S11_S12_S16_S17_S18_S1B_S1C_jS1D_jS1E_S1E_jjS1G_bEUljE0_EEESZ_S10_S11_S18_S1C_S1E_T6_T7_T9_mT8_S1G_bDpT10_ENKUlT_T0_E_clISt17integral_constantIbLb0EES1T_IbLb1EEEEDaS1P_S1Q_EUlS1P_E_NS1_11comp_targetILNS1_3genE5ELNS1_11target_archE942ELNS1_3gpuE9ELNS1_3repE0EEENS1_30default_config_static_selectorELNS0_4arch9wavefront6targetE0EEEvS12_
		.amdhsa_group_segment_fixed_size 0
		.amdhsa_private_segment_fixed_size 0
		.amdhsa_kernarg_size 184
		.amdhsa_user_sgpr_count 2
		.amdhsa_user_sgpr_dispatch_ptr 0
		.amdhsa_user_sgpr_queue_ptr 0
		.amdhsa_user_sgpr_kernarg_segment_ptr 1
		.amdhsa_user_sgpr_dispatch_id 0
		.amdhsa_user_sgpr_kernarg_preload_length 0
		.amdhsa_user_sgpr_kernarg_preload_offset 0
		.amdhsa_user_sgpr_private_segment_size 0
		.amdhsa_wavefront_size32 1
		.amdhsa_uses_dynamic_stack 0
		.amdhsa_enable_private_segment 0
		.amdhsa_system_sgpr_workgroup_id_x 1
		.amdhsa_system_sgpr_workgroup_id_y 0
		.amdhsa_system_sgpr_workgroup_id_z 0
		.amdhsa_system_sgpr_workgroup_info 0
		.amdhsa_system_vgpr_workitem_id 0
		.amdhsa_next_free_vgpr 1
		.amdhsa_next_free_sgpr 1
		.amdhsa_named_barrier_count 0
		.amdhsa_reserve_vcc 0
		.amdhsa_float_round_mode_32 0
		.amdhsa_float_round_mode_16_64 0
		.amdhsa_float_denorm_mode_32 3
		.amdhsa_float_denorm_mode_16_64 3
		.amdhsa_fp16_overflow 0
		.amdhsa_memory_ordered 1
		.amdhsa_forward_progress 1
		.amdhsa_inst_pref_size 0
		.amdhsa_round_robin_scheduling 0
		.amdhsa_exception_fp_ieee_invalid_op 0
		.amdhsa_exception_fp_denorm_src 0
		.amdhsa_exception_fp_ieee_div_zero 0
		.amdhsa_exception_fp_ieee_overflow 0
		.amdhsa_exception_fp_ieee_underflow 0
		.amdhsa_exception_fp_ieee_inexact 0
		.amdhsa_exception_int_div_zero 0
	.end_amdhsa_kernel
	.section	.text._ZN7rocprim17ROCPRIM_400000_NS6detail17trampoline_kernelINS0_13select_configILj256ELj13ELNS0_17block_load_methodE3ELS4_3ELS4_3ELNS0_20block_scan_algorithmE0ELj4294967295EEENS1_25partition_config_selectorILNS1_17partition_subalgoE4EjNS0_10empty_typeEbEEZZNS1_14partition_implILS8_4ELb0ES6_15HIP_vector_typeIjLj2EENS0_17counting_iteratorIjlEEPS9_SG_NS0_5tupleIJPjSI_NS0_16reverse_iteratorISI_EEEEENSH_IJSG_SG_SG_EEES9_SI_JZNS1_25segmented_radix_sort_implINS0_14default_configELb0EPKsPsPKlPlN2at6native12_GLOBAL__N_18offset_tEEE10hipError_tPvRmT1_PNSt15iterator_traitsIS12_E10value_typeET2_T3_PNS13_IS18_E10value_typeET4_jRbjT5_S1E_jjP12ihipStream_tbEUljE_ZNSN_ISO_Lb0ESQ_SR_ST_SU_SY_EESZ_S10_S11_S12_S16_S17_S18_S1B_S1C_jS1D_jS1E_S1E_jjS1G_bEUljE0_EEESZ_S10_S11_S18_S1C_S1E_T6_T7_T9_mT8_S1G_bDpT10_ENKUlT_T0_E_clISt17integral_constantIbLb0EES1T_IbLb1EEEEDaS1P_S1Q_EUlS1P_E_NS1_11comp_targetILNS1_3genE5ELNS1_11target_archE942ELNS1_3gpuE9ELNS1_3repE0EEENS1_30default_config_static_selectorELNS0_4arch9wavefront6targetE0EEEvS12_,"axG",@progbits,_ZN7rocprim17ROCPRIM_400000_NS6detail17trampoline_kernelINS0_13select_configILj256ELj13ELNS0_17block_load_methodE3ELS4_3ELS4_3ELNS0_20block_scan_algorithmE0ELj4294967295EEENS1_25partition_config_selectorILNS1_17partition_subalgoE4EjNS0_10empty_typeEbEEZZNS1_14partition_implILS8_4ELb0ES6_15HIP_vector_typeIjLj2EENS0_17counting_iteratorIjlEEPS9_SG_NS0_5tupleIJPjSI_NS0_16reverse_iteratorISI_EEEEENSH_IJSG_SG_SG_EEES9_SI_JZNS1_25segmented_radix_sort_implINS0_14default_configELb0EPKsPsPKlPlN2at6native12_GLOBAL__N_18offset_tEEE10hipError_tPvRmT1_PNSt15iterator_traitsIS12_E10value_typeET2_T3_PNS13_IS18_E10value_typeET4_jRbjT5_S1E_jjP12ihipStream_tbEUljE_ZNSN_ISO_Lb0ESQ_SR_ST_SU_SY_EESZ_S10_S11_S12_S16_S17_S18_S1B_S1C_jS1D_jS1E_S1E_jjS1G_bEUljE0_EEESZ_S10_S11_S18_S1C_S1E_T6_T7_T9_mT8_S1G_bDpT10_ENKUlT_T0_E_clISt17integral_constantIbLb0EES1T_IbLb1EEEEDaS1P_S1Q_EUlS1P_E_NS1_11comp_targetILNS1_3genE5ELNS1_11target_archE942ELNS1_3gpuE9ELNS1_3repE0EEENS1_30default_config_static_selectorELNS0_4arch9wavefront6targetE0EEEvS12_,comdat
.Lfunc_end970:
	.size	_ZN7rocprim17ROCPRIM_400000_NS6detail17trampoline_kernelINS0_13select_configILj256ELj13ELNS0_17block_load_methodE3ELS4_3ELS4_3ELNS0_20block_scan_algorithmE0ELj4294967295EEENS1_25partition_config_selectorILNS1_17partition_subalgoE4EjNS0_10empty_typeEbEEZZNS1_14partition_implILS8_4ELb0ES6_15HIP_vector_typeIjLj2EENS0_17counting_iteratorIjlEEPS9_SG_NS0_5tupleIJPjSI_NS0_16reverse_iteratorISI_EEEEENSH_IJSG_SG_SG_EEES9_SI_JZNS1_25segmented_radix_sort_implINS0_14default_configELb0EPKsPsPKlPlN2at6native12_GLOBAL__N_18offset_tEEE10hipError_tPvRmT1_PNSt15iterator_traitsIS12_E10value_typeET2_T3_PNS13_IS18_E10value_typeET4_jRbjT5_S1E_jjP12ihipStream_tbEUljE_ZNSN_ISO_Lb0ESQ_SR_ST_SU_SY_EESZ_S10_S11_S12_S16_S17_S18_S1B_S1C_jS1D_jS1E_S1E_jjS1G_bEUljE0_EEESZ_S10_S11_S18_S1C_S1E_T6_T7_T9_mT8_S1G_bDpT10_ENKUlT_T0_E_clISt17integral_constantIbLb0EES1T_IbLb1EEEEDaS1P_S1Q_EUlS1P_E_NS1_11comp_targetILNS1_3genE5ELNS1_11target_archE942ELNS1_3gpuE9ELNS1_3repE0EEENS1_30default_config_static_selectorELNS0_4arch9wavefront6targetE0EEEvS12_, .Lfunc_end970-_ZN7rocprim17ROCPRIM_400000_NS6detail17trampoline_kernelINS0_13select_configILj256ELj13ELNS0_17block_load_methodE3ELS4_3ELS4_3ELNS0_20block_scan_algorithmE0ELj4294967295EEENS1_25partition_config_selectorILNS1_17partition_subalgoE4EjNS0_10empty_typeEbEEZZNS1_14partition_implILS8_4ELb0ES6_15HIP_vector_typeIjLj2EENS0_17counting_iteratorIjlEEPS9_SG_NS0_5tupleIJPjSI_NS0_16reverse_iteratorISI_EEEEENSH_IJSG_SG_SG_EEES9_SI_JZNS1_25segmented_radix_sort_implINS0_14default_configELb0EPKsPsPKlPlN2at6native12_GLOBAL__N_18offset_tEEE10hipError_tPvRmT1_PNSt15iterator_traitsIS12_E10value_typeET2_T3_PNS13_IS18_E10value_typeET4_jRbjT5_S1E_jjP12ihipStream_tbEUljE_ZNSN_ISO_Lb0ESQ_SR_ST_SU_SY_EESZ_S10_S11_S12_S16_S17_S18_S1B_S1C_jS1D_jS1E_S1E_jjS1G_bEUljE0_EEESZ_S10_S11_S18_S1C_S1E_T6_T7_T9_mT8_S1G_bDpT10_ENKUlT_T0_E_clISt17integral_constantIbLb0EES1T_IbLb1EEEEDaS1P_S1Q_EUlS1P_E_NS1_11comp_targetILNS1_3genE5ELNS1_11target_archE942ELNS1_3gpuE9ELNS1_3repE0EEENS1_30default_config_static_selectorELNS0_4arch9wavefront6targetE0EEEvS12_
                                        ; -- End function
	.set _ZN7rocprim17ROCPRIM_400000_NS6detail17trampoline_kernelINS0_13select_configILj256ELj13ELNS0_17block_load_methodE3ELS4_3ELS4_3ELNS0_20block_scan_algorithmE0ELj4294967295EEENS1_25partition_config_selectorILNS1_17partition_subalgoE4EjNS0_10empty_typeEbEEZZNS1_14partition_implILS8_4ELb0ES6_15HIP_vector_typeIjLj2EENS0_17counting_iteratorIjlEEPS9_SG_NS0_5tupleIJPjSI_NS0_16reverse_iteratorISI_EEEEENSH_IJSG_SG_SG_EEES9_SI_JZNS1_25segmented_radix_sort_implINS0_14default_configELb0EPKsPsPKlPlN2at6native12_GLOBAL__N_18offset_tEEE10hipError_tPvRmT1_PNSt15iterator_traitsIS12_E10value_typeET2_T3_PNS13_IS18_E10value_typeET4_jRbjT5_S1E_jjP12ihipStream_tbEUljE_ZNSN_ISO_Lb0ESQ_SR_ST_SU_SY_EESZ_S10_S11_S12_S16_S17_S18_S1B_S1C_jS1D_jS1E_S1E_jjS1G_bEUljE0_EEESZ_S10_S11_S18_S1C_S1E_T6_T7_T9_mT8_S1G_bDpT10_ENKUlT_T0_E_clISt17integral_constantIbLb0EES1T_IbLb1EEEEDaS1P_S1Q_EUlS1P_E_NS1_11comp_targetILNS1_3genE5ELNS1_11target_archE942ELNS1_3gpuE9ELNS1_3repE0EEENS1_30default_config_static_selectorELNS0_4arch9wavefront6targetE0EEEvS12_.num_vgpr, 0
	.set _ZN7rocprim17ROCPRIM_400000_NS6detail17trampoline_kernelINS0_13select_configILj256ELj13ELNS0_17block_load_methodE3ELS4_3ELS4_3ELNS0_20block_scan_algorithmE0ELj4294967295EEENS1_25partition_config_selectorILNS1_17partition_subalgoE4EjNS0_10empty_typeEbEEZZNS1_14partition_implILS8_4ELb0ES6_15HIP_vector_typeIjLj2EENS0_17counting_iteratorIjlEEPS9_SG_NS0_5tupleIJPjSI_NS0_16reverse_iteratorISI_EEEEENSH_IJSG_SG_SG_EEES9_SI_JZNS1_25segmented_radix_sort_implINS0_14default_configELb0EPKsPsPKlPlN2at6native12_GLOBAL__N_18offset_tEEE10hipError_tPvRmT1_PNSt15iterator_traitsIS12_E10value_typeET2_T3_PNS13_IS18_E10value_typeET4_jRbjT5_S1E_jjP12ihipStream_tbEUljE_ZNSN_ISO_Lb0ESQ_SR_ST_SU_SY_EESZ_S10_S11_S12_S16_S17_S18_S1B_S1C_jS1D_jS1E_S1E_jjS1G_bEUljE0_EEESZ_S10_S11_S18_S1C_S1E_T6_T7_T9_mT8_S1G_bDpT10_ENKUlT_T0_E_clISt17integral_constantIbLb0EES1T_IbLb1EEEEDaS1P_S1Q_EUlS1P_E_NS1_11comp_targetILNS1_3genE5ELNS1_11target_archE942ELNS1_3gpuE9ELNS1_3repE0EEENS1_30default_config_static_selectorELNS0_4arch9wavefront6targetE0EEEvS12_.num_agpr, 0
	.set _ZN7rocprim17ROCPRIM_400000_NS6detail17trampoline_kernelINS0_13select_configILj256ELj13ELNS0_17block_load_methodE3ELS4_3ELS4_3ELNS0_20block_scan_algorithmE0ELj4294967295EEENS1_25partition_config_selectorILNS1_17partition_subalgoE4EjNS0_10empty_typeEbEEZZNS1_14partition_implILS8_4ELb0ES6_15HIP_vector_typeIjLj2EENS0_17counting_iteratorIjlEEPS9_SG_NS0_5tupleIJPjSI_NS0_16reverse_iteratorISI_EEEEENSH_IJSG_SG_SG_EEES9_SI_JZNS1_25segmented_radix_sort_implINS0_14default_configELb0EPKsPsPKlPlN2at6native12_GLOBAL__N_18offset_tEEE10hipError_tPvRmT1_PNSt15iterator_traitsIS12_E10value_typeET2_T3_PNS13_IS18_E10value_typeET4_jRbjT5_S1E_jjP12ihipStream_tbEUljE_ZNSN_ISO_Lb0ESQ_SR_ST_SU_SY_EESZ_S10_S11_S12_S16_S17_S18_S1B_S1C_jS1D_jS1E_S1E_jjS1G_bEUljE0_EEESZ_S10_S11_S18_S1C_S1E_T6_T7_T9_mT8_S1G_bDpT10_ENKUlT_T0_E_clISt17integral_constantIbLb0EES1T_IbLb1EEEEDaS1P_S1Q_EUlS1P_E_NS1_11comp_targetILNS1_3genE5ELNS1_11target_archE942ELNS1_3gpuE9ELNS1_3repE0EEENS1_30default_config_static_selectorELNS0_4arch9wavefront6targetE0EEEvS12_.numbered_sgpr, 0
	.set _ZN7rocprim17ROCPRIM_400000_NS6detail17trampoline_kernelINS0_13select_configILj256ELj13ELNS0_17block_load_methodE3ELS4_3ELS4_3ELNS0_20block_scan_algorithmE0ELj4294967295EEENS1_25partition_config_selectorILNS1_17partition_subalgoE4EjNS0_10empty_typeEbEEZZNS1_14partition_implILS8_4ELb0ES6_15HIP_vector_typeIjLj2EENS0_17counting_iteratorIjlEEPS9_SG_NS0_5tupleIJPjSI_NS0_16reverse_iteratorISI_EEEEENSH_IJSG_SG_SG_EEES9_SI_JZNS1_25segmented_radix_sort_implINS0_14default_configELb0EPKsPsPKlPlN2at6native12_GLOBAL__N_18offset_tEEE10hipError_tPvRmT1_PNSt15iterator_traitsIS12_E10value_typeET2_T3_PNS13_IS18_E10value_typeET4_jRbjT5_S1E_jjP12ihipStream_tbEUljE_ZNSN_ISO_Lb0ESQ_SR_ST_SU_SY_EESZ_S10_S11_S12_S16_S17_S18_S1B_S1C_jS1D_jS1E_S1E_jjS1G_bEUljE0_EEESZ_S10_S11_S18_S1C_S1E_T6_T7_T9_mT8_S1G_bDpT10_ENKUlT_T0_E_clISt17integral_constantIbLb0EES1T_IbLb1EEEEDaS1P_S1Q_EUlS1P_E_NS1_11comp_targetILNS1_3genE5ELNS1_11target_archE942ELNS1_3gpuE9ELNS1_3repE0EEENS1_30default_config_static_selectorELNS0_4arch9wavefront6targetE0EEEvS12_.num_named_barrier, 0
	.set _ZN7rocprim17ROCPRIM_400000_NS6detail17trampoline_kernelINS0_13select_configILj256ELj13ELNS0_17block_load_methodE3ELS4_3ELS4_3ELNS0_20block_scan_algorithmE0ELj4294967295EEENS1_25partition_config_selectorILNS1_17partition_subalgoE4EjNS0_10empty_typeEbEEZZNS1_14partition_implILS8_4ELb0ES6_15HIP_vector_typeIjLj2EENS0_17counting_iteratorIjlEEPS9_SG_NS0_5tupleIJPjSI_NS0_16reverse_iteratorISI_EEEEENSH_IJSG_SG_SG_EEES9_SI_JZNS1_25segmented_radix_sort_implINS0_14default_configELb0EPKsPsPKlPlN2at6native12_GLOBAL__N_18offset_tEEE10hipError_tPvRmT1_PNSt15iterator_traitsIS12_E10value_typeET2_T3_PNS13_IS18_E10value_typeET4_jRbjT5_S1E_jjP12ihipStream_tbEUljE_ZNSN_ISO_Lb0ESQ_SR_ST_SU_SY_EESZ_S10_S11_S12_S16_S17_S18_S1B_S1C_jS1D_jS1E_S1E_jjS1G_bEUljE0_EEESZ_S10_S11_S18_S1C_S1E_T6_T7_T9_mT8_S1G_bDpT10_ENKUlT_T0_E_clISt17integral_constantIbLb0EES1T_IbLb1EEEEDaS1P_S1Q_EUlS1P_E_NS1_11comp_targetILNS1_3genE5ELNS1_11target_archE942ELNS1_3gpuE9ELNS1_3repE0EEENS1_30default_config_static_selectorELNS0_4arch9wavefront6targetE0EEEvS12_.private_seg_size, 0
	.set _ZN7rocprim17ROCPRIM_400000_NS6detail17trampoline_kernelINS0_13select_configILj256ELj13ELNS0_17block_load_methodE3ELS4_3ELS4_3ELNS0_20block_scan_algorithmE0ELj4294967295EEENS1_25partition_config_selectorILNS1_17partition_subalgoE4EjNS0_10empty_typeEbEEZZNS1_14partition_implILS8_4ELb0ES6_15HIP_vector_typeIjLj2EENS0_17counting_iteratorIjlEEPS9_SG_NS0_5tupleIJPjSI_NS0_16reverse_iteratorISI_EEEEENSH_IJSG_SG_SG_EEES9_SI_JZNS1_25segmented_radix_sort_implINS0_14default_configELb0EPKsPsPKlPlN2at6native12_GLOBAL__N_18offset_tEEE10hipError_tPvRmT1_PNSt15iterator_traitsIS12_E10value_typeET2_T3_PNS13_IS18_E10value_typeET4_jRbjT5_S1E_jjP12ihipStream_tbEUljE_ZNSN_ISO_Lb0ESQ_SR_ST_SU_SY_EESZ_S10_S11_S12_S16_S17_S18_S1B_S1C_jS1D_jS1E_S1E_jjS1G_bEUljE0_EEESZ_S10_S11_S18_S1C_S1E_T6_T7_T9_mT8_S1G_bDpT10_ENKUlT_T0_E_clISt17integral_constantIbLb0EES1T_IbLb1EEEEDaS1P_S1Q_EUlS1P_E_NS1_11comp_targetILNS1_3genE5ELNS1_11target_archE942ELNS1_3gpuE9ELNS1_3repE0EEENS1_30default_config_static_selectorELNS0_4arch9wavefront6targetE0EEEvS12_.uses_vcc, 0
	.set _ZN7rocprim17ROCPRIM_400000_NS6detail17trampoline_kernelINS0_13select_configILj256ELj13ELNS0_17block_load_methodE3ELS4_3ELS4_3ELNS0_20block_scan_algorithmE0ELj4294967295EEENS1_25partition_config_selectorILNS1_17partition_subalgoE4EjNS0_10empty_typeEbEEZZNS1_14partition_implILS8_4ELb0ES6_15HIP_vector_typeIjLj2EENS0_17counting_iteratorIjlEEPS9_SG_NS0_5tupleIJPjSI_NS0_16reverse_iteratorISI_EEEEENSH_IJSG_SG_SG_EEES9_SI_JZNS1_25segmented_radix_sort_implINS0_14default_configELb0EPKsPsPKlPlN2at6native12_GLOBAL__N_18offset_tEEE10hipError_tPvRmT1_PNSt15iterator_traitsIS12_E10value_typeET2_T3_PNS13_IS18_E10value_typeET4_jRbjT5_S1E_jjP12ihipStream_tbEUljE_ZNSN_ISO_Lb0ESQ_SR_ST_SU_SY_EESZ_S10_S11_S12_S16_S17_S18_S1B_S1C_jS1D_jS1E_S1E_jjS1G_bEUljE0_EEESZ_S10_S11_S18_S1C_S1E_T6_T7_T9_mT8_S1G_bDpT10_ENKUlT_T0_E_clISt17integral_constantIbLb0EES1T_IbLb1EEEEDaS1P_S1Q_EUlS1P_E_NS1_11comp_targetILNS1_3genE5ELNS1_11target_archE942ELNS1_3gpuE9ELNS1_3repE0EEENS1_30default_config_static_selectorELNS0_4arch9wavefront6targetE0EEEvS12_.uses_flat_scratch, 0
	.set _ZN7rocprim17ROCPRIM_400000_NS6detail17trampoline_kernelINS0_13select_configILj256ELj13ELNS0_17block_load_methodE3ELS4_3ELS4_3ELNS0_20block_scan_algorithmE0ELj4294967295EEENS1_25partition_config_selectorILNS1_17partition_subalgoE4EjNS0_10empty_typeEbEEZZNS1_14partition_implILS8_4ELb0ES6_15HIP_vector_typeIjLj2EENS0_17counting_iteratorIjlEEPS9_SG_NS0_5tupleIJPjSI_NS0_16reverse_iteratorISI_EEEEENSH_IJSG_SG_SG_EEES9_SI_JZNS1_25segmented_radix_sort_implINS0_14default_configELb0EPKsPsPKlPlN2at6native12_GLOBAL__N_18offset_tEEE10hipError_tPvRmT1_PNSt15iterator_traitsIS12_E10value_typeET2_T3_PNS13_IS18_E10value_typeET4_jRbjT5_S1E_jjP12ihipStream_tbEUljE_ZNSN_ISO_Lb0ESQ_SR_ST_SU_SY_EESZ_S10_S11_S12_S16_S17_S18_S1B_S1C_jS1D_jS1E_S1E_jjS1G_bEUljE0_EEESZ_S10_S11_S18_S1C_S1E_T6_T7_T9_mT8_S1G_bDpT10_ENKUlT_T0_E_clISt17integral_constantIbLb0EES1T_IbLb1EEEEDaS1P_S1Q_EUlS1P_E_NS1_11comp_targetILNS1_3genE5ELNS1_11target_archE942ELNS1_3gpuE9ELNS1_3repE0EEENS1_30default_config_static_selectorELNS0_4arch9wavefront6targetE0EEEvS12_.has_dyn_sized_stack, 0
	.set _ZN7rocprim17ROCPRIM_400000_NS6detail17trampoline_kernelINS0_13select_configILj256ELj13ELNS0_17block_load_methodE3ELS4_3ELS4_3ELNS0_20block_scan_algorithmE0ELj4294967295EEENS1_25partition_config_selectorILNS1_17partition_subalgoE4EjNS0_10empty_typeEbEEZZNS1_14partition_implILS8_4ELb0ES6_15HIP_vector_typeIjLj2EENS0_17counting_iteratorIjlEEPS9_SG_NS0_5tupleIJPjSI_NS0_16reverse_iteratorISI_EEEEENSH_IJSG_SG_SG_EEES9_SI_JZNS1_25segmented_radix_sort_implINS0_14default_configELb0EPKsPsPKlPlN2at6native12_GLOBAL__N_18offset_tEEE10hipError_tPvRmT1_PNSt15iterator_traitsIS12_E10value_typeET2_T3_PNS13_IS18_E10value_typeET4_jRbjT5_S1E_jjP12ihipStream_tbEUljE_ZNSN_ISO_Lb0ESQ_SR_ST_SU_SY_EESZ_S10_S11_S12_S16_S17_S18_S1B_S1C_jS1D_jS1E_S1E_jjS1G_bEUljE0_EEESZ_S10_S11_S18_S1C_S1E_T6_T7_T9_mT8_S1G_bDpT10_ENKUlT_T0_E_clISt17integral_constantIbLb0EES1T_IbLb1EEEEDaS1P_S1Q_EUlS1P_E_NS1_11comp_targetILNS1_3genE5ELNS1_11target_archE942ELNS1_3gpuE9ELNS1_3repE0EEENS1_30default_config_static_selectorELNS0_4arch9wavefront6targetE0EEEvS12_.has_recursion, 0
	.set _ZN7rocprim17ROCPRIM_400000_NS6detail17trampoline_kernelINS0_13select_configILj256ELj13ELNS0_17block_load_methodE3ELS4_3ELS4_3ELNS0_20block_scan_algorithmE0ELj4294967295EEENS1_25partition_config_selectorILNS1_17partition_subalgoE4EjNS0_10empty_typeEbEEZZNS1_14partition_implILS8_4ELb0ES6_15HIP_vector_typeIjLj2EENS0_17counting_iteratorIjlEEPS9_SG_NS0_5tupleIJPjSI_NS0_16reverse_iteratorISI_EEEEENSH_IJSG_SG_SG_EEES9_SI_JZNS1_25segmented_radix_sort_implINS0_14default_configELb0EPKsPsPKlPlN2at6native12_GLOBAL__N_18offset_tEEE10hipError_tPvRmT1_PNSt15iterator_traitsIS12_E10value_typeET2_T3_PNS13_IS18_E10value_typeET4_jRbjT5_S1E_jjP12ihipStream_tbEUljE_ZNSN_ISO_Lb0ESQ_SR_ST_SU_SY_EESZ_S10_S11_S12_S16_S17_S18_S1B_S1C_jS1D_jS1E_S1E_jjS1G_bEUljE0_EEESZ_S10_S11_S18_S1C_S1E_T6_T7_T9_mT8_S1G_bDpT10_ENKUlT_T0_E_clISt17integral_constantIbLb0EES1T_IbLb1EEEEDaS1P_S1Q_EUlS1P_E_NS1_11comp_targetILNS1_3genE5ELNS1_11target_archE942ELNS1_3gpuE9ELNS1_3repE0EEENS1_30default_config_static_selectorELNS0_4arch9wavefront6targetE0EEEvS12_.has_indirect_call, 0
	.section	.AMDGPU.csdata,"",@progbits
; Kernel info:
; codeLenInByte = 0
; TotalNumSgprs: 0
; NumVgprs: 0
; ScratchSize: 0
; MemoryBound: 0
; FloatMode: 240
; IeeeMode: 1
; LDSByteSize: 0 bytes/workgroup (compile time only)
; SGPRBlocks: 0
; VGPRBlocks: 0
; NumSGPRsForWavesPerEU: 1
; NumVGPRsForWavesPerEU: 1
; NamedBarCnt: 0
; Occupancy: 16
; WaveLimiterHint : 0
; COMPUTE_PGM_RSRC2:SCRATCH_EN: 0
; COMPUTE_PGM_RSRC2:USER_SGPR: 2
; COMPUTE_PGM_RSRC2:TRAP_HANDLER: 0
; COMPUTE_PGM_RSRC2:TGID_X_EN: 1
; COMPUTE_PGM_RSRC2:TGID_Y_EN: 0
; COMPUTE_PGM_RSRC2:TGID_Z_EN: 0
; COMPUTE_PGM_RSRC2:TIDIG_COMP_CNT: 0
	.section	.text._ZN7rocprim17ROCPRIM_400000_NS6detail17trampoline_kernelINS0_13select_configILj256ELj13ELNS0_17block_load_methodE3ELS4_3ELS4_3ELNS0_20block_scan_algorithmE0ELj4294967295EEENS1_25partition_config_selectorILNS1_17partition_subalgoE4EjNS0_10empty_typeEbEEZZNS1_14partition_implILS8_4ELb0ES6_15HIP_vector_typeIjLj2EENS0_17counting_iteratorIjlEEPS9_SG_NS0_5tupleIJPjSI_NS0_16reverse_iteratorISI_EEEEENSH_IJSG_SG_SG_EEES9_SI_JZNS1_25segmented_radix_sort_implINS0_14default_configELb0EPKsPsPKlPlN2at6native12_GLOBAL__N_18offset_tEEE10hipError_tPvRmT1_PNSt15iterator_traitsIS12_E10value_typeET2_T3_PNS13_IS18_E10value_typeET4_jRbjT5_S1E_jjP12ihipStream_tbEUljE_ZNSN_ISO_Lb0ESQ_SR_ST_SU_SY_EESZ_S10_S11_S12_S16_S17_S18_S1B_S1C_jS1D_jS1E_S1E_jjS1G_bEUljE0_EEESZ_S10_S11_S18_S1C_S1E_T6_T7_T9_mT8_S1G_bDpT10_ENKUlT_T0_E_clISt17integral_constantIbLb0EES1T_IbLb1EEEEDaS1P_S1Q_EUlS1P_E_NS1_11comp_targetILNS1_3genE4ELNS1_11target_archE910ELNS1_3gpuE8ELNS1_3repE0EEENS1_30default_config_static_selectorELNS0_4arch9wavefront6targetE0EEEvS12_,"axG",@progbits,_ZN7rocprim17ROCPRIM_400000_NS6detail17trampoline_kernelINS0_13select_configILj256ELj13ELNS0_17block_load_methodE3ELS4_3ELS4_3ELNS0_20block_scan_algorithmE0ELj4294967295EEENS1_25partition_config_selectorILNS1_17partition_subalgoE4EjNS0_10empty_typeEbEEZZNS1_14partition_implILS8_4ELb0ES6_15HIP_vector_typeIjLj2EENS0_17counting_iteratorIjlEEPS9_SG_NS0_5tupleIJPjSI_NS0_16reverse_iteratorISI_EEEEENSH_IJSG_SG_SG_EEES9_SI_JZNS1_25segmented_radix_sort_implINS0_14default_configELb0EPKsPsPKlPlN2at6native12_GLOBAL__N_18offset_tEEE10hipError_tPvRmT1_PNSt15iterator_traitsIS12_E10value_typeET2_T3_PNS13_IS18_E10value_typeET4_jRbjT5_S1E_jjP12ihipStream_tbEUljE_ZNSN_ISO_Lb0ESQ_SR_ST_SU_SY_EESZ_S10_S11_S12_S16_S17_S18_S1B_S1C_jS1D_jS1E_S1E_jjS1G_bEUljE0_EEESZ_S10_S11_S18_S1C_S1E_T6_T7_T9_mT8_S1G_bDpT10_ENKUlT_T0_E_clISt17integral_constantIbLb0EES1T_IbLb1EEEEDaS1P_S1Q_EUlS1P_E_NS1_11comp_targetILNS1_3genE4ELNS1_11target_archE910ELNS1_3gpuE8ELNS1_3repE0EEENS1_30default_config_static_selectorELNS0_4arch9wavefront6targetE0EEEvS12_,comdat
	.globl	_ZN7rocprim17ROCPRIM_400000_NS6detail17trampoline_kernelINS0_13select_configILj256ELj13ELNS0_17block_load_methodE3ELS4_3ELS4_3ELNS0_20block_scan_algorithmE0ELj4294967295EEENS1_25partition_config_selectorILNS1_17partition_subalgoE4EjNS0_10empty_typeEbEEZZNS1_14partition_implILS8_4ELb0ES6_15HIP_vector_typeIjLj2EENS0_17counting_iteratorIjlEEPS9_SG_NS0_5tupleIJPjSI_NS0_16reverse_iteratorISI_EEEEENSH_IJSG_SG_SG_EEES9_SI_JZNS1_25segmented_radix_sort_implINS0_14default_configELb0EPKsPsPKlPlN2at6native12_GLOBAL__N_18offset_tEEE10hipError_tPvRmT1_PNSt15iterator_traitsIS12_E10value_typeET2_T3_PNS13_IS18_E10value_typeET4_jRbjT5_S1E_jjP12ihipStream_tbEUljE_ZNSN_ISO_Lb0ESQ_SR_ST_SU_SY_EESZ_S10_S11_S12_S16_S17_S18_S1B_S1C_jS1D_jS1E_S1E_jjS1G_bEUljE0_EEESZ_S10_S11_S18_S1C_S1E_T6_T7_T9_mT8_S1G_bDpT10_ENKUlT_T0_E_clISt17integral_constantIbLb0EES1T_IbLb1EEEEDaS1P_S1Q_EUlS1P_E_NS1_11comp_targetILNS1_3genE4ELNS1_11target_archE910ELNS1_3gpuE8ELNS1_3repE0EEENS1_30default_config_static_selectorELNS0_4arch9wavefront6targetE0EEEvS12_ ; -- Begin function _ZN7rocprim17ROCPRIM_400000_NS6detail17trampoline_kernelINS0_13select_configILj256ELj13ELNS0_17block_load_methodE3ELS4_3ELS4_3ELNS0_20block_scan_algorithmE0ELj4294967295EEENS1_25partition_config_selectorILNS1_17partition_subalgoE4EjNS0_10empty_typeEbEEZZNS1_14partition_implILS8_4ELb0ES6_15HIP_vector_typeIjLj2EENS0_17counting_iteratorIjlEEPS9_SG_NS0_5tupleIJPjSI_NS0_16reverse_iteratorISI_EEEEENSH_IJSG_SG_SG_EEES9_SI_JZNS1_25segmented_radix_sort_implINS0_14default_configELb0EPKsPsPKlPlN2at6native12_GLOBAL__N_18offset_tEEE10hipError_tPvRmT1_PNSt15iterator_traitsIS12_E10value_typeET2_T3_PNS13_IS18_E10value_typeET4_jRbjT5_S1E_jjP12ihipStream_tbEUljE_ZNSN_ISO_Lb0ESQ_SR_ST_SU_SY_EESZ_S10_S11_S12_S16_S17_S18_S1B_S1C_jS1D_jS1E_S1E_jjS1G_bEUljE0_EEESZ_S10_S11_S18_S1C_S1E_T6_T7_T9_mT8_S1G_bDpT10_ENKUlT_T0_E_clISt17integral_constantIbLb0EES1T_IbLb1EEEEDaS1P_S1Q_EUlS1P_E_NS1_11comp_targetILNS1_3genE4ELNS1_11target_archE910ELNS1_3gpuE8ELNS1_3repE0EEENS1_30default_config_static_selectorELNS0_4arch9wavefront6targetE0EEEvS12_
	.p2align	8
	.type	_ZN7rocprim17ROCPRIM_400000_NS6detail17trampoline_kernelINS0_13select_configILj256ELj13ELNS0_17block_load_methodE3ELS4_3ELS4_3ELNS0_20block_scan_algorithmE0ELj4294967295EEENS1_25partition_config_selectorILNS1_17partition_subalgoE4EjNS0_10empty_typeEbEEZZNS1_14partition_implILS8_4ELb0ES6_15HIP_vector_typeIjLj2EENS0_17counting_iteratorIjlEEPS9_SG_NS0_5tupleIJPjSI_NS0_16reverse_iteratorISI_EEEEENSH_IJSG_SG_SG_EEES9_SI_JZNS1_25segmented_radix_sort_implINS0_14default_configELb0EPKsPsPKlPlN2at6native12_GLOBAL__N_18offset_tEEE10hipError_tPvRmT1_PNSt15iterator_traitsIS12_E10value_typeET2_T3_PNS13_IS18_E10value_typeET4_jRbjT5_S1E_jjP12ihipStream_tbEUljE_ZNSN_ISO_Lb0ESQ_SR_ST_SU_SY_EESZ_S10_S11_S12_S16_S17_S18_S1B_S1C_jS1D_jS1E_S1E_jjS1G_bEUljE0_EEESZ_S10_S11_S18_S1C_S1E_T6_T7_T9_mT8_S1G_bDpT10_ENKUlT_T0_E_clISt17integral_constantIbLb0EES1T_IbLb1EEEEDaS1P_S1Q_EUlS1P_E_NS1_11comp_targetILNS1_3genE4ELNS1_11target_archE910ELNS1_3gpuE8ELNS1_3repE0EEENS1_30default_config_static_selectorELNS0_4arch9wavefront6targetE0EEEvS12_,@function
_ZN7rocprim17ROCPRIM_400000_NS6detail17trampoline_kernelINS0_13select_configILj256ELj13ELNS0_17block_load_methodE3ELS4_3ELS4_3ELNS0_20block_scan_algorithmE0ELj4294967295EEENS1_25partition_config_selectorILNS1_17partition_subalgoE4EjNS0_10empty_typeEbEEZZNS1_14partition_implILS8_4ELb0ES6_15HIP_vector_typeIjLj2EENS0_17counting_iteratorIjlEEPS9_SG_NS0_5tupleIJPjSI_NS0_16reverse_iteratorISI_EEEEENSH_IJSG_SG_SG_EEES9_SI_JZNS1_25segmented_radix_sort_implINS0_14default_configELb0EPKsPsPKlPlN2at6native12_GLOBAL__N_18offset_tEEE10hipError_tPvRmT1_PNSt15iterator_traitsIS12_E10value_typeET2_T3_PNS13_IS18_E10value_typeET4_jRbjT5_S1E_jjP12ihipStream_tbEUljE_ZNSN_ISO_Lb0ESQ_SR_ST_SU_SY_EESZ_S10_S11_S12_S16_S17_S18_S1B_S1C_jS1D_jS1E_S1E_jjS1G_bEUljE0_EEESZ_S10_S11_S18_S1C_S1E_T6_T7_T9_mT8_S1G_bDpT10_ENKUlT_T0_E_clISt17integral_constantIbLb0EES1T_IbLb1EEEEDaS1P_S1Q_EUlS1P_E_NS1_11comp_targetILNS1_3genE4ELNS1_11target_archE910ELNS1_3gpuE8ELNS1_3repE0EEENS1_30default_config_static_selectorELNS0_4arch9wavefront6targetE0EEEvS12_: ; @_ZN7rocprim17ROCPRIM_400000_NS6detail17trampoline_kernelINS0_13select_configILj256ELj13ELNS0_17block_load_methodE3ELS4_3ELS4_3ELNS0_20block_scan_algorithmE0ELj4294967295EEENS1_25partition_config_selectorILNS1_17partition_subalgoE4EjNS0_10empty_typeEbEEZZNS1_14partition_implILS8_4ELb0ES6_15HIP_vector_typeIjLj2EENS0_17counting_iteratorIjlEEPS9_SG_NS0_5tupleIJPjSI_NS0_16reverse_iteratorISI_EEEEENSH_IJSG_SG_SG_EEES9_SI_JZNS1_25segmented_radix_sort_implINS0_14default_configELb0EPKsPsPKlPlN2at6native12_GLOBAL__N_18offset_tEEE10hipError_tPvRmT1_PNSt15iterator_traitsIS12_E10value_typeET2_T3_PNS13_IS18_E10value_typeET4_jRbjT5_S1E_jjP12ihipStream_tbEUljE_ZNSN_ISO_Lb0ESQ_SR_ST_SU_SY_EESZ_S10_S11_S12_S16_S17_S18_S1B_S1C_jS1D_jS1E_S1E_jjS1G_bEUljE0_EEESZ_S10_S11_S18_S1C_S1E_T6_T7_T9_mT8_S1G_bDpT10_ENKUlT_T0_E_clISt17integral_constantIbLb0EES1T_IbLb1EEEEDaS1P_S1Q_EUlS1P_E_NS1_11comp_targetILNS1_3genE4ELNS1_11target_archE910ELNS1_3gpuE8ELNS1_3repE0EEENS1_30default_config_static_selectorELNS0_4arch9wavefront6targetE0EEEvS12_
; %bb.0:
	.section	.rodata,"a",@progbits
	.p2align	6, 0x0
	.amdhsa_kernel _ZN7rocprim17ROCPRIM_400000_NS6detail17trampoline_kernelINS0_13select_configILj256ELj13ELNS0_17block_load_methodE3ELS4_3ELS4_3ELNS0_20block_scan_algorithmE0ELj4294967295EEENS1_25partition_config_selectorILNS1_17partition_subalgoE4EjNS0_10empty_typeEbEEZZNS1_14partition_implILS8_4ELb0ES6_15HIP_vector_typeIjLj2EENS0_17counting_iteratorIjlEEPS9_SG_NS0_5tupleIJPjSI_NS0_16reverse_iteratorISI_EEEEENSH_IJSG_SG_SG_EEES9_SI_JZNS1_25segmented_radix_sort_implINS0_14default_configELb0EPKsPsPKlPlN2at6native12_GLOBAL__N_18offset_tEEE10hipError_tPvRmT1_PNSt15iterator_traitsIS12_E10value_typeET2_T3_PNS13_IS18_E10value_typeET4_jRbjT5_S1E_jjP12ihipStream_tbEUljE_ZNSN_ISO_Lb0ESQ_SR_ST_SU_SY_EESZ_S10_S11_S12_S16_S17_S18_S1B_S1C_jS1D_jS1E_S1E_jjS1G_bEUljE0_EEESZ_S10_S11_S18_S1C_S1E_T6_T7_T9_mT8_S1G_bDpT10_ENKUlT_T0_E_clISt17integral_constantIbLb0EES1T_IbLb1EEEEDaS1P_S1Q_EUlS1P_E_NS1_11comp_targetILNS1_3genE4ELNS1_11target_archE910ELNS1_3gpuE8ELNS1_3repE0EEENS1_30default_config_static_selectorELNS0_4arch9wavefront6targetE0EEEvS12_
		.amdhsa_group_segment_fixed_size 0
		.amdhsa_private_segment_fixed_size 0
		.amdhsa_kernarg_size 184
		.amdhsa_user_sgpr_count 2
		.amdhsa_user_sgpr_dispatch_ptr 0
		.amdhsa_user_sgpr_queue_ptr 0
		.amdhsa_user_sgpr_kernarg_segment_ptr 1
		.amdhsa_user_sgpr_dispatch_id 0
		.amdhsa_user_sgpr_kernarg_preload_length 0
		.amdhsa_user_sgpr_kernarg_preload_offset 0
		.amdhsa_user_sgpr_private_segment_size 0
		.amdhsa_wavefront_size32 1
		.amdhsa_uses_dynamic_stack 0
		.amdhsa_enable_private_segment 0
		.amdhsa_system_sgpr_workgroup_id_x 1
		.amdhsa_system_sgpr_workgroup_id_y 0
		.amdhsa_system_sgpr_workgroup_id_z 0
		.amdhsa_system_sgpr_workgroup_info 0
		.amdhsa_system_vgpr_workitem_id 0
		.amdhsa_next_free_vgpr 1
		.amdhsa_next_free_sgpr 1
		.amdhsa_named_barrier_count 0
		.amdhsa_reserve_vcc 0
		.amdhsa_float_round_mode_32 0
		.amdhsa_float_round_mode_16_64 0
		.amdhsa_float_denorm_mode_32 3
		.amdhsa_float_denorm_mode_16_64 3
		.amdhsa_fp16_overflow 0
		.amdhsa_memory_ordered 1
		.amdhsa_forward_progress 1
		.amdhsa_inst_pref_size 0
		.amdhsa_round_robin_scheduling 0
		.amdhsa_exception_fp_ieee_invalid_op 0
		.amdhsa_exception_fp_denorm_src 0
		.amdhsa_exception_fp_ieee_div_zero 0
		.amdhsa_exception_fp_ieee_overflow 0
		.amdhsa_exception_fp_ieee_underflow 0
		.amdhsa_exception_fp_ieee_inexact 0
		.amdhsa_exception_int_div_zero 0
	.end_amdhsa_kernel
	.section	.text._ZN7rocprim17ROCPRIM_400000_NS6detail17trampoline_kernelINS0_13select_configILj256ELj13ELNS0_17block_load_methodE3ELS4_3ELS4_3ELNS0_20block_scan_algorithmE0ELj4294967295EEENS1_25partition_config_selectorILNS1_17partition_subalgoE4EjNS0_10empty_typeEbEEZZNS1_14partition_implILS8_4ELb0ES6_15HIP_vector_typeIjLj2EENS0_17counting_iteratorIjlEEPS9_SG_NS0_5tupleIJPjSI_NS0_16reverse_iteratorISI_EEEEENSH_IJSG_SG_SG_EEES9_SI_JZNS1_25segmented_radix_sort_implINS0_14default_configELb0EPKsPsPKlPlN2at6native12_GLOBAL__N_18offset_tEEE10hipError_tPvRmT1_PNSt15iterator_traitsIS12_E10value_typeET2_T3_PNS13_IS18_E10value_typeET4_jRbjT5_S1E_jjP12ihipStream_tbEUljE_ZNSN_ISO_Lb0ESQ_SR_ST_SU_SY_EESZ_S10_S11_S12_S16_S17_S18_S1B_S1C_jS1D_jS1E_S1E_jjS1G_bEUljE0_EEESZ_S10_S11_S18_S1C_S1E_T6_T7_T9_mT8_S1G_bDpT10_ENKUlT_T0_E_clISt17integral_constantIbLb0EES1T_IbLb1EEEEDaS1P_S1Q_EUlS1P_E_NS1_11comp_targetILNS1_3genE4ELNS1_11target_archE910ELNS1_3gpuE8ELNS1_3repE0EEENS1_30default_config_static_selectorELNS0_4arch9wavefront6targetE0EEEvS12_,"axG",@progbits,_ZN7rocprim17ROCPRIM_400000_NS6detail17trampoline_kernelINS0_13select_configILj256ELj13ELNS0_17block_load_methodE3ELS4_3ELS4_3ELNS0_20block_scan_algorithmE0ELj4294967295EEENS1_25partition_config_selectorILNS1_17partition_subalgoE4EjNS0_10empty_typeEbEEZZNS1_14partition_implILS8_4ELb0ES6_15HIP_vector_typeIjLj2EENS0_17counting_iteratorIjlEEPS9_SG_NS0_5tupleIJPjSI_NS0_16reverse_iteratorISI_EEEEENSH_IJSG_SG_SG_EEES9_SI_JZNS1_25segmented_radix_sort_implINS0_14default_configELb0EPKsPsPKlPlN2at6native12_GLOBAL__N_18offset_tEEE10hipError_tPvRmT1_PNSt15iterator_traitsIS12_E10value_typeET2_T3_PNS13_IS18_E10value_typeET4_jRbjT5_S1E_jjP12ihipStream_tbEUljE_ZNSN_ISO_Lb0ESQ_SR_ST_SU_SY_EESZ_S10_S11_S12_S16_S17_S18_S1B_S1C_jS1D_jS1E_S1E_jjS1G_bEUljE0_EEESZ_S10_S11_S18_S1C_S1E_T6_T7_T9_mT8_S1G_bDpT10_ENKUlT_T0_E_clISt17integral_constantIbLb0EES1T_IbLb1EEEEDaS1P_S1Q_EUlS1P_E_NS1_11comp_targetILNS1_3genE4ELNS1_11target_archE910ELNS1_3gpuE8ELNS1_3repE0EEENS1_30default_config_static_selectorELNS0_4arch9wavefront6targetE0EEEvS12_,comdat
.Lfunc_end971:
	.size	_ZN7rocprim17ROCPRIM_400000_NS6detail17trampoline_kernelINS0_13select_configILj256ELj13ELNS0_17block_load_methodE3ELS4_3ELS4_3ELNS0_20block_scan_algorithmE0ELj4294967295EEENS1_25partition_config_selectorILNS1_17partition_subalgoE4EjNS0_10empty_typeEbEEZZNS1_14partition_implILS8_4ELb0ES6_15HIP_vector_typeIjLj2EENS0_17counting_iteratorIjlEEPS9_SG_NS0_5tupleIJPjSI_NS0_16reverse_iteratorISI_EEEEENSH_IJSG_SG_SG_EEES9_SI_JZNS1_25segmented_radix_sort_implINS0_14default_configELb0EPKsPsPKlPlN2at6native12_GLOBAL__N_18offset_tEEE10hipError_tPvRmT1_PNSt15iterator_traitsIS12_E10value_typeET2_T3_PNS13_IS18_E10value_typeET4_jRbjT5_S1E_jjP12ihipStream_tbEUljE_ZNSN_ISO_Lb0ESQ_SR_ST_SU_SY_EESZ_S10_S11_S12_S16_S17_S18_S1B_S1C_jS1D_jS1E_S1E_jjS1G_bEUljE0_EEESZ_S10_S11_S18_S1C_S1E_T6_T7_T9_mT8_S1G_bDpT10_ENKUlT_T0_E_clISt17integral_constantIbLb0EES1T_IbLb1EEEEDaS1P_S1Q_EUlS1P_E_NS1_11comp_targetILNS1_3genE4ELNS1_11target_archE910ELNS1_3gpuE8ELNS1_3repE0EEENS1_30default_config_static_selectorELNS0_4arch9wavefront6targetE0EEEvS12_, .Lfunc_end971-_ZN7rocprim17ROCPRIM_400000_NS6detail17trampoline_kernelINS0_13select_configILj256ELj13ELNS0_17block_load_methodE3ELS4_3ELS4_3ELNS0_20block_scan_algorithmE0ELj4294967295EEENS1_25partition_config_selectorILNS1_17partition_subalgoE4EjNS0_10empty_typeEbEEZZNS1_14partition_implILS8_4ELb0ES6_15HIP_vector_typeIjLj2EENS0_17counting_iteratorIjlEEPS9_SG_NS0_5tupleIJPjSI_NS0_16reverse_iteratorISI_EEEEENSH_IJSG_SG_SG_EEES9_SI_JZNS1_25segmented_radix_sort_implINS0_14default_configELb0EPKsPsPKlPlN2at6native12_GLOBAL__N_18offset_tEEE10hipError_tPvRmT1_PNSt15iterator_traitsIS12_E10value_typeET2_T3_PNS13_IS18_E10value_typeET4_jRbjT5_S1E_jjP12ihipStream_tbEUljE_ZNSN_ISO_Lb0ESQ_SR_ST_SU_SY_EESZ_S10_S11_S12_S16_S17_S18_S1B_S1C_jS1D_jS1E_S1E_jjS1G_bEUljE0_EEESZ_S10_S11_S18_S1C_S1E_T6_T7_T9_mT8_S1G_bDpT10_ENKUlT_T0_E_clISt17integral_constantIbLb0EES1T_IbLb1EEEEDaS1P_S1Q_EUlS1P_E_NS1_11comp_targetILNS1_3genE4ELNS1_11target_archE910ELNS1_3gpuE8ELNS1_3repE0EEENS1_30default_config_static_selectorELNS0_4arch9wavefront6targetE0EEEvS12_
                                        ; -- End function
	.set _ZN7rocprim17ROCPRIM_400000_NS6detail17trampoline_kernelINS0_13select_configILj256ELj13ELNS0_17block_load_methodE3ELS4_3ELS4_3ELNS0_20block_scan_algorithmE0ELj4294967295EEENS1_25partition_config_selectorILNS1_17partition_subalgoE4EjNS0_10empty_typeEbEEZZNS1_14partition_implILS8_4ELb0ES6_15HIP_vector_typeIjLj2EENS0_17counting_iteratorIjlEEPS9_SG_NS0_5tupleIJPjSI_NS0_16reverse_iteratorISI_EEEEENSH_IJSG_SG_SG_EEES9_SI_JZNS1_25segmented_radix_sort_implINS0_14default_configELb0EPKsPsPKlPlN2at6native12_GLOBAL__N_18offset_tEEE10hipError_tPvRmT1_PNSt15iterator_traitsIS12_E10value_typeET2_T3_PNS13_IS18_E10value_typeET4_jRbjT5_S1E_jjP12ihipStream_tbEUljE_ZNSN_ISO_Lb0ESQ_SR_ST_SU_SY_EESZ_S10_S11_S12_S16_S17_S18_S1B_S1C_jS1D_jS1E_S1E_jjS1G_bEUljE0_EEESZ_S10_S11_S18_S1C_S1E_T6_T7_T9_mT8_S1G_bDpT10_ENKUlT_T0_E_clISt17integral_constantIbLb0EES1T_IbLb1EEEEDaS1P_S1Q_EUlS1P_E_NS1_11comp_targetILNS1_3genE4ELNS1_11target_archE910ELNS1_3gpuE8ELNS1_3repE0EEENS1_30default_config_static_selectorELNS0_4arch9wavefront6targetE0EEEvS12_.num_vgpr, 0
	.set _ZN7rocprim17ROCPRIM_400000_NS6detail17trampoline_kernelINS0_13select_configILj256ELj13ELNS0_17block_load_methodE3ELS4_3ELS4_3ELNS0_20block_scan_algorithmE0ELj4294967295EEENS1_25partition_config_selectorILNS1_17partition_subalgoE4EjNS0_10empty_typeEbEEZZNS1_14partition_implILS8_4ELb0ES6_15HIP_vector_typeIjLj2EENS0_17counting_iteratorIjlEEPS9_SG_NS0_5tupleIJPjSI_NS0_16reverse_iteratorISI_EEEEENSH_IJSG_SG_SG_EEES9_SI_JZNS1_25segmented_radix_sort_implINS0_14default_configELb0EPKsPsPKlPlN2at6native12_GLOBAL__N_18offset_tEEE10hipError_tPvRmT1_PNSt15iterator_traitsIS12_E10value_typeET2_T3_PNS13_IS18_E10value_typeET4_jRbjT5_S1E_jjP12ihipStream_tbEUljE_ZNSN_ISO_Lb0ESQ_SR_ST_SU_SY_EESZ_S10_S11_S12_S16_S17_S18_S1B_S1C_jS1D_jS1E_S1E_jjS1G_bEUljE0_EEESZ_S10_S11_S18_S1C_S1E_T6_T7_T9_mT8_S1G_bDpT10_ENKUlT_T0_E_clISt17integral_constantIbLb0EES1T_IbLb1EEEEDaS1P_S1Q_EUlS1P_E_NS1_11comp_targetILNS1_3genE4ELNS1_11target_archE910ELNS1_3gpuE8ELNS1_3repE0EEENS1_30default_config_static_selectorELNS0_4arch9wavefront6targetE0EEEvS12_.num_agpr, 0
	.set _ZN7rocprim17ROCPRIM_400000_NS6detail17trampoline_kernelINS0_13select_configILj256ELj13ELNS0_17block_load_methodE3ELS4_3ELS4_3ELNS0_20block_scan_algorithmE0ELj4294967295EEENS1_25partition_config_selectorILNS1_17partition_subalgoE4EjNS0_10empty_typeEbEEZZNS1_14partition_implILS8_4ELb0ES6_15HIP_vector_typeIjLj2EENS0_17counting_iteratorIjlEEPS9_SG_NS0_5tupleIJPjSI_NS0_16reverse_iteratorISI_EEEEENSH_IJSG_SG_SG_EEES9_SI_JZNS1_25segmented_radix_sort_implINS0_14default_configELb0EPKsPsPKlPlN2at6native12_GLOBAL__N_18offset_tEEE10hipError_tPvRmT1_PNSt15iterator_traitsIS12_E10value_typeET2_T3_PNS13_IS18_E10value_typeET4_jRbjT5_S1E_jjP12ihipStream_tbEUljE_ZNSN_ISO_Lb0ESQ_SR_ST_SU_SY_EESZ_S10_S11_S12_S16_S17_S18_S1B_S1C_jS1D_jS1E_S1E_jjS1G_bEUljE0_EEESZ_S10_S11_S18_S1C_S1E_T6_T7_T9_mT8_S1G_bDpT10_ENKUlT_T0_E_clISt17integral_constantIbLb0EES1T_IbLb1EEEEDaS1P_S1Q_EUlS1P_E_NS1_11comp_targetILNS1_3genE4ELNS1_11target_archE910ELNS1_3gpuE8ELNS1_3repE0EEENS1_30default_config_static_selectorELNS0_4arch9wavefront6targetE0EEEvS12_.numbered_sgpr, 0
	.set _ZN7rocprim17ROCPRIM_400000_NS6detail17trampoline_kernelINS0_13select_configILj256ELj13ELNS0_17block_load_methodE3ELS4_3ELS4_3ELNS0_20block_scan_algorithmE0ELj4294967295EEENS1_25partition_config_selectorILNS1_17partition_subalgoE4EjNS0_10empty_typeEbEEZZNS1_14partition_implILS8_4ELb0ES6_15HIP_vector_typeIjLj2EENS0_17counting_iteratorIjlEEPS9_SG_NS0_5tupleIJPjSI_NS0_16reverse_iteratorISI_EEEEENSH_IJSG_SG_SG_EEES9_SI_JZNS1_25segmented_radix_sort_implINS0_14default_configELb0EPKsPsPKlPlN2at6native12_GLOBAL__N_18offset_tEEE10hipError_tPvRmT1_PNSt15iterator_traitsIS12_E10value_typeET2_T3_PNS13_IS18_E10value_typeET4_jRbjT5_S1E_jjP12ihipStream_tbEUljE_ZNSN_ISO_Lb0ESQ_SR_ST_SU_SY_EESZ_S10_S11_S12_S16_S17_S18_S1B_S1C_jS1D_jS1E_S1E_jjS1G_bEUljE0_EEESZ_S10_S11_S18_S1C_S1E_T6_T7_T9_mT8_S1G_bDpT10_ENKUlT_T0_E_clISt17integral_constantIbLb0EES1T_IbLb1EEEEDaS1P_S1Q_EUlS1P_E_NS1_11comp_targetILNS1_3genE4ELNS1_11target_archE910ELNS1_3gpuE8ELNS1_3repE0EEENS1_30default_config_static_selectorELNS0_4arch9wavefront6targetE0EEEvS12_.num_named_barrier, 0
	.set _ZN7rocprim17ROCPRIM_400000_NS6detail17trampoline_kernelINS0_13select_configILj256ELj13ELNS0_17block_load_methodE3ELS4_3ELS4_3ELNS0_20block_scan_algorithmE0ELj4294967295EEENS1_25partition_config_selectorILNS1_17partition_subalgoE4EjNS0_10empty_typeEbEEZZNS1_14partition_implILS8_4ELb0ES6_15HIP_vector_typeIjLj2EENS0_17counting_iteratorIjlEEPS9_SG_NS0_5tupleIJPjSI_NS0_16reverse_iteratorISI_EEEEENSH_IJSG_SG_SG_EEES9_SI_JZNS1_25segmented_radix_sort_implINS0_14default_configELb0EPKsPsPKlPlN2at6native12_GLOBAL__N_18offset_tEEE10hipError_tPvRmT1_PNSt15iterator_traitsIS12_E10value_typeET2_T3_PNS13_IS18_E10value_typeET4_jRbjT5_S1E_jjP12ihipStream_tbEUljE_ZNSN_ISO_Lb0ESQ_SR_ST_SU_SY_EESZ_S10_S11_S12_S16_S17_S18_S1B_S1C_jS1D_jS1E_S1E_jjS1G_bEUljE0_EEESZ_S10_S11_S18_S1C_S1E_T6_T7_T9_mT8_S1G_bDpT10_ENKUlT_T0_E_clISt17integral_constantIbLb0EES1T_IbLb1EEEEDaS1P_S1Q_EUlS1P_E_NS1_11comp_targetILNS1_3genE4ELNS1_11target_archE910ELNS1_3gpuE8ELNS1_3repE0EEENS1_30default_config_static_selectorELNS0_4arch9wavefront6targetE0EEEvS12_.private_seg_size, 0
	.set _ZN7rocprim17ROCPRIM_400000_NS6detail17trampoline_kernelINS0_13select_configILj256ELj13ELNS0_17block_load_methodE3ELS4_3ELS4_3ELNS0_20block_scan_algorithmE0ELj4294967295EEENS1_25partition_config_selectorILNS1_17partition_subalgoE4EjNS0_10empty_typeEbEEZZNS1_14partition_implILS8_4ELb0ES6_15HIP_vector_typeIjLj2EENS0_17counting_iteratorIjlEEPS9_SG_NS0_5tupleIJPjSI_NS0_16reverse_iteratorISI_EEEEENSH_IJSG_SG_SG_EEES9_SI_JZNS1_25segmented_radix_sort_implINS0_14default_configELb0EPKsPsPKlPlN2at6native12_GLOBAL__N_18offset_tEEE10hipError_tPvRmT1_PNSt15iterator_traitsIS12_E10value_typeET2_T3_PNS13_IS18_E10value_typeET4_jRbjT5_S1E_jjP12ihipStream_tbEUljE_ZNSN_ISO_Lb0ESQ_SR_ST_SU_SY_EESZ_S10_S11_S12_S16_S17_S18_S1B_S1C_jS1D_jS1E_S1E_jjS1G_bEUljE0_EEESZ_S10_S11_S18_S1C_S1E_T6_T7_T9_mT8_S1G_bDpT10_ENKUlT_T0_E_clISt17integral_constantIbLb0EES1T_IbLb1EEEEDaS1P_S1Q_EUlS1P_E_NS1_11comp_targetILNS1_3genE4ELNS1_11target_archE910ELNS1_3gpuE8ELNS1_3repE0EEENS1_30default_config_static_selectorELNS0_4arch9wavefront6targetE0EEEvS12_.uses_vcc, 0
	.set _ZN7rocprim17ROCPRIM_400000_NS6detail17trampoline_kernelINS0_13select_configILj256ELj13ELNS0_17block_load_methodE3ELS4_3ELS4_3ELNS0_20block_scan_algorithmE0ELj4294967295EEENS1_25partition_config_selectorILNS1_17partition_subalgoE4EjNS0_10empty_typeEbEEZZNS1_14partition_implILS8_4ELb0ES6_15HIP_vector_typeIjLj2EENS0_17counting_iteratorIjlEEPS9_SG_NS0_5tupleIJPjSI_NS0_16reverse_iteratorISI_EEEEENSH_IJSG_SG_SG_EEES9_SI_JZNS1_25segmented_radix_sort_implINS0_14default_configELb0EPKsPsPKlPlN2at6native12_GLOBAL__N_18offset_tEEE10hipError_tPvRmT1_PNSt15iterator_traitsIS12_E10value_typeET2_T3_PNS13_IS18_E10value_typeET4_jRbjT5_S1E_jjP12ihipStream_tbEUljE_ZNSN_ISO_Lb0ESQ_SR_ST_SU_SY_EESZ_S10_S11_S12_S16_S17_S18_S1B_S1C_jS1D_jS1E_S1E_jjS1G_bEUljE0_EEESZ_S10_S11_S18_S1C_S1E_T6_T7_T9_mT8_S1G_bDpT10_ENKUlT_T0_E_clISt17integral_constantIbLb0EES1T_IbLb1EEEEDaS1P_S1Q_EUlS1P_E_NS1_11comp_targetILNS1_3genE4ELNS1_11target_archE910ELNS1_3gpuE8ELNS1_3repE0EEENS1_30default_config_static_selectorELNS0_4arch9wavefront6targetE0EEEvS12_.uses_flat_scratch, 0
	.set _ZN7rocprim17ROCPRIM_400000_NS6detail17trampoline_kernelINS0_13select_configILj256ELj13ELNS0_17block_load_methodE3ELS4_3ELS4_3ELNS0_20block_scan_algorithmE0ELj4294967295EEENS1_25partition_config_selectorILNS1_17partition_subalgoE4EjNS0_10empty_typeEbEEZZNS1_14partition_implILS8_4ELb0ES6_15HIP_vector_typeIjLj2EENS0_17counting_iteratorIjlEEPS9_SG_NS0_5tupleIJPjSI_NS0_16reverse_iteratorISI_EEEEENSH_IJSG_SG_SG_EEES9_SI_JZNS1_25segmented_radix_sort_implINS0_14default_configELb0EPKsPsPKlPlN2at6native12_GLOBAL__N_18offset_tEEE10hipError_tPvRmT1_PNSt15iterator_traitsIS12_E10value_typeET2_T3_PNS13_IS18_E10value_typeET4_jRbjT5_S1E_jjP12ihipStream_tbEUljE_ZNSN_ISO_Lb0ESQ_SR_ST_SU_SY_EESZ_S10_S11_S12_S16_S17_S18_S1B_S1C_jS1D_jS1E_S1E_jjS1G_bEUljE0_EEESZ_S10_S11_S18_S1C_S1E_T6_T7_T9_mT8_S1G_bDpT10_ENKUlT_T0_E_clISt17integral_constantIbLb0EES1T_IbLb1EEEEDaS1P_S1Q_EUlS1P_E_NS1_11comp_targetILNS1_3genE4ELNS1_11target_archE910ELNS1_3gpuE8ELNS1_3repE0EEENS1_30default_config_static_selectorELNS0_4arch9wavefront6targetE0EEEvS12_.has_dyn_sized_stack, 0
	.set _ZN7rocprim17ROCPRIM_400000_NS6detail17trampoline_kernelINS0_13select_configILj256ELj13ELNS0_17block_load_methodE3ELS4_3ELS4_3ELNS0_20block_scan_algorithmE0ELj4294967295EEENS1_25partition_config_selectorILNS1_17partition_subalgoE4EjNS0_10empty_typeEbEEZZNS1_14partition_implILS8_4ELb0ES6_15HIP_vector_typeIjLj2EENS0_17counting_iteratorIjlEEPS9_SG_NS0_5tupleIJPjSI_NS0_16reverse_iteratorISI_EEEEENSH_IJSG_SG_SG_EEES9_SI_JZNS1_25segmented_radix_sort_implINS0_14default_configELb0EPKsPsPKlPlN2at6native12_GLOBAL__N_18offset_tEEE10hipError_tPvRmT1_PNSt15iterator_traitsIS12_E10value_typeET2_T3_PNS13_IS18_E10value_typeET4_jRbjT5_S1E_jjP12ihipStream_tbEUljE_ZNSN_ISO_Lb0ESQ_SR_ST_SU_SY_EESZ_S10_S11_S12_S16_S17_S18_S1B_S1C_jS1D_jS1E_S1E_jjS1G_bEUljE0_EEESZ_S10_S11_S18_S1C_S1E_T6_T7_T9_mT8_S1G_bDpT10_ENKUlT_T0_E_clISt17integral_constantIbLb0EES1T_IbLb1EEEEDaS1P_S1Q_EUlS1P_E_NS1_11comp_targetILNS1_3genE4ELNS1_11target_archE910ELNS1_3gpuE8ELNS1_3repE0EEENS1_30default_config_static_selectorELNS0_4arch9wavefront6targetE0EEEvS12_.has_recursion, 0
	.set _ZN7rocprim17ROCPRIM_400000_NS6detail17trampoline_kernelINS0_13select_configILj256ELj13ELNS0_17block_load_methodE3ELS4_3ELS4_3ELNS0_20block_scan_algorithmE0ELj4294967295EEENS1_25partition_config_selectorILNS1_17partition_subalgoE4EjNS0_10empty_typeEbEEZZNS1_14partition_implILS8_4ELb0ES6_15HIP_vector_typeIjLj2EENS0_17counting_iteratorIjlEEPS9_SG_NS0_5tupleIJPjSI_NS0_16reverse_iteratorISI_EEEEENSH_IJSG_SG_SG_EEES9_SI_JZNS1_25segmented_radix_sort_implINS0_14default_configELb0EPKsPsPKlPlN2at6native12_GLOBAL__N_18offset_tEEE10hipError_tPvRmT1_PNSt15iterator_traitsIS12_E10value_typeET2_T3_PNS13_IS18_E10value_typeET4_jRbjT5_S1E_jjP12ihipStream_tbEUljE_ZNSN_ISO_Lb0ESQ_SR_ST_SU_SY_EESZ_S10_S11_S12_S16_S17_S18_S1B_S1C_jS1D_jS1E_S1E_jjS1G_bEUljE0_EEESZ_S10_S11_S18_S1C_S1E_T6_T7_T9_mT8_S1G_bDpT10_ENKUlT_T0_E_clISt17integral_constantIbLb0EES1T_IbLb1EEEEDaS1P_S1Q_EUlS1P_E_NS1_11comp_targetILNS1_3genE4ELNS1_11target_archE910ELNS1_3gpuE8ELNS1_3repE0EEENS1_30default_config_static_selectorELNS0_4arch9wavefront6targetE0EEEvS12_.has_indirect_call, 0
	.section	.AMDGPU.csdata,"",@progbits
; Kernel info:
; codeLenInByte = 0
; TotalNumSgprs: 0
; NumVgprs: 0
; ScratchSize: 0
; MemoryBound: 0
; FloatMode: 240
; IeeeMode: 1
; LDSByteSize: 0 bytes/workgroup (compile time only)
; SGPRBlocks: 0
; VGPRBlocks: 0
; NumSGPRsForWavesPerEU: 1
; NumVGPRsForWavesPerEU: 1
; NamedBarCnt: 0
; Occupancy: 16
; WaveLimiterHint : 0
; COMPUTE_PGM_RSRC2:SCRATCH_EN: 0
; COMPUTE_PGM_RSRC2:USER_SGPR: 2
; COMPUTE_PGM_RSRC2:TRAP_HANDLER: 0
; COMPUTE_PGM_RSRC2:TGID_X_EN: 1
; COMPUTE_PGM_RSRC2:TGID_Y_EN: 0
; COMPUTE_PGM_RSRC2:TGID_Z_EN: 0
; COMPUTE_PGM_RSRC2:TIDIG_COMP_CNT: 0
	.section	.text._ZN7rocprim17ROCPRIM_400000_NS6detail17trampoline_kernelINS0_13select_configILj256ELj13ELNS0_17block_load_methodE3ELS4_3ELS4_3ELNS0_20block_scan_algorithmE0ELj4294967295EEENS1_25partition_config_selectorILNS1_17partition_subalgoE4EjNS0_10empty_typeEbEEZZNS1_14partition_implILS8_4ELb0ES6_15HIP_vector_typeIjLj2EENS0_17counting_iteratorIjlEEPS9_SG_NS0_5tupleIJPjSI_NS0_16reverse_iteratorISI_EEEEENSH_IJSG_SG_SG_EEES9_SI_JZNS1_25segmented_radix_sort_implINS0_14default_configELb0EPKsPsPKlPlN2at6native12_GLOBAL__N_18offset_tEEE10hipError_tPvRmT1_PNSt15iterator_traitsIS12_E10value_typeET2_T3_PNS13_IS18_E10value_typeET4_jRbjT5_S1E_jjP12ihipStream_tbEUljE_ZNSN_ISO_Lb0ESQ_SR_ST_SU_SY_EESZ_S10_S11_S12_S16_S17_S18_S1B_S1C_jS1D_jS1E_S1E_jjS1G_bEUljE0_EEESZ_S10_S11_S18_S1C_S1E_T6_T7_T9_mT8_S1G_bDpT10_ENKUlT_T0_E_clISt17integral_constantIbLb0EES1T_IbLb1EEEEDaS1P_S1Q_EUlS1P_E_NS1_11comp_targetILNS1_3genE3ELNS1_11target_archE908ELNS1_3gpuE7ELNS1_3repE0EEENS1_30default_config_static_selectorELNS0_4arch9wavefront6targetE0EEEvS12_,"axG",@progbits,_ZN7rocprim17ROCPRIM_400000_NS6detail17trampoline_kernelINS0_13select_configILj256ELj13ELNS0_17block_load_methodE3ELS4_3ELS4_3ELNS0_20block_scan_algorithmE0ELj4294967295EEENS1_25partition_config_selectorILNS1_17partition_subalgoE4EjNS0_10empty_typeEbEEZZNS1_14partition_implILS8_4ELb0ES6_15HIP_vector_typeIjLj2EENS0_17counting_iteratorIjlEEPS9_SG_NS0_5tupleIJPjSI_NS0_16reverse_iteratorISI_EEEEENSH_IJSG_SG_SG_EEES9_SI_JZNS1_25segmented_radix_sort_implINS0_14default_configELb0EPKsPsPKlPlN2at6native12_GLOBAL__N_18offset_tEEE10hipError_tPvRmT1_PNSt15iterator_traitsIS12_E10value_typeET2_T3_PNS13_IS18_E10value_typeET4_jRbjT5_S1E_jjP12ihipStream_tbEUljE_ZNSN_ISO_Lb0ESQ_SR_ST_SU_SY_EESZ_S10_S11_S12_S16_S17_S18_S1B_S1C_jS1D_jS1E_S1E_jjS1G_bEUljE0_EEESZ_S10_S11_S18_S1C_S1E_T6_T7_T9_mT8_S1G_bDpT10_ENKUlT_T0_E_clISt17integral_constantIbLb0EES1T_IbLb1EEEEDaS1P_S1Q_EUlS1P_E_NS1_11comp_targetILNS1_3genE3ELNS1_11target_archE908ELNS1_3gpuE7ELNS1_3repE0EEENS1_30default_config_static_selectorELNS0_4arch9wavefront6targetE0EEEvS12_,comdat
	.globl	_ZN7rocprim17ROCPRIM_400000_NS6detail17trampoline_kernelINS0_13select_configILj256ELj13ELNS0_17block_load_methodE3ELS4_3ELS4_3ELNS0_20block_scan_algorithmE0ELj4294967295EEENS1_25partition_config_selectorILNS1_17partition_subalgoE4EjNS0_10empty_typeEbEEZZNS1_14partition_implILS8_4ELb0ES6_15HIP_vector_typeIjLj2EENS0_17counting_iteratorIjlEEPS9_SG_NS0_5tupleIJPjSI_NS0_16reverse_iteratorISI_EEEEENSH_IJSG_SG_SG_EEES9_SI_JZNS1_25segmented_radix_sort_implINS0_14default_configELb0EPKsPsPKlPlN2at6native12_GLOBAL__N_18offset_tEEE10hipError_tPvRmT1_PNSt15iterator_traitsIS12_E10value_typeET2_T3_PNS13_IS18_E10value_typeET4_jRbjT5_S1E_jjP12ihipStream_tbEUljE_ZNSN_ISO_Lb0ESQ_SR_ST_SU_SY_EESZ_S10_S11_S12_S16_S17_S18_S1B_S1C_jS1D_jS1E_S1E_jjS1G_bEUljE0_EEESZ_S10_S11_S18_S1C_S1E_T6_T7_T9_mT8_S1G_bDpT10_ENKUlT_T0_E_clISt17integral_constantIbLb0EES1T_IbLb1EEEEDaS1P_S1Q_EUlS1P_E_NS1_11comp_targetILNS1_3genE3ELNS1_11target_archE908ELNS1_3gpuE7ELNS1_3repE0EEENS1_30default_config_static_selectorELNS0_4arch9wavefront6targetE0EEEvS12_ ; -- Begin function _ZN7rocprim17ROCPRIM_400000_NS6detail17trampoline_kernelINS0_13select_configILj256ELj13ELNS0_17block_load_methodE3ELS4_3ELS4_3ELNS0_20block_scan_algorithmE0ELj4294967295EEENS1_25partition_config_selectorILNS1_17partition_subalgoE4EjNS0_10empty_typeEbEEZZNS1_14partition_implILS8_4ELb0ES6_15HIP_vector_typeIjLj2EENS0_17counting_iteratorIjlEEPS9_SG_NS0_5tupleIJPjSI_NS0_16reverse_iteratorISI_EEEEENSH_IJSG_SG_SG_EEES9_SI_JZNS1_25segmented_radix_sort_implINS0_14default_configELb0EPKsPsPKlPlN2at6native12_GLOBAL__N_18offset_tEEE10hipError_tPvRmT1_PNSt15iterator_traitsIS12_E10value_typeET2_T3_PNS13_IS18_E10value_typeET4_jRbjT5_S1E_jjP12ihipStream_tbEUljE_ZNSN_ISO_Lb0ESQ_SR_ST_SU_SY_EESZ_S10_S11_S12_S16_S17_S18_S1B_S1C_jS1D_jS1E_S1E_jjS1G_bEUljE0_EEESZ_S10_S11_S18_S1C_S1E_T6_T7_T9_mT8_S1G_bDpT10_ENKUlT_T0_E_clISt17integral_constantIbLb0EES1T_IbLb1EEEEDaS1P_S1Q_EUlS1P_E_NS1_11comp_targetILNS1_3genE3ELNS1_11target_archE908ELNS1_3gpuE7ELNS1_3repE0EEENS1_30default_config_static_selectorELNS0_4arch9wavefront6targetE0EEEvS12_
	.p2align	8
	.type	_ZN7rocprim17ROCPRIM_400000_NS6detail17trampoline_kernelINS0_13select_configILj256ELj13ELNS0_17block_load_methodE3ELS4_3ELS4_3ELNS0_20block_scan_algorithmE0ELj4294967295EEENS1_25partition_config_selectorILNS1_17partition_subalgoE4EjNS0_10empty_typeEbEEZZNS1_14partition_implILS8_4ELb0ES6_15HIP_vector_typeIjLj2EENS0_17counting_iteratorIjlEEPS9_SG_NS0_5tupleIJPjSI_NS0_16reverse_iteratorISI_EEEEENSH_IJSG_SG_SG_EEES9_SI_JZNS1_25segmented_radix_sort_implINS0_14default_configELb0EPKsPsPKlPlN2at6native12_GLOBAL__N_18offset_tEEE10hipError_tPvRmT1_PNSt15iterator_traitsIS12_E10value_typeET2_T3_PNS13_IS18_E10value_typeET4_jRbjT5_S1E_jjP12ihipStream_tbEUljE_ZNSN_ISO_Lb0ESQ_SR_ST_SU_SY_EESZ_S10_S11_S12_S16_S17_S18_S1B_S1C_jS1D_jS1E_S1E_jjS1G_bEUljE0_EEESZ_S10_S11_S18_S1C_S1E_T6_T7_T9_mT8_S1G_bDpT10_ENKUlT_T0_E_clISt17integral_constantIbLb0EES1T_IbLb1EEEEDaS1P_S1Q_EUlS1P_E_NS1_11comp_targetILNS1_3genE3ELNS1_11target_archE908ELNS1_3gpuE7ELNS1_3repE0EEENS1_30default_config_static_selectorELNS0_4arch9wavefront6targetE0EEEvS12_,@function
_ZN7rocprim17ROCPRIM_400000_NS6detail17trampoline_kernelINS0_13select_configILj256ELj13ELNS0_17block_load_methodE3ELS4_3ELS4_3ELNS0_20block_scan_algorithmE0ELj4294967295EEENS1_25partition_config_selectorILNS1_17partition_subalgoE4EjNS0_10empty_typeEbEEZZNS1_14partition_implILS8_4ELb0ES6_15HIP_vector_typeIjLj2EENS0_17counting_iteratorIjlEEPS9_SG_NS0_5tupleIJPjSI_NS0_16reverse_iteratorISI_EEEEENSH_IJSG_SG_SG_EEES9_SI_JZNS1_25segmented_radix_sort_implINS0_14default_configELb0EPKsPsPKlPlN2at6native12_GLOBAL__N_18offset_tEEE10hipError_tPvRmT1_PNSt15iterator_traitsIS12_E10value_typeET2_T3_PNS13_IS18_E10value_typeET4_jRbjT5_S1E_jjP12ihipStream_tbEUljE_ZNSN_ISO_Lb0ESQ_SR_ST_SU_SY_EESZ_S10_S11_S12_S16_S17_S18_S1B_S1C_jS1D_jS1E_S1E_jjS1G_bEUljE0_EEESZ_S10_S11_S18_S1C_S1E_T6_T7_T9_mT8_S1G_bDpT10_ENKUlT_T0_E_clISt17integral_constantIbLb0EES1T_IbLb1EEEEDaS1P_S1Q_EUlS1P_E_NS1_11comp_targetILNS1_3genE3ELNS1_11target_archE908ELNS1_3gpuE7ELNS1_3repE0EEENS1_30default_config_static_selectorELNS0_4arch9wavefront6targetE0EEEvS12_: ; @_ZN7rocprim17ROCPRIM_400000_NS6detail17trampoline_kernelINS0_13select_configILj256ELj13ELNS0_17block_load_methodE3ELS4_3ELS4_3ELNS0_20block_scan_algorithmE0ELj4294967295EEENS1_25partition_config_selectorILNS1_17partition_subalgoE4EjNS0_10empty_typeEbEEZZNS1_14partition_implILS8_4ELb0ES6_15HIP_vector_typeIjLj2EENS0_17counting_iteratorIjlEEPS9_SG_NS0_5tupleIJPjSI_NS0_16reverse_iteratorISI_EEEEENSH_IJSG_SG_SG_EEES9_SI_JZNS1_25segmented_radix_sort_implINS0_14default_configELb0EPKsPsPKlPlN2at6native12_GLOBAL__N_18offset_tEEE10hipError_tPvRmT1_PNSt15iterator_traitsIS12_E10value_typeET2_T3_PNS13_IS18_E10value_typeET4_jRbjT5_S1E_jjP12ihipStream_tbEUljE_ZNSN_ISO_Lb0ESQ_SR_ST_SU_SY_EESZ_S10_S11_S12_S16_S17_S18_S1B_S1C_jS1D_jS1E_S1E_jjS1G_bEUljE0_EEESZ_S10_S11_S18_S1C_S1E_T6_T7_T9_mT8_S1G_bDpT10_ENKUlT_T0_E_clISt17integral_constantIbLb0EES1T_IbLb1EEEEDaS1P_S1Q_EUlS1P_E_NS1_11comp_targetILNS1_3genE3ELNS1_11target_archE908ELNS1_3gpuE7ELNS1_3repE0EEENS1_30default_config_static_selectorELNS0_4arch9wavefront6targetE0EEEvS12_
; %bb.0:
	.section	.rodata,"a",@progbits
	.p2align	6, 0x0
	.amdhsa_kernel _ZN7rocprim17ROCPRIM_400000_NS6detail17trampoline_kernelINS0_13select_configILj256ELj13ELNS0_17block_load_methodE3ELS4_3ELS4_3ELNS0_20block_scan_algorithmE0ELj4294967295EEENS1_25partition_config_selectorILNS1_17partition_subalgoE4EjNS0_10empty_typeEbEEZZNS1_14partition_implILS8_4ELb0ES6_15HIP_vector_typeIjLj2EENS0_17counting_iteratorIjlEEPS9_SG_NS0_5tupleIJPjSI_NS0_16reverse_iteratorISI_EEEEENSH_IJSG_SG_SG_EEES9_SI_JZNS1_25segmented_radix_sort_implINS0_14default_configELb0EPKsPsPKlPlN2at6native12_GLOBAL__N_18offset_tEEE10hipError_tPvRmT1_PNSt15iterator_traitsIS12_E10value_typeET2_T3_PNS13_IS18_E10value_typeET4_jRbjT5_S1E_jjP12ihipStream_tbEUljE_ZNSN_ISO_Lb0ESQ_SR_ST_SU_SY_EESZ_S10_S11_S12_S16_S17_S18_S1B_S1C_jS1D_jS1E_S1E_jjS1G_bEUljE0_EEESZ_S10_S11_S18_S1C_S1E_T6_T7_T9_mT8_S1G_bDpT10_ENKUlT_T0_E_clISt17integral_constantIbLb0EES1T_IbLb1EEEEDaS1P_S1Q_EUlS1P_E_NS1_11comp_targetILNS1_3genE3ELNS1_11target_archE908ELNS1_3gpuE7ELNS1_3repE0EEENS1_30default_config_static_selectorELNS0_4arch9wavefront6targetE0EEEvS12_
		.amdhsa_group_segment_fixed_size 0
		.amdhsa_private_segment_fixed_size 0
		.amdhsa_kernarg_size 184
		.amdhsa_user_sgpr_count 2
		.amdhsa_user_sgpr_dispatch_ptr 0
		.amdhsa_user_sgpr_queue_ptr 0
		.amdhsa_user_sgpr_kernarg_segment_ptr 1
		.amdhsa_user_sgpr_dispatch_id 0
		.amdhsa_user_sgpr_kernarg_preload_length 0
		.amdhsa_user_sgpr_kernarg_preload_offset 0
		.amdhsa_user_sgpr_private_segment_size 0
		.amdhsa_wavefront_size32 1
		.amdhsa_uses_dynamic_stack 0
		.amdhsa_enable_private_segment 0
		.amdhsa_system_sgpr_workgroup_id_x 1
		.amdhsa_system_sgpr_workgroup_id_y 0
		.amdhsa_system_sgpr_workgroup_id_z 0
		.amdhsa_system_sgpr_workgroup_info 0
		.amdhsa_system_vgpr_workitem_id 0
		.amdhsa_next_free_vgpr 1
		.amdhsa_next_free_sgpr 1
		.amdhsa_named_barrier_count 0
		.amdhsa_reserve_vcc 0
		.amdhsa_float_round_mode_32 0
		.amdhsa_float_round_mode_16_64 0
		.amdhsa_float_denorm_mode_32 3
		.amdhsa_float_denorm_mode_16_64 3
		.amdhsa_fp16_overflow 0
		.amdhsa_memory_ordered 1
		.amdhsa_forward_progress 1
		.amdhsa_inst_pref_size 0
		.amdhsa_round_robin_scheduling 0
		.amdhsa_exception_fp_ieee_invalid_op 0
		.amdhsa_exception_fp_denorm_src 0
		.amdhsa_exception_fp_ieee_div_zero 0
		.amdhsa_exception_fp_ieee_overflow 0
		.amdhsa_exception_fp_ieee_underflow 0
		.amdhsa_exception_fp_ieee_inexact 0
		.amdhsa_exception_int_div_zero 0
	.end_amdhsa_kernel
	.section	.text._ZN7rocprim17ROCPRIM_400000_NS6detail17trampoline_kernelINS0_13select_configILj256ELj13ELNS0_17block_load_methodE3ELS4_3ELS4_3ELNS0_20block_scan_algorithmE0ELj4294967295EEENS1_25partition_config_selectorILNS1_17partition_subalgoE4EjNS0_10empty_typeEbEEZZNS1_14partition_implILS8_4ELb0ES6_15HIP_vector_typeIjLj2EENS0_17counting_iteratorIjlEEPS9_SG_NS0_5tupleIJPjSI_NS0_16reverse_iteratorISI_EEEEENSH_IJSG_SG_SG_EEES9_SI_JZNS1_25segmented_radix_sort_implINS0_14default_configELb0EPKsPsPKlPlN2at6native12_GLOBAL__N_18offset_tEEE10hipError_tPvRmT1_PNSt15iterator_traitsIS12_E10value_typeET2_T3_PNS13_IS18_E10value_typeET4_jRbjT5_S1E_jjP12ihipStream_tbEUljE_ZNSN_ISO_Lb0ESQ_SR_ST_SU_SY_EESZ_S10_S11_S12_S16_S17_S18_S1B_S1C_jS1D_jS1E_S1E_jjS1G_bEUljE0_EEESZ_S10_S11_S18_S1C_S1E_T6_T7_T9_mT8_S1G_bDpT10_ENKUlT_T0_E_clISt17integral_constantIbLb0EES1T_IbLb1EEEEDaS1P_S1Q_EUlS1P_E_NS1_11comp_targetILNS1_3genE3ELNS1_11target_archE908ELNS1_3gpuE7ELNS1_3repE0EEENS1_30default_config_static_selectorELNS0_4arch9wavefront6targetE0EEEvS12_,"axG",@progbits,_ZN7rocprim17ROCPRIM_400000_NS6detail17trampoline_kernelINS0_13select_configILj256ELj13ELNS0_17block_load_methodE3ELS4_3ELS4_3ELNS0_20block_scan_algorithmE0ELj4294967295EEENS1_25partition_config_selectorILNS1_17partition_subalgoE4EjNS0_10empty_typeEbEEZZNS1_14partition_implILS8_4ELb0ES6_15HIP_vector_typeIjLj2EENS0_17counting_iteratorIjlEEPS9_SG_NS0_5tupleIJPjSI_NS0_16reverse_iteratorISI_EEEEENSH_IJSG_SG_SG_EEES9_SI_JZNS1_25segmented_radix_sort_implINS0_14default_configELb0EPKsPsPKlPlN2at6native12_GLOBAL__N_18offset_tEEE10hipError_tPvRmT1_PNSt15iterator_traitsIS12_E10value_typeET2_T3_PNS13_IS18_E10value_typeET4_jRbjT5_S1E_jjP12ihipStream_tbEUljE_ZNSN_ISO_Lb0ESQ_SR_ST_SU_SY_EESZ_S10_S11_S12_S16_S17_S18_S1B_S1C_jS1D_jS1E_S1E_jjS1G_bEUljE0_EEESZ_S10_S11_S18_S1C_S1E_T6_T7_T9_mT8_S1G_bDpT10_ENKUlT_T0_E_clISt17integral_constantIbLb0EES1T_IbLb1EEEEDaS1P_S1Q_EUlS1P_E_NS1_11comp_targetILNS1_3genE3ELNS1_11target_archE908ELNS1_3gpuE7ELNS1_3repE0EEENS1_30default_config_static_selectorELNS0_4arch9wavefront6targetE0EEEvS12_,comdat
.Lfunc_end972:
	.size	_ZN7rocprim17ROCPRIM_400000_NS6detail17trampoline_kernelINS0_13select_configILj256ELj13ELNS0_17block_load_methodE3ELS4_3ELS4_3ELNS0_20block_scan_algorithmE0ELj4294967295EEENS1_25partition_config_selectorILNS1_17partition_subalgoE4EjNS0_10empty_typeEbEEZZNS1_14partition_implILS8_4ELb0ES6_15HIP_vector_typeIjLj2EENS0_17counting_iteratorIjlEEPS9_SG_NS0_5tupleIJPjSI_NS0_16reverse_iteratorISI_EEEEENSH_IJSG_SG_SG_EEES9_SI_JZNS1_25segmented_radix_sort_implINS0_14default_configELb0EPKsPsPKlPlN2at6native12_GLOBAL__N_18offset_tEEE10hipError_tPvRmT1_PNSt15iterator_traitsIS12_E10value_typeET2_T3_PNS13_IS18_E10value_typeET4_jRbjT5_S1E_jjP12ihipStream_tbEUljE_ZNSN_ISO_Lb0ESQ_SR_ST_SU_SY_EESZ_S10_S11_S12_S16_S17_S18_S1B_S1C_jS1D_jS1E_S1E_jjS1G_bEUljE0_EEESZ_S10_S11_S18_S1C_S1E_T6_T7_T9_mT8_S1G_bDpT10_ENKUlT_T0_E_clISt17integral_constantIbLb0EES1T_IbLb1EEEEDaS1P_S1Q_EUlS1P_E_NS1_11comp_targetILNS1_3genE3ELNS1_11target_archE908ELNS1_3gpuE7ELNS1_3repE0EEENS1_30default_config_static_selectorELNS0_4arch9wavefront6targetE0EEEvS12_, .Lfunc_end972-_ZN7rocprim17ROCPRIM_400000_NS6detail17trampoline_kernelINS0_13select_configILj256ELj13ELNS0_17block_load_methodE3ELS4_3ELS4_3ELNS0_20block_scan_algorithmE0ELj4294967295EEENS1_25partition_config_selectorILNS1_17partition_subalgoE4EjNS0_10empty_typeEbEEZZNS1_14partition_implILS8_4ELb0ES6_15HIP_vector_typeIjLj2EENS0_17counting_iteratorIjlEEPS9_SG_NS0_5tupleIJPjSI_NS0_16reverse_iteratorISI_EEEEENSH_IJSG_SG_SG_EEES9_SI_JZNS1_25segmented_radix_sort_implINS0_14default_configELb0EPKsPsPKlPlN2at6native12_GLOBAL__N_18offset_tEEE10hipError_tPvRmT1_PNSt15iterator_traitsIS12_E10value_typeET2_T3_PNS13_IS18_E10value_typeET4_jRbjT5_S1E_jjP12ihipStream_tbEUljE_ZNSN_ISO_Lb0ESQ_SR_ST_SU_SY_EESZ_S10_S11_S12_S16_S17_S18_S1B_S1C_jS1D_jS1E_S1E_jjS1G_bEUljE0_EEESZ_S10_S11_S18_S1C_S1E_T6_T7_T9_mT8_S1G_bDpT10_ENKUlT_T0_E_clISt17integral_constantIbLb0EES1T_IbLb1EEEEDaS1P_S1Q_EUlS1P_E_NS1_11comp_targetILNS1_3genE3ELNS1_11target_archE908ELNS1_3gpuE7ELNS1_3repE0EEENS1_30default_config_static_selectorELNS0_4arch9wavefront6targetE0EEEvS12_
                                        ; -- End function
	.set _ZN7rocprim17ROCPRIM_400000_NS6detail17trampoline_kernelINS0_13select_configILj256ELj13ELNS0_17block_load_methodE3ELS4_3ELS4_3ELNS0_20block_scan_algorithmE0ELj4294967295EEENS1_25partition_config_selectorILNS1_17partition_subalgoE4EjNS0_10empty_typeEbEEZZNS1_14partition_implILS8_4ELb0ES6_15HIP_vector_typeIjLj2EENS0_17counting_iteratorIjlEEPS9_SG_NS0_5tupleIJPjSI_NS0_16reverse_iteratorISI_EEEEENSH_IJSG_SG_SG_EEES9_SI_JZNS1_25segmented_radix_sort_implINS0_14default_configELb0EPKsPsPKlPlN2at6native12_GLOBAL__N_18offset_tEEE10hipError_tPvRmT1_PNSt15iterator_traitsIS12_E10value_typeET2_T3_PNS13_IS18_E10value_typeET4_jRbjT5_S1E_jjP12ihipStream_tbEUljE_ZNSN_ISO_Lb0ESQ_SR_ST_SU_SY_EESZ_S10_S11_S12_S16_S17_S18_S1B_S1C_jS1D_jS1E_S1E_jjS1G_bEUljE0_EEESZ_S10_S11_S18_S1C_S1E_T6_T7_T9_mT8_S1G_bDpT10_ENKUlT_T0_E_clISt17integral_constantIbLb0EES1T_IbLb1EEEEDaS1P_S1Q_EUlS1P_E_NS1_11comp_targetILNS1_3genE3ELNS1_11target_archE908ELNS1_3gpuE7ELNS1_3repE0EEENS1_30default_config_static_selectorELNS0_4arch9wavefront6targetE0EEEvS12_.num_vgpr, 0
	.set _ZN7rocprim17ROCPRIM_400000_NS6detail17trampoline_kernelINS0_13select_configILj256ELj13ELNS0_17block_load_methodE3ELS4_3ELS4_3ELNS0_20block_scan_algorithmE0ELj4294967295EEENS1_25partition_config_selectorILNS1_17partition_subalgoE4EjNS0_10empty_typeEbEEZZNS1_14partition_implILS8_4ELb0ES6_15HIP_vector_typeIjLj2EENS0_17counting_iteratorIjlEEPS9_SG_NS0_5tupleIJPjSI_NS0_16reverse_iteratorISI_EEEEENSH_IJSG_SG_SG_EEES9_SI_JZNS1_25segmented_radix_sort_implINS0_14default_configELb0EPKsPsPKlPlN2at6native12_GLOBAL__N_18offset_tEEE10hipError_tPvRmT1_PNSt15iterator_traitsIS12_E10value_typeET2_T3_PNS13_IS18_E10value_typeET4_jRbjT5_S1E_jjP12ihipStream_tbEUljE_ZNSN_ISO_Lb0ESQ_SR_ST_SU_SY_EESZ_S10_S11_S12_S16_S17_S18_S1B_S1C_jS1D_jS1E_S1E_jjS1G_bEUljE0_EEESZ_S10_S11_S18_S1C_S1E_T6_T7_T9_mT8_S1G_bDpT10_ENKUlT_T0_E_clISt17integral_constantIbLb0EES1T_IbLb1EEEEDaS1P_S1Q_EUlS1P_E_NS1_11comp_targetILNS1_3genE3ELNS1_11target_archE908ELNS1_3gpuE7ELNS1_3repE0EEENS1_30default_config_static_selectorELNS0_4arch9wavefront6targetE0EEEvS12_.num_agpr, 0
	.set _ZN7rocprim17ROCPRIM_400000_NS6detail17trampoline_kernelINS0_13select_configILj256ELj13ELNS0_17block_load_methodE3ELS4_3ELS4_3ELNS0_20block_scan_algorithmE0ELj4294967295EEENS1_25partition_config_selectorILNS1_17partition_subalgoE4EjNS0_10empty_typeEbEEZZNS1_14partition_implILS8_4ELb0ES6_15HIP_vector_typeIjLj2EENS0_17counting_iteratorIjlEEPS9_SG_NS0_5tupleIJPjSI_NS0_16reverse_iteratorISI_EEEEENSH_IJSG_SG_SG_EEES9_SI_JZNS1_25segmented_radix_sort_implINS0_14default_configELb0EPKsPsPKlPlN2at6native12_GLOBAL__N_18offset_tEEE10hipError_tPvRmT1_PNSt15iterator_traitsIS12_E10value_typeET2_T3_PNS13_IS18_E10value_typeET4_jRbjT5_S1E_jjP12ihipStream_tbEUljE_ZNSN_ISO_Lb0ESQ_SR_ST_SU_SY_EESZ_S10_S11_S12_S16_S17_S18_S1B_S1C_jS1D_jS1E_S1E_jjS1G_bEUljE0_EEESZ_S10_S11_S18_S1C_S1E_T6_T7_T9_mT8_S1G_bDpT10_ENKUlT_T0_E_clISt17integral_constantIbLb0EES1T_IbLb1EEEEDaS1P_S1Q_EUlS1P_E_NS1_11comp_targetILNS1_3genE3ELNS1_11target_archE908ELNS1_3gpuE7ELNS1_3repE0EEENS1_30default_config_static_selectorELNS0_4arch9wavefront6targetE0EEEvS12_.numbered_sgpr, 0
	.set _ZN7rocprim17ROCPRIM_400000_NS6detail17trampoline_kernelINS0_13select_configILj256ELj13ELNS0_17block_load_methodE3ELS4_3ELS4_3ELNS0_20block_scan_algorithmE0ELj4294967295EEENS1_25partition_config_selectorILNS1_17partition_subalgoE4EjNS0_10empty_typeEbEEZZNS1_14partition_implILS8_4ELb0ES6_15HIP_vector_typeIjLj2EENS0_17counting_iteratorIjlEEPS9_SG_NS0_5tupleIJPjSI_NS0_16reverse_iteratorISI_EEEEENSH_IJSG_SG_SG_EEES9_SI_JZNS1_25segmented_radix_sort_implINS0_14default_configELb0EPKsPsPKlPlN2at6native12_GLOBAL__N_18offset_tEEE10hipError_tPvRmT1_PNSt15iterator_traitsIS12_E10value_typeET2_T3_PNS13_IS18_E10value_typeET4_jRbjT5_S1E_jjP12ihipStream_tbEUljE_ZNSN_ISO_Lb0ESQ_SR_ST_SU_SY_EESZ_S10_S11_S12_S16_S17_S18_S1B_S1C_jS1D_jS1E_S1E_jjS1G_bEUljE0_EEESZ_S10_S11_S18_S1C_S1E_T6_T7_T9_mT8_S1G_bDpT10_ENKUlT_T0_E_clISt17integral_constantIbLb0EES1T_IbLb1EEEEDaS1P_S1Q_EUlS1P_E_NS1_11comp_targetILNS1_3genE3ELNS1_11target_archE908ELNS1_3gpuE7ELNS1_3repE0EEENS1_30default_config_static_selectorELNS0_4arch9wavefront6targetE0EEEvS12_.num_named_barrier, 0
	.set _ZN7rocprim17ROCPRIM_400000_NS6detail17trampoline_kernelINS0_13select_configILj256ELj13ELNS0_17block_load_methodE3ELS4_3ELS4_3ELNS0_20block_scan_algorithmE0ELj4294967295EEENS1_25partition_config_selectorILNS1_17partition_subalgoE4EjNS0_10empty_typeEbEEZZNS1_14partition_implILS8_4ELb0ES6_15HIP_vector_typeIjLj2EENS0_17counting_iteratorIjlEEPS9_SG_NS0_5tupleIJPjSI_NS0_16reverse_iteratorISI_EEEEENSH_IJSG_SG_SG_EEES9_SI_JZNS1_25segmented_radix_sort_implINS0_14default_configELb0EPKsPsPKlPlN2at6native12_GLOBAL__N_18offset_tEEE10hipError_tPvRmT1_PNSt15iterator_traitsIS12_E10value_typeET2_T3_PNS13_IS18_E10value_typeET4_jRbjT5_S1E_jjP12ihipStream_tbEUljE_ZNSN_ISO_Lb0ESQ_SR_ST_SU_SY_EESZ_S10_S11_S12_S16_S17_S18_S1B_S1C_jS1D_jS1E_S1E_jjS1G_bEUljE0_EEESZ_S10_S11_S18_S1C_S1E_T6_T7_T9_mT8_S1G_bDpT10_ENKUlT_T0_E_clISt17integral_constantIbLb0EES1T_IbLb1EEEEDaS1P_S1Q_EUlS1P_E_NS1_11comp_targetILNS1_3genE3ELNS1_11target_archE908ELNS1_3gpuE7ELNS1_3repE0EEENS1_30default_config_static_selectorELNS0_4arch9wavefront6targetE0EEEvS12_.private_seg_size, 0
	.set _ZN7rocprim17ROCPRIM_400000_NS6detail17trampoline_kernelINS0_13select_configILj256ELj13ELNS0_17block_load_methodE3ELS4_3ELS4_3ELNS0_20block_scan_algorithmE0ELj4294967295EEENS1_25partition_config_selectorILNS1_17partition_subalgoE4EjNS0_10empty_typeEbEEZZNS1_14partition_implILS8_4ELb0ES6_15HIP_vector_typeIjLj2EENS0_17counting_iteratorIjlEEPS9_SG_NS0_5tupleIJPjSI_NS0_16reverse_iteratorISI_EEEEENSH_IJSG_SG_SG_EEES9_SI_JZNS1_25segmented_radix_sort_implINS0_14default_configELb0EPKsPsPKlPlN2at6native12_GLOBAL__N_18offset_tEEE10hipError_tPvRmT1_PNSt15iterator_traitsIS12_E10value_typeET2_T3_PNS13_IS18_E10value_typeET4_jRbjT5_S1E_jjP12ihipStream_tbEUljE_ZNSN_ISO_Lb0ESQ_SR_ST_SU_SY_EESZ_S10_S11_S12_S16_S17_S18_S1B_S1C_jS1D_jS1E_S1E_jjS1G_bEUljE0_EEESZ_S10_S11_S18_S1C_S1E_T6_T7_T9_mT8_S1G_bDpT10_ENKUlT_T0_E_clISt17integral_constantIbLb0EES1T_IbLb1EEEEDaS1P_S1Q_EUlS1P_E_NS1_11comp_targetILNS1_3genE3ELNS1_11target_archE908ELNS1_3gpuE7ELNS1_3repE0EEENS1_30default_config_static_selectorELNS0_4arch9wavefront6targetE0EEEvS12_.uses_vcc, 0
	.set _ZN7rocprim17ROCPRIM_400000_NS6detail17trampoline_kernelINS0_13select_configILj256ELj13ELNS0_17block_load_methodE3ELS4_3ELS4_3ELNS0_20block_scan_algorithmE0ELj4294967295EEENS1_25partition_config_selectorILNS1_17partition_subalgoE4EjNS0_10empty_typeEbEEZZNS1_14partition_implILS8_4ELb0ES6_15HIP_vector_typeIjLj2EENS0_17counting_iteratorIjlEEPS9_SG_NS0_5tupleIJPjSI_NS0_16reverse_iteratorISI_EEEEENSH_IJSG_SG_SG_EEES9_SI_JZNS1_25segmented_radix_sort_implINS0_14default_configELb0EPKsPsPKlPlN2at6native12_GLOBAL__N_18offset_tEEE10hipError_tPvRmT1_PNSt15iterator_traitsIS12_E10value_typeET2_T3_PNS13_IS18_E10value_typeET4_jRbjT5_S1E_jjP12ihipStream_tbEUljE_ZNSN_ISO_Lb0ESQ_SR_ST_SU_SY_EESZ_S10_S11_S12_S16_S17_S18_S1B_S1C_jS1D_jS1E_S1E_jjS1G_bEUljE0_EEESZ_S10_S11_S18_S1C_S1E_T6_T7_T9_mT8_S1G_bDpT10_ENKUlT_T0_E_clISt17integral_constantIbLb0EES1T_IbLb1EEEEDaS1P_S1Q_EUlS1P_E_NS1_11comp_targetILNS1_3genE3ELNS1_11target_archE908ELNS1_3gpuE7ELNS1_3repE0EEENS1_30default_config_static_selectorELNS0_4arch9wavefront6targetE0EEEvS12_.uses_flat_scratch, 0
	.set _ZN7rocprim17ROCPRIM_400000_NS6detail17trampoline_kernelINS0_13select_configILj256ELj13ELNS0_17block_load_methodE3ELS4_3ELS4_3ELNS0_20block_scan_algorithmE0ELj4294967295EEENS1_25partition_config_selectorILNS1_17partition_subalgoE4EjNS0_10empty_typeEbEEZZNS1_14partition_implILS8_4ELb0ES6_15HIP_vector_typeIjLj2EENS0_17counting_iteratorIjlEEPS9_SG_NS0_5tupleIJPjSI_NS0_16reverse_iteratorISI_EEEEENSH_IJSG_SG_SG_EEES9_SI_JZNS1_25segmented_radix_sort_implINS0_14default_configELb0EPKsPsPKlPlN2at6native12_GLOBAL__N_18offset_tEEE10hipError_tPvRmT1_PNSt15iterator_traitsIS12_E10value_typeET2_T3_PNS13_IS18_E10value_typeET4_jRbjT5_S1E_jjP12ihipStream_tbEUljE_ZNSN_ISO_Lb0ESQ_SR_ST_SU_SY_EESZ_S10_S11_S12_S16_S17_S18_S1B_S1C_jS1D_jS1E_S1E_jjS1G_bEUljE0_EEESZ_S10_S11_S18_S1C_S1E_T6_T7_T9_mT8_S1G_bDpT10_ENKUlT_T0_E_clISt17integral_constantIbLb0EES1T_IbLb1EEEEDaS1P_S1Q_EUlS1P_E_NS1_11comp_targetILNS1_3genE3ELNS1_11target_archE908ELNS1_3gpuE7ELNS1_3repE0EEENS1_30default_config_static_selectorELNS0_4arch9wavefront6targetE0EEEvS12_.has_dyn_sized_stack, 0
	.set _ZN7rocprim17ROCPRIM_400000_NS6detail17trampoline_kernelINS0_13select_configILj256ELj13ELNS0_17block_load_methodE3ELS4_3ELS4_3ELNS0_20block_scan_algorithmE0ELj4294967295EEENS1_25partition_config_selectorILNS1_17partition_subalgoE4EjNS0_10empty_typeEbEEZZNS1_14partition_implILS8_4ELb0ES6_15HIP_vector_typeIjLj2EENS0_17counting_iteratorIjlEEPS9_SG_NS0_5tupleIJPjSI_NS0_16reverse_iteratorISI_EEEEENSH_IJSG_SG_SG_EEES9_SI_JZNS1_25segmented_radix_sort_implINS0_14default_configELb0EPKsPsPKlPlN2at6native12_GLOBAL__N_18offset_tEEE10hipError_tPvRmT1_PNSt15iterator_traitsIS12_E10value_typeET2_T3_PNS13_IS18_E10value_typeET4_jRbjT5_S1E_jjP12ihipStream_tbEUljE_ZNSN_ISO_Lb0ESQ_SR_ST_SU_SY_EESZ_S10_S11_S12_S16_S17_S18_S1B_S1C_jS1D_jS1E_S1E_jjS1G_bEUljE0_EEESZ_S10_S11_S18_S1C_S1E_T6_T7_T9_mT8_S1G_bDpT10_ENKUlT_T0_E_clISt17integral_constantIbLb0EES1T_IbLb1EEEEDaS1P_S1Q_EUlS1P_E_NS1_11comp_targetILNS1_3genE3ELNS1_11target_archE908ELNS1_3gpuE7ELNS1_3repE0EEENS1_30default_config_static_selectorELNS0_4arch9wavefront6targetE0EEEvS12_.has_recursion, 0
	.set _ZN7rocprim17ROCPRIM_400000_NS6detail17trampoline_kernelINS0_13select_configILj256ELj13ELNS0_17block_load_methodE3ELS4_3ELS4_3ELNS0_20block_scan_algorithmE0ELj4294967295EEENS1_25partition_config_selectorILNS1_17partition_subalgoE4EjNS0_10empty_typeEbEEZZNS1_14partition_implILS8_4ELb0ES6_15HIP_vector_typeIjLj2EENS0_17counting_iteratorIjlEEPS9_SG_NS0_5tupleIJPjSI_NS0_16reverse_iteratorISI_EEEEENSH_IJSG_SG_SG_EEES9_SI_JZNS1_25segmented_radix_sort_implINS0_14default_configELb0EPKsPsPKlPlN2at6native12_GLOBAL__N_18offset_tEEE10hipError_tPvRmT1_PNSt15iterator_traitsIS12_E10value_typeET2_T3_PNS13_IS18_E10value_typeET4_jRbjT5_S1E_jjP12ihipStream_tbEUljE_ZNSN_ISO_Lb0ESQ_SR_ST_SU_SY_EESZ_S10_S11_S12_S16_S17_S18_S1B_S1C_jS1D_jS1E_S1E_jjS1G_bEUljE0_EEESZ_S10_S11_S18_S1C_S1E_T6_T7_T9_mT8_S1G_bDpT10_ENKUlT_T0_E_clISt17integral_constantIbLb0EES1T_IbLb1EEEEDaS1P_S1Q_EUlS1P_E_NS1_11comp_targetILNS1_3genE3ELNS1_11target_archE908ELNS1_3gpuE7ELNS1_3repE0EEENS1_30default_config_static_selectorELNS0_4arch9wavefront6targetE0EEEvS12_.has_indirect_call, 0
	.section	.AMDGPU.csdata,"",@progbits
; Kernel info:
; codeLenInByte = 0
; TotalNumSgprs: 0
; NumVgprs: 0
; ScratchSize: 0
; MemoryBound: 0
; FloatMode: 240
; IeeeMode: 1
; LDSByteSize: 0 bytes/workgroup (compile time only)
; SGPRBlocks: 0
; VGPRBlocks: 0
; NumSGPRsForWavesPerEU: 1
; NumVGPRsForWavesPerEU: 1
; NamedBarCnt: 0
; Occupancy: 16
; WaveLimiterHint : 0
; COMPUTE_PGM_RSRC2:SCRATCH_EN: 0
; COMPUTE_PGM_RSRC2:USER_SGPR: 2
; COMPUTE_PGM_RSRC2:TRAP_HANDLER: 0
; COMPUTE_PGM_RSRC2:TGID_X_EN: 1
; COMPUTE_PGM_RSRC2:TGID_Y_EN: 0
; COMPUTE_PGM_RSRC2:TGID_Z_EN: 0
; COMPUTE_PGM_RSRC2:TIDIG_COMP_CNT: 0
	.section	.text._ZN7rocprim17ROCPRIM_400000_NS6detail17trampoline_kernelINS0_13select_configILj256ELj13ELNS0_17block_load_methodE3ELS4_3ELS4_3ELNS0_20block_scan_algorithmE0ELj4294967295EEENS1_25partition_config_selectorILNS1_17partition_subalgoE4EjNS0_10empty_typeEbEEZZNS1_14partition_implILS8_4ELb0ES6_15HIP_vector_typeIjLj2EENS0_17counting_iteratorIjlEEPS9_SG_NS0_5tupleIJPjSI_NS0_16reverse_iteratorISI_EEEEENSH_IJSG_SG_SG_EEES9_SI_JZNS1_25segmented_radix_sort_implINS0_14default_configELb0EPKsPsPKlPlN2at6native12_GLOBAL__N_18offset_tEEE10hipError_tPvRmT1_PNSt15iterator_traitsIS12_E10value_typeET2_T3_PNS13_IS18_E10value_typeET4_jRbjT5_S1E_jjP12ihipStream_tbEUljE_ZNSN_ISO_Lb0ESQ_SR_ST_SU_SY_EESZ_S10_S11_S12_S16_S17_S18_S1B_S1C_jS1D_jS1E_S1E_jjS1G_bEUljE0_EEESZ_S10_S11_S18_S1C_S1E_T6_T7_T9_mT8_S1G_bDpT10_ENKUlT_T0_E_clISt17integral_constantIbLb0EES1T_IbLb1EEEEDaS1P_S1Q_EUlS1P_E_NS1_11comp_targetILNS1_3genE2ELNS1_11target_archE906ELNS1_3gpuE6ELNS1_3repE0EEENS1_30default_config_static_selectorELNS0_4arch9wavefront6targetE0EEEvS12_,"axG",@progbits,_ZN7rocprim17ROCPRIM_400000_NS6detail17trampoline_kernelINS0_13select_configILj256ELj13ELNS0_17block_load_methodE3ELS4_3ELS4_3ELNS0_20block_scan_algorithmE0ELj4294967295EEENS1_25partition_config_selectorILNS1_17partition_subalgoE4EjNS0_10empty_typeEbEEZZNS1_14partition_implILS8_4ELb0ES6_15HIP_vector_typeIjLj2EENS0_17counting_iteratorIjlEEPS9_SG_NS0_5tupleIJPjSI_NS0_16reverse_iteratorISI_EEEEENSH_IJSG_SG_SG_EEES9_SI_JZNS1_25segmented_radix_sort_implINS0_14default_configELb0EPKsPsPKlPlN2at6native12_GLOBAL__N_18offset_tEEE10hipError_tPvRmT1_PNSt15iterator_traitsIS12_E10value_typeET2_T3_PNS13_IS18_E10value_typeET4_jRbjT5_S1E_jjP12ihipStream_tbEUljE_ZNSN_ISO_Lb0ESQ_SR_ST_SU_SY_EESZ_S10_S11_S12_S16_S17_S18_S1B_S1C_jS1D_jS1E_S1E_jjS1G_bEUljE0_EEESZ_S10_S11_S18_S1C_S1E_T6_T7_T9_mT8_S1G_bDpT10_ENKUlT_T0_E_clISt17integral_constantIbLb0EES1T_IbLb1EEEEDaS1P_S1Q_EUlS1P_E_NS1_11comp_targetILNS1_3genE2ELNS1_11target_archE906ELNS1_3gpuE6ELNS1_3repE0EEENS1_30default_config_static_selectorELNS0_4arch9wavefront6targetE0EEEvS12_,comdat
	.globl	_ZN7rocprim17ROCPRIM_400000_NS6detail17trampoline_kernelINS0_13select_configILj256ELj13ELNS0_17block_load_methodE3ELS4_3ELS4_3ELNS0_20block_scan_algorithmE0ELj4294967295EEENS1_25partition_config_selectorILNS1_17partition_subalgoE4EjNS0_10empty_typeEbEEZZNS1_14partition_implILS8_4ELb0ES6_15HIP_vector_typeIjLj2EENS0_17counting_iteratorIjlEEPS9_SG_NS0_5tupleIJPjSI_NS0_16reverse_iteratorISI_EEEEENSH_IJSG_SG_SG_EEES9_SI_JZNS1_25segmented_radix_sort_implINS0_14default_configELb0EPKsPsPKlPlN2at6native12_GLOBAL__N_18offset_tEEE10hipError_tPvRmT1_PNSt15iterator_traitsIS12_E10value_typeET2_T3_PNS13_IS18_E10value_typeET4_jRbjT5_S1E_jjP12ihipStream_tbEUljE_ZNSN_ISO_Lb0ESQ_SR_ST_SU_SY_EESZ_S10_S11_S12_S16_S17_S18_S1B_S1C_jS1D_jS1E_S1E_jjS1G_bEUljE0_EEESZ_S10_S11_S18_S1C_S1E_T6_T7_T9_mT8_S1G_bDpT10_ENKUlT_T0_E_clISt17integral_constantIbLb0EES1T_IbLb1EEEEDaS1P_S1Q_EUlS1P_E_NS1_11comp_targetILNS1_3genE2ELNS1_11target_archE906ELNS1_3gpuE6ELNS1_3repE0EEENS1_30default_config_static_selectorELNS0_4arch9wavefront6targetE0EEEvS12_ ; -- Begin function _ZN7rocprim17ROCPRIM_400000_NS6detail17trampoline_kernelINS0_13select_configILj256ELj13ELNS0_17block_load_methodE3ELS4_3ELS4_3ELNS0_20block_scan_algorithmE0ELj4294967295EEENS1_25partition_config_selectorILNS1_17partition_subalgoE4EjNS0_10empty_typeEbEEZZNS1_14partition_implILS8_4ELb0ES6_15HIP_vector_typeIjLj2EENS0_17counting_iteratorIjlEEPS9_SG_NS0_5tupleIJPjSI_NS0_16reverse_iteratorISI_EEEEENSH_IJSG_SG_SG_EEES9_SI_JZNS1_25segmented_radix_sort_implINS0_14default_configELb0EPKsPsPKlPlN2at6native12_GLOBAL__N_18offset_tEEE10hipError_tPvRmT1_PNSt15iterator_traitsIS12_E10value_typeET2_T3_PNS13_IS18_E10value_typeET4_jRbjT5_S1E_jjP12ihipStream_tbEUljE_ZNSN_ISO_Lb0ESQ_SR_ST_SU_SY_EESZ_S10_S11_S12_S16_S17_S18_S1B_S1C_jS1D_jS1E_S1E_jjS1G_bEUljE0_EEESZ_S10_S11_S18_S1C_S1E_T6_T7_T9_mT8_S1G_bDpT10_ENKUlT_T0_E_clISt17integral_constantIbLb0EES1T_IbLb1EEEEDaS1P_S1Q_EUlS1P_E_NS1_11comp_targetILNS1_3genE2ELNS1_11target_archE906ELNS1_3gpuE6ELNS1_3repE0EEENS1_30default_config_static_selectorELNS0_4arch9wavefront6targetE0EEEvS12_
	.p2align	8
	.type	_ZN7rocprim17ROCPRIM_400000_NS6detail17trampoline_kernelINS0_13select_configILj256ELj13ELNS0_17block_load_methodE3ELS4_3ELS4_3ELNS0_20block_scan_algorithmE0ELj4294967295EEENS1_25partition_config_selectorILNS1_17partition_subalgoE4EjNS0_10empty_typeEbEEZZNS1_14partition_implILS8_4ELb0ES6_15HIP_vector_typeIjLj2EENS0_17counting_iteratorIjlEEPS9_SG_NS0_5tupleIJPjSI_NS0_16reverse_iteratorISI_EEEEENSH_IJSG_SG_SG_EEES9_SI_JZNS1_25segmented_radix_sort_implINS0_14default_configELb0EPKsPsPKlPlN2at6native12_GLOBAL__N_18offset_tEEE10hipError_tPvRmT1_PNSt15iterator_traitsIS12_E10value_typeET2_T3_PNS13_IS18_E10value_typeET4_jRbjT5_S1E_jjP12ihipStream_tbEUljE_ZNSN_ISO_Lb0ESQ_SR_ST_SU_SY_EESZ_S10_S11_S12_S16_S17_S18_S1B_S1C_jS1D_jS1E_S1E_jjS1G_bEUljE0_EEESZ_S10_S11_S18_S1C_S1E_T6_T7_T9_mT8_S1G_bDpT10_ENKUlT_T0_E_clISt17integral_constantIbLb0EES1T_IbLb1EEEEDaS1P_S1Q_EUlS1P_E_NS1_11comp_targetILNS1_3genE2ELNS1_11target_archE906ELNS1_3gpuE6ELNS1_3repE0EEENS1_30default_config_static_selectorELNS0_4arch9wavefront6targetE0EEEvS12_,@function
_ZN7rocprim17ROCPRIM_400000_NS6detail17trampoline_kernelINS0_13select_configILj256ELj13ELNS0_17block_load_methodE3ELS4_3ELS4_3ELNS0_20block_scan_algorithmE0ELj4294967295EEENS1_25partition_config_selectorILNS1_17partition_subalgoE4EjNS0_10empty_typeEbEEZZNS1_14partition_implILS8_4ELb0ES6_15HIP_vector_typeIjLj2EENS0_17counting_iteratorIjlEEPS9_SG_NS0_5tupleIJPjSI_NS0_16reverse_iteratorISI_EEEEENSH_IJSG_SG_SG_EEES9_SI_JZNS1_25segmented_radix_sort_implINS0_14default_configELb0EPKsPsPKlPlN2at6native12_GLOBAL__N_18offset_tEEE10hipError_tPvRmT1_PNSt15iterator_traitsIS12_E10value_typeET2_T3_PNS13_IS18_E10value_typeET4_jRbjT5_S1E_jjP12ihipStream_tbEUljE_ZNSN_ISO_Lb0ESQ_SR_ST_SU_SY_EESZ_S10_S11_S12_S16_S17_S18_S1B_S1C_jS1D_jS1E_S1E_jjS1G_bEUljE0_EEESZ_S10_S11_S18_S1C_S1E_T6_T7_T9_mT8_S1G_bDpT10_ENKUlT_T0_E_clISt17integral_constantIbLb0EES1T_IbLb1EEEEDaS1P_S1Q_EUlS1P_E_NS1_11comp_targetILNS1_3genE2ELNS1_11target_archE906ELNS1_3gpuE6ELNS1_3repE0EEENS1_30default_config_static_selectorELNS0_4arch9wavefront6targetE0EEEvS12_: ; @_ZN7rocprim17ROCPRIM_400000_NS6detail17trampoline_kernelINS0_13select_configILj256ELj13ELNS0_17block_load_methodE3ELS4_3ELS4_3ELNS0_20block_scan_algorithmE0ELj4294967295EEENS1_25partition_config_selectorILNS1_17partition_subalgoE4EjNS0_10empty_typeEbEEZZNS1_14partition_implILS8_4ELb0ES6_15HIP_vector_typeIjLj2EENS0_17counting_iteratorIjlEEPS9_SG_NS0_5tupleIJPjSI_NS0_16reverse_iteratorISI_EEEEENSH_IJSG_SG_SG_EEES9_SI_JZNS1_25segmented_radix_sort_implINS0_14default_configELb0EPKsPsPKlPlN2at6native12_GLOBAL__N_18offset_tEEE10hipError_tPvRmT1_PNSt15iterator_traitsIS12_E10value_typeET2_T3_PNS13_IS18_E10value_typeET4_jRbjT5_S1E_jjP12ihipStream_tbEUljE_ZNSN_ISO_Lb0ESQ_SR_ST_SU_SY_EESZ_S10_S11_S12_S16_S17_S18_S1B_S1C_jS1D_jS1E_S1E_jjS1G_bEUljE0_EEESZ_S10_S11_S18_S1C_S1E_T6_T7_T9_mT8_S1G_bDpT10_ENKUlT_T0_E_clISt17integral_constantIbLb0EES1T_IbLb1EEEEDaS1P_S1Q_EUlS1P_E_NS1_11comp_targetILNS1_3genE2ELNS1_11target_archE906ELNS1_3gpuE6ELNS1_3repE0EEENS1_30default_config_static_selectorELNS0_4arch9wavefront6targetE0EEEvS12_
; %bb.0:
	.section	.rodata,"a",@progbits
	.p2align	6, 0x0
	.amdhsa_kernel _ZN7rocprim17ROCPRIM_400000_NS6detail17trampoline_kernelINS0_13select_configILj256ELj13ELNS0_17block_load_methodE3ELS4_3ELS4_3ELNS0_20block_scan_algorithmE0ELj4294967295EEENS1_25partition_config_selectorILNS1_17partition_subalgoE4EjNS0_10empty_typeEbEEZZNS1_14partition_implILS8_4ELb0ES6_15HIP_vector_typeIjLj2EENS0_17counting_iteratorIjlEEPS9_SG_NS0_5tupleIJPjSI_NS0_16reverse_iteratorISI_EEEEENSH_IJSG_SG_SG_EEES9_SI_JZNS1_25segmented_radix_sort_implINS0_14default_configELb0EPKsPsPKlPlN2at6native12_GLOBAL__N_18offset_tEEE10hipError_tPvRmT1_PNSt15iterator_traitsIS12_E10value_typeET2_T3_PNS13_IS18_E10value_typeET4_jRbjT5_S1E_jjP12ihipStream_tbEUljE_ZNSN_ISO_Lb0ESQ_SR_ST_SU_SY_EESZ_S10_S11_S12_S16_S17_S18_S1B_S1C_jS1D_jS1E_S1E_jjS1G_bEUljE0_EEESZ_S10_S11_S18_S1C_S1E_T6_T7_T9_mT8_S1G_bDpT10_ENKUlT_T0_E_clISt17integral_constantIbLb0EES1T_IbLb1EEEEDaS1P_S1Q_EUlS1P_E_NS1_11comp_targetILNS1_3genE2ELNS1_11target_archE906ELNS1_3gpuE6ELNS1_3repE0EEENS1_30default_config_static_selectorELNS0_4arch9wavefront6targetE0EEEvS12_
		.amdhsa_group_segment_fixed_size 0
		.amdhsa_private_segment_fixed_size 0
		.amdhsa_kernarg_size 184
		.amdhsa_user_sgpr_count 2
		.amdhsa_user_sgpr_dispatch_ptr 0
		.amdhsa_user_sgpr_queue_ptr 0
		.amdhsa_user_sgpr_kernarg_segment_ptr 1
		.amdhsa_user_sgpr_dispatch_id 0
		.amdhsa_user_sgpr_kernarg_preload_length 0
		.amdhsa_user_sgpr_kernarg_preload_offset 0
		.amdhsa_user_sgpr_private_segment_size 0
		.amdhsa_wavefront_size32 1
		.amdhsa_uses_dynamic_stack 0
		.amdhsa_enable_private_segment 0
		.amdhsa_system_sgpr_workgroup_id_x 1
		.amdhsa_system_sgpr_workgroup_id_y 0
		.amdhsa_system_sgpr_workgroup_id_z 0
		.amdhsa_system_sgpr_workgroup_info 0
		.amdhsa_system_vgpr_workitem_id 0
		.amdhsa_next_free_vgpr 1
		.amdhsa_next_free_sgpr 1
		.amdhsa_named_barrier_count 0
		.amdhsa_reserve_vcc 0
		.amdhsa_float_round_mode_32 0
		.amdhsa_float_round_mode_16_64 0
		.amdhsa_float_denorm_mode_32 3
		.amdhsa_float_denorm_mode_16_64 3
		.amdhsa_fp16_overflow 0
		.amdhsa_memory_ordered 1
		.amdhsa_forward_progress 1
		.amdhsa_inst_pref_size 0
		.amdhsa_round_robin_scheduling 0
		.amdhsa_exception_fp_ieee_invalid_op 0
		.amdhsa_exception_fp_denorm_src 0
		.amdhsa_exception_fp_ieee_div_zero 0
		.amdhsa_exception_fp_ieee_overflow 0
		.amdhsa_exception_fp_ieee_underflow 0
		.amdhsa_exception_fp_ieee_inexact 0
		.amdhsa_exception_int_div_zero 0
	.end_amdhsa_kernel
	.section	.text._ZN7rocprim17ROCPRIM_400000_NS6detail17trampoline_kernelINS0_13select_configILj256ELj13ELNS0_17block_load_methodE3ELS4_3ELS4_3ELNS0_20block_scan_algorithmE0ELj4294967295EEENS1_25partition_config_selectorILNS1_17partition_subalgoE4EjNS0_10empty_typeEbEEZZNS1_14partition_implILS8_4ELb0ES6_15HIP_vector_typeIjLj2EENS0_17counting_iteratorIjlEEPS9_SG_NS0_5tupleIJPjSI_NS0_16reverse_iteratorISI_EEEEENSH_IJSG_SG_SG_EEES9_SI_JZNS1_25segmented_radix_sort_implINS0_14default_configELb0EPKsPsPKlPlN2at6native12_GLOBAL__N_18offset_tEEE10hipError_tPvRmT1_PNSt15iterator_traitsIS12_E10value_typeET2_T3_PNS13_IS18_E10value_typeET4_jRbjT5_S1E_jjP12ihipStream_tbEUljE_ZNSN_ISO_Lb0ESQ_SR_ST_SU_SY_EESZ_S10_S11_S12_S16_S17_S18_S1B_S1C_jS1D_jS1E_S1E_jjS1G_bEUljE0_EEESZ_S10_S11_S18_S1C_S1E_T6_T7_T9_mT8_S1G_bDpT10_ENKUlT_T0_E_clISt17integral_constantIbLb0EES1T_IbLb1EEEEDaS1P_S1Q_EUlS1P_E_NS1_11comp_targetILNS1_3genE2ELNS1_11target_archE906ELNS1_3gpuE6ELNS1_3repE0EEENS1_30default_config_static_selectorELNS0_4arch9wavefront6targetE0EEEvS12_,"axG",@progbits,_ZN7rocprim17ROCPRIM_400000_NS6detail17trampoline_kernelINS0_13select_configILj256ELj13ELNS0_17block_load_methodE3ELS4_3ELS4_3ELNS0_20block_scan_algorithmE0ELj4294967295EEENS1_25partition_config_selectorILNS1_17partition_subalgoE4EjNS0_10empty_typeEbEEZZNS1_14partition_implILS8_4ELb0ES6_15HIP_vector_typeIjLj2EENS0_17counting_iteratorIjlEEPS9_SG_NS0_5tupleIJPjSI_NS0_16reverse_iteratorISI_EEEEENSH_IJSG_SG_SG_EEES9_SI_JZNS1_25segmented_radix_sort_implINS0_14default_configELb0EPKsPsPKlPlN2at6native12_GLOBAL__N_18offset_tEEE10hipError_tPvRmT1_PNSt15iterator_traitsIS12_E10value_typeET2_T3_PNS13_IS18_E10value_typeET4_jRbjT5_S1E_jjP12ihipStream_tbEUljE_ZNSN_ISO_Lb0ESQ_SR_ST_SU_SY_EESZ_S10_S11_S12_S16_S17_S18_S1B_S1C_jS1D_jS1E_S1E_jjS1G_bEUljE0_EEESZ_S10_S11_S18_S1C_S1E_T6_T7_T9_mT8_S1G_bDpT10_ENKUlT_T0_E_clISt17integral_constantIbLb0EES1T_IbLb1EEEEDaS1P_S1Q_EUlS1P_E_NS1_11comp_targetILNS1_3genE2ELNS1_11target_archE906ELNS1_3gpuE6ELNS1_3repE0EEENS1_30default_config_static_selectorELNS0_4arch9wavefront6targetE0EEEvS12_,comdat
.Lfunc_end973:
	.size	_ZN7rocprim17ROCPRIM_400000_NS6detail17trampoline_kernelINS0_13select_configILj256ELj13ELNS0_17block_load_methodE3ELS4_3ELS4_3ELNS0_20block_scan_algorithmE0ELj4294967295EEENS1_25partition_config_selectorILNS1_17partition_subalgoE4EjNS0_10empty_typeEbEEZZNS1_14partition_implILS8_4ELb0ES6_15HIP_vector_typeIjLj2EENS0_17counting_iteratorIjlEEPS9_SG_NS0_5tupleIJPjSI_NS0_16reverse_iteratorISI_EEEEENSH_IJSG_SG_SG_EEES9_SI_JZNS1_25segmented_radix_sort_implINS0_14default_configELb0EPKsPsPKlPlN2at6native12_GLOBAL__N_18offset_tEEE10hipError_tPvRmT1_PNSt15iterator_traitsIS12_E10value_typeET2_T3_PNS13_IS18_E10value_typeET4_jRbjT5_S1E_jjP12ihipStream_tbEUljE_ZNSN_ISO_Lb0ESQ_SR_ST_SU_SY_EESZ_S10_S11_S12_S16_S17_S18_S1B_S1C_jS1D_jS1E_S1E_jjS1G_bEUljE0_EEESZ_S10_S11_S18_S1C_S1E_T6_T7_T9_mT8_S1G_bDpT10_ENKUlT_T0_E_clISt17integral_constantIbLb0EES1T_IbLb1EEEEDaS1P_S1Q_EUlS1P_E_NS1_11comp_targetILNS1_3genE2ELNS1_11target_archE906ELNS1_3gpuE6ELNS1_3repE0EEENS1_30default_config_static_selectorELNS0_4arch9wavefront6targetE0EEEvS12_, .Lfunc_end973-_ZN7rocprim17ROCPRIM_400000_NS6detail17trampoline_kernelINS0_13select_configILj256ELj13ELNS0_17block_load_methodE3ELS4_3ELS4_3ELNS0_20block_scan_algorithmE0ELj4294967295EEENS1_25partition_config_selectorILNS1_17partition_subalgoE4EjNS0_10empty_typeEbEEZZNS1_14partition_implILS8_4ELb0ES6_15HIP_vector_typeIjLj2EENS0_17counting_iteratorIjlEEPS9_SG_NS0_5tupleIJPjSI_NS0_16reverse_iteratorISI_EEEEENSH_IJSG_SG_SG_EEES9_SI_JZNS1_25segmented_radix_sort_implINS0_14default_configELb0EPKsPsPKlPlN2at6native12_GLOBAL__N_18offset_tEEE10hipError_tPvRmT1_PNSt15iterator_traitsIS12_E10value_typeET2_T3_PNS13_IS18_E10value_typeET4_jRbjT5_S1E_jjP12ihipStream_tbEUljE_ZNSN_ISO_Lb0ESQ_SR_ST_SU_SY_EESZ_S10_S11_S12_S16_S17_S18_S1B_S1C_jS1D_jS1E_S1E_jjS1G_bEUljE0_EEESZ_S10_S11_S18_S1C_S1E_T6_T7_T9_mT8_S1G_bDpT10_ENKUlT_T0_E_clISt17integral_constantIbLb0EES1T_IbLb1EEEEDaS1P_S1Q_EUlS1P_E_NS1_11comp_targetILNS1_3genE2ELNS1_11target_archE906ELNS1_3gpuE6ELNS1_3repE0EEENS1_30default_config_static_selectorELNS0_4arch9wavefront6targetE0EEEvS12_
                                        ; -- End function
	.set _ZN7rocprim17ROCPRIM_400000_NS6detail17trampoline_kernelINS0_13select_configILj256ELj13ELNS0_17block_load_methodE3ELS4_3ELS4_3ELNS0_20block_scan_algorithmE0ELj4294967295EEENS1_25partition_config_selectorILNS1_17partition_subalgoE4EjNS0_10empty_typeEbEEZZNS1_14partition_implILS8_4ELb0ES6_15HIP_vector_typeIjLj2EENS0_17counting_iteratorIjlEEPS9_SG_NS0_5tupleIJPjSI_NS0_16reverse_iteratorISI_EEEEENSH_IJSG_SG_SG_EEES9_SI_JZNS1_25segmented_radix_sort_implINS0_14default_configELb0EPKsPsPKlPlN2at6native12_GLOBAL__N_18offset_tEEE10hipError_tPvRmT1_PNSt15iterator_traitsIS12_E10value_typeET2_T3_PNS13_IS18_E10value_typeET4_jRbjT5_S1E_jjP12ihipStream_tbEUljE_ZNSN_ISO_Lb0ESQ_SR_ST_SU_SY_EESZ_S10_S11_S12_S16_S17_S18_S1B_S1C_jS1D_jS1E_S1E_jjS1G_bEUljE0_EEESZ_S10_S11_S18_S1C_S1E_T6_T7_T9_mT8_S1G_bDpT10_ENKUlT_T0_E_clISt17integral_constantIbLb0EES1T_IbLb1EEEEDaS1P_S1Q_EUlS1P_E_NS1_11comp_targetILNS1_3genE2ELNS1_11target_archE906ELNS1_3gpuE6ELNS1_3repE0EEENS1_30default_config_static_selectorELNS0_4arch9wavefront6targetE0EEEvS12_.num_vgpr, 0
	.set _ZN7rocprim17ROCPRIM_400000_NS6detail17trampoline_kernelINS0_13select_configILj256ELj13ELNS0_17block_load_methodE3ELS4_3ELS4_3ELNS0_20block_scan_algorithmE0ELj4294967295EEENS1_25partition_config_selectorILNS1_17partition_subalgoE4EjNS0_10empty_typeEbEEZZNS1_14partition_implILS8_4ELb0ES6_15HIP_vector_typeIjLj2EENS0_17counting_iteratorIjlEEPS9_SG_NS0_5tupleIJPjSI_NS0_16reverse_iteratorISI_EEEEENSH_IJSG_SG_SG_EEES9_SI_JZNS1_25segmented_radix_sort_implINS0_14default_configELb0EPKsPsPKlPlN2at6native12_GLOBAL__N_18offset_tEEE10hipError_tPvRmT1_PNSt15iterator_traitsIS12_E10value_typeET2_T3_PNS13_IS18_E10value_typeET4_jRbjT5_S1E_jjP12ihipStream_tbEUljE_ZNSN_ISO_Lb0ESQ_SR_ST_SU_SY_EESZ_S10_S11_S12_S16_S17_S18_S1B_S1C_jS1D_jS1E_S1E_jjS1G_bEUljE0_EEESZ_S10_S11_S18_S1C_S1E_T6_T7_T9_mT8_S1G_bDpT10_ENKUlT_T0_E_clISt17integral_constantIbLb0EES1T_IbLb1EEEEDaS1P_S1Q_EUlS1P_E_NS1_11comp_targetILNS1_3genE2ELNS1_11target_archE906ELNS1_3gpuE6ELNS1_3repE0EEENS1_30default_config_static_selectorELNS0_4arch9wavefront6targetE0EEEvS12_.num_agpr, 0
	.set _ZN7rocprim17ROCPRIM_400000_NS6detail17trampoline_kernelINS0_13select_configILj256ELj13ELNS0_17block_load_methodE3ELS4_3ELS4_3ELNS0_20block_scan_algorithmE0ELj4294967295EEENS1_25partition_config_selectorILNS1_17partition_subalgoE4EjNS0_10empty_typeEbEEZZNS1_14partition_implILS8_4ELb0ES6_15HIP_vector_typeIjLj2EENS0_17counting_iteratorIjlEEPS9_SG_NS0_5tupleIJPjSI_NS0_16reverse_iteratorISI_EEEEENSH_IJSG_SG_SG_EEES9_SI_JZNS1_25segmented_radix_sort_implINS0_14default_configELb0EPKsPsPKlPlN2at6native12_GLOBAL__N_18offset_tEEE10hipError_tPvRmT1_PNSt15iterator_traitsIS12_E10value_typeET2_T3_PNS13_IS18_E10value_typeET4_jRbjT5_S1E_jjP12ihipStream_tbEUljE_ZNSN_ISO_Lb0ESQ_SR_ST_SU_SY_EESZ_S10_S11_S12_S16_S17_S18_S1B_S1C_jS1D_jS1E_S1E_jjS1G_bEUljE0_EEESZ_S10_S11_S18_S1C_S1E_T6_T7_T9_mT8_S1G_bDpT10_ENKUlT_T0_E_clISt17integral_constantIbLb0EES1T_IbLb1EEEEDaS1P_S1Q_EUlS1P_E_NS1_11comp_targetILNS1_3genE2ELNS1_11target_archE906ELNS1_3gpuE6ELNS1_3repE0EEENS1_30default_config_static_selectorELNS0_4arch9wavefront6targetE0EEEvS12_.numbered_sgpr, 0
	.set _ZN7rocprim17ROCPRIM_400000_NS6detail17trampoline_kernelINS0_13select_configILj256ELj13ELNS0_17block_load_methodE3ELS4_3ELS4_3ELNS0_20block_scan_algorithmE0ELj4294967295EEENS1_25partition_config_selectorILNS1_17partition_subalgoE4EjNS0_10empty_typeEbEEZZNS1_14partition_implILS8_4ELb0ES6_15HIP_vector_typeIjLj2EENS0_17counting_iteratorIjlEEPS9_SG_NS0_5tupleIJPjSI_NS0_16reverse_iteratorISI_EEEEENSH_IJSG_SG_SG_EEES9_SI_JZNS1_25segmented_radix_sort_implINS0_14default_configELb0EPKsPsPKlPlN2at6native12_GLOBAL__N_18offset_tEEE10hipError_tPvRmT1_PNSt15iterator_traitsIS12_E10value_typeET2_T3_PNS13_IS18_E10value_typeET4_jRbjT5_S1E_jjP12ihipStream_tbEUljE_ZNSN_ISO_Lb0ESQ_SR_ST_SU_SY_EESZ_S10_S11_S12_S16_S17_S18_S1B_S1C_jS1D_jS1E_S1E_jjS1G_bEUljE0_EEESZ_S10_S11_S18_S1C_S1E_T6_T7_T9_mT8_S1G_bDpT10_ENKUlT_T0_E_clISt17integral_constantIbLb0EES1T_IbLb1EEEEDaS1P_S1Q_EUlS1P_E_NS1_11comp_targetILNS1_3genE2ELNS1_11target_archE906ELNS1_3gpuE6ELNS1_3repE0EEENS1_30default_config_static_selectorELNS0_4arch9wavefront6targetE0EEEvS12_.num_named_barrier, 0
	.set _ZN7rocprim17ROCPRIM_400000_NS6detail17trampoline_kernelINS0_13select_configILj256ELj13ELNS0_17block_load_methodE3ELS4_3ELS4_3ELNS0_20block_scan_algorithmE0ELj4294967295EEENS1_25partition_config_selectorILNS1_17partition_subalgoE4EjNS0_10empty_typeEbEEZZNS1_14partition_implILS8_4ELb0ES6_15HIP_vector_typeIjLj2EENS0_17counting_iteratorIjlEEPS9_SG_NS0_5tupleIJPjSI_NS0_16reverse_iteratorISI_EEEEENSH_IJSG_SG_SG_EEES9_SI_JZNS1_25segmented_radix_sort_implINS0_14default_configELb0EPKsPsPKlPlN2at6native12_GLOBAL__N_18offset_tEEE10hipError_tPvRmT1_PNSt15iterator_traitsIS12_E10value_typeET2_T3_PNS13_IS18_E10value_typeET4_jRbjT5_S1E_jjP12ihipStream_tbEUljE_ZNSN_ISO_Lb0ESQ_SR_ST_SU_SY_EESZ_S10_S11_S12_S16_S17_S18_S1B_S1C_jS1D_jS1E_S1E_jjS1G_bEUljE0_EEESZ_S10_S11_S18_S1C_S1E_T6_T7_T9_mT8_S1G_bDpT10_ENKUlT_T0_E_clISt17integral_constantIbLb0EES1T_IbLb1EEEEDaS1P_S1Q_EUlS1P_E_NS1_11comp_targetILNS1_3genE2ELNS1_11target_archE906ELNS1_3gpuE6ELNS1_3repE0EEENS1_30default_config_static_selectorELNS0_4arch9wavefront6targetE0EEEvS12_.private_seg_size, 0
	.set _ZN7rocprim17ROCPRIM_400000_NS6detail17trampoline_kernelINS0_13select_configILj256ELj13ELNS0_17block_load_methodE3ELS4_3ELS4_3ELNS0_20block_scan_algorithmE0ELj4294967295EEENS1_25partition_config_selectorILNS1_17partition_subalgoE4EjNS0_10empty_typeEbEEZZNS1_14partition_implILS8_4ELb0ES6_15HIP_vector_typeIjLj2EENS0_17counting_iteratorIjlEEPS9_SG_NS0_5tupleIJPjSI_NS0_16reverse_iteratorISI_EEEEENSH_IJSG_SG_SG_EEES9_SI_JZNS1_25segmented_radix_sort_implINS0_14default_configELb0EPKsPsPKlPlN2at6native12_GLOBAL__N_18offset_tEEE10hipError_tPvRmT1_PNSt15iterator_traitsIS12_E10value_typeET2_T3_PNS13_IS18_E10value_typeET4_jRbjT5_S1E_jjP12ihipStream_tbEUljE_ZNSN_ISO_Lb0ESQ_SR_ST_SU_SY_EESZ_S10_S11_S12_S16_S17_S18_S1B_S1C_jS1D_jS1E_S1E_jjS1G_bEUljE0_EEESZ_S10_S11_S18_S1C_S1E_T6_T7_T9_mT8_S1G_bDpT10_ENKUlT_T0_E_clISt17integral_constantIbLb0EES1T_IbLb1EEEEDaS1P_S1Q_EUlS1P_E_NS1_11comp_targetILNS1_3genE2ELNS1_11target_archE906ELNS1_3gpuE6ELNS1_3repE0EEENS1_30default_config_static_selectorELNS0_4arch9wavefront6targetE0EEEvS12_.uses_vcc, 0
	.set _ZN7rocprim17ROCPRIM_400000_NS6detail17trampoline_kernelINS0_13select_configILj256ELj13ELNS0_17block_load_methodE3ELS4_3ELS4_3ELNS0_20block_scan_algorithmE0ELj4294967295EEENS1_25partition_config_selectorILNS1_17partition_subalgoE4EjNS0_10empty_typeEbEEZZNS1_14partition_implILS8_4ELb0ES6_15HIP_vector_typeIjLj2EENS0_17counting_iteratorIjlEEPS9_SG_NS0_5tupleIJPjSI_NS0_16reverse_iteratorISI_EEEEENSH_IJSG_SG_SG_EEES9_SI_JZNS1_25segmented_radix_sort_implINS0_14default_configELb0EPKsPsPKlPlN2at6native12_GLOBAL__N_18offset_tEEE10hipError_tPvRmT1_PNSt15iterator_traitsIS12_E10value_typeET2_T3_PNS13_IS18_E10value_typeET4_jRbjT5_S1E_jjP12ihipStream_tbEUljE_ZNSN_ISO_Lb0ESQ_SR_ST_SU_SY_EESZ_S10_S11_S12_S16_S17_S18_S1B_S1C_jS1D_jS1E_S1E_jjS1G_bEUljE0_EEESZ_S10_S11_S18_S1C_S1E_T6_T7_T9_mT8_S1G_bDpT10_ENKUlT_T0_E_clISt17integral_constantIbLb0EES1T_IbLb1EEEEDaS1P_S1Q_EUlS1P_E_NS1_11comp_targetILNS1_3genE2ELNS1_11target_archE906ELNS1_3gpuE6ELNS1_3repE0EEENS1_30default_config_static_selectorELNS0_4arch9wavefront6targetE0EEEvS12_.uses_flat_scratch, 0
	.set _ZN7rocprim17ROCPRIM_400000_NS6detail17trampoline_kernelINS0_13select_configILj256ELj13ELNS0_17block_load_methodE3ELS4_3ELS4_3ELNS0_20block_scan_algorithmE0ELj4294967295EEENS1_25partition_config_selectorILNS1_17partition_subalgoE4EjNS0_10empty_typeEbEEZZNS1_14partition_implILS8_4ELb0ES6_15HIP_vector_typeIjLj2EENS0_17counting_iteratorIjlEEPS9_SG_NS0_5tupleIJPjSI_NS0_16reverse_iteratorISI_EEEEENSH_IJSG_SG_SG_EEES9_SI_JZNS1_25segmented_radix_sort_implINS0_14default_configELb0EPKsPsPKlPlN2at6native12_GLOBAL__N_18offset_tEEE10hipError_tPvRmT1_PNSt15iterator_traitsIS12_E10value_typeET2_T3_PNS13_IS18_E10value_typeET4_jRbjT5_S1E_jjP12ihipStream_tbEUljE_ZNSN_ISO_Lb0ESQ_SR_ST_SU_SY_EESZ_S10_S11_S12_S16_S17_S18_S1B_S1C_jS1D_jS1E_S1E_jjS1G_bEUljE0_EEESZ_S10_S11_S18_S1C_S1E_T6_T7_T9_mT8_S1G_bDpT10_ENKUlT_T0_E_clISt17integral_constantIbLb0EES1T_IbLb1EEEEDaS1P_S1Q_EUlS1P_E_NS1_11comp_targetILNS1_3genE2ELNS1_11target_archE906ELNS1_3gpuE6ELNS1_3repE0EEENS1_30default_config_static_selectorELNS0_4arch9wavefront6targetE0EEEvS12_.has_dyn_sized_stack, 0
	.set _ZN7rocprim17ROCPRIM_400000_NS6detail17trampoline_kernelINS0_13select_configILj256ELj13ELNS0_17block_load_methodE3ELS4_3ELS4_3ELNS0_20block_scan_algorithmE0ELj4294967295EEENS1_25partition_config_selectorILNS1_17partition_subalgoE4EjNS0_10empty_typeEbEEZZNS1_14partition_implILS8_4ELb0ES6_15HIP_vector_typeIjLj2EENS0_17counting_iteratorIjlEEPS9_SG_NS0_5tupleIJPjSI_NS0_16reverse_iteratorISI_EEEEENSH_IJSG_SG_SG_EEES9_SI_JZNS1_25segmented_radix_sort_implINS0_14default_configELb0EPKsPsPKlPlN2at6native12_GLOBAL__N_18offset_tEEE10hipError_tPvRmT1_PNSt15iterator_traitsIS12_E10value_typeET2_T3_PNS13_IS18_E10value_typeET4_jRbjT5_S1E_jjP12ihipStream_tbEUljE_ZNSN_ISO_Lb0ESQ_SR_ST_SU_SY_EESZ_S10_S11_S12_S16_S17_S18_S1B_S1C_jS1D_jS1E_S1E_jjS1G_bEUljE0_EEESZ_S10_S11_S18_S1C_S1E_T6_T7_T9_mT8_S1G_bDpT10_ENKUlT_T0_E_clISt17integral_constantIbLb0EES1T_IbLb1EEEEDaS1P_S1Q_EUlS1P_E_NS1_11comp_targetILNS1_3genE2ELNS1_11target_archE906ELNS1_3gpuE6ELNS1_3repE0EEENS1_30default_config_static_selectorELNS0_4arch9wavefront6targetE0EEEvS12_.has_recursion, 0
	.set _ZN7rocprim17ROCPRIM_400000_NS6detail17trampoline_kernelINS0_13select_configILj256ELj13ELNS0_17block_load_methodE3ELS4_3ELS4_3ELNS0_20block_scan_algorithmE0ELj4294967295EEENS1_25partition_config_selectorILNS1_17partition_subalgoE4EjNS0_10empty_typeEbEEZZNS1_14partition_implILS8_4ELb0ES6_15HIP_vector_typeIjLj2EENS0_17counting_iteratorIjlEEPS9_SG_NS0_5tupleIJPjSI_NS0_16reverse_iteratorISI_EEEEENSH_IJSG_SG_SG_EEES9_SI_JZNS1_25segmented_radix_sort_implINS0_14default_configELb0EPKsPsPKlPlN2at6native12_GLOBAL__N_18offset_tEEE10hipError_tPvRmT1_PNSt15iterator_traitsIS12_E10value_typeET2_T3_PNS13_IS18_E10value_typeET4_jRbjT5_S1E_jjP12ihipStream_tbEUljE_ZNSN_ISO_Lb0ESQ_SR_ST_SU_SY_EESZ_S10_S11_S12_S16_S17_S18_S1B_S1C_jS1D_jS1E_S1E_jjS1G_bEUljE0_EEESZ_S10_S11_S18_S1C_S1E_T6_T7_T9_mT8_S1G_bDpT10_ENKUlT_T0_E_clISt17integral_constantIbLb0EES1T_IbLb1EEEEDaS1P_S1Q_EUlS1P_E_NS1_11comp_targetILNS1_3genE2ELNS1_11target_archE906ELNS1_3gpuE6ELNS1_3repE0EEENS1_30default_config_static_selectorELNS0_4arch9wavefront6targetE0EEEvS12_.has_indirect_call, 0
	.section	.AMDGPU.csdata,"",@progbits
; Kernel info:
; codeLenInByte = 0
; TotalNumSgprs: 0
; NumVgprs: 0
; ScratchSize: 0
; MemoryBound: 0
; FloatMode: 240
; IeeeMode: 1
; LDSByteSize: 0 bytes/workgroup (compile time only)
; SGPRBlocks: 0
; VGPRBlocks: 0
; NumSGPRsForWavesPerEU: 1
; NumVGPRsForWavesPerEU: 1
; NamedBarCnt: 0
; Occupancy: 16
; WaveLimiterHint : 0
; COMPUTE_PGM_RSRC2:SCRATCH_EN: 0
; COMPUTE_PGM_RSRC2:USER_SGPR: 2
; COMPUTE_PGM_RSRC2:TRAP_HANDLER: 0
; COMPUTE_PGM_RSRC2:TGID_X_EN: 1
; COMPUTE_PGM_RSRC2:TGID_Y_EN: 0
; COMPUTE_PGM_RSRC2:TGID_Z_EN: 0
; COMPUTE_PGM_RSRC2:TIDIG_COMP_CNT: 0
	.section	.text._ZN7rocprim17ROCPRIM_400000_NS6detail17trampoline_kernelINS0_13select_configILj256ELj13ELNS0_17block_load_methodE3ELS4_3ELS4_3ELNS0_20block_scan_algorithmE0ELj4294967295EEENS1_25partition_config_selectorILNS1_17partition_subalgoE4EjNS0_10empty_typeEbEEZZNS1_14partition_implILS8_4ELb0ES6_15HIP_vector_typeIjLj2EENS0_17counting_iteratorIjlEEPS9_SG_NS0_5tupleIJPjSI_NS0_16reverse_iteratorISI_EEEEENSH_IJSG_SG_SG_EEES9_SI_JZNS1_25segmented_radix_sort_implINS0_14default_configELb0EPKsPsPKlPlN2at6native12_GLOBAL__N_18offset_tEEE10hipError_tPvRmT1_PNSt15iterator_traitsIS12_E10value_typeET2_T3_PNS13_IS18_E10value_typeET4_jRbjT5_S1E_jjP12ihipStream_tbEUljE_ZNSN_ISO_Lb0ESQ_SR_ST_SU_SY_EESZ_S10_S11_S12_S16_S17_S18_S1B_S1C_jS1D_jS1E_S1E_jjS1G_bEUljE0_EEESZ_S10_S11_S18_S1C_S1E_T6_T7_T9_mT8_S1G_bDpT10_ENKUlT_T0_E_clISt17integral_constantIbLb0EES1T_IbLb1EEEEDaS1P_S1Q_EUlS1P_E_NS1_11comp_targetILNS1_3genE10ELNS1_11target_archE1200ELNS1_3gpuE4ELNS1_3repE0EEENS1_30default_config_static_selectorELNS0_4arch9wavefront6targetE0EEEvS12_,"axG",@progbits,_ZN7rocprim17ROCPRIM_400000_NS6detail17trampoline_kernelINS0_13select_configILj256ELj13ELNS0_17block_load_methodE3ELS4_3ELS4_3ELNS0_20block_scan_algorithmE0ELj4294967295EEENS1_25partition_config_selectorILNS1_17partition_subalgoE4EjNS0_10empty_typeEbEEZZNS1_14partition_implILS8_4ELb0ES6_15HIP_vector_typeIjLj2EENS0_17counting_iteratorIjlEEPS9_SG_NS0_5tupleIJPjSI_NS0_16reverse_iteratorISI_EEEEENSH_IJSG_SG_SG_EEES9_SI_JZNS1_25segmented_radix_sort_implINS0_14default_configELb0EPKsPsPKlPlN2at6native12_GLOBAL__N_18offset_tEEE10hipError_tPvRmT1_PNSt15iterator_traitsIS12_E10value_typeET2_T3_PNS13_IS18_E10value_typeET4_jRbjT5_S1E_jjP12ihipStream_tbEUljE_ZNSN_ISO_Lb0ESQ_SR_ST_SU_SY_EESZ_S10_S11_S12_S16_S17_S18_S1B_S1C_jS1D_jS1E_S1E_jjS1G_bEUljE0_EEESZ_S10_S11_S18_S1C_S1E_T6_T7_T9_mT8_S1G_bDpT10_ENKUlT_T0_E_clISt17integral_constantIbLb0EES1T_IbLb1EEEEDaS1P_S1Q_EUlS1P_E_NS1_11comp_targetILNS1_3genE10ELNS1_11target_archE1200ELNS1_3gpuE4ELNS1_3repE0EEENS1_30default_config_static_selectorELNS0_4arch9wavefront6targetE0EEEvS12_,comdat
	.globl	_ZN7rocprim17ROCPRIM_400000_NS6detail17trampoline_kernelINS0_13select_configILj256ELj13ELNS0_17block_load_methodE3ELS4_3ELS4_3ELNS0_20block_scan_algorithmE0ELj4294967295EEENS1_25partition_config_selectorILNS1_17partition_subalgoE4EjNS0_10empty_typeEbEEZZNS1_14partition_implILS8_4ELb0ES6_15HIP_vector_typeIjLj2EENS0_17counting_iteratorIjlEEPS9_SG_NS0_5tupleIJPjSI_NS0_16reverse_iteratorISI_EEEEENSH_IJSG_SG_SG_EEES9_SI_JZNS1_25segmented_radix_sort_implINS0_14default_configELb0EPKsPsPKlPlN2at6native12_GLOBAL__N_18offset_tEEE10hipError_tPvRmT1_PNSt15iterator_traitsIS12_E10value_typeET2_T3_PNS13_IS18_E10value_typeET4_jRbjT5_S1E_jjP12ihipStream_tbEUljE_ZNSN_ISO_Lb0ESQ_SR_ST_SU_SY_EESZ_S10_S11_S12_S16_S17_S18_S1B_S1C_jS1D_jS1E_S1E_jjS1G_bEUljE0_EEESZ_S10_S11_S18_S1C_S1E_T6_T7_T9_mT8_S1G_bDpT10_ENKUlT_T0_E_clISt17integral_constantIbLb0EES1T_IbLb1EEEEDaS1P_S1Q_EUlS1P_E_NS1_11comp_targetILNS1_3genE10ELNS1_11target_archE1200ELNS1_3gpuE4ELNS1_3repE0EEENS1_30default_config_static_selectorELNS0_4arch9wavefront6targetE0EEEvS12_ ; -- Begin function _ZN7rocprim17ROCPRIM_400000_NS6detail17trampoline_kernelINS0_13select_configILj256ELj13ELNS0_17block_load_methodE3ELS4_3ELS4_3ELNS0_20block_scan_algorithmE0ELj4294967295EEENS1_25partition_config_selectorILNS1_17partition_subalgoE4EjNS0_10empty_typeEbEEZZNS1_14partition_implILS8_4ELb0ES6_15HIP_vector_typeIjLj2EENS0_17counting_iteratorIjlEEPS9_SG_NS0_5tupleIJPjSI_NS0_16reverse_iteratorISI_EEEEENSH_IJSG_SG_SG_EEES9_SI_JZNS1_25segmented_radix_sort_implINS0_14default_configELb0EPKsPsPKlPlN2at6native12_GLOBAL__N_18offset_tEEE10hipError_tPvRmT1_PNSt15iterator_traitsIS12_E10value_typeET2_T3_PNS13_IS18_E10value_typeET4_jRbjT5_S1E_jjP12ihipStream_tbEUljE_ZNSN_ISO_Lb0ESQ_SR_ST_SU_SY_EESZ_S10_S11_S12_S16_S17_S18_S1B_S1C_jS1D_jS1E_S1E_jjS1G_bEUljE0_EEESZ_S10_S11_S18_S1C_S1E_T6_T7_T9_mT8_S1G_bDpT10_ENKUlT_T0_E_clISt17integral_constantIbLb0EES1T_IbLb1EEEEDaS1P_S1Q_EUlS1P_E_NS1_11comp_targetILNS1_3genE10ELNS1_11target_archE1200ELNS1_3gpuE4ELNS1_3repE0EEENS1_30default_config_static_selectorELNS0_4arch9wavefront6targetE0EEEvS12_
	.p2align	8
	.type	_ZN7rocprim17ROCPRIM_400000_NS6detail17trampoline_kernelINS0_13select_configILj256ELj13ELNS0_17block_load_methodE3ELS4_3ELS4_3ELNS0_20block_scan_algorithmE0ELj4294967295EEENS1_25partition_config_selectorILNS1_17partition_subalgoE4EjNS0_10empty_typeEbEEZZNS1_14partition_implILS8_4ELb0ES6_15HIP_vector_typeIjLj2EENS0_17counting_iteratorIjlEEPS9_SG_NS0_5tupleIJPjSI_NS0_16reverse_iteratorISI_EEEEENSH_IJSG_SG_SG_EEES9_SI_JZNS1_25segmented_radix_sort_implINS0_14default_configELb0EPKsPsPKlPlN2at6native12_GLOBAL__N_18offset_tEEE10hipError_tPvRmT1_PNSt15iterator_traitsIS12_E10value_typeET2_T3_PNS13_IS18_E10value_typeET4_jRbjT5_S1E_jjP12ihipStream_tbEUljE_ZNSN_ISO_Lb0ESQ_SR_ST_SU_SY_EESZ_S10_S11_S12_S16_S17_S18_S1B_S1C_jS1D_jS1E_S1E_jjS1G_bEUljE0_EEESZ_S10_S11_S18_S1C_S1E_T6_T7_T9_mT8_S1G_bDpT10_ENKUlT_T0_E_clISt17integral_constantIbLb0EES1T_IbLb1EEEEDaS1P_S1Q_EUlS1P_E_NS1_11comp_targetILNS1_3genE10ELNS1_11target_archE1200ELNS1_3gpuE4ELNS1_3repE0EEENS1_30default_config_static_selectorELNS0_4arch9wavefront6targetE0EEEvS12_,@function
_ZN7rocprim17ROCPRIM_400000_NS6detail17trampoline_kernelINS0_13select_configILj256ELj13ELNS0_17block_load_methodE3ELS4_3ELS4_3ELNS0_20block_scan_algorithmE0ELj4294967295EEENS1_25partition_config_selectorILNS1_17partition_subalgoE4EjNS0_10empty_typeEbEEZZNS1_14partition_implILS8_4ELb0ES6_15HIP_vector_typeIjLj2EENS0_17counting_iteratorIjlEEPS9_SG_NS0_5tupleIJPjSI_NS0_16reverse_iteratorISI_EEEEENSH_IJSG_SG_SG_EEES9_SI_JZNS1_25segmented_radix_sort_implINS0_14default_configELb0EPKsPsPKlPlN2at6native12_GLOBAL__N_18offset_tEEE10hipError_tPvRmT1_PNSt15iterator_traitsIS12_E10value_typeET2_T3_PNS13_IS18_E10value_typeET4_jRbjT5_S1E_jjP12ihipStream_tbEUljE_ZNSN_ISO_Lb0ESQ_SR_ST_SU_SY_EESZ_S10_S11_S12_S16_S17_S18_S1B_S1C_jS1D_jS1E_S1E_jjS1G_bEUljE0_EEESZ_S10_S11_S18_S1C_S1E_T6_T7_T9_mT8_S1G_bDpT10_ENKUlT_T0_E_clISt17integral_constantIbLb0EES1T_IbLb1EEEEDaS1P_S1Q_EUlS1P_E_NS1_11comp_targetILNS1_3genE10ELNS1_11target_archE1200ELNS1_3gpuE4ELNS1_3repE0EEENS1_30default_config_static_selectorELNS0_4arch9wavefront6targetE0EEEvS12_: ; @_ZN7rocprim17ROCPRIM_400000_NS6detail17trampoline_kernelINS0_13select_configILj256ELj13ELNS0_17block_load_methodE3ELS4_3ELS4_3ELNS0_20block_scan_algorithmE0ELj4294967295EEENS1_25partition_config_selectorILNS1_17partition_subalgoE4EjNS0_10empty_typeEbEEZZNS1_14partition_implILS8_4ELb0ES6_15HIP_vector_typeIjLj2EENS0_17counting_iteratorIjlEEPS9_SG_NS0_5tupleIJPjSI_NS0_16reverse_iteratorISI_EEEEENSH_IJSG_SG_SG_EEES9_SI_JZNS1_25segmented_radix_sort_implINS0_14default_configELb0EPKsPsPKlPlN2at6native12_GLOBAL__N_18offset_tEEE10hipError_tPvRmT1_PNSt15iterator_traitsIS12_E10value_typeET2_T3_PNS13_IS18_E10value_typeET4_jRbjT5_S1E_jjP12ihipStream_tbEUljE_ZNSN_ISO_Lb0ESQ_SR_ST_SU_SY_EESZ_S10_S11_S12_S16_S17_S18_S1B_S1C_jS1D_jS1E_S1E_jjS1G_bEUljE0_EEESZ_S10_S11_S18_S1C_S1E_T6_T7_T9_mT8_S1G_bDpT10_ENKUlT_T0_E_clISt17integral_constantIbLb0EES1T_IbLb1EEEEDaS1P_S1Q_EUlS1P_E_NS1_11comp_targetILNS1_3genE10ELNS1_11target_archE1200ELNS1_3gpuE4ELNS1_3repE0EEENS1_30default_config_static_selectorELNS0_4arch9wavefront6targetE0EEEvS12_
; %bb.0:
	.section	.rodata,"a",@progbits
	.p2align	6, 0x0
	.amdhsa_kernel _ZN7rocprim17ROCPRIM_400000_NS6detail17trampoline_kernelINS0_13select_configILj256ELj13ELNS0_17block_load_methodE3ELS4_3ELS4_3ELNS0_20block_scan_algorithmE0ELj4294967295EEENS1_25partition_config_selectorILNS1_17partition_subalgoE4EjNS0_10empty_typeEbEEZZNS1_14partition_implILS8_4ELb0ES6_15HIP_vector_typeIjLj2EENS0_17counting_iteratorIjlEEPS9_SG_NS0_5tupleIJPjSI_NS0_16reverse_iteratorISI_EEEEENSH_IJSG_SG_SG_EEES9_SI_JZNS1_25segmented_radix_sort_implINS0_14default_configELb0EPKsPsPKlPlN2at6native12_GLOBAL__N_18offset_tEEE10hipError_tPvRmT1_PNSt15iterator_traitsIS12_E10value_typeET2_T3_PNS13_IS18_E10value_typeET4_jRbjT5_S1E_jjP12ihipStream_tbEUljE_ZNSN_ISO_Lb0ESQ_SR_ST_SU_SY_EESZ_S10_S11_S12_S16_S17_S18_S1B_S1C_jS1D_jS1E_S1E_jjS1G_bEUljE0_EEESZ_S10_S11_S18_S1C_S1E_T6_T7_T9_mT8_S1G_bDpT10_ENKUlT_T0_E_clISt17integral_constantIbLb0EES1T_IbLb1EEEEDaS1P_S1Q_EUlS1P_E_NS1_11comp_targetILNS1_3genE10ELNS1_11target_archE1200ELNS1_3gpuE4ELNS1_3repE0EEENS1_30default_config_static_selectorELNS0_4arch9wavefront6targetE0EEEvS12_
		.amdhsa_group_segment_fixed_size 0
		.amdhsa_private_segment_fixed_size 0
		.amdhsa_kernarg_size 184
		.amdhsa_user_sgpr_count 2
		.amdhsa_user_sgpr_dispatch_ptr 0
		.amdhsa_user_sgpr_queue_ptr 0
		.amdhsa_user_sgpr_kernarg_segment_ptr 1
		.amdhsa_user_sgpr_dispatch_id 0
		.amdhsa_user_sgpr_kernarg_preload_length 0
		.amdhsa_user_sgpr_kernarg_preload_offset 0
		.amdhsa_user_sgpr_private_segment_size 0
		.amdhsa_wavefront_size32 1
		.amdhsa_uses_dynamic_stack 0
		.amdhsa_enable_private_segment 0
		.amdhsa_system_sgpr_workgroup_id_x 1
		.amdhsa_system_sgpr_workgroup_id_y 0
		.amdhsa_system_sgpr_workgroup_id_z 0
		.amdhsa_system_sgpr_workgroup_info 0
		.amdhsa_system_vgpr_workitem_id 0
		.amdhsa_next_free_vgpr 1
		.amdhsa_next_free_sgpr 1
		.amdhsa_named_barrier_count 0
		.amdhsa_reserve_vcc 0
		.amdhsa_float_round_mode_32 0
		.amdhsa_float_round_mode_16_64 0
		.amdhsa_float_denorm_mode_32 3
		.amdhsa_float_denorm_mode_16_64 3
		.amdhsa_fp16_overflow 0
		.amdhsa_memory_ordered 1
		.amdhsa_forward_progress 1
		.amdhsa_inst_pref_size 0
		.amdhsa_round_robin_scheduling 0
		.amdhsa_exception_fp_ieee_invalid_op 0
		.amdhsa_exception_fp_denorm_src 0
		.amdhsa_exception_fp_ieee_div_zero 0
		.amdhsa_exception_fp_ieee_overflow 0
		.amdhsa_exception_fp_ieee_underflow 0
		.amdhsa_exception_fp_ieee_inexact 0
		.amdhsa_exception_int_div_zero 0
	.end_amdhsa_kernel
	.section	.text._ZN7rocprim17ROCPRIM_400000_NS6detail17trampoline_kernelINS0_13select_configILj256ELj13ELNS0_17block_load_methodE3ELS4_3ELS4_3ELNS0_20block_scan_algorithmE0ELj4294967295EEENS1_25partition_config_selectorILNS1_17partition_subalgoE4EjNS0_10empty_typeEbEEZZNS1_14partition_implILS8_4ELb0ES6_15HIP_vector_typeIjLj2EENS0_17counting_iteratorIjlEEPS9_SG_NS0_5tupleIJPjSI_NS0_16reverse_iteratorISI_EEEEENSH_IJSG_SG_SG_EEES9_SI_JZNS1_25segmented_radix_sort_implINS0_14default_configELb0EPKsPsPKlPlN2at6native12_GLOBAL__N_18offset_tEEE10hipError_tPvRmT1_PNSt15iterator_traitsIS12_E10value_typeET2_T3_PNS13_IS18_E10value_typeET4_jRbjT5_S1E_jjP12ihipStream_tbEUljE_ZNSN_ISO_Lb0ESQ_SR_ST_SU_SY_EESZ_S10_S11_S12_S16_S17_S18_S1B_S1C_jS1D_jS1E_S1E_jjS1G_bEUljE0_EEESZ_S10_S11_S18_S1C_S1E_T6_T7_T9_mT8_S1G_bDpT10_ENKUlT_T0_E_clISt17integral_constantIbLb0EES1T_IbLb1EEEEDaS1P_S1Q_EUlS1P_E_NS1_11comp_targetILNS1_3genE10ELNS1_11target_archE1200ELNS1_3gpuE4ELNS1_3repE0EEENS1_30default_config_static_selectorELNS0_4arch9wavefront6targetE0EEEvS12_,"axG",@progbits,_ZN7rocprim17ROCPRIM_400000_NS6detail17trampoline_kernelINS0_13select_configILj256ELj13ELNS0_17block_load_methodE3ELS4_3ELS4_3ELNS0_20block_scan_algorithmE0ELj4294967295EEENS1_25partition_config_selectorILNS1_17partition_subalgoE4EjNS0_10empty_typeEbEEZZNS1_14partition_implILS8_4ELb0ES6_15HIP_vector_typeIjLj2EENS0_17counting_iteratorIjlEEPS9_SG_NS0_5tupleIJPjSI_NS0_16reverse_iteratorISI_EEEEENSH_IJSG_SG_SG_EEES9_SI_JZNS1_25segmented_radix_sort_implINS0_14default_configELb0EPKsPsPKlPlN2at6native12_GLOBAL__N_18offset_tEEE10hipError_tPvRmT1_PNSt15iterator_traitsIS12_E10value_typeET2_T3_PNS13_IS18_E10value_typeET4_jRbjT5_S1E_jjP12ihipStream_tbEUljE_ZNSN_ISO_Lb0ESQ_SR_ST_SU_SY_EESZ_S10_S11_S12_S16_S17_S18_S1B_S1C_jS1D_jS1E_S1E_jjS1G_bEUljE0_EEESZ_S10_S11_S18_S1C_S1E_T6_T7_T9_mT8_S1G_bDpT10_ENKUlT_T0_E_clISt17integral_constantIbLb0EES1T_IbLb1EEEEDaS1P_S1Q_EUlS1P_E_NS1_11comp_targetILNS1_3genE10ELNS1_11target_archE1200ELNS1_3gpuE4ELNS1_3repE0EEENS1_30default_config_static_selectorELNS0_4arch9wavefront6targetE0EEEvS12_,comdat
.Lfunc_end974:
	.size	_ZN7rocprim17ROCPRIM_400000_NS6detail17trampoline_kernelINS0_13select_configILj256ELj13ELNS0_17block_load_methodE3ELS4_3ELS4_3ELNS0_20block_scan_algorithmE0ELj4294967295EEENS1_25partition_config_selectorILNS1_17partition_subalgoE4EjNS0_10empty_typeEbEEZZNS1_14partition_implILS8_4ELb0ES6_15HIP_vector_typeIjLj2EENS0_17counting_iteratorIjlEEPS9_SG_NS0_5tupleIJPjSI_NS0_16reverse_iteratorISI_EEEEENSH_IJSG_SG_SG_EEES9_SI_JZNS1_25segmented_radix_sort_implINS0_14default_configELb0EPKsPsPKlPlN2at6native12_GLOBAL__N_18offset_tEEE10hipError_tPvRmT1_PNSt15iterator_traitsIS12_E10value_typeET2_T3_PNS13_IS18_E10value_typeET4_jRbjT5_S1E_jjP12ihipStream_tbEUljE_ZNSN_ISO_Lb0ESQ_SR_ST_SU_SY_EESZ_S10_S11_S12_S16_S17_S18_S1B_S1C_jS1D_jS1E_S1E_jjS1G_bEUljE0_EEESZ_S10_S11_S18_S1C_S1E_T6_T7_T9_mT8_S1G_bDpT10_ENKUlT_T0_E_clISt17integral_constantIbLb0EES1T_IbLb1EEEEDaS1P_S1Q_EUlS1P_E_NS1_11comp_targetILNS1_3genE10ELNS1_11target_archE1200ELNS1_3gpuE4ELNS1_3repE0EEENS1_30default_config_static_selectorELNS0_4arch9wavefront6targetE0EEEvS12_, .Lfunc_end974-_ZN7rocprim17ROCPRIM_400000_NS6detail17trampoline_kernelINS0_13select_configILj256ELj13ELNS0_17block_load_methodE3ELS4_3ELS4_3ELNS0_20block_scan_algorithmE0ELj4294967295EEENS1_25partition_config_selectorILNS1_17partition_subalgoE4EjNS0_10empty_typeEbEEZZNS1_14partition_implILS8_4ELb0ES6_15HIP_vector_typeIjLj2EENS0_17counting_iteratorIjlEEPS9_SG_NS0_5tupleIJPjSI_NS0_16reverse_iteratorISI_EEEEENSH_IJSG_SG_SG_EEES9_SI_JZNS1_25segmented_radix_sort_implINS0_14default_configELb0EPKsPsPKlPlN2at6native12_GLOBAL__N_18offset_tEEE10hipError_tPvRmT1_PNSt15iterator_traitsIS12_E10value_typeET2_T3_PNS13_IS18_E10value_typeET4_jRbjT5_S1E_jjP12ihipStream_tbEUljE_ZNSN_ISO_Lb0ESQ_SR_ST_SU_SY_EESZ_S10_S11_S12_S16_S17_S18_S1B_S1C_jS1D_jS1E_S1E_jjS1G_bEUljE0_EEESZ_S10_S11_S18_S1C_S1E_T6_T7_T9_mT8_S1G_bDpT10_ENKUlT_T0_E_clISt17integral_constantIbLb0EES1T_IbLb1EEEEDaS1P_S1Q_EUlS1P_E_NS1_11comp_targetILNS1_3genE10ELNS1_11target_archE1200ELNS1_3gpuE4ELNS1_3repE0EEENS1_30default_config_static_selectorELNS0_4arch9wavefront6targetE0EEEvS12_
                                        ; -- End function
	.set _ZN7rocprim17ROCPRIM_400000_NS6detail17trampoline_kernelINS0_13select_configILj256ELj13ELNS0_17block_load_methodE3ELS4_3ELS4_3ELNS0_20block_scan_algorithmE0ELj4294967295EEENS1_25partition_config_selectorILNS1_17partition_subalgoE4EjNS0_10empty_typeEbEEZZNS1_14partition_implILS8_4ELb0ES6_15HIP_vector_typeIjLj2EENS0_17counting_iteratorIjlEEPS9_SG_NS0_5tupleIJPjSI_NS0_16reverse_iteratorISI_EEEEENSH_IJSG_SG_SG_EEES9_SI_JZNS1_25segmented_radix_sort_implINS0_14default_configELb0EPKsPsPKlPlN2at6native12_GLOBAL__N_18offset_tEEE10hipError_tPvRmT1_PNSt15iterator_traitsIS12_E10value_typeET2_T3_PNS13_IS18_E10value_typeET4_jRbjT5_S1E_jjP12ihipStream_tbEUljE_ZNSN_ISO_Lb0ESQ_SR_ST_SU_SY_EESZ_S10_S11_S12_S16_S17_S18_S1B_S1C_jS1D_jS1E_S1E_jjS1G_bEUljE0_EEESZ_S10_S11_S18_S1C_S1E_T6_T7_T9_mT8_S1G_bDpT10_ENKUlT_T0_E_clISt17integral_constantIbLb0EES1T_IbLb1EEEEDaS1P_S1Q_EUlS1P_E_NS1_11comp_targetILNS1_3genE10ELNS1_11target_archE1200ELNS1_3gpuE4ELNS1_3repE0EEENS1_30default_config_static_selectorELNS0_4arch9wavefront6targetE0EEEvS12_.num_vgpr, 0
	.set _ZN7rocprim17ROCPRIM_400000_NS6detail17trampoline_kernelINS0_13select_configILj256ELj13ELNS0_17block_load_methodE3ELS4_3ELS4_3ELNS0_20block_scan_algorithmE0ELj4294967295EEENS1_25partition_config_selectorILNS1_17partition_subalgoE4EjNS0_10empty_typeEbEEZZNS1_14partition_implILS8_4ELb0ES6_15HIP_vector_typeIjLj2EENS0_17counting_iteratorIjlEEPS9_SG_NS0_5tupleIJPjSI_NS0_16reverse_iteratorISI_EEEEENSH_IJSG_SG_SG_EEES9_SI_JZNS1_25segmented_radix_sort_implINS0_14default_configELb0EPKsPsPKlPlN2at6native12_GLOBAL__N_18offset_tEEE10hipError_tPvRmT1_PNSt15iterator_traitsIS12_E10value_typeET2_T3_PNS13_IS18_E10value_typeET4_jRbjT5_S1E_jjP12ihipStream_tbEUljE_ZNSN_ISO_Lb0ESQ_SR_ST_SU_SY_EESZ_S10_S11_S12_S16_S17_S18_S1B_S1C_jS1D_jS1E_S1E_jjS1G_bEUljE0_EEESZ_S10_S11_S18_S1C_S1E_T6_T7_T9_mT8_S1G_bDpT10_ENKUlT_T0_E_clISt17integral_constantIbLb0EES1T_IbLb1EEEEDaS1P_S1Q_EUlS1P_E_NS1_11comp_targetILNS1_3genE10ELNS1_11target_archE1200ELNS1_3gpuE4ELNS1_3repE0EEENS1_30default_config_static_selectorELNS0_4arch9wavefront6targetE0EEEvS12_.num_agpr, 0
	.set _ZN7rocprim17ROCPRIM_400000_NS6detail17trampoline_kernelINS0_13select_configILj256ELj13ELNS0_17block_load_methodE3ELS4_3ELS4_3ELNS0_20block_scan_algorithmE0ELj4294967295EEENS1_25partition_config_selectorILNS1_17partition_subalgoE4EjNS0_10empty_typeEbEEZZNS1_14partition_implILS8_4ELb0ES6_15HIP_vector_typeIjLj2EENS0_17counting_iteratorIjlEEPS9_SG_NS0_5tupleIJPjSI_NS0_16reverse_iteratorISI_EEEEENSH_IJSG_SG_SG_EEES9_SI_JZNS1_25segmented_radix_sort_implINS0_14default_configELb0EPKsPsPKlPlN2at6native12_GLOBAL__N_18offset_tEEE10hipError_tPvRmT1_PNSt15iterator_traitsIS12_E10value_typeET2_T3_PNS13_IS18_E10value_typeET4_jRbjT5_S1E_jjP12ihipStream_tbEUljE_ZNSN_ISO_Lb0ESQ_SR_ST_SU_SY_EESZ_S10_S11_S12_S16_S17_S18_S1B_S1C_jS1D_jS1E_S1E_jjS1G_bEUljE0_EEESZ_S10_S11_S18_S1C_S1E_T6_T7_T9_mT8_S1G_bDpT10_ENKUlT_T0_E_clISt17integral_constantIbLb0EES1T_IbLb1EEEEDaS1P_S1Q_EUlS1P_E_NS1_11comp_targetILNS1_3genE10ELNS1_11target_archE1200ELNS1_3gpuE4ELNS1_3repE0EEENS1_30default_config_static_selectorELNS0_4arch9wavefront6targetE0EEEvS12_.numbered_sgpr, 0
	.set _ZN7rocprim17ROCPRIM_400000_NS6detail17trampoline_kernelINS0_13select_configILj256ELj13ELNS0_17block_load_methodE3ELS4_3ELS4_3ELNS0_20block_scan_algorithmE0ELj4294967295EEENS1_25partition_config_selectorILNS1_17partition_subalgoE4EjNS0_10empty_typeEbEEZZNS1_14partition_implILS8_4ELb0ES6_15HIP_vector_typeIjLj2EENS0_17counting_iteratorIjlEEPS9_SG_NS0_5tupleIJPjSI_NS0_16reverse_iteratorISI_EEEEENSH_IJSG_SG_SG_EEES9_SI_JZNS1_25segmented_radix_sort_implINS0_14default_configELb0EPKsPsPKlPlN2at6native12_GLOBAL__N_18offset_tEEE10hipError_tPvRmT1_PNSt15iterator_traitsIS12_E10value_typeET2_T3_PNS13_IS18_E10value_typeET4_jRbjT5_S1E_jjP12ihipStream_tbEUljE_ZNSN_ISO_Lb0ESQ_SR_ST_SU_SY_EESZ_S10_S11_S12_S16_S17_S18_S1B_S1C_jS1D_jS1E_S1E_jjS1G_bEUljE0_EEESZ_S10_S11_S18_S1C_S1E_T6_T7_T9_mT8_S1G_bDpT10_ENKUlT_T0_E_clISt17integral_constantIbLb0EES1T_IbLb1EEEEDaS1P_S1Q_EUlS1P_E_NS1_11comp_targetILNS1_3genE10ELNS1_11target_archE1200ELNS1_3gpuE4ELNS1_3repE0EEENS1_30default_config_static_selectorELNS0_4arch9wavefront6targetE0EEEvS12_.num_named_barrier, 0
	.set _ZN7rocprim17ROCPRIM_400000_NS6detail17trampoline_kernelINS0_13select_configILj256ELj13ELNS0_17block_load_methodE3ELS4_3ELS4_3ELNS0_20block_scan_algorithmE0ELj4294967295EEENS1_25partition_config_selectorILNS1_17partition_subalgoE4EjNS0_10empty_typeEbEEZZNS1_14partition_implILS8_4ELb0ES6_15HIP_vector_typeIjLj2EENS0_17counting_iteratorIjlEEPS9_SG_NS0_5tupleIJPjSI_NS0_16reverse_iteratorISI_EEEEENSH_IJSG_SG_SG_EEES9_SI_JZNS1_25segmented_radix_sort_implINS0_14default_configELb0EPKsPsPKlPlN2at6native12_GLOBAL__N_18offset_tEEE10hipError_tPvRmT1_PNSt15iterator_traitsIS12_E10value_typeET2_T3_PNS13_IS18_E10value_typeET4_jRbjT5_S1E_jjP12ihipStream_tbEUljE_ZNSN_ISO_Lb0ESQ_SR_ST_SU_SY_EESZ_S10_S11_S12_S16_S17_S18_S1B_S1C_jS1D_jS1E_S1E_jjS1G_bEUljE0_EEESZ_S10_S11_S18_S1C_S1E_T6_T7_T9_mT8_S1G_bDpT10_ENKUlT_T0_E_clISt17integral_constantIbLb0EES1T_IbLb1EEEEDaS1P_S1Q_EUlS1P_E_NS1_11comp_targetILNS1_3genE10ELNS1_11target_archE1200ELNS1_3gpuE4ELNS1_3repE0EEENS1_30default_config_static_selectorELNS0_4arch9wavefront6targetE0EEEvS12_.private_seg_size, 0
	.set _ZN7rocprim17ROCPRIM_400000_NS6detail17trampoline_kernelINS0_13select_configILj256ELj13ELNS0_17block_load_methodE3ELS4_3ELS4_3ELNS0_20block_scan_algorithmE0ELj4294967295EEENS1_25partition_config_selectorILNS1_17partition_subalgoE4EjNS0_10empty_typeEbEEZZNS1_14partition_implILS8_4ELb0ES6_15HIP_vector_typeIjLj2EENS0_17counting_iteratorIjlEEPS9_SG_NS0_5tupleIJPjSI_NS0_16reverse_iteratorISI_EEEEENSH_IJSG_SG_SG_EEES9_SI_JZNS1_25segmented_radix_sort_implINS0_14default_configELb0EPKsPsPKlPlN2at6native12_GLOBAL__N_18offset_tEEE10hipError_tPvRmT1_PNSt15iterator_traitsIS12_E10value_typeET2_T3_PNS13_IS18_E10value_typeET4_jRbjT5_S1E_jjP12ihipStream_tbEUljE_ZNSN_ISO_Lb0ESQ_SR_ST_SU_SY_EESZ_S10_S11_S12_S16_S17_S18_S1B_S1C_jS1D_jS1E_S1E_jjS1G_bEUljE0_EEESZ_S10_S11_S18_S1C_S1E_T6_T7_T9_mT8_S1G_bDpT10_ENKUlT_T0_E_clISt17integral_constantIbLb0EES1T_IbLb1EEEEDaS1P_S1Q_EUlS1P_E_NS1_11comp_targetILNS1_3genE10ELNS1_11target_archE1200ELNS1_3gpuE4ELNS1_3repE0EEENS1_30default_config_static_selectorELNS0_4arch9wavefront6targetE0EEEvS12_.uses_vcc, 0
	.set _ZN7rocprim17ROCPRIM_400000_NS6detail17trampoline_kernelINS0_13select_configILj256ELj13ELNS0_17block_load_methodE3ELS4_3ELS4_3ELNS0_20block_scan_algorithmE0ELj4294967295EEENS1_25partition_config_selectorILNS1_17partition_subalgoE4EjNS0_10empty_typeEbEEZZNS1_14partition_implILS8_4ELb0ES6_15HIP_vector_typeIjLj2EENS0_17counting_iteratorIjlEEPS9_SG_NS0_5tupleIJPjSI_NS0_16reverse_iteratorISI_EEEEENSH_IJSG_SG_SG_EEES9_SI_JZNS1_25segmented_radix_sort_implINS0_14default_configELb0EPKsPsPKlPlN2at6native12_GLOBAL__N_18offset_tEEE10hipError_tPvRmT1_PNSt15iterator_traitsIS12_E10value_typeET2_T3_PNS13_IS18_E10value_typeET4_jRbjT5_S1E_jjP12ihipStream_tbEUljE_ZNSN_ISO_Lb0ESQ_SR_ST_SU_SY_EESZ_S10_S11_S12_S16_S17_S18_S1B_S1C_jS1D_jS1E_S1E_jjS1G_bEUljE0_EEESZ_S10_S11_S18_S1C_S1E_T6_T7_T9_mT8_S1G_bDpT10_ENKUlT_T0_E_clISt17integral_constantIbLb0EES1T_IbLb1EEEEDaS1P_S1Q_EUlS1P_E_NS1_11comp_targetILNS1_3genE10ELNS1_11target_archE1200ELNS1_3gpuE4ELNS1_3repE0EEENS1_30default_config_static_selectorELNS0_4arch9wavefront6targetE0EEEvS12_.uses_flat_scratch, 0
	.set _ZN7rocprim17ROCPRIM_400000_NS6detail17trampoline_kernelINS0_13select_configILj256ELj13ELNS0_17block_load_methodE3ELS4_3ELS4_3ELNS0_20block_scan_algorithmE0ELj4294967295EEENS1_25partition_config_selectorILNS1_17partition_subalgoE4EjNS0_10empty_typeEbEEZZNS1_14partition_implILS8_4ELb0ES6_15HIP_vector_typeIjLj2EENS0_17counting_iteratorIjlEEPS9_SG_NS0_5tupleIJPjSI_NS0_16reverse_iteratorISI_EEEEENSH_IJSG_SG_SG_EEES9_SI_JZNS1_25segmented_radix_sort_implINS0_14default_configELb0EPKsPsPKlPlN2at6native12_GLOBAL__N_18offset_tEEE10hipError_tPvRmT1_PNSt15iterator_traitsIS12_E10value_typeET2_T3_PNS13_IS18_E10value_typeET4_jRbjT5_S1E_jjP12ihipStream_tbEUljE_ZNSN_ISO_Lb0ESQ_SR_ST_SU_SY_EESZ_S10_S11_S12_S16_S17_S18_S1B_S1C_jS1D_jS1E_S1E_jjS1G_bEUljE0_EEESZ_S10_S11_S18_S1C_S1E_T6_T7_T9_mT8_S1G_bDpT10_ENKUlT_T0_E_clISt17integral_constantIbLb0EES1T_IbLb1EEEEDaS1P_S1Q_EUlS1P_E_NS1_11comp_targetILNS1_3genE10ELNS1_11target_archE1200ELNS1_3gpuE4ELNS1_3repE0EEENS1_30default_config_static_selectorELNS0_4arch9wavefront6targetE0EEEvS12_.has_dyn_sized_stack, 0
	.set _ZN7rocprim17ROCPRIM_400000_NS6detail17trampoline_kernelINS0_13select_configILj256ELj13ELNS0_17block_load_methodE3ELS4_3ELS4_3ELNS0_20block_scan_algorithmE0ELj4294967295EEENS1_25partition_config_selectorILNS1_17partition_subalgoE4EjNS0_10empty_typeEbEEZZNS1_14partition_implILS8_4ELb0ES6_15HIP_vector_typeIjLj2EENS0_17counting_iteratorIjlEEPS9_SG_NS0_5tupleIJPjSI_NS0_16reverse_iteratorISI_EEEEENSH_IJSG_SG_SG_EEES9_SI_JZNS1_25segmented_radix_sort_implINS0_14default_configELb0EPKsPsPKlPlN2at6native12_GLOBAL__N_18offset_tEEE10hipError_tPvRmT1_PNSt15iterator_traitsIS12_E10value_typeET2_T3_PNS13_IS18_E10value_typeET4_jRbjT5_S1E_jjP12ihipStream_tbEUljE_ZNSN_ISO_Lb0ESQ_SR_ST_SU_SY_EESZ_S10_S11_S12_S16_S17_S18_S1B_S1C_jS1D_jS1E_S1E_jjS1G_bEUljE0_EEESZ_S10_S11_S18_S1C_S1E_T6_T7_T9_mT8_S1G_bDpT10_ENKUlT_T0_E_clISt17integral_constantIbLb0EES1T_IbLb1EEEEDaS1P_S1Q_EUlS1P_E_NS1_11comp_targetILNS1_3genE10ELNS1_11target_archE1200ELNS1_3gpuE4ELNS1_3repE0EEENS1_30default_config_static_selectorELNS0_4arch9wavefront6targetE0EEEvS12_.has_recursion, 0
	.set _ZN7rocprim17ROCPRIM_400000_NS6detail17trampoline_kernelINS0_13select_configILj256ELj13ELNS0_17block_load_methodE3ELS4_3ELS4_3ELNS0_20block_scan_algorithmE0ELj4294967295EEENS1_25partition_config_selectorILNS1_17partition_subalgoE4EjNS0_10empty_typeEbEEZZNS1_14partition_implILS8_4ELb0ES6_15HIP_vector_typeIjLj2EENS0_17counting_iteratorIjlEEPS9_SG_NS0_5tupleIJPjSI_NS0_16reverse_iteratorISI_EEEEENSH_IJSG_SG_SG_EEES9_SI_JZNS1_25segmented_radix_sort_implINS0_14default_configELb0EPKsPsPKlPlN2at6native12_GLOBAL__N_18offset_tEEE10hipError_tPvRmT1_PNSt15iterator_traitsIS12_E10value_typeET2_T3_PNS13_IS18_E10value_typeET4_jRbjT5_S1E_jjP12ihipStream_tbEUljE_ZNSN_ISO_Lb0ESQ_SR_ST_SU_SY_EESZ_S10_S11_S12_S16_S17_S18_S1B_S1C_jS1D_jS1E_S1E_jjS1G_bEUljE0_EEESZ_S10_S11_S18_S1C_S1E_T6_T7_T9_mT8_S1G_bDpT10_ENKUlT_T0_E_clISt17integral_constantIbLb0EES1T_IbLb1EEEEDaS1P_S1Q_EUlS1P_E_NS1_11comp_targetILNS1_3genE10ELNS1_11target_archE1200ELNS1_3gpuE4ELNS1_3repE0EEENS1_30default_config_static_selectorELNS0_4arch9wavefront6targetE0EEEvS12_.has_indirect_call, 0
	.section	.AMDGPU.csdata,"",@progbits
; Kernel info:
; codeLenInByte = 0
; TotalNumSgprs: 0
; NumVgprs: 0
; ScratchSize: 0
; MemoryBound: 0
; FloatMode: 240
; IeeeMode: 1
; LDSByteSize: 0 bytes/workgroup (compile time only)
; SGPRBlocks: 0
; VGPRBlocks: 0
; NumSGPRsForWavesPerEU: 1
; NumVGPRsForWavesPerEU: 1
; NamedBarCnt: 0
; Occupancy: 16
; WaveLimiterHint : 0
; COMPUTE_PGM_RSRC2:SCRATCH_EN: 0
; COMPUTE_PGM_RSRC2:USER_SGPR: 2
; COMPUTE_PGM_RSRC2:TRAP_HANDLER: 0
; COMPUTE_PGM_RSRC2:TGID_X_EN: 1
; COMPUTE_PGM_RSRC2:TGID_Y_EN: 0
; COMPUTE_PGM_RSRC2:TGID_Z_EN: 0
; COMPUTE_PGM_RSRC2:TIDIG_COMP_CNT: 0
	.section	.text._ZN7rocprim17ROCPRIM_400000_NS6detail17trampoline_kernelINS0_13select_configILj256ELj13ELNS0_17block_load_methodE3ELS4_3ELS4_3ELNS0_20block_scan_algorithmE0ELj4294967295EEENS1_25partition_config_selectorILNS1_17partition_subalgoE4EjNS0_10empty_typeEbEEZZNS1_14partition_implILS8_4ELb0ES6_15HIP_vector_typeIjLj2EENS0_17counting_iteratorIjlEEPS9_SG_NS0_5tupleIJPjSI_NS0_16reverse_iteratorISI_EEEEENSH_IJSG_SG_SG_EEES9_SI_JZNS1_25segmented_radix_sort_implINS0_14default_configELb0EPKsPsPKlPlN2at6native12_GLOBAL__N_18offset_tEEE10hipError_tPvRmT1_PNSt15iterator_traitsIS12_E10value_typeET2_T3_PNS13_IS18_E10value_typeET4_jRbjT5_S1E_jjP12ihipStream_tbEUljE_ZNSN_ISO_Lb0ESQ_SR_ST_SU_SY_EESZ_S10_S11_S12_S16_S17_S18_S1B_S1C_jS1D_jS1E_S1E_jjS1G_bEUljE0_EEESZ_S10_S11_S18_S1C_S1E_T6_T7_T9_mT8_S1G_bDpT10_ENKUlT_T0_E_clISt17integral_constantIbLb0EES1T_IbLb1EEEEDaS1P_S1Q_EUlS1P_E_NS1_11comp_targetILNS1_3genE9ELNS1_11target_archE1100ELNS1_3gpuE3ELNS1_3repE0EEENS1_30default_config_static_selectorELNS0_4arch9wavefront6targetE0EEEvS12_,"axG",@progbits,_ZN7rocprim17ROCPRIM_400000_NS6detail17trampoline_kernelINS0_13select_configILj256ELj13ELNS0_17block_load_methodE3ELS4_3ELS4_3ELNS0_20block_scan_algorithmE0ELj4294967295EEENS1_25partition_config_selectorILNS1_17partition_subalgoE4EjNS0_10empty_typeEbEEZZNS1_14partition_implILS8_4ELb0ES6_15HIP_vector_typeIjLj2EENS0_17counting_iteratorIjlEEPS9_SG_NS0_5tupleIJPjSI_NS0_16reverse_iteratorISI_EEEEENSH_IJSG_SG_SG_EEES9_SI_JZNS1_25segmented_radix_sort_implINS0_14default_configELb0EPKsPsPKlPlN2at6native12_GLOBAL__N_18offset_tEEE10hipError_tPvRmT1_PNSt15iterator_traitsIS12_E10value_typeET2_T3_PNS13_IS18_E10value_typeET4_jRbjT5_S1E_jjP12ihipStream_tbEUljE_ZNSN_ISO_Lb0ESQ_SR_ST_SU_SY_EESZ_S10_S11_S12_S16_S17_S18_S1B_S1C_jS1D_jS1E_S1E_jjS1G_bEUljE0_EEESZ_S10_S11_S18_S1C_S1E_T6_T7_T9_mT8_S1G_bDpT10_ENKUlT_T0_E_clISt17integral_constantIbLb0EES1T_IbLb1EEEEDaS1P_S1Q_EUlS1P_E_NS1_11comp_targetILNS1_3genE9ELNS1_11target_archE1100ELNS1_3gpuE3ELNS1_3repE0EEENS1_30default_config_static_selectorELNS0_4arch9wavefront6targetE0EEEvS12_,comdat
	.globl	_ZN7rocprim17ROCPRIM_400000_NS6detail17trampoline_kernelINS0_13select_configILj256ELj13ELNS0_17block_load_methodE3ELS4_3ELS4_3ELNS0_20block_scan_algorithmE0ELj4294967295EEENS1_25partition_config_selectorILNS1_17partition_subalgoE4EjNS0_10empty_typeEbEEZZNS1_14partition_implILS8_4ELb0ES6_15HIP_vector_typeIjLj2EENS0_17counting_iteratorIjlEEPS9_SG_NS0_5tupleIJPjSI_NS0_16reverse_iteratorISI_EEEEENSH_IJSG_SG_SG_EEES9_SI_JZNS1_25segmented_radix_sort_implINS0_14default_configELb0EPKsPsPKlPlN2at6native12_GLOBAL__N_18offset_tEEE10hipError_tPvRmT1_PNSt15iterator_traitsIS12_E10value_typeET2_T3_PNS13_IS18_E10value_typeET4_jRbjT5_S1E_jjP12ihipStream_tbEUljE_ZNSN_ISO_Lb0ESQ_SR_ST_SU_SY_EESZ_S10_S11_S12_S16_S17_S18_S1B_S1C_jS1D_jS1E_S1E_jjS1G_bEUljE0_EEESZ_S10_S11_S18_S1C_S1E_T6_T7_T9_mT8_S1G_bDpT10_ENKUlT_T0_E_clISt17integral_constantIbLb0EES1T_IbLb1EEEEDaS1P_S1Q_EUlS1P_E_NS1_11comp_targetILNS1_3genE9ELNS1_11target_archE1100ELNS1_3gpuE3ELNS1_3repE0EEENS1_30default_config_static_selectorELNS0_4arch9wavefront6targetE0EEEvS12_ ; -- Begin function _ZN7rocprim17ROCPRIM_400000_NS6detail17trampoline_kernelINS0_13select_configILj256ELj13ELNS0_17block_load_methodE3ELS4_3ELS4_3ELNS0_20block_scan_algorithmE0ELj4294967295EEENS1_25partition_config_selectorILNS1_17partition_subalgoE4EjNS0_10empty_typeEbEEZZNS1_14partition_implILS8_4ELb0ES6_15HIP_vector_typeIjLj2EENS0_17counting_iteratorIjlEEPS9_SG_NS0_5tupleIJPjSI_NS0_16reverse_iteratorISI_EEEEENSH_IJSG_SG_SG_EEES9_SI_JZNS1_25segmented_radix_sort_implINS0_14default_configELb0EPKsPsPKlPlN2at6native12_GLOBAL__N_18offset_tEEE10hipError_tPvRmT1_PNSt15iterator_traitsIS12_E10value_typeET2_T3_PNS13_IS18_E10value_typeET4_jRbjT5_S1E_jjP12ihipStream_tbEUljE_ZNSN_ISO_Lb0ESQ_SR_ST_SU_SY_EESZ_S10_S11_S12_S16_S17_S18_S1B_S1C_jS1D_jS1E_S1E_jjS1G_bEUljE0_EEESZ_S10_S11_S18_S1C_S1E_T6_T7_T9_mT8_S1G_bDpT10_ENKUlT_T0_E_clISt17integral_constantIbLb0EES1T_IbLb1EEEEDaS1P_S1Q_EUlS1P_E_NS1_11comp_targetILNS1_3genE9ELNS1_11target_archE1100ELNS1_3gpuE3ELNS1_3repE0EEENS1_30default_config_static_selectorELNS0_4arch9wavefront6targetE0EEEvS12_
	.p2align	8
	.type	_ZN7rocprim17ROCPRIM_400000_NS6detail17trampoline_kernelINS0_13select_configILj256ELj13ELNS0_17block_load_methodE3ELS4_3ELS4_3ELNS0_20block_scan_algorithmE0ELj4294967295EEENS1_25partition_config_selectorILNS1_17partition_subalgoE4EjNS0_10empty_typeEbEEZZNS1_14partition_implILS8_4ELb0ES6_15HIP_vector_typeIjLj2EENS0_17counting_iteratorIjlEEPS9_SG_NS0_5tupleIJPjSI_NS0_16reverse_iteratorISI_EEEEENSH_IJSG_SG_SG_EEES9_SI_JZNS1_25segmented_radix_sort_implINS0_14default_configELb0EPKsPsPKlPlN2at6native12_GLOBAL__N_18offset_tEEE10hipError_tPvRmT1_PNSt15iterator_traitsIS12_E10value_typeET2_T3_PNS13_IS18_E10value_typeET4_jRbjT5_S1E_jjP12ihipStream_tbEUljE_ZNSN_ISO_Lb0ESQ_SR_ST_SU_SY_EESZ_S10_S11_S12_S16_S17_S18_S1B_S1C_jS1D_jS1E_S1E_jjS1G_bEUljE0_EEESZ_S10_S11_S18_S1C_S1E_T6_T7_T9_mT8_S1G_bDpT10_ENKUlT_T0_E_clISt17integral_constantIbLb0EES1T_IbLb1EEEEDaS1P_S1Q_EUlS1P_E_NS1_11comp_targetILNS1_3genE9ELNS1_11target_archE1100ELNS1_3gpuE3ELNS1_3repE0EEENS1_30default_config_static_selectorELNS0_4arch9wavefront6targetE0EEEvS12_,@function
_ZN7rocprim17ROCPRIM_400000_NS6detail17trampoline_kernelINS0_13select_configILj256ELj13ELNS0_17block_load_methodE3ELS4_3ELS4_3ELNS0_20block_scan_algorithmE0ELj4294967295EEENS1_25partition_config_selectorILNS1_17partition_subalgoE4EjNS0_10empty_typeEbEEZZNS1_14partition_implILS8_4ELb0ES6_15HIP_vector_typeIjLj2EENS0_17counting_iteratorIjlEEPS9_SG_NS0_5tupleIJPjSI_NS0_16reverse_iteratorISI_EEEEENSH_IJSG_SG_SG_EEES9_SI_JZNS1_25segmented_radix_sort_implINS0_14default_configELb0EPKsPsPKlPlN2at6native12_GLOBAL__N_18offset_tEEE10hipError_tPvRmT1_PNSt15iterator_traitsIS12_E10value_typeET2_T3_PNS13_IS18_E10value_typeET4_jRbjT5_S1E_jjP12ihipStream_tbEUljE_ZNSN_ISO_Lb0ESQ_SR_ST_SU_SY_EESZ_S10_S11_S12_S16_S17_S18_S1B_S1C_jS1D_jS1E_S1E_jjS1G_bEUljE0_EEESZ_S10_S11_S18_S1C_S1E_T6_T7_T9_mT8_S1G_bDpT10_ENKUlT_T0_E_clISt17integral_constantIbLb0EES1T_IbLb1EEEEDaS1P_S1Q_EUlS1P_E_NS1_11comp_targetILNS1_3genE9ELNS1_11target_archE1100ELNS1_3gpuE3ELNS1_3repE0EEENS1_30default_config_static_selectorELNS0_4arch9wavefront6targetE0EEEvS12_: ; @_ZN7rocprim17ROCPRIM_400000_NS6detail17trampoline_kernelINS0_13select_configILj256ELj13ELNS0_17block_load_methodE3ELS4_3ELS4_3ELNS0_20block_scan_algorithmE0ELj4294967295EEENS1_25partition_config_selectorILNS1_17partition_subalgoE4EjNS0_10empty_typeEbEEZZNS1_14partition_implILS8_4ELb0ES6_15HIP_vector_typeIjLj2EENS0_17counting_iteratorIjlEEPS9_SG_NS0_5tupleIJPjSI_NS0_16reverse_iteratorISI_EEEEENSH_IJSG_SG_SG_EEES9_SI_JZNS1_25segmented_radix_sort_implINS0_14default_configELb0EPKsPsPKlPlN2at6native12_GLOBAL__N_18offset_tEEE10hipError_tPvRmT1_PNSt15iterator_traitsIS12_E10value_typeET2_T3_PNS13_IS18_E10value_typeET4_jRbjT5_S1E_jjP12ihipStream_tbEUljE_ZNSN_ISO_Lb0ESQ_SR_ST_SU_SY_EESZ_S10_S11_S12_S16_S17_S18_S1B_S1C_jS1D_jS1E_S1E_jjS1G_bEUljE0_EEESZ_S10_S11_S18_S1C_S1E_T6_T7_T9_mT8_S1G_bDpT10_ENKUlT_T0_E_clISt17integral_constantIbLb0EES1T_IbLb1EEEEDaS1P_S1Q_EUlS1P_E_NS1_11comp_targetILNS1_3genE9ELNS1_11target_archE1100ELNS1_3gpuE3ELNS1_3repE0EEENS1_30default_config_static_selectorELNS0_4arch9wavefront6targetE0EEEvS12_
; %bb.0:
	.section	.rodata,"a",@progbits
	.p2align	6, 0x0
	.amdhsa_kernel _ZN7rocprim17ROCPRIM_400000_NS6detail17trampoline_kernelINS0_13select_configILj256ELj13ELNS0_17block_load_methodE3ELS4_3ELS4_3ELNS0_20block_scan_algorithmE0ELj4294967295EEENS1_25partition_config_selectorILNS1_17partition_subalgoE4EjNS0_10empty_typeEbEEZZNS1_14partition_implILS8_4ELb0ES6_15HIP_vector_typeIjLj2EENS0_17counting_iteratorIjlEEPS9_SG_NS0_5tupleIJPjSI_NS0_16reverse_iteratorISI_EEEEENSH_IJSG_SG_SG_EEES9_SI_JZNS1_25segmented_radix_sort_implINS0_14default_configELb0EPKsPsPKlPlN2at6native12_GLOBAL__N_18offset_tEEE10hipError_tPvRmT1_PNSt15iterator_traitsIS12_E10value_typeET2_T3_PNS13_IS18_E10value_typeET4_jRbjT5_S1E_jjP12ihipStream_tbEUljE_ZNSN_ISO_Lb0ESQ_SR_ST_SU_SY_EESZ_S10_S11_S12_S16_S17_S18_S1B_S1C_jS1D_jS1E_S1E_jjS1G_bEUljE0_EEESZ_S10_S11_S18_S1C_S1E_T6_T7_T9_mT8_S1G_bDpT10_ENKUlT_T0_E_clISt17integral_constantIbLb0EES1T_IbLb1EEEEDaS1P_S1Q_EUlS1P_E_NS1_11comp_targetILNS1_3genE9ELNS1_11target_archE1100ELNS1_3gpuE3ELNS1_3repE0EEENS1_30default_config_static_selectorELNS0_4arch9wavefront6targetE0EEEvS12_
		.amdhsa_group_segment_fixed_size 0
		.amdhsa_private_segment_fixed_size 0
		.amdhsa_kernarg_size 184
		.amdhsa_user_sgpr_count 2
		.amdhsa_user_sgpr_dispatch_ptr 0
		.amdhsa_user_sgpr_queue_ptr 0
		.amdhsa_user_sgpr_kernarg_segment_ptr 1
		.amdhsa_user_sgpr_dispatch_id 0
		.amdhsa_user_sgpr_kernarg_preload_length 0
		.amdhsa_user_sgpr_kernarg_preload_offset 0
		.amdhsa_user_sgpr_private_segment_size 0
		.amdhsa_wavefront_size32 1
		.amdhsa_uses_dynamic_stack 0
		.amdhsa_enable_private_segment 0
		.amdhsa_system_sgpr_workgroup_id_x 1
		.amdhsa_system_sgpr_workgroup_id_y 0
		.amdhsa_system_sgpr_workgroup_id_z 0
		.amdhsa_system_sgpr_workgroup_info 0
		.amdhsa_system_vgpr_workitem_id 0
		.amdhsa_next_free_vgpr 1
		.amdhsa_next_free_sgpr 1
		.amdhsa_named_barrier_count 0
		.amdhsa_reserve_vcc 0
		.amdhsa_float_round_mode_32 0
		.amdhsa_float_round_mode_16_64 0
		.amdhsa_float_denorm_mode_32 3
		.amdhsa_float_denorm_mode_16_64 3
		.amdhsa_fp16_overflow 0
		.amdhsa_memory_ordered 1
		.amdhsa_forward_progress 1
		.amdhsa_inst_pref_size 0
		.amdhsa_round_robin_scheduling 0
		.amdhsa_exception_fp_ieee_invalid_op 0
		.amdhsa_exception_fp_denorm_src 0
		.amdhsa_exception_fp_ieee_div_zero 0
		.amdhsa_exception_fp_ieee_overflow 0
		.amdhsa_exception_fp_ieee_underflow 0
		.amdhsa_exception_fp_ieee_inexact 0
		.amdhsa_exception_int_div_zero 0
	.end_amdhsa_kernel
	.section	.text._ZN7rocprim17ROCPRIM_400000_NS6detail17trampoline_kernelINS0_13select_configILj256ELj13ELNS0_17block_load_methodE3ELS4_3ELS4_3ELNS0_20block_scan_algorithmE0ELj4294967295EEENS1_25partition_config_selectorILNS1_17partition_subalgoE4EjNS0_10empty_typeEbEEZZNS1_14partition_implILS8_4ELb0ES6_15HIP_vector_typeIjLj2EENS0_17counting_iteratorIjlEEPS9_SG_NS0_5tupleIJPjSI_NS0_16reverse_iteratorISI_EEEEENSH_IJSG_SG_SG_EEES9_SI_JZNS1_25segmented_radix_sort_implINS0_14default_configELb0EPKsPsPKlPlN2at6native12_GLOBAL__N_18offset_tEEE10hipError_tPvRmT1_PNSt15iterator_traitsIS12_E10value_typeET2_T3_PNS13_IS18_E10value_typeET4_jRbjT5_S1E_jjP12ihipStream_tbEUljE_ZNSN_ISO_Lb0ESQ_SR_ST_SU_SY_EESZ_S10_S11_S12_S16_S17_S18_S1B_S1C_jS1D_jS1E_S1E_jjS1G_bEUljE0_EEESZ_S10_S11_S18_S1C_S1E_T6_T7_T9_mT8_S1G_bDpT10_ENKUlT_T0_E_clISt17integral_constantIbLb0EES1T_IbLb1EEEEDaS1P_S1Q_EUlS1P_E_NS1_11comp_targetILNS1_3genE9ELNS1_11target_archE1100ELNS1_3gpuE3ELNS1_3repE0EEENS1_30default_config_static_selectorELNS0_4arch9wavefront6targetE0EEEvS12_,"axG",@progbits,_ZN7rocprim17ROCPRIM_400000_NS6detail17trampoline_kernelINS0_13select_configILj256ELj13ELNS0_17block_load_methodE3ELS4_3ELS4_3ELNS0_20block_scan_algorithmE0ELj4294967295EEENS1_25partition_config_selectorILNS1_17partition_subalgoE4EjNS0_10empty_typeEbEEZZNS1_14partition_implILS8_4ELb0ES6_15HIP_vector_typeIjLj2EENS0_17counting_iteratorIjlEEPS9_SG_NS0_5tupleIJPjSI_NS0_16reverse_iteratorISI_EEEEENSH_IJSG_SG_SG_EEES9_SI_JZNS1_25segmented_radix_sort_implINS0_14default_configELb0EPKsPsPKlPlN2at6native12_GLOBAL__N_18offset_tEEE10hipError_tPvRmT1_PNSt15iterator_traitsIS12_E10value_typeET2_T3_PNS13_IS18_E10value_typeET4_jRbjT5_S1E_jjP12ihipStream_tbEUljE_ZNSN_ISO_Lb0ESQ_SR_ST_SU_SY_EESZ_S10_S11_S12_S16_S17_S18_S1B_S1C_jS1D_jS1E_S1E_jjS1G_bEUljE0_EEESZ_S10_S11_S18_S1C_S1E_T6_T7_T9_mT8_S1G_bDpT10_ENKUlT_T0_E_clISt17integral_constantIbLb0EES1T_IbLb1EEEEDaS1P_S1Q_EUlS1P_E_NS1_11comp_targetILNS1_3genE9ELNS1_11target_archE1100ELNS1_3gpuE3ELNS1_3repE0EEENS1_30default_config_static_selectorELNS0_4arch9wavefront6targetE0EEEvS12_,comdat
.Lfunc_end975:
	.size	_ZN7rocprim17ROCPRIM_400000_NS6detail17trampoline_kernelINS0_13select_configILj256ELj13ELNS0_17block_load_methodE3ELS4_3ELS4_3ELNS0_20block_scan_algorithmE0ELj4294967295EEENS1_25partition_config_selectorILNS1_17partition_subalgoE4EjNS0_10empty_typeEbEEZZNS1_14partition_implILS8_4ELb0ES6_15HIP_vector_typeIjLj2EENS0_17counting_iteratorIjlEEPS9_SG_NS0_5tupleIJPjSI_NS0_16reverse_iteratorISI_EEEEENSH_IJSG_SG_SG_EEES9_SI_JZNS1_25segmented_radix_sort_implINS0_14default_configELb0EPKsPsPKlPlN2at6native12_GLOBAL__N_18offset_tEEE10hipError_tPvRmT1_PNSt15iterator_traitsIS12_E10value_typeET2_T3_PNS13_IS18_E10value_typeET4_jRbjT5_S1E_jjP12ihipStream_tbEUljE_ZNSN_ISO_Lb0ESQ_SR_ST_SU_SY_EESZ_S10_S11_S12_S16_S17_S18_S1B_S1C_jS1D_jS1E_S1E_jjS1G_bEUljE0_EEESZ_S10_S11_S18_S1C_S1E_T6_T7_T9_mT8_S1G_bDpT10_ENKUlT_T0_E_clISt17integral_constantIbLb0EES1T_IbLb1EEEEDaS1P_S1Q_EUlS1P_E_NS1_11comp_targetILNS1_3genE9ELNS1_11target_archE1100ELNS1_3gpuE3ELNS1_3repE0EEENS1_30default_config_static_selectorELNS0_4arch9wavefront6targetE0EEEvS12_, .Lfunc_end975-_ZN7rocprim17ROCPRIM_400000_NS6detail17trampoline_kernelINS0_13select_configILj256ELj13ELNS0_17block_load_methodE3ELS4_3ELS4_3ELNS0_20block_scan_algorithmE0ELj4294967295EEENS1_25partition_config_selectorILNS1_17partition_subalgoE4EjNS0_10empty_typeEbEEZZNS1_14partition_implILS8_4ELb0ES6_15HIP_vector_typeIjLj2EENS0_17counting_iteratorIjlEEPS9_SG_NS0_5tupleIJPjSI_NS0_16reverse_iteratorISI_EEEEENSH_IJSG_SG_SG_EEES9_SI_JZNS1_25segmented_radix_sort_implINS0_14default_configELb0EPKsPsPKlPlN2at6native12_GLOBAL__N_18offset_tEEE10hipError_tPvRmT1_PNSt15iterator_traitsIS12_E10value_typeET2_T3_PNS13_IS18_E10value_typeET4_jRbjT5_S1E_jjP12ihipStream_tbEUljE_ZNSN_ISO_Lb0ESQ_SR_ST_SU_SY_EESZ_S10_S11_S12_S16_S17_S18_S1B_S1C_jS1D_jS1E_S1E_jjS1G_bEUljE0_EEESZ_S10_S11_S18_S1C_S1E_T6_T7_T9_mT8_S1G_bDpT10_ENKUlT_T0_E_clISt17integral_constantIbLb0EES1T_IbLb1EEEEDaS1P_S1Q_EUlS1P_E_NS1_11comp_targetILNS1_3genE9ELNS1_11target_archE1100ELNS1_3gpuE3ELNS1_3repE0EEENS1_30default_config_static_selectorELNS0_4arch9wavefront6targetE0EEEvS12_
                                        ; -- End function
	.set _ZN7rocprim17ROCPRIM_400000_NS6detail17trampoline_kernelINS0_13select_configILj256ELj13ELNS0_17block_load_methodE3ELS4_3ELS4_3ELNS0_20block_scan_algorithmE0ELj4294967295EEENS1_25partition_config_selectorILNS1_17partition_subalgoE4EjNS0_10empty_typeEbEEZZNS1_14partition_implILS8_4ELb0ES6_15HIP_vector_typeIjLj2EENS0_17counting_iteratorIjlEEPS9_SG_NS0_5tupleIJPjSI_NS0_16reverse_iteratorISI_EEEEENSH_IJSG_SG_SG_EEES9_SI_JZNS1_25segmented_radix_sort_implINS0_14default_configELb0EPKsPsPKlPlN2at6native12_GLOBAL__N_18offset_tEEE10hipError_tPvRmT1_PNSt15iterator_traitsIS12_E10value_typeET2_T3_PNS13_IS18_E10value_typeET4_jRbjT5_S1E_jjP12ihipStream_tbEUljE_ZNSN_ISO_Lb0ESQ_SR_ST_SU_SY_EESZ_S10_S11_S12_S16_S17_S18_S1B_S1C_jS1D_jS1E_S1E_jjS1G_bEUljE0_EEESZ_S10_S11_S18_S1C_S1E_T6_T7_T9_mT8_S1G_bDpT10_ENKUlT_T0_E_clISt17integral_constantIbLb0EES1T_IbLb1EEEEDaS1P_S1Q_EUlS1P_E_NS1_11comp_targetILNS1_3genE9ELNS1_11target_archE1100ELNS1_3gpuE3ELNS1_3repE0EEENS1_30default_config_static_selectorELNS0_4arch9wavefront6targetE0EEEvS12_.num_vgpr, 0
	.set _ZN7rocprim17ROCPRIM_400000_NS6detail17trampoline_kernelINS0_13select_configILj256ELj13ELNS0_17block_load_methodE3ELS4_3ELS4_3ELNS0_20block_scan_algorithmE0ELj4294967295EEENS1_25partition_config_selectorILNS1_17partition_subalgoE4EjNS0_10empty_typeEbEEZZNS1_14partition_implILS8_4ELb0ES6_15HIP_vector_typeIjLj2EENS0_17counting_iteratorIjlEEPS9_SG_NS0_5tupleIJPjSI_NS0_16reverse_iteratorISI_EEEEENSH_IJSG_SG_SG_EEES9_SI_JZNS1_25segmented_radix_sort_implINS0_14default_configELb0EPKsPsPKlPlN2at6native12_GLOBAL__N_18offset_tEEE10hipError_tPvRmT1_PNSt15iterator_traitsIS12_E10value_typeET2_T3_PNS13_IS18_E10value_typeET4_jRbjT5_S1E_jjP12ihipStream_tbEUljE_ZNSN_ISO_Lb0ESQ_SR_ST_SU_SY_EESZ_S10_S11_S12_S16_S17_S18_S1B_S1C_jS1D_jS1E_S1E_jjS1G_bEUljE0_EEESZ_S10_S11_S18_S1C_S1E_T6_T7_T9_mT8_S1G_bDpT10_ENKUlT_T0_E_clISt17integral_constantIbLb0EES1T_IbLb1EEEEDaS1P_S1Q_EUlS1P_E_NS1_11comp_targetILNS1_3genE9ELNS1_11target_archE1100ELNS1_3gpuE3ELNS1_3repE0EEENS1_30default_config_static_selectorELNS0_4arch9wavefront6targetE0EEEvS12_.num_agpr, 0
	.set _ZN7rocprim17ROCPRIM_400000_NS6detail17trampoline_kernelINS0_13select_configILj256ELj13ELNS0_17block_load_methodE3ELS4_3ELS4_3ELNS0_20block_scan_algorithmE0ELj4294967295EEENS1_25partition_config_selectorILNS1_17partition_subalgoE4EjNS0_10empty_typeEbEEZZNS1_14partition_implILS8_4ELb0ES6_15HIP_vector_typeIjLj2EENS0_17counting_iteratorIjlEEPS9_SG_NS0_5tupleIJPjSI_NS0_16reverse_iteratorISI_EEEEENSH_IJSG_SG_SG_EEES9_SI_JZNS1_25segmented_radix_sort_implINS0_14default_configELb0EPKsPsPKlPlN2at6native12_GLOBAL__N_18offset_tEEE10hipError_tPvRmT1_PNSt15iterator_traitsIS12_E10value_typeET2_T3_PNS13_IS18_E10value_typeET4_jRbjT5_S1E_jjP12ihipStream_tbEUljE_ZNSN_ISO_Lb0ESQ_SR_ST_SU_SY_EESZ_S10_S11_S12_S16_S17_S18_S1B_S1C_jS1D_jS1E_S1E_jjS1G_bEUljE0_EEESZ_S10_S11_S18_S1C_S1E_T6_T7_T9_mT8_S1G_bDpT10_ENKUlT_T0_E_clISt17integral_constantIbLb0EES1T_IbLb1EEEEDaS1P_S1Q_EUlS1P_E_NS1_11comp_targetILNS1_3genE9ELNS1_11target_archE1100ELNS1_3gpuE3ELNS1_3repE0EEENS1_30default_config_static_selectorELNS0_4arch9wavefront6targetE0EEEvS12_.numbered_sgpr, 0
	.set _ZN7rocprim17ROCPRIM_400000_NS6detail17trampoline_kernelINS0_13select_configILj256ELj13ELNS0_17block_load_methodE3ELS4_3ELS4_3ELNS0_20block_scan_algorithmE0ELj4294967295EEENS1_25partition_config_selectorILNS1_17partition_subalgoE4EjNS0_10empty_typeEbEEZZNS1_14partition_implILS8_4ELb0ES6_15HIP_vector_typeIjLj2EENS0_17counting_iteratorIjlEEPS9_SG_NS0_5tupleIJPjSI_NS0_16reverse_iteratorISI_EEEEENSH_IJSG_SG_SG_EEES9_SI_JZNS1_25segmented_radix_sort_implINS0_14default_configELb0EPKsPsPKlPlN2at6native12_GLOBAL__N_18offset_tEEE10hipError_tPvRmT1_PNSt15iterator_traitsIS12_E10value_typeET2_T3_PNS13_IS18_E10value_typeET4_jRbjT5_S1E_jjP12ihipStream_tbEUljE_ZNSN_ISO_Lb0ESQ_SR_ST_SU_SY_EESZ_S10_S11_S12_S16_S17_S18_S1B_S1C_jS1D_jS1E_S1E_jjS1G_bEUljE0_EEESZ_S10_S11_S18_S1C_S1E_T6_T7_T9_mT8_S1G_bDpT10_ENKUlT_T0_E_clISt17integral_constantIbLb0EES1T_IbLb1EEEEDaS1P_S1Q_EUlS1P_E_NS1_11comp_targetILNS1_3genE9ELNS1_11target_archE1100ELNS1_3gpuE3ELNS1_3repE0EEENS1_30default_config_static_selectorELNS0_4arch9wavefront6targetE0EEEvS12_.num_named_barrier, 0
	.set _ZN7rocprim17ROCPRIM_400000_NS6detail17trampoline_kernelINS0_13select_configILj256ELj13ELNS0_17block_load_methodE3ELS4_3ELS4_3ELNS0_20block_scan_algorithmE0ELj4294967295EEENS1_25partition_config_selectorILNS1_17partition_subalgoE4EjNS0_10empty_typeEbEEZZNS1_14partition_implILS8_4ELb0ES6_15HIP_vector_typeIjLj2EENS0_17counting_iteratorIjlEEPS9_SG_NS0_5tupleIJPjSI_NS0_16reverse_iteratorISI_EEEEENSH_IJSG_SG_SG_EEES9_SI_JZNS1_25segmented_radix_sort_implINS0_14default_configELb0EPKsPsPKlPlN2at6native12_GLOBAL__N_18offset_tEEE10hipError_tPvRmT1_PNSt15iterator_traitsIS12_E10value_typeET2_T3_PNS13_IS18_E10value_typeET4_jRbjT5_S1E_jjP12ihipStream_tbEUljE_ZNSN_ISO_Lb0ESQ_SR_ST_SU_SY_EESZ_S10_S11_S12_S16_S17_S18_S1B_S1C_jS1D_jS1E_S1E_jjS1G_bEUljE0_EEESZ_S10_S11_S18_S1C_S1E_T6_T7_T9_mT8_S1G_bDpT10_ENKUlT_T0_E_clISt17integral_constantIbLb0EES1T_IbLb1EEEEDaS1P_S1Q_EUlS1P_E_NS1_11comp_targetILNS1_3genE9ELNS1_11target_archE1100ELNS1_3gpuE3ELNS1_3repE0EEENS1_30default_config_static_selectorELNS0_4arch9wavefront6targetE0EEEvS12_.private_seg_size, 0
	.set _ZN7rocprim17ROCPRIM_400000_NS6detail17trampoline_kernelINS0_13select_configILj256ELj13ELNS0_17block_load_methodE3ELS4_3ELS4_3ELNS0_20block_scan_algorithmE0ELj4294967295EEENS1_25partition_config_selectorILNS1_17partition_subalgoE4EjNS0_10empty_typeEbEEZZNS1_14partition_implILS8_4ELb0ES6_15HIP_vector_typeIjLj2EENS0_17counting_iteratorIjlEEPS9_SG_NS0_5tupleIJPjSI_NS0_16reverse_iteratorISI_EEEEENSH_IJSG_SG_SG_EEES9_SI_JZNS1_25segmented_radix_sort_implINS0_14default_configELb0EPKsPsPKlPlN2at6native12_GLOBAL__N_18offset_tEEE10hipError_tPvRmT1_PNSt15iterator_traitsIS12_E10value_typeET2_T3_PNS13_IS18_E10value_typeET4_jRbjT5_S1E_jjP12ihipStream_tbEUljE_ZNSN_ISO_Lb0ESQ_SR_ST_SU_SY_EESZ_S10_S11_S12_S16_S17_S18_S1B_S1C_jS1D_jS1E_S1E_jjS1G_bEUljE0_EEESZ_S10_S11_S18_S1C_S1E_T6_T7_T9_mT8_S1G_bDpT10_ENKUlT_T0_E_clISt17integral_constantIbLb0EES1T_IbLb1EEEEDaS1P_S1Q_EUlS1P_E_NS1_11comp_targetILNS1_3genE9ELNS1_11target_archE1100ELNS1_3gpuE3ELNS1_3repE0EEENS1_30default_config_static_selectorELNS0_4arch9wavefront6targetE0EEEvS12_.uses_vcc, 0
	.set _ZN7rocprim17ROCPRIM_400000_NS6detail17trampoline_kernelINS0_13select_configILj256ELj13ELNS0_17block_load_methodE3ELS4_3ELS4_3ELNS0_20block_scan_algorithmE0ELj4294967295EEENS1_25partition_config_selectorILNS1_17partition_subalgoE4EjNS0_10empty_typeEbEEZZNS1_14partition_implILS8_4ELb0ES6_15HIP_vector_typeIjLj2EENS0_17counting_iteratorIjlEEPS9_SG_NS0_5tupleIJPjSI_NS0_16reverse_iteratorISI_EEEEENSH_IJSG_SG_SG_EEES9_SI_JZNS1_25segmented_radix_sort_implINS0_14default_configELb0EPKsPsPKlPlN2at6native12_GLOBAL__N_18offset_tEEE10hipError_tPvRmT1_PNSt15iterator_traitsIS12_E10value_typeET2_T3_PNS13_IS18_E10value_typeET4_jRbjT5_S1E_jjP12ihipStream_tbEUljE_ZNSN_ISO_Lb0ESQ_SR_ST_SU_SY_EESZ_S10_S11_S12_S16_S17_S18_S1B_S1C_jS1D_jS1E_S1E_jjS1G_bEUljE0_EEESZ_S10_S11_S18_S1C_S1E_T6_T7_T9_mT8_S1G_bDpT10_ENKUlT_T0_E_clISt17integral_constantIbLb0EES1T_IbLb1EEEEDaS1P_S1Q_EUlS1P_E_NS1_11comp_targetILNS1_3genE9ELNS1_11target_archE1100ELNS1_3gpuE3ELNS1_3repE0EEENS1_30default_config_static_selectorELNS0_4arch9wavefront6targetE0EEEvS12_.uses_flat_scratch, 0
	.set _ZN7rocprim17ROCPRIM_400000_NS6detail17trampoline_kernelINS0_13select_configILj256ELj13ELNS0_17block_load_methodE3ELS4_3ELS4_3ELNS0_20block_scan_algorithmE0ELj4294967295EEENS1_25partition_config_selectorILNS1_17partition_subalgoE4EjNS0_10empty_typeEbEEZZNS1_14partition_implILS8_4ELb0ES6_15HIP_vector_typeIjLj2EENS0_17counting_iteratorIjlEEPS9_SG_NS0_5tupleIJPjSI_NS0_16reverse_iteratorISI_EEEEENSH_IJSG_SG_SG_EEES9_SI_JZNS1_25segmented_radix_sort_implINS0_14default_configELb0EPKsPsPKlPlN2at6native12_GLOBAL__N_18offset_tEEE10hipError_tPvRmT1_PNSt15iterator_traitsIS12_E10value_typeET2_T3_PNS13_IS18_E10value_typeET4_jRbjT5_S1E_jjP12ihipStream_tbEUljE_ZNSN_ISO_Lb0ESQ_SR_ST_SU_SY_EESZ_S10_S11_S12_S16_S17_S18_S1B_S1C_jS1D_jS1E_S1E_jjS1G_bEUljE0_EEESZ_S10_S11_S18_S1C_S1E_T6_T7_T9_mT8_S1G_bDpT10_ENKUlT_T0_E_clISt17integral_constantIbLb0EES1T_IbLb1EEEEDaS1P_S1Q_EUlS1P_E_NS1_11comp_targetILNS1_3genE9ELNS1_11target_archE1100ELNS1_3gpuE3ELNS1_3repE0EEENS1_30default_config_static_selectorELNS0_4arch9wavefront6targetE0EEEvS12_.has_dyn_sized_stack, 0
	.set _ZN7rocprim17ROCPRIM_400000_NS6detail17trampoline_kernelINS0_13select_configILj256ELj13ELNS0_17block_load_methodE3ELS4_3ELS4_3ELNS0_20block_scan_algorithmE0ELj4294967295EEENS1_25partition_config_selectorILNS1_17partition_subalgoE4EjNS0_10empty_typeEbEEZZNS1_14partition_implILS8_4ELb0ES6_15HIP_vector_typeIjLj2EENS0_17counting_iteratorIjlEEPS9_SG_NS0_5tupleIJPjSI_NS0_16reverse_iteratorISI_EEEEENSH_IJSG_SG_SG_EEES9_SI_JZNS1_25segmented_radix_sort_implINS0_14default_configELb0EPKsPsPKlPlN2at6native12_GLOBAL__N_18offset_tEEE10hipError_tPvRmT1_PNSt15iterator_traitsIS12_E10value_typeET2_T3_PNS13_IS18_E10value_typeET4_jRbjT5_S1E_jjP12ihipStream_tbEUljE_ZNSN_ISO_Lb0ESQ_SR_ST_SU_SY_EESZ_S10_S11_S12_S16_S17_S18_S1B_S1C_jS1D_jS1E_S1E_jjS1G_bEUljE0_EEESZ_S10_S11_S18_S1C_S1E_T6_T7_T9_mT8_S1G_bDpT10_ENKUlT_T0_E_clISt17integral_constantIbLb0EES1T_IbLb1EEEEDaS1P_S1Q_EUlS1P_E_NS1_11comp_targetILNS1_3genE9ELNS1_11target_archE1100ELNS1_3gpuE3ELNS1_3repE0EEENS1_30default_config_static_selectorELNS0_4arch9wavefront6targetE0EEEvS12_.has_recursion, 0
	.set _ZN7rocprim17ROCPRIM_400000_NS6detail17trampoline_kernelINS0_13select_configILj256ELj13ELNS0_17block_load_methodE3ELS4_3ELS4_3ELNS0_20block_scan_algorithmE0ELj4294967295EEENS1_25partition_config_selectorILNS1_17partition_subalgoE4EjNS0_10empty_typeEbEEZZNS1_14partition_implILS8_4ELb0ES6_15HIP_vector_typeIjLj2EENS0_17counting_iteratorIjlEEPS9_SG_NS0_5tupleIJPjSI_NS0_16reverse_iteratorISI_EEEEENSH_IJSG_SG_SG_EEES9_SI_JZNS1_25segmented_radix_sort_implINS0_14default_configELb0EPKsPsPKlPlN2at6native12_GLOBAL__N_18offset_tEEE10hipError_tPvRmT1_PNSt15iterator_traitsIS12_E10value_typeET2_T3_PNS13_IS18_E10value_typeET4_jRbjT5_S1E_jjP12ihipStream_tbEUljE_ZNSN_ISO_Lb0ESQ_SR_ST_SU_SY_EESZ_S10_S11_S12_S16_S17_S18_S1B_S1C_jS1D_jS1E_S1E_jjS1G_bEUljE0_EEESZ_S10_S11_S18_S1C_S1E_T6_T7_T9_mT8_S1G_bDpT10_ENKUlT_T0_E_clISt17integral_constantIbLb0EES1T_IbLb1EEEEDaS1P_S1Q_EUlS1P_E_NS1_11comp_targetILNS1_3genE9ELNS1_11target_archE1100ELNS1_3gpuE3ELNS1_3repE0EEENS1_30default_config_static_selectorELNS0_4arch9wavefront6targetE0EEEvS12_.has_indirect_call, 0
	.section	.AMDGPU.csdata,"",@progbits
; Kernel info:
; codeLenInByte = 0
; TotalNumSgprs: 0
; NumVgprs: 0
; ScratchSize: 0
; MemoryBound: 0
; FloatMode: 240
; IeeeMode: 1
; LDSByteSize: 0 bytes/workgroup (compile time only)
; SGPRBlocks: 0
; VGPRBlocks: 0
; NumSGPRsForWavesPerEU: 1
; NumVGPRsForWavesPerEU: 1
; NamedBarCnt: 0
; Occupancy: 16
; WaveLimiterHint : 0
; COMPUTE_PGM_RSRC2:SCRATCH_EN: 0
; COMPUTE_PGM_RSRC2:USER_SGPR: 2
; COMPUTE_PGM_RSRC2:TRAP_HANDLER: 0
; COMPUTE_PGM_RSRC2:TGID_X_EN: 1
; COMPUTE_PGM_RSRC2:TGID_Y_EN: 0
; COMPUTE_PGM_RSRC2:TGID_Z_EN: 0
; COMPUTE_PGM_RSRC2:TIDIG_COMP_CNT: 0
	.section	.text._ZN7rocprim17ROCPRIM_400000_NS6detail17trampoline_kernelINS0_13select_configILj256ELj13ELNS0_17block_load_methodE3ELS4_3ELS4_3ELNS0_20block_scan_algorithmE0ELj4294967295EEENS1_25partition_config_selectorILNS1_17partition_subalgoE4EjNS0_10empty_typeEbEEZZNS1_14partition_implILS8_4ELb0ES6_15HIP_vector_typeIjLj2EENS0_17counting_iteratorIjlEEPS9_SG_NS0_5tupleIJPjSI_NS0_16reverse_iteratorISI_EEEEENSH_IJSG_SG_SG_EEES9_SI_JZNS1_25segmented_radix_sort_implINS0_14default_configELb0EPKsPsPKlPlN2at6native12_GLOBAL__N_18offset_tEEE10hipError_tPvRmT1_PNSt15iterator_traitsIS12_E10value_typeET2_T3_PNS13_IS18_E10value_typeET4_jRbjT5_S1E_jjP12ihipStream_tbEUljE_ZNSN_ISO_Lb0ESQ_SR_ST_SU_SY_EESZ_S10_S11_S12_S16_S17_S18_S1B_S1C_jS1D_jS1E_S1E_jjS1G_bEUljE0_EEESZ_S10_S11_S18_S1C_S1E_T6_T7_T9_mT8_S1G_bDpT10_ENKUlT_T0_E_clISt17integral_constantIbLb0EES1T_IbLb1EEEEDaS1P_S1Q_EUlS1P_E_NS1_11comp_targetILNS1_3genE8ELNS1_11target_archE1030ELNS1_3gpuE2ELNS1_3repE0EEENS1_30default_config_static_selectorELNS0_4arch9wavefront6targetE0EEEvS12_,"axG",@progbits,_ZN7rocprim17ROCPRIM_400000_NS6detail17trampoline_kernelINS0_13select_configILj256ELj13ELNS0_17block_load_methodE3ELS4_3ELS4_3ELNS0_20block_scan_algorithmE0ELj4294967295EEENS1_25partition_config_selectorILNS1_17partition_subalgoE4EjNS0_10empty_typeEbEEZZNS1_14partition_implILS8_4ELb0ES6_15HIP_vector_typeIjLj2EENS0_17counting_iteratorIjlEEPS9_SG_NS0_5tupleIJPjSI_NS0_16reverse_iteratorISI_EEEEENSH_IJSG_SG_SG_EEES9_SI_JZNS1_25segmented_radix_sort_implINS0_14default_configELb0EPKsPsPKlPlN2at6native12_GLOBAL__N_18offset_tEEE10hipError_tPvRmT1_PNSt15iterator_traitsIS12_E10value_typeET2_T3_PNS13_IS18_E10value_typeET4_jRbjT5_S1E_jjP12ihipStream_tbEUljE_ZNSN_ISO_Lb0ESQ_SR_ST_SU_SY_EESZ_S10_S11_S12_S16_S17_S18_S1B_S1C_jS1D_jS1E_S1E_jjS1G_bEUljE0_EEESZ_S10_S11_S18_S1C_S1E_T6_T7_T9_mT8_S1G_bDpT10_ENKUlT_T0_E_clISt17integral_constantIbLb0EES1T_IbLb1EEEEDaS1P_S1Q_EUlS1P_E_NS1_11comp_targetILNS1_3genE8ELNS1_11target_archE1030ELNS1_3gpuE2ELNS1_3repE0EEENS1_30default_config_static_selectorELNS0_4arch9wavefront6targetE0EEEvS12_,comdat
	.globl	_ZN7rocprim17ROCPRIM_400000_NS6detail17trampoline_kernelINS0_13select_configILj256ELj13ELNS0_17block_load_methodE3ELS4_3ELS4_3ELNS0_20block_scan_algorithmE0ELj4294967295EEENS1_25partition_config_selectorILNS1_17partition_subalgoE4EjNS0_10empty_typeEbEEZZNS1_14partition_implILS8_4ELb0ES6_15HIP_vector_typeIjLj2EENS0_17counting_iteratorIjlEEPS9_SG_NS0_5tupleIJPjSI_NS0_16reverse_iteratorISI_EEEEENSH_IJSG_SG_SG_EEES9_SI_JZNS1_25segmented_radix_sort_implINS0_14default_configELb0EPKsPsPKlPlN2at6native12_GLOBAL__N_18offset_tEEE10hipError_tPvRmT1_PNSt15iterator_traitsIS12_E10value_typeET2_T3_PNS13_IS18_E10value_typeET4_jRbjT5_S1E_jjP12ihipStream_tbEUljE_ZNSN_ISO_Lb0ESQ_SR_ST_SU_SY_EESZ_S10_S11_S12_S16_S17_S18_S1B_S1C_jS1D_jS1E_S1E_jjS1G_bEUljE0_EEESZ_S10_S11_S18_S1C_S1E_T6_T7_T9_mT8_S1G_bDpT10_ENKUlT_T0_E_clISt17integral_constantIbLb0EES1T_IbLb1EEEEDaS1P_S1Q_EUlS1P_E_NS1_11comp_targetILNS1_3genE8ELNS1_11target_archE1030ELNS1_3gpuE2ELNS1_3repE0EEENS1_30default_config_static_selectorELNS0_4arch9wavefront6targetE0EEEvS12_ ; -- Begin function _ZN7rocprim17ROCPRIM_400000_NS6detail17trampoline_kernelINS0_13select_configILj256ELj13ELNS0_17block_load_methodE3ELS4_3ELS4_3ELNS0_20block_scan_algorithmE0ELj4294967295EEENS1_25partition_config_selectorILNS1_17partition_subalgoE4EjNS0_10empty_typeEbEEZZNS1_14partition_implILS8_4ELb0ES6_15HIP_vector_typeIjLj2EENS0_17counting_iteratorIjlEEPS9_SG_NS0_5tupleIJPjSI_NS0_16reverse_iteratorISI_EEEEENSH_IJSG_SG_SG_EEES9_SI_JZNS1_25segmented_radix_sort_implINS0_14default_configELb0EPKsPsPKlPlN2at6native12_GLOBAL__N_18offset_tEEE10hipError_tPvRmT1_PNSt15iterator_traitsIS12_E10value_typeET2_T3_PNS13_IS18_E10value_typeET4_jRbjT5_S1E_jjP12ihipStream_tbEUljE_ZNSN_ISO_Lb0ESQ_SR_ST_SU_SY_EESZ_S10_S11_S12_S16_S17_S18_S1B_S1C_jS1D_jS1E_S1E_jjS1G_bEUljE0_EEESZ_S10_S11_S18_S1C_S1E_T6_T7_T9_mT8_S1G_bDpT10_ENKUlT_T0_E_clISt17integral_constantIbLb0EES1T_IbLb1EEEEDaS1P_S1Q_EUlS1P_E_NS1_11comp_targetILNS1_3genE8ELNS1_11target_archE1030ELNS1_3gpuE2ELNS1_3repE0EEENS1_30default_config_static_selectorELNS0_4arch9wavefront6targetE0EEEvS12_
	.p2align	8
	.type	_ZN7rocprim17ROCPRIM_400000_NS6detail17trampoline_kernelINS0_13select_configILj256ELj13ELNS0_17block_load_methodE3ELS4_3ELS4_3ELNS0_20block_scan_algorithmE0ELj4294967295EEENS1_25partition_config_selectorILNS1_17partition_subalgoE4EjNS0_10empty_typeEbEEZZNS1_14partition_implILS8_4ELb0ES6_15HIP_vector_typeIjLj2EENS0_17counting_iteratorIjlEEPS9_SG_NS0_5tupleIJPjSI_NS0_16reverse_iteratorISI_EEEEENSH_IJSG_SG_SG_EEES9_SI_JZNS1_25segmented_radix_sort_implINS0_14default_configELb0EPKsPsPKlPlN2at6native12_GLOBAL__N_18offset_tEEE10hipError_tPvRmT1_PNSt15iterator_traitsIS12_E10value_typeET2_T3_PNS13_IS18_E10value_typeET4_jRbjT5_S1E_jjP12ihipStream_tbEUljE_ZNSN_ISO_Lb0ESQ_SR_ST_SU_SY_EESZ_S10_S11_S12_S16_S17_S18_S1B_S1C_jS1D_jS1E_S1E_jjS1G_bEUljE0_EEESZ_S10_S11_S18_S1C_S1E_T6_T7_T9_mT8_S1G_bDpT10_ENKUlT_T0_E_clISt17integral_constantIbLb0EES1T_IbLb1EEEEDaS1P_S1Q_EUlS1P_E_NS1_11comp_targetILNS1_3genE8ELNS1_11target_archE1030ELNS1_3gpuE2ELNS1_3repE0EEENS1_30default_config_static_selectorELNS0_4arch9wavefront6targetE0EEEvS12_,@function
_ZN7rocprim17ROCPRIM_400000_NS6detail17trampoline_kernelINS0_13select_configILj256ELj13ELNS0_17block_load_methodE3ELS4_3ELS4_3ELNS0_20block_scan_algorithmE0ELj4294967295EEENS1_25partition_config_selectorILNS1_17partition_subalgoE4EjNS0_10empty_typeEbEEZZNS1_14partition_implILS8_4ELb0ES6_15HIP_vector_typeIjLj2EENS0_17counting_iteratorIjlEEPS9_SG_NS0_5tupleIJPjSI_NS0_16reverse_iteratorISI_EEEEENSH_IJSG_SG_SG_EEES9_SI_JZNS1_25segmented_radix_sort_implINS0_14default_configELb0EPKsPsPKlPlN2at6native12_GLOBAL__N_18offset_tEEE10hipError_tPvRmT1_PNSt15iterator_traitsIS12_E10value_typeET2_T3_PNS13_IS18_E10value_typeET4_jRbjT5_S1E_jjP12ihipStream_tbEUljE_ZNSN_ISO_Lb0ESQ_SR_ST_SU_SY_EESZ_S10_S11_S12_S16_S17_S18_S1B_S1C_jS1D_jS1E_S1E_jjS1G_bEUljE0_EEESZ_S10_S11_S18_S1C_S1E_T6_T7_T9_mT8_S1G_bDpT10_ENKUlT_T0_E_clISt17integral_constantIbLb0EES1T_IbLb1EEEEDaS1P_S1Q_EUlS1P_E_NS1_11comp_targetILNS1_3genE8ELNS1_11target_archE1030ELNS1_3gpuE2ELNS1_3repE0EEENS1_30default_config_static_selectorELNS0_4arch9wavefront6targetE0EEEvS12_: ; @_ZN7rocprim17ROCPRIM_400000_NS6detail17trampoline_kernelINS0_13select_configILj256ELj13ELNS0_17block_load_methodE3ELS4_3ELS4_3ELNS0_20block_scan_algorithmE0ELj4294967295EEENS1_25partition_config_selectorILNS1_17partition_subalgoE4EjNS0_10empty_typeEbEEZZNS1_14partition_implILS8_4ELb0ES6_15HIP_vector_typeIjLj2EENS0_17counting_iteratorIjlEEPS9_SG_NS0_5tupleIJPjSI_NS0_16reverse_iteratorISI_EEEEENSH_IJSG_SG_SG_EEES9_SI_JZNS1_25segmented_radix_sort_implINS0_14default_configELb0EPKsPsPKlPlN2at6native12_GLOBAL__N_18offset_tEEE10hipError_tPvRmT1_PNSt15iterator_traitsIS12_E10value_typeET2_T3_PNS13_IS18_E10value_typeET4_jRbjT5_S1E_jjP12ihipStream_tbEUljE_ZNSN_ISO_Lb0ESQ_SR_ST_SU_SY_EESZ_S10_S11_S12_S16_S17_S18_S1B_S1C_jS1D_jS1E_S1E_jjS1G_bEUljE0_EEESZ_S10_S11_S18_S1C_S1E_T6_T7_T9_mT8_S1G_bDpT10_ENKUlT_T0_E_clISt17integral_constantIbLb0EES1T_IbLb1EEEEDaS1P_S1Q_EUlS1P_E_NS1_11comp_targetILNS1_3genE8ELNS1_11target_archE1030ELNS1_3gpuE2ELNS1_3repE0EEENS1_30default_config_static_selectorELNS0_4arch9wavefront6targetE0EEEvS12_
; %bb.0:
	.section	.rodata,"a",@progbits
	.p2align	6, 0x0
	.amdhsa_kernel _ZN7rocprim17ROCPRIM_400000_NS6detail17trampoline_kernelINS0_13select_configILj256ELj13ELNS0_17block_load_methodE3ELS4_3ELS4_3ELNS0_20block_scan_algorithmE0ELj4294967295EEENS1_25partition_config_selectorILNS1_17partition_subalgoE4EjNS0_10empty_typeEbEEZZNS1_14partition_implILS8_4ELb0ES6_15HIP_vector_typeIjLj2EENS0_17counting_iteratorIjlEEPS9_SG_NS0_5tupleIJPjSI_NS0_16reverse_iteratorISI_EEEEENSH_IJSG_SG_SG_EEES9_SI_JZNS1_25segmented_radix_sort_implINS0_14default_configELb0EPKsPsPKlPlN2at6native12_GLOBAL__N_18offset_tEEE10hipError_tPvRmT1_PNSt15iterator_traitsIS12_E10value_typeET2_T3_PNS13_IS18_E10value_typeET4_jRbjT5_S1E_jjP12ihipStream_tbEUljE_ZNSN_ISO_Lb0ESQ_SR_ST_SU_SY_EESZ_S10_S11_S12_S16_S17_S18_S1B_S1C_jS1D_jS1E_S1E_jjS1G_bEUljE0_EEESZ_S10_S11_S18_S1C_S1E_T6_T7_T9_mT8_S1G_bDpT10_ENKUlT_T0_E_clISt17integral_constantIbLb0EES1T_IbLb1EEEEDaS1P_S1Q_EUlS1P_E_NS1_11comp_targetILNS1_3genE8ELNS1_11target_archE1030ELNS1_3gpuE2ELNS1_3repE0EEENS1_30default_config_static_selectorELNS0_4arch9wavefront6targetE0EEEvS12_
		.amdhsa_group_segment_fixed_size 0
		.amdhsa_private_segment_fixed_size 0
		.amdhsa_kernarg_size 184
		.amdhsa_user_sgpr_count 2
		.amdhsa_user_sgpr_dispatch_ptr 0
		.amdhsa_user_sgpr_queue_ptr 0
		.amdhsa_user_sgpr_kernarg_segment_ptr 1
		.amdhsa_user_sgpr_dispatch_id 0
		.amdhsa_user_sgpr_kernarg_preload_length 0
		.amdhsa_user_sgpr_kernarg_preload_offset 0
		.amdhsa_user_sgpr_private_segment_size 0
		.amdhsa_wavefront_size32 1
		.amdhsa_uses_dynamic_stack 0
		.amdhsa_enable_private_segment 0
		.amdhsa_system_sgpr_workgroup_id_x 1
		.amdhsa_system_sgpr_workgroup_id_y 0
		.amdhsa_system_sgpr_workgroup_id_z 0
		.amdhsa_system_sgpr_workgroup_info 0
		.amdhsa_system_vgpr_workitem_id 0
		.amdhsa_next_free_vgpr 1
		.amdhsa_next_free_sgpr 1
		.amdhsa_named_barrier_count 0
		.amdhsa_reserve_vcc 0
		.amdhsa_float_round_mode_32 0
		.amdhsa_float_round_mode_16_64 0
		.amdhsa_float_denorm_mode_32 3
		.amdhsa_float_denorm_mode_16_64 3
		.amdhsa_fp16_overflow 0
		.amdhsa_memory_ordered 1
		.amdhsa_forward_progress 1
		.amdhsa_inst_pref_size 0
		.amdhsa_round_robin_scheduling 0
		.amdhsa_exception_fp_ieee_invalid_op 0
		.amdhsa_exception_fp_denorm_src 0
		.amdhsa_exception_fp_ieee_div_zero 0
		.amdhsa_exception_fp_ieee_overflow 0
		.amdhsa_exception_fp_ieee_underflow 0
		.amdhsa_exception_fp_ieee_inexact 0
		.amdhsa_exception_int_div_zero 0
	.end_amdhsa_kernel
	.section	.text._ZN7rocprim17ROCPRIM_400000_NS6detail17trampoline_kernelINS0_13select_configILj256ELj13ELNS0_17block_load_methodE3ELS4_3ELS4_3ELNS0_20block_scan_algorithmE0ELj4294967295EEENS1_25partition_config_selectorILNS1_17partition_subalgoE4EjNS0_10empty_typeEbEEZZNS1_14partition_implILS8_4ELb0ES6_15HIP_vector_typeIjLj2EENS0_17counting_iteratorIjlEEPS9_SG_NS0_5tupleIJPjSI_NS0_16reverse_iteratorISI_EEEEENSH_IJSG_SG_SG_EEES9_SI_JZNS1_25segmented_radix_sort_implINS0_14default_configELb0EPKsPsPKlPlN2at6native12_GLOBAL__N_18offset_tEEE10hipError_tPvRmT1_PNSt15iterator_traitsIS12_E10value_typeET2_T3_PNS13_IS18_E10value_typeET4_jRbjT5_S1E_jjP12ihipStream_tbEUljE_ZNSN_ISO_Lb0ESQ_SR_ST_SU_SY_EESZ_S10_S11_S12_S16_S17_S18_S1B_S1C_jS1D_jS1E_S1E_jjS1G_bEUljE0_EEESZ_S10_S11_S18_S1C_S1E_T6_T7_T9_mT8_S1G_bDpT10_ENKUlT_T0_E_clISt17integral_constantIbLb0EES1T_IbLb1EEEEDaS1P_S1Q_EUlS1P_E_NS1_11comp_targetILNS1_3genE8ELNS1_11target_archE1030ELNS1_3gpuE2ELNS1_3repE0EEENS1_30default_config_static_selectorELNS0_4arch9wavefront6targetE0EEEvS12_,"axG",@progbits,_ZN7rocprim17ROCPRIM_400000_NS6detail17trampoline_kernelINS0_13select_configILj256ELj13ELNS0_17block_load_methodE3ELS4_3ELS4_3ELNS0_20block_scan_algorithmE0ELj4294967295EEENS1_25partition_config_selectorILNS1_17partition_subalgoE4EjNS0_10empty_typeEbEEZZNS1_14partition_implILS8_4ELb0ES6_15HIP_vector_typeIjLj2EENS0_17counting_iteratorIjlEEPS9_SG_NS0_5tupleIJPjSI_NS0_16reverse_iteratorISI_EEEEENSH_IJSG_SG_SG_EEES9_SI_JZNS1_25segmented_radix_sort_implINS0_14default_configELb0EPKsPsPKlPlN2at6native12_GLOBAL__N_18offset_tEEE10hipError_tPvRmT1_PNSt15iterator_traitsIS12_E10value_typeET2_T3_PNS13_IS18_E10value_typeET4_jRbjT5_S1E_jjP12ihipStream_tbEUljE_ZNSN_ISO_Lb0ESQ_SR_ST_SU_SY_EESZ_S10_S11_S12_S16_S17_S18_S1B_S1C_jS1D_jS1E_S1E_jjS1G_bEUljE0_EEESZ_S10_S11_S18_S1C_S1E_T6_T7_T9_mT8_S1G_bDpT10_ENKUlT_T0_E_clISt17integral_constantIbLb0EES1T_IbLb1EEEEDaS1P_S1Q_EUlS1P_E_NS1_11comp_targetILNS1_3genE8ELNS1_11target_archE1030ELNS1_3gpuE2ELNS1_3repE0EEENS1_30default_config_static_selectorELNS0_4arch9wavefront6targetE0EEEvS12_,comdat
.Lfunc_end976:
	.size	_ZN7rocprim17ROCPRIM_400000_NS6detail17trampoline_kernelINS0_13select_configILj256ELj13ELNS0_17block_load_methodE3ELS4_3ELS4_3ELNS0_20block_scan_algorithmE0ELj4294967295EEENS1_25partition_config_selectorILNS1_17partition_subalgoE4EjNS0_10empty_typeEbEEZZNS1_14partition_implILS8_4ELb0ES6_15HIP_vector_typeIjLj2EENS0_17counting_iteratorIjlEEPS9_SG_NS0_5tupleIJPjSI_NS0_16reverse_iteratorISI_EEEEENSH_IJSG_SG_SG_EEES9_SI_JZNS1_25segmented_radix_sort_implINS0_14default_configELb0EPKsPsPKlPlN2at6native12_GLOBAL__N_18offset_tEEE10hipError_tPvRmT1_PNSt15iterator_traitsIS12_E10value_typeET2_T3_PNS13_IS18_E10value_typeET4_jRbjT5_S1E_jjP12ihipStream_tbEUljE_ZNSN_ISO_Lb0ESQ_SR_ST_SU_SY_EESZ_S10_S11_S12_S16_S17_S18_S1B_S1C_jS1D_jS1E_S1E_jjS1G_bEUljE0_EEESZ_S10_S11_S18_S1C_S1E_T6_T7_T9_mT8_S1G_bDpT10_ENKUlT_T0_E_clISt17integral_constantIbLb0EES1T_IbLb1EEEEDaS1P_S1Q_EUlS1P_E_NS1_11comp_targetILNS1_3genE8ELNS1_11target_archE1030ELNS1_3gpuE2ELNS1_3repE0EEENS1_30default_config_static_selectorELNS0_4arch9wavefront6targetE0EEEvS12_, .Lfunc_end976-_ZN7rocprim17ROCPRIM_400000_NS6detail17trampoline_kernelINS0_13select_configILj256ELj13ELNS0_17block_load_methodE3ELS4_3ELS4_3ELNS0_20block_scan_algorithmE0ELj4294967295EEENS1_25partition_config_selectorILNS1_17partition_subalgoE4EjNS0_10empty_typeEbEEZZNS1_14partition_implILS8_4ELb0ES6_15HIP_vector_typeIjLj2EENS0_17counting_iteratorIjlEEPS9_SG_NS0_5tupleIJPjSI_NS0_16reverse_iteratorISI_EEEEENSH_IJSG_SG_SG_EEES9_SI_JZNS1_25segmented_radix_sort_implINS0_14default_configELb0EPKsPsPKlPlN2at6native12_GLOBAL__N_18offset_tEEE10hipError_tPvRmT1_PNSt15iterator_traitsIS12_E10value_typeET2_T3_PNS13_IS18_E10value_typeET4_jRbjT5_S1E_jjP12ihipStream_tbEUljE_ZNSN_ISO_Lb0ESQ_SR_ST_SU_SY_EESZ_S10_S11_S12_S16_S17_S18_S1B_S1C_jS1D_jS1E_S1E_jjS1G_bEUljE0_EEESZ_S10_S11_S18_S1C_S1E_T6_T7_T9_mT8_S1G_bDpT10_ENKUlT_T0_E_clISt17integral_constantIbLb0EES1T_IbLb1EEEEDaS1P_S1Q_EUlS1P_E_NS1_11comp_targetILNS1_3genE8ELNS1_11target_archE1030ELNS1_3gpuE2ELNS1_3repE0EEENS1_30default_config_static_selectorELNS0_4arch9wavefront6targetE0EEEvS12_
                                        ; -- End function
	.set _ZN7rocprim17ROCPRIM_400000_NS6detail17trampoline_kernelINS0_13select_configILj256ELj13ELNS0_17block_load_methodE3ELS4_3ELS4_3ELNS0_20block_scan_algorithmE0ELj4294967295EEENS1_25partition_config_selectorILNS1_17partition_subalgoE4EjNS0_10empty_typeEbEEZZNS1_14partition_implILS8_4ELb0ES6_15HIP_vector_typeIjLj2EENS0_17counting_iteratorIjlEEPS9_SG_NS0_5tupleIJPjSI_NS0_16reverse_iteratorISI_EEEEENSH_IJSG_SG_SG_EEES9_SI_JZNS1_25segmented_radix_sort_implINS0_14default_configELb0EPKsPsPKlPlN2at6native12_GLOBAL__N_18offset_tEEE10hipError_tPvRmT1_PNSt15iterator_traitsIS12_E10value_typeET2_T3_PNS13_IS18_E10value_typeET4_jRbjT5_S1E_jjP12ihipStream_tbEUljE_ZNSN_ISO_Lb0ESQ_SR_ST_SU_SY_EESZ_S10_S11_S12_S16_S17_S18_S1B_S1C_jS1D_jS1E_S1E_jjS1G_bEUljE0_EEESZ_S10_S11_S18_S1C_S1E_T6_T7_T9_mT8_S1G_bDpT10_ENKUlT_T0_E_clISt17integral_constantIbLb0EES1T_IbLb1EEEEDaS1P_S1Q_EUlS1P_E_NS1_11comp_targetILNS1_3genE8ELNS1_11target_archE1030ELNS1_3gpuE2ELNS1_3repE0EEENS1_30default_config_static_selectorELNS0_4arch9wavefront6targetE0EEEvS12_.num_vgpr, 0
	.set _ZN7rocprim17ROCPRIM_400000_NS6detail17trampoline_kernelINS0_13select_configILj256ELj13ELNS0_17block_load_methodE3ELS4_3ELS4_3ELNS0_20block_scan_algorithmE0ELj4294967295EEENS1_25partition_config_selectorILNS1_17partition_subalgoE4EjNS0_10empty_typeEbEEZZNS1_14partition_implILS8_4ELb0ES6_15HIP_vector_typeIjLj2EENS0_17counting_iteratorIjlEEPS9_SG_NS0_5tupleIJPjSI_NS0_16reverse_iteratorISI_EEEEENSH_IJSG_SG_SG_EEES9_SI_JZNS1_25segmented_radix_sort_implINS0_14default_configELb0EPKsPsPKlPlN2at6native12_GLOBAL__N_18offset_tEEE10hipError_tPvRmT1_PNSt15iterator_traitsIS12_E10value_typeET2_T3_PNS13_IS18_E10value_typeET4_jRbjT5_S1E_jjP12ihipStream_tbEUljE_ZNSN_ISO_Lb0ESQ_SR_ST_SU_SY_EESZ_S10_S11_S12_S16_S17_S18_S1B_S1C_jS1D_jS1E_S1E_jjS1G_bEUljE0_EEESZ_S10_S11_S18_S1C_S1E_T6_T7_T9_mT8_S1G_bDpT10_ENKUlT_T0_E_clISt17integral_constantIbLb0EES1T_IbLb1EEEEDaS1P_S1Q_EUlS1P_E_NS1_11comp_targetILNS1_3genE8ELNS1_11target_archE1030ELNS1_3gpuE2ELNS1_3repE0EEENS1_30default_config_static_selectorELNS0_4arch9wavefront6targetE0EEEvS12_.num_agpr, 0
	.set _ZN7rocprim17ROCPRIM_400000_NS6detail17trampoline_kernelINS0_13select_configILj256ELj13ELNS0_17block_load_methodE3ELS4_3ELS4_3ELNS0_20block_scan_algorithmE0ELj4294967295EEENS1_25partition_config_selectorILNS1_17partition_subalgoE4EjNS0_10empty_typeEbEEZZNS1_14partition_implILS8_4ELb0ES6_15HIP_vector_typeIjLj2EENS0_17counting_iteratorIjlEEPS9_SG_NS0_5tupleIJPjSI_NS0_16reverse_iteratorISI_EEEEENSH_IJSG_SG_SG_EEES9_SI_JZNS1_25segmented_radix_sort_implINS0_14default_configELb0EPKsPsPKlPlN2at6native12_GLOBAL__N_18offset_tEEE10hipError_tPvRmT1_PNSt15iterator_traitsIS12_E10value_typeET2_T3_PNS13_IS18_E10value_typeET4_jRbjT5_S1E_jjP12ihipStream_tbEUljE_ZNSN_ISO_Lb0ESQ_SR_ST_SU_SY_EESZ_S10_S11_S12_S16_S17_S18_S1B_S1C_jS1D_jS1E_S1E_jjS1G_bEUljE0_EEESZ_S10_S11_S18_S1C_S1E_T6_T7_T9_mT8_S1G_bDpT10_ENKUlT_T0_E_clISt17integral_constantIbLb0EES1T_IbLb1EEEEDaS1P_S1Q_EUlS1P_E_NS1_11comp_targetILNS1_3genE8ELNS1_11target_archE1030ELNS1_3gpuE2ELNS1_3repE0EEENS1_30default_config_static_selectorELNS0_4arch9wavefront6targetE0EEEvS12_.numbered_sgpr, 0
	.set _ZN7rocprim17ROCPRIM_400000_NS6detail17trampoline_kernelINS0_13select_configILj256ELj13ELNS0_17block_load_methodE3ELS4_3ELS4_3ELNS0_20block_scan_algorithmE0ELj4294967295EEENS1_25partition_config_selectorILNS1_17partition_subalgoE4EjNS0_10empty_typeEbEEZZNS1_14partition_implILS8_4ELb0ES6_15HIP_vector_typeIjLj2EENS0_17counting_iteratorIjlEEPS9_SG_NS0_5tupleIJPjSI_NS0_16reverse_iteratorISI_EEEEENSH_IJSG_SG_SG_EEES9_SI_JZNS1_25segmented_radix_sort_implINS0_14default_configELb0EPKsPsPKlPlN2at6native12_GLOBAL__N_18offset_tEEE10hipError_tPvRmT1_PNSt15iterator_traitsIS12_E10value_typeET2_T3_PNS13_IS18_E10value_typeET4_jRbjT5_S1E_jjP12ihipStream_tbEUljE_ZNSN_ISO_Lb0ESQ_SR_ST_SU_SY_EESZ_S10_S11_S12_S16_S17_S18_S1B_S1C_jS1D_jS1E_S1E_jjS1G_bEUljE0_EEESZ_S10_S11_S18_S1C_S1E_T6_T7_T9_mT8_S1G_bDpT10_ENKUlT_T0_E_clISt17integral_constantIbLb0EES1T_IbLb1EEEEDaS1P_S1Q_EUlS1P_E_NS1_11comp_targetILNS1_3genE8ELNS1_11target_archE1030ELNS1_3gpuE2ELNS1_3repE0EEENS1_30default_config_static_selectorELNS0_4arch9wavefront6targetE0EEEvS12_.num_named_barrier, 0
	.set _ZN7rocprim17ROCPRIM_400000_NS6detail17trampoline_kernelINS0_13select_configILj256ELj13ELNS0_17block_load_methodE3ELS4_3ELS4_3ELNS0_20block_scan_algorithmE0ELj4294967295EEENS1_25partition_config_selectorILNS1_17partition_subalgoE4EjNS0_10empty_typeEbEEZZNS1_14partition_implILS8_4ELb0ES6_15HIP_vector_typeIjLj2EENS0_17counting_iteratorIjlEEPS9_SG_NS0_5tupleIJPjSI_NS0_16reverse_iteratorISI_EEEEENSH_IJSG_SG_SG_EEES9_SI_JZNS1_25segmented_radix_sort_implINS0_14default_configELb0EPKsPsPKlPlN2at6native12_GLOBAL__N_18offset_tEEE10hipError_tPvRmT1_PNSt15iterator_traitsIS12_E10value_typeET2_T3_PNS13_IS18_E10value_typeET4_jRbjT5_S1E_jjP12ihipStream_tbEUljE_ZNSN_ISO_Lb0ESQ_SR_ST_SU_SY_EESZ_S10_S11_S12_S16_S17_S18_S1B_S1C_jS1D_jS1E_S1E_jjS1G_bEUljE0_EEESZ_S10_S11_S18_S1C_S1E_T6_T7_T9_mT8_S1G_bDpT10_ENKUlT_T0_E_clISt17integral_constantIbLb0EES1T_IbLb1EEEEDaS1P_S1Q_EUlS1P_E_NS1_11comp_targetILNS1_3genE8ELNS1_11target_archE1030ELNS1_3gpuE2ELNS1_3repE0EEENS1_30default_config_static_selectorELNS0_4arch9wavefront6targetE0EEEvS12_.private_seg_size, 0
	.set _ZN7rocprim17ROCPRIM_400000_NS6detail17trampoline_kernelINS0_13select_configILj256ELj13ELNS0_17block_load_methodE3ELS4_3ELS4_3ELNS0_20block_scan_algorithmE0ELj4294967295EEENS1_25partition_config_selectorILNS1_17partition_subalgoE4EjNS0_10empty_typeEbEEZZNS1_14partition_implILS8_4ELb0ES6_15HIP_vector_typeIjLj2EENS0_17counting_iteratorIjlEEPS9_SG_NS0_5tupleIJPjSI_NS0_16reverse_iteratorISI_EEEEENSH_IJSG_SG_SG_EEES9_SI_JZNS1_25segmented_radix_sort_implINS0_14default_configELb0EPKsPsPKlPlN2at6native12_GLOBAL__N_18offset_tEEE10hipError_tPvRmT1_PNSt15iterator_traitsIS12_E10value_typeET2_T3_PNS13_IS18_E10value_typeET4_jRbjT5_S1E_jjP12ihipStream_tbEUljE_ZNSN_ISO_Lb0ESQ_SR_ST_SU_SY_EESZ_S10_S11_S12_S16_S17_S18_S1B_S1C_jS1D_jS1E_S1E_jjS1G_bEUljE0_EEESZ_S10_S11_S18_S1C_S1E_T6_T7_T9_mT8_S1G_bDpT10_ENKUlT_T0_E_clISt17integral_constantIbLb0EES1T_IbLb1EEEEDaS1P_S1Q_EUlS1P_E_NS1_11comp_targetILNS1_3genE8ELNS1_11target_archE1030ELNS1_3gpuE2ELNS1_3repE0EEENS1_30default_config_static_selectorELNS0_4arch9wavefront6targetE0EEEvS12_.uses_vcc, 0
	.set _ZN7rocprim17ROCPRIM_400000_NS6detail17trampoline_kernelINS0_13select_configILj256ELj13ELNS0_17block_load_methodE3ELS4_3ELS4_3ELNS0_20block_scan_algorithmE0ELj4294967295EEENS1_25partition_config_selectorILNS1_17partition_subalgoE4EjNS0_10empty_typeEbEEZZNS1_14partition_implILS8_4ELb0ES6_15HIP_vector_typeIjLj2EENS0_17counting_iteratorIjlEEPS9_SG_NS0_5tupleIJPjSI_NS0_16reverse_iteratorISI_EEEEENSH_IJSG_SG_SG_EEES9_SI_JZNS1_25segmented_radix_sort_implINS0_14default_configELb0EPKsPsPKlPlN2at6native12_GLOBAL__N_18offset_tEEE10hipError_tPvRmT1_PNSt15iterator_traitsIS12_E10value_typeET2_T3_PNS13_IS18_E10value_typeET4_jRbjT5_S1E_jjP12ihipStream_tbEUljE_ZNSN_ISO_Lb0ESQ_SR_ST_SU_SY_EESZ_S10_S11_S12_S16_S17_S18_S1B_S1C_jS1D_jS1E_S1E_jjS1G_bEUljE0_EEESZ_S10_S11_S18_S1C_S1E_T6_T7_T9_mT8_S1G_bDpT10_ENKUlT_T0_E_clISt17integral_constantIbLb0EES1T_IbLb1EEEEDaS1P_S1Q_EUlS1P_E_NS1_11comp_targetILNS1_3genE8ELNS1_11target_archE1030ELNS1_3gpuE2ELNS1_3repE0EEENS1_30default_config_static_selectorELNS0_4arch9wavefront6targetE0EEEvS12_.uses_flat_scratch, 0
	.set _ZN7rocprim17ROCPRIM_400000_NS6detail17trampoline_kernelINS0_13select_configILj256ELj13ELNS0_17block_load_methodE3ELS4_3ELS4_3ELNS0_20block_scan_algorithmE0ELj4294967295EEENS1_25partition_config_selectorILNS1_17partition_subalgoE4EjNS0_10empty_typeEbEEZZNS1_14partition_implILS8_4ELb0ES6_15HIP_vector_typeIjLj2EENS0_17counting_iteratorIjlEEPS9_SG_NS0_5tupleIJPjSI_NS0_16reverse_iteratorISI_EEEEENSH_IJSG_SG_SG_EEES9_SI_JZNS1_25segmented_radix_sort_implINS0_14default_configELb0EPKsPsPKlPlN2at6native12_GLOBAL__N_18offset_tEEE10hipError_tPvRmT1_PNSt15iterator_traitsIS12_E10value_typeET2_T3_PNS13_IS18_E10value_typeET4_jRbjT5_S1E_jjP12ihipStream_tbEUljE_ZNSN_ISO_Lb0ESQ_SR_ST_SU_SY_EESZ_S10_S11_S12_S16_S17_S18_S1B_S1C_jS1D_jS1E_S1E_jjS1G_bEUljE0_EEESZ_S10_S11_S18_S1C_S1E_T6_T7_T9_mT8_S1G_bDpT10_ENKUlT_T0_E_clISt17integral_constantIbLb0EES1T_IbLb1EEEEDaS1P_S1Q_EUlS1P_E_NS1_11comp_targetILNS1_3genE8ELNS1_11target_archE1030ELNS1_3gpuE2ELNS1_3repE0EEENS1_30default_config_static_selectorELNS0_4arch9wavefront6targetE0EEEvS12_.has_dyn_sized_stack, 0
	.set _ZN7rocprim17ROCPRIM_400000_NS6detail17trampoline_kernelINS0_13select_configILj256ELj13ELNS0_17block_load_methodE3ELS4_3ELS4_3ELNS0_20block_scan_algorithmE0ELj4294967295EEENS1_25partition_config_selectorILNS1_17partition_subalgoE4EjNS0_10empty_typeEbEEZZNS1_14partition_implILS8_4ELb0ES6_15HIP_vector_typeIjLj2EENS0_17counting_iteratorIjlEEPS9_SG_NS0_5tupleIJPjSI_NS0_16reverse_iteratorISI_EEEEENSH_IJSG_SG_SG_EEES9_SI_JZNS1_25segmented_radix_sort_implINS0_14default_configELb0EPKsPsPKlPlN2at6native12_GLOBAL__N_18offset_tEEE10hipError_tPvRmT1_PNSt15iterator_traitsIS12_E10value_typeET2_T3_PNS13_IS18_E10value_typeET4_jRbjT5_S1E_jjP12ihipStream_tbEUljE_ZNSN_ISO_Lb0ESQ_SR_ST_SU_SY_EESZ_S10_S11_S12_S16_S17_S18_S1B_S1C_jS1D_jS1E_S1E_jjS1G_bEUljE0_EEESZ_S10_S11_S18_S1C_S1E_T6_T7_T9_mT8_S1G_bDpT10_ENKUlT_T0_E_clISt17integral_constantIbLb0EES1T_IbLb1EEEEDaS1P_S1Q_EUlS1P_E_NS1_11comp_targetILNS1_3genE8ELNS1_11target_archE1030ELNS1_3gpuE2ELNS1_3repE0EEENS1_30default_config_static_selectorELNS0_4arch9wavefront6targetE0EEEvS12_.has_recursion, 0
	.set _ZN7rocprim17ROCPRIM_400000_NS6detail17trampoline_kernelINS0_13select_configILj256ELj13ELNS0_17block_load_methodE3ELS4_3ELS4_3ELNS0_20block_scan_algorithmE0ELj4294967295EEENS1_25partition_config_selectorILNS1_17partition_subalgoE4EjNS0_10empty_typeEbEEZZNS1_14partition_implILS8_4ELb0ES6_15HIP_vector_typeIjLj2EENS0_17counting_iteratorIjlEEPS9_SG_NS0_5tupleIJPjSI_NS0_16reverse_iteratorISI_EEEEENSH_IJSG_SG_SG_EEES9_SI_JZNS1_25segmented_radix_sort_implINS0_14default_configELb0EPKsPsPKlPlN2at6native12_GLOBAL__N_18offset_tEEE10hipError_tPvRmT1_PNSt15iterator_traitsIS12_E10value_typeET2_T3_PNS13_IS18_E10value_typeET4_jRbjT5_S1E_jjP12ihipStream_tbEUljE_ZNSN_ISO_Lb0ESQ_SR_ST_SU_SY_EESZ_S10_S11_S12_S16_S17_S18_S1B_S1C_jS1D_jS1E_S1E_jjS1G_bEUljE0_EEESZ_S10_S11_S18_S1C_S1E_T6_T7_T9_mT8_S1G_bDpT10_ENKUlT_T0_E_clISt17integral_constantIbLb0EES1T_IbLb1EEEEDaS1P_S1Q_EUlS1P_E_NS1_11comp_targetILNS1_3genE8ELNS1_11target_archE1030ELNS1_3gpuE2ELNS1_3repE0EEENS1_30default_config_static_selectorELNS0_4arch9wavefront6targetE0EEEvS12_.has_indirect_call, 0
	.section	.AMDGPU.csdata,"",@progbits
; Kernel info:
; codeLenInByte = 0
; TotalNumSgprs: 0
; NumVgprs: 0
; ScratchSize: 0
; MemoryBound: 0
; FloatMode: 240
; IeeeMode: 1
; LDSByteSize: 0 bytes/workgroup (compile time only)
; SGPRBlocks: 0
; VGPRBlocks: 0
; NumSGPRsForWavesPerEU: 1
; NumVGPRsForWavesPerEU: 1
; NamedBarCnt: 0
; Occupancy: 16
; WaveLimiterHint : 0
; COMPUTE_PGM_RSRC2:SCRATCH_EN: 0
; COMPUTE_PGM_RSRC2:USER_SGPR: 2
; COMPUTE_PGM_RSRC2:TRAP_HANDLER: 0
; COMPUTE_PGM_RSRC2:TGID_X_EN: 1
; COMPUTE_PGM_RSRC2:TGID_Y_EN: 0
; COMPUTE_PGM_RSRC2:TGID_Z_EN: 0
; COMPUTE_PGM_RSRC2:TIDIG_COMP_CNT: 0
	.section	.text._ZN7rocprim17ROCPRIM_400000_NS6detail17trampoline_kernelINS0_13select_configILj256ELj13ELNS0_17block_load_methodE3ELS4_3ELS4_3ELNS0_20block_scan_algorithmE0ELj4294967295EEENS1_25partition_config_selectorILNS1_17partition_subalgoE3EjNS0_10empty_typeEbEEZZNS1_14partition_implILS8_3ELb0ES6_jNS0_17counting_iteratorIjlEEPS9_SE_NS0_5tupleIJPjSE_EEENSF_IJSE_SE_EEES9_SG_JZNS1_25segmented_radix_sort_implINS0_14default_configELb0EPKsPsPKlPlN2at6native12_GLOBAL__N_18offset_tEEE10hipError_tPvRmT1_PNSt15iterator_traitsISY_E10value_typeET2_T3_PNSZ_IS14_E10value_typeET4_jRbjT5_S1A_jjP12ihipStream_tbEUljE_EEESV_SW_SX_S14_S18_S1A_T6_T7_T9_mT8_S1C_bDpT10_ENKUlT_T0_E_clISt17integral_constantIbLb0EES1P_EEDaS1K_S1L_EUlS1K_E_NS1_11comp_targetILNS1_3genE0ELNS1_11target_archE4294967295ELNS1_3gpuE0ELNS1_3repE0EEENS1_30default_config_static_selectorELNS0_4arch9wavefront6targetE0EEEvSY_,"axG",@progbits,_ZN7rocprim17ROCPRIM_400000_NS6detail17trampoline_kernelINS0_13select_configILj256ELj13ELNS0_17block_load_methodE3ELS4_3ELS4_3ELNS0_20block_scan_algorithmE0ELj4294967295EEENS1_25partition_config_selectorILNS1_17partition_subalgoE3EjNS0_10empty_typeEbEEZZNS1_14partition_implILS8_3ELb0ES6_jNS0_17counting_iteratorIjlEEPS9_SE_NS0_5tupleIJPjSE_EEENSF_IJSE_SE_EEES9_SG_JZNS1_25segmented_radix_sort_implINS0_14default_configELb0EPKsPsPKlPlN2at6native12_GLOBAL__N_18offset_tEEE10hipError_tPvRmT1_PNSt15iterator_traitsISY_E10value_typeET2_T3_PNSZ_IS14_E10value_typeET4_jRbjT5_S1A_jjP12ihipStream_tbEUljE_EEESV_SW_SX_S14_S18_S1A_T6_T7_T9_mT8_S1C_bDpT10_ENKUlT_T0_E_clISt17integral_constantIbLb0EES1P_EEDaS1K_S1L_EUlS1K_E_NS1_11comp_targetILNS1_3genE0ELNS1_11target_archE4294967295ELNS1_3gpuE0ELNS1_3repE0EEENS1_30default_config_static_selectorELNS0_4arch9wavefront6targetE0EEEvSY_,comdat
	.globl	_ZN7rocprim17ROCPRIM_400000_NS6detail17trampoline_kernelINS0_13select_configILj256ELj13ELNS0_17block_load_methodE3ELS4_3ELS4_3ELNS0_20block_scan_algorithmE0ELj4294967295EEENS1_25partition_config_selectorILNS1_17partition_subalgoE3EjNS0_10empty_typeEbEEZZNS1_14partition_implILS8_3ELb0ES6_jNS0_17counting_iteratorIjlEEPS9_SE_NS0_5tupleIJPjSE_EEENSF_IJSE_SE_EEES9_SG_JZNS1_25segmented_radix_sort_implINS0_14default_configELb0EPKsPsPKlPlN2at6native12_GLOBAL__N_18offset_tEEE10hipError_tPvRmT1_PNSt15iterator_traitsISY_E10value_typeET2_T3_PNSZ_IS14_E10value_typeET4_jRbjT5_S1A_jjP12ihipStream_tbEUljE_EEESV_SW_SX_S14_S18_S1A_T6_T7_T9_mT8_S1C_bDpT10_ENKUlT_T0_E_clISt17integral_constantIbLb0EES1P_EEDaS1K_S1L_EUlS1K_E_NS1_11comp_targetILNS1_3genE0ELNS1_11target_archE4294967295ELNS1_3gpuE0ELNS1_3repE0EEENS1_30default_config_static_selectorELNS0_4arch9wavefront6targetE0EEEvSY_ ; -- Begin function _ZN7rocprim17ROCPRIM_400000_NS6detail17trampoline_kernelINS0_13select_configILj256ELj13ELNS0_17block_load_methodE3ELS4_3ELS4_3ELNS0_20block_scan_algorithmE0ELj4294967295EEENS1_25partition_config_selectorILNS1_17partition_subalgoE3EjNS0_10empty_typeEbEEZZNS1_14partition_implILS8_3ELb0ES6_jNS0_17counting_iteratorIjlEEPS9_SE_NS0_5tupleIJPjSE_EEENSF_IJSE_SE_EEES9_SG_JZNS1_25segmented_radix_sort_implINS0_14default_configELb0EPKsPsPKlPlN2at6native12_GLOBAL__N_18offset_tEEE10hipError_tPvRmT1_PNSt15iterator_traitsISY_E10value_typeET2_T3_PNSZ_IS14_E10value_typeET4_jRbjT5_S1A_jjP12ihipStream_tbEUljE_EEESV_SW_SX_S14_S18_S1A_T6_T7_T9_mT8_S1C_bDpT10_ENKUlT_T0_E_clISt17integral_constantIbLb0EES1P_EEDaS1K_S1L_EUlS1K_E_NS1_11comp_targetILNS1_3genE0ELNS1_11target_archE4294967295ELNS1_3gpuE0ELNS1_3repE0EEENS1_30default_config_static_selectorELNS0_4arch9wavefront6targetE0EEEvSY_
	.p2align	8
	.type	_ZN7rocprim17ROCPRIM_400000_NS6detail17trampoline_kernelINS0_13select_configILj256ELj13ELNS0_17block_load_methodE3ELS4_3ELS4_3ELNS0_20block_scan_algorithmE0ELj4294967295EEENS1_25partition_config_selectorILNS1_17partition_subalgoE3EjNS0_10empty_typeEbEEZZNS1_14partition_implILS8_3ELb0ES6_jNS0_17counting_iteratorIjlEEPS9_SE_NS0_5tupleIJPjSE_EEENSF_IJSE_SE_EEES9_SG_JZNS1_25segmented_radix_sort_implINS0_14default_configELb0EPKsPsPKlPlN2at6native12_GLOBAL__N_18offset_tEEE10hipError_tPvRmT1_PNSt15iterator_traitsISY_E10value_typeET2_T3_PNSZ_IS14_E10value_typeET4_jRbjT5_S1A_jjP12ihipStream_tbEUljE_EEESV_SW_SX_S14_S18_S1A_T6_T7_T9_mT8_S1C_bDpT10_ENKUlT_T0_E_clISt17integral_constantIbLb0EES1P_EEDaS1K_S1L_EUlS1K_E_NS1_11comp_targetILNS1_3genE0ELNS1_11target_archE4294967295ELNS1_3gpuE0ELNS1_3repE0EEENS1_30default_config_static_selectorELNS0_4arch9wavefront6targetE0EEEvSY_,@function
_ZN7rocprim17ROCPRIM_400000_NS6detail17trampoline_kernelINS0_13select_configILj256ELj13ELNS0_17block_load_methodE3ELS4_3ELS4_3ELNS0_20block_scan_algorithmE0ELj4294967295EEENS1_25partition_config_selectorILNS1_17partition_subalgoE3EjNS0_10empty_typeEbEEZZNS1_14partition_implILS8_3ELb0ES6_jNS0_17counting_iteratorIjlEEPS9_SE_NS0_5tupleIJPjSE_EEENSF_IJSE_SE_EEES9_SG_JZNS1_25segmented_radix_sort_implINS0_14default_configELb0EPKsPsPKlPlN2at6native12_GLOBAL__N_18offset_tEEE10hipError_tPvRmT1_PNSt15iterator_traitsISY_E10value_typeET2_T3_PNSZ_IS14_E10value_typeET4_jRbjT5_S1A_jjP12ihipStream_tbEUljE_EEESV_SW_SX_S14_S18_S1A_T6_T7_T9_mT8_S1C_bDpT10_ENKUlT_T0_E_clISt17integral_constantIbLb0EES1P_EEDaS1K_S1L_EUlS1K_E_NS1_11comp_targetILNS1_3genE0ELNS1_11target_archE4294967295ELNS1_3gpuE0ELNS1_3repE0EEENS1_30default_config_static_selectorELNS0_4arch9wavefront6targetE0EEEvSY_: ; @_ZN7rocprim17ROCPRIM_400000_NS6detail17trampoline_kernelINS0_13select_configILj256ELj13ELNS0_17block_load_methodE3ELS4_3ELS4_3ELNS0_20block_scan_algorithmE0ELj4294967295EEENS1_25partition_config_selectorILNS1_17partition_subalgoE3EjNS0_10empty_typeEbEEZZNS1_14partition_implILS8_3ELb0ES6_jNS0_17counting_iteratorIjlEEPS9_SE_NS0_5tupleIJPjSE_EEENSF_IJSE_SE_EEES9_SG_JZNS1_25segmented_radix_sort_implINS0_14default_configELb0EPKsPsPKlPlN2at6native12_GLOBAL__N_18offset_tEEE10hipError_tPvRmT1_PNSt15iterator_traitsISY_E10value_typeET2_T3_PNSZ_IS14_E10value_typeET4_jRbjT5_S1A_jjP12ihipStream_tbEUljE_EEESV_SW_SX_S14_S18_S1A_T6_T7_T9_mT8_S1C_bDpT10_ENKUlT_T0_E_clISt17integral_constantIbLb0EES1P_EEDaS1K_S1L_EUlS1K_E_NS1_11comp_targetILNS1_3genE0ELNS1_11target_archE4294967295ELNS1_3gpuE0ELNS1_3repE0EEENS1_30default_config_static_selectorELNS0_4arch9wavefront6targetE0EEEvSY_
; %bb.0:
	s_clause 0x4
	s_load_b128 s[8:11], s[0:1], 0x48
	s_load_b32 s2, s[0:1], 0x70
	s_load_b64 s[12:13], s[0:1], 0x10
	s_load_b64 s[14:15], s[0:1], 0x58
	s_load_b32 s20, s[0:1], 0x8
	s_bfe_u32 s3, ttmp6, 0x4000c
	s_and_b32 s4, ttmp6, 15
	s_add_co_i32 s3, s3, 1
	s_getreg_b32 s5, hwreg(HW_REG_IB_STS2, 6, 4)
	s_mul_i32 s3, ttmp9, s3
	s_mov_b32 s17, 0
	s_add_co_i32 s16, s4, s3
	s_cmp_eq_u32 s5, 0
	s_clause 0x1
	s_load_b32 s3, s[0:1], 0x88
	s_load_b128 s[4:7], s[0:1], 0x78
	s_cselect_b32 s24, ttmp9, s16
	v_lshlrev_b32_e32 v19, 2, v0
	s_wait_kmcnt 0x0
	s_load_b64 s[18:19], s[10:11], 0x0
	s_mul_i32 s16, s2, 0xd00
	s_add_co_i32 s2, s2, -1
	s_add_co_i32 s21, s16, s12
	s_wait_xcnt 0x0
	s_add_nc_u64 s[10:11], s[12:13], s[16:17]
	s_sub_co_i32 s23, s14, s21
	v_cmp_gt_u64_e64 s11, s[14:15], s[10:11]
	s_addk_co_i32 s23, 0xd00
	s_cmp_eq_u32 s24, s2
	s_mul_i32 s10, s24, 0xd00
	s_cselect_b32 s22, -1, 0
	s_cmp_lg_u32 s24, s2
	s_mov_b32 s17, -1
	s_cselect_b32 s2, -1, 0
	s_add_co_i32 s16, s20, s10
	s_or_b32 s11, s2, s11
	s_add_co_i32 s16, s16, s12
	s_and_b32 vcc_lo, exec_lo, s11
	v_add_nc_u32_e32 v1, s16, v0
	s_cbranch_vccz .LBB977_2
; %bb.1:
	s_delay_alu instid0(VALU_DEP_1)
	v_add_nc_u32_e32 v2, 0x100, v1
	v_add_nc_u32_e32 v3, 0x200, v1
	;; [unrolled: 1-line block ×12, first 2 shown]
	ds_store_2addr_stride64_b32 v19, v1, v2 offset1:4
	ds_store_2addr_stride64_b32 v19, v3, v4 offset0:8 offset1:12
	ds_store_2addr_stride64_b32 v19, v5, v6 offset0:16 offset1:20
	;; [unrolled: 1-line block ×5, first 2 shown]
	ds_store_b32 v19, v13 offset:12288
	s_wait_dscnt 0x0
	s_barrier_signal -1
	s_mov_b32 s17, 0
	s_barrier_wait -1
.LBB977_2:
	v_cmp_gt_u32_e64 s2, s23, v0
	v_or_b32_e32 v40, 0x100, v0
	v_or_b32_e32 v38, 0x200, v0
	;; [unrolled: 1-line block ×12, first 2 shown]
	s_and_not1_b32 vcc_lo, exec_lo, s17
	s_cbranch_vccnz .LBB977_4
; %bb.3:
	v_dual_add_nc_u32 v2, s16, v40 :: v_dual_cndmask_b32 v1, 0, v1, s2
	v_cmp_gt_u32_e32 vcc_lo, s23, v40
	v_dual_add_nc_u32 v3, s16, v38 :: v_dual_add_nc_u32 v4, s16, v36
	v_dual_add_nc_u32 v7, s16, v30 :: v_dual_add_nc_u32 v8, s16, v28
	s_delay_alu instid0(VALU_DEP_4)
	v_cndmask_b32_e32 v2, 0, v2, vcc_lo
	v_cmp_gt_u32_e32 vcc_lo, s23, v38
	v_dual_add_nc_u32 v11, s16, v22 :: v_dual_add_nc_u32 v12, s16, v20
	v_cndmask_b32_e32 v3, 0, v3, vcc_lo
	v_cmp_gt_u32_e32 vcc_lo, s23, v36
	v_dual_cndmask_b32 v4, 0, v4 :: v_dual_add_nc_u32 v5, s16, v34
	v_cmp_gt_u32_e32 vcc_lo, s23, v34
	s_delay_alu instid0(VALU_DEP_2) | instskip(SKIP_1) | instid1(VALU_DEP_2)
	v_dual_cndmask_b32 v5, 0, v5 :: v_dual_add_nc_u32 v6, s16, v32
	v_cmp_gt_u32_e32 vcc_lo, s23, v32
	v_cndmask_b32_e32 v6, 0, v6, vcc_lo
	v_cmp_gt_u32_e32 vcc_lo, s23, v30
	v_cndmask_b32_e32 v7, 0, v7, vcc_lo
	v_cmp_gt_u32_e32 vcc_lo, s23, v28
	v_dual_cndmask_b32 v8, 0, v8 :: v_dual_add_nc_u32 v9, s16, v26
	v_cmp_gt_u32_e32 vcc_lo, s23, v26
	s_delay_alu instid0(VALU_DEP_2) | instskip(SKIP_1) | instid1(VALU_DEP_2)
	v_dual_cndmask_b32 v9, 0, v9 :: v_dual_add_nc_u32 v10, s16, v24
	v_cmp_gt_u32_e32 vcc_lo, s23, v24
	v_cndmask_b32_e32 v10, 0, v10, vcc_lo
	v_cmp_gt_u32_e32 vcc_lo, s23, v22
	v_cndmask_b32_e32 v11, 0, v11, vcc_lo
	v_cmp_gt_u32_e32 vcc_lo, s23, v20
	v_dual_cndmask_b32 v12, 0, v12 :: v_dual_add_nc_u32 v13, s16, v18
	v_cmp_gt_u32_e32 vcc_lo, s23, v18
	s_delay_alu instid0(VALU_DEP_2)
	v_cndmask_b32_e32 v13, 0, v13, vcc_lo
	ds_store_2addr_stride64_b32 v19, v1, v2 offset1:4
	ds_store_2addr_stride64_b32 v19, v3, v4 offset0:8 offset1:12
	ds_store_2addr_stride64_b32 v19, v5, v6 offset0:16 offset1:20
	ds_store_2addr_stride64_b32 v19, v7, v8 offset0:24 offset1:28
	ds_store_2addr_stride64_b32 v19, v9, v10 offset0:32 offset1:36
	ds_store_2addr_stride64_b32 v19, v11, v12 offset0:40 offset1:44
	ds_store_b32 v19, v13 offset:12288
	s_wait_dscnt 0x0
	s_barrier_signal -1
	s_barrier_wait -1
.LBB977_4:
	v_mul_u32_u24_e32 v23, 13, v0
	v_cndmask_b32_e64 v21, 0, 1, s11
	s_and_not1_b32 vcc_lo, exec_lo, s11
	s_delay_alu instid0(VALU_DEP_2)
	v_lshlrev_b32_e32 v2, 2, v23
	ds_load_2addr_b32 v[50:51], v2 offset0:2 offset1:3
	ds_load_2addr_b32 v[46:47], v2 offset0:6 offset1:7
	;; [unrolled: 1-line block ×3, first 2 shown]
	ds_load_2addr_b32 v[52:53], v2 offset1:1
	ds_load_2addr_b32 v[42:43], v2 offset0:10 offset1:11
	ds_load_b32 v1, v2 offset:48
	ds_load_2addr_b32 v[44:45], v2 offset0:8 offset1:9
	s_wait_dscnt 0x0
	s_barrier_signal -1
	s_barrier_wait -1
	s_cbranch_vccnz .LBB977_6
; %bb.5:
	v_dual_add_nc_u32 v2, s5, v51 :: v_dual_add_nc_u32 v3, s5, v53
	v_dual_add_nc_u32 v4, s5, v52 :: v_dual_add_nc_u32 v5, s5, v50
	;; [unrolled: 1-line block ×4, first 2 shown]
	s_delay_alu instid0(VALU_DEP_3) | instskip(NEXT) | instid1(VALU_DEP_4)
	v_mul_lo_u32 v5, v5, s4
	v_mul_lo_u32 v4, v4, s4
	;; [unrolled: 1-line block ×8, first 2 shown]
	v_dual_add_nc_u32 v10, s5, v48 :: v_dual_add_nc_u32 v11, s7, v48
	v_dual_add_nc_u32 v14, s7, v43 :: v_dual_add_nc_u32 v15, s5, v42
	;; [unrolled: 1-line block ×3, first 2 shown]
	s_delay_alu instid0(VALU_DEP_3)
	v_mul_lo_u32 v10, v10, s4
	v_dual_sub_nc_u32 v2, v2, v6 :: v_dual_sub_nc_u32 v3, v3, v7
	v_dual_sub_nc_u32 v4, v4, v8 :: v_dual_sub_nc_u32 v5, v5, v9
	v_dual_add_nc_u32 v6, s5, v49 :: v_dual_add_nc_u32 v7, s7, v49
	v_dual_add_nc_u32 v8, s5, v47 :: v_dual_add_nc_u32 v9, s7, v47
	v_mul_lo_u32 v11, v11, s6
	s_delay_alu instid0(VALU_DEP_3) | instskip(NEXT) | instid1(VALU_DEP_4)
	v_mul_lo_u32 v6, v6, s4
	v_mul_lo_u32 v7, v7, s6
	s_delay_alu instid0(VALU_DEP_4)
	v_mul_lo_u32 v8, v8, s4
	v_mul_lo_u32 v9, v9, s6
	v_cmp_lt_u32_e32 vcc_lo, s3, v2
	v_dual_add_nc_u32 v12, s5, v46 :: v_dual_add_nc_u32 v13, s5, v44
	v_mul_lo_u32 v14, v14, s6
	v_mul_lo_u32 v16, v16, s6
	v_cndmask_b32_e64 v2, 0, 1, vcc_lo
	v_cmp_lt_u32_e32 vcc_lo, s3, v3
	v_mul_lo_u32 v13, v13, s4
	v_dual_sub_nc_u32 v6, v6, v7 :: v_dual_add_nc_u32 v7, s7, v46
	v_dual_sub_nc_u32 v8, v8, v9 :: v_dual_sub_nc_u32 v9, v10, v11
	v_dual_add_nc_u32 v11, s5, v45 :: v_dual_add_nc_u32 v10, s5, v43
	v_cndmask_b32_e64 v3, 0, 1, vcc_lo
	s_delay_alu instid0(VALU_DEP_4)
	v_cmp_lt_u32_e32 vcc_lo, s3, v6
	v_mul_lo_u32 v12, v12, s4
	v_mul_lo_u32 v7, v7, s6
	;; [unrolled: 1-line block ×4, first 2 shown]
	v_cndmask_b32_e64 v6, 0, 1, vcc_lo
	v_cmp_lt_u32_e32 vcc_lo, s3, v8
	v_lshlrev_b16 v3, 8, v3
	v_add_nc_u32_e32 v25, s7, v42
	v_mul_lo_u32 v17, v17, s6
	v_lshlrev_b16 v6, 8, v6
	v_cndmask_b32_e64 v8, 0, 1, vcc_lo
	v_cmp_lt_u32_e32 vcc_lo, s3, v4
	v_dual_sub_nc_u32 v7, v12, v7 :: v_dual_sub_nc_u32 v10, v10, v14
	v_mul_lo_u32 v12, v15, s4
	v_mul_lo_u32 v15, v25, s6
	v_dual_add_nc_u32 v25, s7, v1 :: v_dual_lshrrev_b32 v3, 8, v3
	v_sub_nc_u32_e32 v11, v11, v16
	v_cndmask_b32_e64 v4, 0, 1, vcc_lo
	v_cmp_lt_u32_e32 vcc_lo, s3, v10
	v_dual_lshrrev_b32 v6, 8, v6 :: v_dual_add_nc_u32 v14, s5, v1
	v_mul_lo_u32 v16, v25, s6
	v_lshlrev_b16 v2, 8, v2
	v_cndmask_b32_e64 v10, 0, 1, vcc_lo
	v_cmp_lt_u32_e32 vcc_lo, s3, v11
	v_mul_lo_u32 v14, v14, s4
	v_dual_sub_nc_u32 v13, v13, v17 :: v_dual_sub_nc_u32 v12, v12, v15
	v_lshlrev_b16 v3, 8, v3
	v_cndmask_b32_e64 v11, 0, 1, vcc_lo
	v_cmp_lt_u32_e32 vcc_lo, s3, v5
	v_lshrrev_b32_e32 v2, 8, v2
	v_lshlrev_b16 v8, 8, v8
	v_or_b32_e32 v3, v4, v3
	v_lshlrev_b16 v4, 8, v10
	v_cndmask_b32_e64 v5, 0, 1, vcc_lo
	v_cmp_lt_u32_e32 vcc_lo, s3, v9
	v_lshlrev_b16 v10, 8, v11
	v_sub_nc_u32_e32 v11, v14, v16
	v_lshlrev_b16 v2, 8, v2
	v_lshrrev_b32_e32 v4, 8, v4
	v_cndmask_b32_e64 v9, 0, 1, vcc_lo
	v_cmp_lt_u32_e32 vcc_lo, s3, v7
	v_lshrrev_b32_e32 v10, 8, v10
	v_lshlrev_b16 v6, 8, v6
	v_or_b32_e32 v2, v5, v2
	v_lshlrev_b16 v4, 8, v4
	v_cndmask_b32_e64 v7, 0, 1, vcc_lo
	v_cmp_lt_u32_e32 vcc_lo, s3, v13
	v_lshlrev_b16 v10, 8, v10
	v_or_b32_e32 v5, v9, v6
	v_and_b32_e32 v3, 0xffff, v3
	v_dual_lshlrev_b32 v2, 16, v2 :: v_dual_bitop2_b32 v6, v7, v8 bitop3:0x54
	v_cndmask_b32_e64 v13, 0, 1, vcc_lo
	v_cmp_lt_u32_e32 vcc_lo, s3, v12
	s_delay_alu instid0(VALU_DEP_3) | instskip(SKIP_4) | instid1(VALU_DEP_4)
	v_lshlrev_b32_e32 v6, 16, v6
	v_and_b32_e32 v5, 0xffff, v5
	v_or_b32_e32 v35, v3, v2
	v_cndmask_b32_e64 v12, 0, 1, vcc_lo
	v_cmp_lt_u32_e32 vcc_lo, s3, v11
	v_or_b32_e32 v31, v5, v6
	s_delay_alu instid0(VALU_DEP_3) | instskip(SKIP_2) | instid1(VALU_DEP_3)
	v_or_b32_e32 v4, v12, v4
	v_or_b32_e32 v7, v13, v10
	v_cndmask_b32_e64 v25, 0, 1, vcc_lo
	v_lshlrev_b32_e32 v4, 16, v4
	s_delay_alu instid0(VALU_DEP_3) | instskip(NEXT) | instid1(VALU_DEP_1)
	v_and_b32_e32 v7, 0xffff, v7
	v_or_b32_e32 v27, v7, v4
	s_load_b64 s[20:21], s[0:1], 0x68
	s_cbranch_execz .LBB977_7
	s_branch .LBB977_34
.LBB977_6:
                                        ; implicit-def: $vgpr25
                                        ; implicit-def: $vgpr27
                                        ; implicit-def: $vgpr31
                                        ; implicit-def: $vgpr35
	s_load_b64 s[20:21], s[0:1], 0x68
.LBB977_7:
	v_dual_mov_b32 v3, 0 :: v_dual_mov_b32 v2, 0
	s_mov_b32 s2, exec_lo
	v_cmpx_gt_u32_e64 s23, v23
	s_cbranch_execz .LBB977_9
; %bb.8:
	v_dual_add_nc_u32 v2, s5, v52 :: v_dual_add_nc_u32 v4, s7, v52
	s_delay_alu instid0(VALU_DEP_1) | instskip(NEXT) | instid1(VALU_DEP_2)
	v_mul_lo_u32 v2, v2, s4
	v_mul_lo_u32 v4, v4, s6
	s_delay_alu instid0(VALU_DEP_1) | instskip(NEXT) | instid1(VALU_DEP_1)
	v_sub_nc_u32_e32 v2, v2, v4
	v_cmp_lt_u32_e32 vcc_lo, s3, v2
	v_cndmask_b32_e64 v2, 0, 1, vcc_lo
.LBB977_9:
	s_or_b32 exec_lo, exec_lo, s2
	v_add_nc_u32_e32 v4, 1, v23
	s_mov_b32 s2, exec_lo
	s_delay_alu instid0(VALU_DEP_1)
	v_cmpx_gt_u32_e64 s23, v4
	s_cbranch_execz .LBB977_11
; %bb.10:
	v_dual_add_nc_u32 v3, s5, v53 :: v_dual_add_nc_u32 v4, s7, v53
	s_delay_alu instid0(VALU_DEP_1) | instskip(NEXT) | instid1(VALU_DEP_2)
	v_mul_lo_u32 v3, v3, s4
	v_mul_lo_u32 v4, v4, s6
	s_delay_alu instid0(VALU_DEP_1) | instskip(NEXT) | instid1(VALU_DEP_1)
	v_sub_nc_u32_e32 v3, v3, v4
	v_cmp_lt_u32_e32 vcc_lo, s3, v3
	v_cndmask_b32_e64 v3, 0, 1, vcc_lo
.LBB977_11:
	s_or_b32 exec_lo, exec_lo, s2
	v_dual_mov_b32 v5, 0 :: v_dual_add_nc_u32 v4, 2, v23
	s_delay_alu instid0(VALU_DEP_1)
	v_cmp_gt_u32_e32 vcc_lo, s23, v4
	v_mov_b32_e32 v4, 0
	s_and_saveexec_b32 s2, vcc_lo
	s_cbranch_execz .LBB977_13
; %bb.12:
	v_dual_add_nc_u32 v4, s5, v50 :: v_dual_add_nc_u32 v6, s7, v50
	s_delay_alu instid0(VALU_DEP_1) | instskip(NEXT) | instid1(VALU_DEP_2)
	v_mul_lo_u32 v4, v4, s4
	v_mul_lo_u32 v6, v6, s6
	s_delay_alu instid0(VALU_DEP_1) | instskip(NEXT) | instid1(VALU_DEP_1)
	v_sub_nc_u32_e32 v4, v4, v6
	v_cmp_lt_u32_e32 vcc_lo, s3, v4
	v_cndmask_b32_e64 v4, 0, 1, vcc_lo
.LBB977_13:
	s_or_b32 exec_lo, exec_lo, s2
	v_add_nc_u32_e32 v6, 3, v23
	s_mov_b32 s2, exec_lo
	s_delay_alu instid0(VALU_DEP_1)
	v_cmpx_gt_u32_e64 s23, v6
	s_cbranch_execz .LBB977_15
; %bb.14:
	v_dual_add_nc_u32 v5, s5, v51 :: v_dual_add_nc_u32 v6, s7, v51
	s_delay_alu instid0(VALU_DEP_1) | instskip(NEXT) | instid1(VALU_DEP_2)
	v_mul_lo_u32 v5, v5, s4
	v_mul_lo_u32 v6, v6, s6
	s_delay_alu instid0(VALU_DEP_1) | instskip(NEXT) | instid1(VALU_DEP_1)
	v_sub_nc_u32_e32 v5, v5, v6
	v_cmp_lt_u32_e32 vcc_lo, s3, v5
	v_cndmask_b32_e64 v5, 0, 1, vcc_lo
.LBB977_15:
	s_or_b32 exec_lo, exec_lo, s2
	v_dual_mov_b32 v7, 0 :: v_dual_add_nc_u32 v6, 4, v23
	s_delay_alu instid0(VALU_DEP_1)
	v_cmp_gt_u32_e32 vcc_lo, s23, v6
	v_mov_b32_e32 v6, 0
	s_and_saveexec_b32 s2, vcc_lo
	;; [unrolled: 33-line block ×5, first 2 shown]
	s_cbranch_execz .LBB977_29
; %bb.28:
	v_dual_add_nc_u32 v12, s5, v42 :: v_dual_add_nc_u32 v14, s7, v42
	s_delay_alu instid0(VALU_DEP_1) | instskip(NEXT) | instid1(VALU_DEP_2)
	v_mul_lo_u32 v12, v12, s4
	v_mul_lo_u32 v14, v14, s6
	s_delay_alu instid0(VALU_DEP_1) | instskip(NEXT) | instid1(VALU_DEP_1)
	v_sub_nc_u32_e32 v12, v12, v14
	v_cmp_lt_u32_e32 vcc_lo, s3, v12
	v_cndmask_b32_e64 v12, 0, 1, vcc_lo
.LBB977_29:
	s_or_b32 exec_lo, exec_lo, s2
	v_add_nc_u32_e32 v14, 11, v23
	s_mov_b32 s2, exec_lo
	s_delay_alu instid0(VALU_DEP_1)
	v_cmpx_gt_u32_e64 s23, v14
	s_cbranch_execz .LBB977_31
; %bb.30:
	v_dual_add_nc_u32 v13, s5, v43 :: v_dual_add_nc_u32 v14, s7, v43
	s_delay_alu instid0(VALU_DEP_1) | instskip(NEXT) | instid1(VALU_DEP_2)
	v_mul_lo_u32 v13, v13, s4
	v_mul_lo_u32 v14, v14, s6
	s_delay_alu instid0(VALU_DEP_1) | instskip(NEXT) | instid1(VALU_DEP_1)
	v_sub_nc_u32_e32 v13, v13, v14
	v_cmp_lt_u32_e32 vcc_lo, s3, v13
	v_cndmask_b32_e64 v13, 0, 1, vcc_lo
.LBB977_31:
	s_or_b32 exec_lo, exec_lo, s2
	v_dual_mov_b32 v25, 0 :: v_dual_add_nc_u32 v14, 12, v23
	s_mov_b32 s2, exec_lo
	s_delay_alu instid0(VALU_DEP_1)
	v_cmpx_gt_u32_e64 s23, v14
	s_cbranch_execz .LBB977_33
; %bb.32:
	v_dual_add_nc_u32 v14, s7, v1 :: v_dual_add_nc_u32 v15, s5, v1
	s_delay_alu instid0(VALU_DEP_1) | instskip(NEXT) | instid1(VALU_DEP_2)
	v_mul_lo_u32 v14, v14, s6
	v_mul_lo_u32 v15, v15, s4
	s_delay_alu instid0(VALU_DEP_1) | instskip(NEXT) | instid1(VALU_DEP_1)
	v_sub_nc_u32_e32 v14, v15, v14
	v_cmp_lt_u32_e32 vcc_lo, s3, v14
	v_cndmask_b32_e64 v25, 0, 1, vcc_lo
.LBB977_33:
	s_or_b32 exec_lo, exec_lo, s2
	v_lshlrev_b16 v5, 8, v5
	v_lshlrev_b16 v7, 8, v7
	;; [unrolled: 1-line block ×5, first 2 shown]
	v_or_b32_e32 v4, v4, v5
	v_or_b32_e32 v5, v6, v7
	;; [unrolled: 1-line block ×3, first 2 shown]
	s_delay_alu instid0(VALU_DEP_4) | instskip(NEXT) | instid1(VALU_DEP_3)
	v_or_b32_e32 v7, v10, v11
	v_and_b32_e32 v5, 0xffff, v5
	s_delay_alu instid0(VALU_DEP_3) | instskip(SKIP_3) | instid1(VALU_DEP_4)
	v_dual_lshlrev_b32 v6, 16, v6 :: v_dual_bitop2_b32 v2, v2, v3 bitop3:0x54
	v_lshlrev_b32_e32 v4, 16, v4
	v_lshlrev_b16 v3, 8, v13
	v_and_b32_e32 v7, 0xffff, v7
	v_or_b32_e32 v31, v5, v6
	v_and_b32_e32 v2, 0xffff, v2
	s_delay_alu instid0(VALU_DEP_4) | instskip(NEXT) | instid1(VALU_DEP_1)
	v_or_b32_e32 v3, v12, v3
	v_dual_lshlrev_b32 v3, 16, v3 :: v_dual_bitop2_b32 v35, v2, v4 bitop3:0x54
	s_delay_alu instid0(VALU_DEP_1)
	v_or_b32_e32 v27, v7, v3
.LBB977_34:
	s_delay_alu instid0(VALU_DEP_2)
	v_bfe_u32 v39, v35, 16, 8
	v_bfe_u32 v41, v35, 8, 8
	v_and_b32_e32 v55, 0xff, v35
	v_and_b32_e32 v56, 0xff, v31
	v_mbcnt_lo_u32_b32 v62, -1, 0
	v_lshrrev_b32_e32 v37, 24, v35
	v_bfe_u32 v57, v31, 16, 8
	v_add3_u32 v2, v41, v55, v39
	v_bfe_u32 v58, v31, 8, 8
	v_and_b32_e32 v4, 15, v62
	s_load_b64 s[16:17], s[0:1], 0x28
	v_dual_lshrrev_b32 v33, 24, v31 :: v_dual_lshrrev_b32 v63, 5, v0
	v_add3_u32 v2, v2, v37, v56
	v_and_b32_e32 v59, 0xff, v27
	v_bfe_u32 v60, v27, 16, 8
	v_bfe_u32 v61, v27, 8, 8
	v_dual_lshrrev_b32 v29, 24, v27 :: v_dual_bitop2_b32 v5, 31, v0 bitop3:0x54
	v_add3_u32 v2, v2, v58, v57
	v_and_b32_e32 v3, 0xff, v25
	v_and_b32_e32 v6, 16, v62
	v_cmp_eq_u32_e64 s5, 0, v4
	v_cmp_lt_u32_e64 s4, 1, v4
	v_add3_u32 v2, v2, v33, v59
	v_cmp_lt_u32_e64 s3, 3, v4
	v_cmp_lt_u32_e64 s2, 7, v4
	s_wait_xcnt 0x0
	v_cmp_eq_u32_e64 s1, 0, v6
	v_cmp_eq_u32_e64 s0, v0, v5
	v_add3_u32 v2, v2, v61, v60
	s_cmp_lg_u32 s24, 0
	s_mov_b32 s6, -1
	s_delay_alu instid0(VALU_DEP_1)
	v_add3_u32 v64, v2, v29, v3
	s_cbranch_scc0 .LBB977_56
; %bb.35:
	s_delay_alu instid0(VALU_DEP_1) | instskip(NEXT) | instid1(VALU_DEP_1)
	v_mov_b32_dpp v2, v64 row_shr:1 row_mask:0xf bank_mask:0xf
	v_cndmask_b32_e64 v2, v2, 0, s5
	s_delay_alu instid0(VALU_DEP_1) | instskip(NEXT) | instid1(VALU_DEP_1)
	v_add_nc_u32_e32 v2, v2, v64
	v_mov_b32_dpp v3, v2 row_shr:2 row_mask:0xf bank_mask:0xf
	s_delay_alu instid0(VALU_DEP_1) | instskip(NEXT) | instid1(VALU_DEP_1)
	v_cndmask_b32_e64 v3, 0, v3, s4
	v_add_nc_u32_e32 v2, v2, v3
	s_delay_alu instid0(VALU_DEP_1) | instskip(NEXT) | instid1(VALU_DEP_1)
	v_mov_b32_dpp v3, v2 row_shr:4 row_mask:0xf bank_mask:0xf
	v_cndmask_b32_e64 v3, 0, v3, s3
	s_delay_alu instid0(VALU_DEP_1) | instskip(NEXT) | instid1(VALU_DEP_1)
	v_add_nc_u32_e32 v2, v2, v3
	v_mov_b32_dpp v3, v2 row_shr:8 row_mask:0xf bank_mask:0xf
	s_delay_alu instid0(VALU_DEP_1) | instskip(NEXT) | instid1(VALU_DEP_1)
	v_cndmask_b32_e64 v3, 0, v3, s2
	v_add_nc_u32_e32 v2, v2, v3
	ds_swizzle_b32 v3, v2 offset:swizzle(BROADCAST,32,15)
	s_wait_dscnt 0x0
	v_cndmask_b32_e64 v3, v3, 0, s1
	s_delay_alu instid0(VALU_DEP_1)
	v_add_nc_u32_e32 v2, v2, v3
	s_and_saveexec_b32 s6, s0
; %bb.36:
	v_lshlrev_b32_e32 v3, 2, v63
	ds_store_b32 v3, v2
; %bb.37:
	s_or_b32 exec_lo, exec_lo, s6
	s_delay_alu instid0(SALU_CYCLE_1)
	s_mov_b32 s6, exec_lo
	s_wait_dscnt 0x0
	s_barrier_signal -1
	s_barrier_wait -1
	v_cmpx_gt_u32_e32 8, v0
	s_cbranch_execz .LBB977_39
; %bb.38:
	ds_load_b32 v3, v19
	s_wait_dscnt 0x0
	v_mov_b32_dpp v5, v3 row_shr:1 row_mask:0xf bank_mask:0xf
	v_and_b32_e32 v4, 7, v62
	s_delay_alu instid0(VALU_DEP_1) | instskip(NEXT) | instid1(VALU_DEP_3)
	v_cmp_ne_u32_e32 vcc_lo, 0, v4
	v_cndmask_b32_e32 v5, 0, v5, vcc_lo
	v_cmp_lt_u32_e32 vcc_lo, 1, v4
	s_delay_alu instid0(VALU_DEP_2) | instskip(NEXT) | instid1(VALU_DEP_1)
	v_add_nc_u32_e32 v3, v5, v3
	v_mov_b32_dpp v5, v3 row_shr:2 row_mask:0xf bank_mask:0xf
	s_delay_alu instid0(VALU_DEP_1) | instskip(SKIP_1) | instid1(VALU_DEP_2)
	v_cndmask_b32_e32 v5, 0, v5, vcc_lo
	v_cmp_lt_u32_e32 vcc_lo, 3, v4
	v_add_nc_u32_e32 v3, v3, v5
	s_delay_alu instid0(VALU_DEP_1) | instskip(NEXT) | instid1(VALU_DEP_1)
	v_mov_b32_dpp v5, v3 row_shr:4 row_mask:0xf bank_mask:0xf
	v_cndmask_b32_e32 v4, 0, v5, vcc_lo
	s_delay_alu instid0(VALU_DEP_1)
	v_add_nc_u32_e32 v3, v3, v4
	ds_store_b32 v19, v3
.LBB977_39:
	s_or_b32 exec_lo, exec_lo, s6
	s_delay_alu instid0(SALU_CYCLE_1)
	s_mov_b32 s7, exec_lo
	v_cmp_gt_u32_e32 vcc_lo, 32, v0
	s_wait_dscnt 0x0
	s_barrier_signal -1
	s_barrier_wait -1
                                        ; implicit-def: $vgpr10
	v_cmpx_lt_u32_e32 31, v0
	s_cbranch_execz .LBB977_41
; %bb.40:
	v_lshl_add_u32 v3, v63, 2, -4
	ds_load_b32 v10, v3
	s_wait_dscnt 0x0
	v_add_nc_u32_e32 v2, v10, v2
.LBB977_41:
	s_or_b32 exec_lo, exec_lo, s7
	v_sub_co_u32 v3, s6, v62, 1
	s_delay_alu instid0(VALU_DEP_1) | instskip(NEXT) | instid1(VALU_DEP_1)
	v_cmp_gt_i32_e64 s7, 0, v3
	v_cndmask_b32_e64 v3, v3, v62, s7
	s_delay_alu instid0(VALU_DEP_1)
	v_lshlrev_b32_e32 v3, 2, v3
	ds_bpermute_b32 v11, v3, v2
	s_and_saveexec_b32 s7, vcc_lo
	s_cbranch_execz .LBB977_61
; %bb.42:
	v_mov_b32_e32 v9, 0
	ds_load_b32 v2, v9 offset:28
	s_and_saveexec_b32 s11, s6
	s_cbranch_execz .LBB977_44
; %bb.43:
	s_add_co_i32 s25, s24, 32
	s_delay_alu instid0(SALU_CYCLE_1)
	v_dual_mov_b32 v3, 1 :: v_dual_mov_b32 v4, s25
	s_wait_dscnt 0x0
	s_wait_kmcnt 0x0
	global_store_b64 v4, v[2:3], s[20:21] scale_offset scope:SCOPE_DEV
.LBB977_44:
	s_wait_xcnt 0x0
	s_or_b32 exec_lo, exec_lo, s11
	v_xad_u32 v4, v62, -1, s24
	s_mov_b32 s25, 0
	s_mov_b32 s11, exec_lo
	s_delay_alu instid0(VALU_DEP_1)
	v_add_nc_u32_e32 v8, 32, v4
	s_wait_kmcnt 0x0
	global_load_b64 v[6:7], v8, s[20:21] scale_offset scope:SCOPE_DEV
	s_wait_loadcnt 0x0
	v_and_b32_e32 v3, 0xff, v7
	s_wait_xcnt 0x0
	s_delay_alu instid0(VALU_DEP_1)
	v_cmpx_eq_u16_e32 0, v3
	s_cbranch_execz .LBB977_48
; %bb.45:
	v_lshl_add_u64 v[8:9], v[8:9], 3, s[20:21]
.LBB977_46:                             ; =>This Inner Loop Header: Depth=1
	global_load_b64 v[6:7], v[8:9], off scope:SCOPE_DEV
	s_wait_loadcnt 0x0
	v_and_b32_e32 v3, 0xff, v7
	s_delay_alu instid0(VALU_DEP_1)
	v_cmp_ne_u16_e32 vcc_lo, 0, v3
	s_or_b32 s25, vcc_lo, s25
	s_wait_xcnt 0x0
	s_and_not1_b32 exec_lo, exec_lo, s25
	s_cbranch_execnz .LBB977_46
; %bb.47:
	s_or_b32 exec_lo, exec_lo, s25
.LBB977_48:
	s_delay_alu instid0(SALU_CYCLE_1)
	s_or_b32 exec_lo, exec_lo, s11
	v_cmp_ne_u32_e32 vcc_lo, 31, v62
	v_lshlrev_b32_e64 v13, v62, -1
	v_dual_add_nc_u32 v15, 2, v62 :: v_dual_add_nc_u32 v17, 4, v62
	v_dual_add_nc_u32 v65, 8, v62 :: v_dual_add_nc_u32 v67, 16, v62
	v_add_co_ci_u32_e64 v3, null, 0, v62, vcc_lo
	v_lshl_or_b32 v66, v62, 2, 64
	s_delay_alu instid0(VALU_DEP_2)
	v_lshlrev_b32_e32 v12, 2, v3
	v_and_b32_e32 v3, 0xff, v7
	ds_bpermute_b32 v5, v12, v6
	v_cmp_eq_u16_e32 vcc_lo, 2, v3
	v_and_or_b32 v3, vcc_lo, v13, 0x80000000
	v_cmp_gt_u32_e32 vcc_lo, 30, v62
	s_delay_alu instid0(VALU_DEP_2) | instskip(SKIP_1) | instid1(VALU_DEP_2)
	v_ctz_i32_b32_e32 v3, v3
	v_cndmask_b32_e64 v8, 0, 2, vcc_lo
	v_cmp_lt_u32_e32 vcc_lo, v62, v3
	s_delay_alu instid0(VALU_DEP_2)
	v_add_lshl_u32 v14, v8, v62, 2
	s_wait_dscnt 0x0
	v_cndmask_b32_e32 v5, 0, v5, vcc_lo
	v_cmp_gt_u32_e32 vcc_lo, 28, v62
	v_cndmask_b32_e64 v8, 0, 4, vcc_lo
	v_cmp_le_u32_e32 vcc_lo, v15, v3
	s_delay_alu instid0(VALU_DEP_4) | instskip(NEXT) | instid1(VALU_DEP_3)
	v_add_nc_u32_e32 v5, v5, v6
	v_add_lshl_u32 v16, v8, v62, 2
	ds_bpermute_b32 v6, v14, v5
	s_wait_dscnt 0x0
	v_cndmask_b32_e32 v6, 0, v6, vcc_lo
	v_cmp_gt_u32_e32 vcc_lo, 24, v62
	v_cndmask_b32_e64 v8, 0, 8, vcc_lo
	v_cmp_le_u32_e32 vcc_lo, v17, v3
	s_delay_alu instid0(VALU_DEP_4) | instskip(NEXT) | instid1(VALU_DEP_3)
	v_add_nc_u32_e32 v5, v5, v6
	v_add_lshl_u32 v54, v8, v62, 2
	ds_bpermute_b32 v6, v16, v5
	s_wait_dscnt 0x0
	v_cndmask_b32_e32 v6, 0, v6, vcc_lo
	v_cmp_le_u32_e32 vcc_lo, v65, v3
	s_delay_alu instid0(VALU_DEP_2) | instskip(SKIP_4) | instid1(VALU_DEP_2)
	v_add_nc_u32_e32 v5, v5, v6
	ds_bpermute_b32 v6, v54, v5
	s_wait_dscnt 0x0
	v_cndmask_b32_e32 v6, 0, v6, vcc_lo
	v_cmp_le_u32_e32 vcc_lo, v67, v3
	v_add_nc_u32_e32 v5, v5, v6
	ds_bpermute_b32 v6, v66, v5
	s_wait_dscnt 0x0
	v_cndmask_b32_e32 v3, 0, v6, vcc_lo
	s_delay_alu instid0(VALU_DEP_1)
	v_dual_mov_b32 v5, 0 :: v_dual_add_nc_u32 v6, v5, v3
	s_branch .LBB977_52
.LBB977_49:                             ;   in Loop: Header=BB977_52 Depth=1
	s_or_b32 exec_lo, exec_lo, s25
.LBB977_50:                             ;   in Loop: Header=BB977_52 Depth=1
	s_delay_alu instid0(SALU_CYCLE_1)
	s_or_b32 exec_lo, exec_lo, s11
	v_and_b32_e32 v8, 0xff, v7
	ds_bpermute_b32 v9, v12, v6
	v_subrev_nc_u32_e32 v4, 32, v4
	s_mov_b32 s11, 0
	v_cmp_eq_u16_e32 vcc_lo, 2, v8
	v_and_or_b32 v8, vcc_lo, v13, 0x80000000
	s_delay_alu instid0(VALU_DEP_1) | instskip(NEXT) | instid1(VALU_DEP_1)
	v_ctz_i32_b32_e32 v8, v8
	v_cmp_lt_u32_e32 vcc_lo, v62, v8
	s_wait_dscnt 0x0
	v_cndmask_b32_e32 v9, 0, v9, vcc_lo
	v_cmp_le_u32_e32 vcc_lo, v15, v8
	s_delay_alu instid0(VALU_DEP_2) | instskip(SKIP_4) | instid1(VALU_DEP_2)
	v_add_nc_u32_e32 v6, v9, v6
	ds_bpermute_b32 v9, v14, v6
	s_wait_dscnt 0x0
	v_cndmask_b32_e32 v9, 0, v9, vcc_lo
	v_cmp_le_u32_e32 vcc_lo, v17, v8
	v_add_nc_u32_e32 v6, v6, v9
	ds_bpermute_b32 v9, v16, v6
	s_wait_dscnt 0x0
	v_cndmask_b32_e32 v9, 0, v9, vcc_lo
	v_cmp_le_u32_e32 vcc_lo, v65, v8
	s_delay_alu instid0(VALU_DEP_2) | instskip(SKIP_4) | instid1(VALU_DEP_2)
	v_add_nc_u32_e32 v6, v6, v9
	ds_bpermute_b32 v9, v54, v6
	s_wait_dscnt 0x0
	v_cndmask_b32_e32 v9, 0, v9, vcc_lo
	v_cmp_le_u32_e32 vcc_lo, v67, v8
	v_add_nc_u32_e32 v6, v6, v9
	ds_bpermute_b32 v9, v66, v6
	s_wait_dscnt 0x0
	v_cndmask_b32_e32 v8, 0, v9, vcc_lo
	s_delay_alu instid0(VALU_DEP_1)
	v_add3_u32 v6, v8, v3, v6
.LBB977_51:                             ;   in Loop: Header=BB977_52 Depth=1
	s_and_b32 vcc_lo, exec_lo, s11
	s_cbranch_vccnz .LBB977_57
.LBB977_52:                             ; =>This Loop Header: Depth=1
                                        ;     Child Loop BB977_55 Depth 2
	v_and_b32_e32 v3, 0xff, v7
	s_mov_b32 s11, -1
                                        ; implicit-def: $vgpr7
	s_delay_alu instid0(VALU_DEP_1)
	v_cmp_ne_u16_e32 vcc_lo, 2, v3
	v_mov_b32_e32 v3, v6
                                        ; implicit-def: $vgpr6
	s_cmp_lg_u32 vcc_lo, exec_lo
	s_cbranch_scc1 .LBB977_51
; %bb.53:                               ;   in Loop: Header=BB977_52 Depth=1
	global_load_b64 v[6:7], v4, s[20:21] scale_offset scope:SCOPE_DEV
	s_mov_b32 s11, exec_lo
	s_wait_loadcnt 0x0
	v_and_b32_e32 v8, 0xff, v7
	s_wait_xcnt 0x0
	s_delay_alu instid0(VALU_DEP_1)
	v_cmpx_eq_u16_e32 0, v8
	s_cbranch_execz .LBB977_50
; %bb.54:                               ;   in Loop: Header=BB977_52 Depth=1
	v_lshl_add_u64 v[8:9], v[4:5], 3, s[20:21]
	s_mov_b32 s25, 0
.LBB977_55:                             ;   Parent Loop BB977_52 Depth=1
                                        ; =>  This Inner Loop Header: Depth=2
	global_load_b64 v[6:7], v[8:9], off scope:SCOPE_DEV
	s_wait_loadcnt 0x0
	v_and_b32_e32 v68, 0xff, v7
	s_delay_alu instid0(VALU_DEP_1)
	v_cmp_ne_u16_e32 vcc_lo, 0, v68
	s_or_b32 s25, vcc_lo, s25
	s_wait_xcnt 0x0
	s_and_not1_b32 exec_lo, exec_lo, s25
	s_cbranch_execnz .LBB977_55
	s_branch .LBB977_49
.LBB977_56:
                                        ; implicit-def: $vgpr2_vgpr3_vgpr4_vgpr5_vgpr6_vgpr7_vgpr8_vgpr9_vgpr10_vgpr11_vgpr12_vgpr13_vgpr14_vgpr15_vgpr16_vgpr17
                                        ; implicit-def: $vgpr54
                                        ; implicit-def: $vgpr16
	s_and_b32 vcc_lo, exec_lo, s6
	s_cbranch_vccnz .LBB977_62
	s_branch .LBB977_71
.LBB977_57:
	s_and_saveexec_b32 s11, s6
	s_cbranch_execz .LBB977_59
; %bb.58:
	s_add_co_i32 s24, s24, 32
	v_dual_mov_b32 v5, 2 :: v_dual_add_nc_u32 v4, v3, v2
	v_dual_mov_b32 v6, s24 :: v_dual_mov_b32 v7, 0
	global_store_b64 v6, v[4:5], s[20:21] scale_offset scope:SCOPE_DEV
	ds_store_b64 v7, v[2:3] offset:13312
.LBB977_59:
	s_wait_xcnt 0x0
	s_or_b32 exec_lo, exec_lo, s11
	v_cmp_eq_u32_e32 vcc_lo, 0, v0
	s_and_b32 exec_lo, exec_lo, vcc_lo
; %bb.60:
	v_mov_b32_e32 v2, 0
	ds_store_b32 v2, v3 offset:28
.LBB977_61:
	s_or_b32 exec_lo, exec_lo, s7
	s_wait_dscnt 0x0
	v_dual_mov_b32 v12, 0 :: v_dual_cndmask_b32 v3, v11, v10, s6
	s_wait_storecnt 0x0
	s_barrier_signal -1
	s_barrier_wait -1
	ds_load_b32 v2, v12 offset:28
	v_cmp_ne_u32_e32 vcc_lo, 0, v0
	s_wait_dscnt 0x0
	s_barrier_signal -1
	s_barrier_wait -1
	v_cndmask_b32_e32 v3, 0, v3, vcc_lo
	ds_load_b64 v[16:17], v12 offset:13312
	v_add_nc_u32_e32 v2, v2, v3
	s_wait_dscnt 0x0
	s_delay_alu instid0(VALU_DEP_1) | instskip(NEXT) | instid1(VALU_DEP_1)
	v_dual_mov_b32 v54, v17 :: v_dual_add_nc_u32 v3, v2, v55
	v_add_nc_u32_e32 v4, v3, v41
	s_delay_alu instid0(VALU_DEP_1) | instskip(NEXT) | instid1(VALU_DEP_1)
	v_add_nc_u32_e32 v5, v4, v39
	v_add_nc_u32_e32 v6, v5, v37
	s_delay_alu instid0(VALU_DEP_1) | instskip(NEXT) | instid1(VALU_DEP_1)
	v_add_nc_u32_e32 v7, v6, v56
	;; [unrolled: 3-line block ×5, first 2 shown]
	v_add_nc_u32_e32 v14, v13, v29
	s_branch .LBB977_71
.LBB977_62:
	v_mov_b32_dpp v2, v64 row_shr:1 row_mask:0xf bank_mask:0xf
	s_delay_alu instid0(VALU_DEP_1) | instskip(NEXT) | instid1(VALU_DEP_1)
	v_cndmask_b32_e64 v2, v2, 0, s5
	v_add_nc_u32_e32 v2, v2, v64
	s_delay_alu instid0(VALU_DEP_1) | instskip(NEXT) | instid1(VALU_DEP_1)
	v_mov_b32_dpp v3, v2 row_shr:2 row_mask:0xf bank_mask:0xf
	v_cndmask_b32_e64 v3, 0, v3, s4
	s_delay_alu instid0(VALU_DEP_1) | instskip(NEXT) | instid1(VALU_DEP_1)
	v_add_nc_u32_e32 v2, v2, v3
	v_mov_b32_dpp v3, v2 row_shr:4 row_mask:0xf bank_mask:0xf
	s_delay_alu instid0(VALU_DEP_1) | instskip(NEXT) | instid1(VALU_DEP_1)
	v_cndmask_b32_e64 v3, 0, v3, s3
	v_add_nc_u32_e32 v2, v2, v3
	s_delay_alu instid0(VALU_DEP_1) | instskip(NEXT) | instid1(VALU_DEP_1)
	v_mov_b32_dpp v3, v2 row_shr:8 row_mask:0xf bank_mask:0xf
	v_cndmask_b32_e64 v3, 0, v3, s2
	s_delay_alu instid0(VALU_DEP_1) | instskip(SKIP_3) | instid1(VALU_DEP_1)
	v_add_nc_u32_e32 v2, v2, v3
	ds_swizzle_b32 v3, v2 offset:swizzle(BROADCAST,32,15)
	s_wait_dscnt 0x0
	v_cndmask_b32_e64 v3, v3, 0, s1
	v_add_nc_u32_e32 v2, v2, v3
	s_and_saveexec_b32 s1, s0
; %bb.63:
	v_lshlrev_b32_e32 v3, 2, v63
	ds_store_b32 v3, v2
; %bb.64:
	s_or_b32 exec_lo, exec_lo, s1
	s_delay_alu instid0(SALU_CYCLE_1)
	s_mov_b32 s0, exec_lo
	s_wait_dscnt 0x0
	s_barrier_signal -1
	s_barrier_wait -1
	v_cmpx_gt_u32_e32 8, v0
	s_cbranch_execz .LBB977_66
; %bb.65:
	ds_load_b32 v3, v19
	s_wait_dscnt 0x0
	v_mov_b32_dpp v5, v3 row_shr:1 row_mask:0xf bank_mask:0xf
	v_and_b32_e32 v4, 7, v62
	s_delay_alu instid0(VALU_DEP_1) | instskip(NEXT) | instid1(VALU_DEP_3)
	v_cmp_ne_u32_e32 vcc_lo, 0, v4
	v_cndmask_b32_e32 v5, 0, v5, vcc_lo
	v_cmp_lt_u32_e32 vcc_lo, 1, v4
	s_delay_alu instid0(VALU_DEP_2) | instskip(NEXT) | instid1(VALU_DEP_1)
	v_add_nc_u32_e32 v3, v5, v3
	v_mov_b32_dpp v5, v3 row_shr:2 row_mask:0xf bank_mask:0xf
	s_delay_alu instid0(VALU_DEP_1) | instskip(SKIP_1) | instid1(VALU_DEP_2)
	v_cndmask_b32_e32 v5, 0, v5, vcc_lo
	v_cmp_lt_u32_e32 vcc_lo, 3, v4
	v_add_nc_u32_e32 v3, v3, v5
	s_delay_alu instid0(VALU_DEP_1) | instskip(NEXT) | instid1(VALU_DEP_1)
	v_mov_b32_dpp v5, v3 row_shr:4 row_mask:0xf bank_mask:0xf
	v_cndmask_b32_e32 v4, 0, v5, vcc_lo
	s_delay_alu instid0(VALU_DEP_1)
	v_add_nc_u32_e32 v3, v3, v4
	ds_store_b32 v19, v3
.LBB977_66:
	s_or_b32 exec_lo, exec_lo, s0
	v_dual_mov_b32 v4, 0 :: v_dual_mov_b32 v3, 0
	s_mov_b32 s0, exec_lo
	s_wait_dscnt 0x0
	s_barrier_signal -1
	s_barrier_wait -1
	v_cmpx_lt_u32_e32 31, v0
; %bb.67:
	v_lshl_add_u32 v3, v63, 2, -4
	ds_load_b32 v3, v3
; %bb.68:
	s_or_b32 exec_lo, exec_lo, s0
	v_sub_co_u32 v5, vcc_lo, v62, 1
	ds_load_b32 v16, v4 offset:28
	v_cmp_gt_i32_e64 s0, 0, v5
	s_delay_alu instid0(VALU_DEP_1) | instskip(SKIP_3) | instid1(VALU_DEP_3)
	v_cndmask_b32_e64 v5, v5, v62, s0
	s_wait_dscnt 0x1
	v_add_nc_u32_e32 v2, v3, v2
	v_cmp_eq_u32_e64 s0, 0, v0
	v_lshlrev_b32_e32 v5, 2, v5
	ds_bpermute_b32 v2, v5, v2
	s_and_saveexec_b32 s1, s0
	s_cbranch_execz .LBB977_70
; %bb.69:
	v_dual_mov_b32 v4, 0 :: v_dual_mov_b32 v17, 2
	s_wait_dscnt 0x1
	s_wait_kmcnt 0x0
	global_store_b64 v4, v[16:17], s[20:21] offset:256 scope:SCOPE_DEV
.LBB977_70:
	s_wait_xcnt 0x0
	s_or_b32 exec_lo, exec_lo, s1
	s_wait_dscnt 0x0
	v_cndmask_b32_e32 v2, v2, v3, vcc_lo
	s_wait_storecnt 0x0
	s_barrier_signal -1
	s_barrier_wait -1
	s_delay_alu instid0(VALU_DEP_1) | instskip(NEXT) | instid1(VALU_DEP_1)
	v_cndmask_b32_e64 v2, v2, 0, s0
	v_dual_mov_b32 v54, 0 :: v_dual_add_nc_u32 v3, v2, v55
	s_delay_alu instid0(VALU_DEP_1) | instskip(NEXT) | instid1(VALU_DEP_1)
	v_add_nc_u32_e32 v4, v3, v41
	v_add_nc_u32_e32 v5, v4, v39
	s_delay_alu instid0(VALU_DEP_1) | instskip(NEXT) | instid1(VALU_DEP_1)
	v_add_nc_u32_e32 v6, v5, v37
	v_add_nc_u32_e32 v7, v6, v56
	;; [unrolled: 3-line block ×5, first 2 shown]
	s_delay_alu instid0(VALU_DEP_1)
	v_add_nc_u32_e32 v14, v13, v29
.LBB977_71:
	v_dual_lshrrev_b32 v55, 16, v35 :: v_dual_lshrrev_b32 v56, 8, v35
	v_dual_add_nc_u32 v23, v16, v23 :: v_dual_sub_nc_u32 v3, v3, v54
	v_dual_sub_nc_u32 v2, v2, v54 :: v_dual_bitop2_b32 v35, 1, v35 bitop3:0x40
	s_delay_alu instid0(VALU_DEP_3) | instskip(NEXT) | instid1(VALU_DEP_4)
	v_dual_sub_nc_u32 v4, v4, v54 :: v_dual_bitop2_b32 v56, 1, v56 bitop3:0x40
	v_and_b32_e32 v55, 1, v55
	s_delay_alu instid0(VALU_DEP_3) | instskip(NEXT) | instid1(VALU_DEP_4)
	v_dual_sub_nc_u32 v57, v23, v3 :: v_dual_sub_nc_u32 v58, v23, v2
	v_cmp_eq_u32_e32 vcc_lo, 1, v35
	s_delay_alu instid0(VALU_DEP_4) | instskip(NEXT) | instid1(VALU_DEP_3)
	v_dual_sub_nc_u32 v5, v5, v54 :: v_dual_sub_nc_u32 v59, v23, v4
	v_dual_add_nc_u32 v57, 1, v57 :: v_dual_sub_nc_u32 v6, v6, v54
	s_delay_alu instid0(VALU_DEP_4) | instskip(SKIP_1) | instid1(VALU_DEP_4)
	v_cndmask_b32_e32 v2, v58, v2, vcc_lo
	v_cmp_eq_u32_e32 vcc_lo, 1, v56
	v_dual_sub_nc_u32 v35, v23, v5 :: v_dual_add_nc_u32 v56, 2, v59
	v_dual_lshrrev_b32 v41, 8, v31 :: v_dual_lshrrev_b32 v39, 16, v31
	v_dual_cndmask_b32 v3, v57, v3, vcc_lo :: v_dual_bitop2_b32 v37, 1, v37 bitop3:0x40
	v_lshlrev_b32_e32 v2, 2, v2
	v_cmp_eq_u32_e32 vcc_lo, 1, v55
	v_add_nc_u32_e32 v35, 3, v35
	s_delay_alu instid0(VALU_DEP_4)
	v_lshlrev_b32_e32 v3, 2, v3
	v_dual_lshrrev_b32 v15, 16, v27 :: v_dual_lshrrev_b32 v17, 8, v27
	v_cndmask_b32_e32 v4, v56, v4, vcc_lo
	v_cmp_eq_u32_e32 vcc_lo, 1, v37
	ds_store_b32 v2, v52
	ds_store_b32 v3, v53
	v_dual_lshlrev_b32 v3, 2, v4 :: v_dual_cndmask_b32 v5, v35, v5, vcc_lo
	s_delay_alu instid0(VALU_DEP_1) | instskip(SKIP_1) | instid1(VALU_DEP_2)
	v_dual_sub_nc_u32 v2, v23, v6 :: v_dual_lshlrev_b32 v4, 2, v5
	v_dual_sub_nc_u32 v5, v7, v54 :: v_dual_bitop2_b32 v7, 1, v31 bitop3:0x40
	v_add_nc_u32_e32 v2, 4, v2
	ds_store_b32 v3, v50
	ds_store_b32 v4, v51
	v_sub_nc_u32_e32 v3, v23, v5
	v_cmp_eq_u32_e32 vcc_lo, 1, v7
	s_delay_alu instid0(VALU_DEP_2) | instskip(SKIP_1) | instid1(VALU_DEP_2)
	v_dual_sub_nc_u32 v4, v8, v54 :: v_dual_add_nc_u32 v3, 5, v3
	v_dual_cndmask_b32 v2, v2, v6, vcc_lo :: v_dual_bitop2_b32 v6, 1, v41 bitop3:0x40
	v_dual_sub_nc_u32 v7, v9, v54 :: v_dual_sub_nc_u32 v8, v23, v4
	s_delay_alu instid0(VALU_DEP_2) | instskip(NEXT) | instid1(VALU_DEP_2)
	v_cmp_eq_u32_e32 vcc_lo, 1, v6
	v_dual_lshlrev_b32 v2, 2, v2 :: v_dual_add_nc_u32 v8, 6, v8
	v_cndmask_b32_e32 v3, v3, v5, vcc_lo
	s_delay_alu instid0(VALU_DEP_4)
	v_sub_nc_u32_e32 v5, v23, v7
	v_and_b32_e32 v6, 1, v39
	ds_store_b32 v2, v48
	v_dual_lshlrev_b32 v3, 2, v3 :: v_dual_add_nc_u32 v5, 7, v5
	v_cmp_eq_u32_e32 vcc_lo, 1, v6
	v_dual_sub_nc_u32 v6, v11, v54 :: v_dual_bitop2_b32 v2, 1, v33 bitop3:0x40
	ds_store_b32 v3, v49
	v_cndmask_b32_e32 v4, v8, v4, vcc_lo
	v_cmp_eq_u32_e32 vcc_lo, 1, v2
	s_delay_alu instid0(VALU_DEP_2)
	v_dual_lshlrev_b32 v4, 2, v4 :: v_dual_cndmask_b32 v2, v5, v7, vcc_lo
	v_dual_sub_nc_u32 v5, v10, v54 :: v_dual_bitop2_b32 v7, 1, v17 bitop3:0x40
	v_sub_nc_u32_e32 v3, v23, v6
	ds_store_b32 v4, v46
	v_dual_sub_nc_u32 v4, v23, v5 :: v_dual_lshlrev_b32 v2, 2, v2
	v_add_nc_u32_e32 v3, 9, v3
	v_cmp_eq_u32_e32 vcc_lo, 1, v7
	s_delay_alu instid0(VALU_DEP_3) | instskip(SKIP_3) | instid1(VALU_DEP_2)
	v_dual_sub_nc_u32 v7, v12, v54 :: v_dual_add_nc_u32 v4, 8, v4
	ds_store_b32 v2, v47
	v_dual_cndmask_b32 v3, v3, v6, vcc_lo :: v_dual_bitop2_b32 v2, 1, v27 bitop3:0x40
	v_dual_sub_nc_u32 v6, v13, v54 :: v_dual_sub_nc_u32 v8, v14, v54
	v_cmp_eq_u32_e32 vcc_lo, 1, v2
	v_dual_cndmask_b32 v2, v4, v5 :: v_dual_sub_nc_u32 v5, v23, v7
	s_delay_alu instid0(VALU_DEP_3) | instskip(SKIP_1) | instid1(VALU_DEP_3)
	v_dual_sub_nc_u32 v4, v23, v6 :: v_dual_sub_nc_u32 v9, v23, v8
	v_and_b32_e32 v10, 1, v15
	v_dual_lshlrev_b32 v2, 2, v2 :: v_dual_bitop2_b32 v12, 1, v25 bitop3:0x40
	s_delay_alu instid0(VALU_DEP_3) | instskip(NEXT) | instid1(VALU_DEP_1)
	v_dual_add_nc_u32 v4, 11, v4 :: v_dual_bitop2_b32 v11, 1, v29 bitop3:0x40
	v_cmp_eq_u32_e32 vcc_lo, 1, v11
	s_delay_alu instid0(VALU_DEP_2) | instskip(SKIP_3) | instid1(VALU_DEP_1)
	v_cndmask_b32_e32 v4, v4, v6, vcc_lo
	v_cmp_eq_u32_e32 vcc_lo, 1, v10
	v_add_nc_u32_e32 v9, 12, v9
	v_add_nc_u32_e32 v5, 10, v5
	v_cndmask_b32_e32 v5, v5, v7, vcc_lo
	v_cmp_eq_u32_e32 vcc_lo, 1, v12
	s_delay_alu instid0(VALU_DEP_2) | instskip(SKIP_3) | instid1(VALU_DEP_3)
	v_dual_lshlrev_b32 v3, 2, v3 :: v_dual_lshlrev_b32 v5, 2, v5
	v_cndmask_b32_e32 v6, v9, v8, vcc_lo
	v_lshlrev_b32_e32 v4, 2, v4
	v_cmp_ne_u32_e32 vcc_lo, 1, v21
	v_lshlrev_b32_e32 v6, 2, v6
	ds_store_b32 v2, v44
	ds_store_b32 v3, v45
	;; [unrolled: 1-line block ×5, first 2 shown]
	s_wait_dscnt 0x0
	s_barrier_signal -1
	s_barrier_wait -1
	ds_load_2addr_stride64_b32 v[14:15], v19 offset1:4
	ds_load_2addr_stride64_b32 v[12:13], v19 offset0:8 offset1:12
	ds_load_2addr_stride64_b32 v[10:11], v19 offset0:16 offset1:20
	;; [unrolled: 1-line block ×5, first 2 shown]
	ds_load_b32 v46, v19 offset:12288
	v_mov_b32_e32 v1, 0
	s_and_b32 vcc_lo, exec_lo, vcc_lo
	s_delay_alu instid0(VALU_DEP_1) | instskip(SKIP_3) | instid1(VALU_DEP_3)
	v_dual_mov_b32 v29, v1 :: v_dual_mov_b32 v55, v1
	v_dual_mov_b32 v41, v1 :: v_dual_mov_b32 v39, v1
	v_dual_mov_b32 v37, v1 :: v_dual_mov_b32 v35, v1
	s_wait_kmcnt 0x0
	v_add_nc_u64_e32 v[2:3], s[18:19], v[54:55]
	v_dual_mov_b32 v33, v1 :: v_dual_mov_b32 v31, v1
	v_dual_mov_b32 v27, v1 :: v_dual_mov_b32 v25, v1
	;; [unrolled: 1-line block ×3, first 2 shown]
	v_mov_b32_e32 v19, v1
	s_cbranch_vccnz .LBB977_125
; %bb.72:
	v_mov_b32_e32 v17, v1
	s_mov_b32 s11, 0
	v_sub_nc_u64_e64 v[42:43], v[2:3], s[12:13]
	s_sub_nc_u64 s[0:1], s[14:15], s[10:11]
	s_delay_alu instid0(VALU_DEP_2) | instid1(SALU_CYCLE_1)
	v_add_nc_u64_e32 v[44:45], s[0:1], v[16:17]
	s_mov_b32 s0, exec_lo
	s_delay_alu instid0(VALU_DEP_1)
	v_add_nc_u64_e32 v[42:43], v[44:45], v[42:43]
                                        ; implicit-def: $vgpr44_vgpr45
	v_cmpx_ge_u32_e64 v0, v16
	s_xor_b32 s0, exec_lo, s0
; %bb.73:
	v_not_b32_e32 v44, v0
	s_delay_alu instid0(VALU_DEP_1) | instskip(NEXT) | instid1(VALU_DEP_1)
	v_ashrrev_i32_e32 v45, 31, v44
	v_add_nc_u64_e32 v[44:45], v[42:43], v[44:45]
; %bb.74:
	s_and_not1_saveexec_b32 s0, s0
; %bb.75:
	v_add_nc_u64_e32 v[44:45], v[2:3], v[0:1]
; %bb.76:
	s_or_b32 exec_lo, exec_lo, s0
	s_delay_alu instid0(VALU_DEP_1)
	v_lshl_add_u64 v[44:45], v[44:45], 2, s[16:17]
	s_mov_b32 s0, exec_lo
	s_wait_dscnt 0x6
	global_store_b32 v[44:45], v14, off
                                        ; implicit-def: $vgpr44_vgpr45
	s_wait_xcnt 0x0
	v_cmpx_ge_u32_e64 v40, v16
	s_xor_b32 s0, exec_lo, s0
; %bb.77:
	v_xor_b32_e32 v44, 0xfffffeff, v0
	s_delay_alu instid0(VALU_DEP_1) | instskip(NEXT) | instid1(VALU_DEP_1)
	v_ashrrev_i32_e32 v45, 31, v44
	v_add_nc_u64_e32 v[44:45], v[42:43], v[44:45]
; %bb.78:
	s_and_not1_saveexec_b32 s0, s0
; %bb.79:
	v_add_nc_u64_e32 v[44:45], v[2:3], v[40:41]
; %bb.80:
	s_or_b32 exec_lo, exec_lo, s0
	s_delay_alu instid0(VALU_DEP_1)
	v_lshl_add_u64 v[44:45], v[44:45], 2, s[16:17]
	s_mov_b32 s0, exec_lo
	global_store_b32 v[44:45], v15, off
                                        ; implicit-def: $vgpr44_vgpr45
	s_wait_xcnt 0x0
	v_cmpx_ge_u32_e64 v38, v16
	s_xor_b32 s0, exec_lo, s0
; %bb.81:
	v_xor_b32_e32 v44, 0xfffffdff, v0
	s_delay_alu instid0(VALU_DEP_1) | instskip(NEXT) | instid1(VALU_DEP_1)
	v_ashrrev_i32_e32 v45, 31, v44
	v_add_nc_u64_e32 v[44:45], v[42:43], v[44:45]
; %bb.82:
	s_and_not1_saveexec_b32 s0, s0
; %bb.83:
	v_add_nc_u64_e32 v[44:45], v[2:3], v[38:39]
; %bb.84:
	s_or_b32 exec_lo, exec_lo, s0
	s_delay_alu instid0(VALU_DEP_1)
	v_lshl_add_u64 v[44:45], v[44:45], 2, s[16:17]
	s_mov_b32 s0, exec_lo
	s_wait_dscnt 0x5
	global_store_b32 v[44:45], v12, off
                                        ; implicit-def: $vgpr44_vgpr45
	s_wait_xcnt 0x0
	v_cmpx_ge_u32_e64 v36, v16
	s_xor_b32 s0, exec_lo, s0
; %bb.85:
	v_xor_b32_e32 v44, 0xfffffcff, v0
	s_delay_alu instid0(VALU_DEP_1) | instskip(NEXT) | instid1(VALU_DEP_1)
	v_ashrrev_i32_e32 v45, 31, v44
	v_add_nc_u64_e32 v[44:45], v[42:43], v[44:45]
; %bb.86:
	s_and_not1_saveexec_b32 s0, s0
; %bb.87:
	v_add_nc_u64_e32 v[44:45], v[2:3], v[36:37]
; %bb.88:
	s_or_b32 exec_lo, exec_lo, s0
	s_delay_alu instid0(VALU_DEP_1)
	v_lshl_add_u64 v[44:45], v[44:45], 2, s[16:17]
	s_mov_b32 s0, exec_lo
	global_store_b32 v[44:45], v13, off
                                        ; implicit-def: $vgpr44_vgpr45
	s_wait_xcnt 0x0
	v_cmpx_ge_u32_e64 v34, v16
	s_xor_b32 s0, exec_lo, s0
; %bb.89:
	v_xor_b32_e32 v44, 0xfffffbff, v0
	;; [unrolled: 39-line block ×6, first 2 shown]
	s_delay_alu instid0(VALU_DEP_1) | instskip(NEXT) | instid1(VALU_DEP_1)
	v_ashrrev_i32_e32 v45, 31, v44
	v_add_nc_u64_e32 v[44:45], v[42:43], v[44:45]
; %bb.122:
	s_and_not1_saveexec_b32 s0, s0
; %bb.123:
	v_add_nc_u64_e32 v[44:45], v[2:3], v[18:19]
; %bb.124:
	s_or_b32 exec_lo, exec_lo, s0
	s_mov_b32 s0, -1
	s_branch .LBB977_205
.LBB977_125:
	s_mov_b32 s0, 0
                                        ; implicit-def: $vgpr44_vgpr45
	s_cbranch_execz .LBB977_205
; %bb.126:
	s_mov_b32 s11, 0
	v_mov_b32_e32 v17, 0
	s_add_nc_u64 s[2:3], s[12:13], s[10:11]
	s_mov_b32 s1, exec_lo
	s_sub_nc_u64 s[2:3], s[14:15], s[2:3]
	s_delay_alu instid0(VALU_DEP_1) | instid1(SALU_CYCLE_1)
	v_add_nc_u64_e32 v[42:43], s[2:3], v[16:17]
	s_delay_alu instid0(VALU_DEP_1)
	v_add_nc_u64_e32 v[42:43], v[42:43], v[2:3]
	v_cmpx_gt_u32_e64 s23, v0
	s_cbranch_execz .LBB977_162
; %bb.127:
	s_mov_b32 s2, exec_lo
                                        ; implicit-def: $vgpr44_vgpr45
	v_cmpx_ge_u32_e64 v0, v16
	s_xor_b32 s2, exec_lo, s2
; %bb.128:
	v_not_b32_e32 v44, v0
	s_delay_alu instid0(VALU_DEP_1) | instskip(NEXT) | instid1(VALU_DEP_1)
	v_ashrrev_i32_e32 v45, 31, v44
	v_add_nc_u64_e32 v[44:45], v[42:43], v[44:45]
; %bb.129:
	s_and_not1_saveexec_b32 s2, s2
; %bb.130:
	v_add_nc_u64_e32 v[44:45], v[2:3], v[0:1]
; %bb.131:
	s_or_b32 exec_lo, exec_lo, s2
	s_delay_alu instid0(VALU_DEP_1) | instskip(SKIP_4) | instid1(SALU_CYCLE_1)
	v_lshl_add_u64 v[44:45], v[44:45], 2, s[16:17]
	s_wait_dscnt 0x6
	global_store_b32 v[44:45], v14, off
	s_wait_xcnt 0x0
	s_or_b32 exec_lo, exec_lo, s1
	s_mov_b32 s1, exec_lo
	v_cmpx_gt_u32_e64 s23, v40
	s_cbranch_execnz .LBB977_163
.LBB977_132:
	s_or_b32 exec_lo, exec_lo, s1
	s_delay_alu instid0(SALU_CYCLE_1)
	s_mov_b32 s1, exec_lo
	v_cmpx_gt_u32_e64 s23, v38
	s_cbranch_execz .LBB977_168
.LBB977_133:
	s_mov_b32 s2, exec_lo
                                        ; implicit-def: $vgpr14_vgpr15
	v_cmpx_ge_u32_e64 v38, v16
	s_xor_b32 s2, exec_lo, s2
	s_cbranch_execz .LBB977_135
; %bb.134:
	s_wait_dscnt 0x6
	v_xor_b32_e32 v14, 0xfffffdff, v0
                                        ; implicit-def: $vgpr38_vgpr39
	s_delay_alu instid0(VALU_DEP_1) | instskip(NEXT) | instid1(VALU_DEP_1)
	v_ashrrev_i32_e32 v15, 31, v14
	v_add_nc_u64_e32 v[14:15], v[42:43], v[14:15]
.LBB977_135:
	s_and_not1_saveexec_b32 s2, s2
	s_cbranch_execz .LBB977_137
; %bb.136:
	s_wait_dscnt 0x6
	v_add_nc_u64_e32 v[14:15], v[2:3], v[38:39]
.LBB977_137:
	s_or_b32 exec_lo, exec_lo, s2
	s_wait_dscnt 0x6
	s_delay_alu instid0(VALU_DEP_1) | instskip(SKIP_4) | instid1(SALU_CYCLE_1)
	v_lshl_add_u64 v[14:15], v[14:15], 2, s[16:17]
	s_wait_dscnt 0x5
	global_store_b32 v[14:15], v12, off
	s_wait_xcnt 0x0
	s_or_b32 exec_lo, exec_lo, s1
	s_mov_b32 s1, exec_lo
	v_cmpx_gt_u32_e64 s23, v36
	s_cbranch_execnz .LBB977_169
.LBB977_138:
	s_or_b32 exec_lo, exec_lo, s1
	s_delay_alu instid0(SALU_CYCLE_1)
	s_mov_b32 s1, exec_lo
	v_cmpx_gt_u32_e64 s23, v34
	s_cbranch_execz .LBB977_174
.LBB977_139:
	s_mov_b32 s2, exec_lo
                                        ; implicit-def: $vgpr12_vgpr13
	v_cmpx_ge_u32_e64 v34, v16
	s_xor_b32 s2, exec_lo, s2
	s_cbranch_execz .LBB977_141
; %bb.140:
	s_wait_dscnt 0x5
	v_xor_b32_e32 v12, 0xfffffbff, v0
                                        ; implicit-def: $vgpr34_vgpr35
	s_delay_alu instid0(VALU_DEP_1) | instskip(NEXT) | instid1(VALU_DEP_1)
	v_ashrrev_i32_e32 v13, 31, v12
	v_add_nc_u64_e32 v[12:13], v[42:43], v[12:13]
.LBB977_141:
	s_and_not1_saveexec_b32 s2, s2
	s_cbranch_execz .LBB977_143
; %bb.142:
	s_wait_dscnt 0x5
	v_add_nc_u64_e32 v[12:13], v[2:3], v[34:35]
.LBB977_143:
	s_or_b32 exec_lo, exec_lo, s2
	s_wait_dscnt 0x5
	s_delay_alu instid0(VALU_DEP_1) | instskip(SKIP_4) | instid1(SALU_CYCLE_1)
	v_lshl_add_u64 v[12:13], v[12:13], 2, s[16:17]
	s_wait_dscnt 0x4
	global_store_b32 v[12:13], v10, off
	s_wait_xcnt 0x0
	s_or_b32 exec_lo, exec_lo, s1
	s_mov_b32 s1, exec_lo
	v_cmpx_gt_u32_e64 s23, v32
	s_cbranch_execnz .LBB977_175
.LBB977_144:
	s_or_b32 exec_lo, exec_lo, s1
	s_delay_alu instid0(SALU_CYCLE_1)
	s_mov_b32 s1, exec_lo
	v_cmpx_gt_u32_e64 s23, v30
	s_cbranch_execz .LBB977_180
.LBB977_145:
	s_mov_b32 s2, exec_lo
                                        ; implicit-def: $vgpr10_vgpr11
	v_cmpx_ge_u32_e64 v30, v16
	s_xor_b32 s2, exec_lo, s2
	s_cbranch_execz .LBB977_147
; %bb.146:
	s_wait_dscnt 0x4
	v_xor_b32_e32 v10, 0xfffff9ff, v0
                                        ; implicit-def: $vgpr30_vgpr31
	s_delay_alu instid0(VALU_DEP_1) | instskip(NEXT) | instid1(VALU_DEP_1)
	v_ashrrev_i32_e32 v11, 31, v10
	v_add_nc_u64_e32 v[10:11], v[42:43], v[10:11]
.LBB977_147:
	s_and_not1_saveexec_b32 s2, s2
	s_cbranch_execz .LBB977_149
; %bb.148:
	s_wait_dscnt 0x4
	v_add_nc_u64_e32 v[10:11], v[2:3], v[30:31]
.LBB977_149:
	s_or_b32 exec_lo, exec_lo, s2
	s_wait_dscnt 0x4
	s_delay_alu instid0(VALU_DEP_1) | instskip(SKIP_4) | instid1(SALU_CYCLE_1)
	v_lshl_add_u64 v[10:11], v[10:11], 2, s[16:17]
	s_wait_dscnt 0x3
	global_store_b32 v[10:11], v8, off
	s_wait_xcnt 0x0
	s_or_b32 exec_lo, exec_lo, s1
	s_mov_b32 s1, exec_lo
	v_cmpx_gt_u32_e64 s23, v28
	s_cbranch_execnz .LBB977_181
.LBB977_150:
	s_or_b32 exec_lo, exec_lo, s1
	s_delay_alu instid0(SALU_CYCLE_1)
	s_mov_b32 s1, exec_lo
	v_cmpx_gt_u32_e64 s23, v26
	s_cbranch_execz .LBB977_186
.LBB977_151:
	s_mov_b32 s2, exec_lo
                                        ; implicit-def: $vgpr8_vgpr9
	v_cmpx_ge_u32_e64 v26, v16
	s_xor_b32 s2, exec_lo, s2
	s_cbranch_execz .LBB977_153
; %bb.152:
	s_wait_dscnt 0x3
	v_xor_b32_e32 v8, 0xfffff7ff, v0
                                        ; implicit-def: $vgpr26_vgpr27
	s_delay_alu instid0(VALU_DEP_1) | instskip(NEXT) | instid1(VALU_DEP_1)
	v_ashrrev_i32_e32 v9, 31, v8
	v_add_nc_u64_e32 v[8:9], v[42:43], v[8:9]
.LBB977_153:
	s_and_not1_saveexec_b32 s2, s2
	s_cbranch_execz .LBB977_155
; %bb.154:
	s_wait_dscnt 0x3
	v_add_nc_u64_e32 v[8:9], v[2:3], v[26:27]
.LBB977_155:
	s_or_b32 exec_lo, exec_lo, s2
	s_wait_dscnt 0x3
	s_delay_alu instid0(VALU_DEP_1) | instskip(SKIP_4) | instid1(SALU_CYCLE_1)
	v_lshl_add_u64 v[8:9], v[8:9], 2, s[16:17]
	s_wait_dscnt 0x2
	global_store_b32 v[8:9], v6, off
	s_wait_xcnt 0x0
	s_or_b32 exec_lo, exec_lo, s1
	s_mov_b32 s1, exec_lo
	v_cmpx_gt_u32_e64 s23, v24
	s_cbranch_execnz .LBB977_187
.LBB977_156:
	s_or_b32 exec_lo, exec_lo, s1
	s_delay_alu instid0(SALU_CYCLE_1)
	s_mov_b32 s1, exec_lo
	v_cmpx_gt_u32_e64 s23, v22
	s_cbranch_execz .LBB977_192
.LBB977_157:
	s_mov_b32 s2, exec_lo
                                        ; implicit-def: $vgpr6_vgpr7
	v_cmpx_ge_u32_e64 v22, v16
	s_xor_b32 s2, exec_lo, s2
	s_cbranch_execz .LBB977_159
; %bb.158:
	s_wait_dscnt 0x2
	v_xor_b32_e32 v6, 0xfffff5ff, v0
                                        ; implicit-def: $vgpr22_vgpr23
	s_delay_alu instid0(VALU_DEP_1) | instskip(NEXT) | instid1(VALU_DEP_1)
	v_ashrrev_i32_e32 v7, 31, v6
	v_add_nc_u64_e32 v[6:7], v[42:43], v[6:7]
.LBB977_159:
	s_and_not1_saveexec_b32 s2, s2
	s_cbranch_execz .LBB977_161
; %bb.160:
	s_wait_dscnt 0x2
	v_add_nc_u64_e32 v[6:7], v[2:3], v[22:23]
.LBB977_161:
	s_or_b32 exec_lo, exec_lo, s2
	s_wait_dscnt 0x2
	s_delay_alu instid0(VALU_DEP_1) | instskip(SKIP_4) | instid1(SALU_CYCLE_1)
	v_lshl_add_u64 v[6:7], v[6:7], 2, s[16:17]
	s_wait_dscnt 0x1
	global_store_b32 v[6:7], v4, off
	s_wait_xcnt 0x0
	s_or_b32 exec_lo, exec_lo, s1
	s_mov_b32 s1, exec_lo
	v_cmpx_gt_u32_e64 s23, v20
	s_cbranch_execz .LBB977_198
	s_branch .LBB977_193
.LBB977_162:
	s_or_b32 exec_lo, exec_lo, s1
	s_delay_alu instid0(SALU_CYCLE_1)
	s_mov_b32 s1, exec_lo
	v_cmpx_gt_u32_e64 s23, v40
	s_cbranch_execz .LBB977_132
.LBB977_163:
	s_mov_b32 s2, exec_lo
                                        ; implicit-def: $vgpr44_vgpr45
	v_cmpx_ge_u32_e64 v40, v16
	s_xor_b32 s2, exec_lo, s2
; %bb.164:
	v_xor_b32_e32 v40, 0xfffffeff, v0
	s_delay_alu instid0(VALU_DEP_1) | instskip(NEXT) | instid1(VALU_DEP_1)
	v_ashrrev_i32_e32 v41, 31, v40
	v_add_nc_u64_e32 v[44:45], v[42:43], v[40:41]
                                        ; implicit-def: $vgpr40_vgpr41
; %bb.165:
	s_and_not1_saveexec_b32 s2, s2
; %bb.166:
	v_add_nc_u64_e32 v[44:45], v[2:3], v[40:41]
; %bb.167:
	s_or_b32 exec_lo, exec_lo, s2
	s_delay_alu instid0(VALU_DEP_1) | instskip(SKIP_4) | instid1(SALU_CYCLE_1)
	v_lshl_add_u64 v[40:41], v[44:45], 2, s[16:17]
	s_wait_dscnt 0x6
	global_store_b32 v[40:41], v15, off
	s_wait_xcnt 0x0
	s_or_b32 exec_lo, exec_lo, s1
	s_mov_b32 s1, exec_lo
	v_cmpx_gt_u32_e64 s23, v38
	s_cbranch_execnz .LBB977_133
.LBB977_168:
	s_or_b32 exec_lo, exec_lo, s1
	s_delay_alu instid0(SALU_CYCLE_1)
	s_mov_b32 s1, exec_lo
	v_cmpx_gt_u32_e64 s23, v36
	s_cbranch_execz .LBB977_138
.LBB977_169:
	s_mov_b32 s2, exec_lo
                                        ; implicit-def: $vgpr14_vgpr15
	v_cmpx_ge_u32_e64 v36, v16
	s_xor_b32 s2, exec_lo, s2
	s_cbranch_execz .LBB977_171
; %bb.170:
	s_wait_dscnt 0x6
	v_xor_b32_e32 v14, 0xfffffcff, v0
                                        ; implicit-def: $vgpr36_vgpr37
	s_delay_alu instid0(VALU_DEP_1) | instskip(NEXT) | instid1(VALU_DEP_1)
	v_ashrrev_i32_e32 v15, 31, v14
	v_add_nc_u64_e32 v[14:15], v[42:43], v[14:15]
.LBB977_171:
	s_and_not1_saveexec_b32 s2, s2
	s_cbranch_execz .LBB977_173
; %bb.172:
	s_wait_dscnt 0x6
	v_add_nc_u64_e32 v[14:15], v[2:3], v[36:37]
.LBB977_173:
	s_or_b32 exec_lo, exec_lo, s2
	s_wait_dscnt 0x6
	s_delay_alu instid0(VALU_DEP_1) | instskip(SKIP_4) | instid1(SALU_CYCLE_1)
	v_lshl_add_u64 v[14:15], v[14:15], 2, s[16:17]
	s_wait_dscnt 0x5
	global_store_b32 v[14:15], v13, off
	s_wait_xcnt 0x0
	s_or_b32 exec_lo, exec_lo, s1
	s_mov_b32 s1, exec_lo
	v_cmpx_gt_u32_e64 s23, v34
	s_cbranch_execnz .LBB977_139
.LBB977_174:
	s_or_b32 exec_lo, exec_lo, s1
	s_delay_alu instid0(SALU_CYCLE_1)
	s_mov_b32 s1, exec_lo
	v_cmpx_gt_u32_e64 s23, v32
	s_cbranch_execz .LBB977_144
.LBB977_175:
	s_mov_b32 s2, exec_lo
                                        ; implicit-def: $vgpr12_vgpr13
	v_cmpx_ge_u32_e64 v32, v16
	s_xor_b32 s2, exec_lo, s2
	s_cbranch_execz .LBB977_177
; %bb.176:
	s_wait_dscnt 0x5
	v_xor_b32_e32 v12, 0xfffffaff, v0
                                        ; implicit-def: $vgpr32_vgpr33
	s_delay_alu instid0(VALU_DEP_1) | instskip(NEXT) | instid1(VALU_DEP_1)
	v_ashrrev_i32_e32 v13, 31, v12
	v_add_nc_u64_e32 v[12:13], v[42:43], v[12:13]
.LBB977_177:
	s_and_not1_saveexec_b32 s2, s2
	s_cbranch_execz .LBB977_179
; %bb.178:
	s_wait_dscnt 0x5
	v_add_nc_u64_e32 v[12:13], v[2:3], v[32:33]
.LBB977_179:
	s_or_b32 exec_lo, exec_lo, s2
	s_wait_dscnt 0x5
	s_delay_alu instid0(VALU_DEP_1) | instskip(SKIP_4) | instid1(SALU_CYCLE_1)
	v_lshl_add_u64 v[12:13], v[12:13], 2, s[16:17]
	s_wait_dscnt 0x4
	global_store_b32 v[12:13], v11, off
	s_wait_xcnt 0x0
	s_or_b32 exec_lo, exec_lo, s1
	s_mov_b32 s1, exec_lo
	v_cmpx_gt_u32_e64 s23, v30
	s_cbranch_execnz .LBB977_145
.LBB977_180:
	s_or_b32 exec_lo, exec_lo, s1
	s_delay_alu instid0(SALU_CYCLE_1)
	s_mov_b32 s1, exec_lo
	v_cmpx_gt_u32_e64 s23, v28
	s_cbranch_execz .LBB977_150
.LBB977_181:
	s_mov_b32 s2, exec_lo
                                        ; implicit-def: $vgpr10_vgpr11
	v_cmpx_ge_u32_e64 v28, v16
	s_xor_b32 s2, exec_lo, s2
	s_cbranch_execz .LBB977_183
; %bb.182:
	s_wait_dscnt 0x4
	v_xor_b32_e32 v10, 0xfffff8ff, v0
                                        ; implicit-def: $vgpr28_vgpr29
	s_delay_alu instid0(VALU_DEP_1) | instskip(NEXT) | instid1(VALU_DEP_1)
	v_ashrrev_i32_e32 v11, 31, v10
	v_add_nc_u64_e32 v[10:11], v[42:43], v[10:11]
.LBB977_183:
	s_and_not1_saveexec_b32 s2, s2
	s_cbranch_execz .LBB977_185
; %bb.184:
	s_wait_dscnt 0x4
	v_add_nc_u64_e32 v[10:11], v[2:3], v[28:29]
.LBB977_185:
	s_or_b32 exec_lo, exec_lo, s2
	s_wait_dscnt 0x4
	s_delay_alu instid0(VALU_DEP_1) | instskip(SKIP_4) | instid1(SALU_CYCLE_1)
	v_lshl_add_u64 v[10:11], v[10:11], 2, s[16:17]
	s_wait_dscnt 0x3
	global_store_b32 v[10:11], v9, off
	s_wait_xcnt 0x0
	s_or_b32 exec_lo, exec_lo, s1
	s_mov_b32 s1, exec_lo
	v_cmpx_gt_u32_e64 s23, v26
	s_cbranch_execnz .LBB977_151
.LBB977_186:
	s_or_b32 exec_lo, exec_lo, s1
	s_delay_alu instid0(SALU_CYCLE_1)
	s_mov_b32 s1, exec_lo
	v_cmpx_gt_u32_e64 s23, v24
	s_cbranch_execz .LBB977_156
.LBB977_187:
	s_mov_b32 s2, exec_lo
                                        ; implicit-def: $vgpr8_vgpr9
	v_cmpx_ge_u32_e64 v24, v16
	s_xor_b32 s2, exec_lo, s2
	s_cbranch_execz .LBB977_189
; %bb.188:
	s_wait_dscnt 0x3
	v_xor_b32_e32 v8, 0xfffff6ff, v0
                                        ; implicit-def: $vgpr24_vgpr25
	s_delay_alu instid0(VALU_DEP_1) | instskip(NEXT) | instid1(VALU_DEP_1)
	v_ashrrev_i32_e32 v9, 31, v8
	v_add_nc_u64_e32 v[8:9], v[42:43], v[8:9]
.LBB977_189:
	s_and_not1_saveexec_b32 s2, s2
	s_cbranch_execz .LBB977_191
; %bb.190:
	s_wait_dscnt 0x3
	v_add_nc_u64_e32 v[8:9], v[2:3], v[24:25]
.LBB977_191:
	s_or_b32 exec_lo, exec_lo, s2
	s_wait_dscnt 0x3
	s_delay_alu instid0(VALU_DEP_1) | instskip(SKIP_4) | instid1(SALU_CYCLE_1)
	v_lshl_add_u64 v[8:9], v[8:9], 2, s[16:17]
	s_wait_dscnt 0x2
	global_store_b32 v[8:9], v7, off
	s_wait_xcnt 0x0
	s_or_b32 exec_lo, exec_lo, s1
	s_mov_b32 s1, exec_lo
	v_cmpx_gt_u32_e64 s23, v22
	s_cbranch_execnz .LBB977_157
.LBB977_192:
	s_or_b32 exec_lo, exec_lo, s1
	s_delay_alu instid0(SALU_CYCLE_1)
	s_mov_b32 s1, exec_lo
	v_cmpx_gt_u32_e64 s23, v20
	s_cbranch_execz .LBB977_198
.LBB977_193:
	s_mov_b32 s2, exec_lo
                                        ; implicit-def: $vgpr6_vgpr7
	v_cmpx_ge_u32_e64 v20, v16
	s_xor_b32 s2, exec_lo, s2
	s_cbranch_execz .LBB977_195
; %bb.194:
	s_wait_dscnt 0x2
	v_xor_b32_e32 v6, 0xfffff4ff, v0
                                        ; implicit-def: $vgpr20_vgpr21
	s_delay_alu instid0(VALU_DEP_1) | instskip(NEXT) | instid1(VALU_DEP_1)
	v_ashrrev_i32_e32 v7, 31, v6
	v_add_nc_u64_e32 v[6:7], v[42:43], v[6:7]
.LBB977_195:
	s_and_not1_saveexec_b32 s2, s2
	s_cbranch_execz .LBB977_197
; %bb.196:
	s_wait_dscnt 0x2
	v_add_nc_u64_e32 v[6:7], v[2:3], v[20:21]
.LBB977_197:
	s_or_b32 exec_lo, exec_lo, s2
	s_wait_dscnt 0x2
	s_delay_alu instid0(VALU_DEP_1)
	v_lshl_add_u64 v[6:7], v[6:7], 2, s[16:17]
	s_wait_dscnt 0x1
	global_store_b32 v[6:7], v5, off
.LBB977_198:
	s_wait_xcnt 0x0
	s_or_b32 exec_lo, exec_lo, s1
	s_delay_alu instid0(SALU_CYCLE_1)
	s_mov_b32 s1, exec_lo
                                        ; implicit-def: $vgpr44_vgpr45
	v_cmpx_gt_u32_e64 s23, v18
	s_cbranch_execz .LBB977_204
; %bb.199:
	s_mov_b32 s2, exec_lo
                                        ; implicit-def: $vgpr44_vgpr45
	v_cmpx_ge_u32_e64 v18, v16
	s_xor_b32 s2, exec_lo, s2
	s_cbranch_execz .LBB977_201
; %bb.200:
	s_wait_dscnt 0x1
	v_xor_b32_e32 v4, 0xfffff3ff, v0
                                        ; implicit-def: $vgpr18_vgpr19
	s_delay_alu instid0(VALU_DEP_1) | instskip(NEXT) | instid1(VALU_DEP_1)
	v_ashrrev_i32_e32 v5, 31, v4
	v_add_nc_u64_e32 v[44:45], v[42:43], v[4:5]
.LBB977_201:
	s_and_not1_saveexec_b32 s2, s2
; %bb.202:
	v_add_nc_u64_e32 v[44:45], v[2:3], v[18:19]
; %bb.203:
	s_or_b32 exec_lo, exec_lo, s2
	s_delay_alu instid0(SALU_CYCLE_1)
	s_or_b32 s0, s0, exec_lo
.LBB977_204:
	s_or_b32 exec_lo, exec_lo, s1
.LBB977_205:
	s_and_saveexec_b32 s1, s0
	s_cbranch_execz .LBB977_207
; %bb.206:
	s_wait_dscnt 0x1
	v_lshl_add_u64 v[4:5], v[44:45], 2, s[16:17]
	s_wait_dscnt 0x0
	global_store_b32 v[4:5], v46, off
.LBB977_207:
	s_wait_xcnt 0x0
	s_or_b32 exec_lo, exec_lo, s1
	v_cmp_eq_u32_e32 vcc_lo, 0, v0
	s_and_b32 s0, vcc_lo, s22
	s_delay_alu instid0(SALU_CYCLE_1)
	s_and_saveexec_b32 s1, s0
	s_cbranch_execz .LBB977_209
; %bb.208:
	v_mov_b32_e32 v17, 0
	s_delay_alu instid0(VALU_DEP_1)
	v_add_nc_u64_e32 v[0:1], v[2:3], v[16:17]
	global_store_b64 v17, v[0:1], s[8:9]
.LBB977_209:
	s_sendmsg sendmsg(MSG_DEALLOC_VGPRS)
	s_endpgm
	.section	.rodata,"a",@progbits
	.p2align	6, 0x0
	.amdhsa_kernel _ZN7rocprim17ROCPRIM_400000_NS6detail17trampoline_kernelINS0_13select_configILj256ELj13ELNS0_17block_load_methodE3ELS4_3ELS4_3ELNS0_20block_scan_algorithmE0ELj4294967295EEENS1_25partition_config_selectorILNS1_17partition_subalgoE3EjNS0_10empty_typeEbEEZZNS1_14partition_implILS8_3ELb0ES6_jNS0_17counting_iteratorIjlEEPS9_SE_NS0_5tupleIJPjSE_EEENSF_IJSE_SE_EEES9_SG_JZNS1_25segmented_radix_sort_implINS0_14default_configELb0EPKsPsPKlPlN2at6native12_GLOBAL__N_18offset_tEEE10hipError_tPvRmT1_PNSt15iterator_traitsISY_E10value_typeET2_T3_PNSZ_IS14_E10value_typeET4_jRbjT5_S1A_jjP12ihipStream_tbEUljE_EEESV_SW_SX_S14_S18_S1A_T6_T7_T9_mT8_S1C_bDpT10_ENKUlT_T0_E_clISt17integral_constantIbLb0EES1P_EEDaS1K_S1L_EUlS1K_E_NS1_11comp_targetILNS1_3genE0ELNS1_11target_archE4294967295ELNS1_3gpuE0ELNS1_3repE0EEENS1_30default_config_static_selectorELNS0_4arch9wavefront6targetE0EEEvSY_
		.amdhsa_group_segment_fixed_size 13320
		.amdhsa_private_segment_fixed_size 0
		.amdhsa_kernarg_size 144
		.amdhsa_user_sgpr_count 2
		.amdhsa_user_sgpr_dispatch_ptr 0
		.amdhsa_user_sgpr_queue_ptr 0
		.amdhsa_user_sgpr_kernarg_segment_ptr 1
		.amdhsa_user_sgpr_dispatch_id 0
		.amdhsa_user_sgpr_kernarg_preload_length 0
		.amdhsa_user_sgpr_kernarg_preload_offset 0
		.amdhsa_user_sgpr_private_segment_size 0
		.amdhsa_wavefront_size32 1
		.amdhsa_uses_dynamic_stack 0
		.amdhsa_enable_private_segment 0
		.amdhsa_system_sgpr_workgroup_id_x 1
		.amdhsa_system_sgpr_workgroup_id_y 0
		.amdhsa_system_sgpr_workgroup_id_z 0
		.amdhsa_system_sgpr_workgroup_info 0
		.amdhsa_system_vgpr_workitem_id 0
		.amdhsa_next_free_vgpr 69
		.amdhsa_next_free_sgpr 26
		.amdhsa_named_barrier_count 0
		.amdhsa_reserve_vcc 1
		.amdhsa_float_round_mode_32 0
		.amdhsa_float_round_mode_16_64 0
		.amdhsa_float_denorm_mode_32 3
		.amdhsa_float_denorm_mode_16_64 3
		.amdhsa_fp16_overflow 0
		.amdhsa_memory_ordered 1
		.amdhsa_forward_progress 1
		.amdhsa_inst_pref_size 70
		.amdhsa_round_robin_scheduling 0
		.amdhsa_exception_fp_ieee_invalid_op 0
		.amdhsa_exception_fp_denorm_src 0
		.amdhsa_exception_fp_ieee_div_zero 0
		.amdhsa_exception_fp_ieee_overflow 0
		.amdhsa_exception_fp_ieee_underflow 0
		.amdhsa_exception_fp_ieee_inexact 0
		.amdhsa_exception_int_div_zero 0
	.end_amdhsa_kernel
	.section	.text._ZN7rocprim17ROCPRIM_400000_NS6detail17trampoline_kernelINS0_13select_configILj256ELj13ELNS0_17block_load_methodE3ELS4_3ELS4_3ELNS0_20block_scan_algorithmE0ELj4294967295EEENS1_25partition_config_selectorILNS1_17partition_subalgoE3EjNS0_10empty_typeEbEEZZNS1_14partition_implILS8_3ELb0ES6_jNS0_17counting_iteratorIjlEEPS9_SE_NS0_5tupleIJPjSE_EEENSF_IJSE_SE_EEES9_SG_JZNS1_25segmented_radix_sort_implINS0_14default_configELb0EPKsPsPKlPlN2at6native12_GLOBAL__N_18offset_tEEE10hipError_tPvRmT1_PNSt15iterator_traitsISY_E10value_typeET2_T3_PNSZ_IS14_E10value_typeET4_jRbjT5_S1A_jjP12ihipStream_tbEUljE_EEESV_SW_SX_S14_S18_S1A_T6_T7_T9_mT8_S1C_bDpT10_ENKUlT_T0_E_clISt17integral_constantIbLb0EES1P_EEDaS1K_S1L_EUlS1K_E_NS1_11comp_targetILNS1_3genE0ELNS1_11target_archE4294967295ELNS1_3gpuE0ELNS1_3repE0EEENS1_30default_config_static_selectorELNS0_4arch9wavefront6targetE0EEEvSY_,"axG",@progbits,_ZN7rocprim17ROCPRIM_400000_NS6detail17trampoline_kernelINS0_13select_configILj256ELj13ELNS0_17block_load_methodE3ELS4_3ELS4_3ELNS0_20block_scan_algorithmE0ELj4294967295EEENS1_25partition_config_selectorILNS1_17partition_subalgoE3EjNS0_10empty_typeEbEEZZNS1_14partition_implILS8_3ELb0ES6_jNS0_17counting_iteratorIjlEEPS9_SE_NS0_5tupleIJPjSE_EEENSF_IJSE_SE_EEES9_SG_JZNS1_25segmented_radix_sort_implINS0_14default_configELb0EPKsPsPKlPlN2at6native12_GLOBAL__N_18offset_tEEE10hipError_tPvRmT1_PNSt15iterator_traitsISY_E10value_typeET2_T3_PNSZ_IS14_E10value_typeET4_jRbjT5_S1A_jjP12ihipStream_tbEUljE_EEESV_SW_SX_S14_S18_S1A_T6_T7_T9_mT8_S1C_bDpT10_ENKUlT_T0_E_clISt17integral_constantIbLb0EES1P_EEDaS1K_S1L_EUlS1K_E_NS1_11comp_targetILNS1_3genE0ELNS1_11target_archE4294967295ELNS1_3gpuE0ELNS1_3repE0EEENS1_30default_config_static_selectorELNS0_4arch9wavefront6targetE0EEEvSY_,comdat
.Lfunc_end977:
	.size	_ZN7rocprim17ROCPRIM_400000_NS6detail17trampoline_kernelINS0_13select_configILj256ELj13ELNS0_17block_load_methodE3ELS4_3ELS4_3ELNS0_20block_scan_algorithmE0ELj4294967295EEENS1_25partition_config_selectorILNS1_17partition_subalgoE3EjNS0_10empty_typeEbEEZZNS1_14partition_implILS8_3ELb0ES6_jNS0_17counting_iteratorIjlEEPS9_SE_NS0_5tupleIJPjSE_EEENSF_IJSE_SE_EEES9_SG_JZNS1_25segmented_radix_sort_implINS0_14default_configELb0EPKsPsPKlPlN2at6native12_GLOBAL__N_18offset_tEEE10hipError_tPvRmT1_PNSt15iterator_traitsISY_E10value_typeET2_T3_PNSZ_IS14_E10value_typeET4_jRbjT5_S1A_jjP12ihipStream_tbEUljE_EEESV_SW_SX_S14_S18_S1A_T6_T7_T9_mT8_S1C_bDpT10_ENKUlT_T0_E_clISt17integral_constantIbLb0EES1P_EEDaS1K_S1L_EUlS1K_E_NS1_11comp_targetILNS1_3genE0ELNS1_11target_archE4294967295ELNS1_3gpuE0ELNS1_3repE0EEENS1_30default_config_static_selectorELNS0_4arch9wavefront6targetE0EEEvSY_, .Lfunc_end977-_ZN7rocprim17ROCPRIM_400000_NS6detail17trampoline_kernelINS0_13select_configILj256ELj13ELNS0_17block_load_methodE3ELS4_3ELS4_3ELNS0_20block_scan_algorithmE0ELj4294967295EEENS1_25partition_config_selectorILNS1_17partition_subalgoE3EjNS0_10empty_typeEbEEZZNS1_14partition_implILS8_3ELb0ES6_jNS0_17counting_iteratorIjlEEPS9_SE_NS0_5tupleIJPjSE_EEENSF_IJSE_SE_EEES9_SG_JZNS1_25segmented_radix_sort_implINS0_14default_configELb0EPKsPsPKlPlN2at6native12_GLOBAL__N_18offset_tEEE10hipError_tPvRmT1_PNSt15iterator_traitsISY_E10value_typeET2_T3_PNSZ_IS14_E10value_typeET4_jRbjT5_S1A_jjP12ihipStream_tbEUljE_EEESV_SW_SX_S14_S18_S1A_T6_T7_T9_mT8_S1C_bDpT10_ENKUlT_T0_E_clISt17integral_constantIbLb0EES1P_EEDaS1K_S1L_EUlS1K_E_NS1_11comp_targetILNS1_3genE0ELNS1_11target_archE4294967295ELNS1_3gpuE0ELNS1_3repE0EEENS1_30default_config_static_selectorELNS0_4arch9wavefront6targetE0EEEvSY_
                                        ; -- End function
	.set _ZN7rocprim17ROCPRIM_400000_NS6detail17trampoline_kernelINS0_13select_configILj256ELj13ELNS0_17block_load_methodE3ELS4_3ELS4_3ELNS0_20block_scan_algorithmE0ELj4294967295EEENS1_25partition_config_selectorILNS1_17partition_subalgoE3EjNS0_10empty_typeEbEEZZNS1_14partition_implILS8_3ELb0ES6_jNS0_17counting_iteratorIjlEEPS9_SE_NS0_5tupleIJPjSE_EEENSF_IJSE_SE_EEES9_SG_JZNS1_25segmented_radix_sort_implINS0_14default_configELb0EPKsPsPKlPlN2at6native12_GLOBAL__N_18offset_tEEE10hipError_tPvRmT1_PNSt15iterator_traitsISY_E10value_typeET2_T3_PNSZ_IS14_E10value_typeET4_jRbjT5_S1A_jjP12ihipStream_tbEUljE_EEESV_SW_SX_S14_S18_S1A_T6_T7_T9_mT8_S1C_bDpT10_ENKUlT_T0_E_clISt17integral_constantIbLb0EES1P_EEDaS1K_S1L_EUlS1K_E_NS1_11comp_targetILNS1_3genE0ELNS1_11target_archE4294967295ELNS1_3gpuE0ELNS1_3repE0EEENS1_30default_config_static_selectorELNS0_4arch9wavefront6targetE0EEEvSY_.num_vgpr, 69
	.set _ZN7rocprim17ROCPRIM_400000_NS6detail17trampoline_kernelINS0_13select_configILj256ELj13ELNS0_17block_load_methodE3ELS4_3ELS4_3ELNS0_20block_scan_algorithmE0ELj4294967295EEENS1_25partition_config_selectorILNS1_17partition_subalgoE3EjNS0_10empty_typeEbEEZZNS1_14partition_implILS8_3ELb0ES6_jNS0_17counting_iteratorIjlEEPS9_SE_NS0_5tupleIJPjSE_EEENSF_IJSE_SE_EEES9_SG_JZNS1_25segmented_radix_sort_implINS0_14default_configELb0EPKsPsPKlPlN2at6native12_GLOBAL__N_18offset_tEEE10hipError_tPvRmT1_PNSt15iterator_traitsISY_E10value_typeET2_T3_PNSZ_IS14_E10value_typeET4_jRbjT5_S1A_jjP12ihipStream_tbEUljE_EEESV_SW_SX_S14_S18_S1A_T6_T7_T9_mT8_S1C_bDpT10_ENKUlT_T0_E_clISt17integral_constantIbLb0EES1P_EEDaS1K_S1L_EUlS1K_E_NS1_11comp_targetILNS1_3genE0ELNS1_11target_archE4294967295ELNS1_3gpuE0ELNS1_3repE0EEENS1_30default_config_static_selectorELNS0_4arch9wavefront6targetE0EEEvSY_.num_agpr, 0
	.set _ZN7rocprim17ROCPRIM_400000_NS6detail17trampoline_kernelINS0_13select_configILj256ELj13ELNS0_17block_load_methodE3ELS4_3ELS4_3ELNS0_20block_scan_algorithmE0ELj4294967295EEENS1_25partition_config_selectorILNS1_17partition_subalgoE3EjNS0_10empty_typeEbEEZZNS1_14partition_implILS8_3ELb0ES6_jNS0_17counting_iteratorIjlEEPS9_SE_NS0_5tupleIJPjSE_EEENSF_IJSE_SE_EEES9_SG_JZNS1_25segmented_radix_sort_implINS0_14default_configELb0EPKsPsPKlPlN2at6native12_GLOBAL__N_18offset_tEEE10hipError_tPvRmT1_PNSt15iterator_traitsISY_E10value_typeET2_T3_PNSZ_IS14_E10value_typeET4_jRbjT5_S1A_jjP12ihipStream_tbEUljE_EEESV_SW_SX_S14_S18_S1A_T6_T7_T9_mT8_S1C_bDpT10_ENKUlT_T0_E_clISt17integral_constantIbLb0EES1P_EEDaS1K_S1L_EUlS1K_E_NS1_11comp_targetILNS1_3genE0ELNS1_11target_archE4294967295ELNS1_3gpuE0ELNS1_3repE0EEENS1_30default_config_static_selectorELNS0_4arch9wavefront6targetE0EEEvSY_.numbered_sgpr, 26
	.set _ZN7rocprim17ROCPRIM_400000_NS6detail17trampoline_kernelINS0_13select_configILj256ELj13ELNS0_17block_load_methodE3ELS4_3ELS4_3ELNS0_20block_scan_algorithmE0ELj4294967295EEENS1_25partition_config_selectorILNS1_17partition_subalgoE3EjNS0_10empty_typeEbEEZZNS1_14partition_implILS8_3ELb0ES6_jNS0_17counting_iteratorIjlEEPS9_SE_NS0_5tupleIJPjSE_EEENSF_IJSE_SE_EEES9_SG_JZNS1_25segmented_radix_sort_implINS0_14default_configELb0EPKsPsPKlPlN2at6native12_GLOBAL__N_18offset_tEEE10hipError_tPvRmT1_PNSt15iterator_traitsISY_E10value_typeET2_T3_PNSZ_IS14_E10value_typeET4_jRbjT5_S1A_jjP12ihipStream_tbEUljE_EEESV_SW_SX_S14_S18_S1A_T6_T7_T9_mT8_S1C_bDpT10_ENKUlT_T0_E_clISt17integral_constantIbLb0EES1P_EEDaS1K_S1L_EUlS1K_E_NS1_11comp_targetILNS1_3genE0ELNS1_11target_archE4294967295ELNS1_3gpuE0ELNS1_3repE0EEENS1_30default_config_static_selectorELNS0_4arch9wavefront6targetE0EEEvSY_.num_named_barrier, 0
	.set _ZN7rocprim17ROCPRIM_400000_NS6detail17trampoline_kernelINS0_13select_configILj256ELj13ELNS0_17block_load_methodE3ELS4_3ELS4_3ELNS0_20block_scan_algorithmE0ELj4294967295EEENS1_25partition_config_selectorILNS1_17partition_subalgoE3EjNS0_10empty_typeEbEEZZNS1_14partition_implILS8_3ELb0ES6_jNS0_17counting_iteratorIjlEEPS9_SE_NS0_5tupleIJPjSE_EEENSF_IJSE_SE_EEES9_SG_JZNS1_25segmented_radix_sort_implINS0_14default_configELb0EPKsPsPKlPlN2at6native12_GLOBAL__N_18offset_tEEE10hipError_tPvRmT1_PNSt15iterator_traitsISY_E10value_typeET2_T3_PNSZ_IS14_E10value_typeET4_jRbjT5_S1A_jjP12ihipStream_tbEUljE_EEESV_SW_SX_S14_S18_S1A_T6_T7_T9_mT8_S1C_bDpT10_ENKUlT_T0_E_clISt17integral_constantIbLb0EES1P_EEDaS1K_S1L_EUlS1K_E_NS1_11comp_targetILNS1_3genE0ELNS1_11target_archE4294967295ELNS1_3gpuE0ELNS1_3repE0EEENS1_30default_config_static_selectorELNS0_4arch9wavefront6targetE0EEEvSY_.private_seg_size, 0
	.set _ZN7rocprim17ROCPRIM_400000_NS6detail17trampoline_kernelINS0_13select_configILj256ELj13ELNS0_17block_load_methodE3ELS4_3ELS4_3ELNS0_20block_scan_algorithmE0ELj4294967295EEENS1_25partition_config_selectorILNS1_17partition_subalgoE3EjNS0_10empty_typeEbEEZZNS1_14partition_implILS8_3ELb0ES6_jNS0_17counting_iteratorIjlEEPS9_SE_NS0_5tupleIJPjSE_EEENSF_IJSE_SE_EEES9_SG_JZNS1_25segmented_radix_sort_implINS0_14default_configELb0EPKsPsPKlPlN2at6native12_GLOBAL__N_18offset_tEEE10hipError_tPvRmT1_PNSt15iterator_traitsISY_E10value_typeET2_T3_PNSZ_IS14_E10value_typeET4_jRbjT5_S1A_jjP12ihipStream_tbEUljE_EEESV_SW_SX_S14_S18_S1A_T6_T7_T9_mT8_S1C_bDpT10_ENKUlT_T0_E_clISt17integral_constantIbLb0EES1P_EEDaS1K_S1L_EUlS1K_E_NS1_11comp_targetILNS1_3genE0ELNS1_11target_archE4294967295ELNS1_3gpuE0ELNS1_3repE0EEENS1_30default_config_static_selectorELNS0_4arch9wavefront6targetE0EEEvSY_.uses_vcc, 1
	.set _ZN7rocprim17ROCPRIM_400000_NS6detail17trampoline_kernelINS0_13select_configILj256ELj13ELNS0_17block_load_methodE3ELS4_3ELS4_3ELNS0_20block_scan_algorithmE0ELj4294967295EEENS1_25partition_config_selectorILNS1_17partition_subalgoE3EjNS0_10empty_typeEbEEZZNS1_14partition_implILS8_3ELb0ES6_jNS0_17counting_iteratorIjlEEPS9_SE_NS0_5tupleIJPjSE_EEENSF_IJSE_SE_EEES9_SG_JZNS1_25segmented_radix_sort_implINS0_14default_configELb0EPKsPsPKlPlN2at6native12_GLOBAL__N_18offset_tEEE10hipError_tPvRmT1_PNSt15iterator_traitsISY_E10value_typeET2_T3_PNSZ_IS14_E10value_typeET4_jRbjT5_S1A_jjP12ihipStream_tbEUljE_EEESV_SW_SX_S14_S18_S1A_T6_T7_T9_mT8_S1C_bDpT10_ENKUlT_T0_E_clISt17integral_constantIbLb0EES1P_EEDaS1K_S1L_EUlS1K_E_NS1_11comp_targetILNS1_3genE0ELNS1_11target_archE4294967295ELNS1_3gpuE0ELNS1_3repE0EEENS1_30default_config_static_selectorELNS0_4arch9wavefront6targetE0EEEvSY_.uses_flat_scratch, 0
	.set _ZN7rocprim17ROCPRIM_400000_NS6detail17trampoline_kernelINS0_13select_configILj256ELj13ELNS0_17block_load_methodE3ELS4_3ELS4_3ELNS0_20block_scan_algorithmE0ELj4294967295EEENS1_25partition_config_selectorILNS1_17partition_subalgoE3EjNS0_10empty_typeEbEEZZNS1_14partition_implILS8_3ELb0ES6_jNS0_17counting_iteratorIjlEEPS9_SE_NS0_5tupleIJPjSE_EEENSF_IJSE_SE_EEES9_SG_JZNS1_25segmented_radix_sort_implINS0_14default_configELb0EPKsPsPKlPlN2at6native12_GLOBAL__N_18offset_tEEE10hipError_tPvRmT1_PNSt15iterator_traitsISY_E10value_typeET2_T3_PNSZ_IS14_E10value_typeET4_jRbjT5_S1A_jjP12ihipStream_tbEUljE_EEESV_SW_SX_S14_S18_S1A_T6_T7_T9_mT8_S1C_bDpT10_ENKUlT_T0_E_clISt17integral_constantIbLb0EES1P_EEDaS1K_S1L_EUlS1K_E_NS1_11comp_targetILNS1_3genE0ELNS1_11target_archE4294967295ELNS1_3gpuE0ELNS1_3repE0EEENS1_30default_config_static_selectorELNS0_4arch9wavefront6targetE0EEEvSY_.has_dyn_sized_stack, 0
	.set _ZN7rocprim17ROCPRIM_400000_NS6detail17trampoline_kernelINS0_13select_configILj256ELj13ELNS0_17block_load_methodE3ELS4_3ELS4_3ELNS0_20block_scan_algorithmE0ELj4294967295EEENS1_25partition_config_selectorILNS1_17partition_subalgoE3EjNS0_10empty_typeEbEEZZNS1_14partition_implILS8_3ELb0ES6_jNS0_17counting_iteratorIjlEEPS9_SE_NS0_5tupleIJPjSE_EEENSF_IJSE_SE_EEES9_SG_JZNS1_25segmented_radix_sort_implINS0_14default_configELb0EPKsPsPKlPlN2at6native12_GLOBAL__N_18offset_tEEE10hipError_tPvRmT1_PNSt15iterator_traitsISY_E10value_typeET2_T3_PNSZ_IS14_E10value_typeET4_jRbjT5_S1A_jjP12ihipStream_tbEUljE_EEESV_SW_SX_S14_S18_S1A_T6_T7_T9_mT8_S1C_bDpT10_ENKUlT_T0_E_clISt17integral_constantIbLb0EES1P_EEDaS1K_S1L_EUlS1K_E_NS1_11comp_targetILNS1_3genE0ELNS1_11target_archE4294967295ELNS1_3gpuE0ELNS1_3repE0EEENS1_30default_config_static_selectorELNS0_4arch9wavefront6targetE0EEEvSY_.has_recursion, 0
	.set _ZN7rocprim17ROCPRIM_400000_NS6detail17trampoline_kernelINS0_13select_configILj256ELj13ELNS0_17block_load_methodE3ELS4_3ELS4_3ELNS0_20block_scan_algorithmE0ELj4294967295EEENS1_25partition_config_selectorILNS1_17partition_subalgoE3EjNS0_10empty_typeEbEEZZNS1_14partition_implILS8_3ELb0ES6_jNS0_17counting_iteratorIjlEEPS9_SE_NS0_5tupleIJPjSE_EEENSF_IJSE_SE_EEES9_SG_JZNS1_25segmented_radix_sort_implINS0_14default_configELb0EPKsPsPKlPlN2at6native12_GLOBAL__N_18offset_tEEE10hipError_tPvRmT1_PNSt15iterator_traitsISY_E10value_typeET2_T3_PNSZ_IS14_E10value_typeET4_jRbjT5_S1A_jjP12ihipStream_tbEUljE_EEESV_SW_SX_S14_S18_S1A_T6_T7_T9_mT8_S1C_bDpT10_ENKUlT_T0_E_clISt17integral_constantIbLb0EES1P_EEDaS1K_S1L_EUlS1K_E_NS1_11comp_targetILNS1_3genE0ELNS1_11target_archE4294967295ELNS1_3gpuE0ELNS1_3repE0EEENS1_30default_config_static_selectorELNS0_4arch9wavefront6targetE0EEEvSY_.has_indirect_call, 0
	.section	.AMDGPU.csdata,"",@progbits
; Kernel info:
; codeLenInByte = 8920
; TotalNumSgprs: 28
; NumVgprs: 69
; ScratchSize: 0
; MemoryBound: 0
; FloatMode: 240
; IeeeMode: 1
; LDSByteSize: 13320 bytes/workgroup (compile time only)
; SGPRBlocks: 0
; VGPRBlocks: 4
; NumSGPRsForWavesPerEU: 28
; NumVGPRsForWavesPerEU: 69
; NamedBarCnt: 0
; Occupancy: 12
; WaveLimiterHint : 0
; COMPUTE_PGM_RSRC2:SCRATCH_EN: 0
; COMPUTE_PGM_RSRC2:USER_SGPR: 2
; COMPUTE_PGM_RSRC2:TRAP_HANDLER: 0
; COMPUTE_PGM_RSRC2:TGID_X_EN: 1
; COMPUTE_PGM_RSRC2:TGID_Y_EN: 0
; COMPUTE_PGM_RSRC2:TGID_Z_EN: 0
; COMPUTE_PGM_RSRC2:TIDIG_COMP_CNT: 0
	.section	.text._ZN7rocprim17ROCPRIM_400000_NS6detail17trampoline_kernelINS0_13select_configILj256ELj13ELNS0_17block_load_methodE3ELS4_3ELS4_3ELNS0_20block_scan_algorithmE0ELj4294967295EEENS1_25partition_config_selectorILNS1_17partition_subalgoE3EjNS0_10empty_typeEbEEZZNS1_14partition_implILS8_3ELb0ES6_jNS0_17counting_iteratorIjlEEPS9_SE_NS0_5tupleIJPjSE_EEENSF_IJSE_SE_EEES9_SG_JZNS1_25segmented_radix_sort_implINS0_14default_configELb0EPKsPsPKlPlN2at6native12_GLOBAL__N_18offset_tEEE10hipError_tPvRmT1_PNSt15iterator_traitsISY_E10value_typeET2_T3_PNSZ_IS14_E10value_typeET4_jRbjT5_S1A_jjP12ihipStream_tbEUljE_EEESV_SW_SX_S14_S18_S1A_T6_T7_T9_mT8_S1C_bDpT10_ENKUlT_T0_E_clISt17integral_constantIbLb0EES1P_EEDaS1K_S1L_EUlS1K_E_NS1_11comp_targetILNS1_3genE5ELNS1_11target_archE942ELNS1_3gpuE9ELNS1_3repE0EEENS1_30default_config_static_selectorELNS0_4arch9wavefront6targetE0EEEvSY_,"axG",@progbits,_ZN7rocprim17ROCPRIM_400000_NS6detail17trampoline_kernelINS0_13select_configILj256ELj13ELNS0_17block_load_methodE3ELS4_3ELS4_3ELNS0_20block_scan_algorithmE0ELj4294967295EEENS1_25partition_config_selectorILNS1_17partition_subalgoE3EjNS0_10empty_typeEbEEZZNS1_14partition_implILS8_3ELb0ES6_jNS0_17counting_iteratorIjlEEPS9_SE_NS0_5tupleIJPjSE_EEENSF_IJSE_SE_EEES9_SG_JZNS1_25segmented_radix_sort_implINS0_14default_configELb0EPKsPsPKlPlN2at6native12_GLOBAL__N_18offset_tEEE10hipError_tPvRmT1_PNSt15iterator_traitsISY_E10value_typeET2_T3_PNSZ_IS14_E10value_typeET4_jRbjT5_S1A_jjP12ihipStream_tbEUljE_EEESV_SW_SX_S14_S18_S1A_T6_T7_T9_mT8_S1C_bDpT10_ENKUlT_T0_E_clISt17integral_constantIbLb0EES1P_EEDaS1K_S1L_EUlS1K_E_NS1_11comp_targetILNS1_3genE5ELNS1_11target_archE942ELNS1_3gpuE9ELNS1_3repE0EEENS1_30default_config_static_selectorELNS0_4arch9wavefront6targetE0EEEvSY_,comdat
	.globl	_ZN7rocprim17ROCPRIM_400000_NS6detail17trampoline_kernelINS0_13select_configILj256ELj13ELNS0_17block_load_methodE3ELS4_3ELS4_3ELNS0_20block_scan_algorithmE0ELj4294967295EEENS1_25partition_config_selectorILNS1_17partition_subalgoE3EjNS0_10empty_typeEbEEZZNS1_14partition_implILS8_3ELb0ES6_jNS0_17counting_iteratorIjlEEPS9_SE_NS0_5tupleIJPjSE_EEENSF_IJSE_SE_EEES9_SG_JZNS1_25segmented_radix_sort_implINS0_14default_configELb0EPKsPsPKlPlN2at6native12_GLOBAL__N_18offset_tEEE10hipError_tPvRmT1_PNSt15iterator_traitsISY_E10value_typeET2_T3_PNSZ_IS14_E10value_typeET4_jRbjT5_S1A_jjP12ihipStream_tbEUljE_EEESV_SW_SX_S14_S18_S1A_T6_T7_T9_mT8_S1C_bDpT10_ENKUlT_T0_E_clISt17integral_constantIbLb0EES1P_EEDaS1K_S1L_EUlS1K_E_NS1_11comp_targetILNS1_3genE5ELNS1_11target_archE942ELNS1_3gpuE9ELNS1_3repE0EEENS1_30default_config_static_selectorELNS0_4arch9wavefront6targetE0EEEvSY_ ; -- Begin function _ZN7rocprim17ROCPRIM_400000_NS6detail17trampoline_kernelINS0_13select_configILj256ELj13ELNS0_17block_load_methodE3ELS4_3ELS4_3ELNS0_20block_scan_algorithmE0ELj4294967295EEENS1_25partition_config_selectorILNS1_17partition_subalgoE3EjNS0_10empty_typeEbEEZZNS1_14partition_implILS8_3ELb0ES6_jNS0_17counting_iteratorIjlEEPS9_SE_NS0_5tupleIJPjSE_EEENSF_IJSE_SE_EEES9_SG_JZNS1_25segmented_radix_sort_implINS0_14default_configELb0EPKsPsPKlPlN2at6native12_GLOBAL__N_18offset_tEEE10hipError_tPvRmT1_PNSt15iterator_traitsISY_E10value_typeET2_T3_PNSZ_IS14_E10value_typeET4_jRbjT5_S1A_jjP12ihipStream_tbEUljE_EEESV_SW_SX_S14_S18_S1A_T6_T7_T9_mT8_S1C_bDpT10_ENKUlT_T0_E_clISt17integral_constantIbLb0EES1P_EEDaS1K_S1L_EUlS1K_E_NS1_11comp_targetILNS1_3genE5ELNS1_11target_archE942ELNS1_3gpuE9ELNS1_3repE0EEENS1_30default_config_static_selectorELNS0_4arch9wavefront6targetE0EEEvSY_
	.p2align	8
	.type	_ZN7rocprim17ROCPRIM_400000_NS6detail17trampoline_kernelINS0_13select_configILj256ELj13ELNS0_17block_load_methodE3ELS4_3ELS4_3ELNS0_20block_scan_algorithmE0ELj4294967295EEENS1_25partition_config_selectorILNS1_17partition_subalgoE3EjNS0_10empty_typeEbEEZZNS1_14partition_implILS8_3ELb0ES6_jNS0_17counting_iteratorIjlEEPS9_SE_NS0_5tupleIJPjSE_EEENSF_IJSE_SE_EEES9_SG_JZNS1_25segmented_radix_sort_implINS0_14default_configELb0EPKsPsPKlPlN2at6native12_GLOBAL__N_18offset_tEEE10hipError_tPvRmT1_PNSt15iterator_traitsISY_E10value_typeET2_T3_PNSZ_IS14_E10value_typeET4_jRbjT5_S1A_jjP12ihipStream_tbEUljE_EEESV_SW_SX_S14_S18_S1A_T6_T7_T9_mT8_S1C_bDpT10_ENKUlT_T0_E_clISt17integral_constantIbLb0EES1P_EEDaS1K_S1L_EUlS1K_E_NS1_11comp_targetILNS1_3genE5ELNS1_11target_archE942ELNS1_3gpuE9ELNS1_3repE0EEENS1_30default_config_static_selectorELNS0_4arch9wavefront6targetE0EEEvSY_,@function
_ZN7rocprim17ROCPRIM_400000_NS6detail17trampoline_kernelINS0_13select_configILj256ELj13ELNS0_17block_load_methodE3ELS4_3ELS4_3ELNS0_20block_scan_algorithmE0ELj4294967295EEENS1_25partition_config_selectorILNS1_17partition_subalgoE3EjNS0_10empty_typeEbEEZZNS1_14partition_implILS8_3ELb0ES6_jNS0_17counting_iteratorIjlEEPS9_SE_NS0_5tupleIJPjSE_EEENSF_IJSE_SE_EEES9_SG_JZNS1_25segmented_radix_sort_implINS0_14default_configELb0EPKsPsPKlPlN2at6native12_GLOBAL__N_18offset_tEEE10hipError_tPvRmT1_PNSt15iterator_traitsISY_E10value_typeET2_T3_PNSZ_IS14_E10value_typeET4_jRbjT5_S1A_jjP12ihipStream_tbEUljE_EEESV_SW_SX_S14_S18_S1A_T6_T7_T9_mT8_S1C_bDpT10_ENKUlT_T0_E_clISt17integral_constantIbLb0EES1P_EEDaS1K_S1L_EUlS1K_E_NS1_11comp_targetILNS1_3genE5ELNS1_11target_archE942ELNS1_3gpuE9ELNS1_3repE0EEENS1_30default_config_static_selectorELNS0_4arch9wavefront6targetE0EEEvSY_: ; @_ZN7rocprim17ROCPRIM_400000_NS6detail17trampoline_kernelINS0_13select_configILj256ELj13ELNS0_17block_load_methodE3ELS4_3ELS4_3ELNS0_20block_scan_algorithmE0ELj4294967295EEENS1_25partition_config_selectorILNS1_17partition_subalgoE3EjNS0_10empty_typeEbEEZZNS1_14partition_implILS8_3ELb0ES6_jNS0_17counting_iteratorIjlEEPS9_SE_NS0_5tupleIJPjSE_EEENSF_IJSE_SE_EEES9_SG_JZNS1_25segmented_radix_sort_implINS0_14default_configELb0EPKsPsPKlPlN2at6native12_GLOBAL__N_18offset_tEEE10hipError_tPvRmT1_PNSt15iterator_traitsISY_E10value_typeET2_T3_PNSZ_IS14_E10value_typeET4_jRbjT5_S1A_jjP12ihipStream_tbEUljE_EEESV_SW_SX_S14_S18_S1A_T6_T7_T9_mT8_S1C_bDpT10_ENKUlT_T0_E_clISt17integral_constantIbLb0EES1P_EEDaS1K_S1L_EUlS1K_E_NS1_11comp_targetILNS1_3genE5ELNS1_11target_archE942ELNS1_3gpuE9ELNS1_3repE0EEENS1_30default_config_static_selectorELNS0_4arch9wavefront6targetE0EEEvSY_
; %bb.0:
	.section	.rodata,"a",@progbits
	.p2align	6, 0x0
	.amdhsa_kernel _ZN7rocprim17ROCPRIM_400000_NS6detail17trampoline_kernelINS0_13select_configILj256ELj13ELNS0_17block_load_methodE3ELS4_3ELS4_3ELNS0_20block_scan_algorithmE0ELj4294967295EEENS1_25partition_config_selectorILNS1_17partition_subalgoE3EjNS0_10empty_typeEbEEZZNS1_14partition_implILS8_3ELb0ES6_jNS0_17counting_iteratorIjlEEPS9_SE_NS0_5tupleIJPjSE_EEENSF_IJSE_SE_EEES9_SG_JZNS1_25segmented_radix_sort_implINS0_14default_configELb0EPKsPsPKlPlN2at6native12_GLOBAL__N_18offset_tEEE10hipError_tPvRmT1_PNSt15iterator_traitsISY_E10value_typeET2_T3_PNSZ_IS14_E10value_typeET4_jRbjT5_S1A_jjP12ihipStream_tbEUljE_EEESV_SW_SX_S14_S18_S1A_T6_T7_T9_mT8_S1C_bDpT10_ENKUlT_T0_E_clISt17integral_constantIbLb0EES1P_EEDaS1K_S1L_EUlS1K_E_NS1_11comp_targetILNS1_3genE5ELNS1_11target_archE942ELNS1_3gpuE9ELNS1_3repE0EEENS1_30default_config_static_selectorELNS0_4arch9wavefront6targetE0EEEvSY_
		.amdhsa_group_segment_fixed_size 0
		.amdhsa_private_segment_fixed_size 0
		.amdhsa_kernarg_size 144
		.amdhsa_user_sgpr_count 2
		.amdhsa_user_sgpr_dispatch_ptr 0
		.amdhsa_user_sgpr_queue_ptr 0
		.amdhsa_user_sgpr_kernarg_segment_ptr 1
		.amdhsa_user_sgpr_dispatch_id 0
		.amdhsa_user_sgpr_kernarg_preload_length 0
		.amdhsa_user_sgpr_kernarg_preload_offset 0
		.amdhsa_user_sgpr_private_segment_size 0
		.amdhsa_wavefront_size32 1
		.amdhsa_uses_dynamic_stack 0
		.amdhsa_enable_private_segment 0
		.amdhsa_system_sgpr_workgroup_id_x 1
		.amdhsa_system_sgpr_workgroup_id_y 0
		.amdhsa_system_sgpr_workgroup_id_z 0
		.amdhsa_system_sgpr_workgroup_info 0
		.amdhsa_system_vgpr_workitem_id 0
		.amdhsa_next_free_vgpr 1
		.amdhsa_next_free_sgpr 1
		.amdhsa_named_barrier_count 0
		.amdhsa_reserve_vcc 0
		.amdhsa_float_round_mode_32 0
		.amdhsa_float_round_mode_16_64 0
		.amdhsa_float_denorm_mode_32 3
		.amdhsa_float_denorm_mode_16_64 3
		.amdhsa_fp16_overflow 0
		.amdhsa_memory_ordered 1
		.amdhsa_forward_progress 1
		.amdhsa_inst_pref_size 0
		.amdhsa_round_robin_scheduling 0
		.amdhsa_exception_fp_ieee_invalid_op 0
		.amdhsa_exception_fp_denorm_src 0
		.amdhsa_exception_fp_ieee_div_zero 0
		.amdhsa_exception_fp_ieee_overflow 0
		.amdhsa_exception_fp_ieee_underflow 0
		.amdhsa_exception_fp_ieee_inexact 0
		.amdhsa_exception_int_div_zero 0
	.end_amdhsa_kernel
	.section	.text._ZN7rocprim17ROCPRIM_400000_NS6detail17trampoline_kernelINS0_13select_configILj256ELj13ELNS0_17block_load_methodE3ELS4_3ELS4_3ELNS0_20block_scan_algorithmE0ELj4294967295EEENS1_25partition_config_selectorILNS1_17partition_subalgoE3EjNS0_10empty_typeEbEEZZNS1_14partition_implILS8_3ELb0ES6_jNS0_17counting_iteratorIjlEEPS9_SE_NS0_5tupleIJPjSE_EEENSF_IJSE_SE_EEES9_SG_JZNS1_25segmented_radix_sort_implINS0_14default_configELb0EPKsPsPKlPlN2at6native12_GLOBAL__N_18offset_tEEE10hipError_tPvRmT1_PNSt15iterator_traitsISY_E10value_typeET2_T3_PNSZ_IS14_E10value_typeET4_jRbjT5_S1A_jjP12ihipStream_tbEUljE_EEESV_SW_SX_S14_S18_S1A_T6_T7_T9_mT8_S1C_bDpT10_ENKUlT_T0_E_clISt17integral_constantIbLb0EES1P_EEDaS1K_S1L_EUlS1K_E_NS1_11comp_targetILNS1_3genE5ELNS1_11target_archE942ELNS1_3gpuE9ELNS1_3repE0EEENS1_30default_config_static_selectorELNS0_4arch9wavefront6targetE0EEEvSY_,"axG",@progbits,_ZN7rocprim17ROCPRIM_400000_NS6detail17trampoline_kernelINS0_13select_configILj256ELj13ELNS0_17block_load_methodE3ELS4_3ELS4_3ELNS0_20block_scan_algorithmE0ELj4294967295EEENS1_25partition_config_selectorILNS1_17partition_subalgoE3EjNS0_10empty_typeEbEEZZNS1_14partition_implILS8_3ELb0ES6_jNS0_17counting_iteratorIjlEEPS9_SE_NS0_5tupleIJPjSE_EEENSF_IJSE_SE_EEES9_SG_JZNS1_25segmented_radix_sort_implINS0_14default_configELb0EPKsPsPKlPlN2at6native12_GLOBAL__N_18offset_tEEE10hipError_tPvRmT1_PNSt15iterator_traitsISY_E10value_typeET2_T3_PNSZ_IS14_E10value_typeET4_jRbjT5_S1A_jjP12ihipStream_tbEUljE_EEESV_SW_SX_S14_S18_S1A_T6_T7_T9_mT8_S1C_bDpT10_ENKUlT_T0_E_clISt17integral_constantIbLb0EES1P_EEDaS1K_S1L_EUlS1K_E_NS1_11comp_targetILNS1_3genE5ELNS1_11target_archE942ELNS1_3gpuE9ELNS1_3repE0EEENS1_30default_config_static_selectorELNS0_4arch9wavefront6targetE0EEEvSY_,comdat
.Lfunc_end978:
	.size	_ZN7rocprim17ROCPRIM_400000_NS6detail17trampoline_kernelINS0_13select_configILj256ELj13ELNS0_17block_load_methodE3ELS4_3ELS4_3ELNS0_20block_scan_algorithmE0ELj4294967295EEENS1_25partition_config_selectorILNS1_17partition_subalgoE3EjNS0_10empty_typeEbEEZZNS1_14partition_implILS8_3ELb0ES6_jNS0_17counting_iteratorIjlEEPS9_SE_NS0_5tupleIJPjSE_EEENSF_IJSE_SE_EEES9_SG_JZNS1_25segmented_radix_sort_implINS0_14default_configELb0EPKsPsPKlPlN2at6native12_GLOBAL__N_18offset_tEEE10hipError_tPvRmT1_PNSt15iterator_traitsISY_E10value_typeET2_T3_PNSZ_IS14_E10value_typeET4_jRbjT5_S1A_jjP12ihipStream_tbEUljE_EEESV_SW_SX_S14_S18_S1A_T6_T7_T9_mT8_S1C_bDpT10_ENKUlT_T0_E_clISt17integral_constantIbLb0EES1P_EEDaS1K_S1L_EUlS1K_E_NS1_11comp_targetILNS1_3genE5ELNS1_11target_archE942ELNS1_3gpuE9ELNS1_3repE0EEENS1_30default_config_static_selectorELNS0_4arch9wavefront6targetE0EEEvSY_, .Lfunc_end978-_ZN7rocprim17ROCPRIM_400000_NS6detail17trampoline_kernelINS0_13select_configILj256ELj13ELNS0_17block_load_methodE3ELS4_3ELS4_3ELNS0_20block_scan_algorithmE0ELj4294967295EEENS1_25partition_config_selectorILNS1_17partition_subalgoE3EjNS0_10empty_typeEbEEZZNS1_14partition_implILS8_3ELb0ES6_jNS0_17counting_iteratorIjlEEPS9_SE_NS0_5tupleIJPjSE_EEENSF_IJSE_SE_EEES9_SG_JZNS1_25segmented_radix_sort_implINS0_14default_configELb0EPKsPsPKlPlN2at6native12_GLOBAL__N_18offset_tEEE10hipError_tPvRmT1_PNSt15iterator_traitsISY_E10value_typeET2_T3_PNSZ_IS14_E10value_typeET4_jRbjT5_S1A_jjP12ihipStream_tbEUljE_EEESV_SW_SX_S14_S18_S1A_T6_T7_T9_mT8_S1C_bDpT10_ENKUlT_T0_E_clISt17integral_constantIbLb0EES1P_EEDaS1K_S1L_EUlS1K_E_NS1_11comp_targetILNS1_3genE5ELNS1_11target_archE942ELNS1_3gpuE9ELNS1_3repE0EEENS1_30default_config_static_selectorELNS0_4arch9wavefront6targetE0EEEvSY_
                                        ; -- End function
	.set _ZN7rocprim17ROCPRIM_400000_NS6detail17trampoline_kernelINS0_13select_configILj256ELj13ELNS0_17block_load_methodE3ELS4_3ELS4_3ELNS0_20block_scan_algorithmE0ELj4294967295EEENS1_25partition_config_selectorILNS1_17partition_subalgoE3EjNS0_10empty_typeEbEEZZNS1_14partition_implILS8_3ELb0ES6_jNS0_17counting_iteratorIjlEEPS9_SE_NS0_5tupleIJPjSE_EEENSF_IJSE_SE_EEES9_SG_JZNS1_25segmented_radix_sort_implINS0_14default_configELb0EPKsPsPKlPlN2at6native12_GLOBAL__N_18offset_tEEE10hipError_tPvRmT1_PNSt15iterator_traitsISY_E10value_typeET2_T3_PNSZ_IS14_E10value_typeET4_jRbjT5_S1A_jjP12ihipStream_tbEUljE_EEESV_SW_SX_S14_S18_S1A_T6_T7_T9_mT8_S1C_bDpT10_ENKUlT_T0_E_clISt17integral_constantIbLb0EES1P_EEDaS1K_S1L_EUlS1K_E_NS1_11comp_targetILNS1_3genE5ELNS1_11target_archE942ELNS1_3gpuE9ELNS1_3repE0EEENS1_30default_config_static_selectorELNS0_4arch9wavefront6targetE0EEEvSY_.num_vgpr, 0
	.set _ZN7rocprim17ROCPRIM_400000_NS6detail17trampoline_kernelINS0_13select_configILj256ELj13ELNS0_17block_load_methodE3ELS4_3ELS4_3ELNS0_20block_scan_algorithmE0ELj4294967295EEENS1_25partition_config_selectorILNS1_17partition_subalgoE3EjNS0_10empty_typeEbEEZZNS1_14partition_implILS8_3ELb0ES6_jNS0_17counting_iteratorIjlEEPS9_SE_NS0_5tupleIJPjSE_EEENSF_IJSE_SE_EEES9_SG_JZNS1_25segmented_radix_sort_implINS0_14default_configELb0EPKsPsPKlPlN2at6native12_GLOBAL__N_18offset_tEEE10hipError_tPvRmT1_PNSt15iterator_traitsISY_E10value_typeET2_T3_PNSZ_IS14_E10value_typeET4_jRbjT5_S1A_jjP12ihipStream_tbEUljE_EEESV_SW_SX_S14_S18_S1A_T6_T7_T9_mT8_S1C_bDpT10_ENKUlT_T0_E_clISt17integral_constantIbLb0EES1P_EEDaS1K_S1L_EUlS1K_E_NS1_11comp_targetILNS1_3genE5ELNS1_11target_archE942ELNS1_3gpuE9ELNS1_3repE0EEENS1_30default_config_static_selectorELNS0_4arch9wavefront6targetE0EEEvSY_.num_agpr, 0
	.set _ZN7rocprim17ROCPRIM_400000_NS6detail17trampoline_kernelINS0_13select_configILj256ELj13ELNS0_17block_load_methodE3ELS4_3ELS4_3ELNS0_20block_scan_algorithmE0ELj4294967295EEENS1_25partition_config_selectorILNS1_17partition_subalgoE3EjNS0_10empty_typeEbEEZZNS1_14partition_implILS8_3ELb0ES6_jNS0_17counting_iteratorIjlEEPS9_SE_NS0_5tupleIJPjSE_EEENSF_IJSE_SE_EEES9_SG_JZNS1_25segmented_radix_sort_implINS0_14default_configELb0EPKsPsPKlPlN2at6native12_GLOBAL__N_18offset_tEEE10hipError_tPvRmT1_PNSt15iterator_traitsISY_E10value_typeET2_T3_PNSZ_IS14_E10value_typeET4_jRbjT5_S1A_jjP12ihipStream_tbEUljE_EEESV_SW_SX_S14_S18_S1A_T6_T7_T9_mT8_S1C_bDpT10_ENKUlT_T0_E_clISt17integral_constantIbLb0EES1P_EEDaS1K_S1L_EUlS1K_E_NS1_11comp_targetILNS1_3genE5ELNS1_11target_archE942ELNS1_3gpuE9ELNS1_3repE0EEENS1_30default_config_static_selectorELNS0_4arch9wavefront6targetE0EEEvSY_.numbered_sgpr, 0
	.set _ZN7rocprim17ROCPRIM_400000_NS6detail17trampoline_kernelINS0_13select_configILj256ELj13ELNS0_17block_load_methodE3ELS4_3ELS4_3ELNS0_20block_scan_algorithmE0ELj4294967295EEENS1_25partition_config_selectorILNS1_17partition_subalgoE3EjNS0_10empty_typeEbEEZZNS1_14partition_implILS8_3ELb0ES6_jNS0_17counting_iteratorIjlEEPS9_SE_NS0_5tupleIJPjSE_EEENSF_IJSE_SE_EEES9_SG_JZNS1_25segmented_radix_sort_implINS0_14default_configELb0EPKsPsPKlPlN2at6native12_GLOBAL__N_18offset_tEEE10hipError_tPvRmT1_PNSt15iterator_traitsISY_E10value_typeET2_T3_PNSZ_IS14_E10value_typeET4_jRbjT5_S1A_jjP12ihipStream_tbEUljE_EEESV_SW_SX_S14_S18_S1A_T6_T7_T9_mT8_S1C_bDpT10_ENKUlT_T0_E_clISt17integral_constantIbLb0EES1P_EEDaS1K_S1L_EUlS1K_E_NS1_11comp_targetILNS1_3genE5ELNS1_11target_archE942ELNS1_3gpuE9ELNS1_3repE0EEENS1_30default_config_static_selectorELNS0_4arch9wavefront6targetE0EEEvSY_.num_named_barrier, 0
	.set _ZN7rocprim17ROCPRIM_400000_NS6detail17trampoline_kernelINS0_13select_configILj256ELj13ELNS0_17block_load_methodE3ELS4_3ELS4_3ELNS0_20block_scan_algorithmE0ELj4294967295EEENS1_25partition_config_selectorILNS1_17partition_subalgoE3EjNS0_10empty_typeEbEEZZNS1_14partition_implILS8_3ELb0ES6_jNS0_17counting_iteratorIjlEEPS9_SE_NS0_5tupleIJPjSE_EEENSF_IJSE_SE_EEES9_SG_JZNS1_25segmented_radix_sort_implINS0_14default_configELb0EPKsPsPKlPlN2at6native12_GLOBAL__N_18offset_tEEE10hipError_tPvRmT1_PNSt15iterator_traitsISY_E10value_typeET2_T3_PNSZ_IS14_E10value_typeET4_jRbjT5_S1A_jjP12ihipStream_tbEUljE_EEESV_SW_SX_S14_S18_S1A_T6_T7_T9_mT8_S1C_bDpT10_ENKUlT_T0_E_clISt17integral_constantIbLb0EES1P_EEDaS1K_S1L_EUlS1K_E_NS1_11comp_targetILNS1_3genE5ELNS1_11target_archE942ELNS1_3gpuE9ELNS1_3repE0EEENS1_30default_config_static_selectorELNS0_4arch9wavefront6targetE0EEEvSY_.private_seg_size, 0
	.set _ZN7rocprim17ROCPRIM_400000_NS6detail17trampoline_kernelINS0_13select_configILj256ELj13ELNS0_17block_load_methodE3ELS4_3ELS4_3ELNS0_20block_scan_algorithmE0ELj4294967295EEENS1_25partition_config_selectorILNS1_17partition_subalgoE3EjNS0_10empty_typeEbEEZZNS1_14partition_implILS8_3ELb0ES6_jNS0_17counting_iteratorIjlEEPS9_SE_NS0_5tupleIJPjSE_EEENSF_IJSE_SE_EEES9_SG_JZNS1_25segmented_radix_sort_implINS0_14default_configELb0EPKsPsPKlPlN2at6native12_GLOBAL__N_18offset_tEEE10hipError_tPvRmT1_PNSt15iterator_traitsISY_E10value_typeET2_T3_PNSZ_IS14_E10value_typeET4_jRbjT5_S1A_jjP12ihipStream_tbEUljE_EEESV_SW_SX_S14_S18_S1A_T6_T7_T9_mT8_S1C_bDpT10_ENKUlT_T0_E_clISt17integral_constantIbLb0EES1P_EEDaS1K_S1L_EUlS1K_E_NS1_11comp_targetILNS1_3genE5ELNS1_11target_archE942ELNS1_3gpuE9ELNS1_3repE0EEENS1_30default_config_static_selectorELNS0_4arch9wavefront6targetE0EEEvSY_.uses_vcc, 0
	.set _ZN7rocprim17ROCPRIM_400000_NS6detail17trampoline_kernelINS0_13select_configILj256ELj13ELNS0_17block_load_methodE3ELS4_3ELS4_3ELNS0_20block_scan_algorithmE0ELj4294967295EEENS1_25partition_config_selectorILNS1_17partition_subalgoE3EjNS0_10empty_typeEbEEZZNS1_14partition_implILS8_3ELb0ES6_jNS0_17counting_iteratorIjlEEPS9_SE_NS0_5tupleIJPjSE_EEENSF_IJSE_SE_EEES9_SG_JZNS1_25segmented_radix_sort_implINS0_14default_configELb0EPKsPsPKlPlN2at6native12_GLOBAL__N_18offset_tEEE10hipError_tPvRmT1_PNSt15iterator_traitsISY_E10value_typeET2_T3_PNSZ_IS14_E10value_typeET4_jRbjT5_S1A_jjP12ihipStream_tbEUljE_EEESV_SW_SX_S14_S18_S1A_T6_T7_T9_mT8_S1C_bDpT10_ENKUlT_T0_E_clISt17integral_constantIbLb0EES1P_EEDaS1K_S1L_EUlS1K_E_NS1_11comp_targetILNS1_3genE5ELNS1_11target_archE942ELNS1_3gpuE9ELNS1_3repE0EEENS1_30default_config_static_selectorELNS0_4arch9wavefront6targetE0EEEvSY_.uses_flat_scratch, 0
	.set _ZN7rocprim17ROCPRIM_400000_NS6detail17trampoline_kernelINS0_13select_configILj256ELj13ELNS0_17block_load_methodE3ELS4_3ELS4_3ELNS0_20block_scan_algorithmE0ELj4294967295EEENS1_25partition_config_selectorILNS1_17partition_subalgoE3EjNS0_10empty_typeEbEEZZNS1_14partition_implILS8_3ELb0ES6_jNS0_17counting_iteratorIjlEEPS9_SE_NS0_5tupleIJPjSE_EEENSF_IJSE_SE_EEES9_SG_JZNS1_25segmented_radix_sort_implINS0_14default_configELb0EPKsPsPKlPlN2at6native12_GLOBAL__N_18offset_tEEE10hipError_tPvRmT1_PNSt15iterator_traitsISY_E10value_typeET2_T3_PNSZ_IS14_E10value_typeET4_jRbjT5_S1A_jjP12ihipStream_tbEUljE_EEESV_SW_SX_S14_S18_S1A_T6_T7_T9_mT8_S1C_bDpT10_ENKUlT_T0_E_clISt17integral_constantIbLb0EES1P_EEDaS1K_S1L_EUlS1K_E_NS1_11comp_targetILNS1_3genE5ELNS1_11target_archE942ELNS1_3gpuE9ELNS1_3repE0EEENS1_30default_config_static_selectorELNS0_4arch9wavefront6targetE0EEEvSY_.has_dyn_sized_stack, 0
	.set _ZN7rocprim17ROCPRIM_400000_NS6detail17trampoline_kernelINS0_13select_configILj256ELj13ELNS0_17block_load_methodE3ELS4_3ELS4_3ELNS0_20block_scan_algorithmE0ELj4294967295EEENS1_25partition_config_selectorILNS1_17partition_subalgoE3EjNS0_10empty_typeEbEEZZNS1_14partition_implILS8_3ELb0ES6_jNS0_17counting_iteratorIjlEEPS9_SE_NS0_5tupleIJPjSE_EEENSF_IJSE_SE_EEES9_SG_JZNS1_25segmented_radix_sort_implINS0_14default_configELb0EPKsPsPKlPlN2at6native12_GLOBAL__N_18offset_tEEE10hipError_tPvRmT1_PNSt15iterator_traitsISY_E10value_typeET2_T3_PNSZ_IS14_E10value_typeET4_jRbjT5_S1A_jjP12ihipStream_tbEUljE_EEESV_SW_SX_S14_S18_S1A_T6_T7_T9_mT8_S1C_bDpT10_ENKUlT_T0_E_clISt17integral_constantIbLb0EES1P_EEDaS1K_S1L_EUlS1K_E_NS1_11comp_targetILNS1_3genE5ELNS1_11target_archE942ELNS1_3gpuE9ELNS1_3repE0EEENS1_30default_config_static_selectorELNS0_4arch9wavefront6targetE0EEEvSY_.has_recursion, 0
	.set _ZN7rocprim17ROCPRIM_400000_NS6detail17trampoline_kernelINS0_13select_configILj256ELj13ELNS0_17block_load_methodE3ELS4_3ELS4_3ELNS0_20block_scan_algorithmE0ELj4294967295EEENS1_25partition_config_selectorILNS1_17partition_subalgoE3EjNS0_10empty_typeEbEEZZNS1_14partition_implILS8_3ELb0ES6_jNS0_17counting_iteratorIjlEEPS9_SE_NS0_5tupleIJPjSE_EEENSF_IJSE_SE_EEES9_SG_JZNS1_25segmented_radix_sort_implINS0_14default_configELb0EPKsPsPKlPlN2at6native12_GLOBAL__N_18offset_tEEE10hipError_tPvRmT1_PNSt15iterator_traitsISY_E10value_typeET2_T3_PNSZ_IS14_E10value_typeET4_jRbjT5_S1A_jjP12ihipStream_tbEUljE_EEESV_SW_SX_S14_S18_S1A_T6_T7_T9_mT8_S1C_bDpT10_ENKUlT_T0_E_clISt17integral_constantIbLb0EES1P_EEDaS1K_S1L_EUlS1K_E_NS1_11comp_targetILNS1_3genE5ELNS1_11target_archE942ELNS1_3gpuE9ELNS1_3repE0EEENS1_30default_config_static_selectorELNS0_4arch9wavefront6targetE0EEEvSY_.has_indirect_call, 0
	.section	.AMDGPU.csdata,"",@progbits
; Kernel info:
; codeLenInByte = 0
; TotalNumSgprs: 0
; NumVgprs: 0
; ScratchSize: 0
; MemoryBound: 0
; FloatMode: 240
; IeeeMode: 1
; LDSByteSize: 0 bytes/workgroup (compile time only)
; SGPRBlocks: 0
; VGPRBlocks: 0
; NumSGPRsForWavesPerEU: 1
; NumVGPRsForWavesPerEU: 1
; NamedBarCnt: 0
; Occupancy: 16
; WaveLimiterHint : 0
; COMPUTE_PGM_RSRC2:SCRATCH_EN: 0
; COMPUTE_PGM_RSRC2:USER_SGPR: 2
; COMPUTE_PGM_RSRC2:TRAP_HANDLER: 0
; COMPUTE_PGM_RSRC2:TGID_X_EN: 1
; COMPUTE_PGM_RSRC2:TGID_Y_EN: 0
; COMPUTE_PGM_RSRC2:TGID_Z_EN: 0
; COMPUTE_PGM_RSRC2:TIDIG_COMP_CNT: 0
	.section	.text._ZN7rocprim17ROCPRIM_400000_NS6detail17trampoline_kernelINS0_13select_configILj256ELj13ELNS0_17block_load_methodE3ELS4_3ELS4_3ELNS0_20block_scan_algorithmE0ELj4294967295EEENS1_25partition_config_selectorILNS1_17partition_subalgoE3EjNS0_10empty_typeEbEEZZNS1_14partition_implILS8_3ELb0ES6_jNS0_17counting_iteratorIjlEEPS9_SE_NS0_5tupleIJPjSE_EEENSF_IJSE_SE_EEES9_SG_JZNS1_25segmented_radix_sort_implINS0_14default_configELb0EPKsPsPKlPlN2at6native12_GLOBAL__N_18offset_tEEE10hipError_tPvRmT1_PNSt15iterator_traitsISY_E10value_typeET2_T3_PNSZ_IS14_E10value_typeET4_jRbjT5_S1A_jjP12ihipStream_tbEUljE_EEESV_SW_SX_S14_S18_S1A_T6_T7_T9_mT8_S1C_bDpT10_ENKUlT_T0_E_clISt17integral_constantIbLb0EES1P_EEDaS1K_S1L_EUlS1K_E_NS1_11comp_targetILNS1_3genE4ELNS1_11target_archE910ELNS1_3gpuE8ELNS1_3repE0EEENS1_30default_config_static_selectorELNS0_4arch9wavefront6targetE0EEEvSY_,"axG",@progbits,_ZN7rocprim17ROCPRIM_400000_NS6detail17trampoline_kernelINS0_13select_configILj256ELj13ELNS0_17block_load_methodE3ELS4_3ELS4_3ELNS0_20block_scan_algorithmE0ELj4294967295EEENS1_25partition_config_selectorILNS1_17partition_subalgoE3EjNS0_10empty_typeEbEEZZNS1_14partition_implILS8_3ELb0ES6_jNS0_17counting_iteratorIjlEEPS9_SE_NS0_5tupleIJPjSE_EEENSF_IJSE_SE_EEES9_SG_JZNS1_25segmented_radix_sort_implINS0_14default_configELb0EPKsPsPKlPlN2at6native12_GLOBAL__N_18offset_tEEE10hipError_tPvRmT1_PNSt15iterator_traitsISY_E10value_typeET2_T3_PNSZ_IS14_E10value_typeET4_jRbjT5_S1A_jjP12ihipStream_tbEUljE_EEESV_SW_SX_S14_S18_S1A_T6_T7_T9_mT8_S1C_bDpT10_ENKUlT_T0_E_clISt17integral_constantIbLb0EES1P_EEDaS1K_S1L_EUlS1K_E_NS1_11comp_targetILNS1_3genE4ELNS1_11target_archE910ELNS1_3gpuE8ELNS1_3repE0EEENS1_30default_config_static_selectorELNS0_4arch9wavefront6targetE0EEEvSY_,comdat
	.globl	_ZN7rocprim17ROCPRIM_400000_NS6detail17trampoline_kernelINS0_13select_configILj256ELj13ELNS0_17block_load_methodE3ELS4_3ELS4_3ELNS0_20block_scan_algorithmE0ELj4294967295EEENS1_25partition_config_selectorILNS1_17partition_subalgoE3EjNS0_10empty_typeEbEEZZNS1_14partition_implILS8_3ELb0ES6_jNS0_17counting_iteratorIjlEEPS9_SE_NS0_5tupleIJPjSE_EEENSF_IJSE_SE_EEES9_SG_JZNS1_25segmented_radix_sort_implINS0_14default_configELb0EPKsPsPKlPlN2at6native12_GLOBAL__N_18offset_tEEE10hipError_tPvRmT1_PNSt15iterator_traitsISY_E10value_typeET2_T3_PNSZ_IS14_E10value_typeET4_jRbjT5_S1A_jjP12ihipStream_tbEUljE_EEESV_SW_SX_S14_S18_S1A_T6_T7_T9_mT8_S1C_bDpT10_ENKUlT_T0_E_clISt17integral_constantIbLb0EES1P_EEDaS1K_S1L_EUlS1K_E_NS1_11comp_targetILNS1_3genE4ELNS1_11target_archE910ELNS1_3gpuE8ELNS1_3repE0EEENS1_30default_config_static_selectorELNS0_4arch9wavefront6targetE0EEEvSY_ ; -- Begin function _ZN7rocprim17ROCPRIM_400000_NS6detail17trampoline_kernelINS0_13select_configILj256ELj13ELNS0_17block_load_methodE3ELS4_3ELS4_3ELNS0_20block_scan_algorithmE0ELj4294967295EEENS1_25partition_config_selectorILNS1_17partition_subalgoE3EjNS0_10empty_typeEbEEZZNS1_14partition_implILS8_3ELb0ES6_jNS0_17counting_iteratorIjlEEPS9_SE_NS0_5tupleIJPjSE_EEENSF_IJSE_SE_EEES9_SG_JZNS1_25segmented_radix_sort_implINS0_14default_configELb0EPKsPsPKlPlN2at6native12_GLOBAL__N_18offset_tEEE10hipError_tPvRmT1_PNSt15iterator_traitsISY_E10value_typeET2_T3_PNSZ_IS14_E10value_typeET4_jRbjT5_S1A_jjP12ihipStream_tbEUljE_EEESV_SW_SX_S14_S18_S1A_T6_T7_T9_mT8_S1C_bDpT10_ENKUlT_T0_E_clISt17integral_constantIbLb0EES1P_EEDaS1K_S1L_EUlS1K_E_NS1_11comp_targetILNS1_3genE4ELNS1_11target_archE910ELNS1_3gpuE8ELNS1_3repE0EEENS1_30default_config_static_selectorELNS0_4arch9wavefront6targetE0EEEvSY_
	.p2align	8
	.type	_ZN7rocprim17ROCPRIM_400000_NS6detail17trampoline_kernelINS0_13select_configILj256ELj13ELNS0_17block_load_methodE3ELS4_3ELS4_3ELNS0_20block_scan_algorithmE0ELj4294967295EEENS1_25partition_config_selectorILNS1_17partition_subalgoE3EjNS0_10empty_typeEbEEZZNS1_14partition_implILS8_3ELb0ES6_jNS0_17counting_iteratorIjlEEPS9_SE_NS0_5tupleIJPjSE_EEENSF_IJSE_SE_EEES9_SG_JZNS1_25segmented_radix_sort_implINS0_14default_configELb0EPKsPsPKlPlN2at6native12_GLOBAL__N_18offset_tEEE10hipError_tPvRmT1_PNSt15iterator_traitsISY_E10value_typeET2_T3_PNSZ_IS14_E10value_typeET4_jRbjT5_S1A_jjP12ihipStream_tbEUljE_EEESV_SW_SX_S14_S18_S1A_T6_T7_T9_mT8_S1C_bDpT10_ENKUlT_T0_E_clISt17integral_constantIbLb0EES1P_EEDaS1K_S1L_EUlS1K_E_NS1_11comp_targetILNS1_3genE4ELNS1_11target_archE910ELNS1_3gpuE8ELNS1_3repE0EEENS1_30default_config_static_selectorELNS0_4arch9wavefront6targetE0EEEvSY_,@function
_ZN7rocprim17ROCPRIM_400000_NS6detail17trampoline_kernelINS0_13select_configILj256ELj13ELNS0_17block_load_methodE3ELS4_3ELS4_3ELNS0_20block_scan_algorithmE0ELj4294967295EEENS1_25partition_config_selectorILNS1_17partition_subalgoE3EjNS0_10empty_typeEbEEZZNS1_14partition_implILS8_3ELb0ES6_jNS0_17counting_iteratorIjlEEPS9_SE_NS0_5tupleIJPjSE_EEENSF_IJSE_SE_EEES9_SG_JZNS1_25segmented_radix_sort_implINS0_14default_configELb0EPKsPsPKlPlN2at6native12_GLOBAL__N_18offset_tEEE10hipError_tPvRmT1_PNSt15iterator_traitsISY_E10value_typeET2_T3_PNSZ_IS14_E10value_typeET4_jRbjT5_S1A_jjP12ihipStream_tbEUljE_EEESV_SW_SX_S14_S18_S1A_T6_T7_T9_mT8_S1C_bDpT10_ENKUlT_T0_E_clISt17integral_constantIbLb0EES1P_EEDaS1K_S1L_EUlS1K_E_NS1_11comp_targetILNS1_3genE4ELNS1_11target_archE910ELNS1_3gpuE8ELNS1_3repE0EEENS1_30default_config_static_selectorELNS0_4arch9wavefront6targetE0EEEvSY_: ; @_ZN7rocprim17ROCPRIM_400000_NS6detail17trampoline_kernelINS0_13select_configILj256ELj13ELNS0_17block_load_methodE3ELS4_3ELS4_3ELNS0_20block_scan_algorithmE0ELj4294967295EEENS1_25partition_config_selectorILNS1_17partition_subalgoE3EjNS0_10empty_typeEbEEZZNS1_14partition_implILS8_3ELb0ES6_jNS0_17counting_iteratorIjlEEPS9_SE_NS0_5tupleIJPjSE_EEENSF_IJSE_SE_EEES9_SG_JZNS1_25segmented_radix_sort_implINS0_14default_configELb0EPKsPsPKlPlN2at6native12_GLOBAL__N_18offset_tEEE10hipError_tPvRmT1_PNSt15iterator_traitsISY_E10value_typeET2_T3_PNSZ_IS14_E10value_typeET4_jRbjT5_S1A_jjP12ihipStream_tbEUljE_EEESV_SW_SX_S14_S18_S1A_T6_T7_T9_mT8_S1C_bDpT10_ENKUlT_T0_E_clISt17integral_constantIbLb0EES1P_EEDaS1K_S1L_EUlS1K_E_NS1_11comp_targetILNS1_3genE4ELNS1_11target_archE910ELNS1_3gpuE8ELNS1_3repE0EEENS1_30default_config_static_selectorELNS0_4arch9wavefront6targetE0EEEvSY_
; %bb.0:
	.section	.rodata,"a",@progbits
	.p2align	6, 0x0
	.amdhsa_kernel _ZN7rocprim17ROCPRIM_400000_NS6detail17trampoline_kernelINS0_13select_configILj256ELj13ELNS0_17block_load_methodE3ELS4_3ELS4_3ELNS0_20block_scan_algorithmE0ELj4294967295EEENS1_25partition_config_selectorILNS1_17partition_subalgoE3EjNS0_10empty_typeEbEEZZNS1_14partition_implILS8_3ELb0ES6_jNS0_17counting_iteratorIjlEEPS9_SE_NS0_5tupleIJPjSE_EEENSF_IJSE_SE_EEES9_SG_JZNS1_25segmented_radix_sort_implINS0_14default_configELb0EPKsPsPKlPlN2at6native12_GLOBAL__N_18offset_tEEE10hipError_tPvRmT1_PNSt15iterator_traitsISY_E10value_typeET2_T3_PNSZ_IS14_E10value_typeET4_jRbjT5_S1A_jjP12ihipStream_tbEUljE_EEESV_SW_SX_S14_S18_S1A_T6_T7_T9_mT8_S1C_bDpT10_ENKUlT_T0_E_clISt17integral_constantIbLb0EES1P_EEDaS1K_S1L_EUlS1K_E_NS1_11comp_targetILNS1_3genE4ELNS1_11target_archE910ELNS1_3gpuE8ELNS1_3repE0EEENS1_30default_config_static_selectorELNS0_4arch9wavefront6targetE0EEEvSY_
		.amdhsa_group_segment_fixed_size 0
		.amdhsa_private_segment_fixed_size 0
		.amdhsa_kernarg_size 144
		.amdhsa_user_sgpr_count 2
		.amdhsa_user_sgpr_dispatch_ptr 0
		.amdhsa_user_sgpr_queue_ptr 0
		.amdhsa_user_sgpr_kernarg_segment_ptr 1
		.amdhsa_user_sgpr_dispatch_id 0
		.amdhsa_user_sgpr_kernarg_preload_length 0
		.amdhsa_user_sgpr_kernarg_preload_offset 0
		.amdhsa_user_sgpr_private_segment_size 0
		.amdhsa_wavefront_size32 1
		.amdhsa_uses_dynamic_stack 0
		.amdhsa_enable_private_segment 0
		.amdhsa_system_sgpr_workgroup_id_x 1
		.amdhsa_system_sgpr_workgroup_id_y 0
		.amdhsa_system_sgpr_workgroup_id_z 0
		.amdhsa_system_sgpr_workgroup_info 0
		.amdhsa_system_vgpr_workitem_id 0
		.amdhsa_next_free_vgpr 1
		.amdhsa_next_free_sgpr 1
		.amdhsa_named_barrier_count 0
		.amdhsa_reserve_vcc 0
		.amdhsa_float_round_mode_32 0
		.amdhsa_float_round_mode_16_64 0
		.amdhsa_float_denorm_mode_32 3
		.amdhsa_float_denorm_mode_16_64 3
		.amdhsa_fp16_overflow 0
		.amdhsa_memory_ordered 1
		.amdhsa_forward_progress 1
		.amdhsa_inst_pref_size 0
		.amdhsa_round_robin_scheduling 0
		.amdhsa_exception_fp_ieee_invalid_op 0
		.amdhsa_exception_fp_denorm_src 0
		.amdhsa_exception_fp_ieee_div_zero 0
		.amdhsa_exception_fp_ieee_overflow 0
		.amdhsa_exception_fp_ieee_underflow 0
		.amdhsa_exception_fp_ieee_inexact 0
		.amdhsa_exception_int_div_zero 0
	.end_amdhsa_kernel
	.section	.text._ZN7rocprim17ROCPRIM_400000_NS6detail17trampoline_kernelINS0_13select_configILj256ELj13ELNS0_17block_load_methodE3ELS4_3ELS4_3ELNS0_20block_scan_algorithmE0ELj4294967295EEENS1_25partition_config_selectorILNS1_17partition_subalgoE3EjNS0_10empty_typeEbEEZZNS1_14partition_implILS8_3ELb0ES6_jNS0_17counting_iteratorIjlEEPS9_SE_NS0_5tupleIJPjSE_EEENSF_IJSE_SE_EEES9_SG_JZNS1_25segmented_radix_sort_implINS0_14default_configELb0EPKsPsPKlPlN2at6native12_GLOBAL__N_18offset_tEEE10hipError_tPvRmT1_PNSt15iterator_traitsISY_E10value_typeET2_T3_PNSZ_IS14_E10value_typeET4_jRbjT5_S1A_jjP12ihipStream_tbEUljE_EEESV_SW_SX_S14_S18_S1A_T6_T7_T9_mT8_S1C_bDpT10_ENKUlT_T0_E_clISt17integral_constantIbLb0EES1P_EEDaS1K_S1L_EUlS1K_E_NS1_11comp_targetILNS1_3genE4ELNS1_11target_archE910ELNS1_3gpuE8ELNS1_3repE0EEENS1_30default_config_static_selectorELNS0_4arch9wavefront6targetE0EEEvSY_,"axG",@progbits,_ZN7rocprim17ROCPRIM_400000_NS6detail17trampoline_kernelINS0_13select_configILj256ELj13ELNS0_17block_load_methodE3ELS4_3ELS4_3ELNS0_20block_scan_algorithmE0ELj4294967295EEENS1_25partition_config_selectorILNS1_17partition_subalgoE3EjNS0_10empty_typeEbEEZZNS1_14partition_implILS8_3ELb0ES6_jNS0_17counting_iteratorIjlEEPS9_SE_NS0_5tupleIJPjSE_EEENSF_IJSE_SE_EEES9_SG_JZNS1_25segmented_radix_sort_implINS0_14default_configELb0EPKsPsPKlPlN2at6native12_GLOBAL__N_18offset_tEEE10hipError_tPvRmT1_PNSt15iterator_traitsISY_E10value_typeET2_T3_PNSZ_IS14_E10value_typeET4_jRbjT5_S1A_jjP12ihipStream_tbEUljE_EEESV_SW_SX_S14_S18_S1A_T6_T7_T9_mT8_S1C_bDpT10_ENKUlT_T0_E_clISt17integral_constantIbLb0EES1P_EEDaS1K_S1L_EUlS1K_E_NS1_11comp_targetILNS1_3genE4ELNS1_11target_archE910ELNS1_3gpuE8ELNS1_3repE0EEENS1_30default_config_static_selectorELNS0_4arch9wavefront6targetE0EEEvSY_,comdat
.Lfunc_end979:
	.size	_ZN7rocprim17ROCPRIM_400000_NS6detail17trampoline_kernelINS0_13select_configILj256ELj13ELNS0_17block_load_methodE3ELS4_3ELS4_3ELNS0_20block_scan_algorithmE0ELj4294967295EEENS1_25partition_config_selectorILNS1_17partition_subalgoE3EjNS0_10empty_typeEbEEZZNS1_14partition_implILS8_3ELb0ES6_jNS0_17counting_iteratorIjlEEPS9_SE_NS0_5tupleIJPjSE_EEENSF_IJSE_SE_EEES9_SG_JZNS1_25segmented_radix_sort_implINS0_14default_configELb0EPKsPsPKlPlN2at6native12_GLOBAL__N_18offset_tEEE10hipError_tPvRmT1_PNSt15iterator_traitsISY_E10value_typeET2_T3_PNSZ_IS14_E10value_typeET4_jRbjT5_S1A_jjP12ihipStream_tbEUljE_EEESV_SW_SX_S14_S18_S1A_T6_T7_T9_mT8_S1C_bDpT10_ENKUlT_T0_E_clISt17integral_constantIbLb0EES1P_EEDaS1K_S1L_EUlS1K_E_NS1_11comp_targetILNS1_3genE4ELNS1_11target_archE910ELNS1_3gpuE8ELNS1_3repE0EEENS1_30default_config_static_selectorELNS0_4arch9wavefront6targetE0EEEvSY_, .Lfunc_end979-_ZN7rocprim17ROCPRIM_400000_NS6detail17trampoline_kernelINS0_13select_configILj256ELj13ELNS0_17block_load_methodE3ELS4_3ELS4_3ELNS0_20block_scan_algorithmE0ELj4294967295EEENS1_25partition_config_selectorILNS1_17partition_subalgoE3EjNS0_10empty_typeEbEEZZNS1_14partition_implILS8_3ELb0ES6_jNS0_17counting_iteratorIjlEEPS9_SE_NS0_5tupleIJPjSE_EEENSF_IJSE_SE_EEES9_SG_JZNS1_25segmented_radix_sort_implINS0_14default_configELb0EPKsPsPKlPlN2at6native12_GLOBAL__N_18offset_tEEE10hipError_tPvRmT1_PNSt15iterator_traitsISY_E10value_typeET2_T3_PNSZ_IS14_E10value_typeET4_jRbjT5_S1A_jjP12ihipStream_tbEUljE_EEESV_SW_SX_S14_S18_S1A_T6_T7_T9_mT8_S1C_bDpT10_ENKUlT_T0_E_clISt17integral_constantIbLb0EES1P_EEDaS1K_S1L_EUlS1K_E_NS1_11comp_targetILNS1_3genE4ELNS1_11target_archE910ELNS1_3gpuE8ELNS1_3repE0EEENS1_30default_config_static_selectorELNS0_4arch9wavefront6targetE0EEEvSY_
                                        ; -- End function
	.set _ZN7rocprim17ROCPRIM_400000_NS6detail17trampoline_kernelINS0_13select_configILj256ELj13ELNS0_17block_load_methodE3ELS4_3ELS4_3ELNS0_20block_scan_algorithmE0ELj4294967295EEENS1_25partition_config_selectorILNS1_17partition_subalgoE3EjNS0_10empty_typeEbEEZZNS1_14partition_implILS8_3ELb0ES6_jNS0_17counting_iteratorIjlEEPS9_SE_NS0_5tupleIJPjSE_EEENSF_IJSE_SE_EEES9_SG_JZNS1_25segmented_radix_sort_implINS0_14default_configELb0EPKsPsPKlPlN2at6native12_GLOBAL__N_18offset_tEEE10hipError_tPvRmT1_PNSt15iterator_traitsISY_E10value_typeET2_T3_PNSZ_IS14_E10value_typeET4_jRbjT5_S1A_jjP12ihipStream_tbEUljE_EEESV_SW_SX_S14_S18_S1A_T6_T7_T9_mT8_S1C_bDpT10_ENKUlT_T0_E_clISt17integral_constantIbLb0EES1P_EEDaS1K_S1L_EUlS1K_E_NS1_11comp_targetILNS1_3genE4ELNS1_11target_archE910ELNS1_3gpuE8ELNS1_3repE0EEENS1_30default_config_static_selectorELNS0_4arch9wavefront6targetE0EEEvSY_.num_vgpr, 0
	.set _ZN7rocprim17ROCPRIM_400000_NS6detail17trampoline_kernelINS0_13select_configILj256ELj13ELNS0_17block_load_methodE3ELS4_3ELS4_3ELNS0_20block_scan_algorithmE0ELj4294967295EEENS1_25partition_config_selectorILNS1_17partition_subalgoE3EjNS0_10empty_typeEbEEZZNS1_14partition_implILS8_3ELb0ES6_jNS0_17counting_iteratorIjlEEPS9_SE_NS0_5tupleIJPjSE_EEENSF_IJSE_SE_EEES9_SG_JZNS1_25segmented_radix_sort_implINS0_14default_configELb0EPKsPsPKlPlN2at6native12_GLOBAL__N_18offset_tEEE10hipError_tPvRmT1_PNSt15iterator_traitsISY_E10value_typeET2_T3_PNSZ_IS14_E10value_typeET4_jRbjT5_S1A_jjP12ihipStream_tbEUljE_EEESV_SW_SX_S14_S18_S1A_T6_T7_T9_mT8_S1C_bDpT10_ENKUlT_T0_E_clISt17integral_constantIbLb0EES1P_EEDaS1K_S1L_EUlS1K_E_NS1_11comp_targetILNS1_3genE4ELNS1_11target_archE910ELNS1_3gpuE8ELNS1_3repE0EEENS1_30default_config_static_selectorELNS0_4arch9wavefront6targetE0EEEvSY_.num_agpr, 0
	.set _ZN7rocprim17ROCPRIM_400000_NS6detail17trampoline_kernelINS0_13select_configILj256ELj13ELNS0_17block_load_methodE3ELS4_3ELS4_3ELNS0_20block_scan_algorithmE0ELj4294967295EEENS1_25partition_config_selectorILNS1_17partition_subalgoE3EjNS0_10empty_typeEbEEZZNS1_14partition_implILS8_3ELb0ES6_jNS0_17counting_iteratorIjlEEPS9_SE_NS0_5tupleIJPjSE_EEENSF_IJSE_SE_EEES9_SG_JZNS1_25segmented_radix_sort_implINS0_14default_configELb0EPKsPsPKlPlN2at6native12_GLOBAL__N_18offset_tEEE10hipError_tPvRmT1_PNSt15iterator_traitsISY_E10value_typeET2_T3_PNSZ_IS14_E10value_typeET4_jRbjT5_S1A_jjP12ihipStream_tbEUljE_EEESV_SW_SX_S14_S18_S1A_T6_T7_T9_mT8_S1C_bDpT10_ENKUlT_T0_E_clISt17integral_constantIbLb0EES1P_EEDaS1K_S1L_EUlS1K_E_NS1_11comp_targetILNS1_3genE4ELNS1_11target_archE910ELNS1_3gpuE8ELNS1_3repE0EEENS1_30default_config_static_selectorELNS0_4arch9wavefront6targetE0EEEvSY_.numbered_sgpr, 0
	.set _ZN7rocprim17ROCPRIM_400000_NS6detail17trampoline_kernelINS0_13select_configILj256ELj13ELNS0_17block_load_methodE3ELS4_3ELS4_3ELNS0_20block_scan_algorithmE0ELj4294967295EEENS1_25partition_config_selectorILNS1_17partition_subalgoE3EjNS0_10empty_typeEbEEZZNS1_14partition_implILS8_3ELb0ES6_jNS0_17counting_iteratorIjlEEPS9_SE_NS0_5tupleIJPjSE_EEENSF_IJSE_SE_EEES9_SG_JZNS1_25segmented_radix_sort_implINS0_14default_configELb0EPKsPsPKlPlN2at6native12_GLOBAL__N_18offset_tEEE10hipError_tPvRmT1_PNSt15iterator_traitsISY_E10value_typeET2_T3_PNSZ_IS14_E10value_typeET4_jRbjT5_S1A_jjP12ihipStream_tbEUljE_EEESV_SW_SX_S14_S18_S1A_T6_T7_T9_mT8_S1C_bDpT10_ENKUlT_T0_E_clISt17integral_constantIbLb0EES1P_EEDaS1K_S1L_EUlS1K_E_NS1_11comp_targetILNS1_3genE4ELNS1_11target_archE910ELNS1_3gpuE8ELNS1_3repE0EEENS1_30default_config_static_selectorELNS0_4arch9wavefront6targetE0EEEvSY_.num_named_barrier, 0
	.set _ZN7rocprim17ROCPRIM_400000_NS6detail17trampoline_kernelINS0_13select_configILj256ELj13ELNS0_17block_load_methodE3ELS4_3ELS4_3ELNS0_20block_scan_algorithmE0ELj4294967295EEENS1_25partition_config_selectorILNS1_17partition_subalgoE3EjNS0_10empty_typeEbEEZZNS1_14partition_implILS8_3ELb0ES6_jNS0_17counting_iteratorIjlEEPS9_SE_NS0_5tupleIJPjSE_EEENSF_IJSE_SE_EEES9_SG_JZNS1_25segmented_radix_sort_implINS0_14default_configELb0EPKsPsPKlPlN2at6native12_GLOBAL__N_18offset_tEEE10hipError_tPvRmT1_PNSt15iterator_traitsISY_E10value_typeET2_T3_PNSZ_IS14_E10value_typeET4_jRbjT5_S1A_jjP12ihipStream_tbEUljE_EEESV_SW_SX_S14_S18_S1A_T6_T7_T9_mT8_S1C_bDpT10_ENKUlT_T0_E_clISt17integral_constantIbLb0EES1P_EEDaS1K_S1L_EUlS1K_E_NS1_11comp_targetILNS1_3genE4ELNS1_11target_archE910ELNS1_3gpuE8ELNS1_3repE0EEENS1_30default_config_static_selectorELNS0_4arch9wavefront6targetE0EEEvSY_.private_seg_size, 0
	.set _ZN7rocprim17ROCPRIM_400000_NS6detail17trampoline_kernelINS0_13select_configILj256ELj13ELNS0_17block_load_methodE3ELS4_3ELS4_3ELNS0_20block_scan_algorithmE0ELj4294967295EEENS1_25partition_config_selectorILNS1_17partition_subalgoE3EjNS0_10empty_typeEbEEZZNS1_14partition_implILS8_3ELb0ES6_jNS0_17counting_iteratorIjlEEPS9_SE_NS0_5tupleIJPjSE_EEENSF_IJSE_SE_EEES9_SG_JZNS1_25segmented_radix_sort_implINS0_14default_configELb0EPKsPsPKlPlN2at6native12_GLOBAL__N_18offset_tEEE10hipError_tPvRmT1_PNSt15iterator_traitsISY_E10value_typeET2_T3_PNSZ_IS14_E10value_typeET4_jRbjT5_S1A_jjP12ihipStream_tbEUljE_EEESV_SW_SX_S14_S18_S1A_T6_T7_T9_mT8_S1C_bDpT10_ENKUlT_T0_E_clISt17integral_constantIbLb0EES1P_EEDaS1K_S1L_EUlS1K_E_NS1_11comp_targetILNS1_3genE4ELNS1_11target_archE910ELNS1_3gpuE8ELNS1_3repE0EEENS1_30default_config_static_selectorELNS0_4arch9wavefront6targetE0EEEvSY_.uses_vcc, 0
	.set _ZN7rocprim17ROCPRIM_400000_NS6detail17trampoline_kernelINS0_13select_configILj256ELj13ELNS0_17block_load_methodE3ELS4_3ELS4_3ELNS0_20block_scan_algorithmE0ELj4294967295EEENS1_25partition_config_selectorILNS1_17partition_subalgoE3EjNS0_10empty_typeEbEEZZNS1_14partition_implILS8_3ELb0ES6_jNS0_17counting_iteratorIjlEEPS9_SE_NS0_5tupleIJPjSE_EEENSF_IJSE_SE_EEES9_SG_JZNS1_25segmented_radix_sort_implINS0_14default_configELb0EPKsPsPKlPlN2at6native12_GLOBAL__N_18offset_tEEE10hipError_tPvRmT1_PNSt15iterator_traitsISY_E10value_typeET2_T3_PNSZ_IS14_E10value_typeET4_jRbjT5_S1A_jjP12ihipStream_tbEUljE_EEESV_SW_SX_S14_S18_S1A_T6_T7_T9_mT8_S1C_bDpT10_ENKUlT_T0_E_clISt17integral_constantIbLb0EES1P_EEDaS1K_S1L_EUlS1K_E_NS1_11comp_targetILNS1_3genE4ELNS1_11target_archE910ELNS1_3gpuE8ELNS1_3repE0EEENS1_30default_config_static_selectorELNS0_4arch9wavefront6targetE0EEEvSY_.uses_flat_scratch, 0
	.set _ZN7rocprim17ROCPRIM_400000_NS6detail17trampoline_kernelINS0_13select_configILj256ELj13ELNS0_17block_load_methodE3ELS4_3ELS4_3ELNS0_20block_scan_algorithmE0ELj4294967295EEENS1_25partition_config_selectorILNS1_17partition_subalgoE3EjNS0_10empty_typeEbEEZZNS1_14partition_implILS8_3ELb0ES6_jNS0_17counting_iteratorIjlEEPS9_SE_NS0_5tupleIJPjSE_EEENSF_IJSE_SE_EEES9_SG_JZNS1_25segmented_radix_sort_implINS0_14default_configELb0EPKsPsPKlPlN2at6native12_GLOBAL__N_18offset_tEEE10hipError_tPvRmT1_PNSt15iterator_traitsISY_E10value_typeET2_T3_PNSZ_IS14_E10value_typeET4_jRbjT5_S1A_jjP12ihipStream_tbEUljE_EEESV_SW_SX_S14_S18_S1A_T6_T7_T9_mT8_S1C_bDpT10_ENKUlT_T0_E_clISt17integral_constantIbLb0EES1P_EEDaS1K_S1L_EUlS1K_E_NS1_11comp_targetILNS1_3genE4ELNS1_11target_archE910ELNS1_3gpuE8ELNS1_3repE0EEENS1_30default_config_static_selectorELNS0_4arch9wavefront6targetE0EEEvSY_.has_dyn_sized_stack, 0
	.set _ZN7rocprim17ROCPRIM_400000_NS6detail17trampoline_kernelINS0_13select_configILj256ELj13ELNS0_17block_load_methodE3ELS4_3ELS4_3ELNS0_20block_scan_algorithmE0ELj4294967295EEENS1_25partition_config_selectorILNS1_17partition_subalgoE3EjNS0_10empty_typeEbEEZZNS1_14partition_implILS8_3ELb0ES6_jNS0_17counting_iteratorIjlEEPS9_SE_NS0_5tupleIJPjSE_EEENSF_IJSE_SE_EEES9_SG_JZNS1_25segmented_radix_sort_implINS0_14default_configELb0EPKsPsPKlPlN2at6native12_GLOBAL__N_18offset_tEEE10hipError_tPvRmT1_PNSt15iterator_traitsISY_E10value_typeET2_T3_PNSZ_IS14_E10value_typeET4_jRbjT5_S1A_jjP12ihipStream_tbEUljE_EEESV_SW_SX_S14_S18_S1A_T6_T7_T9_mT8_S1C_bDpT10_ENKUlT_T0_E_clISt17integral_constantIbLb0EES1P_EEDaS1K_S1L_EUlS1K_E_NS1_11comp_targetILNS1_3genE4ELNS1_11target_archE910ELNS1_3gpuE8ELNS1_3repE0EEENS1_30default_config_static_selectorELNS0_4arch9wavefront6targetE0EEEvSY_.has_recursion, 0
	.set _ZN7rocprim17ROCPRIM_400000_NS6detail17trampoline_kernelINS0_13select_configILj256ELj13ELNS0_17block_load_methodE3ELS4_3ELS4_3ELNS0_20block_scan_algorithmE0ELj4294967295EEENS1_25partition_config_selectorILNS1_17partition_subalgoE3EjNS0_10empty_typeEbEEZZNS1_14partition_implILS8_3ELb0ES6_jNS0_17counting_iteratorIjlEEPS9_SE_NS0_5tupleIJPjSE_EEENSF_IJSE_SE_EEES9_SG_JZNS1_25segmented_radix_sort_implINS0_14default_configELb0EPKsPsPKlPlN2at6native12_GLOBAL__N_18offset_tEEE10hipError_tPvRmT1_PNSt15iterator_traitsISY_E10value_typeET2_T3_PNSZ_IS14_E10value_typeET4_jRbjT5_S1A_jjP12ihipStream_tbEUljE_EEESV_SW_SX_S14_S18_S1A_T6_T7_T9_mT8_S1C_bDpT10_ENKUlT_T0_E_clISt17integral_constantIbLb0EES1P_EEDaS1K_S1L_EUlS1K_E_NS1_11comp_targetILNS1_3genE4ELNS1_11target_archE910ELNS1_3gpuE8ELNS1_3repE0EEENS1_30default_config_static_selectorELNS0_4arch9wavefront6targetE0EEEvSY_.has_indirect_call, 0
	.section	.AMDGPU.csdata,"",@progbits
; Kernel info:
; codeLenInByte = 0
; TotalNumSgprs: 0
; NumVgprs: 0
; ScratchSize: 0
; MemoryBound: 0
; FloatMode: 240
; IeeeMode: 1
; LDSByteSize: 0 bytes/workgroup (compile time only)
; SGPRBlocks: 0
; VGPRBlocks: 0
; NumSGPRsForWavesPerEU: 1
; NumVGPRsForWavesPerEU: 1
; NamedBarCnt: 0
; Occupancy: 16
; WaveLimiterHint : 0
; COMPUTE_PGM_RSRC2:SCRATCH_EN: 0
; COMPUTE_PGM_RSRC2:USER_SGPR: 2
; COMPUTE_PGM_RSRC2:TRAP_HANDLER: 0
; COMPUTE_PGM_RSRC2:TGID_X_EN: 1
; COMPUTE_PGM_RSRC2:TGID_Y_EN: 0
; COMPUTE_PGM_RSRC2:TGID_Z_EN: 0
; COMPUTE_PGM_RSRC2:TIDIG_COMP_CNT: 0
	.section	.text._ZN7rocprim17ROCPRIM_400000_NS6detail17trampoline_kernelINS0_13select_configILj256ELj13ELNS0_17block_load_methodE3ELS4_3ELS4_3ELNS0_20block_scan_algorithmE0ELj4294967295EEENS1_25partition_config_selectorILNS1_17partition_subalgoE3EjNS0_10empty_typeEbEEZZNS1_14partition_implILS8_3ELb0ES6_jNS0_17counting_iteratorIjlEEPS9_SE_NS0_5tupleIJPjSE_EEENSF_IJSE_SE_EEES9_SG_JZNS1_25segmented_radix_sort_implINS0_14default_configELb0EPKsPsPKlPlN2at6native12_GLOBAL__N_18offset_tEEE10hipError_tPvRmT1_PNSt15iterator_traitsISY_E10value_typeET2_T3_PNSZ_IS14_E10value_typeET4_jRbjT5_S1A_jjP12ihipStream_tbEUljE_EEESV_SW_SX_S14_S18_S1A_T6_T7_T9_mT8_S1C_bDpT10_ENKUlT_T0_E_clISt17integral_constantIbLb0EES1P_EEDaS1K_S1L_EUlS1K_E_NS1_11comp_targetILNS1_3genE3ELNS1_11target_archE908ELNS1_3gpuE7ELNS1_3repE0EEENS1_30default_config_static_selectorELNS0_4arch9wavefront6targetE0EEEvSY_,"axG",@progbits,_ZN7rocprim17ROCPRIM_400000_NS6detail17trampoline_kernelINS0_13select_configILj256ELj13ELNS0_17block_load_methodE3ELS4_3ELS4_3ELNS0_20block_scan_algorithmE0ELj4294967295EEENS1_25partition_config_selectorILNS1_17partition_subalgoE3EjNS0_10empty_typeEbEEZZNS1_14partition_implILS8_3ELb0ES6_jNS0_17counting_iteratorIjlEEPS9_SE_NS0_5tupleIJPjSE_EEENSF_IJSE_SE_EEES9_SG_JZNS1_25segmented_radix_sort_implINS0_14default_configELb0EPKsPsPKlPlN2at6native12_GLOBAL__N_18offset_tEEE10hipError_tPvRmT1_PNSt15iterator_traitsISY_E10value_typeET2_T3_PNSZ_IS14_E10value_typeET4_jRbjT5_S1A_jjP12ihipStream_tbEUljE_EEESV_SW_SX_S14_S18_S1A_T6_T7_T9_mT8_S1C_bDpT10_ENKUlT_T0_E_clISt17integral_constantIbLb0EES1P_EEDaS1K_S1L_EUlS1K_E_NS1_11comp_targetILNS1_3genE3ELNS1_11target_archE908ELNS1_3gpuE7ELNS1_3repE0EEENS1_30default_config_static_selectorELNS0_4arch9wavefront6targetE0EEEvSY_,comdat
	.globl	_ZN7rocprim17ROCPRIM_400000_NS6detail17trampoline_kernelINS0_13select_configILj256ELj13ELNS0_17block_load_methodE3ELS4_3ELS4_3ELNS0_20block_scan_algorithmE0ELj4294967295EEENS1_25partition_config_selectorILNS1_17partition_subalgoE3EjNS0_10empty_typeEbEEZZNS1_14partition_implILS8_3ELb0ES6_jNS0_17counting_iteratorIjlEEPS9_SE_NS0_5tupleIJPjSE_EEENSF_IJSE_SE_EEES9_SG_JZNS1_25segmented_radix_sort_implINS0_14default_configELb0EPKsPsPKlPlN2at6native12_GLOBAL__N_18offset_tEEE10hipError_tPvRmT1_PNSt15iterator_traitsISY_E10value_typeET2_T3_PNSZ_IS14_E10value_typeET4_jRbjT5_S1A_jjP12ihipStream_tbEUljE_EEESV_SW_SX_S14_S18_S1A_T6_T7_T9_mT8_S1C_bDpT10_ENKUlT_T0_E_clISt17integral_constantIbLb0EES1P_EEDaS1K_S1L_EUlS1K_E_NS1_11comp_targetILNS1_3genE3ELNS1_11target_archE908ELNS1_3gpuE7ELNS1_3repE0EEENS1_30default_config_static_selectorELNS0_4arch9wavefront6targetE0EEEvSY_ ; -- Begin function _ZN7rocprim17ROCPRIM_400000_NS6detail17trampoline_kernelINS0_13select_configILj256ELj13ELNS0_17block_load_methodE3ELS4_3ELS4_3ELNS0_20block_scan_algorithmE0ELj4294967295EEENS1_25partition_config_selectorILNS1_17partition_subalgoE3EjNS0_10empty_typeEbEEZZNS1_14partition_implILS8_3ELb0ES6_jNS0_17counting_iteratorIjlEEPS9_SE_NS0_5tupleIJPjSE_EEENSF_IJSE_SE_EEES9_SG_JZNS1_25segmented_radix_sort_implINS0_14default_configELb0EPKsPsPKlPlN2at6native12_GLOBAL__N_18offset_tEEE10hipError_tPvRmT1_PNSt15iterator_traitsISY_E10value_typeET2_T3_PNSZ_IS14_E10value_typeET4_jRbjT5_S1A_jjP12ihipStream_tbEUljE_EEESV_SW_SX_S14_S18_S1A_T6_T7_T9_mT8_S1C_bDpT10_ENKUlT_T0_E_clISt17integral_constantIbLb0EES1P_EEDaS1K_S1L_EUlS1K_E_NS1_11comp_targetILNS1_3genE3ELNS1_11target_archE908ELNS1_3gpuE7ELNS1_3repE0EEENS1_30default_config_static_selectorELNS0_4arch9wavefront6targetE0EEEvSY_
	.p2align	8
	.type	_ZN7rocprim17ROCPRIM_400000_NS6detail17trampoline_kernelINS0_13select_configILj256ELj13ELNS0_17block_load_methodE3ELS4_3ELS4_3ELNS0_20block_scan_algorithmE0ELj4294967295EEENS1_25partition_config_selectorILNS1_17partition_subalgoE3EjNS0_10empty_typeEbEEZZNS1_14partition_implILS8_3ELb0ES6_jNS0_17counting_iteratorIjlEEPS9_SE_NS0_5tupleIJPjSE_EEENSF_IJSE_SE_EEES9_SG_JZNS1_25segmented_radix_sort_implINS0_14default_configELb0EPKsPsPKlPlN2at6native12_GLOBAL__N_18offset_tEEE10hipError_tPvRmT1_PNSt15iterator_traitsISY_E10value_typeET2_T3_PNSZ_IS14_E10value_typeET4_jRbjT5_S1A_jjP12ihipStream_tbEUljE_EEESV_SW_SX_S14_S18_S1A_T6_T7_T9_mT8_S1C_bDpT10_ENKUlT_T0_E_clISt17integral_constantIbLb0EES1P_EEDaS1K_S1L_EUlS1K_E_NS1_11comp_targetILNS1_3genE3ELNS1_11target_archE908ELNS1_3gpuE7ELNS1_3repE0EEENS1_30default_config_static_selectorELNS0_4arch9wavefront6targetE0EEEvSY_,@function
_ZN7rocprim17ROCPRIM_400000_NS6detail17trampoline_kernelINS0_13select_configILj256ELj13ELNS0_17block_load_methodE3ELS4_3ELS4_3ELNS0_20block_scan_algorithmE0ELj4294967295EEENS1_25partition_config_selectorILNS1_17partition_subalgoE3EjNS0_10empty_typeEbEEZZNS1_14partition_implILS8_3ELb0ES6_jNS0_17counting_iteratorIjlEEPS9_SE_NS0_5tupleIJPjSE_EEENSF_IJSE_SE_EEES9_SG_JZNS1_25segmented_radix_sort_implINS0_14default_configELb0EPKsPsPKlPlN2at6native12_GLOBAL__N_18offset_tEEE10hipError_tPvRmT1_PNSt15iterator_traitsISY_E10value_typeET2_T3_PNSZ_IS14_E10value_typeET4_jRbjT5_S1A_jjP12ihipStream_tbEUljE_EEESV_SW_SX_S14_S18_S1A_T6_T7_T9_mT8_S1C_bDpT10_ENKUlT_T0_E_clISt17integral_constantIbLb0EES1P_EEDaS1K_S1L_EUlS1K_E_NS1_11comp_targetILNS1_3genE3ELNS1_11target_archE908ELNS1_3gpuE7ELNS1_3repE0EEENS1_30default_config_static_selectorELNS0_4arch9wavefront6targetE0EEEvSY_: ; @_ZN7rocprim17ROCPRIM_400000_NS6detail17trampoline_kernelINS0_13select_configILj256ELj13ELNS0_17block_load_methodE3ELS4_3ELS4_3ELNS0_20block_scan_algorithmE0ELj4294967295EEENS1_25partition_config_selectorILNS1_17partition_subalgoE3EjNS0_10empty_typeEbEEZZNS1_14partition_implILS8_3ELb0ES6_jNS0_17counting_iteratorIjlEEPS9_SE_NS0_5tupleIJPjSE_EEENSF_IJSE_SE_EEES9_SG_JZNS1_25segmented_radix_sort_implINS0_14default_configELb0EPKsPsPKlPlN2at6native12_GLOBAL__N_18offset_tEEE10hipError_tPvRmT1_PNSt15iterator_traitsISY_E10value_typeET2_T3_PNSZ_IS14_E10value_typeET4_jRbjT5_S1A_jjP12ihipStream_tbEUljE_EEESV_SW_SX_S14_S18_S1A_T6_T7_T9_mT8_S1C_bDpT10_ENKUlT_T0_E_clISt17integral_constantIbLb0EES1P_EEDaS1K_S1L_EUlS1K_E_NS1_11comp_targetILNS1_3genE3ELNS1_11target_archE908ELNS1_3gpuE7ELNS1_3repE0EEENS1_30default_config_static_selectorELNS0_4arch9wavefront6targetE0EEEvSY_
; %bb.0:
	.section	.rodata,"a",@progbits
	.p2align	6, 0x0
	.amdhsa_kernel _ZN7rocprim17ROCPRIM_400000_NS6detail17trampoline_kernelINS0_13select_configILj256ELj13ELNS0_17block_load_methodE3ELS4_3ELS4_3ELNS0_20block_scan_algorithmE0ELj4294967295EEENS1_25partition_config_selectorILNS1_17partition_subalgoE3EjNS0_10empty_typeEbEEZZNS1_14partition_implILS8_3ELb0ES6_jNS0_17counting_iteratorIjlEEPS9_SE_NS0_5tupleIJPjSE_EEENSF_IJSE_SE_EEES9_SG_JZNS1_25segmented_radix_sort_implINS0_14default_configELb0EPKsPsPKlPlN2at6native12_GLOBAL__N_18offset_tEEE10hipError_tPvRmT1_PNSt15iterator_traitsISY_E10value_typeET2_T3_PNSZ_IS14_E10value_typeET4_jRbjT5_S1A_jjP12ihipStream_tbEUljE_EEESV_SW_SX_S14_S18_S1A_T6_T7_T9_mT8_S1C_bDpT10_ENKUlT_T0_E_clISt17integral_constantIbLb0EES1P_EEDaS1K_S1L_EUlS1K_E_NS1_11comp_targetILNS1_3genE3ELNS1_11target_archE908ELNS1_3gpuE7ELNS1_3repE0EEENS1_30default_config_static_selectorELNS0_4arch9wavefront6targetE0EEEvSY_
		.amdhsa_group_segment_fixed_size 0
		.amdhsa_private_segment_fixed_size 0
		.amdhsa_kernarg_size 144
		.amdhsa_user_sgpr_count 2
		.amdhsa_user_sgpr_dispatch_ptr 0
		.amdhsa_user_sgpr_queue_ptr 0
		.amdhsa_user_sgpr_kernarg_segment_ptr 1
		.amdhsa_user_sgpr_dispatch_id 0
		.amdhsa_user_sgpr_kernarg_preload_length 0
		.amdhsa_user_sgpr_kernarg_preload_offset 0
		.amdhsa_user_sgpr_private_segment_size 0
		.amdhsa_wavefront_size32 1
		.amdhsa_uses_dynamic_stack 0
		.amdhsa_enable_private_segment 0
		.amdhsa_system_sgpr_workgroup_id_x 1
		.amdhsa_system_sgpr_workgroup_id_y 0
		.amdhsa_system_sgpr_workgroup_id_z 0
		.amdhsa_system_sgpr_workgroup_info 0
		.amdhsa_system_vgpr_workitem_id 0
		.amdhsa_next_free_vgpr 1
		.amdhsa_next_free_sgpr 1
		.amdhsa_named_barrier_count 0
		.amdhsa_reserve_vcc 0
		.amdhsa_float_round_mode_32 0
		.amdhsa_float_round_mode_16_64 0
		.amdhsa_float_denorm_mode_32 3
		.amdhsa_float_denorm_mode_16_64 3
		.amdhsa_fp16_overflow 0
		.amdhsa_memory_ordered 1
		.amdhsa_forward_progress 1
		.amdhsa_inst_pref_size 0
		.amdhsa_round_robin_scheduling 0
		.amdhsa_exception_fp_ieee_invalid_op 0
		.amdhsa_exception_fp_denorm_src 0
		.amdhsa_exception_fp_ieee_div_zero 0
		.amdhsa_exception_fp_ieee_overflow 0
		.amdhsa_exception_fp_ieee_underflow 0
		.amdhsa_exception_fp_ieee_inexact 0
		.amdhsa_exception_int_div_zero 0
	.end_amdhsa_kernel
	.section	.text._ZN7rocprim17ROCPRIM_400000_NS6detail17trampoline_kernelINS0_13select_configILj256ELj13ELNS0_17block_load_methodE3ELS4_3ELS4_3ELNS0_20block_scan_algorithmE0ELj4294967295EEENS1_25partition_config_selectorILNS1_17partition_subalgoE3EjNS0_10empty_typeEbEEZZNS1_14partition_implILS8_3ELb0ES6_jNS0_17counting_iteratorIjlEEPS9_SE_NS0_5tupleIJPjSE_EEENSF_IJSE_SE_EEES9_SG_JZNS1_25segmented_radix_sort_implINS0_14default_configELb0EPKsPsPKlPlN2at6native12_GLOBAL__N_18offset_tEEE10hipError_tPvRmT1_PNSt15iterator_traitsISY_E10value_typeET2_T3_PNSZ_IS14_E10value_typeET4_jRbjT5_S1A_jjP12ihipStream_tbEUljE_EEESV_SW_SX_S14_S18_S1A_T6_T7_T9_mT8_S1C_bDpT10_ENKUlT_T0_E_clISt17integral_constantIbLb0EES1P_EEDaS1K_S1L_EUlS1K_E_NS1_11comp_targetILNS1_3genE3ELNS1_11target_archE908ELNS1_3gpuE7ELNS1_3repE0EEENS1_30default_config_static_selectorELNS0_4arch9wavefront6targetE0EEEvSY_,"axG",@progbits,_ZN7rocprim17ROCPRIM_400000_NS6detail17trampoline_kernelINS0_13select_configILj256ELj13ELNS0_17block_load_methodE3ELS4_3ELS4_3ELNS0_20block_scan_algorithmE0ELj4294967295EEENS1_25partition_config_selectorILNS1_17partition_subalgoE3EjNS0_10empty_typeEbEEZZNS1_14partition_implILS8_3ELb0ES6_jNS0_17counting_iteratorIjlEEPS9_SE_NS0_5tupleIJPjSE_EEENSF_IJSE_SE_EEES9_SG_JZNS1_25segmented_radix_sort_implINS0_14default_configELb0EPKsPsPKlPlN2at6native12_GLOBAL__N_18offset_tEEE10hipError_tPvRmT1_PNSt15iterator_traitsISY_E10value_typeET2_T3_PNSZ_IS14_E10value_typeET4_jRbjT5_S1A_jjP12ihipStream_tbEUljE_EEESV_SW_SX_S14_S18_S1A_T6_T7_T9_mT8_S1C_bDpT10_ENKUlT_T0_E_clISt17integral_constantIbLb0EES1P_EEDaS1K_S1L_EUlS1K_E_NS1_11comp_targetILNS1_3genE3ELNS1_11target_archE908ELNS1_3gpuE7ELNS1_3repE0EEENS1_30default_config_static_selectorELNS0_4arch9wavefront6targetE0EEEvSY_,comdat
.Lfunc_end980:
	.size	_ZN7rocprim17ROCPRIM_400000_NS6detail17trampoline_kernelINS0_13select_configILj256ELj13ELNS0_17block_load_methodE3ELS4_3ELS4_3ELNS0_20block_scan_algorithmE0ELj4294967295EEENS1_25partition_config_selectorILNS1_17partition_subalgoE3EjNS0_10empty_typeEbEEZZNS1_14partition_implILS8_3ELb0ES6_jNS0_17counting_iteratorIjlEEPS9_SE_NS0_5tupleIJPjSE_EEENSF_IJSE_SE_EEES9_SG_JZNS1_25segmented_radix_sort_implINS0_14default_configELb0EPKsPsPKlPlN2at6native12_GLOBAL__N_18offset_tEEE10hipError_tPvRmT1_PNSt15iterator_traitsISY_E10value_typeET2_T3_PNSZ_IS14_E10value_typeET4_jRbjT5_S1A_jjP12ihipStream_tbEUljE_EEESV_SW_SX_S14_S18_S1A_T6_T7_T9_mT8_S1C_bDpT10_ENKUlT_T0_E_clISt17integral_constantIbLb0EES1P_EEDaS1K_S1L_EUlS1K_E_NS1_11comp_targetILNS1_3genE3ELNS1_11target_archE908ELNS1_3gpuE7ELNS1_3repE0EEENS1_30default_config_static_selectorELNS0_4arch9wavefront6targetE0EEEvSY_, .Lfunc_end980-_ZN7rocprim17ROCPRIM_400000_NS6detail17trampoline_kernelINS0_13select_configILj256ELj13ELNS0_17block_load_methodE3ELS4_3ELS4_3ELNS0_20block_scan_algorithmE0ELj4294967295EEENS1_25partition_config_selectorILNS1_17partition_subalgoE3EjNS0_10empty_typeEbEEZZNS1_14partition_implILS8_3ELb0ES6_jNS0_17counting_iteratorIjlEEPS9_SE_NS0_5tupleIJPjSE_EEENSF_IJSE_SE_EEES9_SG_JZNS1_25segmented_radix_sort_implINS0_14default_configELb0EPKsPsPKlPlN2at6native12_GLOBAL__N_18offset_tEEE10hipError_tPvRmT1_PNSt15iterator_traitsISY_E10value_typeET2_T3_PNSZ_IS14_E10value_typeET4_jRbjT5_S1A_jjP12ihipStream_tbEUljE_EEESV_SW_SX_S14_S18_S1A_T6_T7_T9_mT8_S1C_bDpT10_ENKUlT_T0_E_clISt17integral_constantIbLb0EES1P_EEDaS1K_S1L_EUlS1K_E_NS1_11comp_targetILNS1_3genE3ELNS1_11target_archE908ELNS1_3gpuE7ELNS1_3repE0EEENS1_30default_config_static_selectorELNS0_4arch9wavefront6targetE0EEEvSY_
                                        ; -- End function
	.set _ZN7rocprim17ROCPRIM_400000_NS6detail17trampoline_kernelINS0_13select_configILj256ELj13ELNS0_17block_load_methodE3ELS4_3ELS4_3ELNS0_20block_scan_algorithmE0ELj4294967295EEENS1_25partition_config_selectorILNS1_17partition_subalgoE3EjNS0_10empty_typeEbEEZZNS1_14partition_implILS8_3ELb0ES6_jNS0_17counting_iteratorIjlEEPS9_SE_NS0_5tupleIJPjSE_EEENSF_IJSE_SE_EEES9_SG_JZNS1_25segmented_radix_sort_implINS0_14default_configELb0EPKsPsPKlPlN2at6native12_GLOBAL__N_18offset_tEEE10hipError_tPvRmT1_PNSt15iterator_traitsISY_E10value_typeET2_T3_PNSZ_IS14_E10value_typeET4_jRbjT5_S1A_jjP12ihipStream_tbEUljE_EEESV_SW_SX_S14_S18_S1A_T6_T7_T9_mT8_S1C_bDpT10_ENKUlT_T0_E_clISt17integral_constantIbLb0EES1P_EEDaS1K_S1L_EUlS1K_E_NS1_11comp_targetILNS1_3genE3ELNS1_11target_archE908ELNS1_3gpuE7ELNS1_3repE0EEENS1_30default_config_static_selectorELNS0_4arch9wavefront6targetE0EEEvSY_.num_vgpr, 0
	.set _ZN7rocprim17ROCPRIM_400000_NS6detail17trampoline_kernelINS0_13select_configILj256ELj13ELNS0_17block_load_methodE3ELS4_3ELS4_3ELNS0_20block_scan_algorithmE0ELj4294967295EEENS1_25partition_config_selectorILNS1_17partition_subalgoE3EjNS0_10empty_typeEbEEZZNS1_14partition_implILS8_3ELb0ES6_jNS0_17counting_iteratorIjlEEPS9_SE_NS0_5tupleIJPjSE_EEENSF_IJSE_SE_EEES9_SG_JZNS1_25segmented_radix_sort_implINS0_14default_configELb0EPKsPsPKlPlN2at6native12_GLOBAL__N_18offset_tEEE10hipError_tPvRmT1_PNSt15iterator_traitsISY_E10value_typeET2_T3_PNSZ_IS14_E10value_typeET4_jRbjT5_S1A_jjP12ihipStream_tbEUljE_EEESV_SW_SX_S14_S18_S1A_T6_T7_T9_mT8_S1C_bDpT10_ENKUlT_T0_E_clISt17integral_constantIbLb0EES1P_EEDaS1K_S1L_EUlS1K_E_NS1_11comp_targetILNS1_3genE3ELNS1_11target_archE908ELNS1_3gpuE7ELNS1_3repE0EEENS1_30default_config_static_selectorELNS0_4arch9wavefront6targetE0EEEvSY_.num_agpr, 0
	.set _ZN7rocprim17ROCPRIM_400000_NS6detail17trampoline_kernelINS0_13select_configILj256ELj13ELNS0_17block_load_methodE3ELS4_3ELS4_3ELNS0_20block_scan_algorithmE0ELj4294967295EEENS1_25partition_config_selectorILNS1_17partition_subalgoE3EjNS0_10empty_typeEbEEZZNS1_14partition_implILS8_3ELb0ES6_jNS0_17counting_iteratorIjlEEPS9_SE_NS0_5tupleIJPjSE_EEENSF_IJSE_SE_EEES9_SG_JZNS1_25segmented_radix_sort_implINS0_14default_configELb0EPKsPsPKlPlN2at6native12_GLOBAL__N_18offset_tEEE10hipError_tPvRmT1_PNSt15iterator_traitsISY_E10value_typeET2_T3_PNSZ_IS14_E10value_typeET4_jRbjT5_S1A_jjP12ihipStream_tbEUljE_EEESV_SW_SX_S14_S18_S1A_T6_T7_T9_mT8_S1C_bDpT10_ENKUlT_T0_E_clISt17integral_constantIbLb0EES1P_EEDaS1K_S1L_EUlS1K_E_NS1_11comp_targetILNS1_3genE3ELNS1_11target_archE908ELNS1_3gpuE7ELNS1_3repE0EEENS1_30default_config_static_selectorELNS0_4arch9wavefront6targetE0EEEvSY_.numbered_sgpr, 0
	.set _ZN7rocprim17ROCPRIM_400000_NS6detail17trampoline_kernelINS0_13select_configILj256ELj13ELNS0_17block_load_methodE3ELS4_3ELS4_3ELNS0_20block_scan_algorithmE0ELj4294967295EEENS1_25partition_config_selectorILNS1_17partition_subalgoE3EjNS0_10empty_typeEbEEZZNS1_14partition_implILS8_3ELb0ES6_jNS0_17counting_iteratorIjlEEPS9_SE_NS0_5tupleIJPjSE_EEENSF_IJSE_SE_EEES9_SG_JZNS1_25segmented_radix_sort_implINS0_14default_configELb0EPKsPsPKlPlN2at6native12_GLOBAL__N_18offset_tEEE10hipError_tPvRmT1_PNSt15iterator_traitsISY_E10value_typeET2_T3_PNSZ_IS14_E10value_typeET4_jRbjT5_S1A_jjP12ihipStream_tbEUljE_EEESV_SW_SX_S14_S18_S1A_T6_T7_T9_mT8_S1C_bDpT10_ENKUlT_T0_E_clISt17integral_constantIbLb0EES1P_EEDaS1K_S1L_EUlS1K_E_NS1_11comp_targetILNS1_3genE3ELNS1_11target_archE908ELNS1_3gpuE7ELNS1_3repE0EEENS1_30default_config_static_selectorELNS0_4arch9wavefront6targetE0EEEvSY_.num_named_barrier, 0
	.set _ZN7rocprim17ROCPRIM_400000_NS6detail17trampoline_kernelINS0_13select_configILj256ELj13ELNS0_17block_load_methodE3ELS4_3ELS4_3ELNS0_20block_scan_algorithmE0ELj4294967295EEENS1_25partition_config_selectorILNS1_17partition_subalgoE3EjNS0_10empty_typeEbEEZZNS1_14partition_implILS8_3ELb0ES6_jNS0_17counting_iteratorIjlEEPS9_SE_NS0_5tupleIJPjSE_EEENSF_IJSE_SE_EEES9_SG_JZNS1_25segmented_radix_sort_implINS0_14default_configELb0EPKsPsPKlPlN2at6native12_GLOBAL__N_18offset_tEEE10hipError_tPvRmT1_PNSt15iterator_traitsISY_E10value_typeET2_T3_PNSZ_IS14_E10value_typeET4_jRbjT5_S1A_jjP12ihipStream_tbEUljE_EEESV_SW_SX_S14_S18_S1A_T6_T7_T9_mT8_S1C_bDpT10_ENKUlT_T0_E_clISt17integral_constantIbLb0EES1P_EEDaS1K_S1L_EUlS1K_E_NS1_11comp_targetILNS1_3genE3ELNS1_11target_archE908ELNS1_3gpuE7ELNS1_3repE0EEENS1_30default_config_static_selectorELNS0_4arch9wavefront6targetE0EEEvSY_.private_seg_size, 0
	.set _ZN7rocprim17ROCPRIM_400000_NS6detail17trampoline_kernelINS0_13select_configILj256ELj13ELNS0_17block_load_methodE3ELS4_3ELS4_3ELNS0_20block_scan_algorithmE0ELj4294967295EEENS1_25partition_config_selectorILNS1_17partition_subalgoE3EjNS0_10empty_typeEbEEZZNS1_14partition_implILS8_3ELb0ES6_jNS0_17counting_iteratorIjlEEPS9_SE_NS0_5tupleIJPjSE_EEENSF_IJSE_SE_EEES9_SG_JZNS1_25segmented_radix_sort_implINS0_14default_configELb0EPKsPsPKlPlN2at6native12_GLOBAL__N_18offset_tEEE10hipError_tPvRmT1_PNSt15iterator_traitsISY_E10value_typeET2_T3_PNSZ_IS14_E10value_typeET4_jRbjT5_S1A_jjP12ihipStream_tbEUljE_EEESV_SW_SX_S14_S18_S1A_T6_T7_T9_mT8_S1C_bDpT10_ENKUlT_T0_E_clISt17integral_constantIbLb0EES1P_EEDaS1K_S1L_EUlS1K_E_NS1_11comp_targetILNS1_3genE3ELNS1_11target_archE908ELNS1_3gpuE7ELNS1_3repE0EEENS1_30default_config_static_selectorELNS0_4arch9wavefront6targetE0EEEvSY_.uses_vcc, 0
	.set _ZN7rocprim17ROCPRIM_400000_NS6detail17trampoline_kernelINS0_13select_configILj256ELj13ELNS0_17block_load_methodE3ELS4_3ELS4_3ELNS0_20block_scan_algorithmE0ELj4294967295EEENS1_25partition_config_selectorILNS1_17partition_subalgoE3EjNS0_10empty_typeEbEEZZNS1_14partition_implILS8_3ELb0ES6_jNS0_17counting_iteratorIjlEEPS9_SE_NS0_5tupleIJPjSE_EEENSF_IJSE_SE_EEES9_SG_JZNS1_25segmented_radix_sort_implINS0_14default_configELb0EPKsPsPKlPlN2at6native12_GLOBAL__N_18offset_tEEE10hipError_tPvRmT1_PNSt15iterator_traitsISY_E10value_typeET2_T3_PNSZ_IS14_E10value_typeET4_jRbjT5_S1A_jjP12ihipStream_tbEUljE_EEESV_SW_SX_S14_S18_S1A_T6_T7_T9_mT8_S1C_bDpT10_ENKUlT_T0_E_clISt17integral_constantIbLb0EES1P_EEDaS1K_S1L_EUlS1K_E_NS1_11comp_targetILNS1_3genE3ELNS1_11target_archE908ELNS1_3gpuE7ELNS1_3repE0EEENS1_30default_config_static_selectorELNS0_4arch9wavefront6targetE0EEEvSY_.uses_flat_scratch, 0
	.set _ZN7rocprim17ROCPRIM_400000_NS6detail17trampoline_kernelINS0_13select_configILj256ELj13ELNS0_17block_load_methodE3ELS4_3ELS4_3ELNS0_20block_scan_algorithmE0ELj4294967295EEENS1_25partition_config_selectorILNS1_17partition_subalgoE3EjNS0_10empty_typeEbEEZZNS1_14partition_implILS8_3ELb0ES6_jNS0_17counting_iteratorIjlEEPS9_SE_NS0_5tupleIJPjSE_EEENSF_IJSE_SE_EEES9_SG_JZNS1_25segmented_radix_sort_implINS0_14default_configELb0EPKsPsPKlPlN2at6native12_GLOBAL__N_18offset_tEEE10hipError_tPvRmT1_PNSt15iterator_traitsISY_E10value_typeET2_T3_PNSZ_IS14_E10value_typeET4_jRbjT5_S1A_jjP12ihipStream_tbEUljE_EEESV_SW_SX_S14_S18_S1A_T6_T7_T9_mT8_S1C_bDpT10_ENKUlT_T0_E_clISt17integral_constantIbLb0EES1P_EEDaS1K_S1L_EUlS1K_E_NS1_11comp_targetILNS1_3genE3ELNS1_11target_archE908ELNS1_3gpuE7ELNS1_3repE0EEENS1_30default_config_static_selectorELNS0_4arch9wavefront6targetE0EEEvSY_.has_dyn_sized_stack, 0
	.set _ZN7rocprim17ROCPRIM_400000_NS6detail17trampoline_kernelINS0_13select_configILj256ELj13ELNS0_17block_load_methodE3ELS4_3ELS4_3ELNS0_20block_scan_algorithmE0ELj4294967295EEENS1_25partition_config_selectorILNS1_17partition_subalgoE3EjNS0_10empty_typeEbEEZZNS1_14partition_implILS8_3ELb0ES6_jNS0_17counting_iteratorIjlEEPS9_SE_NS0_5tupleIJPjSE_EEENSF_IJSE_SE_EEES9_SG_JZNS1_25segmented_radix_sort_implINS0_14default_configELb0EPKsPsPKlPlN2at6native12_GLOBAL__N_18offset_tEEE10hipError_tPvRmT1_PNSt15iterator_traitsISY_E10value_typeET2_T3_PNSZ_IS14_E10value_typeET4_jRbjT5_S1A_jjP12ihipStream_tbEUljE_EEESV_SW_SX_S14_S18_S1A_T6_T7_T9_mT8_S1C_bDpT10_ENKUlT_T0_E_clISt17integral_constantIbLb0EES1P_EEDaS1K_S1L_EUlS1K_E_NS1_11comp_targetILNS1_3genE3ELNS1_11target_archE908ELNS1_3gpuE7ELNS1_3repE0EEENS1_30default_config_static_selectorELNS0_4arch9wavefront6targetE0EEEvSY_.has_recursion, 0
	.set _ZN7rocprim17ROCPRIM_400000_NS6detail17trampoline_kernelINS0_13select_configILj256ELj13ELNS0_17block_load_methodE3ELS4_3ELS4_3ELNS0_20block_scan_algorithmE0ELj4294967295EEENS1_25partition_config_selectorILNS1_17partition_subalgoE3EjNS0_10empty_typeEbEEZZNS1_14partition_implILS8_3ELb0ES6_jNS0_17counting_iteratorIjlEEPS9_SE_NS0_5tupleIJPjSE_EEENSF_IJSE_SE_EEES9_SG_JZNS1_25segmented_radix_sort_implINS0_14default_configELb0EPKsPsPKlPlN2at6native12_GLOBAL__N_18offset_tEEE10hipError_tPvRmT1_PNSt15iterator_traitsISY_E10value_typeET2_T3_PNSZ_IS14_E10value_typeET4_jRbjT5_S1A_jjP12ihipStream_tbEUljE_EEESV_SW_SX_S14_S18_S1A_T6_T7_T9_mT8_S1C_bDpT10_ENKUlT_T0_E_clISt17integral_constantIbLb0EES1P_EEDaS1K_S1L_EUlS1K_E_NS1_11comp_targetILNS1_3genE3ELNS1_11target_archE908ELNS1_3gpuE7ELNS1_3repE0EEENS1_30default_config_static_selectorELNS0_4arch9wavefront6targetE0EEEvSY_.has_indirect_call, 0
	.section	.AMDGPU.csdata,"",@progbits
; Kernel info:
; codeLenInByte = 0
; TotalNumSgprs: 0
; NumVgprs: 0
; ScratchSize: 0
; MemoryBound: 0
; FloatMode: 240
; IeeeMode: 1
; LDSByteSize: 0 bytes/workgroup (compile time only)
; SGPRBlocks: 0
; VGPRBlocks: 0
; NumSGPRsForWavesPerEU: 1
; NumVGPRsForWavesPerEU: 1
; NamedBarCnt: 0
; Occupancy: 16
; WaveLimiterHint : 0
; COMPUTE_PGM_RSRC2:SCRATCH_EN: 0
; COMPUTE_PGM_RSRC2:USER_SGPR: 2
; COMPUTE_PGM_RSRC2:TRAP_HANDLER: 0
; COMPUTE_PGM_RSRC2:TGID_X_EN: 1
; COMPUTE_PGM_RSRC2:TGID_Y_EN: 0
; COMPUTE_PGM_RSRC2:TGID_Z_EN: 0
; COMPUTE_PGM_RSRC2:TIDIG_COMP_CNT: 0
	.section	.text._ZN7rocprim17ROCPRIM_400000_NS6detail17trampoline_kernelINS0_13select_configILj256ELj13ELNS0_17block_load_methodE3ELS4_3ELS4_3ELNS0_20block_scan_algorithmE0ELj4294967295EEENS1_25partition_config_selectorILNS1_17partition_subalgoE3EjNS0_10empty_typeEbEEZZNS1_14partition_implILS8_3ELb0ES6_jNS0_17counting_iteratorIjlEEPS9_SE_NS0_5tupleIJPjSE_EEENSF_IJSE_SE_EEES9_SG_JZNS1_25segmented_radix_sort_implINS0_14default_configELb0EPKsPsPKlPlN2at6native12_GLOBAL__N_18offset_tEEE10hipError_tPvRmT1_PNSt15iterator_traitsISY_E10value_typeET2_T3_PNSZ_IS14_E10value_typeET4_jRbjT5_S1A_jjP12ihipStream_tbEUljE_EEESV_SW_SX_S14_S18_S1A_T6_T7_T9_mT8_S1C_bDpT10_ENKUlT_T0_E_clISt17integral_constantIbLb0EES1P_EEDaS1K_S1L_EUlS1K_E_NS1_11comp_targetILNS1_3genE2ELNS1_11target_archE906ELNS1_3gpuE6ELNS1_3repE0EEENS1_30default_config_static_selectorELNS0_4arch9wavefront6targetE0EEEvSY_,"axG",@progbits,_ZN7rocprim17ROCPRIM_400000_NS6detail17trampoline_kernelINS0_13select_configILj256ELj13ELNS0_17block_load_methodE3ELS4_3ELS4_3ELNS0_20block_scan_algorithmE0ELj4294967295EEENS1_25partition_config_selectorILNS1_17partition_subalgoE3EjNS0_10empty_typeEbEEZZNS1_14partition_implILS8_3ELb0ES6_jNS0_17counting_iteratorIjlEEPS9_SE_NS0_5tupleIJPjSE_EEENSF_IJSE_SE_EEES9_SG_JZNS1_25segmented_radix_sort_implINS0_14default_configELb0EPKsPsPKlPlN2at6native12_GLOBAL__N_18offset_tEEE10hipError_tPvRmT1_PNSt15iterator_traitsISY_E10value_typeET2_T3_PNSZ_IS14_E10value_typeET4_jRbjT5_S1A_jjP12ihipStream_tbEUljE_EEESV_SW_SX_S14_S18_S1A_T6_T7_T9_mT8_S1C_bDpT10_ENKUlT_T0_E_clISt17integral_constantIbLb0EES1P_EEDaS1K_S1L_EUlS1K_E_NS1_11comp_targetILNS1_3genE2ELNS1_11target_archE906ELNS1_3gpuE6ELNS1_3repE0EEENS1_30default_config_static_selectorELNS0_4arch9wavefront6targetE0EEEvSY_,comdat
	.globl	_ZN7rocprim17ROCPRIM_400000_NS6detail17trampoline_kernelINS0_13select_configILj256ELj13ELNS0_17block_load_methodE3ELS4_3ELS4_3ELNS0_20block_scan_algorithmE0ELj4294967295EEENS1_25partition_config_selectorILNS1_17partition_subalgoE3EjNS0_10empty_typeEbEEZZNS1_14partition_implILS8_3ELb0ES6_jNS0_17counting_iteratorIjlEEPS9_SE_NS0_5tupleIJPjSE_EEENSF_IJSE_SE_EEES9_SG_JZNS1_25segmented_radix_sort_implINS0_14default_configELb0EPKsPsPKlPlN2at6native12_GLOBAL__N_18offset_tEEE10hipError_tPvRmT1_PNSt15iterator_traitsISY_E10value_typeET2_T3_PNSZ_IS14_E10value_typeET4_jRbjT5_S1A_jjP12ihipStream_tbEUljE_EEESV_SW_SX_S14_S18_S1A_T6_T7_T9_mT8_S1C_bDpT10_ENKUlT_T0_E_clISt17integral_constantIbLb0EES1P_EEDaS1K_S1L_EUlS1K_E_NS1_11comp_targetILNS1_3genE2ELNS1_11target_archE906ELNS1_3gpuE6ELNS1_3repE0EEENS1_30default_config_static_selectorELNS0_4arch9wavefront6targetE0EEEvSY_ ; -- Begin function _ZN7rocprim17ROCPRIM_400000_NS6detail17trampoline_kernelINS0_13select_configILj256ELj13ELNS0_17block_load_methodE3ELS4_3ELS4_3ELNS0_20block_scan_algorithmE0ELj4294967295EEENS1_25partition_config_selectorILNS1_17partition_subalgoE3EjNS0_10empty_typeEbEEZZNS1_14partition_implILS8_3ELb0ES6_jNS0_17counting_iteratorIjlEEPS9_SE_NS0_5tupleIJPjSE_EEENSF_IJSE_SE_EEES9_SG_JZNS1_25segmented_radix_sort_implINS0_14default_configELb0EPKsPsPKlPlN2at6native12_GLOBAL__N_18offset_tEEE10hipError_tPvRmT1_PNSt15iterator_traitsISY_E10value_typeET2_T3_PNSZ_IS14_E10value_typeET4_jRbjT5_S1A_jjP12ihipStream_tbEUljE_EEESV_SW_SX_S14_S18_S1A_T6_T7_T9_mT8_S1C_bDpT10_ENKUlT_T0_E_clISt17integral_constantIbLb0EES1P_EEDaS1K_S1L_EUlS1K_E_NS1_11comp_targetILNS1_3genE2ELNS1_11target_archE906ELNS1_3gpuE6ELNS1_3repE0EEENS1_30default_config_static_selectorELNS0_4arch9wavefront6targetE0EEEvSY_
	.p2align	8
	.type	_ZN7rocprim17ROCPRIM_400000_NS6detail17trampoline_kernelINS0_13select_configILj256ELj13ELNS0_17block_load_methodE3ELS4_3ELS4_3ELNS0_20block_scan_algorithmE0ELj4294967295EEENS1_25partition_config_selectorILNS1_17partition_subalgoE3EjNS0_10empty_typeEbEEZZNS1_14partition_implILS8_3ELb0ES6_jNS0_17counting_iteratorIjlEEPS9_SE_NS0_5tupleIJPjSE_EEENSF_IJSE_SE_EEES9_SG_JZNS1_25segmented_radix_sort_implINS0_14default_configELb0EPKsPsPKlPlN2at6native12_GLOBAL__N_18offset_tEEE10hipError_tPvRmT1_PNSt15iterator_traitsISY_E10value_typeET2_T3_PNSZ_IS14_E10value_typeET4_jRbjT5_S1A_jjP12ihipStream_tbEUljE_EEESV_SW_SX_S14_S18_S1A_T6_T7_T9_mT8_S1C_bDpT10_ENKUlT_T0_E_clISt17integral_constantIbLb0EES1P_EEDaS1K_S1L_EUlS1K_E_NS1_11comp_targetILNS1_3genE2ELNS1_11target_archE906ELNS1_3gpuE6ELNS1_3repE0EEENS1_30default_config_static_selectorELNS0_4arch9wavefront6targetE0EEEvSY_,@function
_ZN7rocprim17ROCPRIM_400000_NS6detail17trampoline_kernelINS0_13select_configILj256ELj13ELNS0_17block_load_methodE3ELS4_3ELS4_3ELNS0_20block_scan_algorithmE0ELj4294967295EEENS1_25partition_config_selectorILNS1_17partition_subalgoE3EjNS0_10empty_typeEbEEZZNS1_14partition_implILS8_3ELb0ES6_jNS0_17counting_iteratorIjlEEPS9_SE_NS0_5tupleIJPjSE_EEENSF_IJSE_SE_EEES9_SG_JZNS1_25segmented_radix_sort_implINS0_14default_configELb0EPKsPsPKlPlN2at6native12_GLOBAL__N_18offset_tEEE10hipError_tPvRmT1_PNSt15iterator_traitsISY_E10value_typeET2_T3_PNSZ_IS14_E10value_typeET4_jRbjT5_S1A_jjP12ihipStream_tbEUljE_EEESV_SW_SX_S14_S18_S1A_T6_T7_T9_mT8_S1C_bDpT10_ENKUlT_T0_E_clISt17integral_constantIbLb0EES1P_EEDaS1K_S1L_EUlS1K_E_NS1_11comp_targetILNS1_3genE2ELNS1_11target_archE906ELNS1_3gpuE6ELNS1_3repE0EEENS1_30default_config_static_selectorELNS0_4arch9wavefront6targetE0EEEvSY_: ; @_ZN7rocprim17ROCPRIM_400000_NS6detail17trampoline_kernelINS0_13select_configILj256ELj13ELNS0_17block_load_methodE3ELS4_3ELS4_3ELNS0_20block_scan_algorithmE0ELj4294967295EEENS1_25partition_config_selectorILNS1_17partition_subalgoE3EjNS0_10empty_typeEbEEZZNS1_14partition_implILS8_3ELb0ES6_jNS0_17counting_iteratorIjlEEPS9_SE_NS0_5tupleIJPjSE_EEENSF_IJSE_SE_EEES9_SG_JZNS1_25segmented_radix_sort_implINS0_14default_configELb0EPKsPsPKlPlN2at6native12_GLOBAL__N_18offset_tEEE10hipError_tPvRmT1_PNSt15iterator_traitsISY_E10value_typeET2_T3_PNSZ_IS14_E10value_typeET4_jRbjT5_S1A_jjP12ihipStream_tbEUljE_EEESV_SW_SX_S14_S18_S1A_T6_T7_T9_mT8_S1C_bDpT10_ENKUlT_T0_E_clISt17integral_constantIbLb0EES1P_EEDaS1K_S1L_EUlS1K_E_NS1_11comp_targetILNS1_3genE2ELNS1_11target_archE906ELNS1_3gpuE6ELNS1_3repE0EEENS1_30default_config_static_selectorELNS0_4arch9wavefront6targetE0EEEvSY_
; %bb.0:
	.section	.rodata,"a",@progbits
	.p2align	6, 0x0
	.amdhsa_kernel _ZN7rocprim17ROCPRIM_400000_NS6detail17trampoline_kernelINS0_13select_configILj256ELj13ELNS0_17block_load_methodE3ELS4_3ELS4_3ELNS0_20block_scan_algorithmE0ELj4294967295EEENS1_25partition_config_selectorILNS1_17partition_subalgoE3EjNS0_10empty_typeEbEEZZNS1_14partition_implILS8_3ELb0ES6_jNS0_17counting_iteratorIjlEEPS9_SE_NS0_5tupleIJPjSE_EEENSF_IJSE_SE_EEES9_SG_JZNS1_25segmented_radix_sort_implINS0_14default_configELb0EPKsPsPKlPlN2at6native12_GLOBAL__N_18offset_tEEE10hipError_tPvRmT1_PNSt15iterator_traitsISY_E10value_typeET2_T3_PNSZ_IS14_E10value_typeET4_jRbjT5_S1A_jjP12ihipStream_tbEUljE_EEESV_SW_SX_S14_S18_S1A_T6_T7_T9_mT8_S1C_bDpT10_ENKUlT_T0_E_clISt17integral_constantIbLb0EES1P_EEDaS1K_S1L_EUlS1K_E_NS1_11comp_targetILNS1_3genE2ELNS1_11target_archE906ELNS1_3gpuE6ELNS1_3repE0EEENS1_30default_config_static_selectorELNS0_4arch9wavefront6targetE0EEEvSY_
		.amdhsa_group_segment_fixed_size 0
		.amdhsa_private_segment_fixed_size 0
		.amdhsa_kernarg_size 144
		.amdhsa_user_sgpr_count 2
		.amdhsa_user_sgpr_dispatch_ptr 0
		.amdhsa_user_sgpr_queue_ptr 0
		.amdhsa_user_sgpr_kernarg_segment_ptr 1
		.amdhsa_user_sgpr_dispatch_id 0
		.amdhsa_user_sgpr_kernarg_preload_length 0
		.amdhsa_user_sgpr_kernarg_preload_offset 0
		.amdhsa_user_sgpr_private_segment_size 0
		.amdhsa_wavefront_size32 1
		.amdhsa_uses_dynamic_stack 0
		.amdhsa_enable_private_segment 0
		.amdhsa_system_sgpr_workgroup_id_x 1
		.amdhsa_system_sgpr_workgroup_id_y 0
		.amdhsa_system_sgpr_workgroup_id_z 0
		.amdhsa_system_sgpr_workgroup_info 0
		.amdhsa_system_vgpr_workitem_id 0
		.amdhsa_next_free_vgpr 1
		.amdhsa_next_free_sgpr 1
		.amdhsa_named_barrier_count 0
		.amdhsa_reserve_vcc 0
		.amdhsa_float_round_mode_32 0
		.amdhsa_float_round_mode_16_64 0
		.amdhsa_float_denorm_mode_32 3
		.amdhsa_float_denorm_mode_16_64 3
		.amdhsa_fp16_overflow 0
		.amdhsa_memory_ordered 1
		.amdhsa_forward_progress 1
		.amdhsa_inst_pref_size 0
		.amdhsa_round_robin_scheduling 0
		.amdhsa_exception_fp_ieee_invalid_op 0
		.amdhsa_exception_fp_denorm_src 0
		.amdhsa_exception_fp_ieee_div_zero 0
		.amdhsa_exception_fp_ieee_overflow 0
		.amdhsa_exception_fp_ieee_underflow 0
		.amdhsa_exception_fp_ieee_inexact 0
		.amdhsa_exception_int_div_zero 0
	.end_amdhsa_kernel
	.section	.text._ZN7rocprim17ROCPRIM_400000_NS6detail17trampoline_kernelINS0_13select_configILj256ELj13ELNS0_17block_load_methodE3ELS4_3ELS4_3ELNS0_20block_scan_algorithmE0ELj4294967295EEENS1_25partition_config_selectorILNS1_17partition_subalgoE3EjNS0_10empty_typeEbEEZZNS1_14partition_implILS8_3ELb0ES6_jNS0_17counting_iteratorIjlEEPS9_SE_NS0_5tupleIJPjSE_EEENSF_IJSE_SE_EEES9_SG_JZNS1_25segmented_radix_sort_implINS0_14default_configELb0EPKsPsPKlPlN2at6native12_GLOBAL__N_18offset_tEEE10hipError_tPvRmT1_PNSt15iterator_traitsISY_E10value_typeET2_T3_PNSZ_IS14_E10value_typeET4_jRbjT5_S1A_jjP12ihipStream_tbEUljE_EEESV_SW_SX_S14_S18_S1A_T6_T7_T9_mT8_S1C_bDpT10_ENKUlT_T0_E_clISt17integral_constantIbLb0EES1P_EEDaS1K_S1L_EUlS1K_E_NS1_11comp_targetILNS1_3genE2ELNS1_11target_archE906ELNS1_3gpuE6ELNS1_3repE0EEENS1_30default_config_static_selectorELNS0_4arch9wavefront6targetE0EEEvSY_,"axG",@progbits,_ZN7rocprim17ROCPRIM_400000_NS6detail17trampoline_kernelINS0_13select_configILj256ELj13ELNS0_17block_load_methodE3ELS4_3ELS4_3ELNS0_20block_scan_algorithmE0ELj4294967295EEENS1_25partition_config_selectorILNS1_17partition_subalgoE3EjNS0_10empty_typeEbEEZZNS1_14partition_implILS8_3ELb0ES6_jNS0_17counting_iteratorIjlEEPS9_SE_NS0_5tupleIJPjSE_EEENSF_IJSE_SE_EEES9_SG_JZNS1_25segmented_radix_sort_implINS0_14default_configELb0EPKsPsPKlPlN2at6native12_GLOBAL__N_18offset_tEEE10hipError_tPvRmT1_PNSt15iterator_traitsISY_E10value_typeET2_T3_PNSZ_IS14_E10value_typeET4_jRbjT5_S1A_jjP12ihipStream_tbEUljE_EEESV_SW_SX_S14_S18_S1A_T6_T7_T9_mT8_S1C_bDpT10_ENKUlT_T0_E_clISt17integral_constantIbLb0EES1P_EEDaS1K_S1L_EUlS1K_E_NS1_11comp_targetILNS1_3genE2ELNS1_11target_archE906ELNS1_3gpuE6ELNS1_3repE0EEENS1_30default_config_static_selectorELNS0_4arch9wavefront6targetE0EEEvSY_,comdat
.Lfunc_end981:
	.size	_ZN7rocprim17ROCPRIM_400000_NS6detail17trampoline_kernelINS0_13select_configILj256ELj13ELNS0_17block_load_methodE3ELS4_3ELS4_3ELNS0_20block_scan_algorithmE0ELj4294967295EEENS1_25partition_config_selectorILNS1_17partition_subalgoE3EjNS0_10empty_typeEbEEZZNS1_14partition_implILS8_3ELb0ES6_jNS0_17counting_iteratorIjlEEPS9_SE_NS0_5tupleIJPjSE_EEENSF_IJSE_SE_EEES9_SG_JZNS1_25segmented_radix_sort_implINS0_14default_configELb0EPKsPsPKlPlN2at6native12_GLOBAL__N_18offset_tEEE10hipError_tPvRmT1_PNSt15iterator_traitsISY_E10value_typeET2_T3_PNSZ_IS14_E10value_typeET4_jRbjT5_S1A_jjP12ihipStream_tbEUljE_EEESV_SW_SX_S14_S18_S1A_T6_T7_T9_mT8_S1C_bDpT10_ENKUlT_T0_E_clISt17integral_constantIbLb0EES1P_EEDaS1K_S1L_EUlS1K_E_NS1_11comp_targetILNS1_3genE2ELNS1_11target_archE906ELNS1_3gpuE6ELNS1_3repE0EEENS1_30default_config_static_selectorELNS0_4arch9wavefront6targetE0EEEvSY_, .Lfunc_end981-_ZN7rocprim17ROCPRIM_400000_NS6detail17trampoline_kernelINS0_13select_configILj256ELj13ELNS0_17block_load_methodE3ELS4_3ELS4_3ELNS0_20block_scan_algorithmE0ELj4294967295EEENS1_25partition_config_selectorILNS1_17partition_subalgoE3EjNS0_10empty_typeEbEEZZNS1_14partition_implILS8_3ELb0ES6_jNS0_17counting_iteratorIjlEEPS9_SE_NS0_5tupleIJPjSE_EEENSF_IJSE_SE_EEES9_SG_JZNS1_25segmented_radix_sort_implINS0_14default_configELb0EPKsPsPKlPlN2at6native12_GLOBAL__N_18offset_tEEE10hipError_tPvRmT1_PNSt15iterator_traitsISY_E10value_typeET2_T3_PNSZ_IS14_E10value_typeET4_jRbjT5_S1A_jjP12ihipStream_tbEUljE_EEESV_SW_SX_S14_S18_S1A_T6_T7_T9_mT8_S1C_bDpT10_ENKUlT_T0_E_clISt17integral_constantIbLb0EES1P_EEDaS1K_S1L_EUlS1K_E_NS1_11comp_targetILNS1_3genE2ELNS1_11target_archE906ELNS1_3gpuE6ELNS1_3repE0EEENS1_30default_config_static_selectorELNS0_4arch9wavefront6targetE0EEEvSY_
                                        ; -- End function
	.set _ZN7rocprim17ROCPRIM_400000_NS6detail17trampoline_kernelINS0_13select_configILj256ELj13ELNS0_17block_load_methodE3ELS4_3ELS4_3ELNS0_20block_scan_algorithmE0ELj4294967295EEENS1_25partition_config_selectorILNS1_17partition_subalgoE3EjNS0_10empty_typeEbEEZZNS1_14partition_implILS8_3ELb0ES6_jNS0_17counting_iteratorIjlEEPS9_SE_NS0_5tupleIJPjSE_EEENSF_IJSE_SE_EEES9_SG_JZNS1_25segmented_radix_sort_implINS0_14default_configELb0EPKsPsPKlPlN2at6native12_GLOBAL__N_18offset_tEEE10hipError_tPvRmT1_PNSt15iterator_traitsISY_E10value_typeET2_T3_PNSZ_IS14_E10value_typeET4_jRbjT5_S1A_jjP12ihipStream_tbEUljE_EEESV_SW_SX_S14_S18_S1A_T6_T7_T9_mT8_S1C_bDpT10_ENKUlT_T0_E_clISt17integral_constantIbLb0EES1P_EEDaS1K_S1L_EUlS1K_E_NS1_11comp_targetILNS1_3genE2ELNS1_11target_archE906ELNS1_3gpuE6ELNS1_3repE0EEENS1_30default_config_static_selectorELNS0_4arch9wavefront6targetE0EEEvSY_.num_vgpr, 0
	.set _ZN7rocprim17ROCPRIM_400000_NS6detail17trampoline_kernelINS0_13select_configILj256ELj13ELNS0_17block_load_methodE3ELS4_3ELS4_3ELNS0_20block_scan_algorithmE0ELj4294967295EEENS1_25partition_config_selectorILNS1_17partition_subalgoE3EjNS0_10empty_typeEbEEZZNS1_14partition_implILS8_3ELb0ES6_jNS0_17counting_iteratorIjlEEPS9_SE_NS0_5tupleIJPjSE_EEENSF_IJSE_SE_EEES9_SG_JZNS1_25segmented_radix_sort_implINS0_14default_configELb0EPKsPsPKlPlN2at6native12_GLOBAL__N_18offset_tEEE10hipError_tPvRmT1_PNSt15iterator_traitsISY_E10value_typeET2_T3_PNSZ_IS14_E10value_typeET4_jRbjT5_S1A_jjP12ihipStream_tbEUljE_EEESV_SW_SX_S14_S18_S1A_T6_T7_T9_mT8_S1C_bDpT10_ENKUlT_T0_E_clISt17integral_constantIbLb0EES1P_EEDaS1K_S1L_EUlS1K_E_NS1_11comp_targetILNS1_3genE2ELNS1_11target_archE906ELNS1_3gpuE6ELNS1_3repE0EEENS1_30default_config_static_selectorELNS0_4arch9wavefront6targetE0EEEvSY_.num_agpr, 0
	.set _ZN7rocprim17ROCPRIM_400000_NS6detail17trampoline_kernelINS0_13select_configILj256ELj13ELNS0_17block_load_methodE3ELS4_3ELS4_3ELNS0_20block_scan_algorithmE0ELj4294967295EEENS1_25partition_config_selectorILNS1_17partition_subalgoE3EjNS0_10empty_typeEbEEZZNS1_14partition_implILS8_3ELb0ES6_jNS0_17counting_iteratorIjlEEPS9_SE_NS0_5tupleIJPjSE_EEENSF_IJSE_SE_EEES9_SG_JZNS1_25segmented_radix_sort_implINS0_14default_configELb0EPKsPsPKlPlN2at6native12_GLOBAL__N_18offset_tEEE10hipError_tPvRmT1_PNSt15iterator_traitsISY_E10value_typeET2_T3_PNSZ_IS14_E10value_typeET4_jRbjT5_S1A_jjP12ihipStream_tbEUljE_EEESV_SW_SX_S14_S18_S1A_T6_T7_T9_mT8_S1C_bDpT10_ENKUlT_T0_E_clISt17integral_constantIbLb0EES1P_EEDaS1K_S1L_EUlS1K_E_NS1_11comp_targetILNS1_3genE2ELNS1_11target_archE906ELNS1_3gpuE6ELNS1_3repE0EEENS1_30default_config_static_selectorELNS0_4arch9wavefront6targetE0EEEvSY_.numbered_sgpr, 0
	.set _ZN7rocprim17ROCPRIM_400000_NS6detail17trampoline_kernelINS0_13select_configILj256ELj13ELNS0_17block_load_methodE3ELS4_3ELS4_3ELNS0_20block_scan_algorithmE0ELj4294967295EEENS1_25partition_config_selectorILNS1_17partition_subalgoE3EjNS0_10empty_typeEbEEZZNS1_14partition_implILS8_3ELb0ES6_jNS0_17counting_iteratorIjlEEPS9_SE_NS0_5tupleIJPjSE_EEENSF_IJSE_SE_EEES9_SG_JZNS1_25segmented_radix_sort_implINS0_14default_configELb0EPKsPsPKlPlN2at6native12_GLOBAL__N_18offset_tEEE10hipError_tPvRmT1_PNSt15iterator_traitsISY_E10value_typeET2_T3_PNSZ_IS14_E10value_typeET4_jRbjT5_S1A_jjP12ihipStream_tbEUljE_EEESV_SW_SX_S14_S18_S1A_T6_T7_T9_mT8_S1C_bDpT10_ENKUlT_T0_E_clISt17integral_constantIbLb0EES1P_EEDaS1K_S1L_EUlS1K_E_NS1_11comp_targetILNS1_3genE2ELNS1_11target_archE906ELNS1_3gpuE6ELNS1_3repE0EEENS1_30default_config_static_selectorELNS0_4arch9wavefront6targetE0EEEvSY_.num_named_barrier, 0
	.set _ZN7rocprim17ROCPRIM_400000_NS6detail17trampoline_kernelINS0_13select_configILj256ELj13ELNS0_17block_load_methodE3ELS4_3ELS4_3ELNS0_20block_scan_algorithmE0ELj4294967295EEENS1_25partition_config_selectorILNS1_17partition_subalgoE3EjNS0_10empty_typeEbEEZZNS1_14partition_implILS8_3ELb0ES6_jNS0_17counting_iteratorIjlEEPS9_SE_NS0_5tupleIJPjSE_EEENSF_IJSE_SE_EEES9_SG_JZNS1_25segmented_radix_sort_implINS0_14default_configELb0EPKsPsPKlPlN2at6native12_GLOBAL__N_18offset_tEEE10hipError_tPvRmT1_PNSt15iterator_traitsISY_E10value_typeET2_T3_PNSZ_IS14_E10value_typeET4_jRbjT5_S1A_jjP12ihipStream_tbEUljE_EEESV_SW_SX_S14_S18_S1A_T6_T7_T9_mT8_S1C_bDpT10_ENKUlT_T0_E_clISt17integral_constantIbLb0EES1P_EEDaS1K_S1L_EUlS1K_E_NS1_11comp_targetILNS1_3genE2ELNS1_11target_archE906ELNS1_3gpuE6ELNS1_3repE0EEENS1_30default_config_static_selectorELNS0_4arch9wavefront6targetE0EEEvSY_.private_seg_size, 0
	.set _ZN7rocprim17ROCPRIM_400000_NS6detail17trampoline_kernelINS0_13select_configILj256ELj13ELNS0_17block_load_methodE3ELS4_3ELS4_3ELNS0_20block_scan_algorithmE0ELj4294967295EEENS1_25partition_config_selectorILNS1_17partition_subalgoE3EjNS0_10empty_typeEbEEZZNS1_14partition_implILS8_3ELb0ES6_jNS0_17counting_iteratorIjlEEPS9_SE_NS0_5tupleIJPjSE_EEENSF_IJSE_SE_EEES9_SG_JZNS1_25segmented_radix_sort_implINS0_14default_configELb0EPKsPsPKlPlN2at6native12_GLOBAL__N_18offset_tEEE10hipError_tPvRmT1_PNSt15iterator_traitsISY_E10value_typeET2_T3_PNSZ_IS14_E10value_typeET4_jRbjT5_S1A_jjP12ihipStream_tbEUljE_EEESV_SW_SX_S14_S18_S1A_T6_T7_T9_mT8_S1C_bDpT10_ENKUlT_T0_E_clISt17integral_constantIbLb0EES1P_EEDaS1K_S1L_EUlS1K_E_NS1_11comp_targetILNS1_3genE2ELNS1_11target_archE906ELNS1_3gpuE6ELNS1_3repE0EEENS1_30default_config_static_selectorELNS0_4arch9wavefront6targetE0EEEvSY_.uses_vcc, 0
	.set _ZN7rocprim17ROCPRIM_400000_NS6detail17trampoline_kernelINS0_13select_configILj256ELj13ELNS0_17block_load_methodE3ELS4_3ELS4_3ELNS0_20block_scan_algorithmE0ELj4294967295EEENS1_25partition_config_selectorILNS1_17partition_subalgoE3EjNS0_10empty_typeEbEEZZNS1_14partition_implILS8_3ELb0ES6_jNS0_17counting_iteratorIjlEEPS9_SE_NS0_5tupleIJPjSE_EEENSF_IJSE_SE_EEES9_SG_JZNS1_25segmented_radix_sort_implINS0_14default_configELb0EPKsPsPKlPlN2at6native12_GLOBAL__N_18offset_tEEE10hipError_tPvRmT1_PNSt15iterator_traitsISY_E10value_typeET2_T3_PNSZ_IS14_E10value_typeET4_jRbjT5_S1A_jjP12ihipStream_tbEUljE_EEESV_SW_SX_S14_S18_S1A_T6_T7_T9_mT8_S1C_bDpT10_ENKUlT_T0_E_clISt17integral_constantIbLb0EES1P_EEDaS1K_S1L_EUlS1K_E_NS1_11comp_targetILNS1_3genE2ELNS1_11target_archE906ELNS1_3gpuE6ELNS1_3repE0EEENS1_30default_config_static_selectorELNS0_4arch9wavefront6targetE0EEEvSY_.uses_flat_scratch, 0
	.set _ZN7rocprim17ROCPRIM_400000_NS6detail17trampoline_kernelINS0_13select_configILj256ELj13ELNS0_17block_load_methodE3ELS4_3ELS4_3ELNS0_20block_scan_algorithmE0ELj4294967295EEENS1_25partition_config_selectorILNS1_17partition_subalgoE3EjNS0_10empty_typeEbEEZZNS1_14partition_implILS8_3ELb0ES6_jNS0_17counting_iteratorIjlEEPS9_SE_NS0_5tupleIJPjSE_EEENSF_IJSE_SE_EEES9_SG_JZNS1_25segmented_radix_sort_implINS0_14default_configELb0EPKsPsPKlPlN2at6native12_GLOBAL__N_18offset_tEEE10hipError_tPvRmT1_PNSt15iterator_traitsISY_E10value_typeET2_T3_PNSZ_IS14_E10value_typeET4_jRbjT5_S1A_jjP12ihipStream_tbEUljE_EEESV_SW_SX_S14_S18_S1A_T6_T7_T9_mT8_S1C_bDpT10_ENKUlT_T0_E_clISt17integral_constantIbLb0EES1P_EEDaS1K_S1L_EUlS1K_E_NS1_11comp_targetILNS1_3genE2ELNS1_11target_archE906ELNS1_3gpuE6ELNS1_3repE0EEENS1_30default_config_static_selectorELNS0_4arch9wavefront6targetE0EEEvSY_.has_dyn_sized_stack, 0
	.set _ZN7rocprim17ROCPRIM_400000_NS6detail17trampoline_kernelINS0_13select_configILj256ELj13ELNS0_17block_load_methodE3ELS4_3ELS4_3ELNS0_20block_scan_algorithmE0ELj4294967295EEENS1_25partition_config_selectorILNS1_17partition_subalgoE3EjNS0_10empty_typeEbEEZZNS1_14partition_implILS8_3ELb0ES6_jNS0_17counting_iteratorIjlEEPS9_SE_NS0_5tupleIJPjSE_EEENSF_IJSE_SE_EEES9_SG_JZNS1_25segmented_radix_sort_implINS0_14default_configELb0EPKsPsPKlPlN2at6native12_GLOBAL__N_18offset_tEEE10hipError_tPvRmT1_PNSt15iterator_traitsISY_E10value_typeET2_T3_PNSZ_IS14_E10value_typeET4_jRbjT5_S1A_jjP12ihipStream_tbEUljE_EEESV_SW_SX_S14_S18_S1A_T6_T7_T9_mT8_S1C_bDpT10_ENKUlT_T0_E_clISt17integral_constantIbLb0EES1P_EEDaS1K_S1L_EUlS1K_E_NS1_11comp_targetILNS1_3genE2ELNS1_11target_archE906ELNS1_3gpuE6ELNS1_3repE0EEENS1_30default_config_static_selectorELNS0_4arch9wavefront6targetE0EEEvSY_.has_recursion, 0
	.set _ZN7rocprim17ROCPRIM_400000_NS6detail17trampoline_kernelINS0_13select_configILj256ELj13ELNS0_17block_load_methodE3ELS4_3ELS4_3ELNS0_20block_scan_algorithmE0ELj4294967295EEENS1_25partition_config_selectorILNS1_17partition_subalgoE3EjNS0_10empty_typeEbEEZZNS1_14partition_implILS8_3ELb0ES6_jNS0_17counting_iteratorIjlEEPS9_SE_NS0_5tupleIJPjSE_EEENSF_IJSE_SE_EEES9_SG_JZNS1_25segmented_radix_sort_implINS0_14default_configELb0EPKsPsPKlPlN2at6native12_GLOBAL__N_18offset_tEEE10hipError_tPvRmT1_PNSt15iterator_traitsISY_E10value_typeET2_T3_PNSZ_IS14_E10value_typeET4_jRbjT5_S1A_jjP12ihipStream_tbEUljE_EEESV_SW_SX_S14_S18_S1A_T6_T7_T9_mT8_S1C_bDpT10_ENKUlT_T0_E_clISt17integral_constantIbLb0EES1P_EEDaS1K_S1L_EUlS1K_E_NS1_11comp_targetILNS1_3genE2ELNS1_11target_archE906ELNS1_3gpuE6ELNS1_3repE0EEENS1_30default_config_static_selectorELNS0_4arch9wavefront6targetE0EEEvSY_.has_indirect_call, 0
	.section	.AMDGPU.csdata,"",@progbits
; Kernel info:
; codeLenInByte = 0
; TotalNumSgprs: 0
; NumVgprs: 0
; ScratchSize: 0
; MemoryBound: 0
; FloatMode: 240
; IeeeMode: 1
; LDSByteSize: 0 bytes/workgroup (compile time only)
; SGPRBlocks: 0
; VGPRBlocks: 0
; NumSGPRsForWavesPerEU: 1
; NumVGPRsForWavesPerEU: 1
; NamedBarCnt: 0
; Occupancy: 16
; WaveLimiterHint : 0
; COMPUTE_PGM_RSRC2:SCRATCH_EN: 0
; COMPUTE_PGM_RSRC2:USER_SGPR: 2
; COMPUTE_PGM_RSRC2:TRAP_HANDLER: 0
; COMPUTE_PGM_RSRC2:TGID_X_EN: 1
; COMPUTE_PGM_RSRC2:TGID_Y_EN: 0
; COMPUTE_PGM_RSRC2:TGID_Z_EN: 0
; COMPUTE_PGM_RSRC2:TIDIG_COMP_CNT: 0
	.section	.text._ZN7rocprim17ROCPRIM_400000_NS6detail17trampoline_kernelINS0_13select_configILj256ELj13ELNS0_17block_load_methodE3ELS4_3ELS4_3ELNS0_20block_scan_algorithmE0ELj4294967295EEENS1_25partition_config_selectorILNS1_17partition_subalgoE3EjNS0_10empty_typeEbEEZZNS1_14partition_implILS8_3ELb0ES6_jNS0_17counting_iteratorIjlEEPS9_SE_NS0_5tupleIJPjSE_EEENSF_IJSE_SE_EEES9_SG_JZNS1_25segmented_radix_sort_implINS0_14default_configELb0EPKsPsPKlPlN2at6native12_GLOBAL__N_18offset_tEEE10hipError_tPvRmT1_PNSt15iterator_traitsISY_E10value_typeET2_T3_PNSZ_IS14_E10value_typeET4_jRbjT5_S1A_jjP12ihipStream_tbEUljE_EEESV_SW_SX_S14_S18_S1A_T6_T7_T9_mT8_S1C_bDpT10_ENKUlT_T0_E_clISt17integral_constantIbLb0EES1P_EEDaS1K_S1L_EUlS1K_E_NS1_11comp_targetILNS1_3genE10ELNS1_11target_archE1200ELNS1_3gpuE4ELNS1_3repE0EEENS1_30default_config_static_selectorELNS0_4arch9wavefront6targetE0EEEvSY_,"axG",@progbits,_ZN7rocprim17ROCPRIM_400000_NS6detail17trampoline_kernelINS0_13select_configILj256ELj13ELNS0_17block_load_methodE3ELS4_3ELS4_3ELNS0_20block_scan_algorithmE0ELj4294967295EEENS1_25partition_config_selectorILNS1_17partition_subalgoE3EjNS0_10empty_typeEbEEZZNS1_14partition_implILS8_3ELb0ES6_jNS0_17counting_iteratorIjlEEPS9_SE_NS0_5tupleIJPjSE_EEENSF_IJSE_SE_EEES9_SG_JZNS1_25segmented_radix_sort_implINS0_14default_configELb0EPKsPsPKlPlN2at6native12_GLOBAL__N_18offset_tEEE10hipError_tPvRmT1_PNSt15iterator_traitsISY_E10value_typeET2_T3_PNSZ_IS14_E10value_typeET4_jRbjT5_S1A_jjP12ihipStream_tbEUljE_EEESV_SW_SX_S14_S18_S1A_T6_T7_T9_mT8_S1C_bDpT10_ENKUlT_T0_E_clISt17integral_constantIbLb0EES1P_EEDaS1K_S1L_EUlS1K_E_NS1_11comp_targetILNS1_3genE10ELNS1_11target_archE1200ELNS1_3gpuE4ELNS1_3repE0EEENS1_30default_config_static_selectorELNS0_4arch9wavefront6targetE0EEEvSY_,comdat
	.globl	_ZN7rocprim17ROCPRIM_400000_NS6detail17trampoline_kernelINS0_13select_configILj256ELj13ELNS0_17block_load_methodE3ELS4_3ELS4_3ELNS0_20block_scan_algorithmE0ELj4294967295EEENS1_25partition_config_selectorILNS1_17partition_subalgoE3EjNS0_10empty_typeEbEEZZNS1_14partition_implILS8_3ELb0ES6_jNS0_17counting_iteratorIjlEEPS9_SE_NS0_5tupleIJPjSE_EEENSF_IJSE_SE_EEES9_SG_JZNS1_25segmented_radix_sort_implINS0_14default_configELb0EPKsPsPKlPlN2at6native12_GLOBAL__N_18offset_tEEE10hipError_tPvRmT1_PNSt15iterator_traitsISY_E10value_typeET2_T3_PNSZ_IS14_E10value_typeET4_jRbjT5_S1A_jjP12ihipStream_tbEUljE_EEESV_SW_SX_S14_S18_S1A_T6_T7_T9_mT8_S1C_bDpT10_ENKUlT_T0_E_clISt17integral_constantIbLb0EES1P_EEDaS1K_S1L_EUlS1K_E_NS1_11comp_targetILNS1_3genE10ELNS1_11target_archE1200ELNS1_3gpuE4ELNS1_3repE0EEENS1_30default_config_static_selectorELNS0_4arch9wavefront6targetE0EEEvSY_ ; -- Begin function _ZN7rocprim17ROCPRIM_400000_NS6detail17trampoline_kernelINS0_13select_configILj256ELj13ELNS0_17block_load_methodE3ELS4_3ELS4_3ELNS0_20block_scan_algorithmE0ELj4294967295EEENS1_25partition_config_selectorILNS1_17partition_subalgoE3EjNS0_10empty_typeEbEEZZNS1_14partition_implILS8_3ELb0ES6_jNS0_17counting_iteratorIjlEEPS9_SE_NS0_5tupleIJPjSE_EEENSF_IJSE_SE_EEES9_SG_JZNS1_25segmented_radix_sort_implINS0_14default_configELb0EPKsPsPKlPlN2at6native12_GLOBAL__N_18offset_tEEE10hipError_tPvRmT1_PNSt15iterator_traitsISY_E10value_typeET2_T3_PNSZ_IS14_E10value_typeET4_jRbjT5_S1A_jjP12ihipStream_tbEUljE_EEESV_SW_SX_S14_S18_S1A_T6_T7_T9_mT8_S1C_bDpT10_ENKUlT_T0_E_clISt17integral_constantIbLb0EES1P_EEDaS1K_S1L_EUlS1K_E_NS1_11comp_targetILNS1_3genE10ELNS1_11target_archE1200ELNS1_3gpuE4ELNS1_3repE0EEENS1_30default_config_static_selectorELNS0_4arch9wavefront6targetE0EEEvSY_
	.p2align	8
	.type	_ZN7rocprim17ROCPRIM_400000_NS6detail17trampoline_kernelINS0_13select_configILj256ELj13ELNS0_17block_load_methodE3ELS4_3ELS4_3ELNS0_20block_scan_algorithmE0ELj4294967295EEENS1_25partition_config_selectorILNS1_17partition_subalgoE3EjNS0_10empty_typeEbEEZZNS1_14partition_implILS8_3ELb0ES6_jNS0_17counting_iteratorIjlEEPS9_SE_NS0_5tupleIJPjSE_EEENSF_IJSE_SE_EEES9_SG_JZNS1_25segmented_radix_sort_implINS0_14default_configELb0EPKsPsPKlPlN2at6native12_GLOBAL__N_18offset_tEEE10hipError_tPvRmT1_PNSt15iterator_traitsISY_E10value_typeET2_T3_PNSZ_IS14_E10value_typeET4_jRbjT5_S1A_jjP12ihipStream_tbEUljE_EEESV_SW_SX_S14_S18_S1A_T6_T7_T9_mT8_S1C_bDpT10_ENKUlT_T0_E_clISt17integral_constantIbLb0EES1P_EEDaS1K_S1L_EUlS1K_E_NS1_11comp_targetILNS1_3genE10ELNS1_11target_archE1200ELNS1_3gpuE4ELNS1_3repE0EEENS1_30default_config_static_selectorELNS0_4arch9wavefront6targetE0EEEvSY_,@function
_ZN7rocprim17ROCPRIM_400000_NS6detail17trampoline_kernelINS0_13select_configILj256ELj13ELNS0_17block_load_methodE3ELS4_3ELS4_3ELNS0_20block_scan_algorithmE0ELj4294967295EEENS1_25partition_config_selectorILNS1_17partition_subalgoE3EjNS0_10empty_typeEbEEZZNS1_14partition_implILS8_3ELb0ES6_jNS0_17counting_iteratorIjlEEPS9_SE_NS0_5tupleIJPjSE_EEENSF_IJSE_SE_EEES9_SG_JZNS1_25segmented_radix_sort_implINS0_14default_configELb0EPKsPsPKlPlN2at6native12_GLOBAL__N_18offset_tEEE10hipError_tPvRmT1_PNSt15iterator_traitsISY_E10value_typeET2_T3_PNSZ_IS14_E10value_typeET4_jRbjT5_S1A_jjP12ihipStream_tbEUljE_EEESV_SW_SX_S14_S18_S1A_T6_T7_T9_mT8_S1C_bDpT10_ENKUlT_T0_E_clISt17integral_constantIbLb0EES1P_EEDaS1K_S1L_EUlS1K_E_NS1_11comp_targetILNS1_3genE10ELNS1_11target_archE1200ELNS1_3gpuE4ELNS1_3repE0EEENS1_30default_config_static_selectorELNS0_4arch9wavefront6targetE0EEEvSY_: ; @_ZN7rocprim17ROCPRIM_400000_NS6detail17trampoline_kernelINS0_13select_configILj256ELj13ELNS0_17block_load_methodE3ELS4_3ELS4_3ELNS0_20block_scan_algorithmE0ELj4294967295EEENS1_25partition_config_selectorILNS1_17partition_subalgoE3EjNS0_10empty_typeEbEEZZNS1_14partition_implILS8_3ELb0ES6_jNS0_17counting_iteratorIjlEEPS9_SE_NS0_5tupleIJPjSE_EEENSF_IJSE_SE_EEES9_SG_JZNS1_25segmented_radix_sort_implINS0_14default_configELb0EPKsPsPKlPlN2at6native12_GLOBAL__N_18offset_tEEE10hipError_tPvRmT1_PNSt15iterator_traitsISY_E10value_typeET2_T3_PNSZ_IS14_E10value_typeET4_jRbjT5_S1A_jjP12ihipStream_tbEUljE_EEESV_SW_SX_S14_S18_S1A_T6_T7_T9_mT8_S1C_bDpT10_ENKUlT_T0_E_clISt17integral_constantIbLb0EES1P_EEDaS1K_S1L_EUlS1K_E_NS1_11comp_targetILNS1_3genE10ELNS1_11target_archE1200ELNS1_3gpuE4ELNS1_3repE0EEENS1_30default_config_static_selectorELNS0_4arch9wavefront6targetE0EEEvSY_
; %bb.0:
	.section	.rodata,"a",@progbits
	.p2align	6, 0x0
	.amdhsa_kernel _ZN7rocprim17ROCPRIM_400000_NS6detail17trampoline_kernelINS0_13select_configILj256ELj13ELNS0_17block_load_methodE3ELS4_3ELS4_3ELNS0_20block_scan_algorithmE0ELj4294967295EEENS1_25partition_config_selectorILNS1_17partition_subalgoE3EjNS0_10empty_typeEbEEZZNS1_14partition_implILS8_3ELb0ES6_jNS0_17counting_iteratorIjlEEPS9_SE_NS0_5tupleIJPjSE_EEENSF_IJSE_SE_EEES9_SG_JZNS1_25segmented_radix_sort_implINS0_14default_configELb0EPKsPsPKlPlN2at6native12_GLOBAL__N_18offset_tEEE10hipError_tPvRmT1_PNSt15iterator_traitsISY_E10value_typeET2_T3_PNSZ_IS14_E10value_typeET4_jRbjT5_S1A_jjP12ihipStream_tbEUljE_EEESV_SW_SX_S14_S18_S1A_T6_T7_T9_mT8_S1C_bDpT10_ENKUlT_T0_E_clISt17integral_constantIbLb0EES1P_EEDaS1K_S1L_EUlS1K_E_NS1_11comp_targetILNS1_3genE10ELNS1_11target_archE1200ELNS1_3gpuE4ELNS1_3repE0EEENS1_30default_config_static_selectorELNS0_4arch9wavefront6targetE0EEEvSY_
		.amdhsa_group_segment_fixed_size 0
		.amdhsa_private_segment_fixed_size 0
		.amdhsa_kernarg_size 144
		.amdhsa_user_sgpr_count 2
		.amdhsa_user_sgpr_dispatch_ptr 0
		.amdhsa_user_sgpr_queue_ptr 0
		.amdhsa_user_sgpr_kernarg_segment_ptr 1
		.amdhsa_user_sgpr_dispatch_id 0
		.amdhsa_user_sgpr_kernarg_preload_length 0
		.amdhsa_user_sgpr_kernarg_preload_offset 0
		.amdhsa_user_sgpr_private_segment_size 0
		.amdhsa_wavefront_size32 1
		.amdhsa_uses_dynamic_stack 0
		.amdhsa_enable_private_segment 0
		.amdhsa_system_sgpr_workgroup_id_x 1
		.amdhsa_system_sgpr_workgroup_id_y 0
		.amdhsa_system_sgpr_workgroup_id_z 0
		.amdhsa_system_sgpr_workgroup_info 0
		.amdhsa_system_vgpr_workitem_id 0
		.amdhsa_next_free_vgpr 1
		.amdhsa_next_free_sgpr 1
		.amdhsa_named_barrier_count 0
		.amdhsa_reserve_vcc 0
		.amdhsa_float_round_mode_32 0
		.amdhsa_float_round_mode_16_64 0
		.amdhsa_float_denorm_mode_32 3
		.amdhsa_float_denorm_mode_16_64 3
		.amdhsa_fp16_overflow 0
		.amdhsa_memory_ordered 1
		.amdhsa_forward_progress 1
		.amdhsa_inst_pref_size 0
		.amdhsa_round_robin_scheduling 0
		.amdhsa_exception_fp_ieee_invalid_op 0
		.amdhsa_exception_fp_denorm_src 0
		.amdhsa_exception_fp_ieee_div_zero 0
		.amdhsa_exception_fp_ieee_overflow 0
		.amdhsa_exception_fp_ieee_underflow 0
		.amdhsa_exception_fp_ieee_inexact 0
		.amdhsa_exception_int_div_zero 0
	.end_amdhsa_kernel
	.section	.text._ZN7rocprim17ROCPRIM_400000_NS6detail17trampoline_kernelINS0_13select_configILj256ELj13ELNS0_17block_load_methodE3ELS4_3ELS4_3ELNS0_20block_scan_algorithmE0ELj4294967295EEENS1_25partition_config_selectorILNS1_17partition_subalgoE3EjNS0_10empty_typeEbEEZZNS1_14partition_implILS8_3ELb0ES6_jNS0_17counting_iteratorIjlEEPS9_SE_NS0_5tupleIJPjSE_EEENSF_IJSE_SE_EEES9_SG_JZNS1_25segmented_radix_sort_implINS0_14default_configELb0EPKsPsPKlPlN2at6native12_GLOBAL__N_18offset_tEEE10hipError_tPvRmT1_PNSt15iterator_traitsISY_E10value_typeET2_T3_PNSZ_IS14_E10value_typeET4_jRbjT5_S1A_jjP12ihipStream_tbEUljE_EEESV_SW_SX_S14_S18_S1A_T6_T7_T9_mT8_S1C_bDpT10_ENKUlT_T0_E_clISt17integral_constantIbLb0EES1P_EEDaS1K_S1L_EUlS1K_E_NS1_11comp_targetILNS1_3genE10ELNS1_11target_archE1200ELNS1_3gpuE4ELNS1_3repE0EEENS1_30default_config_static_selectorELNS0_4arch9wavefront6targetE0EEEvSY_,"axG",@progbits,_ZN7rocprim17ROCPRIM_400000_NS6detail17trampoline_kernelINS0_13select_configILj256ELj13ELNS0_17block_load_methodE3ELS4_3ELS4_3ELNS0_20block_scan_algorithmE0ELj4294967295EEENS1_25partition_config_selectorILNS1_17partition_subalgoE3EjNS0_10empty_typeEbEEZZNS1_14partition_implILS8_3ELb0ES6_jNS0_17counting_iteratorIjlEEPS9_SE_NS0_5tupleIJPjSE_EEENSF_IJSE_SE_EEES9_SG_JZNS1_25segmented_radix_sort_implINS0_14default_configELb0EPKsPsPKlPlN2at6native12_GLOBAL__N_18offset_tEEE10hipError_tPvRmT1_PNSt15iterator_traitsISY_E10value_typeET2_T3_PNSZ_IS14_E10value_typeET4_jRbjT5_S1A_jjP12ihipStream_tbEUljE_EEESV_SW_SX_S14_S18_S1A_T6_T7_T9_mT8_S1C_bDpT10_ENKUlT_T0_E_clISt17integral_constantIbLb0EES1P_EEDaS1K_S1L_EUlS1K_E_NS1_11comp_targetILNS1_3genE10ELNS1_11target_archE1200ELNS1_3gpuE4ELNS1_3repE0EEENS1_30default_config_static_selectorELNS0_4arch9wavefront6targetE0EEEvSY_,comdat
.Lfunc_end982:
	.size	_ZN7rocprim17ROCPRIM_400000_NS6detail17trampoline_kernelINS0_13select_configILj256ELj13ELNS0_17block_load_methodE3ELS4_3ELS4_3ELNS0_20block_scan_algorithmE0ELj4294967295EEENS1_25partition_config_selectorILNS1_17partition_subalgoE3EjNS0_10empty_typeEbEEZZNS1_14partition_implILS8_3ELb0ES6_jNS0_17counting_iteratorIjlEEPS9_SE_NS0_5tupleIJPjSE_EEENSF_IJSE_SE_EEES9_SG_JZNS1_25segmented_radix_sort_implINS0_14default_configELb0EPKsPsPKlPlN2at6native12_GLOBAL__N_18offset_tEEE10hipError_tPvRmT1_PNSt15iterator_traitsISY_E10value_typeET2_T3_PNSZ_IS14_E10value_typeET4_jRbjT5_S1A_jjP12ihipStream_tbEUljE_EEESV_SW_SX_S14_S18_S1A_T6_T7_T9_mT8_S1C_bDpT10_ENKUlT_T0_E_clISt17integral_constantIbLb0EES1P_EEDaS1K_S1L_EUlS1K_E_NS1_11comp_targetILNS1_3genE10ELNS1_11target_archE1200ELNS1_3gpuE4ELNS1_3repE0EEENS1_30default_config_static_selectorELNS0_4arch9wavefront6targetE0EEEvSY_, .Lfunc_end982-_ZN7rocprim17ROCPRIM_400000_NS6detail17trampoline_kernelINS0_13select_configILj256ELj13ELNS0_17block_load_methodE3ELS4_3ELS4_3ELNS0_20block_scan_algorithmE0ELj4294967295EEENS1_25partition_config_selectorILNS1_17partition_subalgoE3EjNS0_10empty_typeEbEEZZNS1_14partition_implILS8_3ELb0ES6_jNS0_17counting_iteratorIjlEEPS9_SE_NS0_5tupleIJPjSE_EEENSF_IJSE_SE_EEES9_SG_JZNS1_25segmented_radix_sort_implINS0_14default_configELb0EPKsPsPKlPlN2at6native12_GLOBAL__N_18offset_tEEE10hipError_tPvRmT1_PNSt15iterator_traitsISY_E10value_typeET2_T3_PNSZ_IS14_E10value_typeET4_jRbjT5_S1A_jjP12ihipStream_tbEUljE_EEESV_SW_SX_S14_S18_S1A_T6_T7_T9_mT8_S1C_bDpT10_ENKUlT_T0_E_clISt17integral_constantIbLb0EES1P_EEDaS1K_S1L_EUlS1K_E_NS1_11comp_targetILNS1_3genE10ELNS1_11target_archE1200ELNS1_3gpuE4ELNS1_3repE0EEENS1_30default_config_static_selectorELNS0_4arch9wavefront6targetE0EEEvSY_
                                        ; -- End function
	.set _ZN7rocprim17ROCPRIM_400000_NS6detail17trampoline_kernelINS0_13select_configILj256ELj13ELNS0_17block_load_methodE3ELS4_3ELS4_3ELNS0_20block_scan_algorithmE0ELj4294967295EEENS1_25partition_config_selectorILNS1_17partition_subalgoE3EjNS0_10empty_typeEbEEZZNS1_14partition_implILS8_3ELb0ES6_jNS0_17counting_iteratorIjlEEPS9_SE_NS0_5tupleIJPjSE_EEENSF_IJSE_SE_EEES9_SG_JZNS1_25segmented_radix_sort_implINS0_14default_configELb0EPKsPsPKlPlN2at6native12_GLOBAL__N_18offset_tEEE10hipError_tPvRmT1_PNSt15iterator_traitsISY_E10value_typeET2_T3_PNSZ_IS14_E10value_typeET4_jRbjT5_S1A_jjP12ihipStream_tbEUljE_EEESV_SW_SX_S14_S18_S1A_T6_T7_T9_mT8_S1C_bDpT10_ENKUlT_T0_E_clISt17integral_constantIbLb0EES1P_EEDaS1K_S1L_EUlS1K_E_NS1_11comp_targetILNS1_3genE10ELNS1_11target_archE1200ELNS1_3gpuE4ELNS1_3repE0EEENS1_30default_config_static_selectorELNS0_4arch9wavefront6targetE0EEEvSY_.num_vgpr, 0
	.set _ZN7rocprim17ROCPRIM_400000_NS6detail17trampoline_kernelINS0_13select_configILj256ELj13ELNS0_17block_load_methodE3ELS4_3ELS4_3ELNS0_20block_scan_algorithmE0ELj4294967295EEENS1_25partition_config_selectorILNS1_17partition_subalgoE3EjNS0_10empty_typeEbEEZZNS1_14partition_implILS8_3ELb0ES6_jNS0_17counting_iteratorIjlEEPS9_SE_NS0_5tupleIJPjSE_EEENSF_IJSE_SE_EEES9_SG_JZNS1_25segmented_radix_sort_implINS0_14default_configELb0EPKsPsPKlPlN2at6native12_GLOBAL__N_18offset_tEEE10hipError_tPvRmT1_PNSt15iterator_traitsISY_E10value_typeET2_T3_PNSZ_IS14_E10value_typeET4_jRbjT5_S1A_jjP12ihipStream_tbEUljE_EEESV_SW_SX_S14_S18_S1A_T6_T7_T9_mT8_S1C_bDpT10_ENKUlT_T0_E_clISt17integral_constantIbLb0EES1P_EEDaS1K_S1L_EUlS1K_E_NS1_11comp_targetILNS1_3genE10ELNS1_11target_archE1200ELNS1_3gpuE4ELNS1_3repE0EEENS1_30default_config_static_selectorELNS0_4arch9wavefront6targetE0EEEvSY_.num_agpr, 0
	.set _ZN7rocprim17ROCPRIM_400000_NS6detail17trampoline_kernelINS0_13select_configILj256ELj13ELNS0_17block_load_methodE3ELS4_3ELS4_3ELNS0_20block_scan_algorithmE0ELj4294967295EEENS1_25partition_config_selectorILNS1_17partition_subalgoE3EjNS0_10empty_typeEbEEZZNS1_14partition_implILS8_3ELb0ES6_jNS0_17counting_iteratorIjlEEPS9_SE_NS0_5tupleIJPjSE_EEENSF_IJSE_SE_EEES9_SG_JZNS1_25segmented_radix_sort_implINS0_14default_configELb0EPKsPsPKlPlN2at6native12_GLOBAL__N_18offset_tEEE10hipError_tPvRmT1_PNSt15iterator_traitsISY_E10value_typeET2_T3_PNSZ_IS14_E10value_typeET4_jRbjT5_S1A_jjP12ihipStream_tbEUljE_EEESV_SW_SX_S14_S18_S1A_T6_T7_T9_mT8_S1C_bDpT10_ENKUlT_T0_E_clISt17integral_constantIbLb0EES1P_EEDaS1K_S1L_EUlS1K_E_NS1_11comp_targetILNS1_3genE10ELNS1_11target_archE1200ELNS1_3gpuE4ELNS1_3repE0EEENS1_30default_config_static_selectorELNS0_4arch9wavefront6targetE0EEEvSY_.numbered_sgpr, 0
	.set _ZN7rocprim17ROCPRIM_400000_NS6detail17trampoline_kernelINS0_13select_configILj256ELj13ELNS0_17block_load_methodE3ELS4_3ELS4_3ELNS0_20block_scan_algorithmE0ELj4294967295EEENS1_25partition_config_selectorILNS1_17partition_subalgoE3EjNS0_10empty_typeEbEEZZNS1_14partition_implILS8_3ELb0ES6_jNS0_17counting_iteratorIjlEEPS9_SE_NS0_5tupleIJPjSE_EEENSF_IJSE_SE_EEES9_SG_JZNS1_25segmented_radix_sort_implINS0_14default_configELb0EPKsPsPKlPlN2at6native12_GLOBAL__N_18offset_tEEE10hipError_tPvRmT1_PNSt15iterator_traitsISY_E10value_typeET2_T3_PNSZ_IS14_E10value_typeET4_jRbjT5_S1A_jjP12ihipStream_tbEUljE_EEESV_SW_SX_S14_S18_S1A_T6_T7_T9_mT8_S1C_bDpT10_ENKUlT_T0_E_clISt17integral_constantIbLb0EES1P_EEDaS1K_S1L_EUlS1K_E_NS1_11comp_targetILNS1_3genE10ELNS1_11target_archE1200ELNS1_3gpuE4ELNS1_3repE0EEENS1_30default_config_static_selectorELNS0_4arch9wavefront6targetE0EEEvSY_.num_named_barrier, 0
	.set _ZN7rocprim17ROCPRIM_400000_NS6detail17trampoline_kernelINS0_13select_configILj256ELj13ELNS0_17block_load_methodE3ELS4_3ELS4_3ELNS0_20block_scan_algorithmE0ELj4294967295EEENS1_25partition_config_selectorILNS1_17partition_subalgoE3EjNS0_10empty_typeEbEEZZNS1_14partition_implILS8_3ELb0ES6_jNS0_17counting_iteratorIjlEEPS9_SE_NS0_5tupleIJPjSE_EEENSF_IJSE_SE_EEES9_SG_JZNS1_25segmented_radix_sort_implINS0_14default_configELb0EPKsPsPKlPlN2at6native12_GLOBAL__N_18offset_tEEE10hipError_tPvRmT1_PNSt15iterator_traitsISY_E10value_typeET2_T3_PNSZ_IS14_E10value_typeET4_jRbjT5_S1A_jjP12ihipStream_tbEUljE_EEESV_SW_SX_S14_S18_S1A_T6_T7_T9_mT8_S1C_bDpT10_ENKUlT_T0_E_clISt17integral_constantIbLb0EES1P_EEDaS1K_S1L_EUlS1K_E_NS1_11comp_targetILNS1_3genE10ELNS1_11target_archE1200ELNS1_3gpuE4ELNS1_3repE0EEENS1_30default_config_static_selectorELNS0_4arch9wavefront6targetE0EEEvSY_.private_seg_size, 0
	.set _ZN7rocprim17ROCPRIM_400000_NS6detail17trampoline_kernelINS0_13select_configILj256ELj13ELNS0_17block_load_methodE3ELS4_3ELS4_3ELNS0_20block_scan_algorithmE0ELj4294967295EEENS1_25partition_config_selectorILNS1_17partition_subalgoE3EjNS0_10empty_typeEbEEZZNS1_14partition_implILS8_3ELb0ES6_jNS0_17counting_iteratorIjlEEPS9_SE_NS0_5tupleIJPjSE_EEENSF_IJSE_SE_EEES9_SG_JZNS1_25segmented_radix_sort_implINS0_14default_configELb0EPKsPsPKlPlN2at6native12_GLOBAL__N_18offset_tEEE10hipError_tPvRmT1_PNSt15iterator_traitsISY_E10value_typeET2_T3_PNSZ_IS14_E10value_typeET4_jRbjT5_S1A_jjP12ihipStream_tbEUljE_EEESV_SW_SX_S14_S18_S1A_T6_T7_T9_mT8_S1C_bDpT10_ENKUlT_T0_E_clISt17integral_constantIbLb0EES1P_EEDaS1K_S1L_EUlS1K_E_NS1_11comp_targetILNS1_3genE10ELNS1_11target_archE1200ELNS1_3gpuE4ELNS1_3repE0EEENS1_30default_config_static_selectorELNS0_4arch9wavefront6targetE0EEEvSY_.uses_vcc, 0
	.set _ZN7rocprim17ROCPRIM_400000_NS6detail17trampoline_kernelINS0_13select_configILj256ELj13ELNS0_17block_load_methodE3ELS4_3ELS4_3ELNS0_20block_scan_algorithmE0ELj4294967295EEENS1_25partition_config_selectorILNS1_17partition_subalgoE3EjNS0_10empty_typeEbEEZZNS1_14partition_implILS8_3ELb0ES6_jNS0_17counting_iteratorIjlEEPS9_SE_NS0_5tupleIJPjSE_EEENSF_IJSE_SE_EEES9_SG_JZNS1_25segmented_radix_sort_implINS0_14default_configELb0EPKsPsPKlPlN2at6native12_GLOBAL__N_18offset_tEEE10hipError_tPvRmT1_PNSt15iterator_traitsISY_E10value_typeET2_T3_PNSZ_IS14_E10value_typeET4_jRbjT5_S1A_jjP12ihipStream_tbEUljE_EEESV_SW_SX_S14_S18_S1A_T6_T7_T9_mT8_S1C_bDpT10_ENKUlT_T0_E_clISt17integral_constantIbLb0EES1P_EEDaS1K_S1L_EUlS1K_E_NS1_11comp_targetILNS1_3genE10ELNS1_11target_archE1200ELNS1_3gpuE4ELNS1_3repE0EEENS1_30default_config_static_selectorELNS0_4arch9wavefront6targetE0EEEvSY_.uses_flat_scratch, 0
	.set _ZN7rocprim17ROCPRIM_400000_NS6detail17trampoline_kernelINS0_13select_configILj256ELj13ELNS0_17block_load_methodE3ELS4_3ELS4_3ELNS0_20block_scan_algorithmE0ELj4294967295EEENS1_25partition_config_selectorILNS1_17partition_subalgoE3EjNS0_10empty_typeEbEEZZNS1_14partition_implILS8_3ELb0ES6_jNS0_17counting_iteratorIjlEEPS9_SE_NS0_5tupleIJPjSE_EEENSF_IJSE_SE_EEES9_SG_JZNS1_25segmented_radix_sort_implINS0_14default_configELb0EPKsPsPKlPlN2at6native12_GLOBAL__N_18offset_tEEE10hipError_tPvRmT1_PNSt15iterator_traitsISY_E10value_typeET2_T3_PNSZ_IS14_E10value_typeET4_jRbjT5_S1A_jjP12ihipStream_tbEUljE_EEESV_SW_SX_S14_S18_S1A_T6_T7_T9_mT8_S1C_bDpT10_ENKUlT_T0_E_clISt17integral_constantIbLb0EES1P_EEDaS1K_S1L_EUlS1K_E_NS1_11comp_targetILNS1_3genE10ELNS1_11target_archE1200ELNS1_3gpuE4ELNS1_3repE0EEENS1_30default_config_static_selectorELNS0_4arch9wavefront6targetE0EEEvSY_.has_dyn_sized_stack, 0
	.set _ZN7rocprim17ROCPRIM_400000_NS6detail17trampoline_kernelINS0_13select_configILj256ELj13ELNS0_17block_load_methodE3ELS4_3ELS4_3ELNS0_20block_scan_algorithmE0ELj4294967295EEENS1_25partition_config_selectorILNS1_17partition_subalgoE3EjNS0_10empty_typeEbEEZZNS1_14partition_implILS8_3ELb0ES6_jNS0_17counting_iteratorIjlEEPS9_SE_NS0_5tupleIJPjSE_EEENSF_IJSE_SE_EEES9_SG_JZNS1_25segmented_radix_sort_implINS0_14default_configELb0EPKsPsPKlPlN2at6native12_GLOBAL__N_18offset_tEEE10hipError_tPvRmT1_PNSt15iterator_traitsISY_E10value_typeET2_T3_PNSZ_IS14_E10value_typeET4_jRbjT5_S1A_jjP12ihipStream_tbEUljE_EEESV_SW_SX_S14_S18_S1A_T6_T7_T9_mT8_S1C_bDpT10_ENKUlT_T0_E_clISt17integral_constantIbLb0EES1P_EEDaS1K_S1L_EUlS1K_E_NS1_11comp_targetILNS1_3genE10ELNS1_11target_archE1200ELNS1_3gpuE4ELNS1_3repE0EEENS1_30default_config_static_selectorELNS0_4arch9wavefront6targetE0EEEvSY_.has_recursion, 0
	.set _ZN7rocprim17ROCPRIM_400000_NS6detail17trampoline_kernelINS0_13select_configILj256ELj13ELNS0_17block_load_methodE3ELS4_3ELS4_3ELNS0_20block_scan_algorithmE0ELj4294967295EEENS1_25partition_config_selectorILNS1_17partition_subalgoE3EjNS0_10empty_typeEbEEZZNS1_14partition_implILS8_3ELb0ES6_jNS0_17counting_iteratorIjlEEPS9_SE_NS0_5tupleIJPjSE_EEENSF_IJSE_SE_EEES9_SG_JZNS1_25segmented_radix_sort_implINS0_14default_configELb0EPKsPsPKlPlN2at6native12_GLOBAL__N_18offset_tEEE10hipError_tPvRmT1_PNSt15iterator_traitsISY_E10value_typeET2_T3_PNSZ_IS14_E10value_typeET4_jRbjT5_S1A_jjP12ihipStream_tbEUljE_EEESV_SW_SX_S14_S18_S1A_T6_T7_T9_mT8_S1C_bDpT10_ENKUlT_T0_E_clISt17integral_constantIbLb0EES1P_EEDaS1K_S1L_EUlS1K_E_NS1_11comp_targetILNS1_3genE10ELNS1_11target_archE1200ELNS1_3gpuE4ELNS1_3repE0EEENS1_30default_config_static_selectorELNS0_4arch9wavefront6targetE0EEEvSY_.has_indirect_call, 0
	.section	.AMDGPU.csdata,"",@progbits
; Kernel info:
; codeLenInByte = 0
; TotalNumSgprs: 0
; NumVgprs: 0
; ScratchSize: 0
; MemoryBound: 0
; FloatMode: 240
; IeeeMode: 1
; LDSByteSize: 0 bytes/workgroup (compile time only)
; SGPRBlocks: 0
; VGPRBlocks: 0
; NumSGPRsForWavesPerEU: 1
; NumVGPRsForWavesPerEU: 1
; NamedBarCnt: 0
; Occupancy: 16
; WaveLimiterHint : 0
; COMPUTE_PGM_RSRC2:SCRATCH_EN: 0
; COMPUTE_PGM_RSRC2:USER_SGPR: 2
; COMPUTE_PGM_RSRC2:TRAP_HANDLER: 0
; COMPUTE_PGM_RSRC2:TGID_X_EN: 1
; COMPUTE_PGM_RSRC2:TGID_Y_EN: 0
; COMPUTE_PGM_RSRC2:TGID_Z_EN: 0
; COMPUTE_PGM_RSRC2:TIDIG_COMP_CNT: 0
	.section	.text._ZN7rocprim17ROCPRIM_400000_NS6detail17trampoline_kernelINS0_13select_configILj256ELj13ELNS0_17block_load_methodE3ELS4_3ELS4_3ELNS0_20block_scan_algorithmE0ELj4294967295EEENS1_25partition_config_selectorILNS1_17partition_subalgoE3EjNS0_10empty_typeEbEEZZNS1_14partition_implILS8_3ELb0ES6_jNS0_17counting_iteratorIjlEEPS9_SE_NS0_5tupleIJPjSE_EEENSF_IJSE_SE_EEES9_SG_JZNS1_25segmented_radix_sort_implINS0_14default_configELb0EPKsPsPKlPlN2at6native12_GLOBAL__N_18offset_tEEE10hipError_tPvRmT1_PNSt15iterator_traitsISY_E10value_typeET2_T3_PNSZ_IS14_E10value_typeET4_jRbjT5_S1A_jjP12ihipStream_tbEUljE_EEESV_SW_SX_S14_S18_S1A_T6_T7_T9_mT8_S1C_bDpT10_ENKUlT_T0_E_clISt17integral_constantIbLb0EES1P_EEDaS1K_S1L_EUlS1K_E_NS1_11comp_targetILNS1_3genE9ELNS1_11target_archE1100ELNS1_3gpuE3ELNS1_3repE0EEENS1_30default_config_static_selectorELNS0_4arch9wavefront6targetE0EEEvSY_,"axG",@progbits,_ZN7rocprim17ROCPRIM_400000_NS6detail17trampoline_kernelINS0_13select_configILj256ELj13ELNS0_17block_load_methodE3ELS4_3ELS4_3ELNS0_20block_scan_algorithmE0ELj4294967295EEENS1_25partition_config_selectorILNS1_17partition_subalgoE3EjNS0_10empty_typeEbEEZZNS1_14partition_implILS8_3ELb0ES6_jNS0_17counting_iteratorIjlEEPS9_SE_NS0_5tupleIJPjSE_EEENSF_IJSE_SE_EEES9_SG_JZNS1_25segmented_radix_sort_implINS0_14default_configELb0EPKsPsPKlPlN2at6native12_GLOBAL__N_18offset_tEEE10hipError_tPvRmT1_PNSt15iterator_traitsISY_E10value_typeET2_T3_PNSZ_IS14_E10value_typeET4_jRbjT5_S1A_jjP12ihipStream_tbEUljE_EEESV_SW_SX_S14_S18_S1A_T6_T7_T9_mT8_S1C_bDpT10_ENKUlT_T0_E_clISt17integral_constantIbLb0EES1P_EEDaS1K_S1L_EUlS1K_E_NS1_11comp_targetILNS1_3genE9ELNS1_11target_archE1100ELNS1_3gpuE3ELNS1_3repE0EEENS1_30default_config_static_selectorELNS0_4arch9wavefront6targetE0EEEvSY_,comdat
	.globl	_ZN7rocprim17ROCPRIM_400000_NS6detail17trampoline_kernelINS0_13select_configILj256ELj13ELNS0_17block_load_methodE3ELS4_3ELS4_3ELNS0_20block_scan_algorithmE0ELj4294967295EEENS1_25partition_config_selectorILNS1_17partition_subalgoE3EjNS0_10empty_typeEbEEZZNS1_14partition_implILS8_3ELb0ES6_jNS0_17counting_iteratorIjlEEPS9_SE_NS0_5tupleIJPjSE_EEENSF_IJSE_SE_EEES9_SG_JZNS1_25segmented_radix_sort_implINS0_14default_configELb0EPKsPsPKlPlN2at6native12_GLOBAL__N_18offset_tEEE10hipError_tPvRmT1_PNSt15iterator_traitsISY_E10value_typeET2_T3_PNSZ_IS14_E10value_typeET4_jRbjT5_S1A_jjP12ihipStream_tbEUljE_EEESV_SW_SX_S14_S18_S1A_T6_T7_T9_mT8_S1C_bDpT10_ENKUlT_T0_E_clISt17integral_constantIbLb0EES1P_EEDaS1K_S1L_EUlS1K_E_NS1_11comp_targetILNS1_3genE9ELNS1_11target_archE1100ELNS1_3gpuE3ELNS1_3repE0EEENS1_30default_config_static_selectorELNS0_4arch9wavefront6targetE0EEEvSY_ ; -- Begin function _ZN7rocprim17ROCPRIM_400000_NS6detail17trampoline_kernelINS0_13select_configILj256ELj13ELNS0_17block_load_methodE3ELS4_3ELS4_3ELNS0_20block_scan_algorithmE0ELj4294967295EEENS1_25partition_config_selectorILNS1_17partition_subalgoE3EjNS0_10empty_typeEbEEZZNS1_14partition_implILS8_3ELb0ES6_jNS0_17counting_iteratorIjlEEPS9_SE_NS0_5tupleIJPjSE_EEENSF_IJSE_SE_EEES9_SG_JZNS1_25segmented_radix_sort_implINS0_14default_configELb0EPKsPsPKlPlN2at6native12_GLOBAL__N_18offset_tEEE10hipError_tPvRmT1_PNSt15iterator_traitsISY_E10value_typeET2_T3_PNSZ_IS14_E10value_typeET4_jRbjT5_S1A_jjP12ihipStream_tbEUljE_EEESV_SW_SX_S14_S18_S1A_T6_T7_T9_mT8_S1C_bDpT10_ENKUlT_T0_E_clISt17integral_constantIbLb0EES1P_EEDaS1K_S1L_EUlS1K_E_NS1_11comp_targetILNS1_3genE9ELNS1_11target_archE1100ELNS1_3gpuE3ELNS1_3repE0EEENS1_30default_config_static_selectorELNS0_4arch9wavefront6targetE0EEEvSY_
	.p2align	8
	.type	_ZN7rocprim17ROCPRIM_400000_NS6detail17trampoline_kernelINS0_13select_configILj256ELj13ELNS0_17block_load_methodE3ELS4_3ELS4_3ELNS0_20block_scan_algorithmE0ELj4294967295EEENS1_25partition_config_selectorILNS1_17partition_subalgoE3EjNS0_10empty_typeEbEEZZNS1_14partition_implILS8_3ELb0ES6_jNS0_17counting_iteratorIjlEEPS9_SE_NS0_5tupleIJPjSE_EEENSF_IJSE_SE_EEES9_SG_JZNS1_25segmented_radix_sort_implINS0_14default_configELb0EPKsPsPKlPlN2at6native12_GLOBAL__N_18offset_tEEE10hipError_tPvRmT1_PNSt15iterator_traitsISY_E10value_typeET2_T3_PNSZ_IS14_E10value_typeET4_jRbjT5_S1A_jjP12ihipStream_tbEUljE_EEESV_SW_SX_S14_S18_S1A_T6_T7_T9_mT8_S1C_bDpT10_ENKUlT_T0_E_clISt17integral_constantIbLb0EES1P_EEDaS1K_S1L_EUlS1K_E_NS1_11comp_targetILNS1_3genE9ELNS1_11target_archE1100ELNS1_3gpuE3ELNS1_3repE0EEENS1_30default_config_static_selectorELNS0_4arch9wavefront6targetE0EEEvSY_,@function
_ZN7rocprim17ROCPRIM_400000_NS6detail17trampoline_kernelINS0_13select_configILj256ELj13ELNS0_17block_load_methodE3ELS4_3ELS4_3ELNS0_20block_scan_algorithmE0ELj4294967295EEENS1_25partition_config_selectorILNS1_17partition_subalgoE3EjNS0_10empty_typeEbEEZZNS1_14partition_implILS8_3ELb0ES6_jNS0_17counting_iteratorIjlEEPS9_SE_NS0_5tupleIJPjSE_EEENSF_IJSE_SE_EEES9_SG_JZNS1_25segmented_radix_sort_implINS0_14default_configELb0EPKsPsPKlPlN2at6native12_GLOBAL__N_18offset_tEEE10hipError_tPvRmT1_PNSt15iterator_traitsISY_E10value_typeET2_T3_PNSZ_IS14_E10value_typeET4_jRbjT5_S1A_jjP12ihipStream_tbEUljE_EEESV_SW_SX_S14_S18_S1A_T6_T7_T9_mT8_S1C_bDpT10_ENKUlT_T0_E_clISt17integral_constantIbLb0EES1P_EEDaS1K_S1L_EUlS1K_E_NS1_11comp_targetILNS1_3genE9ELNS1_11target_archE1100ELNS1_3gpuE3ELNS1_3repE0EEENS1_30default_config_static_selectorELNS0_4arch9wavefront6targetE0EEEvSY_: ; @_ZN7rocprim17ROCPRIM_400000_NS6detail17trampoline_kernelINS0_13select_configILj256ELj13ELNS0_17block_load_methodE3ELS4_3ELS4_3ELNS0_20block_scan_algorithmE0ELj4294967295EEENS1_25partition_config_selectorILNS1_17partition_subalgoE3EjNS0_10empty_typeEbEEZZNS1_14partition_implILS8_3ELb0ES6_jNS0_17counting_iteratorIjlEEPS9_SE_NS0_5tupleIJPjSE_EEENSF_IJSE_SE_EEES9_SG_JZNS1_25segmented_radix_sort_implINS0_14default_configELb0EPKsPsPKlPlN2at6native12_GLOBAL__N_18offset_tEEE10hipError_tPvRmT1_PNSt15iterator_traitsISY_E10value_typeET2_T3_PNSZ_IS14_E10value_typeET4_jRbjT5_S1A_jjP12ihipStream_tbEUljE_EEESV_SW_SX_S14_S18_S1A_T6_T7_T9_mT8_S1C_bDpT10_ENKUlT_T0_E_clISt17integral_constantIbLb0EES1P_EEDaS1K_S1L_EUlS1K_E_NS1_11comp_targetILNS1_3genE9ELNS1_11target_archE1100ELNS1_3gpuE3ELNS1_3repE0EEENS1_30default_config_static_selectorELNS0_4arch9wavefront6targetE0EEEvSY_
; %bb.0:
	.section	.rodata,"a",@progbits
	.p2align	6, 0x0
	.amdhsa_kernel _ZN7rocprim17ROCPRIM_400000_NS6detail17trampoline_kernelINS0_13select_configILj256ELj13ELNS0_17block_load_methodE3ELS4_3ELS4_3ELNS0_20block_scan_algorithmE0ELj4294967295EEENS1_25partition_config_selectorILNS1_17partition_subalgoE3EjNS0_10empty_typeEbEEZZNS1_14partition_implILS8_3ELb0ES6_jNS0_17counting_iteratorIjlEEPS9_SE_NS0_5tupleIJPjSE_EEENSF_IJSE_SE_EEES9_SG_JZNS1_25segmented_radix_sort_implINS0_14default_configELb0EPKsPsPKlPlN2at6native12_GLOBAL__N_18offset_tEEE10hipError_tPvRmT1_PNSt15iterator_traitsISY_E10value_typeET2_T3_PNSZ_IS14_E10value_typeET4_jRbjT5_S1A_jjP12ihipStream_tbEUljE_EEESV_SW_SX_S14_S18_S1A_T6_T7_T9_mT8_S1C_bDpT10_ENKUlT_T0_E_clISt17integral_constantIbLb0EES1P_EEDaS1K_S1L_EUlS1K_E_NS1_11comp_targetILNS1_3genE9ELNS1_11target_archE1100ELNS1_3gpuE3ELNS1_3repE0EEENS1_30default_config_static_selectorELNS0_4arch9wavefront6targetE0EEEvSY_
		.amdhsa_group_segment_fixed_size 0
		.amdhsa_private_segment_fixed_size 0
		.amdhsa_kernarg_size 144
		.amdhsa_user_sgpr_count 2
		.amdhsa_user_sgpr_dispatch_ptr 0
		.amdhsa_user_sgpr_queue_ptr 0
		.amdhsa_user_sgpr_kernarg_segment_ptr 1
		.amdhsa_user_sgpr_dispatch_id 0
		.amdhsa_user_sgpr_kernarg_preload_length 0
		.amdhsa_user_sgpr_kernarg_preload_offset 0
		.amdhsa_user_sgpr_private_segment_size 0
		.amdhsa_wavefront_size32 1
		.amdhsa_uses_dynamic_stack 0
		.amdhsa_enable_private_segment 0
		.amdhsa_system_sgpr_workgroup_id_x 1
		.amdhsa_system_sgpr_workgroup_id_y 0
		.amdhsa_system_sgpr_workgroup_id_z 0
		.amdhsa_system_sgpr_workgroup_info 0
		.amdhsa_system_vgpr_workitem_id 0
		.amdhsa_next_free_vgpr 1
		.amdhsa_next_free_sgpr 1
		.amdhsa_named_barrier_count 0
		.amdhsa_reserve_vcc 0
		.amdhsa_float_round_mode_32 0
		.amdhsa_float_round_mode_16_64 0
		.amdhsa_float_denorm_mode_32 3
		.amdhsa_float_denorm_mode_16_64 3
		.amdhsa_fp16_overflow 0
		.amdhsa_memory_ordered 1
		.amdhsa_forward_progress 1
		.amdhsa_inst_pref_size 0
		.amdhsa_round_robin_scheduling 0
		.amdhsa_exception_fp_ieee_invalid_op 0
		.amdhsa_exception_fp_denorm_src 0
		.amdhsa_exception_fp_ieee_div_zero 0
		.amdhsa_exception_fp_ieee_overflow 0
		.amdhsa_exception_fp_ieee_underflow 0
		.amdhsa_exception_fp_ieee_inexact 0
		.amdhsa_exception_int_div_zero 0
	.end_amdhsa_kernel
	.section	.text._ZN7rocprim17ROCPRIM_400000_NS6detail17trampoline_kernelINS0_13select_configILj256ELj13ELNS0_17block_load_methodE3ELS4_3ELS4_3ELNS0_20block_scan_algorithmE0ELj4294967295EEENS1_25partition_config_selectorILNS1_17partition_subalgoE3EjNS0_10empty_typeEbEEZZNS1_14partition_implILS8_3ELb0ES6_jNS0_17counting_iteratorIjlEEPS9_SE_NS0_5tupleIJPjSE_EEENSF_IJSE_SE_EEES9_SG_JZNS1_25segmented_radix_sort_implINS0_14default_configELb0EPKsPsPKlPlN2at6native12_GLOBAL__N_18offset_tEEE10hipError_tPvRmT1_PNSt15iterator_traitsISY_E10value_typeET2_T3_PNSZ_IS14_E10value_typeET4_jRbjT5_S1A_jjP12ihipStream_tbEUljE_EEESV_SW_SX_S14_S18_S1A_T6_T7_T9_mT8_S1C_bDpT10_ENKUlT_T0_E_clISt17integral_constantIbLb0EES1P_EEDaS1K_S1L_EUlS1K_E_NS1_11comp_targetILNS1_3genE9ELNS1_11target_archE1100ELNS1_3gpuE3ELNS1_3repE0EEENS1_30default_config_static_selectorELNS0_4arch9wavefront6targetE0EEEvSY_,"axG",@progbits,_ZN7rocprim17ROCPRIM_400000_NS6detail17trampoline_kernelINS0_13select_configILj256ELj13ELNS0_17block_load_methodE3ELS4_3ELS4_3ELNS0_20block_scan_algorithmE0ELj4294967295EEENS1_25partition_config_selectorILNS1_17partition_subalgoE3EjNS0_10empty_typeEbEEZZNS1_14partition_implILS8_3ELb0ES6_jNS0_17counting_iteratorIjlEEPS9_SE_NS0_5tupleIJPjSE_EEENSF_IJSE_SE_EEES9_SG_JZNS1_25segmented_radix_sort_implINS0_14default_configELb0EPKsPsPKlPlN2at6native12_GLOBAL__N_18offset_tEEE10hipError_tPvRmT1_PNSt15iterator_traitsISY_E10value_typeET2_T3_PNSZ_IS14_E10value_typeET4_jRbjT5_S1A_jjP12ihipStream_tbEUljE_EEESV_SW_SX_S14_S18_S1A_T6_T7_T9_mT8_S1C_bDpT10_ENKUlT_T0_E_clISt17integral_constantIbLb0EES1P_EEDaS1K_S1L_EUlS1K_E_NS1_11comp_targetILNS1_3genE9ELNS1_11target_archE1100ELNS1_3gpuE3ELNS1_3repE0EEENS1_30default_config_static_selectorELNS0_4arch9wavefront6targetE0EEEvSY_,comdat
.Lfunc_end983:
	.size	_ZN7rocprim17ROCPRIM_400000_NS6detail17trampoline_kernelINS0_13select_configILj256ELj13ELNS0_17block_load_methodE3ELS4_3ELS4_3ELNS0_20block_scan_algorithmE0ELj4294967295EEENS1_25partition_config_selectorILNS1_17partition_subalgoE3EjNS0_10empty_typeEbEEZZNS1_14partition_implILS8_3ELb0ES6_jNS0_17counting_iteratorIjlEEPS9_SE_NS0_5tupleIJPjSE_EEENSF_IJSE_SE_EEES9_SG_JZNS1_25segmented_radix_sort_implINS0_14default_configELb0EPKsPsPKlPlN2at6native12_GLOBAL__N_18offset_tEEE10hipError_tPvRmT1_PNSt15iterator_traitsISY_E10value_typeET2_T3_PNSZ_IS14_E10value_typeET4_jRbjT5_S1A_jjP12ihipStream_tbEUljE_EEESV_SW_SX_S14_S18_S1A_T6_T7_T9_mT8_S1C_bDpT10_ENKUlT_T0_E_clISt17integral_constantIbLb0EES1P_EEDaS1K_S1L_EUlS1K_E_NS1_11comp_targetILNS1_3genE9ELNS1_11target_archE1100ELNS1_3gpuE3ELNS1_3repE0EEENS1_30default_config_static_selectorELNS0_4arch9wavefront6targetE0EEEvSY_, .Lfunc_end983-_ZN7rocprim17ROCPRIM_400000_NS6detail17trampoline_kernelINS0_13select_configILj256ELj13ELNS0_17block_load_methodE3ELS4_3ELS4_3ELNS0_20block_scan_algorithmE0ELj4294967295EEENS1_25partition_config_selectorILNS1_17partition_subalgoE3EjNS0_10empty_typeEbEEZZNS1_14partition_implILS8_3ELb0ES6_jNS0_17counting_iteratorIjlEEPS9_SE_NS0_5tupleIJPjSE_EEENSF_IJSE_SE_EEES9_SG_JZNS1_25segmented_radix_sort_implINS0_14default_configELb0EPKsPsPKlPlN2at6native12_GLOBAL__N_18offset_tEEE10hipError_tPvRmT1_PNSt15iterator_traitsISY_E10value_typeET2_T3_PNSZ_IS14_E10value_typeET4_jRbjT5_S1A_jjP12ihipStream_tbEUljE_EEESV_SW_SX_S14_S18_S1A_T6_T7_T9_mT8_S1C_bDpT10_ENKUlT_T0_E_clISt17integral_constantIbLb0EES1P_EEDaS1K_S1L_EUlS1K_E_NS1_11comp_targetILNS1_3genE9ELNS1_11target_archE1100ELNS1_3gpuE3ELNS1_3repE0EEENS1_30default_config_static_selectorELNS0_4arch9wavefront6targetE0EEEvSY_
                                        ; -- End function
	.set _ZN7rocprim17ROCPRIM_400000_NS6detail17trampoline_kernelINS0_13select_configILj256ELj13ELNS0_17block_load_methodE3ELS4_3ELS4_3ELNS0_20block_scan_algorithmE0ELj4294967295EEENS1_25partition_config_selectorILNS1_17partition_subalgoE3EjNS0_10empty_typeEbEEZZNS1_14partition_implILS8_3ELb0ES6_jNS0_17counting_iteratorIjlEEPS9_SE_NS0_5tupleIJPjSE_EEENSF_IJSE_SE_EEES9_SG_JZNS1_25segmented_radix_sort_implINS0_14default_configELb0EPKsPsPKlPlN2at6native12_GLOBAL__N_18offset_tEEE10hipError_tPvRmT1_PNSt15iterator_traitsISY_E10value_typeET2_T3_PNSZ_IS14_E10value_typeET4_jRbjT5_S1A_jjP12ihipStream_tbEUljE_EEESV_SW_SX_S14_S18_S1A_T6_T7_T9_mT8_S1C_bDpT10_ENKUlT_T0_E_clISt17integral_constantIbLb0EES1P_EEDaS1K_S1L_EUlS1K_E_NS1_11comp_targetILNS1_3genE9ELNS1_11target_archE1100ELNS1_3gpuE3ELNS1_3repE0EEENS1_30default_config_static_selectorELNS0_4arch9wavefront6targetE0EEEvSY_.num_vgpr, 0
	.set _ZN7rocprim17ROCPRIM_400000_NS6detail17trampoline_kernelINS0_13select_configILj256ELj13ELNS0_17block_load_methodE3ELS4_3ELS4_3ELNS0_20block_scan_algorithmE0ELj4294967295EEENS1_25partition_config_selectorILNS1_17partition_subalgoE3EjNS0_10empty_typeEbEEZZNS1_14partition_implILS8_3ELb0ES6_jNS0_17counting_iteratorIjlEEPS9_SE_NS0_5tupleIJPjSE_EEENSF_IJSE_SE_EEES9_SG_JZNS1_25segmented_radix_sort_implINS0_14default_configELb0EPKsPsPKlPlN2at6native12_GLOBAL__N_18offset_tEEE10hipError_tPvRmT1_PNSt15iterator_traitsISY_E10value_typeET2_T3_PNSZ_IS14_E10value_typeET4_jRbjT5_S1A_jjP12ihipStream_tbEUljE_EEESV_SW_SX_S14_S18_S1A_T6_T7_T9_mT8_S1C_bDpT10_ENKUlT_T0_E_clISt17integral_constantIbLb0EES1P_EEDaS1K_S1L_EUlS1K_E_NS1_11comp_targetILNS1_3genE9ELNS1_11target_archE1100ELNS1_3gpuE3ELNS1_3repE0EEENS1_30default_config_static_selectorELNS0_4arch9wavefront6targetE0EEEvSY_.num_agpr, 0
	.set _ZN7rocprim17ROCPRIM_400000_NS6detail17trampoline_kernelINS0_13select_configILj256ELj13ELNS0_17block_load_methodE3ELS4_3ELS4_3ELNS0_20block_scan_algorithmE0ELj4294967295EEENS1_25partition_config_selectorILNS1_17partition_subalgoE3EjNS0_10empty_typeEbEEZZNS1_14partition_implILS8_3ELb0ES6_jNS0_17counting_iteratorIjlEEPS9_SE_NS0_5tupleIJPjSE_EEENSF_IJSE_SE_EEES9_SG_JZNS1_25segmented_radix_sort_implINS0_14default_configELb0EPKsPsPKlPlN2at6native12_GLOBAL__N_18offset_tEEE10hipError_tPvRmT1_PNSt15iterator_traitsISY_E10value_typeET2_T3_PNSZ_IS14_E10value_typeET4_jRbjT5_S1A_jjP12ihipStream_tbEUljE_EEESV_SW_SX_S14_S18_S1A_T6_T7_T9_mT8_S1C_bDpT10_ENKUlT_T0_E_clISt17integral_constantIbLb0EES1P_EEDaS1K_S1L_EUlS1K_E_NS1_11comp_targetILNS1_3genE9ELNS1_11target_archE1100ELNS1_3gpuE3ELNS1_3repE0EEENS1_30default_config_static_selectorELNS0_4arch9wavefront6targetE0EEEvSY_.numbered_sgpr, 0
	.set _ZN7rocprim17ROCPRIM_400000_NS6detail17trampoline_kernelINS0_13select_configILj256ELj13ELNS0_17block_load_methodE3ELS4_3ELS4_3ELNS0_20block_scan_algorithmE0ELj4294967295EEENS1_25partition_config_selectorILNS1_17partition_subalgoE3EjNS0_10empty_typeEbEEZZNS1_14partition_implILS8_3ELb0ES6_jNS0_17counting_iteratorIjlEEPS9_SE_NS0_5tupleIJPjSE_EEENSF_IJSE_SE_EEES9_SG_JZNS1_25segmented_radix_sort_implINS0_14default_configELb0EPKsPsPKlPlN2at6native12_GLOBAL__N_18offset_tEEE10hipError_tPvRmT1_PNSt15iterator_traitsISY_E10value_typeET2_T3_PNSZ_IS14_E10value_typeET4_jRbjT5_S1A_jjP12ihipStream_tbEUljE_EEESV_SW_SX_S14_S18_S1A_T6_T7_T9_mT8_S1C_bDpT10_ENKUlT_T0_E_clISt17integral_constantIbLb0EES1P_EEDaS1K_S1L_EUlS1K_E_NS1_11comp_targetILNS1_3genE9ELNS1_11target_archE1100ELNS1_3gpuE3ELNS1_3repE0EEENS1_30default_config_static_selectorELNS0_4arch9wavefront6targetE0EEEvSY_.num_named_barrier, 0
	.set _ZN7rocprim17ROCPRIM_400000_NS6detail17trampoline_kernelINS0_13select_configILj256ELj13ELNS0_17block_load_methodE3ELS4_3ELS4_3ELNS0_20block_scan_algorithmE0ELj4294967295EEENS1_25partition_config_selectorILNS1_17partition_subalgoE3EjNS0_10empty_typeEbEEZZNS1_14partition_implILS8_3ELb0ES6_jNS0_17counting_iteratorIjlEEPS9_SE_NS0_5tupleIJPjSE_EEENSF_IJSE_SE_EEES9_SG_JZNS1_25segmented_radix_sort_implINS0_14default_configELb0EPKsPsPKlPlN2at6native12_GLOBAL__N_18offset_tEEE10hipError_tPvRmT1_PNSt15iterator_traitsISY_E10value_typeET2_T3_PNSZ_IS14_E10value_typeET4_jRbjT5_S1A_jjP12ihipStream_tbEUljE_EEESV_SW_SX_S14_S18_S1A_T6_T7_T9_mT8_S1C_bDpT10_ENKUlT_T0_E_clISt17integral_constantIbLb0EES1P_EEDaS1K_S1L_EUlS1K_E_NS1_11comp_targetILNS1_3genE9ELNS1_11target_archE1100ELNS1_3gpuE3ELNS1_3repE0EEENS1_30default_config_static_selectorELNS0_4arch9wavefront6targetE0EEEvSY_.private_seg_size, 0
	.set _ZN7rocprim17ROCPRIM_400000_NS6detail17trampoline_kernelINS0_13select_configILj256ELj13ELNS0_17block_load_methodE3ELS4_3ELS4_3ELNS0_20block_scan_algorithmE0ELj4294967295EEENS1_25partition_config_selectorILNS1_17partition_subalgoE3EjNS0_10empty_typeEbEEZZNS1_14partition_implILS8_3ELb0ES6_jNS0_17counting_iteratorIjlEEPS9_SE_NS0_5tupleIJPjSE_EEENSF_IJSE_SE_EEES9_SG_JZNS1_25segmented_radix_sort_implINS0_14default_configELb0EPKsPsPKlPlN2at6native12_GLOBAL__N_18offset_tEEE10hipError_tPvRmT1_PNSt15iterator_traitsISY_E10value_typeET2_T3_PNSZ_IS14_E10value_typeET4_jRbjT5_S1A_jjP12ihipStream_tbEUljE_EEESV_SW_SX_S14_S18_S1A_T6_T7_T9_mT8_S1C_bDpT10_ENKUlT_T0_E_clISt17integral_constantIbLb0EES1P_EEDaS1K_S1L_EUlS1K_E_NS1_11comp_targetILNS1_3genE9ELNS1_11target_archE1100ELNS1_3gpuE3ELNS1_3repE0EEENS1_30default_config_static_selectorELNS0_4arch9wavefront6targetE0EEEvSY_.uses_vcc, 0
	.set _ZN7rocprim17ROCPRIM_400000_NS6detail17trampoline_kernelINS0_13select_configILj256ELj13ELNS0_17block_load_methodE3ELS4_3ELS4_3ELNS0_20block_scan_algorithmE0ELj4294967295EEENS1_25partition_config_selectorILNS1_17partition_subalgoE3EjNS0_10empty_typeEbEEZZNS1_14partition_implILS8_3ELb0ES6_jNS0_17counting_iteratorIjlEEPS9_SE_NS0_5tupleIJPjSE_EEENSF_IJSE_SE_EEES9_SG_JZNS1_25segmented_radix_sort_implINS0_14default_configELb0EPKsPsPKlPlN2at6native12_GLOBAL__N_18offset_tEEE10hipError_tPvRmT1_PNSt15iterator_traitsISY_E10value_typeET2_T3_PNSZ_IS14_E10value_typeET4_jRbjT5_S1A_jjP12ihipStream_tbEUljE_EEESV_SW_SX_S14_S18_S1A_T6_T7_T9_mT8_S1C_bDpT10_ENKUlT_T0_E_clISt17integral_constantIbLb0EES1P_EEDaS1K_S1L_EUlS1K_E_NS1_11comp_targetILNS1_3genE9ELNS1_11target_archE1100ELNS1_3gpuE3ELNS1_3repE0EEENS1_30default_config_static_selectorELNS0_4arch9wavefront6targetE0EEEvSY_.uses_flat_scratch, 0
	.set _ZN7rocprim17ROCPRIM_400000_NS6detail17trampoline_kernelINS0_13select_configILj256ELj13ELNS0_17block_load_methodE3ELS4_3ELS4_3ELNS0_20block_scan_algorithmE0ELj4294967295EEENS1_25partition_config_selectorILNS1_17partition_subalgoE3EjNS0_10empty_typeEbEEZZNS1_14partition_implILS8_3ELb0ES6_jNS0_17counting_iteratorIjlEEPS9_SE_NS0_5tupleIJPjSE_EEENSF_IJSE_SE_EEES9_SG_JZNS1_25segmented_radix_sort_implINS0_14default_configELb0EPKsPsPKlPlN2at6native12_GLOBAL__N_18offset_tEEE10hipError_tPvRmT1_PNSt15iterator_traitsISY_E10value_typeET2_T3_PNSZ_IS14_E10value_typeET4_jRbjT5_S1A_jjP12ihipStream_tbEUljE_EEESV_SW_SX_S14_S18_S1A_T6_T7_T9_mT8_S1C_bDpT10_ENKUlT_T0_E_clISt17integral_constantIbLb0EES1P_EEDaS1K_S1L_EUlS1K_E_NS1_11comp_targetILNS1_3genE9ELNS1_11target_archE1100ELNS1_3gpuE3ELNS1_3repE0EEENS1_30default_config_static_selectorELNS0_4arch9wavefront6targetE0EEEvSY_.has_dyn_sized_stack, 0
	.set _ZN7rocprim17ROCPRIM_400000_NS6detail17trampoline_kernelINS0_13select_configILj256ELj13ELNS0_17block_load_methodE3ELS4_3ELS4_3ELNS0_20block_scan_algorithmE0ELj4294967295EEENS1_25partition_config_selectorILNS1_17partition_subalgoE3EjNS0_10empty_typeEbEEZZNS1_14partition_implILS8_3ELb0ES6_jNS0_17counting_iteratorIjlEEPS9_SE_NS0_5tupleIJPjSE_EEENSF_IJSE_SE_EEES9_SG_JZNS1_25segmented_radix_sort_implINS0_14default_configELb0EPKsPsPKlPlN2at6native12_GLOBAL__N_18offset_tEEE10hipError_tPvRmT1_PNSt15iterator_traitsISY_E10value_typeET2_T3_PNSZ_IS14_E10value_typeET4_jRbjT5_S1A_jjP12ihipStream_tbEUljE_EEESV_SW_SX_S14_S18_S1A_T6_T7_T9_mT8_S1C_bDpT10_ENKUlT_T0_E_clISt17integral_constantIbLb0EES1P_EEDaS1K_S1L_EUlS1K_E_NS1_11comp_targetILNS1_3genE9ELNS1_11target_archE1100ELNS1_3gpuE3ELNS1_3repE0EEENS1_30default_config_static_selectorELNS0_4arch9wavefront6targetE0EEEvSY_.has_recursion, 0
	.set _ZN7rocprim17ROCPRIM_400000_NS6detail17trampoline_kernelINS0_13select_configILj256ELj13ELNS0_17block_load_methodE3ELS4_3ELS4_3ELNS0_20block_scan_algorithmE0ELj4294967295EEENS1_25partition_config_selectorILNS1_17partition_subalgoE3EjNS0_10empty_typeEbEEZZNS1_14partition_implILS8_3ELb0ES6_jNS0_17counting_iteratorIjlEEPS9_SE_NS0_5tupleIJPjSE_EEENSF_IJSE_SE_EEES9_SG_JZNS1_25segmented_radix_sort_implINS0_14default_configELb0EPKsPsPKlPlN2at6native12_GLOBAL__N_18offset_tEEE10hipError_tPvRmT1_PNSt15iterator_traitsISY_E10value_typeET2_T3_PNSZ_IS14_E10value_typeET4_jRbjT5_S1A_jjP12ihipStream_tbEUljE_EEESV_SW_SX_S14_S18_S1A_T6_T7_T9_mT8_S1C_bDpT10_ENKUlT_T0_E_clISt17integral_constantIbLb0EES1P_EEDaS1K_S1L_EUlS1K_E_NS1_11comp_targetILNS1_3genE9ELNS1_11target_archE1100ELNS1_3gpuE3ELNS1_3repE0EEENS1_30default_config_static_selectorELNS0_4arch9wavefront6targetE0EEEvSY_.has_indirect_call, 0
	.section	.AMDGPU.csdata,"",@progbits
; Kernel info:
; codeLenInByte = 0
; TotalNumSgprs: 0
; NumVgprs: 0
; ScratchSize: 0
; MemoryBound: 0
; FloatMode: 240
; IeeeMode: 1
; LDSByteSize: 0 bytes/workgroup (compile time only)
; SGPRBlocks: 0
; VGPRBlocks: 0
; NumSGPRsForWavesPerEU: 1
; NumVGPRsForWavesPerEU: 1
; NamedBarCnt: 0
; Occupancy: 16
; WaveLimiterHint : 0
; COMPUTE_PGM_RSRC2:SCRATCH_EN: 0
; COMPUTE_PGM_RSRC2:USER_SGPR: 2
; COMPUTE_PGM_RSRC2:TRAP_HANDLER: 0
; COMPUTE_PGM_RSRC2:TGID_X_EN: 1
; COMPUTE_PGM_RSRC2:TGID_Y_EN: 0
; COMPUTE_PGM_RSRC2:TGID_Z_EN: 0
; COMPUTE_PGM_RSRC2:TIDIG_COMP_CNT: 0
	.section	.text._ZN7rocprim17ROCPRIM_400000_NS6detail17trampoline_kernelINS0_13select_configILj256ELj13ELNS0_17block_load_methodE3ELS4_3ELS4_3ELNS0_20block_scan_algorithmE0ELj4294967295EEENS1_25partition_config_selectorILNS1_17partition_subalgoE3EjNS0_10empty_typeEbEEZZNS1_14partition_implILS8_3ELb0ES6_jNS0_17counting_iteratorIjlEEPS9_SE_NS0_5tupleIJPjSE_EEENSF_IJSE_SE_EEES9_SG_JZNS1_25segmented_radix_sort_implINS0_14default_configELb0EPKsPsPKlPlN2at6native12_GLOBAL__N_18offset_tEEE10hipError_tPvRmT1_PNSt15iterator_traitsISY_E10value_typeET2_T3_PNSZ_IS14_E10value_typeET4_jRbjT5_S1A_jjP12ihipStream_tbEUljE_EEESV_SW_SX_S14_S18_S1A_T6_T7_T9_mT8_S1C_bDpT10_ENKUlT_T0_E_clISt17integral_constantIbLb0EES1P_EEDaS1K_S1L_EUlS1K_E_NS1_11comp_targetILNS1_3genE8ELNS1_11target_archE1030ELNS1_3gpuE2ELNS1_3repE0EEENS1_30default_config_static_selectorELNS0_4arch9wavefront6targetE0EEEvSY_,"axG",@progbits,_ZN7rocprim17ROCPRIM_400000_NS6detail17trampoline_kernelINS0_13select_configILj256ELj13ELNS0_17block_load_methodE3ELS4_3ELS4_3ELNS0_20block_scan_algorithmE0ELj4294967295EEENS1_25partition_config_selectorILNS1_17partition_subalgoE3EjNS0_10empty_typeEbEEZZNS1_14partition_implILS8_3ELb0ES6_jNS0_17counting_iteratorIjlEEPS9_SE_NS0_5tupleIJPjSE_EEENSF_IJSE_SE_EEES9_SG_JZNS1_25segmented_radix_sort_implINS0_14default_configELb0EPKsPsPKlPlN2at6native12_GLOBAL__N_18offset_tEEE10hipError_tPvRmT1_PNSt15iterator_traitsISY_E10value_typeET2_T3_PNSZ_IS14_E10value_typeET4_jRbjT5_S1A_jjP12ihipStream_tbEUljE_EEESV_SW_SX_S14_S18_S1A_T6_T7_T9_mT8_S1C_bDpT10_ENKUlT_T0_E_clISt17integral_constantIbLb0EES1P_EEDaS1K_S1L_EUlS1K_E_NS1_11comp_targetILNS1_3genE8ELNS1_11target_archE1030ELNS1_3gpuE2ELNS1_3repE0EEENS1_30default_config_static_selectorELNS0_4arch9wavefront6targetE0EEEvSY_,comdat
	.globl	_ZN7rocprim17ROCPRIM_400000_NS6detail17trampoline_kernelINS0_13select_configILj256ELj13ELNS0_17block_load_methodE3ELS4_3ELS4_3ELNS0_20block_scan_algorithmE0ELj4294967295EEENS1_25partition_config_selectorILNS1_17partition_subalgoE3EjNS0_10empty_typeEbEEZZNS1_14partition_implILS8_3ELb0ES6_jNS0_17counting_iteratorIjlEEPS9_SE_NS0_5tupleIJPjSE_EEENSF_IJSE_SE_EEES9_SG_JZNS1_25segmented_radix_sort_implINS0_14default_configELb0EPKsPsPKlPlN2at6native12_GLOBAL__N_18offset_tEEE10hipError_tPvRmT1_PNSt15iterator_traitsISY_E10value_typeET2_T3_PNSZ_IS14_E10value_typeET4_jRbjT5_S1A_jjP12ihipStream_tbEUljE_EEESV_SW_SX_S14_S18_S1A_T6_T7_T9_mT8_S1C_bDpT10_ENKUlT_T0_E_clISt17integral_constantIbLb0EES1P_EEDaS1K_S1L_EUlS1K_E_NS1_11comp_targetILNS1_3genE8ELNS1_11target_archE1030ELNS1_3gpuE2ELNS1_3repE0EEENS1_30default_config_static_selectorELNS0_4arch9wavefront6targetE0EEEvSY_ ; -- Begin function _ZN7rocprim17ROCPRIM_400000_NS6detail17trampoline_kernelINS0_13select_configILj256ELj13ELNS0_17block_load_methodE3ELS4_3ELS4_3ELNS0_20block_scan_algorithmE0ELj4294967295EEENS1_25partition_config_selectorILNS1_17partition_subalgoE3EjNS0_10empty_typeEbEEZZNS1_14partition_implILS8_3ELb0ES6_jNS0_17counting_iteratorIjlEEPS9_SE_NS0_5tupleIJPjSE_EEENSF_IJSE_SE_EEES9_SG_JZNS1_25segmented_radix_sort_implINS0_14default_configELb0EPKsPsPKlPlN2at6native12_GLOBAL__N_18offset_tEEE10hipError_tPvRmT1_PNSt15iterator_traitsISY_E10value_typeET2_T3_PNSZ_IS14_E10value_typeET4_jRbjT5_S1A_jjP12ihipStream_tbEUljE_EEESV_SW_SX_S14_S18_S1A_T6_T7_T9_mT8_S1C_bDpT10_ENKUlT_T0_E_clISt17integral_constantIbLb0EES1P_EEDaS1K_S1L_EUlS1K_E_NS1_11comp_targetILNS1_3genE8ELNS1_11target_archE1030ELNS1_3gpuE2ELNS1_3repE0EEENS1_30default_config_static_selectorELNS0_4arch9wavefront6targetE0EEEvSY_
	.p2align	8
	.type	_ZN7rocprim17ROCPRIM_400000_NS6detail17trampoline_kernelINS0_13select_configILj256ELj13ELNS0_17block_load_methodE3ELS4_3ELS4_3ELNS0_20block_scan_algorithmE0ELj4294967295EEENS1_25partition_config_selectorILNS1_17partition_subalgoE3EjNS0_10empty_typeEbEEZZNS1_14partition_implILS8_3ELb0ES6_jNS0_17counting_iteratorIjlEEPS9_SE_NS0_5tupleIJPjSE_EEENSF_IJSE_SE_EEES9_SG_JZNS1_25segmented_radix_sort_implINS0_14default_configELb0EPKsPsPKlPlN2at6native12_GLOBAL__N_18offset_tEEE10hipError_tPvRmT1_PNSt15iterator_traitsISY_E10value_typeET2_T3_PNSZ_IS14_E10value_typeET4_jRbjT5_S1A_jjP12ihipStream_tbEUljE_EEESV_SW_SX_S14_S18_S1A_T6_T7_T9_mT8_S1C_bDpT10_ENKUlT_T0_E_clISt17integral_constantIbLb0EES1P_EEDaS1K_S1L_EUlS1K_E_NS1_11comp_targetILNS1_3genE8ELNS1_11target_archE1030ELNS1_3gpuE2ELNS1_3repE0EEENS1_30default_config_static_selectorELNS0_4arch9wavefront6targetE0EEEvSY_,@function
_ZN7rocprim17ROCPRIM_400000_NS6detail17trampoline_kernelINS0_13select_configILj256ELj13ELNS0_17block_load_methodE3ELS4_3ELS4_3ELNS0_20block_scan_algorithmE0ELj4294967295EEENS1_25partition_config_selectorILNS1_17partition_subalgoE3EjNS0_10empty_typeEbEEZZNS1_14partition_implILS8_3ELb0ES6_jNS0_17counting_iteratorIjlEEPS9_SE_NS0_5tupleIJPjSE_EEENSF_IJSE_SE_EEES9_SG_JZNS1_25segmented_radix_sort_implINS0_14default_configELb0EPKsPsPKlPlN2at6native12_GLOBAL__N_18offset_tEEE10hipError_tPvRmT1_PNSt15iterator_traitsISY_E10value_typeET2_T3_PNSZ_IS14_E10value_typeET4_jRbjT5_S1A_jjP12ihipStream_tbEUljE_EEESV_SW_SX_S14_S18_S1A_T6_T7_T9_mT8_S1C_bDpT10_ENKUlT_T0_E_clISt17integral_constantIbLb0EES1P_EEDaS1K_S1L_EUlS1K_E_NS1_11comp_targetILNS1_3genE8ELNS1_11target_archE1030ELNS1_3gpuE2ELNS1_3repE0EEENS1_30default_config_static_selectorELNS0_4arch9wavefront6targetE0EEEvSY_: ; @_ZN7rocprim17ROCPRIM_400000_NS6detail17trampoline_kernelINS0_13select_configILj256ELj13ELNS0_17block_load_methodE3ELS4_3ELS4_3ELNS0_20block_scan_algorithmE0ELj4294967295EEENS1_25partition_config_selectorILNS1_17partition_subalgoE3EjNS0_10empty_typeEbEEZZNS1_14partition_implILS8_3ELb0ES6_jNS0_17counting_iteratorIjlEEPS9_SE_NS0_5tupleIJPjSE_EEENSF_IJSE_SE_EEES9_SG_JZNS1_25segmented_radix_sort_implINS0_14default_configELb0EPKsPsPKlPlN2at6native12_GLOBAL__N_18offset_tEEE10hipError_tPvRmT1_PNSt15iterator_traitsISY_E10value_typeET2_T3_PNSZ_IS14_E10value_typeET4_jRbjT5_S1A_jjP12ihipStream_tbEUljE_EEESV_SW_SX_S14_S18_S1A_T6_T7_T9_mT8_S1C_bDpT10_ENKUlT_T0_E_clISt17integral_constantIbLb0EES1P_EEDaS1K_S1L_EUlS1K_E_NS1_11comp_targetILNS1_3genE8ELNS1_11target_archE1030ELNS1_3gpuE2ELNS1_3repE0EEENS1_30default_config_static_selectorELNS0_4arch9wavefront6targetE0EEEvSY_
; %bb.0:
	.section	.rodata,"a",@progbits
	.p2align	6, 0x0
	.amdhsa_kernel _ZN7rocprim17ROCPRIM_400000_NS6detail17trampoline_kernelINS0_13select_configILj256ELj13ELNS0_17block_load_methodE3ELS4_3ELS4_3ELNS0_20block_scan_algorithmE0ELj4294967295EEENS1_25partition_config_selectorILNS1_17partition_subalgoE3EjNS0_10empty_typeEbEEZZNS1_14partition_implILS8_3ELb0ES6_jNS0_17counting_iteratorIjlEEPS9_SE_NS0_5tupleIJPjSE_EEENSF_IJSE_SE_EEES9_SG_JZNS1_25segmented_radix_sort_implINS0_14default_configELb0EPKsPsPKlPlN2at6native12_GLOBAL__N_18offset_tEEE10hipError_tPvRmT1_PNSt15iterator_traitsISY_E10value_typeET2_T3_PNSZ_IS14_E10value_typeET4_jRbjT5_S1A_jjP12ihipStream_tbEUljE_EEESV_SW_SX_S14_S18_S1A_T6_T7_T9_mT8_S1C_bDpT10_ENKUlT_T0_E_clISt17integral_constantIbLb0EES1P_EEDaS1K_S1L_EUlS1K_E_NS1_11comp_targetILNS1_3genE8ELNS1_11target_archE1030ELNS1_3gpuE2ELNS1_3repE0EEENS1_30default_config_static_selectorELNS0_4arch9wavefront6targetE0EEEvSY_
		.amdhsa_group_segment_fixed_size 0
		.amdhsa_private_segment_fixed_size 0
		.amdhsa_kernarg_size 144
		.amdhsa_user_sgpr_count 2
		.amdhsa_user_sgpr_dispatch_ptr 0
		.amdhsa_user_sgpr_queue_ptr 0
		.amdhsa_user_sgpr_kernarg_segment_ptr 1
		.amdhsa_user_sgpr_dispatch_id 0
		.amdhsa_user_sgpr_kernarg_preload_length 0
		.amdhsa_user_sgpr_kernarg_preload_offset 0
		.amdhsa_user_sgpr_private_segment_size 0
		.amdhsa_wavefront_size32 1
		.amdhsa_uses_dynamic_stack 0
		.amdhsa_enable_private_segment 0
		.amdhsa_system_sgpr_workgroup_id_x 1
		.amdhsa_system_sgpr_workgroup_id_y 0
		.amdhsa_system_sgpr_workgroup_id_z 0
		.amdhsa_system_sgpr_workgroup_info 0
		.amdhsa_system_vgpr_workitem_id 0
		.amdhsa_next_free_vgpr 1
		.amdhsa_next_free_sgpr 1
		.amdhsa_named_barrier_count 0
		.amdhsa_reserve_vcc 0
		.amdhsa_float_round_mode_32 0
		.amdhsa_float_round_mode_16_64 0
		.amdhsa_float_denorm_mode_32 3
		.amdhsa_float_denorm_mode_16_64 3
		.amdhsa_fp16_overflow 0
		.amdhsa_memory_ordered 1
		.amdhsa_forward_progress 1
		.amdhsa_inst_pref_size 0
		.amdhsa_round_robin_scheduling 0
		.amdhsa_exception_fp_ieee_invalid_op 0
		.amdhsa_exception_fp_denorm_src 0
		.amdhsa_exception_fp_ieee_div_zero 0
		.amdhsa_exception_fp_ieee_overflow 0
		.amdhsa_exception_fp_ieee_underflow 0
		.amdhsa_exception_fp_ieee_inexact 0
		.amdhsa_exception_int_div_zero 0
	.end_amdhsa_kernel
	.section	.text._ZN7rocprim17ROCPRIM_400000_NS6detail17trampoline_kernelINS0_13select_configILj256ELj13ELNS0_17block_load_methodE3ELS4_3ELS4_3ELNS0_20block_scan_algorithmE0ELj4294967295EEENS1_25partition_config_selectorILNS1_17partition_subalgoE3EjNS0_10empty_typeEbEEZZNS1_14partition_implILS8_3ELb0ES6_jNS0_17counting_iteratorIjlEEPS9_SE_NS0_5tupleIJPjSE_EEENSF_IJSE_SE_EEES9_SG_JZNS1_25segmented_radix_sort_implINS0_14default_configELb0EPKsPsPKlPlN2at6native12_GLOBAL__N_18offset_tEEE10hipError_tPvRmT1_PNSt15iterator_traitsISY_E10value_typeET2_T3_PNSZ_IS14_E10value_typeET4_jRbjT5_S1A_jjP12ihipStream_tbEUljE_EEESV_SW_SX_S14_S18_S1A_T6_T7_T9_mT8_S1C_bDpT10_ENKUlT_T0_E_clISt17integral_constantIbLb0EES1P_EEDaS1K_S1L_EUlS1K_E_NS1_11comp_targetILNS1_3genE8ELNS1_11target_archE1030ELNS1_3gpuE2ELNS1_3repE0EEENS1_30default_config_static_selectorELNS0_4arch9wavefront6targetE0EEEvSY_,"axG",@progbits,_ZN7rocprim17ROCPRIM_400000_NS6detail17trampoline_kernelINS0_13select_configILj256ELj13ELNS0_17block_load_methodE3ELS4_3ELS4_3ELNS0_20block_scan_algorithmE0ELj4294967295EEENS1_25partition_config_selectorILNS1_17partition_subalgoE3EjNS0_10empty_typeEbEEZZNS1_14partition_implILS8_3ELb0ES6_jNS0_17counting_iteratorIjlEEPS9_SE_NS0_5tupleIJPjSE_EEENSF_IJSE_SE_EEES9_SG_JZNS1_25segmented_radix_sort_implINS0_14default_configELb0EPKsPsPKlPlN2at6native12_GLOBAL__N_18offset_tEEE10hipError_tPvRmT1_PNSt15iterator_traitsISY_E10value_typeET2_T3_PNSZ_IS14_E10value_typeET4_jRbjT5_S1A_jjP12ihipStream_tbEUljE_EEESV_SW_SX_S14_S18_S1A_T6_T7_T9_mT8_S1C_bDpT10_ENKUlT_T0_E_clISt17integral_constantIbLb0EES1P_EEDaS1K_S1L_EUlS1K_E_NS1_11comp_targetILNS1_3genE8ELNS1_11target_archE1030ELNS1_3gpuE2ELNS1_3repE0EEENS1_30default_config_static_selectorELNS0_4arch9wavefront6targetE0EEEvSY_,comdat
.Lfunc_end984:
	.size	_ZN7rocprim17ROCPRIM_400000_NS6detail17trampoline_kernelINS0_13select_configILj256ELj13ELNS0_17block_load_methodE3ELS4_3ELS4_3ELNS0_20block_scan_algorithmE0ELj4294967295EEENS1_25partition_config_selectorILNS1_17partition_subalgoE3EjNS0_10empty_typeEbEEZZNS1_14partition_implILS8_3ELb0ES6_jNS0_17counting_iteratorIjlEEPS9_SE_NS0_5tupleIJPjSE_EEENSF_IJSE_SE_EEES9_SG_JZNS1_25segmented_radix_sort_implINS0_14default_configELb0EPKsPsPKlPlN2at6native12_GLOBAL__N_18offset_tEEE10hipError_tPvRmT1_PNSt15iterator_traitsISY_E10value_typeET2_T3_PNSZ_IS14_E10value_typeET4_jRbjT5_S1A_jjP12ihipStream_tbEUljE_EEESV_SW_SX_S14_S18_S1A_T6_T7_T9_mT8_S1C_bDpT10_ENKUlT_T0_E_clISt17integral_constantIbLb0EES1P_EEDaS1K_S1L_EUlS1K_E_NS1_11comp_targetILNS1_3genE8ELNS1_11target_archE1030ELNS1_3gpuE2ELNS1_3repE0EEENS1_30default_config_static_selectorELNS0_4arch9wavefront6targetE0EEEvSY_, .Lfunc_end984-_ZN7rocprim17ROCPRIM_400000_NS6detail17trampoline_kernelINS0_13select_configILj256ELj13ELNS0_17block_load_methodE3ELS4_3ELS4_3ELNS0_20block_scan_algorithmE0ELj4294967295EEENS1_25partition_config_selectorILNS1_17partition_subalgoE3EjNS0_10empty_typeEbEEZZNS1_14partition_implILS8_3ELb0ES6_jNS0_17counting_iteratorIjlEEPS9_SE_NS0_5tupleIJPjSE_EEENSF_IJSE_SE_EEES9_SG_JZNS1_25segmented_radix_sort_implINS0_14default_configELb0EPKsPsPKlPlN2at6native12_GLOBAL__N_18offset_tEEE10hipError_tPvRmT1_PNSt15iterator_traitsISY_E10value_typeET2_T3_PNSZ_IS14_E10value_typeET4_jRbjT5_S1A_jjP12ihipStream_tbEUljE_EEESV_SW_SX_S14_S18_S1A_T6_T7_T9_mT8_S1C_bDpT10_ENKUlT_T0_E_clISt17integral_constantIbLb0EES1P_EEDaS1K_S1L_EUlS1K_E_NS1_11comp_targetILNS1_3genE8ELNS1_11target_archE1030ELNS1_3gpuE2ELNS1_3repE0EEENS1_30default_config_static_selectorELNS0_4arch9wavefront6targetE0EEEvSY_
                                        ; -- End function
	.set _ZN7rocprim17ROCPRIM_400000_NS6detail17trampoline_kernelINS0_13select_configILj256ELj13ELNS0_17block_load_methodE3ELS4_3ELS4_3ELNS0_20block_scan_algorithmE0ELj4294967295EEENS1_25partition_config_selectorILNS1_17partition_subalgoE3EjNS0_10empty_typeEbEEZZNS1_14partition_implILS8_3ELb0ES6_jNS0_17counting_iteratorIjlEEPS9_SE_NS0_5tupleIJPjSE_EEENSF_IJSE_SE_EEES9_SG_JZNS1_25segmented_radix_sort_implINS0_14default_configELb0EPKsPsPKlPlN2at6native12_GLOBAL__N_18offset_tEEE10hipError_tPvRmT1_PNSt15iterator_traitsISY_E10value_typeET2_T3_PNSZ_IS14_E10value_typeET4_jRbjT5_S1A_jjP12ihipStream_tbEUljE_EEESV_SW_SX_S14_S18_S1A_T6_T7_T9_mT8_S1C_bDpT10_ENKUlT_T0_E_clISt17integral_constantIbLb0EES1P_EEDaS1K_S1L_EUlS1K_E_NS1_11comp_targetILNS1_3genE8ELNS1_11target_archE1030ELNS1_3gpuE2ELNS1_3repE0EEENS1_30default_config_static_selectorELNS0_4arch9wavefront6targetE0EEEvSY_.num_vgpr, 0
	.set _ZN7rocprim17ROCPRIM_400000_NS6detail17trampoline_kernelINS0_13select_configILj256ELj13ELNS0_17block_load_methodE3ELS4_3ELS4_3ELNS0_20block_scan_algorithmE0ELj4294967295EEENS1_25partition_config_selectorILNS1_17partition_subalgoE3EjNS0_10empty_typeEbEEZZNS1_14partition_implILS8_3ELb0ES6_jNS0_17counting_iteratorIjlEEPS9_SE_NS0_5tupleIJPjSE_EEENSF_IJSE_SE_EEES9_SG_JZNS1_25segmented_radix_sort_implINS0_14default_configELb0EPKsPsPKlPlN2at6native12_GLOBAL__N_18offset_tEEE10hipError_tPvRmT1_PNSt15iterator_traitsISY_E10value_typeET2_T3_PNSZ_IS14_E10value_typeET4_jRbjT5_S1A_jjP12ihipStream_tbEUljE_EEESV_SW_SX_S14_S18_S1A_T6_T7_T9_mT8_S1C_bDpT10_ENKUlT_T0_E_clISt17integral_constantIbLb0EES1P_EEDaS1K_S1L_EUlS1K_E_NS1_11comp_targetILNS1_3genE8ELNS1_11target_archE1030ELNS1_3gpuE2ELNS1_3repE0EEENS1_30default_config_static_selectorELNS0_4arch9wavefront6targetE0EEEvSY_.num_agpr, 0
	.set _ZN7rocprim17ROCPRIM_400000_NS6detail17trampoline_kernelINS0_13select_configILj256ELj13ELNS0_17block_load_methodE3ELS4_3ELS4_3ELNS0_20block_scan_algorithmE0ELj4294967295EEENS1_25partition_config_selectorILNS1_17partition_subalgoE3EjNS0_10empty_typeEbEEZZNS1_14partition_implILS8_3ELb0ES6_jNS0_17counting_iteratorIjlEEPS9_SE_NS0_5tupleIJPjSE_EEENSF_IJSE_SE_EEES9_SG_JZNS1_25segmented_radix_sort_implINS0_14default_configELb0EPKsPsPKlPlN2at6native12_GLOBAL__N_18offset_tEEE10hipError_tPvRmT1_PNSt15iterator_traitsISY_E10value_typeET2_T3_PNSZ_IS14_E10value_typeET4_jRbjT5_S1A_jjP12ihipStream_tbEUljE_EEESV_SW_SX_S14_S18_S1A_T6_T7_T9_mT8_S1C_bDpT10_ENKUlT_T0_E_clISt17integral_constantIbLb0EES1P_EEDaS1K_S1L_EUlS1K_E_NS1_11comp_targetILNS1_3genE8ELNS1_11target_archE1030ELNS1_3gpuE2ELNS1_3repE0EEENS1_30default_config_static_selectorELNS0_4arch9wavefront6targetE0EEEvSY_.numbered_sgpr, 0
	.set _ZN7rocprim17ROCPRIM_400000_NS6detail17trampoline_kernelINS0_13select_configILj256ELj13ELNS0_17block_load_methodE3ELS4_3ELS4_3ELNS0_20block_scan_algorithmE0ELj4294967295EEENS1_25partition_config_selectorILNS1_17partition_subalgoE3EjNS0_10empty_typeEbEEZZNS1_14partition_implILS8_3ELb0ES6_jNS0_17counting_iteratorIjlEEPS9_SE_NS0_5tupleIJPjSE_EEENSF_IJSE_SE_EEES9_SG_JZNS1_25segmented_radix_sort_implINS0_14default_configELb0EPKsPsPKlPlN2at6native12_GLOBAL__N_18offset_tEEE10hipError_tPvRmT1_PNSt15iterator_traitsISY_E10value_typeET2_T3_PNSZ_IS14_E10value_typeET4_jRbjT5_S1A_jjP12ihipStream_tbEUljE_EEESV_SW_SX_S14_S18_S1A_T6_T7_T9_mT8_S1C_bDpT10_ENKUlT_T0_E_clISt17integral_constantIbLb0EES1P_EEDaS1K_S1L_EUlS1K_E_NS1_11comp_targetILNS1_3genE8ELNS1_11target_archE1030ELNS1_3gpuE2ELNS1_3repE0EEENS1_30default_config_static_selectorELNS0_4arch9wavefront6targetE0EEEvSY_.num_named_barrier, 0
	.set _ZN7rocprim17ROCPRIM_400000_NS6detail17trampoline_kernelINS0_13select_configILj256ELj13ELNS0_17block_load_methodE3ELS4_3ELS4_3ELNS0_20block_scan_algorithmE0ELj4294967295EEENS1_25partition_config_selectorILNS1_17partition_subalgoE3EjNS0_10empty_typeEbEEZZNS1_14partition_implILS8_3ELb0ES6_jNS0_17counting_iteratorIjlEEPS9_SE_NS0_5tupleIJPjSE_EEENSF_IJSE_SE_EEES9_SG_JZNS1_25segmented_radix_sort_implINS0_14default_configELb0EPKsPsPKlPlN2at6native12_GLOBAL__N_18offset_tEEE10hipError_tPvRmT1_PNSt15iterator_traitsISY_E10value_typeET2_T3_PNSZ_IS14_E10value_typeET4_jRbjT5_S1A_jjP12ihipStream_tbEUljE_EEESV_SW_SX_S14_S18_S1A_T6_T7_T9_mT8_S1C_bDpT10_ENKUlT_T0_E_clISt17integral_constantIbLb0EES1P_EEDaS1K_S1L_EUlS1K_E_NS1_11comp_targetILNS1_3genE8ELNS1_11target_archE1030ELNS1_3gpuE2ELNS1_3repE0EEENS1_30default_config_static_selectorELNS0_4arch9wavefront6targetE0EEEvSY_.private_seg_size, 0
	.set _ZN7rocprim17ROCPRIM_400000_NS6detail17trampoline_kernelINS0_13select_configILj256ELj13ELNS0_17block_load_methodE3ELS4_3ELS4_3ELNS0_20block_scan_algorithmE0ELj4294967295EEENS1_25partition_config_selectorILNS1_17partition_subalgoE3EjNS0_10empty_typeEbEEZZNS1_14partition_implILS8_3ELb0ES6_jNS0_17counting_iteratorIjlEEPS9_SE_NS0_5tupleIJPjSE_EEENSF_IJSE_SE_EEES9_SG_JZNS1_25segmented_radix_sort_implINS0_14default_configELb0EPKsPsPKlPlN2at6native12_GLOBAL__N_18offset_tEEE10hipError_tPvRmT1_PNSt15iterator_traitsISY_E10value_typeET2_T3_PNSZ_IS14_E10value_typeET4_jRbjT5_S1A_jjP12ihipStream_tbEUljE_EEESV_SW_SX_S14_S18_S1A_T6_T7_T9_mT8_S1C_bDpT10_ENKUlT_T0_E_clISt17integral_constantIbLb0EES1P_EEDaS1K_S1L_EUlS1K_E_NS1_11comp_targetILNS1_3genE8ELNS1_11target_archE1030ELNS1_3gpuE2ELNS1_3repE0EEENS1_30default_config_static_selectorELNS0_4arch9wavefront6targetE0EEEvSY_.uses_vcc, 0
	.set _ZN7rocprim17ROCPRIM_400000_NS6detail17trampoline_kernelINS0_13select_configILj256ELj13ELNS0_17block_load_methodE3ELS4_3ELS4_3ELNS0_20block_scan_algorithmE0ELj4294967295EEENS1_25partition_config_selectorILNS1_17partition_subalgoE3EjNS0_10empty_typeEbEEZZNS1_14partition_implILS8_3ELb0ES6_jNS0_17counting_iteratorIjlEEPS9_SE_NS0_5tupleIJPjSE_EEENSF_IJSE_SE_EEES9_SG_JZNS1_25segmented_radix_sort_implINS0_14default_configELb0EPKsPsPKlPlN2at6native12_GLOBAL__N_18offset_tEEE10hipError_tPvRmT1_PNSt15iterator_traitsISY_E10value_typeET2_T3_PNSZ_IS14_E10value_typeET4_jRbjT5_S1A_jjP12ihipStream_tbEUljE_EEESV_SW_SX_S14_S18_S1A_T6_T7_T9_mT8_S1C_bDpT10_ENKUlT_T0_E_clISt17integral_constantIbLb0EES1P_EEDaS1K_S1L_EUlS1K_E_NS1_11comp_targetILNS1_3genE8ELNS1_11target_archE1030ELNS1_3gpuE2ELNS1_3repE0EEENS1_30default_config_static_selectorELNS0_4arch9wavefront6targetE0EEEvSY_.uses_flat_scratch, 0
	.set _ZN7rocprim17ROCPRIM_400000_NS6detail17trampoline_kernelINS0_13select_configILj256ELj13ELNS0_17block_load_methodE3ELS4_3ELS4_3ELNS0_20block_scan_algorithmE0ELj4294967295EEENS1_25partition_config_selectorILNS1_17partition_subalgoE3EjNS0_10empty_typeEbEEZZNS1_14partition_implILS8_3ELb0ES6_jNS0_17counting_iteratorIjlEEPS9_SE_NS0_5tupleIJPjSE_EEENSF_IJSE_SE_EEES9_SG_JZNS1_25segmented_radix_sort_implINS0_14default_configELb0EPKsPsPKlPlN2at6native12_GLOBAL__N_18offset_tEEE10hipError_tPvRmT1_PNSt15iterator_traitsISY_E10value_typeET2_T3_PNSZ_IS14_E10value_typeET4_jRbjT5_S1A_jjP12ihipStream_tbEUljE_EEESV_SW_SX_S14_S18_S1A_T6_T7_T9_mT8_S1C_bDpT10_ENKUlT_T0_E_clISt17integral_constantIbLb0EES1P_EEDaS1K_S1L_EUlS1K_E_NS1_11comp_targetILNS1_3genE8ELNS1_11target_archE1030ELNS1_3gpuE2ELNS1_3repE0EEENS1_30default_config_static_selectorELNS0_4arch9wavefront6targetE0EEEvSY_.has_dyn_sized_stack, 0
	.set _ZN7rocprim17ROCPRIM_400000_NS6detail17trampoline_kernelINS0_13select_configILj256ELj13ELNS0_17block_load_methodE3ELS4_3ELS4_3ELNS0_20block_scan_algorithmE0ELj4294967295EEENS1_25partition_config_selectorILNS1_17partition_subalgoE3EjNS0_10empty_typeEbEEZZNS1_14partition_implILS8_3ELb0ES6_jNS0_17counting_iteratorIjlEEPS9_SE_NS0_5tupleIJPjSE_EEENSF_IJSE_SE_EEES9_SG_JZNS1_25segmented_radix_sort_implINS0_14default_configELb0EPKsPsPKlPlN2at6native12_GLOBAL__N_18offset_tEEE10hipError_tPvRmT1_PNSt15iterator_traitsISY_E10value_typeET2_T3_PNSZ_IS14_E10value_typeET4_jRbjT5_S1A_jjP12ihipStream_tbEUljE_EEESV_SW_SX_S14_S18_S1A_T6_T7_T9_mT8_S1C_bDpT10_ENKUlT_T0_E_clISt17integral_constantIbLb0EES1P_EEDaS1K_S1L_EUlS1K_E_NS1_11comp_targetILNS1_3genE8ELNS1_11target_archE1030ELNS1_3gpuE2ELNS1_3repE0EEENS1_30default_config_static_selectorELNS0_4arch9wavefront6targetE0EEEvSY_.has_recursion, 0
	.set _ZN7rocprim17ROCPRIM_400000_NS6detail17trampoline_kernelINS0_13select_configILj256ELj13ELNS0_17block_load_methodE3ELS4_3ELS4_3ELNS0_20block_scan_algorithmE0ELj4294967295EEENS1_25partition_config_selectorILNS1_17partition_subalgoE3EjNS0_10empty_typeEbEEZZNS1_14partition_implILS8_3ELb0ES6_jNS0_17counting_iteratorIjlEEPS9_SE_NS0_5tupleIJPjSE_EEENSF_IJSE_SE_EEES9_SG_JZNS1_25segmented_radix_sort_implINS0_14default_configELb0EPKsPsPKlPlN2at6native12_GLOBAL__N_18offset_tEEE10hipError_tPvRmT1_PNSt15iterator_traitsISY_E10value_typeET2_T3_PNSZ_IS14_E10value_typeET4_jRbjT5_S1A_jjP12ihipStream_tbEUljE_EEESV_SW_SX_S14_S18_S1A_T6_T7_T9_mT8_S1C_bDpT10_ENKUlT_T0_E_clISt17integral_constantIbLb0EES1P_EEDaS1K_S1L_EUlS1K_E_NS1_11comp_targetILNS1_3genE8ELNS1_11target_archE1030ELNS1_3gpuE2ELNS1_3repE0EEENS1_30default_config_static_selectorELNS0_4arch9wavefront6targetE0EEEvSY_.has_indirect_call, 0
	.section	.AMDGPU.csdata,"",@progbits
; Kernel info:
; codeLenInByte = 0
; TotalNumSgprs: 0
; NumVgprs: 0
; ScratchSize: 0
; MemoryBound: 0
; FloatMode: 240
; IeeeMode: 1
; LDSByteSize: 0 bytes/workgroup (compile time only)
; SGPRBlocks: 0
; VGPRBlocks: 0
; NumSGPRsForWavesPerEU: 1
; NumVGPRsForWavesPerEU: 1
; NamedBarCnt: 0
; Occupancy: 16
; WaveLimiterHint : 0
; COMPUTE_PGM_RSRC2:SCRATCH_EN: 0
; COMPUTE_PGM_RSRC2:USER_SGPR: 2
; COMPUTE_PGM_RSRC2:TRAP_HANDLER: 0
; COMPUTE_PGM_RSRC2:TGID_X_EN: 1
; COMPUTE_PGM_RSRC2:TGID_Y_EN: 0
; COMPUTE_PGM_RSRC2:TGID_Z_EN: 0
; COMPUTE_PGM_RSRC2:TIDIG_COMP_CNT: 0
	.section	.text._ZN7rocprim17ROCPRIM_400000_NS6detail17trampoline_kernelINS0_13select_configILj256ELj13ELNS0_17block_load_methodE3ELS4_3ELS4_3ELNS0_20block_scan_algorithmE0ELj4294967295EEENS1_25partition_config_selectorILNS1_17partition_subalgoE3EjNS0_10empty_typeEbEEZZNS1_14partition_implILS8_3ELb0ES6_jNS0_17counting_iteratorIjlEEPS9_SE_NS0_5tupleIJPjSE_EEENSF_IJSE_SE_EEES9_SG_JZNS1_25segmented_radix_sort_implINS0_14default_configELb0EPKsPsPKlPlN2at6native12_GLOBAL__N_18offset_tEEE10hipError_tPvRmT1_PNSt15iterator_traitsISY_E10value_typeET2_T3_PNSZ_IS14_E10value_typeET4_jRbjT5_S1A_jjP12ihipStream_tbEUljE_EEESV_SW_SX_S14_S18_S1A_T6_T7_T9_mT8_S1C_bDpT10_ENKUlT_T0_E_clISt17integral_constantIbLb1EES1P_EEDaS1K_S1L_EUlS1K_E_NS1_11comp_targetILNS1_3genE0ELNS1_11target_archE4294967295ELNS1_3gpuE0ELNS1_3repE0EEENS1_30default_config_static_selectorELNS0_4arch9wavefront6targetE0EEEvSY_,"axG",@progbits,_ZN7rocprim17ROCPRIM_400000_NS6detail17trampoline_kernelINS0_13select_configILj256ELj13ELNS0_17block_load_methodE3ELS4_3ELS4_3ELNS0_20block_scan_algorithmE0ELj4294967295EEENS1_25partition_config_selectorILNS1_17partition_subalgoE3EjNS0_10empty_typeEbEEZZNS1_14partition_implILS8_3ELb0ES6_jNS0_17counting_iteratorIjlEEPS9_SE_NS0_5tupleIJPjSE_EEENSF_IJSE_SE_EEES9_SG_JZNS1_25segmented_radix_sort_implINS0_14default_configELb0EPKsPsPKlPlN2at6native12_GLOBAL__N_18offset_tEEE10hipError_tPvRmT1_PNSt15iterator_traitsISY_E10value_typeET2_T3_PNSZ_IS14_E10value_typeET4_jRbjT5_S1A_jjP12ihipStream_tbEUljE_EEESV_SW_SX_S14_S18_S1A_T6_T7_T9_mT8_S1C_bDpT10_ENKUlT_T0_E_clISt17integral_constantIbLb1EES1P_EEDaS1K_S1L_EUlS1K_E_NS1_11comp_targetILNS1_3genE0ELNS1_11target_archE4294967295ELNS1_3gpuE0ELNS1_3repE0EEENS1_30default_config_static_selectorELNS0_4arch9wavefront6targetE0EEEvSY_,comdat
	.globl	_ZN7rocprim17ROCPRIM_400000_NS6detail17trampoline_kernelINS0_13select_configILj256ELj13ELNS0_17block_load_methodE3ELS4_3ELS4_3ELNS0_20block_scan_algorithmE0ELj4294967295EEENS1_25partition_config_selectorILNS1_17partition_subalgoE3EjNS0_10empty_typeEbEEZZNS1_14partition_implILS8_3ELb0ES6_jNS0_17counting_iteratorIjlEEPS9_SE_NS0_5tupleIJPjSE_EEENSF_IJSE_SE_EEES9_SG_JZNS1_25segmented_radix_sort_implINS0_14default_configELb0EPKsPsPKlPlN2at6native12_GLOBAL__N_18offset_tEEE10hipError_tPvRmT1_PNSt15iterator_traitsISY_E10value_typeET2_T3_PNSZ_IS14_E10value_typeET4_jRbjT5_S1A_jjP12ihipStream_tbEUljE_EEESV_SW_SX_S14_S18_S1A_T6_T7_T9_mT8_S1C_bDpT10_ENKUlT_T0_E_clISt17integral_constantIbLb1EES1P_EEDaS1K_S1L_EUlS1K_E_NS1_11comp_targetILNS1_3genE0ELNS1_11target_archE4294967295ELNS1_3gpuE0ELNS1_3repE0EEENS1_30default_config_static_selectorELNS0_4arch9wavefront6targetE0EEEvSY_ ; -- Begin function _ZN7rocprim17ROCPRIM_400000_NS6detail17trampoline_kernelINS0_13select_configILj256ELj13ELNS0_17block_load_methodE3ELS4_3ELS4_3ELNS0_20block_scan_algorithmE0ELj4294967295EEENS1_25partition_config_selectorILNS1_17partition_subalgoE3EjNS0_10empty_typeEbEEZZNS1_14partition_implILS8_3ELb0ES6_jNS0_17counting_iteratorIjlEEPS9_SE_NS0_5tupleIJPjSE_EEENSF_IJSE_SE_EEES9_SG_JZNS1_25segmented_radix_sort_implINS0_14default_configELb0EPKsPsPKlPlN2at6native12_GLOBAL__N_18offset_tEEE10hipError_tPvRmT1_PNSt15iterator_traitsISY_E10value_typeET2_T3_PNSZ_IS14_E10value_typeET4_jRbjT5_S1A_jjP12ihipStream_tbEUljE_EEESV_SW_SX_S14_S18_S1A_T6_T7_T9_mT8_S1C_bDpT10_ENKUlT_T0_E_clISt17integral_constantIbLb1EES1P_EEDaS1K_S1L_EUlS1K_E_NS1_11comp_targetILNS1_3genE0ELNS1_11target_archE4294967295ELNS1_3gpuE0ELNS1_3repE0EEENS1_30default_config_static_selectorELNS0_4arch9wavefront6targetE0EEEvSY_
	.p2align	8
	.type	_ZN7rocprim17ROCPRIM_400000_NS6detail17trampoline_kernelINS0_13select_configILj256ELj13ELNS0_17block_load_methodE3ELS4_3ELS4_3ELNS0_20block_scan_algorithmE0ELj4294967295EEENS1_25partition_config_selectorILNS1_17partition_subalgoE3EjNS0_10empty_typeEbEEZZNS1_14partition_implILS8_3ELb0ES6_jNS0_17counting_iteratorIjlEEPS9_SE_NS0_5tupleIJPjSE_EEENSF_IJSE_SE_EEES9_SG_JZNS1_25segmented_radix_sort_implINS0_14default_configELb0EPKsPsPKlPlN2at6native12_GLOBAL__N_18offset_tEEE10hipError_tPvRmT1_PNSt15iterator_traitsISY_E10value_typeET2_T3_PNSZ_IS14_E10value_typeET4_jRbjT5_S1A_jjP12ihipStream_tbEUljE_EEESV_SW_SX_S14_S18_S1A_T6_T7_T9_mT8_S1C_bDpT10_ENKUlT_T0_E_clISt17integral_constantIbLb1EES1P_EEDaS1K_S1L_EUlS1K_E_NS1_11comp_targetILNS1_3genE0ELNS1_11target_archE4294967295ELNS1_3gpuE0ELNS1_3repE0EEENS1_30default_config_static_selectorELNS0_4arch9wavefront6targetE0EEEvSY_,@function
_ZN7rocprim17ROCPRIM_400000_NS6detail17trampoline_kernelINS0_13select_configILj256ELj13ELNS0_17block_load_methodE3ELS4_3ELS4_3ELNS0_20block_scan_algorithmE0ELj4294967295EEENS1_25partition_config_selectorILNS1_17partition_subalgoE3EjNS0_10empty_typeEbEEZZNS1_14partition_implILS8_3ELb0ES6_jNS0_17counting_iteratorIjlEEPS9_SE_NS0_5tupleIJPjSE_EEENSF_IJSE_SE_EEES9_SG_JZNS1_25segmented_radix_sort_implINS0_14default_configELb0EPKsPsPKlPlN2at6native12_GLOBAL__N_18offset_tEEE10hipError_tPvRmT1_PNSt15iterator_traitsISY_E10value_typeET2_T3_PNSZ_IS14_E10value_typeET4_jRbjT5_S1A_jjP12ihipStream_tbEUljE_EEESV_SW_SX_S14_S18_S1A_T6_T7_T9_mT8_S1C_bDpT10_ENKUlT_T0_E_clISt17integral_constantIbLb1EES1P_EEDaS1K_S1L_EUlS1K_E_NS1_11comp_targetILNS1_3genE0ELNS1_11target_archE4294967295ELNS1_3gpuE0ELNS1_3repE0EEENS1_30default_config_static_selectorELNS0_4arch9wavefront6targetE0EEEvSY_: ; @_ZN7rocprim17ROCPRIM_400000_NS6detail17trampoline_kernelINS0_13select_configILj256ELj13ELNS0_17block_load_methodE3ELS4_3ELS4_3ELNS0_20block_scan_algorithmE0ELj4294967295EEENS1_25partition_config_selectorILNS1_17partition_subalgoE3EjNS0_10empty_typeEbEEZZNS1_14partition_implILS8_3ELb0ES6_jNS0_17counting_iteratorIjlEEPS9_SE_NS0_5tupleIJPjSE_EEENSF_IJSE_SE_EEES9_SG_JZNS1_25segmented_radix_sort_implINS0_14default_configELb0EPKsPsPKlPlN2at6native12_GLOBAL__N_18offset_tEEE10hipError_tPvRmT1_PNSt15iterator_traitsISY_E10value_typeET2_T3_PNSZ_IS14_E10value_typeET4_jRbjT5_S1A_jjP12ihipStream_tbEUljE_EEESV_SW_SX_S14_S18_S1A_T6_T7_T9_mT8_S1C_bDpT10_ENKUlT_T0_E_clISt17integral_constantIbLb1EES1P_EEDaS1K_S1L_EUlS1K_E_NS1_11comp_targetILNS1_3genE0ELNS1_11target_archE4294967295ELNS1_3gpuE0ELNS1_3repE0EEENS1_30default_config_static_selectorELNS0_4arch9wavefront6targetE0EEEvSY_
; %bb.0:
	s_endpgm
	.section	.rodata,"a",@progbits
	.p2align	6, 0x0
	.amdhsa_kernel _ZN7rocprim17ROCPRIM_400000_NS6detail17trampoline_kernelINS0_13select_configILj256ELj13ELNS0_17block_load_methodE3ELS4_3ELS4_3ELNS0_20block_scan_algorithmE0ELj4294967295EEENS1_25partition_config_selectorILNS1_17partition_subalgoE3EjNS0_10empty_typeEbEEZZNS1_14partition_implILS8_3ELb0ES6_jNS0_17counting_iteratorIjlEEPS9_SE_NS0_5tupleIJPjSE_EEENSF_IJSE_SE_EEES9_SG_JZNS1_25segmented_radix_sort_implINS0_14default_configELb0EPKsPsPKlPlN2at6native12_GLOBAL__N_18offset_tEEE10hipError_tPvRmT1_PNSt15iterator_traitsISY_E10value_typeET2_T3_PNSZ_IS14_E10value_typeET4_jRbjT5_S1A_jjP12ihipStream_tbEUljE_EEESV_SW_SX_S14_S18_S1A_T6_T7_T9_mT8_S1C_bDpT10_ENKUlT_T0_E_clISt17integral_constantIbLb1EES1P_EEDaS1K_S1L_EUlS1K_E_NS1_11comp_targetILNS1_3genE0ELNS1_11target_archE4294967295ELNS1_3gpuE0ELNS1_3repE0EEENS1_30default_config_static_selectorELNS0_4arch9wavefront6targetE0EEEvSY_
		.amdhsa_group_segment_fixed_size 0
		.amdhsa_private_segment_fixed_size 0
		.amdhsa_kernarg_size 152
		.amdhsa_user_sgpr_count 2
		.amdhsa_user_sgpr_dispatch_ptr 0
		.amdhsa_user_sgpr_queue_ptr 0
		.amdhsa_user_sgpr_kernarg_segment_ptr 1
		.amdhsa_user_sgpr_dispatch_id 0
		.amdhsa_user_sgpr_kernarg_preload_length 0
		.amdhsa_user_sgpr_kernarg_preload_offset 0
		.amdhsa_user_sgpr_private_segment_size 0
		.amdhsa_wavefront_size32 1
		.amdhsa_uses_dynamic_stack 0
		.amdhsa_enable_private_segment 0
		.amdhsa_system_sgpr_workgroup_id_x 1
		.amdhsa_system_sgpr_workgroup_id_y 0
		.amdhsa_system_sgpr_workgroup_id_z 0
		.amdhsa_system_sgpr_workgroup_info 0
		.amdhsa_system_vgpr_workitem_id 0
		.amdhsa_next_free_vgpr 1
		.amdhsa_next_free_sgpr 1
		.amdhsa_named_barrier_count 0
		.amdhsa_reserve_vcc 0
		.amdhsa_float_round_mode_32 0
		.amdhsa_float_round_mode_16_64 0
		.amdhsa_float_denorm_mode_32 3
		.amdhsa_float_denorm_mode_16_64 3
		.amdhsa_fp16_overflow 0
		.amdhsa_memory_ordered 1
		.amdhsa_forward_progress 1
		.amdhsa_inst_pref_size 1
		.amdhsa_round_robin_scheduling 0
		.amdhsa_exception_fp_ieee_invalid_op 0
		.amdhsa_exception_fp_denorm_src 0
		.amdhsa_exception_fp_ieee_div_zero 0
		.amdhsa_exception_fp_ieee_overflow 0
		.amdhsa_exception_fp_ieee_underflow 0
		.amdhsa_exception_fp_ieee_inexact 0
		.amdhsa_exception_int_div_zero 0
	.end_amdhsa_kernel
	.section	.text._ZN7rocprim17ROCPRIM_400000_NS6detail17trampoline_kernelINS0_13select_configILj256ELj13ELNS0_17block_load_methodE3ELS4_3ELS4_3ELNS0_20block_scan_algorithmE0ELj4294967295EEENS1_25partition_config_selectorILNS1_17partition_subalgoE3EjNS0_10empty_typeEbEEZZNS1_14partition_implILS8_3ELb0ES6_jNS0_17counting_iteratorIjlEEPS9_SE_NS0_5tupleIJPjSE_EEENSF_IJSE_SE_EEES9_SG_JZNS1_25segmented_radix_sort_implINS0_14default_configELb0EPKsPsPKlPlN2at6native12_GLOBAL__N_18offset_tEEE10hipError_tPvRmT1_PNSt15iterator_traitsISY_E10value_typeET2_T3_PNSZ_IS14_E10value_typeET4_jRbjT5_S1A_jjP12ihipStream_tbEUljE_EEESV_SW_SX_S14_S18_S1A_T6_T7_T9_mT8_S1C_bDpT10_ENKUlT_T0_E_clISt17integral_constantIbLb1EES1P_EEDaS1K_S1L_EUlS1K_E_NS1_11comp_targetILNS1_3genE0ELNS1_11target_archE4294967295ELNS1_3gpuE0ELNS1_3repE0EEENS1_30default_config_static_selectorELNS0_4arch9wavefront6targetE0EEEvSY_,"axG",@progbits,_ZN7rocprim17ROCPRIM_400000_NS6detail17trampoline_kernelINS0_13select_configILj256ELj13ELNS0_17block_load_methodE3ELS4_3ELS4_3ELNS0_20block_scan_algorithmE0ELj4294967295EEENS1_25partition_config_selectorILNS1_17partition_subalgoE3EjNS0_10empty_typeEbEEZZNS1_14partition_implILS8_3ELb0ES6_jNS0_17counting_iteratorIjlEEPS9_SE_NS0_5tupleIJPjSE_EEENSF_IJSE_SE_EEES9_SG_JZNS1_25segmented_radix_sort_implINS0_14default_configELb0EPKsPsPKlPlN2at6native12_GLOBAL__N_18offset_tEEE10hipError_tPvRmT1_PNSt15iterator_traitsISY_E10value_typeET2_T3_PNSZ_IS14_E10value_typeET4_jRbjT5_S1A_jjP12ihipStream_tbEUljE_EEESV_SW_SX_S14_S18_S1A_T6_T7_T9_mT8_S1C_bDpT10_ENKUlT_T0_E_clISt17integral_constantIbLb1EES1P_EEDaS1K_S1L_EUlS1K_E_NS1_11comp_targetILNS1_3genE0ELNS1_11target_archE4294967295ELNS1_3gpuE0ELNS1_3repE0EEENS1_30default_config_static_selectorELNS0_4arch9wavefront6targetE0EEEvSY_,comdat
.Lfunc_end985:
	.size	_ZN7rocprim17ROCPRIM_400000_NS6detail17trampoline_kernelINS0_13select_configILj256ELj13ELNS0_17block_load_methodE3ELS4_3ELS4_3ELNS0_20block_scan_algorithmE0ELj4294967295EEENS1_25partition_config_selectorILNS1_17partition_subalgoE3EjNS0_10empty_typeEbEEZZNS1_14partition_implILS8_3ELb0ES6_jNS0_17counting_iteratorIjlEEPS9_SE_NS0_5tupleIJPjSE_EEENSF_IJSE_SE_EEES9_SG_JZNS1_25segmented_radix_sort_implINS0_14default_configELb0EPKsPsPKlPlN2at6native12_GLOBAL__N_18offset_tEEE10hipError_tPvRmT1_PNSt15iterator_traitsISY_E10value_typeET2_T3_PNSZ_IS14_E10value_typeET4_jRbjT5_S1A_jjP12ihipStream_tbEUljE_EEESV_SW_SX_S14_S18_S1A_T6_T7_T9_mT8_S1C_bDpT10_ENKUlT_T0_E_clISt17integral_constantIbLb1EES1P_EEDaS1K_S1L_EUlS1K_E_NS1_11comp_targetILNS1_3genE0ELNS1_11target_archE4294967295ELNS1_3gpuE0ELNS1_3repE0EEENS1_30default_config_static_selectorELNS0_4arch9wavefront6targetE0EEEvSY_, .Lfunc_end985-_ZN7rocprim17ROCPRIM_400000_NS6detail17trampoline_kernelINS0_13select_configILj256ELj13ELNS0_17block_load_methodE3ELS4_3ELS4_3ELNS0_20block_scan_algorithmE0ELj4294967295EEENS1_25partition_config_selectorILNS1_17partition_subalgoE3EjNS0_10empty_typeEbEEZZNS1_14partition_implILS8_3ELb0ES6_jNS0_17counting_iteratorIjlEEPS9_SE_NS0_5tupleIJPjSE_EEENSF_IJSE_SE_EEES9_SG_JZNS1_25segmented_radix_sort_implINS0_14default_configELb0EPKsPsPKlPlN2at6native12_GLOBAL__N_18offset_tEEE10hipError_tPvRmT1_PNSt15iterator_traitsISY_E10value_typeET2_T3_PNSZ_IS14_E10value_typeET4_jRbjT5_S1A_jjP12ihipStream_tbEUljE_EEESV_SW_SX_S14_S18_S1A_T6_T7_T9_mT8_S1C_bDpT10_ENKUlT_T0_E_clISt17integral_constantIbLb1EES1P_EEDaS1K_S1L_EUlS1K_E_NS1_11comp_targetILNS1_3genE0ELNS1_11target_archE4294967295ELNS1_3gpuE0ELNS1_3repE0EEENS1_30default_config_static_selectorELNS0_4arch9wavefront6targetE0EEEvSY_
                                        ; -- End function
	.set _ZN7rocprim17ROCPRIM_400000_NS6detail17trampoline_kernelINS0_13select_configILj256ELj13ELNS0_17block_load_methodE3ELS4_3ELS4_3ELNS0_20block_scan_algorithmE0ELj4294967295EEENS1_25partition_config_selectorILNS1_17partition_subalgoE3EjNS0_10empty_typeEbEEZZNS1_14partition_implILS8_3ELb0ES6_jNS0_17counting_iteratorIjlEEPS9_SE_NS0_5tupleIJPjSE_EEENSF_IJSE_SE_EEES9_SG_JZNS1_25segmented_radix_sort_implINS0_14default_configELb0EPKsPsPKlPlN2at6native12_GLOBAL__N_18offset_tEEE10hipError_tPvRmT1_PNSt15iterator_traitsISY_E10value_typeET2_T3_PNSZ_IS14_E10value_typeET4_jRbjT5_S1A_jjP12ihipStream_tbEUljE_EEESV_SW_SX_S14_S18_S1A_T6_T7_T9_mT8_S1C_bDpT10_ENKUlT_T0_E_clISt17integral_constantIbLb1EES1P_EEDaS1K_S1L_EUlS1K_E_NS1_11comp_targetILNS1_3genE0ELNS1_11target_archE4294967295ELNS1_3gpuE0ELNS1_3repE0EEENS1_30default_config_static_selectorELNS0_4arch9wavefront6targetE0EEEvSY_.num_vgpr, 0
	.set _ZN7rocprim17ROCPRIM_400000_NS6detail17trampoline_kernelINS0_13select_configILj256ELj13ELNS0_17block_load_methodE3ELS4_3ELS4_3ELNS0_20block_scan_algorithmE0ELj4294967295EEENS1_25partition_config_selectorILNS1_17partition_subalgoE3EjNS0_10empty_typeEbEEZZNS1_14partition_implILS8_3ELb0ES6_jNS0_17counting_iteratorIjlEEPS9_SE_NS0_5tupleIJPjSE_EEENSF_IJSE_SE_EEES9_SG_JZNS1_25segmented_radix_sort_implINS0_14default_configELb0EPKsPsPKlPlN2at6native12_GLOBAL__N_18offset_tEEE10hipError_tPvRmT1_PNSt15iterator_traitsISY_E10value_typeET2_T3_PNSZ_IS14_E10value_typeET4_jRbjT5_S1A_jjP12ihipStream_tbEUljE_EEESV_SW_SX_S14_S18_S1A_T6_T7_T9_mT8_S1C_bDpT10_ENKUlT_T0_E_clISt17integral_constantIbLb1EES1P_EEDaS1K_S1L_EUlS1K_E_NS1_11comp_targetILNS1_3genE0ELNS1_11target_archE4294967295ELNS1_3gpuE0ELNS1_3repE0EEENS1_30default_config_static_selectorELNS0_4arch9wavefront6targetE0EEEvSY_.num_agpr, 0
	.set _ZN7rocprim17ROCPRIM_400000_NS6detail17trampoline_kernelINS0_13select_configILj256ELj13ELNS0_17block_load_methodE3ELS4_3ELS4_3ELNS0_20block_scan_algorithmE0ELj4294967295EEENS1_25partition_config_selectorILNS1_17partition_subalgoE3EjNS0_10empty_typeEbEEZZNS1_14partition_implILS8_3ELb0ES6_jNS0_17counting_iteratorIjlEEPS9_SE_NS0_5tupleIJPjSE_EEENSF_IJSE_SE_EEES9_SG_JZNS1_25segmented_radix_sort_implINS0_14default_configELb0EPKsPsPKlPlN2at6native12_GLOBAL__N_18offset_tEEE10hipError_tPvRmT1_PNSt15iterator_traitsISY_E10value_typeET2_T3_PNSZ_IS14_E10value_typeET4_jRbjT5_S1A_jjP12ihipStream_tbEUljE_EEESV_SW_SX_S14_S18_S1A_T6_T7_T9_mT8_S1C_bDpT10_ENKUlT_T0_E_clISt17integral_constantIbLb1EES1P_EEDaS1K_S1L_EUlS1K_E_NS1_11comp_targetILNS1_3genE0ELNS1_11target_archE4294967295ELNS1_3gpuE0ELNS1_3repE0EEENS1_30default_config_static_selectorELNS0_4arch9wavefront6targetE0EEEvSY_.numbered_sgpr, 0
	.set _ZN7rocprim17ROCPRIM_400000_NS6detail17trampoline_kernelINS0_13select_configILj256ELj13ELNS0_17block_load_methodE3ELS4_3ELS4_3ELNS0_20block_scan_algorithmE0ELj4294967295EEENS1_25partition_config_selectorILNS1_17partition_subalgoE3EjNS0_10empty_typeEbEEZZNS1_14partition_implILS8_3ELb0ES6_jNS0_17counting_iteratorIjlEEPS9_SE_NS0_5tupleIJPjSE_EEENSF_IJSE_SE_EEES9_SG_JZNS1_25segmented_radix_sort_implINS0_14default_configELb0EPKsPsPKlPlN2at6native12_GLOBAL__N_18offset_tEEE10hipError_tPvRmT1_PNSt15iterator_traitsISY_E10value_typeET2_T3_PNSZ_IS14_E10value_typeET4_jRbjT5_S1A_jjP12ihipStream_tbEUljE_EEESV_SW_SX_S14_S18_S1A_T6_T7_T9_mT8_S1C_bDpT10_ENKUlT_T0_E_clISt17integral_constantIbLb1EES1P_EEDaS1K_S1L_EUlS1K_E_NS1_11comp_targetILNS1_3genE0ELNS1_11target_archE4294967295ELNS1_3gpuE0ELNS1_3repE0EEENS1_30default_config_static_selectorELNS0_4arch9wavefront6targetE0EEEvSY_.num_named_barrier, 0
	.set _ZN7rocprim17ROCPRIM_400000_NS6detail17trampoline_kernelINS0_13select_configILj256ELj13ELNS0_17block_load_methodE3ELS4_3ELS4_3ELNS0_20block_scan_algorithmE0ELj4294967295EEENS1_25partition_config_selectorILNS1_17partition_subalgoE3EjNS0_10empty_typeEbEEZZNS1_14partition_implILS8_3ELb0ES6_jNS0_17counting_iteratorIjlEEPS9_SE_NS0_5tupleIJPjSE_EEENSF_IJSE_SE_EEES9_SG_JZNS1_25segmented_radix_sort_implINS0_14default_configELb0EPKsPsPKlPlN2at6native12_GLOBAL__N_18offset_tEEE10hipError_tPvRmT1_PNSt15iterator_traitsISY_E10value_typeET2_T3_PNSZ_IS14_E10value_typeET4_jRbjT5_S1A_jjP12ihipStream_tbEUljE_EEESV_SW_SX_S14_S18_S1A_T6_T7_T9_mT8_S1C_bDpT10_ENKUlT_T0_E_clISt17integral_constantIbLb1EES1P_EEDaS1K_S1L_EUlS1K_E_NS1_11comp_targetILNS1_3genE0ELNS1_11target_archE4294967295ELNS1_3gpuE0ELNS1_3repE0EEENS1_30default_config_static_selectorELNS0_4arch9wavefront6targetE0EEEvSY_.private_seg_size, 0
	.set _ZN7rocprim17ROCPRIM_400000_NS6detail17trampoline_kernelINS0_13select_configILj256ELj13ELNS0_17block_load_methodE3ELS4_3ELS4_3ELNS0_20block_scan_algorithmE0ELj4294967295EEENS1_25partition_config_selectorILNS1_17partition_subalgoE3EjNS0_10empty_typeEbEEZZNS1_14partition_implILS8_3ELb0ES6_jNS0_17counting_iteratorIjlEEPS9_SE_NS0_5tupleIJPjSE_EEENSF_IJSE_SE_EEES9_SG_JZNS1_25segmented_radix_sort_implINS0_14default_configELb0EPKsPsPKlPlN2at6native12_GLOBAL__N_18offset_tEEE10hipError_tPvRmT1_PNSt15iterator_traitsISY_E10value_typeET2_T3_PNSZ_IS14_E10value_typeET4_jRbjT5_S1A_jjP12ihipStream_tbEUljE_EEESV_SW_SX_S14_S18_S1A_T6_T7_T9_mT8_S1C_bDpT10_ENKUlT_T0_E_clISt17integral_constantIbLb1EES1P_EEDaS1K_S1L_EUlS1K_E_NS1_11comp_targetILNS1_3genE0ELNS1_11target_archE4294967295ELNS1_3gpuE0ELNS1_3repE0EEENS1_30default_config_static_selectorELNS0_4arch9wavefront6targetE0EEEvSY_.uses_vcc, 0
	.set _ZN7rocprim17ROCPRIM_400000_NS6detail17trampoline_kernelINS0_13select_configILj256ELj13ELNS0_17block_load_methodE3ELS4_3ELS4_3ELNS0_20block_scan_algorithmE0ELj4294967295EEENS1_25partition_config_selectorILNS1_17partition_subalgoE3EjNS0_10empty_typeEbEEZZNS1_14partition_implILS8_3ELb0ES6_jNS0_17counting_iteratorIjlEEPS9_SE_NS0_5tupleIJPjSE_EEENSF_IJSE_SE_EEES9_SG_JZNS1_25segmented_radix_sort_implINS0_14default_configELb0EPKsPsPKlPlN2at6native12_GLOBAL__N_18offset_tEEE10hipError_tPvRmT1_PNSt15iterator_traitsISY_E10value_typeET2_T3_PNSZ_IS14_E10value_typeET4_jRbjT5_S1A_jjP12ihipStream_tbEUljE_EEESV_SW_SX_S14_S18_S1A_T6_T7_T9_mT8_S1C_bDpT10_ENKUlT_T0_E_clISt17integral_constantIbLb1EES1P_EEDaS1K_S1L_EUlS1K_E_NS1_11comp_targetILNS1_3genE0ELNS1_11target_archE4294967295ELNS1_3gpuE0ELNS1_3repE0EEENS1_30default_config_static_selectorELNS0_4arch9wavefront6targetE0EEEvSY_.uses_flat_scratch, 0
	.set _ZN7rocprim17ROCPRIM_400000_NS6detail17trampoline_kernelINS0_13select_configILj256ELj13ELNS0_17block_load_methodE3ELS4_3ELS4_3ELNS0_20block_scan_algorithmE0ELj4294967295EEENS1_25partition_config_selectorILNS1_17partition_subalgoE3EjNS0_10empty_typeEbEEZZNS1_14partition_implILS8_3ELb0ES6_jNS0_17counting_iteratorIjlEEPS9_SE_NS0_5tupleIJPjSE_EEENSF_IJSE_SE_EEES9_SG_JZNS1_25segmented_radix_sort_implINS0_14default_configELb0EPKsPsPKlPlN2at6native12_GLOBAL__N_18offset_tEEE10hipError_tPvRmT1_PNSt15iterator_traitsISY_E10value_typeET2_T3_PNSZ_IS14_E10value_typeET4_jRbjT5_S1A_jjP12ihipStream_tbEUljE_EEESV_SW_SX_S14_S18_S1A_T6_T7_T9_mT8_S1C_bDpT10_ENKUlT_T0_E_clISt17integral_constantIbLb1EES1P_EEDaS1K_S1L_EUlS1K_E_NS1_11comp_targetILNS1_3genE0ELNS1_11target_archE4294967295ELNS1_3gpuE0ELNS1_3repE0EEENS1_30default_config_static_selectorELNS0_4arch9wavefront6targetE0EEEvSY_.has_dyn_sized_stack, 0
	.set _ZN7rocprim17ROCPRIM_400000_NS6detail17trampoline_kernelINS0_13select_configILj256ELj13ELNS0_17block_load_methodE3ELS4_3ELS4_3ELNS0_20block_scan_algorithmE0ELj4294967295EEENS1_25partition_config_selectorILNS1_17partition_subalgoE3EjNS0_10empty_typeEbEEZZNS1_14partition_implILS8_3ELb0ES6_jNS0_17counting_iteratorIjlEEPS9_SE_NS0_5tupleIJPjSE_EEENSF_IJSE_SE_EEES9_SG_JZNS1_25segmented_radix_sort_implINS0_14default_configELb0EPKsPsPKlPlN2at6native12_GLOBAL__N_18offset_tEEE10hipError_tPvRmT1_PNSt15iterator_traitsISY_E10value_typeET2_T3_PNSZ_IS14_E10value_typeET4_jRbjT5_S1A_jjP12ihipStream_tbEUljE_EEESV_SW_SX_S14_S18_S1A_T6_T7_T9_mT8_S1C_bDpT10_ENKUlT_T0_E_clISt17integral_constantIbLb1EES1P_EEDaS1K_S1L_EUlS1K_E_NS1_11comp_targetILNS1_3genE0ELNS1_11target_archE4294967295ELNS1_3gpuE0ELNS1_3repE0EEENS1_30default_config_static_selectorELNS0_4arch9wavefront6targetE0EEEvSY_.has_recursion, 0
	.set _ZN7rocprim17ROCPRIM_400000_NS6detail17trampoline_kernelINS0_13select_configILj256ELj13ELNS0_17block_load_methodE3ELS4_3ELS4_3ELNS0_20block_scan_algorithmE0ELj4294967295EEENS1_25partition_config_selectorILNS1_17partition_subalgoE3EjNS0_10empty_typeEbEEZZNS1_14partition_implILS8_3ELb0ES6_jNS0_17counting_iteratorIjlEEPS9_SE_NS0_5tupleIJPjSE_EEENSF_IJSE_SE_EEES9_SG_JZNS1_25segmented_radix_sort_implINS0_14default_configELb0EPKsPsPKlPlN2at6native12_GLOBAL__N_18offset_tEEE10hipError_tPvRmT1_PNSt15iterator_traitsISY_E10value_typeET2_T3_PNSZ_IS14_E10value_typeET4_jRbjT5_S1A_jjP12ihipStream_tbEUljE_EEESV_SW_SX_S14_S18_S1A_T6_T7_T9_mT8_S1C_bDpT10_ENKUlT_T0_E_clISt17integral_constantIbLb1EES1P_EEDaS1K_S1L_EUlS1K_E_NS1_11comp_targetILNS1_3genE0ELNS1_11target_archE4294967295ELNS1_3gpuE0ELNS1_3repE0EEENS1_30default_config_static_selectorELNS0_4arch9wavefront6targetE0EEEvSY_.has_indirect_call, 0
	.section	.AMDGPU.csdata,"",@progbits
; Kernel info:
; codeLenInByte = 4
; TotalNumSgprs: 0
; NumVgprs: 0
; ScratchSize: 0
; MemoryBound: 0
; FloatMode: 240
; IeeeMode: 1
; LDSByteSize: 0 bytes/workgroup (compile time only)
; SGPRBlocks: 0
; VGPRBlocks: 0
; NumSGPRsForWavesPerEU: 1
; NumVGPRsForWavesPerEU: 1
; NamedBarCnt: 0
; Occupancy: 16
; WaveLimiterHint : 0
; COMPUTE_PGM_RSRC2:SCRATCH_EN: 0
; COMPUTE_PGM_RSRC2:USER_SGPR: 2
; COMPUTE_PGM_RSRC2:TRAP_HANDLER: 0
; COMPUTE_PGM_RSRC2:TGID_X_EN: 1
; COMPUTE_PGM_RSRC2:TGID_Y_EN: 0
; COMPUTE_PGM_RSRC2:TGID_Z_EN: 0
; COMPUTE_PGM_RSRC2:TIDIG_COMP_CNT: 0
	.section	.text._ZN7rocprim17ROCPRIM_400000_NS6detail17trampoline_kernelINS0_13select_configILj256ELj13ELNS0_17block_load_methodE3ELS4_3ELS4_3ELNS0_20block_scan_algorithmE0ELj4294967295EEENS1_25partition_config_selectorILNS1_17partition_subalgoE3EjNS0_10empty_typeEbEEZZNS1_14partition_implILS8_3ELb0ES6_jNS0_17counting_iteratorIjlEEPS9_SE_NS0_5tupleIJPjSE_EEENSF_IJSE_SE_EEES9_SG_JZNS1_25segmented_radix_sort_implINS0_14default_configELb0EPKsPsPKlPlN2at6native12_GLOBAL__N_18offset_tEEE10hipError_tPvRmT1_PNSt15iterator_traitsISY_E10value_typeET2_T3_PNSZ_IS14_E10value_typeET4_jRbjT5_S1A_jjP12ihipStream_tbEUljE_EEESV_SW_SX_S14_S18_S1A_T6_T7_T9_mT8_S1C_bDpT10_ENKUlT_T0_E_clISt17integral_constantIbLb1EES1P_EEDaS1K_S1L_EUlS1K_E_NS1_11comp_targetILNS1_3genE5ELNS1_11target_archE942ELNS1_3gpuE9ELNS1_3repE0EEENS1_30default_config_static_selectorELNS0_4arch9wavefront6targetE0EEEvSY_,"axG",@progbits,_ZN7rocprim17ROCPRIM_400000_NS6detail17trampoline_kernelINS0_13select_configILj256ELj13ELNS0_17block_load_methodE3ELS4_3ELS4_3ELNS0_20block_scan_algorithmE0ELj4294967295EEENS1_25partition_config_selectorILNS1_17partition_subalgoE3EjNS0_10empty_typeEbEEZZNS1_14partition_implILS8_3ELb0ES6_jNS0_17counting_iteratorIjlEEPS9_SE_NS0_5tupleIJPjSE_EEENSF_IJSE_SE_EEES9_SG_JZNS1_25segmented_radix_sort_implINS0_14default_configELb0EPKsPsPKlPlN2at6native12_GLOBAL__N_18offset_tEEE10hipError_tPvRmT1_PNSt15iterator_traitsISY_E10value_typeET2_T3_PNSZ_IS14_E10value_typeET4_jRbjT5_S1A_jjP12ihipStream_tbEUljE_EEESV_SW_SX_S14_S18_S1A_T6_T7_T9_mT8_S1C_bDpT10_ENKUlT_T0_E_clISt17integral_constantIbLb1EES1P_EEDaS1K_S1L_EUlS1K_E_NS1_11comp_targetILNS1_3genE5ELNS1_11target_archE942ELNS1_3gpuE9ELNS1_3repE0EEENS1_30default_config_static_selectorELNS0_4arch9wavefront6targetE0EEEvSY_,comdat
	.globl	_ZN7rocprim17ROCPRIM_400000_NS6detail17trampoline_kernelINS0_13select_configILj256ELj13ELNS0_17block_load_methodE3ELS4_3ELS4_3ELNS0_20block_scan_algorithmE0ELj4294967295EEENS1_25partition_config_selectorILNS1_17partition_subalgoE3EjNS0_10empty_typeEbEEZZNS1_14partition_implILS8_3ELb0ES6_jNS0_17counting_iteratorIjlEEPS9_SE_NS0_5tupleIJPjSE_EEENSF_IJSE_SE_EEES9_SG_JZNS1_25segmented_radix_sort_implINS0_14default_configELb0EPKsPsPKlPlN2at6native12_GLOBAL__N_18offset_tEEE10hipError_tPvRmT1_PNSt15iterator_traitsISY_E10value_typeET2_T3_PNSZ_IS14_E10value_typeET4_jRbjT5_S1A_jjP12ihipStream_tbEUljE_EEESV_SW_SX_S14_S18_S1A_T6_T7_T9_mT8_S1C_bDpT10_ENKUlT_T0_E_clISt17integral_constantIbLb1EES1P_EEDaS1K_S1L_EUlS1K_E_NS1_11comp_targetILNS1_3genE5ELNS1_11target_archE942ELNS1_3gpuE9ELNS1_3repE0EEENS1_30default_config_static_selectorELNS0_4arch9wavefront6targetE0EEEvSY_ ; -- Begin function _ZN7rocprim17ROCPRIM_400000_NS6detail17trampoline_kernelINS0_13select_configILj256ELj13ELNS0_17block_load_methodE3ELS4_3ELS4_3ELNS0_20block_scan_algorithmE0ELj4294967295EEENS1_25partition_config_selectorILNS1_17partition_subalgoE3EjNS0_10empty_typeEbEEZZNS1_14partition_implILS8_3ELb0ES6_jNS0_17counting_iteratorIjlEEPS9_SE_NS0_5tupleIJPjSE_EEENSF_IJSE_SE_EEES9_SG_JZNS1_25segmented_radix_sort_implINS0_14default_configELb0EPKsPsPKlPlN2at6native12_GLOBAL__N_18offset_tEEE10hipError_tPvRmT1_PNSt15iterator_traitsISY_E10value_typeET2_T3_PNSZ_IS14_E10value_typeET4_jRbjT5_S1A_jjP12ihipStream_tbEUljE_EEESV_SW_SX_S14_S18_S1A_T6_T7_T9_mT8_S1C_bDpT10_ENKUlT_T0_E_clISt17integral_constantIbLb1EES1P_EEDaS1K_S1L_EUlS1K_E_NS1_11comp_targetILNS1_3genE5ELNS1_11target_archE942ELNS1_3gpuE9ELNS1_3repE0EEENS1_30default_config_static_selectorELNS0_4arch9wavefront6targetE0EEEvSY_
	.p2align	8
	.type	_ZN7rocprim17ROCPRIM_400000_NS6detail17trampoline_kernelINS0_13select_configILj256ELj13ELNS0_17block_load_methodE3ELS4_3ELS4_3ELNS0_20block_scan_algorithmE0ELj4294967295EEENS1_25partition_config_selectorILNS1_17partition_subalgoE3EjNS0_10empty_typeEbEEZZNS1_14partition_implILS8_3ELb0ES6_jNS0_17counting_iteratorIjlEEPS9_SE_NS0_5tupleIJPjSE_EEENSF_IJSE_SE_EEES9_SG_JZNS1_25segmented_radix_sort_implINS0_14default_configELb0EPKsPsPKlPlN2at6native12_GLOBAL__N_18offset_tEEE10hipError_tPvRmT1_PNSt15iterator_traitsISY_E10value_typeET2_T3_PNSZ_IS14_E10value_typeET4_jRbjT5_S1A_jjP12ihipStream_tbEUljE_EEESV_SW_SX_S14_S18_S1A_T6_T7_T9_mT8_S1C_bDpT10_ENKUlT_T0_E_clISt17integral_constantIbLb1EES1P_EEDaS1K_S1L_EUlS1K_E_NS1_11comp_targetILNS1_3genE5ELNS1_11target_archE942ELNS1_3gpuE9ELNS1_3repE0EEENS1_30default_config_static_selectorELNS0_4arch9wavefront6targetE0EEEvSY_,@function
_ZN7rocprim17ROCPRIM_400000_NS6detail17trampoline_kernelINS0_13select_configILj256ELj13ELNS0_17block_load_methodE3ELS4_3ELS4_3ELNS0_20block_scan_algorithmE0ELj4294967295EEENS1_25partition_config_selectorILNS1_17partition_subalgoE3EjNS0_10empty_typeEbEEZZNS1_14partition_implILS8_3ELb0ES6_jNS0_17counting_iteratorIjlEEPS9_SE_NS0_5tupleIJPjSE_EEENSF_IJSE_SE_EEES9_SG_JZNS1_25segmented_radix_sort_implINS0_14default_configELb0EPKsPsPKlPlN2at6native12_GLOBAL__N_18offset_tEEE10hipError_tPvRmT1_PNSt15iterator_traitsISY_E10value_typeET2_T3_PNSZ_IS14_E10value_typeET4_jRbjT5_S1A_jjP12ihipStream_tbEUljE_EEESV_SW_SX_S14_S18_S1A_T6_T7_T9_mT8_S1C_bDpT10_ENKUlT_T0_E_clISt17integral_constantIbLb1EES1P_EEDaS1K_S1L_EUlS1K_E_NS1_11comp_targetILNS1_3genE5ELNS1_11target_archE942ELNS1_3gpuE9ELNS1_3repE0EEENS1_30default_config_static_selectorELNS0_4arch9wavefront6targetE0EEEvSY_: ; @_ZN7rocprim17ROCPRIM_400000_NS6detail17trampoline_kernelINS0_13select_configILj256ELj13ELNS0_17block_load_methodE3ELS4_3ELS4_3ELNS0_20block_scan_algorithmE0ELj4294967295EEENS1_25partition_config_selectorILNS1_17partition_subalgoE3EjNS0_10empty_typeEbEEZZNS1_14partition_implILS8_3ELb0ES6_jNS0_17counting_iteratorIjlEEPS9_SE_NS0_5tupleIJPjSE_EEENSF_IJSE_SE_EEES9_SG_JZNS1_25segmented_radix_sort_implINS0_14default_configELb0EPKsPsPKlPlN2at6native12_GLOBAL__N_18offset_tEEE10hipError_tPvRmT1_PNSt15iterator_traitsISY_E10value_typeET2_T3_PNSZ_IS14_E10value_typeET4_jRbjT5_S1A_jjP12ihipStream_tbEUljE_EEESV_SW_SX_S14_S18_S1A_T6_T7_T9_mT8_S1C_bDpT10_ENKUlT_T0_E_clISt17integral_constantIbLb1EES1P_EEDaS1K_S1L_EUlS1K_E_NS1_11comp_targetILNS1_3genE5ELNS1_11target_archE942ELNS1_3gpuE9ELNS1_3repE0EEENS1_30default_config_static_selectorELNS0_4arch9wavefront6targetE0EEEvSY_
; %bb.0:
	.section	.rodata,"a",@progbits
	.p2align	6, 0x0
	.amdhsa_kernel _ZN7rocprim17ROCPRIM_400000_NS6detail17trampoline_kernelINS0_13select_configILj256ELj13ELNS0_17block_load_methodE3ELS4_3ELS4_3ELNS0_20block_scan_algorithmE0ELj4294967295EEENS1_25partition_config_selectorILNS1_17partition_subalgoE3EjNS0_10empty_typeEbEEZZNS1_14partition_implILS8_3ELb0ES6_jNS0_17counting_iteratorIjlEEPS9_SE_NS0_5tupleIJPjSE_EEENSF_IJSE_SE_EEES9_SG_JZNS1_25segmented_radix_sort_implINS0_14default_configELb0EPKsPsPKlPlN2at6native12_GLOBAL__N_18offset_tEEE10hipError_tPvRmT1_PNSt15iterator_traitsISY_E10value_typeET2_T3_PNSZ_IS14_E10value_typeET4_jRbjT5_S1A_jjP12ihipStream_tbEUljE_EEESV_SW_SX_S14_S18_S1A_T6_T7_T9_mT8_S1C_bDpT10_ENKUlT_T0_E_clISt17integral_constantIbLb1EES1P_EEDaS1K_S1L_EUlS1K_E_NS1_11comp_targetILNS1_3genE5ELNS1_11target_archE942ELNS1_3gpuE9ELNS1_3repE0EEENS1_30default_config_static_selectorELNS0_4arch9wavefront6targetE0EEEvSY_
		.amdhsa_group_segment_fixed_size 0
		.amdhsa_private_segment_fixed_size 0
		.amdhsa_kernarg_size 152
		.amdhsa_user_sgpr_count 2
		.amdhsa_user_sgpr_dispatch_ptr 0
		.amdhsa_user_sgpr_queue_ptr 0
		.amdhsa_user_sgpr_kernarg_segment_ptr 1
		.amdhsa_user_sgpr_dispatch_id 0
		.amdhsa_user_sgpr_kernarg_preload_length 0
		.amdhsa_user_sgpr_kernarg_preload_offset 0
		.amdhsa_user_sgpr_private_segment_size 0
		.amdhsa_wavefront_size32 1
		.amdhsa_uses_dynamic_stack 0
		.amdhsa_enable_private_segment 0
		.amdhsa_system_sgpr_workgroup_id_x 1
		.amdhsa_system_sgpr_workgroup_id_y 0
		.amdhsa_system_sgpr_workgroup_id_z 0
		.amdhsa_system_sgpr_workgroup_info 0
		.amdhsa_system_vgpr_workitem_id 0
		.amdhsa_next_free_vgpr 1
		.amdhsa_next_free_sgpr 1
		.amdhsa_named_barrier_count 0
		.amdhsa_reserve_vcc 0
		.amdhsa_float_round_mode_32 0
		.amdhsa_float_round_mode_16_64 0
		.amdhsa_float_denorm_mode_32 3
		.amdhsa_float_denorm_mode_16_64 3
		.amdhsa_fp16_overflow 0
		.amdhsa_memory_ordered 1
		.amdhsa_forward_progress 1
		.amdhsa_inst_pref_size 0
		.amdhsa_round_robin_scheduling 0
		.amdhsa_exception_fp_ieee_invalid_op 0
		.amdhsa_exception_fp_denorm_src 0
		.amdhsa_exception_fp_ieee_div_zero 0
		.amdhsa_exception_fp_ieee_overflow 0
		.amdhsa_exception_fp_ieee_underflow 0
		.amdhsa_exception_fp_ieee_inexact 0
		.amdhsa_exception_int_div_zero 0
	.end_amdhsa_kernel
	.section	.text._ZN7rocprim17ROCPRIM_400000_NS6detail17trampoline_kernelINS0_13select_configILj256ELj13ELNS0_17block_load_methodE3ELS4_3ELS4_3ELNS0_20block_scan_algorithmE0ELj4294967295EEENS1_25partition_config_selectorILNS1_17partition_subalgoE3EjNS0_10empty_typeEbEEZZNS1_14partition_implILS8_3ELb0ES6_jNS0_17counting_iteratorIjlEEPS9_SE_NS0_5tupleIJPjSE_EEENSF_IJSE_SE_EEES9_SG_JZNS1_25segmented_radix_sort_implINS0_14default_configELb0EPKsPsPKlPlN2at6native12_GLOBAL__N_18offset_tEEE10hipError_tPvRmT1_PNSt15iterator_traitsISY_E10value_typeET2_T3_PNSZ_IS14_E10value_typeET4_jRbjT5_S1A_jjP12ihipStream_tbEUljE_EEESV_SW_SX_S14_S18_S1A_T6_T7_T9_mT8_S1C_bDpT10_ENKUlT_T0_E_clISt17integral_constantIbLb1EES1P_EEDaS1K_S1L_EUlS1K_E_NS1_11comp_targetILNS1_3genE5ELNS1_11target_archE942ELNS1_3gpuE9ELNS1_3repE0EEENS1_30default_config_static_selectorELNS0_4arch9wavefront6targetE0EEEvSY_,"axG",@progbits,_ZN7rocprim17ROCPRIM_400000_NS6detail17trampoline_kernelINS0_13select_configILj256ELj13ELNS0_17block_load_methodE3ELS4_3ELS4_3ELNS0_20block_scan_algorithmE0ELj4294967295EEENS1_25partition_config_selectorILNS1_17partition_subalgoE3EjNS0_10empty_typeEbEEZZNS1_14partition_implILS8_3ELb0ES6_jNS0_17counting_iteratorIjlEEPS9_SE_NS0_5tupleIJPjSE_EEENSF_IJSE_SE_EEES9_SG_JZNS1_25segmented_radix_sort_implINS0_14default_configELb0EPKsPsPKlPlN2at6native12_GLOBAL__N_18offset_tEEE10hipError_tPvRmT1_PNSt15iterator_traitsISY_E10value_typeET2_T3_PNSZ_IS14_E10value_typeET4_jRbjT5_S1A_jjP12ihipStream_tbEUljE_EEESV_SW_SX_S14_S18_S1A_T6_T7_T9_mT8_S1C_bDpT10_ENKUlT_T0_E_clISt17integral_constantIbLb1EES1P_EEDaS1K_S1L_EUlS1K_E_NS1_11comp_targetILNS1_3genE5ELNS1_11target_archE942ELNS1_3gpuE9ELNS1_3repE0EEENS1_30default_config_static_selectorELNS0_4arch9wavefront6targetE0EEEvSY_,comdat
.Lfunc_end986:
	.size	_ZN7rocprim17ROCPRIM_400000_NS6detail17trampoline_kernelINS0_13select_configILj256ELj13ELNS0_17block_load_methodE3ELS4_3ELS4_3ELNS0_20block_scan_algorithmE0ELj4294967295EEENS1_25partition_config_selectorILNS1_17partition_subalgoE3EjNS0_10empty_typeEbEEZZNS1_14partition_implILS8_3ELb0ES6_jNS0_17counting_iteratorIjlEEPS9_SE_NS0_5tupleIJPjSE_EEENSF_IJSE_SE_EEES9_SG_JZNS1_25segmented_radix_sort_implINS0_14default_configELb0EPKsPsPKlPlN2at6native12_GLOBAL__N_18offset_tEEE10hipError_tPvRmT1_PNSt15iterator_traitsISY_E10value_typeET2_T3_PNSZ_IS14_E10value_typeET4_jRbjT5_S1A_jjP12ihipStream_tbEUljE_EEESV_SW_SX_S14_S18_S1A_T6_T7_T9_mT8_S1C_bDpT10_ENKUlT_T0_E_clISt17integral_constantIbLb1EES1P_EEDaS1K_S1L_EUlS1K_E_NS1_11comp_targetILNS1_3genE5ELNS1_11target_archE942ELNS1_3gpuE9ELNS1_3repE0EEENS1_30default_config_static_selectorELNS0_4arch9wavefront6targetE0EEEvSY_, .Lfunc_end986-_ZN7rocprim17ROCPRIM_400000_NS6detail17trampoline_kernelINS0_13select_configILj256ELj13ELNS0_17block_load_methodE3ELS4_3ELS4_3ELNS0_20block_scan_algorithmE0ELj4294967295EEENS1_25partition_config_selectorILNS1_17partition_subalgoE3EjNS0_10empty_typeEbEEZZNS1_14partition_implILS8_3ELb0ES6_jNS0_17counting_iteratorIjlEEPS9_SE_NS0_5tupleIJPjSE_EEENSF_IJSE_SE_EEES9_SG_JZNS1_25segmented_radix_sort_implINS0_14default_configELb0EPKsPsPKlPlN2at6native12_GLOBAL__N_18offset_tEEE10hipError_tPvRmT1_PNSt15iterator_traitsISY_E10value_typeET2_T3_PNSZ_IS14_E10value_typeET4_jRbjT5_S1A_jjP12ihipStream_tbEUljE_EEESV_SW_SX_S14_S18_S1A_T6_T7_T9_mT8_S1C_bDpT10_ENKUlT_T0_E_clISt17integral_constantIbLb1EES1P_EEDaS1K_S1L_EUlS1K_E_NS1_11comp_targetILNS1_3genE5ELNS1_11target_archE942ELNS1_3gpuE9ELNS1_3repE0EEENS1_30default_config_static_selectorELNS0_4arch9wavefront6targetE0EEEvSY_
                                        ; -- End function
	.set _ZN7rocprim17ROCPRIM_400000_NS6detail17trampoline_kernelINS0_13select_configILj256ELj13ELNS0_17block_load_methodE3ELS4_3ELS4_3ELNS0_20block_scan_algorithmE0ELj4294967295EEENS1_25partition_config_selectorILNS1_17partition_subalgoE3EjNS0_10empty_typeEbEEZZNS1_14partition_implILS8_3ELb0ES6_jNS0_17counting_iteratorIjlEEPS9_SE_NS0_5tupleIJPjSE_EEENSF_IJSE_SE_EEES9_SG_JZNS1_25segmented_radix_sort_implINS0_14default_configELb0EPKsPsPKlPlN2at6native12_GLOBAL__N_18offset_tEEE10hipError_tPvRmT1_PNSt15iterator_traitsISY_E10value_typeET2_T3_PNSZ_IS14_E10value_typeET4_jRbjT5_S1A_jjP12ihipStream_tbEUljE_EEESV_SW_SX_S14_S18_S1A_T6_T7_T9_mT8_S1C_bDpT10_ENKUlT_T0_E_clISt17integral_constantIbLb1EES1P_EEDaS1K_S1L_EUlS1K_E_NS1_11comp_targetILNS1_3genE5ELNS1_11target_archE942ELNS1_3gpuE9ELNS1_3repE0EEENS1_30default_config_static_selectorELNS0_4arch9wavefront6targetE0EEEvSY_.num_vgpr, 0
	.set _ZN7rocprim17ROCPRIM_400000_NS6detail17trampoline_kernelINS0_13select_configILj256ELj13ELNS0_17block_load_methodE3ELS4_3ELS4_3ELNS0_20block_scan_algorithmE0ELj4294967295EEENS1_25partition_config_selectorILNS1_17partition_subalgoE3EjNS0_10empty_typeEbEEZZNS1_14partition_implILS8_3ELb0ES6_jNS0_17counting_iteratorIjlEEPS9_SE_NS0_5tupleIJPjSE_EEENSF_IJSE_SE_EEES9_SG_JZNS1_25segmented_radix_sort_implINS0_14default_configELb0EPKsPsPKlPlN2at6native12_GLOBAL__N_18offset_tEEE10hipError_tPvRmT1_PNSt15iterator_traitsISY_E10value_typeET2_T3_PNSZ_IS14_E10value_typeET4_jRbjT5_S1A_jjP12ihipStream_tbEUljE_EEESV_SW_SX_S14_S18_S1A_T6_T7_T9_mT8_S1C_bDpT10_ENKUlT_T0_E_clISt17integral_constantIbLb1EES1P_EEDaS1K_S1L_EUlS1K_E_NS1_11comp_targetILNS1_3genE5ELNS1_11target_archE942ELNS1_3gpuE9ELNS1_3repE0EEENS1_30default_config_static_selectorELNS0_4arch9wavefront6targetE0EEEvSY_.num_agpr, 0
	.set _ZN7rocprim17ROCPRIM_400000_NS6detail17trampoline_kernelINS0_13select_configILj256ELj13ELNS0_17block_load_methodE3ELS4_3ELS4_3ELNS0_20block_scan_algorithmE0ELj4294967295EEENS1_25partition_config_selectorILNS1_17partition_subalgoE3EjNS0_10empty_typeEbEEZZNS1_14partition_implILS8_3ELb0ES6_jNS0_17counting_iteratorIjlEEPS9_SE_NS0_5tupleIJPjSE_EEENSF_IJSE_SE_EEES9_SG_JZNS1_25segmented_radix_sort_implINS0_14default_configELb0EPKsPsPKlPlN2at6native12_GLOBAL__N_18offset_tEEE10hipError_tPvRmT1_PNSt15iterator_traitsISY_E10value_typeET2_T3_PNSZ_IS14_E10value_typeET4_jRbjT5_S1A_jjP12ihipStream_tbEUljE_EEESV_SW_SX_S14_S18_S1A_T6_T7_T9_mT8_S1C_bDpT10_ENKUlT_T0_E_clISt17integral_constantIbLb1EES1P_EEDaS1K_S1L_EUlS1K_E_NS1_11comp_targetILNS1_3genE5ELNS1_11target_archE942ELNS1_3gpuE9ELNS1_3repE0EEENS1_30default_config_static_selectorELNS0_4arch9wavefront6targetE0EEEvSY_.numbered_sgpr, 0
	.set _ZN7rocprim17ROCPRIM_400000_NS6detail17trampoline_kernelINS0_13select_configILj256ELj13ELNS0_17block_load_methodE3ELS4_3ELS4_3ELNS0_20block_scan_algorithmE0ELj4294967295EEENS1_25partition_config_selectorILNS1_17partition_subalgoE3EjNS0_10empty_typeEbEEZZNS1_14partition_implILS8_3ELb0ES6_jNS0_17counting_iteratorIjlEEPS9_SE_NS0_5tupleIJPjSE_EEENSF_IJSE_SE_EEES9_SG_JZNS1_25segmented_radix_sort_implINS0_14default_configELb0EPKsPsPKlPlN2at6native12_GLOBAL__N_18offset_tEEE10hipError_tPvRmT1_PNSt15iterator_traitsISY_E10value_typeET2_T3_PNSZ_IS14_E10value_typeET4_jRbjT5_S1A_jjP12ihipStream_tbEUljE_EEESV_SW_SX_S14_S18_S1A_T6_T7_T9_mT8_S1C_bDpT10_ENKUlT_T0_E_clISt17integral_constantIbLb1EES1P_EEDaS1K_S1L_EUlS1K_E_NS1_11comp_targetILNS1_3genE5ELNS1_11target_archE942ELNS1_3gpuE9ELNS1_3repE0EEENS1_30default_config_static_selectorELNS0_4arch9wavefront6targetE0EEEvSY_.num_named_barrier, 0
	.set _ZN7rocprim17ROCPRIM_400000_NS6detail17trampoline_kernelINS0_13select_configILj256ELj13ELNS0_17block_load_methodE3ELS4_3ELS4_3ELNS0_20block_scan_algorithmE0ELj4294967295EEENS1_25partition_config_selectorILNS1_17partition_subalgoE3EjNS0_10empty_typeEbEEZZNS1_14partition_implILS8_3ELb0ES6_jNS0_17counting_iteratorIjlEEPS9_SE_NS0_5tupleIJPjSE_EEENSF_IJSE_SE_EEES9_SG_JZNS1_25segmented_radix_sort_implINS0_14default_configELb0EPKsPsPKlPlN2at6native12_GLOBAL__N_18offset_tEEE10hipError_tPvRmT1_PNSt15iterator_traitsISY_E10value_typeET2_T3_PNSZ_IS14_E10value_typeET4_jRbjT5_S1A_jjP12ihipStream_tbEUljE_EEESV_SW_SX_S14_S18_S1A_T6_T7_T9_mT8_S1C_bDpT10_ENKUlT_T0_E_clISt17integral_constantIbLb1EES1P_EEDaS1K_S1L_EUlS1K_E_NS1_11comp_targetILNS1_3genE5ELNS1_11target_archE942ELNS1_3gpuE9ELNS1_3repE0EEENS1_30default_config_static_selectorELNS0_4arch9wavefront6targetE0EEEvSY_.private_seg_size, 0
	.set _ZN7rocprim17ROCPRIM_400000_NS6detail17trampoline_kernelINS0_13select_configILj256ELj13ELNS0_17block_load_methodE3ELS4_3ELS4_3ELNS0_20block_scan_algorithmE0ELj4294967295EEENS1_25partition_config_selectorILNS1_17partition_subalgoE3EjNS0_10empty_typeEbEEZZNS1_14partition_implILS8_3ELb0ES6_jNS0_17counting_iteratorIjlEEPS9_SE_NS0_5tupleIJPjSE_EEENSF_IJSE_SE_EEES9_SG_JZNS1_25segmented_radix_sort_implINS0_14default_configELb0EPKsPsPKlPlN2at6native12_GLOBAL__N_18offset_tEEE10hipError_tPvRmT1_PNSt15iterator_traitsISY_E10value_typeET2_T3_PNSZ_IS14_E10value_typeET4_jRbjT5_S1A_jjP12ihipStream_tbEUljE_EEESV_SW_SX_S14_S18_S1A_T6_T7_T9_mT8_S1C_bDpT10_ENKUlT_T0_E_clISt17integral_constantIbLb1EES1P_EEDaS1K_S1L_EUlS1K_E_NS1_11comp_targetILNS1_3genE5ELNS1_11target_archE942ELNS1_3gpuE9ELNS1_3repE0EEENS1_30default_config_static_selectorELNS0_4arch9wavefront6targetE0EEEvSY_.uses_vcc, 0
	.set _ZN7rocprim17ROCPRIM_400000_NS6detail17trampoline_kernelINS0_13select_configILj256ELj13ELNS0_17block_load_methodE3ELS4_3ELS4_3ELNS0_20block_scan_algorithmE0ELj4294967295EEENS1_25partition_config_selectorILNS1_17partition_subalgoE3EjNS0_10empty_typeEbEEZZNS1_14partition_implILS8_3ELb0ES6_jNS0_17counting_iteratorIjlEEPS9_SE_NS0_5tupleIJPjSE_EEENSF_IJSE_SE_EEES9_SG_JZNS1_25segmented_radix_sort_implINS0_14default_configELb0EPKsPsPKlPlN2at6native12_GLOBAL__N_18offset_tEEE10hipError_tPvRmT1_PNSt15iterator_traitsISY_E10value_typeET2_T3_PNSZ_IS14_E10value_typeET4_jRbjT5_S1A_jjP12ihipStream_tbEUljE_EEESV_SW_SX_S14_S18_S1A_T6_T7_T9_mT8_S1C_bDpT10_ENKUlT_T0_E_clISt17integral_constantIbLb1EES1P_EEDaS1K_S1L_EUlS1K_E_NS1_11comp_targetILNS1_3genE5ELNS1_11target_archE942ELNS1_3gpuE9ELNS1_3repE0EEENS1_30default_config_static_selectorELNS0_4arch9wavefront6targetE0EEEvSY_.uses_flat_scratch, 0
	.set _ZN7rocprim17ROCPRIM_400000_NS6detail17trampoline_kernelINS0_13select_configILj256ELj13ELNS0_17block_load_methodE3ELS4_3ELS4_3ELNS0_20block_scan_algorithmE0ELj4294967295EEENS1_25partition_config_selectorILNS1_17partition_subalgoE3EjNS0_10empty_typeEbEEZZNS1_14partition_implILS8_3ELb0ES6_jNS0_17counting_iteratorIjlEEPS9_SE_NS0_5tupleIJPjSE_EEENSF_IJSE_SE_EEES9_SG_JZNS1_25segmented_radix_sort_implINS0_14default_configELb0EPKsPsPKlPlN2at6native12_GLOBAL__N_18offset_tEEE10hipError_tPvRmT1_PNSt15iterator_traitsISY_E10value_typeET2_T3_PNSZ_IS14_E10value_typeET4_jRbjT5_S1A_jjP12ihipStream_tbEUljE_EEESV_SW_SX_S14_S18_S1A_T6_T7_T9_mT8_S1C_bDpT10_ENKUlT_T0_E_clISt17integral_constantIbLb1EES1P_EEDaS1K_S1L_EUlS1K_E_NS1_11comp_targetILNS1_3genE5ELNS1_11target_archE942ELNS1_3gpuE9ELNS1_3repE0EEENS1_30default_config_static_selectorELNS0_4arch9wavefront6targetE0EEEvSY_.has_dyn_sized_stack, 0
	.set _ZN7rocprim17ROCPRIM_400000_NS6detail17trampoline_kernelINS0_13select_configILj256ELj13ELNS0_17block_load_methodE3ELS4_3ELS4_3ELNS0_20block_scan_algorithmE0ELj4294967295EEENS1_25partition_config_selectorILNS1_17partition_subalgoE3EjNS0_10empty_typeEbEEZZNS1_14partition_implILS8_3ELb0ES6_jNS0_17counting_iteratorIjlEEPS9_SE_NS0_5tupleIJPjSE_EEENSF_IJSE_SE_EEES9_SG_JZNS1_25segmented_radix_sort_implINS0_14default_configELb0EPKsPsPKlPlN2at6native12_GLOBAL__N_18offset_tEEE10hipError_tPvRmT1_PNSt15iterator_traitsISY_E10value_typeET2_T3_PNSZ_IS14_E10value_typeET4_jRbjT5_S1A_jjP12ihipStream_tbEUljE_EEESV_SW_SX_S14_S18_S1A_T6_T7_T9_mT8_S1C_bDpT10_ENKUlT_T0_E_clISt17integral_constantIbLb1EES1P_EEDaS1K_S1L_EUlS1K_E_NS1_11comp_targetILNS1_3genE5ELNS1_11target_archE942ELNS1_3gpuE9ELNS1_3repE0EEENS1_30default_config_static_selectorELNS0_4arch9wavefront6targetE0EEEvSY_.has_recursion, 0
	.set _ZN7rocprim17ROCPRIM_400000_NS6detail17trampoline_kernelINS0_13select_configILj256ELj13ELNS0_17block_load_methodE3ELS4_3ELS4_3ELNS0_20block_scan_algorithmE0ELj4294967295EEENS1_25partition_config_selectorILNS1_17partition_subalgoE3EjNS0_10empty_typeEbEEZZNS1_14partition_implILS8_3ELb0ES6_jNS0_17counting_iteratorIjlEEPS9_SE_NS0_5tupleIJPjSE_EEENSF_IJSE_SE_EEES9_SG_JZNS1_25segmented_radix_sort_implINS0_14default_configELb0EPKsPsPKlPlN2at6native12_GLOBAL__N_18offset_tEEE10hipError_tPvRmT1_PNSt15iterator_traitsISY_E10value_typeET2_T3_PNSZ_IS14_E10value_typeET4_jRbjT5_S1A_jjP12ihipStream_tbEUljE_EEESV_SW_SX_S14_S18_S1A_T6_T7_T9_mT8_S1C_bDpT10_ENKUlT_T0_E_clISt17integral_constantIbLb1EES1P_EEDaS1K_S1L_EUlS1K_E_NS1_11comp_targetILNS1_3genE5ELNS1_11target_archE942ELNS1_3gpuE9ELNS1_3repE0EEENS1_30default_config_static_selectorELNS0_4arch9wavefront6targetE0EEEvSY_.has_indirect_call, 0
	.section	.AMDGPU.csdata,"",@progbits
; Kernel info:
; codeLenInByte = 0
; TotalNumSgprs: 0
; NumVgprs: 0
; ScratchSize: 0
; MemoryBound: 0
; FloatMode: 240
; IeeeMode: 1
; LDSByteSize: 0 bytes/workgroup (compile time only)
; SGPRBlocks: 0
; VGPRBlocks: 0
; NumSGPRsForWavesPerEU: 1
; NumVGPRsForWavesPerEU: 1
; NamedBarCnt: 0
; Occupancy: 16
; WaveLimiterHint : 0
; COMPUTE_PGM_RSRC2:SCRATCH_EN: 0
; COMPUTE_PGM_RSRC2:USER_SGPR: 2
; COMPUTE_PGM_RSRC2:TRAP_HANDLER: 0
; COMPUTE_PGM_RSRC2:TGID_X_EN: 1
; COMPUTE_PGM_RSRC2:TGID_Y_EN: 0
; COMPUTE_PGM_RSRC2:TGID_Z_EN: 0
; COMPUTE_PGM_RSRC2:TIDIG_COMP_CNT: 0
	.section	.text._ZN7rocprim17ROCPRIM_400000_NS6detail17trampoline_kernelINS0_13select_configILj256ELj13ELNS0_17block_load_methodE3ELS4_3ELS4_3ELNS0_20block_scan_algorithmE0ELj4294967295EEENS1_25partition_config_selectorILNS1_17partition_subalgoE3EjNS0_10empty_typeEbEEZZNS1_14partition_implILS8_3ELb0ES6_jNS0_17counting_iteratorIjlEEPS9_SE_NS0_5tupleIJPjSE_EEENSF_IJSE_SE_EEES9_SG_JZNS1_25segmented_radix_sort_implINS0_14default_configELb0EPKsPsPKlPlN2at6native12_GLOBAL__N_18offset_tEEE10hipError_tPvRmT1_PNSt15iterator_traitsISY_E10value_typeET2_T3_PNSZ_IS14_E10value_typeET4_jRbjT5_S1A_jjP12ihipStream_tbEUljE_EEESV_SW_SX_S14_S18_S1A_T6_T7_T9_mT8_S1C_bDpT10_ENKUlT_T0_E_clISt17integral_constantIbLb1EES1P_EEDaS1K_S1L_EUlS1K_E_NS1_11comp_targetILNS1_3genE4ELNS1_11target_archE910ELNS1_3gpuE8ELNS1_3repE0EEENS1_30default_config_static_selectorELNS0_4arch9wavefront6targetE0EEEvSY_,"axG",@progbits,_ZN7rocprim17ROCPRIM_400000_NS6detail17trampoline_kernelINS0_13select_configILj256ELj13ELNS0_17block_load_methodE3ELS4_3ELS4_3ELNS0_20block_scan_algorithmE0ELj4294967295EEENS1_25partition_config_selectorILNS1_17partition_subalgoE3EjNS0_10empty_typeEbEEZZNS1_14partition_implILS8_3ELb0ES6_jNS0_17counting_iteratorIjlEEPS9_SE_NS0_5tupleIJPjSE_EEENSF_IJSE_SE_EEES9_SG_JZNS1_25segmented_radix_sort_implINS0_14default_configELb0EPKsPsPKlPlN2at6native12_GLOBAL__N_18offset_tEEE10hipError_tPvRmT1_PNSt15iterator_traitsISY_E10value_typeET2_T3_PNSZ_IS14_E10value_typeET4_jRbjT5_S1A_jjP12ihipStream_tbEUljE_EEESV_SW_SX_S14_S18_S1A_T6_T7_T9_mT8_S1C_bDpT10_ENKUlT_T0_E_clISt17integral_constantIbLb1EES1P_EEDaS1K_S1L_EUlS1K_E_NS1_11comp_targetILNS1_3genE4ELNS1_11target_archE910ELNS1_3gpuE8ELNS1_3repE0EEENS1_30default_config_static_selectorELNS0_4arch9wavefront6targetE0EEEvSY_,comdat
	.globl	_ZN7rocprim17ROCPRIM_400000_NS6detail17trampoline_kernelINS0_13select_configILj256ELj13ELNS0_17block_load_methodE3ELS4_3ELS4_3ELNS0_20block_scan_algorithmE0ELj4294967295EEENS1_25partition_config_selectorILNS1_17partition_subalgoE3EjNS0_10empty_typeEbEEZZNS1_14partition_implILS8_3ELb0ES6_jNS0_17counting_iteratorIjlEEPS9_SE_NS0_5tupleIJPjSE_EEENSF_IJSE_SE_EEES9_SG_JZNS1_25segmented_radix_sort_implINS0_14default_configELb0EPKsPsPKlPlN2at6native12_GLOBAL__N_18offset_tEEE10hipError_tPvRmT1_PNSt15iterator_traitsISY_E10value_typeET2_T3_PNSZ_IS14_E10value_typeET4_jRbjT5_S1A_jjP12ihipStream_tbEUljE_EEESV_SW_SX_S14_S18_S1A_T6_T7_T9_mT8_S1C_bDpT10_ENKUlT_T0_E_clISt17integral_constantIbLb1EES1P_EEDaS1K_S1L_EUlS1K_E_NS1_11comp_targetILNS1_3genE4ELNS1_11target_archE910ELNS1_3gpuE8ELNS1_3repE0EEENS1_30default_config_static_selectorELNS0_4arch9wavefront6targetE0EEEvSY_ ; -- Begin function _ZN7rocprim17ROCPRIM_400000_NS6detail17trampoline_kernelINS0_13select_configILj256ELj13ELNS0_17block_load_methodE3ELS4_3ELS4_3ELNS0_20block_scan_algorithmE0ELj4294967295EEENS1_25partition_config_selectorILNS1_17partition_subalgoE3EjNS0_10empty_typeEbEEZZNS1_14partition_implILS8_3ELb0ES6_jNS0_17counting_iteratorIjlEEPS9_SE_NS0_5tupleIJPjSE_EEENSF_IJSE_SE_EEES9_SG_JZNS1_25segmented_radix_sort_implINS0_14default_configELb0EPKsPsPKlPlN2at6native12_GLOBAL__N_18offset_tEEE10hipError_tPvRmT1_PNSt15iterator_traitsISY_E10value_typeET2_T3_PNSZ_IS14_E10value_typeET4_jRbjT5_S1A_jjP12ihipStream_tbEUljE_EEESV_SW_SX_S14_S18_S1A_T6_T7_T9_mT8_S1C_bDpT10_ENKUlT_T0_E_clISt17integral_constantIbLb1EES1P_EEDaS1K_S1L_EUlS1K_E_NS1_11comp_targetILNS1_3genE4ELNS1_11target_archE910ELNS1_3gpuE8ELNS1_3repE0EEENS1_30default_config_static_selectorELNS0_4arch9wavefront6targetE0EEEvSY_
	.p2align	8
	.type	_ZN7rocprim17ROCPRIM_400000_NS6detail17trampoline_kernelINS0_13select_configILj256ELj13ELNS0_17block_load_methodE3ELS4_3ELS4_3ELNS0_20block_scan_algorithmE0ELj4294967295EEENS1_25partition_config_selectorILNS1_17partition_subalgoE3EjNS0_10empty_typeEbEEZZNS1_14partition_implILS8_3ELb0ES6_jNS0_17counting_iteratorIjlEEPS9_SE_NS0_5tupleIJPjSE_EEENSF_IJSE_SE_EEES9_SG_JZNS1_25segmented_radix_sort_implINS0_14default_configELb0EPKsPsPKlPlN2at6native12_GLOBAL__N_18offset_tEEE10hipError_tPvRmT1_PNSt15iterator_traitsISY_E10value_typeET2_T3_PNSZ_IS14_E10value_typeET4_jRbjT5_S1A_jjP12ihipStream_tbEUljE_EEESV_SW_SX_S14_S18_S1A_T6_T7_T9_mT8_S1C_bDpT10_ENKUlT_T0_E_clISt17integral_constantIbLb1EES1P_EEDaS1K_S1L_EUlS1K_E_NS1_11comp_targetILNS1_3genE4ELNS1_11target_archE910ELNS1_3gpuE8ELNS1_3repE0EEENS1_30default_config_static_selectorELNS0_4arch9wavefront6targetE0EEEvSY_,@function
_ZN7rocprim17ROCPRIM_400000_NS6detail17trampoline_kernelINS0_13select_configILj256ELj13ELNS0_17block_load_methodE3ELS4_3ELS4_3ELNS0_20block_scan_algorithmE0ELj4294967295EEENS1_25partition_config_selectorILNS1_17partition_subalgoE3EjNS0_10empty_typeEbEEZZNS1_14partition_implILS8_3ELb0ES6_jNS0_17counting_iteratorIjlEEPS9_SE_NS0_5tupleIJPjSE_EEENSF_IJSE_SE_EEES9_SG_JZNS1_25segmented_radix_sort_implINS0_14default_configELb0EPKsPsPKlPlN2at6native12_GLOBAL__N_18offset_tEEE10hipError_tPvRmT1_PNSt15iterator_traitsISY_E10value_typeET2_T3_PNSZ_IS14_E10value_typeET4_jRbjT5_S1A_jjP12ihipStream_tbEUljE_EEESV_SW_SX_S14_S18_S1A_T6_T7_T9_mT8_S1C_bDpT10_ENKUlT_T0_E_clISt17integral_constantIbLb1EES1P_EEDaS1K_S1L_EUlS1K_E_NS1_11comp_targetILNS1_3genE4ELNS1_11target_archE910ELNS1_3gpuE8ELNS1_3repE0EEENS1_30default_config_static_selectorELNS0_4arch9wavefront6targetE0EEEvSY_: ; @_ZN7rocprim17ROCPRIM_400000_NS6detail17trampoline_kernelINS0_13select_configILj256ELj13ELNS0_17block_load_methodE3ELS4_3ELS4_3ELNS0_20block_scan_algorithmE0ELj4294967295EEENS1_25partition_config_selectorILNS1_17partition_subalgoE3EjNS0_10empty_typeEbEEZZNS1_14partition_implILS8_3ELb0ES6_jNS0_17counting_iteratorIjlEEPS9_SE_NS0_5tupleIJPjSE_EEENSF_IJSE_SE_EEES9_SG_JZNS1_25segmented_radix_sort_implINS0_14default_configELb0EPKsPsPKlPlN2at6native12_GLOBAL__N_18offset_tEEE10hipError_tPvRmT1_PNSt15iterator_traitsISY_E10value_typeET2_T3_PNSZ_IS14_E10value_typeET4_jRbjT5_S1A_jjP12ihipStream_tbEUljE_EEESV_SW_SX_S14_S18_S1A_T6_T7_T9_mT8_S1C_bDpT10_ENKUlT_T0_E_clISt17integral_constantIbLb1EES1P_EEDaS1K_S1L_EUlS1K_E_NS1_11comp_targetILNS1_3genE4ELNS1_11target_archE910ELNS1_3gpuE8ELNS1_3repE0EEENS1_30default_config_static_selectorELNS0_4arch9wavefront6targetE0EEEvSY_
; %bb.0:
	.section	.rodata,"a",@progbits
	.p2align	6, 0x0
	.amdhsa_kernel _ZN7rocprim17ROCPRIM_400000_NS6detail17trampoline_kernelINS0_13select_configILj256ELj13ELNS0_17block_load_methodE3ELS4_3ELS4_3ELNS0_20block_scan_algorithmE0ELj4294967295EEENS1_25partition_config_selectorILNS1_17partition_subalgoE3EjNS0_10empty_typeEbEEZZNS1_14partition_implILS8_3ELb0ES6_jNS0_17counting_iteratorIjlEEPS9_SE_NS0_5tupleIJPjSE_EEENSF_IJSE_SE_EEES9_SG_JZNS1_25segmented_radix_sort_implINS0_14default_configELb0EPKsPsPKlPlN2at6native12_GLOBAL__N_18offset_tEEE10hipError_tPvRmT1_PNSt15iterator_traitsISY_E10value_typeET2_T3_PNSZ_IS14_E10value_typeET4_jRbjT5_S1A_jjP12ihipStream_tbEUljE_EEESV_SW_SX_S14_S18_S1A_T6_T7_T9_mT8_S1C_bDpT10_ENKUlT_T0_E_clISt17integral_constantIbLb1EES1P_EEDaS1K_S1L_EUlS1K_E_NS1_11comp_targetILNS1_3genE4ELNS1_11target_archE910ELNS1_3gpuE8ELNS1_3repE0EEENS1_30default_config_static_selectorELNS0_4arch9wavefront6targetE0EEEvSY_
		.amdhsa_group_segment_fixed_size 0
		.amdhsa_private_segment_fixed_size 0
		.amdhsa_kernarg_size 152
		.amdhsa_user_sgpr_count 2
		.amdhsa_user_sgpr_dispatch_ptr 0
		.amdhsa_user_sgpr_queue_ptr 0
		.amdhsa_user_sgpr_kernarg_segment_ptr 1
		.amdhsa_user_sgpr_dispatch_id 0
		.amdhsa_user_sgpr_kernarg_preload_length 0
		.amdhsa_user_sgpr_kernarg_preload_offset 0
		.amdhsa_user_sgpr_private_segment_size 0
		.amdhsa_wavefront_size32 1
		.amdhsa_uses_dynamic_stack 0
		.amdhsa_enable_private_segment 0
		.amdhsa_system_sgpr_workgroup_id_x 1
		.amdhsa_system_sgpr_workgroup_id_y 0
		.amdhsa_system_sgpr_workgroup_id_z 0
		.amdhsa_system_sgpr_workgroup_info 0
		.amdhsa_system_vgpr_workitem_id 0
		.amdhsa_next_free_vgpr 1
		.amdhsa_next_free_sgpr 1
		.amdhsa_named_barrier_count 0
		.amdhsa_reserve_vcc 0
		.amdhsa_float_round_mode_32 0
		.amdhsa_float_round_mode_16_64 0
		.amdhsa_float_denorm_mode_32 3
		.amdhsa_float_denorm_mode_16_64 3
		.amdhsa_fp16_overflow 0
		.amdhsa_memory_ordered 1
		.amdhsa_forward_progress 1
		.amdhsa_inst_pref_size 0
		.amdhsa_round_robin_scheduling 0
		.amdhsa_exception_fp_ieee_invalid_op 0
		.amdhsa_exception_fp_denorm_src 0
		.amdhsa_exception_fp_ieee_div_zero 0
		.amdhsa_exception_fp_ieee_overflow 0
		.amdhsa_exception_fp_ieee_underflow 0
		.amdhsa_exception_fp_ieee_inexact 0
		.amdhsa_exception_int_div_zero 0
	.end_amdhsa_kernel
	.section	.text._ZN7rocprim17ROCPRIM_400000_NS6detail17trampoline_kernelINS0_13select_configILj256ELj13ELNS0_17block_load_methodE3ELS4_3ELS4_3ELNS0_20block_scan_algorithmE0ELj4294967295EEENS1_25partition_config_selectorILNS1_17partition_subalgoE3EjNS0_10empty_typeEbEEZZNS1_14partition_implILS8_3ELb0ES6_jNS0_17counting_iteratorIjlEEPS9_SE_NS0_5tupleIJPjSE_EEENSF_IJSE_SE_EEES9_SG_JZNS1_25segmented_radix_sort_implINS0_14default_configELb0EPKsPsPKlPlN2at6native12_GLOBAL__N_18offset_tEEE10hipError_tPvRmT1_PNSt15iterator_traitsISY_E10value_typeET2_T3_PNSZ_IS14_E10value_typeET4_jRbjT5_S1A_jjP12ihipStream_tbEUljE_EEESV_SW_SX_S14_S18_S1A_T6_T7_T9_mT8_S1C_bDpT10_ENKUlT_T0_E_clISt17integral_constantIbLb1EES1P_EEDaS1K_S1L_EUlS1K_E_NS1_11comp_targetILNS1_3genE4ELNS1_11target_archE910ELNS1_3gpuE8ELNS1_3repE0EEENS1_30default_config_static_selectorELNS0_4arch9wavefront6targetE0EEEvSY_,"axG",@progbits,_ZN7rocprim17ROCPRIM_400000_NS6detail17trampoline_kernelINS0_13select_configILj256ELj13ELNS0_17block_load_methodE3ELS4_3ELS4_3ELNS0_20block_scan_algorithmE0ELj4294967295EEENS1_25partition_config_selectorILNS1_17partition_subalgoE3EjNS0_10empty_typeEbEEZZNS1_14partition_implILS8_3ELb0ES6_jNS0_17counting_iteratorIjlEEPS9_SE_NS0_5tupleIJPjSE_EEENSF_IJSE_SE_EEES9_SG_JZNS1_25segmented_radix_sort_implINS0_14default_configELb0EPKsPsPKlPlN2at6native12_GLOBAL__N_18offset_tEEE10hipError_tPvRmT1_PNSt15iterator_traitsISY_E10value_typeET2_T3_PNSZ_IS14_E10value_typeET4_jRbjT5_S1A_jjP12ihipStream_tbEUljE_EEESV_SW_SX_S14_S18_S1A_T6_T7_T9_mT8_S1C_bDpT10_ENKUlT_T0_E_clISt17integral_constantIbLb1EES1P_EEDaS1K_S1L_EUlS1K_E_NS1_11comp_targetILNS1_3genE4ELNS1_11target_archE910ELNS1_3gpuE8ELNS1_3repE0EEENS1_30default_config_static_selectorELNS0_4arch9wavefront6targetE0EEEvSY_,comdat
.Lfunc_end987:
	.size	_ZN7rocprim17ROCPRIM_400000_NS6detail17trampoline_kernelINS0_13select_configILj256ELj13ELNS0_17block_load_methodE3ELS4_3ELS4_3ELNS0_20block_scan_algorithmE0ELj4294967295EEENS1_25partition_config_selectorILNS1_17partition_subalgoE3EjNS0_10empty_typeEbEEZZNS1_14partition_implILS8_3ELb0ES6_jNS0_17counting_iteratorIjlEEPS9_SE_NS0_5tupleIJPjSE_EEENSF_IJSE_SE_EEES9_SG_JZNS1_25segmented_radix_sort_implINS0_14default_configELb0EPKsPsPKlPlN2at6native12_GLOBAL__N_18offset_tEEE10hipError_tPvRmT1_PNSt15iterator_traitsISY_E10value_typeET2_T3_PNSZ_IS14_E10value_typeET4_jRbjT5_S1A_jjP12ihipStream_tbEUljE_EEESV_SW_SX_S14_S18_S1A_T6_T7_T9_mT8_S1C_bDpT10_ENKUlT_T0_E_clISt17integral_constantIbLb1EES1P_EEDaS1K_S1L_EUlS1K_E_NS1_11comp_targetILNS1_3genE4ELNS1_11target_archE910ELNS1_3gpuE8ELNS1_3repE0EEENS1_30default_config_static_selectorELNS0_4arch9wavefront6targetE0EEEvSY_, .Lfunc_end987-_ZN7rocprim17ROCPRIM_400000_NS6detail17trampoline_kernelINS0_13select_configILj256ELj13ELNS0_17block_load_methodE3ELS4_3ELS4_3ELNS0_20block_scan_algorithmE0ELj4294967295EEENS1_25partition_config_selectorILNS1_17partition_subalgoE3EjNS0_10empty_typeEbEEZZNS1_14partition_implILS8_3ELb0ES6_jNS0_17counting_iteratorIjlEEPS9_SE_NS0_5tupleIJPjSE_EEENSF_IJSE_SE_EEES9_SG_JZNS1_25segmented_radix_sort_implINS0_14default_configELb0EPKsPsPKlPlN2at6native12_GLOBAL__N_18offset_tEEE10hipError_tPvRmT1_PNSt15iterator_traitsISY_E10value_typeET2_T3_PNSZ_IS14_E10value_typeET4_jRbjT5_S1A_jjP12ihipStream_tbEUljE_EEESV_SW_SX_S14_S18_S1A_T6_T7_T9_mT8_S1C_bDpT10_ENKUlT_T0_E_clISt17integral_constantIbLb1EES1P_EEDaS1K_S1L_EUlS1K_E_NS1_11comp_targetILNS1_3genE4ELNS1_11target_archE910ELNS1_3gpuE8ELNS1_3repE0EEENS1_30default_config_static_selectorELNS0_4arch9wavefront6targetE0EEEvSY_
                                        ; -- End function
	.set _ZN7rocprim17ROCPRIM_400000_NS6detail17trampoline_kernelINS0_13select_configILj256ELj13ELNS0_17block_load_methodE3ELS4_3ELS4_3ELNS0_20block_scan_algorithmE0ELj4294967295EEENS1_25partition_config_selectorILNS1_17partition_subalgoE3EjNS0_10empty_typeEbEEZZNS1_14partition_implILS8_3ELb0ES6_jNS0_17counting_iteratorIjlEEPS9_SE_NS0_5tupleIJPjSE_EEENSF_IJSE_SE_EEES9_SG_JZNS1_25segmented_radix_sort_implINS0_14default_configELb0EPKsPsPKlPlN2at6native12_GLOBAL__N_18offset_tEEE10hipError_tPvRmT1_PNSt15iterator_traitsISY_E10value_typeET2_T3_PNSZ_IS14_E10value_typeET4_jRbjT5_S1A_jjP12ihipStream_tbEUljE_EEESV_SW_SX_S14_S18_S1A_T6_T7_T9_mT8_S1C_bDpT10_ENKUlT_T0_E_clISt17integral_constantIbLb1EES1P_EEDaS1K_S1L_EUlS1K_E_NS1_11comp_targetILNS1_3genE4ELNS1_11target_archE910ELNS1_3gpuE8ELNS1_3repE0EEENS1_30default_config_static_selectorELNS0_4arch9wavefront6targetE0EEEvSY_.num_vgpr, 0
	.set _ZN7rocprim17ROCPRIM_400000_NS6detail17trampoline_kernelINS0_13select_configILj256ELj13ELNS0_17block_load_methodE3ELS4_3ELS4_3ELNS0_20block_scan_algorithmE0ELj4294967295EEENS1_25partition_config_selectorILNS1_17partition_subalgoE3EjNS0_10empty_typeEbEEZZNS1_14partition_implILS8_3ELb0ES6_jNS0_17counting_iteratorIjlEEPS9_SE_NS0_5tupleIJPjSE_EEENSF_IJSE_SE_EEES9_SG_JZNS1_25segmented_radix_sort_implINS0_14default_configELb0EPKsPsPKlPlN2at6native12_GLOBAL__N_18offset_tEEE10hipError_tPvRmT1_PNSt15iterator_traitsISY_E10value_typeET2_T3_PNSZ_IS14_E10value_typeET4_jRbjT5_S1A_jjP12ihipStream_tbEUljE_EEESV_SW_SX_S14_S18_S1A_T6_T7_T9_mT8_S1C_bDpT10_ENKUlT_T0_E_clISt17integral_constantIbLb1EES1P_EEDaS1K_S1L_EUlS1K_E_NS1_11comp_targetILNS1_3genE4ELNS1_11target_archE910ELNS1_3gpuE8ELNS1_3repE0EEENS1_30default_config_static_selectorELNS0_4arch9wavefront6targetE0EEEvSY_.num_agpr, 0
	.set _ZN7rocprim17ROCPRIM_400000_NS6detail17trampoline_kernelINS0_13select_configILj256ELj13ELNS0_17block_load_methodE3ELS4_3ELS4_3ELNS0_20block_scan_algorithmE0ELj4294967295EEENS1_25partition_config_selectorILNS1_17partition_subalgoE3EjNS0_10empty_typeEbEEZZNS1_14partition_implILS8_3ELb0ES6_jNS0_17counting_iteratorIjlEEPS9_SE_NS0_5tupleIJPjSE_EEENSF_IJSE_SE_EEES9_SG_JZNS1_25segmented_radix_sort_implINS0_14default_configELb0EPKsPsPKlPlN2at6native12_GLOBAL__N_18offset_tEEE10hipError_tPvRmT1_PNSt15iterator_traitsISY_E10value_typeET2_T3_PNSZ_IS14_E10value_typeET4_jRbjT5_S1A_jjP12ihipStream_tbEUljE_EEESV_SW_SX_S14_S18_S1A_T6_T7_T9_mT8_S1C_bDpT10_ENKUlT_T0_E_clISt17integral_constantIbLb1EES1P_EEDaS1K_S1L_EUlS1K_E_NS1_11comp_targetILNS1_3genE4ELNS1_11target_archE910ELNS1_3gpuE8ELNS1_3repE0EEENS1_30default_config_static_selectorELNS0_4arch9wavefront6targetE0EEEvSY_.numbered_sgpr, 0
	.set _ZN7rocprim17ROCPRIM_400000_NS6detail17trampoline_kernelINS0_13select_configILj256ELj13ELNS0_17block_load_methodE3ELS4_3ELS4_3ELNS0_20block_scan_algorithmE0ELj4294967295EEENS1_25partition_config_selectorILNS1_17partition_subalgoE3EjNS0_10empty_typeEbEEZZNS1_14partition_implILS8_3ELb0ES6_jNS0_17counting_iteratorIjlEEPS9_SE_NS0_5tupleIJPjSE_EEENSF_IJSE_SE_EEES9_SG_JZNS1_25segmented_radix_sort_implINS0_14default_configELb0EPKsPsPKlPlN2at6native12_GLOBAL__N_18offset_tEEE10hipError_tPvRmT1_PNSt15iterator_traitsISY_E10value_typeET2_T3_PNSZ_IS14_E10value_typeET4_jRbjT5_S1A_jjP12ihipStream_tbEUljE_EEESV_SW_SX_S14_S18_S1A_T6_T7_T9_mT8_S1C_bDpT10_ENKUlT_T0_E_clISt17integral_constantIbLb1EES1P_EEDaS1K_S1L_EUlS1K_E_NS1_11comp_targetILNS1_3genE4ELNS1_11target_archE910ELNS1_3gpuE8ELNS1_3repE0EEENS1_30default_config_static_selectorELNS0_4arch9wavefront6targetE0EEEvSY_.num_named_barrier, 0
	.set _ZN7rocprim17ROCPRIM_400000_NS6detail17trampoline_kernelINS0_13select_configILj256ELj13ELNS0_17block_load_methodE3ELS4_3ELS4_3ELNS0_20block_scan_algorithmE0ELj4294967295EEENS1_25partition_config_selectorILNS1_17partition_subalgoE3EjNS0_10empty_typeEbEEZZNS1_14partition_implILS8_3ELb0ES6_jNS0_17counting_iteratorIjlEEPS9_SE_NS0_5tupleIJPjSE_EEENSF_IJSE_SE_EEES9_SG_JZNS1_25segmented_radix_sort_implINS0_14default_configELb0EPKsPsPKlPlN2at6native12_GLOBAL__N_18offset_tEEE10hipError_tPvRmT1_PNSt15iterator_traitsISY_E10value_typeET2_T3_PNSZ_IS14_E10value_typeET4_jRbjT5_S1A_jjP12ihipStream_tbEUljE_EEESV_SW_SX_S14_S18_S1A_T6_T7_T9_mT8_S1C_bDpT10_ENKUlT_T0_E_clISt17integral_constantIbLb1EES1P_EEDaS1K_S1L_EUlS1K_E_NS1_11comp_targetILNS1_3genE4ELNS1_11target_archE910ELNS1_3gpuE8ELNS1_3repE0EEENS1_30default_config_static_selectorELNS0_4arch9wavefront6targetE0EEEvSY_.private_seg_size, 0
	.set _ZN7rocprim17ROCPRIM_400000_NS6detail17trampoline_kernelINS0_13select_configILj256ELj13ELNS0_17block_load_methodE3ELS4_3ELS4_3ELNS0_20block_scan_algorithmE0ELj4294967295EEENS1_25partition_config_selectorILNS1_17partition_subalgoE3EjNS0_10empty_typeEbEEZZNS1_14partition_implILS8_3ELb0ES6_jNS0_17counting_iteratorIjlEEPS9_SE_NS0_5tupleIJPjSE_EEENSF_IJSE_SE_EEES9_SG_JZNS1_25segmented_radix_sort_implINS0_14default_configELb0EPKsPsPKlPlN2at6native12_GLOBAL__N_18offset_tEEE10hipError_tPvRmT1_PNSt15iterator_traitsISY_E10value_typeET2_T3_PNSZ_IS14_E10value_typeET4_jRbjT5_S1A_jjP12ihipStream_tbEUljE_EEESV_SW_SX_S14_S18_S1A_T6_T7_T9_mT8_S1C_bDpT10_ENKUlT_T0_E_clISt17integral_constantIbLb1EES1P_EEDaS1K_S1L_EUlS1K_E_NS1_11comp_targetILNS1_3genE4ELNS1_11target_archE910ELNS1_3gpuE8ELNS1_3repE0EEENS1_30default_config_static_selectorELNS0_4arch9wavefront6targetE0EEEvSY_.uses_vcc, 0
	.set _ZN7rocprim17ROCPRIM_400000_NS6detail17trampoline_kernelINS0_13select_configILj256ELj13ELNS0_17block_load_methodE3ELS4_3ELS4_3ELNS0_20block_scan_algorithmE0ELj4294967295EEENS1_25partition_config_selectorILNS1_17partition_subalgoE3EjNS0_10empty_typeEbEEZZNS1_14partition_implILS8_3ELb0ES6_jNS0_17counting_iteratorIjlEEPS9_SE_NS0_5tupleIJPjSE_EEENSF_IJSE_SE_EEES9_SG_JZNS1_25segmented_radix_sort_implINS0_14default_configELb0EPKsPsPKlPlN2at6native12_GLOBAL__N_18offset_tEEE10hipError_tPvRmT1_PNSt15iterator_traitsISY_E10value_typeET2_T3_PNSZ_IS14_E10value_typeET4_jRbjT5_S1A_jjP12ihipStream_tbEUljE_EEESV_SW_SX_S14_S18_S1A_T6_T7_T9_mT8_S1C_bDpT10_ENKUlT_T0_E_clISt17integral_constantIbLb1EES1P_EEDaS1K_S1L_EUlS1K_E_NS1_11comp_targetILNS1_3genE4ELNS1_11target_archE910ELNS1_3gpuE8ELNS1_3repE0EEENS1_30default_config_static_selectorELNS0_4arch9wavefront6targetE0EEEvSY_.uses_flat_scratch, 0
	.set _ZN7rocprim17ROCPRIM_400000_NS6detail17trampoline_kernelINS0_13select_configILj256ELj13ELNS0_17block_load_methodE3ELS4_3ELS4_3ELNS0_20block_scan_algorithmE0ELj4294967295EEENS1_25partition_config_selectorILNS1_17partition_subalgoE3EjNS0_10empty_typeEbEEZZNS1_14partition_implILS8_3ELb0ES6_jNS0_17counting_iteratorIjlEEPS9_SE_NS0_5tupleIJPjSE_EEENSF_IJSE_SE_EEES9_SG_JZNS1_25segmented_radix_sort_implINS0_14default_configELb0EPKsPsPKlPlN2at6native12_GLOBAL__N_18offset_tEEE10hipError_tPvRmT1_PNSt15iterator_traitsISY_E10value_typeET2_T3_PNSZ_IS14_E10value_typeET4_jRbjT5_S1A_jjP12ihipStream_tbEUljE_EEESV_SW_SX_S14_S18_S1A_T6_T7_T9_mT8_S1C_bDpT10_ENKUlT_T0_E_clISt17integral_constantIbLb1EES1P_EEDaS1K_S1L_EUlS1K_E_NS1_11comp_targetILNS1_3genE4ELNS1_11target_archE910ELNS1_3gpuE8ELNS1_3repE0EEENS1_30default_config_static_selectorELNS0_4arch9wavefront6targetE0EEEvSY_.has_dyn_sized_stack, 0
	.set _ZN7rocprim17ROCPRIM_400000_NS6detail17trampoline_kernelINS0_13select_configILj256ELj13ELNS0_17block_load_methodE3ELS4_3ELS4_3ELNS0_20block_scan_algorithmE0ELj4294967295EEENS1_25partition_config_selectorILNS1_17partition_subalgoE3EjNS0_10empty_typeEbEEZZNS1_14partition_implILS8_3ELb0ES6_jNS0_17counting_iteratorIjlEEPS9_SE_NS0_5tupleIJPjSE_EEENSF_IJSE_SE_EEES9_SG_JZNS1_25segmented_radix_sort_implINS0_14default_configELb0EPKsPsPKlPlN2at6native12_GLOBAL__N_18offset_tEEE10hipError_tPvRmT1_PNSt15iterator_traitsISY_E10value_typeET2_T3_PNSZ_IS14_E10value_typeET4_jRbjT5_S1A_jjP12ihipStream_tbEUljE_EEESV_SW_SX_S14_S18_S1A_T6_T7_T9_mT8_S1C_bDpT10_ENKUlT_T0_E_clISt17integral_constantIbLb1EES1P_EEDaS1K_S1L_EUlS1K_E_NS1_11comp_targetILNS1_3genE4ELNS1_11target_archE910ELNS1_3gpuE8ELNS1_3repE0EEENS1_30default_config_static_selectorELNS0_4arch9wavefront6targetE0EEEvSY_.has_recursion, 0
	.set _ZN7rocprim17ROCPRIM_400000_NS6detail17trampoline_kernelINS0_13select_configILj256ELj13ELNS0_17block_load_methodE3ELS4_3ELS4_3ELNS0_20block_scan_algorithmE0ELj4294967295EEENS1_25partition_config_selectorILNS1_17partition_subalgoE3EjNS0_10empty_typeEbEEZZNS1_14partition_implILS8_3ELb0ES6_jNS0_17counting_iteratorIjlEEPS9_SE_NS0_5tupleIJPjSE_EEENSF_IJSE_SE_EEES9_SG_JZNS1_25segmented_radix_sort_implINS0_14default_configELb0EPKsPsPKlPlN2at6native12_GLOBAL__N_18offset_tEEE10hipError_tPvRmT1_PNSt15iterator_traitsISY_E10value_typeET2_T3_PNSZ_IS14_E10value_typeET4_jRbjT5_S1A_jjP12ihipStream_tbEUljE_EEESV_SW_SX_S14_S18_S1A_T6_T7_T9_mT8_S1C_bDpT10_ENKUlT_T0_E_clISt17integral_constantIbLb1EES1P_EEDaS1K_S1L_EUlS1K_E_NS1_11comp_targetILNS1_3genE4ELNS1_11target_archE910ELNS1_3gpuE8ELNS1_3repE0EEENS1_30default_config_static_selectorELNS0_4arch9wavefront6targetE0EEEvSY_.has_indirect_call, 0
	.section	.AMDGPU.csdata,"",@progbits
; Kernel info:
; codeLenInByte = 0
; TotalNumSgprs: 0
; NumVgprs: 0
; ScratchSize: 0
; MemoryBound: 0
; FloatMode: 240
; IeeeMode: 1
; LDSByteSize: 0 bytes/workgroup (compile time only)
; SGPRBlocks: 0
; VGPRBlocks: 0
; NumSGPRsForWavesPerEU: 1
; NumVGPRsForWavesPerEU: 1
; NamedBarCnt: 0
; Occupancy: 16
; WaveLimiterHint : 0
; COMPUTE_PGM_RSRC2:SCRATCH_EN: 0
; COMPUTE_PGM_RSRC2:USER_SGPR: 2
; COMPUTE_PGM_RSRC2:TRAP_HANDLER: 0
; COMPUTE_PGM_RSRC2:TGID_X_EN: 1
; COMPUTE_PGM_RSRC2:TGID_Y_EN: 0
; COMPUTE_PGM_RSRC2:TGID_Z_EN: 0
; COMPUTE_PGM_RSRC2:TIDIG_COMP_CNT: 0
	.section	.text._ZN7rocprim17ROCPRIM_400000_NS6detail17trampoline_kernelINS0_13select_configILj256ELj13ELNS0_17block_load_methodE3ELS4_3ELS4_3ELNS0_20block_scan_algorithmE0ELj4294967295EEENS1_25partition_config_selectorILNS1_17partition_subalgoE3EjNS0_10empty_typeEbEEZZNS1_14partition_implILS8_3ELb0ES6_jNS0_17counting_iteratorIjlEEPS9_SE_NS0_5tupleIJPjSE_EEENSF_IJSE_SE_EEES9_SG_JZNS1_25segmented_radix_sort_implINS0_14default_configELb0EPKsPsPKlPlN2at6native12_GLOBAL__N_18offset_tEEE10hipError_tPvRmT1_PNSt15iterator_traitsISY_E10value_typeET2_T3_PNSZ_IS14_E10value_typeET4_jRbjT5_S1A_jjP12ihipStream_tbEUljE_EEESV_SW_SX_S14_S18_S1A_T6_T7_T9_mT8_S1C_bDpT10_ENKUlT_T0_E_clISt17integral_constantIbLb1EES1P_EEDaS1K_S1L_EUlS1K_E_NS1_11comp_targetILNS1_3genE3ELNS1_11target_archE908ELNS1_3gpuE7ELNS1_3repE0EEENS1_30default_config_static_selectorELNS0_4arch9wavefront6targetE0EEEvSY_,"axG",@progbits,_ZN7rocprim17ROCPRIM_400000_NS6detail17trampoline_kernelINS0_13select_configILj256ELj13ELNS0_17block_load_methodE3ELS4_3ELS4_3ELNS0_20block_scan_algorithmE0ELj4294967295EEENS1_25partition_config_selectorILNS1_17partition_subalgoE3EjNS0_10empty_typeEbEEZZNS1_14partition_implILS8_3ELb0ES6_jNS0_17counting_iteratorIjlEEPS9_SE_NS0_5tupleIJPjSE_EEENSF_IJSE_SE_EEES9_SG_JZNS1_25segmented_radix_sort_implINS0_14default_configELb0EPKsPsPKlPlN2at6native12_GLOBAL__N_18offset_tEEE10hipError_tPvRmT1_PNSt15iterator_traitsISY_E10value_typeET2_T3_PNSZ_IS14_E10value_typeET4_jRbjT5_S1A_jjP12ihipStream_tbEUljE_EEESV_SW_SX_S14_S18_S1A_T6_T7_T9_mT8_S1C_bDpT10_ENKUlT_T0_E_clISt17integral_constantIbLb1EES1P_EEDaS1K_S1L_EUlS1K_E_NS1_11comp_targetILNS1_3genE3ELNS1_11target_archE908ELNS1_3gpuE7ELNS1_3repE0EEENS1_30default_config_static_selectorELNS0_4arch9wavefront6targetE0EEEvSY_,comdat
	.globl	_ZN7rocprim17ROCPRIM_400000_NS6detail17trampoline_kernelINS0_13select_configILj256ELj13ELNS0_17block_load_methodE3ELS4_3ELS4_3ELNS0_20block_scan_algorithmE0ELj4294967295EEENS1_25partition_config_selectorILNS1_17partition_subalgoE3EjNS0_10empty_typeEbEEZZNS1_14partition_implILS8_3ELb0ES6_jNS0_17counting_iteratorIjlEEPS9_SE_NS0_5tupleIJPjSE_EEENSF_IJSE_SE_EEES9_SG_JZNS1_25segmented_radix_sort_implINS0_14default_configELb0EPKsPsPKlPlN2at6native12_GLOBAL__N_18offset_tEEE10hipError_tPvRmT1_PNSt15iterator_traitsISY_E10value_typeET2_T3_PNSZ_IS14_E10value_typeET4_jRbjT5_S1A_jjP12ihipStream_tbEUljE_EEESV_SW_SX_S14_S18_S1A_T6_T7_T9_mT8_S1C_bDpT10_ENKUlT_T0_E_clISt17integral_constantIbLb1EES1P_EEDaS1K_S1L_EUlS1K_E_NS1_11comp_targetILNS1_3genE3ELNS1_11target_archE908ELNS1_3gpuE7ELNS1_3repE0EEENS1_30default_config_static_selectorELNS0_4arch9wavefront6targetE0EEEvSY_ ; -- Begin function _ZN7rocprim17ROCPRIM_400000_NS6detail17trampoline_kernelINS0_13select_configILj256ELj13ELNS0_17block_load_methodE3ELS4_3ELS4_3ELNS0_20block_scan_algorithmE0ELj4294967295EEENS1_25partition_config_selectorILNS1_17partition_subalgoE3EjNS0_10empty_typeEbEEZZNS1_14partition_implILS8_3ELb0ES6_jNS0_17counting_iteratorIjlEEPS9_SE_NS0_5tupleIJPjSE_EEENSF_IJSE_SE_EEES9_SG_JZNS1_25segmented_radix_sort_implINS0_14default_configELb0EPKsPsPKlPlN2at6native12_GLOBAL__N_18offset_tEEE10hipError_tPvRmT1_PNSt15iterator_traitsISY_E10value_typeET2_T3_PNSZ_IS14_E10value_typeET4_jRbjT5_S1A_jjP12ihipStream_tbEUljE_EEESV_SW_SX_S14_S18_S1A_T6_T7_T9_mT8_S1C_bDpT10_ENKUlT_T0_E_clISt17integral_constantIbLb1EES1P_EEDaS1K_S1L_EUlS1K_E_NS1_11comp_targetILNS1_3genE3ELNS1_11target_archE908ELNS1_3gpuE7ELNS1_3repE0EEENS1_30default_config_static_selectorELNS0_4arch9wavefront6targetE0EEEvSY_
	.p2align	8
	.type	_ZN7rocprim17ROCPRIM_400000_NS6detail17trampoline_kernelINS0_13select_configILj256ELj13ELNS0_17block_load_methodE3ELS4_3ELS4_3ELNS0_20block_scan_algorithmE0ELj4294967295EEENS1_25partition_config_selectorILNS1_17partition_subalgoE3EjNS0_10empty_typeEbEEZZNS1_14partition_implILS8_3ELb0ES6_jNS0_17counting_iteratorIjlEEPS9_SE_NS0_5tupleIJPjSE_EEENSF_IJSE_SE_EEES9_SG_JZNS1_25segmented_radix_sort_implINS0_14default_configELb0EPKsPsPKlPlN2at6native12_GLOBAL__N_18offset_tEEE10hipError_tPvRmT1_PNSt15iterator_traitsISY_E10value_typeET2_T3_PNSZ_IS14_E10value_typeET4_jRbjT5_S1A_jjP12ihipStream_tbEUljE_EEESV_SW_SX_S14_S18_S1A_T6_T7_T9_mT8_S1C_bDpT10_ENKUlT_T0_E_clISt17integral_constantIbLb1EES1P_EEDaS1K_S1L_EUlS1K_E_NS1_11comp_targetILNS1_3genE3ELNS1_11target_archE908ELNS1_3gpuE7ELNS1_3repE0EEENS1_30default_config_static_selectorELNS0_4arch9wavefront6targetE0EEEvSY_,@function
_ZN7rocprim17ROCPRIM_400000_NS6detail17trampoline_kernelINS0_13select_configILj256ELj13ELNS0_17block_load_methodE3ELS4_3ELS4_3ELNS0_20block_scan_algorithmE0ELj4294967295EEENS1_25partition_config_selectorILNS1_17partition_subalgoE3EjNS0_10empty_typeEbEEZZNS1_14partition_implILS8_3ELb0ES6_jNS0_17counting_iteratorIjlEEPS9_SE_NS0_5tupleIJPjSE_EEENSF_IJSE_SE_EEES9_SG_JZNS1_25segmented_radix_sort_implINS0_14default_configELb0EPKsPsPKlPlN2at6native12_GLOBAL__N_18offset_tEEE10hipError_tPvRmT1_PNSt15iterator_traitsISY_E10value_typeET2_T3_PNSZ_IS14_E10value_typeET4_jRbjT5_S1A_jjP12ihipStream_tbEUljE_EEESV_SW_SX_S14_S18_S1A_T6_T7_T9_mT8_S1C_bDpT10_ENKUlT_T0_E_clISt17integral_constantIbLb1EES1P_EEDaS1K_S1L_EUlS1K_E_NS1_11comp_targetILNS1_3genE3ELNS1_11target_archE908ELNS1_3gpuE7ELNS1_3repE0EEENS1_30default_config_static_selectorELNS0_4arch9wavefront6targetE0EEEvSY_: ; @_ZN7rocprim17ROCPRIM_400000_NS6detail17trampoline_kernelINS0_13select_configILj256ELj13ELNS0_17block_load_methodE3ELS4_3ELS4_3ELNS0_20block_scan_algorithmE0ELj4294967295EEENS1_25partition_config_selectorILNS1_17partition_subalgoE3EjNS0_10empty_typeEbEEZZNS1_14partition_implILS8_3ELb0ES6_jNS0_17counting_iteratorIjlEEPS9_SE_NS0_5tupleIJPjSE_EEENSF_IJSE_SE_EEES9_SG_JZNS1_25segmented_radix_sort_implINS0_14default_configELb0EPKsPsPKlPlN2at6native12_GLOBAL__N_18offset_tEEE10hipError_tPvRmT1_PNSt15iterator_traitsISY_E10value_typeET2_T3_PNSZ_IS14_E10value_typeET4_jRbjT5_S1A_jjP12ihipStream_tbEUljE_EEESV_SW_SX_S14_S18_S1A_T6_T7_T9_mT8_S1C_bDpT10_ENKUlT_T0_E_clISt17integral_constantIbLb1EES1P_EEDaS1K_S1L_EUlS1K_E_NS1_11comp_targetILNS1_3genE3ELNS1_11target_archE908ELNS1_3gpuE7ELNS1_3repE0EEENS1_30default_config_static_selectorELNS0_4arch9wavefront6targetE0EEEvSY_
; %bb.0:
	.section	.rodata,"a",@progbits
	.p2align	6, 0x0
	.amdhsa_kernel _ZN7rocprim17ROCPRIM_400000_NS6detail17trampoline_kernelINS0_13select_configILj256ELj13ELNS0_17block_load_methodE3ELS4_3ELS4_3ELNS0_20block_scan_algorithmE0ELj4294967295EEENS1_25partition_config_selectorILNS1_17partition_subalgoE3EjNS0_10empty_typeEbEEZZNS1_14partition_implILS8_3ELb0ES6_jNS0_17counting_iteratorIjlEEPS9_SE_NS0_5tupleIJPjSE_EEENSF_IJSE_SE_EEES9_SG_JZNS1_25segmented_radix_sort_implINS0_14default_configELb0EPKsPsPKlPlN2at6native12_GLOBAL__N_18offset_tEEE10hipError_tPvRmT1_PNSt15iterator_traitsISY_E10value_typeET2_T3_PNSZ_IS14_E10value_typeET4_jRbjT5_S1A_jjP12ihipStream_tbEUljE_EEESV_SW_SX_S14_S18_S1A_T6_T7_T9_mT8_S1C_bDpT10_ENKUlT_T0_E_clISt17integral_constantIbLb1EES1P_EEDaS1K_S1L_EUlS1K_E_NS1_11comp_targetILNS1_3genE3ELNS1_11target_archE908ELNS1_3gpuE7ELNS1_3repE0EEENS1_30default_config_static_selectorELNS0_4arch9wavefront6targetE0EEEvSY_
		.amdhsa_group_segment_fixed_size 0
		.amdhsa_private_segment_fixed_size 0
		.amdhsa_kernarg_size 152
		.amdhsa_user_sgpr_count 2
		.amdhsa_user_sgpr_dispatch_ptr 0
		.amdhsa_user_sgpr_queue_ptr 0
		.amdhsa_user_sgpr_kernarg_segment_ptr 1
		.amdhsa_user_sgpr_dispatch_id 0
		.amdhsa_user_sgpr_kernarg_preload_length 0
		.amdhsa_user_sgpr_kernarg_preload_offset 0
		.amdhsa_user_sgpr_private_segment_size 0
		.amdhsa_wavefront_size32 1
		.amdhsa_uses_dynamic_stack 0
		.amdhsa_enable_private_segment 0
		.amdhsa_system_sgpr_workgroup_id_x 1
		.amdhsa_system_sgpr_workgroup_id_y 0
		.amdhsa_system_sgpr_workgroup_id_z 0
		.amdhsa_system_sgpr_workgroup_info 0
		.amdhsa_system_vgpr_workitem_id 0
		.amdhsa_next_free_vgpr 1
		.amdhsa_next_free_sgpr 1
		.amdhsa_named_barrier_count 0
		.amdhsa_reserve_vcc 0
		.amdhsa_float_round_mode_32 0
		.amdhsa_float_round_mode_16_64 0
		.amdhsa_float_denorm_mode_32 3
		.amdhsa_float_denorm_mode_16_64 3
		.amdhsa_fp16_overflow 0
		.amdhsa_memory_ordered 1
		.amdhsa_forward_progress 1
		.amdhsa_inst_pref_size 0
		.amdhsa_round_robin_scheduling 0
		.amdhsa_exception_fp_ieee_invalid_op 0
		.amdhsa_exception_fp_denorm_src 0
		.amdhsa_exception_fp_ieee_div_zero 0
		.amdhsa_exception_fp_ieee_overflow 0
		.amdhsa_exception_fp_ieee_underflow 0
		.amdhsa_exception_fp_ieee_inexact 0
		.amdhsa_exception_int_div_zero 0
	.end_amdhsa_kernel
	.section	.text._ZN7rocprim17ROCPRIM_400000_NS6detail17trampoline_kernelINS0_13select_configILj256ELj13ELNS0_17block_load_methodE3ELS4_3ELS4_3ELNS0_20block_scan_algorithmE0ELj4294967295EEENS1_25partition_config_selectorILNS1_17partition_subalgoE3EjNS0_10empty_typeEbEEZZNS1_14partition_implILS8_3ELb0ES6_jNS0_17counting_iteratorIjlEEPS9_SE_NS0_5tupleIJPjSE_EEENSF_IJSE_SE_EEES9_SG_JZNS1_25segmented_radix_sort_implINS0_14default_configELb0EPKsPsPKlPlN2at6native12_GLOBAL__N_18offset_tEEE10hipError_tPvRmT1_PNSt15iterator_traitsISY_E10value_typeET2_T3_PNSZ_IS14_E10value_typeET4_jRbjT5_S1A_jjP12ihipStream_tbEUljE_EEESV_SW_SX_S14_S18_S1A_T6_T7_T9_mT8_S1C_bDpT10_ENKUlT_T0_E_clISt17integral_constantIbLb1EES1P_EEDaS1K_S1L_EUlS1K_E_NS1_11comp_targetILNS1_3genE3ELNS1_11target_archE908ELNS1_3gpuE7ELNS1_3repE0EEENS1_30default_config_static_selectorELNS0_4arch9wavefront6targetE0EEEvSY_,"axG",@progbits,_ZN7rocprim17ROCPRIM_400000_NS6detail17trampoline_kernelINS0_13select_configILj256ELj13ELNS0_17block_load_methodE3ELS4_3ELS4_3ELNS0_20block_scan_algorithmE0ELj4294967295EEENS1_25partition_config_selectorILNS1_17partition_subalgoE3EjNS0_10empty_typeEbEEZZNS1_14partition_implILS8_3ELb0ES6_jNS0_17counting_iteratorIjlEEPS9_SE_NS0_5tupleIJPjSE_EEENSF_IJSE_SE_EEES9_SG_JZNS1_25segmented_radix_sort_implINS0_14default_configELb0EPKsPsPKlPlN2at6native12_GLOBAL__N_18offset_tEEE10hipError_tPvRmT1_PNSt15iterator_traitsISY_E10value_typeET2_T3_PNSZ_IS14_E10value_typeET4_jRbjT5_S1A_jjP12ihipStream_tbEUljE_EEESV_SW_SX_S14_S18_S1A_T6_T7_T9_mT8_S1C_bDpT10_ENKUlT_T0_E_clISt17integral_constantIbLb1EES1P_EEDaS1K_S1L_EUlS1K_E_NS1_11comp_targetILNS1_3genE3ELNS1_11target_archE908ELNS1_3gpuE7ELNS1_3repE0EEENS1_30default_config_static_selectorELNS0_4arch9wavefront6targetE0EEEvSY_,comdat
.Lfunc_end988:
	.size	_ZN7rocprim17ROCPRIM_400000_NS6detail17trampoline_kernelINS0_13select_configILj256ELj13ELNS0_17block_load_methodE3ELS4_3ELS4_3ELNS0_20block_scan_algorithmE0ELj4294967295EEENS1_25partition_config_selectorILNS1_17partition_subalgoE3EjNS0_10empty_typeEbEEZZNS1_14partition_implILS8_3ELb0ES6_jNS0_17counting_iteratorIjlEEPS9_SE_NS0_5tupleIJPjSE_EEENSF_IJSE_SE_EEES9_SG_JZNS1_25segmented_radix_sort_implINS0_14default_configELb0EPKsPsPKlPlN2at6native12_GLOBAL__N_18offset_tEEE10hipError_tPvRmT1_PNSt15iterator_traitsISY_E10value_typeET2_T3_PNSZ_IS14_E10value_typeET4_jRbjT5_S1A_jjP12ihipStream_tbEUljE_EEESV_SW_SX_S14_S18_S1A_T6_T7_T9_mT8_S1C_bDpT10_ENKUlT_T0_E_clISt17integral_constantIbLb1EES1P_EEDaS1K_S1L_EUlS1K_E_NS1_11comp_targetILNS1_3genE3ELNS1_11target_archE908ELNS1_3gpuE7ELNS1_3repE0EEENS1_30default_config_static_selectorELNS0_4arch9wavefront6targetE0EEEvSY_, .Lfunc_end988-_ZN7rocprim17ROCPRIM_400000_NS6detail17trampoline_kernelINS0_13select_configILj256ELj13ELNS0_17block_load_methodE3ELS4_3ELS4_3ELNS0_20block_scan_algorithmE0ELj4294967295EEENS1_25partition_config_selectorILNS1_17partition_subalgoE3EjNS0_10empty_typeEbEEZZNS1_14partition_implILS8_3ELb0ES6_jNS0_17counting_iteratorIjlEEPS9_SE_NS0_5tupleIJPjSE_EEENSF_IJSE_SE_EEES9_SG_JZNS1_25segmented_radix_sort_implINS0_14default_configELb0EPKsPsPKlPlN2at6native12_GLOBAL__N_18offset_tEEE10hipError_tPvRmT1_PNSt15iterator_traitsISY_E10value_typeET2_T3_PNSZ_IS14_E10value_typeET4_jRbjT5_S1A_jjP12ihipStream_tbEUljE_EEESV_SW_SX_S14_S18_S1A_T6_T7_T9_mT8_S1C_bDpT10_ENKUlT_T0_E_clISt17integral_constantIbLb1EES1P_EEDaS1K_S1L_EUlS1K_E_NS1_11comp_targetILNS1_3genE3ELNS1_11target_archE908ELNS1_3gpuE7ELNS1_3repE0EEENS1_30default_config_static_selectorELNS0_4arch9wavefront6targetE0EEEvSY_
                                        ; -- End function
	.set _ZN7rocprim17ROCPRIM_400000_NS6detail17trampoline_kernelINS0_13select_configILj256ELj13ELNS0_17block_load_methodE3ELS4_3ELS4_3ELNS0_20block_scan_algorithmE0ELj4294967295EEENS1_25partition_config_selectorILNS1_17partition_subalgoE3EjNS0_10empty_typeEbEEZZNS1_14partition_implILS8_3ELb0ES6_jNS0_17counting_iteratorIjlEEPS9_SE_NS0_5tupleIJPjSE_EEENSF_IJSE_SE_EEES9_SG_JZNS1_25segmented_radix_sort_implINS0_14default_configELb0EPKsPsPKlPlN2at6native12_GLOBAL__N_18offset_tEEE10hipError_tPvRmT1_PNSt15iterator_traitsISY_E10value_typeET2_T3_PNSZ_IS14_E10value_typeET4_jRbjT5_S1A_jjP12ihipStream_tbEUljE_EEESV_SW_SX_S14_S18_S1A_T6_T7_T9_mT8_S1C_bDpT10_ENKUlT_T0_E_clISt17integral_constantIbLb1EES1P_EEDaS1K_S1L_EUlS1K_E_NS1_11comp_targetILNS1_3genE3ELNS1_11target_archE908ELNS1_3gpuE7ELNS1_3repE0EEENS1_30default_config_static_selectorELNS0_4arch9wavefront6targetE0EEEvSY_.num_vgpr, 0
	.set _ZN7rocprim17ROCPRIM_400000_NS6detail17trampoline_kernelINS0_13select_configILj256ELj13ELNS0_17block_load_methodE3ELS4_3ELS4_3ELNS0_20block_scan_algorithmE0ELj4294967295EEENS1_25partition_config_selectorILNS1_17partition_subalgoE3EjNS0_10empty_typeEbEEZZNS1_14partition_implILS8_3ELb0ES6_jNS0_17counting_iteratorIjlEEPS9_SE_NS0_5tupleIJPjSE_EEENSF_IJSE_SE_EEES9_SG_JZNS1_25segmented_radix_sort_implINS0_14default_configELb0EPKsPsPKlPlN2at6native12_GLOBAL__N_18offset_tEEE10hipError_tPvRmT1_PNSt15iterator_traitsISY_E10value_typeET2_T3_PNSZ_IS14_E10value_typeET4_jRbjT5_S1A_jjP12ihipStream_tbEUljE_EEESV_SW_SX_S14_S18_S1A_T6_T7_T9_mT8_S1C_bDpT10_ENKUlT_T0_E_clISt17integral_constantIbLb1EES1P_EEDaS1K_S1L_EUlS1K_E_NS1_11comp_targetILNS1_3genE3ELNS1_11target_archE908ELNS1_3gpuE7ELNS1_3repE0EEENS1_30default_config_static_selectorELNS0_4arch9wavefront6targetE0EEEvSY_.num_agpr, 0
	.set _ZN7rocprim17ROCPRIM_400000_NS6detail17trampoline_kernelINS0_13select_configILj256ELj13ELNS0_17block_load_methodE3ELS4_3ELS4_3ELNS0_20block_scan_algorithmE0ELj4294967295EEENS1_25partition_config_selectorILNS1_17partition_subalgoE3EjNS0_10empty_typeEbEEZZNS1_14partition_implILS8_3ELb0ES6_jNS0_17counting_iteratorIjlEEPS9_SE_NS0_5tupleIJPjSE_EEENSF_IJSE_SE_EEES9_SG_JZNS1_25segmented_radix_sort_implINS0_14default_configELb0EPKsPsPKlPlN2at6native12_GLOBAL__N_18offset_tEEE10hipError_tPvRmT1_PNSt15iterator_traitsISY_E10value_typeET2_T3_PNSZ_IS14_E10value_typeET4_jRbjT5_S1A_jjP12ihipStream_tbEUljE_EEESV_SW_SX_S14_S18_S1A_T6_T7_T9_mT8_S1C_bDpT10_ENKUlT_T0_E_clISt17integral_constantIbLb1EES1P_EEDaS1K_S1L_EUlS1K_E_NS1_11comp_targetILNS1_3genE3ELNS1_11target_archE908ELNS1_3gpuE7ELNS1_3repE0EEENS1_30default_config_static_selectorELNS0_4arch9wavefront6targetE0EEEvSY_.numbered_sgpr, 0
	.set _ZN7rocprim17ROCPRIM_400000_NS6detail17trampoline_kernelINS0_13select_configILj256ELj13ELNS0_17block_load_methodE3ELS4_3ELS4_3ELNS0_20block_scan_algorithmE0ELj4294967295EEENS1_25partition_config_selectorILNS1_17partition_subalgoE3EjNS0_10empty_typeEbEEZZNS1_14partition_implILS8_3ELb0ES6_jNS0_17counting_iteratorIjlEEPS9_SE_NS0_5tupleIJPjSE_EEENSF_IJSE_SE_EEES9_SG_JZNS1_25segmented_radix_sort_implINS0_14default_configELb0EPKsPsPKlPlN2at6native12_GLOBAL__N_18offset_tEEE10hipError_tPvRmT1_PNSt15iterator_traitsISY_E10value_typeET2_T3_PNSZ_IS14_E10value_typeET4_jRbjT5_S1A_jjP12ihipStream_tbEUljE_EEESV_SW_SX_S14_S18_S1A_T6_T7_T9_mT8_S1C_bDpT10_ENKUlT_T0_E_clISt17integral_constantIbLb1EES1P_EEDaS1K_S1L_EUlS1K_E_NS1_11comp_targetILNS1_3genE3ELNS1_11target_archE908ELNS1_3gpuE7ELNS1_3repE0EEENS1_30default_config_static_selectorELNS0_4arch9wavefront6targetE0EEEvSY_.num_named_barrier, 0
	.set _ZN7rocprim17ROCPRIM_400000_NS6detail17trampoline_kernelINS0_13select_configILj256ELj13ELNS0_17block_load_methodE3ELS4_3ELS4_3ELNS0_20block_scan_algorithmE0ELj4294967295EEENS1_25partition_config_selectorILNS1_17partition_subalgoE3EjNS0_10empty_typeEbEEZZNS1_14partition_implILS8_3ELb0ES6_jNS0_17counting_iteratorIjlEEPS9_SE_NS0_5tupleIJPjSE_EEENSF_IJSE_SE_EEES9_SG_JZNS1_25segmented_radix_sort_implINS0_14default_configELb0EPKsPsPKlPlN2at6native12_GLOBAL__N_18offset_tEEE10hipError_tPvRmT1_PNSt15iterator_traitsISY_E10value_typeET2_T3_PNSZ_IS14_E10value_typeET4_jRbjT5_S1A_jjP12ihipStream_tbEUljE_EEESV_SW_SX_S14_S18_S1A_T6_T7_T9_mT8_S1C_bDpT10_ENKUlT_T0_E_clISt17integral_constantIbLb1EES1P_EEDaS1K_S1L_EUlS1K_E_NS1_11comp_targetILNS1_3genE3ELNS1_11target_archE908ELNS1_3gpuE7ELNS1_3repE0EEENS1_30default_config_static_selectorELNS0_4arch9wavefront6targetE0EEEvSY_.private_seg_size, 0
	.set _ZN7rocprim17ROCPRIM_400000_NS6detail17trampoline_kernelINS0_13select_configILj256ELj13ELNS0_17block_load_methodE3ELS4_3ELS4_3ELNS0_20block_scan_algorithmE0ELj4294967295EEENS1_25partition_config_selectorILNS1_17partition_subalgoE3EjNS0_10empty_typeEbEEZZNS1_14partition_implILS8_3ELb0ES6_jNS0_17counting_iteratorIjlEEPS9_SE_NS0_5tupleIJPjSE_EEENSF_IJSE_SE_EEES9_SG_JZNS1_25segmented_radix_sort_implINS0_14default_configELb0EPKsPsPKlPlN2at6native12_GLOBAL__N_18offset_tEEE10hipError_tPvRmT1_PNSt15iterator_traitsISY_E10value_typeET2_T3_PNSZ_IS14_E10value_typeET4_jRbjT5_S1A_jjP12ihipStream_tbEUljE_EEESV_SW_SX_S14_S18_S1A_T6_T7_T9_mT8_S1C_bDpT10_ENKUlT_T0_E_clISt17integral_constantIbLb1EES1P_EEDaS1K_S1L_EUlS1K_E_NS1_11comp_targetILNS1_3genE3ELNS1_11target_archE908ELNS1_3gpuE7ELNS1_3repE0EEENS1_30default_config_static_selectorELNS0_4arch9wavefront6targetE0EEEvSY_.uses_vcc, 0
	.set _ZN7rocprim17ROCPRIM_400000_NS6detail17trampoline_kernelINS0_13select_configILj256ELj13ELNS0_17block_load_methodE3ELS4_3ELS4_3ELNS0_20block_scan_algorithmE0ELj4294967295EEENS1_25partition_config_selectorILNS1_17partition_subalgoE3EjNS0_10empty_typeEbEEZZNS1_14partition_implILS8_3ELb0ES6_jNS0_17counting_iteratorIjlEEPS9_SE_NS0_5tupleIJPjSE_EEENSF_IJSE_SE_EEES9_SG_JZNS1_25segmented_radix_sort_implINS0_14default_configELb0EPKsPsPKlPlN2at6native12_GLOBAL__N_18offset_tEEE10hipError_tPvRmT1_PNSt15iterator_traitsISY_E10value_typeET2_T3_PNSZ_IS14_E10value_typeET4_jRbjT5_S1A_jjP12ihipStream_tbEUljE_EEESV_SW_SX_S14_S18_S1A_T6_T7_T9_mT8_S1C_bDpT10_ENKUlT_T0_E_clISt17integral_constantIbLb1EES1P_EEDaS1K_S1L_EUlS1K_E_NS1_11comp_targetILNS1_3genE3ELNS1_11target_archE908ELNS1_3gpuE7ELNS1_3repE0EEENS1_30default_config_static_selectorELNS0_4arch9wavefront6targetE0EEEvSY_.uses_flat_scratch, 0
	.set _ZN7rocprim17ROCPRIM_400000_NS6detail17trampoline_kernelINS0_13select_configILj256ELj13ELNS0_17block_load_methodE3ELS4_3ELS4_3ELNS0_20block_scan_algorithmE0ELj4294967295EEENS1_25partition_config_selectorILNS1_17partition_subalgoE3EjNS0_10empty_typeEbEEZZNS1_14partition_implILS8_3ELb0ES6_jNS0_17counting_iteratorIjlEEPS9_SE_NS0_5tupleIJPjSE_EEENSF_IJSE_SE_EEES9_SG_JZNS1_25segmented_radix_sort_implINS0_14default_configELb0EPKsPsPKlPlN2at6native12_GLOBAL__N_18offset_tEEE10hipError_tPvRmT1_PNSt15iterator_traitsISY_E10value_typeET2_T3_PNSZ_IS14_E10value_typeET4_jRbjT5_S1A_jjP12ihipStream_tbEUljE_EEESV_SW_SX_S14_S18_S1A_T6_T7_T9_mT8_S1C_bDpT10_ENKUlT_T0_E_clISt17integral_constantIbLb1EES1P_EEDaS1K_S1L_EUlS1K_E_NS1_11comp_targetILNS1_3genE3ELNS1_11target_archE908ELNS1_3gpuE7ELNS1_3repE0EEENS1_30default_config_static_selectorELNS0_4arch9wavefront6targetE0EEEvSY_.has_dyn_sized_stack, 0
	.set _ZN7rocprim17ROCPRIM_400000_NS6detail17trampoline_kernelINS0_13select_configILj256ELj13ELNS0_17block_load_methodE3ELS4_3ELS4_3ELNS0_20block_scan_algorithmE0ELj4294967295EEENS1_25partition_config_selectorILNS1_17partition_subalgoE3EjNS0_10empty_typeEbEEZZNS1_14partition_implILS8_3ELb0ES6_jNS0_17counting_iteratorIjlEEPS9_SE_NS0_5tupleIJPjSE_EEENSF_IJSE_SE_EEES9_SG_JZNS1_25segmented_radix_sort_implINS0_14default_configELb0EPKsPsPKlPlN2at6native12_GLOBAL__N_18offset_tEEE10hipError_tPvRmT1_PNSt15iterator_traitsISY_E10value_typeET2_T3_PNSZ_IS14_E10value_typeET4_jRbjT5_S1A_jjP12ihipStream_tbEUljE_EEESV_SW_SX_S14_S18_S1A_T6_T7_T9_mT8_S1C_bDpT10_ENKUlT_T0_E_clISt17integral_constantIbLb1EES1P_EEDaS1K_S1L_EUlS1K_E_NS1_11comp_targetILNS1_3genE3ELNS1_11target_archE908ELNS1_3gpuE7ELNS1_3repE0EEENS1_30default_config_static_selectorELNS0_4arch9wavefront6targetE0EEEvSY_.has_recursion, 0
	.set _ZN7rocprim17ROCPRIM_400000_NS6detail17trampoline_kernelINS0_13select_configILj256ELj13ELNS0_17block_load_methodE3ELS4_3ELS4_3ELNS0_20block_scan_algorithmE0ELj4294967295EEENS1_25partition_config_selectorILNS1_17partition_subalgoE3EjNS0_10empty_typeEbEEZZNS1_14partition_implILS8_3ELb0ES6_jNS0_17counting_iteratorIjlEEPS9_SE_NS0_5tupleIJPjSE_EEENSF_IJSE_SE_EEES9_SG_JZNS1_25segmented_radix_sort_implINS0_14default_configELb0EPKsPsPKlPlN2at6native12_GLOBAL__N_18offset_tEEE10hipError_tPvRmT1_PNSt15iterator_traitsISY_E10value_typeET2_T3_PNSZ_IS14_E10value_typeET4_jRbjT5_S1A_jjP12ihipStream_tbEUljE_EEESV_SW_SX_S14_S18_S1A_T6_T7_T9_mT8_S1C_bDpT10_ENKUlT_T0_E_clISt17integral_constantIbLb1EES1P_EEDaS1K_S1L_EUlS1K_E_NS1_11comp_targetILNS1_3genE3ELNS1_11target_archE908ELNS1_3gpuE7ELNS1_3repE0EEENS1_30default_config_static_selectorELNS0_4arch9wavefront6targetE0EEEvSY_.has_indirect_call, 0
	.section	.AMDGPU.csdata,"",@progbits
; Kernel info:
; codeLenInByte = 0
; TotalNumSgprs: 0
; NumVgprs: 0
; ScratchSize: 0
; MemoryBound: 0
; FloatMode: 240
; IeeeMode: 1
; LDSByteSize: 0 bytes/workgroup (compile time only)
; SGPRBlocks: 0
; VGPRBlocks: 0
; NumSGPRsForWavesPerEU: 1
; NumVGPRsForWavesPerEU: 1
; NamedBarCnt: 0
; Occupancy: 16
; WaveLimiterHint : 0
; COMPUTE_PGM_RSRC2:SCRATCH_EN: 0
; COMPUTE_PGM_RSRC2:USER_SGPR: 2
; COMPUTE_PGM_RSRC2:TRAP_HANDLER: 0
; COMPUTE_PGM_RSRC2:TGID_X_EN: 1
; COMPUTE_PGM_RSRC2:TGID_Y_EN: 0
; COMPUTE_PGM_RSRC2:TGID_Z_EN: 0
; COMPUTE_PGM_RSRC2:TIDIG_COMP_CNT: 0
	.section	.text._ZN7rocprim17ROCPRIM_400000_NS6detail17trampoline_kernelINS0_13select_configILj256ELj13ELNS0_17block_load_methodE3ELS4_3ELS4_3ELNS0_20block_scan_algorithmE0ELj4294967295EEENS1_25partition_config_selectorILNS1_17partition_subalgoE3EjNS0_10empty_typeEbEEZZNS1_14partition_implILS8_3ELb0ES6_jNS0_17counting_iteratorIjlEEPS9_SE_NS0_5tupleIJPjSE_EEENSF_IJSE_SE_EEES9_SG_JZNS1_25segmented_radix_sort_implINS0_14default_configELb0EPKsPsPKlPlN2at6native12_GLOBAL__N_18offset_tEEE10hipError_tPvRmT1_PNSt15iterator_traitsISY_E10value_typeET2_T3_PNSZ_IS14_E10value_typeET4_jRbjT5_S1A_jjP12ihipStream_tbEUljE_EEESV_SW_SX_S14_S18_S1A_T6_T7_T9_mT8_S1C_bDpT10_ENKUlT_T0_E_clISt17integral_constantIbLb1EES1P_EEDaS1K_S1L_EUlS1K_E_NS1_11comp_targetILNS1_3genE2ELNS1_11target_archE906ELNS1_3gpuE6ELNS1_3repE0EEENS1_30default_config_static_selectorELNS0_4arch9wavefront6targetE0EEEvSY_,"axG",@progbits,_ZN7rocprim17ROCPRIM_400000_NS6detail17trampoline_kernelINS0_13select_configILj256ELj13ELNS0_17block_load_methodE3ELS4_3ELS4_3ELNS0_20block_scan_algorithmE0ELj4294967295EEENS1_25partition_config_selectorILNS1_17partition_subalgoE3EjNS0_10empty_typeEbEEZZNS1_14partition_implILS8_3ELb0ES6_jNS0_17counting_iteratorIjlEEPS9_SE_NS0_5tupleIJPjSE_EEENSF_IJSE_SE_EEES9_SG_JZNS1_25segmented_radix_sort_implINS0_14default_configELb0EPKsPsPKlPlN2at6native12_GLOBAL__N_18offset_tEEE10hipError_tPvRmT1_PNSt15iterator_traitsISY_E10value_typeET2_T3_PNSZ_IS14_E10value_typeET4_jRbjT5_S1A_jjP12ihipStream_tbEUljE_EEESV_SW_SX_S14_S18_S1A_T6_T7_T9_mT8_S1C_bDpT10_ENKUlT_T0_E_clISt17integral_constantIbLb1EES1P_EEDaS1K_S1L_EUlS1K_E_NS1_11comp_targetILNS1_3genE2ELNS1_11target_archE906ELNS1_3gpuE6ELNS1_3repE0EEENS1_30default_config_static_selectorELNS0_4arch9wavefront6targetE0EEEvSY_,comdat
	.globl	_ZN7rocprim17ROCPRIM_400000_NS6detail17trampoline_kernelINS0_13select_configILj256ELj13ELNS0_17block_load_methodE3ELS4_3ELS4_3ELNS0_20block_scan_algorithmE0ELj4294967295EEENS1_25partition_config_selectorILNS1_17partition_subalgoE3EjNS0_10empty_typeEbEEZZNS1_14partition_implILS8_3ELb0ES6_jNS0_17counting_iteratorIjlEEPS9_SE_NS0_5tupleIJPjSE_EEENSF_IJSE_SE_EEES9_SG_JZNS1_25segmented_radix_sort_implINS0_14default_configELb0EPKsPsPKlPlN2at6native12_GLOBAL__N_18offset_tEEE10hipError_tPvRmT1_PNSt15iterator_traitsISY_E10value_typeET2_T3_PNSZ_IS14_E10value_typeET4_jRbjT5_S1A_jjP12ihipStream_tbEUljE_EEESV_SW_SX_S14_S18_S1A_T6_T7_T9_mT8_S1C_bDpT10_ENKUlT_T0_E_clISt17integral_constantIbLb1EES1P_EEDaS1K_S1L_EUlS1K_E_NS1_11comp_targetILNS1_3genE2ELNS1_11target_archE906ELNS1_3gpuE6ELNS1_3repE0EEENS1_30default_config_static_selectorELNS0_4arch9wavefront6targetE0EEEvSY_ ; -- Begin function _ZN7rocprim17ROCPRIM_400000_NS6detail17trampoline_kernelINS0_13select_configILj256ELj13ELNS0_17block_load_methodE3ELS4_3ELS4_3ELNS0_20block_scan_algorithmE0ELj4294967295EEENS1_25partition_config_selectorILNS1_17partition_subalgoE3EjNS0_10empty_typeEbEEZZNS1_14partition_implILS8_3ELb0ES6_jNS0_17counting_iteratorIjlEEPS9_SE_NS0_5tupleIJPjSE_EEENSF_IJSE_SE_EEES9_SG_JZNS1_25segmented_radix_sort_implINS0_14default_configELb0EPKsPsPKlPlN2at6native12_GLOBAL__N_18offset_tEEE10hipError_tPvRmT1_PNSt15iterator_traitsISY_E10value_typeET2_T3_PNSZ_IS14_E10value_typeET4_jRbjT5_S1A_jjP12ihipStream_tbEUljE_EEESV_SW_SX_S14_S18_S1A_T6_T7_T9_mT8_S1C_bDpT10_ENKUlT_T0_E_clISt17integral_constantIbLb1EES1P_EEDaS1K_S1L_EUlS1K_E_NS1_11comp_targetILNS1_3genE2ELNS1_11target_archE906ELNS1_3gpuE6ELNS1_3repE0EEENS1_30default_config_static_selectorELNS0_4arch9wavefront6targetE0EEEvSY_
	.p2align	8
	.type	_ZN7rocprim17ROCPRIM_400000_NS6detail17trampoline_kernelINS0_13select_configILj256ELj13ELNS0_17block_load_methodE3ELS4_3ELS4_3ELNS0_20block_scan_algorithmE0ELj4294967295EEENS1_25partition_config_selectorILNS1_17partition_subalgoE3EjNS0_10empty_typeEbEEZZNS1_14partition_implILS8_3ELb0ES6_jNS0_17counting_iteratorIjlEEPS9_SE_NS0_5tupleIJPjSE_EEENSF_IJSE_SE_EEES9_SG_JZNS1_25segmented_radix_sort_implINS0_14default_configELb0EPKsPsPKlPlN2at6native12_GLOBAL__N_18offset_tEEE10hipError_tPvRmT1_PNSt15iterator_traitsISY_E10value_typeET2_T3_PNSZ_IS14_E10value_typeET4_jRbjT5_S1A_jjP12ihipStream_tbEUljE_EEESV_SW_SX_S14_S18_S1A_T6_T7_T9_mT8_S1C_bDpT10_ENKUlT_T0_E_clISt17integral_constantIbLb1EES1P_EEDaS1K_S1L_EUlS1K_E_NS1_11comp_targetILNS1_3genE2ELNS1_11target_archE906ELNS1_3gpuE6ELNS1_3repE0EEENS1_30default_config_static_selectorELNS0_4arch9wavefront6targetE0EEEvSY_,@function
_ZN7rocprim17ROCPRIM_400000_NS6detail17trampoline_kernelINS0_13select_configILj256ELj13ELNS0_17block_load_methodE3ELS4_3ELS4_3ELNS0_20block_scan_algorithmE0ELj4294967295EEENS1_25partition_config_selectorILNS1_17partition_subalgoE3EjNS0_10empty_typeEbEEZZNS1_14partition_implILS8_3ELb0ES6_jNS0_17counting_iteratorIjlEEPS9_SE_NS0_5tupleIJPjSE_EEENSF_IJSE_SE_EEES9_SG_JZNS1_25segmented_radix_sort_implINS0_14default_configELb0EPKsPsPKlPlN2at6native12_GLOBAL__N_18offset_tEEE10hipError_tPvRmT1_PNSt15iterator_traitsISY_E10value_typeET2_T3_PNSZ_IS14_E10value_typeET4_jRbjT5_S1A_jjP12ihipStream_tbEUljE_EEESV_SW_SX_S14_S18_S1A_T6_T7_T9_mT8_S1C_bDpT10_ENKUlT_T0_E_clISt17integral_constantIbLb1EES1P_EEDaS1K_S1L_EUlS1K_E_NS1_11comp_targetILNS1_3genE2ELNS1_11target_archE906ELNS1_3gpuE6ELNS1_3repE0EEENS1_30default_config_static_selectorELNS0_4arch9wavefront6targetE0EEEvSY_: ; @_ZN7rocprim17ROCPRIM_400000_NS6detail17trampoline_kernelINS0_13select_configILj256ELj13ELNS0_17block_load_methodE3ELS4_3ELS4_3ELNS0_20block_scan_algorithmE0ELj4294967295EEENS1_25partition_config_selectorILNS1_17partition_subalgoE3EjNS0_10empty_typeEbEEZZNS1_14partition_implILS8_3ELb0ES6_jNS0_17counting_iteratorIjlEEPS9_SE_NS0_5tupleIJPjSE_EEENSF_IJSE_SE_EEES9_SG_JZNS1_25segmented_radix_sort_implINS0_14default_configELb0EPKsPsPKlPlN2at6native12_GLOBAL__N_18offset_tEEE10hipError_tPvRmT1_PNSt15iterator_traitsISY_E10value_typeET2_T3_PNSZ_IS14_E10value_typeET4_jRbjT5_S1A_jjP12ihipStream_tbEUljE_EEESV_SW_SX_S14_S18_S1A_T6_T7_T9_mT8_S1C_bDpT10_ENKUlT_T0_E_clISt17integral_constantIbLb1EES1P_EEDaS1K_S1L_EUlS1K_E_NS1_11comp_targetILNS1_3genE2ELNS1_11target_archE906ELNS1_3gpuE6ELNS1_3repE0EEENS1_30default_config_static_selectorELNS0_4arch9wavefront6targetE0EEEvSY_
; %bb.0:
	.section	.rodata,"a",@progbits
	.p2align	6, 0x0
	.amdhsa_kernel _ZN7rocprim17ROCPRIM_400000_NS6detail17trampoline_kernelINS0_13select_configILj256ELj13ELNS0_17block_load_methodE3ELS4_3ELS4_3ELNS0_20block_scan_algorithmE0ELj4294967295EEENS1_25partition_config_selectorILNS1_17partition_subalgoE3EjNS0_10empty_typeEbEEZZNS1_14partition_implILS8_3ELb0ES6_jNS0_17counting_iteratorIjlEEPS9_SE_NS0_5tupleIJPjSE_EEENSF_IJSE_SE_EEES9_SG_JZNS1_25segmented_radix_sort_implINS0_14default_configELb0EPKsPsPKlPlN2at6native12_GLOBAL__N_18offset_tEEE10hipError_tPvRmT1_PNSt15iterator_traitsISY_E10value_typeET2_T3_PNSZ_IS14_E10value_typeET4_jRbjT5_S1A_jjP12ihipStream_tbEUljE_EEESV_SW_SX_S14_S18_S1A_T6_T7_T9_mT8_S1C_bDpT10_ENKUlT_T0_E_clISt17integral_constantIbLb1EES1P_EEDaS1K_S1L_EUlS1K_E_NS1_11comp_targetILNS1_3genE2ELNS1_11target_archE906ELNS1_3gpuE6ELNS1_3repE0EEENS1_30default_config_static_selectorELNS0_4arch9wavefront6targetE0EEEvSY_
		.amdhsa_group_segment_fixed_size 0
		.amdhsa_private_segment_fixed_size 0
		.amdhsa_kernarg_size 152
		.amdhsa_user_sgpr_count 2
		.amdhsa_user_sgpr_dispatch_ptr 0
		.amdhsa_user_sgpr_queue_ptr 0
		.amdhsa_user_sgpr_kernarg_segment_ptr 1
		.amdhsa_user_sgpr_dispatch_id 0
		.amdhsa_user_sgpr_kernarg_preload_length 0
		.amdhsa_user_sgpr_kernarg_preload_offset 0
		.amdhsa_user_sgpr_private_segment_size 0
		.amdhsa_wavefront_size32 1
		.amdhsa_uses_dynamic_stack 0
		.amdhsa_enable_private_segment 0
		.amdhsa_system_sgpr_workgroup_id_x 1
		.amdhsa_system_sgpr_workgroup_id_y 0
		.amdhsa_system_sgpr_workgroup_id_z 0
		.amdhsa_system_sgpr_workgroup_info 0
		.amdhsa_system_vgpr_workitem_id 0
		.amdhsa_next_free_vgpr 1
		.amdhsa_next_free_sgpr 1
		.amdhsa_named_barrier_count 0
		.amdhsa_reserve_vcc 0
		.amdhsa_float_round_mode_32 0
		.amdhsa_float_round_mode_16_64 0
		.amdhsa_float_denorm_mode_32 3
		.amdhsa_float_denorm_mode_16_64 3
		.amdhsa_fp16_overflow 0
		.amdhsa_memory_ordered 1
		.amdhsa_forward_progress 1
		.amdhsa_inst_pref_size 0
		.amdhsa_round_robin_scheduling 0
		.amdhsa_exception_fp_ieee_invalid_op 0
		.amdhsa_exception_fp_denorm_src 0
		.amdhsa_exception_fp_ieee_div_zero 0
		.amdhsa_exception_fp_ieee_overflow 0
		.amdhsa_exception_fp_ieee_underflow 0
		.amdhsa_exception_fp_ieee_inexact 0
		.amdhsa_exception_int_div_zero 0
	.end_amdhsa_kernel
	.section	.text._ZN7rocprim17ROCPRIM_400000_NS6detail17trampoline_kernelINS0_13select_configILj256ELj13ELNS0_17block_load_methodE3ELS4_3ELS4_3ELNS0_20block_scan_algorithmE0ELj4294967295EEENS1_25partition_config_selectorILNS1_17partition_subalgoE3EjNS0_10empty_typeEbEEZZNS1_14partition_implILS8_3ELb0ES6_jNS0_17counting_iteratorIjlEEPS9_SE_NS0_5tupleIJPjSE_EEENSF_IJSE_SE_EEES9_SG_JZNS1_25segmented_radix_sort_implINS0_14default_configELb0EPKsPsPKlPlN2at6native12_GLOBAL__N_18offset_tEEE10hipError_tPvRmT1_PNSt15iterator_traitsISY_E10value_typeET2_T3_PNSZ_IS14_E10value_typeET4_jRbjT5_S1A_jjP12ihipStream_tbEUljE_EEESV_SW_SX_S14_S18_S1A_T6_T7_T9_mT8_S1C_bDpT10_ENKUlT_T0_E_clISt17integral_constantIbLb1EES1P_EEDaS1K_S1L_EUlS1K_E_NS1_11comp_targetILNS1_3genE2ELNS1_11target_archE906ELNS1_3gpuE6ELNS1_3repE0EEENS1_30default_config_static_selectorELNS0_4arch9wavefront6targetE0EEEvSY_,"axG",@progbits,_ZN7rocprim17ROCPRIM_400000_NS6detail17trampoline_kernelINS0_13select_configILj256ELj13ELNS0_17block_load_methodE3ELS4_3ELS4_3ELNS0_20block_scan_algorithmE0ELj4294967295EEENS1_25partition_config_selectorILNS1_17partition_subalgoE3EjNS0_10empty_typeEbEEZZNS1_14partition_implILS8_3ELb0ES6_jNS0_17counting_iteratorIjlEEPS9_SE_NS0_5tupleIJPjSE_EEENSF_IJSE_SE_EEES9_SG_JZNS1_25segmented_radix_sort_implINS0_14default_configELb0EPKsPsPKlPlN2at6native12_GLOBAL__N_18offset_tEEE10hipError_tPvRmT1_PNSt15iterator_traitsISY_E10value_typeET2_T3_PNSZ_IS14_E10value_typeET4_jRbjT5_S1A_jjP12ihipStream_tbEUljE_EEESV_SW_SX_S14_S18_S1A_T6_T7_T9_mT8_S1C_bDpT10_ENKUlT_T0_E_clISt17integral_constantIbLb1EES1P_EEDaS1K_S1L_EUlS1K_E_NS1_11comp_targetILNS1_3genE2ELNS1_11target_archE906ELNS1_3gpuE6ELNS1_3repE0EEENS1_30default_config_static_selectorELNS0_4arch9wavefront6targetE0EEEvSY_,comdat
.Lfunc_end989:
	.size	_ZN7rocprim17ROCPRIM_400000_NS6detail17trampoline_kernelINS0_13select_configILj256ELj13ELNS0_17block_load_methodE3ELS4_3ELS4_3ELNS0_20block_scan_algorithmE0ELj4294967295EEENS1_25partition_config_selectorILNS1_17partition_subalgoE3EjNS0_10empty_typeEbEEZZNS1_14partition_implILS8_3ELb0ES6_jNS0_17counting_iteratorIjlEEPS9_SE_NS0_5tupleIJPjSE_EEENSF_IJSE_SE_EEES9_SG_JZNS1_25segmented_radix_sort_implINS0_14default_configELb0EPKsPsPKlPlN2at6native12_GLOBAL__N_18offset_tEEE10hipError_tPvRmT1_PNSt15iterator_traitsISY_E10value_typeET2_T3_PNSZ_IS14_E10value_typeET4_jRbjT5_S1A_jjP12ihipStream_tbEUljE_EEESV_SW_SX_S14_S18_S1A_T6_T7_T9_mT8_S1C_bDpT10_ENKUlT_T0_E_clISt17integral_constantIbLb1EES1P_EEDaS1K_S1L_EUlS1K_E_NS1_11comp_targetILNS1_3genE2ELNS1_11target_archE906ELNS1_3gpuE6ELNS1_3repE0EEENS1_30default_config_static_selectorELNS0_4arch9wavefront6targetE0EEEvSY_, .Lfunc_end989-_ZN7rocprim17ROCPRIM_400000_NS6detail17trampoline_kernelINS0_13select_configILj256ELj13ELNS0_17block_load_methodE3ELS4_3ELS4_3ELNS0_20block_scan_algorithmE0ELj4294967295EEENS1_25partition_config_selectorILNS1_17partition_subalgoE3EjNS0_10empty_typeEbEEZZNS1_14partition_implILS8_3ELb0ES6_jNS0_17counting_iteratorIjlEEPS9_SE_NS0_5tupleIJPjSE_EEENSF_IJSE_SE_EEES9_SG_JZNS1_25segmented_radix_sort_implINS0_14default_configELb0EPKsPsPKlPlN2at6native12_GLOBAL__N_18offset_tEEE10hipError_tPvRmT1_PNSt15iterator_traitsISY_E10value_typeET2_T3_PNSZ_IS14_E10value_typeET4_jRbjT5_S1A_jjP12ihipStream_tbEUljE_EEESV_SW_SX_S14_S18_S1A_T6_T7_T9_mT8_S1C_bDpT10_ENKUlT_T0_E_clISt17integral_constantIbLb1EES1P_EEDaS1K_S1L_EUlS1K_E_NS1_11comp_targetILNS1_3genE2ELNS1_11target_archE906ELNS1_3gpuE6ELNS1_3repE0EEENS1_30default_config_static_selectorELNS0_4arch9wavefront6targetE0EEEvSY_
                                        ; -- End function
	.set _ZN7rocprim17ROCPRIM_400000_NS6detail17trampoline_kernelINS0_13select_configILj256ELj13ELNS0_17block_load_methodE3ELS4_3ELS4_3ELNS0_20block_scan_algorithmE0ELj4294967295EEENS1_25partition_config_selectorILNS1_17partition_subalgoE3EjNS0_10empty_typeEbEEZZNS1_14partition_implILS8_3ELb0ES6_jNS0_17counting_iteratorIjlEEPS9_SE_NS0_5tupleIJPjSE_EEENSF_IJSE_SE_EEES9_SG_JZNS1_25segmented_radix_sort_implINS0_14default_configELb0EPKsPsPKlPlN2at6native12_GLOBAL__N_18offset_tEEE10hipError_tPvRmT1_PNSt15iterator_traitsISY_E10value_typeET2_T3_PNSZ_IS14_E10value_typeET4_jRbjT5_S1A_jjP12ihipStream_tbEUljE_EEESV_SW_SX_S14_S18_S1A_T6_T7_T9_mT8_S1C_bDpT10_ENKUlT_T0_E_clISt17integral_constantIbLb1EES1P_EEDaS1K_S1L_EUlS1K_E_NS1_11comp_targetILNS1_3genE2ELNS1_11target_archE906ELNS1_3gpuE6ELNS1_3repE0EEENS1_30default_config_static_selectorELNS0_4arch9wavefront6targetE0EEEvSY_.num_vgpr, 0
	.set _ZN7rocprim17ROCPRIM_400000_NS6detail17trampoline_kernelINS0_13select_configILj256ELj13ELNS0_17block_load_methodE3ELS4_3ELS4_3ELNS0_20block_scan_algorithmE0ELj4294967295EEENS1_25partition_config_selectorILNS1_17partition_subalgoE3EjNS0_10empty_typeEbEEZZNS1_14partition_implILS8_3ELb0ES6_jNS0_17counting_iteratorIjlEEPS9_SE_NS0_5tupleIJPjSE_EEENSF_IJSE_SE_EEES9_SG_JZNS1_25segmented_radix_sort_implINS0_14default_configELb0EPKsPsPKlPlN2at6native12_GLOBAL__N_18offset_tEEE10hipError_tPvRmT1_PNSt15iterator_traitsISY_E10value_typeET2_T3_PNSZ_IS14_E10value_typeET4_jRbjT5_S1A_jjP12ihipStream_tbEUljE_EEESV_SW_SX_S14_S18_S1A_T6_T7_T9_mT8_S1C_bDpT10_ENKUlT_T0_E_clISt17integral_constantIbLb1EES1P_EEDaS1K_S1L_EUlS1K_E_NS1_11comp_targetILNS1_3genE2ELNS1_11target_archE906ELNS1_3gpuE6ELNS1_3repE0EEENS1_30default_config_static_selectorELNS0_4arch9wavefront6targetE0EEEvSY_.num_agpr, 0
	.set _ZN7rocprim17ROCPRIM_400000_NS6detail17trampoline_kernelINS0_13select_configILj256ELj13ELNS0_17block_load_methodE3ELS4_3ELS4_3ELNS0_20block_scan_algorithmE0ELj4294967295EEENS1_25partition_config_selectorILNS1_17partition_subalgoE3EjNS0_10empty_typeEbEEZZNS1_14partition_implILS8_3ELb0ES6_jNS0_17counting_iteratorIjlEEPS9_SE_NS0_5tupleIJPjSE_EEENSF_IJSE_SE_EEES9_SG_JZNS1_25segmented_radix_sort_implINS0_14default_configELb0EPKsPsPKlPlN2at6native12_GLOBAL__N_18offset_tEEE10hipError_tPvRmT1_PNSt15iterator_traitsISY_E10value_typeET2_T3_PNSZ_IS14_E10value_typeET4_jRbjT5_S1A_jjP12ihipStream_tbEUljE_EEESV_SW_SX_S14_S18_S1A_T6_T7_T9_mT8_S1C_bDpT10_ENKUlT_T0_E_clISt17integral_constantIbLb1EES1P_EEDaS1K_S1L_EUlS1K_E_NS1_11comp_targetILNS1_3genE2ELNS1_11target_archE906ELNS1_3gpuE6ELNS1_3repE0EEENS1_30default_config_static_selectorELNS0_4arch9wavefront6targetE0EEEvSY_.numbered_sgpr, 0
	.set _ZN7rocprim17ROCPRIM_400000_NS6detail17trampoline_kernelINS0_13select_configILj256ELj13ELNS0_17block_load_methodE3ELS4_3ELS4_3ELNS0_20block_scan_algorithmE0ELj4294967295EEENS1_25partition_config_selectorILNS1_17partition_subalgoE3EjNS0_10empty_typeEbEEZZNS1_14partition_implILS8_3ELb0ES6_jNS0_17counting_iteratorIjlEEPS9_SE_NS0_5tupleIJPjSE_EEENSF_IJSE_SE_EEES9_SG_JZNS1_25segmented_radix_sort_implINS0_14default_configELb0EPKsPsPKlPlN2at6native12_GLOBAL__N_18offset_tEEE10hipError_tPvRmT1_PNSt15iterator_traitsISY_E10value_typeET2_T3_PNSZ_IS14_E10value_typeET4_jRbjT5_S1A_jjP12ihipStream_tbEUljE_EEESV_SW_SX_S14_S18_S1A_T6_T7_T9_mT8_S1C_bDpT10_ENKUlT_T0_E_clISt17integral_constantIbLb1EES1P_EEDaS1K_S1L_EUlS1K_E_NS1_11comp_targetILNS1_3genE2ELNS1_11target_archE906ELNS1_3gpuE6ELNS1_3repE0EEENS1_30default_config_static_selectorELNS0_4arch9wavefront6targetE0EEEvSY_.num_named_barrier, 0
	.set _ZN7rocprim17ROCPRIM_400000_NS6detail17trampoline_kernelINS0_13select_configILj256ELj13ELNS0_17block_load_methodE3ELS4_3ELS4_3ELNS0_20block_scan_algorithmE0ELj4294967295EEENS1_25partition_config_selectorILNS1_17partition_subalgoE3EjNS0_10empty_typeEbEEZZNS1_14partition_implILS8_3ELb0ES6_jNS0_17counting_iteratorIjlEEPS9_SE_NS0_5tupleIJPjSE_EEENSF_IJSE_SE_EEES9_SG_JZNS1_25segmented_radix_sort_implINS0_14default_configELb0EPKsPsPKlPlN2at6native12_GLOBAL__N_18offset_tEEE10hipError_tPvRmT1_PNSt15iterator_traitsISY_E10value_typeET2_T3_PNSZ_IS14_E10value_typeET4_jRbjT5_S1A_jjP12ihipStream_tbEUljE_EEESV_SW_SX_S14_S18_S1A_T6_T7_T9_mT8_S1C_bDpT10_ENKUlT_T0_E_clISt17integral_constantIbLb1EES1P_EEDaS1K_S1L_EUlS1K_E_NS1_11comp_targetILNS1_3genE2ELNS1_11target_archE906ELNS1_3gpuE6ELNS1_3repE0EEENS1_30default_config_static_selectorELNS0_4arch9wavefront6targetE0EEEvSY_.private_seg_size, 0
	.set _ZN7rocprim17ROCPRIM_400000_NS6detail17trampoline_kernelINS0_13select_configILj256ELj13ELNS0_17block_load_methodE3ELS4_3ELS4_3ELNS0_20block_scan_algorithmE0ELj4294967295EEENS1_25partition_config_selectorILNS1_17partition_subalgoE3EjNS0_10empty_typeEbEEZZNS1_14partition_implILS8_3ELb0ES6_jNS0_17counting_iteratorIjlEEPS9_SE_NS0_5tupleIJPjSE_EEENSF_IJSE_SE_EEES9_SG_JZNS1_25segmented_radix_sort_implINS0_14default_configELb0EPKsPsPKlPlN2at6native12_GLOBAL__N_18offset_tEEE10hipError_tPvRmT1_PNSt15iterator_traitsISY_E10value_typeET2_T3_PNSZ_IS14_E10value_typeET4_jRbjT5_S1A_jjP12ihipStream_tbEUljE_EEESV_SW_SX_S14_S18_S1A_T6_T7_T9_mT8_S1C_bDpT10_ENKUlT_T0_E_clISt17integral_constantIbLb1EES1P_EEDaS1K_S1L_EUlS1K_E_NS1_11comp_targetILNS1_3genE2ELNS1_11target_archE906ELNS1_3gpuE6ELNS1_3repE0EEENS1_30default_config_static_selectorELNS0_4arch9wavefront6targetE0EEEvSY_.uses_vcc, 0
	.set _ZN7rocprim17ROCPRIM_400000_NS6detail17trampoline_kernelINS0_13select_configILj256ELj13ELNS0_17block_load_methodE3ELS4_3ELS4_3ELNS0_20block_scan_algorithmE0ELj4294967295EEENS1_25partition_config_selectorILNS1_17partition_subalgoE3EjNS0_10empty_typeEbEEZZNS1_14partition_implILS8_3ELb0ES6_jNS0_17counting_iteratorIjlEEPS9_SE_NS0_5tupleIJPjSE_EEENSF_IJSE_SE_EEES9_SG_JZNS1_25segmented_radix_sort_implINS0_14default_configELb0EPKsPsPKlPlN2at6native12_GLOBAL__N_18offset_tEEE10hipError_tPvRmT1_PNSt15iterator_traitsISY_E10value_typeET2_T3_PNSZ_IS14_E10value_typeET4_jRbjT5_S1A_jjP12ihipStream_tbEUljE_EEESV_SW_SX_S14_S18_S1A_T6_T7_T9_mT8_S1C_bDpT10_ENKUlT_T0_E_clISt17integral_constantIbLb1EES1P_EEDaS1K_S1L_EUlS1K_E_NS1_11comp_targetILNS1_3genE2ELNS1_11target_archE906ELNS1_3gpuE6ELNS1_3repE0EEENS1_30default_config_static_selectorELNS0_4arch9wavefront6targetE0EEEvSY_.uses_flat_scratch, 0
	.set _ZN7rocprim17ROCPRIM_400000_NS6detail17trampoline_kernelINS0_13select_configILj256ELj13ELNS0_17block_load_methodE3ELS4_3ELS4_3ELNS0_20block_scan_algorithmE0ELj4294967295EEENS1_25partition_config_selectorILNS1_17partition_subalgoE3EjNS0_10empty_typeEbEEZZNS1_14partition_implILS8_3ELb0ES6_jNS0_17counting_iteratorIjlEEPS9_SE_NS0_5tupleIJPjSE_EEENSF_IJSE_SE_EEES9_SG_JZNS1_25segmented_radix_sort_implINS0_14default_configELb0EPKsPsPKlPlN2at6native12_GLOBAL__N_18offset_tEEE10hipError_tPvRmT1_PNSt15iterator_traitsISY_E10value_typeET2_T3_PNSZ_IS14_E10value_typeET4_jRbjT5_S1A_jjP12ihipStream_tbEUljE_EEESV_SW_SX_S14_S18_S1A_T6_T7_T9_mT8_S1C_bDpT10_ENKUlT_T0_E_clISt17integral_constantIbLb1EES1P_EEDaS1K_S1L_EUlS1K_E_NS1_11comp_targetILNS1_3genE2ELNS1_11target_archE906ELNS1_3gpuE6ELNS1_3repE0EEENS1_30default_config_static_selectorELNS0_4arch9wavefront6targetE0EEEvSY_.has_dyn_sized_stack, 0
	.set _ZN7rocprim17ROCPRIM_400000_NS6detail17trampoline_kernelINS0_13select_configILj256ELj13ELNS0_17block_load_methodE3ELS4_3ELS4_3ELNS0_20block_scan_algorithmE0ELj4294967295EEENS1_25partition_config_selectorILNS1_17partition_subalgoE3EjNS0_10empty_typeEbEEZZNS1_14partition_implILS8_3ELb0ES6_jNS0_17counting_iteratorIjlEEPS9_SE_NS0_5tupleIJPjSE_EEENSF_IJSE_SE_EEES9_SG_JZNS1_25segmented_radix_sort_implINS0_14default_configELb0EPKsPsPKlPlN2at6native12_GLOBAL__N_18offset_tEEE10hipError_tPvRmT1_PNSt15iterator_traitsISY_E10value_typeET2_T3_PNSZ_IS14_E10value_typeET4_jRbjT5_S1A_jjP12ihipStream_tbEUljE_EEESV_SW_SX_S14_S18_S1A_T6_T7_T9_mT8_S1C_bDpT10_ENKUlT_T0_E_clISt17integral_constantIbLb1EES1P_EEDaS1K_S1L_EUlS1K_E_NS1_11comp_targetILNS1_3genE2ELNS1_11target_archE906ELNS1_3gpuE6ELNS1_3repE0EEENS1_30default_config_static_selectorELNS0_4arch9wavefront6targetE0EEEvSY_.has_recursion, 0
	.set _ZN7rocprim17ROCPRIM_400000_NS6detail17trampoline_kernelINS0_13select_configILj256ELj13ELNS0_17block_load_methodE3ELS4_3ELS4_3ELNS0_20block_scan_algorithmE0ELj4294967295EEENS1_25partition_config_selectorILNS1_17partition_subalgoE3EjNS0_10empty_typeEbEEZZNS1_14partition_implILS8_3ELb0ES6_jNS0_17counting_iteratorIjlEEPS9_SE_NS0_5tupleIJPjSE_EEENSF_IJSE_SE_EEES9_SG_JZNS1_25segmented_radix_sort_implINS0_14default_configELb0EPKsPsPKlPlN2at6native12_GLOBAL__N_18offset_tEEE10hipError_tPvRmT1_PNSt15iterator_traitsISY_E10value_typeET2_T3_PNSZ_IS14_E10value_typeET4_jRbjT5_S1A_jjP12ihipStream_tbEUljE_EEESV_SW_SX_S14_S18_S1A_T6_T7_T9_mT8_S1C_bDpT10_ENKUlT_T0_E_clISt17integral_constantIbLb1EES1P_EEDaS1K_S1L_EUlS1K_E_NS1_11comp_targetILNS1_3genE2ELNS1_11target_archE906ELNS1_3gpuE6ELNS1_3repE0EEENS1_30default_config_static_selectorELNS0_4arch9wavefront6targetE0EEEvSY_.has_indirect_call, 0
	.section	.AMDGPU.csdata,"",@progbits
; Kernel info:
; codeLenInByte = 0
; TotalNumSgprs: 0
; NumVgprs: 0
; ScratchSize: 0
; MemoryBound: 0
; FloatMode: 240
; IeeeMode: 1
; LDSByteSize: 0 bytes/workgroup (compile time only)
; SGPRBlocks: 0
; VGPRBlocks: 0
; NumSGPRsForWavesPerEU: 1
; NumVGPRsForWavesPerEU: 1
; NamedBarCnt: 0
; Occupancy: 16
; WaveLimiterHint : 0
; COMPUTE_PGM_RSRC2:SCRATCH_EN: 0
; COMPUTE_PGM_RSRC2:USER_SGPR: 2
; COMPUTE_PGM_RSRC2:TRAP_HANDLER: 0
; COMPUTE_PGM_RSRC2:TGID_X_EN: 1
; COMPUTE_PGM_RSRC2:TGID_Y_EN: 0
; COMPUTE_PGM_RSRC2:TGID_Z_EN: 0
; COMPUTE_PGM_RSRC2:TIDIG_COMP_CNT: 0
	.section	.text._ZN7rocprim17ROCPRIM_400000_NS6detail17trampoline_kernelINS0_13select_configILj256ELj13ELNS0_17block_load_methodE3ELS4_3ELS4_3ELNS0_20block_scan_algorithmE0ELj4294967295EEENS1_25partition_config_selectorILNS1_17partition_subalgoE3EjNS0_10empty_typeEbEEZZNS1_14partition_implILS8_3ELb0ES6_jNS0_17counting_iteratorIjlEEPS9_SE_NS0_5tupleIJPjSE_EEENSF_IJSE_SE_EEES9_SG_JZNS1_25segmented_radix_sort_implINS0_14default_configELb0EPKsPsPKlPlN2at6native12_GLOBAL__N_18offset_tEEE10hipError_tPvRmT1_PNSt15iterator_traitsISY_E10value_typeET2_T3_PNSZ_IS14_E10value_typeET4_jRbjT5_S1A_jjP12ihipStream_tbEUljE_EEESV_SW_SX_S14_S18_S1A_T6_T7_T9_mT8_S1C_bDpT10_ENKUlT_T0_E_clISt17integral_constantIbLb1EES1P_EEDaS1K_S1L_EUlS1K_E_NS1_11comp_targetILNS1_3genE10ELNS1_11target_archE1200ELNS1_3gpuE4ELNS1_3repE0EEENS1_30default_config_static_selectorELNS0_4arch9wavefront6targetE0EEEvSY_,"axG",@progbits,_ZN7rocprim17ROCPRIM_400000_NS6detail17trampoline_kernelINS0_13select_configILj256ELj13ELNS0_17block_load_methodE3ELS4_3ELS4_3ELNS0_20block_scan_algorithmE0ELj4294967295EEENS1_25partition_config_selectorILNS1_17partition_subalgoE3EjNS0_10empty_typeEbEEZZNS1_14partition_implILS8_3ELb0ES6_jNS0_17counting_iteratorIjlEEPS9_SE_NS0_5tupleIJPjSE_EEENSF_IJSE_SE_EEES9_SG_JZNS1_25segmented_radix_sort_implINS0_14default_configELb0EPKsPsPKlPlN2at6native12_GLOBAL__N_18offset_tEEE10hipError_tPvRmT1_PNSt15iterator_traitsISY_E10value_typeET2_T3_PNSZ_IS14_E10value_typeET4_jRbjT5_S1A_jjP12ihipStream_tbEUljE_EEESV_SW_SX_S14_S18_S1A_T6_T7_T9_mT8_S1C_bDpT10_ENKUlT_T0_E_clISt17integral_constantIbLb1EES1P_EEDaS1K_S1L_EUlS1K_E_NS1_11comp_targetILNS1_3genE10ELNS1_11target_archE1200ELNS1_3gpuE4ELNS1_3repE0EEENS1_30default_config_static_selectorELNS0_4arch9wavefront6targetE0EEEvSY_,comdat
	.globl	_ZN7rocprim17ROCPRIM_400000_NS6detail17trampoline_kernelINS0_13select_configILj256ELj13ELNS0_17block_load_methodE3ELS4_3ELS4_3ELNS0_20block_scan_algorithmE0ELj4294967295EEENS1_25partition_config_selectorILNS1_17partition_subalgoE3EjNS0_10empty_typeEbEEZZNS1_14partition_implILS8_3ELb0ES6_jNS0_17counting_iteratorIjlEEPS9_SE_NS0_5tupleIJPjSE_EEENSF_IJSE_SE_EEES9_SG_JZNS1_25segmented_radix_sort_implINS0_14default_configELb0EPKsPsPKlPlN2at6native12_GLOBAL__N_18offset_tEEE10hipError_tPvRmT1_PNSt15iterator_traitsISY_E10value_typeET2_T3_PNSZ_IS14_E10value_typeET4_jRbjT5_S1A_jjP12ihipStream_tbEUljE_EEESV_SW_SX_S14_S18_S1A_T6_T7_T9_mT8_S1C_bDpT10_ENKUlT_T0_E_clISt17integral_constantIbLb1EES1P_EEDaS1K_S1L_EUlS1K_E_NS1_11comp_targetILNS1_3genE10ELNS1_11target_archE1200ELNS1_3gpuE4ELNS1_3repE0EEENS1_30default_config_static_selectorELNS0_4arch9wavefront6targetE0EEEvSY_ ; -- Begin function _ZN7rocprim17ROCPRIM_400000_NS6detail17trampoline_kernelINS0_13select_configILj256ELj13ELNS0_17block_load_methodE3ELS4_3ELS4_3ELNS0_20block_scan_algorithmE0ELj4294967295EEENS1_25partition_config_selectorILNS1_17partition_subalgoE3EjNS0_10empty_typeEbEEZZNS1_14partition_implILS8_3ELb0ES6_jNS0_17counting_iteratorIjlEEPS9_SE_NS0_5tupleIJPjSE_EEENSF_IJSE_SE_EEES9_SG_JZNS1_25segmented_radix_sort_implINS0_14default_configELb0EPKsPsPKlPlN2at6native12_GLOBAL__N_18offset_tEEE10hipError_tPvRmT1_PNSt15iterator_traitsISY_E10value_typeET2_T3_PNSZ_IS14_E10value_typeET4_jRbjT5_S1A_jjP12ihipStream_tbEUljE_EEESV_SW_SX_S14_S18_S1A_T6_T7_T9_mT8_S1C_bDpT10_ENKUlT_T0_E_clISt17integral_constantIbLb1EES1P_EEDaS1K_S1L_EUlS1K_E_NS1_11comp_targetILNS1_3genE10ELNS1_11target_archE1200ELNS1_3gpuE4ELNS1_3repE0EEENS1_30default_config_static_selectorELNS0_4arch9wavefront6targetE0EEEvSY_
	.p2align	8
	.type	_ZN7rocprim17ROCPRIM_400000_NS6detail17trampoline_kernelINS0_13select_configILj256ELj13ELNS0_17block_load_methodE3ELS4_3ELS4_3ELNS0_20block_scan_algorithmE0ELj4294967295EEENS1_25partition_config_selectorILNS1_17partition_subalgoE3EjNS0_10empty_typeEbEEZZNS1_14partition_implILS8_3ELb0ES6_jNS0_17counting_iteratorIjlEEPS9_SE_NS0_5tupleIJPjSE_EEENSF_IJSE_SE_EEES9_SG_JZNS1_25segmented_radix_sort_implINS0_14default_configELb0EPKsPsPKlPlN2at6native12_GLOBAL__N_18offset_tEEE10hipError_tPvRmT1_PNSt15iterator_traitsISY_E10value_typeET2_T3_PNSZ_IS14_E10value_typeET4_jRbjT5_S1A_jjP12ihipStream_tbEUljE_EEESV_SW_SX_S14_S18_S1A_T6_T7_T9_mT8_S1C_bDpT10_ENKUlT_T0_E_clISt17integral_constantIbLb1EES1P_EEDaS1K_S1L_EUlS1K_E_NS1_11comp_targetILNS1_3genE10ELNS1_11target_archE1200ELNS1_3gpuE4ELNS1_3repE0EEENS1_30default_config_static_selectorELNS0_4arch9wavefront6targetE0EEEvSY_,@function
_ZN7rocprim17ROCPRIM_400000_NS6detail17trampoline_kernelINS0_13select_configILj256ELj13ELNS0_17block_load_methodE3ELS4_3ELS4_3ELNS0_20block_scan_algorithmE0ELj4294967295EEENS1_25partition_config_selectorILNS1_17partition_subalgoE3EjNS0_10empty_typeEbEEZZNS1_14partition_implILS8_3ELb0ES6_jNS0_17counting_iteratorIjlEEPS9_SE_NS0_5tupleIJPjSE_EEENSF_IJSE_SE_EEES9_SG_JZNS1_25segmented_radix_sort_implINS0_14default_configELb0EPKsPsPKlPlN2at6native12_GLOBAL__N_18offset_tEEE10hipError_tPvRmT1_PNSt15iterator_traitsISY_E10value_typeET2_T3_PNSZ_IS14_E10value_typeET4_jRbjT5_S1A_jjP12ihipStream_tbEUljE_EEESV_SW_SX_S14_S18_S1A_T6_T7_T9_mT8_S1C_bDpT10_ENKUlT_T0_E_clISt17integral_constantIbLb1EES1P_EEDaS1K_S1L_EUlS1K_E_NS1_11comp_targetILNS1_3genE10ELNS1_11target_archE1200ELNS1_3gpuE4ELNS1_3repE0EEENS1_30default_config_static_selectorELNS0_4arch9wavefront6targetE0EEEvSY_: ; @_ZN7rocprim17ROCPRIM_400000_NS6detail17trampoline_kernelINS0_13select_configILj256ELj13ELNS0_17block_load_methodE3ELS4_3ELS4_3ELNS0_20block_scan_algorithmE0ELj4294967295EEENS1_25partition_config_selectorILNS1_17partition_subalgoE3EjNS0_10empty_typeEbEEZZNS1_14partition_implILS8_3ELb0ES6_jNS0_17counting_iteratorIjlEEPS9_SE_NS0_5tupleIJPjSE_EEENSF_IJSE_SE_EEES9_SG_JZNS1_25segmented_radix_sort_implINS0_14default_configELb0EPKsPsPKlPlN2at6native12_GLOBAL__N_18offset_tEEE10hipError_tPvRmT1_PNSt15iterator_traitsISY_E10value_typeET2_T3_PNSZ_IS14_E10value_typeET4_jRbjT5_S1A_jjP12ihipStream_tbEUljE_EEESV_SW_SX_S14_S18_S1A_T6_T7_T9_mT8_S1C_bDpT10_ENKUlT_T0_E_clISt17integral_constantIbLb1EES1P_EEDaS1K_S1L_EUlS1K_E_NS1_11comp_targetILNS1_3genE10ELNS1_11target_archE1200ELNS1_3gpuE4ELNS1_3repE0EEENS1_30default_config_static_selectorELNS0_4arch9wavefront6targetE0EEEvSY_
; %bb.0:
	.section	.rodata,"a",@progbits
	.p2align	6, 0x0
	.amdhsa_kernel _ZN7rocprim17ROCPRIM_400000_NS6detail17trampoline_kernelINS0_13select_configILj256ELj13ELNS0_17block_load_methodE3ELS4_3ELS4_3ELNS0_20block_scan_algorithmE0ELj4294967295EEENS1_25partition_config_selectorILNS1_17partition_subalgoE3EjNS0_10empty_typeEbEEZZNS1_14partition_implILS8_3ELb0ES6_jNS0_17counting_iteratorIjlEEPS9_SE_NS0_5tupleIJPjSE_EEENSF_IJSE_SE_EEES9_SG_JZNS1_25segmented_radix_sort_implINS0_14default_configELb0EPKsPsPKlPlN2at6native12_GLOBAL__N_18offset_tEEE10hipError_tPvRmT1_PNSt15iterator_traitsISY_E10value_typeET2_T3_PNSZ_IS14_E10value_typeET4_jRbjT5_S1A_jjP12ihipStream_tbEUljE_EEESV_SW_SX_S14_S18_S1A_T6_T7_T9_mT8_S1C_bDpT10_ENKUlT_T0_E_clISt17integral_constantIbLb1EES1P_EEDaS1K_S1L_EUlS1K_E_NS1_11comp_targetILNS1_3genE10ELNS1_11target_archE1200ELNS1_3gpuE4ELNS1_3repE0EEENS1_30default_config_static_selectorELNS0_4arch9wavefront6targetE0EEEvSY_
		.amdhsa_group_segment_fixed_size 0
		.amdhsa_private_segment_fixed_size 0
		.amdhsa_kernarg_size 152
		.amdhsa_user_sgpr_count 2
		.amdhsa_user_sgpr_dispatch_ptr 0
		.amdhsa_user_sgpr_queue_ptr 0
		.amdhsa_user_sgpr_kernarg_segment_ptr 1
		.amdhsa_user_sgpr_dispatch_id 0
		.amdhsa_user_sgpr_kernarg_preload_length 0
		.amdhsa_user_sgpr_kernarg_preload_offset 0
		.amdhsa_user_sgpr_private_segment_size 0
		.amdhsa_wavefront_size32 1
		.amdhsa_uses_dynamic_stack 0
		.amdhsa_enable_private_segment 0
		.amdhsa_system_sgpr_workgroup_id_x 1
		.amdhsa_system_sgpr_workgroup_id_y 0
		.amdhsa_system_sgpr_workgroup_id_z 0
		.amdhsa_system_sgpr_workgroup_info 0
		.amdhsa_system_vgpr_workitem_id 0
		.amdhsa_next_free_vgpr 1
		.amdhsa_next_free_sgpr 1
		.amdhsa_named_barrier_count 0
		.amdhsa_reserve_vcc 0
		.amdhsa_float_round_mode_32 0
		.amdhsa_float_round_mode_16_64 0
		.amdhsa_float_denorm_mode_32 3
		.amdhsa_float_denorm_mode_16_64 3
		.amdhsa_fp16_overflow 0
		.amdhsa_memory_ordered 1
		.amdhsa_forward_progress 1
		.amdhsa_inst_pref_size 0
		.amdhsa_round_robin_scheduling 0
		.amdhsa_exception_fp_ieee_invalid_op 0
		.amdhsa_exception_fp_denorm_src 0
		.amdhsa_exception_fp_ieee_div_zero 0
		.amdhsa_exception_fp_ieee_overflow 0
		.amdhsa_exception_fp_ieee_underflow 0
		.amdhsa_exception_fp_ieee_inexact 0
		.amdhsa_exception_int_div_zero 0
	.end_amdhsa_kernel
	.section	.text._ZN7rocprim17ROCPRIM_400000_NS6detail17trampoline_kernelINS0_13select_configILj256ELj13ELNS0_17block_load_methodE3ELS4_3ELS4_3ELNS0_20block_scan_algorithmE0ELj4294967295EEENS1_25partition_config_selectorILNS1_17partition_subalgoE3EjNS0_10empty_typeEbEEZZNS1_14partition_implILS8_3ELb0ES6_jNS0_17counting_iteratorIjlEEPS9_SE_NS0_5tupleIJPjSE_EEENSF_IJSE_SE_EEES9_SG_JZNS1_25segmented_radix_sort_implINS0_14default_configELb0EPKsPsPKlPlN2at6native12_GLOBAL__N_18offset_tEEE10hipError_tPvRmT1_PNSt15iterator_traitsISY_E10value_typeET2_T3_PNSZ_IS14_E10value_typeET4_jRbjT5_S1A_jjP12ihipStream_tbEUljE_EEESV_SW_SX_S14_S18_S1A_T6_T7_T9_mT8_S1C_bDpT10_ENKUlT_T0_E_clISt17integral_constantIbLb1EES1P_EEDaS1K_S1L_EUlS1K_E_NS1_11comp_targetILNS1_3genE10ELNS1_11target_archE1200ELNS1_3gpuE4ELNS1_3repE0EEENS1_30default_config_static_selectorELNS0_4arch9wavefront6targetE0EEEvSY_,"axG",@progbits,_ZN7rocprim17ROCPRIM_400000_NS6detail17trampoline_kernelINS0_13select_configILj256ELj13ELNS0_17block_load_methodE3ELS4_3ELS4_3ELNS0_20block_scan_algorithmE0ELj4294967295EEENS1_25partition_config_selectorILNS1_17partition_subalgoE3EjNS0_10empty_typeEbEEZZNS1_14partition_implILS8_3ELb0ES6_jNS0_17counting_iteratorIjlEEPS9_SE_NS0_5tupleIJPjSE_EEENSF_IJSE_SE_EEES9_SG_JZNS1_25segmented_radix_sort_implINS0_14default_configELb0EPKsPsPKlPlN2at6native12_GLOBAL__N_18offset_tEEE10hipError_tPvRmT1_PNSt15iterator_traitsISY_E10value_typeET2_T3_PNSZ_IS14_E10value_typeET4_jRbjT5_S1A_jjP12ihipStream_tbEUljE_EEESV_SW_SX_S14_S18_S1A_T6_T7_T9_mT8_S1C_bDpT10_ENKUlT_T0_E_clISt17integral_constantIbLb1EES1P_EEDaS1K_S1L_EUlS1K_E_NS1_11comp_targetILNS1_3genE10ELNS1_11target_archE1200ELNS1_3gpuE4ELNS1_3repE0EEENS1_30default_config_static_selectorELNS0_4arch9wavefront6targetE0EEEvSY_,comdat
.Lfunc_end990:
	.size	_ZN7rocprim17ROCPRIM_400000_NS6detail17trampoline_kernelINS0_13select_configILj256ELj13ELNS0_17block_load_methodE3ELS4_3ELS4_3ELNS0_20block_scan_algorithmE0ELj4294967295EEENS1_25partition_config_selectorILNS1_17partition_subalgoE3EjNS0_10empty_typeEbEEZZNS1_14partition_implILS8_3ELb0ES6_jNS0_17counting_iteratorIjlEEPS9_SE_NS0_5tupleIJPjSE_EEENSF_IJSE_SE_EEES9_SG_JZNS1_25segmented_radix_sort_implINS0_14default_configELb0EPKsPsPKlPlN2at6native12_GLOBAL__N_18offset_tEEE10hipError_tPvRmT1_PNSt15iterator_traitsISY_E10value_typeET2_T3_PNSZ_IS14_E10value_typeET4_jRbjT5_S1A_jjP12ihipStream_tbEUljE_EEESV_SW_SX_S14_S18_S1A_T6_T7_T9_mT8_S1C_bDpT10_ENKUlT_T0_E_clISt17integral_constantIbLb1EES1P_EEDaS1K_S1L_EUlS1K_E_NS1_11comp_targetILNS1_3genE10ELNS1_11target_archE1200ELNS1_3gpuE4ELNS1_3repE0EEENS1_30default_config_static_selectorELNS0_4arch9wavefront6targetE0EEEvSY_, .Lfunc_end990-_ZN7rocprim17ROCPRIM_400000_NS6detail17trampoline_kernelINS0_13select_configILj256ELj13ELNS0_17block_load_methodE3ELS4_3ELS4_3ELNS0_20block_scan_algorithmE0ELj4294967295EEENS1_25partition_config_selectorILNS1_17partition_subalgoE3EjNS0_10empty_typeEbEEZZNS1_14partition_implILS8_3ELb0ES6_jNS0_17counting_iteratorIjlEEPS9_SE_NS0_5tupleIJPjSE_EEENSF_IJSE_SE_EEES9_SG_JZNS1_25segmented_radix_sort_implINS0_14default_configELb0EPKsPsPKlPlN2at6native12_GLOBAL__N_18offset_tEEE10hipError_tPvRmT1_PNSt15iterator_traitsISY_E10value_typeET2_T3_PNSZ_IS14_E10value_typeET4_jRbjT5_S1A_jjP12ihipStream_tbEUljE_EEESV_SW_SX_S14_S18_S1A_T6_T7_T9_mT8_S1C_bDpT10_ENKUlT_T0_E_clISt17integral_constantIbLb1EES1P_EEDaS1K_S1L_EUlS1K_E_NS1_11comp_targetILNS1_3genE10ELNS1_11target_archE1200ELNS1_3gpuE4ELNS1_3repE0EEENS1_30default_config_static_selectorELNS0_4arch9wavefront6targetE0EEEvSY_
                                        ; -- End function
	.set _ZN7rocprim17ROCPRIM_400000_NS6detail17trampoline_kernelINS0_13select_configILj256ELj13ELNS0_17block_load_methodE3ELS4_3ELS4_3ELNS0_20block_scan_algorithmE0ELj4294967295EEENS1_25partition_config_selectorILNS1_17partition_subalgoE3EjNS0_10empty_typeEbEEZZNS1_14partition_implILS8_3ELb0ES6_jNS0_17counting_iteratorIjlEEPS9_SE_NS0_5tupleIJPjSE_EEENSF_IJSE_SE_EEES9_SG_JZNS1_25segmented_radix_sort_implINS0_14default_configELb0EPKsPsPKlPlN2at6native12_GLOBAL__N_18offset_tEEE10hipError_tPvRmT1_PNSt15iterator_traitsISY_E10value_typeET2_T3_PNSZ_IS14_E10value_typeET4_jRbjT5_S1A_jjP12ihipStream_tbEUljE_EEESV_SW_SX_S14_S18_S1A_T6_T7_T9_mT8_S1C_bDpT10_ENKUlT_T0_E_clISt17integral_constantIbLb1EES1P_EEDaS1K_S1L_EUlS1K_E_NS1_11comp_targetILNS1_3genE10ELNS1_11target_archE1200ELNS1_3gpuE4ELNS1_3repE0EEENS1_30default_config_static_selectorELNS0_4arch9wavefront6targetE0EEEvSY_.num_vgpr, 0
	.set _ZN7rocprim17ROCPRIM_400000_NS6detail17trampoline_kernelINS0_13select_configILj256ELj13ELNS0_17block_load_methodE3ELS4_3ELS4_3ELNS0_20block_scan_algorithmE0ELj4294967295EEENS1_25partition_config_selectorILNS1_17partition_subalgoE3EjNS0_10empty_typeEbEEZZNS1_14partition_implILS8_3ELb0ES6_jNS0_17counting_iteratorIjlEEPS9_SE_NS0_5tupleIJPjSE_EEENSF_IJSE_SE_EEES9_SG_JZNS1_25segmented_radix_sort_implINS0_14default_configELb0EPKsPsPKlPlN2at6native12_GLOBAL__N_18offset_tEEE10hipError_tPvRmT1_PNSt15iterator_traitsISY_E10value_typeET2_T3_PNSZ_IS14_E10value_typeET4_jRbjT5_S1A_jjP12ihipStream_tbEUljE_EEESV_SW_SX_S14_S18_S1A_T6_T7_T9_mT8_S1C_bDpT10_ENKUlT_T0_E_clISt17integral_constantIbLb1EES1P_EEDaS1K_S1L_EUlS1K_E_NS1_11comp_targetILNS1_3genE10ELNS1_11target_archE1200ELNS1_3gpuE4ELNS1_3repE0EEENS1_30default_config_static_selectorELNS0_4arch9wavefront6targetE0EEEvSY_.num_agpr, 0
	.set _ZN7rocprim17ROCPRIM_400000_NS6detail17trampoline_kernelINS0_13select_configILj256ELj13ELNS0_17block_load_methodE3ELS4_3ELS4_3ELNS0_20block_scan_algorithmE0ELj4294967295EEENS1_25partition_config_selectorILNS1_17partition_subalgoE3EjNS0_10empty_typeEbEEZZNS1_14partition_implILS8_3ELb0ES6_jNS0_17counting_iteratorIjlEEPS9_SE_NS0_5tupleIJPjSE_EEENSF_IJSE_SE_EEES9_SG_JZNS1_25segmented_radix_sort_implINS0_14default_configELb0EPKsPsPKlPlN2at6native12_GLOBAL__N_18offset_tEEE10hipError_tPvRmT1_PNSt15iterator_traitsISY_E10value_typeET2_T3_PNSZ_IS14_E10value_typeET4_jRbjT5_S1A_jjP12ihipStream_tbEUljE_EEESV_SW_SX_S14_S18_S1A_T6_T7_T9_mT8_S1C_bDpT10_ENKUlT_T0_E_clISt17integral_constantIbLb1EES1P_EEDaS1K_S1L_EUlS1K_E_NS1_11comp_targetILNS1_3genE10ELNS1_11target_archE1200ELNS1_3gpuE4ELNS1_3repE0EEENS1_30default_config_static_selectorELNS0_4arch9wavefront6targetE0EEEvSY_.numbered_sgpr, 0
	.set _ZN7rocprim17ROCPRIM_400000_NS6detail17trampoline_kernelINS0_13select_configILj256ELj13ELNS0_17block_load_methodE3ELS4_3ELS4_3ELNS0_20block_scan_algorithmE0ELj4294967295EEENS1_25partition_config_selectorILNS1_17partition_subalgoE3EjNS0_10empty_typeEbEEZZNS1_14partition_implILS8_3ELb0ES6_jNS0_17counting_iteratorIjlEEPS9_SE_NS0_5tupleIJPjSE_EEENSF_IJSE_SE_EEES9_SG_JZNS1_25segmented_radix_sort_implINS0_14default_configELb0EPKsPsPKlPlN2at6native12_GLOBAL__N_18offset_tEEE10hipError_tPvRmT1_PNSt15iterator_traitsISY_E10value_typeET2_T3_PNSZ_IS14_E10value_typeET4_jRbjT5_S1A_jjP12ihipStream_tbEUljE_EEESV_SW_SX_S14_S18_S1A_T6_T7_T9_mT8_S1C_bDpT10_ENKUlT_T0_E_clISt17integral_constantIbLb1EES1P_EEDaS1K_S1L_EUlS1K_E_NS1_11comp_targetILNS1_3genE10ELNS1_11target_archE1200ELNS1_3gpuE4ELNS1_3repE0EEENS1_30default_config_static_selectorELNS0_4arch9wavefront6targetE0EEEvSY_.num_named_barrier, 0
	.set _ZN7rocprim17ROCPRIM_400000_NS6detail17trampoline_kernelINS0_13select_configILj256ELj13ELNS0_17block_load_methodE3ELS4_3ELS4_3ELNS0_20block_scan_algorithmE0ELj4294967295EEENS1_25partition_config_selectorILNS1_17partition_subalgoE3EjNS0_10empty_typeEbEEZZNS1_14partition_implILS8_3ELb0ES6_jNS0_17counting_iteratorIjlEEPS9_SE_NS0_5tupleIJPjSE_EEENSF_IJSE_SE_EEES9_SG_JZNS1_25segmented_radix_sort_implINS0_14default_configELb0EPKsPsPKlPlN2at6native12_GLOBAL__N_18offset_tEEE10hipError_tPvRmT1_PNSt15iterator_traitsISY_E10value_typeET2_T3_PNSZ_IS14_E10value_typeET4_jRbjT5_S1A_jjP12ihipStream_tbEUljE_EEESV_SW_SX_S14_S18_S1A_T6_T7_T9_mT8_S1C_bDpT10_ENKUlT_T0_E_clISt17integral_constantIbLb1EES1P_EEDaS1K_S1L_EUlS1K_E_NS1_11comp_targetILNS1_3genE10ELNS1_11target_archE1200ELNS1_3gpuE4ELNS1_3repE0EEENS1_30default_config_static_selectorELNS0_4arch9wavefront6targetE0EEEvSY_.private_seg_size, 0
	.set _ZN7rocprim17ROCPRIM_400000_NS6detail17trampoline_kernelINS0_13select_configILj256ELj13ELNS0_17block_load_methodE3ELS4_3ELS4_3ELNS0_20block_scan_algorithmE0ELj4294967295EEENS1_25partition_config_selectorILNS1_17partition_subalgoE3EjNS0_10empty_typeEbEEZZNS1_14partition_implILS8_3ELb0ES6_jNS0_17counting_iteratorIjlEEPS9_SE_NS0_5tupleIJPjSE_EEENSF_IJSE_SE_EEES9_SG_JZNS1_25segmented_radix_sort_implINS0_14default_configELb0EPKsPsPKlPlN2at6native12_GLOBAL__N_18offset_tEEE10hipError_tPvRmT1_PNSt15iterator_traitsISY_E10value_typeET2_T3_PNSZ_IS14_E10value_typeET4_jRbjT5_S1A_jjP12ihipStream_tbEUljE_EEESV_SW_SX_S14_S18_S1A_T6_T7_T9_mT8_S1C_bDpT10_ENKUlT_T0_E_clISt17integral_constantIbLb1EES1P_EEDaS1K_S1L_EUlS1K_E_NS1_11comp_targetILNS1_3genE10ELNS1_11target_archE1200ELNS1_3gpuE4ELNS1_3repE0EEENS1_30default_config_static_selectorELNS0_4arch9wavefront6targetE0EEEvSY_.uses_vcc, 0
	.set _ZN7rocprim17ROCPRIM_400000_NS6detail17trampoline_kernelINS0_13select_configILj256ELj13ELNS0_17block_load_methodE3ELS4_3ELS4_3ELNS0_20block_scan_algorithmE0ELj4294967295EEENS1_25partition_config_selectorILNS1_17partition_subalgoE3EjNS0_10empty_typeEbEEZZNS1_14partition_implILS8_3ELb0ES6_jNS0_17counting_iteratorIjlEEPS9_SE_NS0_5tupleIJPjSE_EEENSF_IJSE_SE_EEES9_SG_JZNS1_25segmented_radix_sort_implINS0_14default_configELb0EPKsPsPKlPlN2at6native12_GLOBAL__N_18offset_tEEE10hipError_tPvRmT1_PNSt15iterator_traitsISY_E10value_typeET2_T3_PNSZ_IS14_E10value_typeET4_jRbjT5_S1A_jjP12ihipStream_tbEUljE_EEESV_SW_SX_S14_S18_S1A_T6_T7_T9_mT8_S1C_bDpT10_ENKUlT_T0_E_clISt17integral_constantIbLb1EES1P_EEDaS1K_S1L_EUlS1K_E_NS1_11comp_targetILNS1_3genE10ELNS1_11target_archE1200ELNS1_3gpuE4ELNS1_3repE0EEENS1_30default_config_static_selectorELNS0_4arch9wavefront6targetE0EEEvSY_.uses_flat_scratch, 0
	.set _ZN7rocprim17ROCPRIM_400000_NS6detail17trampoline_kernelINS0_13select_configILj256ELj13ELNS0_17block_load_methodE3ELS4_3ELS4_3ELNS0_20block_scan_algorithmE0ELj4294967295EEENS1_25partition_config_selectorILNS1_17partition_subalgoE3EjNS0_10empty_typeEbEEZZNS1_14partition_implILS8_3ELb0ES6_jNS0_17counting_iteratorIjlEEPS9_SE_NS0_5tupleIJPjSE_EEENSF_IJSE_SE_EEES9_SG_JZNS1_25segmented_radix_sort_implINS0_14default_configELb0EPKsPsPKlPlN2at6native12_GLOBAL__N_18offset_tEEE10hipError_tPvRmT1_PNSt15iterator_traitsISY_E10value_typeET2_T3_PNSZ_IS14_E10value_typeET4_jRbjT5_S1A_jjP12ihipStream_tbEUljE_EEESV_SW_SX_S14_S18_S1A_T6_T7_T9_mT8_S1C_bDpT10_ENKUlT_T0_E_clISt17integral_constantIbLb1EES1P_EEDaS1K_S1L_EUlS1K_E_NS1_11comp_targetILNS1_3genE10ELNS1_11target_archE1200ELNS1_3gpuE4ELNS1_3repE0EEENS1_30default_config_static_selectorELNS0_4arch9wavefront6targetE0EEEvSY_.has_dyn_sized_stack, 0
	.set _ZN7rocprim17ROCPRIM_400000_NS6detail17trampoline_kernelINS0_13select_configILj256ELj13ELNS0_17block_load_methodE3ELS4_3ELS4_3ELNS0_20block_scan_algorithmE0ELj4294967295EEENS1_25partition_config_selectorILNS1_17partition_subalgoE3EjNS0_10empty_typeEbEEZZNS1_14partition_implILS8_3ELb0ES6_jNS0_17counting_iteratorIjlEEPS9_SE_NS0_5tupleIJPjSE_EEENSF_IJSE_SE_EEES9_SG_JZNS1_25segmented_radix_sort_implINS0_14default_configELb0EPKsPsPKlPlN2at6native12_GLOBAL__N_18offset_tEEE10hipError_tPvRmT1_PNSt15iterator_traitsISY_E10value_typeET2_T3_PNSZ_IS14_E10value_typeET4_jRbjT5_S1A_jjP12ihipStream_tbEUljE_EEESV_SW_SX_S14_S18_S1A_T6_T7_T9_mT8_S1C_bDpT10_ENKUlT_T0_E_clISt17integral_constantIbLb1EES1P_EEDaS1K_S1L_EUlS1K_E_NS1_11comp_targetILNS1_3genE10ELNS1_11target_archE1200ELNS1_3gpuE4ELNS1_3repE0EEENS1_30default_config_static_selectorELNS0_4arch9wavefront6targetE0EEEvSY_.has_recursion, 0
	.set _ZN7rocprim17ROCPRIM_400000_NS6detail17trampoline_kernelINS0_13select_configILj256ELj13ELNS0_17block_load_methodE3ELS4_3ELS4_3ELNS0_20block_scan_algorithmE0ELj4294967295EEENS1_25partition_config_selectorILNS1_17partition_subalgoE3EjNS0_10empty_typeEbEEZZNS1_14partition_implILS8_3ELb0ES6_jNS0_17counting_iteratorIjlEEPS9_SE_NS0_5tupleIJPjSE_EEENSF_IJSE_SE_EEES9_SG_JZNS1_25segmented_radix_sort_implINS0_14default_configELb0EPKsPsPKlPlN2at6native12_GLOBAL__N_18offset_tEEE10hipError_tPvRmT1_PNSt15iterator_traitsISY_E10value_typeET2_T3_PNSZ_IS14_E10value_typeET4_jRbjT5_S1A_jjP12ihipStream_tbEUljE_EEESV_SW_SX_S14_S18_S1A_T6_T7_T9_mT8_S1C_bDpT10_ENKUlT_T0_E_clISt17integral_constantIbLb1EES1P_EEDaS1K_S1L_EUlS1K_E_NS1_11comp_targetILNS1_3genE10ELNS1_11target_archE1200ELNS1_3gpuE4ELNS1_3repE0EEENS1_30default_config_static_selectorELNS0_4arch9wavefront6targetE0EEEvSY_.has_indirect_call, 0
	.section	.AMDGPU.csdata,"",@progbits
; Kernel info:
; codeLenInByte = 0
; TotalNumSgprs: 0
; NumVgprs: 0
; ScratchSize: 0
; MemoryBound: 0
; FloatMode: 240
; IeeeMode: 1
; LDSByteSize: 0 bytes/workgroup (compile time only)
; SGPRBlocks: 0
; VGPRBlocks: 0
; NumSGPRsForWavesPerEU: 1
; NumVGPRsForWavesPerEU: 1
; NamedBarCnt: 0
; Occupancy: 16
; WaveLimiterHint : 0
; COMPUTE_PGM_RSRC2:SCRATCH_EN: 0
; COMPUTE_PGM_RSRC2:USER_SGPR: 2
; COMPUTE_PGM_RSRC2:TRAP_HANDLER: 0
; COMPUTE_PGM_RSRC2:TGID_X_EN: 1
; COMPUTE_PGM_RSRC2:TGID_Y_EN: 0
; COMPUTE_PGM_RSRC2:TGID_Z_EN: 0
; COMPUTE_PGM_RSRC2:TIDIG_COMP_CNT: 0
	.section	.text._ZN7rocprim17ROCPRIM_400000_NS6detail17trampoline_kernelINS0_13select_configILj256ELj13ELNS0_17block_load_methodE3ELS4_3ELS4_3ELNS0_20block_scan_algorithmE0ELj4294967295EEENS1_25partition_config_selectorILNS1_17partition_subalgoE3EjNS0_10empty_typeEbEEZZNS1_14partition_implILS8_3ELb0ES6_jNS0_17counting_iteratorIjlEEPS9_SE_NS0_5tupleIJPjSE_EEENSF_IJSE_SE_EEES9_SG_JZNS1_25segmented_radix_sort_implINS0_14default_configELb0EPKsPsPKlPlN2at6native12_GLOBAL__N_18offset_tEEE10hipError_tPvRmT1_PNSt15iterator_traitsISY_E10value_typeET2_T3_PNSZ_IS14_E10value_typeET4_jRbjT5_S1A_jjP12ihipStream_tbEUljE_EEESV_SW_SX_S14_S18_S1A_T6_T7_T9_mT8_S1C_bDpT10_ENKUlT_T0_E_clISt17integral_constantIbLb1EES1P_EEDaS1K_S1L_EUlS1K_E_NS1_11comp_targetILNS1_3genE9ELNS1_11target_archE1100ELNS1_3gpuE3ELNS1_3repE0EEENS1_30default_config_static_selectorELNS0_4arch9wavefront6targetE0EEEvSY_,"axG",@progbits,_ZN7rocprim17ROCPRIM_400000_NS6detail17trampoline_kernelINS0_13select_configILj256ELj13ELNS0_17block_load_methodE3ELS4_3ELS4_3ELNS0_20block_scan_algorithmE0ELj4294967295EEENS1_25partition_config_selectorILNS1_17partition_subalgoE3EjNS0_10empty_typeEbEEZZNS1_14partition_implILS8_3ELb0ES6_jNS0_17counting_iteratorIjlEEPS9_SE_NS0_5tupleIJPjSE_EEENSF_IJSE_SE_EEES9_SG_JZNS1_25segmented_radix_sort_implINS0_14default_configELb0EPKsPsPKlPlN2at6native12_GLOBAL__N_18offset_tEEE10hipError_tPvRmT1_PNSt15iterator_traitsISY_E10value_typeET2_T3_PNSZ_IS14_E10value_typeET4_jRbjT5_S1A_jjP12ihipStream_tbEUljE_EEESV_SW_SX_S14_S18_S1A_T6_T7_T9_mT8_S1C_bDpT10_ENKUlT_T0_E_clISt17integral_constantIbLb1EES1P_EEDaS1K_S1L_EUlS1K_E_NS1_11comp_targetILNS1_3genE9ELNS1_11target_archE1100ELNS1_3gpuE3ELNS1_3repE0EEENS1_30default_config_static_selectorELNS0_4arch9wavefront6targetE0EEEvSY_,comdat
	.globl	_ZN7rocprim17ROCPRIM_400000_NS6detail17trampoline_kernelINS0_13select_configILj256ELj13ELNS0_17block_load_methodE3ELS4_3ELS4_3ELNS0_20block_scan_algorithmE0ELj4294967295EEENS1_25partition_config_selectorILNS1_17partition_subalgoE3EjNS0_10empty_typeEbEEZZNS1_14partition_implILS8_3ELb0ES6_jNS0_17counting_iteratorIjlEEPS9_SE_NS0_5tupleIJPjSE_EEENSF_IJSE_SE_EEES9_SG_JZNS1_25segmented_radix_sort_implINS0_14default_configELb0EPKsPsPKlPlN2at6native12_GLOBAL__N_18offset_tEEE10hipError_tPvRmT1_PNSt15iterator_traitsISY_E10value_typeET2_T3_PNSZ_IS14_E10value_typeET4_jRbjT5_S1A_jjP12ihipStream_tbEUljE_EEESV_SW_SX_S14_S18_S1A_T6_T7_T9_mT8_S1C_bDpT10_ENKUlT_T0_E_clISt17integral_constantIbLb1EES1P_EEDaS1K_S1L_EUlS1K_E_NS1_11comp_targetILNS1_3genE9ELNS1_11target_archE1100ELNS1_3gpuE3ELNS1_3repE0EEENS1_30default_config_static_selectorELNS0_4arch9wavefront6targetE0EEEvSY_ ; -- Begin function _ZN7rocprim17ROCPRIM_400000_NS6detail17trampoline_kernelINS0_13select_configILj256ELj13ELNS0_17block_load_methodE3ELS4_3ELS4_3ELNS0_20block_scan_algorithmE0ELj4294967295EEENS1_25partition_config_selectorILNS1_17partition_subalgoE3EjNS0_10empty_typeEbEEZZNS1_14partition_implILS8_3ELb0ES6_jNS0_17counting_iteratorIjlEEPS9_SE_NS0_5tupleIJPjSE_EEENSF_IJSE_SE_EEES9_SG_JZNS1_25segmented_radix_sort_implINS0_14default_configELb0EPKsPsPKlPlN2at6native12_GLOBAL__N_18offset_tEEE10hipError_tPvRmT1_PNSt15iterator_traitsISY_E10value_typeET2_T3_PNSZ_IS14_E10value_typeET4_jRbjT5_S1A_jjP12ihipStream_tbEUljE_EEESV_SW_SX_S14_S18_S1A_T6_T7_T9_mT8_S1C_bDpT10_ENKUlT_T0_E_clISt17integral_constantIbLb1EES1P_EEDaS1K_S1L_EUlS1K_E_NS1_11comp_targetILNS1_3genE9ELNS1_11target_archE1100ELNS1_3gpuE3ELNS1_3repE0EEENS1_30default_config_static_selectorELNS0_4arch9wavefront6targetE0EEEvSY_
	.p2align	8
	.type	_ZN7rocprim17ROCPRIM_400000_NS6detail17trampoline_kernelINS0_13select_configILj256ELj13ELNS0_17block_load_methodE3ELS4_3ELS4_3ELNS0_20block_scan_algorithmE0ELj4294967295EEENS1_25partition_config_selectorILNS1_17partition_subalgoE3EjNS0_10empty_typeEbEEZZNS1_14partition_implILS8_3ELb0ES6_jNS0_17counting_iteratorIjlEEPS9_SE_NS0_5tupleIJPjSE_EEENSF_IJSE_SE_EEES9_SG_JZNS1_25segmented_radix_sort_implINS0_14default_configELb0EPKsPsPKlPlN2at6native12_GLOBAL__N_18offset_tEEE10hipError_tPvRmT1_PNSt15iterator_traitsISY_E10value_typeET2_T3_PNSZ_IS14_E10value_typeET4_jRbjT5_S1A_jjP12ihipStream_tbEUljE_EEESV_SW_SX_S14_S18_S1A_T6_T7_T9_mT8_S1C_bDpT10_ENKUlT_T0_E_clISt17integral_constantIbLb1EES1P_EEDaS1K_S1L_EUlS1K_E_NS1_11comp_targetILNS1_3genE9ELNS1_11target_archE1100ELNS1_3gpuE3ELNS1_3repE0EEENS1_30default_config_static_selectorELNS0_4arch9wavefront6targetE0EEEvSY_,@function
_ZN7rocprim17ROCPRIM_400000_NS6detail17trampoline_kernelINS0_13select_configILj256ELj13ELNS0_17block_load_methodE3ELS4_3ELS4_3ELNS0_20block_scan_algorithmE0ELj4294967295EEENS1_25partition_config_selectorILNS1_17partition_subalgoE3EjNS0_10empty_typeEbEEZZNS1_14partition_implILS8_3ELb0ES6_jNS0_17counting_iteratorIjlEEPS9_SE_NS0_5tupleIJPjSE_EEENSF_IJSE_SE_EEES9_SG_JZNS1_25segmented_radix_sort_implINS0_14default_configELb0EPKsPsPKlPlN2at6native12_GLOBAL__N_18offset_tEEE10hipError_tPvRmT1_PNSt15iterator_traitsISY_E10value_typeET2_T3_PNSZ_IS14_E10value_typeET4_jRbjT5_S1A_jjP12ihipStream_tbEUljE_EEESV_SW_SX_S14_S18_S1A_T6_T7_T9_mT8_S1C_bDpT10_ENKUlT_T0_E_clISt17integral_constantIbLb1EES1P_EEDaS1K_S1L_EUlS1K_E_NS1_11comp_targetILNS1_3genE9ELNS1_11target_archE1100ELNS1_3gpuE3ELNS1_3repE0EEENS1_30default_config_static_selectorELNS0_4arch9wavefront6targetE0EEEvSY_: ; @_ZN7rocprim17ROCPRIM_400000_NS6detail17trampoline_kernelINS0_13select_configILj256ELj13ELNS0_17block_load_methodE3ELS4_3ELS4_3ELNS0_20block_scan_algorithmE0ELj4294967295EEENS1_25partition_config_selectorILNS1_17partition_subalgoE3EjNS0_10empty_typeEbEEZZNS1_14partition_implILS8_3ELb0ES6_jNS0_17counting_iteratorIjlEEPS9_SE_NS0_5tupleIJPjSE_EEENSF_IJSE_SE_EEES9_SG_JZNS1_25segmented_radix_sort_implINS0_14default_configELb0EPKsPsPKlPlN2at6native12_GLOBAL__N_18offset_tEEE10hipError_tPvRmT1_PNSt15iterator_traitsISY_E10value_typeET2_T3_PNSZ_IS14_E10value_typeET4_jRbjT5_S1A_jjP12ihipStream_tbEUljE_EEESV_SW_SX_S14_S18_S1A_T6_T7_T9_mT8_S1C_bDpT10_ENKUlT_T0_E_clISt17integral_constantIbLb1EES1P_EEDaS1K_S1L_EUlS1K_E_NS1_11comp_targetILNS1_3genE9ELNS1_11target_archE1100ELNS1_3gpuE3ELNS1_3repE0EEENS1_30default_config_static_selectorELNS0_4arch9wavefront6targetE0EEEvSY_
; %bb.0:
	.section	.rodata,"a",@progbits
	.p2align	6, 0x0
	.amdhsa_kernel _ZN7rocprim17ROCPRIM_400000_NS6detail17trampoline_kernelINS0_13select_configILj256ELj13ELNS0_17block_load_methodE3ELS4_3ELS4_3ELNS0_20block_scan_algorithmE0ELj4294967295EEENS1_25partition_config_selectorILNS1_17partition_subalgoE3EjNS0_10empty_typeEbEEZZNS1_14partition_implILS8_3ELb0ES6_jNS0_17counting_iteratorIjlEEPS9_SE_NS0_5tupleIJPjSE_EEENSF_IJSE_SE_EEES9_SG_JZNS1_25segmented_radix_sort_implINS0_14default_configELb0EPKsPsPKlPlN2at6native12_GLOBAL__N_18offset_tEEE10hipError_tPvRmT1_PNSt15iterator_traitsISY_E10value_typeET2_T3_PNSZ_IS14_E10value_typeET4_jRbjT5_S1A_jjP12ihipStream_tbEUljE_EEESV_SW_SX_S14_S18_S1A_T6_T7_T9_mT8_S1C_bDpT10_ENKUlT_T0_E_clISt17integral_constantIbLb1EES1P_EEDaS1K_S1L_EUlS1K_E_NS1_11comp_targetILNS1_3genE9ELNS1_11target_archE1100ELNS1_3gpuE3ELNS1_3repE0EEENS1_30default_config_static_selectorELNS0_4arch9wavefront6targetE0EEEvSY_
		.amdhsa_group_segment_fixed_size 0
		.amdhsa_private_segment_fixed_size 0
		.amdhsa_kernarg_size 152
		.amdhsa_user_sgpr_count 2
		.amdhsa_user_sgpr_dispatch_ptr 0
		.amdhsa_user_sgpr_queue_ptr 0
		.amdhsa_user_sgpr_kernarg_segment_ptr 1
		.amdhsa_user_sgpr_dispatch_id 0
		.amdhsa_user_sgpr_kernarg_preload_length 0
		.amdhsa_user_sgpr_kernarg_preload_offset 0
		.amdhsa_user_sgpr_private_segment_size 0
		.amdhsa_wavefront_size32 1
		.amdhsa_uses_dynamic_stack 0
		.amdhsa_enable_private_segment 0
		.amdhsa_system_sgpr_workgroup_id_x 1
		.amdhsa_system_sgpr_workgroup_id_y 0
		.amdhsa_system_sgpr_workgroup_id_z 0
		.amdhsa_system_sgpr_workgroup_info 0
		.amdhsa_system_vgpr_workitem_id 0
		.amdhsa_next_free_vgpr 1
		.amdhsa_next_free_sgpr 1
		.amdhsa_named_barrier_count 0
		.amdhsa_reserve_vcc 0
		.amdhsa_float_round_mode_32 0
		.amdhsa_float_round_mode_16_64 0
		.amdhsa_float_denorm_mode_32 3
		.amdhsa_float_denorm_mode_16_64 3
		.amdhsa_fp16_overflow 0
		.amdhsa_memory_ordered 1
		.amdhsa_forward_progress 1
		.amdhsa_inst_pref_size 0
		.amdhsa_round_robin_scheduling 0
		.amdhsa_exception_fp_ieee_invalid_op 0
		.amdhsa_exception_fp_denorm_src 0
		.amdhsa_exception_fp_ieee_div_zero 0
		.amdhsa_exception_fp_ieee_overflow 0
		.amdhsa_exception_fp_ieee_underflow 0
		.amdhsa_exception_fp_ieee_inexact 0
		.amdhsa_exception_int_div_zero 0
	.end_amdhsa_kernel
	.section	.text._ZN7rocprim17ROCPRIM_400000_NS6detail17trampoline_kernelINS0_13select_configILj256ELj13ELNS0_17block_load_methodE3ELS4_3ELS4_3ELNS0_20block_scan_algorithmE0ELj4294967295EEENS1_25partition_config_selectorILNS1_17partition_subalgoE3EjNS0_10empty_typeEbEEZZNS1_14partition_implILS8_3ELb0ES6_jNS0_17counting_iteratorIjlEEPS9_SE_NS0_5tupleIJPjSE_EEENSF_IJSE_SE_EEES9_SG_JZNS1_25segmented_radix_sort_implINS0_14default_configELb0EPKsPsPKlPlN2at6native12_GLOBAL__N_18offset_tEEE10hipError_tPvRmT1_PNSt15iterator_traitsISY_E10value_typeET2_T3_PNSZ_IS14_E10value_typeET4_jRbjT5_S1A_jjP12ihipStream_tbEUljE_EEESV_SW_SX_S14_S18_S1A_T6_T7_T9_mT8_S1C_bDpT10_ENKUlT_T0_E_clISt17integral_constantIbLb1EES1P_EEDaS1K_S1L_EUlS1K_E_NS1_11comp_targetILNS1_3genE9ELNS1_11target_archE1100ELNS1_3gpuE3ELNS1_3repE0EEENS1_30default_config_static_selectorELNS0_4arch9wavefront6targetE0EEEvSY_,"axG",@progbits,_ZN7rocprim17ROCPRIM_400000_NS6detail17trampoline_kernelINS0_13select_configILj256ELj13ELNS0_17block_load_methodE3ELS4_3ELS4_3ELNS0_20block_scan_algorithmE0ELj4294967295EEENS1_25partition_config_selectorILNS1_17partition_subalgoE3EjNS0_10empty_typeEbEEZZNS1_14partition_implILS8_3ELb0ES6_jNS0_17counting_iteratorIjlEEPS9_SE_NS0_5tupleIJPjSE_EEENSF_IJSE_SE_EEES9_SG_JZNS1_25segmented_radix_sort_implINS0_14default_configELb0EPKsPsPKlPlN2at6native12_GLOBAL__N_18offset_tEEE10hipError_tPvRmT1_PNSt15iterator_traitsISY_E10value_typeET2_T3_PNSZ_IS14_E10value_typeET4_jRbjT5_S1A_jjP12ihipStream_tbEUljE_EEESV_SW_SX_S14_S18_S1A_T6_T7_T9_mT8_S1C_bDpT10_ENKUlT_T0_E_clISt17integral_constantIbLb1EES1P_EEDaS1K_S1L_EUlS1K_E_NS1_11comp_targetILNS1_3genE9ELNS1_11target_archE1100ELNS1_3gpuE3ELNS1_3repE0EEENS1_30default_config_static_selectorELNS0_4arch9wavefront6targetE0EEEvSY_,comdat
.Lfunc_end991:
	.size	_ZN7rocprim17ROCPRIM_400000_NS6detail17trampoline_kernelINS0_13select_configILj256ELj13ELNS0_17block_load_methodE3ELS4_3ELS4_3ELNS0_20block_scan_algorithmE0ELj4294967295EEENS1_25partition_config_selectorILNS1_17partition_subalgoE3EjNS0_10empty_typeEbEEZZNS1_14partition_implILS8_3ELb0ES6_jNS0_17counting_iteratorIjlEEPS9_SE_NS0_5tupleIJPjSE_EEENSF_IJSE_SE_EEES9_SG_JZNS1_25segmented_radix_sort_implINS0_14default_configELb0EPKsPsPKlPlN2at6native12_GLOBAL__N_18offset_tEEE10hipError_tPvRmT1_PNSt15iterator_traitsISY_E10value_typeET2_T3_PNSZ_IS14_E10value_typeET4_jRbjT5_S1A_jjP12ihipStream_tbEUljE_EEESV_SW_SX_S14_S18_S1A_T6_T7_T9_mT8_S1C_bDpT10_ENKUlT_T0_E_clISt17integral_constantIbLb1EES1P_EEDaS1K_S1L_EUlS1K_E_NS1_11comp_targetILNS1_3genE9ELNS1_11target_archE1100ELNS1_3gpuE3ELNS1_3repE0EEENS1_30default_config_static_selectorELNS0_4arch9wavefront6targetE0EEEvSY_, .Lfunc_end991-_ZN7rocprim17ROCPRIM_400000_NS6detail17trampoline_kernelINS0_13select_configILj256ELj13ELNS0_17block_load_methodE3ELS4_3ELS4_3ELNS0_20block_scan_algorithmE0ELj4294967295EEENS1_25partition_config_selectorILNS1_17partition_subalgoE3EjNS0_10empty_typeEbEEZZNS1_14partition_implILS8_3ELb0ES6_jNS0_17counting_iteratorIjlEEPS9_SE_NS0_5tupleIJPjSE_EEENSF_IJSE_SE_EEES9_SG_JZNS1_25segmented_radix_sort_implINS0_14default_configELb0EPKsPsPKlPlN2at6native12_GLOBAL__N_18offset_tEEE10hipError_tPvRmT1_PNSt15iterator_traitsISY_E10value_typeET2_T3_PNSZ_IS14_E10value_typeET4_jRbjT5_S1A_jjP12ihipStream_tbEUljE_EEESV_SW_SX_S14_S18_S1A_T6_T7_T9_mT8_S1C_bDpT10_ENKUlT_T0_E_clISt17integral_constantIbLb1EES1P_EEDaS1K_S1L_EUlS1K_E_NS1_11comp_targetILNS1_3genE9ELNS1_11target_archE1100ELNS1_3gpuE3ELNS1_3repE0EEENS1_30default_config_static_selectorELNS0_4arch9wavefront6targetE0EEEvSY_
                                        ; -- End function
	.set _ZN7rocprim17ROCPRIM_400000_NS6detail17trampoline_kernelINS0_13select_configILj256ELj13ELNS0_17block_load_methodE3ELS4_3ELS4_3ELNS0_20block_scan_algorithmE0ELj4294967295EEENS1_25partition_config_selectorILNS1_17partition_subalgoE3EjNS0_10empty_typeEbEEZZNS1_14partition_implILS8_3ELb0ES6_jNS0_17counting_iteratorIjlEEPS9_SE_NS0_5tupleIJPjSE_EEENSF_IJSE_SE_EEES9_SG_JZNS1_25segmented_radix_sort_implINS0_14default_configELb0EPKsPsPKlPlN2at6native12_GLOBAL__N_18offset_tEEE10hipError_tPvRmT1_PNSt15iterator_traitsISY_E10value_typeET2_T3_PNSZ_IS14_E10value_typeET4_jRbjT5_S1A_jjP12ihipStream_tbEUljE_EEESV_SW_SX_S14_S18_S1A_T6_T7_T9_mT8_S1C_bDpT10_ENKUlT_T0_E_clISt17integral_constantIbLb1EES1P_EEDaS1K_S1L_EUlS1K_E_NS1_11comp_targetILNS1_3genE9ELNS1_11target_archE1100ELNS1_3gpuE3ELNS1_3repE0EEENS1_30default_config_static_selectorELNS0_4arch9wavefront6targetE0EEEvSY_.num_vgpr, 0
	.set _ZN7rocprim17ROCPRIM_400000_NS6detail17trampoline_kernelINS0_13select_configILj256ELj13ELNS0_17block_load_methodE3ELS4_3ELS4_3ELNS0_20block_scan_algorithmE0ELj4294967295EEENS1_25partition_config_selectorILNS1_17partition_subalgoE3EjNS0_10empty_typeEbEEZZNS1_14partition_implILS8_3ELb0ES6_jNS0_17counting_iteratorIjlEEPS9_SE_NS0_5tupleIJPjSE_EEENSF_IJSE_SE_EEES9_SG_JZNS1_25segmented_radix_sort_implINS0_14default_configELb0EPKsPsPKlPlN2at6native12_GLOBAL__N_18offset_tEEE10hipError_tPvRmT1_PNSt15iterator_traitsISY_E10value_typeET2_T3_PNSZ_IS14_E10value_typeET4_jRbjT5_S1A_jjP12ihipStream_tbEUljE_EEESV_SW_SX_S14_S18_S1A_T6_T7_T9_mT8_S1C_bDpT10_ENKUlT_T0_E_clISt17integral_constantIbLb1EES1P_EEDaS1K_S1L_EUlS1K_E_NS1_11comp_targetILNS1_3genE9ELNS1_11target_archE1100ELNS1_3gpuE3ELNS1_3repE0EEENS1_30default_config_static_selectorELNS0_4arch9wavefront6targetE0EEEvSY_.num_agpr, 0
	.set _ZN7rocprim17ROCPRIM_400000_NS6detail17trampoline_kernelINS0_13select_configILj256ELj13ELNS0_17block_load_methodE3ELS4_3ELS4_3ELNS0_20block_scan_algorithmE0ELj4294967295EEENS1_25partition_config_selectorILNS1_17partition_subalgoE3EjNS0_10empty_typeEbEEZZNS1_14partition_implILS8_3ELb0ES6_jNS0_17counting_iteratorIjlEEPS9_SE_NS0_5tupleIJPjSE_EEENSF_IJSE_SE_EEES9_SG_JZNS1_25segmented_radix_sort_implINS0_14default_configELb0EPKsPsPKlPlN2at6native12_GLOBAL__N_18offset_tEEE10hipError_tPvRmT1_PNSt15iterator_traitsISY_E10value_typeET2_T3_PNSZ_IS14_E10value_typeET4_jRbjT5_S1A_jjP12ihipStream_tbEUljE_EEESV_SW_SX_S14_S18_S1A_T6_T7_T9_mT8_S1C_bDpT10_ENKUlT_T0_E_clISt17integral_constantIbLb1EES1P_EEDaS1K_S1L_EUlS1K_E_NS1_11comp_targetILNS1_3genE9ELNS1_11target_archE1100ELNS1_3gpuE3ELNS1_3repE0EEENS1_30default_config_static_selectorELNS0_4arch9wavefront6targetE0EEEvSY_.numbered_sgpr, 0
	.set _ZN7rocprim17ROCPRIM_400000_NS6detail17trampoline_kernelINS0_13select_configILj256ELj13ELNS0_17block_load_methodE3ELS4_3ELS4_3ELNS0_20block_scan_algorithmE0ELj4294967295EEENS1_25partition_config_selectorILNS1_17partition_subalgoE3EjNS0_10empty_typeEbEEZZNS1_14partition_implILS8_3ELb0ES6_jNS0_17counting_iteratorIjlEEPS9_SE_NS0_5tupleIJPjSE_EEENSF_IJSE_SE_EEES9_SG_JZNS1_25segmented_radix_sort_implINS0_14default_configELb0EPKsPsPKlPlN2at6native12_GLOBAL__N_18offset_tEEE10hipError_tPvRmT1_PNSt15iterator_traitsISY_E10value_typeET2_T3_PNSZ_IS14_E10value_typeET4_jRbjT5_S1A_jjP12ihipStream_tbEUljE_EEESV_SW_SX_S14_S18_S1A_T6_T7_T9_mT8_S1C_bDpT10_ENKUlT_T0_E_clISt17integral_constantIbLb1EES1P_EEDaS1K_S1L_EUlS1K_E_NS1_11comp_targetILNS1_3genE9ELNS1_11target_archE1100ELNS1_3gpuE3ELNS1_3repE0EEENS1_30default_config_static_selectorELNS0_4arch9wavefront6targetE0EEEvSY_.num_named_barrier, 0
	.set _ZN7rocprim17ROCPRIM_400000_NS6detail17trampoline_kernelINS0_13select_configILj256ELj13ELNS0_17block_load_methodE3ELS4_3ELS4_3ELNS0_20block_scan_algorithmE0ELj4294967295EEENS1_25partition_config_selectorILNS1_17partition_subalgoE3EjNS0_10empty_typeEbEEZZNS1_14partition_implILS8_3ELb0ES6_jNS0_17counting_iteratorIjlEEPS9_SE_NS0_5tupleIJPjSE_EEENSF_IJSE_SE_EEES9_SG_JZNS1_25segmented_radix_sort_implINS0_14default_configELb0EPKsPsPKlPlN2at6native12_GLOBAL__N_18offset_tEEE10hipError_tPvRmT1_PNSt15iterator_traitsISY_E10value_typeET2_T3_PNSZ_IS14_E10value_typeET4_jRbjT5_S1A_jjP12ihipStream_tbEUljE_EEESV_SW_SX_S14_S18_S1A_T6_T7_T9_mT8_S1C_bDpT10_ENKUlT_T0_E_clISt17integral_constantIbLb1EES1P_EEDaS1K_S1L_EUlS1K_E_NS1_11comp_targetILNS1_3genE9ELNS1_11target_archE1100ELNS1_3gpuE3ELNS1_3repE0EEENS1_30default_config_static_selectorELNS0_4arch9wavefront6targetE0EEEvSY_.private_seg_size, 0
	.set _ZN7rocprim17ROCPRIM_400000_NS6detail17trampoline_kernelINS0_13select_configILj256ELj13ELNS0_17block_load_methodE3ELS4_3ELS4_3ELNS0_20block_scan_algorithmE0ELj4294967295EEENS1_25partition_config_selectorILNS1_17partition_subalgoE3EjNS0_10empty_typeEbEEZZNS1_14partition_implILS8_3ELb0ES6_jNS0_17counting_iteratorIjlEEPS9_SE_NS0_5tupleIJPjSE_EEENSF_IJSE_SE_EEES9_SG_JZNS1_25segmented_radix_sort_implINS0_14default_configELb0EPKsPsPKlPlN2at6native12_GLOBAL__N_18offset_tEEE10hipError_tPvRmT1_PNSt15iterator_traitsISY_E10value_typeET2_T3_PNSZ_IS14_E10value_typeET4_jRbjT5_S1A_jjP12ihipStream_tbEUljE_EEESV_SW_SX_S14_S18_S1A_T6_T7_T9_mT8_S1C_bDpT10_ENKUlT_T0_E_clISt17integral_constantIbLb1EES1P_EEDaS1K_S1L_EUlS1K_E_NS1_11comp_targetILNS1_3genE9ELNS1_11target_archE1100ELNS1_3gpuE3ELNS1_3repE0EEENS1_30default_config_static_selectorELNS0_4arch9wavefront6targetE0EEEvSY_.uses_vcc, 0
	.set _ZN7rocprim17ROCPRIM_400000_NS6detail17trampoline_kernelINS0_13select_configILj256ELj13ELNS0_17block_load_methodE3ELS4_3ELS4_3ELNS0_20block_scan_algorithmE0ELj4294967295EEENS1_25partition_config_selectorILNS1_17partition_subalgoE3EjNS0_10empty_typeEbEEZZNS1_14partition_implILS8_3ELb0ES6_jNS0_17counting_iteratorIjlEEPS9_SE_NS0_5tupleIJPjSE_EEENSF_IJSE_SE_EEES9_SG_JZNS1_25segmented_radix_sort_implINS0_14default_configELb0EPKsPsPKlPlN2at6native12_GLOBAL__N_18offset_tEEE10hipError_tPvRmT1_PNSt15iterator_traitsISY_E10value_typeET2_T3_PNSZ_IS14_E10value_typeET4_jRbjT5_S1A_jjP12ihipStream_tbEUljE_EEESV_SW_SX_S14_S18_S1A_T6_T7_T9_mT8_S1C_bDpT10_ENKUlT_T0_E_clISt17integral_constantIbLb1EES1P_EEDaS1K_S1L_EUlS1K_E_NS1_11comp_targetILNS1_3genE9ELNS1_11target_archE1100ELNS1_3gpuE3ELNS1_3repE0EEENS1_30default_config_static_selectorELNS0_4arch9wavefront6targetE0EEEvSY_.uses_flat_scratch, 0
	.set _ZN7rocprim17ROCPRIM_400000_NS6detail17trampoline_kernelINS0_13select_configILj256ELj13ELNS0_17block_load_methodE3ELS4_3ELS4_3ELNS0_20block_scan_algorithmE0ELj4294967295EEENS1_25partition_config_selectorILNS1_17partition_subalgoE3EjNS0_10empty_typeEbEEZZNS1_14partition_implILS8_3ELb0ES6_jNS0_17counting_iteratorIjlEEPS9_SE_NS0_5tupleIJPjSE_EEENSF_IJSE_SE_EEES9_SG_JZNS1_25segmented_radix_sort_implINS0_14default_configELb0EPKsPsPKlPlN2at6native12_GLOBAL__N_18offset_tEEE10hipError_tPvRmT1_PNSt15iterator_traitsISY_E10value_typeET2_T3_PNSZ_IS14_E10value_typeET4_jRbjT5_S1A_jjP12ihipStream_tbEUljE_EEESV_SW_SX_S14_S18_S1A_T6_T7_T9_mT8_S1C_bDpT10_ENKUlT_T0_E_clISt17integral_constantIbLb1EES1P_EEDaS1K_S1L_EUlS1K_E_NS1_11comp_targetILNS1_3genE9ELNS1_11target_archE1100ELNS1_3gpuE3ELNS1_3repE0EEENS1_30default_config_static_selectorELNS0_4arch9wavefront6targetE0EEEvSY_.has_dyn_sized_stack, 0
	.set _ZN7rocprim17ROCPRIM_400000_NS6detail17trampoline_kernelINS0_13select_configILj256ELj13ELNS0_17block_load_methodE3ELS4_3ELS4_3ELNS0_20block_scan_algorithmE0ELj4294967295EEENS1_25partition_config_selectorILNS1_17partition_subalgoE3EjNS0_10empty_typeEbEEZZNS1_14partition_implILS8_3ELb0ES6_jNS0_17counting_iteratorIjlEEPS9_SE_NS0_5tupleIJPjSE_EEENSF_IJSE_SE_EEES9_SG_JZNS1_25segmented_radix_sort_implINS0_14default_configELb0EPKsPsPKlPlN2at6native12_GLOBAL__N_18offset_tEEE10hipError_tPvRmT1_PNSt15iterator_traitsISY_E10value_typeET2_T3_PNSZ_IS14_E10value_typeET4_jRbjT5_S1A_jjP12ihipStream_tbEUljE_EEESV_SW_SX_S14_S18_S1A_T6_T7_T9_mT8_S1C_bDpT10_ENKUlT_T0_E_clISt17integral_constantIbLb1EES1P_EEDaS1K_S1L_EUlS1K_E_NS1_11comp_targetILNS1_3genE9ELNS1_11target_archE1100ELNS1_3gpuE3ELNS1_3repE0EEENS1_30default_config_static_selectorELNS0_4arch9wavefront6targetE0EEEvSY_.has_recursion, 0
	.set _ZN7rocprim17ROCPRIM_400000_NS6detail17trampoline_kernelINS0_13select_configILj256ELj13ELNS0_17block_load_methodE3ELS4_3ELS4_3ELNS0_20block_scan_algorithmE0ELj4294967295EEENS1_25partition_config_selectorILNS1_17partition_subalgoE3EjNS0_10empty_typeEbEEZZNS1_14partition_implILS8_3ELb0ES6_jNS0_17counting_iteratorIjlEEPS9_SE_NS0_5tupleIJPjSE_EEENSF_IJSE_SE_EEES9_SG_JZNS1_25segmented_radix_sort_implINS0_14default_configELb0EPKsPsPKlPlN2at6native12_GLOBAL__N_18offset_tEEE10hipError_tPvRmT1_PNSt15iterator_traitsISY_E10value_typeET2_T3_PNSZ_IS14_E10value_typeET4_jRbjT5_S1A_jjP12ihipStream_tbEUljE_EEESV_SW_SX_S14_S18_S1A_T6_T7_T9_mT8_S1C_bDpT10_ENKUlT_T0_E_clISt17integral_constantIbLb1EES1P_EEDaS1K_S1L_EUlS1K_E_NS1_11comp_targetILNS1_3genE9ELNS1_11target_archE1100ELNS1_3gpuE3ELNS1_3repE0EEENS1_30default_config_static_selectorELNS0_4arch9wavefront6targetE0EEEvSY_.has_indirect_call, 0
	.section	.AMDGPU.csdata,"",@progbits
; Kernel info:
; codeLenInByte = 0
; TotalNumSgprs: 0
; NumVgprs: 0
; ScratchSize: 0
; MemoryBound: 0
; FloatMode: 240
; IeeeMode: 1
; LDSByteSize: 0 bytes/workgroup (compile time only)
; SGPRBlocks: 0
; VGPRBlocks: 0
; NumSGPRsForWavesPerEU: 1
; NumVGPRsForWavesPerEU: 1
; NamedBarCnt: 0
; Occupancy: 16
; WaveLimiterHint : 0
; COMPUTE_PGM_RSRC2:SCRATCH_EN: 0
; COMPUTE_PGM_RSRC2:USER_SGPR: 2
; COMPUTE_PGM_RSRC2:TRAP_HANDLER: 0
; COMPUTE_PGM_RSRC2:TGID_X_EN: 1
; COMPUTE_PGM_RSRC2:TGID_Y_EN: 0
; COMPUTE_PGM_RSRC2:TGID_Z_EN: 0
; COMPUTE_PGM_RSRC2:TIDIG_COMP_CNT: 0
	.section	.text._ZN7rocprim17ROCPRIM_400000_NS6detail17trampoline_kernelINS0_13select_configILj256ELj13ELNS0_17block_load_methodE3ELS4_3ELS4_3ELNS0_20block_scan_algorithmE0ELj4294967295EEENS1_25partition_config_selectorILNS1_17partition_subalgoE3EjNS0_10empty_typeEbEEZZNS1_14partition_implILS8_3ELb0ES6_jNS0_17counting_iteratorIjlEEPS9_SE_NS0_5tupleIJPjSE_EEENSF_IJSE_SE_EEES9_SG_JZNS1_25segmented_radix_sort_implINS0_14default_configELb0EPKsPsPKlPlN2at6native12_GLOBAL__N_18offset_tEEE10hipError_tPvRmT1_PNSt15iterator_traitsISY_E10value_typeET2_T3_PNSZ_IS14_E10value_typeET4_jRbjT5_S1A_jjP12ihipStream_tbEUljE_EEESV_SW_SX_S14_S18_S1A_T6_T7_T9_mT8_S1C_bDpT10_ENKUlT_T0_E_clISt17integral_constantIbLb1EES1P_EEDaS1K_S1L_EUlS1K_E_NS1_11comp_targetILNS1_3genE8ELNS1_11target_archE1030ELNS1_3gpuE2ELNS1_3repE0EEENS1_30default_config_static_selectorELNS0_4arch9wavefront6targetE0EEEvSY_,"axG",@progbits,_ZN7rocprim17ROCPRIM_400000_NS6detail17trampoline_kernelINS0_13select_configILj256ELj13ELNS0_17block_load_methodE3ELS4_3ELS4_3ELNS0_20block_scan_algorithmE0ELj4294967295EEENS1_25partition_config_selectorILNS1_17partition_subalgoE3EjNS0_10empty_typeEbEEZZNS1_14partition_implILS8_3ELb0ES6_jNS0_17counting_iteratorIjlEEPS9_SE_NS0_5tupleIJPjSE_EEENSF_IJSE_SE_EEES9_SG_JZNS1_25segmented_radix_sort_implINS0_14default_configELb0EPKsPsPKlPlN2at6native12_GLOBAL__N_18offset_tEEE10hipError_tPvRmT1_PNSt15iterator_traitsISY_E10value_typeET2_T3_PNSZ_IS14_E10value_typeET4_jRbjT5_S1A_jjP12ihipStream_tbEUljE_EEESV_SW_SX_S14_S18_S1A_T6_T7_T9_mT8_S1C_bDpT10_ENKUlT_T0_E_clISt17integral_constantIbLb1EES1P_EEDaS1K_S1L_EUlS1K_E_NS1_11comp_targetILNS1_3genE8ELNS1_11target_archE1030ELNS1_3gpuE2ELNS1_3repE0EEENS1_30default_config_static_selectorELNS0_4arch9wavefront6targetE0EEEvSY_,comdat
	.globl	_ZN7rocprim17ROCPRIM_400000_NS6detail17trampoline_kernelINS0_13select_configILj256ELj13ELNS0_17block_load_methodE3ELS4_3ELS4_3ELNS0_20block_scan_algorithmE0ELj4294967295EEENS1_25partition_config_selectorILNS1_17partition_subalgoE3EjNS0_10empty_typeEbEEZZNS1_14partition_implILS8_3ELb0ES6_jNS0_17counting_iteratorIjlEEPS9_SE_NS0_5tupleIJPjSE_EEENSF_IJSE_SE_EEES9_SG_JZNS1_25segmented_radix_sort_implINS0_14default_configELb0EPKsPsPKlPlN2at6native12_GLOBAL__N_18offset_tEEE10hipError_tPvRmT1_PNSt15iterator_traitsISY_E10value_typeET2_T3_PNSZ_IS14_E10value_typeET4_jRbjT5_S1A_jjP12ihipStream_tbEUljE_EEESV_SW_SX_S14_S18_S1A_T6_T7_T9_mT8_S1C_bDpT10_ENKUlT_T0_E_clISt17integral_constantIbLb1EES1P_EEDaS1K_S1L_EUlS1K_E_NS1_11comp_targetILNS1_3genE8ELNS1_11target_archE1030ELNS1_3gpuE2ELNS1_3repE0EEENS1_30default_config_static_selectorELNS0_4arch9wavefront6targetE0EEEvSY_ ; -- Begin function _ZN7rocprim17ROCPRIM_400000_NS6detail17trampoline_kernelINS0_13select_configILj256ELj13ELNS0_17block_load_methodE3ELS4_3ELS4_3ELNS0_20block_scan_algorithmE0ELj4294967295EEENS1_25partition_config_selectorILNS1_17partition_subalgoE3EjNS0_10empty_typeEbEEZZNS1_14partition_implILS8_3ELb0ES6_jNS0_17counting_iteratorIjlEEPS9_SE_NS0_5tupleIJPjSE_EEENSF_IJSE_SE_EEES9_SG_JZNS1_25segmented_radix_sort_implINS0_14default_configELb0EPKsPsPKlPlN2at6native12_GLOBAL__N_18offset_tEEE10hipError_tPvRmT1_PNSt15iterator_traitsISY_E10value_typeET2_T3_PNSZ_IS14_E10value_typeET4_jRbjT5_S1A_jjP12ihipStream_tbEUljE_EEESV_SW_SX_S14_S18_S1A_T6_T7_T9_mT8_S1C_bDpT10_ENKUlT_T0_E_clISt17integral_constantIbLb1EES1P_EEDaS1K_S1L_EUlS1K_E_NS1_11comp_targetILNS1_3genE8ELNS1_11target_archE1030ELNS1_3gpuE2ELNS1_3repE0EEENS1_30default_config_static_selectorELNS0_4arch9wavefront6targetE0EEEvSY_
	.p2align	8
	.type	_ZN7rocprim17ROCPRIM_400000_NS6detail17trampoline_kernelINS0_13select_configILj256ELj13ELNS0_17block_load_methodE3ELS4_3ELS4_3ELNS0_20block_scan_algorithmE0ELj4294967295EEENS1_25partition_config_selectorILNS1_17partition_subalgoE3EjNS0_10empty_typeEbEEZZNS1_14partition_implILS8_3ELb0ES6_jNS0_17counting_iteratorIjlEEPS9_SE_NS0_5tupleIJPjSE_EEENSF_IJSE_SE_EEES9_SG_JZNS1_25segmented_radix_sort_implINS0_14default_configELb0EPKsPsPKlPlN2at6native12_GLOBAL__N_18offset_tEEE10hipError_tPvRmT1_PNSt15iterator_traitsISY_E10value_typeET2_T3_PNSZ_IS14_E10value_typeET4_jRbjT5_S1A_jjP12ihipStream_tbEUljE_EEESV_SW_SX_S14_S18_S1A_T6_T7_T9_mT8_S1C_bDpT10_ENKUlT_T0_E_clISt17integral_constantIbLb1EES1P_EEDaS1K_S1L_EUlS1K_E_NS1_11comp_targetILNS1_3genE8ELNS1_11target_archE1030ELNS1_3gpuE2ELNS1_3repE0EEENS1_30default_config_static_selectorELNS0_4arch9wavefront6targetE0EEEvSY_,@function
_ZN7rocprim17ROCPRIM_400000_NS6detail17trampoline_kernelINS0_13select_configILj256ELj13ELNS0_17block_load_methodE3ELS4_3ELS4_3ELNS0_20block_scan_algorithmE0ELj4294967295EEENS1_25partition_config_selectorILNS1_17partition_subalgoE3EjNS0_10empty_typeEbEEZZNS1_14partition_implILS8_3ELb0ES6_jNS0_17counting_iteratorIjlEEPS9_SE_NS0_5tupleIJPjSE_EEENSF_IJSE_SE_EEES9_SG_JZNS1_25segmented_radix_sort_implINS0_14default_configELb0EPKsPsPKlPlN2at6native12_GLOBAL__N_18offset_tEEE10hipError_tPvRmT1_PNSt15iterator_traitsISY_E10value_typeET2_T3_PNSZ_IS14_E10value_typeET4_jRbjT5_S1A_jjP12ihipStream_tbEUljE_EEESV_SW_SX_S14_S18_S1A_T6_T7_T9_mT8_S1C_bDpT10_ENKUlT_T0_E_clISt17integral_constantIbLb1EES1P_EEDaS1K_S1L_EUlS1K_E_NS1_11comp_targetILNS1_3genE8ELNS1_11target_archE1030ELNS1_3gpuE2ELNS1_3repE0EEENS1_30default_config_static_selectorELNS0_4arch9wavefront6targetE0EEEvSY_: ; @_ZN7rocprim17ROCPRIM_400000_NS6detail17trampoline_kernelINS0_13select_configILj256ELj13ELNS0_17block_load_methodE3ELS4_3ELS4_3ELNS0_20block_scan_algorithmE0ELj4294967295EEENS1_25partition_config_selectorILNS1_17partition_subalgoE3EjNS0_10empty_typeEbEEZZNS1_14partition_implILS8_3ELb0ES6_jNS0_17counting_iteratorIjlEEPS9_SE_NS0_5tupleIJPjSE_EEENSF_IJSE_SE_EEES9_SG_JZNS1_25segmented_radix_sort_implINS0_14default_configELb0EPKsPsPKlPlN2at6native12_GLOBAL__N_18offset_tEEE10hipError_tPvRmT1_PNSt15iterator_traitsISY_E10value_typeET2_T3_PNSZ_IS14_E10value_typeET4_jRbjT5_S1A_jjP12ihipStream_tbEUljE_EEESV_SW_SX_S14_S18_S1A_T6_T7_T9_mT8_S1C_bDpT10_ENKUlT_T0_E_clISt17integral_constantIbLb1EES1P_EEDaS1K_S1L_EUlS1K_E_NS1_11comp_targetILNS1_3genE8ELNS1_11target_archE1030ELNS1_3gpuE2ELNS1_3repE0EEENS1_30default_config_static_selectorELNS0_4arch9wavefront6targetE0EEEvSY_
; %bb.0:
	.section	.rodata,"a",@progbits
	.p2align	6, 0x0
	.amdhsa_kernel _ZN7rocprim17ROCPRIM_400000_NS6detail17trampoline_kernelINS0_13select_configILj256ELj13ELNS0_17block_load_methodE3ELS4_3ELS4_3ELNS0_20block_scan_algorithmE0ELj4294967295EEENS1_25partition_config_selectorILNS1_17partition_subalgoE3EjNS0_10empty_typeEbEEZZNS1_14partition_implILS8_3ELb0ES6_jNS0_17counting_iteratorIjlEEPS9_SE_NS0_5tupleIJPjSE_EEENSF_IJSE_SE_EEES9_SG_JZNS1_25segmented_radix_sort_implINS0_14default_configELb0EPKsPsPKlPlN2at6native12_GLOBAL__N_18offset_tEEE10hipError_tPvRmT1_PNSt15iterator_traitsISY_E10value_typeET2_T3_PNSZ_IS14_E10value_typeET4_jRbjT5_S1A_jjP12ihipStream_tbEUljE_EEESV_SW_SX_S14_S18_S1A_T6_T7_T9_mT8_S1C_bDpT10_ENKUlT_T0_E_clISt17integral_constantIbLb1EES1P_EEDaS1K_S1L_EUlS1K_E_NS1_11comp_targetILNS1_3genE8ELNS1_11target_archE1030ELNS1_3gpuE2ELNS1_3repE0EEENS1_30default_config_static_selectorELNS0_4arch9wavefront6targetE0EEEvSY_
		.amdhsa_group_segment_fixed_size 0
		.amdhsa_private_segment_fixed_size 0
		.amdhsa_kernarg_size 152
		.amdhsa_user_sgpr_count 2
		.amdhsa_user_sgpr_dispatch_ptr 0
		.amdhsa_user_sgpr_queue_ptr 0
		.amdhsa_user_sgpr_kernarg_segment_ptr 1
		.amdhsa_user_sgpr_dispatch_id 0
		.amdhsa_user_sgpr_kernarg_preload_length 0
		.amdhsa_user_sgpr_kernarg_preload_offset 0
		.amdhsa_user_sgpr_private_segment_size 0
		.amdhsa_wavefront_size32 1
		.amdhsa_uses_dynamic_stack 0
		.amdhsa_enable_private_segment 0
		.amdhsa_system_sgpr_workgroup_id_x 1
		.amdhsa_system_sgpr_workgroup_id_y 0
		.amdhsa_system_sgpr_workgroup_id_z 0
		.amdhsa_system_sgpr_workgroup_info 0
		.amdhsa_system_vgpr_workitem_id 0
		.amdhsa_next_free_vgpr 1
		.amdhsa_next_free_sgpr 1
		.amdhsa_named_barrier_count 0
		.amdhsa_reserve_vcc 0
		.amdhsa_float_round_mode_32 0
		.amdhsa_float_round_mode_16_64 0
		.amdhsa_float_denorm_mode_32 3
		.amdhsa_float_denorm_mode_16_64 3
		.amdhsa_fp16_overflow 0
		.amdhsa_memory_ordered 1
		.amdhsa_forward_progress 1
		.amdhsa_inst_pref_size 0
		.amdhsa_round_robin_scheduling 0
		.amdhsa_exception_fp_ieee_invalid_op 0
		.amdhsa_exception_fp_denorm_src 0
		.amdhsa_exception_fp_ieee_div_zero 0
		.amdhsa_exception_fp_ieee_overflow 0
		.amdhsa_exception_fp_ieee_underflow 0
		.amdhsa_exception_fp_ieee_inexact 0
		.amdhsa_exception_int_div_zero 0
	.end_amdhsa_kernel
	.section	.text._ZN7rocprim17ROCPRIM_400000_NS6detail17trampoline_kernelINS0_13select_configILj256ELj13ELNS0_17block_load_methodE3ELS4_3ELS4_3ELNS0_20block_scan_algorithmE0ELj4294967295EEENS1_25partition_config_selectorILNS1_17partition_subalgoE3EjNS0_10empty_typeEbEEZZNS1_14partition_implILS8_3ELb0ES6_jNS0_17counting_iteratorIjlEEPS9_SE_NS0_5tupleIJPjSE_EEENSF_IJSE_SE_EEES9_SG_JZNS1_25segmented_radix_sort_implINS0_14default_configELb0EPKsPsPKlPlN2at6native12_GLOBAL__N_18offset_tEEE10hipError_tPvRmT1_PNSt15iterator_traitsISY_E10value_typeET2_T3_PNSZ_IS14_E10value_typeET4_jRbjT5_S1A_jjP12ihipStream_tbEUljE_EEESV_SW_SX_S14_S18_S1A_T6_T7_T9_mT8_S1C_bDpT10_ENKUlT_T0_E_clISt17integral_constantIbLb1EES1P_EEDaS1K_S1L_EUlS1K_E_NS1_11comp_targetILNS1_3genE8ELNS1_11target_archE1030ELNS1_3gpuE2ELNS1_3repE0EEENS1_30default_config_static_selectorELNS0_4arch9wavefront6targetE0EEEvSY_,"axG",@progbits,_ZN7rocprim17ROCPRIM_400000_NS6detail17trampoline_kernelINS0_13select_configILj256ELj13ELNS0_17block_load_methodE3ELS4_3ELS4_3ELNS0_20block_scan_algorithmE0ELj4294967295EEENS1_25partition_config_selectorILNS1_17partition_subalgoE3EjNS0_10empty_typeEbEEZZNS1_14partition_implILS8_3ELb0ES6_jNS0_17counting_iteratorIjlEEPS9_SE_NS0_5tupleIJPjSE_EEENSF_IJSE_SE_EEES9_SG_JZNS1_25segmented_radix_sort_implINS0_14default_configELb0EPKsPsPKlPlN2at6native12_GLOBAL__N_18offset_tEEE10hipError_tPvRmT1_PNSt15iterator_traitsISY_E10value_typeET2_T3_PNSZ_IS14_E10value_typeET4_jRbjT5_S1A_jjP12ihipStream_tbEUljE_EEESV_SW_SX_S14_S18_S1A_T6_T7_T9_mT8_S1C_bDpT10_ENKUlT_T0_E_clISt17integral_constantIbLb1EES1P_EEDaS1K_S1L_EUlS1K_E_NS1_11comp_targetILNS1_3genE8ELNS1_11target_archE1030ELNS1_3gpuE2ELNS1_3repE0EEENS1_30default_config_static_selectorELNS0_4arch9wavefront6targetE0EEEvSY_,comdat
.Lfunc_end992:
	.size	_ZN7rocprim17ROCPRIM_400000_NS6detail17trampoline_kernelINS0_13select_configILj256ELj13ELNS0_17block_load_methodE3ELS4_3ELS4_3ELNS0_20block_scan_algorithmE0ELj4294967295EEENS1_25partition_config_selectorILNS1_17partition_subalgoE3EjNS0_10empty_typeEbEEZZNS1_14partition_implILS8_3ELb0ES6_jNS0_17counting_iteratorIjlEEPS9_SE_NS0_5tupleIJPjSE_EEENSF_IJSE_SE_EEES9_SG_JZNS1_25segmented_radix_sort_implINS0_14default_configELb0EPKsPsPKlPlN2at6native12_GLOBAL__N_18offset_tEEE10hipError_tPvRmT1_PNSt15iterator_traitsISY_E10value_typeET2_T3_PNSZ_IS14_E10value_typeET4_jRbjT5_S1A_jjP12ihipStream_tbEUljE_EEESV_SW_SX_S14_S18_S1A_T6_T7_T9_mT8_S1C_bDpT10_ENKUlT_T0_E_clISt17integral_constantIbLb1EES1P_EEDaS1K_S1L_EUlS1K_E_NS1_11comp_targetILNS1_3genE8ELNS1_11target_archE1030ELNS1_3gpuE2ELNS1_3repE0EEENS1_30default_config_static_selectorELNS0_4arch9wavefront6targetE0EEEvSY_, .Lfunc_end992-_ZN7rocprim17ROCPRIM_400000_NS6detail17trampoline_kernelINS0_13select_configILj256ELj13ELNS0_17block_load_methodE3ELS4_3ELS4_3ELNS0_20block_scan_algorithmE0ELj4294967295EEENS1_25partition_config_selectorILNS1_17partition_subalgoE3EjNS0_10empty_typeEbEEZZNS1_14partition_implILS8_3ELb0ES6_jNS0_17counting_iteratorIjlEEPS9_SE_NS0_5tupleIJPjSE_EEENSF_IJSE_SE_EEES9_SG_JZNS1_25segmented_radix_sort_implINS0_14default_configELb0EPKsPsPKlPlN2at6native12_GLOBAL__N_18offset_tEEE10hipError_tPvRmT1_PNSt15iterator_traitsISY_E10value_typeET2_T3_PNSZ_IS14_E10value_typeET4_jRbjT5_S1A_jjP12ihipStream_tbEUljE_EEESV_SW_SX_S14_S18_S1A_T6_T7_T9_mT8_S1C_bDpT10_ENKUlT_T0_E_clISt17integral_constantIbLb1EES1P_EEDaS1K_S1L_EUlS1K_E_NS1_11comp_targetILNS1_3genE8ELNS1_11target_archE1030ELNS1_3gpuE2ELNS1_3repE0EEENS1_30default_config_static_selectorELNS0_4arch9wavefront6targetE0EEEvSY_
                                        ; -- End function
	.set _ZN7rocprim17ROCPRIM_400000_NS6detail17trampoline_kernelINS0_13select_configILj256ELj13ELNS0_17block_load_methodE3ELS4_3ELS4_3ELNS0_20block_scan_algorithmE0ELj4294967295EEENS1_25partition_config_selectorILNS1_17partition_subalgoE3EjNS0_10empty_typeEbEEZZNS1_14partition_implILS8_3ELb0ES6_jNS0_17counting_iteratorIjlEEPS9_SE_NS0_5tupleIJPjSE_EEENSF_IJSE_SE_EEES9_SG_JZNS1_25segmented_radix_sort_implINS0_14default_configELb0EPKsPsPKlPlN2at6native12_GLOBAL__N_18offset_tEEE10hipError_tPvRmT1_PNSt15iterator_traitsISY_E10value_typeET2_T3_PNSZ_IS14_E10value_typeET4_jRbjT5_S1A_jjP12ihipStream_tbEUljE_EEESV_SW_SX_S14_S18_S1A_T6_T7_T9_mT8_S1C_bDpT10_ENKUlT_T0_E_clISt17integral_constantIbLb1EES1P_EEDaS1K_S1L_EUlS1K_E_NS1_11comp_targetILNS1_3genE8ELNS1_11target_archE1030ELNS1_3gpuE2ELNS1_3repE0EEENS1_30default_config_static_selectorELNS0_4arch9wavefront6targetE0EEEvSY_.num_vgpr, 0
	.set _ZN7rocprim17ROCPRIM_400000_NS6detail17trampoline_kernelINS0_13select_configILj256ELj13ELNS0_17block_load_methodE3ELS4_3ELS4_3ELNS0_20block_scan_algorithmE0ELj4294967295EEENS1_25partition_config_selectorILNS1_17partition_subalgoE3EjNS0_10empty_typeEbEEZZNS1_14partition_implILS8_3ELb0ES6_jNS0_17counting_iteratorIjlEEPS9_SE_NS0_5tupleIJPjSE_EEENSF_IJSE_SE_EEES9_SG_JZNS1_25segmented_radix_sort_implINS0_14default_configELb0EPKsPsPKlPlN2at6native12_GLOBAL__N_18offset_tEEE10hipError_tPvRmT1_PNSt15iterator_traitsISY_E10value_typeET2_T3_PNSZ_IS14_E10value_typeET4_jRbjT5_S1A_jjP12ihipStream_tbEUljE_EEESV_SW_SX_S14_S18_S1A_T6_T7_T9_mT8_S1C_bDpT10_ENKUlT_T0_E_clISt17integral_constantIbLb1EES1P_EEDaS1K_S1L_EUlS1K_E_NS1_11comp_targetILNS1_3genE8ELNS1_11target_archE1030ELNS1_3gpuE2ELNS1_3repE0EEENS1_30default_config_static_selectorELNS0_4arch9wavefront6targetE0EEEvSY_.num_agpr, 0
	.set _ZN7rocprim17ROCPRIM_400000_NS6detail17trampoline_kernelINS0_13select_configILj256ELj13ELNS0_17block_load_methodE3ELS4_3ELS4_3ELNS0_20block_scan_algorithmE0ELj4294967295EEENS1_25partition_config_selectorILNS1_17partition_subalgoE3EjNS0_10empty_typeEbEEZZNS1_14partition_implILS8_3ELb0ES6_jNS0_17counting_iteratorIjlEEPS9_SE_NS0_5tupleIJPjSE_EEENSF_IJSE_SE_EEES9_SG_JZNS1_25segmented_radix_sort_implINS0_14default_configELb0EPKsPsPKlPlN2at6native12_GLOBAL__N_18offset_tEEE10hipError_tPvRmT1_PNSt15iterator_traitsISY_E10value_typeET2_T3_PNSZ_IS14_E10value_typeET4_jRbjT5_S1A_jjP12ihipStream_tbEUljE_EEESV_SW_SX_S14_S18_S1A_T6_T7_T9_mT8_S1C_bDpT10_ENKUlT_T0_E_clISt17integral_constantIbLb1EES1P_EEDaS1K_S1L_EUlS1K_E_NS1_11comp_targetILNS1_3genE8ELNS1_11target_archE1030ELNS1_3gpuE2ELNS1_3repE0EEENS1_30default_config_static_selectorELNS0_4arch9wavefront6targetE0EEEvSY_.numbered_sgpr, 0
	.set _ZN7rocprim17ROCPRIM_400000_NS6detail17trampoline_kernelINS0_13select_configILj256ELj13ELNS0_17block_load_methodE3ELS4_3ELS4_3ELNS0_20block_scan_algorithmE0ELj4294967295EEENS1_25partition_config_selectorILNS1_17partition_subalgoE3EjNS0_10empty_typeEbEEZZNS1_14partition_implILS8_3ELb0ES6_jNS0_17counting_iteratorIjlEEPS9_SE_NS0_5tupleIJPjSE_EEENSF_IJSE_SE_EEES9_SG_JZNS1_25segmented_radix_sort_implINS0_14default_configELb0EPKsPsPKlPlN2at6native12_GLOBAL__N_18offset_tEEE10hipError_tPvRmT1_PNSt15iterator_traitsISY_E10value_typeET2_T3_PNSZ_IS14_E10value_typeET4_jRbjT5_S1A_jjP12ihipStream_tbEUljE_EEESV_SW_SX_S14_S18_S1A_T6_T7_T9_mT8_S1C_bDpT10_ENKUlT_T0_E_clISt17integral_constantIbLb1EES1P_EEDaS1K_S1L_EUlS1K_E_NS1_11comp_targetILNS1_3genE8ELNS1_11target_archE1030ELNS1_3gpuE2ELNS1_3repE0EEENS1_30default_config_static_selectorELNS0_4arch9wavefront6targetE0EEEvSY_.num_named_barrier, 0
	.set _ZN7rocprim17ROCPRIM_400000_NS6detail17trampoline_kernelINS0_13select_configILj256ELj13ELNS0_17block_load_methodE3ELS4_3ELS4_3ELNS0_20block_scan_algorithmE0ELj4294967295EEENS1_25partition_config_selectorILNS1_17partition_subalgoE3EjNS0_10empty_typeEbEEZZNS1_14partition_implILS8_3ELb0ES6_jNS0_17counting_iteratorIjlEEPS9_SE_NS0_5tupleIJPjSE_EEENSF_IJSE_SE_EEES9_SG_JZNS1_25segmented_radix_sort_implINS0_14default_configELb0EPKsPsPKlPlN2at6native12_GLOBAL__N_18offset_tEEE10hipError_tPvRmT1_PNSt15iterator_traitsISY_E10value_typeET2_T3_PNSZ_IS14_E10value_typeET4_jRbjT5_S1A_jjP12ihipStream_tbEUljE_EEESV_SW_SX_S14_S18_S1A_T6_T7_T9_mT8_S1C_bDpT10_ENKUlT_T0_E_clISt17integral_constantIbLb1EES1P_EEDaS1K_S1L_EUlS1K_E_NS1_11comp_targetILNS1_3genE8ELNS1_11target_archE1030ELNS1_3gpuE2ELNS1_3repE0EEENS1_30default_config_static_selectorELNS0_4arch9wavefront6targetE0EEEvSY_.private_seg_size, 0
	.set _ZN7rocprim17ROCPRIM_400000_NS6detail17trampoline_kernelINS0_13select_configILj256ELj13ELNS0_17block_load_methodE3ELS4_3ELS4_3ELNS0_20block_scan_algorithmE0ELj4294967295EEENS1_25partition_config_selectorILNS1_17partition_subalgoE3EjNS0_10empty_typeEbEEZZNS1_14partition_implILS8_3ELb0ES6_jNS0_17counting_iteratorIjlEEPS9_SE_NS0_5tupleIJPjSE_EEENSF_IJSE_SE_EEES9_SG_JZNS1_25segmented_radix_sort_implINS0_14default_configELb0EPKsPsPKlPlN2at6native12_GLOBAL__N_18offset_tEEE10hipError_tPvRmT1_PNSt15iterator_traitsISY_E10value_typeET2_T3_PNSZ_IS14_E10value_typeET4_jRbjT5_S1A_jjP12ihipStream_tbEUljE_EEESV_SW_SX_S14_S18_S1A_T6_T7_T9_mT8_S1C_bDpT10_ENKUlT_T0_E_clISt17integral_constantIbLb1EES1P_EEDaS1K_S1L_EUlS1K_E_NS1_11comp_targetILNS1_3genE8ELNS1_11target_archE1030ELNS1_3gpuE2ELNS1_3repE0EEENS1_30default_config_static_selectorELNS0_4arch9wavefront6targetE0EEEvSY_.uses_vcc, 0
	.set _ZN7rocprim17ROCPRIM_400000_NS6detail17trampoline_kernelINS0_13select_configILj256ELj13ELNS0_17block_load_methodE3ELS4_3ELS4_3ELNS0_20block_scan_algorithmE0ELj4294967295EEENS1_25partition_config_selectorILNS1_17partition_subalgoE3EjNS0_10empty_typeEbEEZZNS1_14partition_implILS8_3ELb0ES6_jNS0_17counting_iteratorIjlEEPS9_SE_NS0_5tupleIJPjSE_EEENSF_IJSE_SE_EEES9_SG_JZNS1_25segmented_radix_sort_implINS0_14default_configELb0EPKsPsPKlPlN2at6native12_GLOBAL__N_18offset_tEEE10hipError_tPvRmT1_PNSt15iterator_traitsISY_E10value_typeET2_T3_PNSZ_IS14_E10value_typeET4_jRbjT5_S1A_jjP12ihipStream_tbEUljE_EEESV_SW_SX_S14_S18_S1A_T6_T7_T9_mT8_S1C_bDpT10_ENKUlT_T0_E_clISt17integral_constantIbLb1EES1P_EEDaS1K_S1L_EUlS1K_E_NS1_11comp_targetILNS1_3genE8ELNS1_11target_archE1030ELNS1_3gpuE2ELNS1_3repE0EEENS1_30default_config_static_selectorELNS0_4arch9wavefront6targetE0EEEvSY_.uses_flat_scratch, 0
	.set _ZN7rocprim17ROCPRIM_400000_NS6detail17trampoline_kernelINS0_13select_configILj256ELj13ELNS0_17block_load_methodE3ELS4_3ELS4_3ELNS0_20block_scan_algorithmE0ELj4294967295EEENS1_25partition_config_selectorILNS1_17partition_subalgoE3EjNS0_10empty_typeEbEEZZNS1_14partition_implILS8_3ELb0ES6_jNS0_17counting_iteratorIjlEEPS9_SE_NS0_5tupleIJPjSE_EEENSF_IJSE_SE_EEES9_SG_JZNS1_25segmented_radix_sort_implINS0_14default_configELb0EPKsPsPKlPlN2at6native12_GLOBAL__N_18offset_tEEE10hipError_tPvRmT1_PNSt15iterator_traitsISY_E10value_typeET2_T3_PNSZ_IS14_E10value_typeET4_jRbjT5_S1A_jjP12ihipStream_tbEUljE_EEESV_SW_SX_S14_S18_S1A_T6_T7_T9_mT8_S1C_bDpT10_ENKUlT_T0_E_clISt17integral_constantIbLb1EES1P_EEDaS1K_S1L_EUlS1K_E_NS1_11comp_targetILNS1_3genE8ELNS1_11target_archE1030ELNS1_3gpuE2ELNS1_3repE0EEENS1_30default_config_static_selectorELNS0_4arch9wavefront6targetE0EEEvSY_.has_dyn_sized_stack, 0
	.set _ZN7rocprim17ROCPRIM_400000_NS6detail17trampoline_kernelINS0_13select_configILj256ELj13ELNS0_17block_load_methodE3ELS4_3ELS4_3ELNS0_20block_scan_algorithmE0ELj4294967295EEENS1_25partition_config_selectorILNS1_17partition_subalgoE3EjNS0_10empty_typeEbEEZZNS1_14partition_implILS8_3ELb0ES6_jNS0_17counting_iteratorIjlEEPS9_SE_NS0_5tupleIJPjSE_EEENSF_IJSE_SE_EEES9_SG_JZNS1_25segmented_radix_sort_implINS0_14default_configELb0EPKsPsPKlPlN2at6native12_GLOBAL__N_18offset_tEEE10hipError_tPvRmT1_PNSt15iterator_traitsISY_E10value_typeET2_T3_PNSZ_IS14_E10value_typeET4_jRbjT5_S1A_jjP12ihipStream_tbEUljE_EEESV_SW_SX_S14_S18_S1A_T6_T7_T9_mT8_S1C_bDpT10_ENKUlT_T0_E_clISt17integral_constantIbLb1EES1P_EEDaS1K_S1L_EUlS1K_E_NS1_11comp_targetILNS1_3genE8ELNS1_11target_archE1030ELNS1_3gpuE2ELNS1_3repE0EEENS1_30default_config_static_selectorELNS0_4arch9wavefront6targetE0EEEvSY_.has_recursion, 0
	.set _ZN7rocprim17ROCPRIM_400000_NS6detail17trampoline_kernelINS0_13select_configILj256ELj13ELNS0_17block_load_methodE3ELS4_3ELS4_3ELNS0_20block_scan_algorithmE0ELj4294967295EEENS1_25partition_config_selectorILNS1_17partition_subalgoE3EjNS0_10empty_typeEbEEZZNS1_14partition_implILS8_3ELb0ES6_jNS0_17counting_iteratorIjlEEPS9_SE_NS0_5tupleIJPjSE_EEENSF_IJSE_SE_EEES9_SG_JZNS1_25segmented_radix_sort_implINS0_14default_configELb0EPKsPsPKlPlN2at6native12_GLOBAL__N_18offset_tEEE10hipError_tPvRmT1_PNSt15iterator_traitsISY_E10value_typeET2_T3_PNSZ_IS14_E10value_typeET4_jRbjT5_S1A_jjP12ihipStream_tbEUljE_EEESV_SW_SX_S14_S18_S1A_T6_T7_T9_mT8_S1C_bDpT10_ENKUlT_T0_E_clISt17integral_constantIbLb1EES1P_EEDaS1K_S1L_EUlS1K_E_NS1_11comp_targetILNS1_3genE8ELNS1_11target_archE1030ELNS1_3gpuE2ELNS1_3repE0EEENS1_30default_config_static_selectorELNS0_4arch9wavefront6targetE0EEEvSY_.has_indirect_call, 0
	.section	.AMDGPU.csdata,"",@progbits
; Kernel info:
; codeLenInByte = 0
; TotalNumSgprs: 0
; NumVgprs: 0
; ScratchSize: 0
; MemoryBound: 0
; FloatMode: 240
; IeeeMode: 1
; LDSByteSize: 0 bytes/workgroup (compile time only)
; SGPRBlocks: 0
; VGPRBlocks: 0
; NumSGPRsForWavesPerEU: 1
; NumVGPRsForWavesPerEU: 1
; NamedBarCnt: 0
; Occupancy: 16
; WaveLimiterHint : 0
; COMPUTE_PGM_RSRC2:SCRATCH_EN: 0
; COMPUTE_PGM_RSRC2:USER_SGPR: 2
; COMPUTE_PGM_RSRC2:TRAP_HANDLER: 0
; COMPUTE_PGM_RSRC2:TGID_X_EN: 1
; COMPUTE_PGM_RSRC2:TGID_Y_EN: 0
; COMPUTE_PGM_RSRC2:TGID_Z_EN: 0
; COMPUTE_PGM_RSRC2:TIDIG_COMP_CNT: 0
	.section	.text._ZN7rocprim17ROCPRIM_400000_NS6detail17trampoline_kernelINS0_13select_configILj256ELj13ELNS0_17block_load_methodE3ELS4_3ELS4_3ELNS0_20block_scan_algorithmE0ELj4294967295EEENS1_25partition_config_selectorILNS1_17partition_subalgoE3EjNS0_10empty_typeEbEEZZNS1_14partition_implILS8_3ELb0ES6_jNS0_17counting_iteratorIjlEEPS9_SE_NS0_5tupleIJPjSE_EEENSF_IJSE_SE_EEES9_SG_JZNS1_25segmented_radix_sort_implINS0_14default_configELb0EPKsPsPKlPlN2at6native12_GLOBAL__N_18offset_tEEE10hipError_tPvRmT1_PNSt15iterator_traitsISY_E10value_typeET2_T3_PNSZ_IS14_E10value_typeET4_jRbjT5_S1A_jjP12ihipStream_tbEUljE_EEESV_SW_SX_S14_S18_S1A_T6_T7_T9_mT8_S1C_bDpT10_ENKUlT_T0_E_clISt17integral_constantIbLb1EES1O_IbLb0EEEEDaS1K_S1L_EUlS1K_E_NS1_11comp_targetILNS1_3genE0ELNS1_11target_archE4294967295ELNS1_3gpuE0ELNS1_3repE0EEENS1_30default_config_static_selectorELNS0_4arch9wavefront6targetE0EEEvSY_,"axG",@progbits,_ZN7rocprim17ROCPRIM_400000_NS6detail17trampoline_kernelINS0_13select_configILj256ELj13ELNS0_17block_load_methodE3ELS4_3ELS4_3ELNS0_20block_scan_algorithmE0ELj4294967295EEENS1_25partition_config_selectorILNS1_17partition_subalgoE3EjNS0_10empty_typeEbEEZZNS1_14partition_implILS8_3ELb0ES6_jNS0_17counting_iteratorIjlEEPS9_SE_NS0_5tupleIJPjSE_EEENSF_IJSE_SE_EEES9_SG_JZNS1_25segmented_radix_sort_implINS0_14default_configELb0EPKsPsPKlPlN2at6native12_GLOBAL__N_18offset_tEEE10hipError_tPvRmT1_PNSt15iterator_traitsISY_E10value_typeET2_T3_PNSZ_IS14_E10value_typeET4_jRbjT5_S1A_jjP12ihipStream_tbEUljE_EEESV_SW_SX_S14_S18_S1A_T6_T7_T9_mT8_S1C_bDpT10_ENKUlT_T0_E_clISt17integral_constantIbLb1EES1O_IbLb0EEEEDaS1K_S1L_EUlS1K_E_NS1_11comp_targetILNS1_3genE0ELNS1_11target_archE4294967295ELNS1_3gpuE0ELNS1_3repE0EEENS1_30default_config_static_selectorELNS0_4arch9wavefront6targetE0EEEvSY_,comdat
	.globl	_ZN7rocprim17ROCPRIM_400000_NS6detail17trampoline_kernelINS0_13select_configILj256ELj13ELNS0_17block_load_methodE3ELS4_3ELS4_3ELNS0_20block_scan_algorithmE0ELj4294967295EEENS1_25partition_config_selectorILNS1_17partition_subalgoE3EjNS0_10empty_typeEbEEZZNS1_14partition_implILS8_3ELb0ES6_jNS0_17counting_iteratorIjlEEPS9_SE_NS0_5tupleIJPjSE_EEENSF_IJSE_SE_EEES9_SG_JZNS1_25segmented_radix_sort_implINS0_14default_configELb0EPKsPsPKlPlN2at6native12_GLOBAL__N_18offset_tEEE10hipError_tPvRmT1_PNSt15iterator_traitsISY_E10value_typeET2_T3_PNSZ_IS14_E10value_typeET4_jRbjT5_S1A_jjP12ihipStream_tbEUljE_EEESV_SW_SX_S14_S18_S1A_T6_T7_T9_mT8_S1C_bDpT10_ENKUlT_T0_E_clISt17integral_constantIbLb1EES1O_IbLb0EEEEDaS1K_S1L_EUlS1K_E_NS1_11comp_targetILNS1_3genE0ELNS1_11target_archE4294967295ELNS1_3gpuE0ELNS1_3repE0EEENS1_30default_config_static_selectorELNS0_4arch9wavefront6targetE0EEEvSY_ ; -- Begin function _ZN7rocprim17ROCPRIM_400000_NS6detail17trampoline_kernelINS0_13select_configILj256ELj13ELNS0_17block_load_methodE3ELS4_3ELS4_3ELNS0_20block_scan_algorithmE0ELj4294967295EEENS1_25partition_config_selectorILNS1_17partition_subalgoE3EjNS0_10empty_typeEbEEZZNS1_14partition_implILS8_3ELb0ES6_jNS0_17counting_iteratorIjlEEPS9_SE_NS0_5tupleIJPjSE_EEENSF_IJSE_SE_EEES9_SG_JZNS1_25segmented_radix_sort_implINS0_14default_configELb0EPKsPsPKlPlN2at6native12_GLOBAL__N_18offset_tEEE10hipError_tPvRmT1_PNSt15iterator_traitsISY_E10value_typeET2_T3_PNSZ_IS14_E10value_typeET4_jRbjT5_S1A_jjP12ihipStream_tbEUljE_EEESV_SW_SX_S14_S18_S1A_T6_T7_T9_mT8_S1C_bDpT10_ENKUlT_T0_E_clISt17integral_constantIbLb1EES1O_IbLb0EEEEDaS1K_S1L_EUlS1K_E_NS1_11comp_targetILNS1_3genE0ELNS1_11target_archE4294967295ELNS1_3gpuE0ELNS1_3repE0EEENS1_30default_config_static_selectorELNS0_4arch9wavefront6targetE0EEEvSY_
	.p2align	8
	.type	_ZN7rocprim17ROCPRIM_400000_NS6detail17trampoline_kernelINS0_13select_configILj256ELj13ELNS0_17block_load_methodE3ELS4_3ELS4_3ELNS0_20block_scan_algorithmE0ELj4294967295EEENS1_25partition_config_selectorILNS1_17partition_subalgoE3EjNS0_10empty_typeEbEEZZNS1_14partition_implILS8_3ELb0ES6_jNS0_17counting_iteratorIjlEEPS9_SE_NS0_5tupleIJPjSE_EEENSF_IJSE_SE_EEES9_SG_JZNS1_25segmented_radix_sort_implINS0_14default_configELb0EPKsPsPKlPlN2at6native12_GLOBAL__N_18offset_tEEE10hipError_tPvRmT1_PNSt15iterator_traitsISY_E10value_typeET2_T3_PNSZ_IS14_E10value_typeET4_jRbjT5_S1A_jjP12ihipStream_tbEUljE_EEESV_SW_SX_S14_S18_S1A_T6_T7_T9_mT8_S1C_bDpT10_ENKUlT_T0_E_clISt17integral_constantIbLb1EES1O_IbLb0EEEEDaS1K_S1L_EUlS1K_E_NS1_11comp_targetILNS1_3genE0ELNS1_11target_archE4294967295ELNS1_3gpuE0ELNS1_3repE0EEENS1_30default_config_static_selectorELNS0_4arch9wavefront6targetE0EEEvSY_,@function
_ZN7rocprim17ROCPRIM_400000_NS6detail17trampoline_kernelINS0_13select_configILj256ELj13ELNS0_17block_load_methodE3ELS4_3ELS4_3ELNS0_20block_scan_algorithmE0ELj4294967295EEENS1_25partition_config_selectorILNS1_17partition_subalgoE3EjNS0_10empty_typeEbEEZZNS1_14partition_implILS8_3ELb0ES6_jNS0_17counting_iteratorIjlEEPS9_SE_NS0_5tupleIJPjSE_EEENSF_IJSE_SE_EEES9_SG_JZNS1_25segmented_radix_sort_implINS0_14default_configELb0EPKsPsPKlPlN2at6native12_GLOBAL__N_18offset_tEEE10hipError_tPvRmT1_PNSt15iterator_traitsISY_E10value_typeET2_T3_PNSZ_IS14_E10value_typeET4_jRbjT5_S1A_jjP12ihipStream_tbEUljE_EEESV_SW_SX_S14_S18_S1A_T6_T7_T9_mT8_S1C_bDpT10_ENKUlT_T0_E_clISt17integral_constantIbLb1EES1O_IbLb0EEEEDaS1K_S1L_EUlS1K_E_NS1_11comp_targetILNS1_3genE0ELNS1_11target_archE4294967295ELNS1_3gpuE0ELNS1_3repE0EEENS1_30default_config_static_selectorELNS0_4arch9wavefront6targetE0EEEvSY_: ; @_ZN7rocprim17ROCPRIM_400000_NS6detail17trampoline_kernelINS0_13select_configILj256ELj13ELNS0_17block_load_methodE3ELS4_3ELS4_3ELNS0_20block_scan_algorithmE0ELj4294967295EEENS1_25partition_config_selectorILNS1_17partition_subalgoE3EjNS0_10empty_typeEbEEZZNS1_14partition_implILS8_3ELb0ES6_jNS0_17counting_iteratorIjlEEPS9_SE_NS0_5tupleIJPjSE_EEENSF_IJSE_SE_EEES9_SG_JZNS1_25segmented_radix_sort_implINS0_14default_configELb0EPKsPsPKlPlN2at6native12_GLOBAL__N_18offset_tEEE10hipError_tPvRmT1_PNSt15iterator_traitsISY_E10value_typeET2_T3_PNSZ_IS14_E10value_typeET4_jRbjT5_S1A_jjP12ihipStream_tbEUljE_EEESV_SW_SX_S14_S18_S1A_T6_T7_T9_mT8_S1C_bDpT10_ENKUlT_T0_E_clISt17integral_constantIbLb1EES1O_IbLb0EEEEDaS1K_S1L_EUlS1K_E_NS1_11comp_targetILNS1_3genE0ELNS1_11target_archE4294967295ELNS1_3gpuE0ELNS1_3repE0EEENS1_30default_config_static_selectorELNS0_4arch9wavefront6targetE0EEEvSY_
; %bb.0:
	s_endpgm
	.section	.rodata,"a",@progbits
	.p2align	6, 0x0
	.amdhsa_kernel _ZN7rocprim17ROCPRIM_400000_NS6detail17trampoline_kernelINS0_13select_configILj256ELj13ELNS0_17block_load_methodE3ELS4_3ELS4_3ELNS0_20block_scan_algorithmE0ELj4294967295EEENS1_25partition_config_selectorILNS1_17partition_subalgoE3EjNS0_10empty_typeEbEEZZNS1_14partition_implILS8_3ELb0ES6_jNS0_17counting_iteratorIjlEEPS9_SE_NS0_5tupleIJPjSE_EEENSF_IJSE_SE_EEES9_SG_JZNS1_25segmented_radix_sort_implINS0_14default_configELb0EPKsPsPKlPlN2at6native12_GLOBAL__N_18offset_tEEE10hipError_tPvRmT1_PNSt15iterator_traitsISY_E10value_typeET2_T3_PNSZ_IS14_E10value_typeET4_jRbjT5_S1A_jjP12ihipStream_tbEUljE_EEESV_SW_SX_S14_S18_S1A_T6_T7_T9_mT8_S1C_bDpT10_ENKUlT_T0_E_clISt17integral_constantIbLb1EES1O_IbLb0EEEEDaS1K_S1L_EUlS1K_E_NS1_11comp_targetILNS1_3genE0ELNS1_11target_archE4294967295ELNS1_3gpuE0ELNS1_3repE0EEENS1_30default_config_static_selectorELNS0_4arch9wavefront6targetE0EEEvSY_
		.amdhsa_group_segment_fixed_size 0
		.amdhsa_private_segment_fixed_size 0
		.amdhsa_kernarg_size 144
		.amdhsa_user_sgpr_count 2
		.amdhsa_user_sgpr_dispatch_ptr 0
		.amdhsa_user_sgpr_queue_ptr 0
		.amdhsa_user_sgpr_kernarg_segment_ptr 1
		.amdhsa_user_sgpr_dispatch_id 0
		.amdhsa_user_sgpr_kernarg_preload_length 0
		.amdhsa_user_sgpr_kernarg_preload_offset 0
		.amdhsa_user_sgpr_private_segment_size 0
		.amdhsa_wavefront_size32 1
		.amdhsa_uses_dynamic_stack 0
		.amdhsa_enable_private_segment 0
		.amdhsa_system_sgpr_workgroup_id_x 1
		.amdhsa_system_sgpr_workgroup_id_y 0
		.amdhsa_system_sgpr_workgroup_id_z 0
		.amdhsa_system_sgpr_workgroup_info 0
		.amdhsa_system_vgpr_workitem_id 0
		.amdhsa_next_free_vgpr 1
		.amdhsa_next_free_sgpr 1
		.amdhsa_named_barrier_count 0
		.amdhsa_reserve_vcc 0
		.amdhsa_float_round_mode_32 0
		.amdhsa_float_round_mode_16_64 0
		.amdhsa_float_denorm_mode_32 3
		.amdhsa_float_denorm_mode_16_64 3
		.amdhsa_fp16_overflow 0
		.amdhsa_memory_ordered 1
		.amdhsa_forward_progress 1
		.amdhsa_inst_pref_size 1
		.amdhsa_round_robin_scheduling 0
		.amdhsa_exception_fp_ieee_invalid_op 0
		.amdhsa_exception_fp_denorm_src 0
		.amdhsa_exception_fp_ieee_div_zero 0
		.amdhsa_exception_fp_ieee_overflow 0
		.amdhsa_exception_fp_ieee_underflow 0
		.amdhsa_exception_fp_ieee_inexact 0
		.amdhsa_exception_int_div_zero 0
	.end_amdhsa_kernel
	.section	.text._ZN7rocprim17ROCPRIM_400000_NS6detail17trampoline_kernelINS0_13select_configILj256ELj13ELNS0_17block_load_methodE3ELS4_3ELS4_3ELNS0_20block_scan_algorithmE0ELj4294967295EEENS1_25partition_config_selectorILNS1_17partition_subalgoE3EjNS0_10empty_typeEbEEZZNS1_14partition_implILS8_3ELb0ES6_jNS0_17counting_iteratorIjlEEPS9_SE_NS0_5tupleIJPjSE_EEENSF_IJSE_SE_EEES9_SG_JZNS1_25segmented_radix_sort_implINS0_14default_configELb0EPKsPsPKlPlN2at6native12_GLOBAL__N_18offset_tEEE10hipError_tPvRmT1_PNSt15iterator_traitsISY_E10value_typeET2_T3_PNSZ_IS14_E10value_typeET4_jRbjT5_S1A_jjP12ihipStream_tbEUljE_EEESV_SW_SX_S14_S18_S1A_T6_T7_T9_mT8_S1C_bDpT10_ENKUlT_T0_E_clISt17integral_constantIbLb1EES1O_IbLb0EEEEDaS1K_S1L_EUlS1K_E_NS1_11comp_targetILNS1_3genE0ELNS1_11target_archE4294967295ELNS1_3gpuE0ELNS1_3repE0EEENS1_30default_config_static_selectorELNS0_4arch9wavefront6targetE0EEEvSY_,"axG",@progbits,_ZN7rocprim17ROCPRIM_400000_NS6detail17trampoline_kernelINS0_13select_configILj256ELj13ELNS0_17block_load_methodE3ELS4_3ELS4_3ELNS0_20block_scan_algorithmE0ELj4294967295EEENS1_25partition_config_selectorILNS1_17partition_subalgoE3EjNS0_10empty_typeEbEEZZNS1_14partition_implILS8_3ELb0ES6_jNS0_17counting_iteratorIjlEEPS9_SE_NS0_5tupleIJPjSE_EEENSF_IJSE_SE_EEES9_SG_JZNS1_25segmented_radix_sort_implINS0_14default_configELb0EPKsPsPKlPlN2at6native12_GLOBAL__N_18offset_tEEE10hipError_tPvRmT1_PNSt15iterator_traitsISY_E10value_typeET2_T3_PNSZ_IS14_E10value_typeET4_jRbjT5_S1A_jjP12ihipStream_tbEUljE_EEESV_SW_SX_S14_S18_S1A_T6_T7_T9_mT8_S1C_bDpT10_ENKUlT_T0_E_clISt17integral_constantIbLb1EES1O_IbLb0EEEEDaS1K_S1L_EUlS1K_E_NS1_11comp_targetILNS1_3genE0ELNS1_11target_archE4294967295ELNS1_3gpuE0ELNS1_3repE0EEENS1_30default_config_static_selectorELNS0_4arch9wavefront6targetE0EEEvSY_,comdat
.Lfunc_end993:
	.size	_ZN7rocprim17ROCPRIM_400000_NS6detail17trampoline_kernelINS0_13select_configILj256ELj13ELNS0_17block_load_methodE3ELS4_3ELS4_3ELNS0_20block_scan_algorithmE0ELj4294967295EEENS1_25partition_config_selectorILNS1_17partition_subalgoE3EjNS0_10empty_typeEbEEZZNS1_14partition_implILS8_3ELb0ES6_jNS0_17counting_iteratorIjlEEPS9_SE_NS0_5tupleIJPjSE_EEENSF_IJSE_SE_EEES9_SG_JZNS1_25segmented_radix_sort_implINS0_14default_configELb0EPKsPsPKlPlN2at6native12_GLOBAL__N_18offset_tEEE10hipError_tPvRmT1_PNSt15iterator_traitsISY_E10value_typeET2_T3_PNSZ_IS14_E10value_typeET4_jRbjT5_S1A_jjP12ihipStream_tbEUljE_EEESV_SW_SX_S14_S18_S1A_T6_T7_T9_mT8_S1C_bDpT10_ENKUlT_T0_E_clISt17integral_constantIbLb1EES1O_IbLb0EEEEDaS1K_S1L_EUlS1K_E_NS1_11comp_targetILNS1_3genE0ELNS1_11target_archE4294967295ELNS1_3gpuE0ELNS1_3repE0EEENS1_30default_config_static_selectorELNS0_4arch9wavefront6targetE0EEEvSY_, .Lfunc_end993-_ZN7rocprim17ROCPRIM_400000_NS6detail17trampoline_kernelINS0_13select_configILj256ELj13ELNS0_17block_load_methodE3ELS4_3ELS4_3ELNS0_20block_scan_algorithmE0ELj4294967295EEENS1_25partition_config_selectorILNS1_17partition_subalgoE3EjNS0_10empty_typeEbEEZZNS1_14partition_implILS8_3ELb0ES6_jNS0_17counting_iteratorIjlEEPS9_SE_NS0_5tupleIJPjSE_EEENSF_IJSE_SE_EEES9_SG_JZNS1_25segmented_radix_sort_implINS0_14default_configELb0EPKsPsPKlPlN2at6native12_GLOBAL__N_18offset_tEEE10hipError_tPvRmT1_PNSt15iterator_traitsISY_E10value_typeET2_T3_PNSZ_IS14_E10value_typeET4_jRbjT5_S1A_jjP12ihipStream_tbEUljE_EEESV_SW_SX_S14_S18_S1A_T6_T7_T9_mT8_S1C_bDpT10_ENKUlT_T0_E_clISt17integral_constantIbLb1EES1O_IbLb0EEEEDaS1K_S1L_EUlS1K_E_NS1_11comp_targetILNS1_3genE0ELNS1_11target_archE4294967295ELNS1_3gpuE0ELNS1_3repE0EEENS1_30default_config_static_selectorELNS0_4arch9wavefront6targetE0EEEvSY_
                                        ; -- End function
	.set _ZN7rocprim17ROCPRIM_400000_NS6detail17trampoline_kernelINS0_13select_configILj256ELj13ELNS0_17block_load_methodE3ELS4_3ELS4_3ELNS0_20block_scan_algorithmE0ELj4294967295EEENS1_25partition_config_selectorILNS1_17partition_subalgoE3EjNS0_10empty_typeEbEEZZNS1_14partition_implILS8_3ELb0ES6_jNS0_17counting_iteratorIjlEEPS9_SE_NS0_5tupleIJPjSE_EEENSF_IJSE_SE_EEES9_SG_JZNS1_25segmented_radix_sort_implINS0_14default_configELb0EPKsPsPKlPlN2at6native12_GLOBAL__N_18offset_tEEE10hipError_tPvRmT1_PNSt15iterator_traitsISY_E10value_typeET2_T3_PNSZ_IS14_E10value_typeET4_jRbjT5_S1A_jjP12ihipStream_tbEUljE_EEESV_SW_SX_S14_S18_S1A_T6_T7_T9_mT8_S1C_bDpT10_ENKUlT_T0_E_clISt17integral_constantIbLb1EES1O_IbLb0EEEEDaS1K_S1L_EUlS1K_E_NS1_11comp_targetILNS1_3genE0ELNS1_11target_archE4294967295ELNS1_3gpuE0ELNS1_3repE0EEENS1_30default_config_static_selectorELNS0_4arch9wavefront6targetE0EEEvSY_.num_vgpr, 0
	.set _ZN7rocprim17ROCPRIM_400000_NS6detail17trampoline_kernelINS0_13select_configILj256ELj13ELNS0_17block_load_methodE3ELS4_3ELS4_3ELNS0_20block_scan_algorithmE0ELj4294967295EEENS1_25partition_config_selectorILNS1_17partition_subalgoE3EjNS0_10empty_typeEbEEZZNS1_14partition_implILS8_3ELb0ES6_jNS0_17counting_iteratorIjlEEPS9_SE_NS0_5tupleIJPjSE_EEENSF_IJSE_SE_EEES9_SG_JZNS1_25segmented_radix_sort_implINS0_14default_configELb0EPKsPsPKlPlN2at6native12_GLOBAL__N_18offset_tEEE10hipError_tPvRmT1_PNSt15iterator_traitsISY_E10value_typeET2_T3_PNSZ_IS14_E10value_typeET4_jRbjT5_S1A_jjP12ihipStream_tbEUljE_EEESV_SW_SX_S14_S18_S1A_T6_T7_T9_mT8_S1C_bDpT10_ENKUlT_T0_E_clISt17integral_constantIbLb1EES1O_IbLb0EEEEDaS1K_S1L_EUlS1K_E_NS1_11comp_targetILNS1_3genE0ELNS1_11target_archE4294967295ELNS1_3gpuE0ELNS1_3repE0EEENS1_30default_config_static_selectorELNS0_4arch9wavefront6targetE0EEEvSY_.num_agpr, 0
	.set _ZN7rocprim17ROCPRIM_400000_NS6detail17trampoline_kernelINS0_13select_configILj256ELj13ELNS0_17block_load_methodE3ELS4_3ELS4_3ELNS0_20block_scan_algorithmE0ELj4294967295EEENS1_25partition_config_selectorILNS1_17partition_subalgoE3EjNS0_10empty_typeEbEEZZNS1_14partition_implILS8_3ELb0ES6_jNS0_17counting_iteratorIjlEEPS9_SE_NS0_5tupleIJPjSE_EEENSF_IJSE_SE_EEES9_SG_JZNS1_25segmented_radix_sort_implINS0_14default_configELb0EPKsPsPKlPlN2at6native12_GLOBAL__N_18offset_tEEE10hipError_tPvRmT1_PNSt15iterator_traitsISY_E10value_typeET2_T3_PNSZ_IS14_E10value_typeET4_jRbjT5_S1A_jjP12ihipStream_tbEUljE_EEESV_SW_SX_S14_S18_S1A_T6_T7_T9_mT8_S1C_bDpT10_ENKUlT_T0_E_clISt17integral_constantIbLb1EES1O_IbLb0EEEEDaS1K_S1L_EUlS1K_E_NS1_11comp_targetILNS1_3genE0ELNS1_11target_archE4294967295ELNS1_3gpuE0ELNS1_3repE0EEENS1_30default_config_static_selectorELNS0_4arch9wavefront6targetE0EEEvSY_.numbered_sgpr, 0
	.set _ZN7rocprim17ROCPRIM_400000_NS6detail17trampoline_kernelINS0_13select_configILj256ELj13ELNS0_17block_load_methodE3ELS4_3ELS4_3ELNS0_20block_scan_algorithmE0ELj4294967295EEENS1_25partition_config_selectorILNS1_17partition_subalgoE3EjNS0_10empty_typeEbEEZZNS1_14partition_implILS8_3ELb0ES6_jNS0_17counting_iteratorIjlEEPS9_SE_NS0_5tupleIJPjSE_EEENSF_IJSE_SE_EEES9_SG_JZNS1_25segmented_radix_sort_implINS0_14default_configELb0EPKsPsPKlPlN2at6native12_GLOBAL__N_18offset_tEEE10hipError_tPvRmT1_PNSt15iterator_traitsISY_E10value_typeET2_T3_PNSZ_IS14_E10value_typeET4_jRbjT5_S1A_jjP12ihipStream_tbEUljE_EEESV_SW_SX_S14_S18_S1A_T6_T7_T9_mT8_S1C_bDpT10_ENKUlT_T0_E_clISt17integral_constantIbLb1EES1O_IbLb0EEEEDaS1K_S1L_EUlS1K_E_NS1_11comp_targetILNS1_3genE0ELNS1_11target_archE4294967295ELNS1_3gpuE0ELNS1_3repE0EEENS1_30default_config_static_selectorELNS0_4arch9wavefront6targetE0EEEvSY_.num_named_barrier, 0
	.set _ZN7rocprim17ROCPRIM_400000_NS6detail17trampoline_kernelINS0_13select_configILj256ELj13ELNS0_17block_load_methodE3ELS4_3ELS4_3ELNS0_20block_scan_algorithmE0ELj4294967295EEENS1_25partition_config_selectorILNS1_17partition_subalgoE3EjNS0_10empty_typeEbEEZZNS1_14partition_implILS8_3ELb0ES6_jNS0_17counting_iteratorIjlEEPS9_SE_NS0_5tupleIJPjSE_EEENSF_IJSE_SE_EEES9_SG_JZNS1_25segmented_radix_sort_implINS0_14default_configELb0EPKsPsPKlPlN2at6native12_GLOBAL__N_18offset_tEEE10hipError_tPvRmT1_PNSt15iterator_traitsISY_E10value_typeET2_T3_PNSZ_IS14_E10value_typeET4_jRbjT5_S1A_jjP12ihipStream_tbEUljE_EEESV_SW_SX_S14_S18_S1A_T6_T7_T9_mT8_S1C_bDpT10_ENKUlT_T0_E_clISt17integral_constantIbLb1EES1O_IbLb0EEEEDaS1K_S1L_EUlS1K_E_NS1_11comp_targetILNS1_3genE0ELNS1_11target_archE4294967295ELNS1_3gpuE0ELNS1_3repE0EEENS1_30default_config_static_selectorELNS0_4arch9wavefront6targetE0EEEvSY_.private_seg_size, 0
	.set _ZN7rocprim17ROCPRIM_400000_NS6detail17trampoline_kernelINS0_13select_configILj256ELj13ELNS0_17block_load_methodE3ELS4_3ELS4_3ELNS0_20block_scan_algorithmE0ELj4294967295EEENS1_25partition_config_selectorILNS1_17partition_subalgoE3EjNS0_10empty_typeEbEEZZNS1_14partition_implILS8_3ELb0ES6_jNS0_17counting_iteratorIjlEEPS9_SE_NS0_5tupleIJPjSE_EEENSF_IJSE_SE_EEES9_SG_JZNS1_25segmented_radix_sort_implINS0_14default_configELb0EPKsPsPKlPlN2at6native12_GLOBAL__N_18offset_tEEE10hipError_tPvRmT1_PNSt15iterator_traitsISY_E10value_typeET2_T3_PNSZ_IS14_E10value_typeET4_jRbjT5_S1A_jjP12ihipStream_tbEUljE_EEESV_SW_SX_S14_S18_S1A_T6_T7_T9_mT8_S1C_bDpT10_ENKUlT_T0_E_clISt17integral_constantIbLb1EES1O_IbLb0EEEEDaS1K_S1L_EUlS1K_E_NS1_11comp_targetILNS1_3genE0ELNS1_11target_archE4294967295ELNS1_3gpuE0ELNS1_3repE0EEENS1_30default_config_static_selectorELNS0_4arch9wavefront6targetE0EEEvSY_.uses_vcc, 0
	.set _ZN7rocprim17ROCPRIM_400000_NS6detail17trampoline_kernelINS0_13select_configILj256ELj13ELNS0_17block_load_methodE3ELS4_3ELS4_3ELNS0_20block_scan_algorithmE0ELj4294967295EEENS1_25partition_config_selectorILNS1_17partition_subalgoE3EjNS0_10empty_typeEbEEZZNS1_14partition_implILS8_3ELb0ES6_jNS0_17counting_iteratorIjlEEPS9_SE_NS0_5tupleIJPjSE_EEENSF_IJSE_SE_EEES9_SG_JZNS1_25segmented_radix_sort_implINS0_14default_configELb0EPKsPsPKlPlN2at6native12_GLOBAL__N_18offset_tEEE10hipError_tPvRmT1_PNSt15iterator_traitsISY_E10value_typeET2_T3_PNSZ_IS14_E10value_typeET4_jRbjT5_S1A_jjP12ihipStream_tbEUljE_EEESV_SW_SX_S14_S18_S1A_T6_T7_T9_mT8_S1C_bDpT10_ENKUlT_T0_E_clISt17integral_constantIbLb1EES1O_IbLb0EEEEDaS1K_S1L_EUlS1K_E_NS1_11comp_targetILNS1_3genE0ELNS1_11target_archE4294967295ELNS1_3gpuE0ELNS1_3repE0EEENS1_30default_config_static_selectorELNS0_4arch9wavefront6targetE0EEEvSY_.uses_flat_scratch, 0
	.set _ZN7rocprim17ROCPRIM_400000_NS6detail17trampoline_kernelINS0_13select_configILj256ELj13ELNS0_17block_load_methodE3ELS4_3ELS4_3ELNS0_20block_scan_algorithmE0ELj4294967295EEENS1_25partition_config_selectorILNS1_17partition_subalgoE3EjNS0_10empty_typeEbEEZZNS1_14partition_implILS8_3ELb0ES6_jNS0_17counting_iteratorIjlEEPS9_SE_NS0_5tupleIJPjSE_EEENSF_IJSE_SE_EEES9_SG_JZNS1_25segmented_radix_sort_implINS0_14default_configELb0EPKsPsPKlPlN2at6native12_GLOBAL__N_18offset_tEEE10hipError_tPvRmT1_PNSt15iterator_traitsISY_E10value_typeET2_T3_PNSZ_IS14_E10value_typeET4_jRbjT5_S1A_jjP12ihipStream_tbEUljE_EEESV_SW_SX_S14_S18_S1A_T6_T7_T9_mT8_S1C_bDpT10_ENKUlT_T0_E_clISt17integral_constantIbLb1EES1O_IbLb0EEEEDaS1K_S1L_EUlS1K_E_NS1_11comp_targetILNS1_3genE0ELNS1_11target_archE4294967295ELNS1_3gpuE0ELNS1_3repE0EEENS1_30default_config_static_selectorELNS0_4arch9wavefront6targetE0EEEvSY_.has_dyn_sized_stack, 0
	.set _ZN7rocprim17ROCPRIM_400000_NS6detail17trampoline_kernelINS0_13select_configILj256ELj13ELNS0_17block_load_methodE3ELS4_3ELS4_3ELNS0_20block_scan_algorithmE0ELj4294967295EEENS1_25partition_config_selectorILNS1_17partition_subalgoE3EjNS0_10empty_typeEbEEZZNS1_14partition_implILS8_3ELb0ES6_jNS0_17counting_iteratorIjlEEPS9_SE_NS0_5tupleIJPjSE_EEENSF_IJSE_SE_EEES9_SG_JZNS1_25segmented_radix_sort_implINS0_14default_configELb0EPKsPsPKlPlN2at6native12_GLOBAL__N_18offset_tEEE10hipError_tPvRmT1_PNSt15iterator_traitsISY_E10value_typeET2_T3_PNSZ_IS14_E10value_typeET4_jRbjT5_S1A_jjP12ihipStream_tbEUljE_EEESV_SW_SX_S14_S18_S1A_T6_T7_T9_mT8_S1C_bDpT10_ENKUlT_T0_E_clISt17integral_constantIbLb1EES1O_IbLb0EEEEDaS1K_S1L_EUlS1K_E_NS1_11comp_targetILNS1_3genE0ELNS1_11target_archE4294967295ELNS1_3gpuE0ELNS1_3repE0EEENS1_30default_config_static_selectorELNS0_4arch9wavefront6targetE0EEEvSY_.has_recursion, 0
	.set _ZN7rocprim17ROCPRIM_400000_NS6detail17trampoline_kernelINS0_13select_configILj256ELj13ELNS0_17block_load_methodE3ELS4_3ELS4_3ELNS0_20block_scan_algorithmE0ELj4294967295EEENS1_25partition_config_selectorILNS1_17partition_subalgoE3EjNS0_10empty_typeEbEEZZNS1_14partition_implILS8_3ELb0ES6_jNS0_17counting_iteratorIjlEEPS9_SE_NS0_5tupleIJPjSE_EEENSF_IJSE_SE_EEES9_SG_JZNS1_25segmented_radix_sort_implINS0_14default_configELb0EPKsPsPKlPlN2at6native12_GLOBAL__N_18offset_tEEE10hipError_tPvRmT1_PNSt15iterator_traitsISY_E10value_typeET2_T3_PNSZ_IS14_E10value_typeET4_jRbjT5_S1A_jjP12ihipStream_tbEUljE_EEESV_SW_SX_S14_S18_S1A_T6_T7_T9_mT8_S1C_bDpT10_ENKUlT_T0_E_clISt17integral_constantIbLb1EES1O_IbLb0EEEEDaS1K_S1L_EUlS1K_E_NS1_11comp_targetILNS1_3genE0ELNS1_11target_archE4294967295ELNS1_3gpuE0ELNS1_3repE0EEENS1_30default_config_static_selectorELNS0_4arch9wavefront6targetE0EEEvSY_.has_indirect_call, 0
	.section	.AMDGPU.csdata,"",@progbits
; Kernel info:
; codeLenInByte = 4
; TotalNumSgprs: 0
; NumVgprs: 0
; ScratchSize: 0
; MemoryBound: 0
; FloatMode: 240
; IeeeMode: 1
; LDSByteSize: 0 bytes/workgroup (compile time only)
; SGPRBlocks: 0
; VGPRBlocks: 0
; NumSGPRsForWavesPerEU: 1
; NumVGPRsForWavesPerEU: 1
; NamedBarCnt: 0
; Occupancy: 16
; WaveLimiterHint : 0
; COMPUTE_PGM_RSRC2:SCRATCH_EN: 0
; COMPUTE_PGM_RSRC2:USER_SGPR: 2
; COMPUTE_PGM_RSRC2:TRAP_HANDLER: 0
; COMPUTE_PGM_RSRC2:TGID_X_EN: 1
; COMPUTE_PGM_RSRC2:TGID_Y_EN: 0
; COMPUTE_PGM_RSRC2:TGID_Z_EN: 0
; COMPUTE_PGM_RSRC2:TIDIG_COMP_CNT: 0
	.section	.text._ZN7rocprim17ROCPRIM_400000_NS6detail17trampoline_kernelINS0_13select_configILj256ELj13ELNS0_17block_load_methodE3ELS4_3ELS4_3ELNS0_20block_scan_algorithmE0ELj4294967295EEENS1_25partition_config_selectorILNS1_17partition_subalgoE3EjNS0_10empty_typeEbEEZZNS1_14partition_implILS8_3ELb0ES6_jNS0_17counting_iteratorIjlEEPS9_SE_NS0_5tupleIJPjSE_EEENSF_IJSE_SE_EEES9_SG_JZNS1_25segmented_radix_sort_implINS0_14default_configELb0EPKsPsPKlPlN2at6native12_GLOBAL__N_18offset_tEEE10hipError_tPvRmT1_PNSt15iterator_traitsISY_E10value_typeET2_T3_PNSZ_IS14_E10value_typeET4_jRbjT5_S1A_jjP12ihipStream_tbEUljE_EEESV_SW_SX_S14_S18_S1A_T6_T7_T9_mT8_S1C_bDpT10_ENKUlT_T0_E_clISt17integral_constantIbLb1EES1O_IbLb0EEEEDaS1K_S1L_EUlS1K_E_NS1_11comp_targetILNS1_3genE5ELNS1_11target_archE942ELNS1_3gpuE9ELNS1_3repE0EEENS1_30default_config_static_selectorELNS0_4arch9wavefront6targetE0EEEvSY_,"axG",@progbits,_ZN7rocprim17ROCPRIM_400000_NS6detail17trampoline_kernelINS0_13select_configILj256ELj13ELNS0_17block_load_methodE3ELS4_3ELS4_3ELNS0_20block_scan_algorithmE0ELj4294967295EEENS1_25partition_config_selectorILNS1_17partition_subalgoE3EjNS0_10empty_typeEbEEZZNS1_14partition_implILS8_3ELb0ES6_jNS0_17counting_iteratorIjlEEPS9_SE_NS0_5tupleIJPjSE_EEENSF_IJSE_SE_EEES9_SG_JZNS1_25segmented_radix_sort_implINS0_14default_configELb0EPKsPsPKlPlN2at6native12_GLOBAL__N_18offset_tEEE10hipError_tPvRmT1_PNSt15iterator_traitsISY_E10value_typeET2_T3_PNSZ_IS14_E10value_typeET4_jRbjT5_S1A_jjP12ihipStream_tbEUljE_EEESV_SW_SX_S14_S18_S1A_T6_T7_T9_mT8_S1C_bDpT10_ENKUlT_T0_E_clISt17integral_constantIbLb1EES1O_IbLb0EEEEDaS1K_S1L_EUlS1K_E_NS1_11comp_targetILNS1_3genE5ELNS1_11target_archE942ELNS1_3gpuE9ELNS1_3repE0EEENS1_30default_config_static_selectorELNS0_4arch9wavefront6targetE0EEEvSY_,comdat
	.globl	_ZN7rocprim17ROCPRIM_400000_NS6detail17trampoline_kernelINS0_13select_configILj256ELj13ELNS0_17block_load_methodE3ELS4_3ELS4_3ELNS0_20block_scan_algorithmE0ELj4294967295EEENS1_25partition_config_selectorILNS1_17partition_subalgoE3EjNS0_10empty_typeEbEEZZNS1_14partition_implILS8_3ELb0ES6_jNS0_17counting_iteratorIjlEEPS9_SE_NS0_5tupleIJPjSE_EEENSF_IJSE_SE_EEES9_SG_JZNS1_25segmented_radix_sort_implINS0_14default_configELb0EPKsPsPKlPlN2at6native12_GLOBAL__N_18offset_tEEE10hipError_tPvRmT1_PNSt15iterator_traitsISY_E10value_typeET2_T3_PNSZ_IS14_E10value_typeET4_jRbjT5_S1A_jjP12ihipStream_tbEUljE_EEESV_SW_SX_S14_S18_S1A_T6_T7_T9_mT8_S1C_bDpT10_ENKUlT_T0_E_clISt17integral_constantIbLb1EES1O_IbLb0EEEEDaS1K_S1L_EUlS1K_E_NS1_11comp_targetILNS1_3genE5ELNS1_11target_archE942ELNS1_3gpuE9ELNS1_3repE0EEENS1_30default_config_static_selectorELNS0_4arch9wavefront6targetE0EEEvSY_ ; -- Begin function _ZN7rocprim17ROCPRIM_400000_NS6detail17trampoline_kernelINS0_13select_configILj256ELj13ELNS0_17block_load_methodE3ELS4_3ELS4_3ELNS0_20block_scan_algorithmE0ELj4294967295EEENS1_25partition_config_selectorILNS1_17partition_subalgoE3EjNS0_10empty_typeEbEEZZNS1_14partition_implILS8_3ELb0ES6_jNS0_17counting_iteratorIjlEEPS9_SE_NS0_5tupleIJPjSE_EEENSF_IJSE_SE_EEES9_SG_JZNS1_25segmented_radix_sort_implINS0_14default_configELb0EPKsPsPKlPlN2at6native12_GLOBAL__N_18offset_tEEE10hipError_tPvRmT1_PNSt15iterator_traitsISY_E10value_typeET2_T3_PNSZ_IS14_E10value_typeET4_jRbjT5_S1A_jjP12ihipStream_tbEUljE_EEESV_SW_SX_S14_S18_S1A_T6_T7_T9_mT8_S1C_bDpT10_ENKUlT_T0_E_clISt17integral_constantIbLb1EES1O_IbLb0EEEEDaS1K_S1L_EUlS1K_E_NS1_11comp_targetILNS1_3genE5ELNS1_11target_archE942ELNS1_3gpuE9ELNS1_3repE0EEENS1_30default_config_static_selectorELNS0_4arch9wavefront6targetE0EEEvSY_
	.p2align	8
	.type	_ZN7rocprim17ROCPRIM_400000_NS6detail17trampoline_kernelINS0_13select_configILj256ELj13ELNS0_17block_load_methodE3ELS4_3ELS4_3ELNS0_20block_scan_algorithmE0ELj4294967295EEENS1_25partition_config_selectorILNS1_17partition_subalgoE3EjNS0_10empty_typeEbEEZZNS1_14partition_implILS8_3ELb0ES6_jNS0_17counting_iteratorIjlEEPS9_SE_NS0_5tupleIJPjSE_EEENSF_IJSE_SE_EEES9_SG_JZNS1_25segmented_radix_sort_implINS0_14default_configELb0EPKsPsPKlPlN2at6native12_GLOBAL__N_18offset_tEEE10hipError_tPvRmT1_PNSt15iterator_traitsISY_E10value_typeET2_T3_PNSZ_IS14_E10value_typeET4_jRbjT5_S1A_jjP12ihipStream_tbEUljE_EEESV_SW_SX_S14_S18_S1A_T6_T7_T9_mT8_S1C_bDpT10_ENKUlT_T0_E_clISt17integral_constantIbLb1EES1O_IbLb0EEEEDaS1K_S1L_EUlS1K_E_NS1_11comp_targetILNS1_3genE5ELNS1_11target_archE942ELNS1_3gpuE9ELNS1_3repE0EEENS1_30default_config_static_selectorELNS0_4arch9wavefront6targetE0EEEvSY_,@function
_ZN7rocprim17ROCPRIM_400000_NS6detail17trampoline_kernelINS0_13select_configILj256ELj13ELNS0_17block_load_methodE3ELS4_3ELS4_3ELNS0_20block_scan_algorithmE0ELj4294967295EEENS1_25partition_config_selectorILNS1_17partition_subalgoE3EjNS0_10empty_typeEbEEZZNS1_14partition_implILS8_3ELb0ES6_jNS0_17counting_iteratorIjlEEPS9_SE_NS0_5tupleIJPjSE_EEENSF_IJSE_SE_EEES9_SG_JZNS1_25segmented_radix_sort_implINS0_14default_configELb0EPKsPsPKlPlN2at6native12_GLOBAL__N_18offset_tEEE10hipError_tPvRmT1_PNSt15iterator_traitsISY_E10value_typeET2_T3_PNSZ_IS14_E10value_typeET4_jRbjT5_S1A_jjP12ihipStream_tbEUljE_EEESV_SW_SX_S14_S18_S1A_T6_T7_T9_mT8_S1C_bDpT10_ENKUlT_T0_E_clISt17integral_constantIbLb1EES1O_IbLb0EEEEDaS1K_S1L_EUlS1K_E_NS1_11comp_targetILNS1_3genE5ELNS1_11target_archE942ELNS1_3gpuE9ELNS1_3repE0EEENS1_30default_config_static_selectorELNS0_4arch9wavefront6targetE0EEEvSY_: ; @_ZN7rocprim17ROCPRIM_400000_NS6detail17trampoline_kernelINS0_13select_configILj256ELj13ELNS0_17block_load_methodE3ELS4_3ELS4_3ELNS0_20block_scan_algorithmE0ELj4294967295EEENS1_25partition_config_selectorILNS1_17partition_subalgoE3EjNS0_10empty_typeEbEEZZNS1_14partition_implILS8_3ELb0ES6_jNS0_17counting_iteratorIjlEEPS9_SE_NS0_5tupleIJPjSE_EEENSF_IJSE_SE_EEES9_SG_JZNS1_25segmented_radix_sort_implINS0_14default_configELb0EPKsPsPKlPlN2at6native12_GLOBAL__N_18offset_tEEE10hipError_tPvRmT1_PNSt15iterator_traitsISY_E10value_typeET2_T3_PNSZ_IS14_E10value_typeET4_jRbjT5_S1A_jjP12ihipStream_tbEUljE_EEESV_SW_SX_S14_S18_S1A_T6_T7_T9_mT8_S1C_bDpT10_ENKUlT_T0_E_clISt17integral_constantIbLb1EES1O_IbLb0EEEEDaS1K_S1L_EUlS1K_E_NS1_11comp_targetILNS1_3genE5ELNS1_11target_archE942ELNS1_3gpuE9ELNS1_3repE0EEENS1_30default_config_static_selectorELNS0_4arch9wavefront6targetE0EEEvSY_
; %bb.0:
	.section	.rodata,"a",@progbits
	.p2align	6, 0x0
	.amdhsa_kernel _ZN7rocprim17ROCPRIM_400000_NS6detail17trampoline_kernelINS0_13select_configILj256ELj13ELNS0_17block_load_methodE3ELS4_3ELS4_3ELNS0_20block_scan_algorithmE0ELj4294967295EEENS1_25partition_config_selectorILNS1_17partition_subalgoE3EjNS0_10empty_typeEbEEZZNS1_14partition_implILS8_3ELb0ES6_jNS0_17counting_iteratorIjlEEPS9_SE_NS0_5tupleIJPjSE_EEENSF_IJSE_SE_EEES9_SG_JZNS1_25segmented_radix_sort_implINS0_14default_configELb0EPKsPsPKlPlN2at6native12_GLOBAL__N_18offset_tEEE10hipError_tPvRmT1_PNSt15iterator_traitsISY_E10value_typeET2_T3_PNSZ_IS14_E10value_typeET4_jRbjT5_S1A_jjP12ihipStream_tbEUljE_EEESV_SW_SX_S14_S18_S1A_T6_T7_T9_mT8_S1C_bDpT10_ENKUlT_T0_E_clISt17integral_constantIbLb1EES1O_IbLb0EEEEDaS1K_S1L_EUlS1K_E_NS1_11comp_targetILNS1_3genE5ELNS1_11target_archE942ELNS1_3gpuE9ELNS1_3repE0EEENS1_30default_config_static_selectorELNS0_4arch9wavefront6targetE0EEEvSY_
		.amdhsa_group_segment_fixed_size 0
		.amdhsa_private_segment_fixed_size 0
		.amdhsa_kernarg_size 144
		.amdhsa_user_sgpr_count 2
		.amdhsa_user_sgpr_dispatch_ptr 0
		.amdhsa_user_sgpr_queue_ptr 0
		.amdhsa_user_sgpr_kernarg_segment_ptr 1
		.amdhsa_user_sgpr_dispatch_id 0
		.amdhsa_user_sgpr_kernarg_preload_length 0
		.amdhsa_user_sgpr_kernarg_preload_offset 0
		.amdhsa_user_sgpr_private_segment_size 0
		.amdhsa_wavefront_size32 1
		.amdhsa_uses_dynamic_stack 0
		.amdhsa_enable_private_segment 0
		.amdhsa_system_sgpr_workgroup_id_x 1
		.amdhsa_system_sgpr_workgroup_id_y 0
		.amdhsa_system_sgpr_workgroup_id_z 0
		.amdhsa_system_sgpr_workgroup_info 0
		.amdhsa_system_vgpr_workitem_id 0
		.amdhsa_next_free_vgpr 1
		.amdhsa_next_free_sgpr 1
		.amdhsa_named_barrier_count 0
		.amdhsa_reserve_vcc 0
		.amdhsa_float_round_mode_32 0
		.amdhsa_float_round_mode_16_64 0
		.amdhsa_float_denorm_mode_32 3
		.amdhsa_float_denorm_mode_16_64 3
		.amdhsa_fp16_overflow 0
		.amdhsa_memory_ordered 1
		.amdhsa_forward_progress 1
		.amdhsa_inst_pref_size 0
		.amdhsa_round_robin_scheduling 0
		.amdhsa_exception_fp_ieee_invalid_op 0
		.amdhsa_exception_fp_denorm_src 0
		.amdhsa_exception_fp_ieee_div_zero 0
		.amdhsa_exception_fp_ieee_overflow 0
		.amdhsa_exception_fp_ieee_underflow 0
		.amdhsa_exception_fp_ieee_inexact 0
		.amdhsa_exception_int_div_zero 0
	.end_amdhsa_kernel
	.section	.text._ZN7rocprim17ROCPRIM_400000_NS6detail17trampoline_kernelINS0_13select_configILj256ELj13ELNS0_17block_load_methodE3ELS4_3ELS4_3ELNS0_20block_scan_algorithmE0ELj4294967295EEENS1_25partition_config_selectorILNS1_17partition_subalgoE3EjNS0_10empty_typeEbEEZZNS1_14partition_implILS8_3ELb0ES6_jNS0_17counting_iteratorIjlEEPS9_SE_NS0_5tupleIJPjSE_EEENSF_IJSE_SE_EEES9_SG_JZNS1_25segmented_radix_sort_implINS0_14default_configELb0EPKsPsPKlPlN2at6native12_GLOBAL__N_18offset_tEEE10hipError_tPvRmT1_PNSt15iterator_traitsISY_E10value_typeET2_T3_PNSZ_IS14_E10value_typeET4_jRbjT5_S1A_jjP12ihipStream_tbEUljE_EEESV_SW_SX_S14_S18_S1A_T6_T7_T9_mT8_S1C_bDpT10_ENKUlT_T0_E_clISt17integral_constantIbLb1EES1O_IbLb0EEEEDaS1K_S1L_EUlS1K_E_NS1_11comp_targetILNS1_3genE5ELNS1_11target_archE942ELNS1_3gpuE9ELNS1_3repE0EEENS1_30default_config_static_selectorELNS0_4arch9wavefront6targetE0EEEvSY_,"axG",@progbits,_ZN7rocprim17ROCPRIM_400000_NS6detail17trampoline_kernelINS0_13select_configILj256ELj13ELNS0_17block_load_methodE3ELS4_3ELS4_3ELNS0_20block_scan_algorithmE0ELj4294967295EEENS1_25partition_config_selectorILNS1_17partition_subalgoE3EjNS0_10empty_typeEbEEZZNS1_14partition_implILS8_3ELb0ES6_jNS0_17counting_iteratorIjlEEPS9_SE_NS0_5tupleIJPjSE_EEENSF_IJSE_SE_EEES9_SG_JZNS1_25segmented_radix_sort_implINS0_14default_configELb0EPKsPsPKlPlN2at6native12_GLOBAL__N_18offset_tEEE10hipError_tPvRmT1_PNSt15iterator_traitsISY_E10value_typeET2_T3_PNSZ_IS14_E10value_typeET4_jRbjT5_S1A_jjP12ihipStream_tbEUljE_EEESV_SW_SX_S14_S18_S1A_T6_T7_T9_mT8_S1C_bDpT10_ENKUlT_T0_E_clISt17integral_constantIbLb1EES1O_IbLb0EEEEDaS1K_S1L_EUlS1K_E_NS1_11comp_targetILNS1_3genE5ELNS1_11target_archE942ELNS1_3gpuE9ELNS1_3repE0EEENS1_30default_config_static_selectorELNS0_4arch9wavefront6targetE0EEEvSY_,comdat
.Lfunc_end994:
	.size	_ZN7rocprim17ROCPRIM_400000_NS6detail17trampoline_kernelINS0_13select_configILj256ELj13ELNS0_17block_load_methodE3ELS4_3ELS4_3ELNS0_20block_scan_algorithmE0ELj4294967295EEENS1_25partition_config_selectorILNS1_17partition_subalgoE3EjNS0_10empty_typeEbEEZZNS1_14partition_implILS8_3ELb0ES6_jNS0_17counting_iteratorIjlEEPS9_SE_NS0_5tupleIJPjSE_EEENSF_IJSE_SE_EEES9_SG_JZNS1_25segmented_radix_sort_implINS0_14default_configELb0EPKsPsPKlPlN2at6native12_GLOBAL__N_18offset_tEEE10hipError_tPvRmT1_PNSt15iterator_traitsISY_E10value_typeET2_T3_PNSZ_IS14_E10value_typeET4_jRbjT5_S1A_jjP12ihipStream_tbEUljE_EEESV_SW_SX_S14_S18_S1A_T6_T7_T9_mT8_S1C_bDpT10_ENKUlT_T0_E_clISt17integral_constantIbLb1EES1O_IbLb0EEEEDaS1K_S1L_EUlS1K_E_NS1_11comp_targetILNS1_3genE5ELNS1_11target_archE942ELNS1_3gpuE9ELNS1_3repE0EEENS1_30default_config_static_selectorELNS0_4arch9wavefront6targetE0EEEvSY_, .Lfunc_end994-_ZN7rocprim17ROCPRIM_400000_NS6detail17trampoline_kernelINS0_13select_configILj256ELj13ELNS0_17block_load_methodE3ELS4_3ELS4_3ELNS0_20block_scan_algorithmE0ELj4294967295EEENS1_25partition_config_selectorILNS1_17partition_subalgoE3EjNS0_10empty_typeEbEEZZNS1_14partition_implILS8_3ELb0ES6_jNS0_17counting_iteratorIjlEEPS9_SE_NS0_5tupleIJPjSE_EEENSF_IJSE_SE_EEES9_SG_JZNS1_25segmented_radix_sort_implINS0_14default_configELb0EPKsPsPKlPlN2at6native12_GLOBAL__N_18offset_tEEE10hipError_tPvRmT1_PNSt15iterator_traitsISY_E10value_typeET2_T3_PNSZ_IS14_E10value_typeET4_jRbjT5_S1A_jjP12ihipStream_tbEUljE_EEESV_SW_SX_S14_S18_S1A_T6_T7_T9_mT8_S1C_bDpT10_ENKUlT_T0_E_clISt17integral_constantIbLb1EES1O_IbLb0EEEEDaS1K_S1L_EUlS1K_E_NS1_11comp_targetILNS1_3genE5ELNS1_11target_archE942ELNS1_3gpuE9ELNS1_3repE0EEENS1_30default_config_static_selectorELNS0_4arch9wavefront6targetE0EEEvSY_
                                        ; -- End function
	.set _ZN7rocprim17ROCPRIM_400000_NS6detail17trampoline_kernelINS0_13select_configILj256ELj13ELNS0_17block_load_methodE3ELS4_3ELS4_3ELNS0_20block_scan_algorithmE0ELj4294967295EEENS1_25partition_config_selectorILNS1_17partition_subalgoE3EjNS0_10empty_typeEbEEZZNS1_14partition_implILS8_3ELb0ES6_jNS0_17counting_iteratorIjlEEPS9_SE_NS0_5tupleIJPjSE_EEENSF_IJSE_SE_EEES9_SG_JZNS1_25segmented_radix_sort_implINS0_14default_configELb0EPKsPsPKlPlN2at6native12_GLOBAL__N_18offset_tEEE10hipError_tPvRmT1_PNSt15iterator_traitsISY_E10value_typeET2_T3_PNSZ_IS14_E10value_typeET4_jRbjT5_S1A_jjP12ihipStream_tbEUljE_EEESV_SW_SX_S14_S18_S1A_T6_T7_T9_mT8_S1C_bDpT10_ENKUlT_T0_E_clISt17integral_constantIbLb1EES1O_IbLb0EEEEDaS1K_S1L_EUlS1K_E_NS1_11comp_targetILNS1_3genE5ELNS1_11target_archE942ELNS1_3gpuE9ELNS1_3repE0EEENS1_30default_config_static_selectorELNS0_4arch9wavefront6targetE0EEEvSY_.num_vgpr, 0
	.set _ZN7rocprim17ROCPRIM_400000_NS6detail17trampoline_kernelINS0_13select_configILj256ELj13ELNS0_17block_load_methodE3ELS4_3ELS4_3ELNS0_20block_scan_algorithmE0ELj4294967295EEENS1_25partition_config_selectorILNS1_17partition_subalgoE3EjNS0_10empty_typeEbEEZZNS1_14partition_implILS8_3ELb0ES6_jNS0_17counting_iteratorIjlEEPS9_SE_NS0_5tupleIJPjSE_EEENSF_IJSE_SE_EEES9_SG_JZNS1_25segmented_radix_sort_implINS0_14default_configELb0EPKsPsPKlPlN2at6native12_GLOBAL__N_18offset_tEEE10hipError_tPvRmT1_PNSt15iterator_traitsISY_E10value_typeET2_T3_PNSZ_IS14_E10value_typeET4_jRbjT5_S1A_jjP12ihipStream_tbEUljE_EEESV_SW_SX_S14_S18_S1A_T6_T7_T9_mT8_S1C_bDpT10_ENKUlT_T0_E_clISt17integral_constantIbLb1EES1O_IbLb0EEEEDaS1K_S1L_EUlS1K_E_NS1_11comp_targetILNS1_3genE5ELNS1_11target_archE942ELNS1_3gpuE9ELNS1_3repE0EEENS1_30default_config_static_selectorELNS0_4arch9wavefront6targetE0EEEvSY_.num_agpr, 0
	.set _ZN7rocprim17ROCPRIM_400000_NS6detail17trampoline_kernelINS0_13select_configILj256ELj13ELNS0_17block_load_methodE3ELS4_3ELS4_3ELNS0_20block_scan_algorithmE0ELj4294967295EEENS1_25partition_config_selectorILNS1_17partition_subalgoE3EjNS0_10empty_typeEbEEZZNS1_14partition_implILS8_3ELb0ES6_jNS0_17counting_iteratorIjlEEPS9_SE_NS0_5tupleIJPjSE_EEENSF_IJSE_SE_EEES9_SG_JZNS1_25segmented_radix_sort_implINS0_14default_configELb0EPKsPsPKlPlN2at6native12_GLOBAL__N_18offset_tEEE10hipError_tPvRmT1_PNSt15iterator_traitsISY_E10value_typeET2_T3_PNSZ_IS14_E10value_typeET4_jRbjT5_S1A_jjP12ihipStream_tbEUljE_EEESV_SW_SX_S14_S18_S1A_T6_T7_T9_mT8_S1C_bDpT10_ENKUlT_T0_E_clISt17integral_constantIbLb1EES1O_IbLb0EEEEDaS1K_S1L_EUlS1K_E_NS1_11comp_targetILNS1_3genE5ELNS1_11target_archE942ELNS1_3gpuE9ELNS1_3repE0EEENS1_30default_config_static_selectorELNS0_4arch9wavefront6targetE0EEEvSY_.numbered_sgpr, 0
	.set _ZN7rocprim17ROCPRIM_400000_NS6detail17trampoline_kernelINS0_13select_configILj256ELj13ELNS0_17block_load_methodE3ELS4_3ELS4_3ELNS0_20block_scan_algorithmE0ELj4294967295EEENS1_25partition_config_selectorILNS1_17partition_subalgoE3EjNS0_10empty_typeEbEEZZNS1_14partition_implILS8_3ELb0ES6_jNS0_17counting_iteratorIjlEEPS9_SE_NS0_5tupleIJPjSE_EEENSF_IJSE_SE_EEES9_SG_JZNS1_25segmented_radix_sort_implINS0_14default_configELb0EPKsPsPKlPlN2at6native12_GLOBAL__N_18offset_tEEE10hipError_tPvRmT1_PNSt15iterator_traitsISY_E10value_typeET2_T3_PNSZ_IS14_E10value_typeET4_jRbjT5_S1A_jjP12ihipStream_tbEUljE_EEESV_SW_SX_S14_S18_S1A_T6_T7_T9_mT8_S1C_bDpT10_ENKUlT_T0_E_clISt17integral_constantIbLb1EES1O_IbLb0EEEEDaS1K_S1L_EUlS1K_E_NS1_11comp_targetILNS1_3genE5ELNS1_11target_archE942ELNS1_3gpuE9ELNS1_3repE0EEENS1_30default_config_static_selectorELNS0_4arch9wavefront6targetE0EEEvSY_.num_named_barrier, 0
	.set _ZN7rocprim17ROCPRIM_400000_NS6detail17trampoline_kernelINS0_13select_configILj256ELj13ELNS0_17block_load_methodE3ELS4_3ELS4_3ELNS0_20block_scan_algorithmE0ELj4294967295EEENS1_25partition_config_selectorILNS1_17partition_subalgoE3EjNS0_10empty_typeEbEEZZNS1_14partition_implILS8_3ELb0ES6_jNS0_17counting_iteratorIjlEEPS9_SE_NS0_5tupleIJPjSE_EEENSF_IJSE_SE_EEES9_SG_JZNS1_25segmented_radix_sort_implINS0_14default_configELb0EPKsPsPKlPlN2at6native12_GLOBAL__N_18offset_tEEE10hipError_tPvRmT1_PNSt15iterator_traitsISY_E10value_typeET2_T3_PNSZ_IS14_E10value_typeET4_jRbjT5_S1A_jjP12ihipStream_tbEUljE_EEESV_SW_SX_S14_S18_S1A_T6_T7_T9_mT8_S1C_bDpT10_ENKUlT_T0_E_clISt17integral_constantIbLb1EES1O_IbLb0EEEEDaS1K_S1L_EUlS1K_E_NS1_11comp_targetILNS1_3genE5ELNS1_11target_archE942ELNS1_3gpuE9ELNS1_3repE0EEENS1_30default_config_static_selectorELNS0_4arch9wavefront6targetE0EEEvSY_.private_seg_size, 0
	.set _ZN7rocprim17ROCPRIM_400000_NS6detail17trampoline_kernelINS0_13select_configILj256ELj13ELNS0_17block_load_methodE3ELS4_3ELS4_3ELNS0_20block_scan_algorithmE0ELj4294967295EEENS1_25partition_config_selectorILNS1_17partition_subalgoE3EjNS0_10empty_typeEbEEZZNS1_14partition_implILS8_3ELb0ES6_jNS0_17counting_iteratorIjlEEPS9_SE_NS0_5tupleIJPjSE_EEENSF_IJSE_SE_EEES9_SG_JZNS1_25segmented_radix_sort_implINS0_14default_configELb0EPKsPsPKlPlN2at6native12_GLOBAL__N_18offset_tEEE10hipError_tPvRmT1_PNSt15iterator_traitsISY_E10value_typeET2_T3_PNSZ_IS14_E10value_typeET4_jRbjT5_S1A_jjP12ihipStream_tbEUljE_EEESV_SW_SX_S14_S18_S1A_T6_T7_T9_mT8_S1C_bDpT10_ENKUlT_T0_E_clISt17integral_constantIbLb1EES1O_IbLb0EEEEDaS1K_S1L_EUlS1K_E_NS1_11comp_targetILNS1_3genE5ELNS1_11target_archE942ELNS1_3gpuE9ELNS1_3repE0EEENS1_30default_config_static_selectorELNS0_4arch9wavefront6targetE0EEEvSY_.uses_vcc, 0
	.set _ZN7rocprim17ROCPRIM_400000_NS6detail17trampoline_kernelINS0_13select_configILj256ELj13ELNS0_17block_load_methodE3ELS4_3ELS4_3ELNS0_20block_scan_algorithmE0ELj4294967295EEENS1_25partition_config_selectorILNS1_17partition_subalgoE3EjNS0_10empty_typeEbEEZZNS1_14partition_implILS8_3ELb0ES6_jNS0_17counting_iteratorIjlEEPS9_SE_NS0_5tupleIJPjSE_EEENSF_IJSE_SE_EEES9_SG_JZNS1_25segmented_radix_sort_implINS0_14default_configELb0EPKsPsPKlPlN2at6native12_GLOBAL__N_18offset_tEEE10hipError_tPvRmT1_PNSt15iterator_traitsISY_E10value_typeET2_T3_PNSZ_IS14_E10value_typeET4_jRbjT5_S1A_jjP12ihipStream_tbEUljE_EEESV_SW_SX_S14_S18_S1A_T6_T7_T9_mT8_S1C_bDpT10_ENKUlT_T0_E_clISt17integral_constantIbLb1EES1O_IbLb0EEEEDaS1K_S1L_EUlS1K_E_NS1_11comp_targetILNS1_3genE5ELNS1_11target_archE942ELNS1_3gpuE9ELNS1_3repE0EEENS1_30default_config_static_selectorELNS0_4arch9wavefront6targetE0EEEvSY_.uses_flat_scratch, 0
	.set _ZN7rocprim17ROCPRIM_400000_NS6detail17trampoline_kernelINS0_13select_configILj256ELj13ELNS0_17block_load_methodE3ELS4_3ELS4_3ELNS0_20block_scan_algorithmE0ELj4294967295EEENS1_25partition_config_selectorILNS1_17partition_subalgoE3EjNS0_10empty_typeEbEEZZNS1_14partition_implILS8_3ELb0ES6_jNS0_17counting_iteratorIjlEEPS9_SE_NS0_5tupleIJPjSE_EEENSF_IJSE_SE_EEES9_SG_JZNS1_25segmented_radix_sort_implINS0_14default_configELb0EPKsPsPKlPlN2at6native12_GLOBAL__N_18offset_tEEE10hipError_tPvRmT1_PNSt15iterator_traitsISY_E10value_typeET2_T3_PNSZ_IS14_E10value_typeET4_jRbjT5_S1A_jjP12ihipStream_tbEUljE_EEESV_SW_SX_S14_S18_S1A_T6_T7_T9_mT8_S1C_bDpT10_ENKUlT_T0_E_clISt17integral_constantIbLb1EES1O_IbLb0EEEEDaS1K_S1L_EUlS1K_E_NS1_11comp_targetILNS1_3genE5ELNS1_11target_archE942ELNS1_3gpuE9ELNS1_3repE0EEENS1_30default_config_static_selectorELNS0_4arch9wavefront6targetE0EEEvSY_.has_dyn_sized_stack, 0
	.set _ZN7rocprim17ROCPRIM_400000_NS6detail17trampoline_kernelINS0_13select_configILj256ELj13ELNS0_17block_load_methodE3ELS4_3ELS4_3ELNS0_20block_scan_algorithmE0ELj4294967295EEENS1_25partition_config_selectorILNS1_17partition_subalgoE3EjNS0_10empty_typeEbEEZZNS1_14partition_implILS8_3ELb0ES6_jNS0_17counting_iteratorIjlEEPS9_SE_NS0_5tupleIJPjSE_EEENSF_IJSE_SE_EEES9_SG_JZNS1_25segmented_radix_sort_implINS0_14default_configELb0EPKsPsPKlPlN2at6native12_GLOBAL__N_18offset_tEEE10hipError_tPvRmT1_PNSt15iterator_traitsISY_E10value_typeET2_T3_PNSZ_IS14_E10value_typeET4_jRbjT5_S1A_jjP12ihipStream_tbEUljE_EEESV_SW_SX_S14_S18_S1A_T6_T7_T9_mT8_S1C_bDpT10_ENKUlT_T0_E_clISt17integral_constantIbLb1EES1O_IbLb0EEEEDaS1K_S1L_EUlS1K_E_NS1_11comp_targetILNS1_3genE5ELNS1_11target_archE942ELNS1_3gpuE9ELNS1_3repE0EEENS1_30default_config_static_selectorELNS0_4arch9wavefront6targetE0EEEvSY_.has_recursion, 0
	.set _ZN7rocprim17ROCPRIM_400000_NS6detail17trampoline_kernelINS0_13select_configILj256ELj13ELNS0_17block_load_methodE3ELS4_3ELS4_3ELNS0_20block_scan_algorithmE0ELj4294967295EEENS1_25partition_config_selectorILNS1_17partition_subalgoE3EjNS0_10empty_typeEbEEZZNS1_14partition_implILS8_3ELb0ES6_jNS0_17counting_iteratorIjlEEPS9_SE_NS0_5tupleIJPjSE_EEENSF_IJSE_SE_EEES9_SG_JZNS1_25segmented_radix_sort_implINS0_14default_configELb0EPKsPsPKlPlN2at6native12_GLOBAL__N_18offset_tEEE10hipError_tPvRmT1_PNSt15iterator_traitsISY_E10value_typeET2_T3_PNSZ_IS14_E10value_typeET4_jRbjT5_S1A_jjP12ihipStream_tbEUljE_EEESV_SW_SX_S14_S18_S1A_T6_T7_T9_mT8_S1C_bDpT10_ENKUlT_T0_E_clISt17integral_constantIbLb1EES1O_IbLb0EEEEDaS1K_S1L_EUlS1K_E_NS1_11comp_targetILNS1_3genE5ELNS1_11target_archE942ELNS1_3gpuE9ELNS1_3repE0EEENS1_30default_config_static_selectorELNS0_4arch9wavefront6targetE0EEEvSY_.has_indirect_call, 0
	.section	.AMDGPU.csdata,"",@progbits
; Kernel info:
; codeLenInByte = 0
; TotalNumSgprs: 0
; NumVgprs: 0
; ScratchSize: 0
; MemoryBound: 0
; FloatMode: 240
; IeeeMode: 1
; LDSByteSize: 0 bytes/workgroup (compile time only)
; SGPRBlocks: 0
; VGPRBlocks: 0
; NumSGPRsForWavesPerEU: 1
; NumVGPRsForWavesPerEU: 1
; NamedBarCnt: 0
; Occupancy: 16
; WaveLimiterHint : 0
; COMPUTE_PGM_RSRC2:SCRATCH_EN: 0
; COMPUTE_PGM_RSRC2:USER_SGPR: 2
; COMPUTE_PGM_RSRC2:TRAP_HANDLER: 0
; COMPUTE_PGM_RSRC2:TGID_X_EN: 1
; COMPUTE_PGM_RSRC2:TGID_Y_EN: 0
; COMPUTE_PGM_RSRC2:TGID_Z_EN: 0
; COMPUTE_PGM_RSRC2:TIDIG_COMP_CNT: 0
	.section	.text._ZN7rocprim17ROCPRIM_400000_NS6detail17trampoline_kernelINS0_13select_configILj256ELj13ELNS0_17block_load_methodE3ELS4_3ELS4_3ELNS0_20block_scan_algorithmE0ELj4294967295EEENS1_25partition_config_selectorILNS1_17partition_subalgoE3EjNS0_10empty_typeEbEEZZNS1_14partition_implILS8_3ELb0ES6_jNS0_17counting_iteratorIjlEEPS9_SE_NS0_5tupleIJPjSE_EEENSF_IJSE_SE_EEES9_SG_JZNS1_25segmented_radix_sort_implINS0_14default_configELb0EPKsPsPKlPlN2at6native12_GLOBAL__N_18offset_tEEE10hipError_tPvRmT1_PNSt15iterator_traitsISY_E10value_typeET2_T3_PNSZ_IS14_E10value_typeET4_jRbjT5_S1A_jjP12ihipStream_tbEUljE_EEESV_SW_SX_S14_S18_S1A_T6_T7_T9_mT8_S1C_bDpT10_ENKUlT_T0_E_clISt17integral_constantIbLb1EES1O_IbLb0EEEEDaS1K_S1L_EUlS1K_E_NS1_11comp_targetILNS1_3genE4ELNS1_11target_archE910ELNS1_3gpuE8ELNS1_3repE0EEENS1_30default_config_static_selectorELNS0_4arch9wavefront6targetE0EEEvSY_,"axG",@progbits,_ZN7rocprim17ROCPRIM_400000_NS6detail17trampoline_kernelINS0_13select_configILj256ELj13ELNS0_17block_load_methodE3ELS4_3ELS4_3ELNS0_20block_scan_algorithmE0ELj4294967295EEENS1_25partition_config_selectorILNS1_17partition_subalgoE3EjNS0_10empty_typeEbEEZZNS1_14partition_implILS8_3ELb0ES6_jNS0_17counting_iteratorIjlEEPS9_SE_NS0_5tupleIJPjSE_EEENSF_IJSE_SE_EEES9_SG_JZNS1_25segmented_radix_sort_implINS0_14default_configELb0EPKsPsPKlPlN2at6native12_GLOBAL__N_18offset_tEEE10hipError_tPvRmT1_PNSt15iterator_traitsISY_E10value_typeET2_T3_PNSZ_IS14_E10value_typeET4_jRbjT5_S1A_jjP12ihipStream_tbEUljE_EEESV_SW_SX_S14_S18_S1A_T6_T7_T9_mT8_S1C_bDpT10_ENKUlT_T0_E_clISt17integral_constantIbLb1EES1O_IbLb0EEEEDaS1K_S1L_EUlS1K_E_NS1_11comp_targetILNS1_3genE4ELNS1_11target_archE910ELNS1_3gpuE8ELNS1_3repE0EEENS1_30default_config_static_selectorELNS0_4arch9wavefront6targetE0EEEvSY_,comdat
	.globl	_ZN7rocprim17ROCPRIM_400000_NS6detail17trampoline_kernelINS0_13select_configILj256ELj13ELNS0_17block_load_methodE3ELS4_3ELS4_3ELNS0_20block_scan_algorithmE0ELj4294967295EEENS1_25partition_config_selectorILNS1_17partition_subalgoE3EjNS0_10empty_typeEbEEZZNS1_14partition_implILS8_3ELb0ES6_jNS0_17counting_iteratorIjlEEPS9_SE_NS0_5tupleIJPjSE_EEENSF_IJSE_SE_EEES9_SG_JZNS1_25segmented_radix_sort_implINS0_14default_configELb0EPKsPsPKlPlN2at6native12_GLOBAL__N_18offset_tEEE10hipError_tPvRmT1_PNSt15iterator_traitsISY_E10value_typeET2_T3_PNSZ_IS14_E10value_typeET4_jRbjT5_S1A_jjP12ihipStream_tbEUljE_EEESV_SW_SX_S14_S18_S1A_T6_T7_T9_mT8_S1C_bDpT10_ENKUlT_T0_E_clISt17integral_constantIbLb1EES1O_IbLb0EEEEDaS1K_S1L_EUlS1K_E_NS1_11comp_targetILNS1_3genE4ELNS1_11target_archE910ELNS1_3gpuE8ELNS1_3repE0EEENS1_30default_config_static_selectorELNS0_4arch9wavefront6targetE0EEEvSY_ ; -- Begin function _ZN7rocprim17ROCPRIM_400000_NS6detail17trampoline_kernelINS0_13select_configILj256ELj13ELNS0_17block_load_methodE3ELS4_3ELS4_3ELNS0_20block_scan_algorithmE0ELj4294967295EEENS1_25partition_config_selectorILNS1_17partition_subalgoE3EjNS0_10empty_typeEbEEZZNS1_14partition_implILS8_3ELb0ES6_jNS0_17counting_iteratorIjlEEPS9_SE_NS0_5tupleIJPjSE_EEENSF_IJSE_SE_EEES9_SG_JZNS1_25segmented_radix_sort_implINS0_14default_configELb0EPKsPsPKlPlN2at6native12_GLOBAL__N_18offset_tEEE10hipError_tPvRmT1_PNSt15iterator_traitsISY_E10value_typeET2_T3_PNSZ_IS14_E10value_typeET4_jRbjT5_S1A_jjP12ihipStream_tbEUljE_EEESV_SW_SX_S14_S18_S1A_T6_T7_T9_mT8_S1C_bDpT10_ENKUlT_T0_E_clISt17integral_constantIbLb1EES1O_IbLb0EEEEDaS1K_S1L_EUlS1K_E_NS1_11comp_targetILNS1_3genE4ELNS1_11target_archE910ELNS1_3gpuE8ELNS1_3repE0EEENS1_30default_config_static_selectorELNS0_4arch9wavefront6targetE0EEEvSY_
	.p2align	8
	.type	_ZN7rocprim17ROCPRIM_400000_NS6detail17trampoline_kernelINS0_13select_configILj256ELj13ELNS0_17block_load_methodE3ELS4_3ELS4_3ELNS0_20block_scan_algorithmE0ELj4294967295EEENS1_25partition_config_selectorILNS1_17partition_subalgoE3EjNS0_10empty_typeEbEEZZNS1_14partition_implILS8_3ELb0ES6_jNS0_17counting_iteratorIjlEEPS9_SE_NS0_5tupleIJPjSE_EEENSF_IJSE_SE_EEES9_SG_JZNS1_25segmented_radix_sort_implINS0_14default_configELb0EPKsPsPKlPlN2at6native12_GLOBAL__N_18offset_tEEE10hipError_tPvRmT1_PNSt15iterator_traitsISY_E10value_typeET2_T3_PNSZ_IS14_E10value_typeET4_jRbjT5_S1A_jjP12ihipStream_tbEUljE_EEESV_SW_SX_S14_S18_S1A_T6_T7_T9_mT8_S1C_bDpT10_ENKUlT_T0_E_clISt17integral_constantIbLb1EES1O_IbLb0EEEEDaS1K_S1L_EUlS1K_E_NS1_11comp_targetILNS1_3genE4ELNS1_11target_archE910ELNS1_3gpuE8ELNS1_3repE0EEENS1_30default_config_static_selectorELNS0_4arch9wavefront6targetE0EEEvSY_,@function
_ZN7rocprim17ROCPRIM_400000_NS6detail17trampoline_kernelINS0_13select_configILj256ELj13ELNS0_17block_load_methodE3ELS4_3ELS4_3ELNS0_20block_scan_algorithmE0ELj4294967295EEENS1_25partition_config_selectorILNS1_17partition_subalgoE3EjNS0_10empty_typeEbEEZZNS1_14partition_implILS8_3ELb0ES6_jNS0_17counting_iteratorIjlEEPS9_SE_NS0_5tupleIJPjSE_EEENSF_IJSE_SE_EEES9_SG_JZNS1_25segmented_radix_sort_implINS0_14default_configELb0EPKsPsPKlPlN2at6native12_GLOBAL__N_18offset_tEEE10hipError_tPvRmT1_PNSt15iterator_traitsISY_E10value_typeET2_T3_PNSZ_IS14_E10value_typeET4_jRbjT5_S1A_jjP12ihipStream_tbEUljE_EEESV_SW_SX_S14_S18_S1A_T6_T7_T9_mT8_S1C_bDpT10_ENKUlT_T0_E_clISt17integral_constantIbLb1EES1O_IbLb0EEEEDaS1K_S1L_EUlS1K_E_NS1_11comp_targetILNS1_3genE4ELNS1_11target_archE910ELNS1_3gpuE8ELNS1_3repE0EEENS1_30default_config_static_selectorELNS0_4arch9wavefront6targetE0EEEvSY_: ; @_ZN7rocprim17ROCPRIM_400000_NS6detail17trampoline_kernelINS0_13select_configILj256ELj13ELNS0_17block_load_methodE3ELS4_3ELS4_3ELNS0_20block_scan_algorithmE0ELj4294967295EEENS1_25partition_config_selectorILNS1_17partition_subalgoE3EjNS0_10empty_typeEbEEZZNS1_14partition_implILS8_3ELb0ES6_jNS0_17counting_iteratorIjlEEPS9_SE_NS0_5tupleIJPjSE_EEENSF_IJSE_SE_EEES9_SG_JZNS1_25segmented_radix_sort_implINS0_14default_configELb0EPKsPsPKlPlN2at6native12_GLOBAL__N_18offset_tEEE10hipError_tPvRmT1_PNSt15iterator_traitsISY_E10value_typeET2_T3_PNSZ_IS14_E10value_typeET4_jRbjT5_S1A_jjP12ihipStream_tbEUljE_EEESV_SW_SX_S14_S18_S1A_T6_T7_T9_mT8_S1C_bDpT10_ENKUlT_T0_E_clISt17integral_constantIbLb1EES1O_IbLb0EEEEDaS1K_S1L_EUlS1K_E_NS1_11comp_targetILNS1_3genE4ELNS1_11target_archE910ELNS1_3gpuE8ELNS1_3repE0EEENS1_30default_config_static_selectorELNS0_4arch9wavefront6targetE0EEEvSY_
; %bb.0:
	.section	.rodata,"a",@progbits
	.p2align	6, 0x0
	.amdhsa_kernel _ZN7rocprim17ROCPRIM_400000_NS6detail17trampoline_kernelINS0_13select_configILj256ELj13ELNS0_17block_load_methodE3ELS4_3ELS4_3ELNS0_20block_scan_algorithmE0ELj4294967295EEENS1_25partition_config_selectorILNS1_17partition_subalgoE3EjNS0_10empty_typeEbEEZZNS1_14partition_implILS8_3ELb0ES6_jNS0_17counting_iteratorIjlEEPS9_SE_NS0_5tupleIJPjSE_EEENSF_IJSE_SE_EEES9_SG_JZNS1_25segmented_radix_sort_implINS0_14default_configELb0EPKsPsPKlPlN2at6native12_GLOBAL__N_18offset_tEEE10hipError_tPvRmT1_PNSt15iterator_traitsISY_E10value_typeET2_T3_PNSZ_IS14_E10value_typeET4_jRbjT5_S1A_jjP12ihipStream_tbEUljE_EEESV_SW_SX_S14_S18_S1A_T6_T7_T9_mT8_S1C_bDpT10_ENKUlT_T0_E_clISt17integral_constantIbLb1EES1O_IbLb0EEEEDaS1K_S1L_EUlS1K_E_NS1_11comp_targetILNS1_3genE4ELNS1_11target_archE910ELNS1_3gpuE8ELNS1_3repE0EEENS1_30default_config_static_selectorELNS0_4arch9wavefront6targetE0EEEvSY_
		.amdhsa_group_segment_fixed_size 0
		.amdhsa_private_segment_fixed_size 0
		.amdhsa_kernarg_size 144
		.amdhsa_user_sgpr_count 2
		.amdhsa_user_sgpr_dispatch_ptr 0
		.amdhsa_user_sgpr_queue_ptr 0
		.amdhsa_user_sgpr_kernarg_segment_ptr 1
		.amdhsa_user_sgpr_dispatch_id 0
		.amdhsa_user_sgpr_kernarg_preload_length 0
		.amdhsa_user_sgpr_kernarg_preload_offset 0
		.amdhsa_user_sgpr_private_segment_size 0
		.amdhsa_wavefront_size32 1
		.amdhsa_uses_dynamic_stack 0
		.amdhsa_enable_private_segment 0
		.amdhsa_system_sgpr_workgroup_id_x 1
		.amdhsa_system_sgpr_workgroup_id_y 0
		.amdhsa_system_sgpr_workgroup_id_z 0
		.amdhsa_system_sgpr_workgroup_info 0
		.amdhsa_system_vgpr_workitem_id 0
		.amdhsa_next_free_vgpr 1
		.amdhsa_next_free_sgpr 1
		.amdhsa_named_barrier_count 0
		.amdhsa_reserve_vcc 0
		.amdhsa_float_round_mode_32 0
		.amdhsa_float_round_mode_16_64 0
		.amdhsa_float_denorm_mode_32 3
		.amdhsa_float_denorm_mode_16_64 3
		.amdhsa_fp16_overflow 0
		.amdhsa_memory_ordered 1
		.amdhsa_forward_progress 1
		.amdhsa_inst_pref_size 0
		.amdhsa_round_robin_scheduling 0
		.amdhsa_exception_fp_ieee_invalid_op 0
		.amdhsa_exception_fp_denorm_src 0
		.amdhsa_exception_fp_ieee_div_zero 0
		.amdhsa_exception_fp_ieee_overflow 0
		.amdhsa_exception_fp_ieee_underflow 0
		.amdhsa_exception_fp_ieee_inexact 0
		.amdhsa_exception_int_div_zero 0
	.end_amdhsa_kernel
	.section	.text._ZN7rocprim17ROCPRIM_400000_NS6detail17trampoline_kernelINS0_13select_configILj256ELj13ELNS0_17block_load_methodE3ELS4_3ELS4_3ELNS0_20block_scan_algorithmE0ELj4294967295EEENS1_25partition_config_selectorILNS1_17partition_subalgoE3EjNS0_10empty_typeEbEEZZNS1_14partition_implILS8_3ELb0ES6_jNS0_17counting_iteratorIjlEEPS9_SE_NS0_5tupleIJPjSE_EEENSF_IJSE_SE_EEES9_SG_JZNS1_25segmented_radix_sort_implINS0_14default_configELb0EPKsPsPKlPlN2at6native12_GLOBAL__N_18offset_tEEE10hipError_tPvRmT1_PNSt15iterator_traitsISY_E10value_typeET2_T3_PNSZ_IS14_E10value_typeET4_jRbjT5_S1A_jjP12ihipStream_tbEUljE_EEESV_SW_SX_S14_S18_S1A_T6_T7_T9_mT8_S1C_bDpT10_ENKUlT_T0_E_clISt17integral_constantIbLb1EES1O_IbLb0EEEEDaS1K_S1L_EUlS1K_E_NS1_11comp_targetILNS1_3genE4ELNS1_11target_archE910ELNS1_3gpuE8ELNS1_3repE0EEENS1_30default_config_static_selectorELNS0_4arch9wavefront6targetE0EEEvSY_,"axG",@progbits,_ZN7rocprim17ROCPRIM_400000_NS6detail17trampoline_kernelINS0_13select_configILj256ELj13ELNS0_17block_load_methodE3ELS4_3ELS4_3ELNS0_20block_scan_algorithmE0ELj4294967295EEENS1_25partition_config_selectorILNS1_17partition_subalgoE3EjNS0_10empty_typeEbEEZZNS1_14partition_implILS8_3ELb0ES6_jNS0_17counting_iteratorIjlEEPS9_SE_NS0_5tupleIJPjSE_EEENSF_IJSE_SE_EEES9_SG_JZNS1_25segmented_radix_sort_implINS0_14default_configELb0EPKsPsPKlPlN2at6native12_GLOBAL__N_18offset_tEEE10hipError_tPvRmT1_PNSt15iterator_traitsISY_E10value_typeET2_T3_PNSZ_IS14_E10value_typeET4_jRbjT5_S1A_jjP12ihipStream_tbEUljE_EEESV_SW_SX_S14_S18_S1A_T6_T7_T9_mT8_S1C_bDpT10_ENKUlT_T0_E_clISt17integral_constantIbLb1EES1O_IbLb0EEEEDaS1K_S1L_EUlS1K_E_NS1_11comp_targetILNS1_3genE4ELNS1_11target_archE910ELNS1_3gpuE8ELNS1_3repE0EEENS1_30default_config_static_selectorELNS0_4arch9wavefront6targetE0EEEvSY_,comdat
.Lfunc_end995:
	.size	_ZN7rocprim17ROCPRIM_400000_NS6detail17trampoline_kernelINS0_13select_configILj256ELj13ELNS0_17block_load_methodE3ELS4_3ELS4_3ELNS0_20block_scan_algorithmE0ELj4294967295EEENS1_25partition_config_selectorILNS1_17partition_subalgoE3EjNS0_10empty_typeEbEEZZNS1_14partition_implILS8_3ELb0ES6_jNS0_17counting_iteratorIjlEEPS9_SE_NS0_5tupleIJPjSE_EEENSF_IJSE_SE_EEES9_SG_JZNS1_25segmented_radix_sort_implINS0_14default_configELb0EPKsPsPKlPlN2at6native12_GLOBAL__N_18offset_tEEE10hipError_tPvRmT1_PNSt15iterator_traitsISY_E10value_typeET2_T3_PNSZ_IS14_E10value_typeET4_jRbjT5_S1A_jjP12ihipStream_tbEUljE_EEESV_SW_SX_S14_S18_S1A_T6_T7_T9_mT8_S1C_bDpT10_ENKUlT_T0_E_clISt17integral_constantIbLb1EES1O_IbLb0EEEEDaS1K_S1L_EUlS1K_E_NS1_11comp_targetILNS1_3genE4ELNS1_11target_archE910ELNS1_3gpuE8ELNS1_3repE0EEENS1_30default_config_static_selectorELNS0_4arch9wavefront6targetE0EEEvSY_, .Lfunc_end995-_ZN7rocprim17ROCPRIM_400000_NS6detail17trampoline_kernelINS0_13select_configILj256ELj13ELNS0_17block_load_methodE3ELS4_3ELS4_3ELNS0_20block_scan_algorithmE0ELj4294967295EEENS1_25partition_config_selectorILNS1_17partition_subalgoE3EjNS0_10empty_typeEbEEZZNS1_14partition_implILS8_3ELb0ES6_jNS0_17counting_iteratorIjlEEPS9_SE_NS0_5tupleIJPjSE_EEENSF_IJSE_SE_EEES9_SG_JZNS1_25segmented_radix_sort_implINS0_14default_configELb0EPKsPsPKlPlN2at6native12_GLOBAL__N_18offset_tEEE10hipError_tPvRmT1_PNSt15iterator_traitsISY_E10value_typeET2_T3_PNSZ_IS14_E10value_typeET4_jRbjT5_S1A_jjP12ihipStream_tbEUljE_EEESV_SW_SX_S14_S18_S1A_T6_T7_T9_mT8_S1C_bDpT10_ENKUlT_T0_E_clISt17integral_constantIbLb1EES1O_IbLb0EEEEDaS1K_S1L_EUlS1K_E_NS1_11comp_targetILNS1_3genE4ELNS1_11target_archE910ELNS1_3gpuE8ELNS1_3repE0EEENS1_30default_config_static_selectorELNS0_4arch9wavefront6targetE0EEEvSY_
                                        ; -- End function
	.set _ZN7rocprim17ROCPRIM_400000_NS6detail17trampoline_kernelINS0_13select_configILj256ELj13ELNS0_17block_load_methodE3ELS4_3ELS4_3ELNS0_20block_scan_algorithmE0ELj4294967295EEENS1_25partition_config_selectorILNS1_17partition_subalgoE3EjNS0_10empty_typeEbEEZZNS1_14partition_implILS8_3ELb0ES6_jNS0_17counting_iteratorIjlEEPS9_SE_NS0_5tupleIJPjSE_EEENSF_IJSE_SE_EEES9_SG_JZNS1_25segmented_radix_sort_implINS0_14default_configELb0EPKsPsPKlPlN2at6native12_GLOBAL__N_18offset_tEEE10hipError_tPvRmT1_PNSt15iterator_traitsISY_E10value_typeET2_T3_PNSZ_IS14_E10value_typeET4_jRbjT5_S1A_jjP12ihipStream_tbEUljE_EEESV_SW_SX_S14_S18_S1A_T6_T7_T9_mT8_S1C_bDpT10_ENKUlT_T0_E_clISt17integral_constantIbLb1EES1O_IbLb0EEEEDaS1K_S1L_EUlS1K_E_NS1_11comp_targetILNS1_3genE4ELNS1_11target_archE910ELNS1_3gpuE8ELNS1_3repE0EEENS1_30default_config_static_selectorELNS0_4arch9wavefront6targetE0EEEvSY_.num_vgpr, 0
	.set _ZN7rocprim17ROCPRIM_400000_NS6detail17trampoline_kernelINS0_13select_configILj256ELj13ELNS0_17block_load_methodE3ELS4_3ELS4_3ELNS0_20block_scan_algorithmE0ELj4294967295EEENS1_25partition_config_selectorILNS1_17partition_subalgoE3EjNS0_10empty_typeEbEEZZNS1_14partition_implILS8_3ELb0ES6_jNS0_17counting_iteratorIjlEEPS9_SE_NS0_5tupleIJPjSE_EEENSF_IJSE_SE_EEES9_SG_JZNS1_25segmented_radix_sort_implINS0_14default_configELb0EPKsPsPKlPlN2at6native12_GLOBAL__N_18offset_tEEE10hipError_tPvRmT1_PNSt15iterator_traitsISY_E10value_typeET2_T3_PNSZ_IS14_E10value_typeET4_jRbjT5_S1A_jjP12ihipStream_tbEUljE_EEESV_SW_SX_S14_S18_S1A_T6_T7_T9_mT8_S1C_bDpT10_ENKUlT_T0_E_clISt17integral_constantIbLb1EES1O_IbLb0EEEEDaS1K_S1L_EUlS1K_E_NS1_11comp_targetILNS1_3genE4ELNS1_11target_archE910ELNS1_3gpuE8ELNS1_3repE0EEENS1_30default_config_static_selectorELNS0_4arch9wavefront6targetE0EEEvSY_.num_agpr, 0
	.set _ZN7rocprim17ROCPRIM_400000_NS6detail17trampoline_kernelINS0_13select_configILj256ELj13ELNS0_17block_load_methodE3ELS4_3ELS4_3ELNS0_20block_scan_algorithmE0ELj4294967295EEENS1_25partition_config_selectorILNS1_17partition_subalgoE3EjNS0_10empty_typeEbEEZZNS1_14partition_implILS8_3ELb0ES6_jNS0_17counting_iteratorIjlEEPS9_SE_NS0_5tupleIJPjSE_EEENSF_IJSE_SE_EEES9_SG_JZNS1_25segmented_radix_sort_implINS0_14default_configELb0EPKsPsPKlPlN2at6native12_GLOBAL__N_18offset_tEEE10hipError_tPvRmT1_PNSt15iterator_traitsISY_E10value_typeET2_T3_PNSZ_IS14_E10value_typeET4_jRbjT5_S1A_jjP12ihipStream_tbEUljE_EEESV_SW_SX_S14_S18_S1A_T6_T7_T9_mT8_S1C_bDpT10_ENKUlT_T0_E_clISt17integral_constantIbLb1EES1O_IbLb0EEEEDaS1K_S1L_EUlS1K_E_NS1_11comp_targetILNS1_3genE4ELNS1_11target_archE910ELNS1_3gpuE8ELNS1_3repE0EEENS1_30default_config_static_selectorELNS0_4arch9wavefront6targetE0EEEvSY_.numbered_sgpr, 0
	.set _ZN7rocprim17ROCPRIM_400000_NS6detail17trampoline_kernelINS0_13select_configILj256ELj13ELNS0_17block_load_methodE3ELS4_3ELS4_3ELNS0_20block_scan_algorithmE0ELj4294967295EEENS1_25partition_config_selectorILNS1_17partition_subalgoE3EjNS0_10empty_typeEbEEZZNS1_14partition_implILS8_3ELb0ES6_jNS0_17counting_iteratorIjlEEPS9_SE_NS0_5tupleIJPjSE_EEENSF_IJSE_SE_EEES9_SG_JZNS1_25segmented_radix_sort_implINS0_14default_configELb0EPKsPsPKlPlN2at6native12_GLOBAL__N_18offset_tEEE10hipError_tPvRmT1_PNSt15iterator_traitsISY_E10value_typeET2_T3_PNSZ_IS14_E10value_typeET4_jRbjT5_S1A_jjP12ihipStream_tbEUljE_EEESV_SW_SX_S14_S18_S1A_T6_T7_T9_mT8_S1C_bDpT10_ENKUlT_T0_E_clISt17integral_constantIbLb1EES1O_IbLb0EEEEDaS1K_S1L_EUlS1K_E_NS1_11comp_targetILNS1_3genE4ELNS1_11target_archE910ELNS1_3gpuE8ELNS1_3repE0EEENS1_30default_config_static_selectorELNS0_4arch9wavefront6targetE0EEEvSY_.num_named_barrier, 0
	.set _ZN7rocprim17ROCPRIM_400000_NS6detail17trampoline_kernelINS0_13select_configILj256ELj13ELNS0_17block_load_methodE3ELS4_3ELS4_3ELNS0_20block_scan_algorithmE0ELj4294967295EEENS1_25partition_config_selectorILNS1_17partition_subalgoE3EjNS0_10empty_typeEbEEZZNS1_14partition_implILS8_3ELb0ES6_jNS0_17counting_iteratorIjlEEPS9_SE_NS0_5tupleIJPjSE_EEENSF_IJSE_SE_EEES9_SG_JZNS1_25segmented_radix_sort_implINS0_14default_configELb0EPKsPsPKlPlN2at6native12_GLOBAL__N_18offset_tEEE10hipError_tPvRmT1_PNSt15iterator_traitsISY_E10value_typeET2_T3_PNSZ_IS14_E10value_typeET4_jRbjT5_S1A_jjP12ihipStream_tbEUljE_EEESV_SW_SX_S14_S18_S1A_T6_T7_T9_mT8_S1C_bDpT10_ENKUlT_T0_E_clISt17integral_constantIbLb1EES1O_IbLb0EEEEDaS1K_S1L_EUlS1K_E_NS1_11comp_targetILNS1_3genE4ELNS1_11target_archE910ELNS1_3gpuE8ELNS1_3repE0EEENS1_30default_config_static_selectorELNS0_4arch9wavefront6targetE0EEEvSY_.private_seg_size, 0
	.set _ZN7rocprim17ROCPRIM_400000_NS6detail17trampoline_kernelINS0_13select_configILj256ELj13ELNS0_17block_load_methodE3ELS4_3ELS4_3ELNS0_20block_scan_algorithmE0ELj4294967295EEENS1_25partition_config_selectorILNS1_17partition_subalgoE3EjNS0_10empty_typeEbEEZZNS1_14partition_implILS8_3ELb0ES6_jNS0_17counting_iteratorIjlEEPS9_SE_NS0_5tupleIJPjSE_EEENSF_IJSE_SE_EEES9_SG_JZNS1_25segmented_radix_sort_implINS0_14default_configELb0EPKsPsPKlPlN2at6native12_GLOBAL__N_18offset_tEEE10hipError_tPvRmT1_PNSt15iterator_traitsISY_E10value_typeET2_T3_PNSZ_IS14_E10value_typeET4_jRbjT5_S1A_jjP12ihipStream_tbEUljE_EEESV_SW_SX_S14_S18_S1A_T6_T7_T9_mT8_S1C_bDpT10_ENKUlT_T0_E_clISt17integral_constantIbLb1EES1O_IbLb0EEEEDaS1K_S1L_EUlS1K_E_NS1_11comp_targetILNS1_3genE4ELNS1_11target_archE910ELNS1_3gpuE8ELNS1_3repE0EEENS1_30default_config_static_selectorELNS0_4arch9wavefront6targetE0EEEvSY_.uses_vcc, 0
	.set _ZN7rocprim17ROCPRIM_400000_NS6detail17trampoline_kernelINS0_13select_configILj256ELj13ELNS0_17block_load_methodE3ELS4_3ELS4_3ELNS0_20block_scan_algorithmE0ELj4294967295EEENS1_25partition_config_selectorILNS1_17partition_subalgoE3EjNS0_10empty_typeEbEEZZNS1_14partition_implILS8_3ELb0ES6_jNS0_17counting_iteratorIjlEEPS9_SE_NS0_5tupleIJPjSE_EEENSF_IJSE_SE_EEES9_SG_JZNS1_25segmented_radix_sort_implINS0_14default_configELb0EPKsPsPKlPlN2at6native12_GLOBAL__N_18offset_tEEE10hipError_tPvRmT1_PNSt15iterator_traitsISY_E10value_typeET2_T3_PNSZ_IS14_E10value_typeET4_jRbjT5_S1A_jjP12ihipStream_tbEUljE_EEESV_SW_SX_S14_S18_S1A_T6_T7_T9_mT8_S1C_bDpT10_ENKUlT_T0_E_clISt17integral_constantIbLb1EES1O_IbLb0EEEEDaS1K_S1L_EUlS1K_E_NS1_11comp_targetILNS1_3genE4ELNS1_11target_archE910ELNS1_3gpuE8ELNS1_3repE0EEENS1_30default_config_static_selectorELNS0_4arch9wavefront6targetE0EEEvSY_.uses_flat_scratch, 0
	.set _ZN7rocprim17ROCPRIM_400000_NS6detail17trampoline_kernelINS0_13select_configILj256ELj13ELNS0_17block_load_methodE3ELS4_3ELS4_3ELNS0_20block_scan_algorithmE0ELj4294967295EEENS1_25partition_config_selectorILNS1_17partition_subalgoE3EjNS0_10empty_typeEbEEZZNS1_14partition_implILS8_3ELb0ES6_jNS0_17counting_iteratorIjlEEPS9_SE_NS0_5tupleIJPjSE_EEENSF_IJSE_SE_EEES9_SG_JZNS1_25segmented_radix_sort_implINS0_14default_configELb0EPKsPsPKlPlN2at6native12_GLOBAL__N_18offset_tEEE10hipError_tPvRmT1_PNSt15iterator_traitsISY_E10value_typeET2_T3_PNSZ_IS14_E10value_typeET4_jRbjT5_S1A_jjP12ihipStream_tbEUljE_EEESV_SW_SX_S14_S18_S1A_T6_T7_T9_mT8_S1C_bDpT10_ENKUlT_T0_E_clISt17integral_constantIbLb1EES1O_IbLb0EEEEDaS1K_S1L_EUlS1K_E_NS1_11comp_targetILNS1_3genE4ELNS1_11target_archE910ELNS1_3gpuE8ELNS1_3repE0EEENS1_30default_config_static_selectorELNS0_4arch9wavefront6targetE0EEEvSY_.has_dyn_sized_stack, 0
	.set _ZN7rocprim17ROCPRIM_400000_NS6detail17trampoline_kernelINS0_13select_configILj256ELj13ELNS0_17block_load_methodE3ELS4_3ELS4_3ELNS0_20block_scan_algorithmE0ELj4294967295EEENS1_25partition_config_selectorILNS1_17partition_subalgoE3EjNS0_10empty_typeEbEEZZNS1_14partition_implILS8_3ELb0ES6_jNS0_17counting_iteratorIjlEEPS9_SE_NS0_5tupleIJPjSE_EEENSF_IJSE_SE_EEES9_SG_JZNS1_25segmented_radix_sort_implINS0_14default_configELb0EPKsPsPKlPlN2at6native12_GLOBAL__N_18offset_tEEE10hipError_tPvRmT1_PNSt15iterator_traitsISY_E10value_typeET2_T3_PNSZ_IS14_E10value_typeET4_jRbjT5_S1A_jjP12ihipStream_tbEUljE_EEESV_SW_SX_S14_S18_S1A_T6_T7_T9_mT8_S1C_bDpT10_ENKUlT_T0_E_clISt17integral_constantIbLb1EES1O_IbLb0EEEEDaS1K_S1L_EUlS1K_E_NS1_11comp_targetILNS1_3genE4ELNS1_11target_archE910ELNS1_3gpuE8ELNS1_3repE0EEENS1_30default_config_static_selectorELNS0_4arch9wavefront6targetE0EEEvSY_.has_recursion, 0
	.set _ZN7rocprim17ROCPRIM_400000_NS6detail17trampoline_kernelINS0_13select_configILj256ELj13ELNS0_17block_load_methodE3ELS4_3ELS4_3ELNS0_20block_scan_algorithmE0ELj4294967295EEENS1_25partition_config_selectorILNS1_17partition_subalgoE3EjNS0_10empty_typeEbEEZZNS1_14partition_implILS8_3ELb0ES6_jNS0_17counting_iteratorIjlEEPS9_SE_NS0_5tupleIJPjSE_EEENSF_IJSE_SE_EEES9_SG_JZNS1_25segmented_radix_sort_implINS0_14default_configELb0EPKsPsPKlPlN2at6native12_GLOBAL__N_18offset_tEEE10hipError_tPvRmT1_PNSt15iterator_traitsISY_E10value_typeET2_T3_PNSZ_IS14_E10value_typeET4_jRbjT5_S1A_jjP12ihipStream_tbEUljE_EEESV_SW_SX_S14_S18_S1A_T6_T7_T9_mT8_S1C_bDpT10_ENKUlT_T0_E_clISt17integral_constantIbLb1EES1O_IbLb0EEEEDaS1K_S1L_EUlS1K_E_NS1_11comp_targetILNS1_3genE4ELNS1_11target_archE910ELNS1_3gpuE8ELNS1_3repE0EEENS1_30default_config_static_selectorELNS0_4arch9wavefront6targetE0EEEvSY_.has_indirect_call, 0
	.section	.AMDGPU.csdata,"",@progbits
; Kernel info:
; codeLenInByte = 0
; TotalNumSgprs: 0
; NumVgprs: 0
; ScratchSize: 0
; MemoryBound: 0
; FloatMode: 240
; IeeeMode: 1
; LDSByteSize: 0 bytes/workgroup (compile time only)
; SGPRBlocks: 0
; VGPRBlocks: 0
; NumSGPRsForWavesPerEU: 1
; NumVGPRsForWavesPerEU: 1
; NamedBarCnt: 0
; Occupancy: 16
; WaveLimiterHint : 0
; COMPUTE_PGM_RSRC2:SCRATCH_EN: 0
; COMPUTE_PGM_RSRC2:USER_SGPR: 2
; COMPUTE_PGM_RSRC2:TRAP_HANDLER: 0
; COMPUTE_PGM_RSRC2:TGID_X_EN: 1
; COMPUTE_PGM_RSRC2:TGID_Y_EN: 0
; COMPUTE_PGM_RSRC2:TGID_Z_EN: 0
; COMPUTE_PGM_RSRC2:TIDIG_COMP_CNT: 0
	.section	.text._ZN7rocprim17ROCPRIM_400000_NS6detail17trampoline_kernelINS0_13select_configILj256ELj13ELNS0_17block_load_methodE3ELS4_3ELS4_3ELNS0_20block_scan_algorithmE0ELj4294967295EEENS1_25partition_config_selectorILNS1_17partition_subalgoE3EjNS0_10empty_typeEbEEZZNS1_14partition_implILS8_3ELb0ES6_jNS0_17counting_iteratorIjlEEPS9_SE_NS0_5tupleIJPjSE_EEENSF_IJSE_SE_EEES9_SG_JZNS1_25segmented_radix_sort_implINS0_14default_configELb0EPKsPsPKlPlN2at6native12_GLOBAL__N_18offset_tEEE10hipError_tPvRmT1_PNSt15iterator_traitsISY_E10value_typeET2_T3_PNSZ_IS14_E10value_typeET4_jRbjT5_S1A_jjP12ihipStream_tbEUljE_EEESV_SW_SX_S14_S18_S1A_T6_T7_T9_mT8_S1C_bDpT10_ENKUlT_T0_E_clISt17integral_constantIbLb1EES1O_IbLb0EEEEDaS1K_S1L_EUlS1K_E_NS1_11comp_targetILNS1_3genE3ELNS1_11target_archE908ELNS1_3gpuE7ELNS1_3repE0EEENS1_30default_config_static_selectorELNS0_4arch9wavefront6targetE0EEEvSY_,"axG",@progbits,_ZN7rocprim17ROCPRIM_400000_NS6detail17trampoline_kernelINS0_13select_configILj256ELj13ELNS0_17block_load_methodE3ELS4_3ELS4_3ELNS0_20block_scan_algorithmE0ELj4294967295EEENS1_25partition_config_selectorILNS1_17partition_subalgoE3EjNS0_10empty_typeEbEEZZNS1_14partition_implILS8_3ELb0ES6_jNS0_17counting_iteratorIjlEEPS9_SE_NS0_5tupleIJPjSE_EEENSF_IJSE_SE_EEES9_SG_JZNS1_25segmented_radix_sort_implINS0_14default_configELb0EPKsPsPKlPlN2at6native12_GLOBAL__N_18offset_tEEE10hipError_tPvRmT1_PNSt15iterator_traitsISY_E10value_typeET2_T3_PNSZ_IS14_E10value_typeET4_jRbjT5_S1A_jjP12ihipStream_tbEUljE_EEESV_SW_SX_S14_S18_S1A_T6_T7_T9_mT8_S1C_bDpT10_ENKUlT_T0_E_clISt17integral_constantIbLb1EES1O_IbLb0EEEEDaS1K_S1L_EUlS1K_E_NS1_11comp_targetILNS1_3genE3ELNS1_11target_archE908ELNS1_3gpuE7ELNS1_3repE0EEENS1_30default_config_static_selectorELNS0_4arch9wavefront6targetE0EEEvSY_,comdat
	.globl	_ZN7rocprim17ROCPRIM_400000_NS6detail17trampoline_kernelINS0_13select_configILj256ELj13ELNS0_17block_load_methodE3ELS4_3ELS4_3ELNS0_20block_scan_algorithmE0ELj4294967295EEENS1_25partition_config_selectorILNS1_17partition_subalgoE3EjNS0_10empty_typeEbEEZZNS1_14partition_implILS8_3ELb0ES6_jNS0_17counting_iteratorIjlEEPS9_SE_NS0_5tupleIJPjSE_EEENSF_IJSE_SE_EEES9_SG_JZNS1_25segmented_radix_sort_implINS0_14default_configELb0EPKsPsPKlPlN2at6native12_GLOBAL__N_18offset_tEEE10hipError_tPvRmT1_PNSt15iterator_traitsISY_E10value_typeET2_T3_PNSZ_IS14_E10value_typeET4_jRbjT5_S1A_jjP12ihipStream_tbEUljE_EEESV_SW_SX_S14_S18_S1A_T6_T7_T9_mT8_S1C_bDpT10_ENKUlT_T0_E_clISt17integral_constantIbLb1EES1O_IbLb0EEEEDaS1K_S1L_EUlS1K_E_NS1_11comp_targetILNS1_3genE3ELNS1_11target_archE908ELNS1_3gpuE7ELNS1_3repE0EEENS1_30default_config_static_selectorELNS0_4arch9wavefront6targetE0EEEvSY_ ; -- Begin function _ZN7rocprim17ROCPRIM_400000_NS6detail17trampoline_kernelINS0_13select_configILj256ELj13ELNS0_17block_load_methodE3ELS4_3ELS4_3ELNS0_20block_scan_algorithmE0ELj4294967295EEENS1_25partition_config_selectorILNS1_17partition_subalgoE3EjNS0_10empty_typeEbEEZZNS1_14partition_implILS8_3ELb0ES6_jNS0_17counting_iteratorIjlEEPS9_SE_NS0_5tupleIJPjSE_EEENSF_IJSE_SE_EEES9_SG_JZNS1_25segmented_radix_sort_implINS0_14default_configELb0EPKsPsPKlPlN2at6native12_GLOBAL__N_18offset_tEEE10hipError_tPvRmT1_PNSt15iterator_traitsISY_E10value_typeET2_T3_PNSZ_IS14_E10value_typeET4_jRbjT5_S1A_jjP12ihipStream_tbEUljE_EEESV_SW_SX_S14_S18_S1A_T6_T7_T9_mT8_S1C_bDpT10_ENKUlT_T0_E_clISt17integral_constantIbLb1EES1O_IbLb0EEEEDaS1K_S1L_EUlS1K_E_NS1_11comp_targetILNS1_3genE3ELNS1_11target_archE908ELNS1_3gpuE7ELNS1_3repE0EEENS1_30default_config_static_selectorELNS0_4arch9wavefront6targetE0EEEvSY_
	.p2align	8
	.type	_ZN7rocprim17ROCPRIM_400000_NS6detail17trampoline_kernelINS0_13select_configILj256ELj13ELNS0_17block_load_methodE3ELS4_3ELS4_3ELNS0_20block_scan_algorithmE0ELj4294967295EEENS1_25partition_config_selectorILNS1_17partition_subalgoE3EjNS0_10empty_typeEbEEZZNS1_14partition_implILS8_3ELb0ES6_jNS0_17counting_iteratorIjlEEPS9_SE_NS0_5tupleIJPjSE_EEENSF_IJSE_SE_EEES9_SG_JZNS1_25segmented_radix_sort_implINS0_14default_configELb0EPKsPsPKlPlN2at6native12_GLOBAL__N_18offset_tEEE10hipError_tPvRmT1_PNSt15iterator_traitsISY_E10value_typeET2_T3_PNSZ_IS14_E10value_typeET4_jRbjT5_S1A_jjP12ihipStream_tbEUljE_EEESV_SW_SX_S14_S18_S1A_T6_T7_T9_mT8_S1C_bDpT10_ENKUlT_T0_E_clISt17integral_constantIbLb1EES1O_IbLb0EEEEDaS1K_S1L_EUlS1K_E_NS1_11comp_targetILNS1_3genE3ELNS1_11target_archE908ELNS1_3gpuE7ELNS1_3repE0EEENS1_30default_config_static_selectorELNS0_4arch9wavefront6targetE0EEEvSY_,@function
_ZN7rocprim17ROCPRIM_400000_NS6detail17trampoline_kernelINS0_13select_configILj256ELj13ELNS0_17block_load_methodE3ELS4_3ELS4_3ELNS0_20block_scan_algorithmE0ELj4294967295EEENS1_25partition_config_selectorILNS1_17partition_subalgoE3EjNS0_10empty_typeEbEEZZNS1_14partition_implILS8_3ELb0ES6_jNS0_17counting_iteratorIjlEEPS9_SE_NS0_5tupleIJPjSE_EEENSF_IJSE_SE_EEES9_SG_JZNS1_25segmented_radix_sort_implINS0_14default_configELb0EPKsPsPKlPlN2at6native12_GLOBAL__N_18offset_tEEE10hipError_tPvRmT1_PNSt15iterator_traitsISY_E10value_typeET2_T3_PNSZ_IS14_E10value_typeET4_jRbjT5_S1A_jjP12ihipStream_tbEUljE_EEESV_SW_SX_S14_S18_S1A_T6_T7_T9_mT8_S1C_bDpT10_ENKUlT_T0_E_clISt17integral_constantIbLb1EES1O_IbLb0EEEEDaS1K_S1L_EUlS1K_E_NS1_11comp_targetILNS1_3genE3ELNS1_11target_archE908ELNS1_3gpuE7ELNS1_3repE0EEENS1_30default_config_static_selectorELNS0_4arch9wavefront6targetE0EEEvSY_: ; @_ZN7rocprim17ROCPRIM_400000_NS6detail17trampoline_kernelINS0_13select_configILj256ELj13ELNS0_17block_load_methodE3ELS4_3ELS4_3ELNS0_20block_scan_algorithmE0ELj4294967295EEENS1_25partition_config_selectorILNS1_17partition_subalgoE3EjNS0_10empty_typeEbEEZZNS1_14partition_implILS8_3ELb0ES6_jNS0_17counting_iteratorIjlEEPS9_SE_NS0_5tupleIJPjSE_EEENSF_IJSE_SE_EEES9_SG_JZNS1_25segmented_radix_sort_implINS0_14default_configELb0EPKsPsPKlPlN2at6native12_GLOBAL__N_18offset_tEEE10hipError_tPvRmT1_PNSt15iterator_traitsISY_E10value_typeET2_T3_PNSZ_IS14_E10value_typeET4_jRbjT5_S1A_jjP12ihipStream_tbEUljE_EEESV_SW_SX_S14_S18_S1A_T6_T7_T9_mT8_S1C_bDpT10_ENKUlT_T0_E_clISt17integral_constantIbLb1EES1O_IbLb0EEEEDaS1K_S1L_EUlS1K_E_NS1_11comp_targetILNS1_3genE3ELNS1_11target_archE908ELNS1_3gpuE7ELNS1_3repE0EEENS1_30default_config_static_selectorELNS0_4arch9wavefront6targetE0EEEvSY_
; %bb.0:
	.section	.rodata,"a",@progbits
	.p2align	6, 0x0
	.amdhsa_kernel _ZN7rocprim17ROCPRIM_400000_NS6detail17trampoline_kernelINS0_13select_configILj256ELj13ELNS0_17block_load_methodE3ELS4_3ELS4_3ELNS0_20block_scan_algorithmE0ELj4294967295EEENS1_25partition_config_selectorILNS1_17partition_subalgoE3EjNS0_10empty_typeEbEEZZNS1_14partition_implILS8_3ELb0ES6_jNS0_17counting_iteratorIjlEEPS9_SE_NS0_5tupleIJPjSE_EEENSF_IJSE_SE_EEES9_SG_JZNS1_25segmented_radix_sort_implINS0_14default_configELb0EPKsPsPKlPlN2at6native12_GLOBAL__N_18offset_tEEE10hipError_tPvRmT1_PNSt15iterator_traitsISY_E10value_typeET2_T3_PNSZ_IS14_E10value_typeET4_jRbjT5_S1A_jjP12ihipStream_tbEUljE_EEESV_SW_SX_S14_S18_S1A_T6_T7_T9_mT8_S1C_bDpT10_ENKUlT_T0_E_clISt17integral_constantIbLb1EES1O_IbLb0EEEEDaS1K_S1L_EUlS1K_E_NS1_11comp_targetILNS1_3genE3ELNS1_11target_archE908ELNS1_3gpuE7ELNS1_3repE0EEENS1_30default_config_static_selectorELNS0_4arch9wavefront6targetE0EEEvSY_
		.amdhsa_group_segment_fixed_size 0
		.amdhsa_private_segment_fixed_size 0
		.amdhsa_kernarg_size 144
		.amdhsa_user_sgpr_count 2
		.amdhsa_user_sgpr_dispatch_ptr 0
		.amdhsa_user_sgpr_queue_ptr 0
		.amdhsa_user_sgpr_kernarg_segment_ptr 1
		.amdhsa_user_sgpr_dispatch_id 0
		.amdhsa_user_sgpr_kernarg_preload_length 0
		.amdhsa_user_sgpr_kernarg_preload_offset 0
		.amdhsa_user_sgpr_private_segment_size 0
		.amdhsa_wavefront_size32 1
		.amdhsa_uses_dynamic_stack 0
		.amdhsa_enable_private_segment 0
		.amdhsa_system_sgpr_workgroup_id_x 1
		.amdhsa_system_sgpr_workgroup_id_y 0
		.amdhsa_system_sgpr_workgroup_id_z 0
		.amdhsa_system_sgpr_workgroup_info 0
		.amdhsa_system_vgpr_workitem_id 0
		.amdhsa_next_free_vgpr 1
		.amdhsa_next_free_sgpr 1
		.amdhsa_named_barrier_count 0
		.amdhsa_reserve_vcc 0
		.amdhsa_float_round_mode_32 0
		.amdhsa_float_round_mode_16_64 0
		.amdhsa_float_denorm_mode_32 3
		.amdhsa_float_denorm_mode_16_64 3
		.amdhsa_fp16_overflow 0
		.amdhsa_memory_ordered 1
		.amdhsa_forward_progress 1
		.amdhsa_inst_pref_size 0
		.amdhsa_round_robin_scheduling 0
		.amdhsa_exception_fp_ieee_invalid_op 0
		.amdhsa_exception_fp_denorm_src 0
		.amdhsa_exception_fp_ieee_div_zero 0
		.amdhsa_exception_fp_ieee_overflow 0
		.amdhsa_exception_fp_ieee_underflow 0
		.amdhsa_exception_fp_ieee_inexact 0
		.amdhsa_exception_int_div_zero 0
	.end_amdhsa_kernel
	.section	.text._ZN7rocprim17ROCPRIM_400000_NS6detail17trampoline_kernelINS0_13select_configILj256ELj13ELNS0_17block_load_methodE3ELS4_3ELS4_3ELNS0_20block_scan_algorithmE0ELj4294967295EEENS1_25partition_config_selectorILNS1_17partition_subalgoE3EjNS0_10empty_typeEbEEZZNS1_14partition_implILS8_3ELb0ES6_jNS0_17counting_iteratorIjlEEPS9_SE_NS0_5tupleIJPjSE_EEENSF_IJSE_SE_EEES9_SG_JZNS1_25segmented_radix_sort_implINS0_14default_configELb0EPKsPsPKlPlN2at6native12_GLOBAL__N_18offset_tEEE10hipError_tPvRmT1_PNSt15iterator_traitsISY_E10value_typeET2_T3_PNSZ_IS14_E10value_typeET4_jRbjT5_S1A_jjP12ihipStream_tbEUljE_EEESV_SW_SX_S14_S18_S1A_T6_T7_T9_mT8_S1C_bDpT10_ENKUlT_T0_E_clISt17integral_constantIbLb1EES1O_IbLb0EEEEDaS1K_S1L_EUlS1K_E_NS1_11comp_targetILNS1_3genE3ELNS1_11target_archE908ELNS1_3gpuE7ELNS1_3repE0EEENS1_30default_config_static_selectorELNS0_4arch9wavefront6targetE0EEEvSY_,"axG",@progbits,_ZN7rocprim17ROCPRIM_400000_NS6detail17trampoline_kernelINS0_13select_configILj256ELj13ELNS0_17block_load_methodE3ELS4_3ELS4_3ELNS0_20block_scan_algorithmE0ELj4294967295EEENS1_25partition_config_selectorILNS1_17partition_subalgoE3EjNS0_10empty_typeEbEEZZNS1_14partition_implILS8_3ELb0ES6_jNS0_17counting_iteratorIjlEEPS9_SE_NS0_5tupleIJPjSE_EEENSF_IJSE_SE_EEES9_SG_JZNS1_25segmented_radix_sort_implINS0_14default_configELb0EPKsPsPKlPlN2at6native12_GLOBAL__N_18offset_tEEE10hipError_tPvRmT1_PNSt15iterator_traitsISY_E10value_typeET2_T3_PNSZ_IS14_E10value_typeET4_jRbjT5_S1A_jjP12ihipStream_tbEUljE_EEESV_SW_SX_S14_S18_S1A_T6_T7_T9_mT8_S1C_bDpT10_ENKUlT_T0_E_clISt17integral_constantIbLb1EES1O_IbLb0EEEEDaS1K_S1L_EUlS1K_E_NS1_11comp_targetILNS1_3genE3ELNS1_11target_archE908ELNS1_3gpuE7ELNS1_3repE0EEENS1_30default_config_static_selectorELNS0_4arch9wavefront6targetE0EEEvSY_,comdat
.Lfunc_end996:
	.size	_ZN7rocprim17ROCPRIM_400000_NS6detail17trampoline_kernelINS0_13select_configILj256ELj13ELNS0_17block_load_methodE3ELS4_3ELS4_3ELNS0_20block_scan_algorithmE0ELj4294967295EEENS1_25partition_config_selectorILNS1_17partition_subalgoE3EjNS0_10empty_typeEbEEZZNS1_14partition_implILS8_3ELb0ES6_jNS0_17counting_iteratorIjlEEPS9_SE_NS0_5tupleIJPjSE_EEENSF_IJSE_SE_EEES9_SG_JZNS1_25segmented_radix_sort_implINS0_14default_configELb0EPKsPsPKlPlN2at6native12_GLOBAL__N_18offset_tEEE10hipError_tPvRmT1_PNSt15iterator_traitsISY_E10value_typeET2_T3_PNSZ_IS14_E10value_typeET4_jRbjT5_S1A_jjP12ihipStream_tbEUljE_EEESV_SW_SX_S14_S18_S1A_T6_T7_T9_mT8_S1C_bDpT10_ENKUlT_T0_E_clISt17integral_constantIbLb1EES1O_IbLb0EEEEDaS1K_S1L_EUlS1K_E_NS1_11comp_targetILNS1_3genE3ELNS1_11target_archE908ELNS1_3gpuE7ELNS1_3repE0EEENS1_30default_config_static_selectorELNS0_4arch9wavefront6targetE0EEEvSY_, .Lfunc_end996-_ZN7rocprim17ROCPRIM_400000_NS6detail17trampoline_kernelINS0_13select_configILj256ELj13ELNS0_17block_load_methodE3ELS4_3ELS4_3ELNS0_20block_scan_algorithmE0ELj4294967295EEENS1_25partition_config_selectorILNS1_17partition_subalgoE3EjNS0_10empty_typeEbEEZZNS1_14partition_implILS8_3ELb0ES6_jNS0_17counting_iteratorIjlEEPS9_SE_NS0_5tupleIJPjSE_EEENSF_IJSE_SE_EEES9_SG_JZNS1_25segmented_radix_sort_implINS0_14default_configELb0EPKsPsPKlPlN2at6native12_GLOBAL__N_18offset_tEEE10hipError_tPvRmT1_PNSt15iterator_traitsISY_E10value_typeET2_T3_PNSZ_IS14_E10value_typeET4_jRbjT5_S1A_jjP12ihipStream_tbEUljE_EEESV_SW_SX_S14_S18_S1A_T6_T7_T9_mT8_S1C_bDpT10_ENKUlT_T0_E_clISt17integral_constantIbLb1EES1O_IbLb0EEEEDaS1K_S1L_EUlS1K_E_NS1_11comp_targetILNS1_3genE3ELNS1_11target_archE908ELNS1_3gpuE7ELNS1_3repE0EEENS1_30default_config_static_selectorELNS0_4arch9wavefront6targetE0EEEvSY_
                                        ; -- End function
	.set _ZN7rocprim17ROCPRIM_400000_NS6detail17trampoline_kernelINS0_13select_configILj256ELj13ELNS0_17block_load_methodE3ELS4_3ELS4_3ELNS0_20block_scan_algorithmE0ELj4294967295EEENS1_25partition_config_selectorILNS1_17partition_subalgoE3EjNS0_10empty_typeEbEEZZNS1_14partition_implILS8_3ELb0ES6_jNS0_17counting_iteratorIjlEEPS9_SE_NS0_5tupleIJPjSE_EEENSF_IJSE_SE_EEES9_SG_JZNS1_25segmented_radix_sort_implINS0_14default_configELb0EPKsPsPKlPlN2at6native12_GLOBAL__N_18offset_tEEE10hipError_tPvRmT1_PNSt15iterator_traitsISY_E10value_typeET2_T3_PNSZ_IS14_E10value_typeET4_jRbjT5_S1A_jjP12ihipStream_tbEUljE_EEESV_SW_SX_S14_S18_S1A_T6_T7_T9_mT8_S1C_bDpT10_ENKUlT_T0_E_clISt17integral_constantIbLb1EES1O_IbLb0EEEEDaS1K_S1L_EUlS1K_E_NS1_11comp_targetILNS1_3genE3ELNS1_11target_archE908ELNS1_3gpuE7ELNS1_3repE0EEENS1_30default_config_static_selectorELNS0_4arch9wavefront6targetE0EEEvSY_.num_vgpr, 0
	.set _ZN7rocprim17ROCPRIM_400000_NS6detail17trampoline_kernelINS0_13select_configILj256ELj13ELNS0_17block_load_methodE3ELS4_3ELS4_3ELNS0_20block_scan_algorithmE0ELj4294967295EEENS1_25partition_config_selectorILNS1_17partition_subalgoE3EjNS0_10empty_typeEbEEZZNS1_14partition_implILS8_3ELb0ES6_jNS0_17counting_iteratorIjlEEPS9_SE_NS0_5tupleIJPjSE_EEENSF_IJSE_SE_EEES9_SG_JZNS1_25segmented_radix_sort_implINS0_14default_configELb0EPKsPsPKlPlN2at6native12_GLOBAL__N_18offset_tEEE10hipError_tPvRmT1_PNSt15iterator_traitsISY_E10value_typeET2_T3_PNSZ_IS14_E10value_typeET4_jRbjT5_S1A_jjP12ihipStream_tbEUljE_EEESV_SW_SX_S14_S18_S1A_T6_T7_T9_mT8_S1C_bDpT10_ENKUlT_T0_E_clISt17integral_constantIbLb1EES1O_IbLb0EEEEDaS1K_S1L_EUlS1K_E_NS1_11comp_targetILNS1_3genE3ELNS1_11target_archE908ELNS1_3gpuE7ELNS1_3repE0EEENS1_30default_config_static_selectorELNS0_4arch9wavefront6targetE0EEEvSY_.num_agpr, 0
	.set _ZN7rocprim17ROCPRIM_400000_NS6detail17trampoline_kernelINS0_13select_configILj256ELj13ELNS0_17block_load_methodE3ELS4_3ELS4_3ELNS0_20block_scan_algorithmE0ELj4294967295EEENS1_25partition_config_selectorILNS1_17partition_subalgoE3EjNS0_10empty_typeEbEEZZNS1_14partition_implILS8_3ELb0ES6_jNS0_17counting_iteratorIjlEEPS9_SE_NS0_5tupleIJPjSE_EEENSF_IJSE_SE_EEES9_SG_JZNS1_25segmented_radix_sort_implINS0_14default_configELb0EPKsPsPKlPlN2at6native12_GLOBAL__N_18offset_tEEE10hipError_tPvRmT1_PNSt15iterator_traitsISY_E10value_typeET2_T3_PNSZ_IS14_E10value_typeET4_jRbjT5_S1A_jjP12ihipStream_tbEUljE_EEESV_SW_SX_S14_S18_S1A_T6_T7_T9_mT8_S1C_bDpT10_ENKUlT_T0_E_clISt17integral_constantIbLb1EES1O_IbLb0EEEEDaS1K_S1L_EUlS1K_E_NS1_11comp_targetILNS1_3genE3ELNS1_11target_archE908ELNS1_3gpuE7ELNS1_3repE0EEENS1_30default_config_static_selectorELNS0_4arch9wavefront6targetE0EEEvSY_.numbered_sgpr, 0
	.set _ZN7rocprim17ROCPRIM_400000_NS6detail17trampoline_kernelINS0_13select_configILj256ELj13ELNS0_17block_load_methodE3ELS4_3ELS4_3ELNS0_20block_scan_algorithmE0ELj4294967295EEENS1_25partition_config_selectorILNS1_17partition_subalgoE3EjNS0_10empty_typeEbEEZZNS1_14partition_implILS8_3ELb0ES6_jNS0_17counting_iteratorIjlEEPS9_SE_NS0_5tupleIJPjSE_EEENSF_IJSE_SE_EEES9_SG_JZNS1_25segmented_radix_sort_implINS0_14default_configELb0EPKsPsPKlPlN2at6native12_GLOBAL__N_18offset_tEEE10hipError_tPvRmT1_PNSt15iterator_traitsISY_E10value_typeET2_T3_PNSZ_IS14_E10value_typeET4_jRbjT5_S1A_jjP12ihipStream_tbEUljE_EEESV_SW_SX_S14_S18_S1A_T6_T7_T9_mT8_S1C_bDpT10_ENKUlT_T0_E_clISt17integral_constantIbLb1EES1O_IbLb0EEEEDaS1K_S1L_EUlS1K_E_NS1_11comp_targetILNS1_3genE3ELNS1_11target_archE908ELNS1_3gpuE7ELNS1_3repE0EEENS1_30default_config_static_selectorELNS0_4arch9wavefront6targetE0EEEvSY_.num_named_barrier, 0
	.set _ZN7rocprim17ROCPRIM_400000_NS6detail17trampoline_kernelINS0_13select_configILj256ELj13ELNS0_17block_load_methodE3ELS4_3ELS4_3ELNS0_20block_scan_algorithmE0ELj4294967295EEENS1_25partition_config_selectorILNS1_17partition_subalgoE3EjNS0_10empty_typeEbEEZZNS1_14partition_implILS8_3ELb0ES6_jNS0_17counting_iteratorIjlEEPS9_SE_NS0_5tupleIJPjSE_EEENSF_IJSE_SE_EEES9_SG_JZNS1_25segmented_radix_sort_implINS0_14default_configELb0EPKsPsPKlPlN2at6native12_GLOBAL__N_18offset_tEEE10hipError_tPvRmT1_PNSt15iterator_traitsISY_E10value_typeET2_T3_PNSZ_IS14_E10value_typeET4_jRbjT5_S1A_jjP12ihipStream_tbEUljE_EEESV_SW_SX_S14_S18_S1A_T6_T7_T9_mT8_S1C_bDpT10_ENKUlT_T0_E_clISt17integral_constantIbLb1EES1O_IbLb0EEEEDaS1K_S1L_EUlS1K_E_NS1_11comp_targetILNS1_3genE3ELNS1_11target_archE908ELNS1_3gpuE7ELNS1_3repE0EEENS1_30default_config_static_selectorELNS0_4arch9wavefront6targetE0EEEvSY_.private_seg_size, 0
	.set _ZN7rocprim17ROCPRIM_400000_NS6detail17trampoline_kernelINS0_13select_configILj256ELj13ELNS0_17block_load_methodE3ELS4_3ELS4_3ELNS0_20block_scan_algorithmE0ELj4294967295EEENS1_25partition_config_selectorILNS1_17partition_subalgoE3EjNS0_10empty_typeEbEEZZNS1_14partition_implILS8_3ELb0ES6_jNS0_17counting_iteratorIjlEEPS9_SE_NS0_5tupleIJPjSE_EEENSF_IJSE_SE_EEES9_SG_JZNS1_25segmented_radix_sort_implINS0_14default_configELb0EPKsPsPKlPlN2at6native12_GLOBAL__N_18offset_tEEE10hipError_tPvRmT1_PNSt15iterator_traitsISY_E10value_typeET2_T3_PNSZ_IS14_E10value_typeET4_jRbjT5_S1A_jjP12ihipStream_tbEUljE_EEESV_SW_SX_S14_S18_S1A_T6_T7_T9_mT8_S1C_bDpT10_ENKUlT_T0_E_clISt17integral_constantIbLb1EES1O_IbLb0EEEEDaS1K_S1L_EUlS1K_E_NS1_11comp_targetILNS1_3genE3ELNS1_11target_archE908ELNS1_3gpuE7ELNS1_3repE0EEENS1_30default_config_static_selectorELNS0_4arch9wavefront6targetE0EEEvSY_.uses_vcc, 0
	.set _ZN7rocprim17ROCPRIM_400000_NS6detail17trampoline_kernelINS0_13select_configILj256ELj13ELNS0_17block_load_methodE3ELS4_3ELS4_3ELNS0_20block_scan_algorithmE0ELj4294967295EEENS1_25partition_config_selectorILNS1_17partition_subalgoE3EjNS0_10empty_typeEbEEZZNS1_14partition_implILS8_3ELb0ES6_jNS0_17counting_iteratorIjlEEPS9_SE_NS0_5tupleIJPjSE_EEENSF_IJSE_SE_EEES9_SG_JZNS1_25segmented_radix_sort_implINS0_14default_configELb0EPKsPsPKlPlN2at6native12_GLOBAL__N_18offset_tEEE10hipError_tPvRmT1_PNSt15iterator_traitsISY_E10value_typeET2_T3_PNSZ_IS14_E10value_typeET4_jRbjT5_S1A_jjP12ihipStream_tbEUljE_EEESV_SW_SX_S14_S18_S1A_T6_T7_T9_mT8_S1C_bDpT10_ENKUlT_T0_E_clISt17integral_constantIbLb1EES1O_IbLb0EEEEDaS1K_S1L_EUlS1K_E_NS1_11comp_targetILNS1_3genE3ELNS1_11target_archE908ELNS1_3gpuE7ELNS1_3repE0EEENS1_30default_config_static_selectorELNS0_4arch9wavefront6targetE0EEEvSY_.uses_flat_scratch, 0
	.set _ZN7rocprim17ROCPRIM_400000_NS6detail17trampoline_kernelINS0_13select_configILj256ELj13ELNS0_17block_load_methodE3ELS4_3ELS4_3ELNS0_20block_scan_algorithmE0ELj4294967295EEENS1_25partition_config_selectorILNS1_17partition_subalgoE3EjNS0_10empty_typeEbEEZZNS1_14partition_implILS8_3ELb0ES6_jNS0_17counting_iteratorIjlEEPS9_SE_NS0_5tupleIJPjSE_EEENSF_IJSE_SE_EEES9_SG_JZNS1_25segmented_radix_sort_implINS0_14default_configELb0EPKsPsPKlPlN2at6native12_GLOBAL__N_18offset_tEEE10hipError_tPvRmT1_PNSt15iterator_traitsISY_E10value_typeET2_T3_PNSZ_IS14_E10value_typeET4_jRbjT5_S1A_jjP12ihipStream_tbEUljE_EEESV_SW_SX_S14_S18_S1A_T6_T7_T9_mT8_S1C_bDpT10_ENKUlT_T0_E_clISt17integral_constantIbLb1EES1O_IbLb0EEEEDaS1K_S1L_EUlS1K_E_NS1_11comp_targetILNS1_3genE3ELNS1_11target_archE908ELNS1_3gpuE7ELNS1_3repE0EEENS1_30default_config_static_selectorELNS0_4arch9wavefront6targetE0EEEvSY_.has_dyn_sized_stack, 0
	.set _ZN7rocprim17ROCPRIM_400000_NS6detail17trampoline_kernelINS0_13select_configILj256ELj13ELNS0_17block_load_methodE3ELS4_3ELS4_3ELNS0_20block_scan_algorithmE0ELj4294967295EEENS1_25partition_config_selectorILNS1_17partition_subalgoE3EjNS0_10empty_typeEbEEZZNS1_14partition_implILS8_3ELb0ES6_jNS0_17counting_iteratorIjlEEPS9_SE_NS0_5tupleIJPjSE_EEENSF_IJSE_SE_EEES9_SG_JZNS1_25segmented_radix_sort_implINS0_14default_configELb0EPKsPsPKlPlN2at6native12_GLOBAL__N_18offset_tEEE10hipError_tPvRmT1_PNSt15iterator_traitsISY_E10value_typeET2_T3_PNSZ_IS14_E10value_typeET4_jRbjT5_S1A_jjP12ihipStream_tbEUljE_EEESV_SW_SX_S14_S18_S1A_T6_T7_T9_mT8_S1C_bDpT10_ENKUlT_T0_E_clISt17integral_constantIbLb1EES1O_IbLb0EEEEDaS1K_S1L_EUlS1K_E_NS1_11comp_targetILNS1_3genE3ELNS1_11target_archE908ELNS1_3gpuE7ELNS1_3repE0EEENS1_30default_config_static_selectorELNS0_4arch9wavefront6targetE0EEEvSY_.has_recursion, 0
	.set _ZN7rocprim17ROCPRIM_400000_NS6detail17trampoline_kernelINS0_13select_configILj256ELj13ELNS0_17block_load_methodE3ELS4_3ELS4_3ELNS0_20block_scan_algorithmE0ELj4294967295EEENS1_25partition_config_selectorILNS1_17partition_subalgoE3EjNS0_10empty_typeEbEEZZNS1_14partition_implILS8_3ELb0ES6_jNS0_17counting_iteratorIjlEEPS9_SE_NS0_5tupleIJPjSE_EEENSF_IJSE_SE_EEES9_SG_JZNS1_25segmented_radix_sort_implINS0_14default_configELb0EPKsPsPKlPlN2at6native12_GLOBAL__N_18offset_tEEE10hipError_tPvRmT1_PNSt15iterator_traitsISY_E10value_typeET2_T3_PNSZ_IS14_E10value_typeET4_jRbjT5_S1A_jjP12ihipStream_tbEUljE_EEESV_SW_SX_S14_S18_S1A_T6_T7_T9_mT8_S1C_bDpT10_ENKUlT_T0_E_clISt17integral_constantIbLb1EES1O_IbLb0EEEEDaS1K_S1L_EUlS1K_E_NS1_11comp_targetILNS1_3genE3ELNS1_11target_archE908ELNS1_3gpuE7ELNS1_3repE0EEENS1_30default_config_static_selectorELNS0_4arch9wavefront6targetE0EEEvSY_.has_indirect_call, 0
	.section	.AMDGPU.csdata,"",@progbits
; Kernel info:
; codeLenInByte = 0
; TotalNumSgprs: 0
; NumVgprs: 0
; ScratchSize: 0
; MemoryBound: 0
; FloatMode: 240
; IeeeMode: 1
; LDSByteSize: 0 bytes/workgroup (compile time only)
; SGPRBlocks: 0
; VGPRBlocks: 0
; NumSGPRsForWavesPerEU: 1
; NumVGPRsForWavesPerEU: 1
; NamedBarCnt: 0
; Occupancy: 16
; WaveLimiterHint : 0
; COMPUTE_PGM_RSRC2:SCRATCH_EN: 0
; COMPUTE_PGM_RSRC2:USER_SGPR: 2
; COMPUTE_PGM_RSRC2:TRAP_HANDLER: 0
; COMPUTE_PGM_RSRC2:TGID_X_EN: 1
; COMPUTE_PGM_RSRC2:TGID_Y_EN: 0
; COMPUTE_PGM_RSRC2:TGID_Z_EN: 0
; COMPUTE_PGM_RSRC2:TIDIG_COMP_CNT: 0
	.section	.text._ZN7rocprim17ROCPRIM_400000_NS6detail17trampoline_kernelINS0_13select_configILj256ELj13ELNS0_17block_load_methodE3ELS4_3ELS4_3ELNS0_20block_scan_algorithmE0ELj4294967295EEENS1_25partition_config_selectorILNS1_17partition_subalgoE3EjNS0_10empty_typeEbEEZZNS1_14partition_implILS8_3ELb0ES6_jNS0_17counting_iteratorIjlEEPS9_SE_NS0_5tupleIJPjSE_EEENSF_IJSE_SE_EEES9_SG_JZNS1_25segmented_radix_sort_implINS0_14default_configELb0EPKsPsPKlPlN2at6native12_GLOBAL__N_18offset_tEEE10hipError_tPvRmT1_PNSt15iterator_traitsISY_E10value_typeET2_T3_PNSZ_IS14_E10value_typeET4_jRbjT5_S1A_jjP12ihipStream_tbEUljE_EEESV_SW_SX_S14_S18_S1A_T6_T7_T9_mT8_S1C_bDpT10_ENKUlT_T0_E_clISt17integral_constantIbLb1EES1O_IbLb0EEEEDaS1K_S1L_EUlS1K_E_NS1_11comp_targetILNS1_3genE2ELNS1_11target_archE906ELNS1_3gpuE6ELNS1_3repE0EEENS1_30default_config_static_selectorELNS0_4arch9wavefront6targetE0EEEvSY_,"axG",@progbits,_ZN7rocprim17ROCPRIM_400000_NS6detail17trampoline_kernelINS0_13select_configILj256ELj13ELNS0_17block_load_methodE3ELS4_3ELS4_3ELNS0_20block_scan_algorithmE0ELj4294967295EEENS1_25partition_config_selectorILNS1_17partition_subalgoE3EjNS0_10empty_typeEbEEZZNS1_14partition_implILS8_3ELb0ES6_jNS0_17counting_iteratorIjlEEPS9_SE_NS0_5tupleIJPjSE_EEENSF_IJSE_SE_EEES9_SG_JZNS1_25segmented_radix_sort_implINS0_14default_configELb0EPKsPsPKlPlN2at6native12_GLOBAL__N_18offset_tEEE10hipError_tPvRmT1_PNSt15iterator_traitsISY_E10value_typeET2_T3_PNSZ_IS14_E10value_typeET4_jRbjT5_S1A_jjP12ihipStream_tbEUljE_EEESV_SW_SX_S14_S18_S1A_T6_T7_T9_mT8_S1C_bDpT10_ENKUlT_T0_E_clISt17integral_constantIbLb1EES1O_IbLb0EEEEDaS1K_S1L_EUlS1K_E_NS1_11comp_targetILNS1_3genE2ELNS1_11target_archE906ELNS1_3gpuE6ELNS1_3repE0EEENS1_30default_config_static_selectorELNS0_4arch9wavefront6targetE0EEEvSY_,comdat
	.globl	_ZN7rocprim17ROCPRIM_400000_NS6detail17trampoline_kernelINS0_13select_configILj256ELj13ELNS0_17block_load_methodE3ELS4_3ELS4_3ELNS0_20block_scan_algorithmE0ELj4294967295EEENS1_25partition_config_selectorILNS1_17partition_subalgoE3EjNS0_10empty_typeEbEEZZNS1_14partition_implILS8_3ELb0ES6_jNS0_17counting_iteratorIjlEEPS9_SE_NS0_5tupleIJPjSE_EEENSF_IJSE_SE_EEES9_SG_JZNS1_25segmented_radix_sort_implINS0_14default_configELb0EPKsPsPKlPlN2at6native12_GLOBAL__N_18offset_tEEE10hipError_tPvRmT1_PNSt15iterator_traitsISY_E10value_typeET2_T3_PNSZ_IS14_E10value_typeET4_jRbjT5_S1A_jjP12ihipStream_tbEUljE_EEESV_SW_SX_S14_S18_S1A_T6_T7_T9_mT8_S1C_bDpT10_ENKUlT_T0_E_clISt17integral_constantIbLb1EES1O_IbLb0EEEEDaS1K_S1L_EUlS1K_E_NS1_11comp_targetILNS1_3genE2ELNS1_11target_archE906ELNS1_3gpuE6ELNS1_3repE0EEENS1_30default_config_static_selectorELNS0_4arch9wavefront6targetE0EEEvSY_ ; -- Begin function _ZN7rocprim17ROCPRIM_400000_NS6detail17trampoline_kernelINS0_13select_configILj256ELj13ELNS0_17block_load_methodE3ELS4_3ELS4_3ELNS0_20block_scan_algorithmE0ELj4294967295EEENS1_25partition_config_selectorILNS1_17partition_subalgoE3EjNS0_10empty_typeEbEEZZNS1_14partition_implILS8_3ELb0ES6_jNS0_17counting_iteratorIjlEEPS9_SE_NS0_5tupleIJPjSE_EEENSF_IJSE_SE_EEES9_SG_JZNS1_25segmented_radix_sort_implINS0_14default_configELb0EPKsPsPKlPlN2at6native12_GLOBAL__N_18offset_tEEE10hipError_tPvRmT1_PNSt15iterator_traitsISY_E10value_typeET2_T3_PNSZ_IS14_E10value_typeET4_jRbjT5_S1A_jjP12ihipStream_tbEUljE_EEESV_SW_SX_S14_S18_S1A_T6_T7_T9_mT8_S1C_bDpT10_ENKUlT_T0_E_clISt17integral_constantIbLb1EES1O_IbLb0EEEEDaS1K_S1L_EUlS1K_E_NS1_11comp_targetILNS1_3genE2ELNS1_11target_archE906ELNS1_3gpuE6ELNS1_3repE0EEENS1_30default_config_static_selectorELNS0_4arch9wavefront6targetE0EEEvSY_
	.p2align	8
	.type	_ZN7rocprim17ROCPRIM_400000_NS6detail17trampoline_kernelINS0_13select_configILj256ELj13ELNS0_17block_load_methodE3ELS4_3ELS4_3ELNS0_20block_scan_algorithmE0ELj4294967295EEENS1_25partition_config_selectorILNS1_17partition_subalgoE3EjNS0_10empty_typeEbEEZZNS1_14partition_implILS8_3ELb0ES6_jNS0_17counting_iteratorIjlEEPS9_SE_NS0_5tupleIJPjSE_EEENSF_IJSE_SE_EEES9_SG_JZNS1_25segmented_radix_sort_implINS0_14default_configELb0EPKsPsPKlPlN2at6native12_GLOBAL__N_18offset_tEEE10hipError_tPvRmT1_PNSt15iterator_traitsISY_E10value_typeET2_T3_PNSZ_IS14_E10value_typeET4_jRbjT5_S1A_jjP12ihipStream_tbEUljE_EEESV_SW_SX_S14_S18_S1A_T6_T7_T9_mT8_S1C_bDpT10_ENKUlT_T0_E_clISt17integral_constantIbLb1EES1O_IbLb0EEEEDaS1K_S1L_EUlS1K_E_NS1_11comp_targetILNS1_3genE2ELNS1_11target_archE906ELNS1_3gpuE6ELNS1_3repE0EEENS1_30default_config_static_selectorELNS0_4arch9wavefront6targetE0EEEvSY_,@function
_ZN7rocprim17ROCPRIM_400000_NS6detail17trampoline_kernelINS0_13select_configILj256ELj13ELNS0_17block_load_methodE3ELS4_3ELS4_3ELNS0_20block_scan_algorithmE0ELj4294967295EEENS1_25partition_config_selectorILNS1_17partition_subalgoE3EjNS0_10empty_typeEbEEZZNS1_14partition_implILS8_3ELb0ES6_jNS0_17counting_iteratorIjlEEPS9_SE_NS0_5tupleIJPjSE_EEENSF_IJSE_SE_EEES9_SG_JZNS1_25segmented_radix_sort_implINS0_14default_configELb0EPKsPsPKlPlN2at6native12_GLOBAL__N_18offset_tEEE10hipError_tPvRmT1_PNSt15iterator_traitsISY_E10value_typeET2_T3_PNSZ_IS14_E10value_typeET4_jRbjT5_S1A_jjP12ihipStream_tbEUljE_EEESV_SW_SX_S14_S18_S1A_T6_T7_T9_mT8_S1C_bDpT10_ENKUlT_T0_E_clISt17integral_constantIbLb1EES1O_IbLb0EEEEDaS1K_S1L_EUlS1K_E_NS1_11comp_targetILNS1_3genE2ELNS1_11target_archE906ELNS1_3gpuE6ELNS1_3repE0EEENS1_30default_config_static_selectorELNS0_4arch9wavefront6targetE0EEEvSY_: ; @_ZN7rocprim17ROCPRIM_400000_NS6detail17trampoline_kernelINS0_13select_configILj256ELj13ELNS0_17block_load_methodE3ELS4_3ELS4_3ELNS0_20block_scan_algorithmE0ELj4294967295EEENS1_25partition_config_selectorILNS1_17partition_subalgoE3EjNS0_10empty_typeEbEEZZNS1_14partition_implILS8_3ELb0ES6_jNS0_17counting_iteratorIjlEEPS9_SE_NS0_5tupleIJPjSE_EEENSF_IJSE_SE_EEES9_SG_JZNS1_25segmented_radix_sort_implINS0_14default_configELb0EPKsPsPKlPlN2at6native12_GLOBAL__N_18offset_tEEE10hipError_tPvRmT1_PNSt15iterator_traitsISY_E10value_typeET2_T3_PNSZ_IS14_E10value_typeET4_jRbjT5_S1A_jjP12ihipStream_tbEUljE_EEESV_SW_SX_S14_S18_S1A_T6_T7_T9_mT8_S1C_bDpT10_ENKUlT_T0_E_clISt17integral_constantIbLb1EES1O_IbLb0EEEEDaS1K_S1L_EUlS1K_E_NS1_11comp_targetILNS1_3genE2ELNS1_11target_archE906ELNS1_3gpuE6ELNS1_3repE0EEENS1_30default_config_static_selectorELNS0_4arch9wavefront6targetE0EEEvSY_
; %bb.0:
	.section	.rodata,"a",@progbits
	.p2align	6, 0x0
	.amdhsa_kernel _ZN7rocprim17ROCPRIM_400000_NS6detail17trampoline_kernelINS0_13select_configILj256ELj13ELNS0_17block_load_methodE3ELS4_3ELS4_3ELNS0_20block_scan_algorithmE0ELj4294967295EEENS1_25partition_config_selectorILNS1_17partition_subalgoE3EjNS0_10empty_typeEbEEZZNS1_14partition_implILS8_3ELb0ES6_jNS0_17counting_iteratorIjlEEPS9_SE_NS0_5tupleIJPjSE_EEENSF_IJSE_SE_EEES9_SG_JZNS1_25segmented_radix_sort_implINS0_14default_configELb0EPKsPsPKlPlN2at6native12_GLOBAL__N_18offset_tEEE10hipError_tPvRmT1_PNSt15iterator_traitsISY_E10value_typeET2_T3_PNSZ_IS14_E10value_typeET4_jRbjT5_S1A_jjP12ihipStream_tbEUljE_EEESV_SW_SX_S14_S18_S1A_T6_T7_T9_mT8_S1C_bDpT10_ENKUlT_T0_E_clISt17integral_constantIbLb1EES1O_IbLb0EEEEDaS1K_S1L_EUlS1K_E_NS1_11comp_targetILNS1_3genE2ELNS1_11target_archE906ELNS1_3gpuE6ELNS1_3repE0EEENS1_30default_config_static_selectorELNS0_4arch9wavefront6targetE0EEEvSY_
		.amdhsa_group_segment_fixed_size 0
		.amdhsa_private_segment_fixed_size 0
		.amdhsa_kernarg_size 144
		.amdhsa_user_sgpr_count 2
		.amdhsa_user_sgpr_dispatch_ptr 0
		.amdhsa_user_sgpr_queue_ptr 0
		.amdhsa_user_sgpr_kernarg_segment_ptr 1
		.amdhsa_user_sgpr_dispatch_id 0
		.amdhsa_user_sgpr_kernarg_preload_length 0
		.amdhsa_user_sgpr_kernarg_preload_offset 0
		.amdhsa_user_sgpr_private_segment_size 0
		.amdhsa_wavefront_size32 1
		.amdhsa_uses_dynamic_stack 0
		.amdhsa_enable_private_segment 0
		.amdhsa_system_sgpr_workgroup_id_x 1
		.amdhsa_system_sgpr_workgroup_id_y 0
		.amdhsa_system_sgpr_workgroup_id_z 0
		.amdhsa_system_sgpr_workgroup_info 0
		.amdhsa_system_vgpr_workitem_id 0
		.amdhsa_next_free_vgpr 1
		.amdhsa_next_free_sgpr 1
		.amdhsa_named_barrier_count 0
		.amdhsa_reserve_vcc 0
		.amdhsa_float_round_mode_32 0
		.amdhsa_float_round_mode_16_64 0
		.amdhsa_float_denorm_mode_32 3
		.amdhsa_float_denorm_mode_16_64 3
		.amdhsa_fp16_overflow 0
		.amdhsa_memory_ordered 1
		.amdhsa_forward_progress 1
		.amdhsa_inst_pref_size 0
		.amdhsa_round_robin_scheduling 0
		.amdhsa_exception_fp_ieee_invalid_op 0
		.amdhsa_exception_fp_denorm_src 0
		.amdhsa_exception_fp_ieee_div_zero 0
		.amdhsa_exception_fp_ieee_overflow 0
		.amdhsa_exception_fp_ieee_underflow 0
		.amdhsa_exception_fp_ieee_inexact 0
		.amdhsa_exception_int_div_zero 0
	.end_amdhsa_kernel
	.section	.text._ZN7rocprim17ROCPRIM_400000_NS6detail17trampoline_kernelINS0_13select_configILj256ELj13ELNS0_17block_load_methodE3ELS4_3ELS4_3ELNS0_20block_scan_algorithmE0ELj4294967295EEENS1_25partition_config_selectorILNS1_17partition_subalgoE3EjNS0_10empty_typeEbEEZZNS1_14partition_implILS8_3ELb0ES6_jNS0_17counting_iteratorIjlEEPS9_SE_NS0_5tupleIJPjSE_EEENSF_IJSE_SE_EEES9_SG_JZNS1_25segmented_radix_sort_implINS0_14default_configELb0EPKsPsPKlPlN2at6native12_GLOBAL__N_18offset_tEEE10hipError_tPvRmT1_PNSt15iterator_traitsISY_E10value_typeET2_T3_PNSZ_IS14_E10value_typeET4_jRbjT5_S1A_jjP12ihipStream_tbEUljE_EEESV_SW_SX_S14_S18_S1A_T6_T7_T9_mT8_S1C_bDpT10_ENKUlT_T0_E_clISt17integral_constantIbLb1EES1O_IbLb0EEEEDaS1K_S1L_EUlS1K_E_NS1_11comp_targetILNS1_3genE2ELNS1_11target_archE906ELNS1_3gpuE6ELNS1_3repE0EEENS1_30default_config_static_selectorELNS0_4arch9wavefront6targetE0EEEvSY_,"axG",@progbits,_ZN7rocprim17ROCPRIM_400000_NS6detail17trampoline_kernelINS0_13select_configILj256ELj13ELNS0_17block_load_methodE3ELS4_3ELS4_3ELNS0_20block_scan_algorithmE0ELj4294967295EEENS1_25partition_config_selectorILNS1_17partition_subalgoE3EjNS0_10empty_typeEbEEZZNS1_14partition_implILS8_3ELb0ES6_jNS0_17counting_iteratorIjlEEPS9_SE_NS0_5tupleIJPjSE_EEENSF_IJSE_SE_EEES9_SG_JZNS1_25segmented_radix_sort_implINS0_14default_configELb0EPKsPsPKlPlN2at6native12_GLOBAL__N_18offset_tEEE10hipError_tPvRmT1_PNSt15iterator_traitsISY_E10value_typeET2_T3_PNSZ_IS14_E10value_typeET4_jRbjT5_S1A_jjP12ihipStream_tbEUljE_EEESV_SW_SX_S14_S18_S1A_T6_T7_T9_mT8_S1C_bDpT10_ENKUlT_T0_E_clISt17integral_constantIbLb1EES1O_IbLb0EEEEDaS1K_S1L_EUlS1K_E_NS1_11comp_targetILNS1_3genE2ELNS1_11target_archE906ELNS1_3gpuE6ELNS1_3repE0EEENS1_30default_config_static_selectorELNS0_4arch9wavefront6targetE0EEEvSY_,comdat
.Lfunc_end997:
	.size	_ZN7rocprim17ROCPRIM_400000_NS6detail17trampoline_kernelINS0_13select_configILj256ELj13ELNS0_17block_load_methodE3ELS4_3ELS4_3ELNS0_20block_scan_algorithmE0ELj4294967295EEENS1_25partition_config_selectorILNS1_17partition_subalgoE3EjNS0_10empty_typeEbEEZZNS1_14partition_implILS8_3ELb0ES6_jNS0_17counting_iteratorIjlEEPS9_SE_NS0_5tupleIJPjSE_EEENSF_IJSE_SE_EEES9_SG_JZNS1_25segmented_radix_sort_implINS0_14default_configELb0EPKsPsPKlPlN2at6native12_GLOBAL__N_18offset_tEEE10hipError_tPvRmT1_PNSt15iterator_traitsISY_E10value_typeET2_T3_PNSZ_IS14_E10value_typeET4_jRbjT5_S1A_jjP12ihipStream_tbEUljE_EEESV_SW_SX_S14_S18_S1A_T6_T7_T9_mT8_S1C_bDpT10_ENKUlT_T0_E_clISt17integral_constantIbLb1EES1O_IbLb0EEEEDaS1K_S1L_EUlS1K_E_NS1_11comp_targetILNS1_3genE2ELNS1_11target_archE906ELNS1_3gpuE6ELNS1_3repE0EEENS1_30default_config_static_selectorELNS0_4arch9wavefront6targetE0EEEvSY_, .Lfunc_end997-_ZN7rocprim17ROCPRIM_400000_NS6detail17trampoline_kernelINS0_13select_configILj256ELj13ELNS0_17block_load_methodE3ELS4_3ELS4_3ELNS0_20block_scan_algorithmE0ELj4294967295EEENS1_25partition_config_selectorILNS1_17partition_subalgoE3EjNS0_10empty_typeEbEEZZNS1_14partition_implILS8_3ELb0ES6_jNS0_17counting_iteratorIjlEEPS9_SE_NS0_5tupleIJPjSE_EEENSF_IJSE_SE_EEES9_SG_JZNS1_25segmented_radix_sort_implINS0_14default_configELb0EPKsPsPKlPlN2at6native12_GLOBAL__N_18offset_tEEE10hipError_tPvRmT1_PNSt15iterator_traitsISY_E10value_typeET2_T3_PNSZ_IS14_E10value_typeET4_jRbjT5_S1A_jjP12ihipStream_tbEUljE_EEESV_SW_SX_S14_S18_S1A_T6_T7_T9_mT8_S1C_bDpT10_ENKUlT_T0_E_clISt17integral_constantIbLb1EES1O_IbLb0EEEEDaS1K_S1L_EUlS1K_E_NS1_11comp_targetILNS1_3genE2ELNS1_11target_archE906ELNS1_3gpuE6ELNS1_3repE0EEENS1_30default_config_static_selectorELNS0_4arch9wavefront6targetE0EEEvSY_
                                        ; -- End function
	.set _ZN7rocprim17ROCPRIM_400000_NS6detail17trampoline_kernelINS0_13select_configILj256ELj13ELNS0_17block_load_methodE3ELS4_3ELS4_3ELNS0_20block_scan_algorithmE0ELj4294967295EEENS1_25partition_config_selectorILNS1_17partition_subalgoE3EjNS0_10empty_typeEbEEZZNS1_14partition_implILS8_3ELb0ES6_jNS0_17counting_iteratorIjlEEPS9_SE_NS0_5tupleIJPjSE_EEENSF_IJSE_SE_EEES9_SG_JZNS1_25segmented_radix_sort_implINS0_14default_configELb0EPKsPsPKlPlN2at6native12_GLOBAL__N_18offset_tEEE10hipError_tPvRmT1_PNSt15iterator_traitsISY_E10value_typeET2_T3_PNSZ_IS14_E10value_typeET4_jRbjT5_S1A_jjP12ihipStream_tbEUljE_EEESV_SW_SX_S14_S18_S1A_T6_T7_T9_mT8_S1C_bDpT10_ENKUlT_T0_E_clISt17integral_constantIbLb1EES1O_IbLb0EEEEDaS1K_S1L_EUlS1K_E_NS1_11comp_targetILNS1_3genE2ELNS1_11target_archE906ELNS1_3gpuE6ELNS1_3repE0EEENS1_30default_config_static_selectorELNS0_4arch9wavefront6targetE0EEEvSY_.num_vgpr, 0
	.set _ZN7rocprim17ROCPRIM_400000_NS6detail17trampoline_kernelINS0_13select_configILj256ELj13ELNS0_17block_load_methodE3ELS4_3ELS4_3ELNS0_20block_scan_algorithmE0ELj4294967295EEENS1_25partition_config_selectorILNS1_17partition_subalgoE3EjNS0_10empty_typeEbEEZZNS1_14partition_implILS8_3ELb0ES6_jNS0_17counting_iteratorIjlEEPS9_SE_NS0_5tupleIJPjSE_EEENSF_IJSE_SE_EEES9_SG_JZNS1_25segmented_radix_sort_implINS0_14default_configELb0EPKsPsPKlPlN2at6native12_GLOBAL__N_18offset_tEEE10hipError_tPvRmT1_PNSt15iterator_traitsISY_E10value_typeET2_T3_PNSZ_IS14_E10value_typeET4_jRbjT5_S1A_jjP12ihipStream_tbEUljE_EEESV_SW_SX_S14_S18_S1A_T6_T7_T9_mT8_S1C_bDpT10_ENKUlT_T0_E_clISt17integral_constantIbLb1EES1O_IbLb0EEEEDaS1K_S1L_EUlS1K_E_NS1_11comp_targetILNS1_3genE2ELNS1_11target_archE906ELNS1_3gpuE6ELNS1_3repE0EEENS1_30default_config_static_selectorELNS0_4arch9wavefront6targetE0EEEvSY_.num_agpr, 0
	.set _ZN7rocprim17ROCPRIM_400000_NS6detail17trampoline_kernelINS0_13select_configILj256ELj13ELNS0_17block_load_methodE3ELS4_3ELS4_3ELNS0_20block_scan_algorithmE0ELj4294967295EEENS1_25partition_config_selectorILNS1_17partition_subalgoE3EjNS0_10empty_typeEbEEZZNS1_14partition_implILS8_3ELb0ES6_jNS0_17counting_iteratorIjlEEPS9_SE_NS0_5tupleIJPjSE_EEENSF_IJSE_SE_EEES9_SG_JZNS1_25segmented_radix_sort_implINS0_14default_configELb0EPKsPsPKlPlN2at6native12_GLOBAL__N_18offset_tEEE10hipError_tPvRmT1_PNSt15iterator_traitsISY_E10value_typeET2_T3_PNSZ_IS14_E10value_typeET4_jRbjT5_S1A_jjP12ihipStream_tbEUljE_EEESV_SW_SX_S14_S18_S1A_T6_T7_T9_mT8_S1C_bDpT10_ENKUlT_T0_E_clISt17integral_constantIbLb1EES1O_IbLb0EEEEDaS1K_S1L_EUlS1K_E_NS1_11comp_targetILNS1_3genE2ELNS1_11target_archE906ELNS1_3gpuE6ELNS1_3repE0EEENS1_30default_config_static_selectorELNS0_4arch9wavefront6targetE0EEEvSY_.numbered_sgpr, 0
	.set _ZN7rocprim17ROCPRIM_400000_NS6detail17trampoline_kernelINS0_13select_configILj256ELj13ELNS0_17block_load_methodE3ELS4_3ELS4_3ELNS0_20block_scan_algorithmE0ELj4294967295EEENS1_25partition_config_selectorILNS1_17partition_subalgoE3EjNS0_10empty_typeEbEEZZNS1_14partition_implILS8_3ELb0ES6_jNS0_17counting_iteratorIjlEEPS9_SE_NS0_5tupleIJPjSE_EEENSF_IJSE_SE_EEES9_SG_JZNS1_25segmented_radix_sort_implINS0_14default_configELb0EPKsPsPKlPlN2at6native12_GLOBAL__N_18offset_tEEE10hipError_tPvRmT1_PNSt15iterator_traitsISY_E10value_typeET2_T3_PNSZ_IS14_E10value_typeET4_jRbjT5_S1A_jjP12ihipStream_tbEUljE_EEESV_SW_SX_S14_S18_S1A_T6_T7_T9_mT8_S1C_bDpT10_ENKUlT_T0_E_clISt17integral_constantIbLb1EES1O_IbLb0EEEEDaS1K_S1L_EUlS1K_E_NS1_11comp_targetILNS1_3genE2ELNS1_11target_archE906ELNS1_3gpuE6ELNS1_3repE0EEENS1_30default_config_static_selectorELNS0_4arch9wavefront6targetE0EEEvSY_.num_named_barrier, 0
	.set _ZN7rocprim17ROCPRIM_400000_NS6detail17trampoline_kernelINS0_13select_configILj256ELj13ELNS0_17block_load_methodE3ELS4_3ELS4_3ELNS0_20block_scan_algorithmE0ELj4294967295EEENS1_25partition_config_selectorILNS1_17partition_subalgoE3EjNS0_10empty_typeEbEEZZNS1_14partition_implILS8_3ELb0ES6_jNS0_17counting_iteratorIjlEEPS9_SE_NS0_5tupleIJPjSE_EEENSF_IJSE_SE_EEES9_SG_JZNS1_25segmented_radix_sort_implINS0_14default_configELb0EPKsPsPKlPlN2at6native12_GLOBAL__N_18offset_tEEE10hipError_tPvRmT1_PNSt15iterator_traitsISY_E10value_typeET2_T3_PNSZ_IS14_E10value_typeET4_jRbjT5_S1A_jjP12ihipStream_tbEUljE_EEESV_SW_SX_S14_S18_S1A_T6_T7_T9_mT8_S1C_bDpT10_ENKUlT_T0_E_clISt17integral_constantIbLb1EES1O_IbLb0EEEEDaS1K_S1L_EUlS1K_E_NS1_11comp_targetILNS1_3genE2ELNS1_11target_archE906ELNS1_3gpuE6ELNS1_3repE0EEENS1_30default_config_static_selectorELNS0_4arch9wavefront6targetE0EEEvSY_.private_seg_size, 0
	.set _ZN7rocprim17ROCPRIM_400000_NS6detail17trampoline_kernelINS0_13select_configILj256ELj13ELNS0_17block_load_methodE3ELS4_3ELS4_3ELNS0_20block_scan_algorithmE0ELj4294967295EEENS1_25partition_config_selectorILNS1_17partition_subalgoE3EjNS0_10empty_typeEbEEZZNS1_14partition_implILS8_3ELb0ES6_jNS0_17counting_iteratorIjlEEPS9_SE_NS0_5tupleIJPjSE_EEENSF_IJSE_SE_EEES9_SG_JZNS1_25segmented_radix_sort_implINS0_14default_configELb0EPKsPsPKlPlN2at6native12_GLOBAL__N_18offset_tEEE10hipError_tPvRmT1_PNSt15iterator_traitsISY_E10value_typeET2_T3_PNSZ_IS14_E10value_typeET4_jRbjT5_S1A_jjP12ihipStream_tbEUljE_EEESV_SW_SX_S14_S18_S1A_T6_T7_T9_mT8_S1C_bDpT10_ENKUlT_T0_E_clISt17integral_constantIbLb1EES1O_IbLb0EEEEDaS1K_S1L_EUlS1K_E_NS1_11comp_targetILNS1_3genE2ELNS1_11target_archE906ELNS1_3gpuE6ELNS1_3repE0EEENS1_30default_config_static_selectorELNS0_4arch9wavefront6targetE0EEEvSY_.uses_vcc, 0
	.set _ZN7rocprim17ROCPRIM_400000_NS6detail17trampoline_kernelINS0_13select_configILj256ELj13ELNS0_17block_load_methodE3ELS4_3ELS4_3ELNS0_20block_scan_algorithmE0ELj4294967295EEENS1_25partition_config_selectorILNS1_17partition_subalgoE3EjNS0_10empty_typeEbEEZZNS1_14partition_implILS8_3ELb0ES6_jNS0_17counting_iteratorIjlEEPS9_SE_NS0_5tupleIJPjSE_EEENSF_IJSE_SE_EEES9_SG_JZNS1_25segmented_radix_sort_implINS0_14default_configELb0EPKsPsPKlPlN2at6native12_GLOBAL__N_18offset_tEEE10hipError_tPvRmT1_PNSt15iterator_traitsISY_E10value_typeET2_T3_PNSZ_IS14_E10value_typeET4_jRbjT5_S1A_jjP12ihipStream_tbEUljE_EEESV_SW_SX_S14_S18_S1A_T6_T7_T9_mT8_S1C_bDpT10_ENKUlT_T0_E_clISt17integral_constantIbLb1EES1O_IbLb0EEEEDaS1K_S1L_EUlS1K_E_NS1_11comp_targetILNS1_3genE2ELNS1_11target_archE906ELNS1_3gpuE6ELNS1_3repE0EEENS1_30default_config_static_selectorELNS0_4arch9wavefront6targetE0EEEvSY_.uses_flat_scratch, 0
	.set _ZN7rocprim17ROCPRIM_400000_NS6detail17trampoline_kernelINS0_13select_configILj256ELj13ELNS0_17block_load_methodE3ELS4_3ELS4_3ELNS0_20block_scan_algorithmE0ELj4294967295EEENS1_25partition_config_selectorILNS1_17partition_subalgoE3EjNS0_10empty_typeEbEEZZNS1_14partition_implILS8_3ELb0ES6_jNS0_17counting_iteratorIjlEEPS9_SE_NS0_5tupleIJPjSE_EEENSF_IJSE_SE_EEES9_SG_JZNS1_25segmented_radix_sort_implINS0_14default_configELb0EPKsPsPKlPlN2at6native12_GLOBAL__N_18offset_tEEE10hipError_tPvRmT1_PNSt15iterator_traitsISY_E10value_typeET2_T3_PNSZ_IS14_E10value_typeET4_jRbjT5_S1A_jjP12ihipStream_tbEUljE_EEESV_SW_SX_S14_S18_S1A_T6_T7_T9_mT8_S1C_bDpT10_ENKUlT_T0_E_clISt17integral_constantIbLb1EES1O_IbLb0EEEEDaS1K_S1L_EUlS1K_E_NS1_11comp_targetILNS1_3genE2ELNS1_11target_archE906ELNS1_3gpuE6ELNS1_3repE0EEENS1_30default_config_static_selectorELNS0_4arch9wavefront6targetE0EEEvSY_.has_dyn_sized_stack, 0
	.set _ZN7rocprim17ROCPRIM_400000_NS6detail17trampoline_kernelINS0_13select_configILj256ELj13ELNS0_17block_load_methodE3ELS4_3ELS4_3ELNS0_20block_scan_algorithmE0ELj4294967295EEENS1_25partition_config_selectorILNS1_17partition_subalgoE3EjNS0_10empty_typeEbEEZZNS1_14partition_implILS8_3ELb0ES6_jNS0_17counting_iteratorIjlEEPS9_SE_NS0_5tupleIJPjSE_EEENSF_IJSE_SE_EEES9_SG_JZNS1_25segmented_radix_sort_implINS0_14default_configELb0EPKsPsPKlPlN2at6native12_GLOBAL__N_18offset_tEEE10hipError_tPvRmT1_PNSt15iterator_traitsISY_E10value_typeET2_T3_PNSZ_IS14_E10value_typeET4_jRbjT5_S1A_jjP12ihipStream_tbEUljE_EEESV_SW_SX_S14_S18_S1A_T6_T7_T9_mT8_S1C_bDpT10_ENKUlT_T0_E_clISt17integral_constantIbLb1EES1O_IbLb0EEEEDaS1K_S1L_EUlS1K_E_NS1_11comp_targetILNS1_3genE2ELNS1_11target_archE906ELNS1_3gpuE6ELNS1_3repE0EEENS1_30default_config_static_selectorELNS0_4arch9wavefront6targetE0EEEvSY_.has_recursion, 0
	.set _ZN7rocprim17ROCPRIM_400000_NS6detail17trampoline_kernelINS0_13select_configILj256ELj13ELNS0_17block_load_methodE3ELS4_3ELS4_3ELNS0_20block_scan_algorithmE0ELj4294967295EEENS1_25partition_config_selectorILNS1_17partition_subalgoE3EjNS0_10empty_typeEbEEZZNS1_14partition_implILS8_3ELb0ES6_jNS0_17counting_iteratorIjlEEPS9_SE_NS0_5tupleIJPjSE_EEENSF_IJSE_SE_EEES9_SG_JZNS1_25segmented_radix_sort_implINS0_14default_configELb0EPKsPsPKlPlN2at6native12_GLOBAL__N_18offset_tEEE10hipError_tPvRmT1_PNSt15iterator_traitsISY_E10value_typeET2_T3_PNSZ_IS14_E10value_typeET4_jRbjT5_S1A_jjP12ihipStream_tbEUljE_EEESV_SW_SX_S14_S18_S1A_T6_T7_T9_mT8_S1C_bDpT10_ENKUlT_T0_E_clISt17integral_constantIbLb1EES1O_IbLb0EEEEDaS1K_S1L_EUlS1K_E_NS1_11comp_targetILNS1_3genE2ELNS1_11target_archE906ELNS1_3gpuE6ELNS1_3repE0EEENS1_30default_config_static_selectorELNS0_4arch9wavefront6targetE0EEEvSY_.has_indirect_call, 0
	.section	.AMDGPU.csdata,"",@progbits
; Kernel info:
; codeLenInByte = 0
; TotalNumSgprs: 0
; NumVgprs: 0
; ScratchSize: 0
; MemoryBound: 0
; FloatMode: 240
; IeeeMode: 1
; LDSByteSize: 0 bytes/workgroup (compile time only)
; SGPRBlocks: 0
; VGPRBlocks: 0
; NumSGPRsForWavesPerEU: 1
; NumVGPRsForWavesPerEU: 1
; NamedBarCnt: 0
; Occupancy: 16
; WaveLimiterHint : 0
; COMPUTE_PGM_RSRC2:SCRATCH_EN: 0
; COMPUTE_PGM_RSRC2:USER_SGPR: 2
; COMPUTE_PGM_RSRC2:TRAP_HANDLER: 0
; COMPUTE_PGM_RSRC2:TGID_X_EN: 1
; COMPUTE_PGM_RSRC2:TGID_Y_EN: 0
; COMPUTE_PGM_RSRC2:TGID_Z_EN: 0
; COMPUTE_PGM_RSRC2:TIDIG_COMP_CNT: 0
	.section	.text._ZN7rocprim17ROCPRIM_400000_NS6detail17trampoline_kernelINS0_13select_configILj256ELj13ELNS0_17block_load_methodE3ELS4_3ELS4_3ELNS0_20block_scan_algorithmE0ELj4294967295EEENS1_25partition_config_selectorILNS1_17partition_subalgoE3EjNS0_10empty_typeEbEEZZNS1_14partition_implILS8_3ELb0ES6_jNS0_17counting_iteratorIjlEEPS9_SE_NS0_5tupleIJPjSE_EEENSF_IJSE_SE_EEES9_SG_JZNS1_25segmented_radix_sort_implINS0_14default_configELb0EPKsPsPKlPlN2at6native12_GLOBAL__N_18offset_tEEE10hipError_tPvRmT1_PNSt15iterator_traitsISY_E10value_typeET2_T3_PNSZ_IS14_E10value_typeET4_jRbjT5_S1A_jjP12ihipStream_tbEUljE_EEESV_SW_SX_S14_S18_S1A_T6_T7_T9_mT8_S1C_bDpT10_ENKUlT_T0_E_clISt17integral_constantIbLb1EES1O_IbLb0EEEEDaS1K_S1L_EUlS1K_E_NS1_11comp_targetILNS1_3genE10ELNS1_11target_archE1200ELNS1_3gpuE4ELNS1_3repE0EEENS1_30default_config_static_selectorELNS0_4arch9wavefront6targetE0EEEvSY_,"axG",@progbits,_ZN7rocprim17ROCPRIM_400000_NS6detail17trampoline_kernelINS0_13select_configILj256ELj13ELNS0_17block_load_methodE3ELS4_3ELS4_3ELNS0_20block_scan_algorithmE0ELj4294967295EEENS1_25partition_config_selectorILNS1_17partition_subalgoE3EjNS0_10empty_typeEbEEZZNS1_14partition_implILS8_3ELb0ES6_jNS0_17counting_iteratorIjlEEPS9_SE_NS0_5tupleIJPjSE_EEENSF_IJSE_SE_EEES9_SG_JZNS1_25segmented_radix_sort_implINS0_14default_configELb0EPKsPsPKlPlN2at6native12_GLOBAL__N_18offset_tEEE10hipError_tPvRmT1_PNSt15iterator_traitsISY_E10value_typeET2_T3_PNSZ_IS14_E10value_typeET4_jRbjT5_S1A_jjP12ihipStream_tbEUljE_EEESV_SW_SX_S14_S18_S1A_T6_T7_T9_mT8_S1C_bDpT10_ENKUlT_T0_E_clISt17integral_constantIbLb1EES1O_IbLb0EEEEDaS1K_S1L_EUlS1K_E_NS1_11comp_targetILNS1_3genE10ELNS1_11target_archE1200ELNS1_3gpuE4ELNS1_3repE0EEENS1_30default_config_static_selectorELNS0_4arch9wavefront6targetE0EEEvSY_,comdat
	.globl	_ZN7rocprim17ROCPRIM_400000_NS6detail17trampoline_kernelINS0_13select_configILj256ELj13ELNS0_17block_load_methodE3ELS4_3ELS4_3ELNS0_20block_scan_algorithmE0ELj4294967295EEENS1_25partition_config_selectorILNS1_17partition_subalgoE3EjNS0_10empty_typeEbEEZZNS1_14partition_implILS8_3ELb0ES6_jNS0_17counting_iteratorIjlEEPS9_SE_NS0_5tupleIJPjSE_EEENSF_IJSE_SE_EEES9_SG_JZNS1_25segmented_radix_sort_implINS0_14default_configELb0EPKsPsPKlPlN2at6native12_GLOBAL__N_18offset_tEEE10hipError_tPvRmT1_PNSt15iterator_traitsISY_E10value_typeET2_T3_PNSZ_IS14_E10value_typeET4_jRbjT5_S1A_jjP12ihipStream_tbEUljE_EEESV_SW_SX_S14_S18_S1A_T6_T7_T9_mT8_S1C_bDpT10_ENKUlT_T0_E_clISt17integral_constantIbLb1EES1O_IbLb0EEEEDaS1K_S1L_EUlS1K_E_NS1_11comp_targetILNS1_3genE10ELNS1_11target_archE1200ELNS1_3gpuE4ELNS1_3repE0EEENS1_30default_config_static_selectorELNS0_4arch9wavefront6targetE0EEEvSY_ ; -- Begin function _ZN7rocprim17ROCPRIM_400000_NS6detail17trampoline_kernelINS0_13select_configILj256ELj13ELNS0_17block_load_methodE3ELS4_3ELS4_3ELNS0_20block_scan_algorithmE0ELj4294967295EEENS1_25partition_config_selectorILNS1_17partition_subalgoE3EjNS0_10empty_typeEbEEZZNS1_14partition_implILS8_3ELb0ES6_jNS0_17counting_iteratorIjlEEPS9_SE_NS0_5tupleIJPjSE_EEENSF_IJSE_SE_EEES9_SG_JZNS1_25segmented_radix_sort_implINS0_14default_configELb0EPKsPsPKlPlN2at6native12_GLOBAL__N_18offset_tEEE10hipError_tPvRmT1_PNSt15iterator_traitsISY_E10value_typeET2_T3_PNSZ_IS14_E10value_typeET4_jRbjT5_S1A_jjP12ihipStream_tbEUljE_EEESV_SW_SX_S14_S18_S1A_T6_T7_T9_mT8_S1C_bDpT10_ENKUlT_T0_E_clISt17integral_constantIbLb1EES1O_IbLb0EEEEDaS1K_S1L_EUlS1K_E_NS1_11comp_targetILNS1_3genE10ELNS1_11target_archE1200ELNS1_3gpuE4ELNS1_3repE0EEENS1_30default_config_static_selectorELNS0_4arch9wavefront6targetE0EEEvSY_
	.p2align	8
	.type	_ZN7rocprim17ROCPRIM_400000_NS6detail17trampoline_kernelINS0_13select_configILj256ELj13ELNS0_17block_load_methodE3ELS4_3ELS4_3ELNS0_20block_scan_algorithmE0ELj4294967295EEENS1_25partition_config_selectorILNS1_17partition_subalgoE3EjNS0_10empty_typeEbEEZZNS1_14partition_implILS8_3ELb0ES6_jNS0_17counting_iteratorIjlEEPS9_SE_NS0_5tupleIJPjSE_EEENSF_IJSE_SE_EEES9_SG_JZNS1_25segmented_radix_sort_implINS0_14default_configELb0EPKsPsPKlPlN2at6native12_GLOBAL__N_18offset_tEEE10hipError_tPvRmT1_PNSt15iterator_traitsISY_E10value_typeET2_T3_PNSZ_IS14_E10value_typeET4_jRbjT5_S1A_jjP12ihipStream_tbEUljE_EEESV_SW_SX_S14_S18_S1A_T6_T7_T9_mT8_S1C_bDpT10_ENKUlT_T0_E_clISt17integral_constantIbLb1EES1O_IbLb0EEEEDaS1K_S1L_EUlS1K_E_NS1_11comp_targetILNS1_3genE10ELNS1_11target_archE1200ELNS1_3gpuE4ELNS1_3repE0EEENS1_30default_config_static_selectorELNS0_4arch9wavefront6targetE0EEEvSY_,@function
_ZN7rocprim17ROCPRIM_400000_NS6detail17trampoline_kernelINS0_13select_configILj256ELj13ELNS0_17block_load_methodE3ELS4_3ELS4_3ELNS0_20block_scan_algorithmE0ELj4294967295EEENS1_25partition_config_selectorILNS1_17partition_subalgoE3EjNS0_10empty_typeEbEEZZNS1_14partition_implILS8_3ELb0ES6_jNS0_17counting_iteratorIjlEEPS9_SE_NS0_5tupleIJPjSE_EEENSF_IJSE_SE_EEES9_SG_JZNS1_25segmented_radix_sort_implINS0_14default_configELb0EPKsPsPKlPlN2at6native12_GLOBAL__N_18offset_tEEE10hipError_tPvRmT1_PNSt15iterator_traitsISY_E10value_typeET2_T3_PNSZ_IS14_E10value_typeET4_jRbjT5_S1A_jjP12ihipStream_tbEUljE_EEESV_SW_SX_S14_S18_S1A_T6_T7_T9_mT8_S1C_bDpT10_ENKUlT_T0_E_clISt17integral_constantIbLb1EES1O_IbLb0EEEEDaS1K_S1L_EUlS1K_E_NS1_11comp_targetILNS1_3genE10ELNS1_11target_archE1200ELNS1_3gpuE4ELNS1_3repE0EEENS1_30default_config_static_selectorELNS0_4arch9wavefront6targetE0EEEvSY_: ; @_ZN7rocprim17ROCPRIM_400000_NS6detail17trampoline_kernelINS0_13select_configILj256ELj13ELNS0_17block_load_methodE3ELS4_3ELS4_3ELNS0_20block_scan_algorithmE0ELj4294967295EEENS1_25partition_config_selectorILNS1_17partition_subalgoE3EjNS0_10empty_typeEbEEZZNS1_14partition_implILS8_3ELb0ES6_jNS0_17counting_iteratorIjlEEPS9_SE_NS0_5tupleIJPjSE_EEENSF_IJSE_SE_EEES9_SG_JZNS1_25segmented_radix_sort_implINS0_14default_configELb0EPKsPsPKlPlN2at6native12_GLOBAL__N_18offset_tEEE10hipError_tPvRmT1_PNSt15iterator_traitsISY_E10value_typeET2_T3_PNSZ_IS14_E10value_typeET4_jRbjT5_S1A_jjP12ihipStream_tbEUljE_EEESV_SW_SX_S14_S18_S1A_T6_T7_T9_mT8_S1C_bDpT10_ENKUlT_T0_E_clISt17integral_constantIbLb1EES1O_IbLb0EEEEDaS1K_S1L_EUlS1K_E_NS1_11comp_targetILNS1_3genE10ELNS1_11target_archE1200ELNS1_3gpuE4ELNS1_3repE0EEENS1_30default_config_static_selectorELNS0_4arch9wavefront6targetE0EEEvSY_
; %bb.0:
	.section	.rodata,"a",@progbits
	.p2align	6, 0x0
	.amdhsa_kernel _ZN7rocprim17ROCPRIM_400000_NS6detail17trampoline_kernelINS0_13select_configILj256ELj13ELNS0_17block_load_methodE3ELS4_3ELS4_3ELNS0_20block_scan_algorithmE0ELj4294967295EEENS1_25partition_config_selectorILNS1_17partition_subalgoE3EjNS0_10empty_typeEbEEZZNS1_14partition_implILS8_3ELb0ES6_jNS0_17counting_iteratorIjlEEPS9_SE_NS0_5tupleIJPjSE_EEENSF_IJSE_SE_EEES9_SG_JZNS1_25segmented_radix_sort_implINS0_14default_configELb0EPKsPsPKlPlN2at6native12_GLOBAL__N_18offset_tEEE10hipError_tPvRmT1_PNSt15iterator_traitsISY_E10value_typeET2_T3_PNSZ_IS14_E10value_typeET4_jRbjT5_S1A_jjP12ihipStream_tbEUljE_EEESV_SW_SX_S14_S18_S1A_T6_T7_T9_mT8_S1C_bDpT10_ENKUlT_T0_E_clISt17integral_constantIbLb1EES1O_IbLb0EEEEDaS1K_S1L_EUlS1K_E_NS1_11comp_targetILNS1_3genE10ELNS1_11target_archE1200ELNS1_3gpuE4ELNS1_3repE0EEENS1_30default_config_static_selectorELNS0_4arch9wavefront6targetE0EEEvSY_
		.amdhsa_group_segment_fixed_size 0
		.amdhsa_private_segment_fixed_size 0
		.amdhsa_kernarg_size 144
		.amdhsa_user_sgpr_count 2
		.amdhsa_user_sgpr_dispatch_ptr 0
		.amdhsa_user_sgpr_queue_ptr 0
		.amdhsa_user_sgpr_kernarg_segment_ptr 1
		.amdhsa_user_sgpr_dispatch_id 0
		.amdhsa_user_sgpr_kernarg_preload_length 0
		.amdhsa_user_sgpr_kernarg_preload_offset 0
		.amdhsa_user_sgpr_private_segment_size 0
		.amdhsa_wavefront_size32 1
		.amdhsa_uses_dynamic_stack 0
		.amdhsa_enable_private_segment 0
		.amdhsa_system_sgpr_workgroup_id_x 1
		.amdhsa_system_sgpr_workgroup_id_y 0
		.amdhsa_system_sgpr_workgroup_id_z 0
		.amdhsa_system_sgpr_workgroup_info 0
		.amdhsa_system_vgpr_workitem_id 0
		.amdhsa_next_free_vgpr 1
		.amdhsa_next_free_sgpr 1
		.amdhsa_named_barrier_count 0
		.amdhsa_reserve_vcc 0
		.amdhsa_float_round_mode_32 0
		.amdhsa_float_round_mode_16_64 0
		.amdhsa_float_denorm_mode_32 3
		.amdhsa_float_denorm_mode_16_64 3
		.amdhsa_fp16_overflow 0
		.amdhsa_memory_ordered 1
		.amdhsa_forward_progress 1
		.amdhsa_inst_pref_size 0
		.amdhsa_round_robin_scheduling 0
		.amdhsa_exception_fp_ieee_invalid_op 0
		.amdhsa_exception_fp_denorm_src 0
		.amdhsa_exception_fp_ieee_div_zero 0
		.amdhsa_exception_fp_ieee_overflow 0
		.amdhsa_exception_fp_ieee_underflow 0
		.amdhsa_exception_fp_ieee_inexact 0
		.amdhsa_exception_int_div_zero 0
	.end_amdhsa_kernel
	.section	.text._ZN7rocprim17ROCPRIM_400000_NS6detail17trampoline_kernelINS0_13select_configILj256ELj13ELNS0_17block_load_methodE3ELS4_3ELS4_3ELNS0_20block_scan_algorithmE0ELj4294967295EEENS1_25partition_config_selectorILNS1_17partition_subalgoE3EjNS0_10empty_typeEbEEZZNS1_14partition_implILS8_3ELb0ES6_jNS0_17counting_iteratorIjlEEPS9_SE_NS0_5tupleIJPjSE_EEENSF_IJSE_SE_EEES9_SG_JZNS1_25segmented_radix_sort_implINS0_14default_configELb0EPKsPsPKlPlN2at6native12_GLOBAL__N_18offset_tEEE10hipError_tPvRmT1_PNSt15iterator_traitsISY_E10value_typeET2_T3_PNSZ_IS14_E10value_typeET4_jRbjT5_S1A_jjP12ihipStream_tbEUljE_EEESV_SW_SX_S14_S18_S1A_T6_T7_T9_mT8_S1C_bDpT10_ENKUlT_T0_E_clISt17integral_constantIbLb1EES1O_IbLb0EEEEDaS1K_S1L_EUlS1K_E_NS1_11comp_targetILNS1_3genE10ELNS1_11target_archE1200ELNS1_3gpuE4ELNS1_3repE0EEENS1_30default_config_static_selectorELNS0_4arch9wavefront6targetE0EEEvSY_,"axG",@progbits,_ZN7rocprim17ROCPRIM_400000_NS6detail17trampoline_kernelINS0_13select_configILj256ELj13ELNS0_17block_load_methodE3ELS4_3ELS4_3ELNS0_20block_scan_algorithmE0ELj4294967295EEENS1_25partition_config_selectorILNS1_17partition_subalgoE3EjNS0_10empty_typeEbEEZZNS1_14partition_implILS8_3ELb0ES6_jNS0_17counting_iteratorIjlEEPS9_SE_NS0_5tupleIJPjSE_EEENSF_IJSE_SE_EEES9_SG_JZNS1_25segmented_radix_sort_implINS0_14default_configELb0EPKsPsPKlPlN2at6native12_GLOBAL__N_18offset_tEEE10hipError_tPvRmT1_PNSt15iterator_traitsISY_E10value_typeET2_T3_PNSZ_IS14_E10value_typeET4_jRbjT5_S1A_jjP12ihipStream_tbEUljE_EEESV_SW_SX_S14_S18_S1A_T6_T7_T9_mT8_S1C_bDpT10_ENKUlT_T0_E_clISt17integral_constantIbLb1EES1O_IbLb0EEEEDaS1K_S1L_EUlS1K_E_NS1_11comp_targetILNS1_3genE10ELNS1_11target_archE1200ELNS1_3gpuE4ELNS1_3repE0EEENS1_30default_config_static_selectorELNS0_4arch9wavefront6targetE0EEEvSY_,comdat
.Lfunc_end998:
	.size	_ZN7rocprim17ROCPRIM_400000_NS6detail17trampoline_kernelINS0_13select_configILj256ELj13ELNS0_17block_load_methodE3ELS4_3ELS4_3ELNS0_20block_scan_algorithmE0ELj4294967295EEENS1_25partition_config_selectorILNS1_17partition_subalgoE3EjNS0_10empty_typeEbEEZZNS1_14partition_implILS8_3ELb0ES6_jNS0_17counting_iteratorIjlEEPS9_SE_NS0_5tupleIJPjSE_EEENSF_IJSE_SE_EEES9_SG_JZNS1_25segmented_radix_sort_implINS0_14default_configELb0EPKsPsPKlPlN2at6native12_GLOBAL__N_18offset_tEEE10hipError_tPvRmT1_PNSt15iterator_traitsISY_E10value_typeET2_T3_PNSZ_IS14_E10value_typeET4_jRbjT5_S1A_jjP12ihipStream_tbEUljE_EEESV_SW_SX_S14_S18_S1A_T6_T7_T9_mT8_S1C_bDpT10_ENKUlT_T0_E_clISt17integral_constantIbLb1EES1O_IbLb0EEEEDaS1K_S1L_EUlS1K_E_NS1_11comp_targetILNS1_3genE10ELNS1_11target_archE1200ELNS1_3gpuE4ELNS1_3repE0EEENS1_30default_config_static_selectorELNS0_4arch9wavefront6targetE0EEEvSY_, .Lfunc_end998-_ZN7rocprim17ROCPRIM_400000_NS6detail17trampoline_kernelINS0_13select_configILj256ELj13ELNS0_17block_load_methodE3ELS4_3ELS4_3ELNS0_20block_scan_algorithmE0ELj4294967295EEENS1_25partition_config_selectorILNS1_17partition_subalgoE3EjNS0_10empty_typeEbEEZZNS1_14partition_implILS8_3ELb0ES6_jNS0_17counting_iteratorIjlEEPS9_SE_NS0_5tupleIJPjSE_EEENSF_IJSE_SE_EEES9_SG_JZNS1_25segmented_radix_sort_implINS0_14default_configELb0EPKsPsPKlPlN2at6native12_GLOBAL__N_18offset_tEEE10hipError_tPvRmT1_PNSt15iterator_traitsISY_E10value_typeET2_T3_PNSZ_IS14_E10value_typeET4_jRbjT5_S1A_jjP12ihipStream_tbEUljE_EEESV_SW_SX_S14_S18_S1A_T6_T7_T9_mT8_S1C_bDpT10_ENKUlT_T0_E_clISt17integral_constantIbLb1EES1O_IbLb0EEEEDaS1K_S1L_EUlS1K_E_NS1_11comp_targetILNS1_3genE10ELNS1_11target_archE1200ELNS1_3gpuE4ELNS1_3repE0EEENS1_30default_config_static_selectorELNS0_4arch9wavefront6targetE0EEEvSY_
                                        ; -- End function
	.set _ZN7rocprim17ROCPRIM_400000_NS6detail17trampoline_kernelINS0_13select_configILj256ELj13ELNS0_17block_load_methodE3ELS4_3ELS4_3ELNS0_20block_scan_algorithmE0ELj4294967295EEENS1_25partition_config_selectorILNS1_17partition_subalgoE3EjNS0_10empty_typeEbEEZZNS1_14partition_implILS8_3ELb0ES6_jNS0_17counting_iteratorIjlEEPS9_SE_NS0_5tupleIJPjSE_EEENSF_IJSE_SE_EEES9_SG_JZNS1_25segmented_radix_sort_implINS0_14default_configELb0EPKsPsPKlPlN2at6native12_GLOBAL__N_18offset_tEEE10hipError_tPvRmT1_PNSt15iterator_traitsISY_E10value_typeET2_T3_PNSZ_IS14_E10value_typeET4_jRbjT5_S1A_jjP12ihipStream_tbEUljE_EEESV_SW_SX_S14_S18_S1A_T6_T7_T9_mT8_S1C_bDpT10_ENKUlT_T0_E_clISt17integral_constantIbLb1EES1O_IbLb0EEEEDaS1K_S1L_EUlS1K_E_NS1_11comp_targetILNS1_3genE10ELNS1_11target_archE1200ELNS1_3gpuE4ELNS1_3repE0EEENS1_30default_config_static_selectorELNS0_4arch9wavefront6targetE0EEEvSY_.num_vgpr, 0
	.set _ZN7rocprim17ROCPRIM_400000_NS6detail17trampoline_kernelINS0_13select_configILj256ELj13ELNS0_17block_load_methodE3ELS4_3ELS4_3ELNS0_20block_scan_algorithmE0ELj4294967295EEENS1_25partition_config_selectorILNS1_17partition_subalgoE3EjNS0_10empty_typeEbEEZZNS1_14partition_implILS8_3ELb0ES6_jNS0_17counting_iteratorIjlEEPS9_SE_NS0_5tupleIJPjSE_EEENSF_IJSE_SE_EEES9_SG_JZNS1_25segmented_radix_sort_implINS0_14default_configELb0EPKsPsPKlPlN2at6native12_GLOBAL__N_18offset_tEEE10hipError_tPvRmT1_PNSt15iterator_traitsISY_E10value_typeET2_T3_PNSZ_IS14_E10value_typeET4_jRbjT5_S1A_jjP12ihipStream_tbEUljE_EEESV_SW_SX_S14_S18_S1A_T6_T7_T9_mT8_S1C_bDpT10_ENKUlT_T0_E_clISt17integral_constantIbLb1EES1O_IbLb0EEEEDaS1K_S1L_EUlS1K_E_NS1_11comp_targetILNS1_3genE10ELNS1_11target_archE1200ELNS1_3gpuE4ELNS1_3repE0EEENS1_30default_config_static_selectorELNS0_4arch9wavefront6targetE0EEEvSY_.num_agpr, 0
	.set _ZN7rocprim17ROCPRIM_400000_NS6detail17trampoline_kernelINS0_13select_configILj256ELj13ELNS0_17block_load_methodE3ELS4_3ELS4_3ELNS0_20block_scan_algorithmE0ELj4294967295EEENS1_25partition_config_selectorILNS1_17partition_subalgoE3EjNS0_10empty_typeEbEEZZNS1_14partition_implILS8_3ELb0ES6_jNS0_17counting_iteratorIjlEEPS9_SE_NS0_5tupleIJPjSE_EEENSF_IJSE_SE_EEES9_SG_JZNS1_25segmented_radix_sort_implINS0_14default_configELb0EPKsPsPKlPlN2at6native12_GLOBAL__N_18offset_tEEE10hipError_tPvRmT1_PNSt15iterator_traitsISY_E10value_typeET2_T3_PNSZ_IS14_E10value_typeET4_jRbjT5_S1A_jjP12ihipStream_tbEUljE_EEESV_SW_SX_S14_S18_S1A_T6_T7_T9_mT8_S1C_bDpT10_ENKUlT_T0_E_clISt17integral_constantIbLb1EES1O_IbLb0EEEEDaS1K_S1L_EUlS1K_E_NS1_11comp_targetILNS1_3genE10ELNS1_11target_archE1200ELNS1_3gpuE4ELNS1_3repE0EEENS1_30default_config_static_selectorELNS0_4arch9wavefront6targetE0EEEvSY_.numbered_sgpr, 0
	.set _ZN7rocprim17ROCPRIM_400000_NS6detail17trampoline_kernelINS0_13select_configILj256ELj13ELNS0_17block_load_methodE3ELS4_3ELS4_3ELNS0_20block_scan_algorithmE0ELj4294967295EEENS1_25partition_config_selectorILNS1_17partition_subalgoE3EjNS0_10empty_typeEbEEZZNS1_14partition_implILS8_3ELb0ES6_jNS0_17counting_iteratorIjlEEPS9_SE_NS0_5tupleIJPjSE_EEENSF_IJSE_SE_EEES9_SG_JZNS1_25segmented_radix_sort_implINS0_14default_configELb0EPKsPsPKlPlN2at6native12_GLOBAL__N_18offset_tEEE10hipError_tPvRmT1_PNSt15iterator_traitsISY_E10value_typeET2_T3_PNSZ_IS14_E10value_typeET4_jRbjT5_S1A_jjP12ihipStream_tbEUljE_EEESV_SW_SX_S14_S18_S1A_T6_T7_T9_mT8_S1C_bDpT10_ENKUlT_T0_E_clISt17integral_constantIbLb1EES1O_IbLb0EEEEDaS1K_S1L_EUlS1K_E_NS1_11comp_targetILNS1_3genE10ELNS1_11target_archE1200ELNS1_3gpuE4ELNS1_3repE0EEENS1_30default_config_static_selectorELNS0_4arch9wavefront6targetE0EEEvSY_.num_named_barrier, 0
	.set _ZN7rocprim17ROCPRIM_400000_NS6detail17trampoline_kernelINS0_13select_configILj256ELj13ELNS0_17block_load_methodE3ELS4_3ELS4_3ELNS0_20block_scan_algorithmE0ELj4294967295EEENS1_25partition_config_selectorILNS1_17partition_subalgoE3EjNS0_10empty_typeEbEEZZNS1_14partition_implILS8_3ELb0ES6_jNS0_17counting_iteratorIjlEEPS9_SE_NS0_5tupleIJPjSE_EEENSF_IJSE_SE_EEES9_SG_JZNS1_25segmented_radix_sort_implINS0_14default_configELb0EPKsPsPKlPlN2at6native12_GLOBAL__N_18offset_tEEE10hipError_tPvRmT1_PNSt15iterator_traitsISY_E10value_typeET2_T3_PNSZ_IS14_E10value_typeET4_jRbjT5_S1A_jjP12ihipStream_tbEUljE_EEESV_SW_SX_S14_S18_S1A_T6_T7_T9_mT8_S1C_bDpT10_ENKUlT_T0_E_clISt17integral_constantIbLb1EES1O_IbLb0EEEEDaS1K_S1L_EUlS1K_E_NS1_11comp_targetILNS1_3genE10ELNS1_11target_archE1200ELNS1_3gpuE4ELNS1_3repE0EEENS1_30default_config_static_selectorELNS0_4arch9wavefront6targetE0EEEvSY_.private_seg_size, 0
	.set _ZN7rocprim17ROCPRIM_400000_NS6detail17trampoline_kernelINS0_13select_configILj256ELj13ELNS0_17block_load_methodE3ELS4_3ELS4_3ELNS0_20block_scan_algorithmE0ELj4294967295EEENS1_25partition_config_selectorILNS1_17partition_subalgoE3EjNS0_10empty_typeEbEEZZNS1_14partition_implILS8_3ELb0ES6_jNS0_17counting_iteratorIjlEEPS9_SE_NS0_5tupleIJPjSE_EEENSF_IJSE_SE_EEES9_SG_JZNS1_25segmented_radix_sort_implINS0_14default_configELb0EPKsPsPKlPlN2at6native12_GLOBAL__N_18offset_tEEE10hipError_tPvRmT1_PNSt15iterator_traitsISY_E10value_typeET2_T3_PNSZ_IS14_E10value_typeET4_jRbjT5_S1A_jjP12ihipStream_tbEUljE_EEESV_SW_SX_S14_S18_S1A_T6_T7_T9_mT8_S1C_bDpT10_ENKUlT_T0_E_clISt17integral_constantIbLb1EES1O_IbLb0EEEEDaS1K_S1L_EUlS1K_E_NS1_11comp_targetILNS1_3genE10ELNS1_11target_archE1200ELNS1_3gpuE4ELNS1_3repE0EEENS1_30default_config_static_selectorELNS0_4arch9wavefront6targetE0EEEvSY_.uses_vcc, 0
	.set _ZN7rocprim17ROCPRIM_400000_NS6detail17trampoline_kernelINS0_13select_configILj256ELj13ELNS0_17block_load_methodE3ELS4_3ELS4_3ELNS0_20block_scan_algorithmE0ELj4294967295EEENS1_25partition_config_selectorILNS1_17partition_subalgoE3EjNS0_10empty_typeEbEEZZNS1_14partition_implILS8_3ELb0ES6_jNS0_17counting_iteratorIjlEEPS9_SE_NS0_5tupleIJPjSE_EEENSF_IJSE_SE_EEES9_SG_JZNS1_25segmented_radix_sort_implINS0_14default_configELb0EPKsPsPKlPlN2at6native12_GLOBAL__N_18offset_tEEE10hipError_tPvRmT1_PNSt15iterator_traitsISY_E10value_typeET2_T3_PNSZ_IS14_E10value_typeET4_jRbjT5_S1A_jjP12ihipStream_tbEUljE_EEESV_SW_SX_S14_S18_S1A_T6_T7_T9_mT8_S1C_bDpT10_ENKUlT_T0_E_clISt17integral_constantIbLb1EES1O_IbLb0EEEEDaS1K_S1L_EUlS1K_E_NS1_11comp_targetILNS1_3genE10ELNS1_11target_archE1200ELNS1_3gpuE4ELNS1_3repE0EEENS1_30default_config_static_selectorELNS0_4arch9wavefront6targetE0EEEvSY_.uses_flat_scratch, 0
	.set _ZN7rocprim17ROCPRIM_400000_NS6detail17trampoline_kernelINS0_13select_configILj256ELj13ELNS0_17block_load_methodE3ELS4_3ELS4_3ELNS0_20block_scan_algorithmE0ELj4294967295EEENS1_25partition_config_selectorILNS1_17partition_subalgoE3EjNS0_10empty_typeEbEEZZNS1_14partition_implILS8_3ELb0ES6_jNS0_17counting_iteratorIjlEEPS9_SE_NS0_5tupleIJPjSE_EEENSF_IJSE_SE_EEES9_SG_JZNS1_25segmented_radix_sort_implINS0_14default_configELb0EPKsPsPKlPlN2at6native12_GLOBAL__N_18offset_tEEE10hipError_tPvRmT1_PNSt15iterator_traitsISY_E10value_typeET2_T3_PNSZ_IS14_E10value_typeET4_jRbjT5_S1A_jjP12ihipStream_tbEUljE_EEESV_SW_SX_S14_S18_S1A_T6_T7_T9_mT8_S1C_bDpT10_ENKUlT_T0_E_clISt17integral_constantIbLb1EES1O_IbLb0EEEEDaS1K_S1L_EUlS1K_E_NS1_11comp_targetILNS1_3genE10ELNS1_11target_archE1200ELNS1_3gpuE4ELNS1_3repE0EEENS1_30default_config_static_selectorELNS0_4arch9wavefront6targetE0EEEvSY_.has_dyn_sized_stack, 0
	.set _ZN7rocprim17ROCPRIM_400000_NS6detail17trampoline_kernelINS0_13select_configILj256ELj13ELNS0_17block_load_methodE3ELS4_3ELS4_3ELNS0_20block_scan_algorithmE0ELj4294967295EEENS1_25partition_config_selectorILNS1_17partition_subalgoE3EjNS0_10empty_typeEbEEZZNS1_14partition_implILS8_3ELb0ES6_jNS0_17counting_iteratorIjlEEPS9_SE_NS0_5tupleIJPjSE_EEENSF_IJSE_SE_EEES9_SG_JZNS1_25segmented_radix_sort_implINS0_14default_configELb0EPKsPsPKlPlN2at6native12_GLOBAL__N_18offset_tEEE10hipError_tPvRmT1_PNSt15iterator_traitsISY_E10value_typeET2_T3_PNSZ_IS14_E10value_typeET4_jRbjT5_S1A_jjP12ihipStream_tbEUljE_EEESV_SW_SX_S14_S18_S1A_T6_T7_T9_mT8_S1C_bDpT10_ENKUlT_T0_E_clISt17integral_constantIbLb1EES1O_IbLb0EEEEDaS1K_S1L_EUlS1K_E_NS1_11comp_targetILNS1_3genE10ELNS1_11target_archE1200ELNS1_3gpuE4ELNS1_3repE0EEENS1_30default_config_static_selectorELNS0_4arch9wavefront6targetE0EEEvSY_.has_recursion, 0
	.set _ZN7rocprim17ROCPRIM_400000_NS6detail17trampoline_kernelINS0_13select_configILj256ELj13ELNS0_17block_load_methodE3ELS4_3ELS4_3ELNS0_20block_scan_algorithmE0ELj4294967295EEENS1_25partition_config_selectorILNS1_17partition_subalgoE3EjNS0_10empty_typeEbEEZZNS1_14partition_implILS8_3ELb0ES6_jNS0_17counting_iteratorIjlEEPS9_SE_NS0_5tupleIJPjSE_EEENSF_IJSE_SE_EEES9_SG_JZNS1_25segmented_radix_sort_implINS0_14default_configELb0EPKsPsPKlPlN2at6native12_GLOBAL__N_18offset_tEEE10hipError_tPvRmT1_PNSt15iterator_traitsISY_E10value_typeET2_T3_PNSZ_IS14_E10value_typeET4_jRbjT5_S1A_jjP12ihipStream_tbEUljE_EEESV_SW_SX_S14_S18_S1A_T6_T7_T9_mT8_S1C_bDpT10_ENKUlT_T0_E_clISt17integral_constantIbLb1EES1O_IbLb0EEEEDaS1K_S1L_EUlS1K_E_NS1_11comp_targetILNS1_3genE10ELNS1_11target_archE1200ELNS1_3gpuE4ELNS1_3repE0EEENS1_30default_config_static_selectorELNS0_4arch9wavefront6targetE0EEEvSY_.has_indirect_call, 0
	.section	.AMDGPU.csdata,"",@progbits
; Kernel info:
; codeLenInByte = 0
; TotalNumSgprs: 0
; NumVgprs: 0
; ScratchSize: 0
; MemoryBound: 0
; FloatMode: 240
; IeeeMode: 1
; LDSByteSize: 0 bytes/workgroup (compile time only)
; SGPRBlocks: 0
; VGPRBlocks: 0
; NumSGPRsForWavesPerEU: 1
; NumVGPRsForWavesPerEU: 1
; NamedBarCnt: 0
; Occupancy: 16
; WaveLimiterHint : 0
; COMPUTE_PGM_RSRC2:SCRATCH_EN: 0
; COMPUTE_PGM_RSRC2:USER_SGPR: 2
; COMPUTE_PGM_RSRC2:TRAP_HANDLER: 0
; COMPUTE_PGM_RSRC2:TGID_X_EN: 1
; COMPUTE_PGM_RSRC2:TGID_Y_EN: 0
; COMPUTE_PGM_RSRC2:TGID_Z_EN: 0
; COMPUTE_PGM_RSRC2:TIDIG_COMP_CNT: 0
	.section	.text._ZN7rocprim17ROCPRIM_400000_NS6detail17trampoline_kernelINS0_13select_configILj256ELj13ELNS0_17block_load_methodE3ELS4_3ELS4_3ELNS0_20block_scan_algorithmE0ELj4294967295EEENS1_25partition_config_selectorILNS1_17partition_subalgoE3EjNS0_10empty_typeEbEEZZNS1_14partition_implILS8_3ELb0ES6_jNS0_17counting_iteratorIjlEEPS9_SE_NS0_5tupleIJPjSE_EEENSF_IJSE_SE_EEES9_SG_JZNS1_25segmented_radix_sort_implINS0_14default_configELb0EPKsPsPKlPlN2at6native12_GLOBAL__N_18offset_tEEE10hipError_tPvRmT1_PNSt15iterator_traitsISY_E10value_typeET2_T3_PNSZ_IS14_E10value_typeET4_jRbjT5_S1A_jjP12ihipStream_tbEUljE_EEESV_SW_SX_S14_S18_S1A_T6_T7_T9_mT8_S1C_bDpT10_ENKUlT_T0_E_clISt17integral_constantIbLb1EES1O_IbLb0EEEEDaS1K_S1L_EUlS1K_E_NS1_11comp_targetILNS1_3genE9ELNS1_11target_archE1100ELNS1_3gpuE3ELNS1_3repE0EEENS1_30default_config_static_selectorELNS0_4arch9wavefront6targetE0EEEvSY_,"axG",@progbits,_ZN7rocprim17ROCPRIM_400000_NS6detail17trampoline_kernelINS0_13select_configILj256ELj13ELNS0_17block_load_methodE3ELS4_3ELS4_3ELNS0_20block_scan_algorithmE0ELj4294967295EEENS1_25partition_config_selectorILNS1_17partition_subalgoE3EjNS0_10empty_typeEbEEZZNS1_14partition_implILS8_3ELb0ES6_jNS0_17counting_iteratorIjlEEPS9_SE_NS0_5tupleIJPjSE_EEENSF_IJSE_SE_EEES9_SG_JZNS1_25segmented_radix_sort_implINS0_14default_configELb0EPKsPsPKlPlN2at6native12_GLOBAL__N_18offset_tEEE10hipError_tPvRmT1_PNSt15iterator_traitsISY_E10value_typeET2_T3_PNSZ_IS14_E10value_typeET4_jRbjT5_S1A_jjP12ihipStream_tbEUljE_EEESV_SW_SX_S14_S18_S1A_T6_T7_T9_mT8_S1C_bDpT10_ENKUlT_T0_E_clISt17integral_constantIbLb1EES1O_IbLb0EEEEDaS1K_S1L_EUlS1K_E_NS1_11comp_targetILNS1_3genE9ELNS1_11target_archE1100ELNS1_3gpuE3ELNS1_3repE0EEENS1_30default_config_static_selectorELNS0_4arch9wavefront6targetE0EEEvSY_,comdat
	.globl	_ZN7rocprim17ROCPRIM_400000_NS6detail17trampoline_kernelINS0_13select_configILj256ELj13ELNS0_17block_load_methodE3ELS4_3ELS4_3ELNS0_20block_scan_algorithmE0ELj4294967295EEENS1_25partition_config_selectorILNS1_17partition_subalgoE3EjNS0_10empty_typeEbEEZZNS1_14partition_implILS8_3ELb0ES6_jNS0_17counting_iteratorIjlEEPS9_SE_NS0_5tupleIJPjSE_EEENSF_IJSE_SE_EEES9_SG_JZNS1_25segmented_radix_sort_implINS0_14default_configELb0EPKsPsPKlPlN2at6native12_GLOBAL__N_18offset_tEEE10hipError_tPvRmT1_PNSt15iterator_traitsISY_E10value_typeET2_T3_PNSZ_IS14_E10value_typeET4_jRbjT5_S1A_jjP12ihipStream_tbEUljE_EEESV_SW_SX_S14_S18_S1A_T6_T7_T9_mT8_S1C_bDpT10_ENKUlT_T0_E_clISt17integral_constantIbLb1EES1O_IbLb0EEEEDaS1K_S1L_EUlS1K_E_NS1_11comp_targetILNS1_3genE9ELNS1_11target_archE1100ELNS1_3gpuE3ELNS1_3repE0EEENS1_30default_config_static_selectorELNS0_4arch9wavefront6targetE0EEEvSY_ ; -- Begin function _ZN7rocprim17ROCPRIM_400000_NS6detail17trampoline_kernelINS0_13select_configILj256ELj13ELNS0_17block_load_methodE3ELS4_3ELS4_3ELNS0_20block_scan_algorithmE0ELj4294967295EEENS1_25partition_config_selectorILNS1_17partition_subalgoE3EjNS0_10empty_typeEbEEZZNS1_14partition_implILS8_3ELb0ES6_jNS0_17counting_iteratorIjlEEPS9_SE_NS0_5tupleIJPjSE_EEENSF_IJSE_SE_EEES9_SG_JZNS1_25segmented_radix_sort_implINS0_14default_configELb0EPKsPsPKlPlN2at6native12_GLOBAL__N_18offset_tEEE10hipError_tPvRmT1_PNSt15iterator_traitsISY_E10value_typeET2_T3_PNSZ_IS14_E10value_typeET4_jRbjT5_S1A_jjP12ihipStream_tbEUljE_EEESV_SW_SX_S14_S18_S1A_T6_T7_T9_mT8_S1C_bDpT10_ENKUlT_T0_E_clISt17integral_constantIbLb1EES1O_IbLb0EEEEDaS1K_S1L_EUlS1K_E_NS1_11comp_targetILNS1_3genE9ELNS1_11target_archE1100ELNS1_3gpuE3ELNS1_3repE0EEENS1_30default_config_static_selectorELNS0_4arch9wavefront6targetE0EEEvSY_
	.p2align	8
	.type	_ZN7rocprim17ROCPRIM_400000_NS6detail17trampoline_kernelINS0_13select_configILj256ELj13ELNS0_17block_load_methodE3ELS4_3ELS4_3ELNS0_20block_scan_algorithmE0ELj4294967295EEENS1_25partition_config_selectorILNS1_17partition_subalgoE3EjNS0_10empty_typeEbEEZZNS1_14partition_implILS8_3ELb0ES6_jNS0_17counting_iteratorIjlEEPS9_SE_NS0_5tupleIJPjSE_EEENSF_IJSE_SE_EEES9_SG_JZNS1_25segmented_radix_sort_implINS0_14default_configELb0EPKsPsPKlPlN2at6native12_GLOBAL__N_18offset_tEEE10hipError_tPvRmT1_PNSt15iterator_traitsISY_E10value_typeET2_T3_PNSZ_IS14_E10value_typeET4_jRbjT5_S1A_jjP12ihipStream_tbEUljE_EEESV_SW_SX_S14_S18_S1A_T6_T7_T9_mT8_S1C_bDpT10_ENKUlT_T0_E_clISt17integral_constantIbLb1EES1O_IbLb0EEEEDaS1K_S1L_EUlS1K_E_NS1_11comp_targetILNS1_3genE9ELNS1_11target_archE1100ELNS1_3gpuE3ELNS1_3repE0EEENS1_30default_config_static_selectorELNS0_4arch9wavefront6targetE0EEEvSY_,@function
_ZN7rocprim17ROCPRIM_400000_NS6detail17trampoline_kernelINS0_13select_configILj256ELj13ELNS0_17block_load_methodE3ELS4_3ELS4_3ELNS0_20block_scan_algorithmE0ELj4294967295EEENS1_25partition_config_selectorILNS1_17partition_subalgoE3EjNS0_10empty_typeEbEEZZNS1_14partition_implILS8_3ELb0ES6_jNS0_17counting_iteratorIjlEEPS9_SE_NS0_5tupleIJPjSE_EEENSF_IJSE_SE_EEES9_SG_JZNS1_25segmented_radix_sort_implINS0_14default_configELb0EPKsPsPKlPlN2at6native12_GLOBAL__N_18offset_tEEE10hipError_tPvRmT1_PNSt15iterator_traitsISY_E10value_typeET2_T3_PNSZ_IS14_E10value_typeET4_jRbjT5_S1A_jjP12ihipStream_tbEUljE_EEESV_SW_SX_S14_S18_S1A_T6_T7_T9_mT8_S1C_bDpT10_ENKUlT_T0_E_clISt17integral_constantIbLb1EES1O_IbLb0EEEEDaS1K_S1L_EUlS1K_E_NS1_11comp_targetILNS1_3genE9ELNS1_11target_archE1100ELNS1_3gpuE3ELNS1_3repE0EEENS1_30default_config_static_selectorELNS0_4arch9wavefront6targetE0EEEvSY_: ; @_ZN7rocprim17ROCPRIM_400000_NS6detail17trampoline_kernelINS0_13select_configILj256ELj13ELNS0_17block_load_methodE3ELS4_3ELS4_3ELNS0_20block_scan_algorithmE0ELj4294967295EEENS1_25partition_config_selectorILNS1_17partition_subalgoE3EjNS0_10empty_typeEbEEZZNS1_14partition_implILS8_3ELb0ES6_jNS0_17counting_iteratorIjlEEPS9_SE_NS0_5tupleIJPjSE_EEENSF_IJSE_SE_EEES9_SG_JZNS1_25segmented_radix_sort_implINS0_14default_configELb0EPKsPsPKlPlN2at6native12_GLOBAL__N_18offset_tEEE10hipError_tPvRmT1_PNSt15iterator_traitsISY_E10value_typeET2_T3_PNSZ_IS14_E10value_typeET4_jRbjT5_S1A_jjP12ihipStream_tbEUljE_EEESV_SW_SX_S14_S18_S1A_T6_T7_T9_mT8_S1C_bDpT10_ENKUlT_T0_E_clISt17integral_constantIbLb1EES1O_IbLb0EEEEDaS1K_S1L_EUlS1K_E_NS1_11comp_targetILNS1_3genE9ELNS1_11target_archE1100ELNS1_3gpuE3ELNS1_3repE0EEENS1_30default_config_static_selectorELNS0_4arch9wavefront6targetE0EEEvSY_
; %bb.0:
	.section	.rodata,"a",@progbits
	.p2align	6, 0x0
	.amdhsa_kernel _ZN7rocprim17ROCPRIM_400000_NS6detail17trampoline_kernelINS0_13select_configILj256ELj13ELNS0_17block_load_methodE3ELS4_3ELS4_3ELNS0_20block_scan_algorithmE0ELj4294967295EEENS1_25partition_config_selectorILNS1_17partition_subalgoE3EjNS0_10empty_typeEbEEZZNS1_14partition_implILS8_3ELb0ES6_jNS0_17counting_iteratorIjlEEPS9_SE_NS0_5tupleIJPjSE_EEENSF_IJSE_SE_EEES9_SG_JZNS1_25segmented_radix_sort_implINS0_14default_configELb0EPKsPsPKlPlN2at6native12_GLOBAL__N_18offset_tEEE10hipError_tPvRmT1_PNSt15iterator_traitsISY_E10value_typeET2_T3_PNSZ_IS14_E10value_typeET4_jRbjT5_S1A_jjP12ihipStream_tbEUljE_EEESV_SW_SX_S14_S18_S1A_T6_T7_T9_mT8_S1C_bDpT10_ENKUlT_T0_E_clISt17integral_constantIbLb1EES1O_IbLb0EEEEDaS1K_S1L_EUlS1K_E_NS1_11comp_targetILNS1_3genE9ELNS1_11target_archE1100ELNS1_3gpuE3ELNS1_3repE0EEENS1_30default_config_static_selectorELNS0_4arch9wavefront6targetE0EEEvSY_
		.amdhsa_group_segment_fixed_size 0
		.amdhsa_private_segment_fixed_size 0
		.amdhsa_kernarg_size 144
		.amdhsa_user_sgpr_count 2
		.amdhsa_user_sgpr_dispatch_ptr 0
		.amdhsa_user_sgpr_queue_ptr 0
		.amdhsa_user_sgpr_kernarg_segment_ptr 1
		.amdhsa_user_sgpr_dispatch_id 0
		.amdhsa_user_sgpr_kernarg_preload_length 0
		.amdhsa_user_sgpr_kernarg_preload_offset 0
		.amdhsa_user_sgpr_private_segment_size 0
		.amdhsa_wavefront_size32 1
		.amdhsa_uses_dynamic_stack 0
		.amdhsa_enable_private_segment 0
		.amdhsa_system_sgpr_workgroup_id_x 1
		.amdhsa_system_sgpr_workgroup_id_y 0
		.amdhsa_system_sgpr_workgroup_id_z 0
		.amdhsa_system_sgpr_workgroup_info 0
		.amdhsa_system_vgpr_workitem_id 0
		.amdhsa_next_free_vgpr 1
		.amdhsa_next_free_sgpr 1
		.amdhsa_named_barrier_count 0
		.amdhsa_reserve_vcc 0
		.amdhsa_float_round_mode_32 0
		.amdhsa_float_round_mode_16_64 0
		.amdhsa_float_denorm_mode_32 3
		.amdhsa_float_denorm_mode_16_64 3
		.amdhsa_fp16_overflow 0
		.amdhsa_memory_ordered 1
		.amdhsa_forward_progress 1
		.amdhsa_inst_pref_size 0
		.amdhsa_round_robin_scheduling 0
		.amdhsa_exception_fp_ieee_invalid_op 0
		.amdhsa_exception_fp_denorm_src 0
		.amdhsa_exception_fp_ieee_div_zero 0
		.amdhsa_exception_fp_ieee_overflow 0
		.amdhsa_exception_fp_ieee_underflow 0
		.amdhsa_exception_fp_ieee_inexact 0
		.amdhsa_exception_int_div_zero 0
	.end_amdhsa_kernel
	.section	.text._ZN7rocprim17ROCPRIM_400000_NS6detail17trampoline_kernelINS0_13select_configILj256ELj13ELNS0_17block_load_methodE3ELS4_3ELS4_3ELNS0_20block_scan_algorithmE0ELj4294967295EEENS1_25partition_config_selectorILNS1_17partition_subalgoE3EjNS0_10empty_typeEbEEZZNS1_14partition_implILS8_3ELb0ES6_jNS0_17counting_iteratorIjlEEPS9_SE_NS0_5tupleIJPjSE_EEENSF_IJSE_SE_EEES9_SG_JZNS1_25segmented_radix_sort_implINS0_14default_configELb0EPKsPsPKlPlN2at6native12_GLOBAL__N_18offset_tEEE10hipError_tPvRmT1_PNSt15iterator_traitsISY_E10value_typeET2_T3_PNSZ_IS14_E10value_typeET4_jRbjT5_S1A_jjP12ihipStream_tbEUljE_EEESV_SW_SX_S14_S18_S1A_T6_T7_T9_mT8_S1C_bDpT10_ENKUlT_T0_E_clISt17integral_constantIbLb1EES1O_IbLb0EEEEDaS1K_S1L_EUlS1K_E_NS1_11comp_targetILNS1_3genE9ELNS1_11target_archE1100ELNS1_3gpuE3ELNS1_3repE0EEENS1_30default_config_static_selectorELNS0_4arch9wavefront6targetE0EEEvSY_,"axG",@progbits,_ZN7rocprim17ROCPRIM_400000_NS6detail17trampoline_kernelINS0_13select_configILj256ELj13ELNS0_17block_load_methodE3ELS4_3ELS4_3ELNS0_20block_scan_algorithmE0ELj4294967295EEENS1_25partition_config_selectorILNS1_17partition_subalgoE3EjNS0_10empty_typeEbEEZZNS1_14partition_implILS8_3ELb0ES6_jNS0_17counting_iteratorIjlEEPS9_SE_NS0_5tupleIJPjSE_EEENSF_IJSE_SE_EEES9_SG_JZNS1_25segmented_radix_sort_implINS0_14default_configELb0EPKsPsPKlPlN2at6native12_GLOBAL__N_18offset_tEEE10hipError_tPvRmT1_PNSt15iterator_traitsISY_E10value_typeET2_T3_PNSZ_IS14_E10value_typeET4_jRbjT5_S1A_jjP12ihipStream_tbEUljE_EEESV_SW_SX_S14_S18_S1A_T6_T7_T9_mT8_S1C_bDpT10_ENKUlT_T0_E_clISt17integral_constantIbLb1EES1O_IbLb0EEEEDaS1K_S1L_EUlS1K_E_NS1_11comp_targetILNS1_3genE9ELNS1_11target_archE1100ELNS1_3gpuE3ELNS1_3repE0EEENS1_30default_config_static_selectorELNS0_4arch9wavefront6targetE0EEEvSY_,comdat
.Lfunc_end999:
	.size	_ZN7rocprim17ROCPRIM_400000_NS6detail17trampoline_kernelINS0_13select_configILj256ELj13ELNS0_17block_load_methodE3ELS4_3ELS4_3ELNS0_20block_scan_algorithmE0ELj4294967295EEENS1_25partition_config_selectorILNS1_17partition_subalgoE3EjNS0_10empty_typeEbEEZZNS1_14partition_implILS8_3ELb0ES6_jNS0_17counting_iteratorIjlEEPS9_SE_NS0_5tupleIJPjSE_EEENSF_IJSE_SE_EEES9_SG_JZNS1_25segmented_radix_sort_implINS0_14default_configELb0EPKsPsPKlPlN2at6native12_GLOBAL__N_18offset_tEEE10hipError_tPvRmT1_PNSt15iterator_traitsISY_E10value_typeET2_T3_PNSZ_IS14_E10value_typeET4_jRbjT5_S1A_jjP12ihipStream_tbEUljE_EEESV_SW_SX_S14_S18_S1A_T6_T7_T9_mT8_S1C_bDpT10_ENKUlT_T0_E_clISt17integral_constantIbLb1EES1O_IbLb0EEEEDaS1K_S1L_EUlS1K_E_NS1_11comp_targetILNS1_3genE9ELNS1_11target_archE1100ELNS1_3gpuE3ELNS1_3repE0EEENS1_30default_config_static_selectorELNS0_4arch9wavefront6targetE0EEEvSY_, .Lfunc_end999-_ZN7rocprim17ROCPRIM_400000_NS6detail17trampoline_kernelINS0_13select_configILj256ELj13ELNS0_17block_load_methodE3ELS4_3ELS4_3ELNS0_20block_scan_algorithmE0ELj4294967295EEENS1_25partition_config_selectorILNS1_17partition_subalgoE3EjNS0_10empty_typeEbEEZZNS1_14partition_implILS8_3ELb0ES6_jNS0_17counting_iteratorIjlEEPS9_SE_NS0_5tupleIJPjSE_EEENSF_IJSE_SE_EEES9_SG_JZNS1_25segmented_radix_sort_implINS0_14default_configELb0EPKsPsPKlPlN2at6native12_GLOBAL__N_18offset_tEEE10hipError_tPvRmT1_PNSt15iterator_traitsISY_E10value_typeET2_T3_PNSZ_IS14_E10value_typeET4_jRbjT5_S1A_jjP12ihipStream_tbEUljE_EEESV_SW_SX_S14_S18_S1A_T6_T7_T9_mT8_S1C_bDpT10_ENKUlT_T0_E_clISt17integral_constantIbLb1EES1O_IbLb0EEEEDaS1K_S1L_EUlS1K_E_NS1_11comp_targetILNS1_3genE9ELNS1_11target_archE1100ELNS1_3gpuE3ELNS1_3repE0EEENS1_30default_config_static_selectorELNS0_4arch9wavefront6targetE0EEEvSY_
                                        ; -- End function
	.set _ZN7rocprim17ROCPRIM_400000_NS6detail17trampoline_kernelINS0_13select_configILj256ELj13ELNS0_17block_load_methodE3ELS4_3ELS4_3ELNS0_20block_scan_algorithmE0ELj4294967295EEENS1_25partition_config_selectorILNS1_17partition_subalgoE3EjNS0_10empty_typeEbEEZZNS1_14partition_implILS8_3ELb0ES6_jNS0_17counting_iteratorIjlEEPS9_SE_NS0_5tupleIJPjSE_EEENSF_IJSE_SE_EEES9_SG_JZNS1_25segmented_radix_sort_implINS0_14default_configELb0EPKsPsPKlPlN2at6native12_GLOBAL__N_18offset_tEEE10hipError_tPvRmT1_PNSt15iterator_traitsISY_E10value_typeET2_T3_PNSZ_IS14_E10value_typeET4_jRbjT5_S1A_jjP12ihipStream_tbEUljE_EEESV_SW_SX_S14_S18_S1A_T6_T7_T9_mT8_S1C_bDpT10_ENKUlT_T0_E_clISt17integral_constantIbLb1EES1O_IbLb0EEEEDaS1K_S1L_EUlS1K_E_NS1_11comp_targetILNS1_3genE9ELNS1_11target_archE1100ELNS1_3gpuE3ELNS1_3repE0EEENS1_30default_config_static_selectorELNS0_4arch9wavefront6targetE0EEEvSY_.num_vgpr, 0
	.set _ZN7rocprim17ROCPRIM_400000_NS6detail17trampoline_kernelINS0_13select_configILj256ELj13ELNS0_17block_load_methodE3ELS4_3ELS4_3ELNS0_20block_scan_algorithmE0ELj4294967295EEENS1_25partition_config_selectorILNS1_17partition_subalgoE3EjNS0_10empty_typeEbEEZZNS1_14partition_implILS8_3ELb0ES6_jNS0_17counting_iteratorIjlEEPS9_SE_NS0_5tupleIJPjSE_EEENSF_IJSE_SE_EEES9_SG_JZNS1_25segmented_radix_sort_implINS0_14default_configELb0EPKsPsPKlPlN2at6native12_GLOBAL__N_18offset_tEEE10hipError_tPvRmT1_PNSt15iterator_traitsISY_E10value_typeET2_T3_PNSZ_IS14_E10value_typeET4_jRbjT5_S1A_jjP12ihipStream_tbEUljE_EEESV_SW_SX_S14_S18_S1A_T6_T7_T9_mT8_S1C_bDpT10_ENKUlT_T0_E_clISt17integral_constantIbLb1EES1O_IbLb0EEEEDaS1K_S1L_EUlS1K_E_NS1_11comp_targetILNS1_3genE9ELNS1_11target_archE1100ELNS1_3gpuE3ELNS1_3repE0EEENS1_30default_config_static_selectorELNS0_4arch9wavefront6targetE0EEEvSY_.num_agpr, 0
	.set _ZN7rocprim17ROCPRIM_400000_NS6detail17trampoline_kernelINS0_13select_configILj256ELj13ELNS0_17block_load_methodE3ELS4_3ELS4_3ELNS0_20block_scan_algorithmE0ELj4294967295EEENS1_25partition_config_selectorILNS1_17partition_subalgoE3EjNS0_10empty_typeEbEEZZNS1_14partition_implILS8_3ELb0ES6_jNS0_17counting_iteratorIjlEEPS9_SE_NS0_5tupleIJPjSE_EEENSF_IJSE_SE_EEES9_SG_JZNS1_25segmented_radix_sort_implINS0_14default_configELb0EPKsPsPKlPlN2at6native12_GLOBAL__N_18offset_tEEE10hipError_tPvRmT1_PNSt15iterator_traitsISY_E10value_typeET2_T3_PNSZ_IS14_E10value_typeET4_jRbjT5_S1A_jjP12ihipStream_tbEUljE_EEESV_SW_SX_S14_S18_S1A_T6_T7_T9_mT8_S1C_bDpT10_ENKUlT_T0_E_clISt17integral_constantIbLb1EES1O_IbLb0EEEEDaS1K_S1L_EUlS1K_E_NS1_11comp_targetILNS1_3genE9ELNS1_11target_archE1100ELNS1_3gpuE3ELNS1_3repE0EEENS1_30default_config_static_selectorELNS0_4arch9wavefront6targetE0EEEvSY_.numbered_sgpr, 0
	.set _ZN7rocprim17ROCPRIM_400000_NS6detail17trampoline_kernelINS0_13select_configILj256ELj13ELNS0_17block_load_methodE3ELS4_3ELS4_3ELNS0_20block_scan_algorithmE0ELj4294967295EEENS1_25partition_config_selectorILNS1_17partition_subalgoE3EjNS0_10empty_typeEbEEZZNS1_14partition_implILS8_3ELb0ES6_jNS0_17counting_iteratorIjlEEPS9_SE_NS0_5tupleIJPjSE_EEENSF_IJSE_SE_EEES9_SG_JZNS1_25segmented_radix_sort_implINS0_14default_configELb0EPKsPsPKlPlN2at6native12_GLOBAL__N_18offset_tEEE10hipError_tPvRmT1_PNSt15iterator_traitsISY_E10value_typeET2_T3_PNSZ_IS14_E10value_typeET4_jRbjT5_S1A_jjP12ihipStream_tbEUljE_EEESV_SW_SX_S14_S18_S1A_T6_T7_T9_mT8_S1C_bDpT10_ENKUlT_T0_E_clISt17integral_constantIbLb1EES1O_IbLb0EEEEDaS1K_S1L_EUlS1K_E_NS1_11comp_targetILNS1_3genE9ELNS1_11target_archE1100ELNS1_3gpuE3ELNS1_3repE0EEENS1_30default_config_static_selectorELNS0_4arch9wavefront6targetE0EEEvSY_.num_named_barrier, 0
	.set _ZN7rocprim17ROCPRIM_400000_NS6detail17trampoline_kernelINS0_13select_configILj256ELj13ELNS0_17block_load_methodE3ELS4_3ELS4_3ELNS0_20block_scan_algorithmE0ELj4294967295EEENS1_25partition_config_selectorILNS1_17partition_subalgoE3EjNS0_10empty_typeEbEEZZNS1_14partition_implILS8_3ELb0ES6_jNS0_17counting_iteratorIjlEEPS9_SE_NS0_5tupleIJPjSE_EEENSF_IJSE_SE_EEES9_SG_JZNS1_25segmented_radix_sort_implINS0_14default_configELb0EPKsPsPKlPlN2at6native12_GLOBAL__N_18offset_tEEE10hipError_tPvRmT1_PNSt15iterator_traitsISY_E10value_typeET2_T3_PNSZ_IS14_E10value_typeET4_jRbjT5_S1A_jjP12ihipStream_tbEUljE_EEESV_SW_SX_S14_S18_S1A_T6_T7_T9_mT8_S1C_bDpT10_ENKUlT_T0_E_clISt17integral_constantIbLb1EES1O_IbLb0EEEEDaS1K_S1L_EUlS1K_E_NS1_11comp_targetILNS1_3genE9ELNS1_11target_archE1100ELNS1_3gpuE3ELNS1_3repE0EEENS1_30default_config_static_selectorELNS0_4arch9wavefront6targetE0EEEvSY_.private_seg_size, 0
	.set _ZN7rocprim17ROCPRIM_400000_NS6detail17trampoline_kernelINS0_13select_configILj256ELj13ELNS0_17block_load_methodE3ELS4_3ELS4_3ELNS0_20block_scan_algorithmE0ELj4294967295EEENS1_25partition_config_selectorILNS1_17partition_subalgoE3EjNS0_10empty_typeEbEEZZNS1_14partition_implILS8_3ELb0ES6_jNS0_17counting_iteratorIjlEEPS9_SE_NS0_5tupleIJPjSE_EEENSF_IJSE_SE_EEES9_SG_JZNS1_25segmented_radix_sort_implINS0_14default_configELb0EPKsPsPKlPlN2at6native12_GLOBAL__N_18offset_tEEE10hipError_tPvRmT1_PNSt15iterator_traitsISY_E10value_typeET2_T3_PNSZ_IS14_E10value_typeET4_jRbjT5_S1A_jjP12ihipStream_tbEUljE_EEESV_SW_SX_S14_S18_S1A_T6_T7_T9_mT8_S1C_bDpT10_ENKUlT_T0_E_clISt17integral_constantIbLb1EES1O_IbLb0EEEEDaS1K_S1L_EUlS1K_E_NS1_11comp_targetILNS1_3genE9ELNS1_11target_archE1100ELNS1_3gpuE3ELNS1_3repE0EEENS1_30default_config_static_selectorELNS0_4arch9wavefront6targetE0EEEvSY_.uses_vcc, 0
	.set _ZN7rocprim17ROCPRIM_400000_NS6detail17trampoline_kernelINS0_13select_configILj256ELj13ELNS0_17block_load_methodE3ELS4_3ELS4_3ELNS0_20block_scan_algorithmE0ELj4294967295EEENS1_25partition_config_selectorILNS1_17partition_subalgoE3EjNS0_10empty_typeEbEEZZNS1_14partition_implILS8_3ELb0ES6_jNS0_17counting_iteratorIjlEEPS9_SE_NS0_5tupleIJPjSE_EEENSF_IJSE_SE_EEES9_SG_JZNS1_25segmented_radix_sort_implINS0_14default_configELb0EPKsPsPKlPlN2at6native12_GLOBAL__N_18offset_tEEE10hipError_tPvRmT1_PNSt15iterator_traitsISY_E10value_typeET2_T3_PNSZ_IS14_E10value_typeET4_jRbjT5_S1A_jjP12ihipStream_tbEUljE_EEESV_SW_SX_S14_S18_S1A_T6_T7_T9_mT8_S1C_bDpT10_ENKUlT_T0_E_clISt17integral_constantIbLb1EES1O_IbLb0EEEEDaS1K_S1L_EUlS1K_E_NS1_11comp_targetILNS1_3genE9ELNS1_11target_archE1100ELNS1_3gpuE3ELNS1_3repE0EEENS1_30default_config_static_selectorELNS0_4arch9wavefront6targetE0EEEvSY_.uses_flat_scratch, 0
	.set _ZN7rocprim17ROCPRIM_400000_NS6detail17trampoline_kernelINS0_13select_configILj256ELj13ELNS0_17block_load_methodE3ELS4_3ELS4_3ELNS0_20block_scan_algorithmE0ELj4294967295EEENS1_25partition_config_selectorILNS1_17partition_subalgoE3EjNS0_10empty_typeEbEEZZNS1_14partition_implILS8_3ELb0ES6_jNS0_17counting_iteratorIjlEEPS9_SE_NS0_5tupleIJPjSE_EEENSF_IJSE_SE_EEES9_SG_JZNS1_25segmented_radix_sort_implINS0_14default_configELb0EPKsPsPKlPlN2at6native12_GLOBAL__N_18offset_tEEE10hipError_tPvRmT1_PNSt15iterator_traitsISY_E10value_typeET2_T3_PNSZ_IS14_E10value_typeET4_jRbjT5_S1A_jjP12ihipStream_tbEUljE_EEESV_SW_SX_S14_S18_S1A_T6_T7_T9_mT8_S1C_bDpT10_ENKUlT_T0_E_clISt17integral_constantIbLb1EES1O_IbLb0EEEEDaS1K_S1L_EUlS1K_E_NS1_11comp_targetILNS1_3genE9ELNS1_11target_archE1100ELNS1_3gpuE3ELNS1_3repE0EEENS1_30default_config_static_selectorELNS0_4arch9wavefront6targetE0EEEvSY_.has_dyn_sized_stack, 0
	.set _ZN7rocprim17ROCPRIM_400000_NS6detail17trampoline_kernelINS0_13select_configILj256ELj13ELNS0_17block_load_methodE3ELS4_3ELS4_3ELNS0_20block_scan_algorithmE0ELj4294967295EEENS1_25partition_config_selectorILNS1_17partition_subalgoE3EjNS0_10empty_typeEbEEZZNS1_14partition_implILS8_3ELb0ES6_jNS0_17counting_iteratorIjlEEPS9_SE_NS0_5tupleIJPjSE_EEENSF_IJSE_SE_EEES9_SG_JZNS1_25segmented_radix_sort_implINS0_14default_configELb0EPKsPsPKlPlN2at6native12_GLOBAL__N_18offset_tEEE10hipError_tPvRmT1_PNSt15iterator_traitsISY_E10value_typeET2_T3_PNSZ_IS14_E10value_typeET4_jRbjT5_S1A_jjP12ihipStream_tbEUljE_EEESV_SW_SX_S14_S18_S1A_T6_T7_T9_mT8_S1C_bDpT10_ENKUlT_T0_E_clISt17integral_constantIbLb1EES1O_IbLb0EEEEDaS1K_S1L_EUlS1K_E_NS1_11comp_targetILNS1_3genE9ELNS1_11target_archE1100ELNS1_3gpuE3ELNS1_3repE0EEENS1_30default_config_static_selectorELNS0_4arch9wavefront6targetE0EEEvSY_.has_recursion, 0
	.set _ZN7rocprim17ROCPRIM_400000_NS6detail17trampoline_kernelINS0_13select_configILj256ELj13ELNS0_17block_load_methodE3ELS4_3ELS4_3ELNS0_20block_scan_algorithmE0ELj4294967295EEENS1_25partition_config_selectorILNS1_17partition_subalgoE3EjNS0_10empty_typeEbEEZZNS1_14partition_implILS8_3ELb0ES6_jNS0_17counting_iteratorIjlEEPS9_SE_NS0_5tupleIJPjSE_EEENSF_IJSE_SE_EEES9_SG_JZNS1_25segmented_radix_sort_implINS0_14default_configELb0EPKsPsPKlPlN2at6native12_GLOBAL__N_18offset_tEEE10hipError_tPvRmT1_PNSt15iterator_traitsISY_E10value_typeET2_T3_PNSZ_IS14_E10value_typeET4_jRbjT5_S1A_jjP12ihipStream_tbEUljE_EEESV_SW_SX_S14_S18_S1A_T6_T7_T9_mT8_S1C_bDpT10_ENKUlT_T0_E_clISt17integral_constantIbLb1EES1O_IbLb0EEEEDaS1K_S1L_EUlS1K_E_NS1_11comp_targetILNS1_3genE9ELNS1_11target_archE1100ELNS1_3gpuE3ELNS1_3repE0EEENS1_30default_config_static_selectorELNS0_4arch9wavefront6targetE0EEEvSY_.has_indirect_call, 0
	.section	.AMDGPU.csdata,"",@progbits
; Kernel info:
; codeLenInByte = 0
; TotalNumSgprs: 0
; NumVgprs: 0
; ScratchSize: 0
; MemoryBound: 0
; FloatMode: 240
; IeeeMode: 1
; LDSByteSize: 0 bytes/workgroup (compile time only)
; SGPRBlocks: 0
; VGPRBlocks: 0
; NumSGPRsForWavesPerEU: 1
; NumVGPRsForWavesPerEU: 1
; NamedBarCnt: 0
; Occupancy: 16
; WaveLimiterHint : 0
; COMPUTE_PGM_RSRC2:SCRATCH_EN: 0
; COMPUTE_PGM_RSRC2:USER_SGPR: 2
; COMPUTE_PGM_RSRC2:TRAP_HANDLER: 0
; COMPUTE_PGM_RSRC2:TGID_X_EN: 1
; COMPUTE_PGM_RSRC2:TGID_Y_EN: 0
; COMPUTE_PGM_RSRC2:TGID_Z_EN: 0
; COMPUTE_PGM_RSRC2:TIDIG_COMP_CNT: 0
	.section	.text._ZN7rocprim17ROCPRIM_400000_NS6detail17trampoline_kernelINS0_13select_configILj256ELj13ELNS0_17block_load_methodE3ELS4_3ELS4_3ELNS0_20block_scan_algorithmE0ELj4294967295EEENS1_25partition_config_selectorILNS1_17partition_subalgoE3EjNS0_10empty_typeEbEEZZNS1_14partition_implILS8_3ELb0ES6_jNS0_17counting_iteratorIjlEEPS9_SE_NS0_5tupleIJPjSE_EEENSF_IJSE_SE_EEES9_SG_JZNS1_25segmented_radix_sort_implINS0_14default_configELb0EPKsPsPKlPlN2at6native12_GLOBAL__N_18offset_tEEE10hipError_tPvRmT1_PNSt15iterator_traitsISY_E10value_typeET2_T3_PNSZ_IS14_E10value_typeET4_jRbjT5_S1A_jjP12ihipStream_tbEUljE_EEESV_SW_SX_S14_S18_S1A_T6_T7_T9_mT8_S1C_bDpT10_ENKUlT_T0_E_clISt17integral_constantIbLb1EES1O_IbLb0EEEEDaS1K_S1L_EUlS1K_E_NS1_11comp_targetILNS1_3genE8ELNS1_11target_archE1030ELNS1_3gpuE2ELNS1_3repE0EEENS1_30default_config_static_selectorELNS0_4arch9wavefront6targetE0EEEvSY_,"axG",@progbits,_ZN7rocprim17ROCPRIM_400000_NS6detail17trampoline_kernelINS0_13select_configILj256ELj13ELNS0_17block_load_methodE3ELS4_3ELS4_3ELNS0_20block_scan_algorithmE0ELj4294967295EEENS1_25partition_config_selectorILNS1_17partition_subalgoE3EjNS0_10empty_typeEbEEZZNS1_14partition_implILS8_3ELb0ES6_jNS0_17counting_iteratorIjlEEPS9_SE_NS0_5tupleIJPjSE_EEENSF_IJSE_SE_EEES9_SG_JZNS1_25segmented_radix_sort_implINS0_14default_configELb0EPKsPsPKlPlN2at6native12_GLOBAL__N_18offset_tEEE10hipError_tPvRmT1_PNSt15iterator_traitsISY_E10value_typeET2_T3_PNSZ_IS14_E10value_typeET4_jRbjT5_S1A_jjP12ihipStream_tbEUljE_EEESV_SW_SX_S14_S18_S1A_T6_T7_T9_mT8_S1C_bDpT10_ENKUlT_T0_E_clISt17integral_constantIbLb1EES1O_IbLb0EEEEDaS1K_S1L_EUlS1K_E_NS1_11comp_targetILNS1_3genE8ELNS1_11target_archE1030ELNS1_3gpuE2ELNS1_3repE0EEENS1_30default_config_static_selectorELNS0_4arch9wavefront6targetE0EEEvSY_,comdat
	.globl	_ZN7rocprim17ROCPRIM_400000_NS6detail17trampoline_kernelINS0_13select_configILj256ELj13ELNS0_17block_load_methodE3ELS4_3ELS4_3ELNS0_20block_scan_algorithmE0ELj4294967295EEENS1_25partition_config_selectorILNS1_17partition_subalgoE3EjNS0_10empty_typeEbEEZZNS1_14partition_implILS8_3ELb0ES6_jNS0_17counting_iteratorIjlEEPS9_SE_NS0_5tupleIJPjSE_EEENSF_IJSE_SE_EEES9_SG_JZNS1_25segmented_radix_sort_implINS0_14default_configELb0EPKsPsPKlPlN2at6native12_GLOBAL__N_18offset_tEEE10hipError_tPvRmT1_PNSt15iterator_traitsISY_E10value_typeET2_T3_PNSZ_IS14_E10value_typeET4_jRbjT5_S1A_jjP12ihipStream_tbEUljE_EEESV_SW_SX_S14_S18_S1A_T6_T7_T9_mT8_S1C_bDpT10_ENKUlT_T0_E_clISt17integral_constantIbLb1EES1O_IbLb0EEEEDaS1K_S1L_EUlS1K_E_NS1_11comp_targetILNS1_3genE8ELNS1_11target_archE1030ELNS1_3gpuE2ELNS1_3repE0EEENS1_30default_config_static_selectorELNS0_4arch9wavefront6targetE0EEEvSY_ ; -- Begin function _ZN7rocprim17ROCPRIM_400000_NS6detail17trampoline_kernelINS0_13select_configILj256ELj13ELNS0_17block_load_methodE3ELS4_3ELS4_3ELNS0_20block_scan_algorithmE0ELj4294967295EEENS1_25partition_config_selectorILNS1_17partition_subalgoE3EjNS0_10empty_typeEbEEZZNS1_14partition_implILS8_3ELb0ES6_jNS0_17counting_iteratorIjlEEPS9_SE_NS0_5tupleIJPjSE_EEENSF_IJSE_SE_EEES9_SG_JZNS1_25segmented_radix_sort_implINS0_14default_configELb0EPKsPsPKlPlN2at6native12_GLOBAL__N_18offset_tEEE10hipError_tPvRmT1_PNSt15iterator_traitsISY_E10value_typeET2_T3_PNSZ_IS14_E10value_typeET4_jRbjT5_S1A_jjP12ihipStream_tbEUljE_EEESV_SW_SX_S14_S18_S1A_T6_T7_T9_mT8_S1C_bDpT10_ENKUlT_T0_E_clISt17integral_constantIbLb1EES1O_IbLb0EEEEDaS1K_S1L_EUlS1K_E_NS1_11comp_targetILNS1_3genE8ELNS1_11target_archE1030ELNS1_3gpuE2ELNS1_3repE0EEENS1_30default_config_static_selectorELNS0_4arch9wavefront6targetE0EEEvSY_
	.p2align	8
	.type	_ZN7rocprim17ROCPRIM_400000_NS6detail17trampoline_kernelINS0_13select_configILj256ELj13ELNS0_17block_load_methodE3ELS4_3ELS4_3ELNS0_20block_scan_algorithmE0ELj4294967295EEENS1_25partition_config_selectorILNS1_17partition_subalgoE3EjNS0_10empty_typeEbEEZZNS1_14partition_implILS8_3ELb0ES6_jNS0_17counting_iteratorIjlEEPS9_SE_NS0_5tupleIJPjSE_EEENSF_IJSE_SE_EEES9_SG_JZNS1_25segmented_radix_sort_implINS0_14default_configELb0EPKsPsPKlPlN2at6native12_GLOBAL__N_18offset_tEEE10hipError_tPvRmT1_PNSt15iterator_traitsISY_E10value_typeET2_T3_PNSZ_IS14_E10value_typeET4_jRbjT5_S1A_jjP12ihipStream_tbEUljE_EEESV_SW_SX_S14_S18_S1A_T6_T7_T9_mT8_S1C_bDpT10_ENKUlT_T0_E_clISt17integral_constantIbLb1EES1O_IbLb0EEEEDaS1K_S1L_EUlS1K_E_NS1_11comp_targetILNS1_3genE8ELNS1_11target_archE1030ELNS1_3gpuE2ELNS1_3repE0EEENS1_30default_config_static_selectorELNS0_4arch9wavefront6targetE0EEEvSY_,@function
_ZN7rocprim17ROCPRIM_400000_NS6detail17trampoline_kernelINS0_13select_configILj256ELj13ELNS0_17block_load_methodE3ELS4_3ELS4_3ELNS0_20block_scan_algorithmE0ELj4294967295EEENS1_25partition_config_selectorILNS1_17partition_subalgoE3EjNS0_10empty_typeEbEEZZNS1_14partition_implILS8_3ELb0ES6_jNS0_17counting_iteratorIjlEEPS9_SE_NS0_5tupleIJPjSE_EEENSF_IJSE_SE_EEES9_SG_JZNS1_25segmented_radix_sort_implINS0_14default_configELb0EPKsPsPKlPlN2at6native12_GLOBAL__N_18offset_tEEE10hipError_tPvRmT1_PNSt15iterator_traitsISY_E10value_typeET2_T3_PNSZ_IS14_E10value_typeET4_jRbjT5_S1A_jjP12ihipStream_tbEUljE_EEESV_SW_SX_S14_S18_S1A_T6_T7_T9_mT8_S1C_bDpT10_ENKUlT_T0_E_clISt17integral_constantIbLb1EES1O_IbLb0EEEEDaS1K_S1L_EUlS1K_E_NS1_11comp_targetILNS1_3genE8ELNS1_11target_archE1030ELNS1_3gpuE2ELNS1_3repE0EEENS1_30default_config_static_selectorELNS0_4arch9wavefront6targetE0EEEvSY_: ; @_ZN7rocprim17ROCPRIM_400000_NS6detail17trampoline_kernelINS0_13select_configILj256ELj13ELNS0_17block_load_methodE3ELS4_3ELS4_3ELNS0_20block_scan_algorithmE0ELj4294967295EEENS1_25partition_config_selectorILNS1_17partition_subalgoE3EjNS0_10empty_typeEbEEZZNS1_14partition_implILS8_3ELb0ES6_jNS0_17counting_iteratorIjlEEPS9_SE_NS0_5tupleIJPjSE_EEENSF_IJSE_SE_EEES9_SG_JZNS1_25segmented_radix_sort_implINS0_14default_configELb0EPKsPsPKlPlN2at6native12_GLOBAL__N_18offset_tEEE10hipError_tPvRmT1_PNSt15iterator_traitsISY_E10value_typeET2_T3_PNSZ_IS14_E10value_typeET4_jRbjT5_S1A_jjP12ihipStream_tbEUljE_EEESV_SW_SX_S14_S18_S1A_T6_T7_T9_mT8_S1C_bDpT10_ENKUlT_T0_E_clISt17integral_constantIbLb1EES1O_IbLb0EEEEDaS1K_S1L_EUlS1K_E_NS1_11comp_targetILNS1_3genE8ELNS1_11target_archE1030ELNS1_3gpuE2ELNS1_3repE0EEENS1_30default_config_static_selectorELNS0_4arch9wavefront6targetE0EEEvSY_
; %bb.0:
	.section	.rodata,"a",@progbits
	.p2align	6, 0x0
	.amdhsa_kernel _ZN7rocprim17ROCPRIM_400000_NS6detail17trampoline_kernelINS0_13select_configILj256ELj13ELNS0_17block_load_methodE3ELS4_3ELS4_3ELNS0_20block_scan_algorithmE0ELj4294967295EEENS1_25partition_config_selectorILNS1_17partition_subalgoE3EjNS0_10empty_typeEbEEZZNS1_14partition_implILS8_3ELb0ES6_jNS0_17counting_iteratorIjlEEPS9_SE_NS0_5tupleIJPjSE_EEENSF_IJSE_SE_EEES9_SG_JZNS1_25segmented_radix_sort_implINS0_14default_configELb0EPKsPsPKlPlN2at6native12_GLOBAL__N_18offset_tEEE10hipError_tPvRmT1_PNSt15iterator_traitsISY_E10value_typeET2_T3_PNSZ_IS14_E10value_typeET4_jRbjT5_S1A_jjP12ihipStream_tbEUljE_EEESV_SW_SX_S14_S18_S1A_T6_T7_T9_mT8_S1C_bDpT10_ENKUlT_T0_E_clISt17integral_constantIbLb1EES1O_IbLb0EEEEDaS1K_S1L_EUlS1K_E_NS1_11comp_targetILNS1_3genE8ELNS1_11target_archE1030ELNS1_3gpuE2ELNS1_3repE0EEENS1_30default_config_static_selectorELNS0_4arch9wavefront6targetE0EEEvSY_
		.amdhsa_group_segment_fixed_size 0
		.amdhsa_private_segment_fixed_size 0
		.amdhsa_kernarg_size 144
		.amdhsa_user_sgpr_count 2
		.amdhsa_user_sgpr_dispatch_ptr 0
		.amdhsa_user_sgpr_queue_ptr 0
		.amdhsa_user_sgpr_kernarg_segment_ptr 1
		.amdhsa_user_sgpr_dispatch_id 0
		.amdhsa_user_sgpr_kernarg_preload_length 0
		.amdhsa_user_sgpr_kernarg_preload_offset 0
		.amdhsa_user_sgpr_private_segment_size 0
		.amdhsa_wavefront_size32 1
		.amdhsa_uses_dynamic_stack 0
		.amdhsa_enable_private_segment 0
		.amdhsa_system_sgpr_workgroup_id_x 1
		.amdhsa_system_sgpr_workgroup_id_y 0
		.amdhsa_system_sgpr_workgroup_id_z 0
		.amdhsa_system_sgpr_workgroup_info 0
		.amdhsa_system_vgpr_workitem_id 0
		.amdhsa_next_free_vgpr 1
		.amdhsa_next_free_sgpr 1
		.amdhsa_named_barrier_count 0
		.amdhsa_reserve_vcc 0
		.amdhsa_float_round_mode_32 0
		.amdhsa_float_round_mode_16_64 0
		.amdhsa_float_denorm_mode_32 3
		.amdhsa_float_denorm_mode_16_64 3
		.amdhsa_fp16_overflow 0
		.amdhsa_memory_ordered 1
		.amdhsa_forward_progress 1
		.amdhsa_inst_pref_size 0
		.amdhsa_round_robin_scheduling 0
		.amdhsa_exception_fp_ieee_invalid_op 0
		.amdhsa_exception_fp_denorm_src 0
		.amdhsa_exception_fp_ieee_div_zero 0
		.amdhsa_exception_fp_ieee_overflow 0
		.amdhsa_exception_fp_ieee_underflow 0
		.amdhsa_exception_fp_ieee_inexact 0
		.amdhsa_exception_int_div_zero 0
	.end_amdhsa_kernel
	.section	.text._ZN7rocprim17ROCPRIM_400000_NS6detail17trampoline_kernelINS0_13select_configILj256ELj13ELNS0_17block_load_methodE3ELS4_3ELS4_3ELNS0_20block_scan_algorithmE0ELj4294967295EEENS1_25partition_config_selectorILNS1_17partition_subalgoE3EjNS0_10empty_typeEbEEZZNS1_14partition_implILS8_3ELb0ES6_jNS0_17counting_iteratorIjlEEPS9_SE_NS0_5tupleIJPjSE_EEENSF_IJSE_SE_EEES9_SG_JZNS1_25segmented_radix_sort_implINS0_14default_configELb0EPKsPsPKlPlN2at6native12_GLOBAL__N_18offset_tEEE10hipError_tPvRmT1_PNSt15iterator_traitsISY_E10value_typeET2_T3_PNSZ_IS14_E10value_typeET4_jRbjT5_S1A_jjP12ihipStream_tbEUljE_EEESV_SW_SX_S14_S18_S1A_T6_T7_T9_mT8_S1C_bDpT10_ENKUlT_T0_E_clISt17integral_constantIbLb1EES1O_IbLb0EEEEDaS1K_S1L_EUlS1K_E_NS1_11comp_targetILNS1_3genE8ELNS1_11target_archE1030ELNS1_3gpuE2ELNS1_3repE0EEENS1_30default_config_static_selectorELNS0_4arch9wavefront6targetE0EEEvSY_,"axG",@progbits,_ZN7rocprim17ROCPRIM_400000_NS6detail17trampoline_kernelINS0_13select_configILj256ELj13ELNS0_17block_load_methodE3ELS4_3ELS4_3ELNS0_20block_scan_algorithmE0ELj4294967295EEENS1_25partition_config_selectorILNS1_17partition_subalgoE3EjNS0_10empty_typeEbEEZZNS1_14partition_implILS8_3ELb0ES6_jNS0_17counting_iteratorIjlEEPS9_SE_NS0_5tupleIJPjSE_EEENSF_IJSE_SE_EEES9_SG_JZNS1_25segmented_radix_sort_implINS0_14default_configELb0EPKsPsPKlPlN2at6native12_GLOBAL__N_18offset_tEEE10hipError_tPvRmT1_PNSt15iterator_traitsISY_E10value_typeET2_T3_PNSZ_IS14_E10value_typeET4_jRbjT5_S1A_jjP12ihipStream_tbEUljE_EEESV_SW_SX_S14_S18_S1A_T6_T7_T9_mT8_S1C_bDpT10_ENKUlT_T0_E_clISt17integral_constantIbLb1EES1O_IbLb0EEEEDaS1K_S1L_EUlS1K_E_NS1_11comp_targetILNS1_3genE8ELNS1_11target_archE1030ELNS1_3gpuE2ELNS1_3repE0EEENS1_30default_config_static_selectorELNS0_4arch9wavefront6targetE0EEEvSY_,comdat
.Lfunc_end1000:
	.size	_ZN7rocprim17ROCPRIM_400000_NS6detail17trampoline_kernelINS0_13select_configILj256ELj13ELNS0_17block_load_methodE3ELS4_3ELS4_3ELNS0_20block_scan_algorithmE0ELj4294967295EEENS1_25partition_config_selectorILNS1_17partition_subalgoE3EjNS0_10empty_typeEbEEZZNS1_14partition_implILS8_3ELb0ES6_jNS0_17counting_iteratorIjlEEPS9_SE_NS0_5tupleIJPjSE_EEENSF_IJSE_SE_EEES9_SG_JZNS1_25segmented_radix_sort_implINS0_14default_configELb0EPKsPsPKlPlN2at6native12_GLOBAL__N_18offset_tEEE10hipError_tPvRmT1_PNSt15iterator_traitsISY_E10value_typeET2_T3_PNSZ_IS14_E10value_typeET4_jRbjT5_S1A_jjP12ihipStream_tbEUljE_EEESV_SW_SX_S14_S18_S1A_T6_T7_T9_mT8_S1C_bDpT10_ENKUlT_T0_E_clISt17integral_constantIbLb1EES1O_IbLb0EEEEDaS1K_S1L_EUlS1K_E_NS1_11comp_targetILNS1_3genE8ELNS1_11target_archE1030ELNS1_3gpuE2ELNS1_3repE0EEENS1_30default_config_static_selectorELNS0_4arch9wavefront6targetE0EEEvSY_, .Lfunc_end1000-_ZN7rocprim17ROCPRIM_400000_NS6detail17trampoline_kernelINS0_13select_configILj256ELj13ELNS0_17block_load_methodE3ELS4_3ELS4_3ELNS0_20block_scan_algorithmE0ELj4294967295EEENS1_25partition_config_selectorILNS1_17partition_subalgoE3EjNS0_10empty_typeEbEEZZNS1_14partition_implILS8_3ELb0ES6_jNS0_17counting_iteratorIjlEEPS9_SE_NS0_5tupleIJPjSE_EEENSF_IJSE_SE_EEES9_SG_JZNS1_25segmented_radix_sort_implINS0_14default_configELb0EPKsPsPKlPlN2at6native12_GLOBAL__N_18offset_tEEE10hipError_tPvRmT1_PNSt15iterator_traitsISY_E10value_typeET2_T3_PNSZ_IS14_E10value_typeET4_jRbjT5_S1A_jjP12ihipStream_tbEUljE_EEESV_SW_SX_S14_S18_S1A_T6_T7_T9_mT8_S1C_bDpT10_ENKUlT_T0_E_clISt17integral_constantIbLb1EES1O_IbLb0EEEEDaS1K_S1L_EUlS1K_E_NS1_11comp_targetILNS1_3genE8ELNS1_11target_archE1030ELNS1_3gpuE2ELNS1_3repE0EEENS1_30default_config_static_selectorELNS0_4arch9wavefront6targetE0EEEvSY_
                                        ; -- End function
	.set _ZN7rocprim17ROCPRIM_400000_NS6detail17trampoline_kernelINS0_13select_configILj256ELj13ELNS0_17block_load_methodE3ELS4_3ELS4_3ELNS0_20block_scan_algorithmE0ELj4294967295EEENS1_25partition_config_selectorILNS1_17partition_subalgoE3EjNS0_10empty_typeEbEEZZNS1_14partition_implILS8_3ELb0ES6_jNS0_17counting_iteratorIjlEEPS9_SE_NS0_5tupleIJPjSE_EEENSF_IJSE_SE_EEES9_SG_JZNS1_25segmented_radix_sort_implINS0_14default_configELb0EPKsPsPKlPlN2at6native12_GLOBAL__N_18offset_tEEE10hipError_tPvRmT1_PNSt15iterator_traitsISY_E10value_typeET2_T3_PNSZ_IS14_E10value_typeET4_jRbjT5_S1A_jjP12ihipStream_tbEUljE_EEESV_SW_SX_S14_S18_S1A_T6_T7_T9_mT8_S1C_bDpT10_ENKUlT_T0_E_clISt17integral_constantIbLb1EES1O_IbLb0EEEEDaS1K_S1L_EUlS1K_E_NS1_11comp_targetILNS1_3genE8ELNS1_11target_archE1030ELNS1_3gpuE2ELNS1_3repE0EEENS1_30default_config_static_selectorELNS0_4arch9wavefront6targetE0EEEvSY_.num_vgpr, 0
	.set _ZN7rocprim17ROCPRIM_400000_NS6detail17trampoline_kernelINS0_13select_configILj256ELj13ELNS0_17block_load_methodE3ELS4_3ELS4_3ELNS0_20block_scan_algorithmE0ELj4294967295EEENS1_25partition_config_selectorILNS1_17partition_subalgoE3EjNS0_10empty_typeEbEEZZNS1_14partition_implILS8_3ELb0ES6_jNS0_17counting_iteratorIjlEEPS9_SE_NS0_5tupleIJPjSE_EEENSF_IJSE_SE_EEES9_SG_JZNS1_25segmented_radix_sort_implINS0_14default_configELb0EPKsPsPKlPlN2at6native12_GLOBAL__N_18offset_tEEE10hipError_tPvRmT1_PNSt15iterator_traitsISY_E10value_typeET2_T3_PNSZ_IS14_E10value_typeET4_jRbjT5_S1A_jjP12ihipStream_tbEUljE_EEESV_SW_SX_S14_S18_S1A_T6_T7_T9_mT8_S1C_bDpT10_ENKUlT_T0_E_clISt17integral_constantIbLb1EES1O_IbLb0EEEEDaS1K_S1L_EUlS1K_E_NS1_11comp_targetILNS1_3genE8ELNS1_11target_archE1030ELNS1_3gpuE2ELNS1_3repE0EEENS1_30default_config_static_selectorELNS0_4arch9wavefront6targetE0EEEvSY_.num_agpr, 0
	.set _ZN7rocprim17ROCPRIM_400000_NS6detail17trampoline_kernelINS0_13select_configILj256ELj13ELNS0_17block_load_methodE3ELS4_3ELS4_3ELNS0_20block_scan_algorithmE0ELj4294967295EEENS1_25partition_config_selectorILNS1_17partition_subalgoE3EjNS0_10empty_typeEbEEZZNS1_14partition_implILS8_3ELb0ES6_jNS0_17counting_iteratorIjlEEPS9_SE_NS0_5tupleIJPjSE_EEENSF_IJSE_SE_EEES9_SG_JZNS1_25segmented_radix_sort_implINS0_14default_configELb0EPKsPsPKlPlN2at6native12_GLOBAL__N_18offset_tEEE10hipError_tPvRmT1_PNSt15iterator_traitsISY_E10value_typeET2_T3_PNSZ_IS14_E10value_typeET4_jRbjT5_S1A_jjP12ihipStream_tbEUljE_EEESV_SW_SX_S14_S18_S1A_T6_T7_T9_mT8_S1C_bDpT10_ENKUlT_T0_E_clISt17integral_constantIbLb1EES1O_IbLb0EEEEDaS1K_S1L_EUlS1K_E_NS1_11comp_targetILNS1_3genE8ELNS1_11target_archE1030ELNS1_3gpuE2ELNS1_3repE0EEENS1_30default_config_static_selectorELNS0_4arch9wavefront6targetE0EEEvSY_.numbered_sgpr, 0
	.set _ZN7rocprim17ROCPRIM_400000_NS6detail17trampoline_kernelINS0_13select_configILj256ELj13ELNS0_17block_load_methodE3ELS4_3ELS4_3ELNS0_20block_scan_algorithmE0ELj4294967295EEENS1_25partition_config_selectorILNS1_17partition_subalgoE3EjNS0_10empty_typeEbEEZZNS1_14partition_implILS8_3ELb0ES6_jNS0_17counting_iteratorIjlEEPS9_SE_NS0_5tupleIJPjSE_EEENSF_IJSE_SE_EEES9_SG_JZNS1_25segmented_radix_sort_implINS0_14default_configELb0EPKsPsPKlPlN2at6native12_GLOBAL__N_18offset_tEEE10hipError_tPvRmT1_PNSt15iterator_traitsISY_E10value_typeET2_T3_PNSZ_IS14_E10value_typeET4_jRbjT5_S1A_jjP12ihipStream_tbEUljE_EEESV_SW_SX_S14_S18_S1A_T6_T7_T9_mT8_S1C_bDpT10_ENKUlT_T0_E_clISt17integral_constantIbLb1EES1O_IbLb0EEEEDaS1K_S1L_EUlS1K_E_NS1_11comp_targetILNS1_3genE8ELNS1_11target_archE1030ELNS1_3gpuE2ELNS1_3repE0EEENS1_30default_config_static_selectorELNS0_4arch9wavefront6targetE0EEEvSY_.num_named_barrier, 0
	.set _ZN7rocprim17ROCPRIM_400000_NS6detail17trampoline_kernelINS0_13select_configILj256ELj13ELNS0_17block_load_methodE3ELS4_3ELS4_3ELNS0_20block_scan_algorithmE0ELj4294967295EEENS1_25partition_config_selectorILNS1_17partition_subalgoE3EjNS0_10empty_typeEbEEZZNS1_14partition_implILS8_3ELb0ES6_jNS0_17counting_iteratorIjlEEPS9_SE_NS0_5tupleIJPjSE_EEENSF_IJSE_SE_EEES9_SG_JZNS1_25segmented_radix_sort_implINS0_14default_configELb0EPKsPsPKlPlN2at6native12_GLOBAL__N_18offset_tEEE10hipError_tPvRmT1_PNSt15iterator_traitsISY_E10value_typeET2_T3_PNSZ_IS14_E10value_typeET4_jRbjT5_S1A_jjP12ihipStream_tbEUljE_EEESV_SW_SX_S14_S18_S1A_T6_T7_T9_mT8_S1C_bDpT10_ENKUlT_T0_E_clISt17integral_constantIbLb1EES1O_IbLb0EEEEDaS1K_S1L_EUlS1K_E_NS1_11comp_targetILNS1_3genE8ELNS1_11target_archE1030ELNS1_3gpuE2ELNS1_3repE0EEENS1_30default_config_static_selectorELNS0_4arch9wavefront6targetE0EEEvSY_.private_seg_size, 0
	.set _ZN7rocprim17ROCPRIM_400000_NS6detail17trampoline_kernelINS0_13select_configILj256ELj13ELNS0_17block_load_methodE3ELS4_3ELS4_3ELNS0_20block_scan_algorithmE0ELj4294967295EEENS1_25partition_config_selectorILNS1_17partition_subalgoE3EjNS0_10empty_typeEbEEZZNS1_14partition_implILS8_3ELb0ES6_jNS0_17counting_iteratorIjlEEPS9_SE_NS0_5tupleIJPjSE_EEENSF_IJSE_SE_EEES9_SG_JZNS1_25segmented_radix_sort_implINS0_14default_configELb0EPKsPsPKlPlN2at6native12_GLOBAL__N_18offset_tEEE10hipError_tPvRmT1_PNSt15iterator_traitsISY_E10value_typeET2_T3_PNSZ_IS14_E10value_typeET4_jRbjT5_S1A_jjP12ihipStream_tbEUljE_EEESV_SW_SX_S14_S18_S1A_T6_T7_T9_mT8_S1C_bDpT10_ENKUlT_T0_E_clISt17integral_constantIbLb1EES1O_IbLb0EEEEDaS1K_S1L_EUlS1K_E_NS1_11comp_targetILNS1_3genE8ELNS1_11target_archE1030ELNS1_3gpuE2ELNS1_3repE0EEENS1_30default_config_static_selectorELNS0_4arch9wavefront6targetE0EEEvSY_.uses_vcc, 0
	.set _ZN7rocprim17ROCPRIM_400000_NS6detail17trampoline_kernelINS0_13select_configILj256ELj13ELNS0_17block_load_methodE3ELS4_3ELS4_3ELNS0_20block_scan_algorithmE0ELj4294967295EEENS1_25partition_config_selectorILNS1_17partition_subalgoE3EjNS0_10empty_typeEbEEZZNS1_14partition_implILS8_3ELb0ES6_jNS0_17counting_iteratorIjlEEPS9_SE_NS0_5tupleIJPjSE_EEENSF_IJSE_SE_EEES9_SG_JZNS1_25segmented_radix_sort_implINS0_14default_configELb0EPKsPsPKlPlN2at6native12_GLOBAL__N_18offset_tEEE10hipError_tPvRmT1_PNSt15iterator_traitsISY_E10value_typeET2_T3_PNSZ_IS14_E10value_typeET4_jRbjT5_S1A_jjP12ihipStream_tbEUljE_EEESV_SW_SX_S14_S18_S1A_T6_T7_T9_mT8_S1C_bDpT10_ENKUlT_T0_E_clISt17integral_constantIbLb1EES1O_IbLb0EEEEDaS1K_S1L_EUlS1K_E_NS1_11comp_targetILNS1_3genE8ELNS1_11target_archE1030ELNS1_3gpuE2ELNS1_3repE0EEENS1_30default_config_static_selectorELNS0_4arch9wavefront6targetE0EEEvSY_.uses_flat_scratch, 0
	.set _ZN7rocprim17ROCPRIM_400000_NS6detail17trampoline_kernelINS0_13select_configILj256ELj13ELNS0_17block_load_methodE3ELS4_3ELS4_3ELNS0_20block_scan_algorithmE0ELj4294967295EEENS1_25partition_config_selectorILNS1_17partition_subalgoE3EjNS0_10empty_typeEbEEZZNS1_14partition_implILS8_3ELb0ES6_jNS0_17counting_iteratorIjlEEPS9_SE_NS0_5tupleIJPjSE_EEENSF_IJSE_SE_EEES9_SG_JZNS1_25segmented_radix_sort_implINS0_14default_configELb0EPKsPsPKlPlN2at6native12_GLOBAL__N_18offset_tEEE10hipError_tPvRmT1_PNSt15iterator_traitsISY_E10value_typeET2_T3_PNSZ_IS14_E10value_typeET4_jRbjT5_S1A_jjP12ihipStream_tbEUljE_EEESV_SW_SX_S14_S18_S1A_T6_T7_T9_mT8_S1C_bDpT10_ENKUlT_T0_E_clISt17integral_constantIbLb1EES1O_IbLb0EEEEDaS1K_S1L_EUlS1K_E_NS1_11comp_targetILNS1_3genE8ELNS1_11target_archE1030ELNS1_3gpuE2ELNS1_3repE0EEENS1_30default_config_static_selectorELNS0_4arch9wavefront6targetE0EEEvSY_.has_dyn_sized_stack, 0
	.set _ZN7rocprim17ROCPRIM_400000_NS6detail17trampoline_kernelINS0_13select_configILj256ELj13ELNS0_17block_load_methodE3ELS4_3ELS4_3ELNS0_20block_scan_algorithmE0ELj4294967295EEENS1_25partition_config_selectorILNS1_17partition_subalgoE3EjNS0_10empty_typeEbEEZZNS1_14partition_implILS8_3ELb0ES6_jNS0_17counting_iteratorIjlEEPS9_SE_NS0_5tupleIJPjSE_EEENSF_IJSE_SE_EEES9_SG_JZNS1_25segmented_radix_sort_implINS0_14default_configELb0EPKsPsPKlPlN2at6native12_GLOBAL__N_18offset_tEEE10hipError_tPvRmT1_PNSt15iterator_traitsISY_E10value_typeET2_T3_PNSZ_IS14_E10value_typeET4_jRbjT5_S1A_jjP12ihipStream_tbEUljE_EEESV_SW_SX_S14_S18_S1A_T6_T7_T9_mT8_S1C_bDpT10_ENKUlT_T0_E_clISt17integral_constantIbLb1EES1O_IbLb0EEEEDaS1K_S1L_EUlS1K_E_NS1_11comp_targetILNS1_3genE8ELNS1_11target_archE1030ELNS1_3gpuE2ELNS1_3repE0EEENS1_30default_config_static_selectorELNS0_4arch9wavefront6targetE0EEEvSY_.has_recursion, 0
	.set _ZN7rocprim17ROCPRIM_400000_NS6detail17trampoline_kernelINS0_13select_configILj256ELj13ELNS0_17block_load_methodE3ELS4_3ELS4_3ELNS0_20block_scan_algorithmE0ELj4294967295EEENS1_25partition_config_selectorILNS1_17partition_subalgoE3EjNS0_10empty_typeEbEEZZNS1_14partition_implILS8_3ELb0ES6_jNS0_17counting_iteratorIjlEEPS9_SE_NS0_5tupleIJPjSE_EEENSF_IJSE_SE_EEES9_SG_JZNS1_25segmented_radix_sort_implINS0_14default_configELb0EPKsPsPKlPlN2at6native12_GLOBAL__N_18offset_tEEE10hipError_tPvRmT1_PNSt15iterator_traitsISY_E10value_typeET2_T3_PNSZ_IS14_E10value_typeET4_jRbjT5_S1A_jjP12ihipStream_tbEUljE_EEESV_SW_SX_S14_S18_S1A_T6_T7_T9_mT8_S1C_bDpT10_ENKUlT_T0_E_clISt17integral_constantIbLb1EES1O_IbLb0EEEEDaS1K_S1L_EUlS1K_E_NS1_11comp_targetILNS1_3genE8ELNS1_11target_archE1030ELNS1_3gpuE2ELNS1_3repE0EEENS1_30default_config_static_selectorELNS0_4arch9wavefront6targetE0EEEvSY_.has_indirect_call, 0
	.section	.AMDGPU.csdata,"",@progbits
; Kernel info:
; codeLenInByte = 0
; TotalNumSgprs: 0
; NumVgprs: 0
; ScratchSize: 0
; MemoryBound: 0
; FloatMode: 240
; IeeeMode: 1
; LDSByteSize: 0 bytes/workgroup (compile time only)
; SGPRBlocks: 0
; VGPRBlocks: 0
; NumSGPRsForWavesPerEU: 1
; NumVGPRsForWavesPerEU: 1
; NamedBarCnt: 0
; Occupancy: 16
; WaveLimiterHint : 0
; COMPUTE_PGM_RSRC2:SCRATCH_EN: 0
; COMPUTE_PGM_RSRC2:USER_SGPR: 2
; COMPUTE_PGM_RSRC2:TRAP_HANDLER: 0
; COMPUTE_PGM_RSRC2:TGID_X_EN: 1
; COMPUTE_PGM_RSRC2:TGID_Y_EN: 0
; COMPUTE_PGM_RSRC2:TGID_Z_EN: 0
; COMPUTE_PGM_RSRC2:TIDIG_COMP_CNT: 0
	.section	.text._ZN7rocprim17ROCPRIM_400000_NS6detail17trampoline_kernelINS0_13select_configILj256ELj13ELNS0_17block_load_methodE3ELS4_3ELS4_3ELNS0_20block_scan_algorithmE0ELj4294967295EEENS1_25partition_config_selectorILNS1_17partition_subalgoE3EjNS0_10empty_typeEbEEZZNS1_14partition_implILS8_3ELb0ES6_jNS0_17counting_iteratorIjlEEPS9_SE_NS0_5tupleIJPjSE_EEENSF_IJSE_SE_EEES9_SG_JZNS1_25segmented_radix_sort_implINS0_14default_configELb0EPKsPsPKlPlN2at6native12_GLOBAL__N_18offset_tEEE10hipError_tPvRmT1_PNSt15iterator_traitsISY_E10value_typeET2_T3_PNSZ_IS14_E10value_typeET4_jRbjT5_S1A_jjP12ihipStream_tbEUljE_EEESV_SW_SX_S14_S18_S1A_T6_T7_T9_mT8_S1C_bDpT10_ENKUlT_T0_E_clISt17integral_constantIbLb0EES1O_IbLb1EEEEDaS1K_S1L_EUlS1K_E_NS1_11comp_targetILNS1_3genE0ELNS1_11target_archE4294967295ELNS1_3gpuE0ELNS1_3repE0EEENS1_30default_config_static_selectorELNS0_4arch9wavefront6targetE0EEEvSY_,"axG",@progbits,_ZN7rocprim17ROCPRIM_400000_NS6detail17trampoline_kernelINS0_13select_configILj256ELj13ELNS0_17block_load_methodE3ELS4_3ELS4_3ELNS0_20block_scan_algorithmE0ELj4294967295EEENS1_25partition_config_selectorILNS1_17partition_subalgoE3EjNS0_10empty_typeEbEEZZNS1_14partition_implILS8_3ELb0ES6_jNS0_17counting_iteratorIjlEEPS9_SE_NS0_5tupleIJPjSE_EEENSF_IJSE_SE_EEES9_SG_JZNS1_25segmented_radix_sort_implINS0_14default_configELb0EPKsPsPKlPlN2at6native12_GLOBAL__N_18offset_tEEE10hipError_tPvRmT1_PNSt15iterator_traitsISY_E10value_typeET2_T3_PNSZ_IS14_E10value_typeET4_jRbjT5_S1A_jjP12ihipStream_tbEUljE_EEESV_SW_SX_S14_S18_S1A_T6_T7_T9_mT8_S1C_bDpT10_ENKUlT_T0_E_clISt17integral_constantIbLb0EES1O_IbLb1EEEEDaS1K_S1L_EUlS1K_E_NS1_11comp_targetILNS1_3genE0ELNS1_11target_archE4294967295ELNS1_3gpuE0ELNS1_3repE0EEENS1_30default_config_static_selectorELNS0_4arch9wavefront6targetE0EEEvSY_,comdat
	.globl	_ZN7rocprim17ROCPRIM_400000_NS6detail17trampoline_kernelINS0_13select_configILj256ELj13ELNS0_17block_load_methodE3ELS4_3ELS4_3ELNS0_20block_scan_algorithmE0ELj4294967295EEENS1_25partition_config_selectorILNS1_17partition_subalgoE3EjNS0_10empty_typeEbEEZZNS1_14partition_implILS8_3ELb0ES6_jNS0_17counting_iteratorIjlEEPS9_SE_NS0_5tupleIJPjSE_EEENSF_IJSE_SE_EEES9_SG_JZNS1_25segmented_radix_sort_implINS0_14default_configELb0EPKsPsPKlPlN2at6native12_GLOBAL__N_18offset_tEEE10hipError_tPvRmT1_PNSt15iterator_traitsISY_E10value_typeET2_T3_PNSZ_IS14_E10value_typeET4_jRbjT5_S1A_jjP12ihipStream_tbEUljE_EEESV_SW_SX_S14_S18_S1A_T6_T7_T9_mT8_S1C_bDpT10_ENKUlT_T0_E_clISt17integral_constantIbLb0EES1O_IbLb1EEEEDaS1K_S1L_EUlS1K_E_NS1_11comp_targetILNS1_3genE0ELNS1_11target_archE4294967295ELNS1_3gpuE0ELNS1_3repE0EEENS1_30default_config_static_selectorELNS0_4arch9wavefront6targetE0EEEvSY_ ; -- Begin function _ZN7rocprim17ROCPRIM_400000_NS6detail17trampoline_kernelINS0_13select_configILj256ELj13ELNS0_17block_load_methodE3ELS4_3ELS4_3ELNS0_20block_scan_algorithmE0ELj4294967295EEENS1_25partition_config_selectorILNS1_17partition_subalgoE3EjNS0_10empty_typeEbEEZZNS1_14partition_implILS8_3ELb0ES6_jNS0_17counting_iteratorIjlEEPS9_SE_NS0_5tupleIJPjSE_EEENSF_IJSE_SE_EEES9_SG_JZNS1_25segmented_radix_sort_implINS0_14default_configELb0EPKsPsPKlPlN2at6native12_GLOBAL__N_18offset_tEEE10hipError_tPvRmT1_PNSt15iterator_traitsISY_E10value_typeET2_T3_PNSZ_IS14_E10value_typeET4_jRbjT5_S1A_jjP12ihipStream_tbEUljE_EEESV_SW_SX_S14_S18_S1A_T6_T7_T9_mT8_S1C_bDpT10_ENKUlT_T0_E_clISt17integral_constantIbLb0EES1O_IbLb1EEEEDaS1K_S1L_EUlS1K_E_NS1_11comp_targetILNS1_3genE0ELNS1_11target_archE4294967295ELNS1_3gpuE0ELNS1_3repE0EEENS1_30default_config_static_selectorELNS0_4arch9wavefront6targetE0EEEvSY_
	.p2align	8
	.type	_ZN7rocprim17ROCPRIM_400000_NS6detail17trampoline_kernelINS0_13select_configILj256ELj13ELNS0_17block_load_methodE3ELS4_3ELS4_3ELNS0_20block_scan_algorithmE0ELj4294967295EEENS1_25partition_config_selectorILNS1_17partition_subalgoE3EjNS0_10empty_typeEbEEZZNS1_14partition_implILS8_3ELb0ES6_jNS0_17counting_iteratorIjlEEPS9_SE_NS0_5tupleIJPjSE_EEENSF_IJSE_SE_EEES9_SG_JZNS1_25segmented_radix_sort_implINS0_14default_configELb0EPKsPsPKlPlN2at6native12_GLOBAL__N_18offset_tEEE10hipError_tPvRmT1_PNSt15iterator_traitsISY_E10value_typeET2_T3_PNSZ_IS14_E10value_typeET4_jRbjT5_S1A_jjP12ihipStream_tbEUljE_EEESV_SW_SX_S14_S18_S1A_T6_T7_T9_mT8_S1C_bDpT10_ENKUlT_T0_E_clISt17integral_constantIbLb0EES1O_IbLb1EEEEDaS1K_S1L_EUlS1K_E_NS1_11comp_targetILNS1_3genE0ELNS1_11target_archE4294967295ELNS1_3gpuE0ELNS1_3repE0EEENS1_30default_config_static_selectorELNS0_4arch9wavefront6targetE0EEEvSY_,@function
_ZN7rocprim17ROCPRIM_400000_NS6detail17trampoline_kernelINS0_13select_configILj256ELj13ELNS0_17block_load_methodE3ELS4_3ELS4_3ELNS0_20block_scan_algorithmE0ELj4294967295EEENS1_25partition_config_selectorILNS1_17partition_subalgoE3EjNS0_10empty_typeEbEEZZNS1_14partition_implILS8_3ELb0ES6_jNS0_17counting_iteratorIjlEEPS9_SE_NS0_5tupleIJPjSE_EEENSF_IJSE_SE_EEES9_SG_JZNS1_25segmented_radix_sort_implINS0_14default_configELb0EPKsPsPKlPlN2at6native12_GLOBAL__N_18offset_tEEE10hipError_tPvRmT1_PNSt15iterator_traitsISY_E10value_typeET2_T3_PNSZ_IS14_E10value_typeET4_jRbjT5_S1A_jjP12ihipStream_tbEUljE_EEESV_SW_SX_S14_S18_S1A_T6_T7_T9_mT8_S1C_bDpT10_ENKUlT_T0_E_clISt17integral_constantIbLb0EES1O_IbLb1EEEEDaS1K_S1L_EUlS1K_E_NS1_11comp_targetILNS1_3genE0ELNS1_11target_archE4294967295ELNS1_3gpuE0ELNS1_3repE0EEENS1_30default_config_static_selectorELNS0_4arch9wavefront6targetE0EEEvSY_: ; @_ZN7rocprim17ROCPRIM_400000_NS6detail17trampoline_kernelINS0_13select_configILj256ELj13ELNS0_17block_load_methodE3ELS4_3ELS4_3ELNS0_20block_scan_algorithmE0ELj4294967295EEENS1_25partition_config_selectorILNS1_17partition_subalgoE3EjNS0_10empty_typeEbEEZZNS1_14partition_implILS8_3ELb0ES6_jNS0_17counting_iteratorIjlEEPS9_SE_NS0_5tupleIJPjSE_EEENSF_IJSE_SE_EEES9_SG_JZNS1_25segmented_radix_sort_implINS0_14default_configELb0EPKsPsPKlPlN2at6native12_GLOBAL__N_18offset_tEEE10hipError_tPvRmT1_PNSt15iterator_traitsISY_E10value_typeET2_T3_PNSZ_IS14_E10value_typeET4_jRbjT5_S1A_jjP12ihipStream_tbEUljE_EEESV_SW_SX_S14_S18_S1A_T6_T7_T9_mT8_S1C_bDpT10_ENKUlT_T0_E_clISt17integral_constantIbLb0EES1O_IbLb1EEEEDaS1K_S1L_EUlS1K_E_NS1_11comp_targetILNS1_3genE0ELNS1_11target_archE4294967295ELNS1_3gpuE0ELNS1_3repE0EEENS1_30default_config_static_selectorELNS0_4arch9wavefront6targetE0EEEvSY_
; %bb.0:
	s_clause 0x5
	s_load_b64 s[16:17], s[0:1], 0x10
	s_load_b128 s[12:15], s[0:1], 0x48
	s_load_b64 s[18:19], s[0:1], 0x58
	s_load_b64 s[20:21], s[0:1], 0x68
	s_load_b32 s3, s[0:1], 0x90
	s_load_b128 s[4:7], s[0:1], 0x80
	v_cmp_eq_u32_e64 s2, 0, v0
	s_and_saveexec_b32 s8, s2
	s_cbranch_execz .LBB1001_4
; %bb.1:
	s_mov_b32 s10, exec_lo
	s_mov_b32 s9, exec_lo
	v_mbcnt_lo_u32_b32 v1, s10, 0
                                        ; implicit-def: $vgpr2
	s_delay_alu instid0(VALU_DEP_1)
	v_cmpx_eq_u32_e32 0, v1
	s_cbranch_execz .LBB1001_3
; %bb.2:
	s_load_b64 s[22:23], s[0:1], 0x78
	s_bcnt1_i32_b32 s10, s10
	s_delay_alu instid0(SALU_CYCLE_1)
	v_dual_mov_b32 v2, 0 :: v_dual_mov_b32 v3, s10
	s_wait_xcnt 0x0
	s_wait_kmcnt 0x0
	global_atomic_add_u32 v2, v2, v3, s[22:23] th:TH_ATOMIC_RETURN scope:SCOPE_DEV
.LBB1001_3:
	s_wait_xcnt 0x0
	s_or_b32 exec_lo, exec_lo, s9
	s_wait_loadcnt 0x0
	v_readfirstlane_b32 s9, v2
	s_delay_alu instid0(VALU_DEP_1)
	v_dual_mov_b32 v2, 0 :: v_dual_add_nc_u32 v1, s9, v1
	ds_store_b32 v2, v1
.LBB1001_4:
	s_or_b32 exec_lo, exec_lo, s8
	v_dual_mov_b32 v1, 0 :: v_dual_lshlrev_b32 v19, 2, v0
	s_clause 0x2
	s_load_b32 s8, s[0:1], 0x8
	s_load_b64 s[10:11], s[0:1], 0x28
	s_load_b32 s9, s[0:1], 0x70
	s_wait_dscnt 0x0
	s_barrier_signal -1
	s_barrier_wait -1
	ds_load_b32 v4, v1
	s_wait_dscnt 0x0
	s_barrier_signal -1
	s_barrier_wait -1
	s_wait_kmcnt 0x0
	global_load_b64 v[42:43], v1, s[14:15]
	s_mov_b32 s1, 0
	s_add_co_i32 s8, s8, s16
	s_mul_i32 s0, s9, 0xd00
	s_add_co_i32 s9, s9, -1
	s_wait_xcnt 0x0
	s_add_nc_u64 s[14:15], s[16:17], s[0:1]
	s_add_co_i32 s0, s0, s16
	v_cmp_gt_u64_e64 s1, s[18:19], s[14:15]
	v_readfirstlane_b32 s23, v4
	s_sub_co_i32 s22, s18, s0
	v_cmp_ne_u32_e32 vcc_lo, s9, v4
	s_addk_co_i32 s22, 0xd00
	s_mov_b32 s15, -1
	s_cmp_eq_u32 s23, s9
	s_mul_i32 s14, s23, 0xd00
	s_cselect_b32 s9, -1, 0
	s_or_b32 s1, s1, vcc_lo
	s_delay_alu instid0(SALU_CYCLE_1)
	s_and_b32 vcc_lo, exec_lo, s1
	s_cbranch_vccz .LBB1001_6
; %bb.5:
	v_add3_u32 v1, s14, s8, v0
	s_mov_b32 s15, 0
	s_delay_alu instid0(VALU_DEP_1)
	v_add_nc_u32_e32 v2, 0x100, v1
	v_add_nc_u32_e32 v3, 0x200, v1
	;; [unrolled: 1-line block ×12, first 2 shown]
	ds_store_2addr_stride64_b32 v19, v1, v2 offset1:4
	ds_store_2addr_stride64_b32 v19, v3, v5 offset0:8 offset1:12
	ds_store_2addr_stride64_b32 v19, v6, v7 offset0:16 offset1:20
	ds_store_2addr_stride64_b32 v19, v8, v9 offset0:24 offset1:28
	ds_store_2addr_stride64_b32 v19, v10, v11 offset0:32 offset1:36
	ds_store_2addr_stride64_b32 v19, v12, v13 offset0:40 offset1:44
	ds_store_b32 v19, v14 offset:12288
	s_wait_loadcnt_dscnt 0x0
	s_barrier_signal -1
	s_barrier_wait -1
.LBB1001_6:
	v_cmp_gt_u32_e64 s0, s22, v0
	v_or_b32_e32 v40, 0x100, v0
	v_or_b32_e32 v38, 0x200, v0
	;; [unrolled: 1-line block ×12, first 2 shown]
	s_and_not1_b32 vcc_lo, exec_lo, s15
	s_cbranch_vccnz .LBB1001_8
; %bb.7:
	s_add_co_i32 s8, s14, s8
	v_cmp_gt_u32_e32 vcc_lo, s22, v40
	v_dual_add_nc_u32 v1, s8, v0 :: v_dual_add_nc_u32 v3, s8, v38
	v_dual_add_nc_u32 v2, s8, v40 :: v_dual_add_nc_u32 v8, s8, v30
	s_delay_alu instid0(VALU_DEP_2) | instskip(NEXT) | instid1(VALU_DEP_2)
	v_dual_add_nc_u32 v9, s8, v28 :: v_dual_cndmask_b32 v1, 0, v1, s0
	v_dual_cndmask_b32 v2, 0, v2 :: v_dual_add_nc_u32 v5, s8, v36
	v_cmp_gt_u32_e32 vcc_lo, s22, v38
	v_dual_add_nc_u32 v12, s8, v22 :: v_dual_add_nc_u32 v13, s8, v20
	v_dual_add_nc_u32 v6, s8, v34 :: v_dual_add_nc_u32 v7, s8, v32
	v_cndmask_b32_e32 v3, 0, v3, vcc_lo
	v_cmp_gt_u32_e32 vcc_lo, s22, v36
	v_dual_add_nc_u32 v10, s8, v26 :: v_dual_add_nc_u32 v11, s8, v24
	v_cndmask_b32_e32 v5, 0, v5, vcc_lo
	v_cmp_gt_u32_e32 vcc_lo, s22, v34
	v_cndmask_b32_e32 v6, 0, v6, vcc_lo
	v_cmp_gt_u32_e32 vcc_lo, s22, v32
	;; [unrolled: 2-line block ×7, first 2 shown]
	v_dual_add_nc_u32 v14, s8, v18 :: v_dual_cndmask_b32 v12, 0, v12, vcc_lo
	v_cmp_gt_u32_e32 vcc_lo, s22, v20
	v_cndmask_b32_e32 v13, 0, v13, vcc_lo
	v_cmp_gt_u32_e32 vcc_lo, s22, v18
	s_delay_alu instid0(VALU_DEP_4)
	v_cndmask_b32_e32 v14, 0, v14, vcc_lo
	ds_store_2addr_stride64_b32 v19, v1, v2 offset1:4
	ds_store_2addr_stride64_b32 v19, v3, v5 offset0:8 offset1:12
	ds_store_2addr_stride64_b32 v19, v6, v7 offset0:16 offset1:20
	;; [unrolled: 1-line block ×5, first 2 shown]
	ds_store_b32 v19, v14 offset:12288
	s_wait_loadcnt_dscnt 0x0
	s_barrier_signal -1
	s_barrier_wait -1
.LBB1001_8:
	v_mul_u32_u24_e32 v23, 13, v0
	s_wait_loadcnt 0x0
	v_cndmask_b32_e64 v21, 0, 1, s1
	s_and_not1_b32 vcc_lo, exec_lo, s1
	s_delay_alu instid0(VALU_DEP_2)
	v_lshlrev_b32_e32 v2, 2, v23
	ds_load_2addr_b32 v[52:53], v2 offset0:2 offset1:3
	ds_load_2addr_b32 v[48:49], v2 offset0:6 offset1:7
	;; [unrolled: 1-line block ×3, first 2 shown]
	ds_load_2addr_b32 v[54:55], v2 offset1:1
	ds_load_2addr_b32 v[44:45], v2 offset0:10 offset1:11
	ds_load_b32 v1, v2 offset:48
	ds_load_2addr_b32 v[46:47], v2 offset0:8 offset1:9
	s_wait_dscnt 0x0
	s_barrier_signal -1
	s_barrier_wait -1
	s_cbranch_vccnz .LBB1001_10
; %bb.9:
	v_dual_add_nc_u32 v2, s5, v53 :: v_dual_add_nc_u32 v3, s5, v55
	v_dual_add_nc_u32 v5, s5, v54 :: v_dual_add_nc_u32 v6, s5, v52
	;; [unrolled: 1-line block ×4, first 2 shown]
	s_delay_alu instid0(VALU_DEP_3) | instskip(NEXT) | instid1(VALU_DEP_4)
	v_mul_lo_u32 v6, v6, s4
	v_mul_lo_u32 v5, v5, s4
	;; [unrolled: 1-line block ×8, first 2 shown]
	v_dual_add_nc_u32 v11, s5, v50 :: v_dual_add_nc_u32 v12, s7, v50
	v_dual_add_nc_u32 v13, s5, v48 :: v_dual_add_nc_u32 v15, s7, v45
	v_add_nc_u32_e32 v16, s5, v44
	s_delay_alu instid0(VALU_DEP_3) | instskip(NEXT) | instid1(VALU_DEP_4)
	v_mul_lo_u32 v11, v11, s4
	v_mul_lo_u32 v12, v12, s6
	v_dual_sub_nc_u32 v2, v2, v7 :: v_dual_sub_nc_u32 v3, v3, v8
	v_dual_sub_nc_u32 v5, v5, v9 :: v_dual_sub_nc_u32 v6, v6, v10
	v_dual_add_nc_u32 v7, s5, v51 :: v_dual_add_nc_u32 v8, s7, v51
	v_dual_add_nc_u32 v9, s5, v49 :: v_dual_add_nc_u32 v10, s7, v49
	s_delay_alu instid0(VALU_DEP_4) | instskip(NEXT) | instid1(VALU_DEP_3)
	v_cmp_lt_u32_e32 vcc_lo, s3, v2
	v_mul_lo_u32 v7, v7, s4
	s_delay_alu instid0(VALU_DEP_4) | instskip(NEXT) | instid1(VALU_DEP_4)
	v_mul_lo_u32 v8, v8, s6
	v_mul_lo_u32 v9, v9, s4
	;; [unrolled: 1-line block ×3, first 2 shown]
	v_cndmask_b32_e64 v2, 0, 1, vcc_lo
	v_cmp_lt_u32_e32 vcc_lo, s3, v3
	v_dual_add_nc_u32 v17, s7, v47 :: v_dual_add_nc_u32 v25, s7, v46
	v_mul_lo_u32 v15, v15, s6
	v_add_nc_u32_e32 v14, s5, v46
	v_cndmask_b32_e64 v3, 0, 1, vcc_lo
	s_delay_alu instid0(VALU_DEP_4) | instskip(SKIP_4) | instid1(VALU_DEP_3)
	v_mul_lo_u32 v17, v17, s6
	v_sub_nc_u32_e32 v7, v7, v8
	v_dual_add_nc_u32 v8, s7, v48 :: v_dual_sub_nc_u32 v9, v9, v10
	v_dual_sub_nc_u32 v10, v11, v12 :: v_dual_add_nc_u32 v11, s5, v45
	v_mul_lo_u32 v13, v13, s4
	v_mul_lo_u32 v8, v8, s6
	v_add_nc_u32_e32 v12, s5, v47
	v_cmp_lt_u32_e32 vcc_lo, s3, v7
	v_mul_lo_u32 v11, v11, s4
	v_lshlrev_b16 v3, 8, v3
	v_mul_lo_u32 v14, v14, s4
	v_mul_lo_u32 v12, v12, s4
	v_cndmask_b32_e64 v7, 0, 1, vcc_lo
	v_cmp_lt_u32_e32 vcc_lo, s3, v9
	v_lshrrev_b32_e32 v3, 8, v3
	v_mul_lo_u32 v25, v25, s6
	v_sub_nc_u32_e32 v8, v13, v8
	v_lshlrev_b16 v7, 8, v7
	v_cndmask_b32_e64 v9, 0, 1, vcc_lo
	v_sub_nc_u32_e32 v11, v11, v15
	v_cmp_lt_u32_e32 vcc_lo, s3, v5
	s_delay_alu instid0(VALU_DEP_4)
	v_dual_add_nc_u32 v27, s7, v44 :: v_dual_lshrrev_b32 v7, 8, v7
	v_sub_nc_u32_e32 v12, v12, v17
	v_mul_lo_u32 v13, v16, s4
	v_cndmask_b32_e64 v5, 0, 1, vcc_lo
	v_cmp_lt_u32_e32 vcc_lo, s3, v11
	v_mul_lo_u32 v16, v27, s6
	v_dual_add_nc_u32 v15, s5, v1 :: v_dual_add_nc_u32 v27, s7, v1
	v_lshlrev_b16 v2, 8, v2
	v_cndmask_b32_e64 v11, 0, 1, vcc_lo
	v_cmp_lt_u32_e32 vcc_lo, s3, v12
	s_delay_alu instid0(VALU_DEP_4)
	v_mul_lo_u32 v15, v15, s4
	v_mul_lo_u32 v17, v27, s6
	v_sub_nc_u32_e32 v14, v14, v25
	v_lshlrev_b16 v3, 8, v3
	v_cndmask_b32_e64 v12, 0, 1, vcc_lo
	v_cmp_lt_u32_e32 vcc_lo, s3, v6
	v_dual_sub_nc_u32 v13, v13, v16 :: v_dual_lshrrev_b32 v2, 8, v2
	s_delay_alu instid0(VALU_DEP_4)
	v_or_b32_e32 v3, v5, v3
	v_lshlrev_b16 v5, 8, v11
	v_cndmask_b32_e64 v6, 0, 1, vcc_lo
	v_cmp_lt_u32_e32 vcc_lo, s3, v10
	v_lshlrev_b16 v11, 8, v12
	v_lshlrev_b16 v9, 8, v9
	v_sub_nc_u32_e32 v12, v15, v17
	v_lshlrev_b16 v2, 8, v2
	v_cndmask_b32_e64 v10, 0, 1, vcc_lo
	v_cmp_lt_u32_e32 vcc_lo, s3, v8
	v_lshlrev_b16 v7, 8, v7
	v_dual_lshrrev_b32 v11, 8, v11 :: v_dual_lshrrev_b32 v5, 8, v5
	v_or_b32_e32 v2, v6, v2
	v_cndmask_b32_e64 v8, 0, 1, vcc_lo
	v_cmp_lt_u32_e32 vcc_lo, s3, v14
	s_delay_alu instid0(VALU_DEP_4)
	v_lshlrev_b16 v11, 8, v11
	v_lshlrev_b16 v5, 8, v5
	v_dual_lshlrev_b32 v2, 16, v2 :: v_dual_bitop2_b32 v6, v10, v7 bitop3:0x54
	v_cndmask_b32_e64 v14, 0, 1, vcc_lo
	v_cmp_lt_u32_e32 vcc_lo, s3, v13
	v_or_b32_e32 v7, v8, v9
	v_and_b32_e32 v3, 0xffff, v3
	v_and_b32_e32 v6, 0xffff, v6
	v_cndmask_b32_e64 v13, 0, 1, vcc_lo
	s_delay_alu instid0(VALU_DEP_4) | instskip(SKIP_2) | instid1(VALU_DEP_4)
	v_lshlrev_b32_e32 v7, 16, v7
	v_cmp_lt_u32_e32 vcc_lo, s3, v12
	v_or_b32_e32 v35, v3, v2
	v_or_b32_e32 v5, v13, v5
	;; [unrolled: 1-line block ×3, first 2 shown]
	v_cndmask_b32_e64 v25, 0, 1, vcc_lo
	s_delay_alu instid0(VALU_DEP_3) | instskip(NEXT) | instid1(VALU_DEP_3)
	v_dual_lshlrev_b32 v5, 16, v5 :: v_dual_bitop2_b32 v31, v6, v7 bitop3:0x54
	v_and_b32_e32 v8, 0xffff, v8
	s_delay_alu instid0(VALU_DEP_1)
	v_or_b32_e32 v27, v8, v5
	s_cbranch_execz .LBB1001_11
	s_branch .LBB1001_38
.LBB1001_10:
                                        ; implicit-def: $vgpr25
                                        ; implicit-def: $vgpr27
                                        ; implicit-def: $vgpr31
                                        ; implicit-def: $vgpr35
.LBB1001_11:
	v_dual_mov_b32 v3, 0 :: v_dual_mov_b32 v2, 0
	s_mov_b32 s0, exec_lo
	v_cmpx_gt_u32_e64 s22, v23
	s_cbranch_execz .LBB1001_13
; %bb.12:
	v_dual_add_nc_u32 v2, s5, v54 :: v_dual_add_nc_u32 v5, s7, v54
	s_delay_alu instid0(VALU_DEP_1) | instskip(NEXT) | instid1(VALU_DEP_2)
	v_mul_lo_u32 v2, v2, s4
	v_mul_lo_u32 v5, v5, s6
	s_delay_alu instid0(VALU_DEP_1) | instskip(NEXT) | instid1(VALU_DEP_1)
	v_sub_nc_u32_e32 v2, v2, v5
	v_cmp_lt_u32_e32 vcc_lo, s3, v2
	v_cndmask_b32_e64 v2, 0, 1, vcc_lo
.LBB1001_13:
	s_or_b32 exec_lo, exec_lo, s0
	v_add_nc_u32_e32 v5, 1, v23
	s_mov_b32 s0, exec_lo
	s_delay_alu instid0(VALU_DEP_1)
	v_cmpx_gt_u32_e64 s22, v5
	s_cbranch_execz .LBB1001_15
; %bb.14:
	v_dual_add_nc_u32 v3, s5, v55 :: v_dual_add_nc_u32 v5, s7, v55
	s_delay_alu instid0(VALU_DEP_1) | instskip(NEXT) | instid1(VALU_DEP_2)
	v_mul_lo_u32 v3, v3, s4
	v_mul_lo_u32 v5, v5, s6
	s_delay_alu instid0(VALU_DEP_1) | instskip(NEXT) | instid1(VALU_DEP_1)
	v_sub_nc_u32_e32 v3, v3, v5
	v_cmp_lt_u32_e32 vcc_lo, s3, v3
	v_cndmask_b32_e64 v3, 0, 1, vcc_lo
.LBB1001_15:
	s_or_b32 exec_lo, exec_lo, s0
	v_dual_mov_b32 v6, 0 :: v_dual_add_nc_u32 v5, 2, v23
	s_delay_alu instid0(VALU_DEP_1)
	v_cmp_gt_u32_e32 vcc_lo, s22, v5
	v_mov_b32_e32 v5, 0
	s_and_saveexec_b32 s0, vcc_lo
	s_cbranch_execz .LBB1001_17
; %bb.16:
	v_dual_add_nc_u32 v5, s5, v52 :: v_dual_add_nc_u32 v7, s7, v52
	s_delay_alu instid0(VALU_DEP_1) | instskip(NEXT) | instid1(VALU_DEP_2)
	v_mul_lo_u32 v5, v5, s4
	v_mul_lo_u32 v7, v7, s6
	s_delay_alu instid0(VALU_DEP_1) | instskip(NEXT) | instid1(VALU_DEP_1)
	v_sub_nc_u32_e32 v5, v5, v7
	v_cmp_lt_u32_e32 vcc_lo, s3, v5
	v_cndmask_b32_e64 v5, 0, 1, vcc_lo
.LBB1001_17:
	s_or_b32 exec_lo, exec_lo, s0
	v_add_nc_u32_e32 v7, 3, v23
	s_mov_b32 s0, exec_lo
	s_delay_alu instid0(VALU_DEP_1)
	v_cmpx_gt_u32_e64 s22, v7
	s_cbranch_execz .LBB1001_19
; %bb.18:
	v_dual_add_nc_u32 v6, s5, v53 :: v_dual_add_nc_u32 v7, s7, v53
	s_delay_alu instid0(VALU_DEP_1) | instskip(NEXT) | instid1(VALU_DEP_2)
	v_mul_lo_u32 v6, v6, s4
	v_mul_lo_u32 v7, v7, s6
	s_delay_alu instid0(VALU_DEP_1) | instskip(NEXT) | instid1(VALU_DEP_1)
	v_sub_nc_u32_e32 v6, v6, v7
	v_cmp_lt_u32_e32 vcc_lo, s3, v6
	v_cndmask_b32_e64 v6, 0, 1, vcc_lo
.LBB1001_19:
	s_or_b32 exec_lo, exec_lo, s0
	v_dual_mov_b32 v8, 0 :: v_dual_add_nc_u32 v7, 4, v23
	s_delay_alu instid0(VALU_DEP_1)
	v_cmp_gt_u32_e32 vcc_lo, s22, v7
	v_mov_b32_e32 v7, 0
	s_and_saveexec_b32 s0, vcc_lo
	;; [unrolled: 33-line block ×5, first 2 shown]
	s_cbranch_execz .LBB1001_33
; %bb.32:
	v_dual_add_nc_u32 v13, s5, v44 :: v_dual_add_nc_u32 v15, s7, v44
	s_delay_alu instid0(VALU_DEP_1) | instskip(NEXT) | instid1(VALU_DEP_2)
	v_mul_lo_u32 v13, v13, s4
	v_mul_lo_u32 v15, v15, s6
	s_delay_alu instid0(VALU_DEP_1) | instskip(NEXT) | instid1(VALU_DEP_1)
	v_sub_nc_u32_e32 v13, v13, v15
	v_cmp_lt_u32_e32 vcc_lo, s3, v13
	v_cndmask_b32_e64 v13, 0, 1, vcc_lo
.LBB1001_33:
	s_or_b32 exec_lo, exec_lo, s0
	v_add_nc_u32_e32 v15, 11, v23
	s_mov_b32 s0, exec_lo
	s_delay_alu instid0(VALU_DEP_1)
	v_cmpx_gt_u32_e64 s22, v15
	s_cbranch_execz .LBB1001_35
; %bb.34:
	v_dual_add_nc_u32 v14, s5, v45 :: v_dual_add_nc_u32 v15, s7, v45
	s_delay_alu instid0(VALU_DEP_1) | instskip(NEXT) | instid1(VALU_DEP_2)
	v_mul_lo_u32 v14, v14, s4
	v_mul_lo_u32 v15, v15, s6
	s_delay_alu instid0(VALU_DEP_1) | instskip(NEXT) | instid1(VALU_DEP_1)
	v_sub_nc_u32_e32 v14, v14, v15
	v_cmp_lt_u32_e32 vcc_lo, s3, v14
	v_cndmask_b32_e64 v14, 0, 1, vcc_lo
.LBB1001_35:
	s_or_b32 exec_lo, exec_lo, s0
	v_dual_add_nc_u32 v15, 12, v23 :: v_dual_mov_b32 v25, 0
	s_mov_b32 s0, exec_lo
	s_delay_alu instid0(VALU_DEP_1)
	v_cmpx_gt_u32_e64 s22, v15
	s_cbranch_execz .LBB1001_37
; %bb.36:
	v_dual_add_nc_u32 v15, s7, v1 :: v_dual_add_nc_u32 v16, s5, v1
	s_delay_alu instid0(VALU_DEP_1) | instskip(NEXT) | instid1(VALU_DEP_2)
	v_mul_lo_u32 v15, v15, s6
	v_mul_lo_u32 v16, v16, s4
	s_delay_alu instid0(VALU_DEP_1) | instskip(NEXT) | instid1(VALU_DEP_1)
	v_sub_nc_u32_e32 v15, v16, v15
	v_cmp_lt_u32_e32 vcc_lo, s3, v15
	v_cndmask_b32_e64 v25, 0, 1, vcc_lo
.LBB1001_37:
	s_or_b32 exec_lo, exec_lo, s0
	v_lshlrev_b16 v6, 8, v6
	v_lshlrev_b16 v8, 8, v8
	;; [unrolled: 1-line block ×5, first 2 shown]
	v_or_b32_e32 v5, v5, v6
	v_or_b32_e32 v6, v7, v8
	;; [unrolled: 1-line block ×3, first 2 shown]
	s_delay_alu instid0(VALU_DEP_1) | instskip(NEXT) | instid1(VALU_DEP_4)
	v_dual_lshlrev_b32 v7, 16, v7 :: v_dual_bitop2_b32 v8, v11, v12 bitop3:0x54
	v_dual_lshlrev_b32 v5, 16, v5 :: v_dual_bitop2_b32 v2, v2, v3 bitop3:0x54
	v_lshlrev_b16 v3, 8, v14
	s_delay_alu instid0(VALU_DEP_3) | instskip(NEXT) | instid1(VALU_DEP_3)
	v_and_b32_e32 v8, 0xffff, v8
	v_and_b32_e32 v2, 0xffff, v2
	s_delay_alu instid0(VALU_DEP_3) | instskip(NEXT) | instid1(VALU_DEP_1)
	v_or_b32_e32 v3, v13, v3
	v_dual_lshlrev_b32 v3, 16, v3 :: v_dual_bitop2_b32 v35, v2, v5 bitop3:0x54
	v_and_b32_e32 v6, 0xffff, v6
	s_delay_alu instid0(VALU_DEP_2) | instskip(NEXT) | instid1(VALU_DEP_2)
	v_or_b32_e32 v27, v8, v3
	v_or_b32_e32 v31, v6, v7
.LBB1001_38:
	s_delay_alu instid0(VALU_DEP_4) | instskip(SKIP_2) | instid1(VALU_DEP_4)
	v_bfe_u32 v39, v35, 16, 8
	v_bfe_u32 v41, v35, 8, 8
	v_and_b32_e32 v57, 0xff, v35
	v_and_b32_e32 v58, 0xff, v31
	v_mbcnt_lo_u32_b32 v64, -1, 0
	v_lshrrev_b32_e32 v37, 24, v35
	v_bfe_u32 v59, v31, 16, 8
	v_add3_u32 v2, v41, v57, v39
	v_bfe_u32 v60, v31, 8, 8
	v_dual_lshrrev_b32 v33, 24, v31 :: v_dual_bitop2_b32 v5, 15, v64 bitop3:0x40
	v_lshrrev_b32_e32 v65, 5, v0
	s_delay_alu instid0(VALU_DEP_4)
	v_add3_u32 v2, v2, v37, v58
	v_and_b32_e32 v61, 0xff, v27
	v_bfe_u32 v62, v27, 16, 8
	v_bfe_u32 v63, v27, 8, 8
	v_dual_lshrrev_b32 v29, 24, v27 :: v_dual_bitop2_b32 v6, 31, v0 bitop3:0x54
	v_add3_u32 v2, v2, v60, v59
	v_and_b32_e32 v3, 0xff, v25
	v_and_b32_e32 v7, 16, v64
	v_cmp_ne_u32_e32 vcc_lo, 0, v4
	v_cmp_eq_u32_e64 s6, 0, v5
	v_add3_u32 v2, v2, v33, v61
	v_cmp_lt_u32_e64 s5, 1, v5
	v_cmp_lt_u32_e64 s4, 3, v5
	;; [unrolled: 1-line block ×3, first 2 shown]
	v_cmp_eq_u32_e64 s1, 0, v7
	v_add3_u32 v2, v2, v63, v62
	v_cmp_eq_u32_e64 s0, v0, v6
	s_mov_b32 s7, -1
	v_add3_u32 v66, v2, v29, v3
	s_cbranch_vccz .LBB1001_60
; %bb.39:
	s_delay_alu instid0(VALU_DEP_1) | instskip(NEXT) | instid1(VALU_DEP_1)
	v_mov_b32_dpp v2, v66 row_shr:1 row_mask:0xf bank_mask:0xf
	v_cndmask_b32_e64 v2, v2, 0, s6
	s_delay_alu instid0(VALU_DEP_1) | instskip(NEXT) | instid1(VALU_DEP_1)
	v_add_nc_u32_e32 v2, v2, v66
	v_mov_b32_dpp v3, v2 row_shr:2 row_mask:0xf bank_mask:0xf
	s_delay_alu instid0(VALU_DEP_1) | instskip(NEXT) | instid1(VALU_DEP_1)
	v_cndmask_b32_e64 v3, 0, v3, s5
	v_add_nc_u32_e32 v2, v2, v3
	s_delay_alu instid0(VALU_DEP_1) | instskip(NEXT) | instid1(VALU_DEP_1)
	v_mov_b32_dpp v3, v2 row_shr:4 row_mask:0xf bank_mask:0xf
	v_cndmask_b32_e64 v3, 0, v3, s4
	s_delay_alu instid0(VALU_DEP_1) | instskip(NEXT) | instid1(VALU_DEP_1)
	v_add_nc_u32_e32 v2, v2, v3
	v_mov_b32_dpp v3, v2 row_shr:8 row_mask:0xf bank_mask:0xf
	s_delay_alu instid0(VALU_DEP_1) | instskip(NEXT) | instid1(VALU_DEP_1)
	v_cndmask_b32_e64 v3, 0, v3, s3
	v_add_nc_u32_e32 v2, v2, v3
	ds_swizzle_b32 v3, v2 offset:swizzle(BROADCAST,32,15)
	s_wait_dscnt 0x0
	v_cndmask_b32_e64 v3, v3, 0, s1
	s_delay_alu instid0(VALU_DEP_1)
	v_add_nc_u32_e32 v2, v2, v3
	s_and_saveexec_b32 s7, s0
; %bb.40:
	v_lshlrev_b32_e32 v3, 2, v65
	ds_store_b32 v3, v2
; %bb.41:
	s_or_b32 exec_lo, exec_lo, s7
	s_delay_alu instid0(SALU_CYCLE_1)
	s_mov_b32 s7, exec_lo
	s_wait_dscnt 0x0
	s_barrier_signal -1
	s_barrier_wait -1
	v_cmpx_gt_u32_e32 8, v0
	s_cbranch_execz .LBB1001_43
; %bb.42:
	ds_load_b32 v3, v19
	s_wait_dscnt 0x0
	v_mov_b32_dpp v6, v3 row_shr:1 row_mask:0xf bank_mask:0xf
	v_and_b32_e32 v5, 7, v64
	s_delay_alu instid0(VALU_DEP_1) | instskip(NEXT) | instid1(VALU_DEP_3)
	v_cmp_ne_u32_e32 vcc_lo, 0, v5
	v_cndmask_b32_e32 v6, 0, v6, vcc_lo
	v_cmp_lt_u32_e32 vcc_lo, 1, v5
	s_delay_alu instid0(VALU_DEP_2) | instskip(NEXT) | instid1(VALU_DEP_1)
	v_add_nc_u32_e32 v3, v6, v3
	v_mov_b32_dpp v6, v3 row_shr:2 row_mask:0xf bank_mask:0xf
	s_delay_alu instid0(VALU_DEP_1) | instskip(SKIP_1) | instid1(VALU_DEP_2)
	v_cndmask_b32_e32 v6, 0, v6, vcc_lo
	v_cmp_lt_u32_e32 vcc_lo, 3, v5
	v_add_nc_u32_e32 v3, v3, v6
	s_delay_alu instid0(VALU_DEP_1) | instskip(NEXT) | instid1(VALU_DEP_1)
	v_mov_b32_dpp v6, v3 row_shr:4 row_mask:0xf bank_mask:0xf
	v_cndmask_b32_e32 v5, 0, v6, vcc_lo
	s_delay_alu instid0(VALU_DEP_1)
	v_add_nc_u32_e32 v3, v3, v5
	ds_store_b32 v19, v3
.LBB1001_43:
	s_or_b32 exec_lo, exec_lo, s7
	s_delay_alu instid0(SALU_CYCLE_1)
	s_mov_b32 s8, exec_lo
	v_cmp_gt_u32_e32 vcc_lo, 32, v0
	s_wait_dscnt 0x0
	s_barrier_signal -1
	s_barrier_wait -1
                                        ; implicit-def: $vgpr10
	v_cmpx_lt_u32_e32 31, v0
	s_cbranch_execz .LBB1001_45
; %bb.44:
	v_lshl_add_u32 v3, v65, 2, -4
	ds_load_b32 v10, v3
	s_wait_dscnt 0x0
	v_add_nc_u32_e32 v2, v10, v2
.LBB1001_45:
	s_or_b32 exec_lo, exec_lo, s8
	v_sub_co_u32 v3, s7, v64, 1
	s_delay_alu instid0(VALU_DEP_1) | instskip(NEXT) | instid1(VALU_DEP_1)
	v_cmp_gt_i32_e64 s8, 0, v3
	v_cndmask_b32_e64 v3, v3, v64, s8
	s_delay_alu instid0(VALU_DEP_1)
	v_lshlrev_b32_e32 v3, 2, v3
	ds_bpermute_b32 v11, v3, v2
	s_and_saveexec_b32 s8, vcc_lo
	s_cbranch_execz .LBB1001_65
; %bb.46:
	v_dual_mov_b32 v9, 0 :: v_dual_add_nc_u32 v12, 32, v4
	ds_load_b32 v2, v9 offset:28
	s_and_saveexec_b32 s15, s7
	s_cbranch_execz .LBB1001_48
; %bb.47:
	v_mov_b32_e32 v3, 1
	s_wait_dscnt 0x0
	global_store_b64 v12, v[2:3], s[20:21] scale_offset scope:SCOPE_DEV
.LBB1001_48:
	s_wait_xcnt 0x0
	s_or_b32 exec_lo, exec_lo, s15
	v_xad_u32 v4, v64, -1, v4
	s_mov_b32 s23, 0
	s_mov_b32 s15, exec_lo
	s_delay_alu instid0(VALU_DEP_1) | instskip(SKIP_4) | instid1(VALU_DEP_1)
	v_add_nc_u32_e32 v8, 32, v4
	global_load_b64 v[6:7], v8, s[20:21] scale_offset scope:SCOPE_DEV
	s_wait_loadcnt 0x0
	v_and_b32_e32 v3, 0xff, v7
	s_wait_xcnt 0x0
	v_cmpx_eq_u16_e32 0, v3
	s_cbranch_execz .LBB1001_52
; %bb.49:
	v_lshl_add_u64 v[8:9], v[8:9], 3, s[20:21]
.LBB1001_50:                            ; =>This Inner Loop Header: Depth=1
	global_load_b64 v[6:7], v[8:9], off scope:SCOPE_DEV
	s_wait_loadcnt 0x0
	v_and_b32_e32 v3, 0xff, v7
	s_delay_alu instid0(VALU_DEP_1)
	v_cmp_ne_u16_e32 vcc_lo, 0, v3
	s_or_b32 s23, vcc_lo, s23
	s_wait_xcnt 0x0
	s_and_not1_b32 exec_lo, exec_lo, s23
	s_cbranch_execnz .LBB1001_50
; %bb.51:
	s_or_b32 exec_lo, exec_lo, s23
.LBB1001_52:
	s_delay_alu instid0(SALU_CYCLE_1)
	s_or_b32 exec_lo, exec_lo, s15
	v_cmp_ne_u32_e32 vcc_lo, 31, v64
	v_lshlrev_b32_e64 v14, v64, -1
	v_lshl_or_b32 v69, v64, 2, 64
	v_dual_add_nc_u32 v16, 2, v64 :: v_dual_add_nc_u32 v56, 4, v64
	v_add_co_ci_u32_e64 v3, null, 0, v64, vcc_lo
	v_dual_add_nc_u32 v68, 8, v64 :: v_dual_add_nc_u32 v70, 16, v64
	s_delay_alu instid0(VALU_DEP_2)
	v_lshlrev_b32_e32 v13, 2, v3
	v_and_b32_e32 v3, 0xff, v7
	ds_bpermute_b32 v5, v13, v6
	v_cmp_eq_u16_e32 vcc_lo, 2, v3
	v_and_or_b32 v3, vcc_lo, v14, 0x80000000
	v_cmp_gt_u32_e32 vcc_lo, 30, v64
	s_delay_alu instid0(VALU_DEP_2) | instskip(SKIP_1) | instid1(VALU_DEP_2)
	v_ctz_i32_b32_e32 v3, v3
	v_cndmask_b32_e64 v8, 0, 2, vcc_lo
	v_cmp_lt_u32_e32 vcc_lo, v64, v3
	s_delay_alu instid0(VALU_DEP_2) | instskip(SKIP_3) | instid1(VALU_DEP_2)
	v_add_lshl_u32 v15, v8, v64, 2
	s_wait_dscnt 0x0
	v_cndmask_b32_e32 v5, 0, v5, vcc_lo
	v_cmp_gt_u32_e32 vcc_lo, 28, v64
	v_add_nc_u32_e32 v5, v5, v6
	v_cndmask_b32_e64 v8, 0, 4, vcc_lo
	v_cmp_le_u32_e32 vcc_lo, v16, v3
	ds_bpermute_b32 v6, v15, v5
	v_add_lshl_u32 v17, v8, v64, 2
	s_wait_dscnt 0x0
	v_cndmask_b32_e32 v6, 0, v6, vcc_lo
	v_cmp_gt_u32_e32 vcc_lo, 24, v64
	v_cndmask_b32_e64 v8, 0, 8, vcc_lo
	v_cmp_le_u32_e32 vcc_lo, v56, v3
	s_delay_alu instid0(VALU_DEP_4) | instskip(NEXT) | instid1(VALU_DEP_3)
	v_add_nc_u32_e32 v5, v5, v6
	v_add_lshl_u32 v67, v8, v64, 2
	ds_bpermute_b32 v6, v17, v5
	s_wait_dscnt 0x0
	v_cndmask_b32_e32 v6, 0, v6, vcc_lo
	v_cmp_le_u32_e32 vcc_lo, v68, v3
	s_delay_alu instid0(VALU_DEP_2) | instskip(SKIP_4) | instid1(VALU_DEP_2)
	v_add_nc_u32_e32 v5, v5, v6
	ds_bpermute_b32 v6, v67, v5
	s_wait_dscnt 0x0
	v_cndmask_b32_e32 v6, 0, v6, vcc_lo
	v_cmp_le_u32_e32 vcc_lo, v70, v3
	v_add_nc_u32_e32 v5, v5, v6
	ds_bpermute_b32 v6, v69, v5
	s_wait_dscnt 0x0
	v_cndmask_b32_e32 v3, 0, v6, vcc_lo
	s_delay_alu instid0(VALU_DEP_1)
	v_dual_mov_b32 v5, 0 :: v_dual_add_nc_u32 v6, v5, v3
	s_branch .LBB1001_56
.LBB1001_53:                            ;   in Loop: Header=BB1001_56 Depth=1
	s_or_b32 exec_lo, exec_lo, s23
.LBB1001_54:                            ;   in Loop: Header=BB1001_56 Depth=1
	s_delay_alu instid0(SALU_CYCLE_1)
	s_or_b32 exec_lo, exec_lo, s15
	v_and_b32_e32 v8, 0xff, v7
	ds_bpermute_b32 v9, v13, v6
	v_subrev_nc_u32_e32 v4, 32, v4
	s_mov_b32 s15, 0
	v_cmp_eq_u16_e32 vcc_lo, 2, v8
	v_and_or_b32 v8, vcc_lo, v14, 0x80000000
	s_delay_alu instid0(VALU_DEP_1) | instskip(NEXT) | instid1(VALU_DEP_1)
	v_ctz_i32_b32_e32 v8, v8
	v_cmp_lt_u32_e32 vcc_lo, v64, v8
	s_wait_dscnt 0x0
	v_cndmask_b32_e32 v9, 0, v9, vcc_lo
	v_cmp_le_u32_e32 vcc_lo, v16, v8
	s_delay_alu instid0(VALU_DEP_2) | instskip(SKIP_4) | instid1(VALU_DEP_2)
	v_add_nc_u32_e32 v6, v9, v6
	ds_bpermute_b32 v9, v15, v6
	s_wait_dscnt 0x0
	v_cndmask_b32_e32 v9, 0, v9, vcc_lo
	v_cmp_le_u32_e32 vcc_lo, v56, v8
	v_add_nc_u32_e32 v6, v6, v9
	ds_bpermute_b32 v9, v17, v6
	s_wait_dscnt 0x0
	v_cndmask_b32_e32 v9, 0, v9, vcc_lo
	v_cmp_le_u32_e32 vcc_lo, v68, v8
	s_delay_alu instid0(VALU_DEP_2) | instskip(SKIP_4) | instid1(VALU_DEP_2)
	v_add_nc_u32_e32 v6, v6, v9
	ds_bpermute_b32 v9, v67, v6
	s_wait_dscnt 0x0
	v_cndmask_b32_e32 v9, 0, v9, vcc_lo
	v_cmp_le_u32_e32 vcc_lo, v70, v8
	v_add_nc_u32_e32 v6, v6, v9
	ds_bpermute_b32 v9, v69, v6
	s_wait_dscnt 0x0
	v_cndmask_b32_e32 v8, 0, v9, vcc_lo
	s_delay_alu instid0(VALU_DEP_1)
	v_add3_u32 v6, v8, v3, v6
.LBB1001_55:                            ;   in Loop: Header=BB1001_56 Depth=1
	s_and_b32 vcc_lo, exec_lo, s15
	s_cbranch_vccnz .LBB1001_61
.LBB1001_56:                            ; =>This Loop Header: Depth=1
                                        ;     Child Loop BB1001_59 Depth 2
	v_and_b32_e32 v3, 0xff, v7
	s_mov_b32 s15, -1
                                        ; implicit-def: $vgpr7
	s_delay_alu instid0(VALU_DEP_1)
	v_cmp_ne_u16_e32 vcc_lo, 2, v3
	v_mov_b32_e32 v3, v6
                                        ; implicit-def: $vgpr6
	s_cmp_lg_u32 vcc_lo, exec_lo
	s_cbranch_scc1 .LBB1001_55
; %bb.57:                               ;   in Loop: Header=BB1001_56 Depth=1
	global_load_b64 v[6:7], v4, s[20:21] scale_offset scope:SCOPE_DEV
	s_mov_b32 s15, exec_lo
	s_wait_loadcnt 0x0
	v_and_b32_e32 v8, 0xff, v7
	s_wait_xcnt 0x0
	s_delay_alu instid0(VALU_DEP_1)
	v_cmpx_eq_u16_e32 0, v8
	s_cbranch_execz .LBB1001_54
; %bb.58:                               ;   in Loop: Header=BB1001_56 Depth=1
	v_lshl_add_u64 v[8:9], v[4:5], 3, s[20:21]
	s_mov_b32 s23, 0
.LBB1001_59:                            ;   Parent Loop BB1001_56 Depth=1
                                        ; =>  This Inner Loop Header: Depth=2
	global_load_b64 v[6:7], v[8:9], off scope:SCOPE_DEV
	s_wait_loadcnt 0x0
	v_and_b32_e32 v71, 0xff, v7
	s_delay_alu instid0(VALU_DEP_1)
	v_cmp_ne_u16_e32 vcc_lo, 0, v71
	s_or_b32 s23, vcc_lo, s23
	s_wait_xcnt 0x0
	s_and_not1_b32 exec_lo, exec_lo, s23
	s_cbranch_execnz .LBB1001_59
	s_branch .LBB1001_53
.LBB1001_60:
                                        ; implicit-def: $vgpr2_vgpr3_vgpr4_vgpr5_vgpr6_vgpr7_vgpr8_vgpr9_vgpr10_vgpr11_vgpr12_vgpr13_vgpr14_vgpr15_vgpr16_vgpr17
                                        ; implicit-def: $vgpr56
                                        ; implicit-def: $vgpr16
	s_and_b32 vcc_lo, exec_lo, s7
	s_cbranch_vccnz .LBB1001_66
	s_branch .LBB1001_75
.LBB1001_61:
	s_and_saveexec_b32 s15, s7
	s_cbranch_execz .LBB1001_63
; %bb.62:
	v_dual_mov_b32 v5, 2 :: v_dual_add_nc_u32 v4, v3, v2
	v_mov_b32_e32 v6, 0
	global_store_b64 v12, v[4:5], s[20:21] scale_offset scope:SCOPE_DEV
	ds_store_b64 v6, v[2:3] offset:13312
.LBB1001_63:
	s_wait_xcnt 0x0
	s_or_b32 exec_lo, exec_lo, s15
	s_delay_alu instid0(SALU_CYCLE_1)
	s_and_b32 exec_lo, exec_lo, s2
; %bb.64:
	v_mov_b32_e32 v2, 0
	ds_store_b32 v2, v3 offset:28
.LBB1001_65:
	s_or_b32 exec_lo, exec_lo, s8
	s_wait_dscnt 0x0
	v_dual_mov_b32 v12, 0 :: v_dual_cndmask_b32 v3, v11, v10, s7
	s_wait_storecnt 0x0
	s_barrier_signal -1
	s_barrier_wait -1
	ds_load_b32 v2, v12 offset:28
	v_cndmask_b32_e64 v3, v3, 0, s2
	s_wait_dscnt 0x0
	s_barrier_signal -1
	s_barrier_wait -1
	ds_load_b64 v[16:17], v12 offset:13312
	v_add_nc_u32_e32 v2, v2, v3
	s_wait_dscnt 0x0
	s_delay_alu instid0(VALU_DEP_1) | instskip(NEXT) | instid1(VALU_DEP_1)
	v_dual_mov_b32 v56, v17 :: v_dual_add_nc_u32 v3, v2, v57
	v_add_nc_u32_e32 v4, v3, v41
	s_delay_alu instid0(VALU_DEP_1) | instskip(NEXT) | instid1(VALU_DEP_1)
	v_add_nc_u32_e32 v5, v4, v39
	v_add_nc_u32_e32 v6, v5, v37
	s_delay_alu instid0(VALU_DEP_1) | instskip(NEXT) | instid1(VALU_DEP_1)
	v_add_nc_u32_e32 v7, v6, v58
	;; [unrolled: 3-line block ×5, first 2 shown]
	v_add_nc_u32_e32 v14, v13, v29
	s_branch .LBB1001_75
.LBB1001_66:
	v_mov_b32_dpp v2, v66 row_shr:1 row_mask:0xf bank_mask:0xf
	s_delay_alu instid0(VALU_DEP_1) | instskip(NEXT) | instid1(VALU_DEP_1)
	v_cndmask_b32_e64 v2, v2, 0, s6
	v_add_nc_u32_e32 v2, v2, v66
	s_delay_alu instid0(VALU_DEP_1) | instskip(NEXT) | instid1(VALU_DEP_1)
	v_mov_b32_dpp v3, v2 row_shr:2 row_mask:0xf bank_mask:0xf
	v_cndmask_b32_e64 v3, 0, v3, s5
	s_delay_alu instid0(VALU_DEP_1) | instskip(NEXT) | instid1(VALU_DEP_1)
	v_add_nc_u32_e32 v2, v2, v3
	v_mov_b32_dpp v3, v2 row_shr:4 row_mask:0xf bank_mask:0xf
	s_delay_alu instid0(VALU_DEP_1) | instskip(NEXT) | instid1(VALU_DEP_1)
	v_cndmask_b32_e64 v3, 0, v3, s4
	v_add_nc_u32_e32 v2, v2, v3
	s_delay_alu instid0(VALU_DEP_1) | instskip(NEXT) | instid1(VALU_DEP_1)
	v_mov_b32_dpp v3, v2 row_shr:8 row_mask:0xf bank_mask:0xf
	v_cndmask_b32_e64 v3, 0, v3, s3
	s_delay_alu instid0(VALU_DEP_1) | instskip(SKIP_3) | instid1(VALU_DEP_1)
	v_add_nc_u32_e32 v2, v2, v3
	ds_swizzle_b32 v3, v2 offset:swizzle(BROADCAST,32,15)
	s_wait_dscnt 0x0
	v_cndmask_b32_e64 v3, v3, 0, s1
	v_add_nc_u32_e32 v2, v2, v3
	s_and_saveexec_b32 s1, s0
; %bb.67:
	v_lshlrev_b32_e32 v3, 2, v65
	ds_store_b32 v3, v2
; %bb.68:
	s_or_b32 exec_lo, exec_lo, s1
	s_delay_alu instid0(SALU_CYCLE_1)
	s_mov_b32 s0, exec_lo
	s_wait_dscnt 0x0
	s_barrier_signal -1
	s_barrier_wait -1
	v_cmpx_gt_u32_e32 8, v0
	s_cbranch_execz .LBB1001_70
; %bb.69:
	ds_load_b32 v3, v19
	s_wait_dscnt 0x0
	v_mov_b32_dpp v5, v3 row_shr:1 row_mask:0xf bank_mask:0xf
	v_and_b32_e32 v4, 7, v64
	s_delay_alu instid0(VALU_DEP_1) | instskip(NEXT) | instid1(VALU_DEP_3)
	v_cmp_ne_u32_e32 vcc_lo, 0, v4
	v_cndmask_b32_e32 v5, 0, v5, vcc_lo
	v_cmp_lt_u32_e32 vcc_lo, 1, v4
	s_delay_alu instid0(VALU_DEP_2) | instskip(NEXT) | instid1(VALU_DEP_1)
	v_add_nc_u32_e32 v3, v5, v3
	v_mov_b32_dpp v5, v3 row_shr:2 row_mask:0xf bank_mask:0xf
	s_delay_alu instid0(VALU_DEP_1) | instskip(SKIP_1) | instid1(VALU_DEP_2)
	v_cndmask_b32_e32 v5, 0, v5, vcc_lo
	v_cmp_lt_u32_e32 vcc_lo, 3, v4
	v_add_nc_u32_e32 v3, v3, v5
	s_delay_alu instid0(VALU_DEP_1) | instskip(NEXT) | instid1(VALU_DEP_1)
	v_mov_b32_dpp v5, v3 row_shr:4 row_mask:0xf bank_mask:0xf
	v_cndmask_b32_e32 v4, 0, v5, vcc_lo
	s_delay_alu instid0(VALU_DEP_1)
	v_add_nc_u32_e32 v3, v3, v4
	ds_store_b32 v19, v3
.LBB1001_70:
	s_or_b32 exec_lo, exec_lo, s0
	v_dual_mov_b32 v4, 0 :: v_dual_mov_b32 v3, 0
	s_mov_b32 s0, exec_lo
	s_wait_dscnt 0x0
	s_barrier_signal -1
	s_barrier_wait -1
	v_cmpx_lt_u32_e32 31, v0
; %bb.71:
	v_lshl_add_u32 v3, v65, 2, -4
	ds_load_b32 v3, v3
; %bb.72:
	s_or_b32 exec_lo, exec_lo, s0
	v_sub_co_u32 v5, vcc_lo, v64, 1
	ds_load_b32 v16, v4 offset:28
	s_wait_dscnt 0x1
	v_add_nc_u32_e32 v2, v3, v2
	v_cmp_gt_i32_e64 s0, 0, v5
	s_delay_alu instid0(VALU_DEP_1) | instskip(NEXT) | instid1(VALU_DEP_1)
	v_cndmask_b32_e64 v5, v5, v64, s0
	v_lshlrev_b32_e32 v5, 2, v5
	ds_bpermute_b32 v2, v5, v2
	s_and_saveexec_b32 s0, s2
	s_cbranch_execz .LBB1001_74
; %bb.73:
	v_dual_mov_b32 v4, 0 :: v_dual_mov_b32 v17, 2
	s_wait_dscnt 0x1
	global_store_b64 v4, v[16:17], s[20:21] offset:256 scope:SCOPE_DEV
.LBB1001_74:
	s_wait_xcnt 0x0
	s_or_b32 exec_lo, exec_lo, s0
	s_wait_dscnt 0x0
	v_cndmask_b32_e32 v2, v2, v3, vcc_lo
	s_wait_storecnt 0x0
	s_barrier_signal -1
	s_barrier_wait -1
	s_delay_alu instid0(VALU_DEP_1) | instskip(NEXT) | instid1(VALU_DEP_1)
	v_cndmask_b32_e64 v2, v2, 0, s2
	v_dual_mov_b32 v56, 0 :: v_dual_add_nc_u32 v3, v2, v57
	s_delay_alu instid0(VALU_DEP_1) | instskip(NEXT) | instid1(VALU_DEP_1)
	v_add_nc_u32_e32 v4, v3, v41
	v_add_nc_u32_e32 v5, v4, v39
	s_delay_alu instid0(VALU_DEP_1) | instskip(NEXT) | instid1(VALU_DEP_1)
	v_add_nc_u32_e32 v6, v5, v37
	v_add_nc_u32_e32 v7, v6, v58
	;; [unrolled: 3-line block ×5, first 2 shown]
	s_delay_alu instid0(VALU_DEP_1)
	v_add_nc_u32_e32 v14, v13, v29
.LBB1001_75:
	v_dual_lshrrev_b32 v57, 16, v35 :: v_dual_lshrrev_b32 v58, 8, v35
	v_dual_add_nc_u32 v23, v16, v23 :: v_dual_sub_nc_u32 v3, v3, v56
	v_dual_sub_nc_u32 v2, v2, v56 :: v_dual_bitop2_b32 v35, 1, v35 bitop3:0x40
	s_delay_alu instid0(VALU_DEP_3) | instskip(NEXT) | instid1(VALU_DEP_3)
	v_dual_sub_nc_u32 v4, v4, v56 :: v_dual_bitop2_b32 v58, 1, v58 bitop3:0x40
	v_dual_sub_nc_u32 v59, v23, v3 :: v_dual_bitop2_b32 v57, 1, v57 bitop3:0x40
	s_delay_alu instid0(VALU_DEP_3) | instskip(NEXT) | instid1(VALU_DEP_4)
	v_dual_sub_nc_u32 v60, v23, v2 :: v_dual_sub_nc_u32 v5, v5, v56
	v_cmp_eq_u32_e32 vcc_lo, 1, v35
	s_delay_alu instid0(VALU_DEP_3) | instskip(SKIP_1) | instid1(VALU_DEP_4)
	v_dual_sub_nc_u32 v61, v23, v4 :: v_dual_add_nc_u32 v59, 1, v59
	v_dual_lshrrev_b32 v41, 8, v31 :: v_dual_lshrrev_b32 v39, 16, v31
	v_cndmask_b32_e32 v2, v60, v2, vcc_lo
	v_cmp_eq_u32_e32 vcc_lo, 1, v58
	v_dual_lshrrev_b32 v15, 16, v27 :: v_dual_lshrrev_b32 v17, 8, v27
	v_cndmask_b32_e32 v3, v59, v3, vcc_lo
	s_delay_alu instid0(VALU_DEP_4)
	v_dual_sub_nc_u32 v35, v23, v5 :: v_dual_lshlrev_b32 v2, 2, v2
	v_and_b32_e32 v37, 1, v37
	v_add_nc_u32_e32 v58, 2, v61
	v_cmp_eq_u32_e32 vcc_lo, 1, v57
	v_lshlrev_b32_e32 v3, 2, v3
	v_add_nc_u32_e32 v35, 3, v35
	ds_store_b32 v2, v54
	ds_store_b32 v3, v55
	v_cndmask_b32_e32 v4, v58, v4, vcc_lo
	v_cmp_eq_u32_e32 vcc_lo, 1, v37
	v_dual_cndmask_b32 v5, v35, v5 :: v_dual_sub_nc_u32 v6, v6, v56
	s_delay_alu instid0(VALU_DEP_1) | instskip(NEXT) | instid1(VALU_DEP_2)
	v_dual_lshlrev_b32 v3, 2, v4 :: v_dual_lshlrev_b32 v4, 2, v5
	v_sub_nc_u32_e32 v2, v23, v6
	v_dual_sub_nc_u32 v5, v7, v56 :: v_dual_bitop2_b32 v7, 1, v31 bitop3:0x40
	s_delay_alu instid0(VALU_DEP_2)
	v_add_nc_u32_e32 v2, 4, v2
	ds_store_b32 v3, v52
	ds_store_b32 v4, v53
	v_cmp_eq_u32_e32 vcc_lo, 1, v7
	v_dual_sub_nc_u32 v4, v8, v56 :: v_dual_cndmask_b32 v2, v2, v6, vcc_lo
	v_sub_nc_u32_e32 v3, v23, v5
	v_dual_sub_nc_u32 v7, v9, v56 :: v_dual_bitop2_b32 v6, 1, v41 bitop3:0x40
	s_delay_alu instid0(VALU_DEP_2) | instskip(NEXT) | instid1(VALU_DEP_2)
	v_dual_lshlrev_b32 v2, 2, v2 :: v_dual_add_nc_u32 v3, 5, v3
	v_cmp_eq_u32_e32 vcc_lo, 1, v6
	v_dual_sub_nc_u32 v8, v23, v4 :: v_dual_bitop2_b32 v6, 1, v39 bitop3:0x40
	ds_store_b32 v2, v50
	v_and_b32_e32 v2, 1, v33
	v_cndmask_b32_e32 v3, v3, v5, vcc_lo
	v_dual_sub_nc_u32 v5, v23, v7 :: v_dual_add_nc_u32 v8, 6, v8
	v_cmp_eq_u32_e32 vcc_lo, 1, v6
	s_delay_alu instid0(VALU_DEP_3) | instskip(NEXT) | instid1(VALU_DEP_3)
	v_dual_sub_nc_u32 v6, v11, v56 :: v_dual_lshlrev_b32 v3, 2, v3
	v_dual_cndmask_b32 v4, v8, v4 :: v_dual_add_nc_u32 v5, 7, v5
	v_cmp_eq_u32_e32 vcc_lo, 1, v2
	ds_store_b32 v3, v51
	v_dual_sub_nc_u32 v3, v23, v6 :: v_dual_sub_nc_u32 v8, v14, v56
	v_dual_lshlrev_b32 v4, 2, v4 :: v_dual_cndmask_b32 v2, v5, v7, vcc_lo
	v_dual_sub_nc_u32 v5, v10, v56 :: v_dual_bitop2_b32 v7, 1, v17 bitop3:0x40
	s_delay_alu instid0(VALU_DEP_3)
	v_add_nc_u32_e32 v3, 9, v3
	ds_store_b32 v4, v48
	v_dual_lshlrev_b32 v2, 2, v2 :: v_dual_sub_nc_u32 v4, v23, v5
	v_cmp_eq_u32_e32 vcc_lo, 1, v7
	v_sub_nc_u32_e32 v7, v12, v56
	v_sub_nc_u32_e32 v9, v23, v8
	ds_store_b32 v2, v49
	v_dual_add_nc_u32 v4, 8, v4 :: v_dual_bitop2_b32 v2, 1, v27 bitop3:0x40
	v_dual_cndmask_b32 v3, v3, v6 :: v_dual_sub_nc_u32 v6, v13, v56
	s_delay_alu instid0(VALU_DEP_2) | instskip(NEXT) | instid1(VALU_DEP_2)
	v_cmp_eq_u32_e32 vcc_lo, 1, v2
	v_dual_cndmask_b32 v2, v4, v5, vcc_lo :: v_dual_sub_nc_u32 v4, v23, v6
	v_and_b32_e32 v10, 1, v15
	v_dual_sub_nc_u32 v5, v23, v7 :: v_dual_bitop2_b32 v12, 1, v25 bitop3:0x40
	s_delay_alu instid0(VALU_DEP_3) | instskip(SKIP_1) | instid1(VALU_DEP_1)
	v_dual_lshlrev_b32 v2, 2, v2 :: v_dual_add_nc_u32 v4, 11, v4
	v_and_b32_e32 v11, 1, v29
	v_cmp_eq_u32_e32 vcc_lo, 1, v11
	s_delay_alu instid0(VALU_DEP_3) | instskip(SKIP_3) | instid1(VALU_DEP_1)
	v_cndmask_b32_e32 v4, v4, v6, vcc_lo
	v_cmp_eq_u32_e32 vcc_lo, 1, v10
	v_add_nc_u32_e32 v9, 12, v9
	v_add_nc_u32_e32 v5, 10, v5
	v_cndmask_b32_e32 v5, v5, v7, vcc_lo
	v_cmp_eq_u32_e32 vcc_lo, 1, v12
	s_delay_alu instid0(VALU_DEP_2) | instskip(SKIP_3) | instid1(VALU_DEP_3)
	v_dual_lshlrev_b32 v3, 2, v3 :: v_dual_lshlrev_b32 v5, 2, v5
	v_cndmask_b32_e32 v6, v9, v8, vcc_lo
	v_lshlrev_b32_e32 v4, 2, v4
	v_cmp_ne_u32_e32 vcc_lo, 1, v21
	v_lshlrev_b32_e32 v6, 2, v6
	ds_store_b32 v2, v46
	ds_store_b32 v3, v47
	;; [unrolled: 1-line block ×5, first 2 shown]
	s_wait_dscnt 0x0
	s_barrier_signal -1
	s_barrier_wait -1
	ds_load_2addr_stride64_b32 v[14:15], v19 offset1:4
	ds_load_2addr_stride64_b32 v[12:13], v19 offset0:8 offset1:12
	ds_load_2addr_stride64_b32 v[10:11], v19 offset0:16 offset1:20
	;; [unrolled: 1-line block ×5, first 2 shown]
	ds_load_b32 v46, v19 offset:12288
	v_mov_b32_e32 v1, 0
	s_and_b32 vcc_lo, exec_lo, vcc_lo
	s_delay_alu instid0(VALU_DEP_1) | instskip(SKIP_2) | instid1(VALU_DEP_3)
	v_dual_mov_b32 v29, v1 :: v_dual_mov_b32 v57, v1
	v_dual_mov_b32 v41, v1 :: v_dual_mov_b32 v39, v1
	;; [unrolled: 1-line block ×3, first 2 shown]
	v_add_nc_u64_e32 v[2:3], v[42:43], v[56:57]
	v_dual_mov_b32 v33, v1 :: v_dual_mov_b32 v31, v1
	v_dual_mov_b32 v27, v1 :: v_dual_mov_b32 v25, v1
	;; [unrolled: 1-line block ×3, first 2 shown]
	v_mov_b32_e32 v19, v1
	s_cbranch_vccnz .LBB1001_132
; %bb.76:
	v_mov_b32_e32 v17, v1
	s_mov_b32 s15, 0
	v_sub_nc_u64_e64 v[42:43], v[2:3], s[16:17]
	s_sub_nc_u64 s[0:1], s[18:19], s[14:15]
	s_delay_alu instid0(VALU_DEP_2) | instid1(SALU_CYCLE_1)
	v_add_nc_u64_e32 v[44:45], s[0:1], v[16:17]
	s_mov_b32 s0, exec_lo
	s_delay_alu instid0(VALU_DEP_1)
	v_add_nc_u64_e32 v[42:43], v[44:45], v[42:43]
                                        ; implicit-def: $vgpr44_vgpr45
	v_cmpx_ge_u32_e64 v0, v16
	s_xor_b32 s0, exec_lo, s0
; %bb.77:
	v_not_b32_e32 v44, v0
	s_delay_alu instid0(VALU_DEP_1) | instskip(NEXT) | instid1(VALU_DEP_1)
	v_ashrrev_i32_e32 v45, 31, v44
	v_add_nc_u64_e32 v[44:45], v[42:43], v[44:45]
; %bb.78:
	s_and_not1_saveexec_b32 s0, s0
; %bb.79:
	v_add_nc_u64_e32 v[44:45], v[2:3], v[0:1]
; %bb.80:
	s_or_b32 exec_lo, exec_lo, s0
	s_delay_alu instid0(VALU_DEP_1)
	v_lshl_add_u64 v[44:45], v[44:45], 2, s[10:11]
	s_mov_b32 s0, exec_lo
	s_wait_dscnt 0x6
	global_store_b32 v[44:45], v14, off
                                        ; implicit-def: $vgpr44_vgpr45
	s_wait_xcnt 0x0
	v_cmpx_ge_u32_e64 v40, v16
	s_xor_b32 s0, exec_lo, s0
; %bb.81:
	v_xor_b32_e32 v44, 0xfffffeff, v0
	s_delay_alu instid0(VALU_DEP_1) | instskip(NEXT) | instid1(VALU_DEP_1)
	v_ashrrev_i32_e32 v45, 31, v44
	v_add_nc_u64_e32 v[44:45], v[42:43], v[44:45]
; %bb.82:
	s_and_not1_saveexec_b32 s0, s0
; %bb.83:
	v_add_nc_u64_e32 v[44:45], v[2:3], v[40:41]
; %bb.84:
	s_or_b32 exec_lo, exec_lo, s0
	s_delay_alu instid0(VALU_DEP_1)
	v_lshl_add_u64 v[44:45], v[44:45], 2, s[10:11]
	s_mov_b32 s0, exec_lo
	global_store_b32 v[44:45], v15, off
                                        ; implicit-def: $vgpr44_vgpr45
	s_wait_xcnt 0x0
	v_cmpx_ge_u32_e64 v38, v16
	s_xor_b32 s0, exec_lo, s0
; %bb.85:
	v_xor_b32_e32 v44, 0xfffffdff, v0
	s_delay_alu instid0(VALU_DEP_1) | instskip(NEXT) | instid1(VALU_DEP_1)
	v_ashrrev_i32_e32 v45, 31, v44
	v_add_nc_u64_e32 v[44:45], v[42:43], v[44:45]
; %bb.86:
	s_and_not1_saveexec_b32 s0, s0
; %bb.87:
	v_add_nc_u64_e32 v[44:45], v[2:3], v[38:39]
; %bb.88:
	s_or_b32 exec_lo, exec_lo, s0
	s_delay_alu instid0(VALU_DEP_1)
	v_lshl_add_u64 v[44:45], v[44:45], 2, s[10:11]
	s_mov_b32 s0, exec_lo
	s_wait_dscnt 0x5
	global_store_b32 v[44:45], v12, off
                                        ; implicit-def: $vgpr44_vgpr45
	s_wait_xcnt 0x0
	v_cmpx_ge_u32_e64 v36, v16
	s_xor_b32 s0, exec_lo, s0
; %bb.89:
	v_xor_b32_e32 v44, 0xfffffcff, v0
	s_delay_alu instid0(VALU_DEP_1) | instskip(NEXT) | instid1(VALU_DEP_1)
	v_ashrrev_i32_e32 v45, 31, v44
	v_add_nc_u64_e32 v[44:45], v[42:43], v[44:45]
; %bb.90:
	s_and_not1_saveexec_b32 s0, s0
; %bb.91:
	v_add_nc_u64_e32 v[44:45], v[2:3], v[36:37]
; %bb.92:
	s_or_b32 exec_lo, exec_lo, s0
	s_delay_alu instid0(VALU_DEP_1)
	v_lshl_add_u64 v[44:45], v[44:45], 2, s[10:11]
	s_mov_b32 s0, exec_lo
	global_store_b32 v[44:45], v13, off
                                        ; implicit-def: $vgpr44_vgpr45
	s_wait_xcnt 0x0
	v_cmpx_ge_u32_e64 v34, v16
	s_xor_b32 s0, exec_lo, s0
; %bb.93:
	v_xor_b32_e32 v44, 0xfffffbff, v0
	;; [unrolled: 39-line block ×6, first 2 shown]
	s_delay_alu instid0(VALU_DEP_1) | instskip(NEXT) | instid1(VALU_DEP_1)
	v_ashrrev_i32_e32 v45, 31, v44
	v_add_nc_u64_e32 v[44:45], v[42:43], v[44:45]
; %bb.126:
	s_and_not1_saveexec_b32 s0, s0
; %bb.127:
	v_add_nc_u64_e32 v[44:45], v[2:3], v[18:19]
; %bb.128:
	s_or_b32 exec_lo, exec_lo, s0
	s_mov_b32 s0, -1
.LBB1001_129:
	s_delay_alu instid0(SALU_CYCLE_1)
	s_and_saveexec_b32 s1, s0
	s_cbranch_execz .LBB1001_212
.LBB1001_130:
	s_delay_alu instid0(VALU_DEP_1)
	v_lshl_add_u64 v[0:1], v[44:45], 2, s[10:11]
	s_wait_dscnt 0x0
	global_store_b32 v[0:1], v46, off
	s_wait_xcnt 0x0
	s_or_b32 exec_lo, exec_lo, s1
	s_and_b32 s0, s2, s9
	s_delay_alu instid0(SALU_CYCLE_1)
	s_and_saveexec_b32 s1, s0
	s_cbranch_execnz .LBB1001_213
.LBB1001_131:
	s_sendmsg sendmsg(MSG_DEALLOC_VGPRS)
	s_endpgm
.LBB1001_132:
	s_mov_b32 s0, 0
                                        ; implicit-def: $vgpr44_vgpr45
	s_cbranch_execz .LBB1001_129
; %bb.133:
	s_mov_b32 s15, 0
	v_mov_b32_e32 v17, 0
	s_add_nc_u64 s[4:5], s[16:17], s[14:15]
	s_mov_b32 s1, exec_lo
	s_sub_nc_u64 s[4:5], s[18:19], s[4:5]
	s_delay_alu instid0(VALU_DEP_1) | instid1(SALU_CYCLE_1)
	v_add_nc_u64_e32 v[42:43], s[4:5], v[16:17]
	s_delay_alu instid0(VALU_DEP_1)
	v_add_nc_u64_e32 v[42:43], v[42:43], v[2:3]
	v_cmpx_gt_u32_e64 s22, v0
	s_cbranch_execz .LBB1001_169
; %bb.134:
	s_mov_b32 s3, exec_lo
                                        ; implicit-def: $vgpr44_vgpr45
	v_cmpx_ge_u32_e64 v0, v16
	s_xor_b32 s3, exec_lo, s3
; %bb.135:
	v_not_b32_e32 v44, v0
	s_delay_alu instid0(VALU_DEP_1) | instskip(NEXT) | instid1(VALU_DEP_1)
	v_ashrrev_i32_e32 v45, 31, v44
	v_add_nc_u64_e32 v[44:45], v[42:43], v[44:45]
; %bb.136:
	s_and_not1_saveexec_b32 s3, s3
; %bb.137:
	v_add_nc_u64_e32 v[44:45], v[2:3], v[0:1]
; %bb.138:
	s_or_b32 exec_lo, exec_lo, s3
	s_delay_alu instid0(VALU_DEP_1) | instskip(SKIP_4) | instid1(SALU_CYCLE_1)
	v_lshl_add_u64 v[44:45], v[44:45], 2, s[10:11]
	s_wait_dscnt 0x6
	global_store_b32 v[44:45], v14, off
	s_wait_xcnt 0x0
	s_or_b32 exec_lo, exec_lo, s1
	s_mov_b32 s1, exec_lo
	v_cmpx_gt_u32_e64 s22, v40
	s_cbranch_execnz .LBB1001_170
.LBB1001_139:
	s_or_b32 exec_lo, exec_lo, s1
	s_delay_alu instid0(SALU_CYCLE_1)
	s_mov_b32 s1, exec_lo
	v_cmpx_gt_u32_e64 s22, v38
	s_cbranch_execz .LBB1001_175
.LBB1001_140:
	s_mov_b32 s3, exec_lo
                                        ; implicit-def: $vgpr14_vgpr15
	v_cmpx_ge_u32_e64 v38, v16
	s_xor_b32 s3, exec_lo, s3
	s_cbranch_execz .LBB1001_142
; %bb.141:
	s_wait_dscnt 0x6
	v_xor_b32_e32 v14, 0xfffffdff, v0
                                        ; implicit-def: $vgpr38_vgpr39
	s_delay_alu instid0(VALU_DEP_1) | instskip(NEXT) | instid1(VALU_DEP_1)
	v_ashrrev_i32_e32 v15, 31, v14
	v_add_nc_u64_e32 v[14:15], v[42:43], v[14:15]
.LBB1001_142:
	s_and_not1_saveexec_b32 s3, s3
	s_cbranch_execz .LBB1001_144
; %bb.143:
	s_wait_dscnt 0x6
	v_add_nc_u64_e32 v[14:15], v[2:3], v[38:39]
.LBB1001_144:
	s_or_b32 exec_lo, exec_lo, s3
	s_wait_dscnt 0x6
	s_delay_alu instid0(VALU_DEP_1) | instskip(SKIP_4) | instid1(SALU_CYCLE_1)
	v_lshl_add_u64 v[14:15], v[14:15], 2, s[10:11]
	s_wait_dscnt 0x5
	global_store_b32 v[14:15], v12, off
	s_wait_xcnt 0x0
	s_or_b32 exec_lo, exec_lo, s1
	s_mov_b32 s1, exec_lo
	v_cmpx_gt_u32_e64 s22, v36
	s_cbranch_execnz .LBB1001_176
.LBB1001_145:
	s_or_b32 exec_lo, exec_lo, s1
	s_delay_alu instid0(SALU_CYCLE_1)
	s_mov_b32 s1, exec_lo
	v_cmpx_gt_u32_e64 s22, v34
	s_cbranch_execz .LBB1001_181
.LBB1001_146:
	s_mov_b32 s3, exec_lo
                                        ; implicit-def: $vgpr12_vgpr13
	v_cmpx_ge_u32_e64 v34, v16
	s_xor_b32 s3, exec_lo, s3
	s_cbranch_execz .LBB1001_148
; %bb.147:
	s_wait_dscnt 0x5
	v_xor_b32_e32 v12, 0xfffffbff, v0
                                        ; implicit-def: $vgpr34_vgpr35
	s_delay_alu instid0(VALU_DEP_1) | instskip(NEXT) | instid1(VALU_DEP_1)
	v_ashrrev_i32_e32 v13, 31, v12
	v_add_nc_u64_e32 v[12:13], v[42:43], v[12:13]
.LBB1001_148:
	s_and_not1_saveexec_b32 s3, s3
	s_cbranch_execz .LBB1001_150
; %bb.149:
	s_wait_dscnt 0x5
	v_add_nc_u64_e32 v[12:13], v[2:3], v[34:35]
.LBB1001_150:
	s_or_b32 exec_lo, exec_lo, s3
	s_wait_dscnt 0x5
	s_delay_alu instid0(VALU_DEP_1) | instskip(SKIP_4) | instid1(SALU_CYCLE_1)
	v_lshl_add_u64 v[12:13], v[12:13], 2, s[10:11]
	s_wait_dscnt 0x4
	global_store_b32 v[12:13], v10, off
	s_wait_xcnt 0x0
	s_or_b32 exec_lo, exec_lo, s1
	s_mov_b32 s1, exec_lo
	v_cmpx_gt_u32_e64 s22, v32
	s_cbranch_execnz .LBB1001_182
.LBB1001_151:
	s_or_b32 exec_lo, exec_lo, s1
	s_delay_alu instid0(SALU_CYCLE_1)
	s_mov_b32 s1, exec_lo
	v_cmpx_gt_u32_e64 s22, v30
	s_cbranch_execz .LBB1001_187
.LBB1001_152:
	s_mov_b32 s3, exec_lo
                                        ; implicit-def: $vgpr10_vgpr11
	v_cmpx_ge_u32_e64 v30, v16
	s_xor_b32 s3, exec_lo, s3
	s_cbranch_execz .LBB1001_154
; %bb.153:
	s_wait_dscnt 0x4
	v_xor_b32_e32 v10, 0xfffff9ff, v0
                                        ; implicit-def: $vgpr30_vgpr31
	s_delay_alu instid0(VALU_DEP_1) | instskip(NEXT) | instid1(VALU_DEP_1)
	v_ashrrev_i32_e32 v11, 31, v10
	v_add_nc_u64_e32 v[10:11], v[42:43], v[10:11]
.LBB1001_154:
	s_and_not1_saveexec_b32 s3, s3
	s_cbranch_execz .LBB1001_156
; %bb.155:
	s_wait_dscnt 0x4
	v_add_nc_u64_e32 v[10:11], v[2:3], v[30:31]
.LBB1001_156:
	s_or_b32 exec_lo, exec_lo, s3
	s_wait_dscnt 0x4
	s_delay_alu instid0(VALU_DEP_1) | instskip(SKIP_4) | instid1(SALU_CYCLE_1)
	v_lshl_add_u64 v[10:11], v[10:11], 2, s[10:11]
	s_wait_dscnt 0x3
	global_store_b32 v[10:11], v8, off
	s_wait_xcnt 0x0
	s_or_b32 exec_lo, exec_lo, s1
	s_mov_b32 s1, exec_lo
	v_cmpx_gt_u32_e64 s22, v28
	s_cbranch_execnz .LBB1001_188
.LBB1001_157:
	s_or_b32 exec_lo, exec_lo, s1
	s_delay_alu instid0(SALU_CYCLE_1)
	s_mov_b32 s1, exec_lo
	v_cmpx_gt_u32_e64 s22, v26
	s_cbranch_execz .LBB1001_193
.LBB1001_158:
	s_mov_b32 s3, exec_lo
                                        ; implicit-def: $vgpr8_vgpr9
	v_cmpx_ge_u32_e64 v26, v16
	s_xor_b32 s3, exec_lo, s3
	s_cbranch_execz .LBB1001_160
; %bb.159:
	s_wait_dscnt 0x3
	v_xor_b32_e32 v8, 0xfffff7ff, v0
                                        ; implicit-def: $vgpr26_vgpr27
	s_delay_alu instid0(VALU_DEP_1) | instskip(NEXT) | instid1(VALU_DEP_1)
	v_ashrrev_i32_e32 v9, 31, v8
	v_add_nc_u64_e32 v[8:9], v[42:43], v[8:9]
.LBB1001_160:
	s_and_not1_saveexec_b32 s3, s3
	s_cbranch_execz .LBB1001_162
; %bb.161:
	s_wait_dscnt 0x3
	v_add_nc_u64_e32 v[8:9], v[2:3], v[26:27]
.LBB1001_162:
	s_or_b32 exec_lo, exec_lo, s3
	s_wait_dscnt 0x3
	s_delay_alu instid0(VALU_DEP_1) | instskip(SKIP_4) | instid1(SALU_CYCLE_1)
	v_lshl_add_u64 v[8:9], v[8:9], 2, s[10:11]
	s_wait_dscnt 0x2
	global_store_b32 v[8:9], v6, off
	s_wait_xcnt 0x0
	s_or_b32 exec_lo, exec_lo, s1
	s_mov_b32 s1, exec_lo
	v_cmpx_gt_u32_e64 s22, v24
	s_cbranch_execnz .LBB1001_194
.LBB1001_163:
	s_or_b32 exec_lo, exec_lo, s1
	s_delay_alu instid0(SALU_CYCLE_1)
	s_mov_b32 s1, exec_lo
	v_cmpx_gt_u32_e64 s22, v22
	s_cbranch_execz .LBB1001_199
.LBB1001_164:
	s_mov_b32 s3, exec_lo
                                        ; implicit-def: $vgpr6_vgpr7
	v_cmpx_ge_u32_e64 v22, v16
	s_xor_b32 s3, exec_lo, s3
	s_cbranch_execz .LBB1001_166
; %bb.165:
	s_wait_dscnt 0x2
	v_xor_b32_e32 v6, 0xfffff5ff, v0
                                        ; implicit-def: $vgpr22_vgpr23
	s_delay_alu instid0(VALU_DEP_1) | instskip(NEXT) | instid1(VALU_DEP_1)
	v_ashrrev_i32_e32 v7, 31, v6
	v_add_nc_u64_e32 v[6:7], v[42:43], v[6:7]
.LBB1001_166:
	s_and_not1_saveexec_b32 s3, s3
	s_cbranch_execz .LBB1001_168
; %bb.167:
	s_wait_dscnt 0x2
	v_add_nc_u64_e32 v[6:7], v[2:3], v[22:23]
.LBB1001_168:
	s_or_b32 exec_lo, exec_lo, s3
	s_wait_dscnt 0x2
	s_delay_alu instid0(VALU_DEP_1) | instskip(SKIP_4) | instid1(SALU_CYCLE_1)
	v_lshl_add_u64 v[6:7], v[6:7], 2, s[10:11]
	s_wait_dscnt 0x1
	global_store_b32 v[6:7], v4, off
	s_wait_xcnt 0x0
	s_or_b32 exec_lo, exec_lo, s1
	s_mov_b32 s1, exec_lo
	v_cmpx_gt_u32_e64 s22, v20
	s_cbranch_execz .LBB1001_205
	s_branch .LBB1001_200
.LBB1001_169:
	s_or_b32 exec_lo, exec_lo, s1
	s_delay_alu instid0(SALU_CYCLE_1)
	s_mov_b32 s1, exec_lo
	v_cmpx_gt_u32_e64 s22, v40
	s_cbranch_execz .LBB1001_139
.LBB1001_170:
	s_mov_b32 s3, exec_lo
                                        ; implicit-def: $vgpr44_vgpr45
	v_cmpx_ge_u32_e64 v40, v16
	s_xor_b32 s3, exec_lo, s3
; %bb.171:
	v_xor_b32_e32 v40, 0xfffffeff, v0
	s_delay_alu instid0(VALU_DEP_1) | instskip(NEXT) | instid1(VALU_DEP_1)
	v_ashrrev_i32_e32 v41, 31, v40
	v_add_nc_u64_e32 v[44:45], v[42:43], v[40:41]
                                        ; implicit-def: $vgpr40_vgpr41
; %bb.172:
	s_and_not1_saveexec_b32 s3, s3
; %bb.173:
	v_add_nc_u64_e32 v[44:45], v[2:3], v[40:41]
; %bb.174:
	s_or_b32 exec_lo, exec_lo, s3
	s_delay_alu instid0(VALU_DEP_1) | instskip(SKIP_4) | instid1(SALU_CYCLE_1)
	v_lshl_add_u64 v[40:41], v[44:45], 2, s[10:11]
	s_wait_dscnt 0x6
	global_store_b32 v[40:41], v15, off
	s_wait_xcnt 0x0
	s_or_b32 exec_lo, exec_lo, s1
	s_mov_b32 s1, exec_lo
	v_cmpx_gt_u32_e64 s22, v38
	s_cbranch_execnz .LBB1001_140
.LBB1001_175:
	s_or_b32 exec_lo, exec_lo, s1
	s_delay_alu instid0(SALU_CYCLE_1)
	s_mov_b32 s1, exec_lo
	v_cmpx_gt_u32_e64 s22, v36
	s_cbranch_execz .LBB1001_145
.LBB1001_176:
	s_mov_b32 s3, exec_lo
                                        ; implicit-def: $vgpr14_vgpr15
	v_cmpx_ge_u32_e64 v36, v16
	s_xor_b32 s3, exec_lo, s3
	s_cbranch_execz .LBB1001_178
; %bb.177:
	s_wait_dscnt 0x6
	v_xor_b32_e32 v14, 0xfffffcff, v0
                                        ; implicit-def: $vgpr36_vgpr37
	s_delay_alu instid0(VALU_DEP_1) | instskip(NEXT) | instid1(VALU_DEP_1)
	v_ashrrev_i32_e32 v15, 31, v14
	v_add_nc_u64_e32 v[14:15], v[42:43], v[14:15]
.LBB1001_178:
	s_and_not1_saveexec_b32 s3, s3
	s_cbranch_execz .LBB1001_180
; %bb.179:
	s_wait_dscnt 0x6
	v_add_nc_u64_e32 v[14:15], v[2:3], v[36:37]
.LBB1001_180:
	s_or_b32 exec_lo, exec_lo, s3
	s_wait_dscnt 0x6
	s_delay_alu instid0(VALU_DEP_1) | instskip(SKIP_4) | instid1(SALU_CYCLE_1)
	v_lshl_add_u64 v[14:15], v[14:15], 2, s[10:11]
	s_wait_dscnt 0x5
	global_store_b32 v[14:15], v13, off
	s_wait_xcnt 0x0
	s_or_b32 exec_lo, exec_lo, s1
	s_mov_b32 s1, exec_lo
	v_cmpx_gt_u32_e64 s22, v34
	s_cbranch_execnz .LBB1001_146
.LBB1001_181:
	s_or_b32 exec_lo, exec_lo, s1
	s_delay_alu instid0(SALU_CYCLE_1)
	s_mov_b32 s1, exec_lo
	v_cmpx_gt_u32_e64 s22, v32
	s_cbranch_execz .LBB1001_151
.LBB1001_182:
	s_mov_b32 s3, exec_lo
                                        ; implicit-def: $vgpr12_vgpr13
	v_cmpx_ge_u32_e64 v32, v16
	s_xor_b32 s3, exec_lo, s3
	s_cbranch_execz .LBB1001_184
; %bb.183:
	s_wait_dscnt 0x5
	v_xor_b32_e32 v12, 0xfffffaff, v0
                                        ; implicit-def: $vgpr32_vgpr33
	s_delay_alu instid0(VALU_DEP_1) | instskip(NEXT) | instid1(VALU_DEP_1)
	v_ashrrev_i32_e32 v13, 31, v12
	v_add_nc_u64_e32 v[12:13], v[42:43], v[12:13]
.LBB1001_184:
	s_and_not1_saveexec_b32 s3, s3
	s_cbranch_execz .LBB1001_186
; %bb.185:
	s_wait_dscnt 0x5
	v_add_nc_u64_e32 v[12:13], v[2:3], v[32:33]
.LBB1001_186:
	s_or_b32 exec_lo, exec_lo, s3
	s_wait_dscnt 0x5
	s_delay_alu instid0(VALU_DEP_1) | instskip(SKIP_4) | instid1(SALU_CYCLE_1)
	v_lshl_add_u64 v[12:13], v[12:13], 2, s[10:11]
	s_wait_dscnt 0x4
	global_store_b32 v[12:13], v11, off
	s_wait_xcnt 0x0
	s_or_b32 exec_lo, exec_lo, s1
	s_mov_b32 s1, exec_lo
	v_cmpx_gt_u32_e64 s22, v30
	s_cbranch_execnz .LBB1001_152
.LBB1001_187:
	s_or_b32 exec_lo, exec_lo, s1
	s_delay_alu instid0(SALU_CYCLE_1)
	s_mov_b32 s1, exec_lo
	v_cmpx_gt_u32_e64 s22, v28
	s_cbranch_execz .LBB1001_157
.LBB1001_188:
	s_mov_b32 s3, exec_lo
                                        ; implicit-def: $vgpr10_vgpr11
	v_cmpx_ge_u32_e64 v28, v16
	s_xor_b32 s3, exec_lo, s3
	s_cbranch_execz .LBB1001_190
; %bb.189:
	s_wait_dscnt 0x4
	v_xor_b32_e32 v10, 0xfffff8ff, v0
                                        ; implicit-def: $vgpr28_vgpr29
	s_delay_alu instid0(VALU_DEP_1) | instskip(NEXT) | instid1(VALU_DEP_1)
	v_ashrrev_i32_e32 v11, 31, v10
	v_add_nc_u64_e32 v[10:11], v[42:43], v[10:11]
.LBB1001_190:
	s_and_not1_saveexec_b32 s3, s3
	s_cbranch_execz .LBB1001_192
; %bb.191:
	s_wait_dscnt 0x4
	v_add_nc_u64_e32 v[10:11], v[2:3], v[28:29]
.LBB1001_192:
	s_or_b32 exec_lo, exec_lo, s3
	s_wait_dscnt 0x4
	s_delay_alu instid0(VALU_DEP_1) | instskip(SKIP_4) | instid1(SALU_CYCLE_1)
	v_lshl_add_u64 v[10:11], v[10:11], 2, s[10:11]
	s_wait_dscnt 0x3
	global_store_b32 v[10:11], v9, off
	s_wait_xcnt 0x0
	s_or_b32 exec_lo, exec_lo, s1
	s_mov_b32 s1, exec_lo
	v_cmpx_gt_u32_e64 s22, v26
	s_cbranch_execnz .LBB1001_158
.LBB1001_193:
	s_or_b32 exec_lo, exec_lo, s1
	s_delay_alu instid0(SALU_CYCLE_1)
	s_mov_b32 s1, exec_lo
	v_cmpx_gt_u32_e64 s22, v24
	s_cbranch_execz .LBB1001_163
.LBB1001_194:
	s_mov_b32 s3, exec_lo
                                        ; implicit-def: $vgpr8_vgpr9
	v_cmpx_ge_u32_e64 v24, v16
	s_xor_b32 s3, exec_lo, s3
	s_cbranch_execz .LBB1001_196
; %bb.195:
	s_wait_dscnt 0x3
	v_xor_b32_e32 v8, 0xfffff6ff, v0
                                        ; implicit-def: $vgpr24_vgpr25
	s_delay_alu instid0(VALU_DEP_1) | instskip(NEXT) | instid1(VALU_DEP_1)
	v_ashrrev_i32_e32 v9, 31, v8
	v_add_nc_u64_e32 v[8:9], v[42:43], v[8:9]
.LBB1001_196:
	s_and_not1_saveexec_b32 s3, s3
	s_cbranch_execz .LBB1001_198
; %bb.197:
	s_wait_dscnt 0x3
	v_add_nc_u64_e32 v[8:9], v[2:3], v[24:25]
.LBB1001_198:
	s_or_b32 exec_lo, exec_lo, s3
	s_wait_dscnt 0x3
	s_delay_alu instid0(VALU_DEP_1) | instskip(SKIP_4) | instid1(SALU_CYCLE_1)
	v_lshl_add_u64 v[8:9], v[8:9], 2, s[10:11]
	s_wait_dscnt 0x2
	global_store_b32 v[8:9], v7, off
	s_wait_xcnt 0x0
	s_or_b32 exec_lo, exec_lo, s1
	s_mov_b32 s1, exec_lo
	v_cmpx_gt_u32_e64 s22, v22
	s_cbranch_execnz .LBB1001_164
.LBB1001_199:
	s_or_b32 exec_lo, exec_lo, s1
	s_delay_alu instid0(SALU_CYCLE_1)
	s_mov_b32 s1, exec_lo
	v_cmpx_gt_u32_e64 s22, v20
	s_cbranch_execz .LBB1001_205
.LBB1001_200:
	s_mov_b32 s3, exec_lo
                                        ; implicit-def: $vgpr6_vgpr7
	v_cmpx_ge_u32_e64 v20, v16
	s_xor_b32 s3, exec_lo, s3
	s_cbranch_execz .LBB1001_202
; %bb.201:
	s_wait_dscnt 0x2
	v_xor_b32_e32 v6, 0xfffff4ff, v0
                                        ; implicit-def: $vgpr20_vgpr21
	s_delay_alu instid0(VALU_DEP_1) | instskip(NEXT) | instid1(VALU_DEP_1)
	v_ashrrev_i32_e32 v7, 31, v6
	v_add_nc_u64_e32 v[6:7], v[42:43], v[6:7]
.LBB1001_202:
	s_and_not1_saveexec_b32 s3, s3
	s_cbranch_execz .LBB1001_204
; %bb.203:
	s_wait_dscnt 0x2
	v_add_nc_u64_e32 v[6:7], v[2:3], v[20:21]
.LBB1001_204:
	s_or_b32 exec_lo, exec_lo, s3
	s_wait_dscnt 0x2
	s_delay_alu instid0(VALU_DEP_1)
	v_lshl_add_u64 v[6:7], v[6:7], 2, s[10:11]
	s_wait_dscnt 0x1
	global_store_b32 v[6:7], v5, off
.LBB1001_205:
	s_wait_xcnt 0x0
	s_or_b32 exec_lo, exec_lo, s1
	s_delay_alu instid0(SALU_CYCLE_1)
	s_mov_b32 s1, exec_lo
                                        ; implicit-def: $vgpr44_vgpr45
	v_cmpx_gt_u32_e64 s22, v18
	s_cbranch_execz .LBB1001_211
; %bb.206:
	s_mov_b32 s3, exec_lo
                                        ; implicit-def: $vgpr44_vgpr45
	v_cmpx_ge_u32_e64 v18, v16
	s_xor_b32 s3, exec_lo, s3
; %bb.207:
	v_xor_b32_e32 v0, 0xfffff3ff, v0
                                        ; implicit-def: $vgpr18_vgpr19
	s_delay_alu instid0(VALU_DEP_1) | instskip(NEXT) | instid1(VALU_DEP_1)
	v_ashrrev_i32_e32 v1, 31, v0
	v_add_nc_u64_e32 v[44:45], v[42:43], v[0:1]
; %bb.208:
	s_and_not1_saveexec_b32 s3, s3
; %bb.209:
	v_add_nc_u64_e32 v[44:45], v[2:3], v[18:19]
; %bb.210:
	s_or_b32 exec_lo, exec_lo, s3
	s_delay_alu instid0(SALU_CYCLE_1)
	s_or_b32 s0, s0, exec_lo
.LBB1001_211:
	s_or_b32 exec_lo, exec_lo, s1
	s_and_saveexec_b32 s1, s0
	s_cbranch_execnz .LBB1001_130
.LBB1001_212:
	s_or_b32 exec_lo, exec_lo, s1
	s_and_b32 s0, s2, s9
	s_delay_alu instid0(SALU_CYCLE_1)
	s_and_saveexec_b32 s1, s0
	s_cbranch_execz .LBB1001_131
.LBB1001_213:
	v_mov_b32_e32 v17, 0
	s_delay_alu instid0(VALU_DEP_1)
	v_add_nc_u64_e32 v[0:1], v[2:3], v[16:17]
	global_store_b64 v17, v[0:1], s[12:13]
	s_sendmsg sendmsg(MSG_DEALLOC_VGPRS)
	s_endpgm
	.section	.rodata,"a",@progbits
	.p2align	6, 0x0
	.amdhsa_kernel _ZN7rocprim17ROCPRIM_400000_NS6detail17trampoline_kernelINS0_13select_configILj256ELj13ELNS0_17block_load_methodE3ELS4_3ELS4_3ELNS0_20block_scan_algorithmE0ELj4294967295EEENS1_25partition_config_selectorILNS1_17partition_subalgoE3EjNS0_10empty_typeEbEEZZNS1_14partition_implILS8_3ELb0ES6_jNS0_17counting_iteratorIjlEEPS9_SE_NS0_5tupleIJPjSE_EEENSF_IJSE_SE_EEES9_SG_JZNS1_25segmented_radix_sort_implINS0_14default_configELb0EPKsPsPKlPlN2at6native12_GLOBAL__N_18offset_tEEE10hipError_tPvRmT1_PNSt15iterator_traitsISY_E10value_typeET2_T3_PNSZ_IS14_E10value_typeET4_jRbjT5_S1A_jjP12ihipStream_tbEUljE_EEESV_SW_SX_S14_S18_S1A_T6_T7_T9_mT8_S1C_bDpT10_ENKUlT_T0_E_clISt17integral_constantIbLb0EES1O_IbLb1EEEEDaS1K_S1L_EUlS1K_E_NS1_11comp_targetILNS1_3genE0ELNS1_11target_archE4294967295ELNS1_3gpuE0ELNS1_3repE0EEENS1_30default_config_static_selectorELNS0_4arch9wavefront6targetE0EEEvSY_
		.amdhsa_group_segment_fixed_size 13320
		.amdhsa_private_segment_fixed_size 0
		.amdhsa_kernarg_size 152
		.amdhsa_user_sgpr_count 2
		.amdhsa_user_sgpr_dispatch_ptr 0
		.amdhsa_user_sgpr_queue_ptr 0
		.amdhsa_user_sgpr_kernarg_segment_ptr 1
		.amdhsa_user_sgpr_dispatch_id 0
		.amdhsa_user_sgpr_kernarg_preload_length 0
		.amdhsa_user_sgpr_kernarg_preload_offset 0
		.amdhsa_user_sgpr_private_segment_size 0
		.amdhsa_wavefront_size32 1
		.amdhsa_uses_dynamic_stack 0
		.amdhsa_enable_private_segment 0
		.amdhsa_system_sgpr_workgroup_id_x 1
		.amdhsa_system_sgpr_workgroup_id_y 0
		.amdhsa_system_sgpr_workgroup_id_z 0
		.amdhsa_system_sgpr_workgroup_info 0
		.amdhsa_system_vgpr_workitem_id 0
		.amdhsa_next_free_vgpr 72
		.amdhsa_next_free_sgpr 24
		.amdhsa_named_barrier_count 0
		.amdhsa_reserve_vcc 1
		.amdhsa_float_round_mode_32 0
		.amdhsa_float_round_mode_16_64 0
		.amdhsa_float_denorm_mode_32 3
		.amdhsa_float_denorm_mode_16_64 3
		.amdhsa_fp16_overflow 0
		.amdhsa_memory_ordered 1
		.amdhsa_forward_progress 1
		.amdhsa_inst_pref_size 71
		.amdhsa_round_robin_scheduling 0
		.amdhsa_exception_fp_ieee_invalid_op 0
		.amdhsa_exception_fp_denorm_src 0
		.amdhsa_exception_fp_ieee_div_zero 0
		.amdhsa_exception_fp_ieee_overflow 0
		.amdhsa_exception_fp_ieee_underflow 0
		.amdhsa_exception_fp_ieee_inexact 0
		.amdhsa_exception_int_div_zero 0
	.end_amdhsa_kernel
	.section	.text._ZN7rocprim17ROCPRIM_400000_NS6detail17trampoline_kernelINS0_13select_configILj256ELj13ELNS0_17block_load_methodE3ELS4_3ELS4_3ELNS0_20block_scan_algorithmE0ELj4294967295EEENS1_25partition_config_selectorILNS1_17partition_subalgoE3EjNS0_10empty_typeEbEEZZNS1_14partition_implILS8_3ELb0ES6_jNS0_17counting_iteratorIjlEEPS9_SE_NS0_5tupleIJPjSE_EEENSF_IJSE_SE_EEES9_SG_JZNS1_25segmented_radix_sort_implINS0_14default_configELb0EPKsPsPKlPlN2at6native12_GLOBAL__N_18offset_tEEE10hipError_tPvRmT1_PNSt15iterator_traitsISY_E10value_typeET2_T3_PNSZ_IS14_E10value_typeET4_jRbjT5_S1A_jjP12ihipStream_tbEUljE_EEESV_SW_SX_S14_S18_S1A_T6_T7_T9_mT8_S1C_bDpT10_ENKUlT_T0_E_clISt17integral_constantIbLb0EES1O_IbLb1EEEEDaS1K_S1L_EUlS1K_E_NS1_11comp_targetILNS1_3genE0ELNS1_11target_archE4294967295ELNS1_3gpuE0ELNS1_3repE0EEENS1_30default_config_static_selectorELNS0_4arch9wavefront6targetE0EEEvSY_,"axG",@progbits,_ZN7rocprim17ROCPRIM_400000_NS6detail17trampoline_kernelINS0_13select_configILj256ELj13ELNS0_17block_load_methodE3ELS4_3ELS4_3ELNS0_20block_scan_algorithmE0ELj4294967295EEENS1_25partition_config_selectorILNS1_17partition_subalgoE3EjNS0_10empty_typeEbEEZZNS1_14partition_implILS8_3ELb0ES6_jNS0_17counting_iteratorIjlEEPS9_SE_NS0_5tupleIJPjSE_EEENSF_IJSE_SE_EEES9_SG_JZNS1_25segmented_radix_sort_implINS0_14default_configELb0EPKsPsPKlPlN2at6native12_GLOBAL__N_18offset_tEEE10hipError_tPvRmT1_PNSt15iterator_traitsISY_E10value_typeET2_T3_PNSZ_IS14_E10value_typeET4_jRbjT5_S1A_jjP12ihipStream_tbEUljE_EEESV_SW_SX_S14_S18_S1A_T6_T7_T9_mT8_S1C_bDpT10_ENKUlT_T0_E_clISt17integral_constantIbLb0EES1O_IbLb1EEEEDaS1K_S1L_EUlS1K_E_NS1_11comp_targetILNS1_3genE0ELNS1_11target_archE4294967295ELNS1_3gpuE0ELNS1_3repE0EEENS1_30default_config_static_selectorELNS0_4arch9wavefront6targetE0EEEvSY_,comdat
.Lfunc_end1001:
	.size	_ZN7rocprim17ROCPRIM_400000_NS6detail17trampoline_kernelINS0_13select_configILj256ELj13ELNS0_17block_load_methodE3ELS4_3ELS4_3ELNS0_20block_scan_algorithmE0ELj4294967295EEENS1_25partition_config_selectorILNS1_17partition_subalgoE3EjNS0_10empty_typeEbEEZZNS1_14partition_implILS8_3ELb0ES6_jNS0_17counting_iteratorIjlEEPS9_SE_NS0_5tupleIJPjSE_EEENSF_IJSE_SE_EEES9_SG_JZNS1_25segmented_radix_sort_implINS0_14default_configELb0EPKsPsPKlPlN2at6native12_GLOBAL__N_18offset_tEEE10hipError_tPvRmT1_PNSt15iterator_traitsISY_E10value_typeET2_T3_PNSZ_IS14_E10value_typeET4_jRbjT5_S1A_jjP12ihipStream_tbEUljE_EEESV_SW_SX_S14_S18_S1A_T6_T7_T9_mT8_S1C_bDpT10_ENKUlT_T0_E_clISt17integral_constantIbLb0EES1O_IbLb1EEEEDaS1K_S1L_EUlS1K_E_NS1_11comp_targetILNS1_3genE0ELNS1_11target_archE4294967295ELNS1_3gpuE0ELNS1_3repE0EEENS1_30default_config_static_selectorELNS0_4arch9wavefront6targetE0EEEvSY_, .Lfunc_end1001-_ZN7rocprim17ROCPRIM_400000_NS6detail17trampoline_kernelINS0_13select_configILj256ELj13ELNS0_17block_load_methodE3ELS4_3ELS4_3ELNS0_20block_scan_algorithmE0ELj4294967295EEENS1_25partition_config_selectorILNS1_17partition_subalgoE3EjNS0_10empty_typeEbEEZZNS1_14partition_implILS8_3ELb0ES6_jNS0_17counting_iteratorIjlEEPS9_SE_NS0_5tupleIJPjSE_EEENSF_IJSE_SE_EEES9_SG_JZNS1_25segmented_radix_sort_implINS0_14default_configELb0EPKsPsPKlPlN2at6native12_GLOBAL__N_18offset_tEEE10hipError_tPvRmT1_PNSt15iterator_traitsISY_E10value_typeET2_T3_PNSZ_IS14_E10value_typeET4_jRbjT5_S1A_jjP12ihipStream_tbEUljE_EEESV_SW_SX_S14_S18_S1A_T6_T7_T9_mT8_S1C_bDpT10_ENKUlT_T0_E_clISt17integral_constantIbLb0EES1O_IbLb1EEEEDaS1K_S1L_EUlS1K_E_NS1_11comp_targetILNS1_3genE0ELNS1_11target_archE4294967295ELNS1_3gpuE0ELNS1_3repE0EEENS1_30default_config_static_selectorELNS0_4arch9wavefront6targetE0EEEvSY_
                                        ; -- End function
	.set _ZN7rocprim17ROCPRIM_400000_NS6detail17trampoline_kernelINS0_13select_configILj256ELj13ELNS0_17block_load_methodE3ELS4_3ELS4_3ELNS0_20block_scan_algorithmE0ELj4294967295EEENS1_25partition_config_selectorILNS1_17partition_subalgoE3EjNS0_10empty_typeEbEEZZNS1_14partition_implILS8_3ELb0ES6_jNS0_17counting_iteratorIjlEEPS9_SE_NS0_5tupleIJPjSE_EEENSF_IJSE_SE_EEES9_SG_JZNS1_25segmented_radix_sort_implINS0_14default_configELb0EPKsPsPKlPlN2at6native12_GLOBAL__N_18offset_tEEE10hipError_tPvRmT1_PNSt15iterator_traitsISY_E10value_typeET2_T3_PNSZ_IS14_E10value_typeET4_jRbjT5_S1A_jjP12ihipStream_tbEUljE_EEESV_SW_SX_S14_S18_S1A_T6_T7_T9_mT8_S1C_bDpT10_ENKUlT_T0_E_clISt17integral_constantIbLb0EES1O_IbLb1EEEEDaS1K_S1L_EUlS1K_E_NS1_11comp_targetILNS1_3genE0ELNS1_11target_archE4294967295ELNS1_3gpuE0ELNS1_3repE0EEENS1_30default_config_static_selectorELNS0_4arch9wavefront6targetE0EEEvSY_.num_vgpr, 72
	.set _ZN7rocprim17ROCPRIM_400000_NS6detail17trampoline_kernelINS0_13select_configILj256ELj13ELNS0_17block_load_methodE3ELS4_3ELS4_3ELNS0_20block_scan_algorithmE0ELj4294967295EEENS1_25partition_config_selectorILNS1_17partition_subalgoE3EjNS0_10empty_typeEbEEZZNS1_14partition_implILS8_3ELb0ES6_jNS0_17counting_iteratorIjlEEPS9_SE_NS0_5tupleIJPjSE_EEENSF_IJSE_SE_EEES9_SG_JZNS1_25segmented_radix_sort_implINS0_14default_configELb0EPKsPsPKlPlN2at6native12_GLOBAL__N_18offset_tEEE10hipError_tPvRmT1_PNSt15iterator_traitsISY_E10value_typeET2_T3_PNSZ_IS14_E10value_typeET4_jRbjT5_S1A_jjP12ihipStream_tbEUljE_EEESV_SW_SX_S14_S18_S1A_T6_T7_T9_mT8_S1C_bDpT10_ENKUlT_T0_E_clISt17integral_constantIbLb0EES1O_IbLb1EEEEDaS1K_S1L_EUlS1K_E_NS1_11comp_targetILNS1_3genE0ELNS1_11target_archE4294967295ELNS1_3gpuE0ELNS1_3repE0EEENS1_30default_config_static_selectorELNS0_4arch9wavefront6targetE0EEEvSY_.num_agpr, 0
	.set _ZN7rocprim17ROCPRIM_400000_NS6detail17trampoline_kernelINS0_13select_configILj256ELj13ELNS0_17block_load_methodE3ELS4_3ELS4_3ELNS0_20block_scan_algorithmE0ELj4294967295EEENS1_25partition_config_selectorILNS1_17partition_subalgoE3EjNS0_10empty_typeEbEEZZNS1_14partition_implILS8_3ELb0ES6_jNS0_17counting_iteratorIjlEEPS9_SE_NS0_5tupleIJPjSE_EEENSF_IJSE_SE_EEES9_SG_JZNS1_25segmented_radix_sort_implINS0_14default_configELb0EPKsPsPKlPlN2at6native12_GLOBAL__N_18offset_tEEE10hipError_tPvRmT1_PNSt15iterator_traitsISY_E10value_typeET2_T3_PNSZ_IS14_E10value_typeET4_jRbjT5_S1A_jjP12ihipStream_tbEUljE_EEESV_SW_SX_S14_S18_S1A_T6_T7_T9_mT8_S1C_bDpT10_ENKUlT_T0_E_clISt17integral_constantIbLb0EES1O_IbLb1EEEEDaS1K_S1L_EUlS1K_E_NS1_11comp_targetILNS1_3genE0ELNS1_11target_archE4294967295ELNS1_3gpuE0ELNS1_3repE0EEENS1_30default_config_static_selectorELNS0_4arch9wavefront6targetE0EEEvSY_.numbered_sgpr, 24
	.set _ZN7rocprim17ROCPRIM_400000_NS6detail17trampoline_kernelINS0_13select_configILj256ELj13ELNS0_17block_load_methodE3ELS4_3ELS4_3ELNS0_20block_scan_algorithmE0ELj4294967295EEENS1_25partition_config_selectorILNS1_17partition_subalgoE3EjNS0_10empty_typeEbEEZZNS1_14partition_implILS8_3ELb0ES6_jNS0_17counting_iteratorIjlEEPS9_SE_NS0_5tupleIJPjSE_EEENSF_IJSE_SE_EEES9_SG_JZNS1_25segmented_radix_sort_implINS0_14default_configELb0EPKsPsPKlPlN2at6native12_GLOBAL__N_18offset_tEEE10hipError_tPvRmT1_PNSt15iterator_traitsISY_E10value_typeET2_T3_PNSZ_IS14_E10value_typeET4_jRbjT5_S1A_jjP12ihipStream_tbEUljE_EEESV_SW_SX_S14_S18_S1A_T6_T7_T9_mT8_S1C_bDpT10_ENKUlT_T0_E_clISt17integral_constantIbLb0EES1O_IbLb1EEEEDaS1K_S1L_EUlS1K_E_NS1_11comp_targetILNS1_3genE0ELNS1_11target_archE4294967295ELNS1_3gpuE0ELNS1_3repE0EEENS1_30default_config_static_selectorELNS0_4arch9wavefront6targetE0EEEvSY_.num_named_barrier, 0
	.set _ZN7rocprim17ROCPRIM_400000_NS6detail17trampoline_kernelINS0_13select_configILj256ELj13ELNS0_17block_load_methodE3ELS4_3ELS4_3ELNS0_20block_scan_algorithmE0ELj4294967295EEENS1_25partition_config_selectorILNS1_17partition_subalgoE3EjNS0_10empty_typeEbEEZZNS1_14partition_implILS8_3ELb0ES6_jNS0_17counting_iteratorIjlEEPS9_SE_NS0_5tupleIJPjSE_EEENSF_IJSE_SE_EEES9_SG_JZNS1_25segmented_radix_sort_implINS0_14default_configELb0EPKsPsPKlPlN2at6native12_GLOBAL__N_18offset_tEEE10hipError_tPvRmT1_PNSt15iterator_traitsISY_E10value_typeET2_T3_PNSZ_IS14_E10value_typeET4_jRbjT5_S1A_jjP12ihipStream_tbEUljE_EEESV_SW_SX_S14_S18_S1A_T6_T7_T9_mT8_S1C_bDpT10_ENKUlT_T0_E_clISt17integral_constantIbLb0EES1O_IbLb1EEEEDaS1K_S1L_EUlS1K_E_NS1_11comp_targetILNS1_3genE0ELNS1_11target_archE4294967295ELNS1_3gpuE0ELNS1_3repE0EEENS1_30default_config_static_selectorELNS0_4arch9wavefront6targetE0EEEvSY_.private_seg_size, 0
	.set _ZN7rocprim17ROCPRIM_400000_NS6detail17trampoline_kernelINS0_13select_configILj256ELj13ELNS0_17block_load_methodE3ELS4_3ELS4_3ELNS0_20block_scan_algorithmE0ELj4294967295EEENS1_25partition_config_selectorILNS1_17partition_subalgoE3EjNS0_10empty_typeEbEEZZNS1_14partition_implILS8_3ELb0ES6_jNS0_17counting_iteratorIjlEEPS9_SE_NS0_5tupleIJPjSE_EEENSF_IJSE_SE_EEES9_SG_JZNS1_25segmented_radix_sort_implINS0_14default_configELb0EPKsPsPKlPlN2at6native12_GLOBAL__N_18offset_tEEE10hipError_tPvRmT1_PNSt15iterator_traitsISY_E10value_typeET2_T3_PNSZ_IS14_E10value_typeET4_jRbjT5_S1A_jjP12ihipStream_tbEUljE_EEESV_SW_SX_S14_S18_S1A_T6_T7_T9_mT8_S1C_bDpT10_ENKUlT_T0_E_clISt17integral_constantIbLb0EES1O_IbLb1EEEEDaS1K_S1L_EUlS1K_E_NS1_11comp_targetILNS1_3genE0ELNS1_11target_archE4294967295ELNS1_3gpuE0ELNS1_3repE0EEENS1_30default_config_static_selectorELNS0_4arch9wavefront6targetE0EEEvSY_.uses_vcc, 1
	.set _ZN7rocprim17ROCPRIM_400000_NS6detail17trampoline_kernelINS0_13select_configILj256ELj13ELNS0_17block_load_methodE3ELS4_3ELS4_3ELNS0_20block_scan_algorithmE0ELj4294967295EEENS1_25partition_config_selectorILNS1_17partition_subalgoE3EjNS0_10empty_typeEbEEZZNS1_14partition_implILS8_3ELb0ES6_jNS0_17counting_iteratorIjlEEPS9_SE_NS0_5tupleIJPjSE_EEENSF_IJSE_SE_EEES9_SG_JZNS1_25segmented_radix_sort_implINS0_14default_configELb0EPKsPsPKlPlN2at6native12_GLOBAL__N_18offset_tEEE10hipError_tPvRmT1_PNSt15iterator_traitsISY_E10value_typeET2_T3_PNSZ_IS14_E10value_typeET4_jRbjT5_S1A_jjP12ihipStream_tbEUljE_EEESV_SW_SX_S14_S18_S1A_T6_T7_T9_mT8_S1C_bDpT10_ENKUlT_T0_E_clISt17integral_constantIbLb0EES1O_IbLb1EEEEDaS1K_S1L_EUlS1K_E_NS1_11comp_targetILNS1_3genE0ELNS1_11target_archE4294967295ELNS1_3gpuE0ELNS1_3repE0EEENS1_30default_config_static_selectorELNS0_4arch9wavefront6targetE0EEEvSY_.uses_flat_scratch, 0
	.set _ZN7rocprim17ROCPRIM_400000_NS6detail17trampoline_kernelINS0_13select_configILj256ELj13ELNS0_17block_load_methodE3ELS4_3ELS4_3ELNS0_20block_scan_algorithmE0ELj4294967295EEENS1_25partition_config_selectorILNS1_17partition_subalgoE3EjNS0_10empty_typeEbEEZZNS1_14partition_implILS8_3ELb0ES6_jNS0_17counting_iteratorIjlEEPS9_SE_NS0_5tupleIJPjSE_EEENSF_IJSE_SE_EEES9_SG_JZNS1_25segmented_radix_sort_implINS0_14default_configELb0EPKsPsPKlPlN2at6native12_GLOBAL__N_18offset_tEEE10hipError_tPvRmT1_PNSt15iterator_traitsISY_E10value_typeET2_T3_PNSZ_IS14_E10value_typeET4_jRbjT5_S1A_jjP12ihipStream_tbEUljE_EEESV_SW_SX_S14_S18_S1A_T6_T7_T9_mT8_S1C_bDpT10_ENKUlT_T0_E_clISt17integral_constantIbLb0EES1O_IbLb1EEEEDaS1K_S1L_EUlS1K_E_NS1_11comp_targetILNS1_3genE0ELNS1_11target_archE4294967295ELNS1_3gpuE0ELNS1_3repE0EEENS1_30default_config_static_selectorELNS0_4arch9wavefront6targetE0EEEvSY_.has_dyn_sized_stack, 0
	.set _ZN7rocprim17ROCPRIM_400000_NS6detail17trampoline_kernelINS0_13select_configILj256ELj13ELNS0_17block_load_methodE3ELS4_3ELS4_3ELNS0_20block_scan_algorithmE0ELj4294967295EEENS1_25partition_config_selectorILNS1_17partition_subalgoE3EjNS0_10empty_typeEbEEZZNS1_14partition_implILS8_3ELb0ES6_jNS0_17counting_iteratorIjlEEPS9_SE_NS0_5tupleIJPjSE_EEENSF_IJSE_SE_EEES9_SG_JZNS1_25segmented_radix_sort_implINS0_14default_configELb0EPKsPsPKlPlN2at6native12_GLOBAL__N_18offset_tEEE10hipError_tPvRmT1_PNSt15iterator_traitsISY_E10value_typeET2_T3_PNSZ_IS14_E10value_typeET4_jRbjT5_S1A_jjP12ihipStream_tbEUljE_EEESV_SW_SX_S14_S18_S1A_T6_T7_T9_mT8_S1C_bDpT10_ENKUlT_T0_E_clISt17integral_constantIbLb0EES1O_IbLb1EEEEDaS1K_S1L_EUlS1K_E_NS1_11comp_targetILNS1_3genE0ELNS1_11target_archE4294967295ELNS1_3gpuE0ELNS1_3repE0EEENS1_30default_config_static_selectorELNS0_4arch9wavefront6targetE0EEEvSY_.has_recursion, 0
	.set _ZN7rocprim17ROCPRIM_400000_NS6detail17trampoline_kernelINS0_13select_configILj256ELj13ELNS0_17block_load_methodE3ELS4_3ELS4_3ELNS0_20block_scan_algorithmE0ELj4294967295EEENS1_25partition_config_selectorILNS1_17partition_subalgoE3EjNS0_10empty_typeEbEEZZNS1_14partition_implILS8_3ELb0ES6_jNS0_17counting_iteratorIjlEEPS9_SE_NS0_5tupleIJPjSE_EEENSF_IJSE_SE_EEES9_SG_JZNS1_25segmented_radix_sort_implINS0_14default_configELb0EPKsPsPKlPlN2at6native12_GLOBAL__N_18offset_tEEE10hipError_tPvRmT1_PNSt15iterator_traitsISY_E10value_typeET2_T3_PNSZ_IS14_E10value_typeET4_jRbjT5_S1A_jjP12ihipStream_tbEUljE_EEESV_SW_SX_S14_S18_S1A_T6_T7_T9_mT8_S1C_bDpT10_ENKUlT_T0_E_clISt17integral_constantIbLb0EES1O_IbLb1EEEEDaS1K_S1L_EUlS1K_E_NS1_11comp_targetILNS1_3genE0ELNS1_11target_archE4294967295ELNS1_3gpuE0ELNS1_3repE0EEENS1_30default_config_static_selectorELNS0_4arch9wavefront6targetE0EEEvSY_.has_indirect_call, 0
	.section	.AMDGPU.csdata,"",@progbits
; Kernel info:
; codeLenInByte = 9040
; TotalNumSgprs: 26
; NumVgprs: 72
; ScratchSize: 0
; MemoryBound: 0
; FloatMode: 240
; IeeeMode: 1
; LDSByteSize: 13320 bytes/workgroup (compile time only)
; SGPRBlocks: 0
; VGPRBlocks: 4
; NumSGPRsForWavesPerEU: 26
; NumVGPRsForWavesPerEU: 72
; NamedBarCnt: 0
; Occupancy: 12
; WaveLimiterHint : 0
; COMPUTE_PGM_RSRC2:SCRATCH_EN: 0
; COMPUTE_PGM_RSRC2:USER_SGPR: 2
; COMPUTE_PGM_RSRC2:TRAP_HANDLER: 0
; COMPUTE_PGM_RSRC2:TGID_X_EN: 1
; COMPUTE_PGM_RSRC2:TGID_Y_EN: 0
; COMPUTE_PGM_RSRC2:TGID_Z_EN: 0
; COMPUTE_PGM_RSRC2:TIDIG_COMP_CNT: 0
	.section	.text._ZN7rocprim17ROCPRIM_400000_NS6detail17trampoline_kernelINS0_13select_configILj256ELj13ELNS0_17block_load_methodE3ELS4_3ELS4_3ELNS0_20block_scan_algorithmE0ELj4294967295EEENS1_25partition_config_selectorILNS1_17partition_subalgoE3EjNS0_10empty_typeEbEEZZNS1_14partition_implILS8_3ELb0ES6_jNS0_17counting_iteratorIjlEEPS9_SE_NS0_5tupleIJPjSE_EEENSF_IJSE_SE_EEES9_SG_JZNS1_25segmented_radix_sort_implINS0_14default_configELb0EPKsPsPKlPlN2at6native12_GLOBAL__N_18offset_tEEE10hipError_tPvRmT1_PNSt15iterator_traitsISY_E10value_typeET2_T3_PNSZ_IS14_E10value_typeET4_jRbjT5_S1A_jjP12ihipStream_tbEUljE_EEESV_SW_SX_S14_S18_S1A_T6_T7_T9_mT8_S1C_bDpT10_ENKUlT_T0_E_clISt17integral_constantIbLb0EES1O_IbLb1EEEEDaS1K_S1L_EUlS1K_E_NS1_11comp_targetILNS1_3genE5ELNS1_11target_archE942ELNS1_3gpuE9ELNS1_3repE0EEENS1_30default_config_static_selectorELNS0_4arch9wavefront6targetE0EEEvSY_,"axG",@progbits,_ZN7rocprim17ROCPRIM_400000_NS6detail17trampoline_kernelINS0_13select_configILj256ELj13ELNS0_17block_load_methodE3ELS4_3ELS4_3ELNS0_20block_scan_algorithmE0ELj4294967295EEENS1_25partition_config_selectorILNS1_17partition_subalgoE3EjNS0_10empty_typeEbEEZZNS1_14partition_implILS8_3ELb0ES6_jNS0_17counting_iteratorIjlEEPS9_SE_NS0_5tupleIJPjSE_EEENSF_IJSE_SE_EEES9_SG_JZNS1_25segmented_radix_sort_implINS0_14default_configELb0EPKsPsPKlPlN2at6native12_GLOBAL__N_18offset_tEEE10hipError_tPvRmT1_PNSt15iterator_traitsISY_E10value_typeET2_T3_PNSZ_IS14_E10value_typeET4_jRbjT5_S1A_jjP12ihipStream_tbEUljE_EEESV_SW_SX_S14_S18_S1A_T6_T7_T9_mT8_S1C_bDpT10_ENKUlT_T0_E_clISt17integral_constantIbLb0EES1O_IbLb1EEEEDaS1K_S1L_EUlS1K_E_NS1_11comp_targetILNS1_3genE5ELNS1_11target_archE942ELNS1_3gpuE9ELNS1_3repE0EEENS1_30default_config_static_selectorELNS0_4arch9wavefront6targetE0EEEvSY_,comdat
	.globl	_ZN7rocprim17ROCPRIM_400000_NS6detail17trampoline_kernelINS0_13select_configILj256ELj13ELNS0_17block_load_methodE3ELS4_3ELS4_3ELNS0_20block_scan_algorithmE0ELj4294967295EEENS1_25partition_config_selectorILNS1_17partition_subalgoE3EjNS0_10empty_typeEbEEZZNS1_14partition_implILS8_3ELb0ES6_jNS0_17counting_iteratorIjlEEPS9_SE_NS0_5tupleIJPjSE_EEENSF_IJSE_SE_EEES9_SG_JZNS1_25segmented_radix_sort_implINS0_14default_configELb0EPKsPsPKlPlN2at6native12_GLOBAL__N_18offset_tEEE10hipError_tPvRmT1_PNSt15iterator_traitsISY_E10value_typeET2_T3_PNSZ_IS14_E10value_typeET4_jRbjT5_S1A_jjP12ihipStream_tbEUljE_EEESV_SW_SX_S14_S18_S1A_T6_T7_T9_mT8_S1C_bDpT10_ENKUlT_T0_E_clISt17integral_constantIbLb0EES1O_IbLb1EEEEDaS1K_S1L_EUlS1K_E_NS1_11comp_targetILNS1_3genE5ELNS1_11target_archE942ELNS1_3gpuE9ELNS1_3repE0EEENS1_30default_config_static_selectorELNS0_4arch9wavefront6targetE0EEEvSY_ ; -- Begin function _ZN7rocprim17ROCPRIM_400000_NS6detail17trampoline_kernelINS0_13select_configILj256ELj13ELNS0_17block_load_methodE3ELS4_3ELS4_3ELNS0_20block_scan_algorithmE0ELj4294967295EEENS1_25partition_config_selectorILNS1_17partition_subalgoE3EjNS0_10empty_typeEbEEZZNS1_14partition_implILS8_3ELb0ES6_jNS0_17counting_iteratorIjlEEPS9_SE_NS0_5tupleIJPjSE_EEENSF_IJSE_SE_EEES9_SG_JZNS1_25segmented_radix_sort_implINS0_14default_configELb0EPKsPsPKlPlN2at6native12_GLOBAL__N_18offset_tEEE10hipError_tPvRmT1_PNSt15iterator_traitsISY_E10value_typeET2_T3_PNSZ_IS14_E10value_typeET4_jRbjT5_S1A_jjP12ihipStream_tbEUljE_EEESV_SW_SX_S14_S18_S1A_T6_T7_T9_mT8_S1C_bDpT10_ENKUlT_T0_E_clISt17integral_constantIbLb0EES1O_IbLb1EEEEDaS1K_S1L_EUlS1K_E_NS1_11comp_targetILNS1_3genE5ELNS1_11target_archE942ELNS1_3gpuE9ELNS1_3repE0EEENS1_30default_config_static_selectorELNS0_4arch9wavefront6targetE0EEEvSY_
	.p2align	8
	.type	_ZN7rocprim17ROCPRIM_400000_NS6detail17trampoline_kernelINS0_13select_configILj256ELj13ELNS0_17block_load_methodE3ELS4_3ELS4_3ELNS0_20block_scan_algorithmE0ELj4294967295EEENS1_25partition_config_selectorILNS1_17partition_subalgoE3EjNS0_10empty_typeEbEEZZNS1_14partition_implILS8_3ELb0ES6_jNS0_17counting_iteratorIjlEEPS9_SE_NS0_5tupleIJPjSE_EEENSF_IJSE_SE_EEES9_SG_JZNS1_25segmented_radix_sort_implINS0_14default_configELb0EPKsPsPKlPlN2at6native12_GLOBAL__N_18offset_tEEE10hipError_tPvRmT1_PNSt15iterator_traitsISY_E10value_typeET2_T3_PNSZ_IS14_E10value_typeET4_jRbjT5_S1A_jjP12ihipStream_tbEUljE_EEESV_SW_SX_S14_S18_S1A_T6_T7_T9_mT8_S1C_bDpT10_ENKUlT_T0_E_clISt17integral_constantIbLb0EES1O_IbLb1EEEEDaS1K_S1L_EUlS1K_E_NS1_11comp_targetILNS1_3genE5ELNS1_11target_archE942ELNS1_3gpuE9ELNS1_3repE0EEENS1_30default_config_static_selectorELNS0_4arch9wavefront6targetE0EEEvSY_,@function
_ZN7rocprim17ROCPRIM_400000_NS6detail17trampoline_kernelINS0_13select_configILj256ELj13ELNS0_17block_load_methodE3ELS4_3ELS4_3ELNS0_20block_scan_algorithmE0ELj4294967295EEENS1_25partition_config_selectorILNS1_17partition_subalgoE3EjNS0_10empty_typeEbEEZZNS1_14partition_implILS8_3ELb0ES6_jNS0_17counting_iteratorIjlEEPS9_SE_NS0_5tupleIJPjSE_EEENSF_IJSE_SE_EEES9_SG_JZNS1_25segmented_radix_sort_implINS0_14default_configELb0EPKsPsPKlPlN2at6native12_GLOBAL__N_18offset_tEEE10hipError_tPvRmT1_PNSt15iterator_traitsISY_E10value_typeET2_T3_PNSZ_IS14_E10value_typeET4_jRbjT5_S1A_jjP12ihipStream_tbEUljE_EEESV_SW_SX_S14_S18_S1A_T6_T7_T9_mT8_S1C_bDpT10_ENKUlT_T0_E_clISt17integral_constantIbLb0EES1O_IbLb1EEEEDaS1K_S1L_EUlS1K_E_NS1_11comp_targetILNS1_3genE5ELNS1_11target_archE942ELNS1_3gpuE9ELNS1_3repE0EEENS1_30default_config_static_selectorELNS0_4arch9wavefront6targetE0EEEvSY_: ; @_ZN7rocprim17ROCPRIM_400000_NS6detail17trampoline_kernelINS0_13select_configILj256ELj13ELNS0_17block_load_methodE3ELS4_3ELS4_3ELNS0_20block_scan_algorithmE0ELj4294967295EEENS1_25partition_config_selectorILNS1_17partition_subalgoE3EjNS0_10empty_typeEbEEZZNS1_14partition_implILS8_3ELb0ES6_jNS0_17counting_iteratorIjlEEPS9_SE_NS0_5tupleIJPjSE_EEENSF_IJSE_SE_EEES9_SG_JZNS1_25segmented_radix_sort_implINS0_14default_configELb0EPKsPsPKlPlN2at6native12_GLOBAL__N_18offset_tEEE10hipError_tPvRmT1_PNSt15iterator_traitsISY_E10value_typeET2_T3_PNSZ_IS14_E10value_typeET4_jRbjT5_S1A_jjP12ihipStream_tbEUljE_EEESV_SW_SX_S14_S18_S1A_T6_T7_T9_mT8_S1C_bDpT10_ENKUlT_T0_E_clISt17integral_constantIbLb0EES1O_IbLb1EEEEDaS1K_S1L_EUlS1K_E_NS1_11comp_targetILNS1_3genE5ELNS1_11target_archE942ELNS1_3gpuE9ELNS1_3repE0EEENS1_30default_config_static_selectorELNS0_4arch9wavefront6targetE0EEEvSY_
; %bb.0:
	.section	.rodata,"a",@progbits
	.p2align	6, 0x0
	.amdhsa_kernel _ZN7rocprim17ROCPRIM_400000_NS6detail17trampoline_kernelINS0_13select_configILj256ELj13ELNS0_17block_load_methodE3ELS4_3ELS4_3ELNS0_20block_scan_algorithmE0ELj4294967295EEENS1_25partition_config_selectorILNS1_17partition_subalgoE3EjNS0_10empty_typeEbEEZZNS1_14partition_implILS8_3ELb0ES6_jNS0_17counting_iteratorIjlEEPS9_SE_NS0_5tupleIJPjSE_EEENSF_IJSE_SE_EEES9_SG_JZNS1_25segmented_radix_sort_implINS0_14default_configELb0EPKsPsPKlPlN2at6native12_GLOBAL__N_18offset_tEEE10hipError_tPvRmT1_PNSt15iterator_traitsISY_E10value_typeET2_T3_PNSZ_IS14_E10value_typeET4_jRbjT5_S1A_jjP12ihipStream_tbEUljE_EEESV_SW_SX_S14_S18_S1A_T6_T7_T9_mT8_S1C_bDpT10_ENKUlT_T0_E_clISt17integral_constantIbLb0EES1O_IbLb1EEEEDaS1K_S1L_EUlS1K_E_NS1_11comp_targetILNS1_3genE5ELNS1_11target_archE942ELNS1_3gpuE9ELNS1_3repE0EEENS1_30default_config_static_selectorELNS0_4arch9wavefront6targetE0EEEvSY_
		.amdhsa_group_segment_fixed_size 0
		.amdhsa_private_segment_fixed_size 0
		.amdhsa_kernarg_size 152
		.amdhsa_user_sgpr_count 2
		.amdhsa_user_sgpr_dispatch_ptr 0
		.amdhsa_user_sgpr_queue_ptr 0
		.amdhsa_user_sgpr_kernarg_segment_ptr 1
		.amdhsa_user_sgpr_dispatch_id 0
		.amdhsa_user_sgpr_kernarg_preload_length 0
		.amdhsa_user_sgpr_kernarg_preload_offset 0
		.amdhsa_user_sgpr_private_segment_size 0
		.amdhsa_wavefront_size32 1
		.amdhsa_uses_dynamic_stack 0
		.amdhsa_enable_private_segment 0
		.amdhsa_system_sgpr_workgroup_id_x 1
		.amdhsa_system_sgpr_workgroup_id_y 0
		.amdhsa_system_sgpr_workgroup_id_z 0
		.amdhsa_system_sgpr_workgroup_info 0
		.amdhsa_system_vgpr_workitem_id 0
		.amdhsa_next_free_vgpr 1
		.amdhsa_next_free_sgpr 1
		.amdhsa_named_barrier_count 0
		.amdhsa_reserve_vcc 0
		.amdhsa_float_round_mode_32 0
		.amdhsa_float_round_mode_16_64 0
		.amdhsa_float_denorm_mode_32 3
		.amdhsa_float_denorm_mode_16_64 3
		.amdhsa_fp16_overflow 0
		.amdhsa_memory_ordered 1
		.amdhsa_forward_progress 1
		.amdhsa_inst_pref_size 0
		.amdhsa_round_robin_scheduling 0
		.amdhsa_exception_fp_ieee_invalid_op 0
		.amdhsa_exception_fp_denorm_src 0
		.amdhsa_exception_fp_ieee_div_zero 0
		.amdhsa_exception_fp_ieee_overflow 0
		.amdhsa_exception_fp_ieee_underflow 0
		.amdhsa_exception_fp_ieee_inexact 0
		.amdhsa_exception_int_div_zero 0
	.end_amdhsa_kernel
	.section	.text._ZN7rocprim17ROCPRIM_400000_NS6detail17trampoline_kernelINS0_13select_configILj256ELj13ELNS0_17block_load_methodE3ELS4_3ELS4_3ELNS0_20block_scan_algorithmE0ELj4294967295EEENS1_25partition_config_selectorILNS1_17partition_subalgoE3EjNS0_10empty_typeEbEEZZNS1_14partition_implILS8_3ELb0ES6_jNS0_17counting_iteratorIjlEEPS9_SE_NS0_5tupleIJPjSE_EEENSF_IJSE_SE_EEES9_SG_JZNS1_25segmented_radix_sort_implINS0_14default_configELb0EPKsPsPKlPlN2at6native12_GLOBAL__N_18offset_tEEE10hipError_tPvRmT1_PNSt15iterator_traitsISY_E10value_typeET2_T3_PNSZ_IS14_E10value_typeET4_jRbjT5_S1A_jjP12ihipStream_tbEUljE_EEESV_SW_SX_S14_S18_S1A_T6_T7_T9_mT8_S1C_bDpT10_ENKUlT_T0_E_clISt17integral_constantIbLb0EES1O_IbLb1EEEEDaS1K_S1L_EUlS1K_E_NS1_11comp_targetILNS1_3genE5ELNS1_11target_archE942ELNS1_3gpuE9ELNS1_3repE0EEENS1_30default_config_static_selectorELNS0_4arch9wavefront6targetE0EEEvSY_,"axG",@progbits,_ZN7rocprim17ROCPRIM_400000_NS6detail17trampoline_kernelINS0_13select_configILj256ELj13ELNS0_17block_load_methodE3ELS4_3ELS4_3ELNS0_20block_scan_algorithmE0ELj4294967295EEENS1_25partition_config_selectorILNS1_17partition_subalgoE3EjNS0_10empty_typeEbEEZZNS1_14partition_implILS8_3ELb0ES6_jNS0_17counting_iteratorIjlEEPS9_SE_NS0_5tupleIJPjSE_EEENSF_IJSE_SE_EEES9_SG_JZNS1_25segmented_radix_sort_implINS0_14default_configELb0EPKsPsPKlPlN2at6native12_GLOBAL__N_18offset_tEEE10hipError_tPvRmT1_PNSt15iterator_traitsISY_E10value_typeET2_T3_PNSZ_IS14_E10value_typeET4_jRbjT5_S1A_jjP12ihipStream_tbEUljE_EEESV_SW_SX_S14_S18_S1A_T6_T7_T9_mT8_S1C_bDpT10_ENKUlT_T0_E_clISt17integral_constantIbLb0EES1O_IbLb1EEEEDaS1K_S1L_EUlS1K_E_NS1_11comp_targetILNS1_3genE5ELNS1_11target_archE942ELNS1_3gpuE9ELNS1_3repE0EEENS1_30default_config_static_selectorELNS0_4arch9wavefront6targetE0EEEvSY_,comdat
.Lfunc_end1002:
	.size	_ZN7rocprim17ROCPRIM_400000_NS6detail17trampoline_kernelINS0_13select_configILj256ELj13ELNS0_17block_load_methodE3ELS4_3ELS4_3ELNS0_20block_scan_algorithmE0ELj4294967295EEENS1_25partition_config_selectorILNS1_17partition_subalgoE3EjNS0_10empty_typeEbEEZZNS1_14partition_implILS8_3ELb0ES6_jNS0_17counting_iteratorIjlEEPS9_SE_NS0_5tupleIJPjSE_EEENSF_IJSE_SE_EEES9_SG_JZNS1_25segmented_radix_sort_implINS0_14default_configELb0EPKsPsPKlPlN2at6native12_GLOBAL__N_18offset_tEEE10hipError_tPvRmT1_PNSt15iterator_traitsISY_E10value_typeET2_T3_PNSZ_IS14_E10value_typeET4_jRbjT5_S1A_jjP12ihipStream_tbEUljE_EEESV_SW_SX_S14_S18_S1A_T6_T7_T9_mT8_S1C_bDpT10_ENKUlT_T0_E_clISt17integral_constantIbLb0EES1O_IbLb1EEEEDaS1K_S1L_EUlS1K_E_NS1_11comp_targetILNS1_3genE5ELNS1_11target_archE942ELNS1_3gpuE9ELNS1_3repE0EEENS1_30default_config_static_selectorELNS0_4arch9wavefront6targetE0EEEvSY_, .Lfunc_end1002-_ZN7rocprim17ROCPRIM_400000_NS6detail17trampoline_kernelINS0_13select_configILj256ELj13ELNS0_17block_load_methodE3ELS4_3ELS4_3ELNS0_20block_scan_algorithmE0ELj4294967295EEENS1_25partition_config_selectorILNS1_17partition_subalgoE3EjNS0_10empty_typeEbEEZZNS1_14partition_implILS8_3ELb0ES6_jNS0_17counting_iteratorIjlEEPS9_SE_NS0_5tupleIJPjSE_EEENSF_IJSE_SE_EEES9_SG_JZNS1_25segmented_radix_sort_implINS0_14default_configELb0EPKsPsPKlPlN2at6native12_GLOBAL__N_18offset_tEEE10hipError_tPvRmT1_PNSt15iterator_traitsISY_E10value_typeET2_T3_PNSZ_IS14_E10value_typeET4_jRbjT5_S1A_jjP12ihipStream_tbEUljE_EEESV_SW_SX_S14_S18_S1A_T6_T7_T9_mT8_S1C_bDpT10_ENKUlT_T0_E_clISt17integral_constantIbLb0EES1O_IbLb1EEEEDaS1K_S1L_EUlS1K_E_NS1_11comp_targetILNS1_3genE5ELNS1_11target_archE942ELNS1_3gpuE9ELNS1_3repE0EEENS1_30default_config_static_selectorELNS0_4arch9wavefront6targetE0EEEvSY_
                                        ; -- End function
	.set _ZN7rocprim17ROCPRIM_400000_NS6detail17trampoline_kernelINS0_13select_configILj256ELj13ELNS0_17block_load_methodE3ELS4_3ELS4_3ELNS0_20block_scan_algorithmE0ELj4294967295EEENS1_25partition_config_selectorILNS1_17partition_subalgoE3EjNS0_10empty_typeEbEEZZNS1_14partition_implILS8_3ELb0ES6_jNS0_17counting_iteratorIjlEEPS9_SE_NS0_5tupleIJPjSE_EEENSF_IJSE_SE_EEES9_SG_JZNS1_25segmented_radix_sort_implINS0_14default_configELb0EPKsPsPKlPlN2at6native12_GLOBAL__N_18offset_tEEE10hipError_tPvRmT1_PNSt15iterator_traitsISY_E10value_typeET2_T3_PNSZ_IS14_E10value_typeET4_jRbjT5_S1A_jjP12ihipStream_tbEUljE_EEESV_SW_SX_S14_S18_S1A_T6_T7_T9_mT8_S1C_bDpT10_ENKUlT_T0_E_clISt17integral_constantIbLb0EES1O_IbLb1EEEEDaS1K_S1L_EUlS1K_E_NS1_11comp_targetILNS1_3genE5ELNS1_11target_archE942ELNS1_3gpuE9ELNS1_3repE0EEENS1_30default_config_static_selectorELNS0_4arch9wavefront6targetE0EEEvSY_.num_vgpr, 0
	.set _ZN7rocprim17ROCPRIM_400000_NS6detail17trampoline_kernelINS0_13select_configILj256ELj13ELNS0_17block_load_methodE3ELS4_3ELS4_3ELNS0_20block_scan_algorithmE0ELj4294967295EEENS1_25partition_config_selectorILNS1_17partition_subalgoE3EjNS0_10empty_typeEbEEZZNS1_14partition_implILS8_3ELb0ES6_jNS0_17counting_iteratorIjlEEPS9_SE_NS0_5tupleIJPjSE_EEENSF_IJSE_SE_EEES9_SG_JZNS1_25segmented_radix_sort_implINS0_14default_configELb0EPKsPsPKlPlN2at6native12_GLOBAL__N_18offset_tEEE10hipError_tPvRmT1_PNSt15iterator_traitsISY_E10value_typeET2_T3_PNSZ_IS14_E10value_typeET4_jRbjT5_S1A_jjP12ihipStream_tbEUljE_EEESV_SW_SX_S14_S18_S1A_T6_T7_T9_mT8_S1C_bDpT10_ENKUlT_T0_E_clISt17integral_constantIbLb0EES1O_IbLb1EEEEDaS1K_S1L_EUlS1K_E_NS1_11comp_targetILNS1_3genE5ELNS1_11target_archE942ELNS1_3gpuE9ELNS1_3repE0EEENS1_30default_config_static_selectorELNS0_4arch9wavefront6targetE0EEEvSY_.num_agpr, 0
	.set _ZN7rocprim17ROCPRIM_400000_NS6detail17trampoline_kernelINS0_13select_configILj256ELj13ELNS0_17block_load_methodE3ELS4_3ELS4_3ELNS0_20block_scan_algorithmE0ELj4294967295EEENS1_25partition_config_selectorILNS1_17partition_subalgoE3EjNS0_10empty_typeEbEEZZNS1_14partition_implILS8_3ELb0ES6_jNS0_17counting_iteratorIjlEEPS9_SE_NS0_5tupleIJPjSE_EEENSF_IJSE_SE_EEES9_SG_JZNS1_25segmented_radix_sort_implINS0_14default_configELb0EPKsPsPKlPlN2at6native12_GLOBAL__N_18offset_tEEE10hipError_tPvRmT1_PNSt15iterator_traitsISY_E10value_typeET2_T3_PNSZ_IS14_E10value_typeET4_jRbjT5_S1A_jjP12ihipStream_tbEUljE_EEESV_SW_SX_S14_S18_S1A_T6_T7_T9_mT8_S1C_bDpT10_ENKUlT_T0_E_clISt17integral_constantIbLb0EES1O_IbLb1EEEEDaS1K_S1L_EUlS1K_E_NS1_11comp_targetILNS1_3genE5ELNS1_11target_archE942ELNS1_3gpuE9ELNS1_3repE0EEENS1_30default_config_static_selectorELNS0_4arch9wavefront6targetE0EEEvSY_.numbered_sgpr, 0
	.set _ZN7rocprim17ROCPRIM_400000_NS6detail17trampoline_kernelINS0_13select_configILj256ELj13ELNS0_17block_load_methodE3ELS4_3ELS4_3ELNS0_20block_scan_algorithmE0ELj4294967295EEENS1_25partition_config_selectorILNS1_17partition_subalgoE3EjNS0_10empty_typeEbEEZZNS1_14partition_implILS8_3ELb0ES6_jNS0_17counting_iteratorIjlEEPS9_SE_NS0_5tupleIJPjSE_EEENSF_IJSE_SE_EEES9_SG_JZNS1_25segmented_radix_sort_implINS0_14default_configELb0EPKsPsPKlPlN2at6native12_GLOBAL__N_18offset_tEEE10hipError_tPvRmT1_PNSt15iterator_traitsISY_E10value_typeET2_T3_PNSZ_IS14_E10value_typeET4_jRbjT5_S1A_jjP12ihipStream_tbEUljE_EEESV_SW_SX_S14_S18_S1A_T6_T7_T9_mT8_S1C_bDpT10_ENKUlT_T0_E_clISt17integral_constantIbLb0EES1O_IbLb1EEEEDaS1K_S1L_EUlS1K_E_NS1_11comp_targetILNS1_3genE5ELNS1_11target_archE942ELNS1_3gpuE9ELNS1_3repE0EEENS1_30default_config_static_selectorELNS0_4arch9wavefront6targetE0EEEvSY_.num_named_barrier, 0
	.set _ZN7rocprim17ROCPRIM_400000_NS6detail17trampoline_kernelINS0_13select_configILj256ELj13ELNS0_17block_load_methodE3ELS4_3ELS4_3ELNS0_20block_scan_algorithmE0ELj4294967295EEENS1_25partition_config_selectorILNS1_17partition_subalgoE3EjNS0_10empty_typeEbEEZZNS1_14partition_implILS8_3ELb0ES6_jNS0_17counting_iteratorIjlEEPS9_SE_NS0_5tupleIJPjSE_EEENSF_IJSE_SE_EEES9_SG_JZNS1_25segmented_radix_sort_implINS0_14default_configELb0EPKsPsPKlPlN2at6native12_GLOBAL__N_18offset_tEEE10hipError_tPvRmT1_PNSt15iterator_traitsISY_E10value_typeET2_T3_PNSZ_IS14_E10value_typeET4_jRbjT5_S1A_jjP12ihipStream_tbEUljE_EEESV_SW_SX_S14_S18_S1A_T6_T7_T9_mT8_S1C_bDpT10_ENKUlT_T0_E_clISt17integral_constantIbLb0EES1O_IbLb1EEEEDaS1K_S1L_EUlS1K_E_NS1_11comp_targetILNS1_3genE5ELNS1_11target_archE942ELNS1_3gpuE9ELNS1_3repE0EEENS1_30default_config_static_selectorELNS0_4arch9wavefront6targetE0EEEvSY_.private_seg_size, 0
	.set _ZN7rocprim17ROCPRIM_400000_NS6detail17trampoline_kernelINS0_13select_configILj256ELj13ELNS0_17block_load_methodE3ELS4_3ELS4_3ELNS0_20block_scan_algorithmE0ELj4294967295EEENS1_25partition_config_selectorILNS1_17partition_subalgoE3EjNS0_10empty_typeEbEEZZNS1_14partition_implILS8_3ELb0ES6_jNS0_17counting_iteratorIjlEEPS9_SE_NS0_5tupleIJPjSE_EEENSF_IJSE_SE_EEES9_SG_JZNS1_25segmented_radix_sort_implINS0_14default_configELb0EPKsPsPKlPlN2at6native12_GLOBAL__N_18offset_tEEE10hipError_tPvRmT1_PNSt15iterator_traitsISY_E10value_typeET2_T3_PNSZ_IS14_E10value_typeET4_jRbjT5_S1A_jjP12ihipStream_tbEUljE_EEESV_SW_SX_S14_S18_S1A_T6_T7_T9_mT8_S1C_bDpT10_ENKUlT_T0_E_clISt17integral_constantIbLb0EES1O_IbLb1EEEEDaS1K_S1L_EUlS1K_E_NS1_11comp_targetILNS1_3genE5ELNS1_11target_archE942ELNS1_3gpuE9ELNS1_3repE0EEENS1_30default_config_static_selectorELNS0_4arch9wavefront6targetE0EEEvSY_.uses_vcc, 0
	.set _ZN7rocprim17ROCPRIM_400000_NS6detail17trampoline_kernelINS0_13select_configILj256ELj13ELNS0_17block_load_methodE3ELS4_3ELS4_3ELNS0_20block_scan_algorithmE0ELj4294967295EEENS1_25partition_config_selectorILNS1_17partition_subalgoE3EjNS0_10empty_typeEbEEZZNS1_14partition_implILS8_3ELb0ES6_jNS0_17counting_iteratorIjlEEPS9_SE_NS0_5tupleIJPjSE_EEENSF_IJSE_SE_EEES9_SG_JZNS1_25segmented_radix_sort_implINS0_14default_configELb0EPKsPsPKlPlN2at6native12_GLOBAL__N_18offset_tEEE10hipError_tPvRmT1_PNSt15iterator_traitsISY_E10value_typeET2_T3_PNSZ_IS14_E10value_typeET4_jRbjT5_S1A_jjP12ihipStream_tbEUljE_EEESV_SW_SX_S14_S18_S1A_T6_T7_T9_mT8_S1C_bDpT10_ENKUlT_T0_E_clISt17integral_constantIbLb0EES1O_IbLb1EEEEDaS1K_S1L_EUlS1K_E_NS1_11comp_targetILNS1_3genE5ELNS1_11target_archE942ELNS1_3gpuE9ELNS1_3repE0EEENS1_30default_config_static_selectorELNS0_4arch9wavefront6targetE0EEEvSY_.uses_flat_scratch, 0
	.set _ZN7rocprim17ROCPRIM_400000_NS6detail17trampoline_kernelINS0_13select_configILj256ELj13ELNS0_17block_load_methodE3ELS4_3ELS4_3ELNS0_20block_scan_algorithmE0ELj4294967295EEENS1_25partition_config_selectorILNS1_17partition_subalgoE3EjNS0_10empty_typeEbEEZZNS1_14partition_implILS8_3ELb0ES6_jNS0_17counting_iteratorIjlEEPS9_SE_NS0_5tupleIJPjSE_EEENSF_IJSE_SE_EEES9_SG_JZNS1_25segmented_radix_sort_implINS0_14default_configELb0EPKsPsPKlPlN2at6native12_GLOBAL__N_18offset_tEEE10hipError_tPvRmT1_PNSt15iterator_traitsISY_E10value_typeET2_T3_PNSZ_IS14_E10value_typeET4_jRbjT5_S1A_jjP12ihipStream_tbEUljE_EEESV_SW_SX_S14_S18_S1A_T6_T7_T9_mT8_S1C_bDpT10_ENKUlT_T0_E_clISt17integral_constantIbLb0EES1O_IbLb1EEEEDaS1K_S1L_EUlS1K_E_NS1_11comp_targetILNS1_3genE5ELNS1_11target_archE942ELNS1_3gpuE9ELNS1_3repE0EEENS1_30default_config_static_selectorELNS0_4arch9wavefront6targetE0EEEvSY_.has_dyn_sized_stack, 0
	.set _ZN7rocprim17ROCPRIM_400000_NS6detail17trampoline_kernelINS0_13select_configILj256ELj13ELNS0_17block_load_methodE3ELS4_3ELS4_3ELNS0_20block_scan_algorithmE0ELj4294967295EEENS1_25partition_config_selectorILNS1_17partition_subalgoE3EjNS0_10empty_typeEbEEZZNS1_14partition_implILS8_3ELb0ES6_jNS0_17counting_iteratorIjlEEPS9_SE_NS0_5tupleIJPjSE_EEENSF_IJSE_SE_EEES9_SG_JZNS1_25segmented_radix_sort_implINS0_14default_configELb0EPKsPsPKlPlN2at6native12_GLOBAL__N_18offset_tEEE10hipError_tPvRmT1_PNSt15iterator_traitsISY_E10value_typeET2_T3_PNSZ_IS14_E10value_typeET4_jRbjT5_S1A_jjP12ihipStream_tbEUljE_EEESV_SW_SX_S14_S18_S1A_T6_T7_T9_mT8_S1C_bDpT10_ENKUlT_T0_E_clISt17integral_constantIbLb0EES1O_IbLb1EEEEDaS1K_S1L_EUlS1K_E_NS1_11comp_targetILNS1_3genE5ELNS1_11target_archE942ELNS1_3gpuE9ELNS1_3repE0EEENS1_30default_config_static_selectorELNS0_4arch9wavefront6targetE0EEEvSY_.has_recursion, 0
	.set _ZN7rocprim17ROCPRIM_400000_NS6detail17trampoline_kernelINS0_13select_configILj256ELj13ELNS0_17block_load_methodE3ELS4_3ELS4_3ELNS0_20block_scan_algorithmE0ELj4294967295EEENS1_25partition_config_selectorILNS1_17partition_subalgoE3EjNS0_10empty_typeEbEEZZNS1_14partition_implILS8_3ELb0ES6_jNS0_17counting_iteratorIjlEEPS9_SE_NS0_5tupleIJPjSE_EEENSF_IJSE_SE_EEES9_SG_JZNS1_25segmented_radix_sort_implINS0_14default_configELb0EPKsPsPKlPlN2at6native12_GLOBAL__N_18offset_tEEE10hipError_tPvRmT1_PNSt15iterator_traitsISY_E10value_typeET2_T3_PNSZ_IS14_E10value_typeET4_jRbjT5_S1A_jjP12ihipStream_tbEUljE_EEESV_SW_SX_S14_S18_S1A_T6_T7_T9_mT8_S1C_bDpT10_ENKUlT_T0_E_clISt17integral_constantIbLb0EES1O_IbLb1EEEEDaS1K_S1L_EUlS1K_E_NS1_11comp_targetILNS1_3genE5ELNS1_11target_archE942ELNS1_3gpuE9ELNS1_3repE0EEENS1_30default_config_static_selectorELNS0_4arch9wavefront6targetE0EEEvSY_.has_indirect_call, 0
	.section	.AMDGPU.csdata,"",@progbits
; Kernel info:
; codeLenInByte = 0
; TotalNumSgprs: 0
; NumVgprs: 0
; ScratchSize: 0
; MemoryBound: 0
; FloatMode: 240
; IeeeMode: 1
; LDSByteSize: 0 bytes/workgroup (compile time only)
; SGPRBlocks: 0
; VGPRBlocks: 0
; NumSGPRsForWavesPerEU: 1
; NumVGPRsForWavesPerEU: 1
; NamedBarCnt: 0
; Occupancy: 16
; WaveLimiterHint : 0
; COMPUTE_PGM_RSRC2:SCRATCH_EN: 0
; COMPUTE_PGM_RSRC2:USER_SGPR: 2
; COMPUTE_PGM_RSRC2:TRAP_HANDLER: 0
; COMPUTE_PGM_RSRC2:TGID_X_EN: 1
; COMPUTE_PGM_RSRC2:TGID_Y_EN: 0
; COMPUTE_PGM_RSRC2:TGID_Z_EN: 0
; COMPUTE_PGM_RSRC2:TIDIG_COMP_CNT: 0
	.section	.text._ZN7rocprim17ROCPRIM_400000_NS6detail17trampoline_kernelINS0_13select_configILj256ELj13ELNS0_17block_load_methodE3ELS4_3ELS4_3ELNS0_20block_scan_algorithmE0ELj4294967295EEENS1_25partition_config_selectorILNS1_17partition_subalgoE3EjNS0_10empty_typeEbEEZZNS1_14partition_implILS8_3ELb0ES6_jNS0_17counting_iteratorIjlEEPS9_SE_NS0_5tupleIJPjSE_EEENSF_IJSE_SE_EEES9_SG_JZNS1_25segmented_radix_sort_implINS0_14default_configELb0EPKsPsPKlPlN2at6native12_GLOBAL__N_18offset_tEEE10hipError_tPvRmT1_PNSt15iterator_traitsISY_E10value_typeET2_T3_PNSZ_IS14_E10value_typeET4_jRbjT5_S1A_jjP12ihipStream_tbEUljE_EEESV_SW_SX_S14_S18_S1A_T6_T7_T9_mT8_S1C_bDpT10_ENKUlT_T0_E_clISt17integral_constantIbLb0EES1O_IbLb1EEEEDaS1K_S1L_EUlS1K_E_NS1_11comp_targetILNS1_3genE4ELNS1_11target_archE910ELNS1_3gpuE8ELNS1_3repE0EEENS1_30default_config_static_selectorELNS0_4arch9wavefront6targetE0EEEvSY_,"axG",@progbits,_ZN7rocprim17ROCPRIM_400000_NS6detail17trampoline_kernelINS0_13select_configILj256ELj13ELNS0_17block_load_methodE3ELS4_3ELS4_3ELNS0_20block_scan_algorithmE0ELj4294967295EEENS1_25partition_config_selectorILNS1_17partition_subalgoE3EjNS0_10empty_typeEbEEZZNS1_14partition_implILS8_3ELb0ES6_jNS0_17counting_iteratorIjlEEPS9_SE_NS0_5tupleIJPjSE_EEENSF_IJSE_SE_EEES9_SG_JZNS1_25segmented_radix_sort_implINS0_14default_configELb0EPKsPsPKlPlN2at6native12_GLOBAL__N_18offset_tEEE10hipError_tPvRmT1_PNSt15iterator_traitsISY_E10value_typeET2_T3_PNSZ_IS14_E10value_typeET4_jRbjT5_S1A_jjP12ihipStream_tbEUljE_EEESV_SW_SX_S14_S18_S1A_T6_T7_T9_mT8_S1C_bDpT10_ENKUlT_T0_E_clISt17integral_constantIbLb0EES1O_IbLb1EEEEDaS1K_S1L_EUlS1K_E_NS1_11comp_targetILNS1_3genE4ELNS1_11target_archE910ELNS1_3gpuE8ELNS1_3repE0EEENS1_30default_config_static_selectorELNS0_4arch9wavefront6targetE0EEEvSY_,comdat
	.globl	_ZN7rocprim17ROCPRIM_400000_NS6detail17trampoline_kernelINS0_13select_configILj256ELj13ELNS0_17block_load_methodE3ELS4_3ELS4_3ELNS0_20block_scan_algorithmE0ELj4294967295EEENS1_25partition_config_selectorILNS1_17partition_subalgoE3EjNS0_10empty_typeEbEEZZNS1_14partition_implILS8_3ELb0ES6_jNS0_17counting_iteratorIjlEEPS9_SE_NS0_5tupleIJPjSE_EEENSF_IJSE_SE_EEES9_SG_JZNS1_25segmented_radix_sort_implINS0_14default_configELb0EPKsPsPKlPlN2at6native12_GLOBAL__N_18offset_tEEE10hipError_tPvRmT1_PNSt15iterator_traitsISY_E10value_typeET2_T3_PNSZ_IS14_E10value_typeET4_jRbjT5_S1A_jjP12ihipStream_tbEUljE_EEESV_SW_SX_S14_S18_S1A_T6_T7_T9_mT8_S1C_bDpT10_ENKUlT_T0_E_clISt17integral_constantIbLb0EES1O_IbLb1EEEEDaS1K_S1L_EUlS1K_E_NS1_11comp_targetILNS1_3genE4ELNS1_11target_archE910ELNS1_3gpuE8ELNS1_3repE0EEENS1_30default_config_static_selectorELNS0_4arch9wavefront6targetE0EEEvSY_ ; -- Begin function _ZN7rocprim17ROCPRIM_400000_NS6detail17trampoline_kernelINS0_13select_configILj256ELj13ELNS0_17block_load_methodE3ELS4_3ELS4_3ELNS0_20block_scan_algorithmE0ELj4294967295EEENS1_25partition_config_selectorILNS1_17partition_subalgoE3EjNS0_10empty_typeEbEEZZNS1_14partition_implILS8_3ELb0ES6_jNS0_17counting_iteratorIjlEEPS9_SE_NS0_5tupleIJPjSE_EEENSF_IJSE_SE_EEES9_SG_JZNS1_25segmented_radix_sort_implINS0_14default_configELb0EPKsPsPKlPlN2at6native12_GLOBAL__N_18offset_tEEE10hipError_tPvRmT1_PNSt15iterator_traitsISY_E10value_typeET2_T3_PNSZ_IS14_E10value_typeET4_jRbjT5_S1A_jjP12ihipStream_tbEUljE_EEESV_SW_SX_S14_S18_S1A_T6_T7_T9_mT8_S1C_bDpT10_ENKUlT_T0_E_clISt17integral_constantIbLb0EES1O_IbLb1EEEEDaS1K_S1L_EUlS1K_E_NS1_11comp_targetILNS1_3genE4ELNS1_11target_archE910ELNS1_3gpuE8ELNS1_3repE0EEENS1_30default_config_static_selectorELNS0_4arch9wavefront6targetE0EEEvSY_
	.p2align	8
	.type	_ZN7rocprim17ROCPRIM_400000_NS6detail17trampoline_kernelINS0_13select_configILj256ELj13ELNS0_17block_load_methodE3ELS4_3ELS4_3ELNS0_20block_scan_algorithmE0ELj4294967295EEENS1_25partition_config_selectorILNS1_17partition_subalgoE3EjNS0_10empty_typeEbEEZZNS1_14partition_implILS8_3ELb0ES6_jNS0_17counting_iteratorIjlEEPS9_SE_NS0_5tupleIJPjSE_EEENSF_IJSE_SE_EEES9_SG_JZNS1_25segmented_radix_sort_implINS0_14default_configELb0EPKsPsPKlPlN2at6native12_GLOBAL__N_18offset_tEEE10hipError_tPvRmT1_PNSt15iterator_traitsISY_E10value_typeET2_T3_PNSZ_IS14_E10value_typeET4_jRbjT5_S1A_jjP12ihipStream_tbEUljE_EEESV_SW_SX_S14_S18_S1A_T6_T7_T9_mT8_S1C_bDpT10_ENKUlT_T0_E_clISt17integral_constantIbLb0EES1O_IbLb1EEEEDaS1K_S1L_EUlS1K_E_NS1_11comp_targetILNS1_3genE4ELNS1_11target_archE910ELNS1_3gpuE8ELNS1_3repE0EEENS1_30default_config_static_selectorELNS0_4arch9wavefront6targetE0EEEvSY_,@function
_ZN7rocprim17ROCPRIM_400000_NS6detail17trampoline_kernelINS0_13select_configILj256ELj13ELNS0_17block_load_methodE3ELS4_3ELS4_3ELNS0_20block_scan_algorithmE0ELj4294967295EEENS1_25partition_config_selectorILNS1_17partition_subalgoE3EjNS0_10empty_typeEbEEZZNS1_14partition_implILS8_3ELb0ES6_jNS0_17counting_iteratorIjlEEPS9_SE_NS0_5tupleIJPjSE_EEENSF_IJSE_SE_EEES9_SG_JZNS1_25segmented_radix_sort_implINS0_14default_configELb0EPKsPsPKlPlN2at6native12_GLOBAL__N_18offset_tEEE10hipError_tPvRmT1_PNSt15iterator_traitsISY_E10value_typeET2_T3_PNSZ_IS14_E10value_typeET4_jRbjT5_S1A_jjP12ihipStream_tbEUljE_EEESV_SW_SX_S14_S18_S1A_T6_T7_T9_mT8_S1C_bDpT10_ENKUlT_T0_E_clISt17integral_constantIbLb0EES1O_IbLb1EEEEDaS1K_S1L_EUlS1K_E_NS1_11comp_targetILNS1_3genE4ELNS1_11target_archE910ELNS1_3gpuE8ELNS1_3repE0EEENS1_30default_config_static_selectorELNS0_4arch9wavefront6targetE0EEEvSY_: ; @_ZN7rocprim17ROCPRIM_400000_NS6detail17trampoline_kernelINS0_13select_configILj256ELj13ELNS0_17block_load_methodE3ELS4_3ELS4_3ELNS0_20block_scan_algorithmE0ELj4294967295EEENS1_25partition_config_selectorILNS1_17partition_subalgoE3EjNS0_10empty_typeEbEEZZNS1_14partition_implILS8_3ELb0ES6_jNS0_17counting_iteratorIjlEEPS9_SE_NS0_5tupleIJPjSE_EEENSF_IJSE_SE_EEES9_SG_JZNS1_25segmented_radix_sort_implINS0_14default_configELb0EPKsPsPKlPlN2at6native12_GLOBAL__N_18offset_tEEE10hipError_tPvRmT1_PNSt15iterator_traitsISY_E10value_typeET2_T3_PNSZ_IS14_E10value_typeET4_jRbjT5_S1A_jjP12ihipStream_tbEUljE_EEESV_SW_SX_S14_S18_S1A_T6_T7_T9_mT8_S1C_bDpT10_ENKUlT_T0_E_clISt17integral_constantIbLb0EES1O_IbLb1EEEEDaS1K_S1L_EUlS1K_E_NS1_11comp_targetILNS1_3genE4ELNS1_11target_archE910ELNS1_3gpuE8ELNS1_3repE0EEENS1_30default_config_static_selectorELNS0_4arch9wavefront6targetE0EEEvSY_
; %bb.0:
	.section	.rodata,"a",@progbits
	.p2align	6, 0x0
	.amdhsa_kernel _ZN7rocprim17ROCPRIM_400000_NS6detail17trampoline_kernelINS0_13select_configILj256ELj13ELNS0_17block_load_methodE3ELS4_3ELS4_3ELNS0_20block_scan_algorithmE0ELj4294967295EEENS1_25partition_config_selectorILNS1_17partition_subalgoE3EjNS0_10empty_typeEbEEZZNS1_14partition_implILS8_3ELb0ES6_jNS0_17counting_iteratorIjlEEPS9_SE_NS0_5tupleIJPjSE_EEENSF_IJSE_SE_EEES9_SG_JZNS1_25segmented_radix_sort_implINS0_14default_configELb0EPKsPsPKlPlN2at6native12_GLOBAL__N_18offset_tEEE10hipError_tPvRmT1_PNSt15iterator_traitsISY_E10value_typeET2_T3_PNSZ_IS14_E10value_typeET4_jRbjT5_S1A_jjP12ihipStream_tbEUljE_EEESV_SW_SX_S14_S18_S1A_T6_T7_T9_mT8_S1C_bDpT10_ENKUlT_T0_E_clISt17integral_constantIbLb0EES1O_IbLb1EEEEDaS1K_S1L_EUlS1K_E_NS1_11comp_targetILNS1_3genE4ELNS1_11target_archE910ELNS1_3gpuE8ELNS1_3repE0EEENS1_30default_config_static_selectorELNS0_4arch9wavefront6targetE0EEEvSY_
		.amdhsa_group_segment_fixed_size 0
		.amdhsa_private_segment_fixed_size 0
		.amdhsa_kernarg_size 152
		.amdhsa_user_sgpr_count 2
		.amdhsa_user_sgpr_dispatch_ptr 0
		.amdhsa_user_sgpr_queue_ptr 0
		.amdhsa_user_sgpr_kernarg_segment_ptr 1
		.amdhsa_user_sgpr_dispatch_id 0
		.amdhsa_user_sgpr_kernarg_preload_length 0
		.amdhsa_user_sgpr_kernarg_preload_offset 0
		.amdhsa_user_sgpr_private_segment_size 0
		.amdhsa_wavefront_size32 1
		.amdhsa_uses_dynamic_stack 0
		.amdhsa_enable_private_segment 0
		.amdhsa_system_sgpr_workgroup_id_x 1
		.amdhsa_system_sgpr_workgroup_id_y 0
		.amdhsa_system_sgpr_workgroup_id_z 0
		.amdhsa_system_sgpr_workgroup_info 0
		.amdhsa_system_vgpr_workitem_id 0
		.amdhsa_next_free_vgpr 1
		.amdhsa_next_free_sgpr 1
		.amdhsa_named_barrier_count 0
		.amdhsa_reserve_vcc 0
		.amdhsa_float_round_mode_32 0
		.amdhsa_float_round_mode_16_64 0
		.amdhsa_float_denorm_mode_32 3
		.amdhsa_float_denorm_mode_16_64 3
		.amdhsa_fp16_overflow 0
		.amdhsa_memory_ordered 1
		.amdhsa_forward_progress 1
		.amdhsa_inst_pref_size 0
		.amdhsa_round_robin_scheduling 0
		.amdhsa_exception_fp_ieee_invalid_op 0
		.amdhsa_exception_fp_denorm_src 0
		.amdhsa_exception_fp_ieee_div_zero 0
		.amdhsa_exception_fp_ieee_overflow 0
		.amdhsa_exception_fp_ieee_underflow 0
		.amdhsa_exception_fp_ieee_inexact 0
		.amdhsa_exception_int_div_zero 0
	.end_amdhsa_kernel
	.section	.text._ZN7rocprim17ROCPRIM_400000_NS6detail17trampoline_kernelINS0_13select_configILj256ELj13ELNS0_17block_load_methodE3ELS4_3ELS4_3ELNS0_20block_scan_algorithmE0ELj4294967295EEENS1_25partition_config_selectorILNS1_17partition_subalgoE3EjNS0_10empty_typeEbEEZZNS1_14partition_implILS8_3ELb0ES6_jNS0_17counting_iteratorIjlEEPS9_SE_NS0_5tupleIJPjSE_EEENSF_IJSE_SE_EEES9_SG_JZNS1_25segmented_radix_sort_implINS0_14default_configELb0EPKsPsPKlPlN2at6native12_GLOBAL__N_18offset_tEEE10hipError_tPvRmT1_PNSt15iterator_traitsISY_E10value_typeET2_T3_PNSZ_IS14_E10value_typeET4_jRbjT5_S1A_jjP12ihipStream_tbEUljE_EEESV_SW_SX_S14_S18_S1A_T6_T7_T9_mT8_S1C_bDpT10_ENKUlT_T0_E_clISt17integral_constantIbLb0EES1O_IbLb1EEEEDaS1K_S1L_EUlS1K_E_NS1_11comp_targetILNS1_3genE4ELNS1_11target_archE910ELNS1_3gpuE8ELNS1_3repE0EEENS1_30default_config_static_selectorELNS0_4arch9wavefront6targetE0EEEvSY_,"axG",@progbits,_ZN7rocprim17ROCPRIM_400000_NS6detail17trampoline_kernelINS0_13select_configILj256ELj13ELNS0_17block_load_methodE3ELS4_3ELS4_3ELNS0_20block_scan_algorithmE0ELj4294967295EEENS1_25partition_config_selectorILNS1_17partition_subalgoE3EjNS0_10empty_typeEbEEZZNS1_14partition_implILS8_3ELb0ES6_jNS0_17counting_iteratorIjlEEPS9_SE_NS0_5tupleIJPjSE_EEENSF_IJSE_SE_EEES9_SG_JZNS1_25segmented_radix_sort_implINS0_14default_configELb0EPKsPsPKlPlN2at6native12_GLOBAL__N_18offset_tEEE10hipError_tPvRmT1_PNSt15iterator_traitsISY_E10value_typeET2_T3_PNSZ_IS14_E10value_typeET4_jRbjT5_S1A_jjP12ihipStream_tbEUljE_EEESV_SW_SX_S14_S18_S1A_T6_T7_T9_mT8_S1C_bDpT10_ENKUlT_T0_E_clISt17integral_constantIbLb0EES1O_IbLb1EEEEDaS1K_S1L_EUlS1K_E_NS1_11comp_targetILNS1_3genE4ELNS1_11target_archE910ELNS1_3gpuE8ELNS1_3repE0EEENS1_30default_config_static_selectorELNS0_4arch9wavefront6targetE0EEEvSY_,comdat
.Lfunc_end1003:
	.size	_ZN7rocprim17ROCPRIM_400000_NS6detail17trampoline_kernelINS0_13select_configILj256ELj13ELNS0_17block_load_methodE3ELS4_3ELS4_3ELNS0_20block_scan_algorithmE0ELj4294967295EEENS1_25partition_config_selectorILNS1_17partition_subalgoE3EjNS0_10empty_typeEbEEZZNS1_14partition_implILS8_3ELb0ES6_jNS0_17counting_iteratorIjlEEPS9_SE_NS0_5tupleIJPjSE_EEENSF_IJSE_SE_EEES9_SG_JZNS1_25segmented_radix_sort_implINS0_14default_configELb0EPKsPsPKlPlN2at6native12_GLOBAL__N_18offset_tEEE10hipError_tPvRmT1_PNSt15iterator_traitsISY_E10value_typeET2_T3_PNSZ_IS14_E10value_typeET4_jRbjT5_S1A_jjP12ihipStream_tbEUljE_EEESV_SW_SX_S14_S18_S1A_T6_T7_T9_mT8_S1C_bDpT10_ENKUlT_T0_E_clISt17integral_constantIbLb0EES1O_IbLb1EEEEDaS1K_S1L_EUlS1K_E_NS1_11comp_targetILNS1_3genE4ELNS1_11target_archE910ELNS1_3gpuE8ELNS1_3repE0EEENS1_30default_config_static_selectorELNS0_4arch9wavefront6targetE0EEEvSY_, .Lfunc_end1003-_ZN7rocprim17ROCPRIM_400000_NS6detail17trampoline_kernelINS0_13select_configILj256ELj13ELNS0_17block_load_methodE3ELS4_3ELS4_3ELNS0_20block_scan_algorithmE0ELj4294967295EEENS1_25partition_config_selectorILNS1_17partition_subalgoE3EjNS0_10empty_typeEbEEZZNS1_14partition_implILS8_3ELb0ES6_jNS0_17counting_iteratorIjlEEPS9_SE_NS0_5tupleIJPjSE_EEENSF_IJSE_SE_EEES9_SG_JZNS1_25segmented_radix_sort_implINS0_14default_configELb0EPKsPsPKlPlN2at6native12_GLOBAL__N_18offset_tEEE10hipError_tPvRmT1_PNSt15iterator_traitsISY_E10value_typeET2_T3_PNSZ_IS14_E10value_typeET4_jRbjT5_S1A_jjP12ihipStream_tbEUljE_EEESV_SW_SX_S14_S18_S1A_T6_T7_T9_mT8_S1C_bDpT10_ENKUlT_T0_E_clISt17integral_constantIbLb0EES1O_IbLb1EEEEDaS1K_S1L_EUlS1K_E_NS1_11comp_targetILNS1_3genE4ELNS1_11target_archE910ELNS1_3gpuE8ELNS1_3repE0EEENS1_30default_config_static_selectorELNS0_4arch9wavefront6targetE0EEEvSY_
                                        ; -- End function
	.set _ZN7rocprim17ROCPRIM_400000_NS6detail17trampoline_kernelINS0_13select_configILj256ELj13ELNS0_17block_load_methodE3ELS4_3ELS4_3ELNS0_20block_scan_algorithmE0ELj4294967295EEENS1_25partition_config_selectorILNS1_17partition_subalgoE3EjNS0_10empty_typeEbEEZZNS1_14partition_implILS8_3ELb0ES6_jNS0_17counting_iteratorIjlEEPS9_SE_NS0_5tupleIJPjSE_EEENSF_IJSE_SE_EEES9_SG_JZNS1_25segmented_radix_sort_implINS0_14default_configELb0EPKsPsPKlPlN2at6native12_GLOBAL__N_18offset_tEEE10hipError_tPvRmT1_PNSt15iterator_traitsISY_E10value_typeET2_T3_PNSZ_IS14_E10value_typeET4_jRbjT5_S1A_jjP12ihipStream_tbEUljE_EEESV_SW_SX_S14_S18_S1A_T6_T7_T9_mT8_S1C_bDpT10_ENKUlT_T0_E_clISt17integral_constantIbLb0EES1O_IbLb1EEEEDaS1K_S1L_EUlS1K_E_NS1_11comp_targetILNS1_3genE4ELNS1_11target_archE910ELNS1_3gpuE8ELNS1_3repE0EEENS1_30default_config_static_selectorELNS0_4arch9wavefront6targetE0EEEvSY_.num_vgpr, 0
	.set _ZN7rocprim17ROCPRIM_400000_NS6detail17trampoline_kernelINS0_13select_configILj256ELj13ELNS0_17block_load_methodE3ELS4_3ELS4_3ELNS0_20block_scan_algorithmE0ELj4294967295EEENS1_25partition_config_selectorILNS1_17partition_subalgoE3EjNS0_10empty_typeEbEEZZNS1_14partition_implILS8_3ELb0ES6_jNS0_17counting_iteratorIjlEEPS9_SE_NS0_5tupleIJPjSE_EEENSF_IJSE_SE_EEES9_SG_JZNS1_25segmented_radix_sort_implINS0_14default_configELb0EPKsPsPKlPlN2at6native12_GLOBAL__N_18offset_tEEE10hipError_tPvRmT1_PNSt15iterator_traitsISY_E10value_typeET2_T3_PNSZ_IS14_E10value_typeET4_jRbjT5_S1A_jjP12ihipStream_tbEUljE_EEESV_SW_SX_S14_S18_S1A_T6_T7_T9_mT8_S1C_bDpT10_ENKUlT_T0_E_clISt17integral_constantIbLb0EES1O_IbLb1EEEEDaS1K_S1L_EUlS1K_E_NS1_11comp_targetILNS1_3genE4ELNS1_11target_archE910ELNS1_3gpuE8ELNS1_3repE0EEENS1_30default_config_static_selectorELNS0_4arch9wavefront6targetE0EEEvSY_.num_agpr, 0
	.set _ZN7rocprim17ROCPRIM_400000_NS6detail17trampoline_kernelINS0_13select_configILj256ELj13ELNS0_17block_load_methodE3ELS4_3ELS4_3ELNS0_20block_scan_algorithmE0ELj4294967295EEENS1_25partition_config_selectorILNS1_17partition_subalgoE3EjNS0_10empty_typeEbEEZZNS1_14partition_implILS8_3ELb0ES6_jNS0_17counting_iteratorIjlEEPS9_SE_NS0_5tupleIJPjSE_EEENSF_IJSE_SE_EEES9_SG_JZNS1_25segmented_radix_sort_implINS0_14default_configELb0EPKsPsPKlPlN2at6native12_GLOBAL__N_18offset_tEEE10hipError_tPvRmT1_PNSt15iterator_traitsISY_E10value_typeET2_T3_PNSZ_IS14_E10value_typeET4_jRbjT5_S1A_jjP12ihipStream_tbEUljE_EEESV_SW_SX_S14_S18_S1A_T6_T7_T9_mT8_S1C_bDpT10_ENKUlT_T0_E_clISt17integral_constantIbLb0EES1O_IbLb1EEEEDaS1K_S1L_EUlS1K_E_NS1_11comp_targetILNS1_3genE4ELNS1_11target_archE910ELNS1_3gpuE8ELNS1_3repE0EEENS1_30default_config_static_selectorELNS0_4arch9wavefront6targetE0EEEvSY_.numbered_sgpr, 0
	.set _ZN7rocprim17ROCPRIM_400000_NS6detail17trampoline_kernelINS0_13select_configILj256ELj13ELNS0_17block_load_methodE3ELS4_3ELS4_3ELNS0_20block_scan_algorithmE0ELj4294967295EEENS1_25partition_config_selectorILNS1_17partition_subalgoE3EjNS0_10empty_typeEbEEZZNS1_14partition_implILS8_3ELb0ES6_jNS0_17counting_iteratorIjlEEPS9_SE_NS0_5tupleIJPjSE_EEENSF_IJSE_SE_EEES9_SG_JZNS1_25segmented_radix_sort_implINS0_14default_configELb0EPKsPsPKlPlN2at6native12_GLOBAL__N_18offset_tEEE10hipError_tPvRmT1_PNSt15iterator_traitsISY_E10value_typeET2_T3_PNSZ_IS14_E10value_typeET4_jRbjT5_S1A_jjP12ihipStream_tbEUljE_EEESV_SW_SX_S14_S18_S1A_T6_T7_T9_mT8_S1C_bDpT10_ENKUlT_T0_E_clISt17integral_constantIbLb0EES1O_IbLb1EEEEDaS1K_S1L_EUlS1K_E_NS1_11comp_targetILNS1_3genE4ELNS1_11target_archE910ELNS1_3gpuE8ELNS1_3repE0EEENS1_30default_config_static_selectorELNS0_4arch9wavefront6targetE0EEEvSY_.num_named_barrier, 0
	.set _ZN7rocprim17ROCPRIM_400000_NS6detail17trampoline_kernelINS0_13select_configILj256ELj13ELNS0_17block_load_methodE3ELS4_3ELS4_3ELNS0_20block_scan_algorithmE0ELj4294967295EEENS1_25partition_config_selectorILNS1_17partition_subalgoE3EjNS0_10empty_typeEbEEZZNS1_14partition_implILS8_3ELb0ES6_jNS0_17counting_iteratorIjlEEPS9_SE_NS0_5tupleIJPjSE_EEENSF_IJSE_SE_EEES9_SG_JZNS1_25segmented_radix_sort_implINS0_14default_configELb0EPKsPsPKlPlN2at6native12_GLOBAL__N_18offset_tEEE10hipError_tPvRmT1_PNSt15iterator_traitsISY_E10value_typeET2_T3_PNSZ_IS14_E10value_typeET4_jRbjT5_S1A_jjP12ihipStream_tbEUljE_EEESV_SW_SX_S14_S18_S1A_T6_T7_T9_mT8_S1C_bDpT10_ENKUlT_T0_E_clISt17integral_constantIbLb0EES1O_IbLb1EEEEDaS1K_S1L_EUlS1K_E_NS1_11comp_targetILNS1_3genE4ELNS1_11target_archE910ELNS1_3gpuE8ELNS1_3repE0EEENS1_30default_config_static_selectorELNS0_4arch9wavefront6targetE0EEEvSY_.private_seg_size, 0
	.set _ZN7rocprim17ROCPRIM_400000_NS6detail17trampoline_kernelINS0_13select_configILj256ELj13ELNS0_17block_load_methodE3ELS4_3ELS4_3ELNS0_20block_scan_algorithmE0ELj4294967295EEENS1_25partition_config_selectorILNS1_17partition_subalgoE3EjNS0_10empty_typeEbEEZZNS1_14partition_implILS8_3ELb0ES6_jNS0_17counting_iteratorIjlEEPS9_SE_NS0_5tupleIJPjSE_EEENSF_IJSE_SE_EEES9_SG_JZNS1_25segmented_radix_sort_implINS0_14default_configELb0EPKsPsPKlPlN2at6native12_GLOBAL__N_18offset_tEEE10hipError_tPvRmT1_PNSt15iterator_traitsISY_E10value_typeET2_T3_PNSZ_IS14_E10value_typeET4_jRbjT5_S1A_jjP12ihipStream_tbEUljE_EEESV_SW_SX_S14_S18_S1A_T6_T7_T9_mT8_S1C_bDpT10_ENKUlT_T0_E_clISt17integral_constantIbLb0EES1O_IbLb1EEEEDaS1K_S1L_EUlS1K_E_NS1_11comp_targetILNS1_3genE4ELNS1_11target_archE910ELNS1_3gpuE8ELNS1_3repE0EEENS1_30default_config_static_selectorELNS0_4arch9wavefront6targetE0EEEvSY_.uses_vcc, 0
	.set _ZN7rocprim17ROCPRIM_400000_NS6detail17trampoline_kernelINS0_13select_configILj256ELj13ELNS0_17block_load_methodE3ELS4_3ELS4_3ELNS0_20block_scan_algorithmE0ELj4294967295EEENS1_25partition_config_selectorILNS1_17partition_subalgoE3EjNS0_10empty_typeEbEEZZNS1_14partition_implILS8_3ELb0ES6_jNS0_17counting_iteratorIjlEEPS9_SE_NS0_5tupleIJPjSE_EEENSF_IJSE_SE_EEES9_SG_JZNS1_25segmented_radix_sort_implINS0_14default_configELb0EPKsPsPKlPlN2at6native12_GLOBAL__N_18offset_tEEE10hipError_tPvRmT1_PNSt15iterator_traitsISY_E10value_typeET2_T3_PNSZ_IS14_E10value_typeET4_jRbjT5_S1A_jjP12ihipStream_tbEUljE_EEESV_SW_SX_S14_S18_S1A_T6_T7_T9_mT8_S1C_bDpT10_ENKUlT_T0_E_clISt17integral_constantIbLb0EES1O_IbLb1EEEEDaS1K_S1L_EUlS1K_E_NS1_11comp_targetILNS1_3genE4ELNS1_11target_archE910ELNS1_3gpuE8ELNS1_3repE0EEENS1_30default_config_static_selectorELNS0_4arch9wavefront6targetE0EEEvSY_.uses_flat_scratch, 0
	.set _ZN7rocprim17ROCPRIM_400000_NS6detail17trampoline_kernelINS0_13select_configILj256ELj13ELNS0_17block_load_methodE3ELS4_3ELS4_3ELNS0_20block_scan_algorithmE0ELj4294967295EEENS1_25partition_config_selectorILNS1_17partition_subalgoE3EjNS0_10empty_typeEbEEZZNS1_14partition_implILS8_3ELb0ES6_jNS0_17counting_iteratorIjlEEPS9_SE_NS0_5tupleIJPjSE_EEENSF_IJSE_SE_EEES9_SG_JZNS1_25segmented_radix_sort_implINS0_14default_configELb0EPKsPsPKlPlN2at6native12_GLOBAL__N_18offset_tEEE10hipError_tPvRmT1_PNSt15iterator_traitsISY_E10value_typeET2_T3_PNSZ_IS14_E10value_typeET4_jRbjT5_S1A_jjP12ihipStream_tbEUljE_EEESV_SW_SX_S14_S18_S1A_T6_T7_T9_mT8_S1C_bDpT10_ENKUlT_T0_E_clISt17integral_constantIbLb0EES1O_IbLb1EEEEDaS1K_S1L_EUlS1K_E_NS1_11comp_targetILNS1_3genE4ELNS1_11target_archE910ELNS1_3gpuE8ELNS1_3repE0EEENS1_30default_config_static_selectorELNS0_4arch9wavefront6targetE0EEEvSY_.has_dyn_sized_stack, 0
	.set _ZN7rocprim17ROCPRIM_400000_NS6detail17trampoline_kernelINS0_13select_configILj256ELj13ELNS0_17block_load_methodE3ELS4_3ELS4_3ELNS0_20block_scan_algorithmE0ELj4294967295EEENS1_25partition_config_selectorILNS1_17partition_subalgoE3EjNS0_10empty_typeEbEEZZNS1_14partition_implILS8_3ELb0ES6_jNS0_17counting_iteratorIjlEEPS9_SE_NS0_5tupleIJPjSE_EEENSF_IJSE_SE_EEES9_SG_JZNS1_25segmented_radix_sort_implINS0_14default_configELb0EPKsPsPKlPlN2at6native12_GLOBAL__N_18offset_tEEE10hipError_tPvRmT1_PNSt15iterator_traitsISY_E10value_typeET2_T3_PNSZ_IS14_E10value_typeET4_jRbjT5_S1A_jjP12ihipStream_tbEUljE_EEESV_SW_SX_S14_S18_S1A_T6_T7_T9_mT8_S1C_bDpT10_ENKUlT_T0_E_clISt17integral_constantIbLb0EES1O_IbLb1EEEEDaS1K_S1L_EUlS1K_E_NS1_11comp_targetILNS1_3genE4ELNS1_11target_archE910ELNS1_3gpuE8ELNS1_3repE0EEENS1_30default_config_static_selectorELNS0_4arch9wavefront6targetE0EEEvSY_.has_recursion, 0
	.set _ZN7rocprim17ROCPRIM_400000_NS6detail17trampoline_kernelINS0_13select_configILj256ELj13ELNS0_17block_load_methodE3ELS4_3ELS4_3ELNS0_20block_scan_algorithmE0ELj4294967295EEENS1_25partition_config_selectorILNS1_17partition_subalgoE3EjNS0_10empty_typeEbEEZZNS1_14partition_implILS8_3ELb0ES6_jNS0_17counting_iteratorIjlEEPS9_SE_NS0_5tupleIJPjSE_EEENSF_IJSE_SE_EEES9_SG_JZNS1_25segmented_radix_sort_implINS0_14default_configELb0EPKsPsPKlPlN2at6native12_GLOBAL__N_18offset_tEEE10hipError_tPvRmT1_PNSt15iterator_traitsISY_E10value_typeET2_T3_PNSZ_IS14_E10value_typeET4_jRbjT5_S1A_jjP12ihipStream_tbEUljE_EEESV_SW_SX_S14_S18_S1A_T6_T7_T9_mT8_S1C_bDpT10_ENKUlT_T0_E_clISt17integral_constantIbLb0EES1O_IbLb1EEEEDaS1K_S1L_EUlS1K_E_NS1_11comp_targetILNS1_3genE4ELNS1_11target_archE910ELNS1_3gpuE8ELNS1_3repE0EEENS1_30default_config_static_selectorELNS0_4arch9wavefront6targetE0EEEvSY_.has_indirect_call, 0
	.section	.AMDGPU.csdata,"",@progbits
; Kernel info:
; codeLenInByte = 0
; TotalNumSgprs: 0
; NumVgprs: 0
; ScratchSize: 0
; MemoryBound: 0
; FloatMode: 240
; IeeeMode: 1
; LDSByteSize: 0 bytes/workgroup (compile time only)
; SGPRBlocks: 0
; VGPRBlocks: 0
; NumSGPRsForWavesPerEU: 1
; NumVGPRsForWavesPerEU: 1
; NamedBarCnt: 0
; Occupancy: 16
; WaveLimiterHint : 0
; COMPUTE_PGM_RSRC2:SCRATCH_EN: 0
; COMPUTE_PGM_RSRC2:USER_SGPR: 2
; COMPUTE_PGM_RSRC2:TRAP_HANDLER: 0
; COMPUTE_PGM_RSRC2:TGID_X_EN: 1
; COMPUTE_PGM_RSRC2:TGID_Y_EN: 0
; COMPUTE_PGM_RSRC2:TGID_Z_EN: 0
; COMPUTE_PGM_RSRC2:TIDIG_COMP_CNT: 0
	.section	.text._ZN7rocprim17ROCPRIM_400000_NS6detail17trampoline_kernelINS0_13select_configILj256ELj13ELNS0_17block_load_methodE3ELS4_3ELS4_3ELNS0_20block_scan_algorithmE0ELj4294967295EEENS1_25partition_config_selectorILNS1_17partition_subalgoE3EjNS0_10empty_typeEbEEZZNS1_14partition_implILS8_3ELb0ES6_jNS0_17counting_iteratorIjlEEPS9_SE_NS0_5tupleIJPjSE_EEENSF_IJSE_SE_EEES9_SG_JZNS1_25segmented_radix_sort_implINS0_14default_configELb0EPKsPsPKlPlN2at6native12_GLOBAL__N_18offset_tEEE10hipError_tPvRmT1_PNSt15iterator_traitsISY_E10value_typeET2_T3_PNSZ_IS14_E10value_typeET4_jRbjT5_S1A_jjP12ihipStream_tbEUljE_EEESV_SW_SX_S14_S18_S1A_T6_T7_T9_mT8_S1C_bDpT10_ENKUlT_T0_E_clISt17integral_constantIbLb0EES1O_IbLb1EEEEDaS1K_S1L_EUlS1K_E_NS1_11comp_targetILNS1_3genE3ELNS1_11target_archE908ELNS1_3gpuE7ELNS1_3repE0EEENS1_30default_config_static_selectorELNS0_4arch9wavefront6targetE0EEEvSY_,"axG",@progbits,_ZN7rocprim17ROCPRIM_400000_NS6detail17trampoline_kernelINS0_13select_configILj256ELj13ELNS0_17block_load_methodE3ELS4_3ELS4_3ELNS0_20block_scan_algorithmE0ELj4294967295EEENS1_25partition_config_selectorILNS1_17partition_subalgoE3EjNS0_10empty_typeEbEEZZNS1_14partition_implILS8_3ELb0ES6_jNS0_17counting_iteratorIjlEEPS9_SE_NS0_5tupleIJPjSE_EEENSF_IJSE_SE_EEES9_SG_JZNS1_25segmented_radix_sort_implINS0_14default_configELb0EPKsPsPKlPlN2at6native12_GLOBAL__N_18offset_tEEE10hipError_tPvRmT1_PNSt15iterator_traitsISY_E10value_typeET2_T3_PNSZ_IS14_E10value_typeET4_jRbjT5_S1A_jjP12ihipStream_tbEUljE_EEESV_SW_SX_S14_S18_S1A_T6_T7_T9_mT8_S1C_bDpT10_ENKUlT_T0_E_clISt17integral_constantIbLb0EES1O_IbLb1EEEEDaS1K_S1L_EUlS1K_E_NS1_11comp_targetILNS1_3genE3ELNS1_11target_archE908ELNS1_3gpuE7ELNS1_3repE0EEENS1_30default_config_static_selectorELNS0_4arch9wavefront6targetE0EEEvSY_,comdat
	.globl	_ZN7rocprim17ROCPRIM_400000_NS6detail17trampoline_kernelINS0_13select_configILj256ELj13ELNS0_17block_load_methodE3ELS4_3ELS4_3ELNS0_20block_scan_algorithmE0ELj4294967295EEENS1_25partition_config_selectorILNS1_17partition_subalgoE3EjNS0_10empty_typeEbEEZZNS1_14partition_implILS8_3ELb0ES6_jNS0_17counting_iteratorIjlEEPS9_SE_NS0_5tupleIJPjSE_EEENSF_IJSE_SE_EEES9_SG_JZNS1_25segmented_radix_sort_implINS0_14default_configELb0EPKsPsPKlPlN2at6native12_GLOBAL__N_18offset_tEEE10hipError_tPvRmT1_PNSt15iterator_traitsISY_E10value_typeET2_T3_PNSZ_IS14_E10value_typeET4_jRbjT5_S1A_jjP12ihipStream_tbEUljE_EEESV_SW_SX_S14_S18_S1A_T6_T7_T9_mT8_S1C_bDpT10_ENKUlT_T0_E_clISt17integral_constantIbLb0EES1O_IbLb1EEEEDaS1K_S1L_EUlS1K_E_NS1_11comp_targetILNS1_3genE3ELNS1_11target_archE908ELNS1_3gpuE7ELNS1_3repE0EEENS1_30default_config_static_selectorELNS0_4arch9wavefront6targetE0EEEvSY_ ; -- Begin function _ZN7rocprim17ROCPRIM_400000_NS6detail17trampoline_kernelINS0_13select_configILj256ELj13ELNS0_17block_load_methodE3ELS4_3ELS4_3ELNS0_20block_scan_algorithmE0ELj4294967295EEENS1_25partition_config_selectorILNS1_17partition_subalgoE3EjNS0_10empty_typeEbEEZZNS1_14partition_implILS8_3ELb0ES6_jNS0_17counting_iteratorIjlEEPS9_SE_NS0_5tupleIJPjSE_EEENSF_IJSE_SE_EEES9_SG_JZNS1_25segmented_radix_sort_implINS0_14default_configELb0EPKsPsPKlPlN2at6native12_GLOBAL__N_18offset_tEEE10hipError_tPvRmT1_PNSt15iterator_traitsISY_E10value_typeET2_T3_PNSZ_IS14_E10value_typeET4_jRbjT5_S1A_jjP12ihipStream_tbEUljE_EEESV_SW_SX_S14_S18_S1A_T6_T7_T9_mT8_S1C_bDpT10_ENKUlT_T0_E_clISt17integral_constantIbLb0EES1O_IbLb1EEEEDaS1K_S1L_EUlS1K_E_NS1_11comp_targetILNS1_3genE3ELNS1_11target_archE908ELNS1_3gpuE7ELNS1_3repE0EEENS1_30default_config_static_selectorELNS0_4arch9wavefront6targetE0EEEvSY_
	.p2align	8
	.type	_ZN7rocprim17ROCPRIM_400000_NS6detail17trampoline_kernelINS0_13select_configILj256ELj13ELNS0_17block_load_methodE3ELS4_3ELS4_3ELNS0_20block_scan_algorithmE0ELj4294967295EEENS1_25partition_config_selectorILNS1_17partition_subalgoE3EjNS0_10empty_typeEbEEZZNS1_14partition_implILS8_3ELb0ES6_jNS0_17counting_iteratorIjlEEPS9_SE_NS0_5tupleIJPjSE_EEENSF_IJSE_SE_EEES9_SG_JZNS1_25segmented_radix_sort_implINS0_14default_configELb0EPKsPsPKlPlN2at6native12_GLOBAL__N_18offset_tEEE10hipError_tPvRmT1_PNSt15iterator_traitsISY_E10value_typeET2_T3_PNSZ_IS14_E10value_typeET4_jRbjT5_S1A_jjP12ihipStream_tbEUljE_EEESV_SW_SX_S14_S18_S1A_T6_T7_T9_mT8_S1C_bDpT10_ENKUlT_T0_E_clISt17integral_constantIbLb0EES1O_IbLb1EEEEDaS1K_S1L_EUlS1K_E_NS1_11comp_targetILNS1_3genE3ELNS1_11target_archE908ELNS1_3gpuE7ELNS1_3repE0EEENS1_30default_config_static_selectorELNS0_4arch9wavefront6targetE0EEEvSY_,@function
_ZN7rocprim17ROCPRIM_400000_NS6detail17trampoline_kernelINS0_13select_configILj256ELj13ELNS0_17block_load_methodE3ELS4_3ELS4_3ELNS0_20block_scan_algorithmE0ELj4294967295EEENS1_25partition_config_selectorILNS1_17partition_subalgoE3EjNS0_10empty_typeEbEEZZNS1_14partition_implILS8_3ELb0ES6_jNS0_17counting_iteratorIjlEEPS9_SE_NS0_5tupleIJPjSE_EEENSF_IJSE_SE_EEES9_SG_JZNS1_25segmented_radix_sort_implINS0_14default_configELb0EPKsPsPKlPlN2at6native12_GLOBAL__N_18offset_tEEE10hipError_tPvRmT1_PNSt15iterator_traitsISY_E10value_typeET2_T3_PNSZ_IS14_E10value_typeET4_jRbjT5_S1A_jjP12ihipStream_tbEUljE_EEESV_SW_SX_S14_S18_S1A_T6_T7_T9_mT8_S1C_bDpT10_ENKUlT_T0_E_clISt17integral_constantIbLb0EES1O_IbLb1EEEEDaS1K_S1L_EUlS1K_E_NS1_11comp_targetILNS1_3genE3ELNS1_11target_archE908ELNS1_3gpuE7ELNS1_3repE0EEENS1_30default_config_static_selectorELNS0_4arch9wavefront6targetE0EEEvSY_: ; @_ZN7rocprim17ROCPRIM_400000_NS6detail17trampoline_kernelINS0_13select_configILj256ELj13ELNS0_17block_load_methodE3ELS4_3ELS4_3ELNS0_20block_scan_algorithmE0ELj4294967295EEENS1_25partition_config_selectorILNS1_17partition_subalgoE3EjNS0_10empty_typeEbEEZZNS1_14partition_implILS8_3ELb0ES6_jNS0_17counting_iteratorIjlEEPS9_SE_NS0_5tupleIJPjSE_EEENSF_IJSE_SE_EEES9_SG_JZNS1_25segmented_radix_sort_implINS0_14default_configELb0EPKsPsPKlPlN2at6native12_GLOBAL__N_18offset_tEEE10hipError_tPvRmT1_PNSt15iterator_traitsISY_E10value_typeET2_T3_PNSZ_IS14_E10value_typeET4_jRbjT5_S1A_jjP12ihipStream_tbEUljE_EEESV_SW_SX_S14_S18_S1A_T6_T7_T9_mT8_S1C_bDpT10_ENKUlT_T0_E_clISt17integral_constantIbLb0EES1O_IbLb1EEEEDaS1K_S1L_EUlS1K_E_NS1_11comp_targetILNS1_3genE3ELNS1_11target_archE908ELNS1_3gpuE7ELNS1_3repE0EEENS1_30default_config_static_selectorELNS0_4arch9wavefront6targetE0EEEvSY_
; %bb.0:
	.section	.rodata,"a",@progbits
	.p2align	6, 0x0
	.amdhsa_kernel _ZN7rocprim17ROCPRIM_400000_NS6detail17trampoline_kernelINS0_13select_configILj256ELj13ELNS0_17block_load_methodE3ELS4_3ELS4_3ELNS0_20block_scan_algorithmE0ELj4294967295EEENS1_25partition_config_selectorILNS1_17partition_subalgoE3EjNS0_10empty_typeEbEEZZNS1_14partition_implILS8_3ELb0ES6_jNS0_17counting_iteratorIjlEEPS9_SE_NS0_5tupleIJPjSE_EEENSF_IJSE_SE_EEES9_SG_JZNS1_25segmented_radix_sort_implINS0_14default_configELb0EPKsPsPKlPlN2at6native12_GLOBAL__N_18offset_tEEE10hipError_tPvRmT1_PNSt15iterator_traitsISY_E10value_typeET2_T3_PNSZ_IS14_E10value_typeET4_jRbjT5_S1A_jjP12ihipStream_tbEUljE_EEESV_SW_SX_S14_S18_S1A_T6_T7_T9_mT8_S1C_bDpT10_ENKUlT_T0_E_clISt17integral_constantIbLb0EES1O_IbLb1EEEEDaS1K_S1L_EUlS1K_E_NS1_11comp_targetILNS1_3genE3ELNS1_11target_archE908ELNS1_3gpuE7ELNS1_3repE0EEENS1_30default_config_static_selectorELNS0_4arch9wavefront6targetE0EEEvSY_
		.amdhsa_group_segment_fixed_size 0
		.amdhsa_private_segment_fixed_size 0
		.amdhsa_kernarg_size 152
		.amdhsa_user_sgpr_count 2
		.amdhsa_user_sgpr_dispatch_ptr 0
		.amdhsa_user_sgpr_queue_ptr 0
		.amdhsa_user_sgpr_kernarg_segment_ptr 1
		.amdhsa_user_sgpr_dispatch_id 0
		.amdhsa_user_sgpr_kernarg_preload_length 0
		.amdhsa_user_sgpr_kernarg_preload_offset 0
		.amdhsa_user_sgpr_private_segment_size 0
		.amdhsa_wavefront_size32 1
		.amdhsa_uses_dynamic_stack 0
		.amdhsa_enable_private_segment 0
		.amdhsa_system_sgpr_workgroup_id_x 1
		.amdhsa_system_sgpr_workgroup_id_y 0
		.amdhsa_system_sgpr_workgroup_id_z 0
		.amdhsa_system_sgpr_workgroup_info 0
		.amdhsa_system_vgpr_workitem_id 0
		.amdhsa_next_free_vgpr 1
		.amdhsa_next_free_sgpr 1
		.amdhsa_named_barrier_count 0
		.amdhsa_reserve_vcc 0
		.amdhsa_float_round_mode_32 0
		.amdhsa_float_round_mode_16_64 0
		.amdhsa_float_denorm_mode_32 3
		.amdhsa_float_denorm_mode_16_64 3
		.amdhsa_fp16_overflow 0
		.amdhsa_memory_ordered 1
		.amdhsa_forward_progress 1
		.amdhsa_inst_pref_size 0
		.amdhsa_round_robin_scheduling 0
		.amdhsa_exception_fp_ieee_invalid_op 0
		.amdhsa_exception_fp_denorm_src 0
		.amdhsa_exception_fp_ieee_div_zero 0
		.amdhsa_exception_fp_ieee_overflow 0
		.amdhsa_exception_fp_ieee_underflow 0
		.amdhsa_exception_fp_ieee_inexact 0
		.amdhsa_exception_int_div_zero 0
	.end_amdhsa_kernel
	.section	.text._ZN7rocprim17ROCPRIM_400000_NS6detail17trampoline_kernelINS0_13select_configILj256ELj13ELNS0_17block_load_methodE3ELS4_3ELS4_3ELNS0_20block_scan_algorithmE0ELj4294967295EEENS1_25partition_config_selectorILNS1_17partition_subalgoE3EjNS0_10empty_typeEbEEZZNS1_14partition_implILS8_3ELb0ES6_jNS0_17counting_iteratorIjlEEPS9_SE_NS0_5tupleIJPjSE_EEENSF_IJSE_SE_EEES9_SG_JZNS1_25segmented_radix_sort_implINS0_14default_configELb0EPKsPsPKlPlN2at6native12_GLOBAL__N_18offset_tEEE10hipError_tPvRmT1_PNSt15iterator_traitsISY_E10value_typeET2_T3_PNSZ_IS14_E10value_typeET4_jRbjT5_S1A_jjP12ihipStream_tbEUljE_EEESV_SW_SX_S14_S18_S1A_T6_T7_T9_mT8_S1C_bDpT10_ENKUlT_T0_E_clISt17integral_constantIbLb0EES1O_IbLb1EEEEDaS1K_S1L_EUlS1K_E_NS1_11comp_targetILNS1_3genE3ELNS1_11target_archE908ELNS1_3gpuE7ELNS1_3repE0EEENS1_30default_config_static_selectorELNS0_4arch9wavefront6targetE0EEEvSY_,"axG",@progbits,_ZN7rocprim17ROCPRIM_400000_NS6detail17trampoline_kernelINS0_13select_configILj256ELj13ELNS0_17block_load_methodE3ELS4_3ELS4_3ELNS0_20block_scan_algorithmE0ELj4294967295EEENS1_25partition_config_selectorILNS1_17partition_subalgoE3EjNS0_10empty_typeEbEEZZNS1_14partition_implILS8_3ELb0ES6_jNS0_17counting_iteratorIjlEEPS9_SE_NS0_5tupleIJPjSE_EEENSF_IJSE_SE_EEES9_SG_JZNS1_25segmented_radix_sort_implINS0_14default_configELb0EPKsPsPKlPlN2at6native12_GLOBAL__N_18offset_tEEE10hipError_tPvRmT1_PNSt15iterator_traitsISY_E10value_typeET2_T3_PNSZ_IS14_E10value_typeET4_jRbjT5_S1A_jjP12ihipStream_tbEUljE_EEESV_SW_SX_S14_S18_S1A_T6_T7_T9_mT8_S1C_bDpT10_ENKUlT_T0_E_clISt17integral_constantIbLb0EES1O_IbLb1EEEEDaS1K_S1L_EUlS1K_E_NS1_11comp_targetILNS1_3genE3ELNS1_11target_archE908ELNS1_3gpuE7ELNS1_3repE0EEENS1_30default_config_static_selectorELNS0_4arch9wavefront6targetE0EEEvSY_,comdat
.Lfunc_end1004:
	.size	_ZN7rocprim17ROCPRIM_400000_NS6detail17trampoline_kernelINS0_13select_configILj256ELj13ELNS0_17block_load_methodE3ELS4_3ELS4_3ELNS0_20block_scan_algorithmE0ELj4294967295EEENS1_25partition_config_selectorILNS1_17partition_subalgoE3EjNS0_10empty_typeEbEEZZNS1_14partition_implILS8_3ELb0ES6_jNS0_17counting_iteratorIjlEEPS9_SE_NS0_5tupleIJPjSE_EEENSF_IJSE_SE_EEES9_SG_JZNS1_25segmented_radix_sort_implINS0_14default_configELb0EPKsPsPKlPlN2at6native12_GLOBAL__N_18offset_tEEE10hipError_tPvRmT1_PNSt15iterator_traitsISY_E10value_typeET2_T3_PNSZ_IS14_E10value_typeET4_jRbjT5_S1A_jjP12ihipStream_tbEUljE_EEESV_SW_SX_S14_S18_S1A_T6_T7_T9_mT8_S1C_bDpT10_ENKUlT_T0_E_clISt17integral_constantIbLb0EES1O_IbLb1EEEEDaS1K_S1L_EUlS1K_E_NS1_11comp_targetILNS1_3genE3ELNS1_11target_archE908ELNS1_3gpuE7ELNS1_3repE0EEENS1_30default_config_static_selectorELNS0_4arch9wavefront6targetE0EEEvSY_, .Lfunc_end1004-_ZN7rocprim17ROCPRIM_400000_NS6detail17trampoline_kernelINS0_13select_configILj256ELj13ELNS0_17block_load_methodE3ELS4_3ELS4_3ELNS0_20block_scan_algorithmE0ELj4294967295EEENS1_25partition_config_selectorILNS1_17partition_subalgoE3EjNS0_10empty_typeEbEEZZNS1_14partition_implILS8_3ELb0ES6_jNS0_17counting_iteratorIjlEEPS9_SE_NS0_5tupleIJPjSE_EEENSF_IJSE_SE_EEES9_SG_JZNS1_25segmented_radix_sort_implINS0_14default_configELb0EPKsPsPKlPlN2at6native12_GLOBAL__N_18offset_tEEE10hipError_tPvRmT1_PNSt15iterator_traitsISY_E10value_typeET2_T3_PNSZ_IS14_E10value_typeET4_jRbjT5_S1A_jjP12ihipStream_tbEUljE_EEESV_SW_SX_S14_S18_S1A_T6_T7_T9_mT8_S1C_bDpT10_ENKUlT_T0_E_clISt17integral_constantIbLb0EES1O_IbLb1EEEEDaS1K_S1L_EUlS1K_E_NS1_11comp_targetILNS1_3genE3ELNS1_11target_archE908ELNS1_3gpuE7ELNS1_3repE0EEENS1_30default_config_static_selectorELNS0_4arch9wavefront6targetE0EEEvSY_
                                        ; -- End function
	.set _ZN7rocprim17ROCPRIM_400000_NS6detail17trampoline_kernelINS0_13select_configILj256ELj13ELNS0_17block_load_methodE3ELS4_3ELS4_3ELNS0_20block_scan_algorithmE0ELj4294967295EEENS1_25partition_config_selectorILNS1_17partition_subalgoE3EjNS0_10empty_typeEbEEZZNS1_14partition_implILS8_3ELb0ES6_jNS0_17counting_iteratorIjlEEPS9_SE_NS0_5tupleIJPjSE_EEENSF_IJSE_SE_EEES9_SG_JZNS1_25segmented_radix_sort_implINS0_14default_configELb0EPKsPsPKlPlN2at6native12_GLOBAL__N_18offset_tEEE10hipError_tPvRmT1_PNSt15iterator_traitsISY_E10value_typeET2_T3_PNSZ_IS14_E10value_typeET4_jRbjT5_S1A_jjP12ihipStream_tbEUljE_EEESV_SW_SX_S14_S18_S1A_T6_T7_T9_mT8_S1C_bDpT10_ENKUlT_T0_E_clISt17integral_constantIbLb0EES1O_IbLb1EEEEDaS1K_S1L_EUlS1K_E_NS1_11comp_targetILNS1_3genE3ELNS1_11target_archE908ELNS1_3gpuE7ELNS1_3repE0EEENS1_30default_config_static_selectorELNS0_4arch9wavefront6targetE0EEEvSY_.num_vgpr, 0
	.set _ZN7rocprim17ROCPRIM_400000_NS6detail17trampoline_kernelINS0_13select_configILj256ELj13ELNS0_17block_load_methodE3ELS4_3ELS4_3ELNS0_20block_scan_algorithmE0ELj4294967295EEENS1_25partition_config_selectorILNS1_17partition_subalgoE3EjNS0_10empty_typeEbEEZZNS1_14partition_implILS8_3ELb0ES6_jNS0_17counting_iteratorIjlEEPS9_SE_NS0_5tupleIJPjSE_EEENSF_IJSE_SE_EEES9_SG_JZNS1_25segmented_radix_sort_implINS0_14default_configELb0EPKsPsPKlPlN2at6native12_GLOBAL__N_18offset_tEEE10hipError_tPvRmT1_PNSt15iterator_traitsISY_E10value_typeET2_T3_PNSZ_IS14_E10value_typeET4_jRbjT5_S1A_jjP12ihipStream_tbEUljE_EEESV_SW_SX_S14_S18_S1A_T6_T7_T9_mT8_S1C_bDpT10_ENKUlT_T0_E_clISt17integral_constantIbLb0EES1O_IbLb1EEEEDaS1K_S1L_EUlS1K_E_NS1_11comp_targetILNS1_3genE3ELNS1_11target_archE908ELNS1_3gpuE7ELNS1_3repE0EEENS1_30default_config_static_selectorELNS0_4arch9wavefront6targetE0EEEvSY_.num_agpr, 0
	.set _ZN7rocprim17ROCPRIM_400000_NS6detail17trampoline_kernelINS0_13select_configILj256ELj13ELNS0_17block_load_methodE3ELS4_3ELS4_3ELNS0_20block_scan_algorithmE0ELj4294967295EEENS1_25partition_config_selectorILNS1_17partition_subalgoE3EjNS0_10empty_typeEbEEZZNS1_14partition_implILS8_3ELb0ES6_jNS0_17counting_iteratorIjlEEPS9_SE_NS0_5tupleIJPjSE_EEENSF_IJSE_SE_EEES9_SG_JZNS1_25segmented_radix_sort_implINS0_14default_configELb0EPKsPsPKlPlN2at6native12_GLOBAL__N_18offset_tEEE10hipError_tPvRmT1_PNSt15iterator_traitsISY_E10value_typeET2_T3_PNSZ_IS14_E10value_typeET4_jRbjT5_S1A_jjP12ihipStream_tbEUljE_EEESV_SW_SX_S14_S18_S1A_T6_T7_T9_mT8_S1C_bDpT10_ENKUlT_T0_E_clISt17integral_constantIbLb0EES1O_IbLb1EEEEDaS1K_S1L_EUlS1K_E_NS1_11comp_targetILNS1_3genE3ELNS1_11target_archE908ELNS1_3gpuE7ELNS1_3repE0EEENS1_30default_config_static_selectorELNS0_4arch9wavefront6targetE0EEEvSY_.numbered_sgpr, 0
	.set _ZN7rocprim17ROCPRIM_400000_NS6detail17trampoline_kernelINS0_13select_configILj256ELj13ELNS0_17block_load_methodE3ELS4_3ELS4_3ELNS0_20block_scan_algorithmE0ELj4294967295EEENS1_25partition_config_selectorILNS1_17partition_subalgoE3EjNS0_10empty_typeEbEEZZNS1_14partition_implILS8_3ELb0ES6_jNS0_17counting_iteratorIjlEEPS9_SE_NS0_5tupleIJPjSE_EEENSF_IJSE_SE_EEES9_SG_JZNS1_25segmented_radix_sort_implINS0_14default_configELb0EPKsPsPKlPlN2at6native12_GLOBAL__N_18offset_tEEE10hipError_tPvRmT1_PNSt15iterator_traitsISY_E10value_typeET2_T3_PNSZ_IS14_E10value_typeET4_jRbjT5_S1A_jjP12ihipStream_tbEUljE_EEESV_SW_SX_S14_S18_S1A_T6_T7_T9_mT8_S1C_bDpT10_ENKUlT_T0_E_clISt17integral_constantIbLb0EES1O_IbLb1EEEEDaS1K_S1L_EUlS1K_E_NS1_11comp_targetILNS1_3genE3ELNS1_11target_archE908ELNS1_3gpuE7ELNS1_3repE0EEENS1_30default_config_static_selectorELNS0_4arch9wavefront6targetE0EEEvSY_.num_named_barrier, 0
	.set _ZN7rocprim17ROCPRIM_400000_NS6detail17trampoline_kernelINS0_13select_configILj256ELj13ELNS0_17block_load_methodE3ELS4_3ELS4_3ELNS0_20block_scan_algorithmE0ELj4294967295EEENS1_25partition_config_selectorILNS1_17partition_subalgoE3EjNS0_10empty_typeEbEEZZNS1_14partition_implILS8_3ELb0ES6_jNS0_17counting_iteratorIjlEEPS9_SE_NS0_5tupleIJPjSE_EEENSF_IJSE_SE_EEES9_SG_JZNS1_25segmented_radix_sort_implINS0_14default_configELb0EPKsPsPKlPlN2at6native12_GLOBAL__N_18offset_tEEE10hipError_tPvRmT1_PNSt15iterator_traitsISY_E10value_typeET2_T3_PNSZ_IS14_E10value_typeET4_jRbjT5_S1A_jjP12ihipStream_tbEUljE_EEESV_SW_SX_S14_S18_S1A_T6_T7_T9_mT8_S1C_bDpT10_ENKUlT_T0_E_clISt17integral_constantIbLb0EES1O_IbLb1EEEEDaS1K_S1L_EUlS1K_E_NS1_11comp_targetILNS1_3genE3ELNS1_11target_archE908ELNS1_3gpuE7ELNS1_3repE0EEENS1_30default_config_static_selectorELNS0_4arch9wavefront6targetE0EEEvSY_.private_seg_size, 0
	.set _ZN7rocprim17ROCPRIM_400000_NS6detail17trampoline_kernelINS0_13select_configILj256ELj13ELNS0_17block_load_methodE3ELS4_3ELS4_3ELNS0_20block_scan_algorithmE0ELj4294967295EEENS1_25partition_config_selectorILNS1_17partition_subalgoE3EjNS0_10empty_typeEbEEZZNS1_14partition_implILS8_3ELb0ES6_jNS0_17counting_iteratorIjlEEPS9_SE_NS0_5tupleIJPjSE_EEENSF_IJSE_SE_EEES9_SG_JZNS1_25segmented_radix_sort_implINS0_14default_configELb0EPKsPsPKlPlN2at6native12_GLOBAL__N_18offset_tEEE10hipError_tPvRmT1_PNSt15iterator_traitsISY_E10value_typeET2_T3_PNSZ_IS14_E10value_typeET4_jRbjT5_S1A_jjP12ihipStream_tbEUljE_EEESV_SW_SX_S14_S18_S1A_T6_T7_T9_mT8_S1C_bDpT10_ENKUlT_T0_E_clISt17integral_constantIbLb0EES1O_IbLb1EEEEDaS1K_S1L_EUlS1K_E_NS1_11comp_targetILNS1_3genE3ELNS1_11target_archE908ELNS1_3gpuE7ELNS1_3repE0EEENS1_30default_config_static_selectorELNS0_4arch9wavefront6targetE0EEEvSY_.uses_vcc, 0
	.set _ZN7rocprim17ROCPRIM_400000_NS6detail17trampoline_kernelINS0_13select_configILj256ELj13ELNS0_17block_load_methodE3ELS4_3ELS4_3ELNS0_20block_scan_algorithmE0ELj4294967295EEENS1_25partition_config_selectorILNS1_17partition_subalgoE3EjNS0_10empty_typeEbEEZZNS1_14partition_implILS8_3ELb0ES6_jNS0_17counting_iteratorIjlEEPS9_SE_NS0_5tupleIJPjSE_EEENSF_IJSE_SE_EEES9_SG_JZNS1_25segmented_radix_sort_implINS0_14default_configELb0EPKsPsPKlPlN2at6native12_GLOBAL__N_18offset_tEEE10hipError_tPvRmT1_PNSt15iterator_traitsISY_E10value_typeET2_T3_PNSZ_IS14_E10value_typeET4_jRbjT5_S1A_jjP12ihipStream_tbEUljE_EEESV_SW_SX_S14_S18_S1A_T6_T7_T9_mT8_S1C_bDpT10_ENKUlT_T0_E_clISt17integral_constantIbLb0EES1O_IbLb1EEEEDaS1K_S1L_EUlS1K_E_NS1_11comp_targetILNS1_3genE3ELNS1_11target_archE908ELNS1_3gpuE7ELNS1_3repE0EEENS1_30default_config_static_selectorELNS0_4arch9wavefront6targetE0EEEvSY_.uses_flat_scratch, 0
	.set _ZN7rocprim17ROCPRIM_400000_NS6detail17trampoline_kernelINS0_13select_configILj256ELj13ELNS0_17block_load_methodE3ELS4_3ELS4_3ELNS0_20block_scan_algorithmE0ELj4294967295EEENS1_25partition_config_selectorILNS1_17partition_subalgoE3EjNS0_10empty_typeEbEEZZNS1_14partition_implILS8_3ELb0ES6_jNS0_17counting_iteratorIjlEEPS9_SE_NS0_5tupleIJPjSE_EEENSF_IJSE_SE_EEES9_SG_JZNS1_25segmented_radix_sort_implINS0_14default_configELb0EPKsPsPKlPlN2at6native12_GLOBAL__N_18offset_tEEE10hipError_tPvRmT1_PNSt15iterator_traitsISY_E10value_typeET2_T3_PNSZ_IS14_E10value_typeET4_jRbjT5_S1A_jjP12ihipStream_tbEUljE_EEESV_SW_SX_S14_S18_S1A_T6_T7_T9_mT8_S1C_bDpT10_ENKUlT_T0_E_clISt17integral_constantIbLb0EES1O_IbLb1EEEEDaS1K_S1L_EUlS1K_E_NS1_11comp_targetILNS1_3genE3ELNS1_11target_archE908ELNS1_3gpuE7ELNS1_3repE0EEENS1_30default_config_static_selectorELNS0_4arch9wavefront6targetE0EEEvSY_.has_dyn_sized_stack, 0
	.set _ZN7rocprim17ROCPRIM_400000_NS6detail17trampoline_kernelINS0_13select_configILj256ELj13ELNS0_17block_load_methodE3ELS4_3ELS4_3ELNS0_20block_scan_algorithmE0ELj4294967295EEENS1_25partition_config_selectorILNS1_17partition_subalgoE3EjNS0_10empty_typeEbEEZZNS1_14partition_implILS8_3ELb0ES6_jNS0_17counting_iteratorIjlEEPS9_SE_NS0_5tupleIJPjSE_EEENSF_IJSE_SE_EEES9_SG_JZNS1_25segmented_radix_sort_implINS0_14default_configELb0EPKsPsPKlPlN2at6native12_GLOBAL__N_18offset_tEEE10hipError_tPvRmT1_PNSt15iterator_traitsISY_E10value_typeET2_T3_PNSZ_IS14_E10value_typeET4_jRbjT5_S1A_jjP12ihipStream_tbEUljE_EEESV_SW_SX_S14_S18_S1A_T6_T7_T9_mT8_S1C_bDpT10_ENKUlT_T0_E_clISt17integral_constantIbLb0EES1O_IbLb1EEEEDaS1K_S1L_EUlS1K_E_NS1_11comp_targetILNS1_3genE3ELNS1_11target_archE908ELNS1_3gpuE7ELNS1_3repE0EEENS1_30default_config_static_selectorELNS0_4arch9wavefront6targetE0EEEvSY_.has_recursion, 0
	.set _ZN7rocprim17ROCPRIM_400000_NS6detail17trampoline_kernelINS0_13select_configILj256ELj13ELNS0_17block_load_methodE3ELS4_3ELS4_3ELNS0_20block_scan_algorithmE0ELj4294967295EEENS1_25partition_config_selectorILNS1_17partition_subalgoE3EjNS0_10empty_typeEbEEZZNS1_14partition_implILS8_3ELb0ES6_jNS0_17counting_iteratorIjlEEPS9_SE_NS0_5tupleIJPjSE_EEENSF_IJSE_SE_EEES9_SG_JZNS1_25segmented_radix_sort_implINS0_14default_configELb0EPKsPsPKlPlN2at6native12_GLOBAL__N_18offset_tEEE10hipError_tPvRmT1_PNSt15iterator_traitsISY_E10value_typeET2_T3_PNSZ_IS14_E10value_typeET4_jRbjT5_S1A_jjP12ihipStream_tbEUljE_EEESV_SW_SX_S14_S18_S1A_T6_T7_T9_mT8_S1C_bDpT10_ENKUlT_T0_E_clISt17integral_constantIbLb0EES1O_IbLb1EEEEDaS1K_S1L_EUlS1K_E_NS1_11comp_targetILNS1_3genE3ELNS1_11target_archE908ELNS1_3gpuE7ELNS1_3repE0EEENS1_30default_config_static_selectorELNS0_4arch9wavefront6targetE0EEEvSY_.has_indirect_call, 0
	.section	.AMDGPU.csdata,"",@progbits
; Kernel info:
; codeLenInByte = 0
; TotalNumSgprs: 0
; NumVgprs: 0
; ScratchSize: 0
; MemoryBound: 0
; FloatMode: 240
; IeeeMode: 1
; LDSByteSize: 0 bytes/workgroup (compile time only)
; SGPRBlocks: 0
; VGPRBlocks: 0
; NumSGPRsForWavesPerEU: 1
; NumVGPRsForWavesPerEU: 1
; NamedBarCnt: 0
; Occupancy: 16
; WaveLimiterHint : 0
; COMPUTE_PGM_RSRC2:SCRATCH_EN: 0
; COMPUTE_PGM_RSRC2:USER_SGPR: 2
; COMPUTE_PGM_RSRC2:TRAP_HANDLER: 0
; COMPUTE_PGM_RSRC2:TGID_X_EN: 1
; COMPUTE_PGM_RSRC2:TGID_Y_EN: 0
; COMPUTE_PGM_RSRC2:TGID_Z_EN: 0
; COMPUTE_PGM_RSRC2:TIDIG_COMP_CNT: 0
	.section	.text._ZN7rocprim17ROCPRIM_400000_NS6detail17trampoline_kernelINS0_13select_configILj256ELj13ELNS0_17block_load_methodE3ELS4_3ELS4_3ELNS0_20block_scan_algorithmE0ELj4294967295EEENS1_25partition_config_selectorILNS1_17partition_subalgoE3EjNS0_10empty_typeEbEEZZNS1_14partition_implILS8_3ELb0ES6_jNS0_17counting_iteratorIjlEEPS9_SE_NS0_5tupleIJPjSE_EEENSF_IJSE_SE_EEES9_SG_JZNS1_25segmented_radix_sort_implINS0_14default_configELb0EPKsPsPKlPlN2at6native12_GLOBAL__N_18offset_tEEE10hipError_tPvRmT1_PNSt15iterator_traitsISY_E10value_typeET2_T3_PNSZ_IS14_E10value_typeET4_jRbjT5_S1A_jjP12ihipStream_tbEUljE_EEESV_SW_SX_S14_S18_S1A_T6_T7_T9_mT8_S1C_bDpT10_ENKUlT_T0_E_clISt17integral_constantIbLb0EES1O_IbLb1EEEEDaS1K_S1L_EUlS1K_E_NS1_11comp_targetILNS1_3genE2ELNS1_11target_archE906ELNS1_3gpuE6ELNS1_3repE0EEENS1_30default_config_static_selectorELNS0_4arch9wavefront6targetE0EEEvSY_,"axG",@progbits,_ZN7rocprim17ROCPRIM_400000_NS6detail17trampoline_kernelINS0_13select_configILj256ELj13ELNS0_17block_load_methodE3ELS4_3ELS4_3ELNS0_20block_scan_algorithmE0ELj4294967295EEENS1_25partition_config_selectorILNS1_17partition_subalgoE3EjNS0_10empty_typeEbEEZZNS1_14partition_implILS8_3ELb0ES6_jNS0_17counting_iteratorIjlEEPS9_SE_NS0_5tupleIJPjSE_EEENSF_IJSE_SE_EEES9_SG_JZNS1_25segmented_radix_sort_implINS0_14default_configELb0EPKsPsPKlPlN2at6native12_GLOBAL__N_18offset_tEEE10hipError_tPvRmT1_PNSt15iterator_traitsISY_E10value_typeET2_T3_PNSZ_IS14_E10value_typeET4_jRbjT5_S1A_jjP12ihipStream_tbEUljE_EEESV_SW_SX_S14_S18_S1A_T6_T7_T9_mT8_S1C_bDpT10_ENKUlT_T0_E_clISt17integral_constantIbLb0EES1O_IbLb1EEEEDaS1K_S1L_EUlS1K_E_NS1_11comp_targetILNS1_3genE2ELNS1_11target_archE906ELNS1_3gpuE6ELNS1_3repE0EEENS1_30default_config_static_selectorELNS0_4arch9wavefront6targetE0EEEvSY_,comdat
	.globl	_ZN7rocprim17ROCPRIM_400000_NS6detail17trampoline_kernelINS0_13select_configILj256ELj13ELNS0_17block_load_methodE3ELS4_3ELS4_3ELNS0_20block_scan_algorithmE0ELj4294967295EEENS1_25partition_config_selectorILNS1_17partition_subalgoE3EjNS0_10empty_typeEbEEZZNS1_14partition_implILS8_3ELb0ES6_jNS0_17counting_iteratorIjlEEPS9_SE_NS0_5tupleIJPjSE_EEENSF_IJSE_SE_EEES9_SG_JZNS1_25segmented_radix_sort_implINS0_14default_configELb0EPKsPsPKlPlN2at6native12_GLOBAL__N_18offset_tEEE10hipError_tPvRmT1_PNSt15iterator_traitsISY_E10value_typeET2_T3_PNSZ_IS14_E10value_typeET4_jRbjT5_S1A_jjP12ihipStream_tbEUljE_EEESV_SW_SX_S14_S18_S1A_T6_T7_T9_mT8_S1C_bDpT10_ENKUlT_T0_E_clISt17integral_constantIbLb0EES1O_IbLb1EEEEDaS1K_S1L_EUlS1K_E_NS1_11comp_targetILNS1_3genE2ELNS1_11target_archE906ELNS1_3gpuE6ELNS1_3repE0EEENS1_30default_config_static_selectorELNS0_4arch9wavefront6targetE0EEEvSY_ ; -- Begin function _ZN7rocprim17ROCPRIM_400000_NS6detail17trampoline_kernelINS0_13select_configILj256ELj13ELNS0_17block_load_methodE3ELS4_3ELS4_3ELNS0_20block_scan_algorithmE0ELj4294967295EEENS1_25partition_config_selectorILNS1_17partition_subalgoE3EjNS0_10empty_typeEbEEZZNS1_14partition_implILS8_3ELb0ES6_jNS0_17counting_iteratorIjlEEPS9_SE_NS0_5tupleIJPjSE_EEENSF_IJSE_SE_EEES9_SG_JZNS1_25segmented_radix_sort_implINS0_14default_configELb0EPKsPsPKlPlN2at6native12_GLOBAL__N_18offset_tEEE10hipError_tPvRmT1_PNSt15iterator_traitsISY_E10value_typeET2_T3_PNSZ_IS14_E10value_typeET4_jRbjT5_S1A_jjP12ihipStream_tbEUljE_EEESV_SW_SX_S14_S18_S1A_T6_T7_T9_mT8_S1C_bDpT10_ENKUlT_T0_E_clISt17integral_constantIbLb0EES1O_IbLb1EEEEDaS1K_S1L_EUlS1K_E_NS1_11comp_targetILNS1_3genE2ELNS1_11target_archE906ELNS1_3gpuE6ELNS1_3repE0EEENS1_30default_config_static_selectorELNS0_4arch9wavefront6targetE0EEEvSY_
	.p2align	8
	.type	_ZN7rocprim17ROCPRIM_400000_NS6detail17trampoline_kernelINS0_13select_configILj256ELj13ELNS0_17block_load_methodE3ELS4_3ELS4_3ELNS0_20block_scan_algorithmE0ELj4294967295EEENS1_25partition_config_selectorILNS1_17partition_subalgoE3EjNS0_10empty_typeEbEEZZNS1_14partition_implILS8_3ELb0ES6_jNS0_17counting_iteratorIjlEEPS9_SE_NS0_5tupleIJPjSE_EEENSF_IJSE_SE_EEES9_SG_JZNS1_25segmented_radix_sort_implINS0_14default_configELb0EPKsPsPKlPlN2at6native12_GLOBAL__N_18offset_tEEE10hipError_tPvRmT1_PNSt15iterator_traitsISY_E10value_typeET2_T3_PNSZ_IS14_E10value_typeET4_jRbjT5_S1A_jjP12ihipStream_tbEUljE_EEESV_SW_SX_S14_S18_S1A_T6_T7_T9_mT8_S1C_bDpT10_ENKUlT_T0_E_clISt17integral_constantIbLb0EES1O_IbLb1EEEEDaS1K_S1L_EUlS1K_E_NS1_11comp_targetILNS1_3genE2ELNS1_11target_archE906ELNS1_3gpuE6ELNS1_3repE0EEENS1_30default_config_static_selectorELNS0_4arch9wavefront6targetE0EEEvSY_,@function
_ZN7rocprim17ROCPRIM_400000_NS6detail17trampoline_kernelINS0_13select_configILj256ELj13ELNS0_17block_load_methodE3ELS4_3ELS4_3ELNS0_20block_scan_algorithmE0ELj4294967295EEENS1_25partition_config_selectorILNS1_17partition_subalgoE3EjNS0_10empty_typeEbEEZZNS1_14partition_implILS8_3ELb0ES6_jNS0_17counting_iteratorIjlEEPS9_SE_NS0_5tupleIJPjSE_EEENSF_IJSE_SE_EEES9_SG_JZNS1_25segmented_radix_sort_implINS0_14default_configELb0EPKsPsPKlPlN2at6native12_GLOBAL__N_18offset_tEEE10hipError_tPvRmT1_PNSt15iterator_traitsISY_E10value_typeET2_T3_PNSZ_IS14_E10value_typeET4_jRbjT5_S1A_jjP12ihipStream_tbEUljE_EEESV_SW_SX_S14_S18_S1A_T6_T7_T9_mT8_S1C_bDpT10_ENKUlT_T0_E_clISt17integral_constantIbLb0EES1O_IbLb1EEEEDaS1K_S1L_EUlS1K_E_NS1_11comp_targetILNS1_3genE2ELNS1_11target_archE906ELNS1_3gpuE6ELNS1_3repE0EEENS1_30default_config_static_selectorELNS0_4arch9wavefront6targetE0EEEvSY_: ; @_ZN7rocprim17ROCPRIM_400000_NS6detail17trampoline_kernelINS0_13select_configILj256ELj13ELNS0_17block_load_methodE3ELS4_3ELS4_3ELNS0_20block_scan_algorithmE0ELj4294967295EEENS1_25partition_config_selectorILNS1_17partition_subalgoE3EjNS0_10empty_typeEbEEZZNS1_14partition_implILS8_3ELb0ES6_jNS0_17counting_iteratorIjlEEPS9_SE_NS0_5tupleIJPjSE_EEENSF_IJSE_SE_EEES9_SG_JZNS1_25segmented_radix_sort_implINS0_14default_configELb0EPKsPsPKlPlN2at6native12_GLOBAL__N_18offset_tEEE10hipError_tPvRmT1_PNSt15iterator_traitsISY_E10value_typeET2_T3_PNSZ_IS14_E10value_typeET4_jRbjT5_S1A_jjP12ihipStream_tbEUljE_EEESV_SW_SX_S14_S18_S1A_T6_T7_T9_mT8_S1C_bDpT10_ENKUlT_T0_E_clISt17integral_constantIbLb0EES1O_IbLb1EEEEDaS1K_S1L_EUlS1K_E_NS1_11comp_targetILNS1_3genE2ELNS1_11target_archE906ELNS1_3gpuE6ELNS1_3repE0EEENS1_30default_config_static_selectorELNS0_4arch9wavefront6targetE0EEEvSY_
; %bb.0:
	.section	.rodata,"a",@progbits
	.p2align	6, 0x0
	.amdhsa_kernel _ZN7rocprim17ROCPRIM_400000_NS6detail17trampoline_kernelINS0_13select_configILj256ELj13ELNS0_17block_load_methodE3ELS4_3ELS4_3ELNS0_20block_scan_algorithmE0ELj4294967295EEENS1_25partition_config_selectorILNS1_17partition_subalgoE3EjNS0_10empty_typeEbEEZZNS1_14partition_implILS8_3ELb0ES6_jNS0_17counting_iteratorIjlEEPS9_SE_NS0_5tupleIJPjSE_EEENSF_IJSE_SE_EEES9_SG_JZNS1_25segmented_radix_sort_implINS0_14default_configELb0EPKsPsPKlPlN2at6native12_GLOBAL__N_18offset_tEEE10hipError_tPvRmT1_PNSt15iterator_traitsISY_E10value_typeET2_T3_PNSZ_IS14_E10value_typeET4_jRbjT5_S1A_jjP12ihipStream_tbEUljE_EEESV_SW_SX_S14_S18_S1A_T6_T7_T9_mT8_S1C_bDpT10_ENKUlT_T0_E_clISt17integral_constantIbLb0EES1O_IbLb1EEEEDaS1K_S1L_EUlS1K_E_NS1_11comp_targetILNS1_3genE2ELNS1_11target_archE906ELNS1_3gpuE6ELNS1_3repE0EEENS1_30default_config_static_selectorELNS0_4arch9wavefront6targetE0EEEvSY_
		.amdhsa_group_segment_fixed_size 0
		.amdhsa_private_segment_fixed_size 0
		.amdhsa_kernarg_size 152
		.amdhsa_user_sgpr_count 2
		.amdhsa_user_sgpr_dispatch_ptr 0
		.amdhsa_user_sgpr_queue_ptr 0
		.amdhsa_user_sgpr_kernarg_segment_ptr 1
		.amdhsa_user_sgpr_dispatch_id 0
		.amdhsa_user_sgpr_kernarg_preload_length 0
		.amdhsa_user_sgpr_kernarg_preload_offset 0
		.amdhsa_user_sgpr_private_segment_size 0
		.amdhsa_wavefront_size32 1
		.amdhsa_uses_dynamic_stack 0
		.amdhsa_enable_private_segment 0
		.amdhsa_system_sgpr_workgroup_id_x 1
		.amdhsa_system_sgpr_workgroup_id_y 0
		.amdhsa_system_sgpr_workgroup_id_z 0
		.amdhsa_system_sgpr_workgroup_info 0
		.amdhsa_system_vgpr_workitem_id 0
		.amdhsa_next_free_vgpr 1
		.amdhsa_next_free_sgpr 1
		.amdhsa_named_barrier_count 0
		.amdhsa_reserve_vcc 0
		.amdhsa_float_round_mode_32 0
		.amdhsa_float_round_mode_16_64 0
		.amdhsa_float_denorm_mode_32 3
		.amdhsa_float_denorm_mode_16_64 3
		.amdhsa_fp16_overflow 0
		.amdhsa_memory_ordered 1
		.amdhsa_forward_progress 1
		.amdhsa_inst_pref_size 0
		.amdhsa_round_robin_scheduling 0
		.amdhsa_exception_fp_ieee_invalid_op 0
		.amdhsa_exception_fp_denorm_src 0
		.amdhsa_exception_fp_ieee_div_zero 0
		.amdhsa_exception_fp_ieee_overflow 0
		.amdhsa_exception_fp_ieee_underflow 0
		.amdhsa_exception_fp_ieee_inexact 0
		.amdhsa_exception_int_div_zero 0
	.end_amdhsa_kernel
	.section	.text._ZN7rocprim17ROCPRIM_400000_NS6detail17trampoline_kernelINS0_13select_configILj256ELj13ELNS0_17block_load_methodE3ELS4_3ELS4_3ELNS0_20block_scan_algorithmE0ELj4294967295EEENS1_25partition_config_selectorILNS1_17partition_subalgoE3EjNS0_10empty_typeEbEEZZNS1_14partition_implILS8_3ELb0ES6_jNS0_17counting_iteratorIjlEEPS9_SE_NS0_5tupleIJPjSE_EEENSF_IJSE_SE_EEES9_SG_JZNS1_25segmented_radix_sort_implINS0_14default_configELb0EPKsPsPKlPlN2at6native12_GLOBAL__N_18offset_tEEE10hipError_tPvRmT1_PNSt15iterator_traitsISY_E10value_typeET2_T3_PNSZ_IS14_E10value_typeET4_jRbjT5_S1A_jjP12ihipStream_tbEUljE_EEESV_SW_SX_S14_S18_S1A_T6_T7_T9_mT8_S1C_bDpT10_ENKUlT_T0_E_clISt17integral_constantIbLb0EES1O_IbLb1EEEEDaS1K_S1L_EUlS1K_E_NS1_11comp_targetILNS1_3genE2ELNS1_11target_archE906ELNS1_3gpuE6ELNS1_3repE0EEENS1_30default_config_static_selectorELNS0_4arch9wavefront6targetE0EEEvSY_,"axG",@progbits,_ZN7rocprim17ROCPRIM_400000_NS6detail17trampoline_kernelINS0_13select_configILj256ELj13ELNS0_17block_load_methodE3ELS4_3ELS4_3ELNS0_20block_scan_algorithmE0ELj4294967295EEENS1_25partition_config_selectorILNS1_17partition_subalgoE3EjNS0_10empty_typeEbEEZZNS1_14partition_implILS8_3ELb0ES6_jNS0_17counting_iteratorIjlEEPS9_SE_NS0_5tupleIJPjSE_EEENSF_IJSE_SE_EEES9_SG_JZNS1_25segmented_radix_sort_implINS0_14default_configELb0EPKsPsPKlPlN2at6native12_GLOBAL__N_18offset_tEEE10hipError_tPvRmT1_PNSt15iterator_traitsISY_E10value_typeET2_T3_PNSZ_IS14_E10value_typeET4_jRbjT5_S1A_jjP12ihipStream_tbEUljE_EEESV_SW_SX_S14_S18_S1A_T6_T7_T9_mT8_S1C_bDpT10_ENKUlT_T0_E_clISt17integral_constantIbLb0EES1O_IbLb1EEEEDaS1K_S1L_EUlS1K_E_NS1_11comp_targetILNS1_3genE2ELNS1_11target_archE906ELNS1_3gpuE6ELNS1_3repE0EEENS1_30default_config_static_selectorELNS0_4arch9wavefront6targetE0EEEvSY_,comdat
.Lfunc_end1005:
	.size	_ZN7rocprim17ROCPRIM_400000_NS6detail17trampoline_kernelINS0_13select_configILj256ELj13ELNS0_17block_load_methodE3ELS4_3ELS4_3ELNS0_20block_scan_algorithmE0ELj4294967295EEENS1_25partition_config_selectorILNS1_17partition_subalgoE3EjNS0_10empty_typeEbEEZZNS1_14partition_implILS8_3ELb0ES6_jNS0_17counting_iteratorIjlEEPS9_SE_NS0_5tupleIJPjSE_EEENSF_IJSE_SE_EEES9_SG_JZNS1_25segmented_radix_sort_implINS0_14default_configELb0EPKsPsPKlPlN2at6native12_GLOBAL__N_18offset_tEEE10hipError_tPvRmT1_PNSt15iterator_traitsISY_E10value_typeET2_T3_PNSZ_IS14_E10value_typeET4_jRbjT5_S1A_jjP12ihipStream_tbEUljE_EEESV_SW_SX_S14_S18_S1A_T6_T7_T9_mT8_S1C_bDpT10_ENKUlT_T0_E_clISt17integral_constantIbLb0EES1O_IbLb1EEEEDaS1K_S1L_EUlS1K_E_NS1_11comp_targetILNS1_3genE2ELNS1_11target_archE906ELNS1_3gpuE6ELNS1_3repE0EEENS1_30default_config_static_selectorELNS0_4arch9wavefront6targetE0EEEvSY_, .Lfunc_end1005-_ZN7rocprim17ROCPRIM_400000_NS6detail17trampoline_kernelINS0_13select_configILj256ELj13ELNS0_17block_load_methodE3ELS4_3ELS4_3ELNS0_20block_scan_algorithmE0ELj4294967295EEENS1_25partition_config_selectorILNS1_17partition_subalgoE3EjNS0_10empty_typeEbEEZZNS1_14partition_implILS8_3ELb0ES6_jNS0_17counting_iteratorIjlEEPS9_SE_NS0_5tupleIJPjSE_EEENSF_IJSE_SE_EEES9_SG_JZNS1_25segmented_radix_sort_implINS0_14default_configELb0EPKsPsPKlPlN2at6native12_GLOBAL__N_18offset_tEEE10hipError_tPvRmT1_PNSt15iterator_traitsISY_E10value_typeET2_T3_PNSZ_IS14_E10value_typeET4_jRbjT5_S1A_jjP12ihipStream_tbEUljE_EEESV_SW_SX_S14_S18_S1A_T6_T7_T9_mT8_S1C_bDpT10_ENKUlT_T0_E_clISt17integral_constantIbLb0EES1O_IbLb1EEEEDaS1K_S1L_EUlS1K_E_NS1_11comp_targetILNS1_3genE2ELNS1_11target_archE906ELNS1_3gpuE6ELNS1_3repE0EEENS1_30default_config_static_selectorELNS0_4arch9wavefront6targetE0EEEvSY_
                                        ; -- End function
	.set _ZN7rocprim17ROCPRIM_400000_NS6detail17trampoline_kernelINS0_13select_configILj256ELj13ELNS0_17block_load_methodE3ELS4_3ELS4_3ELNS0_20block_scan_algorithmE0ELj4294967295EEENS1_25partition_config_selectorILNS1_17partition_subalgoE3EjNS0_10empty_typeEbEEZZNS1_14partition_implILS8_3ELb0ES6_jNS0_17counting_iteratorIjlEEPS9_SE_NS0_5tupleIJPjSE_EEENSF_IJSE_SE_EEES9_SG_JZNS1_25segmented_radix_sort_implINS0_14default_configELb0EPKsPsPKlPlN2at6native12_GLOBAL__N_18offset_tEEE10hipError_tPvRmT1_PNSt15iterator_traitsISY_E10value_typeET2_T3_PNSZ_IS14_E10value_typeET4_jRbjT5_S1A_jjP12ihipStream_tbEUljE_EEESV_SW_SX_S14_S18_S1A_T6_T7_T9_mT8_S1C_bDpT10_ENKUlT_T0_E_clISt17integral_constantIbLb0EES1O_IbLb1EEEEDaS1K_S1L_EUlS1K_E_NS1_11comp_targetILNS1_3genE2ELNS1_11target_archE906ELNS1_3gpuE6ELNS1_3repE0EEENS1_30default_config_static_selectorELNS0_4arch9wavefront6targetE0EEEvSY_.num_vgpr, 0
	.set _ZN7rocprim17ROCPRIM_400000_NS6detail17trampoline_kernelINS0_13select_configILj256ELj13ELNS0_17block_load_methodE3ELS4_3ELS4_3ELNS0_20block_scan_algorithmE0ELj4294967295EEENS1_25partition_config_selectorILNS1_17partition_subalgoE3EjNS0_10empty_typeEbEEZZNS1_14partition_implILS8_3ELb0ES6_jNS0_17counting_iteratorIjlEEPS9_SE_NS0_5tupleIJPjSE_EEENSF_IJSE_SE_EEES9_SG_JZNS1_25segmented_radix_sort_implINS0_14default_configELb0EPKsPsPKlPlN2at6native12_GLOBAL__N_18offset_tEEE10hipError_tPvRmT1_PNSt15iterator_traitsISY_E10value_typeET2_T3_PNSZ_IS14_E10value_typeET4_jRbjT5_S1A_jjP12ihipStream_tbEUljE_EEESV_SW_SX_S14_S18_S1A_T6_T7_T9_mT8_S1C_bDpT10_ENKUlT_T0_E_clISt17integral_constantIbLb0EES1O_IbLb1EEEEDaS1K_S1L_EUlS1K_E_NS1_11comp_targetILNS1_3genE2ELNS1_11target_archE906ELNS1_3gpuE6ELNS1_3repE0EEENS1_30default_config_static_selectorELNS0_4arch9wavefront6targetE0EEEvSY_.num_agpr, 0
	.set _ZN7rocprim17ROCPRIM_400000_NS6detail17trampoline_kernelINS0_13select_configILj256ELj13ELNS0_17block_load_methodE3ELS4_3ELS4_3ELNS0_20block_scan_algorithmE0ELj4294967295EEENS1_25partition_config_selectorILNS1_17partition_subalgoE3EjNS0_10empty_typeEbEEZZNS1_14partition_implILS8_3ELb0ES6_jNS0_17counting_iteratorIjlEEPS9_SE_NS0_5tupleIJPjSE_EEENSF_IJSE_SE_EEES9_SG_JZNS1_25segmented_radix_sort_implINS0_14default_configELb0EPKsPsPKlPlN2at6native12_GLOBAL__N_18offset_tEEE10hipError_tPvRmT1_PNSt15iterator_traitsISY_E10value_typeET2_T3_PNSZ_IS14_E10value_typeET4_jRbjT5_S1A_jjP12ihipStream_tbEUljE_EEESV_SW_SX_S14_S18_S1A_T6_T7_T9_mT8_S1C_bDpT10_ENKUlT_T0_E_clISt17integral_constantIbLb0EES1O_IbLb1EEEEDaS1K_S1L_EUlS1K_E_NS1_11comp_targetILNS1_3genE2ELNS1_11target_archE906ELNS1_3gpuE6ELNS1_3repE0EEENS1_30default_config_static_selectorELNS0_4arch9wavefront6targetE0EEEvSY_.numbered_sgpr, 0
	.set _ZN7rocprim17ROCPRIM_400000_NS6detail17trampoline_kernelINS0_13select_configILj256ELj13ELNS0_17block_load_methodE3ELS4_3ELS4_3ELNS0_20block_scan_algorithmE0ELj4294967295EEENS1_25partition_config_selectorILNS1_17partition_subalgoE3EjNS0_10empty_typeEbEEZZNS1_14partition_implILS8_3ELb0ES6_jNS0_17counting_iteratorIjlEEPS9_SE_NS0_5tupleIJPjSE_EEENSF_IJSE_SE_EEES9_SG_JZNS1_25segmented_radix_sort_implINS0_14default_configELb0EPKsPsPKlPlN2at6native12_GLOBAL__N_18offset_tEEE10hipError_tPvRmT1_PNSt15iterator_traitsISY_E10value_typeET2_T3_PNSZ_IS14_E10value_typeET4_jRbjT5_S1A_jjP12ihipStream_tbEUljE_EEESV_SW_SX_S14_S18_S1A_T6_T7_T9_mT8_S1C_bDpT10_ENKUlT_T0_E_clISt17integral_constantIbLb0EES1O_IbLb1EEEEDaS1K_S1L_EUlS1K_E_NS1_11comp_targetILNS1_3genE2ELNS1_11target_archE906ELNS1_3gpuE6ELNS1_3repE0EEENS1_30default_config_static_selectorELNS0_4arch9wavefront6targetE0EEEvSY_.num_named_barrier, 0
	.set _ZN7rocprim17ROCPRIM_400000_NS6detail17trampoline_kernelINS0_13select_configILj256ELj13ELNS0_17block_load_methodE3ELS4_3ELS4_3ELNS0_20block_scan_algorithmE0ELj4294967295EEENS1_25partition_config_selectorILNS1_17partition_subalgoE3EjNS0_10empty_typeEbEEZZNS1_14partition_implILS8_3ELb0ES6_jNS0_17counting_iteratorIjlEEPS9_SE_NS0_5tupleIJPjSE_EEENSF_IJSE_SE_EEES9_SG_JZNS1_25segmented_radix_sort_implINS0_14default_configELb0EPKsPsPKlPlN2at6native12_GLOBAL__N_18offset_tEEE10hipError_tPvRmT1_PNSt15iterator_traitsISY_E10value_typeET2_T3_PNSZ_IS14_E10value_typeET4_jRbjT5_S1A_jjP12ihipStream_tbEUljE_EEESV_SW_SX_S14_S18_S1A_T6_T7_T9_mT8_S1C_bDpT10_ENKUlT_T0_E_clISt17integral_constantIbLb0EES1O_IbLb1EEEEDaS1K_S1L_EUlS1K_E_NS1_11comp_targetILNS1_3genE2ELNS1_11target_archE906ELNS1_3gpuE6ELNS1_3repE0EEENS1_30default_config_static_selectorELNS0_4arch9wavefront6targetE0EEEvSY_.private_seg_size, 0
	.set _ZN7rocprim17ROCPRIM_400000_NS6detail17trampoline_kernelINS0_13select_configILj256ELj13ELNS0_17block_load_methodE3ELS4_3ELS4_3ELNS0_20block_scan_algorithmE0ELj4294967295EEENS1_25partition_config_selectorILNS1_17partition_subalgoE3EjNS0_10empty_typeEbEEZZNS1_14partition_implILS8_3ELb0ES6_jNS0_17counting_iteratorIjlEEPS9_SE_NS0_5tupleIJPjSE_EEENSF_IJSE_SE_EEES9_SG_JZNS1_25segmented_radix_sort_implINS0_14default_configELb0EPKsPsPKlPlN2at6native12_GLOBAL__N_18offset_tEEE10hipError_tPvRmT1_PNSt15iterator_traitsISY_E10value_typeET2_T3_PNSZ_IS14_E10value_typeET4_jRbjT5_S1A_jjP12ihipStream_tbEUljE_EEESV_SW_SX_S14_S18_S1A_T6_T7_T9_mT8_S1C_bDpT10_ENKUlT_T0_E_clISt17integral_constantIbLb0EES1O_IbLb1EEEEDaS1K_S1L_EUlS1K_E_NS1_11comp_targetILNS1_3genE2ELNS1_11target_archE906ELNS1_3gpuE6ELNS1_3repE0EEENS1_30default_config_static_selectorELNS0_4arch9wavefront6targetE0EEEvSY_.uses_vcc, 0
	.set _ZN7rocprim17ROCPRIM_400000_NS6detail17trampoline_kernelINS0_13select_configILj256ELj13ELNS0_17block_load_methodE3ELS4_3ELS4_3ELNS0_20block_scan_algorithmE0ELj4294967295EEENS1_25partition_config_selectorILNS1_17partition_subalgoE3EjNS0_10empty_typeEbEEZZNS1_14partition_implILS8_3ELb0ES6_jNS0_17counting_iteratorIjlEEPS9_SE_NS0_5tupleIJPjSE_EEENSF_IJSE_SE_EEES9_SG_JZNS1_25segmented_radix_sort_implINS0_14default_configELb0EPKsPsPKlPlN2at6native12_GLOBAL__N_18offset_tEEE10hipError_tPvRmT1_PNSt15iterator_traitsISY_E10value_typeET2_T3_PNSZ_IS14_E10value_typeET4_jRbjT5_S1A_jjP12ihipStream_tbEUljE_EEESV_SW_SX_S14_S18_S1A_T6_T7_T9_mT8_S1C_bDpT10_ENKUlT_T0_E_clISt17integral_constantIbLb0EES1O_IbLb1EEEEDaS1K_S1L_EUlS1K_E_NS1_11comp_targetILNS1_3genE2ELNS1_11target_archE906ELNS1_3gpuE6ELNS1_3repE0EEENS1_30default_config_static_selectorELNS0_4arch9wavefront6targetE0EEEvSY_.uses_flat_scratch, 0
	.set _ZN7rocprim17ROCPRIM_400000_NS6detail17trampoline_kernelINS0_13select_configILj256ELj13ELNS0_17block_load_methodE3ELS4_3ELS4_3ELNS0_20block_scan_algorithmE0ELj4294967295EEENS1_25partition_config_selectorILNS1_17partition_subalgoE3EjNS0_10empty_typeEbEEZZNS1_14partition_implILS8_3ELb0ES6_jNS0_17counting_iteratorIjlEEPS9_SE_NS0_5tupleIJPjSE_EEENSF_IJSE_SE_EEES9_SG_JZNS1_25segmented_radix_sort_implINS0_14default_configELb0EPKsPsPKlPlN2at6native12_GLOBAL__N_18offset_tEEE10hipError_tPvRmT1_PNSt15iterator_traitsISY_E10value_typeET2_T3_PNSZ_IS14_E10value_typeET4_jRbjT5_S1A_jjP12ihipStream_tbEUljE_EEESV_SW_SX_S14_S18_S1A_T6_T7_T9_mT8_S1C_bDpT10_ENKUlT_T0_E_clISt17integral_constantIbLb0EES1O_IbLb1EEEEDaS1K_S1L_EUlS1K_E_NS1_11comp_targetILNS1_3genE2ELNS1_11target_archE906ELNS1_3gpuE6ELNS1_3repE0EEENS1_30default_config_static_selectorELNS0_4arch9wavefront6targetE0EEEvSY_.has_dyn_sized_stack, 0
	.set _ZN7rocprim17ROCPRIM_400000_NS6detail17trampoline_kernelINS0_13select_configILj256ELj13ELNS0_17block_load_methodE3ELS4_3ELS4_3ELNS0_20block_scan_algorithmE0ELj4294967295EEENS1_25partition_config_selectorILNS1_17partition_subalgoE3EjNS0_10empty_typeEbEEZZNS1_14partition_implILS8_3ELb0ES6_jNS0_17counting_iteratorIjlEEPS9_SE_NS0_5tupleIJPjSE_EEENSF_IJSE_SE_EEES9_SG_JZNS1_25segmented_radix_sort_implINS0_14default_configELb0EPKsPsPKlPlN2at6native12_GLOBAL__N_18offset_tEEE10hipError_tPvRmT1_PNSt15iterator_traitsISY_E10value_typeET2_T3_PNSZ_IS14_E10value_typeET4_jRbjT5_S1A_jjP12ihipStream_tbEUljE_EEESV_SW_SX_S14_S18_S1A_T6_T7_T9_mT8_S1C_bDpT10_ENKUlT_T0_E_clISt17integral_constantIbLb0EES1O_IbLb1EEEEDaS1K_S1L_EUlS1K_E_NS1_11comp_targetILNS1_3genE2ELNS1_11target_archE906ELNS1_3gpuE6ELNS1_3repE0EEENS1_30default_config_static_selectorELNS0_4arch9wavefront6targetE0EEEvSY_.has_recursion, 0
	.set _ZN7rocprim17ROCPRIM_400000_NS6detail17trampoline_kernelINS0_13select_configILj256ELj13ELNS0_17block_load_methodE3ELS4_3ELS4_3ELNS0_20block_scan_algorithmE0ELj4294967295EEENS1_25partition_config_selectorILNS1_17partition_subalgoE3EjNS0_10empty_typeEbEEZZNS1_14partition_implILS8_3ELb0ES6_jNS0_17counting_iteratorIjlEEPS9_SE_NS0_5tupleIJPjSE_EEENSF_IJSE_SE_EEES9_SG_JZNS1_25segmented_radix_sort_implINS0_14default_configELb0EPKsPsPKlPlN2at6native12_GLOBAL__N_18offset_tEEE10hipError_tPvRmT1_PNSt15iterator_traitsISY_E10value_typeET2_T3_PNSZ_IS14_E10value_typeET4_jRbjT5_S1A_jjP12ihipStream_tbEUljE_EEESV_SW_SX_S14_S18_S1A_T6_T7_T9_mT8_S1C_bDpT10_ENKUlT_T0_E_clISt17integral_constantIbLb0EES1O_IbLb1EEEEDaS1K_S1L_EUlS1K_E_NS1_11comp_targetILNS1_3genE2ELNS1_11target_archE906ELNS1_3gpuE6ELNS1_3repE0EEENS1_30default_config_static_selectorELNS0_4arch9wavefront6targetE0EEEvSY_.has_indirect_call, 0
	.section	.AMDGPU.csdata,"",@progbits
; Kernel info:
; codeLenInByte = 0
; TotalNumSgprs: 0
; NumVgprs: 0
; ScratchSize: 0
; MemoryBound: 0
; FloatMode: 240
; IeeeMode: 1
; LDSByteSize: 0 bytes/workgroup (compile time only)
; SGPRBlocks: 0
; VGPRBlocks: 0
; NumSGPRsForWavesPerEU: 1
; NumVGPRsForWavesPerEU: 1
; NamedBarCnt: 0
; Occupancy: 16
; WaveLimiterHint : 0
; COMPUTE_PGM_RSRC2:SCRATCH_EN: 0
; COMPUTE_PGM_RSRC2:USER_SGPR: 2
; COMPUTE_PGM_RSRC2:TRAP_HANDLER: 0
; COMPUTE_PGM_RSRC2:TGID_X_EN: 1
; COMPUTE_PGM_RSRC2:TGID_Y_EN: 0
; COMPUTE_PGM_RSRC2:TGID_Z_EN: 0
; COMPUTE_PGM_RSRC2:TIDIG_COMP_CNT: 0
	.section	.text._ZN7rocprim17ROCPRIM_400000_NS6detail17trampoline_kernelINS0_13select_configILj256ELj13ELNS0_17block_load_methodE3ELS4_3ELS4_3ELNS0_20block_scan_algorithmE0ELj4294967295EEENS1_25partition_config_selectorILNS1_17partition_subalgoE3EjNS0_10empty_typeEbEEZZNS1_14partition_implILS8_3ELb0ES6_jNS0_17counting_iteratorIjlEEPS9_SE_NS0_5tupleIJPjSE_EEENSF_IJSE_SE_EEES9_SG_JZNS1_25segmented_radix_sort_implINS0_14default_configELb0EPKsPsPKlPlN2at6native12_GLOBAL__N_18offset_tEEE10hipError_tPvRmT1_PNSt15iterator_traitsISY_E10value_typeET2_T3_PNSZ_IS14_E10value_typeET4_jRbjT5_S1A_jjP12ihipStream_tbEUljE_EEESV_SW_SX_S14_S18_S1A_T6_T7_T9_mT8_S1C_bDpT10_ENKUlT_T0_E_clISt17integral_constantIbLb0EES1O_IbLb1EEEEDaS1K_S1L_EUlS1K_E_NS1_11comp_targetILNS1_3genE10ELNS1_11target_archE1200ELNS1_3gpuE4ELNS1_3repE0EEENS1_30default_config_static_selectorELNS0_4arch9wavefront6targetE0EEEvSY_,"axG",@progbits,_ZN7rocprim17ROCPRIM_400000_NS6detail17trampoline_kernelINS0_13select_configILj256ELj13ELNS0_17block_load_methodE3ELS4_3ELS4_3ELNS0_20block_scan_algorithmE0ELj4294967295EEENS1_25partition_config_selectorILNS1_17partition_subalgoE3EjNS0_10empty_typeEbEEZZNS1_14partition_implILS8_3ELb0ES6_jNS0_17counting_iteratorIjlEEPS9_SE_NS0_5tupleIJPjSE_EEENSF_IJSE_SE_EEES9_SG_JZNS1_25segmented_radix_sort_implINS0_14default_configELb0EPKsPsPKlPlN2at6native12_GLOBAL__N_18offset_tEEE10hipError_tPvRmT1_PNSt15iterator_traitsISY_E10value_typeET2_T3_PNSZ_IS14_E10value_typeET4_jRbjT5_S1A_jjP12ihipStream_tbEUljE_EEESV_SW_SX_S14_S18_S1A_T6_T7_T9_mT8_S1C_bDpT10_ENKUlT_T0_E_clISt17integral_constantIbLb0EES1O_IbLb1EEEEDaS1K_S1L_EUlS1K_E_NS1_11comp_targetILNS1_3genE10ELNS1_11target_archE1200ELNS1_3gpuE4ELNS1_3repE0EEENS1_30default_config_static_selectorELNS0_4arch9wavefront6targetE0EEEvSY_,comdat
	.globl	_ZN7rocprim17ROCPRIM_400000_NS6detail17trampoline_kernelINS0_13select_configILj256ELj13ELNS0_17block_load_methodE3ELS4_3ELS4_3ELNS0_20block_scan_algorithmE0ELj4294967295EEENS1_25partition_config_selectorILNS1_17partition_subalgoE3EjNS0_10empty_typeEbEEZZNS1_14partition_implILS8_3ELb0ES6_jNS0_17counting_iteratorIjlEEPS9_SE_NS0_5tupleIJPjSE_EEENSF_IJSE_SE_EEES9_SG_JZNS1_25segmented_radix_sort_implINS0_14default_configELb0EPKsPsPKlPlN2at6native12_GLOBAL__N_18offset_tEEE10hipError_tPvRmT1_PNSt15iterator_traitsISY_E10value_typeET2_T3_PNSZ_IS14_E10value_typeET4_jRbjT5_S1A_jjP12ihipStream_tbEUljE_EEESV_SW_SX_S14_S18_S1A_T6_T7_T9_mT8_S1C_bDpT10_ENKUlT_T0_E_clISt17integral_constantIbLb0EES1O_IbLb1EEEEDaS1K_S1L_EUlS1K_E_NS1_11comp_targetILNS1_3genE10ELNS1_11target_archE1200ELNS1_3gpuE4ELNS1_3repE0EEENS1_30default_config_static_selectorELNS0_4arch9wavefront6targetE0EEEvSY_ ; -- Begin function _ZN7rocprim17ROCPRIM_400000_NS6detail17trampoline_kernelINS0_13select_configILj256ELj13ELNS0_17block_load_methodE3ELS4_3ELS4_3ELNS0_20block_scan_algorithmE0ELj4294967295EEENS1_25partition_config_selectorILNS1_17partition_subalgoE3EjNS0_10empty_typeEbEEZZNS1_14partition_implILS8_3ELb0ES6_jNS0_17counting_iteratorIjlEEPS9_SE_NS0_5tupleIJPjSE_EEENSF_IJSE_SE_EEES9_SG_JZNS1_25segmented_radix_sort_implINS0_14default_configELb0EPKsPsPKlPlN2at6native12_GLOBAL__N_18offset_tEEE10hipError_tPvRmT1_PNSt15iterator_traitsISY_E10value_typeET2_T3_PNSZ_IS14_E10value_typeET4_jRbjT5_S1A_jjP12ihipStream_tbEUljE_EEESV_SW_SX_S14_S18_S1A_T6_T7_T9_mT8_S1C_bDpT10_ENKUlT_T0_E_clISt17integral_constantIbLb0EES1O_IbLb1EEEEDaS1K_S1L_EUlS1K_E_NS1_11comp_targetILNS1_3genE10ELNS1_11target_archE1200ELNS1_3gpuE4ELNS1_3repE0EEENS1_30default_config_static_selectorELNS0_4arch9wavefront6targetE0EEEvSY_
	.p2align	8
	.type	_ZN7rocprim17ROCPRIM_400000_NS6detail17trampoline_kernelINS0_13select_configILj256ELj13ELNS0_17block_load_methodE3ELS4_3ELS4_3ELNS0_20block_scan_algorithmE0ELj4294967295EEENS1_25partition_config_selectorILNS1_17partition_subalgoE3EjNS0_10empty_typeEbEEZZNS1_14partition_implILS8_3ELb0ES6_jNS0_17counting_iteratorIjlEEPS9_SE_NS0_5tupleIJPjSE_EEENSF_IJSE_SE_EEES9_SG_JZNS1_25segmented_radix_sort_implINS0_14default_configELb0EPKsPsPKlPlN2at6native12_GLOBAL__N_18offset_tEEE10hipError_tPvRmT1_PNSt15iterator_traitsISY_E10value_typeET2_T3_PNSZ_IS14_E10value_typeET4_jRbjT5_S1A_jjP12ihipStream_tbEUljE_EEESV_SW_SX_S14_S18_S1A_T6_T7_T9_mT8_S1C_bDpT10_ENKUlT_T0_E_clISt17integral_constantIbLb0EES1O_IbLb1EEEEDaS1K_S1L_EUlS1K_E_NS1_11comp_targetILNS1_3genE10ELNS1_11target_archE1200ELNS1_3gpuE4ELNS1_3repE0EEENS1_30default_config_static_selectorELNS0_4arch9wavefront6targetE0EEEvSY_,@function
_ZN7rocprim17ROCPRIM_400000_NS6detail17trampoline_kernelINS0_13select_configILj256ELj13ELNS0_17block_load_methodE3ELS4_3ELS4_3ELNS0_20block_scan_algorithmE0ELj4294967295EEENS1_25partition_config_selectorILNS1_17partition_subalgoE3EjNS0_10empty_typeEbEEZZNS1_14partition_implILS8_3ELb0ES6_jNS0_17counting_iteratorIjlEEPS9_SE_NS0_5tupleIJPjSE_EEENSF_IJSE_SE_EEES9_SG_JZNS1_25segmented_radix_sort_implINS0_14default_configELb0EPKsPsPKlPlN2at6native12_GLOBAL__N_18offset_tEEE10hipError_tPvRmT1_PNSt15iterator_traitsISY_E10value_typeET2_T3_PNSZ_IS14_E10value_typeET4_jRbjT5_S1A_jjP12ihipStream_tbEUljE_EEESV_SW_SX_S14_S18_S1A_T6_T7_T9_mT8_S1C_bDpT10_ENKUlT_T0_E_clISt17integral_constantIbLb0EES1O_IbLb1EEEEDaS1K_S1L_EUlS1K_E_NS1_11comp_targetILNS1_3genE10ELNS1_11target_archE1200ELNS1_3gpuE4ELNS1_3repE0EEENS1_30default_config_static_selectorELNS0_4arch9wavefront6targetE0EEEvSY_: ; @_ZN7rocprim17ROCPRIM_400000_NS6detail17trampoline_kernelINS0_13select_configILj256ELj13ELNS0_17block_load_methodE3ELS4_3ELS4_3ELNS0_20block_scan_algorithmE0ELj4294967295EEENS1_25partition_config_selectorILNS1_17partition_subalgoE3EjNS0_10empty_typeEbEEZZNS1_14partition_implILS8_3ELb0ES6_jNS0_17counting_iteratorIjlEEPS9_SE_NS0_5tupleIJPjSE_EEENSF_IJSE_SE_EEES9_SG_JZNS1_25segmented_radix_sort_implINS0_14default_configELb0EPKsPsPKlPlN2at6native12_GLOBAL__N_18offset_tEEE10hipError_tPvRmT1_PNSt15iterator_traitsISY_E10value_typeET2_T3_PNSZ_IS14_E10value_typeET4_jRbjT5_S1A_jjP12ihipStream_tbEUljE_EEESV_SW_SX_S14_S18_S1A_T6_T7_T9_mT8_S1C_bDpT10_ENKUlT_T0_E_clISt17integral_constantIbLb0EES1O_IbLb1EEEEDaS1K_S1L_EUlS1K_E_NS1_11comp_targetILNS1_3genE10ELNS1_11target_archE1200ELNS1_3gpuE4ELNS1_3repE0EEENS1_30default_config_static_selectorELNS0_4arch9wavefront6targetE0EEEvSY_
; %bb.0:
	.section	.rodata,"a",@progbits
	.p2align	6, 0x0
	.amdhsa_kernel _ZN7rocprim17ROCPRIM_400000_NS6detail17trampoline_kernelINS0_13select_configILj256ELj13ELNS0_17block_load_methodE3ELS4_3ELS4_3ELNS0_20block_scan_algorithmE0ELj4294967295EEENS1_25partition_config_selectorILNS1_17partition_subalgoE3EjNS0_10empty_typeEbEEZZNS1_14partition_implILS8_3ELb0ES6_jNS0_17counting_iteratorIjlEEPS9_SE_NS0_5tupleIJPjSE_EEENSF_IJSE_SE_EEES9_SG_JZNS1_25segmented_radix_sort_implINS0_14default_configELb0EPKsPsPKlPlN2at6native12_GLOBAL__N_18offset_tEEE10hipError_tPvRmT1_PNSt15iterator_traitsISY_E10value_typeET2_T3_PNSZ_IS14_E10value_typeET4_jRbjT5_S1A_jjP12ihipStream_tbEUljE_EEESV_SW_SX_S14_S18_S1A_T6_T7_T9_mT8_S1C_bDpT10_ENKUlT_T0_E_clISt17integral_constantIbLb0EES1O_IbLb1EEEEDaS1K_S1L_EUlS1K_E_NS1_11comp_targetILNS1_3genE10ELNS1_11target_archE1200ELNS1_3gpuE4ELNS1_3repE0EEENS1_30default_config_static_selectorELNS0_4arch9wavefront6targetE0EEEvSY_
		.amdhsa_group_segment_fixed_size 0
		.amdhsa_private_segment_fixed_size 0
		.amdhsa_kernarg_size 152
		.amdhsa_user_sgpr_count 2
		.amdhsa_user_sgpr_dispatch_ptr 0
		.amdhsa_user_sgpr_queue_ptr 0
		.amdhsa_user_sgpr_kernarg_segment_ptr 1
		.amdhsa_user_sgpr_dispatch_id 0
		.amdhsa_user_sgpr_kernarg_preload_length 0
		.amdhsa_user_sgpr_kernarg_preload_offset 0
		.amdhsa_user_sgpr_private_segment_size 0
		.amdhsa_wavefront_size32 1
		.amdhsa_uses_dynamic_stack 0
		.amdhsa_enable_private_segment 0
		.amdhsa_system_sgpr_workgroup_id_x 1
		.amdhsa_system_sgpr_workgroup_id_y 0
		.amdhsa_system_sgpr_workgroup_id_z 0
		.amdhsa_system_sgpr_workgroup_info 0
		.amdhsa_system_vgpr_workitem_id 0
		.amdhsa_next_free_vgpr 1
		.amdhsa_next_free_sgpr 1
		.amdhsa_named_barrier_count 0
		.amdhsa_reserve_vcc 0
		.amdhsa_float_round_mode_32 0
		.amdhsa_float_round_mode_16_64 0
		.amdhsa_float_denorm_mode_32 3
		.amdhsa_float_denorm_mode_16_64 3
		.amdhsa_fp16_overflow 0
		.amdhsa_memory_ordered 1
		.amdhsa_forward_progress 1
		.amdhsa_inst_pref_size 0
		.amdhsa_round_robin_scheduling 0
		.amdhsa_exception_fp_ieee_invalid_op 0
		.amdhsa_exception_fp_denorm_src 0
		.amdhsa_exception_fp_ieee_div_zero 0
		.amdhsa_exception_fp_ieee_overflow 0
		.amdhsa_exception_fp_ieee_underflow 0
		.amdhsa_exception_fp_ieee_inexact 0
		.amdhsa_exception_int_div_zero 0
	.end_amdhsa_kernel
	.section	.text._ZN7rocprim17ROCPRIM_400000_NS6detail17trampoline_kernelINS0_13select_configILj256ELj13ELNS0_17block_load_methodE3ELS4_3ELS4_3ELNS0_20block_scan_algorithmE0ELj4294967295EEENS1_25partition_config_selectorILNS1_17partition_subalgoE3EjNS0_10empty_typeEbEEZZNS1_14partition_implILS8_3ELb0ES6_jNS0_17counting_iteratorIjlEEPS9_SE_NS0_5tupleIJPjSE_EEENSF_IJSE_SE_EEES9_SG_JZNS1_25segmented_radix_sort_implINS0_14default_configELb0EPKsPsPKlPlN2at6native12_GLOBAL__N_18offset_tEEE10hipError_tPvRmT1_PNSt15iterator_traitsISY_E10value_typeET2_T3_PNSZ_IS14_E10value_typeET4_jRbjT5_S1A_jjP12ihipStream_tbEUljE_EEESV_SW_SX_S14_S18_S1A_T6_T7_T9_mT8_S1C_bDpT10_ENKUlT_T0_E_clISt17integral_constantIbLb0EES1O_IbLb1EEEEDaS1K_S1L_EUlS1K_E_NS1_11comp_targetILNS1_3genE10ELNS1_11target_archE1200ELNS1_3gpuE4ELNS1_3repE0EEENS1_30default_config_static_selectorELNS0_4arch9wavefront6targetE0EEEvSY_,"axG",@progbits,_ZN7rocprim17ROCPRIM_400000_NS6detail17trampoline_kernelINS0_13select_configILj256ELj13ELNS0_17block_load_methodE3ELS4_3ELS4_3ELNS0_20block_scan_algorithmE0ELj4294967295EEENS1_25partition_config_selectorILNS1_17partition_subalgoE3EjNS0_10empty_typeEbEEZZNS1_14partition_implILS8_3ELb0ES6_jNS0_17counting_iteratorIjlEEPS9_SE_NS0_5tupleIJPjSE_EEENSF_IJSE_SE_EEES9_SG_JZNS1_25segmented_radix_sort_implINS0_14default_configELb0EPKsPsPKlPlN2at6native12_GLOBAL__N_18offset_tEEE10hipError_tPvRmT1_PNSt15iterator_traitsISY_E10value_typeET2_T3_PNSZ_IS14_E10value_typeET4_jRbjT5_S1A_jjP12ihipStream_tbEUljE_EEESV_SW_SX_S14_S18_S1A_T6_T7_T9_mT8_S1C_bDpT10_ENKUlT_T0_E_clISt17integral_constantIbLb0EES1O_IbLb1EEEEDaS1K_S1L_EUlS1K_E_NS1_11comp_targetILNS1_3genE10ELNS1_11target_archE1200ELNS1_3gpuE4ELNS1_3repE0EEENS1_30default_config_static_selectorELNS0_4arch9wavefront6targetE0EEEvSY_,comdat
.Lfunc_end1006:
	.size	_ZN7rocprim17ROCPRIM_400000_NS6detail17trampoline_kernelINS0_13select_configILj256ELj13ELNS0_17block_load_methodE3ELS4_3ELS4_3ELNS0_20block_scan_algorithmE0ELj4294967295EEENS1_25partition_config_selectorILNS1_17partition_subalgoE3EjNS0_10empty_typeEbEEZZNS1_14partition_implILS8_3ELb0ES6_jNS0_17counting_iteratorIjlEEPS9_SE_NS0_5tupleIJPjSE_EEENSF_IJSE_SE_EEES9_SG_JZNS1_25segmented_radix_sort_implINS0_14default_configELb0EPKsPsPKlPlN2at6native12_GLOBAL__N_18offset_tEEE10hipError_tPvRmT1_PNSt15iterator_traitsISY_E10value_typeET2_T3_PNSZ_IS14_E10value_typeET4_jRbjT5_S1A_jjP12ihipStream_tbEUljE_EEESV_SW_SX_S14_S18_S1A_T6_T7_T9_mT8_S1C_bDpT10_ENKUlT_T0_E_clISt17integral_constantIbLb0EES1O_IbLb1EEEEDaS1K_S1L_EUlS1K_E_NS1_11comp_targetILNS1_3genE10ELNS1_11target_archE1200ELNS1_3gpuE4ELNS1_3repE0EEENS1_30default_config_static_selectorELNS0_4arch9wavefront6targetE0EEEvSY_, .Lfunc_end1006-_ZN7rocprim17ROCPRIM_400000_NS6detail17trampoline_kernelINS0_13select_configILj256ELj13ELNS0_17block_load_methodE3ELS4_3ELS4_3ELNS0_20block_scan_algorithmE0ELj4294967295EEENS1_25partition_config_selectorILNS1_17partition_subalgoE3EjNS0_10empty_typeEbEEZZNS1_14partition_implILS8_3ELb0ES6_jNS0_17counting_iteratorIjlEEPS9_SE_NS0_5tupleIJPjSE_EEENSF_IJSE_SE_EEES9_SG_JZNS1_25segmented_radix_sort_implINS0_14default_configELb0EPKsPsPKlPlN2at6native12_GLOBAL__N_18offset_tEEE10hipError_tPvRmT1_PNSt15iterator_traitsISY_E10value_typeET2_T3_PNSZ_IS14_E10value_typeET4_jRbjT5_S1A_jjP12ihipStream_tbEUljE_EEESV_SW_SX_S14_S18_S1A_T6_T7_T9_mT8_S1C_bDpT10_ENKUlT_T0_E_clISt17integral_constantIbLb0EES1O_IbLb1EEEEDaS1K_S1L_EUlS1K_E_NS1_11comp_targetILNS1_3genE10ELNS1_11target_archE1200ELNS1_3gpuE4ELNS1_3repE0EEENS1_30default_config_static_selectorELNS0_4arch9wavefront6targetE0EEEvSY_
                                        ; -- End function
	.set _ZN7rocprim17ROCPRIM_400000_NS6detail17trampoline_kernelINS0_13select_configILj256ELj13ELNS0_17block_load_methodE3ELS4_3ELS4_3ELNS0_20block_scan_algorithmE0ELj4294967295EEENS1_25partition_config_selectorILNS1_17partition_subalgoE3EjNS0_10empty_typeEbEEZZNS1_14partition_implILS8_3ELb0ES6_jNS0_17counting_iteratorIjlEEPS9_SE_NS0_5tupleIJPjSE_EEENSF_IJSE_SE_EEES9_SG_JZNS1_25segmented_radix_sort_implINS0_14default_configELb0EPKsPsPKlPlN2at6native12_GLOBAL__N_18offset_tEEE10hipError_tPvRmT1_PNSt15iterator_traitsISY_E10value_typeET2_T3_PNSZ_IS14_E10value_typeET4_jRbjT5_S1A_jjP12ihipStream_tbEUljE_EEESV_SW_SX_S14_S18_S1A_T6_T7_T9_mT8_S1C_bDpT10_ENKUlT_T0_E_clISt17integral_constantIbLb0EES1O_IbLb1EEEEDaS1K_S1L_EUlS1K_E_NS1_11comp_targetILNS1_3genE10ELNS1_11target_archE1200ELNS1_3gpuE4ELNS1_3repE0EEENS1_30default_config_static_selectorELNS0_4arch9wavefront6targetE0EEEvSY_.num_vgpr, 0
	.set _ZN7rocprim17ROCPRIM_400000_NS6detail17trampoline_kernelINS0_13select_configILj256ELj13ELNS0_17block_load_methodE3ELS4_3ELS4_3ELNS0_20block_scan_algorithmE0ELj4294967295EEENS1_25partition_config_selectorILNS1_17partition_subalgoE3EjNS0_10empty_typeEbEEZZNS1_14partition_implILS8_3ELb0ES6_jNS0_17counting_iteratorIjlEEPS9_SE_NS0_5tupleIJPjSE_EEENSF_IJSE_SE_EEES9_SG_JZNS1_25segmented_radix_sort_implINS0_14default_configELb0EPKsPsPKlPlN2at6native12_GLOBAL__N_18offset_tEEE10hipError_tPvRmT1_PNSt15iterator_traitsISY_E10value_typeET2_T3_PNSZ_IS14_E10value_typeET4_jRbjT5_S1A_jjP12ihipStream_tbEUljE_EEESV_SW_SX_S14_S18_S1A_T6_T7_T9_mT8_S1C_bDpT10_ENKUlT_T0_E_clISt17integral_constantIbLb0EES1O_IbLb1EEEEDaS1K_S1L_EUlS1K_E_NS1_11comp_targetILNS1_3genE10ELNS1_11target_archE1200ELNS1_3gpuE4ELNS1_3repE0EEENS1_30default_config_static_selectorELNS0_4arch9wavefront6targetE0EEEvSY_.num_agpr, 0
	.set _ZN7rocprim17ROCPRIM_400000_NS6detail17trampoline_kernelINS0_13select_configILj256ELj13ELNS0_17block_load_methodE3ELS4_3ELS4_3ELNS0_20block_scan_algorithmE0ELj4294967295EEENS1_25partition_config_selectorILNS1_17partition_subalgoE3EjNS0_10empty_typeEbEEZZNS1_14partition_implILS8_3ELb0ES6_jNS0_17counting_iteratorIjlEEPS9_SE_NS0_5tupleIJPjSE_EEENSF_IJSE_SE_EEES9_SG_JZNS1_25segmented_radix_sort_implINS0_14default_configELb0EPKsPsPKlPlN2at6native12_GLOBAL__N_18offset_tEEE10hipError_tPvRmT1_PNSt15iterator_traitsISY_E10value_typeET2_T3_PNSZ_IS14_E10value_typeET4_jRbjT5_S1A_jjP12ihipStream_tbEUljE_EEESV_SW_SX_S14_S18_S1A_T6_T7_T9_mT8_S1C_bDpT10_ENKUlT_T0_E_clISt17integral_constantIbLb0EES1O_IbLb1EEEEDaS1K_S1L_EUlS1K_E_NS1_11comp_targetILNS1_3genE10ELNS1_11target_archE1200ELNS1_3gpuE4ELNS1_3repE0EEENS1_30default_config_static_selectorELNS0_4arch9wavefront6targetE0EEEvSY_.numbered_sgpr, 0
	.set _ZN7rocprim17ROCPRIM_400000_NS6detail17trampoline_kernelINS0_13select_configILj256ELj13ELNS0_17block_load_methodE3ELS4_3ELS4_3ELNS0_20block_scan_algorithmE0ELj4294967295EEENS1_25partition_config_selectorILNS1_17partition_subalgoE3EjNS0_10empty_typeEbEEZZNS1_14partition_implILS8_3ELb0ES6_jNS0_17counting_iteratorIjlEEPS9_SE_NS0_5tupleIJPjSE_EEENSF_IJSE_SE_EEES9_SG_JZNS1_25segmented_radix_sort_implINS0_14default_configELb0EPKsPsPKlPlN2at6native12_GLOBAL__N_18offset_tEEE10hipError_tPvRmT1_PNSt15iterator_traitsISY_E10value_typeET2_T3_PNSZ_IS14_E10value_typeET4_jRbjT5_S1A_jjP12ihipStream_tbEUljE_EEESV_SW_SX_S14_S18_S1A_T6_T7_T9_mT8_S1C_bDpT10_ENKUlT_T0_E_clISt17integral_constantIbLb0EES1O_IbLb1EEEEDaS1K_S1L_EUlS1K_E_NS1_11comp_targetILNS1_3genE10ELNS1_11target_archE1200ELNS1_3gpuE4ELNS1_3repE0EEENS1_30default_config_static_selectorELNS0_4arch9wavefront6targetE0EEEvSY_.num_named_barrier, 0
	.set _ZN7rocprim17ROCPRIM_400000_NS6detail17trampoline_kernelINS0_13select_configILj256ELj13ELNS0_17block_load_methodE3ELS4_3ELS4_3ELNS0_20block_scan_algorithmE0ELj4294967295EEENS1_25partition_config_selectorILNS1_17partition_subalgoE3EjNS0_10empty_typeEbEEZZNS1_14partition_implILS8_3ELb0ES6_jNS0_17counting_iteratorIjlEEPS9_SE_NS0_5tupleIJPjSE_EEENSF_IJSE_SE_EEES9_SG_JZNS1_25segmented_radix_sort_implINS0_14default_configELb0EPKsPsPKlPlN2at6native12_GLOBAL__N_18offset_tEEE10hipError_tPvRmT1_PNSt15iterator_traitsISY_E10value_typeET2_T3_PNSZ_IS14_E10value_typeET4_jRbjT5_S1A_jjP12ihipStream_tbEUljE_EEESV_SW_SX_S14_S18_S1A_T6_T7_T9_mT8_S1C_bDpT10_ENKUlT_T0_E_clISt17integral_constantIbLb0EES1O_IbLb1EEEEDaS1K_S1L_EUlS1K_E_NS1_11comp_targetILNS1_3genE10ELNS1_11target_archE1200ELNS1_3gpuE4ELNS1_3repE0EEENS1_30default_config_static_selectorELNS0_4arch9wavefront6targetE0EEEvSY_.private_seg_size, 0
	.set _ZN7rocprim17ROCPRIM_400000_NS6detail17trampoline_kernelINS0_13select_configILj256ELj13ELNS0_17block_load_methodE3ELS4_3ELS4_3ELNS0_20block_scan_algorithmE0ELj4294967295EEENS1_25partition_config_selectorILNS1_17partition_subalgoE3EjNS0_10empty_typeEbEEZZNS1_14partition_implILS8_3ELb0ES6_jNS0_17counting_iteratorIjlEEPS9_SE_NS0_5tupleIJPjSE_EEENSF_IJSE_SE_EEES9_SG_JZNS1_25segmented_radix_sort_implINS0_14default_configELb0EPKsPsPKlPlN2at6native12_GLOBAL__N_18offset_tEEE10hipError_tPvRmT1_PNSt15iterator_traitsISY_E10value_typeET2_T3_PNSZ_IS14_E10value_typeET4_jRbjT5_S1A_jjP12ihipStream_tbEUljE_EEESV_SW_SX_S14_S18_S1A_T6_T7_T9_mT8_S1C_bDpT10_ENKUlT_T0_E_clISt17integral_constantIbLb0EES1O_IbLb1EEEEDaS1K_S1L_EUlS1K_E_NS1_11comp_targetILNS1_3genE10ELNS1_11target_archE1200ELNS1_3gpuE4ELNS1_3repE0EEENS1_30default_config_static_selectorELNS0_4arch9wavefront6targetE0EEEvSY_.uses_vcc, 0
	.set _ZN7rocprim17ROCPRIM_400000_NS6detail17trampoline_kernelINS0_13select_configILj256ELj13ELNS0_17block_load_methodE3ELS4_3ELS4_3ELNS0_20block_scan_algorithmE0ELj4294967295EEENS1_25partition_config_selectorILNS1_17partition_subalgoE3EjNS0_10empty_typeEbEEZZNS1_14partition_implILS8_3ELb0ES6_jNS0_17counting_iteratorIjlEEPS9_SE_NS0_5tupleIJPjSE_EEENSF_IJSE_SE_EEES9_SG_JZNS1_25segmented_radix_sort_implINS0_14default_configELb0EPKsPsPKlPlN2at6native12_GLOBAL__N_18offset_tEEE10hipError_tPvRmT1_PNSt15iterator_traitsISY_E10value_typeET2_T3_PNSZ_IS14_E10value_typeET4_jRbjT5_S1A_jjP12ihipStream_tbEUljE_EEESV_SW_SX_S14_S18_S1A_T6_T7_T9_mT8_S1C_bDpT10_ENKUlT_T0_E_clISt17integral_constantIbLb0EES1O_IbLb1EEEEDaS1K_S1L_EUlS1K_E_NS1_11comp_targetILNS1_3genE10ELNS1_11target_archE1200ELNS1_3gpuE4ELNS1_3repE0EEENS1_30default_config_static_selectorELNS0_4arch9wavefront6targetE0EEEvSY_.uses_flat_scratch, 0
	.set _ZN7rocprim17ROCPRIM_400000_NS6detail17trampoline_kernelINS0_13select_configILj256ELj13ELNS0_17block_load_methodE3ELS4_3ELS4_3ELNS0_20block_scan_algorithmE0ELj4294967295EEENS1_25partition_config_selectorILNS1_17partition_subalgoE3EjNS0_10empty_typeEbEEZZNS1_14partition_implILS8_3ELb0ES6_jNS0_17counting_iteratorIjlEEPS9_SE_NS0_5tupleIJPjSE_EEENSF_IJSE_SE_EEES9_SG_JZNS1_25segmented_radix_sort_implINS0_14default_configELb0EPKsPsPKlPlN2at6native12_GLOBAL__N_18offset_tEEE10hipError_tPvRmT1_PNSt15iterator_traitsISY_E10value_typeET2_T3_PNSZ_IS14_E10value_typeET4_jRbjT5_S1A_jjP12ihipStream_tbEUljE_EEESV_SW_SX_S14_S18_S1A_T6_T7_T9_mT8_S1C_bDpT10_ENKUlT_T0_E_clISt17integral_constantIbLb0EES1O_IbLb1EEEEDaS1K_S1L_EUlS1K_E_NS1_11comp_targetILNS1_3genE10ELNS1_11target_archE1200ELNS1_3gpuE4ELNS1_3repE0EEENS1_30default_config_static_selectorELNS0_4arch9wavefront6targetE0EEEvSY_.has_dyn_sized_stack, 0
	.set _ZN7rocprim17ROCPRIM_400000_NS6detail17trampoline_kernelINS0_13select_configILj256ELj13ELNS0_17block_load_methodE3ELS4_3ELS4_3ELNS0_20block_scan_algorithmE0ELj4294967295EEENS1_25partition_config_selectorILNS1_17partition_subalgoE3EjNS0_10empty_typeEbEEZZNS1_14partition_implILS8_3ELb0ES6_jNS0_17counting_iteratorIjlEEPS9_SE_NS0_5tupleIJPjSE_EEENSF_IJSE_SE_EEES9_SG_JZNS1_25segmented_radix_sort_implINS0_14default_configELb0EPKsPsPKlPlN2at6native12_GLOBAL__N_18offset_tEEE10hipError_tPvRmT1_PNSt15iterator_traitsISY_E10value_typeET2_T3_PNSZ_IS14_E10value_typeET4_jRbjT5_S1A_jjP12ihipStream_tbEUljE_EEESV_SW_SX_S14_S18_S1A_T6_T7_T9_mT8_S1C_bDpT10_ENKUlT_T0_E_clISt17integral_constantIbLb0EES1O_IbLb1EEEEDaS1K_S1L_EUlS1K_E_NS1_11comp_targetILNS1_3genE10ELNS1_11target_archE1200ELNS1_3gpuE4ELNS1_3repE0EEENS1_30default_config_static_selectorELNS0_4arch9wavefront6targetE0EEEvSY_.has_recursion, 0
	.set _ZN7rocprim17ROCPRIM_400000_NS6detail17trampoline_kernelINS0_13select_configILj256ELj13ELNS0_17block_load_methodE3ELS4_3ELS4_3ELNS0_20block_scan_algorithmE0ELj4294967295EEENS1_25partition_config_selectorILNS1_17partition_subalgoE3EjNS0_10empty_typeEbEEZZNS1_14partition_implILS8_3ELb0ES6_jNS0_17counting_iteratorIjlEEPS9_SE_NS0_5tupleIJPjSE_EEENSF_IJSE_SE_EEES9_SG_JZNS1_25segmented_radix_sort_implINS0_14default_configELb0EPKsPsPKlPlN2at6native12_GLOBAL__N_18offset_tEEE10hipError_tPvRmT1_PNSt15iterator_traitsISY_E10value_typeET2_T3_PNSZ_IS14_E10value_typeET4_jRbjT5_S1A_jjP12ihipStream_tbEUljE_EEESV_SW_SX_S14_S18_S1A_T6_T7_T9_mT8_S1C_bDpT10_ENKUlT_T0_E_clISt17integral_constantIbLb0EES1O_IbLb1EEEEDaS1K_S1L_EUlS1K_E_NS1_11comp_targetILNS1_3genE10ELNS1_11target_archE1200ELNS1_3gpuE4ELNS1_3repE0EEENS1_30default_config_static_selectorELNS0_4arch9wavefront6targetE0EEEvSY_.has_indirect_call, 0
	.section	.AMDGPU.csdata,"",@progbits
; Kernel info:
; codeLenInByte = 0
; TotalNumSgprs: 0
; NumVgprs: 0
; ScratchSize: 0
; MemoryBound: 0
; FloatMode: 240
; IeeeMode: 1
; LDSByteSize: 0 bytes/workgroup (compile time only)
; SGPRBlocks: 0
; VGPRBlocks: 0
; NumSGPRsForWavesPerEU: 1
; NumVGPRsForWavesPerEU: 1
; NamedBarCnt: 0
; Occupancy: 16
; WaveLimiterHint : 0
; COMPUTE_PGM_RSRC2:SCRATCH_EN: 0
; COMPUTE_PGM_RSRC2:USER_SGPR: 2
; COMPUTE_PGM_RSRC2:TRAP_HANDLER: 0
; COMPUTE_PGM_RSRC2:TGID_X_EN: 1
; COMPUTE_PGM_RSRC2:TGID_Y_EN: 0
; COMPUTE_PGM_RSRC2:TGID_Z_EN: 0
; COMPUTE_PGM_RSRC2:TIDIG_COMP_CNT: 0
	.section	.text._ZN7rocprim17ROCPRIM_400000_NS6detail17trampoline_kernelINS0_13select_configILj256ELj13ELNS0_17block_load_methodE3ELS4_3ELS4_3ELNS0_20block_scan_algorithmE0ELj4294967295EEENS1_25partition_config_selectorILNS1_17partition_subalgoE3EjNS0_10empty_typeEbEEZZNS1_14partition_implILS8_3ELb0ES6_jNS0_17counting_iteratorIjlEEPS9_SE_NS0_5tupleIJPjSE_EEENSF_IJSE_SE_EEES9_SG_JZNS1_25segmented_radix_sort_implINS0_14default_configELb0EPKsPsPKlPlN2at6native12_GLOBAL__N_18offset_tEEE10hipError_tPvRmT1_PNSt15iterator_traitsISY_E10value_typeET2_T3_PNSZ_IS14_E10value_typeET4_jRbjT5_S1A_jjP12ihipStream_tbEUljE_EEESV_SW_SX_S14_S18_S1A_T6_T7_T9_mT8_S1C_bDpT10_ENKUlT_T0_E_clISt17integral_constantIbLb0EES1O_IbLb1EEEEDaS1K_S1L_EUlS1K_E_NS1_11comp_targetILNS1_3genE9ELNS1_11target_archE1100ELNS1_3gpuE3ELNS1_3repE0EEENS1_30default_config_static_selectorELNS0_4arch9wavefront6targetE0EEEvSY_,"axG",@progbits,_ZN7rocprim17ROCPRIM_400000_NS6detail17trampoline_kernelINS0_13select_configILj256ELj13ELNS0_17block_load_methodE3ELS4_3ELS4_3ELNS0_20block_scan_algorithmE0ELj4294967295EEENS1_25partition_config_selectorILNS1_17partition_subalgoE3EjNS0_10empty_typeEbEEZZNS1_14partition_implILS8_3ELb0ES6_jNS0_17counting_iteratorIjlEEPS9_SE_NS0_5tupleIJPjSE_EEENSF_IJSE_SE_EEES9_SG_JZNS1_25segmented_radix_sort_implINS0_14default_configELb0EPKsPsPKlPlN2at6native12_GLOBAL__N_18offset_tEEE10hipError_tPvRmT1_PNSt15iterator_traitsISY_E10value_typeET2_T3_PNSZ_IS14_E10value_typeET4_jRbjT5_S1A_jjP12ihipStream_tbEUljE_EEESV_SW_SX_S14_S18_S1A_T6_T7_T9_mT8_S1C_bDpT10_ENKUlT_T0_E_clISt17integral_constantIbLb0EES1O_IbLb1EEEEDaS1K_S1L_EUlS1K_E_NS1_11comp_targetILNS1_3genE9ELNS1_11target_archE1100ELNS1_3gpuE3ELNS1_3repE0EEENS1_30default_config_static_selectorELNS0_4arch9wavefront6targetE0EEEvSY_,comdat
	.globl	_ZN7rocprim17ROCPRIM_400000_NS6detail17trampoline_kernelINS0_13select_configILj256ELj13ELNS0_17block_load_methodE3ELS4_3ELS4_3ELNS0_20block_scan_algorithmE0ELj4294967295EEENS1_25partition_config_selectorILNS1_17partition_subalgoE3EjNS0_10empty_typeEbEEZZNS1_14partition_implILS8_3ELb0ES6_jNS0_17counting_iteratorIjlEEPS9_SE_NS0_5tupleIJPjSE_EEENSF_IJSE_SE_EEES9_SG_JZNS1_25segmented_radix_sort_implINS0_14default_configELb0EPKsPsPKlPlN2at6native12_GLOBAL__N_18offset_tEEE10hipError_tPvRmT1_PNSt15iterator_traitsISY_E10value_typeET2_T3_PNSZ_IS14_E10value_typeET4_jRbjT5_S1A_jjP12ihipStream_tbEUljE_EEESV_SW_SX_S14_S18_S1A_T6_T7_T9_mT8_S1C_bDpT10_ENKUlT_T0_E_clISt17integral_constantIbLb0EES1O_IbLb1EEEEDaS1K_S1L_EUlS1K_E_NS1_11comp_targetILNS1_3genE9ELNS1_11target_archE1100ELNS1_3gpuE3ELNS1_3repE0EEENS1_30default_config_static_selectorELNS0_4arch9wavefront6targetE0EEEvSY_ ; -- Begin function _ZN7rocprim17ROCPRIM_400000_NS6detail17trampoline_kernelINS0_13select_configILj256ELj13ELNS0_17block_load_methodE3ELS4_3ELS4_3ELNS0_20block_scan_algorithmE0ELj4294967295EEENS1_25partition_config_selectorILNS1_17partition_subalgoE3EjNS0_10empty_typeEbEEZZNS1_14partition_implILS8_3ELb0ES6_jNS0_17counting_iteratorIjlEEPS9_SE_NS0_5tupleIJPjSE_EEENSF_IJSE_SE_EEES9_SG_JZNS1_25segmented_radix_sort_implINS0_14default_configELb0EPKsPsPKlPlN2at6native12_GLOBAL__N_18offset_tEEE10hipError_tPvRmT1_PNSt15iterator_traitsISY_E10value_typeET2_T3_PNSZ_IS14_E10value_typeET4_jRbjT5_S1A_jjP12ihipStream_tbEUljE_EEESV_SW_SX_S14_S18_S1A_T6_T7_T9_mT8_S1C_bDpT10_ENKUlT_T0_E_clISt17integral_constantIbLb0EES1O_IbLb1EEEEDaS1K_S1L_EUlS1K_E_NS1_11comp_targetILNS1_3genE9ELNS1_11target_archE1100ELNS1_3gpuE3ELNS1_3repE0EEENS1_30default_config_static_selectorELNS0_4arch9wavefront6targetE0EEEvSY_
	.p2align	8
	.type	_ZN7rocprim17ROCPRIM_400000_NS6detail17trampoline_kernelINS0_13select_configILj256ELj13ELNS0_17block_load_methodE3ELS4_3ELS4_3ELNS0_20block_scan_algorithmE0ELj4294967295EEENS1_25partition_config_selectorILNS1_17partition_subalgoE3EjNS0_10empty_typeEbEEZZNS1_14partition_implILS8_3ELb0ES6_jNS0_17counting_iteratorIjlEEPS9_SE_NS0_5tupleIJPjSE_EEENSF_IJSE_SE_EEES9_SG_JZNS1_25segmented_radix_sort_implINS0_14default_configELb0EPKsPsPKlPlN2at6native12_GLOBAL__N_18offset_tEEE10hipError_tPvRmT1_PNSt15iterator_traitsISY_E10value_typeET2_T3_PNSZ_IS14_E10value_typeET4_jRbjT5_S1A_jjP12ihipStream_tbEUljE_EEESV_SW_SX_S14_S18_S1A_T6_T7_T9_mT8_S1C_bDpT10_ENKUlT_T0_E_clISt17integral_constantIbLb0EES1O_IbLb1EEEEDaS1K_S1L_EUlS1K_E_NS1_11comp_targetILNS1_3genE9ELNS1_11target_archE1100ELNS1_3gpuE3ELNS1_3repE0EEENS1_30default_config_static_selectorELNS0_4arch9wavefront6targetE0EEEvSY_,@function
_ZN7rocprim17ROCPRIM_400000_NS6detail17trampoline_kernelINS0_13select_configILj256ELj13ELNS0_17block_load_methodE3ELS4_3ELS4_3ELNS0_20block_scan_algorithmE0ELj4294967295EEENS1_25partition_config_selectorILNS1_17partition_subalgoE3EjNS0_10empty_typeEbEEZZNS1_14partition_implILS8_3ELb0ES6_jNS0_17counting_iteratorIjlEEPS9_SE_NS0_5tupleIJPjSE_EEENSF_IJSE_SE_EEES9_SG_JZNS1_25segmented_radix_sort_implINS0_14default_configELb0EPKsPsPKlPlN2at6native12_GLOBAL__N_18offset_tEEE10hipError_tPvRmT1_PNSt15iterator_traitsISY_E10value_typeET2_T3_PNSZ_IS14_E10value_typeET4_jRbjT5_S1A_jjP12ihipStream_tbEUljE_EEESV_SW_SX_S14_S18_S1A_T6_T7_T9_mT8_S1C_bDpT10_ENKUlT_T0_E_clISt17integral_constantIbLb0EES1O_IbLb1EEEEDaS1K_S1L_EUlS1K_E_NS1_11comp_targetILNS1_3genE9ELNS1_11target_archE1100ELNS1_3gpuE3ELNS1_3repE0EEENS1_30default_config_static_selectorELNS0_4arch9wavefront6targetE0EEEvSY_: ; @_ZN7rocprim17ROCPRIM_400000_NS6detail17trampoline_kernelINS0_13select_configILj256ELj13ELNS0_17block_load_methodE3ELS4_3ELS4_3ELNS0_20block_scan_algorithmE0ELj4294967295EEENS1_25partition_config_selectorILNS1_17partition_subalgoE3EjNS0_10empty_typeEbEEZZNS1_14partition_implILS8_3ELb0ES6_jNS0_17counting_iteratorIjlEEPS9_SE_NS0_5tupleIJPjSE_EEENSF_IJSE_SE_EEES9_SG_JZNS1_25segmented_radix_sort_implINS0_14default_configELb0EPKsPsPKlPlN2at6native12_GLOBAL__N_18offset_tEEE10hipError_tPvRmT1_PNSt15iterator_traitsISY_E10value_typeET2_T3_PNSZ_IS14_E10value_typeET4_jRbjT5_S1A_jjP12ihipStream_tbEUljE_EEESV_SW_SX_S14_S18_S1A_T6_T7_T9_mT8_S1C_bDpT10_ENKUlT_T0_E_clISt17integral_constantIbLb0EES1O_IbLb1EEEEDaS1K_S1L_EUlS1K_E_NS1_11comp_targetILNS1_3genE9ELNS1_11target_archE1100ELNS1_3gpuE3ELNS1_3repE0EEENS1_30default_config_static_selectorELNS0_4arch9wavefront6targetE0EEEvSY_
; %bb.0:
	.section	.rodata,"a",@progbits
	.p2align	6, 0x0
	.amdhsa_kernel _ZN7rocprim17ROCPRIM_400000_NS6detail17trampoline_kernelINS0_13select_configILj256ELj13ELNS0_17block_load_methodE3ELS4_3ELS4_3ELNS0_20block_scan_algorithmE0ELj4294967295EEENS1_25partition_config_selectorILNS1_17partition_subalgoE3EjNS0_10empty_typeEbEEZZNS1_14partition_implILS8_3ELb0ES6_jNS0_17counting_iteratorIjlEEPS9_SE_NS0_5tupleIJPjSE_EEENSF_IJSE_SE_EEES9_SG_JZNS1_25segmented_radix_sort_implINS0_14default_configELb0EPKsPsPKlPlN2at6native12_GLOBAL__N_18offset_tEEE10hipError_tPvRmT1_PNSt15iterator_traitsISY_E10value_typeET2_T3_PNSZ_IS14_E10value_typeET4_jRbjT5_S1A_jjP12ihipStream_tbEUljE_EEESV_SW_SX_S14_S18_S1A_T6_T7_T9_mT8_S1C_bDpT10_ENKUlT_T0_E_clISt17integral_constantIbLb0EES1O_IbLb1EEEEDaS1K_S1L_EUlS1K_E_NS1_11comp_targetILNS1_3genE9ELNS1_11target_archE1100ELNS1_3gpuE3ELNS1_3repE0EEENS1_30default_config_static_selectorELNS0_4arch9wavefront6targetE0EEEvSY_
		.amdhsa_group_segment_fixed_size 0
		.amdhsa_private_segment_fixed_size 0
		.amdhsa_kernarg_size 152
		.amdhsa_user_sgpr_count 2
		.amdhsa_user_sgpr_dispatch_ptr 0
		.amdhsa_user_sgpr_queue_ptr 0
		.amdhsa_user_sgpr_kernarg_segment_ptr 1
		.amdhsa_user_sgpr_dispatch_id 0
		.amdhsa_user_sgpr_kernarg_preload_length 0
		.amdhsa_user_sgpr_kernarg_preload_offset 0
		.amdhsa_user_sgpr_private_segment_size 0
		.amdhsa_wavefront_size32 1
		.amdhsa_uses_dynamic_stack 0
		.amdhsa_enable_private_segment 0
		.amdhsa_system_sgpr_workgroup_id_x 1
		.amdhsa_system_sgpr_workgroup_id_y 0
		.amdhsa_system_sgpr_workgroup_id_z 0
		.amdhsa_system_sgpr_workgroup_info 0
		.amdhsa_system_vgpr_workitem_id 0
		.amdhsa_next_free_vgpr 1
		.amdhsa_next_free_sgpr 1
		.amdhsa_named_barrier_count 0
		.amdhsa_reserve_vcc 0
		.amdhsa_float_round_mode_32 0
		.amdhsa_float_round_mode_16_64 0
		.amdhsa_float_denorm_mode_32 3
		.amdhsa_float_denorm_mode_16_64 3
		.amdhsa_fp16_overflow 0
		.amdhsa_memory_ordered 1
		.amdhsa_forward_progress 1
		.amdhsa_inst_pref_size 0
		.amdhsa_round_robin_scheduling 0
		.amdhsa_exception_fp_ieee_invalid_op 0
		.amdhsa_exception_fp_denorm_src 0
		.amdhsa_exception_fp_ieee_div_zero 0
		.amdhsa_exception_fp_ieee_overflow 0
		.amdhsa_exception_fp_ieee_underflow 0
		.amdhsa_exception_fp_ieee_inexact 0
		.amdhsa_exception_int_div_zero 0
	.end_amdhsa_kernel
	.section	.text._ZN7rocprim17ROCPRIM_400000_NS6detail17trampoline_kernelINS0_13select_configILj256ELj13ELNS0_17block_load_methodE3ELS4_3ELS4_3ELNS0_20block_scan_algorithmE0ELj4294967295EEENS1_25partition_config_selectorILNS1_17partition_subalgoE3EjNS0_10empty_typeEbEEZZNS1_14partition_implILS8_3ELb0ES6_jNS0_17counting_iteratorIjlEEPS9_SE_NS0_5tupleIJPjSE_EEENSF_IJSE_SE_EEES9_SG_JZNS1_25segmented_radix_sort_implINS0_14default_configELb0EPKsPsPKlPlN2at6native12_GLOBAL__N_18offset_tEEE10hipError_tPvRmT1_PNSt15iterator_traitsISY_E10value_typeET2_T3_PNSZ_IS14_E10value_typeET4_jRbjT5_S1A_jjP12ihipStream_tbEUljE_EEESV_SW_SX_S14_S18_S1A_T6_T7_T9_mT8_S1C_bDpT10_ENKUlT_T0_E_clISt17integral_constantIbLb0EES1O_IbLb1EEEEDaS1K_S1L_EUlS1K_E_NS1_11comp_targetILNS1_3genE9ELNS1_11target_archE1100ELNS1_3gpuE3ELNS1_3repE0EEENS1_30default_config_static_selectorELNS0_4arch9wavefront6targetE0EEEvSY_,"axG",@progbits,_ZN7rocprim17ROCPRIM_400000_NS6detail17trampoline_kernelINS0_13select_configILj256ELj13ELNS0_17block_load_methodE3ELS4_3ELS4_3ELNS0_20block_scan_algorithmE0ELj4294967295EEENS1_25partition_config_selectorILNS1_17partition_subalgoE3EjNS0_10empty_typeEbEEZZNS1_14partition_implILS8_3ELb0ES6_jNS0_17counting_iteratorIjlEEPS9_SE_NS0_5tupleIJPjSE_EEENSF_IJSE_SE_EEES9_SG_JZNS1_25segmented_radix_sort_implINS0_14default_configELb0EPKsPsPKlPlN2at6native12_GLOBAL__N_18offset_tEEE10hipError_tPvRmT1_PNSt15iterator_traitsISY_E10value_typeET2_T3_PNSZ_IS14_E10value_typeET4_jRbjT5_S1A_jjP12ihipStream_tbEUljE_EEESV_SW_SX_S14_S18_S1A_T6_T7_T9_mT8_S1C_bDpT10_ENKUlT_T0_E_clISt17integral_constantIbLb0EES1O_IbLb1EEEEDaS1K_S1L_EUlS1K_E_NS1_11comp_targetILNS1_3genE9ELNS1_11target_archE1100ELNS1_3gpuE3ELNS1_3repE0EEENS1_30default_config_static_selectorELNS0_4arch9wavefront6targetE0EEEvSY_,comdat
.Lfunc_end1007:
	.size	_ZN7rocprim17ROCPRIM_400000_NS6detail17trampoline_kernelINS0_13select_configILj256ELj13ELNS0_17block_load_methodE3ELS4_3ELS4_3ELNS0_20block_scan_algorithmE0ELj4294967295EEENS1_25partition_config_selectorILNS1_17partition_subalgoE3EjNS0_10empty_typeEbEEZZNS1_14partition_implILS8_3ELb0ES6_jNS0_17counting_iteratorIjlEEPS9_SE_NS0_5tupleIJPjSE_EEENSF_IJSE_SE_EEES9_SG_JZNS1_25segmented_radix_sort_implINS0_14default_configELb0EPKsPsPKlPlN2at6native12_GLOBAL__N_18offset_tEEE10hipError_tPvRmT1_PNSt15iterator_traitsISY_E10value_typeET2_T3_PNSZ_IS14_E10value_typeET4_jRbjT5_S1A_jjP12ihipStream_tbEUljE_EEESV_SW_SX_S14_S18_S1A_T6_T7_T9_mT8_S1C_bDpT10_ENKUlT_T0_E_clISt17integral_constantIbLb0EES1O_IbLb1EEEEDaS1K_S1L_EUlS1K_E_NS1_11comp_targetILNS1_3genE9ELNS1_11target_archE1100ELNS1_3gpuE3ELNS1_3repE0EEENS1_30default_config_static_selectorELNS0_4arch9wavefront6targetE0EEEvSY_, .Lfunc_end1007-_ZN7rocprim17ROCPRIM_400000_NS6detail17trampoline_kernelINS0_13select_configILj256ELj13ELNS0_17block_load_methodE3ELS4_3ELS4_3ELNS0_20block_scan_algorithmE0ELj4294967295EEENS1_25partition_config_selectorILNS1_17partition_subalgoE3EjNS0_10empty_typeEbEEZZNS1_14partition_implILS8_3ELb0ES6_jNS0_17counting_iteratorIjlEEPS9_SE_NS0_5tupleIJPjSE_EEENSF_IJSE_SE_EEES9_SG_JZNS1_25segmented_radix_sort_implINS0_14default_configELb0EPKsPsPKlPlN2at6native12_GLOBAL__N_18offset_tEEE10hipError_tPvRmT1_PNSt15iterator_traitsISY_E10value_typeET2_T3_PNSZ_IS14_E10value_typeET4_jRbjT5_S1A_jjP12ihipStream_tbEUljE_EEESV_SW_SX_S14_S18_S1A_T6_T7_T9_mT8_S1C_bDpT10_ENKUlT_T0_E_clISt17integral_constantIbLb0EES1O_IbLb1EEEEDaS1K_S1L_EUlS1K_E_NS1_11comp_targetILNS1_3genE9ELNS1_11target_archE1100ELNS1_3gpuE3ELNS1_3repE0EEENS1_30default_config_static_selectorELNS0_4arch9wavefront6targetE0EEEvSY_
                                        ; -- End function
	.set _ZN7rocprim17ROCPRIM_400000_NS6detail17trampoline_kernelINS0_13select_configILj256ELj13ELNS0_17block_load_methodE3ELS4_3ELS4_3ELNS0_20block_scan_algorithmE0ELj4294967295EEENS1_25partition_config_selectorILNS1_17partition_subalgoE3EjNS0_10empty_typeEbEEZZNS1_14partition_implILS8_3ELb0ES6_jNS0_17counting_iteratorIjlEEPS9_SE_NS0_5tupleIJPjSE_EEENSF_IJSE_SE_EEES9_SG_JZNS1_25segmented_radix_sort_implINS0_14default_configELb0EPKsPsPKlPlN2at6native12_GLOBAL__N_18offset_tEEE10hipError_tPvRmT1_PNSt15iterator_traitsISY_E10value_typeET2_T3_PNSZ_IS14_E10value_typeET4_jRbjT5_S1A_jjP12ihipStream_tbEUljE_EEESV_SW_SX_S14_S18_S1A_T6_T7_T9_mT8_S1C_bDpT10_ENKUlT_T0_E_clISt17integral_constantIbLb0EES1O_IbLb1EEEEDaS1K_S1L_EUlS1K_E_NS1_11comp_targetILNS1_3genE9ELNS1_11target_archE1100ELNS1_3gpuE3ELNS1_3repE0EEENS1_30default_config_static_selectorELNS0_4arch9wavefront6targetE0EEEvSY_.num_vgpr, 0
	.set _ZN7rocprim17ROCPRIM_400000_NS6detail17trampoline_kernelINS0_13select_configILj256ELj13ELNS0_17block_load_methodE3ELS4_3ELS4_3ELNS0_20block_scan_algorithmE0ELj4294967295EEENS1_25partition_config_selectorILNS1_17partition_subalgoE3EjNS0_10empty_typeEbEEZZNS1_14partition_implILS8_3ELb0ES6_jNS0_17counting_iteratorIjlEEPS9_SE_NS0_5tupleIJPjSE_EEENSF_IJSE_SE_EEES9_SG_JZNS1_25segmented_radix_sort_implINS0_14default_configELb0EPKsPsPKlPlN2at6native12_GLOBAL__N_18offset_tEEE10hipError_tPvRmT1_PNSt15iterator_traitsISY_E10value_typeET2_T3_PNSZ_IS14_E10value_typeET4_jRbjT5_S1A_jjP12ihipStream_tbEUljE_EEESV_SW_SX_S14_S18_S1A_T6_T7_T9_mT8_S1C_bDpT10_ENKUlT_T0_E_clISt17integral_constantIbLb0EES1O_IbLb1EEEEDaS1K_S1L_EUlS1K_E_NS1_11comp_targetILNS1_3genE9ELNS1_11target_archE1100ELNS1_3gpuE3ELNS1_3repE0EEENS1_30default_config_static_selectorELNS0_4arch9wavefront6targetE0EEEvSY_.num_agpr, 0
	.set _ZN7rocprim17ROCPRIM_400000_NS6detail17trampoline_kernelINS0_13select_configILj256ELj13ELNS0_17block_load_methodE3ELS4_3ELS4_3ELNS0_20block_scan_algorithmE0ELj4294967295EEENS1_25partition_config_selectorILNS1_17partition_subalgoE3EjNS0_10empty_typeEbEEZZNS1_14partition_implILS8_3ELb0ES6_jNS0_17counting_iteratorIjlEEPS9_SE_NS0_5tupleIJPjSE_EEENSF_IJSE_SE_EEES9_SG_JZNS1_25segmented_radix_sort_implINS0_14default_configELb0EPKsPsPKlPlN2at6native12_GLOBAL__N_18offset_tEEE10hipError_tPvRmT1_PNSt15iterator_traitsISY_E10value_typeET2_T3_PNSZ_IS14_E10value_typeET4_jRbjT5_S1A_jjP12ihipStream_tbEUljE_EEESV_SW_SX_S14_S18_S1A_T6_T7_T9_mT8_S1C_bDpT10_ENKUlT_T0_E_clISt17integral_constantIbLb0EES1O_IbLb1EEEEDaS1K_S1L_EUlS1K_E_NS1_11comp_targetILNS1_3genE9ELNS1_11target_archE1100ELNS1_3gpuE3ELNS1_3repE0EEENS1_30default_config_static_selectorELNS0_4arch9wavefront6targetE0EEEvSY_.numbered_sgpr, 0
	.set _ZN7rocprim17ROCPRIM_400000_NS6detail17trampoline_kernelINS0_13select_configILj256ELj13ELNS0_17block_load_methodE3ELS4_3ELS4_3ELNS0_20block_scan_algorithmE0ELj4294967295EEENS1_25partition_config_selectorILNS1_17partition_subalgoE3EjNS0_10empty_typeEbEEZZNS1_14partition_implILS8_3ELb0ES6_jNS0_17counting_iteratorIjlEEPS9_SE_NS0_5tupleIJPjSE_EEENSF_IJSE_SE_EEES9_SG_JZNS1_25segmented_radix_sort_implINS0_14default_configELb0EPKsPsPKlPlN2at6native12_GLOBAL__N_18offset_tEEE10hipError_tPvRmT1_PNSt15iterator_traitsISY_E10value_typeET2_T3_PNSZ_IS14_E10value_typeET4_jRbjT5_S1A_jjP12ihipStream_tbEUljE_EEESV_SW_SX_S14_S18_S1A_T6_T7_T9_mT8_S1C_bDpT10_ENKUlT_T0_E_clISt17integral_constantIbLb0EES1O_IbLb1EEEEDaS1K_S1L_EUlS1K_E_NS1_11comp_targetILNS1_3genE9ELNS1_11target_archE1100ELNS1_3gpuE3ELNS1_3repE0EEENS1_30default_config_static_selectorELNS0_4arch9wavefront6targetE0EEEvSY_.num_named_barrier, 0
	.set _ZN7rocprim17ROCPRIM_400000_NS6detail17trampoline_kernelINS0_13select_configILj256ELj13ELNS0_17block_load_methodE3ELS4_3ELS4_3ELNS0_20block_scan_algorithmE0ELj4294967295EEENS1_25partition_config_selectorILNS1_17partition_subalgoE3EjNS0_10empty_typeEbEEZZNS1_14partition_implILS8_3ELb0ES6_jNS0_17counting_iteratorIjlEEPS9_SE_NS0_5tupleIJPjSE_EEENSF_IJSE_SE_EEES9_SG_JZNS1_25segmented_radix_sort_implINS0_14default_configELb0EPKsPsPKlPlN2at6native12_GLOBAL__N_18offset_tEEE10hipError_tPvRmT1_PNSt15iterator_traitsISY_E10value_typeET2_T3_PNSZ_IS14_E10value_typeET4_jRbjT5_S1A_jjP12ihipStream_tbEUljE_EEESV_SW_SX_S14_S18_S1A_T6_T7_T9_mT8_S1C_bDpT10_ENKUlT_T0_E_clISt17integral_constantIbLb0EES1O_IbLb1EEEEDaS1K_S1L_EUlS1K_E_NS1_11comp_targetILNS1_3genE9ELNS1_11target_archE1100ELNS1_3gpuE3ELNS1_3repE0EEENS1_30default_config_static_selectorELNS0_4arch9wavefront6targetE0EEEvSY_.private_seg_size, 0
	.set _ZN7rocprim17ROCPRIM_400000_NS6detail17trampoline_kernelINS0_13select_configILj256ELj13ELNS0_17block_load_methodE3ELS4_3ELS4_3ELNS0_20block_scan_algorithmE0ELj4294967295EEENS1_25partition_config_selectorILNS1_17partition_subalgoE3EjNS0_10empty_typeEbEEZZNS1_14partition_implILS8_3ELb0ES6_jNS0_17counting_iteratorIjlEEPS9_SE_NS0_5tupleIJPjSE_EEENSF_IJSE_SE_EEES9_SG_JZNS1_25segmented_radix_sort_implINS0_14default_configELb0EPKsPsPKlPlN2at6native12_GLOBAL__N_18offset_tEEE10hipError_tPvRmT1_PNSt15iterator_traitsISY_E10value_typeET2_T3_PNSZ_IS14_E10value_typeET4_jRbjT5_S1A_jjP12ihipStream_tbEUljE_EEESV_SW_SX_S14_S18_S1A_T6_T7_T9_mT8_S1C_bDpT10_ENKUlT_T0_E_clISt17integral_constantIbLb0EES1O_IbLb1EEEEDaS1K_S1L_EUlS1K_E_NS1_11comp_targetILNS1_3genE9ELNS1_11target_archE1100ELNS1_3gpuE3ELNS1_3repE0EEENS1_30default_config_static_selectorELNS0_4arch9wavefront6targetE0EEEvSY_.uses_vcc, 0
	.set _ZN7rocprim17ROCPRIM_400000_NS6detail17trampoline_kernelINS0_13select_configILj256ELj13ELNS0_17block_load_methodE3ELS4_3ELS4_3ELNS0_20block_scan_algorithmE0ELj4294967295EEENS1_25partition_config_selectorILNS1_17partition_subalgoE3EjNS0_10empty_typeEbEEZZNS1_14partition_implILS8_3ELb0ES6_jNS0_17counting_iteratorIjlEEPS9_SE_NS0_5tupleIJPjSE_EEENSF_IJSE_SE_EEES9_SG_JZNS1_25segmented_radix_sort_implINS0_14default_configELb0EPKsPsPKlPlN2at6native12_GLOBAL__N_18offset_tEEE10hipError_tPvRmT1_PNSt15iterator_traitsISY_E10value_typeET2_T3_PNSZ_IS14_E10value_typeET4_jRbjT5_S1A_jjP12ihipStream_tbEUljE_EEESV_SW_SX_S14_S18_S1A_T6_T7_T9_mT8_S1C_bDpT10_ENKUlT_T0_E_clISt17integral_constantIbLb0EES1O_IbLb1EEEEDaS1K_S1L_EUlS1K_E_NS1_11comp_targetILNS1_3genE9ELNS1_11target_archE1100ELNS1_3gpuE3ELNS1_3repE0EEENS1_30default_config_static_selectorELNS0_4arch9wavefront6targetE0EEEvSY_.uses_flat_scratch, 0
	.set _ZN7rocprim17ROCPRIM_400000_NS6detail17trampoline_kernelINS0_13select_configILj256ELj13ELNS0_17block_load_methodE3ELS4_3ELS4_3ELNS0_20block_scan_algorithmE0ELj4294967295EEENS1_25partition_config_selectorILNS1_17partition_subalgoE3EjNS0_10empty_typeEbEEZZNS1_14partition_implILS8_3ELb0ES6_jNS0_17counting_iteratorIjlEEPS9_SE_NS0_5tupleIJPjSE_EEENSF_IJSE_SE_EEES9_SG_JZNS1_25segmented_radix_sort_implINS0_14default_configELb0EPKsPsPKlPlN2at6native12_GLOBAL__N_18offset_tEEE10hipError_tPvRmT1_PNSt15iterator_traitsISY_E10value_typeET2_T3_PNSZ_IS14_E10value_typeET4_jRbjT5_S1A_jjP12ihipStream_tbEUljE_EEESV_SW_SX_S14_S18_S1A_T6_T7_T9_mT8_S1C_bDpT10_ENKUlT_T0_E_clISt17integral_constantIbLb0EES1O_IbLb1EEEEDaS1K_S1L_EUlS1K_E_NS1_11comp_targetILNS1_3genE9ELNS1_11target_archE1100ELNS1_3gpuE3ELNS1_3repE0EEENS1_30default_config_static_selectorELNS0_4arch9wavefront6targetE0EEEvSY_.has_dyn_sized_stack, 0
	.set _ZN7rocprim17ROCPRIM_400000_NS6detail17trampoline_kernelINS0_13select_configILj256ELj13ELNS0_17block_load_methodE3ELS4_3ELS4_3ELNS0_20block_scan_algorithmE0ELj4294967295EEENS1_25partition_config_selectorILNS1_17partition_subalgoE3EjNS0_10empty_typeEbEEZZNS1_14partition_implILS8_3ELb0ES6_jNS0_17counting_iteratorIjlEEPS9_SE_NS0_5tupleIJPjSE_EEENSF_IJSE_SE_EEES9_SG_JZNS1_25segmented_radix_sort_implINS0_14default_configELb0EPKsPsPKlPlN2at6native12_GLOBAL__N_18offset_tEEE10hipError_tPvRmT1_PNSt15iterator_traitsISY_E10value_typeET2_T3_PNSZ_IS14_E10value_typeET4_jRbjT5_S1A_jjP12ihipStream_tbEUljE_EEESV_SW_SX_S14_S18_S1A_T6_T7_T9_mT8_S1C_bDpT10_ENKUlT_T0_E_clISt17integral_constantIbLb0EES1O_IbLb1EEEEDaS1K_S1L_EUlS1K_E_NS1_11comp_targetILNS1_3genE9ELNS1_11target_archE1100ELNS1_3gpuE3ELNS1_3repE0EEENS1_30default_config_static_selectorELNS0_4arch9wavefront6targetE0EEEvSY_.has_recursion, 0
	.set _ZN7rocprim17ROCPRIM_400000_NS6detail17trampoline_kernelINS0_13select_configILj256ELj13ELNS0_17block_load_methodE3ELS4_3ELS4_3ELNS0_20block_scan_algorithmE0ELj4294967295EEENS1_25partition_config_selectorILNS1_17partition_subalgoE3EjNS0_10empty_typeEbEEZZNS1_14partition_implILS8_3ELb0ES6_jNS0_17counting_iteratorIjlEEPS9_SE_NS0_5tupleIJPjSE_EEENSF_IJSE_SE_EEES9_SG_JZNS1_25segmented_radix_sort_implINS0_14default_configELb0EPKsPsPKlPlN2at6native12_GLOBAL__N_18offset_tEEE10hipError_tPvRmT1_PNSt15iterator_traitsISY_E10value_typeET2_T3_PNSZ_IS14_E10value_typeET4_jRbjT5_S1A_jjP12ihipStream_tbEUljE_EEESV_SW_SX_S14_S18_S1A_T6_T7_T9_mT8_S1C_bDpT10_ENKUlT_T0_E_clISt17integral_constantIbLb0EES1O_IbLb1EEEEDaS1K_S1L_EUlS1K_E_NS1_11comp_targetILNS1_3genE9ELNS1_11target_archE1100ELNS1_3gpuE3ELNS1_3repE0EEENS1_30default_config_static_selectorELNS0_4arch9wavefront6targetE0EEEvSY_.has_indirect_call, 0
	.section	.AMDGPU.csdata,"",@progbits
; Kernel info:
; codeLenInByte = 0
; TotalNumSgprs: 0
; NumVgprs: 0
; ScratchSize: 0
; MemoryBound: 0
; FloatMode: 240
; IeeeMode: 1
; LDSByteSize: 0 bytes/workgroup (compile time only)
; SGPRBlocks: 0
; VGPRBlocks: 0
; NumSGPRsForWavesPerEU: 1
; NumVGPRsForWavesPerEU: 1
; NamedBarCnt: 0
; Occupancy: 16
; WaveLimiterHint : 0
; COMPUTE_PGM_RSRC2:SCRATCH_EN: 0
; COMPUTE_PGM_RSRC2:USER_SGPR: 2
; COMPUTE_PGM_RSRC2:TRAP_HANDLER: 0
; COMPUTE_PGM_RSRC2:TGID_X_EN: 1
; COMPUTE_PGM_RSRC2:TGID_Y_EN: 0
; COMPUTE_PGM_RSRC2:TGID_Z_EN: 0
; COMPUTE_PGM_RSRC2:TIDIG_COMP_CNT: 0
	.section	.text._ZN7rocprim17ROCPRIM_400000_NS6detail17trampoline_kernelINS0_13select_configILj256ELj13ELNS0_17block_load_methodE3ELS4_3ELS4_3ELNS0_20block_scan_algorithmE0ELj4294967295EEENS1_25partition_config_selectorILNS1_17partition_subalgoE3EjNS0_10empty_typeEbEEZZNS1_14partition_implILS8_3ELb0ES6_jNS0_17counting_iteratorIjlEEPS9_SE_NS0_5tupleIJPjSE_EEENSF_IJSE_SE_EEES9_SG_JZNS1_25segmented_radix_sort_implINS0_14default_configELb0EPKsPsPKlPlN2at6native12_GLOBAL__N_18offset_tEEE10hipError_tPvRmT1_PNSt15iterator_traitsISY_E10value_typeET2_T3_PNSZ_IS14_E10value_typeET4_jRbjT5_S1A_jjP12ihipStream_tbEUljE_EEESV_SW_SX_S14_S18_S1A_T6_T7_T9_mT8_S1C_bDpT10_ENKUlT_T0_E_clISt17integral_constantIbLb0EES1O_IbLb1EEEEDaS1K_S1L_EUlS1K_E_NS1_11comp_targetILNS1_3genE8ELNS1_11target_archE1030ELNS1_3gpuE2ELNS1_3repE0EEENS1_30default_config_static_selectorELNS0_4arch9wavefront6targetE0EEEvSY_,"axG",@progbits,_ZN7rocprim17ROCPRIM_400000_NS6detail17trampoline_kernelINS0_13select_configILj256ELj13ELNS0_17block_load_methodE3ELS4_3ELS4_3ELNS0_20block_scan_algorithmE0ELj4294967295EEENS1_25partition_config_selectorILNS1_17partition_subalgoE3EjNS0_10empty_typeEbEEZZNS1_14partition_implILS8_3ELb0ES6_jNS0_17counting_iteratorIjlEEPS9_SE_NS0_5tupleIJPjSE_EEENSF_IJSE_SE_EEES9_SG_JZNS1_25segmented_radix_sort_implINS0_14default_configELb0EPKsPsPKlPlN2at6native12_GLOBAL__N_18offset_tEEE10hipError_tPvRmT1_PNSt15iterator_traitsISY_E10value_typeET2_T3_PNSZ_IS14_E10value_typeET4_jRbjT5_S1A_jjP12ihipStream_tbEUljE_EEESV_SW_SX_S14_S18_S1A_T6_T7_T9_mT8_S1C_bDpT10_ENKUlT_T0_E_clISt17integral_constantIbLb0EES1O_IbLb1EEEEDaS1K_S1L_EUlS1K_E_NS1_11comp_targetILNS1_3genE8ELNS1_11target_archE1030ELNS1_3gpuE2ELNS1_3repE0EEENS1_30default_config_static_selectorELNS0_4arch9wavefront6targetE0EEEvSY_,comdat
	.globl	_ZN7rocprim17ROCPRIM_400000_NS6detail17trampoline_kernelINS0_13select_configILj256ELj13ELNS0_17block_load_methodE3ELS4_3ELS4_3ELNS0_20block_scan_algorithmE0ELj4294967295EEENS1_25partition_config_selectorILNS1_17partition_subalgoE3EjNS0_10empty_typeEbEEZZNS1_14partition_implILS8_3ELb0ES6_jNS0_17counting_iteratorIjlEEPS9_SE_NS0_5tupleIJPjSE_EEENSF_IJSE_SE_EEES9_SG_JZNS1_25segmented_radix_sort_implINS0_14default_configELb0EPKsPsPKlPlN2at6native12_GLOBAL__N_18offset_tEEE10hipError_tPvRmT1_PNSt15iterator_traitsISY_E10value_typeET2_T3_PNSZ_IS14_E10value_typeET4_jRbjT5_S1A_jjP12ihipStream_tbEUljE_EEESV_SW_SX_S14_S18_S1A_T6_T7_T9_mT8_S1C_bDpT10_ENKUlT_T0_E_clISt17integral_constantIbLb0EES1O_IbLb1EEEEDaS1K_S1L_EUlS1K_E_NS1_11comp_targetILNS1_3genE8ELNS1_11target_archE1030ELNS1_3gpuE2ELNS1_3repE0EEENS1_30default_config_static_selectorELNS0_4arch9wavefront6targetE0EEEvSY_ ; -- Begin function _ZN7rocprim17ROCPRIM_400000_NS6detail17trampoline_kernelINS0_13select_configILj256ELj13ELNS0_17block_load_methodE3ELS4_3ELS4_3ELNS0_20block_scan_algorithmE0ELj4294967295EEENS1_25partition_config_selectorILNS1_17partition_subalgoE3EjNS0_10empty_typeEbEEZZNS1_14partition_implILS8_3ELb0ES6_jNS0_17counting_iteratorIjlEEPS9_SE_NS0_5tupleIJPjSE_EEENSF_IJSE_SE_EEES9_SG_JZNS1_25segmented_radix_sort_implINS0_14default_configELb0EPKsPsPKlPlN2at6native12_GLOBAL__N_18offset_tEEE10hipError_tPvRmT1_PNSt15iterator_traitsISY_E10value_typeET2_T3_PNSZ_IS14_E10value_typeET4_jRbjT5_S1A_jjP12ihipStream_tbEUljE_EEESV_SW_SX_S14_S18_S1A_T6_T7_T9_mT8_S1C_bDpT10_ENKUlT_T0_E_clISt17integral_constantIbLb0EES1O_IbLb1EEEEDaS1K_S1L_EUlS1K_E_NS1_11comp_targetILNS1_3genE8ELNS1_11target_archE1030ELNS1_3gpuE2ELNS1_3repE0EEENS1_30default_config_static_selectorELNS0_4arch9wavefront6targetE0EEEvSY_
	.p2align	8
	.type	_ZN7rocprim17ROCPRIM_400000_NS6detail17trampoline_kernelINS0_13select_configILj256ELj13ELNS0_17block_load_methodE3ELS4_3ELS4_3ELNS0_20block_scan_algorithmE0ELj4294967295EEENS1_25partition_config_selectorILNS1_17partition_subalgoE3EjNS0_10empty_typeEbEEZZNS1_14partition_implILS8_3ELb0ES6_jNS0_17counting_iteratorIjlEEPS9_SE_NS0_5tupleIJPjSE_EEENSF_IJSE_SE_EEES9_SG_JZNS1_25segmented_radix_sort_implINS0_14default_configELb0EPKsPsPKlPlN2at6native12_GLOBAL__N_18offset_tEEE10hipError_tPvRmT1_PNSt15iterator_traitsISY_E10value_typeET2_T3_PNSZ_IS14_E10value_typeET4_jRbjT5_S1A_jjP12ihipStream_tbEUljE_EEESV_SW_SX_S14_S18_S1A_T6_T7_T9_mT8_S1C_bDpT10_ENKUlT_T0_E_clISt17integral_constantIbLb0EES1O_IbLb1EEEEDaS1K_S1L_EUlS1K_E_NS1_11comp_targetILNS1_3genE8ELNS1_11target_archE1030ELNS1_3gpuE2ELNS1_3repE0EEENS1_30default_config_static_selectorELNS0_4arch9wavefront6targetE0EEEvSY_,@function
_ZN7rocprim17ROCPRIM_400000_NS6detail17trampoline_kernelINS0_13select_configILj256ELj13ELNS0_17block_load_methodE3ELS4_3ELS4_3ELNS0_20block_scan_algorithmE0ELj4294967295EEENS1_25partition_config_selectorILNS1_17partition_subalgoE3EjNS0_10empty_typeEbEEZZNS1_14partition_implILS8_3ELb0ES6_jNS0_17counting_iteratorIjlEEPS9_SE_NS0_5tupleIJPjSE_EEENSF_IJSE_SE_EEES9_SG_JZNS1_25segmented_radix_sort_implINS0_14default_configELb0EPKsPsPKlPlN2at6native12_GLOBAL__N_18offset_tEEE10hipError_tPvRmT1_PNSt15iterator_traitsISY_E10value_typeET2_T3_PNSZ_IS14_E10value_typeET4_jRbjT5_S1A_jjP12ihipStream_tbEUljE_EEESV_SW_SX_S14_S18_S1A_T6_T7_T9_mT8_S1C_bDpT10_ENKUlT_T0_E_clISt17integral_constantIbLb0EES1O_IbLb1EEEEDaS1K_S1L_EUlS1K_E_NS1_11comp_targetILNS1_3genE8ELNS1_11target_archE1030ELNS1_3gpuE2ELNS1_3repE0EEENS1_30default_config_static_selectorELNS0_4arch9wavefront6targetE0EEEvSY_: ; @_ZN7rocprim17ROCPRIM_400000_NS6detail17trampoline_kernelINS0_13select_configILj256ELj13ELNS0_17block_load_methodE3ELS4_3ELS4_3ELNS0_20block_scan_algorithmE0ELj4294967295EEENS1_25partition_config_selectorILNS1_17partition_subalgoE3EjNS0_10empty_typeEbEEZZNS1_14partition_implILS8_3ELb0ES6_jNS0_17counting_iteratorIjlEEPS9_SE_NS0_5tupleIJPjSE_EEENSF_IJSE_SE_EEES9_SG_JZNS1_25segmented_radix_sort_implINS0_14default_configELb0EPKsPsPKlPlN2at6native12_GLOBAL__N_18offset_tEEE10hipError_tPvRmT1_PNSt15iterator_traitsISY_E10value_typeET2_T3_PNSZ_IS14_E10value_typeET4_jRbjT5_S1A_jjP12ihipStream_tbEUljE_EEESV_SW_SX_S14_S18_S1A_T6_T7_T9_mT8_S1C_bDpT10_ENKUlT_T0_E_clISt17integral_constantIbLb0EES1O_IbLb1EEEEDaS1K_S1L_EUlS1K_E_NS1_11comp_targetILNS1_3genE8ELNS1_11target_archE1030ELNS1_3gpuE2ELNS1_3repE0EEENS1_30default_config_static_selectorELNS0_4arch9wavefront6targetE0EEEvSY_
; %bb.0:
	.section	.rodata,"a",@progbits
	.p2align	6, 0x0
	.amdhsa_kernel _ZN7rocprim17ROCPRIM_400000_NS6detail17trampoline_kernelINS0_13select_configILj256ELj13ELNS0_17block_load_methodE3ELS4_3ELS4_3ELNS0_20block_scan_algorithmE0ELj4294967295EEENS1_25partition_config_selectorILNS1_17partition_subalgoE3EjNS0_10empty_typeEbEEZZNS1_14partition_implILS8_3ELb0ES6_jNS0_17counting_iteratorIjlEEPS9_SE_NS0_5tupleIJPjSE_EEENSF_IJSE_SE_EEES9_SG_JZNS1_25segmented_radix_sort_implINS0_14default_configELb0EPKsPsPKlPlN2at6native12_GLOBAL__N_18offset_tEEE10hipError_tPvRmT1_PNSt15iterator_traitsISY_E10value_typeET2_T3_PNSZ_IS14_E10value_typeET4_jRbjT5_S1A_jjP12ihipStream_tbEUljE_EEESV_SW_SX_S14_S18_S1A_T6_T7_T9_mT8_S1C_bDpT10_ENKUlT_T0_E_clISt17integral_constantIbLb0EES1O_IbLb1EEEEDaS1K_S1L_EUlS1K_E_NS1_11comp_targetILNS1_3genE8ELNS1_11target_archE1030ELNS1_3gpuE2ELNS1_3repE0EEENS1_30default_config_static_selectorELNS0_4arch9wavefront6targetE0EEEvSY_
		.amdhsa_group_segment_fixed_size 0
		.amdhsa_private_segment_fixed_size 0
		.amdhsa_kernarg_size 152
		.amdhsa_user_sgpr_count 2
		.amdhsa_user_sgpr_dispatch_ptr 0
		.amdhsa_user_sgpr_queue_ptr 0
		.amdhsa_user_sgpr_kernarg_segment_ptr 1
		.amdhsa_user_sgpr_dispatch_id 0
		.amdhsa_user_sgpr_kernarg_preload_length 0
		.amdhsa_user_sgpr_kernarg_preload_offset 0
		.amdhsa_user_sgpr_private_segment_size 0
		.amdhsa_wavefront_size32 1
		.amdhsa_uses_dynamic_stack 0
		.amdhsa_enable_private_segment 0
		.amdhsa_system_sgpr_workgroup_id_x 1
		.amdhsa_system_sgpr_workgroup_id_y 0
		.amdhsa_system_sgpr_workgroup_id_z 0
		.amdhsa_system_sgpr_workgroup_info 0
		.amdhsa_system_vgpr_workitem_id 0
		.amdhsa_next_free_vgpr 1
		.amdhsa_next_free_sgpr 1
		.amdhsa_named_barrier_count 0
		.amdhsa_reserve_vcc 0
		.amdhsa_float_round_mode_32 0
		.amdhsa_float_round_mode_16_64 0
		.amdhsa_float_denorm_mode_32 3
		.amdhsa_float_denorm_mode_16_64 3
		.amdhsa_fp16_overflow 0
		.amdhsa_memory_ordered 1
		.amdhsa_forward_progress 1
		.amdhsa_inst_pref_size 0
		.amdhsa_round_robin_scheduling 0
		.amdhsa_exception_fp_ieee_invalid_op 0
		.amdhsa_exception_fp_denorm_src 0
		.amdhsa_exception_fp_ieee_div_zero 0
		.amdhsa_exception_fp_ieee_overflow 0
		.amdhsa_exception_fp_ieee_underflow 0
		.amdhsa_exception_fp_ieee_inexact 0
		.amdhsa_exception_int_div_zero 0
	.end_amdhsa_kernel
	.section	.text._ZN7rocprim17ROCPRIM_400000_NS6detail17trampoline_kernelINS0_13select_configILj256ELj13ELNS0_17block_load_methodE3ELS4_3ELS4_3ELNS0_20block_scan_algorithmE0ELj4294967295EEENS1_25partition_config_selectorILNS1_17partition_subalgoE3EjNS0_10empty_typeEbEEZZNS1_14partition_implILS8_3ELb0ES6_jNS0_17counting_iteratorIjlEEPS9_SE_NS0_5tupleIJPjSE_EEENSF_IJSE_SE_EEES9_SG_JZNS1_25segmented_radix_sort_implINS0_14default_configELb0EPKsPsPKlPlN2at6native12_GLOBAL__N_18offset_tEEE10hipError_tPvRmT1_PNSt15iterator_traitsISY_E10value_typeET2_T3_PNSZ_IS14_E10value_typeET4_jRbjT5_S1A_jjP12ihipStream_tbEUljE_EEESV_SW_SX_S14_S18_S1A_T6_T7_T9_mT8_S1C_bDpT10_ENKUlT_T0_E_clISt17integral_constantIbLb0EES1O_IbLb1EEEEDaS1K_S1L_EUlS1K_E_NS1_11comp_targetILNS1_3genE8ELNS1_11target_archE1030ELNS1_3gpuE2ELNS1_3repE0EEENS1_30default_config_static_selectorELNS0_4arch9wavefront6targetE0EEEvSY_,"axG",@progbits,_ZN7rocprim17ROCPRIM_400000_NS6detail17trampoline_kernelINS0_13select_configILj256ELj13ELNS0_17block_load_methodE3ELS4_3ELS4_3ELNS0_20block_scan_algorithmE0ELj4294967295EEENS1_25partition_config_selectorILNS1_17partition_subalgoE3EjNS0_10empty_typeEbEEZZNS1_14partition_implILS8_3ELb0ES6_jNS0_17counting_iteratorIjlEEPS9_SE_NS0_5tupleIJPjSE_EEENSF_IJSE_SE_EEES9_SG_JZNS1_25segmented_radix_sort_implINS0_14default_configELb0EPKsPsPKlPlN2at6native12_GLOBAL__N_18offset_tEEE10hipError_tPvRmT1_PNSt15iterator_traitsISY_E10value_typeET2_T3_PNSZ_IS14_E10value_typeET4_jRbjT5_S1A_jjP12ihipStream_tbEUljE_EEESV_SW_SX_S14_S18_S1A_T6_T7_T9_mT8_S1C_bDpT10_ENKUlT_T0_E_clISt17integral_constantIbLb0EES1O_IbLb1EEEEDaS1K_S1L_EUlS1K_E_NS1_11comp_targetILNS1_3genE8ELNS1_11target_archE1030ELNS1_3gpuE2ELNS1_3repE0EEENS1_30default_config_static_selectorELNS0_4arch9wavefront6targetE0EEEvSY_,comdat
.Lfunc_end1008:
	.size	_ZN7rocprim17ROCPRIM_400000_NS6detail17trampoline_kernelINS0_13select_configILj256ELj13ELNS0_17block_load_methodE3ELS4_3ELS4_3ELNS0_20block_scan_algorithmE0ELj4294967295EEENS1_25partition_config_selectorILNS1_17partition_subalgoE3EjNS0_10empty_typeEbEEZZNS1_14partition_implILS8_3ELb0ES6_jNS0_17counting_iteratorIjlEEPS9_SE_NS0_5tupleIJPjSE_EEENSF_IJSE_SE_EEES9_SG_JZNS1_25segmented_radix_sort_implINS0_14default_configELb0EPKsPsPKlPlN2at6native12_GLOBAL__N_18offset_tEEE10hipError_tPvRmT1_PNSt15iterator_traitsISY_E10value_typeET2_T3_PNSZ_IS14_E10value_typeET4_jRbjT5_S1A_jjP12ihipStream_tbEUljE_EEESV_SW_SX_S14_S18_S1A_T6_T7_T9_mT8_S1C_bDpT10_ENKUlT_T0_E_clISt17integral_constantIbLb0EES1O_IbLb1EEEEDaS1K_S1L_EUlS1K_E_NS1_11comp_targetILNS1_3genE8ELNS1_11target_archE1030ELNS1_3gpuE2ELNS1_3repE0EEENS1_30default_config_static_selectorELNS0_4arch9wavefront6targetE0EEEvSY_, .Lfunc_end1008-_ZN7rocprim17ROCPRIM_400000_NS6detail17trampoline_kernelINS0_13select_configILj256ELj13ELNS0_17block_load_methodE3ELS4_3ELS4_3ELNS0_20block_scan_algorithmE0ELj4294967295EEENS1_25partition_config_selectorILNS1_17partition_subalgoE3EjNS0_10empty_typeEbEEZZNS1_14partition_implILS8_3ELb0ES6_jNS0_17counting_iteratorIjlEEPS9_SE_NS0_5tupleIJPjSE_EEENSF_IJSE_SE_EEES9_SG_JZNS1_25segmented_radix_sort_implINS0_14default_configELb0EPKsPsPKlPlN2at6native12_GLOBAL__N_18offset_tEEE10hipError_tPvRmT1_PNSt15iterator_traitsISY_E10value_typeET2_T3_PNSZ_IS14_E10value_typeET4_jRbjT5_S1A_jjP12ihipStream_tbEUljE_EEESV_SW_SX_S14_S18_S1A_T6_T7_T9_mT8_S1C_bDpT10_ENKUlT_T0_E_clISt17integral_constantIbLb0EES1O_IbLb1EEEEDaS1K_S1L_EUlS1K_E_NS1_11comp_targetILNS1_3genE8ELNS1_11target_archE1030ELNS1_3gpuE2ELNS1_3repE0EEENS1_30default_config_static_selectorELNS0_4arch9wavefront6targetE0EEEvSY_
                                        ; -- End function
	.set _ZN7rocprim17ROCPRIM_400000_NS6detail17trampoline_kernelINS0_13select_configILj256ELj13ELNS0_17block_load_methodE3ELS4_3ELS4_3ELNS0_20block_scan_algorithmE0ELj4294967295EEENS1_25partition_config_selectorILNS1_17partition_subalgoE3EjNS0_10empty_typeEbEEZZNS1_14partition_implILS8_3ELb0ES6_jNS0_17counting_iteratorIjlEEPS9_SE_NS0_5tupleIJPjSE_EEENSF_IJSE_SE_EEES9_SG_JZNS1_25segmented_radix_sort_implINS0_14default_configELb0EPKsPsPKlPlN2at6native12_GLOBAL__N_18offset_tEEE10hipError_tPvRmT1_PNSt15iterator_traitsISY_E10value_typeET2_T3_PNSZ_IS14_E10value_typeET4_jRbjT5_S1A_jjP12ihipStream_tbEUljE_EEESV_SW_SX_S14_S18_S1A_T6_T7_T9_mT8_S1C_bDpT10_ENKUlT_T0_E_clISt17integral_constantIbLb0EES1O_IbLb1EEEEDaS1K_S1L_EUlS1K_E_NS1_11comp_targetILNS1_3genE8ELNS1_11target_archE1030ELNS1_3gpuE2ELNS1_3repE0EEENS1_30default_config_static_selectorELNS0_4arch9wavefront6targetE0EEEvSY_.num_vgpr, 0
	.set _ZN7rocprim17ROCPRIM_400000_NS6detail17trampoline_kernelINS0_13select_configILj256ELj13ELNS0_17block_load_methodE3ELS4_3ELS4_3ELNS0_20block_scan_algorithmE0ELj4294967295EEENS1_25partition_config_selectorILNS1_17partition_subalgoE3EjNS0_10empty_typeEbEEZZNS1_14partition_implILS8_3ELb0ES6_jNS0_17counting_iteratorIjlEEPS9_SE_NS0_5tupleIJPjSE_EEENSF_IJSE_SE_EEES9_SG_JZNS1_25segmented_radix_sort_implINS0_14default_configELb0EPKsPsPKlPlN2at6native12_GLOBAL__N_18offset_tEEE10hipError_tPvRmT1_PNSt15iterator_traitsISY_E10value_typeET2_T3_PNSZ_IS14_E10value_typeET4_jRbjT5_S1A_jjP12ihipStream_tbEUljE_EEESV_SW_SX_S14_S18_S1A_T6_T7_T9_mT8_S1C_bDpT10_ENKUlT_T0_E_clISt17integral_constantIbLb0EES1O_IbLb1EEEEDaS1K_S1L_EUlS1K_E_NS1_11comp_targetILNS1_3genE8ELNS1_11target_archE1030ELNS1_3gpuE2ELNS1_3repE0EEENS1_30default_config_static_selectorELNS0_4arch9wavefront6targetE0EEEvSY_.num_agpr, 0
	.set _ZN7rocprim17ROCPRIM_400000_NS6detail17trampoline_kernelINS0_13select_configILj256ELj13ELNS0_17block_load_methodE3ELS4_3ELS4_3ELNS0_20block_scan_algorithmE0ELj4294967295EEENS1_25partition_config_selectorILNS1_17partition_subalgoE3EjNS0_10empty_typeEbEEZZNS1_14partition_implILS8_3ELb0ES6_jNS0_17counting_iteratorIjlEEPS9_SE_NS0_5tupleIJPjSE_EEENSF_IJSE_SE_EEES9_SG_JZNS1_25segmented_radix_sort_implINS0_14default_configELb0EPKsPsPKlPlN2at6native12_GLOBAL__N_18offset_tEEE10hipError_tPvRmT1_PNSt15iterator_traitsISY_E10value_typeET2_T3_PNSZ_IS14_E10value_typeET4_jRbjT5_S1A_jjP12ihipStream_tbEUljE_EEESV_SW_SX_S14_S18_S1A_T6_T7_T9_mT8_S1C_bDpT10_ENKUlT_T0_E_clISt17integral_constantIbLb0EES1O_IbLb1EEEEDaS1K_S1L_EUlS1K_E_NS1_11comp_targetILNS1_3genE8ELNS1_11target_archE1030ELNS1_3gpuE2ELNS1_3repE0EEENS1_30default_config_static_selectorELNS0_4arch9wavefront6targetE0EEEvSY_.numbered_sgpr, 0
	.set _ZN7rocprim17ROCPRIM_400000_NS6detail17trampoline_kernelINS0_13select_configILj256ELj13ELNS0_17block_load_methodE3ELS4_3ELS4_3ELNS0_20block_scan_algorithmE0ELj4294967295EEENS1_25partition_config_selectorILNS1_17partition_subalgoE3EjNS0_10empty_typeEbEEZZNS1_14partition_implILS8_3ELb0ES6_jNS0_17counting_iteratorIjlEEPS9_SE_NS0_5tupleIJPjSE_EEENSF_IJSE_SE_EEES9_SG_JZNS1_25segmented_radix_sort_implINS0_14default_configELb0EPKsPsPKlPlN2at6native12_GLOBAL__N_18offset_tEEE10hipError_tPvRmT1_PNSt15iterator_traitsISY_E10value_typeET2_T3_PNSZ_IS14_E10value_typeET4_jRbjT5_S1A_jjP12ihipStream_tbEUljE_EEESV_SW_SX_S14_S18_S1A_T6_T7_T9_mT8_S1C_bDpT10_ENKUlT_T0_E_clISt17integral_constantIbLb0EES1O_IbLb1EEEEDaS1K_S1L_EUlS1K_E_NS1_11comp_targetILNS1_3genE8ELNS1_11target_archE1030ELNS1_3gpuE2ELNS1_3repE0EEENS1_30default_config_static_selectorELNS0_4arch9wavefront6targetE0EEEvSY_.num_named_barrier, 0
	.set _ZN7rocprim17ROCPRIM_400000_NS6detail17trampoline_kernelINS0_13select_configILj256ELj13ELNS0_17block_load_methodE3ELS4_3ELS4_3ELNS0_20block_scan_algorithmE0ELj4294967295EEENS1_25partition_config_selectorILNS1_17partition_subalgoE3EjNS0_10empty_typeEbEEZZNS1_14partition_implILS8_3ELb0ES6_jNS0_17counting_iteratorIjlEEPS9_SE_NS0_5tupleIJPjSE_EEENSF_IJSE_SE_EEES9_SG_JZNS1_25segmented_radix_sort_implINS0_14default_configELb0EPKsPsPKlPlN2at6native12_GLOBAL__N_18offset_tEEE10hipError_tPvRmT1_PNSt15iterator_traitsISY_E10value_typeET2_T3_PNSZ_IS14_E10value_typeET4_jRbjT5_S1A_jjP12ihipStream_tbEUljE_EEESV_SW_SX_S14_S18_S1A_T6_T7_T9_mT8_S1C_bDpT10_ENKUlT_T0_E_clISt17integral_constantIbLb0EES1O_IbLb1EEEEDaS1K_S1L_EUlS1K_E_NS1_11comp_targetILNS1_3genE8ELNS1_11target_archE1030ELNS1_3gpuE2ELNS1_3repE0EEENS1_30default_config_static_selectorELNS0_4arch9wavefront6targetE0EEEvSY_.private_seg_size, 0
	.set _ZN7rocprim17ROCPRIM_400000_NS6detail17trampoline_kernelINS0_13select_configILj256ELj13ELNS0_17block_load_methodE3ELS4_3ELS4_3ELNS0_20block_scan_algorithmE0ELj4294967295EEENS1_25partition_config_selectorILNS1_17partition_subalgoE3EjNS0_10empty_typeEbEEZZNS1_14partition_implILS8_3ELb0ES6_jNS0_17counting_iteratorIjlEEPS9_SE_NS0_5tupleIJPjSE_EEENSF_IJSE_SE_EEES9_SG_JZNS1_25segmented_radix_sort_implINS0_14default_configELb0EPKsPsPKlPlN2at6native12_GLOBAL__N_18offset_tEEE10hipError_tPvRmT1_PNSt15iterator_traitsISY_E10value_typeET2_T3_PNSZ_IS14_E10value_typeET4_jRbjT5_S1A_jjP12ihipStream_tbEUljE_EEESV_SW_SX_S14_S18_S1A_T6_T7_T9_mT8_S1C_bDpT10_ENKUlT_T0_E_clISt17integral_constantIbLb0EES1O_IbLb1EEEEDaS1K_S1L_EUlS1K_E_NS1_11comp_targetILNS1_3genE8ELNS1_11target_archE1030ELNS1_3gpuE2ELNS1_3repE0EEENS1_30default_config_static_selectorELNS0_4arch9wavefront6targetE0EEEvSY_.uses_vcc, 0
	.set _ZN7rocprim17ROCPRIM_400000_NS6detail17trampoline_kernelINS0_13select_configILj256ELj13ELNS0_17block_load_methodE3ELS4_3ELS4_3ELNS0_20block_scan_algorithmE0ELj4294967295EEENS1_25partition_config_selectorILNS1_17partition_subalgoE3EjNS0_10empty_typeEbEEZZNS1_14partition_implILS8_3ELb0ES6_jNS0_17counting_iteratorIjlEEPS9_SE_NS0_5tupleIJPjSE_EEENSF_IJSE_SE_EEES9_SG_JZNS1_25segmented_radix_sort_implINS0_14default_configELb0EPKsPsPKlPlN2at6native12_GLOBAL__N_18offset_tEEE10hipError_tPvRmT1_PNSt15iterator_traitsISY_E10value_typeET2_T3_PNSZ_IS14_E10value_typeET4_jRbjT5_S1A_jjP12ihipStream_tbEUljE_EEESV_SW_SX_S14_S18_S1A_T6_T7_T9_mT8_S1C_bDpT10_ENKUlT_T0_E_clISt17integral_constantIbLb0EES1O_IbLb1EEEEDaS1K_S1L_EUlS1K_E_NS1_11comp_targetILNS1_3genE8ELNS1_11target_archE1030ELNS1_3gpuE2ELNS1_3repE0EEENS1_30default_config_static_selectorELNS0_4arch9wavefront6targetE0EEEvSY_.uses_flat_scratch, 0
	.set _ZN7rocprim17ROCPRIM_400000_NS6detail17trampoline_kernelINS0_13select_configILj256ELj13ELNS0_17block_load_methodE3ELS4_3ELS4_3ELNS0_20block_scan_algorithmE0ELj4294967295EEENS1_25partition_config_selectorILNS1_17partition_subalgoE3EjNS0_10empty_typeEbEEZZNS1_14partition_implILS8_3ELb0ES6_jNS0_17counting_iteratorIjlEEPS9_SE_NS0_5tupleIJPjSE_EEENSF_IJSE_SE_EEES9_SG_JZNS1_25segmented_radix_sort_implINS0_14default_configELb0EPKsPsPKlPlN2at6native12_GLOBAL__N_18offset_tEEE10hipError_tPvRmT1_PNSt15iterator_traitsISY_E10value_typeET2_T3_PNSZ_IS14_E10value_typeET4_jRbjT5_S1A_jjP12ihipStream_tbEUljE_EEESV_SW_SX_S14_S18_S1A_T6_T7_T9_mT8_S1C_bDpT10_ENKUlT_T0_E_clISt17integral_constantIbLb0EES1O_IbLb1EEEEDaS1K_S1L_EUlS1K_E_NS1_11comp_targetILNS1_3genE8ELNS1_11target_archE1030ELNS1_3gpuE2ELNS1_3repE0EEENS1_30default_config_static_selectorELNS0_4arch9wavefront6targetE0EEEvSY_.has_dyn_sized_stack, 0
	.set _ZN7rocprim17ROCPRIM_400000_NS6detail17trampoline_kernelINS0_13select_configILj256ELj13ELNS0_17block_load_methodE3ELS4_3ELS4_3ELNS0_20block_scan_algorithmE0ELj4294967295EEENS1_25partition_config_selectorILNS1_17partition_subalgoE3EjNS0_10empty_typeEbEEZZNS1_14partition_implILS8_3ELb0ES6_jNS0_17counting_iteratorIjlEEPS9_SE_NS0_5tupleIJPjSE_EEENSF_IJSE_SE_EEES9_SG_JZNS1_25segmented_radix_sort_implINS0_14default_configELb0EPKsPsPKlPlN2at6native12_GLOBAL__N_18offset_tEEE10hipError_tPvRmT1_PNSt15iterator_traitsISY_E10value_typeET2_T3_PNSZ_IS14_E10value_typeET4_jRbjT5_S1A_jjP12ihipStream_tbEUljE_EEESV_SW_SX_S14_S18_S1A_T6_T7_T9_mT8_S1C_bDpT10_ENKUlT_T0_E_clISt17integral_constantIbLb0EES1O_IbLb1EEEEDaS1K_S1L_EUlS1K_E_NS1_11comp_targetILNS1_3genE8ELNS1_11target_archE1030ELNS1_3gpuE2ELNS1_3repE0EEENS1_30default_config_static_selectorELNS0_4arch9wavefront6targetE0EEEvSY_.has_recursion, 0
	.set _ZN7rocprim17ROCPRIM_400000_NS6detail17trampoline_kernelINS0_13select_configILj256ELj13ELNS0_17block_load_methodE3ELS4_3ELS4_3ELNS0_20block_scan_algorithmE0ELj4294967295EEENS1_25partition_config_selectorILNS1_17partition_subalgoE3EjNS0_10empty_typeEbEEZZNS1_14partition_implILS8_3ELb0ES6_jNS0_17counting_iteratorIjlEEPS9_SE_NS0_5tupleIJPjSE_EEENSF_IJSE_SE_EEES9_SG_JZNS1_25segmented_radix_sort_implINS0_14default_configELb0EPKsPsPKlPlN2at6native12_GLOBAL__N_18offset_tEEE10hipError_tPvRmT1_PNSt15iterator_traitsISY_E10value_typeET2_T3_PNSZ_IS14_E10value_typeET4_jRbjT5_S1A_jjP12ihipStream_tbEUljE_EEESV_SW_SX_S14_S18_S1A_T6_T7_T9_mT8_S1C_bDpT10_ENKUlT_T0_E_clISt17integral_constantIbLb0EES1O_IbLb1EEEEDaS1K_S1L_EUlS1K_E_NS1_11comp_targetILNS1_3genE8ELNS1_11target_archE1030ELNS1_3gpuE2ELNS1_3repE0EEENS1_30default_config_static_selectorELNS0_4arch9wavefront6targetE0EEEvSY_.has_indirect_call, 0
	.section	.AMDGPU.csdata,"",@progbits
; Kernel info:
; codeLenInByte = 0
; TotalNumSgprs: 0
; NumVgprs: 0
; ScratchSize: 0
; MemoryBound: 0
; FloatMode: 240
; IeeeMode: 1
; LDSByteSize: 0 bytes/workgroup (compile time only)
; SGPRBlocks: 0
; VGPRBlocks: 0
; NumSGPRsForWavesPerEU: 1
; NumVGPRsForWavesPerEU: 1
; NamedBarCnt: 0
; Occupancy: 16
; WaveLimiterHint : 0
; COMPUTE_PGM_RSRC2:SCRATCH_EN: 0
; COMPUTE_PGM_RSRC2:USER_SGPR: 2
; COMPUTE_PGM_RSRC2:TRAP_HANDLER: 0
; COMPUTE_PGM_RSRC2:TGID_X_EN: 1
; COMPUTE_PGM_RSRC2:TGID_Y_EN: 0
; COMPUTE_PGM_RSRC2:TGID_Z_EN: 0
; COMPUTE_PGM_RSRC2:TIDIG_COMP_CNT: 0
	.text
	.p2align	2                               ; -- Begin function _ZN7rocprim17ROCPRIM_400000_NS6detail40segmented_radix_sort_single_block_helperIslLj256ELj17ELb0EE4sortIPKsPsPKlPlEEbT_T0_T1_T2_jjjjRNS3_12storage_typeE
	.type	_ZN7rocprim17ROCPRIM_400000_NS6detail40segmented_radix_sort_single_block_helperIslLj256ELj17ELb0EE4sortIPKsPsPKlPlEEbT_T0_T1_T2_jjjjRNS3_12storage_typeE,@function
_ZN7rocprim17ROCPRIM_400000_NS6detail40segmented_radix_sort_single_block_helperIslLj256ELj17ELb0EE4sortIPKsPsPKlPlEEbT_T0_T1_T2_jjjjRNS3_12storage_typeE: ; @_ZN7rocprim17ROCPRIM_400000_NS6detail40segmented_radix_sort_single_block_helperIslLj256ELj17ELb0EE4sortIPKsPsPKlPlEEbT_T0_T1_T2_jjjjRNS3_12storage_typeE
; %bb.0:
	s_wait_loadcnt_dscnt 0x0
	s_wait_kmcnt 0x0
	s_set_vgpr_msb 64                       ;  msbs: dst=1 src0=0 src1=0 src2=0
	v_sub_nc_u32_e32 v12 /*v268*/, v9, v8
	s_mov_b32 s20, exec_lo
	s_set_vgpr_msb 4                        ;  msbs: dst=0 src0=0 src1=1 src2=0
	s_delay_alu instid0(VALU_DEP_1)
	v_cmpx_gt_u32_e32 0x1101, v12 /*v268*/
	s_set_vgpr_msb 0                        ;  msbs: dst=0 src0=0 src1=0 src2=0
	s_cbranch_execz .LBB1009_382
; %bb.1:
	v_bfe_u32 v9, v31, 10, 10
	v_bfe_u32 v14, v31, 20, 10
	v_and_b32_e32 v18, 0x3ff, v31
	v_mbcnt_lo_u32_b32 v66, -1, 0
	s_getreg_b32 s21, hwreg(HW_REG_IB_STS2, 6, 4)
	s_mov_b32 s0, exec_lo
	s_set_vgpr_msb 4                        ;  msbs: dst=0 src0=0 src1=1 src2=0
	v_cmpx_lt_u32_e32 0x800, v12 /*v268*/
	s_xor_b32 s22, exec_lo, s0
	s_set_vgpr_msb 0                        ;  msbs: dst=0 src0=0 src1=0 src2=0
	s_cbranch_execz .LBB1009_151
; %bb.2:
	s_load_b64 s[0:1], s[8:9], 0x0
	s_bfe_u32 s3, ttmp6, 0x4000c
	s_bfe_u32 s5, ttmp6, 0x40010
	s_and_b32 s4, ttmp7, 0xffff
	s_add_co_i32 s3, s3, 1
	s_add_co_i32 s5, s5, 1
	s_and_b32 s2, ttmp6, 15
	s_bfe_u32 s6, ttmp6, 0x40004
	s_mul_i32 s3, ttmp9, s3
	s_mul_i32 s5, s4, s5
	s_add_co_i32 s2, s2, s3
	s_add_co_i32 s6, s6, s5
	s_cmp_eq_u32 s21, 0
	s_mov_b32 s3, 0
	s_cselect_b32 s2, ttmp9, s2
	s_cselect_b32 s4, s4, s6
	v_dual_mov_b32 v103, -1 :: v_dual_mov_b32 v101, -1
	s_wait_kmcnt 0x0
	s_cmp_lt_u32 s2, s0
	s_cselect_b32 s2, 12, 18
	s_cmp_lt_u32 s4, s1
	s_mov_b32 s1, s3
	s_cselect_b32 s0, 14, 20
	s_delay_alu instid0(SALU_CYCLE_1)
	s_add_nc_u64 s[0:1], s[8:9], s[0:1]
	s_load_u16 s4, s[0:1], 0x0
	s_wait_xcnt 0x0
	s_add_nc_u64 s[0:1], s[8:9], s[2:3]
	s_load_u16 s0, s[0:1], 0x0
	s_wait_kmcnt 0x0
	v_mad_u32_u24 v9, v14, s4, v9
	v_lshlrev_b32_e32 v14, 1, v66
	s_delay_alu instid0(VALU_DEP_2) | instskip(SKIP_1) | instid1(VALU_DEP_1)
	v_mad_u32 v38, v9, s0, v18
	v_mov_b32_e32 v9, 0
	v_lshl_add_u64 v[16:17], v[8:9], 1, v[0:1]
	v_dual_mov_b32 v15, v9 :: v_dual_mov_b32 v1, v9
	s_delay_alu instid0(VALU_DEP_4) | instskip(NEXT) | instid1(VALU_DEP_2)
	v_and_b32_e32 v19, 0xffffffe0, v38
	v_add_nc_u64_e32 v[14:15], v[16:17], v[14:15]
	s_delay_alu instid0(VALU_DEP_2) | instskip(NEXT) | instid1(VALU_DEP_1)
	v_lshl_add_u32 v0, v19, 4, v19
	v_or_b32_e32 v16, v0, v66
	s_delay_alu instid0(VALU_DEP_3) | instskip(SKIP_1) | instid1(VALU_DEP_2)
	v_lshl_add_u64 v[14:15], v[0:1], 1, v[14:15]
	s_set_vgpr_msb 4                        ;  msbs: dst=0 src0=0 src1=1 src2=0
	v_cmp_lt_u32_e32 vcc_lo, v16, v12 /*v268*/
	s_and_saveexec_b32 s0, vcc_lo
	s_set_vgpr_msb 0                        ;  msbs: dst=0 src0=0 src1=0 src2=0
	s_cbranch_execz .LBB1009_4
; %bb.3:
	flat_load_u16 v17, v[14:15]
	s_wait_loadcnt_dscnt 0x0
	v_xor_b32_e32 v103, 0xffff8000, v17
.LBB1009_4:
	s_wait_xcnt 0x0
	s_or_b32 exec_lo, exec_lo, s0
	v_add_nc_u32_e32 v17, 32, v16
	s_set_vgpr_msb 4                        ;  msbs: dst=0 src0=0 src1=1 src2=0
	s_delay_alu instid0(VALU_DEP_1)
	v_cmp_lt_u32_e64 s0, v17, v12 /*v268*/
	s_and_saveexec_b32 s1, s0
	s_set_vgpr_msb 0                        ;  msbs: dst=0 src0=0 src1=0 src2=0
	s_cbranch_execz .LBB1009_6
; %bb.5:
	flat_load_u16 v17, v[14:15] offset:64
	s_wait_loadcnt_dscnt 0x0
	v_xor_b32_e32 v101, 0xffff8000, v17
.LBB1009_6:
	s_wait_xcnt 0x0
	s_or_b32 exec_lo, exec_lo, s1
	v_dual_add_nc_u32 v17, 64, v16 :: v_dual_mov_b32 v113, -1
	v_mov_b32_e32 v117, -1
	s_set_vgpr_msb 4                        ;  msbs: dst=0 src0=0 src1=1 src2=0
	s_delay_alu instid0(VALU_DEP_2)
	v_cmp_lt_u32_e64 s1, v17, v12 /*v268*/
	s_and_saveexec_b32 s2, s1
	s_set_vgpr_msb 0                        ;  msbs: dst=0 src0=0 src1=0 src2=0
	s_cbranch_execz .LBB1009_8
; %bb.7:
	flat_load_u16 v17, v[14:15] offset:128
	s_wait_loadcnt_dscnt 0x0
	v_xor_b32_e32 v117, 0xffff8000, v17
.LBB1009_8:
	s_wait_xcnt 0x0
	s_or_b32 exec_lo, exec_lo, s2
	v_add_nc_u32_e32 v17, 0x60, v16
	s_set_vgpr_msb 4                        ;  msbs: dst=0 src0=0 src1=1 src2=0
	s_delay_alu instid0(VALU_DEP_1)
	v_cmp_lt_u32_e64 s2, v17, v12 /*v268*/
	s_and_saveexec_b32 s3, s2
	s_set_vgpr_msb 0                        ;  msbs: dst=0 src0=0 src1=0 src2=0
	s_cbranch_execz .LBB1009_10
; %bb.9:
	flat_load_u16 v17, v[14:15] offset:192
	s_wait_loadcnt_dscnt 0x0
	v_xor_b32_e32 v113, 0xffff8000, v17
.LBB1009_10:
	s_wait_xcnt 0x0
	s_or_b32 exec_lo, exec_lo, s3
	v_add_nc_u32_e32 v17, 0x80, v16
	v_dual_mov_b32 v119, -1 :: v_dual_mov_b32 v129, -1
	s_set_vgpr_msb 4                        ;  msbs: dst=0 src0=0 src1=1 src2=0
	s_delay_alu instid0(VALU_DEP_2)
	v_cmp_lt_u32_e64 s3, v17, v12 /*v268*/
	s_and_saveexec_b32 s4, s3
	s_set_vgpr_msb 0                        ;  msbs: dst=0 src0=0 src1=0 src2=0
	s_cbranch_execz .LBB1009_12
; %bb.11:
	flat_load_u16 v17, v[14:15] offset:256
	s_wait_loadcnt_dscnt 0x0
	v_xor_b32_e32 v129, 0xffff8000, v17
.LBB1009_12:
	s_wait_xcnt 0x0
	s_or_b32 exec_lo, exec_lo, s4
	v_add_nc_u32_e32 v17, 0xa0, v16
	s_set_vgpr_msb 4                        ;  msbs: dst=0 src0=0 src1=1 src2=0
	s_delay_alu instid0(VALU_DEP_1)
	v_cmp_lt_u32_e64 s4, v17, v12 /*v268*/
	s_and_saveexec_b32 s5, s4
	s_set_vgpr_msb 0                        ;  msbs: dst=0 src0=0 src1=0 src2=0
	s_cbranch_execz .LBB1009_14
; %bb.13:
	flat_load_u16 v17, v[14:15] offset:320
	s_wait_loadcnt_dscnt 0x0
	v_xor_b32_e32 v119, 0xffff8000, v17
.LBB1009_14:
	s_wait_xcnt 0x0
	s_or_b32 exec_lo, exec_lo, s5
	v_add_nc_u32_e32 v17, 0xc0, v16
	v_dual_mov_b32 v131, -1 :: v_dual_mov_b32 v133, -1
	;; [unrolled: 29-line block ×6, first 2 shown]
	s_set_vgpr_msb 4                        ;  msbs: dst=0 src0=0 src1=1 src2=0
	s_delay_alu instid0(VALU_DEP_2)
	v_cmp_lt_u32_e64 s15, v17, v12 /*v268*/
	s_and_saveexec_b32 s16, s15
	s_set_vgpr_msb 0                        ;  msbs: dst=0 src0=0 src1=0 src2=0
	s_cbranch_execz .LBB1009_32
; %bb.31:
	flat_load_u16 v17, v[14:15] offset:896
	s_wait_loadcnt_dscnt 0x0
	v_xor_b32_e32 v177, 0xffff8000, v17
.LBB1009_32:
	s_wait_xcnt 0x0
	s_or_b32 exec_lo, exec_lo, s16
	v_add_nc_u32_e32 v17, 0x1e0, v16
	s_set_vgpr_msb 4                        ;  msbs: dst=0 src0=0 src1=1 src2=0
	s_delay_alu instid0(VALU_DEP_1)
	v_cmp_lt_u32_e64 s16, v17, v12 /*v268*/
	s_and_saveexec_b32 s17, s16
	s_set_vgpr_msb 0                        ;  msbs: dst=0 src0=0 src1=0 src2=0
	s_cbranch_execz .LBB1009_34
; %bb.33:
	flat_load_u16 v17, v[14:15] offset:960
	s_wait_loadcnt_dscnt 0x0
	v_xor_b32_e32 v167, 0xffff8000, v17
.LBB1009_34:
	s_wait_xcnt 0x0
	s_or_b32 exec_lo, exec_lo, s17
	v_add_nc_u32_e32 v16, 0x200, v16
	s_set_vgpr_msb 64                       ;  msbs: dst=1 src0=0 src1=0 src2=0
	v_mov_b32_e32 v47 /*v303*/, -1
	s_set_vgpr_msb 4                        ;  msbs: dst=0 src0=0 src1=1 src2=0
	s_delay_alu instid0(VALU_DEP_2)
	v_cmp_lt_u32_e64 s17, v16, v12 /*v268*/
	s_and_saveexec_b32 s18, s17
	s_set_vgpr_msb 0                        ;  msbs: dst=0 src0=0 src1=0 src2=0
	s_cbranch_execz .LBB1009_36
; %bb.35:
	flat_load_u16 v14, v[14:15] offset:1024
	s_wait_loadcnt_dscnt 0x0
	s_set_vgpr_msb 64                       ;  msbs: dst=1 src0=0 src1=0 src2=0
	v_xor_b32_e32 v47 /*v303*/, 0xffff8000, v14
.LBB1009_36:
	s_wait_xcnt 0x0
	s_or_b32 exec_lo, exec_lo, s18
	s_set_vgpr_msb 0                        ;  msbs: dst=0 src0=0 src1=0 src2=0
	v_lshl_add_u64 v[4:5], v[8:9], 3, v[4:5]
	v_dual_mov_b32 v15, 0 :: v_dual_lshlrev_b32 v14, 3, v66
                                        ; implicit-def: $vgpr80_vgpr81
	s_delay_alu instid0(VALU_DEP_1) | instskip(NEXT) | instid1(VALU_DEP_1)
	v_add_nc_u64_e32 v[4:5], v[4:5], v[14:15]
	v_lshl_add_u64 v[0:1], v[0:1], 3, v[4:5]
	s_and_saveexec_b32 s18, vcc_lo
	s_cbranch_execnz .LBB1009_204
; %bb.37:
	s_or_b32 exec_lo, exec_lo, s18
                                        ; implicit-def: $vgpr82_vgpr83
	s_and_saveexec_b32 s18, s0
	s_cbranch_execnz .LBB1009_205
.LBB1009_38:
	s_or_b32 exec_lo, exec_lo, s18
                                        ; implicit-def: $vgpr84_vgpr85
	s_and_saveexec_b32 s0, s1
	s_cbranch_execnz .LBB1009_206
.LBB1009_39:
	s_or_b32 exec_lo, exec_lo, s0
                                        ; implicit-def: $vgpr86_vgpr87
	s_and_saveexec_b32 s0, s2
	s_cbranch_execnz .LBB1009_207
.LBB1009_40:
	s_or_b32 exec_lo, exec_lo, s0
                                        ; implicit-def: $vgpr96_vgpr97
	s_and_saveexec_b32 s0, s3
	s_cbranch_execnz .LBB1009_208
.LBB1009_41:
	s_or_b32 exec_lo, exec_lo, s0
                                        ; implicit-def: $vgpr98_vgpr99
	s_and_saveexec_b32 s0, s4
	s_cbranch_execnz .LBB1009_209
.LBB1009_42:
	s_or_b32 exec_lo, exec_lo, s0
                                        ; implicit-def: $vgpr114_vgpr115
	s_and_saveexec_b32 s0, s5
	s_cbranch_execnz .LBB1009_210
.LBB1009_43:
	s_or_b32 exec_lo, exec_lo, s0
                                        ; implicit-def: $vgpr162_vgpr163
	s_and_saveexec_b32 s0, s6
	s_cbranch_execnz .LBB1009_211
.LBB1009_44:
	s_or_b32 exec_lo, exec_lo, s0
                                        ; implicit-def: $vgpr164_vgpr165
	s_and_saveexec_b32 s0, s7
	s_cbranch_execnz .LBB1009_212
.LBB1009_45:
	s_or_b32 exec_lo, exec_lo, s0
                                        ; implicit-def: $vgpr178_vgpr179
	s_and_saveexec_b32 s0, s10
	s_cbranch_execnz .LBB1009_213
.LBB1009_46:
	s_or_b32 exec_lo, exec_lo, s0
                                        ; implicit-def: $vgpr180_vgpr181
	s_and_saveexec_b32 s0, s11
	s_cbranch_execnz .LBB1009_214
.LBB1009_47:
	s_or_b32 exec_lo, exec_lo, s0
                                        ; implicit-def: $vgpr182_vgpr183
	s_and_saveexec_b32 s0, s12
	s_cbranch_execnz .LBB1009_215
.LBB1009_48:
	s_or_b32 exec_lo, exec_lo, s0
                                        ; implicit-def: $vgpr194_vgpr195
	s_and_saveexec_b32 s0, s13
	s_cbranch_execnz .LBB1009_216
.LBB1009_49:
	s_or_b32 exec_lo, exec_lo, s0
                                        ; implicit-def: $vgpr198_vgpr199
	s_and_saveexec_b32 s0, s14
	s_cbranch_execnz .LBB1009_217
.LBB1009_50:
	s_or_b32 exec_lo, exec_lo, s0
                                        ; implicit-def: $vgpr192_vgpr193
	s_and_saveexec_b32 s0, s15
	s_cbranch_execnz .LBB1009_218
.LBB1009_51:
	s_or_b32 exec_lo, exec_lo, s0
                                        ; implicit-def: $vgpr196_vgpr197
	s_and_saveexec_b32 s0, s16
	s_cbranch_execnz .LBB1009_219
.LBB1009_52:
	s_or_b32 exec_lo, exec_lo, s0
                                        ; implicit-def: $vgpr208_vgpr209
	s_and_saveexec_b32 s0, s17
	s_cbranch_execz .LBB1009_54
.LBB1009_53:
	flat_load_b64 v[208:209], v[0:1] offset:4096
.LBB1009_54:
	s_wait_xcnt 0x0
	s_or_b32 exec_lo, exec_lo, s0
	v_and_b32_e32 v1, 0x3e0, v18
	v_lshl_add_u32 v0, v18, 5, v12
	v_and_b32_e32 v4, 15, v66
	s_get_pc_i64 s[0:1]
	s_add_nc_u64 s[0:1], s[0:1], _ZN7rocprim17ROCPRIM_400000_NS16block_radix_sortIsLj256ELj17ElLj1ELj1ELj8ELNS0_26block_radix_rank_algorithmE2ELNS0_18block_padding_hintE2ELNS0_4arch9wavefront6targetE0EE19radix_bits_per_passE@rel64+4
	v_sub_co_u32 v17, s3, v66, 1
	v_mul_u32_u24_e32 v5, 17, v1
	v_dual_add_nc_u32 v19, 32, v0 :: v_dual_add_nc_u32 v39, 36, v0
	s_set_vgpr_msb 64                       ;  msbs: dst=1 src0=0 src1=0 src2=0
	v_dual_add_nc_u32 v13 /*v269*/, 40, v0 :: v_dual_add_nc_u32 v14 /*v270*/, 44, v0
	s_set_vgpr_msb 0                        ;  msbs: dst=0 src0=0 src1=0 src2=0
	v_or_b32_e32 v15, v66, v5
	s_set_vgpr_msb 64                       ;  msbs: dst=1 src0=0 src1=0 src2=0
	v_dual_add_nc_u32 v15 /*v271*/, 48, v0 :: v_dual_add_nc_u32 v16 /*v272*/, 52, v0
	v_dual_add_nc_u32 v17 /*v273*/, 56, v0 :: v_dual_add_nc_u32 v18 /*v274*/, 60, v0
	s_set_vgpr_msb 0                        ;  msbs: dst=0 src0=0 src1=0 src2=0
	v_min_u32_e32 v14, 0xe0, v1
	v_dual_lshlrev_b32 v0, 1, v15 :: v_dual_bitop2_b32 v16, 16, v66 bitop3:0x40
	v_mov_b32_e32 v1, 0
	s_load_b32 s23, s[0:1], 0x0
	v_cmp_eq_u32_e32 vcc_lo, 0, v4
	s_wait_xcnt 0x0
	v_cmp_lt_u32_e64 s0, 1, v4
	v_cmp_lt_u32_e64 s1, 3, v4
	;; [unrolled: 1-line block ×3, first 2 shown]
	v_add_nc_u64_e32 v[4:5], v[12:13], v[0:1]
	v_lshrrev_b32_e32 v0, 3, v18
	v_cmp_gt_i32_e64 s7, 0, v17
	v_cmp_eq_u32_e64 s4, 0, v16
	v_mov_b64_e32 v[70:71], 0
	s_set_vgpr_msb 64                       ;  msbs: dst=1 src0=0 src1=0 src2=0
	v_lshrrev_b32_e32 v19 /*v275*/, 5, v38
	s_set_vgpr_msb 0                        ;  msbs: dst=0 src0=0 src1=0 src2=0
	v_and_b32_e32 v0, 0x7c, v0
	v_or_b32_e32 v14, 31, v14
	v_cmp_gt_u32_e64 s6, 8, v18
	v_cmp_eq_u32_e64 s10, 0, v18
	s_set_vgpr_msb 64                       ;  msbs: dst=1 src0=0 src1=0 src2=0
	v_lshl_add_u32 v20 /*v276*/, v18, 2, v12
	v_sub_nc_u32_e32 v29 /*v285*/, v11, v10
	v_cmp_eq_u32_e64 s5, v18, v14
	s_set_vgpr_msb 0                        ;  msbs: dst=0 src0=0 src1=0 src2=0
	v_cndmask_b32_e64 v14, v17, v66, s7
	v_mad_nc_u64_u32 v[16:17], v15, 6, v[4:5]
	v_and_b32_e32 v15, 7, v66
	v_cmp_lt_u32_e64 s7, 31, v18
	s_delay_alu instid0(VALU_DEP_4)
	v_dual_add_nc_u32 v17, v12, v0 :: v_dual_lshlrev_b32 v5, 2, v14
	s_mov_b32 s24, 0
	v_cmp_eq_u32_e64 s11, 0, v15
	v_cmp_lt_u32_e64 s12, 1, v15
	v_cmp_lt_u32_e64 s13, 3, v15
	s_wait_storecnt 0x0
	s_wait_loadcnt_dscnt 0x0
	s_barrier_signal -1
	s_set_vgpr_msb 64                       ;  msbs: dst=1 src0=0 src1=0 src2=0
	v_add_nc_u32_e32 v21 /*v277*/, 0x900, v16
	v_add_nc_u32_e32 v22 /*v278*/, 0xa00, v16
	;; [unrolled: 1-line block ×8, first 2 shown]
	s_barrier_wait -1
	s_set_vgpr_msb 0                        ;  msbs: dst=0 src0=0 src1=0 src2=0
	s_branch .LBB1009_56
.LBB1009_55:                            ;   in Loop: Header=BB1009_56 Depth=1
	s_or_b32 exec_lo, exec_lo, s15
	s_delay_alu instid0(SALU_CYCLE_1) | instskip(NEXT) | instid1(SALU_CYCLE_1)
	s_and_b32 s14, exec_lo, s16
	s_or_b32 s24, s14, s24
	s_delay_alu instid0(SALU_CYCLE_1)
	s_and_not1_b32 exec_lo, exec_lo, s24
	s_cbranch_execz .LBB1009_98
.LBB1009_56:                            ; =>This Inner Loop Header: Depth=1
	s_set_vgpr_msb 64                       ;  msbs: dst=1 src0=0 src1=0 src2=0
	v_dual_mov_b32 v30 /*v286*/, v103 :: v_dual_mov_b32 v34 /*v290*/, v101
	s_set_vgpr_msb 4                        ;  msbs: dst=0 src0=0 src1=1 src2=0
	v_mov_b64_e32 v[54:55], v[80:81]
	s_wait_kmcnt 0x0
	v_min_u32_e32 v0, s23, v29 /*v285*/
	v_mov_b64_e32 v[52:53], v[82:83]
	v_and_b32_e32 v80, 0xffff, v30 /*v286*/
	v_mov_b64_e32 v[50:51], v[84:85]
	v_mov_b64_e32 v[48:49], v[86:87]
	v_lshlrev_b32_e64 v82, v0, -1
	v_mov_b64_e32 v[36:37], v[96:97]
	s_set_vgpr_msb 0                        ;  msbs: dst=0 src0=0 src1=0 src2=0
	v_lshrrev_b32_e32 v0, v10, v80
	v_mov_b64_e32 v[34:35], v[98:99]
	v_mov_b64_e32 v[32:33], v[114:115]
	;; [unrolled: 1-line block ×4, first 2 shown]
	v_bitop3_b32 v80, v0, v82, v0 bitop3:0x30
	v_mov_b64_e32 v[22:23], v[178:179]
	v_mov_b64_e32 v[20:21], v[180:181]
	;; [unrolled: 1-line block ×4, first 2 shown]
	v_lshlrev_b32_e32 v81, 30, v80
	v_bitop3_b32 v0, v0, 1, v82 bitop3:0x40
	v_lshlrev_b32_e32 v87, 25, v80
	v_mov_b64_e32 v[14:15], v[198:199]
	v_mov_b64_e32 v[68:69], v[192:193]
	v_not_b32_e32 v84, v81
	v_add_co_u32 v0, s14, v0, -1
	s_delay_alu instid0(VALU_DEP_1) | instskip(SKIP_1) | instid1(VALU_DEP_4)
	v_cndmask_b32_e64 v83, 0, 1, s14
	v_cmp_gt_i32_e64 s15, 0, v81
	v_ashrrev_i32_e32 v81, 31, v84
	v_mov_b64_e32 v[66:67], v[196:197]
	v_lshlrev_b32_e32 v84, 28, v80
	v_cmp_ne_u32_e64 s14, 0, v83
	v_lshlrev_b32_e32 v83, 29, v80
	v_mov_b64_e32 v[64:65], v[208:209]
	s_set_vgpr_msb 64                       ;  msbs: dst=1 src0=0 src1=0 src2=0
	v_dual_mov_b32 v33 /*v289*/, v117 :: v_dual_mov_b32 v32 /*v288*/, v113
	s_set_vgpr_msb 0                        ;  msbs: dst=0 src0=0 src1=0 src2=0
	v_not_b32_e32 v86, v84
	v_not_b32_e32 v85, v83
	v_xor_b32_e32 v0, s14, v0
	v_cmp_gt_i32_e64 s14, 0, v83
	s_set_vgpr_msb 64                       ;  msbs: dst=1 src0=0 src1=0 src2=0
	v_dual_mov_b32 v31 /*v287*/, v129 :: v_dual_mov_b32 v35 /*v291*/, v119
	s_set_vgpr_msb 0                        ;  msbs: dst=0 src0=0 src1=0 src2=0
	v_ashrrev_i32_e32 v83, 31, v85
	v_dual_lshlrev_b32 v85, 27, v80 :: v_dual_bitop2_b32 v81, s15, v81 bitop3:0x14
	v_cmp_gt_i32_e64 s15, 0, v84
	s_delay_alu instid0(VALU_DEP_3) | instskip(NEXT) | instid1(VALU_DEP_3)
	v_dual_ashrrev_i32 v84, 31, v86 :: v_dual_bitop2_b32 v83, s14, v83 bitop3:0x14
	v_bitop3_b32 v0, v0, v81, exec_lo bitop3:0x80
	v_lshlrev_b32_e32 v81, 26, v80
	v_not_b32_e32 v86, v85
	s_delay_alu instid0(VALU_DEP_4)
	v_xor_b32_e32 v84, s15, v84
	v_cmp_gt_i32_e64 s14, 0, v85
	s_set_vgpr_msb 64                       ;  msbs: dst=1 src0=0 src1=0 src2=0
	v_dual_mov_b32 v37 /*v293*/, v133 :: v_dual_mov_b32 v36 /*v292*/, v131
	s_set_vgpr_msb 0                        ;  msbs: dst=0 src0=0 src1=0 src2=0
	v_not_b32_e32 v85, v81
	v_ashrrev_i32_e32 v86, 31, v86
	v_cmp_gt_i32_e64 s15, 0, v81
	v_lshlrev_b32_e32 v81, 24, v80
	v_bitop3_b32 v0, v0, v84, v83 bitop3:0x80
	s_delay_alu instid0(VALU_DEP_4) | instskip(SKIP_1) | instid1(VALU_DEP_4)
	v_dual_ashrrev_i32 v85, 31, v85 :: v_dual_bitop2_b32 v84, s14, v86 bitop3:0x14
	v_not_b32_e32 v83, v87
	v_not_b32_e32 v86, v81
	v_cmp_gt_i32_e64 s14, 0, v87
	s_delay_alu instid0(VALU_DEP_4) | instskip(SKIP_1) | instid1(VALU_DEP_4)
	v_xor_b32_e32 v85, s15, v85
	v_cmp_gt_i32_e64 s15, 0, v81
	v_dual_ashrrev_i32 v83, 31, v83 :: v_dual_ashrrev_i32 v81, 31, v86
	v_lshlrev_b32_e32 v80, 3, v80
	s_delay_alu instid0(VALU_DEP_4)
	v_bitop3_b32 v84, v0, v85, v84 bitop3:0x80
	s_set_vgpr_msb 64                       ;  msbs: dst=1 src0=0 src1=0 src2=0
	v_dual_mov_b32 v39 /*v295*/, v145 :: v_dual_mov_b32 v38 /*v294*/, v135
	s_set_vgpr_msb 0                        ;  msbs: dst=0 src0=0 src1=0 src2=0
	v_xor_b32_e32 v83, s14, v83
	v_xor_b32_e32 v81, s15, v81
	s_set_vgpr_msb 4                        ;  msbs: dst=0 src0=0 src1=1 src2=0
	v_add_lshl_u32 v0, v80, v19 /*v275*/, 2
	s_set_vgpr_msb 64                       ;  msbs: dst=1 src0=0 src1=0 src2=0
	v_dual_mov_b32 v40 /*v296*/, v161 :: v_dual_mov_b32 v41 /*v297*/, v151
	v_dual_mov_b32 v42 /*v298*/, v149 :: v_dual_mov_b32 v43 /*v299*/, v147
	s_set_vgpr_msb 0                        ;  msbs: dst=0 src0=0 src1=0 src2=0
	v_bitop3_b32 v83, v84, v81, v83 bitop3:0x80
	v_add_nc_u64_e32 v[80:81], v[12:13], v[0:1]
	s_set_vgpr_msb 64                       ;  msbs: dst=1 src0=0 src1=0 src2=0
	v_dual_mov_b32 v45 /*v301*/, v177 :: v_dual_mov_b32 v44 /*v300*/, v167
	s_set_vgpr_msb 0x41                     ;  msbs: dst=1 src0=1 src1=0 src2=0
	v_mov_b32_e32 v46 /*v302*/, v47 /*v303*/
	s_set_vgpr_msb 0                        ;  msbs: dst=0 src0=0 src1=0 src2=0
	v_mbcnt_lo_u32_b32 v0, v83, 0
	v_cmp_ne_u32_e64 s15, 0, v83
	ds_store_b64 v19, v[70:71]
	s_set_vgpr_msb 1                        ;  msbs: dst=0 src0=1 src1=0 src2=0
	ds_store_b64 v13 /*v269*/, v[70:71]
	v_add_nc_u64_e32 v[80:81], 32, v[80:81]
	ds_store_b64 v15 /*v271*/, v[70:71]
	ds_store_b64 v17 /*v273*/, v[70:71]
	v_cmp_eq_u32_e64 s14, 0, v0
	s_wait_dscnt 0x0
	s_barrier_signal -1
	s_barrier_wait -1
	s_and_b32 s15, s15, s14
	; wave barrier
	s_delay_alu instid0(SALU_CYCLE_1)
	s_and_saveexec_b32 s14, s15
; %bb.57:                               ;   in Loop: Header=BB1009_56 Depth=1
	s_set_vgpr_msb 0                        ;  msbs: dst=0 src0=0 src1=0 src2=0
	v_bcnt_u32_b32 v81, v83, 0
	ds_store_b32 v80, v81
; %bb.58:                               ;   in Loop: Header=BB1009_56 Depth=1
	s_or_b32 exec_lo, exec_lo, s14
	s_set_vgpr_msb 4                        ;  msbs: dst=0 src0=0 src1=1 src2=0
	v_and_b32_e32 v81, 0xffff, v34 /*v290*/
	v_not_b32_e32 v97, v82
	; wave barrier
	s_set_vgpr_msb 0                        ;  msbs: dst=0 src0=0 src1=0 src2=0
	s_delay_alu instid0(VALU_DEP_2) | instskip(NEXT) | instid1(VALU_DEP_1)
	v_lshrrev_b32_e32 v81, v10, v81
	v_and_b32_e32 v82, v81, v97
	s_delay_alu instid0(VALU_DEP_1) | instskip(SKIP_1) | instid1(VALU_DEP_2)
	v_lshlrev_b32_e32 v85, 30, v82
	v_bitop3_b32 v81, v81, 1, v97 bitop3:0x80
	v_cmp_gt_i32_e64 s15, 0, v85
	s_delay_alu instid0(VALU_DEP_2) | instskip(NEXT) | instid1(VALU_DEP_1)
	v_add_co_u32 v81, s14, v81, -1
	v_cndmask_b32_e64 v84, 0, 1, s14
	s_delay_alu instid0(VALU_DEP_1) | instskip(SKIP_1) | instid1(VALU_DEP_1)
	v_cmp_ne_u32_e64 s14, 0, v84
	v_not_b32_e32 v84, v85
	v_dual_ashrrev_i32 v84, 31, v84 :: v_dual_lshlrev_b32 v86, 29, v82
	v_dual_lshlrev_b32 v87, 28, v82 :: v_dual_lshlrev_b32 v96, 27, v82
	v_lshlrev_b32_e32 v98, 26, v82
	s_set_vgpr_msb 16                       ;  msbs: dst=0 src0=0 src1=0 src2=1
	v_lshl_add_u32 v83, v82, 3, v19 /*v275*/
	v_cmp_gt_i32_e64 s16, 0, v86
	v_not_b32_e32 v85, v86
	v_not_b32_e32 v86, v87
	v_dual_lshlrev_b32 v99, 25, v82 :: v_dual_lshlrev_b32 v82, 24, v82
	v_cmp_gt_i32_e64 s17, 0, v87
	v_cmp_gt_i32_e64 s18, 0, v96
	v_not_b32_e32 v87, v96
	v_dual_ashrrev_i32 v86, 31, v86 :: v_dual_bitop2_b32 v81, s14, v81 bitop3:0x14
	v_dual_ashrrev_i32 v85, 31, v85 :: v_dual_bitop2_b32 v84, s15, v84 bitop3:0x14
	v_not_b32_e32 v96, v98
	v_cmp_gt_i32_e64 s19, 0, v98
	s_delay_alu instid0(VALU_DEP_3)
	v_dual_ashrrev_i32 v87, 31, v87 :: v_dual_bitop2_b32 v85, s16, v85 bitop3:0x14
	v_xor_b32_e32 v86, s17, v86
	v_bitop3_b32 v81, v81, v84, exec_lo bitop3:0x80
	v_ashrrev_i32_e32 v84, 31, v96
	v_not_b32_e32 v96, v99
	v_not_b32_e32 v98, v82
	v_xor_b32_e32 v87, s18, v87
	s_set_vgpr_msb 0                        ;  msbs: dst=0 src0=0 src1=0 src2=0
	v_bitop3_b32 v81, v81, v86, v85 bitop3:0x80
	v_xor_b32_e32 v84, s19, v84
	v_cmp_gt_i32_e64 s14, 0, v99
	v_ashrrev_i32_e32 v85, 31, v96
	v_cmp_gt_i32_e64 s15, 0, v82
	v_ashrrev_i32_e32 v82, 31, v98
	v_lshl_add_u32 v83, v83, 2, v12
	v_bitop3_b32 v84, v81, v84, v87 bitop3:0x80
	v_xor_b32_e32 v85, s14, v85
	s_delay_alu instid0(VALU_DEP_4) | instskip(SKIP_3) | instid1(VALU_DEP_1)
	v_xor_b32_e32 v82, s15, v82
	ds_load_b32 v81, v83 offset:32
	v_add_nc_u32_e32 v83, 32, v83
	; wave barrier
	v_bitop3_b32 v84, v84, v82, v85 bitop3:0x80
	v_mbcnt_lo_u32_b32 v82, v84, 0
	v_cmp_ne_u32_e64 s15, 0, v84
	s_delay_alu instid0(VALU_DEP_2) | instskip(SKIP_1) | instid1(SALU_CYCLE_1)
	v_cmp_eq_u32_e64 s14, 0, v82
	s_and_b32 s15, s15, s14
	s_and_saveexec_b32 s14, s15
	s_cbranch_execz .LBB1009_60
; %bb.59:                               ;   in Loop: Header=BB1009_56 Depth=1
	s_wait_dscnt 0x0
	v_bcnt_u32_b32 v84, v84, v81
	ds_store_b32 v83, v84
.LBB1009_60:                            ;   in Loop: Header=BB1009_56 Depth=1
	s_or_b32 exec_lo, exec_lo, s14
	s_set_vgpr_msb 4                        ;  msbs: dst=0 src0=0 src1=1 src2=0
	v_and_b32_e32 v84, 0xffff, v33 /*v289*/
	; wave barrier
	s_set_vgpr_msb 0                        ;  msbs: dst=0 src0=0 src1=0 src2=0
	s_delay_alu instid0(VALU_DEP_1) | instskip(NEXT) | instid1(VALU_DEP_1)
	v_lshrrev_b32_e32 v84, v10, v84
	v_and_b32_e32 v85, v84, v97
	s_delay_alu instid0(VALU_DEP_1) | instskip(SKIP_1) | instid1(VALU_DEP_2)
	v_lshlrev_b32_e32 v96, 30, v85
	v_bitop3_b32 v84, v84, 1, v97 bitop3:0x80
	v_cmp_gt_i32_e64 s15, 0, v96
	s_delay_alu instid0(VALU_DEP_2) | instskip(NEXT) | instid1(VALU_DEP_1)
	v_add_co_u32 v84, s14, v84, -1
	v_cndmask_b32_e64 v87, 0, 1, s14
	s_delay_alu instid0(VALU_DEP_1) | instskip(SKIP_1) | instid1(VALU_DEP_1)
	v_cmp_ne_u32_e64 s14, 0, v87
	v_not_b32_e32 v87, v96
	v_dual_ashrrev_i32 v87, 31, v87 :: v_dual_lshlrev_b32 v98, 29, v85
	v_dual_lshlrev_b32 v99, 28, v85 :: v_dual_lshlrev_b32 v100, 27, v85
	v_lshlrev_b32_e32 v101, 26, v85
	s_set_vgpr_msb 16                       ;  msbs: dst=0 src0=0 src1=0 src2=1
	v_lshl_add_u32 v86, v85, 3, v19 /*v275*/
	v_cmp_gt_i32_e64 s16, 0, v98
	v_not_b32_e32 v96, v98
	v_not_b32_e32 v98, v99
	v_dual_lshlrev_b32 v102, 25, v85 :: v_dual_lshlrev_b32 v85, 24, v85
	v_cmp_gt_i32_e64 s17, 0, v99
	v_cmp_gt_i32_e64 s18, 0, v100
	v_not_b32_e32 v99, v100
	v_not_b32_e32 v100, v101
	v_dual_ashrrev_i32 v98, 31, v98 :: v_dual_bitop2_b32 v84, s14, v84 bitop3:0x14
	v_dual_ashrrev_i32 v96, 31, v96 :: v_dual_bitop2_b32 v87, s15, v87 bitop3:0x14
	v_cmp_gt_i32_e64 s19, 0, v101
	s_delay_alu instid0(VALU_DEP_4)
	v_dual_ashrrev_i32 v99, 31, v99 :: v_dual_ashrrev_i32 v100, 31, v100
	v_not_b32_e32 v101, v85
	v_xor_b32_e32 v98, s17, v98
	v_bitop3_b32 v84, v84, v87, exec_lo bitop3:0x80
	v_not_b32_e32 v87, v102
	v_xor_b32_e32 v96, s16, v96
	v_xor_b32_e32 v100, s19, v100
	v_cmp_gt_i32_e64 s14, 0, v102
	v_cmp_gt_i32_e64 s15, 0, v85
	v_dual_ashrrev_i32 v87, 31, v87 :: v_dual_ashrrev_i32 v85, 31, v101
	s_set_vgpr_msb 0                        ;  msbs: dst=0 src0=0 src1=0 src2=0
	v_bitop3_b32 v84, v84, v98, v96 bitop3:0x80
	v_lshl_add_u32 v86, v86, 2, v12
	v_xor_b32_e32 v99, s18, v99
	v_xor_b32_e32 v87, s14, v87
	;; [unrolled: 1-line block ×3, first 2 shown]
	s_delay_alu instid0(VALU_DEP_3) | instskip(SKIP_3) | instid1(VALU_DEP_1)
	v_bitop3_b32 v96, v84, v100, v99 bitop3:0x80
	ds_load_b32 v84, v86 offset:32
	v_add_nc_u32_e32 v86, 32, v86
	; wave barrier
	v_bitop3_b32 v87, v96, v85, v87 bitop3:0x80
	v_mbcnt_lo_u32_b32 v85, v87, 0
	v_cmp_ne_u32_e64 s15, 0, v87
	s_delay_alu instid0(VALU_DEP_2) | instskip(SKIP_1) | instid1(SALU_CYCLE_1)
	v_cmp_eq_u32_e64 s14, 0, v85
	s_and_b32 s15, s15, s14
	s_and_saveexec_b32 s14, s15
	s_cbranch_execz .LBB1009_62
; %bb.61:                               ;   in Loop: Header=BB1009_56 Depth=1
	s_wait_dscnt 0x0
	v_bcnt_u32_b32 v87, v87, v84
	ds_store_b32 v86, v87
.LBB1009_62:                            ;   in Loop: Header=BB1009_56 Depth=1
	s_or_b32 exec_lo, exec_lo, s14
	s_set_vgpr_msb 4                        ;  msbs: dst=0 src0=0 src1=1 src2=0
	v_and_b32_e32 v87, 0xffff, v32 /*v288*/
	; wave barrier
	s_set_vgpr_msb 0                        ;  msbs: dst=0 src0=0 src1=0 src2=0
	s_delay_alu instid0(VALU_DEP_1) | instskip(NEXT) | instid1(VALU_DEP_1)
	v_lshrrev_b32_e32 v87, v10, v87
	v_and_b32_e32 v96, v87, v97
	s_delay_alu instid0(VALU_DEP_1) | instskip(SKIP_1) | instid1(VALU_DEP_2)
	v_lshlrev_b32_e32 v100, 30, v96
	v_bitop3_b32 v87, v87, 1, v97 bitop3:0x80
	v_cmp_gt_i32_e64 s15, 0, v100
	s_delay_alu instid0(VALU_DEP_2) | instskip(NEXT) | instid1(VALU_DEP_1)
	v_add_co_u32 v87, s14, v87, -1
	v_cndmask_b32_e64 v99, 0, 1, s14
	s_delay_alu instid0(VALU_DEP_1) | instskip(SKIP_1) | instid1(VALU_DEP_1)
	v_cmp_ne_u32_e64 s14, 0, v99
	v_not_b32_e32 v99, v100
	v_dual_ashrrev_i32 v99, 31, v99 :: v_dual_lshlrev_b32 v101, 29, v96
	v_dual_lshlrev_b32 v102, 28, v96 :: v_dual_lshlrev_b32 v103, 27, v96
	v_lshlrev_b32_e32 v112, 26, v96
	s_set_vgpr_msb 16                       ;  msbs: dst=0 src0=0 src1=0 src2=1
	v_lshl_add_u32 v98, v96, 3, v19 /*v275*/
	v_cmp_gt_i32_e64 s16, 0, v101
	v_not_b32_e32 v100, v101
	v_not_b32_e32 v101, v102
	v_dual_lshlrev_b32 v113, 25, v96 :: v_dual_lshlrev_b32 v96, 24, v96
	v_cmp_gt_i32_e64 s17, 0, v102
	v_cmp_gt_i32_e64 s18, 0, v103
	v_not_b32_e32 v102, v103
	v_not_b32_e32 v103, v112
	v_dual_ashrrev_i32 v100, 31, v100 :: v_dual_bitop2_b32 v87, s14, v87 bitop3:0x14
	v_dual_ashrrev_i32 v101, 31, v101 :: v_dual_bitop2_b32 v99, s15, v99 bitop3:0x14
	v_cmp_gt_i32_e64 s19, 0, v112
	s_delay_alu instid0(VALU_DEP_4) | instskip(SKIP_1) | instid1(VALU_DEP_4)
	v_dual_ashrrev_i32 v102, 31, v102 :: v_dual_ashrrev_i32 v103, 31, v103
	v_not_b32_e32 v112, v96
	v_xor_b32_e32 v101, s17, v101
	v_bitop3_b32 v87, v87, v99, exec_lo bitop3:0x80
	v_not_b32_e32 v99, v113
	v_xor_b32_e32 v100, s16, v100
	v_xor_b32_e32 v102, s18, v102
	v_cmp_gt_i32_e64 s14, 0, v113
	v_cmp_gt_i32_e64 s15, 0, v96
	v_dual_ashrrev_i32 v99, 31, v99 :: v_dual_ashrrev_i32 v96, 31, v112
	s_set_vgpr_msb 0                        ;  msbs: dst=0 src0=0 src1=0 src2=0
	v_bitop3_b32 v87, v87, v101, v100 bitop3:0x80
	v_lshl_add_u32 v98, v98, 2, v12
	v_xor_b32_e32 v103, s19, v103
	v_xor_b32_e32 v99, s14, v99
	;; [unrolled: 1-line block ×3, first 2 shown]
	s_delay_alu instid0(VALU_DEP_3) | instskip(SKIP_3) | instid1(VALU_DEP_1)
	v_bitop3_b32 v100, v87, v103, v102 bitop3:0x80
	ds_load_b32 v87, v98 offset:32
	v_add_nc_u32_e32 v98, 32, v98
	; wave barrier
	v_bitop3_b32 v99, v100, v96, v99 bitop3:0x80
	v_mbcnt_lo_u32_b32 v96, v99, 0
	v_cmp_ne_u32_e64 s15, 0, v99
	s_delay_alu instid0(VALU_DEP_2) | instskip(SKIP_1) | instid1(SALU_CYCLE_1)
	v_cmp_eq_u32_e64 s14, 0, v96
	s_and_b32 s15, s15, s14
	s_and_saveexec_b32 s14, s15
	s_cbranch_execz .LBB1009_64
; %bb.63:                               ;   in Loop: Header=BB1009_56 Depth=1
	s_wait_dscnt 0x0
	v_bcnt_u32_b32 v99, v99, v87
	ds_store_b32 v98, v99
.LBB1009_64:                            ;   in Loop: Header=BB1009_56 Depth=1
	s_or_b32 exec_lo, exec_lo, s14
	s_set_vgpr_msb 4                        ;  msbs: dst=0 src0=0 src1=1 src2=0
	v_and_b32_e32 v99, 0xffff, v31 /*v287*/
	; wave barrier
	s_set_vgpr_msb 0                        ;  msbs: dst=0 src0=0 src1=0 src2=0
	s_delay_alu instid0(VALU_DEP_1) | instskip(NEXT) | instid1(VALU_DEP_1)
	v_lshrrev_b32_e32 v99, v10, v99
	v_and_b32_e32 v100, v99, v97
	s_delay_alu instid0(VALU_DEP_1) | instskip(SKIP_1) | instid1(VALU_DEP_2)
	v_lshlrev_b32_e32 v103, 30, v100
	v_bitop3_b32 v99, v99, 1, v97 bitop3:0x80
	v_cmp_gt_i32_e64 s15, 0, v103
	s_delay_alu instid0(VALU_DEP_2) | instskip(NEXT) | instid1(VALU_DEP_1)
	v_add_co_u32 v99, s14, v99, -1
	v_cndmask_b32_e64 v102, 0, 1, s14
	s_delay_alu instid0(VALU_DEP_1) | instskip(SKIP_1) | instid1(VALU_DEP_1)
	v_cmp_ne_u32_e64 s14, 0, v102
	v_not_b32_e32 v102, v103
	v_dual_ashrrev_i32 v102, 31, v102 :: v_dual_lshlrev_b32 v112, 29, v100
	v_dual_lshlrev_b32 v113, 28, v100 :: v_dual_lshlrev_b32 v114, 27, v100
	v_lshlrev_b32_e32 v115, 26, v100
	s_set_vgpr_msb 16                       ;  msbs: dst=0 src0=0 src1=0 src2=1
	v_lshl_add_u32 v101, v100, 3, v19 /*v275*/
	v_cmp_gt_i32_e64 s16, 0, v112
	v_not_b32_e32 v103, v112
	v_not_b32_e32 v112, v113
	v_dual_lshlrev_b32 v116, 25, v100 :: v_dual_lshlrev_b32 v100, 24, v100
	v_cmp_gt_i32_e64 s17, 0, v113
	v_cmp_gt_i32_e64 s18, 0, v114
	v_not_b32_e32 v113, v114
	v_not_b32_e32 v114, v115
	v_dual_ashrrev_i32 v112, 31, v112 :: v_dual_bitop2_b32 v99, s14, v99 bitop3:0x14
	v_dual_ashrrev_i32 v103, 31, v103 :: v_dual_bitop2_b32 v102, s15, v102 bitop3:0x14
	v_cmp_gt_i32_e64 s19, 0, v115
	s_delay_alu instid0(VALU_DEP_4)
	v_dual_ashrrev_i32 v113, 31, v113 :: v_dual_ashrrev_i32 v114, 31, v114
	v_not_b32_e32 v115, v100
	v_xor_b32_e32 v112, s17, v112
	v_bitop3_b32 v99, v99, v102, exec_lo bitop3:0x80
	v_not_b32_e32 v102, v116
	v_xor_b32_e32 v103, s16, v103
	v_xor_b32_e32 v114, s19, v114
	v_cmp_gt_i32_e64 s14, 0, v116
	v_cmp_gt_i32_e64 s15, 0, v100
	v_dual_ashrrev_i32 v102, 31, v102 :: v_dual_ashrrev_i32 v100, 31, v115
	s_set_vgpr_msb 0                        ;  msbs: dst=0 src0=0 src1=0 src2=0
	v_bitop3_b32 v99, v99, v112, v103 bitop3:0x80
	v_lshl_add_u32 v103, v101, 2, v12
	v_xor_b32_e32 v113, s18, v113
	v_xor_b32_e32 v102, s14, v102
	;; [unrolled: 1-line block ×3, first 2 shown]
	s_delay_alu instid0(VALU_DEP_3) | instskip(SKIP_3) | instid1(VALU_DEP_2)
	v_bitop3_b32 v101, v99, v114, v113 bitop3:0x80
	ds_load_b32 v99, v103 offset:32
	; wave barrier
	v_bitop3_b32 v101, v101, v100, v102 bitop3:0x80
	v_add_nc_u32_e32 v100, 32, v103
	v_mbcnt_lo_u32_b32 v102, v101, 0
	v_cmp_ne_u32_e64 s15, 0, v101
	s_delay_alu instid0(VALU_DEP_2) | instskip(SKIP_1) | instid1(SALU_CYCLE_1)
	v_cmp_eq_u32_e64 s14, 0, v102
	s_and_b32 s15, s15, s14
	s_and_saveexec_b32 s14, s15
	s_cbranch_execz .LBB1009_66
; %bb.65:                               ;   in Loop: Header=BB1009_56 Depth=1
	s_wait_dscnt 0x0
	v_bcnt_u32_b32 v101, v101, v99
	ds_store_b32 v100, v101
.LBB1009_66:                            ;   in Loop: Header=BB1009_56 Depth=1
	s_or_b32 exec_lo, exec_lo, s14
	s_set_vgpr_msb 4                        ;  msbs: dst=0 src0=0 src1=1 src2=0
	v_and_b32_e32 v101, 0xffff, v35 /*v291*/
	; wave barrier
	s_set_vgpr_msb 0                        ;  msbs: dst=0 src0=0 src1=0 src2=0
	s_delay_alu instid0(VALU_DEP_1) | instskip(NEXT) | instid1(VALU_DEP_1)
	v_lshrrev_b32_e32 v101, v10, v101
	v_and_b32_e32 v103, v101, v97
	s_delay_alu instid0(VALU_DEP_1) | instskip(SKIP_2) | instid1(VALU_DEP_3)
	v_lshlrev_b32_e32 v114, 30, v103
	v_bitop3_b32 v101, v101, 1, v97 bitop3:0x80
	v_lshlrev_b32_e32 v115, 29, v103
	v_cmp_gt_i32_e64 s15, 0, v114
	s_delay_alu instid0(VALU_DEP_3) | instskip(NEXT) | instid1(VALU_DEP_1)
	v_add_co_u32 v101, s14, v101, -1
	v_cndmask_b32_e64 v113, 0, 1, s14
	s_delay_alu instid0(VALU_DEP_1) | instskip(SKIP_2) | instid1(VALU_DEP_1)
	v_cmp_ne_u32_e64 s14, 0, v113
	v_not_b32_e32 v113, v114
	v_not_b32_e32 v114, v115
	v_dual_ashrrev_i32 v114, 31, v114 :: v_dual_lshlrev_b32 v116, 28, v103
	s_set_vgpr_msb 16                       ;  msbs: dst=0 src0=0 src1=0 src2=1
	v_lshl_add_u32 v112, v103, 3, v19 /*v275*/
	v_dual_lshlrev_b32 v117, 27, v103 :: v_dual_lshlrev_b32 v118, 26, v103
	v_dual_lshlrev_b32 v119, 25, v103 :: v_dual_lshlrev_b32 v103, 24, v103
	v_cmp_gt_i32_e64 s16, 0, v115
	v_not_b32_e32 v115, v116
	v_ashrrev_i32_e32 v113, 31, v113
	v_cmp_gt_i32_e64 s17, 0, v116
	v_cmp_gt_i32_e64 s18, 0, v117
	v_not_b32_e32 v116, v117
	v_cmp_gt_i32_e64 s19, 0, v118
	v_not_b32_e32 v117, v118
	v_dual_ashrrev_i32 v115, 31, v115 :: v_dual_bitop2_b32 v101, s14, v101 bitop3:0x14
	v_not_b32_e32 v118, v103
	v_dual_ashrrev_i32 v116, 31, v116 :: v_dual_bitop2_b32 v113, s15, v113 bitop3:0x14
	s_delay_alu instid0(VALU_DEP_4) | instskip(SKIP_1) | instid1(VALU_DEP_4)
	v_dual_ashrrev_i32 v117, 31, v117 :: v_dual_bitop2_b32 v114, s16, v114 bitop3:0x14
	v_cmp_gt_i32_e64 s15, 0, v103
	v_ashrrev_i32_e32 v103, 31, v118
	s_delay_alu instid0(VALU_DEP_4)
	v_bitop3_b32 v101, v101, v113, exec_lo bitop3:0x80
	v_not_b32_e32 v113, v119
	v_xor_b32_e32 v115, s17, v115
	v_xor_b32_e32 v116, s18, v116
	v_cmp_gt_i32_e64 s14, 0, v119
	s_set_vgpr_msb 0                        ;  msbs: dst=0 src0=0 src1=0 src2=0
	v_lshl_add_u32 v112, v112, 2, v12
	v_xor_b32_e32 v117, s19, v117
	v_ashrrev_i32_e32 v113, 31, v113
	v_bitop3_b32 v101, v101, v115, v114 bitop3:0x80
	v_xor_b32_e32 v103, s15, v103
	ds_load_b32 v114, v112 offset:32
	v_dual_add_nc_u32 v112, 32, v112 :: v_dual_bitop2_b32 v113, s14, v113 bitop3:0x14
	v_bitop3_b32 v101, v101, v117, v116 bitop3:0x80
	; wave barrier
	s_delay_alu instid0(VALU_DEP_1) | instskip(NEXT) | instid1(VALU_DEP_1)
	v_bitop3_b32 v101, v101, v103, v113 bitop3:0x80
	v_mbcnt_lo_u32_b32 v115, v101, 0
	v_cmp_ne_u32_e64 s15, 0, v101
	s_delay_alu instid0(VALU_DEP_2) | instskip(SKIP_1) | instid1(SALU_CYCLE_1)
	v_cmp_eq_u32_e64 s14, 0, v115
	s_and_b32 s15, s15, s14
	s_and_saveexec_b32 s14, s15
	s_cbranch_execz .LBB1009_68
; %bb.67:                               ;   in Loop: Header=BB1009_56 Depth=1
	s_wait_dscnt 0x0
	v_bcnt_u32_b32 v101, v101, v114
	ds_store_b32 v112, v101
.LBB1009_68:                            ;   in Loop: Header=BB1009_56 Depth=1
	s_or_b32 exec_lo, exec_lo, s14
	s_set_vgpr_msb 4                        ;  msbs: dst=0 src0=0 src1=1 src2=0
	v_and_b32_e32 v101, 0xffff, v37 /*v293*/
	; wave barrier
	s_set_vgpr_msb 0                        ;  msbs: dst=0 src0=0 src1=0 src2=0
	s_delay_alu instid0(VALU_DEP_1) | instskip(NEXT) | instid1(VALU_DEP_1)
	v_lshrrev_b32_e32 v101, v10, v101
	v_and_b32_e32 v103, v101, v97
	s_delay_alu instid0(VALU_DEP_1) | instskip(SKIP_1) | instid1(VALU_DEP_2)
	v_lshlrev_b32_e32 v117, 30, v103
	v_bitop3_b32 v101, v101, 1, v97 bitop3:0x80
	v_cmp_gt_i32_e64 s15, 0, v117
	s_delay_alu instid0(VALU_DEP_2) | instskip(NEXT) | instid1(VALU_DEP_1)
	v_add_co_u32 v101, s14, v101, -1
	v_cndmask_b32_e64 v116, 0, 1, s14
	s_delay_alu instid0(VALU_DEP_1) | instskip(SKIP_1) | instid1(VALU_DEP_1)
	v_cmp_ne_u32_e64 s14, 0, v116
	v_not_b32_e32 v116, v117
	v_dual_ashrrev_i32 v116, 31, v116 :: v_dual_lshlrev_b32 v118, 29, v103
	v_dual_lshlrev_b32 v119, 28, v103 :: v_dual_lshlrev_b32 v128, 27, v103
	v_lshlrev_b32_e32 v129, 26, v103
	s_set_vgpr_msb 16                       ;  msbs: dst=0 src0=0 src1=0 src2=1
	v_lshl_add_u32 v113, v103, 3, v19 /*v275*/
	v_cmp_gt_i32_e64 s16, 0, v118
	v_not_b32_e32 v117, v118
	v_not_b32_e32 v118, v119
	v_dual_lshlrev_b32 v130, 25, v103 :: v_dual_lshlrev_b32 v103, 24, v103
	v_cmp_gt_i32_e64 s17, 0, v119
	v_cmp_gt_i32_e64 s18, 0, v128
	v_not_b32_e32 v119, v128
	v_not_b32_e32 v128, v129
	v_dual_ashrrev_i32 v118, 31, v118 :: v_dual_bitop2_b32 v101, s14, v101 bitop3:0x14
	v_dual_ashrrev_i32 v117, 31, v117 :: v_dual_bitop2_b32 v116, s15, v116 bitop3:0x14
	v_cmp_gt_i32_e64 s19, 0, v129
	s_delay_alu instid0(VALU_DEP_4)
	v_dual_ashrrev_i32 v119, 31, v119 :: v_dual_ashrrev_i32 v128, 31, v128
	v_not_b32_e32 v129, v103
	v_xor_b32_e32 v118, s17, v118
	v_bitop3_b32 v101, v101, v116, exec_lo bitop3:0x80
	v_not_b32_e32 v116, v130
	v_xor_b32_e32 v117, s16, v117
	v_xor_b32_e32 v128, s19, v128
	v_cmp_gt_i32_e64 s14, 0, v130
	v_cmp_gt_i32_e64 s15, 0, v103
	v_dual_ashrrev_i32 v116, 31, v116 :: v_dual_ashrrev_i32 v103, 31, v129
	s_set_vgpr_msb 0                        ;  msbs: dst=0 src0=0 src1=0 src2=0
	v_bitop3_b32 v101, v101, v118, v117 bitop3:0x80
	v_lshl_add_u32 v113, v113, 2, v12
	v_xor_b32_e32 v119, s18, v119
	v_xor_b32_e32 v117, s14, v116
	s_delay_alu instid0(VALU_DEP_3) | instskip(NEXT) | instid1(VALU_DEP_3)
	v_dual_add_nc_u32 v118, 32, v113 :: v_dual_bitop2_b32 v103, s15, v103 bitop3:0x14
	v_bitop3_b32 v101, v101, v128, v119 bitop3:0x80
	ds_load_b32 v116, v113 offset:32
	; wave barrier
	v_bitop3_b32 v101, v101, v103, v117 bitop3:0x80
	s_delay_alu instid0(VALU_DEP_1) | instskip(SKIP_1) | instid1(VALU_DEP_2)
	v_mbcnt_lo_u32_b32 v128, v101, 0
	v_cmp_ne_u32_e64 s15, 0, v101
	v_cmp_eq_u32_e64 s14, 0, v128
	s_and_b32 s15, s15, s14
	s_delay_alu instid0(SALU_CYCLE_1)
	s_and_saveexec_b32 s14, s15
	s_cbranch_execz .LBB1009_70
; %bb.69:                               ;   in Loop: Header=BB1009_56 Depth=1
	s_wait_dscnt 0x0
	v_bcnt_u32_b32 v101, v101, v116
	ds_store_b32 v118, v101
.LBB1009_70:                            ;   in Loop: Header=BB1009_56 Depth=1
	s_or_b32 exec_lo, exec_lo, s14
	s_set_vgpr_msb 4                        ;  msbs: dst=0 src0=0 src1=1 src2=0
	v_and_b32_e32 v101, 0xffff, v36 /*v292*/
	; wave barrier
	s_set_vgpr_msb 0                        ;  msbs: dst=0 src0=0 src1=0 src2=0
	s_delay_alu instid0(VALU_DEP_1) | instskip(NEXT) | instid1(VALU_DEP_1)
	v_lshrrev_b32_e32 v101, v10, v101
	v_and_b32_e32 v103, v101, v97
	s_delay_alu instid0(VALU_DEP_1) | instskip(SKIP_2) | instid1(VALU_DEP_3)
	v_lshlrev_b32_e32 v119, 30, v103
	v_bitop3_b32 v101, v101, 1, v97 bitop3:0x80
	v_lshlrev_b32_e32 v129, 29, v103
	v_cmp_gt_i32_e64 s15, 0, v119
	s_delay_alu instid0(VALU_DEP_3) | instskip(NEXT) | instid1(VALU_DEP_1)
	v_add_co_u32 v101, s14, v101, -1
	v_cndmask_b32_e64 v117, 0, 1, s14
	s_delay_alu instid0(VALU_DEP_1) | instskip(SKIP_2) | instid1(VALU_DEP_1)
	v_cmp_ne_u32_e64 s14, 0, v117
	v_not_b32_e32 v117, v119
	v_not_b32_e32 v119, v129
	v_ashrrev_i32_e32 v119, 31, v119
	v_dual_lshlrev_b32 v130, 28, v103 :: v_dual_lshlrev_b32 v131, 27, v103
	v_lshlrev_b32_e32 v132, 26, v103
	s_set_vgpr_msb 16                       ;  msbs: dst=0 src0=0 src1=0 src2=1
	v_lshl_add_u32 v113, v103, 3, v19 /*v275*/
	v_dual_lshlrev_b32 v133, 25, v103 :: v_dual_lshlrev_b32 v103, 24, v103
	v_cmp_gt_i32_e64 s16, 0, v129
	v_cmp_gt_i32_e64 s17, 0, v130
	v_not_b32_e32 v129, v130
	v_not_b32_e32 v130, v131
	v_ashrrev_i32_e32 v117, 31, v117
	v_cmp_gt_i32_e64 s18, 0, v131
	v_cmp_gt_i32_e64 s19, 0, v132
	v_not_b32_e32 v131, v132
	v_xor_b32_e32 v101, s14, v101
	v_dual_ashrrev_i32 v129, 31, v129 :: v_dual_bitop2_b32 v119, s16, v119 bitop3:0x14
	v_ashrrev_i32_e32 v130, 31, v130
	v_not_b32_e32 v132, v103
	v_dual_ashrrev_i32 v131, 31, v131 :: v_dual_bitop2_b32 v117, s15, v117 bitop3:0x14
	s_delay_alu instid0(VALU_DEP_4) | instskip(SKIP_1) | instid1(VALU_DEP_4)
	v_xor_b32_e32 v129, s17, v129
	v_cmp_gt_i32_e64 s15, 0, v103
	v_ashrrev_i32_e32 v103, 31, v132
	s_delay_alu instid0(VALU_DEP_4)
	v_bitop3_b32 v101, v101, v117, exec_lo bitop3:0x80
	v_not_b32_e32 v117, v133
	v_xor_b32_e32 v130, s18, v130
	v_cmp_gt_i32_e64 s14, 0, v133
	s_set_vgpr_msb 0                        ;  msbs: dst=0 src0=0 src1=0 src2=0
	v_lshl_add_u32 v113, v113, 2, v12
	v_xor_b32_e32 v131, s19, v131
	v_bitop3_b32 v101, v101, v129, v119 bitop3:0x80
	v_dual_ashrrev_i32 v117, 31, v117 :: v_dual_bitop2_b32 v103, s15, v103 bitop3:0x14
	ds_load_b32 v132, v113 offset:32
	v_bitop3_b32 v101, v101, v131, v130 bitop3:0x80
	v_xor_b32_e32 v117, s14, v117
	v_add_nc_u32_e32 v130, 32, v113
	; wave barrier
	s_delay_alu instid0(VALU_DEP_2) | instskip(NEXT) | instid1(VALU_DEP_1)
	v_bitop3_b32 v101, v101, v103, v117 bitop3:0x80
	v_mbcnt_lo_u32_b32 v144, v101, 0
	v_cmp_ne_u32_e64 s15, 0, v101
	s_delay_alu instid0(VALU_DEP_2) | instskip(SKIP_1) | instid1(SALU_CYCLE_1)
	v_cmp_eq_u32_e64 s14, 0, v144
	s_and_b32 s15, s15, s14
	s_and_saveexec_b32 s14, s15
	s_cbranch_execz .LBB1009_72
; %bb.71:                               ;   in Loop: Header=BB1009_56 Depth=1
	s_wait_dscnt 0x0
	v_bcnt_u32_b32 v101, v101, v132
	ds_store_b32 v130, v101
.LBB1009_72:                            ;   in Loop: Header=BB1009_56 Depth=1
	s_or_b32 exec_lo, exec_lo, s14
	s_set_vgpr_msb 4                        ;  msbs: dst=0 src0=0 src1=1 src2=0
	v_and_b32_e32 v101, 0xffff, v39 /*v295*/
	; wave barrier
	s_set_vgpr_msb 0                        ;  msbs: dst=0 src0=0 src1=0 src2=0
	s_delay_alu instid0(VALU_DEP_1) | instskip(NEXT) | instid1(VALU_DEP_1)
	v_lshrrev_b32_e32 v101, v10, v101
	v_and_b32_e32 v103, v101, v97
	s_delay_alu instid0(VALU_DEP_1) | instskip(SKIP_2) | instid1(VALU_DEP_3)
	v_lshlrev_b32_e32 v119, 30, v103
	v_bitop3_b32 v101, v101, 1, v97 bitop3:0x80
	v_lshlrev_b32_e32 v129, 29, v103
	v_cmp_gt_i32_e64 s15, 0, v119
	s_delay_alu instid0(VALU_DEP_3) | instskip(NEXT) | instid1(VALU_DEP_1)
	v_add_co_u32 v101, s14, v101, -1
	v_cndmask_b32_e64 v117, 0, 1, s14
	s_delay_alu instid0(VALU_DEP_1) | instskip(SKIP_2) | instid1(VALU_DEP_1)
	v_cmp_ne_u32_e64 s14, 0, v117
	v_not_b32_e32 v117, v119
	v_not_b32_e32 v119, v129
	v_ashrrev_i32_e32 v119, 31, v119
	v_dual_lshlrev_b32 v131, 28, v103 :: v_dual_lshlrev_b32 v133, 27, v103
	v_lshlrev_b32_e32 v134, 26, v103
	s_set_vgpr_msb 16                       ;  msbs: dst=0 src0=0 src1=0 src2=1
	v_lshl_add_u32 v113, v103, 3, v19 /*v275*/
	v_dual_lshlrev_b32 v135, 25, v103 :: v_dual_lshlrev_b32 v103, 24, v103
	v_cmp_gt_i32_e64 s16, 0, v129
	v_cmp_gt_i32_e64 s17, 0, v131
	v_not_b32_e32 v129, v131
	v_not_b32_e32 v131, v133
	v_ashrrev_i32_e32 v117, 31, v117
	v_cmp_gt_i32_e64 s18, 0, v133
	v_cmp_gt_i32_e64 s19, 0, v134
	v_not_b32_e32 v133, v134
	v_dual_ashrrev_i32 v129, 31, v129 :: v_dual_bitop2_b32 v119, s16, v119 bitop3:0x14
	v_dual_ashrrev_i32 v131, 31, v131 :: v_dual_bitop2_b32 v117, s15, v117 bitop3:0x14
	v_not_b32_e32 v134, v103
	v_xor_b32_e32 v101, s14, v101
	s_delay_alu instid0(VALU_DEP_3)
	v_dual_ashrrev_i32 v133, 31, v133 :: v_dual_bitop2_b32 v131, s18, v131 bitop3:0x14
	v_xor_b32_e32 v129, s17, v129
	v_cmp_gt_i32_e64 s15, 0, v103
	v_ashrrev_i32_e32 v103, 31, v134
	v_bitop3_b32 v101, v101, v117, exec_lo bitop3:0x80
	v_not_b32_e32 v117, v135
	v_xor_b32_e32 v133, s19, v133
	v_cmp_gt_i32_e64 s14, 0, v135
	s_set_vgpr_msb 0                        ;  msbs: dst=0 src0=0 src1=0 src2=0
	v_lshl_add_u32 v113, v113, 2, v12
	v_bitop3_b32 v101, v101, v129, v119 bitop3:0x80
	v_dual_ashrrev_i32 v117, 31, v117 :: v_dual_bitop2_b32 v103, s15, v103 bitop3:0x14
	ds_load_b32 v148, v113 offset:32
	v_bitop3_b32 v101, v101, v133, v131 bitop3:0x80
	v_xor_b32_e32 v117, s14, v117
	v_add_nc_u32_e32 v134, 32, v113
	; wave barrier
	s_delay_alu instid0(VALU_DEP_2) | instskip(NEXT) | instid1(VALU_DEP_1)
	v_bitop3_b32 v101, v101, v103, v117 bitop3:0x80
	v_mbcnt_lo_u32_b32 v150, v101, 0
	v_cmp_ne_u32_e64 s15, 0, v101
	s_delay_alu instid0(VALU_DEP_2) | instskip(SKIP_1) | instid1(SALU_CYCLE_1)
	v_cmp_eq_u32_e64 s14, 0, v150
	s_and_b32 s15, s15, s14
	s_and_saveexec_b32 s14, s15
	s_cbranch_execz .LBB1009_74
; %bb.73:                               ;   in Loop: Header=BB1009_56 Depth=1
	s_wait_dscnt 0x0
	v_bcnt_u32_b32 v101, v101, v148
	ds_store_b32 v134, v101
.LBB1009_74:                            ;   in Loop: Header=BB1009_56 Depth=1
	s_or_b32 exec_lo, exec_lo, s14
	s_set_vgpr_msb 4                        ;  msbs: dst=0 src0=0 src1=1 src2=0
	v_and_b32_e32 v101, 0xffff, v38 /*v294*/
	; wave barrier
	s_set_vgpr_msb 0                        ;  msbs: dst=0 src0=0 src1=0 src2=0
	s_delay_alu instid0(VALU_DEP_1) | instskip(NEXT) | instid1(VALU_DEP_1)
	v_lshrrev_b32_e32 v101, v10, v101
	v_and_b32_e32 v103, v101, v97
	s_delay_alu instid0(VALU_DEP_1) | instskip(SKIP_2) | instid1(VALU_DEP_3)
	v_lshlrev_b32_e32 v119, 30, v103
	v_bitop3_b32 v101, v101, 1, v97 bitop3:0x80
	v_lshlrev_b32_e32 v129, 29, v103
	v_cmp_gt_i32_e64 s15, 0, v119
	s_delay_alu instid0(VALU_DEP_3) | instskip(NEXT) | instid1(VALU_DEP_1)
	v_add_co_u32 v101, s14, v101, -1
	v_cndmask_b32_e64 v117, 0, 1, s14
	s_delay_alu instid0(VALU_DEP_1) | instskip(SKIP_2) | instid1(VALU_DEP_1)
	v_cmp_ne_u32_e64 s14, 0, v117
	v_not_b32_e32 v117, v119
	v_not_b32_e32 v119, v129
	v_ashrrev_i32_e32 v119, 31, v119
	v_dual_lshlrev_b32 v131, 28, v103 :: v_dual_lshlrev_b32 v133, 27, v103
	v_lshlrev_b32_e32 v135, 26, v103
	s_set_vgpr_msb 16                       ;  msbs: dst=0 src0=0 src1=0 src2=1
	v_lshl_add_u32 v113, v103, 3, v19 /*v275*/
	v_dual_lshlrev_b32 v145, 25, v103 :: v_dual_lshlrev_b32 v103, 24, v103
	v_cmp_gt_i32_e64 s16, 0, v129
	v_cmp_gt_i32_e64 s17, 0, v131
	v_not_b32_e32 v129, v131
	v_not_b32_e32 v131, v133
	v_ashrrev_i32_e32 v117, 31, v117
	v_cmp_gt_i32_e64 s18, 0, v133
	v_cmp_gt_i32_e64 s19, 0, v135
	v_not_b32_e32 v133, v135
	v_dual_ashrrev_i32 v129, 31, v129 :: v_dual_bitop2_b32 v119, s16, v119 bitop3:0x14
	v_dual_ashrrev_i32 v131, 31, v131 :: v_dual_bitop2_b32 v117, s15, v117 bitop3:0x14
	v_not_b32_e32 v135, v103
	v_xor_b32_e32 v101, s14, v101
	s_delay_alu instid0(VALU_DEP_3)
	v_dual_ashrrev_i32 v133, 31, v133 :: v_dual_bitop2_b32 v131, s18, v131 bitop3:0x14
	v_xor_b32_e32 v129, s17, v129
	v_cmp_gt_i32_e64 s15, 0, v103
	v_ashrrev_i32_e32 v103, 31, v135
	v_bitop3_b32 v101, v101, v117, exec_lo bitop3:0x80
	v_not_b32_e32 v117, v145
	v_xor_b32_e32 v133, s19, v133
	v_cmp_gt_i32_e64 s14, 0, v145
	s_set_vgpr_msb 0                        ;  msbs: dst=0 src0=0 src1=0 src2=0
	v_lshl_add_u32 v113, v113, 2, v12
	v_bitop3_b32 v101, v101, v129, v119 bitop3:0x80
	v_dual_ashrrev_i32 v117, 31, v117 :: v_dual_bitop2_b32 v103, s15, v103 bitop3:0x14
	ds_load_b32 v160, v113 offset:32
	v_bitop3_b32 v101, v101, v133, v131 bitop3:0x80
	v_xor_b32_e32 v117, s14, v117
	v_add_nc_u32_e32 v146, 32, v113
	; wave barrier
	s_delay_alu instid0(VALU_DEP_2) | instskip(NEXT) | instid1(VALU_DEP_1)
	v_bitop3_b32 v101, v101, v103, v117 bitop3:0x80
	v_mbcnt_lo_u32_b32 v162, v101, 0
	v_cmp_ne_u32_e64 s15, 0, v101
	s_delay_alu instid0(VALU_DEP_2) | instskip(SKIP_1) | instid1(SALU_CYCLE_1)
	v_cmp_eq_u32_e64 s14, 0, v162
	s_and_b32 s15, s15, s14
	s_and_saveexec_b32 s14, s15
	s_cbranch_execz .LBB1009_76
; %bb.75:                               ;   in Loop: Header=BB1009_56 Depth=1
	s_wait_dscnt 0x0
	v_bcnt_u32_b32 v101, v101, v160
	ds_store_b32 v146, v101
.LBB1009_76:                            ;   in Loop: Header=BB1009_56 Depth=1
	s_or_b32 exec_lo, exec_lo, s14
	s_set_vgpr_msb 4                        ;  msbs: dst=0 src0=0 src1=1 src2=0
	v_and_b32_e32 v101, 0xffff, v40 /*v296*/
	; wave barrier
	s_set_vgpr_msb 0                        ;  msbs: dst=0 src0=0 src1=0 src2=0
	s_delay_alu instid0(VALU_DEP_1) | instskip(NEXT) | instid1(VALU_DEP_1)
	v_lshrrev_b32_e32 v101, v10, v101
	v_and_b32_e32 v103, v101, v97
	s_delay_alu instid0(VALU_DEP_1) | instskip(SKIP_2) | instid1(VALU_DEP_3)
	v_lshlrev_b32_e32 v119, 30, v103
	v_bitop3_b32 v101, v101, 1, v97 bitop3:0x80
	v_lshlrev_b32_e32 v129, 29, v103
	v_cmp_gt_i32_e64 s15, 0, v119
	s_delay_alu instid0(VALU_DEP_3) | instskip(NEXT) | instid1(VALU_DEP_1)
	v_add_co_u32 v101, s14, v101, -1
	v_cndmask_b32_e64 v117, 0, 1, s14
	s_delay_alu instid0(VALU_DEP_1) | instskip(SKIP_2) | instid1(VALU_DEP_1)
	v_cmp_ne_u32_e64 s14, 0, v117
	v_not_b32_e32 v117, v119
	v_not_b32_e32 v119, v129
	v_ashrrev_i32_e32 v119, 31, v119
	v_dual_lshlrev_b32 v131, 28, v103 :: v_dual_lshlrev_b32 v133, 27, v103
	v_lshlrev_b32_e32 v135, 26, v103
	s_set_vgpr_msb 16                       ;  msbs: dst=0 src0=0 src1=0 src2=1
	v_lshl_add_u32 v113, v103, 3, v19 /*v275*/
	v_dual_lshlrev_b32 v145, 25, v103 :: v_dual_lshlrev_b32 v103, 24, v103
	v_cmp_gt_i32_e64 s16, 0, v129
	v_cmp_gt_i32_e64 s17, 0, v131
	v_not_b32_e32 v129, v131
	v_not_b32_e32 v131, v133
	v_ashrrev_i32_e32 v117, 31, v117
	v_cmp_gt_i32_e64 s18, 0, v133
	v_cmp_gt_i32_e64 s19, 0, v135
	v_not_b32_e32 v133, v135
	v_dual_ashrrev_i32 v129, 31, v129 :: v_dual_bitop2_b32 v119, s16, v119 bitop3:0x14
	v_dual_ashrrev_i32 v131, 31, v131 :: v_dual_bitop2_b32 v117, s15, v117 bitop3:0x14
	v_not_b32_e32 v135, v103
	v_xor_b32_e32 v101, s14, v101
	s_delay_alu instid0(VALU_DEP_3)
	v_dual_ashrrev_i32 v133, 31, v133 :: v_dual_bitop2_b32 v131, s18, v131 bitop3:0x14
	v_xor_b32_e32 v129, s17, v129
	v_cmp_gt_i32_e64 s15, 0, v103
	v_ashrrev_i32_e32 v103, 31, v135
	v_bitop3_b32 v101, v101, v117, exec_lo bitop3:0x80
	v_not_b32_e32 v117, v145
	v_xor_b32_e32 v133, s19, v133
	v_cmp_gt_i32_e64 s14, 0, v145
	s_set_vgpr_msb 0                        ;  msbs: dst=0 src0=0 src1=0 src2=0
	v_lshl_add_u32 v113, v113, 2, v12
	v_bitop3_b32 v101, v101, v129, v119 bitop3:0x80
	v_dual_ashrrev_i32 v117, 31, v117 :: v_dual_bitop2_b32 v103, s15, v103 bitop3:0x14
	ds_load_b32 v163, v113 offset:32
	v_bitop3_b32 v101, v101, v133, v131 bitop3:0x80
	v_xor_b32_e32 v117, s14, v117
	v_add_nc_u32_e32 v165, 32, v113
	; wave barrier
	s_delay_alu instid0(VALU_DEP_2) | instskip(NEXT) | instid1(VALU_DEP_1)
	v_bitop3_b32 v101, v101, v103, v117 bitop3:0x80
	v_mbcnt_lo_u32_b32 v164, v101, 0
	v_cmp_ne_u32_e64 s15, 0, v101
	s_delay_alu instid0(VALU_DEP_2) | instskip(SKIP_1) | instid1(SALU_CYCLE_1)
	v_cmp_eq_u32_e64 s14, 0, v164
	s_and_b32 s15, s15, s14
	s_and_saveexec_b32 s14, s15
	s_cbranch_execz .LBB1009_78
; %bb.77:                               ;   in Loop: Header=BB1009_56 Depth=1
	s_wait_dscnt 0x0
	v_bcnt_u32_b32 v101, v101, v163
	ds_store_b32 v165, v101
.LBB1009_78:                            ;   in Loop: Header=BB1009_56 Depth=1
	s_or_b32 exec_lo, exec_lo, s14
	s_set_vgpr_msb 4                        ;  msbs: dst=0 src0=0 src1=1 src2=0
	v_and_b32_e32 v101, 0xffff, v41 /*v297*/
	; wave barrier
	s_set_vgpr_msb 0                        ;  msbs: dst=0 src0=0 src1=0 src2=0
	s_delay_alu instid0(VALU_DEP_1) | instskip(NEXT) | instid1(VALU_DEP_1)
	v_lshrrev_b32_e32 v101, v10, v101
	v_and_b32_e32 v103, v101, v97
	s_delay_alu instid0(VALU_DEP_1) | instskip(SKIP_2) | instid1(VALU_DEP_3)
	v_lshlrev_b32_e32 v119, 30, v103
	v_bitop3_b32 v101, v101, 1, v97 bitop3:0x80
	v_lshlrev_b32_e32 v129, 29, v103
	v_cmp_gt_i32_e64 s15, 0, v119
	s_delay_alu instid0(VALU_DEP_3) | instskip(NEXT) | instid1(VALU_DEP_1)
	v_add_co_u32 v101, s14, v101, -1
	v_cndmask_b32_e64 v117, 0, 1, s14
	s_delay_alu instid0(VALU_DEP_1) | instskip(SKIP_2) | instid1(VALU_DEP_1)
	v_cmp_ne_u32_e64 s14, 0, v117
	v_not_b32_e32 v117, v119
	v_not_b32_e32 v119, v129
	v_ashrrev_i32_e32 v119, 31, v119
	v_dual_lshlrev_b32 v131, 28, v103 :: v_dual_lshlrev_b32 v133, 27, v103
	v_lshlrev_b32_e32 v135, 26, v103
	s_set_vgpr_msb 16                       ;  msbs: dst=0 src0=0 src1=0 src2=1
	v_lshl_add_u32 v113, v103, 3, v19 /*v275*/
	v_dual_lshlrev_b32 v145, 25, v103 :: v_dual_lshlrev_b32 v103, 24, v103
	v_cmp_gt_i32_e64 s16, 0, v129
	v_cmp_gt_i32_e64 s17, 0, v131
	v_not_b32_e32 v129, v131
	v_not_b32_e32 v131, v133
	v_ashrrev_i32_e32 v117, 31, v117
	v_cmp_gt_i32_e64 s18, 0, v133
	v_cmp_gt_i32_e64 s19, 0, v135
	v_not_b32_e32 v133, v135
	v_dual_ashrrev_i32 v129, 31, v129 :: v_dual_bitop2_b32 v119, s16, v119 bitop3:0x14
	v_dual_ashrrev_i32 v131, 31, v131 :: v_dual_bitop2_b32 v117, s15, v117 bitop3:0x14
	v_not_b32_e32 v135, v103
	v_xor_b32_e32 v101, s14, v101
	s_delay_alu instid0(VALU_DEP_3)
	v_dual_ashrrev_i32 v133, 31, v133 :: v_dual_bitop2_b32 v131, s18, v131 bitop3:0x14
	v_xor_b32_e32 v129, s17, v129
	v_cmp_gt_i32_e64 s15, 0, v103
	v_ashrrev_i32_e32 v103, 31, v135
	v_bitop3_b32 v101, v101, v117, exec_lo bitop3:0x80
	v_not_b32_e32 v117, v145
	v_xor_b32_e32 v133, s19, v133
	v_cmp_gt_i32_e64 s14, 0, v145
	s_set_vgpr_msb 0                        ;  msbs: dst=0 src0=0 src1=0 src2=0
	v_lshl_add_u32 v113, v113, 2, v12
	v_bitop3_b32 v101, v101, v129, v119 bitop3:0x80
	v_dual_ashrrev_i32 v117, 31, v117 :: v_dual_bitop2_b32 v103, s15, v103 bitop3:0x14
	ds_load_b32 v166, v113 offset:32
	v_bitop3_b32 v101, v101, v133, v131 bitop3:0x80
	v_xor_b32_e32 v117, s14, v117
	v_add_nc_u32_e32 v167, 32, v113
	; wave barrier
	s_delay_alu instid0(VALU_DEP_2) | instskip(NEXT) | instid1(VALU_DEP_1)
	v_bitop3_b32 v101, v101, v103, v117 bitop3:0x80
	v_mbcnt_lo_u32_b32 v176, v101, 0
	v_cmp_ne_u32_e64 s15, 0, v101
	s_delay_alu instid0(VALU_DEP_2) | instskip(SKIP_1) | instid1(SALU_CYCLE_1)
	v_cmp_eq_u32_e64 s14, 0, v176
	s_and_b32 s15, s15, s14
	s_and_saveexec_b32 s14, s15
	s_cbranch_execz .LBB1009_80
; %bb.79:                               ;   in Loop: Header=BB1009_56 Depth=1
	s_wait_dscnt 0x0
	v_bcnt_u32_b32 v101, v101, v166
	ds_store_b32 v167, v101
.LBB1009_80:                            ;   in Loop: Header=BB1009_56 Depth=1
	s_or_b32 exec_lo, exec_lo, s14
	s_set_vgpr_msb 4                        ;  msbs: dst=0 src0=0 src1=1 src2=0
	v_and_b32_e32 v101, 0xffff, v42 /*v298*/
	; wave barrier
	s_set_vgpr_msb 0                        ;  msbs: dst=0 src0=0 src1=0 src2=0
	s_delay_alu instid0(VALU_DEP_1) | instskip(NEXT) | instid1(VALU_DEP_1)
	v_lshrrev_b32_e32 v101, v10, v101
	v_and_b32_e32 v103, v101, v97
	s_delay_alu instid0(VALU_DEP_1) | instskip(SKIP_2) | instid1(VALU_DEP_3)
	v_lshlrev_b32_e32 v119, 30, v103
	v_bitop3_b32 v101, v101, 1, v97 bitop3:0x80
	v_lshlrev_b32_e32 v129, 29, v103
	v_cmp_gt_i32_e64 s15, 0, v119
	s_delay_alu instid0(VALU_DEP_3) | instskip(NEXT) | instid1(VALU_DEP_1)
	v_add_co_u32 v101, s14, v101, -1
	v_cndmask_b32_e64 v117, 0, 1, s14
	s_delay_alu instid0(VALU_DEP_1) | instskip(SKIP_2) | instid1(VALU_DEP_1)
	v_cmp_ne_u32_e64 s14, 0, v117
	v_not_b32_e32 v117, v119
	v_not_b32_e32 v119, v129
	v_ashrrev_i32_e32 v119, 31, v119
	v_dual_lshlrev_b32 v131, 28, v103 :: v_dual_lshlrev_b32 v133, 27, v103
	v_lshlrev_b32_e32 v135, 26, v103
	s_set_vgpr_msb 16                       ;  msbs: dst=0 src0=0 src1=0 src2=1
	v_lshl_add_u32 v113, v103, 3, v19 /*v275*/
	v_dual_lshlrev_b32 v145, 25, v103 :: v_dual_lshlrev_b32 v103, 24, v103
	v_cmp_gt_i32_e64 s16, 0, v129
	v_cmp_gt_i32_e64 s17, 0, v131
	v_not_b32_e32 v129, v131
	v_not_b32_e32 v131, v133
	v_ashrrev_i32_e32 v117, 31, v117
	v_cmp_gt_i32_e64 s18, 0, v133
	v_cmp_gt_i32_e64 s19, 0, v135
	v_not_b32_e32 v133, v135
	v_dual_ashrrev_i32 v129, 31, v129 :: v_dual_bitop2_b32 v119, s16, v119 bitop3:0x14
	v_dual_ashrrev_i32 v131, 31, v131 :: v_dual_bitop2_b32 v117, s15, v117 bitop3:0x14
	v_not_b32_e32 v135, v103
	v_xor_b32_e32 v101, s14, v101
	s_delay_alu instid0(VALU_DEP_3)
	v_dual_ashrrev_i32 v133, 31, v133 :: v_dual_bitop2_b32 v131, s18, v131 bitop3:0x14
	v_xor_b32_e32 v129, s17, v129
	v_cmp_gt_i32_e64 s15, 0, v103
	v_ashrrev_i32_e32 v103, 31, v135
	v_bitop3_b32 v101, v101, v117, exec_lo bitop3:0x80
	v_not_b32_e32 v117, v145
	v_xor_b32_e32 v133, s19, v133
	v_cmp_gt_i32_e64 s14, 0, v145
	s_set_vgpr_msb 0                        ;  msbs: dst=0 src0=0 src1=0 src2=0
	v_lshl_add_u32 v113, v113, 2, v12
	v_bitop3_b32 v101, v101, v129, v119 bitop3:0x80
	v_dual_ashrrev_i32 v117, 31, v117 :: v_dual_bitop2_b32 v103, s15, v103 bitop3:0x14
	ds_load_b32 v178, v113 offset:32
	v_bitop3_b32 v101, v101, v133, v131 bitop3:0x80
	v_xor_b32_e32 v117, s14, v117
	v_add_nc_u32_e32 v177, 32, v113
	; wave barrier
	s_delay_alu instid0(VALU_DEP_2) | instskip(NEXT) | instid1(VALU_DEP_1)
	v_bitop3_b32 v101, v101, v103, v117 bitop3:0x80
	v_mbcnt_lo_u32_b32 v179, v101, 0
	v_cmp_ne_u32_e64 s15, 0, v101
	s_delay_alu instid0(VALU_DEP_2) | instskip(SKIP_1) | instid1(SALU_CYCLE_1)
	v_cmp_eq_u32_e64 s14, 0, v179
	s_and_b32 s15, s15, s14
	s_and_saveexec_b32 s14, s15
	s_cbranch_execz .LBB1009_82
; %bb.81:                               ;   in Loop: Header=BB1009_56 Depth=1
	s_wait_dscnt 0x0
	v_bcnt_u32_b32 v101, v101, v178
	ds_store_b32 v177, v101
.LBB1009_82:                            ;   in Loop: Header=BB1009_56 Depth=1
	s_or_b32 exec_lo, exec_lo, s14
	s_set_vgpr_msb 4                        ;  msbs: dst=0 src0=0 src1=1 src2=0
	v_and_b32_e32 v101, 0xffff, v43 /*v299*/
	; wave barrier
	s_set_vgpr_msb 0                        ;  msbs: dst=0 src0=0 src1=0 src2=0
	s_delay_alu instid0(VALU_DEP_1) | instskip(NEXT) | instid1(VALU_DEP_1)
	v_lshrrev_b32_e32 v101, v10, v101
	v_and_b32_e32 v103, v101, v97
	s_delay_alu instid0(VALU_DEP_1) | instskip(SKIP_2) | instid1(VALU_DEP_3)
	v_lshlrev_b32_e32 v119, 30, v103
	v_bitop3_b32 v101, v101, 1, v97 bitop3:0x80
	v_lshlrev_b32_e32 v129, 29, v103
	v_cmp_gt_i32_e64 s15, 0, v119
	s_delay_alu instid0(VALU_DEP_3) | instskip(NEXT) | instid1(VALU_DEP_1)
	v_add_co_u32 v101, s14, v101, -1
	v_cndmask_b32_e64 v117, 0, 1, s14
	s_delay_alu instid0(VALU_DEP_1) | instskip(SKIP_2) | instid1(VALU_DEP_1)
	v_cmp_ne_u32_e64 s14, 0, v117
	v_not_b32_e32 v117, v119
	v_not_b32_e32 v119, v129
	v_ashrrev_i32_e32 v119, 31, v119
	v_dual_lshlrev_b32 v131, 28, v103 :: v_dual_lshlrev_b32 v133, 27, v103
	v_lshlrev_b32_e32 v135, 26, v103
	s_set_vgpr_msb 16                       ;  msbs: dst=0 src0=0 src1=0 src2=1
	v_lshl_add_u32 v113, v103, 3, v19 /*v275*/
	v_dual_lshlrev_b32 v145, 25, v103 :: v_dual_lshlrev_b32 v103, 24, v103
	v_cmp_gt_i32_e64 s16, 0, v129
	v_cmp_gt_i32_e64 s17, 0, v131
	v_not_b32_e32 v129, v131
	v_not_b32_e32 v131, v133
	v_ashrrev_i32_e32 v117, 31, v117
	v_cmp_gt_i32_e64 s18, 0, v133
	v_cmp_gt_i32_e64 s19, 0, v135
	v_not_b32_e32 v133, v135
	v_dual_ashrrev_i32 v129, 31, v129 :: v_dual_bitop2_b32 v119, s16, v119 bitop3:0x14
	v_dual_ashrrev_i32 v131, 31, v131 :: v_dual_bitop2_b32 v117, s15, v117 bitop3:0x14
	v_not_b32_e32 v135, v103
	v_xor_b32_e32 v101, s14, v101
	s_delay_alu instid0(VALU_DEP_3)
	v_dual_ashrrev_i32 v133, 31, v133 :: v_dual_bitop2_b32 v131, s18, v131 bitop3:0x14
	v_xor_b32_e32 v129, s17, v129
	v_cmp_gt_i32_e64 s15, 0, v103
	v_ashrrev_i32_e32 v103, 31, v135
	v_bitop3_b32 v101, v101, v117, exec_lo bitop3:0x80
	v_not_b32_e32 v117, v145
	v_xor_b32_e32 v133, s19, v133
	v_cmp_gt_i32_e64 s14, 0, v145
	s_set_vgpr_msb 0                        ;  msbs: dst=0 src0=0 src1=0 src2=0
	v_lshl_add_u32 v113, v113, 2, v12
	v_bitop3_b32 v101, v101, v129, v119 bitop3:0x80
	v_dual_ashrrev_i32 v117, 31, v117 :: v_dual_bitop2_b32 v103, s15, v103 bitop3:0x14
	ds_load_b32 v180, v113 offset:32
	v_bitop3_b32 v101, v101, v133, v131 bitop3:0x80
	v_xor_b32_e32 v117, s14, v117
	v_add_nc_u32_e32 v182, 32, v113
	; wave barrier
	s_delay_alu instid0(VALU_DEP_2) | instskip(NEXT) | instid1(VALU_DEP_1)
	v_bitop3_b32 v101, v101, v103, v117 bitop3:0x80
	v_mbcnt_lo_u32_b32 v181, v101, 0
	v_cmp_ne_u32_e64 s15, 0, v101
	s_delay_alu instid0(VALU_DEP_2) | instskip(SKIP_1) | instid1(SALU_CYCLE_1)
	v_cmp_eq_u32_e64 s14, 0, v181
	s_and_b32 s15, s15, s14
	s_and_saveexec_b32 s14, s15
	s_cbranch_execz .LBB1009_84
; %bb.83:                               ;   in Loop: Header=BB1009_56 Depth=1
	s_wait_dscnt 0x0
	v_bcnt_u32_b32 v101, v101, v180
	ds_store_b32 v182, v101
.LBB1009_84:                            ;   in Loop: Header=BB1009_56 Depth=1
	s_or_b32 exec_lo, exec_lo, s14
	s_set_vgpr_msb 4                        ;  msbs: dst=0 src0=0 src1=1 src2=0
	v_and_b32_e32 v101, 0xffff, v45 /*v301*/
	; wave barrier
	s_set_vgpr_msb 0                        ;  msbs: dst=0 src0=0 src1=0 src2=0
	s_delay_alu instid0(VALU_DEP_1) | instskip(NEXT) | instid1(VALU_DEP_1)
	v_lshrrev_b32_e32 v101, v10, v101
	v_and_b32_e32 v103, v101, v97
	s_delay_alu instid0(VALU_DEP_1) | instskip(SKIP_2) | instid1(VALU_DEP_3)
	v_lshlrev_b32_e32 v119, 30, v103
	v_bitop3_b32 v101, v101, 1, v97 bitop3:0x80
	v_lshlrev_b32_e32 v129, 29, v103
	v_cmp_gt_i32_e64 s15, 0, v119
	s_delay_alu instid0(VALU_DEP_3) | instskip(NEXT) | instid1(VALU_DEP_1)
	v_add_co_u32 v101, s14, v101, -1
	v_cndmask_b32_e64 v117, 0, 1, s14
	s_delay_alu instid0(VALU_DEP_1) | instskip(SKIP_2) | instid1(VALU_DEP_1)
	v_cmp_ne_u32_e64 s14, 0, v117
	v_not_b32_e32 v117, v119
	v_not_b32_e32 v119, v129
	v_ashrrev_i32_e32 v119, 31, v119
	v_dual_lshlrev_b32 v131, 28, v103 :: v_dual_lshlrev_b32 v133, 27, v103
	v_lshlrev_b32_e32 v135, 26, v103
	s_set_vgpr_msb 16                       ;  msbs: dst=0 src0=0 src1=0 src2=1
	v_lshl_add_u32 v113, v103, 3, v19 /*v275*/
	v_dual_lshlrev_b32 v145, 25, v103 :: v_dual_lshlrev_b32 v103, 24, v103
	v_cmp_gt_i32_e64 s16, 0, v129
	v_cmp_gt_i32_e64 s17, 0, v131
	v_not_b32_e32 v129, v131
	v_not_b32_e32 v131, v133
	v_ashrrev_i32_e32 v117, 31, v117
	v_cmp_gt_i32_e64 s18, 0, v133
	v_cmp_gt_i32_e64 s19, 0, v135
	v_not_b32_e32 v133, v135
	v_dual_ashrrev_i32 v129, 31, v129 :: v_dual_bitop2_b32 v119, s16, v119 bitop3:0x14
	v_dual_ashrrev_i32 v131, 31, v131 :: v_dual_bitop2_b32 v117, s15, v117 bitop3:0x14
	v_not_b32_e32 v135, v103
	v_xor_b32_e32 v101, s14, v101
	s_delay_alu instid0(VALU_DEP_3)
	v_dual_ashrrev_i32 v133, 31, v133 :: v_dual_bitop2_b32 v131, s18, v131 bitop3:0x14
	v_xor_b32_e32 v129, s17, v129
	v_cmp_gt_i32_e64 s15, 0, v103
	v_ashrrev_i32_e32 v103, 31, v135
	v_bitop3_b32 v101, v101, v117, exec_lo bitop3:0x80
	v_not_b32_e32 v117, v145
	v_xor_b32_e32 v133, s19, v133
	v_cmp_gt_i32_e64 s14, 0, v145
	s_set_vgpr_msb 0                        ;  msbs: dst=0 src0=0 src1=0 src2=0
	v_lshl_add_u32 v113, v113, 2, v12
	v_bitop3_b32 v101, v101, v129, v119 bitop3:0x80
	v_dual_ashrrev_i32 v117, 31, v117 :: v_dual_bitop2_b32 v103, s15, v103 bitop3:0x14
	ds_load_b32 v183, v113 offset:32
	v_bitop3_b32 v101, v101, v133, v131 bitop3:0x80
	v_xor_b32_e32 v117, s14, v117
	v_add_nc_u32_e32 v193, 32, v113
	; wave barrier
	s_delay_alu instid0(VALU_DEP_2) | instskip(NEXT) | instid1(VALU_DEP_1)
	v_bitop3_b32 v101, v101, v103, v117 bitop3:0x80
	v_mbcnt_lo_u32_b32 v192, v101, 0
	v_cmp_ne_u32_e64 s15, 0, v101
	s_delay_alu instid0(VALU_DEP_2) | instskip(SKIP_1) | instid1(SALU_CYCLE_1)
	v_cmp_eq_u32_e64 s14, 0, v192
	s_and_b32 s15, s15, s14
	s_and_saveexec_b32 s14, s15
	s_cbranch_execz .LBB1009_86
; %bb.85:                               ;   in Loop: Header=BB1009_56 Depth=1
	s_wait_dscnt 0x0
	v_bcnt_u32_b32 v101, v101, v183
	ds_store_b32 v193, v101
.LBB1009_86:                            ;   in Loop: Header=BB1009_56 Depth=1
	s_or_b32 exec_lo, exec_lo, s14
	s_set_vgpr_msb 4                        ;  msbs: dst=0 src0=0 src1=1 src2=0
	v_and_b32_e32 v101, 0xffff, v44 /*v300*/
	; wave barrier
	s_set_vgpr_msb 0                        ;  msbs: dst=0 src0=0 src1=0 src2=0
	s_delay_alu instid0(VALU_DEP_1) | instskip(NEXT) | instid1(VALU_DEP_1)
	v_lshrrev_b32_e32 v101, v10, v101
	v_and_b32_e32 v103, v101, v97
	s_delay_alu instid0(VALU_DEP_1) | instskip(SKIP_2) | instid1(VALU_DEP_3)
	v_lshlrev_b32_e32 v119, 30, v103
	v_bitop3_b32 v101, v101, 1, v97 bitop3:0x80
	v_lshlrev_b32_e32 v129, 29, v103
	v_cmp_gt_i32_e64 s15, 0, v119
	s_delay_alu instid0(VALU_DEP_3) | instskip(NEXT) | instid1(VALU_DEP_1)
	v_add_co_u32 v101, s14, v101, -1
	v_cndmask_b32_e64 v117, 0, 1, s14
	s_delay_alu instid0(VALU_DEP_1) | instskip(SKIP_2) | instid1(VALU_DEP_1)
	v_cmp_ne_u32_e64 s14, 0, v117
	v_not_b32_e32 v117, v119
	v_not_b32_e32 v119, v129
	v_ashrrev_i32_e32 v119, 31, v119
	v_dual_lshlrev_b32 v131, 28, v103 :: v_dual_lshlrev_b32 v133, 27, v103
	v_lshlrev_b32_e32 v135, 26, v103
	s_set_vgpr_msb 16                       ;  msbs: dst=0 src0=0 src1=0 src2=1
	v_lshl_add_u32 v113, v103, 3, v19 /*v275*/
	v_dual_lshlrev_b32 v145, 25, v103 :: v_dual_lshlrev_b32 v103, 24, v103
	v_cmp_gt_i32_e64 s16, 0, v129
	v_cmp_gt_i32_e64 s17, 0, v131
	v_not_b32_e32 v129, v131
	v_not_b32_e32 v131, v133
	v_ashrrev_i32_e32 v117, 31, v117
	v_cmp_gt_i32_e64 s18, 0, v133
	v_cmp_gt_i32_e64 s19, 0, v135
	v_not_b32_e32 v133, v135
	v_dual_ashrrev_i32 v129, 31, v129 :: v_dual_bitop2_b32 v119, s16, v119 bitop3:0x14
	v_dual_ashrrev_i32 v131, 31, v131 :: v_dual_bitop2_b32 v117, s15, v117 bitop3:0x14
	v_not_b32_e32 v135, v103
	v_xor_b32_e32 v101, s14, v101
	s_delay_alu instid0(VALU_DEP_3)
	v_dual_ashrrev_i32 v133, 31, v133 :: v_dual_bitop2_b32 v131, s18, v131 bitop3:0x14
	v_xor_b32_e32 v129, s17, v129
	v_cmp_gt_i32_e64 s15, 0, v103
	v_ashrrev_i32_e32 v103, 31, v135
	v_bitop3_b32 v101, v101, v117, exec_lo bitop3:0x80
	v_not_b32_e32 v117, v145
	v_xor_b32_e32 v133, s19, v133
	v_cmp_gt_i32_e64 s14, 0, v145
	s_set_vgpr_msb 0                        ;  msbs: dst=0 src0=0 src1=0 src2=0
	v_lshl_add_u32 v113, v113, 2, v12
	v_bitop3_b32 v101, v101, v129, v119 bitop3:0x80
	v_dual_ashrrev_i32 v117, 31, v117 :: v_dual_bitop2_b32 v103, s15, v103 bitop3:0x14
	ds_load_b32 v194, v113 offset:32
	v_bitop3_b32 v101, v101, v133, v131 bitop3:0x80
	v_xor_b32_e32 v117, s14, v117
	v_add_nc_u32_e32 v196, 32, v113
	; wave barrier
	s_delay_alu instid0(VALU_DEP_2) | instskip(NEXT) | instid1(VALU_DEP_1)
	v_bitop3_b32 v101, v101, v103, v117 bitop3:0x80
	v_mbcnt_lo_u32_b32 v195, v101, 0
	v_cmp_ne_u32_e64 s15, 0, v101
	s_delay_alu instid0(VALU_DEP_2) | instskip(SKIP_1) | instid1(SALU_CYCLE_1)
	v_cmp_eq_u32_e64 s14, 0, v195
	s_and_b32 s15, s15, s14
	s_and_saveexec_b32 s14, s15
	s_cbranch_execz .LBB1009_88
; %bb.87:                               ;   in Loop: Header=BB1009_56 Depth=1
	s_wait_dscnt 0x0
	v_bcnt_u32_b32 v101, v101, v194
	ds_store_b32 v196, v101
.LBB1009_88:                            ;   in Loop: Header=BB1009_56 Depth=1
	s_or_b32 exec_lo, exec_lo, s14
	s_set_vgpr_msb 4                        ;  msbs: dst=0 src0=0 src1=1 src2=0
	v_and_b32_e32 v101, 0xffff, v46 /*v302*/
	; wave barrier
	s_set_vgpr_msb 0                        ;  msbs: dst=0 src0=0 src1=0 src2=0
	s_delay_alu instid0(VALU_DEP_1) | instskip(NEXT) | instid1(VALU_DEP_1)
	v_lshrrev_b32_e32 v101, v10, v101
	v_and_b32_e32 v103, v101, v97
	s_delay_alu instid0(VALU_DEP_1) | instskip(SKIP_2) | instid1(VALU_DEP_3)
	v_lshlrev_b32_e32 v117, 30, v103
	v_bitop3_b32 v97, v101, 1, v97 bitop3:0x80
	v_dual_lshlrev_b32 v119, 29, v103 :: v_dual_lshlrev_b32 v129, 28, v103
	v_cmp_gt_i32_e64 s15, 0, v117
	s_delay_alu instid0(VALU_DEP_3) | instskip(NEXT) | instid1(VALU_DEP_1)
	v_add_co_u32 v97, s14, v97, -1
	v_cndmask_b32_e64 v113, 0, 1, s14
	s_delay_alu instid0(VALU_DEP_4) | instskip(SKIP_1) | instid1(VALU_DEP_3)
	v_cmp_gt_i32_e64 s16, 0, v119
	v_cmp_gt_i32_e64 s17, 0, v129
	v_cmp_ne_u32_e64 s14, 0, v113
	v_not_b32_e32 v113, v117
	v_not_b32_e32 v117, v119
	;; [unrolled: 1-line block ×3, first 2 shown]
	s_delay_alu instid0(VALU_DEP_1) | instskip(SKIP_4) | instid1(VALU_DEP_3)
	v_dual_ashrrev_i32 v119, 31, v119 :: v_dual_bitop2_b32 v97, s14, v97 bitop3:0x14
	v_dual_lshlrev_b32 v131, 27, v103 :: v_dual_lshlrev_b32 v133, 26, v103
	s_set_vgpr_msb 16                       ;  msbs: dst=0 src0=0 src1=0 src2=1
	v_lshl_add_u32 v101, v103, 3, v19 /*v275*/
	v_dual_lshlrev_b32 v135, 25, v103 :: v_dual_lshlrev_b32 v103, 24, v103
	v_cmp_gt_i32_e64 s18, 0, v131
	v_not_b32_e32 v129, v131
	v_not_b32_e32 v131, v133
	v_ashrrev_i32_e32 v113, 31, v113
	v_dual_ashrrev_i32 v117, 31, v117 :: v_dual_bitop2_b32 v119, s17, v119 bitop3:0x14
	v_cmp_gt_i32_e64 s19, 0, v133
	s_delay_alu instid0(VALU_DEP_3) | instskip(SKIP_1) | instid1(VALU_DEP_4)
	v_dual_ashrrev_i32 v131, 31, v131 :: v_dual_bitop2_b32 v113, s15, v113 bitop3:0x14
	v_ashrrev_i32_e32 v129, 31, v129
	v_xor_b32_e32 v117, s16, v117
	v_not_b32_e32 v133, v103
	s_delay_alu instid0(VALU_DEP_4)
	v_xor_b32_e32 v131, s19, v131
	v_bitop3_b32 v97, v97, v113, exec_lo bitop3:0x80
	v_not_b32_e32 v113, v135
	v_xor_b32_e32 v129, s18, v129
	v_cmp_gt_i32_e64 s14, 0, v135
	v_cmp_gt_i32_e64 s15, 0, v103
	s_set_vgpr_msb 0                        ;  msbs: dst=0 src0=0 src1=0 src2=0
	v_bitop3_b32 v97, v97, v119, v117 bitop3:0x80
	v_ashrrev_i32_e32 v103, 31, v133
	v_ashrrev_i32_e32 v113, 31, v113
	v_lshl_add_u32 v117, v101, 2, v12
	s_delay_alu instid0(VALU_DEP_4) | instskip(NEXT) | instid1(VALU_DEP_4)
	v_bitop3_b32 v101, v97, v131, v129 bitop3:0x80
	v_xor_b32_e32 v103, s15, v103
	s_delay_alu instid0(VALU_DEP_4) | instskip(SKIP_3) | instid1(VALU_DEP_1)
	v_xor_b32_e32 v113, s14, v113
	ds_load_b32 v97, v117 offset:32
	v_add_nc_u32_e32 v198, 32, v117
	; wave barrier
	v_bitop3_b32 v101, v101, v103, v113 bitop3:0x80
	v_mbcnt_lo_u32_b32 v197, v101, 0
	v_cmp_ne_u32_e64 s15, 0, v101
	s_delay_alu instid0(VALU_DEP_2) | instskip(SKIP_1) | instid1(SALU_CYCLE_1)
	v_cmp_eq_u32_e64 s14, 0, v197
	s_and_b32 s15, s15, s14
	s_and_saveexec_b32 s14, s15
	s_cbranch_execz .LBB1009_90
; %bb.89:                               ;   in Loop: Header=BB1009_56 Depth=1
	s_wait_dscnt 0x0
	v_bcnt_u32_b32 v101, v101, v97
	ds_store_b32 v198, v101
.LBB1009_90:                            ;   in Loop: Header=BB1009_56 Depth=1
	s_or_b32 exec_lo, exec_lo, s14
	; wave barrier
	s_wait_dscnt 0x0
	s_barrier_signal -1
	s_barrier_wait -1
	ds_load_b32 v103, v19
	ds_load_b32 v113, v39
	s_set_vgpr_msb 1                        ;  msbs: dst=0 src0=1 src1=0 src2=0
	ds_load_b32 v101, v13 /*v269*/
	ds_load_b32 v117, v14 /*v270*/
	;; [unrolled: 1-line block ×6, first 2 shown]
	s_wait_dscnt 0x6
	s_set_vgpr_msb 0                        ;  msbs: dst=0 src0=0 src1=0 src2=0
	v_add_nc_u32_e32 v129, v113, v103
	s_wait_dscnt 0x4
	s_delay_alu instid0(VALU_DEP_1) | instskip(SKIP_1) | instid1(VALU_DEP_1)
	v_add3_u32 v129, v129, v101, v117
	s_wait_dscnt 0x2
	v_add3_u32 v129, v129, v133, v149
	s_wait_dscnt 0x0
	s_delay_alu instid0(VALU_DEP_1) | instskip(NEXT) | instid1(VALU_DEP_1)
	v_add3_u32 v119, v129, v199, v119
	v_mov_b32_dpp v129, v119 row_shr:1 row_mask:0xf bank_mask:0xf
	s_delay_alu instid0(VALU_DEP_1) | instskip(NEXT) | instid1(VALU_DEP_1)
	v_cndmask_b32_e64 v129, v129, 0, vcc_lo
	v_add_nc_u32_e32 v119, v129, v119
	s_delay_alu instid0(VALU_DEP_1) | instskip(NEXT) | instid1(VALU_DEP_1)
	v_mov_b32_dpp v129, v119 row_shr:2 row_mask:0xf bank_mask:0xf
	v_cndmask_b32_e64 v129, 0, v129, s0
	s_delay_alu instid0(VALU_DEP_1) | instskip(NEXT) | instid1(VALU_DEP_1)
	v_add_nc_u32_e32 v119, v119, v129
	v_mov_b32_dpp v129, v119 row_shr:4 row_mask:0xf bank_mask:0xf
	s_delay_alu instid0(VALU_DEP_1) | instskip(NEXT) | instid1(VALU_DEP_1)
	v_cndmask_b32_e64 v129, 0, v129, s1
	v_add_nc_u32_e32 v119, v119, v129
	s_delay_alu instid0(VALU_DEP_1) | instskip(NEXT) | instid1(VALU_DEP_1)
	v_mov_b32_dpp v129, v119 row_shr:8 row_mask:0xf bank_mask:0xf
	v_cndmask_b32_e64 v129, 0, v129, s2
	s_delay_alu instid0(VALU_DEP_1) | instskip(SKIP_3) | instid1(VALU_DEP_1)
	v_add_nc_u32_e32 v119, v119, v129
	ds_swizzle_b32 v129, v119 offset:swizzle(BROADCAST,32,15)
	s_wait_dscnt 0x0
	v_cndmask_b32_e64 v129, v129, 0, s4
	v_add_nc_u32_e32 v119, v119, v129
	s_and_saveexec_b32 s14, s5
; %bb.91:                               ;   in Loop: Header=BB1009_56 Depth=1
	ds_store_b32 v17, v119
; %bb.92:                               ;   in Loop: Header=BB1009_56 Depth=1
	s_or_b32 exec_lo, exec_lo, s14
	s_wait_dscnt 0x0
	s_barrier_signal -1
	s_barrier_wait -1
	s_and_saveexec_b32 s14, s6
	s_cbranch_execz .LBB1009_94
; %bb.93:                               ;   in Loop: Header=BB1009_56 Depth=1
	s_set_vgpr_msb 1                        ;  msbs: dst=0 src0=1 src1=0 src2=0
	ds_load_b32 v129, v20 /*v276*/
	s_wait_dscnt 0x0
	s_set_vgpr_msb 0                        ;  msbs: dst=0 src0=0 src1=0 src2=0
	v_mov_b32_dpp v131, v129 row_shr:1 row_mask:0xf bank_mask:0xf
	s_delay_alu instid0(VALU_DEP_1) | instskip(NEXT) | instid1(VALU_DEP_1)
	v_cndmask_b32_e64 v131, v131, 0, s11
	v_add_nc_u32_e32 v129, v131, v129
	s_delay_alu instid0(VALU_DEP_1) | instskip(NEXT) | instid1(VALU_DEP_1)
	v_mov_b32_dpp v131, v129 row_shr:2 row_mask:0xf bank_mask:0xf
	v_cndmask_b32_e64 v131, 0, v131, s12
	s_delay_alu instid0(VALU_DEP_1) | instskip(NEXT) | instid1(VALU_DEP_1)
	v_add_nc_u32_e32 v129, v129, v131
	v_mov_b32_dpp v131, v129 row_shr:4 row_mask:0xf bank_mask:0xf
	s_delay_alu instid0(VALU_DEP_1) | instskip(NEXT) | instid1(VALU_DEP_1)
	v_cndmask_b32_e64 v131, 0, v131, s13
	v_add_nc_u32_e32 v129, v129, v131
	s_set_vgpr_msb 1                        ;  msbs: dst=0 src0=1 src1=0 src2=0
	ds_store_b32 v20 /*v276*/, v129
.LBB1009_94:                            ;   in Loop: Header=BB1009_56 Depth=1
	s_or_b32 exec_lo, exec_lo, s14
	s_set_vgpr_msb 0                        ;  msbs: dst=0 src0=0 src1=0 src2=0
	v_mov_b32_e32 v129, 0
	s_wait_dscnt 0x0
	s_barrier_signal -1
	s_barrier_wait -1
	s_and_saveexec_b32 s14, s7
; %bb.95:                               ;   in Loop: Header=BB1009_56 Depth=1
	v_add_nc_u32_e32 v129, -4, v17
	ds_load_b32 v129, v129
; %bb.96:                               ;   in Loop: Header=BB1009_56 Depth=1
	s_or_b32 exec_lo, exec_lo, s14
	s_wait_dscnt 0x0
	v_dual_add_nc_u32 v119, v129, v119 :: v_dual_add_nc_u32 v10, 8, v10
	v_dual_mov_b32 v131, v1 :: v_dual_mov_b32 v147, v1
	v_dual_mov_b32 v145, v1 :: v_dual_mov_b32 v151, v1
	ds_bpermute_b32 v119, v5, v119
	v_mov_b32_e32 v161, v1
	v_cmp_lt_u32_e64 s14, v10, v11
	s_mov_b32 s16, -1
                                        ; implicit-def: $vgpr303
	s_wait_dscnt 0x0
	v_dual_mov_b32 v135, v1 :: v_dual_cndmask_b32 v119, v119, v129, s3
	s_delay_alu instid0(VALU_DEP_1) | instskip(NEXT) | instid1(VALU_DEP_1)
	v_cndmask_b32_e64 v208, v119, 0, s10
	v_dual_mov_b32 v119, v1 :: v_dual_add_nc_u32 v209, v208, v103
	v_mov_b32_e32 v103, v1
	s_delay_alu instid0(VALU_DEP_2) | instskip(NEXT) | instid1(VALU_DEP_1)
	v_add_nc_u32_e32 v210, v209, v113
	v_dual_mov_b32 v113, v1 :: v_dual_add_nc_u32 v211, v210, v101
	s_delay_alu instid0(VALU_DEP_1) | instskip(SKIP_1) | instid1(VALU_DEP_2)
	v_dual_mov_b32 v101, v1 :: v_dual_add_nc_u32 v212, v211, v117
	v_dual_mov_b32 v129, v1 :: v_dual_mov_b32 v117, v1
	v_dual_add_nc_u32 v213, v212, v133 :: v_dual_mov_b32 v133, v1
	s_delay_alu instid0(VALU_DEP_1) | instskip(NEXT) | instid1(VALU_DEP_1)
	v_add_nc_u32_e32 v214, v213, v149
	v_dual_mov_b32 v149, v1 :: v_dual_add_nc_u32 v199, v214, v199
	ds_store_b32 v19, v208
	ds_store_b32 v39, v209
	s_set_vgpr_msb 1                        ;  msbs: dst=0 src0=1 src1=0 src2=0
	ds_store_b32 v13 /*v269*/, v210
	ds_store_b32 v14 /*v270*/, v211
	;; [unrolled: 1-line block ×6, first 2 shown]
	s_wait_dscnt 0x0
	s_barrier_signal -1
	s_barrier_wait -1
	s_set_vgpr_msb 0                        ;  msbs: dst=0 src0=0 src1=0 src2=0
	ds_load_b32 v80, v80
	ds_load_b32 v83, v83
	;; [unrolled: 1-line block ×17, first 2 shown]
	v_dual_mov_b32 v167, v1 :: v_dual_mov_b32 v177, v1
	s_wait_dscnt 0x0
	v_add_nc_u32_e32 v0, v80, v0
	v_add3_u32 v112, v82, v81, v83
	v_add3_u32 v130, v85, v84, v86
	;; [unrolled: 1-line block ×16, first 2 shown]
	v_lshl_add_u64 v[210:211], v[0:1], 1, v[12:13]
	v_lshl_add_u64 v[212:213], v[112:113], 1, v[12:13]
	;; [unrolled: 1-line block ×11, first 2 shown]
	s_set_vgpr_msb 64                       ;  msbs: dst=1 src0=0 src1=0 src2=0
	v_lshl_add_u64 v[0:1] /*v[256:257]*/, v[150:151], 1, v[12:13]
	v_lshl_add_u64 v[2:3] /*v[258:259]*/, v[160:161], 1, v[12:13]
	;; [unrolled: 1-line block ×6, first 2 shown]
                                        ; implicit-def: $vgpr80_vgpr81
                                        ; implicit-def: $vgpr82_vgpr83
                                        ; implicit-def: $vgpr84_vgpr85
                                        ; implicit-def: $vgpr86_vgpr87
                                        ; implicit-def: $vgpr96_vgpr97
                                        ; implicit-def: $vgpr98_vgpr99
                                        ; implicit-def: $vgpr114_vgpr115
                                        ; implicit-def: $vgpr162_vgpr163
                                        ; implicit-def: $vgpr164_vgpr165
                                        ; implicit-def: $vgpr178_vgpr179
                                        ; implicit-def: $vgpr180_vgpr181
                                        ; implicit-def: $vgpr182_vgpr183
                                        ; implicit-def: $vgpr194_vgpr195
                                        ; implicit-def: $vgpr198_vgpr199
                                        ; implicit-def: $vgpr192_vgpr193
                                        ; implicit-def: $vgpr196_vgpr197
                                        ; implicit-def: $vgpr208_vgpr209
                                        ; implicit-def: $vgpr103
                                        ; implicit-def: $vgpr101
                                        ; implicit-def: $vgpr117
                                        ; implicit-def: $vgpr113
                                        ; implicit-def: $vgpr129
                                        ; implicit-def: $vgpr119
                                        ; implicit-def: $vgpr133
                                        ; implicit-def: $vgpr131
                                        ; implicit-def: $vgpr145
                                        ; implicit-def: $vgpr135
                                        ; implicit-def: $vgpr161
                                        ; implicit-def: $vgpr151
                                        ; implicit-def: $vgpr149
                                        ; implicit-def: $vgpr147
                                        ; implicit-def: $vgpr177
                                        ; implicit-def: $vgpr167
	s_and_saveexec_b32 s15, s14
	s_set_vgpr_msb 0                        ;  msbs: dst=0 src0=0 src1=0 src2=0
	s_cbranch_execz .LBB1009_55
; %bb.97:                               ;   in Loop: Header=BB1009_56 Depth=1
	v_add_nc_u32_e32 v80, 64, v4
	v_add_nc_u32_e32 v81, 0x80, v4
	;; [unrolled: 1-line block ×5, first 2 shown]
	s_barrier_signal -1
	s_barrier_wait -1
	s_set_vgpr_msb 4                        ;  msbs: dst=0 src0=0 src1=1 src2=0
	ds_store_b16 v210, v30 /*v286*/
	ds_store_b16 v212, v34 /*v290*/
	ds_store_b16 v214, v33 /*v289*/
	ds_store_b16 v224, v32 /*v288*/
	ds_store_b16 v226, v31 /*v287*/
	ds_store_b16 v228, v35 /*v291*/
	ds_store_b16 v230, v37 /*v293*/
	ds_store_b16 v240, v36 /*v292*/
	ds_store_b16 v242, v39 /*v295*/
	ds_store_b16 v244, v38 /*v294*/
	ds_store_b16 v246, v40 /*v296*/
	s_set_vgpr_msb 5                        ;  msbs: dst=0 src0=1 src1=1 src2=0
	ds_store_b16 v0 /*v256*/, v41 /*v297*/
	ds_store_b16 v2 /*v258*/, v42 /*v298*/
	;; [unrolled: 1-line block ×6, first 2 shown]
	s_wait_dscnt 0x0
	s_barrier_signal -1
	s_barrier_wait -1
	s_set_vgpr_msb 0                        ;  msbs: dst=0 src0=0 src1=0 src2=0
	ds_load_u16 v103, v4
	ds_load_u16 v101, v80
	;; [unrolled: 1-line block ×6, first 2 shown]
	v_add_nc_u32_e32 v80, 0x180, v4
	v_add_nc_u32_e32 v81, 0x1c0, v4
	;; [unrolled: 1-line block ×5, first 2 shown]
	ds_load_u16 v133, v80
	ds_load_u16 v131, v81
	;; [unrolled: 1-line block ×5, first 2 shown]
	v_add_nc_u32_e32 v80, 0x2c0, v4
	v_add_nc_u32_e32 v81, 0x300, v4
	;; [unrolled: 1-line block ×5, first 2 shown]
	ds_load_u16 v151, v80
	ds_load_u16 v149, v81
	;; [unrolled: 1-line block ×5, first 2 shown]
	v_mad_nc_u64_u32 v[80:81], v0, 6, v[210:211]
	v_mad_nc_u64_u32 v[82:83], v112, 6, v[212:213]
	;; [unrolled: 1-line block ×6, first 2 shown]
	v_add_nc_u32_e32 v81, 0x400, v4
	s_set_vgpr_msb 16                       ;  msbs: dst=0 src0=0 src1=0 src2=1
	v_mad_nc_u64_u32 v[114:115], v160, 6, v[2:3] /*v[258:259]*/
	v_mad_nc_u64_u32 v[162:163], v132, 6, v[4:5] /*v[260:261]*/
	;; [unrolled: 1-line block ×4, first 2 shown]
	s_set_vgpr_msb 64                       ;  msbs: dst=1 src0=0 src1=0 src2=0
	ds_load_u16 v47 /*v303*/, v81
	s_wait_dscnt 0x0
	s_barrier_signal -1
	s_barrier_wait -1
	ds_store_b64 v80, v[54:55]
	ds_store_b64 v82, v[52:53]
	;; [unrolled: 1-line block ×6, first 2 shown]
	s_set_vgpr_msb 0                        ;  msbs: dst=0 src0=0 src1=0 src2=0
	v_mad_nc_u64_u32 v[80:81], v134, 6, v[230:231]
	v_mad_nc_u64_u32 v[82:83], v146, 6, v[240:241]
	;; [unrolled: 1-line block ×5, first 2 shown]
	s_set_vgpr_msb 16                       ;  msbs: dst=0 src0=0 src1=0 src2=1
	v_mad_nc_u64_u32 v[98:99], v150, 6, v[0:1] /*v[256:257]*/
	v_mad_nc_u64_u32 v[180:181], v176, 6, v[10:11] /*v[266:267]*/
	ds_store_b64 v80, v[32:33]
	ds_store_b64 v82, v[30:31]
	;; [unrolled: 1-line block ×11, first 2 shown]
	v_add_nc_u32_e32 v96, 0x400, v16
	v_add_nc_u32_e32 v82, 0x100, v16
	;; [unrolled: 1-line block ×8, first 2 shown]
	s_wait_dscnt 0x0
	s_barrier_signal -1
	s_barrier_wait -1
	ds_load_b64 v[80:81], v16
	ds_load_b64 v[82:83], v82
	;; [unrolled: 1-line block ×9, first 2 shown]
	s_set_vgpr_msb 1                        ;  msbs: dst=0 src0=1 src1=0 src2=0
	ds_load_b64 v[178:179], v21 /*v277*/
	ds_load_b64 v[180:181], v22 /*v278*/
	;; [unrolled: 1-line block ×8, first 2 shown]
	s_set_vgpr_msb 0x44                     ;  msbs: dst=1 src0=0 src1=1 src2=0
	v_add_nc_u32_e32 v29 /*v285*/, -8, v29 /*v285*/
	s_xor_b32 s16, exec_lo, -1
	s_wait_dscnt 0x0
	s_barrier_signal -1
	s_barrier_wait -1
	s_set_vgpr_msb 0                        ;  msbs: dst=0 src0=0 src1=0 src2=0
	s_branch .LBB1009_55
.LBB1009_98:
	s_or_b32 exec_lo, exec_lo, s24
	v_lshl_add_u32 v1, v18, 1, v12
	v_lshl_add_u32 v0, v0, 3, v12
	;; [unrolled: 1-line block ×4, first 2 shown]
	s_barrier_signal -1
	s_barrier_wait -1
	s_set_vgpr_msb 4                        ;  msbs: dst=0 src0=0 src1=1 src2=0
	ds_store_b16 v210, v30 /*v286*/
	ds_store_b16 v212, v34 /*v290*/
	;; [unrolled: 1-line block ×11, first 2 shown]
	s_set_vgpr_msb 5                        ;  msbs: dst=0 src0=1 src1=1 src2=0
	ds_store_b16 v0 /*v256*/, v41 /*v297*/
	ds_store_b16 v2 /*v258*/, v42 /*v298*/
	;; [unrolled: 1-line block ×6, first 2 shown]
	s_wait_dscnt 0x0
	s_barrier_signal -1
	s_barrier_wait -1
	s_set_vgpr_msb 0                        ;  msbs: dst=0 src0=0 src1=0 src2=0
	ds_load_u16 v101, v1
	ds_load_u16 v99, v1 offset:512
	ds_load_u16 v98, v1 offset:1024
	;; [unrolled: 1-line block ×16, first 2 shown]
	s_wait_dscnt 0x0
	s_barrier_signal -1
	s_barrier_wait -1
	ds_store_b64 v0, v[54:55]
	ds_store_b64 v10, v[52:53]
	;; [unrolled: 1-line block ×3, first 2 shown]
	v_lshl_add_u32 v0, v100, 3, v12
	v_lshl_add_u32 v10, v102, 3, v12
	;; [unrolled: 1-line block ×5, first 2 shown]
	ds_store_b64 v0, v[48:49]
	ds_store_b64 v10, v[36:37]
	;; [unrolled: 1-line block ×5, first 2 shown]
	v_lshl_add_u32 v0, v116, 3, v12
	v_lshl_add_u32 v10, v128, 3, v12
	;; [unrolled: 1-line block ×5, first 2 shown]
	ds_store_b64 v0, v[24:25]
	ds_store_b64 v10, v[22:23]
	;; [unrolled: 1-line block ×5, first 2 shown]
	v_lshl_add_u32 v0, v132, 3, v12
	v_mul_u32_u24_e32 v13, 6, v18
	v_lshl_add_u32 v10, v148, 3, v12
	v_lshl_add_u32 v11, v166, 3, v12
	;; [unrolled: 1-line block ×3, first 2 shown]
	ds_store_b64 v0, v[14:15]
	ds_store_b64 v10, v[68:69]
	;; [unrolled: 1-line block ×4, first 2 shown]
	v_dual_mov_b32 v39, 0 :: v_dual_add_nc_u32 v0, v1, v13
	s_wait_dscnt 0x0
	s_barrier_signal -1
	s_barrier_wait -1
	ds_load_2addr_stride64_b64 v[48:51], v0 offset1:4
	ds_load_2addr_stride64_b64 v[34:37], v0 offset0:8 offset1:12
	ds_load_2addr_stride64_b64 v[30:33], v0 offset0:16 offset1:20
	;; [unrolled: 1-line block ×7, first 2 shown]
	ds_load_b64 v[0:1], v0 offset:32768
	v_lshl_add_u64 v[2:3], v[8:9], 1, v[2:3]
	s_set_vgpr_msb 4                        ;  msbs: dst=0 src0=0 src1=1 src2=0
	v_cmp_lt_u32_e32 vcc_lo, v38, v12 /*v268*/
	s_wait_dscnt 0x0
	s_barrier_signal -1
	s_barrier_wait -1
	v_lshl_add_u64 v[2:3], v[38:39], 1, v[2:3]
	s_and_saveexec_b32 s0, vcc_lo
	s_set_vgpr_msb 0                        ;  msbs: dst=0 src0=0 src1=0 src2=0
	s_cbranch_execz .LBB1009_100
; %bb.99:
	v_xor_b32_e32 v52, 0xffff8000, v101
	flat_store_b16 v[2:3], v52
.LBB1009_100:
	s_wait_xcnt 0x0
	s_or_b32 exec_lo, exec_lo, s0
	v_add_nc_u32_e32 v52, 0x100, v38
	s_set_vgpr_msb 4                        ;  msbs: dst=0 src0=0 src1=1 src2=0
	s_delay_alu instid0(VALU_DEP_1)
	v_cmp_lt_u32_e64 s0, v52, v12 /*v268*/
	s_and_saveexec_b32 s1, s0
	s_set_vgpr_msb 0                        ;  msbs: dst=0 src0=0 src1=0 src2=0
	s_cbranch_execz .LBB1009_102
; %bb.101:
	v_xor_b32_e32 v52, 0xffff8000, v99
	flat_store_b16 v[2:3], v52 offset:512
.LBB1009_102:
	s_wait_xcnt 0x0
	s_or_b32 exec_lo, exec_lo, s1
	v_add_nc_u32_e32 v52, 0x200, v38
	s_set_vgpr_msb 4                        ;  msbs: dst=0 src0=0 src1=1 src2=0
	s_delay_alu instid0(VALU_DEP_1)
	v_cmp_lt_u32_e64 s1, v52, v12 /*v268*/
	s_and_saveexec_b32 s2, s1
	s_set_vgpr_msb 0                        ;  msbs: dst=0 src0=0 src1=0 src2=0
	s_cbranch_execz .LBB1009_104
; %bb.103:
	v_xor_b32_e32 v52, 0xffff8000, v98
	flat_store_b16 v[2:3], v52 offset:1024
.LBB1009_104:
	;; [unrolled: 13-line block ×16, first 2 shown]
	s_wait_xcnt 0x0
	s_or_b32 exec_lo, exec_lo, s18
	v_lshl_add_u64 v[2:3], v[8:9], 3, v[6:7]
	s_delay_alu instid0(VALU_DEP_1)
	v_lshl_add_u64 v[2:3], v[38:39], 3, v[2:3]
	s_and_saveexec_b32 s18, vcc_lo
	s_cbranch_execnz .LBB1009_220
; %bb.133:
	s_or_b32 exec_lo, exec_lo, s18
	s_and_saveexec_b32 s18, s0
	s_cbranch_execnz .LBB1009_221
.LBB1009_134:
	s_or_b32 exec_lo, exec_lo, s18
	s_and_saveexec_b32 s0, s1
	s_cbranch_execnz .LBB1009_222
.LBB1009_135:
	s_or_b32 exec_lo, exec_lo, s0
	s_and_saveexec_b32 s0, s2
	s_cbranch_execnz .LBB1009_223
.LBB1009_136:
	s_or_b32 exec_lo, exec_lo, s0
	s_and_saveexec_b32 s0, s3
	s_cbranch_execnz .LBB1009_224
.LBB1009_137:
	s_or_b32 exec_lo, exec_lo, s0
	s_and_saveexec_b32 s0, s4
	s_cbranch_execnz .LBB1009_225
.LBB1009_138:
	s_or_b32 exec_lo, exec_lo, s0
	s_and_saveexec_b32 s0, s5
	s_cbranch_execnz .LBB1009_226
.LBB1009_139:
	s_or_b32 exec_lo, exec_lo, s0
	s_and_saveexec_b32 s0, s6
	s_cbranch_execnz .LBB1009_227
.LBB1009_140:
	s_or_b32 exec_lo, exec_lo, s0
	s_and_saveexec_b32 s0, s7
	s_cbranch_execnz .LBB1009_228
.LBB1009_141:
	s_or_b32 exec_lo, exec_lo, s0
	s_and_saveexec_b32 s0, s10
	s_cbranch_execnz .LBB1009_229
.LBB1009_142:
	s_or_b32 exec_lo, exec_lo, s0
	s_and_saveexec_b32 s0, s11
	s_cbranch_execnz .LBB1009_230
.LBB1009_143:
	s_or_b32 exec_lo, exec_lo, s0
	s_and_saveexec_b32 s0, s12
	s_cbranch_execnz .LBB1009_231
.LBB1009_144:
	s_or_b32 exec_lo, exec_lo, s0
	s_and_saveexec_b32 s0, s13
	s_cbranch_execnz .LBB1009_232
.LBB1009_145:
	s_or_b32 exec_lo, exec_lo, s0
	s_and_saveexec_b32 s0, s14
	s_cbranch_execnz .LBB1009_233
.LBB1009_146:
	s_or_b32 exec_lo, exec_lo, s0
	s_and_saveexec_b32 s0, s15
	s_cbranch_execnz .LBB1009_234
.LBB1009_147:
	s_or_b32 exec_lo, exec_lo, s0
	s_and_saveexec_b32 s0, s16
	s_cbranch_execnz .LBB1009_235
.LBB1009_148:
	s_or_b32 exec_lo, exec_lo, s0
	s_and_saveexec_b32 s0, s17
	s_cbranch_execz .LBB1009_150
.LBB1009_149:
	flat_store_b64 v[2:3], v[0:1] offset:32768
.LBB1009_150:
	s_wait_xcnt 0x0
	s_or_b32 exec_lo, exec_lo, s0
                                        ; implicit-def: $vgpr268
                                        ; implicit-def: $vgpr8
                                        ; implicit-def: $vgpr10
                                        ; implicit-def: $vgpr11
                                        ; implicit-def: $vgpr0_vgpr1
                                        ; implicit-def: $vgpr2_vgpr3
                                        ; implicit-def: $vgpr4_vgpr5
                                        ; implicit-def: $vgpr6_vgpr7
                                        ; implicit-def: $vgpr12_vgpr13
                                        ; implicit-def: $vgpr9
                                        ; implicit-def: $vgpr14
                                        ; implicit-def: $vgpr18
                                        ; implicit-def: $vgpr66
.LBB1009_151:
	s_and_not1_saveexec_b32 s0, s22
	s_cbranch_execz .LBB1009_382
; %bb.152:
	s_mov_b32 s0, exec_lo
	s_set_vgpr_msb 4                        ;  msbs: dst=0 src0=0 src1=1 src2=0
	v_cmpx_lt_u32_e32 0x400, v12 /*v268*/
	s_xor_b32 s22, exec_lo, s0
	s_set_vgpr_msb 0                        ;  msbs: dst=0 src0=0 src1=0 src2=0
	s_cbranch_execz .LBB1009_262
; %bb.153:
	s_load_b64 s[0:1], s[8:9], 0x0
	s_bfe_u32 s3, ttmp6, 0x4000c
	s_bfe_u32 s5, ttmp6, 0x40010
	s_and_b32 s4, ttmp7, 0xffff
	s_add_co_i32 s3, s3, 1
	s_add_co_i32 s5, s5, 1
	s_and_b32 s2, ttmp6, 15
	s_bfe_u32 s6, ttmp6, 0x40004
	s_mul_i32 s3, ttmp9, s3
	s_mul_i32 s5, s4, s5
	s_add_co_i32 s2, s2, s3
	s_add_co_i32 s6, s6, s5
	s_cmp_eq_u32 s21, 0
	s_mov_b32 s3, 0
	s_cselect_b32 s2, ttmp9, s2
	s_cselect_b32 s4, s4, s6
	v_lshlrev_b32_e32 v16, 1, v66
	s_wait_kmcnt 0x0
	s_cmp_lt_u32 s2, s0
	s_cselect_b32 s2, 12, 18
	s_cmp_lt_u32 s4, s1
	s_mov_b32 s1, s3
	s_cselect_b32 s0, 14, 20
	s_delay_alu instid0(SALU_CYCLE_1)
	s_add_nc_u64 s[0:1], s[8:9], s[0:1]
	s_load_u16 s4, s[0:1], 0x0
	s_wait_xcnt 0x0
	s_add_nc_u64 s[0:1], s[8:9], s[2:3]
	s_load_u16 s0, s[0:1], 0x0
	s_wait_kmcnt 0x0
	v_mad_u32_u24 v9, v14, s4, v9
	s_delay_alu instid0(VALU_DEP_1) | instskip(SKIP_1) | instid1(VALU_DEP_1)
	v_mad_u32 v26, v9, s0, v18
	v_mov_b32_e32 v9, 0
	v_lshl_add_u64 v[20:21], v[8:9], 1, v[0:1]
	v_dual_mov_b32 v17, v9 :: v_dual_mov_b32 v1, v9
	s_delay_alu instid0(VALU_DEP_4) | instskip(NEXT) | instid1(VALU_DEP_2)
	v_lshlrev_b32_e32 v14, 3, v26
	v_add_nc_u64_e32 v[20:21], v[20:21], v[16:17]
	s_delay_alu instid0(VALU_DEP_2) | instskip(SKIP_1) | instid1(VALU_DEP_1)
	v_and_b32_e32 v0, 0xffffff00, v14
	v_mov_b32_e32 v14, 0x7fff7fff
	v_dual_mov_b32 v15, v14 :: v_dual_bitop2_b32 v19, v0, v66 bitop3:0x54
	v_dual_mov_b32 v16, v14 :: v_dual_mov_b32 v17, v14
	v_lshl_add_u64 v[20:21], v[0:1], 1, v[20:21]
	s_set_vgpr_msb 4                        ;  msbs: dst=0 src0=0 src1=1 src2=0
	s_delay_alu instid0(VALU_DEP_3)
	v_cmp_lt_u32_e32 vcc_lo, v19, v12 /*v268*/
	s_and_saveexec_b32 s0, vcc_lo
	s_set_vgpr_msb 0                        ;  msbs: dst=0 src0=0 src1=0 src2=0
	s_cbranch_execz .LBB1009_155
; %bb.154:
	flat_load_u16 v15, v[20:21]
	s_movk_i32 s1, 0x7fff
	v_dual_mov_b32 v23, v14 :: v_dual_mov_b32 v24, v14
	v_mov_b32_e32 v25, v14
	s_wait_loadcnt_dscnt 0x0
	v_perm_b32 v22, s1, v15, 0x5040100
	s_delay_alu instid0(VALU_DEP_1) | instskip(NEXT) | instid1(VALU_DEP_3)
	v_mov_b64_e32 v[14:15], v[22:23]
	v_mov_b64_e32 v[16:17], v[24:25]
.LBB1009_155:
	s_wait_xcnt 0x0
	s_or_b32 exec_lo, exec_lo, s0
	v_or_b32_e32 v22, 32, v19
	s_set_vgpr_msb 4                        ;  msbs: dst=0 src0=0 src1=1 src2=0
	s_delay_alu instid0(VALU_DEP_1)
	v_cmp_lt_u32_e64 s0, v22, v12 /*v268*/
	s_and_saveexec_b32 s1, s0
	s_set_vgpr_msb 0                        ;  msbs: dst=0 src0=0 src1=0 src2=0
	s_cbranch_execz .LBB1009_157
; %bb.156:
	flat_load_u16 v22, v[20:21] offset:64
	s_wait_loadcnt_dscnt 0x0
	v_perm_b32 v14, v22, v14, 0x5040100
.LBB1009_157:
	s_wait_xcnt 0x0
	s_or_b32 exec_lo, exec_lo, s1
	v_or_b32_e32 v22, 64, v19
	s_set_vgpr_msb 4                        ;  msbs: dst=0 src0=0 src1=1 src2=0
	s_delay_alu instid0(VALU_DEP_1)
	v_cmp_lt_u32_e64 s1, v22, v12 /*v268*/
	s_and_saveexec_b32 s2, s1
	s_set_vgpr_msb 0                        ;  msbs: dst=0 src0=0 src1=0 src2=0
	s_cbranch_execz .LBB1009_159
; %bb.158:
	flat_load_u16 v22, v[20:21] offset:128
	s_wait_loadcnt_dscnt 0x0
	v_bfi_b32 v15, 0xffff, v22, v15
.LBB1009_159:
	s_wait_xcnt 0x0
	s_or_b32 exec_lo, exec_lo, s2
	v_or_b32_e32 v22, 0x60, v19
	s_set_vgpr_msb 4                        ;  msbs: dst=0 src0=0 src1=1 src2=0
	s_delay_alu instid0(VALU_DEP_1)
	v_cmp_lt_u32_e64 s2, v22, v12 /*v268*/
	s_and_saveexec_b32 s3, s2
	s_set_vgpr_msb 0                        ;  msbs: dst=0 src0=0 src1=0 src2=0
	s_cbranch_execz .LBB1009_161
; %bb.160:
	flat_load_u16 v22, v[20:21] offset:192
	s_wait_loadcnt_dscnt 0x0
	v_perm_b32 v15, v22, v15, 0x5040100
.LBB1009_161:
	s_wait_xcnt 0x0
	s_or_b32 exec_lo, exec_lo, s3
	v_or_b32_e32 v22, 0x80, v19
	s_set_vgpr_msb 4                        ;  msbs: dst=0 src0=0 src1=1 src2=0
	s_delay_alu instid0(VALU_DEP_1)
	v_cmp_lt_u32_e64 s3, v22, v12 /*v268*/
	s_and_saveexec_b32 s4, s3
	s_set_vgpr_msb 0                        ;  msbs: dst=0 src0=0 src1=0 src2=0
	s_cbranch_execz .LBB1009_163
; %bb.162:
	flat_load_u16 v22, v[20:21] offset:256
	s_wait_loadcnt_dscnt 0x0
	v_bfi_b32 v16, 0xffff, v22, v16
.LBB1009_163:
	;; [unrolled: 28-line block ×3, first 2 shown]
	s_wait_xcnt 0x0
	s_or_b32 exec_lo, exec_lo, s6
	v_or_b32_e32 v19, 0xe0, v19
	s_set_vgpr_msb 4                        ;  msbs: dst=0 src0=0 src1=1 src2=0
	s_delay_alu instid0(VALU_DEP_1)
	v_cmp_lt_u32_e64 s6, v19, v12 /*v268*/
	s_and_saveexec_b32 s7, s6
	s_set_vgpr_msb 0                        ;  msbs: dst=0 src0=0 src1=0 src2=0
	s_cbranch_execz .LBB1009_169
; %bb.168:
	flat_load_u16 v19, v[20:21] offset:448
	s_wait_loadcnt_dscnt 0x0
	v_perm_b32 v17, v19, v17, 0x5040100
.LBB1009_169:
	s_wait_xcnt 0x0
	s_or_b32 exec_lo, exec_lo, s7
	v_lshl_add_u64 v[4:5], v[8:9], 3, v[4:5]
	v_dual_mov_b32 v21, 0 :: v_dual_lshlrev_b32 v20, 3, v66
                                        ; implicit-def: $vgpr50_vgpr51
	s_delay_alu instid0(VALU_DEP_1) | instskip(NEXT) | instid1(VALU_DEP_1)
	v_add_nc_u64_e32 v[4:5], v[4:5], v[20:21]
	v_lshl_add_u64 v[0:1], v[0:1], 3, v[4:5]
	s_and_saveexec_b32 s7, vcc_lo
	s_cbranch_execnz .LBB1009_295
; %bb.170:
	s_or_b32 exec_lo, exec_lo, s7
                                        ; implicit-def: $vgpr52_vgpr53
	s_and_saveexec_b32 s7, s0
	s_cbranch_execnz .LBB1009_296
.LBB1009_171:
	s_or_b32 exec_lo, exec_lo, s7
                                        ; implicit-def: $vgpr64_vgpr65
	s_and_saveexec_b32 s0, s1
	s_cbranch_execnz .LBB1009_297
.LBB1009_172:
	s_or_b32 exec_lo, exec_lo, s0
                                        ; implicit-def: $vgpr34_vgpr35
	s_and_saveexec_b32 s0, s2
	s_cbranch_execnz .LBB1009_298
.LBB1009_173:
	s_or_b32 exec_lo, exec_lo, s0
                                        ; implicit-def: $vgpr36_vgpr37
	s_and_saveexec_b32 s0, s3
	s_cbranch_execnz .LBB1009_299
.LBB1009_174:
	s_or_b32 exec_lo, exec_lo, s0
                                        ; implicit-def: $vgpr38_vgpr39
	s_and_saveexec_b32 s0, s4
	s_cbranch_execnz .LBB1009_300
.LBB1009_175:
	s_or_b32 exec_lo, exec_lo, s0
                                        ; implicit-def: $vgpr48_vgpr49
	s_and_saveexec_b32 s0, s5
	s_cbranch_execnz .LBB1009_301
.LBB1009_176:
	s_or_b32 exec_lo, exec_lo, s0
                                        ; implicit-def: $vgpr54_vgpr55
	s_and_saveexec_b32 s0, s6
	s_cbranch_execz .LBB1009_178
.LBB1009_177:
	flat_load_b64 v[54:55], v[0:1] offset:1792
.LBB1009_178:
	s_wait_xcnt 0x0
	s_or_b32 exec_lo, exec_lo, s0
	v_dual_lshrrev_b32 v0, 16, v17 :: v_dual_lshrrev_b32 v1, 16, v16
	v_xor_b32_e32 v4, 0xffff8000, v16
	v_lshrrev_b32_e32 v5, 16, v15
	v_lshl_add_u32 v20, v18, 5, v12
	v_sub_co_u32 v24, s2, v66, 1
	v_xor_b32_e32 v16, 0xffff8000, v1
	s_delay_alu instid0(VALU_DEP_3) | instskip(SKIP_2) | instid1(VALU_DEP_3)
	v_dual_lshrrev_b32 v1, 16, v14 :: v_dual_add_nc_u32 v27, 36, v20
	v_dual_add_nc_u32 v128, 40, v20 :: v_dual_add_nc_u32 v19, 32, v20
	v_dual_add_nc_u32 v129, 44, v20 :: v_dual_add_nc_u32 v130, 48, v20
	v_xor_b32_e32 v21, 0xffff8000, v1
	v_dual_lshlrev_b32 v1, 3, v18 :: v_dual_add_nc_u32 v131, 52, v20
	v_dual_add_nc_u32 v132, 56, v20 :: v_dual_bitop2_b32 v22, 15, v66 bitop3:0x40
	v_add_nc_u32_e32 v133, 60, v20
	v_and_b32_e32 v20, 0x3e0, v18
	v_and_b32_e32 v23, 16, v66
	v_cmp_gt_i32_e64 s5, 0, v24
	s_get_pc_i64 s[0:1]
	s_add_nc_u64 s[0:1], s[0:1], _ZN7rocprim17ROCPRIM_400000_NS16block_radix_sortIsLj256ELj8ElLj1ELj1ELj8ELNS0_26block_radix_rank_algorithmE2ELNS0_18block_padding_hintE2ELNS0_4arch9wavefront6targetE0EE19radix_bits_per_passE@rel64+4
	v_cmp_eq_u32_e32 vcc_lo, 0, v22
	v_min_u32_e32 v20, 0xe0, v20
	s_load_b32 s23, s[0:1], 0x0
	v_lshrrev_b32_e32 v134, 5, v26
	s_wait_xcnt 0x0
	v_cmp_lt_u32_e64 s0, 1, v22
	v_cmp_lt_u32_e64 s1, 3, v22
	;; [unrolled: 1-line block ×3, first 2 shown]
	v_or_b32_e32 v20, 31, v20
	v_cmp_eq_u32_e64 s4, 0, v23
	v_cndmask_b32_e64 v23, v24, v66, s5
	v_lshrrev_b32_e32 v22, 3, v18
	v_xor_b32_e32 v15, 0xffff8000, v15
	v_cmp_eq_u32_e64 s5, v18, v20
	v_xor_b32_e32 v5, 0xffff8000, v5
	v_lshlrev_b32_e32 v135, 2, v23
	v_and_b32_e32 v20, 0x7c, v22
	v_and_or_b32 v23, 0x1f00, v1, v66
	v_xor_b32_e32 v17, 0xffff8000, v17
	v_xor_b32_e32 v0, 0xffff8000, v0
	;; [unrolled: 1-line block ×3, first 2 shown]
	v_add_nc_u32_e32 v144, v12, v20
	v_lshl_add_u32 v146, v23, 1, v12
	v_mul_u32_u24_e32 v20, 6, v23
	v_and_b32_e32 v22, 7, v66
	v_perm_b32 v67, v5, v15, 0x5040100
	v_perm_b32 v69, v16, v4, 0x5040100
	s_delay_alu instid0(VALU_DEP_4)
	v_dual_add_nc_u32 v148, 64, v146 :: v_dual_add_nc_u32 v151, v146, v20
	v_mov_b64_e32 v[4:5], 0
	v_cmp_gt_u32_e64 s6, 8, v18
	v_cmp_lt_u32_e64 s7, 31, v18
	v_cmp_eq_u32_e64 s10, 0, v18
	v_dual_mov_b32 v1, 0 :: v_dual_add_nc_u32 v147, -4, v144
	v_lshl_add_u32 v145, v18, 2, v12
	v_cmp_eq_u32_e64 s11, 0, v22
	v_cmp_lt_u32_e64 s12, 1, v22
	v_cmp_lt_u32_e64 s13, 3, v22
	v_add_nc_u32_e32 v149, 0x80, v146
	v_add_nc_u32_e32 v150, 0xc0, v146
	;; [unrolled: 1-line block ×13, first 2 shown]
	v_perm_b32 v183, v21, v14, 0x5040100
	v_perm_b32 v71, v0, v17, 0x5040100
	v_sub_nc_u32_e32 v179, v11, v10
	s_mov_b32 s24, 0
	s_wait_storecnt 0x0
	s_wait_loadcnt_dscnt 0x0
	s_barrier_signal -1
	s_barrier_wait -1
	s_branch .LBB1009_180
.LBB1009_179:                           ;   in Loop: Header=BB1009_180 Depth=1
	s_or_b32 exec_lo, exec_lo, s15
	s_delay_alu instid0(SALU_CYCLE_1) | instskip(NEXT) | instid1(SALU_CYCLE_1)
	s_and_b32 s14, exec_lo, s16
	s_or_b32 s24, s14, s24
	s_delay_alu instid0(SALU_CYCLE_1)
	s_and_not1_b32 exec_lo, exec_lo, s24
	s_cbranch_execz .LBB1009_236
.LBB1009_180:                           ; =>This Inner Loop Header: Depth=1
	s_wait_kmcnt 0x0
	v_min_u32_e32 v0, s23, v179
	v_and_b32_e32 v14, 0xffff, v183
	v_mov_b64_e32 v[32:33], v[34:35]
	v_mov_b64_e32 v[16:17], v[52:53]
	;; [unrolled: 1-line block ×3, first 2 shown]
	v_lshlrev_b32_e64 v66, v0, -1
	v_dual_lshrrev_b32 v0, v10, v14 :: v_dual_mov_b32 v180, v71
	v_mov_b64_e32 v[14:15], v[50:51]
	v_dual_mov_b32 v181, v69 :: v_dual_mov_b32 v182, v67
	s_delay_alu instid0(VALU_DEP_3)
	v_bitop3_b32 v22, v0, 1, v66 bitop3:0x40
	v_bitop3_b32 v0, v0, v66, v0 bitop3:0x30
	ds_store_b64 v19, v[4:5]
	ds_store_b64 v128, v[4:5]
	;; [unrolled: 1-line block ×4, first 2 shown]
	s_wait_dscnt 0x0
	v_add_co_u32 v22, s14, v22, -1
	s_delay_alu instid0(VALU_DEP_1) | instskip(SKIP_2) | instid1(VALU_DEP_3)
	v_cndmask_b32_e64 v23, 0, 1, s14
	v_dual_lshlrev_b32 v24, 30, v0 :: v_dual_lshlrev_b32 v25, 29, v0
	v_dual_lshlrev_b32 v28, 28, v0 :: v_dual_lshlrev_b32 v29, 27, v0
	v_cmp_ne_u32_e64 s14, 0, v23
	s_delay_alu instid0(VALU_DEP_3)
	v_not_b32_e32 v23, v24
	v_cmp_gt_i32_e64 s15, 0, v24
	v_cmp_gt_i32_e64 s16, 0, v25
	v_not_b32_e32 v24, v25
	v_not_b32_e32 v25, v28
	v_dual_ashrrev_i32 v23, 31, v23 :: v_dual_bitop2_b32 v22, s14, v22 bitop3:0x14
	v_cmp_gt_i32_e64 s17, 0, v28
	s_delay_alu instid0(VALU_DEP_3) | instskip(NEXT) | instid1(VALU_DEP_3)
	v_dual_ashrrev_i32 v24, 31, v24 :: v_dual_ashrrev_i32 v25, 31, v25
	v_dual_lshlrev_b32 v28, 26, v0 :: v_dual_bitop2_b32 v23, s15, v23 bitop3:0x14
	v_not_b32_e32 v30, v29
	s_delay_alu instid0(VALU_DEP_3) | instskip(NEXT) | instid1(VALU_DEP_4)
	v_xor_b32_e32 v24, s16, v24
	v_xor_b32_e32 v25, s17, v25
	s_delay_alu instid0(VALU_DEP_4) | instskip(SKIP_4) | instid1(VALU_DEP_3)
	v_bitop3_b32 v22, v22, v23, exec_lo bitop3:0x80
	v_cmp_gt_i32_e64 s14, 0, v29
	v_not_b32_e32 v23, v28
	v_dual_ashrrev_i32 v29, 31, v30 :: v_dual_lshlrev_b32 v30, 25, v0
	v_cmp_gt_i32_e64 s15, 0, v28
	v_dual_lshlrev_b32 v28, 24, v0 :: v_dual_ashrrev_i32 v23, 31, v23
	v_bitop3_b32 v22, v22, v25, v24 bitop3:0x80
	s_delay_alu instid0(VALU_DEP_4) | instskip(SKIP_1) | instid1(VALU_DEP_4)
	v_not_b32_e32 v24, v30
	v_xor_b32_e32 v25, s14, v29
	v_not_b32_e32 v29, v28
	v_xor_b32_e32 v23, s15, v23
	v_cmp_gt_i32_e64 s14, 0, v30
	v_ashrrev_i32_e32 v24, 31, v24
	v_cmp_gt_i32_e64 s15, 0, v28
	v_dual_ashrrev_i32 v28, 31, v29 :: v_dual_lshlrev_b32 v0, 3, v0
	v_bitop3_b32 v30, v22, v23, v25 bitop3:0x80
	s_delay_alu instid0(VALU_DEP_4) | instskip(SKIP_1) | instid1(VALU_DEP_4)
	v_xor_b32_e32 v31, s14, v24
	v_mov_b64_e32 v[22:23], v[36:37]
	v_xor_b32_e32 v34, s15, v28
	v_add_lshl_u32 v0, v0, v134, 2
	v_mov_b64_e32 v[28:29], v[38:39]
	v_mov_b64_e32 v[24:25], v[48:49]
	s_barrier_signal -1
	v_bitop3_b32 v36, v30, v34, v31 bitop3:0x80
	v_add_nc_u64_e32 v[34:35], v[12:13], v[0:1]
	v_mov_b64_e32 v[30:31], v[54:55]
	s_barrier_wait -1
	s_delay_alu instid0(VALU_DEP_3) | instskip(SKIP_1) | instid1(VALU_DEP_4)
	v_mbcnt_lo_u32_b32 v0, v36, 0
	v_cmp_ne_u32_e64 s15, 0, v36
	v_add_nc_u64_e32 v[34:35], 32, v[34:35]
	; wave barrier
	s_delay_alu instid0(VALU_DEP_3) | instskip(SKIP_1) | instid1(SALU_CYCLE_1)
	v_cmp_eq_u32_e64 s14, 0, v0
	s_and_b32 s15, s15, s14
	s_and_saveexec_b32 s14, s15
; %bb.181:                              ;   in Loop: Header=BB1009_180 Depth=1
	v_bcnt_u32_b32 v35, v36, 0
	ds_store_b32 v34, v35
; %bb.182:                              ;   in Loop: Header=BB1009_180 Depth=1
	s_or_b32 exec_lo, exec_lo, s14
	v_not_b32_e32 v49, v66
	v_lshrrev_b32_e32 v192, 16, v183
	; wave barrier
	s_delay_alu instid0(VALU_DEP_1) | instskip(NEXT) | instid1(VALU_DEP_1)
	v_lshrrev_b32_e32 v35, v10, v192
	v_and_b32_e32 v36, v35, v49
	v_bitop3_b32 v35, v35, 1, v49 bitop3:0x80
	s_delay_alu instid0(VALU_DEP_2) | instskip(NEXT) | instid1(VALU_DEP_2)
	v_dual_lshlrev_b32 v39, 30, v36 :: v_dual_lshlrev_b32 v48, 29, v36
	v_add_co_u32 v35, s14, v35, -1
	s_delay_alu instid0(VALU_DEP_1) | instskip(SKIP_2) | instid1(VALU_DEP_3)
	v_cndmask_b32_e64 v38, 0, 1, s14
	v_dual_lshlrev_b32 v50, 28, v36 :: v_dual_lshlrev_b32 v51, 27, v36
	v_dual_lshlrev_b32 v52, 26, v36 :: v_dual_lshlrev_b32 v53, 25, v36
	v_cmp_ne_u32_e64 s14, 0, v38
	v_not_b32_e32 v38, v39
	v_cmp_gt_i32_e64 s15, 0, v39
	v_cmp_gt_i32_e64 s16, 0, v48
	v_not_b32_e32 v39, v48
	v_not_b32_e32 v48, v50
	v_ashrrev_i32_e32 v38, 31, v38
	v_lshl_add_u32 v37, v36, 3, v134
	v_dual_lshlrev_b32 v36, 24, v36 :: v_dual_bitop2_b32 v35, s14, v35 bitop3:0x14
	v_cmp_gt_i32_e64 s17, 0, v50
	v_cmp_gt_i32_e64 s18, 0, v51
	v_not_b32_e32 v50, v51
	v_dual_ashrrev_i32 v39, 31, v39 :: v_dual_ashrrev_i32 v48, 31, v48
	v_xor_b32_e32 v38, s15, v38
	v_not_b32_e32 v51, v52
	v_cmp_gt_i32_e64 s19, 0, v52
	s_delay_alu instid0(VALU_DEP_4)
	v_dual_ashrrev_i32 v50, 31, v50 :: v_dual_bitop2_b32 v39, s16, v39 bitop3:0x14
	v_xor_b32_e32 v48, s17, v48
	v_bitop3_b32 v35, v35, v38, exec_lo bitop3:0x80
	v_ashrrev_i32_e32 v38, 31, v51
	v_not_b32_e32 v51, v53
	v_not_b32_e32 v52, v36
	v_xor_b32_e32 v50, s18, v50
	v_bitop3_b32 v35, v35, v48, v39 bitop3:0x80
	v_cmp_gt_i32_e64 s14, 0, v53
	v_ashrrev_i32_e32 v39, 31, v51
	v_cmp_gt_i32_e64 s15, 0, v36
	v_ashrrev_i32_e32 v36, 31, v52
	v_lshl_add_u32 v37, v37, 2, v12
	v_xor_b32_e32 v38, s19, v38
	v_xor_b32_e32 v39, s14, v39
	s_delay_alu instid0(VALU_DEP_4) | instskip(NEXT) | instid1(VALU_DEP_3)
	v_xor_b32_e32 v36, s15, v36
	v_bitop3_b32 v38, v35, v38, v50 bitop3:0x80
	ds_load_b32 v35, v37 offset:32
	v_add_nc_u32_e32 v37, 32, v37
	; wave barrier
	v_bitop3_b32 v38, v38, v36, v39 bitop3:0x80
	s_delay_alu instid0(VALU_DEP_1) | instskip(SKIP_1) | instid1(VALU_DEP_2)
	v_mbcnt_lo_u32_b32 v36, v38, 0
	v_cmp_ne_u32_e64 s15, 0, v38
	v_cmp_eq_u32_e64 s14, 0, v36
	s_and_b32 s15, s15, s14
	s_delay_alu instid0(SALU_CYCLE_1)
	s_and_saveexec_b32 s14, s15
	s_cbranch_execz .LBB1009_184
; %bb.183:                              ;   in Loop: Header=BB1009_180 Depth=1
	s_wait_dscnt 0x0
	v_bcnt_u32_b32 v38, v38, v35
	ds_store_b32 v37, v38
.LBB1009_184:                           ;   in Loop: Header=BB1009_180 Depth=1
	s_or_b32 exec_lo, exec_lo, s14
	v_and_b32_e32 v38, 0xffff, v182
	; wave barrier
	s_delay_alu instid0(VALU_DEP_1) | instskip(NEXT) | instid1(VALU_DEP_1)
	v_lshrrev_b32_e32 v38, v10, v38
	v_and_b32_e32 v39, v38, v49
	s_delay_alu instid0(VALU_DEP_1) | instskip(SKIP_1) | instid1(VALU_DEP_2)
	v_lshlrev_b32_e32 v51, 30, v39
	v_bitop3_b32 v38, v38, 1, v49 bitop3:0x80
	v_cmp_gt_i32_e64 s15, 0, v51
	s_delay_alu instid0(VALU_DEP_2) | instskip(NEXT) | instid1(VALU_DEP_1)
	v_add_co_u32 v38, s14, v38, -1
	v_cndmask_b32_e64 v50, 0, 1, s14
	s_delay_alu instid0(VALU_DEP_1) | instskip(SKIP_1) | instid1(VALU_DEP_1)
	v_cmp_ne_u32_e64 s14, 0, v50
	v_not_b32_e32 v50, v51
	v_dual_ashrrev_i32 v50, 31, v50 :: v_dual_lshlrev_b32 v52, 29, v39
	v_dual_lshlrev_b32 v53, 28, v39 :: v_dual_lshlrev_b32 v54, 27, v39
	v_lshlrev_b32_e32 v55, 26, v39
	v_lshl_add_u32 v48, v39, 3, v134
	s_delay_alu instid0(VALU_DEP_4)
	v_cmp_gt_i32_e64 s16, 0, v52
	v_not_b32_e32 v51, v52
	v_not_b32_e32 v52, v53
	v_dual_lshlrev_b32 v64, 25, v39 :: v_dual_lshlrev_b32 v39, 24, v39
	v_cmp_gt_i32_e64 s17, 0, v53
	v_cmp_gt_i32_e64 s18, 0, v54
	v_not_b32_e32 v53, v54
	v_not_b32_e32 v54, v55
	v_dual_ashrrev_i32 v51, 31, v51 :: v_dual_bitop2_b32 v38, s14, v38 bitop3:0x14
	v_dual_ashrrev_i32 v52, 31, v52 :: v_dual_bitop2_b32 v50, s15, v50 bitop3:0x14
	v_cmp_gt_i32_e64 s19, 0, v55
	s_delay_alu instid0(VALU_DEP_4) | instskip(SKIP_1) | instid1(VALU_DEP_4)
	v_dual_ashrrev_i32 v53, 31, v53 :: v_dual_ashrrev_i32 v54, 31, v54
	v_not_b32_e32 v55, v39
	v_xor_b32_e32 v52, s17, v52
	v_bitop3_b32 v38, v38, v50, exec_lo bitop3:0x80
	v_not_b32_e32 v50, v64
	v_xor_b32_e32 v51, s16, v51
	v_xor_b32_e32 v54, s19, v54
	v_cmp_gt_i32_e64 s14, 0, v64
	v_cmp_gt_i32_e64 s15, 0, v39
	v_dual_ashrrev_i32 v50, 31, v50 :: v_dual_ashrrev_i32 v39, 31, v55
	v_bitop3_b32 v38, v38, v52, v51 bitop3:0x80
	v_lshl_add_u32 v48, v48, 2, v12
	v_xor_b32_e32 v53, s18, v53
	s_delay_alu instid0(VALU_DEP_4) | instskip(SKIP_1) | instid1(VALU_DEP_3)
	v_xor_b32_e32 v50, s14, v50
	v_xor_b32_e32 v39, s15, v39
	v_bitop3_b32 v51, v38, v54, v53 bitop3:0x80
	ds_load_b32 v38, v48 offset:32
	v_add_nc_u32_e32 v48, 32, v48
	; wave barrier
	v_bitop3_b32 v50, v51, v39, v50 bitop3:0x80
	s_delay_alu instid0(VALU_DEP_1) | instskip(SKIP_1) | instid1(VALU_DEP_2)
	v_mbcnt_lo_u32_b32 v39, v50, 0
	v_cmp_ne_u32_e64 s15, 0, v50
	v_cmp_eq_u32_e64 s14, 0, v39
	s_and_b32 s15, s15, s14
	s_delay_alu instid0(SALU_CYCLE_1)
	s_and_saveexec_b32 s14, s15
	s_cbranch_execz .LBB1009_186
; %bb.185:                              ;   in Loop: Header=BB1009_180 Depth=1
	s_wait_dscnt 0x0
	v_bcnt_u32_b32 v50, v50, v38
	ds_store_b32 v48, v50
.LBB1009_186:                           ;   in Loop: Header=BB1009_180 Depth=1
	s_or_b32 exec_lo, exec_lo, s14
	v_lshrrev_b32_e32 v193, 16, v182
	; wave barrier
	s_delay_alu instid0(VALU_DEP_1) | instskip(NEXT) | instid1(VALU_DEP_1)
	v_lshrrev_b32_e32 v50, v10, v193
	v_and_b32_e32 v51, v50, v49
	s_delay_alu instid0(VALU_DEP_1) | instskip(SKIP_3) | instid1(VALU_DEP_3)
	v_lshlrev_b32_e32 v54, 30, v51
	v_bitop3_b32 v50, v50, 1, v49 bitop3:0x80
	v_dual_lshlrev_b32 v55, 29, v51 :: v_dual_lshlrev_b32 v64, 28, v51
	v_dual_lshlrev_b32 v65, 27, v51 :: v_dual_lshlrev_b32 v66, 26, v51
	v_add_co_u32 v50, s14, v50, -1
	s_delay_alu instid0(VALU_DEP_1)
	v_cndmask_b32_e64 v53, 0, 1, s14
	v_cmp_gt_i32_e64 s15, 0, v54
	v_cmp_gt_i32_e64 s16, 0, v55
	v_lshl_add_u32 v52, v51, 3, v134
	v_dual_lshlrev_b32 v67, 25, v51 :: v_dual_lshlrev_b32 v51, 24, v51
	v_cmp_ne_u32_e64 s14, 0, v53
	v_not_b32_e32 v53, v54
	v_not_b32_e32 v54, v55
	;; [unrolled: 1-line block ×3, first 2 shown]
	v_cmp_gt_i32_e64 s17, 0, v64
	v_cmp_gt_i32_e64 s18, 0, v65
	v_dual_ashrrev_i32 v53, 31, v53 :: v_dual_bitop2_b32 v50, s14, v50 bitop3:0x14
	v_not_b32_e32 v64, v65
	v_not_b32_e32 v65, v66
	v_dual_ashrrev_i32 v54, 31, v54 :: v_dual_ashrrev_i32 v55, 31, v55
	s_delay_alu instid0(VALU_DEP_3) | instskip(SKIP_1) | instid1(VALU_DEP_3)
	v_dual_ashrrev_i32 v64, 31, v64 :: v_dual_bitop2_b32 v53, s15, v53 bitop3:0x14
	v_cmp_gt_i32_e64 s19, 0, v66
	v_dual_ashrrev_i32 v65, 31, v65 :: v_dual_bitop2_b32 v54, s16, v54 bitop3:0x14
	s_delay_alu instid0(VALU_DEP_3)
	v_bitop3_b32 v50, v50, v53, exec_lo bitop3:0x80
	v_not_b32_e32 v53, v67
	v_xor_b32_e32 v55, s17, v55
	v_not_b32_e32 v66, v51
	v_xor_b32_e32 v64, s18, v64
	v_cmp_gt_i32_e64 s14, 0, v67
	v_ashrrev_i32_e32 v53, 31, v53
	v_bitop3_b32 v50, v50, v55, v54 bitop3:0x80
	v_cmp_gt_i32_e64 s15, 0, v51
	v_ashrrev_i32_e32 v51, 31, v66
	v_lshl_add_u32 v52, v52, 2, v12
	v_xor_b32_e32 v65, s19, v65
	v_xor_b32_e32 v53, s14, v53
	s_delay_alu instid0(VALU_DEP_4) | instskip(NEXT) | instid1(VALU_DEP_3)
	v_xor_b32_e32 v51, s15, v51
	v_bitop3_b32 v54, v50, v65, v64 bitop3:0x80
	ds_load_b32 v50, v52 offset:32
	v_add_nc_u32_e32 v52, 32, v52
	; wave barrier
	v_bitop3_b32 v53, v54, v51, v53 bitop3:0x80
	s_delay_alu instid0(VALU_DEP_1) | instskip(SKIP_1) | instid1(VALU_DEP_2)
	v_mbcnt_lo_u32_b32 v51, v53, 0
	v_cmp_ne_u32_e64 s15, 0, v53
	v_cmp_eq_u32_e64 s14, 0, v51
	s_and_b32 s15, s15, s14
	s_delay_alu instid0(SALU_CYCLE_1)
	s_and_saveexec_b32 s14, s15
	s_cbranch_execz .LBB1009_188
; %bb.187:                              ;   in Loop: Header=BB1009_180 Depth=1
	s_wait_dscnt 0x0
	v_bcnt_u32_b32 v53, v53, v50
	ds_store_b32 v52, v53
.LBB1009_188:                           ;   in Loop: Header=BB1009_180 Depth=1
	s_or_b32 exec_lo, exec_lo, s14
	v_and_b32_e32 v53, 0xffff, v181
	; wave barrier
	s_delay_alu instid0(VALU_DEP_1) | instskip(NEXT) | instid1(VALU_DEP_1)
	v_lshrrev_b32_e32 v53, v10, v53
	v_and_b32_e32 v54, v53, v49
	s_delay_alu instid0(VALU_DEP_1) | instskip(SKIP_1) | instid1(VALU_DEP_2)
	v_lshlrev_b32_e32 v65, 30, v54
	v_bitop3_b32 v53, v53, 1, v49 bitop3:0x80
	v_cmp_gt_i32_e64 s15, 0, v65
	s_delay_alu instid0(VALU_DEP_2) | instskip(NEXT) | instid1(VALU_DEP_1)
	v_add_co_u32 v53, s14, v53, -1
	v_cndmask_b32_e64 v64, 0, 1, s14
	s_delay_alu instid0(VALU_DEP_1) | instskip(SKIP_1) | instid1(VALU_DEP_1)
	v_cmp_ne_u32_e64 s14, 0, v64
	v_not_b32_e32 v64, v65
	v_dual_ashrrev_i32 v64, 31, v64 :: v_dual_lshlrev_b32 v66, 29, v54
	v_dual_lshlrev_b32 v67, 28, v54 :: v_dual_lshlrev_b32 v68, 27, v54
	v_lshlrev_b32_e32 v69, 26, v54
	v_lshl_add_u32 v55, v54, 3, v134
	s_delay_alu instid0(VALU_DEP_4)
	v_cmp_gt_i32_e64 s16, 0, v66
	v_not_b32_e32 v65, v66
	v_not_b32_e32 v66, v67
	v_dual_lshlrev_b32 v70, 25, v54 :: v_dual_lshlrev_b32 v54, 24, v54
	v_cmp_gt_i32_e64 s17, 0, v67
	v_cmp_gt_i32_e64 s18, 0, v68
	v_not_b32_e32 v67, v68
	v_not_b32_e32 v68, v69
	v_dual_ashrrev_i32 v66, 31, v66 :: v_dual_bitop2_b32 v53, s14, v53 bitop3:0x14
	v_dual_ashrrev_i32 v65, 31, v65 :: v_dual_bitop2_b32 v64, s15, v64 bitop3:0x14
	v_cmp_gt_i32_e64 s19, 0, v69
	s_delay_alu instid0(VALU_DEP_4)
	v_dual_ashrrev_i32 v67, 31, v67 :: v_dual_ashrrev_i32 v68, 31, v68
	v_not_b32_e32 v69, v54
	v_xor_b32_e32 v66, s17, v66
	v_bitop3_b32 v53, v53, v64, exec_lo bitop3:0x80
	v_not_b32_e32 v64, v70
	v_xor_b32_e32 v65, s16, v65
	v_xor_b32_e32 v67, s18, v67
	v_cmp_gt_i32_e64 s14, 0, v70
	v_cmp_gt_i32_e64 s15, 0, v54
	v_dual_ashrrev_i32 v64, 31, v64 :: v_dual_ashrrev_i32 v54, 31, v69
	v_bitop3_b32 v53, v53, v66, v65 bitop3:0x80
	v_lshl_add_u32 v55, v55, 2, v12
	v_xor_b32_e32 v68, s19, v68
	s_delay_alu instid0(VALU_DEP_4) | instskip(SKIP_1) | instid1(VALU_DEP_3)
	v_xor_b32_e32 v64, s14, v64
	v_xor_b32_e32 v54, s15, v54
	v_bitop3_b32 v65, v53, v68, v67 bitop3:0x80
	ds_load_b32 v53, v55 offset:32
	v_add_nc_u32_e32 v55, 32, v55
	; wave barrier
	v_bitop3_b32 v64, v65, v54, v64 bitop3:0x80
	s_delay_alu instid0(VALU_DEP_1) | instskip(SKIP_1) | instid1(VALU_DEP_2)
	v_mbcnt_lo_u32_b32 v54, v64, 0
	v_cmp_ne_u32_e64 s15, 0, v64
	v_cmp_eq_u32_e64 s14, 0, v54
	s_and_b32 s15, s15, s14
	s_delay_alu instid0(SALU_CYCLE_1)
	s_and_saveexec_b32 s14, s15
	s_cbranch_execz .LBB1009_190
; %bb.189:                              ;   in Loop: Header=BB1009_180 Depth=1
	s_wait_dscnt 0x0
	v_bcnt_u32_b32 v64, v64, v53
	ds_store_b32 v55, v64
.LBB1009_190:                           ;   in Loop: Header=BB1009_180 Depth=1
	s_or_b32 exec_lo, exec_lo, s14
	v_lshrrev_b32_e32 v194, 16, v181
	; wave barrier
	s_delay_alu instid0(VALU_DEP_1) | instskip(NEXT) | instid1(VALU_DEP_1)
	v_lshrrev_b32_e32 v64, v10, v194
	v_and_b32_e32 v65, v64, v49
	s_delay_alu instid0(VALU_DEP_1) | instskip(SKIP_2) | instid1(VALU_DEP_3)
	v_lshlrev_b32_e32 v68, 30, v65
	v_bitop3_b32 v64, v64, 1, v49 bitop3:0x80
	v_lshlrev_b32_e32 v69, 29, v65
	v_cmp_gt_i32_e64 s15, 0, v68
	s_delay_alu instid0(VALU_DEP_3) | instskip(NEXT) | instid1(VALU_DEP_1)
	v_add_co_u32 v64, s14, v64, -1
	v_cndmask_b32_e64 v67, 0, 1, s14
	s_delay_alu instid0(VALU_DEP_1) | instskip(SKIP_2) | instid1(VALU_DEP_1)
	v_cmp_ne_u32_e64 s14, 0, v67
	v_not_b32_e32 v67, v68
	v_not_b32_e32 v68, v69
	v_dual_ashrrev_i32 v67, 31, v67 :: v_dual_ashrrev_i32 v68, 31, v68
	v_dual_lshlrev_b32 v70, 28, v65 :: v_dual_lshlrev_b32 v71, 27, v65
	v_lshlrev_b32_e32 v80, 26, v65
	v_cmp_gt_i32_e64 s16, 0, v69
	v_lshl_add_u32 v66, v65, 3, v134
	s_delay_alu instid0(VALU_DEP_4)
	v_not_b32_e32 v69, v70
	v_dual_lshlrev_b32 v81, 25, v65 :: v_dual_lshlrev_b32 v65, 24, v65
	v_cmp_gt_i32_e64 s17, 0, v70
	v_cmp_gt_i32_e64 s18, 0, v71
	v_not_b32_e32 v70, v71
	v_not_b32_e32 v71, v80
	v_dual_ashrrev_i32 v69, 31, v69 :: v_dual_bitop2_b32 v64, s14, v64 bitop3:0x14
	s_delay_alu instid0(VALU_DEP_3) | instskip(SKIP_1) | instid1(VALU_DEP_4)
	v_dual_ashrrev_i32 v70, 31, v70 :: v_dual_bitop2_b32 v67, s15, v67 bitop3:0x14
	v_cmp_gt_i32_e64 s19, 0, v80
	v_dual_ashrrev_i32 v71, 31, v71 :: v_dual_bitop2_b32 v68, s16, v68 bitop3:0x14
	s_delay_alu instid0(VALU_DEP_3)
	v_bitop3_b32 v64, v64, v67, exec_lo bitop3:0x80
	v_not_b32_e32 v67, v81
	v_xor_b32_e32 v69, s17, v69
	v_not_b32_e32 v80, v65
	v_xor_b32_e32 v70, s18, v70
	v_cmp_gt_i32_e64 s14, 0, v81
	v_ashrrev_i32_e32 v67, 31, v67
	v_bitop3_b32 v64, v64, v69, v68 bitop3:0x80
	v_cmp_gt_i32_e64 s15, 0, v65
	v_ashrrev_i32_e32 v65, 31, v80
	v_lshl_add_u32 v66, v66, 2, v12
	v_xor_b32_e32 v71, s19, v71
	v_xor_b32_e32 v67, s14, v67
	s_delay_alu instid0(VALU_DEP_4) | instskip(NEXT) | instid1(VALU_DEP_3)
	v_xor_b32_e32 v65, s15, v65
	v_bitop3_b32 v68, v64, v71, v70 bitop3:0x80
	ds_load_b32 v64, v66 offset:32
	v_add_nc_u32_e32 v66, 32, v66
	; wave barrier
	v_bitop3_b32 v67, v68, v65, v67 bitop3:0x80
	s_delay_alu instid0(VALU_DEP_1) | instskip(SKIP_1) | instid1(VALU_DEP_2)
	v_mbcnt_lo_u32_b32 v65, v67, 0
	v_cmp_ne_u32_e64 s15, 0, v67
	v_cmp_eq_u32_e64 s14, 0, v65
	s_and_b32 s15, s15, s14
	s_delay_alu instid0(SALU_CYCLE_1)
	s_and_saveexec_b32 s14, s15
	s_cbranch_execz .LBB1009_192
; %bb.191:                              ;   in Loop: Header=BB1009_180 Depth=1
	s_wait_dscnt 0x0
	v_bcnt_u32_b32 v67, v67, v64
	ds_store_b32 v66, v67
.LBB1009_192:                           ;   in Loop: Header=BB1009_180 Depth=1
	s_or_b32 exec_lo, exec_lo, s14
	v_and_b32_e32 v67, 0xffff, v180
	; wave barrier
	s_delay_alu instid0(VALU_DEP_1) | instskip(NEXT) | instid1(VALU_DEP_1)
	v_lshrrev_b32_e32 v67, v10, v67
	v_and_b32_e32 v68, v67, v49
	s_delay_alu instid0(VALU_DEP_1) | instskip(SKIP_1) | instid1(VALU_DEP_2)
	v_lshlrev_b32_e32 v71, 30, v68
	v_bitop3_b32 v67, v67, 1, v49 bitop3:0x80
	v_cmp_gt_i32_e64 s15, 0, v71
	s_delay_alu instid0(VALU_DEP_2) | instskip(NEXT) | instid1(VALU_DEP_1)
	v_add_co_u32 v67, s14, v67, -1
	v_cndmask_b32_e64 v70, 0, 1, s14
	s_delay_alu instid0(VALU_DEP_1) | instskip(SKIP_1) | instid1(VALU_DEP_1)
	v_cmp_ne_u32_e64 s14, 0, v70
	v_not_b32_e32 v70, v71
	v_dual_ashrrev_i32 v70, 31, v70 :: v_dual_lshlrev_b32 v80, 29, v68
	v_dual_lshlrev_b32 v81, 28, v68 :: v_dual_lshlrev_b32 v82, 27, v68
	v_lshlrev_b32_e32 v83, 26, v68
	v_lshl_add_u32 v69, v68, 3, v134
	s_delay_alu instid0(VALU_DEP_4)
	v_cmp_gt_i32_e64 s16, 0, v80
	v_not_b32_e32 v71, v80
	v_not_b32_e32 v80, v81
	v_dual_lshlrev_b32 v84, 25, v68 :: v_dual_lshlrev_b32 v68, 24, v68
	v_cmp_gt_i32_e64 s17, 0, v81
	v_cmp_gt_i32_e64 s18, 0, v82
	v_not_b32_e32 v81, v82
	v_not_b32_e32 v82, v83
	v_dual_ashrrev_i32 v80, 31, v80 :: v_dual_bitop2_b32 v67, s14, v67 bitop3:0x14
	v_dual_ashrrev_i32 v71, 31, v71 :: v_dual_bitop2_b32 v70, s15, v70 bitop3:0x14
	v_cmp_gt_i32_e64 s19, 0, v83
	s_delay_alu instid0(VALU_DEP_4)
	v_dual_ashrrev_i32 v81, 31, v81 :: v_dual_ashrrev_i32 v82, 31, v82
	v_not_b32_e32 v83, v68
	v_xor_b32_e32 v80, s17, v80
	v_bitop3_b32 v67, v67, v70, exec_lo bitop3:0x80
	v_not_b32_e32 v70, v84
	v_xor_b32_e32 v71, s16, v71
	v_xor_b32_e32 v81, s18, v81
	v_cmp_gt_i32_e64 s14, 0, v84
	v_cmp_gt_i32_e64 s15, 0, v68
	v_dual_ashrrev_i32 v70, 31, v70 :: v_dual_ashrrev_i32 v68, 31, v83
	v_bitop3_b32 v67, v67, v80, v71 bitop3:0x80
	v_lshl_add_u32 v69, v69, 2, v12
	v_xor_b32_e32 v82, s19, v82
	s_delay_alu instid0(VALU_DEP_4) | instskip(SKIP_3) | instid1(VALU_DEP_1)
	v_xor_b32_e32 v70, s14, v70
	v_xor_b32_e32 v68, s15, v68
	ds_load_b32 v84, v69 offset:32
	v_bitop3_b32 v67, v67, v82, v81 bitop3:0x80
	; wave barrier
	v_bitop3_b32 v68, v67, v68, v70 bitop3:0x80
	v_add_nc_u32_e32 v67, 32, v69
	s_delay_alu instid0(VALU_DEP_2) | instskip(SKIP_1) | instid1(VALU_DEP_2)
	v_mbcnt_lo_u32_b32 v86, v68, 0
	v_cmp_ne_u32_e64 s15, 0, v68
	v_cmp_eq_u32_e64 s14, 0, v86
	s_and_b32 s15, s15, s14
	s_delay_alu instid0(SALU_CYCLE_1)
	s_and_saveexec_b32 s14, s15
	s_cbranch_execz .LBB1009_194
; %bb.193:                              ;   in Loop: Header=BB1009_180 Depth=1
	s_wait_dscnt 0x0
	v_bcnt_u32_b32 v68, v68, v84
	ds_store_b32 v67, v68
.LBB1009_194:                           ;   in Loop: Header=BB1009_180 Depth=1
	s_or_b32 exec_lo, exec_lo, s14
	v_lshrrev_b32_e32 v195, 16, v180
	; wave barrier
	s_delay_alu instid0(VALU_DEP_1) | instskip(NEXT) | instid1(VALU_DEP_1)
	v_lshrrev_b32_e32 v68, v10, v195
	v_and_b32_e32 v69, v68, v49
	s_delay_alu instid0(VALU_DEP_1) | instskip(SKIP_3) | instid1(VALU_DEP_3)
	v_lshlrev_b32_e32 v71, 30, v69
	v_bitop3_b32 v49, v68, 1, v49 bitop3:0x80
	v_dual_lshlrev_b32 v80, 29, v69 :: v_dual_lshlrev_b32 v81, 28, v69
	v_dual_lshlrev_b32 v82, 27, v69 :: v_dual_lshlrev_b32 v83, 26, v69
	v_add_co_u32 v49, s14, v49, -1
	s_delay_alu instid0(VALU_DEP_1)
	v_cndmask_b32_e64 v70, 0, 1, s14
	v_cmp_gt_i32_e64 s15, 0, v71
	v_cmp_gt_i32_e64 s16, 0, v80
	v_lshl_add_u32 v68, v69, 3, v134
	v_dual_lshlrev_b32 v85, 25, v69 :: v_dual_lshlrev_b32 v69, 24, v69
	v_cmp_ne_u32_e64 s14, 0, v70
	v_not_b32_e32 v70, v71
	v_not_b32_e32 v71, v80
	;; [unrolled: 1-line block ×3, first 2 shown]
	v_cmp_gt_i32_e64 s17, 0, v81
	v_cmp_gt_i32_e64 s18, 0, v82
	v_dual_ashrrev_i32 v70, 31, v70 :: v_dual_bitop2_b32 v49, s14, v49 bitop3:0x14
	v_not_b32_e32 v81, v82
	v_not_b32_e32 v82, v83
	v_dual_ashrrev_i32 v71, 31, v71 :: v_dual_ashrrev_i32 v80, 31, v80
	s_delay_alu instid0(VALU_DEP_3) | instskip(SKIP_1) | instid1(VALU_DEP_3)
	v_dual_ashrrev_i32 v81, 31, v81 :: v_dual_bitop2_b32 v70, s15, v70 bitop3:0x14
	v_cmp_gt_i32_e64 s19, 0, v83
	v_dual_ashrrev_i32 v82, 31, v82 :: v_dual_bitop2_b32 v71, s16, v71 bitop3:0x14
	s_delay_alu instid0(VALU_DEP_3)
	v_bitop3_b32 v49, v49, v70, exec_lo bitop3:0x80
	v_not_b32_e32 v70, v85
	v_xor_b32_e32 v80, s17, v80
	v_not_b32_e32 v83, v69
	v_xor_b32_e32 v81, s18, v81
	v_cmp_gt_i32_e64 s14, 0, v85
	v_ashrrev_i32_e32 v70, 31, v70
	v_bitop3_b32 v49, v49, v80, v71 bitop3:0x80
	v_cmp_gt_i32_e64 s15, 0, v69
	v_ashrrev_i32_e32 v69, 31, v83
	v_lshl_add_u32 v68, v68, 2, v12
	v_xor_b32_e32 v82, s19, v82
	v_xor_b32_e32 v70, s14, v70
	s_delay_alu instid0(VALU_DEP_4) | instskip(NEXT) | instid1(VALU_DEP_3)
	v_xor_b32_e32 v69, s15, v69
	v_bitop3_b32 v71, v49, v82, v81 bitop3:0x80
	ds_load_b32 v49, v68 offset:32
	v_add_nc_u32_e32 v68, 32, v68
	; wave barrier
	v_bitop3_b32 v69, v71, v69, v70 bitop3:0x80
	s_delay_alu instid0(VALU_DEP_1) | instskip(SKIP_1) | instid1(VALU_DEP_2)
	v_mbcnt_lo_u32_b32 v96, v69, 0
	v_cmp_ne_u32_e64 s15, 0, v69
	v_cmp_eq_u32_e64 s14, 0, v96
	s_and_b32 s15, s15, s14
	s_delay_alu instid0(SALU_CYCLE_1)
	s_and_saveexec_b32 s14, s15
	s_cbranch_execz .LBB1009_196
; %bb.195:                              ;   in Loop: Header=BB1009_180 Depth=1
	s_wait_dscnt 0x0
	v_bcnt_u32_b32 v69, v69, v49
	ds_store_b32 v68, v69
.LBB1009_196:                           ;   in Loop: Header=BB1009_180 Depth=1
	s_or_b32 exec_lo, exec_lo, s14
	; wave barrier
	s_wait_dscnt 0x0
	s_barrier_signal -1
	s_barrier_wait -1
	ds_load_b32 v70, v19
	ds_load_b32 v71, v27
	;; [unrolled: 1-line block ×8, first 2 shown]
	s_wait_dscnt 0x6
	v_add_nc_u32_e32 v87, v71, v70
	s_wait_dscnt 0x4
	s_delay_alu instid0(VALU_DEP_1) | instskip(SKIP_1) | instid1(VALU_DEP_1)
	v_add3_u32 v87, v87, v80, v81
	s_wait_dscnt 0x2
	v_add3_u32 v87, v87, v82, v83
	s_wait_dscnt 0x0
	s_delay_alu instid0(VALU_DEP_1) | instskip(NEXT) | instid1(VALU_DEP_1)
	v_add3_u32 v85, v87, v69, v85
	v_mov_b32_dpp v87, v85 row_shr:1 row_mask:0xf bank_mask:0xf
	s_delay_alu instid0(VALU_DEP_1) | instskip(NEXT) | instid1(VALU_DEP_1)
	v_cndmask_b32_e64 v87, v87, 0, vcc_lo
	v_add_nc_u32_e32 v85, v87, v85
	s_delay_alu instid0(VALU_DEP_1) | instskip(NEXT) | instid1(VALU_DEP_1)
	v_mov_b32_dpp v87, v85 row_shr:2 row_mask:0xf bank_mask:0xf
	v_cndmask_b32_e64 v87, 0, v87, s0
	s_delay_alu instid0(VALU_DEP_1) | instskip(NEXT) | instid1(VALU_DEP_1)
	v_add_nc_u32_e32 v85, v85, v87
	v_mov_b32_dpp v87, v85 row_shr:4 row_mask:0xf bank_mask:0xf
	s_delay_alu instid0(VALU_DEP_1) | instskip(NEXT) | instid1(VALU_DEP_1)
	v_cndmask_b32_e64 v87, 0, v87, s1
	v_add_nc_u32_e32 v85, v85, v87
	s_delay_alu instid0(VALU_DEP_1) | instskip(NEXT) | instid1(VALU_DEP_1)
	v_mov_b32_dpp v87, v85 row_shr:8 row_mask:0xf bank_mask:0xf
	v_cndmask_b32_e64 v87, 0, v87, s3
	s_delay_alu instid0(VALU_DEP_1) | instskip(SKIP_3) | instid1(VALU_DEP_1)
	v_add_nc_u32_e32 v85, v85, v87
	ds_swizzle_b32 v87, v85 offset:swizzle(BROADCAST,32,15)
	s_wait_dscnt 0x0
	v_cndmask_b32_e64 v87, v87, 0, s4
	v_add_nc_u32_e32 v85, v85, v87
	s_and_saveexec_b32 s14, s5
; %bb.197:                              ;   in Loop: Header=BB1009_180 Depth=1
	ds_store_b32 v144, v85
; %bb.198:                              ;   in Loop: Header=BB1009_180 Depth=1
	s_or_b32 exec_lo, exec_lo, s14
	s_wait_dscnt 0x0
	s_barrier_signal -1
	s_barrier_wait -1
	s_and_saveexec_b32 s14, s6
	s_cbranch_execz .LBB1009_200
; %bb.199:                              ;   in Loop: Header=BB1009_180 Depth=1
	ds_load_b32 v87, v145
	s_wait_dscnt 0x0
	v_mov_b32_dpp v97, v87 row_shr:1 row_mask:0xf bank_mask:0xf
	s_delay_alu instid0(VALU_DEP_1) | instskip(NEXT) | instid1(VALU_DEP_1)
	v_cndmask_b32_e64 v97, v97, 0, s11
	v_add_nc_u32_e32 v87, v97, v87
	s_delay_alu instid0(VALU_DEP_1) | instskip(NEXT) | instid1(VALU_DEP_1)
	v_mov_b32_dpp v97, v87 row_shr:2 row_mask:0xf bank_mask:0xf
	v_cndmask_b32_e64 v97, 0, v97, s12
	s_delay_alu instid0(VALU_DEP_1) | instskip(NEXT) | instid1(VALU_DEP_1)
	v_add_nc_u32_e32 v87, v87, v97
	v_mov_b32_dpp v97, v87 row_shr:4 row_mask:0xf bank_mask:0xf
	s_delay_alu instid0(VALU_DEP_1) | instskip(NEXT) | instid1(VALU_DEP_1)
	v_cndmask_b32_e64 v97, 0, v97, s13
	v_add_nc_u32_e32 v87, v87, v97
	ds_store_b32 v145, v87
.LBB1009_200:                           ;   in Loop: Header=BB1009_180 Depth=1
	s_or_b32 exec_lo, exec_lo, s14
	v_mov_b32_e32 v87, 0
	s_wait_dscnt 0x0
	s_barrier_signal -1
	s_barrier_wait -1
	s_and_saveexec_b32 s14, s7
; %bb.201:                              ;   in Loop: Header=BB1009_180 Depth=1
	ds_load_b32 v87, v147
; %bb.202:                              ;   in Loop: Header=BB1009_180 Depth=1
	s_or_b32 exec_lo, exec_lo, s14
	s_wait_dscnt 0x0
	v_dual_add_nc_u32 v85, v87, v85 :: v_dual_add_nc_u32 v10, 8, v10
	s_mov_b32 s16, -1
	v_mov_b32_e32 v196, v183
	ds_bpermute_b32 v85, v135, v85
	s_wait_dscnt 0x0
	v_cndmask_b32_e64 v85, v85, v87, s2
	v_mov_b32_e32 v87, v1
	s_delay_alu instid0(VALU_DEP_2) | instskip(NEXT) | instid1(VALU_DEP_1)
	v_cndmask_b32_e64 v85, v85, 0, s10
	v_add_nc_u32_e32 v70, v85, v70
	s_delay_alu instid0(VALU_DEP_1) | instskip(NEXT) | instid1(VALU_DEP_1)
	v_add_nc_u32_e32 v71, v70, v71
	v_add_nc_u32_e32 v80, v71, v80
	s_delay_alu instid0(VALU_DEP_1)
	v_add_nc_u32_e32 v81, v80, v81
	ds_store_b32 v19, v85
	ds_store_b32 v27, v70
	;; [unrolled: 1-line block ×3, first 2 shown]
	v_dual_mov_b32 v71, v1 :: v_dual_mov_b32 v85, v1
	v_add_nc_u32_e32 v82, v81, v82
	s_delay_alu instid0(VALU_DEP_1) | instskip(NEXT) | instid1(VALU_DEP_1)
	v_add_nc_u32_e32 v83, v82, v83
	v_add_nc_u32_e32 v69, v83, v69
	ds_store_b32 v129, v80
	ds_store_b32 v130, v81
	ds_store_b32 v131, v82
	ds_store_b32 v132, v83
	ds_store_b32 v133, v69
	s_wait_dscnt 0x0
	s_barrier_signal -1
	s_barrier_wait -1
	ds_load_b32 v34, v34
	ds_load_b32 v37, v37
	;; [unrolled: 1-line block ×8, first 2 shown]
	v_dual_mov_b32 v67, v1 :: v_dual_mov_b32 v69, v1
	v_dual_mov_b32 v81, v1 :: v_dual_mov_b32 v83, v1
	v_cmp_lt_u32_e64 s14, v10, v11
	s_wait_dscnt 0x0
	v_add_nc_u32_e32 v0, v34, v0
	v_add3_u32 v66, v36, v35, v37
	v_add3_u32 v68, v39, v38, v48
	;; [unrolled: 1-line block ×7, first 2 shown]
	v_lshl_add_u64 v[118:119], v[0:1], 1, v[12:13]
	v_lshl_add_u64 v[116:117], v[66:67], 1, v[12:13]
	;; [unrolled: 1-line block ×8, first 2 shown]
                                        ; implicit-def: $vgpr71
                                        ; implicit-def: $vgpr69
                                        ; implicit-def: $vgpr67
                                        ; implicit-def: $vgpr50_vgpr51
                                        ; implicit-def: $vgpr52_vgpr53
                                        ; implicit-def: $vgpr64_vgpr65
                                        ; implicit-def: $vgpr34_vgpr35
                                        ; implicit-def: $vgpr36_vgpr37
                                        ; implicit-def: $vgpr38_vgpr39
                                        ; implicit-def: $vgpr48_vgpr49
                                        ; implicit-def: $vgpr54_vgpr55
	s_and_saveexec_b32 s15, s14
	s_cbranch_execz .LBB1009_179
; %bb.203:                              ;   in Loop: Header=BB1009_180 Depth=1
	v_mad_nc_u64_u32 v[34:35], v0, 6, v[118:119]
	v_mad_nc_u64_u32 v[36:37], v66, 6, v[116:117]
	;; [unrolled: 1-line block ×8, first 2 shown]
	s_barrier_signal -1
	s_barrier_wait -1
	ds_store_b16 v118, v183
	ds_store_b16 v116, v192
	;; [unrolled: 1-line block ×8, first 2 shown]
	s_wait_dscnt 0x0
	s_barrier_signal -1
	s_barrier_wait -1
	ds_load_u16 v67, v146
	ds_load_u16 v69, v148
	;; [unrolled: 1-line block ×8, first 2 shown]
	s_wait_dscnt 0x0
	s_barrier_signal -1
	s_barrier_wait -1
	ds_store_b64 v34, v[14:15]
	ds_store_b64 v36, v[16:17]
	ds_store_b64 v38, v[20:21]
	ds_store_b64 v48, v[32:33]
	ds_store_b64 v50, v[22:23]
	ds_store_b64 v52, v[28:29]
	ds_store_b64 v54, v[24:25]
	ds_store_b64 v64, v[30:31]
	s_wait_dscnt 0x0
	s_barrier_signal -1
	s_barrier_wait -1
	ds_load_b64 v[50:51], v151
	ds_load_b64 v[52:53], v164
	;; [unrolled: 1-line block ×8, first 2 shown]
	v_add_nc_u32_e32 v179, -8, v179
	s_xor_b32 s16, exec_lo, -1
	s_wait_dscnt 0x0
	v_perm_b32 v183, v69, v67, 0x5040100
	s_barrier_signal -1
	v_perm_b32 v67, v81, v71, 0x5040100
	s_barrier_wait -1
	v_perm_b32 v69, v85, v83, 0x5040100
	v_perm_b32 v71, v197, v87, 0x5040100
	s_branch .LBB1009_179
.LBB1009_204:
	flat_load_b64 v[80:81], v[0:1]
	s_wait_xcnt 0x0
	s_or_b32 exec_lo, exec_lo, s18
                                        ; implicit-def: $vgpr82_vgpr83
	s_and_saveexec_b32 s18, s0
	s_cbranch_execz .LBB1009_38
.LBB1009_205:
	flat_load_b64 v[82:83], v[0:1] offset:256
	s_wait_xcnt 0x0
	s_or_b32 exec_lo, exec_lo, s18
                                        ; implicit-def: $vgpr84_vgpr85
	s_and_saveexec_b32 s0, s1
	s_cbranch_execz .LBB1009_39
.LBB1009_206:
	flat_load_b64 v[84:85], v[0:1] offset:512
	s_wait_xcnt 0x0
	s_or_b32 exec_lo, exec_lo, s0
                                        ; implicit-def: $vgpr86_vgpr87
	s_and_saveexec_b32 s0, s2
	s_cbranch_execz .LBB1009_40
.LBB1009_207:
	flat_load_b64 v[86:87], v[0:1] offset:768
	s_wait_xcnt 0x0
	s_or_b32 exec_lo, exec_lo, s0
                                        ; implicit-def: $vgpr96_vgpr97
	s_and_saveexec_b32 s0, s3
	s_cbranch_execz .LBB1009_41
.LBB1009_208:
	flat_load_b64 v[96:97], v[0:1] offset:1024
	s_wait_xcnt 0x0
	s_or_b32 exec_lo, exec_lo, s0
                                        ; implicit-def: $vgpr98_vgpr99
	s_and_saveexec_b32 s0, s4
	s_cbranch_execz .LBB1009_42
.LBB1009_209:
	flat_load_b64 v[98:99], v[0:1] offset:1280
	s_wait_xcnt 0x0
	s_or_b32 exec_lo, exec_lo, s0
                                        ; implicit-def: $vgpr114_vgpr115
	s_and_saveexec_b32 s0, s5
	s_cbranch_execz .LBB1009_43
.LBB1009_210:
	flat_load_b64 v[114:115], v[0:1] offset:1536
	s_wait_xcnt 0x0
	s_or_b32 exec_lo, exec_lo, s0
                                        ; implicit-def: $vgpr162_vgpr163
	s_and_saveexec_b32 s0, s6
	s_cbranch_execz .LBB1009_44
.LBB1009_211:
	flat_load_b64 v[162:163], v[0:1] offset:1792
	s_wait_xcnt 0x0
	s_or_b32 exec_lo, exec_lo, s0
                                        ; implicit-def: $vgpr164_vgpr165
	s_and_saveexec_b32 s0, s7
	s_cbranch_execz .LBB1009_45
.LBB1009_212:
	flat_load_b64 v[164:165], v[0:1] offset:2048
	s_wait_xcnt 0x0
	s_or_b32 exec_lo, exec_lo, s0
                                        ; implicit-def: $vgpr178_vgpr179
	s_and_saveexec_b32 s0, s10
	s_cbranch_execz .LBB1009_46
.LBB1009_213:
	flat_load_b64 v[178:179], v[0:1] offset:2304
	s_wait_xcnt 0x0
	s_or_b32 exec_lo, exec_lo, s0
                                        ; implicit-def: $vgpr180_vgpr181
	s_and_saveexec_b32 s0, s11
	s_cbranch_execz .LBB1009_47
.LBB1009_214:
	flat_load_b64 v[180:181], v[0:1] offset:2560
	s_wait_xcnt 0x0
	s_or_b32 exec_lo, exec_lo, s0
                                        ; implicit-def: $vgpr182_vgpr183
	s_and_saveexec_b32 s0, s12
	s_cbranch_execz .LBB1009_48
.LBB1009_215:
	flat_load_b64 v[182:183], v[0:1] offset:2816
	s_wait_xcnt 0x0
	s_or_b32 exec_lo, exec_lo, s0
                                        ; implicit-def: $vgpr194_vgpr195
	s_and_saveexec_b32 s0, s13
	s_cbranch_execz .LBB1009_49
.LBB1009_216:
	flat_load_b64 v[194:195], v[0:1] offset:3072
	s_wait_xcnt 0x0
	s_or_b32 exec_lo, exec_lo, s0
                                        ; implicit-def: $vgpr198_vgpr199
	s_and_saveexec_b32 s0, s14
	s_cbranch_execz .LBB1009_50
.LBB1009_217:
	flat_load_b64 v[198:199], v[0:1] offset:3328
	s_wait_xcnt 0x0
	s_or_b32 exec_lo, exec_lo, s0
                                        ; implicit-def: $vgpr192_vgpr193
	s_and_saveexec_b32 s0, s15
	s_cbranch_execz .LBB1009_51
.LBB1009_218:
	flat_load_b64 v[192:193], v[0:1] offset:3584
	s_wait_xcnt 0x0
	s_or_b32 exec_lo, exec_lo, s0
                                        ; implicit-def: $vgpr196_vgpr197
	s_and_saveexec_b32 s0, s16
	s_cbranch_execz .LBB1009_52
.LBB1009_219:
	flat_load_b64 v[196:197], v[0:1] offset:3840
	s_wait_xcnt 0x0
	s_or_b32 exec_lo, exec_lo, s0
                                        ; implicit-def: $vgpr208_vgpr209
	s_and_saveexec_b32 s0, s17
	s_cbranch_execnz .LBB1009_53
	s_branch .LBB1009_54
.LBB1009_220:
	flat_store_b64 v[2:3], v[48:49]
	s_wait_xcnt 0x0
	s_or_b32 exec_lo, exec_lo, s18
	s_and_saveexec_b32 s18, s0
	s_cbranch_execz .LBB1009_134
.LBB1009_221:
	flat_store_b64 v[2:3], v[50:51] offset:2048
	s_wait_xcnt 0x0
	s_or_b32 exec_lo, exec_lo, s18
	s_and_saveexec_b32 s0, s1
	s_cbranch_execz .LBB1009_135
.LBB1009_222:
	flat_store_b64 v[2:3], v[34:35] offset:4096
	s_wait_xcnt 0x0
	s_or_b32 exec_lo, exec_lo, s0
	s_and_saveexec_b32 s0, s2
	s_cbranch_execz .LBB1009_136
.LBB1009_223:
	flat_store_b64 v[2:3], v[36:37] offset:6144
	s_wait_xcnt 0x0
	s_or_b32 exec_lo, exec_lo, s0
	s_and_saveexec_b32 s0, s3
	s_cbranch_execz .LBB1009_137
.LBB1009_224:
	flat_store_b64 v[2:3], v[30:31] offset:8192
	s_wait_xcnt 0x0
	s_or_b32 exec_lo, exec_lo, s0
	s_and_saveexec_b32 s0, s4
	s_cbranch_execz .LBB1009_138
.LBB1009_225:
	flat_store_b64 v[2:3], v[32:33] offset:10240
	s_wait_xcnt 0x0
	s_or_b32 exec_lo, exec_lo, s0
	s_and_saveexec_b32 s0, s5
	s_cbranch_execz .LBB1009_139
.LBB1009_226:
	flat_store_b64 v[2:3], v[26:27] offset:12288
	s_wait_xcnt 0x0
	s_or_b32 exec_lo, exec_lo, s0
	s_and_saveexec_b32 s0, s6
	s_cbranch_execz .LBB1009_140
.LBB1009_227:
	flat_store_b64 v[2:3], v[28:29] offset:14336
	s_wait_xcnt 0x0
	s_or_b32 exec_lo, exec_lo, s0
	s_and_saveexec_b32 s0, s7
	s_cbranch_execz .LBB1009_141
.LBB1009_228:
	flat_store_b64 v[2:3], v[22:23] offset:16384
	s_wait_xcnt 0x0
	s_or_b32 exec_lo, exec_lo, s0
	s_and_saveexec_b32 s0, s10
	s_cbranch_execz .LBB1009_142
.LBB1009_229:
	flat_store_b64 v[2:3], v[24:25] offset:18432
	s_wait_xcnt 0x0
	s_or_b32 exec_lo, exec_lo, s0
	s_and_saveexec_b32 s0, s11
	s_cbranch_execz .LBB1009_143
.LBB1009_230:
	flat_store_b64 v[2:3], v[18:19] offset:20480
	s_wait_xcnt 0x0
	s_or_b32 exec_lo, exec_lo, s0
	s_and_saveexec_b32 s0, s12
	s_cbranch_execz .LBB1009_144
.LBB1009_231:
	flat_store_b64 v[2:3], v[20:21] offset:22528
	s_wait_xcnt 0x0
	s_or_b32 exec_lo, exec_lo, s0
	s_and_saveexec_b32 s0, s13
	s_cbranch_execz .LBB1009_145
.LBB1009_232:
	flat_store_b64 v[2:3], v[14:15] offset:24576
	s_wait_xcnt 0x0
	s_or_b32 exec_lo, exec_lo, s0
	s_and_saveexec_b32 s0, s14
	s_cbranch_execz .LBB1009_146
.LBB1009_233:
	flat_store_b64 v[2:3], v[16:17] offset:26624
	s_wait_xcnt 0x0
	s_or_b32 exec_lo, exec_lo, s0
	s_and_saveexec_b32 s0, s15
	s_cbranch_execz .LBB1009_147
.LBB1009_234:
	flat_store_b64 v[2:3], v[10:11] offset:28672
	s_wait_xcnt 0x0
	s_or_b32 exec_lo, exec_lo, s0
	s_and_saveexec_b32 s0, s16
	s_cbranch_execz .LBB1009_148
.LBB1009_235:
	flat_store_b64 v[2:3], v[12:13] offset:30720
	s_wait_xcnt 0x0
	s_or_b32 exec_lo, exec_lo, s0
	s_and_saveexec_b32 s0, s17
	s_cbranch_execnz .LBB1009_149
	s_branch .LBB1009_150
.LBB1009_236:
	s_or_b32 exec_lo, exec_lo, s24
	v_mad_nc_u64_u32 v[0:1], v0, 6, v[118:119]
	v_mad_nc_u64_u32 v[10:11], v66, 6, v[116:117]
	v_lshl_add_u32 v19, v18, 1, v12
	v_mad_nc_u64_u32 v[12:13], v68, 6, v[114:115]
	v_mad_nc_u64_u32 v[48:49], v80, 6, v[112:113]
	;; [unrolled: 1-line block ×3, first 2 shown]
	s_barrier_signal -1
	s_barrier_wait -1
	ds_store_b16 v118, v196
	ds_store_b16 v116, v192
	;; [unrolled: 1-line block ×8, first 2 shown]
	s_wait_dscnt 0x0
	s_barrier_signal -1
	s_barrier_wait -1
	ds_load_u16 v39, v19
	ds_load_u16 v38, v19 offset:512
	ds_load_u16 v37, v19 offset:1024
	ds_load_u16 v36, v19 offset:1536
	ds_load_u16 v35, v19 offset:2048
	ds_load_u16 v34, v19 offset:2560
	ds_load_u16 v5, v19 offset:3072
	ds_load_u16 v4, v19 offset:3584
	s_wait_dscnt 0x0
	s_barrier_signal -1
	v_mad_nc_u64_u32 v[52:53], v82, 6, v[100:101]
	s_barrier_wait -1
	ds_store_b64 v0, v[14:15]
	ds_store_b64 v10, v[16:17]
	;; [unrolled: 1-line block ×4, first 2 shown]
	v_mul_u32_u24_e32 v0, 6, v18
	v_mad_nc_u64_u32 v[54:55], v84, 6, v[98:99]
	v_mad_nc_u64_u32 v[64:65], v86, 6, v[96:97]
	ds_store_b64 v50, v[22:23]
	ds_store_b64 v52, v[28:29]
	;; [unrolled: 1-line block ×4, first 2 shown]
	v_dual_mov_b32 v27, 0 :: v_dual_add_nc_u32 v0, v19, v0
	s_wait_dscnt 0x0
	s_barrier_signal -1
	s_barrier_wait -1
	ds_load_2addr_stride64_b64 v[22:25], v0 offset1:4
	ds_load_2addr_stride64_b64 v[18:21], v0 offset0:8 offset1:12
	ds_load_2addr_stride64_b64 v[14:17], v0 offset0:16 offset1:20
	ds_load_2addr_stride64_b64 v[10:13], v0 offset0:24 offset1:28
	v_lshl_add_u64 v[0:1], v[8:9], 1, v[2:3]
	s_set_vgpr_msb 4                        ;  msbs: dst=0 src0=0 src1=1 src2=0
	v_cmp_lt_u32_e32 vcc_lo, v26, v12 /*v268*/
	s_wait_dscnt 0x0
	s_barrier_signal -1
	s_barrier_wait -1
	v_lshl_add_u64 v[0:1], v[26:27], 1, v[0:1]
	s_and_saveexec_b32 s0, vcc_lo
	s_set_vgpr_msb 0                        ;  msbs: dst=0 src0=0 src1=0 src2=0
	s_cbranch_execz .LBB1009_238
; %bb.237:
	v_xor_b32_e32 v2, 0xffff8000, v39
	flat_store_b16 v[0:1], v2
.LBB1009_238:
	s_wait_xcnt 0x0
	s_or_b32 exec_lo, exec_lo, s0
	v_add_nc_u32_e32 v2, 0x100, v26
	s_set_vgpr_msb 4                        ;  msbs: dst=0 src0=0 src1=1 src2=0
	s_delay_alu instid0(VALU_DEP_1)
	v_cmp_lt_u32_e64 s0, v2, v12 /*v268*/
	s_and_saveexec_b32 s1, s0
	s_set_vgpr_msb 0                        ;  msbs: dst=0 src0=0 src1=0 src2=0
	s_cbranch_execz .LBB1009_240
; %bb.239:
	v_xor_b32_e32 v2, 0xffff8000, v38
	flat_store_b16 v[0:1], v2 offset:512
.LBB1009_240:
	s_wait_xcnt 0x0
	s_or_b32 exec_lo, exec_lo, s1
	v_add_nc_u32_e32 v2, 0x200, v26
	s_set_vgpr_msb 4                        ;  msbs: dst=0 src0=0 src1=1 src2=0
	s_delay_alu instid0(VALU_DEP_1)
	v_cmp_lt_u32_e64 s1, v2, v12 /*v268*/
	s_and_saveexec_b32 s2, s1
	s_set_vgpr_msb 0                        ;  msbs: dst=0 src0=0 src1=0 src2=0
	s_cbranch_execz .LBB1009_242
; %bb.241:
	v_xor_b32_e32 v2, 0xffff8000, v37
	flat_store_b16 v[0:1], v2 offset:1024
.LBB1009_242:
	;; [unrolled: 13-line block ×7, first 2 shown]
	s_wait_xcnt 0x0
	s_or_b32 exec_lo, exec_lo, s7
	v_lshl_add_u64 v[0:1], v[8:9], 3, v[6:7]
	s_delay_alu instid0(VALU_DEP_1)
	v_lshl_add_u64 v[0:1], v[26:27], 3, v[0:1]
	s_and_saveexec_b32 s7, vcc_lo
	s_cbranch_execnz .LBB1009_302
; %bb.253:
	s_or_b32 exec_lo, exec_lo, s7
	s_and_saveexec_b32 s7, s0
	s_cbranch_execnz .LBB1009_303
.LBB1009_254:
	s_or_b32 exec_lo, exec_lo, s7
	s_and_saveexec_b32 s0, s1
	s_cbranch_execnz .LBB1009_304
.LBB1009_255:
	s_or_b32 exec_lo, exec_lo, s0
	s_and_saveexec_b32 s0, s2
	s_cbranch_execnz .LBB1009_305
.LBB1009_256:
	s_or_b32 exec_lo, exec_lo, s0
	s_and_saveexec_b32 s0, s3
	s_cbranch_execnz .LBB1009_306
.LBB1009_257:
	s_or_b32 exec_lo, exec_lo, s0
	s_and_saveexec_b32 s0, s4
	s_cbranch_execnz .LBB1009_307
.LBB1009_258:
	s_or_b32 exec_lo, exec_lo, s0
	s_and_saveexec_b32 s0, s5
	s_cbranch_execnz .LBB1009_308
.LBB1009_259:
	s_or_b32 exec_lo, exec_lo, s0
	s_and_saveexec_b32 s0, s6
	s_cbranch_execz .LBB1009_261
.LBB1009_260:
	flat_store_b64 v[0:1], v[12:13] offset:14336
.LBB1009_261:
	s_wait_xcnt 0x0
	s_or_b32 exec_lo, exec_lo, s0
                                        ; implicit-def: $vgpr268
                                        ; implicit-def: $vgpr8
                                        ; implicit-def: $vgpr10
                                        ; implicit-def: $vgpr11
                                        ; implicit-def: $vgpr0_vgpr1
                                        ; implicit-def: $vgpr2_vgpr3
                                        ; implicit-def: $vgpr4_vgpr5
                                        ; implicit-def: $vgpr6_vgpr7
                                        ; implicit-def: $vgpr12_vgpr13
                                        ; implicit-def: $vgpr9
                                        ; implicit-def: $vgpr14
                                        ; implicit-def: $vgpr18
                                        ; implicit-def: $vgpr66
.LBB1009_262:
	s_and_not1_saveexec_b32 s0, s22
	s_cbranch_execz .LBB1009_382
; %bb.263:
	s_mov_b32 s0, exec_lo
	s_set_vgpr_msb 4                        ;  msbs: dst=0 src0=0 src1=1 src2=0
	v_cmpx_lt_u32_e32 0x200, v12 /*v268*/
	s_xor_b32 s22, exec_lo, s0
	s_set_vgpr_msb 0                        ;  msbs: dst=0 src0=0 src1=0 src2=0
	s_cbranch_execz .LBB1009_323
; %bb.264:
	s_load_b64 s[0:1], s[8:9], 0x0
	s_bfe_u32 s3, ttmp6, 0x4000c
	s_bfe_u32 s5, ttmp6, 0x40010
	s_and_b32 s4, ttmp7, 0xffff
	s_add_co_i32 s3, s3, 1
	s_add_co_i32 s5, s5, 1
	s_and_b32 s2, ttmp6, 15
	s_bfe_u32 s6, ttmp6, 0x40004
	s_mul_i32 s3, ttmp9, s3
	s_mul_i32 s5, s4, s5
	s_add_co_i32 s2, s2, s3
	s_add_co_i32 s6, s6, s5
	s_cmp_eq_u32 s21, 0
	s_mov_b32 s3, 0
	s_cselect_b32 s2, ttmp9, s2
	s_cselect_b32 s4, s4, s6
	v_lshlrev_b32_e32 v16, 1, v66
	s_wait_kmcnt 0x0
	s_cmp_lt_u32 s2, s0
	s_cselect_b32 s2, 12, 18
	s_cmp_lt_u32 s4, s1
	s_mov_b32 s1, s3
	s_cselect_b32 s0, 14, 20
	s_delay_alu instid0(SALU_CYCLE_1)
	s_add_nc_u64 s[0:1], s[8:9], s[0:1]
	s_load_u16 s4, s[0:1], 0x0
	s_wait_xcnt 0x0
	s_add_nc_u64 s[0:1], s[8:9], s[2:3]
	s_load_u16 s0, s[0:1], 0x0
	s_wait_kmcnt 0x0
	v_mad_u32_u24 v9, v14, s4, v9
	s_delay_alu instid0(VALU_DEP_1) | instskip(SKIP_1) | instid1(VALU_DEP_1)
	v_mad_u32 v20, v9, s0, v18
	v_mov_b32_e32 v9, 0
	v_lshl_add_u64 v[0:1], v[8:9], 1, v[0:1]
	s_delay_alu instid0(VALU_DEP_3) | instskip(NEXT) | instid1(VALU_DEP_1)
	v_dual_mov_b32 v17, v9 :: v_dual_lshlrev_b32 v14, 2, v20
	v_add_nc_u64_e32 v[16:17], v[0:1], v[16:17]
	v_mov_b32_e32 v0, 0x7fff7fff
	s_delay_alu instid0(VALU_DEP_3) | instskip(NEXT) | instid1(VALU_DEP_2)
	v_and_b32_e32 v14, 0xffffff80, v14
	v_dual_mov_b32 v15, v9 :: v_dual_mov_b32 v1, v0
	s_delay_alu instid0(VALU_DEP_2) | instskip(NEXT) | instid1(VALU_DEP_2)
	v_or_b32_e32 v19, v14, v66
	v_lshl_add_u64 v[16:17], v[14:15], 1, v[16:17]
	s_set_vgpr_msb 4                        ;  msbs: dst=0 src0=0 src1=1 src2=0
	s_delay_alu instid0(VALU_DEP_2)
	v_cmp_lt_u32_e32 vcc_lo, v19, v12 /*v268*/
	s_and_saveexec_b32 s0, vcc_lo
	s_set_vgpr_msb 0                        ;  msbs: dst=0 src0=0 src1=0 src2=0
	s_cbranch_execz .LBB1009_266
; %bb.265:
	flat_load_u16 v1, v[16:17]
	s_movk_i32 s1, 0x7fff
	v_mov_b32_e32 v23, v0
	s_wait_loadcnt_dscnt 0x0
	v_perm_b32 v22, s1, v1, 0x5040100
	s_delay_alu instid0(VALU_DEP_1)
	v_mov_b64_e32 v[0:1], v[22:23]
.LBB1009_266:
	s_wait_xcnt 0x0
	s_or_b32 exec_lo, exec_lo, s0
	v_or_b32_e32 v21, 32, v19
	s_set_vgpr_msb 4                        ;  msbs: dst=0 src0=0 src1=1 src2=0
	s_delay_alu instid0(VALU_DEP_1)
	v_cmp_lt_u32_e64 s0, v21, v12 /*v268*/
	s_and_saveexec_b32 s1, s0
	s_set_vgpr_msb 0                        ;  msbs: dst=0 src0=0 src1=0 src2=0
	s_cbranch_execz .LBB1009_268
; %bb.267:
	flat_load_u16 v21, v[16:17] offset:64
	s_wait_loadcnt_dscnt 0x0
	v_perm_b32 v0, v21, v0, 0x5040100
.LBB1009_268:
	s_wait_xcnt 0x0
	s_or_b32 exec_lo, exec_lo, s1
	v_or_b32_e32 v21, 64, v19
	s_set_vgpr_msb 4                        ;  msbs: dst=0 src0=0 src1=1 src2=0
	s_delay_alu instid0(VALU_DEP_1)
	v_cmp_lt_u32_e64 s1, v21, v12 /*v268*/
	s_and_saveexec_b32 s2, s1
	s_set_vgpr_msb 0                        ;  msbs: dst=0 src0=0 src1=0 src2=0
	s_cbranch_execz .LBB1009_270
; %bb.269:
	flat_load_u16 v21, v[16:17] offset:128
	s_wait_loadcnt_dscnt 0x0
	v_bfi_b32 v1, 0xffff, v21, v1
.LBB1009_270:
	s_wait_xcnt 0x0
	s_or_b32 exec_lo, exec_lo, s2
	v_or_b32_e32 v19, 0x60, v19
	s_set_vgpr_msb 4                        ;  msbs: dst=0 src0=0 src1=1 src2=0
	s_delay_alu instid0(VALU_DEP_1)
	v_cmp_lt_u32_e64 s2, v19, v12 /*v268*/
	s_and_saveexec_b32 s3, s2
	s_set_vgpr_msb 0                        ;  msbs: dst=0 src0=0 src1=0 src2=0
	s_cbranch_execz .LBB1009_272
; %bb.271:
	flat_load_u16 v16, v[16:17] offset:192
	s_wait_loadcnt_dscnt 0x0
	v_perm_b32 v1, v16, v1, 0x5040100
.LBB1009_272:
	s_wait_xcnt 0x0
	s_or_b32 exec_lo, exec_lo, s3
	v_lshl_add_u64 v[4:5], v[8:9], 3, v[4:5]
	v_dual_mov_b32 v17, 0 :: v_dual_lshlrev_b32 v16, 3, v66
                                        ; implicit-def: $vgpr26_vgpr27
	s_delay_alu instid0(VALU_DEP_1) | instskip(NEXT) | instid1(VALU_DEP_1)
	v_add_nc_u64_e32 v[4:5], v[4:5], v[16:17]
	v_lshl_add_u64 v[4:5], v[14:15], 3, v[4:5]
	s_and_saveexec_b32 s3, vcc_lo
	s_cbranch_execnz .LBB1009_347
; %bb.273:
	s_or_b32 exec_lo, exec_lo, s3
                                        ; implicit-def: $vgpr28_vgpr29
	s_and_saveexec_b32 s3, s0
	s_cbranch_execnz .LBB1009_348
.LBB1009_274:
	s_or_b32 exec_lo, exec_lo, s3
                                        ; implicit-def: $vgpr30_vgpr31
	s_and_saveexec_b32 s0, s1
	s_cbranch_execnz .LBB1009_349
.LBB1009_275:
	s_or_b32 exec_lo, exec_lo, s0
                                        ; implicit-def: $vgpr32_vgpr33
	s_and_saveexec_b32 s0, s2
	s_cbranch_execz .LBB1009_277
.LBB1009_276:
	flat_load_b64 v[32:33], v[4:5] offset:768
.LBB1009_277:
	s_wait_xcnt 0x0
	s_or_b32 exec_lo, exec_lo, s0
	v_lshrrev_b32_e32 v4, 16, v1
	v_xor_b32_e32 v14, 0xffff8000, v1
	v_lshrrev_b32_e32 v1, 16, v0
	v_sub_co_u32 v17, s2, v66, 1
	s_delay_alu instid0(VALU_DEP_4) | instskip(SKIP_1) | instid1(VALU_DEP_4)
	v_xor_b32_e32 v15, 0xffff8000, v4
	v_lshl_add_u32 v5, v18, 5, v12
	v_xor_b32_e32 v4, 0xffff8000, v1
	v_and_b32_e32 v1, 0x3e0, v18
	v_cmp_gt_i32_e64 s6, 0, v17
	s_delay_alu instid0(VALU_DEP_4)
	v_dual_add_nc_u32 v69, 56, v5 :: v_dual_bitop2_b32 v16, 15, v66 bitop3:0x40
	s_get_pc_i64 s[0:1]
	s_add_nc_u64 s[0:1], s[0:1], _ZN7rocprim17ROCPRIM_400000_NS16block_radix_sortIsLj256ELj4ElLj1ELj1ELj8ELNS0_26block_radix_rank_algorithmE2ELNS0_18block_padding_hintE2ELNS0_4arch9wavefront6targetE0EE19radix_bits_per_passE@rel64+4
	v_min_u32_e32 v1, 0xe0, v1
	s_load_b32 s23, s[0:1], 0x0
	v_dual_add_nc_u32 v19, 32, v5 :: v_dual_add_nc_u32 v21, 36, v5
	v_dual_add_nc_u32 v64, 40, v5 :: v_dual_add_nc_u32 v65, 44, v5
	s_delay_alu instid0(VALU_DEP_3) | instskip(SKIP_2) | instid1(VALU_DEP_3)
	v_or_b32_e32 v1, 31, v1
	v_dual_add_nc_u32 v67, 48, v5 :: v_dual_add_nc_u32 v68, 52, v5
	v_dual_add_nc_u32 v70, 60, v5 :: v_dual_lshrrev_b32 v71, 5, v20
	v_cmp_eq_u32_e64 s5, v18, v1
	v_lshrrev_b32_e32 v1, 3, v18
	v_cmp_eq_u32_e32 vcc_lo, 0, v16
	s_wait_xcnt 0x0
	v_cmp_lt_u32_e64 s0, 1, v16
	v_cmp_lt_u32_e64 s1, 3, v16
	v_cmp_lt_u32_e64 s3, 7, v16
	v_lshlrev_b32_e32 v16, 2, v18
	v_and_b32_e32 v1, 0x7c, v1
	v_and_b32_e32 v5, 16, v66
	v_xor_b32_e32 v0, 0xffff8000, v0
	v_cmp_lt_u32_e64 s7, 31, v18
	v_cmp_eq_u32_e64 s10, 0, v18
	v_add_nc_u32_e32 v81, v12, v1
	v_cmp_eq_u32_e64 s4, 0, v5
	v_dual_cndmask_b32 v5, v17, v66, s6 :: v_dual_bitop2_b32 v17, 7, v66 bitop3:0x40
	v_perm_b32 v100, v4, v0, 0x5040100
	v_cmp_gt_u32_e64 s6, 8, v18
	v_dual_mov_b32 v1, 0 :: v_dual_add_nc_u32 v82, v12, v16
	s_delay_alu instid0(VALU_DEP_4)
	v_lshlrev_b32_e32 v80, 2, v5
	v_and_or_b32 v5, 0xf80, v16, v66
	v_cmp_eq_u32_e64 s11, 0, v17
	v_cmp_lt_u32_e64 s12, 1, v17
	v_cmp_lt_u32_e64 s13, 3, v17
	v_dual_add_nc_u32 v84, -4, v81 :: v_dual_sub_nc_u32 v99, v11, v10
	v_lshl_add_u32 v66, v5, 1, v12
	v_mul_u32_u24_e32 v5, 6, v5
	v_perm_b32 v35, v15, v14, 0x5040100
	s_mov_b32 s24, 0
	s_wait_storecnt 0x0
	s_wait_loadcnt_dscnt 0x0
	v_dual_add_nc_u32 v85, 64, v66 :: v_dual_add_nc_u32 v83, v66, v5
	v_mov_b64_e32 v[4:5], 0
	v_add_nc_u32_e32 v86, 0x80, v66
	v_add_nc_u32_e32 v87, 0xc0, v66
	s_barrier_signal -1
	v_add_nc_u32_e32 v96, 0x100, v83
	v_add_nc_u32_e32 v97, 0x200, v83
	;; [unrolled: 1-line block ×3, first 2 shown]
	s_barrier_wait -1
	s_branch .LBB1009_279
.LBB1009_278:                           ;   in Loop: Header=BB1009_279 Depth=1
	s_or_b32 exec_lo, exec_lo, s15
	s_delay_alu instid0(SALU_CYCLE_1) | instskip(NEXT) | instid1(SALU_CYCLE_1)
	s_and_b32 s14, exec_lo, s16
	s_or_b32 s24, s14, s24
	s_delay_alu instid0(SALU_CYCLE_1)
	s_and_not1_b32 exec_lo, exec_lo, s24
	s_cbranch_execz .LBB1009_309
.LBB1009_279:                           ; =>This Inner Loop Header: Depth=1
	s_wait_kmcnt 0x0
	v_min_u32_e32 v0, s23, v99
	v_and_b32_e32 v14, 0xffff, v100
	ds_store_b64 v19, v[4:5]
	ds_store_b64 v64, v[4:5]
	;; [unrolled: 1-line block ×4, first 2 shown]
	s_wait_dscnt 0x0
	v_lshlrev_b32_e64 v34, v0, -1
	v_lshrrev_b32_e32 v0, v10, v14
	s_barrier_signal -1
	s_barrier_wait -1
	s_delay_alu instid0(VALU_DEP_1) | instskip(SKIP_2) | instid1(VALU_DEP_3)
	v_bitop3_b32 v14, v0, 1, v34 bitop3:0x40
	v_bitop3_b32 v0, v0, v34, v0 bitop3:0x30
	; wave barrier
	v_mov_b32_e32 v101, v35
	v_add_co_u32 v14, s14, v14, -1
	s_delay_alu instid0(VALU_DEP_1) | instskip(NEXT) | instid1(VALU_DEP_4)
	v_cndmask_b32_e64 v15, 0, 1, s14
	v_dual_lshlrev_b32 v16, 30, v0 :: v_dual_lshlrev_b32 v17, 29, v0
	v_dual_lshlrev_b32 v22, 28, v0 :: v_dual_lshlrev_b32 v23, 27, v0
	s_delay_alu instid0(VALU_DEP_3) | instskip(NEXT) | instid1(VALU_DEP_3)
	v_cmp_ne_u32_e64 s14, 0, v15
	v_not_b32_e32 v15, v16
	v_dual_lshlrev_b32 v24, 26, v0 :: v_dual_lshlrev_b32 v25, 25, v0
	v_cmp_gt_i32_e64 s15, 0, v16
	v_cmp_gt_i32_e64 s16, 0, v17
	v_not_b32_e32 v16, v17
	v_not_b32_e32 v17, v22
	v_dual_ashrrev_i32 v15, 31, v15 :: v_dual_lshlrev_b32 v36, 24, v0
	v_xor_b32_e32 v14, s14, v14
	v_cmp_gt_i32_e64 s17, 0, v22
	v_cmp_gt_i32_e64 s18, 0, v23
	v_not_b32_e32 v22, v23
	v_dual_ashrrev_i32 v16, 31, v16 :: v_dual_ashrrev_i32 v17, 31, v17
	v_xor_b32_e32 v15, s15, v15
	v_not_b32_e32 v23, v24
	v_cmp_gt_i32_e64 s19, 0, v24
	s_delay_alu instid0(VALU_DEP_4) | instskip(NEXT) | instid1(VALU_DEP_4)
	v_dual_ashrrev_i32 v22, 31, v22 :: v_dual_bitop2_b32 v16, s16, v16 bitop3:0x14
	v_bitop3_b32 v14, v14, v15, exec_lo bitop3:0x80
	s_delay_alu instid0(VALU_DEP_4)
	v_ashrrev_i32_e32 v15, 31, v23
	v_not_b32_e32 v23, v25
	v_xor_b32_e32 v17, s17, v17
	v_not_b32_e32 v24, v36
	v_xor_b32_e32 v22, s18, v22
	v_xor_b32_e32 v15, s19, v15
	v_cmp_gt_i32_e64 s14, 0, v25
	v_bitop3_b32 v14, v14, v17, v16 bitop3:0x80
	v_ashrrev_i32_e32 v16, 31, v23
	v_cmp_gt_i32_e64 s15, 0, v36
	v_ashrrev_i32_e32 v17, 31, v24
	v_lshlrev_b32_e32 v0, 3, v0
	v_bitop3_b32 v24, v14, v15, v22 bitop3:0x80
	v_xor_b32_e32 v25, s14, v16
	v_mov_b64_e32 v[22:23], v[28:29]
	v_xor_b32_e32 v35, s15, v17
	v_add_lshl_u32 v0, v0, v71, 2
	v_mov_b64_e32 v[14:15], v[26:27]
	v_mov_b64_e32 v[16:17], v[30:31]
	s_delay_alu instid0(VALU_DEP_4) | instskip(NEXT) | instid1(VALU_DEP_4)
	v_bitop3_b32 v28, v24, v35, v25 bitop3:0x80
	v_add_nc_u64_e32 v[26:27], v[12:13], v[0:1]
	v_mov_b64_e32 v[24:25], v[32:33]
	s_delay_alu instid0(VALU_DEP_3) | instskip(SKIP_1) | instid1(VALU_DEP_4)
	v_mbcnt_lo_u32_b32 v0, v28, 0
	v_cmp_ne_u32_e64 s15, 0, v28
	v_add_nc_u64_e32 v[26:27], 32, v[26:27]
	s_delay_alu instid0(VALU_DEP_3) | instskip(SKIP_1) | instid1(SALU_CYCLE_1)
	v_cmp_eq_u32_e64 s14, 0, v0
	s_and_b32 s15, s15, s14
	s_and_saveexec_b32 s14, s15
; %bb.280:                              ;   in Loop: Header=BB1009_279 Depth=1
	v_bcnt_u32_b32 v27, v28, 0
	ds_store_b32 v26, v27
; %bb.281:                              ;   in Loop: Header=BB1009_279 Depth=1
	s_or_b32 exec_lo, exec_lo, s14
	v_not_b32_e32 v33, v34
	v_lshrrev_b32_e32 v102, 16, v100
	; wave barrier
	s_delay_alu instid0(VALU_DEP_1) | instskip(NEXT) | instid1(VALU_DEP_1)
	v_lshrrev_b32_e32 v27, v10, v102
	v_and_b32_e32 v28, v27, v33
	s_delay_alu instid0(VALU_DEP_1) | instskip(SKIP_3) | instid1(VALU_DEP_3)
	v_lshlrev_b32_e32 v31, 30, v28
	v_bitop3_b32 v27, v27, 1, v33 bitop3:0x80
	v_dual_lshlrev_b32 v32, 29, v28 :: v_dual_lshlrev_b32 v34, 28, v28
	v_dual_lshlrev_b32 v35, 27, v28 :: v_dual_lshlrev_b32 v36, 26, v28
	v_add_co_u32 v27, s14, v27, -1
	s_delay_alu instid0(VALU_DEP_1)
	v_cndmask_b32_e64 v30, 0, 1, s14
	v_cmp_gt_i32_e64 s15, 0, v31
	v_cmp_gt_i32_e64 s16, 0, v32
	v_lshl_add_u32 v29, v28, 3, v71
	v_dual_lshlrev_b32 v37, 25, v28 :: v_dual_lshlrev_b32 v28, 24, v28
	v_cmp_ne_u32_e64 s14, 0, v30
	v_not_b32_e32 v30, v31
	v_not_b32_e32 v31, v32
	;; [unrolled: 1-line block ×3, first 2 shown]
	v_cmp_gt_i32_e64 s17, 0, v34
	v_cmp_gt_i32_e64 s18, 0, v35
	v_dual_ashrrev_i32 v30, 31, v30 :: v_dual_bitop2_b32 v27, s14, v27 bitop3:0x14
	v_not_b32_e32 v34, v35
	v_dual_ashrrev_i32 v31, 31, v31 :: v_dual_ashrrev_i32 v32, 31, v32
	s_delay_alu instid0(VALU_DEP_3) | instskip(SKIP_2) | instid1(VALU_DEP_4)
	v_xor_b32_e32 v30, s15, v30
	v_not_b32_e32 v35, v36
	v_cmp_gt_i32_e64 s19, 0, v36
	v_dual_ashrrev_i32 v34, 31, v34 :: v_dual_bitop2_b32 v31, s16, v31 bitop3:0x14
	v_xor_b32_e32 v32, s17, v32
	v_bitop3_b32 v27, v27, v30, exec_lo bitop3:0x80
	v_ashrrev_i32_e32 v30, 31, v35
	v_not_b32_e32 v35, v37
	v_not_b32_e32 v36, v28
	v_xor_b32_e32 v34, s18, v34
	v_bitop3_b32 v27, v27, v32, v31 bitop3:0x80
	v_cmp_gt_i32_e64 s14, 0, v37
	v_ashrrev_i32_e32 v31, 31, v35
	v_cmp_gt_i32_e64 s15, 0, v28
	v_ashrrev_i32_e32 v28, 31, v36
	v_lshl_add_u32 v29, v29, 2, v12
	v_xor_b32_e32 v30, s19, v30
	v_xor_b32_e32 v31, s14, v31
	s_delay_alu instid0(VALU_DEP_4) | instskip(NEXT) | instid1(VALU_DEP_3)
	v_xor_b32_e32 v28, s15, v28
	v_bitop3_b32 v30, v27, v30, v34 bitop3:0x80
	ds_load_b32 v27, v29 offset:32
	v_add_nc_u32_e32 v29, 32, v29
	; wave barrier
	v_bitop3_b32 v30, v30, v28, v31 bitop3:0x80
	s_delay_alu instid0(VALU_DEP_1) | instskip(SKIP_1) | instid1(VALU_DEP_2)
	v_mbcnt_lo_u32_b32 v28, v30, 0
	v_cmp_ne_u32_e64 s15, 0, v30
	v_cmp_eq_u32_e64 s14, 0, v28
	s_and_b32 s15, s15, s14
	s_delay_alu instid0(SALU_CYCLE_1)
	s_and_saveexec_b32 s14, s15
	s_cbranch_execz .LBB1009_283
; %bb.282:                              ;   in Loop: Header=BB1009_279 Depth=1
	s_wait_dscnt 0x0
	v_bcnt_u32_b32 v30, v30, v27
	ds_store_b32 v29, v30
.LBB1009_283:                           ;   in Loop: Header=BB1009_279 Depth=1
	s_or_b32 exec_lo, exec_lo, s14
	v_and_b32_e32 v30, 0xffff, v101
	; wave barrier
	s_delay_alu instid0(VALU_DEP_1) | instskip(NEXT) | instid1(VALU_DEP_1)
	v_lshrrev_b32_e32 v30, v10, v30
	v_and_b32_e32 v31, v30, v33
	s_delay_alu instid0(VALU_DEP_1) | instskip(SKIP_1) | instid1(VALU_DEP_2)
	v_lshlrev_b32_e32 v35, 30, v31
	v_bitop3_b32 v30, v30, 1, v33 bitop3:0x80
	v_cmp_gt_i32_e64 s15, 0, v35
	s_delay_alu instid0(VALU_DEP_2) | instskip(NEXT) | instid1(VALU_DEP_1)
	v_add_co_u32 v30, s14, v30, -1
	v_cndmask_b32_e64 v34, 0, 1, s14
	s_delay_alu instid0(VALU_DEP_1) | instskip(SKIP_1) | instid1(VALU_DEP_1)
	v_cmp_ne_u32_e64 s14, 0, v34
	v_not_b32_e32 v34, v35
	v_dual_ashrrev_i32 v34, 31, v34 :: v_dual_lshlrev_b32 v36, 29, v31
	v_dual_lshlrev_b32 v37, 28, v31 :: v_dual_lshlrev_b32 v38, 27, v31
	v_lshlrev_b32_e32 v39, 26, v31
	v_lshl_add_u32 v32, v31, 3, v71
	s_delay_alu instid0(VALU_DEP_4)
	v_cmp_gt_i32_e64 s16, 0, v36
	v_not_b32_e32 v35, v36
	v_not_b32_e32 v36, v37
	v_dual_lshlrev_b32 v48, 25, v31 :: v_dual_lshlrev_b32 v31, 24, v31
	v_cmp_gt_i32_e64 s17, 0, v37
	v_cmp_gt_i32_e64 s18, 0, v38
	v_not_b32_e32 v37, v38
	v_not_b32_e32 v38, v39
	v_dual_ashrrev_i32 v35, 31, v35 :: v_dual_bitop2_b32 v30, s14, v30 bitop3:0x14
	v_dual_ashrrev_i32 v36, 31, v36 :: v_dual_bitop2_b32 v34, s15, v34 bitop3:0x14
	v_cmp_gt_i32_e64 s19, 0, v39
	s_delay_alu instid0(VALU_DEP_4) | instskip(SKIP_1) | instid1(VALU_DEP_4)
	v_dual_ashrrev_i32 v37, 31, v37 :: v_dual_ashrrev_i32 v38, 31, v38
	v_not_b32_e32 v39, v31
	v_xor_b32_e32 v36, s17, v36
	v_bitop3_b32 v30, v30, v34, exec_lo bitop3:0x80
	v_not_b32_e32 v34, v48
	v_xor_b32_e32 v35, s16, v35
	v_xor_b32_e32 v38, s19, v38
	v_cmp_gt_i32_e64 s14, 0, v48
	v_cmp_gt_i32_e64 s15, 0, v31
	v_dual_ashrrev_i32 v34, 31, v34 :: v_dual_ashrrev_i32 v31, 31, v39
	v_bitop3_b32 v30, v30, v36, v35 bitop3:0x80
	v_lshl_add_u32 v32, v32, 2, v12
	v_xor_b32_e32 v37, s18, v37
	s_delay_alu instid0(VALU_DEP_4) | instskip(SKIP_1) | instid1(VALU_DEP_3)
	v_xor_b32_e32 v34, s14, v34
	v_xor_b32_e32 v31, s15, v31
	v_bitop3_b32 v35, v30, v38, v37 bitop3:0x80
	ds_load_b32 v30, v32 offset:32
	v_add_nc_u32_e32 v32, 32, v32
	; wave barrier
	v_bitop3_b32 v34, v35, v31, v34 bitop3:0x80
	s_delay_alu instid0(VALU_DEP_1) | instskip(SKIP_1) | instid1(VALU_DEP_2)
	v_mbcnt_lo_u32_b32 v31, v34, 0
	v_cmp_ne_u32_e64 s15, 0, v34
	v_cmp_eq_u32_e64 s14, 0, v31
	s_and_b32 s15, s15, s14
	s_delay_alu instid0(SALU_CYCLE_1)
	s_and_saveexec_b32 s14, s15
	s_cbranch_execz .LBB1009_285
; %bb.284:                              ;   in Loop: Header=BB1009_279 Depth=1
	s_wait_dscnt 0x0
	v_bcnt_u32_b32 v34, v34, v30
	ds_store_b32 v32, v34
.LBB1009_285:                           ;   in Loop: Header=BB1009_279 Depth=1
	s_or_b32 exec_lo, exec_lo, s14
	v_lshrrev_b32_e32 v103, 16, v101
	; wave barrier
	s_delay_alu instid0(VALU_DEP_1) | instskip(NEXT) | instid1(VALU_DEP_1)
	v_lshrrev_b32_e32 v34, v10, v103
	v_and_b32_e32 v35, v34, v33
	v_bitop3_b32 v33, v34, 1, v33 bitop3:0x80
	s_delay_alu instid0(VALU_DEP_2) | instskip(NEXT) | instid1(VALU_DEP_2)
	v_lshlrev_b32_e32 v37, 30, v35
	v_add_co_u32 v33, s14, v33, -1
	s_delay_alu instid0(VALU_DEP_1) | instskip(SKIP_1) | instid1(VALU_DEP_4)
	v_cndmask_b32_e64 v36, 0, 1, s14
	v_dual_lshlrev_b32 v38, 29, v35 :: v_dual_lshlrev_b32 v39, 28, v35
	v_cmp_gt_i32_e64 s15, 0, v37
	s_delay_alu instid0(VALU_DEP_3) | instskip(SKIP_1) | instid1(VALU_DEP_4)
	v_cmp_ne_u32_e64 s14, 0, v36
	v_not_b32_e32 v36, v37
	v_cmp_gt_i32_e64 s16, 0, v38
	v_not_b32_e32 v37, v38
	v_not_b32_e32 v38, v39
	v_cmp_gt_i32_e64 s17, 0, v39
	s_delay_alu instid0(VALU_DEP_3) | instskip(NEXT) | instid1(VALU_DEP_3)
	v_dual_ashrrev_i32 v36, 31, v36 :: v_dual_ashrrev_i32 v37, 31, v37
	v_dual_ashrrev_i32 v38, 31, v38 :: v_dual_lshlrev_b32 v48, 27, v35
	v_lshlrev_b32_e32 v49, 26, v35
	v_lshl_add_u32 v34, v35, 3, v71
	v_dual_lshlrev_b32 v50, 25, v35 :: v_dual_lshlrev_b32 v35, 24, v35
	s_delay_alu instid0(VALU_DEP_4)
	v_cmp_gt_i32_e64 s18, 0, v48
	v_not_b32_e32 v39, v48
	v_not_b32_e32 v48, v49
	v_xor_b32_e32 v33, s14, v33
	v_xor_b32_e32 v36, s15, v36
	v_cmp_gt_i32_e64 s19, 0, v49
	s_delay_alu instid0(VALU_DEP_4) | instskip(SKIP_1) | instid1(VALU_DEP_4)
	v_dual_ashrrev_i32 v39, 31, v39 :: v_dual_ashrrev_i32 v48, 31, v48
	v_xor_b32_e32 v37, s16, v37
	v_bitop3_b32 v33, v33, v36, exec_lo bitop3:0x80
	v_not_b32_e32 v36, v50
	v_xor_b32_e32 v38, s17, v38
	v_not_b32_e32 v49, v35
	v_xor_b32_e32 v39, s18, v39
	v_cmp_gt_i32_e64 s14, 0, v50
	v_ashrrev_i32_e32 v36, 31, v36
	v_bitop3_b32 v33, v33, v38, v37 bitop3:0x80
	v_cmp_gt_i32_e64 s15, 0, v35
	v_ashrrev_i32_e32 v35, 31, v49
	v_lshl_add_u32 v37, v34, 2, v12
	v_xor_b32_e32 v48, s19, v48
	v_xor_b32_e32 v36, s14, v36
	s_delay_alu instid0(VALU_DEP_4) | instskip(NEXT) | instid1(VALU_DEP_3)
	v_xor_b32_e32 v35, s15, v35
	v_bitop3_b32 v34, v33, v48, v39 bitop3:0x80
	ds_load_b32 v33, v37 offset:32
	; wave barrier
	v_bitop3_b32 v36, v34, v35, v36 bitop3:0x80
	v_add_nc_u32_e32 v35, 32, v37
	s_delay_alu instid0(VALU_DEP_2) | instskip(SKIP_1) | instid1(VALU_DEP_2)
	v_mbcnt_lo_u32_b32 v34, v36, 0
	v_cmp_ne_u32_e64 s15, 0, v36
	v_cmp_eq_u32_e64 s14, 0, v34
	s_and_b32 s15, s15, s14
	s_delay_alu instid0(SALU_CYCLE_1)
	s_and_saveexec_b32 s14, s15
	s_cbranch_execz .LBB1009_287
; %bb.286:                              ;   in Loop: Header=BB1009_279 Depth=1
	s_wait_dscnt 0x0
	v_bcnt_u32_b32 v36, v36, v33
	ds_store_b32 v35, v36
.LBB1009_287:                           ;   in Loop: Header=BB1009_279 Depth=1
	s_or_b32 exec_lo, exec_lo, s14
	; wave barrier
	s_wait_dscnt 0x0
	s_barrier_signal -1
	s_barrier_wait -1
	ds_load_b32 v37, v19
	ds_load_b32 v38, v21
	;; [unrolled: 1-line block ×8, first 2 shown]
	s_wait_dscnt 0x6
	v_add_nc_u32_e32 v52, v38, v37
	s_wait_dscnt 0x4
	s_delay_alu instid0(VALU_DEP_1) | instskip(SKIP_1) | instid1(VALU_DEP_1)
	v_add3_u32 v52, v52, v39, v48
	s_wait_dscnt 0x2
	v_add3_u32 v52, v52, v49, v50
	s_wait_dscnt 0x0
	s_delay_alu instid0(VALU_DEP_1) | instskip(NEXT) | instid1(VALU_DEP_1)
	v_add3_u32 v51, v52, v36, v51
	v_mov_b32_dpp v52, v51 row_shr:1 row_mask:0xf bank_mask:0xf
	s_delay_alu instid0(VALU_DEP_1) | instskip(NEXT) | instid1(VALU_DEP_1)
	v_cndmask_b32_e64 v52, v52, 0, vcc_lo
	v_add_nc_u32_e32 v51, v52, v51
	s_delay_alu instid0(VALU_DEP_1) | instskip(NEXT) | instid1(VALU_DEP_1)
	v_mov_b32_dpp v52, v51 row_shr:2 row_mask:0xf bank_mask:0xf
	v_cndmask_b32_e64 v52, 0, v52, s0
	s_delay_alu instid0(VALU_DEP_1) | instskip(NEXT) | instid1(VALU_DEP_1)
	v_add_nc_u32_e32 v51, v51, v52
	v_mov_b32_dpp v52, v51 row_shr:4 row_mask:0xf bank_mask:0xf
	s_delay_alu instid0(VALU_DEP_1) | instskip(NEXT) | instid1(VALU_DEP_1)
	v_cndmask_b32_e64 v52, 0, v52, s1
	v_add_nc_u32_e32 v51, v51, v52
	s_delay_alu instid0(VALU_DEP_1) | instskip(NEXT) | instid1(VALU_DEP_1)
	v_mov_b32_dpp v52, v51 row_shr:8 row_mask:0xf bank_mask:0xf
	v_cndmask_b32_e64 v52, 0, v52, s3
	s_delay_alu instid0(VALU_DEP_1) | instskip(SKIP_3) | instid1(VALU_DEP_1)
	v_add_nc_u32_e32 v51, v51, v52
	ds_swizzle_b32 v52, v51 offset:swizzle(BROADCAST,32,15)
	s_wait_dscnt 0x0
	v_cndmask_b32_e64 v52, v52, 0, s4
	v_add_nc_u32_e32 v51, v51, v52
	s_and_saveexec_b32 s14, s5
; %bb.288:                              ;   in Loop: Header=BB1009_279 Depth=1
	ds_store_b32 v81, v51
; %bb.289:                              ;   in Loop: Header=BB1009_279 Depth=1
	s_or_b32 exec_lo, exec_lo, s14
	s_wait_dscnt 0x0
	s_barrier_signal -1
	s_barrier_wait -1
	s_and_saveexec_b32 s14, s6
	s_cbranch_execz .LBB1009_291
; %bb.290:                              ;   in Loop: Header=BB1009_279 Depth=1
	ds_load_b32 v52, v82
	s_wait_dscnt 0x0
	v_mov_b32_dpp v53, v52 row_shr:1 row_mask:0xf bank_mask:0xf
	s_delay_alu instid0(VALU_DEP_1) | instskip(NEXT) | instid1(VALU_DEP_1)
	v_cndmask_b32_e64 v53, v53, 0, s11
	v_add_nc_u32_e32 v52, v53, v52
	s_delay_alu instid0(VALU_DEP_1) | instskip(NEXT) | instid1(VALU_DEP_1)
	v_mov_b32_dpp v53, v52 row_shr:2 row_mask:0xf bank_mask:0xf
	v_cndmask_b32_e64 v53, 0, v53, s12
	s_delay_alu instid0(VALU_DEP_1) | instskip(NEXT) | instid1(VALU_DEP_1)
	v_add_nc_u32_e32 v52, v52, v53
	v_mov_b32_dpp v53, v52 row_shr:4 row_mask:0xf bank_mask:0xf
	s_delay_alu instid0(VALU_DEP_1) | instskip(NEXT) | instid1(VALU_DEP_1)
	v_cndmask_b32_e64 v53, 0, v53, s13
	v_add_nc_u32_e32 v52, v52, v53
	ds_store_b32 v82, v52
.LBB1009_291:                           ;   in Loop: Header=BB1009_279 Depth=1
	s_or_b32 exec_lo, exec_lo, s14
	v_mov_b32_e32 v52, 0
	s_wait_dscnt 0x0
	s_barrier_signal -1
	s_barrier_wait -1
	s_and_saveexec_b32 s14, s7
; %bb.292:                              ;   in Loop: Header=BB1009_279 Depth=1
	ds_load_b32 v52, v84
; %bb.293:                              ;   in Loop: Header=BB1009_279 Depth=1
	s_or_b32 exec_lo, exec_lo, s14
	s_wait_dscnt 0x0
	v_add_nc_u32_e32 v51, v52, v51
	s_mov_b32 s16, -1
	s_mov_b32 s15, exec_lo
	v_add_nc_u32_e32 v10, 8, v10
	ds_bpermute_b32 v51, v80, v51
	s_wait_dscnt 0x0
	v_cndmask_b32_e64 v51, v51, v52, s2
	s_delay_alu instid0(VALU_DEP_1) | instskip(NEXT) | instid1(VALU_DEP_1)
	v_cndmask_b32_e64 v51, v51, 0, s10
	v_add_nc_u32_e32 v37, v51, v37
	s_delay_alu instid0(VALU_DEP_1) | instskip(NEXT) | instid1(VALU_DEP_1)
	v_add_nc_u32_e32 v38, v37, v38
	v_add_nc_u32_e32 v39, v38, v39
	s_delay_alu instid0(VALU_DEP_1) | instskip(NEXT) | instid1(VALU_DEP_1)
	v_add_nc_u32_e32 v48, v39, v48
	v_add_nc_u32_e32 v49, v48, v49
	s_delay_alu instid0(VALU_DEP_1)
	v_add_nc_u32_e32 v50, v49, v50
	ds_store_b32 v19, v51
	ds_store_b32 v21, v37
	;; [unrolled: 1-line block ×3, first 2 shown]
	v_dual_mov_b32 v37, v1 :: v_dual_add_nc_u32 v36, v50, v36
	ds_store_b32 v65, v39
	ds_store_b32 v67, v48
	;; [unrolled: 1-line block ×5, first 2 shown]
	s_wait_dscnt 0x0
	s_barrier_signal -1
	s_barrier_wait -1
	ds_load_b32 v26, v26
	ds_load_b32 v29, v29
	;; [unrolled: 1-line block ×4, first 2 shown]
	v_dual_mov_b32 v49, v1 :: v_dual_mov_b32 v39, v1
	s_wait_dscnt 0x0
	v_add_nc_u32_e32 v48, v26, v0
	v_add3_u32 v0, v28, v27, v29
	v_add3_u32 v38, v31, v30, v32
	;; [unrolled: 1-line block ×3, first 2 shown]
                                        ; implicit-def: $vgpr26_vgpr27
                                        ; implicit-def: $vgpr28_vgpr29
                                        ; implicit-def: $vgpr30_vgpr31
                                        ; implicit-def: $vgpr32_vgpr33
	s_delay_alu instid0(VALU_DEP_4) | instskip(NEXT) | instid1(VALU_DEP_4)
	v_lshl_add_u64 v[54:55], v[48:49], 1, v[12:13]
	v_lshl_add_u64 v[52:53], v[0:1], 1, v[12:13]
	s_delay_alu instid0(VALU_DEP_4) | instskip(NEXT) | instid1(VALU_DEP_3)
	v_lshl_add_u64 v[50:51], v[38:39], 1, v[12:13]
	v_mad_nc_u64_u32 v[34:35], v48, 6, v[54:55]
	v_mov_b32_e32 v55, v100
	v_lshl_add_u64 v[48:49], v[36:37], 1, v[12:13]
                                        ; implicit-def: $vgpr35
	v_cmpx_lt_u32_e64 v10, v11
	s_cbranch_execz .LBB1009_278
; %bb.294:                              ;   in Loop: Header=BB1009_279 Depth=1
	v_mad_nc_u64_u32 v[26:27], v0, 6, v[52:53]
	v_mad_nc_u64_u32 v[28:29], v38, 6, v[50:51]
	;; [unrolled: 1-line block ×3, first 2 shown]
	s_barrier_signal -1
	s_barrier_wait -1
	ds_store_b16 v54, v100
	ds_store_b16 v52, v102
	;; [unrolled: 1-line block ×4, first 2 shown]
	s_wait_dscnt 0x0
	s_barrier_signal -1
	s_barrier_wait -1
	ds_load_u16 v35, v66
	ds_load_u16 v37, v85
	;; [unrolled: 1-line block ×4, first 2 shown]
	s_wait_dscnt 0x0
	s_barrier_signal -1
	s_barrier_wait -1
	ds_store_b64 v34, v[14:15]
	ds_store_b64 v26, v[22:23]
	;; [unrolled: 1-line block ×4, first 2 shown]
	s_wait_dscnt 0x0
	s_barrier_signal -1
	s_barrier_wait -1
	ds_load_b64 v[26:27], v83
	ds_load_b64 v[28:29], v96
	;; [unrolled: 1-line block ×4, first 2 shown]
	v_add_nc_u32_e32 v99, -8, v99
	s_xor_b32 s16, exec_lo, -1
	s_wait_dscnt 0x0
	s_barrier_signal -1
	s_barrier_wait -1
	v_perm_b32 v100, v37, v35, 0x5040100
	v_perm_b32 v35, v112, v39, 0x5040100
	s_branch .LBB1009_278
.LBB1009_295:
	flat_load_b64 v[50:51], v[0:1]
	s_wait_xcnt 0x0
	s_or_b32 exec_lo, exec_lo, s7
                                        ; implicit-def: $vgpr52_vgpr53
	s_and_saveexec_b32 s7, s0
	s_cbranch_execz .LBB1009_171
.LBB1009_296:
	flat_load_b64 v[52:53], v[0:1] offset:256
	s_wait_xcnt 0x0
	s_or_b32 exec_lo, exec_lo, s7
                                        ; implicit-def: $vgpr64_vgpr65
	s_and_saveexec_b32 s0, s1
	s_cbranch_execz .LBB1009_172
.LBB1009_297:
	flat_load_b64 v[64:65], v[0:1] offset:512
	s_wait_xcnt 0x0
	s_or_b32 exec_lo, exec_lo, s0
                                        ; implicit-def: $vgpr34_vgpr35
	s_and_saveexec_b32 s0, s2
	s_cbranch_execz .LBB1009_173
.LBB1009_298:
	flat_load_b64 v[34:35], v[0:1] offset:768
	s_wait_xcnt 0x0
	s_or_b32 exec_lo, exec_lo, s0
                                        ; implicit-def: $vgpr36_vgpr37
	s_and_saveexec_b32 s0, s3
	s_cbranch_execz .LBB1009_174
.LBB1009_299:
	flat_load_b64 v[36:37], v[0:1] offset:1024
	s_wait_xcnt 0x0
	s_or_b32 exec_lo, exec_lo, s0
                                        ; implicit-def: $vgpr38_vgpr39
	s_and_saveexec_b32 s0, s4
	s_cbranch_execz .LBB1009_175
.LBB1009_300:
	flat_load_b64 v[38:39], v[0:1] offset:1280
	s_wait_xcnt 0x0
	s_or_b32 exec_lo, exec_lo, s0
                                        ; implicit-def: $vgpr48_vgpr49
	s_and_saveexec_b32 s0, s5
	s_cbranch_execz .LBB1009_176
.LBB1009_301:
	flat_load_b64 v[48:49], v[0:1] offset:1536
	s_wait_xcnt 0x0
	s_or_b32 exec_lo, exec_lo, s0
                                        ; implicit-def: $vgpr54_vgpr55
	s_and_saveexec_b32 s0, s6
	s_cbranch_execnz .LBB1009_177
	s_branch .LBB1009_178
.LBB1009_302:
	flat_store_b64 v[0:1], v[22:23]
	s_wait_xcnt 0x0
	s_or_b32 exec_lo, exec_lo, s7
	s_and_saveexec_b32 s7, s0
	s_cbranch_execz .LBB1009_254
.LBB1009_303:
	flat_store_b64 v[0:1], v[24:25] offset:2048
	s_wait_xcnt 0x0
	s_or_b32 exec_lo, exec_lo, s7
	s_and_saveexec_b32 s0, s1
	s_cbranch_execz .LBB1009_255
.LBB1009_304:
	flat_store_b64 v[0:1], v[18:19] offset:4096
	s_wait_xcnt 0x0
	s_or_b32 exec_lo, exec_lo, s0
	s_and_saveexec_b32 s0, s2
	s_cbranch_execz .LBB1009_256
.LBB1009_305:
	flat_store_b64 v[0:1], v[20:21] offset:6144
	s_wait_xcnt 0x0
	s_or_b32 exec_lo, exec_lo, s0
	s_and_saveexec_b32 s0, s3
	s_cbranch_execz .LBB1009_257
.LBB1009_306:
	flat_store_b64 v[0:1], v[14:15] offset:8192
	s_wait_xcnt 0x0
	s_or_b32 exec_lo, exec_lo, s0
	s_and_saveexec_b32 s0, s4
	s_cbranch_execz .LBB1009_258
.LBB1009_307:
	flat_store_b64 v[0:1], v[16:17] offset:10240
	s_wait_xcnt 0x0
	s_or_b32 exec_lo, exec_lo, s0
	s_and_saveexec_b32 s0, s5
	s_cbranch_execz .LBB1009_259
.LBB1009_308:
	flat_store_b64 v[0:1], v[10:11] offset:12288
	s_wait_xcnt 0x0
	s_or_b32 exec_lo, exec_lo, s0
	s_and_saveexec_b32 s0, s6
	s_cbranch_execnz .LBB1009_260
	s_branch .LBB1009_261
.LBB1009_309:
	s_or_b32 exec_lo, exec_lo, s24
	v_mad_nc_u64_u32 v[0:1], v0, 6, v[52:53]
	v_mad_nc_u64_u32 v[10:11], v38, 6, v[50:51]
	v_lshl_add_u32 v21, v18, 1, v12
	v_mad_nc_u64_u32 v[12:13], v36, 6, v[48:49]
	v_mul_u32_u24_e32 v1, 6, v18
	s_barrier_signal -1
	s_barrier_wait -1
	ds_store_b16 v54, v55
	ds_store_b16 v52, v102
	;; [unrolled: 1-line block ×4, first 2 shown]
	s_wait_dscnt 0x0
	s_barrier_signal -1
	s_barrier_wait -1
	ds_load_u16 v26, v21
	ds_load_u16 v19, v21 offset:512
	ds_load_u16 v5, v21 offset:1024
	;; [unrolled: 1-line block ×3, first 2 shown]
	s_wait_dscnt 0x0
	s_barrier_signal -1
	s_barrier_wait -1
	ds_store_b64 v34, v[14:15]
	ds_store_b64 v0, v[22:23]
	;; [unrolled: 1-line block ×4, first 2 shown]
	v_dual_mov_b32 v21, 0 :: v_dual_add_nc_u32 v0, v21, v1
	s_wait_dscnt 0x0
	s_barrier_signal -1
	s_barrier_wait -1
	ds_load_2addr_stride64_b64 v[14:17], v0 offset1:4
	ds_load_2addr_stride64_b64 v[10:13], v0 offset0:8 offset1:12
	v_lshl_add_u64 v[0:1], v[8:9], 1, v[2:3]
	s_set_vgpr_msb 4                        ;  msbs: dst=0 src0=0 src1=1 src2=0
	v_cmp_lt_u32_e32 vcc_lo, v20, v12 /*v268*/
	s_wait_dscnt 0x0
	s_barrier_signal -1
	s_barrier_wait -1
	v_lshl_add_u64 v[0:1], v[20:21], 1, v[0:1]
	s_and_saveexec_b32 s0, vcc_lo
	s_set_vgpr_msb 0                        ;  msbs: dst=0 src0=0 src1=0 src2=0
	s_cbranch_execz .LBB1009_311
; %bb.310:
	v_xor_b32_e32 v2, 0xffff8000, v26
	flat_store_b16 v[0:1], v2
.LBB1009_311:
	s_wait_xcnt 0x0
	s_or_b32 exec_lo, exec_lo, s0
	v_add_nc_u32_e32 v2, 0x100, v20
	s_set_vgpr_msb 4                        ;  msbs: dst=0 src0=0 src1=1 src2=0
	s_delay_alu instid0(VALU_DEP_1)
	v_cmp_lt_u32_e64 s0, v2, v12 /*v268*/
	s_and_saveexec_b32 s1, s0
	s_set_vgpr_msb 0                        ;  msbs: dst=0 src0=0 src1=0 src2=0
	s_cbranch_execz .LBB1009_313
; %bb.312:
	v_xor_b32_e32 v2, 0xffff8000, v19
	flat_store_b16 v[0:1], v2 offset:512
.LBB1009_313:
	s_wait_xcnt 0x0
	s_or_b32 exec_lo, exec_lo, s1
	v_add_nc_u32_e32 v2, 0x200, v20
	s_set_vgpr_msb 4                        ;  msbs: dst=0 src0=0 src1=1 src2=0
	s_delay_alu instid0(VALU_DEP_1)
	v_cmp_lt_u32_e64 s1, v2, v12 /*v268*/
	s_and_saveexec_b32 s2, s1
	s_set_vgpr_msb 0                        ;  msbs: dst=0 src0=0 src1=0 src2=0
	s_cbranch_execz .LBB1009_315
; %bb.314:
	v_xor_b32_e32 v2, 0xffff8000, v5
	flat_store_b16 v[0:1], v2 offset:1024
.LBB1009_315:
	;; [unrolled: 13-line block ×3, first 2 shown]
	s_wait_xcnt 0x0
	s_or_b32 exec_lo, exec_lo, s3
	v_lshl_add_u64 v[0:1], v[8:9], 3, v[6:7]
	s_delay_alu instid0(VALU_DEP_1)
	v_lshl_add_u64 v[0:1], v[20:21], 3, v[0:1]
	s_and_saveexec_b32 s3, vcc_lo
	s_cbranch_execnz .LBB1009_350
; %bb.318:
	s_or_b32 exec_lo, exec_lo, s3
	s_and_saveexec_b32 s3, s0
	s_cbranch_execnz .LBB1009_351
.LBB1009_319:
	s_or_b32 exec_lo, exec_lo, s3
	s_and_saveexec_b32 s0, s1
	s_cbranch_execnz .LBB1009_352
.LBB1009_320:
	s_or_b32 exec_lo, exec_lo, s0
	s_and_saveexec_b32 s0, s2
	s_cbranch_execz .LBB1009_322
.LBB1009_321:
	flat_store_b64 v[0:1], v[12:13] offset:6144
.LBB1009_322:
	s_wait_xcnt 0x0
	s_or_b32 exec_lo, exec_lo, s0
                                        ; implicit-def: $vgpr268
                                        ; implicit-def: $vgpr8
                                        ; implicit-def: $vgpr10
                                        ; implicit-def: $vgpr11
                                        ; implicit-def: $vgpr0_vgpr1
                                        ; implicit-def: $vgpr2_vgpr3
                                        ; implicit-def: $vgpr4_vgpr5
                                        ; implicit-def: $vgpr6_vgpr7
                                        ; implicit-def: $vgpr12_vgpr13
                                        ; implicit-def: $vgpr9
                                        ; implicit-def: $vgpr14
                                        ; implicit-def: $vgpr18
                                        ; implicit-def: $vgpr66
.LBB1009_323:
	s_and_not1_saveexec_b32 s0, s22
	s_cbranch_execz .LBB1009_382
; %bb.324:
	s_load_b64 s[0:1], s[8:9], 0x0
	s_bfe_u32 s3, ttmp6, 0x4000c
	s_bfe_u32 s5, ttmp6, 0x40010
	s_and_b32 s4, ttmp7, 0xffff
	s_add_co_i32 s3, s3, 1
	s_add_co_i32 s5, s5, 1
	s_and_b32 s2, ttmp6, 15
	s_bfe_u32 s6, ttmp6, 0x40004
	s_mul_i32 s3, ttmp9, s3
	s_mul_i32 s5, s4, s5
	s_add_co_i32 s2, s2, s3
	s_add_co_i32 s6, s6, s5
	s_cmp_eq_u32 s21, 0
	s_cselect_b32 s2, ttmp9, s2
	s_cselect_b32 s3, s4, s6
	s_wait_kmcnt 0x0
	s_cmp_lt_u32 s2, s0
	s_cselect_b32 s0, 12, 18
	s_cmp_lt_u32 s3, s1
	s_mov_b32 s1, 0
	s_cselect_b32 s2, 14, 20
	s_mov_b32 s3, s1
	s_add_nc_u64 s[0:1], s[8:9], s[0:1]
	s_add_nc_u64 s[2:3], s[8:9], s[2:3]
	s_clause 0x1
	s_load_u16 s0, s[0:1], 0x0
	s_nop 0
	s_load_u16 s2, s[2:3], 0x0
	s_wait_kmcnt 0x0
	v_mad_u32_u24 v9, v14, s2, v9
	s_delay_alu instid0(VALU_DEP_1)
	v_mad_u32 v14, v9, s0, v18
	v_mov_b32_e32 v9, 0
	s_mov_b32 s0, exec_lo
	s_set_vgpr_msb 4                        ;  msbs: dst=0 src0=0 src1=1 src2=0
	v_cmpx_lt_u32_e32 0x100, v12 /*v268*/
	s_xor_b32 s18, exec_lo, s0
	s_set_vgpr_msb 0                        ;  msbs: dst=0 src0=0 src1=0 src2=0
	s_cbranch_execz .LBB1009_362
; %bb.325:
	v_lshl_add_u64 v[16:17], v[8:9], 1, v[0:1]
	s_delay_alu instid0(VALU_DEP_4) | instskip(SKIP_2) | instid1(VALU_DEP_3)
	v_dual_mov_b32 v21, v9 :: v_dual_lshlrev_b32 v0, 1, v14
	v_dual_mov_b32 v1, v9 :: v_dual_lshlrev_b32 v20, 1, v66
	v_mov_b32_e32 v15, 0x7fff7fff
	v_and_b32_e32 v0, 0xffffffc0, v0
	s_delay_alu instid0(VALU_DEP_3) | instskip(NEXT) | instid1(VALU_DEP_2)
	v_add_nc_u64_e32 v[16:17], v[16:17], v[20:21]
	v_or_b32_e32 v19, v66, v0
	s_delay_alu instid0(VALU_DEP_2) | instskip(SKIP_1) | instid1(VALU_DEP_2)
	v_lshl_add_u64 v[16:17], v[0:1], 1, v[16:17]
	s_set_vgpr_msb 4                        ;  msbs: dst=0 src0=0 src1=1 src2=0
	v_cmp_lt_u32_e32 vcc_lo, v19, v12 /*v268*/
	s_and_saveexec_b32 s0, vcc_lo
	s_set_vgpr_msb 0                        ;  msbs: dst=0 src0=0 src1=0 src2=0
	s_cbranch_execz .LBB1009_327
; %bb.326:
	flat_load_u16 v15, v[16:17]
	s_movk_i32 s1, 0x7fff
	s_wait_loadcnt_dscnt 0x0
	v_perm_b32 v15, s1, v15, 0x5040100
.LBB1009_327:
	s_wait_xcnt 0x0
	s_or_b32 exec_lo, exec_lo, s0
	v_or_b32_e32 v19, 32, v19
	s_set_vgpr_msb 4                        ;  msbs: dst=0 src0=0 src1=1 src2=0
	s_delay_alu instid0(VALU_DEP_1)
	v_cmp_lt_u32_e64 s0, v19, v12 /*v268*/
	s_and_saveexec_b32 s1, s0
	s_set_vgpr_msb 0                        ;  msbs: dst=0 src0=0 src1=0 src2=0
	s_cbranch_execz .LBB1009_329
; %bb.328:
	flat_load_u16 v16, v[16:17] offset:64
	s_wait_loadcnt_dscnt 0x0
	v_perm_b32 v15, v16, v15, 0x5040100
.LBB1009_329:
	s_wait_xcnt 0x0
	s_or_b32 exec_lo, exec_lo, s1
	v_lshl_add_u64 v[4:5], v[8:9], 3, v[4:5]
	v_dual_mov_b32 v17, 0 :: v_dual_lshlrev_b32 v16, 3, v66
	v_mov_b64_e32 v[24:25], 0
	v_mov_b64_e32 v[22:23], 0
	s_delay_alu instid0(VALU_DEP_3) | instskip(NEXT) | instid1(VALU_DEP_1)
	v_add_nc_u64_e32 v[4:5], v[4:5], v[16:17]
	v_lshl_add_u64 v[0:1], v[0:1], 3, v[4:5]
	s_and_saveexec_b32 s1, vcc_lo
	s_cbranch_execz .LBB1009_331
; %bb.330:
	flat_load_b64 v[22:23], v[0:1]
.LBB1009_331:
	s_wait_xcnt 0x0
	s_or_b32 exec_lo, exec_lo, s1
	s_and_saveexec_b32 s1, s0
	s_cbranch_execz .LBB1009_333
; %bb.332:
	flat_load_b64 v[24:25], v[0:1] offset:256
.LBB1009_333:
	s_wait_xcnt 0x0
	s_or_b32 exec_lo, exec_lo, s1
	v_lshl_add_u32 v0, v18, 5, v12
	v_and_b32_e32 v4, 15, v66
	s_get_pc_i64 s[0:1]
	s_add_nc_u64 s[0:1], s[0:1], _ZN7rocprim17ROCPRIM_400000_NS16block_radix_sortIsLj256ELj2ElLj1ELj1ELj8ELNS0_26block_radix_rank_algorithmE2ELNS0_18block_padding_hintE2ELNS0_4arch9wavefront6targetE0EE19radix_bits_per_passE@rel64+4
	v_and_b32_e32 v1, 0x3e0, v18
	s_load_b32 s19, s[0:1], 0x0
	v_add_nc_u32_e32 v38, 56, v0
	v_cmp_eq_u32_e32 vcc_lo, 0, v4
	s_wait_xcnt 0x0
	v_cmp_lt_u32_e64 s0, 1, v4
	v_cmp_lt_u32_e64 s1, 3, v4
	;; [unrolled: 1-line block ×3, first 2 shown]
	v_sub_co_u32 v4, s3, v66, 1
	v_xor_b32_e32 v39, 0x80008000, v15
	v_dual_add_nc_u32 v15, 32, v0 :: v_dual_add_nc_u32 v19, 36, v0
	v_dual_add_nc_u32 v34, 40, v0 :: v_dual_add_nc_u32 v35, 44, v0
	;; [unrolled: 1-line block ×3, first 2 shown]
	v_dual_add_nc_u32 v48, 60, v0 :: v_dual_lshrrev_b32 v49, 5, v14
	v_min_u32_e32 v0, 0xe0, v1
	v_cmp_gt_i32_e64 s6, 0, v4
	v_and_b32_e32 v1, 16, v66
	v_cmp_lt_u32_e64 s7, 31, v18
	v_cmp_eq_u32_e64 s8, 0, v18
	s_delay_alu instid0(VALU_DEP_4) | instskip(NEXT) | instid1(VALU_DEP_4)
	v_dual_cndmask_b32 v4, v4, v66, s6 :: v_dual_bitop2_b32 v0, 31, v0 bitop3:0x54
	v_cmp_eq_u32_e64 s4, 0, v1
	v_lshlrev_b32_e32 v1, 1, v18
	v_cmp_gt_u32_e64 s6, 8, v18
	s_delay_alu instid0(VALU_DEP_4) | instskip(SKIP_1) | instid1(VALU_DEP_4)
	v_cmp_eq_u32_e64 s5, v18, v0
	v_dual_lshrrev_b32 v0, 3, v18 :: v_dual_lshlrev_b32 v50, 2, v4
	v_and_or_b32 v1, 0x7c0, v1, v66
	v_lshl_add_u32 v53, v18, 2, v12
	s_mov_b32 s21, 0
	s_delay_alu instid0(VALU_DEP_3)
	v_and_b32_e32 v0, 0x7c, v0
	s_wait_storecnt 0x0
	s_wait_loadcnt_dscnt 0x0
	v_lshl_add_u32 v52, v1, 1, v12
	v_mul_u32_u24_e32 v4, 6, v1
	v_dual_mov_b32 v1, 0 :: v_dual_add_nc_u32 v51, v12, v0
	s_delay_alu instid0(VALU_DEP_3) | instskip(NEXT) | instid1(VALU_DEP_3)
	v_dual_add_nc_u32 v64, 64, v52 :: v_dual_bitop2_b32 v0, 7, v66 bitop3:0x40
	v_add_nc_u32_e32 v54, v52, v4
	v_mov_b64_e32 v[4:5], 0
	s_delay_alu instid0(VALU_DEP_4) | instskip(NEXT) | instid1(VALU_DEP_4)
	v_add_nc_u32_e32 v55, -4, v51
	v_cmp_eq_u32_e64 s9, 0, v0
	v_cmp_lt_u32_e64 s10, 1, v0
	v_cmp_lt_u32_e64 s11, 3, v0
	v_add_nc_u32_e32 v65, 0x100, v54
	v_sub_nc_u32_e32 v66, v11, v10
	s_barrier_signal -1
	s_barrier_wait -1
	s_branch .LBB1009_335
.LBB1009_334:                           ;   in Loop: Header=BB1009_335 Depth=1
	s_or_b32 exec_lo, exec_lo, s13
	s_delay_alu instid0(SALU_CYCLE_1) | instskip(NEXT) | instid1(SALU_CYCLE_1)
	s_and_b32 s12, exec_lo, s14
	s_or_b32 s21, s12, s21
	s_delay_alu instid0(SALU_CYCLE_1)
	s_and_not1_b32 exec_lo, exec_lo, s21
	s_cbranch_execz .LBB1009_353
.LBB1009_335:                           ; =>This Inner Loop Header: Depth=1
	s_wait_kmcnt 0x0
	v_min_u32_e32 v0, s19, v66
	v_and_b32_e32 v16, 0xffff, v39
	ds_store_b64 v15, v[4:5]
	ds_store_b64 v34, v[4:5]
	;; [unrolled: 1-line block ×4, first 2 shown]
	s_wait_dscnt 0x0
	v_lshlrev_b32_e64 v26, v0, -1
	v_lshrrev_b32_e32 v0, v10, v16
	s_barrier_signal -1
	s_barrier_wait -1
	s_delay_alu instid0(VALU_DEP_1) | instskip(SKIP_1) | instid1(VALU_DEP_2)
	v_bitop3_b32 v16, v0, 1, v26 bitop3:0x40
	v_bitop3_b32 v0, v0, v26, v0 bitop3:0x30
	; wave barrier
	v_add_co_u32 v16, s12, v16, -1
	s_delay_alu instid0(VALU_DEP_1) | instskip(NEXT) | instid1(VALU_DEP_3)
	v_cndmask_b32_e64 v17, 0, 1, s12
	v_dual_lshlrev_b32 v20, 30, v0 :: v_dual_lshlrev_b32 v21, 29, v0
	v_dual_lshlrev_b32 v27, 28, v0 :: v_dual_lshlrev_b32 v28, 27, v0
	s_delay_alu instid0(VALU_DEP_3) | instskip(NEXT) | instid1(VALU_DEP_3)
	v_cmp_ne_u32_e64 s12, 0, v17
	v_not_b32_e32 v17, v20
	v_dual_lshlrev_b32 v29, 26, v0 :: v_dual_lshlrev_b32 v30, 25, v0
	v_cmp_gt_i32_e64 s13, 0, v20
	v_cmp_gt_i32_e64 s14, 0, v21
	v_not_b32_e32 v20, v21
	v_not_b32_e32 v21, v27
	v_dual_ashrrev_i32 v17, 31, v17 :: v_dual_lshlrev_b32 v31, 24, v0
	v_cmp_gt_i32_e64 s15, 0, v27
	v_cmp_gt_i32_e64 s16, 0, v28
	v_not_b32_e32 v27, v28
	v_xor_b32_e32 v16, s12, v16
	v_dual_ashrrev_i32 v20, 31, v20 :: v_dual_bitop2_b32 v17, s13, v17 bitop3:0x14
	v_ashrrev_i32_e32 v21, 31, v21
	v_not_b32_e32 v28, v29
	v_cmp_gt_i32_e64 s17, 0, v29
	v_ashrrev_i32_e32 v27, 31, v27
	v_bitop3_b32 v16, v16, v17, exec_lo bitop3:0x80
	s_delay_alu instid0(VALU_DEP_4)
	v_dual_ashrrev_i32 v17, 31, v28 :: v_dual_bitop2_b32 v21, s15, v21 bitop3:0x14
	v_not_b32_e32 v28, v30
	v_not_b32_e32 v29, v31
	v_xor_b32_e32 v20, s14, v20
	v_xor_b32_e32 v27, s16, v27
	v_dual_lshlrev_b32 v0, 3, v0 :: v_dual_bitop2_b32 v17, s17, v17 bitop3:0x14
	v_cmp_gt_i32_e64 s12, 0, v30
	s_delay_alu instid0(VALU_DEP_4)
	v_bitop3_b32 v16, v16, v21, v20 bitop3:0x80
	v_ashrrev_i32_e32 v20, 31, v28
	v_cmp_gt_i32_e64 s13, 0, v31
	v_ashrrev_i32_e32 v21, 31, v29
	v_add_lshl_u32 v0, v0, v49, 2
	v_bitop3_b32 v27, v16, v17, v27 bitop3:0x80
	v_xor_b32_e32 v20, s12, v20
	v_mov_b64_e32 v[16:17], v[24:25]
	v_xor_b32_e32 v21, s13, v21
	s_delay_alu instid0(VALU_DEP_1) | instskip(SKIP_2) | instid1(VALU_DEP_3)
	v_bitop3_b32 v24, v27, v21, v20 bitop3:0x80
	v_mov_b64_e32 v[20:21], v[22:23]
	v_add_nc_u64_e32 v[22:23], v[12:13], v[0:1]
	v_mbcnt_lo_u32_b32 v0, v24, 0
	v_cmp_ne_u32_e64 s13, 0, v24
	s_delay_alu instid0(VALU_DEP_3) | instskip(NEXT) | instid1(VALU_DEP_3)
	v_add_nc_u64_e32 v[22:23], 32, v[22:23]
	v_cmp_eq_u32_e64 s12, 0, v0
	s_and_b32 s13, s13, s12
	s_delay_alu instid0(SALU_CYCLE_1)
	s_and_saveexec_b32 s12, s13
; %bb.336:                              ;   in Loop: Header=BB1009_335 Depth=1
	v_bcnt_u32_b32 v23, v24, 0
	ds_store_b32 v22, v23
; %bb.337:                              ;   in Loop: Header=BB1009_335 Depth=1
	s_or_b32 exec_lo, exec_lo, s12
	v_lshrrev_b32_e32 v67, 16, v39
	v_not_b32_e32 v23, v26
	; wave barrier
	s_delay_alu instid0(VALU_DEP_2) | instskip(NEXT) | instid1(VALU_DEP_1)
	v_lshrrev_b32_e32 v24, v10, v67
	v_and_b32_e32 v25, v24, v23
	s_delay_alu instid0(VALU_DEP_1) | instskip(SKIP_2) | instid1(VALU_DEP_3)
	v_lshlrev_b32_e32 v28, 29, v25
	v_bitop3_b32 v23, v24, 1, v23 bitop3:0x80
	v_lshlrev_b32_e32 v27, 30, v25
	v_cmp_gt_i32_e64 s14, 0, v28
	s_delay_alu instid0(VALU_DEP_3) | instskip(NEXT) | instid1(VALU_DEP_1)
	v_add_co_u32 v23, s12, v23, -1
	v_cndmask_b32_e64 v26, 0, 1, s12
	s_delay_alu instid0(VALU_DEP_4) | instskip(NEXT) | instid1(VALU_DEP_2)
	v_cmp_gt_i32_e64 s13, 0, v27
	v_cmp_ne_u32_e64 s12, 0, v26
	v_not_b32_e32 v26, v27
	v_not_b32_e32 v27, v28
	s_delay_alu instid0(VALU_DEP_2) | instskip(SKIP_3) | instid1(VALU_DEP_3)
	v_dual_ashrrev_i32 v26, 31, v26 :: v_dual_bitop2_b32 v23, s12, v23 bitop3:0x14
	v_dual_lshlrev_b32 v29, 28, v25 :: v_dual_lshlrev_b32 v30, 27, v25
	v_dual_lshlrev_b32 v31, 26, v25 :: v_dual_lshlrev_b32 v32, 25, v25
	v_lshl_add_u32 v24, v25, 3, v49
	v_not_b32_e32 v28, v29
	v_lshlrev_b32_e32 v25, 24, v25
	v_cmp_gt_i32_e64 s15, 0, v29
	v_cmp_gt_i32_e64 s16, 0, v30
	v_not_b32_e32 v29, v30
	v_dual_ashrrev_i32 v27, 31, v27 :: v_dual_ashrrev_i32 v28, 31, v28
	v_xor_b32_e32 v26, s13, v26
	v_not_b32_e32 v30, v31
	v_cmp_gt_i32_e64 s17, 0, v31
	s_delay_alu instid0(VALU_DEP_4) | instskip(NEXT) | instid1(VALU_DEP_4)
	v_dual_ashrrev_i32 v29, 31, v29 :: v_dual_bitop2_b32 v27, s14, v27 bitop3:0x14
	v_bitop3_b32 v23, v23, v26, exec_lo bitop3:0x80
	s_delay_alu instid0(VALU_DEP_4)
	v_ashrrev_i32_e32 v26, 31, v30
	v_not_b32_e32 v30, v32
	v_xor_b32_e32 v28, s15, v28
	v_not_b32_e32 v31, v25
	v_xor_b32_e32 v29, s16, v29
	v_cmp_gt_i32_e64 s12, 0, v32
	v_cmp_gt_i32_e64 s13, 0, v25
	v_bitop3_b32 v23, v23, v28, v27 bitop3:0x80
	v_dual_ashrrev_i32 v27, 31, v30 :: v_dual_ashrrev_i32 v25, 31, v31
	v_lshl_add_u32 v28, v24, 2, v12
	v_xor_b32_e32 v26, s17, v26
	s_delay_alu instid0(VALU_DEP_3) | instskip(NEXT) | instid1(VALU_DEP_2)
	v_xor_b32_e32 v25, s13, v25
	v_bitop3_b32 v24, v23, v26, v29 bitop3:0x80
	v_xor_b32_e32 v26, s12, v27
	ds_load_b32 v23, v28 offset:32
	; wave barrier
	v_bitop3_b32 v26, v24, v25, v26 bitop3:0x80
	v_add_nc_u32_e32 v25, 32, v28
	s_delay_alu instid0(VALU_DEP_2) | instskip(SKIP_1) | instid1(VALU_DEP_2)
	v_mbcnt_lo_u32_b32 v24, v26, 0
	v_cmp_ne_u32_e64 s13, 0, v26
	v_cmp_eq_u32_e64 s12, 0, v24
	s_and_b32 s13, s13, s12
	s_delay_alu instid0(SALU_CYCLE_1)
	s_and_saveexec_b32 s12, s13
	s_cbranch_execz .LBB1009_339
; %bb.338:                              ;   in Loop: Header=BB1009_335 Depth=1
	s_wait_dscnt 0x0
	v_bcnt_u32_b32 v26, v26, v23
	ds_store_b32 v25, v26
.LBB1009_339:                           ;   in Loop: Header=BB1009_335 Depth=1
	s_or_b32 exec_lo, exec_lo, s12
	; wave barrier
	s_wait_dscnt 0x0
	s_barrier_signal -1
	s_barrier_wait -1
	ds_load_b32 v27, v15
	ds_load_b32 v28, v19
	;; [unrolled: 1-line block ×8, first 2 shown]
	s_wait_dscnt 0x6
	v_add_nc_u32_e32 v68, v28, v27
	s_wait_dscnt 0x4
	s_delay_alu instid0(VALU_DEP_1) | instskip(SKIP_1) | instid1(VALU_DEP_1)
	v_add3_u32 v68, v68, v29, v30
	s_wait_dscnt 0x2
	v_add3_u32 v68, v68, v31, v32
	s_wait_dscnt 0x0
	s_delay_alu instid0(VALU_DEP_1) | instskip(NEXT) | instid1(VALU_DEP_1)
	v_add3_u32 v33, v68, v26, v33
	v_mov_b32_dpp v68, v33 row_shr:1 row_mask:0xf bank_mask:0xf
	s_delay_alu instid0(VALU_DEP_1) | instskip(NEXT) | instid1(VALU_DEP_1)
	v_cndmask_b32_e64 v68, v68, 0, vcc_lo
	v_add_nc_u32_e32 v33, v68, v33
	s_delay_alu instid0(VALU_DEP_1) | instskip(NEXT) | instid1(VALU_DEP_1)
	v_mov_b32_dpp v68, v33 row_shr:2 row_mask:0xf bank_mask:0xf
	v_cndmask_b32_e64 v68, 0, v68, s0
	s_delay_alu instid0(VALU_DEP_1) | instskip(NEXT) | instid1(VALU_DEP_1)
	v_add_nc_u32_e32 v33, v33, v68
	v_mov_b32_dpp v68, v33 row_shr:4 row_mask:0xf bank_mask:0xf
	s_delay_alu instid0(VALU_DEP_1) | instskip(NEXT) | instid1(VALU_DEP_1)
	v_cndmask_b32_e64 v68, 0, v68, s1
	v_add_nc_u32_e32 v33, v33, v68
	s_delay_alu instid0(VALU_DEP_1) | instskip(NEXT) | instid1(VALU_DEP_1)
	v_mov_b32_dpp v68, v33 row_shr:8 row_mask:0xf bank_mask:0xf
	v_cndmask_b32_e64 v68, 0, v68, s2
	s_delay_alu instid0(VALU_DEP_1) | instskip(SKIP_3) | instid1(VALU_DEP_1)
	v_add_nc_u32_e32 v33, v33, v68
	ds_swizzle_b32 v68, v33 offset:swizzle(BROADCAST,32,15)
	s_wait_dscnt 0x0
	v_cndmask_b32_e64 v68, v68, 0, s4
	v_add_nc_u32_e32 v33, v33, v68
	s_and_saveexec_b32 s12, s5
; %bb.340:                              ;   in Loop: Header=BB1009_335 Depth=1
	ds_store_b32 v51, v33
; %bb.341:                              ;   in Loop: Header=BB1009_335 Depth=1
	s_or_b32 exec_lo, exec_lo, s12
	s_wait_dscnt 0x0
	s_barrier_signal -1
	s_barrier_wait -1
	s_and_saveexec_b32 s12, s6
	s_cbranch_execz .LBB1009_343
; %bb.342:                              ;   in Loop: Header=BB1009_335 Depth=1
	ds_load_b32 v68, v53
	s_wait_dscnt 0x0
	v_mov_b32_dpp v69, v68 row_shr:1 row_mask:0xf bank_mask:0xf
	s_delay_alu instid0(VALU_DEP_1) | instskip(NEXT) | instid1(VALU_DEP_1)
	v_cndmask_b32_e64 v69, v69, 0, s9
	v_add_nc_u32_e32 v68, v69, v68
	s_delay_alu instid0(VALU_DEP_1) | instskip(NEXT) | instid1(VALU_DEP_1)
	v_mov_b32_dpp v69, v68 row_shr:2 row_mask:0xf bank_mask:0xf
	v_cndmask_b32_e64 v69, 0, v69, s10
	s_delay_alu instid0(VALU_DEP_1) | instskip(NEXT) | instid1(VALU_DEP_1)
	v_add_nc_u32_e32 v68, v68, v69
	v_mov_b32_dpp v69, v68 row_shr:4 row_mask:0xf bank_mask:0xf
	s_delay_alu instid0(VALU_DEP_1) | instskip(NEXT) | instid1(VALU_DEP_1)
	v_cndmask_b32_e64 v69, 0, v69, s11
	v_add_nc_u32_e32 v68, v68, v69
	ds_store_b32 v53, v68
.LBB1009_343:                           ;   in Loop: Header=BB1009_335 Depth=1
	s_or_b32 exec_lo, exec_lo, s12
	v_mov_b32_e32 v68, 0
	s_wait_dscnt 0x0
	s_barrier_signal -1
	s_barrier_wait -1
	s_and_saveexec_b32 s12, s7
; %bb.344:                              ;   in Loop: Header=BB1009_335 Depth=1
	ds_load_b32 v68, v55
; %bb.345:                              ;   in Loop: Header=BB1009_335 Depth=1
	s_or_b32 exec_lo, exec_lo, s12
	s_wait_dscnt 0x0
	v_add_nc_u32_e32 v33, v68, v33
	s_mov_b32 s14, -1
	s_mov_b32 s13, exec_lo
	v_add_nc_u32_e32 v10, 8, v10
	ds_bpermute_b32 v33, v50, v33
	s_wait_dscnt 0x0
	v_cndmask_b32_e64 v33, v33, v68, s3
	s_delay_alu instid0(VALU_DEP_1) | instskip(NEXT) | instid1(VALU_DEP_1)
	v_cndmask_b32_e64 v33, v33, 0, s8
	v_add_nc_u32_e32 v27, v33, v27
	s_delay_alu instid0(VALU_DEP_1) | instskip(NEXT) | instid1(VALU_DEP_1)
	v_add_nc_u32_e32 v28, v27, v28
	v_add_nc_u32_e32 v29, v28, v29
	s_delay_alu instid0(VALU_DEP_1) | instskip(NEXT) | instid1(VALU_DEP_1)
	v_add_nc_u32_e32 v30, v29, v30
	v_add_nc_u32_e32 v31, v30, v31
	s_delay_alu instid0(VALU_DEP_1)
	v_add_nc_u32_e32 v32, v31, v32
	ds_store_b32 v15, v33
	ds_store_b32 v19, v27
	;; [unrolled: 1-line block ×3, first 2 shown]
	v_add_nc_u32_e32 v26, v32, v26
	ds_store_b32 v35, v29
	ds_store_b32 v36, v30
	;; [unrolled: 1-line block ×5, first 2 shown]
	s_wait_dscnt 0x0
	s_barrier_signal -1
	s_barrier_wait -1
	ds_load_b32 v22, v22
	ds_load_b32 v26, v25
	v_mov_b32_e32 v25, v1
	s_wait_dscnt 0x0
	v_add_nc_u32_e32 v0, v22, v0
	v_add3_u32 v24, v24, v23, v26
                                        ; implicit-def: $vgpr22_vgpr23
	s_delay_alu instid0(VALU_DEP_2) | instskip(NEXT) | instid1(VALU_DEP_2)
	v_lshl_add_u64 v[30:31], v[0:1], 1, v[12:13]
	v_lshl_add_u64 v[32:33], v[24:25], 1, v[12:13]
	s_delay_alu instid0(VALU_DEP_2) | instskip(NEXT) | instid1(VALU_DEP_2)
	v_mad_nc_u64_u32 v[26:27], v0, 6, v[30:31]
	v_mad_nc_u64_u32 v[28:29], v24, 6, v[32:33]
	v_mov_b32_e32 v0, v39
                                        ; implicit-def: $vgpr24_vgpr25
	v_cmpx_lt_u32_e64 v10, v11
	s_cbranch_execz .LBB1009_334
; %bb.346:                              ;   in Loop: Header=BB1009_335 Depth=1
	s_barrier_signal -1
	s_barrier_wait -1
	ds_store_b16 v30, v39
	ds_store_b16 v32, v67
	s_wait_dscnt 0x0
	s_barrier_signal -1
	s_barrier_wait -1
	ds_load_u16 v27, v52
	ds_load_u16 v29, v64
	s_wait_dscnt 0x0
	s_barrier_signal -1
	s_barrier_wait -1
	ds_store_b64 v26, v[20:21]
	ds_store_b64 v28, v[16:17]
	s_wait_dscnt 0x0
	s_barrier_signal -1
	s_barrier_wait -1
	ds_load_b64 v[22:23], v54
	ds_load_b64 v[24:25], v65
	v_add_nc_u32_e32 v66, -8, v66
	s_xor_b32 s14, exec_lo, -1
	s_wait_dscnt 0x0
	s_barrier_signal -1
	s_barrier_wait -1
	v_perm_b32 v39, v29, v27, 0x5040100
	s_branch .LBB1009_334
.LBB1009_347:
	flat_load_b64 v[26:27], v[4:5]
	s_wait_xcnt 0x0
	s_or_b32 exec_lo, exec_lo, s3
                                        ; implicit-def: $vgpr28_vgpr29
	s_and_saveexec_b32 s3, s0
	s_cbranch_execz .LBB1009_274
.LBB1009_348:
	flat_load_b64 v[28:29], v[4:5] offset:256
	s_wait_xcnt 0x0
	s_or_b32 exec_lo, exec_lo, s3
                                        ; implicit-def: $vgpr30_vgpr31
	s_and_saveexec_b32 s0, s1
	s_cbranch_execz .LBB1009_275
.LBB1009_349:
	flat_load_b64 v[30:31], v[4:5] offset:512
	s_wait_xcnt 0x0
	s_or_b32 exec_lo, exec_lo, s0
                                        ; implicit-def: $vgpr32_vgpr33
	s_and_saveexec_b32 s0, s2
	s_cbranch_execnz .LBB1009_276
	s_branch .LBB1009_277
.LBB1009_350:
	flat_store_b64 v[0:1], v[14:15]
	s_wait_xcnt 0x0
	s_or_b32 exec_lo, exec_lo, s3
	s_and_saveexec_b32 s3, s0
	s_cbranch_execz .LBB1009_319
.LBB1009_351:
	flat_store_b64 v[0:1], v[16:17] offset:2048
	s_wait_xcnt 0x0
	s_or_b32 exec_lo, exec_lo, s3
	s_and_saveexec_b32 s0, s1
	s_cbranch_execz .LBB1009_320
.LBB1009_352:
	flat_store_b64 v[0:1], v[10:11] offset:4096
	s_wait_xcnt 0x0
	s_or_b32 exec_lo, exec_lo, s0
	s_and_saveexec_b32 s0, s2
	s_cbranch_execnz .LBB1009_321
	s_branch .LBB1009_322
.LBB1009_353:
	s_or_b32 exec_lo, exec_lo, s21
	s_barrier_signal -1
	s_barrier_wait -1
	ds_store_b16 v30, v0
	ds_store_b16 v32, v67
	v_lshl_add_u32 v0, v18, 1, v12
	v_mul_u32_u24_e32 v1, 6, v18
	s_wait_dscnt 0x0
	s_barrier_signal -1
	s_barrier_wait -1
	ds_load_u16 v5, v0
	ds_load_u16 v4, v0 offset:512
	v_dual_mov_b32 v15, 0 :: v_dual_add_nc_u32 v0, v0, v1
	s_wait_dscnt 0x0
	s_barrier_signal -1
	s_barrier_wait -1
	ds_store_b64 v26, v[20:21]
	ds_store_b64 v28, v[16:17]
	s_wait_dscnt 0x0
	s_barrier_signal -1
	s_barrier_wait -1
	ds_load_2addr_stride64_b64 v[10:13], v0 offset1:4
	v_lshl_add_u64 v[0:1], v[8:9], 1, v[2:3]
	s_set_vgpr_msb 4                        ;  msbs: dst=0 src0=0 src1=1 src2=0
	v_cmp_lt_u32_e32 vcc_lo, v14, v12 /*v268*/
	s_wait_dscnt 0x0
	s_barrier_signal -1
	s_barrier_wait -1
	v_lshl_add_u64 v[0:1], v[14:15], 1, v[0:1]
	s_and_saveexec_b32 s0, vcc_lo
	s_set_vgpr_msb 0                        ;  msbs: dst=0 src0=0 src1=0 src2=0
	s_cbranch_execz .LBB1009_355
; %bb.354:
	v_xor_b32_e32 v2, 0xffff8000, v5
	flat_store_b16 v[0:1], v2
.LBB1009_355:
	s_wait_xcnt 0x0
	s_or_b32 exec_lo, exec_lo, s0
	v_add_nc_u32_e32 v2, 0x100, v14
	s_set_vgpr_msb 4                        ;  msbs: dst=0 src0=0 src1=1 src2=0
	s_delay_alu instid0(VALU_DEP_1)
	v_cmp_lt_u32_e64 s0, v2, v12 /*v268*/
	s_and_saveexec_b32 s1, s0
	s_set_vgpr_msb 0                        ;  msbs: dst=0 src0=0 src1=0 src2=0
	s_cbranch_execz .LBB1009_357
; %bb.356:
	v_xor_b32_e32 v2, 0xffff8000, v4
	flat_store_b16 v[0:1], v2 offset:512
.LBB1009_357:
	s_wait_xcnt 0x0
	s_or_b32 exec_lo, exec_lo, s1
	v_lshl_add_u64 v[0:1], v[8:9], 3, v[6:7]
	s_delay_alu instid0(VALU_DEP_1)
	v_lshl_add_u64 v[0:1], v[14:15], 3, v[0:1]
	s_and_saveexec_b32 s1, vcc_lo
	s_cbranch_execz .LBB1009_359
; %bb.358:
	flat_store_b64 v[0:1], v[10:11]
.LBB1009_359:
	s_wait_xcnt 0x0
	s_or_b32 exec_lo, exec_lo, s1
	s_and_saveexec_b32 s1, s0
	s_cbranch_execz .LBB1009_361
; %bb.360:
	flat_store_b64 v[0:1], v[12:13] offset:2048
.LBB1009_361:
	s_wait_xcnt 0x0
	s_or_b32 exec_lo, exec_lo, s1
                                        ; implicit-def: $vgpr14
                                        ; implicit-def: $vgpr8_vgpr9
                                        ; implicit-def: $vgpr268
                                        ; implicit-def: $vgpr10
                                        ; implicit-def: $vgpr11
                                        ; implicit-def: $vgpr0_vgpr1
                                        ; implicit-def: $vgpr2_vgpr3
                                        ; implicit-def: $vgpr4_vgpr5
                                        ; implicit-def: $vgpr6_vgpr7
                                        ; implicit-def: $vgpr12_vgpr13
                                        ; implicit-def: $vgpr18
                                        ; implicit-def: $vgpr66
.LBB1009_362:
	s_and_not1_saveexec_b32 s0, s18
	s_cbranch_execz .LBB1009_382
; %bb.363:
	s_delay_alu instid0(VALU_DEP_3) | instskip(NEXT) | instid1(VALU_DEP_1)
	v_and_b32_e32 v16, 0xffffffe0, v14
	v_dual_mov_b32 v39, -1 :: v_dual_bitop2_b32 v15, v66, v16 bitop3:0x54
	s_set_vgpr_msb 4                        ;  msbs: dst=0 src0=0 src1=1 src2=0
	s_delay_alu instid0(VALU_DEP_1)
	v_cmp_lt_u32_e32 vcc_lo, v15, v12 /*v268*/
	s_and_saveexec_b32 s0, vcc_lo
	s_set_vgpr_msb 0                        ;  msbs: dst=0 src0=0 src1=0 src2=0
	s_cbranch_execz .LBB1009_365
; %bb.364:
	v_lshl_add_u64 v[0:1], v[8:9], 1, v[0:1]
	v_dual_mov_b32 v21, 0 :: v_dual_lshlrev_b32 v20, 1, v66
	s_delay_alu instid0(VALU_DEP_1) | instskip(SKIP_1) | instid1(VALU_DEP_1)
	v_add_nc_u64_e32 v[0:1], v[0:1], v[20:21]
	v_mov_b32_e32 v17, v21
	v_lshl_add_u64 v[0:1], v[16:17], 1, v[0:1]
	flat_load_u16 v0, v[0:1]
	s_wait_loadcnt_dscnt 0x0
	v_xor_b32_e32 v39, 0xffff8000, v0
.LBB1009_365:
	s_wait_xcnt 0x0
	s_or_b32 exec_lo, exec_lo, s0
                                        ; implicit-def: $vgpr20_vgpr21
	s_and_saveexec_b32 s0, vcc_lo
	s_cbranch_execz .LBB1009_367
; %bb.366:
	v_lshl_add_u64 v[0:1], v[8:9], 3, v[4:5]
	v_dual_mov_b32 v5, 0 :: v_dual_lshlrev_b32 v4, 3, v66
	s_delay_alu instid0(VALU_DEP_1) | instskip(SKIP_1) | instid1(VALU_DEP_1)
	v_add_nc_u64_e32 v[0:1], v[0:1], v[4:5]
	v_mov_b32_e32 v17, v5
	v_lshl_add_u64 v[0:1], v[16:17], 3, v[0:1]
	flat_load_b64 v[20:21], v[0:1]
.LBB1009_367:
	s_wait_xcnt 0x0
	s_or_b32 exec_lo, exec_lo, s0
	v_lshl_add_u32 v0, v18, 5, v12
	v_and_b32_e32 v1, 15, v66
	v_sub_co_u32 v16, s2, v66, 1
	s_delay_alu instid0(VALU_DEP_3)
	v_dual_add_nc_u32 v15, 32, v0 :: v_dual_bitop2_b32 v5, 16, v66 bitop3:0x40
	v_dual_add_nc_u32 v19, 36, v0 :: v_dual_add_nc_u32 v24, 40, v0
	v_dual_add_nc_u32 v25, 44, v0 :: v_dual_add_nc_u32 v26, 48, v0
	;; [unrolled: 1-line block ×3, first 2 shown]
	v_dual_add_nc_u32 v29, 60, v0 :: v_dual_lshrrev_b32 v30, 5, v14
	v_and_b32_e32 v0, 0x3e0, v18
	v_cmp_gt_i32_e64 s5, 0, v16
	s_get_pc_i64 s[0:1]
	s_add_nc_u64 s[0:1], s[0:1], _ZN7rocprim17ROCPRIM_400000_NS16block_radix_sortIsLj256ELj1ElLj1ELj1ELj8ELNS0_26block_radix_rank_algorithmE2ELNS0_18block_padding_hintE2ELNS0_4arch9wavefront6targetE0EE19radix_bits_per_passE@rel64+4
	v_cmp_eq_u32_e32 vcc_lo, 0, v1
	s_load_b32 s18, s[0:1], 0x0
	v_min_u32_e32 v4, 0xe0, v0
	s_wait_xcnt 0x0
	v_cmp_lt_u32_e64 s0, 1, v1
	v_cmp_lt_u32_e64 s1, 3, v1
	;; [unrolled: 1-line block ×3, first 2 shown]
	v_cmp_eq_u32_e64 s4, 0, v5
	v_dual_lshrrev_b32 v4, 3, v18 :: v_dual_bitop2_b32 v1, 31, v4 bitop3:0x54
	v_dual_cndmask_b32 v5, v16, v66, s5 :: v_dual_bitop2_b32 v0, v66, v0 bitop3:0x54
	v_cmp_gt_u32_e64 s6, 8, v18
	s_delay_alu instid0(VALU_DEP_3) | instskip(NEXT) | instid1(VALU_DEP_4)
	v_cmp_eq_u32_e64 s5, v18, v1
	v_and_b32_e32 v1, 0x7c, v4
	s_delay_alu instid0(VALU_DEP_4) | instskip(SKIP_2) | instid1(VALU_DEP_4)
	v_dual_lshlrev_b32 v31, 2, v5 :: v_dual_bitop2_b32 v4, 7, v66 bitop3:0x40
	v_lshl_add_u32 v34, v0, 1, v12
	v_mul_u32_u24_e32 v0, 6, v0
	v_add_nc_u32_e32 v32, v12, v1
	s_delay_alu instid0(VALU_DEP_4)
	v_cmp_eq_u32_e64 s9, 0, v4
	v_cmp_lt_u32_e64 s10, 1, v4
	v_cmp_lt_u32_e64 s11, 3, v4
	v_mov_b64_e32 v[4:5], 0
	v_cmp_lt_u32_e64 s7, 31, v18
	v_cmp_eq_u32_e64 s8, 0, v18
	v_dual_mov_b32 v1, 0 :: v_dual_add_nc_u32 v35, -4, v32
	v_lshl_add_u32 v33, v18, 2, v12
	v_dual_add_nc_u32 v36, v34, v0 :: v_dual_sub_nc_u32 v37, v11, v10
	s_mov_b32 s19, 0
	s_wait_storecnt 0x0
	s_wait_loadcnt_dscnt 0x0
	s_barrier_signal -1
	s_barrier_wait -1
	s_branch .LBB1009_369
.LBB1009_368:                           ;   in Loop: Header=BB1009_369 Depth=1
	s_or_b32 exec_lo, exec_lo, s13
	s_delay_alu instid0(SALU_CYCLE_1) | instskip(NEXT) | instid1(SALU_CYCLE_1)
	s_and_b32 s12, exec_lo, s14
	s_or_b32 s19, s12, s19
	s_delay_alu instid0(SALU_CYCLE_1)
	s_and_not1_b32 exec_lo, exec_lo, s19
	s_cbranch_execz .LBB1009_379
.LBB1009_369:                           ; =>This Inner Loop Header: Depth=1
	v_mov_b32_e32 v38, v39
	s_wait_kmcnt 0x0
	v_min_u32_e32 v0, s18, v37
	ds_store_b64 v15, v[4:5]
	ds_store_b64 v24, v[4:5]
	;; [unrolled: 1-line block ×4, first 2 shown]
	s_wait_dscnt 0x0
	v_and_b32_e32 v16, 0xffff, v38
	v_lshlrev_b32_e64 v0, v0, -1
	s_barrier_signal -1
	s_barrier_wait -1
	s_delay_alu instid0(VALU_DEP_2) | instskip(NEXT) | instid1(VALU_DEP_1)
	v_lshrrev_b32_e32 v16, v10, v16
	; wave barrier
	v_bitop3_b32 v17, v16, 1, v0 bitop3:0x40
	v_bitop3_b32 v0, v16, v0, v16 bitop3:0x30
	s_delay_alu instid0(VALU_DEP_2) | instskip(NEXT) | instid1(VALU_DEP_1)
	v_add_co_u32 v16, s12, v17, -1
	v_cndmask_b32_e64 v17, 0, 1, s12
	s_delay_alu instid0(VALU_DEP_3) | instskip(SKIP_1) | instid1(VALU_DEP_3)
	v_dual_lshlrev_b32 v22, 30, v0 :: v_dual_lshlrev_b32 v23, 29, v0
	v_dual_lshlrev_b32 v39, 28, v0 :: v_dual_lshlrev_b32 v48, 27, v0
	v_cmp_ne_u32_e64 s12, 0, v17
	s_delay_alu instid0(VALU_DEP_3)
	v_not_b32_e32 v17, v22
	v_dual_lshlrev_b32 v49, 26, v0 :: v_dual_lshlrev_b32 v50, 25, v0
	v_lshlrev_b32_e32 v51, 24, v0
	v_cmp_gt_i32_e64 s13, 0, v22
	v_cmp_gt_i32_e64 s14, 0, v23
	v_not_b32_e32 v22, v23
	v_not_b32_e32 v23, v39
	v_ashrrev_i32_e32 v17, 31, v17
	v_cmp_gt_i32_e64 s15, 0, v39
	v_cmp_gt_i32_e64 s16, 0, v48
	v_not_b32_e32 v39, v48
	v_not_b32_e32 v48, v49
	v_dual_ashrrev_i32 v22, 31, v22 :: v_dual_bitop2_b32 v16, s12, v16 bitop3:0x14
	v_dual_ashrrev_i32 v23, 31, v23 :: v_dual_bitop2_b32 v17, s13, v17 bitop3:0x14
	v_cmp_gt_i32_e64 s17, 0, v49
	v_not_b32_e32 v49, v50
	v_not_b32_e32 v52, v51
	v_dual_ashrrev_i32 v39, 31, v39 :: v_dual_ashrrev_i32 v48, 31, v48
	v_xor_b32_e32 v22, s14, v22
	v_xor_b32_e32 v23, s15, v23
	v_bitop3_b32 v16, v16, v17, exec_lo bitop3:0x80
	s_delay_alu instid0(VALU_DEP_4)
	v_dual_lshlrev_b32 v0, 3, v0 :: v_dual_bitop2_b32 v39, s16, v39 bitop3:0x14
	v_xor_b32_e32 v17, s17, v48
	v_cmp_gt_i32_e64 s12, 0, v50
	v_ashrrev_i32_e32 v48, 31, v49
	v_cmp_gt_i32_e64 s13, 0, v51
	v_ashrrev_i32_e32 v49, 31, v52
	v_bitop3_b32 v16, v16, v23, v22 bitop3:0x80
	v_add_lshl_u32 v0, v0, v30, 2
	v_xor_b32_e32 v22, s12, v48
	s_delay_alu instid0(VALU_DEP_4) | instskip(NEXT) | instid1(VALU_DEP_4)
	v_xor_b32_e32 v23, s13, v49
	v_bitop3_b32 v16, v16, v17, v39 bitop3:0x80
	s_delay_alu instid0(VALU_DEP_1) | instskip(SKIP_2) | instid1(VALU_DEP_3)
	v_bitop3_b32 v22, v16, v23, v22 bitop3:0x80
	v_mov_b64_e32 v[16:17], v[20:21]
	v_add_nc_u64_e32 v[20:21], v[12:13], v[0:1]
	v_mbcnt_lo_u32_b32 v0, v22, 0
	v_cmp_ne_u32_e64 s13, 0, v22
	s_delay_alu instid0(VALU_DEP_3) | instskip(NEXT) | instid1(VALU_DEP_3)
	v_add_nc_u64_e32 v[20:21], 32, v[20:21]
	v_cmp_eq_u32_e64 s12, 0, v0
	s_and_b32 s13, s13, s12
	s_delay_alu instid0(SALU_CYCLE_1)
	s_and_saveexec_b32 s12, s13
; %bb.370:                              ;   in Loop: Header=BB1009_369 Depth=1
	v_bcnt_u32_b32 v21, v22, 0
	ds_store_b32 v20, v21
; %bb.371:                              ;   in Loop: Header=BB1009_369 Depth=1
	s_or_b32 exec_lo, exec_lo, s12
	; wave barrier
	s_wait_dscnt 0x0
	s_barrier_signal -1
	s_barrier_wait -1
	ds_load_b32 v22, v15
	ds_load_b32 v23, v19
	;; [unrolled: 1-line block ×8, first 2 shown]
	s_wait_dscnt 0x6
	v_add_nc_u32_e32 v52, v23, v22
	s_wait_dscnt 0x4
	s_delay_alu instid0(VALU_DEP_1) | instskip(SKIP_1) | instid1(VALU_DEP_1)
	v_add3_u32 v52, v52, v39, v48
	s_wait_dscnt 0x2
	v_add3_u32 v52, v52, v49, v50
	s_wait_dscnt 0x0
	s_delay_alu instid0(VALU_DEP_1) | instskip(NEXT) | instid1(VALU_DEP_1)
	v_add3_u32 v51, v52, v21, v51
	v_mov_b32_dpp v52, v51 row_shr:1 row_mask:0xf bank_mask:0xf
	s_delay_alu instid0(VALU_DEP_1) | instskip(NEXT) | instid1(VALU_DEP_1)
	v_cndmask_b32_e64 v52, v52, 0, vcc_lo
	v_add_nc_u32_e32 v51, v52, v51
	s_delay_alu instid0(VALU_DEP_1) | instskip(NEXT) | instid1(VALU_DEP_1)
	v_mov_b32_dpp v52, v51 row_shr:2 row_mask:0xf bank_mask:0xf
	v_cndmask_b32_e64 v52, 0, v52, s0
	s_delay_alu instid0(VALU_DEP_1) | instskip(NEXT) | instid1(VALU_DEP_1)
	v_add_nc_u32_e32 v51, v51, v52
	v_mov_b32_dpp v52, v51 row_shr:4 row_mask:0xf bank_mask:0xf
	s_delay_alu instid0(VALU_DEP_1) | instskip(NEXT) | instid1(VALU_DEP_1)
	v_cndmask_b32_e64 v52, 0, v52, s1
	v_add_nc_u32_e32 v51, v51, v52
	s_delay_alu instid0(VALU_DEP_1) | instskip(NEXT) | instid1(VALU_DEP_1)
	v_mov_b32_dpp v52, v51 row_shr:8 row_mask:0xf bank_mask:0xf
	v_cndmask_b32_e64 v52, 0, v52, s3
	s_delay_alu instid0(VALU_DEP_1) | instskip(SKIP_3) | instid1(VALU_DEP_1)
	v_add_nc_u32_e32 v51, v51, v52
	ds_swizzle_b32 v52, v51 offset:swizzle(BROADCAST,32,15)
	s_wait_dscnt 0x0
	v_cndmask_b32_e64 v52, v52, 0, s4
	v_add_nc_u32_e32 v51, v51, v52
	s_and_saveexec_b32 s12, s5
; %bb.372:                              ;   in Loop: Header=BB1009_369 Depth=1
	ds_store_b32 v32, v51
; %bb.373:                              ;   in Loop: Header=BB1009_369 Depth=1
	s_or_b32 exec_lo, exec_lo, s12
	s_wait_dscnt 0x0
	s_barrier_signal -1
	s_barrier_wait -1
	s_and_saveexec_b32 s12, s6
	s_cbranch_execz .LBB1009_375
; %bb.374:                              ;   in Loop: Header=BB1009_369 Depth=1
	ds_load_b32 v52, v33
	s_wait_dscnt 0x0
	v_mov_b32_dpp v53, v52 row_shr:1 row_mask:0xf bank_mask:0xf
	s_delay_alu instid0(VALU_DEP_1) | instskip(NEXT) | instid1(VALU_DEP_1)
	v_cndmask_b32_e64 v53, v53, 0, s9
	v_add_nc_u32_e32 v52, v53, v52
	s_delay_alu instid0(VALU_DEP_1) | instskip(NEXT) | instid1(VALU_DEP_1)
	v_mov_b32_dpp v53, v52 row_shr:2 row_mask:0xf bank_mask:0xf
	v_cndmask_b32_e64 v53, 0, v53, s10
	s_delay_alu instid0(VALU_DEP_1) | instskip(NEXT) | instid1(VALU_DEP_1)
	v_add_nc_u32_e32 v52, v52, v53
	v_mov_b32_dpp v53, v52 row_shr:4 row_mask:0xf bank_mask:0xf
	s_delay_alu instid0(VALU_DEP_1) | instskip(NEXT) | instid1(VALU_DEP_1)
	v_cndmask_b32_e64 v53, 0, v53, s11
	v_add_nc_u32_e32 v52, v52, v53
	ds_store_b32 v33, v52
.LBB1009_375:                           ;   in Loop: Header=BB1009_369 Depth=1
	s_or_b32 exec_lo, exec_lo, s12
	v_mov_b32_e32 v52, 0
	s_wait_dscnt 0x0
	s_barrier_signal -1
	s_barrier_wait -1
	s_and_saveexec_b32 s12, s7
; %bb.376:                              ;   in Loop: Header=BB1009_369 Depth=1
	ds_load_b32 v52, v35
; %bb.377:                              ;   in Loop: Header=BB1009_369 Depth=1
	s_or_b32 exec_lo, exec_lo, s12
	s_wait_dscnt 0x0
	v_add_nc_u32_e32 v51, v52, v51
	s_mov_b32 s14, -1
	s_mov_b32 s13, exec_lo
	v_add_nc_u32_e32 v10, 8, v10
	ds_bpermute_b32 v51, v31, v51
	s_wait_dscnt 0x0
	v_cndmask_b32_e64 v51, v51, v52, s2
	s_delay_alu instid0(VALU_DEP_1) | instskip(NEXT) | instid1(VALU_DEP_1)
	v_cndmask_b32_e64 v51, v51, 0, s8
	v_add_nc_u32_e32 v22, v51, v22
	s_delay_alu instid0(VALU_DEP_1) | instskip(NEXT) | instid1(VALU_DEP_1)
	v_add_nc_u32_e32 v23, v22, v23
	v_add_nc_u32_e32 v39, v23, v39
	s_delay_alu instid0(VALU_DEP_1) | instskip(NEXT) | instid1(VALU_DEP_1)
	v_add_nc_u32_e32 v48, v39, v48
	v_add_nc_u32_e32 v49, v48, v49
	ds_store_b32 v15, v51
	ds_store_b32 v19, v22
	ds_store_b32 v24, v23
	v_add_nc_u32_e32 v50, v49, v50
	s_delay_alu instid0(VALU_DEP_1)
	v_add_nc_u32_e32 v21, v50, v21
	ds_store_b32 v25, v39
	ds_store_b32 v26, v48
	;; [unrolled: 1-line block ×5, first 2 shown]
	s_wait_dscnt 0x0
	s_barrier_signal -1
	s_barrier_wait -1
	ds_load_b32 v20, v20
	s_wait_dscnt 0x0
                                        ; implicit-def: $vgpr39
	v_add_nc_u32_e32 v0, v20, v0
                                        ; implicit-def: $vgpr20_vgpr21
	s_delay_alu instid0(VALU_DEP_1)
	v_lshl_add_u64 v[22:23], v[0:1], 1, v[12:13]
	v_cmpx_lt_u32_e64 v10, v11
	s_cbranch_execz .LBB1009_368
; %bb.378:                              ;   in Loop: Header=BB1009_369 Depth=1
	s_delay_alu instid0(VALU_DEP_2)
	v_mad_nc_u64_u32 v[20:21], v0, 6, v[22:23]
	s_barrier_signal -1
	s_barrier_wait -1
	ds_store_b16 v22, v38
	s_wait_dscnt 0x0
	s_barrier_signal -1
	s_barrier_wait -1
	ds_load_u16 v39, v34
	s_wait_dscnt 0x0
	s_barrier_signal -1
	s_barrier_wait -1
	ds_store_b64 v20, v[16:17]
	s_wait_dscnt 0x0
	s_barrier_signal -1
	s_barrier_wait -1
	ds_load_b64 v[20:21], v36
	v_add_nc_u32_e32 v37, -8, v37
	s_xor_b32 s14, exec_lo, -1
	s_wait_dscnt 0x0
	s_barrier_signal -1
	s_barrier_wait -1
	s_branch .LBB1009_368
.LBB1009_379:
	s_or_b32 exec_lo, exec_lo, s19
	v_mad_nc_u64_u32 v[0:1], v0, 6, v[22:23]
	v_lshl_add_u32 v5, v18, 1, v12
	v_mul_u32_u24_e32 v1, 6, v18
	s_barrier_signal -1
	s_barrier_wait -1
	ds_store_b16 v22, v38
	s_wait_dscnt 0x0
	s_barrier_signal -1
	s_barrier_wait -1
	ds_load_u16 v4, v5
	s_wait_dscnt 0x0
	s_barrier_signal -1
	s_barrier_wait -1
	ds_store_b64 v0, v[16:17]
	v_add_nc_u32_e32 v0, v5, v1
	s_wait_dscnt 0x0
	s_barrier_signal -1
	s_barrier_wait -1
	ds_load_b64 v[0:1], v0
	s_mov_b32 s0, exec_lo
	s_wait_dscnt 0x0
	s_barrier_signal -1
	s_barrier_wait -1
	s_set_vgpr_msb 4                        ;  msbs: dst=0 src0=0 src1=1 src2=0
	v_cmpx_lt_u32_e64 v14, v12 /*v268*/
	s_set_vgpr_msb 0                        ;  msbs: dst=0 src0=0 src1=0 src2=0
	s_cbranch_execz .LBB1009_381
; %bb.380:
	v_lshl_add_u64 v[2:3], v[8:9], 1, v[2:3]
	v_mov_b32_e32 v15, 0
	v_lshl_add_u64 v[6:7], v[8:9], 3, v[6:7]
	v_xor_b32_e32 v8, 0xffff8000, v4
	s_delay_alu instid0(VALU_DEP_3) | instskip(NEXT) | instid1(VALU_DEP_3)
	v_lshl_add_u64 v[2:3], v[14:15], 1, v[2:3]
	v_lshl_add_u64 v[4:5], v[14:15], 3, v[6:7]
	flat_store_b16 v[2:3], v8
	flat_store_b64 v[4:5], v[0:1]
.LBB1009_381:
	s_wait_xcnt 0x0
	s_or_b32 exec_lo, exec_lo, s0
.LBB1009_382:
	s_delay_alu instid0(SALU_CYCLE_1)
	s_or_b32 exec_lo, exec_lo, s20
	s_wait_dscnt 0x0
	s_set_pc_i64 s[30:31]
.Lfunc_end1009:
	.size	_ZN7rocprim17ROCPRIM_400000_NS6detail40segmented_radix_sort_single_block_helperIslLj256ELj17ELb0EE4sortIPKsPsPKlPlEEbT_T0_T1_T2_jjjjRNS3_12storage_typeE, .Lfunc_end1009-_ZN7rocprim17ROCPRIM_400000_NS6detail40segmented_radix_sort_single_block_helperIslLj256ELj17ELb0EE4sortIPKsPsPKlPlEEbT_T0_T1_T2_jjjjRNS3_12storage_typeE
                                        ; -- End function
	.set .L_ZN7rocprim17ROCPRIM_400000_NS6detail40segmented_radix_sort_single_block_helperIslLj256ELj17ELb0EE4sortIPKsPsPKlPlEEbT_T0_T1_T2_jjjjRNS3_12storage_typeE.num_vgpr, 304
	.set .L_ZN7rocprim17ROCPRIM_400000_NS6detail40segmented_radix_sort_single_block_helperIslLj256ELj17ELb0EE4sortIPKsPsPKlPlEEbT_T0_T1_T2_jjjjRNS3_12storage_typeE.num_agpr, 0
	.set .L_ZN7rocprim17ROCPRIM_400000_NS6detail40segmented_radix_sort_single_block_helperIslLj256ELj17ELb0EE4sortIPKsPsPKlPlEEbT_T0_T1_T2_jjjjRNS3_12storage_typeE.numbered_sgpr, 32
	.set .L_ZN7rocprim17ROCPRIM_400000_NS6detail40segmented_radix_sort_single_block_helperIslLj256ELj17ELb0EE4sortIPKsPsPKlPlEEbT_T0_T1_T2_jjjjRNS3_12storage_typeE.num_named_barrier, 0
	.set .L_ZN7rocprim17ROCPRIM_400000_NS6detail40segmented_radix_sort_single_block_helperIslLj256ELj17ELb0EE4sortIPKsPsPKlPlEEbT_T0_T1_T2_jjjjRNS3_12storage_typeE.private_seg_size, 0
	.set .L_ZN7rocprim17ROCPRIM_400000_NS6detail40segmented_radix_sort_single_block_helperIslLj256ELj17ELb0EE4sortIPKsPsPKlPlEEbT_T0_T1_T2_jjjjRNS3_12storage_typeE.uses_vcc, 1
	.set .L_ZN7rocprim17ROCPRIM_400000_NS6detail40segmented_radix_sort_single_block_helperIslLj256ELj17ELb0EE4sortIPKsPsPKlPlEEbT_T0_T1_T2_jjjjRNS3_12storage_typeE.uses_flat_scratch, 0
	.set .L_ZN7rocprim17ROCPRIM_400000_NS6detail40segmented_radix_sort_single_block_helperIslLj256ELj17ELb0EE4sortIPKsPsPKlPlEEbT_T0_T1_T2_jjjjRNS3_12storage_typeE.has_dyn_sized_stack, 0
	.set .L_ZN7rocprim17ROCPRIM_400000_NS6detail40segmented_radix_sort_single_block_helperIslLj256ELj17ELb0EE4sortIPKsPsPKlPlEEbT_T0_T1_T2_jjjjRNS3_12storage_typeE.has_recursion, 0
	.set .L_ZN7rocprim17ROCPRIM_400000_NS6detail40segmented_radix_sort_single_block_helperIslLj256ELj17ELb0EE4sortIPKsPsPKlPlEEbT_T0_T1_T2_jjjjRNS3_12storage_typeE.has_indirect_call, 0
	.section	.AMDGPU.csdata,"",@progbits
; Function info:
; codeLenInByte = 31724
; TotalNumSgprs: 34
; NumVgprs: 304
; ScratchSize: 0
; MemoryBound: 1
	.section	.text._ZN7rocprim17ROCPRIM_400000_NS6detail17trampoline_kernelINS0_14default_configENS1_36segmented_radix_sort_config_selectorIslEEZNS1_25segmented_radix_sort_implIS3_Lb0EPKsPsPKlPlN2at6native12_GLOBAL__N_18offset_tEEE10hipError_tPvRmT1_PNSt15iterator_traitsISK_E10value_typeET2_T3_PNSL_ISQ_E10value_typeET4_jRbjT5_SW_jjP12ihipStream_tbEUlT_E_NS1_11comp_targetILNS1_3genE0ELNS1_11target_archE4294967295ELNS1_3gpuE0ELNS1_3repE0EEENS1_30default_config_static_selectorELNS0_4arch9wavefront6targetE0EEEvSK_,"axG",@progbits,_ZN7rocprim17ROCPRIM_400000_NS6detail17trampoline_kernelINS0_14default_configENS1_36segmented_radix_sort_config_selectorIslEEZNS1_25segmented_radix_sort_implIS3_Lb0EPKsPsPKlPlN2at6native12_GLOBAL__N_18offset_tEEE10hipError_tPvRmT1_PNSt15iterator_traitsISK_E10value_typeET2_T3_PNSL_ISQ_E10value_typeET4_jRbjT5_SW_jjP12ihipStream_tbEUlT_E_NS1_11comp_targetILNS1_3genE0ELNS1_11target_archE4294967295ELNS1_3gpuE0ELNS1_3repE0EEENS1_30default_config_static_selectorELNS0_4arch9wavefront6targetE0EEEvSK_,comdat
	.globl	_ZN7rocprim17ROCPRIM_400000_NS6detail17trampoline_kernelINS0_14default_configENS1_36segmented_radix_sort_config_selectorIslEEZNS1_25segmented_radix_sort_implIS3_Lb0EPKsPsPKlPlN2at6native12_GLOBAL__N_18offset_tEEE10hipError_tPvRmT1_PNSt15iterator_traitsISK_E10value_typeET2_T3_PNSL_ISQ_E10value_typeET4_jRbjT5_SW_jjP12ihipStream_tbEUlT_E_NS1_11comp_targetILNS1_3genE0ELNS1_11target_archE4294967295ELNS1_3gpuE0ELNS1_3repE0EEENS1_30default_config_static_selectorELNS0_4arch9wavefront6targetE0EEEvSK_ ; -- Begin function _ZN7rocprim17ROCPRIM_400000_NS6detail17trampoline_kernelINS0_14default_configENS1_36segmented_radix_sort_config_selectorIslEEZNS1_25segmented_radix_sort_implIS3_Lb0EPKsPsPKlPlN2at6native12_GLOBAL__N_18offset_tEEE10hipError_tPvRmT1_PNSt15iterator_traitsISK_E10value_typeET2_T3_PNSL_ISQ_E10value_typeET4_jRbjT5_SW_jjP12ihipStream_tbEUlT_E_NS1_11comp_targetILNS1_3genE0ELNS1_11target_archE4294967295ELNS1_3gpuE0ELNS1_3repE0EEENS1_30default_config_static_selectorELNS0_4arch9wavefront6targetE0EEEvSK_
	.p2align	8
	.type	_ZN7rocprim17ROCPRIM_400000_NS6detail17trampoline_kernelINS0_14default_configENS1_36segmented_radix_sort_config_selectorIslEEZNS1_25segmented_radix_sort_implIS3_Lb0EPKsPsPKlPlN2at6native12_GLOBAL__N_18offset_tEEE10hipError_tPvRmT1_PNSt15iterator_traitsISK_E10value_typeET2_T3_PNSL_ISQ_E10value_typeET4_jRbjT5_SW_jjP12ihipStream_tbEUlT_E_NS1_11comp_targetILNS1_3genE0ELNS1_11target_archE4294967295ELNS1_3gpuE0ELNS1_3repE0EEENS1_30default_config_static_selectorELNS0_4arch9wavefront6targetE0EEEvSK_,@function
_ZN7rocprim17ROCPRIM_400000_NS6detail17trampoline_kernelINS0_14default_configENS1_36segmented_radix_sort_config_selectorIslEEZNS1_25segmented_radix_sort_implIS3_Lb0EPKsPsPKlPlN2at6native12_GLOBAL__N_18offset_tEEE10hipError_tPvRmT1_PNSt15iterator_traitsISK_E10value_typeET2_T3_PNSL_ISQ_E10value_typeET4_jRbjT5_SW_jjP12ihipStream_tbEUlT_E_NS1_11comp_targetILNS1_3genE0ELNS1_11target_archE4294967295ELNS1_3gpuE0ELNS1_3repE0EEENS1_30default_config_static_selectorELNS0_4arch9wavefront6targetE0EEEvSK_: ; @_ZN7rocprim17ROCPRIM_400000_NS6detail17trampoline_kernelINS0_14default_configENS1_36segmented_radix_sort_config_selectorIslEEZNS1_25segmented_radix_sort_implIS3_Lb0EPKsPsPKlPlN2at6native12_GLOBAL__N_18offset_tEEE10hipError_tPvRmT1_PNSt15iterator_traitsISK_E10value_typeET2_T3_PNSL_ISQ_E10value_typeET4_jRbjT5_SW_jjP12ihipStream_tbEUlT_E_NS1_11comp_targetILNS1_3genE0ELNS1_11target_archE4294967295ELNS1_3gpuE0ELNS1_3repE0EEENS1_30default_config_static_selectorELNS0_4arch9wavefront6targetE0EEEvSK_
; %bb.0:
	s_load_b64 s[8:9], s[2:3], 0x38
	s_bfe_u32 s4, ttmp6, 0x4000c
	s_and_b32 s5, ttmp6, 15
	s_add_co_i32 s4, s4, 1
	s_getreg_b32 s25, hwreg(HW_REG_IB_STS2, 6, 4)
	s_mul_i32 s4, ttmp9, s4
	s_mov_b32 s32, 0
	s_add_co_i32 s5, s5, s4
	s_cmp_eq_u32 s25, 0
	s_cselect_b32 s51, ttmp9, s5
	s_load_b128 s[4:7], s[2:3], 0x40
	s_wait_kmcnt 0x0
	s_load_b32 s10, s[8:9], s51 offset:0x0 scale_offset
	s_wait_kmcnt 0x0
	s_add_co_i32 s54, s10, s7
	s_add_co_i32 s55, s10, s5
	s_mul_i32 s54, s54, s6
	s_mul_i32 s55, s55, s4
	s_delay_alu instid0(SALU_CYCLE_1)
	s_cmp_le_u32 s54, s55
	s_cbranch_scc1 .LBB1010_1254
; %bb.1:
	s_clause 0x3
	s_load_b32 s4, s[2:3], 0x30
	s_load_b128 s[44:47], s[2:3], 0x20
	s_load_b96 s[48:50], s[2:3], 0x50
	s_load_b256 s[36:43], s[2:3], 0x0
	s_wait_kmcnt 0x0
	s_bitcmp1_b32 s4, 0
	s_mov_b32 s4, -1
	s_cselect_b32 s56, -1, 0
	s_sub_co_i32 s57, s54, s55
	s_delay_alu instid0(SALU_CYCLE_1)
	s_cmp_lt_u32 s57, 0x1101
	s_cbranch_scc0 .LBB1010_7
; %bb.2:
	v_cndmask_b32_e64 v1, 0, 1, s56
	s_and_b32 s4, s48, 1
	s_get_pc_i64 s[26:27]
	s_add_nc_u64 s[26:27], s[26:27], _ZN7rocprim17ROCPRIM_400000_NS6detail40segmented_radix_sort_single_block_helperIslLj256ELj17ELb0EE4sortIPKsPsPKlPlEEbT_T0_T1_T2_jjjjRNS3_12storage_typeE@rel64+4
	s_delay_alu instid0(VALU_DEP_1)
	v_cmp_ne_u32_e32 vcc_lo, s4, v1
	s_mov_b32 s4, -1
	s_cbranch_vccnz .LBB1010_4
; %bb.3:
	s_mov_b64 s[4:5], src_shared_base
	v_dual_mov_b32 v31, v0 :: v_dual_mov_b32 v40, v0
	v_dual_mov_b32 v0, s36 :: v_dual_mov_b32 v1, s37
	;; [unrolled: 1-line block ×8, first 2 shown]
	s_add_nc_u64 s[8:9], s[2:3], 0x60
	s_mov_b64 s[6:7], s[0:1]
	s_mov_b64 s[28:29], s[2:3]
	;; [unrolled: 1-line block ×3, first 2 shown]
	s_swap_pc_i64 s[30:31], s[26:27]
	v_mov_b32_e32 v0, v40
	s_mov_b64 s[0:1], s[34:35]
	s_mov_b64 s[2:3], s[28:29]
	s_mov_b32 s4, 0
.LBB1010_4:
	s_delay_alu instid0(SALU_CYCLE_1)
	s_and_not1_b32 vcc_lo, exec_lo, s4
	s_cbranch_vccnz .LBB1010_6
; %bb.5:
	s_mov_b64 s[4:5], src_shared_base
	v_dual_mov_b32 v31, v0 :: v_dual_mov_b32 v40, v0
	v_dual_mov_b32 v0, s36 :: v_dual_mov_b32 v1, s37
	;; [unrolled: 1-line block ×8, first 2 shown]
	s_add_nc_u64 s[8:9], s[2:3], 0x60
	s_mov_b64 s[6:7], s[0:1]
	s_mov_b64 s[28:29], s[2:3]
	s_swap_pc_i64 s[30:31], s[26:27]
	v_mov_b32_e32 v0, v40
	s_mov_b64 s[2:3], s[28:29]
.LBB1010_6:
	s_mov_b32 s4, 0
.LBB1010_7:
	s_delay_alu instid0(SALU_CYCLE_1)
	s_and_not1_b32 vcc_lo, exec_lo, s4
	s_cbranch_vccnz .LBB1010_1254
; %bb.8:
	s_cmp_ge_u32 s49, s50
	s_cbranch_scc1 .LBB1010_1254
; %bb.9:
	v_and_b32_e32 v2, 0x3ff, v0
	v_and_b32_e32 v8, 0xe0, v0
	v_dual_mov_b32 v5, 0 :: v_dual_bitop2_b32 v1, 3, v0 bitop3:0x40
	v_bfe_u32 v88, v0, 20, 10
	s_delay_alu instid0(VALU_DEP_4) | instskip(NEXT) | instid1(VALU_DEP_4)
	v_dual_lshlrev_b32 v3, 2, v2 :: v_dual_lshlrev_b32 v4, 1, v2
	v_min_u32_e32 v9, 0x60, v8
	v_lshrrev_b32_e32 v10, 3, v0
	v_mul_u32_u24_e32 v22, 17, v8
	s_delay_alu instid0(VALU_DEP_4) | instskip(SKIP_3) | instid1(VALU_DEP_4)
	v_mad_u32_u24 v84, v2, 12, v3
	v_lshlrev_b32_e32 v83, 2, v1
	v_or_b32_e32 v9, 31, v9
	v_and_b32_e32 v82, 28, v10
	v_dual_add_nc_u32 v89, v84, v3 :: v_dual_bitop2_b32 v1, 31, v8 bitop3:0x54
	v_lshlrev_b32_e32 v8, 4, v2
	v_bfe_u32 v90, v0, 10, 10
	v_add_nc_u32_e32 v0, 1, v2
	v_mbcnt_lo_u32_b32 v96, -1, 0
	s_bfe_u32 s6, ttmp6, 0x40010
	v_dual_sub_nc_u32 v91, v89, v8 :: v_dual_lshlrev_b32 v18, 3, v22
	v_dual_mov_b32 v19, v5 :: v_dual_add_nc_u32 v86, 0x8a00, v3
	v_dual_mov_b32 v21, v5 :: v_dual_lshlrev_b32 v20, 1, v22
	s_add_co_i32 s6, s6, 1
	s_delay_alu instid0(VALU_DEP_3)
	v_lshl_add_u32 v92, v2, 5, v91
	v_dual_lshlrev_b32 v22, 1, v96 :: v_dual_bitop2_b32 v102, v96, v22 bitop3:0x54
	s_mul_i32 s6, ttmp7, s6
	s_bfe_u32 s7, ttmp6, 0x40004
	v_add_nc_u64_e32 v[6:7], s[40:41], v[4:5]
	v_cmp_eq_u32_e64 s1, v2, v9
	s_add_nc_u64 s[52:53], s[2:3], 0x60
	s_add_co_i32 s9, s7, s6
	v_cmp_eq_u32_e64 s2, v2, v1
	v_mul_u32_u24_e32 v93, 36, v0
	v_cmp_ne_u32_e64 s7, 0x80, v0
	v_add_nc_u64_e32 v[0:1], s[46:47], v[18:19]
	v_add_nc_u64_e32 v[8:9], s[40:41], v[20:21]
	;; [unrolled: 1-line block ×8, first 2 shown]
	v_or_b32_e32 v66, 0x100, v2
	v_or_b32_e32 v67, 0x200, v2
	;; [unrolled: 1-line block ×16, first 2 shown]
	v_cmp_gt_u32_e64 s0, 0x80, v2
	v_or_b32_e32 v85, 0x8a00, v82
	v_cmp_gt_u32_e64 s4, 4, v2
	v_cmp_lt_u32_e64 s5, 31, v2
	v_add_nc_u32_e32 v87, 0x89fc, v82
	v_cmp_gt_u32_e64 s3, 8, v2
	v_cmp_eq_u32_e64 s6, 0, v2
	v_mad_i32_i24 v94, 0xffffffde, v2, v92
	v_mul_u32_u24_e32 v95, 6, v2
	v_dual_mov_b32 v97, 1 :: v_dual_bitop2_b32 v98, 15, v96 bitop3:0x40
	v_bfe_i32 v99, v96, 4, 1
	v_dual_lshlrev_b32 v4, 3, v96 :: v_dual_bitop2_b32 v100, 16, v96 bitop3:0x40
	v_dual_add_nc_u32 v105, 32, v102 :: v_dual_bitop2_b32 v101, 3, v96 bitop3:0x40
	v_sub_co_u32 v103, s8, v96, 1
	v_dual_add_nc_u32 v106, 64, v102 :: v_dual_bitop2_b32 v104, 7, v96 bitop3:0x40
	v_add_nc_u32_e32 v107, 0x60, v102
	v_add_nc_u32_e32 v108, 0x80, v102
	;; [unrolled: 1-line block ×14, first 2 shown]
	s_cmp_eq_u32 s25, 0
	s_mov_b32 s35, 0
	s_cselect_b32 s42, ttmp7, s9
	s_mov_b32 s43, s49
	s_branch .LBB1010_12
.LBB1010_10:                            ;   in Loop: Header=BB1010_12 Depth=1
	s_wait_dscnt 0x0
	s_barrier_signal -1
	s_barrier_wait -1
.LBB1010_11:                            ;   in Loop: Header=BB1010_12 Depth=1
	s_add_co_i32 s43, s43, 7
	s_delay_alu instid0(SALU_CYCLE_1)
	s_cmp_ge_u32 s43, s50
	s_cbranch_scc1 .LBB1010_1254
.LBB1010_12:                            ; =>This Loop Header: Depth=1
                                        ;     Child Loop BB1010_16 Depth 2
                                        ;     Child Loop BB1010_100 Depth 2
	;; [unrolled: 1-line block ×8, first 2 shown]
	s_sub_co_i32 s9, s50, s43
	s_xor_b32 s56, s56, -1
	s_min_u32 s9, s9, 7
	ds_store_2addr_stride64_b32 v3, v5, v5 offset1:4
	s_lshl_b32 s9, -1, s9
	s_wait_storecnt_dscnt 0x0
	s_not_b32 s48, s9
	s_cmp_lg_u32 s43, s49
	s_mov_b32 s9, -1
	s_cbranch_scc0 .LBB1010_634
; %bb.13:                               ;   in Loop: Header=BB1010_12 Depth=1
	s_and_b32 vcc_lo, exec_lo, s56
	s_cbranch_vccz .LBB1010_323
; %bb.14:                               ;   in Loop: Header=BB1010_12 Depth=1
	s_mov_b32 s9, s57
	s_mov_b32 s34, s55
	s_barrier_signal -1
	s_barrier_wait -1
                                        ; implicit-def: $vgpr23
                                        ; implicit-def: $vgpr24
                                        ; implicit-def: $vgpr25
                                        ; implicit-def: $vgpr26
                                        ; implicit-def: $vgpr27
                                        ; implicit-def: $vgpr28
                                        ; implicit-def: $vgpr29
                                        ; implicit-def: $vgpr30
                                        ; implicit-def: $vgpr31
                                        ; implicit-def: $vgpr32
                                        ; implicit-def: $vgpr33
                                        ; implicit-def: $vgpr34
                                        ; implicit-def: $vgpr35
                                        ; implicit-def: $vgpr36
                                        ; implicit-def: $vgpr37
                                        ; implicit-def: $vgpr38
                                        ; implicit-def: $vgpr39
	s_branch .LBB1010_16
.LBB1010_15:                            ;   in Loop: Header=BB1010_16 Depth=2
	s_or_b32 exec_lo, exec_lo, s10
	s_addk_co_i32 s9, 0xef00
	s_cmp_ge_u32 s12, s54
	s_mov_b32 s34, s12
	s_cbranch_scc1 .LBB1010_88
.LBB1010_16:                            ;   Parent Loop BB1010_12 Depth=1
                                        ; =>  This Inner Loop Header: Depth=2
	s_add_co_i32 s12, s34, 0x1100
	s_mov_b32 s10, -1
	s_cmp_gt_u32 s12, s54
                                        ; implicit-def: $vgpr40
                                        ; implicit-def: $vgpr41
                                        ; implicit-def: $vgpr42
                                        ; implicit-def: $vgpr43
                                        ; implicit-def: $vgpr44
                                        ; implicit-def: $vgpr45
                                        ; implicit-def: $vgpr46
                                        ; implicit-def: $vgpr47
                                        ; implicit-def: $vgpr48
                                        ; implicit-def: $vgpr49
                                        ; implicit-def: $vgpr50
                                        ; implicit-def: $vgpr51
                                        ; implicit-def: $vgpr52
                                        ; implicit-def: $vgpr53
                                        ; implicit-def: $vgpr54
                                        ; implicit-def: $vgpr55
                                        ; implicit-def: $vgpr56
	s_cbranch_scc1 .LBB1010_18
; %bb.17:                               ;   in Loop: Header=BB1010_16 Depth=2
	v_lshl_add_u64 v[58:59], s[34:35], 1, v[6:7]
	s_mov_b32 s10, 0
	s_clause 0x10
	global_load_u16 v40, v[58:59], off
	global_load_u16 v41, v[58:59], off offset:512
	global_load_u16 v42, v[58:59], off offset:1024
	;; [unrolled: 1-line block ×16, first 2 shown]
.LBB1010_18:                            ;   in Loop: Header=BB1010_16 Depth=2
	s_and_not1_b32 vcc_lo, exec_lo, s10
	s_movk_i32 s10, 0x1100
	s_cbranch_vccnz .LBB1010_38
; %bb.19:                               ;   in Loop: Header=BB1010_16 Depth=2
	s_lshl_b64 s[10:11], s[34:35], 1
	s_mov_b32 s13, exec_lo
	s_add_nc_u64 s[10:11], s[40:41], s[10:11]
	s_wait_xcnt 0x0
	v_cmpx_gt_u32_e64 s9, v2
	s_cbranch_execnz .LBB1010_72
; %bb.20:                               ;   in Loop: Header=BB1010_16 Depth=2
	s_or_b32 exec_lo, exec_lo, s13
	s_delay_alu instid0(SALU_CYCLE_1)
	s_mov_b32 s13, exec_lo
	v_cmpx_gt_u32_e64 s9, v66
	s_cbranch_execnz .LBB1010_73
.LBB1010_21:                            ;   in Loop: Header=BB1010_16 Depth=2
	s_or_b32 exec_lo, exec_lo, s13
	s_delay_alu instid0(SALU_CYCLE_1)
	s_mov_b32 s13, exec_lo
	v_cmpx_gt_u32_e64 s9, v67
	s_cbranch_execnz .LBB1010_74
.LBB1010_22:                            ;   in Loop: Header=BB1010_16 Depth=2
	s_or_b32 exec_lo, exec_lo, s13
	s_delay_alu instid0(SALU_CYCLE_1)
	s_mov_b32 s13, exec_lo
	v_cmpx_gt_u32_e64 s9, v68
	s_cbranch_execnz .LBB1010_75
.LBB1010_23:                            ;   in Loop: Header=BB1010_16 Depth=2
	s_or_b32 exec_lo, exec_lo, s13
	s_delay_alu instid0(SALU_CYCLE_1)
	s_mov_b32 s13, exec_lo
	v_cmpx_gt_u32_e64 s9, v69
	s_cbranch_execnz .LBB1010_76
.LBB1010_24:                            ;   in Loop: Header=BB1010_16 Depth=2
	s_or_b32 exec_lo, exec_lo, s13
	s_delay_alu instid0(SALU_CYCLE_1)
	s_mov_b32 s13, exec_lo
	v_cmpx_gt_u32_e64 s9, v70
	s_cbranch_execnz .LBB1010_77
.LBB1010_25:                            ;   in Loop: Header=BB1010_16 Depth=2
	s_or_b32 exec_lo, exec_lo, s13
	s_delay_alu instid0(SALU_CYCLE_1)
	s_mov_b32 s13, exec_lo
	v_cmpx_gt_u32_e64 s9, v71
	s_cbranch_execnz .LBB1010_78
.LBB1010_26:                            ;   in Loop: Header=BB1010_16 Depth=2
	s_or_b32 exec_lo, exec_lo, s13
	s_delay_alu instid0(SALU_CYCLE_1)
	s_mov_b32 s13, exec_lo
	v_cmpx_gt_u32_e64 s9, v72
	s_cbranch_execnz .LBB1010_79
.LBB1010_27:                            ;   in Loop: Header=BB1010_16 Depth=2
	s_or_b32 exec_lo, exec_lo, s13
	s_delay_alu instid0(SALU_CYCLE_1)
	s_mov_b32 s13, exec_lo
	v_cmpx_gt_u32_e64 s9, v73
	s_cbranch_execnz .LBB1010_80
.LBB1010_28:                            ;   in Loop: Header=BB1010_16 Depth=2
	s_or_b32 exec_lo, exec_lo, s13
	s_delay_alu instid0(SALU_CYCLE_1)
	s_mov_b32 s13, exec_lo
	v_cmpx_gt_u32_e64 s9, v74
	s_cbranch_execnz .LBB1010_81
.LBB1010_29:                            ;   in Loop: Header=BB1010_16 Depth=2
	s_or_b32 exec_lo, exec_lo, s13
	s_delay_alu instid0(SALU_CYCLE_1)
	s_mov_b32 s13, exec_lo
	v_cmpx_gt_u32_e64 s9, v75
	s_cbranch_execnz .LBB1010_82
.LBB1010_30:                            ;   in Loop: Header=BB1010_16 Depth=2
	s_or_b32 exec_lo, exec_lo, s13
	s_delay_alu instid0(SALU_CYCLE_1)
	s_mov_b32 s13, exec_lo
	v_cmpx_gt_u32_e64 s9, v76
	s_cbranch_execnz .LBB1010_83
.LBB1010_31:                            ;   in Loop: Header=BB1010_16 Depth=2
	s_or_b32 exec_lo, exec_lo, s13
	s_delay_alu instid0(SALU_CYCLE_1)
	s_mov_b32 s13, exec_lo
	v_cmpx_gt_u32_e64 s9, v77
	s_cbranch_execnz .LBB1010_84
.LBB1010_32:                            ;   in Loop: Header=BB1010_16 Depth=2
	s_or_b32 exec_lo, exec_lo, s13
	s_delay_alu instid0(SALU_CYCLE_1)
	s_mov_b32 s13, exec_lo
	v_cmpx_gt_u32_e64 s9, v78
	s_cbranch_execnz .LBB1010_85
.LBB1010_33:                            ;   in Loop: Header=BB1010_16 Depth=2
	s_or_b32 exec_lo, exec_lo, s13
	s_delay_alu instid0(SALU_CYCLE_1)
	s_mov_b32 s13, exec_lo
	v_cmpx_gt_u32_e64 s9, v79
	s_cbranch_execnz .LBB1010_86
.LBB1010_34:                            ;   in Loop: Header=BB1010_16 Depth=2
	s_or_b32 exec_lo, exec_lo, s13
	s_delay_alu instid0(SALU_CYCLE_1)
	s_mov_b32 s13, exec_lo
	v_cmpx_gt_u32_e64 s9, v80
	s_cbranch_execnz .LBB1010_87
.LBB1010_35:                            ;   in Loop: Header=BB1010_16 Depth=2
	s_or_b32 exec_lo, exec_lo, s13
	s_delay_alu instid0(SALU_CYCLE_1)
	s_mov_b32 s13, exec_lo
	v_cmpx_gt_u32_e64 s9, v81
	s_cbranch_execz .LBB1010_37
.LBB1010_36:                            ;   in Loop: Header=BB1010_16 Depth=2
	global_load_u16 v23, v2, s[10:11] offset:8192 scale_offset
.LBB1010_37:                            ;   in Loop: Header=BB1010_16 Depth=2
	s_wait_xcnt 0x0
	s_or_b32 exec_lo, exec_lo, s13
	s_wait_loadcnt 0x0
	v_dual_mov_b32 v40, v39 :: v_dual_mov_b32 v41, v38
	v_dual_mov_b32 v42, v37 :: v_dual_mov_b32 v43, v36
	;; [unrolled: 1-line block ×8, first 2 shown]
	v_mov_b32_e32 v56, v23
	s_mov_b32 s10, s9
.LBB1010_38:                            ;   in Loop: Header=BB1010_16 Depth=2
	s_wait_loadcnt 0x0
	s_delay_alu instid0(VALU_DEP_1)
	v_dual_mov_b32 v23, v56 :: v_dual_mov_b32 v24, v55
	v_dual_mov_b32 v25, v54 :: v_dual_mov_b32 v26, v53
	;; [unrolled: 1-line block ×8, first 2 shown]
	v_mov_b32_e32 v39, v40
	s_mov_b32 s11, exec_lo
	s_wait_xcnt 0x0
	v_cmpx_gt_u32_e64 s10, v2
	s_cbranch_execnz .LBB1010_55
; %bb.39:                               ;   in Loop: Header=BB1010_16 Depth=2
	s_or_b32 exec_lo, exec_lo, s11
	s_delay_alu instid0(SALU_CYCLE_1)
	s_mov_b32 s11, exec_lo
	v_cmpx_gt_u32_e64 s10, v66
	s_cbranch_execnz .LBB1010_56
.LBB1010_40:                            ;   in Loop: Header=BB1010_16 Depth=2
	s_or_b32 exec_lo, exec_lo, s11
	s_delay_alu instid0(SALU_CYCLE_1)
	s_mov_b32 s11, exec_lo
	v_cmpx_gt_u32_e64 s10, v67
	s_cbranch_execnz .LBB1010_57
.LBB1010_41:                            ;   in Loop: Header=BB1010_16 Depth=2
	s_or_b32 exec_lo, exec_lo, s11
	s_delay_alu instid0(SALU_CYCLE_1)
	s_mov_b32 s11, exec_lo
	v_cmpx_gt_u32_e64 s10, v68
	s_cbranch_execnz .LBB1010_58
.LBB1010_42:                            ;   in Loop: Header=BB1010_16 Depth=2
	s_or_b32 exec_lo, exec_lo, s11
	s_delay_alu instid0(SALU_CYCLE_1)
	s_mov_b32 s11, exec_lo
	v_cmpx_gt_u32_e64 s10, v69
	s_cbranch_execnz .LBB1010_59
.LBB1010_43:                            ;   in Loop: Header=BB1010_16 Depth=2
	s_or_b32 exec_lo, exec_lo, s11
	s_delay_alu instid0(SALU_CYCLE_1)
	s_mov_b32 s11, exec_lo
	v_cmpx_gt_u32_e64 s10, v70
	s_cbranch_execnz .LBB1010_60
.LBB1010_44:                            ;   in Loop: Header=BB1010_16 Depth=2
	s_or_b32 exec_lo, exec_lo, s11
	s_delay_alu instid0(SALU_CYCLE_1)
	s_mov_b32 s11, exec_lo
	v_cmpx_gt_u32_e64 s10, v71
	s_cbranch_execnz .LBB1010_61
.LBB1010_45:                            ;   in Loop: Header=BB1010_16 Depth=2
	s_or_b32 exec_lo, exec_lo, s11
	s_delay_alu instid0(SALU_CYCLE_1)
	s_mov_b32 s11, exec_lo
	v_cmpx_gt_u32_e64 s10, v72
	s_cbranch_execnz .LBB1010_62
.LBB1010_46:                            ;   in Loop: Header=BB1010_16 Depth=2
	s_or_b32 exec_lo, exec_lo, s11
	s_delay_alu instid0(SALU_CYCLE_1)
	s_mov_b32 s11, exec_lo
	v_cmpx_gt_u32_e64 s10, v73
	s_cbranch_execnz .LBB1010_63
.LBB1010_47:                            ;   in Loop: Header=BB1010_16 Depth=2
	s_or_b32 exec_lo, exec_lo, s11
	s_delay_alu instid0(SALU_CYCLE_1)
	s_mov_b32 s11, exec_lo
	v_cmpx_gt_u32_e64 s10, v74
	s_cbranch_execnz .LBB1010_64
.LBB1010_48:                            ;   in Loop: Header=BB1010_16 Depth=2
	s_or_b32 exec_lo, exec_lo, s11
	s_delay_alu instid0(SALU_CYCLE_1)
	s_mov_b32 s11, exec_lo
	v_cmpx_gt_u32_e64 s10, v75
	s_cbranch_execnz .LBB1010_65
.LBB1010_49:                            ;   in Loop: Header=BB1010_16 Depth=2
	s_or_b32 exec_lo, exec_lo, s11
	s_delay_alu instid0(SALU_CYCLE_1)
	s_mov_b32 s11, exec_lo
	v_cmpx_gt_u32_e64 s10, v76
	s_cbranch_execnz .LBB1010_66
.LBB1010_50:                            ;   in Loop: Header=BB1010_16 Depth=2
	s_or_b32 exec_lo, exec_lo, s11
	s_delay_alu instid0(SALU_CYCLE_1)
	s_mov_b32 s11, exec_lo
	v_cmpx_gt_u32_e64 s10, v77
	s_cbranch_execnz .LBB1010_67
.LBB1010_51:                            ;   in Loop: Header=BB1010_16 Depth=2
	s_or_b32 exec_lo, exec_lo, s11
	s_delay_alu instid0(SALU_CYCLE_1)
	s_mov_b32 s11, exec_lo
	v_cmpx_gt_u32_e64 s10, v78
	s_cbranch_execnz .LBB1010_68
.LBB1010_52:                            ;   in Loop: Header=BB1010_16 Depth=2
	s_or_b32 exec_lo, exec_lo, s11
	s_delay_alu instid0(SALU_CYCLE_1)
	s_mov_b32 s11, exec_lo
	v_cmpx_gt_u32_e64 s10, v79
	s_cbranch_execnz .LBB1010_69
.LBB1010_53:                            ;   in Loop: Header=BB1010_16 Depth=2
	s_or_b32 exec_lo, exec_lo, s11
	s_delay_alu instid0(SALU_CYCLE_1)
	s_mov_b32 s11, exec_lo
	v_cmpx_gt_u32_e64 s10, v80
	s_cbranch_execnz .LBB1010_70
.LBB1010_54:                            ;   in Loop: Header=BB1010_16 Depth=2
	s_or_b32 exec_lo, exec_lo, s11
	v_cmp_gt_u32_e32 vcc_lo, s10, v81
	s_and_saveexec_b32 s10, vcc_lo
	s_cbranch_execz .LBB1010_15
	s_branch .LBB1010_71
.LBB1010_55:                            ;   in Loop: Header=BB1010_16 Depth=2
	v_xor_b32_e32 v40, 0xffff8000, v39
	s_delay_alu instid0(VALU_DEP_1) | instskip(NEXT) | instid1(VALU_DEP_1)
	v_and_b32_e32 v40, 0xffff, v40
	v_lshrrev_b32_e32 v40, s43, v40
	s_delay_alu instid0(VALU_DEP_1) | instskip(NEXT) | instid1(VALU_DEP_1)
	v_and_b32_e32 v40, s48, v40
	v_lshl_or_b32 v40, v40, 4, v83
	ds_add_u32 v40, v97
	s_or_b32 exec_lo, exec_lo, s11
	s_delay_alu instid0(SALU_CYCLE_1)
	s_mov_b32 s11, exec_lo
	v_cmpx_gt_u32_e64 s10, v66
	s_cbranch_execz .LBB1010_40
.LBB1010_56:                            ;   in Loop: Header=BB1010_16 Depth=2
	v_xor_b32_e32 v40, 0xffff8000, v38
	s_delay_alu instid0(VALU_DEP_1) | instskip(NEXT) | instid1(VALU_DEP_1)
	v_and_b32_e32 v40, 0xffff, v40
	v_lshrrev_b32_e32 v40, s43, v40
	s_delay_alu instid0(VALU_DEP_1) | instskip(NEXT) | instid1(VALU_DEP_1)
	v_and_b32_e32 v40, s48, v40
	v_lshl_or_b32 v40, v40, 4, v83
	ds_add_u32 v40, v97
	s_or_b32 exec_lo, exec_lo, s11
	s_delay_alu instid0(SALU_CYCLE_1)
	s_mov_b32 s11, exec_lo
	v_cmpx_gt_u32_e64 s10, v67
	s_cbranch_execz .LBB1010_41
.LBB1010_57:                            ;   in Loop: Header=BB1010_16 Depth=2
	v_xor_b32_e32 v40, 0xffff8000, v37
	s_delay_alu instid0(VALU_DEP_1) | instskip(NEXT) | instid1(VALU_DEP_1)
	v_and_b32_e32 v40, 0xffff, v40
	v_lshrrev_b32_e32 v40, s43, v40
	s_delay_alu instid0(VALU_DEP_1) | instskip(NEXT) | instid1(VALU_DEP_1)
	v_and_b32_e32 v40, s48, v40
	v_lshl_or_b32 v40, v40, 4, v83
	ds_add_u32 v40, v97
	s_or_b32 exec_lo, exec_lo, s11
	s_delay_alu instid0(SALU_CYCLE_1)
	s_mov_b32 s11, exec_lo
	v_cmpx_gt_u32_e64 s10, v68
	s_cbranch_execz .LBB1010_42
.LBB1010_58:                            ;   in Loop: Header=BB1010_16 Depth=2
	v_xor_b32_e32 v40, 0xffff8000, v36
	s_delay_alu instid0(VALU_DEP_1) | instskip(NEXT) | instid1(VALU_DEP_1)
	v_and_b32_e32 v40, 0xffff, v40
	v_lshrrev_b32_e32 v40, s43, v40
	s_delay_alu instid0(VALU_DEP_1) | instskip(NEXT) | instid1(VALU_DEP_1)
	v_and_b32_e32 v40, s48, v40
	v_lshl_or_b32 v40, v40, 4, v83
	ds_add_u32 v40, v97
	s_or_b32 exec_lo, exec_lo, s11
	s_delay_alu instid0(SALU_CYCLE_1)
	s_mov_b32 s11, exec_lo
	v_cmpx_gt_u32_e64 s10, v69
	s_cbranch_execz .LBB1010_43
.LBB1010_59:                            ;   in Loop: Header=BB1010_16 Depth=2
	v_xor_b32_e32 v40, 0xffff8000, v35
	s_delay_alu instid0(VALU_DEP_1) | instskip(NEXT) | instid1(VALU_DEP_1)
	v_and_b32_e32 v40, 0xffff, v40
	v_lshrrev_b32_e32 v40, s43, v40
	s_delay_alu instid0(VALU_DEP_1) | instskip(NEXT) | instid1(VALU_DEP_1)
	v_and_b32_e32 v40, s48, v40
	v_lshl_or_b32 v40, v40, 4, v83
	ds_add_u32 v40, v97
	s_or_b32 exec_lo, exec_lo, s11
	s_delay_alu instid0(SALU_CYCLE_1)
	s_mov_b32 s11, exec_lo
	v_cmpx_gt_u32_e64 s10, v70
	s_cbranch_execz .LBB1010_44
.LBB1010_60:                            ;   in Loop: Header=BB1010_16 Depth=2
	v_xor_b32_e32 v40, 0xffff8000, v34
	s_delay_alu instid0(VALU_DEP_1) | instskip(NEXT) | instid1(VALU_DEP_1)
	v_and_b32_e32 v40, 0xffff, v40
	v_lshrrev_b32_e32 v40, s43, v40
	s_delay_alu instid0(VALU_DEP_1) | instskip(NEXT) | instid1(VALU_DEP_1)
	v_and_b32_e32 v40, s48, v40
	v_lshl_or_b32 v40, v40, 4, v83
	ds_add_u32 v40, v97
	s_or_b32 exec_lo, exec_lo, s11
	s_delay_alu instid0(SALU_CYCLE_1)
	s_mov_b32 s11, exec_lo
	v_cmpx_gt_u32_e64 s10, v71
	s_cbranch_execz .LBB1010_45
.LBB1010_61:                            ;   in Loop: Header=BB1010_16 Depth=2
	v_xor_b32_e32 v40, 0xffff8000, v33
	s_delay_alu instid0(VALU_DEP_1) | instskip(NEXT) | instid1(VALU_DEP_1)
	v_and_b32_e32 v40, 0xffff, v40
	v_lshrrev_b32_e32 v40, s43, v40
	s_delay_alu instid0(VALU_DEP_1) | instskip(NEXT) | instid1(VALU_DEP_1)
	v_and_b32_e32 v40, s48, v40
	v_lshl_or_b32 v40, v40, 4, v83
	ds_add_u32 v40, v97
	s_or_b32 exec_lo, exec_lo, s11
	s_delay_alu instid0(SALU_CYCLE_1)
	s_mov_b32 s11, exec_lo
	v_cmpx_gt_u32_e64 s10, v72
	s_cbranch_execz .LBB1010_46
.LBB1010_62:                            ;   in Loop: Header=BB1010_16 Depth=2
	v_xor_b32_e32 v40, 0xffff8000, v32
	s_delay_alu instid0(VALU_DEP_1) | instskip(NEXT) | instid1(VALU_DEP_1)
	v_and_b32_e32 v40, 0xffff, v40
	v_lshrrev_b32_e32 v40, s43, v40
	s_delay_alu instid0(VALU_DEP_1) | instskip(NEXT) | instid1(VALU_DEP_1)
	v_and_b32_e32 v40, s48, v40
	v_lshl_or_b32 v40, v40, 4, v83
	ds_add_u32 v40, v97
	s_or_b32 exec_lo, exec_lo, s11
	s_delay_alu instid0(SALU_CYCLE_1)
	s_mov_b32 s11, exec_lo
	v_cmpx_gt_u32_e64 s10, v73
	s_cbranch_execz .LBB1010_47
.LBB1010_63:                            ;   in Loop: Header=BB1010_16 Depth=2
	v_xor_b32_e32 v40, 0xffff8000, v31
	s_delay_alu instid0(VALU_DEP_1) | instskip(NEXT) | instid1(VALU_DEP_1)
	v_and_b32_e32 v40, 0xffff, v40
	v_lshrrev_b32_e32 v40, s43, v40
	s_delay_alu instid0(VALU_DEP_1) | instskip(NEXT) | instid1(VALU_DEP_1)
	v_and_b32_e32 v40, s48, v40
	v_lshl_or_b32 v40, v40, 4, v83
	ds_add_u32 v40, v97
	s_or_b32 exec_lo, exec_lo, s11
	s_delay_alu instid0(SALU_CYCLE_1)
	s_mov_b32 s11, exec_lo
	v_cmpx_gt_u32_e64 s10, v74
	s_cbranch_execz .LBB1010_48
.LBB1010_64:                            ;   in Loop: Header=BB1010_16 Depth=2
	v_xor_b32_e32 v40, 0xffff8000, v30
	s_delay_alu instid0(VALU_DEP_1) | instskip(NEXT) | instid1(VALU_DEP_1)
	v_and_b32_e32 v40, 0xffff, v40
	v_lshrrev_b32_e32 v40, s43, v40
	s_delay_alu instid0(VALU_DEP_1) | instskip(NEXT) | instid1(VALU_DEP_1)
	v_and_b32_e32 v40, s48, v40
	v_lshl_or_b32 v40, v40, 4, v83
	ds_add_u32 v40, v97
	s_or_b32 exec_lo, exec_lo, s11
	s_delay_alu instid0(SALU_CYCLE_1)
	s_mov_b32 s11, exec_lo
	v_cmpx_gt_u32_e64 s10, v75
	s_cbranch_execz .LBB1010_49
.LBB1010_65:                            ;   in Loop: Header=BB1010_16 Depth=2
	v_xor_b32_e32 v40, 0xffff8000, v29
	s_delay_alu instid0(VALU_DEP_1) | instskip(NEXT) | instid1(VALU_DEP_1)
	v_and_b32_e32 v40, 0xffff, v40
	v_lshrrev_b32_e32 v40, s43, v40
	s_delay_alu instid0(VALU_DEP_1) | instskip(NEXT) | instid1(VALU_DEP_1)
	v_and_b32_e32 v40, s48, v40
	v_lshl_or_b32 v40, v40, 4, v83
	ds_add_u32 v40, v97
	s_or_b32 exec_lo, exec_lo, s11
	s_delay_alu instid0(SALU_CYCLE_1)
	s_mov_b32 s11, exec_lo
	v_cmpx_gt_u32_e64 s10, v76
	s_cbranch_execz .LBB1010_50
.LBB1010_66:                            ;   in Loop: Header=BB1010_16 Depth=2
	v_xor_b32_e32 v40, 0xffff8000, v28
	s_delay_alu instid0(VALU_DEP_1) | instskip(NEXT) | instid1(VALU_DEP_1)
	v_and_b32_e32 v40, 0xffff, v40
	v_lshrrev_b32_e32 v40, s43, v40
	s_delay_alu instid0(VALU_DEP_1) | instskip(NEXT) | instid1(VALU_DEP_1)
	v_and_b32_e32 v40, s48, v40
	v_lshl_or_b32 v40, v40, 4, v83
	ds_add_u32 v40, v97
	s_or_b32 exec_lo, exec_lo, s11
	s_delay_alu instid0(SALU_CYCLE_1)
	s_mov_b32 s11, exec_lo
	v_cmpx_gt_u32_e64 s10, v77
	s_cbranch_execz .LBB1010_51
.LBB1010_67:                            ;   in Loop: Header=BB1010_16 Depth=2
	v_xor_b32_e32 v40, 0xffff8000, v27
	s_delay_alu instid0(VALU_DEP_1) | instskip(NEXT) | instid1(VALU_DEP_1)
	v_and_b32_e32 v40, 0xffff, v40
	v_lshrrev_b32_e32 v40, s43, v40
	s_delay_alu instid0(VALU_DEP_1) | instskip(NEXT) | instid1(VALU_DEP_1)
	v_and_b32_e32 v40, s48, v40
	v_lshl_or_b32 v40, v40, 4, v83
	ds_add_u32 v40, v97
	s_or_b32 exec_lo, exec_lo, s11
	s_delay_alu instid0(SALU_CYCLE_1)
	s_mov_b32 s11, exec_lo
	v_cmpx_gt_u32_e64 s10, v78
	s_cbranch_execz .LBB1010_52
.LBB1010_68:                            ;   in Loop: Header=BB1010_16 Depth=2
	v_xor_b32_e32 v40, 0xffff8000, v26
	s_delay_alu instid0(VALU_DEP_1) | instskip(NEXT) | instid1(VALU_DEP_1)
	v_and_b32_e32 v40, 0xffff, v40
	v_lshrrev_b32_e32 v40, s43, v40
	s_delay_alu instid0(VALU_DEP_1) | instskip(NEXT) | instid1(VALU_DEP_1)
	v_and_b32_e32 v40, s48, v40
	v_lshl_or_b32 v40, v40, 4, v83
	ds_add_u32 v40, v97
	s_or_b32 exec_lo, exec_lo, s11
	s_delay_alu instid0(SALU_CYCLE_1)
	s_mov_b32 s11, exec_lo
	v_cmpx_gt_u32_e64 s10, v79
	s_cbranch_execz .LBB1010_53
.LBB1010_69:                            ;   in Loop: Header=BB1010_16 Depth=2
	v_xor_b32_e32 v40, 0xffff8000, v25
	s_delay_alu instid0(VALU_DEP_1) | instskip(NEXT) | instid1(VALU_DEP_1)
	v_and_b32_e32 v40, 0xffff, v40
	v_lshrrev_b32_e32 v40, s43, v40
	s_delay_alu instid0(VALU_DEP_1) | instskip(NEXT) | instid1(VALU_DEP_1)
	v_and_b32_e32 v40, s48, v40
	v_lshl_or_b32 v40, v40, 4, v83
	ds_add_u32 v40, v97
	s_or_b32 exec_lo, exec_lo, s11
	s_delay_alu instid0(SALU_CYCLE_1)
	s_mov_b32 s11, exec_lo
	v_cmpx_gt_u32_e64 s10, v80
	s_cbranch_execz .LBB1010_54
.LBB1010_70:                            ;   in Loop: Header=BB1010_16 Depth=2
	v_xor_b32_e32 v40, 0xffff8000, v24
	s_delay_alu instid0(VALU_DEP_1) | instskip(NEXT) | instid1(VALU_DEP_1)
	v_and_b32_e32 v40, 0xffff, v40
	v_lshrrev_b32_e32 v40, s43, v40
	s_delay_alu instid0(VALU_DEP_1) | instskip(NEXT) | instid1(VALU_DEP_1)
	v_and_b32_e32 v40, s48, v40
	v_lshl_or_b32 v40, v40, 4, v83
	ds_add_u32 v40, v97
	s_or_b32 exec_lo, exec_lo, s11
	v_cmp_gt_u32_e32 vcc_lo, s10, v81
	s_and_saveexec_b32 s10, vcc_lo
	s_cbranch_execz .LBB1010_15
.LBB1010_71:                            ;   in Loop: Header=BB1010_16 Depth=2
	v_xor_b32_e32 v40, 0xffff8000, v23
	s_delay_alu instid0(VALU_DEP_1) | instskip(NEXT) | instid1(VALU_DEP_1)
	v_and_b32_e32 v40, 0xffff, v40
	v_lshrrev_b32_e32 v40, s43, v40
	s_delay_alu instid0(VALU_DEP_1) | instskip(NEXT) | instid1(VALU_DEP_1)
	v_and_b32_e32 v40, s48, v40
	v_lshl_or_b32 v40, v40, 4, v83
	ds_add_u32 v40, v97
	s_branch .LBB1010_15
.LBB1010_72:                            ;   in Loop: Header=BB1010_16 Depth=2
	global_load_u16 v39, v2, s[10:11] scale_offset
	s_wait_xcnt 0x0
	s_or_b32 exec_lo, exec_lo, s13
	s_delay_alu instid0(SALU_CYCLE_1)
	s_mov_b32 s13, exec_lo
	v_cmpx_gt_u32_e64 s9, v66
	s_cbranch_execz .LBB1010_21
.LBB1010_73:                            ;   in Loop: Header=BB1010_16 Depth=2
	global_load_u16 v38, v2, s[10:11] offset:512 scale_offset
	s_wait_xcnt 0x0
	s_or_b32 exec_lo, exec_lo, s13
	s_delay_alu instid0(SALU_CYCLE_1)
	s_mov_b32 s13, exec_lo
	v_cmpx_gt_u32_e64 s9, v67
	s_cbranch_execz .LBB1010_22
.LBB1010_74:                            ;   in Loop: Header=BB1010_16 Depth=2
	global_load_u16 v37, v2, s[10:11] offset:1024 scale_offset
	s_wait_xcnt 0x0
	s_or_b32 exec_lo, exec_lo, s13
	s_delay_alu instid0(SALU_CYCLE_1)
	s_mov_b32 s13, exec_lo
	v_cmpx_gt_u32_e64 s9, v68
	s_cbranch_execz .LBB1010_23
.LBB1010_75:                            ;   in Loop: Header=BB1010_16 Depth=2
	global_load_u16 v36, v2, s[10:11] offset:1536 scale_offset
	s_wait_xcnt 0x0
	s_or_b32 exec_lo, exec_lo, s13
	s_delay_alu instid0(SALU_CYCLE_1)
	s_mov_b32 s13, exec_lo
	v_cmpx_gt_u32_e64 s9, v69
	s_cbranch_execz .LBB1010_24
.LBB1010_76:                            ;   in Loop: Header=BB1010_16 Depth=2
	global_load_u16 v35, v2, s[10:11] offset:2048 scale_offset
	s_wait_xcnt 0x0
	s_or_b32 exec_lo, exec_lo, s13
	s_delay_alu instid0(SALU_CYCLE_1)
	s_mov_b32 s13, exec_lo
	v_cmpx_gt_u32_e64 s9, v70
	s_cbranch_execz .LBB1010_25
.LBB1010_77:                            ;   in Loop: Header=BB1010_16 Depth=2
	global_load_u16 v34, v2, s[10:11] offset:2560 scale_offset
	s_wait_xcnt 0x0
	s_or_b32 exec_lo, exec_lo, s13
	s_delay_alu instid0(SALU_CYCLE_1)
	s_mov_b32 s13, exec_lo
	v_cmpx_gt_u32_e64 s9, v71
	s_cbranch_execz .LBB1010_26
.LBB1010_78:                            ;   in Loop: Header=BB1010_16 Depth=2
	global_load_u16 v33, v2, s[10:11] offset:3072 scale_offset
	s_wait_xcnt 0x0
	s_or_b32 exec_lo, exec_lo, s13
	s_delay_alu instid0(SALU_CYCLE_1)
	s_mov_b32 s13, exec_lo
	v_cmpx_gt_u32_e64 s9, v72
	s_cbranch_execz .LBB1010_27
.LBB1010_79:                            ;   in Loop: Header=BB1010_16 Depth=2
	global_load_u16 v32, v2, s[10:11] offset:3584 scale_offset
	s_wait_xcnt 0x0
	s_or_b32 exec_lo, exec_lo, s13
	s_delay_alu instid0(SALU_CYCLE_1)
	s_mov_b32 s13, exec_lo
	v_cmpx_gt_u32_e64 s9, v73
	s_cbranch_execz .LBB1010_28
.LBB1010_80:                            ;   in Loop: Header=BB1010_16 Depth=2
	global_load_u16 v31, v2, s[10:11] offset:4096 scale_offset
	s_wait_xcnt 0x0
	s_or_b32 exec_lo, exec_lo, s13
	s_delay_alu instid0(SALU_CYCLE_1)
	s_mov_b32 s13, exec_lo
	v_cmpx_gt_u32_e64 s9, v74
	s_cbranch_execz .LBB1010_29
.LBB1010_81:                            ;   in Loop: Header=BB1010_16 Depth=2
	global_load_u16 v30, v2, s[10:11] offset:4608 scale_offset
	s_wait_xcnt 0x0
	s_or_b32 exec_lo, exec_lo, s13
	s_delay_alu instid0(SALU_CYCLE_1)
	s_mov_b32 s13, exec_lo
	v_cmpx_gt_u32_e64 s9, v75
	s_cbranch_execz .LBB1010_30
.LBB1010_82:                            ;   in Loop: Header=BB1010_16 Depth=2
	global_load_u16 v29, v2, s[10:11] offset:5120 scale_offset
	s_wait_xcnt 0x0
	s_or_b32 exec_lo, exec_lo, s13
	s_delay_alu instid0(SALU_CYCLE_1)
	s_mov_b32 s13, exec_lo
	v_cmpx_gt_u32_e64 s9, v76
	s_cbranch_execz .LBB1010_31
.LBB1010_83:                            ;   in Loop: Header=BB1010_16 Depth=2
	global_load_u16 v28, v2, s[10:11] offset:5632 scale_offset
	s_wait_xcnt 0x0
	s_or_b32 exec_lo, exec_lo, s13
	s_delay_alu instid0(SALU_CYCLE_1)
	s_mov_b32 s13, exec_lo
	v_cmpx_gt_u32_e64 s9, v77
	s_cbranch_execz .LBB1010_32
.LBB1010_84:                            ;   in Loop: Header=BB1010_16 Depth=2
	global_load_u16 v27, v2, s[10:11] offset:6144 scale_offset
	s_wait_xcnt 0x0
	s_or_b32 exec_lo, exec_lo, s13
	s_delay_alu instid0(SALU_CYCLE_1)
	s_mov_b32 s13, exec_lo
	v_cmpx_gt_u32_e64 s9, v78
	s_cbranch_execz .LBB1010_33
.LBB1010_85:                            ;   in Loop: Header=BB1010_16 Depth=2
	global_load_u16 v26, v2, s[10:11] offset:6656 scale_offset
	s_wait_xcnt 0x0
	s_or_b32 exec_lo, exec_lo, s13
	s_delay_alu instid0(SALU_CYCLE_1)
	s_mov_b32 s13, exec_lo
	v_cmpx_gt_u32_e64 s9, v79
	s_cbranch_execz .LBB1010_34
.LBB1010_86:                            ;   in Loop: Header=BB1010_16 Depth=2
	global_load_u16 v25, v2, s[10:11] offset:7168 scale_offset
	s_wait_xcnt 0x0
	s_or_b32 exec_lo, exec_lo, s13
	s_delay_alu instid0(SALU_CYCLE_1)
	s_mov_b32 s13, exec_lo
	v_cmpx_gt_u32_e64 s9, v80
	s_cbranch_execz .LBB1010_35
.LBB1010_87:                            ;   in Loop: Header=BB1010_16 Depth=2
	global_load_u16 v24, v2, s[10:11] offset:7680 scale_offset
	s_wait_xcnt 0x0
	s_or_b32 exec_lo, exec_lo, s13
	s_delay_alu instid0(SALU_CYCLE_1)
	s_mov_b32 s13, exec_lo
	v_cmpx_gt_u32_e64 s9, v81
	s_cbranch_execnz .LBB1010_36
	s_branch .LBB1010_37
.LBB1010_88:                            ;   in Loop: Header=BB1010_12 Depth=1
	v_mov_b32_e32 v23, 0
	s_wait_dscnt 0x0
	s_barrier_signal -1
	s_barrier_wait -1
	s_and_saveexec_b32 s9, s0
	s_cbranch_execz .LBB1010_90
; %bb.89:                               ;   in Loop: Header=BB1010_12 Depth=1
	ds_load_2addr_b64 v[24:27], v84 offset1:1
	s_wait_dscnt 0x0
	v_add_nc_u32_e32 v23, v25, v24
	s_delay_alu instid0(VALU_DEP_1)
	v_add3_u32 v23, v23, v26, v27
.LBB1010_90:                            ;   in Loop: Header=BB1010_12 Depth=1
	s_or_b32 exec_lo, exec_lo, s9
	s_delay_alu instid0(VALU_DEP_1)
	v_mov_b32_dpp v24, v23 row_shr:1 row_mask:0xf bank_mask:0xf
	v_cmp_eq_u32_e64 s9, 0, v98
	v_cmp_lt_u32_e64 s10, 1, v98
	v_cmp_lt_u32_e64 s11, 3, v98
	;; [unrolled: 1-line block ×3, first 2 shown]
	v_cmp_eq_u32_e64 s13, 0, v100
	v_cndmask_b32_e64 v24, v24, 0, s9
	s_delay_alu instid0(VALU_DEP_1) | instskip(NEXT) | instid1(VALU_DEP_1)
	v_add_nc_u32_e32 v23, v24, v23
	v_mov_b32_dpp v24, v23 row_shr:2 row_mask:0xf bank_mask:0xf
	s_delay_alu instid0(VALU_DEP_1) | instskip(NEXT) | instid1(VALU_DEP_1)
	v_cndmask_b32_e64 v24, 0, v24, s10
	v_add_nc_u32_e32 v23, v23, v24
	s_delay_alu instid0(VALU_DEP_1) | instskip(NEXT) | instid1(VALU_DEP_1)
	v_mov_b32_dpp v24, v23 row_shr:4 row_mask:0xf bank_mask:0xf
	v_cndmask_b32_e64 v24, 0, v24, s11
	s_delay_alu instid0(VALU_DEP_1) | instskip(NEXT) | instid1(VALU_DEP_1)
	v_add_nc_u32_e32 v23, v23, v24
	v_mov_b32_dpp v24, v23 row_shr:8 row_mask:0xf bank_mask:0xf
	s_delay_alu instid0(VALU_DEP_1) | instskip(NEXT) | instid1(VALU_DEP_1)
	v_cndmask_b32_e64 v24, 0, v24, s12
	v_add_nc_u32_e32 v23, v23, v24
	ds_swizzle_b32 v24, v23 offset:swizzle(BROADCAST,32,15)
	s_wait_dscnt 0x0
	v_and_b32_e32 v24, v99, v24
	s_delay_alu instid0(VALU_DEP_1)
	v_add_nc_u32_e32 v23, v23, v24
	s_and_saveexec_b32 s14, s1
; %bb.91:                               ;   in Loop: Header=BB1010_12 Depth=1
	ds_store_b32 v85, v23
; %bb.92:                               ;   in Loop: Header=BB1010_12 Depth=1
	s_or_b32 exec_lo, exec_lo, s14
	s_wait_dscnt 0x0
	s_barrier_signal -1
	s_barrier_wait -1
	s_and_saveexec_b32 s14, s4
	s_cbranch_execz .LBB1010_94
; %bb.93:                               ;   in Loop: Header=BB1010_12 Depth=1
	ds_load_b32 v24, v86
	v_cmp_ne_u32_e32 vcc_lo, 0, v101
	s_wait_dscnt 0x0
	v_mov_b32_dpp v25, v24 row_shr:1 row_mask:0xf bank_mask:0xf
	s_delay_alu instid0(VALU_DEP_1) | instskip(SKIP_1) | instid1(VALU_DEP_2)
	v_cndmask_b32_e32 v25, 0, v25, vcc_lo
	v_cmp_lt_u32_e32 vcc_lo, 1, v101
	v_add_nc_u32_e32 v24, v25, v24
	s_delay_alu instid0(VALU_DEP_1) | instskip(NEXT) | instid1(VALU_DEP_1)
	v_mov_b32_dpp v25, v24 row_shr:2 row_mask:0xf bank_mask:0xf
	v_cndmask_b32_e32 v25, 0, v25, vcc_lo
	s_delay_alu instid0(VALU_DEP_1)
	v_add_nc_u32_e32 v24, v24, v25
	ds_store_b32 v86, v24
.LBB1010_94:                            ;   in Loop: Header=BB1010_12 Depth=1
	s_or_b32 exec_lo, exec_lo, s14
	v_mov_b32_e32 v24, 0
	s_wait_dscnt 0x0
	s_barrier_signal -1
	s_barrier_wait -1
	s_and_saveexec_b32 s14, s5
; %bb.95:                               ;   in Loop: Header=BB1010_12 Depth=1
	ds_load_b32 v24, v87
; %bb.96:                               ;   in Loop: Header=BB1010_12 Depth=1
	s_or_b32 exec_lo, exec_lo, s14
	v_cmp_gt_i32_e32 vcc_lo, 0, v103
	s_wait_dscnt 0x0
	s_barrier_signal -1
	s_barrier_wait -1
	v_dual_cndmask_b32 v25, v103, v96, vcc_lo :: v_dual_add_nc_u32 v23, v24, v23
	s_delay_alu instid0(VALU_DEP_1)
	v_lshlrev_b32_e32 v121, 2, v25
	ds_bpermute_b32 v23, v121, v23
	s_and_saveexec_b32 s14, s0
	s_cbranch_execz .LBB1010_98
; %bb.97:                               ;   in Loop: Header=BB1010_12 Depth=1
	s_wait_dscnt 0x0
	v_cndmask_b32_e64 v23, v23, v24, s8
	s_delay_alu instid0(VALU_DEP_1)
	v_add_nc_u32_e32 v23, s55, v23
	ds_store_b32 v3, v23
.LBB1010_98:                            ;   in Loop: Header=BB1010_12 Depth=1
	s_or_b32 exec_lo, exec_lo, s14
	s_clause 0x1
	s_load_b32 s14, s[52:53], 0x4
	s_load_b32 s16, s[52:53], 0xc
	s_mov_b32 s58, s57
                                        ; implicit-def: $vgpr30_vgpr31
                                        ; implicit-def: $vgpr32_vgpr33
                                        ; implicit-def: $vgpr34_vgpr35
                                        ; implicit-def: $vgpr36_vgpr37
                                        ; implicit-def: $vgpr38_vgpr39
                                        ; implicit-def: $vgpr40_vgpr41
                                        ; implicit-def: $vgpr42_vgpr43
                                        ; implicit-def: $vgpr44_vgpr45
                                        ; implicit-def: $vgpr46_vgpr47
                                        ; implicit-def: $vgpr48_vgpr49
                                        ; implicit-def: $vgpr50_vgpr51
                                        ; implicit-def: $vgpr52_vgpr53
                                        ; implicit-def: $vgpr54_vgpr55
                                        ; implicit-def: $vgpr56_vgpr57
                                        ; implicit-def: $vgpr58_vgpr59
                                        ; implicit-def: $vgpr60_vgpr61
                                        ; implicit-def: $vgpr122
                                        ; implicit-def: $vgpr123
                                        ; implicit-def: $vgpr124
                                        ; implicit-def: $vgpr125
                                        ; implicit-def: $vgpr126
                                        ; implicit-def: $vgpr127
                                        ; implicit-def: $vgpr128
                                        ; implicit-def: $vgpr129
                                        ; implicit-def: $vgpr130
                                        ; implicit-def: $vgpr131
                                        ; implicit-def: $vgpr132
                                        ; implicit-def: $vgpr133
                                        ; implicit-def: $vgpr134
                                        ; implicit-def: $vgpr135
                                        ; implicit-def: $vgpr136
                                        ; implicit-def: $vgpr138
                                        ; implicit-def: $vgpr139
                                        ; implicit-def: $vgpr137
                                        ; implicit-def: $vgpr140
	s_wait_kmcnt 0x0
	s_cmp_lt_u32 s42, s14
	s_cselect_b32 s34, 14, 20
	s_delay_alu instid0(SALU_CYCLE_1)
	s_add_nc_u64 s[14:15], s[52:53], s[34:35]
	s_mov_b32 s34, s55
	s_load_u16 s14, s[14:15], 0x0
	s_wait_xcnt 0x0
	v_cmp_lt_u32_e64 s15, 1, v104
	s_wait_dscnt 0x0
	s_wait_kmcnt 0x0
	v_mad_u32_u24 v23, v88, s14, v90
	s_and_b32 s14, s16, 0xffff
	v_cmp_lt_u32_e64 s16, 3, v104
	s_delay_alu instid0(VALU_DEP_2) | instskip(SKIP_2) | instid1(VALU_DEP_3)
	v_mad_u32 v24, v23, s14, v2
	v_mov_b32_e32 v23, v5
	v_cmp_eq_u32_e64 s14, 0, v104
	v_lshrrev_b32_e32 v28, 3, v24
	v_add_nc_u64_e32 v[24:25], v[0:1], v[4:5]
	s_delay_alu instid0(VALU_DEP_4) | instskip(NEXT) | instid1(VALU_DEP_3)
	v_add_nc_u64_e32 v[26:27], v[8:9], v[22:23]
	v_and_b32_e32 v23, 0x1ffffffc, v28
                                        ; implicit-def: $vgpr28_vgpr29
	s_branch .LBB1010_100
.LBB1010_99:                            ;   in Loop: Header=BB1010_100 Depth=2
	s_or_b32 exec_lo, exec_lo, s17
	s_addk_co_i32 s58, 0xef00
	s_cmp_lt_u32 s59, s54
	s_mov_b32 s34, s59
	s_cbranch_scc0 .LBB1010_322
.LBB1010_100:                           ;   Parent Loop BB1010_12 Depth=1
                                        ; =>  This Inner Loop Header: Depth=2
	s_add_co_i32 s59, s34, 0x1100
	s_delay_alu instid0(SALU_CYCLE_1)
	s_cmp_gt_u32 s59, s54
	s_cbranch_scc1 .LBB1010_102
; %bb.101:                              ;   in Loop: Header=BB1010_100 Depth=2
	s_delay_alu instid0(VALU_DEP_2)
	v_lshl_add_u64 v[62:63], s[34:35], 1, v[26:27]
	s_mov_b32 s17, -1
	s_clause 0xf
	global_load_u16 v143, v[62:63], off
	global_load_u16 v145, v[62:63], off offset:64
	global_load_u16 v147, v[62:63], off offset:128
	;; [unrolled: 1-line block ×15, first 2 shown]
	s_movk_i32 s18, 0x1100
	s_cbranch_execz .LBB1010_103
	s_branch .LBB1010_136
.LBB1010_102:                           ;   in Loop: Header=BB1010_100 Depth=2
	s_mov_b32 s17, 0
                                        ; implicit-def: $vgpr143
                                        ; implicit-def: $vgpr145
                                        ; implicit-def: $vgpr147
                                        ; implicit-def: $vgpr151
                                        ; implicit-def: $vgpr155
                                        ; implicit-def: $vgpr160
                                        ; implicit-def: $vgpr166
                                        ; implicit-def: $vgpr171
                                        ; implicit-def: $vgpr176
                                        ; implicit-def: $vgpr174
                                        ; implicit-def: $vgpr169
                                        ; implicit-def: $vgpr164
                                        ; implicit-def: $vgpr161
                                        ; implicit-def: $vgpr156
                                        ; implicit-def: $vgpr65
                                        ; implicit-def: $vgpr64
	s_movk_i32 s18, 0x1100
.LBB1010_103:                           ;   in Loop: Header=BB1010_100 Depth=2
	s_wait_xcnt 0x0
	v_lshl_add_u64 v[62:63], s[34:35], 1, v[26:27]
	s_wait_loadcnt 0xe
	v_mov_b32_e32 v145, 0x7fff
	v_mov_b32_e32 v143, 0x7fff
	s_mov_b32 s17, exec_lo
	v_cmpx_gt_u32_e64 s58, v102
	s_cbranch_execz .LBB1010_105
; %bb.104:                              ;   in Loop: Header=BB1010_100 Depth=2
	global_load_u16 v143, v[62:63], off
.LBB1010_105:                           ;   in Loop: Header=BB1010_100 Depth=2
	s_wait_xcnt 0x0
	s_or_b32 exec_lo, exec_lo, s17
	s_delay_alu instid0(SALU_CYCLE_1)
	s_mov_b32 s17, exec_lo
	v_cmpx_gt_u32_e64 s58, v105
	s_cbranch_execz .LBB1010_107
; %bb.106:                              ;   in Loop: Header=BB1010_100 Depth=2
	global_load_u16 v145, v[62:63], off offset:64
.LBB1010_107:                           ;   in Loop: Header=BB1010_100 Depth=2
	s_wait_xcnt 0x0
	s_or_b32 exec_lo, exec_lo, s17
	s_wait_loadcnt 0xc
	v_mov_b32_e32 v151, 0x7fff
	v_mov_b32_e32 v147, 0x7fff
	s_mov_b32 s17, exec_lo
	v_cmpx_gt_u32_e64 s58, v106
	s_cbranch_execz .LBB1010_109
; %bb.108:                              ;   in Loop: Header=BB1010_100 Depth=2
	global_load_u16 v147, v[62:63], off offset:128
.LBB1010_109:                           ;   in Loop: Header=BB1010_100 Depth=2
	s_wait_xcnt 0x0
	s_or_b32 exec_lo, exec_lo, s17
	s_delay_alu instid0(SALU_CYCLE_1)
	s_mov_b32 s17, exec_lo
	v_cmpx_gt_u32_e64 s58, v107
	s_cbranch_execz .LBB1010_111
; %bb.110:                              ;   in Loop: Header=BB1010_100 Depth=2
	global_load_u16 v151, v[62:63], off offset:192
.LBB1010_111:                           ;   in Loop: Header=BB1010_100 Depth=2
	s_wait_xcnt 0x0
	s_or_b32 exec_lo, exec_lo, s17
	s_wait_loadcnt 0xa
	v_dual_mov_b32 v160, 0x7fff :: v_dual_mov_b32 v155, 0x7fff
	s_mov_b32 s17, exec_lo
	v_cmpx_gt_u32_e64 s58, v108
	s_cbranch_execz .LBB1010_113
; %bb.112:                              ;   in Loop: Header=BB1010_100 Depth=2
	global_load_u16 v155, v[62:63], off offset:256
.LBB1010_113:                           ;   in Loop: Header=BB1010_100 Depth=2
	s_wait_xcnt 0x0
	s_or_b32 exec_lo, exec_lo, s17
	s_delay_alu instid0(SALU_CYCLE_1)
	s_mov_b32 s17, exec_lo
	v_cmpx_gt_u32_e64 s58, v109
	s_cbranch_execz .LBB1010_115
; %bb.114:                              ;   in Loop: Header=BB1010_100 Depth=2
	global_load_u16 v160, v[62:63], off offset:320
.LBB1010_115:                           ;   in Loop: Header=BB1010_100 Depth=2
	s_wait_xcnt 0x0
	s_or_b32 exec_lo, exec_lo, s17
	s_wait_loadcnt 0x8
	v_dual_mov_b32 v171, 0x7fff :: v_dual_mov_b32 v166, 0x7fff
	s_mov_b32 s17, exec_lo
	v_cmpx_gt_u32_e64 s58, v110
	s_cbranch_execz .LBB1010_117
; %bb.116:                              ;   in Loop: Header=BB1010_100 Depth=2
	global_load_u16 v166, v[62:63], off offset:384
.LBB1010_117:                           ;   in Loop: Header=BB1010_100 Depth=2
	s_wait_xcnt 0x0
	s_or_b32 exec_lo, exec_lo, s17
	s_delay_alu instid0(SALU_CYCLE_1)
	s_mov_b32 s17, exec_lo
	v_cmpx_gt_u32_e64 s58, v111
	s_cbranch_execz .LBB1010_119
; %bb.118:                              ;   in Loop: Header=BB1010_100 Depth=2
	global_load_u16 v171, v[62:63], off offset:448
.LBB1010_119:                           ;   in Loop: Header=BB1010_100 Depth=2
	s_wait_xcnt 0x0
	s_or_b32 exec_lo, exec_lo, s17
	s_wait_loadcnt 0x6
	v_mov_b32_e32 v174, 0x7fff
	v_mov_b32_e32 v176, 0x7fff
	s_mov_b32 s17, exec_lo
	v_cmpx_gt_u32_e64 s58, v112
	s_cbranch_execz .LBB1010_121
; %bb.120:                              ;   in Loop: Header=BB1010_100 Depth=2
	global_load_u16 v176, v[62:63], off offset:512
.LBB1010_121:                           ;   in Loop: Header=BB1010_100 Depth=2
	s_wait_xcnt 0x0
	s_or_b32 exec_lo, exec_lo, s17
	s_delay_alu instid0(SALU_CYCLE_1)
	s_mov_b32 s17, exec_lo
	v_cmpx_gt_u32_e64 s58, v113
	s_cbranch_execz .LBB1010_123
; %bb.122:                              ;   in Loop: Header=BB1010_100 Depth=2
	global_load_u16 v174, v[62:63], off offset:576
.LBB1010_123:                           ;   in Loop: Header=BB1010_100 Depth=2
	s_wait_xcnt 0x0
	s_or_b32 exec_lo, exec_lo, s17
	s_wait_loadcnt 0x4
	v_dual_mov_b32 v164, 0x7fff :: v_dual_mov_b32 v169, 0x7fff
	s_mov_b32 s17, exec_lo
	v_cmpx_gt_u32_e64 s58, v114
	s_cbranch_execz .LBB1010_125
; %bb.124:                              ;   in Loop: Header=BB1010_100 Depth=2
	global_load_u16 v169, v[62:63], off offset:640
.LBB1010_125:                           ;   in Loop: Header=BB1010_100 Depth=2
	s_wait_xcnt 0x0
	s_or_b32 exec_lo, exec_lo, s17
	s_delay_alu instid0(SALU_CYCLE_1)
	s_mov_b32 s17, exec_lo
	v_cmpx_gt_u32_e64 s58, v115
	s_cbranch_execz .LBB1010_127
; %bb.126:                              ;   in Loop: Header=BB1010_100 Depth=2
	global_load_u16 v164, v[62:63], off offset:704
.LBB1010_127:                           ;   in Loop: Header=BB1010_100 Depth=2
	s_wait_xcnt 0x0
	s_or_b32 exec_lo, exec_lo, s17
	s_wait_loadcnt 0x2
	v_dual_mov_b32 v156, 0x7fff :: v_dual_mov_b32 v161, 0x7fff
	;; [unrolled: 19-line block ×3, first 2 shown]
	s_mov_b32 s17, exec_lo
	v_cmpx_gt_u32_e64 s58, v118
	s_cbranch_execz .LBB1010_133
; %bb.132:                              ;   in Loop: Header=BB1010_100 Depth=2
	global_load_u16 v65, v[62:63], off offset:896
.LBB1010_133:                           ;   in Loop: Header=BB1010_100 Depth=2
	s_wait_xcnt 0x0
	s_or_b32 exec_lo, exec_lo, s17
	s_delay_alu instid0(SALU_CYCLE_1)
	s_mov_b32 s17, exec_lo
	v_cmpx_gt_u32_e64 s58, v119
	s_cbranch_execz .LBB1010_135
; %bb.134:                              ;   in Loop: Header=BB1010_100 Depth=2
	global_load_u16 v64, v[62:63], off offset:960
.LBB1010_135:                           ;   in Loop: Header=BB1010_100 Depth=2
	s_wait_xcnt 0x0
	s_or_b32 exec_lo, exec_lo, s17
	v_cmp_gt_u32_e64 s17, s58, v120
	s_sub_co_i32 s18, s54, s34
.LBB1010_136:                           ;   in Loop: Header=BB1010_100 Depth=2
	v_dual_mov_b32 v142, -1 :: v_dual_mov_b32 v141, s58
	s_wait_xcnt 0x0
	s_and_saveexec_b32 s19, s17
	s_cbranch_execz .LBB1010_138
; %bb.137:                              ;   in Loop: Header=BB1010_100 Depth=2
	v_lshl_add_u64 v[62:63], s[34:35], 1, v[26:27]
	v_mov_b32_e32 v141, s18
	global_load_u16 v62, v[62:63], off offset:1024
	s_wait_loadcnt 0x0
	v_xor_b32_e32 v142, 0xffff8000, v62
.LBB1010_138:                           ;   in Loop: Header=BB1010_100 Depth=2
	s_wait_xcnt 0x0
	s_or_b32 exec_lo, exec_lo, s19
	s_wait_loadcnt 0xf
	v_xor_b32_e32 v143, 0xffff8000, v143
	ds_store_2addr_b32 v89, v5, v5 offset0:136 offset1:137
	ds_store_2addr_b32 v89, v5, v5 offset0:138 offset1:139
	ds_store_b32 v89, v5 offset:560
	s_wait_loadcnt_dscnt 0x0
	s_barrier_signal -1
	s_barrier_wait -1
	v_and_b32_e32 v62, 0xffff, v143
	; wave barrier
	s_delay_alu instid0(VALU_DEP_1) | instskip(NEXT) | instid1(VALU_DEP_1)
	v_lshrrev_b32_e32 v62, s43, v62
	v_bitop3_b32 v63, v62, 1, s48 bitop3:0x80
	v_and_b32_e32 v146, s48, v62
	s_delay_alu instid0(VALU_DEP_2) | instskip(NEXT) | instid1(VALU_DEP_1)
	v_add_co_u32 v62, s17, v63, -1
	v_cndmask_b32_e64 v63, 0, 1, s17
	s_delay_alu instid0(VALU_DEP_3) | instskip(NEXT) | instid1(VALU_DEP_2)
	v_dual_lshlrev_b32 v144, 30, v146 :: v_dual_lshlrev_b32 v148, 29, v146
	v_cmp_ne_u32_e32 vcc_lo, 0, v63
	s_delay_alu instid0(VALU_DEP_2) | instskip(SKIP_1) | instid1(VALU_DEP_4)
	v_cmp_gt_i32_e64 s17, 0, v144
	v_not_b32_e32 v63, v144
	v_not_b32_e32 v144, v148
	v_cmp_gt_i32_e64 s18, 0, v148
	v_bitop3_b32 v62, vcc_lo, exec_lo, v62 bitop3:0x48
	s_delay_alu instid0(VALU_DEP_3) | instskip(SKIP_2) | instid1(VALU_DEP_3)
	v_dual_ashrrev_i32 v63, 31, v63 :: v_dual_ashrrev_i32 v144, 31, v144
	v_dual_lshlrev_b32 v149, 28, v146 :: v_dual_lshlrev_b32 v150, 27, v146
	v_dual_lshlrev_b32 v152, 26, v146 :: v_dual_lshlrev_b32 v153, 25, v146
	v_xor_b32_e32 v144, s18, v144
	s_delay_alu instid0(VALU_DEP_3)
	v_cmp_gt_i32_e64 s19, 0, v149
	v_not_b32_e32 v148, v149
	v_not_b32_e32 v149, v150
	v_cmp_gt_i32_e64 s20, 0, v150
	v_cmp_gt_i32_e64 s21, 0, v152
	v_not_b32_e32 v150, v152
	v_not_b32_e32 v152, v153
	v_dual_ashrrev_i32 v148, 31, v148 :: v_dual_ashrrev_i32 v149, 31, v149
	s_delay_alu instid0(VALU_DEP_3) | instskip(SKIP_1) | instid1(VALU_DEP_3)
	v_dual_ashrrev_i32 v150, 31, v150 :: v_dual_bitop2_b32 v63, s17, v63 bitop3:0x14
	v_cmp_gt_i32_e64 s22, 0, v153
	v_dual_ashrrev_i32 v152, 31, v152 :: v_dual_bitop2_b32 v149, s20, v149 bitop3:0x14
	s_delay_alu instid0(VALU_DEP_4) | instskip(NEXT) | instid1(VALU_DEP_4)
	v_xor_b32_e32 v148, s19, v148
	v_bitop3_b32 v62, v62, v144, v63 bitop3:0x80
	v_xor_b32_e32 v63, s21, v150
	s_delay_alu instid0(VALU_DEP_4) | instskip(NEXT) | instid1(VALU_DEP_3)
	v_xor_b32_e32 v144, s22, v152
	v_bitop3_b32 v62, v62, v149, v148 bitop3:0x80
	s_delay_alu instid0(VALU_DEP_1) | instskip(SKIP_1) | instid1(VALU_DEP_2)
	v_bitop3_b32 v62, v62, v144, v63 bitop3:0x80
	v_mul_u32_u24_e32 v63, 36, v146
	v_mbcnt_lo_u32_b32 v144, v62, 0
	v_cmp_ne_u32_e64 s17, 0, v62
	s_delay_alu instid0(VALU_DEP_3) | instskip(NEXT) | instid1(VALU_DEP_3)
	v_add_nc_u32_e32 v146, v23, v63
	v_cmp_eq_u32_e32 vcc_lo, 0, v144
	s_and_b32 s18, s17, vcc_lo
	s_delay_alu instid0(SALU_CYCLE_1)
	s_and_saveexec_b32 s17, s18
; %bb.139:                              ;   in Loop: Header=BB1010_100 Depth=2
	v_bcnt_u32_b32 v62, v62, 0
	ds_store_b32 v146, v62 offset:544
; %bb.140:                              ;   in Loop: Header=BB1010_100 Depth=2
	s_or_b32 exec_lo, exec_lo, s17
	v_xor_b32_e32 v145, 0xffff8000, v145
	; wave barrier
	s_delay_alu instid0(VALU_DEP_1) | instskip(NEXT) | instid1(VALU_DEP_1)
	v_and_b32_e32 v62, 0xffff, v145
	v_lshrrev_b32_e32 v62, s43, v62
	s_delay_alu instid0(VALU_DEP_1) | instskip(SKIP_1) | instid1(VALU_DEP_2)
	v_bitop3_b32 v63, v62, 1, s48 bitop3:0x80
	v_and_b32_e32 v150, s48, v62
	v_add_co_u32 v62, s17, v63, -1
	s_delay_alu instid0(VALU_DEP_1) | instskip(NEXT) | instid1(VALU_DEP_3)
	v_cndmask_b32_e64 v63, 0, 1, s17
	v_dual_lshlrev_b32 v148, 30, v150 :: v_dual_lshlrev_b32 v149, 29, v150
	s_delay_alu instid0(VALU_DEP_2) | instskip(NEXT) | instid1(VALU_DEP_2)
	v_cmp_ne_u32_e32 vcc_lo, 0, v63
	v_cmp_gt_i32_e64 s17, 0, v148
	v_not_b32_e32 v63, v148
	s_delay_alu instid0(VALU_DEP_4) | instskip(SKIP_2) | instid1(VALU_DEP_3)
	v_not_b32_e32 v148, v149
	v_cmp_gt_i32_e64 s18, 0, v149
	v_bitop3_b32 v62, vcc_lo, exec_lo, v62 bitop3:0x48
	v_dual_ashrrev_i32 v63, 31, v63 :: v_dual_ashrrev_i32 v148, 31, v148
	v_dual_lshlrev_b32 v152, 28, v150 :: v_dual_lshlrev_b32 v153, 27, v150
	v_dual_lshlrev_b32 v154, 26, v150 :: v_dual_lshlrev_b32 v157, 25, v150
	s_delay_alu instid0(VALU_DEP_2) | instskip(SKIP_1) | instid1(VALU_DEP_4)
	v_cmp_gt_i32_e64 s19, 0, v152
	v_not_b32_e32 v149, v152
	v_cmp_gt_i32_e64 s20, 0, v153
	v_not_b32_e32 v152, v153
	;; [unrolled: 2-line block ×3, first 2 shown]
	v_not_b32_e32 v154, v157
	v_xor_b32_e32 v63, s17, v63
	v_dual_ashrrev_i32 v149, 31, v149 :: v_dual_bitop2_b32 v148, s18, v148 bitop3:0x14
	s_delay_alu instid0(VALU_DEP_4) | instskip(NEXT) | instid1(VALU_DEP_4)
	v_dual_ashrrev_i32 v152, 31, v152 :: v_dual_ashrrev_i32 v153, 31, v153
	v_ashrrev_i32_e32 v154, 31, v154
	s_delay_alu instid0(VALU_DEP_3)
	v_bitop3_b32 v62, v62, v148, v63 bitop3:0x80
	v_mad_u32_u24 v63, v150, 36, v23
	v_cmp_gt_i32_e64 s22, 0, v157
	v_xor_b32_e32 v152, s20, v152
	v_xor_b32_e32 v153, s21, v153
	ds_load_b32 v148, v63 offset:544
	v_mul_u32_u24_e32 v63, 36, v150
	v_xor_b32_e32 v149, s19, v149
	v_xor_b32_e32 v154, s22, v154
	; wave barrier
	s_delay_alu instid0(VALU_DEP_3) | instskip(NEXT) | instid1(VALU_DEP_3)
	v_add_nc_u32_e32 v150, v23, v63
	v_bitop3_b32 v62, v62, v152, v149 bitop3:0x80
	s_delay_alu instid0(VALU_DEP_1) | instskip(NEXT) | instid1(VALU_DEP_1)
	v_bitop3_b32 v62, v62, v154, v153 bitop3:0x80
	v_mbcnt_lo_u32_b32 v149, v62, 0
	v_cmp_ne_u32_e64 s17, 0, v62
	s_delay_alu instid0(VALU_DEP_2) | instskip(SKIP_1) | instid1(SALU_CYCLE_1)
	v_cmp_eq_u32_e32 vcc_lo, 0, v149
	s_and_b32 s18, s17, vcc_lo
	s_and_saveexec_b32 s17, s18
	s_cbranch_execz .LBB1010_142
; %bb.141:                              ;   in Loop: Header=BB1010_100 Depth=2
	s_wait_dscnt 0x0
	v_bcnt_u32_b32 v62, v62, v148
	ds_store_b32 v150, v62 offset:544
.LBB1010_142:                           ;   in Loop: Header=BB1010_100 Depth=2
	s_or_b32 exec_lo, exec_lo, s17
	v_xor_b32_e32 v147, 0xffff8000, v147
	; wave barrier
	s_delay_alu instid0(VALU_DEP_1) | instskip(NEXT) | instid1(VALU_DEP_1)
	v_and_b32_e32 v62, 0xffff, v147
	v_lshrrev_b32_e32 v62, s43, v62
	s_delay_alu instid0(VALU_DEP_1) | instskip(SKIP_1) | instid1(VALU_DEP_2)
	v_bitop3_b32 v63, v62, 1, s48 bitop3:0x80
	v_and_b32_e32 v154, s48, v62
	v_add_co_u32 v62, s17, v63, -1
	s_delay_alu instid0(VALU_DEP_1) | instskip(NEXT) | instid1(VALU_DEP_3)
	v_cndmask_b32_e64 v63, 0, 1, s17
	v_dual_lshlrev_b32 v152, 30, v154 :: v_dual_lshlrev_b32 v153, 29, v154
	s_delay_alu instid0(VALU_DEP_2) | instskip(NEXT) | instid1(VALU_DEP_2)
	v_cmp_ne_u32_e32 vcc_lo, 0, v63
	v_cmp_gt_i32_e64 s17, 0, v152
	v_not_b32_e32 v63, v152
	s_delay_alu instid0(VALU_DEP_4) | instskip(SKIP_2) | instid1(VALU_DEP_3)
	v_not_b32_e32 v152, v153
	v_cmp_gt_i32_e64 s18, 0, v153
	v_bitop3_b32 v62, vcc_lo, exec_lo, v62 bitop3:0x48
	v_dual_ashrrev_i32 v63, 31, v63 :: v_dual_ashrrev_i32 v152, 31, v152
	v_dual_lshlrev_b32 v157, 28, v154 :: v_dual_lshlrev_b32 v158, 27, v154
	v_dual_lshlrev_b32 v159, 26, v154 :: v_dual_lshlrev_b32 v162, 25, v154
	s_delay_alu instid0(VALU_DEP_3) | instskip(NEXT) | instid1(VALU_DEP_3)
	v_xor_b32_e32 v63, s17, v63
	v_cmp_gt_i32_e64 s19, 0, v157
	v_not_b32_e32 v153, v157
	v_not_b32_e32 v157, v158
	v_xor_b32_e32 v152, s18, v152
	v_cmp_gt_i32_e64 s20, 0, v158
	v_cmp_gt_i32_e64 s21, 0, v159
	v_ashrrev_i32_e32 v153, 31, v153
	v_ashrrev_i32_e32 v157, 31, v157
	v_not_b32_e32 v158, v159
	v_not_b32_e32 v159, v162
	v_bitop3_b32 v62, v62, v152, v63 bitop3:0x80
	v_mad_u32_u24 v63, v154, 36, v23
	v_cmp_gt_i32_e64 s22, 0, v162
	s_delay_alu instid0(VALU_DEP_4)
	v_dual_ashrrev_i32 v158, 31, v158 :: v_dual_ashrrev_i32 v159, 31, v159
	v_xor_b32_e32 v157, s20, v157
	ds_load_b32 v152, v63 offset:544
	v_mul_u32_u24_e32 v63, 36, v154
	v_xor_b32_e32 v153, s19, v153
	v_xor_b32_e32 v158, s21, v158
	;; [unrolled: 1-line block ×3, first 2 shown]
	s_delay_alu instid0(VALU_DEP_4) | instskip(NEXT) | instid1(VALU_DEP_4)
	v_add_nc_u32_e32 v154, v23, v63
	v_bitop3_b32 v62, v62, v157, v153 bitop3:0x80
	; wave barrier
	s_delay_alu instid0(VALU_DEP_1) | instskip(NEXT) | instid1(VALU_DEP_1)
	v_bitop3_b32 v62, v62, v159, v158 bitop3:0x80
	v_mbcnt_lo_u32_b32 v153, v62, 0
	v_cmp_ne_u32_e64 s17, 0, v62
	s_delay_alu instid0(VALU_DEP_2) | instskip(SKIP_1) | instid1(SALU_CYCLE_1)
	v_cmp_eq_u32_e32 vcc_lo, 0, v153
	s_and_b32 s18, s17, vcc_lo
	s_and_saveexec_b32 s17, s18
	s_cbranch_execz .LBB1010_144
; %bb.143:                              ;   in Loop: Header=BB1010_100 Depth=2
	s_wait_dscnt 0x0
	v_bcnt_u32_b32 v62, v62, v152
	ds_store_b32 v154, v62 offset:544
.LBB1010_144:                           ;   in Loop: Header=BB1010_100 Depth=2
	s_or_b32 exec_lo, exec_lo, s17
	v_xor_b32_e32 v151, 0xffff8000, v151
	; wave barrier
	s_delay_alu instid0(VALU_DEP_1) | instskip(NEXT) | instid1(VALU_DEP_1)
	v_and_b32_e32 v62, 0xffff, v151
	v_lshrrev_b32_e32 v62, s43, v62
	s_delay_alu instid0(VALU_DEP_1) | instskip(NEXT) | instid1(VALU_DEP_1)
	v_and_b32_e32 v159, s48, v62
	v_lshlrev_b32_e32 v157, 30, v159
	v_bitop3_b32 v63, v62, 1, s48 bitop3:0x80
	s_delay_alu instid0(VALU_DEP_1) | instskip(NEXT) | instid1(VALU_DEP_1)
	v_add_co_u32 v62, s17, v63, -1
	v_cndmask_b32_e64 v63, 0, 1, s17
	s_delay_alu instid0(VALU_DEP_4) | instskip(NEXT) | instid1(VALU_DEP_2)
	v_cmp_gt_i32_e64 s17, 0, v157
	v_cmp_ne_u32_e32 vcc_lo, 0, v63
	v_not_b32_e32 v63, v157
	v_bitop3_b32 v62, vcc_lo, exec_lo, v62 bitop3:0x48
	s_delay_alu instid0(VALU_DEP_2) | instskip(SKIP_2) | instid1(VALU_DEP_3)
	v_ashrrev_i32_e32 v63, 31, v63
	v_dual_lshlrev_b32 v158, 29, v159 :: v_dual_lshlrev_b32 v162, 28, v159
	v_dual_lshlrev_b32 v163, 27, v159 :: v_dual_lshlrev_b32 v165, 26, v159
	v_xor_b32_e32 v63, s17, v63
	s_delay_alu instid0(VALU_DEP_3)
	v_not_b32_e32 v157, v158
	v_lshlrev_b32_e32 v167, 25, v159
	v_cmp_gt_i32_e64 s18, 0, v158
	v_cmp_gt_i32_e64 s19, 0, v162
	v_not_b32_e32 v158, v162
	v_not_b32_e32 v162, v163
	v_ashrrev_i32_e32 v157, 31, v157
	v_cmp_gt_i32_e64 s20, 0, v163
	v_cmp_gt_i32_e64 s21, 0, v165
	v_ashrrev_i32_e32 v158, 31, v158
	s_delay_alu instid0(VALU_DEP_4) | instskip(SKIP_3) | instid1(VALU_DEP_4)
	v_dual_ashrrev_i32 v162, 31, v162 :: v_dual_bitop2_b32 v157, s18, v157 bitop3:0x14
	v_not_b32_e32 v163, v165
	v_not_b32_e32 v165, v167
	v_cmp_gt_i32_e64 s22, 0, v167
	v_xor_b32_e32 v162, s20, v162
	v_bitop3_b32 v62, v62, v157, v63 bitop3:0x80
	v_mad_u32_u24 v63, v159, 36, v23
	v_dual_ashrrev_i32 v163, 31, v163 :: v_dual_ashrrev_i32 v165, 31, v165
	ds_load_b32 v157, v63 offset:544
	v_mul_u32_u24_e32 v63, 36, v159
	v_xor_b32_e32 v158, s19, v158
	v_xor_b32_e32 v163, s21, v163
	;; [unrolled: 1-line block ×3, first 2 shown]
	s_delay_alu instid0(VALU_DEP_4) | instskip(NEXT) | instid1(VALU_DEP_4)
	v_add_nc_u32_e32 v159, v23, v63
	v_bitop3_b32 v62, v62, v162, v158 bitop3:0x80
	; wave barrier
	s_delay_alu instid0(VALU_DEP_1) | instskip(NEXT) | instid1(VALU_DEP_1)
	v_bitop3_b32 v62, v62, v165, v163 bitop3:0x80
	v_mbcnt_lo_u32_b32 v158, v62, 0
	v_cmp_ne_u32_e64 s17, 0, v62
	s_delay_alu instid0(VALU_DEP_2) | instskip(SKIP_1) | instid1(SALU_CYCLE_1)
	v_cmp_eq_u32_e32 vcc_lo, 0, v158
	s_and_b32 s18, s17, vcc_lo
	s_and_saveexec_b32 s17, s18
	s_cbranch_execz .LBB1010_146
; %bb.145:                              ;   in Loop: Header=BB1010_100 Depth=2
	s_wait_dscnt 0x0
	v_bcnt_u32_b32 v62, v62, v157
	ds_store_b32 v159, v62 offset:544
.LBB1010_146:                           ;   in Loop: Header=BB1010_100 Depth=2
	s_or_b32 exec_lo, exec_lo, s17
	v_xor_b32_e32 v155, 0xffff8000, v155
	; wave barrier
	s_delay_alu instid0(VALU_DEP_1) | instskip(NEXT) | instid1(VALU_DEP_1)
	v_and_b32_e32 v62, 0xffff, v155
	v_lshrrev_b32_e32 v62, s43, v62
	s_delay_alu instid0(VALU_DEP_1) | instskip(NEXT) | instid1(VALU_DEP_1)
	v_and_b32_e32 v165, s48, v62
	v_lshlrev_b32_e32 v162, 30, v165
	v_bitop3_b32 v63, v62, 1, s48 bitop3:0x80
	s_delay_alu instid0(VALU_DEP_1) | instskip(NEXT) | instid1(VALU_DEP_1)
	v_add_co_u32 v62, s17, v63, -1
	v_cndmask_b32_e64 v63, 0, 1, s17
	s_delay_alu instid0(VALU_DEP_4) | instskip(NEXT) | instid1(VALU_DEP_2)
	v_cmp_gt_i32_e64 s17, 0, v162
	v_cmp_ne_u32_e32 vcc_lo, 0, v63
	v_not_b32_e32 v63, v162
	v_bitop3_b32 v62, vcc_lo, exec_lo, v62 bitop3:0x48
	s_delay_alu instid0(VALU_DEP_2) | instskip(SKIP_2) | instid1(VALU_DEP_3)
	v_dual_ashrrev_i32 v63, 31, v63 :: v_dual_lshlrev_b32 v163, 29, v165
	v_dual_lshlrev_b32 v167, 28, v165 :: v_dual_lshlrev_b32 v168, 27, v165
	v_lshlrev_b32_e32 v170, 26, v165
	v_not_b32_e32 v162, v163
	v_lshlrev_b32_e32 v172, 25, v165
	v_cmp_gt_i32_e64 s18, 0, v163
	v_cmp_gt_i32_e64 s19, 0, v167
	v_not_b32_e32 v163, v167
	v_not_b32_e32 v167, v168
	v_ashrrev_i32_e32 v162, 31, v162
	v_cmp_gt_i32_e64 s20, 0, v168
	v_cmp_gt_i32_e64 s21, 0, v170
	v_not_b32_e32 v168, v170
	v_not_b32_e32 v170, v172
	v_dual_ashrrev_i32 v163, 31, v163 :: v_dual_bitop2_b32 v162, s18, v162 bitop3:0x14
	s_delay_alu instid0(VALU_DEP_3) | instskip(NEXT) | instid1(VALU_DEP_3)
	v_dual_ashrrev_i32 v167, 31, v167 :: v_dual_ashrrev_i32 v168, 31, v168
	v_dual_ashrrev_i32 v170, 31, v170 :: v_dual_bitop2_b32 v63, s17, v63 bitop3:0x14
	v_cmp_gt_i32_e64 s22, 0, v172
	s_delay_alu instid0(VALU_DEP_4) | instskip(NEXT) | instid1(VALU_DEP_4)
	v_xor_b32_e32 v163, s19, v163
	v_xor_b32_e32 v167, s20, v167
	s_delay_alu instid0(VALU_DEP_4) | instskip(SKIP_2) | instid1(VALU_DEP_3)
	v_bitop3_b32 v62, v62, v162, v63 bitop3:0x80
	v_mad_u32_u24 v63, v165, 36, v23
	v_xor_b32_e32 v170, s22, v170
	v_bitop3_b32 v62, v62, v167, v163 bitop3:0x80
	ds_load_b32 v162, v63 offset:544
	v_mul_u32_u24_e32 v63, 36, v165
	v_xor_b32_e32 v168, s21, v168
	; wave barrier
	s_delay_alu instid0(VALU_DEP_2) | instskip(NEXT) | instid1(VALU_DEP_2)
	v_add_nc_u32_e32 v165, v23, v63
	v_bitop3_b32 v62, v62, v170, v168 bitop3:0x80
	s_delay_alu instid0(VALU_DEP_1) | instskip(SKIP_1) | instid1(VALU_DEP_2)
	v_mbcnt_lo_u32_b32 v163, v62, 0
	v_cmp_ne_u32_e64 s17, 0, v62
	v_cmp_eq_u32_e32 vcc_lo, 0, v163
	s_and_b32 s18, s17, vcc_lo
	s_delay_alu instid0(SALU_CYCLE_1)
	s_and_saveexec_b32 s17, s18
	s_cbranch_execz .LBB1010_148
; %bb.147:                              ;   in Loop: Header=BB1010_100 Depth=2
	s_wait_dscnt 0x0
	v_bcnt_u32_b32 v62, v62, v162
	ds_store_b32 v165, v62 offset:544
.LBB1010_148:                           ;   in Loop: Header=BB1010_100 Depth=2
	s_or_b32 exec_lo, exec_lo, s17
	v_xor_b32_e32 v160, 0xffff8000, v160
	; wave barrier
	s_delay_alu instid0(VALU_DEP_1) | instskip(NEXT) | instid1(VALU_DEP_1)
	v_and_b32_e32 v62, 0xffff, v160
	v_lshrrev_b32_e32 v62, s43, v62
	s_delay_alu instid0(VALU_DEP_1) | instskip(SKIP_1) | instid1(VALU_DEP_2)
	v_bitop3_b32 v63, v62, 1, s48 bitop3:0x80
	v_and_b32_e32 v170, s48, v62
	v_add_co_u32 v62, s17, v63, -1
	s_delay_alu instid0(VALU_DEP_1) | instskip(NEXT) | instid1(VALU_DEP_3)
	v_cndmask_b32_e64 v63, 0, 1, s17
	v_dual_lshlrev_b32 v167, 30, v170 :: v_dual_lshlrev_b32 v168, 29, v170
	s_delay_alu instid0(VALU_DEP_2) | instskip(NEXT) | instid1(VALU_DEP_2)
	v_cmp_ne_u32_e32 vcc_lo, 0, v63
	v_cmp_gt_i32_e64 s17, 0, v167
	v_not_b32_e32 v63, v167
	s_delay_alu instid0(VALU_DEP_4) | instskip(SKIP_2) | instid1(VALU_DEP_4)
	v_not_b32_e32 v167, v168
	v_cmp_gt_i32_e64 s18, 0, v168
	v_bitop3_b32 v62, vcc_lo, exec_lo, v62 bitop3:0x48
	v_ashrrev_i32_e32 v63, 31, v63
	s_delay_alu instid0(VALU_DEP_4) | instskip(SKIP_1) | instid1(VALU_DEP_3)
	v_dual_ashrrev_i32 v167, 31, v167 :: v_dual_lshlrev_b32 v172, 28, v170
	v_dual_lshlrev_b32 v173, 27, v170 :: v_dual_lshlrev_b32 v175, 26, v170
	v_dual_lshlrev_b32 v177, 25, v170 :: v_dual_bitop2_b32 v63, s17, v63 bitop3:0x14
	s_delay_alu instid0(VALU_DEP_3) | instskip(SKIP_1) | instid1(VALU_DEP_4)
	v_cmp_gt_i32_e64 s19, 0, v172
	v_not_b32_e32 v168, v172
	v_not_b32_e32 v172, v173
	v_xor_b32_e32 v167, s18, v167
	v_cmp_gt_i32_e64 s20, 0, v173
	v_cmp_gt_i32_e64 s21, 0, v175
	v_ashrrev_i32_e32 v168, 31, v168
	v_ashrrev_i32_e32 v172, 31, v172
	v_not_b32_e32 v173, v175
	v_not_b32_e32 v175, v177
	v_bitop3_b32 v62, v62, v167, v63 bitop3:0x80
	v_mad_u32_u24 v63, v170, 36, v23
	v_cmp_gt_i32_e64 s22, 0, v177
	s_delay_alu instid0(VALU_DEP_4)
	v_dual_ashrrev_i32 v173, 31, v173 :: v_dual_ashrrev_i32 v175, 31, v175
	v_xor_b32_e32 v172, s20, v172
	ds_load_b32 v167, v63 offset:544
	v_mul_u32_u24_e32 v63, 36, v170
	v_xor_b32_e32 v168, s19, v168
	v_xor_b32_e32 v173, s21, v173
	;; [unrolled: 1-line block ×3, first 2 shown]
	s_delay_alu instid0(VALU_DEP_4) | instskip(NEXT) | instid1(VALU_DEP_4)
	v_add_nc_u32_e32 v170, v23, v63
	v_bitop3_b32 v62, v62, v172, v168 bitop3:0x80
	; wave barrier
	s_delay_alu instid0(VALU_DEP_1) | instskip(NEXT) | instid1(VALU_DEP_1)
	v_bitop3_b32 v62, v62, v175, v173 bitop3:0x80
	v_mbcnt_lo_u32_b32 v168, v62, 0
	v_cmp_ne_u32_e64 s17, 0, v62
	s_delay_alu instid0(VALU_DEP_2) | instskip(SKIP_1) | instid1(SALU_CYCLE_1)
	v_cmp_eq_u32_e32 vcc_lo, 0, v168
	s_and_b32 s18, s17, vcc_lo
	s_and_saveexec_b32 s17, s18
	s_cbranch_execz .LBB1010_150
; %bb.149:                              ;   in Loop: Header=BB1010_100 Depth=2
	s_wait_dscnt 0x0
	v_bcnt_u32_b32 v62, v62, v167
	ds_store_b32 v170, v62 offset:544
.LBB1010_150:                           ;   in Loop: Header=BB1010_100 Depth=2
	s_or_b32 exec_lo, exec_lo, s17
	v_xor_b32_e32 v166, 0xffff8000, v166
	; wave barrier
	s_delay_alu instid0(VALU_DEP_1) | instskip(NEXT) | instid1(VALU_DEP_1)
	v_and_b32_e32 v62, 0xffff, v166
	v_lshrrev_b32_e32 v62, s43, v62
	s_delay_alu instid0(VALU_DEP_1) | instskip(NEXT) | instid1(VALU_DEP_1)
	v_and_b32_e32 v175, s48, v62
	v_lshlrev_b32_e32 v172, 30, v175
	v_bitop3_b32 v63, v62, 1, s48 bitop3:0x80
	s_delay_alu instid0(VALU_DEP_1) | instskip(NEXT) | instid1(VALU_DEP_1)
	v_add_co_u32 v62, s17, v63, -1
	v_cndmask_b32_e64 v63, 0, 1, s17
	s_delay_alu instid0(VALU_DEP_4) | instskip(NEXT) | instid1(VALU_DEP_2)
	v_cmp_gt_i32_e64 s17, 0, v172
	v_cmp_ne_u32_e32 vcc_lo, 0, v63
	v_not_b32_e32 v63, v172
	v_bitop3_b32 v62, vcc_lo, exec_lo, v62 bitop3:0x48
	s_delay_alu instid0(VALU_DEP_2) | instskip(SKIP_2) | instid1(VALU_DEP_3)
	v_ashrrev_i32_e32 v63, 31, v63
	v_dual_lshlrev_b32 v173, 29, v175 :: v_dual_lshlrev_b32 v177, 28, v175
	v_dual_lshlrev_b32 v178, 27, v175 :: v_dual_lshlrev_b32 v179, 26, v175
	v_xor_b32_e32 v63, s17, v63
	s_delay_alu instid0(VALU_DEP_3)
	v_not_b32_e32 v172, v173
	v_lshlrev_b32_e32 v180, 25, v175
	v_cmp_gt_i32_e64 s18, 0, v173
	v_cmp_gt_i32_e64 s19, 0, v177
	v_not_b32_e32 v173, v177
	v_not_b32_e32 v177, v178
	v_ashrrev_i32_e32 v172, 31, v172
	v_cmp_gt_i32_e64 s20, 0, v178
	v_cmp_gt_i32_e64 s21, 0, v179
	v_ashrrev_i32_e32 v173, 31, v173
	s_delay_alu instid0(VALU_DEP_4) | instskip(SKIP_3) | instid1(VALU_DEP_4)
	v_dual_ashrrev_i32 v177, 31, v177 :: v_dual_bitop2_b32 v172, s18, v172 bitop3:0x14
	v_not_b32_e32 v178, v179
	v_not_b32_e32 v179, v180
	v_cmp_gt_i32_e64 s22, 0, v180
	v_xor_b32_e32 v177, s20, v177
	v_bitop3_b32 v62, v62, v172, v63 bitop3:0x80
	v_mad_u32_u24 v63, v175, 36, v23
	v_dual_ashrrev_i32 v178, 31, v178 :: v_dual_ashrrev_i32 v179, 31, v179
	ds_load_b32 v172, v63 offset:544
	v_mul_u32_u24_e32 v63, 36, v175
	v_xor_b32_e32 v173, s19, v173
	v_xor_b32_e32 v178, s21, v178
	;; [unrolled: 1-line block ×3, first 2 shown]
	s_delay_alu instid0(VALU_DEP_4) | instskip(NEXT) | instid1(VALU_DEP_4)
	v_add_nc_u32_e32 v175, v23, v63
	v_bitop3_b32 v62, v62, v177, v173 bitop3:0x80
	; wave barrier
	s_delay_alu instid0(VALU_DEP_1) | instskip(NEXT) | instid1(VALU_DEP_1)
	v_bitop3_b32 v62, v62, v179, v178 bitop3:0x80
	v_mbcnt_lo_u32_b32 v173, v62, 0
	v_cmp_ne_u32_e64 s17, 0, v62
	s_delay_alu instid0(VALU_DEP_2) | instskip(SKIP_1) | instid1(SALU_CYCLE_1)
	v_cmp_eq_u32_e32 vcc_lo, 0, v173
	s_and_b32 s18, s17, vcc_lo
	s_and_saveexec_b32 s17, s18
	s_cbranch_execz .LBB1010_152
; %bb.151:                              ;   in Loop: Header=BB1010_100 Depth=2
	s_wait_dscnt 0x0
	v_bcnt_u32_b32 v62, v62, v172
	ds_store_b32 v175, v62 offset:544
.LBB1010_152:                           ;   in Loop: Header=BB1010_100 Depth=2
	s_or_b32 exec_lo, exec_lo, s17
	v_xor_b32_e32 v171, 0xffff8000, v171
	; wave barrier
	s_delay_alu instid0(VALU_DEP_1) | instskip(NEXT) | instid1(VALU_DEP_1)
	v_and_b32_e32 v62, 0xffff, v171
	v_lshrrev_b32_e32 v62, s43, v62
	s_delay_alu instid0(VALU_DEP_1) | instskip(NEXT) | instid1(VALU_DEP_1)
	v_and_b32_e32 v179, s48, v62
	v_lshlrev_b32_e32 v177, 30, v179
	v_bitop3_b32 v63, v62, 1, s48 bitop3:0x80
	s_delay_alu instid0(VALU_DEP_1) | instskip(NEXT) | instid1(VALU_DEP_1)
	v_add_co_u32 v62, s17, v63, -1
	v_cndmask_b32_e64 v63, 0, 1, s17
	s_delay_alu instid0(VALU_DEP_4) | instskip(NEXT) | instid1(VALU_DEP_2)
	v_cmp_gt_i32_e64 s17, 0, v177
	v_cmp_ne_u32_e32 vcc_lo, 0, v63
	v_not_b32_e32 v63, v177
	v_bitop3_b32 v62, vcc_lo, exec_lo, v62 bitop3:0x48
	s_delay_alu instid0(VALU_DEP_2) | instskip(SKIP_2) | instid1(VALU_DEP_2)
	v_ashrrev_i32_e32 v63, 31, v63
	v_dual_lshlrev_b32 v178, 29, v179 :: v_dual_lshlrev_b32 v180, 28, v179
	v_dual_lshlrev_b32 v181, 27, v179 :: v_dual_lshlrev_b32 v182, 26, v179
	v_not_b32_e32 v177, v178
	v_lshlrev_b32_e32 v183, 25, v179
	v_cmp_gt_i32_e64 s18, 0, v178
	v_cmp_gt_i32_e64 s19, 0, v180
	v_not_b32_e32 v178, v180
	v_ashrrev_i32_e32 v177, 31, v177
	v_cmp_gt_i32_e64 s20, 0, v181
	v_not_b32_e32 v180, v181
	v_cmp_gt_i32_e64 s21, 0, v182
	v_not_b32_e32 v181, v182
	v_not_b32_e32 v182, v183
	v_xor_b32_e32 v63, s17, v63
	v_dual_ashrrev_i32 v178, 31, v178 :: v_dual_bitop2_b32 v177, s18, v177 bitop3:0x14
	s_delay_alu instid0(VALU_DEP_4) | instskip(NEXT) | instid1(VALU_DEP_4)
	v_dual_ashrrev_i32 v180, 31, v180 :: v_dual_ashrrev_i32 v181, 31, v181
	v_ashrrev_i32_e32 v182, 31, v182
	s_delay_alu instid0(VALU_DEP_3)
	v_bitop3_b32 v62, v62, v177, v63 bitop3:0x80
	v_mad_u32_u24 v63, v179, 36, v23
	v_cmp_gt_i32_e64 s22, 0, v183
	v_xor_b32_e32 v180, s20, v180
	v_xor_b32_e32 v181, s21, v181
	ds_load_b32 v177, v63 offset:544
	v_mul_u32_u24_e32 v63, 36, v179
	v_xor_b32_e32 v178, s19, v178
	v_xor_b32_e32 v182, s22, v182
	; wave barrier
	s_delay_alu instid0(VALU_DEP_3) | instskip(NEXT) | instid1(VALU_DEP_3)
	v_add_nc_u32_e32 v179, v23, v63
	v_bitop3_b32 v62, v62, v180, v178 bitop3:0x80
	s_delay_alu instid0(VALU_DEP_1) | instskip(NEXT) | instid1(VALU_DEP_1)
	v_bitop3_b32 v62, v62, v182, v181 bitop3:0x80
	v_mbcnt_lo_u32_b32 v178, v62, 0
	v_cmp_ne_u32_e64 s17, 0, v62
	s_delay_alu instid0(VALU_DEP_2) | instskip(SKIP_1) | instid1(SALU_CYCLE_1)
	v_cmp_eq_u32_e32 vcc_lo, 0, v178
	s_and_b32 s18, s17, vcc_lo
	s_and_saveexec_b32 s17, s18
	s_cbranch_execz .LBB1010_154
; %bb.153:                              ;   in Loop: Header=BB1010_100 Depth=2
	s_wait_dscnt 0x0
	v_bcnt_u32_b32 v62, v62, v177
	ds_store_b32 v179, v62 offset:544
.LBB1010_154:                           ;   in Loop: Header=BB1010_100 Depth=2
	s_or_b32 exec_lo, exec_lo, s17
	v_xor_b32_e32 v176, 0xffff8000, v176
	; wave barrier
	s_delay_alu instid0(VALU_DEP_1) | instskip(NEXT) | instid1(VALU_DEP_1)
	v_and_b32_e32 v62, 0xffff, v176
	v_lshrrev_b32_e32 v62, s43, v62
	s_delay_alu instid0(VALU_DEP_1) | instskip(SKIP_1) | instid1(VALU_DEP_2)
	v_bitop3_b32 v63, v62, 1, s48 bitop3:0x80
	v_and_b32_e32 v182, s48, v62
	v_add_co_u32 v62, s17, v63, -1
	s_delay_alu instid0(VALU_DEP_1) | instskip(NEXT) | instid1(VALU_DEP_3)
	v_cndmask_b32_e64 v63, 0, 1, s17
	v_dual_lshlrev_b32 v180, 30, v182 :: v_dual_lshlrev_b32 v181, 29, v182
	s_delay_alu instid0(VALU_DEP_2) | instskip(NEXT) | instid1(VALU_DEP_2)
	v_cmp_ne_u32_e32 vcc_lo, 0, v63
	v_cmp_gt_i32_e64 s17, 0, v180
	v_not_b32_e32 v63, v180
	s_delay_alu instid0(VALU_DEP_4) | instskip(SKIP_2) | instid1(VALU_DEP_3)
	v_not_b32_e32 v180, v181
	v_cmp_gt_i32_e64 s18, 0, v181
	v_bitop3_b32 v62, vcc_lo, exec_lo, v62 bitop3:0x48
	v_dual_ashrrev_i32 v63, 31, v63 :: v_dual_ashrrev_i32 v180, 31, v180
	v_dual_lshlrev_b32 v183, 28, v182 :: v_dual_lshlrev_b32 v184, 27, v182
	v_dual_lshlrev_b32 v185, 26, v182 :: v_dual_lshlrev_b32 v186, 25, v182
	s_delay_alu instid0(VALU_DEP_2) | instskip(SKIP_1) | instid1(VALU_DEP_4)
	v_cmp_gt_i32_e64 s19, 0, v183
	v_not_b32_e32 v181, v183
	v_cmp_gt_i32_e64 s20, 0, v184
	v_not_b32_e32 v183, v184
	;; [unrolled: 2-line block ×3, first 2 shown]
	v_not_b32_e32 v185, v186
	v_xor_b32_e32 v63, s17, v63
	v_dual_ashrrev_i32 v181, 31, v181 :: v_dual_bitop2_b32 v180, s18, v180 bitop3:0x14
	s_delay_alu instid0(VALU_DEP_4) | instskip(NEXT) | instid1(VALU_DEP_4)
	v_dual_ashrrev_i32 v183, 31, v183 :: v_dual_ashrrev_i32 v184, 31, v184
	v_ashrrev_i32_e32 v185, 31, v185
	s_delay_alu instid0(VALU_DEP_3)
	v_bitop3_b32 v62, v62, v180, v63 bitop3:0x80
	v_mad_u32_u24 v63, v182, 36, v23
	v_cmp_gt_i32_e64 s22, 0, v186
	v_xor_b32_e32 v183, s20, v183
	v_xor_b32_e32 v184, s21, v184
	ds_load_b32 v180, v63 offset:544
	v_mul_u32_u24_e32 v63, 36, v182
	v_xor_b32_e32 v181, s19, v181
	v_xor_b32_e32 v185, s22, v185
	; wave barrier
	s_delay_alu instid0(VALU_DEP_3) | instskip(NEXT) | instid1(VALU_DEP_3)
	v_add_nc_u32_e32 v182, v23, v63
	v_bitop3_b32 v62, v62, v183, v181 bitop3:0x80
	s_delay_alu instid0(VALU_DEP_1) | instskip(NEXT) | instid1(VALU_DEP_1)
	v_bitop3_b32 v62, v62, v185, v184 bitop3:0x80
	v_mbcnt_lo_u32_b32 v181, v62, 0
	v_cmp_ne_u32_e64 s17, 0, v62
	s_delay_alu instid0(VALU_DEP_2) | instskip(SKIP_1) | instid1(SALU_CYCLE_1)
	v_cmp_eq_u32_e32 vcc_lo, 0, v181
	s_and_b32 s18, s17, vcc_lo
	s_and_saveexec_b32 s17, s18
	s_cbranch_execz .LBB1010_156
; %bb.155:                              ;   in Loop: Header=BB1010_100 Depth=2
	s_wait_dscnt 0x0
	v_bcnt_u32_b32 v62, v62, v180
	ds_store_b32 v182, v62 offset:544
.LBB1010_156:                           ;   in Loop: Header=BB1010_100 Depth=2
	s_or_b32 exec_lo, exec_lo, s17
	v_xor_b32_e32 v174, 0xffff8000, v174
	; wave barrier
	s_delay_alu instid0(VALU_DEP_1) | instskip(NEXT) | instid1(VALU_DEP_1)
	v_and_b32_e32 v62, 0xffff, v174
	v_lshrrev_b32_e32 v62, s43, v62
	s_delay_alu instid0(VALU_DEP_1) | instskip(NEXT) | instid1(VALU_DEP_1)
	v_and_b32_e32 v185, s48, v62
	v_lshlrev_b32_e32 v183, 30, v185
	v_bitop3_b32 v63, v62, 1, s48 bitop3:0x80
	s_delay_alu instid0(VALU_DEP_1) | instskip(NEXT) | instid1(VALU_DEP_1)
	v_add_co_u32 v62, s17, v63, -1
	v_cndmask_b32_e64 v63, 0, 1, s17
	s_delay_alu instid0(VALU_DEP_4) | instskip(NEXT) | instid1(VALU_DEP_2)
	v_cmp_gt_i32_e64 s17, 0, v183
	v_cmp_ne_u32_e32 vcc_lo, 0, v63
	v_not_b32_e32 v63, v183
	v_bitop3_b32 v62, vcc_lo, exec_lo, v62 bitop3:0x48
	s_delay_alu instid0(VALU_DEP_2) | instskip(SKIP_2) | instid1(VALU_DEP_3)
	v_dual_ashrrev_i32 v63, 31, v63 :: v_dual_lshlrev_b32 v184, 29, v185
	v_dual_lshlrev_b32 v186, 28, v185 :: v_dual_lshlrev_b32 v187, 27, v185
	v_lshlrev_b32_e32 v188, 26, v185
	v_not_b32_e32 v183, v184
	v_lshlrev_b32_e32 v189, 25, v185
	v_cmp_gt_i32_e64 s18, 0, v184
	v_cmp_gt_i32_e64 s19, 0, v186
	v_not_b32_e32 v184, v186
	v_ashrrev_i32_e32 v183, 31, v183
	v_cmp_gt_i32_e64 s20, 0, v187
	v_not_b32_e32 v186, v187
	v_cmp_gt_i32_e64 s21, 0, v188
	v_not_b32_e32 v187, v188
	v_not_b32_e32 v188, v189
	v_xor_b32_e32 v63, s17, v63
	v_dual_ashrrev_i32 v184, 31, v184 :: v_dual_bitop2_b32 v183, s18, v183 bitop3:0x14
	s_delay_alu instid0(VALU_DEP_3) | instskip(SKIP_1) | instid1(VALU_DEP_3)
	v_dual_ashrrev_i32 v186, 31, v186 :: v_dual_ashrrev_i32 v188, 31, v188
	v_cmp_gt_i32_e64 s22, 0, v189
	v_bitop3_b32 v62, v62, v183, v63 bitop3:0x80
	v_mad_u32_u24 v63, v185, 36, v23
	v_dual_ashrrev_i32 v187, 31, v187 :: v_dual_bitop2_b32 v184, s19, v184 bitop3:0x14
	s_delay_alu instid0(VALU_DEP_4) | instskip(SKIP_4) | instid1(VALU_DEP_3)
	v_xor_b32_e32 v188, s22, v188
	ds_load_b32 v183, v63 offset:544
	v_mul_u32_u24_e32 v63, 36, v185
	v_xor_b32_e32 v186, s20, v186
	v_xor_b32_e32 v187, s21, v187
	; wave barrier
	v_add_nc_u32_e32 v185, v23, v63
	s_delay_alu instid0(VALU_DEP_3) | instskip(NEXT) | instid1(VALU_DEP_1)
	v_bitop3_b32 v62, v62, v186, v184 bitop3:0x80
	v_bitop3_b32 v62, v62, v188, v187 bitop3:0x80
	s_delay_alu instid0(VALU_DEP_1) | instskip(SKIP_1) | instid1(VALU_DEP_2)
	v_mbcnt_lo_u32_b32 v184, v62, 0
	v_cmp_ne_u32_e64 s17, 0, v62
	v_cmp_eq_u32_e32 vcc_lo, 0, v184
	s_and_b32 s18, s17, vcc_lo
	s_delay_alu instid0(SALU_CYCLE_1)
	s_and_saveexec_b32 s17, s18
	s_cbranch_execz .LBB1010_158
; %bb.157:                              ;   in Loop: Header=BB1010_100 Depth=2
	s_wait_dscnt 0x0
	v_bcnt_u32_b32 v62, v62, v183
	ds_store_b32 v185, v62 offset:544
.LBB1010_158:                           ;   in Loop: Header=BB1010_100 Depth=2
	s_or_b32 exec_lo, exec_lo, s17
	v_xor_b32_e32 v169, 0xffff8000, v169
	; wave barrier
	s_delay_alu instid0(VALU_DEP_1) | instskip(NEXT) | instid1(VALU_DEP_1)
	v_and_b32_e32 v62, 0xffff, v169
	v_lshrrev_b32_e32 v62, s43, v62
	s_delay_alu instid0(VALU_DEP_1) | instskip(SKIP_1) | instid1(VALU_DEP_2)
	v_bitop3_b32 v63, v62, 1, s48 bitop3:0x80
	v_and_b32_e32 v186, s48, v62
	v_add_co_u32 v62, s17, v63, -1
	s_delay_alu instid0(VALU_DEP_1) | instskip(NEXT) | instid1(VALU_DEP_3)
	v_cndmask_b32_e64 v63, 0, 1, s17
	v_dual_lshlrev_b32 v187, 30, v186 :: v_dual_lshlrev_b32 v188, 29, v186
	s_delay_alu instid0(VALU_DEP_2) | instskip(NEXT) | instid1(VALU_DEP_2)
	v_cmp_ne_u32_e32 vcc_lo, 0, v63
	v_cmp_gt_i32_e64 s17, 0, v187
	v_not_b32_e32 v63, v187
	s_delay_alu instid0(VALU_DEP_4) | instskip(SKIP_2) | instid1(VALU_DEP_4)
	v_not_b32_e32 v187, v188
	v_cmp_gt_i32_e64 s18, 0, v188
	v_bitop3_b32 v62, vcc_lo, exec_lo, v62 bitop3:0x48
	v_ashrrev_i32_e32 v63, 31, v63
	s_delay_alu instid0(VALU_DEP_4) | instskip(SKIP_1) | instid1(VALU_DEP_2)
	v_dual_ashrrev_i32 v187, 31, v187 :: v_dual_lshlrev_b32 v189, 28, v186
	v_dual_lshlrev_b32 v190, 27, v186 :: v_dual_lshlrev_b32 v191, 26, v186
	v_dual_lshlrev_b32 v192, 25, v186 :: v_dual_bitop2_b32 v187, s18, v187 bitop3:0x14
	s_delay_alu instid0(VALU_DEP_3) | instskip(SKIP_1) | instid1(VALU_DEP_4)
	v_cmp_gt_i32_e64 s19, 0, v189
	v_not_b32_e32 v188, v189
	v_cmp_gt_i32_e64 s20, 0, v190
	v_not_b32_e32 v189, v190
	v_not_b32_e32 v190, v191
	v_xor_b32_e32 v63, s17, v63
	v_cmp_gt_i32_e64 s21, 0, v191
	v_not_b32_e32 v191, v192
	v_dual_ashrrev_i32 v188, 31, v188 :: v_dual_ashrrev_i32 v189, 31, v189
	v_ashrrev_i32_e32 v190, 31, v190
	v_bitop3_b32 v62, v62, v187, v63 bitop3:0x80
	v_mad_u32_u24 v63, v186, 36, v23
	v_cmp_gt_i32_e64 s22, 0, v192
	v_dual_ashrrev_i32 v191, 31, v191 :: v_dual_bitop2_b32 v188, s19, v188 bitop3:0x14
	v_xor_b32_e32 v190, s21, v190
	ds_load_b32 v187, v63 offset:544
	v_mul_u32_u24_e32 v63, 36, v186
	v_xor_b32_e32 v189, s20, v189
	v_xor_b32_e32 v191, s22, v191
	; wave barrier
	s_delay_alu instid0(VALU_DEP_2) | instskip(NEXT) | instid1(VALU_DEP_1)
	v_bitop3_b32 v62, v62, v189, v188 bitop3:0x80
	v_bitop3_b32 v62, v62, v191, v190 bitop3:0x80
	v_add_nc_u32_e32 v190, v23, v63
	s_delay_alu instid0(VALU_DEP_2) | instskip(SKIP_1) | instid1(VALU_DEP_2)
	v_mbcnt_lo_u32_b32 v188, v62, 0
	v_cmp_ne_u32_e64 s17, 0, v62
	v_cmp_eq_u32_e32 vcc_lo, 0, v188
	s_and_b32 s18, s17, vcc_lo
	s_delay_alu instid0(SALU_CYCLE_1)
	s_and_saveexec_b32 s17, s18
	s_cbranch_execz .LBB1010_160
; %bb.159:                              ;   in Loop: Header=BB1010_100 Depth=2
	s_wait_dscnt 0x0
	v_bcnt_u32_b32 v62, v62, v187
	ds_store_b32 v190, v62 offset:544
.LBB1010_160:                           ;   in Loop: Header=BB1010_100 Depth=2
	s_or_b32 exec_lo, exec_lo, s17
	v_xor_b32_e32 v186, 0xffff8000, v164
	; wave barrier
	s_delay_alu instid0(VALU_DEP_1) | instskip(NEXT) | instid1(VALU_DEP_1)
	v_and_b32_e32 v62, 0xffff, v186
	v_lshrrev_b32_e32 v62, s43, v62
	s_delay_alu instid0(VALU_DEP_1) | instskip(NEXT) | instid1(VALU_DEP_1)
	v_and_b32_e32 v164, s48, v62
	v_lshlrev_b32_e32 v189, 30, v164
	v_bitop3_b32 v63, v62, 1, s48 bitop3:0x80
	s_delay_alu instid0(VALU_DEP_1) | instskip(NEXT) | instid1(VALU_DEP_1)
	v_add_co_u32 v62, s17, v63, -1
	v_cndmask_b32_e64 v63, 0, 1, s17
	s_delay_alu instid0(VALU_DEP_4) | instskip(NEXT) | instid1(VALU_DEP_2)
	v_cmp_gt_i32_e64 s17, 0, v189
	v_cmp_ne_u32_e32 vcc_lo, 0, v63
	v_not_b32_e32 v63, v189
	v_bitop3_b32 v62, vcc_lo, exec_lo, v62 bitop3:0x48
	s_delay_alu instid0(VALU_DEP_2) | instskip(SKIP_2) | instid1(VALU_DEP_3)
	v_dual_ashrrev_i32 v63, 31, v63 :: v_dual_lshlrev_b32 v191, 29, v164
	v_dual_lshlrev_b32 v192, 28, v164 :: v_dual_lshlrev_b32 v193, 27, v164
	v_lshlrev_b32_e32 v194, 26, v164
	v_not_b32_e32 v189, v191
	v_lshlrev_b32_e32 v195, 25, v164
	v_cmp_gt_i32_e64 s18, 0, v191
	v_cmp_gt_i32_e64 s19, 0, v192
	v_not_b32_e32 v191, v192
	v_not_b32_e32 v192, v193
	v_ashrrev_i32_e32 v189, 31, v189
	v_cmp_gt_i32_e64 s20, 0, v193
	v_cmp_gt_i32_e64 s21, 0, v194
	v_not_b32_e32 v193, v194
	v_not_b32_e32 v194, v195
	v_dual_ashrrev_i32 v191, 31, v191 :: v_dual_ashrrev_i32 v192, 31, v192
	s_delay_alu instid0(VALU_DEP_3) | instskip(NEXT) | instid1(VALU_DEP_3)
	v_dual_ashrrev_i32 v193, 31, v193 :: v_dual_bitop2_b32 v63, s17, v63 bitop3:0x14
	v_dual_ashrrev_i32 v194, 31, v194 :: v_dual_bitop2_b32 v189, s18, v189 bitop3:0x14
	v_cmp_gt_i32_e64 s22, 0, v195
	s_delay_alu instid0(VALU_DEP_4) | instskip(SKIP_1) | instid1(VALU_DEP_4)
	v_xor_b32_e32 v191, s19, v191
	v_xor_b32_e32 v192, s20, v192
	v_bitop3_b32 v62, v62, v189, v63 bitop3:0x80
	v_mad_u32_u24 v63, v164, 36, v23
	v_xor_b32_e32 v189, s21, v193
	v_xor_b32_e32 v193, s22, v194
	s_delay_alu instid0(VALU_DEP_4) | instskip(SKIP_3) | instid1(VALU_DEP_2)
	v_bitop3_b32 v62, v62, v192, v191 bitop3:0x80
	ds_load_b32 v191, v63 offset:544
	v_mul_u32_u24_e32 v63, 36, v164
	; wave barrier
	v_bitop3_b32 v62, v62, v193, v189 bitop3:0x80
	v_add_nc_u32_e32 v164, v23, v63
	s_delay_alu instid0(VALU_DEP_2) | instskip(SKIP_1) | instid1(VALU_DEP_2)
	v_mbcnt_lo_u32_b32 v192, v62, 0
	v_cmp_ne_u32_e64 s17, 0, v62
	v_cmp_eq_u32_e32 vcc_lo, 0, v192
	s_and_b32 s18, s17, vcc_lo
	s_delay_alu instid0(SALU_CYCLE_1)
	s_and_saveexec_b32 s17, s18
	s_cbranch_execz .LBB1010_162
; %bb.161:                              ;   in Loop: Header=BB1010_100 Depth=2
	s_wait_dscnt 0x0
	v_bcnt_u32_b32 v62, v62, v191
	ds_store_b32 v164, v62 offset:544
.LBB1010_162:                           ;   in Loop: Header=BB1010_100 Depth=2
	s_or_b32 exec_lo, exec_lo, s17
	v_xor_b32_e32 v189, 0xffff8000, v161
	; wave barrier
	s_delay_alu instid0(VALU_DEP_1) | instskip(NEXT) | instid1(VALU_DEP_1)
	v_and_b32_e32 v62, 0xffff, v189
	v_lshrrev_b32_e32 v62, s43, v62
	s_delay_alu instid0(VALU_DEP_1) | instskip(NEXT) | instid1(VALU_DEP_1)
	v_and_b32_e32 v161, s48, v62
	v_lshlrev_b32_e32 v193, 30, v161
	v_bitop3_b32 v63, v62, 1, s48 bitop3:0x80
	s_delay_alu instid0(VALU_DEP_1) | instskip(NEXT) | instid1(VALU_DEP_1)
	v_add_co_u32 v62, s17, v63, -1
	v_cndmask_b32_e64 v63, 0, 1, s17
	s_delay_alu instid0(VALU_DEP_4) | instskip(NEXT) | instid1(VALU_DEP_2)
	v_cmp_gt_i32_e64 s17, 0, v193
	v_cmp_ne_u32_e32 vcc_lo, 0, v63
	v_not_b32_e32 v63, v193
	v_bitop3_b32 v62, vcc_lo, exec_lo, v62 bitop3:0x48
	s_delay_alu instid0(VALU_DEP_2) | instskip(SKIP_2) | instid1(VALU_DEP_3)
	v_dual_ashrrev_i32 v63, 31, v63 :: v_dual_lshlrev_b32 v194, 29, v161
	v_dual_lshlrev_b32 v195, 28, v161 :: v_dual_lshlrev_b32 v196, 27, v161
	v_lshlrev_b32_e32 v197, 26, v161
	v_not_b32_e32 v193, v194
	v_cmp_gt_i32_e64 s18, 0, v194
	s_delay_alu instid0(VALU_DEP_4)
	v_cmp_gt_i32_e64 s19, 0, v195
	v_not_b32_e32 v194, v195
	v_lshlrev_b32_e32 v198, 25, v161
	v_not_b32_e32 v195, v196
	v_ashrrev_i32_e32 v193, 31, v193
	v_cmp_gt_i32_e64 s20, 0, v196
	v_cmp_gt_i32_e64 s21, 0, v197
	v_not_b32_e32 v196, v197
	v_ashrrev_i32_e32 v194, 31, v194
	v_not_b32_e32 v197, v198
	v_ashrrev_i32_e32 v195, 31, v195
	s_delay_alu instid0(VALU_DEP_4) | instskip(SKIP_4) | instid1(VALU_DEP_4)
	v_dual_ashrrev_i32 v196, 31, v196 :: v_dual_bitop2_b32 v63, s17, v63 bitop3:0x14
	v_xor_b32_e32 v193, s18, v193
	v_cmp_gt_i32_e64 s22, 0, v198
	v_dual_ashrrev_i32 v197, 31, v197 :: v_dual_bitop2_b32 v194, s19, v194 bitop3:0x14
	v_xor_b32_e32 v195, s20, v195
	v_bitop3_b32 v62, v62, v193, v63 bitop3:0x80
	v_mad_u32_u24 v63, v161, 36, v23
	v_xor_b32_e32 v193, s21, v196
	v_xor_b32_e32 v196, s22, v197
	s_delay_alu instid0(VALU_DEP_4) | instskip(SKIP_3) | instid1(VALU_DEP_2)
	v_bitop3_b32 v62, v62, v195, v194 bitop3:0x80
	ds_load_b32 v194, v63 offset:544
	v_mul_u32_u24_e32 v63, 36, v161
	; wave barrier
	v_bitop3_b32 v62, v62, v196, v193 bitop3:0x80
	v_add_nc_u32_e32 v161, v23, v63
	s_delay_alu instid0(VALU_DEP_2) | instskip(SKIP_1) | instid1(VALU_DEP_2)
	v_mbcnt_lo_u32_b32 v195, v62, 0
	v_cmp_ne_u32_e64 s17, 0, v62
	v_cmp_eq_u32_e32 vcc_lo, 0, v195
	s_and_b32 s18, s17, vcc_lo
	s_delay_alu instid0(SALU_CYCLE_1)
	s_and_saveexec_b32 s17, s18
	s_cbranch_execz .LBB1010_164
; %bb.163:                              ;   in Loop: Header=BB1010_100 Depth=2
	s_wait_dscnt 0x0
	v_bcnt_u32_b32 v62, v62, v194
	ds_store_b32 v161, v62 offset:544
.LBB1010_164:                           ;   in Loop: Header=BB1010_100 Depth=2
	s_or_b32 exec_lo, exec_lo, s17
	v_xor_b32_e32 v193, 0xffff8000, v156
	; wave barrier
	s_delay_alu instid0(VALU_DEP_1) | instskip(NEXT) | instid1(VALU_DEP_1)
	v_and_b32_e32 v62, 0xffff, v193
	v_lshrrev_b32_e32 v62, s43, v62
	s_delay_alu instid0(VALU_DEP_1) | instskip(NEXT) | instid1(VALU_DEP_1)
	v_and_b32_e32 v156, s48, v62
	v_lshlrev_b32_e32 v196, 30, v156
	v_bitop3_b32 v63, v62, 1, s48 bitop3:0x80
	s_delay_alu instid0(VALU_DEP_1) | instskip(NEXT) | instid1(VALU_DEP_1)
	v_add_co_u32 v62, s17, v63, -1
	v_cndmask_b32_e64 v63, 0, 1, s17
	s_delay_alu instid0(VALU_DEP_4) | instskip(NEXT) | instid1(VALU_DEP_2)
	v_cmp_gt_i32_e64 s17, 0, v196
	v_cmp_ne_u32_e32 vcc_lo, 0, v63
	v_not_b32_e32 v63, v196
	v_bitop3_b32 v62, vcc_lo, exec_lo, v62 bitop3:0x48
	s_delay_alu instid0(VALU_DEP_2) | instskip(SKIP_2) | instid1(VALU_DEP_3)
	v_dual_ashrrev_i32 v63, 31, v63 :: v_dual_lshlrev_b32 v197, 29, v156
	v_dual_lshlrev_b32 v198, 28, v156 :: v_dual_lshlrev_b32 v199, 27, v156
	v_lshlrev_b32_e32 v200, 26, v156
	v_not_b32_e32 v196, v197
	v_cmp_gt_i32_e64 s18, 0, v197
	s_delay_alu instid0(VALU_DEP_4)
	v_cmp_gt_i32_e64 s19, 0, v198
	v_not_b32_e32 v197, v198
	v_lshlrev_b32_e32 v201, 25, v156
	v_not_b32_e32 v198, v199
	v_ashrrev_i32_e32 v196, 31, v196
	v_cmp_gt_i32_e64 s20, 0, v199
	v_cmp_gt_i32_e64 s21, 0, v200
	v_not_b32_e32 v199, v200
	v_ashrrev_i32_e32 v197, 31, v197
	v_not_b32_e32 v200, v201
	v_dual_ashrrev_i32 v198, 31, v198 :: v_dual_bitop2_b32 v63, s17, v63 bitop3:0x14
	s_delay_alu instid0(VALU_DEP_4) | instskip(SKIP_1) | instid1(VALU_DEP_4)
	v_dual_ashrrev_i32 v199, 31, v199 :: v_dual_bitop2_b32 v196, s18, v196 bitop3:0x14
	v_cmp_gt_i32_e64 s22, 0, v201
	v_dual_ashrrev_i32 v200, 31, v200 :: v_dual_bitop2_b32 v197, s19, v197 bitop3:0x14
	s_delay_alu instid0(VALU_DEP_4) | instskip(NEXT) | instid1(VALU_DEP_4)
	v_xor_b32_e32 v198, s20, v198
	v_bitop3_b32 v62, v62, v196, v63 bitop3:0x80
	v_mad_u32_u24 v63, v156, 36, v23
	v_xor_b32_e32 v196, s21, v199
	v_xor_b32_e32 v199, s22, v200
	s_delay_alu instid0(VALU_DEP_4) | instskip(SKIP_3) | instid1(VALU_DEP_2)
	v_bitop3_b32 v62, v62, v198, v197 bitop3:0x80
	ds_load_b32 v197, v63 offset:544
	v_mul_u32_u24_e32 v63, 36, v156
	; wave barrier
	v_bitop3_b32 v62, v62, v199, v196 bitop3:0x80
	v_add_nc_u32_e32 v156, v23, v63
	s_delay_alu instid0(VALU_DEP_2) | instskip(SKIP_1) | instid1(VALU_DEP_2)
	v_mbcnt_lo_u32_b32 v198, v62, 0
	v_cmp_ne_u32_e64 s17, 0, v62
	v_cmp_eq_u32_e32 vcc_lo, 0, v198
	s_and_b32 s18, s17, vcc_lo
	s_delay_alu instid0(SALU_CYCLE_1)
	s_and_saveexec_b32 s17, s18
	s_cbranch_execz .LBB1010_166
; %bb.165:                              ;   in Loop: Header=BB1010_100 Depth=2
	s_wait_dscnt 0x0
	v_bcnt_u32_b32 v62, v62, v197
	ds_store_b32 v156, v62 offset:544
.LBB1010_166:                           ;   in Loop: Header=BB1010_100 Depth=2
	s_or_b32 exec_lo, exec_lo, s17
	v_xor_b32_e32 v196, 0xffff8000, v65
	; wave barrier
	s_delay_alu instid0(VALU_DEP_1) | instskip(NEXT) | instid1(VALU_DEP_1)
	v_and_b32_e32 v62, 0xffff, v196
	v_lshrrev_b32_e32 v62, s43, v62
	s_delay_alu instid0(VALU_DEP_1) | instskip(NEXT) | instid1(VALU_DEP_1)
	v_and_b32_e32 v65, s48, v62
	v_lshlrev_b32_e32 v199, 30, v65
	v_bitop3_b32 v63, v62, 1, s48 bitop3:0x80
	s_delay_alu instid0(VALU_DEP_1) | instskip(NEXT) | instid1(VALU_DEP_1)
	v_add_co_u32 v62, s17, v63, -1
	v_cndmask_b32_e64 v63, 0, 1, s17
	s_delay_alu instid0(VALU_DEP_4) | instskip(NEXT) | instid1(VALU_DEP_2)
	v_cmp_gt_i32_e64 s17, 0, v199
	v_cmp_ne_u32_e32 vcc_lo, 0, v63
	v_not_b32_e32 v63, v199
	v_bitop3_b32 v62, vcc_lo, exec_lo, v62 bitop3:0x48
	s_delay_alu instid0(VALU_DEP_2) | instskip(SKIP_2) | instid1(VALU_DEP_3)
	v_dual_ashrrev_i32 v63, 31, v63 :: v_dual_lshlrev_b32 v200, 29, v65
	v_dual_lshlrev_b32 v201, 28, v65 :: v_dual_lshlrev_b32 v202, 27, v65
	v_lshlrev_b32_e32 v203, 26, v65
	v_not_b32_e32 v199, v200
	v_lshlrev_b32_e32 v204, 25, v65
	v_cmp_gt_i32_e64 s18, 0, v200
	v_cmp_gt_i32_e64 s19, 0, v201
	v_not_b32_e32 v200, v201
	v_not_b32_e32 v201, v202
	v_ashrrev_i32_e32 v199, 31, v199
	v_cmp_gt_i32_e64 s20, 0, v202
	v_cmp_gt_i32_e64 s21, 0, v203
	v_not_b32_e32 v202, v203
	v_not_b32_e32 v203, v204
	v_dual_ashrrev_i32 v200, 31, v200 :: v_dual_ashrrev_i32 v201, 31, v201
	s_delay_alu instid0(VALU_DEP_3) | instskip(SKIP_2) | instid1(VALU_DEP_4)
	v_dual_ashrrev_i32 v202, 31, v202 :: v_dual_bitop2_b32 v63, s17, v63 bitop3:0x14
	v_xor_b32_e32 v199, s18, v199
	v_cmp_gt_i32_e64 s22, 0, v204
	v_dual_ashrrev_i32 v203, 31, v203 :: v_dual_bitop2_b32 v200, s19, v200 bitop3:0x14
	v_xor_b32_e32 v201, s20, v201
	s_delay_alu instid0(VALU_DEP_4) | instskip(SKIP_3) | instid1(VALU_DEP_4)
	v_bitop3_b32 v62, v62, v199, v63 bitop3:0x80
	v_mad_u32_u24 v63, v65, 36, v23
	v_xor_b32_e32 v199, s21, v202
	v_xor_b32_e32 v202, s22, v203
	v_bitop3_b32 v62, v62, v201, v200 bitop3:0x80
	ds_load_b32 v200, v63 offset:544
	v_mul_u32_u24_e32 v63, 36, v65
	; wave barrier
	v_bitop3_b32 v62, v62, v202, v199 bitop3:0x80
	s_delay_alu instid0(VALU_DEP_2) | instskip(NEXT) | instid1(VALU_DEP_2)
	v_add_nc_u32_e32 v202, v23, v63
	v_mbcnt_lo_u32_b32 v201, v62, 0
	v_cmp_ne_u32_e64 s17, 0, v62
	s_delay_alu instid0(VALU_DEP_2) | instskip(SKIP_1) | instid1(SALU_CYCLE_1)
	v_cmp_eq_u32_e32 vcc_lo, 0, v201
	s_and_b32 s18, s17, vcc_lo
	s_and_saveexec_b32 s17, s18
	s_cbranch_execz .LBB1010_168
; %bb.167:                              ;   in Loop: Header=BB1010_100 Depth=2
	s_wait_dscnt 0x0
	v_bcnt_u32_b32 v62, v62, v200
	ds_store_b32 v202, v62 offset:544
.LBB1010_168:                           ;   in Loop: Header=BB1010_100 Depth=2
	s_or_b32 exec_lo, exec_lo, s17
	v_xor_b32_e32 v199, 0xffff8000, v64
	; wave barrier
	s_delay_alu instid0(VALU_DEP_1) | instskip(NEXT) | instid1(VALU_DEP_1)
	v_and_b32_e32 v62, 0xffff, v199
	v_lshrrev_b32_e32 v62, s43, v62
	s_delay_alu instid0(VALU_DEP_1) | instskip(NEXT) | instid1(VALU_DEP_1)
	v_and_b32_e32 v64, s48, v62
	v_lshlrev_b32_e32 v65, 30, v64
	v_bitop3_b32 v63, v62, 1, s48 bitop3:0x80
	s_delay_alu instid0(VALU_DEP_1) | instskip(NEXT) | instid1(VALU_DEP_1)
	v_add_co_u32 v62, s17, v63, -1
	v_cndmask_b32_e64 v63, 0, 1, s17
	s_delay_alu instid0(VALU_DEP_4) | instskip(NEXT) | instid1(VALU_DEP_2)
	v_cmp_gt_i32_e64 s17, 0, v65
	v_cmp_ne_u32_e32 vcc_lo, 0, v63
	v_not_b32_e32 v63, v65
	v_bitop3_b32 v62, vcc_lo, exec_lo, v62 bitop3:0x48
	s_delay_alu instid0(VALU_DEP_2) | instskip(SKIP_2) | instid1(VALU_DEP_3)
	v_dual_ashrrev_i32 v63, 31, v63 :: v_dual_lshlrev_b32 v203, 29, v64
	v_dual_lshlrev_b32 v204, 28, v64 :: v_dual_lshlrev_b32 v205, 27, v64
	v_lshlrev_b32_e32 v206, 26, v64
	v_not_b32_e32 v65, v203
	v_lshlrev_b32_e32 v207, 25, v64
	v_cmp_gt_i32_e64 s18, 0, v203
	v_cmp_gt_i32_e64 s19, 0, v204
	v_not_b32_e32 v203, v204
	v_not_b32_e32 v204, v205
	v_ashrrev_i32_e32 v65, 31, v65
	v_cmp_gt_i32_e64 s20, 0, v205
	v_cmp_gt_i32_e64 s21, 0, v206
	v_not_b32_e32 v205, v206
	v_not_b32_e32 v206, v207
	v_dual_ashrrev_i32 v203, 31, v203 :: v_dual_ashrrev_i32 v204, 31, v204
	s_delay_alu instid0(VALU_DEP_3) | instskip(NEXT) | instid1(VALU_DEP_3)
	v_dual_ashrrev_i32 v205, 31, v205 :: v_dual_bitop2_b32 v63, s17, v63 bitop3:0x14
	v_dual_ashrrev_i32 v206, 31, v206 :: v_dual_bitop2_b32 v65, s18, v65 bitop3:0x14
	v_cmp_gt_i32_e64 s22, 0, v207
	s_delay_alu instid0(VALU_DEP_4) | instskip(SKIP_1) | instid1(VALU_DEP_4)
	v_xor_b32_e32 v203, s19, v203
	v_xor_b32_e32 v204, s20, v204
	v_bitop3_b32 v62, v62, v65, v63 bitop3:0x80
	v_mad_u32_u24 v63, v64, 36, v23
	v_xor_b32_e32 v65, s21, v205
	v_xor_b32_e32 v205, s22, v206
	s_delay_alu instid0(VALU_DEP_4) | instskip(SKIP_3) | instid1(VALU_DEP_2)
	v_bitop3_b32 v62, v62, v204, v203 bitop3:0x80
	ds_load_b32 v203, v63 offset:544
	v_mul_u32_u24_e32 v63, 36, v64
	; wave barrier
	v_bitop3_b32 v62, v62, v205, v65 bitop3:0x80
	v_add_nc_u32_e32 v205, v23, v63
	s_delay_alu instid0(VALU_DEP_2) | instskip(SKIP_1) | instid1(VALU_DEP_2)
	v_mbcnt_lo_u32_b32 v204, v62, 0
	v_cmp_ne_u32_e64 s17, 0, v62
	v_cmp_eq_u32_e32 vcc_lo, 0, v204
	s_and_b32 s18, s17, vcc_lo
	s_delay_alu instid0(SALU_CYCLE_1)
	s_and_saveexec_b32 s17, s18
	s_cbranch_execz .LBB1010_170
; %bb.169:                              ;   in Loop: Header=BB1010_100 Depth=2
	s_wait_dscnt 0x0
	v_bcnt_u32_b32 v62, v62, v203
	ds_store_b32 v205, v62 offset:544
.LBB1010_170:                           ;   in Loop: Header=BB1010_100 Depth=2
	s_or_b32 exec_lo, exec_lo, s17
	v_and_b32_e32 v62, 0xffff, v142
	; wave barrier
	s_delay_alu instid0(VALU_DEP_1) | instskip(NEXT) | instid1(VALU_DEP_1)
	v_lshrrev_b32_e32 v62, s43, v62
	v_and_b32_e32 v64, s48, v62
	s_delay_alu instid0(VALU_DEP_1) | instskip(SKIP_1) | instid1(VALU_DEP_1)
	v_lshlrev_b32_e32 v65, 30, v64
	v_bitop3_b32 v63, v62, 1, s48 bitop3:0x80
	v_add_co_u32 v62, s17, v63, -1
	s_delay_alu instid0(VALU_DEP_1) | instskip(NEXT) | instid1(VALU_DEP_4)
	v_cndmask_b32_e64 v63, 0, 1, s17
	v_cmp_gt_i32_e64 s17, 0, v65
	s_delay_alu instid0(VALU_DEP_2) | instskip(SKIP_2) | instid1(VALU_DEP_2)
	v_cmp_ne_u32_e32 vcc_lo, 0, v63
	v_not_b32_e32 v63, v65
	v_bitop3_b32 v62, vcc_lo, exec_lo, v62 bitop3:0x48
	v_dual_ashrrev_i32 v63, 31, v63 :: v_dual_lshlrev_b32 v206, 29, v64
	v_dual_lshlrev_b32 v207, 28, v64 :: v_dual_lshlrev_b32 v208, 27, v64
	v_lshlrev_b32_e32 v209, 26, v64
	s_delay_alu instid0(VALU_DEP_3)
	v_not_b32_e32 v65, v206
	v_lshlrev_b32_e32 v210, 25, v64
	v_cmp_gt_i32_e64 s18, 0, v206
	v_cmp_gt_i32_e64 s19, 0, v207
	v_not_b32_e32 v206, v207
	v_not_b32_e32 v207, v208
	v_ashrrev_i32_e32 v65, 31, v65
	v_cmp_gt_i32_e64 s20, 0, v208
	v_cmp_gt_i32_e64 s21, 0, v209
	v_not_b32_e32 v208, v209
	v_dual_ashrrev_i32 v206, 31, v206 :: v_dual_ashrrev_i32 v207, 31, v207
	v_xor_b32_e32 v63, s17, v63
	v_xor_b32_e32 v65, s18, v65
	v_not_b32_e32 v209, v210
	s_delay_alu instid0(VALU_DEP_4) | instskip(SKIP_1) | instid1(VALU_DEP_4)
	v_dual_ashrrev_i32 v208, 31, v208 :: v_dual_bitop2_b32 v206, s19, v206 bitop3:0x14
	v_xor_b32_e32 v207, s20, v207
	v_bitop3_b32 v62, v62, v65, v63 bitop3:0x80
	v_cmp_gt_i32_e32 vcc_lo, 0, v210
	v_ashrrev_i32_e32 v63, 31, v209
	v_mad_u32_u24 v65, v64, 36, v23
	v_xor_b32_e32 v208, s21, v208
	v_bitop3_b32 v62, v62, v207, v206 bitop3:0x80
	s_delay_alu instid0(VALU_DEP_4) | instskip(SKIP_3) | instid1(VALU_DEP_2)
	v_xor_b32_e32 v63, vcc_lo, v63
	ds_load_b32 v206, v65 offset:544
	; wave barrier
	v_bitop3_b32 v62, v62, v63, v208 bitop3:0x80
	v_mul_u32_u24_e32 v63, 36, v64
	v_mbcnt_lo_u32_b32 v207, v62, 0
	v_cmp_ne_u32_e64 s17, 0, v62
	s_delay_alu instid0(VALU_DEP_3) | instskip(NEXT) | instid1(VALU_DEP_3)
	v_add_nc_u32_e32 v208, v23, v63
	v_cmp_eq_u32_e32 vcc_lo, 0, v207
	s_and_b32 s18, s17, vcc_lo
	s_delay_alu instid0(SALU_CYCLE_1)
	s_and_saveexec_b32 s17, s18
	s_cbranch_execz .LBB1010_172
; %bb.171:                              ;   in Loop: Header=BB1010_100 Depth=2
	s_wait_dscnt 0x0
	v_bcnt_u32_b32 v62, v62, v206
	ds_store_b32 v208, v62 offset:544
.LBB1010_172:                           ;   in Loop: Header=BB1010_100 Depth=2
	s_or_b32 exec_lo, exec_lo, s17
	; wave barrier
	s_wait_dscnt 0x0
	s_barrier_signal -1
	s_barrier_wait -1
	ds_load_2addr_b32 v[64:65], v89 offset0:136 offset1:137
	ds_load_2addr_b32 v[62:63], v89 offset0:138 offset1:139
	ds_load_b32 v209, v89 offset:560
	s_wait_dscnt 0x1
	v_add3_u32 v210, v65, v64, v62
	s_wait_dscnt 0x0
	s_delay_alu instid0(VALU_DEP_1) | instskip(NEXT) | instid1(VALU_DEP_1)
	v_add3_u32 v209, v210, v63, v209
	v_mov_b32_dpp v210, v209 row_shr:1 row_mask:0xf bank_mask:0xf
	s_delay_alu instid0(VALU_DEP_1) | instskip(NEXT) | instid1(VALU_DEP_1)
	v_cndmask_b32_e64 v210, v210, 0, s9
	v_add_nc_u32_e32 v209, v210, v209
	s_delay_alu instid0(VALU_DEP_1) | instskip(NEXT) | instid1(VALU_DEP_1)
	v_mov_b32_dpp v210, v209 row_shr:2 row_mask:0xf bank_mask:0xf
	v_cndmask_b32_e64 v210, 0, v210, s10
	s_delay_alu instid0(VALU_DEP_1) | instskip(NEXT) | instid1(VALU_DEP_1)
	v_add_nc_u32_e32 v209, v209, v210
	v_mov_b32_dpp v210, v209 row_shr:4 row_mask:0xf bank_mask:0xf
	s_delay_alu instid0(VALU_DEP_1) | instskip(NEXT) | instid1(VALU_DEP_1)
	v_cndmask_b32_e64 v210, 0, v210, s11
	v_add_nc_u32_e32 v209, v209, v210
	s_delay_alu instid0(VALU_DEP_1) | instskip(NEXT) | instid1(VALU_DEP_1)
	v_mov_b32_dpp v210, v209 row_shr:8 row_mask:0xf bank_mask:0xf
	v_cndmask_b32_e64 v210, 0, v210, s12
	s_delay_alu instid0(VALU_DEP_1) | instskip(SKIP_3) | instid1(VALU_DEP_1)
	v_add_nc_u32_e32 v209, v209, v210
	ds_swizzle_b32 v210, v209 offset:swizzle(BROADCAST,32,15)
	s_wait_dscnt 0x0
	v_cndmask_b32_e64 v210, v210, 0, s13
	v_add_nc_u32_e32 v209, v209, v210
	s_and_saveexec_b32 s17, s2
; %bb.173:                              ;   in Loop: Header=BB1010_100 Depth=2
	ds_store_b32 v82, v209 offset:512
; %bb.174:                              ;   in Loop: Header=BB1010_100 Depth=2
	s_or_b32 exec_lo, exec_lo, s17
	s_wait_dscnt 0x0
	s_barrier_signal -1
	s_barrier_wait -1
	s_and_saveexec_b32 s17, s3
	s_cbranch_execz .LBB1010_176
; %bb.175:                              ;   in Loop: Header=BB1010_100 Depth=2
	ds_load_b32 v210, v91 offset:512
	s_wait_dscnt 0x0
	v_mov_b32_dpp v211, v210 row_shr:1 row_mask:0xf bank_mask:0xf
	s_delay_alu instid0(VALU_DEP_1) | instskip(NEXT) | instid1(VALU_DEP_1)
	v_cndmask_b32_e64 v211, v211, 0, s14
	v_add_nc_u32_e32 v210, v211, v210
	s_delay_alu instid0(VALU_DEP_1) | instskip(NEXT) | instid1(VALU_DEP_1)
	v_mov_b32_dpp v211, v210 row_shr:2 row_mask:0xf bank_mask:0xf
	v_cndmask_b32_e64 v211, 0, v211, s15
	s_delay_alu instid0(VALU_DEP_1) | instskip(NEXT) | instid1(VALU_DEP_1)
	v_add_nc_u32_e32 v210, v210, v211
	v_mov_b32_dpp v211, v210 row_shr:4 row_mask:0xf bank_mask:0xf
	s_delay_alu instid0(VALU_DEP_1) | instskip(NEXT) | instid1(VALU_DEP_1)
	v_cndmask_b32_e64 v211, 0, v211, s16
	v_add_nc_u32_e32 v210, v210, v211
	ds_store_b32 v91, v210 offset:512
.LBB1010_176:                           ;   in Loop: Header=BB1010_100 Depth=2
	s_or_b32 exec_lo, exec_lo, s17
	v_mov_b32_e32 v210, 0
	s_wait_dscnt 0x0
	s_barrier_signal -1
	s_barrier_wait -1
	s_and_saveexec_b32 s17, s5
; %bb.177:                              ;   in Loop: Header=BB1010_100 Depth=2
	ds_load_b32 v210, v82 offset:508
; %bb.178:                              ;   in Loop: Header=BB1010_100 Depth=2
	s_or_b32 exec_lo, exec_lo, s17
	s_wait_dscnt 0x0
	v_add_nc_u32_e32 v209, v210, v209
	ds_bpermute_b32 v209, v121, v209
	s_wait_dscnt 0x0
	v_cndmask_b32_e64 v209, v209, v210, s8
	s_delay_alu instid0(VALU_DEP_1) | instskip(NEXT) | instid1(VALU_DEP_1)
	v_cndmask_b32_e64 v209, v209, 0, s6
	v_add_nc_u32_e32 v64, v209, v64
	s_delay_alu instid0(VALU_DEP_1) | instskip(NEXT) | instid1(VALU_DEP_1)
	v_add_nc_u32_e32 v65, v64, v65
	v_add_nc_u32_e32 v62, v65, v62
	s_delay_alu instid0(VALU_DEP_1)
	v_add_nc_u32_e32 v63, v62, v63
	ds_store_2addr_b32 v89, v209, v64 offset0:136 offset1:137
	ds_store_2addr_b32 v89, v65, v62 offset0:138 offset1:139
	ds_store_b32 v89, v63 offset:560
	s_wait_dscnt 0x0
	s_barrier_signal -1
	s_barrier_wait -1
	ds_load_b32 v64, v146 offset:544
	ds_load_b32 v65, v150 offset:544
	;; [unrolled: 1-line block ×17, first 2 shown]
	s_and_saveexec_b32 s17, s0
	s_cbranch_execz .LBB1010_182
; %bb.179:                              ;   in Loop: Header=BB1010_100 Depth=2
	ds_load_b32 v137, v92 offset:544
	v_mov_b32_e32 v140, 0x1100
	s_and_saveexec_b32 s18, s7
; %bb.180:                              ;   in Loop: Header=BB1010_100 Depth=2
	ds_load_b32 v140, v93 offset:544
; %bb.181:                              ;   in Loop: Header=BB1010_100 Depth=2
	s_or_b32 exec_lo, exec_lo, s18
	s_wait_dscnt 0x0
	v_sub_nc_u32_e32 v140, v140, v137
.LBB1010_182:                           ;   in Loop: Header=BB1010_100 Depth=2
	s_or_b32 exec_lo, exec_lo, s17
	s_wait_dscnt 0x0
	s_barrier_signal -1
	s_barrier_wait -1
	s_and_saveexec_b32 s17, s0
	s_cbranch_execz .LBB1010_184
; %bb.183:                              ;   in Loop: Header=BB1010_100 Depth=2
	ds_load_b32 v156, v3
	s_wait_dscnt 0x0
	v_sub_nc_u32_e32 v156, v156, v137
	ds_store_b32 v3, v156
.LBB1010_184:                           ;   in Loop: Header=BB1010_100 Depth=2
	s_or_b32 exec_lo, exec_lo, s17
	v_add3_u32 v161, v153, v152, v146
	v_add_nc_u32_e32 v165, v64, v144
	v_add3_u32 v164, v149, v148, v65
	v_add3_u32 v159, v158, v157, v150
	;; [unrolled: 1-line block ×4, first 2 shown]
	v_lshlrev_b32_e32 v62, 1, v161
	v_dual_lshlrev_b32 v162, 1, v165 :: v_dual_lshlrev_b32 v163, 1, v164
	v_add3_u32 v157, v168, v167, v209
	v_add3_u32 v156, v173, v172, v175
	;; [unrolled: 1-line block ×5, first 2 shown]
	v_lshlrev_b32_e32 v63, 1, v159
	v_add3_u32 v152, v184, v183, v185
	ds_store_b16 v162, v143 offset:512
	ds_store_b16 v163, v145 offset:512
	v_lshlrev_b32_e32 v143, 1, v158
	v_add3_u32 v150, v188, v187, v190
	v_dual_lshlrev_b32 v145, 1, v157 :: v_dual_lshlrev_b32 v162, 1, v156
	v_add3_u32 v149, v192, v191, v210
	v_add3_u32 v65, v195, v194, v211
	ds_store_b16 v62, v147 offset:512
	ds_store_b16 v63, v151 offset:512
	ds_store_b16 v143, v155 offset:512
	ds_store_b16 v145, v160 offset:512
	ds_store_b16 v162, v166 offset:512
	v_dual_lshlrev_b32 v62, 1, v154 :: v_dual_lshlrev_b32 v63, 1, v153
	v_add3_u32 v64, v198, v197, v212
	v_dual_lshlrev_b32 v143, 1, v152 :: v_dual_lshlrev_b32 v145, 1, v150
	v_add3_u32 v144, v207, v206, v170
	v_lshlrev_b32_e32 v147, 1, v149
	ds_store_b16 v62, v171 offset:512
	ds_store_b16 v63, v176 offset:512
	;; [unrolled: 1-line block ×5, first 2 shown]
	v_dual_lshlrev_b32 v62, 1, v65 :: v_dual_lshlrev_b32 v143, 1, v148
	v_cmp_lt_u32_e32 vcc_lo, v2, v141
	v_dual_lshlrev_b32 v63, 1, v64 :: v_dual_lshlrev_b32 v145, 1, v146
	v_lshlrev_b32_e32 v147, 1, v144
	ds_store_b16 v62, v189 offset:512
	ds_store_b16 v63, v193 offset:512
	;; [unrolled: 1-line block ×5, first 2 shown]
	s_wait_dscnt 0x0
	s_barrier_signal -1
	s_barrier_wait -1
	s_and_saveexec_b32 s17, vcc_lo
	s_cbranch_execnz .LBB1010_257
; %bb.185:                              ;   in Loop: Header=BB1010_100 Depth=2
	s_or_b32 exec_lo, exec_lo, s17
	v_cmp_lt_u32_e64 s17, v66, v141
	s_and_saveexec_b32 s18, s17
	s_cbranch_execnz .LBB1010_258
.LBB1010_186:                           ;   in Loop: Header=BB1010_100 Depth=2
	s_or_b32 exec_lo, exec_lo, s18
	v_cmp_lt_u32_e64 s18, v67, v141
	s_and_saveexec_b32 s19, s18
	s_cbranch_execnz .LBB1010_259
.LBB1010_187:                           ;   in Loop: Header=BB1010_100 Depth=2
	s_or_b32 exec_lo, exec_lo, s19
	v_cmp_lt_u32_e64 s19, v68, v141
	s_and_saveexec_b32 s20, s19
	s_cbranch_execnz .LBB1010_260
.LBB1010_188:                           ;   in Loop: Header=BB1010_100 Depth=2
	s_or_b32 exec_lo, exec_lo, s20
	v_cmp_lt_u32_e64 s20, v69, v141
	s_and_saveexec_b32 s21, s20
	s_cbranch_execnz .LBB1010_261
.LBB1010_189:                           ;   in Loop: Header=BB1010_100 Depth=2
	s_or_b32 exec_lo, exec_lo, s21
	v_cmp_lt_u32_e64 s21, v70, v141
	s_and_saveexec_b32 s22, s21
	s_cbranch_execnz .LBB1010_262
.LBB1010_190:                           ;   in Loop: Header=BB1010_100 Depth=2
	s_or_b32 exec_lo, exec_lo, s22
	v_cmp_lt_u32_e64 s22, v71, v141
	s_and_saveexec_b32 s23, s22
	s_cbranch_execnz .LBB1010_263
.LBB1010_191:                           ;   in Loop: Header=BB1010_100 Depth=2
	s_or_b32 exec_lo, exec_lo, s23
	v_cmp_lt_u32_e64 s23, v72, v141
	s_and_saveexec_b32 s24, s23
	s_cbranch_execnz .LBB1010_264
.LBB1010_192:                           ;   in Loop: Header=BB1010_100 Depth=2
	s_or_b32 exec_lo, exec_lo, s24
	v_cmp_lt_u32_e64 s24, v73, v141
	s_and_saveexec_b32 s25, s24
	s_cbranch_execnz .LBB1010_265
.LBB1010_193:                           ;   in Loop: Header=BB1010_100 Depth=2
	s_or_b32 exec_lo, exec_lo, s25
	v_cmp_lt_u32_e64 s25, v74, v141
	s_and_saveexec_b32 s26, s25
	s_cbranch_execnz .LBB1010_266
.LBB1010_194:                           ;   in Loop: Header=BB1010_100 Depth=2
	s_or_b32 exec_lo, exec_lo, s26
	v_cmp_lt_u32_e64 s26, v75, v141
	s_and_saveexec_b32 s27, s26
	s_cbranch_execnz .LBB1010_267
.LBB1010_195:                           ;   in Loop: Header=BB1010_100 Depth=2
	s_or_b32 exec_lo, exec_lo, s27
	v_cmp_lt_u32_e64 s27, v76, v141
	s_and_saveexec_b32 s28, s27
	s_cbranch_execnz .LBB1010_268
.LBB1010_196:                           ;   in Loop: Header=BB1010_100 Depth=2
	s_or_b32 exec_lo, exec_lo, s28
	v_cmp_lt_u32_e64 s28, v77, v141
	s_and_saveexec_b32 s29, s28
	s_cbranch_execnz .LBB1010_269
.LBB1010_197:                           ;   in Loop: Header=BB1010_100 Depth=2
	s_or_b32 exec_lo, exec_lo, s29
	v_cmp_lt_u32_e64 s29, v78, v141
	s_and_saveexec_b32 s30, s29
	s_cbranch_execnz .LBB1010_270
.LBB1010_198:                           ;   in Loop: Header=BB1010_100 Depth=2
	s_or_b32 exec_lo, exec_lo, s30
	v_cmp_lt_u32_e64 s30, v79, v141
	s_and_saveexec_b32 s31, s30
	s_cbranch_execnz .LBB1010_271
.LBB1010_199:                           ;   in Loop: Header=BB1010_100 Depth=2
	s_or_b32 exec_lo, exec_lo, s31
	v_cmp_lt_u32_e64 s31, v80, v141
	s_and_saveexec_b32 s33, s31
	s_cbranch_execnz .LBB1010_272
.LBB1010_200:                           ;   in Loop: Header=BB1010_100 Depth=2
	s_or_b32 exec_lo, exec_lo, s33
	v_cmp_lt_u32_e64 s33, v81, v141
	s_and_saveexec_b32 s60, s33
	s_cbranch_execz .LBB1010_202
.LBB1010_201:                           ;   in Loop: Header=BB1010_100 Depth=2
	ds_load_u16 v62, v94 offset:8704
	s_wait_dscnt 0x0
	v_and_b32_e32 v63, 0xffff, v62
	v_xor_b32_e32 v62, 0xffff8000, v62
	s_delay_alu instid0(VALU_DEP_2) | instskip(NEXT) | instid1(VALU_DEP_1)
	v_lshrrev_b32_e32 v63, s43, v63
	v_and_b32_e32 v63, s48, v63
	s_delay_alu instid0(VALU_DEP_1)
	v_lshlrev_b32_e32 v63, 2, v63
	ds_load_b32 v63, v63
	s_wait_dscnt 0x0
	v_add_nc_u32_e32 v63, v63, v81
	global_store_b16 v63, v62, s[38:39] scale_offset
.LBB1010_202:                           ;   in Loop: Header=BB1010_100 Depth=2
	s_wait_xcnt 0x0
	s_or_b32 exec_lo, exec_lo, s60
	v_lshl_add_u64 v[62:63], s[34:35], 3, v[24:25]
	v_cmp_lt_u32_e64 s34, v102, v141
	s_and_saveexec_b32 s60, s34
	s_delay_alu instid0(SALU_CYCLE_1)
	s_xor_b32 s34, exec_lo, s60
	s_cbranch_execnz .LBB1010_273
; %bb.203:                              ;   in Loop: Header=BB1010_100 Depth=2
	s_or_b32 exec_lo, exec_lo, s34
	s_delay_alu instid0(SALU_CYCLE_1)
	s_mov_b32 s60, exec_lo
	v_cmpx_lt_u32_e64 v105, v141
	s_cbranch_execnz .LBB1010_274
.LBB1010_204:                           ;   in Loop: Header=BB1010_100 Depth=2
	s_or_b32 exec_lo, exec_lo, s60
	s_delay_alu instid0(SALU_CYCLE_1)
	s_mov_b32 s60, exec_lo
	v_cmpx_lt_u32_e64 v106, v141
	s_cbranch_execnz .LBB1010_275
.LBB1010_205:                           ;   in Loop: Header=BB1010_100 Depth=2
	s_or_b32 exec_lo, exec_lo, s60
	s_delay_alu instid0(SALU_CYCLE_1)
	s_mov_b32 s60, exec_lo
	v_cmpx_lt_u32_e64 v107, v141
	s_cbranch_execnz .LBB1010_276
.LBB1010_206:                           ;   in Loop: Header=BB1010_100 Depth=2
	s_or_b32 exec_lo, exec_lo, s60
	s_delay_alu instid0(SALU_CYCLE_1)
	s_mov_b32 s60, exec_lo
	v_cmpx_lt_u32_e64 v108, v141
	s_cbranch_execnz .LBB1010_277
.LBB1010_207:                           ;   in Loop: Header=BB1010_100 Depth=2
	s_or_b32 exec_lo, exec_lo, s60
	s_delay_alu instid0(SALU_CYCLE_1)
	s_mov_b32 s60, exec_lo
	v_cmpx_lt_u32_e64 v109, v141
	s_cbranch_execnz .LBB1010_278
.LBB1010_208:                           ;   in Loop: Header=BB1010_100 Depth=2
	s_or_b32 exec_lo, exec_lo, s60
	s_delay_alu instid0(SALU_CYCLE_1)
	s_mov_b32 s60, exec_lo
	v_cmpx_lt_u32_e64 v110, v141
	s_cbranch_execnz .LBB1010_279
.LBB1010_209:                           ;   in Loop: Header=BB1010_100 Depth=2
	s_or_b32 exec_lo, exec_lo, s60
	s_delay_alu instid0(SALU_CYCLE_1)
	s_mov_b32 s60, exec_lo
	v_cmpx_lt_u32_e64 v111, v141
	s_cbranch_execnz .LBB1010_280
.LBB1010_210:                           ;   in Loop: Header=BB1010_100 Depth=2
	s_or_b32 exec_lo, exec_lo, s60
	s_delay_alu instid0(SALU_CYCLE_1)
	s_mov_b32 s60, exec_lo
	v_cmpx_lt_u32_e64 v112, v141
	s_cbranch_execnz .LBB1010_281
.LBB1010_211:                           ;   in Loop: Header=BB1010_100 Depth=2
	s_or_b32 exec_lo, exec_lo, s60
	s_delay_alu instid0(SALU_CYCLE_1)
	s_mov_b32 s60, exec_lo
	v_cmpx_lt_u32_e64 v113, v141
	s_cbranch_execnz .LBB1010_282
.LBB1010_212:                           ;   in Loop: Header=BB1010_100 Depth=2
	s_or_b32 exec_lo, exec_lo, s60
	s_delay_alu instid0(SALU_CYCLE_1)
	s_mov_b32 s60, exec_lo
	v_cmpx_lt_u32_e64 v114, v141
	s_cbranch_execnz .LBB1010_283
.LBB1010_213:                           ;   in Loop: Header=BB1010_100 Depth=2
	s_or_b32 exec_lo, exec_lo, s60
	s_delay_alu instid0(SALU_CYCLE_1)
	s_mov_b32 s60, exec_lo
	v_cmpx_lt_u32_e64 v115, v141
	s_cbranch_execnz .LBB1010_284
.LBB1010_214:                           ;   in Loop: Header=BB1010_100 Depth=2
	s_or_b32 exec_lo, exec_lo, s60
	s_delay_alu instid0(SALU_CYCLE_1)
	s_mov_b32 s60, exec_lo
	v_cmpx_lt_u32_e64 v116, v141
	s_cbranch_execnz .LBB1010_285
.LBB1010_215:                           ;   in Loop: Header=BB1010_100 Depth=2
	s_or_b32 exec_lo, exec_lo, s60
	s_delay_alu instid0(SALU_CYCLE_1)
	s_mov_b32 s60, exec_lo
	v_cmpx_lt_u32_e64 v117, v141
	s_cbranch_execnz .LBB1010_286
.LBB1010_216:                           ;   in Loop: Header=BB1010_100 Depth=2
	s_or_b32 exec_lo, exec_lo, s60
	s_delay_alu instid0(SALU_CYCLE_1)
	s_mov_b32 s60, exec_lo
	v_cmpx_lt_u32_e64 v118, v141
	s_cbranch_execnz .LBB1010_287
.LBB1010_217:                           ;   in Loop: Header=BB1010_100 Depth=2
	s_or_b32 exec_lo, exec_lo, s60
	s_delay_alu instid0(SALU_CYCLE_1)
	s_mov_b32 s60, exec_lo
	v_cmpx_lt_u32_e64 v119, v141
	s_cbranch_execnz .LBB1010_288
.LBB1010_218:                           ;   in Loop: Header=BB1010_100 Depth=2
	s_or_b32 exec_lo, exec_lo, s60
	s_delay_alu instid0(SALU_CYCLE_1)
	s_mov_b32 s60, exec_lo
	v_cmpx_lt_u32_e64 v120, v141
	s_cbranch_execnz .LBB1010_289
.LBB1010_219:                           ;   in Loop: Header=BB1010_100 Depth=2
	s_or_b32 exec_lo, exec_lo, s60
	s_and_saveexec_b32 s34, vcc_lo
	s_cbranch_execnz .LBB1010_290
.LBB1010_220:                           ;   in Loop: Header=BB1010_100 Depth=2
	s_or_b32 exec_lo, exec_lo, s34
	s_and_saveexec_b32 s34, s17
	s_cbranch_execnz .LBB1010_291
.LBB1010_221:                           ;   in Loop: Header=BB1010_100 Depth=2
	s_or_b32 exec_lo, exec_lo, s34
	s_and_saveexec_b32 s34, s18
	s_cbranch_execnz .LBB1010_292
.LBB1010_222:                           ;   in Loop: Header=BB1010_100 Depth=2
	s_or_b32 exec_lo, exec_lo, s34
	s_and_saveexec_b32 s34, s19
	s_cbranch_execnz .LBB1010_293
.LBB1010_223:                           ;   in Loop: Header=BB1010_100 Depth=2
	s_or_b32 exec_lo, exec_lo, s34
	s_and_saveexec_b32 s34, s20
	s_cbranch_execnz .LBB1010_294
.LBB1010_224:                           ;   in Loop: Header=BB1010_100 Depth=2
	s_or_b32 exec_lo, exec_lo, s34
	s_and_saveexec_b32 s34, s21
	s_cbranch_execnz .LBB1010_295
.LBB1010_225:                           ;   in Loop: Header=BB1010_100 Depth=2
	s_or_b32 exec_lo, exec_lo, s34
	s_and_saveexec_b32 s34, s22
	s_cbranch_execnz .LBB1010_296
.LBB1010_226:                           ;   in Loop: Header=BB1010_100 Depth=2
	s_or_b32 exec_lo, exec_lo, s34
	s_and_saveexec_b32 s34, s23
	s_cbranch_execnz .LBB1010_297
.LBB1010_227:                           ;   in Loop: Header=BB1010_100 Depth=2
	s_or_b32 exec_lo, exec_lo, s34
	s_and_saveexec_b32 s34, s24
	s_cbranch_execnz .LBB1010_298
.LBB1010_228:                           ;   in Loop: Header=BB1010_100 Depth=2
	s_or_b32 exec_lo, exec_lo, s34
	s_and_saveexec_b32 s34, s25
	s_cbranch_execnz .LBB1010_299
.LBB1010_229:                           ;   in Loop: Header=BB1010_100 Depth=2
	s_or_b32 exec_lo, exec_lo, s34
	s_and_saveexec_b32 s34, s26
	s_cbranch_execnz .LBB1010_300
.LBB1010_230:                           ;   in Loop: Header=BB1010_100 Depth=2
	s_or_b32 exec_lo, exec_lo, s34
	s_and_saveexec_b32 s34, s27
	s_cbranch_execnz .LBB1010_301
.LBB1010_231:                           ;   in Loop: Header=BB1010_100 Depth=2
	s_or_b32 exec_lo, exec_lo, s34
	s_and_saveexec_b32 s34, s28
	s_cbranch_execnz .LBB1010_302
.LBB1010_232:                           ;   in Loop: Header=BB1010_100 Depth=2
	s_or_b32 exec_lo, exec_lo, s34
	s_and_saveexec_b32 s34, s29
	s_cbranch_execnz .LBB1010_303
.LBB1010_233:                           ;   in Loop: Header=BB1010_100 Depth=2
	s_or_b32 exec_lo, exec_lo, s34
	s_and_saveexec_b32 s34, s30
	s_cbranch_execnz .LBB1010_304
.LBB1010_234:                           ;   in Loop: Header=BB1010_100 Depth=2
	s_or_b32 exec_lo, exec_lo, s34
	s_and_saveexec_b32 s34, s31
	s_cbranch_execnz .LBB1010_305
.LBB1010_235:                           ;   in Loop: Header=BB1010_100 Depth=2
	s_or_b32 exec_lo, exec_lo, s34
	s_and_saveexec_b32 s34, s33
	s_cbranch_execz .LBB1010_237
.LBB1010_236:                           ;   in Loop: Header=BB1010_100 Depth=2
	ds_load_u16 v62, v94 offset:8704
	s_wait_dscnt 0x0
	v_lshrrev_b32_e32 v62, s43, v62
	s_delay_alu instid0(VALU_DEP_1)
	v_and_b32_e32 v122, s48, v62
.LBB1010_237:                           ;   in Loop: Header=BB1010_100 Depth=2
	s_or_b32 exec_lo, exec_lo, s34
	v_dual_lshlrev_b32 v62, 3, v165 :: v_dual_lshlrev_b32 v63, 3, v164
	s_wait_loadcnt 0x0
	s_wait_storecnt 0x0
	s_barrier_signal -1
	s_barrier_wait -1
	ds_store_b64 v62, v[60:61] offset:512
	ds_store_b64 v63, v[58:59] offset:512
	v_dual_lshlrev_b32 v62, 3, v161 :: v_dual_lshlrev_b32 v63, 3, v159
	v_dual_lshlrev_b32 v141, 3, v158 :: v_dual_lshlrev_b32 v142, 3, v157
	v_lshlrev_b32_e32 v143, 3, v156
	ds_store_b64 v62, v[56:57] offset:512
	ds_store_b64 v63, v[54:55] offset:512
	ds_store_b64 v141, v[52:53] offset:512
	ds_store_b64 v142, v[50:51] offset:512
	ds_store_b64 v143, v[48:49] offset:512
	v_dual_lshlrev_b32 v62, 3, v154 :: v_dual_lshlrev_b32 v63, 3, v153
	v_dual_lshlrev_b32 v141, 3, v152 :: v_dual_lshlrev_b32 v142, 3, v150
	v_lshlrev_b32_e32 v143, 3, v149
	ds_store_b64 v62, v[46:47] offset:512
	ds_store_b64 v63, v[44:45] offset:512
	ds_store_b64 v141, v[42:43] offset:512
	;; [unrolled: 8-line block ×3, first 2 shown]
	ds_store_b64 v65, v[30:31] offset:512
	ds_store_b64 v141, v[28:29] offset:512
	s_wait_dscnt 0x0
	s_barrier_signal -1
	s_barrier_wait -1
	s_and_saveexec_b32 s34, vcc_lo
	s_cbranch_execnz .LBB1010_306
; %bb.238:                              ;   in Loop: Header=BB1010_100 Depth=2
	s_or_b32 exec_lo, exec_lo, s34
	s_and_saveexec_b32 s34, s17
	s_cbranch_execnz .LBB1010_307
.LBB1010_239:                           ;   in Loop: Header=BB1010_100 Depth=2
	s_or_b32 exec_lo, exec_lo, s34
	s_and_saveexec_b32 s17, s18
	s_cbranch_execnz .LBB1010_308
.LBB1010_240:                           ;   in Loop: Header=BB1010_100 Depth=2
	s_or_b32 exec_lo, exec_lo, s17
	s_and_saveexec_b32 s17, s19
	s_cbranch_execnz .LBB1010_309
.LBB1010_241:                           ;   in Loop: Header=BB1010_100 Depth=2
	s_or_b32 exec_lo, exec_lo, s17
	s_and_saveexec_b32 s17, s20
	s_cbranch_execnz .LBB1010_310
.LBB1010_242:                           ;   in Loop: Header=BB1010_100 Depth=2
	s_or_b32 exec_lo, exec_lo, s17
	s_and_saveexec_b32 s17, s21
	s_cbranch_execnz .LBB1010_311
.LBB1010_243:                           ;   in Loop: Header=BB1010_100 Depth=2
	s_or_b32 exec_lo, exec_lo, s17
	s_and_saveexec_b32 s17, s22
	s_cbranch_execnz .LBB1010_312
.LBB1010_244:                           ;   in Loop: Header=BB1010_100 Depth=2
	s_or_b32 exec_lo, exec_lo, s17
	s_and_saveexec_b32 s17, s23
	s_cbranch_execnz .LBB1010_313
.LBB1010_245:                           ;   in Loop: Header=BB1010_100 Depth=2
	s_or_b32 exec_lo, exec_lo, s17
	s_and_saveexec_b32 s17, s24
	s_cbranch_execnz .LBB1010_314
.LBB1010_246:                           ;   in Loop: Header=BB1010_100 Depth=2
	s_or_b32 exec_lo, exec_lo, s17
	s_and_saveexec_b32 s17, s25
	s_cbranch_execnz .LBB1010_315
.LBB1010_247:                           ;   in Loop: Header=BB1010_100 Depth=2
	s_or_b32 exec_lo, exec_lo, s17
	s_and_saveexec_b32 s17, s26
	s_cbranch_execnz .LBB1010_316
.LBB1010_248:                           ;   in Loop: Header=BB1010_100 Depth=2
	s_or_b32 exec_lo, exec_lo, s17
	s_and_saveexec_b32 s17, s27
	s_cbranch_execnz .LBB1010_317
.LBB1010_249:                           ;   in Loop: Header=BB1010_100 Depth=2
	s_or_b32 exec_lo, exec_lo, s17
	s_and_saveexec_b32 s17, s28
	s_cbranch_execnz .LBB1010_318
.LBB1010_250:                           ;   in Loop: Header=BB1010_100 Depth=2
	s_or_b32 exec_lo, exec_lo, s17
	s_and_saveexec_b32 s17, s29
	s_cbranch_execnz .LBB1010_319
.LBB1010_251:                           ;   in Loop: Header=BB1010_100 Depth=2
	s_or_b32 exec_lo, exec_lo, s17
	s_and_saveexec_b32 s17, s30
	s_cbranch_execnz .LBB1010_320
.LBB1010_252:                           ;   in Loop: Header=BB1010_100 Depth=2
	s_or_b32 exec_lo, exec_lo, s17
	s_and_saveexec_b32 s17, s31
	s_cbranch_execnz .LBB1010_321
.LBB1010_253:                           ;   in Loop: Header=BB1010_100 Depth=2
	s_or_b32 exec_lo, exec_lo, s17
	s_and_saveexec_b32 s17, s33
	s_cbranch_execz .LBB1010_255
.LBB1010_254:                           ;   in Loop: Header=BB1010_100 Depth=2
	v_dual_lshlrev_b32 v62, 2, v122 :: v_dual_add_nc_u32 v63, v94, v95
	ds_load_b32 v64, v62
	ds_load_b64 v[62:63], v63 offset:33280
	s_wait_dscnt 0x1
	v_add_nc_u32_e32 v64, v64, v81
	s_wait_dscnt 0x0
	global_store_b64 v64, v[62:63], s[44:45] scale_offset
.LBB1010_255:                           ;   in Loop: Header=BB1010_100 Depth=2
	s_wait_xcnt 0x0
	s_or_b32 exec_lo, exec_lo, s17
	s_wait_storecnt 0x0
	s_barrier_signal -1
	s_barrier_wait -1
	s_and_saveexec_b32 s17, s0
	s_cbranch_execz .LBB1010_99
; %bb.256:                              ;   in Loop: Header=BB1010_100 Depth=2
	ds_load_b32 v62, v3
	s_wait_dscnt 0x0
	v_add3_u32 v62, v137, v140, v62
	ds_store_b32 v3, v62
	s_branch .LBB1010_99
.LBB1010_257:                           ;   in Loop: Header=BB1010_100 Depth=2
	ds_load_u16 v62, v94 offset:512
	s_wait_dscnt 0x0
	v_and_b32_e32 v63, 0xffff, v62
	v_xor_b32_e32 v62, 0xffff8000, v62
	s_delay_alu instid0(VALU_DEP_2) | instskip(NEXT) | instid1(VALU_DEP_1)
	v_lshrrev_b32_e32 v63, s43, v63
	v_and_b32_e32 v63, s48, v63
	s_delay_alu instid0(VALU_DEP_1)
	v_lshlrev_b32_e32 v63, 2, v63
	ds_load_b32 v63, v63
	s_wait_dscnt 0x0
	v_add_nc_u32_e32 v63, v63, v2
	global_store_b16 v63, v62, s[38:39] scale_offset
	s_wait_xcnt 0x0
	s_or_b32 exec_lo, exec_lo, s17
	v_cmp_lt_u32_e64 s17, v66, v141
	s_and_saveexec_b32 s18, s17
	s_cbranch_execz .LBB1010_186
.LBB1010_258:                           ;   in Loop: Header=BB1010_100 Depth=2
	ds_load_u16 v62, v94 offset:1024
	s_wait_dscnt 0x0
	v_and_b32_e32 v63, 0xffff, v62
	v_xor_b32_e32 v62, 0xffff8000, v62
	s_delay_alu instid0(VALU_DEP_2) | instskip(NEXT) | instid1(VALU_DEP_1)
	v_lshrrev_b32_e32 v63, s43, v63
	v_and_b32_e32 v63, s48, v63
	s_delay_alu instid0(VALU_DEP_1)
	v_lshlrev_b32_e32 v63, 2, v63
	ds_load_b32 v63, v63
	s_wait_dscnt 0x0
	v_add_nc_u32_e32 v63, v63, v66
	global_store_b16 v63, v62, s[38:39] scale_offset
	s_wait_xcnt 0x0
	s_or_b32 exec_lo, exec_lo, s18
	v_cmp_lt_u32_e64 s18, v67, v141
	s_and_saveexec_b32 s19, s18
	s_cbranch_execz .LBB1010_187
.LBB1010_259:                           ;   in Loop: Header=BB1010_100 Depth=2
	ds_load_u16 v62, v94 offset:1536
	s_wait_dscnt 0x0
	v_and_b32_e32 v63, 0xffff, v62
	v_xor_b32_e32 v62, 0xffff8000, v62
	s_delay_alu instid0(VALU_DEP_2) | instskip(NEXT) | instid1(VALU_DEP_1)
	v_lshrrev_b32_e32 v63, s43, v63
	v_and_b32_e32 v63, s48, v63
	s_delay_alu instid0(VALU_DEP_1)
	v_lshlrev_b32_e32 v63, 2, v63
	ds_load_b32 v63, v63
	s_wait_dscnt 0x0
	v_add_nc_u32_e32 v63, v63, v67
	global_store_b16 v63, v62, s[38:39] scale_offset
	s_wait_xcnt 0x0
	s_or_b32 exec_lo, exec_lo, s19
	v_cmp_lt_u32_e64 s19, v68, v141
	s_and_saveexec_b32 s20, s19
	s_cbranch_execz .LBB1010_188
.LBB1010_260:                           ;   in Loop: Header=BB1010_100 Depth=2
	ds_load_u16 v62, v94 offset:2048
	s_wait_dscnt 0x0
	v_and_b32_e32 v63, 0xffff, v62
	v_xor_b32_e32 v62, 0xffff8000, v62
	s_delay_alu instid0(VALU_DEP_2) | instskip(NEXT) | instid1(VALU_DEP_1)
	v_lshrrev_b32_e32 v63, s43, v63
	v_and_b32_e32 v63, s48, v63
	s_delay_alu instid0(VALU_DEP_1)
	v_lshlrev_b32_e32 v63, 2, v63
	ds_load_b32 v63, v63
	s_wait_dscnt 0x0
	v_add_nc_u32_e32 v63, v63, v68
	global_store_b16 v63, v62, s[38:39] scale_offset
	s_wait_xcnt 0x0
	s_or_b32 exec_lo, exec_lo, s20
	v_cmp_lt_u32_e64 s20, v69, v141
	s_and_saveexec_b32 s21, s20
	s_cbranch_execz .LBB1010_189
.LBB1010_261:                           ;   in Loop: Header=BB1010_100 Depth=2
	ds_load_u16 v62, v94 offset:2560
	s_wait_dscnt 0x0
	v_and_b32_e32 v63, 0xffff, v62
	v_xor_b32_e32 v62, 0xffff8000, v62
	s_delay_alu instid0(VALU_DEP_2) | instskip(NEXT) | instid1(VALU_DEP_1)
	v_lshrrev_b32_e32 v63, s43, v63
	v_and_b32_e32 v63, s48, v63
	s_delay_alu instid0(VALU_DEP_1)
	v_lshlrev_b32_e32 v63, 2, v63
	ds_load_b32 v63, v63
	s_wait_dscnt 0x0
	v_add_nc_u32_e32 v63, v63, v69
	global_store_b16 v63, v62, s[38:39] scale_offset
	s_wait_xcnt 0x0
	s_or_b32 exec_lo, exec_lo, s21
	v_cmp_lt_u32_e64 s21, v70, v141
	s_and_saveexec_b32 s22, s21
	s_cbranch_execz .LBB1010_190
.LBB1010_262:                           ;   in Loop: Header=BB1010_100 Depth=2
	ds_load_u16 v62, v94 offset:3072
	s_wait_dscnt 0x0
	v_and_b32_e32 v63, 0xffff, v62
	v_xor_b32_e32 v62, 0xffff8000, v62
	s_delay_alu instid0(VALU_DEP_2) | instskip(NEXT) | instid1(VALU_DEP_1)
	v_lshrrev_b32_e32 v63, s43, v63
	v_and_b32_e32 v63, s48, v63
	s_delay_alu instid0(VALU_DEP_1)
	v_lshlrev_b32_e32 v63, 2, v63
	ds_load_b32 v63, v63
	s_wait_dscnt 0x0
	v_add_nc_u32_e32 v63, v63, v70
	global_store_b16 v63, v62, s[38:39] scale_offset
	s_wait_xcnt 0x0
	s_or_b32 exec_lo, exec_lo, s22
	v_cmp_lt_u32_e64 s22, v71, v141
	s_and_saveexec_b32 s23, s22
	s_cbranch_execz .LBB1010_191
.LBB1010_263:                           ;   in Loop: Header=BB1010_100 Depth=2
	ds_load_u16 v62, v94 offset:3584
	s_wait_dscnt 0x0
	v_and_b32_e32 v63, 0xffff, v62
	v_xor_b32_e32 v62, 0xffff8000, v62
	s_delay_alu instid0(VALU_DEP_2) | instskip(NEXT) | instid1(VALU_DEP_1)
	v_lshrrev_b32_e32 v63, s43, v63
	v_and_b32_e32 v63, s48, v63
	s_delay_alu instid0(VALU_DEP_1)
	v_lshlrev_b32_e32 v63, 2, v63
	ds_load_b32 v63, v63
	s_wait_dscnt 0x0
	v_add_nc_u32_e32 v63, v63, v71
	global_store_b16 v63, v62, s[38:39] scale_offset
	s_wait_xcnt 0x0
	s_or_b32 exec_lo, exec_lo, s23
	v_cmp_lt_u32_e64 s23, v72, v141
	s_and_saveexec_b32 s24, s23
	s_cbranch_execz .LBB1010_192
.LBB1010_264:                           ;   in Loop: Header=BB1010_100 Depth=2
	ds_load_u16 v62, v94 offset:4096
	s_wait_dscnt 0x0
	v_and_b32_e32 v63, 0xffff, v62
	v_xor_b32_e32 v62, 0xffff8000, v62
	s_delay_alu instid0(VALU_DEP_2) | instskip(NEXT) | instid1(VALU_DEP_1)
	v_lshrrev_b32_e32 v63, s43, v63
	v_and_b32_e32 v63, s48, v63
	s_delay_alu instid0(VALU_DEP_1)
	v_lshlrev_b32_e32 v63, 2, v63
	ds_load_b32 v63, v63
	s_wait_dscnt 0x0
	v_add_nc_u32_e32 v63, v63, v72
	global_store_b16 v63, v62, s[38:39] scale_offset
	s_wait_xcnt 0x0
	s_or_b32 exec_lo, exec_lo, s24
	v_cmp_lt_u32_e64 s24, v73, v141
	s_and_saveexec_b32 s25, s24
	s_cbranch_execz .LBB1010_193
.LBB1010_265:                           ;   in Loop: Header=BB1010_100 Depth=2
	ds_load_u16 v62, v94 offset:4608
	s_wait_dscnt 0x0
	v_and_b32_e32 v63, 0xffff, v62
	v_xor_b32_e32 v62, 0xffff8000, v62
	s_delay_alu instid0(VALU_DEP_2) | instskip(NEXT) | instid1(VALU_DEP_1)
	v_lshrrev_b32_e32 v63, s43, v63
	v_and_b32_e32 v63, s48, v63
	s_delay_alu instid0(VALU_DEP_1)
	v_lshlrev_b32_e32 v63, 2, v63
	ds_load_b32 v63, v63
	s_wait_dscnt 0x0
	v_add_nc_u32_e32 v63, v63, v73
	global_store_b16 v63, v62, s[38:39] scale_offset
	s_wait_xcnt 0x0
	s_or_b32 exec_lo, exec_lo, s25
	v_cmp_lt_u32_e64 s25, v74, v141
	s_and_saveexec_b32 s26, s25
	s_cbranch_execz .LBB1010_194
.LBB1010_266:                           ;   in Loop: Header=BB1010_100 Depth=2
	ds_load_u16 v62, v94 offset:5120
	s_wait_dscnt 0x0
	v_and_b32_e32 v63, 0xffff, v62
	v_xor_b32_e32 v62, 0xffff8000, v62
	s_delay_alu instid0(VALU_DEP_2) | instskip(NEXT) | instid1(VALU_DEP_1)
	v_lshrrev_b32_e32 v63, s43, v63
	v_and_b32_e32 v63, s48, v63
	s_delay_alu instid0(VALU_DEP_1)
	v_lshlrev_b32_e32 v63, 2, v63
	ds_load_b32 v63, v63
	s_wait_dscnt 0x0
	v_add_nc_u32_e32 v63, v63, v74
	global_store_b16 v63, v62, s[38:39] scale_offset
	s_wait_xcnt 0x0
	s_or_b32 exec_lo, exec_lo, s26
	v_cmp_lt_u32_e64 s26, v75, v141
	s_and_saveexec_b32 s27, s26
	s_cbranch_execz .LBB1010_195
.LBB1010_267:                           ;   in Loop: Header=BB1010_100 Depth=2
	ds_load_u16 v62, v94 offset:5632
	s_wait_dscnt 0x0
	v_and_b32_e32 v63, 0xffff, v62
	v_xor_b32_e32 v62, 0xffff8000, v62
	s_delay_alu instid0(VALU_DEP_2) | instskip(NEXT) | instid1(VALU_DEP_1)
	v_lshrrev_b32_e32 v63, s43, v63
	v_and_b32_e32 v63, s48, v63
	s_delay_alu instid0(VALU_DEP_1)
	v_lshlrev_b32_e32 v63, 2, v63
	ds_load_b32 v63, v63
	s_wait_dscnt 0x0
	v_add_nc_u32_e32 v63, v63, v75
	global_store_b16 v63, v62, s[38:39] scale_offset
	s_wait_xcnt 0x0
	s_or_b32 exec_lo, exec_lo, s27
	v_cmp_lt_u32_e64 s27, v76, v141
	s_and_saveexec_b32 s28, s27
	s_cbranch_execz .LBB1010_196
.LBB1010_268:                           ;   in Loop: Header=BB1010_100 Depth=2
	ds_load_u16 v62, v94 offset:6144
	s_wait_dscnt 0x0
	v_and_b32_e32 v63, 0xffff, v62
	v_xor_b32_e32 v62, 0xffff8000, v62
	s_delay_alu instid0(VALU_DEP_2) | instskip(NEXT) | instid1(VALU_DEP_1)
	v_lshrrev_b32_e32 v63, s43, v63
	v_and_b32_e32 v63, s48, v63
	s_delay_alu instid0(VALU_DEP_1)
	v_lshlrev_b32_e32 v63, 2, v63
	ds_load_b32 v63, v63
	s_wait_dscnt 0x0
	v_add_nc_u32_e32 v63, v63, v76
	global_store_b16 v63, v62, s[38:39] scale_offset
	s_wait_xcnt 0x0
	s_or_b32 exec_lo, exec_lo, s28
	v_cmp_lt_u32_e64 s28, v77, v141
	s_and_saveexec_b32 s29, s28
	s_cbranch_execz .LBB1010_197
.LBB1010_269:                           ;   in Loop: Header=BB1010_100 Depth=2
	ds_load_u16 v62, v94 offset:6656
	s_wait_dscnt 0x0
	v_and_b32_e32 v63, 0xffff, v62
	v_xor_b32_e32 v62, 0xffff8000, v62
	s_delay_alu instid0(VALU_DEP_2) | instskip(NEXT) | instid1(VALU_DEP_1)
	v_lshrrev_b32_e32 v63, s43, v63
	v_and_b32_e32 v63, s48, v63
	s_delay_alu instid0(VALU_DEP_1)
	v_lshlrev_b32_e32 v63, 2, v63
	ds_load_b32 v63, v63
	s_wait_dscnt 0x0
	v_add_nc_u32_e32 v63, v63, v77
	global_store_b16 v63, v62, s[38:39] scale_offset
	s_wait_xcnt 0x0
	s_or_b32 exec_lo, exec_lo, s29
	v_cmp_lt_u32_e64 s29, v78, v141
	s_and_saveexec_b32 s30, s29
	s_cbranch_execz .LBB1010_198
.LBB1010_270:                           ;   in Loop: Header=BB1010_100 Depth=2
	ds_load_u16 v62, v94 offset:7168
	s_wait_dscnt 0x0
	v_and_b32_e32 v63, 0xffff, v62
	v_xor_b32_e32 v62, 0xffff8000, v62
	s_delay_alu instid0(VALU_DEP_2) | instskip(NEXT) | instid1(VALU_DEP_1)
	v_lshrrev_b32_e32 v63, s43, v63
	v_and_b32_e32 v63, s48, v63
	s_delay_alu instid0(VALU_DEP_1)
	v_lshlrev_b32_e32 v63, 2, v63
	ds_load_b32 v63, v63
	s_wait_dscnt 0x0
	v_add_nc_u32_e32 v63, v63, v78
	global_store_b16 v63, v62, s[38:39] scale_offset
	s_wait_xcnt 0x0
	s_or_b32 exec_lo, exec_lo, s30
	v_cmp_lt_u32_e64 s30, v79, v141
	s_and_saveexec_b32 s31, s30
	s_cbranch_execz .LBB1010_199
.LBB1010_271:                           ;   in Loop: Header=BB1010_100 Depth=2
	ds_load_u16 v62, v94 offset:7680
	s_wait_dscnt 0x0
	v_and_b32_e32 v63, 0xffff, v62
	v_xor_b32_e32 v62, 0xffff8000, v62
	s_delay_alu instid0(VALU_DEP_2) | instskip(NEXT) | instid1(VALU_DEP_1)
	v_lshrrev_b32_e32 v63, s43, v63
	v_and_b32_e32 v63, s48, v63
	s_delay_alu instid0(VALU_DEP_1)
	v_lshlrev_b32_e32 v63, 2, v63
	ds_load_b32 v63, v63
	s_wait_dscnt 0x0
	v_add_nc_u32_e32 v63, v63, v79
	global_store_b16 v63, v62, s[38:39] scale_offset
	s_wait_xcnt 0x0
	s_or_b32 exec_lo, exec_lo, s31
	v_cmp_lt_u32_e64 s31, v80, v141
	s_and_saveexec_b32 s33, s31
	s_cbranch_execz .LBB1010_200
.LBB1010_272:                           ;   in Loop: Header=BB1010_100 Depth=2
	ds_load_u16 v62, v94 offset:8192
	s_wait_dscnt 0x0
	v_and_b32_e32 v63, 0xffff, v62
	v_xor_b32_e32 v62, 0xffff8000, v62
	s_delay_alu instid0(VALU_DEP_2) | instskip(NEXT) | instid1(VALU_DEP_1)
	v_lshrrev_b32_e32 v63, s43, v63
	v_and_b32_e32 v63, s48, v63
	s_delay_alu instid0(VALU_DEP_1)
	v_lshlrev_b32_e32 v63, 2, v63
	ds_load_b32 v63, v63
	s_wait_dscnt 0x0
	v_add_nc_u32_e32 v63, v63, v80
	global_store_b16 v63, v62, s[38:39] scale_offset
	s_wait_xcnt 0x0
	s_or_b32 exec_lo, exec_lo, s33
	v_cmp_lt_u32_e64 s33, v81, v141
	s_and_saveexec_b32 s60, s33
	s_cbranch_execnz .LBB1010_201
	s_branch .LBB1010_202
.LBB1010_273:                           ;   in Loop: Header=BB1010_100 Depth=2
	global_load_b64 v[60:61], v[62:63], off
	s_wait_xcnt 0x0
	s_or_b32 exec_lo, exec_lo, s34
	s_delay_alu instid0(SALU_CYCLE_1)
	s_mov_b32 s60, exec_lo
	v_cmpx_lt_u32_e64 v105, v141
	s_cbranch_execz .LBB1010_204
.LBB1010_274:                           ;   in Loop: Header=BB1010_100 Depth=2
	global_load_b64 v[58:59], v[62:63], off offset:256
	s_wait_xcnt 0x0
	s_or_b32 exec_lo, exec_lo, s60
	s_delay_alu instid0(SALU_CYCLE_1)
	s_mov_b32 s60, exec_lo
	v_cmpx_lt_u32_e64 v106, v141
	s_cbranch_execz .LBB1010_205
.LBB1010_275:                           ;   in Loop: Header=BB1010_100 Depth=2
	global_load_b64 v[56:57], v[62:63], off offset:512
	s_wait_xcnt 0x0
	s_or_b32 exec_lo, exec_lo, s60
	s_delay_alu instid0(SALU_CYCLE_1)
	s_mov_b32 s60, exec_lo
	v_cmpx_lt_u32_e64 v107, v141
	s_cbranch_execz .LBB1010_206
.LBB1010_276:                           ;   in Loop: Header=BB1010_100 Depth=2
	global_load_b64 v[54:55], v[62:63], off offset:768
	s_wait_xcnt 0x0
	s_or_b32 exec_lo, exec_lo, s60
	s_delay_alu instid0(SALU_CYCLE_1)
	s_mov_b32 s60, exec_lo
	v_cmpx_lt_u32_e64 v108, v141
	s_cbranch_execz .LBB1010_207
.LBB1010_277:                           ;   in Loop: Header=BB1010_100 Depth=2
	global_load_b64 v[52:53], v[62:63], off offset:1024
	s_wait_xcnt 0x0
	s_or_b32 exec_lo, exec_lo, s60
	s_delay_alu instid0(SALU_CYCLE_1)
	s_mov_b32 s60, exec_lo
	v_cmpx_lt_u32_e64 v109, v141
	s_cbranch_execz .LBB1010_208
.LBB1010_278:                           ;   in Loop: Header=BB1010_100 Depth=2
	global_load_b64 v[50:51], v[62:63], off offset:1280
	s_wait_xcnt 0x0
	s_or_b32 exec_lo, exec_lo, s60
	s_delay_alu instid0(SALU_CYCLE_1)
	s_mov_b32 s60, exec_lo
	v_cmpx_lt_u32_e64 v110, v141
	s_cbranch_execz .LBB1010_209
.LBB1010_279:                           ;   in Loop: Header=BB1010_100 Depth=2
	global_load_b64 v[48:49], v[62:63], off offset:1536
	s_wait_xcnt 0x0
	s_or_b32 exec_lo, exec_lo, s60
	s_delay_alu instid0(SALU_CYCLE_1)
	s_mov_b32 s60, exec_lo
	v_cmpx_lt_u32_e64 v111, v141
	s_cbranch_execz .LBB1010_210
.LBB1010_280:                           ;   in Loop: Header=BB1010_100 Depth=2
	global_load_b64 v[46:47], v[62:63], off offset:1792
	s_wait_xcnt 0x0
	s_or_b32 exec_lo, exec_lo, s60
	s_delay_alu instid0(SALU_CYCLE_1)
	s_mov_b32 s60, exec_lo
	v_cmpx_lt_u32_e64 v112, v141
	s_cbranch_execz .LBB1010_211
.LBB1010_281:                           ;   in Loop: Header=BB1010_100 Depth=2
	global_load_b64 v[44:45], v[62:63], off offset:2048
	s_wait_xcnt 0x0
	s_or_b32 exec_lo, exec_lo, s60
	s_delay_alu instid0(SALU_CYCLE_1)
	s_mov_b32 s60, exec_lo
	v_cmpx_lt_u32_e64 v113, v141
	s_cbranch_execz .LBB1010_212
.LBB1010_282:                           ;   in Loop: Header=BB1010_100 Depth=2
	global_load_b64 v[42:43], v[62:63], off offset:2304
	s_wait_xcnt 0x0
	s_or_b32 exec_lo, exec_lo, s60
	s_delay_alu instid0(SALU_CYCLE_1)
	s_mov_b32 s60, exec_lo
	v_cmpx_lt_u32_e64 v114, v141
	s_cbranch_execz .LBB1010_213
.LBB1010_283:                           ;   in Loop: Header=BB1010_100 Depth=2
	global_load_b64 v[40:41], v[62:63], off offset:2560
	s_wait_xcnt 0x0
	s_or_b32 exec_lo, exec_lo, s60
	s_delay_alu instid0(SALU_CYCLE_1)
	s_mov_b32 s60, exec_lo
	v_cmpx_lt_u32_e64 v115, v141
	s_cbranch_execz .LBB1010_214
.LBB1010_284:                           ;   in Loop: Header=BB1010_100 Depth=2
	global_load_b64 v[38:39], v[62:63], off offset:2816
	s_wait_xcnt 0x0
	s_or_b32 exec_lo, exec_lo, s60
	s_delay_alu instid0(SALU_CYCLE_1)
	s_mov_b32 s60, exec_lo
	v_cmpx_lt_u32_e64 v116, v141
	s_cbranch_execz .LBB1010_215
.LBB1010_285:                           ;   in Loop: Header=BB1010_100 Depth=2
	global_load_b64 v[36:37], v[62:63], off offset:3072
	s_wait_xcnt 0x0
	s_or_b32 exec_lo, exec_lo, s60
	s_delay_alu instid0(SALU_CYCLE_1)
	s_mov_b32 s60, exec_lo
	v_cmpx_lt_u32_e64 v117, v141
	s_cbranch_execz .LBB1010_216
.LBB1010_286:                           ;   in Loop: Header=BB1010_100 Depth=2
	global_load_b64 v[34:35], v[62:63], off offset:3328
	s_wait_xcnt 0x0
	s_or_b32 exec_lo, exec_lo, s60
	s_delay_alu instid0(SALU_CYCLE_1)
	s_mov_b32 s60, exec_lo
	v_cmpx_lt_u32_e64 v118, v141
	s_cbranch_execz .LBB1010_217
.LBB1010_287:                           ;   in Loop: Header=BB1010_100 Depth=2
	global_load_b64 v[32:33], v[62:63], off offset:3584
	s_wait_xcnt 0x0
	s_or_b32 exec_lo, exec_lo, s60
	s_delay_alu instid0(SALU_CYCLE_1)
	s_mov_b32 s60, exec_lo
	v_cmpx_lt_u32_e64 v119, v141
	s_cbranch_execz .LBB1010_218
.LBB1010_288:                           ;   in Loop: Header=BB1010_100 Depth=2
	global_load_b64 v[30:31], v[62:63], off offset:3840
	s_wait_xcnt 0x0
	s_or_b32 exec_lo, exec_lo, s60
	s_delay_alu instid0(SALU_CYCLE_1)
	s_mov_b32 s60, exec_lo
	v_cmpx_lt_u32_e64 v120, v141
	s_cbranch_execz .LBB1010_219
.LBB1010_289:                           ;   in Loop: Header=BB1010_100 Depth=2
	global_load_b64 v[28:29], v[62:63], off offset:4096
	s_wait_xcnt 0x0
	s_or_b32 exec_lo, exec_lo, s60
	s_and_saveexec_b32 s34, vcc_lo
	s_cbranch_execz .LBB1010_220
.LBB1010_290:                           ;   in Loop: Header=BB1010_100 Depth=2
	ds_load_u16 v62, v94 offset:512
	s_wait_dscnt 0x0
	v_lshrrev_b32_e32 v62, s43, v62
	s_delay_alu instid0(VALU_DEP_1)
	v_and_b32_e32 v139, s48, v62
	s_or_b32 exec_lo, exec_lo, s34
	s_and_saveexec_b32 s34, s17
	s_cbranch_execz .LBB1010_221
.LBB1010_291:                           ;   in Loop: Header=BB1010_100 Depth=2
	ds_load_u16 v62, v94 offset:1024
	s_wait_dscnt 0x0
	v_lshrrev_b32_e32 v62, s43, v62
	s_delay_alu instid0(VALU_DEP_1)
	v_and_b32_e32 v138, s48, v62
	s_or_b32 exec_lo, exec_lo, s34
	s_and_saveexec_b32 s34, s18
	s_cbranch_execz .LBB1010_222
.LBB1010_292:                           ;   in Loop: Header=BB1010_100 Depth=2
	ds_load_u16 v62, v94 offset:1536
	s_wait_dscnt 0x0
	v_lshrrev_b32_e32 v62, s43, v62
	s_delay_alu instid0(VALU_DEP_1)
	v_and_b32_e32 v136, s48, v62
	s_or_b32 exec_lo, exec_lo, s34
	s_and_saveexec_b32 s34, s19
	s_cbranch_execz .LBB1010_223
.LBB1010_293:                           ;   in Loop: Header=BB1010_100 Depth=2
	ds_load_u16 v62, v94 offset:2048
	s_wait_dscnt 0x0
	v_lshrrev_b32_e32 v62, s43, v62
	s_delay_alu instid0(VALU_DEP_1)
	v_and_b32_e32 v135, s48, v62
	s_or_b32 exec_lo, exec_lo, s34
	s_and_saveexec_b32 s34, s20
	s_cbranch_execz .LBB1010_224
.LBB1010_294:                           ;   in Loop: Header=BB1010_100 Depth=2
	ds_load_u16 v62, v94 offset:2560
	s_wait_dscnt 0x0
	v_lshrrev_b32_e32 v62, s43, v62
	s_delay_alu instid0(VALU_DEP_1)
	v_and_b32_e32 v134, s48, v62
	s_or_b32 exec_lo, exec_lo, s34
	s_and_saveexec_b32 s34, s21
	s_cbranch_execz .LBB1010_225
.LBB1010_295:                           ;   in Loop: Header=BB1010_100 Depth=2
	ds_load_u16 v62, v94 offset:3072
	s_wait_dscnt 0x0
	v_lshrrev_b32_e32 v62, s43, v62
	s_delay_alu instid0(VALU_DEP_1)
	v_and_b32_e32 v133, s48, v62
	s_or_b32 exec_lo, exec_lo, s34
	s_and_saveexec_b32 s34, s22
	s_cbranch_execz .LBB1010_226
.LBB1010_296:                           ;   in Loop: Header=BB1010_100 Depth=2
	ds_load_u16 v62, v94 offset:3584
	s_wait_dscnt 0x0
	v_lshrrev_b32_e32 v62, s43, v62
	s_delay_alu instid0(VALU_DEP_1)
	v_and_b32_e32 v132, s48, v62
	s_or_b32 exec_lo, exec_lo, s34
	s_and_saveexec_b32 s34, s23
	s_cbranch_execz .LBB1010_227
.LBB1010_297:                           ;   in Loop: Header=BB1010_100 Depth=2
	ds_load_u16 v62, v94 offset:4096
	s_wait_dscnt 0x0
	v_lshrrev_b32_e32 v62, s43, v62
	s_delay_alu instid0(VALU_DEP_1)
	v_and_b32_e32 v131, s48, v62
	s_or_b32 exec_lo, exec_lo, s34
	s_and_saveexec_b32 s34, s24
	s_cbranch_execz .LBB1010_228
.LBB1010_298:                           ;   in Loop: Header=BB1010_100 Depth=2
	ds_load_u16 v62, v94 offset:4608
	s_wait_dscnt 0x0
	v_lshrrev_b32_e32 v62, s43, v62
	s_delay_alu instid0(VALU_DEP_1)
	v_and_b32_e32 v130, s48, v62
	s_or_b32 exec_lo, exec_lo, s34
	s_and_saveexec_b32 s34, s25
	s_cbranch_execz .LBB1010_229
.LBB1010_299:                           ;   in Loop: Header=BB1010_100 Depth=2
	ds_load_u16 v62, v94 offset:5120
	s_wait_dscnt 0x0
	v_lshrrev_b32_e32 v62, s43, v62
	s_delay_alu instid0(VALU_DEP_1)
	v_and_b32_e32 v129, s48, v62
	s_or_b32 exec_lo, exec_lo, s34
	s_and_saveexec_b32 s34, s26
	s_cbranch_execz .LBB1010_230
.LBB1010_300:                           ;   in Loop: Header=BB1010_100 Depth=2
	ds_load_u16 v62, v94 offset:5632
	s_wait_dscnt 0x0
	v_lshrrev_b32_e32 v62, s43, v62
	s_delay_alu instid0(VALU_DEP_1)
	v_and_b32_e32 v128, s48, v62
	s_or_b32 exec_lo, exec_lo, s34
	s_and_saveexec_b32 s34, s27
	s_cbranch_execz .LBB1010_231
.LBB1010_301:                           ;   in Loop: Header=BB1010_100 Depth=2
	ds_load_u16 v62, v94 offset:6144
	s_wait_dscnt 0x0
	v_lshrrev_b32_e32 v62, s43, v62
	s_delay_alu instid0(VALU_DEP_1)
	v_and_b32_e32 v127, s48, v62
	s_or_b32 exec_lo, exec_lo, s34
	s_and_saveexec_b32 s34, s28
	s_cbranch_execz .LBB1010_232
.LBB1010_302:                           ;   in Loop: Header=BB1010_100 Depth=2
	ds_load_u16 v62, v94 offset:6656
	s_wait_dscnt 0x0
	v_lshrrev_b32_e32 v62, s43, v62
	s_delay_alu instid0(VALU_DEP_1)
	v_and_b32_e32 v126, s48, v62
	s_or_b32 exec_lo, exec_lo, s34
	s_and_saveexec_b32 s34, s29
	s_cbranch_execz .LBB1010_233
.LBB1010_303:                           ;   in Loop: Header=BB1010_100 Depth=2
	ds_load_u16 v62, v94 offset:7168
	s_wait_dscnt 0x0
	v_lshrrev_b32_e32 v62, s43, v62
	s_delay_alu instid0(VALU_DEP_1)
	v_and_b32_e32 v125, s48, v62
	s_or_b32 exec_lo, exec_lo, s34
	s_and_saveexec_b32 s34, s30
	s_cbranch_execz .LBB1010_234
.LBB1010_304:                           ;   in Loop: Header=BB1010_100 Depth=2
	ds_load_u16 v62, v94 offset:7680
	s_wait_dscnt 0x0
	v_lshrrev_b32_e32 v62, s43, v62
	s_delay_alu instid0(VALU_DEP_1)
	v_and_b32_e32 v124, s48, v62
	s_or_b32 exec_lo, exec_lo, s34
	s_and_saveexec_b32 s34, s31
	s_cbranch_execz .LBB1010_235
.LBB1010_305:                           ;   in Loop: Header=BB1010_100 Depth=2
	ds_load_u16 v62, v94 offset:8192
	s_wait_dscnt 0x0
	v_lshrrev_b32_e32 v62, s43, v62
	s_delay_alu instid0(VALU_DEP_1)
	v_and_b32_e32 v123, s48, v62
	s_or_b32 exec_lo, exec_lo, s34
	s_and_saveexec_b32 s34, s33
	s_cbranch_execnz .LBB1010_236
	s_branch .LBB1010_237
.LBB1010_306:                           ;   in Loop: Header=BB1010_100 Depth=2
	v_lshlrev_b32_e32 v62, 2, v139
	v_add_nc_u32_e32 v63, v94, v95
	ds_load_b32 v64, v62
	ds_load_b64 v[62:63], v63 offset:512
	s_wait_dscnt 0x1
	v_add_nc_u32_e32 v64, v64, v2
	s_wait_dscnt 0x0
	global_store_b64 v64, v[62:63], s[44:45] scale_offset
	s_wait_xcnt 0x0
	s_or_b32 exec_lo, exec_lo, s34
	s_and_saveexec_b32 s34, s17
	s_cbranch_execz .LBB1010_239
.LBB1010_307:                           ;   in Loop: Header=BB1010_100 Depth=2
	v_dual_lshlrev_b32 v62, 2, v138 :: v_dual_add_nc_u32 v63, v94, v95
	ds_load_b32 v64, v62
	ds_load_b64 v[62:63], v63 offset:2560
	s_wait_dscnt 0x1
	v_add_nc_u32_e32 v64, v64, v66
	s_wait_dscnt 0x0
	global_store_b64 v64, v[62:63], s[44:45] scale_offset
	s_wait_xcnt 0x0
	s_or_b32 exec_lo, exec_lo, s34
	s_and_saveexec_b32 s17, s18
	s_cbranch_execz .LBB1010_240
.LBB1010_308:                           ;   in Loop: Header=BB1010_100 Depth=2
	v_dual_lshlrev_b32 v62, 2, v136 :: v_dual_add_nc_u32 v63, v94, v95
	ds_load_b32 v64, v62
	ds_load_b64 v[62:63], v63 offset:4608
	s_wait_dscnt 0x1
	v_add_nc_u32_e32 v64, v64, v67
	s_wait_dscnt 0x0
	global_store_b64 v64, v[62:63], s[44:45] scale_offset
	s_wait_xcnt 0x0
	s_or_b32 exec_lo, exec_lo, s17
	s_and_saveexec_b32 s17, s19
	s_cbranch_execz .LBB1010_241
.LBB1010_309:                           ;   in Loop: Header=BB1010_100 Depth=2
	v_lshlrev_b32_e32 v62, 2, v135
	v_add_nc_u32_e32 v63, v94, v95
	ds_load_b32 v64, v62
	ds_load_b64 v[62:63], v63 offset:6656
	s_wait_dscnt 0x1
	v_add_nc_u32_e32 v64, v64, v68
	s_wait_dscnt 0x0
	global_store_b64 v64, v[62:63], s[44:45] scale_offset
	s_wait_xcnt 0x0
	s_or_b32 exec_lo, exec_lo, s17
	s_and_saveexec_b32 s17, s20
	s_cbranch_execz .LBB1010_242
.LBB1010_310:                           ;   in Loop: Header=BB1010_100 Depth=2
	v_dual_lshlrev_b32 v62, 2, v134 :: v_dual_add_nc_u32 v63, v94, v95
	ds_load_b32 v64, v62
	ds_load_b64 v[62:63], v63 offset:8704
	s_wait_dscnt 0x1
	v_add_nc_u32_e32 v64, v64, v69
	s_wait_dscnt 0x0
	global_store_b64 v64, v[62:63], s[44:45] scale_offset
	s_wait_xcnt 0x0
	s_or_b32 exec_lo, exec_lo, s17
	s_and_saveexec_b32 s17, s21
	s_cbranch_execz .LBB1010_243
.LBB1010_311:                           ;   in Loop: Header=BB1010_100 Depth=2
	v_dual_lshlrev_b32 v62, 2, v133 :: v_dual_add_nc_u32 v63, v94, v95
	ds_load_b32 v64, v62
	ds_load_b64 v[62:63], v63 offset:10752
	s_wait_dscnt 0x1
	v_add_nc_u32_e32 v64, v64, v70
	s_wait_dscnt 0x0
	global_store_b64 v64, v[62:63], s[44:45] scale_offset
	s_wait_xcnt 0x0
	s_or_b32 exec_lo, exec_lo, s17
	s_and_saveexec_b32 s17, s22
	s_cbranch_execz .LBB1010_244
.LBB1010_312:                           ;   in Loop: Header=BB1010_100 Depth=2
	v_dual_lshlrev_b32 v62, 2, v132 :: v_dual_add_nc_u32 v63, v94, v95
	ds_load_b32 v64, v62
	ds_load_b64 v[62:63], v63 offset:12800
	s_wait_dscnt 0x1
	v_add_nc_u32_e32 v64, v64, v71
	s_wait_dscnt 0x0
	global_store_b64 v64, v[62:63], s[44:45] scale_offset
	s_wait_xcnt 0x0
	s_or_b32 exec_lo, exec_lo, s17
	s_and_saveexec_b32 s17, s23
	s_cbranch_execz .LBB1010_245
.LBB1010_313:                           ;   in Loop: Header=BB1010_100 Depth=2
	v_lshlrev_b32_e32 v62, 2, v131
	v_add_nc_u32_e32 v63, v94, v95
	ds_load_b32 v64, v62
	ds_load_b64 v[62:63], v63 offset:14848
	s_wait_dscnt 0x1
	v_add_nc_u32_e32 v64, v64, v72
	s_wait_dscnt 0x0
	global_store_b64 v64, v[62:63], s[44:45] scale_offset
	s_wait_xcnt 0x0
	s_or_b32 exec_lo, exec_lo, s17
	s_and_saveexec_b32 s17, s24
	s_cbranch_execz .LBB1010_246
.LBB1010_314:                           ;   in Loop: Header=BB1010_100 Depth=2
	v_dual_lshlrev_b32 v62, 2, v130 :: v_dual_add_nc_u32 v63, v94, v95
	ds_load_b32 v64, v62
	ds_load_b64 v[62:63], v63 offset:16896
	s_wait_dscnt 0x1
	v_add_nc_u32_e32 v64, v64, v73
	s_wait_dscnt 0x0
	global_store_b64 v64, v[62:63], s[44:45] scale_offset
	s_wait_xcnt 0x0
	s_or_b32 exec_lo, exec_lo, s17
	s_and_saveexec_b32 s17, s25
	s_cbranch_execz .LBB1010_247
.LBB1010_315:                           ;   in Loop: Header=BB1010_100 Depth=2
	v_dual_lshlrev_b32 v62, 2, v129 :: v_dual_add_nc_u32 v63, v94, v95
	ds_load_b32 v64, v62
	ds_load_b64 v[62:63], v63 offset:18944
	s_wait_dscnt 0x1
	v_add_nc_u32_e32 v64, v64, v74
	s_wait_dscnt 0x0
	global_store_b64 v64, v[62:63], s[44:45] scale_offset
	s_wait_xcnt 0x0
	s_or_b32 exec_lo, exec_lo, s17
	s_and_saveexec_b32 s17, s26
	s_cbranch_execz .LBB1010_248
.LBB1010_316:                           ;   in Loop: Header=BB1010_100 Depth=2
	v_dual_lshlrev_b32 v62, 2, v128 :: v_dual_add_nc_u32 v63, v94, v95
	ds_load_b32 v64, v62
	ds_load_b64 v[62:63], v63 offset:20992
	s_wait_dscnt 0x1
	v_add_nc_u32_e32 v64, v64, v75
	s_wait_dscnt 0x0
	global_store_b64 v64, v[62:63], s[44:45] scale_offset
	s_wait_xcnt 0x0
	s_or_b32 exec_lo, exec_lo, s17
	s_and_saveexec_b32 s17, s27
	s_cbranch_execz .LBB1010_249
.LBB1010_317:                           ;   in Loop: Header=BB1010_100 Depth=2
	v_lshlrev_b32_e32 v62, 2, v127
	v_add_nc_u32_e32 v63, v94, v95
	ds_load_b32 v64, v62
	ds_load_b64 v[62:63], v63 offset:23040
	s_wait_dscnt 0x1
	v_add_nc_u32_e32 v64, v64, v76
	s_wait_dscnt 0x0
	global_store_b64 v64, v[62:63], s[44:45] scale_offset
	s_wait_xcnt 0x0
	s_or_b32 exec_lo, exec_lo, s17
	s_and_saveexec_b32 s17, s28
	s_cbranch_execz .LBB1010_250
.LBB1010_318:                           ;   in Loop: Header=BB1010_100 Depth=2
	v_dual_lshlrev_b32 v62, 2, v126 :: v_dual_add_nc_u32 v63, v94, v95
	ds_load_b32 v64, v62
	ds_load_b64 v[62:63], v63 offset:25088
	s_wait_dscnt 0x1
	v_add_nc_u32_e32 v64, v64, v77
	s_wait_dscnt 0x0
	global_store_b64 v64, v[62:63], s[44:45] scale_offset
	s_wait_xcnt 0x0
	s_or_b32 exec_lo, exec_lo, s17
	s_and_saveexec_b32 s17, s29
	s_cbranch_execz .LBB1010_251
.LBB1010_319:                           ;   in Loop: Header=BB1010_100 Depth=2
	v_dual_lshlrev_b32 v62, 2, v125 :: v_dual_add_nc_u32 v63, v94, v95
	ds_load_b32 v64, v62
	ds_load_b64 v[62:63], v63 offset:27136
	s_wait_dscnt 0x1
	v_add_nc_u32_e32 v64, v64, v78
	s_wait_dscnt 0x0
	global_store_b64 v64, v[62:63], s[44:45] scale_offset
	s_wait_xcnt 0x0
	s_or_b32 exec_lo, exec_lo, s17
	s_and_saveexec_b32 s17, s30
	s_cbranch_execz .LBB1010_252
.LBB1010_320:                           ;   in Loop: Header=BB1010_100 Depth=2
	v_dual_lshlrev_b32 v62, 2, v124 :: v_dual_add_nc_u32 v63, v94, v95
	ds_load_b32 v64, v62
	ds_load_b64 v[62:63], v63 offset:29184
	s_wait_dscnt 0x1
	v_add_nc_u32_e32 v64, v64, v79
	s_wait_dscnt 0x0
	global_store_b64 v64, v[62:63], s[44:45] scale_offset
	s_wait_xcnt 0x0
	s_or_b32 exec_lo, exec_lo, s17
	s_and_saveexec_b32 s17, s31
	s_cbranch_execz .LBB1010_253
.LBB1010_321:                           ;   in Loop: Header=BB1010_100 Depth=2
	v_lshlrev_b32_e32 v62, 2, v123
	v_add_nc_u32_e32 v63, v94, v95
	ds_load_b32 v64, v62
	ds_load_b64 v[62:63], v63 offset:31232
	s_wait_dscnt 0x1
	v_add_nc_u32_e32 v64, v64, v80
	s_wait_dscnt 0x0
	global_store_b64 v64, v[62:63], s[44:45] scale_offset
	s_wait_xcnt 0x0
	s_or_b32 exec_lo, exec_lo, s17
	s_and_saveexec_b32 s17, s33
	s_cbranch_execnz .LBB1010_254
	s_branch .LBB1010_255
.LBB1010_322:                           ;   in Loop: Header=BB1010_12 Depth=1
	s_wait_dscnt 0x0
	s_barrier_signal -1
	s_mov_b32 s9, 0
	s_barrier_wait -1
.LBB1010_323:                           ;   in Loop: Header=BB1010_12 Depth=1
	s_and_b32 vcc_lo, exec_lo, s9
	s_cbranch_vccz .LBB1010_633
; %bb.324:                              ;   in Loop: Header=BB1010_12 Depth=1
	s_mov_b32 s9, s57
	s_mov_b32 s34, s55
	s_barrier_signal -1
	s_barrier_wait -1
                                        ; implicit-def: $vgpr23
                                        ; implicit-def: $vgpr24
                                        ; implicit-def: $vgpr25
                                        ; implicit-def: $vgpr26
                                        ; implicit-def: $vgpr27
                                        ; implicit-def: $vgpr28
                                        ; implicit-def: $vgpr29
                                        ; implicit-def: $vgpr30
                                        ; implicit-def: $vgpr31
                                        ; implicit-def: $vgpr32
                                        ; implicit-def: $vgpr33
                                        ; implicit-def: $vgpr34
                                        ; implicit-def: $vgpr35
                                        ; implicit-def: $vgpr36
                                        ; implicit-def: $vgpr37
                                        ; implicit-def: $vgpr38
                                        ; implicit-def: $vgpr39
	s_branch .LBB1010_326
.LBB1010_325:                           ;   in Loop: Header=BB1010_326 Depth=2
	s_or_b32 exec_lo, exec_lo, s10
	s_addk_co_i32 s9, 0xef00
	s_cmp_ge_u32 s12, s54
	s_mov_b32 s34, s12
	s_cbranch_scc1 .LBB1010_398
.LBB1010_326:                           ;   Parent Loop BB1010_12 Depth=1
                                        ; =>  This Inner Loop Header: Depth=2
	s_add_co_i32 s12, s34, 0x1100
	s_mov_b32 s10, -1
	s_cmp_gt_u32 s12, s54
                                        ; implicit-def: $vgpr40
                                        ; implicit-def: $vgpr41
                                        ; implicit-def: $vgpr42
                                        ; implicit-def: $vgpr43
                                        ; implicit-def: $vgpr44
                                        ; implicit-def: $vgpr45
                                        ; implicit-def: $vgpr46
                                        ; implicit-def: $vgpr47
                                        ; implicit-def: $vgpr48
                                        ; implicit-def: $vgpr49
                                        ; implicit-def: $vgpr50
                                        ; implicit-def: $vgpr51
                                        ; implicit-def: $vgpr52
                                        ; implicit-def: $vgpr53
                                        ; implicit-def: $vgpr54
                                        ; implicit-def: $vgpr55
                                        ; implicit-def: $vgpr56
	s_cbranch_scc1 .LBB1010_328
; %bb.327:                              ;   in Loop: Header=BB1010_326 Depth=2
	v_lshl_add_u64 v[58:59], s[34:35], 1, v[10:11]
	s_mov_b32 s10, 0
	s_clause 0x10
	global_load_u16 v40, v[58:59], off
	global_load_u16 v41, v[58:59], off offset:512
	global_load_u16 v42, v[58:59], off offset:1024
	;; [unrolled: 1-line block ×16, first 2 shown]
.LBB1010_328:                           ;   in Loop: Header=BB1010_326 Depth=2
	s_and_not1_b32 vcc_lo, exec_lo, s10
	s_movk_i32 s10, 0x1100
	s_cbranch_vccnz .LBB1010_348
; %bb.329:                              ;   in Loop: Header=BB1010_326 Depth=2
	s_lshl_b64 s[10:11], s[34:35], 1
	s_mov_b32 s13, exec_lo
	s_add_nc_u64 s[10:11], s[38:39], s[10:11]
	s_wait_xcnt 0x0
	v_cmpx_gt_u32_e64 s9, v2
	s_cbranch_execnz .LBB1010_382
; %bb.330:                              ;   in Loop: Header=BB1010_326 Depth=2
	s_or_b32 exec_lo, exec_lo, s13
	s_delay_alu instid0(SALU_CYCLE_1)
	s_mov_b32 s13, exec_lo
	v_cmpx_gt_u32_e64 s9, v66
	s_cbranch_execnz .LBB1010_383
.LBB1010_331:                           ;   in Loop: Header=BB1010_326 Depth=2
	s_or_b32 exec_lo, exec_lo, s13
	s_delay_alu instid0(SALU_CYCLE_1)
	s_mov_b32 s13, exec_lo
	v_cmpx_gt_u32_e64 s9, v67
	s_cbranch_execnz .LBB1010_384
.LBB1010_332:                           ;   in Loop: Header=BB1010_326 Depth=2
	s_or_b32 exec_lo, exec_lo, s13
	s_delay_alu instid0(SALU_CYCLE_1)
	s_mov_b32 s13, exec_lo
	v_cmpx_gt_u32_e64 s9, v68
	s_cbranch_execnz .LBB1010_385
.LBB1010_333:                           ;   in Loop: Header=BB1010_326 Depth=2
	s_or_b32 exec_lo, exec_lo, s13
	s_delay_alu instid0(SALU_CYCLE_1)
	s_mov_b32 s13, exec_lo
	v_cmpx_gt_u32_e64 s9, v69
	s_cbranch_execnz .LBB1010_386
.LBB1010_334:                           ;   in Loop: Header=BB1010_326 Depth=2
	s_or_b32 exec_lo, exec_lo, s13
	s_delay_alu instid0(SALU_CYCLE_1)
	s_mov_b32 s13, exec_lo
	v_cmpx_gt_u32_e64 s9, v70
	s_cbranch_execnz .LBB1010_387
.LBB1010_335:                           ;   in Loop: Header=BB1010_326 Depth=2
	s_or_b32 exec_lo, exec_lo, s13
	s_delay_alu instid0(SALU_CYCLE_1)
	s_mov_b32 s13, exec_lo
	v_cmpx_gt_u32_e64 s9, v71
	s_cbranch_execnz .LBB1010_388
.LBB1010_336:                           ;   in Loop: Header=BB1010_326 Depth=2
	s_or_b32 exec_lo, exec_lo, s13
	s_delay_alu instid0(SALU_CYCLE_1)
	s_mov_b32 s13, exec_lo
	v_cmpx_gt_u32_e64 s9, v72
	s_cbranch_execnz .LBB1010_389
.LBB1010_337:                           ;   in Loop: Header=BB1010_326 Depth=2
	s_or_b32 exec_lo, exec_lo, s13
	s_delay_alu instid0(SALU_CYCLE_1)
	s_mov_b32 s13, exec_lo
	v_cmpx_gt_u32_e64 s9, v73
	s_cbranch_execnz .LBB1010_390
.LBB1010_338:                           ;   in Loop: Header=BB1010_326 Depth=2
	s_or_b32 exec_lo, exec_lo, s13
	s_delay_alu instid0(SALU_CYCLE_1)
	s_mov_b32 s13, exec_lo
	v_cmpx_gt_u32_e64 s9, v74
	s_cbranch_execnz .LBB1010_391
.LBB1010_339:                           ;   in Loop: Header=BB1010_326 Depth=2
	s_or_b32 exec_lo, exec_lo, s13
	s_delay_alu instid0(SALU_CYCLE_1)
	s_mov_b32 s13, exec_lo
	v_cmpx_gt_u32_e64 s9, v75
	s_cbranch_execnz .LBB1010_392
.LBB1010_340:                           ;   in Loop: Header=BB1010_326 Depth=2
	s_or_b32 exec_lo, exec_lo, s13
	s_delay_alu instid0(SALU_CYCLE_1)
	s_mov_b32 s13, exec_lo
	v_cmpx_gt_u32_e64 s9, v76
	s_cbranch_execnz .LBB1010_393
.LBB1010_341:                           ;   in Loop: Header=BB1010_326 Depth=2
	s_or_b32 exec_lo, exec_lo, s13
	s_delay_alu instid0(SALU_CYCLE_1)
	s_mov_b32 s13, exec_lo
	v_cmpx_gt_u32_e64 s9, v77
	s_cbranch_execnz .LBB1010_394
.LBB1010_342:                           ;   in Loop: Header=BB1010_326 Depth=2
	s_or_b32 exec_lo, exec_lo, s13
	s_delay_alu instid0(SALU_CYCLE_1)
	s_mov_b32 s13, exec_lo
	v_cmpx_gt_u32_e64 s9, v78
	s_cbranch_execnz .LBB1010_395
.LBB1010_343:                           ;   in Loop: Header=BB1010_326 Depth=2
	s_or_b32 exec_lo, exec_lo, s13
	s_delay_alu instid0(SALU_CYCLE_1)
	s_mov_b32 s13, exec_lo
	v_cmpx_gt_u32_e64 s9, v79
	s_cbranch_execnz .LBB1010_396
.LBB1010_344:                           ;   in Loop: Header=BB1010_326 Depth=2
	s_or_b32 exec_lo, exec_lo, s13
	s_delay_alu instid0(SALU_CYCLE_1)
	s_mov_b32 s13, exec_lo
	v_cmpx_gt_u32_e64 s9, v80
	s_cbranch_execnz .LBB1010_397
.LBB1010_345:                           ;   in Loop: Header=BB1010_326 Depth=2
	s_or_b32 exec_lo, exec_lo, s13
	s_delay_alu instid0(SALU_CYCLE_1)
	s_mov_b32 s13, exec_lo
	v_cmpx_gt_u32_e64 s9, v81
	s_cbranch_execz .LBB1010_347
.LBB1010_346:                           ;   in Loop: Header=BB1010_326 Depth=2
	global_load_u16 v23, v2, s[10:11] offset:8192 scale_offset
.LBB1010_347:                           ;   in Loop: Header=BB1010_326 Depth=2
	s_wait_xcnt 0x0
	s_or_b32 exec_lo, exec_lo, s13
	s_wait_loadcnt 0x0
	v_dual_mov_b32 v40, v39 :: v_dual_mov_b32 v41, v38
	v_dual_mov_b32 v42, v37 :: v_dual_mov_b32 v43, v36
	;; [unrolled: 1-line block ×8, first 2 shown]
	v_mov_b32_e32 v56, v23
	s_mov_b32 s10, s9
.LBB1010_348:                           ;   in Loop: Header=BB1010_326 Depth=2
	s_wait_loadcnt 0x0
	s_delay_alu instid0(VALU_DEP_1)
	v_dual_mov_b32 v23, v56 :: v_dual_mov_b32 v24, v55
	v_dual_mov_b32 v25, v54 :: v_dual_mov_b32 v26, v53
	;; [unrolled: 1-line block ×8, first 2 shown]
	v_mov_b32_e32 v39, v40
	s_mov_b32 s11, exec_lo
	s_wait_xcnt 0x0
	v_cmpx_gt_u32_e64 s10, v2
	s_cbranch_execnz .LBB1010_365
; %bb.349:                              ;   in Loop: Header=BB1010_326 Depth=2
	s_or_b32 exec_lo, exec_lo, s11
	s_delay_alu instid0(SALU_CYCLE_1)
	s_mov_b32 s11, exec_lo
	v_cmpx_gt_u32_e64 s10, v66
	s_cbranch_execnz .LBB1010_366
.LBB1010_350:                           ;   in Loop: Header=BB1010_326 Depth=2
	s_or_b32 exec_lo, exec_lo, s11
	s_delay_alu instid0(SALU_CYCLE_1)
	s_mov_b32 s11, exec_lo
	v_cmpx_gt_u32_e64 s10, v67
	s_cbranch_execnz .LBB1010_367
.LBB1010_351:                           ;   in Loop: Header=BB1010_326 Depth=2
	s_or_b32 exec_lo, exec_lo, s11
	s_delay_alu instid0(SALU_CYCLE_1)
	s_mov_b32 s11, exec_lo
	v_cmpx_gt_u32_e64 s10, v68
	s_cbranch_execnz .LBB1010_368
.LBB1010_352:                           ;   in Loop: Header=BB1010_326 Depth=2
	s_or_b32 exec_lo, exec_lo, s11
	s_delay_alu instid0(SALU_CYCLE_1)
	s_mov_b32 s11, exec_lo
	v_cmpx_gt_u32_e64 s10, v69
	s_cbranch_execnz .LBB1010_369
.LBB1010_353:                           ;   in Loop: Header=BB1010_326 Depth=2
	s_or_b32 exec_lo, exec_lo, s11
	s_delay_alu instid0(SALU_CYCLE_1)
	s_mov_b32 s11, exec_lo
	v_cmpx_gt_u32_e64 s10, v70
	s_cbranch_execnz .LBB1010_370
.LBB1010_354:                           ;   in Loop: Header=BB1010_326 Depth=2
	s_or_b32 exec_lo, exec_lo, s11
	s_delay_alu instid0(SALU_CYCLE_1)
	s_mov_b32 s11, exec_lo
	v_cmpx_gt_u32_e64 s10, v71
	s_cbranch_execnz .LBB1010_371
.LBB1010_355:                           ;   in Loop: Header=BB1010_326 Depth=2
	s_or_b32 exec_lo, exec_lo, s11
	s_delay_alu instid0(SALU_CYCLE_1)
	s_mov_b32 s11, exec_lo
	v_cmpx_gt_u32_e64 s10, v72
	s_cbranch_execnz .LBB1010_372
.LBB1010_356:                           ;   in Loop: Header=BB1010_326 Depth=2
	s_or_b32 exec_lo, exec_lo, s11
	s_delay_alu instid0(SALU_CYCLE_1)
	s_mov_b32 s11, exec_lo
	v_cmpx_gt_u32_e64 s10, v73
	s_cbranch_execnz .LBB1010_373
.LBB1010_357:                           ;   in Loop: Header=BB1010_326 Depth=2
	s_or_b32 exec_lo, exec_lo, s11
	s_delay_alu instid0(SALU_CYCLE_1)
	s_mov_b32 s11, exec_lo
	v_cmpx_gt_u32_e64 s10, v74
	s_cbranch_execnz .LBB1010_374
.LBB1010_358:                           ;   in Loop: Header=BB1010_326 Depth=2
	s_or_b32 exec_lo, exec_lo, s11
	s_delay_alu instid0(SALU_CYCLE_1)
	s_mov_b32 s11, exec_lo
	v_cmpx_gt_u32_e64 s10, v75
	s_cbranch_execnz .LBB1010_375
.LBB1010_359:                           ;   in Loop: Header=BB1010_326 Depth=2
	s_or_b32 exec_lo, exec_lo, s11
	s_delay_alu instid0(SALU_CYCLE_1)
	s_mov_b32 s11, exec_lo
	v_cmpx_gt_u32_e64 s10, v76
	s_cbranch_execnz .LBB1010_376
.LBB1010_360:                           ;   in Loop: Header=BB1010_326 Depth=2
	s_or_b32 exec_lo, exec_lo, s11
	s_delay_alu instid0(SALU_CYCLE_1)
	s_mov_b32 s11, exec_lo
	v_cmpx_gt_u32_e64 s10, v77
	s_cbranch_execnz .LBB1010_377
.LBB1010_361:                           ;   in Loop: Header=BB1010_326 Depth=2
	s_or_b32 exec_lo, exec_lo, s11
	s_delay_alu instid0(SALU_CYCLE_1)
	s_mov_b32 s11, exec_lo
	v_cmpx_gt_u32_e64 s10, v78
	s_cbranch_execnz .LBB1010_378
.LBB1010_362:                           ;   in Loop: Header=BB1010_326 Depth=2
	s_or_b32 exec_lo, exec_lo, s11
	s_delay_alu instid0(SALU_CYCLE_1)
	s_mov_b32 s11, exec_lo
	v_cmpx_gt_u32_e64 s10, v79
	s_cbranch_execnz .LBB1010_379
.LBB1010_363:                           ;   in Loop: Header=BB1010_326 Depth=2
	s_or_b32 exec_lo, exec_lo, s11
	s_delay_alu instid0(SALU_CYCLE_1)
	s_mov_b32 s11, exec_lo
	v_cmpx_gt_u32_e64 s10, v80
	s_cbranch_execnz .LBB1010_380
.LBB1010_364:                           ;   in Loop: Header=BB1010_326 Depth=2
	s_or_b32 exec_lo, exec_lo, s11
	v_cmp_gt_u32_e32 vcc_lo, s10, v81
	s_and_saveexec_b32 s10, vcc_lo
	s_cbranch_execz .LBB1010_325
	s_branch .LBB1010_381
.LBB1010_365:                           ;   in Loop: Header=BB1010_326 Depth=2
	v_xor_b32_e32 v40, 0xffff8000, v39
	s_delay_alu instid0(VALU_DEP_1) | instskip(NEXT) | instid1(VALU_DEP_1)
	v_and_b32_e32 v40, 0xffff, v40
	v_lshrrev_b32_e32 v40, s43, v40
	s_delay_alu instid0(VALU_DEP_1) | instskip(NEXT) | instid1(VALU_DEP_1)
	v_and_b32_e32 v40, s48, v40
	v_lshl_or_b32 v40, v40, 4, v83
	ds_add_u32 v40, v97
	s_or_b32 exec_lo, exec_lo, s11
	s_delay_alu instid0(SALU_CYCLE_1)
	s_mov_b32 s11, exec_lo
	v_cmpx_gt_u32_e64 s10, v66
	s_cbranch_execz .LBB1010_350
.LBB1010_366:                           ;   in Loop: Header=BB1010_326 Depth=2
	v_xor_b32_e32 v40, 0xffff8000, v38
	s_delay_alu instid0(VALU_DEP_1) | instskip(NEXT) | instid1(VALU_DEP_1)
	v_and_b32_e32 v40, 0xffff, v40
	v_lshrrev_b32_e32 v40, s43, v40
	s_delay_alu instid0(VALU_DEP_1) | instskip(NEXT) | instid1(VALU_DEP_1)
	v_and_b32_e32 v40, s48, v40
	v_lshl_or_b32 v40, v40, 4, v83
	ds_add_u32 v40, v97
	s_or_b32 exec_lo, exec_lo, s11
	s_delay_alu instid0(SALU_CYCLE_1)
	s_mov_b32 s11, exec_lo
	v_cmpx_gt_u32_e64 s10, v67
	s_cbranch_execz .LBB1010_351
.LBB1010_367:                           ;   in Loop: Header=BB1010_326 Depth=2
	v_xor_b32_e32 v40, 0xffff8000, v37
	s_delay_alu instid0(VALU_DEP_1) | instskip(NEXT) | instid1(VALU_DEP_1)
	v_and_b32_e32 v40, 0xffff, v40
	v_lshrrev_b32_e32 v40, s43, v40
	s_delay_alu instid0(VALU_DEP_1) | instskip(NEXT) | instid1(VALU_DEP_1)
	v_and_b32_e32 v40, s48, v40
	v_lshl_or_b32 v40, v40, 4, v83
	ds_add_u32 v40, v97
	s_or_b32 exec_lo, exec_lo, s11
	s_delay_alu instid0(SALU_CYCLE_1)
	s_mov_b32 s11, exec_lo
	v_cmpx_gt_u32_e64 s10, v68
	s_cbranch_execz .LBB1010_352
.LBB1010_368:                           ;   in Loop: Header=BB1010_326 Depth=2
	v_xor_b32_e32 v40, 0xffff8000, v36
	s_delay_alu instid0(VALU_DEP_1) | instskip(NEXT) | instid1(VALU_DEP_1)
	v_and_b32_e32 v40, 0xffff, v40
	v_lshrrev_b32_e32 v40, s43, v40
	s_delay_alu instid0(VALU_DEP_1) | instskip(NEXT) | instid1(VALU_DEP_1)
	v_and_b32_e32 v40, s48, v40
	v_lshl_or_b32 v40, v40, 4, v83
	ds_add_u32 v40, v97
	s_or_b32 exec_lo, exec_lo, s11
	s_delay_alu instid0(SALU_CYCLE_1)
	s_mov_b32 s11, exec_lo
	v_cmpx_gt_u32_e64 s10, v69
	s_cbranch_execz .LBB1010_353
.LBB1010_369:                           ;   in Loop: Header=BB1010_326 Depth=2
	v_xor_b32_e32 v40, 0xffff8000, v35
	s_delay_alu instid0(VALU_DEP_1) | instskip(NEXT) | instid1(VALU_DEP_1)
	v_and_b32_e32 v40, 0xffff, v40
	v_lshrrev_b32_e32 v40, s43, v40
	s_delay_alu instid0(VALU_DEP_1) | instskip(NEXT) | instid1(VALU_DEP_1)
	v_and_b32_e32 v40, s48, v40
	v_lshl_or_b32 v40, v40, 4, v83
	ds_add_u32 v40, v97
	s_or_b32 exec_lo, exec_lo, s11
	s_delay_alu instid0(SALU_CYCLE_1)
	s_mov_b32 s11, exec_lo
	v_cmpx_gt_u32_e64 s10, v70
	s_cbranch_execz .LBB1010_354
.LBB1010_370:                           ;   in Loop: Header=BB1010_326 Depth=2
	v_xor_b32_e32 v40, 0xffff8000, v34
	s_delay_alu instid0(VALU_DEP_1) | instskip(NEXT) | instid1(VALU_DEP_1)
	v_and_b32_e32 v40, 0xffff, v40
	v_lshrrev_b32_e32 v40, s43, v40
	s_delay_alu instid0(VALU_DEP_1) | instskip(NEXT) | instid1(VALU_DEP_1)
	v_and_b32_e32 v40, s48, v40
	v_lshl_or_b32 v40, v40, 4, v83
	ds_add_u32 v40, v97
	s_or_b32 exec_lo, exec_lo, s11
	s_delay_alu instid0(SALU_CYCLE_1)
	s_mov_b32 s11, exec_lo
	v_cmpx_gt_u32_e64 s10, v71
	s_cbranch_execz .LBB1010_355
.LBB1010_371:                           ;   in Loop: Header=BB1010_326 Depth=2
	v_xor_b32_e32 v40, 0xffff8000, v33
	s_delay_alu instid0(VALU_DEP_1) | instskip(NEXT) | instid1(VALU_DEP_1)
	v_and_b32_e32 v40, 0xffff, v40
	v_lshrrev_b32_e32 v40, s43, v40
	s_delay_alu instid0(VALU_DEP_1) | instskip(NEXT) | instid1(VALU_DEP_1)
	v_and_b32_e32 v40, s48, v40
	v_lshl_or_b32 v40, v40, 4, v83
	ds_add_u32 v40, v97
	s_or_b32 exec_lo, exec_lo, s11
	s_delay_alu instid0(SALU_CYCLE_1)
	s_mov_b32 s11, exec_lo
	v_cmpx_gt_u32_e64 s10, v72
	s_cbranch_execz .LBB1010_356
.LBB1010_372:                           ;   in Loop: Header=BB1010_326 Depth=2
	v_xor_b32_e32 v40, 0xffff8000, v32
	s_delay_alu instid0(VALU_DEP_1) | instskip(NEXT) | instid1(VALU_DEP_1)
	v_and_b32_e32 v40, 0xffff, v40
	v_lshrrev_b32_e32 v40, s43, v40
	s_delay_alu instid0(VALU_DEP_1) | instskip(NEXT) | instid1(VALU_DEP_1)
	v_and_b32_e32 v40, s48, v40
	v_lshl_or_b32 v40, v40, 4, v83
	ds_add_u32 v40, v97
	s_or_b32 exec_lo, exec_lo, s11
	s_delay_alu instid0(SALU_CYCLE_1)
	s_mov_b32 s11, exec_lo
	v_cmpx_gt_u32_e64 s10, v73
	s_cbranch_execz .LBB1010_357
.LBB1010_373:                           ;   in Loop: Header=BB1010_326 Depth=2
	v_xor_b32_e32 v40, 0xffff8000, v31
	s_delay_alu instid0(VALU_DEP_1) | instskip(NEXT) | instid1(VALU_DEP_1)
	v_and_b32_e32 v40, 0xffff, v40
	v_lshrrev_b32_e32 v40, s43, v40
	s_delay_alu instid0(VALU_DEP_1) | instskip(NEXT) | instid1(VALU_DEP_1)
	v_and_b32_e32 v40, s48, v40
	v_lshl_or_b32 v40, v40, 4, v83
	ds_add_u32 v40, v97
	s_or_b32 exec_lo, exec_lo, s11
	s_delay_alu instid0(SALU_CYCLE_1)
	s_mov_b32 s11, exec_lo
	v_cmpx_gt_u32_e64 s10, v74
	s_cbranch_execz .LBB1010_358
.LBB1010_374:                           ;   in Loop: Header=BB1010_326 Depth=2
	v_xor_b32_e32 v40, 0xffff8000, v30
	s_delay_alu instid0(VALU_DEP_1) | instskip(NEXT) | instid1(VALU_DEP_1)
	v_and_b32_e32 v40, 0xffff, v40
	v_lshrrev_b32_e32 v40, s43, v40
	s_delay_alu instid0(VALU_DEP_1) | instskip(NEXT) | instid1(VALU_DEP_1)
	v_and_b32_e32 v40, s48, v40
	v_lshl_or_b32 v40, v40, 4, v83
	ds_add_u32 v40, v97
	s_or_b32 exec_lo, exec_lo, s11
	s_delay_alu instid0(SALU_CYCLE_1)
	s_mov_b32 s11, exec_lo
	v_cmpx_gt_u32_e64 s10, v75
	s_cbranch_execz .LBB1010_359
.LBB1010_375:                           ;   in Loop: Header=BB1010_326 Depth=2
	v_xor_b32_e32 v40, 0xffff8000, v29
	s_delay_alu instid0(VALU_DEP_1) | instskip(NEXT) | instid1(VALU_DEP_1)
	v_and_b32_e32 v40, 0xffff, v40
	v_lshrrev_b32_e32 v40, s43, v40
	s_delay_alu instid0(VALU_DEP_1) | instskip(NEXT) | instid1(VALU_DEP_1)
	v_and_b32_e32 v40, s48, v40
	v_lshl_or_b32 v40, v40, 4, v83
	ds_add_u32 v40, v97
	s_or_b32 exec_lo, exec_lo, s11
	s_delay_alu instid0(SALU_CYCLE_1)
	s_mov_b32 s11, exec_lo
	v_cmpx_gt_u32_e64 s10, v76
	s_cbranch_execz .LBB1010_360
.LBB1010_376:                           ;   in Loop: Header=BB1010_326 Depth=2
	v_xor_b32_e32 v40, 0xffff8000, v28
	s_delay_alu instid0(VALU_DEP_1) | instskip(NEXT) | instid1(VALU_DEP_1)
	v_and_b32_e32 v40, 0xffff, v40
	v_lshrrev_b32_e32 v40, s43, v40
	s_delay_alu instid0(VALU_DEP_1) | instskip(NEXT) | instid1(VALU_DEP_1)
	v_and_b32_e32 v40, s48, v40
	v_lshl_or_b32 v40, v40, 4, v83
	ds_add_u32 v40, v97
	s_or_b32 exec_lo, exec_lo, s11
	s_delay_alu instid0(SALU_CYCLE_1)
	s_mov_b32 s11, exec_lo
	v_cmpx_gt_u32_e64 s10, v77
	s_cbranch_execz .LBB1010_361
.LBB1010_377:                           ;   in Loop: Header=BB1010_326 Depth=2
	v_xor_b32_e32 v40, 0xffff8000, v27
	s_delay_alu instid0(VALU_DEP_1) | instskip(NEXT) | instid1(VALU_DEP_1)
	v_and_b32_e32 v40, 0xffff, v40
	v_lshrrev_b32_e32 v40, s43, v40
	s_delay_alu instid0(VALU_DEP_1) | instskip(NEXT) | instid1(VALU_DEP_1)
	v_and_b32_e32 v40, s48, v40
	v_lshl_or_b32 v40, v40, 4, v83
	ds_add_u32 v40, v97
	s_or_b32 exec_lo, exec_lo, s11
	s_delay_alu instid0(SALU_CYCLE_1)
	s_mov_b32 s11, exec_lo
	v_cmpx_gt_u32_e64 s10, v78
	s_cbranch_execz .LBB1010_362
.LBB1010_378:                           ;   in Loop: Header=BB1010_326 Depth=2
	v_xor_b32_e32 v40, 0xffff8000, v26
	s_delay_alu instid0(VALU_DEP_1) | instskip(NEXT) | instid1(VALU_DEP_1)
	v_and_b32_e32 v40, 0xffff, v40
	v_lshrrev_b32_e32 v40, s43, v40
	s_delay_alu instid0(VALU_DEP_1) | instskip(NEXT) | instid1(VALU_DEP_1)
	v_and_b32_e32 v40, s48, v40
	v_lshl_or_b32 v40, v40, 4, v83
	ds_add_u32 v40, v97
	s_or_b32 exec_lo, exec_lo, s11
	s_delay_alu instid0(SALU_CYCLE_1)
	s_mov_b32 s11, exec_lo
	v_cmpx_gt_u32_e64 s10, v79
	s_cbranch_execz .LBB1010_363
.LBB1010_379:                           ;   in Loop: Header=BB1010_326 Depth=2
	v_xor_b32_e32 v40, 0xffff8000, v25
	s_delay_alu instid0(VALU_DEP_1) | instskip(NEXT) | instid1(VALU_DEP_1)
	v_and_b32_e32 v40, 0xffff, v40
	v_lshrrev_b32_e32 v40, s43, v40
	s_delay_alu instid0(VALU_DEP_1) | instskip(NEXT) | instid1(VALU_DEP_1)
	v_and_b32_e32 v40, s48, v40
	v_lshl_or_b32 v40, v40, 4, v83
	ds_add_u32 v40, v97
	s_or_b32 exec_lo, exec_lo, s11
	s_delay_alu instid0(SALU_CYCLE_1)
	s_mov_b32 s11, exec_lo
	v_cmpx_gt_u32_e64 s10, v80
	s_cbranch_execz .LBB1010_364
.LBB1010_380:                           ;   in Loop: Header=BB1010_326 Depth=2
	v_xor_b32_e32 v40, 0xffff8000, v24
	s_delay_alu instid0(VALU_DEP_1) | instskip(NEXT) | instid1(VALU_DEP_1)
	v_and_b32_e32 v40, 0xffff, v40
	v_lshrrev_b32_e32 v40, s43, v40
	s_delay_alu instid0(VALU_DEP_1) | instskip(NEXT) | instid1(VALU_DEP_1)
	v_and_b32_e32 v40, s48, v40
	v_lshl_or_b32 v40, v40, 4, v83
	ds_add_u32 v40, v97
	s_or_b32 exec_lo, exec_lo, s11
	v_cmp_gt_u32_e32 vcc_lo, s10, v81
	s_and_saveexec_b32 s10, vcc_lo
	s_cbranch_execz .LBB1010_325
.LBB1010_381:                           ;   in Loop: Header=BB1010_326 Depth=2
	v_xor_b32_e32 v40, 0xffff8000, v23
	s_delay_alu instid0(VALU_DEP_1) | instskip(NEXT) | instid1(VALU_DEP_1)
	v_and_b32_e32 v40, 0xffff, v40
	v_lshrrev_b32_e32 v40, s43, v40
	s_delay_alu instid0(VALU_DEP_1) | instskip(NEXT) | instid1(VALU_DEP_1)
	v_and_b32_e32 v40, s48, v40
	v_lshl_or_b32 v40, v40, 4, v83
	ds_add_u32 v40, v97
	s_branch .LBB1010_325
.LBB1010_382:                           ;   in Loop: Header=BB1010_326 Depth=2
	global_load_u16 v39, v2, s[10:11] scale_offset
	s_wait_xcnt 0x0
	s_or_b32 exec_lo, exec_lo, s13
	s_delay_alu instid0(SALU_CYCLE_1)
	s_mov_b32 s13, exec_lo
	v_cmpx_gt_u32_e64 s9, v66
	s_cbranch_execz .LBB1010_331
.LBB1010_383:                           ;   in Loop: Header=BB1010_326 Depth=2
	global_load_u16 v38, v2, s[10:11] offset:512 scale_offset
	s_wait_xcnt 0x0
	s_or_b32 exec_lo, exec_lo, s13
	s_delay_alu instid0(SALU_CYCLE_1)
	s_mov_b32 s13, exec_lo
	v_cmpx_gt_u32_e64 s9, v67
	s_cbranch_execz .LBB1010_332
.LBB1010_384:                           ;   in Loop: Header=BB1010_326 Depth=2
	global_load_u16 v37, v2, s[10:11] offset:1024 scale_offset
	s_wait_xcnt 0x0
	s_or_b32 exec_lo, exec_lo, s13
	s_delay_alu instid0(SALU_CYCLE_1)
	s_mov_b32 s13, exec_lo
	v_cmpx_gt_u32_e64 s9, v68
	s_cbranch_execz .LBB1010_333
.LBB1010_385:                           ;   in Loop: Header=BB1010_326 Depth=2
	global_load_u16 v36, v2, s[10:11] offset:1536 scale_offset
	s_wait_xcnt 0x0
	s_or_b32 exec_lo, exec_lo, s13
	s_delay_alu instid0(SALU_CYCLE_1)
	s_mov_b32 s13, exec_lo
	v_cmpx_gt_u32_e64 s9, v69
	s_cbranch_execz .LBB1010_334
.LBB1010_386:                           ;   in Loop: Header=BB1010_326 Depth=2
	global_load_u16 v35, v2, s[10:11] offset:2048 scale_offset
	s_wait_xcnt 0x0
	s_or_b32 exec_lo, exec_lo, s13
	s_delay_alu instid0(SALU_CYCLE_1)
	s_mov_b32 s13, exec_lo
	v_cmpx_gt_u32_e64 s9, v70
	s_cbranch_execz .LBB1010_335
.LBB1010_387:                           ;   in Loop: Header=BB1010_326 Depth=2
	global_load_u16 v34, v2, s[10:11] offset:2560 scale_offset
	s_wait_xcnt 0x0
	s_or_b32 exec_lo, exec_lo, s13
	s_delay_alu instid0(SALU_CYCLE_1)
	s_mov_b32 s13, exec_lo
	v_cmpx_gt_u32_e64 s9, v71
	s_cbranch_execz .LBB1010_336
.LBB1010_388:                           ;   in Loop: Header=BB1010_326 Depth=2
	global_load_u16 v33, v2, s[10:11] offset:3072 scale_offset
	s_wait_xcnt 0x0
	s_or_b32 exec_lo, exec_lo, s13
	s_delay_alu instid0(SALU_CYCLE_1)
	s_mov_b32 s13, exec_lo
	v_cmpx_gt_u32_e64 s9, v72
	s_cbranch_execz .LBB1010_337
.LBB1010_389:                           ;   in Loop: Header=BB1010_326 Depth=2
	global_load_u16 v32, v2, s[10:11] offset:3584 scale_offset
	s_wait_xcnt 0x0
	s_or_b32 exec_lo, exec_lo, s13
	s_delay_alu instid0(SALU_CYCLE_1)
	s_mov_b32 s13, exec_lo
	v_cmpx_gt_u32_e64 s9, v73
	s_cbranch_execz .LBB1010_338
.LBB1010_390:                           ;   in Loop: Header=BB1010_326 Depth=2
	global_load_u16 v31, v2, s[10:11] offset:4096 scale_offset
	s_wait_xcnt 0x0
	s_or_b32 exec_lo, exec_lo, s13
	s_delay_alu instid0(SALU_CYCLE_1)
	s_mov_b32 s13, exec_lo
	v_cmpx_gt_u32_e64 s9, v74
	s_cbranch_execz .LBB1010_339
.LBB1010_391:                           ;   in Loop: Header=BB1010_326 Depth=2
	global_load_u16 v30, v2, s[10:11] offset:4608 scale_offset
	s_wait_xcnt 0x0
	s_or_b32 exec_lo, exec_lo, s13
	s_delay_alu instid0(SALU_CYCLE_1)
	s_mov_b32 s13, exec_lo
	v_cmpx_gt_u32_e64 s9, v75
	s_cbranch_execz .LBB1010_340
.LBB1010_392:                           ;   in Loop: Header=BB1010_326 Depth=2
	global_load_u16 v29, v2, s[10:11] offset:5120 scale_offset
	s_wait_xcnt 0x0
	s_or_b32 exec_lo, exec_lo, s13
	s_delay_alu instid0(SALU_CYCLE_1)
	s_mov_b32 s13, exec_lo
	v_cmpx_gt_u32_e64 s9, v76
	s_cbranch_execz .LBB1010_341
.LBB1010_393:                           ;   in Loop: Header=BB1010_326 Depth=2
	global_load_u16 v28, v2, s[10:11] offset:5632 scale_offset
	s_wait_xcnt 0x0
	s_or_b32 exec_lo, exec_lo, s13
	s_delay_alu instid0(SALU_CYCLE_1)
	s_mov_b32 s13, exec_lo
	v_cmpx_gt_u32_e64 s9, v77
	s_cbranch_execz .LBB1010_342
.LBB1010_394:                           ;   in Loop: Header=BB1010_326 Depth=2
	global_load_u16 v27, v2, s[10:11] offset:6144 scale_offset
	s_wait_xcnt 0x0
	s_or_b32 exec_lo, exec_lo, s13
	s_delay_alu instid0(SALU_CYCLE_1)
	s_mov_b32 s13, exec_lo
	v_cmpx_gt_u32_e64 s9, v78
	s_cbranch_execz .LBB1010_343
.LBB1010_395:                           ;   in Loop: Header=BB1010_326 Depth=2
	global_load_u16 v26, v2, s[10:11] offset:6656 scale_offset
	s_wait_xcnt 0x0
	s_or_b32 exec_lo, exec_lo, s13
	s_delay_alu instid0(SALU_CYCLE_1)
	s_mov_b32 s13, exec_lo
	v_cmpx_gt_u32_e64 s9, v79
	s_cbranch_execz .LBB1010_344
.LBB1010_396:                           ;   in Loop: Header=BB1010_326 Depth=2
	global_load_u16 v25, v2, s[10:11] offset:7168 scale_offset
	s_wait_xcnt 0x0
	s_or_b32 exec_lo, exec_lo, s13
	s_delay_alu instid0(SALU_CYCLE_1)
	s_mov_b32 s13, exec_lo
	v_cmpx_gt_u32_e64 s9, v80
	s_cbranch_execz .LBB1010_345
.LBB1010_397:                           ;   in Loop: Header=BB1010_326 Depth=2
	global_load_u16 v24, v2, s[10:11] offset:7680 scale_offset
	s_wait_xcnt 0x0
	s_or_b32 exec_lo, exec_lo, s13
	s_delay_alu instid0(SALU_CYCLE_1)
	s_mov_b32 s13, exec_lo
	v_cmpx_gt_u32_e64 s9, v81
	s_cbranch_execnz .LBB1010_346
	s_branch .LBB1010_347
.LBB1010_398:                           ;   in Loop: Header=BB1010_12 Depth=1
	v_mov_b32_e32 v23, 0
	s_wait_dscnt 0x0
	s_barrier_signal -1
	s_barrier_wait -1
	s_and_saveexec_b32 s9, s0
	s_cbranch_execz .LBB1010_400
; %bb.399:                              ;   in Loop: Header=BB1010_12 Depth=1
	ds_load_2addr_b64 v[24:27], v84 offset1:1
	s_wait_dscnt 0x0
	v_add_nc_u32_e32 v23, v25, v24
	s_delay_alu instid0(VALU_DEP_1)
	v_add3_u32 v23, v23, v26, v27
.LBB1010_400:                           ;   in Loop: Header=BB1010_12 Depth=1
	s_or_b32 exec_lo, exec_lo, s9
	s_delay_alu instid0(VALU_DEP_1)
	v_mov_b32_dpp v24, v23 row_shr:1 row_mask:0xf bank_mask:0xf
	v_cmp_eq_u32_e64 s9, 0, v98
	v_cmp_lt_u32_e64 s10, 1, v98
	v_cmp_lt_u32_e64 s11, 3, v98
	;; [unrolled: 1-line block ×3, first 2 shown]
	v_cmp_eq_u32_e64 s13, 0, v100
	v_cndmask_b32_e64 v24, v24, 0, s9
	s_delay_alu instid0(VALU_DEP_1) | instskip(NEXT) | instid1(VALU_DEP_1)
	v_add_nc_u32_e32 v23, v24, v23
	v_mov_b32_dpp v24, v23 row_shr:2 row_mask:0xf bank_mask:0xf
	s_delay_alu instid0(VALU_DEP_1) | instskip(NEXT) | instid1(VALU_DEP_1)
	v_cndmask_b32_e64 v24, 0, v24, s10
	v_add_nc_u32_e32 v23, v23, v24
	s_delay_alu instid0(VALU_DEP_1) | instskip(NEXT) | instid1(VALU_DEP_1)
	v_mov_b32_dpp v24, v23 row_shr:4 row_mask:0xf bank_mask:0xf
	v_cndmask_b32_e64 v24, 0, v24, s11
	s_delay_alu instid0(VALU_DEP_1) | instskip(NEXT) | instid1(VALU_DEP_1)
	v_add_nc_u32_e32 v23, v23, v24
	v_mov_b32_dpp v24, v23 row_shr:8 row_mask:0xf bank_mask:0xf
	s_delay_alu instid0(VALU_DEP_1) | instskip(NEXT) | instid1(VALU_DEP_1)
	v_cndmask_b32_e64 v24, 0, v24, s12
	v_add_nc_u32_e32 v23, v23, v24
	ds_swizzle_b32 v24, v23 offset:swizzle(BROADCAST,32,15)
	s_wait_dscnt 0x0
	v_and_b32_e32 v24, v99, v24
	s_delay_alu instid0(VALU_DEP_1)
	v_add_nc_u32_e32 v23, v23, v24
	s_and_saveexec_b32 s14, s1
; %bb.401:                              ;   in Loop: Header=BB1010_12 Depth=1
	ds_store_b32 v85, v23
; %bb.402:                              ;   in Loop: Header=BB1010_12 Depth=1
	s_or_b32 exec_lo, exec_lo, s14
	s_wait_dscnt 0x0
	s_barrier_signal -1
	s_barrier_wait -1
	s_and_saveexec_b32 s14, s4
	s_cbranch_execz .LBB1010_404
; %bb.403:                              ;   in Loop: Header=BB1010_12 Depth=1
	ds_load_b32 v24, v86
	v_cmp_ne_u32_e32 vcc_lo, 0, v101
	s_wait_dscnt 0x0
	v_mov_b32_dpp v25, v24 row_shr:1 row_mask:0xf bank_mask:0xf
	s_delay_alu instid0(VALU_DEP_1) | instskip(SKIP_1) | instid1(VALU_DEP_2)
	v_cndmask_b32_e32 v25, 0, v25, vcc_lo
	v_cmp_lt_u32_e32 vcc_lo, 1, v101
	v_add_nc_u32_e32 v24, v25, v24
	s_delay_alu instid0(VALU_DEP_1) | instskip(NEXT) | instid1(VALU_DEP_1)
	v_mov_b32_dpp v25, v24 row_shr:2 row_mask:0xf bank_mask:0xf
	v_cndmask_b32_e32 v25, 0, v25, vcc_lo
	s_delay_alu instid0(VALU_DEP_1)
	v_add_nc_u32_e32 v24, v24, v25
	ds_store_b32 v86, v24
.LBB1010_404:                           ;   in Loop: Header=BB1010_12 Depth=1
	s_or_b32 exec_lo, exec_lo, s14
	v_mov_b32_e32 v24, 0
	s_wait_dscnt 0x0
	s_barrier_signal -1
	s_barrier_wait -1
	s_and_saveexec_b32 s14, s5
; %bb.405:                              ;   in Loop: Header=BB1010_12 Depth=1
	ds_load_b32 v24, v87
; %bb.406:                              ;   in Loop: Header=BB1010_12 Depth=1
	s_or_b32 exec_lo, exec_lo, s14
	v_cmp_gt_i32_e32 vcc_lo, 0, v103
	s_wait_dscnt 0x0
	s_barrier_signal -1
	s_barrier_wait -1
	v_dual_cndmask_b32 v25, v103, v96, vcc_lo :: v_dual_add_nc_u32 v23, v24, v23
	s_delay_alu instid0(VALU_DEP_1)
	v_lshlrev_b32_e32 v121, 2, v25
	ds_bpermute_b32 v23, v121, v23
	s_and_saveexec_b32 s14, s0
	s_cbranch_execz .LBB1010_408
; %bb.407:                              ;   in Loop: Header=BB1010_12 Depth=1
	s_wait_dscnt 0x0
	v_cndmask_b32_e64 v23, v23, v24, s8
	s_delay_alu instid0(VALU_DEP_1)
	v_add_nc_u32_e32 v23, s55, v23
	ds_store_b32 v3, v23
.LBB1010_408:                           ;   in Loop: Header=BB1010_12 Depth=1
	s_or_b32 exec_lo, exec_lo, s14
	s_load_b64 s[14:15], s[52:53], 0x0
	s_mov_b32 s58, s57
                                        ; implicit-def: $vgpr30_vgpr31
                                        ; implicit-def: $vgpr32_vgpr33
                                        ; implicit-def: $vgpr34_vgpr35
                                        ; implicit-def: $vgpr36_vgpr37
                                        ; implicit-def: $vgpr38_vgpr39
                                        ; implicit-def: $vgpr40_vgpr41
                                        ; implicit-def: $vgpr42_vgpr43
                                        ; implicit-def: $vgpr44_vgpr45
                                        ; implicit-def: $vgpr46_vgpr47
                                        ; implicit-def: $vgpr48_vgpr49
                                        ; implicit-def: $vgpr50_vgpr51
                                        ; implicit-def: $vgpr52_vgpr53
                                        ; implicit-def: $vgpr54_vgpr55
                                        ; implicit-def: $vgpr56_vgpr57
                                        ; implicit-def: $vgpr58_vgpr59
                                        ; implicit-def: $vgpr60_vgpr61
                                        ; implicit-def: $vgpr122
                                        ; implicit-def: $vgpr123
                                        ; implicit-def: $vgpr124
                                        ; implicit-def: $vgpr125
                                        ; implicit-def: $vgpr126
                                        ; implicit-def: $vgpr127
                                        ; implicit-def: $vgpr128
                                        ; implicit-def: $vgpr129
                                        ; implicit-def: $vgpr130
                                        ; implicit-def: $vgpr131
                                        ; implicit-def: $vgpr132
                                        ; implicit-def: $vgpr133
                                        ; implicit-def: $vgpr134
                                        ; implicit-def: $vgpr135
                                        ; implicit-def: $vgpr136
                                        ; implicit-def: $vgpr138
                                        ; implicit-def: $vgpr139
                                        ; implicit-def: $vgpr137
                                        ; implicit-def: $vgpr140
	s_wait_kmcnt 0x0
	s_cmp_lt_u32 s51, s14
	s_cselect_b32 s34, 12, 18
	s_cmp_lt_u32 s42, s15
	s_mov_b32 s15, s35
	s_cselect_b32 s14, 14, 20
	s_delay_alu instid0(SALU_CYCLE_1)
	s_add_nc_u64 s[14:15], s[52:53], s[14:15]
	s_load_u16 s16, s[14:15], 0x0
	s_wait_xcnt 0x0
	s_add_nc_u64 s[14:15], s[52:53], s[34:35]
	s_mov_b32 s34, s55
	s_load_u16 s14, s[14:15], 0x0
	s_wait_xcnt 0x0
	v_cmp_lt_u32_e64 s15, 1, v104
	s_wait_dscnt 0x0
	s_wait_kmcnt 0x0
	v_mad_u32_u24 v23, v88, s16, v90
	v_cmp_lt_u32_e64 s16, 3, v104
	s_delay_alu instid0(VALU_DEP_2) | instskip(SKIP_2) | instid1(VALU_DEP_3)
	v_mad_u32 v24, v23, s14, v2
	v_mov_b32_e32 v23, v5
	v_cmp_eq_u32_e64 s14, 0, v104
	v_lshrrev_b32_e32 v28, 3, v24
	v_add_nc_u64_e32 v[24:25], v[12:13], v[4:5]
	s_delay_alu instid0(VALU_DEP_4) | instskip(NEXT) | instid1(VALU_DEP_3)
	v_add_nc_u64_e32 v[26:27], v[14:15], v[22:23]
	v_and_b32_e32 v23, 0x1ffffffc, v28
                                        ; implicit-def: $vgpr28_vgpr29
	s_branch .LBB1010_410
.LBB1010_409:                           ;   in Loop: Header=BB1010_410 Depth=2
	s_or_b32 exec_lo, exec_lo, s17
	s_addk_co_i32 s58, 0xef00
	s_cmp_lt_u32 s59, s54
	s_mov_b32 s34, s59
	s_cbranch_scc0 .LBB1010_632
.LBB1010_410:                           ;   Parent Loop BB1010_12 Depth=1
                                        ; =>  This Inner Loop Header: Depth=2
	s_add_co_i32 s59, s34, 0x1100
	s_delay_alu instid0(SALU_CYCLE_1)
	s_cmp_gt_u32 s59, s54
	s_cbranch_scc1 .LBB1010_412
; %bb.411:                              ;   in Loop: Header=BB1010_410 Depth=2
	s_delay_alu instid0(VALU_DEP_2)
	v_lshl_add_u64 v[62:63], s[34:35], 1, v[26:27]
	s_mov_b32 s17, -1
	s_clause 0xf
	global_load_u16 v143, v[62:63], off
	global_load_u16 v145, v[62:63], off offset:64
	global_load_u16 v147, v[62:63], off offset:128
	;; [unrolled: 1-line block ×15, first 2 shown]
	s_movk_i32 s18, 0x1100
	s_cbranch_execz .LBB1010_413
	s_branch .LBB1010_446
.LBB1010_412:                           ;   in Loop: Header=BB1010_410 Depth=2
	s_mov_b32 s17, 0
                                        ; implicit-def: $vgpr143
                                        ; implicit-def: $vgpr145
                                        ; implicit-def: $vgpr147
                                        ; implicit-def: $vgpr151
                                        ; implicit-def: $vgpr155
                                        ; implicit-def: $vgpr160
                                        ; implicit-def: $vgpr166
                                        ; implicit-def: $vgpr171
                                        ; implicit-def: $vgpr176
                                        ; implicit-def: $vgpr174
                                        ; implicit-def: $vgpr169
                                        ; implicit-def: $vgpr164
                                        ; implicit-def: $vgpr161
                                        ; implicit-def: $vgpr156
                                        ; implicit-def: $vgpr65
                                        ; implicit-def: $vgpr64
	s_movk_i32 s18, 0x1100
.LBB1010_413:                           ;   in Loop: Header=BB1010_410 Depth=2
	s_wait_xcnt 0x0
	v_lshl_add_u64 v[62:63], s[34:35], 1, v[26:27]
	s_wait_loadcnt 0xe
	v_mov_b32_e32 v145, 0x7fff
	v_mov_b32_e32 v143, 0x7fff
	s_mov_b32 s17, exec_lo
	v_cmpx_gt_u32_e64 s58, v102
	s_cbranch_execz .LBB1010_415
; %bb.414:                              ;   in Loop: Header=BB1010_410 Depth=2
	global_load_u16 v143, v[62:63], off
.LBB1010_415:                           ;   in Loop: Header=BB1010_410 Depth=2
	s_wait_xcnt 0x0
	s_or_b32 exec_lo, exec_lo, s17
	s_delay_alu instid0(SALU_CYCLE_1)
	s_mov_b32 s17, exec_lo
	v_cmpx_gt_u32_e64 s58, v105
	s_cbranch_execz .LBB1010_417
; %bb.416:                              ;   in Loop: Header=BB1010_410 Depth=2
	global_load_u16 v145, v[62:63], off offset:64
.LBB1010_417:                           ;   in Loop: Header=BB1010_410 Depth=2
	s_wait_xcnt 0x0
	s_or_b32 exec_lo, exec_lo, s17
	s_wait_loadcnt 0xc
	v_mov_b32_e32 v151, 0x7fff
	v_mov_b32_e32 v147, 0x7fff
	s_mov_b32 s17, exec_lo
	v_cmpx_gt_u32_e64 s58, v106
	s_cbranch_execz .LBB1010_419
; %bb.418:                              ;   in Loop: Header=BB1010_410 Depth=2
	global_load_u16 v147, v[62:63], off offset:128
.LBB1010_419:                           ;   in Loop: Header=BB1010_410 Depth=2
	s_wait_xcnt 0x0
	s_or_b32 exec_lo, exec_lo, s17
	s_delay_alu instid0(SALU_CYCLE_1)
	s_mov_b32 s17, exec_lo
	v_cmpx_gt_u32_e64 s58, v107
	s_cbranch_execz .LBB1010_421
; %bb.420:                              ;   in Loop: Header=BB1010_410 Depth=2
	global_load_u16 v151, v[62:63], off offset:192
.LBB1010_421:                           ;   in Loop: Header=BB1010_410 Depth=2
	s_wait_xcnt 0x0
	s_or_b32 exec_lo, exec_lo, s17
	s_wait_loadcnt 0xa
	v_dual_mov_b32 v160, 0x7fff :: v_dual_mov_b32 v155, 0x7fff
	s_mov_b32 s17, exec_lo
	v_cmpx_gt_u32_e64 s58, v108
	s_cbranch_execz .LBB1010_423
; %bb.422:                              ;   in Loop: Header=BB1010_410 Depth=2
	global_load_u16 v155, v[62:63], off offset:256
.LBB1010_423:                           ;   in Loop: Header=BB1010_410 Depth=2
	s_wait_xcnt 0x0
	s_or_b32 exec_lo, exec_lo, s17
	s_delay_alu instid0(SALU_CYCLE_1)
	s_mov_b32 s17, exec_lo
	v_cmpx_gt_u32_e64 s58, v109
	s_cbranch_execz .LBB1010_425
; %bb.424:                              ;   in Loop: Header=BB1010_410 Depth=2
	global_load_u16 v160, v[62:63], off offset:320
.LBB1010_425:                           ;   in Loop: Header=BB1010_410 Depth=2
	s_wait_xcnt 0x0
	s_or_b32 exec_lo, exec_lo, s17
	s_wait_loadcnt 0x8
	v_dual_mov_b32 v171, 0x7fff :: v_dual_mov_b32 v166, 0x7fff
	s_mov_b32 s17, exec_lo
	v_cmpx_gt_u32_e64 s58, v110
	s_cbranch_execz .LBB1010_427
; %bb.426:                              ;   in Loop: Header=BB1010_410 Depth=2
	global_load_u16 v166, v[62:63], off offset:384
.LBB1010_427:                           ;   in Loop: Header=BB1010_410 Depth=2
	s_wait_xcnt 0x0
	s_or_b32 exec_lo, exec_lo, s17
	s_delay_alu instid0(SALU_CYCLE_1)
	s_mov_b32 s17, exec_lo
	v_cmpx_gt_u32_e64 s58, v111
	s_cbranch_execz .LBB1010_429
; %bb.428:                              ;   in Loop: Header=BB1010_410 Depth=2
	global_load_u16 v171, v[62:63], off offset:448
.LBB1010_429:                           ;   in Loop: Header=BB1010_410 Depth=2
	s_wait_xcnt 0x0
	s_or_b32 exec_lo, exec_lo, s17
	s_wait_loadcnt 0x6
	v_mov_b32_e32 v174, 0x7fff
	v_mov_b32_e32 v176, 0x7fff
	s_mov_b32 s17, exec_lo
	v_cmpx_gt_u32_e64 s58, v112
	s_cbranch_execz .LBB1010_431
; %bb.430:                              ;   in Loop: Header=BB1010_410 Depth=2
	global_load_u16 v176, v[62:63], off offset:512
.LBB1010_431:                           ;   in Loop: Header=BB1010_410 Depth=2
	s_wait_xcnt 0x0
	s_or_b32 exec_lo, exec_lo, s17
	s_delay_alu instid0(SALU_CYCLE_1)
	s_mov_b32 s17, exec_lo
	v_cmpx_gt_u32_e64 s58, v113
	s_cbranch_execz .LBB1010_433
; %bb.432:                              ;   in Loop: Header=BB1010_410 Depth=2
	global_load_u16 v174, v[62:63], off offset:576
.LBB1010_433:                           ;   in Loop: Header=BB1010_410 Depth=2
	s_wait_xcnt 0x0
	s_or_b32 exec_lo, exec_lo, s17
	s_wait_loadcnt 0x4
	v_dual_mov_b32 v164, 0x7fff :: v_dual_mov_b32 v169, 0x7fff
	s_mov_b32 s17, exec_lo
	v_cmpx_gt_u32_e64 s58, v114
	s_cbranch_execz .LBB1010_435
; %bb.434:                              ;   in Loop: Header=BB1010_410 Depth=2
	global_load_u16 v169, v[62:63], off offset:640
.LBB1010_435:                           ;   in Loop: Header=BB1010_410 Depth=2
	s_wait_xcnt 0x0
	s_or_b32 exec_lo, exec_lo, s17
	s_delay_alu instid0(SALU_CYCLE_1)
	s_mov_b32 s17, exec_lo
	v_cmpx_gt_u32_e64 s58, v115
	s_cbranch_execz .LBB1010_437
; %bb.436:                              ;   in Loop: Header=BB1010_410 Depth=2
	global_load_u16 v164, v[62:63], off offset:704
.LBB1010_437:                           ;   in Loop: Header=BB1010_410 Depth=2
	s_wait_xcnt 0x0
	s_or_b32 exec_lo, exec_lo, s17
	s_wait_loadcnt 0x2
	v_dual_mov_b32 v156, 0x7fff :: v_dual_mov_b32 v161, 0x7fff
	;; [unrolled: 19-line block ×3, first 2 shown]
	s_mov_b32 s17, exec_lo
	v_cmpx_gt_u32_e64 s58, v118
	s_cbranch_execz .LBB1010_443
; %bb.442:                              ;   in Loop: Header=BB1010_410 Depth=2
	global_load_u16 v65, v[62:63], off offset:896
.LBB1010_443:                           ;   in Loop: Header=BB1010_410 Depth=2
	s_wait_xcnt 0x0
	s_or_b32 exec_lo, exec_lo, s17
	s_delay_alu instid0(SALU_CYCLE_1)
	s_mov_b32 s17, exec_lo
	v_cmpx_gt_u32_e64 s58, v119
	s_cbranch_execz .LBB1010_445
; %bb.444:                              ;   in Loop: Header=BB1010_410 Depth=2
	global_load_u16 v64, v[62:63], off offset:960
.LBB1010_445:                           ;   in Loop: Header=BB1010_410 Depth=2
	s_wait_xcnt 0x0
	s_or_b32 exec_lo, exec_lo, s17
	v_cmp_gt_u32_e64 s17, s58, v120
	s_sub_co_i32 s18, s54, s34
.LBB1010_446:                           ;   in Loop: Header=BB1010_410 Depth=2
	v_dual_mov_b32 v142, -1 :: v_dual_mov_b32 v141, s58
	s_wait_xcnt 0x0
	s_and_saveexec_b32 s19, s17
	s_cbranch_execz .LBB1010_448
; %bb.447:                              ;   in Loop: Header=BB1010_410 Depth=2
	v_lshl_add_u64 v[62:63], s[34:35], 1, v[26:27]
	v_mov_b32_e32 v141, s18
	global_load_u16 v62, v[62:63], off offset:1024
	s_wait_loadcnt 0x0
	v_xor_b32_e32 v142, 0xffff8000, v62
.LBB1010_448:                           ;   in Loop: Header=BB1010_410 Depth=2
	s_wait_xcnt 0x0
	s_or_b32 exec_lo, exec_lo, s19
	s_wait_loadcnt 0xf
	v_xor_b32_e32 v143, 0xffff8000, v143
	ds_store_2addr_b32 v89, v5, v5 offset0:136 offset1:137
	ds_store_2addr_b32 v89, v5, v5 offset0:138 offset1:139
	ds_store_b32 v89, v5 offset:560
	s_wait_loadcnt_dscnt 0x0
	s_barrier_signal -1
	s_barrier_wait -1
	v_and_b32_e32 v62, 0xffff, v143
	; wave barrier
	s_delay_alu instid0(VALU_DEP_1) | instskip(NEXT) | instid1(VALU_DEP_1)
	v_lshrrev_b32_e32 v62, s43, v62
	v_bitop3_b32 v63, v62, 1, s48 bitop3:0x80
	v_and_b32_e32 v146, s48, v62
	s_delay_alu instid0(VALU_DEP_2) | instskip(NEXT) | instid1(VALU_DEP_1)
	v_add_co_u32 v62, s17, v63, -1
	v_cndmask_b32_e64 v63, 0, 1, s17
	s_delay_alu instid0(VALU_DEP_3) | instskip(NEXT) | instid1(VALU_DEP_2)
	v_dual_lshlrev_b32 v144, 30, v146 :: v_dual_lshlrev_b32 v148, 29, v146
	v_cmp_ne_u32_e32 vcc_lo, 0, v63
	s_delay_alu instid0(VALU_DEP_2) | instskip(SKIP_1) | instid1(VALU_DEP_4)
	v_cmp_gt_i32_e64 s17, 0, v144
	v_not_b32_e32 v63, v144
	v_not_b32_e32 v144, v148
	v_cmp_gt_i32_e64 s18, 0, v148
	v_bitop3_b32 v62, vcc_lo, exec_lo, v62 bitop3:0x48
	s_delay_alu instid0(VALU_DEP_3) | instskip(SKIP_2) | instid1(VALU_DEP_3)
	v_dual_ashrrev_i32 v63, 31, v63 :: v_dual_ashrrev_i32 v144, 31, v144
	v_dual_lshlrev_b32 v149, 28, v146 :: v_dual_lshlrev_b32 v150, 27, v146
	v_dual_lshlrev_b32 v152, 26, v146 :: v_dual_lshlrev_b32 v153, 25, v146
	v_xor_b32_e32 v144, s18, v144
	s_delay_alu instid0(VALU_DEP_3)
	v_cmp_gt_i32_e64 s19, 0, v149
	v_not_b32_e32 v148, v149
	v_not_b32_e32 v149, v150
	v_cmp_gt_i32_e64 s20, 0, v150
	v_cmp_gt_i32_e64 s21, 0, v152
	v_not_b32_e32 v150, v152
	v_not_b32_e32 v152, v153
	v_dual_ashrrev_i32 v148, 31, v148 :: v_dual_ashrrev_i32 v149, 31, v149
	s_delay_alu instid0(VALU_DEP_3) | instskip(SKIP_1) | instid1(VALU_DEP_3)
	v_dual_ashrrev_i32 v150, 31, v150 :: v_dual_bitop2_b32 v63, s17, v63 bitop3:0x14
	v_cmp_gt_i32_e64 s22, 0, v153
	v_dual_ashrrev_i32 v152, 31, v152 :: v_dual_bitop2_b32 v149, s20, v149 bitop3:0x14
	s_delay_alu instid0(VALU_DEP_4) | instskip(NEXT) | instid1(VALU_DEP_4)
	v_xor_b32_e32 v148, s19, v148
	v_bitop3_b32 v62, v62, v144, v63 bitop3:0x80
	v_xor_b32_e32 v63, s21, v150
	s_delay_alu instid0(VALU_DEP_4) | instskip(NEXT) | instid1(VALU_DEP_3)
	v_xor_b32_e32 v144, s22, v152
	v_bitop3_b32 v62, v62, v149, v148 bitop3:0x80
	s_delay_alu instid0(VALU_DEP_1) | instskip(SKIP_1) | instid1(VALU_DEP_2)
	v_bitop3_b32 v62, v62, v144, v63 bitop3:0x80
	v_mul_u32_u24_e32 v63, 36, v146
	v_mbcnt_lo_u32_b32 v144, v62, 0
	v_cmp_ne_u32_e64 s17, 0, v62
	s_delay_alu instid0(VALU_DEP_3) | instskip(NEXT) | instid1(VALU_DEP_3)
	v_add_nc_u32_e32 v146, v23, v63
	v_cmp_eq_u32_e32 vcc_lo, 0, v144
	s_and_b32 s18, s17, vcc_lo
	s_delay_alu instid0(SALU_CYCLE_1)
	s_and_saveexec_b32 s17, s18
; %bb.449:                              ;   in Loop: Header=BB1010_410 Depth=2
	v_bcnt_u32_b32 v62, v62, 0
	ds_store_b32 v146, v62 offset:544
; %bb.450:                              ;   in Loop: Header=BB1010_410 Depth=2
	s_or_b32 exec_lo, exec_lo, s17
	v_xor_b32_e32 v145, 0xffff8000, v145
	; wave barrier
	s_delay_alu instid0(VALU_DEP_1) | instskip(NEXT) | instid1(VALU_DEP_1)
	v_and_b32_e32 v62, 0xffff, v145
	v_lshrrev_b32_e32 v62, s43, v62
	s_delay_alu instid0(VALU_DEP_1) | instskip(SKIP_1) | instid1(VALU_DEP_2)
	v_bitop3_b32 v63, v62, 1, s48 bitop3:0x80
	v_and_b32_e32 v150, s48, v62
	v_add_co_u32 v62, s17, v63, -1
	s_delay_alu instid0(VALU_DEP_1) | instskip(NEXT) | instid1(VALU_DEP_3)
	v_cndmask_b32_e64 v63, 0, 1, s17
	v_dual_lshlrev_b32 v148, 30, v150 :: v_dual_lshlrev_b32 v149, 29, v150
	s_delay_alu instid0(VALU_DEP_2) | instskip(NEXT) | instid1(VALU_DEP_2)
	v_cmp_ne_u32_e32 vcc_lo, 0, v63
	v_cmp_gt_i32_e64 s17, 0, v148
	v_not_b32_e32 v63, v148
	s_delay_alu instid0(VALU_DEP_4) | instskip(SKIP_2) | instid1(VALU_DEP_3)
	v_not_b32_e32 v148, v149
	v_cmp_gt_i32_e64 s18, 0, v149
	v_bitop3_b32 v62, vcc_lo, exec_lo, v62 bitop3:0x48
	v_dual_ashrrev_i32 v63, 31, v63 :: v_dual_ashrrev_i32 v148, 31, v148
	v_dual_lshlrev_b32 v152, 28, v150 :: v_dual_lshlrev_b32 v153, 27, v150
	v_dual_lshlrev_b32 v154, 26, v150 :: v_dual_lshlrev_b32 v157, 25, v150
	s_delay_alu instid0(VALU_DEP_2) | instskip(SKIP_1) | instid1(VALU_DEP_4)
	v_cmp_gt_i32_e64 s19, 0, v152
	v_not_b32_e32 v149, v152
	v_cmp_gt_i32_e64 s20, 0, v153
	v_not_b32_e32 v152, v153
	;; [unrolled: 2-line block ×3, first 2 shown]
	v_not_b32_e32 v154, v157
	v_xor_b32_e32 v63, s17, v63
	v_dual_ashrrev_i32 v149, 31, v149 :: v_dual_bitop2_b32 v148, s18, v148 bitop3:0x14
	s_delay_alu instid0(VALU_DEP_4) | instskip(NEXT) | instid1(VALU_DEP_4)
	v_dual_ashrrev_i32 v152, 31, v152 :: v_dual_ashrrev_i32 v153, 31, v153
	v_ashrrev_i32_e32 v154, 31, v154
	s_delay_alu instid0(VALU_DEP_3)
	v_bitop3_b32 v62, v62, v148, v63 bitop3:0x80
	v_mad_u32_u24 v63, v150, 36, v23
	v_cmp_gt_i32_e64 s22, 0, v157
	v_xor_b32_e32 v152, s20, v152
	v_xor_b32_e32 v153, s21, v153
	ds_load_b32 v148, v63 offset:544
	v_mul_u32_u24_e32 v63, 36, v150
	v_xor_b32_e32 v149, s19, v149
	v_xor_b32_e32 v154, s22, v154
	; wave barrier
	s_delay_alu instid0(VALU_DEP_3) | instskip(NEXT) | instid1(VALU_DEP_3)
	v_add_nc_u32_e32 v150, v23, v63
	v_bitop3_b32 v62, v62, v152, v149 bitop3:0x80
	s_delay_alu instid0(VALU_DEP_1) | instskip(NEXT) | instid1(VALU_DEP_1)
	v_bitop3_b32 v62, v62, v154, v153 bitop3:0x80
	v_mbcnt_lo_u32_b32 v149, v62, 0
	v_cmp_ne_u32_e64 s17, 0, v62
	s_delay_alu instid0(VALU_DEP_2) | instskip(SKIP_1) | instid1(SALU_CYCLE_1)
	v_cmp_eq_u32_e32 vcc_lo, 0, v149
	s_and_b32 s18, s17, vcc_lo
	s_and_saveexec_b32 s17, s18
	s_cbranch_execz .LBB1010_452
; %bb.451:                              ;   in Loop: Header=BB1010_410 Depth=2
	s_wait_dscnt 0x0
	v_bcnt_u32_b32 v62, v62, v148
	ds_store_b32 v150, v62 offset:544
.LBB1010_452:                           ;   in Loop: Header=BB1010_410 Depth=2
	s_or_b32 exec_lo, exec_lo, s17
	v_xor_b32_e32 v147, 0xffff8000, v147
	; wave barrier
	s_delay_alu instid0(VALU_DEP_1) | instskip(NEXT) | instid1(VALU_DEP_1)
	v_and_b32_e32 v62, 0xffff, v147
	v_lshrrev_b32_e32 v62, s43, v62
	s_delay_alu instid0(VALU_DEP_1) | instskip(SKIP_1) | instid1(VALU_DEP_2)
	v_bitop3_b32 v63, v62, 1, s48 bitop3:0x80
	v_and_b32_e32 v154, s48, v62
	v_add_co_u32 v62, s17, v63, -1
	s_delay_alu instid0(VALU_DEP_1) | instskip(NEXT) | instid1(VALU_DEP_3)
	v_cndmask_b32_e64 v63, 0, 1, s17
	v_dual_lshlrev_b32 v152, 30, v154 :: v_dual_lshlrev_b32 v153, 29, v154
	s_delay_alu instid0(VALU_DEP_2) | instskip(NEXT) | instid1(VALU_DEP_2)
	v_cmp_ne_u32_e32 vcc_lo, 0, v63
	v_cmp_gt_i32_e64 s17, 0, v152
	v_not_b32_e32 v63, v152
	s_delay_alu instid0(VALU_DEP_4) | instskip(SKIP_2) | instid1(VALU_DEP_3)
	v_not_b32_e32 v152, v153
	v_cmp_gt_i32_e64 s18, 0, v153
	v_bitop3_b32 v62, vcc_lo, exec_lo, v62 bitop3:0x48
	v_dual_ashrrev_i32 v63, 31, v63 :: v_dual_ashrrev_i32 v152, 31, v152
	v_dual_lshlrev_b32 v157, 28, v154 :: v_dual_lshlrev_b32 v158, 27, v154
	v_dual_lshlrev_b32 v159, 26, v154 :: v_dual_lshlrev_b32 v162, 25, v154
	s_delay_alu instid0(VALU_DEP_3) | instskip(NEXT) | instid1(VALU_DEP_3)
	v_xor_b32_e32 v63, s17, v63
	v_cmp_gt_i32_e64 s19, 0, v157
	v_not_b32_e32 v153, v157
	v_not_b32_e32 v157, v158
	v_xor_b32_e32 v152, s18, v152
	v_cmp_gt_i32_e64 s20, 0, v158
	v_cmp_gt_i32_e64 s21, 0, v159
	v_ashrrev_i32_e32 v153, 31, v153
	v_ashrrev_i32_e32 v157, 31, v157
	v_not_b32_e32 v158, v159
	v_not_b32_e32 v159, v162
	v_bitop3_b32 v62, v62, v152, v63 bitop3:0x80
	v_mad_u32_u24 v63, v154, 36, v23
	v_cmp_gt_i32_e64 s22, 0, v162
	s_delay_alu instid0(VALU_DEP_4)
	v_dual_ashrrev_i32 v158, 31, v158 :: v_dual_ashrrev_i32 v159, 31, v159
	v_xor_b32_e32 v157, s20, v157
	ds_load_b32 v152, v63 offset:544
	v_mul_u32_u24_e32 v63, 36, v154
	v_xor_b32_e32 v153, s19, v153
	v_xor_b32_e32 v158, s21, v158
	;; [unrolled: 1-line block ×3, first 2 shown]
	s_delay_alu instid0(VALU_DEP_4) | instskip(NEXT) | instid1(VALU_DEP_4)
	v_add_nc_u32_e32 v154, v23, v63
	v_bitop3_b32 v62, v62, v157, v153 bitop3:0x80
	; wave barrier
	s_delay_alu instid0(VALU_DEP_1) | instskip(NEXT) | instid1(VALU_DEP_1)
	v_bitop3_b32 v62, v62, v159, v158 bitop3:0x80
	v_mbcnt_lo_u32_b32 v153, v62, 0
	v_cmp_ne_u32_e64 s17, 0, v62
	s_delay_alu instid0(VALU_DEP_2) | instskip(SKIP_1) | instid1(SALU_CYCLE_1)
	v_cmp_eq_u32_e32 vcc_lo, 0, v153
	s_and_b32 s18, s17, vcc_lo
	s_and_saveexec_b32 s17, s18
	s_cbranch_execz .LBB1010_454
; %bb.453:                              ;   in Loop: Header=BB1010_410 Depth=2
	s_wait_dscnt 0x0
	v_bcnt_u32_b32 v62, v62, v152
	ds_store_b32 v154, v62 offset:544
.LBB1010_454:                           ;   in Loop: Header=BB1010_410 Depth=2
	s_or_b32 exec_lo, exec_lo, s17
	v_xor_b32_e32 v151, 0xffff8000, v151
	; wave barrier
	s_delay_alu instid0(VALU_DEP_1) | instskip(NEXT) | instid1(VALU_DEP_1)
	v_and_b32_e32 v62, 0xffff, v151
	v_lshrrev_b32_e32 v62, s43, v62
	s_delay_alu instid0(VALU_DEP_1) | instskip(NEXT) | instid1(VALU_DEP_1)
	v_and_b32_e32 v159, s48, v62
	v_lshlrev_b32_e32 v157, 30, v159
	v_bitop3_b32 v63, v62, 1, s48 bitop3:0x80
	s_delay_alu instid0(VALU_DEP_1) | instskip(NEXT) | instid1(VALU_DEP_1)
	v_add_co_u32 v62, s17, v63, -1
	v_cndmask_b32_e64 v63, 0, 1, s17
	s_delay_alu instid0(VALU_DEP_4) | instskip(NEXT) | instid1(VALU_DEP_2)
	v_cmp_gt_i32_e64 s17, 0, v157
	v_cmp_ne_u32_e32 vcc_lo, 0, v63
	v_not_b32_e32 v63, v157
	v_bitop3_b32 v62, vcc_lo, exec_lo, v62 bitop3:0x48
	s_delay_alu instid0(VALU_DEP_2) | instskip(SKIP_2) | instid1(VALU_DEP_3)
	v_ashrrev_i32_e32 v63, 31, v63
	v_dual_lshlrev_b32 v158, 29, v159 :: v_dual_lshlrev_b32 v162, 28, v159
	v_dual_lshlrev_b32 v163, 27, v159 :: v_dual_lshlrev_b32 v165, 26, v159
	v_xor_b32_e32 v63, s17, v63
	s_delay_alu instid0(VALU_DEP_3)
	v_not_b32_e32 v157, v158
	v_lshlrev_b32_e32 v167, 25, v159
	v_cmp_gt_i32_e64 s18, 0, v158
	v_cmp_gt_i32_e64 s19, 0, v162
	v_not_b32_e32 v158, v162
	v_not_b32_e32 v162, v163
	v_ashrrev_i32_e32 v157, 31, v157
	v_cmp_gt_i32_e64 s20, 0, v163
	v_cmp_gt_i32_e64 s21, 0, v165
	v_ashrrev_i32_e32 v158, 31, v158
	s_delay_alu instid0(VALU_DEP_4) | instskip(SKIP_3) | instid1(VALU_DEP_4)
	v_dual_ashrrev_i32 v162, 31, v162 :: v_dual_bitop2_b32 v157, s18, v157 bitop3:0x14
	v_not_b32_e32 v163, v165
	v_not_b32_e32 v165, v167
	v_cmp_gt_i32_e64 s22, 0, v167
	v_xor_b32_e32 v162, s20, v162
	v_bitop3_b32 v62, v62, v157, v63 bitop3:0x80
	v_mad_u32_u24 v63, v159, 36, v23
	v_dual_ashrrev_i32 v163, 31, v163 :: v_dual_ashrrev_i32 v165, 31, v165
	ds_load_b32 v157, v63 offset:544
	v_mul_u32_u24_e32 v63, 36, v159
	v_xor_b32_e32 v158, s19, v158
	v_xor_b32_e32 v163, s21, v163
	;; [unrolled: 1-line block ×3, first 2 shown]
	s_delay_alu instid0(VALU_DEP_4) | instskip(NEXT) | instid1(VALU_DEP_4)
	v_add_nc_u32_e32 v159, v23, v63
	v_bitop3_b32 v62, v62, v162, v158 bitop3:0x80
	; wave barrier
	s_delay_alu instid0(VALU_DEP_1) | instskip(NEXT) | instid1(VALU_DEP_1)
	v_bitop3_b32 v62, v62, v165, v163 bitop3:0x80
	v_mbcnt_lo_u32_b32 v158, v62, 0
	v_cmp_ne_u32_e64 s17, 0, v62
	s_delay_alu instid0(VALU_DEP_2) | instskip(SKIP_1) | instid1(SALU_CYCLE_1)
	v_cmp_eq_u32_e32 vcc_lo, 0, v158
	s_and_b32 s18, s17, vcc_lo
	s_and_saveexec_b32 s17, s18
	s_cbranch_execz .LBB1010_456
; %bb.455:                              ;   in Loop: Header=BB1010_410 Depth=2
	s_wait_dscnt 0x0
	v_bcnt_u32_b32 v62, v62, v157
	ds_store_b32 v159, v62 offset:544
.LBB1010_456:                           ;   in Loop: Header=BB1010_410 Depth=2
	s_or_b32 exec_lo, exec_lo, s17
	v_xor_b32_e32 v155, 0xffff8000, v155
	; wave barrier
	s_delay_alu instid0(VALU_DEP_1) | instskip(NEXT) | instid1(VALU_DEP_1)
	v_and_b32_e32 v62, 0xffff, v155
	v_lshrrev_b32_e32 v62, s43, v62
	s_delay_alu instid0(VALU_DEP_1) | instskip(NEXT) | instid1(VALU_DEP_1)
	v_and_b32_e32 v165, s48, v62
	v_lshlrev_b32_e32 v162, 30, v165
	v_bitop3_b32 v63, v62, 1, s48 bitop3:0x80
	s_delay_alu instid0(VALU_DEP_1) | instskip(NEXT) | instid1(VALU_DEP_1)
	v_add_co_u32 v62, s17, v63, -1
	v_cndmask_b32_e64 v63, 0, 1, s17
	s_delay_alu instid0(VALU_DEP_4) | instskip(NEXT) | instid1(VALU_DEP_2)
	v_cmp_gt_i32_e64 s17, 0, v162
	v_cmp_ne_u32_e32 vcc_lo, 0, v63
	v_not_b32_e32 v63, v162
	v_bitop3_b32 v62, vcc_lo, exec_lo, v62 bitop3:0x48
	s_delay_alu instid0(VALU_DEP_2) | instskip(SKIP_2) | instid1(VALU_DEP_3)
	v_dual_ashrrev_i32 v63, 31, v63 :: v_dual_lshlrev_b32 v163, 29, v165
	v_dual_lshlrev_b32 v167, 28, v165 :: v_dual_lshlrev_b32 v168, 27, v165
	v_lshlrev_b32_e32 v170, 26, v165
	v_not_b32_e32 v162, v163
	v_lshlrev_b32_e32 v172, 25, v165
	v_cmp_gt_i32_e64 s18, 0, v163
	v_cmp_gt_i32_e64 s19, 0, v167
	v_not_b32_e32 v163, v167
	v_not_b32_e32 v167, v168
	v_ashrrev_i32_e32 v162, 31, v162
	v_cmp_gt_i32_e64 s20, 0, v168
	v_cmp_gt_i32_e64 s21, 0, v170
	v_not_b32_e32 v168, v170
	v_not_b32_e32 v170, v172
	v_dual_ashrrev_i32 v163, 31, v163 :: v_dual_bitop2_b32 v162, s18, v162 bitop3:0x14
	s_delay_alu instid0(VALU_DEP_3) | instskip(NEXT) | instid1(VALU_DEP_3)
	v_dual_ashrrev_i32 v167, 31, v167 :: v_dual_ashrrev_i32 v168, 31, v168
	v_dual_ashrrev_i32 v170, 31, v170 :: v_dual_bitop2_b32 v63, s17, v63 bitop3:0x14
	v_cmp_gt_i32_e64 s22, 0, v172
	s_delay_alu instid0(VALU_DEP_4) | instskip(NEXT) | instid1(VALU_DEP_4)
	v_xor_b32_e32 v163, s19, v163
	v_xor_b32_e32 v167, s20, v167
	s_delay_alu instid0(VALU_DEP_4) | instskip(SKIP_2) | instid1(VALU_DEP_3)
	v_bitop3_b32 v62, v62, v162, v63 bitop3:0x80
	v_mad_u32_u24 v63, v165, 36, v23
	v_xor_b32_e32 v170, s22, v170
	v_bitop3_b32 v62, v62, v167, v163 bitop3:0x80
	ds_load_b32 v162, v63 offset:544
	v_mul_u32_u24_e32 v63, 36, v165
	v_xor_b32_e32 v168, s21, v168
	; wave barrier
	s_delay_alu instid0(VALU_DEP_2) | instskip(NEXT) | instid1(VALU_DEP_2)
	v_add_nc_u32_e32 v165, v23, v63
	v_bitop3_b32 v62, v62, v170, v168 bitop3:0x80
	s_delay_alu instid0(VALU_DEP_1) | instskip(SKIP_1) | instid1(VALU_DEP_2)
	v_mbcnt_lo_u32_b32 v163, v62, 0
	v_cmp_ne_u32_e64 s17, 0, v62
	v_cmp_eq_u32_e32 vcc_lo, 0, v163
	s_and_b32 s18, s17, vcc_lo
	s_delay_alu instid0(SALU_CYCLE_1)
	s_and_saveexec_b32 s17, s18
	s_cbranch_execz .LBB1010_458
; %bb.457:                              ;   in Loop: Header=BB1010_410 Depth=2
	s_wait_dscnt 0x0
	v_bcnt_u32_b32 v62, v62, v162
	ds_store_b32 v165, v62 offset:544
.LBB1010_458:                           ;   in Loop: Header=BB1010_410 Depth=2
	s_or_b32 exec_lo, exec_lo, s17
	v_xor_b32_e32 v160, 0xffff8000, v160
	; wave barrier
	s_delay_alu instid0(VALU_DEP_1) | instskip(NEXT) | instid1(VALU_DEP_1)
	v_and_b32_e32 v62, 0xffff, v160
	v_lshrrev_b32_e32 v62, s43, v62
	s_delay_alu instid0(VALU_DEP_1) | instskip(SKIP_1) | instid1(VALU_DEP_2)
	v_bitop3_b32 v63, v62, 1, s48 bitop3:0x80
	v_and_b32_e32 v170, s48, v62
	v_add_co_u32 v62, s17, v63, -1
	s_delay_alu instid0(VALU_DEP_1) | instskip(NEXT) | instid1(VALU_DEP_3)
	v_cndmask_b32_e64 v63, 0, 1, s17
	v_dual_lshlrev_b32 v167, 30, v170 :: v_dual_lshlrev_b32 v168, 29, v170
	s_delay_alu instid0(VALU_DEP_2) | instskip(NEXT) | instid1(VALU_DEP_2)
	v_cmp_ne_u32_e32 vcc_lo, 0, v63
	v_cmp_gt_i32_e64 s17, 0, v167
	v_not_b32_e32 v63, v167
	s_delay_alu instid0(VALU_DEP_4) | instskip(SKIP_2) | instid1(VALU_DEP_4)
	v_not_b32_e32 v167, v168
	v_cmp_gt_i32_e64 s18, 0, v168
	v_bitop3_b32 v62, vcc_lo, exec_lo, v62 bitop3:0x48
	v_ashrrev_i32_e32 v63, 31, v63
	s_delay_alu instid0(VALU_DEP_4) | instskip(SKIP_1) | instid1(VALU_DEP_3)
	v_dual_ashrrev_i32 v167, 31, v167 :: v_dual_lshlrev_b32 v172, 28, v170
	v_dual_lshlrev_b32 v173, 27, v170 :: v_dual_lshlrev_b32 v175, 26, v170
	v_dual_lshlrev_b32 v177, 25, v170 :: v_dual_bitop2_b32 v63, s17, v63 bitop3:0x14
	s_delay_alu instid0(VALU_DEP_3) | instskip(SKIP_1) | instid1(VALU_DEP_4)
	v_cmp_gt_i32_e64 s19, 0, v172
	v_not_b32_e32 v168, v172
	v_not_b32_e32 v172, v173
	v_xor_b32_e32 v167, s18, v167
	v_cmp_gt_i32_e64 s20, 0, v173
	v_cmp_gt_i32_e64 s21, 0, v175
	v_ashrrev_i32_e32 v168, 31, v168
	v_ashrrev_i32_e32 v172, 31, v172
	v_not_b32_e32 v173, v175
	v_not_b32_e32 v175, v177
	v_bitop3_b32 v62, v62, v167, v63 bitop3:0x80
	v_mad_u32_u24 v63, v170, 36, v23
	v_cmp_gt_i32_e64 s22, 0, v177
	s_delay_alu instid0(VALU_DEP_4)
	v_dual_ashrrev_i32 v173, 31, v173 :: v_dual_ashrrev_i32 v175, 31, v175
	v_xor_b32_e32 v172, s20, v172
	ds_load_b32 v167, v63 offset:544
	v_mul_u32_u24_e32 v63, 36, v170
	v_xor_b32_e32 v168, s19, v168
	v_xor_b32_e32 v173, s21, v173
	v_xor_b32_e32 v175, s22, v175
	s_delay_alu instid0(VALU_DEP_4) | instskip(NEXT) | instid1(VALU_DEP_4)
	v_add_nc_u32_e32 v170, v23, v63
	v_bitop3_b32 v62, v62, v172, v168 bitop3:0x80
	; wave barrier
	s_delay_alu instid0(VALU_DEP_1) | instskip(NEXT) | instid1(VALU_DEP_1)
	v_bitop3_b32 v62, v62, v175, v173 bitop3:0x80
	v_mbcnt_lo_u32_b32 v168, v62, 0
	v_cmp_ne_u32_e64 s17, 0, v62
	s_delay_alu instid0(VALU_DEP_2) | instskip(SKIP_1) | instid1(SALU_CYCLE_1)
	v_cmp_eq_u32_e32 vcc_lo, 0, v168
	s_and_b32 s18, s17, vcc_lo
	s_and_saveexec_b32 s17, s18
	s_cbranch_execz .LBB1010_460
; %bb.459:                              ;   in Loop: Header=BB1010_410 Depth=2
	s_wait_dscnt 0x0
	v_bcnt_u32_b32 v62, v62, v167
	ds_store_b32 v170, v62 offset:544
.LBB1010_460:                           ;   in Loop: Header=BB1010_410 Depth=2
	s_or_b32 exec_lo, exec_lo, s17
	v_xor_b32_e32 v166, 0xffff8000, v166
	; wave barrier
	s_delay_alu instid0(VALU_DEP_1) | instskip(NEXT) | instid1(VALU_DEP_1)
	v_and_b32_e32 v62, 0xffff, v166
	v_lshrrev_b32_e32 v62, s43, v62
	s_delay_alu instid0(VALU_DEP_1) | instskip(NEXT) | instid1(VALU_DEP_1)
	v_and_b32_e32 v175, s48, v62
	v_lshlrev_b32_e32 v172, 30, v175
	v_bitop3_b32 v63, v62, 1, s48 bitop3:0x80
	s_delay_alu instid0(VALU_DEP_1) | instskip(NEXT) | instid1(VALU_DEP_1)
	v_add_co_u32 v62, s17, v63, -1
	v_cndmask_b32_e64 v63, 0, 1, s17
	s_delay_alu instid0(VALU_DEP_4) | instskip(NEXT) | instid1(VALU_DEP_2)
	v_cmp_gt_i32_e64 s17, 0, v172
	v_cmp_ne_u32_e32 vcc_lo, 0, v63
	v_not_b32_e32 v63, v172
	v_bitop3_b32 v62, vcc_lo, exec_lo, v62 bitop3:0x48
	s_delay_alu instid0(VALU_DEP_2) | instskip(SKIP_2) | instid1(VALU_DEP_3)
	v_ashrrev_i32_e32 v63, 31, v63
	v_dual_lshlrev_b32 v173, 29, v175 :: v_dual_lshlrev_b32 v177, 28, v175
	v_dual_lshlrev_b32 v178, 27, v175 :: v_dual_lshlrev_b32 v179, 26, v175
	v_xor_b32_e32 v63, s17, v63
	s_delay_alu instid0(VALU_DEP_3)
	v_not_b32_e32 v172, v173
	v_lshlrev_b32_e32 v180, 25, v175
	v_cmp_gt_i32_e64 s18, 0, v173
	v_cmp_gt_i32_e64 s19, 0, v177
	v_not_b32_e32 v173, v177
	v_not_b32_e32 v177, v178
	v_ashrrev_i32_e32 v172, 31, v172
	v_cmp_gt_i32_e64 s20, 0, v178
	v_cmp_gt_i32_e64 s21, 0, v179
	v_ashrrev_i32_e32 v173, 31, v173
	s_delay_alu instid0(VALU_DEP_4) | instskip(SKIP_3) | instid1(VALU_DEP_4)
	v_dual_ashrrev_i32 v177, 31, v177 :: v_dual_bitop2_b32 v172, s18, v172 bitop3:0x14
	v_not_b32_e32 v178, v179
	v_not_b32_e32 v179, v180
	v_cmp_gt_i32_e64 s22, 0, v180
	v_xor_b32_e32 v177, s20, v177
	v_bitop3_b32 v62, v62, v172, v63 bitop3:0x80
	v_mad_u32_u24 v63, v175, 36, v23
	v_dual_ashrrev_i32 v178, 31, v178 :: v_dual_ashrrev_i32 v179, 31, v179
	ds_load_b32 v172, v63 offset:544
	v_mul_u32_u24_e32 v63, 36, v175
	v_xor_b32_e32 v173, s19, v173
	v_xor_b32_e32 v178, s21, v178
	;; [unrolled: 1-line block ×3, first 2 shown]
	s_delay_alu instid0(VALU_DEP_4) | instskip(NEXT) | instid1(VALU_DEP_4)
	v_add_nc_u32_e32 v175, v23, v63
	v_bitop3_b32 v62, v62, v177, v173 bitop3:0x80
	; wave barrier
	s_delay_alu instid0(VALU_DEP_1) | instskip(NEXT) | instid1(VALU_DEP_1)
	v_bitop3_b32 v62, v62, v179, v178 bitop3:0x80
	v_mbcnt_lo_u32_b32 v173, v62, 0
	v_cmp_ne_u32_e64 s17, 0, v62
	s_delay_alu instid0(VALU_DEP_2) | instskip(SKIP_1) | instid1(SALU_CYCLE_1)
	v_cmp_eq_u32_e32 vcc_lo, 0, v173
	s_and_b32 s18, s17, vcc_lo
	s_and_saveexec_b32 s17, s18
	s_cbranch_execz .LBB1010_462
; %bb.461:                              ;   in Loop: Header=BB1010_410 Depth=2
	s_wait_dscnt 0x0
	v_bcnt_u32_b32 v62, v62, v172
	ds_store_b32 v175, v62 offset:544
.LBB1010_462:                           ;   in Loop: Header=BB1010_410 Depth=2
	s_or_b32 exec_lo, exec_lo, s17
	v_xor_b32_e32 v171, 0xffff8000, v171
	; wave barrier
	s_delay_alu instid0(VALU_DEP_1) | instskip(NEXT) | instid1(VALU_DEP_1)
	v_and_b32_e32 v62, 0xffff, v171
	v_lshrrev_b32_e32 v62, s43, v62
	s_delay_alu instid0(VALU_DEP_1) | instskip(NEXT) | instid1(VALU_DEP_1)
	v_and_b32_e32 v179, s48, v62
	v_lshlrev_b32_e32 v177, 30, v179
	v_bitop3_b32 v63, v62, 1, s48 bitop3:0x80
	s_delay_alu instid0(VALU_DEP_1) | instskip(NEXT) | instid1(VALU_DEP_1)
	v_add_co_u32 v62, s17, v63, -1
	v_cndmask_b32_e64 v63, 0, 1, s17
	s_delay_alu instid0(VALU_DEP_4) | instskip(NEXT) | instid1(VALU_DEP_2)
	v_cmp_gt_i32_e64 s17, 0, v177
	v_cmp_ne_u32_e32 vcc_lo, 0, v63
	v_not_b32_e32 v63, v177
	v_bitop3_b32 v62, vcc_lo, exec_lo, v62 bitop3:0x48
	s_delay_alu instid0(VALU_DEP_2) | instskip(SKIP_2) | instid1(VALU_DEP_2)
	v_ashrrev_i32_e32 v63, 31, v63
	v_dual_lshlrev_b32 v178, 29, v179 :: v_dual_lshlrev_b32 v180, 28, v179
	v_dual_lshlrev_b32 v181, 27, v179 :: v_dual_lshlrev_b32 v182, 26, v179
	v_not_b32_e32 v177, v178
	v_lshlrev_b32_e32 v183, 25, v179
	v_cmp_gt_i32_e64 s18, 0, v178
	v_cmp_gt_i32_e64 s19, 0, v180
	v_not_b32_e32 v178, v180
	v_ashrrev_i32_e32 v177, 31, v177
	v_cmp_gt_i32_e64 s20, 0, v181
	v_not_b32_e32 v180, v181
	v_cmp_gt_i32_e64 s21, 0, v182
	v_not_b32_e32 v181, v182
	v_not_b32_e32 v182, v183
	v_xor_b32_e32 v63, s17, v63
	v_dual_ashrrev_i32 v178, 31, v178 :: v_dual_bitop2_b32 v177, s18, v177 bitop3:0x14
	s_delay_alu instid0(VALU_DEP_4) | instskip(NEXT) | instid1(VALU_DEP_4)
	v_dual_ashrrev_i32 v180, 31, v180 :: v_dual_ashrrev_i32 v181, 31, v181
	v_ashrrev_i32_e32 v182, 31, v182
	s_delay_alu instid0(VALU_DEP_3)
	v_bitop3_b32 v62, v62, v177, v63 bitop3:0x80
	v_mad_u32_u24 v63, v179, 36, v23
	v_cmp_gt_i32_e64 s22, 0, v183
	v_xor_b32_e32 v180, s20, v180
	v_xor_b32_e32 v181, s21, v181
	ds_load_b32 v177, v63 offset:544
	v_mul_u32_u24_e32 v63, 36, v179
	v_xor_b32_e32 v178, s19, v178
	v_xor_b32_e32 v182, s22, v182
	; wave barrier
	s_delay_alu instid0(VALU_DEP_3) | instskip(NEXT) | instid1(VALU_DEP_3)
	v_add_nc_u32_e32 v179, v23, v63
	v_bitop3_b32 v62, v62, v180, v178 bitop3:0x80
	s_delay_alu instid0(VALU_DEP_1) | instskip(NEXT) | instid1(VALU_DEP_1)
	v_bitop3_b32 v62, v62, v182, v181 bitop3:0x80
	v_mbcnt_lo_u32_b32 v178, v62, 0
	v_cmp_ne_u32_e64 s17, 0, v62
	s_delay_alu instid0(VALU_DEP_2) | instskip(SKIP_1) | instid1(SALU_CYCLE_1)
	v_cmp_eq_u32_e32 vcc_lo, 0, v178
	s_and_b32 s18, s17, vcc_lo
	s_and_saveexec_b32 s17, s18
	s_cbranch_execz .LBB1010_464
; %bb.463:                              ;   in Loop: Header=BB1010_410 Depth=2
	s_wait_dscnt 0x0
	v_bcnt_u32_b32 v62, v62, v177
	ds_store_b32 v179, v62 offset:544
.LBB1010_464:                           ;   in Loop: Header=BB1010_410 Depth=2
	s_or_b32 exec_lo, exec_lo, s17
	v_xor_b32_e32 v176, 0xffff8000, v176
	; wave barrier
	s_delay_alu instid0(VALU_DEP_1) | instskip(NEXT) | instid1(VALU_DEP_1)
	v_and_b32_e32 v62, 0xffff, v176
	v_lshrrev_b32_e32 v62, s43, v62
	s_delay_alu instid0(VALU_DEP_1) | instskip(SKIP_1) | instid1(VALU_DEP_2)
	v_bitop3_b32 v63, v62, 1, s48 bitop3:0x80
	v_and_b32_e32 v182, s48, v62
	v_add_co_u32 v62, s17, v63, -1
	s_delay_alu instid0(VALU_DEP_1) | instskip(NEXT) | instid1(VALU_DEP_3)
	v_cndmask_b32_e64 v63, 0, 1, s17
	v_dual_lshlrev_b32 v180, 30, v182 :: v_dual_lshlrev_b32 v181, 29, v182
	s_delay_alu instid0(VALU_DEP_2) | instskip(NEXT) | instid1(VALU_DEP_2)
	v_cmp_ne_u32_e32 vcc_lo, 0, v63
	v_cmp_gt_i32_e64 s17, 0, v180
	v_not_b32_e32 v63, v180
	s_delay_alu instid0(VALU_DEP_4) | instskip(SKIP_2) | instid1(VALU_DEP_3)
	v_not_b32_e32 v180, v181
	v_cmp_gt_i32_e64 s18, 0, v181
	v_bitop3_b32 v62, vcc_lo, exec_lo, v62 bitop3:0x48
	v_dual_ashrrev_i32 v63, 31, v63 :: v_dual_ashrrev_i32 v180, 31, v180
	v_dual_lshlrev_b32 v183, 28, v182 :: v_dual_lshlrev_b32 v184, 27, v182
	v_dual_lshlrev_b32 v185, 26, v182 :: v_dual_lshlrev_b32 v186, 25, v182
	s_delay_alu instid0(VALU_DEP_2) | instskip(SKIP_1) | instid1(VALU_DEP_4)
	v_cmp_gt_i32_e64 s19, 0, v183
	v_not_b32_e32 v181, v183
	v_cmp_gt_i32_e64 s20, 0, v184
	v_not_b32_e32 v183, v184
	v_cmp_gt_i32_e64 s21, 0, v185
	v_not_b32_e32 v184, v185
	v_not_b32_e32 v185, v186
	v_xor_b32_e32 v63, s17, v63
	v_dual_ashrrev_i32 v181, 31, v181 :: v_dual_bitop2_b32 v180, s18, v180 bitop3:0x14
	s_delay_alu instid0(VALU_DEP_4) | instskip(NEXT) | instid1(VALU_DEP_4)
	v_dual_ashrrev_i32 v183, 31, v183 :: v_dual_ashrrev_i32 v184, 31, v184
	v_ashrrev_i32_e32 v185, 31, v185
	s_delay_alu instid0(VALU_DEP_3)
	v_bitop3_b32 v62, v62, v180, v63 bitop3:0x80
	v_mad_u32_u24 v63, v182, 36, v23
	v_cmp_gt_i32_e64 s22, 0, v186
	v_xor_b32_e32 v183, s20, v183
	v_xor_b32_e32 v184, s21, v184
	ds_load_b32 v180, v63 offset:544
	v_mul_u32_u24_e32 v63, 36, v182
	v_xor_b32_e32 v181, s19, v181
	v_xor_b32_e32 v185, s22, v185
	; wave barrier
	s_delay_alu instid0(VALU_DEP_3) | instskip(NEXT) | instid1(VALU_DEP_3)
	v_add_nc_u32_e32 v182, v23, v63
	v_bitop3_b32 v62, v62, v183, v181 bitop3:0x80
	s_delay_alu instid0(VALU_DEP_1) | instskip(NEXT) | instid1(VALU_DEP_1)
	v_bitop3_b32 v62, v62, v185, v184 bitop3:0x80
	v_mbcnt_lo_u32_b32 v181, v62, 0
	v_cmp_ne_u32_e64 s17, 0, v62
	s_delay_alu instid0(VALU_DEP_2) | instskip(SKIP_1) | instid1(SALU_CYCLE_1)
	v_cmp_eq_u32_e32 vcc_lo, 0, v181
	s_and_b32 s18, s17, vcc_lo
	s_and_saveexec_b32 s17, s18
	s_cbranch_execz .LBB1010_466
; %bb.465:                              ;   in Loop: Header=BB1010_410 Depth=2
	s_wait_dscnt 0x0
	v_bcnt_u32_b32 v62, v62, v180
	ds_store_b32 v182, v62 offset:544
.LBB1010_466:                           ;   in Loop: Header=BB1010_410 Depth=2
	s_or_b32 exec_lo, exec_lo, s17
	v_xor_b32_e32 v174, 0xffff8000, v174
	; wave barrier
	s_delay_alu instid0(VALU_DEP_1) | instskip(NEXT) | instid1(VALU_DEP_1)
	v_and_b32_e32 v62, 0xffff, v174
	v_lshrrev_b32_e32 v62, s43, v62
	s_delay_alu instid0(VALU_DEP_1) | instskip(NEXT) | instid1(VALU_DEP_1)
	v_and_b32_e32 v185, s48, v62
	v_lshlrev_b32_e32 v183, 30, v185
	v_bitop3_b32 v63, v62, 1, s48 bitop3:0x80
	s_delay_alu instid0(VALU_DEP_1) | instskip(NEXT) | instid1(VALU_DEP_1)
	v_add_co_u32 v62, s17, v63, -1
	v_cndmask_b32_e64 v63, 0, 1, s17
	s_delay_alu instid0(VALU_DEP_4) | instskip(NEXT) | instid1(VALU_DEP_2)
	v_cmp_gt_i32_e64 s17, 0, v183
	v_cmp_ne_u32_e32 vcc_lo, 0, v63
	v_not_b32_e32 v63, v183
	v_bitop3_b32 v62, vcc_lo, exec_lo, v62 bitop3:0x48
	s_delay_alu instid0(VALU_DEP_2) | instskip(SKIP_2) | instid1(VALU_DEP_3)
	v_dual_ashrrev_i32 v63, 31, v63 :: v_dual_lshlrev_b32 v184, 29, v185
	v_dual_lshlrev_b32 v186, 28, v185 :: v_dual_lshlrev_b32 v187, 27, v185
	v_lshlrev_b32_e32 v188, 26, v185
	v_not_b32_e32 v183, v184
	v_lshlrev_b32_e32 v189, 25, v185
	v_cmp_gt_i32_e64 s18, 0, v184
	v_cmp_gt_i32_e64 s19, 0, v186
	v_not_b32_e32 v184, v186
	v_ashrrev_i32_e32 v183, 31, v183
	v_cmp_gt_i32_e64 s20, 0, v187
	v_not_b32_e32 v186, v187
	v_cmp_gt_i32_e64 s21, 0, v188
	v_not_b32_e32 v187, v188
	v_not_b32_e32 v188, v189
	v_xor_b32_e32 v63, s17, v63
	v_dual_ashrrev_i32 v184, 31, v184 :: v_dual_bitop2_b32 v183, s18, v183 bitop3:0x14
	s_delay_alu instid0(VALU_DEP_3) | instskip(SKIP_1) | instid1(VALU_DEP_3)
	v_dual_ashrrev_i32 v186, 31, v186 :: v_dual_ashrrev_i32 v188, 31, v188
	v_cmp_gt_i32_e64 s22, 0, v189
	v_bitop3_b32 v62, v62, v183, v63 bitop3:0x80
	v_mad_u32_u24 v63, v185, 36, v23
	v_dual_ashrrev_i32 v187, 31, v187 :: v_dual_bitop2_b32 v184, s19, v184 bitop3:0x14
	s_delay_alu instid0(VALU_DEP_4) | instskip(SKIP_4) | instid1(VALU_DEP_3)
	v_xor_b32_e32 v188, s22, v188
	ds_load_b32 v183, v63 offset:544
	v_mul_u32_u24_e32 v63, 36, v185
	v_xor_b32_e32 v186, s20, v186
	v_xor_b32_e32 v187, s21, v187
	; wave barrier
	v_add_nc_u32_e32 v185, v23, v63
	s_delay_alu instid0(VALU_DEP_3) | instskip(NEXT) | instid1(VALU_DEP_1)
	v_bitop3_b32 v62, v62, v186, v184 bitop3:0x80
	v_bitop3_b32 v62, v62, v188, v187 bitop3:0x80
	s_delay_alu instid0(VALU_DEP_1) | instskip(SKIP_1) | instid1(VALU_DEP_2)
	v_mbcnt_lo_u32_b32 v184, v62, 0
	v_cmp_ne_u32_e64 s17, 0, v62
	v_cmp_eq_u32_e32 vcc_lo, 0, v184
	s_and_b32 s18, s17, vcc_lo
	s_delay_alu instid0(SALU_CYCLE_1)
	s_and_saveexec_b32 s17, s18
	s_cbranch_execz .LBB1010_468
; %bb.467:                              ;   in Loop: Header=BB1010_410 Depth=2
	s_wait_dscnt 0x0
	v_bcnt_u32_b32 v62, v62, v183
	ds_store_b32 v185, v62 offset:544
.LBB1010_468:                           ;   in Loop: Header=BB1010_410 Depth=2
	s_or_b32 exec_lo, exec_lo, s17
	v_xor_b32_e32 v169, 0xffff8000, v169
	; wave barrier
	s_delay_alu instid0(VALU_DEP_1) | instskip(NEXT) | instid1(VALU_DEP_1)
	v_and_b32_e32 v62, 0xffff, v169
	v_lshrrev_b32_e32 v62, s43, v62
	s_delay_alu instid0(VALU_DEP_1) | instskip(SKIP_1) | instid1(VALU_DEP_2)
	v_bitop3_b32 v63, v62, 1, s48 bitop3:0x80
	v_and_b32_e32 v186, s48, v62
	v_add_co_u32 v62, s17, v63, -1
	s_delay_alu instid0(VALU_DEP_1) | instskip(NEXT) | instid1(VALU_DEP_3)
	v_cndmask_b32_e64 v63, 0, 1, s17
	v_dual_lshlrev_b32 v187, 30, v186 :: v_dual_lshlrev_b32 v188, 29, v186
	s_delay_alu instid0(VALU_DEP_2) | instskip(NEXT) | instid1(VALU_DEP_2)
	v_cmp_ne_u32_e32 vcc_lo, 0, v63
	v_cmp_gt_i32_e64 s17, 0, v187
	v_not_b32_e32 v63, v187
	s_delay_alu instid0(VALU_DEP_4) | instskip(SKIP_2) | instid1(VALU_DEP_4)
	v_not_b32_e32 v187, v188
	v_cmp_gt_i32_e64 s18, 0, v188
	v_bitop3_b32 v62, vcc_lo, exec_lo, v62 bitop3:0x48
	v_ashrrev_i32_e32 v63, 31, v63
	s_delay_alu instid0(VALU_DEP_4) | instskip(SKIP_1) | instid1(VALU_DEP_2)
	v_dual_ashrrev_i32 v187, 31, v187 :: v_dual_lshlrev_b32 v189, 28, v186
	v_dual_lshlrev_b32 v190, 27, v186 :: v_dual_lshlrev_b32 v191, 26, v186
	v_dual_lshlrev_b32 v192, 25, v186 :: v_dual_bitop2_b32 v187, s18, v187 bitop3:0x14
	s_delay_alu instid0(VALU_DEP_3) | instskip(SKIP_1) | instid1(VALU_DEP_4)
	v_cmp_gt_i32_e64 s19, 0, v189
	v_not_b32_e32 v188, v189
	v_cmp_gt_i32_e64 s20, 0, v190
	v_not_b32_e32 v189, v190
	v_not_b32_e32 v190, v191
	v_xor_b32_e32 v63, s17, v63
	v_cmp_gt_i32_e64 s21, 0, v191
	v_not_b32_e32 v191, v192
	v_dual_ashrrev_i32 v188, 31, v188 :: v_dual_ashrrev_i32 v189, 31, v189
	v_ashrrev_i32_e32 v190, 31, v190
	v_bitop3_b32 v62, v62, v187, v63 bitop3:0x80
	v_mad_u32_u24 v63, v186, 36, v23
	v_cmp_gt_i32_e64 s22, 0, v192
	v_dual_ashrrev_i32 v191, 31, v191 :: v_dual_bitop2_b32 v188, s19, v188 bitop3:0x14
	v_xor_b32_e32 v190, s21, v190
	ds_load_b32 v187, v63 offset:544
	v_mul_u32_u24_e32 v63, 36, v186
	v_xor_b32_e32 v189, s20, v189
	v_xor_b32_e32 v191, s22, v191
	; wave barrier
	s_delay_alu instid0(VALU_DEP_2) | instskip(NEXT) | instid1(VALU_DEP_1)
	v_bitop3_b32 v62, v62, v189, v188 bitop3:0x80
	v_bitop3_b32 v62, v62, v191, v190 bitop3:0x80
	v_add_nc_u32_e32 v190, v23, v63
	s_delay_alu instid0(VALU_DEP_2) | instskip(SKIP_1) | instid1(VALU_DEP_2)
	v_mbcnt_lo_u32_b32 v188, v62, 0
	v_cmp_ne_u32_e64 s17, 0, v62
	v_cmp_eq_u32_e32 vcc_lo, 0, v188
	s_and_b32 s18, s17, vcc_lo
	s_delay_alu instid0(SALU_CYCLE_1)
	s_and_saveexec_b32 s17, s18
	s_cbranch_execz .LBB1010_470
; %bb.469:                              ;   in Loop: Header=BB1010_410 Depth=2
	s_wait_dscnt 0x0
	v_bcnt_u32_b32 v62, v62, v187
	ds_store_b32 v190, v62 offset:544
.LBB1010_470:                           ;   in Loop: Header=BB1010_410 Depth=2
	s_or_b32 exec_lo, exec_lo, s17
	v_xor_b32_e32 v186, 0xffff8000, v164
	; wave barrier
	s_delay_alu instid0(VALU_DEP_1) | instskip(NEXT) | instid1(VALU_DEP_1)
	v_and_b32_e32 v62, 0xffff, v186
	v_lshrrev_b32_e32 v62, s43, v62
	s_delay_alu instid0(VALU_DEP_1) | instskip(NEXT) | instid1(VALU_DEP_1)
	v_and_b32_e32 v164, s48, v62
	v_lshlrev_b32_e32 v189, 30, v164
	v_bitop3_b32 v63, v62, 1, s48 bitop3:0x80
	s_delay_alu instid0(VALU_DEP_1) | instskip(NEXT) | instid1(VALU_DEP_1)
	v_add_co_u32 v62, s17, v63, -1
	v_cndmask_b32_e64 v63, 0, 1, s17
	s_delay_alu instid0(VALU_DEP_4) | instskip(NEXT) | instid1(VALU_DEP_2)
	v_cmp_gt_i32_e64 s17, 0, v189
	v_cmp_ne_u32_e32 vcc_lo, 0, v63
	v_not_b32_e32 v63, v189
	v_bitop3_b32 v62, vcc_lo, exec_lo, v62 bitop3:0x48
	s_delay_alu instid0(VALU_DEP_2) | instskip(SKIP_2) | instid1(VALU_DEP_3)
	v_dual_ashrrev_i32 v63, 31, v63 :: v_dual_lshlrev_b32 v191, 29, v164
	v_dual_lshlrev_b32 v192, 28, v164 :: v_dual_lshlrev_b32 v193, 27, v164
	v_lshlrev_b32_e32 v194, 26, v164
	v_not_b32_e32 v189, v191
	v_lshlrev_b32_e32 v195, 25, v164
	v_cmp_gt_i32_e64 s18, 0, v191
	v_cmp_gt_i32_e64 s19, 0, v192
	v_not_b32_e32 v191, v192
	v_not_b32_e32 v192, v193
	v_ashrrev_i32_e32 v189, 31, v189
	v_cmp_gt_i32_e64 s20, 0, v193
	v_cmp_gt_i32_e64 s21, 0, v194
	v_not_b32_e32 v193, v194
	v_not_b32_e32 v194, v195
	v_dual_ashrrev_i32 v191, 31, v191 :: v_dual_ashrrev_i32 v192, 31, v192
	s_delay_alu instid0(VALU_DEP_3) | instskip(NEXT) | instid1(VALU_DEP_3)
	v_dual_ashrrev_i32 v193, 31, v193 :: v_dual_bitop2_b32 v63, s17, v63 bitop3:0x14
	v_dual_ashrrev_i32 v194, 31, v194 :: v_dual_bitop2_b32 v189, s18, v189 bitop3:0x14
	v_cmp_gt_i32_e64 s22, 0, v195
	s_delay_alu instid0(VALU_DEP_4) | instskip(SKIP_1) | instid1(VALU_DEP_4)
	v_xor_b32_e32 v191, s19, v191
	v_xor_b32_e32 v192, s20, v192
	v_bitop3_b32 v62, v62, v189, v63 bitop3:0x80
	v_mad_u32_u24 v63, v164, 36, v23
	v_xor_b32_e32 v189, s21, v193
	v_xor_b32_e32 v193, s22, v194
	s_delay_alu instid0(VALU_DEP_4) | instskip(SKIP_3) | instid1(VALU_DEP_2)
	v_bitop3_b32 v62, v62, v192, v191 bitop3:0x80
	ds_load_b32 v191, v63 offset:544
	v_mul_u32_u24_e32 v63, 36, v164
	; wave barrier
	v_bitop3_b32 v62, v62, v193, v189 bitop3:0x80
	v_add_nc_u32_e32 v164, v23, v63
	s_delay_alu instid0(VALU_DEP_2) | instskip(SKIP_1) | instid1(VALU_DEP_2)
	v_mbcnt_lo_u32_b32 v192, v62, 0
	v_cmp_ne_u32_e64 s17, 0, v62
	v_cmp_eq_u32_e32 vcc_lo, 0, v192
	s_and_b32 s18, s17, vcc_lo
	s_delay_alu instid0(SALU_CYCLE_1)
	s_and_saveexec_b32 s17, s18
	s_cbranch_execz .LBB1010_472
; %bb.471:                              ;   in Loop: Header=BB1010_410 Depth=2
	s_wait_dscnt 0x0
	v_bcnt_u32_b32 v62, v62, v191
	ds_store_b32 v164, v62 offset:544
.LBB1010_472:                           ;   in Loop: Header=BB1010_410 Depth=2
	s_or_b32 exec_lo, exec_lo, s17
	v_xor_b32_e32 v189, 0xffff8000, v161
	; wave barrier
	s_delay_alu instid0(VALU_DEP_1) | instskip(NEXT) | instid1(VALU_DEP_1)
	v_and_b32_e32 v62, 0xffff, v189
	v_lshrrev_b32_e32 v62, s43, v62
	s_delay_alu instid0(VALU_DEP_1) | instskip(NEXT) | instid1(VALU_DEP_1)
	v_and_b32_e32 v161, s48, v62
	v_lshlrev_b32_e32 v193, 30, v161
	v_bitop3_b32 v63, v62, 1, s48 bitop3:0x80
	s_delay_alu instid0(VALU_DEP_1) | instskip(NEXT) | instid1(VALU_DEP_1)
	v_add_co_u32 v62, s17, v63, -1
	v_cndmask_b32_e64 v63, 0, 1, s17
	s_delay_alu instid0(VALU_DEP_4) | instskip(NEXT) | instid1(VALU_DEP_2)
	v_cmp_gt_i32_e64 s17, 0, v193
	v_cmp_ne_u32_e32 vcc_lo, 0, v63
	v_not_b32_e32 v63, v193
	v_bitop3_b32 v62, vcc_lo, exec_lo, v62 bitop3:0x48
	s_delay_alu instid0(VALU_DEP_2) | instskip(SKIP_2) | instid1(VALU_DEP_3)
	v_dual_ashrrev_i32 v63, 31, v63 :: v_dual_lshlrev_b32 v194, 29, v161
	v_dual_lshlrev_b32 v195, 28, v161 :: v_dual_lshlrev_b32 v196, 27, v161
	v_lshlrev_b32_e32 v197, 26, v161
	v_not_b32_e32 v193, v194
	v_cmp_gt_i32_e64 s18, 0, v194
	s_delay_alu instid0(VALU_DEP_4)
	v_cmp_gt_i32_e64 s19, 0, v195
	v_not_b32_e32 v194, v195
	v_lshlrev_b32_e32 v198, 25, v161
	v_not_b32_e32 v195, v196
	v_ashrrev_i32_e32 v193, 31, v193
	v_cmp_gt_i32_e64 s20, 0, v196
	v_cmp_gt_i32_e64 s21, 0, v197
	v_not_b32_e32 v196, v197
	v_ashrrev_i32_e32 v194, 31, v194
	v_not_b32_e32 v197, v198
	v_ashrrev_i32_e32 v195, 31, v195
	s_delay_alu instid0(VALU_DEP_4) | instskip(SKIP_4) | instid1(VALU_DEP_4)
	v_dual_ashrrev_i32 v196, 31, v196 :: v_dual_bitop2_b32 v63, s17, v63 bitop3:0x14
	v_xor_b32_e32 v193, s18, v193
	v_cmp_gt_i32_e64 s22, 0, v198
	v_dual_ashrrev_i32 v197, 31, v197 :: v_dual_bitop2_b32 v194, s19, v194 bitop3:0x14
	v_xor_b32_e32 v195, s20, v195
	v_bitop3_b32 v62, v62, v193, v63 bitop3:0x80
	v_mad_u32_u24 v63, v161, 36, v23
	v_xor_b32_e32 v193, s21, v196
	v_xor_b32_e32 v196, s22, v197
	s_delay_alu instid0(VALU_DEP_4) | instskip(SKIP_3) | instid1(VALU_DEP_2)
	v_bitop3_b32 v62, v62, v195, v194 bitop3:0x80
	ds_load_b32 v194, v63 offset:544
	v_mul_u32_u24_e32 v63, 36, v161
	; wave barrier
	v_bitop3_b32 v62, v62, v196, v193 bitop3:0x80
	v_add_nc_u32_e32 v161, v23, v63
	s_delay_alu instid0(VALU_DEP_2) | instskip(SKIP_1) | instid1(VALU_DEP_2)
	v_mbcnt_lo_u32_b32 v195, v62, 0
	v_cmp_ne_u32_e64 s17, 0, v62
	v_cmp_eq_u32_e32 vcc_lo, 0, v195
	s_and_b32 s18, s17, vcc_lo
	s_delay_alu instid0(SALU_CYCLE_1)
	s_and_saveexec_b32 s17, s18
	s_cbranch_execz .LBB1010_474
; %bb.473:                              ;   in Loop: Header=BB1010_410 Depth=2
	s_wait_dscnt 0x0
	v_bcnt_u32_b32 v62, v62, v194
	ds_store_b32 v161, v62 offset:544
.LBB1010_474:                           ;   in Loop: Header=BB1010_410 Depth=2
	s_or_b32 exec_lo, exec_lo, s17
	v_xor_b32_e32 v193, 0xffff8000, v156
	; wave barrier
	s_delay_alu instid0(VALU_DEP_1) | instskip(NEXT) | instid1(VALU_DEP_1)
	v_and_b32_e32 v62, 0xffff, v193
	v_lshrrev_b32_e32 v62, s43, v62
	s_delay_alu instid0(VALU_DEP_1) | instskip(NEXT) | instid1(VALU_DEP_1)
	v_and_b32_e32 v156, s48, v62
	v_lshlrev_b32_e32 v196, 30, v156
	v_bitop3_b32 v63, v62, 1, s48 bitop3:0x80
	s_delay_alu instid0(VALU_DEP_1) | instskip(NEXT) | instid1(VALU_DEP_1)
	v_add_co_u32 v62, s17, v63, -1
	v_cndmask_b32_e64 v63, 0, 1, s17
	s_delay_alu instid0(VALU_DEP_4) | instskip(NEXT) | instid1(VALU_DEP_2)
	v_cmp_gt_i32_e64 s17, 0, v196
	v_cmp_ne_u32_e32 vcc_lo, 0, v63
	v_not_b32_e32 v63, v196
	v_bitop3_b32 v62, vcc_lo, exec_lo, v62 bitop3:0x48
	s_delay_alu instid0(VALU_DEP_2) | instskip(SKIP_2) | instid1(VALU_DEP_3)
	v_dual_ashrrev_i32 v63, 31, v63 :: v_dual_lshlrev_b32 v197, 29, v156
	v_dual_lshlrev_b32 v198, 28, v156 :: v_dual_lshlrev_b32 v199, 27, v156
	v_lshlrev_b32_e32 v200, 26, v156
	v_not_b32_e32 v196, v197
	v_cmp_gt_i32_e64 s18, 0, v197
	s_delay_alu instid0(VALU_DEP_4)
	v_cmp_gt_i32_e64 s19, 0, v198
	v_not_b32_e32 v197, v198
	v_lshlrev_b32_e32 v201, 25, v156
	v_not_b32_e32 v198, v199
	v_ashrrev_i32_e32 v196, 31, v196
	v_cmp_gt_i32_e64 s20, 0, v199
	v_cmp_gt_i32_e64 s21, 0, v200
	v_not_b32_e32 v199, v200
	v_ashrrev_i32_e32 v197, 31, v197
	v_not_b32_e32 v200, v201
	v_dual_ashrrev_i32 v198, 31, v198 :: v_dual_bitop2_b32 v63, s17, v63 bitop3:0x14
	s_delay_alu instid0(VALU_DEP_4) | instskip(SKIP_1) | instid1(VALU_DEP_4)
	v_dual_ashrrev_i32 v199, 31, v199 :: v_dual_bitop2_b32 v196, s18, v196 bitop3:0x14
	v_cmp_gt_i32_e64 s22, 0, v201
	v_dual_ashrrev_i32 v200, 31, v200 :: v_dual_bitop2_b32 v197, s19, v197 bitop3:0x14
	s_delay_alu instid0(VALU_DEP_4) | instskip(NEXT) | instid1(VALU_DEP_4)
	v_xor_b32_e32 v198, s20, v198
	v_bitop3_b32 v62, v62, v196, v63 bitop3:0x80
	v_mad_u32_u24 v63, v156, 36, v23
	v_xor_b32_e32 v196, s21, v199
	v_xor_b32_e32 v199, s22, v200
	s_delay_alu instid0(VALU_DEP_4) | instskip(SKIP_3) | instid1(VALU_DEP_2)
	v_bitop3_b32 v62, v62, v198, v197 bitop3:0x80
	ds_load_b32 v197, v63 offset:544
	v_mul_u32_u24_e32 v63, 36, v156
	; wave barrier
	v_bitop3_b32 v62, v62, v199, v196 bitop3:0x80
	v_add_nc_u32_e32 v156, v23, v63
	s_delay_alu instid0(VALU_DEP_2) | instskip(SKIP_1) | instid1(VALU_DEP_2)
	v_mbcnt_lo_u32_b32 v198, v62, 0
	v_cmp_ne_u32_e64 s17, 0, v62
	v_cmp_eq_u32_e32 vcc_lo, 0, v198
	s_and_b32 s18, s17, vcc_lo
	s_delay_alu instid0(SALU_CYCLE_1)
	s_and_saveexec_b32 s17, s18
	s_cbranch_execz .LBB1010_476
; %bb.475:                              ;   in Loop: Header=BB1010_410 Depth=2
	s_wait_dscnt 0x0
	v_bcnt_u32_b32 v62, v62, v197
	ds_store_b32 v156, v62 offset:544
.LBB1010_476:                           ;   in Loop: Header=BB1010_410 Depth=2
	s_or_b32 exec_lo, exec_lo, s17
	v_xor_b32_e32 v196, 0xffff8000, v65
	; wave barrier
	s_delay_alu instid0(VALU_DEP_1) | instskip(NEXT) | instid1(VALU_DEP_1)
	v_and_b32_e32 v62, 0xffff, v196
	v_lshrrev_b32_e32 v62, s43, v62
	s_delay_alu instid0(VALU_DEP_1) | instskip(NEXT) | instid1(VALU_DEP_1)
	v_and_b32_e32 v65, s48, v62
	v_lshlrev_b32_e32 v199, 30, v65
	v_bitop3_b32 v63, v62, 1, s48 bitop3:0x80
	s_delay_alu instid0(VALU_DEP_1) | instskip(NEXT) | instid1(VALU_DEP_1)
	v_add_co_u32 v62, s17, v63, -1
	v_cndmask_b32_e64 v63, 0, 1, s17
	s_delay_alu instid0(VALU_DEP_4) | instskip(NEXT) | instid1(VALU_DEP_2)
	v_cmp_gt_i32_e64 s17, 0, v199
	v_cmp_ne_u32_e32 vcc_lo, 0, v63
	v_not_b32_e32 v63, v199
	v_bitop3_b32 v62, vcc_lo, exec_lo, v62 bitop3:0x48
	s_delay_alu instid0(VALU_DEP_2) | instskip(SKIP_2) | instid1(VALU_DEP_3)
	v_dual_ashrrev_i32 v63, 31, v63 :: v_dual_lshlrev_b32 v200, 29, v65
	v_dual_lshlrev_b32 v201, 28, v65 :: v_dual_lshlrev_b32 v202, 27, v65
	v_lshlrev_b32_e32 v203, 26, v65
	v_not_b32_e32 v199, v200
	v_lshlrev_b32_e32 v204, 25, v65
	v_cmp_gt_i32_e64 s18, 0, v200
	v_cmp_gt_i32_e64 s19, 0, v201
	v_not_b32_e32 v200, v201
	v_not_b32_e32 v201, v202
	v_ashrrev_i32_e32 v199, 31, v199
	v_cmp_gt_i32_e64 s20, 0, v202
	v_cmp_gt_i32_e64 s21, 0, v203
	v_not_b32_e32 v202, v203
	v_not_b32_e32 v203, v204
	v_dual_ashrrev_i32 v200, 31, v200 :: v_dual_ashrrev_i32 v201, 31, v201
	s_delay_alu instid0(VALU_DEP_3) | instskip(SKIP_2) | instid1(VALU_DEP_4)
	v_dual_ashrrev_i32 v202, 31, v202 :: v_dual_bitop2_b32 v63, s17, v63 bitop3:0x14
	v_xor_b32_e32 v199, s18, v199
	v_cmp_gt_i32_e64 s22, 0, v204
	v_dual_ashrrev_i32 v203, 31, v203 :: v_dual_bitop2_b32 v200, s19, v200 bitop3:0x14
	v_xor_b32_e32 v201, s20, v201
	s_delay_alu instid0(VALU_DEP_4) | instskip(SKIP_3) | instid1(VALU_DEP_4)
	v_bitop3_b32 v62, v62, v199, v63 bitop3:0x80
	v_mad_u32_u24 v63, v65, 36, v23
	v_xor_b32_e32 v199, s21, v202
	v_xor_b32_e32 v202, s22, v203
	v_bitop3_b32 v62, v62, v201, v200 bitop3:0x80
	ds_load_b32 v200, v63 offset:544
	v_mul_u32_u24_e32 v63, 36, v65
	; wave barrier
	v_bitop3_b32 v62, v62, v202, v199 bitop3:0x80
	s_delay_alu instid0(VALU_DEP_2) | instskip(NEXT) | instid1(VALU_DEP_2)
	v_add_nc_u32_e32 v202, v23, v63
	v_mbcnt_lo_u32_b32 v201, v62, 0
	v_cmp_ne_u32_e64 s17, 0, v62
	s_delay_alu instid0(VALU_DEP_2) | instskip(SKIP_1) | instid1(SALU_CYCLE_1)
	v_cmp_eq_u32_e32 vcc_lo, 0, v201
	s_and_b32 s18, s17, vcc_lo
	s_and_saveexec_b32 s17, s18
	s_cbranch_execz .LBB1010_478
; %bb.477:                              ;   in Loop: Header=BB1010_410 Depth=2
	s_wait_dscnt 0x0
	v_bcnt_u32_b32 v62, v62, v200
	ds_store_b32 v202, v62 offset:544
.LBB1010_478:                           ;   in Loop: Header=BB1010_410 Depth=2
	s_or_b32 exec_lo, exec_lo, s17
	v_xor_b32_e32 v199, 0xffff8000, v64
	; wave barrier
	s_delay_alu instid0(VALU_DEP_1) | instskip(NEXT) | instid1(VALU_DEP_1)
	v_and_b32_e32 v62, 0xffff, v199
	v_lshrrev_b32_e32 v62, s43, v62
	s_delay_alu instid0(VALU_DEP_1) | instskip(NEXT) | instid1(VALU_DEP_1)
	v_and_b32_e32 v64, s48, v62
	v_lshlrev_b32_e32 v65, 30, v64
	v_bitop3_b32 v63, v62, 1, s48 bitop3:0x80
	s_delay_alu instid0(VALU_DEP_1) | instskip(NEXT) | instid1(VALU_DEP_1)
	v_add_co_u32 v62, s17, v63, -1
	v_cndmask_b32_e64 v63, 0, 1, s17
	s_delay_alu instid0(VALU_DEP_4) | instskip(NEXT) | instid1(VALU_DEP_2)
	v_cmp_gt_i32_e64 s17, 0, v65
	v_cmp_ne_u32_e32 vcc_lo, 0, v63
	v_not_b32_e32 v63, v65
	v_bitop3_b32 v62, vcc_lo, exec_lo, v62 bitop3:0x48
	s_delay_alu instid0(VALU_DEP_2) | instskip(SKIP_2) | instid1(VALU_DEP_3)
	v_dual_ashrrev_i32 v63, 31, v63 :: v_dual_lshlrev_b32 v203, 29, v64
	v_dual_lshlrev_b32 v204, 28, v64 :: v_dual_lshlrev_b32 v205, 27, v64
	v_lshlrev_b32_e32 v206, 26, v64
	v_not_b32_e32 v65, v203
	v_lshlrev_b32_e32 v207, 25, v64
	v_cmp_gt_i32_e64 s18, 0, v203
	v_cmp_gt_i32_e64 s19, 0, v204
	v_not_b32_e32 v203, v204
	v_not_b32_e32 v204, v205
	v_ashrrev_i32_e32 v65, 31, v65
	v_cmp_gt_i32_e64 s20, 0, v205
	v_cmp_gt_i32_e64 s21, 0, v206
	v_not_b32_e32 v205, v206
	v_not_b32_e32 v206, v207
	v_dual_ashrrev_i32 v203, 31, v203 :: v_dual_ashrrev_i32 v204, 31, v204
	s_delay_alu instid0(VALU_DEP_3) | instskip(NEXT) | instid1(VALU_DEP_3)
	v_dual_ashrrev_i32 v205, 31, v205 :: v_dual_bitop2_b32 v63, s17, v63 bitop3:0x14
	v_dual_ashrrev_i32 v206, 31, v206 :: v_dual_bitop2_b32 v65, s18, v65 bitop3:0x14
	v_cmp_gt_i32_e64 s22, 0, v207
	s_delay_alu instid0(VALU_DEP_4) | instskip(SKIP_1) | instid1(VALU_DEP_4)
	v_xor_b32_e32 v203, s19, v203
	v_xor_b32_e32 v204, s20, v204
	v_bitop3_b32 v62, v62, v65, v63 bitop3:0x80
	v_mad_u32_u24 v63, v64, 36, v23
	v_xor_b32_e32 v65, s21, v205
	v_xor_b32_e32 v205, s22, v206
	s_delay_alu instid0(VALU_DEP_4) | instskip(SKIP_3) | instid1(VALU_DEP_2)
	v_bitop3_b32 v62, v62, v204, v203 bitop3:0x80
	ds_load_b32 v203, v63 offset:544
	v_mul_u32_u24_e32 v63, 36, v64
	; wave barrier
	v_bitop3_b32 v62, v62, v205, v65 bitop3:0x80
	v_add_nc_u32_e32 v205, v23, v63
	s_delay_alu instid0(VALU_DEP_2) | instskip(SKIP_1) | instid1(VALU_DEP_2)
	v_mbcnt_lo_u32_b32 v204, v62, 0
	v_cmp_ne_u32_e64 s17, 0, v62
	v_cmp_eq_u32_e32 vcc_lo, 0, v204
	s_and_b32 s18, s17, vcc_lo
	s_delay_alu instid0(SALU_CYCLE_1)
	s_and_saveexec_b32 s17, s18
	s_cbranch_execz .LBB1010_480
; %bb.479:                              ;   in Loop: Header=BB1010_410 Depth=2
	s_wait_dscnt 0x0
	v_bcnt_u32_b32 v62, v62, v203
	ds_store_b32 v205, v62 offset:544
.LBB1010_480:                           ;   in Loop: Header=BB1010_410 Depth=2
	s_or_b32 exec_lo, exec_lo, s17
	v_and_b32_e32 v62, 0xffff, v142
	; wave barrier
	s_delay_alu instid0(VALU_DEP_1) | instskip(NEXT) | instid1(VALU_DEP_1)
	v_lshrrev_b32_e32 v62, s43, v62
	v_and_b32_e32 v64, s48, v62
	s_delay_alu instid0(VALU_DEP_1) | instskip(SKIP_1) | instid1(VALU_DEP_1)
	v_lshlrev_b32_e32 v65, 30, v64
	v_bitop3_b32 v63, v62, 1, s48 bitop3:0x80
	v_add_co_u32 v62, s17, v63, -1
	s_delay_alu instid0(VALU_DEP_1) | instskip(NEXT) | instid1(VALU_DEP_4)
	v_cndmask_b32_e64 v63, 0, 1, s17
	v_cmp_gt_i32_e64 s17, 0, v65
	s_delay_alu instid0(VALU_DEP_2) | instskip(SKIP_2) | instid1(VALU_DEP_2)
	v_cmp_ne_u32_e32 vcc_lo, 0, v63
	v_not_b32_e32 v63, v65
	v_bitop3_b32 v62, vcc_lo, exec_lo, v62 bitop3:0x48
	v_dual_ashrrev_i32 v63, 31, v63 :: v_dual_lshlrev_b32 v206, 29, v64
	v_dual_lshlrev_b32 v207, 28, v64 :: v_dual_lshlrev_b32 v208, 27, v64
	v_lshlrev_b32_e32 v209, 26, v64
	s_delay_alu instid0(VALU_DEP_3)
	v_not_b32_e32 v65, v206
	v_lshlrev_b32_e32 v210, 25, v64
	v_cmp_gt_i32_e64 s18, 0, v206
	v_cmp_gt_i32_e64 s19, 0, v207
	v_not_b32_e32 v206, v207
	v_not_b32_e32 v207, v208
	v_ashrrev_i32_e32 v65, 31, v65
	v_cmp_gt_i32_e64 s20, 0, v208
	v_cmp_gt_i32_e64 s21, 0, v209
	v_not_b32_e32 v208, v209
	v_dual_ashrrev_i32 v206, 31, v206 :: v_dual_ashrrev_i32 v207, 31, v207
	v_xor_b32_e32 v63, s17, v63
	v_xor_b32_e32 v65, s18, v65
	v_not_b32_e32 v209, v210
	s_delay_alu instid0(VALU_DEP_4) | instskip(SKIP_1) | instid1(VALU_DEP_4)
	v_dual_ashrrev_i32 v208, 31, v208 :: v_dual_bitop2_b32 v206, s19, v206 bitop3:0x14
	v_xor_b32_e32 v207, s20, v207
	v_bitop3_b32 v62, v62, v65, v63 bitop3:0x80
	v_cmp_gt_i32_e32 vcc_lo, 0, v210
	v_ashrrev_i32_e32 v63, 31, v209
	v_mad_u32_u24 v65, v64, 36, v23
	v_xor_b32_e32 v208, s21, v208
	v_bitop3_b32 v62, v62, v207, v206 bitop3:0x80
	s_delay_alu instid0(VALU_DEP_4) | instskip(SKIP_3) | instid1(VALU_DEP_2)
	v_xor_b32_e32 v63, vcc_lo, v63
	ds_load_b32 v206, v65 offset:544
	; wave barrier
	v_bitop3_b32 v62, v62, v63, v208 bitop3:0x80
	v_mul_u32_u24_e32 v63, 36, v64
	v_mbcnt_lo_u32_b32 v207, v62, 0
	v_cmp_ne_u32_e64 s17, 0, v62
	s_delay_alu instid0(VALU_DEP_3) | instskip(NEXT) | instid1(VALU_DEP_3)
	v_add_nc_u32_e32 v208, v23, v63
	v_cmp_eq_u32_e32 vcc_lo, 0, v207
	s_and_b32 s18, s17, vcc_lo
	s_delay_alu instid0(SALU_CYCLE_1)
	s_and_saveexec_b32 s17, s18
	s_cbranch_execz .LBB1010_482
; %bb.481:                              ;   in Loop: Header=BB1010_410 Depth=2
	s_wait_dscnt 0x0
	v_bcnt_u32_b32 v62, v62, v206
	ds_store_b32 v208, v62 offset:544
.LBB1010_482:                           ;   in Loop: Header=BB1010_410 Depth=2
	s_or_b32 exec_lo, exec_lo, s17
	; wave barrier
	s_wait_dscnt 0x0
	s_barrier_signal -1
	s_barrier_wait -1
	ds_load_2addr_b32 v[64:65], v89 offset0:136 offset1:137
	ds_load_2addr_b32 v[62:63], v89 offset0:138 offset1:139
	ds_load_b32 v209, v89 offset:560
	s_wait_dscnt 0x1
	v_add3_u32 v210, v65, v64, v62
	s_wait_dscnt 0x0
	s_delay_alu instid0(VALU_DEP_1) | instskip(NEXT) | instid1(VALU_DEP_1)
	v_add3_u32 v209, v210, v63, v209
	v_mov_b32_dpp v210, v209 row_shr:1 row_mask:0xf bank_mask:0xf
	s_delay_alu instid0(VALU_DEP_1) | instskip(NEXT) | instid1(VALU_DEP_1)
	v_cndmask_b32_e64 v210, v210, 0, s9
	v_add_nc_u32_e32 v209, v210, v209
	s_delay_alu instid0(VALU_DEP_1) | instskip(NEXT) | instid1(VALU_DEP_1)
	v_mov_b32_dpp v210, v209 row_shr:2 row_mask:0xf bank_mask:0xf
	v_cndmask_b32_e64 v210, 0, v210, s10
	s_delay_alu instid0(VALU_DEP_1) | instskip(NEXT) | instid1(VALU_DEP_1)
	v_add_nc_u32_e32 v209, v209, v210
	v_mov_b32_dpp v210, v209 row_shr:4 row_mask:0xf bank_mask:0xf
	s_delay_alu instid0(VALU_DEP_1) | instskip(NEXT) | instid1(VALU_DEP_1)
	v_cndmask_b32_e64 v210, 0, v210, s11
	v_add_nc_u32_e32 v209, v209, v210
	s_delay_alu instid0(VALU_DEP_1) | instskip(NEXT) | instid1(VALU_DEP_1)
	v_mov_b32_dpp v210, v209 row_shr:8 row_mask:0xf bank_mask:0xf
	v_cndmask_b32_e64 v210, 0, v210, s12
	s_delay_alu instid0(VALU_DEP_1) | instskip(SKIP_3) | instid1(VALU_DEP_1)
	v_add_nc_u32_e32 v209, v209, v210
	ds_swizzle_b32 v210, v209 offset:swizzle(BROADCAST,32,15)
	s_wait_dscnt 0x0
	v_cndmask_b32_e64 v210, v210, 0, s13
	v_add_nc_u32_e32 v209, v209, v210
	s_and_saveexec_b32 s17, s2
; %bb.483:                              ;   in Loop: Header=BB1010_410 Depth=2
	ds_store_b32 v82, v209 offset:512
; %bb.484:                              ;   in Loop: Header=BB1010_410 Depth=2
	s_or_b32 exec_lo, exec_lo, s17
	s_wait_dscnt 0x0
	s_barrier_signal -1
	s_barrier_wait -1
	s_and_saveexec_b32 s17, s3
	s_cbranch_execz .LBB1010_486
; %bb.485:                              ;   in Loop: Header=BB1010_410 Depth=2
	ds_load_b32 v210, v91 offset:512
	s_wait_dscnt 0x0
	v_mov_b32_dpp v211, v210 row_shr:1 row_mask:0xf bank_mask:0xf
	s_delay_alu instid0(VALU_DEP_1) | instskip(NEXT) | instid1(VALU_DEP_1)
	v_cndmask_b32_e64 v211, v211, 0, s14
	v_add_nc_u32_e32 v210, v211, v210
	s_delay_alu instid0(VALU_DEP_1) | instskip(NEXT) | instid1(VALU_DEP_1)
	v_mov_b32_dpp v211, v210 row_shr:2 row_mask:0xf bank_mask:0xf
	v_cndmask_b32_e64 v211, 0, v211, s15
	s_delay_alu instid0(VALU_DEP_1) | instskip(NEXT) | instid1(VALU_DEP_1)
	v_add_nc_u32_e32 v210, v210, v211
	v_mov_b32_dpp v211, v210 row_shr:4 row_mask:0xf bank_mask:0xf
	s_delay_alu instid0(VALU_DEP_1) | instskip(NEXT) | instid1(VALU_DEP_1)
	v_cndmask_b32_e64 v211, 0, v211, s16
	v_add_nc_u32_e32 v210, v210, v211
	ds_store_b32 v91, v210 offset:512
.LBB1010_486:                           ;   in Loop: Header=BB1010_410 Depth=2
	s_or_b32 exec_lo, exec_lo, s17
	v_mov_b32_e32 v210, 0
	s_wait_dscnt 0x0
	s_barrier_signal -1
	s_barrier_wait -1
	s_and_saveexec_b32 s17, s5
; %bb.487:                              ;   in Loop: Header=BB1010_410 Depth=2
	ds_load_b32 v210, v82 offset:508
; %bb.488:                              ;   in Loop: Header=BB1010_410 Depth=2
	s_or_b32 exec_lo, exec_lo, s17
	s_wait_dscnt 0x0
	v_add_nc_u32_e32 v209, v210, v209
	ds_bpermute_b32 v209, v121, v209
	s_wait_dscnt 0x0
	v_cndmask_b32_e64 v209, v209, v210, s8
	s_delay_alu instid0(VALU_DEP_1) | instskip(NEXT) | instid1(VALU_DEP_1)
	v_cndmask_b32_e64 v209, v209, 0, s6
	v_add_nc_u32_e32 v64, v209, v64
	s_delay_alu instid0(VALU_DEP_1) | instskip(NEXT) | instid1(VALU_DEP_1)
	v_add_nc_u32_e32 v65, v64, v65
	v_add_nc_u32_e32 v62, v65, v62
	s_delay_alu instid0(VALU_DEP_1)
	v_add_nc_u32_e32 v63, v62, v63
	ds_store_2addr_b32 v89, v209, v64 offset0:136 offset1:137
	ds_store_2addr_b32 v89, v65, v62 offset0:138 offset1:139
	ds_store_b32 v89, v63 offset:560
	s_wait_dscnt 0x0
	s_barrier_signal -1
	s_barrier_wait -1
	ds_load_b32 v64, v146 offset:544
	ds_load_b32 v65, v150 offset:544
	;; [unrolled: 1-line block ×17, first 2 shown]
	s_and_saveexec_b32 s17, s0
	s_cbranch_execz .LBB1010_492
; %bb.489:                              ;   in Loop: Header=BB1010_410 Depth=2
	ds_load_b32 v137, v92 offset:544
	v_mov_b32_e32 v140, 0x1100
	s_and_saveexec_b32 s18, s7
; %bb.490:                              ;   in Loop: Header=BB1010_410 Depth=2
	ds_load_b32 v140, v93 offset:544
; %bb.491:                              ;   in Loop: Header=BB1010_410 Depth=2
	s_or_b32 exec_lo, exec_lo, s18
	s_wait_dscnt 0x0
	v_sub_nc_u32_e32 v140, v140, v137
.LBB1010_492:                           ;   in Loop: Header=BB1010_410 Depth=2
	s_or_b32 exec_lo, exec_lo, s17
	s_wait_dscnt 0x0
	s_barrier_signal -1
	s_barrier_wait -1
	s_and_saveexec_b32 s17, s0
	s_cbranch_execz .LBB1010_494
; %bb.493:                              ;   in Loop: Header=BB1010_410 Depth=2
	ds_load_b32 v156, v3
	s_wait_dscnt 0x0
	v_sub_nc_u32_e32 v156, v156, v137
	ds_store_b32 v3, v156
.LBB1010_494:                           ;   in Loop: Header=BB1010_410 Depth=2
	s_or_b32 exec_lo, exec_lo, s17
	v_add3_u32 v161, v153, v152, v146
	v_add_nc_u32_e32 v165, v64, v144
	v_add3_u32 v164, v149, v148, v65
	v_add3_u32 v159, v158, v157, v150
	;; [unrolled: 1-line block ×4, first 2 shown]
	v_lshlrev_b32_e32 v62, 1, v161
	v_dual_lshlrev_b32 v162, 1, v165 :: v_dual_lshlrev_b32 v163, 1, v164
	v_add3_u32 v157, v168, v167, v209
	v_add3_u32 v156, v173, v172, v175
	;; [unrolled: 1-line block ×5, first 2 shown]
	v_lshlrev_b32_e32 v63, 1, v159
	v_add3_u32 v152, v184, v183, v185
	ds_store_b16 v162, v143 offset:512
	ds_store_b16 v163, v145 offset:512
	v_lshlrev_b32_e32 v143, 1, v158
	v_add3_u32 v150, v188, v187, v190
	v_dual_lshlrev_b32 v145, 1, v157 :: v_dual_lshlrev_b32 v162, 1, v156
	v_add3_u32 v149, v192, v191, v210
	v_add3_u32 v65, v195, v194, v211
	ds_store_b16 v62, v147 offset:512
	ds_store_b16 v63, v151 offset:512
	;; [unrolled: 1-line block ×5, first 2 shown]
	v_dual_lshlrev_b32 v62, 1, v154 :: v_dual_lshlrev_b32 v63, 1, v153
	v_add3_u32 v64, v198, v197, v212
	v_dual_lshlrev_b32 v143, 1, v152 :: v_dual_lshlrev_b32 v145, 1, v150
	v_add3_u32 v144, v207, v206, v170
	v_lshlrev_b32_e32 v147, 1, v149
	ds_store_b16 v62, v171 offset:512
	ds_store_b16 v63, v176 offset:512
	;; [unrolled: 1-line block ×5, first 2 shown]
	v_dual_lshlrev_b32 v62, 1, v65 :: v_dual_lshlrev_b32 v143, 1, v148
	v_cmp_lt_u32_e32 vcc_lo, v2, v141
	v_dual_lshlrev_b32 v63, 1, v64 :: v_dual_lshlrev_b32 v145, 1, v146
	v_lshlrev_b32_e32 v147, 1, v144
	ds_store_b16 v62, v189 offset:512
	ds_store_b16 v63, v193 offset:512
	;; [unrolled: 1-line block ×5, first 2 shown]
	s_wait_dscnt 0x0
	s_barrier_signal -1
	s_barrier_wait -1
	s_and_saveexec_b32 s17, vcc_lo
	s_cbranch_execnz .LBB1010_567
; %bb.495:                              ;   in Loop: Header=BB1010_410 Depth=2
	s_or_b32 exec_lo, exec_lo, s17
	v_cmp_lt_u32_e64 s17, v66, v141
	s_and_saveexec_b32 s18, s17
	s_cbranch_execnz .LBB1010_568
.LBB1010_496:                           ;   in Loop: Header=BB1010_410 Depth=2
	s_or_b32 exec_lo, exec_lo, s18
	v_cmp_lt_u32_e64 s18, v67, v141
	s_and_saveexec_b32 s19, s18
	s_cbranch_execnz .LBB1010_569
.LBB1010_497:                           ;   in Loop: Header=BB1010_410 Depth=2
	s_or_b32 exec_lo, exec_lo, s19
	v_cmp_lt_u32_e64 s19, v68, v141
	s_and_saveexec_b32 s20, s19
	s_cbranch_execnz .LBB1010_570
.LBB1010_498:                           ;   in Loop: Header=BB1010_410 Depth=2
	s_or_b32 exec_lo, exec_lo, s20
	v_cmp_lt_u32_e64 s20, v69, v141
	s_and_saveexec_b32 s21, s20
	s_cbranch_execnz .LBB1010_571
.LBB1010_499:                           ;   in Loop: Header=BB1010_410 Depth=2
	s_or_b32 exec_lo, exec_lo, s21
	v_cmp_lt_u32_e64 s21, v70, v141
	s_and_saveexec_b32 s22, s21
	s_cbranch_execnz .LBB1010_572
.LBB1010_500:                           ;   in Loop: Header=BB1010_410 Depth=2
	s_or_b32 exec_lo, exec_lo, s22
	v_cmp_lt_u32_e64 s22, v71, v141
	s_and_saveexec_b32 s23, s22
	s_cbranch_execnz .LBB1010_573
.LBB1010_501:                           ;   in Loop: Header=BB1010_410 Depth=2
	s_or_b32 exec_lo, exec_lo, s23
	v_cmp_lt_u32_e64 s23, v72, v141
	s_and_saveexec_b32 s24, s23
	s_cbranch_execnz .LBB1010_574
.LBB1010_502:                           ;   in Loop: Header=BB1010_410 Depth=2
	s_or_b32 exec_lo, exec_lo, s24
	v_cmp_lt_u32_e64 s24, v73, v141
	s_and_saveexec_b32 s25, s24
	s_cbranch_execnz .LBB1010_575
.LBB1010_503:                           ;   in Loop: Header=BB1010_410 Depth=2
	s_or_b32 exec_lo, exec_lo, s25
	v_cmp_lt_u32_e64 s25, v74, v141
	s_and_saveexec_b32 s26, s25
	s_cbranch_execnz .LBB1010_576
.LBB1010_504:                           ;   in Loop: Header=BB1010_410 Depth=2
	s_or_b32 exec_lo, exec_lo, s26
	v_cmp_lt_u32_e64 s26, v75, v141
	s_and_saveexec_b32 s27, s26
	s_cbranch_execnz .LBB1010_577
.LBB1010_505:                           ;   in Loop: Header=BB1010_410 Depth=2
	s_or_b32 exec_lo, exec_lo, s27
	v_cmp_lt_u32_e64 s27, v76, v141
	s_and_saveexec_b32 s28, s27
	s_cbranch_execnz .LBB1010_578
.LBB1010_506:                           ;   in Loop: Header=BB1010_410 Depth=2
	s_or_b32 exec_lo, exec_lo, s28
	v_cmp_lt_u32_e64 s28, v77, v141
	s_and_saveexec_b32 s29, s28
	s_cbranch_execnz .LBB1010_579
.LBB1010_507:                           ;   in Loop: Header=BB1010_410 Depth=2
	s_or_b32 exec_lo, exec_lo, s29
	v_cmp_lt_u32_e64 s29, v78, v141
	s_and_saveexec_b32 s30, s29
	s_cbranch_execnz .LBB1010_580
.LBB1010_508:                           ;   in Loop: Header=BB1010_410 Depth=2
	s_or_b32 exec_lo, exec_lo, s30
	v_cmp_lt_u32_e64 s30, v79, v141
	s_and_saveexec_b32 s31, s30
	s_cbranch_execnz .LBB1010_581
.LBB1010_509:                           ;   in Loop: Header=BB1010_410 Depth=2
	s_or_b32 exec_lo, exec_lo, s31
	v_cmp_lt_u32_e64 s31, v80, v141
	s_and_saveexec_b32 s33, s31
	s_cbranch_execnz .LBB1010_582
.LBB1010_510:                           ;   in Loop: Header=BB1010_410 Depth=2
	s_or_b32 exec_lo, exec_lo, s33
	v_cmp_lt_u32_e64 s33, v81, v141
	s_and_saveexec_b32 s60, s33
	s_cbranch_execz .LBB1010_512
.LBB1010_511:                           ;   in Loop: Header=BB1010_410 Depth=2
	ds_load_u16 v62, v94 offset:8704
	s_wait_dscnt 0x0
	v_and_b32_e32 v63, 0xffff, v62
	v_xor_b32_e32 v62, 0xffff8000, v62
	s_delay_alu instid0(VALU_DEP_2) | instskip(NEXT) | instid1(VALU_DEP_1)
	v_lshrrev_b32_e32 v63, s43, v63
	v_and_b32_e32 v63, s48, v63
	s_delay_alu instid0(VALU_DEP_1)
	v_lshlrev_b32_e32 v63, 2, v63
	ds_load_b32 v63, v63
	s_wait_dscnt 0x0
	v_add_nc_u32_e32 v63, v63, v81
	global_store_b16 v63, v62, s[40:41] scale_offset
.LBB1010_512:                           ;   in Loop: Header=BB1010_410 Depth=2
	s_wait_xcnt 0x0
	s_or_b32 exec_lo, exec_lo, s60
	v_lshl_add_u64 v[62:63], s[34:35], 3, v[24:25]
	v_cmp_lt_u32_e64 s34, v102, v141
	s_and_saveexec_b32 s60, s34
	s_delay_alu instid0(SALU_CYCLE_1)
	s_xor_b32 s34, exec_lo, s60
	s_cbranch_execnz .LBB1010_583
; %bb.513:                              ;   in Loop: Header=BB1010_410 Depth=2
	s_or_b32 exec_lo, exec_lo, s34
	s_delay_alu instid0(SALU_CYCLE_1)
	s_mov_b32 s60, exec_lo
	v_cmpx_lt_u32_e64 v105, v141
	s_cbranch_execnz .LBB1010_584
.LBB1010_514:                           ;   in Loop: Header=BB1010_410 Depth=2
	s_or_b32 exec_lo, exec_lo, s60
	s_delay_alu instid0(SALU_CYCLE_1)
	s_mov_b32 s60, exec_lo
	v_cmpx_lt_u32_e64 v106, v141
	s_cbranch_execnz .LBB1010_585
.LBB1010_515:                           ;   in Loop: Header=BB1010_410 Depth=2
	s_or_b32 exec_lo, exec_lo, s60
	s_delay_alu instid0(SALU_CYCLE_1)
	s_mov_b32 s60, exec_lo
	v_cmpx_lt_u32_e64 v107, v141
	s_cbranch_execnz .LBB1010_586
.LBB1010_516:                           ;   in Loop: Header=BB1010_410 Depth=2
	s_or_b32 exec_lo, exec_lo, s60
	s_delay_alu instid0(SALU_CYCLE_1)
	s_mov_b32 s60, exec_lo
	v_cmpx_lt_u32_e64 v108, v141
	s_cbranch_execnz .LBB1010_587
.LBB1010_517:                           ;   in Loop: Header=BB1010_410 Depth=2
	s_or_b32 exec_lo, exec_lo, s60
	s_delay_alu instid0(SALU_CYCLE_1)
	s_mov_b32 s60, exec_lo
	v_cmpx_lt_u32_e64 v109, v141
	s_cbranch_execnz .LBB1010_588
.LBB1010_518:                           ;   in Loop: Header=BB1010_410 Depth=2
	s_or_b32 exec_lo, exec_lo, s60
	s_delay_alu instid0(SALU_CYCLE_1)
	s_mov_b32 s60, exec_lo
	v_cmpx_lt_u32_e64 v110, v141
	s_cbranch_execnz .LBB1010_589
.LBB1010_519:                           ;   in Loop: Header=BB1010_410 Depth=2
	s_or_b32 exec_lo, exec_lo, s60
	s_delay_alu instid0(SALU_CYCLE_1)
	s_mov_b32 s60, exec_lo
	v_cmpx_lt_u32_e64 v111, v141
	s_cbranch_execnz .LBB1010_590
.LBB1010_520:                           ;   in Loop: Header=BB1010_410 Depth=2
	s_or_b32 exec_lo, exec_lo, s60
	s_delay_alu instid0(SALU_CYCLE_1)
	s_mov_b32 s60, exec_lo
	v_cmpx_lt_u32_e64 v112, v141
	s_cbranch_execnz .LBB1010_591
.LBB1010_521:                           ;   in Loop: Header=BB1010_410 Depth=2
	s_or_b32 exec_lo, exec_lo, s60
	s_delay_alu instid0(SALU_CYCLE_1)
	s_mov_b32 s60, exec_lo
	v_cmpx_lt_u32_e64 v113, v141
	s_cbranch_execnz .LBB1010_592
.LBB1010_522:                           ;   in Loop: Header=BB1010_410 Depth=2
	s_or_b32 exec_lo, exec_lo, s60
	s_delay_alu instid0(SALU_CYCLE_1)
	s_mov_b32 s60, exec_lo
	v_cmpx_lt_u32_e64 v114, v141
	s_cbranch_execnz .LBB1010_593
.LBB1010_523:                           ;   in Loop: Header=BB1010_410 Depth=2
	s_or_b32 exec_lo, exec_lo, s60
	s_delay_alu instid0(SALU_CYCLE_1)
	s_mov_b32 s60, exec_lo
	v_cmpx_lt_u32_e64 v115, v141
	s_cbranch_execnz .LBB1010_594
.LBB1010_524:                           ;   in Loop: Header=BB1010_410 Depth=2
	s_or_b32 exec_lo, exec_lo, s60
	s_delay_alu instid0(SALU_CYCLE_1)
	s_mov_b32 s60, exec_lo
	v_cmpx_lt_u32_e64 v116, v141
	s_cbranch_execnz .LBB1010_595
.LBB1010_525:                           ;   in Loop: Header=BB1010_410 Depth=2
	s_or_b32 exec_lo, exec_lo, s60
	s_delay_alu instid0(SALU_CYCLE_1)
	s_mov_b32 s60, exec_lo
	v_cmpx_lt_u32_e64 v117, v141
	s_cbranch_execnz .LBB1010_596
.LBB1010_526:                           ;   in Loop: Header=BB1010_410 Depth=2
	s_or_b32 exec_lo, exec_lo, s60
	s_delay_alu instid0(SALU_CYCLE_1)
	s_mov_b32 s60, exec_lo
	v_cmpx_lt_u32_e64 v118, v141
	s_cbranch_execnz .LBB1010_597
.LBB1010_527:                           ;   in Loop: Header=BB1010_410 Depth=2
	s_or_b32 exec_lo, exec_lo, s60
	s_delay_alu instid0(SALU_CYCLE_1)
	s_mov_b32 s60, exec_lo
	v_cmpx_lt_u32_e64 v119, v141
	s_cbranch_execnz .LBB1010_598
.LBB1010_528:                           ;   in Loop: Header=BB1010_410 Depth=2
	s_or_b32 exec_lo, exec_lo, s60
	s_delay_alu instid0(SALU_CYCLE_1)
	s_mov_b32 s60, exec_lo
	v_cmpx_lt_u32_e64 v120, v141
	s_cbranch_execnz .LBB1010_599
.LBB1010_529:                           ;   in Loop: Header=BB1010_410 Depth=2
	s_or_b32 exec_lo, exec_lo, s60
	s_and_saveexec_b32 s34, vcc_lo
	s_cbranch_execnz .LBB1010_600
.LBB1010_530:                           ;   in Loop: Header=BB1010_410 Depth=2
	s_or_b32 exec_lo, exec_lo, s34
	s_and_saveexec_b32 s34, s17
	s_cbranch_execnz .LBB1010_601
.LBB1010_531:                           ;   in Loop: Header=BB1010_410 Depth=2
	s_or_b32 exec_lo, exec_lo, s34
	s_and_saveexec_b32 s34, s18
	s_cbranch_execnz .LBB1010_602
.LBB1010_532:                           ;   in Loop: Header=BB1010_410 Depth=2
	s_or_b32 exec_lo, exec_lo, s34
	s_and_saveexec_b32 s34, s19
	s_cbranch_execnz .LBB1010_603
.LBB1010_533:                           ;   in Loop: Header=BB1010_410 Depth=2
	s_or_b32 exec_lo, exec_lo, s34
	s_and_saveexec_b32 s34, s20
	s_cbranch_execnz .LBB1010_604
.LBB1010_534:                           ;   in Loop: Header=BB1010_410 Depth=2
	s_or_b32 exec_lo, exec_lo, s34
	s_and_saveexec_b32 s34, s21
	s_cbranch_execnz .LBB1010_605
.LBB1010_535:                           ;   in Loop: Header=BB1010_410 Depth=2
	s_or_b32 exec_lo, exec_lo, s34
	s_and_saveexec_b32 s34, s22
	s_cbranch_execnz .LBB1010_606
.LBB1010_536:                           ;   in Loop: Header=BB1010_410 Depth=2
	s_or_b32 exec_lo, exec_lo, s34
	s_and_saveexec_b32 s34, s23
	s_cbranch_execnz .LBB1010_607
.LBB1010_537:                           ;   in Loop: Header=BB1010_410 Depth=2
	s_or_b32 exec_lo, exec_lo, s34
	s_and_saveexec_b32 s34, s24
	s_cbranch_execnz .LBB1010_608
.LBB1010_538:                           ;   in Loop: Header=BB1010_410 Depth=2
	s_or_b32 exec_lo, exec_lo, s34
	s_and_saveexec_b32 s34, s25
	s_cbranch_execnz .LBB1010_609
.LBB1010_539:                           ;   in Loop: Header=BB1010_410 Depth=2
	s_or_b32 exec_lo, exec_lo, s34
	s_and_saveexec_b32 s34, s26
	s_cbranch_execnz .LBB1010_610
.LBB1010_540:                           ;   in Loop: Header=BB1010_410 Depth=2
	s_or_b32 exec_lo, exec_lo, s34
	s_and_saveexec_b32 s34, s27
	s_cbranch_execnz .LBB1010_611
.LBB1010_541:                           ;   in Loop: Header=BB1010_410 Depth=2
	s_or_b32 exec_lo, exec_lo, s34
	s_and_saveexec_b32 s34, s28
	s_cbranch_execnz .LBB1010_612
.LBB1010_542:                           ;   in Loop: Header=BB1010_410 Depth=2
	s_or_b32 exec_lo, exec_lo, s34
	s_and_saveexec_b32 s34, s29
	s_cbranch_execnz .LBB1010_613
.LBB1010_543:                           ;   in Loop: Header=BB1010_410 Depth=2
	s_or_b32 exec_lo, exec_lo, s34
	s_and_saveexec_b32 s34, s30
	s_cbranch_execnz .LBB1010_614
.LBB1010_544:                           ;   in Loop: Header=BB1010_410 Depth=2
	s_or_b32 exec_lo, exec_lo, s34
	s_and_saveexec_b32 s34, s31
	s_cbranch_execnz .LBB1010_615
.LBB1010_545:                           ;   in Loop: Header=BB1010_410 Depth=2
	s_or_b32 exec_lo, exec_lo, s34
	s_and_saveexec_b32 s34, s33
	s_cbranch_execz .LBB1010_547
.LBB1010_546:                           ;   in Loop: Header=BB1010_410 Depth=2
	ds_load_u16 v62, v94 offset:8704
	s_wait_dscnt 0x0
	v_lshrrev_b32_e32 v62, s43, v62
	s_delay_alu instid0(VALU_DEP_1)
	v_and_b32_e32 v122, s48, v62
.LBB1010_547:                           ;   in Loop: Header=BB1010_410 Depth=2
	s_or_b32 exec_lo, exec_lo, s34
	v_dual_lshlrev_b32 v62, 3, v165 :: v_dual_lshlrev_b32 v63, 3, v164
	s_wait_loadcnt 0x0
	s_wait_storecnt 0x0
	s_barrier_signal -1
	s_barrier_wait -1
	ds_store_b64 v62, v[60:61] offset:512
	ds_store_b64 v63, v[58:59] offset:512
	v_dual_lshlrev_b32 v62, 3, v161 :: v_dual_lshlrev_b32 v63, 3, v159
	v_dual_lshlrev_b32 v141, 3, v158 :: v_dual_lshlrev_b32 v142, 3, v157
	v_lshlrev_b32_e32 v143, 3, v156
	ds_store_b64 v62, v[56:57] offset:512
	ds_store_b64 v63, v[54:55] offset:512
	ds_store_b64 v141, v[52:53] offset:512
	ds_store_b64 v142, v[50:51] offset:512
	ds_store_b64 v143, v[48:49] offset:512
	v_dual_lshlrev_b32 v62, 3, v154 :: v_dual_lshlrev_b32 v63, 3, v153
	v_dual_lshlrev_b32 v141, 3, v152 :: v_dual_lshlrev_b32 v142, 3, v150
	v_lshlrev_b32_e32 v143, 3, v149
	ds_store_b64 v62, v[46:47] offset:512
	ds_store_b64 v63, v[44:45] offset:512
	ds_store_b64 v141, v[42:43] offset:512
	;; [unrolled: 8-line block ×3, first 2 shown]
	ds_store_b64 v65, v[30:31] offset:512
	ds_store_b64 v141, v[28:29] offset:512
	s_wait_dscnt 0x0
	s_barrier_signal -1
	s_barrier_wait -1
	s_and_saveexec_b32 s34, vcc_lo
	s_cbranch_execnz .LBB1010_616
; %bb.548:                              ;   in Loop: Header=BB1010_410 Depth=2
	s_or_b32 exec_lo, exec_lo, s34
	s_and_saveexec_b32 s34, s17
	s_cbranch_execnz .LBB1010_617
.LBB1010_549:                           ;   in Loop: Header=BB1010_410 Depth=2
	s_or_b32 exec_lo, exec_lo, s34
	s_and_saveexec_b32 s17, s18
	s_cbranch_execnz .LBB1010_618
.LBB1010_550:                           ;   in Loop: Header=BB1010_410 Depth=2
	s_or_b32 exec_lo, exec_lo, s17
	s_and_saveexec_b32 s17, s19
	s_cbranch_execnz .LBB1010_619
.LBB1010_551:                           ;   in Loop: Header=BB1010_410 Depth=2
	s_or_b32 exec_lo, exec_lo, s17
	s_and_saveexec_b32 s17, s20
	s_cbranch_execnz .LBB1010_620
.LBB1010_552:                           ;   in Loop: Header=BB1010_410 Depth=2
	s_or_b32 exec_lo, exec_lo, s17
	s_and_saveexec_b32 s17, s21
	s_cbranch_execnz .LBB1010_621
.LBB1010_553:                           ;   in Loop: Header=BB1010_410 Depth=2
	s_or_b32 exec_lo, exec_lo, s17
	s_and_saveexec_b32 s17, s22
	s_cbranch_execnz .LBB1010_622
.LBB1010_554:                           ;   in Loop: Header=BB1010_410 Depth=2
	s_or_b32 exec_lo, exec_lo, s17
	s_and_saveexec_b32 s17, s23
	s_cbranch_execnz .LBB1010_623
.LBB1010_555:                           ;   in Loop: Header=BB1010_410 Depth=2
	s_or_b32 exec_lo, exec_lo, s17
	s_and_saveexec_b32 s17, s24
	s_cbranch_execnz .LBB1010_624
.LBB1010_556:                           ;   in Loop: Header=BB1010_410 Depth=2
	s_or_b32 exec_lo, exec_lo, s17
	s_and_saveexec_b32 s17, s25
	s_cbranch_execnz .LBB1010_625
.LBB1010_557:                           ;   in Loop: Header=BB1010_410 Depth=2
	s_or_b32 exec_lo, exec_lo, s17
	s_and_saveexec_b32 s17, s26
	s_cbranch_execnz .LBB1010_626
.LBB1010_558:                           ;   in Loop: Header=BB1010_410 Depth=2
	s_or_b32 exec_lo, exec_lo, s17
	s_and_saveexec_b32 s17, s27
	s_cbranch_execnz .LBB1010_627
.LBB1010_559:                           ;   in Loop: Header=BB1010_410 Depth=2
	s_or_b32 exec_lo, exec_lo, s17
	s_and_saveexec_b32 s17, s28
	s_cbranch_execnz .LBB1010_628
.LBB1010_560:                           ;   in Loop: Header=BB1010_410 Depth=2
	s_or_b32 exec_lo, exec_lo, s17
	s_and_saveexec_b32 s17, s29
	s_cbranch_execnz .LBB1010_629
.LBB1010_561:                           ;   in Loop: Header=BB1010_410 Depth=2
	s_or_b32 exec_lo, exec_lo, s17
	s_and_saveexec_b32 s17, s30
	s_cbranch_execnz .LBB1010_630
.LBB1010_562:                           ;   in Loop: Header=BB1010_410 Depth=2
	s_or_b32 exec_lo, exec_lo, s17
	s_and_saveexec_b32 s17, s31
	s_cbranch_execnz .LBB1010_631
.LBB1010_563:                           ;   in Loop: Header=BB1010_410 Depth=2
	s_or_b32 exec_lo, exec_lo, s17
	s_and_saveexec_b32 s17, s33
	s_cbranch_execz .LBB1010_565
.LBB1010_564:                           ;   in Loop: Header=BB1010_410 Depth=2
	v_dual_lshlrev_b32 v62, 2, v122 :: v_dual_add_nc_u32 v63, v94, v95
	ds_load_b32 v64, v62
	ds_load_b64 v[62:63], v63 offset:33280
	s_wait_dscnt 0x1
	v_add_nc_u32_e32 v64, v64, v81
	s_wait_dscnt 0x0
	global_store_b64 v64, v[62:63], s[46:47] scale_offset
.LBB1010_565:                           ;   in Loop: Header=BB1010_410 Depth=2
	s_wait_xcnt 0x0
	s_or_b32 exec_lo, exec_lo, s17
	s_wait_storecnt 0x0
	s_barrier_signal -1
	s_barrier_wait -1
	s_and_saveexec_b32 s17, s0
	s_cbranch_execz .LBB1010_409
; %bb.566:                              ;   in Loop: Header=BB1010_410 Depth=2
	ds_load_b32 v62, v3
	s_wait_dscnt 0x0
	v_add3_u32 v62, v137, v140, v62
	ds_store_b32 v3, v62
	s_branch .LBB1010_409
.LBB1010_567:                           ;   in Loop: Header=BB1010_410 Depth=2
	ds_load_u16 v62, v94 offset:512
	s_wait_dscnt 0x0
	v_and_b32_e32 v63, 0xffff, v62
	v_xor_b32_e32 v62, 0xffff8000, v62
	s_delay_alu instid0(VALU_DEP_2) | instskip(NEXT) | instid1(VALU_DEP_1)
	v_lshrrev_b32_e32 v63, s43, v63
	v_and_b32_e32 v63, s48, v63
	s_delay_alu instid0(VALU_DEP_1)
	v_lshlrev_b32_e32 v63, 2, v63
	ds_load_b32 v63, v63
	s_wait_dscnt 0x0
	v_add_nc_u32_e32 v63, v63, v2
	global_store_b16 v63, v62, s[40:41] scale_offset
	s_wait_xcnt 0x0
	s_or_b32 exec_lo, exec_lo, s17
	v_cmp_lt_u32_e64 s17, v66, v141
	s_and_saveexec_b32 s18, s17
	s_cbranch_execz .LBB1010_496
.LBB1010_568:                           ;   in Loop: Header=BB1010_410 Depth=2
	ds_load_u16 v62, v94 offset:1024
	s_wait_dscnt 0x0
	v_and_b32_e32 v63, 0xffff, v62
	v_xor_b32_e32 v62, 0xffff8000, v62
	s_delay_alu instid0(VALU_DEP_2) | instskip(NEXT) | instid1(VALU_DEP_1)
	v_lshrrev_b32_e32 v63, s43, v63
	v_and_b32_e32 v63, s48, v63
	s_delay_alu instid0(VALU_DEP_1)
	v_lshlrev_b32_e32 v63, 2, v63
	ds_load_b32 v63, v63
	s_wait_dscnt 0x0
	v_add_nc_u32_e32 v63, v63, v66
	global_store_b16 v63, v62, s[40:41] scale_offset
	s_wait_xcnt 0x0
	s_or_b32 exec_lo, exec_lo, s18
	v_cmp_lt_u32_e64 s18, v67, v141
	s_and_saveexec_b32 s19, s18
	s_cbranch_execz .LBB1010_497
.LBB1010_569:                           ;   in Loop: Header=BB1010_410 Depth=2
	ds_load_u16 v62, v94 offset:1536
	s_wait_dscnt 0x0
	v_and_b32_e32 v63, 0xffff, v62
	v_xor_b32_e32 v62, 0xffff8000, v62
	s_delay_alu instid0(VALU_DEP_2) | instskip(NEXT) | instid1(VALU_DEP_1)
	v_lshrrev_b32_e32 v63, s43, v63
	v_and_b32_e32 v63, s48, v63
	s_delay_alu instid0(VALU_DEP_1)
	v_lshlrev_b32_e32 v63, 2, v63
	ds_load_b32 v63, v63
	s_wait_dscnt 0x0
	v_add_nc_u32_e32 v63, v63, v67
	global_store_b16 v63, v62, s[40:41] scale_offset
	s_wait_xcnt 0x0
	s_or_b32 exec_lo, exec_lo, s19
	v_cmp_lt_u32_e64 s19, v68, v141
	s_and_saveexec_b32 s20, s19
	s_cbranch_execz .LBB1010_498
.LBB1010_570:                           ;   in Loop: Header=BB1010_410 Depth=2
	ds_load_u16 v62, v94 offset:2048
	s_wait_dscnt 0x0
	v_and_b32_e32 v63, 0xffff, v62
	v_xor_b32_e32 v62, 0xffff8000, v62
	s_delay_alu instid0(VALU_DEP_2) | instskip(NEXT) | instid1(VALU_DEP_1)
	v_lshrrev_b32_e32 v63, s43, v63
	v_and_b32_e32 v63, s48, v63
	s_delay_alu instid0(VALU_DEP_1)
	v_lshlrev_b32_e32 v63, 2, v63
	ds_load_b32 v63, v63
	s_wait_dscnt 0x0
	v_add_nc_u32_e32 v63, v63, v68
	global_store_b16 v63, v62, s[40:41] scale_offset
	s_wait_xcnt 0x0
	s_or_b32 exec_lo, exec_lo, s20
	v_cmp_lt_u32_e64 s20, v69, v141
	s_and_saveexec_b32 s21, s20
	s_cbranch_execz .LBB1010_499
.LBB1010_571:                           ;   in Loop: Header=BB1010_410 Depth=2
	ds_load_u16 v62, v94 offset:2560
	s_wait_dscnt 0x0
	v_and_b32_e32 v63, 0xffff, v62
	v_xor_b32_e32 v62, 0xffff8000, v62
	s_delay_alu instid0(VALU_DEP_2) | instskip(NEXT) | instid1(VALU_DEP_1)
	v_lshrrev_b32_e32 v63, s43, v63
	v_and_b32_e32 v63, s48, v63
	s_delay_alu instid0(VALU_DEP_1)
	v_lshlrev_b32_e32 v63, 2, v63
	ds_load_b32 v63, v63
	s_wait_dscnt 0x0
	v_add_nc_u32_e32 v63, v63, v69
	global_store_b16 v63, v62, s[40:41] scale_offset
	s_wait_xcnt 0x0
	s_or_b32 exec_lo, exec_lo, s21
	v_cmp_lt_u32_e64 s21, v70, v141
	s_and_saveexec_b32 s22, s21
	s_cbranch_execz .LBB1010_500
.LBB1010_572:                           ;   in Loop: Header=BB1010_410 Depth=2
	ds_load_u16 v62, v94 offset:3072
	s_wait_dscnt 0x0
	v_and_b32_e32 v63, 0xffff, v62
	v_xor_b32_e32 v62, 0xffff8000, v62
	s_delay_alu instid0(VALU_DEP_2) | instskip(NEXT) | instid1(VALU_DEP_1)
	v_lshrrev_b32_e32 v63, s43, v63
	v_and_b32_e32 v63, s48, v63
	s_delay_alu instid0(VALU_DEP_1)
	v_lshlrev_b32_e32 v63, 2, v63
	ds_load_b32 v63, v63
	s_wait_dscnt 0x0
	v_add_nc_u32_e32 v63, v63, v70
	global_store_b16 v63, v62, s[40:41] scale_offset
	s_wait_xcnt 0x0
	s_or_b32 exec_lo, exec_lo, s22
	v_cmp_lt_u32_e64 s22, v71, v141
	s_and_saveexec_b32 s23, s22
	s_cbranch_execz .LBB1010_501
.LBB1010_573:                           ;   in Loop: Header=BB1010_410 Depth=2
	ds_load_u16 v62, v94 offset:3584
	s_wait_dscnt 0x0
	v_and_b32_e32 v63, 0xffff, v62
	v_xor_b32_e32 v62, 0xffff8000, v62
	s_delay_alu instid0(VALU_DEP_2) | instskip(NEXT) | instid1(VALU_DEP_1)
	v_lshrrev_b32_e32 v63, s43, v63
	v_and_b32_e32 v63, s48, v63
	s_delay_alu instid0(VALU_DEP_1)
	v_lshlrev_b32_e32 v63, 2, v63
	ds_load_b32 v63, v63
	s_wait_dscnt 0x0
	v_add_nc_u32_e32 v63, v63, v71
	global_store_b16 v63, v62, s[40:41] scale_offset
	s_wait_xcnt 0x0
	s_or_b32 exec_lo, exec_lo, s23
	v_cmp_lt_u32_e64 s23, v72, v141
	s_and_saveexec_b32 s24, s23
	s_cbranch_execz .LBB1010_502
.LBB1010_574:                           ;   in Loop: Header=BB1010_410 Depth=2
	ds_load_u16 v62, v94 offset:4096
	s_wait_dscnt 0x0
	v_and_b32_e32 v63, 0xffff, v62
	v_xor_b32_e32 v62, 0xffff8000, v62
	s_delay_alu instid0(VALU_DEP_2) | instskip(NEXT) | instid1(VALU_DEP_1)
	v_lshrrev_b32_e32 v63, s43, v63
	v_and_b32_e32 v63, s48, v63
	s_delay_alu instid0(VALU_DEP_1)
	v_lshlrev_b32_e32 v63, 2, v63
	ds_load_b32 v63, v63
	s_wait_dscnt 0x0
	v_add_nc_u32_e32 v63, v63, v72
	global_store_b16 v63, v62, s[40:41] scale_offset
	s_wait_xcnt 0x0
	s_or_b32 exec_lo, exec_lo, s24
	v_cmp_lt_u32_e64 s24, v73, v141
	s_and_saveexec_b32 s25, s24
	s_cbranch_execz .LBB1010_503
.LBB1010_575:                           ;   in Loop: Header=BB1010_410 Depth=2
	ds_load_u16 v62, v94 offset:4608
	s_wait_dscnt 0x0
	v_and_b32_e32 v63, 0xffff, v62
	v_xor_b32_e32 v62, 0xffff8000, v62
	s_delay_alu instid0(VALU_DEP_2) | instskip(NEXT) | instid1(VALU_DEP_1)
	v_lshrrev_b32_e32 v63, s43, v63
	v_and_b32_e32 v63, s48, v63
	s_delay_alu instid0(VALU_DEP_1)
	v_lshlrev_b32_e32 v63, 2, v63
	ds_load_b32 v63, v63
	s_wait_dscnt 0x0
	v_add_nc_u32_e32 v63, v63, v73
	global_store_b16 v63, v62, s[40:41] scale_offset
	s_wait_xcnt 0x0
	s_or_b32 exec_lo, exec_lo, s25
	v_cmp_lt_u32_e64 s25, v74, v141
	s_and_saveexec_b32 s26, s25
	s_cbranch_execz .LBB1010_504
.LBB1010_576:                           ;   in Loop: Header=BB1010_410 Depth=2
	ds_load_u16 v62, v94 offset:5120
	s_wait_dscnt 0x0
	v_and_b32_e32 v63, 0xffff, v62
	v_xor_b32_e32 v62, 0xffff8000, v62
	s_delay_alu instid0(VALU_DEP_2) | instskip(NEXT) | instid1(VALU_DEP_1)
	v_lshrrev_b32_e32 v63, s43, v63
	v_and_b32_e32 v63, s48, v63
	s_delay_alu instid0(VALU_DEP_1)
	v_lshlrev_b32_e32 v63, 2, v63
	ds_load_b32 v63, v63
	s_wait_dscnt 0x0
	v_add_nc_u32_e32 v63, v63, v74
	global_store_b16 v63, v62, s[40:41] scale_offset
	s_wait_xcnt 0x0
	s_or_b32 exec_lo, exec_lo, s26
	v_cmp_lt_u32_e64 s26, v75, v141
	s_and_saveexec_b32 s27, s26
	s_cbranch_execz .LBB1010_505
.LBB1010_577:                           ;   in Loop: Header=BB1010_410 Depth=2
	ds_load_u16 v62, v94 offset:5632
	s_wait_dscnt 0x0
	v_and_b32_e32 v63, 0xffff, v62
	v_xor_b32_e32 v62, 0xffff8000, v62
	s_delay_alu instid0(VALU_DEP_2) | instskip(NEXT) | instid1(VALU_DEP_1)
	v_lshrrev_b32_e32 v63, s43, v63
	v_and_b32_e32 v63, s48, v63
	s_delay_alu instid0(VALU_DEP_1)
	v_lshlrev_b32_e32 v63, 2, v63
	ds_load_b32 v63, v63
	s_wait_dscnt 0x0
	v_add_nc_u32_e32 v63, v63, v75
	global_store_b16 v63, v62, s[40:41] scale_offset
	s_wait_xcnt 0x0
	s_or_b32 exec_lo, exec_lo, s27
	v_cmp_lt_u32_e64 s27, v76, v141
	s_and_saveexec_b32 s28, s27
	s_cbranch_execz .LBB1010_506
.LBB1010_578:                           ;   in Loop: Header=BB1010_410 Depth=2
	ds_load_u16 v62, v94 offset:6144
	s_wait_dscnt 0x0
	v_and_b32_e32 v63, 0xffff, v62
	v_xor_b32_e32 v62, 0xffff8000, v62
	s_delay_alu instid0(VALU_DEP_2) | instskip(NEXT) | instid1(VALU_DEP_1)
	v_lshrrev_b32_e32 v63, s43, v63
	v_and_b32_e32 v63, s48, v63
	s_delay_alu instid0(VALU_DEP_1)
	v_lshlrev_b32_e32 v63, 2, v63
	ds_load_b32 v63, v63
	s_wait_dscnt 0x0
	v_add_nc_u32_e32 v63, v63, v76
	global_store_b16 v63, v62, s[40:41] scale_offset
	s_wait_xcnt 0x0
	s_or_b32 exec_lo, exec_lo, s28
	v_cmp_lt_u32_e64 s28, v77, v141
	s_and_saveexec_b32 s29, s28
	s_cbranch_execz .LBB1010_507
.LBB1010_579:                           ;   in Loop: Header=BB1010_410 Depth=2
	ds_load_u16 v62, v94 offset:6656
	s_wait_dscnt 0x0
	v_and_b32_e32 v63, 0xffff, v62
	v_xor_b32_e32 v62, 0xffff8000, v62
	s_delay_alu instid0(VALU_DEP_2) | instskip(NEXT) | instid1(VALU_DEP_1)
	v_lshrrev_b32_e32 v63, s43, v63
	v_and_b32_e32 v63, s48, v63
	s_delay_alu instid0(VALU_DEP_1)
	v_lshlrev_b32_e32 v63, 2, v63
	ds_load_b32 v63, v63
	s_wait_dscnt 0x0
	v_add_nc_u32_e32 v63, v63, v77
	global_store_b16 v63, v62, s[40:41] scale_offset
	s_wait_xcnt 0x0
	s_or_b32 exec_lo, exec_lo, s29
	v_cmp_lt_u32_e64 s29, v78, v141
	s_and_saveexec_b32 s30, s29
	s_cbranch_execz .LBB1010_508
.LBB1010_580:                           ;   in Loop: Header=BB1010_410 Depth=2
	ds_load_u16 v62, v94 offset:7168
	s_wait_dscnt 0x0
	v_and_b32_e32 v63, 0xffff, v62
	v_xor_b32_e32 v62, 0xffff8000, v62
	s_delay_alu instid0(VALU_DEP_2) | instskip(NEXT) | instid1(VALU_DEP_1)
	v_lshrrev_b32_e32 v63, s43, v63
	v_and_b32_e32 v63, s48, v63
	s_delay_alu instid0(VALU_DEP_1)
	v_lshlrev_b32_e32 v63, 2, v63
	ds_load_b32 v63, v63
	s_wait_dscnt 0x0
	v_add_nc_u32_e32 v63, v63, v78
	global_store_b16 v63, v62, s[40:41] scale_offset
	s_wait_xcnt 0x0
	s_or_b32 exec_lo, exec_lo, s30
	v_cmp_lt_u32_e64 s30, v79, v141
	s_and_saveexec_b32 s31, s30
	s_cbranch_execz .LBB1010_509
.LBB1010_581:                           ;   in Loop: Header=BB1010_410 Depth=2
	ds_load_u16 v62, v94 offset:7680
	s_wait_dscnt 0x0
	v_and_b32_e32 v63, 0xffff, v62
	v_xor_b32_e32 v62, 0xffff8000, v62
	s_delay_alu instid0(VALU_DEP_2) | instskip(NEXT) | instid1(VALU_DEP_1)
	v_lshrrev_b32_e32 v63, s43, v63
	v_and_b32_e32 v63, s48, v63
	s_delay_alu instid0(VALU_DEP_1)
	v_lshlrev_b32_e32 v63, 2, v63
	ds_load_b32 v63, v63
	s_wait_dscnt 0x0
	v_add_nc_u32_e32 v63, v63, v79
	global_store_b16 v63, v62, s[40:41] scale_offset
	s_wait_xcnt 0x0
	s_or_b32 exec_lo, exec_lo, s31
	v_cmp_lt_u32_e64 s31, v80, v141
	s_and_saveexec_b32 s33, s31
	s_cbranch_execz .LBB1010_510
.LBB1010_582:                           ;   in Loop: Header=BB1010_410 Depth=2
	ds_load_u16 v62, v94 offset:8192
	s_wait_dscnt 0x0
	v_and_b32_e32 v63, 0xffff, v62
	v_xor_b32_e32 v62, 0xffff8000, v62
	s_delay_alu instid0(VALU_DEP_2) | instskip(NEXT) | instid1(VALU_DEP_1)
	v_lshrrev_b32_e32 v63, s43, v63
	v_and_b32_e32 v63, s48, v63
	s_delay_alu instid0(VALU_DEP_1)
	v_lshlrev_b32_e32 v63, 2, v63
	ds_load_b32 v63, v63
	s_wait_dscnt 0x0
	v_add_nc_u32_e32 v63, v63, v80
	global_store_b16 v63, v62, s[40:41] scale_offset
	s_wait_xcnt 0x0
	s_or_b32 exec_lo, exec_lo, s33
	v_cmp_lt_u32_e64 s33, v81, v141
	s_and_saveexec_b32 s60, s33
	s_cbranch_execnz .LBB1010_511
	s_branch .LBB1010_512
.LBB1010_583:                           ;   in Loop: Header=BB1010_410 Depth=2
	global_load_b64 v[60:61], v[62:63], off
	s_wait_xcnt 0x0
	s_or_b32 exec_lo, exec_lo, s34
	s_delay_alu instid0(SALU_CYCLE_1)
	s_mov_b32 s60, exec_lo
	v_cmpx_lt_u32_e64 v105, v141
	s_cbranch_execz .LBB1010_514
.LBB1010_584:                           ;   in Loop: Header=BB1010_410 Depth=2
	global_load_b64 v[58:59], v[62:63], off offset:256
	s_wait_xcnt 0x0
	s_or_b32 exec_lo, exec_lo, s60
	s_delay_alu instid0(SALU_CYCLE_1)
	s_mov_b32 s60, exec_lo
	v_cmpx_lt_u32_e64 v106, v141
	s_cbranch_execz .LBB1010_515
.LBB1010_585:                           ;   in Loop: Header=BB1010_410 Depth=2
	global_load_b64 v[56:57], v[62:63], off offset:512
	s_wait_xcnt 0x0
	s_or_b32 exec_lo, exec_lo, s60
	s_delay_alu instid0(SALU_CYCLE_1)
	s_mov_b32 s60, exec_lo
	v_cmpx_lt_u32_e64 v107, v141
	s_cbranch_execz .LBB1010_516
.LBB1010_586:                           ;   in Loop: Header=BB1010_410 Depth=2
	global_load_b64 v[54:55], v[62:63], off offset:768
	s_wait_xcnt 0x0
	s_or_b32 exec_lo, exec_lo, s60
	s_delay_alu instid0(SALU_CYCLE_1)
	s_mov_b32 s60, exec_lo
	v_cmpx_lt_u32_e64 v108, v141
	s_cbranch_execz .LBB1010_517
.LBB1010_587:                           ;   in Loop: Header=BB1010_410 Depth=2
	global_load_b64 v[52:53], v[62:63], off offset:1024
	s_wait_xcnt 0x0
	s_or_b32 exec_lo, exec_lo, s60
	s_delay_alu instid0(SALU_CYCLE_1)
	s_mov_b32 s60, exec_lo
	v_cmpx_lt_u32_e64 v109, v141
	s_cbranch_execz .LBB1010_518
.LBB1010_588:                           ;   in Loop: Header=BB1010_410 Depth=2
	global_load_b64 v[50:51], v[62:63], off offset:1280
	s_wait_xcnt 0x0
	s_or_b32 exec_lo, exec_lo, s60
	s_delay_alu instid0(SALU_CYCLE_1)
	s_mov_b32 s60, exec_lo
	v_cmpx_lt_u32_e64 v110, v141
	s_cbranch_execz .LBB1010_519
.LBB1010_589:                           ;   in Loop: Header=BB1010_410 Depth=2
	global_load_b64 v[48:49], v[62:63], off offset:1536
	s_wait_xcnt 0x0
	s_or_b32 exec_lo, exec_lo, s60
	s_delay_alu instid0(SALU_CYCLE_1)
	s_mov_b32 s60, exec_lo
	v_cmpx_lt_u32_e64 v111, v141
	s_cbranch_execz .LBB1010_520
.LBB1010_590:                           ;   in Loop: Header=BB1010_410 Depth=2
	global_load_b64 v[46:47], v[62:63], off offset:1792
	s_wait_xcnt 0x0
	s_or_b32 exec_lo, exec_lo, s60
	s_delay_alu instid0(SALU_CYCLE_1)
	s_mov_b32 s60, exec_lo
	v_cmpx_lt_u32_e64 v112, v141
	s_cbranch_execz .LBB1010_521
.LBB1010_591:                           ;   in Loop: Header=BB1010_410 Depth=2
	global_load_b64 v[44:45], v[62:63], off offset:2048
	s_wait_xcnt 0x0
	s_or_b32 exec_lo, exec_lo, s60
	s_delay_alu instid0(SALU_CYCLE_1)
	s_mov_b32 s60, exec_lo
	v_cmpx_lt_u32_e64 v113, v141
	s_cbranch_execz .LBB1010_522
.LBB1010_592:                           ;   in Loop: Header=BB1010_410 Depth=2
	global_load_b64 v[42:43], v[62:63], off offset:2304
	s_wait_xcnt 0x0
	s_or_b32 exec_lo, exec_lo, s60
	s_delay_alu instid0(SALU_CYCLE_1)
	s_mov_b32 s60, exec_lo
	v_cmpx_lt_u32_e64 v114, v141
	s_cbranch_execz .LBB1010_523
.LBB1010_593:                           ;   in Loop: Header=BB1010_410 Depth=2
	global_load_b64 v[40:41], v[62:63], off offset:2560
	s_wait_xcnt 0x0
	s_or_b32 exec_lo, exec_lo, s60
	s_delay_alu instid0(SALU_CYCLE_1)
	s_mov_b32 s60, exec_lo
	v_cmpx_lt_u32_e64 v115, v141
	s_cbranch_execz .LBB1010_524
.LBB1010_594:                           ;   in Loop: Header=BB1010_410 Depth=2
	global_load_b64 v[38:39], v[62:63], off offset:2816
	s_wait_xcnt 0x0
	s_or_b32 exec_lo, exec_lo, s60
	s_delay_alu instid0(SALU_CYCLE_1)
	s_mov_b32 s60, exec_lo
	v_cmpx_lt_u32_e64 v116, v141
	s_cbranch_execz .LBB1010_525
.LBB1010_595:                           ;   in Loop: Header=BB1010_410 Depth=2
	global_load_b64 v[36:37], v[62:63], off offset:3072
	s_wait_xcnt 0x0
	s_or_b32 exec_lo, exec_lo, s60
	s_delay_alu instid0(SALU_CYCLE_1)
	s_mov_b32 s60, exec_lo
	v_cmpx_lt_u32_e64 v117, v141
	s_cbranch_execz .LBB1010_526
.LBB1010_596:                           ;   in Loop: Header=BB1010_410 Depth=2
	global_load_b64 v[34:35], v[62:63], off offset:3328
	s_wait_xcnt 0x0
	s_or_b32 exec_lo, exec_lo, s60
	s_delay_alu instid0(SALU_CYCLE_1)
	s_mov_b32 s60, exec_lo
	v_cmpx_lt_u32_e64 v118, v141
	s_cbranch_execz .LBB1010_527
.LBB1010_597:                           ;   in Loop: Header=BB1010_410 Depth=2
	global_load_b64 v[32:33], v[62:63], off offset:3584
	s_wait_xcnt 0x0
	s_or_b32 exec_lo, exec_lo, s60
	s_delay_alu instid0(SALU_CYCLE_1)
	s_mov_b32 s60, exec_lo
	v_cmpx_lt_u32_e64 v119, v141
	s_cbranch_execz .LBB1010_528
.LBB1010_598:                           ;   in Loop: Header=BB1010_410 Depth=2
	global_load_b64 v[30:31], v[62:63], off offset:3840
	s_wait_xcnt 0x0
	s_or_b32 exec_lo, exec_lo, s60
	s_delay_alu instid0(SALU_CYCLE_1)
	s_mov_b32 s60, exec_lo
	v_cmpx_lt_u32_e64 v120, v141
	s_cbranch_execz .LBB1010_529
.LBB1010_599:                           ;   in Loop: Header=BB1010_410 Depth=2
	global_load_b64 v[28:29], v[62:63], off offset:4096
	s_wait_xcnt 0x0
	s_or_b32 exec_lo, exec_lo, s60
	s_and_saveexec_b32 s34, vcc_lo
	s_cbranch_execz .LBB1010_530
.LBB1010_600:                           ;   in Loop: Header=BB1010_410 Depth=2
	ds_load_u16 v62, v94 offset:512
	s_wait_dscnt 0x0
	v_lshrrev_b32_e32 v62, s43, v62
	s_delay_alu instid0(VALU_DEP_1)
	v_and_b32_e32 v139, s48, v62
	s_or_b32 exec_lo, exec_lo, s34
	s_and_saveexec_b32 s34, s17
	s_cbranch_execz .LBB1010_531
.LBB1010_601:                           ;   in Loop: Header=BB1010_410 Depth=2
	ds_load_u16 v62, v94 offset:1024
	s_wait_dscnt 0x0
	v_lshrrev_b32_e32 v62, s43, v62
	s_delay_alu instid0(VALU_DEP_1)
	v_and_b32_e32 v138, s48, v62
	s_or_b32 exec_lo, exec_lo, s34
	s_and_saveexec_b32 s34, s18
	s_cbranch_execz .LBB1010_532
.LBB1010_602:                           ;   in Loop: Header=BB1010_410 Depth=2
	ds_load_u16 v62, v94 offset:1536
	s_wait_dscnt 0x0
	v_lshrrev_b32_e32 v62, s43, v62
	s_delay_alu instid0(VALU_DEP_1)
	v_and_b32_e32 v136, s48, v62
	s_or_b32 exec_lo, exec_lo, s34
	s_and_saveexec_b32 s34, s19
	s_cbranch_execz .LBB1010_533
.LBB1010_603:                           ;   in Loop: Header=BB1010_410 Depth=2
	ds_load_u16 v62, v94 offset:2048
	s_wait_dscnt 0x0
	v_lshrrev_b32_e32 v62, s43, v62
	s_delay_alu instid0(VALU_DEP_1)
	v_and_b32_e32 v135, s48, v62
	s_or_b32 exec_lo, exec_lo, s34
	s_and_saveexec_b32 s34, s20
	s_cbranch_execz .LBB1010_534
.LBB1010_604:                           ;   in Loop: Header=BB1010_410 Depth=2
	ds_load_u16 v62, v94 offset:2560
	s_wait_dscnt 0x0
	v_lshrrev_b32_e32 v62, s43, v62
	s_delay_alu instid0(VALU_DEP_1)
	v_and_b32_e32 v134, s48, v62
	s_or_b32 exec_lo, exec_lo, s34
	s_and_saveexec_b32 s34, s21
	s_cbranch_execz .LBB1010_535
.LBB1010_605:                           ;   in Loop: Header=BB1010_410 Depth=2
	ds_load_u16 v62, v94 offset:3072
	s_wait_dscnt 0x0
	v_lshrrev_b32_e32 v62, s43, v62
	s_delay_alu instid0(VALU_DEP_1)
	v_and_b32_e32 v133, s48, v62
	s_or_b32 exec_lo, exec_lo, s34
	s_and_saveexec_b32 s34, s22
	s_cbranch_execz .LBB1010_536
.LBB1010_606:                           ;   in Loop: Header=BB1010_410 Depth=2
	ds_load_u16 v62, v94 offset:3584
	s_wait_dscnt 0x0
	v_lshrrev_b32_e32 v62, s43, v62
	s_delay_alu instid0(VALU_DEP_1)
	v_and_b32_e32 v132, s48, v62
	s_or_b32 exec_lo, exec_lo, s34
	s_and_saveexec_b32 s34, s23
	s_cbranch_execz .LBB1010_537
.LBB1010_607:                           ;   in Loop: Header=BB1010_410 Depth=2
	ds_load_u16 v62, v94 offset:4096
	s_wait_dscnt 0x0
	v_lshrrev_b32_e32 v62, s43, v62
	s_delay_alu instid0(VALU_DEP_1)
	v_and_b32_e32 v131, s48, v62
	s_or_b32 exec_lo, exec_lo, s34
	s_and_saveexec_b32 s34, s24
	s_cbranch_execz .LBB1010_538
.LBB1010_608:                           ;   in Loop: Header=BB1010_410 Depth=2
	ds_load_u16 v62, v94 offset:4608
	s_wait_dscnt 0x0
	v_lshrrev_b32_e32 v62, s43, v62
	s_delay_alu instid0(VALU_DEP_1)
	v_and_b32_e32 v130, s48, v62
	s_or_b32 exec_lo, exec_lo, s34
	s_and_saveexec_b32 s34, s25
	s_cbranch_execz .LBB1010_539
.LBB1010_609:                           ;   in Loop: Header=BB1010_410 Depth=2
	ds_load_u16 v62, v94 offset:5120
	s_wait_dscnt 0x0
	v_lshrrev_b32_e32 v62, s43, v62
	s_delay_alu instid0(VALU_DEP_1)
	v_and_b32_e32 v129, s48, v62
	s_or_b32 exec_lo, exec_lo, s34
	s_and_saveexec_b32 s34, s26
	s_cbranch_execz .LBB1010_540
.LBB1010_610:                           ;   in Loop: Header=BB1010_410 Depth=2
	ds_load_u16 v62, v94 offset:5632
	s_wait_dscnt 0x0
	v_lshrrev_b32_e32 v62, s43, v62
	s_delay_alu instid0(VALU_DEP_1)
	v_and_b32_e32 v128, s48, v62
	s_or_b32 exec_lo, exec_lo, s34
	s_and_saveexec_b32 s34, s27
	s_cbranch_execz .LBB1010_541
.LBB1010_611:                           ;   in Loop: Header=BB1010_410 Depth=2
	ds_load_u16 v62, v94 offset:6144
	s_wait_dscnt 0x0
	v_lshrrev_b32_e32 v62, s43, v62
	s_delay_alu instid0(VALU_DEP_1)
	v_and_b32_e32 v127, s48, v62
	s_or_b32 exec_lo, exec_lo, s34
	s_and_saveexec_b32 s34, s28
	s_cbranch_execz .LBB1010_542
.LBB1010_612:                           ;   in Loop: Header=BB1010_410 Depth=2
	ds_load_u16 v62, v94 offset:6656
	s_wait_dscnt 0x0
	v_lshrrev_b32_e32 v62, s43, v62
	s_delay_alu instid0(VALU_DEP_1)
	v_and_b32_e32 v126, s48, v62
	s_or_b32 exec_lo, exec_lo, s34
	s_and_saveexec_b32 s34, s29
	s_cbranch_execz .LBB1010_543
.LBB1010_613:                           ;   in Loop: Header=BB1010_410 Depth=2
	ds_load_u16 v62, v94 offset:7168
	s_wait_dscnt 0x0
	v_lshrrev_b32_e32 v62, s43, v62
	s_delay_alu instid0(VALU_DEP_1)
	v_and_b32_e32 v125, s48, v62
	s_or_b32 exec_lo, exec_lo, s34
	s_and_saveexec_b32 s34, s30
	s_cbranch_execz .LBB1010_544
.LBB1010_614:                           ;   in Loop: Header=BB1010_410 Depth=2
	ds_load_u16 v62, v94 offset:7680
	s_wait_dscnt 0x0
	v_lshrrev_b32_e32 v62, s43, v62
	s_delay_alu instid0(VALU_DEP_1)
	v_and_b32_e32 v124, s48, v62
	s_or_b32 exec_lo, exec_lo, s34
	s_and_saveexec_b32 s34, s31
	s_cbranch_execz .LBB1010_545
.LBB1010_615:                           ;   in Loop: Header=BB1010_410 Depth=2
	ds_load_u16 v62, v94 offset:8192
	s_wait_dscnt 0x0
	v_lshrrev_b32_e32 v62, s43, v62
	s_delay_alu instid0(VALU_DEP_1)
	v_and_b32_e32 v123, s48, v62
	s_or_b32 exec_lo, exec_lo, s34
	s_and_saveexec_b32 s34, s33
	s_cbranch_execnz .LBB1010_546
	s_branch .LBB1010_547
.LBB1010_616:                           ;   in Loop: Header=BB1010_410 Depth=2
	v_lshlrev_b32_e32 v62, 2, v139
	v_add_nc_u32_e32 v63, v94, v95
	ds_load_b32 v64, v62
	ds_load_b64 v[62:63], v63 offset:512
	s_wait_dscnt 0x1
	v_add_nc_u32_e32 v64, v64, v2
	s_wait_dscnt 0x0
	global_store_b64 v64, v[62:63], s[46:47] scale_offset
	s_wait_xcnt 0x0
	s_or_b32 exec_lo, exec_lo, s34
	s_and_saveexec_b32 s34, s17
	s_cbranch_execz .LBB1010_549
.LBB1010_617:                           ;   in Loop: Header=BB1010_410 Depth=2
	v_dual_lshlrev_b32 v62, 2, v138 :: v_dual_add_nc_u32 v63, v94, v95
	ds_load_b32 v64, v62
	ds_load_b64 v[62:63], v63 offset:2560
	s_wait_dscnt 0x1
	v_add_nc_u32_e32 v64, v64, v66
	s_wait_dscnt 0x0
	global_store_b64 v64, v[62:63], s[46:47] scale_offset
	s_wait_xcnt 0x0
	s_or_b32 exec_lo, exec_lo, s34
	s_and_saveexec_b32 s17, s18
	s_cbranch_execz .LBB1010_550
.LBB1010_618:                           ;   in Loop: Header=BB1010_410 Depth=2
	v_dual_lshlrev_b32 v62, 2, v136 :: v_dual_add_nc_u32 v63, v94, v95
	ds_load_b32 v64, v62
	ds_load_b64 v[62:63], v63 offset:4608
	s_wait_dscnt 0x1
	v_add_nc_u32_e32 v64, v64, v67
	s_wait_dscnt 0x0
	global_store_b64 v64, v[62:63], s[46:47] scale_offset
	s_wait_xcnt 0x0
	s_or_b32 exec_lo, exec_lo, s17
	s_and_saveexec_b32 s17, s19
	s_cbranch_execz .LBB1010_551
.LBB1010_619:                           ;   in Loop: Header=BB1010_410 Depth=2
	v_lshlrev_b32_e32 v62, 2, v135
	v_add_nc_u32_e32 v63, v94, v95
	ds_load_b32 v64, v62
	ds_load_b64 v[62:63], v63 offset:6656
	s_wait_dscnt 0x1
	v_add_nc_u32_e32 v64, v64, v68
	s_wait_dscnt 0x0
	global_store_b64 v64, v[62:63], s[46:47] scale_offset
	s_wait_xcnt 0x0
	s_or_b32 exec_lo, exec_lo, s17
	s_and_saveexec_b32 s17, s20
	s_cbranch_execz .LBB1010_552
.LBB1010_620:                           ;   in Loop: Header=BB1010_410 Depth=2
	v_dual_lshlrev_b32 v62, 2, v134 :: v_dual_add_nc_u32 v63, v94, v95
	ds_load_b32 v64, v62
	ds_load_b64 v[62:63], v63 offset:8704
	s_wait_dscnt 0x1
	v_add_nc_u32_e32 v64, v64, v69
	s_wait_dscnt 0x0
	global_store_b64 v64, v[62:63], s[46:47] scale_offset
	s_wait_xcnt 0x0
	s_or_b32 exec_lo, exec_lo, s17
	s_and_saveexec_b32 s17, s21
	s_cbranch_execz .LBB1010_553
.LBB1010_621:                           ;   in Loop: Header=BB1010_410 Depth=2
	v_dual_lshlrev_b32 v62, 2, v133 :: v_dual_add_nc_u32 v63, v94, v95
	ds_load_b32 v64, v62
	ds_load_b64 v[62:63], v63 offset:10752
	s_wait_dscnt 0x1
	v_add_nc_u32_e32 v64, v64, v70
	s_wait_dscnt 0x0
	global_store_b64 v64, v[62:63], s[46:47] scale_offset
	s_wait_xcnt 0x0
	s_or_b32 exec_lo, exec_lo, s17
	s_and_saveexec_b32 s17, s22
	s_cbranch_execz .LBB1010_554
.LBB1010_622:                           ;   in Loop: Header=BB1010_410 Depth=2
	v_dual_lshlrev_b32 v62, 2, v132 :: v_dual_add_nc_u32 v63, v94, v95
	ds_load_b32 v64, v62
	ds_load_b64 v[62:63], v63 offset:12800
	s_wait_dscnt 0x1
	v_add_nc_u32_e32 v64, v64, v71
	s_wait_dscnt 0x0
	global_store_b64 v64, v[62:63], s[46:47] scale_offset
	s_wait_xcnt 0x0
	s_or_b32 exec_lo, exec_lo, s17
	s_and_saveexec_b32 s17, s23
	s_cbranch_execz .LBB1010_555
.LBB1010_623:                           ;   in Loop: Header=BB1010_410 Depth=2
	v_lshlrev_b32_e32 v62, 2, v131
	v_add_nc_u32_e32 v63, v94, v95
	ds_load_b32 v64, v62
	ds_load_b64 v[62:63], v63 offset:14848
	s_wait_dscnt 0x1
	v_add_nc_u32_e32 v64, v64, v72
	s_wait_dscnt 0x0
	global_store_b64 v64, v[62:63], s[46:47] scale_offset
	s_wait_xcnt 0x0
	s_or_b32 exec_lo, exec_lo, s17
	s_and_saveexec_b32 s17, s24
	s_cbranch_execz .LBB1010_556
.LBB1010_624:                           ;   in Loop: Header=BB1010_410 Depth=2
	v_dual_lshlrev_b32 v62, 2, v130 :: v_dual_add_nc_u32 v63, v94, v95
	ds_load_b32 v64, v62
	ds_load_b64 v[62:63], v63 offset:16896
	s_wait_dscnt 0x1
	v_add_nc_u32_e32 v64, v64, v73
	s_wait_dscnt 0x0
	global_store_b64 v64, v[62:63], s[46:47] scale_offset
	s_wait_xcnt 0x0
	s_or_b32 exec_lo, exec_lo, s17
	s_and_saveexec_b32 s17, s25
	s_cbranch_execz .LBB1010_557
.LBB1010_625:                           ;   in Loop: Header=BB1010_410 Depth=2
	v_dual_lshlrev_b32 v62, 2, v129 :: v_dual_add_nc_u32 v63, v94, v95
	ds_load_b32 v64, v62
	ds_load_b64 v[62:63], v63 offset:18944
	s_wait_dscnt 0x1
	v_add_nc_u32_e32 v64, v64, v74
	s_wait_dscnt 0x0
	global_store_b64 v64, v[62:63], s[46:47] scale_offset
	s_wait_xcnt 0x0
	s_or_b32 exec_lo, exec_lo, s17
	s_and_saveexec_b32 s17, s26
	s_cbranch_execz .LBB1010_558
.LBB1010_626:                           ;   in Loop: Header=BB1010_410 Depth=2
	v_dual_lshlrev_b32 v62, 2, v128 :: v_dual_add_nc_u32 v63, v94, v95
	ds_load_b32 v64, v62
	ds_load_b64 v[62:63], v63 offset:20992
	s_wait_dscnt 0x1
	v_add_nc_u32_e32 v64, v64, v75
	s_wait_dscnt 0x0
	global_store_b64 v64, v[62:63], s[46:47] scale_offset
	s_wait_xcnt 0x0
	s_or_b32 exec_lo, exec_lo, s17
	s_and_saveexec_b32 s17, s27
	s_cbranch_execz .LBB1010_559
.LBB1010_627:                           ;   in Loop: Header=BB1010_410 Depth=2
	v_lshlrev_b32_e32 v62, 2, v127
	v_add_nc_u32_e32 v63, v94, v95
	ds_load_b32 v64, v62
	ds_load_b64 v[62:63], v63 offset:23040
	s_wait_dscnt 0x1
	v_add_nc_u32_e32 v64, v64, v76
	s_wait_dscnt 0x0
	global_store_b64 v64, v[62:63], s[46:47] scale_offset
	s_wait_xcnt 0x0
	s_or_b32 exec_lo, exec_lo, s17
	s_and_saveexec_b32 s17, s28
	s_cbranch_execz .LBB1010_560
.LBB1010_628:                           ;   in Loop: Header=BB1010_410 Depth=2
	v_dual_lshlrev_b32 v62, 2, v126 :: v_dual_add_nc_u32 v63, v94, v95
	ds_load_b32 v64, v62
	ds_load_b64 v[62:63], v63 offset:25088
	s_wait_dscnt 0x1
	v_add_nc_u32_e32 v64, v64, v77
	s_wait_dscnt 0x0
	global_store_b64 v64, v[62:63], s[46:47] scale_offset
	s_wait_xcnt 0x0
	s_or_b32 exec_lo, exec_lo, s17
	s_and_saveexec_b32 s17, s29
	s_cbranch_execz .LBB1010_561
.LBB1010_629:                           ;   in Loop: Header=BB1010_410 Depth=2
	v_dual_lshlrev_b32 v62, 2, v125 :: v_dual_add_nc_u32 v63, v94, v95
	ds_load_b32 v64, v62
	ds_load_b64 v[62:63], v63 offset:27136
	s_wait_dscnt 0x1
	v_add_nc_u32_e32 v64, v64, v78
	s_wait_dscnt 0x0
	global_store_b64 v64, v[62:63], s[46:47] scale_offset
	s_wait_xcnt 0x0
	s_or_b32 exec_lo, exec_lo, s17
	s_and_saveexec_b32 s17, s30
	s_cbranch_execz .LBB1010_562
.LBB1010_630:                           ;   in Loop: Header=BB1010_410 Depth=2
	v_dual_lshlrev_b32 v62, 2, v124 :: v_dual_add_nc_u32 v63, v94, v95
	ds_load_b32 v64, v62
	ds_load_b64 v[62:63], v63 offset:29184
	s_wait_dscnt 0x1
	v_add_nc_u32_e32 v64, v64, v79
	s_wait_dscnt 0x0
	global_store_b64 v64, v[62:63], s[46:47] scale_offset
	s_wait_xcnt 0x0
	s_or_b32 exec_lo, exec_lo, s17
	s_and_saveexec_b32 s17, s31
	s_cbranch_execz .LBB1010_563
.LBB1010_631:                           ;   in Loop: Header=BB1010_410 Depth=2
	v_lshlrev_b32_e32 v62, 2, v123
	v_add_nc_u32_e32 v63, v94, v95
	ds_load_b32 v64, v62
	ds_load_b64 v[62:63], v63 offset:31232
	s_wait_dscnt 0x1
	v_add_nc_u32_e32 v64, v64, v80
	s_wait_dscnt 0x0
	global_store_b64 v64, v[62:63], s[46:47] scale_offset
	s_wait_xcnt 0x0
	s_or_b32 exec_lo, exec_lo, s17
	s_and_saveexec_b32 s17, s33
	s_cbranch_execnz .LBB1010_564
	s_branch .LBB1010_565
.LBB1010_632:                           ;   in Loop: Header=BB1010_12 Depth=1
	s_wait_dscnt 0x0
	s_barrier_signal -1
	s_barrier_wait -1
.LBB1010_633:                           ;   in Loop: Header=BB1010_12 Depth=1
	s_mov_b32 s9, 0
.LBB1010_634:                           ;   in Loop: Header=BB1010_12 Depth=1
	s_delay_alu instid0(SALU_CYCLE_1)
	s_and_not1_b32 vcc_lo, exec_lo, s9
	s_cbranch_vccnz .LBB1010_11
; %bb.635:                              ;   in Loop: Header=BB1010_12 Depth=1
	s_and_b32 vcc_lo, exec_lo, s56
	s_mov_b32 s9, -1
	s_cbranch_vccz .LBB1010_945
; %bb.636:                              ;   in Loop: Header=BB1010_12 Depth=1
	s_mov_b32 s9, s57
	s_mov_b32 s34, s55
	s_barrier_signal -1
	s_barrier_wait -1
                                        ; implicit-def: $vgpr23
                                        ; implicit-def: $vgpr24
                                        ; implicit-def: $vgpr25
                                        ; implicit-def: $vgpr26
                                        ; implicit-def: $vgpr27
                                        ; implicit-def: $vgpr28
                                        ; implicit-def: $vgpr29
                                        ; implicit-def: $vgpr30
                                        ; implicit-def: $vgpr31
                                        ; implicit-def: $vgpr32
                                        ; implicit-def: $vgpr33
                                        ; implicit-def: $vgpr34
                                        ; implicit-def: $vgpr35
                                        ; implicit-def: $vgpr36
                                        ; implicit-def: $vgpr37
                                        ; implicit-def: $vgpr38
                                        ; implicit-def: $vgpr39
	s_branch .LBB1010_638
.LBB1010_637:                           ;   in Loop: Header=BB1010_638 Depth=2
	s_or_b32 exec_lo, exec_lo, s10
	s_addk_co_i32 s9, 0xef00
	s_cmp_ge_u32 s12, s54
	s_mov_b32 s34, s12
	s_cbranch_scc1 .LBB1010_710
.LBB1010_638:                           ;   Parent Loop BB1010_12 Depth=1
                                        ; =>  This Inner Loop Header: Depth=2
	s_add_co_i32 s12, s34, 0x1100
	s_mov_b32 s10, -1
	s_cmp_gt_u32 s12, s54
                                        ; implicit-def: $vgpr40
                                        ; implicit-def: $vgpr41
                                        ; implicit-def: $vgpr42
                                        ; implicit-def: $vgpr43
                                        ; implicit-def: $vgpr44
                                        ; implicit-def: $vgpr45
                                        ; implicit-def: $vgpr46
                                        ; implicit-def: $vgpr47
                                        ; implicit-def: $vgpr48
                                        ; implicit-def: $vgpr49
                                        ; implicit-def: $vgpr50
                                        ; implicit-def: $vgpr51
                                        ; implicit-def: $vgpr52
                                        ; implicit-def: $vgpr53
                                        ; implicit-def: $vgpr54
                                        ; implicit-def: $vgpr55
                                        ; implicit-def: $vgpr56
	s_cbranch_scc1 .LBB1010_640
; %bb.639:                              ;   in Loop: Header=BB1010_638 Depth=2
	v_lshl_add_u64 v[58:59], s[34:35], 1, v[16:17]
	s_mov_b32 s10, 0
	s_clause 0x10
	global_load_u16 v40, v[58:59], off
	global_load_u16 v41, v[58:59], off offset:512
	global_load_u16 v42, v[58:59], off offset:1024
	;; [unrolled: 1-line block ×16, first 2 shown]
.LBB1010_640:                           ;   in Loop: Header=BB1010_638 Depth=2
	s_and_not1_b32 vcc_lo, exec_lo, s10
	s_movk_i32 s10, 0x1100
	s_cbranch_vccnz .LBB1010_660
; %bb.641:                              ;   in Loop: Header=BB1010_638 Depth=2
	s_lshl_b64 s[10:11], s[34:35], 1
	s_mov_b32 s13, exec_lo
	s_add_nc_u64 s[10:11], s[36:37], s[10:11]
	s_wait_xcnt 0x0
	v_cmpx_gt_u32_e64 s9, v2
	s_cbranch_execnz .LBB1010_694
; %bb.642:                              ;   in Loop: Header=BB1010_638 Depth=2
	s_or_b32 exec_lo, exec_lo, s13
	s_delay_alu instid0(SALU_CYCLE_1)
	s_mov_b32 s13, exec_lo
	v_cmpx_gt_u32_e64 s9, v66
	s_cbranch_execnz .LBB1010_695
.LBB1010_643:                           ;   in Loop: Header=BB1010_638 Depth=2
	s_or_b32 exec_lo, exec_lo, s13
	s_delay_alu instid0(SALU_CYCLE_1)
	s_mov_b32 s13, exec_lo
	v_cmpx_gt_u32_e64 s9, v67
	s_cbranch_execnz .LBB1010_696
.LBB1010_644:                           ;   in Loop: Header=BB1010_638 Depth=2
	s_or_b32 exec_lo, exec_lo, s13
	s_delay_alu instid0(SALU_CYCLE_1)
	s_mov_b32 s13, exec_lo
	v_cmpx_gt_u32_e64 s9, v68
	s_cbranch_execnz .LBB1010_697
.LBB1010_645:                           ;   in Loop: Header=BB1010_638 Depth=2
	s_or_b32 exec_lo, exec_lo, s13
	s_delay_alu instid0(SALU_CYCLE_1)
	s_mov_b32 s13, exec_lo
	v_cmpx_gt_u32_e64 s9, v69
	s_cbranch_execnz .LBB1010_698
.LBB1010_646:                           ;   in Loop: Header=BB1010_638 Depth=2
	s_or_b32 exec_lo, exec_lo, s13
	s_delay_alu instid0(SALU_CYCLE_1)
	s_mov_b32 s13, exec_lo
	v_cmpx_gt_u32_e64 s9, v70
	s_cbranch_execnz .LBB1010_699
.LBB1010_647:                           ;   in Loop: Header=BB1010_638 Depth=2
	s_or_b32 exec_lo, exec_lo, s13
	s_delay_alu instid0(SALU_CYCLE_1)
	s_mov_b32 s13, exec_lo
	v_cmpx_gt_u32_e64 s9, v71
	s_cbranch_execnz .LBB1010_700
.LBB1010_648:                           ;   in Loop: Header=BB1010_638 Depth=2
	s_or_b32 exec_lo, exec_lo, s13
	s_delay_alu instid0(SALU_CYCLE_1)
	s_mov_b32 s13, exec_lo
	v_cmpx_gt_u32_e64 s9, v72
	s_cbranch_execnz .LBB1010_701
.LBB1010_649:                           ;   in Loop: Header=BB1010_638 Depth=2
	s_or_b32 exec_lo, exec_lo, s13
	s_delay_alu instid0(SALU_CYCLE_1)
	s_mov_b32 s13, exec_lo
	v_cmpx_gt_u32_e64 s9, v73
	s_cbranch_execnz .LBB1010_702
.LBB1010_650:                           ;   in Loop: Header=BB1010_638 Depth=2
	s_or_b32 exec_lo, exec_lo, s13
	s_delay_alu instid0(SALU_CYCLE_1)
	s_mov_b32 s13, exec_lo
	v_cmpx_gt_u32_e64 s9, v74
	s_cbranch_execnz .LBB1010_703
.LBB1010_651:                           ;   in Loop: Header=BB1010_638 Depth=2
	s_or_b32 exec_lo, exec_lo, s13
	s_delay_alu instid0(SALU_CYCLE_1)
	s_mov_b32 s13, exec_lo
	v_cmpx_gt_u32_e64 s9, v75
	s_cbranch_execnz .LBB1010_704
.LBB1010_652:                           ;   in Loop: Header=BB1010_638 Depth=2
	s_or_b32 exec_lo, exec_lo, s13
	s_delay_alu instid0(SALU_CYCLE_1)
	s_mov_b32 s13, exec_lo
	v_cmpx_gt_u32_e64 s9, v76
	s_cbranch_execnz .LBB1010_705
.LBB1010_653:                           ;   in Loop: Header=BB1010_638 Depth=2
	s_or_b32 exec_lo, exec_lo, s13
	s_delay_alu instid0(SALU_CYCLE_1)
	s_mov_b32 s13, exec_lo
	v_cmpx_gt_u32_e64 s9, v77
	s_cbranch_execnz .LBB1010_706
.LBB1010_654:                           ;   in Loop: Header=BB1010_638 Depth=2
	s_or_b32 exec_lo, exec_lo, s13
	s_delay_alu instid0(SALU_CYCLE_1)
	s_mov_b32 s13, exec_lo
	v_cmpx_gt_u32_e64 s9, v78
	s_cbranch_execnz .LBB1010_707
.LBB1010_655:                           ;   in Loop: Header=BB1010_638 Depth=2
	s_or_b32 exec_lo, exec_lo, s13
	s_delay_alu instid0(SALU_CYCLE_1)
	s_mov_b32 s13, exec_lo
	v_cmpx_gt_u32_e64 s9, v79
	s_cbranch_execnz .LBB1010_708
.LBB1010_656:                           ;   in Loop: Header=BB1010_638 Depth=2
	s_or_b32 exec_lo, exec_lo, s13
	s_delay_alu instid0(SALU_CYCLE_1)
	s_mov_b32 s13, exec_lo
	v_cmpx_gt_u32_e64 s9, v80
	s_cbranch_execnz .LBB1010_709
.LBB1010_657:                           ;   in Loop: Header=BB1010_638 Depth=2
	s_or_b32 exec_lo, exec_lo, s13
	s_delay_alu instid0(SALU_CYCLE_1)
	s_mov_b32 s13, exec_lo
	v_cmpx_gt_u32_e64 s9, v81
	s_cbranch_execz .LBB1010_659
.LBB1010_658:                           ;   in Loop: Header=BB1010_638 Depth=2
	global_load_u16 v23, v2, s[10:11] offset:8192 scale_offset
.LBB1010_659:                           ;   in Loop: Header=BB1010_638 Depth=2
	s_wait_xcnt 0x0
	s_or_b32 exec_lo, exec_lo, s13
	s_wait_loadcnt 0x0
	v_dual_mov_b32 v40, v39 :: v_dual_mov_b32 v41, v38
	v_dual_mov_b32 v42, v37 :: v_dual_mov_b32 v43, v36
	;; [unrolled: 1-line block ×8, first 2 shown]
	v_mov_b32_e32 v56, v23
	s_mov_b32 s10, s9
.LBB1010_660:                           ;   in Loop: Header=BB1010_638 Depth=2
	s_wait_loadcnt 0x0
	s_delay_alu instid0(VALU_DEP_1)
	v_dual_mov_b32 v23, v56 :: v_dual_mov_b32 v24, v55
	v_dual_mov_b32 v25, v54 :: v_dual_mov_b32 v26, v53
	;; [unrolled: 1-line block ×8, first 2 shown]
	v_mov_b32_e32 v39, v40
	s_mov_b32 s11, exec_lo
	s_wait_xcnt 0x0
	v_cmpx_gt_u32_e64 s10, v2
	s_cbranch_execnz .LBB1010_677
; %bb.661:                              ;   in Loop: Header=BB1010_638 Depth=2
	s_or_b32 exec_lo, exec_lo, s11
	s_delay_alu instid0(SALU_CYCLE_1)
	s_mov_b32 s11, exec_lo
	v_cmpx_gt_u32_e64 s10, v66
	s_cbranch_execnz .LBB1010_678
.LBB1010_662:                           ;   in Loop: Header=BB1010_638 Depth=2
	s_or_b32 exec_lo, exec_lo, s11
	s_delay_alu instid0(SALU_CYCLE_1)
	s_mov_b32 s11, exec_lo
	v_cmpx_gt_u32_e64 s10, v67
	s_cbranch_execnz .LBB1010_679
.LBB1010_663:                           ;   in Loop: Header=BB1010_638 Depth=2
	s_or_b32 exec_lo, exec_lo, s11
	s_delay_alu instid0(SALU_CYCLE_1)
	s_mov_b32 s11, exec_lo
	v_cmpx_gt_u32_e64 s10, v68
	s_cbranch_execnz .LBB1010_680
.LBB1010_664:                           ;   in Loop: Header=BB1010_638 Depth=2
	s_or_b32 exec_lo, exec_lo, s11
	s_delay_alu instid0(SALU_CYCLE_1)
	s_mov_b32 s11, exec_lo
	v_cmpx_gt_u32_e64 s10, v69
	s_cbranch_execnz .LBB1010_681
.LBB1010_665:                           ;   in Loop: Header=BB1010_638 Depth=2
	s_or_b32 exec_lo, exec_lo, s11
	s_delay_alu instid0(SALU_CYCLE_1)
	s_mov_b32 s11, exec_lo
	v_cmpx_gt_u32_e64 s10, v70
	s_cbranch_execnz .LBB1010_682
.LBB1010_666:                           ;   in Loop: Header=BB1010_638 Depth=2
	s_or_b32 exec_lo, exec_lo, s11
	s_delay_alu instid0(SALU_CYCLE_1)
	s_mov_b32 s11, exec_lo
	v_cmpx_gt_u32_e64 s10, v71
	s_cbranch_execnz .LBB1010_683
.LBB1010_667:                           ;   in Loop: Header=BB1010_638 Depth=2
	s_or_b32 exec_lo, exec_lo, s11
	s_delay_alu instid0(SALU_CYCLE_1)
	s_mov_b32 s11, exec_lo
	v_cmpx_gt_u32_e64 s10, v72
	s_cbranch_execnz .LBB1010_684
.LBB1010_668:                           ;   in Loop: Header=BB1010_638 Depth=2
	s_or_b32 exec_lo, exec_lo, s11
	s_delay_alu instid0(SALU_CYCLE_1)
	s_mov_b32 s11, exec_lo
	v_cmpx_gt_u32_e64 s10, v73
	s_cbranch_execnz .LBB1010_685
.LBB1010_669:                           ;   in Loop: Header=BB1010_638 Depth=2
	s_or_b32 exec_lo, exec_lo, s11
	s_delay_alu instid0(SALU_CYCLE_1)
	s_mov_b32 s11, exec_lo
	v_cmpx_gt_u32_e64 s10, v74
	s_cbranch_execnz .LBB1010_686
.LBB1010_670:                           ;   in Loop: Header=BB1010_638 Depth=2
	s_or_b32 exec_lo, exec_lo, s11
	s_delay_alu instid0(SALU_CYCLE_1)
	s_mov_b32 s11, exec_lo
	v_cmpx_gt_u32_e64 s10, v75
	s_cbranch_execnz .LBB1010_687
.LBB1010_671:                           ;   in Loop: Header=BB1010_638 Depth=2
	s_or_b32 exec_lo, exec_lo, s11
	s_delay_alu instid0(SALU_CYCLE_1)
	s_mov_b32 s11, exec_lo
	v_cmpx_gt_u32_e64 s10, v76
	s_cbranch_execnz .LBB1010_688
.LBB1010_672:                           ;   in Loop: Header=BB1010_638 Depth=2
	s_or_b32 exec_lo, exec_lo, s11
	s_delay_alu instid0(SALU_CYCLE_1)
	s_mov_b32 s11, exec_lo
	v_cmpx_gt_u32_e64 s10, v77
	s_cbranch_execnz .LBB1010_689
.LBB1010_673:                           ;   in Loop: Header=BB1010_638 Depth=2
	s_or_b32 exec_lo, exec_lo, s11
	s_delay_alu instid0(SALU_CYCLE_1)
	s_mov_b32 s11, exec_lo
	v_cmpx_gt_u32_e64 s10, v78
	s_cbranch_execnz .LBB1010_690
.LBB1010_674:                           ;   in Loop: Header=BB1010_638 Depth=2
	s_or_b32 exec_lo, exec_lo, s11
	s_delay_alu instid0(SALU_CYCLE_1)
	s_mov_b32 s11, exec_lo
	v_cmpx_gt_u32_e64 s10, v79
	s_cbranch_execnz .LBB1010_691
.LBB1010_675:                           ;   in Loop: Header=BB1010_638 Depth=2
	s_or_b32 exec_lo, exec_lo, s11
	s_delay_alu instid0(SALU_CYCLE_1)
	s_mov_b32 s11, exec_lo
	v_cmpx_gt_u32_e64 s10, v80
	s_cbranch_execnz .LBB1010_692
.LBB1010_676:                           ;   in Loop: Header=BB1010_638 Depth=2
	s_or_b32 exec_lo, exec_lo, s11
	v_cmp_gt_u32_e32 vcc_lo, s10, v81
	s_and_saveexec_b32 s10, vcc_lo
	s_cbranch_execz .LBB1010_637
	s_branch .LBB1010_693
.LBB1010_677:                           ;   in Loop: Header=BB1010_638 Depth=2
	v_xor_b32_e32 v40, 0xffff8000, v39
	s_delay_alu instid0(VALU_DEP_1) | instskip(NEXT) | instid1(VALU_DEP_1)
	v_and_b32_e32 v40, 0xffff, v40
	v_lshrrev_b32_e32 v40, s49, v40
	s_delay_alu instid0(VALU_DEP_1) | instskip(NEXT) | instid1(VALU_DEP_1)
	v_and_b32_e32 v40, s48, v40
	v_lshl_or_b32 v40, v40, 4, v83
	ds_add_u32 v40, v97
	s_or_b32 exec_lo, exec_lo, s11
	s_delay_alu instid0(SALU_CYCLE_1)
	s_mov_b32 s11, exec_lo
	v_cmpx_gt_u32_e64 s10, v66
	s_cbranch_execz .LBB1010_662
.LBB1010_678:                           ;   in Loop: Header=BB1010_638 Depth=2
	v_xor_b32_e32 v40, 0xffff8000, v38
	s_delay_alu instid0(VALU_DEP_1) | instskip(NEXT) | instid1(VALU_DEP_1)
	v_and_b32_e32 v40, 0xffff, v40
	v_lshrrev_b32_e32 v40, s49, v40
	s_delay_alu instid0(VALU_DEP_1) | instskip(NEXT) | instid1(VALU_DEP_1)
	v_and_b32_e32 v40, s48, v40
	v_lshl_or_b32 v40, v40, 4, v83
	ds_add_u32 v40, v97
	s_or_b32 exec_lo, exec_lo, s11
	s_delay_alu instid0(SALU_CYCLE_1)
	s_mov_b32 s11, exec_lo
	v_cmpx_gt_u32_e64 s10, v67
	s_cbranch_execz .LBB1010_663
.LBB1010_679:                           ;   in Loop: Header=BB1010_638 Depth=2
	v_xor_b32_e32 v40, 0xffff8000, v37
	s_delay_alu instid0(VALU_DEP_1) | instskip(NEXT) | instid1(VALU_DEP_1)
	v_and_b32_e32 v40, 0xffff, v40
	v_lshrrev_b32_e32 v40, s49, v40
	s_delay_alu instid0(VALU_DEP_1) | instskip(NEXT) | instid1(VALU_DEP_1)
	v_and_b32_e32 v40, s48, v40
	v_lshl_or_b32 v40, v40, 4, v83
	ds_add_u32 v40, v97
	s_or_b32 exec_lo, exec_lo, s11
	s_delay_alu instid0(SALU_CYCLE_1)
	s_mov_b32 s11, exec_lo
	v_cmpx_gt_u32_e64 s10, v68
	s_cbranch_execz .LBB1010_664
.LBB1010_680:                           ;   in Loop: Header=BB1010_638 Depth=2
	v_xor_b32_e32 v40, 0xffff8000, v36
	s_delay_alu instid0(VALU_DEP_1) | instskip(NEXT) | instid1(VALU_DEP_1)
	v_and_b32_e32 v40, 0xffff, v40
	v_lshrrev_b32_e32 v40, s49, v40
	s_delay_alu instid0(VALU_DEP_1) | instskip(NEXT) | instid1(VALU_DEP_1)
	v_and_b32_e32 v40, s48, v40
	v_lshl_or_b32 v40, v40, 4, v83
	ds_add_u32 v40, v97
	s_or_b32 exec_lo, exec_lo, s11
	s_delay_alu instid0(SALU_CYCLE_1)
	s_mov_b32 s11, exec_lo
	v_cmpx_gt_u32_e64 s10, v69
	s_cbranch_execz .LBB1010_665
.LBB1010_681:                           ;   in Loop: Header=BB1010_638 Depth=2
	v_xor_b32_e32 v40, 0xffff8000, v35
	s_delay_alu instid0(VALU_DEP_1) | instskip(NEXT) | instid1(VALU_DEP_1)
	v_and_b32_e32 v40, 0xffff, v40
	v_lshrrev_b32_e32 v40, s49, v40
	s_delay_alu instid0(VALU_DEP_1) | instskip(NEXT) | instid1(VALU_DEP_1)
	v_and_b32_e32 v40, s48, v40
	v_lshl_or_b32 v40, v40, 4, v83
	ds_add_u32 v40, v97
	s_or_b32 exec_lo, exec_lo, s11
	s_delay_alu instid0(SALU_CYCLE_1)
	s_mov_b32 s11, exec_lo
	v_cmpx_gt_u32_e64 s10, v70
	s_cbranch_execz .LBB1010_666
.LBB1010_682:                           ;   in Loop: Header=BB1010_638 Depth=2
	v_xor_b32_e32 v40, 0xffff8000, v34
	s_delay_alu instid0(VALU_DEP_1) | instskip(NEXT) | instid1(VALU_DEP_1)
	v_and_b32_e32 v40, 0xffff, v40
	v_lshrrev_b32_e32 v40, s49, v40
	s_delay_alu instid0(VALU_DEP_1) | instskip(NEXT) | instid1(VALU_DEP_1)
	v_and_b32_e32 v40, s48, v40
	v_lshl_or_b32 v40, v40, 4, v83
	ds_add_u32 v40, v97
	s_or_b32 exec_lo, exec_lo, s11
	s_delay_alu instid0(SALU_CYCLE_1)
	s_mov_b32 s11, exec_lo
	v_cmpx_gt_u32_e64 s10, v71
	s_cbranch_execz .LBB1010_667
.LBB1010_683:                           ;   in Loop: Header=BB1010_638 Depth=2
	v_xor_b32_e32 v40, 0xffff8000, v33
	s_delay_alu instid0(VALU_DEP_1) | instskip(NEXT) | instid1(VALU_DEP_1)
	v_and_b32_e32 v40, 0xffff, v40
	v_lshrrev_b32_e32 v40, s49, v40
	s_delay_alu instid0(VALU_DEP_1) | instskip(NEXT) | instid1(VALU_DEP_1)
	v_and_b32_e32 v40, s48, v40
	v_lshl_or_b32 v40, v40, 4, v83
	ds_add_u32 v40, v97
	s_or_b32 exec_lo, exec_lo, s11
	s_delay_alu instid0(SALU_CYCLE_1)
	s_mov_b32 s11, exec_lo
	v_cmpx_gt_u32_e64 s10, v72
	s_cbranch_execz .LBB1010_668
.LBB1010_684:                           ;   in Loop: Header=BB1010_638 Depth=2
	v_xor_b32_e32 v40, 0xffff8000, v32
	s_delay_alu instid0(VALU_DEP_1) | instskip(NEXT) | instid1(VALU_DEP_1)
	v_and_b32_e32 v40, 0xffff, v40
	v_lshrrev_b32_e32 v40, s49, v40
	s_delay_alu instid0(VALU_DEP_1) | instskip(NEXT) | instid1(VALU_DEP_1)
	v_and_b32_e32 v40, s48, v40
	v_lshl_or_b32 v40, v40, 4, v83
	ds_add_u32 v40, v97
	s_or_b32 exec_lo, exec_lo, s11
	s_delay_alu instid0(SALU_CYCLE_1)
	s_mov_b32 s11, exec_lo
	v_cmpx_gt_u32_e64 s10, v73
	s_cbranch_execz .LBB1010_669
.LBB1010_685:                           ;   in Loop: Header=BB1010_638 Depth=2
	v_xor_b32_e32 v40, 0xffff8000, v31
	s_delay_alu instid0(VALU_DEP_1) | instskip(NEXT) | instid1(VALU_DEP_1)
	v_and_b32_e32 v40, 0xffff, v40
	v_lshrrev_b32_e32 v40, s49, v40
	s_delay_alu instid0(VALU_DEP_1) | instskip(NEXT) | instid1(VALU_DEP_1)
	v_and_b32_e32 v40, s48, v40
	v_lshl_or_b32 v40, v40, 4, v83
	ds_add_u32 v40, v97
	s_or_b32 exec_lo, exec_lo, s11
	s_delay_alu instid0(SALU_CYCLE_1)
	s_mov_b32 s11, exec_lo
	v_cmpx_gt_u32_e64 s10, v74
	s_cbranch_execz .LBB1010_670
.LBB1010_686:                           ;   in Loop: Header=BB1010_638 Depth=2
	v_xor_b32_e32 v40, 0xffff8000, v30
	s_delay_alu instid0(VALU_DEP_1) | instskip(NEXT) | instid1(VALU_DEP_1)
	v_and_b32_e32 v40, 0xffff, v40
	v_lshrrev_b32_e32 v40, s49, v40
	s_delay_alu instid0(VALU_DEP_1) | instskip(NEXT) | instid1(VALU_DEP_1)
	v_and_b32_e32 v40, s48, v40
	v_lshl_or_b32 v40, v40, 4, v83
	ds_add_u32 v40, v97
	s_or_b32 exec_lo, exec_lo, s11
	s_delay_alu instid0(SALU_CYCLE_1)
	s_mov_b32 s11, exec_lo
	v_cmpx_gt_u32_e64 s10, v75
	s_cbranch_execz .LBB1010_671
.LBB1010_687:                           ;   in Loop: Header=BB1010_638 Depth=2
	v_xor_b32_e32 v40, 0xffff8000, v29
	s_delay_alu instid0(VALU_DEP_1) | instskip(NEXT) | instid1(VALU_DEP_1)
	v_and_b32_e32 v40, 0xffff, v40
	v_lshrrev_b32_e32 v40, s49, v40
	s_delay_alu instid0(VALU_DEP_1) | instskip(NEXT) | instid1(VALU_DEP_1)
	v_and_b32_e32 v40, s48, v40
	v_lshl_or_b32 v40, v40, 4, v83
	ds_add_u32 v40, v97
	s_or_b32 exec_lo, exec_lo, s11
	s_delay_alu instid0(SALU_CYCLE_1)
	s_mov_b32 s11, exec_lo
	v_cmpx_gt_u32_e64 s10, v76
	s_cbranch_execz .LBB1010_672
.LBB1010_688:                           ;   in Loop: Header=BB1010_638 Depth=2
	v_xor_b32_e32 v40, 0xffff8000, v28
	s_delay_alu instid0(VALU_DEP_1) | instskip(NEXT) | instid1(VALU_DEP_1)
	v_and_b32_e32 v40, 0xffff, v40
	v_lshrrev_b32_e32 v40, s49, v40
	s_delay_alu instid0(VALU_DEP_1) | instskip(NEXT) | instid1(VALU_DEP_1)
	v_and_b32_e32 v40, s48, v40
	v_lshl_or_b32 v40, v40, 4, v83
	ds_add_u32 v40, v97
	s_or_b32 exec_lo, exec_lo, s11
	s_delay_alu instid0(SALU_CYCLE_1)
	s_mov_b32 s11, exec_lo
	v_cmpx_gt_u32_e64 s10, v77
	s_cbranch_execz .LBB1010_673
.LBB1010_689:                           ;   in Loop: Header=BB1010_638 Depth=2
	v_xor_b32_e32 v40, 0xffff8000, v27
	s_delay_alu instid0(VALU_DEP_1) | instskip(NEXT) | instid1(VALU_DEP_1)
	v_and_b32_e32 v40, 0xffff, v40
	v_lshrrev_b32_e32 v40, s49, v40
	s_delay_alu instid0(VALU_DEP_1) | instskip(NEXT) | instid1(VALU_DEP_1)
	v_and_b32_e32 v40, s48, v40
	v_lshl_or_b32 v40, v40, 4, v83
	ds_add_u32 v40, v97
	s_or_b32 exec_lo, exec_lo, s11
	s_delay_alu instid0(SALU_CYCLE_1)
	s_mov_b32 s11, exec_lo
	v_cmpx_gt_u32_e64 s10, v78
	s_cbranch_execz .LBB1010_674
.LBB1010_690:                           ;   in Loop: Header=BB1010_638 Depth=2
	v_xor_b32_e32 v40, 0xffff8000, v26
	s_delay_alu instid0(VALU_DEP_1) | instskip(NEXT) | instid1(VALU_DEP_1)
	v_and_b32_e32 v40, 0xffff, v40
	v_lshrrev_b32_e32 v40, s49, v40
	s_delay_alu instid0(VALU_DEP_1) | instskip(NEXT) | instid1(VALU_DEP_1)
	v_and_b32_e32 v40, s48, v40
	v_lshl_or_b32 v40, v40, 4, v83
	ds_add_u32 v40, v97
	s_or_b32 exec_lo, exec_lo, s11
	s_delay_alu instid0(SALU_CYCLE_1)
	s_mov_b32 s11, exec_lo
	v_cmpx_gt_u32_e64 s10, v79
	s_cbranch_execz .LBB1010_675
.LBB1010_691:                           ;   in Loop: Header=BB1010_638 Depth=2
	v_xor_b32_e32 v40, 0xffff8000, v25
	s_delay_alu instid0(VALU_DEP_1) | instskip(NEXT) | instid1(VALU_DEP_1)
	v_and_b32_e32 v40, 0xffff, v40
	v_lshrrev_b32_e32 v40, s49, v40
	s_delay_alu instid0(VALU_DEP_1) | instskip(NEXT) | instid1(VALU_DEP_1)
	v_and_b32_e32 v40, s48, v40
	v_lshl_or_b32 v40, v40, 4, v83
	ds_add_u32 v40, v97
	s_or_b32 exec_lo, exec_lo, s11
	s_delay_alu instid0(SALU_CYCLE_1)
	s_mov_b32 s11, exec_lo
	v_cmpx_gt_u32_e64 s10, v80
	s_cbranch_execz .LBB1010_676
.LBB1010_692:                           ;   in Loop: Header=BB1010_638 Depth=2
	v_xor_b32_e32 v40, 0xffff8000, v24
	s_delay_alu instid0(VALU_DEP_1) | instskip(NEXT) | instid1(VALU_DEP_1)
	v_and_b32_e32 v40, 0xffff, v40
	v_lshrrev_b32_e32 v40, s49, v40
	s_delay_alu instid0(VALU_DEP_1) | instskip(NEXT) | instid1(VALU_DEP_1)
	v_and_b32_e32 v40, s48, v40
	v_lshl_or_b32 v40, v40, 4, v83
	ds_add_u32 v40, v97
	s_or_b32 exec_lo, exec_lo, s11
	v_cmp_gt_u32_e32 vcc_lo, s10, v81
	s_and_saveexec_b32 s10, vcc_lo
	s_cbranch_execz .LBB1010_637
.LBB1010_693:                           ;   in Loop: Header=BB1010_638 Depth=2
	v_xor_b32_e32 v40, 0xffff8000, v23
	s_delay_alu instid0(VALU_DEP_1) | instskip(NEXT) | instid1(VALU_DEP_1)
	v_and_b32_e32 v40, 0xffff, v40
	v_lshrrev_b32_e32 v40, s49, v40
	s_delay_alu instid0(VALU_DEP_1) | instskip(NEXT) | instid1(VALU_DEP_1)
	v_and_b32_e32 v40, s48, v40
	v_lshl_or_b32 v40, v40, 4, v83
	ds_add_u32 v40, v97
	s_branch .LBB1010_637
.LBB1010_694:                           ;   in Loop: Header=BB1010_638 Depth=2
	global_load_u16 v39, v2, s[10:11] scale_offset
	s_wait_xcnt 0x0
	s_or_b32 exec_lo, exec_lo, s13
	s_delay_alu instid0(SALU_CYCLE_1)
	s_mov_b32 s13, exec_lo
	v_cmpx_gt_u32_e64 s9, v66
	s_cbranch_execz .LBB1010_643
.LBB1010_695:                           ;   in Loop: Header=BB1010_638 Depth=2
	global_load_u16 v38, v2, s[10:11] offset:512 scale_offset
	s_wait_xcnt 0x0
	s_or_b32 exec_lo, exec_lo, s13
	s_delay_alu instid0(SALU_CYCLE_1)
	s_mov_b32 s13, exec_lo
	v_cmpx_gt_u32_e64 s9, v67
	s_cbranch_execz .LBB1010_644
.LBB1010_696:                           ;   in Loop: Header=BB1010_638 Depth=2
	global_load_u16 v37, v2, s[10:11] offset:1024 scale_offset
	s_wait_xcnt 0x0
	s_or_b32 exec_lo, exec_lo, s13
	s_delay_alu instid0(SALU_CYCLE_1)
	s_mov_b32 s13, exec_lo
	v_cmpx_gt_u32_e64 s9, v68
	s_cbranch_execz .LBB1010_645
.LBB1010_697:                           ;   in Loop: Header=BB1010_638 Depth=2
	global_load_u16 v36, v2, s[10:11] offset:1536 scale_offset
	s_wait_xcnt 0x0
	s_or_b32 exec_lo, exec_lo, s13
	s_delay_alu instid0(SALU_CYCLE_1)
	s_mov_b32 s13, exec_lo
	v_cmpx_gt_u32_e64 s9, v69
	s_cbranch_execz .LBB1010_646
.LBB1010_698:                           ;   in Loop: Header=BB1010_638 Depth=2
	global_load_u16 v35, v2, s[10:11] offset:2048 scale_offset
	s_wait_xcnt 0x0
	s_or_b32 exec_lo, exec_lo, s13
	s_delay_alu instid0(SALU_CYCLE_1)
	s_mov_b32 s13, exec_lo
	v_cmpx_gt_u32_e64 s9, v70
	s_cbranch_execz .LBB1010_647
.LBB1010_699:                           ;   in Loop: Header=BB1010_638 Depth=2
	global_load_u16 v34, v2, s[10:11] offset:2560 scale_offset
	s_wait_xcnt 0x0
	s_or_b32 exec_lo, exec_lo, s13
	s_delay_alu instid0(SALU_CYCLE_1)
	s_mov_b32 s13, exec_lo
	v_cmpx_gt_u32_e64 s9, v71
	s_cbranch_execz .LBB1010_648
.LBB1010_700:                           ;   in Loop: Header=BB1010_638 Depth=2
	global_load_u16 v33, v2, s[10:11] offset:3072 scale_offset
	s_wait_xcnt 0x0
	s_or_b32 exec_lo, exec_lo, s13
	s_delay_alu instid0(SALU_CYCLE_1)
	s_mov_b32 s13, exec_lo
	v_cmpx_gt_u32_e64 s9, v72
	s_cbranch_execz .LBB1010_649
.LBB1010_701:                           ;   in Loop: Header=BB1010_638 Depth=2
	global_load_u16 v32, v2, s[10:11] offset:3584 scale_offset
	s_wait_xcnt 0x0
	s_or_b32 exec_lo, exec_lo, s13
	s_delay_alu instid0(SALU_CYCLE_1)
	s_mov_b32 s13, exec_lo
	v_cmpx_gt_u32_e64 s9, v73
	s_cbranch_execz .LBB1010_650
.LBB1010_702:                           ;   in Loop: Header=BB1010_638 Depth=2
	global_load_u16 v31, v2, s[10:11] offset:4096 scale_offset
	s_wait_xcnt 0x0
	s_or_b32 exec_lo, exec_lo, s13
	s_delay_alu instid0(SALU_CYCLE_1)
	s_mov_b32 s13, exec_lo
	v_cmpx_gt_u32_e64 s9, v74
	s_cbranch_execz .LBB1010_651
.LBB1010_703:                           ;   in Loop: Header=BB1010_638 Depth=2
	global_load_u16 v30, v2, s[10:11] offset:4608 scale_offset
	s_wait_xcnt 0x0
	s_or_b32 exec_lo, exec_lo, s13
	s_delay_alu instid0(SALU_CYCLE_1)
	s_mov_b32 s13, exec_lo
	v_cmpx_gt_u32_e64 s9, v75
	s_cbranch_execz .LBB1010_652
.LBB1010_704:                           ;   in Loop: Header=BB1010_638 Depth=2
	global_load_u16 v29, v2, s[10:11] offset:5120 scale_offset
	s_wait_xcnt 0x0
	s_or_b32 exec_lo, exec_lo, s13
	s_delay_alu instid0(SALU_CYCLE_1)
	s_mov_b32 s13, exec_lo
	v_cmpx_gt_u32_e64 s9, v76
	s_cbranch_execz .LBB1010_653
.LBB1010_705:                           ;   in Loop: Header=BB1010_638 Depth=2
	global_load_u16 v28, v2, s[10:11] offset:5632 scale_offset
	s_wait_xcnt 0x0
	s_or_b32 exec_lo, exec_lo, s13
	s_delay_alu instid0(SALU_CYCLE_1)
	s_mov_b32 s13, exec_lo
	v_cmpx_gt_u32_e64 s9, v77
	s_cbranch_execz .LBB1010_654
.LBB1010_706:                           ;   in Loop: Header=BB1010_638 Depth=2
	global_load_u16 v27, v2, s[10:11] offset:6144 scale_offset
	s_wait_xcnt 0x0
	s_or_b32 exec_lo, exec_lo, s13
	s_delay_alu instid0(SALU_CYCLE_1)
	s_mov_b32 s13, exec_lo
	v_cmpx_gt_u32_e64 s9, v78
	s_cbranch_execz .LBB1010_655
.LBB1010_707:                           ;   in Loop: Header=BB1010_638 Depth=2
	global_load_u16 v26, v2, s[10:11] offset:6656 scale_offset
	s_wait_xcnt 0x0
	s_or_b32 exec_lo, exec_lo, s13
	s_delay_alu instid0(SALU_CYCLE_1)
	s_mov_b32 s13, exec_lo
	v_cmpx_gt_u32_e64 s9, v79
	s_cbranch_execz .LBB1010_656
.LBB1010_708:                           ;   in Loop: Header=BB1010_638 Depth=2
	global_load_u16 v25, v2, s[10:11] offset:7168 scale_offset
	s_wait_xcnt 0x0
	s_or_b32 exec_lo, exec_lo, s13
	s_delay_alu instid0(SALU_CYCLE_1)
	s_mov_b32 s13, exec_lo
	v_cmpx_gt_u32_e64 s9, v80
	s_cbranch_execz .LBB1010_657
.LBB1010_709:                           ;   in Loop: Header=BB1010_638 Depth=2
	global_load_u16 v24, v2, s[10:11] offset:7680 scale_offset
	s_wait_xcnt 0x0
	s_or_b32 exec_lo, exec_lo, s13
	s_delay_alu instid0(SALU_CYCLE_1)
	s_mov_b32 s13, exec_lo
	v_cmpx_gt_u32_e64 s9, v81
	s_cbranch_execnz .LBB1010_658
	s_branch .LBB1010_659
.LBB1010_710:                           ;   in Loop: Header=BB1010_12 Depth=1
	v_mov_b32_e32 v23, 0
	s_wait_dscnt 0x0
	s_barrier_signal -1
	s_barrier_wait -1
	s_and_saveexec_b32 s9, s0
	s_cbranch_execz .LBB1010_712
; %bb.711:                              ;   in Loop: Header=BB1010_12 Depth=1
	ds_load_2addr_b64 v[24:27], v84 offset1:1
	s_wait_dscnt 0x0
	v_add_nc_u32_e32 v23, v25, v24
	s_delay_alu instid0(VALU_DEP_1)
	v_add3_u32 v23, v23, v26, v27
.LBB1010_712:                           ;   in Loop: Header=BB1010_12 Depth=1
	s_or_b32 exec_lo, exec_lo, s9
	s_delay_alu instid0(VALU_DEP_1)
	v_mov_b32_dpp v24, v23 row_shr:1 row_mask:0xf bank_mask:0xf
	v_cmp_eq_u32_e64 s9, 0, v98
	v_cmp_lt_u32_e64 s10, 1, v98
	v_cmp_lt_u32_e64 s11, 3, v98
	;; [unrolled: 1-line block ×3, first 2 shown]
	v_cmp_eq_u32_e64 s13, 0, v100
	v_cndmask_b32_e64 v24, v24, 0, s9
	s_delay_alu instid0(VALU_DEP_1) | instskip(NEXT) | instid1(VALU_DEP_1)
	v_add_nc_u32_e32 v23, v24, v23
	v_mov_b32_dpp v24, v23 row_shr:2 row_mask:0xf bank_mask:0xf
	s_delay_alu instid0(VALU_DEP_1) | instskip(NEXT) | instid1(VALU_DEP_1)
	v_cndmask_b32_e64 v24, 0, v24, s10
	v_add_nc_u32_e32 v23, v23, v24
	s_delay_alu instid0(VALU_DEP_1) | instskip(NEXT) | instid1(VALU_DEP_1)
	v_mov_b32_dpp v24, v23 row_shr:4 row_mask:0xf bank_mask:0xf
	v_cndmask_b32_e64 v24, 0, v24, s11
	s_delay_alu instid0(VALU_DEP_1) | instskip(NEXT) | instid1(VALU_DEP_1)
	v_add_nc_u32_e32 v23, v23, v24
	v_mov_b32_dpp v24, v23 row_shr:8 row_mask:0xf bank_mask:0xf
	s_delay_alu instid0(VALU_DEP_1) | instskip(NEXT) | instid1(VALU_DEP_1)
	v_cndmask_b32_e64 v24, 0, v24, s12
	v_add_nc_u32_e32 v23, v23, v24
	ds_swizzle_b32 v24, v23 offset:swizzle(BROADCAST,32,15)
	s_wait_dscnt 0x0
	v_and_b32_e32 v24, v99, v24
	s_delay_alu instid0(VALU_DEP_1)
	v_add_nc_u32_e32 v23, v23, v24
	s_and_saveexec_b32 s14, s1
; %bb.713:                              ;   in Loop: Header=BB1010_12 Depth=1
	ds_store_b32 v85, v23
; %bb.714:                              ;   in Loop: Header=BB1010_12 Depth=1
	s_or_b32 exec_lo, exec_lo, s14
	s_wait_dscnt 0x0
	s_barrier_signal -1
	s_barrier_wait -1
	s_and_saveexec_b32 s14, s4
	s_cbranch_execz .LBB1010_716
; %bb.715:                              ;   in Loop: Header=BB1010_12 Depth=1
	ds_load_b32 v24, v86
	v_cmp_ne_u32_e32 vcc_lo, 0, v101
	s_wait_dscnt 0x0
	v_mov_b32_dpp v25, v24 row_shr:1 row_mask:0xf bank_mask:0xf
	s_delay_alu instid0(VALU_DEP_1) | instskip(SKIP_1) | instid1(VALU_DEP_2)
	v_cndmask_b32_e32 v25, 0, v25, vcc_lo
	v_cmp_lt_u32_e32 vcc_lo, 1, v101
	v_add_nc_u32_e32 v24, v25, v24
	s_delay_alu instid0(VALU_DEP_1) | instskip(NEXT) | instid1(VALU_DEP_1)
	v_mov_b32_dpp v25, v24 row_shr:2 row_mask:0xf bank_mask:0xf
	v_cndmask_b32_e32 v25, 0, v25, vcc_lo
	s_delay_alu instid0(VALU_DEP_1)
	v_add_nc_u32_e32 v24, v24, v25
	ds_store_b32 v86, v24
.LBB1010_716:                           ;   in Loop: Header=BB1010_12 Depth=1
	s_or_b32 exec_lo, exec_lo, s14
	v_mov_b32_e32 v24, 0
	s_wait_dscnt 0x0
	s_barrier_signal -1
	s_barrier_wait -1
	s_and_saveexec_b32 s14, s5
; %bb.717:                              ;   in Loop: Header=BB1010_12 Depth=1
	ds_load_b32 v24, v87
; %bb.718:                              ;   in Loop: Header=BB1010_12 Depth=1
	s_or_b32 exec_lo, exec_lo, s14
	v_cmp_gt_i32_e32 vcc_lo, 0, v103
	s_wait_dscnt 0x0
	s_barrier_signal -1
	s_barrier_wait -1
	v_dual_cndmask_b32 v25, v103, v96, vcc_lo :: v_dual_add_nc_u32 v23, v24, v23
	s_delay_alu instid0(VALU_DEP_1)
	v_lshlrev_b32_e32 v121, 2, v25
	ds_bpermute_b32 v23, v121, v23
	s_and_saveexec_b32 s14, s0
	s_cbranch_execz .LBB1010_720
; %bb.719:                              ;   in Loop: Header=BB1010_12 Depth=1
	s_wait_dscnt 0x0
	v_cndmask_b32_e64 v23, v23, v24, s8
	s_delay_alu instid0(VALU_DEP_1)
	v_add_nc_u32_e32 v23, s55, v23
	ds_store_b32 v3, v23
.LBB1010_720:                           ;   in Loop: Header=BB1010_12 Depth=1
	s_or_b32 exec_lo, exec_lo, s14
	s_load_b64 s[14:15], s[52:53], 0x0
	s_mov_b32 s58, s57
                                        ; implicit-def: $vgpr30_vgpr31
                                        ; implicit-def: $vgpr32_vgpr33
                                        ; implicit-def: $vgpr34_vgpr35
                                        ; implicit-def: $vgpr36_vgpr37
                                        ; implicit-def: $vgpr38_vgpr39
                                        ; implicit-def: $vgpr40_vgpr41
                                        ; implicit-def: $vgpr42_vgpr43
                                        ; implicit-def: $vgpr44_vgpr45
                                        ; implicit-def: $vgpr46_vgpr47
                                        ; implicit-def: $vgpr48_vgpr49
                                        ; implicit-def: $vgpr50_vgpr51
                                        ; implicit-def: $vgpr52_vgpr53
                                        ; implicit-def: $vgpr54_vgpr55
                                        ; implicit-def: $vgpr56_vgpr57
                                        ; implicit-def: $vgpr58_vgpr59
                                        ; implicit-def: $vgpr60_vgpr61
                                        ; implicit-def: $vgpr122
                                        ; implicit-def: $vgpr123
                                        ; implicit-def: $vgpr124
                                        ; implicit-def: $vgpr125
                                        ; implicit-def: $vgpr126
                                        ; implicit-def: $vgpr127
                                        ; implicit-def: $vgpr128
                                        ; implicit-def: $vgpr129
                                        ; implicit-def: $vgpr130
                                        ; implicit-def: $vgpr131
                                        ; implicit-def: $vgpr132
                                        ; implicit-def: $vgpr133
                                        ; implicit-def: $vgpr134
                                        ; implicit-def: $vgpr135
                                        ; implicit-def: $vgpr136
                                        ; implicit-def: $vgpr138
                                        ; implicit-def: $vgpr139
                                        ; implicit-def: $vgpr137
                                        ; implicit-def: $vgpr140
	s_wait_kmcnt 0x0
	s_cmp_lt_u32 s51, s14
	s_cselect_b32 s34, 12, 18
	s_cmp_lt_u32 s42, s15
	s_mov_b32 s15, s35
	s_cselect_b32 s14, 14, 20
	s_delay_alu instid0(SALU_CYCLE_1)
	s_add_nc_u64 s[14:15], s[52:53], s[14:15]
	s_load_u16 s16, s[14:15], 0x0
	s_wait_xcnt 0x0
	s_add_nc_u64 s[14:15], s[52:53], s[34:35]
	s_mov_b32 s34, s55
	s_load_u16 s14, s[14:15], 0x0
	s_wait_xcnt 0x0
	v_cmp_lt_u32_e64 s15, 1, v104
	s_wait_dscnt 0x0
	s_wait_kmcnt 0x0
	v_mad_u32_u24 v23, v88, s16, v90
	v_cmp_lt_u32_e64 s16, 3, v104
	s_delay_alu instid0(VALU_DEP_2) | instskip(SKIP_2) | instid1(VALU_DEP_3)
	v_mad_u32 v24, v23, s14, v2
	v_mov_b32_e32 v23, v5
	v_cmp_eq_u32_e64 s14, 0, v104
	v_lshrrev_b32_e32 v28, 3, v24
	v_add_nc_u64_e32 v[24:25], v[18:19], v[4:5]
	s_delay_alu instid0(VALU_DEP_4) | instskip(NEXT) | instid1(VALU_DEP_3)
	v_add_nc_u64_e32 v[26:27], v[20:21], v[22:23]
	v_and_b32_e32 v23, 0x1ffffffc, v28
                                        ; implicit-def: $vgpr28_vgpr29
	s_branch .LBB1010_722
.LBB1010_721:                           ;   in Loop: Header=BB1010_722 Depth=2
	s_or_b32 exec_lo, exec_lo, s17
	s_addk_co_i32 s58, 0xef00
	s_cmp_lt_u32 s59, s54
	s_mov_b32 s34, s59
	s_cbranch_scc0 .LBB1010_944
.LBB1010_722:                           ;   Parent Loop BB1010_12 Depth=1
                                        ; =>  This Inner Loop Header: Depth=2
	s_add_co_i32 s59, s34, 0x1100
	s_delay_alu instid0(SALU_CYCLE_1)
	s_cmp_gt_u32 s59, s54
	s_cbranch_scc1 .LBB1010_724
; %bb.723:                              ;   in Loop: Header=BB1010_722 Depth=2
	s_delay_alu instid0(VALU_DEP_2)
	v_lshl_add_u64 v[62:63], s[34:35], 1, v[26:27]
	s_mov_b32 s17, -1
	s_clause 0xf
	global_load_u16 v143, v[62:63], off
	global_load_u16 v145, v[62:63], off offset:64
	global_load_u16 v147, v[62:63], off offset:128
	;; [unrolled: 1-line block ×15, first 2 shown]
	s_movk_i32 s18, 0x1100
	s_cbranch_execz .LBB1010_725
	s_branch .LBB1010_758
.LBB1010_724:                           ;   in Loop: Header=BB1010_722 Depth=2
	s_mov_b32 s17, 0
                                        ; implicit-def: $vgpr143
                                        ; implicit-def: $vgpr145
                                        ; implicit-def: $vgpr147
                                        ; implicit-def: $vgpr151
                                        ; implicit-def: $vgpr155
                                        ; implicit-def: $vgpr160
                                        ; implicit-def: $vgpr166
                                        ; implicit-def: $vgpr171
                                        ; implicit-def: $vgpr176
                                        ; implicit-def: $vgpr174
                                        ; implicit-def: $vgpr169
                                        ; implicit-def: $vgpr164
                                        ; implicit-def: $vgpr161
                                        ; implicit-def: $vgpr156
                                        ; implicit-def: $vgpr65
                                        ; implicit-def: $vgpr64
	s_movk_i32 s18, 0x1100
.LBB1010_725:                           ;   in Loop: Header=BB1010_722 Depth=2
	s_wait_xcnt 0x0
	v_lshl_add_u64 v[62:63], s[34:35], 1, v[26:27]
	s_wait_loadcnt 0xe
	v_mov_b32_e32 v145, 0x7fff
	v_mov_b32_e32 v143, 0x7fff
	s_mov_b32 s17, exec_lo
	v_cmpx_gt_u32_e64 s58, v102
	s_cbranch_execz .LBB1010_727
; %bb.726:                              ;   in Loop: Header=BB1010_722 Depth=2
	global_load_u16 v143, v[62:63], off
.LBB1010_727:                           ;   in Loop: Header=BB1010_722 Depth=2
	s_wait_xcnt 0x0
	s_or_b32 exec_lo, exec_lo, s17
	s_delay_alu instid0(SALU_CYCLE_1)
	s_mov_b32 s17, exec_lo
	v_cmpx_gt_u32_e64 s58, v105
	s_cbranch_execz .LBB1010_729
; %bb.728:                              ;   in Loop: Header=BB1010_722 Depth=2
	global_load_u16 v145, v[62:63], off offset:64
.LBB1010_729:                           ;   in Loop: Header=BB1010_722 Depth=2
	s_wait_xcnt 0x0
	s_or_b32 exec_lo, exec_lo, s17
	s_wait_loadcnt 0xc
	v_mov_b32_e32 v151, 0x7fff
	v_mov_b32_e32 v147, 0x7fff
	s_mov_b32 s17, exec_lo
	v_cmpx_gt_u32_e64 s58, v106
	s_cbranch_execz .LBB1010_731
; %bb.730:                              ;   in Loop: Header=BB1010_722 Depth=2
	global_load_u16 v147, v[62:63], off offset:128
.LBB1010_731:                           ;   in Loop: Header=BB1010_722 Depth=2
	s_wait_xcnt 0x0
	s_or_b32 exec_lo, exec_lo, s17
	s_delay_alu instid0(SALU_CYCLE_1)
	s_mov_b32 s17, exec_lo
	v_cmpx_gt_u32_e64 s58, v107
	s_cbranch_execz .LBB1010_733
; %bb.732:                              ;   in Loop: Header=BB1010_722 Depth=2
	global_load_u16 v151, v[62:63], off offset:192
.LBB1010_733:                           ;   in Loop: Header=BB1010_722 Depth=2
	s_wait_xcnt 0x0
	s_or_b32 exec_lo, exec_lo, s17
	s_wait_loadcnt 0xa
	v_dual_mov_b32 v160, 0x7fff :: v_dual_mov_b32 v155, 0x7fff
	s_mov_b32 s17, exec_lo
	v_cmpx_gt_u32_e64 s58, v108
	s_cbranch_execz .LBB1010_735
; %bb.734:                              ;   in Loop: Header=BB1010_722 Depth=2
	global_load_u16 v155, v[62:63], off offset:256
.LBB1010_735:                           ;   in Loop: Header=BB1010_722 Depth=2
	s_wait_xcnt 0x0
	s_or_b32 exec_lo, exec_lo, s17
	s_delay_alu instid0(SALU_CYCLE_1)
	s_mov_b32 s17, exec_lo
	v_cmpx_gt_u32_e64 s58, v109
	s_cbranch_execz .LBB1010_737
; %bb.736:                              ;   in Loop: Header=BB1010_722 Depth=2
	global_load_u16 v160, v[62:63], off offset:320
.LBB1010_737:                           ;   in Loop: Header=BB1010_722 Depth=2
	s_wait_xcnt 0x0
	s_or_b32 exec_lo, exec_lo, s17
	s_wait_loadcnt 0x8
	v_dual_mov_b32 v171, 0x7fff :: v_dual_mov_b32 v166, 0x7fff
	s_mov_b32 s17, exec_lo
	v_cmpx_gt_u32_e64 s58, v110
	s_cbranch_execz .LBB1010_739
; %bb.738:                              ;   in Loop: Header=BB1010_722 Depth=2
	global_load_u16 v166, v[62:63], off offset:384
.LBB1010_739:                           ;   in Loop: Header=BB1010_722 Depth=2
	s_wait_xcnt 0x0
	s_or_b32 exec_lo, exec_lo, s17
	s_delay_alu instid0(SALU_CYCLE_1)
	s_mov_b32 s17, exec_lo
	v_cmpx_gt_u32_e64 s58, v111
	s_cbranch_execz .LBB1010_741
; %bb.740:                              ;   in Loop: Header=BB1010_722 Depth=2
	global_load_u16 v171, v[62:63], off offset:448
.LBB1010_741:                           ;   in Loop: Header=BB1010_722 Depth=2
	s_wait_xcnt 0x0
	s_or_b32 exec_lo, exec_lo, s17
	s_wait_loadcnt 0x6
	v_mov_b32_e32 v174, 0x7fff
	v_mov_b32_e32 v176, 0x7fff
	s_mov_b32 s17, exec_lo
	v_cmpx_gt_u32_e64 s58, v112
	s_cbranch_execz .LBB1010_743
; %bb.742:                              ;   in Loop: Header=BB1010_722 Depth=2
	global_load_u16 v176, v[62:63], off offset:512
.LBB1010_743:                           ;   in Loop: Header=BB1010_722 Depth=2
	s_wait_xcnt 0x0
	s_or_b32 exec_lo, exec_lo, s17
	s_delay_alu instid0(SALU_CYCLE_1)
	s_mov_b32 s17, exec_lo
	v_cmpx_gt_u32_e64 s58, v113
	s_cbranch_execz .LBB1010_745
; %bb.744:                              ;   in Loop: Header=BB1010_722 Depth=2
	global_load_u16 v174, v[62:63], off offset:576
.LBB1010_745:                           ;   in Loop: Header=BB1010_722 Depth=2
	s_wait_xcnt 0x0
	s_or_b32 exec_lo, exec_lo, s17
	s_wait_loadcnt 0x4
	v_dual_mov_b32 v164, 0x7fff :: v_dual_mov_b32 v169, 0x7fff
	s_mov_b32 s17, exec_lo
	v_cmpx_gt_u32_e64 s58, v114
	s_cbranch_execz .LBB1010_747
; %bb.746:                              ;   in Loop: Header=BB1010_722 Depth=2
	global_load_u16 v169, v[62:63], off offset:640
.LBB1010_747:                           ;   in Loop: Header=BB1010_722 Depth=2
	s_wait_xcnt 0x0
	s_or_b32 exec_lo, exec_lo, s17
	s_delay_alu instid0(SALU_CYCLE_1)
	s_mov_b32 s17, exec_lo
	v_cmpx_gt_u32_e64 s58, v115
	s_cbranch_execz .LBB1010_749
; %bb.748:                              ;   in Loop: Header=BB1010_722 Depth=2
	global_load_u16 v164, v[62:63], off offset:704
.LBB1010_749:                           ;   in Loop: Header=BB1010_722 Depth=2
	s_wait_xcnt 0x0
	s_or_b32 exec_lo, exec_lo, s17
	s_wait_loadcnt 0x2
	v_dual_mov_b32 v156, 0x7fff :: v_dual_mov_b32 v161, 0x7fff
	;; [unrolled: 19-line block ×3, first 2 shown]
	s_mov_b32 s17, exec_lo
	v_cmpx_gt_u32_e64 s58, v118
	s_cbranch_execz .LBB1010_755
; %bb.754:                              ;   in Loop: Header=BB1010_722 Depth=2
	global_load_u16 v65, v[62:63], off offset:896
.LBB1010_755:                           ;   in Loop: Header=BB1010_722 Depth=2
	s_wait_xcnt 0x0
	s_or_b32 exec_lo, exec_lo, s17
	s_delay_alu instid0(SALU_CYCLE_1)
	s_mov_b32 s17, exec_lo
	v_cmpx_gt_u32_e64 s58, v119
	s_cbranch_execz .LBB1010_757
; %bb.756:                              ;   in Loop: Header=BB1010_722 Depth=2
	global_load_u16 v64, v[62:63], off offset:960
.LBB1010_757:                           ;   in Loop: Header=BB1010_722 Depth=2
	s_wait_xcnt 0x0
	s_or_b32 exec_lo, exec_lo, s17
	v_cmp_gt_u32_e64 s17, s58, v120
	s_sub_co_i32 s18, s54, s34
.LBB1010_758:                           ;   in Loop: Header=BB1010_722 Depth=2
	v_dual_mov_b32 v142, -1 :: v_dual_mov_b32 v141, s58
	s_wait_xcnt 0x0
	s_and_saveexec_b32 s19, s17
	s_cbranch_execz .LBB1010_760
; %bb.759:                              ;   in Loop: Header=BB1010_722 Depth=2
	v_lshl_add_u64 v[62:63], s[34:35], 1, v[26:27]
	v_mov_b32_e32 v141, s18
	global_load_u16 v62, v[62:63], off offset:1024
	s_wait_loadcnt 0x0
	v_xor_b32_e32 v142, 0xffff8000, v62
.LBB1010_760:                           ;   in Loop: Header=BB1010_722 Depth=2
	s_wait_xcnt 0x0
	s_or_b32 exec_lo, exec_lo, s19
	s_wait_loadcnt 0xf
	v_xor_b32_e32 v143, 0xffff8000, v143
	ds_store_2addr_b32 v89, v5, v5 offset0:136 offset1:137
	ds_store_2addr_b32 v89, v5, v5 offset0:138 offset1:139
	ds_store_b32 v89, v5 offset:560
	s_wait_loadcnt_dscnt 0x0
	s_barrier_signal -1
	s_barrier_wait -1
	v_and_b32_e32 v62, 0xffff, v143
	; wave barrier
	s_delay_alu instid0(VALU_DEP_1) | instskip(NEXT) | instid1(VALU_DEP_1)
	v_lshrrev_b32_e32 v62, s49, v62
	v_bitop3_b32 v63, v62, 1, s48 bitop3:0x80
	v_and_b32_e32 v146, s48, v62
	s_delay_alu instid0(VALU_DEP_2) | instskip(NEXT) | instid1(VALU_DEP_1)
	v_add_co_u32 v62, s17, v63, -1
	v_cndmask_b32_e64 v63, 0, 1, s17
	s_delay_alu instid0(VALU_DEP_3) | instskip(NEXT) | instid1(VALU_DEP_2)
	v_dual_lshlrev_b32 v144, 30, v146 :: v_dual_lshlrev_b32 v148, 29, v146
	v_cmp_ne_u32_e32 vcc_lo, 0, v63
	s_delay_alu instid0(VALU_DEP_2) | instskip(SKIP_1) | instid1(VALU_DEP_4)
	v_cmp_gt_i32_e64 s17, 0, v144
	v_not_b32_e32 v63, v144
	v_not_b32_e32 v144, v148
	v_cmp_gt_i32_e64 s18, 0, v148
	v_bitop3_b32 v62, vcc_lo, exec_lo, v62 bitop3:0x48
	s_delay_alu instid0(VALU_DEP_3) | instskip(SKIP_2) | instid1(VALU_DEP_3)
	v_dual_ashrrev_i32 v63, 31, v63 :: v_dual_ashrrev_i32 v144, 31, v144
	v_dual_lshlrev_b32 v149, 28, v146 :: v_dual_lshlrev_b32 v150, 27, v146
	v_dual_lshlrev_b32 v152, 26, v146 :: v_dual_lshlrev_b32 v153, 25, v146
	v_xor_b32_e32 v144, s18, v144
	s_delay_alu instid0(VALU_DEP_3)
	v_cmp_gt_i32_e64 s19, 0, v149
	v_not_b32_e32 v148, v149
	v_not_b32_e32 v149, v150
	v_cmp_gt_i32_e64 s20, 0, v150
	v_cmp_gt_i32_e64 s21, 0, v152
	v_not_b32_e32 v150, v152
	v_not_b32_e32 v152, v153
	v_dual_ashrrev_i32 v148, 31, v148 :: v_dual_ashrrev_i32 v149, 31, v149
	s_delay_alu instid0(VALU_DEP_3) | instskip(SKIP_1) | instid1(VALU_DEP_3)
	v_dual_ashrrev_i32 v150, 31, v150 :: v_dual_bitop2_b32 v63, s17, v63 bitop3:0x14
	v_cmp_gt_i32_e64 s22, 0, v153
	v_dual_ashrrev_i32 v152, 31, v152 :: v_dual_bitop2_b32 v149, s20, v149 bitop3:0x14
	s_delay_alu instid0(VALU_DEP_4) | instskip(NEXT) | instid1(VALU_DEP_4)
	v_xor_b32_e32 v148, s19, v148
	v_bitop3_b32 v62, v62, v144, v63 bitop3:0x80
	v_xor_b32_e32 v63, s21, v150
	s_delay_alu instid0(VALU_DEP_4) | instskip(NEXT) | instid1(VALU_DEP_3)
	v_xor_b32_e32 v144, s22, v152
	v_bitop3_b32 v62, v62, v149, v148 bitop3:0x80
	s_delay_alu instid0(VALU_DEP_1) | instskip(SKIP_1) | instid1(VALU_DEP_2)
	v_bitop3_b32 v62, v62, v144, v63 bitop3:0x80
	v_mul_u32_u24_e32 v63, 36, v146
	v_mbcnt_lo_u32_b32 v144, v62, 0
	v_cmp_ne_u32_e64 s17, 0, v62
	s_delay_alu instid0(VALU_DEP_3) | instskip(NEXT) | instid1(VALU_DEP_3)
	v_add_nc_u32_e32 v146, v23, v63
	v_cmp_eq_u32_e32 vcc_lo, 0, v144
	s_and_b32 s18, s17, vcc_lo
	s_delay_alu instid0(SALU_CYCLE_1)
	s_and_saveexec_b32 s17, s18
; %bb.761:                              ;   in Loop: Header=BB1010_722 Depth=2
	v_bcnt_u32_b32 v62, v62, 0
	ds_store_b32 v146, v62 offset:544
; %bb.762:                              ;   in Loop: Header=BB1010_722 Depth=2
	s_or_b32 exec_lo, exec_lo, s17
	v_xor_b32_e32 v145, 0xffff8000, v145
	; wave barrier
	s_delay_alu instid0(VALU_DEP_1) | instskip(NEXT) | instid1(VALU_DEP_1)
	v_and_b32_e32 v62, 0xffff, v145
	v_lshrrev_b32_e32 v62, s49, v62
	s_delay_alu instid0(VALU_DEP_1) | instskip(SKIP_1) | instid1(VALU_DEP_2)
	v_bitop3_b32 v63, v62, 1, s48 bitop3:0x80
	v_and_b32_e32 v150, s48, v62
	v_add_co_u32 v62, s17, v63, -1
	s_delay_alu instid0(VALU_DEP_1) | instskip(NEXT) | instid1(VALU_DEP_3)
	v_cndmask_b32_e64 v63, 0, 1, s17
	v_dual_lshlrev_b32 v148, 30, v150 :: v_dual_lshlrev_b32 v149, 29, v150
	s_delay_alu instid0(VALU_DEP_2) | instskip(NEXT) | instid1(VALU_DEP_2)
	v_cmp_ne_u32_e32 vcc_lo, 0, v63
	v_cmp_gt_i32_e64 s17, 0, v148
	v_not_b32_e32 v63, v148
	s_delay_alu instid0(VALU_DEP_4) | instskip(SKIP_2) | instid1(VALU_DEP_3)
	v_not_b32_e32 v148, v149
	v_cmp_gt_i32_e64 s18, 0, v149
	v_bitop3_b32 v62, vcc_lo, exec_lo, v62 bitop3:0x48
	v_dual_ashrrev_i32 v63, 31, v63 :: v_dual_ashrrev_i32 v148, 31, v148
	v_dual_lshlrev_b32 v152, 28, v150 :: v_dual_lshlrev_b32 v153, 27, v150
	v_dual_lshlrev_b32 v154, 26, v150 :: v_dual_lshlrev_b32 v157, 25, v150
	s_delay_alu instid0(VALU_DEP_2) | instskip(SKIP_1) | instid1(VALU_DEP_4)
	v_cmp_gt_i32_e64 s19, 0, v152
	v_not_b32_e32 v149, v152
	v_cmp_gt_i32_e64 s20, 0, v153
	v_not_b32_e32 v152, v153
	;; [unrolled: 2-line block ×3, first 2 shown]
	v_not_b32_e32 v154, v157
	v_xor_b32_e32 v63, s17, v63
	v_dual_ashrrev_i32 v149, 31, v149 :: v_dual_bitop2_b32 v148, s18, v148 bitop3:0x14
	s_delay_alu instid0(VALU_DEP_4) | instskip(NEXT) | instid1(VALU_DEP_4)
	v_dual_ashrrev_i32 v152, 31, v152 :: v_dual_ashrrev_i32 v153, 31, v153
	v_ashrrev_i32_e32 v154, 31, v154
	s_delay_alu instid0(VALU_DEP_3)
	v_bitop3_b32 v62, v62, v148, v63 bitop3:0x80
	v_mad_u32_u24 v63, v150, 36, v23
	v_cmp_gt_i32_e64 s22, 0, v157
	v_xor_b32_e32 v152, s20, v152
	v_xor_b32_e32 v153, s21, v153
	ds_load_b32 v148, v63 offset:544
	v_mul_u32_u24_e32 v63, 36, v150
	v_xor_b32_e32 v149, s19, v149
	v_xor_b32_e32 v154, s22, v154
	; wave barrier
	s_delay_alu instid0(VALU_DEP_3) | instskip(NEXT) | instid1(VALU_DEP_3)
	v_add_nc_u32_e32 v150, v23, v63
	v_bitop3_b32 v62, v62, v152, v149 bitop3:0x80
	s_delay_alu instid0(VALU_DEP_1) | instskip(NEXT) | instid1(VALU_DEP_1)
	v_bitop3_b32 v62, v62, v154, v153 bitop3:0x80
	v_mbcnt_lo_u32_b32 v149, v62, 0
	v_cmp_ne_u32_e64 s17, 0, v62
	s_delay_alu instid0(VALU_DEP_2) | instskip(SKIP_1) | instid1(SALU_CYCLE_1)
	v_cmp_eq_u32_e32 vcc_lo, 0, v149
	s_and_b32 s18, s17, vcc_lo
	s_and_saveexec_b32 s17, s18
	s_cbranch_execz .LBB1010_764
; %bb.763:                              ;   in Loop: Header=BB1010_722 Depth=2
	s_wait_dscnt 0x0
	v_bcnt_u32_b32 v62, v62, v148
	ds_store_b32 v150, v62 offset:544
.LBB1010_764:                           ;   in Loop: Header=BB1010_722 Depth=2
	s_or_b32 exec_lo, exec_lo, s17
	v_xor_b32_e32 v147, 0xffff8000, v147
	; wave barrier
	s_delay_alu instid0(VALU_DEP_1) | instskip(NEXT) | instid1(VALU_DEP_1)
	v_and_b32_e32 v62, 0xffff, v147
	v_lshrrev_b32_e32 v62, s49, v62
	s_delay_alu instid0(VALU_DEP_1) | instskip(SKIP_1) | instid1(VALU_DEP_2)
	v_bitop3_b32 v63, v62, 1, s48 bitop3:0x80
	v_and_b32_e32 v154, s48, v62
	v_add_co_u32 v62, s17, v63, -1
	s_delay_alu instid0(VALU_DEP_1) | instskip(NEXT) | instid1(VALU_DEP_3)
	v_cndmask_b32_e64 v63, 0, 1, s17
	v_dual_lshlrev_b32 v152, 30, v154 :: v_dual_lshlrev_b32 v153, 29, v154
	s_delay_alu instid0(VALU_DEP_2) | instskip(NEXT) | instid1(VALU_DEP_2)
	v_cmp_ne_u32_e32 vcc_lo, 0, v63
	v_cmp_gt_i32_e64 s17, 0, v152
	v_not_b32_e32 v63, v152
	s_delay_alu instid0(VALU_DEP_4) | instskip(SKIP_2) | instid1(VALU_DEP_3)
	v_not_b32_e32 v152, v153
	v_cmp_gt_i32_e64 s18, 0, v153
	v_bitop3_b32 v62, vcc_lo, exec_lo, v62 bitop3:0x48
	v_dual_ashrrev_i32 v63, 31, v63 :: v_dual_ashrrev_i32 v152, 31, v152
	v_dual_lshlrev_b32 v157, 28, v154 :: v_dual_lshlrev_b32 v158, 27, v154
	v_dual_lshlrev_b32 v159, 26, v154 :: v_dual_lshlrev_b32 v162, 25, v154
	s_delay_alu instid0(VALU_DEP_3) | instskip(NEXT) | instid1(VALU_DEP_3)
	v_xor_b32_e32 v63, s17, v63
	v_cmp_gt_i32_e64 s19, 0, v157
	v_not_b32_e32 v153, v157
	v_not_b32_e32 v157, v158
	v_xor_b32_e32 v152, s18, v152
	v_cmp_gt_i32_e64 s20, 0, v158
	v_cmp_gt_i32_e64 s21, 0, v159
	v_ashrrev_i32_e32 v153, 31, v153
	v_ashrrev_i32_e32 v157, 31, v157
	v_not_b32_e32 v158, v159
	v_not_b32_e32 v159, v162
	v_bitop3_b32 v62, v62, v152, v63 bitop3:0x80
	v_mad_u32_u24 v63, v154, 36, v23
	v_cmp_gt_i32_e64 s22, 0, v162
	s_delay_alu instid0(VALU_DEP_4)
	v_dual_ashrrev_i32 v158, 31, v158 :: v_dual_ashrrev_i32 v159, 31, v159
	v_xor_b32_e32 v157, s20, v157
	ds_load_b32 v152, v63 offset:544
	v_mul_u32_u24_e32 v63, 36, v154
	v_xor_b32_e32 v153, s19, v153
	v_xor_b32_e32 v158, s21, v158
	v_xor_b32_e32 v159, s22, v159
	s_delay_alu instid0(VALU_DEP_4) | instskip(NEXT) | instid1(VALU_DEP_4)
	v_add_nc_u32_e32 v154, v23, v63
	v_bitop3_b32 v62, v62, v157, v153 bitop3:0x80
	; wave barrier
	s_delay_alu instid0(VALU_DEP_1) | instskip(NEXT) | instid1(VALU_DEP_1)
	v_bitop3_b32 v62, v62, v159, v158 bitop3:0x80
	v_mbcnt_lo_u32_b32 v153, v62, 0
	v_cmp_ne_u32_e64 s17, 0, v62
	s_delay_alu instid0(VALU_DEP_2) | instskip(SKIP_1) | instid1(SALU_CYCLE_1)
	v_cmp_eq_u32_e32 vcc_lo, 0, v153
	s_and_b32 s18, s17, vcc_lo
	s_and_saveexec_b32 s17, s18
	s_cbranch_execz .LBB1010_766
; %bb.765:                              ;   in Loop: Header=BB1010_722 Depth=2
	s_wait_dscnt 0x0
	v_bcnt_u32_b32 v62, v62, v152
	ds_store_b32 v154, v62 offset:544
.LBB1010_766:                           ;   in Loop: Header=BB1010_722 Depth=2
	s_or_b32 exec_lo, exec_lo, s17
	v_xor_b32_e32 v151, 0xffff8000, v151
	; wave barrier
	s_delay_alu instid0(VALU_DEP_1) | instskip(NEXT) | instid1(VALU_DEP_1)
	v_and_b32_e32 v62, 0xffff, v151
	v_lshrrev_b32_e32 v62, s49, v62
	s_delay_alu instid0(VALU_DEP_1) | instskip(NEXT) | instid1(VALU_DEP_1)
	v_and_b32_e32 v159, s48, v62
	v_lshlrev_b32_e32 v157, 30, v159
	v_bitop3_b32 v63, v62, 1, s48 bitop3:0x80
	s_delay_alu instid0(VALU_DEP_1) | instskip(NEXT) | instid1(VALU_DEP_1)
	v_add_co_u32 v62, s17, v63, -1
	v_cndmask_b32_e64 v63, 0, 1, s17
	s_delay_alu instid0(VALU_DEP_4) | instskip(NEXT) | instid1(VALU_DEP_2)
	v_cmp_gt_i32_e64 s17, 0, v157
	v_cmp_ne_u32_e32 vcc_lo, 0, v63
	v_not_b32_e32 v63, v157
	v_bitop3_b32 v62, vcc_lo, exec_lo, v62 bitop3:0x48
	s_delay_alu instid0(VALU_DEP_2) | instskip(SKIP_2) | instid1(VALU_DEP_3)
	v_ashrrev_i32_e32 v63, 31, v63
	v_dual_lshlrev_b32 v158, 29, v159 :: v_dual_lshlrev_b32 v162, 28, v159
	v_dual_lshlrev_b32 v163, 27, v159 :: v_dual_lshlrev_b32 v165, 26, v159
	v_xor_b32_e32 v63, s17, v63
	s_delay_alu instid0(VALU_DEP_3)
	v_not_b32_e32 v157, v158
	v_lshlrev_b32_e32 v167, 25, v159
	v_cmp_gt_i32_e64 s18, 0, v158
	v_cmp_gt_i32_e64 s19, 0, v162
	v_not_b32_e32 v158, v162
	v_not_b32_e32 v162, v163
	v_ashrrev_i32_e32 v157, 31, v157
	v_cmp_gt_i32_e64 s20, 0, v163
	v_cmp_gt_i32_e64 s21, 0, v165
	v_ashrrev_i32_e32 v158, 31, v158
	s_delay_alu instid0(VALU_DEP_4) | instskip(SKIP_3) | instid1(VALU_DEP_4)
	v_dual_ashrrev_i32 v162, 31, v162 :: v_dual_bitop2_b32 v157, s18, v157 bitop3:0x14
	v_not_b32_e32 v163, v165
	v_not_b32_e32 v165, v167
	v_cmp_gt_i32_e64 s22, 0, v167
	v_xor_b32_e32 v162, s20, v162
	v_bitop3_b32 v62, v62, v157, v63 bitop3:0x80
	v_mad_u32_u24 v63, v159, 36, v23
	v_dual_ashrrev_i32 v163, 31, v163 :: v_dual_ashrrev_i32 v165, 31, v165
	ds_load_b32 v157, v63 offset:544
	v_mul_u32_u24_e32 v63, 36, v159
	v_xor_b32_e32 v158, s19, v158
	v_xor_b32_e32 v163, s21, v163
	;; [unrolled: 1-line block ×3, first 2 shown]
	s_delay_alu instid0(VALU_DEP_4) | instskip(NEXT) | instid1(VALU_DEP_4)
	v_add_nc_u32_e32 v159, v23, v63
	v_bitop3_b32 v62, v62, v162, v158 bitop3:0x80
	; wave barrier
	s_delay_alu instid0(VALU_DEP_1) | instskip(NEXT) | instid1(VALU_DEP_1)
	v_bitop3_b32 v62, v62, v165, v163 bitop3:0x80
	v_mbcnt_lo_u32_b32 v158, v62, 0
	v_cmp_ne_u32_e64 s17, 0, v62
	s_delay_alu instid0(VALU_DEP_2) | instskip(SKIP_1) | instid1(SALU_CYCLE_1)
	v_cmp_eq_u32_e32 vcc_lo, 0, v158
	s_and_b32 s18, s17, vcc_lo
	s_and_saveexec_b32 s17, s18
	s_cbranch_execz .LBB1010_768
; %bb.767:                              ;   in Loop: Header=BB1010_722 Depth=2
	s_wait_dscnt 0x0
	v_bcnt_u32_b32 v62, v62, v157
	ds_store_b32 v159, v62 offset:544
.LBB1010_768:                           ;   in Loop: Header=BB1010_722 Depth=2
	s_or_b32 exec_lo, exec_lo, s17
	v_xor_b32_e32 v155, 0xffff8000, v155
	; wave barrier
	s_delay_alu instid0(VALU_DEP_1) | instskip(NEXT) | instid1(VALU_DEP_1)
	v_and_b32_e32 v62, 0xffff, v155
	v_lshrrev_b32_e32 v62, s49, v62
	s_delay_alu instid0(VALU_DEP_1) | instskip(NEXT) | instid1(VALU_DEP_1)
	v_and_b32_e32 v165, s48, v62
	v_lshlrev_b32_e32 v162, 30, v165
	v_bitop3_b32 v63, v62, 1, s48 bitop3:0x80
	s_delay_alu instid0(VALU_DEP_1) | instskip(NEXT) | instid1(VALU_DEP_1)
	v_add_co_u32 v62, s17, v63, -1
	v_cndmask_b32_e64 v63, 0, 1, s17
	s_delay_alu instid0(VALU_DEP_4) | instskip(NEXT) | instid1(VALU_DEP_2)
	v_cmp_gt_i32_e64 s17, 0, v162
	v_cmp_ne_u32_e32 vcc_lo, 0, v63
	v_not_b32_e32 v63, v162
	v_bitop3_b32 v62, vcc_lo, exec_lo, v62 bitop3:0x48
	s_delay_alu instid0(VALU_DEP_2) | instskip(SKIP_2) | instid1(VALU_DEP_3)
	v_dual_ashrrev_i32 v63, 31, v63 :: v_dual_lshlrev_b32 v163, 29, v165
	v_dual_lshlrev_b32 v167, 28, v165 :: v_dual_lshlrev_b32 v168, 27, v165
	v_lshlrev_b32_e32 v170, 26, v165
	v_not_b32_e32 v162, v163
	v_lshlrev_b32_e32 v172, 25, v165
	v_cmp_gt_i32_e64 s18, 0, v163
	v_cmp_gt_i32_e64 s19, 0, v167
	v_not_b32_e32 v163, v167
	v_not_b32_e32 v167, v168
	v_ashrrev_i32_e32 v162, 31, v162
	v_cmp_gt_i32_e64 s20, 0, v168
	v_cmp_gt_i32_e64 s21, 0, v170
	v_not_b32_e32 v168, v170
	v_not_b32_e32 v170, v172
	v_dual_ashrrev_i32 v163, 31, v163 :: v_dual_bitop2_b32 v162, s18, v162 bitop3:0x14
	s_delay_alu instid0(VALU_DEP_3) | instskip(NEXT) | instid1(VALU_DEP_3)
	v_dual_ashrrev_i32 v167, 31, v167 :: v_dual_ashrrev_i32 v168, 31, v168
	v_dual_ashrrev_i32 v170, 31, v170 :: v_dual_bitop2_b32 v63, s17, v63 bitop3:0x14
	v_cmp_gt_i32_e64 s22, 0, v172
	s_delay_alu instid0(VALU_DEP_4) | instskip(NEXT) | instid1(VALU_DEP_4)
	v_xor_b32_e32 v163, s19, v163
	v_xor_b32_e32 v167, s20, v167
	s_delay_alu instid0(VALU_DEP_4) | instskip(SKIP_2) | instid1(VALU_DEP_3)
	v_bitop3_b32 v62, v62, v162, v63 bitop3:0x80
	v_mad_u32_u24 v63, v165, 36, v23
	v_xor_b32_e32 v170, s22, v170
	v_bitop3_b32 v62, v62, v167, v163 bitop3:0x80
	ds_load_b32 v162, v63 offset:544
	v_mul_u32_u24_e32 v63, 36, v165
	v_xor_b32_e32 v168, s21, v168
	; wave barrier
	s_delay_alu instid0(VALU_DEP_2) | instskip(NEXT) | instid1(VALU_DEP_2)
	v_add_nc_u32_e32 v165, v23, v63
	v_bitop3_b32 v62, v62, v170, v168 bitop3:0x80
	s_delay_alu instid0(VALU_DEP_1) | instskip(SKIP_1) | instid1(VALU_DEP_2)
	v_mbcnt_lo_u32_b32 v163, v62, 0
	v_cmp_ne_u32_e64 s17, 0, v62
	v_cmp_eq_u32_e32 vcc_lo, 0, v163
	s_and_b32 s18, s17, vcc_lo
	s_delay_alu instid0(SALU_CYCLE_1)
	s_and_saveexec_b32 s17, s18
	s_cbranch_execz .LBB1010_770
; %bb.769:                              ;   in Loop: Header=BB1010_722 Depth=2
	s_wait_dscnt 0x0
	v_bcnt_u32_b32 v62, v62, v162
	ds_store_b32 v165, v62 offset:544
.LBB1010_770:                           ;   in Loop: Header=BB1010_722 Depth=2
	s_or_b32 exec_lo, exec_lo, s17
	v_xor_b32_e32 v160, 0xffff8000, v160
	; wave barrier
	s_delay_alu instid0(VALU_DEP_1) | instskip(NEXT) | instid1(VALU_DEP_1)
	v_and_b32_e32 v62, 0xffff, v160
	v_lshrrev_b32_e32 v62, s49, v62
	s_delay_alu instid0(VALU_DEP_1) | instskip(SKIP_1) | instid1(VALU_DEP_2)
	v_bitop3_b32 v63, v62, 1, s48 bitop3:0x80
	v_and_b32_e32 v170, s48, v62
	v_add_co_u32 v62, s17, v63, -1
	s_delay_alu instid0(VALU_DEP_1) | instskip(NEXT) | instid1(VALU_DEP_3)
	v_cndmask_b32_e64 v63, 0, 1, s17
	v_dual_lshlrev_b32 v167, 30, v170 :: v_dual_lshlrev_b32 v168, 29, v170
	s_delay_alu instid0(VALU_DEP_2) | instskip(NEXT) | instid1(VALU_DEP_2)
	v_cmp_ne_u32_e32 vcc_lo, 0, v63
	v_cmp_gt_i32_e64 s17, 0, v167
	v_not_b32_e32 v63, v167
	s_delay_alu instid0(VALU_DEP_4) | instskip(SKIP_2) | instid1(VALU_DEP_4)
	v_not_b32_e32 v167, v168
	v_cmp_gt_i32_e64 s18, 0, v168
	v_bitop3_b32 v62, vcc_lo, exec_lo, v62 bitop3:0x48
	v_ashrrev_i32_e32 v63, 31, v63
	s_delay_alu instid0(VALU_DEP_4) | instskip(SKIP_1) | instid1(VALU_DEP_3)
	v_dual_ashrrev_i32 v167, 31, v167 :: v_dual_lshlrev_b32 v172, 28, v170
	v_dual_lshlrev_b32 v173, 27, v170 :: v_dual_lshlrev_b32 v175, 26, v170
	v_dual_lshlrev_b32 v177, 25, v170 :: v_dual_bitop2_b32 v63, s17, v63 bitop3:0x14
	s_delay_alu instid0(VALU_DEP_3) | instskip(SKIP_1) | instid1(VALU_DEP_4)
	v_cmp_gt_i32_e64 s19, 0, v172
	v_not_b32_e32 v168, v172
	v_not_b32_e32 v172, v173
	v_xor_b32_e32 v167, s18, v167
	v_cmp_gt_i32_e64 s20, 0, v173
	v_cmp_gt_i32_e64 s21, 0, v175
	v_ashrrev_i32_e32 v168, 31, v168
	v_ashrrev_i32_e32 v172, 31, v172
	v_not_b32_e32 v173, v175
	v_not_b32_e32 v175, v177
	v_bitop3_b32 v62, v62, v167, v63 bitop3:0x80
	v_mad_u32_u24 v63, v170, 36, v23
	v_cmp_gt_i32_e64 s22, 0, v177
	s_delay_alu instid0(VALU_DEP_4)
	v_dual_ashrrev_i32 v173, 31, v173 :: v_dual_ashrrev_i32 v175, 31, v175
	v_xor_b32_e32 v172, s20, v172
	ds_load_b32 v167, v63 offset:544
	v_mul_u32_u24_e32 v63, 36, v170
	v_xor_b32_e32 v168, s19, v168
	v_xor_b32_e32 v173, s21, v173
	;; [unrolled: 1-line block ×3, first 2 shown]
	s_delay_alu instid0(VALU_DEP_4) | instskip(NEXT) | instid1(VALU_DEP_4)
	v_add_nc_u32_e32 v170, v23, v63
	v_bitop3_b32 v62, v62, v172, v168 bitop3:0x80
	; wave barrier
	s_delay_alu instid0(VALU_DEP_1) | instskip(NEXT) | instid1(VALU_DEP_1)
	v_bitop3_b32 v62, v62, v175, v173 bitop3:0x80
	v_mbcnt_lo_u32_b32 v168, v62, 0
	v_cmp_ne_u32_e64 s17, 0, v62
	s_delay_alu instid0(VALU_DEP_2) | instskip(SKIP_1) | instid1(SALU_CYCLE_1)
	v_cmp_eq_u32_e32 vcc_lo, 0, v168
	s_and_b32 s18, s17, vcc_lo
	s_and_saveexec_b32 s17, s18
	s_cbranch_execz .LBB1010_772
; %bb.771:                              ;   in Loop: Header=BB1010_722 Depth=2
	s_wait_dscnt 0x0
	v_bcnt_u32_b32 v62, v62, v167
	ds_store_b32 v170, v62 offset:544
.LBB1010_772:                           ;   in Loop: Header=BB1010_722 Depth=2
	s_or_b32 exec_lo, exec_lo, s17
	v_xor_b32_e32 v166, 0xffff8000, v166
	; wave barrier
	s_delay_alu instid0(VALU_DEP_1) | instskip(NEXT) | instid1(VALU_DEP_1)
	v_and_b32_e32 v62, 0xffff, v166
	v_lshrrev_b32_e32 v62, s49, v62
	s_delay_alu instid0(VALU_DEP_1) | instskip(NEXT) | instid1(VALU_DEP_1)
	v_and_b32_e32 v175, s48, v62
	v_lshlrev_b32_e32 v172, 30, v175
	v_bitop3_b32 v63, v62, 1, s48 bitop3:0x80
	s_delay_alu instid0(VALU_DEP_1) | instskip(NEXT) | instid1(VALU_DEP_1)
	v_add_co_u32 v62, s17, v63, -1
	v_cndmask_b32_e64 v63, 0, 1, s17
	s_delay_alu instid0(VALU_DEP_4) | instskip(NEXT) | instid1(VALU_DEP_2)
	v_cmp_gt_i32_e64 s17, 0, v172
	v_cmp_ne_u32_e32 vcc_lo, 0, v63
	v_not_b32_e32 v63, v172
	v_bitop3_b32 v62, vcc_lo, exec_lo, v62 bitop3:0x48
	s_delay_alu instid0(VALU_DEP_2) | instskip(SKIP_2) | instid1(VALU_DEP_3)
	v_ashrrev_i32_e32 v63, 31, v63
	v_dual_lshlrev_b32 v173, 29, v175 :: v_dual_lshlrev_b32 v177, 28, v175
	v_dual_lshlrev_b32 v178, 27, v175 :: v_dual_lshlrev_b32 v179, 26, v175
	v_xor_b32_e32 v63, s17, v63
	s_delay_alu instid0(VALU_DEP_3)
	v_not_b32_e32 v172, v173
	v_lshlrev_b32_e32 v180, 25, v175
	v_cmp_gt_i32_e64 s18, 0, v173
	v_cmp_gt_i32_e64 s19, 0, v177
	v_not_b32_e32 v173, v177
	v_not_b32_e32 v177, v178
	v_ashrrev_i32_e32 v172, 31, v172
	v_cmp_gt_i32_e64 s20, 0, v178
	v_cmp_gt_i32_e64 s21, 0, v179
	v_ashrrev_i32_e32 v173, 31, v173
	s_delay_alu instid0(VALU_DEP_4) | instskip(SKIP_3) | instid1(VALU_DEP_4)
	v_dual_ashrrev_i32 v177, 31, v177 :: v_dual_bitop2_b32 v172, s18, v172 bitop3:0x14
	v_not_b32_e32 v178, v179
	v_not_b32_e32 v179, v180
	v_cmp_gt_i32_e64 s22, 0, v180
	v_xor_b32_e32 v177, s20, v177
	v_bitop3_b32 v62, v62, v172, v63 bitop3:0x80
	v_mad_u32_u24 v63, v175, 36, v23
	v_dual_ashrrev_i32 v178, 31, v178 :: v_dual_ashrrev_i32 v179, 31, v179
	ds_load_b32 v172, v63 offset:544
	v_mul_u32_u24_e32 v63, 36, v175
	v_xor_b32_e32 v173, s19, v173
	v_xor_b32_e32 v178, s21, v178
	;; [unrolled: 1-line block ×3, first 2 shown]
	s_delay_alu instid0(VALU_DEP_4) | instskip(NEXT) | instid1(VALU_DEP_4)
	v_add_nc_u32_e32 v175, v23, v63
	v_bitop3_b32 v62, v62, v177, v173 bitop3:0x80
	; wave barrier
	s_delay_alu instid0(VALU_DEP_1) | instskip(NEXT) | instid1(VALU_DEP_1)
	v_bitop3_b32 v62, v62, v179, v178 bitop3:0x80
	v_mbcnt_lo_u32_b32 v173, v62, 0
	v_cmp_ne_u32_e64 s17, 0, v62
	s_delay_alu instid0(VALU_DEP_2) | instskip(SKIP_1) | instid1(SALU_CYCLE_1)
	v_cmp_eq_u32_e32 vcc_lo, 0, v173
	s_and_b32 s18, s17, vcc_lo
	s_and_saveexec_b32 s17, s18
	s_cbranch_execz .LBB1010_774
; %bb.773:                              ;   in Loop: Header=BB1010_722 Depth=2
	s_wait_dscnt 0x0
	v_bcnt_u32_b32 v62, v62, v172
	ds_store_b32 v175, v62 offset:544
.LBB1010_774:                           ;   in Loop: Header=BB1010_722 Depth=2
	s_or_b32 exec_lo, exec_lo, s17
	v_xor_b32_e32 v171, 0xffff8000, v171
	; wave barrier
	s_delay_alu instid0(VALU_DEP_1) | instskip(NEXT) | instid1(VALU_DEP_1)
	v_and_b32_e32 v62, 0xffff, v171
	v_lshrrev_b32_e32 v62, s49, v62
	s_delay_alu instid0(VALU_DEP_1) | instskip(NEXT) | instid1(VALU_DEP_1)
	v_and_b32_e32 v179, s48, v62
	v_lshlrev_b32_e32 v177, 30, v179
	v_bitop3_b32 v63, v62, 1, s48 bitop3:0x80
	s_delay_alu instid0(VALU_DEP_1) | instskip(NEXT) | instid1(VALU_DEP_1)
	v_add_co_u32 v62, s17, v63, -1
	v_cndmask_b32_e64 v63, 0, 1, s17
	s_delay_alu instid0(VALU_DEP_4) | instskip(NEXT) | instid1(VALU_DEP_2)
	v_cmp_gt_i32_e64 s17, 0, v177
	v_cmp_ne_u32_e32 vcc_lo, 0, v63
	v_not_b32_e32 v63, v177
	v_bitop3_b32 v62, vcc_lo, exec_lo, v62 bitop3:0x48
	s_delay_alu instid0(VALU_DEP_2) | instskip(SKIP_2) | instid1(VALU_DEP_2)
	v_ashrrev_i32_e32 v63, 31, v63
	v_dual_lshlrev_b32 v178, 29, v179 :: v_dual_lshlrev_b32 v180, 28, v179
	v_dual_lshlrev_b32 v181, 27, v179 :: v_dual_lshlrev_b32 v182, 26, v179
	v_not_b32_e32 v177, v178
	v_lshlrev_b32_e32 v183, 25, v179
	v_cmp_gt_i32_e64 s18, 0, v178
	v_cmp_gt_i32_e64 s19, 0, v180
	v_not_b32_e32 v178, v180
	v_ashrrev_i32_e32 v177, 31, v177
	v_cmp_gt_i32_e64 s20, 0, v181
	v_not_b32_e32 v180, v181
	v_cmp_gt_i32_e64 s21, 0, v182
	v_not_b32_e32 v181, v182
	v_not_b32_e32 v182, v183
	v_xor_b32_e32 v63, s17, v63
	v_dual_ashrrev_i32 v178, 31, v178 :: v_dual_bitop2_b32 v177, s18, v177 bitop3:0x14
	s_delay_alu instid0(VALU_DEP_4) | instskip(NEXT) | instid1(VALU_DEP_4)
	v_dual_ashrrev_i32 v180, 31, v180 :: v_dual_ashrrev_i32 v181, 31, v181
	v_ashrrev_i32_e32 v182, 31, v182
	s_delay_alu instid0(VALU_DEP_3)
	v_bitop3_b32 v62, v62, v177, v63 bitop3:0x80
	v_mad_u32_u24 v63, v179, 36, v23
	v_cmp_gt_i32_e64 s22, 0, v183
	v_xor_b32_e32 v180, s20, v180
	v_xor_b32_e32 v181, s21, v181
	ds_load_b32 v177, v63 offset:544
	v_mul_u32_u24_e32 v63, 36, v179
	v_xor_b32_e32 v178, s19, v178
	v_xor_b32_e32 v182, s22, v182
	; wave barrier
	s_delay_alu instid0(VALU_DEP_3) | instskip(NEXT) | instid1(VALU_DEP_3)
	v_add_nc_u32_e32 v179, v23, v63
	v_bitop3_b32 v62, v62, v180, v178 bitop3:0x80
	s_delay_alu instid0(VALU_DEP_1) | instskip(NEXT) | instid1(VALU_DEP_1)
	v_bitop3_b32 v62, v62, v182, v181 bitop3:0x80
	v_mbcnt_lo_u32_b32 v178, v62, 0
	v_cmp_ne_u32_e64 s17, 0, v62
	s_delay_alu instid0(VALU_DEP_2) | instskip(SKIP_1) | instid1(SALU_CYCLE_1)
	v_cmp_eq_u32_e32 vcc_lo, 0, v178
	s_and_b32 s18, s17, vcc_lo
	s_and_saveexec_b32 s17, s18
	s_cbranch_execz .LBB1010_776
; %bb.775:                              ;   in Loop: Header=BB1010_722 Depth=2
	s_wait_dscnt 0x0
	v_bcnt_u32_b32 v62, v62, v177
	ds_store_b32 v179, v62 offset:544
.LBB1010_776:                           ;   in Loop: Header=BB1010_722 Depth=2
	s_or_b32 exec_lo, exec_lo, s17
	v_xor_b32_e32 v176, 0xffff8000, v176
	; wave barrier
	s_delay_alu instid0(VALU_DEP_1) | instskip(NEXT) | instid1(VALU_DEP_1)
	v_and_b32_e32 v62, 0xffff, v176
	v_lshrrev_b32_e32 v62, s49, v62
	s_delay_alu instid0(VALU_DEP_1) | instskip(SKIP_1) | instid1(VALU_DEP_2)
	v_bitop3_b32 v63, v62, 1, s48 bitop3:0x80
	v_and_b32_e32 v182, s48, v62
	v_add_co_u32 v62, s17, v63, -1
	s_delay_alu instid0(VALU_DEP_1) | instskip(NEXT) | instid1(VALU_DEP_3)
	v_cndmask_b32_e64 v63, 0, 1, s17
	v_dual_lshlrev_b32 v180, 30, v182 :: v_dual_lshlrev_b32 v181, 29, v182
	s_delay_alu instid0(VALU_DEP_2) | instskip(NEXT) | instid1(VALU_DEP_2)
	v_cmp_ne_u32_e32 vcc_lo, 0, v63
	v_cmp_gt_i32_e64 s17, 0, v180
	v_not_b32_e32 v63, v180
	s_delay_alu instid0(VALU_DEP_4) | instskip(SKIP_2) | instid1(VALU_DEP_3)
	v_not_b32_e32 v180, v181
	v_cmp_gt_i32_e64 s18, 0, v181
	v_bitop3_b32 v62, vcc_lo, exec_lo, v62 bitop3:0x48
	v_dual_ashrrev_i32 v63, 31, v63 :: v_dual_ashrrev_i32 v180, 31, v180
	v_dual_lshlrev_b32 v183, 28, v182 :: v_dual_lshlrev_b32 v184, 27, v182
	v_dual_lshlrev_b32 v185, 26, v182 :: v_dual_lshlrev_b32 v186, 25, v182
	s_delay_alu instid0(VALU_DEP_2) | instskip(SKIP_1) | instid1(VALU_DEP_4)
	v_cmp_gt_i32_e64 s19, 0, v183
	v_not_b32_e32 v181, v183
	v_cmp_gt_i32_e64 s20, 0, v184
	v_not_b32_e32 v183, v184
	;; [unrolled: 2-line block ×3, first 2 shown]
	v_not_b32_e32 v185, v186
	v_xor_b32_e32 v63, s17, v63
	v_dual_ashrrev_i32 v181, 31, v181 :: v_dual_bitop2_b32 v180, s18, v180 bitop3:0x14
	s_delay_alu instid0(VALU_DEP_4) | instskip(NEXT) | instid1(VALU_DEP_4)
	v_dual_ashrrev_i32 v183, 31, v183 :: v_dual_ashrrev_i32 v184, 31, v184
	v_ashrrev_i32_e32 v185, 31, v185
	s_delay_alu instid0(VALU_DEP_3)
	v_bitop3_b32 v62, v62, v180, v63 bitop3:0x80
	v_mad_u32_u24 v63, v182, 36, v23
	v_cmp_gt_i32_e64 s22, 0, v186
	v_xor_b32_e32 v183, s20, v183
	v_xor_b32_e32 v184, s21, v184
	ds_load_b32 v180, v63 offset:544
	v_mul_u32_u24_e32 v63, 36, v182
	v_xor_b32_e32 v181, s19, v181
	v_xor_b32_e32 v185, s22, v185
	; wave barrier
	s_delay_alu instid0(VALU_DEP_3) | instskip(NEXT) | instid1(VALU_DEP_3)
	v_add_nc_u32_e32 v182, v23, v63
	v_bitop3_b32 v62, v62, v183, v181 bitop3:0x80
	s_delay_alu instid0(VALU_DEP_1) | instskip(NEXT) | instid1(VALU_DEP_1)
	v_bitop3_b32 v62, v62, v185, v184 bitop3:0x80
	v_mbcnt_lo_u32_b32 v181, v62, 0
	v_cmp_ne_u32_e64 s17, 0, v62
	s_delay_alu instid0(VALU_DEP_2) | instskip(SKIP_1) | instid1(SALU_CYCLE_1)
	v_cmp_eq_u32_e32 vcc_lo, 0, v181
	s_and_b32 s18, s17, vcc_lo
	s_and_saveexec_b32 s17, s18
	s_cbranch_execz .LBB1010_778
; %bb.777:                              ;   in Loop: Header=BB1010_722 Depth=2
	s_wait_dscnt 0x0
	v_bcnt_u32_b32 v62, v62, v180
	ds_store_b32 v182, v62 offset:544
.LBB1010_778:                           ;   in Loop: Header=BB1010_722 Depth=2
	s_or_b32 exec_lo, exec_lo, s17
	v_xor_b32_e32 v174, 0xffff8000, v174
	; wave barrier
	s_delay_alu instid0(VALU_DEP_1) | instskip(NEXT) | instid1(VALU_DEP_1)
	v_and_b32_e32 v62, 0xffff, v174
	v_lshrrev_b32_e32 v62, s49, v62
	s_delay_alu instid0(VALU_DEP_1) | instskip(NEXT) | instid1(VALU_DEP_1)
	v_and_b32_e32 v185, s48, v62
	v_lshlrev_b32_e32 v183, 30, v185
	v_bitop3_b32 v63, v62, 1, s48 bitop3:0x80
	s_delay_alu instid0(VALU_DEP_1) | instskip(NEXT) | instid1(VALU_DEP_1)
	v_add_co_u32 v62, s17, v63, -1
	v_cndmask_b32_e64 v63, 0, 1, s17
	s_delay_alu instid0(VALU_DEP_4) | instskip(NEXT) | instid1(VALU_DEP_2)
	v_cmp_gt_i32_e64 s17, 0, v183
	v_cmp_ne_u32_e32 vcc_lo, 0, v63
	v_not_b32_e32 v63, v183
	v_bitop3_b32 v62, vcc_lo, exec_lo, v62 bitop3:0x48
	s_delay_alu instid0(VALU_DEP_2) | instskip(SKIP_2) | instid1(VALU_DEP_3)
	v_dual_ashrrev_i32 v63, 31, v63 :: v_dual_lshlrev_b32 v184, 29, v185
	v_dual_lshlrev_b32 v186, 28, v185 :: v_dual_lshlrev_b32 v187, 27, v185
	v_lshlrev_b32_e32 v188, 26, v185
	v_not_b32_e32 v183, v184
	v_lshlrev_b32_e32 v189, 25, v185
	v_cmp_gt_i32_e64 s18, 0, v184
	v_cmp_gt_i32_e64 s19, 0, v186
	v_not_b32_e32 v184, v186
	v_ashrrev_i32_e32 v183, 31, v183
	v_cmp_gt_i32_e64 s20, 0, v187
	v_not_b32_e32 v186, v187
	v_cmp_gt_i32_e64 s21, 0, v188
	v_not_b32_e32 v187, v188
	v_not_b32_e32 v188, v189
	v_xor_b32_e32 v63, s17, v63
	v_dual_ashrrev_i32 v184, 31, v184 :: v_dual_bitop2_b32 v183, s18, v183 bitop3:0x14
	s_delay_alu instid0(VALU_DEP_3) | instskip(SKIP_1) | instid1(VALU_DEP_3)
	v_dual_ashrrev_i32 v186, 31, v186 :: v_dual_ashrrev_i32 v188, 31, v188
	v_cmp_gt_i32_e64 s22, 0, v189
	v_bitop3_b32 v62, v62, v183, v63 bitop3:0x80
	v_mad_u32_u24 v63, v185, 36, v23
	v_dual_ashrrev_i32 v187, 31, v187 :: v_dual_bitop2_b32 v184, s19, v184 bitop3:0x14
	s_delay_alu instid0(VALU_DEP_4) | instskip(SKIP_4) | instid1(VALU_DEP_3)
	v_xor_b32_e32 v188, s22, v188
	ds_load_b32 v183, v63 offset:544
	v_mul_u32_u24_e32 v63, 36, v185
	v_xor_b32_e32 v186, s20, v186
	v_xor_b32_e32 v187, s21, v187
	; wave barrier
	v_add_nc_u32_e32 v185, v23, v63
	s_delay_alu instid0(VALU_DEP_3) | instskip(NEXT) | instid1(VALU_DEP_1)
	v_bitop3_b32 v62, v62, v186, v184 bitop3:0x80
	v_bitop3_b32 v62, v62, v188, v187 bitop3:0x80
	s_delay_alu instid0(VALU_DEP_1) | instskip(SKIP_1) | instid1(VALU_DEP_2)
	v_mbcnt_lo_u32_b32 v184, v62, 0
	v_cmp_ne_u32_e64 s17, 0, v62
	v_cmp_eq_u32_e32 vcc_lo, 0, v184
	s_and_b32 s18, s17, vcc_lo
	s_delay_alu instid0(SALU_CYCLE_1)
	s_and_saveexec_b32 s17, s18
	s_cbranch_execz .LBB1010_780
; %bb.779:                              ;   in Loop: Header=BB1010_722 Depth=2
	s_wait_dscnt 0x0
	v_bcnt_u32_b32 v62, v62, v183
	ds_store_b32 v185, v62 offset:544
.LBB1010_780:                           ;   in Loop: Header=BB1010_722 Depth=2
	s_or_b32 exec_lo, exec_lo, s17
	v_xor_b32_e32 v169, 0xffff8000, v169
	; wave barrier
	s_delay_alu instid0(VALU_DEP_1) | instskip(NEXT) | instid1(VALU_DEP_1)
	v_and_b32_e32 v62, 0xffff, v169
	v_lshrrev_b32_e32 v62, s49, v62
	s_delay_alu instid0(VALU_DEP_1) | instskip(SKIP_1) | instid1(VALU_DEP_2)
	v_bitop3_b32 v63, v62, 1, s48 bitop3:0x80
	v_and_b32_e32 v186, s48, v62
	v_add_co_u32 v62, s17, v63, -1
	s_delay_alu instid0(VALU_DEP_1) | instskip(NEXT) | instid1(VALU_DEP_3)
	v_cndmask_b32_e64 v63, 0, 1, s17
	v_dual_lshlrev_b32 v187, 30, v186 :: v_dual_lshlrev_b32 v188, 29, v186
	s_delay_alu instid0(VALU_DEP_2) | instskip(NEXT) | instid1(VALU_DEP_2)
	v_cmp_ne_u32_e32 vcc_lo, 0, v63
	v_cmp_gt_i32_e64 s17, 0, v187
	v_not_b32_e32 v63, v187
	s_delay_alu instid0(VALU_DEP_4) | instskip(SKIP_2) | instid1(VALU_DEP_4)
	v_not_b32_e32 v187, v188
	v_cmp_gt_i32_e64 s18, 0, v188
	v_bitop3_b32 v62, vcc_lo, exec_lo, v62 bitop3:0x48
	v_ashrrev_i32_e32 v63, 31, v63
	s_delay_alu instid0(VALU_DEP_4) | instskip(SKIP_1) | instid1(VALU_DEP_2)
	v_dual_ashrrev_i32 v187, 31, v187 :: v_dual_lshlrev_b32 v189, 28, v186
	v_dual_lshlrev_b32 v190, 27, v186 :: v_dual_lshlrev_b32 v191, 26, v186
	v_dual_lshlrev_b32 v192, 25, v186 :: v_dual_bitop2_b32 v187, s18, v187 bitop3:0x14
	s_delay_alu instid0(VALU_DEP_3) | instskip(SKIP_1) | instid1(VALU_DEP_4)
	v_cmp_gt_i32_e64 s19, 0, v189
	v_not_b32_e32 v188, v189
	v_cmp_gt_i32_e64 s20, 0, v190
	v_not_b32_e32 v189, v190
	v_not_b32_e32 v190, v191
	v_xor_b32_e32 v63, s17, v63
	v_cmp_gt_i32_e64 s21, 0, v191
	v_not_b32_e32 v191, v192
	v_dual_ashrrev_i32 v188, 31, v188 :: v_dual_ashrrev_i32 v189, 31, v189
	v_ashrrev_i32_e32 v190, 31, v190
	v_bitop3_b32 v62, v62, v187, v63 bitop3:0x80
	v_mad_u32_u24 v63, v186, 36, v23
	v_cmp_gt_i32_e64 s22, 0, v192
	v_dual_ashrrev_i32 v191, 31, v191 :: v_dual_bitop2_b32 v188, s19, v188 bitop3:0x14
	v_xor_b32_e32 v190, s21, v190
	ds_load_b32 v187, v63 offset:544
	v_mul_u32_u24_e32 v63, 36, v186
	v_xor_b32_e32 v189, s20, v189
	v_xor_b32_e32 v191, s22, v191
	; wave barrier
	s_delay_alu instid0(VALU_DEP_2) | instskip(NEXT) | instid1(VALU_DEP_1)
	v_bitop3_b32 v62, v62, v189, v188 bitop3:0x80
	v_bitop3_b32 v62, v62, v191, v190 bitop3:0x80
	v_add_nc_u32_e32 v190, v23, v63
	s_delay_alu instid0(VALU_DEP_2) | instskip(SKIP_1) | instid1(VALU_DEP_2)
	v_mbcnt_lo_u32_b32 v188, v62, 0
	v_cmp_ne_u32_e64 s17, 0, v62
	v_cmp_eq_u32_e32 vcc_lo, 0, v188
	s_and_b32 s18, s17, vcc_lo
	s_delay_alu instid0(SALU_CYCLE_1)
	s_and_saveexec_b32 s17, s18
	s_cbranch_execz .LBB1010_782
; %bb.781:                              ;   in Loop: Header=BB1010_722 Depth=2
	s_wait_dscnt 0x0
	v_bcnt_u32_b32 v62, v62, v187
	ds_store_b32 v190, v62 offset:544
.LBB1010_782:                           ;   in Loop: Header=BB1010_722 Depth=2
	s_or_b32 exec_lo, exec_lo, s17
	v_xor_b32_e32 v186, 0xffff8000, v164
	; wave barrier
	s_delay_alu instid0(VALU_DEP_1) | instskip(NEXT) | instid1(VALU_DEP_1)
	v_and_b32_e32 v62, 0xffff, v186
	v_lshrrev_b32_e32 v62, s49, v62
	s_delay_alu instid0(VALU_DEP_1) | instskip(NEXT) | instid1(VALU_DEP_1)
	v_and_b32_e32 v164, s48, v62
	v_lshlrev_b32_e32 v189, 30, v164
	v_bitop3_b32 v63, v62, 1, s48 bitop3:0x80
	s_delay_alu instid0(VALU_DEP_1) | instskip(NEXT) | instid1(VALU_DEP_1)
	v_add_co_u32 v62, s17, v63, -1
	v_cndmask_b32_e64 v63, 0, 1, s17
	s_delay_alu instid0(VALU_DEP_4) | instskip(NEXT) | instid1(VALU_DEP_2)
	v_cmp_gt_i32_e64 s17, 0, v189
	v_cmp_ne_u32_e32 vcc_lo, 0, v63
	v_not_b32_e32 v63, v189
	v_bitop3_b32 v62, vcc_lo, exec_lo, v62 bitop3:0x48
	s_delay_alu instid0(VALU_DEP_2) | instskip(SKIP_2) | instid1(VALU_DEP_3)
	v_dual_ashrrev_i32 v63, 31, v63 :: v_dual_lshlrev_b32 v191, 29, v164
	v_dual_lshlrev_b32 v192, 28, v164 :: v_dual_lshlrev_b32 v193, 27, v164
	v_lshlrev_b32_e32 v194, 26, v164
	v_not_b32_e32 v189, v191
	v_lshlrev_b32_e32 v195, 25, v164
	v_cmp_gt_i32_e64 s18, 0, v191
	v_cmp_gt_i32_e64 s19, 0, v192
	v_not_b32_e32 v191, v192
	v_not_b32_e32 v192, v193
	v_ashrrev_i32_e32 v189, 31, v189
	v_cmp_gt_i32_e64 s20, 0, v193
	v_cmp_gt_i32_e64 s21, 0, v194
	v_not_b32_e32 v193, v194
	v_not_b32_e32 v194, v195
	v_dual_ashrrev_i32 v191, 31, v191 :: v_dual_ashrrev_i32 v192, 31, v192
	s_delay_alu instid0(VALU_DEP_3) | instskip(NEXT) | instid1(VALU_DEP_3)
	v_dual_ashrrev_i32 v193, 31, v193 :: v_dual_bitop2_b32 v63, s17, v63 bitop3:0x14
	v_dual_ashrrev_i32 v194, 31, v194 :: v_dual_bitop2_b32 v189, s18, v189 bitop3:0x14
	v_cmp_gt_i32_e64 s22, 0, v195
	s_delay_alu instid0(VALU_DEP_4) | instskip(SKIP_1) | instid1(VALU_DEP_4)
	v_xor_b32_e32 v191, s19, v191
	v_xor_b32_e32 v192, s20, v192
	v_bitop3_b32 v62, v62, v189, v63 bitop3:0x80
	v_mad_u32_u24 v63, v164, 36, v23
	v_xor_b32_e32 v189, s21, v193
	v_xor_b32_e32 v193, s22, v194
	s_delay_alu instid0(VALU_DEP_4) | instskip(SKIP_3) | instid1(VALU_DEP_2)
	v_bitop3_b32 v62, v62, v192, v191 bitop3:0x80
	ds_load_b32 v191, v63 offset:544
	v_mul_u32_u24_e32 v63, 36, v164
	; wave barrier
	v_bitop3_b32 v62, v62, v193, v189 bitop3:0x80
	v_add_nc_u32_e32 v164, v23, v63
	s_delay_alu instid0(VALU_DEP_2) | instskip(SKIP_1) | instid1(VALU_DEP_2)
	v_mbcnt_lo_u32_b32 v192, v62, 0
	v_cmp_ne_u32_e64 s17, 0, v62
	v_cmp_eq_u32_e32 vcc_lo, 0, v192
	s_and_b32 s18, s17, vcc_lo
	s_delay_alu instid0(SALU_CYCLE_1)
	s_and_saveexec_b32 s17, s18
	s_cbranch_execz .LBB1010_784
; %bb.783:                              ;   in Loop: Header=BB1010_722 Depth=2
	s_wait_dscnt 0x0
	v_bcnt_u32_b32 v62, v62, v191
	ds_store_b32 v164, v62 offset:544
.LBB1010_784:                           ;   in Loop: Header=BB1010_722 Depth=2
	s_or_b32 exec_lo, exec_lo, s17
	v_xor_b32_e32 v189, 0xffff8000, v161
	; wave barrier
	s_delay_alu instid0(VALU_DEP_1) | instskip(NEXT) | instid1(VALU_DEP_1)
	v_and_b32_e32 v62, 0xffff, v189
	v_lshrrev_b32_e32 v62, s49, v62
	s_delay_alu instid0(VALU_DEP_1) | instskip(NEXT) | instid1(VALU_DEP_1)
	v_and_b32_e32 v161, s48, v62
	v_lshlrev_b32_e32 v193, 30, v161
	v_bitop3_b32 v63, v62, 1, s48 bitop3:0x80
	s_delay_alu instid0(VALU_DEP_1) | instskip(NEXT) | instid1(VALU_DEP_1)
	v_add_co_u32 v62, s17, v63, -1
	v_cndmask_b32_e64 v63, 0, 1, s17
	s_delay_alu instid0(VALU_DEP_4) | instskip(NEXT) | instid1(VALU_DEP_2)
	v_cmp_gt_i32_e64 s17, 0, v193
	v_cmp_ne_u32_e32 vcc_lo, 0, v63
	v_not_b32_e32 v63, v193
	v_bitop3_b32 v62, vcc_lo, exec_lo, v62 bitop3:0x48
	s_delay_alu instid0(VALU_DEP_2) | instskip(SKIP_2) | instid1(VALU_DEP_3)
	v_dual_ashrrev_i32 v63, 31, v63 :: v_dual_lshlrev_b32 v194, 29, v161
	v_dual_lshlrev_b32 v195, 28, v161 :: v_dual_lshlrev_b32 v196, 27, v161
	v_lshlrev_b32_e32 v197, 26, v161
	v_not_b32_e32 v193, v194
	v_cmp_gt_i32_e64 s18, 0, v194
	s_delay_alu instid0(VALU_DEP_4)
	v_cmp_gt_i32_e64 s19, 0, v195
	v_not_b32_e32 v194, v195
	v_lshlrev_b32_e32 v198, 25, v161
	v_not_b32_e32 v195, v196
	v_ashrrev_i32_e32 v193, 31, v193
	v_cmp_gt_i32_e64 s20, 0, v196
	v_cmp_gt_i32_e64 s21, 0, v197
	v_not_b32_e32 v196, v197
	v_ashrrev_i32_e32 v194, 31, v194
	v_not_b32_e32 v197, v198
	v_ashrrev_i32_e32 v195, 31, v195
	s_delay_alu instid0(VALU_DEP_4) | instskip(SKIP_4) | instid1(VALU_DEP_4)
	v_dual_ashrrev_i32 v196, 31, v196 :: v_dual_bitop2_b32 v63, s17, v63 bitop3:0x14
	v_xor_b32_e32 v193, s18, v193
	v_cmp_gt_i32_e64 s22, 0, v198
	v_dual_ashrrev_i32 v197, 31, v197 :: v_dual_bitop2_b32 v194, s19, v194 bitop3:0x14
	v_xor_b32_e32 v195, s20, v195
	v_bitop3_b32 v62, v62, v193, v63 bitop3:0x80
	v_mad_u32_u24 v63, v161, 36, v23
	v_xor_b32_e32 v193, s21, v196
	v_xor_b32_e32 v196, s22, v197
	s_delay_alu instid0(VALU_DEP_4) | instskip(SKIP_3) | instid1(VALU_DEP_2)
	v_bitop3_b32 v62, v62, v195, v194 bitop3:0x80
	ds_load_b32 v194, v63 offset:544
	v_mul_u32_u24_e32 v63, 36, v161
	; wave barrier
	v_bitop3_b32 v62, v62, v196, v193 bitop3:0x80
	v_add_nc_u32_e32 v161, v23, v63
	s_delay_alu instid0(VALU_DEP_2) | instskip(SKIP_1) | instid1(VALU_DEP_2)
	v_mbcnt_lo_u32_b32 v195, v62, 0
	v_cmp_ne_u32_e64 s17, 0, v62
	v_cmp_eq_u32_e32 vcc_lo, 0, v195
	s_and_b32 s18, s17, vcc_lo
	s_delay_alu instid0(SALU_CYCLE_1)
	s_and_saveexec_b32 s17, s18
	s_cbranch_execz .LBB1010_786
; %bb.785:                              ;   in Loop: Header=BB1010_722 Depth=2
	s_wait_dscnt 0x0
	v_bcnt_u32_b32 v62, v62, v194
	ds_store_b32 v161, v62 offset:544
.LBB1010_786:                           ;   in Loop: Header=BB1010_722 Depth=2
	s_or_b32 exec_lo, exec_lo, s17
	v_xor_b32_e32 v193, 0xffff8000, v156
	; wave barrier
	s_delay_alu instid0(VALU_DEP_1) | instskip(NEXT) | instid1(VALU_DEP_1)
	v_and_b32_e32 v62, 0xffff, v193
	v_lshrrev_b32_e32 v62, s49, v62
	s_delay_alu instid0(VALU_DEP_1) | instskip(NEXT) | instid1(VALU_DEP_1)
	v_and_b32_e32 v156, s48, v62
	v_lshlrev_b32_e32 v196, 30, v156
	v_bitop3_b32 v63, v62, 1, s48 bitop3:0x80
	s_delay_alu instid0(VALU_DEP_1) | instskip(NEXT) | instid1(VALU_DEP_1)
	v_add_co_u32 v62, s17, v63, -1
	v_cndmask_b32_e64 v63, 0, 1, s17
	s_delay_alu instid0(VALU_DEP_4) | instskip(NEXT) | instid1(VALU_DEP_2)
	v_cmp_gt_i32_e64 s17, 0, v196
	v_cmp_ne_u32_e32 vcc_lo, 0, v63
	v_not_b32_e32 v63, v196
	v_bitop3_b32 v62, vcc_lo, exec_lo, v62 bitop3:0x48
	s_delay_alu instid0(VALU_DEP_2) | instskip(SKIP_2) | instid1(VALU_DEP_3)
	v_dual_ashrrev_i32 v63, 31, v63 :: v_dual_lshlrev_b32 v197, 29, v156
	v_dual_lshlrev_b32 v198, 28, v156 :: v_dual_lshlrev_b32 v199, 27, v156
	v_lshlrev_b32_e32 v200, 26, v156
	v_not_b32_e32 v196, v197
	v_cmp_gt_i32_e64 s18, 0, v197
	s_delay_alu instid0(VALU_DEP_4)
	v_cmp_gt_i32_e64 s19, 0, v198
	v_not_b32_e32 v197, v198
	v_lshlrev_b32_e32 v201, 25, v156
	v_not_b32_e32 v198, v199
	v_ashrrev_i32_e32 v196, 31, v196
	v_cmp_gt_i32_e64 s20, 0, v199
	v_cmp_gt_i32_e64 s21, 0, v200
	v_not_b32_e32 v199, v200
	v_ashrrev_i32_e32 v197, 31, v197
	v_not_b32_e32 v200, v201
	v_dual_ashrrev_i32 v198, 31, v198 :: v_dual_bitop2_b32 v63, s17, v63 bitop3:0x14
	s_delay_alu instid0(VALU_DEP_4) | instskip(SKIP_1) | instid1(VALU_DEP_4)
	v_dual_ashrrev_i32 v199, 31, v199 :: v_dual_bitop2_b32 v196, s18, v196 bitop3:0x14
	v_cmp_gt_i32_e64 s22, 0, v201
	v_dual_ashrrev_i32 v200, 31, v200 :: v_dual_bitop2_b32 v197, s19, v197 bitop3:0x14
	s_delay_alu instid0(VALU_DEP_4) | instskip(NEXT) | instid1(VALU_DEP_4)
	v_xor_b32_e32 v198, s20, v198
	v_bitop3_b32 v62, v62, v196, v63 bitop3:0x80
	v_mad_u32_u24 v63, v156, 36, v23
	v_xor_b32_e32 v196, s21, v199
	v_xor_b32_e32 v199, s22, v200
	s_delay_alu instid0(VALU_DEP_4) | instskip(SKIP_3) | instid1(VALU_DEP_2)
	v_bitop3_b32 v62, v62, v198, v197 bitop3:0x80
	ds_load_b32 v197, v63 offset:544
	v_mul_u32_u24_e32 v63, 36, v156
	; wave barrier
	v_bitop3_b32 v62, v62, v199, v196 bitop3:0x80
	v_add_nc_u32_e32 v156, v23, v63
	s_delay_alu instid0(VALU_DEP_2) | instskip(SKIP_1) | instid1(VALU_DEP_2)
	v_mbcnt_lo_u32_b32 v198, v62, 0
	v_cmp_ne_u32_e64 s17, 0, v62
	v_cmp_eq_u32_e32 vcc_lo, 0, v198
	s_and_b32 s18, s17, vcc_lo
	s_delay_alu instid0(SALU_CYCLE_1)
	s_and_saveexec_b32 s17, s18
	s_cbranch_execz .LBB1010_788
; %bb.787:                              ;   in Loop: Header=BB1010_722 Depth=2
	s_wait_dscnt 0x0
	v_bcnt_u32_b32 v62, v62, v197
	ds_store_b32 v156, v62 offset:544
.LBB1010_788:                           ;   in Loop: Header=BB1010_722 Depth=2
	s_or_b32 exec_lo, exec_lo, s17
	v_xor_b32_e32 v196, 0xffff8000, v65
	; wave barrier
	s_delay_alu instid0(VALU_DEP_1) | instskip(NEXT) | instid1(VALU_DEP_1)
	v_and_b32_e32 v62, 0xffff, v196
	v_lshrrev_b32_e32 v62, s49, v62
	s_delay_alu instid0(VALU_DEP_1) | instskip(NEXT) | instid1(VALU_DEP_1)
	v_and_b32_e32 v65, s48, v62
	v_lshlrev_b32_e32 v199, 30, v65
	v_bitop3_b32 v63, v62, 1, s48 bitop3:0x80
	s_delay_alu instid0(VALU_DEP_1) | instskip(NEXT) | instid1(VALU_DEP_1)
	v_add_co_u32 v62, s17, v63, -1
	v_cndmask_b32_e64 v63, 0, 1, s17
	s_delay_alu instid0(VALU_DEP_4) | instskip(NEXT) | instid1(VALU_DEP_2)
	v_cmp_gt_i32_e64 s17, 0, v199
	v_cmp_ne_u32_e32 vcc_lo, 0, v63
	v_not_b32_e32 v63, v199
	v_bitop3_b32 v62, vcc_lo, exec_lo, v62 bitop3:0x48
	s_delay_alu instid0(VALU_DEP_2) | instskip(SKIP_2) | instid1(VALU_DEP_3)
	v_dual_ashrrev_i32 v63, 31, v63 :: v_dual_lshlrev_b32 v200, 29, v65
	v_dual_lshlrev_b32 v201, 28, v65 :: v_dual_lshlrev_b32 v202, 27, v65
	v_lshlrev_b32_e32 v203, 26, v65
	v_not_b32_e32 v199, v200
	v_lshlrev_b32_e32 v204, 25, v65
	v_cmp_gt_i32_e64 s18, 0, v200
	v_cmp_gt_i32_e64 s19, 0, v201
	v_not_b32_e32 v200, v201
	v_not_b32_e32 v201, v202
	v_ashrrev_i32_e32 v199, 31, v199
	v_cmp_gt_i32_e64 s20, 0, v202
	v_cmp_gt_i32_e64 s21, 0, v203
	v_not_b32_e32 v202, v203
	v_not_b32_e32 v203, v204
	v_dual_ashrrev_i32 v200, 31, v200 :: v_dual_ashrrev_i32 v201, 31, v201
	s_delay_alu instid0(VALU_DEP_3) | instskip(SKIP_2) | instid1(VALU_DEP_4)
	v_dual_ashrrev_i32 v202, 31, v202 :: v_dual_bitop2_b32 v63, s17, v63 bitop3:0x14
	v_xor_b32_e32 v199, s18, v199
	v_cmp_gt_i32_e64 s22, 0, v204
	v_dual_ashrrev_i32 v203, 31, v203 :: v_dual_bitop2_b32 v200, s19, v200 bitop3:0x14
	v_xor_b32_e32 v201, s20, v201
	s_delay_alu instid0(VALU_DEP_4) | instskip(SKIP_3) | instid1(VALU_DEP_4)
	v_bitop3_b32 v62, v62, v199, v63 bitop3:0x80
	v_mad_u32_u24 v63, v65, 36, v23
	v_xor_b32_e32 v199, s21, v202
	v_xor_b32_e32 v202, s22, v203
	v_bitop3_b32 v62, v62, v201, v200 bitop3:0x80
	ds_load_b32 v200, v63 offset:544
	v_mul_u32_u24_e32 v63, 36, v65
	; wave barrier
	v_bitop3_b32 v62, v62, v202, v199 bitop3:0x80
	s_delay_alu instid0(VALU_DEP_2) | instskip(NEXT) | instid1(VALU_DEP_2)
	v_add_nc_u32_e32 v202, v23, v63
	v_mbcnt_lo_u32_b32 v201, v62, 0
	v_cmp_ne_u32_e64 s17, 0, v62
	s_delay_alu instid0(VALU_DEP_2) | instskip(SKIP_1) | instid1(SALU_CYCLE_1)
	v_cmp_eq_u32_e32 vcc_lo, 0, v201
	s_and_b32 s18, s17, vcc_lo
	s_and_saveexec_b32 s17, s18
	s_cbranch_execz .LBB1010_790
; %bb.789:                              ;   in Loop: Header=BB1010_722 Depth=2
	s_wait_dscnt 0x0
	v_bcnt_u32_b32 v62, v62, v200
	ds_store_b32 v202, v62 offset:544
.LBB1010_790:                           ;   in Loop: Header=BB1010_722 Depth=2
	s_or_b32 exec_lo, exec_lo, s17
	v_xor_b32_e32 v199, 0xffff8000, v64
	; wave barrier
	s_delay_alu instid0(VALU_DEP_1) | instskip(NEXT) | instid1(VALU_DEP_1)
	v_and_b32_e32 v62, 0xffff, v199
	v_lshrrev_b32_e32 v62, s49, v62
	s_delay_alu instid0(VALU_DEP_1) | instskip(NEXT) | instid1(VALU_DEP_1)
	v_and_b32_e32 v64, s48, v62
	v_lshlrev_b32_e32 v65, 30, v64
	v_bitop3_b32 v63, v62, 1, s48 bitop3:0x80
	s_delay_alu instid0(VALU_DEP_1) | instskip(NEXT) | instid1(VALU_DEP_1)
	v_add_co_u32 v62, s17, v63, -1
	v_cndmask_b32_e64 v63, 0, 1, s17
	s_delay_alu instid0(VALU_DEP_4) | instskip(NEXT) | instid1(VALU_DEP_2)
	v_cmp_gt_i32_e64 s17, 0, v65
	v_cmp_ne_u32_e32 vcc_lo, 0, v63
	v_not_b32_e32 v63, v65
	v_bitop3_b32 v62, vcc_lo, exec_lo, v62 bitop3:0x48
	s_delay_alu instid0(VALU_DEP_2) | instskip(SKIP_2) | instid1(VALU_DEP_3)
	v_dual_ashrrev_i32 v63, 31, v63 :: v_dual_lshlrev_b32 v203, 29, v64
	v_dual_lshlrev_b32 v204, 28, v64 :: v_dual_lshlrev_b32 v205, 27, v64
	v_lshlrev_b32_e32 v206, 26, v64
	v_not_b32_e32 v65, v203
	v_lshlrev_b32_e32 v207, 25, v64
	v_cmp_gt_i32_e64 s18, 0, v203
	v_cmp_gt_i32_e64 s19, 0, v204
	v_not_b32_e32 v203, v204
	v_not_b32_e32 v204, v205
	v_ashrrev_i32_e32 v65, 31, v65
	v_cmp_gt_i32_e64 s20, 0, v205
	v_cmp_gt_i32_e64 s21, 0, v206
	v_not_b32_e32 v205, v206
	v_not_b32_e32 v206, v207
	v_dual_ashrrev_i32 v203, 31, v203 :: v_dual_ashrrev_i32 v204, 31, v204
	s_delay_alu instid0(VALU_DEP_3) | instskip(NEXT) | instid1(VALU_DEP_3)
	v_dual_ashrrev_i32 v205, 31, v205 :: v_dual_bitop2_b32 v63, s17, v63 bitop3:0x14
	v_dual_ashrrev_i32 v206, 31, v206 :: v_dual_bitop2_b32 v65, s18, v65 bitop3:0x14
	v_cmp_gt_i32_e64 s22, 0, v207
	s_delay_alu instid0(VALU_DEP_4) | instskip(SKIP_1) | instid1(VALU_DEP_4)
	v_xor_b32_e32 v203, s19, v203
	v_xor_b32_e32 v204, s20, v204
	v_bitop3_b32 v62, v62, v65, v63 bitop3:0x80
	v_mad_u32_u24 v63, v64, 36, v23
	v_xor_b32_e32 v65, s21, v205
	v_xor_b32_e32 v205, s22, v206
	s_delay_alu instid0(VALU_DEP_4) | instskip(SKIP_3) | instid1(VALU_DEP_2)
	v_bitop3_b32 v62, v62, v204, v203 bitop3:0x80
	ds_load_b32 v203, v63 offset:544
	v_mul_u32_u24_e32 v63, 36, v64
	; wave barrier
	v_bitop3_b32 v62, v62, v205, v65 bitop3:0x80
	v_add_nc_u32_e32 v205, v23, v63
	s_delay_alu instid0(VALU_DEP_2) | instskip(SKIP_1) | instid1(VALU_DEP_2)
	v_mbcnt_lo_u32_b32 v204, v62, 0
	v_cmp_ne_u32_e64 s17, 0, v62
	v_cmp_eq_u32_e32 vcc_lo, 0, v204
	s_and_b32 s18, s17, vcc_lo
	s_delay_alu instid0(SALU_CYCLE_1)
	s_and_saveexec_b32 s17, s18
	s_cbranch_execz .LBB1010_792
; %bb.791:                              ;   in Loop: Header=BB1010_722 Depth=2
	s_wait_dscnt 0x0
	v_bcnt_u32_b32 v62, v62, v203
	ds_store_b32 v205, v62 offset:544
.LBB1010_792:                           ;   in Loop: Header=BB1010_722 Depth=2
	s_or_b32 exec_lo, exec_lo, s17
	v_and_b32_e32 v62, 0xffff, v142
	; wave barrier
	s_delay_alu instid0(VALU_DEP_1) | instskip(NEXT) | instid1(VALU_DEP_1)
	v_lshrrev_b32_e32 v62, s49, v62
	v_and_b32_e32 v64, s48, v62
	s_delay_alu instid0(VALU_DEP_1) | instskip(SKIP_1) | instid1(VALU_DEP_1)
	v_lshlrev_b32_e32 v65, 30, v64
	v_bitop3_b32 v63, v62, 1, s48 bitop3:0x80
	v_add_co_u32 v62, s17, v63, -1
	s_delay_alu instid0(VALU_DEP_1) | instskip(NEXT) | instid1(VALU_DEP_4)
	v_cndmask_b32_e64 v63, 0, 1, s17
	v_cmp_gt_i32_e64 s17, 0, v65
	s_delay_alu instid0(VALU_DEP_2) | instskip(SKIP_2) | instid1(VALU_DEP_2)
	v_cmp_ne_u32_e32 vcc_lo, 0, v63
	v_not_b32_e32 v63, v65
	v_bitop3_b32 v62, vcc_lo, exec_lo, v62 bitop3:0x48
	v_dual_ashrrev_i32 v63, 31, v63 :: v_dual_lshlrev_b32 v206, 29, v64
	v_dual_lshlrev_b32 v207, 28, v64 :: v_dual_lshlrev_b32 v208, 27, v64
	v_lshlrev_b32_e32 v209, 26, v64
	s_delay_alu instid0(VALU_DEP_3)
	v_not_b32_e32 v65, v206
	v_lshlrev_b32_e32 v210, 25, v64
	v_cmp_gt_i32_e64 s18, 0, v206
	v_cmp_gt_i32_e64 s19, 0, v207
	v_not_b32_e32 v206, v207
	v_not_b32_e32 v207, v208
	v_ashrrev_i32_e32 v65, 31, v65
	v_cmp_gt_i32_e64 s20, 0, v208
	v_cmp_gt_i32_e64 s21, 0, v209
	v_not_b32_e32 v208, v209
	v_dual_ashrrev_i32 v206, 31, v206 :: v_dual_ashrrev_i32 v207, 31, v207
	v_xor_b32_e32 v63, s17, v63
	v_xor_b32_e32 v65, s18, v65
	v_not_b32_e32 v209, v210
	s_delay_alu instid0(VALU_DEP_4) | instskip(SKIP_1) | instid1(VALU_DEP_4)
	v_dual_ashrrev_i32 v208, 31, v208 :: v_dual_bitop2_b32 v206, s19, v206 bitop3:0x14
	v_xor_b32_e32 v207, s20, v207
	v_bitop3_b32 v62, v62, v65, v63 bitop3:0x80
	v_cmp_gt_i32_e32 vcc_lo, 0, v210
	v_ashrrev_i32_e32 v63, 31, v209
	v_mad_u32_u24 v65, v64, 36, v23
	v_xor_b32_e32 v208, s21, v208
	v_bitop3_b32 v62, v62, v207, v206 bitop3:0x80
	s_delay_alu instid0(VALU_DEP_4) | instskip(SKIP_3) | instid1(VALU_DEP_2)
	v_xor_b32_e32 v63, vcc_lo, v63
	ds_load_b32 v206, v65 offset:544
	; wave barrier
	v_bitop3_b32 v62, v62, v63, v208 bitop3:0x80
	v_mul_u32_u24_e32 v63, 36, v64
	v_mbcnt_lo_u32_b32 v207, v62, 0
	v_cmp_ne_u32_e64 s17, 0, v62
	s_delay_alu instid0(VALU_DEP_3) | instskip(NEXT) | instid1(VALU_DEP_3)
	v_add_nc_u32_e32 v208, v23, v63
	v_cmp_eq_u32_e32 vcc_lo, 0, v207
	s_and_b32 s18, s17, vcc_lo
	s_delay_alu instid0(SALU_CYCLE_1)
	s_and_saveexec_b32 s17, s18
	s_cbranch_execz .LBB1010_794
; %bb.793:                              ;   in Loop: Header=BB1010_722 Depth=2
	s_wait_dscnt 0x0
	v_bcnt_u32_b32 v62, v62, v206
	ds_store_b32 v208, v62 offset:544
.LBB1010_794:                           ;   in Loop: Header=BB1010_722 Depth=2
	s_or_b32 exec_lo, exec_lo, s17
	; wave barrier
	s_wait_dscnt 0x0
	s_barrier_signal -1
	s_barrier_wait -1
	ds_load_2addr_b32 v[64:65], v89 offset0:136 offset1:137
	ds_load_2addr_b32 v[62:63], v89 offset0:138 offset1:139
	ds_load_b32 v209, v89 offset:560
	s_wait_dscnt 0x1
	v_add3_u32 v210, v65, v64, v62
	s_wait_dscnt 0x0
	s_delay_alu instid0(VALU_DEP_1) | instskip(NEXT) | instid1(VALU_DEP_1)
	v_add3_u32 v209, v210, v63, v209
	v_mov_b32_dpp v210, v209 row_shr:1 row_mask:0xf bank_mask:0xf
	s_delay_alu instid0(VALU_DEP_1) | instskip(NEXT) | instid1(VALU_DEP_1)
	v_cndmask_b32_e64 v210, v210, 0, s9
	v_add_nc_u32_e32 v209, v210, v209
	s_delay_alu instid0(VALU_DEP_1) | instskip(NEXT) | instid1(VALU_DEP_1)
	v_mov_b32_dpp v210, v209 row_shr:2 row_mask:0xf bank_mask:0xf
	v_cndmask_b32_e64 v210, 0, v210, s10
	s_delay_alu instid0(VALU_DEP_1) | instskip(NEXT) | instid1(VALU_DEP_1)
	v_add_nc_u32_e32 v209, v209, v210
	v_mov_b32_dpp v210, v209 row_shr:4 row_mask:0xf bank_mask:0xf
	s_delay_alu instid0(VALU_DEP_1) | instskip(NEXT) | instid1(VALU_DEP_1)
	v_cndmask_b32_e64 v210, 0, v210, s11
	v_add_nc_u32_e32 v209, v209, v210
	s_delay_alu instid0(VALU_DEP_1) | instskip(NEXT) | instid1(VALU_DEP_1)
	v_mov_b32_dpp v210, v209 row_shr:8 row_mask:0xf bank_mask:0xf
	v_cndmask_b32_e64 v210, 0, v210, s12
	s_delay_alu instid0(VALU_DEP_1) | instskip(SKIP_3) | instid1(VALU_DEP_1)
	v_add_nc_u32_e32 v209, v209, v210
	ds_swizzle_b32 v210, v209 offset:swizzle(BROADCAST,32,15)
	s_wait_dscnt 0x0
	v_cndmask_b32_e64 v210, v210, 0, s13
	v_add_nc_u32_e32 v209, v209, v210
	s_and_saveexec_b32 s17, s2
; %bb.795:                              ;   in Loop: Header=BB1010_722 Depth=2
	ds_store_b32 v82, v209 offset:512
; %bb.796:                              ;   in Loop: Header=BB1010_722 Depth=2
	s_or_b32 exec_lo, exec_lo, s17
	s_wait_dscnt 0x0
	s_barrier_signal -1
	s_barrier_wait -1
	s_and_saveexec_b32 s17, s3
	s_cbranch_execz .LBB1010_798
; %bb.797:                              ;   in Loop: Header=BB1010_722 Depth=2
	ds_load_b32 v210, v91 offset:512
	s_wait_dscnt 0x0
	v_mov_b32_dpp v211, v210 row_shr:1 row_mask:0xf bank_mask:0xf
	s_delay_alu instid0(VALU_DEP_1) | instskip(NEXT) | instid1(VALU_DEP_1)
	v_cndmask_b32_e64 v211, v211, 0, s14
	v_add_nc_u32_e32 v210, v211, v210
	s_delay_alu instid0(VALU_DEP_1) | instskip(NEXT) | instid1(VALU_DEP_1)
	v_mov_b32_dpp v211, v210 row_shr:2 row_mask:0xf bank_mask:0xf
	v_cndmask_b32_e64 v211, 0, v211, s15
	s_delay_alu instid0(VALU_DEP_1) | instskip(NEXT) | instid1(VALU_DEP_1)
	v_add_nc_u32_e32 v210, v210, v211
	v_mov_b32_dpp v211, v210 row_shr:4 row_mask:0xf bank_mask:0xf
	s_delay_alu instid0(VALU_DEP_1) | instskip(NEXT) | instid1(VALU_DEP_1)
	v_cndmask_b32_e64 v211, 0, v211, s16
	v_add_nc_u32_e32 v210, v210, v211
	ds_store_b32 v91, v210 offset:512
.LBB1010_798:                           ;   in Loop: Header=BB1010_722 Depth=2
	s_or_b32 exec_lo, exec_lo, s17
	v_mov_b32_e32 v210, 0
	s_wait_dscnt 0x0
	s_barrier_signal -1
	s_barrier_wait -1
	s_and_saveexec_b32 s17, s5
; %bb.799:                              ;   in Loop: Header=BB1010_722 Depth=2
	ds_load_b32 v210, v82 offset:508
; %bb.800:                              ;   in Loop: Header=BB1010_722 Depth=2
	s_or_b32 exec_lo, exec_lo, s17
	s_wait_dscnt 0x0
	v_add_nc_u32_e32 v209, v210, v209
	ds_bpermute_b32 v209, v121, v209
	s_wait_dscnt 0x0
	v_cndmask_b32_e64 v209, v209, v210, s8
	s_delay_alu instid0(VALU_DEP_1) | instskip(NEXT) | instid1(VALU_DEP_1)
	v_cndmask_b32_e64 v209, v209, 0, s6
	v_add_nc_u32_e32 v64, v209, v64
	s_delay_alu instid0(VALU_DEP_1) | instskip(NEXT) | instid1(VALU_DEP_1)
	v_add_nc_u32_e32 v65, v64, v65
	v_add_nc_u32_e32 v62, v65, v62
	s_delay_alu instid0(VALU_DEP_1)
	v_add_nc_u32_e32 v63, v62, v63
	ds_store_2addr_b32 v89, v209, v64 offset0:136 offset1:137
	ds_store_2addr_b32 v89, v65, v62 offset0:138 offset1:139
	ds_store_b32 v89, v63 offset:560
	s_wait_dscnt 0x0
	s_barrier_signal -1
	s_barrier_wait -1
	ds_load_b32 v64, v146 offset:544
	ds_load_b32 v65, v150 offset:544
	;; [unrolled: 1-line block ×17, first 2 shown]
	s_and_saveexec_b32 s17, s0
	s_cbranch_execz .LBB1010_804
; %bb.801:                              ;   in Loop: Header=BB1010_722 Depth=2
	ds_load_b32 v137, v92 offset:544
	v_mov_b32_e32 v140, 0x1100
	s_and_saveexec_b32 s18, s7
; %bb.802:                              ;   in Loop: Header=BB1010_722 Depth=2
	ds_load_b32 v140, v93 offset:544
; %bb.803:                              ;   in Loop: Header=BB1010_722 Depth=2
	s_or_b32 exec_lo, exec_lo, s18
	s_wait_dscnt 0x0
	v_sub_nc_u32_e32 v140, v140, v137
.LBB1010_804:                           ;   in Loop: Header=BB1010_722 Depth=2
	s_or_b32 exec_lo, exec_lo, s17
	s_wait_dscnt 0x0
	s_barrier_signal -1
	s_barrier_wait -1
	s_and_saveexec_b32 s17, s0
	s_cbranch_execz .LBB1010_806
; %bb.805:                              ;   in Loop: Header=BB1010_722 Depth=2
	ds_load_b32 v156, v3
	s_wait_dscnt 0x0
	v_sub_nc_u32_e32 v156, v156, v137
	ds_store_b32 v3, v156
.LBB1010_806:                           ;   in Loop: Header=BB1010_722 Depth=2
	s_or_b32 exec_lo, exec_lo, s17
	v_add3_u32 v161, v153, v152, v146
	v_add_nc_u32_e32 v165, v64, v144
	v_add3_u32 v164, v149, v148, v65
	v_add3_u32 v159, v158, v157, v150
	;; [unrolled: 1-line block ×4, first 2 shown]
	v_lshlrev_b32_e32 v62, 1, v161
	v_dual_lshlrev_b32 v162, 1, v165 :: v_dual_lshlrev_b32 v163, 1, v164
	v_add3_u32 v157, v168, v167, v209
	v_add3_u32 v156, v173, v172, v175
	;; [unrolled: 1-line block ×5, first 2 shown]
	v_lshlrev_b32_e32 v63, 1, v159
	v_add3_u32 v152, v184, v183, v185
	ds_store_b16 v162, v143 offset:512
	ds_store_b16 v163, v145 offset:512
	v_lshlrev_b32_e32 v143, 1, v158
	v_add3_u32 v150, v188, v187, v190
	v_dual_lshlrev_b32 v145, 1, v157 :: v_dual_lshlrev_b32 v162, 1, v156
	v_add3_u32 v149, v192, v191, v210
	v_add3_u32 v65, v195, v194, v211
	ds_store_b16 v62, v147 offset:512
	ds_store_b16 v63, v151 offset:512
	ds_store_b16 v143, v155 offset:512
	ds_store_b16 v145, v160 offset:512
	ds_store_b16 v162, v166 offset:512
	v_dual_lshlrev_b32 v62, 1, v154 :: v_dual_lshlrev_b32 v63, 1, v153
	v_add3_u32 v64, v198, v197, v212
	v_dual_lshlrev_b32 v143, 1, v152 :: v_dual_lshlrev_b32 v145, 1, v150
	v_add3_u32 v144, v207, v206, v170
	v_lshlrev_b32_e32 v147, 1, v149
	ds_store_b16 v62, v171 offset:512
	ds_store_b16 v63, v176 offset:512
	;; [unrolled: 1-line block ×5, first 2 shown]
	v_dual_lshlrev_b32 v62, 1, v65 :: v_dual_lshlrev_b32 v143, 1, v148
	v_cmp_lt_u32_e32 vcc_lo, v2, v141
	v_dual_lshlrev_b32 v63, 1, v64 :: v_dual_lshlrev_b32 v145, 1, v146
	v_lshlrev_b32_e32 v147, 1, v144
	ds_store_b16 v62, v189 offset:512
	ds_store_b16 v63, v193 offset:512
	;; [unrolled: 1-line block ×5, first 2 shown]
	s_wait_dscnt 0x0
	s_barrier_signal -1
	s_barrier_wait -1
	s_and_saveexec_b32 s17, vcc_lo
	s_cbranch_execnz .LBB1010_879
; %bb.807:                              ;   in Loop: Header=BB1010_722 Depth=2
	s_or_b32 exec_lo, exec_lo, s17
	v_cmp_lt_u32_e64 s17, v66, v141
	s_and_saveexec_b32 s18, s17
	s_cbranch_execnz .LBB1010_880
.LBB1010_808:                           ;   in Loop: Header=BB1010_722 Depth=2
	s_or_b32 exec_lo, exec_lo, s18
	v_cmp_lt_u32_e64 s18, v67, v141
	s_and_saveexec_b32 s19, s18
	s_cbranch_execnz .LBB1010_881
.LBB1010_809:                           ;   in Loop: Header=BB1010_722 Depth=2
	s_or_b32 exec_lo, exec_lo, s19
	v_cmp_lt_u32_e64 s19, v68, v141
	s_and_saveexec_b32 s20, s19
	s_cbranch_execnz .LBB1010_882
.LBB1010_810:                           ;   in Loop: Header=BB1010_722 Depth=2
	s_or_b32 exec_lo, exec_lo, s20
	v_cmp_lt_u32_e64 s20, v69, v141
	s_and_saveexec_b32 s21, s20
	s_cbranch_execnz .LBB1010_883
.LBB1010_811:                           ;   in Loop: Header=BB1010_722 Depth=2
	s_or_b32 exec_lo, exec_lo, s21
	v_cmp_lt_u32_e64 s21, v70, v141
	s_and_saveexec_b32 s22, s21
	s_cbranch_execnz .LBB1010_884
.LBB1010_812:                           ;   in Loop: Header=BB1010_722 Depth=2
	s_or_b32 exec_lo, exec_lo, s22
	v_cmp_lt_u32_e64 s22, v71, v141
	s_and_saveexec_b32 s23, s22
	s_cbranch_execnz .LBB1010_885
.LBB1010_813:                           ;   in Loop: Header=BB1010_722 Depth=2
	s_or_b32 exec_lo, exec_lo, s23
	v_cmp_lt_u32_e64 s23, v72, v141
	s_and_saveexec_b32 s24, s23
	s_cbranch_execnz .LBB1010_886
.LBB1010_814:                           ;   in Loop: Header=BB1010_722 Depth=2
	s_or_b32 exec_lo, exec_lo, s24
	v_cmp_lt_u32_e64 s24, v73, v141
	s_and_saveexec_b32 s25, s24
	s_cbranch_execnz .LBB1010_887
.LBB1010_815:                           ;   in Loop: Header=BB1010_722 Depth=2
	s_or_b32 exec_lo, exec_lo, s25
	v_cmp_lt_u32_e64 s25, v74, v141
	s_and_saveexec_b32 s26, s25
	s_cbranch_execnz .LBB1010_888
.LBB1010_816:                           ;   in Loop: Header=BB1010_722 Depth=2
	s_or_b32 exec_lo, exec_lo, s26
	v_cmp_lt_u32_e64 s26, v75, v141
	s_and_saveexec_b32 s27, s26
	s_cbranch_execnz .LBB1010_889
.LBB1010_817:                           ;   in Loop: Header=BB1010_722 Depth=2
	s_or_b32 exec_lo, exec_lo, s27
	v_cmp_lt_u32_e64 s27, v76, v141
	s_and_saveexec_b32 s28, s27
	s_cbranch_execnz .LBB1010_890
.LBB1010_818:                           ;   in Loop: Header=BB1010_722 Depth=2
	s_or_b32 exec_lo, exec_lo, s28
	v_cmp_lt_u32_e64 s28, v77, v141
	s_and_saveexec_b32 s29, s28
	s_cbranch_execnz .LBB1010_891
.LBB1010_819:                           ;   in Loop: Header=BB1010_722 Depth=2
	s_or_b32 exec_lo, exec_lo, s29
	v_cmp_lt_u32_e64 s29, v78, v141
	s_and_saveexec_b32 s30, s29
	s_cbranch_execnz .LBB1010_892
.LBB1010_820:                           ;   in Loop: Header=BB1010_722 Depth=2
	s_or_b32 exec_lo, exec_lo, s30
	v_cmp_lt_u32_e64 s30, v79, v141
	s_and_saveexec_b32 s31, s30
	s_cbranch_execnz .LBB1010_893
.LBB1010_821:                           ;   in Loop: Header=BB1010_722 Depth=2
	s_or_b32 exec_lo, exec_lo, s31
	v_cmp_lt_u32_e64 s31, v80, v141
	s_and_saveexec_b32 s33, s31
	s_cbranch_execnz .LBB1010_894
.LBB1010_822:                           ;   in Loop: Header=BB1010_722 Depth=2
	s_or_b32 exec_lo, exec_lo, s33
	v_cmp_lt_u32_e64 s33, v81, v141
	s_and_saveexec_b32 s60, s33
	s_cbranch_execz .LBB1010_824
.LBB1010_823:                           ;   in Loop: Header=BB1010_722 Depth=2
	ds_load_u16 v62, v94 offset:8704
	s_wait_dscnt 0x0
	v_and_b32_e32 v63, 0xffff, v62
	v_xor_b32_e32 v62, 0xffff8000, v62
	s_delay_alu instid0(VALU_DEP_2) | instskip(NEXT) | instid1(VALU_DEP_1)
	v_lshrrev_b32_e32 v63, s49, v63
	v_and_b32_e32 v63, s48, v63
	s_delay_alu instid0(VALU_DEP_1)
	v_lshlrev_b32_e32 v63, 2, v63
	ds_load_b32 v63, v63
	s_wait_dscnt 0x0
	v_add_nc_u32_e32 v63, v63, v81
	global_store_b16 v63, v62, s[38:39] scale_offset
.LBB1010_824:                           ;   in Loop: Header=BB1010_722 Depth=2
	s_wait_xcnt 0x0
	s_or_b32 exec_lo, exec_lo, s60
	v_lshl_add_u64 v[62:63], s[34:35], 3, v[24:25]
	v_cmp_lt_u32_e64 s34, v102, v141
	s_and_saveexec_b32 s60, s34
	s_delay_alu instid0(SALU_CYCLE_1)
	s_xor_b32 s34, exec_lo, s60
	s_cbranch_execnz .LBB1010_895
; %bb.825:                              ;   in Loop: Header=BB1010_722 Depth=2
	s_or_b32 exec_lo, exec_lo, s34
	s_delay_alu instid0(SALU_CYCLE_1)
	s_mov_b32 s60, exec_lo
	v_cmpx_lt_u32_e64 v105, v141
	s_cbranch_execnz .LBB1010_896
.LBB1010_826:                           ;   in Loop: Header=BB1010_722 Depth=2
	s_or_b32 exec_lo, exec_lo, s60
	s_delay_alu instid0(SALU_CYCLE_1)
	s_mov_b32 s60, exec_lo
	v_cmpx_lt_u32_e64 v106, v141
	s_cbranch_execnz .LBB1010_897
.LBB1010_827:                           ;   in Loop: Header=BB1010_722 Depth=2
	s_or_b32 exec_lo, exec_lo, s60
	s_delay_alu instid0(SALU_CYCLE_1)
	s_mov_b32 s60, exec_lo
	v_cmpx_lt_u32_e64 v107, v141
	s_cbranch_execnz .LBB1010_898
.LBB1010_828:                           ;   in Loop: Header=BB1010_722 Depth=2
	s_or_b32 exec_lo, exec_lo, s60
	s_delay_alu instid0(SALU_CYCLE_1)
	s_mov_b32 s60, exec_lo
	v_cmpx_lt_u32_e64 v108, v141
	s_cbranch_execnz .LBB1010_899
.LBB1010_829:                           ;   in Loop: Header=BB1010_722 Depth=2
	s_or_b32 exec_lo, exec_lo, s60
	s_delay_alu instid0(SALU_CYCLE_1)
	s_mov_b32 s60, exec_lo
	v_cmpx_lt_u32_e64 v109, v141
	s_cbranch_execnz .LBB1010_900
.LBB1010_830:                           ;   in Loop: Header=BB1010_722 Depth=2
	s_or_b32 exec_lo, exec_lo, s60
	s_delay_alu instid0(SALU_CYCLE_1)
	s_mov_b32 s60, exec_lo
	v_cmpx_lt_u32_e64 v110, v141
	s_cbranch_execnz .LBB1010_901
.LBB1010_831:                           ;   in Loop: Header=BB1010_722 Depth=2
	s_or_b32 exec_lo, exec_lo, s60
	s_delay_alu instid0(SALU_CYCLE_1)
	s_mov_b32 s60, exec_lo
	v_cmpx_lt_u32_e64 v111, v141
	s_cbranch_execnz .LBB1010_902
.LBB1010_832:                           ;   in Loop: Header=BB1010_722 Depth=2
	s_or_b32 exec_lo, exec_lo, s60
	s_delay_alu instid0(SALU_CYCLE_1)
	s_mov_b32 s60, exec_lo
	v_cmpx_lt_u32_e64 v112, v141
	s_cbranch_execnz .LBB1010_903
.LBB1010_833:                           ;   in Loop: Header=BB1010_722 Depth=2
	s_or_b32 exec_lo, exec_lo, s60
	s_delay_alu instid0(SALU_CYCLE_1)
	s_mov_b32 s60, exec_lo
	v_cmpx_lt_u32_e64 v113, v141
	s_cbranch_execnz .LBB1010_904
.LBB1010_834:                           ;   in Loop: Header=BB1010_722 Depth=2
	s_or_b32 exec_lo, exec_lo, s60
	s_delay_alu instid0(SALU_CYCLE_1)
	s_mov_b32 s60, exec_lo
	v_cmpx_lt_u32_e64 v114, v141
	s_cbranch_execnz .LBB1010_905
.LBB1010_835:                           ;   in Loop: Header=BB1010_722 Depth=2
	s_or_b32 exec_lo, exec_lo, s60
	s_delay_alu instid0(SALU_CYCLE_1)
	s_mov_b32 s60, exec_lo
	v_cmpx_lt_u32_e64 v115, v141
	s_cbranch_execnz .LBB1010_906
.LBB1010_836:                           ;   in Loop: Header=BB1010_722 Depth=2
	s_or_b32 exec_lo, exec_lo, s60
	s_delay_alu instid0(SALU_CYCLE_1)
	s_mov_b32 s60, exec_lo
	v_cmpx_lt_u32_e64 v116, v141
	s_cbranch_execnz .LBB1010_907
.LBB1010_837:                           ;   in Loop: Header=BB1010_722 Depth=2
	s_or_b32 exec_lo, exec_lo, s60
	s_delay_alu instid0(SALU_CYCLE_1)
	s_mov_b32 s60, exec_lo
	v_cmpx_lt_u32_e64 v117, v141
	s_cbranch_execnz .LBB1010_908
.LBB1010_838:                           ;   in Loop: Header=BB1010_722 Depth=2
	s_or_b32 exec_lo, exec_lo, s60
	s_delay_alu instid0(SALU_CYCLE_1)
	s_mov_b32 s60, exec_lo
	v_cmpx_lt_u32_e64 v118, v141
	s_cbranch_execnz .LBB1010_909
.LBB1010_839:                           ;   in Loop: Header=BB1010_722 Depth=2
	s_or_b32 exec_lo, exec_lo, s60
	s_delay_alu instid0(SALU_CYCLE_1)
	s_mov_b32 s60, exec_lo
	v_cmpx_lt_u32_e64 v119, v141
	s_cbranch_execnz .LBB1010_910
.LBB1010_840:                           ;   in Loop: Header=BB1010_722 Depth=2
	s_or_b32 exec_lo, exec_lo, s60
	s_delay_alu instid0(SALU_CYCLE_1)
	s_mov_b32 s60, exec_lo
	v_cmpx_lt_u32_e64 v120, v141
	s_cbranch_execnz .LBB1010_911
.LBB1010_841:                           ;   in Loop: Header=BB1010_722 Depth=2
	s_or_b32 exec_lo, exec_lo, s60
	s_and_saveexec_b32 s34, vcc_lo
	s_cbranch_execnz .LBB1010_912
.LBB1010_842:                           ;   in Loop: Header=BB1010_722 Depth=2
	s_or_b32 exec_lo, exec_lo, s34
	s_and_saveexec_b32 s34, s17
	s_cbranch_execnz .LBB1010_913
.LBB1010_843:                           ;   in Loop: Header=BB1010_722 Depth=2
	s_or_b32 exec_lo, exec_lo, s34
	s_and_saveexec_b32 s34, s18
	s_cbranch_execnz .LBB1010_914
.LBB1010_844:                           ;   in Loop: Header=BB1010_722 Depth=2
	s_or_b32 exec_lo, exec_lo, s34
	s_and_saveexec_b32 s34, s19
	s_cbranch_execnz .LBB1010_915
.LBB1010_845:                           ;   in Loop: Header=BB1010_722 Depth=2
	s_or_b32 exec_lo, exec_lo, s34
	s_and_saveexec_b32 s34, s20
	s_cbranch_execnz .LBB1010_916
.LBB1010_846:                           ;   in Loop: Header=BB1010_722 Depth=2
	s_or_b32 exec_lo, exec_lo, s34
	s_and_saveexec_b32 s34, s21
	s_cbranch_execnz .LBB1010_917
.LBB1010_847:                           ;   in Loop: Header=BB1010_722 Depth=2
	s_or_b32 exec_lo, exec_lo, s34
	s_and_saveexec_b32 s34, s22
	s_cbranch_execnz .LBB1010_918
.LBB1010_848:                           ;   in Loop: Header=BB1010_722 Depth=2
	s_or_b32 exec_lo, exec_lo, s34
	s_and_saveexec_b32 s34, s23
	s_cbranch_execnz .LBB1010_919
.LBB1010_849:                           ;   in Loop: Header=BB1010_722 Depth=2
	s_or_b32 exec_lo, exec_lo, s34
	s_and_saveexec_b32 s34, s24
	s_cbranch_execnz .LBB1010_920
.LBB1010_850:                           ;   in Loop: Header=BB1010_722 Depth=2
	s_or_b32 exec_lo, exec_lo, s34
	s_and_saveexec_b32 s34, s25
	s_cbranch_execnz .LBB1010_921
.LBB1010_851:                           ;   in Loop: Header=BB1010_722 Depth=2
	s_or_b32 exec_lo, exec_lo, s34
	s_and_saveexec_b32 s34, s26
	s_cbranch_execnz .LBB1010_922
.LBB1010_852:                           ;   in Loop: Header=BB1010_722 Depth=2
	s_or_b32 exec_lo, exec_lo, s34
	s_and_saveexec_b32 s34, s27
	s_cbranch_execnz .LBB1010_923
.LBB1010_853:                           ;   in Loop: Header=BB1010_722 Depth=2
	s_or_b32 exec_lo, exec_lo, s34
	s_and_saveexec_b32 s34, s28
	s_cbranch_execnz .LBB1010_924
.LBB1010_854:                           ;   in Loop: Header=BB1010_722 Depth=2
	s_or_b32 exec_lo, exec_lo, s34
	s_and_saveexec_b32 s34, s29
	s_cbranch_execnz .LBB1010_925
.LBB1010_855:                           ;   in Loop: Header=BB1010_722 Depth=2
	s_or_b32 exec_lo, exec_lo, s34
	s_and_saveexec_b32 s34, s30
	s_cbranch_execnz .LBB1010_926
.LBB1010_856:                           ;   in Loop: Header=BB1010_722 Depth=2
	s_or_b32 exec_lo, exec_lo, s34
	s_and_saveexec_b32 s34, s31
	s_cbranch_execnz .LBB1010_927
.LBB1010_857:                           ;   in Loop: Header=BB1010_722 Depth=2
	s_or_b32 exec_lo, exec_lo, s34
	s_and_saveexec_b32 s34, s33
	s_cbranch_execz .LBB1010_859
.LBB1010_858:                           ;   in Loop: Header=BB1010_722 Depth=2
	ds_load_u16 v62, v94 offset:8704
	s_wait_dscnt 0x0
	v_lshrrev_b32_e32 v62, s49, v62
	s_delay_alu instid0(VALU_DEP_1)
	v_and_b32_e32 v122, s48, v62
.LBB1010_859:                           ;   in Loop: Header=BB1010_722 Depth=2
	s_or_b32 exec_lo, exec_lo, s34
	v_dual_lshlrev_b32 v62, 3, v165 :: v_dual_lshlrev_b32 v63, 3, v164
	s_wait_loadcnt 0x0
	s_wait_storecnt 0x0
	s_barrier_signal -1
	s_barrier_wait -1
	ds_store_b64 v62, v[60:61] offset:512
	ds_store_b64 v63, v[58:59] offset:512
	v_dual_lshlrev_b32 v62, 3, v161 :: v_dual_lshlrev_b32 v63, 3, v159
	v_dual_lshlrev_b32 v141, 3, v158 :: v_dual_lshlrev_b32 v142, 3, v157
	v_lshlrev_b32_e32 v143, 3, v156
	ds_store_b64 v62, v[56:57] offset:512
	ds_store_b64 v63, v[54:55] offset:512
	ds_store_b64 v141, v[52:53] offset:512
	ds_store_b64 v142, v[50:51] offset:512
	ds_store_b64 v143, v[48:49] offset:512
	v_dual_lshlrev_b32 v62, 3, v154 :: v_dual_lshlrev_b32 v63, 3, v153
	v_dual_lshlrev_b32 v141, 3, v152 :: v_dual_lshlrev_b32 v142, 3, v150
	v_lshlrev_b32_e32 v143, 3, v149
	ds_store_b64 v62, v[46:47] offset:512
	ds_store_b64 v63, v[44:45] offset:512
	ds_store_b64 v141, v[42:43] offset:512
	ds_store_b64 v142, v[40:41] offset:512
	ds_store_b64 v143, v[38:39] offset:512
	v_dual_lshlrev_b32 v62, 3, v65 :: v_dual_lshlrev_b32 v63, 3, v64
	v_dual_lshlrev_b32 v64, 3, v148 :: v_dual_lshlrev_b32 v65, 3, v146
	v_lshlrev_b32_e32 v141, 3, v144
	ds_store_b64 v62, v[36:37] offset:512
	ds_store_b64 v63, v[34:35] offset:512
	ds_store_b64 v64, v[32:33] offset:512
	ds_store_b64 v65, v[30:31] offset:512
	ds_store_b64 v141, v[28:29] offset:512
	s_wait_dscnt 0x0
	s_barrier_signal -1
	s_barrier_wait -1
	s_and_saveexec_b32 s34, vcc_lo
	s_cbranch_execnz .LBB1010_928
; %bb.860:                              ;   in Loop: Header=BB1010_722 Depth=2
	s_or_b32 exec_lo, exec_lo, s34
	s_and_saveexec_b32 s34, s17
	s_cbranch_execnz .LBB1010_929
.LBB1010_861:                           ;   in Loop: Header=BB1010_722 Depth=2
	s_or_b32 exec_lo, exec_lo, s34
	s_and_saveexec_b32 s17, s18
	s_cbranch_execnz .LBB1010_930
.LBB1010_862:                           ;   in Loop: Header=BB1010_722 Depth=2
	s_or_b32 exec_lo, exec_lo, s17
	s_and_saveexec_b32 s17, s19
	s_cbranch_execnz .LBB1010_931
.LBB1010_863:                           ;   in Loop: Header=BB1010_722 Depth=2
	s_or_b32 exec_lo, exec_lo, s17
	s_and_saveexec_b32 s17, s20
	s_cbranch_execnz .LBB1010_932
.LBB1010_864:                           ;   in Loop: Header=BB1010_722 Depth=2
	s_or_b32 exec_lo, exec_lo, s17
	s_and_saveexec_b32 s17, s21
	s_cbranch_execnz .LBB1010_933
.LBB1010_865:                           ;   in Loop: Header=BB1010_722 Depth=2
	s_or_b32 exec_lo, exec_lo, s17
	s_and_saveexec_b32 s17, s22
	s_cbranch_execnz .LBB1010_934
.LBB1010_866:                           ;   in Loop: Header=BB1010_722 Depth=2
	s_or_b32 exec_lo, exec_lo, s17
	s_and_saveexec_b32 s17, s23
	s_cbranch_execnz .LBB1010_935
.LBB1010_867:                           ;   in Loop: Header=BB1010_722 Depth=2
	s_or_b32 exec_lo, exec_lo, s17
	s_and_saveexec_b32 s17, s24
	s_cbranch_execnz .LBB1010_936
.LBB1010_868:                           ;   in Loop: Header=BB1010_722 Depth=2
	s_or_b32 exec_lo, exec_lo, s17
	s_and_saveexec_b32 s17, s25
	s_cbranch_execnz .LBB1010_937
.LBB1010_869:                           ;   in Loop: Header=BB1010_722 Depth=2
	s_or_b32 exec_lo, exec_lo, s17
	s_and_saveexec_b32 s17, s26
	s_cbranch_execnz .LBB1010_938
.LBB1010_870:                           ;   in Loop: Header=BB1010_722 Depth=2
	s_or_b32 exec_lo, exec_lo, s17
	s_and_saveexec_b32 s17, s27
	s_cbranch_execnz .LBB1010_939
.LBB1010_871:                           ;   in Loop: Header=BB1010_722 Depth=2
	s_or_b32 exec_lo, exec_lo, s17
	s_and_saveexec_b32 s17, s28
	s_cbranch_execnz .LBB1010_940
.LBB1010_872:                           ;   in Loop: Header=BB1010_722 Depth=2
	s_or_b32 exec_lo, exec_lo, s17
	s_and_saveexec_b32 s17, s29
	s_cbranch_execnz .LBB1010_941
.LBB1010_873:                           ;   in Loop: Header=BB1010_722 Depth=2
	s_or_b32 exec_lo, exec_lo, s17
	s_and_saveexec_b32 s17, s30
	s_cbranch_execnz .LBB1010_942
.LBB1010_874:                           ;   in Loop: Header=BB1010_722 Depth=2
	s_or_b32 exec_lo, exec_lo, s17
	s_and_saveexec_b32 s17, s31
	s_cbranch_execnz .LBB1010_943
.LBB1010_875:                           ;   in Loop: Header=BB1010_722 Depth=2
	s_or_b32 exec_lo, exec_lo, s17
	s_and_saveexec_b32 s17, s33
	s_cbranch_execz .LBB1010_877
.LBB1010_876:                           ;   in Loop: Header=BB1010_722 Depth=2
	v_dual_lshlrev_b32 v62, 2, v122 :: v_dual_add_nc_u32 v63, v94, v95
	ds_load_b32 v64, v62
	ds_load_b64 v[62:63], v63 offset:33280
	s_wait_dscnt 0x1
	v_add_nc_u32_e32 v64, v64, v81
	s_wait_dscnt 0x0
	global_store_b64 v64, v[62:63], s[44:45] scale_offset
.LBB1010_877:                           ;   in Loop: Header=BB1010_722 Depth=2
	s_wait_xcnt 0x0
	s_or_b32 exec_lo, exec_lo, s17
	s_wait_storecnt 0x0
	s_barrier_signal -1
	s_barrier_wait -1
	s_and_saveexec_b32 s17, s0
	s_cbranch_execz .LBB1010_721
; %bb.878:                              ;   in Loop: Header=BB1010_722 Depth=2
	ds_load_b32 v62, v3
	s_wait_dscnt 0x0
	v_add3_u32 v62, v137, v140, v62
	ds_store_b32 v3, v62
	s_branch .LBB1010_721
.LBB1010_879:                           ;   in Loop: Header=BB1010_722 Depth=2
	ds_load_u16 v62, v94 offset:512
	s_wait_dscnt 0x0
	v_and_b32_e32 v63, 0xffff, v62
	v_xor_b32_e32 v62, 0xffff8000, v62
	s_delay_alu instid0(VALU_DEP_2) | instskip(NEXT) | instid1(VALU_DEP_1)
	v_lshrrev_b32_e32 v63, s49, v63
	v_and_b32_e32 v63, s48, v63
	s_delay_alu instid0(VALU_DEP_1)
	v_lshlrev_b32_e32 v63, 2, v63
	ds_load_b32 v63, v63
	s_wait_dscnt 0x0
	v_add_nc_u32_e32 v63, v63, v2
	global_store_b16 v63, v62, s[38:39] scale_offset
	s_wait_xcnt 0x0
	s_or_b32 exec_lo, exec_lo, s17
	v_cmp_lt_u32_e64 s17, v66, v141
	s_and_saveexec_b32 s18, s17
	s_cbranch_execz .LBB1010_808
.LBB1010_880:                           ;   in Loop: Header=BB1010_722 Depth=2
	ds_load_u16 v62, v94 offset:1024
	s_wait_dscnt 0x0
	v_and_b32_e32 v63, 0xffff, v62
	v_xor_b32_e32 v62, 0xffff8000, v62
	s_delay_alu instid0(VALU_DEP_2) | instskip(NEXT) | instid1(VALU_DEP_1)
	v_lshrrev_b32_e32 v63, s49, v63
	v_and_b32_e32 v63, s48, v63
	s_delay_alu instid0(VALU_DEP_1)
	v_lshlrev_b32_e32 v63, 2, v63
	ds_load_b32 v63, v63
	s_wait_dscnt 0x0
	v_add_nc_u32_e32 v63, v63, v66
	global_store_b16 v63, v62, s[38:39] scale_offset
	s_wait_xcnt 0x0
	s_or_b32 exec_lo, exec_lo, s18
	v_cmp_lt_u32_e64 s18, v67, v141
	s_and_saveexec_b32 s19, s18
	s_cbranch_execz .LBB1010_809
.LBB1010_881:                           ;   in Loop: Header=BB1010_722 Depth=2
	ds_load_u16 v62, v94 offset:1536
	s_wait_dscnt 0x0
	v_and_b32_e32 v63, 0xffff, v62
	v_xor_b32_e32 v62, 0xffff8000, v62
	s_delay_alu instid0(VALU_DEP_2) | instskip(NEXT) | instid1(VALU_DEP_1)
	v_lshrrev_b32_e32 v63, s49, v63
	v_and_b32_e32 v63, s48, v63
	s_delay_alu instid0(VALU_DEP_1)
	v_lshlrev_b32_e32 v63, 2, v63
	ds_load_b32 v63, v63
	s_wait_dscnt 0x0
	v_add_nc_u32_e32 v63, v63, v67
	global_store_b16 v63, v62, s[38:39] scale_offset
	s_wait_xcnt 0x0
	s_or_b32 exec_lo, exec_lo, s19
	v_cmp_lt_u32_e64 s19, v68, v141
	s_and_saveexec_b32 s20, s19
	s_cbranch_execz .LBB1010_810
.LBB1010_882:                           ;   in Loop: Header=BB1010_722 Depth=2
	ds_load_u16 v62, v94 offset:2048
	s_wait_dscnt 0x0
	v_and_b32_e32 v63, 0xffff, v62
	v_xor_b32_e32 v62, 0xffff8000, v62
	s_delay_alu instid0(VALU_DEP_2) | instskip(NEXT) | instid1(VALU_DEP_1)
	v_lshrrev_b32_e32 v63, s49, v63
	v_and_b32_e32 v63, s48, v63
	s_delay_alu instid0(VALU_DEP_1)
	v_lshlrev_b32_e32 v63, 2, v63
	ds_load_b32 v63, v63
	s_wait_dscnt 0x0
	v_add_nc_u32_e32 v63, v63, v68
	global_store_b16 v63, v62, s[38:39] scale_offset
	s_wait_xcnt 0x0
	s_or_b32 exec_lo, exec_lo, s20
	v_cmp_lt_u32_e64 s20, v69, v141
	s_and_saveexec_b32 s21, s20
	s_cbranch_execz .LBB1010_811
.LBB1010_883:                           ;   in Loop: Header=BB1010_722 Depth=2
	ds_load_u16 v62, v94 offset:2560
	s_wait_dscnt 0x0
	v_and_b32_e32 v63, 0xffff, v62
	v_xor_b32_e32 v62, 0xffff8000, v62
	s_delay_alu instid0(VALU_DEP_2) | instskip(NEXT) | instid1(VALU_DEP_1)
	v_lshrrev_b32_e32 v63, s49, v63
	v_and_b32_e32 v63, s48, v63
	s_delay_alu instid0(VALU_DEP_1)
	v_lshlrev_b32_e32 v63, 2, v63
	ds_load_b32 v63, v63
	s_wait_dscnt 0x0
	v_add_nc_u32_e32 v63, v63, v69
	global_store_b16 v63, v62, s[38:39] scale_offset
	s_wait_xcnt 0x0
	s_or_b32 exec_lo, exec_lo, s21
	v_cmp_lt_u32_e64 s21, v70, v141
	s_and_saveexec_b32 s22, s21
	s_cbranch_execz .LBB1010_812
.LBB1010_884:                           ;   in Loop: Header=BB1010_722 Depth=2
	ds_load_u16 v62, v94 offset:3072
	s_wait_dscnt 0x0
	v_and_b32_e32 v63, 0xffff, v62
	v_xor_b32_e32 v62, 0xffff8000, v62
	s_delay_alu instid0(VALU_DEP_2) | instskip(NEXT) | instid1(VALU_DEP_1)
	v_lshrrev_b32_e32 v63, s49, v63
	v_and_b32_e32 v63, s48, v63
	s_delay_alu instid0(VALU_DEP_1)
	v_lshlrev_b32_e32 v63, 2, v63
	ds_load_b32 v63, v63
	s_wait_dscnt 0x0
	v_add_nc_u32_e32 v63, v63, v70
	global_store_b16 v63, v62, s[38:39] scale_offset
	s_wait_xcnt 0x0
	s_or_b32 exec_lo, exec_lo, s22
	v_cmp_lt_u32_e64 s22, v71, v141
	s_and_saveexec_b32 s23, s22
	s_cbranch_execz .LBB1010_813
.LBB1010_885:                           ;   in Loop: Header=BB1010_722 Depth=2
	ds_load_u16 v62, v94 offset:3584
	s_wait_dscnt 0x0
	v_and_b32_e32 v63, 0xffff, v62
	v_xor_b32_e32 v62, 0xffff8000, v62
	s_delay_alu instid0(VALU_DEP_2) | instskip(NEXT) | instid1(VALU_DEP_1)
	v_lshrrev_b32_e32 v63, s49, v63
	v_and_b32_e32 v63, s48, v63
	s_delay_alu instid0(VALU_DEP_1)
	v_lshlrev_b32_e32 v63, 2, v63
	ds_load_b32 v63, v63
	s_wait_dscnt 0x0
	v_add_nc_u32_e32 v63, v63, v71
	global_store_b16 v63, v62, s[38:39] scale_offset
	s_wait_xcnt 0x0
	s_or_b32 exec_lo, exec_lo, s23
	v_cmp_lt_u32_e64 s23, v72, v141
	s_and_saveexec_b32 s24, s23
	s_cbranch_execz .LBB1010_814
.LBB1010_886:                           ;   in Loop: Header=BB1010_722 Depth=2
	ds_load_u16 v62, v94 offset:4096
	s_wait_dscnt 0x0
	v_and_b32_e32 v63, 0xffff, v62
	v_xor_b32_e32 v62, 0xffff8000, v62
	s_delay_alu instid0(VALU_DEP_2) | instskip(NEXT) | instid1(VALU_DEP_1)
	v_lshrrev_b32_e32 v63, s49, v63
	v_and_b32_e32 v63, s48, v63
	s_delay_alu instid0(VALU_DEP_1)
	v_lshlrev_b32_e32 v63, 2, v63
	ds_load_b32 v63, v63
	s_wait_dscnt 0x0
	v_add_nc_u32_e32 v63, v63, v72
	global_store_b16 v63, v62, s[38:39] scale_offset
	s_wait_xcnt 0x0
	s_or_b32 exec_lo, exec_lo, s24
	v_cmp_lt_u32_e64 s24, v73, v141
	s_and_saveexec_b32 s25, s24
	s_cbranch_execz .LBB1010_815
.LBB1010_887:                           ;   in Loop: Header=BB1010_722 Depth=2
	ds_load_u16 v62, v94 offset:4608
	s_wait_dscnt 0x0
	v_and_b32_e32 v63, 0xffff, v62
	v_xor_b32_e32 v62, 0xffff8000, v62
	s_delay_alu instid0(VALU_DEP_2) | instskip(NEXT) | instid1(VALU_DEP_1)
	v_lshrrev_b32_e32 v63, s49, v63
	v_and_b32_e32 v63, s48, v63
	s_delay_alu instid0(VALU_DEP_1)
	v_lshlrev_b32_e32 v63, 2, v63
	ds_load_b32 v63, v63
	s_wait_dscnt 0x0
	v_add_nc_u32_e32 v63, v63, v73
	global_store_b16 v63, v62, s[38:39] scale_offset
	s_wait_xcnt 0x0
	s_or_b32 exec_lo, exec_lo, s25
	v_cmp_lt_u32_e64 s25, v74, v141
	s_and_saveexec_b32 s26, s25
	s_cbranch_execz .LBB1010_816
.LBB1010_888:                           ;   in Loop: Header=BB1010_722 Depth=2
	ds_load_u16 v62, v94 offset:5120
	s_wait_dscnt 0x0
	v_and_b32_e32 v63, 0xffff, v62
	v_xor_b32_e32 v62, 0xffff8000, v62
	s_delay_alu instid0(VALU_DEP_2) | instskip(NEXT) | instid1(VALU_DEP_1)
	v_lshrrev_b32_e32 v63, s49, v63
	v_and_b32_e32 v63, s48, v63
	s_delay_alu instid0(VALU_DEP_1)
	v_lshlrev_b32_e32 v63, 2, v63
	ds_load_b32 v63, v63
	s_wait_dscnt 0x0
	v_add_nc_u32_e32 v63, v63, v74
	global_store_b16 v63, v62, s[38:39] scale_offset
	s_wait_xcnt 0x0
	s_or_b32 exec_lo, exec_lo, s26
	v_cmp_lt_u32_e64 s26, v75, v141
	s_and_saveexec_b32 s27, s26
	s_cbranch_execz .LBB1010_817
.LBB1010_889:                           ;   in Loop: Header=BB1010_722 Depth=2
	ds_load_u16 v62, v94 offset:5632
	s_wait_dscnt 0x0
	v_and_b32_e32 v63, 0xffff, v62
	v_xor_b32_e32 v62, 0xffff8000, v62
	s_delay_alu instid0(VALU_DEP_2) | instskip(NEXT) | instid1(VALU_DEP_1)
	v_lshrrev_b32_e32 v63, s49, v63
	v_and_b32_e32 v63, s48, v63
	s_delay_alu instid0(VALU_DEP_1)
	v_lshlrev_b32_e32 v63, 2, v63
	ds_load_b32 v63, v63
	s_wait_dscnt 0x0
	v_add_nc_u32_e32 v63, v63, v75
	global_store_b16 v63, v62, s[38:39] scale_offset
	s_wait_xcnt 0x0
	s_or_b32 exec_lo, exec_lo, s27
	v_cmp_lt_u32_e64 s27, v76, v141
	s_and_saveexec_b32 s28, s27
	s_cbranch_execz .LBB1010_818
.LBB1010_890:                           ;   in Loop: Header=BB1010_722 Depth=2
	ds_load_u16 v62, v94 offset:6144
	s_wait_dscnt 0x0
	v_and_b32_e32 v63, 0xffff, v62
	v_xor_b32_e32 v62, 0xffff8000, v62
	s_delay_alu instid0(VALU_DEP_2) | instskip(NEXT) | instid1(VALU_DEP_1)
	v_lshrrev_b32_e32 v63, s49, v63
	v_and_b32_e32 v63, s48, v63
	s_delay_alu instid0(VALU_DEP_1)
	v_lshlrev_b32_e32 v63, 2, v63
	ds_load_b32 v63, v63
	s_wait_dscnt 0x0
	v_add_nc_u32_e32 v63, v63, v76
	global_store_b16 v63, v62, s[38:39] scale_offset
	s_wait_xcnt 0x0
	s_or_b32 exec_lo, exec_lo, s28
	v_cmp_lt_u32_e64 s28, v77, v141
	s_and_saveexec_b32 s29, s28
	s_cbranch_execz .LBB1010_819
.LBB1010_891:                           ;   in Loop: Header=BB1010_722 Depth=2
	ds_load_u16 v62, v94 offset:6656
	s_wait_dscnt 0x0
	v_and_b32_e32 v63, 0xffff, v62
	v_xor_b32_e32 v62, 0xffff8000, v62
	s_delay_alu instid0(VALU_DEP_2) | instskip(NEXT) | instid1(VALU_DEP_1)
	v_lshrrev_b32_e32 v63, s49, v63
	v_and_b32_e32 v63, s48, v63
	s_delay_alu instid0(VALU_DEP_1)
	v_lshlrev_b32_e32 v63, 2, v63
	ds_load_b32 v63, v63
	s_wait_dscnt 0x0
	v_add_nc_u32_e32 v63, v63, v77
	global_store_b16 v63, v62, s[38:39] scale_offset
	s_wait_xcnt 0x0
	s_or_b32 exec_lo, exec_lo, s29
	v_cmp_lt_u32_e64 s29, v78, v141
	s_and_saveexec_b32 s30, s29
	s_cbranch_execz .LBB1010_820
.LBB1010_892:                           ;   in Loop: Header=BB1010_722 Depth=2
	ds_load_u16 v62, v94 offset:7168
	s_wait_dscnt 0x0
	v_and_b32_e32 v63, 0xffff, v62
	v_xor_b32_e32 v62, 0xffff8000, v62
	s_delay_alu instid0(VALU_DEP_2) | instskip(NEXT) | instid1(VALU_DEP_1)
	v_lshrrev_b32_e32 v63, s49, v63
	v_and_b32_e32 v63, s48, v63
	s_delay_alu instid0(VALU_DEP_1)
	v_lshlrev_b32_e32 v63, 2, v63
	ds_load_b32 v63, v63
	s_wait_dscnt 0x0
	v_add_nc_u32_e32 v63, v63, v78
	global_store_b16 v63, v62, s[38:39] scale_offset
	s_wait_xcnt 0x0
	s_or_b32 exec_lo, exec_lo, s30
	v_cmp_lt_u32_e64 s30, v79, v141
	s_and_saveexec_b32 s31, s30
	s_cbranch_execz .LBB1010_821
.LBB1010_893:                           ;   in Loop: Header=BB1010_722 Depth=2
	ds_load_u16 v62, v94 offset:7680
	s_wait_dscnt 0x0
	v_and_b32_e32 v63, 0xffff, v62
	v_xor_b32_e32 v62, 0xffff8000, v62
	s_delay_alu instid0(VALU_DEP_2) | instskip(NEXT) | instid1(VALU_DEP_1)
	v_lshrrev_b32_e32 v63, s49, v63
	v_and_b32_e32 v63, s48, v63
	s_delay_alu instid0(VALU_DEP_1)
	v_lshlrev_b32_e32 v63, 2, v63
	ds_load_b32 v63, v63
	s_wait_dscnt 0x0
	v_add_nc_u32_e32 v63, v63, v79
	global_store_b16 v63, v62, s[38:39] scale_offset
	s_wait_xcnt 0x0
	s_or_b32 exec_lo, exec_lo, s31
	v_cmp_lt_u32_e64 s31, v80, v141
	s_and_saveexec_b32 s33, s31
	s_cbranch_execz .LBB1010_822
.LBB1010_894:                           ;   in Loop: Header=BB1010_722 Depth=2
	ds_load_u16 v62, v94 offset:8192
	s_wait_dscnt 0x0
	v_and_b32_e32 v63, 0xffff, v62
	v_xor_b32_e32 v62, 0xffff8000, v62
	s_delay_alu instid0(VALU_DEP_2) | instskip(NEXT) | instid1(VALU_DEP_1)
	v_lshrrev_b32_e32 v63, s49, v63
	v_and_b32_e32 v63, s48, v63
	s_delay_alu instid0(VALU_DEP_1)
	v_lshlrev_b32_e32 v63, 2, v63
	ds_load_b32 v63, v63
	s_wait_dscnt 0x0
	v_add_nc_u32_e32 v63, v63, v80
	global_store_b16 v63, v62, s[38:39] scale_offset
	s_wait_xcnt 0x0
	s_or_b32 exec_lo, exec_lo, s33
	v_cmp_lt_u32_e64 s33, v81, v141
	s_and_saveexec_b32 s60, s33
	s_cbranch_execnz .LBB1010_823
	s_branch .LBB1010_824
.LBB1010_895:                           ;   in Loop: Header=BB1010_722 Depth=2
	global_load_b64 v[60:61], v[62:63], off
	s_wait_xcnt 0x0
	s_or_b32 exec_lo, exec_lo, s34
	s_delay_alu instid0(SALU_CYCLE_1)
	s_mov_b32 s60, exec_lo
	v_cmpx_lt_u32_e64 v105, v141
	s_cbranch_execz .LBB1010_826
.LBB1010_896:                           ;   in Loop: Header=BB1010_722 Depth=2
	global_load_b64 v[58:59], v[62:63], off offset:256
	s_wait_xcnt 0x0
	s_or_b32 exec_lo, exec_lo, s60
	s_delay_alu instid0(SALU_CYCLE_1)
	s_mov_b32 s60, exec_lo
	v_cmpx_lt_u32_e64 v106, v141
	s_cbranch_execz .LBB1010_827
.LBB1010_897:                           ;   in Loop: Header=BB1010_722 Depth=2
	global_load_b64 v[56:57], v[62:63], off offset:512
	s_wait_xcnt 0x0
	s_or_b32 exec_lo, exec_lo, s60
	s_delay_alu instid0(SALU_CYCLE_1)
	s_mov_b32 s60, exec_lo
	v_cmpx_lt_u32_e64 v107, v141
	s_cbranch_execz .LBB1010_828
.LBB1010_898:                           ;   in Loop: Header=BB1010_722 Depth=2
	global_load_b64 v[54:55], v[62:63], off offset:768
	s_wait_xcnt 0x0
	s_or_b32 exec_lo, exec_lo, s60
	s_delay_alu instid0(SALU_CYCLE_1)
	s_mov_b32 s60, exec_lo
	v_cmpx_lt_u32_e64 v108, v141
	s_cbranch_execz .LBB1010_829
.LBB1010_899:                           ;   in Loop: Header=BB1010_722 Depth=2
	global_load_b64 v[52:53], v[62:63], off offset:1024
	s_wait_xcnt 0x0
	s_or_b32 exec_lo, exec_lo, s60
	s_delay_alu instid0(SALU_CYCLE_1)
	s_mov_b32 s60, exec_lo
	v_cmpx_lt_u32_e64 v109, v141
	s_cbranch_execz .LBB1010_830
.LBB1010_900:                           ;   in Loop: Header=BB1010_722 Depth=2
	global_load_b64 v[50:51], v[62:63], off offset:1280
	s_wait_xcnt 0x0
	s_or_b32 exec_lo, exec_lo, s60
	s_delay_alu instid0(SALU_CYCLE_1)
	s_mov_b32 s60, exec_lo
	v_cmpx_lt_u32_e64 v110, v141
	s_cbranch_execz .LBB1010_831
.LBB1010_901:                           ;   in Loop: Header=BB1010_722 Depth=2
	global_load_b64 v[48:49], v[62:63], off offset:1536
	s_wait_xcnt 0x0
	s_or_b32 exec_lo, exec_lo, s60
	s_delay_alu instid0(SALU_CYCLE_1)
	s_mov_b32 s60, exec_lo
	v_cmpx_lt_u32_e64 v111, v141
	s_cbranch_execz .LBB1010_832
.LBB1010_902:                           ;   in Loop: Header=BB1010_722 Depth=2
	global_load_b64 v[46:47], v[62:63], off offset:1792
	s_wait_xcnt 0x0
	s_or_b32 exec_lo, exec_lo, s60
	s_delay_alu instid0(SALU_CYCLE_1)
	s_mov_b32 s60, exec_lo
	v_cmpx_lt_u32_e64 v112, v141
	s_cbranch_execz .LBB1010_833
.LBB1010_903:                           ;   in Loop: Header=BB1010_722 Depth=2
	global_load_b64 v[44:45], v[62:63], off offset:2048
	s_wait_xcnt 0x0
	s_or_b32 exec_lo, exec_lo, s60
	s_delay_alu instid0(SALU_CYCLE_1)
	s_mov_b32 s60, exec_lo
	v_cmpx_lt_u32_e64 v113, v141
	s_cbranch_execz .LBB1010_834
.LBB1010_904:                           ;   in Loop: Header=BB1010_722 Depth=2
	global_load_b64 v[42:43], v[62:63], off offset:2304
	s_wait_xcnt 0x0
	s_or_b32 exec_lo, exec_lo, s60
	s_delay_alu instid0(SALU_CYCLE_1)
	s_mov_b32 s60, exec_lo
	v_cmpx_lt_u32_e64 v114, v141
	s_cbranch_execz .LBB1010_835
.LBB1010_905:                           ;   in Loop: Header=BB1010_722 Depth=2
	global_load_b64 v[40:41], v[62:63], off offset:2560
	s_wait_xcnt 0x0
	s_or_b32 exec_lo, exec_lo, s60
	s_delay_alu instid0(SALU_CYCLE_1)
	s_mov_b32 s60, exec_lo
	v_cmpx_lt_u32_e64 v115, v141
	s_cbranch_execz .LBB1010_836
.LBB1010_906:                           ;   in Loop: Header=BB1010_722 Depth=2
	global_load_b64 v[38:39], v[62:63], off offset:2816
	s_wait_xcnt 0x0
	s_or_b32 exec_lo, exec_lo, s60
	s_delay_alu instid0(SALU_CYCLE_1)
	s_mov_b32 s60, exec_lo
	v_cmpx_lt_u32_e64 v116, v141
	s_cbranch_execz .LBB1010_837
.LBB1010_907:                           ;   in Loop: Header=BB1010_722 Depth=2
	global_load_b64 v[36:37], v[62:63], off offset:3072
	s_wait_xcnt 0x0
	s_or_b32 exec_lo, exec_lo, s60
	s_delay_alu instid0(SALU_CYCLE_1)
	s_mov_b32 s60, exec_lo
	v_cmpx_lt_u32_e64 v117, v141
	s_cbranch_execz .LBB1010_838
.LBB1010_908:                           ;   in Loop: Header=BB1010_722 Depth=2
	global_load_b64 v[34:35], v[62:63], off offset:3328
	s_wait_xcnt 0x0
	s_or_b32 exec_lo, exec_lo, s60
	s_delay_alu instid0(SALU_CYCLE_1)
	s_mov_b32 s60, exec_lo
	v_cmpx_lt_u32_e64 v118, v141
	s_cbranch_execz .LBB1010_839
.LBB1010_909:                           ;   in Loop: Header=BB1010_722 Depth=2
	global_load_b64 v[32:33], v[62:63], off offset:3584
	s_wait_xcnt 0x0
	s_or_b32 exec_lo, exec_lo, s60
	s_delay_alu instid0(SALU_CYCLE_1)
	s_mov_b32 s60, exec_lo
	v_cmpx_lt_u32_e64 v119, v141
	s_cbranch_execz .LBB1010_840
.LBB1010_910:                           ;   in Loop: Header=BB1010_722 Depth=2
	global_load_b64 v[30:31], v[62:63], off offset:3840
	s_wait_xcnt 0x0
	s_or_b32 exec_lo, exec_lo, s60
	s_delay_alu instid0(SALU_CYCLE_1)
	s_mov_b32 s60, exec_lo
	v_cmpx_lt_u32_e64 v120, v141
	s_cbranch_execz .LBB1010_841
.LBB1010_911:                           ;   in Loop: Header=BB1010_722 Depth=2
	global_load_b64 v[28:29], v[62:63], off offset:4096
	s_wait_xcnt 0x0
	s_or_b32 exec_lo, exec_lo, s60
	s_and_saveexec_b32 s34, vcc_lo
	s_cbranch_execz .LBB1010_842
.LBB1010_912:                           ;   in Loop: Header=BB1010_722 Depth=2
	ds_load_u16 v62, v94 offset:512
	s_wait_dscnt 0x0
	v_lshrrev_b32_e32 v62, s49, v62
	s_delay_alu instid0(VALU_DEP_1)
	v_and_b32_e32 v139, s48, v62
	s_or_b32 exec_lo, exec_lo, s34
	s_and_saveexec_b32 s34, s17
	s_cbranch_execz .LBB1010_843
.LBB1010_913:                           ;   in Loop: Header=BB1010_722 Depth=2
	ds_load_u16 v62, v94 offset:1024
	s_wait_dscnt 0x0
	v_lshrrev_b32_e32 v62, s49, v62
	s_delay_alu instid0(VALU_DEP_1)
	v_and_b32_e32 v138, s48, v62
	s_or_b32 exec_lo, exec_lo, s34
	s_and_saveexec_b32 s34, s18
	s_cbranch_execz .LBB1010_844
.LBB1010_914:                           ;   in Loop: Header=BB1010_722 Depth=2
	ds_load_u16 v62, v94 offset:1536
	s_wait_dscnt 0x0
	v_lshrrev_b32_e32 v62, s49, v62
	s_delay_alu instid0(VALU_DEP_1)
	v_and_b32_e32 v136, s48, v62
	s_or_b32 exec_lo, exec_lo, s34
	s_and_saveexec_b32 s34, s19
	s_cbranch_execz .LBB1010_845
.LBB1010_915:                           ;   in Loop: Header=BB1010_722 Depth=2
	ds_load_u16 v62, v94 offset:2048
	s_wait_dscnt 0x0
	v_lshrrev_b32_e32 v62, s49, v62
	s_delay_alu instid0(VALU_DEP_1)
	v_and_b32_e32 v135, s48, v62
	s_or_b32 exec_lo, exec_lo, s34
	s_and_saveexec_b32 s34, s20
	s_cbranch_execz .LBB1010_846
.LBB1010_916:                           ;   in Loop: Header=BB1010_722 Depth=2
	ds_load_u16 v62, v94 offset:2560
	s_wait_dscnt 0x0
	v_lshrrev_b32_e32 v62, s49, v62
	s_delay_alu instid0(VALU_DEP_1)
	v_and_b32_e32 v134, s48, v62
	s_or_b32 exec_lo, exec_lo, s34
	s_and_saveexec_b32 s34, s21
	s_cbranch_execz .LBB1010_847
.LBB1010_917:                           ;   in Loop: Header=BB1010_722 Depth=2
	ds_load_u16 v62, v94 offset:3072
	s_wait_dscnt 0x0
	v_lshrrev_b32_e32 v62, s49, v62
	s_delay_alu instid0(VALU_DEP_1)
	v_and_b32_e32 v133, s48, v62
	s_or_b32 exec_lo, exec_lo, s34
	s_and_saveexec_b32 s34, s22
	s_cbranch_execz .LBB1010_848
.LBB1010_918:                           ;   in Loop: Header=BB1010_722 Depth=2
	ds_load_u16 v62, v94 offset:3584
	s_wait_dscnt 0x0
	v_lshrrev_b32_e32 v62, s49, v62
	s_delay_alu instid0(VALU_DEP_1)
	v_and_b32_e32 v132, s48, v62
	s_or_b32 exec_lo, exec_lo, s34
	s_and_saveexec_b32 s34, s23
	s_cbranch_execz .LBB1010_849
.LBB1010_919:                           ;   in Loop: Header=BB1010_722 Depth=2
	ds_load_u16 v62, v94 offset:4096
	s_wait_dscnt 0x0
	v_lshrrev_b32_e32 v62, s49, v62
	s_delay_alu instid0(VALU_DEP_1)
	v_and_b32_e32 v131, s48, v62
	s_or_b32 exec_lo, exec_lo, s34
	s_and_saveexec_b32 s34, s24
	s_cbranch_execz .LBB1010_850
.LBB1010_920:                           ;   in Loop: Header=BB1010_722 Depth=2
	ds_load_u16 v62, v94 offset:4608
	s_wait_dscnt 0x0
	v_lshrrev_b32_e32 v62, s49, v62
	s_delay_alu instid0(VALU_DEP_1)
	v_and_b32_e32 v130, s48, v62
	s_or_b32 exec_lo, exec_lo, s34
	s_and_saveexec_b32 s34, s25
	s_cbranch_execz .LBB1010_851
.LBB1010_921:                           ;   in Loop: Header=BB1010_722 Depth=2
	ds_load_u16 v62, v94 offset:5120
	s_wait_dscnt 0x0
	v_lshrrev_b32_e32 v62, s49, v62
	s_delay_alu instid0(VALU_DEP_1)
	v_and_b32_e32 v129, s48, v62
	s_or_b32 exec_lo, exec_lo, s34
	s_and_saveexec_b32 s34, s26
	s_cbranch_execz .LBB1010_852
.LBB1010_922:                           ;   in Loop: Header=BB1010_722 Depth=2
	ds_load_u16 v62, v94 offset:5632
	s_wait_dscnt 0x0
	v_lshrrev_b32_e32 v62, s49, v62
	s_delay_alu instid0(VALU_DEP_1)
	v_and_b32_e32 v128, s48, v62
	s_or_b32 exec_lo, exec_lo, s34
	s_and_saveexec_b32 s34, s27
	s_cbranch_execz .LBB1010_853
.LBB1010_923:                           ;   in Loop: Header=BB1010_722 Depth=2
	ds_load_u16 v62, v94 offset:6144
	s_wait_dscnt 0x0
	v_lshrrev_b32_e32 v62, s49, v62
	s_delay_alu instid0(VALU_DEP_1)
	v_and_b32_e32 v127, s48, v62
	s_or_b32 exec_lo, exec_lo, s34
	s_and_saveexec_b32 s34, s28
	s_cbranch_execz .LBB1010_854
.LBB1010_924:                           ;   in Loop: Header=BB1010_722 Depth=2
	ds_load_u16 v62, v94 offset:6656
	s_wait_dscnt 0x0
	v_lshrrev_b32_e32 v62, s49, v62
	s_delay_alu instid0(VALU_DEP_1)
	v_and_b32_e32 v126, s48, v62
	s_or_b32 exec_lo, exec_lo, s34
	s_and_saveexec_b32 s34, s29
	s_cbranch_execz .LBB1010_855
.LBB1010_925:                           ;   in Loop: Header=BB1010_722 Depth=2
	ds_load_u16 v62, v94 offset:7168
	s_wait_dscnt 0x0
	v_lshrrev_b32_e32 v62, s49, v62
	s_delay_alu instid0(VALU_DEP_1)
	v_and_b32_e32 v125, s48, v62
	s_or_b32 exec_lo, exec_lo, s34
	s_and_saveexec_b32 s34, s30
	s_cbranch_execz .LBB1010_856
.LBB1010_926:                           ;   in Loop: Header=BB1010_722 Depth=2
	ds_load_u16 v62, v94 offset:7680
	s_wait_dscnt 0x0
	v_lshrrev_b32_e32 v62, s49, v62
	s_delay_alu instid0(VALU_DEP_1)
	v_and_b32_e32 v124, s48, v62
	s_or_b32 exec_lo, exec_lo, s34
	s_and_saveexec_b32 s34, s31
	s_cbranch_execz .LBB1010_857
.LBB1010_927:                           ;   in Loop: Header=BB1010_722 Depth=2
	ds_load_u16 v62, v94 offset:8192
	s_wait_dscnt 0x0
	v_lshrrev_b32_e32 v62, s49, v62
	s_delay_alu instid0(VALU_DEP_1)
	v_and_b32_e32 v123, s48, v62
	s_or_b32 exec_lo, exec_lo, s34
	s_and_saveexec_b32 s34, s33
	s_cbranch_execnz .LBB1010_858
	s_branch .LBB1010_859
.LBB1010_928:                           ;   in Loop: Header=BB1010_722 Depth=2
	v_lshlrev_b32_e32 v62, 2, v139
	v_add_nc_u32_e32 v63, v94, v95
	ds_load_b32 v64, v62
	ds_load_b64 v[62:63], v63 offset:512
	s_wait_dscnt 0x1
	v_add_nc_u32_e32 v64, v64, v2
	s_wait_dscnt 0x0
	global_store_b64 v64, v[62:63], s[44:45] scale_offset
	s_wait_xcnt 0x0
	s_or_b32 exec_lo, exec_lo, s34
	s_and_saveexec_b32 s34, s17
	s_cbranch_execz .LBB1010_861
.LBB1010_929:                           ;   in Loop: Header=BB1010_722 Depth=2
	v_dual_lshlrev_b32 v62, 2, v138 :: v_dual_add_nc_u32 v63, v94, v95
	ds_load_b32 v64, v62
	ds_load_b64 v[62:63], v63 offset:2560
	s_wait_dscnt 0x1
	v_add_nc_u32_e32 v64, v64, v66
	s_wait_dscnt 0x0
	global_store_b64 v64, v[62:63], s[44:45] scale_offset
	s_wait_xcnt 0x0
	s_or_b32 exec_lo, exec_lo, s34
	s_and_saveexec_b32 s17, s18
	s_cbranch_execz .LBB1010_862
.LBB1010_930:                           ;   in Loop: Header=BB1010_722 Depth=2
	v_dual_lshlrev_b32 v62, 2, v136 :: v_dual_add_nc_u32 v63, v94, v95
	ds_load_b32 v64, v62
	ds_load_b64 v[62:63], v63 offset:4608
	s_wait_dscnt 0x1
	v_add_nc_u32_e32 v64, v64, v67
	s_wait_dscnt 0x0
	global_store_b64 v64, v[62:63], s[44:45] scale_offset
	s_wait_xcnt 0x0
	s_or_b32 exec_lo, exec_lo, s17
	s_and_saveexec_b32 s17, s19
	s_cbranch_execz .LBB1010_863
.LBB1010_931:                           ;   in Loop: Header=BB1010_722 Depth=2
	v_lshlrev_b32_e32 v62, 2, v135
	v_add_nc_u32_e32 v63, v94, v95
	ds_load_b32 v64, v62
	ds_load_b64 v[62:63], v63 offset:6656
	s_wait_dscnt 0x1
	v_add_nc_u32_e32 v64, v64, v68
	s_wait_dscnt 0x0
	global_store_b64 v64, v[62:63], s[44:45] scale_offset
	s_wait_xcnt 0x0
	s_or_b32 exec_lo, exec_lo, s17
	s_and_saveexec_b32 s17, s20
	s_cbranch_execz .LBB1010_864
.LBB1010_932:                           ;   in Loop: Header=BB1010_722 Depth=2
	v_dual_lshlrev_b32 v62, 2, v134 :: v_dual_add_nc_u32 v63, v94, v95
	ds_load_b32 v64, v62
	ds_load_b64 v[62:63], v63 offset:8704
	s_wait_dscnt 0x1
	v_add_nc_u32_e32 v64, v64, v69
	s_wait_dscnt 0x0
	global_store_b64 v64, v[62:63], s[44:45] scale_offset
	s_wait_xcnt 0x0
	s_or_b32 exec_lo, exec_lo, s17
	s_and_saveexec_b32 s17, s21
	s_cbranch_execz .LBB1010_865
.LBB1010_933:                           ;   in Loop: Header=BB1010_722 Depth=2
	v_dual_lshlrev_b32 v62, 2, v133 :: v_dual_add_nc_u32 v63, v94, v95
	ds_load_b32 v64, v62
	ds_load_b64 v[62:63], v63 offset:10752
	s_wait_dscnt 0x1
	v_add_nc_u32_e32 v64, v64, v70
	s_wait_dscnt 0x0
	global_store_b64 v64, v[62:63], s[44:45] scale_offset
	s_wait_xcnt 0x0
	s_or_b32 exec_lo, exec_lo, s17
	s_and_saveexec_b32 s17, s22
	s_cbranch_execz .LBB1010_866
.LBB1010_934:                           ;   in Loop: Header=BB1010_722 Depth=2
	v_dual_lshlrev_b32 v62, 2, v132 :: v_dual_add_nc_u32 v63, v94, v95
	ds_load_b32 v64, v62
	ds_load_b64 v[62:63], v63 offset:12800
	s_wait_dscnt 0x1
	v_add_nc_u32_e32 v64, v64, v71
	s_wait_dscnt 0x0
	global_store_b64 v64, v[62:63], s[44:45] scale_offset
	s_wait_xcnt 0x0
	s_or_b32 exec_lo, exec_lo, s17
	s_and_saveexec_b32 s17, s23
	s_cbranch_execz .LBB1010_867
.LBB1010_935:                           ;   in Loop: Header=BB1010_722 Depth=2
	v_lshlrev_b32_e32 v62, 2, v131
	v_add_nc_u32_e32 v63, v94, v95
	ds_load_b32 v64, v62
	ds_load_b64 v[62:63], v63 offset:14848
	s_wait_dscnt 0x1
	v_add_nc_u32_e32 v64, v64, v72
	s_wait_dscnt 0x0
	global_store_b64 v64, v[62:63], s[44:45] scale_offset
	s_wait_xcnt 0x0
	s_or_b32 exec_lo, exec_lo, s17
	s_and_saveexec_b32 s17, s24
	s_cbranch_execz .LBB1010_868
.LBB1010_936:                           ;   in Loop: Header=BB1010_722 Depth=2
	v_dual_lshlrev_b32 v62, 2, v130 :: v_dual_add_nc_u32 v63, v94, v95
	ds_load_b32 v64, v62
	ds_load_b64 v[62:63], v63 offset:16896
	s_wait_dscnt 0x1
	v_add_nc_u32_e32 v64, v64, v73
	s_wait_dscnt 0x0
	global_store_b64 v64, v[62:63], s[44:45] scale_offset
	s_wait_xcnt 0x0
	s_or_b32 exec_lo, exec_lo, s17
	s_and_saveexec_b32 s17, s25
	s_cbranch_execz .LBB1010_869
.LBB1010_937:                           ;   in Loop: Header=BB1010_722 Depth=2
	v_dual_lshlrev_b32 v62, 2, v129 :: v_dual_add_nc_u32 v63, v94, v95
	ds_load_b32 v64, v62
	ds_load_b64 v[62:63], v63 offset:18944
	s_wait_dscnt 0x1
	v_add_nc_u32_e32 v64, v64, v74
	s_wait_dscnt 0x0
	global_store_b64 v64, v[62:63], s[44:45] scale_offset
	s_wait_xcnt 0x0
	s_or_b32 exec_lo, exec_lo, s17
	s_and_saveexec_b32 s17, s26
	s_cbranch_execz .LBB1010_870
.LBB1010_938:                           ;   in Loop: Header=BB1010_722 Depth=2
	v_dual_lshlrev_b32 v62, 2, v128 :: v_dual_add_nc_u32 v63, v94, v95
	ds_load_b32 v64, v62
	ds_load_b64 v[62:63], v63 offset:20992
	s_wait_dscnt 0x1
	v_add_nc_u32_e32 v64, v64, v75
	s_wait_dscnt 0x0
	global_store_b64 v64, v[62:63], s[44:45] scale_offset
	s_wait_xcnt 0x0
	s_or_b32 exec_lo, exec_lo, s17
	s_and_saveexec_b32 s17, s27
	s_cbranch_execz .LBB1010_871
.LBB1010_939:                           ;   in Loop: Header=BB1010_722 Depth=2
	v_lshlrev_b32_e32 v62, 2, v127
	v_add_nc_u32_e32 v63, v94, v95
	ds_load_b32 v64, v62
	ds_load_b64 v[62:63], v63 offset:23040
	s_wait_dscnt 0x1
	v_add_nc_u32_e32 v64, v64, v76
	s_wait_dscnt 0x0
	global_store_b64 v64, v[62:63], s[44:45] scale_offset
	s_wait_xcnt 0x0
	s_or_b32 exec_lo, exec_lo, s17
	s_and_saveexec_b32 s17, s28
	s_cbranch_execz .LBB1010_872
.LBB1010_940:                           ;   in Loop: Header=BB1010_722 Depth=2
	v_dual_lshlrev_b32 v62, 2, v126 :: v_dual_add_nc_u32 v63, v94, v95
	ds_load_b32 v64, v62
	ds_load_b64 v[62:63], v63 offset:25088
	s_wait_dscnt 0x1
	v_add_nc_u32_e32 v64, v64, v77
	s_wait_dscnt 0x0
	global_store_b64 v64, v[62:63], s[44:45] scale_offset
	s_wait_xcnt 0x0
	s_or_b32 exec_lo, exec_lo, s17
	s_and_saveexec_b32 s17, s29
	s_cbranch_execz .LBB1010_873
.LBB1010_941:                           ;   in Loop: Header=BB1010_722 Depth=2
	v_dual_lshlrev_b32 v62, 2, v125 :: v_dual_add_nc_u32 v63, v94, v95
	ds_load_b32 v64, v62
	ds_load_b64 v[62:63], v63 offset:27136
	s_wait_dscnt 0x1
	v_add_nc_u32_e32 v64, v64, v78
	s_wait_dscnt 0x0
	global_store_b64 v64, v[62:63], s[44:45] scale_offset
	s_wait_xcnt 0x0
	s_or_b32 exec_lo, exec_lo, s17
	s_and_saveexec_b32 s17, s30
	s_cbranch_execz .LBB1010_874
.LBB1010_942:                           ;   in Loop: Header=BB1010_722 Depth=2
	v_dual_lshlrev_b32 v62, 2, v124 :: v_dual_add_nc_u32 v63, v94, v95
	ds_load_b32 v64, v62
	ds_load_b64 v[62:63], v63 offset:29184
	s_wait_dscnt 0x1
	v_add_nc_u32_e32 v64, v64, v79
	s_wait_dscnt 0x0
	global_store_b64 v64, v[62:63], s[44:45] scale_offset
	s_wait_xcnt 0x0
	s_or_b32 exec_lo, exec_lo, s17
	s_and_saveexec_b32 s17, s31
	s_cbranch_execz .LBB1010_875
.LBB1010_943:                           ;   in Loop: Header=BB1010_722 Depth=2
	v_lshlrev_b32_e32 v62, 2, v123
	v_add_nc_u32_e32 v63, v94, v95
	ds_load_b32 v64, v62
	ds_load_b64 v[62:63], v63 offset:31232
	s_wait_dscnt 0x1
	v_add_nc_u32_e32 v64, v64, v80
	s_wait_dscnt 0x0
	global_store_b64 v64, v[62:63], s[44:45] scale_offset
	s_wait_xcnt 0x0
	s_or_b32 exec_lo, exec_lo, s17
	s_and_saveexec_b32 s17, s33
	s_cbranch_execnz .LBB1010_876
	s_branch .LBB1010_877
.LBB1010_944:                           ;   in Loop: Header=BB1010_12 Depth=1
	s_wait_dscnt 0x0
	s_barrier_signal -1
	s_mov_b32 s9, 0
	s_barrier_wait -1
.LBB1010_945:                           ;   in Loop: Header=BB1010_12 Depth=1
	s_and_b32 vcc_lo, exec_lo, s9
	s_cbranch_vccz .LBB1010_11
; %bb.946:                              ;   in Loop: Header=BB1010_12 Depth=1
	s_mov_b32 s9, s57
	s_mov_b32 s34, s55
	s_barrier_signal -1
	s_barrier_wait -1
                                        ; implicit-def: $vgpr23
                                        ; implicit-def: $vgpr24
                                        ; implicit-def: $vgpr25
                                        ; implicit-def: $vgpr26
                                        ; implicit-def: $vgpr27
                                        ; implicit-def: $vgpr28
                                        ; implicit-def: $vgpr29
                                        ; implicit-def: $vgpr30
                                        ; implicit-def: $vgpr31
                                        ; implicit-def: $vgpr32
                                        ; implicit-def: $vgpr33
                                        ; implicit-def: $vgpr34
                                        ; implicit-def: $vgpr35
                                        ; implicit-def: $vgpr36
                                        ; implicit-def: $vgpr37
                                        ; implicit-def: $vgpr38
                                        ; implicit-def: $vgpr39
	s_branch .LBB1010_948
.LBB1010_947:                           ;   in Loop: Header=BB1010_948 Depth=2
	s_or_b32 exec_lo, exec_lo, s10
	s_addk_co_i32 s9, 0xef00
	s_cmp_ge_u32 s12, s54
	s_mov_b32 s34, s12
	s_cbranch_scc1 .LBB1010_1020
.LBB1010_948:                           ;   Parent Loop BB1010_12 Depth=1
                                        ; =>  This Inner Loop Header: Depth=2
	s_add_co_i32 s12, s34, 0x1100
	s_mov_b32 s10, -1
	s_cmp_gt_u32 s12, s54
                                        ; implicit-def: $vgpr40
                                        ; implicit-def: $vgpr41
                                        ; implicit-def: $vgpr42
                                        ; implicit-def: $vgpr43
                                        ; implicit-def: $vgpr44
                                        ; implicit-def: $vgpr45
                                        ; implicit-def: $vgpr46
                                        ; implicit-def: $vgpr47
                                        ; implicit-def: $vgpr48
                                        ; implicit-def: $vgpr49
                                        ; implicit-def: $vgpr50
                                        ; implicit-def: $vgpr51
                                        ; implicit-def: $vgpr52
                                        ; implicit-def: $vgpr53
                                        ; implicit-def: $vgpr54
                                        ; implicit-def: $vgpr55
                                        ; implicit-def: $vgpr56
	s_cbranch_scc1 .LBB1010_950
; %bb.949:                              ;   in Loop: Header=BB1010_948 Depth=2
	v_lshl_add_u64 v[58:59], s[34:35], 1, v[16:17]
	s_mov_b32 s10, 0
	s_clause 0x10
	global_load_u16 v40, v[58:59], off
	global_load_u16 v41, v[58:59], off offset:512
	global_load_u16 v42, v[58:59], off offset:1024
	;; [unrolled: 1-line block ×16, first 2 shown]
.LBB1010_950:                           ;   in Loop: Header=BB1010_948 Depth=2
	s_and_not1_b32 vcc_lo, exec_lo, s10
	s_movk_i32 s10, 0x1100
	s_cbranch_vccnz .LBB1010_970
; %bb.951:                              ;   in Loop: Header=BB1010_948 Depth=2
	s_lshl_b64 s[10:11], s[34:35], 1
	s_mov_b32 s13, exec_lo
	s_add_nc_u64 s[10:11], s[36:37], s[10:11]
	s_wait_xcnt 0x0
	v_cmpx_gt_u32_e64 s9, v2
	s_cbranch_execnz .LBB1010_1004
; %bb.952:                              ;   in Loop: Header=BB1010_948 Depth=2
	s_or_b32 exec_lo, exec_lo, s13
	s_delay_alu instid0(SALU_CYCLE_1)
	s_mov_b32 s13, exec_lo
	v_cmpx_gt_u32_e64 s9, v66
	s_cbranch_execnz .LBB1010_1005
.LBB1010_953:                           ;   in Loop: Header=BB1010_948 Depth=2
	s_or_b32 exec_lo, exec_lo, s13
	s_delay_alu instid0(SALU_CYCLE_1)
	s_mov_b32 s13, exec_lo
	v_cmpx_gt_u32_e64 s9, v67
	s_cbranch_execnz .LBB1010_1006
.LBB1010_954:                           ;   in Loop: Header=BB1010_948 Depth=2
	s_or_b32 exec_lo, exec_lo, s13
	s_delay_alu instid0(SALU_CYCLE_1)
	s_mov_b32 s13, exec_lo
	v_cmpx_gt_u32_e64 s9, v68
	s_cbranch_execnz .LBB1010_1007
.LBB1010_955:                           ;   in Loop: Header=BB1010_948 Depth=2
	s_or_b32 exec_lo, exec_lo, s13
	s_delay_alu instid0(SALU_CYCLE_1)
	s_mov_b32 s13, exec_lo
	v_cmpx_gt_u32_e64 s9, v69
	s_cbranch_execnz .LBB1010_1008
.LBB1010_956:                           ;   in Loop: Header=BB1010_948 Depth=2
	s_or_b32 exec_lo, exec_lo, s13
	s_delay_alu instid0(SALU_CYCLE_1)
	s_mov_b32 s13, exec_lo
	v_cmpx_gt_u32_e64 s9, v70
	s_cbranch_execnz .LBB1010_1009
.LBB1010_957:                           ;   in Loop: Header=BB1010_948 Depth=2
	s_or_b32 exec_lo, exec_lo, s13
	s_delay_alu instid0(SALU_CYCLE_1)
	s_mov_b32 s13, exec_lo
	v_cmpx_gt_u32_e64 s9, v71
	s_cbranch_execnz .LBB1010_1010
.LBB1010_958:                           ;   in Loop: Header=BB1010_948 Depth=2
	s_or_b32 exec_lo, exec_lo, s13
	s_delay_alu instid0(SALU_CYCLE_1)
	s_mov_b32 s13, exec_lo
	v_cmpx_gt_u32_e64 s9, v72
	s_cbranch_execnz .LBB1010_1011
.LBB1010_959:                           ;   in Loop: Header=BB1010_948 Depth=2
	s_or_b32 exec_lo, exec_lo, s13
	s_delay_alu instid0(SALU_CYCLE_1)
	s_mov_b32 s13, exec_lo
	v_cmpx_gt_u32_e64 s9, v73
	s_cbranch_execnz .LBB1010_1012
.LBB1010_960:                           ;   in Loop: Header=BB1010_948 Depth=2
	s_or_b32 exec_lo, exec_lo, s13
	s_delay_alu instid0(SALU_CYCLE_1)
	s_mov_b32 s13, exec_lo
	v_cmpx_gt_u32_e64 s9, v74
	s_cbranch_execnz .LBB1010_1013
.LBB1010_961:                           ;   in Loop: Header=BB1010_948 Depth=2
	s_or_b32 exec_lo, exec_lo, s13
	s_delay_alu instid0(SALU_CYCLE_1)
	s_mov_b32 s13, exec_lo
	v_cmpx_gt_u32_e64 s9, v75
	s_cbranch_execnz .LBB1010_1014
.LBB1010_962:                           ;   in Loop: Header=BB1010_948 Depth=2
	s_or_b32 exec_lo, exec_lo, s13
	s_delay_alu instid0(SALU_CYCLE_1)
	s_mov_b32 s13, exec_lo
	v_cmpx_gt_u32_e64 s9, v76
	s_cbranch_execnz .LBB1010_1015
.LBB1010_963:                           ;   in Loop: Header=BB1010_948 Depth=2
	s_or_b32 exec_lo, exec_lo, s13
	s_delay_alu instid0(SALU_CYCLE_1)
	s_mov_b32 s13, exec_lo
	v_cmpx_gt_u32_e64 s9, v77
	s_cbranch_execnz .LBB1010_1016
.LBB1010_964:                           ;   in Loop: Header=BB1010_948 Depth=2
	s_or_b32 exec_lo, exec_lo, s13
	s_delay_alu instid0(SALU_CYCLE_1)
	s_mov_b32 s13, exec_lo
	v_cmpx_gt_u32_e64 s9, v78
	s_cbranch_execnz .LBB1010_1017
.LBB1010_965:                           ;   in Loop: Header=BB1010_948 Depth=2
	s_or_b32 exec_lo, exec_lo, s13
	s_delay_alu instid0(SALU_CYCLE_1)
	s_mov_b32 s13, exec_lo
	v_cmpx_gt_u32_e64 s9, v79
	s_cbranch_execnz .LBB1010_1018
.LBB1010_966:                           ;   in Loop: Header=BB1010_948 Depth=2
	s_or_b32 exec_lo, exec_lo, s13
	s_delay_alu instid0(SALU_CYCLE_1)
	s_mov_b32 s13, exec_lo
	v_cmpx_gt_u32_e64 s9, v80
	s_cbranch_execnz .LBB1010_1019
.LBB1010_967:                           ;   in Loop: Header=BB1010_948 Depth=2
	s_or_b32 exec_lo, exec_lo, s13
	s_delay_alu instid0(SALU_CYCLE_1)
	s_mov_b32 s13, exec_lo
	v_cmpx_gt_u32_e64 s9, v81
	s_cbranch_execz .LBB1010_969
.LBB1010_968:                           ;   in Loop: Header=BB1010_948 Depth=2
	global_load_u16 v23, v2, s[10:11] offset:8192 scale_offset
.LBB1010_969:                           ;   in Loop: Header=BB1010_948 Depth=2
	s_wait_xcnt 0x0
	s_or_b32 exec_lo, exec_lo, s13
	s_wait_loadcnt 0x0
	v_dual_mov_b32 v40, v39 :: v_dual_mov_b32 v41, v38
	v_dual_mov_b32 v42, v37 :: v_dual_mov_b32 v43, v36
	;; [unrolled: 1-line block ×8, first 2 shown]
	v_mov_b32_e32 v56, v23
	s_mov_b32 s10, s9
.LBB1010_970:                           ;   in Loop: Header=BB1010_948 Depth=2
	s_wait_loadcnt 0x0
	s_delay_alu instid0(VALU_DEP_1)
	v_dual_mov_b32 v23, v56 :: v_dual_mov_b32 v24, v55
	v_dual_mov_b32 v25, v54 :: v_dual_mov_b32 v26, v53
	;; [unrolled: 1-line block ×8, first 2 shown]
	v_mov_b32_e32 v39, v40
	s_mov_b32 s11, exec_lo
	s_wait_xcnt 0x0
	v_cmpx_gt_u32_e64 s10, v2
	s_cbranch_execnz .LBB1010_987
; %bb.971:                              ;   in Loop: Header=BB1010_948 Depth=2
	s_or_b32 exec_lo, exec_lo, s11
	s_delay_alu instid0(SALU_CYCLE_1)
	s_mov_b32 s11, exec_lo
	v_cmpx_gt_u32_e64 s10, v66
	s_cbranch_execnz .LBB1010_988
.LBB1010_972:                           ;   in Loop: Header=BB1010_948 Depth=2
	s_or_b32 exec_lo, exec_lo, s11
	s_delay_alu instid0(SALU_CYCLE_1)
	s_mov_b32 s11, exec_lo
	v_cmpx_gt_u32_e64 s10, v67
	s_cbranch_execnz .LBB1010_989
.LBB1010_973:                           ;   in Loop: Header=BB1010_948 Depth=2
	s_or_b32 exec_lo, exec_lo, s11
	s_delay_alu instid0(SALU_CYCLE_1)
	s_mov_b32 s11, exec_lo
	v_cmpx_gt_u32_e64 s10, v68
	s_cbranch_execnz .LBB1010_990
.LBB1010_974:                           ;   in Loop: Header=BB1010_948 Depth=2
	s_or_b32 exec_lo, exec_lo, s11
	s_delay_alu instid0(SALU_CYCLE_1)
	s_mov_b32 s11, exec_lo
	v_cmpx_gt_u32_e64 s10, v69
	s_cbranch_execnz .LBB1010_991
.LBB1010_975:                           ;   in Loop: Header=BB1010_948 Depth=2
	s_or_b32 exec_lo, exec_lo, s11
	s_delay_alu instid0(SALU_CYCLE_1)
	s_mov_b32 s11, exec_lo
	v_cmpx_gt_u32_e64 s10, v70
	s_cbranch_execnz .LBB1010_992
.LBB1010_976:                           ;   in Loop: Header=BB1010_948 Depth=2
	s_or_b32 exec_lo, exec_lo, s11
	s_delay_alu instid0(SALU_CYCLE_1)
	s_mov_b32 s11, exec_lo
	v_cmpx_gt_u32_e64 s10, v71
	s_cbranch_execnz .LBB1010_993
.LBB1010_977:                           ;   in Loop: Header=BB1010_948 Depth=2
	s_or_b32 exec_lo, exec_lo, s11
	s_delay_alu instid0(SALU_CYCLE_1)
	s_mov_b32 s11, exec_lo
	v_cmpx_gt_u32_e64 s10, v72
	s_cbranch_execnz .LBB1010_994
.LBB1010_978:                           ;   in Loop: Header=BB1010_948 Depth=2
	s_or_b32 exec_lo, exec_lo, s11
	s_delay_alu instid0(SALU_CYCLE_1)
	s_mov_b32 s11, exec_lo
	v_cmpx_gt_u32_e64 s10, v73
	s_cbranch_execnz .LBB1010_995
.LBB1010_979:                           ;   in Loop: Header=BB1010_948 Depth=2
	s_or_b32 exec_lo, exec_lo, s11
	s_delay_alu instid0(SALU_CYCLE_1)
	s_mov_b32 s11, exec_lo
	v_cmpx_gt_u32_e64 s10, v74
	s_cbranch_execnz .LBB1010_996
.LBB1010_980:                           ;   in Loop: Header=BB1010_948 Depth=2
	s_or_b32 exec_lo, exec_lo, s11
	s_delay_alu instid0(SALU_CYCLE_1)
	s_mov_b32 s11, exec_lo
	v_cmpx_gt_u32_e64 s10, v75
	s_cbranch_execnz .LBB1010_997
.LBB1010_981:                           ;   in Loop: Header=BB1010_948 Depth=2
	s_or_b32 exec_lo, exec_lo, s11
	s_delay_alu instid0(SALU_CYCLE_1)
	s_mov_b32 s11, exec_lo
	v_cmpx_gt_u32_e64 s10, v76
	s_cbranch_execnz .LBB1010_998
.LBB1010_982:                           ;   in Loop: Header=BB1010_948 Depth=2
	s_or_b32 exec_lo, exec_lo, s11
	s_delay_alu instid0(SALU_CYCLE_1)
	s_mov_b32 s11, exec_lo
	v_cmpx_gt_u32_e64 s10, v77
	s_cbranch_execnz .LBB1010_999
.LBB1010_983:                           ;   in Loop: Header=BB1010_948 Depth=2
	s_or_b32 exec_lo, exec_lo, s11
	s_delay_alu instid0(SALU_CYCLE_1)
	s_mov_b32 s11, exec_lo
	v_cmpx_gt_u32_e64 s10, v78
	s_cbranch_execnz .LBB1010_1000
.LBB1010_984:                           ;   in Loop: Header=BB1010_948 Depth=2
	s_or_b32 exec_lo, exec_lo, s11
	s_delay_alu instid0(SALU_CYCLE_1)
	s_mov_b32 s11, exec_lo
	v_cmpx_gt_u32_e64 s10, v79
	s_cbranch_execnz .LBB1010_1001
.LBB1010_985:                           ;   in Loop: Header=BB1010_948 Depth=2
	s_or_b32 exec_lo, exec_lo, s11
	s_delay_alu instid0(SALU_CYCLE_1)
	s_mov_b32 s11, exec_lo
	v_cmpx_gt_u32_e64 s10, v80
	s_cbranch_execnz .LBB1010_1002
.LBB1010_986:                           ;   in Loop: Header=BB1010_948 Depth=2
	s_or_b32 exec_lo, exec_lo, s11
	v_cmp_gt_u32_e32 vcc_lo, s10, v81
	s_and_saveexec_b32 s10, vcc_lo
	s_cbranch_execz .LBB1010_947
	s_branch .LBB1010_1003
.LBB1010_987:                           ;   in Loop: Header=BB1010_948 Depth=2
	v_xor_b32_e32 v40, 0xffff8000, v39
	s_delay_alu instid0(VALU_DEP_1) | instskip(NEXT) | instid1(VALU_DEP_1)
	v_and_b32_e32 v40, 0xffff, v40
	v_lshrrev_b32_e32 v40, s49, v40
	s_delay_alu instid0(VALU_DEP_1) | instskip(NEXT) | instid1(VALU_DEP_1)
	v_and_b32_e32 v40, s48, v40
	v_lshl_or_b32 v40, v40, 4, v83
	ds_add_u32 v40, v97
	s_or_b32 exec_lo, exec_lo, s11
	s_delay_alu instid0(SALU_CYCLE_1)
	s_mov_b32 s11, exec_lo
	v_cmpx_gt_u32_e64 s10, v66
	s_cbranch_execz .LBB1010_972
.LBB1010_988:                           ;   in Loop: Header=BB1010_948 Depth=2
	v_xor_b32_e32 v40, 0xffff8000, v38
	s_delay_alu instid0(VALU_DEP_1) | instskip(NEXT) | instid1(VALU_DEP_1)
	v_and_b32_e32 v40, 0xffff, v40
	v_lshrrev_b32_e32 v40, s49, v40
	s_delay_alu instid0(VALU_DEP_1) | instskip(NEXT) | instid1(VALU_DEP_1)
	v_and_b32_e32 v40, s48, v40
	v_lshl_or_b32 v40, v40, 4, v83
	ds_add_u32 v40, v97
	s_or_b32 exec_lo, exec_lo, s11
	s_delay_alu instid0(SALU_CYCLE_1)
	s_mov_b32 s11, exec_lo
	v_cmpx_gt_u32_e64 s10, v67
	s_cbranch_execz .LBB1010_973
.LBB1010_989:                           ;   in Loop: Header=BB1010_948 Depth=2
	v_xor_b32_e32 v40, 0xffff8000, v37
	s_delay_alu instid0(VALU_DEP_1) | instskip(NEXT) | instid1(VALU_DEP_1)
	v_and_b32_e32 v40, 0xffff, v40
	v_lshrrev_b32_e32 v40, s49, v40
	s_delay_alu instid0(VALU_DEP_1) | instskip(NEXT) | instid1(VALU_DEP_1)
	v_and_b32_e32 v40, s48, v40
	v_lshl_or_b32 v40, v40, 4, v83
	ds_add_u32 v40, v97
	s_or_b32 exec_lo, exec_lo, s11
	s_delay_alu instid0(SALU_CYCLE_1)
	s_mov_b32 s11, exec_lo
	v_cmpx_gt_u32_e64 s10, v68
	s_cbranch_execz .LBB1010_974
.LBB1010_990:                           ;   in Loop: Header=BB1010_948 Depth=2
	v_xor_b32_e32 v40, 0xffff8000, v36
	s_delay_alu instid0(VALU_DEP_1) | instskip(NEXT) | instid1(VALU_DEP_1)
	v_and_b32_e32 v40, 0xffff, v40
	v_lshrrev_b32_e32 v40, s49, v40
	s_delay_alu instid0(VALU_DEP_1) | instskip(NEXT) | instid1(VALU_DEP_1)
	v_and_b32_e32 v40, s48, v40
	v_lshl_or_b32 v40, v40, 4, v83
	ds_add_u32 v40, v97
	s_or_b32 exec_lo, exec_lo, s11
	s_delay_alu instid0(SALU_CYCLE_1)
	s_mov_b32 s11, exec_lo
	v_cmpx_gt_u32_e64 s10, v69
	s_cbranch_execz .LBB1010_975
.LBB1010_991:                           ;   in Loop: Header=BB1010_948 Depth=2
	v_xor_b32_e32 v40, 0xffff8000, v35
	s_delay_alu instid0(VALU_DEP_1) | instskip(NEXT) | instid1(VALU_DEP_1)
	v_and_b32_e32 v40, 0xffff, v40
	v_lshrrev_b32_e32 v40, s49, v40
	s_delay_alu instid0(VALU_DEP_1) | instskip(NEXT) | instid1(VALU_DEP_1)
	v_and_b32_e32 v40, s48, v40
	v_lshl_or_b32 v40, v40, 4, v83
	ds_add_u32 v40, v97
	s_or_b32 exec_lo, exec_lo, s11
	s_delay_alu instid0(SALU_CYCLE_1)
	s_mov_b32 s11, exec_lo
	v_cmpx_gt_u32_e64 s10, v70
	s_cbranch_execz .LBB1010_976
.LBB1010_992:                           ;   in Loop: Header=BB1010_948 Depth=2
	v_xor_b32_e32 v40, 0xffff8000, v34
	s_delay_alu instid0(VALU_DEP_1) | instskip(NEXT) | instid1(VALU_DEP_1)
	v_and_b32_e32 v40, 0xffff, v40
	v_lshrrev_b32_e32 v40, s49, v40
	s_delay_alu instid0(VALU_DEP_1) | instskip(NEXT) | instid1(VALU_DEP_1)
	v_and_b32_e32 v40, s48, v40
	v_lshl_or_b32 v40, v40, 4, v83
	ds_add_u32 v40, v97
	s_or_b32 exec_lo, exec_lo, s11
	s_delay_alu instid0(SALU_CYCLE_1)
	s_mov_b32 s11, exec_lo
	v_cmpx_gt_u32_e64 s10, v71
	s_cbranch_execz .LBB1010_977
.LBB1010_993:                           ;   in Loop: Header=BB1010_948 Depth=2
	v_xor_b32_e32 v40, 0xffff8000, v33
	s_delay_alu instid0(VALU_DEP_1) | instskip(NEXT) | instid1(VALU_DEP_1)
	v_and_b32_e32 v40, 0xffff, v40
	v_lshrrev_b32_e32 v40, s49, v40
	s_delay_alu instid0(VALU_DEP_1) | instskip(NEXT) | instid1(VALU_DEP_1)
	v_and_b32_e32 v40, s48, v40
	v_lshl_or_b32 v40, v40, 4, v83
	ds_add_u32 v40, v97
	s_or_b32 exec_lo, exec_lo, s11
	s_delay_alu instid0(SALU_CYCLE_1)
	s_mov_b32 s11, exec_lo
	v_cmpx_gt_u32_e64 s10, v72
	s_cbranch_execz .LBB1010_978
.LBB1010_994:                           ;   in Loop: Header=BB1010_948 Depth=2
	v_xor_b32_e32 v40, 0xffff8000, v32
	s_delay_alu instid0(VALU_DEP_1) | instskip(NEXT) | instid1(VALU_DEP_1)
	v_and_b32_e32 v40, 0xffff, v40
	v_lshrrev_b32_e32 v40, s49, v40
	s_delay_alu instid0(VALU_DEP_1) | instskip(NEXT) | instid1(VALU_DEP_1)
	v_and_b32_e32 v40, s48, v40
	v_lshl_or_b32 v40, v40, 4, v83
	ds_add_u32 v40, v97
	s_or_b32 exec_lo, exec_lo, s11
	s_delay_alu instid0(SALU_CYCLE_1)
	s_mov_b32 s11, exec_lo
	v_cmpx_gt_u32_e64 s10, v73
	s_cbranch_execz .LBB1010_979
.LBB1010_995:                           ;   in Loop: Header=BB1010_948 Depth=2
	v_xor_b32_e32 v40, 0xffff8000, v31
	s_delay_alu instid0(VALU_DEP_1) | instskip(NEXT) | instid1(VALU_DEP_1)
	v_and_b32_e32 v40, 0xffff, v40
	v_lshrrev_b32_e32 v40, s49, v40
	s_delay_alu instid0(VALU_DEP_1) | instskip(NEXT) | instid1(VALU_DEP_1)
	v_and_b32_e32 v40, s48, v40
	v_lshl_or_b32 v40, v40, 4, v83
	ds_add_u32 v40, v97
	s_or_b32 exec_lo, exec_lo, s11
	s_delay_alu instid0(SALU_CYCLE_1)
	s_mov_b32 s11, exec_lo
	v_cmpx_gt_u32_e64 s10, v74
	s_cbranch_execz .LBB1010_980
.LBB1010_996:                           ;   in Loop: Header=BB1010_948 Depth=2
	v_xor_b32_e32 v40, 0xffff8000, v30
	s_delay_alu instid0(VALU_DEP_1) | instskip(NEXT) | instid1(VALU_DEP_1)
	v_and_b32_e32 v40, 0xffff, v40
	v_lshrrev_b32_e32 v40, s49, v40
	s_delay_alu instid0(VALU_DEP_1) | instskip(NEXT) | instid1(VALU_DEP_1)
	v_and_b32_e32 v40, s48, v40
	v_lshl_or_b32 v40, v40, 4, v83
	ds_add_u32 v40, v97
	s_or_b32 exec_lo, exec_lo, s11
	s_delay_alu instid0(SALU_CYCLE_1)
	s_mov_b32 s11, exec_lo
	v_cmpx_gt_u32_e64 s10, v75
	s_cbranch_execz .LBB1010_981
.LBB1010_997:                           ;   in Loop: Header=BB1010_948 Depth=2
	v_xor_b32_e32 v40, 0xffff8000, v29
	s_delay_alu instid0(VALU_DEP_1) | instskip(NEXT) | instid1(VALU_DEP_1)
	v_and_b32_e32 v40, 0xffff, v40
	v_lshrrev_b32_e32 v40, s49, v40
	s_delay_alu instid0(VALU_DEP_1) | instskip(NEXT) | instid1(VALU_DEP_1)
	v_and_b32_e32 v40, s48, v40
	v_lshl_or_b32 v40, v40, 4, v83
	ds_add_u32 v40, v97
	s_or_b32 exec_lo, exec_lo, s11
	s_delay_alu instid0(SALU_CYCLE_1)
	s_mov_b32 s11, exec_lo
	v_cmpx_gt_u32_e64 s10, v76
	s_cbranch_execz .LBB1010_982
.LBB1010_998:                           ;   in Loop: Header=BB1010_948 Depth=2
	v_xor_b32_e32 v40, 0xffff8000, v28
	s_delay_alu instid0(VALU_DEP_1) | instskip(NEXT) | instid1(VALU_DEP_1)
	v_and_b32_e32 v40, 0xffff, v40
	v_lshrrev_b32_e32 v40, s49, v40
	s_delay_alu instid0(VALU_DEP_1) | instskip(NEXT) | instid1(VALU_DEP_1)
	v_and_b32_e32 v40, s48, v40
	v_lshl_or_b32 v40, v40, 4, v83
	ds_add_u32 v40, v97
	s_or_b32 exec_lo, exec_lo, s11
	s_delay_alu instid0(SALU_CYCLE_1)
	s_mov_b32 s11, exec_lo
	v_cmpx_gt_u32_e64 s10, v77
	s_cbranch_execz .LBB1010_983
.LBB1010_999:                           ;   in Loop: Header=BB1010_948 Depth=2
	v_xor_b32_e32 v40, 0xffff8000, v27
	s_delay_alu instid0(VALU_DEP_1) | instskip(NEXT) | instid1(VALU_DEP_1)
	v_and_b32_e32 v40, 0xffff, v40
	v_lshrrev_b32_e32 v40, s49, v40
	s_delay_alu instid0(VALU_DEP_1) | instskip(NEXT) | instid1(VALU_DEP_1)
	v_and_b32_e32 v40, s48, v40
	v_lshl_or_b32 v40, v40, 4, v83
	ds_add_u32 v40, v97
	s_or_b32 exec_lo, exec_lo, s11
	s_delay_alu instid0(SALU_CYCLE_1)
	s_mov_b32 s11, exec_lo
	v_cmpx_gt_u32_e64 s10, v78
	s_cbranch_execz .LBB1010_984
.LBB1010_1000:                          ;   in Loop: Header=BB1010_948 Depth=2
	v_xor_b32_e32 v40, 0xffff8000, v26
	s_delay_alu instid0(VALU_DEP_1) | instskip(NEXT) | instid1(VALU_DEP_1)
	v_and_b32_e32 v40, 0xffff, v40
	v_lshrrev_b32_e32 v40, s49, v40
	s_delay_alu instid0(VALU_DEP_1) | instskip(NEXT) | instid1(VALU_DEP_1)
	v_and_b32_e32 v40, s48, v40
	v_lshl_or_b32 v40, v40, 4, v83
	ds_add_u32 v40, v97
	s_or_b32 exec_lo, exec_lo, s11
	s_delay_alu instid0(SALU_CYCLE_1)
	s_mov_b32 s11, exec_lo
	v_cmpx_gt_u32_e64 s10, v79
	s_cbranch_execz .LBB1010_985
.LBB1010_1001:                          ;   in Loop: Header=BB1010_948 Depth=2
	v_xor_b32_e32 v40, 0xffff8000, v25
	s_delay_alu instid0(VALU_DEP_1) | instskip(NEXT) | instid1(VALU_DEP_1)
	v_and_b32_e32 v40, 0xffff, v40
	v_lshrrev_b32_e32 v40, s49, v40
	s_delay_alu instid0(VALU_DEP_1) | instskip(NEXT) | instid1(VALU_DEP_1)
	v_and_b32_e32 v40, s48, v40
	v_lshl_or_b32 v40, v40, 4, v83
	ds_add_u32 v40, v97
	s_or_b32 exec_lo, exec_lo, s11
	s_delay_alu instid0(SALU_CYCLE_1)
	s_mov_b32 s11, exec_lo
	v_cmpx_gt_u32_e64 s10, v80
	s_cbranch_execz .LBB1010_986
.LBB1010_1002:                          ;   in Loop: Header=BB1010_948 Depth=2
	v_xor_b32_e32 v40, 0xffff8000, v24
	s_delay_alu instid0(VALU_DEP_1) | instskip(NEXT) | instid1(VALU_DEP_1)
	v_and_b32_e32 v40, 0xffff, v40
	v_lshrrev_b32_e32 v40, s49, v40
	s_delay_alu instid0(VALU_DEP_1) | instskip(NEXT) | instid1(VALU_DEP_1)
	v_and_b32_e32 v40, s48, v40
	v_lshl_or_b32 v40, v40, 4, v83
	ds_add_u32 v40, v97
	s_or_b32 exec_lo, exec_lo, s11
	v_cmp_gt_u32_e32 vcc_lo, s10, v81
	s_and_saveexec_b32 s10, vcc_lo
	s_cbranch_execz .LBB1010_947
.LBB1010_1003:                          ;   in Loop: Header=BB1010_948 Depth=2
	v_xor_b32_e32 v40, 0xffff8000, v23
	s_delay_alu instid0(VALU_DEP_1) | instskip(NEXT) | instid1(VALU_DEP_1)
	v_and_b32_e32 v40, 0xffff, v40
	v_lshrrev_b32_e32 v40, s49, v40
	s_delay_alu instid0(VALU_DEP_1) | instskip(NEXT) | instid1(VALU_DEP_1)
	v_and_b32_e32 v40, s48, v40
	v_lshl_or_b32 v40, v40, 4, v83
	ds_add_u32 v40, v97
	s_branch .LBB1010_947
.LBB1010_1004:                          ;   in Loop: Header=BB1010_948 Depth=2
	global_load_u16 v39, v2, s[10:11] scale_offset
	s_wait_xcnt 0x0
	s_or_b32 exec_lo, exec_lo, s13
	s_delay_alu instid0(SALU_CYCLE_1)
	s_mov_b32 s13, exec_lo
	v_cmpx_gt_u32_e64 s9, v66
	s_cbranch_execz .LBB1010_953
.LBB1010_1005:                          ;   in Loop: Header=BB1010_948 Depth=2
	global_load_u16 v38, v2, s[10:11] offset:512 scale_offset
	s_wait_xcnt 0x0
	s_or_b32 exec_lo, exec_lo, s13
	s_delay_alu instid0(SALU_CYCLE_1)
	s_mov_b32 s13, exec_lo
	v_cmpx_gt_u32_e64 s9, v67
	s_cbranch_execz .LBB1010_954
.LBB1010_1006:                          ;   in Loop: Header=BB1010_948 Depth=2
	global_load_u16 v37, v2, s[10:11] offset:1024 scale_offset
	s_wait_xcnt 0x0
	s_or_b32 exec_lo, exec_lo, s13
	s_delay_alu instid0(SALU_CYCLE_1)
	s_mov_b32 s13, exec_lo
	v_cmpx_gt_u32_e64 s9, v68
	s_cbranch_execz .LBB1010_955
.LBB1010_1007:                          ;   in Loop: Header=BB1010_948 Depth=2
	global_load_u16 v36, v2, s[10:11] offset:1536 scale_offset
	s_wait_xcnt 0x0
	s_or_b32 exec_lo, exec_lo, s13
	s_delay_alu instid0(SALU_CYCLE_1)
	s_mov_b32 s13, exec_lo
	v_cmpx_gt_u32_e64 s9, v69
	s_cbranch_execz .LBB1010_956
.LBB1010_1008:                          ;   in Loop: Header=BB1010_948 Depth=2
	global_load_u16 v35, v2, s[10:11] offset:2048 scale_offset
	s_wait_xcnt 0x0
	s_or_b32 exec_lo, exec_lo, s13
	s_delay_alu instid0(SALU_CYCLE_1)
	s_mov_b32 s13, exec_lo
	v_cmpx_gt_u32_e64 s9, v70
	s_cbranch_execz .LBB1010_957
.LBB1010_1009:                          ;   in Loop: Header=BB1010_948 Depth=2
	global_load_u16 v34, v2, s[10:11] offset:2560 scale_offset
	s_wait_xcnt 0x0
	s_or_b32 exec_lo, exec_lo, s13
	s_delay_alu instid0(SALU_CYCLE_1)
	s_mov_b32 s13, exec_lo
	v_cmpx_gt_u32_e64 s9, v71
	s_cbranch_execz .LBB1010_958
.LBB1010_1010:                          ;   in Loop: Header=BB1010_948 Depth=2
	global_load_u16 v33, v2, s[10:11] offset:3072 scale_offset
	s_wait_xcnt 0x0
	s_or_b32 exec_lo, exec_lo, s13
	s_delay_alu instid0(SALU_CYCLE_1)
	s_mov_b32 s13, exec_lo
	v_cmpx_gt_u32_e64 s9, v72
	s_cbranch_execz .LBB1010_959
.LBB1010_1011:                          ;   in Loop: Header=BB1010_948 Depth=2
	global_load_u16 v32, v2, s[10:11] offset:3584 scale_offset
	s_wait_xcnt 0x0
	s_or_b32 exec_lo, exec_lo, s13
	s_delay_alu instid0(SALU_CYCLE_1)
	s_mov_b32 s13, exec_lo
	v_cmpx_gt_u32_e64 s9, v73
	s_cbranch_execz .LBB1010_960
.LBB1010_1012:                          ;   in Loop: Header=BB1010_948 Depth=2
	global_load_u16 v31, v2, s[10:11] offset:4096 scale_offset
	s_wait_xcnt 0x0
	s_or_b32 exec_lo, exec_lo, s13
	s_delay_alu instid0(SALU_CYCLE_1)
	s_mov_b32 s13, exec_lo
	v_cmpx_gt_u32_e64 s9, v74
	s_cbranch_execz .LBB1010_961
.LBB1010_1013:                          ;   in Loop: Header=BB1010_948 Depth=2
	global_load_u16 v30, v2, s[10:11] offset:4608 scale_offset
	s_wait_xcnt 0x0
	s_or_b32 exec_lo, exec_lo, s13
	s_delay_alu instid0(SALU_CYCLE_1)
	s_mov_b32 s13, exec_lo
	v_cmpx_gt_u32_e64 s9, v75
	s_cbranch_execz .LBB1010_962
.LBB1010_1014:                          ;   in Loop: Header=BB1010_948 Depth=2
	global_load_u16 v29, v2, s[10:11] offset:5120 scale_offset
	s_wait_xcnt 0x0
	s_or_b32 exec_lo, exec_lo, s13
	s_delay_alu instid0(SALU_CYCLE_1)
	s_mov_b32 s13, exec_lo
	v_cmpx_gt_u32_e64 s9, v76
	s_cbranch_execz .LBB1010_963
.LBB1010_1015:                          ;   in Loop: Header=BB1010_948 Depth=2
	global_load_u16 v28, v2, s[10:11] offset:5632 scale_offset
	s_wait_xcnt 0x0
	s_or_b32 exec_lo, exec_lo, s13
	s_delay_alu instid0(SALU_CYCLE_1)
	s_mov_b32 s13, exec_lo
	v_cmpx_gt_u32_e64 s9, v77
	s_cbranch_execz .LBB1010_964
.LBB1010_1016:                          ;   in Loop: Header=BB1010_948 Depth=2
	global_load_u16 v27, v2, s[10:11] offset:6144 scale_offset
	s_wait_xcnt 0x0
	s_or_b32 exec_lo, exec_lo, s13
	s_delay_alu instid0(SALU_CYCLE_1)
	s_mov_b32 s13, exec_lo
	v_cmpx_gt_u32_e64 s9, v78
	s_cbranch_execz .LBB1010_965
.LBB1010_1017:                          ;   in Loop: Header=BB1010_948 Depth=2
	global_load_u16 v26, v2, s[10:11] offset:6656 scale_offset
	s_wait_xcnt 0x0
	s_or_b32 exec_lo, exec_lo, s13
	s_delay_alu instid0(SALU_CYCLE_1)
	s_mov_b32 s13, exec_lo
	v_cmpx_gt_u32_e64 s9, v79
	s_cbranch_execz .LBB1010_966
.LBB1010_1018:                          ;   in Loop: Header=BB1010_948 Depth=2
	global_load_u16 v25, v2, s[10:11] offset:7168 scale_offset
	s_wait_xcnt 0x0
	s_or_b32 exec_lo, exec_lo, s13
	s_delay_alu instid0(SALU_CYCLE_1)
	s_mov_b32 s13, exec_lo
	v_cmpx_gt_u32_e64 s9, v80
	s_cbranch_execz .LBB1010_967
.LBB1010_1019:                          ;   in Loop: Header=BB1010_948 Depth=2
	global_load_u16 v24, v2, s[10:11] offset:7680 scale_offset
	s_wait_xcnt 0x0
	s_or_b32 exec_lo, exec_lo, s13
	s_delay_alu instid0(SALU_CYCLE_1)
	s_mov_b32 s13, exec_lo
	v_cmpx_gt_u32_e64 s9, v81
	s_cbranch_execnz .LBB1010_968
	s_branch .LBB1010_969
.LBB1010_1020:                          ;   in Loop: Header=BB1010_12 Depth=1
	v_mov_b32_e32 v23, 0
	s_wait_dscnt 0x0
	s_barrier_signal -1
	s_barrier_wait -1
	s_and_saveexec_b32 s9, s0
	s_cbranch_execz .LBB1010_1022
; %bb.1021:                             ;   in Loop: Header=BB1010_12 Depth=1
	ds_load_2addr_b64 v[24:27], v84 offset1:1
	s_wait_dscnt 0x0
	v_add_nc_u32_e32 v23, v25, v24
	s_delay_alu instid0(VALU_DEP_1)
	v_add3_u32 v23, v23, v26, v27
.LBB1010_1022:                          ;   in Loop: Header=BB1010_12 Depth=1
	s_or_b32 exec_lo, exec_lo, s9
	s_delay_alu instid0(VALU_DEP_1)
	v_mov_b32_dpp v24, v23 row_shr:1 row_mask:0xf bank_mask:0xf
	v_cmp_eq_u32_e64 s9, 0, v98
	v_cmp_lt_u32_e64 s10, 1, v98
	v_cmp_lt_u32_e64 s11, 3, v98
	;; [unrolled: 1-line block ×3, first 2 shown]
	v_cmp_eq_u32_e64 s13, 0, v100
	v_cndmask_b32_e64 v24, v24, 0, s9
	s_delay_alu instid0(VALU_DEP_1) | instskip(NEXT) | instid1(VALU_DEP_1)
	v_add_nc_u32_e32 v23, v24, v23
	v_mov_b32_dpp v24, v23 row_shr:2 row_mask:0xf bank_mask:0xf
	s_delay_alu instid0(VALU_DEP_1) | instskip(NEXT) | instid1(VALU_DEP_1)
	v_cndmask_b32_e64 v24, 0, v24, s10
	v_add_nc_u32_e32 v23, v23, v24
	s_delay_alu instid0(VALU_DEP_1) | instskip(NEXT) | instid1(VALU_DEP_1)
	v_mov_b32_dpp v24, v23 row_shr:4 row_mask:0xf bank_mask:0xf
	v_cndmask_b32_e64 v24, 0, v24, s11
	s_delay_alu instid0(VALU_DEP_1) | instskip(NEXT) | instid1(VALU_DEP_1)
	v_add_nc_u32_e32 v23, v23, v24
	v_mov_b32_dpp v24, v23 row_shr:8 row_mask:0xf bank_mask:0xf
	s_delay_alu instid0(VALU_DEP_1) | instskip(NEXT) | instid1(VALU_DEP_1)
	v_cndmask_b32_e64 v24, 0, v24, s12
	v_add_nc_u32_e32 v23, v23, v24
	ds_swizzle_b32 v24, v23 offset:swizzle(BROADCAST,32,15)
	s_wait_dscnt 0x0
	v_and_b32_e32 v24, v99, v24
	s_delay_alu instid0(VALU_DEP_1)
	v_add_nc_u32_e32 v23, v23, v24
	s_and_saveexec_b32 s14, s1
; %bb.1023:                             ;   in Loop: Header=BB1010_12 Depth=1
	ds_store_b32 v85, v23
; %bb.1024:                             ;   in Loop: Header=BB1010_12 Depth=1
	s_or_b32 exec_lo, exec_lo, s14
	s_wait_dscnt 0x0
	s_barrier_signal -1
	s_barrier_wait -1
	s_and_saveexec_b32 s14, s4
	s_cbranch_execz .LBB1010_1026
; %bb.1025:                             ;   in Loop: Header=BB1010_12 Depth=1
	ds_load_b32 v24, v86
	v_cmp_ne_u32_e32 vcc_lo, 0, v101
	s_wait_dscnt 0x0
	v_mov_b32_dpp v25, v24 row_shr:1 row_mask:0xf bank_mask:0xf
	s_delay_alu instid0(VALU_DEP_1) | instskip(SKIP_1) | instid1(VALU_DEP_2)
	v_cndmask_b32_e32 v25, 0, v25, vcc_lo
	v_cmp_lt_u32_e32 vcc_lo, 1, v101
	v_add_nc_u32_e32 v24, v25, v24
	s_delay_alu instid0(VALU_DEP_1) | instskip(NEXT) | instid1(VALU_DEP_1)
	v_mov_b32_dpp v25, v24 row_shr:2 row_mask:0xf bank_mask:0xf
	v_cndmask_b32_e32 v25, 0, v25, vcc_lo
	s_delay_alu instid0(VALU_DEP_1)
	v_add_nc_u32_e32 v24, v24, v25
	ds_store_b32 v86, v24
.LBB1010_1026:                          ;   in Loop: Header=BB1010_12 Depth=1
	s_or_b32 exec_lo, exec_lo, s14
	v_mov_b32_e32 v24, 0
	s_wait_dscnt 0x0
	s_barrier_signal -1
	s_barrier_wait -1
	s_and_saveexec_b32 s14, s5
; %bb.1027:                             ;   in Loop: Header=BB1010_12 Depth=1
	ds_load_b32 v24, v87
; %bb.1028:                             ;   in Loop: Header=BB1010_12 Depth=1
	s_or_b32 exec_lo, exec_lo, s14
	v_cmp_gt_i32_e32 vcc_lo, 0, v103
	s_wait_dscnt 0x0
	s_barrier_signal -1
	s_barrier_wait -1
	v_dual_cndmask_b32 v25, v103, v96, vcc_lo :: v_dual_add_nc_u32 v23, v24, v23
	s_delay_alu instid0(VALU_DEP_1)
	v_lshlrev_b32_e32 v121, 2, v25
	ds_bpermute_b32 v23, v121, v23
	s_and_saveexec_b32 s14, s0
	s_cbranch_execz .LBB1010_1030
; %bb.1029:                             ;   in Loop: Header=BB1010_12 Depth=1
	s_wait_dscnt 0x0
	v_cndmask_b32_e64 v23, v23, v24, s8
	s_delay_alu instid0(VALU_DEP_1)
	v_add_nc_u32_e32 v23, s55, v23
	ds_store_b32 v3, v23
.LBB1010_1030:                          ;   in Loop: Header=BB1010_12 Depth=1
	s_or_b32 exec_lo, exec_lo, s14
	s_load_b64 s[14:15], s[52:53], 0x0
	s_mov_b32 s58, s57
                                        ; implicit-def: $vgpr30_vgpr31
                                        ; implicit-def: $vgpr32_vgpr33
                                        ; implicit-def: $vgpr34_vgpr35
                                        ; implicit-def: $vgpr36_vgpr37
                                        ; implicit-def: $vgpr38_vgpr39
                                        ; implicit-def: $vgpr40_vgpr41
                                        ; implicit-def: $vgpr42_vgpr43
                                        ; implicit-def: $vgpr44_vgpr45
                                        ; implicit-def: $vgpr46_vgpr47
                                        ; implicit-def: $vgpr48_vgpr49
                                        ; implicit-def: $vgpr50_vgpr51
                                        ; implicit-def: $vgpr52_vgpr53
                                        ; implicit-def: $vgpr54_vgpr55
                                        ; implicit-def: $vgpr56_vgpr57
                                        ; implicit-def: $vgpr58_vgpr59
                                        ; implicit-def: $vgpr60_vgpr61
                                        ; implicit-def: $vgpr122
                                        ; implicit-def: $vgpr123
                                        ; implicit-def: $vgpr124
                                        ; implicit-def: $vgpr125
                                        ; implicit-def: $vgpr126
                                        ; implicit-def: $vgpr127
                                        ; implicit-def: $vgpr128
                                        ; implicit-def: $vgpr129
                                        ; implicit-def: $vgpr130
                                        ; implicit-def: $vgpr131
                                        ; implicit-def: $vgpr132
                                        ; implicit-def: $vgpr133
                                        ; implicit-def: $vgpr134
                                        ; implicit-def: $vgpr135
                                        ; implicit-def: $vgpr136
                                        ; implicit-def: $vgpr138
                                        ; implicit-def: $vgpr139
                                        ; implicit-def: $vgpr137
                                        ; implicit-def: $vgpr140
	s_wait_kmcnt 0x0
	s_cmp_lt_u32 s51, s14
	s_cselect_b32 s34, 12, 18
	s_cmp_lt_u32 s42, s15
	s_mov_b32 s15, s35
	s_cselect_b32 s14, 14, 20
	s_delay_alu instid0(SALU_CYCLE_1)
	s_add_nc_u64 s[14:15], s[52:53], s[14:15]
	s_load_u16 s16, s[14:15], 0x0
	s_wait_xcnt 0x0
	s_add_nc_u64 s[14:15], s[52:53], s[34:35]
	s_mov_b32 s34, s55
	s_load_u16 s14, s[14:15], 0x0
	s_wait_xcnt 0x0
	v_cmp_lt_u32_e64 s15, 1, v104
	s_wait_dscnt 0x0
	s_wait_kmcnt 0x0
	v_mad_u32_u24 v23, v88, s16, v90
	v_cmp_lt_u32_e64 s16, 3, v104
	s_delay_alu instid0(VALU_DEP_2) | instskip(SKIP_2) | instid1(VALU_DEP_3)
	v_mad_u32 v24, v23, s14, v2
	v_mov_b32_e32 v23, v5
	v_cmp_eq_u32_e64 s14, 0, v104
	v_lshrrev_b32_e32 v28, 3, v24
	v_add_nc_u64_e32 v[24:25], v[18:19], v[4:5]
	s_delay_alu instid0(VALU_DEP_4) | instskip(NEXT) | instid1(VALU_DEP_3)
	v_add_nc_u64_e32 v[26:27], v[20:21], v[22:23]
	v_and_b32_e32 v23, 0x1ffffffc, v28
                                        ; implicit-def: $vgpr28_vgpr29
	s_branch .LBB1010_1032
.LBB1010_1031:                          ;   in Loop: Header=BB1010_1032 Depth=2
	s_or_b32 exec_lo, exec_lo, s17
	s_addk_co_i32 s58, 0xef00
	s_cmp_lt_u32 s59, s54
	s_mov_b32 s34, s59
	s_cbranch_scc0 .LBB1010_10
.LBB1010_1032:                          ;   Parent Loop BB1010_12 Depth=1
                                        ; =>  This Inner Loop Header: Depth=2
	s_add_co_i32 s59, s34, 0x1100
	s_delay_alu instid0(SALU_CYCLE_1)
	s_cmp_gt_u32 s59, s54
	s_cbranch_scc1 .LBB1010_1034
; %bb.1033:                             ;   in Loop: Header=BB1010_1032 Depth=2
	s_delay_alu instid0(VALU_DEP_2)
	v_lshl_add_u64 v[62:63], s[34:35], 1, v[26:27]
	s_mov_b32 s17, -1
	s_clause 0xf
	global_load_u16 v143, v[62:63], off
	global_load_u16 v145, v[62:63], off offset:64
	global_load_u16 v147, v[62:63], off offset:128
	;; [unrolled: 1-line block ×15, first 2 shown]
	s_movk_i32 s18, 0x1100
	s_cbranch_execz .LBB1010_1035
	s_branch .LBB1010_1068
.LBB1010_1034:                          ;   in Loop: Header=BB1010_1032 Depth=2
	s_mov_b32 s17, 0
                                        ; implicit-def: $vgpr143
                                        ; implicit-def: $vgpr145
                                        ; implicit-def: $vgpr147
                                        ; implicit-def: $vgpr151
                                        ; implicit-def: $vgpr155
                                        ; implicit-def: $vgpr160
                                        ; implicit-def: $vgpr166
                                        ; implicit-def: $vgpr171
                                        ; implicit-def: $vgpr176
                                        ; implicit-def: $vgpr174
                                        ; implicit-def: $vgpr169
                                        ; implicit-def: $vgpr164
                                        ; implicit-def: $vgpr161
                                        ; implicit-def: $vgpr156
                                        ; implicit-def: $vgpr65
                                        ; implicit-def: $vgpr64
	s_movk_i32 s18, 0x1100
.LBB1010_1035:                          ;   in Loop: Header=BB1010_1032 Depth=2
	s_wait_xcnt 0x0
	v_lshl_add_u64 v[62:63], s[34:35], 1, v[26:27]
	s_wait_loadcnt 0xe
	v_mov_b32_e32 v145, 0x7fff
	v_mov_b32_e32 v143, 0x7fff
	s_mov_b32 s17, exec_lo
	v_cmpx_gt_u32_e64 s58, v102
	s_cbranch_execz .LBB1010_1037
; %bb.1036:                             ;   in Loop: Header=BB1010_1032 Depth=2
	global_load_u16 v143, v[62:63], off
.LBB1010_1037:                          ;   in Loop: Header=BB1010_1032 Depth=2
	s_wait_xcnt 0x0
	s_or_b32 exec_lo, exec_lo, s17
	s_delay_alu instid0(SALU_CYCLE_1)
	s_mov_b32 s17, exec_lo
	v_cmpx_gt_u32_e64 s58, v105
	s_cbranch_execz .LBB1010_1039
; %bb.1038:                             ;   in Loop: Header=BB1010_1032 Depth=2
	global_load_u16 v145, v[62:63], off offset:64
.LBB1010_1039:                          ;   in Loop: Header=BB1010_1032 Depth=2
	s_wait_xcnt 0x0
	s_or_b32 exec_lo, exec_lo, s17
	s_wait_loadcnt 0xc
	v_mov_b32_e32 v151, 0x7fff
	v_mov_b32_e32 v147, 0x7fff
	s_mov_b32 s17, exec_lo
	v_cmpx_gt_u32_e64 s58, v106
	s_cbranch_execz .LBB1010_1041
; %bb.1040:                             ;   in Loop: Header=BB1010_1032 Depth=2
	global_load_u16 v147, v[62:63], off offset:128
.LBB1010_1041:                          ;   in Loop: Header=BB1010_1032 Depth=2
	s_wait_xcnt 0x0
	s_or_b32 exec_lo, exec_lo, s17
	s_delay_alu instid0(SALU_CYCLE_1)
	s_mov_b32 s17, exec_lo
	v_cmpx_gt_u32_e64 s58, v107
	s_cbranch_execz .LBB1010_1043
; %bb.1042:                             ;   in Loop: Header=BB1010_1032 Depth=2
	global_load_u16 v151, v[62:63], off offset:192
.LBB1010_1043:                          ;   in Loop: Header=BB1010_1032 Depth=2
	s_wait_xcnt 0x0
	s_or_b32 exec_lo, exec_lo, s17
	s_wait_loadcnt 0xa
	v_dual_mov_b32 v160, 0x7fff :: v_dual_mov_b32 v155, 0x7fff
	s_mov_b32 s17, exec_lo
	v_cmpx_gt_u32_e64 s58, v108
	s_cbranch_execz .LBB1010_1045
; %bb.1044:                             ;   in Loop: Header=BB1010_1032 Depth=2
	global_load_u16 v155, v[62:63], off offset:256
.LBB1010_1045:                          ;   in Loop: Header=BB1010_1032 Depth=2
	s_wait_xcnt 0x0
	s_or_b32 exec_lo, exec_lo, s17
	s_delay_alu instid0(SALU_CYCLE_1)
	s_mov_b32 s17, exec_lo
	v_cmpx_gt_u32_e64 s58, v109
	s_cbranch_execz .LBB1010_1047
; %bb.1046:                             ;   in Loop: Header=BB1010_1032 Depth=2
	global_load_u16 v160, v[62:63], off offset:320
.LBB1010_1047:                          ;   in Loop: Header=BB1010_1032 Depth=2
	s_wait_xcnt 0x0
	s_or_b32 exec_lo, exec_lo, s17
	s_wait_loadcnt 0x8
	v_dual_mov_b32 v171, 0x7fff :: v_dual_mov_b32 v166, 0x7fff
	s_mov_b32 s17, exec_lo
	v_cmpx_gt_u32_e64 s58, v110
	s_cbranch_execz .LBB1010_1049
; %bb.1048:                             ;   in Loop: Header=BB1010_1032 Depth=2
	global_load_u16 v166, v[62:63], off offset:384
.LBB1010_1049:                          ;   in Loop: Header=BB1010_1032 Depth=2
	s_wait_xcnt 0x0
	s_or_b32 exec_lo, exec_lo, s17
	s_delay_alu instid0(SALU_CYCLE_1)
	s_mov_b32 s17, exec_lo
	v_cmpx_gt_u32_e64 s58, v111
	s_cbranch_execz .LBB1010_1051
; %bb.1050:                             ;   in Loop: Header=BB1010_1032 Depth=2
	global_load_u16 v171, v[62:63], off offset:448
.LBB1010_1051:                          ;   in Loop: Header=BB1010_1032 Depth=2
	s_wait_xcnt 0x0
	s_or_b32 exec_lo, exec_lo, s17
	s_wait_loadcnt 0x6
	v_mov_b32_e32 v174, 0x7fff
	v_mov_b32_e32 v176, 0x7fff
	s_mov_b32 s17, exec_lo
	v_cmpx_gt_u32_e64 s58, v112
	s_cbranch_execz .LBB1010_1053
; %bb.1052:                             ;   in Loop: Header=BB1010_1032 Depth=2
	global_load_u16 v176, v[62:63], off offset:512
.LBB1010_1053:                          ;   in Loop: Header=BB1010_1032 Depth=2
	s_wait_xcnt 0x0
	s_or_b32 exec_lo, exec_lo, s17
	s_delay_alu instid0(SALU_CYCLE_1)
	s_mov_b32 s17, exec_lo
	v_cmpx_gt_u32_e64 s58, v113
	s_cbranch_execz .LBB1010_1055
; %bb.1054:                             ;   in Loop: Header=BB1010_1032 Depth=2
	global_load_u16 v174, v[62:63], off offset:576
.LBB1010_1055:                          ;   in Loop: Header=BB1010_1032 Depth=2
	s_wait_xcnt 0x0
	s_or_b32 exec_lo, exec_lo, s17
	s_wait_loadcnt 0x4
	v_dual_mov_b32 v164, 0x7fff :: v_dual_mov_b32 v169, 0x7fff
	s_mov_b32 s17, exec_lo
	v_cmpx_gt_u32_e64 s58, v114
	s_cbranch_execz .LBB1010_1057
; %bb.1056:                             ;   in Loop: Header=BB1010_1032 Depth=2
	global_load_u16 v169, v[62:63], off offset:640
.LBB1010_1057:                          ;   in Loop: Header=BB1010_1032 Depth=2
	s_wait_xcnt 0x0
	s_or_b32 exec_lo, exec_lo, s17
	s_delay_alu instid0(SALU_CYCLE_1)
	s_mov_b32 s17, exec_lo
	v_cmpx_gt_u32_e64 s58, v115
	s_cbranch_execz .LBB1010_1059
; %bb.1058:                             ;   in Loop: Header=BB1010_1032 Depth=2
	global_load_u16 v164, v[62:63], off offset:704
.LBB1010_1059:                          ;   in Loop: Header=BB1010_1032 Depth=2
	s_wait_xcnt 0x0
	s_or_b32 exec_lo, exec_lo, s17
	s_wait_loadcnt 0x2
	v_dual_mov_b32 v156, 0x7fff :: v_dual_mov_b32 v161, 0x7fff
	;; [unrolled: 19-line block ×3, first 2 shown]
	s_mov_b32 s17, exec_lo
	v_cmpx_gt_u32_e64 s58, v118
	s_cbranch_execz .LBB1010_1065
; %bb.1064:                             ;   in Loop: Header=BB1010_1032 Depth=2
	global_load_u16 v65, v[62:63], off offset:896
.LBB1010_1065:                          ;   in Loop: Header=BB1010_1032 Depth=2
	s_wait_xcnt 0x0
	s_or_b32 exec_lo, exec_lo, s17
	s_delay_alu instid0(SALU_CYCLE_1)
	s_mov_b32 s17, exec_lo
	v_cmpx_gt_u32_e64 s58, v119
	s_cbranch_execz .LBB1010_1067
; %bb.1066:                             ;   in Loop: Header=BB1010_1032 Depth=2
	global_load_u16 v64, v[62:63], off offset:960
.LBB1010_1067:                          ;   in Loop: Header=BB1010_1032 Depth=2
	s_wait_xcnt 0x0
	s_or_b32 exec_lo, exec_lo, s17
	v_cmp_gt_u32_e64 s17, s58, v120
	s_sub_co_i32 s18, s54, s34
.LBB1010_1068:                          ;   in Loop: Header=BB1010_1032 Depth=2
	v_dual_mov_b32 v142, -1 :: v_dual_mov_b32 v141, s58
	s_wait_xcnt 0x0
	s_and_saveexec_b32 s19, s17
	s_cbranch_execz .LBB1010_1070
; %bb.1069:                             ;   in Loop: Header=BB1010_1032 Depth=2
	v_lshl_add_u64 v[62:63], s[34:35], 1, v[26:27]
	v_mov_b32_e32 v141, s18
	global_load_u16 v62, v[62:63], off offset:1024
	s_wait_loadcnt 0x0
	v_xor_b32_e32 v142, 0xffff8000, v62
.LBB1010_1070:                          ;   in Loop: Header=BB1010_1032 Depth=2
	s_wait_xcnt 0x0
	s_or_b32 exec_lo, exec_lo, s19
	s_wait_loadcnt 0xf
	v_xor_b32_e32 v143, 0xffff8000, v143
	ds_store_2addr_b32 v89, v5, v5 offset0:136 offset1:137
	ds_store_2addr_b32 v89, v5, v5 offset0:138 offset1:139
	ds_store_b32 v89, v5 offset:560
	s_wait_loadcnt_dscnt 0x0
	s_barrier_signal -1
	s_barrier_wait -1
	v_and_b32_e32 v62, 0xffff, v143
	; wave barrier
	s_delay_alu instid0(VALU_DEP_1) | instskip(NEXT) | instid1(VALU_DEP_1)
	v_lshrrev_b32_e32 v62, s49, v62
	v_bitop3_b32 v63, v62, 1, s48 bitop3:0x80
	v_and_b32_e32 v146, s48, v62
	s_delay_alu instid0(VALU_DEP_2) | instskip(NEXT) | instid1(VALU_DEP_1)
	v_add_co_u32 v62, s17, v63, -1
	v_cndmask_b32_e64 v63, 0, 1, s17
	s_delay_alu instid0(VALU_DEP_3) | instskip(NEXT) | instid1(VALU_DEP_2)
	v_dual_lshlrev_b32 v144, 30, v146 :: v_dual_lshlrev_b32 v148, 29, v146
	v_cmp_ne_u32_e32 vcc_lo, 0, v63
	s_delay_alu instid0(VALU_DEP_2) | instskip(SKIP_1) | instid1(VALU_DEP_4)
	v_cmp_gt_i32_e64 s17, 0, v144
	v_not_b32_e32 v63, v144
	v_not_b32_e32 v144, v148
	v_cmp_gt_i32_e64 s18, 0, v148
	v_bitop3_b32 v62, vcc_lo, exec_lo, v62 bitop3:0x48
	s_delay_alu instid0(VALU_DEP_3) | instskip(SKIP_2) | instid1(VALU_DEP_3)
	v_dual_ashrrev_i32 v63, 31, v63 :: v_dual_ashrrev_i32 v144, 31, v144
	v_dual_lshlrev_b32 v149, 28, v146 :: v_dual_lshlrev_b32 v150, 27, v146
	v_dual_lshlrev_b32 v152, 26, v146 :: v_dual_lshlrev_b32 v153, 25, v146
	v_xor_b32_e32 v144, s18, v144
	s_delay_alu instid0(VALU_DEP_3)
	v_cmp_gt_i32_e64 s19, 0, v149
	v_not_b32_e32 v148, v149
	v_not_b32_e32 v149, v150
	v_cmp_gt_i32_e64 s20, 0, v150
	v_cmp_gt_i32_e64 s21, 0, v152
	v_not_b32_e32 v150, v152
	v_not_b32_e32 v152, v153
	v_dual_ashrrev_i32 v148, 31, v148 :: v_dual_ashrrev_i32 v149, 31, v149
	s_delay_alu instid0(VALU_DEP_3) | instskip(SKIP_1) | instid1(VALU_DEP_3)
	v_dual_ashrrev_i32 v150, 31, v150 :: v_dual_bitop2_b32 v63, s17, v63 bitop3:0x14
	v_cmp_gt_i32_e64 s22, 0, v153
	v_dual_ashrrev_i32 v152, 31, v152 :: v_dual_bitop2_b32 v149, s20, v149 bitop3:0x14
	s_delay_alu instid0(VALU_DEP_4) | instskip(NEXT) | instid1(VALU_DEP_4)
	v_xor_b32_e32 v148, s19, v148
	v_bitop3_b32 v62, v62, v144, v63 bitop3:0x80
	v_xor_b32_e32 v63, s21, v150
	s_delay_alu instid0(VALU_DEP_4) | instskip(NEXT) | instid1(VALU_DEP_3)
	v_xor_b32_e32 v144, s22, v152
	v_bitop3_b32 v62, v62, v149, v148 bitop3:0x80
	s_delay_alu instid0(VALU_DEP_1) | instskip(SKIP_1) | instid1(VALU_DEP_2)
	v_bitop3_b32 v62, v62, v144, v63 bitop3:0x80
	v_mul_u32_u24_e32 v63, 36, v146
	v_mbcnt_lo_u32_b32 v144, v62, 0
	v_cmp_ne_u32_e64 s17, 0, v62
	s_delay_alu instid0(VALU_DEP_3) | instskip(NEXT) | instid1(VALU_DEP_3)
	v_add_nc_u32_e32 v146, v23, v63
	v_cmp_eq_u32_e32 vcc_lo, 0, v144
	s_and_b32 s18, s17, vcc_lo
	s_delay_alu instid0(SALU_CYCLE_1)
	s_and_saveexec_b32 s17, s18
; %bb.1071:                             ;   in Loop: Header=BB1010_1032 Depth=2
	v_bcnt_u32_b32 v62, v62, 0
	ds_store_b32 v146, v62 offset:544
; %bb.1072:                             ;   in Loop: Header=BB1010_1032 Depth=2
	s_or_b32 exec_lo, exec_lo, s17
	v_xor_b32_e32 v145, 0xffff8000, v145
	; wave barrier
	s_delay_alu instid0(VALU_DEP_1) | instskip(NEXT) | instid1(VALU_DEP_1)
	v_and_b32_e32 v62, 0xffff, v145
	v_lshrrev_b32_e32 v62, s49, v62
	s_delay_alu instid0(VALU_DEP_1) | instskip(SKIP_1) | instid1(VALU_DEP_2)
	v_bitop3_b32 v63, v62, 1, s48 bitop3:0x80
	v_and_b32_e32 v150, s48, v62
	v_add_co_u32 v62, s17, v63, -1
	s_delay_alu instid0(VALU_DEP_1) | instskip(NEXT) | instid1(VALU_DEP_3)
	v_cndmask_b32_e64 v63, 0, 1, s17
	v_dual_lshlrev_b32 v148, 30, v150 :: v_dual_lshlrev_b32 v149, 29, v150
	s_delay_alu instid0(VALU_DEP_2) | instskip(NEXT) | instid1(VALU_DEP_2)
	v_cmp_ne_u32_e32 vcc_lo, 0, v63
	v_cmp_gt_i32_e64 s17, 0, v148
	v_not_b32_e32 v63, v148
	s_delay_alu instid0(VALU_DEP_4) | instskip(SKIP_2) | instid1(VALU_DEP_3)
	v_not_b32_e32 v148, v149
	v_cmp_gt_i32_e64 s18, 0, v149
	v_bitop3_b32 v62, vcc_lo, exec_lo, v62 bitop3:0x48
	v_dual_ashrrev_i32 v63, 31, v63 :: v_dual_ashrrev_i32 v148, 31, v148
	v_dual_lshlrev_b32 v152, 28, v150 :: v_dual_lshlrev_b32 v153, 27, v150
	v_dual_lshlrev_b32 v154, 26, v150 :: v_dual_lshlrev_b32 v157, 25, v150
	s_delay_alu instid0(VALU_DEP_2) | instskip(SKIP_1) | instid1(VALU_DEP_4)
	v_cmp_gt_i32_e64 s19, 0, v152
	v_not_b32_e32 v149, v152
	v_cmp_gt_i32_e64 s20, 0, v153
	v_not_b32_e32 v152, v153
	v_cmp_gt_i32_e64 s21, 0, v154
	v_not_b32_e32 v153, v154
	v_not_b32_e32 v154, v157
	v_xor_b32_e32 v63, s17, v63
	v_dual_ashrrev_i32 v149, 31, v149 :: v_dual_bitop2_b32 v148, s18, v148 bitop3:0x14
	s_delay_alu instid0(VALU_DEP_4) | instskip(NEXT) | instid1(VALU_DEP_4)
	v_dual_ashrrev_i32 v152, 31, v152 :: v_dual_ashrrev_i32 v153, 31, v153
	v_ashrrev_i32_e32 v154, 31, v154
	s_delay_alu instid0(VALU_DEP_3)
	v_bitop3_b32 v62, v62, v148, v63 bitop3:0x80
	v_mad_u32_u24 v63, v150, 36, v23
	v_cmp_gt_i32_e64 s22, 0, v157
	v_xor_b32_e32 v152, s20, v152
	v_xor_b32_e32 v153, s21, v153
	ds_load_b32 v148, v63 offset:544
	v_mul_u32_u24_e32 v63, 36, v150
	v_xor_b32_e32 v149, s19, v149
	v_xor_b32_e32 v154, s22, v154
	; wave barrier
	s_delay_alu instid0(VALU_DEP_3) | instskip(NEXT) | instid1(VALU_DEP_3)
	v_add_nc_u32_e32 v150, v23, v63
	v_bitop3_b32 v62, v62, v152, v149 bitop3:0x80
	s_delay_alu instid0(VALU_DEP_1) | instskip(NEXT) | instid1(VALU_DEP_1)
	v_bitop3_b32 v62, v62, v154, v153 bitop3:0x80
	v_mbcnt_lo_u32_b32 v149, v62, 0
	v_cmp_ne_u32_e64 s17, 0, v62
	s_delay_alu instid0(VALU_DEP_2) | instskip(SKIP_1) | instid1(SALU_CYCLE_1)
	v_cmp_eq_u32_e32 vcc_lo, 0, v149
	s_and_b32 s18, s17, vcc_lo
	s_and_saveexec_b32 s17, s18
	s_cbranch_execz .LBB1010_1074
; %bb.1073:                             ;   in Loop: Header=BB1010_1032 Depth=2
	s_wait_dscnt 0x0
	v_bcnt_u32_b32 v62, v62, v148
	ds_store_b32 v150, v62 offset:544
.LBB1010_1074:                          ;   in Loop: Header=BB1010_1032 Depth=2
	s_or_b32 exec_lo, exec_lo, s17
	v_xor_b32_e32 v147, 0xffff8000, v147
	; wave barrier
	s_delay_alu instid0(VALU_DEP_1) | instskip(NEXT) | instid1(VALU_DEP_1)
	v_and_b32_e32 v62, 0xffff, v147
	v_lshrrev_b32_e32 v62, s49, v62
	s_delay_alu instid0(VALU_DEP_1) | instskip(SKIP_1) | instid1(VALU_DEP_2)
	v_bitop3_b32 v63, v62, 1, s48 bitop3:0x80
	v_and_b32_e32 v154, s48, v62
	v_add_co_u32 v62, s17, v63, -1
	s_delay_alu instid0(VALU_DEP_1) | instskip(NEXT) | instid1(VALU_DEP_3)
	v_cndmask_b32_e64 v63, 0, 1, s17
	v_dual_lshlrev_b32 v152, 30, v154 :: v_dual_lshlrev_b32 v153, 29, v154
	s_delay_alu instid0(VALU_DEP_2) | instskip(NEXT) | instid1(VALU_DEP_2)
	v_cmp_ne_u32_e32 vcc_lo, 0, v63
	v_cmp_gt_i32_e64 s17, 0, v152
	v_not_b32_e32 v63, v152
	s_delay_alu instid0(VALU_DEP_4) | instskip(SKIP_2) | instid1(VALU_DEP_3)
	v_not_b32_e32 v152, v153
	v_cmp_gt_i32_e64 s18, 0, v153
	v_bitop3_b32 v62, vcc_lo, exec_lo, v62 bitop3:0x48
	v_dual_ashrrev_i32 v63, 31, v63 :: v_dual_ashrrev_i32 v152, 31, v152
	v_dual_lshlrev_b32 v157, 28, v154 :: v_dual_lshlrev_b32 v158, 27, v154
	v_dual_lshlrev_b32 v159, 26, v154 :: v_dual_lshlrev_b32 v162, 25, v154
	s_delay_alu instid0(VALU_DEP_3) | instskip(NEXT) | instid1(VALU_DEP_3)
	v_xor_b32_e32 v63, s17, v63
	v_cmp_gt_i32_e64 s19, 0, v157
	v_not_b32_e32 v153, v157
	v_not_b32_e32 v157, v158
	v_xor_b32_e32 v152, s18, v152
	v_cmp_gt_i32_e64 s20, 0, v158
	v_cmp_gt_i32_e64 s21, 0, v159
	v_ashrrev_i32_e32 v153, 31, v153
	v_ashrrev_i32_e32 v157, 31, v157
	v_not_b32_e32 v158, v159
	v_not_b32_e32 v159, v162
	v_bitop3_b32 v62, v62, v152, v63 bitop3:0x80
	v_mad_u32_u24 v63, v154, 36, v23
	v_cmp_gt_i32_e64 s22, 0, v162
	s_delay_alu instid0(VALU_DEP_4)
	v_dual_ashrrev_i32 v158, 31, v158 :: v_dual_ashrrev_i32 v159, 31, v159
	v_xor_b32_e32 v157, s20, v157
	ds_load_b32 v152, v63 offset:544
	v_mul_u32_u24_e32 v63, 36, v154
	v_xor_b32_e32 v153, s19, v153
	v_xor_b32_e32 v158, s21, v158
	v_xor_b32_e32 v159, s22, v159
	s_delay_alu instid0(VALU_DEP_4) | instskip(NEXT) | instid1(VALU_DEP_4)
	v_add_nc_u32_e32 v154, v23, v63
	v_bitop3_b32 v62, v62, v157, v153 bitop3:0x80
	; wave barrier
	s_delay_alu instid0(VALU_DEP_1) | instskip(NEXT) | instid1(VALU_DEP_1)
	v_bitop3_b32 v62, v62, v159, v158 bitop3:0x80
	v_mbcnt_lo_u32_b32 v153, v62, 0
	v_cmp_ne_u32_e64 s17, 0, v62
	s_delay_alu instid0(VALU_DEP_2) | instskip(SKIP_1) | instid1(SALU_CYCLE_1)
	v_cmp_eq_u32_e32 vcc_lo, 0, v153
	s_and_b32 s18, s17, vcc_lo
	s_and_saveexec_b32 s17, s18
	s_cbranch_execz .LBB1010_1076
; %bb.1075:                             ;   in Loop: Header=BB1010_1032 Depth=2
	s_wait_dscnt 0x0
	v_bcnt_u32_b32 v62, v62, v152
	ds_store_b32 v154, v62 offset:544
.LBB1010_1076:                          ;   in Loop: Header=BB1010_1032 Depth=2
	s_or_b32 exec_lo, exec_lo, s17
	v_xor_b32_e32 v151, 0xffff8000, v151
	; wave barrier
	s_delay_alu instid0(VALU_DEP_1) | instskip(NEXT) | instid1(VALU_DEP_1)
	v_and_b32_e32 v62, 0xffff, v151
	v_lshrrev_b32_e32 v62, s49, v62
	s_delay_alu instid0(VALU_DEP_1) | instskip(NEXT) | instid1(VALU_DEP_1)
	v_and_b32_e32 v159, s48, v62
	v_lshlrev_b32_e32 v157, 30, v159
	v_bitop3_b32 v63, v62, 1, s48 bitop3:0x80
	s_delay_alu instid0(VALU_DEP_1) | instskip(NEXT) | instid1(VALU_DEP_1)
	v_add_co_u32 v62, s17, v63, -1
	v_cndmask_b32_e64 v63, 0, 1, s17
	s_delay_alu instid0(VALU_DEP_4) | instskip(NEXT) | instid1(VALU_DEP_2)
	v_cmp_gt_i32_e64 s17, 0, v157
	v_cmp_ne_u32_e32 vcc_lo, 0, v63
	v_not_b32_e32 v63, v157
	v_bitop3_b32 v62, vcc_lo, exec_lo, v62 bitop3:0x48
	s_delay_alu instid0(VALU_DEP_2) | instskip(SKIP_2) | instid1(VALU_DEP_3)
	v_ashrrev_i32_e32 v63, 31, v63
	v_dual_lshlrev_b32 v158, 29, v159 :: v_dual_lshlrev_b32 v162, 28, v159
	v_dual_lshlrev_b32 v163, 27, v159 :: v_dual_lshlrev_b32 v165, 26, v159
	v_xor_b32_e32 v63, s17, v63
	s_delay_alu instid0(VALU_DEP_3)
	v_not_b32_e32 v157, v158
	v_lshlrev_b32_e32 v167, 25, v159
	v_cmp_gt_i32_e64 s18, 0, v158
	v_cmp_gt_i32_e64 s19, 0, v162
	v_not_b32_e32 v158, v162
	v_not_b32_e32 v162, v163
	v_ashrrev_i32_e32 v157, 31, v157
	v_cmp_gt_i32_e64 s20, 0, v163
	v_cmp_gt_i32_e64 s21, 0, v165
	v_ashrrev_i32_e32 v158, 31, v158
	s_delay_alu instid0(VALU_DEP_4) | instskip(SKIP_3) | instid1(VALU_DEP_4)
	v_dual_ashrrev_i32 v162, 31, v162 :: v_dual_bitop2_b32 v157, s18, v157 bitop3:0x14
	v_not_b32_e32 v163, v165
	v_not_b32_e32 v165, v167
	v_cmp_gt_i32_e64 s22, 0, v167
	v_xor_b32_e32 v162, s20, v162
	v_bitop3_b32 v62, v62, v157, v63 bitop3:0x80
	v_mad_u32_u24 v63, v159, 36, v23
	v_dual_ashrrev_i32 v163, 31, v163 :: v_dual_ashrrev_i32 v165, 31, v165
	ds_load_b32 v157, v63 offset:544
	v_mul_u32_u24_e32 v63, 36, v159
	v_xor_b32_e32 v158, s19, v158
	v_xor_b32_e32 v163, s21, v163
	;; [unrolled: 1-line block ×3, first 2 shown]
	s_delay_alu instid0(VALU_DEP_4) | instskip(NEXT) | instid1(VALU_DEP_4)
	v_add_nc_u32_e32 v159, v23, v63
	v_bitop3_b32 v62, v62, v162, v158 bitop3:0x80
	; wave barrier
	s_delay_alu instid0(VALU_DEP_1) | instskip(NEXT) | instid1(VALU_DEP_1)
	v_bitop3_b32 v62, v62, v165, v163 bitop3:0x80
	v_mbcnt_lo_u32_b32 v158, v62, 0
	v_cmp_ne_u32_e64 s17, 0, v62
	s_delay_alu instid0(VALU_DEP_2) | instskip(SKIP_1) | instid1(SALU_CYCLE_1)
	v_cmp_eq_u32_e32 vcc_lo, 0, v158
	s_and_b32 s18, s17, vcc_lo
	s_and_saveexec_b32 s17, s18
	s_cbranch_execz .LBB1010_1078
; %bb.1077:                             ;   in Loop: Header=BB1010_1032 Depth=2
	s_wait_dscnt 0x0
	v_bcnt_u32_b32 v62, v62, v157
	ds_store_b32 v159, v62 offset:544
.LBB1010_1078:                          ;   in Loop: Header=BB1010_1032 Depth=2
	s_or_b32 exec_lo, exec_lo, s17
	v_xor_b32_e32 v155, 0xffff8000, v155
	; wave barrier
	s_delay_alu instid0(VALU_DEP_1) | instskip(NEXT) | instid1(VALU_DEP_1)
	v_and_b32_e32 v62, 0xffff, v155
	v_lshrrev_b32_e32 v62, s49, v62
	s_delay_alu instid0(VALU_DEP_1) | instskip(NEXT) | instid1(VALU_DEP_1)
	v_and_b32_e32 v165, s48, v62
	v_lshlrev_b32_e32 v162, 30, v165
	v_bitop3_b32 v63, v62, 1, s48 bitop3:0x80
	s_delay_alu instid0(VALU_DEP_1) | instskip(NEXT) | instid1(VALU_DEP_1)
	v_add_co_u32 v62, s17, v63, -1
	v_cndmask_b32_e64 v63, 0, 1, s17
	s_delay_alu instid0(VALU_DEP_4) | instskip(NEXT) | instid1(VALU_DEP_2)
	v_cmp_gt_i32_e64 s17, 0, v162
	v_cmp_ne_u32_e32 vcc_lo, 0, v63
	v_not_b32_e32 v63, v162
	v_bitop3_b32 v62, vcc_lo, exec_lo, v62 bitop3:0x48
	s_delay_alu instid0(VALU_DEP_2) | instskip(SKIP_2) | instid1(VALU_DEP_3)
	v_dual_ashrrev_i32 v63, 31, v63 :: v_dual_lshlrev_b32 v163, 29, v165
	v_dual_lshlrev_b32 v167, 28, v165 :: v_dual_lshlrev_b32 v168, 27, v165
	v_lshlrev_b32_e32 v170, 26, v165
	v_not_b32_e32 v162, v163
	v_lshlrev_b32_e32 v172, 25, v165
	v_cmp_gt_i32_e64 s18, 0, v163
	v_cmp_gt_i32_e64 s19, 0, v167
	v_not_b32_e32 v163, v167
	v_not_b32_e32 v167, v168
	v_ashrrev_i32_e32 v162, 31, v162
	v_cmp_gt_i32_e64 s20, 0, v168
	v_cmp_gt_i32_e64 s21, 0, v170
	v_not_b32_e32 v168, v170
	v_not_b32_e32 v170, v172
	v_dual_ashrrev_i32 v163, 31, v163 :: v_dual_bitop2_b32 v162, s18, v162 bitop3:0x14
	s_delay_alu instid0(VALU_DEP_3) | instskip(NEXT) | instid1(VALU_DEP_3)
	v_dual_ashrrev_i32 v167, 31, v167 :: v_dual_ashrrev_i32 v168, 31, v168
	v_dual_ashrrev_i32 v170, 31, v170 :: v_dual_bitop2_b32 v63, s17, v63 bitop3:0x14
	v_cmp_gt_i32_e64 s22, 0, v172
	s_delay_alu instid0(VALU_DEP_4) | instskip(NEXT) | instid1(VALU_DEP_4)
	v_xor_b32_e32 v163, s19, v163
	v_xor_b32_e32 v167, s20, v167
	s_delay_alu instid0(VALU_DEP_4) | instskip(SKIP_2) | instid1(VALU_DEP_3)
	v_bitop3_b32 v62, v62, v162, v63 bitop3:0x80
	v_mad_u32_u24 v63, v165, 36, v23
	v_xor_b32_e32 v170, s22, v170
	v_bitop3_b32 v62, v62, v167, v163 bitop3:0x80
	ds_load_b32 v162, v63 offset:544
	v_mul_u32_u24_e32 v63, 36, v165
	v_xor_b32_e32 v168, s21, v168
	; wave barrier
	s_delay_alu instid0(VALU_DEP_2) | instskip(NEXT) | instid1(VALU_DEP_2)
	v_add_nc_u32_e32 v165, v23, v63
	v_bitop3_b32 v62, v62, v170, v168 bitop3:0x80
	s_delay_alu instid0(VALU_DEP_1) | instskip(SKIP_1) | instid1(VALU_DEP_2)
	v_mbcnt_lo_u32_b32 v163, v62, 0
	v_cmp_ne_u32_e64 s17, 0, v62
	v_cmp_eq_u32_e32 vcc_lo, 0, v163
	s_and_b32 s18, s17, vcc_lo
	s_delay_alu instid0(SALU_CYCLE_1)
	s_and_saveexec_b32 s17, s18
	s_cbranch_execz .LBB1010_1080
; %bb.1079:                             ;   in Loop: Header=BB1010_1032 Depth=2
	s_wait_dscnt 0x0
	v_bcnt_u32_b32 v62, v62, v162
	ds_store_b32 v165, v62 offset:544
.LBB1010_1080:                          ;   in Loop: Header=BB1010_1032 Depth=2
	s_or_b32 exec_lo, exec_lo, s17
	v_xor_b32_e32 v160, 0xffff8000, v160
	; wave barrier
	s_delay_alu instid0(VALU_DEP_1) | instskip(NEXT) | instid1(VALU_DEP_1)
	v_and_b32_e32 v62, 0xffff, v160
	v_lshrrev_b32_e32 v62, s49, v62
	s_delay_alu instid0(VALU_DEP_1) | instskip(SKIP_1) | instid1(VALU_DEP_2)
	v_bitop3_b32 v63, v62, 1, s48 bitop3:0x80
	v_and_b32_e32 v170, s48, v62
	v_add_co_u32 v62, s17, v63, -1
	s_delay_alu instid0(VALU_DEP_1) | instskip(NEXT) | instid1(VALU_DEP_3)
	v_cndmask_b32_e64 v63, 0, 1, s17
	v_dual_lshlrev_b32 v167, 30, v170 :: v_dual_lshlrev_b32 v168, 29, v170
	s_delay_alu instid0(VALU_DEP_2) | instskip(NEXT) | instid1(VALU_DEP_2)
	v_cmp_ne_u32_e32 vcc_lo, 0, v63
	v_cmp_gt_i32_e64 s17, 0, v167
	v_not_b32_e32 v63, v167
	s_delay_alu instid0(VALU_DEP_4) | instskip(SKIP_2) | instid1(VALU_DEP_4)
	v_not_b32_e32 v167, v168
	v_cmp_gt_i32_e64 s18, 0, v168
	v_bitop3_b32 v62, vcc_lo, exec_lo, v62 bitop3:0x48
	v_ashrrev_i32_e32 v63, 31, v63
	s_delay_alu instid0(VALU_DEP_4) | instskip(SKIP_1) | instid1(VALU_DEP_3)
	v_dual_ashrrev_i32 v167, 31, v167 :: v_dual_lshlrev_b32 v172, 28, v170
	v_dual_lshlrev_b32 v173, 27, v170 :: v_dual_lshlrev_b32 v175, 26, v170
	v_dual_lshlrev_b32 v177, 25, v170 :: v_dual_bitop2_b32 v63, s17, v63 bitop3:0x14
	s_delay_alu instid0(VALU_DEP_3) | instskip(SKIP_1) | instid1(VALU_DEP_4)
	v_cmp_gt_i32_e64 s19, 0, v172
	v_not_b32_e32 v168, v172
	v_not_b32_e32 v172, v173
	v_xor_b32_e32 v167, s18, v167
	v_cmp_gt_i32_e64 s20, 0, v173
	v_cmp_gt_i32_e64 s21, 0, v175
	v_ashrrev_i32_e32 v168, 31, v168
	v_ashrrev_i32_e32 v172, 31, v172
	v_not_b32_e32 v173, v175
	v_not_b32_e32 v175, v177
	v_bitop3_b32 v62, v62, v167, v63 bitop3:0x80
	v_mad_u32_u24 v63, v170, 36, v23
	v_cmp_gt_i32_e64 s22, 0, v177
	s_delay_alu instid0(VALU_DEP_4)
	v_dual_ashrrev_i32 v173, 31, v173 :: v_dual_ashrrev_i32 v175, 31, v175
	v_xor_b32_e32 v172, s20, v172
	ds_load_b32 v167, v63 offset:544
	v_mul_u32_u24_e32 v63, 36, v170
	v_xor_b32_e32 v168, s19, v168
	v_xor_b32_e32 v173, s21, v173
	;; [unrolled: 1-line block ×3, first 2 shown]
	s_delay_alu instid0(VALU_DEP_4) | instskip(NEXT) | instid1(VALU_DEP_4)
	v_add_nc_u32_e32 v170, v23, v63
	v_bitop3_b32 v62, v62, v172, v168 bitop3:0x80
	; wave barrier
	s_delay_alu instid0(VALU_DEP_1) | instskip(NEXT) | instid1(VALU_DEP_1)
	v_bitop3_b32 v62, v62, v175, v173 bitop3:0x80
	v_mbcnt_lo_u32_b32 v168, v62, 0
	v_cmp_ne_u32_e64 s17, 0, v62
	s_delay_alu instid0(VALU_DEP_2) | instskip(SKIP_1) | instid1(SALU_CYCLE_1)
	v_cmp_eq_u32_e32 vcc_lo, 0, v168
	s_and_b32 s18, s17, vcc_lo
	s_and_saveexec_b32 s17, s18
	s_cbranch_execz .LBB1010_1082
; %bb.1081:                             ;   in Loop: Header=BB1010_1032 Depth=2
	s_wait_dscnt 0x0
	v_bcnt_u32_b32 v62, v62, v167
	ds_store_b32 v170, v62 offset:544
.LBB1010_1082:                          ;   in Loop: Header=BB1010_1032 Depth=2
	s_or_b32 exec_lo, exec_lo, s17
	v_xor_b32_e32 v166, 0xffff8000, v166
	; wave barrier
	s_delay_alu instid0(VALU_DEP_1) | instskip(NEXT) | instid1(VALU_DEP_1)
	v_and_b32_e32 v62, 0xffff, v166
	v_lshrrev_b32_e32 v62, s49, v62
	s_delay_alu instid0(VALU_DEP_1) | instskip(NEXT) | instid1(VALU_DEP_1)
	v_and_b32_e32 v175, s48, v62
	v_lshlrev_b32_e32 v172, 30, v175
	v_bitop3_b32 v63, v62, 1, s48 bitop3:0x80
	s_delay_alu instid0(VALU_DEP_1) | instskip(NEXT) | instid1(VALU_DEP_1)
	v_add_co_u32 v62, s17, v63, -1
	v_cndmask_b32_e64 v63, 0, 1, s17
	s_delay_alu instid0(VALU_DEP_4) | instskip(NEXT) | instid1(VALU_DEP_2)
	v_cmp_gt_i32_e64 s17, 0, v172
	v_cmp_ne_u32_e32 vcc_lo, 0, v63
	v_not_b32_e32 v63, v172
	v_bitop3_b32 v62, vcc_lo, exec_lo, v62 bitop3:0x48
	s_delay_alu instid0(VALU_DEP_2) | instskip(SKIP_2) | instid1(VALU_DEP_3)
	v_ashrrev_i32_e32 v63, 31, v63
	v_dual_lshlrev_b32 v173, 29, v175 :: v_dual_lshlrev_b32 v177, 28, v175
	v_dual_lshlrev_b32 v178, 27, v175 :: v_dual_lshlrev_b32 v179, 26, v175
	v_xor_b32_e32 v63, s17, v63
	s_delay_alu instid0(VALU_DEP_3)
	v_not_b32_e32 v172, v173
	v_lshlrev_b32_e32 v180, 25, v175
	v_cmp_gt_i32_e64 s18, 0, v173
	v_cmp_gt_i32_e64 s19, 0, v177
	v_not_b32_e32 v173, v177
	v_not_b32_e32 v177, v178
	v_ashrrev_i32_e32 v172, 31, v172
	v_cmp_gt_i32_e64 s20, 0, v178
	v_cmp_gt_i32_e64 s21, 0, v179
	v_ashrrev_i32_e32 v173, 31, v173
	s_delay_alu instid0(VALU_DEP_4) | instskip(SKIP_3) | instid1(VALU_DEP_4)
	v_dual_ashrrev_i32 v177, 31, v177 :: v_dual_bitop2_b32 v172, s18, v172 bitop3:0x14
	v_not_b32_e32 v178, v179
	v_not_b32_e32 v179, v180
	v_cmp_gt_i32_e64 s22, 0, v180
	v_xor_b32_e32 v177, s20, v177
	v_bitop3_b32 v62, v62, v172, v63 bitop3:0x80
	v_mad_u32_u24 v63, v175, 36, v23
	v_dual_ashrrev_i32 v178, 31, v178 :: v_dual_ashrrev_i32 v179, 31, v179
	ds_load_b32 v172, v63 offset:544
	v_mul_u32_u24_e32 v63, 36, v175
	v_xor_b32_e32 v173, s19, v173
	v_xor_b32_e32 v178, s21, v178
	;; [unrolled: 1-line block ×3, first 2 shown]
	s_delay_alu instid0(VALU_DEP_4) | instskip(NEXT) | instid1(VALU_DEP_4)
	v_add_nc_u32_e32 v175, v23, v63
	v_bitop3_b32 v62, v62, v177, v173 bitop3:0x80
	; wave barrier
	s_delay_alu instid0(VALU_DEP_1) | instskip(NEXT) | instid1(VALU_DEP_1)
	v_bitop3_b32 v62, v62, v179, v178 bitop3:0x80
	v_mbcnt_lo_u32_b32 v173, v62, 0
	v_cmp_ne_u32_e64 s17, 0, v62
	s_delay_alu instid0(VALU_DEP_2) | instskip(SKIP_1) | instid1(SALU_CYCLE_1)
	v_cmp_eq_u32_e32 vcc_lo, 0, v173
	s_and_b32 s18, s17, vcc_lo
	s_and_saveexec_b32 s17, s18
	s_cbranch_execz .LBB1010_1084
; %bb.1083:                             ;   in Loop: Header=BB1010_1032 Depth=2
	s_wait_dscnt 0x0
	v_bcnt_u32_b32 v62, v62, v172
	ds_store_b32 v175, v62 offset:544
.LBB1010_1084:                          ;   in Loop: Header=BB1010_1032 Depth=2
	s_or_b32 exec_lo, exec_lo, s17
	v_xor_b32_e32 v171, 0xffff8000, v171
	; wave barrier
	s_delay_alu instid0(VALU_DEP_1) | instskip(NEXT) | instid1(VALU_DEP_1)
	v_and_b32_e32 v62, 0xffff, v171
	v_lshrrev_b32_e32 v62, s49, v62
	s_delay_alu instid0(VALU_DEP_1) | instskip(NEXT) | instid1(VALU_DEP_1)
	v_and_b32_e32 v179, s48, v62
	v_lshlrev_b32_e32 v177, 30, v179
	v_bitop3_b32 v63, v62, 1, s48 bitop3:0x80
	s_delay_alu instid0(VALU_DEP_1) | instskip(NEXT) | instid1(VALU_DEP_1)
	v_add_co_u32 v62, s17, v63, -1
	v_cndmask_b32_e64 v63, 0, 1, s17
	s_delay_alu instid0(VALU_DEP_4) | instskip(NEXT) | instid1(VALU_DEP_2)
	v_cmp_gt_i32_e64 s17, 0, v177
	v_cmp_ne_u32_e32 vcc_lo, 0, v63
	v_not_b32_e32 v63, v177
	v_bitop3_b32 v62, vcc_lo, exec_lo, v62 bitop3:0x48
	s_delay_alu instid0(VALU_DEP_2) | instskip(SKIP_2) | instid1(VALU_DEP_2)
	v_ashrrev_i32_e32 v63, 31, v63
	v_dual_lshlrev_b32 v178, 29, v179 :: v_dual_lshlrev_b32 v180, 28, v179
	v_dual_lshlrev_b32 v181, 27, v179 :: v_dual_lshlrev_b32 v182, 26, v179
	v_not_b32_e32 v177, v178
	v_lshlrev_b32_e32 v183, 25, v179
	v_cmp_gt_i32_e64 s18, 0, v178
	v_cmp_gt_i32_e64 s19, 0, v180
	v_not_b32_e32 v178, v180
	v_ashrrev_i32_e32 v177, 31, v177
	v_cmp_gt_i32_e64 s20, 0, v181
	v_not_b32_e32 v180, v181
	v_cmp_gt_i32_e64 s21, 0, v182
	v_not_b32_e32 v181, v182
	v_not_b32_e32 v182, v183
	v_xor_b32_e32 v63, s17, v63
	v_dual_ashrrev_i32 v178, 31, v178 :: v_dual_bitop2_b32 v177, s18, v177 bitop3:0x14
	s_delay_alu instid0(VALU_DEP_4) | instskip(NEXT) | instid1(VALU_DEP_4)
	v_dual_ashrrev_i32 v180, 31, v180 :: v_dual_ashrrev_i32 v181, 31, v181
	v_ashrrev_i32_e32 v182, 31, v182
	s_delay_alu instid0(VALU_DEP_3)
	v_bitop3_b32 v62, v62, v177, v63 bitop3:0x80
	v_mad_u32_u24 v63, v179, 36, v23
	v_cmp_gt_i32_e64 s22, 0, v183
	v_xor_b32_e32 v180, s20, v180
	v_xor_b32_e32 v181, s21, v181
	ds_load_b32 v177, v63 offset:544
	v_mul_u32_u24_e32 v63, 36, v179
	v_xor_b32_e32 v178, s19, v178
	v_xor_b32_e32 v182, s22, v182
	; wave barrier
	s_delay_alu instid0(VALU_DEP_3) | instskip(NEXT) | instid1(VALU_DEP_3)
	v_add_nc_u32_e32 v179, v23, v63
	v_bitop3_b32 v62, v62, v180, v178 bitop3:0x80
	s_delay_alu instid0(VALU_DEP_1) | instskip(NEXT) | instid1(VALU_DEP_1)
	v_bitop3_b32 v62, v62, v182, v181 bitop3:0x80
	v_mbcnt_lo_u32_b32 v178, v62, 0
	v_cmp_ne_u32_e64 s17, 0, v62
	s_delay_alu instid0(VALU_DEP_2) | instskip(SKIP_1) | instid1(SALU_CYCLE_1)
	v_cmp_eq_u32_e32 vcc_lo, 0, v178
	s_and_b32 s18, s17, vcc_lo
	s_and_saveexec_b32 s17, s18
	s_cbranch_execz .LBB1010_1086
; %bb.1085:                             ;   in Loop: Header=BB1010_1032 Depth=2
	s_wait_dscnt 0x0
	v_bcnt_u32_b32 v62, v62, v177
	ds_store_b32 v179, v62 offset:544
.LBB1010_1086:                          ;   in Loop: Header=BB1010_1032 Depth=2
	s_or_b32 exec_lo, exec_lo, s17
	v_xor_b32_e32 v176, 0xffff8000, v176
	; wave barrier
	s_delay_alu instid0(VALU_DEP_1) | instskip(NEXT) | instid1(VALU_DEP_1)
	v_and_b32_e32 v62, 0xffff, v176
	v_lshrrev_b32_e32 v62, s49, v62
	s_delay_alu instid0(VALU_DEP_1) | instskip(SKIP_1) | instid1(VALU_DEP_2)
	v_bitop3_b32 v63, v62, 1, s48 bitop3:0x80
	v_and_b32_e32 v182, s48, v62
	v_add_co_u32 v62, s17, v63, -1
	s_delay_alu instid0(VALU_DEP_1) | instskip(NEXT) | instid1(VALU_DEP_3)
	v_cndmask_b32_e64 v63, 0, 1, s17
	v_dual_lshlrev_b32 v180, 30, v182 :: v_dual_lshlrev_b32 v181, 29, v182
	s_delay_alu instid0(VALU_DEP_2) | instskip(NEXT) | instid1(VALU_DEP_2)
	v_cmp_ne_u32_e32 vcc_lo, 0, v63
	v_cmp_gt_i32_e64 s17, 0, v180
	v_not_b32_e32 v63, v180
	s_delay_alu instid0(VALU_DEP_4) | instskip(SKIP_2) | instid1(VALU_DEP_3)
	v_not_b32_e32 v180, v181
	v_cmp_gt_i32_e64 s18, 0, v181
	v_bitop3_b32 v62, vcc_lo, exec_lo, v62 bitop3:0x48
	v_dual_ashrrev_i32 v63, 31, v63 :: v_dual_ashrrev_i32 v180, 31, v180
	v_dual_lshlrev_b32 v183, 28, v182 :: v_dual_lshlrev_b32 v184, 27, v182
	v_dual_lshlrev_b32 v185, 26, v182 :: v_dual_lshlrev_b32 v186, 25, v182
	s_delay_alu instid0(VALU_DEP_2) | instskip(SKIP_1) | instid1(VALU_DEP_4)
	v_cmp_gt_i32_e64 s19, 0, v183
	v_not_b32_e32 v181, v183
	v_cmp_gt_i32_e64 s20, 0, v184
	v_not_b32_e32 v183, v184
	;; [unrolled: 2-line block ×3, first 2 shown]
	v_not_b32_e32 v185, v186
	v_xor_b32_e32 v63, s17, v63
	v_dual_ashrrev_i32 v181, 31, v181 :: v_dual_bitop2_b32 v180, s18, v180 bitop3:0x14
	s_delay_alu instid0(VALU_DEP_4) | instskip(NEXT) | instid1(VALU_DEP_4)
	v_dual_ashrrev_i32 v183, 31, v183 :: v_dual_ashrrev_i32 v184, 31, v184
	v_ashrrev_i32_e32 v185, 31, v185
	s_delay_alu instid0(VALU_DEP_3)
	v_bitop3_b32 v62, v62, v180, v63 bitop3:0x80
	v_mad_u32_u24 v63, v182, 36, v23
	v_cmp_gt_i32_e64 s22, 0, v186
	v_xor_b32_e32 v183, s20, v183
	v_xor_b32_e32 v184, s21, v184
	ds_load_b32 v180, v63 offset:544
	v_mul_u32_u24_e32 v63, 36, v182
	v_xor_b32_e32 v181, s19, v181
	v_xor_b32_e32 v185, s22, v185
	; wave barrier
	s_delay_alu instid0(VALU_DEP_3) | instskip(NEXT) | instid1(VALU_DEP_3)
	v_add_nc_u32_e32 v182, v23, v63
	v_bitop3_b32 v62, v62, v183, v181 bitop3:0x80
	s_delay_alu instid0(VALU_DEP_1) | instskip(NEXT) | instid1(VALU_DEP_1)
	v_bitop3_b32 v62, v62, v185, v184 bitop3:0x80
	v_mbcnt_lo_u32_b32 v181, v62, 0
	v_cmp_ne_u32_e64 s17, 0, v62
	s_delay_alu instid0(VALU_DEP_2) | instskip(SKIP_1) | instid1(SALU_CYCLE_1)
	v_cmp_eq_u32_e32 vcc_lo, 0, v181
	s_and_b32 s18, s17, vcc_lo
	s_and_saveexec_b32 s17, s18
	s_cbranch_execz .LBB1010_1088
; %bb.1087:                             ;   in Loop: Header=BB1010_1032 Depth=2
	s_wait_dscnt 0x0
	v_bcnt_u32_b32 v62, v62, v180
	ds_store_b32 v182, v62 offset:544
.LBB1010_1088:                          ;   in Loop: Header=BB1010_1032 Depth=2
	s_or_b32 exec_lo, exec_lo, s17
	v_xor_b32_e32 v174, 0xffff8000, v174
	; wave barrier
	s_delay_alu instid0(VALU_DEP_1) | instskip(NEXT) | instid1(VALU_DEP_1)
	v_and_b32_e32 v62, 0xffff, v174
	v_lshrrev_b32_e32 v62, s49, v62
	s_delay_alu instid0(VALU_DEP_1) | instskip(NEXT) | instid1(VALU_DEP_1)
	v_and_b32_e32 v185, s48, v62
	v_lshlrev_b32_e32 v183, 30, v185
	v_bitop3_b32 v63, v62, 1, s48 bitop3:0x80
	s_delay_alu instid0(VALU_DEP_1) | instskip(NEXT) | instid1(VALU_DEP_1)
	v_add_co_u32 v62, s17, v63, -1
	v_cndmask_b32_e64 v63, 0, 1, s17
	s_delay_alu instid0(VALU_DEP_4) | instskip(NEXT) | instid1(VALU_DEP_2)
	v_cmp_gt_i32_e64 s17, 0, v183
	v_cmp_ne_u32_e32 vcc_lo, 0, v63
	v_not_b32_e32 v63, v183
	v_bitop3_b32 v62, vcc_lo, exec_lo, v62 bitop3:0x48
	s_delay_alu instid0(VALU_DEP_2) | instskip(SKIP_2) | instid1(VALU_DEP_3)
	v_dual_ashrrev_i32 v63, 31, v63 :: v_dual_lshlrev_b32 v184, 29, v185
	v_dual_lshlrev_b32 v186, 28, v185 :: v_dual_lshlrev_b32 v187, 27, v185
	v_lshlrev_b32_e32 v188, 26, v185
	v_not_b32_e32 v183, v184
	v_lshlrev_b32_e32 v189, 25, v185
	v_cmp_gt_i32_e64 s18, 0, v184
	v_cmp_gt_i32_e64 s19, 0, v186
	v_not_b32_e32 v184, v186
	v_ashrrev_i32_e32 v183, 31, v183
	v_cmp_gt_i32_e64 s20, 0, v187
	v_not_b32_e32 v186, v187
	v_cmp_gt_i32_e64 s21, 0, v188
	v_not_b32_e32 v187, v188
	v_not_b32_e32 v188, v189
	v_xor_b32_e32 v63, s17, v63
	v_dual_ashrrev_i32 v184, 31, v184 :: v_dual_bitop2_b32 v183, s18, v183 bitop3:0x14
	s_delay_alu instid0(VALU_DEP_3) | instskip(SKIP_1) | instid1(VALU_DEP_3)
	v_dual_ashrrev_i32 v186, 31, v186 :: v_dual_ashrrev_i32 v188, 31, v188
	v_cmp_gt_i32_e64 s22, 0, v189
	v_bitop3_b32 v62, v62, v183, v63 bitop3:0x80
	v_mad_u32_u24 v63, v185, 36, v23
	v_dual_ashrrev_i32 v187, 31, v187 :: v_dual_bitop2_b32 v184, s19, v184 bitop3:0x14
	s_delay_alu instid0(VALU_DEP_4) | instskip(SKIP_4) | instid1(VALU_DEP_3)
	v_xor_b32_e32 v188, s22, v188
	ds_load_b32 v183, v63 offset:544
	v_mul_u32_u24_e32 v63, 36, v185
	v_xor_b32_e32 v186, s20, v186
	v_xor_b32_e32 v187, s21, v187
	; wave barrier
	v_add_nc_u32_e32 v185, v23, v63
	s_delay_alu instid0(VALU_DEP_3) | instskip(NEXT) | instid1(VALU_DEP_1)
	v_bitop3_b32 v62, v62, v186, v184 bitop3:0x80
	v_bitop3_b32 v62, v62, v188, v187 bitop3:0x80
	s_delay_alu instid0(VALU_DEP_1) | instskip(SKIP_1) | instid1(VALU_DEP_2)
	v_mbcnt_lo_u32_b32 v184, v62, 0
	v_cmp_ne_u32_e64 s17, 0, v62
	v_cmp_eq_u32_e32 vcc_lo, 0, v184
	s_and_b32 s18, s17, vcc_lo
	s_delay_alu instid0(SALU_CYCLE_1)
	s_and_saveexec_b32 s17, s18
	s_cbranch_execz .LBB1010_1090
; %bb.1089:                             ;   in Loop: Header=BB1010_1032 Depth=2
	s_wait_dscnt 0x0
	v_bcnt_u32_b32 v62, v62, v183
	ds_store_b32 v185, v62 offset:544
.LBB1010_1090:                          ;   in Loop: Header=BB1010_1032 Depth=2
	s_or_b32 exec_lo, exec_lo, s17
	v_xor_b32_e32 v169, 0xffff8000, v169
	; wave barrier
	s_delay_alu instid0(VALU_DEP_1) | instskip(NEXT) | instid1(VALU_DEP_1)
	v_and_b32_e32 v62, 0xffff, v169
	v_lshrrev_b32_e32 v62, s49, v62
	s_delay_alu instid0(VALU_DEP_1) | instskip(SKIP_1) | instid1(VALU_DEP_2)
	v_and_b32_e32 v186, s48, v62
	v_bitop3_b32 v63, v62, 1, s48 bitop3:0x80
	v_lshlrev_b32_e32 v187, 29, v186
	s_delay_alu instid0(VALU_DEP_2) | instskip(NEXT) | instid1(VALU_DEP_1)
	v_add_co_u32 v62, s17, v63, -1
	v_cndmask_b32_e64 v192, 0, 1, s17
	s_delay_alu instid0(VALU_DEP_3) | instskip(SKIP_1) | instid1(VALU_DEP_3)
	v_cmp_gt_i32_e64 s17, 0, v187
	v_not_b32_e32 v187, v187
	v_cmp_ne_u32_e64 s22, 0, v192
	s_delay_alu instid0(VALU_DEP_2) | instskip(SKIP_2) | instid1(VALU_DEP_3)
	v_dual_ashrrev_i32 v187, 31, v187 :: v_dual_lshlrev_b32 v63, 30, v186
	v_dual_lshlrev_b32 v188, 28, v186 :: v_dual_lshlrev_b32 v189, 27, v186
	v_dual_lshlrev_b32 v190, 26, v186 :: v_dual_lshlrev_b32 v191, 25, v186
	v_cmp_gt_i32_e32 vcc_lo, 0, v63
	v_not_b32_e32 v63, v63
	s_delay_alu instid0(VALU_DEP_4)
	v_cmp_gt_i32_e64 s18, 0, v188
	v_not_b32_e32 v188, v188
	v_cmp_gt_i32_e64 s19, 0, v189
	v_not_b32_e32 v189, v189
	v_ashrrev_i32_e32 v63, 31, v63
	v_cmp_gt_i32_e64 s20, 0, v190
	v_not_b32_e32 v190, v190
	v_bitop3_b32 v62, s22, exec_lo, v62 bitop3:0x48
	v_xor_b32_e32 v187, s17, v187
	v_xor_b32_e32 v63, vcc_lo, v63
	v_cmp_gt_i32_e64 s21, 0, v191
	v_not_b32_e32 v191, v191
	v_dual_ashrrev_i32 v188, 31, v188 :: v_dual_ashrrev_i32 v189, 31, v189
	v_ashrrev_i32_e32 v190, 31, v190
	v_bitop3_b32 v62, v62, v187, v63 bitop3:0x80
	v_mad_u32_u24 v63, v186, 36, v23
	s_delay_alu instid0(VALU_DEP_4) | instskip(NEXT) | instid1(VALU_DEP_4)
	v_dual_ashrrev_i32 v191, 31, v191 :: v_dual_bitop2_b32 v188, s18, v188 bitop3:0x14
	v_xor_b32_e32 v190, s20, v190
	ds_load_b32 v187, v63 offset:544
	v_mul_u32_u24_e32 v63, 36, v186
	v_xor_b32_e32 v189, s19, v189
	v_xor_b32_e32 v191, s21, v191
	; wave barrier
	s_delay_alu instid0(VALU_DEP_2) | instskip(NEXT) | instid1(VALU_DEP_1)
	v_bitop3_b32 v62, v62, v189, v188 bitop3:0x80
	v_bitop3_b32 v62, v62, v191, v190 bitop3:0x80
	v_add_nc_u32_e32 v190, v23, v63
	s_delay_alu instid0(VALU_DEP_2) | instskip(SKIP_1) | instid1(VALU_DEP_2)
	v_mbcnt_lo_u32_b32 v188, v62, 0
	v_cmp_ne_u32_e64 s17, 0, v62
	v_cmp_eq_u32_e32 vcc_lo, 0, v188
	s_and_b32 s18, s17, vcc_lo
	s_delay_alu instid0(SALU_CYCLE_1)
	s_and_saveexec_b32 s17, s18
	s_cbranch_execz .LBB1010_1092
; %bb.1091:                             ;   in Loop: Header=BB1010_1032 Depth=2
	s_wait_dscnt 0x0
	v_bcnt_u32_b32 v62, v62, v187
	ds_store_b32 v190, v62 offset:544
.LBB1010_1092:                          ;   in Loop: Header=BB1010_1032 Depth=2
	s_or_b32 exec_lo, exec_lo, s17
	v_xor_b32_e32 v186, 0xffff8000, v164
	; wave barrier
	s_delay_alu instid0(VALU_DEP_1) | instskip(NEXT) | instid1(VALU_DEP_1)
	v_and_b32_e32 v62, 0xffff, v186
	v_lshrrev_b32_e32 v62, s49, v62
	s_delay_alu instid0(VALU_DEP_1) | instskip(NEXT) | instid1(VALU_DEP_1)
	v_and_b32_e32 v164, s48, v62
	v_lshlrev_b32_e32 v189, 30, v164
	v_bitop3_b32 v63, v62, 1, s48 bitop3:0x80
	s_delay_alu instid0(VALU_DEP_1) | instskip(NEXT) | instid1(VALU_DEP_1)
	v_add_co_u32 v62, s17, v63, -1
	v_cndmask_b32_e64 v63, 0, 1, s17
	s_delay_alu instid0(VALU_DEP_4) | instskip(NEXT) | instid1(VALU_DEP_2)
	v_cmp_gt_i32_e64 s17, 0, v189
	v_cmp_ne_u32_e32 vcc_lo, 0, v63
	v_not_b32_e32 v63, v189
	v_bitop3_b32 v62, vcc_lo, exec_lo, v62 bitop3:0x48
	s_delay_alu instid0(VALU_DEP_2) | instskip(SKIP_2) | instid1(VALU_DEP_3)
	v_dual_ashrrev_i32 v63, 31, v63 :: v_dual_lshlrev_b32 v191, 29, v164
	v_dual_lshlrev_b32 v192, 28, v164 :: v_dual_lshlrev_b32 v193, 27, v164
	v_lshlrev_b32_e32 v194, 26, v164
	v_not_b32_e32 v189, v191
	v_lshlrev_b32_e32 v195, 25, v164
	v_cmp_gt_i32_e64 s18, 0, v191
	v_cmp_gt_i32_e64 s19, 0, v192
	v_not_b32_e32 v191, v192
	v_not_b32_e32 v192, v193
	v_ashrrev_i32_e32 v189, 31, v189
	v_cmp_gt_i32_e64 s20, 0, v193
	v_cmp_gt_i32_e64 s21, 0, v194
	v_not_b32_e32 v193, v194
	v_not_b32_e32 v194, v195
	v_dual_ashrrev_i32 v191, 31, v191 :: v_dual_ashrrev_i32 v192, 31, v192
	s_delay_alu instid0(VALU_DEP_3) | instskip(NEXT) | instid1(VALU_DEP_3)
	v_dual_ashrrev_i32 v193, 31, v193 :: v_dual_bitop2_b32 v63, s17, v63 bitop3:0x14
	v_dual_ashrrev_i32 v194, 31, v194 :: v_dual_bitop2_b32 v189, s18, v189 bitop3:0x14
	v_cmp_gt_i32_e64 s22, 0, v195
	s_delay_alu instid0(VALU_DEP_4) | instskip(SKIP_1) | instid1(VALU_DEP_4)
	v_xor_b32_e32 v191, s19, v191
	v_xor_b32_e32 v192, s20, v192
	v_bitop3_b32 v62, v62, v189, v63 bitop3:0x80
	v_mad_u32_u24 v63, v164, 36, v23
	v_xor_b32_e32 v189, s21, v193
	v_xor_b32_e32 v193, s22, v194
	s_delay_alu instid0(VALU_DEP_4) | instskip(SKIP_3) | instid1(VALU_DEP_2)
	v_bitop3_b32 v62, v62, v192, v191 bitop3:0x80
	ds_load_b32 v191, v63 offset:544
	v_mul_u32_u24_e32 v63, 36, v164
	; wave barrier
	v_bitop3_b32 v62, v62, v193, v189 bitop3:0x80
	v_add_nc_u32_e32 v164, v23, v63
	s_delay_alu instid0(VALU_DEP_2) | instskip(SKIP_1) | instid1(VALU_DEP_2)
	v_mbcnt_lo_u32_b32 v192, v62, 0
	v_cmp_ne_u32_e64 s17, 0, v62
	v_cmp_eq_u32_e32 vcc_lo, 0, v192
	s_and_b32 s18, s17, vcc_lo
	s_delay_alu instid0(SALU_CYCLE_1)
	s_and_saveexec_b32 s17, s18
	s_cbranch_execz .LBB1010_1094
; %bb.1093:                             ;   in Loop: Header=BB1010_1032 Depth=2
	s_wait_dscnt 0x0
	v_bcnt_u32_b32 v62, v62, v191
	ds_store_b32 v164, v62 offset:544
.LBB1010_1094:                          ;   in Loop: Header=BB1010_1032 Depth=2
	s_or_b32 exec_lo, exec_lo, s17
	v_xor_b32_e32 v189, 0xffff8000, v161
	; wave barrier
	s_delay_alu instid0(VALU_DEP_1) | instskip(NEXT) | instid1(VALU_DEP_1)
	v_and_b32_e32 v62, 0xffff, v189
	v_lshrrev_b32_e32 v62, s49, v62
	s_delay_alu instid0(VALU_DEP_1) | instskip(NEXT) | instid1(VALU_DEP_1)
	v_and_b32_e32 v161, s48, v62
	v_lshlrev_b32_e32 v193, 30, v161
	v_bitop3_b32 v63, v62, 1, s48 bitop3:0x80
	s_delay_alu instid0(VALU_DEP_1) | instskip(NEXT) | instid1(VALU_DEP_1)
	v_add_co_u32 v62, s17, v63, -1
	v_cndmask_b32_e64 v63, 0, 1, s17
	s_delay_alu instid0(VALU_DEP_4) | instskip(NEXT) | instid1(VALU_DEP_2)
	v_cmp_gt_i32_e64 s17, 0, v193
	v_cmp_ne_u32_e32 vcc_lo, 0, v63
	v_not_b32_e32 v63, v193
	v_bitop3_b32 v62, vcc_lo, exec_lo, v62 bitop3:0x48
	s_delay_alu instid0(VALU_DEP_2) | instskip(SKIP_2) | instid1(VALU_DEP_3)
	v_dual_ashrrev_i32 v63, 31, v63 :: v_dual_lshlrev_b32 v194, 29, v161
	v_dual_lshlrev_b32 v195, 28, v161 :: v_dual_lshlrev_b32 v196, 27, v161
	v_lshlrev_b32_e32 v197, 26, v161
	v_not_b32_e32 v193, v194
	v_cmp_gt_i32_e64 s18, 0, v194
	s_delay_alu instid0(VALU_DEP_4)
	v_cmp_gt_i32_e64 s19, 0, v195
	v_not_b32_e32 v194, v195
	v_lshlrev_b32_e32 v198, 25, v161
	v_not_b32_e32 v195, v196
	v_ashrrev_i32_e32 v193, 31, v193
	v_cmp_gt_i32_e64 s20, 0, v196
	v_cmp_gt_i32_e64 s21, 0, v197
	v_not_b32_e32 v196, v197
	v_ashrrev_i32_e32 v194, 31, v194
	v_not_b32_e32 v197, v198
	v_ashrrev_i32_e32 v195, 31, v195
	s_delay_alu instid0(VALU_DEP_4) | instskip(SKIP_4) | instid1(VALU_DEP_4)
	v_dual_ashrrev_i32 v196, 31, v196 :: v_dual_bitop2_b32 v63, s17, v63 bitop3:0x14
	v_xor_b32_e32 v193, s18, v193
	v_cmp_gt_i32_e64 s22, 0, v198
	v_dual_ashrrev_i32 v197, 31, v197 :: v_dual_bitop2_b32 v194, s19, v194 bitop3:0x14
	v_xor_b32_e32 v195, s20, v195
	v_bitop3_b32 v62, v62, v193, v63 bitop3:0x80
	v_mad_u32_u24 v63, v161, 36, v23
	v_xor_b32_e32 v193, s21, v196
	v_xor_b32_e32 v196, s22, v197
	s_delay_alu instid0(VALU_DEP_4) | instskip(SKIP_3) | instid1(VALU_DEP_2)
	v_bitop3_b32 v62, v62, v195, v194 bitop3:0x80
	ds_load_b32 v194, v63 offset:544
	v_mul_u32_u24_e32 v63, 36, v161
	; wave barrier
	v_bitop3_b32 v62, v62, v196, v193 bitop3:0x80
	v_add_nc_u32_e32 v161, v23, v63
	s_delay_alu instid0(VALU_DEP_2) | instskip(SKIP_1) | instid1(VALU_DEP_2)
	v_mbcnt_lo_u32_b32 v195, v62, 0
	v_cmp_ne_u32_e64 s17, 0, v62
	v_cmp_eq_u32_e32 vcc_lo, 0, v195
	s_and_b32 s18, s17, vcc_lo
	s_delay_alu instid0(SALU_CYCLE_1)
	s_and_saveexec_b32 s17, s18
	s_cbranch_execz .LBB1010_1096
; %bb.1095:                             ;   in Loop: Header=BB1010_1032 Depth=2
	s_wait_dscnt 0x0
	v_bcnt_u32_b32 v62, v62, v194
	ds_store_b32 v161, v62 offset:544
.LBB1010_1096:                          ;   in Loop: Header=BB1010_1032 Depth=2
	s_or_b32 exec_lo, exec_lo, s17
	v_xor_b32_e32 v193, 0xffff8000, v156
	; wave barrier
	s_delay_alu instid0(VALU_DEP_1) | instskip(NEXT) | instid1(VALU_DEP_1)
	v_and_b32_e32 v62, 0xffff, v193
	v_lshrrev_b32_e32 v62, s49, v62
	s_delay_alu instid0(VALU_DEP_1) | instskip(NEXT) | instid1(VALU_DEP_1)
	v_and_b32_e32 v156, s48, v62
	v_lshlrev_b32_e32 v196, 30, v156
	v_bitop3_b32 v63, v62, 1, s48 bitop3:0x80
	s_delay_alu instid0(VALU_DEP_1) | instskip(NEXT) | instid1(VALU_DEP_1)
	v_add_co_u32 v62, s17, v63, -1
	v_cndmask_b32_e64 v63, 0, 1, s17
	s_delay_alu instid0(VALU_DEP_4) | instskip(NEXT) | instid1(VALU_DEP_2)
	v_cmp_gt_i32_e64 s17, 0, v196
	v_cmp_ne_u32_e32 vcc_lo, 0, v63
	v_not_b32_e32 v63, v196
	v_bitop3_b32 v62, vcc_lo, exec_lo, v62 bitop3:0x48
	s_delay_alu instid0(VALU_DEP_2) | instskip(SKIP_2) | instid1(VALU_DEP_3)
	v_dual_ashrrev_i32 v63, 31, v63 :: v_dual_lshlrev_b32 v197, 29, v156
	v_dual_lshlrev_b32 v198, 28, v156 :: v_dual_lshlrev_b32 v199, 27, v156
	v_lshlrev_b32_e32 v200, 26, v156
	v_not_b32_e32 v196, v197
	v_cmp_gt_i32_e64 s18, 0, v197
	s_delay_alu instid0(VALU_DEP_4)
	v_cmp_gt_i32_e64 s19, 0, v198
	v_not_b32_e32 v197, v198
	v_lshlrev_b32_e32 v201, 25, v156
	v_not_b32_e32 v198, v199
	v_ashrrev_i32_e32 v196, 31, v196
	v_cmp_gt_i32_e64 s20, 0, v199
	v_cmp_gt_i32_e64 s21, 0, v200
	v_not_b32_e32 v199, v200
	v_ashrrev_i32_e32 v197, 31, v197
	v_not_b32_e32 v200, v201
	v_dual_ashrrev_i32 v198, 31, v198 :: v_dual_bitop2_b32 v63, s17, v63 bitop3:0x14
	s_delay_alu instid0(VALU_DEP_4) | instskip(SKIP_1) | instid1(VALU_DEP_4)
	v_dual_ashrrev_i32 v199, 31, v199 :: v_dual_bitop2_b32 v196, s18, v196 bitop3:0x14
	v_cmp_gt_i32_e64 s22, 0, v201
	v_dual_ashrrev_i32 v200, 31, v200 :: v_dual_bitop2_b32 v197, s19, v197 bitop3:0x14
	s_delay_alu instid0(VALU_DEP_4) | instskip(NEXT) | instid1(VALU_DEP_4)
	v_xor_b32_e32 v198, s20, v198
	v_bitop3_b32 v62, v62, v196, v63 bitop3:0x80
	v_mad_u32_u24 v63, v156, 36, v23
	v_xor_b32_e32 v196, s21, v199
	v_xor_b32_e32 v199, s22, v200
	s_delay_alu instid0(VALU_DEP_4) | instskip(SKIP_3) | instid1(VALU_DEP_2)
	v_bitop3_b32 v62, v62, v198, v197 bitop3:0x80
	ds_load_b32 v197, v63 offset:544
	v_mul_u32_u24_e32 v63, 36, v156
	; wave barrier
	v_bitop3_b32 v62, v62, v199, v196 bitop3:0x80
	v_add_nc_u32_e32 v156, v23, v63
	s_delay_alu instid0(VALU_DEP_2) | instskip(SKIP_1) | instid1(VALU_DEP_2)
	v_mbcnt_lo_u32_b32 v198, v62, 0
	v_cmp_ne_u32_e64 s17, 0, v62
	v_cmp_eq_u32_e32 vcc_lo, 0, v198
	s_and_b32 s18, s17, vcc_lo
	s_delay_alu instid0(SALU_CYCLE_1)
	s_and_saveexec_b32 s17, s18
	s_cbranch_execz .LBB1010_1098
; %bb.1097:                             ;   in Loop: Header=BB1010_1032 Depth=2
	s_wait_dscnt 0x0
	v_bcnt_u32_b32 v62, v62, v197
	ds_store_b32 v156, v62 offset:544
.LBB1010_1098:                          ;   in Loop: Header=BB1010_1032 Depth=2
	s_or_b32 exec_lo, exec_lo, s17
	v_xor_b32_e32 v196, 0xffff8000, v65
	; wave barrier
	s_delay_alu instid0(VALU_DEP_1) | instskip(NEXT) | instid1(VALU_DEP_1)
	v_and_b32_e32 v62, 0xffff, v196
	v_lshrrev_b32_e32 v62, s49, v62
	s_delay_alu instid0(VALU_DEP_1) | instskip(NEXT) | instid1(VALU_DEP_1)
	v_and_b32_e32 v65, s48, v62
	v_lshlrev_b32_e32 v199, 30, v65
	v_bitop3_b32 v63, v62, 1, s48 bitop3:0x80
	s_delay_alu instid0(VALU_DEP_1) | instskip(NEXT) | instid1(VALU_DEP_1)
	v_add_co_u32 v62, s17, v63, -1
	v_cndmask_b32_e64 v63, 0, 1, s17
	s_delay_alu instid0(VALU_DEP_4) | instskip(NEXT) | instid1(VALU_DEP_2)
	v_cmp_gt_i32_e64 s17, 0, v199
	v_cmp_ne_u32_e32 vcc_lo, 0, v63
	v_not_b32_e32 v63, v199
	v_bitop3_b32 v62, vcc_lo, exec_lo, v62 bitop3:0x48
	s_delay_alu instid0(VALU_DEP_2) | instskip(SKIP_2) | instid1(VALU_DEP_3)
	v_dual_ashrrev_i32 v63, 31, v63 :: v_dual_lshlrev_b32 v200, 29, v65
	v_dual_lshlrev_b32 v201, 28, v65 :: v_dual_lshlrev_b32 v202, 27, v65
	v_lshlrev_b32_e32 v203, 26, v65
	v_not_b32_e32 v199, v200
	v_lshlrev_b32_e32 v204, 25, v65
	v_cmp_gt_i32_e64 s18, 0, v200
	v_cmp_gt_i32_e64 s19, 0, v201
	v_not_b32_e32 v200, v201
	v_not_b32_e32 v201, v202
	v_ashrrev_i32_e32 v199, 31, v199
	v_cmp_gt_i32_e64 s20, 0, v202
	v_cmp_gt_i32_e64 s21, 0, v203
	v_not_b32_e32 v202, v203
	v_not_b32_e32 v203, v204
	v_dual_ashrrev_i32 v200, 31, v200 :: v_dual_ashrrev_i32 v201, 31, v201
	s_delay_alu instid0(VALU_DEP_3) | instskip(SKIP_2) | instid1(VALU_DEP_4)
	v_dual_ashrrev_i32 v202, 31, v202 :: v_dual_bitop2_b32 v63, s17, v63 bitop3:0x14
	v_xor_b32_e32 v199, s18, v199
	v_cmp_gt_i32_e64 s22, 0, v204
	v_dual_ashrrev_i32 v203, 31, v203 :: v_dual_bitop2_b32 v200, s19, v200 bitop3:0x14
	v_xor_b32_e32 v201, s20, v201
	s_delay_alu instid0(VALU_DEP_4) | instskip(SKIP_3) | instid1(VALU_DEP_4)
	v_bitop3_b32 v62, v62, v199, v63 bitop3:0x80
	v_mad_u32_u24 v63, v65, 36, v23
	v_xor_b32_e32 v199, s21, v202
	v_xor_b32_e32 v202, s22, v203
	v_bitop3_b32 v62, v62, v201, v200 bitop3:0x80
	ds_load_b32 v200, v63 offset:544
	v_mul_u32_u24_e32 v63, 36, v65
	; wave barrier
	v_bitop3_b32 v62, v62, v202, v199 bitop3:0x80
	s_delay_alu instid0(VALU_DEP_2) | instskip(NEXT) | instid1(VALU_DEP_2)
	v_add_nc_u32_e32 v202, v23, v63
	v_mbcnt_lo_u32_b32 v201, v62, 0
	v_cmp_ne_u32_e64 s17, 0, v62
	s_delay_alu instid0(VALU_DEP_2) | instskip(SKIP_1) | instid1(SALU_CYCLE_1)
	v_cmp_eq_u32_e32 vcc_lo, 0, v201
	s_and_b32 s18, s17, vcc_lo
	s_and_saveexec_b32 s17, s18
	s_cbranch_execz .LBB1010_1100
; %bb.1099:                             ;   in Loop: Header=BB1010_1032 Depth=2
	s_wait_dscnt 0x0
	v_bcnt_u32_b32 v62, v62, v200
	ds_store_b32 v202, v62 offset:544
.LBB1010_1100:                          ;   in Loop: Header=BB1010_1032 Depth=2
	s_or_b32 exec_lo, exec_lo, s17
	v_xor_b32_e32 v199, 0xffff8000, v64
	; wave barrier
	s_delay_alu instid0(VALU_DEP_1) | instskip(NEXT) | instid1(VALU_DEP_1)
	v_and_b32_e32 v62, 0xffff, v199
	v_lshrrev_b32_e32 v62, s49, v62
	s_delay_alu instid0(VALU_DEP_1) | instskip(NEXT) | instid1(VALU_DEP_1)
	v_and_b32_e32 v64, s48, v62
	v_lshlrev_b32_e32 v65, 30, v64
	v_bitop3_b32 v63, v62, 1, s48 bitop3:0x80
	s_delay_alu instid0(VALU_DEP_1) | instskip(NEXT) | instid1(VALU_DEP_1)
	v_add_co_u32 v62, s17, v63, -1
	v_cndmask_b32_e64 v63, 0, 1, s17
	s_delay_alu instid0(VALU_DEP_4) | instskip(NEXT) | instid1(VALU_DEP_2)
	v_cmp_gt_i32_e64 s17, 0, v65
	v_cmp_ne_u32_e32 vcc_lo, 0, v63
	v_not_b32_e32 v63, v65
	v_bitop3_b32 v62, vcc_lo, exec_lo, v62 bitop3:0x48
	s_delay_alu instid0(VALU_DEP_2) | instskip(SKIP_2) | instid1(VALU_DEP_3)
	v_dual_ashrrev_i32 v63, 31, v63 :: v_dual_lshlrev_b32 v203, 29, v64
	v_dual_lshlrev_b32 v204, 28, v64 :: v_dual_lshlrev_b32 v205, 27, v64
	v_lshlrev_b32_e32 v206, 26, v64
	v_not_b32_e32 v65, v203
	v_lshlrev_b32_e32 v207, 25, v64
	v_cmp_gt_i32_e64 s18, 0, v203
	v_cmp_gt_i32_e64 s19, 0, v204
	v_not_b32_e32 v203, v204
	v_not_b32_e32 v204, v205
	v_ashrrev_i32_e32 v65, 31, v65
	v_cmp_gt_i32_e64 s20, 0, v205
	v_cmp_gt_i32_e64 s21, 0, v206
	v_not_b32_e32 v205, v206
	v_not_b32_e32 v206, v207
	v_dual_ashrrev_i32 v203, 31, v203 :: v_dual_ashrrev_i32 v204, 31, v204
	s_delay_alu instid0(VALU_DEP_3) | instskip(NEXT) | instid1(VALU_DEP_3)
	v_dual_ashrrev_i32 v205, 31, v205 :: v_dual_bitop2_b32 v63, s17, v63 bitop3:0x14
	v_dual_ashrrev_i32 v206, 31, v206 :: v_dual_bitop2_b32 v65, s18, v65 bitop3:0x14
	v_cmp_gt_i32_e64 s22, 0, v207
	s_delay_alu instid0(VALU_DEP_4) | instskip(SKIP_1) | instid1(VALU_DEP_4)
	v_xor_b32_e32 v203, s19, v203
	v_xor_b32_e32 v204, s20, v204
	v_bitop3_b32 v62, v62, v65, v63 bitop3:0x80
	v_mad_u32_u24 v63, v64, 36, v23
	v_xor_b32_e32 v65, s21, v205
	v_xor_b32_e32 v205, s22, v206
	s_delay_alu instid0(VALU_DEP_4) | instskip(SKIP_3) | instid1(VALU_DEP_2)
	v_bitop3_b32 v62, v62, v204, v203 bitop3:0x80
	ds_load_b32 v203, v63 offset:544
	v_mul_u32_u24_e32 v63, 36, v64
	; wave barrier
	v_bitop3_b32 v62, v62, v205, v65 bitop3:0x80
	v_add_nc_u32_e32 v205, v23, v63
	s_delay_alu instid0(VALU_DEP_2) | instskip(SKIP_1) | instid1(VALU_DEP_2)
	v_mbcnt_lo_u32_b32 v204, v62, 0
	v_cmp_ne_u32_e64 s17, 0, v62
	v_cmp_eq_u32_e32 vcc_lo, 0, v204
	s_and_b32 s18, s17, vcc_lo
	s_delay_alu instid0(SALU_CYCLE_1)
	s_and_saveexec_b32 s17, s18
	s_cbranch_execz .LBB1010_1102
; %bb.1101:                             ;   in Loop: Header=BB1010_1032 Depth=2
	s_wait_dscnt 0x0
	v_bcnt_u32_b32 v62, v62, v203
	ds_store_b32 v205, v62 offset:544
.LBB1010_1102:                          ;   in Loop: Header=BB1010_1032 Depth=2
	s_or_b32 exec_lo, exec_lo, s17
	v_and_b32_e32 v62, 0xffff, v142
	; wave barrier
	s_delay_alu instid0(VALU_DEP_1) | instskip(NEXT) | instid1(VALU_DEP_1)
	v_lshrrev_b32_e32 v62, s49, v62
	v_and_b32_e32 v64, s48, v62
	s_delay_alu instid0(VALU_DEP_1) | instskip(SKIP_1) | instid1(VALU_DEP_1)
	v_lshlrev_b32_e32 v65, 30, v64
	v_bitop3_b32 v63, v62, 1, s48 bitop3:0x80
	v_add_co_u32 v62, s17, v63, -1
	s_delay_alu instid0(VALU_DEP_1) | instskip(NEXT) | instid1(VALU_DEP_4)
	v_cndmask_b32_e64 v63, 0, 1, s17
	v_cmp_gt_i32_e64 s17, 0, v65
	s_delay_alu instid0(VALU_DEP_2) | instskip(SKIP_2) | instid1(VALU_DEP_2)
	v_cmp_ne_u32_e32 vcc_lo, 0, v63
	v_not_b32_e32 v63, v65
	v_bitop3_b32 v62, vcc_lo, exec_lo, v62 bitop3:0x48
	v_dual_ashrrev_i32 v63, 31, v63 :: v_dual_lshlrev_b32 v206, 29, v64
	v_dual_lshlrev_b32 v207, 28, v64 :: v_dual_lshlrev_b32 v208, 27, v64
	v_lshlrev_b32_e32 v209, 26, v64
	s_delay_alu instid0(VALU_DEP_3)
	v_not_b32_e32 v65, v206
	v_lshlrev_b32_e32 v210, 25, v64
	v_cmp_gt_i32_e64 s18, 0, v206
	v_cmp_gt_i32_e64 s19, 0, v207
	v_not_b32_e32 v206, v207
	v_not_b32_e32 v207, v208
	v_ashrrev_i32_e32 v65, 31, v65
	v_cmp_gt_i32_e64 s20, 0, v208
	v_cmp_gt_i32_e64 s21, 0, v209
	v_not_b32_e32 v208, v209
	v_dual_ashrrev_i32 v206, 31, v206 :: v_dual_ashrrev_i32 v207, 31, v207
	v_xor_b32_e32 v63, s17, v63
	v_xor_b32_e32 v65, s18, v65
	v_not_b32_e32 v209, v210
	s_delay_alu instid0(VALU_DEP_4) | instskip(SKIP_1) | instid1(VALU_DEP_4)
	v_dual_ashrrev_i32 v208, 31, v208 :: v_dual_bitop2_b32 v206, s19, v206 bitop3:0x14
	v_xor_b32_e32 v207, s20, v207
	v_bitop3_b32 v62, v62, v65, v63 bitop3:0x80
	v_cmp_gt_i32_e32 vcc_lo, 0, v210
	v_ashrrev_i32_e32 v63, 31, v209
	v_mad_u32_u24 v65, v64, 36, v23
	v_xor_b32_e32 v208, s21, v208
	v_bitop3_b32 v62, v62, v207, v206 bitop3:0x80
	s_delay_alu instid0(VALU_DEP_4) | instskip(SKIP_3) | instid1(VALU_DEP_2)
	v_xor_b32_e32 v63, vcc_lo, v63
	ds_load_b32 v206, v65 offset:544
	; wave barrier
	v_bitop3_b32 v62, v62, v63, v208 bitop3:0x80
	v_mul_u32_u24_e32 v63, 36, v64
	v_mbcnt_lo_u32_b32 v207, v62, 0
	v_cmp_ne_u32_e64 s17, 0, v62
	s_delay_alu instid0(VALU_DEP_3) | instskip(NEXT) | instid1(VALU_DEP_3)
	v_add_nc_u32_e32 v208, v23, v63
	v_cmp_eq_u32_e32 vcc_lo, 0, v207
	s_and_b32 s18, s17, vcc_lo
	s_delay_alu instid0(SALU_CYCLE_1)
	s_and_saveexec_b32 s17, s18
	s_cbranch_execz .LBB1010_1104
; %bb.1103:                             ;   in Loop: Header=BB1010_1032 Depth=2
	s_wait_dscnt 0x0
	v_bcnt_u32_b32 v62, v62, v206
	ds_store_b32 v208, v62 offset:544
.LBB1010_1104:                          ;   in Loop: Header=BB1010_1032 Depth=2
	s_or_b32 exec_lo, exec_lo, s17
	; wave barrier
	s_wait_dscnt 0x0
	s_barrier_signal -1
	s_barrier_wait -1
	ds_load_2addr_b32 v[64:65], v89 offset0:136 offset1:137
	ds_load_2addr_b32 v[62:63], v89 offset0:138 offset1:139
	ds_load_b32 v209, v89 offset:560
	s_wait_dscnt 0x1
	v_add3_u32 v210, v65, v64, v62
	s_wait_dscnt 0x0
	s_delay_alu instid0(VALU_DEP_1) | instskip(NEXT) | instid1(VALU_DEP_1)
	v_add3_u32 v209, v210, v63, v209
	v_mov_b32_dpp v210, v209 row_shr:1 row_mask:0xf bank_mask:0xf
	s_delay_alu instid0(VALU_DEP_1) | instskip(NEXT) | instid1(VALU_DEP_1)
	v_cndmask_b32_e64 v210, v210, 0, s9
	v_add_nc_u32_e32 v209, v210, v209
	s_delay_alu instid0(VALU_DEP_1) | instskip(NEXT) | instid1(VALU_DEP_1)
	v_mov_b32_dpp v210, v209 row_shr:2 row_mask:0xf bank_mask:0xf
	v_cndmask_b32_e64 v210, 0, v210, s10
	s_delay_alu instid0(VALU_DEP_1) | instskip(NEXT) | instid1(VALU_DEP_1)
	v_add_nc_u32_e32 v209, v209, v210
	v_mov_b32_dpp v210, v209 row_shr:4 row_mask:0xf bank_mask:0xf
	s_delay_alu instid0(VALU_DEP_1) | instskip(NEXT) | instid1(VALU_DEP_1)
	v_cndmask_b32_e64 v210, 0, v210, s11
	v_add_nc_u32_e32 v209, v209, v210
	s_delay_alu instid0(VALU_DEP_1) | instskip(NEXT) | instid1(VALU_DEP_1)
	v_mov_b32_dpp v210, v209 row_shr:8 row_mask:0xf bank_mask:0xf
	v_cndmask_b32_e64 v210, 0, v210, s12
	s_delay_alu instid0(VALU_DEP_1) | instskip(SKIP_3) | instid1(VALU_DEP_1)
	v_add_nc_u32_e32 v209, v209, v210
	ds_swizzle_b32 v210, v209 offset:swizzle(BROADCAST,32,15)
	s_wait_dscnt 0x0
	v_cndmask_b32_e64 v210, v210, 0, s13
	v_add_nc_u32_e32 v209, v209, v210
	s_and_saveexec_b32 s17, s2
; %bb.1105:                             ;   in Loop: Header=BB1010_1032 Depth=2
	ds_store_b32 v82, v209 offset:512
; %bb.1106:                             ;   in Loop: Header=BB1010_1032 Depth=2
	s_or_b32 exec_lo, exec_lo, s17
	s_wait_dscnt 0x0
	s_barrier_signal -1
	s_barrier_wait -1
	s_and_saveexec_b32 s17, s3
	s_cbranch_execz .LBB1010_1108
; %bb.1107:                             ;   in Loop: Header=BB1010_1032 Depth=2
	ds_load_b32 v210, v91 offset:512
	s_wait_dscnt 0x0
	v_mov_b32_dpp v211, v210 row_shr:1 row_mask:0xf bank_mask:0xf
	s_delay_alu instid0(VALU_DEP_1) | instskip(NEXT) | instid1(VALU_DEP_1)
	v_cndmask_b32_e64 v211, v211, 0, s14
	v_add_nc_u32_e32 v210, v211, v210
	s_delay_alu instid0(VALU_DEP_1) | instskip(NEXT) | instid1(VALU_DEP_1)
	v_mov_b32_dpp v211, v210 row_shr:2 row_mask:0xf bank_mask:0xf
	v_cndmask_b32_e64 v211, 0, v211, s15
	s_delay_alu instid0(VALU_DEP_1) | instskip(NEXT) | instid1(VALU_DEP_1)
	v_add_nc_u32_e32 v210, v210, v211
	v_mov_b32_dpp v211, v210 row_shr:4 row_mask:0xf bank_mask:0xf
	s_delay_alu instid0(VALU_DEP_1) | instskip(NEXT) | instid1(VALU_DEP_1)
	v_cndmask_b32_e64 v211, 0, v211, s16
	v_add_nc_u32_e32 v210, v210, v211
	ds_store_b32 v91, v210 offset:512
.LBB1010_1108:                          ;   in Loop: Header=BB1010_1032 Depth=2
	s_or_b32 exec_lo, exec_lo, s17
	v_mov_b32_e32 v210, 0
	s_wait_dscnt 0x0
	s_barrier_signal -1
	s_barrier_wait -1
	s_and_saveexec_b32 s17, s5
; %bb.1109:                             ;   in Loop: Header=BB1010_1032 Depth=2
	ds_load_b32 v210, v82 offset:508
; %bb.1110:                             ;   in Loop: Header=BB1010_1032 Depth=2
	s_or_b32 exec_lo, exec_lo, s17
	s_wait_dscnt 0x0
	v_add_nc_u32_e32 v209, v210, v209
	ds_bpermute_b32 v209, v121, v209
	s_wait_dscnt 0x0
	v_cndmask_b32_e64 v209, v209, v210, s8
	s_delay_alu instid0(VALU_DEP_1) | instskip(NEXT) | instid1(VALU_DEP_1)
	v_cndmask_b32_e64 v209, v209, 0, s6
	v_add_nc_u32_e32 v64, v209, v64
	s_delay_alu instid0(VALU_DEP_1) | instskip(NEXT) | instid1(VALU_DEP_1)
	v_add_nc_u32_e32 v65, v64, v65
	v_add_nc_u32_e32 v62, v65, v62
	s_delay_alu instid0(VALU_DEP_1)
	v_add_nc_u32_e32 v63, v62, v63
	ds_store_2addr_b32 v89, v209, v64 offset0:136 offset1:137
	ds_store_2addr_b32 v89, v65, v62 offset0:138 offset1:139
	ds_store_b32 v89, v63 offset:560
	s_wait_dscnt 0x0
	s_barrier_signal -1
	s_barrier_wait -1
	ds_load_b32 v64, v146 offset:544
	ds_load_b32 v65, v150 offset:544
	ds_load_b32 v146, v154 offset:544
	ds_load_b32 v150, v159 offset:544
	ds_load_b32 v154, v165 offset:544
	ds_load_b32 v209, v170 offset:544
	ds_load_b32 v175, v175 offset:544
	ds_load_b32 v179, v179 offset:544
	ds_load_b32 v182, v182 offset:544
	ds_load_b32 v185, v185 offset:544
	ds_load_b32 v190, v190 offset:544
	ds_load_b32 v210, v164 offset:544
	ds_load_b32 v211, v161 offset:544
	ds_load_b32 v212, v156 offset:544
	ds_load_b32 v62, v202 offset:544
	ds_load_b32 v63, v205 offset:544
	ds_load_b32 v170, v208 offset:544
	s_and_saveexec_b32 s17, s0
	s_cbranch_execz .LBB1010_1114
; %bb.1111:                             ;   in Loop: Header=BB1010_1032 Depth=2
	ds_load_b32 v137, v92 offset:544
	v_mov_b32_e32 v140, 0x1100
	s_and_saveexec_b32 s18, s7
; %bb.1112:                             ;   in Loop: Header=BB1010_1032 Depth=2
	ds_load_b32 v140, v93 offset:544
; %bb.1113:                             ;   in Loop: Header=BB1010_1032 Depth=2
	s_or_b32 exec_lo, exec_lo, s18
	s_wait_dscnt 0x0
	v_sub_nc_u32_e32 v140, v140, v137
.LBB1010_1114:                          ;   in Loop: Header=BB1010_1032 Depth=2
	s_or_b32 exec_lo, exec_lo, s17
	s_wait_dscnt 0x0
	s_barrier_signal -1
	s_barrier_wait -1
	s_and_saveexec_b32 s17, s0
	s_cbranch_execz .LBB1010_1116
; %bb.1115:                             ;   in Loop: Header=BB1010_1032 Depth=2
	ds_load_b32 v156, v3
	s_wait_dscnt 0x0
	v_sub_nc_u32_e32 v156, v156, v137
	ds_store_b32 v3, v156
.LBB1010_1116:                          ;   in Loop: Header=BB1010_1032 Depth=2
	s_or_b32 exec_lo, exec_lo, s17
	v_add3_u32 v161, v153, v152, v146
	v_add_nc_u32_e32 v165, v64, v144
	v_add3_u32 v164, v149, v148, v65
	v_add3_u32 v159, v158, v157, v150
	;; [unrolled: 1-line block ×4, first 2 shown]
	v_lshlrev_b32_e32 v62, 1, v161
	v_dual_lshlrev_b32 v162, 1, v165 :: v_dual_lshlrev_b32 v163, 1, v164
	v_add3_u32 v157, v168, v167, v209
	v_add3_u32 v156, v173, v172, v175
	;; [unrolled: 1-line block ×5, first 2 shown]
	v_lshlrev_b32_e32 v63, 1, v159
	v_add3_u32 v152, v184, v183, v185
	ds_store_b16 v162, v143 offset:512
	ds_store_b16 v163, v145 offset:512
	v_lshlrev_b32_e32 v143, 1, v158
	v_add3_u32 v150, v188, v187, v190
	v_dual_lshlrev_b32 v145, 1, v157 :: v_dual_lshlrev_b32 v162, 1, v156
	v_add3_u32 v149, v192, v191, v210
	v_add3_u32 v65, v195, v194, v211
	ds_store_b16 v62, v147 offset:512
	ds_store_b16 v63, v151 offset:512
	;; [unrolled: 1-line block ×5, first 2 shown]
	v_dual_lshlrev_b32 v62, 1, v154 :: v_dual_lshlrev_b32 v63, 1, v153
	v_add3_u32 v64, v198, v197, v212
	v_dual_lshlrev_b32 v143, 1, v152 :: v_dual_lshlrev_b32 v145, 1, v150
	v_add3_u32 v144, v207, v206, v170
	v_lshlrev_b32_e32 v147, 1, v149
	ds_store_b16 v62, v171 offset:512
	ds_store_b16 v63, v176 offset:512
	;; [unrolled: 1-line block ×5, first 2 shown]
	v_dual_lshlrev_b32 v62, 1, v65 :: v_dual_lshlrev_b32 v143, 1, v148
	v_cmp_lt_u32_e32 vcc_lo, v2, v141
	v_dual_lshlrev_b32 v63, 1, v64 :: v_dual_lshlrev_b32 v145, 1, v146
	v_lshlrev_b32_e32 v147, 1, v144
	ds_store_b16 v62, v189 offset:512
	ds_store_b16 v63, v193 offset:512
	;; [unrolled: 1-line block ×5, first 2 shown]
	s_wait_dscnt 0x0
	s_barrier_signal -1
	s_barrier_wait -1
	s_and_saveexec_b32 s17, vcc_lo
	s_cbranch_execnz .LBB1010_1189
; %bb.1117:                             ;   in Loop: Header=BB1010_1032 Depth=2
	s_or_b32 exec_lo, exec_lo, s17
	v_cmp_lt_u32_e64 s17, v66, v141
	s_and_saveexec_b32 s18, s17
	s_cbranch_execnz .LBB1010_1190
.LBB1010_1118:                          ;   in Loop: Header=BB1010_1032 Depth=2
	s_or_b32 exec_lo, exec_lo, s18
	v_cmp_lt_u32_e64 s18, v67, v141
	s_and_saveexec_b32 s19, s18
	s_cbranch_execnz .LBB1010_1191
.LBB1010_1119:                          ;   in Loop: Header=BB1010_1032 Depth=2
	s_or_b32 exec_lo, exec_lo, s19
	v_cmp_lt_u32_e64 s19, v68, v141
	s_and_saveexec_b32 s20, s19
	s_cbranch_execnz .LBB1010_1192
.LBB1010_1120:                          ;   in Loop: Header=BB1010_1032 Depth=2
	s_or_b32 exec_lo, exec_lo, s20
	v_cmp_lt_u32_e64 s20, v69, v141
	s_and_saveexec_b32 s21, s20
	s_cbranch_execnz .LBB1010_1193
.LBB1010_1121:                          ;   in Loop: Header=BB1010_1032 Depth=2
	s_or_b32 exec_lo, exec_lo, s21
	v_cmp_lt_u32_e64 s21, v70, v141
	s_and_saveexec_b32 s22, s21
	s_cbranch_execnz .LBB1010_1194
.LBB1010_1122:                          ;   in Loop: Header=BB1010_1032 Depth=2
	s_or_b32 exec_lo, exec_lo, s22
	v_cmp_lt_u32_e64 s22, v71, v141
	s_and_saveexec_b32 s23, s22
	s_cbranch_execnz .LBB1010_1195
.LBB1010_1123:                          ;   in Loop: Header=BB1010_1032 Depth=2
	s_or_b32 exec_lo, exec_lo, s23
	v_cmp_lt_u32_e64 s23, v72, v141
	s_and_saveexec_b32 s24, s23
	s_cbranch_execnz .LBB1010_1196
.LBB1010_1124:                          ;   in Loop: Header=BB1010_1032 Depth=2
	s_or_b32 exec_lo, exec_lo, s24
	v_cmp_lt_u32_e64 s24, v73, v141
	s_and_saveexec_b32 s25, s24
	s_cbranch_execnz .LBB1010_1197
.LBB1010_1125:                          ;   in Loop: Header=BB1010_1032 Depth=2
	s_or_b32 exec_lo, exec_lo, s25
	v_cmp_lt_u32_e64 s25, v74, v141
	s_and_saveexec_b32 s26, s25
	s_cbranch_execnz .LBB1010_1198
.LBB1010_1126:                          ;   in Loop: Header=BB1010_1032 Depth=2
	s_or_b32 exec_lo, exec_lo, s26
	v_cmp_lt_u32_e64 s26, v75, v141
	s_and_saveexec_b32 s27, s26
	s_cbranch_execnz .LBB1010_1199
.LBB1010_1127:                          ;   in Loop: Header=BB1010_1032 Depth=2
	s_or_b32 exec_lo, exec_lo, s27
	v_cmp_lt_u32_e64 s27, v76, v141
	s_and_saveexec_b32 s28, s27
	s_cbranch_execnz .LBB1010_1200
.LBB1010_1128:                          ;   in Loop: Header=BB1010_1032 Depth=2
	s_or_b32 exec_lo, exec_lo, s28
	v_cmp_lt_u32_e64 s28, v77, v141
	s_and_saveexec_b32 s29, s28
	s_cbranch_execnz .LBB1010_1201
.LBB1010_1129:                          ;   in Loop: Header=BB1010_1032 Depth=2
	s_or_b32 exec_lo, exec_lo, s29
	v_cmp_lt_u32_e64 s29, v78, v141
	s_and_saveexec_b32 s30, s29
	s_cbranch_execnz .LBB1010_1202
.LBB1010_1130:                          ;   in Loop: Header=BB1010_1032 Depth=2
	s_or_b32 exec_lo, exec_lo, s30
	v_cmp_lt_u32_e64 s30, v79, v141
	s_and_saveexec_b32 s31, s30
	s_cbranch_execnz .LBB1010_1203
.LBB1010_1131:                          ;   in Loop: Header=BB1010_1032 Depth=2
	s_or_b32 exec_lo, exec_lo, s31
	v_cmp_lt_u32_e64 s31, v80, v141
	s_and_saveexec_b32 s33, s31
	s_cbranch_execnz .LBB1010_1204
.LBB1010_1132:                          ;   in Loop: Header=BB1010_1032 Depth=2
	s_or_b32 exec_lo, exec_lo, s33
	v_cmp_lt_u32_e64 s33, v81, v141
	s_and_saveexec_b32 s60, s33
	s_cbranch_execz .LBB1010_1134
.LBB1010_1133:                          ;   in Loop: Header=BB1010_1032 Depth=2
	ds_load_u16 v62, v94 offset:8704
	s_wait_dscnt 0x0
	v_and_b32_e32 v63, 0xffff, v62
	v_xor_b32_e32 v62, 0xffff8000, v62
	s_delay_alu instid0(VALU_DEP_2) | instskip(NEXT) | instid1(VALU_DEP_1)
	v_lshrrev_b32_e32 v63, s49, v63
	v_and_b32_e32 v63, s48, v63
	s_delay_alu instid0(VALU_DEP_1)
	v_lshlrev_b32_e32 v63, 2, v63
	ds_load_b32 v63, v63
	s_wait_dscnt 0x0
	v_add_nc_u32_e32 v63, v63, v81
	global_store_b16 v63, v62, s[40:41] scale_offset
.LBB1010_1134:                          ;   in Loop: Header=BB1010_1032 Depth=2
	s_wait_xcnt 0x0
	s_or_b32 exec_lo, exec_lo, s60
	v_lshl_add_u64 v[62:63], s[34:35], 3, v[24:25]
	v_cmp_lt_u32_e64 s34, v102, v141
	s_and_saveexec_b32 s60, s34
	s_delay_alu instid0(SALU_CYCLE_1)
	s_xor_b32 s34, exec_lo, s60
	s_cbranch_execnz .LBB1010_1205
; %bb.1135:                             ;   in Loop: Header=BB1010_1032 Depth=2
	s_or_b32 exec_lo, exec_lo, s34
	s_delay_alu instid0(SALU_CYCLE_1)
	s_mov_b32 s60, exec_lo
	v_cmpx_lt_u32_e64 v105, v141
	s_cbranch_execnz .LBB1010_1206
.LBB1010_1136:                          ;   in Loop: Header=BB1010_1032 Depth=2
	s_or_b32 exec_lo, exec_lo, s60
	s_delay_alu instid0(SALU_CYCLE_1)
	s_mov_b32 s60, exec_lo
	v_cmpx_lt_u32_e64 v106, v141
	s_cbranch_execnz .LBB1010_1207
.LBB1010_1137:                          ;   in Loop: Header=BB1010_1032 Depth=2
	s_or_b32 exec_lo, exec_lo, s60
	s_delay_alu instid0(SALU_CYCLE_1)
	s_mov_b32 s60, exec_lo
	v_cmpx_lt_u32_e64 v107, v141
	s_cbranch_execnz .LBB1010_1208
.LBB1010_1138:                          ;   in Loop: Header=BB1010_1032 Depth=2
	s_or_b32 exec_lo, exec_lo, s60
	s_delay_alu instid0(SALU_CYCLE_1)
	s_mov_b32 s60, exec_lo
	v_cmpx_lt_u32_e64 v108, v141
	s_cbranch_execnz .LBB1010_1209
.LBB1010_1139:                          ;   in Loop: Header=BB1010_1032 Depth=2
	s_or_b32 exec_lo, exec_lo, s60
	s_delay_alu instid0(SALU_CYCLE_1)
	s_mov_b32 s60, exec_lo
	v_cmpx_lt_u32_e64 v109, v141
	s_cbranch_execnz .LBB1010_1210
.LBB1010_1140:                          ;   in Loop: Header=BB1010_1032 Depth=2
	s_or_b32 exec_lo, exec_lo, s60
	s_delay_alu instid0(SALU_CYCLE_1)
	s_mov_b32 s60, exec_lo
	v_cmpx_lt_u32_e64 v110, v141
	s_cbranch_execnz .LBB1010_1211
.LBB1010_1141:                          ;   in Loop: Header=BB1010_1032 Depth=2
	s_or_b32 exec_lo, exec_lo, s60
	s_delay_alu instid0(SALU_CYCLE_1)
	s_mov_b32 s60, exec_lo
	v_cmpx_lt_u32_e64 v111, v141
	s_cbranch_execnz .LBB1010_1212
.LBB1010_1142:                          ;   in Loop: Header=BB1010_1032 Depth=2
	s_or_b32 exec_lo, exec_lo, s60
	s_delay_alu instid0(SALU_CYCLE_1)
	s_mov_b32 s60, exec_lo
	v_cmpx_lt_u32_e64 v112, v141
	s_cbranch_execnz .LBB1010_1213
.LBB1010_1143:                          ;   in Loop: Header=BB1010_1032 Depth=2
	s_or_b32 exec_lo, exec_lo, s60
	s_delay_alu instid0(SALU_CYCLE_1)
	s_mov_b32 s60, exec_lo
	v_cmpx_lt_u32_e64 v113, v141
	s_cbranch_execnz .LBB1010_1214
.LBB1010_1144:                          ;   in Loop: Header=BB1010_1032 Depth=2
	s_or_b32 exec_lo, exec_lo, s60
	s_delay_alu instid0(SALU_CYCLE_1)
	s_mov_b32 s60, exec_lo
	v_cmpx_lt_u32_e64 v114, v141
	s_cbranch_execnz .LBB1010_1215
.LBB1010_1145:                          ;   in Loop: Header=BB1010_1032 Depth=2
	s_or_b32 exec_lo, exec_lo, s60
	s_delay_alu instid0(SALU_CYCLE_1)
	s_mov_b32 s60, exec_lo
	v_cmpx_lt_u32_e64 v115, v141
	s_cbranch_execnz .LBB1010_1216
.LBB1010_1146:                          ;   in Loop: Header=BB1010_1032 Depth=2
	s_or_b32 exec_lo, exec_lo, s60
	s_delay_alu instid0(SALU_CYCLE_1)
	s_mov_b32 s60, exec_lo
	v_cmpx_lt_u32_e64 v116, v141
	s_cbranch_execnz .LBB1010_1217
.LBB1010_1147:                          ;   in Loop: Header=BB1010_1032 Depth=2
	s_or_b32 exec_lo, exec_lo, s60
	s_delay_alu instid0(SALU_CYCLE_1)
	s_mov_b32 s60, exec_lo
	v_cmpx_lt_u32_e64 v117, v141
	s_cbranch_execnz .LBB1010_1218
.LBB1010_1148:                          ;   in Loop: Header=BB1010_1032 Depth=2
	s_or_b32 exec_lo, exec_lo, s60
	s_delay_alu instid0(SALU_CYCLE_1)
	s_mov_b32 s60, exec_lo
	v_cmpx_lt_u32_e64 v118, v141
	s_cbranch_execnz .LBB1010_1219
.LBB1010_1149:                          ;   in Loop: Header=BB1010_1032 Depth=2
	s_or_b32 exec_lo, exec_lo, s60
	s_delay_alu instid0(SALU_CYCLE_1)
	s_mov_b32 s60, exec_lo
	v_cmpx_lt_u32_e64 v119, v141
	s_cbranch_execnz .LBB1010_1220
.LBB1010_1150:                          ;   in Loop: Header=BB1010_1032 Depth=2
	s_or_b32 exec_lo, exec_lo, s60
	s_delay_alu instid0(SALU_CYCLE_1)
	s_mov_b32 s60, exec_lo
	v_cmpx_lt_u32_e64 v120, v141
	s_cbranch_execnz .LBB1010_1221
.LBB1010_1151:                          ;   in Loop: Header=BB1010_1032 Depth=2
	s_or_b32 exec_lo, exec_lo, s60
	s_and_saveexec_b32 s34, vcc_lo
	s_cbranch_execnz .LBB1010_1222
.LBB1010_1152:                          ;   in Loop: Header=BB1010_1032 Depth=2
	s_or_b32 exec_lo, exec_lo, s34
	s_and_saveexec_b32 s34, s17
	s_cbranch_execnz .LBB1010_1223
.LBB1010_1153:                          ;   in Loop: Header=BB1010_1032 Depth=2
	s_or_b32 exec_lo, exec_lo, s34
	s_and_saveexec_b32 s34, s18
	s_cbranch_execnz .LBB1010_1224
.LBB1010_1154:                          ;   in Loop: Header=BB1010_1032 Depth=2
	s_or_b32 exec_lo, exec_lo, s34
	s_and_saveexec_b32 s34, s19
	s_cbranch_execnz .LBB1010_1225
.LBB1010_1155:                          ;   in Loop: Header=BB1010_1032 Depth=2
	s_or_b32 exec_lo, exec_lo, s34
	s_and_saveexec_b32 s34, s20
	s_cbranch_execnz .LBB1010_1226
.LBB1010_1156:                          ;   in Loop: Header=BB1010_1032 Depth=2
	s_or_b32 exec_lo, exec_lo, s34
	s_and_saveexec_b32 s34, s21
	s_cbranch_execnz .LBB1010_1227
.LBB1010_1157:                          ;   in Loop: Header=BB1010_1032 Depth=2
	s_or_b32 exec_lo, exec_lo, s34
	s_and_saveexec_b32 s34, s22
	s_cbranch_execnz .LBB1010_1228
.LBB1010_1158:                          ;   in Loop: Header=BB1010_1032 Depth=2
	s_or_b32 exec_lo, exec_lo, s34
	s_and_saveexec_b32 s34, s23
	s_cbranch_execnz .LBB1010_1229
.LBB1010_1159:                          ;   in Loop: Header=BB1010_1032 Depth=2
	s_or_b32 exec_lo, exec_lo, s34
	s_and_saveexec_b32 s34, s24
	s_cbranch_execnz .LBB1010_1230
.LBB1010_1160:                          ;   in Loop: Header=BB1010_1032 Depth=2
	s_or_b32 exec_lo, exec_lo, s34
	s_and_saveexec_b32 s34, s25
	s_cbranch_execnz .LBB1010_1231
.LBB1010_1161:                          ;   in Loop: Header=BB1010_1032 Depth=2
	s_or_b32 exec_lo, exec_lo, s34
	s_and_saveexec_b32 s34, s26
	s_cbranch_execnz .LBB1010_1232
.LBB1010_1162:                          ;   in Loop: Header=BB1010_1032 Depth=2
	s_or_b32 exec_lo, exec_lo, s34
	s_and_saveexec_b32 s34, s27
	s_cbranch_execnz .LBB1010_1233
.LBB1010_1163:                          ;   in Loop: Header=BB1010_1032 Depth=2
	s_or_b32 exec_lo, exec_lo, s34
	s_and_saveexec_b32 s34, s28
	s_cbranch_execnz .LBB1010_1234
.LBB1010_1164:                          ;   in Loop: Header=BB1010_1032 Depth=2
	s_or_b32 exec_lo, exec_lo, s34
	s_and_saveexec_b32 s34, s29
	s_cbranch_execnz .LBB1010_1235
.LBB1010_1165:                          ;   in Loop: Header=BB1010_1032 Depth=2
	s_or_b32 exec_lo, exec_lo, s34
	s_and_saveexec_b32 s34, s30
	s_cbranch_execnz .LBB1010_1236
.LBB1010_1166:                          ;   in Loop: Header=BB1010_1032 Depth=2
	s_or_b32 exec_lo, exec_lo, s34
	s_and_saveexec_b32 s34, s31
	s_cbranch_execnz .LBB1010_1237
.LBB1010_1167:                          ;   in Loop: Header=BB1010_1032 Depth=2
	s_or_b32 exec_lo, exec_lo, s34
	s_and_saveexec_b32 s34, s33
	s_cbranch_execz .LBB1010_1169
.LBB1010_1168:                          ;   in Loop: Header=BB1010_1032 Depth=2
	ds_load_u16 v62, v94 offset:8704
	s_wait_dscnt 0x0
	v_lshrrev_b32_e32 v62, s49, v62
	s_delay_alu instid0(VALU_DEP_1)
	v_and_b32_e32 v122, s48, v62
.LBB1010_1169:                          ;   in Loop: Header=BB1010_1032 Depth=2
	s_or_b32 exec_lo, exec_lo, s34
	v_dual_lshlrev_b32 v62, 3, v165 :: v_dual_lshlrev_b32 v63, 3, v164
	s_wait_loadcnt 0x0
	s_wait_storecnt 0x0
	s_barrier_signal -1
	s_barrier_wait -1
	ds_store_b64 v62, v[60:61] offset:512
	ds_store_b64 v63, v[58:59] offset:512
	v_dual_lshlrev_b32 v62, 3, v161 :: v_dual_lshlrev_b32 v63, 3, v159
	v_dual_lshlrev_b32 v141, 3, v158 :: v_dual_lshlrev_b32 v142, 3, v157
	v_lshlrev_b32_e32 v143, 3, v156
	ds_store_b64 v62, v[56:57] offset:512
	ds_store_b64 v63, v[54:55] offset:512
	ds_store_b64 v141, v[52:53] offset:512
	ds_store_b64 v142, v[50:51] offset:512
	ds_store_b64 v143, v[48:49] offset:512
	v_dual_lshlrev_b32 v62, 3, v154 :: v_dual_lshlrev_b32 v63, 3, v153
	v_dual_lshlrev_b32 v141, 3, v152 :: v_dual_lshlrev_b32 v142, 3, v150
	v_lshlrev_b32_e32 v143, 3, v149
	ds_store_b64 v62, v[46:47] offset:512
	ds_store_b64 v63, v[44:45] offset:512
	ds_store_b64 v141, v[42:43] offset:512
	;; [unrolled: 8-line block ×3, first 2 shown]
	ds_store_b64 v65, v[30:31] offset:512
	ds_store_b64 v141, v[28:29] offset:512
	v_add_nc_u32_e32 v62, v94, v95
	s_wait_dscnt 0x0
	s_barrier_signal -1
	s_barrier_wait -1
	s_and_saveexec_b32 s34, vcc_lo
	s_cbranch_execnz .LBB1010_1238
; %bb.1170:                             ;   in Loop: Header=BB1010_1032 Depth=2
	s_or_b32 exec_lo, exec_lo, s34
	s_and_saveexec_b32 s34, s17
	s_cbranch_execnz .LBB1010_1239
.LBB1010_1171:                          ;   in Loop: Header=BB1010_1032 Depth=2
	s_or_b32 exec_lo, exec_lo, s34
	s_and_saveexec_b32 s17, s18
	s_cbranch_execnz .LBB1010_1240
.LBB1010_1172:                          ;   in Loop: Header=BB1010_1032 Depth=2
	s_or_b32 exec_lo, exec_lo, s17
	s_and_saveexec_b32 s17, s19
	s_cbranch_execnz .LBB1010_1241
.LBB1010_1173:                          ;   in Loop: Header=BB1010_1032 Depth=2
	s_or_b32 exec_lo, exec_lo, s17
	s_and_saveexec_b32 s17, s20
	s_cbranch_execnz .LBB1010_1242
.LBB1010_1174:                          ;   in Loop: Header=BB1010_1032 Depth=2
	s_or_b32 exec_lo, exec_lo, s17
	s_and_saveexec_b32 s17, s21
	s_cbranch_execnz .LBB1010_1243
.LBB1010_1175:                          ;   in Loop: Header=BB1010_1032 Depth=2
	s_or_b32 exec_lo, exec_lo, s17
	s_and_saveexec_b32 s17, s22
	s_cbranch_execnz .LBB1010_1244
.LBB1010_1176:                          ;   in Loop: Header=BB1010_1032 Depth=2
	s_or_b32 exec_lo, exec_lo, s17
	s_and_saveexec_b32 s17, s23
	s_cbranch_execnz .LBB1010_1245
.LBB1010_1177:                          ;   in Loop: Header=BB1010_1032 Depth=2
	s_or_b32 exec_lo, exec_lo, s17
	s_and_saveexec_b32 s17, s24
	s_cbranch_execnz .LBB1010_1246
.LBB1010_1178:                          ;   in Loop: Header=BB1010_1032 Depth=2
	s_or_b32 exec_lo, exec_lo, s17
	s_and_saveexec_b32 s17, s25
	s_cbranch_execnz .LBB1010_1247
.LBB1010_1179:                          ;   in Loop: Header=BB1010_1032 Depth=2
	s_or_b32 exec_lo, exec_lo, s17
	s_and_saveexec_b32 s17, s26
	s_cbranch_execnz .LBB1010_1248
.LBB1010_1180:                          ;   in Loop: Header=BB1010_1032 Depth=2
	s_or_b32 exec_lo, exec_lo, s17
	s_and_saveexec_b32 s17, s27
	s_cbranch_execnz .LBB1010_1249
.LBB1010_1181:                          ;   in Loop: Header=BB1010_1032 Depth=2
	s_or_b32 exec_lo, exec_lo, s17
	s_and_saveexec_b32 s17, s28
	s_cbranch_execnz .LBB1010_1250
.LBB1010_1182:                          ;   in Loop: Header=BB1010_1032 Depth=2
	s_or_b32 exec_lo, exec_lo, s17
	s_and_saveexec_b32 s17, s29
	s_cbranch_execnz .LBB1010_1251
.LBB1010_1183:                          ;   in Loop: Header=BB1010_1032 Depth=2
	s_or_b32 exec_lo, exec_lo, s17
	s_and_saveexec_b32 s17, s30
	s_cbranch_execnz .LBB1010_1252
.LBB1010_1184:                          ;   in Loop: Header=BB1010_1032 Depth=2
	s_or_b32 exec_lo, exec_lo, s17
	s_and_saveexec_b32 s17, s31
	s_cbranch_execnz .LBB1010_1253
.LBB1010_1185:                          ;   in Loop: Header=BB1010_1032 Depth=2
	s_or_b32 exec_lo, exec_lo, s17
	s_and_saveexec_b32 s17, s33
	s_cbranch_execz .LBB1010_1187
.LBB1010_1186:                          ;   in Loop: Header=BB1010_1032 Depth=2
	v_lshlrev_b32_e32 v63, 2, v122
	ds_load_b32 v64, v63
	ds_load_b64 v[62:63], v62 offset:33280
	s_wait_dscnt 0x1
	v_add_nc_u32_e32 v64, v64, v81
	s_wait_dscnt 0x0
	global_store_b64 v64, v[62:63], s[46:47] scale_offset
.LBB1010_1187:                          ;   in Loop: Header=BB1010_1032 Depth=2
	s_wait_xcnt 0x0
	s_or_b32 exec_lo, exec_lo, s17
	s_wait_storecnt 0x0
	s_barrier_signal -1
	s_barrier_wait -1
	s_and_saveexec_b32 s17, s0
	s_cbranch_execz .LBB1010_1031
; %bb.1188:                             ;   in Loop: Header=BB1010_1032 Depth=2
	ds_load_b32 v62, v3
	s_wait_dscnt 0x0
	v_add3_u32 v62, v137, v140, v62
	ds_store_b32 v3, v62
	s_branch .LBB1010_1031
.LBB1010_1189:                          ;   in Loop: Header=BB1010_1032 Depth=2
	ds_load_u16 v62, v94 offset:512
	s_wait_dscnt 0x0
	v_and_b32_e32 v63, 0xffff, v62
	v_xor_b32_e32 v62, 0xffff8000, v62
	s_delay_alu instid0(VALU_DEP_2) | instskip(NEXT) | instid1(VALU_DEP_1)
	v_lshrrev_b32_e32 v63, s49, v63
	v_and_b32_e32 v63, s48, v63
	s_delay_alu instid0(VALU_DEP_1)
	v_lshlrev_b32_e32 v63, 2, v63
	ds_load_b32 v63, v63
	s_wait_dscnt 0x0
	v_add_nc_u32_e32 v63, v63, v2
	global_store_b16 v63, v62, s[40:41] scale_offset
	s_wait_xcnt 0x0
	s_or_b32 exec_lo, exec_lo, s17
	v_cmp_lt_u32_e64 s17, v66, v141
	s_and_saveexec_b32 s18, s17
	s_cbranch_execz .LBB1010_1118
.LBB1010_1190:                          ;   in Loop: Header=BB1010_1032 Depth=2
	ds_load_u16 v62, v94 offset:1024
	s_wait_dscnt 0x0
	v_and_b32_e32 v63, 0xffff, v62
	v_xor_b32_e32 v62, 0xffff8000, v62
	s_delay_alu instid0(VALU_DEP_2) | instskip(NEXT) | instid1(VALU_DEP_1)
	v_lshrrev_b32_e32 v63, s49, v63
	v_and_b32_e32 v63, s48, v63
	s_delay_alu instid0(VALU_DEP_1)
	v_lshlrev_b32_e32 v63, 2, v63
	ds_load_b32 v63, v63
	s_wait_dscnt 0x0
	v_add_nc_u32_e32 v63, v63, v66
	global_store_b16 v63, v62, s[40:41] scale_offset
	s_wait_xcnt 0x0
	s_or_b32 exec_lo, exec_lo, s18
	v_cmp_lt_u32_e64 s18, v67, v141
	s_and_saveexec_b32 s19, s18
	s_cbranch_execz .LBB1010_1119
.LBB1010_1191:                          ;   in Loop: Header=BB1010_1032 Depth=2
	ds_load_u16 v62, v94 offset:1536
	s_wait_dscnt 0x0
	v_and_b32_e32 v63, 0xffff, v62
	v_xor_b32_e32 v62, 0xffff8000, v62
	s_delay_alu instid0(VALU_DEP_2) | instskip(NEXT) | instid1(VALU_DEP_1)
	v_lshrrev_b32_e32 v63, s49, v63
	v_and_b32_e32 v63, s48, v63
	s_delay_alu instid0(VALU_DEP_1)
	v_lshlrev_b32_e32 v63, 2, v63
	ds_load_b32 v63, v63
	s_wait_dscnt 0x0
	v_add_nc_u32_e32 v63, v63, v67
	global_store_b16 v63, v62, s[40:41] scale_offset
	s_wait_xcnt 0x0
	s_or_b32 exec_lo, exec_lo, s19
	v_cmp_lt_u32_e64 s19, v68, v141
	s_and_saveexec_b32 s20, s19
	s_cbranch_execz .LBB1010_1120
.LBB1010_1192:                          ;   in Loop: Header=BB1010_1032 Depth=2
	ds_load_u16 v62, v94 offset:2048
	s_wait_dscnt 0x0
	v_and_b32_e32 v63, 0xffff, v62
	v_xor_b32_e32 v62, 0xffff8000, v62
	s_delay_alu instid0(VALU_DEP_2) | instskip(NEXT) | instid1(VALU_DEP_1)
	v_lshrrev_b32_e32 v63, s49, v63
	v_and_b32_e32 v63, s48, v63
	s_delay_alu instid0(VALU_DEP_1)
	v_lshlrev_b32_e32 v63, 2, v63
	ds_load_b32 v63, v63
	s_wait_dscnt 0x0
	v_add_nc_u32_e32 v63, v63, v68
	global_store_b16 v63, v62, s[40:41] scale_offset
	s_wait_xcnt 0x0
	s_or_b32 exec_lo, exec_lo, s20
	v_cmp_lt_u32_e64 s20, v69, v141
	s_and_saveexec_b32 s21, s20
	s_cbranch_execz .LBB1010_1121
.LBB1010_1193:                          ;   in Loop: Header=BB1010_1032 Depth=2
	ds_load_u16 v62, v94 offset:2560
	s_wait_dscnt 0x0
	v_and_b32_e32 v63, 0xffff, v62
	v_xor_b32_e32 v62, 0xffff8000, v62
	s_delay_alu instid0(VALU_DEP_2) | instskip(NEXT) | instid1(VALU_DEP_1)
	v_lshrrev_b32_e32 v63, s49, v63
	v_and_b32_e32 v63, s48, v63
	s_delay_alu instid0(VALU_DEP_1)
	v_lshlrev_b32_e32 v63, 2, v63
	ds_load_b32 v63, v63
	s_wait_dscnt 0x0
	v_add_nc_u32_e32 v63, v63, v69
	global_store_b16 v63, v62, s[40:41] scale_offset
	s_wait_xcnt 0x0
	s_or_b32 exec_lo, exec_lo, s21
	v_cmp_lt_u32_e64 s21, v70, v141
	s_and_saveexec_b32 s22, s21
	s_cbranch_execz .LBB1010_1122
.LBB1010_1194:                          ;   in Loop: Header=BB1010_1032 Depth=2
	ds_load_u16 v62, v94 offset:3072
	s_wait_dscnt 0x0
	v_and_b32_e32 v63, 0xffff, v62
	v_xor_b32_e32 v62, 0xffff8000, v62
	s_delay_alu instid0(VALU_DEP_2) | instskip(NEXT) | instid1(VALU_DEP_1)
	v_lshrrev_b32_e32 v63, s49, v63
	v_and_b32_e32 v63, s48, v63
	s_delay_alu instid0(VALU_DEP_1)
	v_lshlrev_b32_e32 v63, 2, v63
	ds_load_b32 v63, v63
	s_wait_dscnt 0x0
	v_add_nc_u32_e32 v63, v63, v70
	global_store_b16 v63, v62, s[40:41] scale_offset
	s_wait_xcnt 0x0
	s_or_b32 exec_lo, exec_lo, s22
	v_cmp_lt_u32_e64 s22, v71, v141
	s_and_saveexec_b32 s23, s22
	s_cbranch_execz .LBB1010_1123
.LBB1010_1195:                          ;   in Loop: Header=BB1010_1032 Depth=2
	ds_load_u16 v62, v94 offset:3584
	s_wait_dscnt 0x0
	v_and_b32_e32 v63, 0xffff, v62
	v_xor_b32_e32 v62, 0xffff8000, v62
	s_delay_alu instid0(VALU_DEP_2) | instskip(NEXT) | instid1(VALU_DEP_1)
	v_lshrrev_b32_e32 v63, s49, v63
	v_and_b32_e32 v63, s48, v63
	s_delay_alu instid0(VALU_DEP_1)
	v_lshlrev_b32_e32 v63, 2, v63
	ds_load_b32 v63, v63
	s_wait_dscnt 0x0
	v_add_nc_u32_e32 v63, v63, v71
	global_store_b16 v63, v62, s[40:41] scale_offset
	s_wait_xcnt 0x0
	s_or_b32 exec_lo, exec_lo, s23
	v_cmp_lt_u32_e64 s23, v72, v141
	s_and_saveexec_b32 s24, s23
	s_cbranch_execz .LBB1010_1124
.LBB1010_1196:                          ;   in Loop: Header=BB1010_1032 Depth=2
	ds_load_u16 v62, v94 offset:4096
	s_wait_dscnt 0x0
	v_and_b32_e32 v63, 0xffff, v62
	v_xor_b32_e32 v62, 0xffff8000, v62
	s_delay_alu instid0(VALU_DEP_2) | instskip(NEXT) | instid1(VALU_DEP_1)
	v_lshrrev_b32_e32 v63, s49, v63
	v_and_b32_e32 v63, s48, v63
	s_delay_alu instid0(VALU_DEP_1)
	v_lshlrev_b32_e32 v63, 2, v63
	ds_load_b32 v63, v63
	s_wait_dscnt 0x0
	v_add_nc_u32_e32 v63, v63, v72
	global_store_b16 v63, v62, s[40:41] scale_offset
	s_wait_xcnt 0x0
	s_or_b32 exec_lo, exec_lo, s24
	v_cmp_lt_u32_e64 s24, v73, v141
	s_and_saveexec_b32 s25, s24
	s_cbranch_execz .LBB1010_1125
.LBB1010_1197:                          ;   in Loop: Header=BB1010_1032 Depth=2
	ds_load_u16 v62, v94 offset:4608
	s_wait_dscnt 0x0
	v_and_b32_e32 v63, 0xffff, v62
	v_xor_b32_e32 v62, 0xffff8000, v62
	s_delay_alu instid0(VALU_DEP_2) | instskip(NEXT) | instid1(VALU_DEP_1)
	v_lshrrev_b32_e32 v63, s49, v63
	v_and_b32_e32 v63, s48, v63
	s_delay_alu instid0(VALU_DEP_1)
	v_lshlrev_b32_e32 v63, 2, v63
	ds_load_b32 v63, v63
	s_wait_dscnt 0x0
	v_add_nc_u32_e32 v63, v63, v73
	global_store_b16 v63, v62, s[40:41] scale_offset
	s_wait_xcnt 0x0
	s_or_b32 exec_lo, exec_lo, s25
	v_cmp_lt_u32_e64 s25, v74, v141
	s_and_saveexec_b32 s26, s25
	s_cbranch_execz .LBB1010_1126
.LBB1010_1198:                          ;   in Loop: Header=BB1010_1032 Depth=2
	ds_load_u16 v62, v94 offset:5120
	s_wait_dscnt 0x0
	v_and_b32_e32 v63, 0xffff, v62
	v_xor_b32_e32 v62, 0xffff8000, v62
	s_delay_alu instid0(VALU_DEP_2) | instskip(NEXT) | instid1(VALU_DEP_1)
	v_lshrrev_b32_e32 v63, s49, v63
	v_and_b32_e32 v63, s48, v63
	s_delay_alu instid0(VALU_DEP_1)
	v_lshlrev_b32_e32 v63, 2, v63
	ds_load_b32 v63, v63
	s_wait_dscnt 0x0
	v_add_nc_u32_e32 v63, v63, v74
	global_store_b16 v63, v62, s[40:41] scale_offset
	s_wait_xcnt 0x0
	s_or_b32 exec_lo, exec_lo, s26
	v_cmp_lt_u32_e64 s26, v75, v141
	s_and_saveexec_b32 s27, s26
	s_cbranch_execz .LBB1010_1127
.LBB1010_1199:                          ;   in Loop: Header=BB1010_1032 Depth=2
	ds_load_u16 v62, v94 offset:5632
	s_wait_dscnt 0x0
	v_and_b32_e32 v63, 0xffff, v62
	v_xor_b32_e32 v62, 0xffff8000, v62
	s_delay_alu instid0(VALU_DEP_2) | instskip(NEXT) | instid1(VALU_DEP_1)
	v_lshrrev_b32_e32 v63, s49, v63
	v_and_b32_e32 v63, s48, v63
	s_delay_alu instid0(VALU_DEP_1)
	v_lshlrev_b32_e32 v63, 2, v63
	ds_load_b32 v63, v63
	s_wait_dscnt 0x0
	v_add_nc_u32_e32 v63, v63, v75
	global_store_b16 v63, v62, s[40:41] scale_offset
	s_wait_xcnt 0x0
	s_or_b32 exec_lo, exec_lo, s27
	v_cmp_lt_u32_e64 s27, v76, v141
	s_and_saveexec_b32 s28, s27
	s_cbranch_execz .LBB1010_1128
.LBB1010_1200:                          ;   in Loop: Header=BB1010_1032 Depth=2
	ds_load_u16 v62, v94 offset:6144
	s_wait_dscnt 0x0
	v_and_b32_e32 v63, 0xffff, v62
	v_xor_b32_e32 v62, 0xffff8000, v62
	s_delay_alu instid0(VALU_DEP_2) | instskip(NEXT) | instid1(VALU_DEP_1)
	v_lshrrev_b32_e32 v63, s49, v63
	v_and_b32_e32 v63, s48, v63
	s_delay_alu instid0(VALU_DEP_1)
	v_lshlrev_b32_e32 v63, 2, v63
	ds_load_b32 v63, v63
	s_wait_dscnt 0x0
	v_add_nc_u32_e32 v63, v63, v76
	global_store_b16 v63, v62, s[40:41] scale_offset
	s_wait_xcnt 0x0
	s_or_b32 exec_lo, exec_lo, s28
	v_cmp_lt_u32_e64 s28, v77, v141
	s_and_saveexec_b32 s29, s28
	s_cbranch_execz .LBB1010_1129
.LBB1010_1201:                          ;   in Loop: Header=BB1010_1032 Depth=2
	ds_load_u16 v62, v94 offset:6656
	s_wait_dscnt 0x0
	v_and_b32_e32 v63, 0xffff, v62
	v_xor_b32_e32 v62, 0xffff8000, v62
	s_delay_alu instid0(VALU_DEP_2) | instskip(NEXT) | instid1(VALU_DEP_1)
	v_lshrrev_b32_e32 v63, s49, v63
	v_and_b32_e32 v63, s48, v63
	s_delay_alu instid0(VALU_DEP_1)
	v_lshlrev_b32_e32 v63, 2, v63
	ds_load_b32 v63, v63
	s_wait_dscnt 0x0
	v_add_nc_u32_e32 v63, v63, v77
	global_store_b16 v63, v62, s[40:41] scale_offset
	s_wait_xcnt 0x0
	s_or_b32 exec_lo, exec_lo, s29
	v_cmp_lt_u32_e64 s29, v78, v141
	s_and_saveexec_b32 s30, s29
	s_cbranch_execz .LBB1010_1130
.LBB1010_1202:                          ;   in Loop: Header=BB1010_1032 Depth=2
	ds_load_u16 v62, v94 offset:7168
	s_wait_dscnt 0x0
	v_and_b32_e32 v63, 0xffff, v62
	v_xor_b32_e32 v62, 0xffff8000, v62
	s_delay_alu instid0(VALU_DEP_2) | instskip(NEXT) | instid1(VALU_DEP_1)
	v_lshrrev_b32_e32 v63, s49, v63
	v_and_b32_e32 v63, s48, v63
	s_delay_alu instid0(VALU_DEP_1)
	v_lshlrev_b32_e32 v63, 2, v63
	ds_load_b32 v63, v63
	s_wait_dscnt 0x0
	v_add_nc_u32_e32 v63, v63, v78
	global_store_b16 v63, v62, s[40:41] scale_offset
	s_wait_xcnt 0x0
	s_or_b32 exec_lo, exec_lo, s30
	v_cmp_lt_u32_e64 s30, v79, v141
	s_and_saveexec_b32 s31, s30
	s_cbranch_execz .LBB1010_1131
.LBB1010_1203:                          ;   in Loop: Header=BB1010_1032 Depth=2
	ds_load_u16 v62, v94 offset:7680
	s_wait_dscnt 0x0
	v_and_b32_e32 v63, 0xffff, v62
	v_xor_b32_e32 v62, 0xffff8000, v62
	s_delay_alu instid0(VALU_DEP_2) | instskip(NEXT) | instid1(VALU_DEP_1)
	v_lshrrev_b32_e32 v63, s49, v63
	v_and_b32_e32 v63, s48, v63
	s_delay_alu instid0(VALU_DEP_1)
	v_lshlrev_b32_e32 v63, 2, v63
	ds_load_b32 v63, v63
	s_wait_dscnt 0x0
	v_add_nc_u32_e32 v63, v63, v79
	global_store_b16 v63, v62, s[40:41] scale_offset
	s_wait_xcnt 0x0
	s_or_b32 exec_lo, exec_lo, s31
	v_cmp_lt_u32_e64 s31, v80, v141
	s_and_saveexec_b32 s33, s31
	s_cbranch_execz .LBB1010_1132
.LBB1010_1204:                          ;   in Loop: Header=BB1010_1032 Depth=2
	ds_load_u16 v62, v94 offset:8192
	s_wait_dscnt 0x0
	v_and_b32_e32 v63, 0xffff, v62
	v_xor_b32_e32 v62, 0xffff8000, v62
	s_delay_alu instid0(VALU_DEP_2) | instskip(NEXT) | instid1(VALU_DEP_1)
	v_lshrrev_b32_e32 v63, s49, v63
	v_and_b32_e32 v63, s48, v63
	s_delay_alu instid0(VALU_DEP_1)
	v_lshlrev_b32_e32 v63, 2, v63
	ds_load_b32 v63, v63
	s_wait_dscnt 0x0
	v_add_nc_u32_e32 v63, v63, v80
	global_store_b16 v63, v62, s[40:41] scale_offset
	s_wait_xcnt 0x0
	s_or_b32 exec_lo, exec_lo, s33
	v_cmp_lt_u32_e64 s33, v81, v141
	s_and_saveexec_b32 s60, s33
	s_cbranch_execnz .LBB1010_1133
	s_branch .LBB1010_1134
.LBB1010_1205:                          ;   in Loop: Header=BB1010_1032 Depth=2
	global_load_b64 v[60:61], v[62:63], off
	s_wait_xcnt 0x0
	s_or_b32 exec_lo, exec_lo, s34
	s_delay_alu instid0(SALU_CYCLE_1)
	s_mov_b32 s60, exec_lo
	v_cmpx_lt_u32_e64 v105, v141
	s_cbranch_execz .LBB1010_1136
.LBB1010_1206:                          ;   in Loop: Header=BB1010_1032 Depth=2
	global_load_b64 v[58:59], v[62:63], off offset:256
	s_wait_xcnt 0x0
	s_or_b32 exec_lo, exec_lo, s60
	s_delay_alu instid0(SALU_CYCLE_1)
	s_mov_b32 s60, exec_lo
	v_cmpx_lt_u32_e64 v106, v141
	s_cbranch_execz .LBB1010_1137
.LBB1010_1207:                          ;   in Loop: Header=BB1010_1032 Depth=2
	global_load_b64 v[56:57], v[62:63], off offset:512
	s_wait_xcnt 0x0
	s_or_b32 exec_lo, exec_lo, s60
	s_delay_alu instid0(SALU_CYCLE_1)
	s_mov_b32 s60, exec_lo
	v_cmpx_lt_u32_e64 v107, v141
	s_cbranch_execz .LBB1010_1138
.LBB1010_1208:                          ;   in Loop: Header=BB1010_1032 Depth=2
	global_load_b64 v[54:55], v[62:63], off offset:768
	s_wait_xcnt 0x0
	s_or_b32 exec_lo, exec_lo, s60
	s_delay_alu instid0(SALU_CYCLE_1)
	s_mov_b32 s60, exec_lo
	v_cmpx_lt_u32_e64 v108, v141
	s_cbranch_execz .LBB1010_1139
.LBB1010_1209:                          ;   in Loop: Header=BB1010_1032 Depth=2
	global_load_b64 v[52:53], v[62:63], off offset:1024
	s_wait_xcnt 0x0
	s_or_b32 exec_lo, exec_lo, s60
	s_delay_alu instid0(SALU_CYCLE_1)
	s_mov_b32 s60, exec_lo
	v_cmpx_lt_u32_e64 v109, v141
	s_cbranch_execz .LBB1010_1140
.LBB1010_1210:                          ;   in Loop: Header=BB1010_1032 Depth=2
	global_load_b64 v[50:51], v[62:63], off offset:1280
	s_wait_xcnt 0x0
	s_or_b32 exec_lo, exec_lo, s60
	s_delay_alu instid0(SALU_CYCLE_1)
	s_mov_b32 s60, exec_lo
	v_cmpx_lt_u32_e64 v110, v141
	s_cbranch_execz .LBB1010_1141
.LBB1010_1211:                          ;   in Loop: Header=BB1010_1032 Depth=2
	global_load_b64 v[48:49], v[62:63], off offset:1536
	s_wait_xcnt 0x0
	s_or_b32 exec_lo, exec_lo, s60
	s_delay_alu instid0(SALU_CYCLE_1)
	s_mov_b32 s60, exec_lo
	v_cmpx_lt_u32_e64 v111, v141
	s_cbranch_execz .LBB1010_1142
.LBB1010_1212:                          ;   in Loop: Header=BB1010_1032 Depth=2
	global_load_b64 v[46:47], v[62:63], off offset:1792
	s_wait_xcnt 0x0
	s_or_b32 exec_lo, exec_lo, s60
	s_delay_alu instid0(SALU_CYCLE_1)
	s_mov_b32 s60, exec_lo
	v_cmpx_lt_u32_e64 v112, v141
	s_cbranch_execz .LBB1010_1143
.LBB1010_1213:                          ;   in Loop: Header=BB1010_1032 Depth=2
	global_load_b64 v[44:45], v[62:63], off offset:2048
	s_wait_xcnt 0x0
	s_or_b32 exec_lo, exec_lo, s60
	s_delay_alu instid0(SALU_CYCLE_1)
	s_mov_b32 s60, exec_lo
	v_cmpx_lt_u32_e64 v113, v141
	s_cbranch_execz .LBB1010_1144
.LBB1010_1214:                          ;   in Loop: Header=BB1010_1032 Depth=2
	global_load_b64 v[42:43], v[62:63], off offset:2304
	s_wait_xcnt 0x0
	s_or_b32 exec_lo, exec_lo, s60
	s_delay_alu instid0(SALU_CYCLE_1)
	s_mov_b32 s60, exec_lo
	v_cmpx_lt_u32_e64 v114, v141
	s_cbranch_execz .LBB1010_1145
.LBB1010_1215:                          ;   in Loop: Header=BB1010_1032 Depth=2
	global_load_b64 v[40:41], v[62:63], off offset:2560
	s_wait_xcnt 0x0
	s_or_b32 exec_lo, exec_lo, s60
	s_delay_alu instid0(SALU_CYCLE_1)
	s_mov_b32 s60, exec_lo
	v_cmpx_lt_u32_e64 v115, v141
	s_cbranch_execz .LBB1010_1146
.LBB1010_1216:                          ;   in Loop: Header=BB1010_1032 Depth=2
	global_load_b64 v[38:39], v[62:63], off offset:2816
	s_wait_xcnt 0x0
	s_or_b32 exec_lo, exec_lo, s60
	s_delay_alu instid0(SALU_CYCLE_1)
	s_mov_b32 s60, exec_lo
	v_cmpx_lt_u32_e64 v116, v141
	s_cbranch_execz .LBB1010_1147
.LBB1010_1217:                          ;   in Loop: Header=BB1010_1032 Depth=2
	global_load_b64 v[36:37], v[62:63], off offset:3072
	s_wait_xcnt 0x0
	s_or_b32 exec_lo, exec_lo, s60
	s_delay_alu instid0(SALU_CYCLE_1)
	s_mov_b32 s60, exec_lo
	v_cmpx_lt_u32_e64 v117, v141
	s_cbranch_execz .LBB1010_1148
.LBB1010_1218:                          ;   in Loop: Header=BB1010_1032 Depth=2
	global_load_b64 v[34:35], v[62:63], off offset:3328
	s_wait_xcnt 0x0
	s_or_b32 exec_lo, exec_lo, s60
	s_delay_alu instid0(SALU_CYCLE_1)
	s_mov_b32 s60, exec_lo
	v_cmpx_lt_u32_e64 v118, v141
	s_cbranch_execz .LBB1010_1149
.LBB1010_1219:                          ;   in Loop: Header=BB1010_1032 Depth=2
	global_load_b64 v[32:33], v[62:63], off offset:3584
	s_wait_xcnt 0x0
	s_or_b32 exec_lo, exec_lo, s60
	s_delay_alu instid0(SALU_CYCLE_1)
	s_mov_b32 s60, exec_lo
	v_cmpx_lt_u32_e64 v119, v141
	s_cbranch_execz .LBB1010_1150
.LBB1010_1220:                          ;   in Loop: Header=BB1010_1032 Depth=2
	global_load_b64 v[30:31], v[62:63], off offset:3840
	s_wait_xcnt 0x0
	s_or_b32 exec_lo, exec_lo, s60
	s_delay_alu instid0(SALU_CYCLE_1)
	s_mov_b32 s60, exec_lo
	v_cmpx_lt_u32_e64 v120, v141
	s_cbranch_execz .LBB1010_1151
.LBB1010_1221:                          ;   in Loop: Header=BB1010_1032 Depth=2
	global_load_b64 v[28:29], v[62:63], off offset:4096
	s_wait_xcnt 0x0
	s_or_b32 exec_lo, exec_lo, s60
	s_and_saveexec_b32 s34, vcc_lo
	s_cbranch_execz .LBB1010_1152
.LBB1010_1222:                          ;   in Loop: Header=BB1010_1032 Depth=2
	ds_load_u16 v62, v94 offset:512
	s_wait_dscnt 0x0
	v_lshrrev_b32_e32 v62, s49, v62
	s_delay_alu instid0(VALU_DEP_1)
	v_and_b32_e32 v139, s48, v62
	s_or_b32 exec_lo, exec_lo, s34
	s_and_saveexec_b32 s34, s17
	s_cbranch_execz .LBB1010_1153
.LBB1010_1223:                          ;   in Loop: Header=BB1010_1032 Depth=2
	ds_load_u16 v62, v94 offset:1024
	s_wait_dscnt 0x0
	v_lshrrev_b32_e32 v62, s49, v62
	s_delay_alu instid0(VALU_DEP_1)
	v_and_b32_e32 v138, s48, v62
	s_or_b32 exec_lo, exec_lo, s34
	s_and_saveexec_b32 s34, s18
	s_cbranch_execz .LBB1010_1154
.LBB1010_1224:                          ;   in Loop: Header=BB1010_1032 Depth=2
	ds_load_u16 v62, v94 offset:1536
	s_wait_dscnt 0x0
	v_lshrrev_b32_e32 v62, s49, v62
	s_delay_alu instid0(VALU_DEP_1)
	v_and_b32_e32 v136, s48, v62
	s_or_b32 exec_lo, exec_lo, s34
	s_and_saveexec_b32 s34, s19
	s_cbranch_execz .LBB1010_1155
.LBB1010_1225:                          ;   in Loop: Header=BB1010_1032 Depth=2
	ds_load_u16 v62, v94 offset:2048
	s_wait_dscnt 0x0
	v_lshrrev_b32_e32 v62, s49, v62
	s_delay_alu instid0(VALU_DEP_1)
	v_and_b32_e32 v135, s48, v62
	s_or_b32 exec_lo, exec_lo, s34
	s_and_saveexec_b32 s34, s20
	s_cbranch_execz .LBB1010_1156
.LBB1010_1226:                          ;   in Loop: Header=BB1010_1032 Depth=2
	ds_load_u16 v62, v94 offset:2560
	s_wait_dscnt 0x0
	v_lshrrev_b32_e32 v62, s49, v62
	s_delay_alu instid0(VALU_DEP_1)
	v_and_b32_e32 v134, s48, v62
	s_or_b32 exec_lo, exec_lo, s34
	s_and_saveexec_b32 s34, s21
	s_cbranch_execz .LBB1010_1157
.LBB1010_1227:                          ;   in Loop: Header=BB1010_1032 Depth=2
	ds_load_u16 v62, v94 offset:3072
	s_wait_dscnt 0x0
	v_lshrrev_b32_e32 v62, s49, v62
	s_delay_alu instid0(VALU_DEP_1)
	v_and_b32_e32 v133, s48, v62
	s_or_b32 exec_lo, exec_lo, s34
	s_and_saveexec_b32 s34, s22
	s_cbranch_execz .LBB1010_1158
.LBB1010_1228:                          ;   in Loop: Header=BB1010_1032 Depth=2
	ds_load_u16 v62, v94 offset:3584
	s_wait_dscnt 0x0
	v_lshrrev_b32_e32 v62, s49, v62
	s_delay_alu instid0(VALU_DEP_1)
	v_and_b32_e32 v132, s48, v62
	s_or_b32 exec_lo, exec_lo, s34
	s_and_saveexec_b32 s34, s23
	s_cbranch_execz .LBB1010_1159
.LBB1010_1229:                          ;   in Loop: Header=BB1010_1032 Depth=2
	ds_load_u16 v62, v94 offset:4096
	s_wait_dscnt 0x0
	v_lshrrev_b32_e32 v62, s49, v62
	s_delay_alu instid0(VALU_DEP_1)
	v_and_b32_e32 v131, s48, v62
	s_or_b32 exec_lo, exec_lo, s34
	s_and_saveexec_b32 s34, s24
	s_cbranch_execz .LBB1010_1160
.LBB1010_1230:                          ;   in Loop: Header=BB1010_1032 Depth=2
	ds_load_u16 v62, v94 offset:4608
	s_wait_dscnt 0x0
	v_lshrrev_b32_e32 v62, s49, v62
	s_delay_alu instid0(VALU_DEP_1)
	v_and_b32_e32 v130, s48, v62
	s_or_b32 exec_lo, exec_lo, s34
	s_and_saveexec_b32 s34, s25
	s_cbranch_execz .LBB1010_1161
.LBB1010_1231:                          ;   in Loop: Header=BB1010_1032 Depth=2
	ds_load_u16 v62, v94 offset:5120
	s_wait_dscnt 0x0
	v_lshrrev_b32_e32 v62, s49, v62
	s_delay_alu instid0(VALU_DEP_1)
	v_and_b32_e32 v129, s48, v62
	s_or_b32 exec_lo, exec_lo, s34
	s_and_saveexec_b32 s34, s26
	s_cbranch_execz .LBB1010_1162
.LBB1010_1232:                          ;   in Loop: Header=BB1010_1032 Depth=2
	ds_load_u16 v62, v94 offset:5632
	s_wait_dscnt 0x0
	v_lshrrev_b32_e32 v62, s49, v62
	s_delay_alu instid0(VALU_DEP_1)
	v_and_b32_e32 v128, s48, v62
	s_or_b32 exec_lo, exec_lo, s34
	s_and_saveexec_b32 s34, s27
	s_cbranch_execz .LBB1010_1163
.LBB1010_1233:                          ;   in Loop: Header=BB1010_1032 Depth=2
	ds_load_u16 v62, v94 offset:6144
	s_wait_dscnt 0x0
	v_lshrrev_b32_e32 v62, s49, v62
	s_delay_alu instid0(VALU_DEP_1)
	v_and_b32_e32 v127, s48, v62
	s_or_b32 exec_lo, exec_lo, s34
	s_and_saveexec_b32 s34, s28
	s_cbranch_execz .LBB1010_1164
.LBB1010_1234:                          ;   in Loop: Header=BB1010_1032 Depth=2
	ds_load_u16 v62, v94 offset:6656
	s_wait_dscnt 0x0
	v_lshrrev_b32_e32 v62, s49, v62
	s_delay_alu instid0(VALU_DEP_1)
	v_and_b32_e32 v126, s48, v62
	s_or_b32 exec_lo, exec_lo, s34
	s_and_saveexec_b32 s34, s29
	s_cbranch_execz .LBB1010_1165
.LBB1010_1235:                          ;   in Loop: Header=BB1010_1032 Depth=2
	ds_load_u16 v62, v94 offset:7168
	s_wait_dscnt 0x0
	v_lshrrev_b32_e32 v62, s49, v62
	s_delay_alu instid0(VALU_DEP_1)
	v_and_b32_e32 v125, s48, v62
	s_or_b32 exec_lo, exec_lo, s34
	s_and_saveexec_b32 s34, s30
	s_cbranch_execz .LBB1010_1166
.LBB1010_1236:                          ;   in Loop: Header=BB1010_1032 Depth=2
	ds_load_u16 v62, v94 offset:7680
	s_wait_dscnt 0x0
	v_lshrrev_b32_e32 v62, s49, v62
	s_delay_alu instid0(VALU_DEP_1)
	v_and_b32_e32 v124, s48, v62
	s_or_b32 exec_lo, exec_lo, s34
	s_and_saveexec_b32 s34, s31
	s_cbranch_execz .LBB1010_1167
.LBB1010_1237:                          ;   in Loop: Header=BB1010_1032 Depth=2
	ds_load_u16 v62, v94 offset:8192
	s_wait_dscnt 0x0
	v_lshrrev_b32_e32 v62, s49, v62
	s_delay_alu instid0(VALU_DEP_1)
	v_and_b32_e32 v123, s48, v62
	s_or_b32 exec_lo, exec_lo, s34
	s_and_saveexec_b32 s34, s33
	s_cbranch_execnz .LBB1010_1168
	s_branch .LBB1010_1169
.LBB1010_1238:                          ;   in Loop: Header=BB1010_1032 Depth=2
	v_lshlrev_b32_e32 v63, 2, v139
	ds_load_b32 v63, v63
	ds_load_b64 v[64:65], v62 offset:512
	s_wait_dscnt 0x1
	v_add_nc_u32_e32 v63, v63, v2
	s_wait_dscnt 0x0
	global_store_b64 v63, v[64:65], s[46:47] scale_offset
	s_wait_xcnt 0x0
	s_or_b32 exec_lo, exec_lo, s34
	s_and_saveexec_b32 s34, s17
	s_cbranch_execz .LBB1010_1171
.LBB1010_1239:                          ;   in Loop: Header=BB1010_1032 Depth=2
	v_lshlrev_b32_e32 v63, 2, v138
	ds_load_b32 v63, v63
	ds_load_b64 v[64:65], v62 offset:2560
	s_wait_dscnt 0x1
	v_add_nc_u32_e32 v63, v63, v66
	s_wait_dscnt 0x0
	global_store_b64 v63, v[64:65], s[46:47] scale_offset
	s_wait_xcnt 0x0
	s_or_b32 exec_lo, exec_lo, s34
	s_and_saveexec_b32 s17, s18
	s_cbranch_execz .LBB1010_1172
.LBB1010_1240:                          ;   in Loop: Header=BB1010_1032 Depth=2
	v_lshlrev_b32_e32 v63, 2, v136
	ds_load_b32 v63, v63
	ds_load_b64 v[64:65], v62 offset:4608
	s_wait_dscnt 0x1
	v_add_nc_u32_e32 v63, v63, v67
	s_wait_dscnt 0x0
	global_store_b64 v63, v[64:65], s[46:47] scale_offset
	s_wait_xcnt 0x0
	s_or_b32 exec_lo, exec_lo, s17
	s_and_saveexec_b32 s17, s19
	s_cbranch_execz .LBB1010_1173
.LBB1010_1241:                          ;   in Loop: Header=BB1010_1032 Depth=2
	v_lshlrev_b32_e32 v63, 2, v135
	ds_load_b32 v63, v63
	ds_load_b64 v[64:65], v62 offset:6656
	s_wait_dscnt 0x1
	v_add_nc_u32_e32 v63, v63, v68
	s_wait_dscnt 0x0
	global_store_b64 v63, v[64:65], s[46:47] scale_offset
	s_wait_xcnt 0x0
	s_or_b32 exec_lo, exec_lo, s17
	s_and_saveexec_b32 s17, s20
	s_cbranch_execz .LBB1010_1174
.LBB1010_1242:                          ;   in Loop: Header=BB1010_1032 Depth=2
	v_lshlrev_b32_e32 v63, 2, v134
	ds_load_b32 v63, v63
	ds_load_b64 v[64:65], v62 offset:8704
	s_wait_dscnt 0x1
	v_add_nc_u32_e32 v63, v63, v69
	s_wait_dscnt 0x0
	global_store_b64 v63, v[64:65], s[46:47] scale_offset
	s_wait_xcnt 0x0
	s_or_b32 exec_lo, exec_lo, s17
	s_and_saveexec_b32 s17, s21
	s_cbranch_execz .LBB1010_1175
.LBB1010_1243:                          ;   in Loop: Header=BB1010_1032 Depth=2
	v_lshlrev_b32_e32 v63, 2, v133
	ds_load_b32 v63, v63
	ds_load_b64 v[64:65], v62 offset:10752
	s_wait_dscnt 0x1
	v_add_nc_u32_e32 v63, v63, v70
	s_wait_dscnt 0x0
	global_store_b64 v63, v[64:65], s[46:47] scale_offset
	s_wait_xcnt 0x0
	s_or_b32 exec_lo, exec_lo, s17
	s_and_saveexec_b32 s17, s22
	s_cbranch_execz .LBB1010_1176
.LBB1010_1244:                          ;   in Loop: Header=BB1010_1032 Depth=2
	v_lshlrev_b32_e32 v63, 2, v132
	ds_load_b32 v63, v63
	ds_load_b64 v[64:65], v62 offset:12800
	s_wait_dscnt 0x1
	v_add_nc_u32_e32 v63, v63, v71
	s_wait_dscnt 0x0
	global_store_b64 v63, v[64:65], s[46:47] scale_offset
	s_wait_xcnt 0x0
	s_or_b32 exec_lo, exec_lo, s17
	s_and_saveexec_b32 s17, s23
	s_cbranch_execz .LBB1010_1177
.LBB1010_1245:                          ;   in Loop: Header=BB1010_1032 Depth=2
	v_lshlrev_b32_e32 v63, 2, v131
	ds_load_b32 v63, v63
	ds_load_b64 v[64:65], v62 offset:14848
	s_wait_dscnt 0x1
	v_add_nc_u32_e32 v63, v63, v72
	s_wait_dscnt 0x0
	global_store_b64 v63, v[64:65], s[46:47] scale_offset
	s_wait_xcnt 0x0
	s_or_b32 exec_lo, exec_lo, s17
	s_and_saveexec_b32 s17, s24
	s_cbranch_execz .LBB1010_1178
.LBB1010_1246:                          ;   in Loop: Header=BB1010_1032 Depth=2
	v_lshlrev_b32_e32 v63, 2, v130
	ds_load_b32 v63, v63
	ds_load_b64 v[64:65], v62 offset:16896
	s_wait_dscnt 0x1
	v_add_nc_u32_e32 v63, v63, v73
	s_wait_dscnt 0x0
	global_store_b64 v63, v[64:65], s[46:47] scale_offset
	s_wait_xcnt 0x0
	s_or_b32 exec_lo, exec_lo, s17
	s_and_saveexec_b32 s17, s25
	s_cbranch_execz .LBB1010_1179
.LBB1010_1247:                          ;   in Loop: Header=BB1010_1032 Depth=2
	v_lshlrev_b32_e32 v63, 2, v129
	ds_load_b32 v63, v63
	ds_load_b64 v[64:65], v62 offset:18944
	s_wait_dscnt 0x1
	v_add_nc_u32_e32 v63, v63, v74
	s_wait_dscnt 0x0
	global_store_b64 v63, v[64:65], s[46:47] scale_offset
	s_wait_xcnt 0x0
	s_or_b32 exec_lo, exec_lo, s17
	s_and_saveexec_b32 s17, s26
	s_cbranch_execz .LBB1010_1180
.LBB1010_1248:                          ;   in Loop: Header=BB1010_1032 Depth=2
	v_lshlrev_b32_e32 v63, 2, v128
	ds_load_b32 v63, v63
	ds_load_b64 v[64:65], v62 offset:20992
	s_wait_dscnt 0x1
	v_add_nc_u32_e32 v63, v63, v75
	s_wait_dscnt 0x0
	global_store_b64 v63, v[64:65], s[46:47] scale_offset
	s_wait_xcnt 0x0
	s_or_b32 exec_lo, exec_lo, s17
	s_and_saveexec_b32 s17, s27
	s_cbranch_execz .LBB1010_1181
.LBB1010_1249:                          ;   in Loop: Header=BB1010_1032 Depth=2
	v_lshlrev_b32_e32 v63, 2, v127
	ds_load_b32 v63, v63
	ds_load_b64 v[64:65], v62 offset:23040
	s_wait_dscnt 0x1
	v_add_nc_u32_e32 v63, v63, v76
	s_wait_dscnt 0x0
	global_store_b64 v63, v[64:65], s[46:47] scale_offset
	s_wait_xcnt 0x0
	s_or_b32 exec_lo, exec_lo, s17
	s_and_saveexec_b32 s17, s28
	s_cbranch_execz .LBB1010_1182
.LBB1010_1250:                          ;   in Loop: Header=BB1010_1032 Depth=2
	v_lshlrev_b32_e32 v63, 2, v126
	ds_load_b32 v63, v63
	ds_load_b64 v[64:65], v62 offset:25088
	s_wait_dscnt 0x1
	v_add_nc_u32_e32 v63, v63, v77
	s_wait_dscnt 0x0
	global_store_b64 v63, v[64:65], s[46:47] scale_offset
	s_wait_xcnt 0x0
	s_or_b32 exec_lo, exec_lo, s17
	s_and_saveexec_b32 s17, s29
	s_cbranch_execz .LBB1010_1183
.LBB1010_1251:                          ;   in Loop: Header=BB1010_1032 Depth=2
	v_lshlrev_b32_e32 v63, 2, v125
	ds_load_b32 v63, v63
	ds_load_b64 v[64:65], v62 offset:27136
	s_wait_dscnt 0x1
	v_add_nc_u32_e32 v63, v63, v78
	s_wait_dscnt 0x0
	global_store_b64 v63, v[64:65], s[46:47] scale_offset
	s_wait_xcnt 0x0
	s_or_b32 exec_lo, exec_lo, s17
	s_and_saveexec_b32 s17, s30
	s_cbranch_execz .LBB1010_1184
.LBB1010_1252:                          ;   in Loop: Header=BB1010_1032 Depth=2
	v_lshlrev_b32_e32 v63, 2, v124
	ds_load_b32 v63, v63
	ds_load_b64 v[64:65], v62 offset:29184
	s_wait_dscnt 0x1
	v_add_nc_u32_e32 v63, v63, v79
	s_wait_dscnt 0x0
	global_store_b64 v63, v[64:65], s[46:47] scale_offset
	s_wait_xcnt 0x0
	s_or_b32 exec_lo, exec_lo, s17
	s_and_saveexec_b32 s17, s31
	s_cbranch_execz .LBB1010_1185
.LBB1010_1253:                          ;   in Loop: Header=BB1010_1032 Depth=2
	v_lshlrev_b32_e32 v63, 2, v123
	ds_load_b32 v63, v63
	ds_load_b64 v[64:65], v62 offset:31232
	s_wait_dscnt 0x1
	v_add_nc_u32_e32 v63, v63, v80
	s_wait_dscnt 0x0
	global_store_b64 v63, v[64:65], s[46:47] scale_offset
	s_wait_xcnt 0x0
	s_or_b32 exec_lo, exec_lo, s17
	s_and_saveexec_b32 s17, s33
	s_cbranch_execnz .LBB1010_1186
	s_branch .LBB1010_1187
.LBB1010_1254:
	s_endpgm
	.section	.rodata,"a",@progbits
	.p2align	6, 0x0
	.amdhsa_kernel _ZN7rocprim17ROCPRIM_400000_NS6detail17trampoline_kernelINS0_14default_configENS1_36segmented_radix_sort_config_selectorIslEEZNS1_25segmented_radix_sort_implIS3_Lb0EPKsPsPKlPlN2at6native12_GLOBAL__N_18offset_tEEE10hipError_tPvRmT1_PNSt15iterator_traitsISK_E10value_typeET2_T3_PNSL_ISQ_E10value_typeET4_jRbjT5_SW_jjP12ihipStream_tbEUlT_E_NS1_11comp_targetILNS1_3genE0ELNS1_11target_archE4294967295ELNS1_3gpuE0ELNS1_3repE0EEENS1_30default_config_static_selectorELNS0_4arch9wavefront6targetE0EEEvSK_
		.amdhsa_group_segment_fixed_size 35344
		.amdhsa_private_segment_fixed_size 0
		.amdhsa_kernarg_size 352
		.amdhsa_user_sgpr_count 4
		.amdhsa_user_sgpr_dispatch_ptr 0
		.amdhsa_user_sgpr_queue_ptr 1
		.amdhsa_user_sgpr_kernarg_segment_ptr 1
		.amdhsa_user_sgpr_dispatch_id 0
		.amdhsa_user_sgpr_kernarg_preload_length 0
		.amdhsa_user_sgpr_kernarg_preload_offset 0
		.amdhsa_user_sgpr_private_segment_size 0
		.amdhsa_wavefront_size32 1
		.amdhsa_uses_dynamic_stack 0
		.amdhsa_enable_private_segment 0
		.amdhsa_system_sgpr_workgroup_id_x 1
		.amdhsa_system_sgpr_workgroup_id_y 1
		.amdhsa_system_sgpr_workgroup_id_z 0
		.amdhsa_system_sgpr_workgroup_info 0
		.amdhsa_system_vgpr_workitem_id 2
		.amdhsa_next_free_vgpr 304
		.amdhsa_next_free_sgpr 61
		.amdhsa_named_barrier_count 0
		.amdhsa_reserve_vcc 1
		.amdhsa_float_round_mode_32 0
		.amdhsa_float_round_mode_16_64 0
		.amdhsa_float_denorm_mode_32 3
		.amdhsa_float_denorm_mode_16_64 3
		.amdhsa_fp16_overflow 0
		.amdhsa_memory_ordered 1
		.amdhsa_forward_progress 1
		.amdhsa_inst_pref_size 255
		.amdhsa_round_robin_scheduling 0
		.amdhsa_exception_fp_ieee_invalid_op 0
		.amdhsa_exception_fp_denorm_src 0
		.amdhsa_exception_fp_ieee_div_zero 0
		.amdhsa_exception_fp_ieee_overflow 0
		.amdhsa_exception_fp_ieee_underflow 0
		.amdhsa_exception_fp_ieee_inexact 0
		.amdhsa_exception_int_div_zero 0
	.end_amdhsa_kernel
	.section	.text._ZN7rocprim17ROCPRIM_400000_NS6detail17trampoline_kernelINS0_14default_configENS1_36segmented_radix_sort_config_selectorIslEEZNS1_25segmented_radix_sort_implIS3_Lb0EPKsPsPKlPlN2at6native12_GLOBAL__N_18offset_tEEE10hipError_tPvRmT1_PNSt15iterator_traitsISK_E10value_typeET2_T3_PNSL_ISQ_E10value_typeET4_jRbjT5_SW_jjP12ihipStream_tbEUlT_E_NS1_11comp_targetILNS1_3genE0ELNS1_11target_archE4294967295ELNS1_3gpuE0ELNS1_3repE0EEENS1_30default_config_static_selectorELNS0_4arch9wavefront6targetE0EEEvSK_,"axG",@progbits,_ZN7rocprim17ROCPRIM_400000_NS6detail17trampoline_kernelINS0_14default_configENS1_36segmented_radix_sort_config_selectorIslEEZNS1_25segmented_radix_sort_implIS3_Lb0EPKsPsPKlPlN2at6native12_GLOBAL__N_18offset_tEEE10hipError_tPvRmT1_PNSt15iterator_traitsISK_E10value_typeET2_T3_PNSL_ISQ_E10value_typeET4_jRbjT5_SW_jjP12ihipStream_tbEUlT_E_NS1_11comp_targetILNS1_3genE0ELNS1_11target_archE4294967295ELNS1_3gpuE0ELNS1_3repE0EEENS1_30default_config_static_selectorELNS0_4arch9wavefront6targetE0EEEvSK_,comdat
.Lfunc_end1010:
	.size	_ZN7rocprim17ROCPRIM_400000_NS6detail17trampoline_kernelINS0_14default_configENS1_36segmented_radix_sort_config_selectorIslEEZNS1_25segmented_radix_sort_implIS3_Lb0EPKsPsPKlPlN2at6native12_GLOBAL__N_18offset_tEEE10hipError_tPvRmT1_PNSt15iterator_traitsISK_E10value_typeET2_T3_PNSL_ISQ_E10value_typeET4_jRbjT5_SW_jjP12ihipStream_tbEUlT_E_NS1_11comp_targetILNS1_3genE0ELNS1_11target_archE4294967295ELNS1_3gpuE0ELNS1_3repE0EEENS1_30default_config_static_selectorELNS0_4arch9wavefront6targetE0EEEvSK_, .Lfunc_end1010-_ZN7rocprim17ROCPRIM_400000_NS6detail17trampoline_kernelINS0_14default_configENS1_36segmented_radix_sort_config_selectorIslEEZNS1_25segmented_radix_sort_implIS3_Lb0EPKsPsPKlPlN2at6native12_GLOBAL__N_18offset_tEEE10hipError_tPvRmT1_PNSt15iterator_traitsISK_E10value_typeET2_T3_PNSL_ISQ_E10value_typeET4_jRbjT5_SW_jjP12ihipStream_tbEUlT_E_NS1_11comp_targetILNS1_3genE0ELNS1_11target_archE4294967295ELNS1_3gpuE0ELNS1_3repE0EEENS1_30default_config_static_selectorELNS0_4arch9wavefront6targetE0EEEvSK_
                                        ; -- End function
	.set _ZN7rocprim17ROCPRIM_400000_NS6detail17trampoline_kernelINS0_14default_configENS1_36segmented_radix_sort_config_selectorIslEEZNS1_25segmented_radix_sort_implIS3_Lb0EPKsPsPKlPlN2at6native12_GLOBAL__N_18offset_tEEE10hipError_tPvRmT1_PNSt15iterator_traitsISK_E10value_typeET2_T3_PNSL_ISQ_E10value_typeET4_jRbjT5_SW_jjP12ihipStream_tbEUlT_E_NS1_11comp_targetILNS1_3genE0ELNS1_11target_archE4294967295ELNS1_3gpuE0ELNS1_3repE0EEENS1_30default_config_static_selectorELNS0_4arch9wavefront6targetE0EEEvSK_.num_vgpr, max(213, .L_ZN7rocprim17ROCPRIM_400000_NS6detail40segmented_radix_sort_single_block_helperIslLj256ELj17ELb0EE4sortIPKsPsPKlPlEEbT_T0_T1_T2_jjjjRNS3_12storage_typeE.num_vgpr)
	.set _ZN7rocprim17ROCPRIM_400000_NS6detail17trampoline_kernelINS0_14default_configENS1_36segmented_radix_sort_config_selectorIslEEZNS1_25segmented_radix_sort_implIS3_Lb0EPKsPsPKlPlN2at6native12_GLOBAL__N_18offset_tEEE10hipError_tPvRmT1_PNSt15iterator_traitsISK_E10value_typeET2_T3_PNSL_ISQ_E10value_typeET4_jRbjT5_SW_jjP12ihipStream_tbEUlT_E_NS1_11comp_targetILNS1_3genE0ELNS1_11target_archE4294967295ELNS1_3gpuE0ELNS1_3repE0EEENS1_30default_config_static_selectorELNS0_4arch9wavefront6targetE0EEEvSK_.num_agpr, max(0, .L_ZN7rocprim17ROCPRIM_400000_NS6detail40segmented_radix_sort_single_block_helperIslLj256ELj17ELb0EE4sortIPKsPsPKlPlEEbT_T0_T1_T2_jjjjRNS3_12storage_typeE.num_agpr)
	.set _ZN7rocprim17ROCPRIM_400000_NS6detail17trampoline_kernelINS0_14default_configENS1_36segmented_radix_sort_config_selectorIslEEZNS1_25segmented_radix_sort_implIS3_Lb0EPKsPsPKlPlN2at6native12_GLOBAL__N_18offset_tEEE10hipError_tPvRmT1_PNSt15iterator_traitsISK_E10value_typeET2_T3_PNSL_ISQ_E10value_typeET4_jRbjT5_SW_jjP12ihipStream_tbEUlT_E_NS1_11comp_targetILNS1_3genE0ELNS1_11target_archE4294967295ELNS1_3gpuE0ELNS1_3repE0EEENS1_30default_config_static_selectorELNS0_4arch9wavefront6targetE0EEEvSK_.numbered_sgpr, max(61, .L_ZN7rocprim17ROCPRIM_400000_NS6detail40segmented_radix_sort_single_block_helperIslLj256ELj17ELb0EE4sortIPKsPsPKlPlEEbT_T0_T1_T2_jjjjRNS3_12storage_typeE.numbered_sgpr)
	.set _ZN7rocprim17ROCPRIM_400000_NS6detail17trampoline_kernelINS0_14default_configENS1_36segmented_radix_sort_config_selectorIslEEZNS1_25segmented_radix_sort_implIS3_Lb0EPKsPsPKlPlN2at6native12_GLOBAL__N_18offset_tEEE10hipError_tPvRmT1_PNSt15iterator_traitsISK_E10value_typeET2_T3_PNSL_ISQ_E10value_typeET4_jRbjT5_SW_jjP12ihipStream_tbEUlT_E_NS1_11comp_targetILNS1_3genE0ELNS1_11target_archE4294967295ELNS1_3gpuE0ELNS1_3repE0EEENS1_30default_config_static_selectorELNS0_4arch9wavefront6targetE0EEEvSK_.num_named_barrier, max(0, .L_ZN7rocprim17ROCPRIM_400000_NS6detail40segmented_radix_sort_single_block_helperIslLj256ELj17ELb0EE4sortIPKsPsPKlPlEEbT_T0_T1_T2_jjjjRNS3_12storage_typeE.num_named_barrier)
	.set _ZN7rocprim17ROCPRIM_400000_NS6detail17trampoline_kernelINS0_14default_configENS1_36segmented_radix_sort_config_selectorIslEEZNS1_25segmented_radix_sort_implIS3_Lb0EPKsPsPKlPlN2at6native12_GLOBAL__N_18offset_tEEE10hipError_tPvRmT1_PNSt15iterator_traitsISK_E10value_typeET2_T3_PNSL_ISQ_E10value_typeET4_jRbjT5_SW_jjP12ihipStream_tbEUlT_E_NS1_11comp_targetILNS1_3genE0ELNS1_11target_archE4294967295ELNS1_3gpuE0ELNS1_3repE0EEENS1_30default_config_static_selectorELNS0_4arch9wavefront6targetE0EEEvSK_.private_seg_size, 0+max(.L_ZN7rocprim17ROCPRIM_400000_NS6detail40segmented_radix_sort_single_block_helperIslLj256ELj17ELb0EE4sortIPKsPsPKlPlEEbT_T0_T1_T2_jjjjRNS3_12storage_typeE.private_seg_size)
	.set _ZN7rocprim17ROCPRIM_400000_NS6detail17trampoline_kernelINS0_14default_configENS1_36segmented_radix_sort_config_selectorIslEEZNS1_25segmented_radix_sort_implIS3_Lb0EPKsPsPKlPlN2at6native12_GLOBAL__N_18offset_tEEE10hipError_tPvRmT1_PNSt15iterator_traitsISK_E10value_typeET2_T3_PNSL_ISQ_E10value_typeET4_jRbjT5_SW_jjP12ihipStream_tbEUlT_E_NS1_11comp_targetILNS1_3genE0ELNS1_11target_archE4294967295ELNS1_3gpuE0ELNS1_3repE0EEENS1_30default_config_static_selectorELNS0_4arch9wavefront6targetE0EEEvSK_.uses_vcc, or(1, .L_ZN7rocprim17ROCPRIM_400000_NS6detail40segmented_radix_sort_single_block_helperIslLj256ELj17ELb0EE4sortIPKsPsPKlPlEEbT_T0_T1_T2_jjjjRNS3_12storage_typeE.uses_vcc)
	.set _ZN7rocprim17ROCPRIM_400000_NS6detail17trampoline_kernelINS0_14default_configENS1_36segmented_radix_sort_config_selectorIslEEZNS1_25segmented_radix_sort_implIS3_Lb0EPKsPsPKlPlN2at6native12_GLOBAL__N_18offset_tEEE10hipError_tPvRmT1_PNSt15iterator_traitsISK_E10value_typeET2_T3_PNSL_ISQ_E10value_typeET4_jRbjT5_SW_jjP12ihipStream_tbEUlT_E_NS1_11comp_targetILNS1_3genE0ELNS1_11target_archE4294967295ELNS1_3gpuE0ELNS1_3repE0EEENS1_30default_config_static_selectorELNS0_4arch9wavefront6targetE0EEEvSK_.uses_flat_scratch, or(0, .L_ZN7rocprim17ROCPRIM_400000_NS6detail40segmented_radix_sort_single_block_helperIslLj256ELj17ELb0EE4sortIPKsPsPKlPlEEbT_T0_T1_T2_jjjjRNS3_12storage_typeE.uses_flat_scratch)
	.set _ZN7rocprim17ROCPRIM_400000_NS6detail17trampoline_kernelINS0_14default_configENS1_36segmented_radix_sort_config_selectorIslEEZNS1_25segmented_radix_sort_implIS3_Lb0EPKsPsPKlPlN2at6native12_GLOBAL__N_18offset_tEEE10hipError_tPvRmT1_PNSt15iterator_traitsISK_E10value_typeET2_T3_PNSL_ISQ_E10value_typeET4_jRbjT5_SW_jjP12ihipStream_tbEUlT_E_NS1_11comp_targetILNS1_3genE0ELNS1_11target_archE4294967295ELNS1_3gpuE0ELNS1_3repE0EEENS1_30default_config_static_selectorELNS0_4arch9wavefront6targetE0EEEvSK_.has_dyn_sized_stack, or(0, .L_ZN7rocprim17ROCPRIM_400000_NS6detail40segmented_radix_sort_single_block_helperIslLj256ELj17ELb0EE4sortIPKsPsPKlPlEEbT_T0_T1_T2_jjjjRNS3_12storage_typeE.has_dyn_sized_stack)
	.set _ZN7rocprim17ROCPRIM_400000_NS6detail17trampoline_kernelINS0_14default_configENS1_36segmented_radix_sort_config_selectorIslEEZNS1_25segmented_radix_sort_implIS3_Lb0EPKsPsPKlPlN2at6native12_GLOBAL__N_18offset_tEEE10hipError_tPvRmT1_PNSt15iterator_traitsISK_E10value_typeET2_T3_PNSL_ISQ_E10value_typeET4_jRbjT5_SW_jjP12ihipStream_tbEUlT_E_NS1_11comp_targetILNS1_3genE0ELNS1_11target_archE4294967295ELNS1_3gpuE0ELNS1_3repE0EEENS1_30default_config_static_selectorELNS0_4arch9wavefront6targetE0EEEvSK_.has_recursion, or(0, .L_ZN7rocprim17ROCPRIM_400000_NS6detail40segmented_radix_sort_single_block_helperIslLj256ELj17ELb0EE4sortIPKsPsPKlPlEEbT_T0_T1_T2_jjjjRNS3_12storage_typeE.has_recursion)
	.set _ZN7rocprim17ROCPRIM_400000_NS6detail17trampoline_kernelINS0_14default_configENS1_36segmented_radix_sort_config_selectorIslEEZNS1_25segmented_radix_sort_implIS3_Lb0EPKsPsPKlPlN2at6native12_GLOBAL__N_18offset_tEEE10hipError_tPvRmT1_PNSt15iterator_traitsISK_E10value_typeET2_T3_PNSL_ISQ_E10value_typeET4_jRbjT5_SW_jjP12ihipStream_tbEUlT_E_NS1_11comp_targetILNS1_3genE0ELNS1_11target_archE4294967295ELNS1_3gpuE0ELNS1_3repE0EEENS1_30default_config_static_selectorELNS0_4arch9wavefront6targetE0EEEvSK_.has_indirect_call, or(0, .L_ZN7rocprim17ROCPRIM_400000_NS6detail40segmented_radix_sort_single_block_helperIslLj256ELj17ELb0EE4sortIPKsPsPKlPlEEbT_T0_T1_T2_jjjjRNS3_12storage_typeE.has_indirect_call)
	.section	.AMDGPU.csdata,"",@progbits
; Kernel info:
; codeLenInByte = 72168
; TotalNumSgprs: 63
; NumVgprs: 304
; ScratchSize: 0
; MemoryBound: 0
; FloatMode: 240
; IeeeMode: 1
; LDSByteSize: 35344 bytes/workgroup (compile time only)
; SGPRBlocks: 0
; VGPRBlocks: 18
; NumSGPRsForWavesPerEU: 63
; NumVGPRsForWavesPerEU: 304
; NamedBarCnt: 0
; Occupancy: 3
; WaveLimiterHint : 1
; COMPUTE_PGM_RSRC2:SCRATCH_EN: 0
; COMPUTE_PGM_RSRC2:USER_SGPR: 4
; COMPUTE_PGM_RSRC2:TRAP_HANDLER: 0
; COMPUTE_PGM_RSRC2:TGID_X_EN: 1
; COMPUTE_PGM_RSRC2:TGID_Y_EN: 1
; COMPUTE_PGM_RSRC2:TGID_Z_EN: 0
; COMPUTE_PGM_RSRC2:TIDIG_COMP_CNT: 2
	.section	.text._ZN7rocprim17ROCPRIM_400000_NS6detail17trampoline_kernelINS0_14default_configENS1_36segmented_radix_sort_config_selectorIslEEZNS1_25segmented_radix_sort_implIS3_Lb0EPKsPsPKlPlN2at6native12_GLOBAL__N_18offset_tEEE10hipError_tPvRmT1_PNSt15iterator_traitsISK_E10value_typeET2_T3_PNSL_ISQ_E10value_typeET4_jRbjT5_SW_jjP12ihipStream_tbEUlT_E_NS1_11comp_targetILNS1_3genE5ELNS1_11target_archE942ELNS1_3gpuE9ELNS1_3repE0EEENS1_30default_config_static_selectorELNS0_4arch9wavefront6targetE0EEEvSK_,"axG",@progbits,_ZN7rocprim17ROCPRIM_400000_NS6detail17trampoline_kernelINS0_14default_configENS1_36segmented_radix_sort_config_selectorIslEEZNS1_25segmented_radix_sort_implIS3_Lb0EPKsPsPKlPlN2at6native12_GLOBAL__N_18offset_tEEE10hipError_tPvRmT1_PNSt15iterator_traitsISK_E10value_typeET2_T3_PNSL_ISQ_E10value_typeET4_jRbjT5_SW_jjP12ihipStream_tbEUlT_E_NS1_11comp_targetILNS1_3genE5ELNS1_11target_archE942ELNS1_3gpuE9ELNS1_3repE0EEENS1_30default_config_static_selectorELNS0_4arch9wavefront6targetE0EEEvSK_,comdat
	.globl	_ZN7rocprim17ROCPRIM_400000_NS6detail17trampoline_kernelINS0_14default_configENS1_36segmented_radix_sort_config_selectorIslEEZNS1_25segmented_radix_sort_implIS3_Lb0EPKsPsPKlPlN2at6native12_GLOBAL__N_18offset_tEEE10hipError_tPvRmT1_PNSt15iterator_traitsISK_E10value_typeET2_T3_PNSL_ISQ_E10value_typeET4_jRbjT5_SW_jjP12ihipStream_tbEUlT_E_NS1_11comp_targetILNS1_3genE5ELNS1_11target_archE942ELNS1_3gpuE9ELNS1_3repE0EEENS1_30default_config_static_selectorELNS0_4arch9wavefront6targetE0EEEvSK_ ; -- Begin function _ZN7rocprim17ROCPRIM_400000_NS6detail17trampoline_kernelINS0_14default_configENS1_36segmented_radix_sort_config_selectorIslEEZNS1_25segmented_radix_sort_implIS3_Lb0EPKsPsPKlPlN2at6native12_GLOBAL__N_18offset_tEEE10hipError_tPvRmT1_PNSt15iterator_traitsISK_E10value_typeET2_T3_PNSL_ISQ_E10value_typeET4_jRbjT5_SW_jjP12ihipStream_tbEUlT_E_NS1_11comp_targetILNS1_3genE5ELNS1_11target_archE942ELNS1_3gpuE9ELNS1_3repE0EEENS1_30default_config_static_selectorELNS0_4arch9wavefront6targetE0EEEvSK_
	.p2align	8
	.type	_ZN7rocprim17ROCPRIM_400000_NS6detail17trampoline_kernelINS0_14default_configENS1_36segmented_radix_sort_config_selectorIslEEZNS1_25segmented_radix_sort_implIS3_Lb0EPKsPsPKlPlN2at6native12_GLOBAL__N_18offset_tEEE10hipError_tPvRmT1_PNSt15iterator_traitsISK_E10value_typeET2_T3_PNSL_ISQ_E10value_typeET4_jRbjT5_SW_jjP12ihipStream_tbEUlT_E_NS1_11comp_targetILNS1_3genE5ELNS1_11target_archE942ELNS1_3gpuE9ELNS1_3repE0EEENS1_30default_config_static_selectorELNS0_4arch9wavefront6targetE0EEEvSK_,@function
_ZN7rocprim17ROCPRIM_400000_NS6detail17trampoline_kernelINS0_14default_configENS1_36segmented_radix_sort_config_selectorIslEEZNS1_25segmented_radix_sort_implIS3_Lb0EPKsPsPKlPlN2at6native12_GLOBAL__N_18offset_tEEE10hipError_tPvRmT1_PNSt15iterator_traitsISK_E10value_typeET2_T3_PNSL_ISQ_E10value_typeET4_jRbjT5_SW_jjP12ihipStream_tbEUlT_E_NS1_11comp_targetILNS1_3genE5ELNS1_11target_archE942ELNS1_3gpuE9ELNS1_3repE0EEENS1_30default_config_static_selectorELNS0_4arch9wavefront6targetE0EEEvSK_: ; @_ZN7rocprim17ROCPRIM_400000_NS6detail17trampoline_kernelINS0_14default_configENS1_36segmented_radix_sort_config_selectorIslEEZNS1_25segmented_radix_sort_implIS3_Lb0EPKsPsPKlPlN2at6native12_GLOBAL__N_18offset_tEEE10hipError_tPvRmT1_PNSt15iterator_traitsISK_E10value_typeET2_T3_PNSL_ISQ_E10value_typeET4_jRbjT5_SW_jjP12ihipStream_tbEUlT_E_NS1_11comp_targetILNS1_3genE5ELNS1_11target_archE942ELNS1_3gpuE9ELNS1_3repE0EEENS1_30default_config_static_selectorELNS0_4arch9wavefront6targetE0EEEvSK_
; %bb.0:
	.section	.rodata,"a",@progbits
	.p2align	6, 0x0
	.amdhsa_kernel _ZN7rocprim17ROCPRIM_400000_NS6detail17trampoline_kernelINS0_14default_configENS1_36segmented_radix_sort_config_selectorIslEEZNS1_25segmented_radix_sort_implIS3_Lb0EPKsPsPKlPlN2at6native12_GLOBAL__N_18offset_tEEE10hipError_tPvRmT1_PNSt15iterator_traitsISK_E10value_typeET2_T3_PNSL_ISQ_E10value_typeET4_jRbjT5_SW_jjP12ihipStream_tbEUlT_E_NS1_11comp_targetILNS1_3genE5ELNS1_11target_archE942ELNS1_3gpuE9ELNS1_3repE0EEENS1_30default_config_static_selectorELNS0_4arch9wavefront6targetE0EEEvSK_
		.amdhsa_group_segment_fixed_size 0
		.amdhsa_private_segment_fixed_size 0
		.amdhsa_kernarg_size 96
		.amdhsa_user_sgpr_count 2
		.amdhsa_user_sgpr_dispatch_ptr 0
		.amdhsa_user_sgpr_queue_ptr 0
		.amdhsa_user_sgpr_kernarg_segment_ptr 1
		.amdhsa_user_sgpr_dispatch_id 0
		.amdhsa_user_sgpr_kernarg_preload_length 0
		.amdhsa_user_sgpr_kernarg_preload_offset 0
		.amdhsa_user_sgpr_private_segment_size 0
		.amdhsa_wavefront_size32 1
		.amdhsa_uses_dynamic_stack 0
		.amdhsa_enable_private_segment 0
		.amdhsa_system_sgpr_workgroup_id_x 1
		.amdhsa_system_sgpr_workgroup_id_y 0
		.amdhsa_system_sgpr_workgroup_id_z 0
		.amdhsa_system_sgpr_workgroup_info 0
		.amdhsa_system_vgpr_workitem_id 0
		.amdhsa_next_free_vgpr 1
		.amdhsa_next_free_sgpr 1
		.amdhsa_named_barrier_count 0
		.amdhsa_reserve_vcc 0
		.amdhsa_float_round_mode_32 0
		.amdhsa_float_round_mode_16_64 0
		.amdhsa_float_denorm_mode_32 3
		.amdhsa_float_denorm_mode_16_64 3
		.amdhsa_fp16_overflow 0
		.amdhsa_memory_ordered 1
		.amdhsa_forward_progress 1
		.amdhsa_inst_pref_size 0
		.amdhsa_round_robin_scheduling 0
		.amdhsa_exception_fp_ieee_invalid_op 0
		.amdhsa_exception_fp_denorm_src 0
		.amdhsa_exception_fp_ieee_div_zero 0
		.amdhsa_exception_fp_ieee_overflow 0
		.amdhsa_exception_fp_ieee_underflow 0
		.amdhsa_exception_fp_ieee_inexact 0
		.amdhsa_exception_int_div_zero 0
	.end_amdhsa_kernel
	.section	.text._ZN7rocprim17ROCPRIM_400000_NS6detail17trampoline_kernelINS0_14default_configENS1_36segmented_radix_sort_config_selectorIslEEZNS1_25segmented_radix_sort_implIS3_Lb0EPKsPsPKlPlN2at6native12_GLOBAL__N_18offset_tEEE10hipError_tPvRmT1_PNSt15iterator_traitsISK_E10value_typeET2_T3_PNSL_ISQ_E10value_typeET4_jRbjT5_SW_jjP12ihipStream_tbEUlT_E_NS1_11comp_targetILNS1_3genE5ELNS1_11target_archE942ELNS1_3gpuE9ELNS1_3repE0EEENS1_30default_config_static_selectorELNS0_4arch9wavefront6targetE0EEEvSK_,"axG",@progbits,_ZN7rocprim17ROCPRIM_400000_NS6detail17trampoline_kernelINS0_14default_configENS1_36segmented_radix_sort_config_selectorIslEEZNS1_25segmented_radix_sort_implIS3_Lb0EPKsPsPKlPlN2at6native12_GLOBAL__N_18offset_tEEE10hipError_tPvRmT1_PNSt15iterator_traitsISK_E10value_typeET2_T3_PNSL_ISQ_E10value_typeET4_jRbjT5_SW_jjP12ihipStream_tbEUlT_E_NS1_11comp_targetILNS1_3genE5ELNS1_11target_archE942ELNS1_3gpuE9ELNS1_3repE0EEENS1_30default_config_static_selectorELNS0_4arch9wavefront6targetE0EEEvSK_,comdat
.Lfunc_end1011:
	.size	_ZN7rocprim17ROCPRIM_400000_NS6detail17trampoline_kernelINS0_14default_configENS1_36segmented_radix_sort_config_selectorIslEEZNS1_25segmented_radix_sort_implIS3_Lb0EPKsPsPKlPlN2at6native12_GLOBAL__N_18offset_tEEE10hipError_tPvRmT1_PNSt15iterator_traitsISK_E10value_typeET2_T3_PNSL_ISQ_E10value_typeET4_jRbjT5_SW_jjP12ihipStream_tbEUlT_E_NS1_11comp_targetILNS1_3genE5ELNS1_11target_archE942ELNS1_3gpuE9ELNS1_3repE0EEENS1_30default_config_static_selectorELNS0_4arch9wavefront6targetE0EEEvSK_, .Lfunc_end1011-_ZN7rocprim17ROCPRIM_400000_NS6detail17trampoline_kernelINS0_14default_configENS1_36segmented_radix_sort_config_selectorIslEEZNS1_25segmented_radix_sort_implIS3_Lb0EPKsPsPKlPlN2at6native12_GLOBAL__N_18offset_tEEE10hipError_tPvRmT1_PNSt15iterator_traitsISK_E10value_typeET2_T3_PNSL_ISQ_E10value_typeET4_jRbjT5_SW_jjP12ihipStream_tbEUlT_E_NS1_11comp_targetILNS1_3genE5ELNS1_11target_archE942ELNS1_3gpuE9ELNS1_3repE0EEENS1_30default_config_static_selectorELNS0_4arch9wavefront6targetE0EEEvSK_
                                        ; -- End function
	.set _ZN7rocprim17ROCPRIM_400000_NS6detail17trampoline_kernelINS0_14default_configENS1_36segmented_radix_sort_config_selectorIslEEZNS1_25segmented_radix_sort_implIS3_Lb0EPKsPsPKlPlN2at6native12_GLOBAL__N_18offset_tEEE10hipError_tPvRmT1_PNSt15iterator_traitsISK_E10value_typeET2_T3_PNSL_ISQ_E10value_typeET4_jRbjT5_SW_jjP12ihipStream_tbEUlT_E_NS1_11comp_targetILNS1_3genE5ELNS1_11target_archE942ELNS1_3gpuE9ELNS1_3repE0EEENS1_30default_config_static_selectorELNS0_4arch9wavefront6targetE0EEEvSK_.num_vgpr, 0
	.set _ZN7rocprim17ROCPRIM_400000_NS6detail17trampoline_kernelINS0_14default_configENS1_36segmented_radix_sort_config_selectorIslEEZNS1_25segmented_radix_sort_implIS3_Lb0EPKsPsPKlPlN2at6native12_GLOBAL__N_18offset_tEEE10hipError_tPvRmT1_PNSt15iterator_traitsISK_E10value_typeET2_T3_PNSL_ISQ_E10value_typeET4_jRbjT5_SW_jjP12ihipStream_tbEUlT_E_NS1_11comp_targetILNS1_3genE5ELNS1_11target_archE942ELNS1_3gpuE9ELNS1_3repE0EEENS1_30default_config_static_selectorELNS0_4arch9wavefront6targetE0EEEvSK_.num_agpr, 0
	.set _ZN7rocprim17ROCPRIM_400000_NS6detail17trampoline_kernelINS0_14default_configENS1_36segmented_radix_sort_config_selectorIslEEZNS1_25segmented_radix_sort_implIS3_Lb0EPKsPsPKlPlN2at6native12_GLOBAL__N_18offset_tEEE10hipError_tPvRmT1_PNSt15iterator_traitsISK_E10value_typeET2_T3_PNSL_ISQ_E10value_typeET4_jRbjT5_SW_jjP12ihipStream_tbEUlT_E_NS1_11comp_targetILNS1_3genE5ELNS1_11target_archE942ELNS1_3gpuE9ELNS1_3repE0EEENS1_30default_config_static_selectorELNS0_4arch9wavefront6targetE0EEEvSK_.numbered_sgpr, 0
	.set _ZN7rocprim17ROCPRIM_400000_NS6detail17trampoline_kernelINS0_14default_configENS1_36segmented_radix_sort_config_selectorIslEEZNS1_25segmented_radix_sort_implIS3_Lb0EPKsPsPKlPlN2at6native12_GLOBAL__N_18offset_tEEE10hipError_tPvRmT1_PNSt15iterator_traitsISK_E10value_typeET2_T3_PNSL_ISQ_E10value_typeET4_jRbjT5_SW_jjP12ihipStream_tbEUlT_E_NS1_11comp_targetILNS1_3genE5ELNS1_11target_archE942ELNS1_3gpuE9ELNS1_3repE0EEENS1_30default_config_static_selectorELNS0_4arch9wavefront6targetE0EEEvSK_.num_named_barrier, 0
	.set _ZN7rocprim17ROCPRIM_400000_NS6detail17trampoline_kernelINS0_14default_configENS1_36segmented_radix_sort_config_selectorIslEEZNS1_25segmented_radix_sort_implIS3_Lb0EPKsPsPKlPlN2at6native12_GLOBAL__N_18offset_tEEE10hipError_tPvRmT1_PNSt15iterator_traitsISK_E10value_typeET2_T3_PNSL_ISQ_E10value_typeET4_jRbjT5_SW_jjP12ihipStream_tbEUlT_E_NS1_11comp_targetILNS1_3genE5ELNS1_11target_archE942ELNS1_3gpuE9ELNS1_3repE0EEENS1_30default_config_static_selectorELNS0_4arch9wavefront6targetE0EEEvSK_.private_seg_size, 0
	.set _ZN7rocprim17ROCPRIM_400000_NS6detail17trampoline_kernelINS0_14default_configENS1_36segmented_radix_sort_config_selectorIslEEZNS1_25segmented_radix_sort_implIS3_Lb0EPKsPsPKlPlN2at6native12_GLOBAL__N_18offset_tEEE10hipError_tPvRmT1_PNSt15iterator_traitsISK_E10value_typeET2_T3_PNSL_ISQ_E10value_typeET4_jRbjT5_SW_jjP12ihipStream_tbEUlT_E_NS1_11comp_targetILNS1_3genE5ELNS1_11target_archE942ELNS1_3gpuE9ELNS1_3repE0EEENS1_30default_config_static_selectorELNS0_4arch9wavefront6targetE0EEEvSK_.uses_vcc, 0
	.set _ZN7rocprim17ROCPRIM_400000_NS6detail17trampoline_kernelINS0_14default_configENS1_36segmented_radix_sort_config_selectorIslEEZNS1_25segmented_radix_sort_implIS3_Lb0EPKsPsPKlPlN2at6native12_GLOBAL__N_18offset_tEEE10hipError_tPvRmT1_PNSt15iterator_traitsISK_E10value_typeET2_T3_PNSL_ISQ_E10value_typeET4_jRbjT5_SW_jjP12ihipStream_tbEUlT_E_NS1_11comp_targetILNS1_3genE5ELNS1_11target_archE942ELNS1_3gpuE9ELNS1_3repE0EEENS1_30default_config_static_selectorELNS0_4arch9wavefront6targetE0EEEvSK_.uses_flat_scratch, 0
	.set _ZN7rocprim17ROCPRIM_400000_NS6detail17trampoline_kernelINS0_14default_configENS1_36segmented_radix_sort_config_selectorIslEEZNS1_25segmented_radix_sort_implIS3_Lb0EPKsPsPKlPlN2at6native12_GLOBAL__N_18offset_tEEE10hipError_tPvRmT1_PNSt15iterator_traitsISK_E10value_typeET2_T3_PNSL_ISQ_E10value_typeET4_jRbjT5_SW_jjP12ihipStream_tbEUlT_E_NS1_11comp_targetILNS1_3genE5ELNS1_11target_archE942ELNS1_3gpuE9ELNS1_3repE0EEENS1_30default_config_static_selectorELNS0_4arch9wavefront6targetE0EEEvSK_.has_dyn_sized_stack, 0
	.set _ZN7rocprim17ROCPRIM_400000_NS6detail17trampoline_kernelINS0_14default_configENS1_36segmented_radix_sort_config_selectorIslEEZNS1_25segmented_radix_sort_implIS3_Lb0EPKsPsPKlPlN2at6native12_GLOBAL__N_18offset_tEEE10hipError_tPvRmT1_PNSt15iterator_traitsISK_E10value_typeET2_T3_PNSL_ISQ_E10value_typeET4_jRbjT5_SW_jjP12ihipStream_tbEUlT_E_NS1_11comp_targetILNS1_3genE5ELNS1_11target_archE942ELNS1_3gpuE9ELNS1_3repE0EEENS1_30default_config_static_selectorELNS0_4arch9wavefront6targetE0EEEvSK_.has_recursion, 0
	.set _ZN7rocprim17ROCPRIM_400000_NS6detail17trampoline_kernelINS0_14default_configENS1_36segmented_radix_sort_config_selectorIslEEZNS1_25segmented_radix_sort_implIS3_Lb0EPKsPsPKlPlN2at6native12_GLOBAL__N_18offset_tEEE10hipError_tPvRmT1_PNSt15iterator_traitsISK_E10value_typeET2_T3_PNSL_ISQ_E10value_typeET4_jRbjT5_SW_jjP12ihipStream_tbEUlT_E_NS1_11comp_targetILNS1_3genE5ELNS1_11target_archE942ELNS1_3gpuE9ELNS1_3repE0EEENS1_30default_config_static_selectorELNS0_4arch9wavefront6targetE0EEEvSK_.has_indirect_call, 0
	.section	.AMDGPU.csdata,"",@progbits
; Kernel info:
; codeLenInByte = 0
; TotalNumSgprs: 0
; NumVgprs: 0
; ScratchSize: 0
; MemoryBound: 0
; FloatMode: 240
; IeeeMode: 1
; LDSByteSize: 0 bytes/workgroup (compile time only)
; SGPRBlocks: 0
; VGPRBlocks: 0
; NumSGPRsForWavesPerEU: 1
; NumVGPRsForWavesPerEU: 1
; NamedBarCnt: 0
; Occupancy: 16
; WaveLimiterHint : 0
; COMPUTE_PGM_RSRC2:SCRATCH_EN: 0
; COMPUTE_PGM_RSRC2:USER_SGPR: 2
; COMPUTE_PGM_RSRC2:TRAP_HANDLER: 0
; COMPUTE_PGM_RSRC2:TGID_X_EN: 1
; COMPUTE_PGM_RSRC2:TGID_Y_EN: 0
; COMPUTE_PGM_RSRC2:TGID_Z_EN: 0
; COMPUTE_PGM_RSRC2:TIDIG_COMP_CNT: 0
	.section	.text._ZN7rocprim17ROCPRIM_400000_NS6detail17trampoline_kernelINS0_14default_configENS1_36segmented_radix_sort_config_selectorIslEEZNS1_25segmented_radix_sort_implIS3_Lb0EPKsPsPKlPlN2at6native12_GLOBAL__N_18offset_tEEE10hipError_tPvRmT1_PNSt15iterator_traitsISK_E10value_typeET2_T3_PNSL_ISQ_E10value_typeET4_jRbjT5_SW_jjP12ihipStream_tbEUlT_E_NS1_11comp_targetILNS1_3genE4ELNS1_11target_archE910ELNS1_3gpuE8ELNS1_3repE0EEENS1_30default_config_static_selectorELNS0_4arch9wavefront6targetE0EEEvSK_,"axG",@progbits,_ZN7rocprim17ROCPRIM_400000_NS6detail17trampoline_kernelINS0_14default_configENS1_36segmented_radix_sort_config_selectorIslEEZNS1_25segmented_radix_sort_implIS3_Lb0EPKsPsPKlPlN2at6native12_GLOBAL__N_18offset_tEEE10hipError_tPvRmT1_PNSt15iterator_traitsISK_E10value_typeET2_T3_PNSL_ISQ_E10value_typeET4_jRbjT5_SW_jjP12ihipStream_tbEUlT_E_NS1_11comp_targetILNS1_3genE4ELNS1_11target_archE910ELNS1_3gpuE8ELNS1_3repE0EEENS1_30default_config_static_selectorELNS0_4arch9wavefront6targetE0EEEvSK_,comdat
	.globl	_ZN7rocprim17ROCPRIM_400000_NS6detail17trampoline_kernelINS0_14default_configENS1_36segmented_radix_sort_config_selectorIslEEZNS1_25segmented_radix_sort_implIS3_Lb0EPKsPsPKlPlN2at6native12_GLOBAL__N_18offset_tEEE10hipError_tPvRmT1_PNSt15iterator_traitsISK_E10value_typeET2_T3_PNSL_ISQ_E10value_typeET4_jRbjT5_SW_jjP12ihipStream_tbEUlT_E_NS1_11comp_targetILNS1_3genE4ELNS1_11target_archE910ELNS1_3gpuE8ELNS1_3repE0EEENS1_30default_config_static_selectorELNS0_4arch9wavefront6targetE0EEEvSK_ ; -- Begin function _ZN7rocprim17ROCPRIM_400000_NS6detail17trampoline_kernelINS0_14default_configENS1_36segmented_radix_sort_config_selectorIslEEZNS1_25segmented_radix_sort_implIS3_Lb0EPKsPsPKlPlN2at6native12_GLOBAL__N_18offset_tEEE10hipError_tPvRmT1_PNSt15iterator_traitsISK_E10value_typeET2_T3_PNSL_ISQ_E10value_typeET4_jRbjT5_SW_jjP12ihipStream_tbEUlT_E_NS1_11comp_targetILNS1_3genE4ELNS1_11target_archE910ELNS1_3gpuE8ELNS1_3repE0EEENS1_30default_config_static_selectorELNS0_4arch9wavefront6targetE0EEEvSK_
	.p2align	8
	.type	_ZN7rocprim17ROCPRIM_400000_NS6detail17trampoline_kernelINS0_14default_configENS1_36segmented_radix_sort_config_selectorIslEEZNS1_25segmented_radix_sort_implIS3_Lb0EPKsPsPKlPlN2at6native12_GLOBAL__N_18offset_tEEE10hipError_tPvRmT1_PNSt15iterator_traitsISK_E10value_typeET2_T3_PNSL_ISQ_E10value_typeET4_jRbjT5_SW_jjP12ihipStream_tbEUlT_E_NS1_11comp_targetILNS1_3genE4ELNS1_11target_archE910ELNS1_3gpuE8ELNS1_3repE0EEENS1_30default_config_static_selectorELNS0_4arch9wavefront6targetE0EEEvSK_,@function
_ZN7rocprim17ROCPRIM_400000_NS6detail17trampoline_kernelINS0_14default_configENS1_36segmented_radix_sort_config_selectorIslEEZNS1_25segmented_radix_sort_implIS3_Lb0EPKsPsPKlPlN2at6native12_GLOBAL__N_18offset_tEEE10hipError_tPvRmT1_PNSt15iterator_traitsISK_E10value_typeET2_T3_PNSL_ISQ_E10value_typeET4_jRbjT5_SW_jjP12ihipStream_tbEUlT_E_NS1_11comp_targetILNS1_3genE4ELNS1_11target_archE910ELNS1_3gpuE8ELNS1_3repE0EEENS1_30default_config_static_selectorELNS0_4arch9wavefront6targetE0EEEvSK_: ; @_ZN7rocprim17ROCPRIM_400000_NS6detail17trampoline_kernelINS0_14default_configENS1_36segmented_radix_sort_config_selectorIslEEZNS1_25segmented_radix_sort_implIS3_Lb0EPKsPsPKlPlN2at6native12_GLOBAL__N_18offset_tEEE10hipError_tPvRmT1_PNSt15iterator_traitsISK_E10value_typeET2_T3_PNSL_ISQ_E10value_typeET4_jRbjT5_SW_jjP12ihipStream_tbEUlT_E_NS1_11comp_targetILNS1_3genE4ELNS1_11target_archE910ELNS1_3gpuE8ELNS1_3repE0EEENS1_30default_config_static_selectorELNS0_4arch9wavefront6targetE0EEEvSK_
; %bb.0:
	.section	.rodata,"a",@progbits
	.p2align	6, 0x0
	.amdhsa_kernel _ZN7rocprim17ROCPRIM_400000_NS6detail17trampoline_kernelINS0_14default_configENS1_36segmented_radix_sort_config_selectorIslEEZNS1_25segmented_radix_sort_implIS3_Lb0EPKsPsPKlPlN2at6native12_GLOBAL__N_18offset_tEEE10hipError_tPvRmT1_PNSt15iterator_traitsISK_E10value_typeET2_T3_PNSL_ISQ_E10value_typeET4_jRbjT5_SW_jjP12ihipStream_tbEUlT_E_NS1_11comp_targetILNS1_3genE4ELNS1_11target_archE910ELNS1_3gpuE8ELNS1_3repE0EEENS1_30default_config_static_selectorELNS0_4arch9wavefront6targetE0EEEvSK_
		.amdhsa_group_segment_fixed_size 0
		.amdhsa_private_segment_fixed_size 0
		.amdhsa_kernarg_size 96
		.amdhsa_user_sgpr_count 2
		.amdhsa_user_sgpr_dispatch_ptr 0
		.amdhsa_user_sgpr_queue_ptr 0
		.amdhsa_user_sgpr_kernarg_segment_ptr 1
		.amdhsa_user_sgpr_dispatch_id 0
		.amdhsa_user_sgpr_kernarg_preload_length 0
		.amdhsa_user_sgpr_kernarg_preload_offset 0
		.amdhsa_user_sgpr_private_segment_size 0
		.amdhsa_wavefront_size32 1
		.amdhsa_uses_dynamic_stack 0
		.amdhsa_enable_private_segment 0
		.amdhsa_system_sgpr_workgroup_id_x 1
		.amdhsa_system_sgpr_workgroup_id_y 0
		.amdhsa_system_sgpr_workgroup_id_z 0
		.amdhsa_system_sgpr_workgroup_info 0
		.amdhsa_system_vgpr_workitem_id 0
		.amdhsa_next_free_vgpr 1
		.amdhsa_next_free_sgpr 1
		.amdhsa_named_barrier_count 0
		.amdhsa_reserve_vcc 0
		.amdhsa_float_round_mode_32 0
		.amdhsa_float_round_mode_16_64 0
		.amdhsa_float_denorm_mode_32 3
		.amdhsa_float_denorm_mode_16_64 3
		.amdhsa_fp16_overflow 0
		.amdhsa_memory_ordered 1
		.amdhsa_forward_progress 1
		.amdhsa_inst_pref_size 0
		.amdhsa_round_robin_scheduling 0
		.amdhsa_exception_fp_ieee_invalid_op 0
		.amdhsa_exception_fp_denorm_src 0
		.amdhsa_exception_fp_ieee_div_zero 0
		.amdhsa_exception_fp_ieee_overflow 0
		.amdhsa_exception_fp_ieee_underflow 0
		.amdhsa_exception_fp_ieee_inexact 0
		.amdhsa_exception_int_div_zero 0
	.end_amdhsa_kernel
	.section	.text._ZN7rocprim17ROCPRIM_400000_NS6detail17trampoline_kernelINS0_14default_configENS1_36segmented_radix_sort_config_selectorIslEEZNS1_25segmented_radix_sort_implIS3_Lb0EPKsPsPKlPlN2at6native12_GLOBAL__N_18offset_tEEE10hipError_tPvRmT1_PNSt15iterator_traitsISK_E10value_typeET2_T3_PNSL_ISQ_E10value_typeET4_jRbjT5_SW_jjP12ihipStream_tbEUlT_E_NS1_11comp_targetILNS1_3genE4ELNS1_11target_archE910ELNS1_3gpuE8ELNS1_3repE0EEENS1_30default_config_static_selectorELNS0_4arch9wavefront6targetE0EEEvSK_,"axG",@progbits,_ZN7rocprim17ROCPRIM_400000_NS6detail17trampoline_kernelINS0_14default_configENS1_36segmented_radix_sort_config_selectorIslEEZNS1_25segmented_radix_sort_implIS3_Lb0EPKsPsPKlPlN2at6native12_GLOBAL__N_18offset_tEEE10hipError_tPvRmT1_PNSt15iterator_traitsISK_E10value_typeET2_T3_PNSL_ISQ_E10value_typeET4_jRbjT5_SW_jjP12ihipStream_tbEUlT_E_NS1_11comp_targetILNS1_3genE4ELNS1_11target_archE910ELNS1_3gpuE8ELNS1_3repE0EEENS1_30default_config_static_selectorELNS0_4arch9wavefront6targetE0EEEvSK_,comdat
.Lfunc_end1012:
	.size	_ZN7rocprim17ROCPRIM_400000_NS6detail17trampoline_kernelINS0_14default_configENS1_36segmented_radix_sort_config_selectorIslEEZNS1_25segmented_radix_sort_implIS3_Lb0EPKsPsPKlPlN2at6native12_GLOBAL__N_18offset_tEEE10hipError_tPvRmT1_PNSt15iterator_traitsISK_E10value_typeET2_T3_PNSL_ISQ_E10value_typeET4_jRbjT5_SW_jjP12ihipStream_tbEUlT_E_NS1_11comp_targetILNS1_3genE4ELNS1_11target_archE910ELNS1_3gpuE8ELNS1_3repE0EEENS1_30default_config_static_selectorELNS0_4arch9wavefront6targetE0EEEvSK_, .Lfunc_end1012-_ZN7rocprim17ROCPRIM_400000_NS6detail17trampoline_kernelINS0_14default_configENS1_36segmented_radix_sort_config_selectorIslEEZNS1_25segmented_radix_sort_implIS3_Lb0EPKsPsPKlPlN2at6native12_GLOBAL__N_18offset_tEEE10hipError_tPvRmT1_PNSt15iterator_traitsISK_E10value_typeET2_T3_PNSL_ISQ_E10value_typeET4_jRbjT5_SW_jjP12ihipStream_tbEUlT_E_NS1_11comp_targetILNS1_3genE4ELNS1_11target_archE910ELNS1_3gpuE8ELNS1_3repE0EEENS1_30default_config_static_selectorELNS0_4arch9wavefront6targetE0EEEvSK_
                                        ; -- End function
	.set _ZN7rocprim17ROCPRIM_400000_NS6detail17trampoline_kernelINS0_14default_configENS1_36segmented_radix_sort_config_selectorIslEEZNS1_25segmented_radix_sort_implIS3_Lb0EPKsPsPKlPlN2at6native12_GLOBAL__N_18offset_tEEE10hipError_tPvRmT1_PNSt15iterator_traitsISK_E10value_typeET2_T3_PNSL_ISQ_E10value_typeET4_jRbjT5_SW_jjP12ihipStream_tbEUlT_E_NS1_11comp_targetILNS1_3genE4ELNS1_11target_archE910ELNS1_3gpuE8ELNS1_3repE0EEENS1_30default_config_static_selectorELNS0_4arch9wavefront6targetE0EEEvSK_.num_vgpr, 0
	.set _ZN7rocprim17ROCPRIM_400000_NS6detail17trampoline_kernelINS0_14default_configENS1_36segmented_radix_sort_config_selectorIslEEZNS1_25segmented_radix_sort_implIS3_Lb0EPKsPsPKlPlN2at6native12_GLOBAL__N_18offset_tEEE10hipError_tPvRmT1_PNSt15iterator_traitsISK_E10value_typeET2_T3_PNSL_ISQ_E10value_typeET4_jRbjT5_SW_jjP12ihipStream_tbEUlT_E_NS1_11comp_targetILNS1_3genE4ELNS1_11target_archE910ELNS1_3gpuE8ELNS1_3repE0EEENS1_30default_config_static_selectorELNS0_4arch9wavefront6targetE0EEEvSK_.num_agpr, 0
	.set _ZN7rocprim17ROCPRIM_400000_NS6detail17trampoline_kernelINS0_14default_configENS1_36segmented_radix_sort_config_selectorIslEEZNS1_25segmented_radix_sort_implIS3_Lb0EPKsPsPKlPlN2at6native12_GLOBAL__N_18offset_tEEE10hipError_tPvRmT1_PNSt15iterator_traitsISK_E10value_typeET2_T3_PNSL_ISQ_E10value_typeET4_jRbjT5_SW_jjP12ihipStream_tbEUlT_E_NS1_11comp_targetILNS1_3genE4ELNS1_11target_archE910ELNS1_3gpuE8ELNS1_3repE0EEENS1_30default_config_static_selectorELNS0_4arch9wavefront6targetE0EEEvSK_.numbered_sgpr, 0
	.set _ZN7rocprim17ROCPRIM_400000_NS6detail17trampoline_kernelINS0_14default_configENS1_36segmented_radix_sort_config_selectorIslEEZNS1_25segmented_radix_sort_implIS3_Lb0EPKsPsPKlPlN2at6native12_GLOBAL__N_18offset_tEEE10hipError_tPvRmT1_PNSt15iterator_traitsISK_E10value_typeET2_T3_PNSL_ISQ_E10value_typeET4_jRbjT5_SW_jjP12ihipStream_tbEUlT_E_NS1_11comp_targetILNS1_3genE4ELNS1_11target_archE910ELNS1_3gpuE8ELNS1_3repE0EEENS1_30default_config_static_selectorELNS0_4arch9wavefront6targetE0EEEvSK_.num_named_barrier, 0
	.set _ZN7rocprim17ROCPRIM_400000_NS6detail17trampoline_kernelINS0_14default_configENS1_36segmented_radix_sort_config_selectorIslEEZNS1_25segmented_radix_sort_implIS3_Lb0EPKsPsPKlPlN2at6native12_GLOBAL__N_18offset_tEEE10hipError_tPvRmT1_PNSt15iterator_traitsISK_E10value_typeET2_T3_PNSL_ISQ_E10value_typeET4_jRbjT5_SW_jjP12ihipStream_tbEUlT_E_NS1_11comp_targetILNS1_3genE4ELNS1_11target_archE910ELNS1_3gpuE8ELNS1_3repE0EEENS1_30default_config_static_selectorELNS0_4arch9wavefront6targetE0EEEvSK_.private_seg_size, 0
	.set _ZN7rocprim17ROCPRIM_400000_NS6detail17trampoline_kernelINS0_14default_configENS1_36segmented_radix_sort_config_selectorIslEEZNS1_25segmented_radix_sort_implIS3_Lb0EPKsPsPKlPlN2at6native12_GLOBAL__N_18offset_tEEE10hipError_tPvRmT1_PNSt15iterator_traitsISK_E10value_typeET2_T3_PNSL_ISQ_E10value_typeET4_jRbjT5_SW_jjP12ihipStream_tbEUlT_E_NS1_11comp_targetILNS1_3genE4ELNS1_11target_archE910ELNS1_3gpuE8ELNS1_3repE0EEENS1_30default_config_static_selectorELNS0_4arch9wavefront6targetE0EEEvSK_.uses_vcc, 0
	.set _ZN7rocprim17ROCPRIM_400000_NS6detail17trampoline_kernelINS0_14default_configENS1_36segmented_radix_sort_config_selectorIslEEZNS1_25segmented_radix_sort_implIS3_Lb0EPKsPsPKlPlN2at6native12_GLOBAL__N_18offset_tEEE10hipError_tPvRmT1_PNSt15iterator_traitsISK_E10value_typeET2_T3_PNSL_ISQ_E10value_typeET4_jRbjT5_SW_jjP12ihipStream_tbEUlT_E_NS1_11comp_targetILNS1_3genE4ELNS1_11target_archE910ELNS1_3gpuE8ELNS1_3repE0EEENS1_30default_config_static_selectorELNS0_4arch9wavefront6targetE0EEEvSK_.uses_flat_scratch, 0
	.set _ZN7rocprim17ROCPRIM_400000_NS6detail17trampoline_kernelINS0_14default_configENS1_36segmented_radix_sort_config_selectorIslEEZNS1_25segmented_radix_sort_implIS3_Lb0EPKsPsPKlPlN2at6native12_GLOBAL__N_18offset_tEEE10hipError_tPvRmT1_PNSt15iterator_traitsISK_E10value_typeET2_T3_PNSL_ISQ_E10value_typeET4_jRbjT5_SW_jjP12ihipStream_tbEUlT_E_NS1_11comp_targetILNS1_3genE4ELNS1_11target_archE910ELNS1_3gpuE8ELNS1_3repE0EEENS1_30default_config_static_selectorELNS0_4arch9wavefront6targetE0EEEvSK_.has_dyn_sized_stack, 0
	.set _ZN7rocprim17ROCPRIM_400000_NS6detail17trampoline_kernelINS0_14default_configENS1_36segmented_radix_sort_config_selectorIslEEZNS1_25segmented_radix_sort_implIS3_Lb0EPKsPsPKlPlN2at6native12_GLOBAL__N_18offset_tEEE10hipError_tPvRmT1_PNSt15iterator_traitsISK_E10value_typeET2_T3_PNSL_ISQ_E10value_typeET4_jRbjT5_SW_jjP12ihipStream_tbEUlT_E_NS1_11comp_targetILNS1_3genE4ELNS1_11target_archE910ELNS1_3gpuE8ELNS1_3repE0EEENS1_30default_config_static_selectorELNS0_4arch9wavefront6targetE0EEEvSK_.has_recursion, 0
	.set _ZN7rocprim17ROCPRIM_400000_NS6detail17trampoline_kernelINS0_14default_configENS1_36segmented_radix_sort_config_selectorIslEEZNS1_25segmented_radix_sort_implIS3_Lb0EPKsPsPKlPlN2at6native12_GLOBAL__N_18offset_tEEE10hipError_tPvRmT1_PNSt15iterator_traitsISK_E10value_typeET2_T3_PNSL_ISQ_E10value_typeET4_jRbjT5_SW_jjP12ihipStream_tbEUlT_E_NS1_11comp_targetILNS1_3genE4ELNS1_11target_archE910ELNS1_3gpuE8ELNS1_3repE0EEENS1_30default_config_static_selectorELNS0_4arch9wavefront6targetE0EEEvSK_.has_indirect_call, 0
	.section	.AMDGPU.csdata,"",@progbits
; Kernel info:
; codeLenInByte = 0
; TotalNumSgprs: 0
; NumVgprs: 0
; ScratchSize: 0
; MemoryBound: 0
; FloatMode: 240
; IeeeMode: 1
; LDSByteSize: 0 bytes/workgroup (compile time only)
; SGPRBlocks: 0
; VGPRBlocks: 0
; NumSGPRsForWavesPerEU: 1
; NumVGPRsForWavesPerEU: 1
; NamedBarCnt: 0
; Occupancy: 16
; WaveLimiterHint : 0
; COMPUTE_PGM_RSRC2:SCRATCH_EN: 0
; COMPUTE_PGM_RSRC2:USER_SGPR: 2
; COMPUTE_PGM_RSRC2:TRAP_HANDLER: 0
; COMPUTE_PGM_RSRC2:TGID_X_EN: 1
; COMPUTE_PGM_RSRC2:TGID_Y_EN: 0
; COMPUTE_PGM_RSRC2:TGID_Z_EN: 0
; COMPUTE_PGM_RSRC2:TIDIG_COMP_CNT: 0
	.section	.text._ZN7rocprim17ROCPRIM_400000_NS6detail17trampoline_kernelINS0_14default_configENS1_36segmented_radix_sort_config_selectorIslEEZNS1_25segmented_radix_sort_implIS3_Lb0EPKsPsPKlPlN2at6native12_GLOBAL__N_18offset_tEEE10hipError_tPvRmT1_PNSt15iterator_traitsISK_E10value_typeET2_T3_PNSL_ISQ_E10value_typeET4_jRbjT5_SW_jjP12ihipStream_tbEUlT_E_NS1_11comp_targetILNS1_3genE3ELNS1_11target_archE908ELNS1_3gpuE7ELNS1_3repE0EEENS1_30default_config_static_selectorELNS0_4arch9wavefront6targetE0EEEvSK_,"axG",@progbits,_ZN7rocprim17ROCPRIM_400000_NS6detail17trampoline_kernelINS0_14default_configENS1_36segmented_radix_sort_config_selectorIslEEZNS1_25segmented_radix_sort_implIS3_Lb0EPKsPsPKlPlN2at6native12_GLOBAL__N_18offset_tEEE10hipError_tPvRmT1_PNSt15iterator_traitsISK_E10value_typeET2_T3_PNSL_ISQ_E10value_typeET4_jRbjT5_SW_jjP12ihipStream_tbEUlT_E_NS1_11comp_targetILNS1_3genE3ELNS1_11target_archE908ELNS1_3gpuE7ELNS1_3repE0EEENS1_30default_config_static_selectorELNS0_4arch9wavefront6targetE0EEEvSK_,comdat
	.globl	_ZN7rocprim17ROCPRIM_400000_NS6detail17trampoline_kernelINS0_14default_configENS1_36segmented_radix_sort_config_selectorIslEEZNS1_25segmented_radix_sort_implIS3_Lb0EPKsPsPKlPlN2at6native12_GLOBAL__N_18offset_tEEE10hipError_tPvRmT1_PNSt15iterator_traitsISK_E10value_typeET2_T3_PNSL_ISQ_E10value_typeET4_jRbjT5_SW_jjP12ihipStream_tbEUlT_E_NS1_11comp_targetILNS1_3genE3ELNS1_11target_archE908ELNS1_3gpuE7ELNS1_3repE0EEENS1_30default_config_static_selectorELNS0_4arch9wavefront6targetE0EEEvSK_ ; -- Begin function _ZN7rocprim17ROCPRIM_400000_NS6detail17trampoline_kernelINS0_14default_configENS1_36segmented_radix_sort_config_selectorIslEEZNS1_25segmented_radix_sort_implIS3_Lb0EPKsPsPKlPlN2at6native12_GLOBAL__N_18offset_tEEE10hipError_tPvRmT1_PNSt15iterator_traitsISK_E10value_typeET2_T3_PNSL_ISQ_E10value_typeET4_jRbjT5_SW_jjP12ihipStream_tbEUlT_E_NS1_11comp_targetILNS1_3genE3ELNS1_11target_archE908ELNS1_3gpuE7ELNS1_3repE0EEENS1_30default_config_static_selectorELNS0_4arch9wavefront6targetE0EEEvSK_
	.p2align	8
	.type	_ZN7rocprim17ROCPRIM_400000_NS6detail17trampoline_kernelINS0_14default_configENS1_36segmented_radix_sort_config_selectorIslEEZNS1_25segmented_radix_sort_implIS3_Lb0EPKsPsPKlPlN2at6native12_GLOBAL__N_18offset_tEEE10hipError_tPvRmT1_PNSt15iterator_traitsISK_E10value_typeET2_T3_PNSL_ISQ_E10value_typeET4_jRbjT5_SW_jjP12ihipStream_tbEUlT_E_NS1_11comp_targetILNS1_3genE3ELNS1_11target_archE908ELNS1_3gpuE7ELNS1_3repE0EEENS1_30default_config_static_selectorELNS0_4arch9wavefront6targetE0EEEvSK_,@function
_ZN7rocprim17ROCPRIM_400000_NS6detail17trampoline_kernelINS0_14default_configENS1_36segmented_radix_sort_config_selectorIslEEZNS1_25segmented_radix_sort_implIS3_Lb0EPKsPsPKlPlN2at6native12_GLOBAL__N_18offset_tEEE10hipError_tPvRmT1_PNSt15iterator_traitsISK_E10value_typeET2_T3_PNSL_ISQ_E10value_typeET4_jRbjT5_SW_jjP12ihipStream_tbEUlT_E_NS1_11comp_targetILNS1_3genE3ELNS1_11target_archE908ELNS1_3gpuE7ELNS1_3repE0EEENS1_30default_config_static_selectorELNS0_4arch9wavefront6targetE0EEEvSK_: ; @_ZN7rocprim17ROCPRIM_400000_NS6detail17trampoline_kernelINS0_14default_configENS1_36segmented_radix_sort_config_selectorIslEEZNS1_25segmented_radix_sort_implIS3_Lb0EPKsPsPKlPlN2at6native12_GLOBAL__N_18offset_tEEE10hipError_tPvRmT1_PNSt15iterator_traitsISK_E10value_typeET2_T3_PNSL_ISQ_E10value_typeET4_jRbjT5_SW_jjP12ihipStream_tbEUlT_E_NS1_11comp_targetILNS1_3genE3ELNS1_11target_archE908ELNS1_3gpuE7ELNS1_3repE0EEENS1_30default_config_static_selectorELNS0_4arch9wavefront6targetE0EEEvSK_
; %bb.0:
	.section	.rodata,"a",@progbits
	.p2align	6, 0x0
	.amdhsa_kernel _ZN7rocprim17ROCPRIM_400000_NS6detail17trampoline_kernelINS0_14default_configENS1_36segmented_radix_sort_config_selectorIslEEZNS1_25segmented_radix_sort_implIS3_Lb0EPKsPsPKlPlN2at6native12_GLOBAL__N_18offset_tEEE10hipError_tPvRmT1_PNSt15iterator_traitsISK_E10value_typeET2_T3_PNSL_ISQ_E10value_typeET4_jRbjT5_SW_jjP12ihipStream_tbEUlT_E_NS1_11comp_targetILNS1_3genE3ELNS1_11target_archE908ELNS1_3gpuE7ELNS1_3repE0EEENS1_30default_config_static_selectorELNS0_4arch9wavefront6targetE0EEEvSK_
		.amdhsa_group_segment_fixed_size 0
		.amdhsa_private_segment_fixed_size 0
		.amdhsa_kernarg_size 96
		.amdhsa_user_sgpr_count 2
		.amdhsa_user_sgpr_dispatch_ptr 0
		.amdhsa_user_sgpr_queue_ptr 0
		.amdhsa_user_sgpr_kernarg_segment_ptr 1
		.amdhsa_user_sgpr_dispatch_id 0
		.amdhsa_user_sgpr_kernarg_preload_length 0
		.amdhsa_user_sgpr_kernarg_preload_offset 0
		.amdhsa_user_sgpr_private_segment_size 0
		.amdhsa_wavefront_size32 1
		.amdhsa_uses_dynamic_stack 0
		.amdhsa_enable_private_segment 0
		.amdhsa_system_sgpr_workgroup_id_x 1
		.amdhsa_system_sgpr_workgroup_id_y 0
		.amdhsa_system_sgpr_workgroup_id_z 0
		.amdhsa_system_sgpr_workgroup_info 0
		.amdhsa_system_vgpr_workitem_id 0
		.amdhsa_next_free_vgpr 1
		.amdhsa_next_free_sgpr 1
		.amdhsa_named_barrier_count 0
		.amdhsa_reserve_vcc 0
		.amdhsa_float_round_mode_32 0
		.amdhsa_float_round_mode_16_64 0
		.amdhsa_float_denorm_mode_32 3
		.amdhsa_float_denorm_mode_16_64 3
		.amdhsa_fp16_overflow 0
		.amdhsa_memory_ordered 1
		.amdhsa_forward_progress 1
		.amdhsa_inst_pref_size 0
		.amdhsa_round_robin_scheduling 0
		.amdhsa_exception_fp_ieee_invalid_op 0
		.amdhsa_exception_fp_denorm_src 0
		.amdhsa_exception_fp_ieee_div_zero 0
		.amdhsa_exception_fp_ieee_overflow 0
		.amdhsa_exception_fp_ieee_underflow 0
		.amdhsa_exception_fp_ieee_inexact 0
		.amdhsa_exception_int_div_zero 0
	.end_amdhsa_kernel
	.section	.text._ZN7rocprim17ROCPRIM_400000_NS6detail17trampoline_kernelINS0_14default_configENS1_36segmented_radix_sort_config_selectorIslEEZNS1_25segmented_radix_sort_implIS3_Lb0EPKsPsPKlPlN2at6native12_GLOBAL__N_18offset_tEEE10hipError_tPvRmT1_PNSt15iterator_traitsISK_E10value_typeET2_T3_PNSL_ISQ_E10value_typeET4_jRbjT5_SW_jjP12ihipStream_tbEUlT_E_NS1_11comp_targetILNS1_3genE3ELNS1_11target_archE908ELNS1_3gpuE7ELNS1_3repE0EEENS1_30default_config_static_selectorELNS0_4arch9wavefront6targetE0EEEvSK_,"axG",@progbits,_ZN7rocprim17ROCPRIM_400000_NS6detail17trampoline_kernelINS0_14default_configENS1_36segmented_radix_sort_config_selectorIslEEZNS1_25segmented_radix_sort_implIS3_Lb0EPKsPsPKlPlN2at6native12_GLOBAL__N_18offset_tEEE10hipError_tPvRmT1_PNSt15iterator_traitsISK_E10value_typeET2_T3_PNSL_ISQ_E10value_typeET4_jRbjT5_SW_jjP12ihipStream_tbEUlT_E_NS1_11comp_targetILNS1_3genE3ELNS1_11target_archE908ELNS1_3gpuE7ELNS1_3repE0EEENS1_30default_config_static_selectorELNS0_4arch9wavefront6targetE0EEEvSK_,comdat
.Lfunc_end1013:
	.size	_ZN7rocprim17ROCPRIM_400000_NS6detail17trampoline_kernelINS0_14default_configENS1_36segmented_radix_sort_config_selectorIslEEZNS1_25segmented_radix_sort_implIS3_Lb0EPKsPsPKlPlN2at6native12_GLOBAL__N_18offset_tEEE10hipError_tPvRmT1_PNSt15iterator_traitsISK_E10value_typeET2_T3_PNSL_ISQ_E10value_typeET4_jRbjT5_SW_jjP12ihipStream_tbEUlT_E_NS1_11comp_targetILNS1_3genE3ELNS1_11target_archE908ELNS1_3gpuE7ELNS1_3repE0EEENS1_30default_config_static_selectorELNS0_4arch9wavefront6targetE0EEEvSK_, .Lfunc_end1013-_ZN7rocprim17ROCPRIM_400000_NS6detail17trampoline_kernelINS0_14default_configENS1_36segmented_radix_sort_config_selectorIslEEZNS1_25segmented_radix_sort_implIS3_Lb0EPKsPsPKlPlN2at6native12_GLOBAL__N_18offset_tEEE10hipError_tPvRmT1_PNSt15iterator_traitsISK_E10value_typeET2_T3_PNSL_ISQ_E10value_typeET4_jRbjT5_SW_jjP12ihipStream_tbEUlT_E_NS1_11comp_targetILNS1_3genE3ELNS1_11target_archE908ELNS1_3gpuE7ELNS1_3repE0EEENS1_30default_config_static_selectorELNS0_4arch9wavefront6targetE0EEEvSK_
                                        ; -- End function
	.set _ZN7rocprim17ROCPRIM_400000_NS6detail17trampoline_kernelINS0_14default_configENS1_36segmented_radix_sort_config_selectorIslEEZNS1_25segmented_radix_sort_implIS3_Lb0EPKsPsPKlPlN2at6native12_GLOBAL__N_18offset_tEEE10hipError_tPvRmT1_PNSt15iterator_traitsISK_E10value_typeET2_T3_PNSL_ISQ_E10value_typeET4_jRbjT5_SW_jjP12ihipStream_tbEUlT_E_NS1_11comp_targetILNS1_3genE3ELNS1_11target_archE908ELNS1_3gpuE7ELNS1_3repE0EEENS1_30default_config_static_selectorELNS0_4arch9wavefront6targetE0EEEvSK_.num_vgpr, 0
	.set _ZN7rocprim17ROCPRIM_400000_NS6detail17trampoline_kernelINS0_14default_configENS1_36segmented_radix_sort_config_selectorIslEEZNS1_25segmented_radix_sort_implIS3_Lb0EPKsPsPKlPlN2at6native12_GLOBAL__N_18offset_tEEE10hipError_tPvRmT1_PNSt15iterator_traitsISK_E10value_typeET2_T3_PNSL_ISQ_E10value_typeET4_jRbjT5_SW_jjP12ihipStream_tbEUlT_E_NS1_11comp_targetILNS1_3genE3ELNS1_11target_archE908ELNS1_3gpuE7ELNS1_3repE0EEENS1_30default_config_static_selectorELNS0_4arch9wavefront6targetE0EEEvSK_.num_agpr, 0
	.set _ZN7rocprim17ROCPRIM_400000_NS6detail17trampoline_kernelINS0_14default_configENS1_36segmented_radix_sort_config_selectorIslEEZNS1_25segmented_radix_sort_implIS3_Lb0EPKsPsPKlPlN2at6native12_GLOBAL__N_18offset_tEEE10hipError_tPvRmT1_PNSt15iterator_traitsISK_E10value_typeET2_T3_PNSL_ISQ_E10value_typeET4_jRbjT5_SW_jjP12ihipStream_tbEUlT_E_NS1_11comp_targetILNS1_3genE3ELNS1_11target_archE908ELNS1_3gpuE7ELNS1_3repE0EEENS1_30default_config_static_selectorELNS0_4arch9wavefront6targetE0EEEvSK_.numbered_sgpr, 0
	.set _ZN7rocprim17ROCPRIM_400000_NS6detail17trampoline_kernelINS0_14default_configENS1_36segmented_radix_sort_config_selectorIslEEZNS1_25segmented_radix_sort_implIS3_Lb0EPKsPsPKlPlN2at6native12_GLOBAL__N_18offset_tEEE10hipError_tPvRmT1_PNSt15iterator_traitsISK_E10value_typeET2_T3_PNSL_ISQ_E10value_typeET4_jRbjT5_SW_jjP12ihipStream_tbEUlT_E_NS1_11comp_targetILNS1_3genE3ELNS1_11target_archE908ELNS1_3gpuE7ELNS1_3repE0EEENS1_30default_config_static_selectorELNS0_4arch9wavefront6targetE0EEEvSK_.num_named_barrier, 0
	.set _ZN7rocprim17ROCPRIM_400000_NS6detail17trampoline_kernelINS0_14default_configENS1_36segmented_radix_sort_config_selectorIslEEZNS1_25segmented_radix_sort_implIS3_Lb0EPKsPsPKlPlN2at6native12_GLOBAL__N_18offset_tEEE10hipError_tPvRmT1_PNSt15iterator_traitsISK_E10value_typeET2_T3_PNSL_ISQ_E10value_typeET4_jRbjT5_SW_jjP12ihipStream_tbEUlT_E_NS1_11comp_targetILNS1_3genE3ELNS1_11target_archE908ELNS1_3gpuE7ELNS1_3repE0EEENS1_30default_config_static_selectorELNS0_4arch9wavefront6targetE0EEEvSK_.private_seg_size, 0
	.set _ZN7rocprim17ROCPRIM_400000_NS6detail17trampoline_kernelINS0_14default_configENS1_36segmented_radix_sort_config_selectorIslEEZNS1_25segmented_radix_sort_implIS3_Lb0EPKsPsPKlPlN2at6native12_GLOBAL__N_18offset_tEEE10hipError_tPvRmT1_PNSt15iterator_traitsISK_E10value_typeET2_T3_PNSL_ISQ_E10value_typeET4_jRbjT5_SW_jjP12ihipStream_tbEUlT_E_NS1_11comp_targetILNS1_3genE3ELNS1_11target_archE908ELNS1_3gpuE7ELNS1_3repE0EEENS1_30default_config_static_selectorELNS0_4arch9wavefront6targetE0EEEvSK_.uses_vcc, 0
	.set _ZN7rocprim17ROCPRIM_400000_NS6detail17trampoline_kernelINS0_14default_configENS1_36segmented_radix_sort_config_selectorIslEEZNS1_25segmented_radix_sort_implIS3_Lb0EPKsPsPKlPlN2at6native12_GLOBAL__N_18offset_tEEE10hipError_tPvRmT1_PNSt15iterator_traitsISK_E10value_typeET2_T3_PNSL_ISQ_E10value_typeET4_jRbjT5_SW_jjP12ihipStream_tbEUlT_E_NS1_11comp_targetILNS1_3genE3ELNS1_11target_archE908ELNS1_3gpuE7ELNS1_3repE0EEENS1_30default_config_static_selectorELNS0_4arch9wavefront6targetE0EEEvSK_.uses_flat_scratch, 0
	.set _ZN7rocprim17ROCPRIM_400000_NS6detail17trampoline_kernelINS0_14default_configENS1_36segmented_radix_sort_config_selectorIslEEZNS1_25segmented_radix_sort_implIS3_Lb0EPKsPsPKlPlN2at6native12_GLOBAL__N_18offset_tEEE10hipError_tPvRmT1_PNSt15iterator_traitsISK_E10value_typeET2_T3_PNSL_ISQ_E10value_typeET4_jRbjT5_SW_jjP12ihipStream_tbEUlT_E_NS1_11comp_targetILNS1_3genE3ELNS1_11target_archE908ELNS1_3gpuE7ELNS1_3repE0EEENS1_30default_config_static_selectorELNS0_4arch9wavefront6targetE0EEEvSK_.has_dyn_sized_stack, 0
	.set _ZN7rocprim17ROCPRIM_400000_NS6detail17trampoline_kernelINS0_14default_configENS1_36segmented_radix_sort_config_selectorIslEEZNS1_25segmented_radix_sort_implIS3_Lb0EPKsPsPKlPlN2at6native12_GLOBAL__N_18offset_tEEE10hipError_tPvRmT1_PNSt15iterator_traitsISK_E10value_typeET2_T3_PNSL_ISQ_E10value_typeET4_jRbjT5_SW_jjP12ihipStream_tbEUlT_E_NS1_11comp_targetILNS1_3genE3ELNS1_11target_archE908ELNS1_3gpuE7ELNS1_3repE0EEENS1_30default_config_static_selectorELNS0_4arch9wavefront6targetE0EEEvSK_.has_recursion, 0
	.set _ZN7rocprim17ROCPRIM_400000_NS6detail17trampoline_kernelINS0_14default_configENS1_36segmented_radix_sort_config_selectorIslEEZNS1_25segmented_radix_sort_implIS3_Lb0EPKsPsPKlPlN2at6native12_GLOBAL__N_18offset_tEEE10hipError_tPvRmT1_PNSt15iterator_traitsISK_E10value_typeET2_T3_PNSL_ISQ_E10value_typeET4_jRbjT5_SW_jjP12ihipStream_tbEUlT_E_NS1_11comp_targetILNS1_3genE3ELNS1_11target_archE908ELNS1_3gpuE7ELNS1_3repE0EEENS1_30default_config_static_selectorELNS0_4arch9wavefront6targetE0EEEvSK_.has_indirect_call, 0
	.section	.AMDGPU.csdata,"",@progbits
; Kernel info:
; codeLenInByte = 0
; TotalNumSgprs: 0
; NumVgprs: 0
; ScratchSize: 0
; MemoryBound: 0
; FloatMode: 240
; IeeeMode: 1
; LDSByteSize: 0 bytes/workgroup (compile time only)
; SGPRBlocks: 0
; VGPRBlocks: 0
; NumSGPRsForWavesPerEU: 1
; NumVGPRsForWavesPerEU: 1
; NamedBarCnt: 0
; Occupancy: 16
; WaveLimiterHint : 0
; COMPUTE_PGM_RSRC2:SCRATCH_EN: 0
; COMPUTE_PGM_RSRC2:USER_SGPR: 2
; COMPUTE_PGM_RSRC2:TRAP_HANDLER: 0
; COMPUTE_PGM_RSRC2:TGID_X_EN: 1
; COMPUTE_PGM_RSRC2:TGID_Y_EN: 0
; COMPUTE_PGM_RSRC2:TGID_Z_EN: 0
; COMPUTE_PGM_RSRC2:TIDIG_COMP_CNT: 0
	.section	.text._ZN7rocprim17ROCPRIM_400000_NS6detail17trampoline_kernelINS0_14default_configENS1_36segmented_radix_sort_config_selectorIslEEZNS1_25segmented_radix_sort_implIS3_Lb0EPKsPsPKlPlN2at6native12_GLOBAL__N_18offset_tEEE10hipError_tPvRmT1_PNSt15iterator_traitsISK_E10value_typeET2_T3_PNSL_ISQ_E10value_typeET4_jRbjT5_SW_jjP12ihipStream_tbEUlT_E_NS1_11comp_targetILNS1_3genE2ELNS1_11target_archE906ELNS1_3gpuE6ELNS1_3repE0EEENS1_30default_config_static_selectorELNS0_4arch9wavefront6targetE0EEEvSK_,"axG",@progbits,_ZN7rocprim17ROCPRIM_400000_NS6detail17trampoline_kernelINS0_14default_configENS1_36segmented_radix_sort_config_selectorIslEEZNS1_25segmented_radix_sort_implIS3_Lb0EPKsPsPKlPlN2at6native12_GLOBAL__N_18offset_tEEE10hipError_tPvRmT1_PNSt15iterator_traitsISK_E10value_typeET2_T3_PNSL_ISQ_E10value_typeET4_jRbjT5_SW_jjP12ihipStream_tbEUlT_E_NS1_11comp_targetILNS1_3genE2ELNS1_11target_archE906ELNS1_3gpuE6ELNS1_3repE0EEENS1_30default_config_static_selectorELNS0_4arch9wavefront6targetE0EEEvSK_,comdat
	.globl	_ZN7rocprim17ROCPRIM_400000_NS6detail17trampoline_kernelINS0_14default_configENS1_36segmented_radix_sort_config_selectorIslEEZNS1_25segmented_radix_sort_implIS3_Lb0EPKsPsPKlPlN2at6native12_GLOBAL__N_18offset_tEEE10hipError_tPvRmT1_PNSt15iterator_traitsISK_E10value_typeET2_T3_PNSL_ISQ_E10value_typeET4_jRbjT5_SW_jjP12ihipStream_tbEUlT_E_NS1_11comp_targetILNS1_3genE2ELNS1_11target_archE906ELNS1_3gpuE6ELNS1_3repE0EEENS1_30default_config_static_selectorELNS0_4arch9wavefront6targetE0EEEvSK_ ; -- Begin function _ZN7rocprim17ROCPRIM_400000_NS6detail17trampoline_kernelINS0_14default_configENS1_36segmented_radix_sort_config_selectorIslEEZNS1_25segmented_radix_sort_implIS3_Lb0EPKsPsPKlPlN2at6native12_GLOBAL__N_18offset_tEEE10hipError_tPvRmT1_PNSt15iterator_traitsISK_E10value_typeET2_T3_PNSL_ISQ_E10value_typeET4_jRbjT5_SW_jjP12ihipStream_tbEUlT_E_NS1_11comp_targetILNS1_3genE2ELNS1_11target_archE906ELNS1_3gpuE6ELNS1_3repE0EEENS1_30default_config_static_selectorELNS0_4arch9wavefront6targetE0EEEvSK_
	.p2align	8
	.type	_ZN7rocprim17ROCPRIM_400000_NS6detail17trampoline_kernelINS0_14default_configENS1_36segmented_radix_sort_config_selectorIslEEZNS1_25segmented_radix_sort_implIS3_Lb0EPKsPsPKlPlN2at6native12_GLOBAL__N_18offset_tEEE10hipError_tPvRmT1_PNSt15iterator_traitsISK_E10value_typeET2_T3_PNSL_ISQ_E10value_typeET4_jRbjT5_SW_jjP12ihipStream_tbEUlT_E_NS1_11comp_targetILNS1_3genE2ELNS1_11target_archE906ELNS1_3gpuE6ELNS1_3repE0EEENS1_30default_config_static_selectorELNS0_4arch9wavefront6targetE0EEEvSK_,@function
_ZN7rocprim17ROCPRIM_400000_NS6detail17trampoline_kernelINS0_14default_configENS1_36segmented_radix_sort_config_selectorIslEEZNS1_25segmented_radix_sort_implIS3_Lb0EPKsPsPKlPlN2at6native12_GLOBAL__N_18offset_tEEE10hipError_tPvRmT1_PNSt15iterator_traitsISK_E10value_typeET2_T3_PNSL_ISQ_E10value_typeET4_jRbjT5_SW_jjP12ihipStream_tbEUlT_E_NS1_11comp_targetILNS1_3genE2ELNS1_11target_archE906ELNS1_3gpuE6ELNS1_3repE0EEENS1_30default_config_static_selectorELNS0_4arch9wavefront6targetE0EEEvSK_: ; @_ZN7rocprim17ROCPRIM_400000_NS6detail17trampoline_kernelINS0_14default_configENS1_36segmented_radix_sort_config_selectorIslEEZNS1_25segmented_radix_sort_implIS3_Lb0EPKsPsPKlPlN2at6native12_GLOBAL__N_18offset_tEEE10hipError_tPvRmT1_PNSt15iterator_traitsISK_E10value_typeET2_T3_PNSL_ISQ_E10value_typeET4_jRbjT5_SW_jjP12ihipStream_tbEUlT_E_NS1_11comp_targetILNS1_3genE2ELNS1_11target_archE906ELNS1_3gpuE6ELNS1_3repE0EEENS1_30default_config_static_selectorELNS0_4arch9wavefront6targetE0EEEvSK_
; %bb.0:
	.section	.rodata,"a",@progbits
	.p2align	6, 0x0
	.amdhsa_kernel _ZN7rocprim17ROCPRIM_400000_NS6detail17trampoline_kernelINS0_14default_configENS1_36segmented_radix_sort_config_selectorIslEEZNS1_25segmented_radix_sort_implIS3_Lb0EPKsPsPKlPlN2at6native12_GLOBAL__N_18offset_tEEE10hipError_tPvRmT1_PNSt15iterator_traitsISK_E10value_typeET2_T3_PNSL_ISQ_E10value_typeET4_jRbjT5_SW_jjP12ihipStream_tbEUlT_E_NS1_11comp_targetILNS1_3genE2ELNS1_11target_archE906ELNS1_3gpuE6ELNS1_3repE0EEENS1_30default_config_static_selectorELNS0_4arch9wavefront6targetE0EEEvSK_
		.amdhsa_group_segment_fixed_size 0
		.amdhsa_private_segment_fixed_size 0
		.amdhsa_kernarg_size 96
		.amdhsa_user_sgpr_count 2
		.amdhsa_user_sgpr_dispatch_ptr 0
		.amdhsa_user_sgpr_queue_ptr 0
		.amdhsa_user_sgpr_kernarg_segment_ptr 1
		.amdhsa_user_sgpr_dispatch_id 0
		.amdhsa_user_sgpr_kernarg_preload_length 0
		.amdhsa_user_sgpr_kernarg_preload_offset 0
		.amdhsa_user_sgpr_private_segment_size 0
		.amdhsa_wavefront_size32 1
		.amdhsa_uses_dynamic_stack 0
		.amdhsa_enable_private_segment 0
		.amdhsa_system_sgpr_workgroup_id_x 1
		.amdhsa_system_sgpr_workgroup_id_y 0
		.amdhsa_system_sgpr_workgroup_id_z 0
		.amdhsa_system_sgpr_workgroup_info 0
		.amdhsa_system_vgpr_workitem_id 0
		.amdhsa_next_free_vgpr 1
		.amdhsa_next_free_sgpr 1
		.amdhsa_named_barrier_count 0
		.amdhsa_reserve_vcc 0
		.amdhsa_float_round_mode_32 0
		.amdhsa_float_round_mode_16_64 0
		.amdhsa_float_denorm_mode_32 3
		.amdhsa_float_denorm_mode_16_64 3
		.amdhsa_fp16_overflow 0
		.amdhsa_memory_ordered 1
		.amdhsa_forward_progress 1
		.amdhsa_inst_pref_size 0
		.amdhsa_round_robin_scheduling 0
		.amdhsa_exception_fp_ieee_invalid_op 0
		.amdhsa_exception_fp_denorm_src 0
		.amdhsa_exception_fp_ieee_div_zero 0
		.amdhsa_exception_fp_ieee_overflow 0
		.amdhsa_exception_fp_ieee_underflow 0
		.amdhsa_exception_fp_ieee_inexact 0
		.amdhsa_exception_int_div_zero 0
	.end_amdhsa_kernel
	.section	.text._ZN7rocprim17ROCPRIM_400000_NS6detail17trampoline_kernelINS0_14default_configENS1_36segmented_radix_sort_config_selectorIslEEZNS1_25segmented_radix_sort_implIS3_Lb0EPKsPsPKlPlN2at6native12_GLOBAL__N_18offset_tEEE10hipError_tPvRmT1_PNSt15iterator_traitsISK_E10value_typeET2_T3_PNSL_ISQ_E10value_typeET4_jRbjT5_SW_jjP12ihipStream_tbEUlT_E_NS1_11comp_targetILNS1_3genE2ELNS1_11target_archE906ELNS1_3gpuE6ELNS1_3repE0EEENS1_30default_config_static_selectorELNS0_4arch9wavefront6targetE0EEEvSK_,"axG",@progbits,_ZN7rocprim17ROCPRIM_400000_NS6detail17trampoline_kernelINS0_14default_configENS1_36segmented_radix_sort_config_selectorIslEEZNS1_25segmented_radix_sort_implIS3_Lb0EPKsPsPKlPlN2at6native12_GLOBAL__N_18offset_tEEE10hipError_tPvRmT1_PNSt15iterator_traitsISK_E10value_typeET2_T3_PNSL_ISQ_E10value_typeET4_jRbjT5_SW_jjP12ihipStream_tbEUlT_E_NS1_11comp_targetILNS1_3genE2ELNS1_11target_archE906ELNS1_3gpuE6ELNS1_3repE0EEENS1_30default_config_static_selectorELNS0_4arch9wavefront6targetE0EEEvSK_,comdat
.Lfunc_end1014:
	.size	_ZN7rocprim17ROCPRIM_400000_NS6detail17trampoline_kernelINS0_14default_configENS1_36segmented_radix_sort_config_selectorIslEEZNS1_25segmented_radix_sort_implIS3_Lb0EPKsPsPKlPlN2at6native12_GLOBAL__N_18offset_tEEE10hipError_tPvRmT1_PNSt15iterator_traitsISK_E10value_typeET2_T3_PNSL_ISQ_E10value_typeET4_jRbjT5_SW_jjP12ihipStream_tbEUlT_E_NS1_11comp_targetILNS1_3genE2ELNS1_11target_archE906ELNS1_3gpuE6ELNS1_3repE0EEENS1_30default_config_static_selectorELNS0_4arch9wavefront6targetE0EEEvSK_, .Lfunc_end1014-_ZN7rocprim17ROCPRIM_400000_NS6detail17trampoline_kernelINS0_14default_configENS1_36segmented_radix_sort_config_selectorIslEEZNS1_25segmented_radix_sort_implIS3_Lb0EPKsPsPKlPlN2at6native12_GLOBAL__N_18offset_tEEE10hipError_tPvRmT1_PNSt15iterator_traitsISK_E10value_typeET2_T3_PNSL_ISQ_E10value_typeET4_jRbjT5_SW_jjP12ihipStream_tbEUlT_E_NS1_11comp_targetILNS1_3genE2ELNS1_11target_archE906ELNS1_3gpuE6ELNS1_3repE0EEENS1_30default_config_static_selectorELNS0_4arch9wavefront6targetE0EEEvSK_
                                        ; -- End function
	.set _ZN7rocprim17ROCPRIM_400000_NS6detail17trampoline_kernelINS0_14default_configENS1_36segmented_radix_sort_config_selectorIslEEZNS1_25segmented_radix_sort_implIS3_Lb0EPKsPsPKlPlN2at6native12_GLOBAL__N_18offset_tEEE10hipError_tPvRmT1_PNSt15iterator_traitsISK_E10value_typeET2_T3_PNSL_ISQ_E10value_typeET4_jRbjT5_SW_jjP12ihipStream_tbEUlT_E_NS1_11comp_targetILNS1_3genE2ELNS1_11target_archE906ELNS1_3gpuE6ELNS1_3repE0EEENS1_30default_config_static_selectorELNS0_4arch9wavefront6targetE0EEEvSK_.num_vgpr, 0
	.set _ZN7rocprim17ROCPRIM_400000_NS6detail17trampoline_kernelINS0_14default_configENS1_36segmented_radix_sort_config_selectorIslEEZNS1_25segmented_radix_sort_implIS3_Lb0EPKsPsPKlPlN2at6native12_GLOBAL__N_18offset_tEEE10hipError_tPvRmT1_PNSt15iterator_traitsISK_E10value_typeET2_T3_PNSL_ISQ_E10value_typeET4_jRbjT5_SW_jjP12ihipStream_tbEUlT_E_NS1_11comp_targetILNS1_3genE2ELNS1_11target_archE906ELNS1_3gpuE6ELNS1_3repE0EEENS1_30default_config_static_selectorELNS0_4arch9wavefront6targetE0EEEvSK_.num_agpr, 0
	.set _ZN7rocprim17ROCPRIM_400000_NS6detail17trampoline_kernelINS0_14default_configENS1_36segmented_radix_sort_config_selectorIslEEZNS1_25segmented_radix_sort_implIS3_Lb0EPKsPsPKlPlN2at6native12_GLOBAL__N_18offset_tEEE10hipError_tPvRmT1_PNSt15iterator_traitsISK_E10value_typeET2_T3_PNSL_ISQ_E10value_typeET4_jRbjT5_SW_jjP12ihipStream_tbEUlT_E_NS1_11comp_targetILNS1_3genE2ELNS1_11target_archE906ELNS1_3gpuE6ELNS1_3repE0EEENS1_30default_config_static_selectorELNS0_4arch9wavefront6targetE0EEEvSK_.numbered_sgpr, 0
	.set _ZN7rocprim17ROCPRIM_400000_NS6detail17trampoline_kernelINS0_14default_configENS1_36segmented_radix_sort_config_selectorIslEEZNS1_25segmented_radix_sort_implIS3_Lb0EPKsPsPKlPlN2at6native12_GLOBAL__N_18offset_tEEE10hipError_tPvRmT1_PNSt15iterator_traitsISK_E10value_typeET2_T3_PNSL_ISQ_E10value_typeET4_jRbjT5_SW_jjP12ihipStream_tbEUlT_E_NS1_11comp_targetILNS1_3genE2ELNS1_11target_archE906ELNS1_3gpuE6ELNS1_3repE0EEENS1_30default_config_static_selectorELNS0_4arch9wavefront6targetE0EEEvSK_.num_named_barrier, 0
	.set _ZN7rocprim17ROCPRIM_400000_NS6detail17trampoline_kernelINS0_14default_configENS1_36segmented_radix_sort_config_selectorIslEEZNS1_25segmented_radix_sort_implIS3_Lb0EPKsPsPKlPlN2at6native12_GLOBAL__N_18offset_tEEE10hipError_tPvRmT1_PNSt15iterator_traitsISK_E10value_typeET2_T3_PNSL_ISQ_E10value_typeET4_jRbjT5_SW_jjP12ihipStream_tbEUlT_E_NS1_11comp_targetILNS1_3genE2ELNS1_11target_archE906ELNS1_3gpuE6ELNS1_3repE0EEENS1_30default_config_static_selectorELNS0_4arch9wavefront6targetE0EEEvSK_.private_seg_size, 0
	.set _ZN7rocprim17ROCPRIM_400000_NS6detail17trampoline_kernelINS0_14default_configENS1_36segmented_radix_sort_config_selectorIslEEZNS1_25segmented_radix_sort_implIS3_Lb0EPKsPsPKlPlN2at6native12_GLOBAL__N_18offset_tEEE10hipError_tPvRmT1_PNSt15iterator_traitsISK_E10value_typeET2_T3_PNSL_ISQ_E10value_typeET4_jRbjT5_SW_jjP12ihipStream_tbEUlT_E_NS1_11comp_targetILNS1_3genE2ELNS1_11target_archE906ELNS1_3gpuE6ELNS1_3repE0EEENS1_30default_config_static_selectorELNS0_4arch9wavefront6targetE0EEEvSK_.uses_vcc, 0
	.set _ZN7rocprim17ROCPRIM_400000_NS6detail17trampoline_kernelINS0_14default_configENS1_36segmented_radix_sort_config_selectorIslEEZNS1_25segmented_radix_sort_implIS3_Lb0EPKsPsPKlPlN2at6native12_GLOBAL__N_18offset_tEEE10hipError_tPvRmT1_PNSt15iterator_traitsISK_E10value_typeET2_T3_PNSL_ISQ_E10value_typeET4_jRbjT5_SW_jjP12ihipStream_tbEUlT_E_NS1_11comp_targetILNS1_3genE2ELNS1_11target_archE906ELNS1_3gpuE6ELNS1_3repE0EEENS1_30default_config_static_selectorELNS0_4arch9wavefront6targetE0EEEvSK_.uses_flat_scratch, 0
	.set _ZN7rocprim17ROCPRIM_400000_NS6detail17trampoline_kernelINS0_14default_configENS1_36segmented_radix_sort_config_selectorIslEEZNS1_25segmented_radix_sort_implIS3_Lb0EPKsPsPKlPlN2at6native12_GLOBAL__N_18offset_tEEE10hipError_tPvRmT1_PNSt15iterator_traitsISK_E10value_typeET2_T3_PNSL_ISQ_E10value_typeET4_jRbjT5_SW_jjP12ihipStream_tbEUlT_E_NS1_11comp_targetILNS1_3genE2ELNS1_11target_archE906ELNS1_3gpuE6ELNS1_3repE0EEENS1_30default_config_static_selectorELNS0_4arch9wavefront6targetE0EEEvSK_.has_dyn_sized_stack, 0
	.set _ZN7rocprim17ROCPRIM_400000_NS6detail17trampoline_kernelINS0_14default_configENS1_36segmented_radix_sort_config_selectorIslEEZNS1_25segmented_radix_sort_implIS3_Lb0EPKsPsPKlPlN2at6native12_GLOBAL__N_18offset_tEEE10hipError_tPvRmT1_PNSt15iterator_traitsISK_E10value_typeET2_T3_PNSL_ISQ_E10value_typeET4_jRbjT5_SW_jjP12ihipStream_tbEUlT_E_NS1_11comp_targetILNS1_3genE2ELNS1_11target_archE906ELNS1_3gpuE6ELNS1_3repE0EEENS1_30default_config_static_selectorELNS0_4arch9wavefront6targetE0EEEvSK_.has_recursion, 0
	.set _ZN7rocprim17ROCPRIM_400000_NS6detail17trampoline_kernelINS0_14default_configENS1_36segmented_radix_sort_config_selectorIslEEZNS1_25segmented_radix_sort_implIS3_Lb0EPKsPsPKlPlN2at6native12_GLOBAL__N_18offset_tEEE10hipError_tPvRmT1_PNSt15iterator_traitsISK_E10value_typeET2_T3_PNSL_ISQ_E10value_typeET4_jRbjT5_SW_jjP12ihipStream_tbEUlT_E_NS1_11comp_targetILNS1_3genE2ELNS1_11target_archE906ELNS1_3gpuE6ELNS1_3repE0EEENS1_30default_config_static_selectorELNS0_4arch9wavefront6targetE0EEEvSK_.has_indirect_call, 0
	.section	.AMDGPU.csdata,"",@progbits
; Kernel info:
; codeLenInByte = 0
; TotalNumSgprs: 0
; NumVgprs: 0
; ScratchSize: 0
; MemoryBound: 0
; FloatMode: 240
; IeeeMode: 1
; LDSByteSize: 0 bytes/workgroup (compile time only)
; SGPRBlocks: 0
; VGPRBlocks: 0
; NumSGPRsForWavesPerEU: 1
; NumVGPRsForWavesPerEU: 1
; NamedBarCnt: 0
; Occupancy: 16
; WaveLimiterHint : 0
; COMPUTE_PGM_RSRC2:SCRATCH_EN: 0
; COMPUTE_PGM_RSRC2:USER_SGPR: 2
; COMPUTE_PGM_RSRC2:TRAP_HANDLER: 0
; COMPUTE_PGM_RSRC2:TGID_X_EN: 1
; COMPUTE_PGM_RSRC2:TGID_Y_EN: 0
; COMPUTE_PGM_RSRC2:TGID_Z_EN: 0
; COMPUTE_PGM_RSRC2:TIDIG_COMP_CNT: 0
	.section	.text._ZN7rocprim17ROCPRIM_400000_NS6detail17trampoline_kernelINS0_14default_configENS1_36segmented_radix_sort_config_selectorIslEEZNS1_25segmented_radix_sort_implIS3_Lb0EPKsPsPKlPlN2at6native12_GLOBAL__N_18offset_tEEE10hipError_tPvRmT1_PNSt15iterator_traitsISK_E10value_typeET2_T3_PNSL_ISQ_E10value_typeET4_jRbjT5_SW_jjP12ihipStream_tbEUlT_E_NS1_11comp_targetILNS1_3genE10ELNS1_11target_archE1201ELNS1_3gpuE5ELNS1_3repE0EEENS1_30default_config_static_selectorELNS0_4arch9wavefront6targetE0EEEvSK_,"axG",@progbits,_ZN7rocprim17ROCPRIM_400000_NS6detail17trampoline_kernelINS0_14default_configENS1_36segmented_radix_sort_config_selectorIslEEZNS1_25segmented_radix_sort_implIS3_Lb0EPKsPsPKlPlN2at6native12_GLOBAL__N_18offset_tEEE10hipError_tPvRmT1_PNSt15iterator_traitsISK_E10value_typeET2_T3_PNSL_ISQ_E10value_typeET4_jRbjT5_SW_jjP12ihipStream_tbEUlT_E_NS1_11comp_targetILNS1_3genE10ELNS1_11target_archE1201ELNS1_3gpuE5ELNS1_3repE0EEENS1_30default_config_static_selectorELNS0_4arch9wavefront6targetE0EEEvSK_,comdat
	.globl	_ZN7rocprim17ROCPRIM_400000_NS6detail17trampoline_kernelINS0_14default_configENS1_36segmented_radix_sort_config_selectorIslEEZNS1_25segmented_radix_sort_implIS3_Lb0EPKsPsPKlPlN2at6native12_GLOBAL__N_18offset_tEEE10hipError_tPvRmT1_PNSt15iterator_traitsISK_E10value_typeET2_T3_PNSL_ISQ_E10value_typeET4_jRbjT5_SW_jjP12ihipStream_tbEUlT_E_NS1_11comp_targetILNS1_3genE10ELNS1_11target_archE1201ELNS1_3gpuE5ELNS1_3repE0EEENS1_30default_config_static_selectorELNS0_4arch9wavefront6targetE0EEEvSK_ ; -- Begin function _ZN7rocprim17ROCPRIM_400000_NS6detail17trampoline_kernelINS0_14default_configENS1_36segmented_radix_sort_config_selectorIslEEZNS1_25segmented_radix_sort_implIS3_Lb0EPKsPsPKlPlN2at6native12_GLOBAL__N_18offset_tEEE10hipError_tPvRmT1_PNSt15iterator_traitsISK_E10value_typeET2_T3_PNSL_ISQ_E10value_typeET4_jRbjT5_SW_jjP12ihipStream_tbEUlT_E_NS1_11comp_targetILNS1_3genE10ELNS1_11target_archE1201ELNS1_3gpuE5ELNS1_3repE0EEENS1_30default_config_static_selectorELNS0_4arch9wavefront6targetE0EEEvSK_
	.p2align	8
	.type	_ZN7rocprim17ROCPRIM_400000_NS6detail17trampoline_kernelINS0_14default_configENS1_36segmented_radix_sort_config_selectorIslEEZNS1_25segmented_radix_sort_implIS3_Lb0EPKsPsPKlPlN2at6native12_GLOBAL__N_18offset_tEEE10hipError_tPvRmT1_PNSt15iterator_traitsISK_E10value_typeET2_T3_PNSL_ISQ_E10value_typeET4_jRbjT5_SW_jjP12ihipStream_tbEUlT_E_NS1_11comp_targetILNS1_3genE10ELNS1_11target_archE1201ELNS1_3gpuE5ELNS1_3repE0EEENS1_30default_config_static_selectorELNS0_4arch9wavefront6targetE0EEEvSK_,@function
_ZN7rocprim17ROCPRIM_400000_NS6detail17trampoline_kernelINS0_14default_configENS1_36segmented_radix_sort_config_selectorIslEEZNS1_25segmented_radix_sort_implIS3_Lb0EPKsPsPKlPlN2at6native12_GLOBAL__N_18offset_tEEE10hipError_tPvRmT1_PNSt15iterator_traitsISK_E10value_typeET2_T3_PNSL_ISQ_E10value_typeET4_jRbjT5_SW_jjP12ihipStream_tbEUlT_E_NS1_11comp_targetILNS1_3genE10ELNS1_11target_archE1201ELNS1_3gpuE5ELNS1_3repE0EEENS1_30default_config_static_selectorELNS0_4arch9wavefront6targetE0EEEvSK_: ; @_ZN7rocprim17ROCPRIM_400000_NS6detail17trampoline_kernelINS0_14default_configENS1_36segmented_radix_sort_config_selectorIslEEZNS1_25segmented_radix_sort_implIS3_Lb0EPKsPsPKlPlN2at6native12_GLOBAL__N_18offset_tEEE10hipError_tPvRmT1_PNSt15iterator_traitsISK_E10value_typeET2_T3_PNSL_ISQ_E10value_typeET4_jRbjT5_SW_jjP12ihipStream_tbEUlT_E_NS1_11comp_targetILNS1_3genE10ELNS1_11target_archE1201ELNS1_3gpuE5ELNS1_3repE0EEENS1_30default_config_static_selectorELNS0_4arch9wavefront6targetE0EEEvSK_
; %bb.0:
	.section	.rodata,"a",@progbits
	.p2align	6, 0x0
	.amdhsa_kernel _ZN7rocprim17ROCPRIM_400000_NS6detail17trampoline_kernelINS0_14default_configENS1_36segmented_radix_sort_config_selectorIslEEZNS1_25segmented_radix_sort_implIS3_Lb0EPKsPsPKlPlN2at6native12_GLOBAL__N_18offset_tEEE10hipError_tPvRmT1_PNSt15iterator_traitsISK_E10value_typeET2_T3_PNSL_ISQ_E10value_typeET4_jRbjT5_SW_jjP12ihipStream_tbEUlT_E_NS1_11comp_targetILNS1_3genE10ELNS1_11target_archE1201ELNS1_3gpuE5ELNS1_3repE0EEENS1_30default_config_static_selectorELNS0_4arch9wavefront6targetE0EEEvSK_
		.amdhsa_group_segment_fixed_size 0
		.amdhsa_private_segment_fixed_size 0
		.amdhsa_kernarg_size 96
		.amdhsa_user_sgpr_count 2
		.amdhsa_user_sgpr_dispatch_ptr 0
		.amdhsa_user_sgpr_queue_ptr 0
		.amdhsa_user_sgpr_kernarg_segment_ptr 1
		.amdhsa_user_sgpr_dispatch_id 0
		.amdhsa_user_sgpr_kernarg_preload_length 0
		.amdhsa_user_sgpr_kernarg_preload_offset 0
		.amdhsa_user_sgpr_private_segment_size 0
		.amdhsa_wavefront_size32 1
		.amdhsa_uses_dynamic_stack 0
		.amdhsa_enable_private_segment 0
		.amdhsa_system_sgpr_workgroup_id_x 1
		.amdhsa_system_sgpr_workgroup_id_y 0
		.amdhsa_system_sgpr_workgroup_id_z 0
		.amdhsa_system_sgpr_workgroup_info 0
		.amdhsa_system_vgpr_workitem_id 0
		.amdhsa_next_free_vgpr 1
		.amdhsa_next_free_sgpr 1
		.amdhsa_named_barrier_count 0
		.amdhsa_reserve_vcc 0
		.amdhsa_float_round_mode_32 0
		.amdhsa_float_round_mode_16_64 0
		.amdhsa_float_denorm_mode_32 3
		.amdhsa_float_denorm_mode_16_64 3
		.amdhsa_fp16_overflow 0
		.amdhsa_memory_ordered 1
		.amdhsa_forward_progress 1
		.amdhsa_inst_pref_size 0
		.amdhsa_round_robin_scheduling 0
		.amdhsa_exception_fp_ieee_invalid_op 0
		.amdhsa_exception_fp_denorm_src 0
		.amdhsa_exception_fp_ieee_div_zero 0
		.amdhsa_exception_fp_ieee_overflow 0
		.amdhsa_exception_fp_ieee_underflow 0
		.amdhsa_exception_fp_ieee_inexact 0
		.amdhsa_exception_int_div_zero 0
	.end_amdhsa_kernel
	.section	.text._ZN7rocprim17ROCPRIM_400000_NS6detail17trampoline_kernelINS0_14default_configENS1_36segmented_radix_sort_config_selectorIslEEZNS1_25segmented_radix_sort_implIS3_Lb0EPKsPsPKlPlN2at6native12_GLOBAL__N_18offset_tEEE10hipError_tPvRmT1_PNSt15iterator_traitsISK_E10value_typeET2_T3_PNSL_ISQ_E10value_typeET4_jRbjT5_SW_jjP12ihipStream_tbEUlT_E_NS1_11comp_targetILNS1_3genE10ELNS1_11target_archE1201ELNS1_3gpuE5ELNS1_3repE0EEENS1_30default_config_static_selectorELNS0_4arch9wavefront6targetE0EEEvSK_,"axG",@progbits,_ZN7rocprim17ROCPRIM_400000_NS6detail17trampoline_kernelINS0_14default_configENS1_36segmented_radix_sort_config_selectorIslEEZNS1_25segmented_radix_sort_implIS3_Lb0EPKsPsPKlPlN2at6native12_GLOBAL__N_18offset_tEEE10hipError_tPvRmT1_PNSt15iterator_traitsISK_E10value_typeET2_T3_PNSL_ISQ_E10value_typeET4_jRbjT5_SW_jjP12ihipStream_tbEUlT_E_NS1_11comp_targetILNS1_3genE10ELNS1_11target_archE1201ELNS1_3gpuE5ELNS1_3repE0EEENS1_30default_config_static_selectorELNS0_4arch9wavefront6targetE0EEEvSK_,comdat
.Lfunc_end1015:
	.size	_ZN7rocprim17ROCPRIM_400000_NS6detail17trampoline_kernelINS0_14default_configENS1_36segmented_radix_sort_config_selectorIslEEZNS1_25segmented_radix_sort_implIS3_Lb0EPKsPsPKlPlN2at6native12_GLOBAL__N_18offset_tEEE10hipError_tPvRmT1_PNSt15iterator_traitsISK_E10value_typeET2_T3_PNSL_ISQ_E10value_typeET4_jRbjT5_SW_jjP12ihipStream_tbEUlT_E_NS1_11comp_targetILNS1_3genE10ELNS1_11target_archE1201ELNS1_3gpuE5ELNS1_3repE0EEENS1_30default_config_static_selectorELNS0_4arch9wavefront6targetE0EEEvSK_, .Lfunc_end1015-_ZN7rocprim17ROCPRIM_400000_NS6detail17trampoline_kernelINS0_14default_configENS1_36segmented_radix_sort_config_selectorIslEEZNS1_25segmented_radix_sort_implIS3_Lb0EPKsPsPKlPlN2at6native12_GLOBAL__N_18offset_tEEE10hipError_tPvRmT1_PNSt15iterator_traitsISK_E10value_typeET2_T3_PNSL_ISQ_E10value_typeET4_jRbjT5_SW_jjP12ihipStream_tbEUlT_E_NS1_11comp_targetILNS1_3genE10ELNS1_11target_archE1201ELNS1_3gpuE5ELNS1_3repE0EEENS1_30default_config_static_selectorELNS0_4arch9wavefront6targetE0EEEvSK_
                                        ; -- End function
	.set _ZN7rocprim17ROCPRIM_400000_NS6detail17trampoline_kernelINS0_14default_configENS1_36segmented_radix_sort_config_selectorIslEEZNS1_25segmented_radix_sort_implIS3_Lb0EPKsPsPKlPlN2at6native12_GLOBAL__N_18offset_tEEE10hipError_tPvRmT1_PNSt15iterator_traitsISK_E10value_typeET2_T3_PNSL_ISQ_E10value_typeET4_jRbjT5_SW_jjP12ihipStream_tbEUlT_E_NS1_11comp_targetILNS1_3genE10ELNS1_11target_archE1201ELNS1_3gpuE5ELNS1_3repE0EEENS1_30default_config_static_selectorELNS0_4arch9wavefront6targetE0EEEvSK_.num_vgpr, 0
	.set _ZN7rocprim17ROCPRIM_400000_NS6detail17trampoline_kernelINS0_14default_configENS1_36segmented_radix_sort_config_selectorIslEEZNS1_25segmented_radix_sort_implIS3_Lb0EPKsPsPKlPlN2at6native12_GLOBAL__N_18offset_tEEE10hipError_tPvRmT1_PNSt15iterator_traitsISK_E10value_typeET2_T3_PNSL_ISQ_E10value_typeET4_jRbjT5_SW_jjP12ihipStream_tbEUlT_E_NS1_11comp_targetILNS1_3genE10ELNS1_11target_archE1201ELNS1_3gpuE5ELNS1_3repE0EEENS1_30default_config_static_selectorELNS0_4arch9wavefront6targetE0EEEvSK_.num_agpr, 0
	.set _ZN7rocprim17ROCPRIM_400000_NS6detail17trampoline_kernelINS0_14default_configENS1_36segmented_radix_sort_config_selectorIslEEZNS1_25segmented_radix_sort_implIS3_Lb0EPKsPsPKlPlN2at6native12_GLOBAL__N_18offset_tEEE10hipError_tPvRmT1_PNSt15iterator_traitsISK_E10value_typeET2_T3_PNSL_ISQ_E10value_typeET4_jRbjT5_SW_jjP12ihipStream_tbEUlT_E_NS1_11comp_targetILNS1_3genE10ELNS1_11target_archE1201ELNS1_3gpuE5ELNS1_3repE0EEENS1_30default_config_static_selectorELNS0_4arch9wavefront6targetE0EEEvSK_.numbered_sgpr, 0
	.set _ZN7rocprim17ROCPRIM_400000_NS6detail17trampoline_kernelINS0_14default_configENS1_36segmented_radix_sort_config_selectorIslEEZNS1_25segmented_radix_sort_implIS3_Lb0EPKsPsPKlPlN2at6native12_GLOBAL__N_18offset_tEEE10hipError_tPvRmT1_PNSt15iterator_traitsISK_E10value_typeET2_T3_PNSL_ISQ_E10value_typeET4_jRbjT5_SW_jjP12ihipStream_tbEUlT_E_NS1_11comp_targetILNS1_3genE10ELNS1_11target_archE1201ELNS1_3gpuE5ELNS1_3repE0EEENS1_30default_config_static_selectorELNS0_4arch9wavefront6targetE0EEEvSK_.num_named_barrier, 0
	.set _ZN7rocprim17ROCPRIM_400000_NS6detail17trampoline_kernelINS0_14default_configENS1_36segmented_radix_sort_config_selectorIslEEZNS1_25segmented_radix_sort_implIS3_Lb0EPKsPsPKlPlN2at6native12_GLOBAL__N_18offset_tEEE10hipError_tPvRmT1_PNSt15iterator_traitsISK_E10value_typeET2_T3_PNSL_ISQ_E10value_typeET4_jRbjT5_SW_jjP12ihipStream_tbEUlT_E_NS1_11comp_targetILNS1_3genE10ELNS1_11target_archE1201ELNS1_3gpuE5ELNS1_3repE0EEENS1_30default_config_static_selectorELNS0_4arch9wavefront6targetE0EEEvSK_.private_seg_size, 0
	.set _ZN7rocprim17ROCPRIM_400000_NS6detail17trampoline_kernelINS0_14default_configENS1_36segmented_radix_sort_config_selectorIslEEZNS1_25segmented_radix_sort_implIS3_Lb0EPKsPsPKlPlN2at6native12_GLOBAL__N_18offset_tEEE10hipError_tPvRmT1_PNSt15iterator_traitsISK_E10value_typeET2_T3_PNSL_ISQ_E10value_typeET4_jRbjT5_SW_jjP12ihipStream_tbEUlT_E_NS1_11comp_targetILNS1_3genE10ELNS1_11target_archE1201ELNS1_3gpuE5ELNS1_3repE0EEENS1_30default_config_static_selectorELNS0_4arch9wavefront6targetE0EEEvSK_.uses_vcc, 0
	.set _ZN7rocprim17ROCPRIM_400000_NS6detail17trampoline_kernelINS0_14default_configENS1_36segmented_radix_sort_config_selectorIslEEZNS1_25segmented_radix_sort_implIS3_Lb0EPKsPsPKlPlN2at6native12_GLOBAL__N_18offset_tEEE10hipError_tPvRmT1_PNSt15iterator_traitsISK_E10value_typeET2_T3_PNSL_ISQ_E10value_typeET4_jRbjT5_SW_jjP12ihipStream_tbEUlT_E_NS1_11comp_targetILNS1_3genE10ELNS1_11target_archE1201ELNS1_3gpuE5ELNS1_3repE0EEENS1_30default_config_static_selectorELNS0_4arch9wavefront6targetE0EEEvSK_.uses_flat_scratch, 0
	.set _ZN7rocprim17ROCPRIM_400000_NS6detail17trampoline_kernelINS0_14default_configENS1_36segmented_radix_sort_config_selectorIslEEZNS1_25segmented_radix_sort_implIS3_Lb0EPKsPsPKlPlN2at6native12_GLOBAL__N_18offset_tEEE10hipError_tPvRmT1_PNSt15iterator_traitsISK_E10value_typeET2_T3_PNSL_ISQ_E10value_typeET4_jRbjT5_SW_jjP12ihipStream_tbEUlT_E_NS1_11comp_targetILNS1_3genE10ELNS1_11target_archE1201ELNS1_3gpuE5ELNS1_3repE0EEENS1_30default_config_static_selectorELNS0_4arch9wavefront6targetE0EEEvSK_.has_dyn_sized_stack, 0
	.set _ZN7rocprim17ROCPRIM_400000_NS6detail17trampoline_kernelINS0_14default_configENS1_36segmented_radix_sort_config_selectorIslEEZNS1_25segmented_radix_sort_implIS3_Lb0EPKsPsPKlPlN2at6native12_GLOBAL__N_18offset_tEEE10hipError_tPvRmT1_PNSt15iterator_traitsISK_E10value_typeET2_T3_PNSL_ISQ_E10value_typeET4_jRbjT5_SW_jjP12ihipStream_tbEUlT_E_NS1_11comp_targetILNS1_3genE10ELNS1_11target_archE1201ELNS1_3gpuE5ELNS1_3repE0EEENS1_30default_config_static_selectorELNS0_4arch9wavefront6targetE0EEEvSK_.has_recursion, 0
	.set _ZN7rocprim17ROCPRIM_400000_NS6detail17trampoline_kernelINS0_14default_configENS1_36segmented_radix_sort_config_selectorIslEEZNS1_25segmented_radix_sort_implIS3_Lb0EPKsPsPKlPlN2at6native12_GLOBAL__N_18offset_tEEE10hipError_tPvRmT1_PNSt15iterator_traitsISK_E10value_typeET2_T3_PNSL_ISQ_E10value_typeET4_jRbjT5_SW_jjP12ihipStream_tbEUlT_E_NS1_11comp_targetILNS1_3genE10ELNS1_11target_archE1201ELNS1_3gpuE5ELNS1_3repE0EEENS1_30default_config_static_selectorELNS0_4arch9wavefront6targetE0EEEvSK_.has_indirect_call, 0
	.section	.AMDGPU.csdata,"",@progbits
; Kernel info:
; codeLenInByte = 0
; TotalNumSgprs: 0
; NumVgprs: 0
; ScratchSize: 0
; MemoryBound: 0
; FloatMode: 240
; IeeeMode: 1
; LDSByteSize: 0 bytes/workgroup (compile time only)
; SGPRBlocks: 0
; VGPRBlocks: 0
; NumSGPRsForWavesPerEU: 1
; NumVGPRsForWavesPerEU: 1
; NamedBarCnt: 0
; Occupancy: 16
; WaveLimiterHint : 0
; COMPUTE_PGM_RSRC2:SCRATCH_EN: 0
; COMPUTE_PGM_RSRC2:USER_SGPR: 2
; COMPUTE_PGM_RSRC2:TRAP_HANDLER: 0
; COMPUTE_PGM_RSRC2:TGID_X_EN: 1
; COMPUTE_PGM_RSRC2:TGID_Y_EN: 0
; COMPUTE_PGM_RSRC2:TGID_Z_EN: 0
; COMPUTE_PGM_RSRC2:TIDIG_COMP_CNT: 0
	.section	.text._ZN7rocprim17ROCPRIM_400000_NS6detail17trampoline_kernelINS0_14default_configENS1_36segmented_radix_sort_config_selectorIslEEZNS1_25segmented_radix_sort_implIS3_Lb0EPKsPsPKlPlN2at6native12_GLOBAL__N_18offset_tEEE10hipError_tPvRmT1_PNSt15iterator_traitsISK_E10value_typeET2_T3_PNSL_ISQ_E10value_typeET4_jRbjT5_SW_jjP12ihipStream_tbEUlT_E_NS1_11comp_targetILNS1_3genE10ELNS1_11target_archE1200ELNS1_3gpuE4ELNS1_3repE0EEENS1_30default_config_static_selectorELNS0_4arch9wavefront6targetE0EEEvSK_,"axG",@progbits,_ZN7rocprim17ROCPRIM_400000_NS6detail17trampoline_kernelINS0_14default_configENS1_36segmented_radix_sort_config_selectorIslEEZNS1_25segmented_radix_sort_implIS3_Lb0EPKsPsPKlPlN2at6native12_GLOBAL__N_18offset_tEEE10hipError_tPvRmT1_PNSt15iterator_traitsISK_E10value_typeET2_T3_PNSL_ISQ_E10value_typeET4_jRbjT5_SW_jjP12ihipStream_tbEUlT_E_NS1_11comp_targetILNS1_3genE10ELNS1_11target_archE1200ELNS1_3gpuE4ELNS1_3repE0EEENS1_30default_config_static_selectorELNS0_4arch9wavefront6targetE0EEEvSK_,comdat
	.globl	_ZN7rocprim17ROCPRIM_400000_NS6detail17trampoline_kernelINS0_14default_configENS1_36segmented_radix_sort_config_selectorIslEEZNS1_25segmented_radix_sort_implIS3_Lb0EPKsPsPKlPlN2at6native12_GLOBAL__N_18offset_tEEE10hipError_tPvRmT1_PNSt15iterator_traitsISK_E10value_typeET2_T3_PNSL_ISQ_E10value_typeET4_jRbjT5_SW_jjP12ihipStream_tbEUlT_E_NS1_11comp_targetILNS1_3genE10ELNS1_11target_archE1200ELNS1_3gpuE4ELNS1_3repE0EEENS1_30default_config_static_selectorELNS0_4arch9wavefront6targetE0EEEvSK_ ; -- Begin function _ZN7rocprim17ROCPRIM_400000_NS6detail17trampoline_kernelINS0_14default_configENS1_36segmented_radix_sort_config_selectorIslEEZNS1_25segmented_radix_sort_implIS3_Lb0EPKsPsPKlPlN2at6native12_GLOBAL__N_18offset_tEEE10hipError_tPvRmT1_PNSt15iterator_traitsISK_E10value_typeET2_T3_PNSL_ISQ_E10value_typeET4_jRbjT5_SW_jjP12ihipStream_tbEUlT_E_NS1_11comp_targetILNS1_3genE10ELNS1_11target_archE1200ELNS1_3gpuE4ELNS1_3repE0EEENS1_30default_config_static_selectorELNS0_4arch9wavefront6targetE0EEEvSK_
	.p2align	8
	.type	_ZN7rocprim17ROCPRIM_400000_NS6detail17trampoline_kernelINS0_14default_configENS1_36segmented_radix_sort_config_selectorIslEEZNS1_25segmented_radix_sort_implIS3_Lb0EPKsPsPKlPlN2at6native12_GLOBAL__N_18offset_tEEE10hipError_tPvRmT1_PNSt15iterator_traitsISK_E10value_typeET2_T3_PNSL_ISQ_E10value_typeET4_jRbjT5_SW_jjP12ihipStream_tbEUlT_E_NS1_11comp_targetILNS1_3genE10ELNS1_11target_archE1200ELNS1_3gpuE4ELNS1_3repE0EEENS1_30default_config_static_selectorELNS0_4arch9wavefront6targetE0EEEvSK_,@function
_ZN7rocprim17ROCPRIM_400000_NS6detail17trampoline_kernelINS0_14default_configENS1_36segmented_radix_sort_config_selectorIslEEZNS1_25segmented_radix_sort_implIS3_Lb0EPKsPsPKlPlN2at6native12_GLOBAL__N_18offset_tEEE10hipError_tPvRmT1_PNSt15iterator_traitsISK_E10value_typeET2_T3_PNSL_ISQ_E10value_typeET4_jRbjT5_SW_jjP12ihipStream_tbEUlT_E_NS1_11comp_targetILNS1_3genE10ELNS1_11target_archE1200ELNS1_3gpuE4ELNS1_3repE0EEENS1_30default_config_static_selectorELNS0_4arch9wavefront6targetE0EEEvSK_: ; @_ZN7rocprim17ROCPRIM_400000_NS6detail17trampoline_kernelINS0_14default_configENS1_36segmented_radix_sort_config_selectorIslEEZNS1_25segmented_radix_sort_implIS3_Lb0EPKsPsPKlPlN2at6native12_GLOBAL__N_18offset_tEEE10hipError_tPvRmT1_PNSt15iterator_traitsISK_E10value_typeET2_T3_PNSL_ISQ_E10value_typeET4_jRbjT5_SW_jjP12ihipStream_tbEUlT_E_NS1_11comp_targetILNS1_3genE10ELNS1_11target_archE1200ELNS1_3gpuE4ELNS1_3repE0EEENS1_30default_config_static_selectorELNS0_4arch9wavefront6targetE0EEEvSK_
; %bb.0:
	.section	.rodata,"a",@progbits
	.p2align	6, 0x0
	.amdhsa_kernel _ZN7rocprim17ROCPRIM_400000_NS6detail17trampoline_kernelINS0_14default_configENS1_36segmented_radix_sort_config_selectorIslEEZNS1_25segmented_radix_sort_implIS3_Lb0EPKsPsPKlPlN2at6native12_GLOBAL__N_18offset_tEEE10hipError_tPvRmT1_PNSt15iterator_traitsISK_E10value_typeET2_T3_PNSL_ISQ_E10value_typeET4_jRbjT5_SW_jjP12ihipStream_tbEUlT_E_NS1_11comp_targetILNS1_3genE10ELNS1_11target_archE1200ELNS1_3gpuE4ELNS1_3repE0EEENS1_30default_config_static_selectorELNS0_4arch9wavefront6targetE0EEEvSK_
		.amdhsa_group_segment_fixed_size 0
		.amdhsa_private_segment_fixed_size 0
		.amdhsa_kernarg_size 96
		.amdhsa_user_sgpr_count 2
		.amdhsa_user_sgpr_dispatch_ptr 0
		.amdhsa_user_sgpr_queue_ptr 0
		.amdhsa_user_sgpr_kernarg_segment_ptr 1
		.amdhsa_user_sgpr_dispatch_id 0
		.amdhsa_user_sgpr_kernarg_preload_length 0
		.amdhsa_user_sgpr_kernarg_preload_offset 0
		.amdhsa_user_sgpr_private_segment_size 0
		.amdhsa_wavefront_size32 1
		.amdhsa_uses_dynamic_stack 0
		.amdhsa_enable_private_segment 0
		.amdhsa_system_sgpr_workgroup_id_x 1
		.amdhsa_system_sgpr_workgroup_id_y 0
		.amdhsa_system_sgpr_workgroup_id_z 0
		.amdhsa_system_sgpr_workgroup_info 0
		.amdhsa_system_vgpr_workitem_id 0
		.amdhsa_next_free_vgpr 1
		.amdhsa_next_free_sgpr 1
		.amdhsa_named_barrier_count 0
		.amdhsa_reserve_vcc 0
		.amdhsa_float_round_mode_32 0
		.amdhsa_float_round_mode_16_64 0
		.amdhsa_float_denorm_mode_32 3
		.amdhsa_float_denorm_mode_16_64 3
		.amdhsa_fp16_overflow 0
		.amdhsa_memory_ordered 1
		.amdhsa_forward_progress 1
		.amdhsa_inst_pref_size 0
		.amdhsa_round_robin_scheduling 0
		.amdhsa_exception_fp_ieee_invalid_op 0
		.amdhsa_exception_fp_denorm_src 0
		.amdhsa_exception_fp_ieee_div_zero 0
		.amdhsa_exception_fp_ieee_overflow 0
		.amdhsa_exception_fp_ieee_underflow 0
		.amdhsa_exception_fp_ieee_inexact 0
		.amdhsa_exception_int_div_zero 0
	.end_amdhsa_kernel
	.section	.text._ZN7rocprim17ROCPRIM_400000_NS6detail17trampoline_kernelINS0_14default_configENS1_36segmented_radix_sort_config_selectorIslEEZNS1_25segmented_radix_sort_implIS3_Lb0EPKsPsPKlPlN2at6native12_GLOBAL__N_18offset_tEEE10hipError_tPvRmT1_PNSt15iterator_traitsISK_E10value_typeET2_T3_PNSL_ISQ_E10value_typeET4_jRbjT5_SW_jjP12ihipStream_tbEUlT_E_NS1_11comp_targetILNS1_3genE10ELNS1_11target_archE1200ELNS1_3gpuE4ELNS1_3repE0EEENS1_30default_config_static_selectorELNS0_4arch9wavefront6targetE0EEEvSK_,"axG",@progbits,_ZN7rocprim17ROCPRIM_400000_NS6detail17trampoline_kernelINS0_14default_configENS1_36segmented_radix_sort_config_selectorIslEEZNS1_25segmented_radix_sort_implIS3_Lb0EPKsPsPKlPlN2at6native12_GLOBAL__N_18offset_tEEE10hipError_tPvRmT1_PNSt15iterator_traitsISK_E10value_typeET2_T3_PNSL_ISQ_E10value_typeET4_jRbjT5_SW_jjP12ihipStream_tbEUlT_E_NS1_11comp_targetILNS1_3genE10ELNS1_11target_archE1200ELNS1_3gpuE4ELNS1_3repE0EEENS1_30default_config_static_selectorELNS0_4arch9wavefront6targetE0EEEvSK_,comdat
.Lfunc_end1016:
	.size	_ZN7rocprim17ROCPRIM_400000_NS6detail17trampoline_kernelINS0_14default_configENS1_36segmented_radix_sort_config_selectorIslEEZNS1_25segmented_radix_sort_implIS3_Lb0EPKsPsPKlPlN2at6native12_GLOBAL__N_18offset_tEEE10hipError_tPvRmT1_PNSt15iterator_traitsISK_E10value_typeET2_T3_PNSL_ISQ_E10value_typeET4_jRbjT5_SW_jjP12ihipStream_tbEUlT_E_NS1_11comp_targetILNS1_3genE10ELNS1_11target_archE1200ELNS1_3gpuE4ELNS1_3repE0EEENS1_30default_config_static_selectorELNS0_4arch9wavefront6targetE0EEEvSK_, .Lfunc_end1016-_ZN7rocprim17ROCPRIM_400000_NS6detail17trampoline_kernelINS0_14default_configENS1_36segmented_radix_sort_config_selectorIslEEZNS1_25segmented_radix_sort_implIS3_Lb0EPKsPsPKlPlN2at6native12_GLOBAL__N_18offset_tEEE10hipError_tPvRmT1_PNSt15iterator_traitsISK_E10value_typeET2_T3_PNSL_ISQ_E10value_typeET4_jRbjT5_SW_jjP12ihipStream_tbEUlT_E_NS1_11comp_targetILNS1_3genE10ELNS1_11target_archE1200ELNS1_3gpuE4ELNS1_3repE0EEENS1_30default_config_static_selectorELNS0_4arch9wavefront6targetE0EEEvSK_
                                        ; -- End function
	.set _ZN7rocprim17ROCPRIM_400000_NS6detail17trampoline_kernelINS0_14default_configENS1_36segmented_radix_sort_config_selectorIslEEZNS1_25segmented_radix_sort_implIS3_Lb0EPKsPsPKlPlN2at6native12_GLOBAL__N_18offset_tEEE10hipError_tPvRmT1_PNSt15iterator_traitsISK_E10value_typeET2_T3_PNSL_ISQ_E10value_typeET4_jRbjT5_SW_jjP12ihipStream_tbEUlT_E_NS1_11comp_targetILNS1_3genE10ELNS1_11target_archE1200ELNS1_3gpuE4ELNS1_3repE0EEENS1_30default_config_static_selectorELNS0_4arch9wavefront6targetE0EEEvSK_.num_vgpr, 0
	.set _ZN7rocprim17ROCPRIM_400000_NS6detail17trampoline_kernelINS0_14default_configENS1_36segmented_radix_sort_config_selectorIslEEZNS1_25segmented_radix_sort_implIS3_Lb0EPKsPsPKlPlN2at6native12_GLOBAL__N_18offset_tEEE10hipError_tPvRmT1_PNSt15iterator_traitsISK_E10value_typeET2_T3_PNSL_ISQ_E10value_typeET4_jRbjT5_SW_jjP12ihipStream_tbEUlT_E_NS1_11comp_targetILNS1_3genE10ELNS1_11target_archE1200ELNS1_3gpuE4ELNS1_3repE0EEENS1_30default_config_static_selectorELNS0_4arch9wavefront6targetE0EEEvSK_.num_agpr, 0
	.set _ZN7rocprim17ROCPRIM_400000_NS6detail17trampoline_kernelINS0_14default_configENS1_36segmented_radix_sort_config_selectorIslEEZNS1_25segmented_radix_sort_implIS3_Lb0EPKsPsPKlPlN2at6native12_GLOBAL__N_18offset_tEEE10hipError_tPvRmT1_PNSt15iterator_traitsISK_E10value_typeET2_T3_PNSL_ISQ_E10value_typeET4_jRbjT5_SW_jjP12ihipStream_tbEUlT_E_NS1_11comp_targetILNS1_3genE10ELNS1_11target_archE1200ELNS1_3gpuE4ELNS1_3repE0EEENS1_30default_config_static_selectorELNS0_4arch9wavefront6targetE0EEEvSK_.numbered_sgpr, 0
	.set _ZN7rocprim17ROCPRIM_400000_NS6detail17trampoline_kernelINS0_14default_configENS1_36segmented_radix_sort_config_selectorIslEEZNS1_25segmented_radix_sort_implIS3_Lb0EPKsPsPKlPlN2at6native12_GLOBAL__N_18offset_tEEE10hipError_tPvRmT1_PNSt15iterator_traitsISK_E10value_typeET2_T3_PNSL_ISQ_E10value_typeET4_jRbjT5_SW_jjP12ihipStream_tbEUlT_E_NS1_11comp_targetILNS1_3genE10ELNS1_11target_archE1200ELNS1_3gpuE4ELNS1_3repE0EEENS1_30default_config_static_selectorELNS0_4arch9wavefront6targetE0EEEvSK_.num_named_barrier, 0
	.set _ZN7rocprim17ROCPRIM_400000_NS6detail17trampoline_kernelINS0_14default_configENS1_36segmented_radix_sort_config_selectorIslEEZNS1_25segmented_radix_sort_implIS3_Lb0EPKsPsPKlPlN2at6native12_GLOBAL__N_18offset_tEEE10hipError_tPvRmT1_PNSt15iterator_traitsISK_E10value_typeET2_T3_PNSL_ISQ_E10value_typeET4_jRbjT5_SW_jjP12ihipStream_tbEUlT_E_NS1_11comp_targetILNS1_3genE10ELNS1_11target_archE1200ELNS1_3gpuE4ELNS1_3repE0EEENS1_30default_config_static_selectorELNS0_4arch9wavefront6targetE0EEEvSK_.private_seg_size, 0
	.set _ZN7rocprim17ROCPRIM_400000_NS6detail17trampoline_kernelINS0_14default_configENS1_36segmented_radix_sort_config_selectorIslEEZNS1_25segmented_radix_sort_implIS3_Lb0EPKsPsPKlPlN2at6native12_GLOBAL__N_18offset_tEEE10hipError_tPvRmT1_PNSt15iterator_traitsISK_E10value_typeET2_T3_PNSL_ISQ_E10value_typeET4_jRbjT5_SW_jjP12ihipStream_tbEUlT_E_NS1_11comp_targetILNS1_3genE10ELNS1_11target_archE1200ELNS1_3gpuE4ELNS1_3repE0EEENS1_30default_config_static_selectorELNS0_4arch9wavefront6targetE0EEEvSK_.uses_vcc, 0
	.set _ZN7rocprim17ROCPRIM_400000_NS6detail17trampoline_kernelINS0_14default_configENS1_36segmented_radix_sort_config_selectorIslEEZNS1_25segmented_radix_sort_implIS3_Lb0EPKsPsPKlPlN2at6native12_GLOBAL__N_18offset_tEEE10hipError_tPvRmT1_PNSt15iterator_traitsISK_E10value_typeET2_T3_PNSL_ISQ_E10value_typeET4_jRbjT5_SW_jjP12ihipStream_tbEUlT_E_NS1_11comp_targetILNS1_3genE10ELNS1_11target_archE1200ELNS1_3gpuE4ELNS1_3repE0EEENS1_30default_config_static_selectorELNS0_4arch9wavefront6targetE0EEEvSK_.uses_flat_scratch, 0
	.set _ZN7rocprim17ROCPRIM_400000_NS6detail17trampoline_kernelINS0_14default_configENS1_36segmented_radix_sort_config_selectorIslEEZNS1_25segmented_radix_sort_implIS3_Lb0EPKsPsPKlPlN2at6native12_GLOBAL__N_18offset_tEEE10hipError_tPvRmT1_PNSt15iterator_traitsISK_E10value_typeET2_T3_PNSL_ISQ_E10value_typeET4_jRbjT5_SW_jjP12ihipStream_tbEUlT_E_NS1_11comp_targetILNS1_3genE10ELNS1_11target_archE1200ELNS1_3gpuE4ELNS1_3repE0EEENS1_30default_config_static_selectorELNS0_4arch9wavefront6targetE0EEEvSK_.has_dyn_sized_stack, 0
	.set _ZN7rocprim17ROCPRIM_400000_NS6detail17trampoline_kernelINS0_14default_configENS1_36segmented_radix_sort_config_selectorIslEEZNS1_25segmented_radix_sort_implIS3_Lb0EPKsPsPKlPlN2at6native12_GLOBAL__N_18offset_tEEE10hipError_tPvRmT1_PNSt15iterator_traitsISK_E10value_typeET2_T3_PNSL_ISQ_E10value_typeET4_jRbjT5_SW_jjP12ihipStream_tbEUlT_E_NS1_11comp_targetILNS1_3genE10ELNS1_11target_archE1200ELNS1_3gpuE4ELNS1_3repE0EEENS1_30default_config_static_selectorELNS0_4arch9wavefront6targetE0EEEvSK_.has_recursion, 0
	.set _ZN7rocprim17ROCPRIM_400000_NS6detail17trampoline_kernelINS0_14default_configENS1_36segmented_radix_sort_config_selectorIslEEZNS1_25segmented_radix_sort_implIS3_Lb0EPKsPsPKlPlN2at6native12_GLOBAL__N_18offset_tEEE10hipError_tPvRmT1_PNSt15iterator_traitsISK_E10value_typeET2_T3_PNSL_ISQ_E10value_typeET4_jRbjT5_SW_jjP12ihipStream_tbEUlT_E_NS1_11comp_targetILNS1_3genE10ELNS1_11target_archE1200ELNS1_3gpuE4ELNS1_3repE0EEENS1_30default_config_static_selectorELNS0_4arch9wavefront6targetE0EEEvSK_.has_indirect_call, 0
	.section	.AMDGPU.csdata,"",@progbits
; Kernel info:
; codeLenInByte = 0
; TotalNumSgprs: 0
; NumVgprs: 0
; ScratchSize: 0
; MemoryBound: 0
; FloatMode: 240
; IeeeMode: 1
; LDSByteSize: 0 bytes/workgroup (compile time only)
; SGPRBlocks: 0
; VGPRBlocks: 0
; NumSGPRsForWavesPerEU: 1
; NumVGPRsForWavesPerEU: 1
; NamedBarCnt: 0
; Occupancy: 16
; WaveLimiterHint : 0
; COMPUTE_PGM_RSRC2:SCRATCH_EN: 0
; COMPUTE_PGM_RSRC2:USER_SGPR: 2
; COMPUTE_PGM_RSRC2:TRAP_HANDLER: 0
; COMPUTE_PGM_RSRC2:TGID_X_EN: 1
; COMPUTE_PGM_RSRC2:TGID_Y_EN: 0
; COMPUTE_PGM_RSRC2:TGID_Z_EN: 0
; COMPUTE_PGM_RSRC2:TIDIG_COMP_CNT: 0
	.section	.text._ZN7rocprim17ROCPRIM_400000_NS6detail17trampoline_kernelINS0_14default_configENS1_36segmented_radix_sort_config_selectorIslEEZNS1_25segmented_radix_sort_implIS3_Lb0EPKsPsPKlPlN2at6native12_GLOBAL__N_18offset_tEEE10hipError_tPvRmT1_PNSt15iterator_traitsISK_E10value_typeET2_T3_PNSL_ISQ_E10value_typeET4_jRbjT5_SW_jjP12ihipStream_tbEUlT_E_NS1_11comp_targetILNS1_3genE9ELNS1_11target_archE1100ELNS1_3gpuE3ELNS1_3repE0EEENS1_30default_config_static_selectorELNS0_4arch9wavefront6targetE0EEEvSK_,"axG",@progbits,_ZN7rocprim17ROCPRIM_400000_NS6detail17trampoline_kernelINS0_14default_configENS1_36segmented_radix_sort_config_selectorIslEEZNS1_25segmented_radix_sort_implIS3_Lb0EPKsPsPKlPlN2at6native12_GLOBAL__N_18offset_tEEE10hipError_tPvRmT1_PNSt15iterator_traitsISK_E10value_typeET2_T3_PNSL_ISQ_E10value_typeET4_jRbjT5_SW_jjP12ihipStream_tbEUlT_E_NS1_11comp_targetILNS1_3genE9ELNS1_11target_archE1100ELNS1_3gpuE3ELNS1_3repE0EEENS1_30default_config_static_selectorELNS0_4arch9wavefront6targetE0EEEvSK_,comdat
	.globl	_ZN7rocprim17ROCPRIM_400000_NS6detail17trampoline_kernelINS0_14default_configENS1_36segmented_radix_sort_config_selectorIslEEZNS1_25segmented_radix_sort_implIS3_Lb0EPKsPsPKlPlN2at6native12_GLOBAL__N_18offset_tEEE10hipError_tPvRmT1_PNSt15iterator_traitsISK_E10value_typeET2_T3_PNSL_ISQ_E10value_typeET4_jRbjT5_SW_jjP12ihipStream_tbEUlT_E_NS1_11comp_targetILNS1_3genE9ELNS1_11target_archE1100ELNS1_3gpuE3ELNS1_3repE0EEENS1_30default_config_static_selectorELNS0_4arch9wavefront6targetE0EEEvSK_ ; -- Begin function _ZN7rocprim17ROCPRIM_400000_NS6detail17trampoline_kernelINS0_14default_configENS1_36segmented_radix_sort_config_selectorIslEEZNS1_25segmented_radix_sort_implIS3_Lb0EPKsPsPKlPlN2at6native12_GLOBAL__N_18offset_tEEE10hipError_tPvRmT1_PNSt15iterator_traitsISK_E10value_typeET2_T3_PNSL_ISQ_E10value_typeET4_jRbjT5_SW_jjP12ihipStream_tbEUlT_E_NS1_11comp_targetILNS1_3genE9ELNS1_11target_archE1100ELNS1_3gpuE3ELNS1_3repE0EEENS1_30default_config_static_selectorELNS0_4arch9wavefront6targetE0EEEvSK_
	.p2align	8
	.type	_ZN7rocprim17ROCPRIM_400000_NS6detail17trampoline_kernelINS0_14default_configENS1_36segmented_radix_sort_config_selectorIslEEZNS1_25segmented_radix_sort_implIS3_Lb0EPKsPsPKlPlN2at6native12_GLOBAL__N_18offset_tEEE10hipError_tPvRmT1_PNSt15iterator_traitsISK_E10value_typeET2_T3_PNSL_ISQ_E10value_typeET4_jRbjT5_SW_jjP12ihipStream_tbEUlT_E_NS1_11comp_targetILNS1_3genE9ELNS1_11target_archE1100ELNS1_3gpuE3ELNS1_3repE0EEENS1_30default_config_static_selectorELNS0_4arch9wavefront6targetE0EEEvSK_,@function
_ZN7rocprim17ROCPRIM_400000_NS6detail17trampoline_kernelINS0_14default_configENS1_36segmented_radix_sort_config_selectorIslEEZNS1_25segmented_radix_sort_implIS3_Lb0EPKsPsPKlPlN2at6native12_GLOBAL__N_18offset_tEEE10hipError_tPvRmT1_PNSt15iterator_traitsISK_E10value_typeET2_T3_PNSL_ISQ_E10value_typeET4_jRbjT5_SW_jjP12ihipStream_tbEUlT_E_NS1_11comp_targetILNS1_3genE9ELNS1_11target_archE1100ELNS1_3gpuE3ELNS1_3repE0EEENS1_30default_config_static_selectorELNS0_4arch9wavefront6targetE0EEEvSK_: ; @_ZN7rocprim17ROCPRIM_400000_NS6detail17trampoline_kernelINS0_14default_configENS1_36segmented_radix_sort_config_selectorIslEEZNS1_25segmented_radix_sort_implIS3_Lb0EPKsPsPKlPlN2at6native12_GLOBAL__N_18offset_tEEE10hipError_tPvRmT1_PNSt15iterator_traitsISK_E10value_typeET2_T3_PNSL_ISQ_E10value_typeET4_jRbjT5_SW_jjP12ihipStream_tbEUlT_E_NS1_11comp_targetILNS1_3genE9ELNS1_11target_archE1100ELNS1_3gpuE3ELNS1_3repE0EEENS1_30default_config_static_selectorELNS0_4arch9wavefront6targetE0EEEvSK_
; %bb.0:
	.section	.rodata,"a",@progbits
	.p2align	6, 0x0
	.amdhsa_kernel _ZN7rocprim17ROCPRIM_400000_NS6detail17trampoline_kernelINS0_14default_configENS1_36segmented_radix_sort_config_selectorIslEEZNS1_25segmented_radix_sort_implIS3_Lb0EPKsPsPKlPlN2at6native12_GLOBAL__N_18offset_tEEE10hipError_tPvRmT1_PNSt15iterator_traitsISK_E10value_typeET2_T3_PNSL_ISQ_E10value_typeET4_jRbjT5_SW_jjP12ihipStream_tbEUlT_E_NS1_11comp_targetILNS1_3genE9ELNS1_11target_archE1100ELNS1_3gpuE3ELNS1_3repE0EEENS1_30default_config_static_selectorELNS0_4arch9wavefront6targetE0EEEvSK_
		.amdhsa_group_segment_fixed_size 0
		.amdhsa_private_segment_fixed_size 0
		.amdhsa_kernarg_size 96
		.amdhsa_user_sgpr_count 2
		.amdhsa_user_sgpr_dispatch_ptr 0
		.amdhsa_user_sgpr_queue_ptr 0
		.amdhsa_user_sgpr_kernarg_segment_ptr 1
		.amdhsa_user_sgpr_dispatch_id 0
		.amdhsa_user_sgpr_kernarg_preload_length 0
		.amdhsa_user_sgpr_kernarg_preload_offset 0
		.amdhsa_user_sgpr_private_segment_size 0
		.amdhsa_wavefront_size32 1
		.amdhsa_uses_dynamic_stack 0
		.amdhsa_enable_private_segment 0
		.amdhsa_system_sgpr_workgroup_id_x 1
		.amdhsa_system_sgpr_workgroup_id_y 0
		.amdhsa_system_sgpr_workgroup_id_z 0
		.amdhsa_system_sgpr_workgroup_info 0
		.amdhsa_system_vgpr_workitem_id 0
		.amdhsa_next_free_vgpr 1
		.amdhsa_next_free_sgpr 1
		.amdhsa_named_barrier_count 0
		.amdhsa_reserve_vcc 0
		.amdhsa_float_round_mode_32 0
		.amdhsa_float_round_mode_16_64 0
		.amdhsa_float_denorm_mode_32 3
		.amdhsa_float_denorm_mode_16_64 3
		.amdhsa_fp16_overflow 0
		.amdhsa_memory_ordered 1
		.amdhsa_forward_progress 1
		.amdhsa_inst_pref_size 0
		.amdhsa_round_robin_scheduling 0
		.amdhsa_exception_fp_ieee_invalid_op 0
		.amdhsa_exception_fp_denorm_src 0
		.amdhsa_exception_fp_ieee_div_zero 0
		.amdhsa_exception_fp_ieee_overflow 0
		.amdhsa_exception_fp_ieee_underflow 0
		.amdhsa_exception_fp_ieee_inexact 0
		.amdhsa_exception_int_div_zero 0
	.end_amdhsa_kernel
	.section	.text._ZN7rocprim17ROCPRIM_400000_NS6detail17trampoline_kernelINS0_14default_configENS1_36segmented_radix_sort_config_selectorIslEEZNS1_25segmented_radix_sort_implIS3_Lb0EPKsPsPKlPlN2at6native12_GLOBAL__N_18offset_tEEE10hipError_tPvRmT1_PNSt15iterator_traitsISK_E10value_typeET2_T3_PNSL_ISQ_E10value_typeET4_jRbjT5_SW_jjP12ihipStream_tbEUlT_E_NS1_11comp_targetILNS1_3genE9ELNS1_11target_archE1100ELNS1_3gpuE3ELNS1_3repE0EEENS1_30default_config_static_selectorELNS0_4arch9wavefront6targetE0EEEvSK_,"axG",@progbits,_ZN7rocprim17ROCPRIM_400000_NS6detail17trampoline_kernelINS0_14default_configENS1_36segmented_radix_sort_config_selectorIslEEZNS1_25segmented_radix_sort_implIS3_Lb0EPKsPsPKlPlN2at6native12_GLOBAL__N_18offset_tEEE10hipError_tPvRmT1_PNSt15iterator_traitsISK_E10value_typeET2_T3_PNSL_ISQ_E10value_typeET4_jRbjT5_SW_jjP12ihipStream_tbEUlT_E_NS1_11comp_targetILNS1_3genE9ELNS1_11target_archE1100ELNS1_3gpuE3ELNS1_3repE0EEENS1_30default_config_static_selectorELNS0_4arch9wavefront6targetE0EEEvSK_,comdat
.Lfunc_end1017:
	.size	_ZN7rocprim17ROCPRIM_400000_NS6detail17trampoline_kernelINS0_14default_configENS1_36segmented_radix_sort_config_selectorIslEEZNS1_25segmented_radix_sort_implIS3_Lb0EPKsPsPKlPlN2at6native12_GLOBAL__N_18offset_tEEE10hipError_tPvRmT1_PNSt15iterator_traitsISK_E10value_typeET2_T3_PNSL_ISQ_E10value_typeET4_jRbjT5_SW_jjP12ihipStream_tbEUlT_E_NS1_11comp_targetILNS1_3genE9ELNS1_11target_archE1100ELNS1_3gpuE3ELNS1_3repE0EEENS1_30default_config_static_selectorELNS0_4arch9wavefront6targetE0EEEvSK_, .Lfunc_end1017-_ZN7rocprim17ROCPRIM_400000_NS6detail17trampoline_kernelINS0_14default_configENS1_36segmented_radix_sort_config_selectorIslEEZNS1_25segmented_radix_sort_implIS3_Lb0EPKsPsPKlPlN2at6native12_GLOBAL__N_18offset_tEEE10hipError_tPvRmT1_PNSt15iterator_traitsISK_E10value_typeET2_T3_PNSL_ISQ_E10value_typeET4_jRbjT5_SW_jjP12ihipStream_tbEUlT_E_NS1_11comp_targetILNS1_3genE9ELNS1_11target_archE1100ELNS1_3gpuE3ELNS1_3repE0EEENS1_30default_config_static_selectorELNS0_4arch9wavefront6targetE0EEEvSK_
                                        ; -- End function
	.set _ZN7rocprim17ROCPRIM_400000_NS6detail17trampoline_kernelINS0_14default_configENS1_36segmented_radix_sort_config_selectorIslEEZNS1_25segmented_radix_sort_implIS3_Lb0EPKsPsPKlPlN2at6native12_GLOBAL__N_18offset_tEEE10hipError_tPvRmT1_PNSt15iterator_traitsISK_E10value_typeET2_T3_PNSL_ISQ_E10value_typeET4_jRbjT5_SW_jjP12ihipStream_tbEUlT_E_NS1_11comp_targetILNS1_3genE9ELNS1_11target_archE1100ELNS1_3gpuE3ELNS1_3repE0EEENS1_30default_config_static_selectorELNS0_4arch9wavefront6targetE0EEEvSK_.num_vgpr, 0
	.set _ZN7rocprim17ROCPRIM_400000_NS6detail17trampoline_kernelINS0_14default_configENS1_36segmented_radix_sort_config_selectorIslEEZNS1_25segmented_radix_sort_implIS3_Lb0EPKsPsPKlPlN2at6native12_GLOBAL__N_18offset_tEEE10hipError_tPvRmT1_PNSt15iterator_traitsISK_E10value_typeET2_T3_PNSL_ISQ_E10value_typeET4_jRbjT5_SW_jjP12ihipStream_tbEUlT_E_NS1_11comp_targetILNS1_3genE9ELNS1_11target_archE1100ELNS1_3gpuE3ELNS1_3repE0EEENS1_30default_config_static_selectorELNS0_4arch9wavefront6targetE0EEEvSK_.num_agpr, 0
	.set _ZN7rocprim17ROCPRIM_400000_NS6detail17trampoline_kernelINS0_14default_configENS1_36segmented_radix_sort_config_selectorIslEEZNS1_25segmented_radix_sort_implIS3_Lb0EPKsPsPKlPlN2at6native12_GLOBAL__N_18offset_tEEE10hipError_tPvRmT1_PNSt15iterator_traitsISK_E10value_typeET2_T3_PNSL_ISQ_E10value_typeET4_jRbjT5_SW_jjP12ihipStream_tbEUlT_E_NS1_11comp_targetILNS1_3genE9ELNS1_11target_archE1100ELNS1_3gpuE3ELNS1_3repE0EEENS1_30default_config_static_selectorELNS0_4arch9wavefront6targetE0EEEvSK_.numbered_sgpr, 0
	.set _ZN7rocprim17ROCPRIM_400000_NS6detail17trampoline_kernelINS0_14default_configENS1_36segmented_radix_sort_config_selectorIslEEZNS1_25segmented_radix_sort_implIS3_Lb0EPKsPsPKlPlN2at6native12_GLOBAL__N_18offset_tEEE10hipError_tPvRmT1_PNSt15iterator_traitsISK_E10value_typeET2_T3_PNSL_ISQ_E10value_typeET4_jRbjT5_SW_jjP12ihipStream_tbEUlT_E_NS1_11comp_targetILNS1_3genE9ELNS1_11target_archE1100ELNS1_3gpuE3ELNS1_3repE0EEENS1_30default_config_static_selectorELNS0_4arch9wavefront6targetE0EEEvSK_.num_named_barrier, 0
	.set _ZN7rocprim17ROCPRIM_400000_NS6detail17trampoline_kernelINS0_14default_configENS1_36segmented_radix_sort_config_selectorIslEEZNS1_25segmented_radix_sort_implIS3_Lb0EPKsPsPKlPlN2at6native12_GLOBAL__N_18offset_tEEE10hipError_tPvRmT1_PNSt15iterator_traitsISK_E10value_typeET2_T3_PNSL_ISQ_E10value_typeET4_jRbjT5_SW_jjP12ihipStream_tbEUlT_E_NS1_11comp_targetILNS1_3genE9ELNS1_11target_archE1100ELNS1_3gpuE3ELNS1_3repE0EEENS1_30default_config_static_selectorELNS0_4arch9wavefront6targetE0EEEvSK_.private_seg_size, 0
	.set _ZN7rocprim17ROCPRIM_400000_NS6detail17trampoline_kernelINS0_14default_configENS1_36segmented_radix_sort_config_selectorIslEEZNS1_25segmented_radix_sort_implIS3_Lb0EPKsPsPKlPlN2at6native12_GLOBAL__N_18offset_tEEE10hipError_tPvRmT1_PNSt15iterator_traitsISK_E10value_typeET2_T3_PNSL_ISQ_E10value_typeET4_jRbjT5_SW_jjP12ihipStream_tbEUlT_E_NS1_11comp_targetILNS1_3genE9ELNS1_11target_archE1100ELNS1_3gpuE3ELNS1_3repE0EEENS1_30default_config_static_selectorELNS0_4arch9wavefront6targetE0EEEvSK_.uses_vcc, 0
	.set _ZN7rocprim17ROCPRIM_400000_NS6detail17trampoline_kernelINS0_14default_configENS1_36segmented_radix_sort_config_selectorIslEEZNS1_25segmented_radix_sort_implIS3_Lb0EPKsPsPKlPlN2at6native12_GLOBAL__N_18offset_tEEE10hipError_tPvRmT1_PNSt15iterator_traitsISK_E10value_typeET2_T3_PNSL_ISQ_E10value_typeET4_jRbjT5_SW_jjP12ihipStream_tbEUlT_E_NS1_11comp_targetILNS1_3genE9ELNS1_11target_archE1100ELNS1_3gpuE3ELNS1_3repE0EEENS1_30default_config_static_selectorELNS0_4arch9wavefront6targetE0EEEvSK_.uses_flat_scratch, 0
	.set _ZN7rocprim17ROCPRIM_400000_NS6detail17trampoline_kernelINS0_14default_configENS1_36segmented_radix_sort_config_selectorIslEEZNS1_25segmented_radix_sort_implIS3_Lb0EPKsPsPKlPlN2at6native12_GLOBAL__N_18offset_tEEE10hipError_tPvRmT1_PNSt15iterator_traitsISK_E10value_typeET2_T3_PNSL_ISQ_E10value_typeET4_jRbjT5_SW_jjP12ihipStream_tbEUlT_E_NS1_11comp_targetILNS1_3genE9ELNS1_11target_archE1100ELNS1_3gpuE3ELNS1_3repE0EEENS1_30default_config_static_selectorELNS0_4arch9wavefront6targetE0EEEvSK_.has_dyn_sized_stack, 0
	.set _ZN7rocprim17ROCPRIM_400000_NS6detail17trampoline_kernelINS0_14default_configENS1_36segmented_radix_sort_config_selectorIslEEZNS1_25segmented_radix_sort_implIS3_Lb0EPKsPsPKlPlN2at6native12_GLOBAL__N_18offset_tEEE10hipError_tPvRmT1_PNSt15iterator_traitsISK_E10value_typeET2_T3_PNSL_ISQ_E10value_typeET4_jRbjT5_SW_jjP12ihipStream_tbEUlT_E_NS1_11comp_targetILNS1_3genE9ELNS1_11target_archE1100ELNS1_3gpuE3ELNS1_3repE0EEENS1_30default_config_static_selectorELNS0_4arch9wavefront6targetE0EEEvSK_.has_recursion, 0
	.set _ZN7rocprim17ROCPRIM_400000_NS6detail17trampoline_kernelINS0_14default_configENS1_36segmented_radix_sort_config_selectorIslEEZNS1_25segmented_radix_sort_implIS3_Lb0EPKsPsPKlPlN2at6native12_GLOBAL__N_18offset_tEEE10hipError_tPvRmT1_PNSt15iterator_traitsISK_E10value_typeET2_T3_PNSL_ISQ_E10value_typeET4_jRbjT5_SW_jjP12ihipStream_tbEUlT_E_NS1_11comp_targetILNS1_3genE9ELNS1_11target_archE1100ELNS1_3gpuE3ELNS1_3repE0EEENS1_30default_config_static_selectorELNS0_4arch9wavefront6targetE0EEEvSK_.has_indirect_call, 0
	.section	.AMDGPU.csdata,"",@progbits
; Kernel info:
; codeLenInByte = 0
; TotalNumSgprs: 0
; NumVgprs: 0
; ScratchSize: 0
; MemoryBound: 0
; FloatMode: 240
; IeeeMode: 1
; LDSByteSize: 0 bytes/workgroup (compile time only)
; SGPRBlocks: 0
; VGPRBlocks: 0
; NumSGPRsForWavesPerEU: 1
; NumVGPRsForWavesPerEU: 1
; NamedBarCnt: 0
; Occupancy: 16
; WaveLimiterHint : 0
; COMPUTE_PGM_RSRC2:SCRATCH_EN: 0
; COMPUTE_PGM_RSRC2:USER_SGPR: 2
; COMPUTE_PGM_RSRC2:TRAP_HANDLER: 0
; COMPUTE_PGM_RSRC2:TGID_X_EN: 1
; COMPUTE_PGM_RSRC2:TGID_Y_EN: 0
; COMPUTE_PGM_RSRC2:TGID_Z_EN: 0
; COMPUTE_PGM_RSRC2:TIDIG_COMP_CNT: 0
	.section	.text._ZN7rocprim17ROCPRIM_400000_NS6detail17trampoline_kernelINS0_14default_configENS1_36segmented_radix_sort_config_selectorIslEEZNS1_25segmented_radix_sort_implIS3_Lb0EPKsPsPKlPlN2at6native12_GLOBAL__N_18offset_tEEE10hipError_tPvRmT1_PNSt15iterator_traitsISK_E10value_typeET2_T3_PNSL_ISQ_E10value_typeET4_jRbjT5_SW_jjP12ihipStream_tbEUlT_E_NS1_11comp_targetILNS1_3genE8ELNS1_11target_archE1030ELNS1_3gpuE2ELNS1_3repE0EEENS1_30default_config_static_selectorELNS0_4arch9wavefront6targetE0EEEvSK_,"axG",@progbits,_ZN7rocprim17ROCPRIM_400000_NS6detail17trampoline_kernelINS0_14default_configENS1_36segmented_radix_sort_config_selectorIslEEZNS1_25segmented_radix_sort_implIS3_Lb0EPKsPsPKlPlN2at6native12_GLOBAL__N_18offset_tEEE10hipError_tPvRmT1_PNSt15iterator_traitsISK_E10value_typeET2_T3_PNSL_ISQ_E10value_typeET4_jRbjT5_SW_jjP12ihipStream_tbEUlT_E_NS1_11comp_targetILNS1_3genE8ELNS1_11target_archE1030ELNS1_3gpuE2ELNS1_3repE0EEENS1_30default_config_static_selectorELNS0_4arch9wavefront6targetE0EEEvSK_,comdat
	.globl	_ZN7rocprim17ROCPRIM_400000_NS6detail17trampoline_kernelINS0_14default_configENS1_36segmented_radix_sort_config_selectorIslEEZNS1_25segmented_radix_sort_implIS3_Lb0EPKsPsPKlPlN2at6native12_GLOBAL__N_18offset_tEEE10hipError_tPvRmT1_PNSt15iterator_traitsISK_E10value_typeET2_T3_PNSL_ISQ_E10value_typeET4_jRbjT5_SW_jjP12ihipStream_tbEUlT_E_NS1_11comp_targetILNS1_3genE8ELNS1_11target_archE1030ELNS1_3gpuE2ELNS1_3repE0EEENS1_30default_config_static_selectorELNS0_4arch9wavefront6targetE0EEEvSK_ ; -- Begin function _ZN7rocprim17ROCPRIM_400000_NS6detail17trampoline_kernelINS0_14default_configENS1_36segmented_radix_sort_config_selectorIslEEZNS1_25segmented_radix_sort_implIS3_Lb0EPKsPsPKlPlN2at6native12_GLOBAL__N_18offset_tEEE10hipError_tPvRmT1_PNSt15iterator_traitsISK_E10value_typeET2_T3_PNSL_ISQ_E10value_typeET4_jRbjT5_SW_jjP12ihipStream_tbEUlT_E_NS1_11comp_targetILNS1_3genE8ELNS1_11target_archE1030ELNS1_3gpuE2ELNS1_3repE0EEENS1_30default_config_static_selectorELNS0_4arch9wavefront6targetE0EEEvSK_
	.p2align	8
	.type	_ZN7rocprim17ROCPRIM_400000_NS6detail17trampoline_kernelINS0_14default_configENS1_36segmented_radix_sort_config_selectorIslEEZNS1_25segmented_radix_sort_implIS3_Lb0EPKsPsPKlPlN2at6native12_GLOBAL__N_18offset_tEEE10hipError_tPvRmT1_PNSt15iterator_traitsISK_E10value_typeET2_T3_PNSL_ISQ_E10value_typeET4_jRbjT5_SW_jjP12ihipStream_tbEUlT_E_NS1_11comp_targetILNS1_3genE8ELNS1_11target_archE1030ELNS1_3gpuE2ELNS1_3repE0EEENS1_30default_config_static_selectorELNS0_4arch9wavefront6targetE0EEEvSK_,@function
_ZN7rocprim17ROCPRIM_400000_NS6detail17trampoline_kernelINS0_14default_configENS1_36segmented_radix_sort_config_selectorIslEEZNS1_25segmented_radix_sort_implIS3_Lb0EPKsPsPKlPlN2at6native12_GLOBAL__N_18offset_tEEE10hipError_tPvRmT1_PNSt15iterator_traitsISK_E10value_typeET2_T3_PNSL_ISQ_E10value_typeET4_jRbjT5_SW_jjP12ihipStream_tbEUlT_E_NS1_11comp_targetILNS1_3genE8ELNS1_11target_archE1030ELNS1_3gpuE2ELNS1_3repE0EEENS1_30default_config_static_selectorELNS0_4arch9wavefront6targetE0EEEvSK_: ; @_ZN7rocprim17ROCPRIM_400000_NS6detail17trampoline_kernelINS0_14default_configENS1_36segmented_radix_sort_config_selectorIslEEZNS1_25segmented_radix_sort_implIS3_Lb0EPKsPsPKlPlN2at6native12_GLOBAL__N_18offset_tEEE10hipError_tPvRmT1_PNSt15iterator_traitsISK_E10value_typeET2_T3_PNSL_ISQ_E10value_typeET4_jRbjT5_SW_jjP12ihipStream_tbEUlT_E_NS1_11comp_targetILNS1_3genE8ELNS1_11target_archE1030ELNS1_3gpuE2ELNS1_3repE0EEENS1_30default_config_static_selectorELNS0_4arch9wavefront6targetE0EEEvSK_
; %bb.0:
	.section	.rodata,"a",@progbits
	.p2align	6, 0x0
	.amdhsa_kernel _ZN7rocprim17ROCPRIM_400000_NS6detail17trampoline_kernelINS0_14default_configENS1_36segmented_radix_sort_config_selectorIslEEZNS1_25segmented_radix_sort_implIS3_Lb0EPKsPsPKlPlN2at6native12_GLOBAL__N_18offset_tEEE10hipError_tPvRmT1_PNSt15iterator_traitsISK_E10value_typeET2_T3_PNSL_ISQ_E10value_typeET4_jRbjT5_SW_jjP12ihipStream_tbEUlT_E_NS1_11comp_targetILNS1_3genE8ELNS1_11target_archE1030ELNS1_3gpuE2ELNS1_3repE0EEENS1_30default_config_static_selectorELNS0_4arch9wavefront6targetE0EEEvSK_
		.amdhsa_group_segment_fixed_size 0
		.amdhsa_private_segment_fixed_size 0
		.amdhsa_kernarg_size 96
		.amdhsa_user_sgpr_count 2
		.amdhsa_user_sgpr_dispatch_ptr 0
		.amdhsa_user_sgpr_queue_ptr 0
		.amdhsa_user_sgpr_kernarg_segment_ptr 1
		.amdhsa_user_sgpr_dispatch_id 0
		.amdhsa_user_sgpr_kernarg_preload_length 0
		.amdhsa_user_sgpr_kernarg_preload_offset 0
		.amdhsa_user_sgpr_private_segment_size 0
		.amdhsa_wavefront_size32 1
		.amdhsa_uses_dynamic_stack 0
		.amdhsa_enable_private_segment 0
		.amdhsa_system_sgpr_workgroup_id_x 1
		.amdhsa_system_sgpr_workgroup_id_y 0
		.amdhsa_system_sgpr_workgroup_id_z 0
		.amdhsa_system_sgpr_workgroup_info 0
		.amdhsa_system_vgpr_workitem_id 0
		.amdhsa_next_free_vgpr 1
		.amdhsa_next_free_sgpr 1
		.amdhsa_named_barrier_count 0
		.amdhsa_reserve_vcc 0
		.amdhsa_float_round_mode_32 0
		.amdhsa_float_round_mode_16_64 0
		.amdhsa_float_denorm_mode_32 3
		.amdhsa_float_denorm_mode_16_64 3
		.amdhsa_fp16_overflow 0
		.amdhsa_memory_ordered 1
		.amdhsa_forward_progress 1
		.amdhsa_inst_pref_size 0
		.amdhsa_round_robin_scheduling 0
		.amdhsa_exception_fp_ieee_invalid_op 0
		.amdhsa_exception_fp_denorm_src 0
		.amdhsa_exception_fp_ieee_div_zero 0
		.amdhsa_exception_fp_ieee_overflow 0
		.amdhsa_exception_fp_ieee_underflow 0
		.amdhsa_exception_fp_ieee_inexact 0
		.amdhsa_exception_int_div_zero 0
	.end_amdhsa_kernel
	.section	.text._ZN7rocprim17ROCPRIM_400000_NS6detail17trampoline_kernelINS0_14default_configENS1_36segmented_radix_sort_config_selectorIslEEZNS1_25segmented_radix_sort_implIS3_Lb0EPKsPsPKlPlN2at6native12_GLOBAL__N_18offset_tEEE10hipError_tPvRmT1_PNSt15iterator_traitsISK_E10value_typeET2_T3_PNSL_ISQ_E10value_typeET4_jRbjT5_SW_jjP12ihipStream_tbEUlT_E_NS1_11comp_targetILNS1_3genE8ELNS1_11target_archE1030ELNS1_3gpuE2ELNS1_3repE0EEENS1_30default_config_static_selectorELNS0_4arch9wavefront6targetE0EEEvSK_,"axG",@progbits,_ZN7rocprim17ROCPRIM_400000_NS6detail17trampoline_kernelINS0_14default_configENS1_36segmented_radix_sort_config_selectorIslEEZNS1_25segmented_radix_sort_implIS3_Lb0EPKsPsPKlPlN2at6native12_GLOBAL__N_18offset_tEEE10hipError_tPvRmT1_PNSt15iterator_traitsISK_E10value_typeET2_T3_PNSL_ISQ_E10value_typeET4_jRbjT5_SW_jjP12ihipStream_tbEUlT_E_NS1_11comp_targetILNS1_3genE8ELNS1_11target_archE1030ELNS1_3gpuE2ELNS1_3repE0EEENS1_30default_config_static_selectorELNS0_4arch9wavefront6targetE0EEEvSK_,comdat
.Lfunc_end1018:
	.size	_ZN7rocprim17ROCPRIM_400000_NS6detail17trampoline_kernelINS0_14default_configENS1_36segmented_radix_sort_config_selectorIslEEZNS1_25segmented_radix_sort_implIS3_Lb0EPKsPsPKlPlN2at6native12_GLOBAL__N_18offset_tEEE10hipError_tPvRmT1_PNSt15iterator_traitsISK_E10value_typeET2_T3_PNSL_ISQ_E10value_typeET4_jRbjT5_SW_jjP12ihipStream_tbEUlT_E_NS1_11comp_targetILNS1_3genE8ELNS1_11target_archE1030ELNS1_3gpuE2ELNS1_3repE0EEENS1_30default_config_static_selectorELNS0_4arch9wavefront6targetE0EEEvSK_, .Lfunc_end1018-_ZN7rocprim17ROCPRIM_400000_NS6detail17trampoline_kernelINS0_14default_configENS1_36segmented_radix_sort_config_selectorIslEEZNS1_25segmented_radix_sort_implIS3_Lb0EPKsPsPKlPlN2at6native12_GLOBAL__N_18offset_tEEE10hipError_tPvRmT1_PNSt15iterator_traitsISK_E10value_typeET2_T3_PNSL_ISQ_E10value_typeET4_jRbjT5_SW_jjP12ihipStream_tbEUlT_E_NS1_11comp_targetILNS1_3genE8ELNS1_11target_archE1030ELNS1_3gpuE2ELNS1_3repE0EEENS1_30default_config_static_selectorELNS0_4arch9wavefront6targetE0EEEvSK_
                                        ; -- End function
	.set _ZN7rocprim17ROCPRIM_400000_NS6detail17trampoline_kernelINS0_14default_configENS1_36segmented_radix_sort_config_selectorIslEEZNS1_25segmented_radix_sort_implIS3_Lb0EPKsPsPKlPlN2at6native12_GLOBAL__N_18offset_tEEE10hipError_tPvRmT1_PNSt15iterator_traitsISK_E10value_typeET2_T3_PNSL_ISQ_E10value_typeET4_jRbjT5_SW_jjP12ihipStream_tbEUlT_E_NS1_11comp_targetILNS1_3genE8ELNS1_11target_archE1030ELNS1_3gpuE2ELNS1_3repE0EEENS1_30default_config_static_selectorELNS0_4arch9wavefront6targetE0EEEvSK_.num_vgpr, 0
	.set _ZN7rocprim17ROCPRIM_400000_NS6detail17trampoline_kernelINS0_14default_configENS1_36segmented_radix_sort_config_selectorIslEEZNS1_25segmented_radix_sort_implIS3_Lb0EPKsPsPKlPlN2at6native12_GLOBAL__N_18offset_tEEE10hipError_tPvRmT1_PNSt15iterator_traitsISK_E10value_typeET2_T3_PNSL_ISQ_E10value_typeET4_jRbjT5_SW_jjP12ihipStream_tbEUlT_E_NS1_11comp_targetILNS1_3genE8ELNS1_11target_archE1030ELNS1_3gpuE2ELNS1_3repE0EEENS1_30default_config_static_selectorELNS0_4arch9wavefront6targetE0EEEvSK_.num_agpr, 0
	.set _ZN7rocprim17ROCPRIM_400000_NS6detail17trampoline_kernelINS0_14default_configENS1_36segmented_radix_sort_config_selectorIslEEZNS1_25segmented_radix_sort_implIS3_Lb0EPKsPsPKlPlN2at6native12_GLOBAL__N_18offset_tEEE10hipError_tPvRmT1_PNSt15iterator_traitsISK_E10value_typeET2_T3_PNSL_ISQ_E10value_typeET4_jRbjT5_SW_jjP12ihipStream_tbEUlT_E_NS1_11comp_targetILNS1_3genE8ELNS1_11target_archE1030ELNS1_3gpuE2ELNS1_3repE0EEENS1_30default_config_static_selectorELNS0_4arch9wavefront6targetE0EEEvSK_.numbered_sgpr, 0
	.set _ZN7rocprim17ROCPRIM_400000_NS6detail17trampoline_kernelINS0_14default_configENS1_36segmented_radix_sort_config_selectorIslEEZNS1_25segmented_radix_sort_implIS3_Lb0EPKsPsPKlPlN2at6native12_GLOBAL__N_18offset_tEEE10hipError_tPvRmT1_PNSt15iterator_traitsISK_E10value_typeET2_T3_PNSL_ISQ_E10value_typeET4_jRbjT5_SW_jjP12ihipStream_tbEUlT_E_NS1_11comp_targetILNS1_3genE8ELNS1_11target_archE1030ELNS1_3gpuE2ELNS1_3repE0EEENS1_30default_config_static_selectorELNS0_4arch9wavefront6targetE0EEEvSK_.num_named_barrier, 0
	.set _ZN7rocprim17ROCPRIM_400000_NS6detail17trampoline_kernelINS0_14default_configENS1_36segmented_radix_sort_config_selectorIslEEZNS1_25segmented_radix_sort_implIS3_Lb0EPKsPsPKlPlN2at6native12_GLOBAL__N_18offset_tEEE10hipError_tPvRmT1_PNSt15iterator_traitsISK_E10value_typeET2_T3_PNSL_ISQ_E10value_typeET4_jRbjT5_SW_jjP12ihipStream_tbEUlT_E_NS1_11comp_targetILNS1_3genE8ELNS1_11target_archE1030ELNS1_3gpuE2ELNS1_3repE0EEENS1_30default_config_static_selectorELNS0_4arch9wavefront6targetE0EEEvSK_.private_seg_size, 0
	.set _ZN7rocprim17ROCPRIM_400000_NS6detail17trampoline_kernelINS0_14default_configENS1_36segmented_radix_sort_config_selectorIslEEZNS1_25segmented_radix_sort_implIS3_Lb0EPKsPsPKlPlN2at6native12_GLOBAL__N_18offset_tEEE10hipError_tPvRmT1_PNSt15iterator_traitsISK_E10value_typeET2_T3_PNSL_ISQ_E10value_typeET4_jRbjT5_SW_jjP12ihipStream_tbEUlT_E_NS1_11comp_targetILNS1_3genE8ELNS1_11target_archE1030ELNS1_3gpuE2ELNS1_3repE0EEENS1_30default_config_static_selectorELNS0_4arch9wavefront6targetE0EEEvSK_.uses_vcc, 0
	.set _ZN7rocprim17ROCPRIM_400000_NS6detail17trampoline_kernelINS0_14default_configENS1_36segmented_radix_sort_config_selectorIslEEZNS1_25segmented_radix_sort_implIS3_Lb0EPKsPsPKlPlN2at6native12_GLOBAL__N_18offset_tEEE10hipError_tPvRmT1_PNSt15iterator_traitsISK_E10value_typeET2_T3_PNSL_ISQ_E10value_typeET4_jRbjT5_SW_jjP12ihipStream_tbEUlT_E_NS1_11comp_targetILNS1_3genE8ELNS1_11target_archE1030ELNS1_3gpuE2ELNS1_3repE0EEENS1_30default_config_static_selectorELNS0_4arch9wavefront6targetE0EEEvSK_.uses_flat_scratch, 0
	.set _ZN7rocprim17ROCPRIM_400000_NS6detail17trampoline_kernelINS0_14default_configENS1_36segmented_radix_sort_config_selectorIslEEZNS1_25segmented_radix_sort_implIS3_Lb0EPKsPsPKlPlN2at6native12_GLOBAL__N_18offset_tEEE10hipError_tPvRmT1_PNSt15iterator_traitsISK_E10value_typeET2_T3_PNSL_ISQ_E10value_typeET4_jRbjT5_SW_jjP12ihipStream_tbEUlT_E_NS1_11comp_targetILNS1_3genE8ELNS1_11target_archE1030ELNS1_3gpuE2ELNS1_3repE0EEENS1_30default_config_static_selectorELNS0_4arch9wavefront6targetE0EEEvSK_.has_dyn_sized_stack, 0
	.set _ZN7rocprim17ROCPRIM_400000_NS6detail17trampoline_kernelINS0_14default_configENS1_36segmented_radix_sort_config_selectorIslEEZNS1_25segmented_radix_sort_implIS3_Lb0EPKsPsPKlPlN2at6native12_GLOBAL__N_18offset_tEEE10hipError_tPvRmT1_PNSt15iterator_traitsISK_E10value_typeET2_T3_PNSL_ISQ_E10value_typeET4_jRbjT5_SW_jjP12ihipStream_tbEUlT_E_NS1_11comp_targetILNS1_3genE8ELNS1_11target_archE1030ELNS1_3gpuE2ELNS1_3repE0EEENS1_30default_config_static_selectorELNS0_4arch9wavefront6targetE0EEEvSK_.has_recursion, 0
	.set _ZN7rocprim17ROCPRIM_400000_NS6detail17trampoline_kernelINS0_14default_configENS1_36segmented_radix_sort_config_selectorIslEEZNS1_25segmented_radix_sort_implIS3_Lb0EPKsPsPKlPlN2at6native12_GLOBAL__N_18offset_tEEE10hipError_tPvRmT1_PNSt15iterator_traitsISK_E10value_typeET2_T3_PNSL_ISQ_E10value_typeET4_jRbjT5_SW_jjP12ihipStream_tbEUlT_E_NS1_11comp_targetILNS1_3genE8ELNS1_11target_archE1030ELNS1_3gpuE2ELNS1_3repE0EEENS1_30default_config_static_selectorELNS0_4arch9wavefront6targetE0EEEvSK_.has_indirect_call, 0
	.section	.AMDGPU.csdata,"",@progbits
; Kernel info:
; codeLenInByte = 0
; TotalNumSgprs: 0
; NumVgprs: 0
; ScratchSize: 0
; MemoryBound: 0
; FloatMode: 240
; IeeeMode: 1
; LDSByteSize: 0 bytes/workgroup (compile time only)
; SGPRBlocks: 0
; VGPRBlocks: 0
; NumSGPRsForWavesPerEU: 1
; NumVGPRsForWavesPerEU: 1
; NamedBarCnt: 0
; Occupancy: 16
; WaveLimiterHint : 0
; COMPUTE_PGM_RSRC2:SCRATCH_EN: 0
; COMPUTE_PGM_RSRC2:USER_SGPR: 2
; COMPUTE_PGM_RSRC2:TRAP_HANDLER: 0
; COMPUTE_PGM_RSRC2:TGID_X_EN: 1
; COMPUTE_PGM_RSRC2:TGID_Y_EN: 0
; COMPUTE_PGM_RSRC2:TGID_Z_EN: 0
; COMPUTE_PGM_RSRC2:TIDIG_COMP_CNT: 0
	.text
	.p2align	2                               ; -- Begin function _ZN7rocprim17ROCPRIM_400000_NS6detail26segmented_warp_sort_helperINS1_20WarpSortHelperConfigILj32ELj4ELj256EEEslLi256ELb0EvE4sortIPKsPsPKlPlEEvT_T0_T1_T2_jjjjRNS5_12storage_typeE
	.type	_ZN7rocprim17ROCPRIM_400000_NS6detail26segmented_warp_sort_helperINS1_20WarpSortHelperConfigILj32ELj4ELj256EEEslLi256ELb0EvE4sortIPKsPsPKlPlEEvT_T0_T1_T2_jjjjRNS5_12storage_typeE,@function
_ZN7rocprim17ROCPRIM_400000_NS6detail26segmented_warp_sort_helperINS1_20WarpSortHelperConfigILj32ELj4ELj256EEEslLi256ELb0EvE4sortIPKsPsPKlPlEEvT_T0_T1_T2_jjjjRNS5_12storage_typeE: ; @_ZN7rocprim17ROCPRIM_400000_NS6detail26segmented_warp_sort_helperINS1_20WarpSortHelperConfigILj32ELj4ELj256EEEslLi256ELb0EvE4sortIPKsPsPKlPlEEvT_T0_T1_T2_jjjjRNS5_12storage_typeE
; %bb.0:
	s_wait_loadcnt_dscnt 0x0
	s_wait_kmcnt 0x0
	v_dual_mov_b32 v14, v9 :: v_dual_mov_b32 v9, 0
	v_mbcnt_lo_u32_b32 v15, -1, 0
	v_mov_b32_e32 v34, 0x7fff
	v_mov_b32_e32 v36, 0x7fff
	s_delay_alu instid0(VALU_DEP_4) | instskip(SKIP_3) | instid1(VALU_DEP_2)
	v_sub_nc_u32_e32 v14, v14, v8
	v_lshl_add_u64 v[0:1], v[8:9], 1, v[0:1]
	v_dual_mov_b32 v17, v9 :: v_dual_lshlrev_b32 v16, 3, v15
	v_lshlrev_b32_e32 v30, 2, v15
	v_add_nc_u64_e32 v[0:1], v[0:1], v[16:17]
	s_delay_alu instid0(VALU_DEP_2)
	v_cmp_lt_u32_e32 vcc_lo, v30, v14
	s_and_saveexec_b32 s0, vcc_lo
	s_cbranch_execz .LBB1019_2
; %bb.1:
	flat_load_u16 v36, v[0:1]
.LBB1019_2:
	s_wait_xcnt 0x0
	s_or_b32 exec_lo, exec_lo, s0
	v_or_b32_e32 v15, 1, v30
	s_delay_alu instid0(VALU_DEP_1)
	v_cmp_lt_u32_e64 s0, v15, v14
	s_and_saveexec_b32 s1, s0
	s_cbranch_execz .LBB1019_4
; %bb.3:
	flat_load_u16 v34, v[0:1] offset:2
.LBB1019_4:
	s_wait_xcnt 0x0
	s_or_b32 exec_lo, exec_lo, s1
	v_or_b32_e32 v15, 2, v30
	v_dual_mov_b32 v35, 0x7fff :: v_dual_mov_b32 v26, 0x7fff
	s_delay_alu instid0(VALU_DEP_2)
	v_cmp_lt_u32_e64 s1, v15, v14
	s_and_saveexec_b32 s2, s1
	s_cbranch_execz .LBB1019_6
; %bb.5:
	flat_load_u16 v26, v[0:1] offset:4
.LBB1019_6:
	s_wait_xcnt 0x0
	s_or_b32 exec_lo, exec_lo, s2
	v_or_b32_e32 v15, 3, v30
	s_delay_alu instid0(VALU_DEP_1)
	v_cmp_lt_u32_e64 s2, v15, v14
	s_and_saveexec_b32 s3, s2
	s_cbranch_execz .LBB1019_8
; %bb.7:
	flat_load_u16 v35, v[0:1] offset:6
.LBB1019_8:
	s_wait_xcnt 0x0
	s_or_b32 exec_lo, exec_lo, s3
	v_lshl_add_u64 v[4:5], v[8:9], 3, v[4:5]
	v_dual_mov_b32 v1, 0 :: v_dual_lshlrev_b32 v0, 3, v30
	v_mov_b64_e32 v[22:23], 0
	; wave barrier
	s_delay_alu instid0(VALU_DEP_2)
	v_add_nc_u64_e32 v[16:17], v[4:5], v[0:1]
	v_mov_b64_e32 v[4:5], 0
	s_and_saveexec_b32 s3, vcc_lo
	s_cbranch_execz .LBB1019_10
; %bb.9:
	flat_load_b64 v[4:5], v[16:17]
.LBB1019_10:
	s_wait_xcnt 0x0
	s_or_b32 exec_lo, exec_lo, s3
	s_mov_b32 s3, 0
	s_delay_alu instid0(SALU_CYCLE_1)
	v_dual_mov_b32 v18, s3 :: v_dual_mov_b32 v19, s3
	v_dual_mov_b32 v24, s3 :: v_dual_mov_b32 v25, s3
	;; [unrolled: 1-line block ×3, first 2 shown]
	s_and_saveexec_b32 s4, s0
	s_cbranch_execz .LBB1019_12
; %bb.11:
	flat_load_b64 v[18:19], v[16:17] offset:8
	v_dual_mov_b32 v24, s3 :: v_dual_mov_b32 v25, s3
	v_dual_mov_b32 v32, s3 :: v_dual_mov_b32 v33, s3
	s_wait_loadcnt_dscnt 0x0
	v_mov_b64_e32 v[22:23], v[18:19]
.LBB1019_12:
	s_wait_xcnt 0x0
	s_or_b32 exec_lo, exec_lo, s4
	v_mov_b64_e32 v[20:21], 0
	v_mov_b64_e32 v[14:15], 0
	s_and_saveexec_b32 s3, s1
	s_cbranch_execz .LBB1019_14
; %bb.13:
	flat_load_b64 v[24:25], v[16:17] offset:16
	s_mov_b32 s4, 0
	s_delay_alu instid0(SALU_CYCLE_1)
	v_dual_mov_b32 v32, s4 :: v_dual_mov_b32 v33, s4
	s_wait_loadcnt_dscnt 0x0
	v_mov_b64_e32 v[14:15], v[24:25]
.LBB1019_14:
	s_wait_xcnt 0x0
	s_or_b32 exec_lo, exec_lo, s3
	s_and_saveexec_b32 s3, s2
	s_cbranch_execz .LBB1019_16
; %bb.15:
	flat_load_b64 v[32:33], v[16:17] offset:24
	s_wait_loadcnt_dscnt 0x0
	v_mov_b64_e32 v[20:21], v[32:33]
.LBB1019_16:
	s_wait_xcnt 0x0
	s_or_b32 exec_lo, exec_lo, s3
	v_cmp_ne_u32_e64 s3, 0, v10
	v_cmp_ne_u32_e64 s4, 16, v11
	v_bfe_u32 v16, v31, 10, 10
	v_bfe_u32 v17, v31, 20, 10
	v_and_b32_e32 v1, 0x3ff, v31
	s_mov_b32 s5, 0
	s_or_b32 s3, s3, s4
	s_getreg_b32 s11, hwreg(HW_REG_IB_STS2, 6, 4)
	; wave barrier
	s_and_saveexec_b32 s4, s3
	s_delay_alu instid0(SALU_CYCLE_1)
	s_xor_b32 s12, exec_lo, s4
	s_cbranch_execz .LBB1019_80
; %bb.17:
	s_load_b64 s[6:7], s[8:9], 0x0
	s_bfe_u32 s4, ttmp6, 0x4000c
	s_bfe_u32 s13, ttmp6, 0x40010
	s_and_b32 s10, ttmp7, 0xffff
	s_add_co_i32 s4, s4, 1
	s_add_co_i32 s13, s13, 1
	s_and_b32 s3, ttmp6, 15
	s_bfe_u32 s14, ttmp6, 0x40004
	s_mul_i32 s4, ttmp9, s4
	s_mul_i32 s13, s10, s13
	s_add_co_i32 s3, s3, s4
	s_add_co_i32 s14, s14, s13
	s_cmp_eq_u32 s11, 0
	v_lshlrev_b32_e64 v11, v11, -1
	s_cselect_b32 s3, ttmp9, s3
	s_cselect_b32 s10, s10, s14
	s_wait_kmcnt 0x0
	s_cmp_lt_u32 s3, s6
	s_cselect_b32 s4, 12, 18
	s_cmp_lt_u32 s10, s7
	s_mov_b32 s7, s5
	s_cselect_b32 s6, 14, 20
	s_add_nc_u64 s[4:5], s[8:9], s[4:5]
	s_add_nc_u64 s[6:7], s[8:9], s[6:7]
	s_load_u16 s4, s[4:5], 0x0
	s_wait_xcnt 0x0
	s_mov_b32 s5, exec_lo
	s_load_u16 s3, s[6:7], 0x0
	s_wait_kmcnt 0x0
	v_mad_u32_u24 v16, v17, s3, v16
	v_lshlrev_b32_e64 v17, v10, -1
	s_delay_alu instid0(VALU_DEP_2) | instskip(NEXT) | instid1(VALU_DEP_1)
	v_mul_lo_u32 v16, v16, s4
	v_add_lshl_u32 v10, v16, v1, 2
	s_delay_alu instid0(VALU_DEP_3) | instskip(NEXT) | instid1(VALU_DEP_2)
	v_xor_b32_e32 v1, v11, v17
	v_cmpx_gt_u32_e32 0x400, v10
	s_cbranch_execz .LBB1019_29
; %bb.18:
	s_wait_loadcnt_dscnt 0x0
	s_delay_alu instid0(VALU_DEP_2) | instskip(SKIP_2) | instid1(VALU_DEP_1)
	v_and_b32_e32 v11, v34, v1
	v_and_b32_e32 v14, v36, v1
	s_mov_b32 s6, exec_lo
	v_cmp_gt_i16_e64 s3, v14, v11
	v_and_b32_e32 v20, v35, v1
	v_dual_mov_b32 v11, v26 :: v_dual_bitop2_b32 v31, v26, v1 bitop3:0x40
	s_delay_alu instid0(VALU_DEP_3) | instskip(SKIP_2) | instid1(VALU_DEP_4)
	v_dual_cndmask_b32 v17, v19, v5, s3 :: v_dual_cndmask_b32 v16, v18, v4, s3
	v_dual_cndmask_b32 v15, v5, v19, s3 :: v_dual_cndmask_b32 v14, v4, v18, s3
	v_mov_b64_e32 v[18:19], v[24:25]
	v_cmpx_gt_i16_e64 v31, v20
; %bb.19:
	v_mov_b64_e32 v[18:19], v[32:33]
	v_mov_b64_e32 v[32:33], v[24:25]
	v_dual_mov_b32 v11, v35 :: v_dual_mov_b32 v35, v26
	v_mov_b32_e32 v31, v20
; %bb.20:
	s_or_b32 exec_lo, exec_lo, s6
	s_delay_alu instid0(VALU_DEP_3) | instskip(NEXT) | instid1(VALU_DEP_1)
	v_dual_cndmask_b32 v5, v34, v36, s3 :: v_dual_mov_b32 v20, v32
                                        ; implicit-def: $vgpr37
	v_and_b32_e32 v4, v5, v1
	s_delay_alu instid0(VALU_DEP_2)
	v_mov_b64_e32 v[28:29], v[20:21]
	v_mov_b64_e32 v[22:23], v[14:15]
	;; [unrolled: 1-line block ×4, first 2 shown]
	v_cmp_le_i16_e64 s4, v4, v31
	s_and_saveexec_b32 s6, s4
	s_delay_alu instid0(SALU_CYCLE_1)
	s_xor_b32 s4, exec_lo, s6
; %bb.21:
	v_and_b32_e32 v37, v11, v1
                                        ; implicit-def: $vgpr22_vgpr23_vgpr24_vgpr25_vgpr26_vgpr27_vgpr28_vgpr29
                                        ; implicit-def: $vgpr31
; %bb.22:
	s_or_saveexec_b32 s4, s4
	v_dual_mov_b32 v21, v33 :: v_dual_mov_b32 v24, v5
	s_xor_b32 exec_lo, exec_lo, s4
	s_cbranch_execz .LBB1019_24
; %bb.23:
	v_dual_mov_b32 v24, v18 :: v_dual_mov_b32 v25, v19
	v_dual_mov_b32 v26, v16 :: v_dual_mov_b32 v27, v17
	;; [unrolled: 1-line block ×3, first 2 shown]
	v_mov_b64_e32 v[14:15], v[22:23]
	s_delay_alu instid0(VALU_DEP_4) | instskip(NEXT) | instid1(VALU_DEP_4)
	v_mov_b64_e32 v[16:17], v[24:25]
	v_mov_b64_e32 v[18:19], v[26:27]
	v_mov_b32_e32 v37, v4
	v_mov_b64_e32 v[20:21], v[28:29]
	v_dual_mov_b32 v24, v11 :: v_dual_mov_b32 v11, v5
	v_mov_b32_e32 v4, v31
.LBB1019_24:
	s_or_b32 exec_lo, exec_lo, s4
	v_dual_cndmask_b32 v25, v36, v34, s3 :: v_dual_bitop2_b32 v26, v35, v1 bitop3:0x40
	s_mov_b32 s6, exec_lo
	s_delay_alu instid0(VALU_DEP_1) | instskip(NEXT) | instid1(VALU_DEP_1)
	v_and_b32_e32 v5, v25, v1
	v_cmp_gt_i16_e64 s3, v5, v4
	s_delay_alu instid0(VALU_DEP_1)
	v_dual_cndmask_b32 v23, v17, v15, s3 :: v_dual_cndmask_b32 v5, v15, v17, s3
	v_dual_cndmask_b32 v22, v16, v14, s3 :: v_dual_cndmask_b32 v4, v14, v16, s3
	v_mov_b32_e32 v16, v11
	v_cmpx_gt_i16_e64 v37, v26
; %bb.25:
	v_mov_b64_e32 v[14:15], v[18:19]
	v_mov_b64_e32 v[18:19], v[20:21]
	v_dual_mov_b32 v16, v35 :: v_dual_mov_b32 v35, v11
	v_mov_b32_e32 v37, v26
	s_delay_alu instid0(VALU_DEP_4)
	v_mov_b64_e32 v[20:21], v[14:15]
; %bb.26:
	s_or_b32 exec_lo, exec_lo, s6
	v_cndmask_b32_e64 v34, v24, v25, s3
	v_mov_b64_e32 v[14:15], v[18:19]
	s_mov_b32 s6, exec_lo
	s_delay_alu instid0(VALU_DEP_2) | instskip(NEXT) | instid1(VALU_DEP_1)
	v_dual_mov_b32 v26, v16 :: v_dual_bitop2_b32 v11, v34, v1 bitop3:0x40
	v_cmpx_gt_i16_e64 v11, v37
; %bb.27:
	v_mov_b64_e32 v[14:15], v[22:23]
	v_mov_b64_e32 v[22:23], v[18:19]
	v_dual_mov_b32 v26, v34 :: v_dual_mov_b32 v34, v16
; %bb.28:
	s_or_b32 exec_lo, exec_lo, s6
	v_cndmask_b32_e64 v36, v25, v24, s3
.LBB1019_29:
	s_or_b32 exec_lo, exec_lo, s5
	v_and_b32_e32 v16, 0xffffff80, v10
	v_dual_mov_b32 v17, 0 :: v_dual_bitop2_b32 v18, 4, v30 bitop3:0x54
	v_and_b32_e32 v39, 0x78, v30
	s_mov_b32 s4, exec_lo
	s_delay_alu instid0(VALU_DEP_3) | instskip(NEXT) | instid1(VALU_DEP_3)
	v_sub_nc_u32_e64 v24, 0x400, v16 clamp
	v_lshl_add_u64 v[12:13], v[16:17], 1, v[12:13]
	s_delay_alu instid0(VALU_DEP_2) | instskip(NEXT) | instid1(VALU_DEP_2)
	v_min_u32_e32 v37, v24, v18
	v_mad_nc_u64_u32 v[10:11], v16, 6, v[12:13]
	s_delay_alu instid0(VALU_DEP_2) | instskip(NEXT) | instid1(VALU_DEP_1)
	v_add_min_u32_e64 v38, v37, 4, v24
	v_dual_sub_nc_u32 v16, v38, v37 :: v_dual_bitop2_b32 v11, 4, v30 bitop3:0x40
	s_delay_alu instid0(VALU_DEP_1) | instskip(SKIP_2) | instid1(VALU_DEP_3)
	v_min_u32_e32 v48, v24, v11
	v_sub_nc_u32_e32 v11, v37, v39
	v_lshl_add_u32 v27, v30, 3, v10
	v_sub_nc_u32_e64 v49, v48, v16 clamp
	s_delay_alu instid0(VALU_DEP_3) | instskip(NEXT) | instid1(VALU_DEP_3)
	v_min_u32_e32 v25, v48, v11
	v_add_nc_u32_e32 v16, 0x800, v27
	v_lshl_add_u32 v11, v30, 1, v12
	s_wait_loadcnt_dscnt 0x0
	ds_store_2addr_b64 v16, v[4:5], v[22:23] offset1:1
	ds_store_b16 v11, v36
	ds_store_b16 v11, v34 offset:2
	ds_store_b16 v11, v26 offset:4
	;; [unrolled: 1-line block ×3, first 2 shown]
	ds_store_2addr_b64 v16, v[14:15], v[20:21] offset0:2 offset1:3
	; wave barrier
	v_cmpx_lt_u32_e64 v49, v25
	s_cbranch_execz .LBB1019_33
; %bb.30:
	v_lshlrev_b32_e32 v16, 1, v39
	s_mov_b32 s5, 0
	s_delay_alu instid0(VALU_DEP_1) | instskip(SKIP_1) | instid1(VALU_DEP_1)
	v_add_nc_u64_e32 v[18:19], v[12:13], v[16:17]
	v_lshlrev_b32_e32 v16, 1, v37
	v_add_nc_u64_e32 v[16:17], v[12:13], v[16:17]
.LBB1019_31:                            ; =>This Inner Loop Header: Depth=1
	v_add_nc_u32_e32 v17, v25, v49
	s_delay_alu instid0(VALU_DEP_1) | instskip(NEXT) | instid1(VALU_DEP_1)
	v_lshrrev_b32_e32 v19, 1, v17
	v_dual_add_nc_u32 v29, 1, v19 :: v_dual_bitop2_b32 v17, -2, v17 bitop3:0x40
	v_xad_u32 v28, v19, -1, v48
	s_delay_alu instid0(VALU_DEP_2) | instskip(NEXT) | instid1(VALU_DEP_2)
	v_add_nc_u32_e32 v17, v18, v17
	v_lshl_add_u32 v28, v28, 1, v16
	ds_load_u16 v17, v17
	ds_load_u16 v28, v28
	s_wait_dscnt 0x1
	v_and_b32_e32 v17, v17, v1
	s_wait_dscnt 0x0
	v_and_b32_e32 v28, v28, v1
	s_delay_alu instid0(VALU_DEP_1) | instskip(NEXT) | instid1(VALU_DEP_1)
	v_cmp_gt_i16_e64 s3, v17, v28
	v_cndmask_b32_e64 v25, v25, v19, s3
	v_cndmask_b32_e64 v49, v29, v49, s3
	s_delay_alu instid0(VALU_DEP_1) | instskip(SKIP_1) | instid1(SALU_CYCLE_1)
	v_cmp_ge_u32_e64 s3, v49, v25
	s_or_b32 s5, s3, s5
	s_and_not1_b32 exec_lo, exec_lo, s5
	s_cbranch_execnz .LBB1019_31
; %bb.32:
	s_or_b32 exec_lo, exec_lo, s5
.LBB1019_33:
	s_delay_alu instid0(SALU_CYCLE_1) | instskip(SKIP_4) | instid1(VALU_DEP_4)
	s_or_b32 exec_lo, exec_lo, s4
	v_dual_add_nc_u32 v25, 6, v11 :: v_dual_add_nc_u32 v16, v37, v48
	v_add_nc_u32_e32 v19, v49, v39
	v_add_nc_u32_e32 v33, 0x800, v27
	v_dual_add_nc_u32 v28, 2, v11 :: v_dual_add_nc_u32 v31, 4, v11
	v_sub_nc_u32_e32 v18, v16, v49
	s_delay_alu instid0(VALU_DEP_4)
	v_cmp_le_u32_e64 s3, v19, v37
	v_add_nc_u32_e32 v29, 0x808, v27
	v_add_nc_u32_e32 v32, 0x810, v27
	;; [unrolled: 1-line block ×3, first 2 shown]
	v_cmp_le_u32_e64 s4, v18, v38
	s_or_b32 s3, s3, s4
	s_delay_alu instid0(SALU_CYCLE_1)
	s_and_saveexec_b32 s13, s3
	s_cbranch_execz .LBB1019_39
; %bb.34:
	v_cmp_lt_u32_e64 s3, v19, v37
                                        ; implicit-def: $vgpr16
	s_and_saveexec_b32 s4, s3
; %bb.35:
	v_lshl_add_u32 v4, v19, 1, v12
	ds_load_u16 v16, v4
; %bb.36:
	s_or_b32 exec_lo, exec_lo, s4
	v_cmp_ge_u32_e64 s4, v18, v38
	s_mov_b32 s6, exec_lo
                                        ; implicit-def: $vgpr17
	v_cmpx_lt_u32_e64 v18, v38
; %bb.37:
	v_lshl_add_u32 v4, v18, 1, v12
	ds_load_u16 v17, v4
; %bb.38:
	s_or_b32 exec_lo, exec_lo, s6
	s_wait_dscnt 0x0
	v_and_b32_e32 v4, v17, v1
	v_and_b32_e32 v5, v16, v1
	s_delay_alu instid0(VALU_DEP_1) | instskip(SKIP_1) | instid1(SALU_CYCLE_1)
	v_cmp_le_i16_e64 s5, v5, v4
	s_and_b32 s3, s3, s5
	s_or_b32 s3, s4, s3
	s_delay_alu instid0(SALU_CYCLE_1) | instskip(SKIP_1) | instid1(VALU_DEP_2)
	v_cndmask_b32_e64 v4, v18, v19, s3
	v_dual_cndmask_b32 v5, v38, v37, s3 :: v_dual_cndmask_b32 v36, v17, v16, s3
	v_add_nc_u32_e32 v14, 1, v4
	v_lshl_add_u32 v4, v4, 3, v10
	s_delay_alu instid0(VALU_DEP_2) | instskip(NEXT) | instid1(VALU_DEP_1)
	v_add_min_u32_e64 v5, v5, -1, v14
	v_lshl_add_u32 v5, v5, 1, v12
	ds_load_u16 v5, v5
	s_wait_dscnt 0x0
	v_cndmask_b32_e64 v26, v5, v17, s3
	v_dual_cndmask_b32 v34, v16, v5, s3 :: v_dual_cndmask_b32 v5, v19, v14, s3
	v_cndmask_b32_e64 v14, v14, v18, s3
	s_delay_alu instid0(VALU_DEP_3) | instskip(NEXT) | instid1(VALU_DEP_3)
	v_and_b32_e32 v15, v26, v1
	v_and_b32_e32 v19, v34, v1
	s_delay_alu instid0(VALU_DEP_4) | instskip(NEXT) | instid1(VALU_DEP_4)
	v_cmp_lt_u32_e64 s4, v5, v37
	v_cmp_ge_u32_e64 s6, v14, v38
	s_delay_alu instid0(VALU_DEP_3) | instskip(SKIP_1) | instid1(SALU_CYCLE_1)
	v_cmp_le_i16_e64 s5, v19, v15
	s_and_b32 s4, s4, s5
	s_or_b32 s4, s6, s4
	s_delay_alu instid0(SALU_CYCLE_1) | instskip(NEXT) | instid1(VALU_DEP_1)
	v_cndmask_b32_e64 v15, v14, v5, s4
	v_dual_cndmask_b32 v18, v38, v37, s4 :: v_dual_add_nc_u32 v19, 1, v15
	s_delay_alu instid0(VALU_DEP_1) | instskip(SKIP_1) | instid1(VALU_DEP_2)
	v_add_min_u32_e64 v18, v18, -1, v19
	v_dual_cndmask_b32 v5, v5, v19, s4 :: v_dual_cndmask_b32 v14, v19, v14, s4
	v_lshl_add_u32 v18, v18, 1, v12
	s_delay_alu instid0(VALU_DEP_2) | instskip(NEXT) | instid1(VALU_DEP_3)
	v_cmp_lt_u32_e64 s5, v5, v37
	v_cmp_ge_u32_e64 s7, v14, v38
	ds_load_u16 v18, v18
	s_wait_dscnt 0x0
	v_cndmask_b32_e64 v35, v18, v26, s4
	v_cndmask_b32_e64 v18, v34, v18, s4
	s_delay_alu instid0(VALU_DEP_1) | instskip(NEXT) | instid1(VALU_DEP_3)
	v_and_b32_e32 v21, v18, v1
	v_and_b32_e32 v20, v35, v1
	s_delay_alu instid0(VALU_DEP_1) | instskip(SKIP_1) | instid1(SALU_CYCLE_1)
	v_cmp_le_i16_e64 s6, v21, v20
	s_and_b32 s5, s5, s6
	s_or_b32 s5, s7, s5
	s_delay_alu instid0(SALU_CYCLE_1) | instskip(SKIP_1) | instid1(VALU_DEP_1)
	v_cndmask_b32_e64 v20, v38, v37, s5
	v_cndmask_b32_e64 v19, v14, v5, s5
	v_add_nc_u32_e32 v21, 1, v19
	s_delay_alu instid0(VALU_DEP_1) | instskip(SKIP_2) | instid1(VALU_DEP_3)
	v_add_min_u32_e64 v20, v20, -1, v21
	v_cndmask_b32_e64 v5, v5, v21, s5
	v_cndmask_b32_e64 v14, v21, v14, s5
	v_lshl_add_u32 v20, v20, 1, v12
	s_delay_alu instid0(VALU_DEP_3) | instskip(NEXT) | instid1(VALU_DEP_3)
	v_cmp_lt_u32_e64 s6, v5, v37
	v_cmp_ge_u32_e64 s10, v14, v38
	ds_load_u16 v20, v20
	s_wait_dscnt 0x0
	v_dual_cndmask_b32 v39, v20, v35, s5 :: v_dual_cndmask_b32 v48, v18, v20, s5
	s_delay_alu instid0(VALU_DEP_1) | instskip(NEXT) | instid1(VALU_DEP_2)
	v_and_b32_e32 v20, v39, v1
	v_and_b32_e32 v22, v48, v1
	s_delay_alu instid0(VALU_DEP_1) | instskip(SKIP_1) | instid1(SALU_CYCLE_1)
	v_cmp_le_i16_e64 s7, v22, v20
	s_and_b32 s6, s6, s7
	s_or_b32 s6, s10, s6
	v_cndmask_b32_e64 v34, v26, v34, s4
	v_dual_cndmask_b32 v5, v14, v5, s6 :: v_dual_cndmask_b32 v26, v35, v18, s5
	v_lshl_add_u32 v14, v15, 3, v10
	v_lshl_add_u32 v15, v19, 3, v10
	v_cndmask_b32_e64 v35, v39, v48, s6
	s_delay_alu instid0(VALU_DEP_4)
	v_lshl_add_u32 v19, v5, 3, v10
	ds_load_b64 v[4:5], v4 offset:2048
	ds_load_b64 v[22:23], v14 offset:2048
	;; [unrolled: 1-line block ×4, first 2 shown]
.LBB1019_39:
	s_or_b32 exec_lo, exec_lo, s13
	v_and_b32_e32 v39, 0x70, v30
	s_mov_b32 s4, exec_lo
	; wave barrier
	ds_store_b16 v11, v36
	s_wait_dscnt 0x4
	ds_store_b64 v33, v[4:5]
	v_or_b32_e32 v16, 8, v39
	ds_store_b16 v28, v34
	s_wait_dscnt 0x5
	ds_store_b64 v29, v[22:23]
	ds_store_b16 v31, v26
	s_wait_dscnt 0x6
	ds_store_b64 v32, v[14:15]
	;; [unrolled: 3-line block ×3, first 2 shown]
	; wave barrier
	v_min_u32_e32 v37, v24, v16
	v_and_b32_e32 v16, 12, v30
	s_delay_alu instid0(VALU_DEP_2) | instskip(NEXT) | instid1(VALU_DEP_2)
	v_add_min_u32_e64 v38, v37, 8, v24
	v_min_u32_e32 v48, v24, v16
	s_delay_alu instid0(VALU_DEP_2) | instskip(NEXT) | instid1(VALU_DEP_1)
	v_dual_sub_nc_u32 v17, v37, v39 :: v_dual_sub_nc_u32 v16, v38, v37
	v_min_u32_e32 v50, v48, v17
	s_delay_alu instid0(VALU_DEP_2) | instskip(NEXT) | instid1(VALU_DEP_1)
	v_sub_nc_u32_e64 v49, v48, v16 clamp
	v_cmpx_lt_u32_e64 v49, v50
	s_cbranch_execz .LBB1019_43
; %bb.40:
	v_dual_mov_b32 v19, 0 :: v_dual_lshlrev_b32 v18, 1, v39
	s_mov_b32 s5, 0
	s_delay_alu instid0(VALU_DEP_1) | instskip(SKIP_1) | instid1(VALU_DEP_1)
	v_add_nc_u64_e32 v[16:17], v[12:13], v[18:19]
	v_lshlrev_b32_e32 v18, 1, v37
	v_add_nc_u64_e32 v[18:19], v[12:13], v[18:19]
.LBB1019_41:                            ; =>This Inner Loop Header: Depth=1
	v_add_nc_u32_e32 v17, v50, v49
	s_delay_alu instid0(VALU_DEP_1) | instskip(NEXT) | instid1(VALU_DEP_1)
	v_lshrrev_b32_e32 v19, 1, v17
	v_dual_add_nc_u32 v52, 1, v19 :: v_dual_bitop2_b32 v17, -2, v17 bitop3:0x40
	v_xad_u32 v51, v19, -1, v48
	s_delay_alu instid0(VALU_DEP_2) | instskip(NEXT) | instid1(VALU_DEP_2)
	v_add_nc_u32_e32 v17, v16, v17
	v_lshl_add_u32 v51, v51, 1, v18
	ds_load_u16 v17, v17
	ds_load_u16 v51, v51
	s_wait_dscnt 0x1
	v_and_b32_e32 v17, v17, v1
	s_wait_dscnt 0x0
	v_and_b32_e32 v51, v51, v1
	s_delay_alu instid0(VALU_DEP_1) | instskip(NEXT) | instid1(VALU_DEP_1)
	v_cmp_gt_i16_e64 s3, v17, v51
	v_dual_cndmask_b32 v50, v50, v19, s3 :: v_dual_cndmask_b32 v49, v52, v49, s3
	s_delay_alu instid0(VALU_DEP_1) | instskip(SKIP_1) | instid1(SALU_CYCLE_1)
	v_cmp_ge_u32_e64 s3, v49, v50
	s_or_b32 s5, s3, s5
	s_and_not1_b32 exec_lo, exec_lo, s5
	s_cbranch_execnz .LBB1019_41
; %bb.42:
	s_or_b32 exec_lo, exec_lo, s5
.LBB1019_43:
	s_delay_alu instid0(SALU_CYCLE_1) | instskip(SKIP_1) | instid1(VALU_DEP_1)
	s_or_b32 exec_lo, exec_lo, s4
	v_add_nc_u32_e32 v16, v37, v48
	v_dual_add_nc_u32 v19, v49, v39 :: v_dual_sub_nc_u32 v18, v16, v49
	s_delay_alu instid0(VALU_DEP_1) | instskip(NEXT) | instid1(VALU_DEP_2)
	v_cmp_le_u32_e64 s3, v19, v37
	v_cmp_le_u32_e64 s4, v18, v38
	s_or_b32 s3, s3, s4
	s_delay_alu instid0(SALU_CYCLE_1)
	s_and_saveexec_b32 s13, s3
	s_cbranch_execz .LBB1019_49
; %bb.44:
	v_cmp_lt_u32_e64 s3, v19, v37
                                        ; implicit-def: $vgpr16
	s_and_saveexec_b32 s4, s3
; %bb.45:
	v_lshl_add_u32 v4, v19, 1, v12
	ds_load_u16 v16, v4
; %bb.46:
	s_or_b32 exec_lo, exec_lo, s4
	v_cmp_ge_u32_e64 s4, v18, v38
	s_mov_b32 s6, exec_lo
                                        ; implicit-def: $vgpr17
	v_cmpx_lt_u32_e64 v18, v38
; %bb.47:
	v_lshl_add_u32 v4, v18, 1, v12
	ds_load_u16 v17, v4
; %bb.48:
	s_or_b32 exec_lo, exec_lo, s6
	s_wait_dscnt 0x0
	v_and_b32_e32 v4, v17, v1
	v_and_b32_e32 v5, v16, v1
	s_delay_alu instid0(VALU_DEP_1) | instskip(SKIP_1) | instid1(SALU_CYCLE_1)
	v_cmp_le_i16_e64 s5, v5, v4
	s_and_b32 s3, s3, s5
	s_or_b32 s3, s4, s3
	s_delay_alu instid0(SALU_CYCLE_1) | instskip(SKIP_1) | instid1(VALU_DEP_2)
	v_cndmask_b32_e64 v4, v18, v19, s3
	v_dual_cndmask_b32 v5, v38, v37, s3 :: v_dual_cndmask_b32 v36, v17, v16, s3
	v_add_nc_u32_e32 v14, 1, v4
	v_lshl_add_u32 v4, v4, 3, v10
	s_delay_alu instid0(VALU_DEP_2) | instskip(NEXT) | instid1(VALU_DEP_1)
	v_add_min_u32_e64 v5, v5, -1, v14
	v_lshl_add_u32 v5, v5, 1, v12
	ds_load_u16 v5, v5
	s_wait_dscnt 0x0
	v_cndmask_b32_e64 v26, v5, v17, s3
	v_dual_cndmask_b32 v34, v16, v5, s3 :: v_dual_cndmask_b32 v5, v19, v14, s3
	v_cndmask_b32_e64 v14, v14, v18, s3
	s_delay_alu instid0(VALU_DEP_3) | instskip(NEXT) | instid1(VALU_DEP_3)
	v_and_b32_e32 v15, v26, v1
	v_and_b32_e32 v19, v34, v1
	s_delay_alu instid0(VALU_DEP_4) | instskip(NEXT) | instid1(VALU_DEP_4)
	v_cmp_lt_u32_e64 s4, v5, v37
	v_cmp_ge_u32_e64 s6, v14, v38
	s_delay_alu instid0(VALU_DEP_3) | instskip(SKIP_1) | instid1(SALU_CYCLE_1)
	v_cmp_le_i16_e64 s5, v19, v15
	s_and_b32 s4, s4, s5
	s_or_b32 s4, s6, s4
	s_delay_alu instid0(SALU_CYCLE_1) | instskip(NEXT) | instid1(VALU_DEP_1)
	v_cndmask_b32_e64 v15, v14, v5, s4
	v_dual_cndmask_b32 v18, v38, v37, s4 :: v_dual_add_nc_u32 v19, 1, v15
	s_delay_alu instid0(VALU_DEP_1) | instskip(SKIP_1) | instid1(VALU_DEP_2)
	v_add_min_u32_e64 v18, v18, -1, v19
	v_dual_cndmask_b32 v5, v5, v19, s4 :: v_dual_cndmask_b32 v14, v19, v14, s4
	v_lshl_add_u32 v18, v18, 1, v12
	s_delay_alu instid0(VALU_DEP_2) | instskip(NEXT) | instid1(VALU_DEP_3)
	v_cmp_lt_u32_e64 s5, v5, v37
	v_cmp_ge_u32_e64 s7, v14, v38
	ds_load_u16 v18, v18
	s_wait_dscnt 0x0
	v_cndmask_b32_e64 v35, v18, v26, s4
	v_cndmask_b32_e64 v18, v34, v18, s4
	s_delay_alu instid0(VALU_DEP_1) | instskip(NEXT) | instid1(VALU_DEP_3)
	v_and_b32_e32 v21, v18, v1
	v_and_b32_e32 v20, v35, v1
	s_delay_alu instid0(VALU_DEP_1) | instskip(SKIP_1) | instid1(SALU_CYCLE_1)
	v_cmp_le_i16_e64 s6, v21, v20
	s_and_b32 s5, s5, s6
	s_or_b32 s5, s7, s5
	s_delay_alu instid0(SALU_CYCLE_1) | instskip(SKIP_1) | instid1(VALU_DEP_1)
	v_cndmask_b32_e64 v20, v38, v37, s5
	v_cndmask_b32_e64 v19, v14, v5, s5
	v_add_nc_u32_e32 v21, 1, v19
	s_delay_alu instid0(VALU_DEP_1) | instskip(SKIP_2) | instid1(VALU_DEP_3)
	v_add_min_u32_e64 v20, v20, -1, v21
	v_cndmask_b32_e64 v5, v5, v21, s5
	v_cndmask_b32_e64 v14, v21, v14, s5
	v_lshl_add_u32 v20, v20, 1, v12
	s_delay_alu instid0(VALU_DEP_3) | instskip(NEXT) | instid1(VALU_DEP_3)
	v_cmp_lt_u32_e64 s6, v5, v37
	v_cmp_ge_u32_e64 s10, v14, v38
	ds_load_u16 v20, v20
	s_wait_dscnt 0x0
	v_dual_cndmask_b32 v39, v20, v35, s5 :: v_dual_cndmask_b32 v48, v18, v20, s5
	s_delay_alu instid0(VALU_DEP_1) | instskip(NEXT) | instid1(VALU_DEP_2)
	v_and_b32_e32 v20, v39, v1
	v_and_b32_e32 v22, v48, v1
	s_delay_alu instid0(VALU_DEP_1) | instskip(SKIP_1) | instid1(SALU_CYCLE_1)
	v_cmp_le_i16_e64 s7, v22, v20
	s_and_b32 s6, s6, s7
	s_or_b32 s6, s10, s6
	v_cndmask_b32_e64 v34, v26, v34, s4
	v_dual_cndmask_b32 v5, v14, v5, s6 :: v_dual_cndmask_b32 v26, v35, v18, s5
	v_lshl_add_u32 v14, v15, 3, v10
	v_lshl_add_u32 v15, v19, 3, v10
	v_cndmask_b32_e64 v35, v39, v48, s6
	s_delay_alu instid0(VALU_DEP_4)
	v_lshl_add_u32 v19, v5, 3, v10
	ds_load_b64 v[4:5], v4 offset:2048
	ds_load_b64 v[22:23], v14 offset:2048
	;; [unrolled: 1-line block ×4, first 2 shown]
.LBB1019_49:
	s_or_b32 exec_lo, exec_lo, s13
	v_and_b32_e32 v39, 0x60, v30
	s_mov_b32 s4, exec_lo
	; wave barrier
	ds_store_b16 v11, v36
	s_wait_dscnt 0x4
	ds_store_b64 v33, v[4:5]
	v_or_b32_e32 v16, 16, v39
	ds_store_b16 v28, v34
	s_wait_dscnt 0x5
	ds_store_b64 v29, v[22:23]
	ds_store_b16 v31, v26
	s_wait_dscnt 0x6
	ds_store_b64 v32, v[14:15]
	;; [unrolled: 3-line block ×3, first 2 shown]
	; wave barrier
	v_min_u32_e32 v37, v24, v16
	v_and_b32_e32 v16, 28, v30
	s_delay_alu instid0(VALU_DEP_2) | instskip(NEXT) | instid1(VALU_DEP_2)
	v_add_min_u32_e64 v38, v37, 16, v24
	v_min_u32_e32 v48, v24, v16
	s_delay_alu instid0(VALU_DEP_2) | instskip(NEXT) | instid1(VALU_DEP_1)
	v_dual_sub_nc_u32 v17, v37, v39 :: v_dual_sub_nc_u32 v16, v38, v37
	v_min_u32_e32 v50, v48, v17
	s_delay_alu instid0(VALU_DEP_2) | instskip(NEXT) | instid1(VALU_DEP_1)
	v_sub_nc_u32_e64 v49, v48, v16 clamp
	v_cmpx_lt_u32_e64 v49, v50
	s_cbranch_execz .LBB1019_53
; %bb.50:
	v_dual_mov_b32 v19, 0 :: v_dual_lshlrev_b32 v18, 1, v39
	s_mov_b32 s5, 0
	s_delay_alu instid0(VALU_DEP_1) | instskip(SKIP_1) | instid1(VALU_DEP_1)
	v_add_nc_u64_e32 v[16:17], v[12:13], v[18:19]
	v_lshlrev_b32_e32 v18, 1, v37
	v_add_nc_u64_e32 v[18:19], v[12:13], v[18:19]
.LBB1019_51:                            ; =>This Inner Loop Header: Depth=1
	v_add_nc_u32_e32 v17, v50, v49
	s_delay_alu instid0(VALU_DEP_1) | instskip(NEXT) | instid1(VALU_DEP_1)
	v_lshrrev_b32_e32 v19, 1, v17
	v_dual_add_nc_u32 v52, 1, v19 :: v_dual_bitop2_b32 v17, -2, v17 bitop3:0x40
	v_xad_u32 v51, v19, -1, v48
	s_delay_alu instid0(VALU_DEP_2) | instskip(NEXT) | instid1(VALU_DEP_2)
	v_add_nc_u32_e32 v17, v16, v17
	v_lshl_add_u32 v51, v51, 1, v18
	ds_load_u16 v17, v17
	ds_load_u16 v51, v51
	s_wait_dscnt 0x1
	v_and_b32_e32 v17, v17, v1
	s_wait_dscnt 0x0
	v_and_b32_e32 v51, v51, v1
	s_delay_alu instid0(VALU_DEP_1) | instskip(NEXT) | instid1(VALU_DEP_1)
	v_cmp_gt_i16_e64 s3, v17, v51
	v_dual_cndmask_b32 v50, v50, v19, s3 :: v_dual_cndmask_b32 v49, v52, v49, s3
	s_delay_alu instid0(VALU_DEP_1) | instskip(SKIP_1) | instid1(SALU_CYCLE_1)
	v_cmp_ge_u32_e64 s3, v49, v50
	s_or_b32 s5, s3, s5
	s_and_not1_b32 exec_lo, exec_lo, s5
	s_cbranch_execnz .LBB1019_51
; %bb.52:
	s_or_b32 exec_lo, exec_lo, s5
.LBB1019_53:
	s_delay_alu instid0(SALU_CYCLE_1) | instskip(SKIP_1) | instid1(VALU_DEP_1)
	s_or_b32 exec_lo, exec_lo, s4
	v_add_nc_u32_e32 v16, v37, v48
	v_dual_add_nc_u32 v19, v49, v39 :: v_dual_sub_nc_u32 v18, v16, v49
	s_delay_alu instid0(VALU_DEP_1) | instskip(NEXT) | instid1(VALU_DEP_2)
	v_cmp_le_u32_e64 s3, v19, v37
	v_cmp_le_u32_e64 s4, v18, v38
	s_or_b32 s3, s3, s4
	s_delay_alu instid0(SALU_CYCLE_1)
	s_and_saveexec_b32 s13, s3
	s_cbranch_execz .LBB1019_59
; %bb.54:
	v_cmp_lt_u32_e64 s3, v19, v37
                                        ; implicit-def: $vgpr16
	s_and_saveexec_b32 s4, s3
; %bb.55:
	v_lshl_add_u32 v4, v19, 1, v12
	ds_load_u16 v16, v4
; %bb.56:
	s_or_b32 exec_lo, exec_lo, s4
	v_cmp_ge_u32_e64 s4, v18, v38
	s_mov_b32 s6, exec_lo
                                        ; implicit-def: $vgpr17
	v_cmpx_lt_u32_e64 v18, v38
; %bb.57:
	v_lshl_add_u32 v4, v18, 1, v12
	ds_load_u16 v17, v4
; %bb.58:
	s_or_b32 exec_lo, exec_lo, s6
	s_wait_dscnt 0x0
	v_and_b32_e32 v4, v17, v1
	v_and_b32_e32 v5, v16, v1
	s_delay_alu instid0(VALU_DEP_1) | instskip(SKIP_1) | instid1(SALU_CYCLE_1)
	v_cmp_le_i16_e64 s5, v5, v4
	s_and_b32 s3, s3, s5
	s_or_b32 s3, s4, s3
	s_delay_alu instid0(SALU_CYCLE_1) | instskip(SKIP_1) | instid1(VALU_DEP_2)
	v_cndmask_b32_e64 v4, v18, v19, s3
	v_dual_cndmask_b32 v5, v38, v37, s3 :: v_dual_cndmask_b32 v36, v17, v16, s3
	v_add_nc_u32_e32 v14, 1, v4
	v_lshl_add_u32 v4, v4, 3, v10
	s_delay_alu instid0(VALU_DEP_2) | instskip(NEXT) | instid1(VALU_DEP_1)
	v_add_min_u32_e64 v5, v5, -1, v14
	v_lshl_add_u32 v5, v5, 1, v12
	ds_load_u16 v5, v5
	s_wait_dscnt 0x0
	v_cndmask_b32_e64 v26, v5, v17, s3
	v_dual_cndmask_b32 v34, v16, v5, s3 :: v_dual_cndmask_b32 v5, v19, v14, s3
	v_cndmask_b32_e64 v14, v14, v18, s3
	s_delay_alu instid0(VALU_DEP_3) | instskip(NEXT) | instid1(VALU_DEP_3)
	v_and_b32_e32 v15, v26, v1
	v_and_b32_e32 v19, v34, v1
	s_delay_alu instid0(VALU_DEP_4) | instskip(NEXT) | instid1(VALU_DEP_4)
	v_cmp_lt_u32_e64 s4, v5, v37
	v_cmp_ge_u32_e64 s6, v14, v38
	s_delay_alu instid0(VALU_DEP_3) | instskip(SKIP_1) | instid1(SALU_CYCLE_1)
	v_cmp_le_i16_e64 s5, v19, v15
	s_and_b32 s4, s4, s5
	s_or_b32 s4, s6, s4
	s_delay_alu instid0(SALU_CYCLE_1) | instskip(NEXT) | instid1(VALU_DEP_1)
	v_cndmask_b32_e64 v15, v14, v5, s4
	v_dual_cndmask_b32 v18, v38, v37, s4 :: v_dual_add_nc_u32 v19, 1, v15
	s_delay_alu instid0(VALU_DEP_1) | instskip(SKIP_1) | instid1(VALU_DEP_2)
	v_add_min_u32_e64 v18, v18, -1, v19
	v_dual_cndmask_b32 v5, v5, v19, s4 :: v_dual_cndmask_b32 v14, v19, v14, s4
	v_lshl_add_u32 v18, v18, 1, v12
	s_delay_alu instid0(VALU_DEP_2) | instskip(NEXT) | instid1(VALU_DEP_3)
	v_cmp_lt_u32_e64 s5, v5, v37
	v_cmp_ge_u32_e64 s7, v14, v38
	ds_load_u16 v18, v18
	s_wait_dscnt 0x0
	v_cndmask_b32_e64 v35, v18, v26, s4
	v_cndmask_b32_e64 v18, v34, v18, s4
	s_delay_alu instid0(VALU_DEP_1) | instskip(NEXT) | instid1(VALU_DEP_3)
	v_and_b32_e32 v21, v18, v1
	v_and_b32_e32 v20, v35, v1
	s_delay_alu instid0(VALU_DEP_1) | instskip(SKIP_1) | instid1(SALU_CYCLE_1)
	v_cmp_le_i16_e64 s6, v21, v20
	s_and_b32 s5, s5, s6
	s_or_b32 s5, s7, s5
	s_delay_alu instid0(SALU_CYCLE_1) | instskip(SKIP_1) | instid1(VALU_DEP_1)
	v_cndmask_b32_e64 v20, v38, v37, s5
	v_cndmask_b32_e64 v19, v14, v5, s5
	v_add_nc_u32_e32 v21, 1, v19
	s_delay_alu instid0(VALU_DEP_1) | instskip(SKIP_2) | instid1(VALU_DEP_3)
	v_add_min_u32_e64 v20, v20, -1, v21
	v_cndmask_b32_e64 v5, v5, v21, s5
	v_cndmask_b32_e64 v14, v21, v14, s5
	v_lshl_add_u32 v20, v20, 1, v12
	s_delay_alu instid0(VALU_DEP_3) | instskip(NEXT) | instid1(VALU_DEP_3)
	v_cmp_lt_u32_e64 s6, v5, v37
	v_cmp_ge_u32_e64 s10, v14, v38
	ds_load_u16 v20, v20
	s_wait_dscnt 0x0
	v_dual_cndmask_b32 v39, v20, v35, s5 :: v_dual_cndmask_b32 v48, v18, v20, s5
	s_delay_alu instid0(VALU_DEP_1) | instskip(NEXT) | instid1(VALU_DEP_2)
	v_and_b32_e32 v20, v39, v1
	v_and_b32_e32 v22, v48, v1
	s_delay_alu instid0(VALU_DEP_1) | instskip(SKIP_1) | instid1(SALU_CYCLE_1)
	v_cmp_le_i16_e64 s7, v22, v20
	s_and_b32 s6, s6, s7
	s_or_b32 s6, s10, s6
	v_cndmask_b32_e64 v34, v26, v34, s4
	v_dual_cndmask_b32 v5, v14, v5, s6 :: v_dual_cndmask_b32 v26, v35, v18, s5
	v_lshl_add_u32 v14, v15, 3, v10
	v_lshl_add_u32 v15, v19, 3, v10
	v_cndmask_b32_e64 v35, v39, v48, s6
	s_delay_alu instid0(VALU_DEP_4)
	v_lshl_add_u32 v19, v5, 3, v10
	ds_load_b64 v[4:5], v4 offset:2048
	ds_load_b64 v[22:23], v14 offset:2048
	ds_load_b64 v[14:15], v15 offset:2048
	ds_load_b64 v[20:21], v19 offset:2048
.LBB1019_59:
	s_or_b32 exec_lo, exec_lo, s13
	v_and_b32_e32 v39, 64, v30
	s_mov_b32 s4, exec_lo
	; wave barrier
	ds_store_b16 v11, v36
	s_wait_dscnt 0x4
	ds_store_b64 v33, v[4:5]
	v_or_b32_e32 v16, 32, v39
	ds_store_b16 v28, v34
	s_wait_dscnt 0x5
	ds_store_b64 v29, v[22:23]
	ds_store_b16 v31, v26
	s_wait_dscnt 0x6
	ds_store_b64 v32, v[14:15]
	;; [unrolled: 3-line block ×3, first 2 shown]
	; wave barrier
	v_min_u32_e32 v37, v24, v16
	v_and_b32_e32 v16, 60, v30
	s_delay_alu instid0(VALU_DEP_2) | instskip(NEXT) | instid1(VALU_DEP_2)
	v_add_min_u32_e64 v38, v37, 32, v24
	v_min_u32_e32 v48, v24, v16
	s_delay_alu instid0(VALU_DEP_2) | instskip(NEXT) | instid1(VALU_DEP_1)
	v_dual_sub_nc_u32 v16, v38, v37 :: v_dual_sub_nc_u32 v17, v37, v39
	v_sub_nc_u32_e64 v49, v48, v16 clamp
	s_delay_alu instid0(VALU_DEP_2) | instskip(NEXT) | instid1(VALU_DEP_1)
	v_min_u32_e32 v50, v48, v17
	v_cmpx_lt_u32_e64 v49, v50
	s_cbranch_execz .LBB1019_63
; %bb.60:
	v_dual_mov_b32 v19, 0 :: v_dual_lshlrev_b32 v18, 1, v39
	s_mov_b32 s5, 0
	s_delay_alu instid0(VALU_DEP_1) | instskip(SKIP_1) | instid1(VALU_DEP_1)
	v_add_nc_u64_e32 v[16:17], v[12:13], v[18:19]
	v_lshlrev_b32_e32 v18, 1, v37
	v_add_nc_u64_e32 v[18:19], v[12:13], v[18:19]
.LBB1019_61:                            ; =>This Inner Loop Header: Depth=1
	v_add_nc_u32_e32 v17, v50, v49
	s_delay_alu instid0(VALU_DEP_1) | instskip(NEXT) | instid1(VALU_DEP_1)
	v_lshrrev_b32_e32 v19, 1, v17
	v_dual_add_nc_u32 v52, 1, v19 :: v_dual_bitop2_b32 v17, -2, v17 bitop3:0x40
	v_xad_u32 v51, v19, -1, v48
	s_delay_alu instid0(VALU_DEP_2) | instskip(NEXT) | instid1(VALU_DEP_2)
	v_add_nc_u32_e32 v17, v16, v17
	v_lshl_add_u32 v51, v51, 1, v18
	ds_load_u16 v17, v17
	ds_load_u16 v51, v51
	s_wait_dscnt 0x1
	v_and_b32_e32 v17, v17, v1
	s_wait_dscnt 0x0
	v_and_b32_e32 v51, v51, v1
	s_delay_alu instid0(VALU_DEP_1) | instskip(NEXT) | instid1(VALU_DEP_1)
	v_cmp_gt_i16_e64 s3, v17, v51
	v_dual_cndmask_b32 v50, v50, v19, s3 :: v_dual_cndmask_b32 v49, v52, v49, s3
	s_delay_alu instid0(VALU_DEP_1) | instskip(SKIP_1) | instid1(SALU_CYCLE_1)
	v_cmp_ge_u32_e64 s3, v49, v50
	s_or_b32 s5, s3, s5
	s_and_not1_b32 exec_lo, exec_lo, s5
	s_cbranch_execnz .LBB1019_61
; %bb.62:
	s_or_b32 exec_lo, exec_lo, s5
.LBB1019_63:
	s_delay_alu instid0(SALU_CYCLE_1) | instskip(SKIP_1) | instid1(VALU_DEP_1)
	s_or_b32 exec_lo, exec_lo, s4
	v_add_nc_u32_e32 v16, v37, v48
	v_dual_add_nc_u32 v19, v49, v39 :: v_dual_sub_nc_u32 v18, v16, v49
	s_delay_alu instid0(VALU_DEP_1) | instskip(NEXT) | instid1(VALU_DEP_2)
	v_cmp_le_u32_e64 s3, v19, v37
	v_cmp_le_u32_e64 s4, v18, v38
	s_or_b32 s3, s3, s4
	s_delay_alu instid0(SALU_CYCLE_1)
	s_and_saveexec_b32 s13, s3
	s_cbranch_execz .LBB1019_69
; %bb.64:
	v_cmp_lt_u32_e64 s3, v19, v37
                                        ; implicit-def: $vgpr16
	s_and_saveexec_b32 s4, s3
; %bb.65:
	v_lshl_add_u32 v4, v19, 1, v12
	ds_load_u16 v16, v4
; %bb.66:
	s_or_b32 exec_lo, exec_lo, s4
	v_cmp_ge_u32_e64 s4, v18, v38
	s_mov_b32 s6, exec_lo
                                        ; implicit-def: $vgpr17
	v_cmpx_lt_u32_e64 v18, v38
; %bb.67:
	v_lshl_add_u32 v4, v18, 1, v12
	ds_load_u16 v17, v4
; %bb.68:
	s_or_b32 exec_lo, exec_lo, s6
	s_wait_dscnt 0x0
	v_and_b32_e32 v4, v17, v1
	v_and_b32_e32 v5, v16, v1
	s_delay_alu instid0(VALU_DEP_1) | instskip(SKIP_1) | instid1(SALU_CYCLE_1)
	v_cmp_le_i16_e64 s5, v5, v4
	s_and_b32 s3, s3, s5
	s_or_b32 s3, s4, s3
	s_delay_alu instid0(SALU_CYCLE_1) | instskip(SKIP_1) | instid1(VALU_DEP_2)
	v_cndmask_b32_e64 v4, v18, v19, s3
	v_dual_cndmask_b32 v5, v38, v37, s3 :: v_dual_cndmask_b32 v36, v17, v16, s3
	v_add_nc_u32_e32 v14, 1, v4
	v_lshl_add_u32 v4, v4, 3, v10
	s_delay_alu instid0(VALU_DEP_2) | instskip(NEXT) | instid1(VALU_DEP_1)
	v_add_min_u32_e64 v5, v5, -1, v14
	v_lshl_add_u32 v5, v5, 1, v12
	ds_load_u16 v5, v5
	s_wait_dscnt 0x0
	v_cndmask_b32_e64 v26, v5, v17, s3
	v_dual_cndmask_b32 v34, v16, v5, s3 :: v_dual_cndmask_b32 v5, v19, v14, s3
	v_cndmask_b32_e64 v14, v14, v18, s3
	s_delay_alu instid0(VALU_DEP_3) | instskip(NEXT) | instid1(VALU_DEP_3)
	v_and_b32_e32 v15, v26, v1
	v_and_b32_e32 v19, v34, v1
	s_delay_alu instid0(VALU_DEP_4) | instskip(NEXT) | instid1(VALU_DEP_4)
	v_cmp_lt_u32_e64 s4, v5, v37
	v_cmp_ge_u32_e64 s6, v14, v38
	s_delay_alu instid0(VALU_DEP_3) | instskip(SKIP_1) | instid1(SALU_CYCLE_1)
	v_cmp_le_i16_e64 s5, v19, v15
	s_and_b32 s4, s4, s5
	s_or_b32 s4, s6, s4
	s_delay_alu instid0(SALU_CYCLE_1) | instskip(NEXT) | instid1(VALU_DEP_1)
	v_cndmask_b32_e64 v15, v14, v5, s4
	v_dual_cndmask_b32 v18, v38, v37, s4 :: v_dual_add_nc_u32 v19, 1, v15
	s_delay_alu instid0(VALU_DEP_1) | instskip(SKIP_1) | instid1(VALU_DEP_2)
	v_add_min_u32_e64 v18, v18, -1, v19
	v_dual_cndmask_b32 v5, v5, v19, s4 :: v_dual_cndmask_b32 v14, v19, v14, s4
	v_lshl_add_u32 v18, v18, 1, v12
	s_delay_alu instid0(VALU_DEP_2) | instskip(NEXT) | instid1(VALU_DEP_3)
	v_cmp_lt_u32_e64 s5, v5, v37
	v_cmp_ge_u32_e64 s7, v14, v38
	ds_load_u16 v18, v18
	s_wait_dscnt 0x0
	v_cndmask_b32_e64 v35, v18, v26, s4
	v_cndmask_b32_e64 v18, v34, v18, s4
	s_delay_alu instid0(VALU_DEP_1) | instskip(NEXT) | instid1(VALU_DEP_3)
	v_and_b32_e32 v21, v18, v1
	v_and_b32_e32 v20, v35, v1
	s_delay_alu instid0(VALU_DEP_1) | instskip(SKIP_1) | instid1(SALU_CYCLE_1)
	v_cmp_le_i16_e64 s6, v21, v20
	s_and_b32 s5, s5, s6
	s_or_b32 s5, s7, s5
	s_delay_alu instid0(SALU_CYCLE_1) | instskip(SKIP_1) | instid1(VALU_DEP_1)
	v_cndmask_b32_e64 v20, v38, v37, s5
	v_cndmask_b32_e64 v19, v14, v5, s5
	v_add_nc_u32_e32 v21, 1, v19
	s_delay_alu instid0(VALU_DEP_1) | instskip(SKIP_2) | instid1(VALU_DEP_3)
	v_add_min_u32_e64 v20, v20, -1, v21
	v_cndmask_b32_e64 v5, v5, v21, s5
	v_cndmask_b32_e64 v14, v21, v14, s5
	v_lshl_add_u32 v20, v20, 1, v12
	s_delay_alu instid0(VALU_DEP_3) | instskip(NEXT) | instid1(VALU_DEP_3)
	v_cmp_lt_u32_e64 s6, v5, v37
	v_cmp_ge_u32_e64 s10, v14, v38
	ds_load_u16 v20, v20
	s_wait_dscnt 0x0
	v_dual_cndmask_b32 v39, v20, v35, s5 :: v_dual_cndmask_b32 v48, v18, v20, s5
	s_delay_alu instid0(VALU_DEP_1) | instskip(NEXT) | instid1(VALU_DEP_2)
	v_and_b32_e32 v20, v39, v1
	v_and_b32_e32 v22, v48, v1
	s_delay_alu instid0(VALU_DEP_1) | instskip(SKIP_1) | instid1(SALU_CYCLE_1)
	v_cmp_le_i16_e64 s7, v22, v20
	s_and_b32 s6, s6, s7
	s_or_b32 s6, s10, s6
	v_cndmask_b32_e64 v34, v26, v34, s4
	v_dual_cndmask_b32 v5, v14, v5, s6 :: v_dual_cndmask_b32 v26, v35, v18, s5
	v_lshl_add_u32 v14, v15, 3, v10
	v_lshl_add_u32 v15, v19, 3, v10
	v_cndmask_b32_e64 v35, v39, v48, s6
	s_delay_alu instid0(VALU_DEP_4)
	v_lshl_add_u32 v19, v5, 3, v10
	ds_load_b64 v[4:5], v4 offset:2048
	ds_load_b64 v[22:23], v14 offset:2048
	;; [unrolled: 1-line block ×4, first 2 shown]
.LBB1019_69:
	s_or_b32 exec_lo, exec_lo, s13
	v_min_u32_e32 v19, 64, v24
	; wave barrier
	ds_store_b16 v11, v36
	s_wait_dscnt 0x4
	ds_store_b64 v33, v[4:5]
	s_mov_b32 s4, exec_lo
	v_add_min_u32_e64 v18, v19, 64, v24
	v_min_u32_e32 v24, v24, v30
	ds_store_b16 v28, v34
	s_wait_dscnt 0x5
	ds_store_b64 v29, v[22:23]
	ds_store_b16 v31, v26
	s_wait_dscnt 0x6
	ds_store_b64 v32, v[14:15]
	;; [unrolled: 3-line block ×3, first 2 shown]
	; wave barrier
	v_sub_nc_u32_e32 v16, v18, v19
	v_min_u32_e32 v33, v24, v19
	s_delay_alu instid0(VALU_DEP_2) | instskip(NEXT) | instid1(VALU_DEP_1)
	v_sub_nc_u32_e64 v11, v24, v16 clamp
	v_cmpx_lt_u32_e64 v11, v33
	s_cbranch_execz .LBB1019_73
; %bb.70:
	v_dual_mov_b32 v17, 0 :: v_dual_lshlrev_b32 v16, 1, v19
	s_mov_b32 s5, 0
	s_delay_alu instid0(VALU_DEP_1)
	v_add_nc_u64_e32 v[16:17], v[12:13], v[16:17]
.LBB1019_71:                            ; =>This Inner Loop Header: Depth=1
	v_add_nc_u32_e32 v13, v33, v11
	s_delay_alu instid0(VALU_DEP_1) | instskip(NEXT) | instid1(VALU_DEP_1)
	v_lshrrev_b32_e32 v17, 1, v13
	v_add_nc_u32_e32 v27, 1, v17
	v_and_b32_e32 v13, -2, v13
	v_xad_u32 v25, v17, -1, v24
	s_delay_alu instid0(VALU_DEP_2) | instskip(NEXT) | instid1(VALU_DEP_2)
	v_add_nc_u32_e32 v13, v12, v13
	v_lshl_add_u32 v25, v25, 1, v16
	ds_load_u16 v13, v13
	ds_load_u16 v25, v25
	s_wait_dscnt 0x1
	v_and_b32_e32 v13, v13, v1
	s_wait_dscnt 0x0
	v_and_b32_e32 v25, v25, v1
	s_delay_alu instid0(VALU_DEP_1) | instskip(NEXT) | instid1(VALU_DEP_1)
	v_cmp_gt_i16_e64 s3, v13, v25
	v_dual_cndmask_b32 v33, v33, v17, s3 :: v_dual_cndmask_b32 v11, v27, v11, s3
	s_delay_alu instid0(VALU_DEP_1) | instskip(SKIP_1) | instid1(SALU_CYCLE_1)
	v_cmp_ge_u32_e64 s3, v11, v33
	s_or_b32 s5, s3, s5
	s_and_not1_b32 exec_lo, exec_lo, s5
	s_cbranch_execnz .LBB1019_71
; %bb.72:
	s_or_b32 exec_lo, exec_lo, s5
.LBB1019_73:
	s_delay_alu instid0(SALU_CYCLE_1) | instskip(SKIP_2) | instid1(VALU_DEP_2)
	s_or_b32 exec_lo, exec_lo, s4
	v_add_nc_u32_e32 v13, v19, v24
	v_cmp_le_u32_e64 s3, v11, v19
	v_sub_nc_u32_e32 v17, v13, v11
	s_delay_alu instid0(VALU_DEP_1) | instskip(SKIP_1) | instid1(SALU_CYCLE_1)
	v_cmp_le_u32_e64 s4, v17, v18
	s_or_b32 s3, s3, s4
	s_and_saveexec_b32 s13, s3
	s_cbranch_execz .LBB1019_79
; %bb.74:
	v_cmp_lt_u32_e64 s3, v11, v19
                                        ; implicit-def: $vgpr13
	s_and_saveexec_b32 s4, s3
; %bb.75:
	v_lshl_add_u32 v4, v11, 1, v12
	ds_load_u16 v13, v4
; %bb.76:
	s_or_b32 exec_lo, exec_lo, s4
	v_cmp_ge_u32_e64 s4, v17, v18
	s_mov_b32 s6, exec_lo
                                        ; implicit-def: $vgpr16
	v_cmpx_lt_u32_e64 v17, v18
; %bb.77:
	v_lshl_add_u32 v4, v17, 1, v12
	ds_load_u16 v16, v4
; %bb.78:
	s_or_b32 exec_lo, exec_lo, s6
	s_wait_dscnt 0x0
	v_and_b32_e32 v4, v16, v1
	v_and_b32_e32 v5, v13, v1
	s_delay_alu instid0(VALU_DEP_1) | instskip(SKIP_1) | instid1(SALU_CYCLE_1)
	v_cmp_le_i16_e64 s5, v5, v4
	s_and_b32 s3, s3, s5
	s_or_b32 s3, s4, s3
	s_delay_alu instid0(SALU_CYCLE_1) | instskip(SKIP_1) | instid1(VALU_DEP_2)
	v_cndmask_b32_e64 v4, v17, v11, s3
	v_dual_cndmask_b32 v5, v18, v19, s3 :: v_dual_cndmask_b32 v36, v16, v13, s3
	v_add_nc_u32_e32 v14, 1, v4
	s_delay_alu instid0(VALU_DEP_1) | instskip(NEXT) | instid1(VALU_DEP_1)
	v_add_min_u32_e64 v5, v5, -1, v14
	v_lshl_add_u32 v5, v5, 1, v12
	ds_load_u16 v5, v5
	s_wait_dscnt 0x0
	v_cndmask_b32_e64 v24, v5, v16, s3
	v_dual_cndmask_b32 v25, v13, v5, s3 :: v_dual_cndmask_b32 v5, v11, v14, s3
	v_cndmask_b32_e64 v14, v14, v17, s3
	v_lshl_add_u32 v4, v4, 3, v10
	s_delay_alu instid0(VALU_DEP_4) | instskip(NEXT) | instid1(VALU_DEP_4)
	v_and_b32_e32 v11, v24, v1
	v_and_b32_e32 v15, v25, v1
	v_cmp_lt_u32_e64 s4, v5, v19
	v_cmp_ge_u32_e64 s6, v14, v18
	s_delay_alu instid0(VALU_DEP_3) | instskip(SKIP_1) | instid1(SALU_CYCLE_1)
	v_cmp_le_i16_e64 s5, v15, v11
	s_and_b32 s4, s4, s5
	s_or_b32 s4, s6, s4
	s_delay_alu instid0(SALU_CYCLE_1) | instskip(SKIP_1) | instid1(VALU_DEP_2)
	v_cndmask_b32_e64 v11, v14, v5, s4
	v_dual_cndmask_b32 v15, v18, v19, s4 :: v_dual_cndmask_b32 v34, v24, v25, s4
	v_add_nc_u32_e32 v17, 1, v11
	v_lshl_add_u32 v11, v11, 3, v10
	s_delay_alu instid0(VALU_DEP_2) | instskip(SKIP_2) | instid1(VALU_DEP_3)
	v_add_min_u32_e64 v15, v15, -1, v17
	v_cndmask_b32_e64 v5, v5, v17, s4
	v_cndmask_b32_e64 v14, v17, v14, s4
	v_lshl_add_u32 v15, v15, 1, v12
	s_delay_alu instid0(VALU_DEP_3) | instskip(NEXT) | instid1(VALU_DEP_3)
	v_cmp_lt_u32_e64 s5, v5, v19
	v_cmp_ge_u32_e64 s7, v14, v18
	ds_load_u16 v15, v15
	s_wait_dscnt 0x0
	v_dual_cndmask_b32 v26, v15, v24, s4 :: v_dual_cndmask_b32 v27, v25, v15, s4
	s_delay_alu instid0(VALU_DEP_1) | instskip(NEXT) | instid1(VALU_DEP_2)
	v_and_b32_e32 v15, v26, v1
	v_and_b32_e32 v20, v27, v1
	s_delay_alu instid0(VALU_DEP_1) | instskip(SKIP_1) | instid1(SALU_CYCLE_1)
	v_cmp_le_i16_e64 s6, v20, v15
	s_and_b32 s5, s5, s6
	s_or_b32 s5, s7, s5
	s_delay_alu instid0(SALU_CYCLE_1) | instskip(SKIP_1) | instid1(VALU_DEP_1)
	v_cndmask_b32_e64 v17, v18, v19, s5
	v_cndmask_b32_e64 v15, v14, v5, s5
	v_add_nc_u32_e32 v20, 1, v15
	s_delay_alu instid0(VALU_DEP_1) | instskip(NEXT) | instid1(VALU_DEP_1)
	v_add_min_u32_e64 v17, v17, -1, v20
	v_lshl_add_u32 v12, v17, 1, v12
	ds_load_u16 v12, v12
	s_wait_dscnt 0x0
	v_dual_cndmask_b32 v17, v12, v26, s5 :: v_dual_cndmask_b32 v12, v27, v12, s5
	s_delay_alu instid0(VALU_DEP_1) | instskip(NEXT) | instid1(VALU_DEP_2)
	v_dual_cndmask_b32 v26, v26, v27, s5 :: v_dual_bitop2_b32 v21, v17, v1 bitop3:0x40
	v_dual_cndmask_b32 v5, v5, v20, s5 :: v_dual_bitop2_b32 v1, v12, v1 bitop3:0x40
	v_cndmask_b32_e64 v14, v20, v14, s5
	s_delay_alu instid0(VALU_DEP_2) | instskip(NEXT) | instid1(VALU_DEP_3)
	v_cmp_lt_u32_e64 s6, v5, v19
	v_cmp_le_i16_e64 s7, v1, v21
	s_delay_alu instid0(VALU_DEP_3) | instskip(SKIP_1) | instid1(SALU_CYCLE_1)
	v_cmp_ge_u32_e64 s10, v14, v18
	s_and_b32 s6, s6, s7
	s_or_b32 s6, s10, s6
	s_delay_alu instid0(SALU_CYCLE_1) | instskip(SKIP_1) | instid1(VALU_DEP_2)
	v_dual_cndmask_b32 v1, v14, v5, s6 :: v_dual_cndmask_b32 v35, v17, v12, s6
	v_lshl_add_u32 v14, v15, 3, v10
	v_lshl_add_u32 v1, v1, 3, v10
	ds_load_b64 v[4:5], v4 offset:2048
	ds_load_b64 v[22:23], v11 offset:2048
	;; [unrolled: 1-line block ×4, first 2 shown]
.LBB1019_79:
	s_or_b32 exec_lo, exec_lo, s13
	; wave barrier
	s_wait_storecnt_dscnt 0x0
	s_barrier_signal -1
	s_barrier_wait -1
                                        ; implicit-def: $vgpr12_vgpr13
                                        ; implicit-def: $vgpr16
                                        ; implicit-def: $vgpr17
                                        ; implicit-def: $vgpr1
                                        ; implicit-def: $vgpr32_vgpr33
                                        ; implicit-def: $vgpr24_vgpr25
                                        ; implicit-def: $vgpr18_vgpr19
.LBB1019_80:
	s_and_not1_saveexec_b32 s10, s12
	s_cbranch_execz .LBB1019_136
; %bb.81:
	s_load_b64 s[4:5], s[8:9], 0x0
	s_bfe_u32 s6, ttmp6, 0x4000c
	s_bfe_u32 s12, ttmp6, 0x40010
	s_and_b32 s7, ttmp7, 0xffff
	s_add_co_i32 s6, s6, 1
	s_add_co_i32 s12, s12, 1
	s_and_b32 s3, ttmp6, 15
	s_bfe_u32 s13, ttmp6, 0x40004
	s_mul_i32 s6, ttmp9, s6
	s_mul_i32 s12, s7, s12
	s_add_co_i32 s3, s3, s6
	s_add_co_i32 s13, s13, s12
	s_cmp_eq_u32 s11, 0
	s_cselect_b32 s3, ttmp9, s3
	s_cselect_b32 s6, s7, s13
	s_wait_kmcnt 0x0
	s_cmp_lt_u32 s3, s4
	s_cselect_b32 s4, 12, 18
	s_cmp_lt_u32 s6, s5
	s_mov_b32 s5, 0
	s_cselect_b32 s6, 14, 20
	s_mov_b32 s7, s5
	s_add_nc_u64 s[4:5], s[8:9], s[4:5]
	s_add_nc_u64 s[6:7], s[8:9], s[6:7]
	s_clause 0x1
	s_load_u16 s4, s[4:5], 0x0
	s_nop 0
	s_load_u16 s3, s[6:7], 0x0
	s_wait_xcnt 0x0
	s_mov_b32 s6, exec_lo
	s_wait_kmcnt 0x0
	v_mad_u32_u24 v10, v17, s3, v16
	s_delay_alu instid0(VALU_DEP_1) | instskip(NEXT) | instid1(VALU_DEP_1)
	v_mul_lo_u32 v10, v10, s4
	v_add_lshl_u32 v1, v10, v1, 2
	s_delay_alu instid0(VALU_DEP_1)
	v_cmpx_gt_u32_e32 0x400, v1
	s_cbranch_execz .LBB1019_85
; %bb.82:
	s_wait_loadcnt_dscnt 0x0
	v_cmp_gt_i16_e64 s3, v36, v34
	v_min_i16 v10, v36, v34
	v_max_i16 v14, v36, v34
	v_cmp_gt_i16_e64 s4, v26, v35
	v_min_i16 v17, v26, v35
	v_max_i16 v11, v26, v35
	v_dual_cndmask_b32 v15, v4, v18, s3 :: v_dual_cndmask_b32 v20, v5, v19, s3
	v_dual_cndmask_b32 v5, v19, v5, s3 :: v_dual_cndmask_b32 v4, v18, v4, s3
	;; [unrolled: 1-line block ×4, first 2 shown]
	v_cmp_gt_i16_e64 s5, v14, v17
	v_min_i16 v16, v14, v17
	v_cmp_lt_i16_e64 s3, v17, v10
	v_max_i16 v17, v14, v17
	v_cmp_gt_i16_e64 s4, v14, v11
	v_dual_cndmask_b32 v25, v21, v4, s5 :: v_dual_cndmask_b32 v21, v4, v21, s5
	v_dual_cndmask_b32 v22, v5, v18, s5 :: v_dual_cndmask_b32 v26, v18, v5, s5
	s_delay_alu instid0(VALU_DEP_3) | instskip(NEXT) | instid1(VALU_DEP_2)
	v_dual_cndmask_b32 v18, v17, v11, s4 :: v_dual_cndmask_b32 v34, v16, v10, s3
	v_dual_cndmask_b32 v4, v15, v21, s3 :: v_dual_cndmask_b32 v5, v20, v22, s3
	;; [unrolled: 1-line block ×3, first 2 shown]
	s_delay_alu instid0(VALU_DEP_4)
	v_dual_cndmask_b32 v21, v24, v26, s4 :: v_dual_cndmask_b32 v20, v19, v25, s4
	v_dual_cndmask_b32 v15, v26, v24, s4 :: v_dual_cndmask_b32 v14, v25, v19, s4
	v_mov_b32_e32 v26, v18
	s_mov_b32 s7, exec_lo
	v_cmpx_gt_i16_e64 v34, v18
; %bb.83:
	s_delay_alu instid0(VALU_DEP_3) | instskip(SKIP_2) | instid1(VALU_DEP_3)
	v_mov_b64_e32 v[24:25], v[14:15]
	v_mov_b64_e32 v[14:15], v[22:23]
	v_dual_mov_b32 v26, v34 :: v_dual_mov_b32 v34, v18
	v_mov_b64_e32 v[22:23], v[24:25]
; %bb.84:
	s_or_b32 exec_lo, exec_lo, s7
	v_dual_cndmask_b32 v36, v10, v16, s3 :: v_dual_cndmask_b32 v35, v11, v17, s4
.LBB1019_85:
	s_or_b32 exec_lo, exec_lo, s6
	v_and_b32_e32 v16, 0xffffff80, v1
	v_dual_mov_b32 v17, 0 :: v_dual_bitop2_b32 v18, 4, v30 bitop3:0x54
	v_and_b32_e32 v38, 0x78, v30
	s_mov_b32 s4, exec_lo
	s_delay_alu instid0(VALU_DEP_3) | instskip(NEXT) | instid1(VALU_DEP_3)
	v_sub_nc_u32_e64 v1, 0x400, v16 clamp
	v_lshl_add_u64 v[12:13], v[16:17], 1, v[12:13]
	s_delay_alu instid0(VALU_DEP_2) | instskip(NEXT) | instid1(VALU_DEP_2)
	v_min_u32_e32 v33, v1, v18
	v_mad_nc_u64_u32 v[10:11], v16, 6, v[12:13]
	s_delay_alu instid0(VALU_DEP_2) | instskip(NEXT) | instid1(VALU_DEP_1)
	v_add_min_u32_e64 v37, v33, 4, v1
	v_dual_sub_nc_u32 v16, v37, v33 :: v_dual_bitop2_b32 v11, 4, v30 bitop3:0x40
	s_delay_alu instid0(VALU_DEP_1) | instskip(SKIP_2) | instid1(VALU_DEP_3)
	v_min_u32_e32 v39, v1, v11
	v_sub_nc_u32_e32 v11, v33, v38
	v_lshl_add_u32 v25, v30, 3, v10
	v_sub_nc_u32_e64 v48, v39, v16 clamp
	s_delay_alu instid0(VALU_DEP_3) | instskip(NEXT) | instid1(VALU_DEP_3)
	v_min_u32_e32 v24, v39, v11
	v_add_nc_u32_e32 v16, 0x800, v25
	v_lshl_add_u32 v11, v30, 1, v12
	s_wait_loadcnt_dscnt 0x0
	ds_store_2addr_b64 v16, v[4:5], v[22:23] offset1:1
	ds_store_b16 v11, v36
	ds_store_b16 v11, v34 offset:2
	ds_store_b16 v11, v26 offset:4
	;; [unrolled: 1-line block ×3, first 2 shown]
	ds_store_2addr_b64 v16, v[14:15], v[20:21] offset0:2 offset1:3
	; wave barrier
	v_cmpx_lt_u32_e64 v48, v24
	s_cbranch_execz .LBB1019_89
; %bb.86:
	v_lshlrev_b32_e32 v16, 1, v38
	s_mov_b32 s5, 0
	s_delay_alu instid0(VALU_DEP_1) | instskip(SKIP_1) | instid1(VALU_DEP_1)
	v_add_nc_u64_e32 v[18:19], v[12:13], v[16:17]
	v_lshlrev_b32_e32 v16, 1, v33
	v_add_nc_u64_e32 v[16:17], v[12:13], v[16:17]
.LBB1019_87:                            ; =>This Inner Loop Header: Depth=1
	v_add_nc_u32_e32 v17, v24, v48
	s_delay_alu instid0(VALU_DEP_1) | instskip(NEXT) | instid1(VALU_DEP_1)
	v_lshrrev_b32_e32 v19, 1, v17
	v_dual_add_nc_u32 v28, 1, v19 :: v_dual_bitop2_b32 v17, -2, v17 bitop3:0x40
	v_xad_u32 v27, v19, -1, v39
	s_delay_alu instid0(VALU_DEP_2) | instskip(NEXT) | instid1(VALU_DEP_2)
	v_add_nc_u32_e32 v17, v18, v17
	v_lshl_add_u32 v27, v27, 1, v16
	ds_load_u16 v17, v17
	ds_load_u16 v27, v27
	s_wait_dscnt 0x0
	v_cmp_gt_i16_e64 s3, v17, v27
	s_delay_alu instid0(VALU_DEP_1) | instskip(SKIP_1) | instid1(VALU_DEP_1)
	v_cndmask_b32_e64 v24, v24, v19, s3
	v_cndmask_b32_e64 v48, v28, v48, s3
	v_cmp_ge_u32_e64 s3, v48, v24
	s_or_b32 s5, s3, s5
	s_delay_alu instid0(SALU_CYCLE_1)
	s_and_not1_b32 exec_lo, exec_lo, s5
	s_cbranch_execnz .LBB1019_87
; %bb.88:
	s_or_b32 exec_lo, exec_lo, s5
.LBB1019_89:
	s_delay_alu instid0(SALU_CYCLE_1) | instskip(SKIP_4) | instid1(VALU_DEP_4)
	s_or_b32 exec_lo, exec_lo, s4
	v_add_nc_u32_e32 v16, v33, v39
	v_dual_add_nc_u32 v24, 6, v11 :: v_dual_add_nc_u32 v19, v48, v38
	v_add_nc_u32_e32 v32, 0x800, v25
	v_dual_add_nc_u32 v27, 2, v11 :: v_dual_add_nc_u32 v29, 4, v11
	v_sub_nc_u32_e32 v18, v16, v48
	s_delay_alu instid0(VALU_DEP_4)
	v_cmp_le_u32_e64 s3, v19, v33
	v_add_nc_u32_e32 v28, 0x808, v25
	v_add_nc_u32_e32 v31, 0x810, v25
	;; [unrolled: 1-line block ×3, first 2 shown]
	v_cmp_le_u32_e64 s4, v18, v37
	s_or_b32 s3, s3, s4
	s_delay_alu instid0(SALU_CYCLE_1)
	s_and_saveexec_b32 s9, s3
	s_cbranch_execz .LBB1019_95
; %bb.90:
	v_cmp_lt_u32_e64 s3, v19, v33
                                        ; implicit-def: $vgpr16
	s_and_saveexec_b32 s4, s3
; %bb.91:
	v_lshl_add_u32 v4, v19, 1, v12
	ds_load_u16 v16, v4
; %bb.92:
	s_or_b32 exec_lo, exec_lo, s4
	v_cmp_ge_u32_e64 s4, v18, v37
	s_mov_b32 s6, exec_lo
                                        ; implicit-def: $vgpr17
	v_cmpx_lt_u32_e64 v18, v37
; %bb.93:
	v_lshl_add_u32 v4, v18, 1, v12
	ds_load_u16 v17, v4
; %bb.94:
	s_or_b32 exec_lo, exec_lo, s6
	s_wait_dscnt 0x0
	v_cmp_le_i16_e64 s5, v16, v17
	s_and_b32 s3, s3, s5
	s_delay_alu instid0(SALU_CYCLE_1) | instskip(NEXT) | instid1(SALU_CYCLE_1)
	s_or_b32 s3, s4, s3
	v_dual_cndmask_b32 v4, v18, v19, s3 :: v_dual_cndmask_b32 v5, v37, v33, s3
	v_cndmask_b32_e64 v36, v17, v16, s3
	s_delay_alu instid0(VALU_DEP_2) | instskip(SKIP_1) | instid1(VALU_DEP_2)
	v_add_nc_u32_e32 v14, 1, v4
	v_lshl_add_u32 v4, v4, 3, v10
	v_add_min_u32_e64 v5, v5, -1, v14
	s_delay_alu instid0(VALU_DEP_1) | instskip(SKIP_4) | instid1(VALU_DEP_2)
	v_lshl_add_u32 v5, v5, 1, v12
	ds_load_u16 v5, v5
	s_wait_dscnt 0x0
	v_dual_cndmask_b32 v15, v19, v14, s3 :: v_dual_cndmask_b32 v26, v16, v5, s3
	v_dual_cndmask_b32 v19, v5, v17, s3 :: v_dual_cndmask_b32 v5, v14, v18, s3
	v_cmp_lt_u32_e64 s4, v15, v33
	s_delay_alu instid0(VALU_DEP_2) | instskip(NEXT) | instid1(VALU_DEP_3)
	v_cmp_le_i16_e64 s5, v26, v19
	v_cmp_ge_u32_e64 s6, v5, v37
	s_and_b32 s4, s4, s5
	s_delay_alu instid0(SALU_CYCLE_1) | instskip(NEXT) | instid1(SALU_CYCLE_1)
	s_or_b32 s4, s6, s4
	v_cndmask_b32_e64 v18, v37, v33, s4
	v_dual_cndmask_b32 v14, v5, v15, s4 :: v_dual_cndmask_b32 v34, v19, v26, s4
	s_delay_alu instid0(VALU_DEP_1) | instskip(NEXT) | instid1(VALU_DEP_1)
	v_add_nc_u32_e32 v20, 1, v14
	v_add_min_u32_e64 v18, v18, -1, v20
	s_delay_alu instid0(VALU_DEP_1)
	v_lshl_add_u32 v18, v18, 1, v12
	ds_load_u16 v18, v18
	s_wait_dscnt 0x0
	v_dual_cndmask_b32 v35, v18, v19, s4 :: v_dual_cndmask_b32 v15, v15, v20, s4
	v_dual_cndmask_b32 v18, v26, v18, s4 :: v_dual_cndmask_b32 v5, v20, v5, s4
	v_lshl_add_u32 v14, v14, 3, v10
	s_delay_alu instid0(VALU_DEP_3) | instskip(NEXT) | instid1(VALU_DEP_3)
	v_cmp_lt_u32_e64 s5, v15, v33
	v_cmp_le_i16_e64 s6, v18, v35
	s_delay_alu instid0(VALU_DEP_4) | instskip(SKIP_1) | instid1(SALU_CYCLE_1)
	v_cmp_ge_u32_e64 s7, v5, v37
	s_and_b32 s5, s5, s6
	s_or_b32 s5, s7, s5
	s_delay_alu instid0(SALU_CYCLE_1) | instskip(NEXT) | instid1(VALU_DEP_1)
	v_cndmask_b32_e64 v20, v5, v15, s5
	v_dual_cndmask_b32 v21, v37, v33, s5 :: v_dual_add_nc_u32 v22, 1, v20
	s_delay_alu instid0(VALU_DEP_1) | instskip(SKIP_1) | instid1(VALU_DEP_2)
	v_add_min_u32_e64 v21, v21, -1, v22
	v_dual_cndmask_b32 v15, v15, v22, s5 :: v_dual_cndmask_b32 v5, v22, v5, s5
	v_lshl_add_u32 v21, v21, 1, v12
	s_delay_alu instid0(VALU_DEP_2) | instskip(NEXT) | instid1(VALU_DEP_3)
	v_cmp_lt_u32_e64 s6, v15, v33
	v_cmp_ge_u32_e64 s8, v5, v37
	ds_load_u16 v21, v21
	s_wait_dscnt 0x0
	v_dual_cndmask_b32 v38, v21, v35, s5 :: v_dual_cndmask_b32 v39, v18, v21, s5
	s_delay_alu instid0(VALU_DEP_1) | instskip(SKIP_1) | instid1(SALU_CYCLE_1)
	v_cmp_le_i16_e64 s7, v39, v38
	s_and_b32 s6, s6, s7
	s_or_b32 s6, s8, s6
	s_delay_alu instid0(SALU_CYCLE_1) | instskip(SKIP_2) | instid1(VALU_DEP_2)
	v_dual_cndmask_b32 v26, v35, v18, s5 :: v_dual_cndmask_b32 v35, v38, v39, s6
	v_cndmask_b32_e64 v5, v5, v15, s6
	v_lshl_add_u32 v15, v20, 3, v10
	v_lshl_add_u32 v20, v5, 3, v10
	ds_load_b64 v[4:5], v4 offset:2048
	ds_load_b64 v[22:23], v14 offset:2048
	;; [unrolled: 1-line block ×4, first 2 shown]
.LBB1019_95:
	s_or_b32 exec_lo, exec_lo, s9
	v_and_b32_e32 v38, 0x70, v30
	s_mov_b32 s4, exec_lo
	; wave barrier
	ds_store_b16 v11, v36
	s_wait_dscnt 0x4
	ds_store_b64 v32, v[4:5]
	v_or_b32_e32 v16, 8, v38
	ds_store_b16 v27, v34
	s_wait_dscnt 0x5
	ds_store_b64 v28, v[22:23]
	ds_store_b16 v29, v26
	s_wait_dscnt 0x6
	ds_store_b64 v31, v[14:15]
	;; [unrolled: 3-line block ×3, first 2 shown]
	; wave barrier
	v_min_u32_e32 v33, v1, v16
	v_and_b32_e32 v16, 12, v30
	s_delay_alu instid0(VALU_DEP_2) | instskip(NEXT) | instid1(VALU_DEP_2)
	v_add_min_u32_e64 v37, v33, 8, v1
	v_min_u32_e32 v39, v1, v16
	v_sub_nc_u32_e32 v17, v33, v38
	s_delay_alu instid0(VALU_DEP_3) | instskip(NEXT) | instid1(VALU_DEP_2)
	v_sub_nc_u32_e32 v16, v37, v33
	v_min_u32_e32 v49, v39, v17
	s_delay_alu instid0(VALU_DEP_2) | instskip(NEXT) | instid1(VALU_DEP_1)
	v_sub_nc_u32_e64 v48, v39, v16 clamp
	v_cmpx_lt_u32_e64 v48, v49
	s_cbranch_execz .LBB1019_99
; %bb.96:
	v_dual_mov_b32 v19, 0 :: v_dual_lshlrev_b32 v18, 1, v38
	s_mov_b32 s5, 0
	s_delay_alu instid0(VALU_DEP_1) | instskip(SKIP_1) | instid1(VALU_DEP_1)
	v_add_nc_u64_e32 v[16:17], v[12:13], v[18:19]
	v_lshlrev_b32_e32 v18, 1, v33
	v_add_nc_u64_e32 v[18:19], v[12:13], v[18:19]
.LBB1019_97:                            ; =>This Inner Loop Header: Depth=1
	v_add_nc_u32_e32 v17, v49, v48
	s_delay_alu instid0(VALU_DEP_1) | instskip(NEXT) | instid1(VALU_DEP_1)
	v_lshrrev_b32_e32 v19, 1, v17
	v_dual_add_nc_u32 v51, 1, v19 :: v_dual_bitop2_b32 v17, -2, v17 bitop3:0x40
	v_xad_u32 v50, v19, -1, v39
	s_delay_alu instid0(VALU_DEP_2) | instskip(NEXT) | instid1(VALU_DEP_2)
	v_add_nc_u32_e32 v17, v16, v17
	v_lshl_add_u32 v50, v50, 1, v18
	ds_load_u16 v17, v17
	ds_load_u16 v50, v50
	s_wait_dscnt 0x0
	v_cmp_gt_i16_e64 s3, v17, v50
	s_delay_alu instid0(VALU_DEP_1) | instskip(NEXT) | instid1(VALU_DEP_1)
	v_dual_cndmask_b32 v49, v49, v19, s3 :: v_dual_cndmask_b32 v48, v51, v48, s3
	v_cmp_ge_u32_e64 s3, v48, v49
	s_or_b32 s5, s3, s5
	s_delay_alu instid0(SALU_CYCLE_1)
	s_and_not1_b32 exec_lo, exec_lo, s5
	s_cbranch_execnz .LBB1019_97
; %bb.98:
	s_or_b32 exec_lo, exec_lo, s5
.LBB1019_99:
	s_delay_alu instid0(SALU_CYCLE_1) | instskip(SKIP_1) | instid1(VALU_DEP_1)
	s_or_b32 exec_lo, exec_lo, s4
	v_dual_add_nc_u32 v16, v33, v39 :: v_dual_add_nc_u32 v19, v48, v38
	v_sub_nc_u32_e32 v18, v16, v48
	s_delay_alu instid0(VALU_DEP_2) | instskip(NEXT) | instid1(VALU_DEP_2)
	v_cmp_le_u32_e64 s3, v19, v33
	v_cmp_le_u32_e64 s4, v18, v37
	s_or_b32 s3, s3, s4
	s_delay_alu instid0(SALU_CYCLE_1)
	s_and_saveexec_b32 s9, s3
	s_cbranch_execz .LBB1019_105
; %bb.100:
	v_cmp_lt_u32_e64 s3, v19, v33
                                        ; implicit-def: $vgpr16
	s_and_saveexec_b32 s4, s3
; %bb.101:
	v_lshl_add_u32 v4, v19, 1, v12
	ds_load_u16 v16, v4
; %bb.102:
	s_or_b32 exec_lo, exec_lo, s4
	v_cmp_ge_u32_e64 s4, v18, v37
	s_mov_b32 s6, exec_lo
                                        ; implicit-def: $vgpr17
	v_cmpx_lt_u32_e64 v18, v37
; %bb.103:
	v_lshl_add_u32 v4, v18, 1, v12
	ds_load_u16 v17, v4
; %bb.104:
	s_or_b32 exec_lo, exec_lo, s6
	s_wait_dscnt 0x0
	v_cmp_le_i16_e64 s5, v16, v17
	s_and_b32 s3, s3, s5
	s_delay_alu instid0(SALU_CYCLE_1) | instskip(NEXT) | instid1(SALU_CYCLE_1)
	s_or_b32 s3, s4, s3
	v_dual_cndmask_b32 v4, v18, v19, s3 :: v_dual_cndmask_b32 v5, v37, v33, s3
	v_cndmask_b32_e64 v36, v17, v16, s3
	s_delay_alu instid0(VALU_DEP_2) | instskip(SKIP_1) | instid1(VALU_DEP_2)
	v_add_nc_u32_e32 v14, 1, v4
	v_lshl_add_u32 v4, v4, 3, v10
	v_add_min_u32_e64 v5, v5, -1, v14
	s_delay_alu instid0(VALU_DEP_1) | instskip(SKIP_4) | instid1(VALU_DEP_2)
	v_lshl_add_u32 v5, v5, 1, v12
	ds_load_u16 v5, v5
	s_wait_dscnt 0x0
	v_dual_cndmask_b32 v15, v19, v14, s3 :: v_dual_cndmask_b32 v26, v16, v5, s3
	v_dual_cndmask_b32 v19, v5, v17, s3 :: v_dual_cndmask_b32 v5, v14, v18, s3
	v_cmp_lt_u32_e64 s4, v15, v33
	s_delay_alu instid0(VALU_DEP_2) | instskip(NEXT) | instid1(VALU_DEP_3)
	v_cmp_le_i16_e64 s5, v26, v19
	v_cmp_ge_u32_e64 s6, v5, v37
	s_and_b32 s4, s4, s5
	s_delay_alu instid0(SALU_CYCLE_1) | instskip(NEXT) | instid1(SALU_CYCLE_1)
	s_or_b32 s4, s6, s4
	v_cndmask_b32_e64 v18, v37, v33, s4
	v_dual_cndmask_b32 v14, v5, v15, s4 :: v_dual_cndmask_b32 v34, v19, v26, s4
	s_delay_alu instid0(VALU_DEP_1) | instskip(NEXT) | instid1(VALU_DEP_1)
	v_add_nc_u32_e32 v20, 1, v14
	v_add_min_u32_e64 v18, v18, -1, v20
	s_delay_alu instid0(VALU_DEP_1)
	v_lshl_add_u32 v18, v18, 1, v12
	ds_load_u16 v18, v18
	s_wait_dscnt 0x0
	v_dual_cndmask_b32 v35, v18, v19, s4 :: v_dual_cndmask_b32 v15, v15, v20, s4
	v_dual_cndmask_b32 v18, v26, v18, s4 :: v_dual_cndmask_b32 v5, v20, v5, s4
	v_lshl_add_u32 v14, v14, 3, v10
	s_delay_alu instid0(VALU_DEP_3) | instskip(NEXT) | instid1(VALU_DEP_3)
	v_cmp_lt_u32_e64 s5, v15, v33
	v_cmp_le_i16_e64 s6, v18, v35
	s_delay_alu instid0(VALU_DEP_4) | instskip(SKIP_1) | instid1(SALU_CYCLE_1)
	v_cmp_ge_u32_e64 s7, v5, v37
	s_and_b32 s5, s5, s6
	s_or_b32 s5, s7, s5
	s_delay_alu instid0(SALU_CYCLE_1) | instskip(NEXT) | instid1(VALU_DEP_1)
	v_cndmask_b32_e64 v20, v5, v15, s5
	v_dual_cndmask_b32 v21, v37, v33, s5 :: v_dual_add_nc_u32 v22, 1, v20
	s_delay_alu instid0(VALU_DEP_1) | instskip(SKIP_1) | instid1(VALU_DEP_2)
	v_add_min_u32_e64 v21, v21, -1, v22
	v_dual_cndmask_b32 v15, v15, v22, s5 :: v_dual_cndmask_b32 v5, v22, v5, s5
	v_lshl_add_u32 v21, v21, 1, v12
	s_delay_alu instid0(VALU_DEP_2) | instskip(NEXT) | instid1(VALU_DEP_3)
	v_cmp_lt_u32_e64 s6, v15, v33
	v_cmp_ge_u32_e64 s8, v5, v37
	ds_load_u16 v21, v21
	s_wait_dscnt 0x0
	v_dual_cndmask_b32 v38, v21, v35, s5 :: v_dual_cndmask_b32 v39, v18, v21, s5
	s_delay_alu instid0(VALU_DEP_1) | instskip(SKIP_1) | instid1(SALU_CYCLE_1)
	v_cmp_le_i16_e64 s7, v39, v38
	s_and_b32 s6, s6, s7
	s_or_b32 s6, s8, s6
	s_delay_alu instid0(SALU_CYCLE_1) | instskip(SKIP_2) | instid1(VALU_DEP_2)
	v_dual_cndmask_b32 v26, v35, v18, s5 :: v_dual_cndmask_b32 v35, v38, v39, s6
	v_cndmask_b32_e64 v5, v5, v15, s6
	v_lshl_add_u32 v15, v20, 3, v10
	v_lshl_add_u32 v20, v5, 3, v10
	ds_load_b64 v[4:5], v4 offset:2048
	ds_load_b64 v[22:23], v14 offset:2048
	;; [unrolled: 1-line block ×4, first 2 shown]
.LBB1019_105:
	s_or_b32 exec_lo, exec_lo, s9
	v_and_b32_e32 v38, 0x60, v30
	s_mov_b32 s4, exec_lo
	; wave barrier
	ds_store_b16 v11, v36
	s_wait_dscnt 0x4
	ds_store_b64 v32, v[4:5]
	v_or_b32_e32 v16, 16, v38
	ds_store_b16 v27, v34
	s_wait_dscnt 0x5
	ds_store_b64 v28, v[22:23]
	ds_store_b16 v29, v26
	s_wait_dscnt 0x6
	ds_store_b64 v31, v[14:15]
	;; [unrolled: 3-line block ×3, first 2 shown]
	; wave barrier
	v_min_u32_e32 v33, v1, v16
	v_and_b32_e32 v16, 28, v30
	s_delay_alu instid0(VALU_DEP_2) | instskip(NEXT) | instid1(VALU_DEP_2)
	v_add_min_u32_e64 v37, v33, 16, v1
	v_min_u32_e32 v39, v1, v16
	v_sub_nc_u32_e32 v17, v33, v38
	s_delay_alu instid0(VALU_DEP_3) | instskip(NEXT) | instid1(VALU_DEP_2)
	v_sub_nc_u32_e32 v16, v37, v33
	v_min_u32_e32 v49, v39, v17
	s_delay_alu instid0(VALU_DEP_2) | instskip(NEXT) | instid1(VALU_DEP_1)
	v_sub_nc_u32_e64 v48, v39, v16 clamp
	v_cmpx_lt_u32_e64 v48, v49
	s_cbranch_execz .LBB1019_109
; %bb.106:
	v_dual_mov_b32 v19, 0 :: v_dual_lshlrev_b32 v18, 1, v38
	s_mov_b32 s5, 0
	s_delay_alu instid0(VALU_DEP_1) | instskip(SKIP_1) | instid1(VALU_DEP_1)
	v_add_nc_u64_e32 v[16:17], v[12:13], v[18:19]
	v_lshlrev_b32_e32 v18, 1, v33
	v_add_nc_u64_e32 v[18:19], v[12:13], v[18:19]
.LBB1019_107:                           ; =>This Inner Loop Header: Depth=1
	v_add_nc_u32_e32 v17, v49, v48
	s_delay_alu instid0(VALU_DEP_1) | instskip(NEXT) | instid1(VALU_DEP_1)
	v_lshrrev_b32_e32 v19, 1, v17
	v_dual_add_nc_u32 v51, 1, v19 :: v_dual_bitop2_b32 v17, -2, v17 bitop3:0x40
	v_xad_u32 v50, v19, -1, v39
	s_delay_alu instid0(VALU_DEP_2) | instskip(NEXT) | instid1(VALU_DEP_2)
	v_add_nc_u32_e32 v17, v16, v17
	v_lshl_add_u32 v50, v50, 1, v18
	ds_load_u16 v17, v17
	ds_load_u16 v50, v50
	s_wait_dscnt 0x0
	v_cmp_gt_i16_e64 s3, v17, v50
	s_delay_alu instid0(VALU_DEP_1) | instskip(NEXT) | instid1(VALU_DEP_1)
	v_dual_cndmask_b32 v49, v49, v19, s3 :: v_dual_cndmask_b32 v48, v51, v48, s3
	v_cmp_ge_u32_e64 s3, v48, v49
	s_or_b32 s5, s3, s5
	s_delay_alu instid0(SALU_CYCLE_1)
	s_and_not1_b32 exec_lo, exec_lo, s5
	s_cbranch_execnz .LBB1019_107
; %bb.108:
	s_or_b32 exec_lo, exec_lo, s5
.LBB1019_109:
	s_delay_alu instid0(SALU_CYCLE_1) | instskip(SKIP_1) | instid1(VALU_DEP_1)
	s_or_b32 exec_lo, exec_lo, s4
	v_dual_add_nc_u32 v16, v33, v39 :: v_dual_add_nc_u32 v19, v48, v38
	v_sub_nc_u32_e32 v18, v16, v48
	s_delay_alu instid0(VALU_DEP_2) | instskip(NEXT) | instid1(VALU_DEP_2)
	v_cmp_le_u32_e64 s3, v19, v33
	v_cmp_le_u32_e64 s4, v18, v37
	s_or_b32 s3, s3, s4
	s_delay_alu instid0(SALU_CYCLE_1)
	s_and_saveexec_b32 s9, s3
	s_cbranch_execz .LBB1019_115
; %bb.110:
	v_cmp_lt_u32_e64 s3, v19, v33
                                        ; implicit-def: $vgpr16
	s_and_saveexec_b32 s4, s3
; %bb.111:
	v_lshl_add_u32 v4, v19, 1, v12
	ds_load_u16 v16, v4
; %bb.112:
	s_or_b32 exec_lo, exec_lo, s4
	v_cmp_ge_u32_e64 s4, v18, v37
	s_mov_b32 s6, exec_lo
                                        ; implicit-def: $vgpr17
	v_cmpx_lt_u32_e64 v18, v37
; %bb.113:
	v_lshl_add_u32 v4, v18, 1, v12
	ds_load_u16 v17, v4
; %bb.114:
	s_or_b32 exec_lo, exec_lo, s6
	s_wait_dscnt 0x0
	v_cmp_le_i16_e64 s5, v16, v17
	s_and_b32 s3, s3, s5
	s_delay_alu instid0(SALU_CYCLE_1) | instskip(NEXT) | instid1(SALU_CYCLE_1)
	s_or_b32 s3, s4, s3
	v_dual_cndmask_b32 v4, v18, v19, s3 :: v_dual_cndmask_b32 v5, v37, v33, s3
	v_cndmask_b32_e64 v36, v17, v16, s3
	s_delay_alu instid0(VALU_DEP_2) | instskip(SKIP_1) | instid1(VALU_DEP_2)
	v_add_nc_u32_e32 v14, 1, v4
	v_lshl_add_u32 v4, v4, 3, v10
	v_add_min_u32_e64 v5, v5, -1, v14
	s_delay_alu instid0(VALU_DEP_1) | instskip(SKIP_4) | instid1(VALU_DEP_2)
	v_lshl_add_u32 v5, v5, 1, v12
	ds_load_u16 v5, v5
	s_wait_dscnt 0x0
	v_dual_cndmask_b32 v15, v19, v14, s3 :: v_dual_cndmask_b32 v26, v16, v5, s3
	v_dual_cndmask_b32 v19, v5, v17, s3 :: v_dual_cndmask_b32 v5, v14, v18, s3
	v_cmp_lt_u32_e64 s4, v15, v33
	s_delay_alu instid0(VALU_DEP_2) | instskip(NEXT) | instid1(VALU_DEP_3)
	v_cmp_le_i16_e64 s5, v26, v19
	v_cmp_ge_u32_e64 s6, v5, v37
	s_and_b32 s4, s4, s5
	s_delay_alu instid0(SALU_CYCLE_1) | instskip(NEXT) | instid1(SALU_CYCLE_1)
	s_or_b32 s4, s6, s4
	v_cndmask_b32_e64 v18, v37, v33, s4
	v_dual_cndmask_b32 v14, v5, v15, s4 :: v_dual_cndmask_b32 v34, v19, v26, s4
	s_delay_alu instid0(VALU_DEP_1) | instskip(NEXT) | instid1(VALU_DEP_1)
	v_add_nc_u32_e32 v20, 1, v14
	v_add_min_u32_e64 v18, v18, -1, v20
	s_delay_alu instid0(VALU_DEP_1)
	v_lshl_add_u32 v18, v18, 1, v12
	ds_load_u16 v18, v18
	s_wait_dscnt 0x0
	v_dual_cndmask_b32 v35, v18, v19, s4 :: v_dual_cndmask_b32 v15, v15, v20, s4
	v_dual_cndmask_b32 v18, v26, v18, s4 :: v_dual_cndmask_b32 v5, v20, v5, s4
	v_lshl_add_u32 v14, v14, 3, v10
	s_delay_alu instid0(VALU_DEP_3) | instskip(NEXT) | instid1(VALU_DEP_3)
	v_cmp_lt_u32_e64 s5, v15, v33
	v_cmp_le_i16_e64 s6, v18, v35
	s_delay_alu instid0(VALU_DEP_4) | instskip(SKIP_1) | instid1(SALU_CYCLE_1)
	v_cmp_ge_u32_e64 s7, v5, v37
	s_and_b32 s5, s5, s6
	s_or_b32 s5, s7, s5
	s_delay_alu instid0(SALU_CYCLE_1) | instskip(NEXT) | instid1(VALU_DEP_1)
	v_cndmask_b32_e64 v20, v5, v15, s5
	v_dual_cndmask_b32 v21, v37, v33, s5 :: v_dual_add_nc_u32 v22, 1, v20
	s_delay_alu instid0(VALU_DEP_1) | instskip(SKIP_1) | instid1(VALU_DEP_2)
	v_add_min_u32_e64 v21, v21, -1, v22
	v_dual_cndmask_b32 v15, v15, v22, s5 :: v_dual_cndmask_b32 v5, v22, v5, s5
	v_lshl_add_u32 v21, v21, 1, v12
	s_delay_alu instid0(VALU_DEP_2) | instskip(NEXT) | instid1(VALU_DEP_3)
	v_cmp_lt_u32_e64 s6, v15, v33
	v_cmp_ge_u32_e64 s8, v5, v37
	ds_load_u16 v21, v21
	s_wait_dscnt 0x0
	v_dual_cndmask_b32 v38, v21, v35, s5 :: v_dual_cndmask_b32 v39, v18, v21, s5
	s_delay_alu instid0(VALU_DEP_1) | instskip(SKIP_1) | instid1(SALU_CYCLE_1)
	v_cmp_le_i16_e64 s7, v39, v38
	s_and_b32 s6, s6, s7
	s_or_b32 s6, s8, s6
	s_delay_alu instid0(SALU_CYCLE_1) | instskip(SKIP_2) | instid1(VALU_DEP_2)
	v_dual_cndmask_b32 v26, v35, v18, s5 :: v_dual_cndmask_b32 v35, v38, v39, s6
	v_cndmask_b32_e64 v5, v5, v15, s6
	v_lshl_add_u32 v15, v20, 3, v10
	v_lshl_add_u32 v20, v5, 3, v10
	ds_load_b64 v[4:5], v4 offset:2048
	ds_load_b64 v[22:23], v14 offset:2048
	;; [unrolled: 1-line block ×4, first 2 shown]
.LBB1019_115:
	s_or_b32 exec_lo, exec_lo, s9
	v_and_b32_e32 v38, 64, v30
	s_mov_b32 s4, exec_lo
	; wave barrier
	ds_store_b16 v11, v36
	s_wait_dscnt 0x4
	ds_store_b64 v32, v[4:5]
	v_or_b32_e32 v16, 32, v38
	ds_store_b16 v27, v34
	s_wait_dscnt 0x5
	ds_store_b64 v28, v[22:23]
	ds_store_b16 v29, v26
	s_wait_dscnt 0x6
	ds_store_b64 v31, v[14:15]
	;; [unrolled: 3-line block ×3, first 2 shown]
	; wave barrier
	v_min_u32_e32 v33, v1, v16
	v_and_b32_e32 v16, 60, v30
	s_delay_alu instid0(VALU_DEP_2) | instskip(NEXT) | instid1(VALU_DEP_2)
	v_add_min_u32_e64 v37, v33, 32, v1
	v_min_u32_e32 v39, v1, v16
	s_delay_alu instid0(VALU_DEP_2) | instskip(SKIP_1) | instid1(VALU_DEP_2)
	v_sub_nc_u32_e32 v16, v37, v33
	v_sub_nc_u32_e32 v17, v33, v38
	v_sub_nc_u32_e64 v48, v39, v16 clamp
	s_delay_alu instid0(VALU_DEP_2) | instskip(NEXT) | instid1(VALU_DEP_1)
	v_min_u32_e32 v49, v39, v17
	v_cmpx_lt_u32_e64 v48, v49
	s_cbranch_execz .LBB1019_119
; %bb.116:
	v_dual_mov_b32 v19, 0 :: v_dual_lshlrev_b32 v18, 1, v38
	s_mov_b32 s5, 0
	s_delay_alu instid0(VALU_DEP_1) | instskip(SKIP_1) | instid1(VALU_DEP_1)
	v_add_nc_u64_e32 v[16:17], v[12:13], v[18:19]
	v_lshlrev_b32_e32 v18, 1, v33
	v_add_nc_u64_e32 v[18:19], v[12:13], v[18:19]
.LBB1019_117:                           ; =>This Inner Loop Header: Depth=1
	v_add_nc_u32_e32 v17, v49, v48
	s_delay_alu instid0(VALU_DEP_1) | instskip(NEXT) | instid1(VALU_DEP_1)
	v_lshrrev_b32_e32 v19, 1, v17
	v_dual_add_nc_u32 v51, 1, v19 :: v_dual_bitop2_b32 v17, -2, v17 bitop3:0x40
	v_xad_u32 v50, v19, -1, v39
	s_delay_alu instid0(VALU_DEP_2) | instskip(NEXT) | instid1(VALU_DEP_2)
	v_add_nc_u32_e32 v17, v16, v17
	v_lshl_add_u32 v50, v50, 1, v18
	ds_load_u16 v17, v17
	ds_load_u16 v50, v50
	s_wait_dscnt 0x0
	v_cmp_gt_i16_e64 s3, v17, v50
	s_delay_alu instid0(VALU_DEP_1) | instskip(NEXT) | instid1(VALU_DEP_1)
	v_dual_cndmask_b32 v49, v49, v19, s3 :: v_dual_cndmask_b32 v48, v51, v48, s3
	v_cmp_ge_u32_e64 s3, v48, v49
	s_or_b32 s5, s3, s5
	s_delay_alu instid0(SALU_CYCLE_1)
	s_and_not1_b32 exec_lo, exec_lo, s5
	s_cbranch_execnz .LBB1019_117
; %bb.118:
	s_or_b32 exec_lo, exec_lo, s5
.LBB1019_119:
	s_delay_alu instid0(SALU_CYCLE_1) | instskip(SKIP_1) | instid1(VALU_DEP_1)
	s_or_b32 exec_lo, exec_lo, s4
	v_dual_add_nc_u32 v16, v33, v39 :: v_dual_add_nc_u32 v19, v48, v38
	v_sub_nc_u32_e32 v18, v16, v48
	s_delay_alu instid0(VALU_DEP_2) | instskip(NEXT) | instid1(VALU_DEP_2)
	v_cmp_le_u32_e64 s3, v19, v33
	v_cmp_le_u32_e64 s4, v18, v37
	s_or_b32 s3, s3, s4
	s_delay_alu instid0(SALU_CYCLE_1)
	s_and_saveexec_b32 s9, s3
	s_cbranch_execz .LBB1019_125
; %bb.120:
	v_cmp_lt_u32_e64 s3, v19, v33
                                        ; implicit-def: $vgpr16
	s_and_saveexec_b32 s4, s3
; %bb.121:
	v_lshl_add_u32 v4, v19, 1, v12
	ds_load_u16 v16, v4
; %bb.122:
	s_or_b32 exec_lo, exec_lo, s4
	v_cmp_ge_u32_e64 s4, v18, v37
	s_mov_b32 s6, exec_lo
                                        ; implicit-def: $vgpr17
	v_cmpx_lt_u32_e64 v18, v37
; %bb.123:
	v_lshl_add_u32 v4, v18, 1, v12
	ds_load_u16 v17, v4
; %bb.124:
	s_or_b32 exec_lo, exec_lo, s6
	s_wait_dscnt 0x0
	v_cmp_le_i16_e64 s5, v16, v17
	s_and_b32 s3, s3, s5
	s_delay_alu instid0(SALU_CYCLE_1) | instskip(NEXT) | instid1(SALU_CYCLE_1)
	s_or_b32 s3, s4, s3
	v_dual_cndmask_b32 v4, v18, v19, s3 :: v_dual_cndmask_b32 v5, v37, v33, s3
	v_cndmask_b32_e64 v36, v17, v16, s3
	s_delay_alu instid0(VALU_DEP_2) | instskip(SKIP_1) | instid1(VALU_DEP_2)
	v_add_nc_u32_e32 v14, 1, v4
	v_lshl_add_u32 v4, v4, 3, v10
	v_add_min_u32_e64 v5, v5, -1, v14
	s_delay_alu instid0(VALU_DEP_1) | instskip(SKIP_4) | instid1(VALU_DEP_2)
	v_lshl_add_u32 v5, v5, 1, v12
	ds_load_u16 v5, v5
	s_wait_dscnt 0x0
	v_dual_cndmask_b32 v15, v19, v14, s3 :: v_dual_cndmask_b32 v26, v16, v5, s3
	v_dual_cndmask_b32 v19, v5, v17, s3 :: v_dual_cndmask_b32 v5, v14, v18, s3
	v_cmp_lt_u32_e64 s4, v15, v33
	s_delay_alu instid0(VALU_DEP_2) | instskip(NEXT) | instid1(VALU_DEP_3)
	v_cmp_le_i16_e64 s5, v26, v19
	v_cmp_ge_u32_e64 s6, v5, v37
	s_and_b32 s4, s4, s5
	s_delay_alu instid0(SALU_CYCLE_1) | instskip(NEXT) | instid1(SALU_CYCLE_1)
	s_or_b32 s4, s6, s4
	v_cndmask_b32_e64 v18, v37, v33, s4
	v_dual_cndmask_b32 v14, v5, v15, s4 :: v_dual_cndmask_b32 v34, v19, v26, s4
	s_delay_alu instid0(VALU_DEP_1) | instskip(NEXT) | instid1(VALU_DEP_1)
	v_add_nc_u32_e32 v20, 1, v14
	v_add_min_u32_e64 v18, v18, -1, v20
	s_delay_alu instid0(VALU_DEP_1)
	v_lshl_add_u32 v18, v18, 1, v12
	ds_load_u16 v18, v18
	s_wait_dscnt 0x0
	v_dual_cndmask_b32 v35, v18, v19, s4 :: v_dual_cndmask_b32 v15, v15, v20, s4
	v_dual_cndmask_b32 v18, v26, v18, s4 :: v_dual_cndmask_b32 v5, v20, v5, s4
	v_lshl_add_u32 v14, v14, 3, v10
	s_delay_alu instid0(VALU_DEP_3) | instskip(NEXT) | instid1(VALU_DEP_3)
	v_cmp_lt_u32_e64 s5, v15, v33
	v_cmp_le_i16_e64 s6, v18, v35
	s_delay_alu instid0(VALU_DEP_4) | instskip(SKIP_1) | instid1(SALU_CYCLE_1)
	v_cmp_ge_u32_e64 s7, v5, v37
	s_and_b32 s5, s5, s6
	s_or_b32 s5, s7, s5
	s_delay_alu instid0(SALU_CYCLE_1) | instskip(NEXT) | instid1(VALU_DEP_1)
	v_cndmask_b32_e64 v20, v5, v15, s5
	v_dual_cndmask_b32 v21, v37, v33, s5 :: v_dual_add_nc_u32 v22, 1, v20
	s_delay_alu instid0(VALU_DEP_1) | instskip(SKIP_1) | instid1(VALU_DEP_2)
	v_add_min_u32_e64 v21, v21, -1, v22
	v_dual_cndmask_b32 v15, v15, v22, s5 :: v_dual_cndmask_b32 v5, v22, v5, s5
	v_lshl_add_u32 v21, v21, 1, v12
	s_delay_alu instid0(VALU_DEP_2) | instskip(NEXT) | instid1(VALU_DEP_3)
	v_cmp_lt_u32_e64 s6, v15, v33
	v_cmp_ge_u32_e64 s8, v5, v37
	ds_load_u16 v21, v21
	s_wait_dscnt 0x0
	v_dual_cndmask_b32 v38, v21, v35, s5 :: v_dual_cndmask_b32 v39, v18, v21, s5
	s_delay_alu instid0(VALU_DEP_1) | instskip(SKIP_1) | instid1(SALU_CYCLE_1)
	v_cmp_le_i16_e64 s7, v39, v38
	s_and_b32 s6, s6, s7
	s_or_b32 s6, s8, s6
	s_delay_alu instid0(SALU_CYCLE_1) | instskip(SKIP_2) | instid1(VALU_DEP_2)
	v_dual_cndmask_b32 v26, v35, v18, s5 :: v_dual_cndmask_b32 v35, v38, v39, s6
	v_cndmask_b32_e64 v5, v5, v15, s6
	v_lshl_add_u32 v15, v20, 3, v10
	v_lshl_add_u32 v20, v5, 3, v10
	ds_load_b64 v[4:5], v4 offset:2048
	ds_load_b64 v[22:23], v14 offset:2048
	;; [unrolled: 1-line block ×4, first 2 shown]
.LBB1019_125:
	s_or_b32 exec_lo, exec_lo, s9
	v_min_u32_e32 v19, 64, v1
	v_min_u32_e32 v33, v1, v30
	; wave barrier
	ds_store_b16 v11, v36
	s_wait_dscnt 0x4
	ds_store_b64 v32, v[4:5]
	v_add_min_u32_e64 v18, v19, 64, v1
	v_min_u32_e32 v11, v33, v19
	s_mov_b32 s4, exec_lo
	ds_store_b16 v27, v34
	s_wait_dscnt 0x5
	ds_store_b64 v28, v[22:23]
	ds_store_b16 v29, v26
	s_wait_dscnt 0x6
	ds_store_b64 v31, v[14:15]
	;; [unrolled: 3-line block ×3, first 2 shown]
	v_sub_nc_u32_e32 v1, v18, v19
	; wave barrier
	s_delay_alu instid0(VALU_DEP_1) | instskip(NEXT) | instid1(VALU_DEP_1)
	v_sub_nc_u32_e64 v1, v33, v1 clamp
	v_cmpx_lt_u32_e64 v1, v11
	s_cbranch_execz .LBB1019_129
; %bb.126:
	v_dual_mov_b32 v17, 0 :: v_dual_lshlrev_b32 v16, 1, v19
	s_mov_b32 s5, 0
	s_delay_alu instid0(VALU_DEP_1)
	v_add_nc_u64_e32 v[16:17], v[12:13], v[16:17]
.LBB1019_127:                           ; =>This Inner Loop Header: Depth=1
	v_add_nc_u32_e32 v13, v11, v1
	s_delay_alu instid0(VALU_DEP_1) | instskip(NEXT) | instid1(VALU_DEP_1)
	v_dual_lshrrev_b32 v17, 1, v13 :: v_dual_bitop2_b32 v13, -2, v13 bitop3:0x40
	v_xad_u32 v24, v17, -1, v33
	s_delay_alu instid0(VALU_DEP_2) | instskip(NEXT) | instid1(VALU_DEP_2)
	v_add_nc_u32_e32 v13, v12, v13
	v_lshl_add_u32 v24, v24, 1, v16
	ds_load_u16 v13, v13
	ds_load_u16 v24, v24
	s_wait_dscnt 0x0
	v_cmp_gt_i16_e64 s3, v13, v24
	s_delay_alu instid0(VALU_DEP_1) | instskip(NEXT) | instid1(VALU_DEP_1)
	v_dual_add_nc_u32 v25, 1, v17 :: v_dual_cndmask_b32 v11, v11, v17, s3
	v_cndmask_b32_e64 v1, v25, v1, s3
	s_delay_alu instid0(VALU_DEP_1) | instskip(SKIP_1) | instid1(SALU_CYCLE_1)
	v_cmp_ge_u32_e64 s3, v1, v11
	s_or_b32 s5, s3, s5
	s_and_not1_b32 exec_lo, exec_lo, s5
	s_cbranch_execnz .LBB1019_127
; %bb.128:
	s_or_b32 exec_lo, exec_lo, s5
.LBB1019_129:
	s_delay_alu instid0(SALU_CYCLE_1) | instskip(SKIP_2) | instid1(VALU_DEP_2)
	s_or_b32 exec_lo, exec_lo, s4
	v_add_nc_u32_e32 v11, v19, v33
	v_cmp_le_u32_e64 s3, v1, v19
	v_sub_nc_u32_e32 v16, v11, v1
	s_delay_alu instid0(VALU_DEP_1) | instskip(SKIP_1) | instid1(SALU_CYCLE_1)
	v_cmp_le_u32_e64 s4, v16, v18
	s_or_b32 s3, s3, s4
	s_and_saveexec_b32 s9, s3
	s_cbranch_execz .LBB1019_135
; %bb.130:
	v_cmp_lt_u32_e64 s3, v1, v19
                                        ; implicit-def: $vgpr11
	s_and_saveexec_b32 s4, s3
; %bb.131:
	v_lshl_add_u32 v4, v1, 1, v12
	ds_load_u16 v11, v4
; %bb.132:
	s_or_b32 exec_lo, exec_lo, s4
	v_cmp_ge_u32_e64 s4, v16, v18
	s_mov_b32 s6, exec_lo
                                        ; implicit-def: $vgpr13
	v_cmpx_lt_u32_e64 v16, v18
; %bb.133:
	v_lshl_add_u32 v4, v16, 1, v12
	ds_load_u16 v13, v4
; %bb.134:
	s_or_b32 exec_lo, exec_lo, s6
	s_wait_dscnt 0x0
	v_cmp_le_i16_e64 s5, v11, v13
	s_and_b32 s3, s3, s5
	s_delay_alu instid0(SALU_CYCLE_1) | instskip(NEXT) | instid1(SALU_CYCLE_1)
	s_or_b32 s3, s4, s3
	v_dual_cndmask_b32 v4, v16, v1, s3 :: v_dual_cndmask_b32 v5, v18, v19, s3
	s_delay_alu instid0(VALU_DEP_1) | instskip(SKIP_1) | instid1(VALU_DEP_2)
	v_add_nc_u32_e32 v14, 1, v4
	v_lshl_add_u32 v4, v4, 3, v10
	v_add_min_u32_e64 v5, v5, -1, v14
	s_delay_alu instid0(VALU_DEP_1)
	v_lshl_add_u32 v5, v5, 1, v12
	ds_load_u16 v5, v5
	s_wait_dscnt 0x0
	v_cndmask_b32_e64 v17, v5, v13, s3
	v_dual_cndmask_b32 v1, v1, v14, s3 :: v_dual_cndmask_b32 v24, v11, v5, s3
	v_cndmask_b32_e64 v5, v14, v16, s3
	s_delay_alu instid0(VALU_DEP_2) | instskip(NEXT) | instid1(VALU_DEP_3)
	v_cmp_lt_u32_e64 s4, v1, v19
	v_cmp_le_i16_e64 s5, v24, v17
	s_delay_alu instid0(VALU_DEP_3) | instskip(SKIP_1) | instid1(SALU_CYCLE_1)
	v_cmp_ge_u32_e64 s6, v5, v18
	s_and_b32 s4, s4, s5
	s_or_b32 s4, s6, s4
	s_delay_alu instid0(SALU_CYCLE_1) | instskip(NEXT) | instid1(VALU_DEP_1)
	v_dual_cndmask_b32 v14, v5, v1, s4 :: v_dual_cndmask_b32 v15, v18, v19, s4
	v_dual_cndmask_b32 v34, v17, v24, s4 :: v_dual_add_nc_u32 v16, 1, v14
	v_lshl_add_u32 v14, v14, 3, v10
	s_delay_alu instid0(VALU_DEP_2) | instskip(SKIP_1) | instid1(VALU_DEP_2)
	v_add_min_u32_e64 v15, v15, -1, v16
	v_cndmask_b32_e64 v5, v16, v5, s4
	v_lshl_add_u32 v15, v15, 1, v12
	s_delay_alu instid0(VALU_DEP_2) | instskip(SKIP_4) | instid1(VALU_DEP_2)
	v_cmp_ge_u32_e64 s7, v5, v18
	ds_load_u16 v15, v15
	s_wait_dscnt 0x0
	v_dual_cndmask_b32 v1, v1, v16, s4 :: v_dual_cndmask_b32 v25, v15, v17, s4
	v_cndmask_b32_e64 v26, v24, v15, s4
	v_cmp_lt_u32_e64 s5, v1, v19
	s_delay_alu instid0(VALU_DEP_2) | instskip(SKIP_1) | instid1(SALU_CYCLE_1)
	v_cmp_le_i16_e64 s6, v26, v25
	s_and_b32 s5, s5, s6
	s_or_b32 s5, s7, s5
	s_delay_alu instid0(SALU_CYCLE_1) | instskip(NEXT) | instid1(VALU_DEP_1)
	v_dual_cndmask_b32 v16, v18, v19, s5 :: v_dual_cndmask_b32 v15, v5, v1, s5
	v_add_nc_u32_e32 v20, 1, v15
	v_lshl_add_u32 v15, v15, 3, v10
	s_delay_alu instid0(VALU_DEP_2) | instskip(NEXT) | instid1(VALU_DEP_1)
	v_add_min_u32_e64 v16, v16, -1, v20
	v_lshl_add_u32 v12, v16, 1, v12
	ds_load_u16 v12, v12
	s_wait_dscnt 0x0
	v_dual_cndmask_b32 v16, v12, v25, s5 :: v_dual_cndmask_b32 v1, v1, v20, s5
	v_dual_cndmask_b32 v5, v20, v5, s5 :: v_dual_cndmask_b32 v12, v26, v12, s5
	v_cndmask_b32_e64 v26, v25, v26, s5
	s_delay_alu instid0(VALU_DEP_3) | instskip(NEXT) | instid1(VALU_DEP_3)
	v_cmp_lt_u32_e64 s6, v1, v19
	v_cmp_ge_u32_e64 s8, v5, v18
	s_delay_alu instid0(VALU_DEP_4) | instskip(SKIP_1) | instid1(SALU_CYCLE_1)
	v_cmp_le_i16_e64 s7, v12, v16
	s_and_b32 s6, s6, s7
	s_or_b32 s6, s8, s6
	s_delay_alu instid0(SALU_CYCLE_1) | instskip(SKIP_1) | instid1(VALU_DEP_2)
	v_cndmask_b32_e64 v1, v5, v1, s6
	v_dual_cndmask_b32 v36, v13, v11, s3 :: v_dual_cndmask_b32 v35, v16, v12, s6
	v_lshl_add_u32 v1, v1, 3, v10
	ds_load_b64 v[4:5], v4 offset:2048
	ds_load_b64 v[22:23], v14 offset:2048
	;; [unrolled: 1-line block ×4, first 2 shown]
.LBB1019_135:
	s_or_b32 exec_lo, exec_lo, s9
	; wave barrier
	s_wait_storecnt_dscnt 0x0
	s_barrier_signal -1
	s_barrier_wait -1
.LBB1019_136:
	s_or_b32 exec_lo, exec_lo, s10
	v_lshl_add_u64 v[2:3], v[8:9], 1, v[2:3]
	v_dual_mov_b32 v11, 0 :: v_dual_lshlrev_b32 v10, 1, v30
	s_wait_storecnt 0x0
	; wave barrier
	s_wait_loadcnt_dscnt 0x0
	s_delay_alu instid0(VALU_DEP_1)
	v_add_nc_u64_e32 v[2:3], v[2:3], v[10:11]
	s_and_saveexec_b32 s3, vcc_lo
	s_cbranch_execnz .LBB1019_146
; %bb.137:
	s_or_b32 exec_lo, exec_lo, s3
	s_and_saveexec_b32 s3, s0
	s_cbranch_execnz .LBB1019_147
.LBB1019_138:
	s_or_b32 exec_lo, exec_lo, s3
	s_and_saveexec_b32 s3, s1
	s_cbranch_execnz .LBB1019_148
.LBB1019_139:
	s_or_b32 exec_lo, exec_lo, s3
	s_and_saveexec_b32 s3, s2
	s_cbranch_execz .LBB1019_141
.LBB1019_140:
	flat_store_b16 v[2:3], v35 offset:6
.LBB1019_141:
	s_wait_xcnt 0x0
	s_or_b32 exec_lo, exec_lo, s3
	v_lshl_add_u64 v[2:3], v[8:9], 3, v[6:7]
	v_mov_b32_e32 v1, 0
	; wave barrier
	s_delay_alu instid0(VALU_DEP_1)
	v_add_nc_u64_e32 v[0:1], v[2:3], v[0:1]
	s_and_saveexec_b32 s3, vcc_lo
	s_cbranch_execnz .LBB1019_149
; %bb.142:
	s_or_b32 exec_lo, exec_lo, s3
	s_and_saveexec_b32 s3, s0
	s_cbranch_execnz .LBB1019_150
.LBB1019_143:
	s_or_b32 exec_lo, exec_lo, s3
	s_and_saveexec_b32 s0, s1
	s_cbranch_execnz .LBB1019_151
.LBB1019_144:
	s_or_b32 exec_lo, exec_lo, s0
	s_and_saveexec_b32 s0, s2
	s_cbranch_execnz .LBB1019_152
.LBB1019_145:
	s_or_b32 exec_lo, exec_lo, s0
	s_wait_dscnt 0x0
	s_set_pc_i64 s[30:31]
.LBB1019_146:
	flat_store_b16 v[2:3], v36
	s_wait_xcnt 0x0
	s_or_b32 exec_lo, exec_lo, s3
	s_and_saveexec_b32 s3, s0
	s_cbranch_execz .LBB1019_138
.LBB1019_147:
	flat_store_b16 v[2:3], v34 offset:2
	s_wait_xcnt 0x0
	s_or_b32 exec_lo, exec_lo, s3
	s_and_saveexec_b32 s3, s1
	s_cbranch_execz .LBB1019_139
.LBB1019_148:
	flat_store_b16 v[2:3], v26 offset:4
	s_wait_xcnt 0x0
	s_or_b32 exec_lo, exec_lo, s3
	s_and_saveexec_b32 s3, s2
	s_cbranch_execnz .LBB1019_140
	s_branch .LBB1019_141
.LBB1019_149:
	flat_store_b64 v[0:1], v[4:5]
	s_wait_xcnt 0x0
	s_or_b32 exec_lo, exec_lo, s3
	s_and_saveexec_b32 s3, s0
	s_cbranch_execz .LBB1019_143
.LBB1019_150:
	flat_store_b64 v[0:1], v[22:23] offset:8
	s_wait_xcnt 0x0
	s_or_b32 exec_lo, exec_lo, s3
	s_and_saveexec_b32 s0, s1
	s_cbranch_execz .LBB1019_144
.LBB1019_151:
	flat_store_b64 v[0:1], v[14:15] offset:16
	s_wait_xcnt 0x0
	s_or_b32 exec_lo, exec_lo, s0
	s_and_saveexec_b32 s0, s2
	s_cbranch_execz .LBB1019_145
.LBB1019_152:
	flat_store_b64 v[0:1], v[20:21] offset:24
	s_wait_xcnt 0x0
	s_or_b32 exec_lo, exec_lo, s0
	s_wait_dscnt 0x0
	s_set_pc_i64 s[30:31]
.Lfunc_end1019:
	.size	_ZN7rocprim17ROCPRIM_400000_NS6detail26segmented_warp_sort_helperINS1_20WarpSortHelperConfigILj32ELj4ELj256EEEslLi256ELb0EvE4sortIPKsPsPKlPlEEvT_T0_T1_T2_jjjjRNS5_12storage_typeE, .Lfunc_end1019-_ZN7rocprim17ROCPRIM_400000_NS6detail26segmented_warp_sort_helperINS1_20WarpSortHelperConfigILj32ELj4ELj256EEEslLi256ELb0EvE4sortIPKsPsPKlPlEEvT_T0_T1_T2_jjjjRNS5_12storage_typeE
                                        ; -- End function
	.set .L_ZN7rocprim17ROCPRIM_400000_NS6detail26segmented_warp_sort_helperINS1_20WarpSortHelperConfigILj32ELj4ELj256EEEslLi256ELb0EvE4sortIPKsPsPKlPlEEvT_T0_T1_T2_jjjjRNS5_12storage_typeE.num_vgpr, 53
	.set .L_ZN7rocprim17ROCPRIM_400000_NS6detail26segmented_warp_sort_helperINS1_20WarpSortHelperConfigILj32ELj4ELj256EEEslLi256ELb0EvE4sortIPKsPsPKlPlEEvT_T0_T1_T2_jjjjRNS5_12storage_typeE.num_agpr, 0
	.set .L_ZN7rocprim17ROCPRIM_400000_NS6detail26segmented_warp_sort_helperINS1_20WarpSortHelperConfigILj32ELj4ELj256EEEslLi256ELb0EvE4sortIPKsPsPKlPlEEvT_T0_T1_T2_jjjjRNS5_12storage_typeE.numbered_sgpr, 32
	.set .L_ZN7rocprim17ROCPRIM_400000_NS6detail26segmented_warp_sort_helperINS1_20WarpSortHelperConfigILj32ELj4ELj256EEEslLi256ELb0EvE4sortIPKsPsPKlPlEEvT_T0_T1_T2_jjjjRNS5_12storage_typeE.num_named_barrier, 0
	.set .L_ZN7rocprim17ROCPRIM_400000_NS6detail26segmented_warp_sort_helperINS1_20WarpSortHelperConfigILj32ELj4ELj256EEEslLi256ELb0EvE4sortIPKsPsPKlPlEEvT_T0_T1_T2_jjjjRNS5_12storage_typeE.private_seg_size, 0
	.set .L_ZN7rocprim17ROCPRIM_400000_NS6detail26segmented_warp_sort_helperINS1_20WarpSortHelperConfigILj32ELj4ELj256EEEslLi256ELb0EvE4sortIPKsPsPKlPlEEvT_T0_T1_T2_jjjjRNS5_12storage_typeE.uses_vcc, 1
	.set .L_ZN7rocprim17ROCPRIM_400000_NS6detail26segmented_warp_sort_helperINS1_20WarpSortHelperConfigILj32ELj4ELj256EEEslLi256ELb0EvE4sortIPKsPsPKlPlEEvT_T0_T1_T2_jjjjRNS5_12storage_typeE.uses_flat_scratch, 0
	.set .L_ZN7rocprim17ROCPRIM_400000_NS6detail26segmented_warp_sort_helperINS1_20WarpSortHelperConfigILj32ELj4ELj256EEEslLi256ELb0EvE4sortIPKsPsPKlPlEEvT_T0_T1_T2_jjjjRNS5_12storage_typeE.has_dyn_sized_stack, 0
	.set .L_ZN7rocprim17ROCPRIM_400000_NS6detail26segmented_warp_sort_helperINS1_20WarpSortHelperConfigILj32ELj4ELj256EEEslLi256ELb0EvE4sortIPKsPsPKlPlEEvT_T0_T1_T2_jjjjRNS5_12storage_typeE.has_recursion, 0
	.set .L_ZN7rocprim17ROCPRIM_400000_NS6detail26segmented_warp_sort_helperINS1_20WarpSortHelperConfigILj32ELj4ELj256EEEslLi256ELb0EvE4sortIPKsPsPKlPlEEvT_T0_T1_T2_jjjjRNS5_12storage_typeE.has_indirect_call, 0
	.section	.AMDGPU.csdata,"",@progbits
; Function info:
; codeLenInByte = 11808
; TotalNumSgprs: 34
; NumVgprs: 53
; ScratchSize: 0
; MemoryBound: 1
	.section	.text._ZN7rocprim17ROCPRIM_400000_NS6detail17trampoline_kernelINS0_14default_configENS1_36segmented_radix_sort_config_selectorIslEEZNS1_25segmented_radix_sort_implIS3_Lb0EPKsPsPKlPlN2at6native12_GLOBAL__N_18offset_tEEE10hipError_tPvRmT1_PNSt15iterator_traitsISK_E10value_typeET2_T3_PNSL_ISQ_E10value_typeET4_jRbjT5_SW_jjP12ihipStream_tbEUlT_E0_NS1_11comp_targetILNS1_3genE0ELNS1_11target_archE4294967295ELNS1_3gpuE0ELNS1_3repE0EEENS1_60segmented_radix_sort_warp_sort_medium_config_static_selectorELNS0_4arch9wavefront6targetE0EEEvSK_,"axG",@progbits,_ZN7rocprim17ROCPRIM_400000_NS6detail17trampoline_kernelINS0_14default_configENS1_36segmented_radix_sort_config_selectorIslEEZNS1_25segmented_radix_sort_implIS3_Lb0EPKsPsPKlPlN2at6native12_GLOBAL__N_18offset_tEEE10hipError_tPvRmT1_PNSt15iterator_traitsISK_E10value_typeET2_T3_PNSL_ISQ_E10value_typeET4_jRbjT5_SW_jjP12ihipStream_tbEUlT_E0_NS1_11comp_targetILNS1_3genE0ELNS1_11target_archE4294967295ELNS1_3gpuE0ELNS1_3repE0EEENS1_60segmented_radix_sort_warp_sort_medium_config_static_selectorELNS0_4arch9wavefront6targetE0EEEvSK_,comdat
	.globl	_ZN7rocprim17ROCPRIM_400000_NS6detail17trampoline_kernelINS0_14default_configENS1_36segmented_radix_sort_config_selectorIslEEZNS1_25segmented_radix_sort_implIS3_Lb0EPKsPsPKlPlN2at6native12_GLOBAL__N_18offset_tEEE10hipError_tPvRmT1_PNSt15iterator_traitsISK_E10value_typeET2_T3_PNSL_ISQ_E10value_typeET4_jRbjT5_SW_jjP12ihipStream_tbEUlT_E0_NS1_11comp_targetILNS1_3genE0ELNS1_11target_archE4294967295ELNS1_3gpuE0ELNS1_3repE0EEENS1_60segmented_radix_sort_warp_sort_medium_config_static_selectorELNS0_4arch9wavefront6targetE0EEEvSK_ ; -- Begin function _ZN7rocprim17ROCPRIM_400000_NS6detail17trampoline_kernelINS0_14default_configENS1_36segmented_radix_sort_config_selectorIslEEZNS1_25segmented_radix_sort_implIS3_Lb0EPKsPsPKlPlN2at6native12_GLOBAL__N_18offset_tEEE10hipError_tPvRmT1_PNSt15iterator_traitsISK_E10value_typeET2_T3_PNSL_ISQ_E10value_typeET4_jRbjT5_SW_jjP12ihipStream_tbEUlT_E0_NS1_11comp_targetILNS1_3genE0ELNS1_11target_archE4294967295ELNS1_3gpuE0ELNS1_3repE0EEENS1_60segmented_radix_sort_warp_sort_medium_config_static_selectorELNS0_4arch9wavefront6targetE0EEEvSK_
	.p2align	8
	.type	_ZN7rocprim17ROCPRIM_400000_NS6detail17trampoline_kernelINS0_14default_configENS1_36segmented_radix_sort_config_selectorIslEEZNS1_25segmented_radix_sort_implIS3_Lb0EPKsPsPKlPlN2at6native12_GLOBAL__N_18offset_tEEE10hipError_tPvRmT1_PNSt15iterator_traitsISK_E10value_typeET2_T3_PNSL_ISQ_E10value_typeET4_jRbjT5_SW_jjP12ihipStream_tbEUlT_E0_NS1_11comp_targetILNS1_3genE0ELNS1_11target_archE4294967295ELNS1_3gpuE0ELNS1_3repE0EEENS1_60segmented_radix_sort_warp_sort_medium_config_static_selectorELNS0_4arch9wavefront6targetE0EEEvSK_,@function
_ZN7rocprim17ROCPRIM_400000_NS6detail17trampoline_kernelINS0_14default_configENS1_36segmented_radix_sort_config_selectorIslEEZNS1_25segmented_radix_sort_implIS3_Lb0EPKsPsPKlPlN2at6native12_GLOBAL__N_18offset_tEEE10hipError_tPvRmT1_PNSt15iterator_traitsISK_E10value_typeET2_T3_PNSL_ISQ_E10value_typeET4_jRbjT5_SW_jjP12ihipStream_tbEUlT_E0_NS1_11comp_targetILNS1_3genE0ELNS1_11target_archE4294967295ELNS1_3gpuE0ELNS1_3repE0EEENS1_60segmented_radix_sort_warp_sort_medium_config_static_selectorELNS0_4arch9wavefront6targetE0EEEvSK_: ; @_ZN7rocprim17ROCPRIM_400000_NS6detail17trampoline_kernelINS0_14default_configENS1_36segmented_radix_sort_config_selectorIslEEZNS1_25segmented_radix_sort_implIS3_Lb0EPKsPsPKlPlN2at6native12_GLOBAL__N_18offset_tEEE10hipError_tPvRmT1_PNSt15iterator_traitsISK_E10value_typeET2_T3_PNSL_ISQ_E10value_typeET4_jRbjT5_SW_jjP12ihipStream_tbEUlT_E0_NS1_11comp_targetILNS1_3genE0ELNS1_11target_archE4294967295ELNS1_3gpuE0ELNS1_3repE0EEENS1_60segmented_radix_sort_warp_sort_medium_config_static_selectorELNS0_4arch9wavefront6targetE0EEEvSK_
; %bb.0:
	s_load_b32 s4, s[2:3], 0x64
	v_bfe_u32 v1, v0, 10, 10
	v_bfe_u32 v2, v0, 20, 10
	v_and_b32_e32 v3, 0x3ff, v0
	s_and_b32 s6, ttmp6, 15
	s_getreg_b32 s7, hwreg(HW_REG_IB_STS2, 6, 4)
	s_mov_b32 s32, 0
	s_wait_kmcnt 0x0
	s_lshr_b32 s5, s4, 16
	s_and_b32 s4, s4, 0xffff
	v_mad_u32_u24 v1, v2, s5, v1
	s_bfe_u32 s5, ttmp6, 0x4000c
	s_delay_alu instid0(SALU_CYCLE_1) | instskip(NEXT) | instid1(SALU_CYCLE_1)
	s_add_co_i32 s5, s5, 1
	s_mul_i32 s5, ttmp9, s5
	s_delay_alu instid0(VALU_DEP_1) | instskip(SKIP_4) | instid1(VALU_DEP_1)
	v_mad_u32 v1, v1, s4, v3
	s_load_b32 s4, s[2:3], 0x34
	s_add_co_i32 s6, s6, s5
	s_cmp_eq_u32 s7, 0
	s_cselect_b32 s5, ttmp9, s6
	v_lshrrev_b32_e32 v1, 5, v1
	s_delay_alu instid0(VALU_DEP_1) | instskip(SKIP_1) | instid1(VALU_DEP_1)
	v_lshl_add_u32 v1, s5, 3, v1
	s_wait_kmcnt 0x0
	v_cmp_gt_u32_e32 vcc_lo, s4, v1
	s_and_saveexec_b32 s4, vcc_lo
	s_cbranch_execz .LBB1020_6
; %bb.1:
	s_clause 0x1
	s_load_b64 s[8:9], s[2:3], 0x38
	s_load_b128 s[4:7], s[2:3], 0x40
	s_wait_kmcnt 0x0
	global_load_b32 v1, v1, s[8:9] scale_offset
	s_wait_loadcnt 0x0
	v_dual_add_nc_u32 v2, s5, v1 :: v_dual_add_nc_u32 v1, s7, v1
	s_delay_alu instid0(VALU_DEP_1) | instskip(NEXT) | instid1(VALU_DEP_2)
	v_mul_lo_u32 v8, v2, s4
	v_mul_lo_u32 v40, v1, s6
	s_delay_alu instid0(VALU_DEP_1)
	v_cmp_gt_u32_e32 vcc_lo, v40, v8
	s_and_b32 exec_lo, exec_lo, vcc_lo
	s_cbranch_execz .LBB1020_6
; %bb.2:
	s_clause 0x3
	s_load_b32 s4, s[2:3], 0x30
	s_load_b128 s[36:39], s[2:3], 0x20
	s_load_b256 s[20:27], s[2:3], 0x0
	s_load_b64 s[18:19], s[2:3], 0x50
	s_add_nc_u64 s[16:17], s[2:3], 0x58
	s_get_pc_i64 s[28:29]
	s_add_nc_u64 s[28:29], s[28:29], _ZN7rocprim17ROCPRIM_400000_NS6detail26segmented_warp_sort_helperINS1_20WarpSortHelperConfigILj32ELj4ELj256EEEslLi256ELb0EvE4sortIPKsPsPKlPlEEvT_T0_T1_T2_jjjjRNS5_12storage_typeE@rel64+4
	s_wait_kmcnt 0x0
	s_bitcmp0_b32 s4, 0
	s_mov_b32 s4, -1
	s_cbranch_scc0 .LBB1020_4
; %bb.3:
	s_mov_b64 s[2:3], src_shared_base
	v_dual_mov_b32 v31, v0 :: v_dual_mov_b32 v41, v0
	v_dual_mov_b32 v0, s20 :: v_dual_mov_b32 v1, s21
	;; [unrolled: 1-line block ×7, first 2 shown]
	v_mov_b32_e32 v13, s3
	s_mov_b64 s[6:7], s[0:1]
	s_mov_b64 s[8:9], s[16:17]
	;; [unrolled: 1-line block ×3, first 2 shown]
	s_swap_pc_i64 s[30:31], s[28:29]
	v_mov_b32_e32 v0, v41
	s_mov_b64 s[0:1], s[22:23]
	s_mov_b32 s4, 0
.LBB1020_4:
	s_delay_alu instid0(SALU_CYCLE_1)
	s_and_not1_b32 vcc_lo, exec_lo, s4
	s_cbranch_vccnz .LBB1020_6
; %bb.5:
	s_mov_b64 s[2:3], src_shared_base
	v_dual_mov_b32 v31, v0 :: v_dual_mov_b32 v0, s20
	v_dual_mov_b32 v1, s21 :: v_dual_mov_b32 v2, s24
	v_dual_mov_b32 v3, s25 :: v_dual_mov_b32 v4, s26
	v_dual_mov_b32 v5, s27 :: v_dual_mov_b32 v6, s38
	v_dual_mov_b32 v7, s39 :: v_dual_mov_b32 v9, v40
	v_dual_mov_b32 v10, s18 :: v_dual_mov_b32 v11, s19
	v_dual_mov_b32 v12, 0 :: v_dual_mov_b32 v13, s3
	s_mov_b64 s[6:7], s[0:1]
	s_mov_b64 s[8:9], s[16:17]
	s_swap_pc_i64 s[30:31], s[28:29]
.LBB1020_6:
	s_endpgm
	.section	.rodata,"a",@progbits
	.p2align	6, 0x0
	.amdhsa_kernel _ZN7rocprim17ROCPRIM_400000_NS6detail17trampoline_kernelINS0_14default_configENS1_36segmented_radix_sort_config_selectorIslEEZNS1_25segmented_radix_sort_implIS3_Lb0EPKsPsPKlPlN2at6native12_GLOBAL__N_18offset_tEEE10hipError_tPvRmT1_PNSt15iterator_traitsISK_E10value_typeET2_T3_PNSL_ISQ_E10value_typeET4_jRbjT5_SW_jjP12ihipStream_tbEUlT_E0_NS1_11comp_targetILNS1_3genE0ELNS1_11target_archE4294967295ELNS1_3gpuE0ELNS1_3repE0EEENS1_60segmented_radix_sort_warp_sort_medium_config_static_selectorELNS0_4arch9wavefront6targetE0EEEvSK_
		.amdhsa_group_segment_fixed_size 10240
		.amdhsa_private_segment_fixed_size 0
		.amdhsa_kernarg_size 344
		.amdhsa_user_sgpr_count 4
		.amdhsa_user_sgpr_dispatch_ptr 0
		.amdhsa_user_sgpr_queue_ptr 1
		.amdhsa_user_sgpr_kernarg_segment_ptr 1
		.amdhsa_user_sgpr_dispatch_id 0
		.amdhsa_user_sgpr_kernarg_preload_length 0
		.amdhsa_user_sgpr_kernarg_preload_offset 0
		.amdhsa_user_sgpr_private_segment_size 0
		.amdhsa_wavefront_size32 1
		.amdhsa_uses_dynamic_stack 0
		.amdhsa_enable_private_segment 0
		.amdhsa_system_sgpr_workgroup_id_x 1
		.amdhsa_system_sgpr_workgroup_id_y 1
		.amdhsa_system_sgpr_workgroup_id_z 0
		.amdhsa_system_sgpr_workgroup_info 0
		.amdhsa_system_vgpr_workitem_id 2
		.amdhsa_next_free_vgpr 53
		.amdhsa_next_free_sgpr 40
		.amdhsa_named_barrier_count 0
		.amdhsa_reserve_vcc 1
		.amdhsa_float_round_mode_32 0
		.amdhsa_float_round_mode_16_64 0
		.amdhsa_float_denorm_mode_32 3
		.amdhsa_float_denorm_mode_16_64 3
		.amdhsa_fp16_overflow 0
		.amdhsa_memory_ordered 1
		.amdhsa_forward_progress 1
		.amdhsa_inst_pref_size 4
		.amdhsa_round_robin_scheduling 0
		.amdhsa_exception_fp_ieee_invalid_op 0
		.amdhsa_exception_fp_denorm_src 0
		.amdhsa_exception_fp_ieee_div_zero 0
		.amdhsa_exception_fp_ieee_overflow 0
		.amdhsa_exception_fp_ieee_underflow 0
		.amdhsa_exception_fp_ieee_inexact 0
		.amdhsa_exception_int_div_zero 0
	.end_amdhsa_kernel
	.section	.text._ZN7rocprim17ROCPRIM_400000_NS6detail17trampoline_kernelINS0_14default_configENS1_36segmented_radix_sort_config_selectorIslEEZNS1_25segmented_radix_sort_implIS3_Lb0EPKsPsPKlPlN2at6native12_GLOBAL__N_18offset_tEEE10hipError_tPvRmT1_PNSt15iterator_traitsISK_E10value_typeET2_T3_PNSL_ISQ_E10value_typeET4_jRbjT5_SW_jjP12ihipStream_tbEUlT_E0_NS1_11comp_targetILNS1_3genE0ELNS1_11target_archE4294967295ELNS1_3gpuE0ELNS1_3repE0EEENS1_60segmented_radix_sort_warp_sort_medium_config_static_selectorELNS0_4arch9wavefront6targetE0EEEvSK_,"axG",@progbits,_ZN7rocprim17ROCPRIM_400000_NS6detail17trampoline_kernelINS0_14default_configENS1_36segmented_radix_sort_config_selectorIslEEZNS1_25segmented_radix_sort_implIS3_Lb0EPKsPsPKlPlN2at6native12_GLOBAL__N_18offset_tEEE10hipError_tPvRmT1_PNSt15iterator_traitsISK_E10value_typeET2_T3_PNSL_ISQ_E10value_typeET4_jRbjT5_SW_jjP12ihipStream_tbEUlT_E0_NS1_11comp_targetILNS1_3genE0ELNS1_11target_archE4294967295ELNS1_3gpuE0ELNS1_3repE0EEENS1_60segmented_radix_sort_warp_sort_medium_config_static_selectorELNS0_4arch9wavefront6targetE0EEEvSK_,comdat
.Lfunc_end1020:
	.size	_ZN7rocprim17ROCPRIM_400000_NS6detail17trampoline_kernelINS0_14default_configENS1_36segmented_radix_sort_config_selectorIslEEZNS1_25segmented_radix_sort_implIS3_Lb0EPKsPsPKlPlN2at6native12_GLOBAL__N_18offset_tEEE10hipError_tPvRmT1_PNSt15iterator_traitsISK_E10value_typeET2_T3_PNSL_ISQ_E10value_typeET4_jRbjT5_SW_jjP12ihipStream_tbEUlT_E0_NS1_11comp_targetILNS1_3genE0ELNS1_11target_archE4294967295ELNS1_3gpuE0ELNS1_3repE0EEENS1_60segmented_radix_sort_warp_sort_medium_config_static_selectorELNS0_4arch9wavefront6targetE0EEEvSK_, .Lfunc_end1020-_ZN7rocprim17ROCPRIM_400000_NS6detail17trampoline_kernelINS0_14default_configENS1_36segmented_radix_sort_config_selectorIslEEZNS1_25segmented_radix_sort_implIS3_Lb0EPKsPsPKlPlN2at6native12_GLOBAL__N_18offset_tEEE10hipError_tPvRmT1_PNSt15iterator_traitsISK_E10value_typeET2_T3_PNSL_ISQ_E10value_typeET4_jRbjT5_SW_jjP12ihipStream_tbEUlT_E0_NS1_11comp_targetILNS1_3genE0ELNS1_11target_archE4294967295ELNS1_3gpuE0ELNS1_3repE0EEENS1_60segmented_radix_sort_warp_sort_medium_config_static_selectorELNS0_4arch9wavefront6targetE0EEEvSK_
                                        ; -- End function
	.set _ZN7rocprim17ROCPRIM_400000_NS6detail17trampoline_kernelINS0_14default_configENS1_36segmented_radix_sort_config_selectorIslEEZNS1_25segmented_radix_sort_implIS3_Lb0EPKsPsPKlPlN2at6native12_GLOBAL__N_18offset_tEEE10hipError_tPvRmT1_PNSt15iterator_traitsISK_E10value_typeET2_T3_PNSL_ISQ_E10value_typeET4_jRbjT5_SW_jjP12ihipStream_tbEUlT_E0_NS1_11comp_targetILNS1_3genE0ELNS1_11target_archE4294967295ELNS1_3gpuE0ELNS1_3repE0EEENS1_60segmented_radix_sort_warp_sort_medium_config_static_selectorELNS0_4arch9wavefront6targetE0EEEvSK_.num_vgpr, max(42, .L_ZN7rocprim17ROCPRIM_400000_NS6detail26segmented_warp_sort_helperINS1_20WarpSortHelperConfigILj32ELj4ELj256EEEslLi256ELb0EvE4sortIPKsPsPKlPlEEvT_T0_T1_T2_jjjjRNS5_12storage_typeE.num_vgpr)
	.set _ZN7rocprim17ROCPRIM_400000_NS6detail17trampoline_kernelINS0_14default_configENS1_36segmented_radix_sort_config_selectorIslEEZNS1_25segmented_radix_sort_implIS3_Lb0EPKsPsPKlPlN2at6native12_GLOBAL__N_18offset_tEEE10hipError_tPvRmT1_PNSt15iterator_traitsISK_E10value_typeET2_T3_PNSL_ISQ_E10value_typeET4_jRbjT5_SW_jjP12ihipStream_tbEUlT_E0_NS1_11comp_targetILNS1_3genE0ELNS1_11target_archE4294967295ELNS1_3gpuE0ELNS1_3repE0EEENS1_60segmented_radix_sort_warp_sort_medium_config_static_selectorELNS0_4arch9wavefront6targetE0EEEvSK_.num_agpr, max(0, .L_ZN7rocprim17ROCPRIM_400000_NS6detail26segmented_warp_sort_helperINS1_20WarpSortHelperConfigILj32ELj4ELj256EEEslLi256ELb0EvE4sortIPKsPsPKlPlEEvT_T0_T1_T2_jjjjRNS5_12storage_typeE.num_agpr)
	.set _ZN7rocprim17ROCPRIM_400000_NS6detail17trampoline_kernelINS0_14default_configENS1_36segmented_radix_sort_config_selectorIslEEZNS1_25segmented_radix_sort_implIS3_Lb0EPKsPsPKlPlN2at6native12_GLOBAL__N_18offset_tEEE10hipError_tPvRmT1_PNSt15iterator_traitsISK_E10value_typeET2_T3_PNSL_ISQ_E10value_typeET4_jRbjT5_SW_jjP12ihipStream_tbEUlT_E0_NS1_11comp_targetILNS1_3genE0ELNS1_11target_archE4294967295ELNS1_3gpuE0ELNS1_3repE0EEENS1_60segmented_radix_sort_warp_sort_medium_config_static_selectorELNS0_4arch9wavefront6targetE0EEEvSK_.numbered_sgpr, max(40, .L_ZN7rocprim17ROCPRIM_400000_NS6detail26segmented_warp_sort_helperINS1_20WarpSortHelperConfigILj32ELj4ELj256EEEslLi256ELb0EvE4sortIPKsPsPKlPlEEvT_T0_T1_T2_jjjjRNS5_12storage_typeE.numbered_sgpr)
	.set _ZN7rocprim17ROCPRIM_400000_NS6detail17trampoline_kernelINS0_14default_configENS1_36segmented_radix_sort_config_selectorIslEEZNS1_25segmented_radix_sort_implIS3_Lb0EPKsPsPKlPlN2at6native12_GLOBAL__N_18offset_tEEE10hipError_tPvRmT1_PNSt15iterator_traitsISK_E10value_typeET2_T3_PNSL_ISQ_E10value_typeET4_jRbjT5_SW_jjP12ihipStream_tbEUlT_E0_NS1_11comp_targetILNS1_3genE0ELNS1_11target_archE4294967295ELNS1_3gpuE0ELNS1_3repE0EEENS1_60segmented_radix_sort_warp_sort_medium_config_static_selectorELNS0_4arch9wavefront6targetE0EEEvSK_.num_named_barrier, max(0, .L_ZN7rocprim17ROCPRIM_400000_NS6detail26segmented_warp_sort_helperINS1_20WarpSortHelperConfigILj32ELj4ELj256EEEslLi256ELb0EvE4sortIPKsPsPKlPlEEvT_T0_T1_T2_jjjjRNS5_12storage_typeE.num_named_barrier)
	.set _ZN7rocprim17ROCPRIM_400000_NS6detail17trampoline_kernelINS0_14default_configENS1_36segmented_radix_sort_config_selectorIslEEZNS1_25segmented_radix_sort_implIS3_Lb0EPKsPsPKlPlN2at6native12_GLOBAL__N_18offset_tEEE10hipError_tPvRmT1_PNSt15iterator_traitsISK_E10value_typeET2_T3_PNSL_ISQ_E10value_typeET4_jRbjT5_SW_jjP12ihipStream_tbEUlT_E0_NS1_11comp_targetILNS1_3genE0ELNS1_11target_archE4294967295ELNS1_3gpuE0ELNS1_3repE0EEENS1_60segmented_radix_sort_warp_sort_medium_config_static_selectorELNS0_4arch9wavefront6targetE0EEEvSK_.private_seg_size, 0+max(.L_ZN7rocprim17ROCPRIM_400000_NS6detail26segmented_warp_sort_helperINS1_20WarpSortHelperConfigILj32ELj4ELj256EEEslLi256ELb0EvE4sortIPKsPsPKlPlEEvT_T0_T1_T2_jjjjRNS5_12storage_typeE.private_seg_size)
	.set _ZN7rocprim17ROCPRIM_400000_NS6detail17trampoline_kernelINS0_14default_configENS1_36segmented_radix_sort_config_selectorIslEEZNS1_25segmented_radix_sort_implIS3_Lb0EPKsPsPKlPlN2at6native12_GLOBAL__N_18offset_tEEE10hipError_tPvRmT1_PNSt15iterator_traitsISK_E10value_typeET2_T3_PNSL_ISQ_E10value_typeET4_jRbjT5_SW_jjP12ihipStream_tbEUlT_E0_NS1_11comp_targetILNS1_3genE0ELNS1_11target_archE4294967295ELNS1_3gpuE0ELNS1_3repE0EEENS1_60segmented_radix_sort_warp_sort_medium_config_static_selectorELNS0_4arch9wavefront6targetE0EEEvSK_.uses_vcc, or(1, .L_ZN7rocprim17ROCPRIM_400000_NS6detail26segmented_warp_sort_helperINS1_20WarpSortHelperConfigILj32ELj4ELj256EEEslLi256ELb0EvE4sortIPKsPsPKlPlEEvT_T0_T1_T2_jjjjRNS5_12storage_typeE.uses_vcc)
	.set _ZN7rocprim17ROCPRIM_400000_NS6detail17trampoline_kernelINS0_14default_configENS1_36segmented_radix_sort_config_selectorIslEEZNS1_25segmented_radix_sort_implIS3_Lb0EPKsPsPKlPlN2at6native12_GLOBAL__N_18offset_tEEE10hipError_tPvRmT1_PNSt15iterator_traitsISK_E10value_typeET2_T3_PNSL_ISQ_E10value_typeET4_jRbjT5_SW_jjP12ihipStream_tbEUlT_E0_NS1_11comp_targetILNS1_3genE0ELNS1_11target_archE4294967295ELNS1_3gpuE0ELNS1_3repE0EEENS1_60segmented_radix_sort_warp_sort_medium_config_static_selectorELNS0_4arch9wavefront6targetE0EEEvSK_.uses_flat_scratch, or(0, .L_ZN7rocprim17ROCPRIM_400000_NS6detail26segmented_warp_sort_helperINS1_20WarpSortHelperConfigILj32ELj4ELj256EEEslLi256ELb0EvE4sortIPKsPsPKlPlEEvT_T0_T1_T2_jjjjRNS5_12storage_typeE.uses_flat_scratch)
	.set _ZN7rocprim17ROCPRIM_400000_NS6detail17trampoline_kernelINS0_14default_configENS1_36segmented_radix_sort_config_selectorIslEEZNS1_25segmented_radix_sort_implIS3_Lb0EPKsPsPKlPlN2at6native12_GLOBAL__N_18offset_tEEE10hipError_tPvRmT1_PNSt15iterator_traitsISK_E10value_typeET2_T3_PNSL_ISQ_E10value_typeET4_jRbjT5_SW_jjP12ihipStream_tbEUlT_E0_NS1_11comp_targetILNS1_3genE0ELNS1_11target_archE4294967295ELNS1_3gpuE0ELNS1_3repE0EEENS1_60segmented_radix_sort_warp_sort_medium_config_static_selectorELNS0_4arch9wavefront6targetE0EEEvSK_.has_dyn_sized_stack, or(0, .L_ZN7rocprim17ROCPRIM_400000_NS6detail26segmented_warp_sort_helperINS1_20WarpSortHelperConfigILj32ELj4ELj256EEEslLi256ELb0EvE4sortIPKsPsPKlPlEEvT_T0_T1_T2_jjjjRNS5_12storage_typeE.has_dyn_sized_stack)
	.set _ZN7rocprim17ROCPRIM_400000_NS6detail17trampoline_kernelINS0_14default_configENS1_36segmented_radix_sort_config_selectorIslEEZNS1_25segmented_radix_sort_implIS3_Lb0EPKsPsPKlPlN2at6native12_GLOBAL__N_18offset_tEEE10hipError_tPvRmT1_PNSt15iterator_traitsISK_E10value_typeET2_T3_PNSL_ISQ_E10value_typeET4_jRbjT5_SW_jjP12ihipStream_tbEUlT_E0_NS1_11comp_targetILNS1_3genE0ELNS1_11target_archE4294967295ELNS1_3gpuE0ELNS1_3repE0EEENS1_60segmented_radix_sort_warp_sort_medium_config_static_selectorELNS0_4arch9wavefront6targetE0EEEvSK_.has_recursion, or(0, .L_ZN7rocprim17ROCPRIM_400000_NS6detail26segmented_warp_sort_helperINS1_20WarpSortHelperConfigILj32ELj4ELj256EEEslLi256ELb0EvE4sortIPKsPsPKlPlEEvT_T0_T1_T2_jjjjRNS5_12storage_typeE.has_recursion)
	.set _ZN7rocprim17ROCPRIM_400000_NS6detail17trampoline_kernelINS0_14default_configENS1_36segmented_radix_sort_config_selectorIslEEZNS1_25segmented_radix_sort_implIS3_Lb0EPKsPsPKlPlN2at6native12_GLOBAL__N_18offset_tEEE10hipError_tPvRmT1_PNSt15iterator_traitsISK_E10value_typeET2_T3_PNSL_ISQ_E10value_typeET4_jRbjT5_SW_jjP12ihipStream_tbEUlT_E0_NS1_11comp_targetILNS1_3genE0ELNS1_11target_archE4294967295ELNS1_3gpuE0ELNS1_3repE0EEENS1_60segmented_radix_sort_warp_sort_medium_config_static_selectorELNS0_4arch9wavefront6targetE0EEEvSK_.has_indirect_call, or(0, .L_ZN7rocprim17ROCPRIM_400000_NS6detail26segmented_warp_sort_helperINS1_20WarpSortHelperConfigILj32ELj4ELj256EEEslLi256ELb0EvE4sortIPKsPsPKlPlEEvT_T0_T1_T2_jjjjRNS5_12storage_typeE.has_indirect_call)
	.section	.AMDGPU.csdata,"",@progbits
; Kernel info:
; codeLenInByte = 504
; TotalNumSgprs: 42
; NumVgprs: 53
; ScratchSize: 0
; MemoryBound: 0
; FloatMode: 240
; IeeeMode: 1
; LDSByteSize: 10240 bytes/workgroup (compile time only)
; SGPRBlocks: 0
; VGPRBlocks: 3
; NumSGPRsForWavesPerEU: 42
; NumVGPRsForWavesPerEU: 53
; NamedBarCnt: 0
; Occupancy: 16
; WaveLimiterHint : 0
; COMPUTE_PGM_RSRC2:SCRATCH_EN: 0
; COMPUTE_PGM_RSRC2:USER_SGPR: 4
; COMPUTE_PGM_RSRC2:TRAP_HANDLER: 0
; COMPUTE_PGM_RSRC2:TGID_X_EN: 1
; COMPUTE_PGM_RSRC2:TGID_Y_EN: 1
; COMPUTE_PGM_RSRC2:TGID_Z_EN: 0
; COMPUTE_PGM_RSRC2:TIDIG_COMP_CNT: 2
	.section	.text._ZN7rocprim17ROCPRIM_400000_NS6detail17trampoline_kernelINS0_14default_configENS1_36segmented_radix_sort_config_selectorIslEEZNS1_25segmented_radix_sort_implIS3_Lb0EPKsPsPKlPlN2at6native12_GLOBAL__N_18offset_tEEE10hipError_tPvRmT1_PNSt15iterator_traitsISK_E10value_typeET2_T3_PNSL_ISQ_E10value_typeET4_jRbjT5_SW_jjP12ihipStream_tbEUlT_E0_NS1_11comp_targetILNS1_3genE5ELNS1_11target_archE942ELNS1_3gpuE9ELNS1_3repE0EEENS1_60segmented_radix_sort_warp_sort_medium_config_static_selectorELNS0_4arch9wavefront6targetE0EEEvSK_,"axG",@progbits,_ZN7rocprim17ROCPRIM_400000_NS6detail17trampoline_kernelINS0_14default_configENS1_36segmented_radix_sort_config_selectorIslEEZNS1_25segmented_radix_sort_implIS3_Lb0EPKsPsPKlPlN2at6native12_GLOBAL__N_18offset_tEEE10hipError_tPvRmT1_PNSt15iterator_traitsISK_E10value_typeET2_T3_PNSL_ISQ_E10value_typeET4_jRbjT5_SW_jjP12ihipStream_tbEUlT_E0_NS1_11comp_targetILNS1_3genE5ELNS1_11target_archE942ELNS1_3gpuE9ELNS1_3repE0EEENS1_60segmented_radix_sort_warp_sort_medium_config_static_selectorELNS0_4arch9wavefront6targetE0EEEvSK_,comdat
	.globl	_ZN7rocprim17ROCPRIM_400000_NS6detail17trampoline_kernelINS0_14default_configENS1_36segmented_radix_sort_config_selectorIslEEZNS1_25segmented_radix_sort_implIS3_Lb0EPKsPsPKlPlN2at6native12_GLOBAL__N_18offset_tEEE10hipError_tPvRmT1_PNSt15iterator_traitsISK_E10value_typeET2_T3_PNSL_ISQ_E10value_typeET4_jRbjT5_SW_jjP12ihipStream_tbEUlT_E0_NS1_11comp_targetILNS1_3genE5ELNS1_11target_archE942ELNS1_3gpuE9ELNS1_3repE0EEENS1_60segmented_radix_sort_warp_sort_medium_config_static_selectorELNS0_4arch9wavefront6targetE0EEEvSK_ ; -- Begin function _ZN7rocprim17ROCPRIM_400000_NS6detail17trampoline_kernelINS0_14default_configENS1_36segmented_radix_sort_config_selectorIslEEZNS1_25segmented_radix_sort_implIS3_Lb0EPKsPsPKlPlN2at6native12_GLOBAL__N_18offset_tEEE10hipError_tPvRmT1_PNSt15iterator_traitsISK_E10value_typeET2_T3_PNSL_ISQ_E10value_typeET4_jRbjT5_SW_jjP12ihipStream_tbEUlT_E0_NS1_11comp_targetILNS1_3genE5ELNS1_11target_archE942ELNS1_3gpuE9ELNS1_3repE0EEENS1_60segmented_radix_sort_warp_sort_medium_config_static_selectorELNS0_4arch9wavefront6targetE0EEEvSK_
	.p2align	8
	.type	_ZN7rocprim17ROCPRIM_400000_NS6detail17trampoline_kernelINS0_14default_configENS1_36segmented_radix_sort_config_selectorIslEEZNS1_25segmented_radix_sort_implIS3_Lb0EPKsPsPKlPlN2at6native12_GLOBAL__N_18offset_tEEE10hipError_tPvRmT1_PNSt15iterator_traitsISK_E10value_typeET2_T3_PNSL_ISQ_E10value_typeET4_jRbjT5_SW_jjP12ihipStream_tbEUlT_E0_NS1_11comp_targetILNS1_3genE5ELNS1_11target_archE942ELNS1_3gpuE9ELNS1_3repE0EEENS1_60segmented_radix_sort_warp_sort_medium_config_static_selectorELNS0_4arch9wavefront6targetE0EEEvSK_,@function
_ZN7rocprim17ROCPRIM_400000_NS6detail17trampoline_kernelINS0_14default_configENS1_36segmented_radix_sort_config_selectorIslEEZNS1_25segmented_radix_sort_implIS3_Lb0EPKsPsPKlPlN2at6native12_GLOBAL__N_18offset_tEEE10hipError_tPvRmT1_PNSt15iterator_traitsISK_E10value_typeET2_T3_PNSL_ISQ_E10value_typeET4_jRbjT5_SW_jjP12ihipStream_tbEUlT_E0_NS1_11comp_targetILNS1_3genE5ELNS1_11target_archE942ELNS1_3gpuE9ELNS1_3repE0EEENS1_60segmented_radix_sort_warp_sort_medium_config_static_selectorELNS0_4arch9wavefront6targetE0EEEvSK_: ; @_ZN7rocprim17ROCPRIM_400000_NS6detail17trampoline_kernelINS0_14default_configENS1_36segmented_radix_sort_config_selectorIslEEZNS1_25segmented_radix_sort_implIS3_Lb0EPKsPsPKlPlN2at6native12_GLOBAL__N_18offset_tEEE10hipError_tPvRmT1_PNSt15iterator_traitsISK_E10value_typeET2_T3_PNSL_ISQ_E10value_typeET4_jRbjT5_SW_jjP12ihipStream_tbEUlT_E0_NS1_11comp_targetILNS1_3genE5ELNS1_11target_archE942ELNS1_3gpuE9ELNS1_3repE0EEENS1_60segmented_radix_sort_warp_sort_medium_config_static_selectorELNS0_4arch9wavefront6targetE0EEEvSK_
; %bb.0:
	.section	.rodata,"a",@progbits
	.p2align	6, 0x0
	.amdhsa_kernel _ZN7rocprim17ROCPRIM_400000_NS6detail17trampoline_kernelINS0_14default_configENS1_36segmented_radix_sort_config_selectorIslEEZNS1_25segmented_radix_sort_implIS3_Lb0EPKsPsPKlPlN2at6native12_GLOBAL__N_18offset_tEEE10hipError_tPvRmT1_PNSt15iterator_traitsISK_E10value_typeET2_T3_PNSL_ISQ_E10value_typeET4_jRbjT5_SW_jjP12ihipStream_tbEUlT_E0_NS1_11comp_targetILNS1_3genE5ELNS1_11target_archE942ELNS1_3gpuE9ELNS1_3repE0EEENS1_60segmented_radix_sort_warp_sort_medium_config_static_selectorELNS0_4arch9wavefront6targetE0EEEvSK_
		.amdhsa_group_segment_fixed_size 0
		.amdhsa_private_segment_fixed_size 0
		.amdhsa_kernarg_size 88
		.amdhsa_user_sgpr_count 2
		.amdhsa_user_sgpr_dispatch_ptr 0
		.amdhsa_user_sgpr_queue_ptr 0
		.amdhsa_user_sgpr_kernarg_segment_ptr 1
		.amdhsa_user_sgpr_dispatch_id 0
		.amdhsa_user_sgpr_kernarg_preload_length 0
		.amdhsa_user_sgpr_kernarg_preload_offset 0
		.amdhsa_user_sgpr_private_segment_size 0
		.amdhsa_wavefront_size32 1
		.amdhsa_uses_dynamic_stack 0
		.amdhsa_enable_private_segment 0
		.amdhsa_system_sgpr_workgroup_id_x 1
		.amdhsa_system_sgpr_workgroup_id_y 0
		.amdhsa_system_sgpr_workgroup_id_z 0
		.amdhsa_system_sgpr_workgroup_info 0
		.amdhsa_system_vgpr_workitem_id 0
		.amdhsa_next_free_vgpr 1
		.amdhsa_next_free_sgpr 1
		.amdhsa_named_barrier_count 0
		.amdhsa_reserve_vcc 0
		.amdhsa_float_round_mode_32 0
		.amdhsa_float_round_mode_16_64 0
		.amdhsa_float_denorm_mode_32 3
		.amdhsa_float_denorm_mode_16_64 3
		.amdhsa_fp16_overflow 0
		.amdhsa_memory_ordered 1
		.amdhsa_forward_progress 1
		.amdhsa_inst_pref_size 0
		.amdhsa_round_robin_scheduling 0
		.amdhsa_exception_fp_ieee_invalid_op 0
		.amdhsa_exception_fp_denorm_src 0
		.amdhsa_exception_fp_ieee_div_zero 0
		.amdhsa_exception_fp_ieee_overflow 0
		.amdhsa_exception_fp_ieee_underflow 0
		.amdhsa_exception_fp_ieee_inexact 0
		.amdhsa_exception_int_div_zero 0
	.end_amdhsa_kernel
	.section	.text._ZN7rocprim17ROCPRIM_400000_NS6detail17trampoline_kernelINS0_14default_configENS1_36segmented_radix_sort_config_selectorIslEEZNS1_25segmented_radix_sort_implIS3_Lb0EPKsPsPKlPlN2at6native12_GLOBAL__N_18offset_tEEE10hipError_tPvRmT1_PNSt15iterator_traitsISK_E10value_typeET2_T3_PNSL_ISQ_E10value_typeET4_jRbjT5_SW_jjP12ihipStream_tbEUlT_E0_NS1_11comp_targetILNS1_3genE5ELNS1_11target_archE942ELNS1_3gpuE9ELNS1_3repE0EEENS1_60segmented_radix_sort_warp_sort_medium_config_static_selectorELNS0_4arch9wavefront6targetE0EEEvSK_,"axG",@progbits,_ZN7rocprim17ROCPRIM_400000_NS6detail17trampoline_kernelINS0_14default_configENS1_36segmented_radix_sort_config_selectorIslEEZNS1_25segmented_radix_sort_implIS3_Lb0EPKsPsPKlPlN2at6native12_GLOBAL__N_18offset_tEEE10hipError_tPvRmT1_PNSt15iterator_traitsISK_E10value_typeET2_T3_PNSL_ISQ_E10value_typeET4_jRbjT5_SW_jjP12ihipStream_tbEUlT_E0_NS1_11comp_targetILNS1_3genE5ELNS1_11target_archE942ELNS1_3gpuE9ELNS1_3repE0EEENS1_60segmented_radix_sort_warp_sort_medium_config_static_selectorELNS0_4arch9wavefront6targetE0EEEvSK_,comdat
.Lfunc_end1021:
	.size	_ZN7rocprim17ROCPRIM_400000_NS6detail17trampoline_kernelINS0_14default_configENS1_36segmented_radix_sort_config_selectorIslEEZNS1_25segmented_radix_sort_implIS3_Lb0EPKsPsPKlPlN2at6native12_GLOBAL__N_18offset_tEEE10hipError_tPvRmT1_PNSt15iterator_traitsISK_E10value_typeET2_T3_PNSL_ISQ_E10value_typeET4_jRbjT5_SW_jjP12ihipStream_tbEUlT_E0_NS1_11comp_targetILNS1_3genE5ELNS1_11target_archE942ELNS1_3gpuE9ELNS1_3repE0EEENS1_60segmented_radix_sort_warp_sort_medium_config_static_selectorELNS0_4arch9wavefront6targetE0EEEvSK_, .Lfunc_end1021-_ZN7rocprim17ROCPRIM_400000_NS6detail17trampoline_kernelINS0_14default_configENS1_36segmented_radix_sort_config_selectorIslEEZNS1_25segmented_radix_sort_implIS3_Lb0EPKsPsPKlPlN2at6native12_GLOBAL__N_18offset_tEEE10hipError_tPvRmT1_PNSt15iterator_traitsISK_E10value_typeET2_T3_PNSL_ISQ_E10value_typeET4_jRbjT5_SW_jjP12ihipStream_tbEUlT_E0_NS1_11comp_targetILNS1_3genE5ELNS1_11target_archE942ELNS1_3gpuE9ELNS1_3repE0EEENS1_60segmented_radix_sort_warp_sort_medium_config_static_selectorELNS0_4arch9wavefront6targetE0EEEvSK_
                                        ; -- End function
	.set _ZN7rocprim17ROCPRIM_400000_NS6detail17trampoline_kernelINS0_14default_configENS1_36segmented_radix_sort_config_selectorIslEEZNS1_25segmented_radix_sort_implIS3_Lb0EPKsPsPKlPlN2at6native12_GLOBAL__N_18offset_tEEE10hipError_tPvRmT1_PNSt15iterator_traitsISK_E10value_typeET2_T3_PNSL_ISQ_E10value_typeET4_jRbjT5_SW_jjP12ihipStream_tbEUlT_E0_NS1_11comp_targetILNS1_3genE5ELNS1_11target_archE942ELNS1_3gpuE9ELNS1_3repE0EEENS1_60segmented_radix_sort_warp_sort_medium_config_static_selectorELNS0_4arch9wavefront6targetE0EEEvSK_.num_vgpr, 0
	.set _ZN7rocprim17ROCPRIM_400000_NS6detail17trampoline_kernelINS0_14default_configENS1_36segmented_radix_sort_config_selectorIslEEZNS1_25segmented_radix_sort_implIS3_Lb0EPKsPsPKlPlN2at6native12_GLOBAL__N_18offset_tEEE10hipError_tPvRmT1_PNSt15iterator_traitsISK_E10value_typeET2_T3_PNSL_ISQ_E10value_typeET4_jRbjT5_SW_jjP12ihipStream_tbEUlT_E0_NS1_11comp_targetILNS1_3genE5ELNS1_11target_archE942ELNS1_3gpuE9ELNS1_3repE0EEENS1_60segmented_radix_sort_warp_sort_medium_config_static_selectorELNS0_4arch9wavefront6targetE0EEEvSK_.num_agpr, 0
	.set _ZN7rocprim17ROCPRIM_400000_NS6detail17trampoline_kernelINS0_14default_configENS1_36segmented_radix_sort_config_selectorIslEEZNS1_25segmented_radix_sort_implIS3_Lb0EPKsPsPKlPlN2at6native12_GLOBAL__N_18offset_tEEE10hipError_tPvRmT1_PNSt15iterator_traitsISK_E10value_typeET2_T3_PNSL_ISQ_E10value_typeET4_jRbjT5_SW_jjP12ihipStream_tbEUlT_E0_NS1_11comp_targetILNS1_3genE5ELNS1_11target_archE942ELNS1_3gpuE9ELNS1_3repE0EEENS1_60segmented_radix_sort_warp_sort_medium_config_static_selectorELNS0_4arch9wavefront6targetE0EEEvSK_.numbered_sgpr, 0
	.set _ZN7rocprim17ROCPRIM_400000_NS6detail17trampoline_kernelINS0_14default_configENS1_36segmented_radix_sort_config_selectorIslEEZNS1_25segmented_radix_sort_implIS3_Lb0EPKsPsPKlPlN2at6native12_GLOBAL__N_18offset_tEEE10hipError_tPvRmT1_PNSt15iterator_traitsISK_E10value_typeET2_T3_PNSL_ISQ_E10value_typeET4_jRbjT5_SW_jjP12ihipStream_tbEUlT_E0_NS1_11comp_targetILNS1_3genE5ELNS1_11target_archE942ELNS1_3gpuE9ELNS1_3repE0EEENS1_60segmented_radix_sort_warp_sort_medium_config_static_selectorELNS0_4arch9wavefront6targetE0EEEvSK_.num_named_barrier, 0
	.set _ZN7rocprim17ROCPRIM_400000_NS6detail17trampoline_kernelINS0_14default_configENS1_36segmented_radix_sort_config_selectorIslEEZNS1_25segmented_radix_sort_implIS3_Lb0EPKsPsPKlPlN2at6native12_GLOBAL__N_18offset_tEEE10hipError_tPvRmT1_PNSt15iterator_traitsISK_E10value_typeET2_T3_PNSL_ISQ_E10value_typeET4_jRbjT5_SW_jjP12ihipStream_tbEUlT_E0_NS1_11comp_targetILNS1_3genE5ELNS1_11target_archE942ELNS1_3gpuE9ELNS1_3repE0EEENS1_60segmented_radix_sort_warp_sort_medium_config_static_selectorELNS0_4arch9wavefront6targetE0EEEvSK_.private_seg_size, 0
	.set _ZN7rocprim17ROCPRIM_400000_NS6detail17trampoline_kernelINS0_14default_configENS1_36segmented_radix_sort_config_selectorIslEEZNS1_25segmented_radix_sort_implIS3_Lb0EPKsPsPKlPlN2at6native12_GLOBAL__N_18offset_tEEE10hipError_tPvRmT1_PNSt15iterator_traitsISK_E10value_typeET2_T3_PNSL_ISQ_E10value_typeET4_jRbjT5_SW_jjP12ihipStream_tbEUlT_E0_NS1_11comp_targetILNS1_3genE5ELNS1_11target_archE942ELNS1_3gpuE9ELNS1_3repE0EEENS1_60segmented_radix_sort_warp_sort_medium_config_static_selectorELNS0_4arch9wavefront6targetE0EEEvSK_.uses_vcc, 0
	.set _ZN7rocprim17ROCPRIM_400000_NS6detail17trampoline_kernelINS0_14default_configENS1_36segmented_radix_sort_config_selectorIslEEZNS1_25segmented_radix_sort_implIS3_Lb0EPKsPsPKlPlN2at6native12_GLOBAL__N_18offset_tEEE10hipError_tPvRmT1_PNSt15iterator_traitsISK_E10value_typeET2_T3_PNSL_ISQ_E10value_typeET4_jRbjT5_SW_jjP12ihipStream_tbEUlT_E0_NS1_11comp_targetILNS1_3genE5ELNS1_11target_archE942ELNS1_3gpuE9ELNS1_3repE0EEENS1_60segmented_radix_sort_warp_sort_medium_config_static_selectorELNS0_4arch9wavefront6targetE0EEEvSK_.uses_flat_scratch, 0
	.set _ZN7rocprim17ROCPRIM_400000_NS6detail17trampoline_kernelINS0_14default_configENS1_36segmented_radix_sort_config_selectorIslEEZNS1_25segmented_radix_sort_implIS3_Lb0EPKsPsPKlPlN2at6native12_GLOBAL__N_18offset_tEEE10hipError_tPvRmT1_PNSt15iterator_traitsISK_E10value_typeET2_T3_PNSL_ISQ_E10value_typeET4_jRbjT5_SW_jjP12ihipStream_tbEUlT_E0_NS1_11comp_targetILNS1_3genE5ELNS1_11target_archE942ELNS1_3gpuE9ELNS1_3repE0EEENS1_60segmented_radix_sort_warp_sort_medium_config_static_selectorELNS0_4arch9wavefront6targetE0EEEvSK_.has_dyn_sized_stack, 0
	.set _ZN7rocprim17ROCPRIM_400000_NS6detail17trampoline_kernelINS0_14default_configENS1_36segmented_radix_sort_config_selectorIslEEZNS1_25segmented_radix_sort_implIS3_Lb0EPKsPsPKlPlN2at6native12_GLOBAL__N_18offset_tEEE10hipError_tPvRmT1_PNSt15iterator_traitsISK_E10value_typeET2_T3_PNSL_ISQ_E10value_typeET4_jRbjT5_SW_jjP12ihipStream_tbEUlT_E0_NS1_11comp_targetILNS1_3genE5ELNS1_11target_archE942ELNS1_3gpuE9ELNS1_3repE0EEENS1_60segmented_radix_sort_warp_sort_medium_config_static_selectorELNS0_4arch9wavefront6targetE0EEEvSK_.has_recursion, 0
	.set _ZN7rocprim17ROCPRIM_400000_NS6detail17trampoline_kernelINS0_14default_configENS1_36segmented_radix_sort_config_selectorIslEEZNS1_25segmented_radix_sort_implIS3_Lb0EPKsPsPKlPlN2at6native12_GLOBAL__N_18offset_tEEE10hipError_tPvRmT1_PNSt15iterator_traitsISK_E10value_typeET2_T3_PNSL_ISQ_E10value_typeET4_jRbjT5_SW_jjP12ihipStream_tbEUlT_E0_NS1_11comp_targetILNS1_3genE5ELNS1_11target_archE942ELNS1_3gpuE9ELNS1_3repE0EEENS1_60segmented_radix_sort_warp_sort_medium_config_static_selectorELNS0_4arch9wavefront6targetE0EEEvSK_.has_indirect_call, 0
	.section	.AMDGPU.csdata,"",@progbits
; Kernel info:
; codeLenInByte = 0
; TotalNumSgprs: 0
; NumVgprs: 0
; ScratchSize: 0
; MemoryBound: 0
; FloatMode: 240
; IeeeMode: 1
; LDSByteSize: 0 bytes/workgroup (compile time only)
; SGPRBlocks: 0
; VGPRBlocks: 0
; NumSGPRsForWavesPerEU: 1
; NumVGPRsForWavesPerEU: 1
; NamedBarCnt: 0
; Occupancy: 16
; WaveLimiterHint : 0
; COMPUTE_PGM_RSRC2:SCRATCH_EN: 0
; COMPUTE_PGM_RSRC2:USER_SGPR: 2
; COMPUTE_PGM_RSRC2:TRAP_HANDLER: 0
; COMPUTE_PGM_RSRC2:TGID_X_EN: 1
; COMPUTE_PGM_RSRC2:TGID_Y_EN: 0
; COMPUTE_PGM_RSRC2:TGID_Z_EN: 0
; COMPUTE_PGM_RSRC2:TIDIG_COMP_CNT: 0
	.section	.text._ZN7rocprim17ROCPRIM_400000_NS6detail17trampoline_kernelINS0_14default_configENS1_36segmented_radix_sort_config_selectorIslEEZNS1_25segmented_radix_sort_implIS3_Lb0EPKsPsPKlPlN2at6native12_GLOBAL__N_18offset_tEEE10hipError_tPvRmT1_PNSt15iterator_traitsISK_E10value_typeET2_T3_PNSL_ISQ_E10value_typeET4_jRbjT5_SW_jjP12ihipStream_tbEUlT_E0_NS1_11comp_targetILNS1_3genE4ELNS1_11target_archE910ELNS1_3gpuE8ELNS1_3repE0EEENS1_60segmented_radix_sort_warp_sort_medium_config_static_selectorELNS0_4arch9wavefront6targetE0EEEvSK_,"axG",@progbits,_ZN7rocprim17ROCPRIM_400000_NS6detail17trampoline_kernelINS0_14default_configENS1_36segmented_radix_sort_config_selectorIslEEZNS1_25segmented_radix_sort_implIS3_Lb0EPKsPsPKlPlN2at6native12_GLOBAL__N_18offset_tEEE10hipError_tPvRmT1_PNSt15iterator_traitsISK_E10value_typeET2_T3_PNSL_ISQ_E10value_typeET4_jRbjT5_SW_jjP12ihipStream_tbEUlT_E0_NS1_11comp_targetILNS1_3genE4ELNS1_11target_archE910ELNS1_3gpuE8ELNS1_3repE0EEENS1_60segmented_radix_sort_warp_sort_medium_config_static_selectorELNS0_4arch9wavefront6targetE0EEEvSK_,comdat
	.globl	_ZN7rocprim17ROCPRIM_400000_NS6detail17trampoline_kernelINS0_14default_configENS1_36segmented_radix_sort_config_selectorIslEEZNS1_25segmented_radix_sort_implIS3_Lb0EPKsPsPKlPlN2at6native12_GLOBAL__N_18offset_tEEE10hipError_tPvRmT1_PNSt15iterator_traitsISK_E10value_typeET2_T3_PNSL_ISQ_E10value_typeET4_jRbjT5_SW_jjP12ihipStream_tbEUlT_E0_NS1_11comp_targetILNS1_3genE4ELNS1_11target_archE910ELNS1_3gpuE8ELNS1_3repE0EEENS1_60segmented_radix_sort_warp_sort_medium_config_static_selectorELNS0_4arch9wavefront6targetE0EEEvSK_ ; -- Begin function _ZN7rocprim17ROCPRIM_400000_NS6detail17trampoline_kernelINS0_14default_configENS1_36segmented_radix_sort_config_selectorIslEEZNS1_25segmented_radix_sort_implIS3_Lb0EPKsPsPKlPlN2at6native12_GLOBAL__N_18offset_tEEE10hipError_tPvRmT1_PNSt15iterator_traitsISK_E10value_typeET2_T3_PNSL_ISQ_E10value_typeET4_jRbjT5_SW_jjP12ihipStream_tbEUlT_E0_NS1_11comp_targetILNS1_3genE4ELNS1_11target_archE910ELNS1_3gpuE8ELNS1_3repE0EEENS1_60segmented_radix_sort_warp_sort_medium_config_static_selectorELNS0_4arch9wavefront6targetE0EEEvSK_
	.p2align	8
	.type	_ZN7rocprim17ROCPRIM_400000_NS6detail17trampoline_kernelINS0_14default_configENS1_36segmented_radix_sort_config_selectorIslEEZNS1_25segmented_radix_sort_implIS3_Lb0EPKsPsPKlPlN2at6native12_GLOBAL__N_18offset_tEEE10hipError_tPvRmT1_PNSt15iterator_traitsISK_E10value_typeET2_T3_PNSL_ISQ_E10value_typeET4_jRbjT5_SW_jjP12ihipStream_tbEUlT_E0_NS1_11comp_targetILNS1_3genE4ELNS1_11target_archE910ELNS1_3gpuE8ELNS1_3repE0EEENS1_60segmented_radix_sort_warp_sort_medium_config_static_selectorELNS0_4arch9wavefront6targetE0EEEvSK_,@function
_ZN7rocprim17ROCPRIM_400000_NS6detail17trampoline_kernelINS0_14default_configENS1_36segmented_radix_sort_config_selectorIslEEZNS1_25segmented_radix_sort_implIS3_Lb0EPKsPsPKlPlN2at6native12_GLOBAL__N_18offset_tEEE10hipError_tPvRmT1_PNSt15iterator_traitsISK_E10value_typeET2_T3_PNSL_ISQ_E10value_typeET4_jRbjT5_SW_jjP12ihipStream_tbEUlT_E0_NS1_11comp_targetILNS1_3genE4ELNS1_11target_archE910ELNS1_3gpuE8ELNS1_3repE0EEENS1_60segmented_radix_sort_warp_sort_medium_config_static_selectorELNS0_4arch9wavefront6targetE0EEEvSK_: ; @_ZN7rocprim17ROCPRIM_400000_NS6detail17trampoline_kernelINS0_14default_configENS1_36segmented_radix_sort_config_selectorIslEEZNS1_25segmented_radix_sort_implIS3_Lb0EPKsPsPKlPlN2at6native12_GLOBAL__N_18offset_tEEE10hipError_tPvRmT1_PNSt15iterator_traitsISK_E10value_typeET2_T3_PNSL_ISQ_E10value_typeET4_jRbjT5_SW_jjP12ihipStream_tbEUlT_E0_NS1_11comp_targetILNS1_3genE4ELNS1_11target_archE910ELNS1_3gpuE8ELNS1_3repE0EEENS1_60segmented_radix_sort_warp_sort_medium_config_static_selectorELNS0_4arch9wavefront6targetE0EEEvSK_
; %bb.0:
	.section	.rodata,"a",@progbits
	.p2align	6, 0x0
	.amdhsa_kernel _ZN7rocprim17ROCPRIM_400000_NS6detail17trampoline_kernelINS0_14default_configENS1_36segmented_radix_sort_config_selectorIslEEZNS1_25segmented_radix_sort_implIS3_Lb0EPKsPsPKlPlN2at6native12_GLOBAL__N_18offset_tEEE10hipError_tPvRmT1_PNSt15iterator_traitsISK_E10value_typeET2_T3_PNSL_ISQ_E10value_typeET4_jRbjT5_SW_jjP12ihipStream_tbEUlT_E0_NS1_11comp_targetILNS1_3genE4ELNS1_11target_archE910ELNS1_3gpuE8ELNS1_3repE0EEENS1_60segmented_radix_sort_warp_sort_medium_config_static_selectorELNS0_4arch9wavefront6targetE0EEEvSK_
		.amdhsa_group_segment_fixed_size 0
		.amdhsa_private_segment_fixed_size 0
		.amdhsa_kernarg_size 88
		.amdhsa_user_sgpr_count 2
		.amdhsa_user_sgpr_dispatch_ptr 0
		.amdhsa_user_sgpr_queue_ptr 0
		.amdhsa_user_sgpr_kernarg_segment_ptr 1
		.amdhsa_user_sgpr_dispatch_id 0
		.amdhsa_user_sgpr_kernarg_preload_length 0
		.amdhsa_user_sgpr_kernarg_preload_offset 0
		.amdhsa_user_sgpr_private_segment_size 0
		.amdhsa_wavefront_size32 1
		.amdhsa_uses_dynamic_stack 0
		.amdhsa_enable_private_segment 0
		.amdhsa_system_sgpr_workgroup_id_x 1
		.amdhsa_system_sgpr_workgroup_id_y 0
		.amdhsa_system_sgpr_workgroup_id_z 0
		.amdhsa_system_sgpr_workgroup_info 0
		.amdhsa_system_vgpr_workitem_id 0
		.amdhsa_next_free_vgpr 1
		.amdhsa_next_free_sgpr 1
		.amdhsa_named_barrier_count 0
		.amdhsa_reserve_vcc 0
		.amdhsa_float_round_mode_32 0
		.amdhsa_float_round_mode_16_64 0
		.amdhsa_float_denorm_mode_32 3
		.amdhsa_float_denorm_mode_16_64 3
		.amdhsa_fp16_overflow 0
		.amdhsa_memory_ordered 1
		.amdhsa_forward_progress 1
		.amdhsa_inst_pref_size 0
		.amdhsa_round_robin_scheduling 0
		.amdhsa_exception_fp_ieee_invalid_op 0
		.amdhsa_exception_fp_denorm_src 0
		.amdhsa_exception_fp_ieee_div_zero 0
		.amdhsa_exception_fp_ieee_overflow 0
		.amdhsa_exception_fp_ieee_underflow 0
		.amdhsa_exception_fp_ieee_inexact 0
		.amdhsa_exception_int_div_zero 0
	.end_amdhsa_kernel
	.section	.text._ZN7rocprim17ROCPRIM_400000_NS6detail17trampoline_kernelINS0_14default_configENS1_36segmented_radix_sort_config_selectorIslEEZNS1_25segmented_radix_sort_implIS3_Lb0EPKsPsPKlPlN2at6native12_GLOBAL__N_18offset_tEEE10hipError_tPvRmT1_PNSt15iterator_traitsISK_E10value_typeET2_T3_PNSL_ISQ_E10value_typeET4_jRbjT5_SW_jjP12ihipStream_tbEUlT_E0_NS1_11comp_targetILNS1_3genE4ELNS1_11target_archE910ELNS1_3gpuE8ELNS1_3repE0EEENS1_60segmented_radix_sort_warp_sort_medium_config_static_selectorELNS0_4arch9wavefront6targetE0EEEvSK_,"axG",@progbits,_ZN7rocprim17ROCPRIM_400000_NS6detail17trampoline_kernelINS0_14default_configENS1_36segmented_radix_sort_config_selectorIslEEZNS1_25segmented_radix_sort_implIS3_Lb0EPKsPsPKlPlN2at6native12_GLOBAL__N_18offset_tEEE10hipError_tPvRmT1_PNSt15iterator_traitsISK_E10value_typeET2_T3_PNSL_ISQ_E10value_typeET4_jRbjT5_SW_jjP12ihipStream_tbEUlT_E0_NS1_11comp_targetILNS1_3genE4ELNS1_11target_archE910ELNS1_3gpuE8ELNS1_3repE0EEENS1_60segmented_radix_sort_warp_sort_medium_config_static_selectorELNS0_4arch9wavefront6targetE0EEEvSK_,comdat
.Lfunc_end1022:
	.size	_ZN7rocprim17ROCPRIM_400000_NS6detail17trampoline_kernelINS0_14default_configENS1_36segmented_radix_sort_config_selectorIslEEZNS1_25segmented_radix_sort_implIS3_Lb0EPKsPsPKlPlN2at6native12_GLOBAL__N_18offset_tEEE10hipError_tPvRmT1_PNSt15iterator_traitsISK_E10value_typeET2_T3_PNSL_ISQ_E10value_typeET4_jRbjT5_SW_jjP12ihipStream_tbEUlT_E0_NS1_11comp_targetILNS1_3genE4ELNS1_11target_archE910ELNS1_3gpuE8ELNS1_3repE0EEENS1_60segmented_radix_sort_warp_sort_medium_config_static_selectorELNS0_4arch9wavefront6targetE0EEEvSK_, .Lfunc_end1022-_ZN7rocprim17ROCPRIM_400000_NS6detail17trampoline_kernelINS0_14default_configENS1_36segmented_radix_sort_config_selectorIslEEZNS1_25segmented_radix_sort_implIS3_Lb0EPKsPsPKlPlN2at6native12_GLOBAL__N_18offset_tEEE10hipError_tPvRmT1_PNSt15iterator_traitsISK_E10value_typeET2_T3_PNSL_ISQ_E10value_typeET4_jRbjT5_SW_jjP12ihipStream_tbEUlT_E0_NS1_11comp_targetILNS1_3genE4ELNS1_11target_archE910ELNS1_3gpuE8ELNS1_3repE0EEENS1_60segmented_radix_sort_warp_sort_medium_config_static_selectorELNS0_4arch9wavefront6targetE0EEEvSK_
                                        ; -- End function
	.set _ZN7rocprim17ROCPRIM_400000_NS6detail17trampoline_kernelINS0_14default_configENS1_36segmented_radix_sort_config_selectorIslEEZNS1_25segmented_radix_sort_implIS3_Lb0EPKsPsPKlPlN2at6native12_GLOBAL__N_18offset_tEEE10hipError_tPvRmT1_PNSt15iterator_traitsISK_E10value_typeET2_T3_PNSL_ISQ_E10value_typeET4_jRbjT5_SW_jjP12ihipStream_tbEUlT_E0_NS1_11comp_targetILNS1_3genE4ELNS1_11target_archE910ELNS1_3gpuE8ELNS1_3repE0EEENS1_60segmented_radix_sort_warp_sort_medium_config_static_selectorELNS0_4arch9wavefront6targetE0EEEvSK_.num_vgpr, 0
	.set _ZN7rocprim17ROCPRIM_400000_NS6detail17trampoline_kernelINS0_14default_configENS1_36segmented_radix_sort_config_selectorIslEEZNS1_25segmented_radix_sort_implIS3_Lb0EPKsPsPKlPlN2at6native12_GLOBAL__N_18offset_tEEE10hipError_tPvRmT1_PNSt15iterator_traitsISK_E10value_typeET2_T3_PNSL_ISQ_E10value_typeET4_jRbjT5_SW_jjP12ihipStream_tbEUlT_E0_NS1_11comp_targetILNS1_3genE4ELNS1_11target_archE910ELNS1_3gpuE8ELNS1_3repE0EEENS1_60segmented_radix_sort_warp_sort_medium_config_static_selectorELNS0_4arch9wavefront6targetE0EEEvSK_.num_agpr, 0
	.set _ZN7rocprim17ROCPRIM_400000_NS6detail17trampoline_kernelINS0_14default_configENS1_36segmented_radix_sort_config_selectorIslEEZNS1_25segmented_radix_sort_implIS3_Lb0EPKsPsPKlPlN2at6native12_GLOBAL__N_18offset_tEEE10hipError_tPvRmT1_PNSt15iterator_traitsISK_E10value_typeET2_T3_PNSL_ISQ_E10value_typeET4_jRbjT5_SW_jjP12ihipStream_tbEUlT_E0_NS1_11comp_targetILNS1_3genE4ELNS1_11target_archE910ELNS1_3gpuE8ELNS1_3repE0EEENS1_60segmented_radix_sort_warp_sort_medium_config_static_selectorELNS0_4arch9wavefront6targetE0EEEvSK_.numbered_sgpr, 0
	.set _ZN7rocprim17ROCPRIM_400000_NS6detail17trampoline_kernelINS0_14default_configENS1_36segmented_radix_sort_config_selectorIslEEZNS1_25segmented_radix_sort_implIS3_Lb0EPKsPsPKlPlN2at6native12_GLOBAL__N_18offset_tEEE10hipError_tPvRmT1_PNSt15iterator_traitsISK_E10value_typeET2_T3_PNSL_ISQ_E10value_typeET4_jRbjT5_SW_jjP12ihipStream_tbEUlT_E0_NS1_11comp_targetILNS1_3genE4ELNS1_11target_archE910ELNS1_3gpuE8ELNS1_3repE0EEENS1_60segmented_radix_sort_warp_sort_medium_config_static_selectorELNS0_4arch9wavefront6targetE0EEEvSK_.num_named_barrier, 0
	.set _ZN7rocprim17ROCPRIM_400000_NS6detail17trampoline_kernelINS0_14default_configENS1_36segmented_radix_sort_config_selectorIslEEZNS1_25segmented_radix_sort_implIS3_Lb0EPKsPsPKlPlN2at6native12_GLOBAL__N_18offset_tEEE10hipError_tPvRmT1_PNSt15iterator_traitsISK_E10value_typeET2_T3_PNSL_ISQ_E10value_typeET4_jRbjT5_SW_jjP12ihipStream_tbEUlT_E0_NS1_11comp_targetILNS1_3genE4ELNS1_11target_archE910ELNS1_3gpuE8ELNS1_3repE0EEENS1_60segmented_radix_sort_warp_sort_medium_config_static_selectorELNS0_4arch9wavefront6targetE0EEEvSK_.private_seg_size, 0
	.set _ZN7rocprim17ROCPRIM_400000_NS6detail17trampoline_kernelINS0_14default_configENS1_36segmented_radix_sort_config_selectorIslEEZNS1_25segmented_radix_sort_implIS3_Lb0EPKsPsPKlPlN2at6native12_GLOBAL__N_18offset_tEEE10hipError_tPvRmT1_PNSt15iterator_traitsISK_E10value_typeET2_T3_PNSL_ISQ_E10value_typeET4_jRbjT5_SW_jjP12ihipStream_tbEUlT_E0_NS1_11comp_targetILNS1_3genE4ELNS1_11target_archE910ELNS1_3gpuE8ELNS1_3repE0EEENS1_60segmented_radix_sort_warp_sort_medium_config_static_selectorELNS0_4arch9wavefront6targetE0EEEvSK_.uses_vcc, 0
	.set _ZN7rocprim17ROCPRIM_400000_NS6detail17trampoline_kernelINS0_14default_configENS1_36segmented_radix_sort_config_selectorIslEEZNS1_25segmented_radix_sort_implIS3_Lb0EPKsPsPKlPlN2at6native12_GLOBAL__N_18offset_tEEE10hipError_tPvRmT1_PNSt15iterator_traitsISK_E10value_typeET2_T3_PNSL_ISQ_E10value_typeET4_jRbjT5_SW_jjP12ihipStream_tbEUlT_E0_NS1_11comp_targetILNS1_3genE4ELNS1_11target_archE910ELNS1_3gpuE8ELNS1_3repE0EEENS1_60segmented_radix_sort_warp_sort_medium_config_static_selectorELNS0_4arch9wavefront6targetE0EEEvSK_.uses_flat_scratch, 0
	.set _ZN7rocprim17ROCPRIM_400000_NS6detail17trampoline_kernelINS0_14default_configENS1_36segmented_radix_sort_config_selectorIslEEZNS1_25segmented_radix_sort_implIS3_Lb0EPKsPsPKlPlN2at6native12_GLOBAL__N_18offset_tEEE10hipError_tPvRmT1_PNSt15iterator_traitsISK_E10value_typeET2_T3_PNSL_ISQ_E10value_typeET4_jRbjT5_SW_jjP12ihipStream_tbEUlT_E0_NS1_11comp_targetILNS1_3genE4ELNS1_11target_archE910ELNS1_3gpuE8ELNS1_3repE0EEENS1_60segmented_radix_sort_warp_sort_medium_config_static_selectorELNS0_4arch9wavefront6targetE0EEEvSK_.has_dyn_sized_stack, 0
	.set _ZN7rocprim17ROCPRIM_400000_NS6detail17trampoline_kernelINS0_14default_configENS1_36segmented_radix_sort_config_selectorIslEEZNS1_25segmented_radix_sort_implIS3_Lb0EPKsPsPKlPlN2at6native12_GLOBAL__N_18offset_tEEE10hipError_tPvRmT1_PNSt15iterator_traitsISK_E10value_typeET2_T3_PNSL_ISQ_E10value_typeET4_jRbjT5_SW_jjP12ihipStream_tbEUlT_E0_NS1_11comp_targetILNS1_3genE4ELNS1_11target_archE910ELNS1_3gpuE8ELNS1_3repE0EEENS1_60segmented_radix_sort_warp_sort_medium_config_static_selectorELNS0_4arch9wavefront6targetE0EEEvSK_.has_recursion, 0
	.set _ZN7rocprim17ROCPRIM_400000_NS6detail17trampoline_kernelINS0_14default_configENS1_36segmented_radix_sort_config_selectorIslEEZNS1_25segmented_radix_sort_implIS3_Lb0EPKsPsPKlPlN2at6native12_GLOBAL__N_18offset_tEEE10hipError_tPvRmT1_PNSt15iterator_traitsISK_E10value_typeET2_T3_PNSL_ISQ_E10value_typeET4_jRbjT5_SW_jjP12ihipStream_tbEUlT_E0_NS1_11comp_targetILNS1_3genE4ELNS1_11target_archE910ELNS1_3gpuE8ELNS1_3repE0EEENS1_60segmented_radix_sort_warp_sort_medium_config_static_selectorELNS0_4arch9wavefront6targetE0EEEvSK_.has_indirect_call, 0
	.section	.AMDGPU.csdata,"",@progbits
; Kernel info:
; codeLenInByte = 0
; TotalNumSgprs: 0
; NumVgprs: 0
; ScratchSize: 0
; MemoryBound: 0
; FloatMode: 240
; IeeeMode: 1
; LDSByteSize: 0 bytes/workgroup (compile time only)
; SGPRBlocks: 0
; VGPRBlocks: 0
; NumSGPRsForWavesPerEU: 1
; NumVGPRsForWavesPerEU: 1
; NamedBarCnt: 0
; Occupancy: 16
; WaveLimiterHint : 0
; COMPUTE_PGM_RSRC2:SCRATCH_EN: 0
; COMPUTE_PGM_RSRC2:USER_SGPR: 2
; COMPUTE_PGM_RSRC2:TRAP_HANDLER: 0
; COMPUTE_PGM_RSRC2:TGID_X_EN: 1
; COMPUTE_PGM_RSRC2:TGID_Y_EN: 0
; COMPUTE_PGM_RSRC2:TGID_Z_EN: 0
; COMPUTE_PGM_RSRC2:TIDIG_COMP_CNT: 0
	.section	.text._ZN7rocprim17ROCPRIM_400000_NS6detail17trampoline_kernelINS0_14default_configENS1_36segmented_radix_sort_config_selectorIslEEZNS1_25segmented_radix_sort_implIS3_Lb0EPKsPsPKlPlN2at6native12_GLOBAL__N_18offset_tEEE10hipError_tPvRmT1_PNSt15iterator_traitsISK_E10value_typeET2_T3_PNSL_ISQ_E10value_typeET4_jRbjT5_SW_jjP12ihipStream_tbEUlT_E0_NS1_11comp_targetILNS1_3genE3ELNS1_11target_archE908ELNS1_3gpuE7ELNS1_3repE0EEENS1_60segmented_radix_sort_warp_sort_medium_config_static_selectorELNS0_4arch9wavefront6targetE0EEEvSK_,"axG",@progbits,_ZN7rocprim17ROCPRIM_400000_NS6detail17trampoline_kernelINS0_14default_configENS1_36segmented_radix_sort_config_selectorIslEEZNS1_25segmented_radix_sort_implIS3_Lb0EPKsPsPKlPlN2at6native12_GLOBAL__N_18offset_tEEE10hipError_tPvRmT1_PNSt15iterator_traitsISK_E10value_typeET2_T3_PNSL_ISQ_E10value_typeET4_jRbjT5_SW_jjP12ihipStream_tbEUlT_E0_NS1_11comp_targetILNS1_3genE3ELNS1_11target_archE908ELNS1_3gpuE7ELNS1_3repE0EEENS1_60segmented_radix_sort_warp_sort_medium_config_static_selectorELNS0_4arch9wavefront6targetE0EEEvSK_,comdat
	.globl	_ZN7rocprim17ROCPRIM_400000_NS6detail17trampoline_kernelINS0_14default_configENS1_36segmented_radix_sort_config_selectorIslEEZNS1_25segmented_radix_sort_implIS3_Lb0EPKsPsPKlPlN2at6native12_GLOBAL__N_18offset_tEEE10hipError_tPvRmT1_PNSt15iterator_traitsISK_E10value_typeET2_T3_PNSL_ISQ_E10value_typeET4_jRbjT5_SW_jjP12ihipStream_tbEUlT_E0_NS1_11comp_targetILNS1_3genE3ELNS1_11target_archE908ELNS1_3gpuE7ELNS1_3repE0EEENS1_60segmented_radix_sort_warp_sort_medium_config_static_selectorELNS0_4arch9wavefront6targetE0EEEvSK_ ; -- Begin function _ZN7rocprim17ROCPRIM_400000_NS6detail17trampoline_kernelINS0_14default_configENS1_36segmented_radix_sort_config_selectorIslEEZNS1_25segmented_radix_sort_implIS3_Lb0EPKsPsPKlPlN2at6native12_GLOBAL__N_18offset_tEEE10hipError_tPvRmT1_PNSt15iterator_traitsISK_E10value_typeET2_T3_PNSL_ISQ_E10value_typeET4_jRbjT5_SW_jjP12ihipStream_tbEUlT_E0_NS1_11comp_targetILNS1_3genE3ELNS1_11target_archE908ELNS1_3gpuE7ELNS1_3repE0EEENS1_60segmented_radix_sort_warp_sort_medium_config_static_selectorELNS0_4arch9wavefront6targetE0EEEvSK_
	.p2align	8
	.type	_ZN7rocprim17ROCPRIM_400000_NS6detail17trampoline_kernelINS0_14default_configENS1_36segmented_radix_sort_config_selectorIslEEZNS1_25segmented_radix_sort_implIS3_Lb0EPKsPsPKlPlN2at6native12_GLOBAL__N_18offset_tEEE10hipError_tPvRmT1_PNSt15iterator_traitsISK_E10value_typeET2_T3_PNSL_ISQ_E10value_typeET4_jRbjT5_SW_jjP12ihipStream_tbEUlT_E0_NS1_11comp_targetILNS1_3genE3ELNS1_11target_archE908ELNS1_3gpuE7ELNS1_3repE0EEENS1_60segmented_radix_sort_warp_sort_medium_config_static_selectorELNS0_4arch9wavefront6targetE0EEEvSK_,@function
_ZN7rocprim17ROCPRIM_400000_NS6detail17trampoline_kernelINS0_14default_configENS1_36segmented_radix_sort_config_selectorIslEEZNS1_25segmented_radix_sort_implIS3_Lb0EPKsPsPKlPlN2at6native12_GLOBAL__N_18offset_tEEE10hipError_tPvRmT1_PNSt15iterator_traitsISK_E10value_typeET2_T3_PNSL_ISQ_E10value_typeET4_jRbjT5_SW_jjP12ihipStream_tbEUlT_E0_NS1_11comp_targetILNS1_3genE3ELNS1_11target_archE908ELNS1_3gpuE7ELNS1_3repE0EEENS1_60segmented_radix_sort_warp_sort_medium_config_static_selectorELNS0_4arch9wavefront6targetE0EEEvSK_: ; @_ZN7rocprim17ROCPRIM_400000_NS6detail17trampoline_kernelINS0_14default_configENS1_36segmented_radix_sort_config_selectorIslEEZNS1_25segmented_radix_sort_implIS3_Lb0EPKsPsPKlPlN2at6native12_GLOBAL__N_18offset_tEEE10hipError_tPvRmT1_PNSt15iterator_traitsISK_E10value_typeET2_T3_PNSL_ISQ_E10value_typeET4_jRbjT5_SW_jjP12ihipStream_tbEUlT_E0_NS1_11comp_targetILNS1_3genE3ELNS1_11target_archE908ELNS1_3gpuE7ELNS1_3repE0EEENS1_60segmented_radix_sort_warp_sort_medium_config_static_selectorELNS0_4arch9wavefront6targetE0EEEvSK_
; %bb.0:
	.section	.rodata,"a",@progbits
	.p2align	6, 0x0
	.amdhsa_kernel _ZN7rocprim17ROCPRIM_400000_NS6detail17trampoline_kernelINS0_14default_configENS1_36segmented_radix_sort_config_selectorIslEEZNS1_25segmented_radix_sort_implIS3_Lb0EPKsPsPKlPlN2at6native12_GLOBAL__N_18offset_tEEE10hipError_tPvRmT1_PNSt15iterator_traitsISK_E10value_typeET2_T3_PNSL_ISQ_E10value_typeET4_jRbjT5_SW_jjP12ihipStream_tbEUlT_E0_NS1_11comp_targetILNS1_3genE3ELNS1_11target_archE908ELNS1_3gpuE7ELNS1_3repE0EEENS1_60segmented_radix_sort_warp_sort_medium_config_static_selectorELNS0_4arch9wavefront6targetE0EEEvSK_
		.amdhsa_group_segment_fixed_size 0
		.amdhsa_private_segment_fixed_size 0
		.amdhsa_kernarg_size 88
		.amdhsa_user_sgpr_count 2
		.amdhsa_user_sgpr_dispatch_ptr 0
		.amdhsa_user_sgpr_queue_ptr 0
		.amdhsa_user_sgpr_kernarg_segment_ptr 1
		.amdhsa_user_sgpr_dispatch_id 0
		.amdhsa_user_sgpr_kernarg_preload_length 0
		.amdhsa_user_sgpr_kernarg_preload_offset 0
		.amdhsa_user_sgpr_private_segment_size 0
		.amdhsa_wavefront_size32 1
		.amdhsa_uses_dynamic_stack 0
		.amdhsa_enable_private_segment 0
		.amdhsa_system_sgpr_workgroup_id_x 1
		.amdhsa_system_sgpr_workgroup_id_y 0
		.amdhsa_system_sgpr_workgroup_id_z 0
		.amdhsa_system_sgpr_workgroup_info 0
		.amdhsa_system_vgpr_workitem_id 0
		.amdhsa_next_free_vgpr 1
		.amdhsa_next_free_sgpr 1
		.amdhsa_named_barrier_count 0
		.amdhsa_reserve_vcc 0
		.amdhsa_float_round_mode_32 0
		.amdhsa_float_round_mode_16_64 0
		.amdhsa_float_denorm_mode_32 3
		.amdhsa_float_denorm_mode_16_64 3
		.amdhsa_fp16_overflow 0
		.amdhsa_memory_ordered 1
		.amdhsa_forward_progress 1
		.amdhsa_inst_pref_size 0
		.amdhsa_round_robin_scheduling 0
		.amdhsa_exception_fp_ieee_invalid_op 0
		.amdhsa_exception_fp_denorm_src 0
		.amdhsa_exception_fp_ieee_div_zero 0
		.amdhsa_exception_fp_ieee_overflow 0
		.amdhsa_exception_fp_ieee_underflow 0
		.amdhsa_exception_fp_ieee_inexact 0
		.amdhsa_exception_int_div_zero 0
	.end_amdhsa_kernel
	.section	.text._ZN7rocprim17ROCPRIM_400000_NS6detail17trampoline_kernelINS0_14default_configENS1_36segmented_radix_sort_config_selectorIslEEZNS1_25segmented_radix_sort_implIS3_Lb0EPKsPsPKlPlN2at6native12_GLOBAL__N_18offset_tEEE10hipError_tPvRmT1_PNSt15iterator_traitsISK_E10value_typeET2_T3_PNSL_ISQ_E10value_typeET4_jRbjT5_SW_jjP12ihipStream_tbEUlT_E0_NS1_11comp_targetILNS1_3genE3ELNS1_11target_archE908ELNS1_3gpuE7ELNS1_3repE0EEENS1_60segmented_radix_sort_warp_sort_medium_config_static_selectorELNS0_4arch9wavefront6targetE0EEEvSK_,"axG",@progbits,_ZN7rocprim17ROCPRIM_400000_NS6detail17trampoline_kernelINS0_14default_configENS1_36segmented_radix_sort_config_selectorIslEEZNS1_25segmented_radix_sort_implIS3_Lb0EPKsPsPKlPlN2at6native12_GLOBAL__N_18offset_tEEE10hipError_tPvRmT1_PNSt15iterator_traitsISK_E10value_typeET2_T3_PNSL_ISQ_E10value_typeET4_jRbjT5_SW_jjP12ihipStream_tbEUlT_E0_NS1_11comp_targetILNS1_3genE3ELNS1_11target_archE908ELNS1_3gpuE7ELNS1_3repE0EEENS1_60segmented_radix_sort_warp_sort_medium_config_static_selectorELNS0_4arch9wavefront6targetE0EEEvSK_,comdat
.Lfunc_end1023:
	.size	_ZN7rocprim17ROCPRIM_400000_NS6detail17trampoline_kernelINS0_14default_configENS1_36segmented_radix_sort_config_selectorIslEEZNS1_25segmented_radix_sort_implIS3_Lb0EPKsPsPKlPlN2at6native12_GLOBAL__N_18offset_tEEE10hipError_tPvRmT1_PNSt15iterator_traitsISK_E10value_typeET2_T3_PNSL_ISQ_E10value_typeET4_jRbjT5_SW_jjP12ihipStream_tbEUlT_E0_NS1_11comp_targetILNS1_3genE3ELNS1_11target_archE908ELNS1_3gpuE7ELNS1_3repE0EEENS1_60segmented_radix_sort_warp_sort_medium_config_static_selectorELNS0_4arch9wavefront6targetE0EEEvSK_, .Lfunc_end1023-_ZN7rocprim17ROCPRIM_400000_NS6detail17trampoline_kernelINS0_14default_configENS1_36segmented_radix_sort_config_selectorIslEEZNS1_25segmented_radix_sort_implIS3_Lb0EPKsPsPKlPlN2at6native12_GLOBAL__N_18offset_tEEE10hipError_tPvRmT1_PNSt15iterator_traitsISK_E10value_typeET2_T3_PNSL_ISQ_E10value_typeET4_jRbjT5_SW_jjP12ihipStream_tbEUlT_E0_NS1_11comp_targetILNS1_3genE3ELNS1_11target_archE908ELNS1_3gpuE7ELNS1_3repE0EEENS1_60segmented_radix_sort_warp_sort_medium_config_static_selectorELNS0_4arch9wavefront6targetE0EEEvSK_
                                        ; -- End function
	.set _ZN7rocprim17ROCPRIM_400000_NS6detail17trampoline_kernelINS0_14default_configENS1_36segmented_radix_sort_config_selectorIslEEZNS1_25segmented_radix_sort_implIS3_Lb0EPKsPsPKlPlN2at6native12_GLOBAL__N_18offset_tEEE10hipError_tPvRmT1_PNSt15iterator_traitsISK_E10value_typeET2_T3_PNSL_ISQ_E10value_typeET4_jRbjT5_SW_jjP12ihipStream_tbEUlT_E0_NS1_11comp_targetILNS1_3genE3ELNS1_11target_archE908ELNS1_3gpuE7ELNS1_3repE0EEENS1_60segmented_radix_sort_warp_sort_medium_config_static_selectorELNS0_4arch9wavefront6targetE0EEEvSK_.num_vgpr, 0
	.set _ZN7rocprim17ROCPRIM_400000_NS6detail17trampoline_kernelINS0_14default_configENS1_36segmented_radix_sort_config_selectorIslEEZNS1_25segmented_radix_sort_implIS3_Lb0EPKsPsPKlPlN2at6native12_GLOBAL__N_18offset_tEEE10hipError_tPvRmT1_PNSt15iterator_traitsISK_E10value_typeET2_T3_PNSL_ISQ_E10value_typeET4_jRbjT5_SW_jjP12ihipStream_tbEUlT_E0_NS1_11comp_targetILNS1_3genE3ELNS1_11target_archE908ELNS1_3gpuE7ELNS1_3repE0EEENS1_60segmented_radix_sort_warp_sort_medium_config_static_selectorELNS0_4arch9wavefront6targetE0EEEvSK_.num_agpr, 0
	.set _ZN7rocprim17ROCPRIM_400000_NS6detail17trampoline_kernelINS0_14default_configENS1_36segmented_radix_sort_config_selectorIslEEZNS1_25segmented_radix_sort_implIS3_Lb0EPKsPsPKlPlN2at6native12_GLOBAL__N_18offset_tEEE10hipError_tPvRmT1_PNSt15iterator_traitsISK_E10value_typeET2_T3_PNSL_ISQ_E10value_typeET4_jRbjT5_SW_jjP12ihipStream_tbEUlT_E0_NS1_11comp_targetILNS1_3genE3ELNS1_11target_archE908ELNS1_3gpuE7ELNS1_3repE0EEENS1_60segmented_radix_sort_warp_sort_medium_config_static_selectorELNS0_4arch9wavefront6targetE0EEEvSK_.numbered_sgpr, 0
	.set _ZN7rocprim17ROCPRIM_400000_NS6detail17trampoline_kernelINS0_14default_configENS1_36segmented_radix_sort_config_selectorIslEEZNS1_25segmented_radix_sort_implIS3_Lb0EPKsPsPKlPlN2at6native12_GLOBAL__N_18offset_tEEE10hipError_tPvRmT1_PNSt15iterator_traitsISK_E10value_typeET2_T3_PNSL_ISQ_E10value_typeET4_jRbjT5_SW_jjP12ihipStream_tbEUlT_E0_NS1_11comp_targetILNS1_3genE3ELNS1_11target_archE908ELNS1_3gpuE7ELNS1_3repE0EEENS1_60segmented_radix_sort_warp_sort_medium_config_static_selectorELNS0_4arch9wavefront6targetE0EEEvSK_.num_named_barrier, 0
	.set _ZN7rocprim17ROCPRIM_400000_NS6detail17trampoline_kernelINS0_14default_configENS1_36segmented_radix_sort_config_selectorIslEEZNS1_25segmented_radix_sort_implIS3_Lb0EPKsPsPKlPlN2at6native12_GLOBAL__N_18offset_tEEE10hipError_tPvRmT1_PNSt15iterator_traitsISK_E10value_typeET2_T3_PNSL_ISQ_E10value_typeET4_jRbjT5_SW_jjP12ihipStream_tbEUlT_E0_NS1_11comp_targetILNS1_3genE3ELNS1_11target_archE908ELNS1_3gpuE7ELNS1_3repE0EEENS1_60segmented_radix_sort_warp_sort_medium_config_static_selectorELNS0_4arch9wavefront6targetE0EEEvSK_.private_seg_size, 0
	.set _ZN7rocprim17ROCPRIM_400000_NS6detail17trampoline_kernelINS0_14default_configENS1_36segmented_radix_sort_config_selectorIslEEZNS1_25segmented_radix_sort_implIS3_Lb0EPKsPsPKlPlN2at6native12_GLOBAL__N_18offset_tEEE10hipError_tPvRmT1_PNSt15iterator_traitsISK_E10value_typeET2_T3_PNSL_ISQ_E10value_typeET4_jRbjT5_SW_jjP12ihipStream_tbEUlT_E0_NS1_11comp_targetILNS1_3genE3ELNS1_11target_archE908ELNS1_3gpuE7ELNS1_3repE0EEENS1_60segmented_radix_sort_warp_sort_medium_config_static_selectorELNS0_4arch9wavefront6targetE0EEEvSK_.uses_vcc, 0
	.set _ZN7rocprim17ROCPRIM_400000_NS6detail17trampoline_kernelINS0_14default_configENS1_36segmented_radix_sort_config_selectorIslEEZNS1_25segmented_radix_sort_implIS3_Lb0EPKsPsPKlPlN2at6native12_GLOBAL__N_18offset_tEEE10hipError_tPvRmT1_PNSt15iterator_traitsISK_E10value_typeET2_T3_PNSL_ISQ_E10value_typeET4_jRbjT5_SW_jjP12ihipStream_tbEUlT_E0_NS1_11comp_targetILNS1_3genE3ELNS1_11target_archE908ELNS1_3gpuE7ELNS1_3repE0EEENS1_60segmented_radix_sort_warp_sort_medium_config_static_selectorELNS0_4arch9wavefront6targetE0EEEvSK_.uses_flat_scratch, 0
	.set _ZN7rocprim17ROCPRIM_400000_NS6detail17trampoline_kernelINS0_14default_configENS1_36segmented_radix_sort_config_selectorIslEEZNS1_25segmented_radix_sort_implIS3_Lb0EPKsPsPKlPlN2at6native12_GLOBAL__N_18offset_tEEE10hipError_tPvRmT1_PNSt15iterator_traitsISK_E10value_typeET2_T3_PNSL_ISQ_E10value_typeET4_jRbjT5_SW_jjP12ihipStream_tbEUlT_E0_NS1_11comp_targetILNS1_3genE3ELNS1_11target_archE908ELNS1_3gpuE7ELNS1_3repE0EEENS1_60segmented_radix_sort_warp_sort_medium_config_static_selectorELNS0_4arch9wavefront6targetE0EEEvSK_.has_dyn_sized_stack, 0
	.set _ZN7rocprim17ROCPRIM_400000_NS6detail17trampoline_kernelINS0_14default_configENS1_36segmented_radix_sort_config_selectorIslEEZNS1_25segmented_radix_sort_implIS3_Lb0EPKsPsPKlPlN2at6native12_GLOBAL__N_18offset_tEEE10hipError_tPvRmT1_PNSt15iterator_traitsISK_E10value_typeET2_T3_PNSL_ISQ_E10value_typeET4_jRbjT5_SW_jjP12ihipStream_tbEUlT_E0_NS1_11comp_targetILNS1_3genE3ELNS1_11target_archE908ELNS1_3gpuE7ELNS1_3repE0EEENS1_60segmented_radix_sort_warp_sort_medium_config_static_selectorELNS0_4arch9wavefront6targetE0EEEvSK_.has_recursion, 0
	.set _ZN7rocprim17ROCPRIM_400000_NS6detail17trampoline_kernelINS0_14default_configENS1_36segmented_radix_sort_config_selectorIslEEZNS1_25segmented_radix_sort_implIS3_Lb0EPKsPsPKlPlN2at6native12_GLOBAL__N_18offset_tEEE10hipError_tPvRmT1_PNSt15iterator_traitsISK_E10value_typeET2_T3_PNSL_ISQ_E10value_typeET4_jRbjT5_SW_jjP12ihipStream_tbEUlT_E0_NS1_11comp_targetILNS1_3genE3ELNS1_11target_archE908ELNS1_3gpuE7ELNS1_3repE0EEENS1_60segmented_radix_sort_warp_sort_medium_config_static_selectorELNS0_4arch9wavefront6targetE0EEEvSK_.has_indirect_call, 0
	.section	.AMDGPU.csdata,"",@progbits
; Kernel info:
; codeLenInByte = 0
; TotalNumSgprs: 0
; NumVgprs: 0
; ScratchSize: 0
; MemoryBound: 0
; FloatMode: 240
; IeeeMode: 1
; LDSByteSize: 0 bytes/workgroup (compile time only)
; SGPRBlocks: 0
; VGPRBlocks: 0
; NumSGPRsForWavesPerEU: 1
; NumVGPRsForWavesPerEU: 1
; NamedBarCnt: 0
; Occupancy: 16
; WaveLimiterHint : 0
; COMPUTE_PGM_RSRC2:SCRATCH_EN: 0
; COMPUTE_PGM_RSRC2:USER_SGPR: 2
; COMPUTE_PGM_RSRC2:TRAP_HANDLER: 0
; COMPUTE_PGM_RSRC2:TGID_X_EN: 1
; COMPUTE_PGM_RSRC2:TGID_Y_EN: 0
; COMPUTE_PGM_RSRC2:TGID_Z_EN: 0
; COMPUTE_PGM_RSRC2:TIDIG_COMP_CNT: 0
	.section	.text._ZN7rocprim17ROCPRIM_400000_NS6detail17trampoline_kernelINS0_14default_configENS1_36segmented_radix_sort_config_selectorIslEEZNS1_25segmented_radix_sort_implIS3_Lb0EPKsPsPKlPlN2at6native12_GLOBAL__N_18offset_tEEE10hipError_tPvRmT1_PNSt15iterator_traitsISK_E10value_typeET2_T3_PNSL_ISQ_E10value_typeET4_jRbjT5_SW_jjP12ihipStream_tbEUlT_E0_NS1_11comp_targetILNS1_3genE2ELNS1_11target_archE906ELNS1_3gpuE6ELNS1_3repE0EEENS1_60segmented_radix_sort_warp_sort_medium_config_static_selectorELNS0_4arch9wavefront6targetE0EEEvSK_,"axG",@progbits,_ZN7rocprim17ROCPRIM_400000_NS6detail17trampoline_kernelINS0_14default_configENS1_36segmented_radix_sort_config_selectorIslEEZNS1_25segmented_radix_sort_implIS3_Lb0EPKsPsPKlPlN2at6native12_GLOBAL__N_18offset_tEEE10hipError_tPvRmT1_PNSt15iterator_traitsISK_E10value_typeET2_T3_PNSL_ISQ_E10value_typeET4_jRbjT5_SW_jjP12ihipStream_tbEUlT_E0_NS1_11comp_targetILNS1_3genE2ELNS1_11target_archE906ELNS1_3gpuE6ELNS1_3repE0EEENS1_60segmented_radix_sort_warp_sort_medium_config_static_selectorELNS0_4arch9wavefront6targetE0EEEvSK_,comdat
	.globl	_ZN7rocprim17ROCPRIM_400000_NS6detail17trampoline_kernelINS0_14default_configENS1_36segmented_radix_sort_config_selectorIslEEZNS1_25segmented_radix_sort_implIS3_Lb0EPKsPsPKlPlN2at6native12_GLOBAL__N_18offset_tEEE10hipError_tPvRmT1_PNSt15iterator_traitsISK_E10value_typeET2_T3_PNSL_ISQ_E10value_typeET4_jRbjT5_SW_jjP12ihipStream_tbEUlT_E0_NS1_11comp_targetILNS1_3genE2ELNS1_11target_archE906ELNS1_3gpuE6ELNS1_3repE0EEENS1_60segmented_radix_sort_warp_sort_medium_config_static_selectorELNS0_4arch9wavefront6targetE0EEEvSK_ ; -- Begin function _ZN7rocprim17ROCPRIM_400000_NS6detail17trampoline_kernelINS0_14default_configENS1_36segmented_radix_sort_config_selectorIslEEZNS1_25segmented_radix_sort_implIS3_Lb0EPKsPsPKlPlN2at6native12_GLOBAL__N_18offset_tEEE10hipError_tPvRmT1_PNSt15iterator_traitsISK_E10value_typeET2_T3_PNSL_ISQ_E10value_typeET4_jRbjT5_SW_jjP12ihipStream_tbEUlT_E0_NS1_11comp_targetILNS1_3genE2ELNS1_11target_archE906ELNS1_3gpuE6ELNS1_3repE0EEENS1_60segmented_radix_sort_warp_sort_medium_config_static_selectorELNS0_4arch9wavefront6targetE0EEEvSK_
	.p2align	8
	.type	_ZN7rocprim17ROCPRIM_400000_NS6detail17trampoline_kernelINS0_14default_configENS1_36segmented_radix_sort_config_selectorIslEEZNS1_25segmented_radix_sort_implIS3_Lb0EPKsPsPKlPlN2at6native12_GLOBAL__N_18offset_tEEE10hipError_tPvRmT1_PNSt15iterator_traitsISK_E10value_typeET2_T3_PNSL_ISQ_E10value_typeET4_jRbjT5_SW_jjP12ihipStream_tbEUlT_E0_NS1_11comp_targetILNS1_3genE2ELNS1_11target_archE906ELNS1_3gpuE6ELNS1_3repE0EEENS1_60segmented_radix_sort_warp_sort_medium_config_static_selectorELNS0_4arch9wavefront6targetE0EEEvSK_,@function
_ZN7rocprim17ROCPRIM_400000_NS6detail17trampoline_kernelINS0_14default_configENS1_36segmented_radix_sort_config_selectorIslEEZNS1_25segmented_radix_sort_implIS3_Lb0EPKsPsPKlPlN2at6native12_GLOBAL__N_18offset_tEEE10hipError_tPvRmT1_PNSt15iterator_traitsISK_E10value_typeET2_T3_PNSL_ISQ_E10value_typeET4_jRbjT5_SW_jjP12ihipStream_tbEUlT_E0_NS1_11comp_targetILNS1_3genE2ELNS1_11target_archE906ELNS1_3gpuE6ELNS1_3repE0EEENS1_60segmented_radix_sort_warp_sort_medium_config_static_selectorELNS0_4arch9wavefront6targetE0EEEvSK_: ; @_ZN7rocprim17ROCPRIM_400000_NS6detail17trampoline_kernelINS0_14default_configENS1_36segmented_radix_sort_config_selectorIslEEZNS1_25segmented_radix_sort_implIS3_Lb0EPKsPsPKlPlN2at6native12_GLOBAL__N_18offset_tEEE10hipError_tPvRmT1_PNSt15iterator_traitsISK_E10value_typeET2_T3_PNSL_ISQ_E10value_typeET4_jRbjT5_SW_jjP12ihipStream_tbEUlT_E0_NS1_11comp_targetILNS1_3genE2ELNS1_11target_archE906ELNS1_3gpuE6ELNS1_3repE0EEENS1_60segmented_radix_sort_warp_sort_medium_config_static_selectorELNS0_4arch9wavefront6targetE0EEEvSK_
; %bb.0:
	.section	.rodata,"a",@progbits
	.p2align	6, 0x0
	.amdhsa_kernel _ZN7rocprim17ROCPRIM_400000_NS6detail17trampoline_kernelINS0_14default_configENS1_36segmented_radix_sort_config_selectorIslEEZNS1_25segmented_radix_sort_implIS3_Lb0EPKsPsPKlPlN2at6native12_GLOBAL__N_18offset_tEEE10hipError_tPvRmT1_PNSt15iterator_traitsISK_E10value_typeET2_T3_PNSL_ISQ_E10value_typeET4_jRbjT5_SW_jjP12ihipStream_tbEUlT_E0_NS1_11comp_targetILNS1_3genE2ELNS1_11target_archE906ELNS1_3gpuE6ELNS1_3repE0EEENS1_60segmented_radix_sort_warp_sort_medium_config_static_selectorELNS0_4arch9wavefront6targetE0EEEvSK_
		.amdhsa_group_segment_fixed_size 0
		.amdhsa_private_segment_fixed_size 0
		.amdhsa_kernarg_size 88
		.amdhsa_user_sgpr_count 2
		.amdhsa_user_sgpr_dispatch_ptr 0
		.amdhsa_user_sgpr_queue_ptr 0
		.amdhsa_user_sgpr_kernarg_segment_ptr 1
		.amdhsa_user_sgpr_dispatch_id 0
		.amdhsa_user_sgpr_kernarg_preload_length 0
		.amdhsa_user_sgpr_kernarg_preload_offset 0
		.amdhsa_user_sgpr_private_segment_size 0
		.amdhsa_wavefront_size32 1
		.amdhsa_uses_dynamic_stack 0
		.amdhsa_enable_private_segment 0
		.amdhsa_system_sgpr_workgroup_id_x 1
		.amdhsa_system_sgpr_workgroup_id_y 0
		.amdhsa_system_sgpr_workgroup_id_z 0
		.amdhsa_system_sgpr_workgroup_info 0
		.amdhsa_system_vgpr_workitem_id 0
		.amdhsa_next_free_vgpr 1
		.amdhsa_next_free_sgpr 1
		.amdhsa_named_barrier_count 0
		.amdhsa_reserve_vcc 0
		.amdhsa_float_round_mode_32 0
		.amdhsa_float_round_mode_16_64 0
		.amdhsa_float_denorm_mode_32 3
		.amdhsa_float_denorm_mode_16_64 3
		.amdhsa_fp16_overflow 0
		.amdhsa_memory_ordered 1
		.amdhsa_forward_progress 1
		.amdhsa_inst_pref_size 0
		.amdhsa_round_robin_scheduling 0
		.amdhsa_exception_fp_ieee_invalid_op 0
		.amdhsa_exception_fp_denorm_src 0
		.amdhsa_exception_fp_ieee_div_zero 0
		.amdhsa_exception_fp_ieee_overflow 0
		.amdhsa_exception_fp_ieee_underflow 0
		.amdhsa_exception_fp_ieee_inexact 0
		.amdhsa_exception_int_div_zero 0
	.end_amdhsa_kernel
	.section	.text._ZN7rocprim17ROCPRIM_400000_NS6detail17trampoline_kernelINS0_14default_configENS1_36segmented_radix_sort_config_selectorIslEEZNS1_25segmented_radix_sort_implIS3_Lb0EPKsPsPKlPlN2at6native12_GLOBAL__N_18offset_tEEE10hipError_tPvRmT1_PNSt15iterator_traitsISK_E10value_typeET2_T3_PNSL_ISQ_E10value_typeET4_jRbjT5_SW_jjP12ihipStream_tbEUlT_E0_NS1_11comp_targetILNS1_3genE2ELNS1_11target_archE906ELNS1_3gpuE6ELNS1_3repE0EEENS1_60segmented_radix_sort_warp_sort_medium_config_static_selectorELNS0_4arch9wavefront6targetE0EEEvSK_,"axG",@progbits,_ZN7rocprim17ROCPRIM_400000_NS6detail17trampoline_kernelINS0_14default_configENS1_36segmented_radix_sort_config_selectorIslEEZNS1_25segmented_radix_sort_implIS3_Lb0EPKsPsPKlPlN2at6native12_GLOBAL__N_18offset_tEEE10hipError_tPvRmT1_PNSt15iterator_traitsISK_E10value_typeET2_T3_PNSL_ISQ_E10value_typeET4_jRbjT5_SW_jjP12ihipStream_tbEUlT_E0_NS1_11comp_targetILNS1_3genE2ELNS1_11target_archE906ELNS1_3gpuE6ELNS1_3repE0EEENS1_60segmented_radix_sort_warp_sort_medium_config_static_selectorELNS0_4arch9wavefront6targetE0EEEvSK_,comdat
.Lfunc_end1024:
	.size	_ZN7rocprim17ROCPRIM_400000_NS6detail17trampoline_kernelINS0_14default_configENS1_36segmented_radix_sort_config_selectorIslEEZNS1_25segmented_radix_sort_implIS3_Lb0EPKsPsPKlPlN2at6native12_GLOBAL__N_18offset_tEEE10hipError_tPvRmT1_PNSt15iterator_traitsISK_E10value_typeET2_T3_PNSL_ISQ_E10value_typeET4_jRbjT5_SW_jjP12ihipStream_tbEUlT_E0_NS1_11comp_targetILNS1_3genE2ELNS1_11target_archE906ELNS1_3gpuE6ELNS1_3repE0EEENS1_60segmented_radix_sort_warp_sort_medium_config_static_selectorELNS0_4arch9wavefront6targetE0EEEvSK_, .Lfunc_end1024-_ZN7rocprim17ROCPRIM_400000_NS6detail17trampoline_kernelINS0_14default_configENS1_36segmented_radix_sort_config_selectorIslEEZNS1_25segmented_radix_sort_implIS3_Lb0EPKsPsPKlPlN2at6native12_GLOBAL__N_18offset_tEEE10hipError_tPvRmT1_PNSt15iterator_traitsISK_E10value_typeET2_T3_PNSL_ISQ_E10value_typeET4_jRbjT5_SW_jjP12ihipStream_tbEUlT_E0_NS1_11comp_targetILNS1_3genE2ELNS1_11target_archE906ELNS1_3gpuE6ELNS1_3repE0EEENS1_60segmented_radix_sort_warp_sort_medium_config_static_selectorELNS0_4arch9wavefront6targetE0EEEvSK_
                                        ; -- End function
	.set _ZN7rocprim17ROCPRIM_400000_NS6detail17trampoline_kernelINS0_14default_configENS1_36segmented_radix_sort_config_selectorIslEEZNS1_25segmented_radix_sort_implIS3_Lb0EPKsPsPKlPlN2at6native12_GLOBAL__N_18offset_tEEE10hipError_tPvRmT1_PNSt15iterator_traitsISK_E10value_typeET2_T3_PNSL_ISQ_E10value_typeET4_jRbjT5_SW_jjP12ihipStream_tbEUlT_E0_NS1_11comp_targetILNS1_3genE2ELNS1_11target_archE906ELNS1_3gpuE6ELNS1_3repE0EEENS1_60segmented_radix_sort_warp_sort_medium_config_static_selectorELNS0_4arch9wavefront6targetE0EEEvSK_.num_vgpr, 0
	.set _ZN7rocprim17ROCPRIM_400000_NS6detail17trampoline_kernelINS0_14default_configENS1_36segmented_radix_sort_config_selectorIslEEZNS1_25segmented_radix_sort_implIS3_Lb0EPKsPsPKlPlN2at6native12_GLOBAL__N_18offset_tEEE10hipError_tPvRmT1_PNSt15iterator_traitsISK_E10value_typeET2_T3_PNSL_ISQ_E10value_typeET4_jRbjT5_SW_jjP12ihipStream_tbEUlT_E0_NS1_11comp_targetILNS1_3genE2ELNS1_11target_archE906ELNS1_3gpuE6ELNS1_3repE0EEENS1_60segmented_radix_sort_warp_sort_medium_config_static_selectorELNS0_4arch9wavefront6targetE0EEEvSK_.num_agpr, 0
	.set _ZN7rocprim17ROCPRIM_400000_NS6detail17trampoline_kernelINS0_14default_configENS1_36segmented_radix_sort_config_selectorIslEEZNS1_25segmented_radix_sort_implIS3_Lb0EPKsPsPKlPlN2at6native12_GLOBAL__N_18offset_tEEE10hipError_tPvRmT1_PNSt15iterator_traitsISK_E10value_typeET2_T3_PNSL_ISQ_E10value_typeET4_jRbjT5_SW_jjP12ihipStream_tbEUlT_E0_NS1_11comp_targetILNS1_3genE2ELNS1_11target_archE906ELNS1_3gpuE6ELNS1_3repE0EEENS1_60segmented_radix_sort_warp_sort_medium_config_static_selectorELNS0_4arch9wavefront6targetE0EEEvSK_.numbered_sgpr, 0
	.set _ZN7rocprim17ROCPRIM_400000_NS6detail17trampoline_kernelINS0_14default_configENS1_36segmented_radix_sort_config_selectorIslEEZNS1_25segmented_radix_sort_implIS3_Lb0EPKsPsPKlPlN2at6native12_GLOBAL__N_18offset_tEEE10hipError_tPvRmT1_PNSt15iterator_traitsISK_E10value_typeET2_T3_PNSL_ISQ_E10value_typeET4_jRbjT5_SW_jjP12ihipStream_tbEUlT_E0_NS1_11comp_targetILNS1_3genE2ELNS1_11target_archE906ELNS1_3gpuE6ELNS1_3repE0EEENS1_60segmented_radix_sort_warp_sort_medium_config_static_selectorELNS0_4arch9wavefront6targetE0EEEvSK_.num_named_barrier, 0
	.set _ZN7rocprim17ROCPRIM_400000_NS6detail17trampoline_kernelINS0_14default_configENS1_36segmented_radix_sort_config_selectorIslEEZNS1_25segmented_radix_sort_implIS3_Lb0EPKsPsPKlPlN2at6native12_GLOBAL__N_18offset_tEEE10hipError_tPvRmT1_PNSt15iterator_traitsISK_E10value_typeET2_T3_PNSL_ISQ_E10value_typeET4_jRbjT5_SW_jjP12ihipStream_tbEUlT_E0_NS1_11comp_targetILNS1_3genE2ELNS1_11target_archE906ELNS1_3gpuE6ELNS1_3repE0EEENS1_60segmented_radix_sort_warp_sort_medium_config_static_selectorELNS0_4arch9wavefront6targetE0EEEvSK_.private_seg_size, 0
	.set _ZN7rocprim17ROCPRIM_400000_NS6detail17trampoline_kernelINS0_14default_configENS1_36segmented_radix_sort_config_selectorIslEEZNS1_25segmented_radix_sort_implIS3_Lb0EPKsPsPKlPlN2at6native12_GLOBAL__N_18offset_tEEE10hipError_tPvRmT1_PNSt15iterator_traitsISK_E10value_typeET2_T3_PNSL_ISQ_E10value_typeET4_jRbjT5_SW_jjP12ihipStream_tbEUlT_E0_NS1_11comp_targetILNS1_3genE2ELNS1_11target_archE906ELNS1_3gpuE6ELNS1_3repE0EEENS1_60segmented_radix_sort_warp_sort_medium_config_static_selectorELNS0_4arch9wavefront6targetE0EEEvSK_.uses_vcc, 0
	.set _ZN7rocprim17ROCPRIM_400000_NS6detail17trampoline_kernelINS0_14default_configENS1_36segmented_radix_sort_config_selectorIslEEZNS1_25segmented_radix_sort_implIS3_Lb0EPKsPsPKlPlN2at6native12_GLOBAL__N_18offset_tEEE10hipError_tPvRmT1_PNSt15iterator_traitsISK_E10value_typeET2_T3_PNSL_ISQ_E10value_typeET4_jRbjT5_SW_jjP12ihipStream_tbEUlT_E0_NS1_11comp_targetILNS1_3genE2ELNS1_11target_archE906ELNS1_3gpuE6ELNS1_3repE0EEENS1_60segmented_radix_sort_warp_sort_medium_config_static_selectorELNS0_4arch9wavefront6targetE0EEEvSK_.uses_flat_scratch, 0
	.set _ZN7rocprim17ROCPRIM_400000_NS6detail17trampoline_kernelINS0_14default_configENS1_36segmented_radix_sort_config_selectorIslEEZNS1_25segmented_radix_sort_implIS3_Lb0EPKsPsPKlPlN2at6native12_GLOBAL__N_18offset_tEEE10hipError_tPvRmT1_PNSt15iterator_traitsISK_E10value_typeET2_T3_PNSL_ISQ_E10value_typeET4_jRbjT5_SW_jjP12ihipStream_tbEUlT_E0_NS1_11comp_targetILNS1_3genE2ELNS1_11target_archE906ELNS1_3gpuE6ELNS1_3repE0EEENS1_60segmented_radix_sort_warp_sort_medium_config_static_selectorELNS0_4arch9wavefront6targetE0EEEvSK_.has_dyn_sized_stack, 0
	.set _ZN7rocprim17ROCPRIM_400000_NS6detail17trampoline_kernelINS0_14default_configENS1_36segmented_radix_sort_config_selectorIslEEZNS1_25segmented_radix_sort_implIS3_Lb0EPKsPsPKlPlN2at6native12_GLOBAL__N_18offset_tEEE10hipError_tPvRmT1_PNSt15iterator_traitsISK_E10value_typeET2_T3_PNSL_ISQ_E10value_typeET4_jRbjT5_SW_jjP12ihipStream_tbEUlT_E0_NS1_11comp_targetILNS1_3genE2ELNS1_11target_archE906ELNS1_3gpuE6ELNS1_3repE0EEENS1_60segmented_radix_sort_warp_sort_medium_config_static_selectorELNS0_4arch9wavefront6targetE0EEEvSK_.has_recursion, 0
	.set _ZN7rocprim17ROCPRIM_400000_NS6detail17trampoline_kernelINS0_14default_configENS1_36segmented_radix_sort_config_selectorIslEEZNS1_25segmented_radix_sort_implIS3_Lb0EPKsPsPKlPlN2at6native12_GLOBAL__N_18offset_tEEE10hipError_tPvRmT1_PNSt15iterator_traitsISK_E10value_typeET2_T3_PNSL_ISQ_E10value_typeET4_jRbjT5_SW_jjP12ihipStream_tbEUlT_E0_NS1_11comp_targetILNS1_3genE2ELNS1_11target_archE906ELNS1_3gpuE6ELNS1_3repE0EEENS1_60segmented_radix_sort_warp_sort_medium_config_static_selectorELNS0_4arch9wavefront6targetE0EEEvSK_.has_indirect_call, 0
	.section	.AMDGPU.csdata,"",@progbits
; Kernel info:
; codeLenInByte = 0
; TotalNumSgprs: 0
; NumVgprs: 0
; ScratchSize: 0
; MemoryBound: 0
; FloatMode: 240
; IeeeMode: 1
; LDSByteSize: 0 bytes/workgroup (compile time only)
; SGPRBlocks: 0
; VGPRBlocks: 0
; NumSGPRsForWavesPerEU: 1
; NumVGPRsForWavesPerEU: 1
; NamedBarCnt: 0
; Occupancy: 16
; WaveLimiterHint : 0
; COMPUTE_PGM_RSRC2:SCRATCH_EN: 0
; COMPUTE_PGM_RSRC2:USER_SGPR: 2
; COMPUTE_PGM_RSRC2:TRAP_HANDLER: 0
; COMPUTE_PGM_RSRC2:TGID_X_EN: 1
; COMPUTE_PGM_RSRC2:TGID_Y_EN: 0
; COMPUTE_PGM_RSRC2:TGID_Z_EN: 0
; COMPUTE_PGM_RSRC2:TIDIG_COMP_CNT: 0
	.section	.text._ZN7rocprim17ROCPRIM_400000_NS6detail17trampoline_kernelINS0_14default_configENS1_36segmented_radix_sort_config_selectorIslEEZNS1_25segmented_radix_sort_implIS3_Lb0EPKsPsPKlPlN2at6native12_GLOBAL__N_18offset_tEEE10hipError_tPvRmT1_PNSt15iterator_traitsISK_E10value_typeET2_T3_PNSL_ISQ_E10value_typeET4_jRbjT5_SW_jjP12ihipStream_tbEUlT_E0_NS1_11comp_targetILNS1_3genE10ELNS1_11target_archE1201ELNS1_3gpuE5ELNS1_3repE0EEENS1_60segmented_radix_sort_warp_sort_medium_config_static_selectorELNS0_4arch9wavefront6targetE0EEEvSK_,"axG",@progbits,_ZN7rocprim17ROCPRIM_400000_NS6detail17trampoline_kernelINS0_14default_configENS1_36segmented_radix_sort_config_selectorIslEEZNS1_25segmented_radix_sort_implIS3_Lb0EPKsPsPKlPlN2at6native12_GLOBAL__N_18offset_tEEE10hipError_tPvRmT1_PNSt15iterator_traitsISK_E10value_typeET2_T3_PNSL_ISQ_E10value_typeET4_jRbjT5_SW_jjP12ihipStream_tbEUlT_E0_NS1_11comp_targetILNS1_3genE10ELNS1_11target_archE1201ELNS1_3gpuE5ELNS1_3repE0EEENS1_60segmented_radix_sort_warp_sort_medium_config_static_selectorELNS0_4arch9wavefront6targetE0EEEvSK_,comdat
	.globl	_ZN7rocprim17ROCPRIM_400000_NS6detail17trampoline_kernelINS0_14default_configENS1_36segmented_radix_sort_config_selectorIslEEZNS1_25segmented_radix_sort_implIS3_Lb0EPKsPsPKlPlN2at6native12_GLOBAL__N_18offset_tEEE10hipError_tPvRmT1_PNSt15iterator_traitsISK_E10value_typeET2_T3_PNSL_ISQ_E10value_typeET4_jRbjT5_SW_jjP12ihipStream_tbEUlT_E0_NS1_11comp_targetILNS1_3genE10ELNS1_11target_archE1201ELNS1_3gpuE5ELNS1_3repE0EEENS1_60segmented_radix_sort_warp_sort_medium_config_static_selectorELNS0_4arch9wavefront6targetE0EEEvSK_ ; -- Begin function _ZN7rocprim17ROCPRIM_400000_NS6detail17trampoline_kernelINS0_14default_configENS1_36segmented_radix_sort_config_selectorIslEEZNS1_25segmented_radix_sort_implIS3_Lb0EPKsPsPKlPlN2at6native12_GLOBAL__N_18offset_tEEE10hipError_tPvRmT1_PNSt15iterator_traitsISK_E10value_typeET2_T3_PNSL_ISQ_E10value_typeET4_jRbjT5_SW_jjP12ihipStream_tbEUlT_E0_NS1_11comp_targetILNS1_3genE10ELNS1_11target_archE1201ELNS1_3gpuE5ELNS1_3repE0EEENS1_60segmented_radix_sort_warp_sort_medium_config_static_selectorELNS0_4arch9wavefront6targetE0EEEvSK_
	.p2align	8
	.type	_ZN7rocprim17ROCPRIM_400000_NS6detail17trampoline_kernelINS0_14default_configENS1_36segmented_radix_sort_config_selectorIslEEZNS1_25segmented_radix_sort_implIS3_Lb0EPKsPsPKlPlN2at6native12_GLOBAL__N_18offset_tEEE10hipError_tPvRmT1_PNSt15iterator_traitsISK_E10value_typeET2_T3_PNSL_ISQ_E10value_typeET4_jRbjT5_SW_jjP12ihipStream_tbEUlT_E0_NS1_11comp_targetILNS1_3genE10ELNS1_11target_archE1201ELNS1_3gpuE5ELNS1_3repE0EEENS1_60segmented_radix_sort_warp_sort_medium_config_static_selectorELNS0_4arch9wavefront6targetE0EEEvSK_,@function
_ZN7rocprim17ROCPRIM_400000_NS6detail17trampoline_kernelINS0_14default_configENS1_36segmented_radix_sort_config_selectorIslEEZNS1_25segmented_radix_sort_implIS3_Lb0EPKsPsPKlPlN2at6native12_GLOBAL__N_18offset_tEEE10hipError_tPvRmT1_PNSt15iterator_traitsISK_E10value_typeET2_T3_PNSL_ISQ_E10value_typeET4_jRbjT5_SW_jjP12ihipStream_tbEUlT_E0_NS1_11comp_targetILNS1_3genE10ELNS1_11target_archE1201ELNS1_3gpuE5ELNS1_3repE0EEENS1_60segmented_radix_sort_warp_sort_medium_config_static_selectorELNS0_4arch9wavefront6targetE0EEEvSK_: ; @_ZN7rocprim17ROCPRIM_400000_NS6detail17trampoline_kernelINS0_14default_configENS1_36segmented_radix_sort_config_selectorIslEEZNS1_25segmented_radix_sort_implIS3_Lb0EPKsPsPKlPlN2at6native12_GLOBAL__N_18offset_tEEE10hipError_tPvRmT1_PNSt15iterator_traitsISK_E10value_typeET2_T3_PNSL_ISQ_E10value_typeET4_jRbjT5_SW_jjP12ihipStream_tbEUlT_E0_NS1_11comp_targetILNS1_3genE10ELNS1_11target_archE1201ELNS1_3gpuE5ELNS1_3repE0EEENS1_60segmented_radix_sort_warp_sort_medium_config_static_selectorELNS0_4arch9wavefront6targetE0EEEvSK_
; %bb.0:
	.section	.rodata,"a",@progbits
	.p2align	6, 0x0
	.amdhsa_kernel _ZN7rocprim17ROCPRIM_400000_NS6detail17trampoline_kernelINS0_14default_configENS1_36segmented_radix_sort_config_selectorIslEEZNS1_25segmented_radix_sort_implIS3_Lb0EPKsPsPKlPlN2at6native12_GLOBAL__N_18offset_tEEE10hipError_tPvRmT1_PNSt15iterator_traitsISK_E10value_typeET2_T3_PNSL_ISQ_E10value_typeET4_jRbjT5_SW_jjP12ihipStream_tbEUlT_E0_NS1_11comp_targetILNS1_3genE10ELNS1_11target_archE1201ELNS1_3gpuE5ELNS1_3repE0EEENS1_60segmented_radix_sort_warp_sort_medium_config_static_selectorELNS0_4arch9wavefront6targetE0EEEvSK_
		.amdhsa_group_segment_fixed_size 0
		.amdhsa_private_segment_fixed_size 0
		.amdhsa_kernarg_size 88
		.amdhsa_user_sgpr_count 2
		.amdhsa_user_sgpr_dispatch_ptr 0
		.amdhsa_user_sgpr_queue_ptr 0
		.amdhsa_user_sgpr_kernarg_segment_ptr 1
		.amdhsa_user_sgpr_dispatch_id 0
		.amdhsa_user_sgpr_kernarg_preload_length 0
		.amdhsa_user_sgpr_kernarg_preload_offset 0
		.amdhsa_user_sgpr_private_segment_size 0
		.amdhsa_wavefront_size32 1
		.amdhsa_uses_dynamic_stack 0
		.amdhsa_enable_private_segment 0
		.amdhsa_system_sgpr_workgroup_id_x 1
		.amdhsa_system_sgpr_workgroup_id_y 0
		.amdhsa_system_sgpr_workgroup_id_z 0
		.amdhsa_system_sgpr_workgroup_info 0
		.amdhsa_system_vgpr_workitem_id 0
		.amdhsa_next_free_vgpr 1
		.amdhsa_next_free_sgpr 1
		.amdhsa_named_barrier_count 0
		.amdhsa_reserve_vcc 0
		.amdhsa_float_round_mode_32 0
		.amdhsa_float_round_mode_16_64 0
		.amdhsa_float_denorm_mode_32 3
		.amdhsa_float_denorm_mode_16_64 3
		.amdhsa_fp16_overflow 0
		.amdhsa_memory_ordered 1
		.amdhsa_forward_progress 1
		.amdhsa_inst_pref_size 0
		.amdhsa_round_robin_scheduling 0
		.amdhsa_exception_fp_ieee_invalid_op 0
		.amdhsa_exception_fp_denorm_src 0
		.amdhsa_exception_fp_ieee_div_zero 0
		.amdhsa_exception_fp_ieee_overflow 0
		.amdhsa_exception_fp_ieee_underflow 0
		.amdhsa_exception_fp_ieee_inexact 0
		.amdhsa_exception_int_div_zero 0
	.end_amdhsa_kernel
	.section	.text._ZN7rocprim17ROCPRIM_400000_NS6detail17trampoline_kernelINS0_14default_configENS1_36segmented_radix_sort_config_selectorIslEEZNS1_25segmented_radix_sort_implIS3_Lb0EPKsPsPKlPlN2at6native12_GLOBAL__N_18offset_tEEE10hipError_tPvRmT1_PNSt15iterator_traitsISK_E10value_typeET2_T3_PNSL_ISQ_E10value_typeET4_jRbjT5_SW_jjP12ihipStream_tbEUlT_E0_NS1_11comp_targetILNS1_3genE10ELNS1_11target_archE1201ELNS1_3gpuE5ELNS1_3repE0EEENS1_60segmented_radix_sort_warp_sort_medium_config_static_selectorELNS0_4arch9wavefront6targetE0EEEvSK_,"axG",@progbits,_ZN7rocprim17ROCPRIM_400000_NS6detail17trampoline_kernelINS0_14default_configENS1_36segmented_radix_sort_config_selectorIslEEZNS1_25segmented_radix_sort_implIS3_Lb0EPKsPsPKlPlN2at6native12_GLOBAL__N_18offset_tEEE10hipError_tPvRmT1_PNSt15iterator_traitsISK_E10value_typeET2_T3_PNSL_ISQ_E10value_typeET4_jRbjT5_SW_jjP12ihipStream_tbEUlT_E0_NS1_11comp_targetILNS1_3genE10ELNS1_11target_archE1201ELNS1_3gpuE5ELNS1_3repE0EEENS1_60segmented_radix_sort_warp_sort_medium_config_static_selectorELNS0_4arch9wavefront6targetE0EEEvSK_,comdat
.Lfunc_end1025:
	.size	_ZN7rocprim17ROCPRIM_400000_NS6detail17trampoline_kernelINS0_14default_configENS1_36segmented_radix_sort_config_selectorIslEEZNS1_25segmented_radix_sort_implIS3_Lb0EPKsPsPKlPlN2at6native12_GLOBAL__N_18offset_tEEE10hipError_tPvRmT1_PNSt15iterator_traitsISK_E10value_typeET2_T3_PNSL_ISQ_E10value_typeET4_jRbjT5_SW_jjP12ihipStream_tbEUlT_E0_NS1_11comp_targetILNS1_3genE10ELNS1_11target_archE1201ELNS1_3gpuE5ELNS1_3repE0EEENS1_60segmented_radix_sort_warp_sort_medium_config_static_selectorELNS0_4arch9wavefront6targetE0EEEvSK_, .Lfunc_end1025-_ZN7rocprim17ROCPRIM_400000_NS6detail17trampoline_kernelINS0_14default_configENS1_36segmented_radix_sort_config_selectorIslEEZNS1_25segmented_radix_sort_implIS3_Lb0EPKsPsPKlPlN2at6native12_GLOBAL__N_18offset_tEEE10hipError_tPvRmT1_PNSt15iterator_traitsISK_E10value_typeET2_T3_PNSL_ISQ_E10value_typeET4_jRbjT5_SW_jjP12ihipStream_tbEUlT_E0_NS1_11comp_targetILNS1_3genE10ELNS1_11target_archE1201ELNS1_3gpuE5ELNS1_3repE0EEENS1_60segmented_radix_sort_warp_sort_medium_config_static_selectorELNS0_4arch9wavefront6targetE0EEEvSK_
                                        ; -- End function
	.set _ZN7rocprim17ROCPRIM_400000_NS6detail17trampoline_kernelINS0_14default_configENS1_36segmented_radix_sort_config_selectorIslEEZNS1_25segmented_radix_sort_implIS3_Lb0EPKsPsPKlPlN2at6native12_GLOBAL__N_18offset_tEEE10hipError_tPvRmT1_PNSt15iterator_traitsISK_E10value_typeET2_T3_PNSL_ISQ_E10value_typeET4_jRbjT5_SW_jjP12ihipStream_tbEUlT_E0_NS1_11comp_targetILNS1_3genE10ELNS1_11target_archE1201ELNS1_3gpuE5ELNS1_3repE0EEENS1_60segmented_radix_sort_warp_sort_medium_config_static_selectorELNS0_4arch9wavefront6targetE0EEEvSK_.num_vgpr, 0
	.set _ZN7rocprim17ROCPRIM_400000_NS6detail17trampoline_kernelINS0_14default_configENS1_36segmented_radix_sort_config_selectorIslEEZNS1_25segmented_radix_sort_implIS3_Lb0EPKsPsPKlPlN2at6native12_GLOBAL__N_18offset_tEEE10hipError_tPvRmT1_PNSt15iterator_traitsISK_E10value_typeET2_T3_PNSL_ISQ_E10value_typeET4_jRbjT5_SW_jjP12ihipStream_tbEUlT_E0_NS1_11comp_targetILNS1_3genE10ELNS1_11target_archE1201ELNS1_3gpuE5ELNS1_3repE0EEENS1_60segmented_radix_sort_warp_sort_medium_config_static_selectorELNS0_4arch9wavefront6targetE0EEEvSK_.num_agpr, 0
	.set _ZN7rocprim17ROCPRIM_400000_NS6detail17trampoline_kernelINS0_14default_configENS1_36segmented_radix_sort_config_selectorIslEEZNS1_25segmented_radix_sort_implIS3_Lb0EPKsPsPKlPlN2at6native12_GLOBAL__N_18offset_tEEE10hipError_tPvRmT1_PNSt15iterator_traitsISK_E10value_typeET2_T3_PNSL_ISQ_E10value_typeET4_jRbjT5_SW_jjP12ihipStream_tbEUlT_E0_NS1_11comp_targetILNS1_3genE10ELNS1_11target_archE1201ELNS1_3gpuE5ELNS1_3repE0EEENS1_60segmented_radix_sort_warp_sort_medium_config_static_selectorELNS0_4arch9wavefront6targetE0EEEvSK_.numbered_sgpr, 0
	.set _ZN7rocprim17ROCPRIM_400000_NS6detail17trampoline_kernelINS0_14default_configENS1_36segmented_radix_sort_config_selectorIslEEZNS1_25segmented_radix_sort_implIS3_Lb0EPKsPsPKlPlN2at6native12_GLOBAL__N_18offset_tEEE10hipError_tPvRmT1_PNSt15iterator_traitsISK_E10value_typeET2_T3_PNSL_ISQ_E10value_typeET4_jRbjT5_SW_jjP12ihipStream_tbEUlT_E0_NS1_11comp_targetILNS1_3genE10ELNS1_11target_archE1201ELNS1_3gpuE5ELNS1_3repE0EEENS1_60segmented_radix_sort_warp_sort_medium_config_static_selectorELNS0_4arch9wavefront6targetE0EEEvSK_.num_named_barrier, 0
	.set _ZN7rocprim17ROCPRIM_400000_NS6detail17trampoline_kernelINS0_14default_configENS1_36segmented_radix_sort_config_selectorIslEEZNS1_25segmented_radix_sort_implIS3_Lb0EPKsPsPKlPlN2at6native12_GLOBAL__N_18offset_tEEE10hipError_tPvRmT1_PNSt15iterator_traitsISK_E10value_typeET2_T3_PNSL_ISQ_E10value_typeET4_jRbjT5_SW_jjP12ihipStream_tbEUlT_E0_NS1_11comp_targetILNS1_3genE10ELNS1_11target_archE1201ELNS1_3gpuE5ELNS1_3repE0EEENS1_60segmented_radix_sort_warp_sort_medium_config_static_selectorELNS0_4arch9wavefront6targetE0EEEvSK_.private_seg_size, 0
	.set _ZN7rocprim17ROCPRIM_400000_NS6detail17trampoline_kernelINS0_14default_configENS1_36segmented_radix_sort_config_selectorIslEEZNS1_25segmented_radix_sort_implIS3_Lb0EPKsPsPKlPlN2at6native12_GLOBAL__N_18offset_tEEE10hipError_tPvRmT1_PNSt15iterator_traitsISK_E10value_typeET2_T3_PNSL_ISQ_E10value_typeET4_jRbjT5_SW_jjP12ihipStream_tbEUlT_E0_NS1_11comp_targetILNS1_3genE10ELNS1_11target_archE1201ELNS1_3gpuE5ELNS1_3repE0EEENS1_60segmented_radix_sort_warp_sort_medium_config_static_selectorELNS0_4arch9wavefront6targetE0EEEvSK_.uses_vcc, 0
	.set _ZN7rocprim17ROCPRIM_400000_NS6detail17trampoline_kernelINS0_14default_configENS1_36segmented_radix_sort_config_selectorIslEEZNS1_25segmented_radix_sort_implIS3_Lb0EPKsPsPKlPlN2at6native12_GLOBAL__N_18offset_tEEE10hipError_tPvRmT1_PNSt15iterator_traitsISK_E10value_typeET2_T3_PNSL_ISQ_E10value_typeET4_jRbjT5_SW_jjP12ihipStream_tbEUlT_E0_NS1_11comp_targetILNS1_3genE10ELNS1_11target_archE1201ELNS1_3gpuE5ELNS1_3repE0EEENS1_60segmented_radix_sort_warp_sort_medium_config_static_selectorELNS0_4arch9wavefront6targetE0EEEvSK_.uses_flat_scratch, 0
	.set _ZN7rocprim17ROCPRIM_400000_NS6detail17trampoline_kernelINS0_14default_configENS1_36segmented_radix_sort_config_selectorIslEEZNS1_25segmented_radix_sort_implIS3_Lb0EPKsPsPKlPlN2at6native12_GLOBAL__N_18offset_tEEE10hipError_tPvRmT1_PNSt15iterator_traitsISK_E10value_typeET2_T3_PNSL_ISQ_E10value_typeET4_jRbjT5_SW_jjP12ihipStream_tbEUlT_E0_NS1_11comp_targetILNS1_3genE10ELNS1_11target_archE1201ELNS1_3gpuE5ELNS1_3repE0EEENS1_60segmented_radix_sort_warp_sort_medium_config_static_selectorELNS0_4arch9wavefront6targetE0EEEvSK_.has_dyn_sized_stack, 0
	.set _ZN7rocprim17ROCPRIM_400000_NS6detail17trampoline_kernelINS0_14default_configENS1_36segmented_radix_sort_config_selectorIslEEZNS1_25segmented_radix_sort_implIS3_Lb0EPKsPsPKlPlN2at6native12_GLOBAL__N_18offset_tEEE10hipError_tPvRmT1_PNSt15iterator_traitsISK_E10value_typeET2_T3_PNSL_ISQ_E10value_typeET4_jRbjT5_SW_jjP12ihipStream_tbEUlT_E0_NS1_11comp_targetILNS1_3genE10ELNS1_11target_archE1201ELNS1_3gpuE5ELNS1_3repE0EEENS1_60segmented_radix_sort_warp_sort_medium_config_static_selectorELNS0_4arch9wavefront6targetE0EEEvSK_.has_recursion, 0
	.set _ZN7rocprim17ROCPRIM_400000_NS6detail17trampoline_kernelINS0_14default_configENS1_36segmented_radix_sort_config_selectorIslEEZNS1_25segmented_radix_sort_implIS3_Lb0EPKsPsPKlPlN2at6native12_GLOBAL__N_18offset_tEEE10hipError_tPvRmT1_PNSt15iterator_traitsISK_E10value_typeET2_T3_PNSL_ISQ_E10value_typeET4_jRbjT5_SW_jjP12ihipStream_tbEUlT_E0_NS1_11comp_targetILNS1_3genE10ELNS1_11target_archE1201ELNS1_3gpuE5ELNS1_3repE0EEENS1_60segmented_radix_sort_warp_sort_medium_config_static_selectorELNS0_4arch9wavefront6targetE0EEEvSK_.has_indirect_call, 0
	.section	.AMDGPU.csdata,"",@progbits
; Kernel info:
; codeLenInByte = 0
; TotalNumSgprs: 0
; NumVgprs: 0
; ScratchSize: 0
; MemoryBound: 0
; FloatMode: 240
; IeeeMode: 1
; LDSByteSize: 0 bytes/workgroup (compile time only)
; SGPRBlocks: 0
; VGPRBlocks: 0
; NumSGPRsForWavesPerEU: 1
; NumVGPRsForWavesPerEU: 1
; NamedBarCnt: 0
; Occupancy: 16
; WaveLimiterHint : 0
; COMPUTE_PGM_RSRC2:SCRATCH_EN: 0
; COMPUTE_PGM_RSRC2:USER_SGPR: 2
; COMPUTE_PGM_RSRC2:TRAP_HANDLER: 0
; COMPUTE_PGM_RSRC2:TGID_X_EN: 1
; COMPUTE_PGM_RSRC2:TGID_Y_EN: 0
; COMPUTE_PGM_RSRC2:TGID_Z_EN: 0
; COMPUTE_PGM_RSRC2:TIDIG_COMP_CNT: 0
	.section	.text._ZN7rocprim17ROCPRIM_400000_NS6detail17trampoline_kernelINS0_14default_configENS1_36segmented_radix_sort_config_selectorIslEEZNS1_25segmented_radix_sort_implIS3_Lb0EPKsPsPKlPlN2at6native12_GLOBAL__N_18offset_tEEE10hipError_tPvRmT1_PNSt15iterator_traitsISK_E10value_typeET2_T3_PNSL_ISQ_E10value_typeET4_jRbjT5_SW_jjP12ihipStream_tbEUlT_E0_NS1_11comp_targetILNS1_3genE10ELNS1_11target_archE1200ELNS1_3gpuE4ELNS1_3repE0EEENS1_60segmented_radix_sort_warp_sort_medium_config_static_selectorELNS0_4arch9wavefront6targetE0EEEvSK_,"axG",@progbits,_ZN7rocprim17ROCPRIM_400000_NS6detail17trampoline_kernelINS0_14default_configENS1_36segmented_radix_sort_config_selectorIslEEZNS1_25segmented_radix_sort_implIS3_Lb0EPKsPsPKlPlN2at6native12_GLOBAL__N_18offset_tEEE10hipError_tPvRmT1_PNSt15iterator_traitsISK_E10value_typeET2_T3_PNSL_ISQ_E10value_typeET4_jRbjT5_SW_jjP12ihipStream_tbEUlT_E0_NS1_11comp_targetILNS1_3genE10ELNS1_11target_archE1200ELNS1_3gpuE4ELNS1_3repE0EEENS1_60segmented_radix_sort_warp_sort_medium_config_static_selectorELNS0_4arch9wavefront6targetE0EEEvSK_,comdat
	.globl	_ZN7rocprim17ROCPRIM_400000_NS6detail17trampoline_kernelINS0_14default_configENS1_36segmented_radix_sort_config_selectorIslEEZNS1_25segmented_radix_sort_implIS3_Lb0EPKsPsPKlPlN2at6native12_GLOBAL__N_18offset_tEEE10hipError_tPvRmT1_PNSt15iterator_traitsISK_E10value_typeET2_T3_PNSL_ISQ_E10value_typeET4_jRbjT5_SW_jjP12ihipStream_tbEUlT_E0_NS1_11comp_targetILNS1_3genE10ELNS1_11target_archE1200ELNS1_3gpuE4ELNS1_3repE0EEENS1_60segmented_radix_sort_warp_sort_medium_config_static_selectorELNS0_4arch9wavefront6targetE0EEEvSK_ ; -- Begin function _ZN7rocprim17ROCPRIM_400000_NS6detail17trampoline_kernelINS0_14default_configENS1_36segmented_radix_sort_config_selectorIslEEZNS1_25segmented_radix_sort_implIS3_Lb0EPKsPsPKlPlN2at6native12_GLOBAL__N_18offset_tEEE10hipError_tPvRmT1_PNSt15iterator_traitsISK_E10value_typeET2_T3_PNSL_ISQ_E10value_typeET4_jRbjT5_SW_jjP12ihipStream_tbEUlT_E0_NS1_11comp_targetILNS1_3genE10ELNS1_11target_archE1200ELNS1_3gpuE4ELNS1_3repE0EEENS1_60segmented_radix_sort_warp_sort_medium_config_static_selectorELNS0_4arch9wavefront6targetE0EEEvSK_
	.p2align	8
	.type	_ZN7rocprim17ROCPRIM_400000_NS6detail17trampoline_kernelINS0_14default_configENS1_36segmented_radix_sort_config_selectorIslEEZNS1_25segmented_radix_sort_implIS3_Lb0EPKsPsPKlPlN2at6native12_GLOBAL__N_18offset_tEEE10hipError_tPvRmT1_PNSt15iterator_traitsISK_E10value_typeET2_T3_PNSL_ISQ_E10value_typeET4_jRbjT5_SW_jjP12ihipStream_tbEUlT_E0_NS1_11comp_targetILNS1_3genE10ELNS1_11target_archE1200ELNS1_3gpuE4ELNS1_3repE0EEENS1_60segmented_radix_sort_warp_sort_medium_config_static_selectorELNS0_4arch9wavefront6targetE0EEEvSK_,@function
_ZN7rocprim17ROCPRIM_400000_NS6detail17trampoline_kernelINS0_14default_configENS1_36segmented_radix_sort_config_selectorIslEEZNS1_25segmented_radix_sort_implIS3_Lb0EPKsPsPKlPlN2at6native12_GLOBAL__N_18offset_tEEE10hipError_tPvRmT1_PNSt15iterator_traitsISK_E10value_typeET2_T3_PNSL_ISQ_E10value_typeET4_jRbjT5_SW_jjP12ihipStream_tbEUlT_E0_NS1_11comp_targetILNS1_3genE10ELNS1_11target_archE1200ELNS1_3gpuE4ELNS1_3repE0EEENS1_60segmented_radix_sort_warp_sort_medium_config_static_selectorELNS0_4arch9wavefront6targetE0EEEvSK_: ; @_ZN7rocprim17ROCPRIM_400000_NS6detail17trampoline_kernelINS0_14default_configENS1_36segmented_radix_sort_config_selectorIslEEZNS1_25segmented_radix_sort_implIS3_Lb0EPKsPsPKlPlN2at6native12_GLOBAL__N_18offset_tEEE10hipError_tPvRmT1_PNSt15iterator_traitsISK_E10value_typeET2_T3_PNSL_ISQ_E10value_typeET4_jRbjT5_SW_jjP12ihipStream_tbEUlT_E0_NS1_11comp_targetILNS1_3genE10ELNS1_11target_archE1200ELNS1_3gpuE4ELNS1_3repE0EEENS1_60segmented_radix_sort_warp_sort_medium_config_static_selectorELNS0_4arch9wavefront6targetE0EEEvSK_
; %bb.0:
	.section	.rodata,"a",@progbits
	.p2align	6, 0x0
	.amdhsa_kernel _ZN7rocprim17ROCPRIM_400000_NS6detail17trampoline_kernelINS0_14default_configENS1_36segmented_radix_sort_config_selectorIslEEZNS1_25segmented_radix_sort_implIS3_Lb0EPKsPsPKlPlN2at6native12_GLOBAL__N_18offset_tEEE10hipError_tPvRmT1_PNSt15iterator_traitsISK_E10value_typeET2_T3_PNSL_ISQ_E10value_typeET4_jRbjT5_SW_jjP12ihipStream_tbEUlT_E0_NS1_11comp_targetILNS1_3genE10ELNS1_11target_archE1200ELNS1_3gpuE4ELNS1_3repE0EEENS1_60segmented_radix_sort_warp_sort_medium_config_static_selectorELNS0_4arch9wavefront6targetE0EEEvSK_
		.amdhsa_group_segment_fixed_size 0
		.amdhsa_private_segment_fixed_size 0
		.amdhsa_kernarg_size 88
		.amdhsa_user_sgpr_count 2
		.amdhsa_user_sgpr_dispatch_ptr 0
		.amdhsa_user_sgpr_queue_ptr 0
		.amdhsa_user_sgpr_kernarg_segment_ptr 1
		.amdhsa_user_sgpr_dispatch_id 0
		.amdhsa_user_sgpr_kernarg_preload_length 0
		.amdhsa_user_sgpr_kernarg_preload_offset 0
		.amdhsa_user_sgpr_private_segment_size 0
		.amdhsa_wavefront_size32 1
		.amdhsa_uses_dynamic_stack 0
		.amdhsa_enable_private_segment 0
		.amdhsa_system_sgpr_workgroup_id_x 1
		.amdhsa_system_sgpr_workgroup_id_y 0
		.amdhsa_system_sgpr_workgroup_id_z 0
		.amdhsa_system_sgpr_workgroup_info 0
		.amdhsa_system_vgpr_workitem_id 0
		.amdhsa_next_free_vgpr 1
		.amdhsa_next_free_sgpr 1
		.amdhsa_named_barrier_count 0
		.amdhsa_reserve_vcc 0
		.amdhsa_float_round_mode_32 0
		.amdhsa_float_round_mode_16_64 0
		.amdhsa_float_denorm_mode_32 3
		.amdhsa_float_denorm_mode_16_64 3
		.amdhsa_fp16_overflow 0
		.amdhsa_memory_ordered 1
		.amdhsa_forward_progress 1
		.amdhsa_inst_pref_size 0
		.amdhsa_round_robin_scheduling 0
		.amdhsa_exception_fp_ieee_invalid_op 0
		.amdhsa_exception_fp_denorm_src 0
		.amdhsa_exception_fp_ieee_div_zero 0
		.amdhsa_exception_fp_ieee_overflow 0
		.amdhsa_exception_fp_ieee_underflow 0
		.amdhsa_exception_fp_ieee_inexact 0
		.amdhsa_exception_int_div_zero 0
	.end_amdhsa_kernel
	.section	.text._ZN7rocprim17ROCPRIM_400000_NS6detail17trampoline_kernelINS0_14default_configENS1_36segmented_radix_sort_config_selectorIslEEZNS1_25segmented_radix_sort_implIS3_Lb0EPKsPsPKlPlN2at6native12_GLOBAL__N_18offset_tEEE10hipError_tPvRmT1_PNSt15iterator_traitsISK_E10value_typeET2_T3_PNSL_ISQ_E10value_typeET4_jRbjT5_SW_jjP12ihipStream_tbEUlT_E0_NS1_11comp_targetILNS1_3genE10ELNS1_11target_archE1200ELNS1_3gpuE4ELNS1_3repE0EEENS1_60segmented_radix_sort_warp_sort_medium_config_static_selectorELNS0_4arch9wavefront6targetE0EEEvSK_,"axG",@progbits,_ZN7rocprim17ROCPRIM_400000_NS6detail17trampoline_kernelINS0_14default_configENS1_36segmented_radix_sort_config_selectorIslEEZNS1_25segmented_radix_sort_implIS3_Lb0EPKsPsPKlPlN2at6native12_GLOBAL__N_18offset_tEEE10hipError_tPvRmT1_PNSt15iterator_traitsISK_E10value_typeET2_T3_PNSL_ISQ_E10value_typeET4_jRbjT5_SW_jjP12ihipStream_tbEUlT_E0_NS1_11comp_targetILNS1_3genE10ELNS1_11target_archE1200ELNS1_3gpuE4ELNS1_3repE0EEENS1_60segmented_radix_sort_warp_sort_medium_config_static_selectorELNS0_4arch9wavefront6targetE0EEEvSK_,comdat
.Lfunc_end1026:
	.size	_ZN7rocprim17ROCPRIM_400000_NS6detail17trampoline_kernelINS0_14default_configENS1_36segmented_radix_sort_config_selectorIslEEZNS1_25segmented_radix_sort_implIS3_Lb0EPKsPsPKlPlN2at6native12_GLOBAL__N_18offset_tEEE10hipError_tPvRmT1_PNSt15iterator_traitsISK_E10value_typeET2_T3_PNSL_ISQ_E10value_typeET4_jRbjT5_SW_jjP12ihipStream_tbEUlT_E0_NS1_11comp_targetILNS1_3genE10ELNS1_11target_archE1200ELNS1_3gpuE4ELNS1_3repE0EEENS1_60segmented_radix_sort_warp_sort_medium_config_static_selectorELNS0_4arch9wavefront6targetE0EEEvSK_, .Lfunc_end1026-_ZN7rocprim17ROCPRIM_400000_NS6detail17trampoline_kernelINS0_14default_configENS1_36segmented_radix_sort_config_selectorIslEEZNS1_25segmented_radix_sort_implIS3_Lb0EPKsPsPKlPlN2at6native12_GLOBAL__N_18offset_tEEE10hipError_tPvRmT1_PNSt15iterator_traitsISK_E10value_typeET2_T3_PNSL_ISQ_E10value_typeET4_jRbjT5_SW_jjP12ihipStream_tbEUlT_E0_NS1_11comp_targetILNS1_3genE10ELNS1_11target_archE1200ELNS1_3gpuE4ELNS1_3repE0EEENS1_60segmented_radix_sort_warp_sort_medium_config_static_selectorELNS0_4arch9wavefront6targetE0EEEvSK_
                                        ; -- End function
	.set _ZN7rocprim17ROCPRIM_400000_NS6detail17trampoline_kernelINS0_14default_configENS1_36segmented_radix_sort_config_selectorIslEEZNS1_25segmented_radix_sort_implIS3_Lb0EPKsPsPKlPlN2at6native12_GLOBAL__N_18offset_tEEE10hipError_tPvRmT1_PNSt15iterator_traitsISK_E10value_typeET2_T3_PNSL_ISQ_E10value_typeET4_jRbjT5_SW_jjP12ihipStream_tbEUlT_E0_NS1_11comp_targetILNS1_3genE10ELNS1_11target_archE1200ELNS1_3gpuE4ELNS1_3repE0EEENS1_60segmented_radix_sort_warp_sort_medium_config_static_selectorELNS0_4arch9wavefront6targetE0EEEvSK_.num_vgpr, 0
	.set _ZN7rocprim17ROCPRIM_400000_NS6detail17trampoline_kernelINS0_14default_configENS1_36segmented_radix_sort_config_selectorIslEEZNS1_25segmented_radix_sort_implIS3_Lb0EPKsPsPKlPlN2at6native12_GLOBAL__N_18offset_tEEE10hipError_tPvRmT1_PNSt15iterator_traitsISK_E10value_typeET2_T3_PNSL_ISQ_E10value_typeET4_jRbjT5_SW_jjP12ihipStream_tbEUlT_E0_NS1_11comp_targetILNS1_3genE10ELNS1_11target_archE1200ELNS1_3gpuE4ELNS1_3repE0EEENS1_60segmented_radix_sort_warp_sort_medium_config_static_selectorELNS0_4arch9wavefront6targetE0EEEvSK_.num_agpr, 0
	.set _ZN7rocprim17ROCPRIM_400000_NS6detail17trampoline_kernelINS0_14default_configENS1_36segmented_radix_sort_config_selectorIslEEZNS1_25segmented_radix_sort_implIS3_Lb0EPKsPsPKlPlN2at6native12_GLOBAL__N_18offset_tEEE10hipError_tPvRmT1_PNSt15iterator_traitsISK_E10value_typeET2_T3_PNSL_ISQ_E10value_typeET4_jRbjT5_SW_jjP12ihipStream_tbEUlT_E0_NS1_11comp_targetILNS1_3genE10ELNS1_11target_archE1200ELNS1_3gpuE4ELNS1_3repE0EEENS1_60segmented_radix_sort_warp_sort_medium_config_static_selectorELNS0_4arch9wavefront6targetE0EEEvSK_.numbered_sgpr, 0
	.set _ZN7rocprim17ROCPRIM_400000_NS6detail17trampoline_kernelINS0_14default_configENS1_36segmented_radix_sort_config_selectorIslEEZNS1_25segmented_radix_sort_implIS3_Lb0EPKsPsPKlPlN2at6native12_GLOBAL__N_18offset_tEEE10hipError_tPvRmT1_PNSt15iterator_traitsISK_E10value_typeET2_T3_PNSL_ISQ_E10value_typeET4_jRbjT5_SW_jjP12ihipStream_tbEUlT_E0_NS1_11comp_targetILNS1_3genE10ELNS1_11target_archE1200ELNS1_3gpuE4ELNS1_3repE0EEENS1_60segmented_radix_sort_warp_sort_medium_config_static_selectorELNS0_4arch9wavefront6targetE0EEEvSK_.num_named_barrier, 0
	.set _ZN7rocprim17ROCPRIM_400000_NS6detail17trampoline_kernelINS0_14default_configENS1_36segmented_radix_sort_config_selectorIslEEZNS1_25segmented_radix_sort_implIS3_Lb0EPKsPsPKlPlN2at6native12_GLOBAL__N_18offset_tEEE10hipError_tPvRmT1_PNSt15iterator_traitsISK_E10value_typeET2_T3_PNSL_ISQ_E10value_typeET4_jRbjT5_SW_jjP12ihipStream_tbEUlT_E0_NS1_11comp_targetILNS1_3genE10ELNS1_11target_archE1200ELNS1_3gpuE4ELNS1_3repE0EEENS1_60segmented_radix_sort_warp_sort_medium_config_static_selectorELNS0_4arch9wavefront6targetE0EEEvSK_.private_seg_size, 0
	.set _ZN7rocprim17ROCPRIM_400000_NS6detail17trampoline_kernelINS0_14default_configENS1_36segmented_radix_sort_config_selectorIslEEZNS1_25segmented_radix_sort_implIS3_Lb0EPKsPsPKlPlN2at6native12_GLOBAL__N_18offset_tEEE10hipError_tPvRmT1_PNSt15iterator_traitsISK_E10value_typeET2_T3_PNSL_ISQ_E10value_typeET4_jRbjT5_SW_jjP12ihipStream_tbEUlT_E0_NS1_11comp_targetILNS1_3genE10ELNS1_11target_archE1200ELNS1_3gpuE4ELNS1_3repE0EEENS1_60segmented_radix_sort_warp_sort_medium_config_static_selectorELNS0_4arch9wavefront6targetE0EEEvSK_.uses_vcc, 0
	.set _ZN7rocprim17ROCPRIM_400000_NS6detail17trampoline_kernelINS0_14default_configENS1_36segmented_radix_sort_config_selectorIslEEZNS1_25segmented_radix_sort_implIS3_Lb0EPKsPsPKlPlN2at6native12_GLOBAL__N_18offset_tEEE10hipError_tPvRmT1_PNSt15iterator_traitsISK_E10value_typeET2_T3_PNSL_ISQ_E10value_typeET4_jRbjT5_SW_jjP12ihipStream_tbEUlT_E0_NS1_11comp_targetILNS1_3genE10ELNS1_11target_archE1200ELNS1_3gpuE4ELNS1_3repE0EEENS1_60segmented_radix_sort_warp_sort_medium_config_static_selectorELNS0_4arch9wavefront6targetE0EEEvSK_.uses_flat_scratch, 0
	.set _ZN7rocprim17ROCPRIM_400000_NS6detail17trampoline_kernelINS0_14default_configENS1_36segmented_radix_sort_config_selectorIslEEZNS1_25segmented_radix_sort_implIS3_Lb0EPKsPsPKlPlN2at6native12_GLOBAL__N_18offset_tEEE10hipError_tPvRmT1_PNSt15iterator_traitsISK_E10value_typeET2_T3_PNSL_ISQ_E10value_typeET4_jRbjT5_SW_jjP12ihipStream_tbEUlT_E0_NS1_11comp_targetILNS1_3genE10ELNS1_11target_archE1200ELNS1_3gpuE4ELNS1_3repE0EEENS1_60segmented_radix_sort_warp_sort_medium_config_static_selectorELNS0_4arch9wavefront6targetE0EEEvSK_.has_dyn_sized_stack, 0
	.set _ZN7rocprim17ROCPRIM_400000_NS6detail17trampoline_kernelINS0_14default_configENS1_36segmented_radix_sort_config_selectorIslEEZNS1_25segmented_radix_sort_implIS3_Lb0EPKsPsPKlPlN2at6native12_GLOBAL__N_18offset_tEEE10hipError_tPvRmT1_PNSt15iterator_traitsISK_E10value_typeET2_T3_PNSL_ISQ_E10value_typeET4_jRbjT5_SW_jjP12ihipStream_tbEUlT_E0_NS1_11comp_targetILNS1_3genE10ELNS1_11target_archE1200ELNS1_3gpuE4ELNS1_3repE0EEENS1_60segmented_radix_sort_warp_sort_medium_config_static_selectorELNS0_4arch9wavefront6targetE0EEEvSK_.has_recursion, 0
	.set _ZN7rocprim17ROCPRIM_400000_NS6detail17trampoline_kernelINS0_14default_configENS1_36segmented_radix_sort_config_selectorIslEEZNS1_25segmented_radix_sort_implIS3_Lb0EPKsPsPKlPlN2at6native12_GLOBAL__N_18offset_tEEE10hipError_tPvRmT1_PNSt15iterator_traitsISK_E10value_typeET2_T3_PNSL_ISQ_E10value_typeET4_jRbjT5_SW_jjP12ihipStream_tbEUlT_E0_NS1_11comp_targetILNS1_3genE10ELNS1_11target_archE1200ELNS1_3gpuE4ELNS1_3repE0EEENS1_60segmented_radix_sort_warp_sort_medium_config_static_selectorELNS0_4arch9wavefront6targetE0EEEvSK_.has_indirect_call, 0
	.section	.AMDGPU.csdata,"",@progbits
; Kernel info:
; codeLenInByte = 0
; TotalNumSgprs: 0
; NumVgprs: 0
; ScratchSize: 0
; MemoryBound: 0
; FloatMode: 240
; IeeeMode: 1
; LDSByteSize: 0 bytes/workgroup (compile time only)
; SGPRBlocks: 0
; VGPRBlocks: 0
; NumSGPRsForWavesPerEU: 1
; NumVGPRsForWavesPerEU: 1
; NamedBarCnt: 0
; Occupancy: 16
; WaveLimiterHint : 0
; COMPUTE_PGM_RSRC2:SCRATCH_EN: 0
; COMPUTE_PGM_RSRC2:USER_SGPR: 2
; COMPUTE_PGM_RSRC2:TRAP_HANDLER: 0
; COMPUTE_PGM_RSRC2:TGID_X_EN: 1
; COMPUTE_PGM_RSRC2:TGID_Y_EN: 0
; COMPUTE_PGM_RSRC2:TGID_Z_EN: 0
; COMPUTE_PGM_RSRC2:TIDIG_COMP_CNT: 0
	.section	.text._ZN7rocprim17ROCPRIM_400000_NS6detail17trampoline_kernelINS0_14default_configENS1_36segmented_radix_sort_config_selectorIslEEZNS1_25segmented_radix_sort_implIS3_Lb0EPKsPsPKlPlN2at6native12_GLOBAL__N_18offset_tEEE10hipError_tPvRmT1_PNSt15iterator_traitsISK_E10value_typeET2_T3_PNSL_ISQ_E10value_typeET4_jRbjT5_SW_jjP12ihipStream_tbEUlT_E0_NS1_11comp_targetILNS1_3genE9ELNS1_11target_archE1100ELNS1_3gpuE3ELNS1_3repE0EEENS1_60segmented_radix_sort_warp_sort_medium_config_static_selectorELNS0_4arch9wavefront6targetE0EEEvSK_,"axG",@progbits,_ZN7rocprim17ROCPRIM_400000_NS6detail17trampoline_kernelINS0_14default_configENS1_36segmented_radix_sort_config_selectorIslEEZNS1_25segmented_radix_sort_implIS3_Lb0EPKsPsPKlPlN2at6native12_GLOBAL__N_18offset_tEEE10hipError_tPvRmT1_PNSt15iterator_traitsISK_E10value_typeET2_T3_PNSL_ISQ_E10value_typeET4_jRbjT5_SW_jjP12ihipStream_tbEUlT_E0_NS1_11comp_targetILNS1_3genE9ELNS1_11target_archE1100ELNS1_3gpuE3ELNS1_3repE0EEENS1_60segmented_radix_sort_warp_sort_medium_config_static_selectorELNS0_4arch9wavefront6targetE0EEEvSK_,comdat
	.globl	_ZN7rocprim17ROCPRIM_400000_NS6detail17trampoline_kernelINS0_14default_configENS1_36segmented_radix_sort_config_selectorIslEEZNS1_25segmented_radix_sort_implIS3_Lb0EPKsPsPKlPlN2at6native12_GLOBAL__N_18offset_tEEE10hipError_tPvRmT1_PNSt15iterator_traitsISK_E10value_typeET2_T3_PNSL_ISQ_E10value_typeET4_jRbjT5_SW_jjP12ihipStream_tbEUlT_E0_NS1_11comp_targetILNS1_3genE9ELNS1_11target_archE1100ELNS1_3gpuE3ELNS1_3repE0EEENS1_60segmented_radix_sort_warp_sort_medium_config_static_selectorELNS0_4arch9wavefront6targetE0EEEvSK_ ; -- Begin function _ZN7rocprim17ROCPRIM_400000_NS6detail17trampoline_kernelINS0_14default_configENS1_36segmented_radix_sort_config_selectorIslEEZNS1_25segmented_radix_sort_implIS3_Lb0EPKsPsPKlPlN2at6native12_GLOBAL__N_18offset_tEEE10hipError_tPvRmT1_PNSt15iterator_traitsISK_E10value_typeET2_T3_PNSL_ISQ_E10value_typeET4_jRbjT5_SW_jjP12ihipStream_tbEUlT_E0_NS1_11comp_targetILNS1_3genE9ELNS1_11target_archE1100ELNS1_3gpuE3ELNS1_3repE0EEENS1_60segmented_radix_sort_warp_sort_medium_config_static_selectorELNS0_4arch9wavefront6targetE0EEEvSK_
	.p2align	8
	.type	_ZN7rocprim17ROCPRIM_400000_NS6detail17trampoline_kernelINS0_14default_configENS1_36segmented_radix_sort_config_selectorIslEEZNS1_25segmented_radix_sort_implIS3_Lb0EPKsPsPKlPlN2at6native12_GLOBAL__N_18offset_tEEE10hipError_tPvRmT1_PNSt15iterator_traitsISK_E10value_typeET2_T3_PNSL_ISQ_E10value_typeET4_jRbjT5_SW_jjP12ihipStream_tbEUlT_E0_NS1_11comp_targetILNS1_3genE9ELNS1_11target_archE1100ELNS1_3gpuE3ELNS1_3repE0EEENS1_60segmented_radix_sort_warp_sort_medium_config_static_selectorELNS0_4arch9wavefront6targetE0EEEvSK_,@function
_ZN7rocprim17ROCPRIM_400000_NS6detail17trampoline_kernelINS0_14default_configENS1_36segmented_radix_sort_config_selectorIslEEZNS1_25segmented_radix_sort_implIS3_Lb0EPKsPsPKlPlN2at6native12_GLOBAL__N_18offset_tEEE10hipError_tPvRmT1_PNSt15iterator_traitsISK_E10value_typeET2_T3_PNSL_ISQ_E10value_typeET4_jRbjT5_SW_jjP12ihipStream_tbEUlT_E0_NS1_11comp_targetILNS1_3genE9ELNS1_11target_archE1100ELNS1_3gpuE3ELNS1_3repE0EEENS1_60segmented_radix_sort_warp_sort_medium_config_static_selectorELNS0_4arch9wavefront6targetE0EEEvSK_: ; @_ZN7rocprim17ROCPRIM_400000_NS6detail17trampoline_kernelINS0_14default_configENS1_36segmented_radix_sort_config_selectorIslEEZNS1_25segmented_radix_sort_implIS3_Lb0EPKsPsPKlPlN2at6native12_GLOBAL__N_18offset_tEEE10hipError_tPvRmT1_PNSt15iterator_traitsISK_E10value_typeET2_T3_PNSL_ISQ_E10value_typeET4_jRbjT5_SW_jjP12ihipStream_tbEUlT_E0_NS1_11comp_targetILNS1_3genE9ELNS1_11target_archE1100ELNS1_3gpuE3ELNS1_3repE0EEENS1_60segmented_radix_sort_warp_sort_medium_config_static_selectorELNS0_4arch9wavefront6targetE0EEEvSK_
; %bb.0:
	.section	.rodata,"a",@progbits
	.p2align	6, 0x0
	.amdhsa_kernel _ZN7rocprim17ROCPRIM_400000_NS6detail17trampoline_kernelINS0_14default_configENS1_36segmented_radix_sort_config_selectorIslEEZNS1_25segmented_radix_sort_implIS3_Lb0EPKsPsPKlPlN2at6native12_GLOBAL__N_18offset_tEEE10hipError_tPvRmT1_PNSt15iterator_traitsISK_E10value_typeET2_T3_PNSL_ISQ_E10value_typeET4_jRbjT5_SW_jjP12ihipStream_tbEUlT_E0_NS1_11comp_targetILNS1_3genE9ELNS1_11target_archE1100ELNS1_3gpuE3ELNS1_3repE0EEENS1_60segmented_radix_sort_warp_sort_medium_config_static_selectorELNS0_4arch9wavefront6targetE0EEEvSK_
		.amdhsa_group_segment_fixed_size 0
		.amdhsa_private_segment_fixed_size 0
		.amdhsa_kernarg_size 88
		.amdhsa_user_sgpr_count 2
		.amdhsa_user_sgpr_dispatch_ptr 0
		.amdhsa_user_sgpr_queue_ptr 0
		.amdhsa_user_sgpr_kernarg_segment_ptr 1
		.amdhsa_user_sgpr_dispatch_id 0
		.amdhsa_user_sgpr_kernarg_preload_length 0
		.amdhsa_user_sgpr_kernarg_preload_offset 0
		.amdhsa_user_sgpr_private_segment_size 0
		.amdhsa_wavefront_size32 1
		.amdhsa_uses_dynamic_stack 0
		.amdhsa_enable_private_segment 0
		.amdhsa_system_sgpr_workgroup_id_x 1
		.amdhsa_system_sgpr_workgroup_id_y 0
		.amdhsa_system_sgpr_workgroup_id_z 0
		.amdhsa_system_sgpr_workgroup_info 0
		.amdhsa_system_vgpr_workitem_id 0
		.amdhsa_next_free_vgpr 1
		.amdhsa_next_free_sgpr 1
		.amdhsa_named_barrier_count 0
		.amdhsa_reserve_vcc 0
		.amdhsa_float_round_mode_32 0
		.amdhsa_float_round_mode_16_64 0
		.amdhsa_float_denorm_mode_32 3
		.amdhsa_float_denorm_mode_16_64 3
		.amdhsa_fp16_overflow 0
		.amdhsa_memory_ordered 1
		.amdhsa_forward_progress 1
		.amdhsa_inst_pref_size 0
		.amdhsa_round_robin_scheduling 0
		.amdhsa_exception_fp_ieee_invalid_op 0
		.amdhsa_exception_fp_denorm_src 0
		.amdhsa_exception_fp_ieee_div_zero 0
		.amdhsa_exception_fp_ieee_overflow 0
		.amdhsa_exception_fp_ieee_underflow 0
		.amdhsa_exception_fp_ieee_inexact 0
		.amdhsa_exception_int_div_zero 0
	.end_amdhsa_kernel
	.section	.text._ZN7rocprim17ROCPRIM_400000_NS6detail17trampoline_kernelINS0_14default_configENS1_36segmented_radix_sort_config_selectorIslEEZNS1_25segmented_radix_sort_implIS3_Lb0EPKsPsPKlPlN2at6native12_GLOBAL__N_18offset_tEEE10hipError_tPvRmT1_PNSt15iterator_traitsISK_E10value_typeET2_T3_PNSL_ISQ_E10value_typeET4_jRbjT5_SW_jjP12ihipStream_tbEUlT_E0_NS1_11comp_targetILNS1_3genE9ELNS1_11target_archE1100ELNS1_3gpuE3ELNS1_3repE0EEENS1_60segmented_radix_sort_warp_sort_medium_config_static_selectorELNS0_4arch9wavefront6targetE0EEEvSK_,"axG",@progbits,_ZN7rocprim17ROCPRIM_400000_NS6detail17trampoline_kernelINS0_14default_configENS1_36segmented_radix_sort_config_selectorIslEEZNS1_25segmented_radix_sort_implIS3_Lb0EPKsPsPKlPlN2at6native12_GLOBAL__N_18offset_tEEE10hipError_tPvRmT1_PNSt15iterator_traitsISK_E10value_typeET2_T3_PNSL_ISQ_E10value_typeET4_jRbjT5_SW_jjP12ihipStream_tbEUlT_E0_NS1_11comp_targetILNS1_3genE9ELNS1_11target_archE1100ELNS1_3gpuE3ELNS1_3repE0EEENS1_60segmented_radix_sort_warp_sort_medium_config_static_selectorELNS0_4arch9wavefront6targetE0EEEvSK_,comdat
.Lfunc_end1027:
	.size	_ZN7rocprim17ROCPRIM_400000_NS6detail17trampoline_kernelINS0_14default_configENS1_36segmented_radix_sort_config_selectorIslEEZNS1_25segmented_radix_sort_implIS3_Lb0EPKsPsPKlPlN2at6native12_GLOBAL__N_18offset_tEEE10hipError_tPvRmT1_PNSt15iterator_traitsISK_E10value_typeET2_T3_PNSL_ISQ_E10value_typeET4_jRbjT5_SW_jjP12ihipStream_tbEUlT_E0_NS1_11comp_targetILNS1_3genE9ELNS1_11target_archE1100ELNS1_3gpuE3ELNS1_3repE0EEENS1_60segmented_radix_sort_warp_sort_medium_config_static_selectorELNS0_4arch9wavefront6targetE0EEEvSK_, .Lfunc_end1027-_ZN7rocprim17ROCPRIM_400000_NS6detail17trampoline_kernelINS0_14default_configENS1_36segmented_radix_sort_config_selectorIslEEZNS1_25segmented_radix_sort_implIS3_Lb0EPKsPsPKlPlN2at6native12_GLOBAL__N_18offset_tEEE10hipError_tPvRmT1_PNSt15iterator_traitsISK_E10value_typeET2_T3_PNSL_ISQ_E10value_typeET4_jRbjT5_SW_jjP12ihipStream_tbEUlT_E0_NS1_11comp_targetILNS1_3genE9ELNS1_11target_archE1100ELNS1_3gpuE3ELNS1_3repE0EEENS1_60segmented_radix_sort_warp_sort_medium_config_static_selectorELNS0_4arch9wavefront6targetE0EEEvSK_
                                        ; -- End function
	.set _ZN7rocprim17ROCPRIM_400000_NS6detail17trampoline_kernelINS0_14default_configENS1_36segmented_radix_sort_config_selectorIslEEZNS1_25segmented_radix_sort_implIS3_Lb0EPKsPsPKlPlN2at6native12_GLOBAL__N_18offset_tEEE10hipError_tPvRmT1_PNSt15iterator_traitsISK_E10value_typeET2_T3_PNSL_ISQ_E10value_typeET4_jRbjT5_SW_jjP12ihipStream_tbEUlT_E0_NS1_11comp_targetILNS1_3genE9ELNS1_11target_archE1100ELNS1_3gpuE3ELNS1_3repE0EEENS1_60segmented_radix_sort_warp_sort_medium_config_static_selectorELNS0_4arch9wavefront6targetE0EEEvSK_.num_vgpr, 0
	.set _ZN7rocprim17ROCPRIM_400000_NS6detail17trampoline_kernelINS0_14default_configENS1_36segmented_radix_sort_config_selectorIslEEZNS1_25segmented_radix_sort_implIS3_Lb0EPKsPsPKlPlN2at6native12_GLOBAL__N_18offset_tEEE10hipError_tPvRmT1_PNSt15iterator_traitsISK_E10value_typeET2_T3_PNSL_ISQ_E10value_typeET4_jRbjT5_SW_jjP12ihipStream_tbEUlT_E0_NS1_11comp_targetILNS1_3genE9ELNS1_11target_archE1100ELNS1_3gpuE3ELNS1_3repE0EEENS1_60segmented_radix_sort_warp_sort_medium_config_static_selectorELNS0_4arch9wavefront6targetE0EEEvSK_.num_agpr, 0
	.set _ZN7rocprim17ROCPRIM_400000_NS6detail17trampoline_kernelINS0_14default_configENS1_36segmented_radix_sort_config_selectorIslEEZNS1_25segmented_radix_sort_implIS3_Lb0EPKsPsPKlPlN2at6native12_GLOBAL__N_18offset_tEEE10hipError_tPvRmT1_PNSt15iterator_traitsISK_E10value_typeET2_T3_PNSL_ISQ_E10value_typeET4_jRbjT5_SW_jjP12ihipStream_tbEUlT_E0_NS1_11comp_targetILNS1_3genE9ELNS1_11target_archE1100ELNS1_3gpuE3ELNS1_3repE0EEENS1_60segmented_radix_sort_warp_sort_medium_config_static_selectorELNS0_4arch9wavefront6targetE0EEEvSK_.numbered_sgpr, 0
	.set _ZN7rocprim17ROCPRIM_400000_NS6detail17trampoline_kernelINS0_14default_configENS1_36segmented_radix_sort_config_selectorIslEEZNS1_25segmented_radix_sort_implIS3_Lb0EPKsPsPKlPlN2at6native12_GLOBAL__N_18offset_tEEE10hipError_tPvRmT1_PNSt15iterator_traitsISK_E10value_typeET2_T3_PNSL_ISQ_E10value_typeET4_jRbjT5_SW_jjP12ihipStream_tbEUlT_E0_NS1_11comp_targetILNS1_3genE9ELNS1_11target_archE1100ELNS1_3gpuE3ELNS1_3repE0EEENS1_60segmented_radix_sort_warp_sort_medium_config_static_selectorELNS0_4arch9wavefront6targetE0EEEvSK_.num_named_barrier, 0
	.set _ZN7rocprim17ROCPRIM_400000_NS6detail17trampoline_kernelINS0_14default_configENS1_36segmented_radix_sort_config_selectorIslEEZNS1_25segmented_radix_sort_implIS3_Lb0EPKsPsPKlPlN2at6native12_GLOBAL__N_18offset_tEEE10hipError_tPvRmT1_PNSt15iterator_traitsISK_E10value_typeET2_T3_PNSL_ISQ_E10value_typeET4_jRbjT5_SW_jjP12ihipStream_tbEUlT_E0_NS1_11comp_targetILNS1_3genE9ELNS1_11target_archE1100ELNS1_3gpuE3ELNS1_3repE0EEENS1_60segmented_radix_sort_warp_sort_medium_config_static_selectorELNS0_4arch9wavefront6targetE0EEEvSK_.private_seg_size, 0
	.set _ZN7rocprim17ROCPRIM_400000_NS6detail17trampoline_kernelINS0_14default_configENS1_36segmented_radix_sort_config_selectorIslEEZNS1_25segmented_radix_sort_implIS3_Lb0EPKsPsPKlPlN2at6native12_GLOBAL__N_18offset_tEEE10hipError_tPvRmT1_PNSt15iterator_traitsISK_E10value_typeET2_T3_PNSL_ISQ_E10value_typeET4_jRbjT5_SW_jjP12ihipStream_tbEUlT_E0_NS1_11comp_targetILNS1_3genE9ELNS1_11target_archE1100ELNS1_3gpuE3ELNS1_3repE0EEENS1_60segmented_radix_sort_warp_sort_medium_config_static_selectorELNS0_4arch9wavefront6targetE0EEEvSK_.uses_vcc, 0
	.set _ZN7rocprim17ROCPRIM_400000_NS6detail17trampoline_kernelINS0_14default_configENS1_36segmented_radix_sort_config_selectorIslEEZNS1_25segmented_radix_sort_implIS3_Lb0EPKsPsPKlPlN2at6native12_GLOBAL__N_18offset_tEEE10hipError_tPvRmT1_PNSt15iterator_traitsISK_E10value_typeET2_T3_PNSL_ISQ_E10value_typeET4_jRbjT5_SW_jjP12ihipStream_tbEUlT_E0_NS1_11comp_targetILNS1_3genE9ELNS1_11target_archE1100ELNS1_3gpuE3ELNS1_3repE0EEENS1_60segmented_radix_sort_warp_sort_medium_config_static_selectorELNS0_4arch9wavefront6targetE0EEEvSK_.uses_flat_scratch, 0
	.set _ZN7rocprim17ROCPRIM_400000_NS6detail17trampoline_kernelINS0_14default_configENS1_36segmented_radix_sort_config_selectorIslEEZNS1_25segmented_radix_sort_implIS3_Lb0EPKsPsPKlPlN2at6native12_GLOBAL__N_18offset_tEEE10hipError_tPvRmT1_PNSt15iterator_traitsISK_E10value_typeET2_T3_PNSL_ISQ_E10value_typeET4_jRbjT5_SW_jjP12ihipStream_tbEUlT_E0_NS1_11comp_targetILNS1_3genE9ELNS1_11target_archE1100ELNS1_3gpuE3ELNS1_3repE0EEENS1_60segmented_radix_sort_warp_sort_medium_config_static_selectorELNS0_4arch9wavefront6targetE0EEEvSK_.has_dyn_sized_stack, 0
	.set _ZN7rocprim17ROCPRIM_400000_NS6detail17trampoline_kernelINS0_14default_configENS1_36segmented_radix_sort_config_selectorIslEEZNS1_25segmented_radix_sort_implIS3_Lb0EPKsPsPKlPlN2at6native12_GLOBAL__N_18offset_tEEE10hipError_tPvRmT1_PNSt15iterator_traitsISK_E10value_typeET2_T3_PNSL_ISQ_E10value_typeET4_jRbjT5_SW_jjP12ihipStream_tbEUlT_E0_NS1_11comp_targetILNS1_3genE9ELNS1_11target_archE1100ELNS1_3gpuE3ELNS1_3repE0EEENS1_60segmented_radix_sort_warp_sort_medium_config_static_selectorELNS0_4arch9wavefront6targetE0EEEvSK_.has_recursion, 0
	.set _ZN7rocprim17ROCPRIM_400000_NS6detail17trampoline_kernelINS0_14default_configENS1_36segmented_radix_sort_config_selectorIslEEZNS1_25segmented_radix_sort_implIS3_Lb0EPKsPsPKlPlN2at6native12_GLOBAL__N_18offset_tEEE10hipError_tPvRmT1_PNSt15iterator_traitsISK_E10value_typeET2_T3_PNSL_ISQ_E10value_typeET4_jRbjT5_SW_jjP12ihipStream_tbEUlT_E0_NS1_11comp_targetILNS1_3genE9ELNS1_11target_archE1100ELNS1_3gpuE3ELNS1_3repE0EEENS1_60segmented_radix_sort_warp_sort_medium_config_static_selectorELNS0_4arch9wavefront6targetE0EEEvSK_.has_indirect_call, 0
	.section	.AMDGPU.csdata,"",@progbits
; Kernel info:
; codeLenInByte = 0
; TotalNumSgprs: 0
; NumVgprs: 0
; ScratchSize: 0
; MemoryBound: 0
; FloatMode: 240
; IeeeMode: 1
; LDSByteSize: 0 bytes/workgroup (compile time only)
; SGPRBlocks: 0
; VGPRBlocks: 0
; NumSGPRsForWavesPerEU: 1
; NumVGPRsForWavesPerEU: 1
; NamedBarCnt: 0
; Occupancy: 16
; WaveLimiterHint : 0
; COMPUTE_PGM_RSRC2:SCRATCH_EN: 0
; COMPUTE_PGM_RSRC2:USER_SGPR: 2
; COMPUTE_PGM_RSRC2:TRAP_HANDLER: 0
; COMPUTE_PGM_RSRC2:TGID_X_EN: 1
; COMPUTE_PGM_RSRC2:TGID_Y_EN: 0
; COMPUTE_PGM_RSRC2:TGID_Z_EN: 0
; COMPUTE_PGM_RSRC2:TIDIG_COMP_CNT: 0
	.section	.text._ZN7rocprim17ROCPRIM_400000_NS6detail17trampoline_kernelINS0_14default_configENS1_36segmented_radix_sort_config_selectorIslEEZNS1_25segmented_radix_sort_implIS3_Lb0EPKsPsPKlPlN2at6native12_GLOBAL__N_18offset_tEEE10hipError_tPvRmT1_PNSt15iterator_traitsISK_E10value_typeET2_T3_PNSL_ISQ_E10value_typeET4_jRbjT5_SW_jjP12ihipStream_tbEUlT_E0_NS1_11comp_targetILNS1_3genE8ELNS1_11target_archE1030ELNS1_3gpuE2ELNS1_3repE0EEENS1_60segmented_radix_sort_warp_sort_medium_config_static_selectorELNS0_4arch9wavefront6targetE0EEEvSK_,"axG",@progbits,_ZN7rocprim17ROCPRIM_400000_NS6detail17trampoline_kernelINS0_14default_configENS1_36segmented_radix_sort_config_selectorIslEEZNS1_25segmented_radix_sort_implIS3_Lb0EPKsPsPKlPlN2at6native12_GLOBAL__N_18offset_tEEE10hipError_tPvRmT1_PNSt15iterator_traitsISK_E10value_typeET2_T3_PNSL_ISQ_E10value_typeET4_jRbjT5_SW_jjP12ihipStream_tbEUlT_E0_NS1_11comp_targetILNS1_3genE8ELNS1_11target_archE1030ELNS1_3gpuE2ELNS1_3repE0EEENS1_60segmented_radix_sort_warp_sort_medium_config_static_selectorELNS0_4arch9wavefront6targetE0EEEvSK_,comdat
	.globl	_ZN7rocprim17ROCPRIM_400000_NS6detail17trampoline_kernelINS0_14default_configENS1_36segmented_radix_sort_config_selectorIslEEZNS1_25segmented_radix_sort_implIS3_Lb0EPKsPsPKlPlN2at6native12_GLOBAL__N_18offset_tEEE10hipError_tPvRmT1_PNSt15iterator_traitsISK_E10value_typeET2_T3_PNSL_ISQ_E10value_typeET4_jRbjT5_SW_jjP12ihipStream_tbEUlT_E0_NS1_11comp_targetILNS1_3genE8ELNS1_11target_archE1030ELNS1_3gpuE2ELNS1_3repE0EEENS1_60segmented_radix_sort_warp_sort_medium_config_static_selectorELNS0_4arch9wavefront6targetE0EEEvSK_ ; -- Begin function _ZN7rocprim17ROCPRIM_400000_NS6detail17trampoline_kernelINS0_14default_configENS1_36segmented_radix_sort_config_selectorIslEEZNS1_25segmented_radix_sort_implIS3_Lb0EPKsPsPKlPlN2at6native12_GLOBAL__N_18offset_tEEE10hipError_tPvRmT1_PNSt15iterator_traitsISK_E10value_typeET2_T3_PNSL_ISQ_E10value_typeET4_jRbjT5_SW_jjP12ihipStream_tbEUlT_E0_NS1_11comp_targetILNS1_3genE8ELNS1_11target_archE1030ELNS1_3gpuE2ELNS1_3repE0EEENS1_60segmented_radix_sort_warp_sort_medium_config_static_selectorELNS0_4arch9wavefront6targetE0EEEvSK_
	.p2align	8
	.type	_ZN7rocprim17ROCPRIM_400000_NS6detail17trampoline_kernelINS0_14default_configENS1_36segmented_radix_sort_config_selectorIslEEZNS1_25segmented_radix_sort_implIS3_Lb0EPKsPsPKlPlN2at6native12_GLOBAL__N_18offset_tEEE10hipError_tPvRmT1_PNSt15iterator_traitsISK_E10value_typeET2_T3_PNSL_ISQ_E10value_typeET4_jRbjT5_SW_jjP12ihipStream_tbEUlT_E0_NS1_11comp_targetILNS1_3genE8ELNS1_11target_archE1030ELNS1_3gpuE2ELNS1_3repE0EEENS1_60segmented_radix_sort_warp_sort_medium_config_static_selectorELNS0_4arch9wavefront6targetE0EEEvSK_,@function
_ZN7rocprim17ROCPRIM_400000_NS6detail17trampoline_kernelINS0_14default_configENS1_36segmented_radix_sort_config_selectorIslEEZNS1_25segmented_radix_sort_implIS3_Lb0EPKsPsPKlPlN2at6native12_GLOBAL__N_18offset_tEEE10hipError_tPvRmT1_PNSt15iterator_traitsISK_E10value_typeET2_T3_PNSL_ISQ_E10value_typeET4_jRbjT5_SW_jjP12ihipStream_tbEUlT_E0_NS1_11comp_targetILNS1_3genE8ELNS1_11target_archE1030ELNS1_3gpuE2ELNS1_3repE0EEENS1_60segmented_radix_sort_warp_sort_medium_config_static_selectorELNS0_4arch9wavefront6targetE0EEEvSK_: ; @_ZN7rocprim17ROCPRIM_400000_NS6detail17trampoline_kernelINS0_14default_configENS1_36segmented_radix_sort_config_selectorIslEEZNS1_25segmented_radix_sort_implIS3_Lb0EPKsPsPKlPlN2at6native12_GLOBAL__N_18offset_tEEE10hipError_tPvRmT1_PNSt15iterator_traitsISK_E10value_typeET2_T3_PNSL_ISQ_E10value_typeET4_jRbjT5_SW_jjP12ihipStream_tbEUlT_E0_NS1_11comp_targetILNS1_3genE8ELNS1_11target_archE1030ELNS1_3gpuE2ELNS1_3repE0EEENS1_60segmented_radix_sort_warp_sort_medium_config_static_selectorELNS0_4arch9wavefront6targetE0EEEvSK_
; %bb.0:
	.section	.rodata,"a",@progbits
	.p2align	6, 0x0
	.amdhsa_kernel _ZN7rocprim17ROCPRIM_400000_NS6detail17trampoline_kernelINS0_14default_configENS1_36segmented_radix_sort_config_selectorIslEEZNS1_25segmented_radix_sort_implIS3_Lb0EPKsPsPKlPlN2at6native12_GLOBAL__N_18offset_tEEE10hipError_tPvRmT1_PNSt15iterator_traitsISK_E10value_typeET2_T3_PNSL_ISQ_E10value_typeET4_jRbjT5_SW_jjP12ihipStream_tbEUlT_E0_NS1_11comp_targetILNS1_3genE8ELNS1_11target_archE1030ELNS1_3gpuE2ELNS1_3repE0EEENS1_60segmented_radix_sort_warp_sort_medium_config_static_selectorELNS0_4arch9wavefront6targetE0EEEvSK_
		.amdhsa_group_segment_fixed_size 0
		.amdhsa_private_segment_fixed_size 0
		.amdhsa_kernarg_size 88
		.amdhsa_user_sgpr_count 2
		.amdhsa_user_sgpr_dispatch_ptr 0
		.amdhsa_user_sgpr_queue_ptr 0
		.amdhsa_user_sgpr_kernarg_segment_ptr 1
		.amdhsa_user_sgpr_dispatch_id 0
		.amdhsa_user_sgpr_kernarg_preload_length 0
		.amdhsa_user_sgpr_kernarg_preload_offset 0
		.amdhsa_user_sgpr_private_segment_size 0
		.amdhsa_wavefront_size32 1
		.amdhsa_uses_dynamic_stack 0
		.amdhsa_enable_private_segment 0
		.amdhsa_system_sgpr_workgroup_id_x 1
		.amdhsa_system_sgpr_workgroup_id_y 0
		.amdhsa_system_sgpr_workgroup_id_z 0
		.amdhsa_system_sgpr_workgroup_info 0
		.amdhsa_system_vgpr_workitem_id 0
		.amdhsa_next_free_vgpr 1
		.amdhsa_next_free_sgpr 1
		.amdhsa_named_barrier_count 0
		.amdhsa_reserve_vcc 0
		.amdhsa_float_round_mode_32 0
		.amdhsa_float_round_mode_16_64 0
		.amdhsa_float_denorm_mode_32 3
		.amdhsa_float_denorm_mode_16_64 3
		.amdhsa_fp16_overflow 0
		.amdhsa_memory_ordered 1
		.amdhsa_forward_progress 1
		.amdhsa_inst_pref_size 0
		.amdhsa_round_robin_scheduling 0
		.amdhsa_exception_fp_ieee_invalid_op 0
		.amdhsa_exception_fp_denorm_src 0
		.amdhsa_exception_fp_ieee_div_zero 0
		.amdhsa_exception_fp_ieee_overflow 0
		.amdhsa_exception_fp_ieee_underflow 0
		.amdhsa_exception_fp_ieee_inexact 0
		.amdhsa_exception_int_div_zero 0
	.end_amdhsa_kernel
	.section	.text._ZN7rocprim17ROCPRIM_400000_NS6detail17trampoline_kernelINS0_14default_configENS1_36segmented_radix_sort_config_selectorIslEEZNS1_25segmented_radix_sort_implIS3_Lb0EPKsPsPKlPlN2at6native12_GLOBAL__N_18offset_tEEE10hipError_tPvRmT1_PNSt15iterator_traitsISK_E10value_typeET2_T3_PNSL_ISQ_E10value_typeET4_jRbjT5_SW_jjP12ihipStream_tbEUlT_E0_NS1_11comp_targetILNS1_3genE8ELNS1_11target_archE1030ELNS1_3gpuE2ELNS1_3repE0EEENS1_60segmented_radix_sort_warp_sort_medium_config_static_selectorELNS0_4arch9wavefront6targetE0EEEvSK_,"axG",@progbits,_ZN7rocprim17ROCPRIM_400000_NS6detail17trampoline_kernelINS0_14default_configENS1_36segmented_radix_sort_config_selectorIslEEZNS1_25segmented_radix_sort_implIS3_Lb0EPKsPsPKlPlN2at6native12_GLOBAL__N_18offset_tEEE10hipError_tPvRmT1_PNSt15iterator_traitsISK_E10value_typeET2_T3_PNSL_ISQ_E10value_typeET4_jRbjT5_SW_jjP12ihipStream_tbEUlT_E0_NS1_11comp_targetILNS1_3genE8ELNS1_11target_archE1030ELNS1_3gpuE2ELNS1_3repE0EEENS1_60segmented_radix_sort_warp_sort_medium_config_static_selectorELNS0_4arch9wavefront6targetE0EEEvSK_,comdat
.Lfunc_end1028:
	.size	_ZN7rocprim17ROCPRIM_400000_NS6detail17trampoline_kernelINS0_14default_configENS1_36segmented_radix_sort_config_selectorIslEEZNS1_25segmented_radix_sort_implIS3_Lb0EPKsPsPKlPlN2at6native12_GLOBAL__N_18offset_tEEE10hipError_tPvRmT1_PNSt15iterator_traitsISK_E10value_typeET2_T3_PNSL_ISQ_E10value_typeET4_jRbjT5_SW_jjP12ihipStream_tbEUlT_E0_NS1_11comp_targetILNS1_3genE8ELNS1_11target_archE1030ELNS1_3gpuE2ELNS1_3repE0EEENS1_60segmented_radix_sort_warp_sort_medium_config_static_selectorELNS0_4arch9wavefront6targetE0EEEvSK_, .Lfunc_end1028-_ZN7rocprim17ROCPRIM_400000_NS6detail17trampoline_kernelINS0_14default_configENS1_36segmented_radix_sort_config_selectorIslEEZNS1_25segmented_radix_sort_implIS3_Lb0EPKsPsPKlPlN2at6native12_GLOBAL__N_18offset_tEEE10hipError_tPvRmT1_PNSt15iterator_traitsISK_E10value_typeET2_T3_PNSL_ISQ_E10value_typeET4_jRbjT5_SW_jjP12ihipStream_tbEUlT_E0_NS1_11comp_targetILNS1_3genE8ELNS1_11target_archE1030ELNS1_3gpuE2ELNS1_3repE0EEENS1_60segmented_radix_sort_warp_sort_medium_config_static_selectorELNS0_4arch9wavefront6targetE0EEEvSK_
                                        ; -- End function
	.set _ZN7rocprim17ROCPRIM_400000_NS6detail17trampoline_kernelINS0_14default_configENS1_36segmented_radix_sort_config_selectorIslEEZNS1_25segmented_radix_sort_implIS3_Lb0EPKsPsPKlPlN2at6native12_GLOBAL__N_18offset_tEEE10hipError_tPvRmT1_PNSt15iterator_traitsISK_E10value_typeET2_T3_PNSL_ISQ_E10value_typeET4_jRbjT5_SW_jjP12ihipStream_tbEUlT_E0_NS1_11comp_targetILNS1_3genE8ELNS1_11target_archE1030ELNS1_3gpuE2ELNS1_3repE0EEENS1_60segmented_radix_sort_warp_sort_medium_config_static_selectorELNS0_4arch9wavefront6targetE0EEEvSK_.num_vgpr, 0
	.set _ZN7rocprim17ROCPRIM_400000_NS6detail17trampoline_kernelINS0_14default_configENS1_36segmented_radix_sort_config_selectorIslEEZNS1_25segmented_radix_sort_implIS3_Lb0EPKsPsPKlPlN2at6native12_GLOBAL__N_18offset_tEEE10hipError_tPvRmT1_PNSt15iterator_traitsISK_E10value_typeET2_T3_PNSL_ISQ_E10value_typeET4_jRbjT5_SW_jjP12ihipStream_tbEUlT_E0_NS1_11comp_targetILNS1_3genE8ELNS1_11target_archE1030ELNS1_3gpuE2ELNS1_3repE0EEENS1_60segmented_radix_sort_warp_sort_medium_config_static_selectorELNS0_4arch9wavefront6targetE0EEEvSK_.num_agpr, 0
	.set _ZN7rocprim17ROCPRIM_400000_NS6detail17trampoline_kernelINS0_14default_configENS1_36segmented_radix_sort_config_selectorIslEEZNS1_25segmented_radix_sort_implIS3_Lb0EPKsPsPKlPlN2at6native12_GLOBAL__N_18offset_tEEE10hipError_tPvRmT1_PNSt15iterator_traitsISK_E10value_typeET2_T3_PNSL_ISQ_E10value_typeET4_jRbjT5_SW_jjP12ihipStream_tbEUlT_E0_NS1_11comp_targetILNS1_3genE8ELNS1_11target_archE1030ELNS1_3gpuE2ELNS1_3repE0EEENS1_60segmented_radix_sort_warp_sort_medium_config_static_selectorELNS0_4arch9wavefront6targetE0EEEvSK_.numbered_sgpr, 0
	.set _ZN7rocprim17ROCPRIM_400000_NS6detail17trampoline_kernelINS0_14default_configENS1_36segmented_radix_sort_config_selectorIslEEZNS1_25segmented_radix_sort_implIS3_Lb0EPKsPsPKlPlN2at6native12_GLOBAL__N_18offset_tEEE10hipError_tPvRmT1_PNSt15iterator_traitsISK_E10value_typeET2_T3_PNSL_ISQ_E10value_typeET4_jRbjT5_SW_jjP12ihipStream_tbEUlT_E0_NS1_11comp_targetILNS1_3genE8ELNS1_11target_archE1030ELNS1_3gpuE2ELNS1_3repE0EEENS1_60segmented_radix_sort_warp_sort_medium_config_static_selectorELNS0_4arch9wavefront6targetE0EEEvSK_.num_named_barrier, 0
	.set _ZN7rocprim17ROCPRIM_400000_NS6detail17trampoline_kernelINS0_14default_configENS1_36segmented_radix_sort_config_selectorIslEEZNS1_25segmented_radix_sort_implIS3_Lb0EPKsPsPKlPlN2at6native12_GLOBAL__N_18offset_tEEE10hipError_tPvRmT1_PNSt15iterator_traitsISK_E10value_typeET2_T3_PNSL_ISQ_E10value_typeET4_jRbjT5_SW_jjP12ihipStream_tbEUlT_E0_NS1_11comp_targetILNS1_3genE8ELNS1_11target_archE1030ELNS1_3gpuE2ELNS1_3repE0EEENS1_60segmented_radix_sort_warp_sort_medium_config_static_selectorELNS0_4arch9wavefront6targetE0EEEvSK_.private_seg_size, 0
	.set _ZN7rocprim17ROCPRIM_400000_NS6detail17trampoline_kernelINS0_14default_configENS1_36segmented_radix_sort_config_selectorIslEEZNS1_25segmented_radix_sort_implIS3_Lb0EPKsPsPKlPlN2at6native12_GLOBAL__N_18offset_tEEE10hipError_tPvRmT1_PNSt15iterator_traitsISK_E10value_typeET2_T3_PNSL_ISQ_E10value_typeET4_jRbjT5_SW_jjP12ihipStream_tbEUlT_E0_NS1_11comp_targetILNS1_3genE8ELNS1_11target_archE1030ELNS1_3gpuE2ELNS1_3repE0EEENS1_60segmented_radix_sort_warp_sort_medium_config_static_selectorELNS0_4arch9wavefront6targetE0EEEvSK_.uses_vcc, 0
	.set _ZN7rocprim17ROCPRIM_400000_NS6detail17trampoline_kernelINS0_14default_configENS1_36segmented_radix_sort_config_selectorIslEEZNS1_25segmented_radix_sort_implIS3_Lb0EPKsPsPKlPlN2at6native12_GLOBAL__N_18offset_tEEE10hipError_tPvRmT1_PNSt15iterator_traitsISK_E10value_typeET2_T3_PNSL_ISQ_E10value_typeET4_jRbjT5_SW_jjP12ihipStream_tbEUlT_E0_NS1_11comp_targetILNS1_3genE8ELNS1_11target_archE1030ELNS1_3gpuE2ELNS1_3repE0EEENS1_60segmented_radix_sort_warp_sort_medium_config_static_selectorELNS0_4arch9wavefront6targetE0EEEvSK_.uses_flat_scratch, 0
	.set _ZN7rocprim17ROCPRIM_400000_NS6detail17trampoline_kernelINS0_14default_configENS1_36segmented_radix_sort_config_selectorIslEEZNS1_25segmented_radix_sort_implIS3_Lb0EPKsPsPKlPlN2at6native12_GLOBAL__N_18offset_tEEE10hipError_tPvRmT1_PNSt15iterator_traitsISK_E10value_typeET2_T3_PNSL_ISQ_E10value_typeET4_jRbjT5_SW_jjP12ihipStream_tbEUlT_E0_NS1_11comp_targetILNS1_3genE8ELNS1_11target_archE1030ELNS1_3gpuE2ELNS1_3repE0EEENS1_60segmented_radix_sort_warp_sort_medium_config_static_selectorELNS0_4arch9wavefront6targetE0EEEvSK_.has_dyn_sized_stack, 0
	.set _ZN7rocprim17ROCPRIM_400000_NS6detail17trampoline_kernelINS0_14default_configENS1_36segmented_radix_sort_config_selectorIslEEZNS1_25segmented_radix_sort_implIS3_Lb0EPKsPsPKlPlN2at6native12_GLOBAL__N_18offset_tEEE10hipError_tPvRmT1_PNSt15iterator_traitsISK_E10value_typeET2_T3_PNSL_ISQ_E10value_typeET4_jRbjT5_SW_jjP12ihipStream_tbEUlT_E0_NS1_11comp_targetILNS1_3genE8ELNS1_11target_archE1030ELNS1_3gpuE2ELNS1_3repE0EEENS1_60segmented_radix_sort_warp_sort_medium_config_static_selectorELNS0_4arch9wavefront6targetE0EEEvSK_.has_recursion, 0
	.set _ZN7rocprim17ROCPRIM_400000_NS6detail17trampoline_kernelINS0_14default_configENS1_36segmented_radix_sort_config_selectorIslEEZNS1_25segmented_radix_sort_implIS3_Lb0EPKsPsPKlPlN2at6native12_GLOBAL__N_18offset_tEEE10hipError_tPvRmT1_PNSt15iterator_traitsISK_E10value_typeET2_T3_PNSL_ISQ_E10value_typeET4_jRbjT5_SW_jjP12ihipStream_tbEUlT_E0_NS1_11comp_targetILNS1_3genE8ELNS1_11target_archE1030ELNS1_3gpuE2ELNS1_3repE0EEENS1_60segmented_radix_sort_warp_sort_medium_config_static_selectorELNS0_4arch9wavefront6targetE0EEEvSK_.has_indirect_call, 0
	.section	.AMDGPU.csdata,"",@progbits
; Kernel info:
; codeLenInByte = 0
; TotalNumSgprs: 0
; NumVgprs: 0
; ScratchSize: 0
; MemoryBound: 0
; FloatMode: 240
; IeeeMode: 1
; LDSByteSize: 0 bytes/workgroup (compile time only)
; SGPRBlocks: 0
; VGPRBlocks: 0
; NumSGPRsForWavesPerEU: 1
; NumVGPRsForWavesPerEU: 1
; NamedBarCnt: 0
; Occupancy: 16
; WaveLimiterHint : 0
; COMPUTE_PGM_RSRC2:SCRATCH_EN: 0
; COMPUTE_PGM_RSRC2:USER_SGPR: 2
; COMPUTE_PGM_RSRC2:TRAP_HANDLER: 0
; COMPUTE_PGM_RSRC2:TGID_X_EN: 1
; COMPUTE_PGM_RSRC2:TGID_Y_EN: 0
; COMPUTE_PGM_RSRC2:TGID_Z_EN: 0
; COMPUTE_PGM_RSRC2:TIDIG_COMP_CNT: 0
	.section	.text._ZN7rocprim17ROCPRIM_400000_NS6detail17trampoline_kernelINS0_14default_configENS1_36segmented_radix_sort_config_selectorIslEEZNS1_25segmented_radix_sort_implIS3_Lb0EPKsPsPKlPlN2at6native12_GLOBAL__N_18offset_tEEE10hipError_tPvRmT1_PNSt15iterator_traitsISK_E10value_typeET2_T3_PNSL_ISQ_E10value_typeET4_jRbjT5_SW_jjP12ihipStream_tbEUlT_E1_NS1_11comp_targetILNS1_3genE0ELNS1_11target_archE4294967295ELNS1_3gpuE0ELNS1_3repE0EEENS1_59segmented_radix_sort_warp_sort_small_config_static_selectorELNS0_4arch9wavefront6targetE0EEEvSK_,"axG",@progbits,_ZN7rocprim17ROCPRIM_400000_NS6detail17trampoline_kernelINS0_14default_configENS1_36segmented_radix_sort_config_selectorIslEEZNS1_25segmented_radix_sort_implIS3_Lb0EPKsPsPKlPlN2at6native12_GLOBAL__N_18offset_tEEE10hipError_tPvRmT1_PNSt15iterator_traitsISK_E10value_typeET2_T3_PNSL_ISQ_E10value_typeET4_jRbjT5_SW_jjP12ihipStream_tbEUlT_E1_NS1_11comp_targetILNS1_3genE0ELNS1_11target_archE4294967295ELNS1_3gpuE0ELNS1_3repE0EEENS1_59segmented_radix_sort_warp_sort_small_config_static_selectorELNS0_4arch9wavefront6targetE0EEEvSK_,comdat
	.globl	_ZN7rocprim17ROCPRIM_400000_NS6detail17trampoline_kernelINS0_14default_configENS1_36segmented_radix_sort_config_selectorIslEEZNS1_25segmented_radix_sort_implIS3_Lb0EPKsPsPKlPlN2at6native12_GLOBAL__N_18offset_tEEE10hipError_tPvRmT1_PNSt15iterator_traitsISK_E10value_typeET2_T3_PNSL_ISQ_E10value_typeET4_jRbjT5_SW_jjP12ihipStream_tbEUlT_E1_NS1_11comp_targetILNS1_3genE0ELNS1_11target_archE4294967295ELNS1_3gpuE0ELNS1_3repE0EEENS1_59segmented_radix_sort_warp_sort_small_config_static_selectorELNS0_4arch9wavefront6targetE0EEEvSK_ ; -- Begin function _ZN7rocprim17ROCPRIM_400000_NS6detail17trampoline_kernelINS0_14default_configENS1_36segmented_radix_sort_config_selectorIslEEZNS1_25segmented_radix_sort_implIS3_Lb0EPKsPsPKlPlN2at6native12_GLOBAL__N_18offset_tEEE10hipError_tPvRmT1_PNSt15iterator_traitsISK_E10value_typeET2_T3_PNSL_ISQ_E10value_typeET4_jRbjT5_SW_jjP12ihipStream_tbEUlT_E1_NS1_11comp_targetILNS1_3genE0ELNS1_11target_archE4294967295ELNS1_3gpuE0ELNS1_3repE0EEENS1_59segmented_radix_sort_warp_sort_small_config_static_selectorELNS0_4arch9wavefront6targetE0EEEvSK_
	.p2align	8
	.type	_ZN7rocprim17ROCPRIM_400000_NS6detail17trampoline_kernelINS0_14default_configENS1_36segmented_radix_sort_config_selectorIslEEZNS1_25segmented_radix_sort_implIS3_Lb0EPKsPsPKlPlN2at6native12_GLOBAL__N_18offset_tEEE10hipError_tPvRmT1_PNSt15iterator_traitsISK_E10value_typeET2_T3_PNSL_ISQ_E10value_typeET4_jRbjT5_SW_jjP12ihipStream_tbEUlT_E1_NS1_11comp_targetILNS1_3genE0ELNS1_11target_archE4294967295ELNS1_3gpuE0ELNS1_3repE0EEENS1_59segmented_radix_sort_warp_sort_small_config_static_selectorELNS0_4arch9wavefront6targetE0EEEvSK_,@function
_ZN7rocprim17ROCPRIM_400000_NS6detail17trampoline_kernelINS0_14default_configENS1_36segmented_radix_sort_config_selectorIslEEZNS1_25segmented_radix_sort_implIS3_Lb0EPKsPsPKlPlN2at6native12_GLOBAL__N_18offset_tEEE10hipError_tPvRmT1_PNSt15iterator_traitsISK_E10value_typeET2_T3_PNSL_ISQ_E10value_typeET4_jRbjT5_SW_jjP12ihipStream_tbEUlT_E1_NS1_11comp_targetILNS1_3genE0ELNS1_11target_archE4294967295ELNS1_3gpuE0ELNS1_3repE0EEENS1_59segmented_radix_sort_warp_sort_small_config_static_selectorELNS0_4arch9wavefront6targetE0EEEvSK_: ; @_ZN7rocprim17ROCPRIM_400000_NS6detail17trampoline_kernelINS0_14default_configENS1_36segmented_radix_sort_config_selectorIslEEZNS1_25segmented_radix_sort_implIS3_Lb0EPKsPsPKlPlN2at6native12_GLOBAL__N_18offset_tEEE10hipError_tPvRmT1_PNSt15iterator_traitsISK_E10value_typeET2_T3_PNSL_ISQ_E10value_typeET4_jRbjT5_SW_jjP12ihipStream_tbEUlT_E1_NS1_11comp_targetILNS1_3genE0ELNS1_11target_archE4294967295ELNS1_3gpuE0ELNS1_3repE0EEENS1_59segmented_radix_sort_warp_sort_small_config_static_selectorELNS0_4arch9wavefront6targetE0EEEvSK_
; %bb.0:
	s_load_b32 s4, s[2:3], 0x64
	v_bfe_u32 v1, v0, 10, 10
	v_bfe_u32 v2, v0, 20, 10
	v_and_b32_e32 v3, 0x3ff, v0
	s_and_b32 s6, ttmp6, 15
	s_getreg_b32 s7, hwreg(HW_REG_IB_STS2, 6, 4)
	s_mov_b32 s32, 0
	s_wait_kmcnt 0x0
	s_lshr_b32 s5, s4, 16
	s_and_b32 s4, s4, 0xffff
	v_mad_u32_u24 v1, v2, s5, v1
	s_bfe_u32 s5, ttmp6, 0x4000c
	s_delay_alu instid0(SALU_CYCLE_1) | instskip(NEXT) | instid1(SALU_CYCLE_1)
	s_add_co_i32 s5, s5, 1
	s_mul_i32 s5, ttmp9, s5
	s_delay_alu instid0(VALU_DEP_1) | instskip(SKIP_4) | instid1(VALU_DEP_1)
	v_mad_u32 v1, v1, s4, v3
	s_load_b32 s4, s[2:3], 0x34
	s_add_co_i32 s6, s6, s5
	s_cmp_eq_u32 s7, 0
	s_cselect_b32 s5, ttmp9, s6
	v_lshrrev_b32_e32 v1, 5, v1
	s_delay_alu instid0(VALU_DEP_1) | instskip(SKIP_1) | instid1(VALU_DEP_1)
	v_lshl_add_u32 v2, s5, 3, v1
	s_wait_kmcnt 0x0
	v_cmp_gt_u32_e32 vcc_lo, s4, v2
	s_and_saveexec_b32 s4, vcc_lo
	s_cbranch_execz .LBB1029_6
; %bb.1:
	s_clause 0x1
	s_load_b64 s[8:9], s[2:3], 0x38
	s_load_b128 s[4:7], s[2:3], 0x40
	v_mov_b32_e32 v3, 0
	s_delay_alu instid0(VALU_DEP_1) | instskip(SKIP_1) | instid1(VALU_DEP_1)
	v_lshlrev_b64_e32 v[2:3], 2, v[2:3]
	s_wait_kmcnt 0x0
	v_sub_nc_u64_e32 v[2:3], s[8:9], v[2:3]
	global_load_b32 v1, v[2:3], off offset:-4
	s_wait_loadcnt 0x0
	v_dual_add_nc_u32 v2, s5, v1 :: v_dual_add_nc_u32 v1, s7, v1
	s_delay_alu instid0(VALU_DEP_1) | instskip(NEXT) | instid1(VALU_DEP_2)
	v_mul_lo_u32 v8, v2, s4
	v_mul_lo_u32 v40, v1, s6
	s_delay_alu instid0(VALU_DEP_1)
	v_cmp_gt_u32_e32 vcc_lo, v40, v8
	s_and_b32 exec_lo, exec_lo, vcc_lo
	s_cbranch_execz .LBB1029_6
; %bb.2:
	s_clause 0x3
	s_load_b32 s4, s[2:3], 0x30
	s_load_b128 s[36:39], s[2:3], 0x20
	s_load_b256 s[20:27], s[2:3], 0x0
	s_load_b64 s[18:19], s[2:3], 0x50
	s_add_nc_u64 s[16:17], s[2:3], 0x58
	s_get_pc_i64 s[28:29]
	s_add_nc_u64 s[28:29], s[28:29], _ZN7rocprim17ROCPRIM_400000_NS6detail26segmented_warp_sort_helperINS1_20WarpSortHelperConfigILj32ELj4ELj256EEEslLi256ELb0EvE4sortIPKsPsPKlPlEEvT_T0_T1_T2_jjjjRNS5_12storage_typeE@rel64+4
	s_wait_kmcnt 0x0
	s_bitcmp0_b32 s4, 0
	s_mov_b32 s4, -1
	s_cbranch_scc0 .LBB1029_4
; %bb.3:
	s_mov_b64 s[2:3], src_shared_base
	v_dual_mov_b32 v31, v0 :: v_dual_mov_b32 v41, v0
	v_dual_mov_b32 v0, s20 :: v_dual_mov_b32 v1, s21
	;; [unrolled: 1-line block ×7, first 2 shown]
	v_mov_b32_e32 v13, s3
	s_mov_b64 s[6:7], s[0:1]
	s_mov_b64 s[8:9], s[16:17]
	;; [unrolled: 1-line block ×3, first 2 shown]
	s_swap_pc_i64 s[30:31], s[28:29]
	v_mov_b32_e32 v0, v41
	s_mov_b64 s[0:1], s[22:23]
	s_mov_b32 s4, 0
.LBB1029_4:
	s_delay_alu instid0(SALU_CYCLE_1)
	s_and_not1_b32 vcc_lo, exec_lo, s4
	s_cbranch_vccnz .LBB1029_6
; %bb.5:
	s_mov_b64 s[2:3], src_shared_base
	v_dual_mov_b32 v31, v0 :: v_dual_mov_b32 v0, s20
	v_dual_mov_b32 v1, s21 :: v_dual_mov_b32 v2, s24
	;; [unrolled: 1-line block ×7, first 2 shown]
	s_mov_b64 s[6:7], s[0:1]
	s_mov_b64 s[8:9], s[16:17]
	s_swap_pc_i64 s[30:31], s[28:29]
.LBB1029_6:
	s_endpgm
	.section	.rodata,"a",@progbits
	.p2align	6, 0x0
	.amdhsa_kernel _ZN7rocprim17ROCPRIM_400000_NS6detail17trampoline_kernelINS0_14default_configENS1_36segmented_radix_sort_config_selectorIslEEZNS1_25segmented_radix_sort_implIS3_Lb0EPKsPsPKlPlN2at6native12_GLOBAL__N_18offset_tEEE10hipError_tPvRmT1_PNSt15iterator_traitsISK_E10value_typeET2_T3_PNSL_ISQ_E10value_typeET4_jRbjT5_SW_jjP12ihipStream_tbEUlT_E1_NS1_11comp_targetILNS1_3genE0ELNS1_11target_archE4294967295ELNS1_3gpuE0ELNS1_3repE0EEENS1_59segmented_radix_sort_warp_sort_small_config_static_selectorELNS0_4arch9wavefront6targetE0EEEvSK_
		.amdhsa_group_segment_fixed_size 10240
		.amdhsa_private_segment_fixed_size 0
		.amdhsa_kernarg_size 344
		.amdhsa_user_sgpr_count 4
		.amdhsa_user_sgpr_dispatch_ptr 0
		.amdhsa_user_sgpr_queue_ptr 1
		.amdhsa_user_sgpr_kernarg_segment_ptr 1
		.amdhsa_user_sgpr_dispatch_id 0
		.amdhsa_user_sgpr_kernarg_preload_length 0
		.amdhsa_user_sgpr_kernarg_preload_offset 0
		.amdhsa_user_sgpr_private_segment_size 0
		.amdhsa_wavefront_size32 1
		.amdhsa_uses_dynamic_stack 0
		.amdhsa_enable_private_segment 0
		.amdhsa_system_sgpr_workgroup_id_x 1
		.amdhsa_system_sgpr_workgroup_id_y 1
		.amdhsa_system_sgpr_workgroup_id_z 0
		.amdhsa_system_sgpr_workgroup_info 0
		.amdhsa_system_vgpr_workitem_id 2
		.amdhsa_next_free_vgpr 53
		.amdhsa_next_free_sgpr 40
		.amdhsa_named_barrier_count 0
		.amdhsa_reserve_vcc 1
		.amdhsa_float_round_mode_32 0
		.amdhsa_float_round_mode_16_64 0
		.amdhsa_float_denorm_mode_32 3
		.amdhsa_float_denorm_mode_16_64 3
		.amdhsa_fp16_overflow 0
		.amdhsa_memory_ordered 1
		.amdhsa_forward_progress 1
		.amdhsa_inst_pref_size 5
		.amdhsa_round_robin_scheduling 0
		.amdhsa_exception_fp_ieee_invalid_op 0
		.amdhsa_exception_fp_denorm_src 0
		.amdhsa_exception_fp_ieee_div_zero 0
		.amdhsa_exception_fp_ieee_overflow 0
		.amdhsa_exception_fp_ieee_underflow 0
		.amdhsa_exception_fp_ieee_inexact 0
		.amdhsa_exception_int_div_zero 0
	.end_amdhsa_kernel
	.section	.text._ZN7rocprim17ROCPRIM_400000_NS6detail17trampoline_kernelINS0_14default_configENS1_36segmented_radix_sort_config_selectorIslEEZNS1_25segmented_radix_sort_implIS3_Lb0EPKsPsPKlPlN2at6native12_GLOBAL__N_18offset_tEEE10hipError_tPvRmT1_PNSt15iterator_traitsISK_E10value_typeET2_T3_PNSL_ISQ_E10value_typeET4_jRbjT5_SW_jjP12ihipStream_tbEUlT_E1_NS1_11comp_targetILNS1_3genE0ELNS1_11target_archE4294967295ELNS1_3gpuE0ELNS1_3repE0EEENS1_59segmented_radix_sort_warp_sort_small_config_static_selectorELNS0_4arch9wavefront6targetE0EEEvSK_,"axG",@progbits,_ZN7rocprim17ROCPRIM_400000_NS6detail17trampoline_kernelINS0_14default_configENS1_36segmented_radix_sort_config_selectorIslEEZNS1_25segmented_radix_sort_implIS3_Lb0EPKsPsPKlPlN2at6native12_GLOBAL__N_18offset_tEEE10hipError_tPvRmT1_PNSt15iterator_traitsISK_E10value_typeET2_T3_PNSL_ISQ_E10value_typeET4_jRbjT5_SW_jjP12ihipStream_tbEUlT_E1_NS1_11comp_targetILNS1_3genE0ELNS1_11target_archE4294967295ELNS1_3gpuE0ELNS1_3repE0EEENS1_59segmented_radix_sort_warp_sort_small_config_static_selectorELNS0_4arch9wavefront6targetE0EEEvSK_,comdat
.Lfunc_end1029:
	.size	_ZN7rocprim17ROCPRIM_400000_NS6detail17trampoline_kernelINS0_14default_configENS1_36segmented_radix_sort_config_selectorIslEEZNS1_25segmented_radix_sort_implIS3_Lb0EPKsPsPKlPlN2at6native12_GLOBAL__N_18offset_tEEE10hipError_tPvRmT1_PNSt15iterator_traitsISK_E10value_typeET2_T3_PNSL_ISQ_E10value_typeET4_jRbjT5_SW_jjP12ihipStream_tbEUlT_E1_NS1_11comp_targetILNS1_3genE0ELNS1_11target_archE4294967295ELNS1_3gpuE0ELNS1_3repE0EEENS1_59segmented_radix_sort_warp_sort_small_config_static_selectorELNS0_4arch9wavefront6targetE0EEEvSK_, .Lfunc_end1029-_ZN7rocprim17ROCPRIM_400000_NS6detail17trampoline_kernelINS0_14default_configENS1_36segmented_radix_sort_config_selectorIslEEZNS1_25segmented_radix_sort_implIS3_Lb0EPKsPsPKlPlN2at6native12_GLOBAL__N_18offset_tEEE10hipError_tPvRmT1_PNSt15iterator_traitsISK_E10value_typeET2_T3_PNSL_ISQ_E10value_typeET4_jRbjT5_SW_jjP12ihipStream_tbEUlT_E1_NS1_11comp_targetILNS1_3genE0ELNS1_11target_archE4294967295ELNS1_3gpuE0ELNS1_3repE0EEENS1_59segmented_radix_sort_warp_sort_small_config_static_selectorELNS0_4arch9wavefront6targetE0EEEvSK_
                                        ; -- End function
	.set _ZN7rocprim17ROCPRIM_400000_NS6detail17trampoline_kernelINS0_14default_configENS1_36segmented_radix_sort_config_selectorIslEEZNS1_25segmented_radix_sort_implIS3_Lb0EPKsPsPKlPlN2at6native12_GLOBAL__N_18offset_tEEE10hipError_tPvRmT1_PNSt15iterator_traitsISK_E10value_typeET2_T3_PNSL_ISQ_E10value_typeET4_jRbjT5_SW_jjP12ihipStream_tbEUlT_E1_NS1_11comp_targetILNS1_3genE0ELNS1_11target_archE4294967295ELNS1_3gpuE0ELNS1_3repE0EEENS1_59segmented_radix_sort_warp_sort_small_config_static_selectorELNS0_4arch9wavefront6targetE0EEEvSK_.num_vgpr, max(42, .L_ZN7rocprim17ROCPRIM_400000_NS6detail26segmented_warp_sort_helperINS1_20WarpSortHelperConfigILj32ELj4ELj256EEEslLi256ELb0EvE4sortIPKsPsPKlPlEEvT_T0_T1_T2_jjjjRNS5_12storage_typeE.num_vgpr)
	.set _ZN7rocprim17ROCPRIM_400000_NS6detail17trampoline_kernelINS0_14default_configENS1_36segmented_radix_sort_config_selectorIslEEZNS1_25segmented_radix_sort_implIS3_Lb0EPKsPsPKlPlN2at6native12_GLOBAL__N_18offset_tEEE10hipError_tPvRmT1_PNSt15iterator_traitsISK_E10value_typeET2_T3_PNSL_ISQ_E10value_typeET4_jRbjT5_SW_jjP12ihipStream_tbEUlT_E1_NS1_11comp_targetILNS1_3genE0ELNS1_11target_archE4294967295ELNS1_3gpuE0ELNS1_3repE0EEENS1_59segmented_radix_sort_warp_sort_small_config_static_selectorELNS0_4arch9wavefront6targetE0EEEvSK_.num_agpr, max(0, .L_ZN7rocprim17ROCPRIM_400000_NS6detail26segmented_warp_sort_helperINS1_20WarpSortHelperConfigILj32ELj4ELj256EEEslLi256ELb0EvE4sortIPKsPsPKlPlEEvT_T0_T1_T2_jjjjRNS5_12storage_typeE.num_agpr)
	.set _ZN7rocprim17ROCPRIM_400000_NS6detail17trampoline_kernelINS0_14default_configENS1_36segmented_radix_sort_config_selectorIslEEZNS1_25segmented_radix_sort_implIS3_Lb0EPKsPsPKlPlN2at6native12_GLOBAL__N_18offset_tEEE10hipError_tPvRmT1_PNSt15iterator_traitsISK_E10value_typeET2_T3_PNSL_ISQ_E10value_typeET4_jRbjT5_SW_jjP12ihipStream_tbEUlT_E1_NS1_11comp_targetILNS1_3genE0ELNS1_11target_archE4294967295ELNS1_3gpuE0ELNS1_3repE0EEENS1_59segmented_radix_sort_warp_sort_small_config_static_selectorELNS0_4arch9wavefront6targetE0EEEvSK_.numbered_sgpr, max(40, .L_ZN7rocprim17ROCPRIM_400000_NS6detail26segmented_warp_sort_helperINS1_20WarpSortHelperConfigILj32ELj4ELj256EEEslLi256ELb0EvE4sortIPKsPsPKlPlEEvT_T0_T1_T2_jjjjRNS5_12storage_typeE.numbered_sgpr)
	.set _ZN7rocprim17ROCPRIM_400000_NS6detail17trampoline_kernelINS0_14default_configENS1_36segmented_radix_sort_config_selectorIslEEZNS1_25segmented_radix_sort_implIS3_Lb0EPKsPsPKlPlN2at6native12_GLOBAL__N_18offset_tEEE10hipError_tPvRmT1_PNSt15iterator_traitsISK_E10value_typeET2_T3_PNSL_ISQ_E10value_typeET4_jRbjT5_SW_jjP12ihipStream_tbEUlT_E1_NS1_11comp_targetILNS1_3genE0ELNS1_11target_archE4294967295ELNS1_3gpuE0ELNS1_3repE0EEENS1_59segmented_radix_sort_warp_sort_small_config_static_selectorELNS0_4arch9wavefront6targetE0EEEvSK_.num_named_barrier, max(0, .L_ZN7rocprim17ROCPRIM_400000_NS6detail26segmented_warp_sort_helperINS1_20WarpSortHelperConfigILj32ELj4ELj256EEEslLi256ELb0EvE4sortIPKsPsPKlPlEEvT_T0_T1_T2_jjjjRNS5_12storage_typeE.num_named_barrier)
	.set _ZN7rocprim17ROCPRIM_400000_NS6detail17trampoline_kernelINS0_14default_configENS1_36segmented_radix_sort_config_selectorIslEEZNS1_25segmented_radix_sort_implIS3_Lb0EPKsPsPKlPlN2at6native12_GLOBAL__N_18offset_tEEE10hipError_tPvRmT1_PNSt15iterator_traitsISK_E10value_typeET2_T3_PNSL_ISQ_E10value_typeET4_jRbjT5_SW_jjP12ihipStream_tbEUlT_E1_NS1_11comp_targetILNS1_3genE0ELNS1_11target_archE4294967295ELNS1_3gpuE0ELNS1_3repE0EEENS1_59segmented_radix_sort_warp_sort_small_config_static_selectorELNS0_4arch9wavefront6targetE0EEEvSK_.private_seg_size, 0+max(.L_ZN7rocprim17ROCPRIM_400000_NS6detail26segmented_warp_sort_helperINS1_20WarpSortHelperConfigILj32ELj4ELj256EEEslLi256ELb0EvE4sortIPKsPsPKlPlEEvT_T0_T1_T2_jjjjRNS5_12storage_typeE.private_seg_size)
	.set _ZN7rocprim17ROCPRIM_400000_NS6detail17trampoline_kernelINS0_14default_configENS1_36segmented_radix_sort_config_selectorIslEEZNS1_25segmented_radix_sort_implIS3_Lb0EPKsPsPKlPlN2at6native12_GLOBAL__N_18offset_tEEE10hipError_tPvRmT1_PNSt15iterator_traitsISK_E10value_typeET2_T3_PNSL_ISQ_E10value_typeET4_jRbjT5_SW_jjP12ihipStream_tbEUlT_E1_NS1_11comp_targetILNS1_3genE0ELNS1_11target_archE4294967295ELNS1_3gpuE0ELNS1_3repE0EEENS1_59segmented_radix_sort_warp_sort_small_config_static_selectorELNS0_4arch9wavefront6targetE0EEEvSK_.uses_vcc, or(1, .L_ZN7rocprim17ROCPRIM_400000_NS6detail26segmented_warp_sort_helperINS1_20WarpSortHelperConfigILj32ELj4ELj256EEEslLi256ELb0EvE4sortIPKsPsPKlPlEEvT_T0_T1_T2_jjjjRNS5_12storage_typeE.uses_vcc)
	.set _ZN7rocprim17ROCPRIM_400000_NS6detail17trampoline_kernelINS0_14default_configENS1_36segmented_radix_sort_config_selectorIslEEZNS1_25segmented_radix_sort_implIS3_Lb0EPKsPsPKlPlN2at6native12_GLOBAL__N_18offset_tEEE10hipError_tPvRmT1_PNSt15iterator_traitsISK_E10value_typeET2_T3_PNSL_ISQ_E10value_typeET4_jRbjT5_SW_jjP12ihipStream_tbEUlT_E1_NS1_11comp_targetILNS1_3genE0ELNS1_11target_archE4294967295ELNS1_3gpuE0ELNS1_3repE0EEENS1_59segmented_radix_sort_warp_sort_small_config_static_selectorELNS0_4arch9wavefront6targetE0EEEvSK_.uses_flat_scratch, or(0, .L_ZN7rocprim17ROCPRIM_400000_NS6detail26segmented_warp_sort_helperINS1_20WarpSortHelperConfigILj32ELj4ELj256EEEslLi256ELb0EvE4sortIPKsPsPKlPlEEvT_T0_T1_T2_jjjjRNS5_12storage_typeE.uses_flat_scratch)
	.set _ZN7rocprim17ROCPRIM_400000_NS6detail17trampoline_kernelINS0_14default_configENS1_36segmented_radix_sort_config_selectorIslEEZNS1_25segmented_radix_sort_implIS3_Lb0EPKsPsPKlPlN2at6native12_GLOBAL__N_18offset_tEEE10hipError_tPvRmT1_PNSt15iterator_traitsISK_E10value_typeET2_T3_PNSL_ISQ_E10value_typeET4_jRbjT5_SW_jjP12ihipStream_tbEUlT_E1_NS1_11comp_targetILNS1_3genE0ELNS1_11target_archE4294967295ELNS1_3gpuE0ELNS1_3repE0EEENS1_59segmented_radix_sort_warp_sort_small_config_static_selectorELNS0_4arch9wavefront6targetE0EEEvSK_.has_dyn_sized_stack, or(0, .L_ZN7rocprim17ROCPRIM_400000_NS6detail26segmented_warp_sort_helperINS1_20WarpSortHelperConfigILj32ELj4ELj256EEEslLi256ELb0EvE4sortIPKsPsPKlPlEEvT_T0_T1_T2_jjjjRNS5_12storage_typeE.has_dyn_sized_stack)
	.set _ZN7rocprim17ROCPRIM_400000_NS6detail17trampoline_kernelINS0_14default_configENS1_36segmented_radix_sort_config_selectorIslEEZNS1_25segmented_radix_sort_implIS3_Lb0EPKsPsPKlPlN2at6native12_GLOBAL__N_18offset_tEEE10hipError_tPvRmT1_PNSt15iterator_traitsISK_E10value_typeET2_T3_PNSL_ISQ_E10value_typeET4_jRbjT5_SW_jjP12ihipStream_tbEUlT_E1_NS1_11comp_targetILNS1_3genE0ELNS1_11target_archE4294967295ELNS1_3gpuE0ELNS1_3repE0EEENS1_59segmented_radix_sort_warp_sort_small_config_static_selectorELNS0_4arch9wavefront6targetE0EEEvSK_.has_recursion, or(0, .L_ZN7rocprim17ROCPRIM_400000_NS6detail26segmented_warp_sort_helperINS1_20WarpSortHelperConfigILj32ELj4ELj256EEEslLi256ELb0EvE4sortIPKsPsPKlPlEEvT_T0_T1_T2_jjjjRNS5_12storage_typeE.has_recursion)
	.set _ZN7rocprim17ROCPRIM_400000_NS6detail17trampoline_kernelINS0_14default_configENS1_36segmented_radix_sort_config_selectorIslEEZNS1_25segmented_radix_sort_implIS3_Lb0EPKsPsPKlPlN2at6native12_GLOBAL__N_18offset_tEEE10hipError_tPvRmT1_PNSt15iterator_traitsISK_E10value_typeET2_T3_PNSL_ISQ_E10value_typeET4_jRbjT5_SW_jjP12ihipStream_tbEUlT_E1_NS1_11comp_targetILNS1_3genE0ELNS1_11target_archE4294967295ELNS1_3gpuE0ELNS1_3repE0EEENS1_59segmented_radix_sort_warp_sort_small_config_static_selectorELNS0_4arch9wavefront6targetE0EEEvSK_.has_indirect_call, or(0, .L_ZN7rocprim17ROCPRIM_400000_NS6detail26segmented_warp_sort_helperINS1_20WarpSortHelperConfigILj32ELj4ELj256EEEslLi256ELb0EvE4sortIPKsPsPKlPlEEvT_T0_T1_T2_jjjjRNS5_12storage_typeE.has_indirect_call)
	.section	.AMDGPU.csdata,"",@progbits
; Kernel info:
; codeLenInByte = 520
; TotalNumSgprs: 42
; NumVgprs: 53
; ScratchSize: 0
; MemoryBound: 0
; FloatMode: 240
; IeeeMode: 1
; LDSByteSize: 10240 bytes/workgroup (compile time only)
; SGPRBlocks: 0
; VGPRBlocks: 3
; NumSGPRsForWavesPerEU: 42
; NumVGPRsForWavesPerEU: 53
; NamedBarCnt: 0
; Occupancy: 16
; WaveLimiterHint : 0
; COMPUTE_PGM_RSRC2:SCRATCH_EN: 0
; COMPUTE_PGM_RSRC2:USER_SGPR: 4
; COMPUTE_PGM_RSRC2:TRAP_HANDLER: 0
; COMPUTE_PGM_RSRC2:TGID_X_EN: 1
; COMPUTE_PGM_RSRC2:TGID_Y_EN: 1
; COMPUTE_PGM_RSRC2:TGID_Z_EN: 0
; COMPUTE_PGM_RSRC2:TIDIG_COMP_CNT: 2
	.section	.text._ZN7rocprim17ROCPRIM_400000_NS6detail17trampoline_kernelINS0_14default_configENS1_36segmented_radix_sort_config_selectorIslEEZNS1_25segmented_radix_sort_implIS3_Lb0EPKsPsPKlPlN2at6native12_GLOBAL__N_18offset_tEEE10hipError_tPvRmT1_PNSt15iterator_traitsISK_E10value_typeET2_T3_PNSL_ISQ_E10value_typeET4_jRbjT5_SW_jjP12ihipStream_tbEUlT_E1_NS1_11comp_targetILNS1_3genE5ELNS1_11target_archE942ELNS1_3gpuE9ELNS1_3repE0EEENS1_59segmented_radix_sort_warp_sort_small_config_static_selectorELNS0_4arch9wavefront6targetE0EEEvSK_,"axG",@progbits,_ZN7rocprim17ROCPRIM_400000_NS6detail17trampoline_kernelINS0_14default_configENS1_36segmented_radix_sort_config_selectorIslEEZNS1_25segmented_radix_sort_implIS3_Lb0EPKsPsPKlPlN2at6native12_GLOBAL__N_18offset_tEEE10hipError_tPvRmT1_PNSt15iterator_traitsISK_E10value_typeET2_T3_PNSL_ISQ_E10value_typeET4_jRbjT5_SW_jjP12ihipStream_tbEUlT_E1_NS1_11comp_targetILNS1_3genE5ELNS1_11target_archE942ELNS1_3gpuE9ELNS1_3repE0EEENS1_59segmented_radix_sort_warp_sort_small_config_static_selectorELNS0_4arch9wavefront6targetE0EEEvSK_,comdat
	.globl	_ZN7rocprim17ROCPRIM_400000_NS6detail17trampoline_kernelINS0_14default_configENS1_36segmented_radix_sort_config_selectorIslEEZNS1_25segmented_radix_sort_implIS3_Lb0EPKsPsPKlPlN2at6native12_GLOBAL__N_18offset_tEEE10hipError_tPvRmT1_PNSt15iterator_traitsISK_E10value_typeET2_T3_PNSL_ISQ_E10value_typeET4_jRbjT5_SW_jjP12ihipStream_tbEUlT_E1_NS1_11comp_targetILNS1_3genE5ELNS1_11target_archE942ELNS1_3gpuE9ELNS1_3repE0EEENS1_59segmented_radix_sort_warp_sort_small_config_static_selectorELNS0_4arch9wavefront6targetE0EEEvSK_ ; -- Begin function _ZN7rocprim17ROCPRIM_400000_NS6detail17trampoline_kernelINS0_14default_configENS1_36segmented_radix_sort_config_selectorIslEEZNS1_25segmented_radix_sort_implIS3_Lb0EPKsPsPKlPlN2at6native12_GLOBAL__N_18offset_tEEE10hipError_tPvRmT1_PNSt15iterator_traitsISK_E10value_typeET2_T3_PNSL_ISQ_E10value_typeET4_jRbjT5_SW_jjP12ihipStream_tbEUlT_E1_NS1_11comp_targetILNS1_3genE5ELNS1_11target_archE942ELNS1_3gpuE9ELNS1_3repE0EEENS1_59segmented_radix_sort_warp_sort_small_config_static_selectorELNS0_4arch9wavefront6targetE0EEEvSK_
	.p2align	8
	.type	_ZN7rocprim17ROCPRIM_400000_NS6detail17trampoline_kernelINS0_14default_configENS1_36segmented_radix_sort_config_selectorIslEEZNS1_25segmented_radix_sort_implIS3_Lb0EPKsPsPKlPlN2at6native12_GLOBAL__N_18offset_tEEE10hipError_tPvRmT1_PNSt15iterator_traitsISK_E10value_typeET2_T3_PNSL_ISQ_E10value_typeET4_jRbjT5_SW_jjP12ihipStream_tbEUlT_E1_NS1_11comp_targetILNS1_3genE5ELNS1_11target_archE942ELNS1_3gpuE9ELNS1_3repE0EEENS1_59segmented_radix_sort_warp_sort_small_config_static_selectorELNS0_4arch9wavefront6targetE0EEEvSK_,@function
_ZN7rocprim17ROCPRIM_400000_NS6detail17trampoline_kernelINS0_14default_configENS1_36segmented_radix_sort_config_selectorIslEEZNS1_25segmented_radix_sort_implIS3_Lb0EPKsPsPKlPlN2at6native12_GLOBAL__N_18offset_tEEE10hipError_tPvRmT1_PNSt15iterator_traitsISK_E10value_typeET2_T3_PNSL_ISQ_E10value_typeET4_jRbjT5_SW_jjP12ihipStream_tbEUlT_E1_NS1_11comp_targetILNS1_3genE5ELNS1_11target_archE942ELNS1_3gpuE9ELNS1_3repE0EEENS1_59segmented_radix_sort_warp_sort_small_config_static_selectorELNS0_4arch9wavefront6targetE0EEEvSK_: ; @_ZN7rocprim17ROCPRIM_400000_NS6detail17trampoline_kernelINS0_14default_configENS1_36segmented_radix_sort_config_selectorIslEEZNS1_25segmented_radix_sort_implIS3_Lb0EPKsPsPKlPlN2at6native12_GLOBAL__N_18offset_tEEE10hipError_tPvRmT1_PNSt15iterator_traitsISK_E10value_typeET2_T3_PNSL_ISQ_E10value_typeET4_jRbjT5_SW_jjP12ihipStream_tbEUlT_E1_NS1_11comp_targetILNS1_3genE5ELNS1_11target_archE942ELNS1_3gpuE9ELNS1_3repE0EEENS1_59segmented_radix_sort_warp_sort_small_config_static_selectorELNS0_4arch9wavefront6targetE0EEEvSK_
; %bb.0:
	.section	.rodata,"a",@progbits
	.p2align	6, 0x0
	.amdhsa_kernel _ZN7rocprim17ROCPRIM_400000_NS6detail17trampoline_kernelINS0_14default_configENS1_36segmented_radix_sort_config_selectorIslEEZNS1_25segmented_radix_sort_implIS3_Lb0EPKsPsPKlPlN2at6native12_GLOBAL__N_18offset_tEEE10hipError_tPvRmT1_PNSt15iterator_traitsISK_E10value_typeET2_T3_PNSL_ISQ_E10value_typeET4_jRbjT5_SW_jjP12ihipStream_tbEUlT_E1_NS1_11comp_targetILNS1_3genE5ELNS1_11target_archE942ELNS1_3gpuE9ELNS1_3repE0EEENS1_59segmented_radix_sort_warp_sort_small_config_static_selectorELNS0_4arch9wavefront6targetE0EEEvSK_
		.amdhsa_group_segment_fixed_size 0
		.amdhsa_private_segment_fixed_size 0
		.amdhsa_kernarg_size 88
		.amdhsa_user_sgpr_count 2
		.amdhsa_user_sgpr_dispatch_ptr 0
		.amdhsa_user_sgpr_queue_ptr 0
		.amdhsa_user_sgpr_kernarg_segment_ptr 1
		.amdhsa_user_sgpr_dispatch_id 0
		.amdhsa_user_sgpr_kernarg_preload_length 0
		.amdhsa_user_sgpr_kernarg_preload_offset 0
		.amdhsa_user_sgpr_private_segment_size 0
		.amdhsa_wavefront_size32 1
		.amdhsa_uses_dynamic_stack 0
		.amdhsa_enable_private_segment 0
		.amdhsa_system_sgpr_workgroup_id_x 1
		.amdhsa_system_sgpr_workgroup_id_y 0
		.amdhsa_system_sgpr_workgroup_id_z 0
		.amdhsa_system_sgpr_workgroup_info 0
		.amdhsa_system_vgpr_workitem_id 0
		.amdhsa_next_free_vgpr 1
		.amdhsa_next_free_sgpr 1
		.amdhsa_named_barrier_count 0
		.amdhsa_reserve_vcc 0
		.amdhsa_float_round_mode_32 0
		.amdhsa_float_round_mode_16_64 0
		.amdhsa_float_denorm_mode_32 3
		.amdhsa_float_denorm_mode_16_64 3
		.amdhsa_fp16_overflow 0
		.amdhsa_memory_ordered 1
		.amdhsa_forward_progress 1
		.amdhsa_inst_pref_size 0
		.amdhsa_round_robin_scheduling 0
		.amdhsa_exception_fp_ieee_invalid_op 0
		.amdhsa_exception_fp_denorm_src 0
		.amdhsa_exception_fp_ieee_div_zero 0
		.amdhsa_exception_fp_ieee_overflow 0
		.amdhsa_exception_fp_ieee_underflow 0
		.amdhsa_exception_fp_ieee_inexact 0
		.amdhsa_exception_int_div_zero 0
	.end_amdhsa_kernel
	.section	.text._ZN7rocprim17ROCPRIM_400000_NS6detail17trampoline_kernelINS0_14default_configENS1_36segmented_radix_sort_config_selectorIslEEZNS1_25segmented_radix_sort_implIS3_Lb0EPKsPsPKlPlN2at6native12_GLOBAL__N_18offset_tEEE10hipError_tPvRmT1_PNSt15iterator_traitsISK_E10value_typeET2_T3_PNSL_ISQ_E10value_typeET4_jRbjT5_SW_jjP12ihipStream_tbEUlT_E1_NS1_11comp_targetILNS1_3genE5ELNS1_11target_archE942ELNS1_3gpuE9ELNS1_3repE0EEENS1_59segmented_radix_sort_warp_sort_small_config_static_selectorELNS0_4arch9wavefront6targetE0EEEvSK_,"axG",@progbits,_ZN7rocprim17ROCPRIM_400000_NS6detail17trampoline_kernelINS0_14default_configENS1_36segmented_radix_sort_config_selectorIslEEZNS1_25segmented_radix_sort_implIS3_Lb0EPKsPsPKlPlN2at6native12_GLOBAL__N_18offset_tEEE10hipError_tPvRmT1_PNSt15iterator_traitsISK_E10value_typeET2_T3_PNSL_ISQ_E10value_typeET4_jRbjT5_SW_jjP12ihipStream_tbEUlT_E1_NS1_11comp_targetILNS1_3genE5ELNS1_11target_archE942ELNS1_3gpuE9ELNS1_3repE0EEENS1_59segmented_radix_sort_warp_sort_small_config_static_selectorELNS0_4arch9wavefront6targetE0EEEvSK_,comdat
.Lfunc_end1030:
	.size	_ZN7rocprim17ROCPRIM_400000_NS6detail17trampoline_kernelINS0_14default_configENS1_36segmented_radix_sort_config_selectorIslEEZNS1_25segmented_radix_sort_implIS3_Lb0EPKsPsPKlPlN2at6native12_GLOBAL__N_18offset_tEEE10hipError_tPvRmT1_PNSt15iterator_traitsISK_E10value_typeET2_T3_PNSL_ISQ_E10value_typeET4_jRbjT5_SW_jjP12ihipStream_tbEUlT_E1_NS1_11comp_targetILNS1_3genE5ELNS1_11target_archE942ELNS1_3gpuE9ELNS1_3repE0EEENS1_59segmented_radix_sort_warp_sort_small_config_static_selectorELNS0_4arch9wavefront6targetE0EEEvSK_, .Lfunc_end1030-_ZN7rocprim17ROCPRIM_400000_NS6detail17trampoline_kernelINS0_14default_configENS1_36segmented_radix_sort_config_selectorIslEEZNS1_25segmented_radix_sort_implIS3_Lb0EPKsPsPKlPlN2at6native12_GLOBAL__N_18offset_tEEE10hipError_tPvRmT1_PNSt15iterator_traitsISK_E10value_typeET2_T3_PNSL_ISQ_E10value_typeET4_jRbjT5_SW_jjP12ihipStream_tbEUlT_E1_NS1_11comp_targetILNS1_3genE5ELNS1_11target_archE942ELNS1_3gpuE9ELNS1_3repE0EEENS1_59segmented_radix_sort_warp_sort_small_config_static_selectorELNS0_4arch9wavefront6targetE0EEEvSK_
                                        ; -- End function
	.set _ZN7rocprim17ROCPRIM_400000_NS6detail17trampoline_kernelINS0_14default_configENS1_36segmented_radix_sort_config_selectorIslEEZNS1_25segmented_radix_sort_implIS3_Lb0EPKsPsPKlPlN2at6native12_GLOBAL__N_18offset_tEEE10hipError_tPvRmT1_PNSt15iterator_traitsISK_E10value_typeET2_T3_PNSL_ISQ_E10value_typeET4_jRbjT5_SW_jjP12ihipStream_tbEUlT_E1_NS1_11comp_targetILNS1_3genE5ELNS1_11target_archE942ELNS1_3gpuE9ELNS1_3repE0EEENS1_59segmented_radix_sort_warp_sort_small_config_static_selectorELNS0_4arch9wavefront6targetE0EEEvSK_.num_vgpr, 0
	.set _ZN7rocprim17ROCPRIM_400000_NS6detail17trampoline_kernelINS0_14default_configENS1_36segmented_radix_sort_config_selectorIslEEZNS1_25segmented_radix_sort_implIS3_Lb0EPKsPsPKlPlN2at6native12_GLOBAL__N_18offset_tEEE10hipError_tPvRmT1_PNSt15iterator_traitsISK_E10value_typeET2_T3_PNSL_ISQ_E10value_typeET4_jRbjT5_SW_jjP12ihipStream_tbEUlT_E1_NS1_11comp_targetILNS1_3genE5ELNS1_11target_archE942ELNS1_3gpuE9ELNS1_3repE0EEENS1_59segmented_radix_sort_warp_sort_small_config_static_selectorELNS0_4arch9wavefront6targetE0EEEvSK_.num_agpr, 0
	.set _ZN7rocprim17ROCPRIM_400000_NS6detail17trampoline_kernelINS0_14default_configENS1_36segmented_radix_sort_config_selectorIslEEZNS1_25segmented_radix_sort_implIS3_Lb0EPKsPsPKlPlN2at6native12_GLOBAL__N_18offset_tEEE10hipError_tPvRmT1_PNSt15iterator_traitsISK_E10value_typeET2_T3_PNSL_ISQ_E10value_typeET4_jRbjT5_SW_jjP12ihipStream_tbEUlT_E1_NS1_11comp_targetILNS1_3genE5ELNS1_11target_archE942ELNS1_3gpuE9ELNS1_3repE0EEENS1_59segmented_radix_sort_warp_sort_small_config_static_selectorELNS0_4arch9wavefront6targetE0EEEvSK_.numbered_sgpr, 0
	.set _ZN7rocprim17ROCPRIM_400000_NS6detail17trampoline_kernelINS0_14default_configENS1_36segmented_radix_sort_config_selectorIslEEZNS1_25segmented_radix_sort_implIS3_Lb0EPKsPsPKlPlN2at6native12_GLOBAL__N_18offset_tEEE10hipError_tPvRmT1_PNSt15iterator_traitsISK_E10value_typeET2_T3_PNSL_ISQ_E10value_typeET4_jRbjT5_SW_jjP12ihipStream_tbEUlT_E1_NS1_11comp_targetILNS1_3genE5ELNS1_11target_archE942ELNS1_3gpuE9ELNS1_3repE0EEENS1_59segmented_radix_sort_warp_sort_small_config_static_selectorELNS0_4arch9wavefront6targetE0EEEvSK_.num_named_barrier, 0
	.set _ZN7rocprim17ROCPRIM_400000_NS6detail17trampoline_kernelINS0_14default_configENS1_36segmented_radix_sort_config_selectorIslEEZNS1_25segmented_radix_sort_implIS3_Lb0EPKsPsPKlPlN2at6native12_GLOBAL__N_18offset_tEEE10hipError_tPvRmT1_PNSt15iterator_traitsISK_E10value_typeET2_T3_PNSL_ISQ_E10value_typeET4_jRbjT5_SW_jjP12ihipStream_tbEUlT_E1_NS1_11comp_targetILNS1_3genE5ELNS1_11target_archE942ELNS1_3gpuE9ELNS1_3repE0EEENS1_59segmented_radix_sort_warp_sort_small_config_static_selectorELNS0_4arch9wavefront6targetE0EEEvSK_.private_seg_size, 0
	.set _ZN7rocprim17ROCPRIM_400000_NS6detail17trampoline_kernelINS0_14default_configENS1_36segmented_radix_sort_config_selectorIslEEZNS1_25segmented_radix_sort_implIS3_Lb0EPKsPsPKlPlN2at6native12_GLOBAL__N_18offset_tEEE10hipError_tPvRmT1_PNSt15iterator_traitsISK_E10value_typeET2_T3_PNSL_ISQ_E10value_typeET4_jRbjT5_SW_jjP12ihipStream_tbEUlT_E1_NS1_11comp_targetILNS1_3genE5ELNS1_11target_archE942ELNS1_3gpuE9ELNS1_3repE0EEENS1_59segmented_radix_sort_warp_sort_small_config_static_selectorELNS0_4arch9wavefront6targetE0EEEvSK_.uses_vcc, 0
	.set _ZN7rocprim17ROCPRIM_400000_NS6detail17trampoline_kernelINS0_14default_configENS1_36segmented_radix_sort_config_selectorIslEEZNS1_25segmented_radix_sort_implIS3_Lb0EPKsPsPKlPlN2at6native12_GLOBAL__N_18offset_tEEE10hipError_tPvRmT1_PNSt15iterator_traitsISK_E10value_typeET2_T3_PNSL_ISQ_E10value_typeET4_jRbjT5_SW_jjP12ihipStream_tbEUlT_E1_NS1_11comp_targetILNS1_3genE5ELNS1_11target_archE942ELNS1_3gpuE9ELNS1_3repE0EEENS1_59segmented_radix_sort_warp_sort_small_config_static_selectorELNS0_4arch9wavefront6targetE0EEEvSK_.uses_flat_scratch, 0
	.set _ZN7rocprim17ROCPRIM_400000_NS6detail17trampoline_kernelINS0_14default_configENS1_36segmented_radix_sort_config_selectorIslEEZNS1_25segmented_radix_sort_implIS3_Lb0EPKsPsPKlPlN2at6native12_GLOBAL__N_18offset_tEEE10hipError_tPvRmT1_PNSt15iterator_traitsISK_E10value_typeET2_T3_PNSL_ISQ_E10value_typeET4_jRbjT5_SW_jjP12ihipStream_tbEUlT_E1_NS1_11comp_targetILNS1_3genE5ELNS1_11target_archE942ELNS1_3gpuE9ELNS1_3repE0EEENS1_59segmented_radix_sort_warp_sort_small_config_static_selectorELNS0_4arch9wavefront6targetE0EEEvSK_.has_dyn_sized_stack, 0
	.set _ZN7rocprim17ROCPRIM_400000_NS6detail17trampoline_kernelINS0_14default_configENS1_36segmented_radix_sort_config_selectorIslEEZNS1_25segmented_radix_sort_implIS3_Lb0EPKsPsPKlPlN2at6native12_GLOBAL__N_18offset_tEEE10hipError_tPvRmT1_PNSt15iterator_traitsISK_E10value_typeET2_T3_PNSL_ISQ_E10value_typeET4_jRbjT5_SW_jjP12ihipStream_tbEUlT_E1_NS1_11comp_targetILNS1_3genE5ELNS1_11target_archE942ELNS1_3gpuE9ELNS1_3repE0EEENS1_59segmented_radix_sort_warp_sort_small_config_static_selectorELNS0_4arch9wavefront6targetE0EEEvSK_.has_recursion, 0
	.set _ZN7rocprim17ROCPRIM_400000_NS6detail17trampoline_kernelINS0_14default_configENS1_36segmented_radix_sort_config_selectorIslEEZNS1_25segmented_radix_sort_implIS3_Lb0EPKsPsPKlPlN2at6native12_GLOBAL__N_18offset_tEEE10hipError_tPvRmT1_PNSt15iterator_traitsISK_E10value_typeET2_T3_PNSL_ISQ_E10value_typeET4_jRbjT5_SW_jjP12ihipStream_tbEUlT_E1_NS1_11comp_targetILNS1_3genE5ELNS1_11target_archE942ELNS1_3gpuE9ELNS1_3repE0EEENS1_59segmented_radix_sort_warp_sort_small_config_static_selectorELNS0_4arch9wavefront6targetE0EEEvSK_.has_indirect_call, 0
	.section	.AMDGPU.csdata,"",@progbits
; Kernel info:
; codeLenInByte = 0
; TotalNumSgprs: 0
; NumVgprs: 0
; ScratchSize: 0
; MemoryBound: 0
; FloatMode: 240
; IeeeMode: 1
; LDSByteSize: 0 bytes/workgroup (compile time only)
; SGPRBlocks: 0
; VGPRBlocks: 0
; NumSGPRsForWavesPerEU: 1
; NumVGPRsForWavesPerEU: 1
; NamedBarCnt: 0
; Occupancy: 16
; WaveLimiterHint : 0
; COMPUTE_PGM_RSRC2:SCRATCH_EN: 0
; COMPUTE_PGM_RSRC2:USER_SGPR: 2
; COMPUTE_PGM_RSRC2:TRAP_HANDLER: 0
; COMPUTE_PGM_RSRC2:TGID_X_EN: 1
; COMPUTE_PGM_RSRC2:TGID_Y_EN: 0
; COMPUTE_PGM_RSRC2:TGID_Z_EN: 0
; COMPUTE_PGM_RSRC2:TIDIG_COMP_CNT: 0
	.section	.text._ZN7rocprim17ROCPRIM_400000_NS6detail17trampoline_kernelINS0_14default_configENS1_36segmented_radix_sort_config_selectorIslEEZNS1_25segmented_radix_sort_implIS3_Lb0EPKsPsPKlPlN2at6native12_GLOBAL__N_18offset_tEEE10hipError_tPvRmT1_PNSt15iterator_traitsISK_E10value_typeET2_T3_PNSL_ISQ_E10value_typeET4_jRbjT5_SW_jjP12ihipStream_tbEUlT_E1_NS1_11comp_targetILNS1_3genE4ELNS1_11target_archE910ELNS1_3gpuE8ELNS1_3repE0EEENS1_59segmented_radix_sort_warp_sort_small_config_static_selectorELNS0_4arch9wavefront6targetE0EEEvSK_,"axG",@progbits,_ZN7rocprim17ROCPRIM_400000_NS6detail17trampoline_kernelINS0_14default_configENS1_36segmented_radix_sort_config_selectorIslEEZNS1_25segmented_radix_sort_implIS3_Lb0EPKsPsPKlPlN2at6native12_GLOBAL__N_18offset_tEEE10hipError_tPvRmT1_PNSt15iterator_traitsISK_E10value_typeET2_T3_PNSL_ISQ_E10value_typeET4_jRbjT5_SW_jjP12ihipStream_tbEUlT_E1_NS1_11comp_targetILNS1_3genE4ELNS1_11target_archE910ELNS1_3gpuE8ELNS1_3repE0EEENS1_59segmented_radix_sort_warp_sort_small_config_static_selectorELNS0_4arch9wavefront6targetE0EEEvSK_,comdat
	.globl	_ZN7rocprim17ROCPRIM_400000_NS6detail17trampoline_kernelINS0_14default_configENS1_36segmented_radix_sort_config_selectorIslEEZNS1_25segmented_radix_sort_implIS3_Lb0EPKsPsPKlPlN2at6native12_GLOBAL__N_18offset_tEEE10hipError_tPvRmT1_PNSt15iterator_traitsISK_E10value_typeET2_T3_PNSL_ISQ_E10value_typeET4_jRbjT5_SW_jjP12ihipStream_tbEUlT_E1_NS1_11comp_targetILNS1_3genE4ELNS1_11target_archE910ELNS1_3gpuE8ELNS1_3repE0EEENS1_59segmented_radix_sort_warp_sort_small_config_static_selectorELNS0_4arch9wavefront6targetE0EEEvSK_ ; -- Begin function _ZN7rocprim17ROCPRIM_400000_NS6detail17trampoline_kernelINS0_14default_configENS1_36segmented_radix_sort_config_selectorIslEEZNS1_25segmented_radix_sort_implIS3_Lb0EPKsPsPKlPlN2at6native12_GLOBAL__N_18offset_tEEE10hipError_tPvRmT1_PNSt15iterator_traitsISK_E10value_typeET2_T3_PNSL_ISQ_E10value_typeET4_jRbjT5_SW_jjP12ihipStream_tbEUlT_E1_NS1_11comp_targetILNS1_3genE4ELNS1_11target_archE910ELNS1_3gpuE8ELNS1_3repE0EEENS1_59segmented_radix_sort_warp_sort_small_config_static_selectorELNS0_4arch9wavefront6targetE0EEEvSK_
	.p2align	8
	.type	_ZN7rocprim17ROCPRIM_400000_NS6detail17trampoline_kernelINS0_14default_configENS1_36segmented_radix_sort_config_selectorIslEEZNS1_25segmented_radix_sort_implIS3_Lb0EPKsPsPKlPlN2at6native12_GLOBAL__N_18offset_tEEE10hipError_tPvRmT1_PNSt15iterator_traitsISK_E10value_typeET2_T3_PNSL_ISQ_E10value_typeET4_jRbjT5_SW_jjP12ihipStream_tbEUlT_E1_NS1_11comp_targetILNS1_3genE4ELNS1_11target_archE910ELNS1_3gpuE8ELNS1_3repE0EEENS1_59segmented_radix_sort_warp_sort_small_config_static_selectorELNS0_4arch9wavefront6targetE0EEEvSK_,@function
_ZN7rocprim17ROCPRIM_400000_NS6detail17trampoline_kernelINS0_14default_configENS1_36segmented_radix_sort_config_selectorIslEEZNS1_25segmented_radix_sort_implIS3_Lb0EPKsPsPKlPlN2at6native12_GLOBAL__N_18offset_tEEE10hipError_tPvRmT1_PNSt15iterator_traitsISK_E10value_typeET2_T3_PNSL_ISQ_E10value_typeET4_jRbjT5_SW_jjP12ihipStream_tbEUlT_E1_NS1_11comp_targetILNS1_3genE4ELNS1_11target_archE910ELNS1_3gpuE8ELNS1_3repE0EEENS1_59segmented_radix_sort_warp_sort_small_config_static_selectorELNS0_4arch9wavefront6targetE0EEEvSK_: ; @_ZN7rocprim17ROCPRIM_400000_NS6detail17trampoline_kernelINS0_14default_configENS1_36segmented_radix_sort_config_selectorIslEEZNS1_25segmented_radix_sort_implIS3_Lb0EPKsPsPKlPlN2at6native12_GLOBAL__N_18offset_tEEE10hipError_tPvRmT1_PNSt15iterator_traitsISK_E10value_typeET2_T3_PNSL_ISQ_E10value_typeET4_jRbjT5_SW_jjP12ihipStream_tbEUlT_E1_NS1_11comp_targetILNS1_3genE4ELNS1_11target_archE910ELNS1_3gpuE8ELNS1_3repE0EEENS1_59segmented_radix_sort_warp_sort_small_config_static_selectorELNS0_4arch9wavefront6targetE0EEEvSK_
; %bb.0:
	.section	.rodata,"a",@progbits
	.p2align	6, 0x0
	.amdhsa_kernel _ZN7rocprim17ROCPRIM_400000_NS6detail17trampoline_kernelINS0_14default_configENS1_36segmented_radix_sort_config_selectorIslEEZNS1_25segmented_radix_sort_implIS3_Lb0EPKsPsPKlPlN2at6native12_GLOBAL__N_18offset_tEEE10hipError_tPvRmT1_PNSt15iterator_traitsISK_E10value_typeET2_T3_PNSL_ISQ_E10value_typeET4_jRbjT5_SW_jjP12ihipStream_tbEUlT_E1_NS1_11comp_targetILNS1_3genE4ELNS1_11target_archE910ELNS1_3gpuE8ELNS1_3repE0EEENS1_59segmented_radix_sort_warp_sort_small_config_static_selectorELNS0_4arch9wavefront6targetE0EEEvSK_
		.amdhsa_group_segment_fixed_size 0
		.amdhsa_private_segment_fixed_size 0
		.amdhsa_kernarg_size 88
		.amdhsa_user_sgpr_count 2
		.amdhsa_user_sgpr_dispatch_ptr 0
		.amdhsa_user_sgpr_queue_ptr 0
		.amdhsa_user_sgpr_kernarg_segment_ptr 1
		.amdhsa_user_sgpr_dispatch_id 0
		.amdhsa_user_sgpr_kernarg_preload_length 0
		.amdhsa_user_sgpr_kernarg_preload_offset 0
		.amdhsa_user_sgpr_private_segment_size 0
		.amdhsa_wavefront_size32 1
		.amdhsa_uses_dynamic_stack 0
		.amdhsa_enable_private_segment 0
		.amdhsa_system_sgpr_workgroup_id_x 1
		.amdhsa_system_sgpr_workgroup_id_y 0
		.amdhsa_system_sgpr_workgroup_id_z 0
		.amdhsa_system_sgpr_workgroup_info 0
		.amdhsa_system_vgpr_workitem_id 0
		.amdhsa_next_free_vgpr 1
		.amdhsa_next_free_sgpr 1
		.amdhsa_named_barrier_count 0
		.amdhsa_reserve_vcc 0
		.amdhsa_float_round_mode_32 0
		.amdhsa_float_round_mode_16_64 0
		.amdhsa_float_denorm_mode_32 3
		.amdhsa_float_denorm_mode_16_64 3
		.amdhsa_fp16_overflow 0
		.amdhsa_memory_ordered 1
		.amdhsa_forward_progress 1
		.amdhsa_inst_pref_size 0
		.amdhsa_round_robin_scheduling 0
		.amdhsa_exception_fp_ieee_invalid_op 0
		.amdhsa_exception_fp_denorm_src 0
		.amdhsa_exception_fp_ieee_div_zero 0
		.amdhsa_exception_fp_ieee_overflow 0
		.amdhsa_exception_fp_ieee_underflow 0
		.amdhsa_exception_fp_ieee_inexact 0
		.amdhsa_exception_int_div_zero 0
	.end_amdhsa_kernel
	.section	.text._ZN7rocprim17ROCPRIM_400000_NS6detail17trampoline_kernelINS0_14default_configENS1_36segmented_radix_sort_config_selectorIslEEZNS1_25segmented_radix_sort_implIS3_Lb0EPKsPsPKlPlN2at6native12_GLOBAL__N_18offset_tEEE10hipError_tPvRmT1_PNSt15iterator_traitsISK_E10value_typeET2_T3_PNSL_ISQ_E10value_typeET4_jRbjT5_SW_jjP12ihipStream_tbEUlT_E1_NS1_11comp_targetILNS1_3genE4ELNS1_11target_archE910ELNS1_3gpuE8ELNS1_3repE0EEENS1_59segmented_radix_sort_warp_sort_small_config_static_selectorELNS0_4arch9wavefront6targetE0EEEvSK_,"axG",@progbits,_ZN7rocprim17ROCPRIM_400000_NS6detail17trampoline_kernelINS0_14default_configENS1_36segmented_radix_sort_config_selectorIslEEZNS1_25segmented_radix_sort_implIS3_Lb0EPKsPsPKlPlN2at6native12_GLOBAL__N_18offset_tEEE10hipError_tPvRmT1_PNSt15iterator_traitsISK_E10value_typeET2_T3_PNSL_ISQ_E10value_typeET4_jRbjT5_SW_jjP12ihipStream_tbEUlT_E1_NS1_11comp_targetILNS1_3genE4ELNS1_11target_archE910ELNS1_3gpuE8ELNS1_3repE0EEENS1_59segmented_radix_sort_warp_sort_small_config_static_selectorELNS0_4arch9wavefront6targetE0EEEvSK_,comdat
.Lfunc_end1031:
	.size	_ZN7rocprim17ROCPRIM_400000_NS6detail17trampoline_kernelINS0_14default_configENS1_36segmented_radix_sort_config_selectorIslEEZNS1_25segmented_radix_sort_implIS3_Lb0EPKsPsPKlPlN2at6native12_GLOBAL__N_18offset_tEEE10hipError_tPvRmT1_PNSt15iterator_traitsISK_E10value_typeET2_T3_PNSL_ISQ_E10value_typeET4_jRbjT5_SW_jjP12ihipStream_tbEUlT_E1_NS1_11comp_targetILNS1_3genE4ELNS1_11target_archE910ELNS1_3gpuE8ELNS1_3repE0EEENS1_59segmented_radix_sort_warp_sort_small_config_static_selectorELNS0_4arch9wavefront6targetE0EEEvSK_, .Lfunc_end1031-_ZN7rocprim17ROCPRIM_400000_NS6detail17trampoline_kernelINS0_14default_configENS1_36segmented_radix_sort_config_selectorIslEEZNS1_25segmented_radix_sort_implIS3_Lb0EPKsPsPKlPlN2at6native12_GLOBAL__N_18offset_tEEE10hipError_tPvRmT1_PNSt15iterator_traitsISK_E10value_typeET2_T3_PNSL_ISQ_E10value_typeET4_jRbjT5_SW_jjP12ihipStream_tbEUlT_E1_NS1_11comp_targetILNS1_3genE4ELNS1_11target_archE910ELNS1_3gpuE8ELNS1_3repE0EEENS1_59segmented_radix_sort_warp_sort_small_config_static_selectorELNS0_4arch9wavefront6targetE0EEEvSK_
                                        ; -- End function
	.set _ZN7rocprim17ROCPRIM_400000_NS6detail17trampoline_kernelINS0_14default_configENS1_36segmented_radix_sort_config_selectorIslEEZNS1_25segmented_radix_sort_implIS3_Lb0EPKsPsPKlPlN2at6native12_GLOBAL__N_18offset_tEEE10hipError_tPvRmT1_PNSt15iterator_traitsISK_E10value_typeET2_T3_PNSL_ISQ_E10value_typeET4_jRbjT5_SW_jjP12ihipStream_tbEUlT_E1_NS1_11comp_targetILNS1_3genE4ELNS1_11target_archE910ELNS1_3gpuE8ELNS1_3repE0EEENS1_59segmented_radix_sort_warp_sort_small_config_static_selectorELNS0_4arch9wavefront6targetE0EEEvSK_.num_vgpr, 0
	.set _ZN7rocprim17ROCPRIM_400000_NS6detail17trampoline_kernelINS0_14default_configENS1_36segmented_radix_sort_config_selectorIslEEZNS1_25segmented_radix_sort_implIS3_Lb0EPKsPsPKlPlN2at6native12_GLOBAL__N_18offset_tEEE10hipError_tPvRmT1_PNSt15iterator_traitsISK_E10value_typeET2_T3_PNSL_ISQ_E10value_typeET4_jRbjT5_SW_jjP12ihipStream_tbEUlT_E1_NS1_11comp_targetILNS1_3genE4ELNS1_11target_archE910ELNS1_3gpuE8ELNS1_3repE0EEENS1_59segmented_radix_sort_warp_sort_small_config_static_selectorELNS0_4arch9wavefront6targetE0EEEvSK_.num_agpr, 0
	.set _ZN7rocprim17ROCPRIM_400000_NS6detail17trampoline_kernelINS0_14default_configENS1_36segmented_radix_sort_config_selectorIslEEZNS1_25segmented_radix_sort_implIS3_Lb0EPKsPsPKlPlN2at6native12_GLOBAL__N_18offset_tEEE10hipError_tPvRmT1_PNSt15iterator_traitsISK_E10value_typeET2_T3_PNSL_ISQ_E10value_typeET4_jRbjT5_SW_jjP12ihipStream_tbEUlT_E1_NS1_11comp_targetILNS1_3genE4ELNS1_11target_archE910ELNS1_3gpuE8ELNS1_3repE0EEENS1_59segmented_radix_sort_warp_sort_small_config_static_selectorELNS0_4arch9wavefront6targetE0EEEvSK_.numbered_sgpr, 0
	.set _ZN7rocprim17ROCPRIM_400000_NS6detail17trampoline_kernelINS0_14default_configENS1_36segmented_radix_sort_config_selectorIslEEZNS1_25segmented_radix_sort_implIS3_Lb0EPKsPsPKlPlN2at6native12_GLOBAL__N_18offset_tEEE10hipError_tPvRmT1_PNSt15iterator_traitsISK_E10value_typeET2_T3_PNSL_ISQ_E10value_typeET4_jRbjT5_SW_jjP12ihipStream_tbEUlT_E1_NS1_11comp_targetILNS1_3genE4ELNS1_11target_archE910ELNS1_3gpuE8ELNS1_3repE0EEENS1_59segmented_radix_sort_warp_sort_small_config_static_selectorELNS0_4arch9wavefront6targetE0EEEvSK_.num_named_barrier, 0
	.set _ZN7rocprim17ROCPRIM_400000_NS6detail17trampoline_kernelINS0_14default_configENS1_36segmented_radix_sort_config_selectorIslEEZNS1_25segmented_radix_sort_implIS3_Lb0EPKsPsPKlPlN2at6native12_GLOBAL__N_18offset_tEEE10hipError_tPvRmT1_PNSt15iterator_traitsISK_E10value_typeET2_T3_PNSL_ISQ_E10value_typeET4_jRbjT5_SW_jjP12ihipStream_tbEUlT_E1_NS1_11comp_targetILNS1_3genE4ELNS1_11target_archE910ELNS1_3gpuE8ELNS1_3repE0EEENS1_59segmented_radix_sort_warp_sort_small_config_static_selectorELNS0_4arch9wavefront6targetE0EEEvSK_.private_seg_size, 0
	.set _ZN7rocprim17ROCPRIM_400000_NS6detail17trampoline_kernelINS0_14default_configENS1_36segmented_radix_sort_config_selectorIslEEZNS1_25segmented_radix_sort_implIS3_Lb0EPKsPsPKlPlN2at6native12_GLOBAL__N_18offset_tEEE10hipError_tPvRmT1_PNSt15iterator_traitsISK_E10value_typeET2_T3_PNSL_ISQ_E10value_typeET4_jRbjT5_SW_jjP12ihipStream_tbEUlT_E1_NS1_11comp_targetILNS1_3genE4ELNS1_11target_archE910ELNS1_3gpuE8ELNS1_3repE0EEENS1_59segmented_radix_sort_warp_sort_small_config_static_selectorELNS0_4arch9wavefront6targetE0EEEvSK_.uses_vcc, 0
	.set _ZN7rocprim17ROCPRIM_400000_NS6detail17trampoline_kernelINS0_14default_configENS1_36segmented_radix_sort_config_selectorIslEEZNS1_25segmented_radix_sort_implIS3_Lb0EPKsPsPKlPlN2at6native12_GLOBAL__N_18offset_tEEE10hipError_tPvRmT1_PNSt15iterator_traitsISK_E10value_typeET2_T3_PNSL_ISQ_E10value_typeET4_jRbjT5_SW_jjP12ihipStream_tbEUlT_E1_NS1_11comp_targetILNS1_3genE4ELNS1_11target_archE910ELNS1_3gpuE8ELNS1_3repE0EEENS1_59segmented_radix_sort_warp_sort_small_config_static_selectorELNS0_4arch9wavefront6targetE0EEEvSK_.uses_flat_scratch, 0
	.set _ZN7rocprim17ROCPRIM_400000_NS6detail17trampoline_kernelINS0_14default_configENS1_36segmented_radix_sort_config_selectorIslEEZNS1_25segmented_radix_sort_implIS3_Lb0EPKsPsPKlPlN2at6native12_GLOBAL__N_18offset_tEEE10hipError_tPvRmT1_PNSt15iterator_traitsISK_E10value_typeET2_T3_PNSL_ISQ_E10value_typeET4_jRbjT5_SW_jjP12ihipStream_tbEUlT_E1_NS1_11comp_targetILNS1_3genE4ELNS1_11target_archE910ELNS1_3gpuE8ELNS1_3repE0EEENS1_59segmented_radix_sort_warp_sort_small_config_static_selectorELNS0_4arch9wavefront6targetE0EEEvSK_.has_dyn_sized_stack, 0
	.set _ZN7rocprim17ROCPRIM_400000_NS6detail17trampoline_kernelINS0_14default_configENS1_36segmented_radix_sort_config_selectorIslEEZNS1_25segmented_radix_sort_implIS3_Lb0EPKsPsPKlPlN2at6native12_GLOBAL__N_18offset_tEEE10hipError_tPvRmT1_PNSt15iterator_traitsISK_E10value_typeET2_T3_PNSL_ISQ_E10value_typeET4_jRbjT5_SW_jjP12ihipStream_tbEUlT_E1_NS1_11comp_targetILNS1_3genE4ELNS1_11target_archE910ELNS1_3gpuE8ELNS1_3repE0EEENS1_59segmented_radix_sort_warp_sort_small_config_static_selectorELNS0_4arch9wavefront6targetE0EEEvSK_.has_recursion, 0
	.set _ZN7rocprim17ROCPRIM_400000_NS6detail17trampoline_kernelINS0_14default_configENS1_36segmented_radix_sort_config_selectorIslEEZNS1_25segmented_radix_sort_implIS3_Lb0EPKsPsPKlPlN2at6native12_GLOBAL__N_18offset_tEEE10hipError_tPvRmT1_PNSt15iterator_traitsISK_E10value_typeET2_T3_PNSL_ISQ_E10value_typeET4_jRbjT5_SW_jjP12ihipStream_tbEUlT_E1_NS1_11comp_targetILNS1_3genE4ELNS1_11target_archE910ELNS1_3gpuE8ELNS1_3repE0EEENS1_59segmented_radix_sort_warp_sort_small_config_static_selectorELNS0_4arch9wavefront6targetE0EEEvSK_.has_indirect_call, 0
	.section	.AMDGPU.csdata,"",@progbits
; Kernel info:
; codeLenInByte = 0
; TotalNumSgprs: 0
; NumVgprs: 0
; ScratchSize: 0
; MemoryBound: 0
; FloatMode: 240
; IeeeMode: 1
; LDSByteSize: 0 bytes/workgroup (compile time only)
; SGPRBlocks: 0
; VGPRBlocks: 0
; NumSGPRsForWavesPerEU: 1
; NumVGPRsForWavesPerEU: 1
; NamedBarCnt: 0
; Occupancy: 16
; WaveLimiterHint : 0
; COMPUTE_PGM_RSRC2:SCRATCH_EN: 0
; COMPUTE_PGM_RSRC2:USER_SGPR: 2
; COMPUTE_PGM_RSRC2:TRAP_HANDLER: 0
; COMPUTE_PGM_RSRC2:TGID_X_EN: 1
; COMPUTE_PGM_RSRC2:TGID_Y_EN: 0
; COMPUTE_PGM_RSRC2:TGID_Z_EN: 0
; COMPUTE_PGM_RSRC2:TIDIG_COMP_CNT: 0
	.section	.text._ZN7rocprim17ROCPRIM_400000_NS6detail17trampoline_kernelINS0_14default_configENS1_36segmented_radix_sort_config_selectorIslEEZNS1_25segmented_radix_sort_implIS3_Lb0EPKsPsPKlPlN2at6native12_GLOBAL__N_18offset_tEEE10hipError_tPvRmT1_PNSt15iterator_traitsISK_E10value_typeET2_T3_PNSL_ISQ_E10value_typeET4_jRbjT5_SW_jjP12ihipStream_tbEUlT_E1_NS1_11comp_targetILNS1_3genE3ELNS1_11target_archE908ELNS1_3gpuE7ELNS1_3repE0EEENS1_59segmented_radix_sort_warp_sort_small_config_static_selectorELNS0_4arch9wavefront6targetE0EEEvSK_,"axG",@progbits,_ZN7rocprim17ROCPRIM_400000_NS6detail17trampoline_kernelINS0_14default_configENS1_36segmented_radix_sort_config_selectorIslEEZNS1_25segmented_radix_sort_implIS3_Lb0EPKsPsPKlPlN2at6native12_GLOBAL__N_18offset_tEEE10hipError_tPvRmT1_PNSt15iterator_traitsISK_E10value_typeET2_T3_PNSL_ISQ_E10value_typeET4_jRbjT5_SW_jjP12ihipStream_tbEUlT_E1_NS1_11comp_targetILNS1_3genE3ELNS1_11target_archE908ELNS1_3gpuE7ELNS1_3repE0EEENS1_59segmented_radix_sort_warp_sort_small_config_static_selectorELNS0_4arch9wavefront6targetE0EEEvSK_,comdat
	.globl	_ZN7rocprim17ROCPRIM_400000_NS6detail17trampoline_kernelINS0_14default_configENS1_36segmented_radix_sort_config_selectorIslEEZNS1_25segmented_radix_sort_implIS3_Lb0EPKsPsPKlPlN2at6native12_GLOBAL__N_18offset_tEEE10hipError_tPvRmT1_PNSt15iterator_traitsISK_E10value_typeET2_T3_PNSL_ISQ_E10value_typeET4_jRbjT5_SW_jjP12ihipStream_tbEUlT_E1_NS1_11comp_targetILNS1_3genE3ELNS1_11target_archE908ELNS1_3gpuE7ELNS1_3repE0EEENS1_59segmented_radix_sort_warp_sort_small_config_static_selectorELNS0_4arch9wavefront6targetE0EEEvSK_ ; -- Begin function _ZN7rocprim17ROCPRIM_400000_NS6detail17trampoline_kernelINS0_14default_configENS1_36segmented_radix_sort_config_selectorIslEEZNS1_25segmented_radix_sort_implIS3_Lb0EPKsPsPKlPlN2at6native12_GLOBAL__N_18offset_tEEE10hipError_tPvRmT1_PNSt15iterator_traitsISK_E10value_typeET2_T3_PNSL_ISQ_E10value_typeET4_jRbjT5_SW_jjP12ihipStream_tbEUlT_E1_NS1_11comp_targetILNS1_3genE3ELNS1_11target_archE908ELNS1_3gpuE7ELNS1_3repE0EEENS1_59segmented_radix_sort_warp_sort_small_config_static_selectorELNS0_4arch9wavefront6targetE0EEEvSK_
	.p2align	8
	.type	_ZN7rocprim17ROCPRIM_400000_NS6detail17trampoline_kernelINS0_14default_configENS1_36segmented_radix_sort_config_selectorIslEEZNS1_25segmented_radix_sort_implIS3_Lb0EPKsPsPKlPlN2at6native12_GLOBAL__N_18offset_tEEE10hipError_tPvRmT1_PNSt15iterator_traitsISK_E10value_typeET2_T3_PNSL_ISQ_E10value_typeET4_jRbjT5_SW_jjP12ihipStream_tbEUlT_E1_NS1_11comp_targetILNS1_3genE3ELNS1_11target_archE908ELNS1_3gpuE7ELNS1_3repE0EEENS1_59segmented_radix_sort_warp_sort_small_config_static_selectorELNS0_4arch9wavefront6targetE0EEEvSK_,@function
_ZN7rocprim17ROCPRIM_400000_NS6detail17trampoline_kernelINS0_14default_configENS1_36segmented_radix_sort_config_selectorIslEEZNS1_25segmented_radix_sort_implIS3_Lb0EPKsPsPKlPlN2at6native12_GLOBAL__N_18offset_tEEE10hipError_tPvRmT1_PNSt15iterator_traitsISK_E10value_typeET2_T3_PNSL_ISQ_E10value_typeET4_jRbjT5_SW_jjP12ihipStream_tbEUlT_E1_NS1_11comp_targetILNS1_3genE3ELNS1_11target_archE908ELNS1_3gpuE7ELNS1_3repE0EEENS1_59segmented_radix_sort_warp_sort_small_config_static_selectorELNS0_4arch9wavefront6targetE0EEEvSK_: ; @_ZN7rocprim17ROCPRIM_400000_NS6detail17trampoline_kernelINS0_14default_configENS1_36segmented_radix_sort_config_selectorIslEEZNS1_25segmented_radix_sort_implIS3_Lb0EPKsPsPKlPlN2at6native12_GLOBAL__N_18offset_tEEE10hipError_tPvRmT1_PNSt15iterator_traitsISK_E10value_typeET2_T3_PNSL_ISQ_E10value_typeET4_jRbjT5_SW_jjP12ihipStream_tbEUlT_E1_NS1_11comp_targetILNS1_3genE3ELNS1_11target_archE908ELNS1_3gpuE7ELNS1_3repE0EEENS1_59segmented_radix_sort_warp_sort_small_config_static_selectorELNS0_4arch9wavefront6targetE0EEEvSK_
; %bb.0:
	.section	.rodata,"a",@progbits
	.p2align	6, 0x0
	.amdhsa_kernel _ZN7rocprim17ROCPRIM_400000_NS6detail17trampoline_kernelINS0_14default_configENS1_36segmented_radix_sort_config_selectorIslEEZNS1_25segmented_radix_sort_implIS3_Lb0EPKsPsPKlPlN2at6native12_GLOBAL__N_18offset_tEEE10hipError_tPvRmT1_PNSt15iterator_traitsISK_E10value_typeET2_T3_PNSL_ISQ_E10value_typeET4_jRbjT5_SW_jjP12ihipStream_tbEUlT_E1_NS1_11comp_targetILNS1_3genE3ELNS1_11target_archE908ELNS1_3gpuE7ELNS1_3repE0EEENS1_59segmented_radix_sort_warp_sort_small_config_static_selectorELNS0_4arch9wavefront6targetE0EEEvSK_
		.amdhsa_group_segment_fixed_size 0
		.amdhsa_private_segment_fixed_size 0
		.amdhsa_kernarg_size 88
		.amdhsa_user_sgpr_count 2
		.amdhsa_user_sgpr_dispatch_ptr 0
		.amdhsa_user_sgpr_queue_ptr 0
		.amdhsa_user_sgpr_kernarg_segment_ptr 1
		.amdhsa_user_sgpr_dispatch_id 0
		.amdhsa_user_sgpr_kernarg_preload_length 0
		.amdhsa_user_sgpr_kernarg_preload_offset 0
		.amdhsa_user_sgpr_private_segment_size 0
		.amdhsa_wavefront_size32 1
		.amdhsa_uses_dynamic_stack 0
		.amdhsa_enable_private_segment 0
		.amdhsa_system_sgpr_workgroup_id_x 1
		.amdhsa_system_sgpr_workgroup_id_y 0
		.amdhsa_system_sgpr_workgroup_id_z 0
		.amdhsa_system_sgpr_workgroup_info 0
		.amdhsa_system_vgpr_workitem_id 0
		.amdhsa_next_free_vgpr 1
		.amdhsa_next_free_sgpr 1
		.amdhsa_named_barrier_count 0
		.amdhsa_reserve_vcc 0
		.amdhsa_float_round_mode_32 0
		.amdhsa_float_round_mode_16_64 0
		.amdhsa_float_denorm_mode_32 3
		.amdhsa_float_denorm_mode_16_64 3
		.amdhsa_fp16_overflow 0
		.amdhsa_memory_ordered 1
		.amdhsa_forward_progress 1
		.amdhsa_inst_pref_size 0
		.amdhsa_round_robin_scheduling 0
		.amdhsa_exception_fp_ieee_invalid_op 0
		.amdhsa_exception_fp_denorm_src 0
		.amdhsa_exception_fp_ieee_div_zero 0
		.amdhsa_exception_fp_ieee_overflow 0
		.amdhsa_exception_fp_ieee_underflow 0
		.amdhsa_exception_fp_ieee_inexact 0
		.amdhsa_exception_int_div_zero 0
	.end_amdhsa_kernel
	.section	.text._ZN7rocprim17ROCPRIM_400000_NS6detail17trampoline_kernelINS0_14default_configENS1_36segmented_radix_sort_config_selectorIslEEZNS1_25segmented_radix_sort_implIS3_Lb0EPKsPsPKlPlN2at6native12_GLOBAL__N_18offset_tEEE10hipError_tPvRmT1_PNSt15iterator_traitsISK_E10value_typeET2_T3_PNSL_ISQ_E10value_typeET4_jRbjT5_SW_jjP12ihipStream_tbEUlT_E1_NS1_11comp_targetILNS1_3genE3ELNS1_11target_archE908ELNS1_3gpuE7ELNS1_3repE0EEENS1_59segmented_radix_sort_warp_sort_small_config_static_selectorELNS0_4arch9wavefront6targetE0EEEvSK_,"axG",@progbits,_ZN7rocprim17ROCPRIM_400000_NS6detail17trampoline_kernelINS0_14default_configENS1_36segmented_radix_sort_config_selectorIslEEZNS1_25segmented_radix_sort_implIS3_Lb0EPKsPsPKlPlN2at6native12_GLOBAL__N_18offset_tEEE10hipError_tPvRmT1_PNSt15iterator_traitsISK_E10value_typeET2_T3_PNSL_ISQ_E10value_typeET4_jRbjT5_SW_jjP12ihipStream_tbEUlT_E1_NS1_11comp_targetILNS1_3genE3ELNS1_11target_archE908ELNS1_3gpuE7ELNS1_3repE0EEENS1_59segmented_radix_sort_warp_sort_small_config_static_selectorELNS0_4arch9wavefront6targetE0EEEvSK_,comdat
.Lfunc_end1032:
	.size	_ZN7rocprim17ROCPRIM_400000_NS6detail17trampoline_kernelINS0_14default_configENS1_36segmented_radix_sort_config_selectorIslEEZNS1_25segmented_radix_sort_implIS3_Lb0EPKsPsPKlPlN2at6native12_GLOBAL__N_18offset_tEEE10hipError_tPvRmT1_PNSt15iterator_traitsISK_E10value_typeET2_T3_PNSL_ISQ_E10value_typeET4_jRbjT5_SW_jjP12ihipStream_tbEUlT_E1_NS1_11comp_targetILNS1_3genE3ELNS1_11target_archE908ELNS1_3gpuE7ELNS1_3repE0EEENS1_59segmented_radix_sort_warp_sort_small_config_static_selectorELNS0_4arch9wavefront6targetE0EEEvSK_, .Lfunc_end1032-_ZN7rocprim17ROCPRIM_400000_NS6detail17trampoline_kernelINS0_14default_configENS1_36segmented_radix_sort_config_selectorIslEEZNS1_25segmented_radix_sort_implIS3_Lb0EPKsPsPKlPlN2at6native12_GLOBAL__N_18offset_tEEE10hipError_tPvRmT1_PNSt15iterator_traitsISK_E10value_typeET2_T3_PNSL_ISQ_E10value_typeET4_jRbjT5_SW_jjP12ihipStream_tbEUlT_E1_NS1_11comp_targetILNS1_3genE3ELNS1_11target_archE908ELNS1_3gpuE7ELNS1_3repE0EEENS1_59segmented_radix_sort_warp_sort_small_config_static_selectorELNS0_4arch9wavefront6targetE0EEEvSK_
                                        ; -- End function
	.set _ZN7rocprim17ROCPRIM_400000_NS6detail17trampoline_kernelINS0_14default_configENS1_36segmented_radix_sort_config_selectorIslEEZNS1_25segmented_radix_sort_implIS3_Lb0EPKsPsPKlPlN2at6native12_GLOBAL__N_18offset_tEEE10hipError_tPvRmT1_PNSt15iterator_traitsISK_E10value_typeET2_T3_PNSL_ISQ_E10value_typeET4_jRbjT5_SW_jjP12ihipStream_tbEUlT_E1_NS1_11comp_targetILNS1_3genE3ELNS1_11target_archE908ELNS1_3gpuE7ELNS1_3repE0EEENS1_59segmented_radix_sort_warp_sort_small_config_static_selectorELNS0_4arch9wavefront6targetE0EEEvSK_.num_vgpr, 0
	.set _ZN7rocprim17ROCPRIM_400000_NS6detail17trampoline_kernelINS0_14default_configENS1_36segmented_radix_sort_config_selectorIslEEZNS1_25segmented_radix_sort_implIS3_Lb0EPKsPsPKlPlN2at6native12_GLOBAL__N_18offset_tEEE10hipError_tPvRmT1_PNSt15iterator_traitsISK_E10value_typeET2_T3_PNSL_ISQ_E10value_typeET4_jRbjT5_SW_jjP12ihipStream_tbEUlT_E1_NS1_11comp_targetILNS1_3genE3ELNS1_11target_archE908ELNS1_3gpuE7ELNS1_3repE0EEENS1_59segmented_radix_sort_warp_sort_small_config_static_selectorELNS0_4arch9wavefront6targetE0EEEvSK_.num_agpr, 0
	.set _ZN7rocprim17ROCPRIM_400000_NS6detail17trampoline_kernelINS0_14default_configENS1_36segmented_radix_sort_config_selectorIslEEZNS1_25segmented_radix_sort_implIS3_Lb0EPKsPsPKlPlN2at6native12_GLOBAL__N_18offset_tEEE10hipError_tPvRmT1_PNSt15iterator_traitsISK_E10value_typeET2_T3_PNSL_ISQ_E10value_typeET4_jRbjT5_SW_jjP12ihipStream_tbEUlT_E1_NS1_11comp_targetILNS1_3genE3ELNS1_11target_archE908ELNS1_3gpuE7ELNS1_3repE0EEENS1_59segmented_radix_sort_warp_sort_small_config_static_selectorELNS0_4arch9wavefront6targetE0EEEvSK_.numbered_sgpr, 0
	.set _ZN7rocprim17ROCPRIM_400000_NS6detail17trampoline_kernelINS0_14default_configENS1_36segmented_radix_sort_config_selectorIslEEZNS1_25segmented_radix_sort_implIS3_Lb0EPKsPsPKlPlN2at6native12_GLOBAL__N_18offset_tEEE10hipError_tPvRmT1_PNSt15iterator_traitsISK_E10value_typeET2_T3_PNSL_ISQ_E10value_typeET4_jRbjT5_SW_jjP12ihipStream_tbEUlT_E1_NS1_11comp_targetILNS1_3genE3ELNS1_11target_archE908ELNS1_3gpuE7ELNS1_3repE0EEENS1_59segmented_radix_sort_warp_sort_small_config_static_selectorELNS0_4arch9wavefront6targetE0EEEvSK_.num_named_barrier, 0
	.set _ZN7rocprim17ROCPRIM_400000_NS6detail17trampoline_kernelINS0_14default_configENS1_36segmented_radix_sort_config_selectorIslEEZNS1_25segmented_radix_sort_implIS3_Lb0EPKsPsPKlPlN2at6native12_GLOBAL__N_18offset_tEEE10hipError_tPvRmT1_PNSt15iterator_traitsISK_E10value_typeET2_T3_PNSL_ISQ_E10value_typeET4_jRbjT5_SW_jjP12ihipStream_tbEUlT_E1_NS1_11comp_targetILNS1_3genE3ELNS1_11target_archE908ELNS1_3gpuE7ELNS1_3repE0EEENS1_59segmented_radix_sort_warp_sort_small_config_static_selectorELNS0_4arch9wavefront6targetE0EEEvSK_.private_seg_size, 0
	.set _ZN7rocprim17ROCPRIM_400000_NS6detail17trampoline_kernelINS0_14default_configENS1_36segmented_radix_sort_config_selectorIslEEZNS1_25segmented_radix_sort_implIS3_Lb0EPKsPsPKlPlN2at6native12_GLOBAL__N_18offset_tEEE10hipError_tPvRmT1_PNSt15iterator_traitsISK_E10value_typeET2_T3_PNSL_ISQ_E10value_typeET4_jRbjT5_SW_jjP12ihipStream_tbEUlT_E1_NS1_11comp_targetILNS1_3genE3ELNS1_11target_archE908ELNS1_3gpuE7ELNS1_3repE0EEENS1_59segmented_radix_sort_warp_sort_small_config_static_selectorELNS0_4arch9wavefront6targetE0EEEvSK_.uses_vcc, 0
	.set _ZN7rocprim17ROCPRIM_400000_NS6detail17trampoline_kernelINS0_14default_configENS1_36segmented_radix_sort_config_selectorIslEEZNS1_25segmented_radix_sort_implIS3_Lb0EPKsPsPKlPlN2at6native12_GLOBAL__N_18offset_tEEE10hipError_tPvRmT1_PNSt15iterator_traitsISK_E10value_typeET2_T3_PNSL_ISQ_E10value_typeET4_jRbjT5_SW_jjP12ihipStream_tbEUlT_E1_NS1_11comp_targetILNS1_3genE3ELNS1_11target_archE908ELNS1_3gpuE7ELNS1_3repE0EEENS1_59segmented_radix_sort_warp_sort_small_config_static_selectorELNS0_4arch9wavefront6targetE0EEEvSK_.uses_flat_scratch, 0
	.set _ZN7rocprim17ROCPRIM_400000_NS6detail17trampoline_kernelINS0_14default_configENS1_36segmented_radix_sort_config_selectorIslEEZNS1_25segmented_radix_sort_implIS3_Lb0EPKsPsPKlPlN2at6native12_GLOBAL__N_18offset_tEEE10hipError_tPvRmT1_PNSt15iterator_traitsISK_E10value_typeET2_T3_PNSL_ISQ_E10value_typeET4_jRbjT5_SW_jjP12ihipStream_tbEUlT_E1_NS1_11comp_targetILNS1_3genE3ELNS1_11target_archE908ELNS1_3gpuE7ELNS1_3repE0EEENS1_59segmented_radix_sort_warp_sort_small_config_static_selectorELNS0_4arch9wavefront6targetE0EEEvSK_.has_dyn_sized_stack, 0
	.set _ZN7rocprim17ROCPRIM_400000_NS6detail17trampoline_kernelINS0_14default_configENS1_36segmented_radix_sort_config_selectorIslEEZNS1_25segmented_radix_sort_implIS3_Lb0EPKsPsPKlPlN2at6native12_GLOBAL__N_18offset_tEEE10hipError_tPvRmT1_PNSt15iterator_traitsISK_E10value_typeET2_T3_PNSL_ISQ_E10value_typeET4_jRbjT5_SW_jjP12ihipStream_tbEUlT_E1_NS1_11comp_targetILNS1_3genE3ELNS1_11target_archE908ELNS1_3gpuE7ELNS1_3repE0EEENS1_59segmented_radix_sort_warp_sort_small_config_static_selectorELNS0_4arch9wavefront6targetE0EEEvSK_.has_recursion, 0
	.set _ZN7rocprim17ROCPRIM_400000_NS6detail17trampoline_kernelINS0_14default_configENS1_36segmented_radix_sort_config_selectorIslEEZNS1_25segmented_radix_sort_implIS3_Lb0EPKsPsPKlPlN2at6native12_GLOBAL__N_18offset_tEEE10hipError_tPvRmT1_PNSt15iterator_traitsISK_E10value_typeET2_T3_PNSL_ISQ_E10value_typeET4_jRbjT5_SW_jjP12ihipStream_tbEUlT_E1_NS1_11comp_targetILNS1_3genE3ELNS1_11target_archE908ELNS1_3gpuE7ELNS1_3repE0EEENS1_59segmented_radix_sort_warp_sort_small_config_static_selectorELNS0_4arch9wavefront6targetE0EEEvSK_.has_indirect_call, 0
	.section	.AMDGPU.csdata,"",@progbits
; Kernel info:
; codeLenInByte = 0
; TotalNumSgprs: 0
; NumVgprs: 0
; ScratchSize: 0
; MemoryBound: 0
; FloatMode: 240
; IeeeMode: 1
; LDSByteSize: 0 bytes/workgroup (compile time only)
; SGPRBlocks: 0
; VGPRBlocks: 0
; NumSGPRsForWavesPerEU: 1
; NumVGPRsForWavesPerEU: 1
; NamedBarCnt: 0
; Occupancy: 16
; WaveLimiterHint : 0
; COMPUTE_PGM_RSRC2:SCRATCH_EN: 0
; COMPUTE_PGM_RSRC2:USER_SGPR: 2
; COMPUTE_PGM_RSRC2:TRAP_HANDLER: 0
; COMPUTE_PGM_RSRC2:TGID_X_EN: 1
; COMPUTE_PGM_RSRC2:TGID_Y_EN: 0
; COMPUTE_PGM_RSRC2:TGID_Z_EN: 0
; COMPUTE_PGM_RSRC2:TIDIG_COMP_CNT: 0
	.section	.text._ZN7rocprim17ROCPRIM_400000_NS6detail17trampoline_kernelINS0_14default_configENS1_36segmented_radix_sort_config_selectorIslEEZNS1_25segmented_radix_sort_implIS3_Lb0EPKsPsPKlPlN2at6native12_GLOBAL__N_18offset_tEEE10hipError_tPvRmT1_PNSt15iterator_traitsISK_E10value_typeET2_T3_PNSL_ISQ_E10value_typeET4_jRbjT5_SW_jjP12ihipStream_tbEUlT_E1_NS1_11comp_targetILNS1_3genE2ELNS1_11target_archE906ELNS1_3gpuE6ELNS1_3repE0EEENS1_59segmented_radix_sort_warp_sort_small_config_static_selectorELNS0_4arch9wavefront6targetE0EEEvSK_,"axG",@progbits,_ZN7rocprim17ROCPRIM_400000_NS6detail17trampoline_kernelINS0_14default_configENS1_36segmented_radix_sort_config_selectorIslEEZNS1_25segmented_radix_sort_implIS3_Lb0EPKsPsPKlPlN2at6native12_GLOBAL__N_18offset_tEEE10hipError_tPvRmT1_PNSt15iterator_traitsISK_E10value_typeET2_T3_PNSL_ISQ_E10value_typeET4_jRbjT5_SW_jjP12ihipStream_tbEUlT_E1_NS1_11comp_targetILNS1_3genE2ELNS1_11target_archE906ELNS1_3gpuE6ELNS1_3repE0EEENS1_59segmented_radix_sort_warp_sort_small_config_static_selectorELNS0_4arch9wavefront6targetE0EEEvSK_,comdat
	.globl	_ZN7rocprim17ROCPRIM_400000_NS6detail17trampoline_kernelINS0_14default_configENS1_36segmented_radix_sort_config_selectorIslEEZNS1_25segmented_radix_sort_implIS3_Lb0EPKsPsPKlPlN2at6native12_GLOBAL__N_18offset_tEEE10hipError_tPvRmT1_PNSt15iterator_traitsISK_E10value_typeET2_T3_PNSL_ISQ_E10value_typeET4_jRbjT5_SW_jjP12ihipStream_tbEUlT_E1_NS1_11comp_targetILNS1_3genE2ELNS1_11target_archE906ELNS1_3gpuE6ELNS1_3repE0EEENS1_59segmented_radix_sort_warp_sort_small_config_static_selectorELNS0_4arch9wavefront6targetE0EEEvSK_ ; -- Begin function _ZN7rocprim17ROCPRIM_400000_NS6detail17trampoline_kernelINS0_14default_configENS1_36segmented_radix_sort_config_selectorIslEEZNS1_25segmented_radix_sort_implIS3_Lb0EPKsPsPKlPlN2at6native12_GLOBAL__N_18offset_tEEE10hipError_tPvRmT1_PNSt15iterator_traitsISK_E10value_typeET2_T3_PNSL_ISQ_E10value_typeET4_jRbjT5_SW_jjP12ihipStream_tbEUlT_E1_NS1_11comp_targetILNS1_3genE2ELNS1_11target_archE906ELNS1_3gpuE6ELNS1_3repE0EEENS1_59segmented_radix_sort_warp_sort_small_config_static_selectorELNS0_4arch9wavefront6targetE0EEEvSK_
	.p2align	8
	.type	_ZN7rocprim17ROCPRIM_400000_NS6detail17trampoline_kernelINS0_14default_configENS1_36segmented_radix_sort_config_selectorIslEEZNS1_25segmented_radix_sort_implIS3_Lb0EPKsPsPKlPlN2at6native12_GLOBAL__N_18offset_tEEE10hipError_tPvRmT1_PNSt15iterator_traitsISK_E10value_typeET2_T3_PNSL_ISQ_E10value_typeET4_jRbjT5_SW_jjP12ihipStream_tbEUlT_E1_NS1_11comp_targetILNS1_3genE2ELNS1_11target_archE906ELNS1_3gpuE6ELNS1_3repE0EEENS1_59segmented_radix_sort_warp_sort_small_config_static_selectorELNS0_4arch9wavefront6targetE0EEEvSK_,@function
_ZN7rocprim17ROCPRIM_400000_NS6detail17trampoline_kernelINS0_14default_configENS1_36segmented_radix_sort_config_selectorIslEEZNS1_25segmented_radix_sort_implIS3_Lb0EPKsPsPKlPlN2at6native12_GLOBAL__N_18offset_tEEE10hipError_tPvRmT1_PNSt15iterator_traitsISK_E10value_typeET2_T3_PNSL_ISQ_E10value_typeET4_jRbjT5_SW_jjP12ihipStream_tbEUlT_E1_NS1_11comp_targetILNS1_3genE2ELNS1_11target_archE906ELNS1_3gpuE6ELNS1_3repE0EEENS1_59segmented_radix_sort_warp_sort_small_config_static_selectorELNS0_4arch9wavefront6targetE0EEEvSK_: ; @_ZN7rocprim17ROCPRIM_400000_NS6detail17trampoline_kernelINS0_14default_configENS1_36segmented_radix_sort_config_selectorIslEEZNS1_25segmented_radix_sort_implIS3_Lb0EPKsPsPKlPlN2at6native12_GLOBAL__N_18offset_tEEE10hipError_tPvRmT1_PNSt15iterator_traitsISK_E10value_typeET2_T3_PNSL_ISQ_E10value_typeET4_jRbjT5_SW_jjP12ihipStream_tbEUlT_E1_NS1_11comp_targetILNS1_3genE2ELNS1_11target_archE906ELNS1_3gpuE6ELNS1_3repE0EEENS1_59segmented_radix_sort_warp_sort_small_config_static_selectorELNS0_4arch9wavefront6targetE0EEEvSK_
; %bb.0:
	.section	.rodata,"a",@progbits
	.p2align	6, 0x0
	.amdhsa_kernel _ZN7rocprim17ROCPRIM_400000_NS6detail17trampoline_kernelINS0_14default_configENS1_36segmented_radix_sort_config_selectorIslEEZNS1_25segmented_radix_sort_implIS3_Lb0EPKsPsPKlPlN2at6native12_GLOBAL__N_18offset_tEEE10hipError_tPvRmT1_PNSt15iterator_traitsISK_E10value_typeET2_T3_PNSL_ISQ_E10value_typeET4_jRbjT5_SW_jjP12ihipStream_tbEUlT_E1_NS1_11comp_targetILNS1_3genE2ELNS1_11target_archE906ELNS1_3gpuE6ELNS1_3repE0EEENS1_59segmented_radix_sort_warp_sort_small_config_static_selectorELNS0_4arch9wavefront6targetE0EEEvSK_
		.amdhsa_group_segment_fixed_size 0
		.amdhsa_private_segment_fixed_size 0
		.amdhsa_kernarg_size 88
		.amdhsa_user_sgpr_count 2
		.amdhsa_user_sgpr_dispatch_ptr 0
		.amdhsa_user_sgpr_queue_ptr 0
		.amdhsa_user_sgpr_kernarg_segment_ptr 1
		.amdhsa_user_sgpr_dispatch_id 0
		.amdhsa_user_sgpr_kernarg_preload_length 0
		.amdhsa_user_sgpr_kernarg_preload_offset 0
		.amdhsa_user_sgpr_private_segment_size 0
		.amdhsa_wavefront_size32 1
		.amdhsa_uses_dynamic_stack 0
		.amdhsa_enable_private_segment 0
		.amdhsa_system_sgpr_workgroup_id_x 1
		.amdhsa_system_sgpr_workgroup_id_y 0
		.amdhsa_system_sgpr_workgroup_id_z 0
		.amdhsa_system_sgpr_workgroup_info 0
		.amdhsa_system_vgpr_workitem_id 0
		.amdhsa_next_free_vgpr 1
		.amdhsa_next_free_sgpr 1
		.amdhsa_named_barrier_count 0
		.amdhsa_reserve_vcc 0
		.amdhsa_float_round_mode_32 0
		.amdhsa_float_round_mode_16_64 0
		.amdhsa_float_denorm_mode_32 3
		.amdhsa_float_denorm_mode_16_64 3
		.amdhsa_fp16_overflow 0
		.amdhsa_memory_ordered 1
		.amdhsa_forward_progress 1
		.amdhsa_inst_pref_size 0
		.amdhsa_round_robin_scheduling 0
		.amdhsa_exception_fp_ieee_invalid_op 0
		.amdhsa_exception_fp_denorm_src 0
		.amdhsa_exception_fp_ieee_div_zero 0
		.amdhsa_exception_fp_ieee_overflow 0
		.amdhsa_exception_fp_ieee_underflow 0
		.amdhsa_exception_fp_ieee_inexact 0
		.amdhsa_exception_int_div_zero 0
	.end_amdhsa_kernel
	.section	.text._ZN7rocprim17ROCPRIM_400000_NS6detail17trampoline_kernelINS0_14default_configENS1_36segmented_radix_sort_config_selectorIslEEZNS1_25segmented_radix_sort_implIS3_Lb0EPKsPsPKlPlN2at6native12_GLOBAL__N_18offset_tEEE10hipError_tPvRmT1_PNSt15iterator_traitsISK_E10value_typeET2_T3_PNSL_ISQ_E10value_typeET4_jRbjT5_SW_jjP12ihipStream_tbEUlT_E1_NS1_11comp_targetILNS1_3genE2ELNS1_11target_archE906ELNS1_3gpuE6ELNS1_3repE0EEENS1_59segmented_radix_sort_warp_sort_small_config_static_selectorELNS0_4arch9wavefront6targetE0EEEvSK_,"axG",@progbits,_ZN7rocprim17ROCPRIM_400000_NS6detail17trampoline_kernelINS0_14default_configENS1_36segmented_radix_sort_config_selectorIslEEZNS1_25segmented_radix_sort_implIS3_Lb0EPKsPsPKlPlN2at6native12_GLOBAL__N_18offset_tEEE10hipError_tPvRmT1_PNSt15iterator_traitsISK_E10value_typeET2_T3_PNSL_ISQ_E10value_typeET4_jRbjT5_SW_jjP12ihipStream_tbEUlT_E1_NS1_11comp_targetILNS1_3genE2ELNS1_11target_archE906ELNS1_3gpuE6ELNS1_3repE0EEENS1_59segmented_radix_sort_warp_sort_small_config_static_selectorELNS0_4arch9wavefront6targetE0EEEvSK_,comdat
.Lfunc_end1033:
	.size	_ZN7rocprim17ROCPRIM_400000_NS6detail17trampoline_kernelINS0_14default_configENS1_36segmented_radix_sort_config_selectorIslEEZNS1_25segmented_radix_sort_implIS3_Lb0EPKsPsPKlPlN2at6native12_GLOBAL__N_18offset_tEEE10hipError_tPvRmT1_PNSt15iterator_traitsISK_E10value_typeET2_T3_PNSL_ISQ_E10value_typeET4_jRbjT5_SW_jjP12ihipStream_tbEUlT_E1_NS1_11comp_targetILNS1_3genE2ELNS1_11target_archE906ELNS1_3gpuE6ELNS1_3repE0EEENS1_59segmented_radix_sort_warp_sort_small_config_static_selectorELNS0_4arch9wavefront6targetE0EEEvSK_, .Lfunc_end1033-_ZN7rocprim17ROCPRIM_400000_NS6detail17trampoline_kernelINS0_14default_configENS1_36segmented_radix_sort_config_selectorIslEEZNS1_25segmented_radix_sort_implIS3_Lb0EPKsPsPKlPlN2at6native12_GLOBAL__N_18offset_tEEE10hipError_tPvRmT1_PNSt15iterator_traitsISK_E10value_typeET2_T3_PNSL_ISQ_E10value_typeET4_jRbjT5_SW_jjP12ihipStream_tbEUlT_E1_NS1_11comp_targetILNS1_3genE2ELNS1_11target_archE906ELNS1_3gpuE6ELNS1_3repE0EEENS1_59segmented_radix_sort_warp_sort_small_config_static_selectorELNS0_4arch9wavefront6targetE0EEEvSK_
                                        ; -- End function
	.set _ZN7rocprim17ROCPRIM_400000_NS6detail17trampoline_kernelINS0_14default_configENS1_36segmented_radix_sort_config_selectorIslEEZNS1_25segmented_radix_sort_implIS3_Lb0EPKsPsPKlPlN2at6native12_GLOBAL__N_18offset_tEEE10hipError_tPvRmT1_PNSt15iterator_traitsISK_E10value_typeET2_T3_PNSL_ISQ_E10value_typeET4_jRbjT5_SW_jjP12ihipStream_tbEUlT_E1_NS1_11comp_targetILNS1_3genE2ELNS1_11target_archE906ELNS1_3gpuE6ELNS1_3repE0EEENS1_59segmented_radix_sort_warp_sort_small_config_static_selectorELNS0_4arch9wavefront6targetE0EEEvSK_.num_vgpr, 0
	.set _ZN7rocprim17ROCPRIM_400000_NS6detail17trampoline_kernelINS0_14default_configENS1_36segmented_radix_sort_config_selectorIslEEZNS1_25segmented_radix_sort_implIS3_Lb0EPKsPsPKlPlN2at6native12_GLOBAL__N_18offset_tEEE10hipError_tPvRmT1_PNSt15iterator_traitsISK_E10value_typeET2_T3_PNSL_ISQ_E10value_typeET4_jRbjT5_SW_jjP12ihipStream_tbEUlT_E1_NS1_11comp_targetILNS1_3genE2ELNS1_11target_archE906ELNS1_3gpuE6ELNS1_3repE0EEENS1_59segmented_radix_sort_warp_sort_small_config_static_selectorELNS0_4arch9wavefront6targetE0EEEvSK_.num_agpr, 0
	.set _ZN7rocprim17ROCPRIM_400000_NS6detail17trampoline_kernelINS0_14default_configENS1_36segmented_radix_sort_config_selectorIslEEZNS1_25segmented_radix_sort_implIS3_Lb0EPKsPsPKlPlN2at6native12_GLOBAL__N_18offset_tEEE10hipError_tPvRmT1_PNSt15iterator_traitsISK_E10value_typeET2_T3_PNSL_ISQ_E10value_typeET4_jRbjT5_SW_jjP12ihipStream_tbEUlT_E1_NS1_11comp_targetILNS1_3genE2ELNS1_11target_archE906ELNS1_3gpuE6ELNS1_3repE0EEENS1_59segmented_radix_sort_warp_sort_small_config_static_selectorELNS0_4arch9wavefront6targetE0EEEvSK_.numbered_sgpr, 0
	.set _ZN7rocprim17ROCPRIM_400000_NS6detail17trampoline_kernelINS0_14default_configENS1_36segmented_radix_sort_config_selectorIslEEZNS1_25segmented_radix_sort_implIS3_Lb0EPKsPsPKlPlN2at6native12_GLOBAL__N_18offset_tEEE10hipError_tPvRmT1_PNSt15iterator_traitsISK_E10value_typeET2_T3_PNSL_ISQ_E10value_typeET4_jRbjT5_SW_jjP12ihipStream_tbEUlT_E1_NS1_11comp_targetILNS1_3genE2ELNS1_11target_archE906ELNS1_3gpuE6ELNS1_3repE0EEENS1_59segmented_radix_sort_warp_sort_small_config_static_selectorELNS0_4arch9wavefront6targetE0EEEvSK_.num_named_barrier, 0
	.set _ZN7rocprim17ROCPRIM_400000_NS6detail17trampoline_kernelINS0_14default_configENS1_36segmented_radix_sort_config_selectorIslEEZNS1_25segmented_radix_sort_implIS3_Lb0EPKsPsPKlPlN2at6native12_GLOBAL__N_18offset_tEEE10hipError_tPvRmT1_PNSt15iterator_traitsISK_E10value_typeET2_T3_PNSL_ISQ_E10value_typeET4_jRbjT5_SW_jjP12ihipStream_tbEUlT_E1_NS1_11comp_targetILNS1_3genE2ELNS1_11target_archE906ELNS1_3gpuE6ELNS1_3repE0EEENS1_59segmented_radix_sort_warp_sort_small_config_static_selectorELNS0_4arch9wavefront6targetE0EEEvSK_.private_seg_size, 0
	.set _ZN7rocprim17ROCPRIM_400000_NS6detail17trampoline_kernelINS0_14default_configENS1_36segmented_radix_sort_config_selectorIslEEZNS1_25segmented_radix_sort_implIS3_Lb0EPKsPsPKlPlN2at6native12_GLOBAL__N_18offset_tEEE10hipError_tPvRmT1_PNSt15iterator_traitsISK_E10value_typeET2_T3_PNSL_ISQ_E10value_typeET4_jRbjT5_SW_jjP12ihipStream_tbEUlT_E1_NS1_11comp_targetILNS1_3genE2ELNS1_11target_archE906ELNS1_3gpuE6ELNS1_3repE0EEENS1_59segmented_radix_sort_warp_sort_small_config_static_selectorELNS0_4arch9wavefront6targetE0EEEvSK_.uses_vcc, 0
	.set _ZN7rocprim17ROCPRIM_400000_NS6detail17trampoline_kernelINS0_14default_configENS1_36segmented_radix_sort_config_selectorIslEEZNS1_25segmented_radix_sort_implIS3_Lb0EPKsPsPKlPlN2at6native12_GLOBAL__N_18offset_tEEE10hipError_tPvRmT1_PNSt15iterator_traitsISK_E10value_typeET2_T3_PNSL_ISQ_E10value_typeET4_jRbjT5_SW_jjP12ihipStream_tbEUlT_E1_NS1_11comp_targetILNS1_3genE2ELNS1_11target_archE906ELNS1_3gpuE6ELNS1_3repE0EEENS1_59segmented_radix_sort_warp_sort_small_config_static_selectorELNS0_4arch9wavefront6targetE0EEEvSK_.uses_flat_scratch, 0
	.set _ZN7rocprim17ROCPRIM_400000_NS6detail17trampoline_kernelINS0_14default_configENS1_36segmented_radix_sort_config_selectorIslEEZNS1_25segmented_radix_sort_implIS3_Lb0EPKsPsPKlPlN2at6native12_GLOBAL__N_18offset_tEEE10hipError_tPvRmT1_PNSt15iterator_traitsISK_E10value_typeET2_T3_PNSL_ISQ_E10value_typeET4_jRbjT5_SW_jjP12ihipStream_tbEUlT_E1_NS1_11comp_targetILNS1_3genE2ELNS1_11target_archE906ELNS1_3gpuE6ELNS1_3repE0EEENS1_59segmented_radix_sort_warp_sort_small_config_static_selectorELNS0_4arch9wavefront6targetE0EEEvSK_.has_dyn_sized_stack, 0
	.set _ZN7rocprim17ROCPRIM_400000_NS6detail17trampoline_kernelINS0_14default_configENS1_36segmented_radix_sort_config_selectorIslEEZNS1_25segmented_radix_sort_implIS3_Lb0EPKsPsPKlPlN2at6native12_GLOBAL__N_18offset_tEEE10hipError_tPvRmT1_PNSt15iterator_traitsISK_E10value_typeET2_T3_PNSL_ISQ_E10value_typeET4_jRbjT5_SW_jjP12ihipStream_tbEUlT_E1_NS1_11comp_targetILNS1_3genE2ELNS1_11target_archE906ELNS1_3gpuE6ELNS1_3repE0EEENS1_59segmented_radix_sort_warp_sort_small_config_static_selectorELNS0_4arch9wavefront6targetE0EEEvSK_.has_recursion, 0
	.set _ZN7rocprim17ROCPRIM_400000_NS6detail17trampoline_kernelINS0_14default_configENS1_36segmented_radix_sort_config_selectorIslEEZNS1_25segmented_radix_sort_implIS3_Lb0EPKsPsPKlPlN2at6native12_GLOBAL__N_18offset_tEEE10hipError_tPvRmT1_PNSt15iterator_traitsISK_E10value_typeET2_T3_PNSL_ISQ_E10value_typeET4_jRbjT5_SW_jjP12ihipStream_tbEUlT_E1_NS1_11comp_targetILNS1_3genE2ELNS1_11target_archE906ELNS1_3gpuE6ELNS1_3repE0EEENS1_59segmented_radix_sort_warp_sort_small_config_static_selectorELNS0_4arch9wavefront6targetE0EEEvSK_.has_indirect_call, 0
	.section	.AMDGPU.csdata,"",@progbits
; Kernel info:
; codeLenInByte = 0
; TotalNumSgprs: 0
; NumVgprs: 0
; ScratchSize: 0
; MemoryBound: 0
; FloatMode: 240
; IeeeMode: 1
; LDSByteSize: 0 bytes/workgroup (compile time only)
; SGPRBlocks: 0
; VGPRBlocks: 0
; NumSGPRsForWavesPerEU: 1
; NumVGPRsForWavesPerEU: 1
; NamedBarCnt: 0
; Occupancy: 16
; WaveLimiterHint : 0
; COMPUTE_PGM_RSRC2:SCRATCH_EN: 0
; COMPUTE_PGM_RSRC2:USER_SGPR: 2
; COMPUTE_PGM_RSRC2:TRAP_HANDLER: 0
; COMPUTE_PGM_RSRC2:TGID_X_EN: 1
; COMPUTE_PGM_RSRC2:TGID_Y_EN: 0
; COMPUTE_PGM_RSRC2:TGID_Z_EN: 0
; COMPUTE_PGM_RSRC2:TIDIG_COMP_CNT: 0
	.section	.text._ZN7rocprim17ROCPRIM_400000_NS6detail17trampoline_kernelINS0_14default_configENS1_36segmented_radix_sort_config_selectorIslEEZNS1_25segmented_radix_sort_implIS3_Lb0EPKsPsPKlPlN2at6native12_GLOBAL__N_18offset_tEEE10hipError_tPvRmT1_PNSt15iterator_traitsISK_E10value_typeET2_T3_PNSL_ISQ_E10value_typeET4_jRbjT5_SW_jjP12ihipStream_tbEUlT_E1_NS1_11comp_targetILNS1_3genE10ELNS1_11target_archE1201ELNS1_3gpuE5ELNS1_3repE0EEENS1_59segmented_radix_sort_warp_sort_small_config_static_selectorELNS0_4arch9wavefront6targetE0EEEvSK_,"axG",@progbits,_ZN7rocprim17ROCPRIM_400000_NS6detail17trampoline_kernelINS0_14default_configENS1_36segmented_radix_sort_config_selectorIslEEZNS1_25segmented_radix_sort_implIS3_Lb0EPKsPsPKlPlN2at6native12_GLOBAL__N_18offset_tEEE10hipError_tPvRmT1_PNSt15iterator_traitsISK_E10value_typeET2_T3_PNSL_ISQ_E10value_typeET4_jRbjT5_SW_jjP12ihipStream_tbEUlT_E1_NS1_11comp_targetILNS1_3genE10ELNS1_11target_archE1201ELNS1_3gpuE5ELNS1_3repE0EEENS1_59segmented_radix_sort_warp_sort_small_config_static_selectorELNS0_4arch9wavefront6targetE0EEEvSK_,comdat
	.globl	_ZN7rocprim17ROCPRIM_400000_NS6detail17trampoline_kernelINS0_14default_configENS1_36segmented_radix_sort_config_selectorIslEEZNS1_25segmented_radix_sort_implIS3_Lb0EPKsPsPKlPlN2at6native12_GLOBAL__N_18offset_tEEE10hipError_tPvRmT1_PNSt15iterator_traitsISK_E10value_typeET2_T3_PNSL_ISQ_E10value_typeET4_jRbjT5_SW_jjP12ihipStream_tbEUlT_E1_NS1_11comp_targetILNS1_3genE10ELNS1_11target_archE1201ELNS1_3gpuE5ELNS1_3repE0EEENS1_59segmented_radix_sort_warp_sort_small_config_static_selectorELNS0_4arch9wavefront6targetE0EEEvSK_ ; -- Begin function _ZN7rocprim17ROCPRIM_400000_NS6detail17trampoline_kernelINS0_14default_configENS1_36segmented_radix_sort_config_selectorIslEEZNS1_25segmented_radix_sort_implIS3_Lb0EPKsPsPKlPlN2at6native12_GLOBAL__N_18offset_tEEE10hipError_tPvRmT1_PNSt15iterator_traitsISK_E10value_typeET2_T3_PNSL_ISQ_E10value_typeET4_jRbjT5_SW_jjP12ihipStream_tbEUlT_E1_NS1_11comp_targetILNS1_3genE10ELNS1_11target_archE1201ELNS1_3gpuE5ELNS1_3repE0EEENS1_59segmented_radix_sort_warp_sort_small_config_static_selectorELNS0_4arch9wavefront6targetE0EEEvSK_
	.p2align	8
	.type	_ZN7rocprim17ROCPRIM_400000_NS6detail17trampoline_kernelINS0_14default_configENS1_36segmented_radix_sort_config_selectorIslEEZNS1_25segmented_radix_sort_implIS3_Lb0EPKsPsPKlPlN2at6native12_GLOBAL__N_18offset_tEEE10hipError_tPvRmT1_PNSt15iterator_traitsISK_E10value_typeET2_T3_PNSL_ISQ_E10value_typeET4_jRbjT5_SW_jjP12ihipStream_tbEUlT_E1_NS1_11comp_targetILNS1_3genE10ELNS1_11target_archE1201ELNS1_3gpuE5ELNS1_3repE0EEENS1_59segmented_radix_sort_warp_sort_small_config_static_selectorELNS0_4arch9wavefront6targetE0EEEvSK_,@function
_ZN7rocprim17ROCPRIM_400000_NS6detail17trampoline_kernelINS0_14default_configENS1_36segmented_radix_sort_config_selectorIslEEZNS1_25segmented_radix_sort_implIS3_Lb0EPKsPsPKlPlN2at6native12_GLOBAL__N_18offset_tEEE10hipError_tPvRmT1_PNSt15iterator_traitsISK_E10value_typeET2_T3_PNSL_ISQ_E10value_typeET4_jRbjT5_SW_jjP12ihipStream_tbEUlT_E1_NS1_11comp_targetILNS1_3genE10ELNS1_11target_archE1201ELNS1_3gpuE5ELNS1_3repE0EEENS1_59segmented_radix_sort_warp_sort_small_config_static_selectorELNS0_4arch9wavefront6targetE0EEEvSK_: ; @_ZN7rocprim17ROCPRIM_400000_NS6detail17trampoline_kernelINS0_14default_configENS1_36segmented_radix_sort_config_selectorIslEEZNS1_25segmented_radix_sort_implIS3_Lb0EPKsPsPKlPlN2at6native12_GLOBAL__N_18offset_tEEE10hipError_tPvRmT1_PNSt15iterator_traitsISK_E10value_typeET2_T3_PNSL_ISQ_E10value_typeET4_jRbjT5_SW_jjP12ihipStream_tbEUlT_E1_NS1_11comp_targetILNS1_3genE10ELNS1_11target_archE1201ELNS1_3gpuE5ELNS1_3repE0EEENS1_59segmented_radix_sort_warp_sort_small_config_static_selectorELNS0_4arch9wavefront6targetE0EEEvSK_
; %bb.0:
	.section	.rodata,"a",@progbits
	.p2align	6, 0x0
	.amdhsa_kernel _ZN7rocprim17ROCPRIM_400000_NS6detail17trampoline_kernelINS0_14default_configENS1_36segmented_radix_sort_config_selectorIslEEZNS1_25segmented_radix_sort_implIS3_Lb0EPKsPsPKlPlN2at6native12_GLOBAL__N_18offset_tEEE10hipError_tPvRmT1_PNSt15iterator_traitsISK_E10value_typeET2_T3_PNSL_ISQ_E10value_typeET4_jRbjT5_SW_jjP12ihipStream_tbEUlT_E1_NS1_11comp_targetILNS1_3genE10ELNS1_11target_archE1201ELNS1_3gpuE5ELNS1_3repE0EEENS1_59segmented_radix_sort_warp_sort_small_config_static_selectorELNS0_4arch9wavefront6targetE0EEEvSK_
		.amdhsa_group_segment_fixed_size 0
		.amdhsa_private_segment_fixed_size 0
		.amdhsa_kernarg_size 88
		.amdhsa_user_sgpr_count 2
		.amdhsa_user_sgpr_dispatch_ptr 0
		.amdhsa_user_sgpr_queue_ptr 0
		.amdhsa_user_sgpr_kernarg_segment_ptr 1
		.amdhsa_user_sgpr_dispatch_id 0
		.amdhsa_user_sgpr_kernarg_preload_length 0
		.amdhsa_user_sgpr_kernarg_preload_offset 0
		.amdhsa_user_sgpr_private_segment_size 0
		.amdhsa_wavefront_size32 1
		.amdhsa_uses_dynamic_stack 0
		.amdhsa_enable_private_segment 0
		.amdhsa_system_sgpr_workgroup_id_x 1
		.amdhsa_system_sgpr_workgroup_id_y 0
		.amdhsa_system_sgpr_workgroup_id_z 0
		.amdhsa_system_sgpr_workgroup_info 0
		.amdhsa_system_vgpr_workitem_id 0
		.amdhsa_next_free_vgpr 1
		.amdhsa_next_free_sgpr 1
		.amdhsa_named_barrier_count 0
		.amdhsa_reserve_vcc 0
		.amdhsa_float_round_mode_32 0
		.amdhsa_float_round_mode_16_64 0
		.amdhsa_float_denorm_mode_32 3
		.amdhsa_float_denorm_mode_16_64 3
		.amdhsa_fp16_overflow 0
		.amdhsa_memory_ordered 1
		.amdhsa_forward_progress 1
		.amdhsa_inst_pref_size 0
		.amdhsa_round_robin_scheduling 0
		.amdhsa_exception_fp_ieee_invalid_op 0
		.amdhsa_exception_fp_denorm_src 0
		.amdhsa_exception_fp_ieee_div_zero 0
		.amdhsa_exception_fp_ieee_overflow 0
		.amdhsa_exception_fp_ieee_underflow 0
		.amdhsa_exception_fp_ieee_inexact 0
		.amdhsa_exception_int_div_zero 0
	.end_amdhsa_kernel
	.section	.text._ZN7rocprim17ROCPRIM_400000_NS6detail17trampoline_kernelINS0_14default_configENS1_36segmented_radix_sort_config_selectorIslEEZNS1_25segmented_radix_sort_implIS3_Lb0EPKsPsPKlPlN2at6native12_GLOBAL__N_18offset_tEEE10hipError_tPvRmT1_PNSt15iterator_traitsISK_E10value_typeET2_T3_PNSL_ISQ_E10value_typeET4_jRbjT5_SW_jjP12ihipStream_tbEUlT_E1_NS1_11comp_targetILNS1_3genE10ELNS1_11target_archE1201ELNS1_3gpuE5ELNS1_3repE0EEENS1_59segmented_radix_sort_warp_sort_small_config_static_selectorELNS0_4arch9wavefront6targetE0EEEvSK_,"axG",@progbits,_ZN7rocprim17ROCPRIM_400000_NS6detail17trampoline_kernelINS0_14default_configENS1_36segmented_radix_sort_config_selectorIslEEZNS1_25segmented_radix_sort_implIS3_Lb0EPKsPsPKlPlN2at6native12_GLOBAL__N_18offset_tEEE10hipError_tPvRmT1_PNSt15iterator_traitsISK_E10value_typeET2_T3_PNSL_ISQ_E10value_typeET4_jRbjT5_SW_jjP12ihipStream_tbEUlT_E1_NS1_11comp_targetILNS1_3genE10ELNS1_11target_archE1201ELNS1_3gpuE5ELNS1_3repE0EEENS1_59segmented_radix_sort_warp_sort_small_config_static_selectorELNS0_4arch9wavefront6targetE0EEEvSK_,comdat
.Lfunc_end1034:
	.size	_ZN7rocprim17ROCPRIM_400000_NS6detail17trampoline_kernelINS0_14default_configENS1_36segmented_radix_sort_config_selectorIslEEZNS1_25segmented_radix_sort_implIS3_Lb0EPKsPsPKlPlN2at6native12_GLOBAL__N_18offset_tEEE10hipError_tPvRmT1_PNSt15iterator_traitsISK_E10value_typeET2_T3_PNSL_ISQ_E10value_typeET4_jRbjT5_SW_jjP12ihipStream_tbEUlT_E1_NS1_11comp_targetILNS1_3genE10ELNS1_11target_archE1201ELNS1_3gpuE5ELNS1_3repE0EEENS1_59segmented_radix_sort_warp_sort_small_config_static_selectorELNS0_4arch9wavefront6targetE0EEEvSK_, .Lfunc_end1034-_ZN7rocprim17ROCPRIM_400000_NS6detail17trampoline_kernelINS0_14default_configENS1_36segmented_radix_sort_config_selectorIslEEZNS1_25segmented_radix_sort_implIS3_Lb0EPKsPsPKlPlN2at6native12_GLOBAL__N_18offset_tEEE10hipError_tPvRmT1_PNSt15iterator_traitsISK_E10value_typeET2_T3_PNSL_ISQ_E10value_typeET4_jRbjT5_SW_jjP12ihipStream_tbEUlT_E1_NS1_11comp_targetILNS1_3genE10ELNS1_11target_archE1201ELNS1_3gpuE5ELNS1_3repE0EEENS1_59segmented_radix_sort_warp_sort_small_config_static_selectorELNS0_4arch9wavefront6targetE0EEEvSK_
                                        ; -- End function
	.set _ZN7rocprim17ROCPRIM_400000_NS6detail17trampoline_kernelINS0_14default_configENS1_36segmented_radix_sort_config_selectorIslEEZNS1_25segmented_radix_sort_implIS3_Lb0EPKsPsPKlPlN2at6native12_GLOBAL__N_18offset_tEEE10hipError_tPvRmT1_PNSt15iterator_traitsISK_E10value_typeET2_T3_PNSL_ISQ_E10value_typeET4_jRbjT5_SW_jjP12ihipStream_tbEUlT_E1_NS1_11comp_targetILNS1_3genE10ELNS1_11target_archE1201ELNS1_3gpuE5ELNS1_3repE0EEENS1_59segmented_radix_sort_warp_sort_small_config_static_selectorELNS0_4arch9wavefront6targetE0EEEvSK_.num_vgpr, 0
	.set _ZN7rocprim17ROCPRIM_400000_NS6detail17trampoline_kernelINS0_14default_configENS1_36segmented_radix_sort_config_selectorIslEEZNS1_25segmented_radix_sort_implIS3_Lb0EPKsPsPKlPlN2at6native12_GLOBAL__N_18offset_tEEE10hipError_tPvRmT1_PNSt15iterator_traitsISK_E10value_typeET2_T3_PNSL_ISQ_E10value_typeET4_jRbjT5_SW_jjP12ihipStream_tbEUlT_E1_NS1_11comp_targetILNS1_3genE10ELNS1_11target_archE1201ELNS1_3gpuE5ELNS1_3repE0EEENS1_59segmented_radix_sort_warp_sort_small_config_static_selectorELNS0_4arch9wavefront6targetE0EEEvSK_.num_agpr, 0
	.set _ZN7rocprim17ROCPRIM_400000_NS6detail17trampoline_kernelINS0_14default_configENS1_36segmented_radix_sort_config_selectorIslEEZNS1_25segmented_radix_sort_implIS3_Lb0EPKsPsPKlPlN2at6native12_GLOBAL__N_18offset_tEEE10hipError_tPvRmT1_PNSt15iterator_traitsISK_E10value_typeET2_T3_PNSL_ISQ_E10value_typeET4_jRbjT5_SW_jjP12ihipStream_tbEUlT_E1_NS1_11comp_targetILNS1_3genE10ELNS1_11target_archE1201ELNS1_3gpuE5ELNS1_3repE0EEENS1_59segmented_radix_sort_warp_sort_small_config_static_selectorELNS0_4arch9wavefront6targetE0EEEvSK_.numbered_sgpr, 0
	.set _ZN7rocprim17ROCPRIM_400000_NS6detail17trampoline_kernelINS0_14default_configENS1_36segmented_radix_sort_config_selectorIslEEZNS1_25segmented_radix_sort_implIS3_Lb0EPKsPsPKlPlN2at6native12_GLOBAL__N_18offset_tEEE10hipError_tPvRmT1_PNSt15iterator_traitsISK_E10value_typeET2_T3_PNSL_ISQ_E10value_typeET4_jRbjT5_SW_jjP12ihipStream_tbEUlT_E1_NS1_11comp_targetILNS1_3genE10ELNS1_11target_archE1201ELNS1_3gpuE5ELNS1_3repE0EEENS1_59segmented_radix_sort_warp_sort_small_config_static_selectorELNS0_4arch9wavefront6targetE0EEEvSK_.num_named_barrier, 0
	.set _ZN7rocprim17ROCPRIM_400000_NS6detail17trampoline_kernelINS0_14default_configENS1_36segmented_radix_sort_config_selectorIslEEZNS1_25segmented_radix_sort_implIS3_Lb0EPKsPsPKlPlN2at6native12_GLOBAL__N_18offset_tEEE10hipError_tPvRmT1_PNSt15iterator_traitsISK_E10value_typeET2_T3_PNSL_ISQ_E10value_typeET4_jRbjT5_SW_jjP12ihipStream_tbEUlT_E1_NS1_11comp_targetILNS1_3genE10ELNS1_11target_archE1201ELNS1_3gpuE5ELNS1_3repE0EEENS1_59segmented_radix_sort_warp_sort_small_config_static_selectorELNS0_4arch9wavefront6targetE0EEEvSK_.private_seg_size, 0
	.set _ZN7rocprim17ROCPRIM_400000_NS6detail17trampoline_kernelINS0_14default_configENS1_36segmented_radix_sort_config_selectorIslEEZNS1_25segmented_radix_sort_implIS3_Lb0EPKsPsPKlPlN2at6native12_GLOBAL__N_18offset_tEEE10hipError_tPvRmT1_PNSt15iterator_traitsISK_E10value_typeET2_T3_PNSL_ISQ_E10value_typeET4_jRbjT5_SW_jjP12ihipStream_tbEUlT_E1_NS1_11comp_targetILNS1_3genE10ELNS1_11target_archE1201ELNS1_3gpuE5ELNS1_3repE0EEENS1_59segmented_radix_sort_warp_sort_small_config_static_selectorELNS0_4arch9wavefront6targetE0EEEvSK_.uses_vcc, 0
	.set _ZN7rocprim17ROCPRIM_400000_NS6detail17trampoline_kernelINS0_14default_configENS1_36segmented_radix_sort_config_selectorIslEEZNS1_25segmented_radix_sort_implIS3_Lb0EPKsPsPKlPlN2at6native12_GLOBAL__N_18offset_tEEE10hipError_tPvRmT1_PNSt15iterator_traitsISK_E10value_typeET2_T3_PNSL_ISQ_E10value_typeET4_jRbjT5_SW_jjP12ihipStream_tbEUlT_E1_NS1_11comp_targetILNS1_3genE10ELNS1_11target_archE1201ELNS1_3gpuE5ELNS1_3repE0EEENS1_59segmented_radix_sort_warp_sort_small_config_static_selectorELNS0_4arch9wavefront6targetE0EEEvSK_.uses_flat_scratch, 0
	.set _ZN7rocprim17ROCPRIM_400000_NS6detail17trampoline_kernelINS0_14default_configENS1_36segmented_radix_sort_config_selectorIslEEZNS1_25segmented_radix_sort_implIS3_Lb0EPKsPsPKlPlN2at6native12_GLOBAL__N_18offset_tEEE10hipError_tPvRmT1_PNSt15iterator_traitsISK_E10value_typeET2_T3_PNSL_ISQ_E10value_typeET4_jRbjT5_SW_jjP12ihipStream_tbEUlT_E1_NS1_11comp_targetILNS1_3genE10ELNS1_11target_archE1201ELNS1_3gpuE5ELNS1_3repE0EEENS1_59segmented_radix_sort_warp_sort_small_config_static_selectorELNS0_4arch9wavefront6targetE0EEEvSK_.has_dyn_sized_stack, 0
	.set _ZN7rocprim17ROCPRIM_400000_NS6detail17trampoline_kernelINS0_14default_configENS1_36segmented_radix_sort_config_selectorIslEEZNS1_25segmented_radix_sort_implIS3_Lb0EPKsPsPKlPlN2at6native12_GLOBAL__N_18offset_tEEE10hipError_tPvRmT1_PNSt15iterator_traitsISK_E10value_typeET2_T3_PNSL_ISQ_E10value_typeET4_jRbjT5_SW_jjP12ihipStream_tbEUlT_E1_NS1_11comp_targetILNS1_3genE10ELNS1_11target_archE1201ELNS1_3gpuE5ELNS1_3repE0EEENS1_59segmented_radix_sort_warp_sort_small_config_static_selectorELNS0_4arch9wavefront6targetE0EEEvSK_.has_recursion, 0
	.set _ZN7rocprim17ROCPRIM_400000_NS6detail17trampoline_kernelINS0_14default_configENS1_36segmented_radix_sort_config_selectorIslEEZNS1_25segmented_radix_sort_implIS3_Lb0EPKsPsPKlPlN2at6native12_GLOBAL__N_18offset_tEEE10hipError_tPvRmT1_PNSt15iterator_traitsISK_E10value_typeET2_T3_PNSL_ISQ_E10value_typeET4_jRbjT5_SW_jjP12ihipStream_tbEUlT_E1_NS1_11comp_targetILNS1_3genE10ELNS1_11target_archE1201ELNS1_3gpuE5ELNS1_3repE0EEENS1_59segmented_radix_sort_warp_sort_small_config_static_selectorELNS0_4arch9wavefront6targetE0EEEvSK_.has_indirect_call, 0
	.section	.AMDGPU.csdata,"",@progbits
; Kernel info:
; codeLenInByte = 0
; TotalNumSgprs: 0
; NumVgprs: 0
; ScratchSize: 0
; MemoryBound: 0
; FloatMode: 240
; IeeeMode: 1
; LDSByteSize: 0 bytes/workgroup (compile time only)
; SGPRBlocks: 0
; VGPRBlocks: 0
; NumSGPRsForWavesPerEU: 1
; NumVGPRsForWavesPerEU: 1
; NamedBarCnt: 0
; Occupancy: 16
; WaveLimiterHint : 0
; COMPUTE_PGM_RSRC2:SCRATCH_EN: 0
; COMPUTE_PGM_RSRC2:USER_SGPR: 2
; COMPUTE_PGM_RSRC2:TRAP_HANDLER: 0
; COMPUTE_PGM_RSRC2:TGID_X_EN: 1
; COMPUTE_PGM_RSRC2:TGID_Y_EN: 0
; COMPUTE_PGM_RSRC2:TGID_Z_EN: 0
; COMPUTE_PGM_RSRC2:TIDIG_COMP_CNT: 0
	.section	.text._ZN7rocprim17ROCPRIM_400000_NS6detail17trampoline_kernelINS0_14default_configENS1_36segmented_radix_sort_config_selectorIslEEZNS1_25segmented_radix_sort_implIS3_Lb0EPKsPsPKlPlN2at6native12_GLOBAL__N_18offset_tEEE10hipError_tPvRmT1_PNSt15iterator_traitsISK_E10value_typeET2_T3_PNSL_ISQ_E10value_typeET4_jRbjT5_SW_jjP12ihipStream_tbEUlT_E1_NS1_11comp_targetILNS1_3genE10ELNS1_11target_archE1200ELNS1_3gpuE4ELNS1_3repE0EEENS1_59segmented_radix_sort_warp_sort_small_config_static_selectorELNS0_4arch9wavefront6targetE0EEEvSK_,"axG",@progbits,_ZN7rocprim17ROCPRIM_400000_NS6detail17trampoline_kernelINS0_14default_configENS1_36segmented_radix_sort_config_selectorIslEEZNS1_25segmented_radix_sort_implIS3_Lb0EPKsPsPKlPlN2at6native12_GLOBAL__N_18offset_tEEE10hipError_tPvRmT1_PNSt15iterator_traitsISK_E10value_typeET2_T3_PNSL_ISQ_E10value_typeET4_jRbjT5_SW_jjP12ihipStream_tbEUlT_E1_NS1_11comp_targetILNS1_3genE10ELNS1_11target_archE1200ELNS1_3gpuE4ELNS1_3repE0EEENS1_59segmented_radix_sort_warp_sort_small_config_static_selectorELNS0_4arch9wavefront6targetE0EEEvSK_,comdat
	.globl	_ZN7rocprim17ROCPRIM_400000_NS6detail17trampoline_kernelINS0_14default_configENS1_36segmented_radix_sort_config_selectorIslEEZNS1_25segmented_radix_sort_implIS3_Lb0EPKsPsPKlPlN2at6native12_GLOBAL__N_18offset_tEEE10hipError_tPvRmT1_PNSt15iterator_traitsISK_E10value_typeET2_T3_PNSL_ISQ_E10value_typeET4_jRbjT5_SW_jjP12ihipStream_tbEUlT_E1_NS1_11comp_targetILNS1_3genE10ELNS1_11target_archE1200ELNS1_3gpuE4ELNS1_3repE0EEENS1_59segmented_radix_sort_warp_sort_small_config_static_selectorELNS0_4arch9wavefront6targetE0EEEvSK_ ; -- Begin function _ZN7rocprim17ROCPRIM_400000_NS6detail17trampoline_kernelINS0_14default_configENS1_36segmented_radix_sort_config_selectorIslEEZNS1_25segmented_radix_sort_implIS3_Lb0EPKsPsPKlPlN2at6native12_GLOBAL__N_18offset_tEEE10hipError_tPvRmT1_PNSt15iterator_traitsISK_E10value_typeET2_T3_PNSL_ISQ_E10value_typeET4_jRbjT5_SW_jjP12ihipStream_tbEUlT_E1_NS1_11comp_targetILNS1_3genE10ELNS1_11target_archE1200ELNS1_3gpuE4ELNS1_3repE0EEENS1_59segmented_radix_sort_warp_sort_small_config_static_selectorELNS0_4arch9wavefront6targetE0EEEvSK_
	.p2align	8
	.type	_ZN7rocprim17ROCPRIM_400000_NS6detail17trampoline_kernelINS0_14default_configENS1_36segmented_radix_sort_config_selectorIslEEZNS1_25segmented_radix_sort_implIS3_Lb0EPKsPsPKlPlN2at6native12_GLOBAL__N_18offset_tEEE10hipError_tPvRmT1_PNSt15iterator_traitsISK_E10value_typeET2_T3_PNSL_ISQ_E10value_typeET4_jRbjT5_SW_jjP12ihipStream_tbEUlT_E1_NS1_11comp_targetILNS1_3genE10ELNS1_11target_archE1200ELNS1_3gpuE4ELNS1_3repE0EEENS1_59segmented_radix_sort_warp_sort_small_config_static_selectorELNS0_4arch9wavefront6targetE0EEEvSK_,@function
_ZN7rocprim17ROCPRIM_400000_NS6detail17trampoline_kernelINS0_14default_configENS1_36segmented_radix_sort_config_selectorIslEEZNS1_25segmented_radix_sort_implIS3_Lb0EPKsPsPKlPlN2at6native12_GLOBAL__N_18offset_tEEE10hipError_tPvRmT1_PNSt15iterator_traitsISK_E10value_typeET2_T3_PNSL_ISQ_E10value_typeET4_jRbjT5_SW_jjP12ihipStream_tbEUlT_E1_NS1_11comp_targetILNS1_3genE10ELNS1_11target_archE1200ELNS1_3gpuE4ELNS1_3repE0EEENS1_59segmented_radix_sort_warp_sort_small_config_static_selectorELNS0_4arch9wavefront6targetE0EEEvSK_: ; @_ZN7rocprim17ROCPRIM_400000_NS6detail17trampoline_kernelINS0_14default_configENS1_36segmented_radix_sort_config_selectorIslEEZNS1_25segmented_radix_sort_implIS3_Lb0EPKsPsPKlPlN2at6native12_GLOBAL__N_18offset_tEEE10hipError_tPvRmT1_PNSt15iterator_traitsISK_E10value_typeET2_T3_PNSL_ISQ_E10value_typeET4_jRbjT5_SW_jjP12ihipStream_tbEUlT_E1_NS1_11comp_targetILNS1_3genE10ELNS1_11target_archE1200ELNS1_3gpuE4ELNS1_3repE0EEENS1_59segmented_radix_sort_warp_sort_small_config_static_selectorELNS0_4arch9wavefront6targetE0EEEvSK_
; %bb.0:
	.section	.rodata,"a",@progbits
	.p2align	6, 0x0
	.amdhsa_kernel _ZN7rocprim17ROCPRIM_400000_NS6detail17trampoline_kernelINS0_14default_configENS1_36segmented_radix_sort_config_selectorIslEEZNS1_25segmented_radix_sort_implIS3_Lb0EPKsPsPKlPlN2at6native12_GLOBAL__N_18offset_tEEE10hipError_tPvRmT1_PNSt15iterator_traitsISK_E10value_typeET2_T3_PNSL_ISQ_E10value_typeET4_jRbjT5_SW_jjP12ihipStream_tbEUlT_E1_NS1_11comp_targetILNS1_3genE10ELNS1_11target_archE1200ELNS1_3gpuE4ELNS1_3repE0EEENS1_59segmented_radix_sort_warp_sort_small_config_static_selectorELNS0_4arch9wavefront6targetE0EEEvSK_
		.amdhsa_group_segment_fixed_size 0
		.amdhsa_private_segment_fixed_size 0
		.amdhsa_kernarg_size 88
		.amdhsa_user_sgpr_count 2
		.amdhsa_user_sgpr_dispatch_ptr 0
		.amdhsa_user_sgpr_queue_ptr 0
		.amdhsa_user_sgpr_kernarg_segment_ptr 1
		.amdhsa_user_sgpr_dispatch_id 0
		.amdhsa_user_sgpr_kernarg_preload_length 0
		.amdhsa_user_sgpr_kernarg_preload_offset 0
		.amdhsa_user_sgpr_private_segment_size 0
		.amdhsa_wavefront_size32 1
		.amdhsa_uses_dynamic_stack 0
		.amdhsa_enable_private_segment 0
		.amdhsa_system_sgpr_workgroup_id_x 1
		.amdhsa_system_sgpr_workgroup_id_y 0
		.amdhsa_system_sgpr_workgroup_id_z 0
		.amdhsa_system_sgpr_workgroup_info 0
		.amdhsa_system_vgpr_workitem_id 0
		.amdhsa_next_free_vgpr 1
		.amdhsa_next_free_sgpr 1
		.amdhsa_named_barrier_count 0
		.amdhsa_reserve_vcc 0
		.amdhsa_float_round_mode_32 0
		.amdhsa_float_round_mode_16_64 0
		.amdhsa_float_denorm_mode_32 3
		.amdhsa_float_denorm_mode_16_64 3
		.amdhsa_fp16_overflow 0
		.amdhsa_memory_ordered 1
		.amdhsa_forward_progress 1
		.amdhsa_inst_pref_size 0
		.amdhsa_round_robin_scheduling 0
		.amdhsa_exception_fp_ieee_invalid_op 0
		.amdhsa_exception_fp_denorm_src 0
		.amdhsa_exception_fp_ieee_div_zero 0
		.amdhsa_exception_fp_ieee_overflow 0
		.amdhsa_exception_fp_ieee_underflow 0
		.amdhsa_exception_fp_ieee_inexact 0
		.amdhsa_exception_int_div_zero 0
	.end_amdhsa_kernel
	.section	.text._ZN7rocprim17ROCPRIM_400000_NS6detail17trampoline_kernelINS0_14default_configENS1_36segmented_radix_sort_config_selectorIslEEZNS1_25segmented_radix_sort_implIS3_Lb0EPKsPsPKlPlN2at6native12_GLOBAL__N_18offset_tEEE10hipError_tPvRmT1_PNSt15iterator_traitsISK_E10value_typeET2_T3_PNSL_ISQ_E10value_typeET4_jRbjT5_SW_jjP12ihipStream_tbEUlT_E1_NS1_11comp_targetILNS1_3genE10ELNS1_11target_archE1200ELNS1_3gpuE4ELNS1_3repE0EEENS1_59segmented_radix_sort_warp_sort_small_config_static_selectorELNS0_4arch9wavefront6targetE0EEEvSK_,"axG",@progbits,_ZN7rocprim17ROCPRIM_400000_NS6detail17trampoline_kernelINS0_14default_configENS1_36segmented_radix_sort_config_selectorIslEEZNS1_25segmented_radix_sort_implIS3_Lb0EPKsPsPKlPlN2at6native12_GLOBAL__N_18offset_tEEE10hipError_tPvRmT1_PNSt15iterator_traitsISK_E10value_typeET2_T3_PNSL_ISQ_E10value_typeET4_jRbjT5_SW_jjP12ihipStream_tbEUlT_E1_NS1_11comp_targetILNS1_3genE10ELNS1_11target_archE1200ELNS1_3gpuE4ELNS1_3repE0EEENS1_59segmented_radix_sort_warp_sort_small_config_static_selectorELNS0_4arch9wavefront6targetE0EEEvSK_,comdat
.Lfunc_end1035:
	.size	_ZN7rocprim17ROCPRIM_400000_NS6detail17trampoline_kernelINS0_14default_configENS1_36segmented_radix_sort_config_selectorIslEEZNS1_25segmented_radix_sort_implIS3_Lb0EPKsPsPKlPlN2at6native12_GLOBAL__N_18offset_tEEE10hipError_tPvRmT1_PNSt15iterator_traitsISK_E10value_typeET2_T3_PNSL_ISQ_E10value_typeET4_jRbjT5_SW_jjP12ihipStream_tbEUlT_E1_NS1_11comp_targetILNS1_3genE10ELNS1_11target_archE1200ELNS1_3gpuE4ELNS1_3repE0EEENS1_59segmented_radix_sort_warp_sort_small_config_static_selectorELNS0_4arch9wavefront6targetE0EEEvSK_, .Lfunc_end1035-_ZN7rocprim17ROCPRIM_400000_NS6detail17trampoline_kernelINS0_14default_configENS1_36segmented_radix_sort_config_selectorIslEEZNS1_25segmented_radix_sort_implIS3_Lb0EPKsPsPKlPlN2at6native12_GLOBAL__N_18offset_tEEE10hipError_tPvRmT1_PNSt15iterator_traitsISK_E10value_typeET2_T3_PNSL_ISQ_E10value_typeET4_jRbjT5_SW_jjP12ihipStream_tbEUlT_E1_NS1_11comp_targetILNS1_3genE10ELNS1_11target_archE1200ELNS1_3gpuE4ELNS1_3repE0EEENS1_59segmented_radix_sort_warp_sort_small_config_static_selectorELNS0_4arch9wavefront6targetE0EEEvSK_
                                        ; -- End function
	.set _ZN7rocprim17ROCPRIM_400000_NS6detail17trampoline_kernelINS0_14default_configENS1_36segmented_radix_sort_config_selectorIslEEZNS1_25segmented_radix_sort_implIS3_Lb0EPKsPsPKlPlN2at6native12_GLOBAL__N_18offset_tEEE10hipError_tPvRmT1_PNSt15iterator_traitsISK_E10value_typeET2_T3_PNSL_ISQ_E10value_typeET4_jRbjT5_SW_jjP12ihipStream_tbEUlT_E1_NS1_11comp_targetILNS1_3genE10ELNS1_11target_archE1200ELNS1_3gpuE4ELNS1_3repE0EEENS1_59segmented_radix_sort_warp_sort_small_config_static_selectorELNS0_4arch9wavefront6targetE0EEEvSK_.num_vgpr, 0
	.set _ZN7rocprim17ROCPRIM_400000_NS6detail17trampoline_kernelINS0_14default_configENS1_36segmented_radix_sort_config_selectorIslEEZNS1_25segmented_radix_sort_implIS3_Lb0EPKsPsPKlPlN2at6native12_GLOBAL__N_18offset_tEEE10hipError_tPvRmT1_PNSt15iterator_traitsISK_E10value_typeET2_T3_PNSL_ISQ_E10value_typeET4_jRbjT5_SW_jjP12ihipStream_tbEUlT_E1_NS1_11comp_targetILNS1_3genE10ELNS1_11target_archE1200ELNS1_3gpuE4ELNS1_3repE0EEENS1_59segmented_radix_sort_warp_sort_small_config_static_selectorELNS0_4arch9wavefront6targetE0EEEvSK_.num_agpr, 0
	.set _ZN7rocprim17ROCPRIM_400000_NS6detail17trampoline_kernelINS0_14default_configENS1_36segmented_radix_sort_config_selectorIslEEZNS1_25segmented_radix_sort_implIS3_Lb0EPKsPsPKlPlN2at6native12_GLOBAL__N_18offset_tEEE10hipError_tPvRmT1_PNSt15iterator_traitsISK_E10value_typeET2_T3_PNSL_ISQ_E10value_typeET4_jRbjT5_SW_jjP12ihipStream_tbEUlT_E1_NS1_11comp_targetILNS1_3genE10ELNS1_11target_archE1200ELNS1_3gpuE4ELNS1_3repE0EEENS1_59segmented_radix_sort_warp_sort_small_config_static_selectorELNS0_4arch9wavefront6targetE0EEEvSK_.numbered_sgpr, 0
	.set _ZN7rocprim17ROCPRIM_400000_NS6detail17trampoline_kernelINS0_14default_configENS1_36segmented_radix_sort_config_selectorIslEEZNS1_25segmented_radix_sort_implIS3_Lb0EPKsPsPKlPlN2at6native12_GLOBAL__N_18offset_tEEE10hipError_tPvRmT1_PNSt15iterator_traitsISK_E10value_typeET2_T3_PNSL_ISQ_E10value_typeET4_jRbjT5_SW_jjP12ihipStream_tbEUlT_E1_NS1_11comp_targetILNS1_3genE10ELNS1_11target_archE1200ELNS1_3gpuE4ELNS1_3repE0EEENS1_59segmented_radix_sort_warp_sort_small_config_static_selectorELNS0_4arch9wavefront6targetE0EEEvSK_.num_named_barrier, 0
	.set _ZN7rocprim17ROCPRIM_400000_NS6detail17trampoline_kernelINS0_14default_configENS1_36segmented_radix_sort_config_selectorIslEEZNS1_25segmented_radix_sort_implIS3_Lb0EPKsPsPKlPlN2at6native12_GLOBAL__N_18offset_tEEE10hipError_tPvRmT1_PNSt15iterator_traitsISK_E10value_typeET2_T3_PNSL_ISQ_E10value_typeET4_jRbjT5_SW_jjP12ihipStream_tbEUlT_E1_NS1_11comp_targetILNS1_3genE10ELNS1_11target_archE1200ELNS1_3gpuE4ELNS1_3repE0EEENS1_59segmented_radix_sort_warp_sort_small_config_static_selectorELNS0_4arch9wavefront6targetE0EEEvSK_.private_seg_size, 0
	.set _ZN7rocprim17ROCPRIM_400000_NS6detail17trampoline_kernelINS0_14default_configENS1_36segmented_radix_sort_config_selectorIslEEZNS1_25segmented_radix_sort_implIS3_Lb0EPKsPsPKlPlN2at6native12_GLOBAL__N_18offset_tEEE10hipError_tPvRmT1_PNSt15iterator_traitsISK_E10value_typeET2_T3_PNSL_ISQ_E10value_typeET4_jRbjT5_SW_jjP12ihipStream_tbEUlT_E1_NS1_11comp_targetILNS1_3genE10ELNS1_11target_archE1200ELNS1_3gpuE4ELNS1_3repE0EEENS1_59segmented_radix_sort_warp_sort_small_config_static_selectorELNS0_4arch9wavefront6targetE0EEEvSK_.uses_vcc, 0
	.set _ZN7rocprim17ROCPRIM_400000_NS6detail17trampoline_kernelINS0_14default_configENS1_36segmented_radix_sort_config_selectorIslEEZNS1_25segmented_radix_sort_implIS3_Lb0EPKsPsPKlPlN2at6native12_GLOBAL__N_18offset_tEEE10hipError_tPvRmT1_PNSt15iterator_traitsISK_E10value_typeET2_T3_PNSL_ISQ_E10value_typeET4_jRbjT5_SW_jjP12ihipStream_tbEUlT_E1_NS1_11comp_targetILNS1_3genE10ELNS1_11target_archE1200ELNS1_3gpuE4ELNS1_3repE0EEENS1_59segmented_radix_sort_warp_sort_small_config_static_selectorELNS0_4arch9wavefront6targetE0EEEvSK_.uses_flat_scratch, 0
	.set _ZN7rocprim17ROCPRIM_400000_NS6detail17trampoline_kernelINS0_14default_configENS1_36segmented_radix_sort_config_selectorIslEEZNS1_25segmented_radix_sort_implIS3_Lb0EPKsPsPKlPlN2at6native12_GLOBAL__N_18offset_tEEE10hipError_tPvRmT1_PNSt15iterator_traitsISK_E10value_typeET2_T3_PNSL_ISQ_E10value_typeET4_jRbjT5_SW_jjP12ihipStream_tbEUlT_E1_NS1_11comp_targetILNS1_3genE10ELNS1_11target_archE1200ELNS1_3gpuE4ELNS1_3repE0EEENS1_59segmented_radix_sort_warp_sort_small_config_static_selectorELNS0_4arch9wavefront6targetE0EEEvSK_.has_dyn_sized_stack, 0
	.set _ZN7rocprim17ROCPRIM_400000_NS6detail17trampoline_kernelINS0_14default_configENS1_36segmented_radix_sort_config_selectorIslEEZNS1_25segmented_radix_sort_implIS3_Lb0EPKsPsPKlPlN2at6native12_GLOBAL__N_18offset_tEEE10hipError_tPvRmT1_PNSt15iterator_traitsISK_E10value_typeET2_T3_PNSL_ISQ_E10value_typeET4_jRbjT5_SW_jjP12ihipStream_tbEUlT_E1_NS1_11comp_targetILNS1_3genE10ELNS1_11target_archE1200ELNS1_3gpuE4ELNS1_3repE0EEENS1_59segmented_radix_sort_warp_sort_small_config_static_selectorELNS0_4arch9wavefront6targetE0EEEvSK_.has_recursion, 0
	.set _ZN7rocprim17ROCPRIM_400000_NS6detail17trampoline_kernelINS0_14default_configENS1_36segmented_radix_sort_config_selectorIslEEZNS1_25segmented_radix_sort_implIS3_Lb0EPKsPsPKlPlN2at6native12_GLOBAL__N_18offset_tEEE10hipError_tPvRmT1_PNSt15iterator_traitsISK_E10value_typeET2_T3_PNSL_ISQ_E10value_typeET4_jRbjT5_SW_jjP12ihipStream_tbEUlT_E1_NS1_11comp_targetILNS1_3genE10ELNS1_11target_archE1200ELNS1_3gpuE4ELNS1_3repE0EEENS1_59segmented_radix_sort_warp_sort_small_config_static_selectorELNS0_4arch9wavefront6targetE0EEEvSK_.has_indirect_call, 0
	.section	.AMDGPU.csdata,"",@progbits
; Kernel info:
; codeLenInByte = 0
; TotalNumSgprs: 0
; NumVgprs: 0
; ScratchSize: 0
; MemoryBound: 0
; FloatMode: 240
; IeeeMode: 1
; LDSByteSize: 0 bytes/workgroup (compile time only)
; SGPRBlocks: 0
; VGPRBlocks: 0
; NumSGPRsForWavesPerEU: 1
; NumVGPRsForWavesPerEU: 1
; NamedBarCnt: 0
; Occupancy: 16
; WaveLimiterHint : 0
; COMPUTE_PGM_RSRC2:SCRATCH_EN: 0
; COMPUTE_PGM_RSRC2:USER_SGPR: 2
; COMPUTE_PGM_RSRC2:TRAP_HANDLER: 0
; COMPUTE_PGM_RSRC2:TGID_X_EN: 1
; COMPUTE_PGM_RSRC2:TGID_Y_EN: 0
; COMPUTE_PGM_RSRC2:TGID_Z_EN: 0
; COMPUTE_PGM_RSRC2:TIDIG_COMP_CNT: 0
	.section	.text._ZN7rocprim17ROCPRIM_400000_NS6detail17trampoline_kernelINS0_14default_configENS1_36segmented_radix_sort_config_selectorIslEEZNS1_25segmented_radix_sort_implIS3_Lb0EPKsPsPKlPlN2at6native12_GLOBAL__N_18offset_tEEE10hipError_tPvRmT1_PNSt15iterator_traitsISK_E10value_typeET2_T3_PNSL_ISQ_E10value_typeET4_jRbjT5_SW_jjP12ihipStream_tbEUlT_E1_NS1_11comp_targetILNS1_3genE9ELNS1_11target_archE1100ELNS1_3gpuE3ELNS1_3repE0EEENS1_59segmented_radix_sort_warp_sort_small_config_static_selectorELNS0_4arch9wavefront6targetE0EEEvSK_,"axG",@progbits,_ZN7rocprim17ROCPRIM_400000_NS6detail17trampoline_kernelINS0_14default_configENS1_36segmented_radix_sort_config_selectorIslEEZNS1_25segmented_radix_sort_implIS3_Lb0EPKsPsPKlPlN2at6native12_GLOBAL__N_18offset_tEEE10hipError_tPvRmT1_PNSt15iterator_traitsISK_E10value_typeET2_T3_PNSL_ISQ_E10value_typeET4_jRbjT5_SW_jjP12ihipStream_tbEUlT_E1_NS1_11comp_targetILNS1_3genE9ELNS1_11target_archE1100ELNS1_3gpuE3ELNS1_3repE0EEENS1_59segmented_radix_sort_warp_sort_small_config_static_selectorELNS0_4arch9wavefront6targetE0EEEvSK_,comdat
	.globl	_ZN7rocprim17ROCPRIM_400000_NS6detail17trampoline_kernelINS0_14default_configENS1_36segmented_radix_sort_config_selectorIslEEZNS1_25segmented_radix_sort_implIS3_Lb0EPKsPsPKlPlN2at6native12_GLOBAL__N_18offset_tEEE10hipError_tPvRmT1_PNSt15iterator_traitsISK_E10value_typeET2_T3_PNSL_ISQ_E10value_typeET4_jRbjT5_SW_jjP12ihipStream_tbEUlT_E1_NS1_11comp_targetILNS1_3genE9ELNS1_11target_archE1100ELNS1_3gpuE3ELNS1_3repE0EEENS1_59segmented_radix_sort_warp_sort_small_config_static_selectorELNS0_4arch9wavefront6targetE0EEEvSK_ ; -- Begin function _ZN7rocprim17ROCPRIM_400000_NS6detail17trampoline_kernelINS0_14default_configENS1_36segmented_radix_sort_config_selectorIslEEZNS1_25segmented_radix_sort_implIS3_Lb0EPKsPsPKlPlN2at6native12_GLOBAL__N_18offset_tEEE10hipError_tPvRmT1_PNSt15iterator_traitsISK_E10value_typeET2_T3_PNSL_ISQ_E10value_typeET4_jRbjT5_SW_jjP12ihipStream_tbEUlT_E1_NS1_11comp_targetILNS1_3genE9ELNS1_11target_archE1100ELNS1_3gpuE3ELNS1_3repE0EEENS1_59segmented_radix_sort_warp_sort_small_config_static_selectorELNS0_4arch9wavefront6targetE0EEEvSK_
	.p2align	8
	.type	_ZN7rocprim17ROCPRIM_400000_NS6detail17trampoline_kernelINS0_14default_configENS1_36segmented_radix_sort_config_selectorIslEEZNS1_25segmented_radix_sort_implIS3_Lb0EPKsPsPKlPlN2at6native12_GLOBAL__N_18offset_tEEE10hipError_tPvRmT1_PNSt15iterator_traitsISK_E10value_typeET2_T3_PNSL_ISQ_E10value_typeET4_jRbjT5_SW_jjP12ihipStream_tbEUlT_E1_NS1_11comp_targetILNS1_3genE9ELNS1_11target_archE1100ELNS1_3gpuE3ELNS1_3repE0EEENS1_59segmented_radix_sort_warp_sort_small_config_static_selectorELNS0_4arch9wavefront6targetE0EEEvSK_,@function
_ZN7rocprim17ROCPRIM_400000_NS6detail17trampoline_kernelINS0_14default_configENS1_36segmented_radix_sort_config_selectorIslEEZNS1_25segmented_radix_sort_implIS3_Lb0EPKsPsPKlPlN2at6native12_GLOBAL__N_18offset_tEEE10hipError_tPvRmT1_PNSt15iterator_traitsISK_E10value_typeET2_T3_PNSL_ISQ_E10value_typeET4_jRbjT5_SW_jjP12ihipStream_tbEUlT_E1_NS1_11comp_targetILNS1_3genE9ELNS1_11target_archE1100ELNS1_3gpuE3ELNS1_3repE0EEENS1_59segmented_radix_sort_warp_sort_small_config_static_selectorELNS0_4arch9wavefront6targetE0EEEvSK_: ; @_ZN7rocprim17ROCPRIM_400000_NS6detail17trampoline_kernelINS0_14default_configENS1_36segmented_radix_sort_config_selectorIslEEZNS1_25segmented_radix_sort_implIS3_Lb0EPKsPsPKlPlN2at6native12_GLOBAL__N_18offset_tEEE10hipError_tPvRmT1_PNSt15iterator_traitsISK_E10value_typeET2_T3_PNSL_ISQ_E10value_typeET4_jRbjT5_SW_jjP12ihipStream_tbEUlT_E1_NS1_11comp_targetILNS1_3genE9ELNS1_11target_archE1100ELNS1_3gpuE3ELNS1_3repE0EEENS1_59segmented_radix_sort_warp_sort_small_config_static_selectorELNS0_4arch9wavefront6targetE0EEEvSK_
; %bb.0:
	.section	.rodata,"a",@progbits
	.p2align	6, 0x0
	.amdhsa_kernel _ZN7rocprim17ROCPRIM_400000_NS6detail17trampoline_kernelINS0_14default_configENS1_36segmented_radix_sort_config_selectorIslEEZNS1_25segmented_radix_sort_implIS3_Lb0EPKsPsPKlPlN2at6native12_GLOBAL__N_18offset_tEEE10hipError_tPvRmT1_PNSt15iterator_traitsISK_E10value_typeET2_T3_PNSL_ISQ_E10value_typeET4_jRbjT5_SW_jjP12ihipStream_tbEUlT_E1_NS1_11comp_targetILNS1_3genE9ELNS1_11target_archE1100ELNS1_3gpuE3ELNS1_3repE0EEENS1_59segmented_radix_sort_warp_sort_small_config_static_selectorELNS0_4arch9wavefront6targetE0EEEvSK_
		.amdhsa_group_segment_fixed_size 0
		.amdhsa_private_segment_fixed_size 0
		.amdhsa_kernarg_size 88
		.amdhsa_user_sgpr_count 2
		.amdhsa_user_sgpr_dispatch_ptr 0
		.amdhsa_user_sgpr_queue_ptr 0
		.amdhsa_user_sgpr_kernarg_segment_ptr 1
		.amdhsa_user_sgpr_dispatch_id 0
		.amdhsa_user_sgpr_kernarg_preload_length 0
		.amdhsa_user_sgpr_kernarg_preload_offset 0
		.amdhsa_user_sgpr_private_segment_size 0
		.amdhsa_wavefront_size32 1
		.amdhsa_uses_dynamic_stack 0
		.amdhsa_enable_private_segment 0
		.amdhsa_system_sgpr_workgroup_id_x 1
		.amdhsa_system_sgpr_workgroup_id_y 0
		.amdhsa_system_sgpr_workgroup_id_z 0
		.amdhsa_system_sgpr_workgroup_info 0
		.amdhsa_system_vgpr_workitem_id 0
		.amdhsa_next_free_vgpr 1
		.amdhsa_next_free_sgpr 1
		.amdhsa_named_barrier_count 0
		.amdhsa_reserve_vcc 0
		.amdhsa_float_round_mode_32 0
		.amdhsa_float_round_mode_16_64 0
		.amdhsa_float_denorm_mode_32 3
		.amdhsa_float_denorm_mode_16_64 3
		.amdhsa_fp16_overflow 0
		.amdhsa_memory_ordered 1
		.amdhsa_forward_progress 1
		.amdhsa_inst_pref_size 0
		.amdhsa_round_robin_scheduling 0
		.amdhsa_exception_fp_ieee_invalid_op 0
		.amdhsa_exception_fp_denorm_src 0
		.amdhsa_exception_fp_ieee_div_zero 0
		.amdhsa_exception_fp_ieee_overflow 0
		.amdhsa_exception_fp_ieee_underflow 0
		.amdhsa_exception_fp_ieee_inexact 0
		.amdhsa_exception_int_div_zero 0
	.end_amdhsa_kernel
	.section	.text._ZN7rocprim17ROCPRIM_400000_NS6detail17trampoline_kernelINS0_14default_configENS1_36segmented_radix_sort_config_selectorIslEEZNS1_25segmented_radix_sort_implIS3_Lb0EPKsPsPKlPlN2at6native12_GLOBAL__N_18offset_tEEE10hipError_tPvRmT1_PNSt15iterator_traitsISK_E10value_typeET2_T3_PNSL_ISQ_E10value_typeET4_jRbjT5_SW_jjP12ihipStream_tbEUlT_E1_NS1_11comp_targetILNS1_3genE9ELNS1_11target_archE1100ELNS1_3gpuE3ELNS1_3repE0EEENS1_59segmented_radix_sort_warp_sort_small_config_static_selectorELNS0_4arch9wavefront6targetE0EEEvSK_,"axG",@progbits,_ZN7rocprim17ROCPRIM_400000_NS6detail17trampoline_kernelINS0_14default_configENS1_36segmented_radix_sort_config_selectorIslEEZNS1_25segmented_radix_sort_implIS3_Lb0EPKsPsPKlPlN2at6native12_GLOBAL__N_18offset_tEEE10hipError_tPvRmT1_PNSt15iterator_traitsISK_E10value_typeET2_T3_PNSL_ISQ_E10value_typeET4_jRbjT5_SW_jjP12ihipStream_tbEUlT_E1_NS1_11comp_targetILNS1_3genE9ELNS1_11target_archE1100ELNS1_3gpuE3ELNS1_3repE0EEENS1_59segmented_radix_sort_warp_sort_small_config_static_selectorELNS0_4arch9wavefront6targetE0EEEvSK_,comdat
.Lfunc_end1036:
	.size	_ZN7rocprim17ROCPRIM_400000_NS6detail17trampoline_kernelINS0_14default_configENS1_36segmented_radix_sort_config_selectorIslEEZNS1_25segmented_radix_sort_implIS3_Lb0EPKsPsPKlPlN2at6native12_GLOBAL__N_18offset_tEEE10hipError_tPvRmT1_PNSt15iterator_traitsISK_E10value_typeET2_T3_PNSL_ISQ_E10value_typeET4_jRbjT5_SW_jjP12ihipStream_tbEUlT_E1_NS1_11comp_targetILNS1_3genE9ELNS1_11target_archE1100ELNS1_3gpuE3ELNS1_3repE0EEENS1_59segmented_radix_sort_warp_sort_small_config_static_selectorELNS0_4arch9wavefront6targetE0EEEvSK_, .Lfunc_end1036-_ZN7rocprim17ROCPRIM_400000_NS6detail17trampoline_kernelINS0_14default_configENS1_36segmented_radix_sort_config_selectorIslEEZNS1_25segmented_radix_sort_implIS3_Lb0EPKsPsPKlPlN2at6native12_GLOBAL__N_18offset_tEEE10hipError_tPvRmT1_PNSt15iterator_traitsISK_E10value_typeET2_T3_PNSL_ISQ_E10value_typeET4_jRbjT5_SW_jjP12ihipStream_tbEUlT_E1_NS1_11comp_targetILNS1_3genE9ELNS1_11target_archE1100ELNS1_3gpuE3ELNS1_3repE0EEENS1_59segmented_radix_sort_warp_sort_small_config_static_selectorELNS0_4arch9wavefront6targetE0EEEvSK_
                                        ; -- End function
	.set _ZN7rocprim17ROCPRIM_400000_NS6detail17trampoline_kernelINS0_14default_configENS1_36segmented_radix_sort_config_selectorIslEEZNS1_25segmented_radix_sort_implIS3_Lb0EPKsPsPKlPlN2at6native12_GLOBAL__N_18offset_tEEE10hipError_tPvRmT1_PNSt15iterator_traitsISK_E10value_typeET2_T3_PNSL_ISQ_E10value_typeET4_jRbjT5_SW_jjP12ihipStream_tbEUlT_E1_NS1_11comp_targetILNS1_3genE9ELNS1_11target_archE1100ELNS1_3gpuE3ELNS1_3repE0EEENS1_59segmented_radix_sort_warp_sort_small_config_static_selectorELNS0_4arch9wavefront6targetE0EEEvSK_.num_vgpr, 0
	.set _ZN7rocprim17ROCPRIM_400000_NS6detail17trampoline_kernelINS0_14default_configENS1_36segmented_radix_sort_config_selectorIslEEZNS1_25segmented_radix_sort_implIS3_Lb0EPKsPsPKlPlN2at6native12_GLOBAL__N_18offset_tEEE10hipError_tPvRmT1_PNSt15iterator_traitsISK_E10value_typeET2_T3_PNSL_ISQ_E10value_typeET4_jRbjT5_SW_jjP12ihipStream_tbEUlT_E1_NS1_11comp_targetILNS1_3genE9ELNS1_11target_archE1100ELNS1_3gpuE3ELNS1_3repE0EEENS1_59segmented_radix_sort_warp_sort_small_config_static_selectorELNS0_4arch9wavefront6targetE0EEEvSK_.num_agpr, 0
	.set _ZN7rocprim17ROCPRIM_400000_NS6detail17trampoline_kernelINS0_14default_configENS1_36segmented_radix_sort_config_selectorIslEEZNS1_25segmented_radix_sort_implIS3_Lb0EPKsPsPKlPlN2at6native12_GLOBAL__N_18offset_tEEE10hipError_tPvRmT1_PNSt15iterator_traitsISK_E10value_typeET2_T3_PNSL_ISQ_E10value_typeET4_jRbjT5_SW_jjP12ihipStream_tbEUlT_E1_NS1_11comp_targetILNS1_3genE9ELNS1_11target_archE1100ELNS1_3gpuE3ELNS1_3repE0EEENS1_59segmented_radix_sort_warp_sort_small_config_static_selectorELNS0_4arch9wavefront6targetE0EEEvSK_.numbered_sgpr, 0
	.set _ZN7rocprim17ROCPRIM_400000_NS6detail17trampoline_kernelINS0_14default_configENS1_36segmented_radix_sort_config_selectorIslEEZNS1_25segmented_radix_sort_implIS3_Lb0EPKsPsPKlPlN2at6native12_GLOBAL__N_18offset_tEEE10hipError_tPvRmT1_PNSt15iterator_traitsISK_E10value_typeET2_T3_PNSL_ISQ_E10value_typeET4_jRbjT5_SW_jjP12ihipStream_tbEUlT_E1_NS1_11comp_targetILNS1_3genE9ELNS1_11target_archE1100ELNS1_3gpuE3ELNS1_3repE0EEENS1_59segmented_radix_sort_warp_sort_small_config_static_selectorELNS0_4arch9wavefront6targetE0EEEvSK_.num_named_barrier, 0
	.set _ZN7rocprim17ROCPRIM_400000_NS6detail17trampoline_kernelINS0_14default_configENS1_36segmented_radix_sort_config_selectorIslEEZNS1_25segmented_radix_sort_implIS3_Lb0EPKsPsPKlPlN2at6native12_GLOBAL__N_18offset_tEEE10hipError_tPvRmT1_PNSt15iterator_traitsISK_E10value_typeET2_T3_PNSL_ISQ_E10value_typeET4_jRbjT5_SW_jjP12ihipStream_tbEUlT_E1_NS1_11comp_targetILNS1_3genE9ELNS1_11target_archE1100ELNS1_3gpuE3ELNS1_3repE0EEENS1_59segmented_radix_sort_warp_sort_small_config_static_selectorELNS0_4arch9wavefront6targetE0EEEvSK_.private_seg_size, 0
	.set _ZN7rocprim17ROCPRIM_400000_NS6detail17trampoline_kernelINS0_14default_configENS1_36segmented_radix_sort_config_selectorIslEEZNS1_25segmented_radix_sort_implIS3_Lb0EPKsPsPKlPlN2at6native12_GLOBAL__N_18offset_tEEE10hipError_tPvRmT1_PNSt15iterator_traitsISK_E10value_typeET2_T3_PNSL_ISQ_E10value_typeET4_jRbjT5_SW_jjP12ihipStream_tbEUlT_E1_NS1_11comp_targetILNS1_3genE9ELNS1_11target_archE1100ELNS1_3gpuE3ELNS1_3repE0EEENS1_59segmented_radix_sort_warp_sort_small_config_static_selectorELNS0_4arch9wavefront6targetE0EEEvSK_.uses_vcc, 0
	.set _ZN7rocprim17ROCPRIM_400000_NS6detail17trampoline_kernelINS0_14default_configENS1_36segmented_radix_sort_config_selectorIslEEZNS1_25segmented_radix_sort_implIS3_Lb0EPKsPsPKlPlN2at6native12_GLOBAL__N_18offset_tEEE10hipError_tPvRmT1_PNSt15iterator_traitsISK_E10value_typeET2_T3_PNSL_ISQ_E10value_typeET4_jRbjT5_SW_jjP12ihipStream_tbEUlT_E1_NS1_11comp_targetILNS1_3genE9ELNS1_11target_archE1100ELNS1_3gpuE3ELNS1_3repE0EEENS1_59segmented_radix_sort_warp_sort_small_config_static_selectorELNS0_4arch9wavefront6targetE0EEEvSK_.uses_flat_scratch, 0
	.set _ZN7rocprim17ROCPRIM_400000_NS6detail17trampoline_kernelINS0_14default_configENS1_36segmented_radix_sort_config_selectorIslEEZNS1_25segmented_radix_sort_implIS3_Lb0EPKsPsPKlPlN2at6native12_GLOBAL__N_18offset_tEEE10hipError_tPvRmT1_PNSt15iterator_traitsISK_E10value_typeET2_T3_PNSL_ISQ_E10value_typeET4_jRbjT5_SW_jjP12ihipStream_tbEUlT_E1_NS1_11comp_targetILNS1_3genE9ELNS1_11target_archE1100ELNS1_3gpuE3ELNS1_3repE0EEENS1_59segmented_radix_sort_warp_sort_small_config_static_selectorELNS0_4arch9wavefront6targetE0EEEvSK_.has_dyn_sized_stack, 0
	.set _ZN7rocprim17ROCPRIM_400000_NS6detail17trampoline_kernelINS0_14default_configENS1_36segmented_radix_sort_config_selectorIslEEZNS1_25segmented_radix_sort_implIS3_Lb0EPKsPsPKlPlN2at6native12_GLOBAL__N_18offset_tEEE10hipError_tPvRmT1_PNSt15iterator_traitsISK_E10value_typeET2_T3_PNSL_ISQ_E10value_typeET4_jRbjT5_SW_jjP12ihipStream_tbEUlT_E1_NS1_11comp_targetILNS1_3genE9ELNS1_11target_archE1100ELNS1_3gpuE3ELNS1_3repE0EEENS1_59segmented_radix_sort_warp_sort_small_config_static_selectorELNS0_4arch9wavefront6targetE0EEEvSK_.has_recursion, 0
	.set _ZN7rocprim17ROCPRIM_400000_NS6detail17trampoline_kernelINS0_14default_configENS1_36segmented_radix_sort_config_selectorIslEEZNS1_25segmented_radix_sort_implIS3_Lb0EPKsPsPKlPlN2at6native12_GLOBAL__N_18offset_tEEE10hipError_tPvRmT1_PNSt15iterator_traitsISK_E10value_typeET2_T3_PNSL_ISQ_E10value_typeET4_jRbjT5_SW_jjP12ihipStream_tbEUlT_E1_NS1_11comp_targetILNS1_3genE9ELNS1_11target_archE1100ELNS1_3gpuE3ELNS1_3repE0EEENS1_59segmented_radix_sort_warp_sort_small_config_static_selectorELNS0_4arch9wavefront6targetE0EEEvSK_.has_indirect_call, 0
	.section	.AMDGPU.csdata,"",@progbits
; Kernel info:
; codeLenInByte = 0
; TotalNumSgprs: 0
; NumVgprs: 0
; ScratchSize: 0
; MemoryBound: 0
; FloatMode: 240
; IeeeMode: 1
; LDSByteSize: 0 bytes/workgroup (compile time only)
; SGPRBlocks: 0
; VGPRBlocks: 0
; NumSGPRsForWavesPerEU: 1
; NumVGPRsForWavesPerEU: 1
; NamedBarCnt: 0
; Occupancy: 16
; WaveLimiterHint : 0
; COMPUTE_PGM_RSRC2:SCRATCH_EN: 0
; COMPUTE_PGM_RSRC2:USER_SGPR: 2
; COMPUTE_PGM_RSRC2:TRAP_HANDLER: 0
; COMPUTE_PGM_RSRC2:TGID_X_EN: 1
; COMPUTE_PGM_RSRC2:TGID_Y_EN: 0
; COMPUTE_PGM_RSRC2:TGID_Z_EN: 0
; COMPUTE_PGM_RSRC2:TIDIG_COMP_CNT: 0
	.section	.text._ZN7rocprim17ROCPRIM_400000_NS6detail17trampoline_kernelINS0_14default_configENS1_36segmented_radix_sort_config_selectorIslEEZNS1_25segmented_radix_sort_implIS3_Lb0EPKsPsPKlPlN2at6native12_GLOBAL__N_18offset_tEEE10hipError_tPvRmT1_PNSt15iterator_traitsISK_E10value_typeET2_T3_PNSL_ISQ_E10value_typeET4_jRbjT5_SW_jjP12ihipStream_tbEUlT_E1_NS1_11comp_targetILNS1_3genE8ELNS1_11target_archE1030ELNS1_3gpuE2ELNS1_3repE0EEENS1_59segmented_radix_sort_warp_sort_small_config_static_selectorELNS0_4arch9wavefront6targetE0EEEvSK_,"axG",@progbits,_ZN7rocprim17ROCPRIM_400000_NS6detail17trampoline_kernelINS0_14default_configENS1_36segmented_radix_sort_config_selectorIslEEZNS1_25segmented_radix_sort_implIS3_Lb0EPKsPsPKlPlN2at6native12_GLOBAL__N_18offset_tEEE10hipError_tPvRmT1_PNSt15iterator_traitsISK_E10value_typeET2_T3_PNSL_ISQ_E10value_typeET4_jRbjT5_SW_jjP12ihipStream_tbEUlT_E1_NS1_11comp_targetILNS1_3genE8ELNS1_11target_archE1030ELNS1_3gpuE2ELNS1_3repE0EEENS1_59segmented_radix_sort_warp_sort_small_config_static_selectorELNS0_4arch9wavefront6targetE0EEEvSK_,comdat
	.globl	_ZN7rocprim17ROCPRIM_400000_NS6detail17trampoline_kernelINS0_14default_configENS1_36segmented_radix_sort_config_selectorIslEEZNS1_25segmented_radix_sort_implIS3_Lb0EPKsPsPKlPlN2at6native12_GLOBAL__N_18offset_tEEE10hipError_tPvRmT1_PNSt15iterator_traitsISK_E10value_typeET2_T3_PNSL_ISQ_E10value_typeET4_jRbjT5_SW_jjP12ihipStream_tbEUlT_E1_NS1_11comp_targetILNS1_3genE8ELNS1_11target_archE1030ELNS1_3gpuE2ELNS1_3repE0EEENS1_59segmented_radix_sort_warp_sort_small_config_static_selectorELNS0_4arch9wavefront6targetE0EEEvSK_ ; -- Begin function _ZN7rocprim17ROCPRIM_400000_NS6detail17trampoline_kernelINS0_14default_configENS1_36segmented_radix_sort_config_selectorIslEEZNS1_25segmented_radix_sort_implIS3_Lb0EPKsPsPKlPlN2at6native12_GLOBAL__N_18offset_tEEE10hipError_tPvRmT1_PNSt15iterator_traitsISK_E10value_typeET2_T3_PNSL_ISQ_E10value_typeET4_jRbjT5_SW_jjP12ihipStream_tbEUlT_E1_NS1_11comp_targetILNS1_3genE8ELNS1_11target_archE1030ELNS1_3gpuE2ELNS1_3repE0EEENS1_59segmented_radix_sort_warp_sort_small_config_static_selectorELNS0_4arch9wavefront6targetE0EEEvSK_
	.p2align	8
	.type	_ZN7rocprim17ROCPRIM_400000_NS6detail17trampoline_kernelINS0_14default_configENS1_36segmented_radix_sort_config_selectorIslEEZNS1_25segmented_radix_sort_implIS3_Lb0EPKsPsPKlPlN2at6native12_GLOBAL__N_18offset_tEEE10hipError_tPvRmT1_PNSt15iterator_traitsISK_E10value_typeET2_T3_PNSL_ISQ_E10value_typeET4_jRbjT5_SW_jjP12ihipStream_tbEUlT_E1_NS1_11comp_targetILNS1_3genE8ELNS1_11target_archE1030ELNS1_3gpuE2ELNS1_3repE0EEENS1_59segmented_radix_sort_warp_sort_small_config_static_selectorELNS0_4arch9wavefront6targetE0EEEvSK_,@function
_ZN7rocprim17ROCPRIM_400000_NS6detail17trampoline_kernelINS0_14default_configENS1_36segmented_radix_sort_config_selectorIslEEZNS1_25segmented_radix_sort_implIS3_Lb0EPKsPsPKlPlN2at6native12_GLOBAL__N_18offset_tEEE10hipError_tPvRmT1_PNSt15iterator_traitsISK_E10value_typeET2_T3_PNSL_ISQ_E10value_typeET4_jRbjT5_SW_jjP12ihipStream_tbEUlT_E1_NS1_11comp_targetILNS1_3genE8ELNS1_11target_archE1030ELNS1_3gpuE2ELNS1_3repE0EEENS1_59segmented_radix_sort_warp_sort_small_config_static_selectorELNS0_4arch9wavefront6targetE0EEEvSK_: ; @_ZN7rocprim17ROCPRIM_400000_NS6detail17trampoline_kernelINS0_14default_configENS1_36segmented_radix_sort_config_selectorIslEEZNS1_25segmented_radix_sort_implIS3_Lb0EPKsPsPKlPlN2at6native12_GLOBAL__N_18offset_tEEE10hipError_tPvRmT1_PNSt15iterator_traitsISK_E10value_typeET2_T3_PNSL_ISQ_E10value_typeET4_jRbjT5_SW_jjP12ihipStream_tbEUlT_E1_NS1_11comp_targetILNS1_3genE8ELNS1_11target_archE1030ELNS1_3gpuE2ELNS1_3repE0EEENS1_59segmented_radix_sort_warp_sort_small_config_static_selectorELNS0_4arch9wavefront6targetE0EEEvSK_
; %bb.0:
	.section	.rodata,"a",@progbits
	.p2align	6, 0x0
	.amdhsa_kernel _ZN7rocprim17ROCPRIM_400000_NS6detail17trampoline_kernelINS0_14default_configENS1_36segmented_radix_sort_config_selectorIslEEZNS1_25segmented_radix_sort_implIS3_Lb0EPKsPsPKlPlN2at6native12_GLOBAL__N_18offset_tEEE10hipError_tPvRmT1_PNSt15iterator_traitsISK_E10value_typeET2_T3_PNSL_ISQ_E10value_typeET4_jRbjT5_SW_jjP12ihipStream_tbEUlT_E1_NS1_11comp_targetILNS1_3genE8ELNS1_11target_archE1030ELNS1_3gpuE2ELNS1_3repE0EEENS1_59segmented_radix_sort_warp_sort_small_config_static_selectorELNS0_4arch9wavefront6targetE0EEEvSK_
		.amdhsa_group_segment_fixed_size 0
		.amdhsa_private_segment_fixed_size 0
		.amdhsa_kernarg_size 88
		.amdhsa_user_sgpr_count 2
		.amdhsa_user_sgpr_dispatch_ptr 0
		.amdhsa_user_sgpr_queue_ptr 0
		.amdhsa_user_sgpr_kernarg_segment_ptr 1
		.amdhsa_user_sgpr_dispatch_id 0
		.amdhsa_user_sgpr_kernarg_preload_length 0
		.amdhsa_user_sgpr_kernarg_preload_offset 0
		.amdhsa_user_sgpr_private_segment_size 0
		.amdhsa_wavefront_size32 1
		.amdhsa_uses_dynamic_stack 0
		.amdhsa_enable_private_segment 0
		.amdhsa_system_sgpr_workgroup_id_x 1
		.amdhsa_system_sgpr_workgroup_id_y 0
		.amdhsa_system_sgpr_workgroup_id_z 0
		.amdhsa_system_sgpr_workgroup_info 0
		.amdhsa_system_vgpr_workitem_id 0
		.amdhsa_next_free_vgpr 1
		.amdhsa_next_free_sgpr 1
		.amdhsa_named_barrier_count 0
		.amdhsa_reserve_vcc 0
		.amdhsa_float_round_mode_32 0
		.amdhsa_float_round_mode_16_64 0
		.amdhsa_float_denorm_mode_32 3
		.amdhsa_float_denorm_mode_16_64 3
		.amdhsa_fp16_overflow 0
		.amdhsa_memory_ordered 1
		.amdhsa_forward_progress 1
		.amdhsa_inst_pref_size 0
		.amdhsa_round_robin_scheduling 0
		.amdhsa_exception_fp_ieee_invalid_op 0
		.amdhsa_exception_fp_denorm_src 0
		.amdhsa_exception_fp_ieee_div_zero 0
		.amdhsa_exception_fp_ieee_overflow 0
		.amdhsa_exception_fp_ieee_underflow 0
		.amdhsa_exception_fp_ieee_inexact 0
		.amdhsa_exception_int_div_zero 0
	.end_amdhsa_kernel
	.section	.text._ZN7rocprim17ROCPRIM_400000_NS6detail17trampoline_kernelINS0_14default_configENS1_36segmented_radix_sort_config_selectorIslEEZNS1_25segmented_radix_sort_implIS3_Lb0EPKsPsPKlPlN2at6native12_GLOBAL__N_18offset_tEEE10hipError_tPvRmT1_PNSt15iterator_traitsISK_E10value_typeET2_T3_PNSL_ISQ_E10value_typeET4_jRbjT5_SW_jjP12ihipStream_tbEUlT_E1_NS1_11comp_targetILNS1_3genE8ELNS1_11target_archE1030ELNS1_3gpuE2ELNS1_3repE0EEENS1_59segmented_radix_sort_warp_sort_small_config_static_selectorELNS0_4arch9wavefront6targetE0EEEvSK_,"axG",@progbits,_ZN7rocprim17ROCPRIM_400000_NS6detail17trampoline_kernelINS0_14default_configENS1_36segmented_radix_sort_config_selectorIslEEZNS1_25segmented_radix_sort_implIS3_Lb0EPKsPsPKlPlN2at6native12_GLOBAL__N_18offset_tEEE10hipError_tPvRmT1_PNSt15iterator_traitsISK_E10value_typeET2_T3_PNSL_ISQ_E10value_typeET4_jRbjT5_SW_jjP12ihipStream_tbEUlT_E1_NS1_11comp_targetILNS1_3genE8ELNS1_11target_archE1030ELNS1_3gpuE2ELNS1_3repE0EEENS1_59segmented_radix_sort_warp_sort_small_config_static_selectorELNS0_4arch9wavefront6targetE0EEEvSK_,comdat
.Lfunc_end1037:
	.size	_ZN7rocprim17ROCPRIM_400000_NS6detail17trampoline_kernelINS0_14default_configENS1_36segmented_radix_sort_config_selectorIslEEZNS1_25segmented_radix_sort_implIS3_Lb0EPKsPsPKlPlN2at6native12_GLOBAL__N_18offset_tEEE10hipError_tPvRmT1_PNSt15iterator_traitsISK_E10value_typeET2_T3_PNSL_ISQ_E10value_typeET4_jRbjT5_SW_jjP12ihipStream_tbEUlT_E1_NS1_11comp_targetILNS1_3genE8ELNS1_11target_archE1030ELNS1_3gpuE2ELNS1_3repE0EEENS1_59segmented_radix_sort_warp_sort_small_config_static_selectorELNS0_4arch9wavefront6targetE0EEEvSK_, .Lfunc_end1037-_ZN7rocprim17ROCPRIM_400000_NS6detail17trampoline_kernelINS0_14default_configENS1_36segmented_radix_sort_config_selectorIslEEZNS1_25segmented_radix_sort_implIS3_Lb0EPKsPsPKlPlN2at6native12_GLOBAL__N_18offset_tEEE10hipError_tPvRmT1_PNSt15iterator_traitsISK_E10value_typeET2_T3_PNSL_ISQ_E10value_typeET4_jRbjT5_SW_jjP12ihipStream_tbEUlT_E1_NS1_11comp_targetILNS1_3genE8ELNS1_11target_archE1030ELNS1_3gpuE2ELNS1_3repE0EEENS1_59segmented_radix_sort_warp_sort_small_config_static_selectorELNS0_4arch9wavefront6targetE0EEEvSK_
                                        ; -- End function
	.set _ZN7rocprim17ROCPRIM_400000_NS6detail17trampoline_kernelINS0_14default_configENS1_36segmented_radix_sort_config_selectorIslEEZNS1_25segmented_radix_sort_implIS3_Lb0EPKsPsPKlPlN2at6native12_GLOBAL__N_18offset_tEEE10hipError_tPvRmT1_PNSt15iterator_traitsISK_E10value_typeET2_T3_PNSL_ISQ_E10value_typeET4_jRbjT5_SW_jjP12ihipStream_tbEUlT_E1_NS1_11comp_targetILNS1_3genE8ELNS1_11target_archE1030ELNS1_3gpuE2ELNS1_3repE0EEENS1_59segmented_radix_sort_warp_sort_small_config_static_selectorELNS0_4arch9wavefront6targetE0EEEvSK_.num_vgpr, 0
	.set _ZN7rocprim17ROCPRIM_400000_NS6detail17trampoline_kernelINS0_14default_configENS1_36segmented_radix_sort_config_selectorIslEEZNS1_25segmented_radix_sort_implIS3_Lb0EPKsPsPKlPlN2at6native12_GLOBAL__N_18offset_tEEE10hipError_tPvRmT1_PNSt15iterator_traitsISK_E10value_typeET2_T3_PNSL_ISQ_E10value_typeET4_jRbjT5_SW_jjP12ihipStream_tbEUlT_E1_NS1_11comp_targetILNS1_3genE8ELNS1_11target_archE1030ELNS1_3gpuE2ELNS1_3repE0EEENS1_59segmented_radix_sort_warp_sort_small_config_static_selectorELNS0_4arch9wavefront6targetE0EEEvSK_.num_agpr, 0
	.set _ZN7rocprim17ROCPRIM_400000_NS6detail17trampoline_kernelINS0_14default_configENS1_36segmented_radix_sort_config_selectorIslEEZNS1_25segmented_radix_sort_implIS3_Lb0EPKsPsPKlPlN2at6native12_GLOBAL__N_18offset_tEEE10hipError_tPvRmT1_PNSt15iterator_traitsISK_E10value_typeET2_T3_PNSL_ISQ_E10value_typeET4_jRbjT5_SW_jjP12ihipStream_tbEUlT_E1_NS1_11comp_targetILNS1_3genE8ELNS1_11target_archE1030ELNS1_3gpuE2ELNS1_3repE0EEENS1_59segmented_radix_sort_warp_sort_small_config_static_selectorELNS0_4arch9wavefront6targetE0EEEvSK_.numbered_sgpr, 0
	.set _ZN7rocprim17ROCPRIM_400000_NS6detail17trampoline_kernelINS0_14default_configENS1_36segmented_radix_sort_config_selectorIslEEZNS1_25segmented_radix_sort_implIS3_Lb0EPKsPsPKlPlN2at6native12_GLOBAL__N_18offset_tEEE10hipError_tPvRmT1_PNSt15iterator_traitsISK_E10value_typeET2_T3_PNSL_ISQ_E10value_typeET4_jRbjT5_SW_jjP12ihipStream_tbEUlT_E1_NS1_11comp_targetILNS1_3genE8ELNS1_11target_archE1030ELNS1_3gpuE2ELNS1_3repE0EEENS1_59segmented_radix_sort_warp_sort_small_config_static_selectorELNS0_4arch9wavefront6targetE0EEEvSK_.num_named_barrier, 0
	.set _ZN7rocprim17ROCPRIM_400000_NS6detail17trampoline_kernelINS0_14default_configENS1_36segmented_radix_sort_config_selectorIslEEZNS1_25segmented_radix_sort_implIS3_Lb0EPKsPsPKlPlN2at6native12_GLOBAL__N_18offset_tEEE10hipError_tPvRmT1_PNSt15iterator_traitsISK_E10value_typeET2_T3_PNSL_ISQ_E10value_typeET4_jRbjT5_SW_jjP12ihipStream_tbEUlT_E1_NS1_11comp_targetILNS1_3genE8ELNS1_11target_archE1030ELNS1_3gpuE2ELNS1_3repE0EEENS1_59segmented_radix_sort_warp_sort_small_config_static_selectorELNS0_4arch9wavefront6targetE0EEEvSK_.private_seg_size, 0
	.set _ZN7rocprim17ROCPRIM_400000_NS6detail17trampoline_kernelINS0_14default_configENS1_36segmented_radix_sort_config_selectorIslEEZNS1_25segmented_radix_sort_implIS3_Lb0EPKsPsPKlPlN2at6native12_GLOBAL__N_18offset_tEEE10hipError_tPvRmT1_PNSt15iterator_traitsISK_E10value_typeET2_T3_PNSL_ISQ_E10value_typeET4_jRbjT5_SW_jjP12ihipStream_tbEUlT_E1_NS1_11comp_targetILNS1_3genE8ELNS1_11target_archE1030ELNS1_3gpuE2ELNS1_3repE0EEENS1_59segmented_radix_sort_warp_sort_small_config_static_selectorELNS0_4arch9wavefront6targetE0EEEvSK_.uses_vcc, 0
	.set _ZN7rocprim17ROCPRIM_400000_NS6detail17trampoline_kernelINS0_14default_configENS1_36segmented_radix_sort_config_selectorIslEEZNS1_25segmented_radix_sort_implIS3_Lb0EPKsPsPKlPlN2at6native12_GLOBAL__N_18offset_tEEE10hipError_tPvRmT1_PNSt15iterator_traitsISK_E10value_typeET2_T3_PNSL_ISQ_E10value_typeET4_jRbjT5_SW_jjP12ihipStream_tbEUlT_E1_NS1_11comp_targetILNS1_3genE8ELNS1_11target_archE1030ELNS1_3gpuE2ELNS1_3repE0EEENS1_59segmented_radix_sort_warp_sort_small_config_static_selectorELNS0_4arch9wavefront6targetE0EEEvSK_.uses_flat_scratch, 0
	.set _ZN7rocprim17ROCPRIM_400000_NS6detail17trampoline_kernelINS0_14default_configENS1_36segmented_radix_sort_config_selectorIslEEZNS1_25segmented_radix_sort_implIS3_Lb0EPKsPsPKlPlN2at6native12_GLOBAL__N_18offset_tEEE10hipError_tPvRmT1_PNSt15iterator_traitsISK_E10value_typeET2_T3_PNSL_ISQ_E10value_typeET4_jRbjT5_SW_jjP12ihipStream_tbEUlT_E1_NS1_11comp_targetILNS1_3genE8ELNS1_11target_archE1030ELNS1_3gpuE2ELNS1_3repE0EEENS1_59segmented_radix_sort_warp_sort_small_config_static_selectorELNS0_4arch9wavefront6targetE0EEEvSK_.has_dyn_sized_stack, 0
	.set _ZN7rocprim17ROCPRIM_400000_NS6detail17trampoline_kernelINS0_14default_configENS1_36segmented_radix_sort_config_selectorIslEEZNS1_25segmented_radix_sort_implIS3_Lb0EPKsPsPKlPlN2at6native12_GLOBAL__N_18offset_tEEE10hipError_tPvRmT1_PNSt15iterator_traitsISK_E10value_typeET2_T3_PNSL_ISQ_E10value_typeET4_jRbjT5_SW_jjP12ihipStream_tbEUlT_E1_NS1_11comp_targetILNS1_3genE8ELNS1_11target_archE1030ELNS1_3gpuE2ELNS1_3repE0EEENS1_59segmented_radix_sort_warp_sort_small_config_static_selectorELNS0_4arch9wavefront6targetE0EEEvSK_.has_recursion, 0
	.set _ZN7rocprim17ROCPRIM_400000_NS6detail17trampoline_kernelINS0_14default_configENS1_36segmented_radix_sort_config_selectorIslEEZNS1_25segmented_radix_sort_implIS3_Lb0EPKsPsPKlPlN2at6native12_GLOBAL__N_18offset_tEEE10hipError_tPvRmT1_PNSt15iterator_traitsISK_E10value_typeET2_T3_PNSL_ISQ_E10value_typeET4_jRbjT5_SW_jjP12ihipStream_tbEUlT_E1_NS1_11comp_targetILNS1_3genE8ELNS1_11target_archE1030ELNS1_3gpuE2ELNS1_3repE0EEENS1_59segmented_radix_sort_warp_sort_small_config_static_selectorELNS0_4arch9wavefront6targetE0EEEvSK_.has_indirect_call, 0
	.section	.AMDGPU.csdata,"",@progbits
; Kernel info:
; codeLenInByte = 0
; TotalNumSgprs: 0
; NumVgprs: 0
; ScratchSize: 0
; MemoryBound: 0
; FloatMode: 240
; IeeeMode: 1
; LDSByteSize: 0 bytes/workgroup (compile time only)
; SGPRBlocks: 0
; VGPRBlocks: 0
; NumSGPRsForWavesPerEU: 1
; NumVGPRsForWavesPerEU: 1
; NamedBarCnt: 0
; Occupancy: 16
; WaveLimiterHint : 0
; COMPUTE_PGM_RSRC2:SCRATCH_EN: 0
; COMPUTE_PGM_RSRC2:USER_SGPR: 2
; COMPUTE_PGM_RSRC2:TRAP_HANDLER: 0
; COMPUTE_PGM_RSRC2:TGID_X_EN: 1
; COMPUTE_PGM_RSRC2:TGID_Y_EN: 0
; COMPUTE_PGM_RSRC2:TGID_Z_EN: 0
; COMPUTE_PGM_RSRC2:TIDIG_COMP_CNT: 0
	.section	.text._ZN7rocprim17ROCPRIM_400000_NS6detail17trampoline_kernelINS0_14default_configENS1_36segmented_radix_sort_config_selectorIslEEZNS1_25segmented_radix_sort_implIS3_Lb0EPKsPsPKlPlN2at6native12_GLOBAL__N_18offset_tEEE10hipError_tPvRmT1_PNSt15iterator_traitsISK_E10value_typeET2_T3_PNSL_ISQ_E10value_typeET4_jRbjT5_SW_jjP12ihipStream_tbEUlT_E2_NS1_11comp_targetILNS1_3genE0ELNS1_11target_archE4294967295ELNS1_3gpuE0ELNS1_3repE0EEENS1_30default_config_static_selectorELNS0_4arch9wavefront6targetE0EEEvSK_,"axG",@progbits,_ZN7rocprim17ROCPRIM_400000_NS6detail17trampoline_kernelINS0_14default_configENS1_36segmented_radix_sort_config_selectorIslEEZNS1_25segmented_radix_sort_implIS3_Lb0EPKsPsPKlPlN2at6native12_GLOBAL__N_18offset_tEEE10hipError_tPvRmT1_PNSt15iterator_traitsISK_E10value_typeET2_T3_PNSL_ISQ_E10value_typeET4_jRbjT5_SW_jjP12ihipStream_tbEUlT_E2_NS1_11comp_targetILNS1_3genE0ELNS1_11target_archE4294967295ELNS1_3gpuE0ELNS1_3repE0EEENS1_30default_config_static_selectorELNS0_4arch9wavefront6targetE0EEEvSK_,comdat
	.globl	_ZN7rocprim17ROCPRIM_400000_NS6detail17trampoline_kernelINS0_14default_configENS1_36segmented_radix_sort_config_selectorIslEEZNS1_25segmented_radix_sort_implIS3_Lb0EPKsPsPKlPlN2at6native12_GLOBAL__N_18offset_tEEE10hipError_tPvRmT1_PNSt15iterator_traitsISK_E10value_typeET2_T3_PNSL_ISQ_E10value_typeET4_jRbjT5_SW_jjP12ihipStream_tbEUlT_E2_NS1_11comp_targetILNS1_3genE0ELNS1_11target_archE4294967295ELNS1_3gpuE0ELNS1_3repE0EEENS1_30default_config_static_selectorELNS0_4arch9wavefront6targetE0EEEvSK_ ; -- Begin function _ZN7rocprim17ROCPRIM_400000_NS6detail17trampoline_kernelINS0_14default_configENS1_36segmented_radix_sort_config_selectorIslEEZNS1_25segmented_radix_sort_implIS3_Lb0EPKsPsPKlPlN2at6native12_GLOBAL__N_18offset_tEEE10hipError_tPvRmT1_PNSt15iterator_traitsISK_E10value_typeET2_T3_PNSL_ISQ_E10value_typeET4_jRbjT5_SW_jjP12ihipStream_tbEUlT_E2_NS1_11comp_targetILNS1_3genE0ELNS1_11target_archE4294967295ELNS1_3gpuE0ELNS1_3repE0EEENS1_30default_config_static_selectorELNS0_4arch9wavefront6targetE0EEEvSK_
	.p2align	8
	.type	_ZN7rocprim17ROCPRIM_400000_NS6detail17trampoline_kernelINS0_14default_configENS1_36segmented_radix_sort_config_selectorIslEEZNS1_25segmented_radix_sort_implIS3_Lb0EPKsPsPKlPlN2at6native12_GLOBAL__N_18offset_tEEE10hipError_tPvRmT1_PNSt15iterator_traitsISK_E10value_typeET2_T3_PNSL_ISQ_E10value_typeET4_jRbjT5_SW_jjP12ihipStream_tbEUlT_E2_NS1_11comp_targetILNS1_3genE0ELNS1_11target_archE4294967295ELNS1_3gpuE0ELNS1_3repE0EEENS1_30default_config_static_selectorELNS0_4arch9wavefront6targetE0EEEvSK_,@function
_ZN7rocprim17ROCPRIM_400000_NS6detail17trampoline_kernelINS0_14default_configENS1_36segmented_radix_sort_config_selectorIslEEZNS1_25segmented_radix_sort_implIS3_Lb0EPKsPsPKlPlN2at6native12_GLOBAL__N_18offset_tEEE10hipError_tPvRmT1_PNSt15iterator_traitsISK_E10value_typeET2_T3_PNSL_ISQ_E10value_typeET4_jRbjT5_SW_jjP12ihipStream_tbEUlT_E2_NS1_11comp_targetILNS1_3genE0ELNS1_11target_archE4294967295ELNS1_3gpuE0ELNS1_3repE0EEENS1_30default_config_static_selectorELNS0_4arch9wavefront6targetE0EEEvSK_: ; @_ZN7rocprim17ROCPRIM_400000_NS6detail17trampoline_kernelINS0_14default_configENS1_36segmented_radix_sort_config_selectorIslEEZNS1_25segmented_radix_sort_implIS3_Lb0EPKsPsPKlPlN2at6native12_GLOBAL__N_18offset_tEEE10hipError_tPvRmT1_PNSt15iterator_traitsISK_E10value_typeET2_T3_PNSL_ISQ_E10value_typeET4_jRbjT5_SW_jjP12ihipStream_tbEUlT_E2_NS1_11comp_targetILNS1_3genE0ELNS1_11target_archE4294967295ELNS1_3gpuE0ELNS1_3repE0EEENS1_30default_config_static_selectorELNS0_4arch9wavefront6targetE0EEEvSK_
; %bb.0:
	s_load_b128 s[4:7], s[2:3], 0x34
	s_bfe_u32 s8, ttmp6, 0x4000c
	s_and_b32 s9, ttmp6, 15
	s_add_co_i32 s8, s8, 1
	s_getreg_b32 s25, hwreg(HW_REG_IB_STS2, 6, 4)
	s_mul_i32 s8, ttmp9, s8
	s_mov_b32 s32, 0
	s_add_co_i32 s9, s9, s8
	s_cmp_eq_u32 s25, 0
	s_cselect_b32 s51, ttmp9, s9
	s_wait_kmcnt 0x0
	s_add_co_i32 s54, s7, s51
	s_add_co_i32 s55, s5, s51
	s_mul_i32 s54, s54, s6
	s_mul_i32 s55, s55, s4
	s_delay_alu instid0(SALU_CYCLE_1)
	s_cmp_le_u32 s54, s55
	s_cbranch_scc1 .LBB1038_1262
; %bb.1:
	s_clause 0x3
	s_load_b32 s4, s[2:3], 0x30
	s_load_b128 s[44:47], s[2:3], 0x20
	s_load_b96 s[48:50], s[2:3], 0x44
	s_load_b256 s[36:43], s[2:3], 0x0
	s_wait_kmcnt 0x0
	s_bitcmp1_b32 s4, 0
	s_mov_b32 s4, -1
	s_cselect_b32 s56, -1, 0
	s_sub_co_i32 s57, s54, s55
	s_delay_alu instid0(SALU_CYCLE_1)
	s_cmp_lt_u32 s57, 0x1101
	s_cbranch_scc0 .LBB1038_15
; %bb.2:
	s_cmp_lt_u32 s57, 0x81
	s_cbranch_scc0 .LBB1038_9
; %bb.3:
	s_load_b32 s4, s[2:3], 0x5c
	v_bfe_u32 v1, v0, 10, 10
	v_bfe_u32 v2, v0, 20, 10
	s_mov_b32 s15, exec_lo
	s_wait_kmcnt 0x0
	s_lshr_b32 s5, s4, 16
	s_and_b32 s4, s4, 0xffff
	v_mad_u32_u24 v1, v2, s5, v1
	v_and_b32_e32 v2, 0x3ff, v0
	s_delay_alu instid0(VALU_DEP_1) | instskip(NEXT) | instid1(VALU_DEP_1)
	v_mad_u32 v1, v1, s4, v2
	v_cmpx_gt_u32_e32 32, v1
	s_cbranch_execz .LBB1038_8
; %bb.4:
	v_cndmask_b32_e64 v1, 0, 1, s56
	s_and_b32 s4, s48, 1
	s_get_pc_i64 s[16:17]
	s_add_nc_u64 s[16:17], s[16:17], _ZN7rocprim17ROCPRIM_400000_NS6detail26segmented_warp_sort_helperINS1_20WarpSortHelperConfigILj32ELj4ELj256EEEslLi256ELb0EvE4sortIPKsPsPKlPlEEvT_T0_T1_T2_jjjjRNS5_12storage_typeE@rel64+4
	s_delay_alu instid0(VALU_DEP_1)
	v_cmp_ne_u32_e32 vcc_lo, s4, v1
	s_mov_b32 s4, -1
	s_cbranch_vccnz .LBB1038_6
; %bb.5:
	s_mov_b64 s[4:5], src_shared_base
	v_dual_mov_b32 v31, v0 :: v_dual_mov_b32 v40, v0
	v_dual_mov_b32 v0, s36 :: v_dual_mov_b32 v1, s37
	;; [unrolled: 1-line block ×8, first 2 shown]
	s_add_nc_u64 s[8:9], s[2:3], 0x50
	s_mov_b64 s[6:7], s[0:1]
	s_mov_b64 s[18:19], s[2:3]
	;; [unrolled: 1-line block ×3, first 2 shown]
	s_swap_pc_i64 s[30:31], s[16:17]
	v_mov_b32_e32 v0, v40
	s_mov_b64 s[0:1], s[20:21]
	s_mov_b64 s[2:3], s[18:19]
	s_mov_b32 s4, 0
.LBB1038_6:
	s_delay_alu instid0(SALU_CYCLE_1)
	s_and_not1_b32 vcc_lo, exec_lo, s4
	s_cbranch_vccnz .LBB1038_8
; %bb.7:
	s_mov_b64 s[4:5], src_shared_base
	v_dual_mov_b32 v31, v0 :: v_dual_mov_b32 v40, v0
	v_dual_mov_b32 v0, s36 :: v_dual_mov_b32 v1, s37
	;; [unrolled: 1-line block ×8, first 2 shown]
	s_add_nc_u64 s[8:9], s[2:3], 0x50
	s_mov_b64 s[6:7], s[0:1]
	s_mov_b64 s[18:19], s[2:3]
	;; [unrolled: 1-line block ×3, first 2 shown]
	s_swap_pc_i64 s[30:31], s[16:17]
	v_mov_b32_e32 v0, v40
	s_mov_b64 s[0:1], s[20:21]
	s_mov_b64 s[2:3], s[18:19]
.LBB1038_8:
	s_or_b32 exec_lo, exec_lo, s15
	s_mov_b32 s4, 0
.LBB1038_9:
	s_delay_alu instid0(SALU_CYCLE_1)
	s_and_not1_b32 vcc_lo, exec_lo, s4
	s_cbranch_vccnz .LBB1038_14
; %bb.10:
	v_cndmask_b32_e64 v1, 0, 1, s56
	s_and_b32 s4, s48, 1
	s_get_pc_i64 s[26:27]
	s_add_nc_u64 s[26:27], s[26:27], _ZN7rocprim17ROCPRIM_400000_NS6detail40segmented_radix_sort_single_block_helperIslLj256ELj17ELb0EE4sortIPKsPsPKlPlEEbT_T0_T1_T2_jjjjRNS3_12storage_typeE@rel64+4
	s_delay_alu instid0(VALU_DEP_1)
	v_cmp_ne_u32_e32 vcc_lo, s4, v1
	s_mov_b32 s4, -1
	s_cbranch_vccnz .LBB1038_12
; %bb.11:
	s_mov_b64 s[4:5], src_shared_base
	v_dual_mov_b32 v31, v0 :: v_dual_mov_b32 v40, v0
	v_dual_mov_b32 v0, s36 :: v_dual_mov_b32 v1, s37
	;; [unrolled: 1-line block ×8, first 2 shown]
	s_add_nc_u64 s[8:9], s[2:3], 0x50
	s_mov_b64 s[6:7], s[0:1]
	s_mov_b64 s[28:29], s[2:3]
	;; [unrolled: 1-line block ×3, first 2 shown]
	s_swap_pc_i64 s[30:31], s[26:27]
	v_mov_b32_e32 v0, v40
	s_mov_b64 s[0:1], s[34:35]
	s_mov_b64 s[2:3], s[28:29]
	s_mov_b32 s4, 0
.LBB1038_12:
	s_delay_alu instid0(SALU_CYCLE_1)
	s_and_not1_b32 vcc_lo, exec_lo, s4
	s_cbranch_vccnz .LBB1038_14
; %bb.13:
	s_mov_b64 s[4:5], src_shared_base
	v_dual_mov_b32 v31, v0 :: v_dual_mov_b32 v40, v0
	v_dual_mov_b32 v0, s36 :: v_dual_mov_b32 v1, s37
	v_dual_mov_b32 v2, s38 :: v_dual_mov_b32 v3, s39
	v_dual_mov_b32 v4, s42 :: v_dual_mov_b32 v5, s43
	v_dual_mov_b32 v6, s44 :: v_dual_mov_b32 v7, s45
	v_dual_mov_b32 v8, s55 :: v_dual_mov_b32 v9, s54
	v_dual_mov_b32 v10, s49 :: v_dual_mov_b32 v11, s50
	v_dual_mov_b32 v12, 0 :: v_dual_mov_b32 v13, s5
	s_add_nc_u64 s[8:9], s[2:3], 0x50
	s_mov_b64 s[6:7], s[0:1]
	s_mov_b64 s[28:29], s[2:3]
	s_swap_pc_i64 s[30:31], s[26:27]
	v_mov_b32_e32 v0, v40
	s_mov_b64 s[2:3], s[28:29]
.LBB1038_14:
	s_mov_b32 s4, 0
.LBB1038_15:
	s_delay_alu instid0(SALU_CYCLE_1)
	s_and_not1_b32 vcc_lo, exec_lo, s4
	s_cbranch_vccnz .LBB1038_1262
; %bb.16:
	s_cmp_ge_u32 s49, s50
	s_cbranch_scc1 .LBB1038_1262
; %bb.17:
	v_and_b32_e32 v2, 0x3ff, v0
	v_and_b32_e32 v8, 0xe0, v0
	v_dual_mov_b32 v5, 0 :: v_dual_bitop2_b32 v1, 3, v0 bitop3:0x40
	v_bfe_u32 v88, v0, 20, 10
	s_delay_alu instid0(VALU_DEP_4) | instskip(NEXT) | instid1(VALU_DEP_4)
	v_dual_lshlrev_b32 v3, 2, v2 :: v_dual_lshlrev_b32 v4, 1, v2
	v_min_u32_e32 v9, 0x60, v8
	v_lshrrev_b32_e32 v10, 3, v0
	v_mul_u32_u24_e32 v22, 17, v8
	s_delay_alu instid0(VALU_DEP_4) | instskip(SKIP_3) | instid1(VALU_DEP_4)
	v_mad_u32_u24 v84, v2, 12, v3
	v_lshlrev_b32_e32 v83, 2, v1
	v_or_b32_e32 v9, 31, v9
	v_and_b32_e32 v82, 28, v10
	v_dual_add_nc_u32 v89, v84, v3 :: v_dual_bitop2_b32 v1, 31, v8 bitop3:0x54
	v_lshlrev_b32_e32 v8, 4, v2
	v_bfe_u32 v90, v0, 10, 10
	v_add_nc_u32_e32 v0, 1, v2
	v_mbcnt_lo_u32_b32 v96, -1, 0
	s_bfe_u32 s6, ttmp6, 0x40010
	v_dual_sub_nc_u32 v91, v89, v8 :: v_dual_lshlrev_b32 v18, 3, v22
	v_dual_mov_b32 v19, v5 :: v_dual_add_nc_u32 v86, 0x8a00, v3
	v_dual_mov_b32 v21, v5 :: v_dual_lshlrev_b32 v20, 1, v22
	s_add_co_i32 s6, s6, 1
	s_delay_alu instid0(VALU_DEP_3)
	v_lshl_add_u32 v92, v2, 5, v91
	v_dual_lshlrev_b32 v22, 1, v96 :: v_dual_bitop2_b32 v102, v96, v22 bitop3:0x54
	s_mul_i32 s6, ttmp7, s6
	s_bfe_u32 s7, ttmp6, 0x40004
	v_add_nc_u64_e32 v[6:7], s[40:41], v[4:5]
	v_cmp_eq_u32_e64 s1, v2, v9
	s_add_nc_u64 s[52:53], s[2:3], 0x50
	s_add_co_i32 s9, s7, s6
	v_cmp_eq_u32_e64 s2, v2, v1
	v_mul_u32_u24_e32 v93, 36, v0
	v_cmp_ne_u32_e64 s7, 0x80, v0
	v_add_nc_u64_e32 v[0:1], s[46:47], v[18:19]
	v_add_nc_u64_e32 v[8:9], s[40:41], v[20:21]
	;; [unrolled: 1-line block ×8, first 2 shown]
	v_or_b32_e32 v66, 0x100, v2
	v_or_b32_e32 v67, 0x200, v2
	;; [unrolled: 1-line block ×16, first 2 shown]
	v_cmp_gt_u32_e64 s0, 0x80, v2
	v_or_b32_e32 v85, 0x8a00, v82
	v_cmp_gt_u32_e64 s4, 4, v2
	v_cmp_lt_u32_e64 s5, 31, v2
	v_add_nc_u32_e32 v87, 0x89fc, v82
	v_cmp_gt_u32_e64 s3, 8, v2
	v_cmp_eq_u32_e64 s6, 0, v2
	v_mad_i32_i24 v94, 0xffffffde, v2, v92
	v_mul_u32_u24_e32 v95, 6, v2
	v_dual_mov_b32 v97, 1 :: v_dual_bitop2_b32 v98, 15, v96 bitop3:0x40
	v_bfe_i32 v99, v96, 4, 1
	v_dual_lshlrev_b32 v4, 3, v96 :: v_dual_bitop2_b32 v100, 16, v96 bitop3:0x40
	v_dual_add_nc_u32 v105, 32, v102 :: v_dual_bitop2_b32 v101, 3, v96 bitop3:0x40
	v_sub_co_u32 v103, s8, v96, 1
	v_dual_add_nc_u32 v106, 64, v102 :: v_dual_bitop2_b32 v104, 7, v96 bitop3:0x40
	v_add_nc_u32_e32 v107, 0x60, v102
	v_add_nc_u32_e32 v108, 0x80, v102
	;; [unrolled: 1-line block ×14, first 2 shown]
	s_cmp_eq_u32 s25, 0
	s_mov_b32 s35, 0
	s_cselect_b32 s42, ttmp7, s9
	s_mov_b32 s43, s49
	s_branch .LBB1038_20
.LBB1038_18:                            ;   in Loop: Header=BB1038_20 Depth=1
	s_wait_dscnt 0x0
	s_barrier_signal -1
	s_barrier_wait -1
.LBB1038_19:                            ;   in Loop: Header=BB1038_20 Depth=1
	s_add_co_i32 s43, s43, 7
	s_delay_alu instid0(SALU_CYCLE_1)
	s_cmp_ge_u32 s43, s50
	s_cbranch_scc1 .LBB1038_1262
.LBB1038_20:                            ; =>This Loop Header: Depth=1
                                        ;     Child Loop BB1038_24 Depth 2
                                        ;     Child Loop BB1038_108 Depth 2
                                        ;     Child Loop BB1038_334 Depth 2
                                        ;     Child Loop BB1038_418 Depth 2
                                        ;     Child Loop BB1038_646 Depth 2
                                        ;     Child Loop BB1038_730 Depth 2
                                        ;     Child Loop BB1038_956 Depth 2
                                        ;     Child Loop BB1038_1040 Depth 2
	s_sub_co_i32 s9, s50, s43
	s_xor_b32 s56, s56, -1
	s_min_u32 s9, s9, 7
	ds_store_2addr_stride64_b32 v3, v5, v5 offset1:4
	s_lshl_b32 s9, -1, s9
	s_wait_storecnt_dscnt 0x0
	s_not_b32 s48, s9
	s_cmp_lg_u32 s43, s49
	s_mov_b32 s9, -1
	s_cbranch_scc0 .LBB1038_642
; %bb.21:                               ;   in Loop: Header=BB1038_20 Depth=1
	s_and_b32 vcc_lo, exec_lo, s56
	s_cbranch_vccz .LBB1038_331
; %bb.22:                               ;   in Loop: Header=BB1038_20 Depth=1
	s_mov_b32 s9, s57
	s_mov_b32 s34, s55
	s_barrier_signal -1
	s_barrier_wait -1
                                        ; implicit-def: $vgpr23
                                        ; implicit-def: $vgpr24
                                        ; implicit-def: $vgpr25
                                        ; implicit-def: $vgpr26
                                        ; implicit-def: $vgpr27
                                        ; implicit-def: $vgpr28
                                        ; implicit-def: $vgpr29
                                        ; implicit-def: $vgpr30
                                        ; implicit-def: $vgpr31
                                        ; implicit-def: $vgpr32
                                        ; implicit-def: $vgpr33
                                        ; implicit-def: $vgpr34
                                        ; implicit-def: $vgpr35
                                        ; implicit-def: $vgpr36
                                        ; implicit-def: $vgpr37
                                        ; implicit-def: $vgpr38
                                        ; implicit-def: $vgpr39
	s_branch .LBB1038_24
.LBB1038_23:                            ;   in Loop: Header=BB1038_24 Depth=2
	s_or_b32 exec_lo, exec_lo, s10
	s_addk_co_i32 s9, 0xef00
	s_cmp_ge_u32 s12, s54
	s_mov_b32 s34, s12
	s_cbranch_scc1 .LBB1038_96
.LBB1038_24:                            ;   Parent Loop BB1038_20 Depth=1
                                        ; =>  This Inner Loop Header: Depth=2
	s_add_co_i32 s12, s34, 0x1100
	s_mov_b32 s10, -1
	s_cmp_gt_u32 s12, s54
                                        ; implicit-def: $vgpr40
                                        ; implicit-def: $vgpr41
                                        ; implicit-def: $vgpr42
                                        ; implicit-def: $vgpr43
                                        ; implicit-def: $vgpr44
                                        ; implicit-def: $vgpr45
                                        ; implicit-def: $vgpr46
                                        ; implicit-def: $vgpr47
                                        ; implicit-def: $vgpr48
                                        ; implicit-def: $vgpr49
                                        ; implicit-def: $vgpr50
                                        ; implicit-def: $vgpr51
                                        ; implicit-def: $vgpr52
                                        ; implicit-def: $vgpr53
                                        ; implicit-def: $vgpr54
                                        ; implicit-def: $vgpr55
                                        ; implicit-def: $vgpr56
	s_cbranch_scc1 .LBB1038_26
; %bb.25:                               ;   in Loop: Header=BB1038_24 Depth=2
	v_lshl_add_u64 v[58:59], s[34:35], 1, v[6:7]
	s_mov_b32 s10, 0
	s_clause 0x10
	global_load_u16 v40, v[58:59], off
	global_load_u16 v41, v[58:59], off offset:512
	global_load_u16 v42, v[58:59], off offset:1024
	;; [unrolled: 1-line block ×16, first 2 shown]
.LBB1038_26:                            ;   in Loop: Header=BB1038_24 Depth=2
	s_and_not1_b32 vcc_lo, exec_lo, s10
	s_movk_i32 s10, 0x1100
	s_cbranch_vccnz .LBB1038_46
; %bb.27:                               ;   in Loop: Header=BB1038_24 Depth=2
	s_lshl_b64 s[10:11], s[34:35], 1
	s_mov_b32 s13, exec_lo
	s_add_nc_u64 s[10:11], s[40:41], s[10:11]
	s_wait_xcnt 0x0
	v_cmpx_gt_u32_e64 s9, v2
	s_cbranch_execnz .LBB1038_80
; %bb.28:                               ;   in Loop: Header=BB1038_24 Depth=2
	s_or_b32 exec_lo, exec_lo, s13
	s_delay_alu instid0(SALU_CYCLE_1)
	s_mov_b32 s13, exec_lo
	v_cmpx_gt_u32_e64 s9, v66
	s_cbranch_execnz .LBB1038_81
.LBB1038_29:                            ;   in Loop: Header=BB1038_24 Depth=2
	s_or_b32 exec_lo, exec_lo, s13
	s_delay_alu instid0(SALU_CYCLE_1)
	s_mov_b32 s13, exec_lo
	v_cmpx_gt_u32_e64 s9, v67
	s_cbranch_execnz .LBB1038_82
.LBB1038_30:                            ;   in Loop: Header=BB1038_24 Depth=2
	s_or_b32 exec_lo, exec_lo, s13
	s_delay_alu instid0(SALU_CYCLE_1)
	s_mov_b32 s13, exec_lo
	v_cmpx_gt_u32_e64 s9, v68
	s_cbranch_execnz .LBB1038_83
.LBB1038_31:                            ;   in Loop: Header=BB1038_24 Depth=2
	s_or_b32 exec_lo, exec_lo, s13
	s_delay_alu instid0(SALU_CYCLE_1)
	s_mov_b32 s13, exec_lo
	v_cmpx_gt_u32_e64 s9, v69
	s_cbranch_execnz .LBB1038_84
.LBB1038_32:                            ;   in Loop: Header=BB1038_24 Depth=2
	s_or_b32 exec_lo, exec_lo, s13
	s_delay_alu instid0(SALU_CYCLE_1)
	s_mov_b32 s13, exec_lo
	v_cmpx_gt_u32_e64 s9, v70
	s_cbranch_execnz .LBB1038_85
.LBB1038_33:                            ;   in Loop: Header=BB1038_24 Depth=2
	s_or_b32 exec_lo, exec_lo, s13
	s_delay_alu instid0(SALU_CYCLE_1)
	s_mov_b32 s13, exec_lo
	v_cmpx_gt_u32_e64 s9, v71
	s_cbranch_execnz .LBB1038_86
.LBB1038_34:                            ;   in Loop: Header=BB1038_24 Depth=2
	s_or_b32 exec_lo, exec_lo, s13
	s_delay_alu instid0(SALU_CYCLE_1)
	s_mov_b32 s13, exec_lo
	v_cmpx_gt_u32_e64 s9, v72
	s_cbranch_execnz .LBB1038_87
.LBB1038_35:                            ;   in Loop: Header=BB1038_24 Depth=2
	s_or_b32 exec_lo, exec_lo, s13
	s_delay_alu instid0(SALU_CYCLE_1)
	s_mov_b32 s13, exec_lo
	v_cmpx_gt_u32_e64 s9, v73
	s_cbranch_execnz .LBB1038_88
.LBB1038_36:                            ;   in Loop: Header=BB1038_24 Depth=2
	s_or_b32 exec_lo, exec_lo, s13
	s_delay_alu instid0(SALU_CYCLE_1)
	s_mov_b32 s13, exec_lo
	v_cmpx_gt_u32_e64 s9, v74
	s_cbranch_execnz .LBB1038_89
.LBB1038_37:                            ;   in Loop: Header=BB1038_24 Depth=2
	s_or_b32 exec_lo, exec_lo, s13
	s_delay_alu instid0(SALU_CYCLE_1)
	s_mov_b32 s13, exec_lo
	v_cmpx_gt_u32_e64 s9, v75
	s_cbranch_execnz .LBB1038_90
.LBB1038_38:                            ;   in Loop: Header=BB1038_24 Depth=2
	s_or_b32 exec_lo, exec_lo, s13
	s_delay_alu instid0(SALU_CYCLE_1)
	s_mov_b32 s13, exec_lo
	v_cmpx_gt_u32_e64 s9, v76
	s_cbranch_execnz .LBB1038_91
.LBB1038_39:                            ;   in Loop: Header=BB1038_24 Depth=2
	s_or_b32 exec_lo, exec_lo, s13
	s_delay_alu instid0(SALU_CYCLE_1)
	s_mov_b32 s13, exec_lo
	v_cmpx_gt_u32_e64 s9, v77
	s_cbranch_execnz .LBB1038_92
.LBB1038_40:                            ;   in Loop: Header=BB1038_24 Depth=2
	s_or_b32 exec_lo, exec_lo, s13
	s_delay_alu instid0(SALU_CYCLE_1)
	s_mov_b32 s13, exec_lo
	v_cmpx_gt_u32_e64 s9, v78
	s_cbranch_execnz .LBB1038_93
.LBB1038_41:                            ;   in Loop: Header=BB1038_24 Depth=2
	s_or_b32 exec_lo, exec_lo, s13
	s_delay_alu instid0(SALU_CYCLE_1)
	s_mov_b32 s13, exec_lo
	v_cmpx_gt_u32_e64 s9, v79
	s_cbranch_execnz .LBB1038_94
.LBB1038_42:                            ;   in Loop: Header=BB1038_24 Depth=2
	s_or_b32 exec_lo, exec_lo, s13
	s_delay_alu instid0(SALU_CYCLE_1)
	s_mov_b32 s13, exec_lo
	v_cmpx_gt_u32_e64 s9, v80
	s_cbranch_execnz .LBB1038_95
.LBB1038_43:                            ;   in Loop: Header=BB1038_24 Depth=2
	s_or_b32 exec_lo, exec_lo, s13
	s_delay_alu instid0(SALU_CYCLE_1)
	s_mov_b32 s13, exec_lo
	v_cmpx_gt_u32_e64 s9, v81
	s_cbranch_execz .LBB1038_45
.LBB1038_44:                            ;   in Loop: Header=BB1038_24 Depth=2
	global_load_u16 v23, v2, s[10:11] offset:8192 scale_offset
.LBB1038_45:                            ;   in Loop: Header=BB1038_24 Depth=2
	s_wait_xcnt 0x0
	s_or_b32 exec_lo, exec_lo, s13
	s_wait_loadcnt 0x0
	v_dual_mov_b32 v40, v39 :: v_dual_mov_b32 v41, v38
	v_dual_mov_b32 v42, v37 :: v_dual_mov_b32 v43, v36
	;; [unrolled: 1-line block ×8, first 2 shown]
	v_mov_b32_e32 v56, v23
	s_mov_b32 s10, s9
.LBB1038_46:                            ;   in Loop: Header=BB1038_24 Depth=2
	s_wait_loadcnt 0x0
	s_delay_alu instid0(VALU_DEP_1)
	v_dual_mov_b32 v23, v56 :: v_dual_mov_b32 v24, v55
	v_dual_mov_b32 v25, v54 :: v_dual_mov_b32 v26, v53
	;; [unrolled: 1-line block ×8, first 2 shown]
	v_mov_b32_e32 v39, v40
	s_mov_b32 s11, exec_lo
	s_wait_xcnt 0x0
	v_cmpx_gt_u32_e64 s10, v2
	s_cbranch_execnz .LBB1038_63
; %bb.47:                               ;   in Loop: Header=BB1038_24 Depth=2
	s_or_b32 exec_lo, exec_lo, s11
	s_delay_alu instid0(SALU_CYCLE_1)
	s_mov_b32 s11, exec_lo
	v_cmpx_gt_u32_e64 s10, v66
	s_cbranch_execnz .LBB1038_64
.LBB1038_48:                            ;   in Loop: Header=BB1038_24 Depth=2
	s_or_b32 exec_lo, exec_lo, s11
	s_delay_alu instid0(SALU_CYCLE_1)
	s_mov_b32 s11, exec_lo
	v_cmpx_gt_u32_e64 s10, v67
	s_cbranch_execnz .LBB1038_65
.LBB1038_49:                            ;   in Loop: Header=BB1038_24 Depth=2
	s_or_b32 exec_lo, exec_lo, s11
	s_delay_alu instid0(SALU_CYCLE_1)
	s_mov_b32 s11, exec_lo
	v_cmpx_gt_u32_e64 s10, v68
	s_cbranch_execnz .LBB1038_66
.LBB1038_50:                            ;   in Loop: Header=BB1038_24 Depth=2
	s_or_b32 exec_lo, exec_lo, s11
	s_delay_alu instid0(SALU_CYCLE_1)
	s_mov_b32 s11, exec_lo
	v_cmpx_gt_u32_e64 s10, v69
	s_cbranch_execnz .LBB1038_67
.LBB1038_51:                            ;   in Loop: Header=BB1038_24 Depth=2
	s_or_b32 exec_lo, exec_lo, s11
	s_delay_alu instid0(SALU_CYCLE_1)
	s_mov_b32 s11, exec_lo
	v_cmpx_gt_u32_e64 s10, v70
	s_cbranch_execnz .LBB1038_68
.LBB1038_52:                            ;   in Loop: Header=BB1038_24 Depth=2
	s_or_b32 exec_lo, exec_lo, s11
	s_delay_alu instid0(SALU_CYCLE_1)
	s_mov_b32 s11, exec_lo
	v_cmpx_gt_u32_e64 s10, v71
	s_cbranch_execnz .LBB1038_69
.LBB1038_53:                            ;   in Loop: Header=BB1038_24 Depth=2
	s_or_b32 exec_lo, exec_lo, s11
	s_delay_alu instid0(SALU_CYCLE_1)
	s_mov_b32 s11, exec_lo
	v_cmpx_gt_u32_e64 s10, v72
	s_cbranch_execnz .LBB1038_70
.LBB1038_54:                            ;   in Loop: Header=BB1038_24 Depth=2
	s_or_b32 exec_lo, exec_lo, s11
	s_delay_alu instid0(SALU_CYCLE_1)
	s_mov_b32 s11, exec_lo
	v_cmpx_gt_u32_e64 s10, v73
	s_cbranch_execnz .LBB1038_71
.LBB1038_55:                            ;   in Loop: Header=BB1038_24 Depth=2
	s_or_b32 exec_lo, exec_lo, s11
	s_delay_alu instid0(SALU_CYCLE_1)
	s_mov_b32 s11, exec_lo
	v_cmpx_gt_u32_e64 s10, v74
	s_cbranch_execnz .LBB1038_72
.LBB1038_56:                            ;   in Loop: Header=BB1038_24 Depth=2
	s_or_b32 exec_lo, exec_lo, s11
	s_delay_alu instid0(SALU_CYCLE_1)
	s_mov_b32 s11, exec_lo
	v_cmpx_gt_u32_e64 s10, v75
	s_cbranch_execnz .LBB1038_73
.LBB1038_57:                            ;   in Loop: Header=BB1038_24 Depth=2
	s_or_b32 exec_lo, exec_lo, s11
	s_delay_alu instid0(SALU_CYCLE_1)
	s_mov_b32 s11, exec_lo
	v_cmpx_gt_u32_e64 s10, v76
	s_cbranch_execnz .LBB1038_74
.LBB1038_58:                            ;   in Loop: Header=BB1038_24 Depth=2
	s_or_b32 exec_lo, exec_lo, s11
	s_delay_alu instid0(SALU_CYCLE_1)
	s_mov_b32 s11, exec_lo
	v_cmpx_gt_u32_e64 s10, v77
	s_cbranch_execnz .LBB1038_75
.LBB1038_59:                            ;   in Loop: Header=BB1038_24 Depth=2
	s_or_b32 exec_lo, exec_lo, s11
	s_delay_alu instid0(SALU_CYCLE_1)
	s_mov_b32 s11, exec_lo
	v_cmpx_gt_u32_e64 s10, v78
	s_cbranch_execnz .LBB1038_76
.LBB1038_60:                            ;   in Loop: Header=BB1038_24 Depth=2
	s_or_b32 exec_lo, exec_lo, s11
	s_delay_alu instid0(SALU_CYCLE_1)
	s_mov_b32 s11, exec_lo
	v_cmpx_gt_u32_e64 s10, v79
	s_cbranch_execnz .LBB1038_77
.LBB1038_61:                            ;   in Loop: Header=BB1038_24 Depth=2
	s_or_b32 exec_lo, exec_lo, s11
	s_delay_alu instid0(SALU_CYCLE_1)
	s_mov_b32 s11, exec_lo
	v_cmpx_gt_u32_e64 s10, v80
	s_cbranch_execnz .LBB1038_78
.LBB1038_62:                            ;   in Loop: Header=BB1038_24 Depth=2
	s_or_b32 exec_lo, exec_lo, s11
	v_cmp_gt_u32_e32 vcc_lo, s10, v81
	s_and_saveexec_b32 s10, vcc_lo
	s_cbranch_execz .LBB1038_23
	s_branch .LBB1038_79
.LBB1038_63:                            ;   in Loop: Header=BB1038_24 Depth=2
	v_xor_b32_e32 v40, 0xffff8000, v39
	s_delay_alu instid0(VALU_DEP_1) | instskip(NEXT) | instid1(VALU_DEP_1)
	v_and_b32_e32 v40, 0xffff, v40
	v_lshrrev_b32_e32 v40, s43, v40
	s_delay_alu instid0(VALU_DEP_1) | instskip(NEXT) | instid1(VALU_DEP_1)
	v_and_b32_e32 v40, s48, v40
	v_lshl_or_b32 v40, v40, 4, v83
	ds_add_u32 v40, v97
	s_or_b32 exec_lo, exec_lo, s11
	s_delay_alu instid0(SALU_CYCLE_1)
	s_mov_b32 s11, exec_lo
	v_cmpx_gt_u32_e64 s10, v66
	s_cbranch_execz .LBB1038_48
.LBB1038_64:                            ;   in Loop: Header=BB1038_24 Depth=2
	v_xor_b32_e32 v40, 0xffff8000, v38
	s_delay_alu instid0(VALU_DEP_1) | instskip(NEXT) | instid1(VALU_DEP_1)
	v_and_b32_e32 v40, 0xffff, v40
	v_lshrrev_b32_e32 v40, s43, v40
	s_delay_alu instid0(VALU_DEP_1) | instskip(NEXT) | instid1(VALU_DEP_1)
	v_and_b32_e32 v40, s48, v40
	v_lshl_or_b32 v40, v40, 4, v83
	ds_add_u32 v40, v97
	s_or_b32 exec_lo, exec_lo, s11
	s_delay_alu instid0(SALU_CYCLE_1)
	s_mov_b32 s11, exec_lo
	v_cmpx_gt_u32_e64 s10, v67
	s_cbranch_execz .LBB1038_49
.LBB1038_65:                            ;   in Loop: Header=BB1038_24 Depth=2
	v_xor_b32_e32 v40, 0xffff8000, v37
	s_delay_alu instid0(VALU_DEP_1) | instskip(NEXT) | instid1(VALU_DEP_1)
	v_and_b32_e32 v40, 0xffff, v40
	v_lshrrev_b32_e32 v40, s43, v40
	s_delay_alu instid0(VALU_DEP_1) | instskip(NEXT) | instid1(VALU_DEP_1)
	v_and_b32_e32 v40, s48, v40
	v_lshl_or_b32 v40, v40, 4, v83
	ds_add_u32 v40, v97
	s_or_b32 exec_lo, exec_lo, s11
	s_delay_alu instid0(SALU_CYCLE_1)
	s_mov_b32 s11, exec_lo
	v_cmpx_gt_u32_e64 s10, v68
	s_cbranch_execz .LBB1038_50
.LBB1038_66:                            ;   in Loop: Header=BB1038_24 Depth=2
	v_xor_b32_e32 v40, 0xffff8000, v36
	s_delay_alu instid0(VALU_DEP_1) | instskip(NEXT) | instid1(VALU_DEP_1)
	v_and_b32_e32 v40, 0xffff, v40
	v_lshrrev_b32_e32 v40, s43, v40
	s_delay_alu instid0(VALU_DEP_1) | instskip(NEXT) | instid1(VALU_DEP_1)
	v_and_b32_e32 v40, s48, v40
	v_lshl_or_b32 v40, v40, 4, v83
	ds_add_u32 v40, v97
	s_or_b32 exec_lo, exec_lo, s11
	s_delay_alu instid0(SALU_CYCLE_1)
	s_mov_b32 s11, exec_lo
	v_cmpx_gt_u32_e64 s10, v69
	s_cbranch_execz .LBB1038_51
.LBB1038_67:                            ;   in Loop: Header=BB1038_24 Depth=2
	v_xor_b32_e32 v40, 0xffff8000, v35
	s_delay_alu instid0(VALU_DEP_1) | instskip(NEXT) | instid1(VALU_DEP_1)
	v_and_b32_e32 v40, 0xffff, v40
	v_lshrrev_b32_e32 v40, s43, v40
	s_delay_alu instid0(VALU_DEP_1) | instskip(NEXT) | instid1(VALU_DEP_1)
	v_and_b32_e32 v40, s48, v40
	v_lshl_or_b32 v40, v40, 4, v83
	ds_add_u32 v40, v97
	s_or_b32 exec_lo, exec_lo, s11
	s_delay_alu instid0(SALU_CYCLE_1)
	s_mov_b32 s11, exec_lo
	v_cmpx_gt_u32_e64 s10, v70
	s_cbranch_execz .LBB1038_52
.LBB1038_68:                            ;   in Loop: Header=BB1038_24 Depth=2
	v_xor_b32_e32 v40, 0xffff8000, v34
	s_delay_alu instid0(VALU_DEP_1) | instskip(NEXT) | instid1(VALU_DEP_1)
	v_and_b32_e32 v40, 0xffff, v40
	v_lshrrev_b32_e32 v40, s43, v40
	s_delay_alu instid0(VALU_DEP_1) | instskip(NEXT) | instid1(VALU_DEP_1)
	v_and_b32_e32 v40, s48, v40
	v_lshl_or_b32 v40, v40, 4, v83
	ds_add_u32 v40, v97
	s_or_b32 exec_lo, exec_lo, s11
	s_delay_alu instid0(SALU_CYCLE_1)
	s_mov_b32 s11, exec_lo
	v_cmpx_gt_u32_e64 s10, v71
	s_cbranch_execz .LBB1038_53
.LBB1038_69:                            ;   in Loop: Header=BB1038_24 Depth=2
	v_xor_b32_e32 v40, 0xffff8000, v33
	s_delay_alu instid0(VALU_DEP_1) | instskip(NEXT) | instid1(VALU_DEP_1)
	v_and_b32_e32 v40, 0xffff, v40
	v_lshrrev_b32_e32 v40, s43, v40
	s_delay_alu instid0(VALU_DEP_1) | instskip(NEXT) | instid1(VALU_DEP_1)
	v_and_b32_e32 v40, s48, v40
	v_lshl_or_b32 v40, v40, 4, v83
	ds_add_u32 v40, v97
	s_or_b32 exec_lo, exec_lo, s11
	s_delay_alu instid0(SALU_CYCLE_1)
	s_mov_b32 s11, exec_lo
	v_cmpx_gt_u32_e64 s10, v72
	s_cbranch_execz .LBB1038_54
.LBB1038_70:                            ;   in Loop: Header=BB1038_24 Depth=2
	v_xor_b32_e32 v40, 0xffff8000, v32
	s_delay_alu instid0(VALU_DEP_1) | instskip(NEXT) | instid1(VALU_DEP_1)
	v_and_b32_e32 v40, 0xffff, v40
	v_lshrrev_b32_e32 v40, s43, v40
	s_delay_alu instid0(VALU_DEP_1) | instskip(NEXT) | instid1(VALU_DEP_1)
	v_and_b32_e32 v40, s48, v40
	v_lshl_or_b32 v40, v40, 4, v83
	ds_add_u32 v40, v97
	s_or_b32 exec_lo, exec_lo, s11
	s_delay_alu instid0(SALU_CYCLE_1)
	s_mov_b32 s11, exec_lo
	v_cmpx_gt_u32_e64 s10, v73
	s_cbranch_execz .LBB1038_55
.LBB1038_71:                            ;   in Loop: Header=BB1038_24 Depth=2
	v_xor_b32_e32 v40, 0xffff8000, v31
	s_delay_alu instid0(VALU_DEP_1) | instskip(NEXT) | instid1(VALU_DEP_1)
	v_and_b32_e32 v40, 0xffff, v40
	v_lshrrev_b32_e32 v40, s43, v40
	s_delay_alu instid0(VALU_DEP_1) | instskip(NEXT) | instid1(VALU_DEP_1)
	v_and_b32_e32 v40, s48, v40
	v_lshl_or_b32 v40, v40, 4, v83
	ds_add_u32 v40, v97
	s_or_b32 exec_lo, exec_lo, s11
	s_delay_alu instid0(SALU_CYCLE_1)
	s_mov_b32 s11, exec_lo
	v_cmpx_gt_u32_e64 s10, v74
	s_cbranch_execz .LBB1038_56
.LBB1038_72:                            ;   in Loop: Header=BB1038_24 Depth=2
	v_xor_b32_e32 v40, 0xffff8000, v30
	s_delay_alu instid0(VALU_DEP_1) | instskip(NEXT) | instid1(VALU_DEP_1)
	v_and_b32_e32 v40, 0xffff, v40
	v_lshrrev_b32_e32 v40, s43, v40
	s_delay_alu instid0(VALU_DEP_1) | instskip(NEXT) | instid1(VALU_DEP_1)
	v_and_b32_e32 v40, s48, v40
	v_lshl_or_b32 v40, v40, 4, v83
	ds_add_u32 v40, v97
	s_or_b32 exec_lo, exec_lo, s11
	s_delay_alu instid0(SALU_CYCLE_1)
	s_mov_b32 s11, exec_lo
	v_cmpx_gt_u32_e64 s10, v75
	s_cbranch_execz .LBB1038_57
.LBB1038_73:                            ;   in Loop: Header=BB1038_24 Depth=2
	v_xor_b32_e32 v40, 0xffff8000, v29
	s_delay_alu instid0(VALU_DEP_1) | instskip(NEXT) | instid1(VALU_DEP_1)
	v_and_b32_e32 v40, 0xffff, v40
	v_lshrrev_b32_e32 v40, s43, v40
	s_delay_alu instid0(VALU_DEP_1) | instskip(NEXT) | instid1(VALU_DEP_1)
	v_and_b32_e32 v40, s48, v40
	v_lshl_or_b32 v40, v40, 4, v83
	ds_add_u32 v40, v97
	s_or_b32 exec_lo, exec_lo, s11
	s_delay_alu instid0(SALU_CYCLE_1)
	s_mov_b32 s11, exec_lo
	v_cmpx_gt_u32_e64 s10, v76
	s_cbranch_execz .LBB1038_58
.LBB1038_74:                            ;   in Loop: Header=BB1038_24 Depth=2
	v_xor_b32_e32 v40, 0xffff8000, v28
	s_delay_alu instid0(VALU_DEP_1) | instskip(NEXT) | instid1(VALU_DEP_1)
	v_and_b32_e32 v40, 0xffff, v40
	v_lshrrev_b32_e32 v40, s43, v40
	s_delay_alu instid0(VALU_DEP_1) | instskip(NEXT) | instid1(VALU_DEP_1)
	v_and_b32_e32 v40, s48, v40
	v_lshl_or_b32 v40, v40, 4, v83
	ds_add_u32 v40, v97
	s_or_b32 exec_lo, exec_lo, s11
	s_delay_alu instid0(SALU_CYCLE_1)
	s_mov_b32 s11, exec_lo
	v_cmpx_gt_u32_e64 s10, v77
	s_cbranch_execz .LBB1038_59
.LBB1038_75:                            ;   in Loop: Header=BB1038_24 Depth=2
	v_xor_b32_e32 v40, 0xffff8000, v27
	s_delay_alu instid0(VALU_DEP_1) | instskip(NEXT) | instid1(VALU_DEP_1)
	v_and_b32_e32 v40, 0xffff, v40
	v_lshrrev_b32_e32 v40, s43, v40
	s_delay_alu instid0(VALU_DEP_1) | instskip(NEXT) | instid1(VALU_DEP_1)
	v_and_b32_e32 v40, s48, v40
	v_lshl_or_b32 v40, v40, 4, v83
	ds_add_u32 v40, v97
	s_or_b32 exec_lo, exec_lo, s11
	s_delay_alu instid0(SALU_CYCLE_1)
	s_mov_b32 s11, exec_lo
	v_cmpx_gt_u32_e64 s10, v78
	s_cbranch_execz .LBB1038_60
.LBB1038_76:                            ;   in Loop: Header=BB1038_24 Depth=2
	v_xor_b32_e32 v40, 0xffff8000, v26
	s_delay_alu instid0(VALU_DEP_1) | instskip(NEXT) | instid1(VALU_DEP_1)
	v_and_b32_e32 v40, 0xffff, v40
	v_lshrrev_b32_e32 v40, s43, v40
	s_delay_alu instid0(VALU_DEP_1) | instskip(NEXT) | instid1(VALU_DEP_1)
	v_and_b32_e32 v40, s48, v40
	v_lshl_or_b32 v40, v40, 4, v83
	ds_add_u32 v40, v97
	s_or_b32 exec_lo, exec_lo, s11
	s_delay_alu instid0(SALU_CYCLE_1)
	s_mov_b32 s11, exec_lo
	v_cmpx_gt_u32_e64 s10, v79
	s_cbranch_execz .LBB1038_61
.LBB1038_77:                            ;   in Loop: Header=BB1038_24 Depth=2
	v_xor_b32_e32 v40, 0xffff8000, v25
	s_delay_alu instid0(VALU_DEP_1) | instskip(NEXT) | instid1(VALU_DEP_1)
	v_and_b32_e32 v40, 0xffff, v40
	v_lshrrev_b32_e32 v40, s43, v40
	s_delay_alu instid0(VALU_DEP_1) | instskip(NEXT) | instid1(VALU_DEP_1)
	v_and_b32_e32 v40, s48, v40
	v_lshl_or_b32 v40, v40, 4, v83
	ds_add_u32 v40, v97
	s_or_b32 exec_lo, exec_lo, s11
	s_delay_alu instid0(SALU_CYCLE_1)
	s_mov_b32 s11, exec_lo
	v_cmpx_gt_u32_e64 s10, v80
	s_cbranch_execz .LBB1038_62
.LBB1038_78:                            ;   in Loop: Header=BB1038_24 Depth=2
	v_xor_b32_e32 v40, 0xffff8000, v24
	s_delay_alu instid0(VALU_DEP_1) | instskip(NEXT) | instid1(VALU_DEP_1)
	v_and_b32_e32 v40, 0xffff, v40
	v_lshrrev_b32_e32 v40, s43, v40
	s_delay_alu instid0(VALU_DEP_1) | instskip(NEXT) | instid1(VALU_DEP_1)
	v_and_b32_e32 v40, s48, v40
	v_lshl_or_b32 v40, v40, 4, v83
	ds_add_u32 v40, v97
	s_or_b32 exec_lo, exec_lo, s11
	v_cmp_gt_u32_e32 vcc_lo, s10, v81
	s_and_saveexec_b32 s10, vcc_lo
	s_cbranch_execz .LBB1038_23
.LBB1038_79:                            ;   in Loop: Header=BB1038_24 Depth=2
	v_xor_b32_e32 v40, 0xffff8000, v23
	s_delay_alu instid0(VALU_DEP_1) | instskip(NEXT) | instid1(VALU_DEP_1)
	v_and_b32_e32 v40, 0xffff, v40
	v_lshrrev_b32_e32 v40, s43, v40
	s_delay_alu instid0(VALU_DEP_1) | instskip(NEXT) | instid1(VALU_DEP_1)
	v_and_b32_e32 v40, s48, v40
	v_lshl_or_b32 v40, v40, 4, v83
	ds_add_u32 v40, v97
	s_branch .LBB1038_23
.LBB1038_80:                            ;   in Loop: Header=BB1038_24 Depth=2
	global_load_u16 v39, v2, s[10:11] scale_offset
	s_wait_xcnt 0x0
	s_or_b32 exec_lo, exec_lo, s13
	s_delay_alu instid0(SALU_CYCLE_1)
	s_mov_b32 s13, exec_lo
	v_cmpx_gt_u32_e64 s9, v66
	s_cbranch_execz .LBB1038_29
.LBB1038_81:                            ;   in Loop: Header=BB1038_24 Depth=2
	global_load_u16 v38, v2, s[10:11] offset:512 scale_offset
	s_wait_xcnt 0x0
	s_or_b32 exec_lo, exec_lo, s13
	s_delay_alu instid0(SALU_CYCLE_1)
	s_mov_b32 s13, exec_lo
	v_cmpx_gt_u32_e64 s9, v67
	s_cbranch_execz .LBB1038_30
.LBB1038_82:                            ;   in Loop: Header=BB1038_24 Depth=2
	global_load_u16 v37, v2, s[10:11] offset:1024 scale_offset
	s_wait_xcnt 0x0
	s_or_b32 exec_lo, exec_lo, s13
	s_delay_alu instid0(SALU_CYCLE_1)
	s_mov_b32 s13, exec_lo
	v_cmpx_gt_u32_e64 s9, v68
	s_cbranch_execz .LBB1038_31
.LBB1038_83:                            ;   in Loop: Header=BB1038_24 Depth=2
	global_load_u16 v36, v2, s[10:11] offset:1536 scale_offset
	s_wait_xcnt 0x0
	s_or_b32 exec_lo, exec_lo, s13
	s_delay_alu instid0(SALU_CYCLE_1)
	s_mov_b32 s13, exec_lo
	v_cmpx_gt_u32_e64 s9, v69
	s_cbranch_execz .LBB1038_32
.LBB1038_84:                            ;   in Loop: Header=BB1038_24 Depth=2
	global_load_u16 v35, v2, s[10:11] offset:2048 scale_offset
	s_wait_xcnt 0x0
	s_or_b32 exec_lo, exec_lo, s13
	s_delay_alu instid0(SALU_CYCLE_1)
	s_mov_b32 s13, exec_lo
	v_cmpx_gt_u32_e64 s9, v70
	s_cbranch_execz .LBB1038_33
.LBB1038_85:                            ;   in Loop: Header=BB1038_24 Depth=2
	global_load_u16 v34, v2, s[10:11] offset:2560 scale_offset
	s_wait_xcnt 0x0
	s_or_b32 exec_lo, exec_lo, s13
	s_delay_alu instid0(SALU_CYCLE_1)
	s_mov_b32 s13, exec_lo
	v_cmpx_gt_u32_e64 s9, v71
	s_cbranch_execz .LBB1038_34
.LBB1038_86:                            ;   in Loop: Header=BB1038_24 Depth=2
	global_load_u16 v33, v2, s[10:11] offset:3072 scale_offset
	s_wait_xcnt 0x0
	s_or_b32 exec_lo, exec_lo, s13
	s_delay_alu instid0(SALU_CYCLE_1)
	s_mov_b32 s13, exec_lo
	v_cmpx_gt_u32_e64 s9, v72
	s_cbranch_execz .LBB1038_35
.LBB1038_87:                            ;   in Loop: Header=BB1038_24 Depth=2
	global_load_u16 v32, v2, s[10:11] offset:3584 scale_offset
	s_wait_xcnt 0x0
	s_or_b32 exec_lo, exec_lo, s13
	s_delay_alu instid0(SALU_CYCLE_1)
	s_mov_b32 s13, exec_lo
	v_cmpx_gt_u32_e64 s9, v73
	s_cbranch_execz .LBB1038_36
.LBB1038_88:                            ;   in Loop: Header=BB1038_24 Depth=2
	global_load_u16 v31, v2, s[10:11] offset:4096 scale_offset
	s_wait_xcnt 0x0
	s_or_b32 exec_lo, exec_lo, s13
	s_delay_alu instid0(SALU_CYCLE_1)
	s_mov_b32 s13, exec_lo
	v_cmpx_gt_u32_e64 s9, v74
	s_cbranch_execz .LBB1038_37
.LBB1038_89:                            ;   in Loop: Header=BB1038_24 Depth=2
	global_load_u16 v30, v2, s[10:11] offset:4608 scale_offset
	s_wait_xcnt 0x0
	s_or_b32 exec_lo, exec_lo, s13
	s_delay_alu instid0(SALU_CYCLE_1)
	s_mov_b32 s13, exec_lo
	v_cmpx_gt_u32_e64 s9, v75
	s_cbranch_execz .LBB1038_38
.LBB1038_90:                            ;   in Loop: Header=BB1038_24 Depth=2
	global_load_u16 v29, v2, s[10:11] offset:5120 scale_offset
	s_wait_xcnt 0x0
	s_or_b32 exec_lo, exec_lo, s13
	s_delay_alu instid0(SALU_CYCLE_1)
	s_mov_b32 s13, exec_lo
	v_cmpx_gt_u32_e64 s9, v76
	s_cbranch_execz .LBB1038_39
.LBB1038_91:                            ;   in Loop: Header=BB1038_24 Depth=2
	global_load_u16 v28, v2, s[10:11] offset:5632 scale_offset
	s_wait_xcnt 0x0
	s_or_b32 exec_lo, exec_lo, s13
	s_delay_alu instid0(SALU_CYCLE_1)
	s_mov_b32 s13, exec_lo
	v_cmpx_gt_u32_e64 s9, v77
	s_cbranch_execz .LBB1038_40
.LBB1038_92:                            ;   in Loop: Header=BB1038_24 Depth=2
	global_load_u16 v27, v2, s[10:11] offset:6144 scale_offset
	s_wait_xcnt 0x0
	s_or_b32 exec_lo, exec_lo, s13
	s_delay_alu instid0(SALU_CYCLE_1)
	s_mov_b32 s13, exec_lo
	v_cmpx_gt_u32_e64 s9, v78
	s_cbranch_execz .LBB1038_41
.LBB1038_93:                            ;   in Loop: Header=BB1038_24 Depth=2
	global_load_u16 v26, v2, s[10:11] offset:6656 scale_offset
	s_wait_xcnt 0x0
	s_or_b32 exec_lo, exec_lo, s13
	s_delay_alu instid0(SALU_CYCLE_1)
	s_mov_b32 s13, exec_lo
	v_cmpx_gt_u32_e64 s9, v79
	s_cbranch_execz .LBB1038_42
.LBB1038_94:                            ;   in Loop: Header=BB1038_24 Depth=2
	global_load_u16 v25, v2, s[10:11] offset:7168 scale_offset
	s_wait_xcnt 0x0
	s_or_b32 exec_lo, exec_lo, s13
	s_delay_alu instid0(SALU_CYCLE_1)
	s_mov_b32 s13, exec_lo
	v_cmpx_gt_u32_e64 s9, v80
	s_cbranch_execz .LBB1038_43
.LBB1038_95:                            ;   in Loop: Header=BB1038_24 Depth=2
	global_load_u16 v24, v2, s[10:11] offset:7680 scale_offset
	s_wait_xcnt 0x0
	s_or_b32 exec_lo, exec_lo, s13
	s_delay_alu instid0(SALU_CYCLE_1)
	s_mov_b32 s13, exec_lo
	v_cmpx_gt_u32_e64 s9, v81
	s_cbranch_execnz .LBB1038_44
	s_branch .LBB1038_45
.LBB1038_96:                            ;   in Loop: Header=BB1038_20 Depth=1
	v_mov_b32_e32 v23, 0
	s_wait_dscnt 0x0
	s_barrier_signal -1
	s_barrier_wait -1
	s_and_saveexec_b32 s9, s0
	s_cbranch_execz .LBB1038_98
; %bb.97:                               ;   in Loop: Header=BB1038_20 Depth=1
	ds_load_2addr_b64 v[24:27], v84 offset1:1
	s_wait_dscnt 0x0
	v_add_nc_u32_e32 v23, v25, v24
	s_delay_alu instid0(VALU_DEP_1)
	v_add3_u32 v23, v23, v26, v27
.LBB1038_98:                            ;   in Loop: Header=BB1038_20 Depth=1
	s_or_b32 exec_lo, exec_lo, s9
	s_delay_alu instid0(VALU_DEP_1)
	v_mov_b32_dpp v24, v23 row_shr:1 row_mask:0xf bank_mask:0xf
	v_cmp_eq_u32_e64 s9, 0, v98
	v_cmp_lt_u32_e64 s10, 1, v98
	v_cmp_lt_u32_e64 s11, 3, v98
	;; [unrolled: 1-line block ×3, first 2 shown]
	v_cmp_eq_u32_e64 s13, 0, v100
	v_cndmask_b32_e64 v24, v24, 0, s9
	s_delay_alu instid0(VALU_DEP_1) | instskip(NEXT) | instid1(VALU_DEP_1)
	v_add_nc_u32_e32 v23, v24, v23
	v_mov_b32_dpp v24, v23 row_shr:2 row_mask:0xf bank_mask:0xf
	s_delay_alu instid0(VALU_DEP_1) | instskip(NEXT) | instid1(VALU_DEP_1)
	v_cndmask_b32_e64 v24, 0, v24, s10
	v_add_nc_u32_e32 v23, v23, v24
	s_delay_alu instid0(VALU_DEP_1) | instskip(NEXT) | instid1(VALU_DEP_1)
	v_mov_b32_dpp v24, v23 row_shr:4 row_mask:0xf bank_mask:0xf
	v_cndmask_b32_e64 v24, 0, v24, s11
	s_delay_alu instid0(VALU_DEP_1) | instskip(NEXT) | instid1(VALU_DEP_1)
	v_add_nc_u32_e32 v23, v23, v24
	v_mov_b32_dpp v24, v23 row_shr:8 row_mask:0xf bank_mask:0xf
	s_delay_alu instid0(VALU_DEP_1) | instskip(NEXT) | instid1(VALU_DEP_1)
	v_cndmask_b32_e64 v24, 0, v24, s12
	v_add_nc_u32_e32 v23, v23, v24
	ds_swizzle_b32 v24, v23 offset:swizzle(BROADCAST,32,15)
	s_wait_dscnt 0x0
	v_and_b32_e32 v24, v99, v24
	s_delay_alu instid0(VALU_DEP_1)
	v_add_nc_u32_e32 v23, v23, v24
	s_and_saveexec_b32 s14, s1
; %bb.99:                               ;   in Loop: Header=BB1038_20 Depth=1
	ds_store_b32 v85, v23
; %bb.100:                              ;   in Loop: Header=BB1038_20 Depth=1
	s_or_b32 exec_lo, exec_lo, s14
	s_wait_dscnt 0x0
	s_barrier_signal -1
	s_barrier_wait -1
	s_and_saveexec_b32 s14, s4
	s_cbranch_execz .LBB1038_102
; %bb.101:                              ;   in Loop: Header=BB1038_20 Depth=1
	ds_load_b32 v24, v86
	v_cmp_ne_u32_e32 vcc_lo, 0, v101
	s_wait_dscnt 0x0
	v_mov_b32_dpp v25, v24 row_shr:1 row_mask:0xf bank_mask:0xf
	s_delay_alu instid0(VALU_DEP_1) | instskip(SKIP_1) | instid1(VALU_DEP_2)
	v_cndmask_b32_e32 v25, 0, v25, vcc_lo
	v_cmp_lt_u32_e32 vcc_lo, 1, v101
	v_add_nc_u32_e32 v24, v25, v24
	s_delay_alu instid0(VALU_DEP_1) | instskip(NEXT) | instid1(VALU_DEP_1)
	v_mov_b32_dpp v25, v24 row_shr:2 row_mask:0xf bank_mask:0xf
	v_cndmask_b32_e32 v25, 0, v25, vcc_lo
	s_delay_alu instid0(VALU_DEP_1)
	v_add_nc_u32_e32 v24, v24, v25
	ds_store_b32 v86, v24
.LBB1038_102:                           ;   in Loop: Header=BB1038_20 Depth=1
	s_or_b32 exec_lo, exec_lo, s14
	v_mov_b32_e32 v24, 0
	s_wait_dscnt 0x0
	s_barrier_signal -1
	s_barrier_wait -1
	s_and_saveexec_b32 s14, s5
; %bb.103:                              ;   in Loop: Header=BB1038_20 Depth=1
	ds_load_b32 v24, v87
; %bb.104:                              ;   in Loop: Header=BB1038_20 Depth=1
	s_or_b32 exec_lo, exec_lo, s14
	v_cmp_gt_i32_e32 vcc_lo, 0, v103
	s_wait_dscnt 0x0
	s_barrier_signal -1
	s_barrier_wait -1
	v_dual_cndmask_b32 v25, v103, v96, vcc_lo :: v_dual_add_nc_u32 v23, v24, v23
	s_delay_alu instid0(VALU_DEP_1)
	v_lshlrev_b32_e32 v121, 2, v25
	ds_bpermute_b32 v23, v121, v23
	s_and_saveexec_b32 s14, s0
	s_cbranch_execz .LBB1038_106
; %bb.105:                              ;   in Loop: Header=BB1038_20 Depth=1
	s_wait_dscnt 0x0
	v_cndmask_b32_e64 v23, v23, v24, s8
	s_delay_alu instid0(VALU_DEP_1)
	v_add_nc_u32_e32 v23, s55, v23
	ds_store_b32 v3, v23
.LBB1038_106:                           ;   in Loop: Header=BB1038_20 Depth=1
	s_or_b32 exec_lo, exec_lo, s14
	s_clause 0x1
	s_load_b32 s14, s[52:53], 0x4
	s_load_b32 s16, s[52:53], 0xc
	s_mov_b32 s58, s57
                                        ; implicit-def: $vgpr30_vgpr31
                                        ; implicit-def: $vgpr32_vgpr33
                                        ; implicit-def: $vgpr34_vgpr35
                                        ; implicit-def: $vgpr36_vgpr37
                                        ; implicit-def: $vgpr38_vgpr39
                                        ; implicit-def: $vgpr40_vgpr41
                                        ; implicit-def: $vgpr42_vgpr43
                                        ; implicit-def: $vgpr44_vgpr45
                                        ; implicit-def: $vgpr46_vgpr47
                                        ; implicit-def: $vgpr48_vgpr49
                                        ; implicit-def: $vgpr50_vgpr51
                                        ; implicit-def: $vgpr52_vgpr53
                                        ; implicit-def: $vgpr54_vgpr55
                                        ; implicit-def: $vgpr56_vgpr57
                                        ; implicit-def: $vgpr58_vgpr59
                                        ; implicit-def: $vgpr60_vgpr61
                                        ; implicit-def: $vgpr122
                                        ; implicit-def: $vgpr123
                                        ; implicit-def: $vgpr124
                                        ; implicit-def: $vgpr125
                                        ; implicit-def: $vgpr126
                                        ; implicit-def: $vgpr127
                                        ; implicit-def: $vgpr128
                                        ; implicit-def: $vgpr129
                                        ; implicit-def: $vgpr130
                                        ; implicit-def: $vgpr131
                                        ; implicit-def: $vgpr132
                                        ; implicit-def: $vgpr133
                                        ; implicit-def: $vgpr134
                                        ; implicit-def: $vgpr135
                                        ; implicit-def: $vgpr136
                                        ; implicit-def: $vgpr138
                                        ; implicit-def: $vgpr139
                                        ; implicit-def: $vgpr137
                                        ; implicit-def: $vgpr140
	s_wait_kmcnt 0x0
	s_cmp_lt_u32 s42, s14
	s_cselect_b32 s34, 14, 20
	s_delay_alu instid0(SALU_CYCLE_1)
	s_add_nc_u64 s[14:15], s[52:53], s[34:35]
	s_mov_b32 s34, s55
	s_load_u16 s14, s[14:15], 0x0
	s_wait_xcnt 0x0
	v_cmp_lt_u32_e64 s15, 1, v104
	s_wait_dscnt 0x0
	s_wait_kmcnt 0x0
	v_mad_u32_u24 v23, v88, s14, v90
	s_and_b32 s14, s16, 0xffff
	v_cmp_lt_u32_e64 s16, 3, v104
	s_delay_alu instid0(VALU_DEP_2) | instskip(SKIP_2) | instid1(VALU_DEP_3)
	v_mad_u32 v24, v23, s14, v2
	v_mov_b32_e32 v23, v5
	v_cmp_eq_u32_e64 s14, 0, v104
	v_lshrrev_b32_e32 v28, 3, v24
	v_add_nc_u64_e32 v[24:25], v[0:1], v[4:5]
	s_delay_alu instid0(VALU_DEP_4) | instskip(NEXT) | instid1(VALU_DEP_3)
	v_add_nc_u64_e32 v[26:27], v[8:9], v[22:23]
	v_and_b32_e32 v23, 0x1ffffffc, v28
                                        ; implicit-def: $vgpr28_vgpr29
	s_branch .LBB1038_108
.LBB1038_107:                           ;   in Loop: Header=BB1038_108 Depth=2
	s_or_b32 exec_lo, exec_lo, s17
	s_addk_co_i32 s58, 0xef00
	s_cmp_lt_u32 s59, s54
	s_mov_b32 s34, s59
	s_cbranch_scc0 .LBB1038_330
.LBB1038_108:                           ;   Parent Loop BB1038_20 Depth=1
                                        ; =>  This Inner Loop Header: Depth=2
	s_add_co_i32 s59, s34, 0x1100
	s_delay_alu instid0(SALU_CYCLE_1)
	s_cmp_gt_u32 s59, s54
	s_cbranch_scc1 .LBB1038_110
; %bb.109:                              ;   in Loop: Header=BB1038_108 Depth=2
	s_delay_alu instid0(VALU_DEP_2)
	v_lshl_add_u64 v[62:63], s[34:35], 1, v[26:27]
	s_mov_b32 s17, -1
	s_clause 0xf
	global_load_u16 v143, v[62:63], off
	global_load_u16 v145, v[62:63], off offset:64
	global_load_u16 v147, v[62:63], off offset:128
	;; [unrolled: 1-line block ×15, first 2 shown]
	s_movk_i32 s18, 0x1100
	s_cbranch_execz .LBB1038_111
	s_branch .LBB1038_144
.LBB1038_110:                           ;   in Loop: Header=BB1038_108 Depth=2
	s_mov_b32 s17, 0
                                        ; implicit-def: $vgpr143
                                        ; implicit-def: $vgpr145
                                        ; implicit-def: $vgpr147
                                        ; implicit-def: $vgpr151
                                        ; implicit-def: $vgpr155
                                        ; implicit-def: $vgpr160
                                        ; implicit-def: $vgpr166
                                        ; implicit-def: $vgpr171
                                        ; implicit-def: $vgpr176
                                        ; implicit-def: $vgpr174
                                        ; implicit-def: $vgpr169
                                        ; implicit-def: $vgpr164
                                        ; implicit-def: $vgpr161
                                        ; implicit-def: $vgpr156
                                        ; implicit-def: $vgpr65
                                        ; implicit-def: $vgpr64
	s_movk_i32 s18, 0x1100
.LBB1038_111:                           ;   in Loop: Header=BB1038_108 Depth=2
	s_wait_xcnt 0x0
	v_lshl_add_u64 v[62:63], s[34:35], 1, v[26:27]
	s_wait_loadcnt 0xe
	v_mov_b32_e32 v145, 0x7fff
	v_mov_b32_e32 v143, 0x7fff
	s_mov_b32 s17, exec_lo
	v_cmpx_gt_u32_e64 s58, v102
	s_cbranch_execz .LBB1038_113
; %bb.112:                              ;   in Loop: Header=BB1038_108 Depth=2
	global_load_u16 v143, v[62:63], off
.LBB1038_113:                           ;   in Loop: Header=BB1038_108 Depth=2
	s_wait_xcnt 0x0
	s_or_b32 exec_lo, exec_lo, s17
	s_delay_alu instid0(SALU_CYCLE_1)
	s_mov_b32 s17, exec_lo
	v_cmpx_gt_u32_e64 s58, v105
	s_cbranch_execz .LBB1038_115
; %bb.114:                              ;   in Loop: Header=BB1038_108 Depth=2
	global_load_u16 v145, v[62:63], off offset:64
.LBB1038_115:                           ;   in Loop: Header=BB1038_108 Depth=2
	s_wait_xcnt 0x0
	s_or_b32 exec_lo, exec_lo, s17
	s_wait_loadcnt 0xc
	v_mov_b32_e32 v151, 0x7fff
	v_mov_b32_e32 v147, 0x7fff
	s_mov_b32 s17, exec_lo
	v_cmpx_gt_u32_e64 s58, v106
	s_cbranch_execz .LBB1038_117
; %bb.116:                              ;   in Loop: Header=BB1038_108 Depth=2
	global_load_u16 v147, v[62:63], off offset:128
.LBB1038_117:                           ;   in Loop: Header=BB1038_108 Depth=2
	s_wait_xcnt 0x0
	s_or_b32 exec_lo, exec_lo, s17
	s_delay_alu instid0(SALU_CYCLE_1)
	s_mov_b32 s17, exec_lo
	v_cmpx_gt_u32_e64 s58, v107
	s_cbranch_execz .LBB1038_119
; %bb.118:                              ;   in Loop: Header=BB1038_108 Depth=2
	global_load_u16 v151, v[62:63], off offset:192
.LBB1038_119:                           ;   in Loop: Header=BB1038_108 Depth=2
	s_wait_xcnt 0x0
	s_or_b32 exec_lo, exec_lo, s17
	s_wait_loadcnt 0xa
	v_dual_mov_b32 v160, 0x7fff :: v_dual_mov_b32 v155, 0x7fff
	s_mov_b32 s17, exec_lo
	v_cmpx_gt_u32_e64 s58, v108
	s_cbranch_execz .LBB1038_121
; %bb.120:                              ;   in Loop: Header=BB1038_108 Depth=2
	global_load_u16 v155, v[62:63], off offset:256
.LBB1038_121:                           ;   in Loop: Header=BB1038_108 Depth=2
	s_wait_xcnt 0x0
	s_or_b32 exec_lo, exec_lo, s17
	s_delay_alu instid0(SALU_CYCLE_1)
	s_mov_b32 s17, exec_lo
	v_cmpx_gt_u32_e64 s58, v109
	s_cbranch_execz .LBB1038_123
; %bb.122:                              ;   in Loop: Header=BB1038_108 Depth=2
	global_load_u16 v160, v[62:63], off offset:320
.LBB1038_123:                           ;   in Loop: Header=BB1038_108 Depth=2
	s_wait_xcnt 0x0
	s_or_b32 exec_lo, exec_lo, s17
	s_wait_loadcnt 0x8
	v_dual_mov_b32 v171, 0x7fff :: v_dual_mov_b32 v166, 0x7fff
	s_mov_b32 s17, exec_lo
	v_cmpx_gt_u32_e64 s58, v110
	s_cbranch_execz .LBB1038_125
; %bb.124:                              ;   in Loop: Header=BB1038_108 Depth=2
	global_load_u16 v166, v[62:63], off offset:384
.LBB1038_125:                           ;   in Loop: Header=BB1038_108 Depth=2
	s_wait_xcnt 0x0
	s_or_b32 exec_lo, exec_lo, s17
	s_delay_alu instid0(SALU_CYCLE_1)
	s_mov_b32 s17, exec_lo
	v_cmpx_gt_u32_e64 s58, v111
	s_cbranch_execz .LBB1038_127
; %bb.126:                              ;   in Loop: Header=BB1038_108 Depth=2
	global_load_u16 v171, v[62:63], off offset:448
.LBB1038_127:                           ;   in Loop: Header=BB1038_108 Depth=2
	s_wait_xcnt 0x0
	s_or_b32 exec_lo, exec_lo, s17
	s_wait_loadcnt 0x6
	v_mov_b32_e32 v174, 0x7fff
	v_mov_b32_e32 v176, 0x7fff
	s_mov_b32 s17, exec_lo
	v_cmpx_gt_u32_e64 s58, v112
	s_cbranch_execz .LBB1038_129
; %bb.128:                              ;   in Loop: Header=BB1038_108 Depth=2
	global_load_u16 v176, v[62:63], off offset:512
.LBB1038_129:                           ;   in Loop: Header=BB1038_108 Depth=2
	s_wait_xcnt 0x0
	s_or_b32 exec_lo, exec_lo, s17
	s_delay_alu instid0(SALU_CYCLE_1)
	s_mov_b32 s17, exec_lo
	v_cmpx_gt_u32_e64 s58, v113
	s_cbranch_execz .LBB1038_131
; %bb.130:                              ;   in Loop: Header=BB1038_108 Depth=2
	global_load_u16 v174, v[62:63], off offset:576
.LBB1038_131:                           ;   in Loop: Header=BB1038_108 Depth=2
	s_wait_xcnt 0x0
	s_or_b32 exec_lo, exec_lo, s17
	s_wait_loadcnt 0x4
	v_dual_mov_b32 v164, 0x7fff :: v_dual_mov_b32 v169, 0x7fff
	s_mov_b32 s17, exec_lo
	v_cmpx_gt_u32_e64 s58, v114
	s_cbranch_execz .LBB1038_133
; %bb.132:                              ;   in Loop: Header=BB1038_108 Depth=2
	global_load_u16 v169, v[62:63], off offset:640
.LBB1038_133:                           ;   in Loop: Header=BB1038_108 Depth=2
	s_wait_xcnt 0x0
	s_or_b32 exec_lo, exec_lo, s17
	s_delay_alu instid0(SALU_CYCLE_1)
	s_mov_b32 s17, exec_lo
	v_cmpx_gt_u32_e64 s58, v115
	s_cbranch_execz .LBB1038_135
; %bb.134:                              ;   in Loop: Header=BB1038_108 Depth=2
	global_load_u16 v164, v[62:63], off offset:704
.LBB1038_135:                           ;   in Loop: Header=BB1038_108 Depth=2
	s_wait_xcnt 0x0
	s_or_b32 exec_lo, exec_lo, s17
	s_wait_loadcnt 0x2
	v_dual_mov_b32 v156, 0x7fff :: v_dual_mov_b32 v161, 0x7fff
	;; [unrolled: 19-line block ×3, first 2 shown]
	s_mov_b32 s17, exec_lo
	v_cmpx_gt_u32_e64 s58, v118
	s_cbranch_execz .LBB1038_141
; %bb.140:                              ;   in Loop: Header=BB1038_108 Depth=2
	global_load_u16 v65, v[62:63], off offset:896
.LBB1038_141:                           ;   in Loop: Header=BB1038_108 Depth=2
	s_wait_xcnt 0x0
	s_or_b32 exec_lo, exec_lo, s17
	s_delay_alu instid0(SALU_CYCLE_1)
	s_mov_b32 s17, exec_lo
	v_cmpx_gt_u32_e64 s58, v119
	s_cbranch_execz .LBB1038_143
; %bb.142:                              ;   in Loop: Header=BB1038_108 Depth=2
	global_load_u16 v64, v[62:63], off offset:960
.LBB1038_143:                           ;   in Loop: Header=BB1038_108 Depth=2
	s_wait_xcnt 0x0
	s_or_b32 exec_lo, exec_lo, s17
	v_cmp_gt_u32_e64 s17, s58, v120
	s_sub_co_i32 s18, s54, s34
.LBB1038_144:                           ;   in Loop: Header=BB1038_108 Depth=2
	v_dual_mov_b32 v142, -1 :: v_dual_mov_b32 v141, s58
	s_wait_xcnt 0x0
	s_and_saveexec_b32 s19, s17
	s_cbranch_execz .LBB1038_146
; %bb.145:                              ;   in Loop: Header=BB1038_108 Depth=2
	v_lshl_add_u64 v[62:63], s[34:35], 1, v[26:27]
	v_mov_b32_e32 v141, s18
	global_load_u16 v62, v[62:63], off offset:1024
	s_wait_loadcnt 0x0
	v_xor_b32_e32 v142, 0xffff8000, v62
.LBB1038_146:                           ;   in Loop: Header=BB1038_108 Depth=2
	s_wait_xcnt 0x0
	s_or_b32 exec_lo, exec_lo, s19
	s_wait_loadcnt 0xf
	v_xor_b32_e32 v143, 0xffff8000, v143
	ds_store_2addr_b32 v89, v5, v5 offset0:136 offset1:137
	ds_store_2addr_b32 v89, v5, v5 offset0:138 offset1:139
	ds_store_b32 v89, v5 offset:560
	s_wait_loadcnt_dscnt 0x0
	s_barrier_signal -1
	s_barrier_wait -1
	v_and_b32_e32 v62, 0xffff, v143
	; wave barrier
	s_delay_alu instid0(VALU_DEP_1) | instskip(NEXT) | instid1(VALU_DEP_1)
	v_lshrrev_b32_e32 v62, s43, v62
	v_bitop3_b32 v63, v62, 1, s48 bitop3:0x80
	v_and_b32_e32 v146, s48, v62
	s_delay_alu instid0(VALU_DEP_2) | instskip(NEXT) | instid1(VALU_DEP_1)
	v_add_co_u32 v62, s17, v63, -1
	v_cndmask_b32_e64 v63, 0, 1, s17
	s_delay_alu instid0(VALU_DEP_3) | instskip(NEXT) | instid1(VALU_DEP_2)
	v_dual_lshlrev_b32 v144, 30, v146 :: v_dual_lshlrev_b32 v148, 29, v146
	v_cmp_ne_u32_e32 vcc_lo, 0, v63
	s_delay_alu instid0(VALU_DEP_2) | instskip(SKIP_1) | instid1(VALU_DEP_4)
	v_cmp_gt_i32_e64 s17, 0, v144
	v_not_b32_e32 v63, v144
	v_not_b32_e32 v144, v148
	v_cmp_gt_i32_e64 s18, 0, v148
	v_bitop3_b32 v62, vcc_lo, exec_lo, v62 bitop3:0x48
	s_delay_alu instid0(VALU_DEP_3) | instskip(SKIP_2) | instid1(VALU_DEP_3)
	v_dual_ashrrev_i32 v63, 31, v63 :: v_dual_ashrrev_i32 v144, 31, v144
	v_dual_lshlrev_b32 v149, 28, v146 :: v_dual_lshlrev_b32 v150, 27, v146
	v_dual_lshlrev_b32 v152, 26, v146 :: v_dual_lshlrev_b32 v153, 25, v146
	v_xor_b32_e32 v144, s18, v144
	s_delay_alu instid0(VALU_DEP_3)
	v_cmp_gt_i32_e64 s19, 0, v149
	v_not_b32_e32 v148, v149
	v_not_b32_e32 v149, v150
	v_cmp_gt_i32_e64 s20, 0, v150
	v_cmp_gt_i32_e64 s21, 0, v152
	v_not_b32_e32 v150, v152
	v_not_b32_e32 v152, v153
	v_dual_ashrrev_i32 v148, 31, v148 :: v_dual_ashrrev_i32 v149, 31, v149
	s_delay_alu instid0(VALU_DEP_3) | instskip(SKIP_1) | instid1(VALU_DEP_3)
	v_dual_ashrrev_i32 v150, 31, v150 :: v_dual_bitop2_b32 v63, s17, v63 bitop3:0x14
	v_cmp_gt_i32_e64 s22, 0, v153
	v_dual_ashrrev_i32 v152, 31, v152 :: v_dual_bitop2_b32 v149, s20, v149 bitop3:0x14
	s_delay_alu instid0(VALU_DEP_4) | instskip(NEXT) | instid1(VALU_DEP_4)
	v_xor_b32_e32 v148, s19, v148
	v_bitop3_b32 v62, v62, v144, v63 bitop3:0x80
	v_xor_b32_e32 v63, s21, v150
	s_delay_alu instid0(VALU_DEP_4) | instskip(NEXT) | instid1(VALU_DEP_3)
	v_xor_b32_e32 v144, s22, v152
	v_bitop3_b32 v62, v62, v149, v148 bitop3:0x80
	s_delay_alu instid0(VALU_DEP_1) | instskip(SKIP_1) | instid1(VALU_DEP_2)
	v_bitop3_b32 v62, v62, v144, v63 bitop3:0x80
	v_mul_u32_u24_e32 v63, 36, v146
	v_mbcnt_lo_u32_b32 v144, v62, 0
	v_cmp_ne_u32_e64 s17, 0, v62
	s_delay_alu instid0(VALU_DEP_3) | instskip(NEXT) | instid1(VALU_DEP_3)
	v_add_nc_u32_e32 v146, v23, v63
	v_cmp_eq_u32_e32 vcc_lo, 0, v144
	s_and_b32 s18, s17, vcc_lo
	s_delay_alu instid0(SALU_CYCLE_1)
	s_and_saveexec_b32 s17, s18
; %bb.147:                              ;   in Loop: Header=BB1038_108 Depth=2
	v_bcnt_u32_b32 v62, v62, 0
	ds_store_b32 v146, v62 offset:544
; %bb.148:                              ;   in Loop: Header=BB1038_108 Depth=2
	s_or_b32 exec_lo, exec_lo, s17
	v_xor_b32_e32 v145, 0xffff8000, v145
	; wave barrier
	s_delay_alu instid0(VALU_DEP_1) | instskip(NEXT) | instid1(VALU_DEP_1)
	v_and_b32_e32 v62, 0xffff, v145
	v_lshrrev_b32_e32 v62, s43, v62
	s_delay_alu instid0(VALU_DEP_1) | instskip(SKIP_1) | instid1(VALU_DEP_2)
	v_bitop3_b32 v63, v62, 1, s48 bitop3:0x80
	v_and_b32_e32 v150, s48, v62
	v_add_co_u32 v62, s17, v63, -1
	s_delay_alu instid0(VALU_DEP_1) | instskip(NEXT) | instid1(VALU_DEP_3)
	v_cndmask_b32_e64 v63, 0, 1, s17
	v_dual_lshlrev_b32 v148, 30, v150 :: v_dual_lshlrev_b32 v149, 29, v150
	s_delay_alu instid0(VALU_DEP_2) | instskip(NEXT) | instid1(VALU_DEP_2)
	v_cmp_ne_u32_e32 vcc_lo, 0, v63
	v_cmp_gt_i32_e64 s17, 0, v148
	v_not_b32_e32 v63, v148
	s_delay_alu instid0(VALU_DEP_4) | instskip(SKIP_2) | instid1(VALU_DEP_3)
	v_not_b32_e32 v148, v149
	v_cmp_gt_i32_e64 s18, 0, v149
	v_bitop3_b32 v62, vcc_lo, exec_lo, v62 bitop3:0x48
	v_dual_ashrrev_i32 v63, 31, v63 :: v_dual_ashrrev_i32 v148, 31, v148
	v_dual_lshlrev_b32 v152, 28, v150 :: v_dual_lshlrev_b32 v153, 27, v150
	v_dual_lshlrev_b32 v154, 26, v150 :: v_dual_lshlrev_b32 v157, 25, v150
	s_delay_alu instid0(VALU_DEP_2) | instskip(SKIP_1) | instid1(VALU_DEP_4)
	v_cmp_gt_i32_e64 s19, 0, v152
	v_not_b32_e32 v149, v152
	v_cmp_gt_i32_e64 s20, 0, v153
	v_not_b32_e32 v152, v153
	;; [unrolled: 2-line block ×3, first 2 shown]
	v_not_b32_e32 v154, v157
	v_xor_b32_e32 v63, s17, v63
	v_dual_ashrrev_i32 v149, 31, v149 :: v_dual_bitop2_b32 v148, s18, v148 bitop3:0x14
	s_delay_alu instid0(VALU_DEP_4) | instskip(NEXT) | instid1(VALU_DEP_4)
	v_dual_ashrrev_i32 v152, 31, v152 :: v_dual_ashrrev_i32 v153, 31, v153
	v_ashrrev_i32_e32 v154, 31, v154
	s_delay_alu instid0(VALU_DEP_3)
	v_bitop3_b32 v62, v62, v148, v63 bitop3:0x80
	v_mad_u32_u24 v63, v150, 36, v23
	v_cmp_gt_i32_e64 s22, 0, v157
	v_xor_b32_e32 v152, s20, v152
	v_xor_b32_e32 v153, s21, v153
	ds_load_b32 v148, v63 offset:544
	v_mul_u32_u24_e32 v63, 36, v150
	v_xor_b32_e32 v149, s19, v149
	v_xor_b32_e32 v154, s22, v154
	; wave barrier
	s_delay_alu instid0(VALU_DEP_3) | instskip(NEXT) | instid1(VALU_DEP_3)
	v_add_nc_u32_e32 v150, v23, v63
	v_bitop3_b32 v62, v62, v152, v149 bitop3:0x80
	s_delay_alu instid0(VALU_DEP_1) | instskip(NEXT) | instid1(VALU_DEP_1)
	v_bitop3_b32 v62, v62, v154, v153 bitop3:0x80
	v_mbcnt_lo_u32_b32 v149, v62, 0
	v_cmp_ne_u32_e64 s17, 0, v62
	s_delay_alu instid0(VALU_DEP_2) | instskip(SKIP_1) | instid1(SALU_CYCLE_1)
	v_cmp_eq_u32_e32 vcc_lo, 0, v149
	s_and_b32 s18, s17, vcc_lo
	s_and_saveexec_b32 s17, s18
	s_cbranch_execz .LBB1038_150
; %bb.149:                              ;   in Loop: Header=BB1038_108 Depth=2
	s_wait_dscnt 0x0
	v_bcnt_u32_b32 v62, v62, v148
	ds_store_b32 v150, v62 offset:544
.LBB1038_150:                           ;   in Loop: Header=BB1038_108 Depth=2
	s_or_b32 exec_lo, exec_lo, s17
	v_xor_b32_e32 v147, 0xffff8000, v147
	; wave barrier
	s_delay_alu instid0(VALU_DEP_1) | instskip(NEXT) | instid1(VALU_DEP_1)
	v_and_b32_e32 v62, 0xffff, v147
	v_lshrrev_b32_e32 v62, s43, v62
	s_delay_alu instid0(VALU_DEP_1) | instskip(SKIP_1) | instid1(VALU_DEP_2)
	v_bitop3_b32 v63, v62, 1, s48 bitop3:0x80
	v_and_b32_e32 v154, s48, v62
	v_add_co_u32 v62, s17, v63, -1
	s_delay_alu instid0(VALU_DEP_1) | instskip(NEXT) | instid1(VALU_DEP_3)
	v_cndmask_b32_e64 v63, 0, 1, s17
	v_dual_lshlrev_b32 v152, 30, v154 :: v_dual_lshlrev_b32 v153, 29, v154
	s_delay_alu instid0(VALU_DEP_2) | instskip(NEXT) | instid1(VALU_DEP_2)
	v_cmp_ne_u32_e32 vcc_lo, 0, v63
	v_cmp_gt_i32_e64 s17, 0, v152
	v_not_b32_e32 v63, v152
	s_delay_alu instid0(VALU_DEP_4) | instskip(SKIP_2) | instid1(VALU_DEP_3)
	v_not_b32_e32 v152, v153
	v_cmp_gt_i32_e64 s18, 0, v153
	v_bitop3_b32 v62, vcc_lo, exec_lo, v62 bitop3:0x48
	v_dual_ashrrev_i32 v63, 31, v63 :: v_dual_ashrrev_i32 v152, 31, v152
	v_dual_lshlrev_b32 v157, 28, v154 :: v_dual_lshlrev_b32 v158, 27, v154
	v_dual_lshlrev_b32 v159, 26, v154 :: v_dual_lshlrev_b32 v162, 25, v154
	s_delay_alu instid0(VALU_DEP_3) | instskip(NEXT) | instid1(VALU_DEP_3)
	v_xor_b32_e32 v63, s17, v63
	v_cmp_gt_i32_e64 s19, 0, v157
	v_not_b32_e32 v153, v157
	v_not_b32_e32 v157, v158
	v_xor_b32_e32 v152, s18, v152
	v_cmp_gt_i32_e64 s20, 0, v158
	v_cmp_gt_i32_e64 s21, 0, v159
	v_ashrrev_i32_e32 v153, 31, v153
	v_ashrrev_i32_e32 v157, 31, v157
	v_not_b32_e32 v158, v159
	v_not_b32_e32 v159, v162
	v_bitop3_b32 v62, v62, v152, v63 bitop3:0x80
	v_mad_u32_u24 v63, v154, 36, v23
	v_cmp_gt_i32_e64 s22, 0, v162
	s_delay_alu instid0(VALU_DEP_4)
	v_dual_ashrrev_i32 v158, 31, v158 :: v_dual_ashrrev_i32 v159, 31, v159
	v_xor_b32_e32 v157, s20, v157
	ds_load_b32 v152, v63 offset:544
	v_mul_u32_u24_e32 v63, 36, v154
	v_xor_b32_e32 v153, s19, v153
	v_xor_b32_e32 v158, s21, v158
	;; [unrolled: 1-line block ×3, first 2 shown]
	s_delay_alu instid0(VALU_DEP_4) | instskip(NEXT) | instid1(VALU_DEP_4)
	v_add_nc_u32_e32 v154, v23, v63
	v_bitop3_b32 v62, v62, v157, v153 bitop3:0x80
	; wave barrier
	s_delay_alu instid0(VALU_DEP_1) | instskip(NEXT) | instid1(VALU_DEP_1)
	v_bitop3_b32 v62, v62, v159, v158 bitop3:0x80
	v_mbcnt_lo_u32_b32 v153, v62, 0
	v_cmp_ne_u32_e64 s17, 0, v62
	s_delay_alu instid0(VALU_DEP_2) | instskip(SKIP_1) | instid1(SALU_CYCLE_1)
	v_cmp_eq_u32_e32 vcc_lo, 0, v153
	s_and_b32 s18, s17, vcc_lo
	s_and_saveexec_b32 s17, s18
	s_cbranch_execz .LBB1038_152
; %bb.151:                              ;   in Loop: Header=BB1038_108 Depth=2
	s_wait_dscnt 0x0
	v_bcnt_u32_b32 v62, v62, v152
	ds_store_b32 v154, v62 offset:544
.LBB1038_152:                           ;   in Loop: Header=BB1038_108 Depth=2
	s_or_b32 exec_lo, exec_lo, s17
	v_xor_b32_e32 v151, 0xffff8000, v151
	; wave barrier
	s_delay_alu instid0(VALU_DEP_1) | instskip(NEXT) | instid1(VALU_DEP_1)
	v_and_b32_e32 v62, 0xffff, v151
	v_lshrrev_b32_e32 v62, s43, v62
	s_delay_alu instid0(VALU_DEP_1) | instskip(NEXT) | instid1(VALU_DEP_1)
	v_and_b32_e32 v159, s48, v62
	v_lshlrev_b32_e32 v157, 30, v159
	v_bitop3_b32 v63, v62, 1, s48 bitop3:0x80
	s_delay_alu instid0(VALU_DEP_1) | instskip(NEXT) | instid1(VALU_DEP_1)
	v_add_co_u32 v62, s17, v63, -1
	v_cndmask_b32_e64 v63, 0, 1, s17
	s_delay_alu instid0(VALU_DEP_4) | instskip(NEXT) | instid1(VALU_DEP_2)
	v_cmp_gt_i32_e64 s17, 0, v157
	v_cmp_ne_u32_e32 vcc_lo, 0, v63
	v_not_b32_e32 v63, v157
	v_bitop3_b32 v62, vcc_lo, exec_lo, v62 bitop3:0x48
	s_delay_alu instid0(VALU_DEP_2) | instskip(SKIP_2) | instid1(VALU_DEP_3)
	v_ashrrev_i32_e32 v63, 31, v63
	v_dual_lshlrev_b32 v158, 29, v159 :: v_dual_lshlrev_b32 v162, 28, v159
	v_dual_lshlrev_b32 v163, 27, v159 :: v_dual_lshlrev_b32 v165, 26, v159
	v_xor_b32_e32 v63, s17, v63
	s_delay_alu instid0(VALU_DEP_3)
	v_not_b32_e32 v157, v158
	v_lshlrev_b32_e32 v167, 25, v159
	v_cmp_gt_i32_e64 s18, 0, v158
	v_cmp_gt_i32_e64 s19, 0, v162
	v_not_b32_e32 v158, v162
	v_not_b32_e32 v162, v163
	v_ashrrev_i32_e32 v157, 31, v157
	v_cmp_gt_i32_e64 s20, 0, v163
	v_cmp_gt_i32_e64 s21, 0, v165
	v_ashrrev_i32_e32 v158, 31, v158
	s_delay_alu instid0(VALU_DEP_4) | instskip(SKIP_3) | instid1(VALU_DEP_4)
	v_dual_ashrrev_i32 v162, 31, v162 :: v_dual_bitop2_b32 v157, s18, v157 bitop3:0x14
	v_not_b32_e32 v163, v165
	v_not_b32_e32 v165, v167
	v_cmp_gt_i32_e64 s22, 0, v167
	v_xor_b32_e32 v162, s20, v162
	v_bitop3_b32 v62, v62, v157, v63 bitop3:0x80
	v_mad_u32_u24 v63, v159, 36, v23
	v_dual_ashrrev_i32 v163, 31, v163 :: v_dual_ashrrev_i32 v165, 31, v165
	ds_load_b32 v157, v63 offset:544
	v_mul_u32_u24_e32 v63, 36, v159
	v_xor_b32_e32 v158, s19, v158
	v_xor_b32_e32 v163, s21, v163
	;; [unrolled: 1-line block ×3, first 2 shown]
	s_delay_alu instid0(VALU_DEP_4) | instskip(NEXT) | instid1(VALU_DEP_4)
	v_add_nc_u32_e32 v159, v23, v63
	v_bitop3_b32 v62, v62, v162, v158 bitop3:0x80
	; wave barrier
	s_delay_alu instid0(VALU_DEP_1) | instskip(NEXT) | instid1(VALU_DEP_1)
	v_bitop3_b32 v62, v62, v165, v163 bitop3:0x80
	v_mbcnt_lo_u32_b32 v158, v62, 0
	v_cmp_ne_u32_e64 s17, 0, v62
	s_delay_alu instid0(VALU_DEP_2) | instskip(SKIP_1) | instid1(SALU_CYCLE_1)
	v_cmp_eq_u32_e32 vcc_lo, 0, v158
	s_and_b32 s18, s17, vcc_lo
	s_and_saveexec_b32 s17, s18
	s_cbranch_execz .LBB1038_154
; %bb.153:                              ;   in Loop: Header=BB1038_108 Depth=2
	s_wait_dscnt 0x0
	v_bcnt_u32_b32 v62, v62, v157
	ds_store_b32 v159, v62 offset:544
.LBB1038_154:                           ;   in Loop: Header=BB1038_108 Depth=2
	s_or_b32 exec_lo, exec_lo, s17
	v_xor_b32_e32 v155, 0xffff8000, v155
	; wave barrier
	s_delay_alu instid0(VALU_DEP_1) | instskip(NEXT) | instid1(VALU_DEP_1)
	v_and_b32_e32 v62, 0xffff, v155
	v_lshrrev_b32_e32 v62, s43, v62
	s_delay_alu instid0(VALU_DEP_1) | instskip(NEXT) | instid1(VALU_DEP_1)
	v_and_b32_e32 v165, s48, v62
	v_lshlrev_b32_e32 v162, 30, v165
	v_bitop3_b32 v63, v62, 1, s48 bitop3:0x80
	s_delay_alu instid0(VALU_DEP_1) | instskip(NEXT) | instid1(VALU_DEP_1)
	v_add_co_u32 v62, s17, v63, -1
	v_cndmask_b32_e64 v63, 0, 1, s17
	s_delay_alu instid0(VALU_DEP_4) | instskip(NEXT) | instid1(VALU_DEP_2)
	v_cmp_gt_i32_e64 s17, 0, v162
	v_cmp_ne_u32_e32 vcc_lo, 0, v63
	v_not_b32_e32 v63, v162
	v_bitop3_b32 v62, vcc_lo, exec_lo, v62 bitop3:0x48
	s_delay_alu instid0(VALU_DEP_2) | instskip(SKIP_2) | instid1(VALU_DEP_3)
	v_dual_ashrrev_i32 v63, 31, v63 :: v_dual_lshlrev_b32 v163, 29, v165
	v_dual_lshlrev_b32 v167, 28, v165 :: v_dual_lshlrev_b32 v168, 27, v165
	v_lshlrev_b32_e32 v170, 26, v165
	v_not_b32_e32 v162, v163
	v_lshlrev_b32_e32 v172, 25, v165
	v_cmp_gt_i32_e64 s18, 0, v163
	v_cmp_gt_i32_e64 s19, 0, v167
	v_not_b32_e32 v163, v167
	v_not_b32_e32 v167, v168
	v_ashrrev_i32_e32 v162, 31, v162
	v_cmp_gt_i32_e64 s20, 0, v168
	v_cmp_gt_i32_e64 s21, 0, v170
	v_not_b32_e32 v168, v170
	v_not_b32_e32 v170, v172
	v_dual_ashrrev_i32 v163, 31, v163 :: v_dual_bitop2_b32 v162, s18, v162 bitop3:0x14
	s_delay_alu instid0(VALU_DEP_3) | instskip(NEXT) | instid1(VALU_DEP_3)
	v_dual_ashrrev_i32 v167, 31, v167 :: v_dual_ashrrev_i32 v168, 31, v168
	v_dual_ashrrev_i32 v170, 31, v170 :: v_dual_bitop2_b32 v63, s17, v63 bitop3:0x14
	v_cmp_gt_i32_e64 s22, 0, v172
	s_delay_alu instid0(VALU_DEP_4) | instskip(NEXT) | instid1(VALU_DEP_4)
	v_xor_b32_e32 v163, s19, v163
	v_xor_b32_e32 v167, s20, v167
	s_delay_alu instid0(VALU_DEP_4) | instskip(SKIP_2) | instid1(VALU_DEP_3)
	v_bitop3_b32 v62, v62, v162, v63 bitop3:0x80
	v_mad_u32_u24 v63, v165, 36, v23
	v_xor_b32_e32 v170, s22, v170
	v_bitop3_b32 v62, v62, v167, v163 bitop3:0x80
	ds_load_b32 v162, v63 offset:544
	v_mul_u32_u24_e32 v63, 36, v165
	v_xor_b32_e32 v168, s21, v168
	; wave barrier
	s_delay_alu instid0(VALU_DEP_2) | instskip(NEXT) | instid1(VALU_DEP_2)
	v_add_nc_u32_e32 v165, v23, v63
	v_bitop3_b32 v62, v62, v170, v168 bitop3:0x80
	s_delay_alu instid0(VALU_DEP_1) | instskip(SKIP_1) | instid1(VALU_DEP_2)
	v_mbcnt_lo_u32_b32 v163, v62, 0
	v_cmp_ne_u32_e64 s17, 0, v62
	v_cmp_eq_u32_e32 vcc_lo, 0, v163
	s_and_b32 s18, s17, vcc_lo
	s_delay_alu instid0(SALU_CYCLE_1)
	s_and_saveexec_b32 s17, s18
	s_cbranch_execz .LBB1038_156
; %bb.155:                              ;   in Loop: Header=BB1038_108 Depth=2
	s_wait_dscnt 0x0
	v_bcnt_u32_b32 v62, v62, v162
	ds_store_b32 v165, v62 offset:544
.LBB1038_156:                           ;   in Loop: Header=BB1038_108 Depth=2
	s_or_b32 exec_lo, exec_lo, s17
	v_xor_b32_e32 v160, 0xffff8000, v160
	; wave barrier
	s_delay_alu instid0(VALU_DEP_1) | instskip(NEXT) | instid1(VALU_DEP_1)
	v_and_b32_e32 v62, 0xffff, v160
	v_lshrrev_b32_e32 v62, s43, v62
	s_delay_alu instid0(VALU_DEP_1) | instskip(SKIP_1) | instid1(VALU_DEP_2)
	v_bitop3_b32 v63, v62, 1, s48 bitop3:0x80
	v_and_b32_e32 v170, s48, v62
	v_add_co_u32 v62, s17, v63, -1
	s_delay_alu instid0(VALU_DEP_1) | instskip(NEXT) | instid1(VALU_DEP_3)
	v_cndmask_b32_e64 v63, 0, 1, s17
	v_dual_lshlrev_b32 v167, 30, v170 :: v_dual_lshlrev_b32 v168, 29, v170
	s_delay_alu instid0(VALU_DEP_2) | instskip(NEXT) | instid1(VALU_DEP_2)
	v_cmp_ne_u32_e32 vcc_lo, 0, v63
	v_cmp_gt_i32_e64 s17, 0, v167
	v_not_b32_e32 v63, v167
	s_delay_alu instid0(VALU_DEP_4) | instskip(SKIP_2) | instid1(VALU_DEP_4)
	v_not_b32_e32 v167, v168
	v_cmp_gt_i32_e64 s18, 0, v168
	v_bitop3_b32 v62, vcc_lo, exec_lo, v62 bitop3:0x48
	v_ashrrev_i32_e32 v63, 31, v63
	s_delay_alu instid0(VALU_DEP_4) | instskip(SKIP_1) | instid1(VALU_DEP_3)
	v_dual_ashrrev_i32 v167, 31, v167 :: v_dual_lshlrev_b32 v172, 28, v170
	v_dual_lshlrev_b32 v173, 27, v170 :: v_dual_lshlrev_b32 v175, 26, v170
	v_dual_lshlrev_b32 v177, 25, v170 :: v_dual_bitop2_b32 v63, s17, v63 bitop3:0x14
	s_delay_alu instid0(VALU_DEP_3) | instskip(SKIP_1) | instid1(VALU_DEP_4)
	v_cmp_gt_i32_e64 s19, 0, v172
	v_not_b32_e32 v168, v172
	v_not_b32_e32 v172, v173
	v_xor_b32_e32 v167, s18, v167
	v_cmp_gt_i32_e64 s20, 0, v173
	v_cmp_gt_i32_e64 s21, 0, v175
	v_ashrrev_i32_e32 v168, 31, v168
	v_ashrrev_i32_e32 v172, 31, v172
	v_not_b32_e32 v173, v175
	v_not_b32_e32 v175, v177
	v_bitop3_b32 v62, v62, v167, v63 bitop3:0x80
	v_mad_u32_u24 v63, v170, 36, v23
	v_cmp_gt_i32_e64 s22, 0, v177
	s_delay_alu instid0(VALU_DEP_4)
	v_dual_ashrrev_i32 v173, 31, v173 :: v_dual_ashrrev_i32 v175, 31, v175
	v_xor_b32_e32 v172, s20, v172
	ds_load_b32 v167, v63 offset:544
	v_mul_u32_u24_e32 v63, 36, v170
	v_xor_b32_e32 v168, s19, v168
	v_xor_b32_e32 v173, s21, v173
	;; [unrolled: 1-line block ×3, first 2 shown]
	s_delay_alu instid0(VALU_DEP_4) | instskip(NEXT) | instid1(VALU_DEP_4)
	v_add_nc_u32_e32 v170, v23, v63
	v_bitop3_b32 v62, v62, v172, v168 bitop3:0x80
	; wave barrier
	s_delay_alu instid0(VALU_DEP_1) | instskip(NEXT) | instid1(VALU_DEP_1)
	v_bitop3_b32 v62, v62, v175, v173 bitop3:0x80
	v_mbcnt_lo_u32_b32 v168, v62, 0
	v_cmp_ne_u32_e64 s17, 0, v62
	s_delay_alu instid0(VALU_DEP_2) | instskip(SKIP_1) | instid1(SALU_CYCLE_1)
	v_cmp_eq_u32_e32 vcc_lo, 0, v168
	s_and_b32 s18, s17, vcc_lo
	s_and_saveexec_b32 s17, s18
	s_cbranch_execz .LBB1038_158
; %bb.157:                              ;   in Loop: Header=BB1038_108 Depth=2
	s_wait_dscnt 0x0
	v_bcnt_u32_b32 v62, v62, v167
	ds_store_b32 v170, v62 offset:544
.LBB1038_158:                           ;   in Loop: Header=BB1038_108 Depth=2
	s_or_b32 exec_lo, exec_lo, s17
	v_xor_b32_e32 v166, 0xffff8000, v166
	; wave barrier
	s_delay_alu instid0(VALU_DEP_1) | instskip(NEXT) | instid1(VALU_DEP_1)
	v_and_b32_e32 v62, 0xffff, v166
	v_lshrrev_b32_e32 v62, s43, v62
	s_delay_alu instid0(VALU_DEP_1) | instskip(NEXT) | instid1(VALU_DEP_1)
	v_and_b32_e32 v175, s48, v62
	v_lshlrev_b32_e32 v172, 30, v175
	v_bitop3_b32 v63, v62, 1, s48 bitop3:0x80
	s_delay_alu instid0(VALU_DEP_1) | instskip(NEXT) | instid1(VALU_DEP_1)
	v_add_co_u32 v62, s17, v63, -1
	v_cndmask_b32_e64 v63, 0, 1, s17
	s_delay_alu instid0(VALU_DEP_4) | instskip(NEXT) | instid1(VALU_DEP_2)
	v_cmp_gt_i32_e64 s17, 0, v172
	v_cmp_ne_u32_e32 vcc_lo, 0, v63
	v_not_b32_e32 v63, v172
	v_bitop3_b32 v62, vcc_lo, exec_lo, v62 bitop3:0x48
	s_delay_alu instid0(VALU_DEP_2) | instskip(SKIP_2) | instid1(VALU_DEP_3)
	v_ashrrev_i32_e32 v63, 31, v63
	v_dual_lshlrev_b32 v173, 29, v175 :: v_dual_lshlrev_b32 v177, 28, v175
	v_dual_lshlrev_b32 v178, 27, v175 :: v_dual_lshlrev_b32 v179, 26, v175
	v_xor_b32_e32 v63, s17, v63
	s_delay_alu instid0(VALU_DEP_3)
	v_not_b32_e32 v172, v173
	v_lshlrev_b32_e32 v180, 25, v175
	v_cmp_gt_i32_e64 s18, 0, v173
	v_cmp_gt_i32_e64 s19, 0, v177
	v_not_b32_e32 v173, v177
	v_not_b32_e32 v177, v178
	v_ashrrev_i32_e32 v172, 31, v172
	v_cmp_gt_i32_e64 s20, 0, v178
	v_cmp_gt_i32_e64 s21, 0, v179
	v_ashrrev_i32_e32 v173, 31, v173
	s_delay_alu instid0(VALU_DEP_4) | instskip(SKIP_3) | instid1(VALU_DEP_4)
	v_dual_ashrrev_i32 v177, 31, v177 :: v_dual_bitop2_b32 v172, s18, v172 bitop3:0x14
	v_not_b32_e32 v178, v179
	v_not_b32_e32 v179, v180
	v_cmp_gt_i32_e64 s22, 0, v180
	v_xor_b32_e32 v177, s20, v177
	v_bitop3_b32 v62, v62, v172, v63 bitop3:0x80
	v_mad_u32_u24 v63, v175, 36, v23
	v_dual_ashrrev_i32 v178, 31, v178 :: v_dual_ashrrev_i32 v179, 31, v179
	ds_load_b32 v172, v63 offset:544
	v_mul_u32_u24_e32 v63, 36, v175
	v_xor_b32_e32 v173, s19, v173
	v_xor_b32_e32 v178, s21, v178
	;; [unrolled: 1-line block ×3, first 2 shown]
	s_delay_alu instid0(VALU_DEP_4) | instskip(NEXT) | instid1(VALU_DEP_4)
	v_add_nc_u32_e32 v175, v23, v63
	v_bitop3_b32 v62, v62, v177, v173 bitop3:0x80
	; wave barrier
	s_delay_alu instid0(VALU_DEP_1) | instskip(NEXT) | instid1(VALU_DEP_1)
	v_bitop3_b32 v62, v62, v179, v178 bitop3:0x80
	v_mbcnt_lo_u32_b32 v173, v62, 0
	v_cmp_ne_u32_e64 s17, 0, v62
	s_delay_alu instid0(VALU_DEP_2) | instskip(SKIP_1) | instid1(SALU_CYCLE_1)
	v_cmp_eq_u32_e32 vcc_lo, 0, v173
	s_and_b32 s18, s17, vcc_lo
	s_and_saveexec_b32 s17, s18
	s_cbranch_execz .LBB1038_160
; %bb.159:                              ;   in Loop: Header=BB1038_108 Depth=2
	s_wait_dscnt 0x0
	v_bcnt_u32_b32 v62, v62, v172
	ds_store_b32 v175, v62 offset:544
.LBB1038_160:                           ;   in Loop: Header=BB1038_108 Depth=2
	s_or_b32 exec_lo, exec_lo, s17
	v_xor_b32_e32 v171, 0xffff8000, v171
	; wave barrier
	s_delay_alu instid0(VALU_DEP_1) | instskip(NEXT) | instid1(VALU_DEP_1)
	v_and_b32_e32 v62, 0xffff, v171
	v_lshrrev_b32_e32 v62, s43, v62
	s_delay_alu instid0(VALU_DEP_1) | instskip(NEXT) | instid1(VALU_DEP_1)
	v_and_b32_e32 v179, s48, v62
	v_lshlrev_b32_e32 v177, 30, v179
	v_bitop3_b32 v63, v62, 1, s48 bitop3:0x80
	s_delay_alu instid0(VALU_DEP_1) | instskip(NEXT) | instid1(VALU_DEP_1)
	v_add_co_u32 v62, s17, v63, -1
	v_cndmask_b32_e64 v63, 0, 1, s17
	s_delay_alu instid0(VALU_DEP_4) | instskip(NEXT) | instid1(VALU_DEP_2)
	v_cmp_gt_i32_e64 s17, 0, v177
	v_cmp_ne_u32_e32 vcc_lo, 0, v63
	v_not_b32_e32 v63, v177
	v_bitop3_b32 v62, vcc_lo, exec_lo, v62 bitop3:0x48
	s_delay_alu instid0(VALU_DEP_2) | instskip(SKIP_2) | instid1(VALU_DEP_2)
	v_ashrrev_i32_e32 v63, 31, v63
	v_dual_lshlrev_b32 v178, 29, v179 :: v_dual_lshlrev_b32 v180, 28, v179
	v_dual_lshlrev_b32 v181, 27, v179 :: v_dual_lshlrev_b32 v182, 26, v179
	v_not_b32_e32 v177, v178
	v_lshlrev_b32_e32 v183, 25, v179
	v_cmp_gt_i32_e64 s18, 0, v178
	v_cmp_gt_i32_e64 s19, 0, v180
	v_not_b32_e32 v178, v180
	v_ashrrev_i32_e32 v177, 31, v177
	v_cmp_gt_i32_e64 s20, 0, v181
	v_not_b32_e32 v180, v181
	v_cmp_gt_i32_e64 s21, 0, v182
	v_not_b32_e32 v181, v182
	v_not_b32_e32 v182, v183
	v_xor_b32_e32 v63, s17, v63
	v_dual_ashrrev_i32 v178, 31, v178 :: v_dual_bitop2_b32 v177, s18, v177 bitop3:0x14
	s_delay_alu instid0(VALU_DEP_4) | instskip(NEXT) | instid1(VALU_DEP_4)
	v_dual_ashrrev_i32 v180, 31, v180 :: v_dual_ashrrev_i32 v181, 31, v181
	v_ashrrev_i32_e32 v182, 31, v182
	s_delay_alu instid0(VALU_DEP_3)
	v_bitop3_b32 v62, v62, v177, v63 bitop3:0x80
	v_mad_u32_u24 v63, v179, 36, v23
	v_cmp_gt_i32_e64 s22, 0, v183
	v_xor_b32_e32 v180, s20, v180
	v_xor_b32_e32 v181, s21, v181
	ds_load_b32 v177, v63 offset:544
	v_mul_u32_u24_e32 v63, 36, v179
	v_xor_b32_e32 v178, s19, v178
	v_xor_b32_e32 v182, s22, v182
	; wave barrier
	s_delay_alu instid0(VALU_DEP_3) | instskip(NEXT) | instid1(VALU_DEP_3)
	v_add_nc_u32_e32 v179, v23, v63
	v_bitop3_b32 v62, v62, v180, v178 bitop3:0x80
	s_delay_alu instid0(VALU_DEP_1) | instskip(NEXT) | instid1(VALU_DEP_1)
	v_bitop3_b32 v62, v62, v182, v181 bitop3:0x80
	v_mbcnt_lo_u32_b32 v178, v62, 0
	v_cmp_ne_u32_e64 s17, 0, v62
	s_delay_alu instid0(VALU_DEP_2) | instskip(SKIP_1) | instid1(SALU_CYCLE_1)
	v_cmp_eq_u32_e32 vcc_lo, 0, v178
	s_and_b32 s18, s17, vcc_lo
	s_and_saveexec_b32 s17, s18
	s_cbranch_execz .LBB1038_162
; %bb.161:                              ;   in Loop: Header=BB1038_108 Depth=2
	s_wait_dscnt 0x0
	v_bcnt_u32_b32 v62, v62, v177
	ds_store_b32 v179, v62 offset:544
.LBB1038_162:                           ;   in Loop: Header=BB1038_108 Depth=2
	s_or_b32 exec_lo, exec_lo, s17
	v_xor_b32_e32 v176, 0xffff8000, v176
	; wave barrier
	s_delay_alu instid0(VALU_DEP_1) | instskip(NEXT) | instid1(VALU_DEP_1)
	v_and_b32_e32 v62, 0xffff, v176
	v_lshrrev_b32_e32 v62, s43, v62
	s_delay_alu instid0(VALU_DEP_1) | instskip(SKIP_1) | instid1(VALU_DEP_2)
	v_bitop3_b32 v63, v62, 1, s48 bitop3:0x80
	v_and_b32_e32 v182, s48, v62
	v_add_co_u32 v62, s17, v63, -1
	s_delay_alu instid0(VALU_DEP_1) | instskip(NEXT) | instid1(VALU_DEP_3)
	v_cndmask_b32_e64 v63, 0, 1, s17
	v_dual_lshlrev_b32 v180, 30, v182 :: v_dual_lshlrev_b32 v181, 29, v182
	s_delay_alu instid0(VALU_DEP_2) | instskip(NEXT) | instid1(VALU_DEP_2)
	v_cmp_ne_u32_e32 vcc_lo, 0, v63
	v_cmp_gt_i32_e64 s17, 0, v180
	v_not_b32_e32 v63, v180
	s_delay_alu instid0(VALU_DEP_4) | instskip(SKIP_2) | instid1(VALU_DEP_3)
	v_not_b32_e32 v180, v181
	v_cmp_gt_i32_e64 s18, 0, v181
	v_bitop3_b32 v62, vcc_lo, exec_lo, v62 bitop3:0x48
	v_dual_ashrrev_i32 v63, 31, v63 :: v_dual_ashrrev_i32 v180, 31, v180
	v_dual_lshlrev_b32 v183, 28, v182 :: v_dual_lshlrev_b32 v184, 27, v182
	v_dual_lshlrev_b32 v185, 26, v182 :: v_dual_lshlrev_b32 v186, 25, v182
	s_delay_alu instid0(VALU_DEP_2) | instskip(SKIP_1) | instid1(VALU_DEP_4)
	v_cmp_gt_i32_e64 s19, 0, v183
	v_not_b32_e32 v181, v183
	v_cmp_gt_i32_e64 s20, 0, v184
	v_not_b32_e32 v183, v184
	;; [unrolled: 2-line block ×3, first 2 shown]
	v_not_b32_e32 v185, v186
	v_xor_b32_e32 v63, s17, v63
	v_dual_ashrrev_i32 v181, 31, v181 :: v_dual_bitop2_b32 v180, s18, v180 bitop3:0x14
	s_delay_alu instid0(VALU_DEP_4) | instskip(NEXT) | instid1(VALU_DEP_4)
	v_dual_ashrrev_i32 v183, 31, v183 :: v_dual_ashrrev_i32 v184, 31, v184
	v_ashrrev_i32_e32 v185, 31, v185
	s_delay_alu instid0(VALU_DEP_3)
	v_bitop3_b32 v62, v62, v180, v63 bitop3:0x80
	v_mad_u32_u24 v63, v182, 36, v23
	v_cmp_gt_i32_e64 s22, 0, v186
	v_xor_b32_e32 v183, s20, v183
	v_xor_b32_e32 v184, s21, v184
	ds_load_b32 v180, v63 offset:544
	v_mul_u32_u24_e32 v63, 36, v182
	v_xor_b32_e32 v181, s19, v181
	v_xor_b32_e32 v185, s22, v185
	; wave barrier
	s_delay_alu instid0(VALU_DEP_3) | instskip(NEXT) | instid1(VALU_DEP_3)
	v_add_nc_u32_e32 v182, v23, v63
	v_bitop3_b32 v62, v62, v183, v181 bitop3:0x80
	s_delay_alu instid0(VALU_DEP_1) | instskip(NEXT) | instid1(VALU_DEP_1)
	v_bitop3_b32 v62, v62, v185, v184 bitop3:0x80
	v_mbcnt_lo_u32_b32 v181, v62, 0
	v_cmp_ne_u32_e64 s17, 0, v62
	s_delay_alu instid0(VALU_DEP_2) | instskip(SKIP_1) | instid1(SALU_CYCLE_1)
	v_cmp_eq_u32_e32 vcc_lo, 0, v181
	s_and_b32 s18, s17, vcc_lo
	s_and_saveexec_b32 s17, s18
	s_cbranch_execz .LBB1038_164
; %bb.163:                              ;   in Loop: Header=BB1038_108 Depth=2
	s_wait_dscnt 0x0
	v_bcnt_u32_b32 v62, v62, v180
	ds_store_b32 v182, v62 offset:544
.LBB1038_164:                           ;   in Loop: Header=BB1038_108 Depth=2
	s_or_b32 exec_lo, exec_lo, s17
	v_xor_b32_e32 v174, 0xffff8000, v174
	; wave barrier
	s_delay_alu instid0(VALU_DEP_1) | instskip(NEXT) | instid1(VALU_DEP_1)
	v_and_b32_e32 v62, 0xffff, v174
	v_lshrrev_b32_e32 v62, s43, v62
	s_delay_alu instid0(VALU_DEP_1) | instskip(NEXT) | instid1(VALU_DEP_1)
	v_and_b32_e32 v185, s48, v62
	v_lshlrev_b32_e32 v183, 30, v185
	v_bitop3_b32 v63, v62, 1, s48 bitop3:0x80
	s_delay_alu instid0(VALU_DEP_1) | instskip(NEXT) | instid1(VALU_DEP_1)
	v_add_co_u32 v62, s17, v63, -1
	v_cndmask_b32_e64 v63, 0, 1, s17
	s_delay_alu instid0(VALU_DEP_4) | instskip(NEXT) | instid1(VALU_DEP_2)
	v_cmp_gt_i32_e64 s17, 0, v183
	v_cmp_ne_u32_e32 vcc_lo, 0, v63
	v_not_b32_e32 v63, v183
	v_bitop3_b32 v62, vcc_lo, exec_lo, v62 bitop3:0x48
	s_delay_alu instid0(VALU_DEP_2) | instskip(SKIP_2) | instid1(VALU_DEP_3)
	v_dual_ashrrev_i32 v63, 31, v63 :: v_dual_lshlrev_b32 v184, 29, v185
	v_dual_lshlrev_b32 v186, 28, v185 :: v_dual_lshlrev_b32 v187, 27, v185
	v_lshlrev_b32_e32 v188, 26, v185
	v_not_b32_e32 v183, v184
	v_lshlrev_b32_e32 v189, 25, v185
	v_cmp_gt_i32_e64 s18, 0, v184
	v_cmp_gt_i32_e64 s19, 0, v186
	v_not_b32_e32 v184, v186
	v_ashrrev_i32_e32 v183, 31, v183
	v_cmp_gt_i32_e64 s20, 0, v187
	v_not_b32_e32 v186, v187
	v_cmp_gt_i32_e64 s21, 0, v188
	v_not_b32_e32 v187, v188
	v_not_b32_e32 v188, v189
	v_xor_b32_e32 v63, s17, v63
	v_dual_ashrrev_i32 v184, 31, v184 :: v_dual_bitop2_b32 v183, s18, v183 bitop3:0x14
	s_delay_alu instid0(VALU_DEP_3) | instskip(SKIP_1) | instid1(VALU_DEP_3)
	v_dual_ashrrev_i32 v186, 31, v186 :: v_dual_ashrrev_i32 v188, 31, v188
	v_cmp_gt_i32_e64 s22, 0, v189
	v_bitop3_b32 v62, v62, v183, v63 bitop3:0x80
	v_mad_u32_u24 v63, v185, 36, v23
	v_dual_ashrrev_i32 v187, 31, v187 :: v_dual_bitop2_b32 v184, s19, v184 bitop3:0x14
	s_delay_alu instid0(VALU_DEP_4) | instskip(SKIP_4) | instid1(VALU_DEP_3)
	v_xor_b32_e32 v188, s22, v188
	ds_load_b32 v183, v63 offset:544
	v_mul_u32_u24_e32 v63, 36, v185
	v_xor_b32_e32 v186, s20, v186
	v_xor_b32_e32 v187, s21, v187
	; wave barrier
	v_add_nc_u32_e32 v185, v23, v63
	s_delay_alu instid0(VALU_DEP_3) | instskip(NEXT) | instid1(VALU_DEP_1)
	v_bitop3_b32 v62, v62, v186, v184 bitop3:0x80
	v_bitop3_b32 v62, v62, v188, v187 bitop3:0x80
	s_delay_alu instid0(VALU_DEP_1) | instskip(SKIP_1) | instid1(VALU_DEP_2)
	v_mbcnt_lo_u32_b32 v184, v62, 0
	v_cmp_ne_u32_e64 s17, 0, v62
	v_cmp_eq_u32_e32 vcc_lo, 0, v184
	s_and_b32 s18, s17, vcc_lo
	s_delay_alu instid0(SALU_CYCLE_1)
	s_and_saveexec_b32 s17, s18
	s_cbranch_execz .LBB1038_166
; %bb.165:                              ;   in Loop: Header=BB1038_108 Depth=2
	s_wait_dscnt 0x0
	v_bcnt_u32_b32 v62, v62, v183
	ds_store_b32 v185, v62 offset:544
.LBB1038_166:                           ;   in Loop: Header=BB1038_108 Depth=2
	s_or_b32 exec_lo, exec_lo, s17
	v_xor_b32_e32 v169, 0xffff8000, v169
	; wave barrier
	s_delay_alu instid0(VALU_DEP_1) | instskip(NEXT) | instid1(VALU_DEP_1)
	v_and_b32_e32 v62, 0xffff, v169
	v_lshrrev_b32_e32 v62, s43, v62
	s_delay_alu instid0(VALU_DEP_1) | instskip(SKIP_1) | instid1(VALU_DEP_2)
	v_bitop3_b32 v63, v62, 1, s48 bitop3:0x80
	v_and_b32_e32 v186, s48, v62
	v_add_co_u32 v62, s17, v63, -1
	s_delay_alu instid0(VALU_DEP_1) | instskip(NEXT) | instid1(VALU_DEP_3)
	v_cndmask_b32_e64 v63, 0, 1, s17
	v_dual_lshlrev_b32 v187, 30, v186 :: v_dual_lshlrev_b32 v188, 29, v186
	s_delay_alu instid0(VALU_DEP_2) | instskip(NEXT) | instid1(VALU_DEP_2)
	v_cmp_ne_u32_e32 vcc_lo, 0, v63
	v_cmp_gt_i32_e64 s17, 0, v187
	v_not_b32_e32 v63, v187
	s_delay_alu instid0(VALU_DEP_4) | instskip(SKIP_2) | instid1(VALU_DEP_4)
	v_not_b32_e32 v187, v188
	v_cmp_gt_i32_e64 s18, 0, v188
	v_bitop3_b32 v62, vcc_lo, exec_lo, v62 bitop3:0x48
	v_ashrrev_i32_e32 v63, 31, v63
	s_delay_alu instid0(VALU_DEP_4) | instskip(SKIP_1) | instid1(VALU_DEP_2)
	v_dual_ashrrev_i32 v187, 31, v187 :: v_dual_lshlrev_b32 v189, 28, v186
	v_dual_lshlrev_b32 v190, 27, v186 :: v_dual_lshlrev_b32 v191, 26, v186
	v_dual_lshlrev_b32 v192, 25, v186 :: v_dual_bitop2_b32 v187, s18, v187 bitop3:0x14
	s_delay_alu instid0(VALU_DEP_3) | instskip(SKIP_1) | instid1(VALU_DEP_4)
	v_cmp_gt_i32_e64 s19, 0, v189
	v_not_b32_e32 v188, v189
	v_cmp_gt_i32_e64 s20, 0, v190
	v_not_b32_e32 v189, v190
	v_not_b32_e32 v190, v191
	v_xor_b32_e32 v63, s17, v63
	v_cmp_gt_i32_e64 s21, 0, v191
	v_not_b32_e32 v191, v192
	v_dual_ashrrev_i32 v188, 31, v188 :: v_dual_ashrrev_i32 v189, 31, v189
	v_ashrrev_i32_e32 v190, 31, v190
	v_bitop3_b32 v62, v62, v187, v63 bitop3:0x80
	v_mad_u32_u24 v63, v186, 36, v23
	v_cmp_gt_i32_e64 s22, 0, v192
	v_dual_ashrrev_i32 v191, 31, v191 :: v_dual_bitop2_b32 v188, s19, v188 bitop3:0x14
	v_xor_b32_e32 v190, s21, v190
	ds_load_b32 v187, v63 offset:544
	v_mul_u32_u24_e32 v63, 36, v186
	v_xor_b32_e32 v189, s20, v189
	v_xor_b32_e32 v191, s22, v191
	; wave barrier
	s_delay_alu instid0(VALU_DEP_2) | instskip(NEXT) | instid1(VALU_DEP_1)
	v_bitop3_b32 v62, v62, v189, v188 bitop3:0x80
	v_bitop3_b32 v62, v62, v191, v190 bitop3:0x80
	v_add_nc_u32_e32 v190, v23, v63
	s_delay_alu instid0(VALU_DEP_2) | instskip(SKIP_1) | instid1(VALU_DEP_2)
	v_mbcnt_lo_u32_b32 v188, v62, 0
	v_cmp_ne_u32_e64 s17, 0, v62
	v_cmp_eq_u32_e32 vcc_lo, 0, v188
	s_and_b32 s18, s17, vcc_lo
	s_delay_alu instid0(SALU_CYCLE_1)
	s_and_saveexec_b32 s17, s18
	s_cbranch_execz .LBB1038_168
; %bb.167:                              ;   in Loop: Header=BB1038_108 Depth=2
	s_wait_dscnt 0x0
	v_bcnt_u32_b32 v62, v62, v187
	ds_store_b32 v190, v62 offset:544
.LBB1038_168:                           ;   in Loop: Header=BB1038_108 Depth=2
	s_or_b32 exec_lo, exec_lo, s17
	v_xor_b32_e32 v186, 0xffff8000, v164
	; wave barrier
	s_delay_alu instid0(VALU_DEP_1) | instskip(NEXT) | instid1(VALU_DEP_1)
	v_and_b32_e32 v62, 0xffff, v186
	v_lshrrev_b32_e32 v62, s43, v62
	s_delay_alu instid0(VALU_DEP_1) | instskip(NEXT) | instid1(VALU_DEP_1)
	v_and_b32_e32 v164, s48, v62
	v_lshlrev_b32_e32 v189, 30, v164
	v_bitop3_b32 v63, v62, 1, s48 bitop3:0x80
	s_delay_alu instid0(VALU_DEP_1) | instskip(NEXT) | instid1(VALU_DEP_1)
	v_add_co_u32 v62, s17, v63, -1
	v_cndmask_b32_e64 v63, 0, 1, s17
	s_delay_alu instid0(VALU_DEP_4) | instskip(NEXT) | instid1(VALU_DEP_2)
	v_cmp_gt_i32_e64 s17, 0, v189
	v_cmp_ne_u32_e32 vcc_lo, 0, v63
	v_not_b32_e32 v63, v189
	v_bitop3_b32 v62, vcc_lo, exec_lo, v62 bitop3:0x48
	s_delay_alu instid0(VALU_DEP_2) | instskip(SKIP_2) | instid1(VALU_DEP_3)
	v_dual_ashrrev_i32 v63, 31, v63 :: v_dual_lshlrev_b32 v191, 29, v164
	v_dual_lshlrev_b32 v192, 28, v164 :: v_dual_lshlrev_b32 v193, 27, v164
	v_lshlrev_b32_e32 v194, 26, v164
	v_not_b32_e32 v189, v191
	v_lshlrev_b32_e32 v195, 25, v164
	v_cmp_gt_i32_e64 s18, 0, v191
	v_cmp_gt_i32_e64 s19, 0, v192
	v_not_b32_e32 v191, v192
	v_not_b32_e32 v192, v193
	v_ashrrev_i32_e32 v189, 31, v189
	v_cmp_gt_i32_e64 s20, 0, v193
	v_cmp_gt_i32_e64 s21, 0, v194
	v_not_b32_e32 v193, v194
	v_not_b32_e32 v194, v195
	v_dual_ashrrev_i32 v191, 31, v191 :: v_dual_ashrrev_i32 v192, 31, v192
	s_delay_alu instid0(VALU_DEP_3) | instskip(NEXT) | instid1(VALU_DEP_3)
	v_dual_ashrrev_i32 v193, 31, v193 :: v_dual_bitop2_b32 v63, s17, v63 bitop3:0x14
	v_dual_ashrrev_i32 v194, 31, v194 :: v_dual_bitop2_b32 v189, s18, v189 bitop3:0x14
	v_cmp_gt_i32_e64 s22, 0, v195
	s_delay_alu instid0(VALU_DEP_4) | instskip(SKIP_1) | instid1(VALU_DEP_4)
	v_xor_b32_e32 v191, s19, v191
	v_xor_b32_e32 v192, s20, v192
	v_bitop3_b32 v62, v62, v189, v63 bitop3:0x80
	v_mad_u32_u24 v63, v164, 36, v23
	v_xor_b32_e32 v189, s21, v193
	v_xor_b32_e32 v193, s22, v194
	s_delay_alu instid0(VALU_DEP_4) | instskip(SKIP_3) | instid1(VALU_DEP_2)
	v_bitop3_b32 v62, v62, v192, v191 bitop3:0x80
	ds_load_b32 v191, v63 offset:544
	v_mul_u32_u24_e32 v63, 36, v164
	; wave barrier
	v_bitop3_b32 v62, v62, v193, v189 bitop3:0x80
	v_add_nc_u32_e32 v164, v23, v63
	s_delay_alu instid0(VALU_DEP_2) | instskip(SKIP_1) | instid1(VALU_DEP_2)
	v_mbcnt_lo_u32_b32 v192, v62, 0
	v_cmp_ne_u32_e64 s17, 0, v62
	v_cmp_eq_u32_e32 vcc_lo, 0, v192
	s_and_b32 s18, s17, vcc_lo
	s_delay_alu instid0(SALU_CYCLE_1)
	s_and_saveexec_b32 s17, s18
	s_cbranch_execz .LBB1038_170
; %bb.169:                              ;   in Loop: Header=BB1038_108 Depth=2
	s_wait_dscnt 0x0
	v_bcnt_u32_b32 v62, v62, v191
	ds_store_b32 v164, v62 offset:544
.LBB1038_170:                           ;   in Loop: Header=BB1038_108 Depth=2
	s_or_b32 exec_lo, exec_lo, s17
	v_xor_b32_e32 v189, 0xffff8000, v161
	; wave barrier
	s_delay_alu instid0(VALU_DEP_1) | instskip(NEXT) | instid1(VALU_DEP_1)
	v_and_b32_e32 v62, 0xffff, v189
	v_lshrrev_b32_e32 v62, s43, v62
	s_delay_alu instid0(VALU_DEP_1) | instskip(NEXT) | instid1(VALU_DEP_1)
	v_and_b32_e32 v161, s48, v62
	v_lshlrev_b32_e32 v193, 30, v161
	v_bitop3_b32 v63, v62, 1, s48 bitop3:0x80
	s_delay_alu instid0(VALU_DEP_1) | instskip(NEXT) | instid1(VALU_DEP_1)
	v_add_co_u32 v62, s17, v63, -1
	v_cndmask_b32_e64 v63, 0, 1, s17
	s_delay_alu instid0(VALU_DEP_4) | instskip(NEXT) | instid1(VALU_DEP_2)
	v_cmp_gt_i32_e64 s17, 0, v193
	v_cmp_ne_u32_e32 vcc_lo, 0, v63
	v_not_b32_e32 v63, v193
	v_bitop3_b32 v62, vcc_lo, exec_lo, v62 bitop3:0x48
	s_delay_alu instid0(VALU_DEP_2) | instskip(SKIP_2) | instid1(VALU_DEP_3)
	v_dual_ashrrev_i32 v63, 31, v63 :: v_dual_lshlrev_b32 v194, 29, v161
	v_dual_lshlrev_b32 v195, 28, v161 :: v_dual_lshlrev_b32 v196, 27, v161
	v_lshlrev_b32_e32 v197, 26, v161
	v_not_b32_e32 v193, v194
	v_cmp_gt_i32_e64 s18, 0, v194
	s_delay_alu instid0(VALU_DEP_4)
	v_cmp_gt_i32_e64 s19, 0, v195
	v_not_b32_e32 v194, v195
	v_lshlrev_b32_e32 v198, 25, v161
	v_not_b32_e32 v195, v196
	v_ashrrev_i32_e32 v193, 31, v193
	v_cmp_gt_i32_e64 s20, 0, v196
	v_cmp_gt_i32_e64 s21, 0, v197
	v_not_b32_e32 v196, v197
	v_ashrrev_i32_e32 v194, 31, v194
	v_not_b32_e32 v197, v198
	v_ashrrev_i32_e32 v195, 31, v195
	s_delay_alu instid0(VALU_DEP_4) | instskip(SKIP_4) | instid1(VALU_DEP_4)
	v_dual_ashrrev_i32 v196, 31, v196 :: v_dual_bitop2_b32 v63, s17, v63 bitop3:0x14
	v_xor_b32_e32 v193, s18, v193
	v_cmp_gt_i32_e64 s22, 0, v198
	v_dual_ashrrev_i32 v197, 31, v197 :: v_dual_bitop2_b32 v194, s19, v194 bitop3:0x14
	v_xor_b32_e32 v195, s20, v195
	v_bitop3_b32 v62, v62, v193, v63 bitop3:0x80
	v_mad_u32_u24 v63, v161, 36, v23
	v_xor_b32_e32 v193, s21, v196
	v_xor_b32_e32 v196, s22, v197
	s_delay_alu instid0(VALU_DEP_4) | instskip(SKIP_3) | instid1(VALU_DEP_2)
	v_bitop3_b32 v62, v62, v195, v194 bitop3:0x80
	ds_load_b32 v194, v63 offset:544
	v_mul_u32_u24_e32 v63, 36, v161
	; wave barrier
	v_bitop3_b32 v62, v62, v196, v193 bitop3:0x80
	v_add_nc_u32_e32 v161, v23, v63
	s_delay_alu instid0(VALU_DEP_2) | instskip(SKIP_1) | instid1(VALU_DEP_2)
	v_mbcnt_lo_u32_b32 v195, v62, 0
	v_cmp_ne_u32_e64 s17, 0, v62
	v_cmp_eq_u32_e32 vcc_lo, 0, v195
	s_and_b32 s18, s17, vcc_lo
	s_delay_alu instid0(SALU_CYCLE_1)
	s_and_saveexec_b32 s17, s18
	s_cbranch_execz .LBB1038_172
; %bb.171:                              ;   in Loop: Header=BB1038_108 Depth=2
	s_wait_dscnt 0x0
	v_bcnt_u32_b32 v62, v62, v194
	ds_store_b32 v161, v62 offset:544
.LBB1038_172:                           ;   in Loop: Header=BB1038_108 Depth=2
	s_or_b32 exec_lo, exec_lo, s17
	v_xor_b32_e32 v193, 0xffff8000, v156
	; wave barrier
	s_delay_alu instid0(VALU_DEP_1) | instskip(NEXT) | instid1(VALU_DEP_1)
	v_and_b32_e32 v62, 0xffff, v193
	v_lshrrev_b32_e32 v62, s43, v62
	s_delay_alu instid0(VALU_DEP_1) | instskip(NEXT) | instid1(VALU_DEP_1)
	v_and_b32_e32 v156, s48, v62
	v_lshlrev_b32_e32 v196, 30, v156
	v_bitop3_b32 v63, v62, 1, s48 bitop3:0x80
	s_delay_alu instid0(VALU_DEP_1) | instskip(NEXT) | instid1(VALU_DEP_1)
	v_add_co_u32 v62, s17, v63, -1
	v_cndmask_b32_e64 v63, 0, 1, s17
	s_delay_alu instid0(VALU_DEP_4) | instskip(NEXT) | instid1(VALU_DEP_2)
	v_cmp_gt_i32_e64 s17, 0, v196
	v_cmp_ne_u32_e32 vcc_lo, 0, v63
	v_not_b32_e32 v63, v196
	v_bitop3_b32 v62, vcc_lo, exec_lo, v62 bitop3:0x48
	s_delay_alu instid0(VALU_DEP_2) | instskip(SKIP_2) | instid1(VALU_DEP_3)
	v_dual_ashrrev_i32 v63, 31, v63 :: v_dual_lshlrev_b32 v197, 29, v156
	v_dual_lshlrev_b32 v198, 28, v156 :: v_dual_lshlrev_b32 v199, 27, v156
	v_lshlrev_b32_e32 v200, 26, v156
	v_not_b32_e32 v196, v197
	v_cmp_gt_i32_e64 s18, 0, v197
	s_delay_alu instid0(VALU_DEP_4)
	v_cmp_gt_i32_e64 s19, 0, v198
	v_not_b32_e32 v197, v198
	v_lshlrev_b32_e32 v201, 25, v156
	v_not_b32_e32 v198, v199
	v_ashrrev_i32_e32 v196, 31, v196
	v_cmp_gt_i32_e64 s20, 0, v199
	v_cmp_gt_i32_e64 s21, 0, v200
	v_not_b32_e32 v199, v200
	v_ashrrev_i32_e32 v197, 31, v197
	v_not_b32_e32 v200, v201
	v_dual_ashrrev_i32 v198, 31, v198 :: v_dual_bitop2_b32 v63, s17, v63 bitop3:0x14
	s_delay_alu instid0(VALU_DEP_4) | instskip(SKIP_1) | instid1(VALU_DEP_4)
	v_dual_ashrrev_i32 v199, 31, v199 :: v_dual_bitop2_b32 v196, s18, v196 bitop3:0x14
	v_cmp_gt_i32_e64 s22, 0, v201
	v_dual_ashrrev_i32 v200, 31, v200 :: v_dual_bitop2_b32 v197, s19, v197 bitop3:0x14
	s_delay_alu instid0(VALU_DEP_4) | instskip(NEXT) | instid1(VALU_DEP_4)
	v_xor_b32_e32 v198, s20, v198
	v_bitop3_b32 v62, v62, v196, v63 bitop3:0x80
	v_mad_u32_u24 v63, v156, 36, v23
	v_xor_b32_e32 v196, s21, v199
	v_xor_b32_e32 v199, s22, v200
	s_delay_alu instid0(VALU_DEP_4) | instskip(SKIP_3) | instid1(VALU_DEP_2)
	v_bitop3_b32 v62, v62, v198, v197 bitop3:0x80
	ds_load_b32 v197, v63 offset:544
	v_mul_u32_u24_e32 v63, 36, v156
	; wave barrier
	v_bitop3_b32 v62, v62, v199, v196 bitop3:0x80
	v_add_nc_u32_e32 v156, v23, v63
	s_delay_alu instid0(VALU_DEP_2) | instskip(SKIP_1) | instid1(VALU_DEP_2)
	v_mbcnt_lo_u32_b32 v198, v62, 0
	v_cmp_ne_u32_e64 s17, 0, v62
	v_cmp_eq_u32_e32 vcc_lo, 0, v198
	s_and_b32 s18, s17, vcc_lo
	s_delay_alu instid0(SALU_CYCLE_1)
	s_and_saveexec_b32 s17, s18
	s_cbranch_execz .LBB1038_174
; %bb.173:                              ;   in Loop: Header=BB1038_108 Depth=2
	s_wait_dscnt 0x0
	v_bcnt_u32_b32 v62, v62, v197
	ds_store_b32 v156, v62 offset:544
.LBB1038_174:                           ;   in Loop: Header=BB1038_108 Depth=2
	s_or_b32 exec_lo, exec_lo, s17
	v_xor_b32_e32 v196, 0xffff8000, v65
	; wave barrier
	s_delay_alu instid0(VALU_DEP_1) | instskip(NEXT) | instid1(VALU_DEP_1)
	v_and_b32_e32 v62, 0xffff, v196
	v_lshrrev_b32_e32 v62, s43, v62
	s_delay_alu instid0(VALU_DEP_1) | instskip(NEXT) | instid1(VALU_DEP_1)
	v_and_b32_e32 v65, s48, v62
	v_lshlrev_b32_e32 v199, 30, v65
	v_bitop3_b32 v63, v62, 1, s48 bitop3:0x80
	s_delay_alu instid0(VALU_DEP_1) | instskip(NEXT) | instid1(VALU_DEP_1)
	v_add_co_u32 v62, s17, v63, -1
	v_cndmask_b32_e64 v63, 0, 1, s17
	s_delay_alu instid0(VALU_DEP_4) | instskip(NEXT) | instid1(VALU_DEP_2)
	v_cmp_gt_i32_e64 s17, 0, v199
	v_cmp_ne_u32_e32 vcc_lo, 0, v63
	v_not_b32_e32 v63, v199
	v_bitop3_b32 v62, vcc_lo, exec_lo, v62 bitop3:0x48
	s_delay_alu instid0(VALU_DEP_2) | instskip(SKIP_2) | instid1(VALU_DEP_3)
	v_dual_ashrrev_i32 v63, 31, v63 :: v_dual_lshlrev_b32 v200, 29, v65
	v_dual_lshlrev_b32 v201, 28, v65 :: v_dual_lshlrev_b32 v202, 27, v65
	v_lshlrev_b32_e32 v203, 26, v65
	v_not_b32_e32 v199, v200
	v_lshlrev_b32_e32 v204, 25, v65
	v_cmp_gt_i32_e64 s18, 0, v200
	v_cmp_gt_i32_e64 s19, 0, v201
	v_not_b32_e32 v200, v201
	v_not_b32_e32 v201, v202
	v_ashrrev_i32_e32 v199, 31, v199
	v_cmp_gt_i32_e64 s20, 0, v202
	v_cmp_gt_i32_e64 s21, 0, v203
	v_not_b32_e32 v202, v203
	v_not_b32_e32 v203, v204
	v_dual_ashrrev_i32 v200, 31, v200 :: v_dual_ashrrev_i32 v201, 31, v201
	s_delay_alu instid0(VALU_DEP_3) | instskip(SKIP_2) | instid1(VALU_DEP_4)
	v_dual_ashrrev_i32 v202, 31, v202 :: v_dual_bitop2_b32 v63, s17, v63 bitop3:0x14
	v_xor_b32_e32 v199, s18, v199
	v_cmp_gt_i32_e64 s22, 0, v204
	v_dual_ashrrev_i32 v203, 31, v203 :: v_dual_bitop2_b32 v200, s19, v200 bitop3:0x14
	v_xor_b32_e32 v201, s20, v201
	s_delay_alu instid0(VALU_DEP_4) | instskip(SKIP_3) | instid1(VALU_DEP_4)
	v_bitop3_b32 v62, v62, v199, v63 bitop3:0x80
	v_mad_u32_u24 v63, v65, 36, v23
	v_xor_b32_e32 v199, s21, v202
	v_xor_b32_e32 v202, s22, v203
	v_bitop3_b32 v62, v62, v201, v200 bitop3:0x80
	ds_load_b32 v200, v63 offset:544
	v_mul_u32_u24_e32 v63, 36, v65
	; wave barrier
	v_bitop3_b32 v62, v62, v202, v199 bitop3:0x80
	s_delay_alu instid0(VALU_DEP_2) | instskip(NEXT) | instid1(VALU_DEP_2)
	v_add_nc_u32_e32 v202, v23, v63
	v_mbcnt_lo_u32_b32 v201, v62, 0
	v_cmp_ne_u32_e64 s17, 0, v62
	s_delay_alu instid0(VALU_DEP_2) | instskip(SKIP_1) | instid1(SALU_CYCLE_1)
	v_cmp_eq_u32_e32 vcc_lo, 0, v201
	s_and_b32 s18, s17, vcc_lo
	s_and_saveexec_b32 s17, s18
	s_cbranch_execz .LBB1038_176
; %bb.175:                              ;   in Loop: Header=BB1038_108 Depth=2
	s_wait_dscnt 0x0
	v_bcnt_u32_b32 v62, v62, v200
	ds_store_b32 v202, v62 offset:544
.LBB1038_176:                           ;   in Loop: Header=BB1038_108 Depth=2
	s_or_b32 exec_lo, exec_lo, s17
	v_xor_b32_e32 v199, 0xffff8000, v64
	; wave barrier
	s_delay_alu instid0(VALU_DEP_1) | instskip(NEXT) | instid1(VALU_DEP_1)
	v_and_b32_e32 v62, 0xffff, v199
	v_lshrrev_b32_e32 v62, s43, v62
	s_delay_alu instid0(VALU_DEP_1) | instskip(NEXT) | instid1(VALU_DEP_1)
	v_and_b32_e32 v64, s48, v62
	v_lshlrev_b32_e32 v65, 30, v64
	v_bitop3_b32 v63, v62, 1, s48 bitop3:0x80
	s_delay_alu instid0(VALU_DEP_1) | instskip(NEXT) | instid1(VALU_DEP_1)
	v_add_co_u32 v62, s17, v63, -1
	v_cndmask_b32_e64 v63, 0, 1, s17
	s_delay_alu instid0(VALU_DEP_4) | instskip(NEXT) | instid1(VALU_DEP_2)
	v_cmp_gt_i32_e64 s17, 0, v65
	v_cmp_ne_u32_e32 vcc_lo, 0, v63
	v_not_b32_e32 v63, v65
	v_bitop3_b32 v62, vcc_lo, exec_lo, v62 bitop3:0x48
	s_delay_alu instid0(VALU_DEP_2) | instskip(SKIP_2) | instid1(VALU_DEP_3)
	v_dual_ashrrev_i32 v63, 31, v63 :: v_dual_lshlrev_b32 v203, 29, v64
	v_dual_lshlrev_b32 v204, 28, v64 :: v_dual_lshlrev_b32 v205, 27, v64
	v_lshlrev_b32_e32 v206, 26, v64
	v_not_b32_e32 v65, v203
	v_lshlrev_b32_e32 v207, 25, v64
	v_cmp_gt_i32_e64 s18, 0, v203
	v_cmp_gt_i32_e64 s19, 0, v204
	v_not_b32_e32 v203, v204
	v_not_b32_e32 v204, v205
	v_ashrrev_i32_e32 v65, 31, v65
	v_cmp_gt_i32_e64 s20, 0, v205
	v_cmp_gt_i32_e64 s21, 0, v206
	v_not_b32_e32 v205, v206
	v_not_b32_e32 v206, v207
	v_dual_ashrrev_i32 v203, 31, v203 :: v_dual_ashrrev_i32 v204, 31, v204
	s_delay_alu instid0(VALU_DEP_3) | instskip(NEXT) | instid1(VALU_DEP_3)
	v_dual_ashrrev_i32 v205, 31, v205 :: v_dual_bitop2_b32 v63, s17, v63 bitop3:0x14
	v_dual_ashrrev_i32 v206, 31, v206 :: v_dual_bitop2_b32 v65, s18, v65 bitop3:0x14
	v_cmp_gt_i32_e64 s22, 0, v207
	s_delay_alu instid0(VALU_DEP_4) | instskip(SKIP_1) | instid1(VALU_DEP_4)
	v_xor_b32_e32 v203, s19, v203
	v_xor_b32_e32 v204, s20, v204
	v_bitop3_b32 v62, v62, v65, v63 bitop3:0x80
	v_mad_u32_u24 v63, v64, 36, v23
	v_xor_b32_e32 v65, s21, v205
	v_xor_b32_e32 v205, s22, v206
	s_delay_alu instid0(VALU_DEP_4) | instskip(SKIP_3) | instid1(VALU_DEP_2)
	v_bitop3_b32 v62, v62, v204, v203 bitop3:0x80
	ds_load_b32 v203, v63 offset:544
	v_mul_u32_u24_e32 v63, 36, v64
	; wave barrier
	v_bitop3_b32 v62, v62, v205, v65 bitop3:0x80
	v_add_nc_u32_e32 v205, v23, v63
	s_delay_alu instid0(VALU_DEP_2) | instskip(SKIP_1) | instid1(VALU_DEP_2)
	v_mbcnt_lo_u32_b32 v204, v62, 0
	v_cmp_ne_u32_e64 s17, 0, v62
	v_cmp_eq_u32_e32 vcc_lo, 0, v204
	s_and_b32 s18, s17, vcc_lo
	s_delay_alu instid0(SALU_CYCLE_1)
	s_and_saveexec_b32 s17, s18
	s_cbranch_execz .LBB1038_178
; %bb.177:                              ;   in Loop: Header=BB1038_108 Depth=2
	s_wait_dscnt 0x0
	v_bcnt_u32_b32 v62, v62, v203
	ds_store_b32 v205, v62 offset:544
.LBB1038_178:                           ;   in Loop: Header=BB1038_108 Depth=2
	s_or_b32 exec_lo, exec_lo, s17
	v_and_b32_e32 v62, 0xffff, v142
	; wave barrier
	s_delay_alu instid0(VALU_DEP_1) | instskip(NEXT) | instid1(VALU_DEP_1)
	v_lshrrev_b32_e32 v62, s43, v62
	v_and_b32_e32 v64, s48, v62
	s_delay_alu instid0(VALU_DEP_1) | instskip(SKIP_1) | instid1(VALU_DEP_1)
	v_lshlrev_b32_e32 v65, 30, v64
	v_bitop3_b32 v63, v62, 1, s48 bitop3:0x80
	v_add_co_u32 v62, s17, v63, -1
	s_delay_alu instid0(VALU_DEP_1) | instskip(NEXT) | instid1(VALU_DEP_4)
	v_cndmask_b32_e64 v63, 0, 1, s17
	v_cmp_gt_i32_e64 s17, 0, v65
	s_delay_alu instid0(VALU_DEP_2) | instskip(SKIP_2) | instid1(VALU_DEP_2)
	v_cmp_ne_u32_e32 vcc_lo, 0, v63
	v_not_b32_e32 v63, v65
	v_bitop3_b32 v62, vcc_lo, exec_lo, v62 bitop3:0x48
	v_dual_ashrrev_i32 v63, 31, v63 :: v_dual_lshlrev_b32 v206, 29, v64
	v_dual_lshlrev_b32 v207, 28, v64 :: v_dual_lshlrev_b32 v208, 27, v64
	v_lshlrev_b32_e32 v209, 26, v64
	s_delay_alu instid0(VALU_DEP_3)
	v_not_b32_e32 v65, v206
	v_lshlrev_b32_e32 v210, 25, v64
	v_cmp_gt_i32_e64 s18, 0, v206
	v_cmp_gt_i32_e64 s19, 0, v207
	v_not_b32_e32 v206, v207
	v_not_b32_e32 v207, v208
	v_ashrrev_i32_e32 v65, 31, v65
	v_cmp_gt_i32_e64 s20, 0, v208
	v_cmp_gt_i32_e64 s21, 0, v209
	v_not_b32_e32 v208, v209
	v_dual_ashrrev_i32 v206, 31, v206 :: v_dual_ashrrev_i32 v207, 31, v207
	v_xor_b32_e32 v63, s17, v63
	v_xor_b32_e32 v65, s18, v65
	v_not_b32_e32 v209, v210
	s_delay_alu instid0(VALU_DEP_4) | instskip(SKIP_1) | instid1(VALU_DEP_4)
	v_dual_ashrrev_i32 v208, 31, v208 :: v_dual_bitop2_b32 v206, s19, v206 bitop3:0x14
	v_xor_b32_e32 v207, s20, v207
	v_bitop3_b32 v62, v62, v65, v63 bitop3:0x80
	v_cmp_gt_i32_e32 vcc_lo, 0, v210
	v_ashrrev_i32_e32 v63, 31, v209
	v_mad_u32_u24 v65, v64, 36, v23
	v_xor_b32_e32 v208, s21, v208
	v_bitop3_b32 v62, v62, v207, v206 bitop3:0x80
	s_delay_alu instid0(VALU_DEP_4) | instskip(SKIP_3) | instid1(VALU_DEP_2)
	v_xor_b32_e32 v63, vcc_lo, v63
	ds_load_b32 v206, v65 offset:544
	; wave barrier
	v_bitop3_b32 v62, v62, v63, v208 bitop3:0x80
	v_mul_u32_u24_e32 v63, 36, v64
	v_mbcnt_lo_u32_b32 v207, v62, 0
	v_cmp_ne_u32_e64 s17, 0, v62
	s_delay_alu instid0(VALU_DEP_3) | instskip(NEXT) | instid1(VALU_DEP_3)
	v_add_nc_u32_e32 v208, v23, v63
	v_cmp_eq_u32_e32 vcc_lo, 0, v207
	s_and_b32 s18, s17, vcc_lo
	s_delay_alu instid0(SALU_CYCLE_1)
	s_and_saveexec_b32 s17, s18
	s_cbranch_execz .LBB1038_180
; %bb.179:                              ;   in Loop: Header=BB1038_108 Depth=2
	s_wait_dscnt 0x0
	v_bcnt_u32_b32 v62, v62, v206
	ds_store_b32 v208, v62 offset:544
.LBB1038_180:                           ;   in Loop: Header=BB1038_108 Depth=2
	s_or_b32 exec_lo, exec_lo, s17
	; wave barrier
	s_wait_dscnt 0x0
	s_barrier_signal -1
	s_barrier_wait -1
	ds_load_2addr_b32 v[64:65], v89 offset0:136 offset1:137
	ds_load_2addr_b32 v[62:63], v89 offset0:138 offset1:139
	ds_load_b32 v209, v89 offset:560
	s_wait_dscnt 0x1
	v_add3_u32 v210, v65, v64, v62
	s_wait_dscnt 0x0
	s_delay_alu instid0(VALU_DEP_1) | instskip(NEXT) | instid1(VALU_DEP_1)
	v_add3_u32 v209, v210, v63, v209
	v_mov_b32_dpp v210, v209 row_shr:1 row_mask:0xf bank_mask:0xf
	s_delay_alu instid0(VALU_DEP_1) | instskip(NEXT) | instid1(VALU_DEP_1)
	v_cndmask_b32_e64 v210, v210, 0, s9
	v_add_nc_u32_e32 v209, v210, v209
	s_delay_alu instid0(VALU_DEP_1) | instskip(NEXT) | instid1(VALU_DEP_1)
	v_mov_b32_dpp v210, v209 row_shr:2 row_mask:0xf bank_mask:0xf
	v_cndmask_b32_e64 v210, 0, v210, s10
	s_delay_alu instid0(VALU_DEP_1) | instskip(NEXT) | instid1(VALU_DEP_1)
	v_add_nc_u32_e32 v209, v209, v210
	v_mov_b32_dpp v210, v209 row_shr:4 row_mask:0xf bank_mask:0xf
	s_delay_alu instid0(VALU_DEP_1) | instskip(NEXT) | instid1(VALU_DEP_1)
	v_cndmask_b32_e64 v210, 0, v210, s11
	v_add_nc_u32_e32 v209, v209, v210
	s_delay_alu instid0(VALU_DEP_1) | instskip(NEXT) | instid1(VALU_DEP_1)
	v_mov_b32_dpp v210, v209 row_shr:8 row_mask:0xf bank_mask:0xf
	v_cndmask_b32_e64 v210, 0, v210, s12
	s_delay_alu instid0(VALU_DEP_1) | instskip(SKIP_3) | instid1(VALU_DEP_1)
	v_add_nc_u32_e32 v209, v209, v210
	ds_swizzle_b32 v210, v209 offset:swizzle(BROADCAST,32,15)
	s_wait_dscnt 0x0
	v_cndmask_b32_e64 v210, v210, 0, s13
	v_add_nc_u32_e32 v209, v209, v210
	s_and_saveexec_b32 s17, s2
; %bb.181:                              ;   in Loop: Header=BB1038_108 Depth=2
	ds_store_b32 v82, v209 offset:512
; %bb.182:                              ;   in Loop: Header=BB1038_108 Depth=2
	s_or_b32 exec_lo, exec_lo, s17
	s_wait_dscnt 0x0
	s_barrier_signal -1
	s_barrier_wait -1
	s_and_saveexec_b32 s17, s3
	s_cbranch_execz .LBB1038_184
; %bb.183:                              ;   in Loop: Header=BB1038_108 Depth=2
	ds_load_b32 v210, v91 offset:512
	s_wait_dscnt 0x0
	v_mov_b32_dpp v211, v210 row_shr:1 row_mask:0xf bank_mask:0xf
	s_delay_alu instid0(VALU_DEP_1) | instskip(NEXT) | instid1(VALU_DEP_1)
	v_cndmask_b32_e64 v211, v211, 0, s14
	v_add_nc_u32_e32 v210, v211, v210
	s_delay_alu instid0(VALU_DEP_1) | instskip(NEXT) | instid1(VALU_DEP_1)
	v_mov_b32_dpp v211, v210 row_shr:2 row_mask:0xf bank_mask:0xf
	v_cndmask_b32_e64 v211, 0, v211, s15
	s_delay_alu instid0(VALU_DEP_1) | instskip(NEXT) | instid1(VALU_DEP_1)
	v_add_nc_u32_e32 v210, v210, v211
	v_mov_b32_dpp v211, v210 row_shr:4 row_mask:0xf bank_mask:0xf
	s_delay_alu instid0(VALU_DEP_1) | instskip(NEXT) | instid1(VALU_DEP_1)
	v_cndmask_b32_e64 v211, 0, v211, s16
	v_add_nc_u32_e32 v210, v210, v211
	ds_store_b32 v91, v210 offset:512
.LBB1038_184:                           ;   in Loop: Header=BB1038_108 Depth=2
	s_or_b32 exec_lo, exec_lo, s17
	v_mov_b32_e32 v210, 0
	s_wait_dscnt 0x0
	s_barrier_signal -1
	s_barrier_wait -1
	s_and_saveexec_b32 s17, s5
; %bb.185:                              ;   in Loop: Header=BB1038_108 Depth=2
	ds_load_b32 v210, v82 offset:508
; %bb.186:                              ;   in Loop: Header=BB1038_108 Depth=2
	s_or_b32 exec_lo, exec_lo, s17
	s_wait_dscnt 0x0
	v_add_nc_u32_e32 v209, v210, v209
	ds_bpermute_b32 v209, v121, v209
	s_wait_dscnt 0x0
	v_cndmask_b32_e64 v209, v209, v210, s8
	s_delay_alu instid0(VALU_DEP_1) | instskip(NEXT) | instid1(VALU_DEP_1)
	v_cndmask_b32_e64 v209, v209, 0, s6
	v_add_nc_u32_e32 v64, v209, v64
	s_delay_alu instid0(VALU_DEP_1) | instskip(NEXT) | instid1(VALU_DEP_1)
	v_add_nc_u32_e32 v65, v64, v65
	v_add_nc_u32_e32 v62, v65, v62
	s_delay_alu instid0(VALU_DEP_1)
	v_add_nc_u32_e32 v63, v62, v63
	ds_store_2addr_b32 v89, v209, v64 offset0:136 offset1:137
	ds_store_2addr_b32 v89, v65, v62 offset0:138 offset1:139
	ds_store_b32 v89, v63 offset:560
	s_wait_dscnt 0x0
	s_barrier_signal -1
	s_barrier_wait -1
	ds_load_b32 v64, v146 offset:544
	ds_load_b32 v65, v150 offset:544
	;; [unrolled: 1-line block ×17, first 2 shown]
	s_and_saveexec_b32 s17, s0
	s_cbranch_execz .LBB1038_190
; %bb.187:                              ;   in Loop: Header=BB1038_108 Depth=2
	ds_load_b32 v137, v92 offset:544
	v_mov_b32_e32 v140, 0x1100
	s_and_saveexec_b32 s18, s7
; %bb.188:                              ;   in Loop: Header=BB1038_108 Depth=2
	ds_load_b32 v140, v93 offset:544
; %bb.189:                              ;   in Loop: Header=BB1038_108 Depth=2
	s_or_b32 exec_lo, exec_lo, s18
	s_wait_dscnt 0x0
	v_sub_nc_u32_e32 v140, v140, v137
.LBB1038_190:                           ;   in Loop: Header=BB1038_108 Depth=2
	s_or_b32 exec_lo, exec_lo, s17
	s_wait_dscnt 0x0
	s_barrier_signal -1
	s_barrier_wait -1
	s_and_saveexec_b32 s17, s0
	s_cbranch_execz .LBB1038_192
; %bb.191:                              ;   in Loop: Header=BB1038_108 Depth=2
	ds_load_b32 v156, v3
	s_wait_dscnt 0x0
	v_sub_nc_u32_e32 v156, v156, v137
	ds_store_b32 v3, v156
.LBB1038_192:                           ;   in Loop: Header=BB1038_108 Depth=2
	s_or_b32 exec_lo, exec_lo, s17
	v_add3_u32 v161, v153, v152, v146
	v_add_nc_u32_e32 v165, v64, v144
	v_add3_u32 v164, v149, v148, v65
	v_add3_u32 v159, v158, v157, v150
	;; [unrolled: 1-line block ×4, first 2 shown]
	v_lshlrev_b32_e32 v62, 1, v161
	v_dual_lshlrev_b32 v162, 1, v165 :: v_dual_lshlrev_b32 v163, 1, v164
	v_add3_u32 v157, v168, v167, v209
	v_add3_u32 v156, v173, v172, v175
	v_add3_u32 v154, v178, v177, v179
	v_add3_u32 v153, v181, v180, v182
	v_add3_u32 v146, v204, v203, v63
	v_lshlrev_b32_e32 v63, 1, v159
	v_add3_u32 v152, v184, v183, v185
	ds_store_b16 v162, v143 offset:512
	ds_store_b16 v163, v145 offset:512
	v_lshlrev_b32_e32 v143, 1, v158
	v_add3_u32 v150, v188, v187, v190
	v_dual_lshlrev_b32 v145, 1, v157 :: v_dual_lshlrev_b32 v162, 1, v156
	v_add3_u32 v149, v192, v191, v210
	v_add3_u32 v65, v195, v194, v211
	ds_store_b16 v62, v147 offset:512
	ds_store_b16 v63, v151 offset:512
	;; [unrolled: 1-line block ×5, first 2 shown]
	v_dual_lshlrev_b32 v62, 1, v154 :: v_dual_lshlrev_b32 v63, 1, v153
	v_add3_u32 v64, v198, v197, v212
	v_dual_lshlrev_b32 v143, 1, v152 :: v_dual_lshlrev_b32 v145, 1, v150
	v_add3_u32 v144, v207, v206, v170
	v_lshlrev_b32_e32 v147, 1, v149
	ds_store_b16 v62, v171 offset:512
	ds_store_b16 v63, v176 offset:512
	;; [unrolled: 1-line block ×5, first 2 shown]
	v_dual_lshlrev_b32 v62, 1, v65 :: v_dual_lshlrev_b32 v143, 1, v148
	v_cmp_lt_u32_e32 vcc_lo, v2, v141
	v_dual_lshlrev_b32 v63, 1, v64 :: v_dual_lshlrev_b32 v145, 1, v146
	v_lshlrev_b32_e32 v147, 1, v144
	ds_store_b16 v62, v189 offset:512
	ds_store_b16 v63, v193 offset:512
	;; [unrolled: 1-line block ×5, first 2 shown]
	s_wait_dscnt 0x0
	s_barrier_signal -1
	s_barrier_wait -1
	s_and_saveexec_b32 s17, vcc_lo
	s_cbranch_execnz .LBB1038_265
; %bb.193:                              ;   in Loop: Header=BB1038_108 Depth=2
	s_or_b32 exec_lo, exec_lo, s17
	v_cmp_lt_u32_e64 s17, v66, v141
	s_and_saveexec_b32 s18, s17
	s_cbranch_execnz .LBB1038_266
.LBB1038_194:                           ;   in Loop: Header=BB1038_108 Depth=2
	s_or_b32 exec_lo, exec_lo, s18
	v_cmp_lt_u32_e64 s18, v67, v141
	s_and_saveexec_b32 s19, s18
	s_cbranch_execnz .LBB1038_267
.LBB1038_195:                           ;   in Loop: Header=BB1038_108 Depth=2
	s_or_b32 exec_lo, exec_lo, s19
	v_cmp_lt_u32_e64 s19, v68, v141
	s_and_saveexec_b32 s20, s19
	s_cbranch_execnz .LBB1038_268
.LBB1038_196:                           ;   in Loop: Header=BB1038_108 Depth=2
	s_or_b32 exec_lo, exec_lo, s20
	v_cmp_lt_u32_e64 s20, v69, v141
	s_and_saveexec_b32 s21, s20
	s_cbranch_execnz .LBB1038_269
.LBB1038_197:                           ;   in Loop: Header=BB1038_108 Depth=2
	s_or_b32 exec_lo, exec_lo, s21
	v_cmp_lt_u32_e64 s21, v70, v141
	s_and_saveexec_b32 s22, s21
	s_cbranch_execnz .LBB1038_270
.LBB1038_198:                           ;   in Loop: Header=BB1038_108 Depth=2
	s_or_b32 exec_lo, exec_lo, s22
	v_cmp_lt_u32_e64 s22, v71, v141
	s_and_saveexec_b32 s23, s22
	s_cbranch_execnz .LBB1038_271
.LBB1038_199:                           ;   in Loop: Header=BB1038_108 Depth=2
	s_or_b32 exec_lo, exec_lo, s23
	v_cmp_lt_u32_e64 s23, v72, v141
	s_and_saveexec_b32 s24, s23
	s_cbranch_execnz .LBB1038_272
.LBB1038_200:                           ;   in Loop: Header=BB1038_108 Depth=2
	s_or_b32 exec_lo, exec_lo, s24
	v_cmp_lt_u32_e64 s24, v73, v141
	s_and_saveexec_b32 s25, s24
	s_cbranch_execnz .LBB1038_273
.LBB1038_201:                           ;   in Loop: Header=BB1038_108 Depth=2
	s_or_b32 exec_lo, exec_lo, s25
	v_cmp_lt_u32_e64 s25, v74, v141
	s_and_saveexec_b32 s26, s25
	s_cbranch_execnz .LBB1038_274
.LBB1038_202:                           ;   in Loop: Header=BB1038_108 Depth=2
	s_or_b32 exec_lo, exec_lo, s26
	v_cmp_lt_u32_e64 s26, v75, v141
	s_and_saveexec_b32 s27, s26
	s_cbranch_execnz .LBB1038_275
.LBB1038_203:                           ;   in Loop: Header=BB1038_108 Depth=2
	s_or_b32 exec_lo, exec_lo, s27
	v_cmp_lt_u32_e64 s27, v76, v141
	s_and_saveexec_b32 s28, s27
	s_cbranch_execnz .LBB1038_276
.LBB1038_204:                           ;   in Loop: Header=BB1038_108 Depth=2
	s_or_b32 exec_lo, exec_lo, s28
	v_cmp_lt_u32_e64 s28, v77, v141
	s_and_saveexec_b32 s29, s28
	s_cbranch_execnz .LBB1038_277
.LBB1038_205:                           ;   in Loop: Header=BB1038_108 Depth=2
	s_or_b32 exec_lo, exec_lo, s29
	v_cmp_lt_u32_e64 s29, v78, v141
	s_and_saveexec_b32 s30, s29
	s_cbranch_execnz .LBB1038_278
.LBB1038_206:                           ;   in Loop: Header=BB1038_108 Depth=2
	s_or_b32 exec_lo, exec_lo, s30
	v_cmp_lt_u32_e64 s30, v79, v141
	s_and_saveexec_b32 s31, s30
	s_cbranch_execnz .LBB1038_279
.LBB1038_207:                           ;   in Loop: Header=BB1038_108 Depth=2
	s_or_b32 exec_lo, exec_lo, s31
	v_cmp_lt_u32_e64 s31, v80, v141
	s_and_saveexec_b32 s33, s31
	s_cbranch_execnz .LBB1038_280
.LBB1038_208:                           ;   in Loop: Header=BB1038_108 Depth=2
	s_or_b32 exec_lo, exec_lo, s33
	v_cmp_lt_u32_e64 s33, v81, v141
	s_and_saveexec_b32 s60, s33
	s_cbranch_execz .LBB1038_210
.LBB1038_209:                           ;   in Loop: Header=BB1038_108 Depth=2
	ds_load_u16 v62, v94 offset:8704
	s_wait_dscnt 0x0
	v_and_b32_e32 v63, 0xffff, v62
	v_xor_b32_e32 v62, 0xffff8000, v62
	s_delay_alu instid0(VALU_DEP_2) | instskip(NEXT) | instid1(VALU_DEP_1)
	v_lshrrev_b32_e32 v63, s43, v63
	v_and_b32_e32 v63, s48, v63
	s_delay_alu instid0(VALU_DEP_1)
	v_lshlrev_b32_e32 v63, 2, v63
	ds_load_b32 v63, v63
	s_wait_dscnt 0x0
	v_add_nc_u32_e32 v63, v63, v81
	global_store_b16 v63, v62, s[38:39] scale_offset
.LBB1038_210:                           ;   in Loop: Header=BB1038_108 Depth=2
	s_wait_xcnt 0x0
	s_or_b32 exec_lo, exec_lo, s60
	v_lshl_add_u64 v[62:63], s[34:35], 3, v[24:25]
	v_cmp_lt_u32_e64 s34, v102, v141
	s_and_saveexec_b32 s60, s34
	s_delay_alu instid0(SALU_CYCLE_1)
	s_xor_b32 s34, exec_lo, s60
	s_cbranch_execnz .LBB1038_281
; %bb.211:                              ;   in Loop: Header=BB1038_108 Depth=2
	s_or_b32 exec_lo, exec_lo, s34
	s_delay_alu instid0(SALU_CYCLE_1)
	s_mov_b32 s60, exec_lo
	v_cmpx_lt_u32_e64 v105, v141
	s_cbranch_execnz .LBB1038_282
.LBB1038_212:                           ;   in Loop: Header=BB1038_108 Depth=2
	s_or_b32 exec_lo, exec_lo, s60
	s_delay_alu instid0(SALU_CYCLE_1)
	s_mov_b32 s60, exec_lo
	v_cmpx_lt_u32_e64 v106, v141
	s_cbranch_execnz .LBB1038_283
.LBB1038_213:                           ;   in Loop: Header=BB1038_108 Depth=2
	s_or_b32 exec_lo, exec_lo, s60
	s_delay_alu instid0(SALU_CYCLE_1)
	s_mov_b32 s60, exec_lo
	v_cmpx_lt_u32_e64 v107, v141
	s_cbranch_execnz .LBB1038_284
.LBB1038_214:                           ;   in Loop: Header=BB1038_108 Depth=2
	s_or_b32 exec_lo, exec_lo, s60
	s_delay_alu instid0(SALU_CYCLE_1)
	s_mov_b32 s60, exec_lo
	v_cmpx_lt_u32_e64 v108, v141
	s_cbranch_execnz .LBB1038_285
.LBB1038_215:                           ;   in Loop: Header=BB1038_108 Depth=2
	s_or_b32 exec_lo, exec_lo, s60
	s_delay_alu instid0(SALU_CYCLE_1)
	s_mov_b32 s60, exec_lo
	v_cmpx_lt_u32_e64 v109, v141
	s_cbranch_execnz .LBB1038_286
.LBB1038_216:                           ;   in Loop: Header=BB1038_108 Depth=2
	s_or_b32 exec_lo, exec_lo, s60
	s_delay_alu instid0(SALU_CYCLE_1)
	s_mov_b32 s60, exec_lo
	v_cmpx_lt_u32_e64 v110, v141
	s_cbranch_execnz .LBB1038_287
.LBB1038_217:                           ;   in Loop: Header=BB1038_108 Depth=2
	s_or_b32 exec_lo, exec_lo, s60
	s_delay_alu instid0(SALU_CYCLE_1)
	s_mov_b32 s60, exec_lo
	v_cmpx_lt_u32_e64 v111, v141
	s_cbranch_execnz .LBB1038_288
.LBB1038_218:                           ;   in Loop: Header=BB1038_108 Depth=2
	s_or_b32 exec_lo, exec_lo, s60
	s_delay_alu instid0(SALU_CYCLE_1)
	s_mov_b32 s60, exec_lo
	v_cmpx_lt_u32_e64 v112, v141
	s_cbranch_execnz .LBB1038_289
.LBB1038_219:                           ;   in Loop: Header=BB1038_108 Depth=2
	s_or_b32 exec_lo, exec_lo, s60
	s_delay_alu instid0(SALU_CYCLE_1)
	s_mov_b32 s60, exec_lo
	v_cmpx_lt_u32_e64 v113, v141
	s_cbranch_execnz .LBB1038_290
.LBB1038_220:                           ;   in Loop: Header=BB1038_108 Depth=2
	s_or_b32 exec_lo, exec_lo, s60
	s_delay_alu instid0(SALU_CYCLE_1)
	s_mov_b32 s60, exec_lo
	v_cmpx_lt_u32_e64 v114, v141
	s_cbranch_execnz .LBB1038_291
.LBB1038_221:                           ;   in Loop: Header=BB1038_108 Depth=2
	s_or_b32 exec_lo, exec_lo, s60
	s_delay_alu instid0(SALU_CYCLE_1)
	s_mov_b32 s60, exec_lo
	v_cmpx_lt_u32_e64 v115, v141
	s_cbranch_execnz .LBB1038_292
.LBB1038_222:                           ;   in Loop: Header=BB1038_108 Depth=2
	s_or_b32 exec_lo, exec_lo, s60
	s_delay_alu instid0(SALU_CYCLE_1)
	s_mov_b32 s60, exec_lo
	v_cmpx_lt_u32_e64 v116, v141
	s_cbranch_execnz .LBB1038_293
.LBB1038_223:                           ;   in Loop: Header=BB1038_108 Depth=2
	s_or_b32 exec_lo, exec_lo, s60
	s_delay_alu instid0(SALU_CYCLE_1)
	s_mov_b32 s60, exec_lo
	v_cmpx_lt_u32_e64 v117, v141
	s_cbranch_execnz .LBB1038_294
.LBB1038_224:                           ;   in Loop: Header=BB1038_108 Depth=2
	s_or_b32 exec_lo, exec_lo, s60
	s_delay_alu instid0(SALU_CYCLE_1)
	s_mov_b32 s60, exec_lo
	v_cmpx_lt_u32_e64 v118, v141
	s_cbranch_execnz .LBB1038_295
.LBB1038_225:                           ;   in Loop: Header=BB1038_108 Depth=2
	s_or_b32 exec_lo, exec_lo, s60
	s_delay_alu instid0(SALU_CYCLE_1)
	s_mov_b32 s60, exec_lo
	v_cmpx_lt_u32_e64 v119, v141
	s_cbranch_execnz .LBB1038_296
.LBB1038_226:                           ;   in Loop: Header=BB1038_108 Depth=2
	s_or_b32 exec_lo, exec_lo, s60
	s_delay_alu instid0(SALU_CYCLE_1)
	s_mov_b32 s60, exec_lo
	v_cmpx_lt_u32_e64 v120, v141
	s_cbranch_execnz .LBB1038_297
.LBB1038_227:                           ;   in Loop: Header=BB1038_108 Depth=2
	s_or_b32 exec_lo, exec_lo, s60
	s_and_saveexec_b32 s34, vcc_lo
	s_cbranch_execnz .LBB1038_298
.LBB1038_228:                           ;   in Loop: Header=BB1038_108 Depth=2
	s_or_b32 exec_lo, exec_lo, s34
	s_and_saveexec_b32 s34, s17
	s_cbranch_execnz .LBB1038_299
.LBB1038_229:                           ;   in Loop: Header=BB1038_108 Depth=2
	s_or_b32 exec_lo, exec_lo, s34
	s_and_saveexec_b32 s34, s18
	s_cbranch_execnz .LBB1038_300
.LBB1038_230:                           ;   in Loop: Header=BB1038_108 Depth=2
	s_or_b32 exec_lo, exec_lo, s34
	s_and_saveexec_b32 s34, s19
	s_cbranch_execnz .LBB1038_301
.LBB1038_231:                           ;   in Loop: Header=BB1038_108 Depth=2
	s_or_b32 exec_lo, exec_lo, s34
	s_and_saveexec_b32 s34, s20
	s_cbranch_execnz .LBB1038_302
.LBB1038_232:                           ;   in Loop: Header=BB1038_108 Depth=2
	s_or_b32 exec_lo, exec_lo, s34
	s_and_saveexec_b32 s34, s21
	s_cbranch_execnz .LBB1038_303
.LBB1038_233:                           ;   in Loop: Header=BB1038_108 Depth=2
	s_or_b32 exec_lo, exec_lo, s34
	s_and_saveexec_b32 s34, s22
	s_cbranch_execnz .LBB1038_304
.LBB1038_234:                           ;   in Loop: Header=BB1038_108 Depth=2
	s_or_b32 exec_lo, exec_lo, s34
	s_and_saveexec_b32 s34, s23
	s_cbranch_execnz .LBB1038_305
.LBB1038_235:                           ;   in Loop: Header=BB1038_108 Depth=2
	s_or_b32 exec_lo, exec_lo, s34
	s_and_saveexec_b32 s34, s24
	s_cbranch_execnz .LBB1038_306
.LBB1038_236:                           ;   in Loop: Header=BB1038_108 Depth=2
	s_or_b32 exec_lo, exec_lo, s34
	s_and_saveexec_b32 s34, s25
	s_cbranch_execnz .LBB1038_307
.LBB1038_237:                           ;   in Loop: Header=BB1038_108 Depth=2
	s_or_b32 exec_lo, exec_lo, s34
	s_and_saveexec_b32 s34, s26
	s_cbranch_execnz .LBB1038_308
.LBB1038_238:                           ;   in Loop: Header=BB1038_108 Depth=2
	s_or_b32 exec_lo, exec_lo, s34
	s_and_saveexec_b32 s34, s27
	s_cbranch_execnz .LBB1038_309
.LBB1038_239:                           ;   in Loop: Header=BB1038_108 Depth=2
	s_or_b32 exec_lo, exec_lo, s34
	s_and_saveexec_b32 s34, s28
	s_cbranch_execnz .LBB1038_310
.LBB1038_240:                           ;   in Loop: Header=BB1038_108 Depth=2
	s_or_b32 exec_lo, exec_lo, s34
	s_and_saveexec_b32 s34, s29
	s_cbranch_execnz .LBB1038_311
.LBB1038_241:                           ;   in Loop: Header=BB1038_108 Depth=2
	s_or_b32 exec_lo, exec_lo, s34
	s_and_saveexec_b32 s34, s30
	s_cbranch_execnz .LBB1038_312
.LBB1038_242:                           ;   in Loop: Header=BB1038_108 Depth=2
	s_or_b32 exec_lo, exec_lo, s34
	s_and_saveexec_b32 s34, s31
	s_cbranch_execnz .LBB1038_313
.LBB1038_243:                           ;   in Loop: Header=BB1038_108 Depth=2
	s_or_b32 exec_lo, exec_lo, s34
	s_and_saveexec_b32 s34, s33
	s_cbranch_execz .LBB1038_245
.LBB1038_244:                           ;   in Loop: Header=BB1038_108 Depth=2
	ds_load_u16 v62, v94 offset:8704
	s_wait_dscnt 0x0
	v_lshrrev_b32_e32 v62, s43, v62
	s_delay_alu instid0(VALU_DEP_1)
	v_and_b32_e32 v122, s48, v62
.LBB1038_245:                           ;   in Loop: Header=BB1038_108 Depth=2
	s_or_b32 exec_lo, exec_lo, s34
	v_dual_lshlrev_b32 v62, 3, v165 :: v_dual_lshlrev_b32 v63, 3, v164
	s_wait_loadcnt 0x0
	s_wait_storecnt 0x0
	s_barrier_signal -1
	s_barrier_wait -1
	ds_store_b64 v62, v[60:61] offset:512
	ds_store_b64 v63, v[58:59] offset:512
	v_dual_lshlrev_b32 v62, 3, v161 :: v_dual_lshlrev_b32 v63, 3, v159
	v_dual_lshlrev_b32 v141, 3, v158 :: v_dual_lshlrev_b32 v142, 3, v157
	v_lshlrev_b32_e32 v143, 3, v156
	ds_store_b64 v62, v[56:57] offset:512
	ds_store_b64 v63, v[54:55] offset:512
	ds_store_b64 v141, v[52:53] offset:512
	ds_store_b64 v142, v[50:51] offset:512
	ds_store_b64 v143, v[48:49] offset:512
	v_dual_lshlrev_b32 v62, 3, v154 :: v_dual_lshlrev_b32 v63, 3, v153
	v_dual_lshlrev_b32 v141, 3, v152 :: v_dual_lshlrev_b32 v142, 3, v150
	v_lshlrev_b32_e32 v143, 3, v149
	ds_store_b64 v62, v[46:47] offset:512
	ds_store_b64 v63, v[44:45] offset:512
	ds_store_b64 v141, v[42:43] offset:512
	ds_store_b64 v142, v[40:41] offset:512
	ds_store_b64 v143, v[38:39] offset:512
	v_dual_lshlrev_b32 v62, 3, v65 :: v_dual_lshlrev_b32 v63, 3, v64
	v_dual_lshlrev_b32 v64, 3, v148 :: v_dual_lshlrev_b32 v65, 3, v146
	v_lshlrev_b32_e32 v141, 3, v144
	ds_store_b64 v62, v[36:37] offset:512
	ds_store_b64 v63, v[34:35] offset:512
	ds_store_b64 v64, v[32:33] offset:512
	ds_store_b64 v65, v[30:31] offset:512
	ds_store_b64 v141, v[28:29] offset:512
	s_wait_dscnt 0x0
	s_barrier_signal -1
	s_barrier_wait -1
	s_and_saveexec_b32 s34, vcc_lo
	s_cbranch_execnz .LBB1038_314
; %bb.246:                              ;   in Loop: Header=BB1038_108 Depth=2
	s_or_b32 exec_lo, exec_lo, s34
	s_and_saveexec_b32 s34, s17
	s_cbranch_execnz .LBB1038_315
.LBB1038_247:                           ;   in Loop: Header=BB1038_108 Depth=2
	s_or_b32 exec_lo, exec_lo, s34
	s_and_saveexec_b32 s17, s18
	s_cbranch_execnz .LBB1038_316
.LBB1038_248:                           ;   in Loop: Header=BB1038_108 Depth=2
	s_or_b32 exec_lo, exec_lo, s17
	s_and_saveexec_b32 s17, s19
	s_cbranch_execnz .LBB1038_317
.LBB1038_249:                           ;   in Loop: Header=BB1038_108 Depth=2
	s_or_b32 exec_lo, exec_lo, s17
	s_and_saveexec_b32 s17, s20
	s_cbranch_execnz .LBB1038_318
.LBB1038_250:                           ;   in Loop: Header=BB1038_108 Depth=2
	s_or_b32 exec_lo, exec_lo, s17
	s_and_saveexec_b32 s17, s21
	s_cbranch_execnz .LBB1038_319
.LBB1038_251:                           ;   in Loop: Header=BB1038_108 Depth=2
	s_or_b32 exec_lo, exec_lo, s17
	s_and_saveexec_b32 s17, s22
	s_cbranch_execnz .LBB1038_320
.LBB1038_252:                           ;   in Loop: Header=BB1038_108 Depth=2
	s_or_b32 exec_lo, exec_lo, s17
	s_and_saveexec_b32 s17, s23
	s_cbranch_execnz .LBB1038_321
.LBB1038_253:                           ;   in Loop: Header=BB1038_108 Depth=2
	s_or_b32 exec_lo, exec_lo, s17
	s_and_saveexec_b32 s17, s24
	s_cbranch_execnz .LBB1038_322
.LBB1038_254:                           ;   in Loop: Header=BB1038_108 Depth=2
	s_or_b32 exec_lo, exec_lo, s17
	s_and_saveexec_b32 s17, s25
	s_cbranch_execnz .LBB1038_323
.LBB1038_255:                           ;   in Loop: Header=BB1038_108 Depth=2
	s_or_b32 exec_lo, exec_lo, s17
	s_and_saveexec_b32 s17, s26
	s_cbranch_execnz .LBB1038_324
.LBB1038_256:                           ;   in Loop: Header=BB1038_108 Depth=2
	s_or_b32 exec_lo, exec_lo, s17
	s_and_saveexec_b32 s17, s27
	s_cbranch_execnz .LBB1038_325
.LBB1038_257:                           ;   in Loop: Header=BB1038_108 Depth=2
	s_or_b32 exec_lo, exec_lo, s17
	s_and_saveexec_b32 s17, s28
	s_cbranch_execnz .LBB1038_326
.LBB1038_258:                           ;   in Loop: Header=BB1038_108 Depth=2
	s_or_b32 exec_lo, exec_lo, s17
	s_and_saveexec_b32 s17, s29
	s_cbranch_execnz .LBB1038_327
.LBB1038_259:                           ;   in Loop: Header=BB1038_108 Depth=2
	s_or_b32 exec_lo, exec_lo, s17
	s_and_saveexec_b32 s17, s30
	s_cbranch_execnz .LBB1038_328
.LBB1038_260:                           ;   in Loop: Header=BB1038_108 Depth=2
	s_or_b32 exec_lo, exec_lo, s17
	s_and_saveexec_b32 s17, s31
	s_cbranch_execnz .LBB1038_329
.LBB1038_261:                           ;   in Loop: Header=BB1038_108 Depth=2
	s_or_b32 exec_lo, exec_lo, s17
	s_and_saveexec_b32 s17, s33
	s_cbranch_execz .LBB1038_263
.LBB1038_262:                           ;   in Loop: Header=BB1038_108 Depth=2
	v_dual_lshlrev_b32 v62, 2, v122 :: v_dual_add_nc_u32 v63, v94, v95
	ds_load_b32 v64, v62
	ds_load_b64 v[62:63], v63 offset:33280
	s_wait_dscnt 0x1
	v_add_nc_u32_e32 v64, v64, v81
	s_wait_dscnt 0x0
	global_store_b64 v64, v[62:63], s[44:45] scale_offset
.LBB1038_263:                           ;   in Loop: Header=BB1038_108 Depth=2
	s_wait_xcnt 0x0
	s_or_b32 exec_lo, exec_lo, s17
	s_wait_storecnt 0x0
	s_barrier_signal -1
	s_barrier_wait -1
	s_and_saveexec_b32 s17, s0
	s_cbranch_execz .LBB1038_107
; %bb.264:                              ;   in Loop: Header=BB1038_108 Depth=2
	ds_load_b32 v62, v3
	s_wait_dscnt 0x0
	v_add3_u32 v62, v137, v140, v62
	ds_store_b32 v3, v62
	s_branch .LBB1038_107
.LBB1038_265:                           ;   in Loop: Header=BB1038_108 Depth=2
	ds_load_u16 v62, v94 offset:512
	s_wait_dscnt 0x0
	v_and_b32_e32 v63, 0xffff, v62
	v_xor_b32_e32 v62, 0xffff8000, v62
	s_delay_alu instid0(VALU_DEP_2) | instskip(NEXT) | instid1(VALU_DEP_1)
	v_lshrrev_b32_e32 v63, s43, v63
	v_and_b32_e32 v63, s48, v63
	s_delay_alu instid0(VALU_DEP_1)
	v_lshlrev_b32_e32 v63, 2, v63
	ds_load_b32 v63, v63
	s_wait_dscnt 0x0
	v_add_nc_u32_e32 v63, v63, v2
	global_store_b16 v63, v62, s[38:39] scale_offset
	s_wait_xcnt 0x0
	s_or_b32 exec_lo, exec_lo, s17
	v_cmp_lt_u32_e64 s17, v66, v141
	s_and_saveexec_b32 s18, s17
	s_cbranch_execz .LBB1038_194
.LBB1038_266:                           ;   in Loop: Header=BB1038_108 Depth=2
	ds_load_u16 v62, v94 offset:1024
	s_wait_dscnt 0x0
	v_and_b32_e32 v63, 0xffff, v62
	v_xor_b32_e32 v62, 0xffff8000, v62
	s_delay_alu instid0(VALU_DEP_2) | instskip(NEXT) | instid1(VALU_DEP_1)
	v_lshrrev_b32_e32 v63, s43, v63
	v_and_b32_e32 v63, s48, v63
	s_delay_alu instid0(VALU_DEP_1)
	v_lshlrev_b32_e32 v63, 2, v63
	ds_load_b32 v63, v63
	s_wait_dscnt 0x0
	v_add_nc_u32_e32 v63, v63, v66
	global_store_b16 v63, v62, s[38:39] scale_offset
	s_wait_xcnt 0x0
	s_or_b32 exec_lo, exec_lo, s18
	v_cmp_lt_u32_e64 s18, v67, v141
	s_and_saveexec_b32 s19, s18
	s_cbranch_execz .LBB1038_195
.LBB1038_267:                           ;   in Loop: Header=BB1038_108 Depth=2
	ds_load_u16 v62, v94 offset:1536
	s_wait_dscnt 0x0
	v_and_b32_e32 v63, 0xffff, v62
	v_xor_b32_e32 v62, 0xffff8000, v62
	s_delay_alu instid0(VALU_DEP_2) | instskip(NEXT) | instid1(VALU_DEP_1)
	v_lshrrev_b32_e32 v63, s43, v63
	v_and_b32_e32 v63, s48, v63
	s_delay_alu instid0(VALU_DEP_1)
	v_lshlrev_b32_e32 v63, 2, v63
	ds_load_b32 v63, v63
	s_wait_dscnt 0x0
	v_add_nc_u32_e32 v63, v63, v67
	global_store_b16 v63, v62, s[38:39] scale_offset
	s_wait_xcnt 0x0
	s_or_b32 exec_lo, exec_lo, s19
	v_cmp_lt_u32_e64 s19, v68, v141
	s_and_saveexec_b32 s20, s19
	s_cbranch_execz .LBB1038_196
.LBB1038_268:                           ;   in Loop: Header=BB1038_108 Depth=2
	ds_load_u16 v62, v94 offset:2048
	s_wait_dscnt 0x0
	v_and_b32_e32 v63, 0xffff, v62
	v_xor_b32_e32 v62, 0xffff8000, v62
	s_delay_alu instid0(VALU_DEP_2) | instskip(NEXT) | instid1(VALU_DEP_1)
	v_lshrrev_b32_e32 v63, s43, v63
	v_and_b32_e32 v63, s48, v63
	s_delay_alu instid0(VALU_DEP_1)
	v_lshlrev_b32_e32 v63, 2, v63
	ds_load_b32 v63, v63
	s_wait_dscnt 0x0
	v_add_nc_u32_e32 v63, v63, v68
	global_store_b16 v63, v62, s[38:39] scale_offset
	s_wait_xcnt 0x0
	s_or_b32 exec_lo, exec_lo, s20
	v_cmp_lt_u32_e64 s20, v69, v141
	s_and_saveexec_b32 s21, s20
	s_cbranch_execz .LBB1038_197
.LBB1038_269:                           ;   in Loop: Header=BB1038_108 Depth=2
	ds_load_u16 v62, v94 offset:2560
	s_wait_dscnt 0x0
	v_and_b32_e32 v63, 0xffff, v62
	v_xor_b32_e32 v62, 0xffff8000, v62
	s_delay_alu instid0(VALU_DEP_2) | instskip(NEXT) | instid1(VALU_DEP_1)
	v_lshrrev_b32_e32 v63, s43, v63
	v_and_b32_e32 v63, s48, v63
	s_delay_alu instid0(VALU_DEP_1)
	v_lshlrev_b32_e32 v63, 2, v63
	ds_load_b32 v63, v63
	s_wait_dscnt 0x0
	v_add_nc_u32_e32 v63, v63, v69
	global_store_b16 v63, v62, s[38:39] scale_offset
	s_wait_xcnt 0x0
	s_or_b32 exec_lo, exec_lo, s21
	v_cmp_lt_u32_e64 s21, v70, v141
	s_and_saveexec_b32 s22, s21
	s_cbranch_execz .LBB1038_198
.LBB1038_270:                           ;   in Loop: Header=BB1038_108 Depth=2
	ds_load_u16 v62, v94 offset:3072
	s_wait_dscnt 0x0
	v_and_b32_e32 v63, 0xffff, v62
	v_xor_b32_e32 v62, 0xffff8000, v62
	s_delay_alu instid0(VALU_DEP_2) | instskip(NEXT) | instid1(VALU_DEP_1)
	v_lshrrev_b32_e32 v63, s43, v63
	v_and_b32_e32 v63, s48, v63
	s_delay_alu instid0(VALU_DEP_1)
	v_lshlrev_b32_e32 v63, 2, v63
	ds_load_b32 v63, v63
	s_wait_dscnt 0x0
	v_add_nc_u32_e32 v63, v63, v70
	global_store_b16 v63, v62, s[38:39] scale_offset
	s_wait_xcnt 0x0
	s_or_b32 exec_lo, exec_lo, s22
	v_cmp_lt_u32_e64 s22, v71, v141
	s_and_saveexec_b32 s23, s22
	s_cbranch_execz .LBB1038_199
.LBB1038_271:                           ;   in Loop: Header=BB1038_108 Depth=2
	ds_load_u16 v62, v94 offset:3584
	s_wait_dscnt 0x0
	v_and_b32_e32 v63, 0xffff, v62
	v_xor_b32_e32 v62, 0xffff8000, v62
	s_delay_alu instid0(VALU_DEP_2) | instskip(NEXT) | instid1(VALU_DEP_1)
	v_lshrrev_b32_e32 v63, s43, v63
	v_and_b32_e32 v63, s48, v63
	s_delay_alu instid0(VALU_DEP_1)
	v_lshlrev_b32_e32 v63, 2, v63
	ds_load_b32 v63, v63
	s_wait_dscnt 0x0
	v_add_nc_u32_e32 v63, v63, v71
	global_store_b16 v63, v62, s[38:39] scale_offset
	s_wait_xcnt 0x0
	s_or_b32 exec_lo, exec_lo, s23
	v_cmp_lt_u32_e64 s23, v72, v141
	s_and_saveexec_b32 s24, s23
	s_cbranch_execz .LBB1038_200
.LBB1038_272:                           ;   in Loop: Header=BB1038_108 Depth=2
	ds_load_u16 v62, v94 offset:4096
	s_wait_dscnt 0x0
	v_and_b32_e32 v63, 0xffff, v62
	v_xor_b32_e32 v62, 0xffff8000, v62
	s_delay_alu instid0(VALU_DEP_2) | instskip(NEXT) | instid1(VALU_DEP_1)
	v_lshrrev_b32_e32 v63, s43, v63
	v_and_b32_e32 v63, s48, v63
	s_delay_alu instid0(VALU_DEP_1)
	v_lshlrev_b32_e32 v63, 2, v63
	ds_load_b32 v63, v63
	s_wait_dscnt 0x0
	v_add_nc_u32_e32 v63, v63, v72
	global_store_b16 v63, v62, s[38:39] scale_offset
	s_wait_xcnt 0x0
	s_or_b32 exec_lo, exec_lo, s24
	v_cmp_lt_u32_e64 s24, v73, v141
	s_and_saveexec_b32 s25, s24
	s_cbranch_execz .LBB1038_201
.LBB1038_273:                           ;   in Loop: Header=BB1038_108 Depth=2
	ds_load_u16 v62, v94 offset:4608
	s_wait_dscnt 0x0
	v_and_b32_e32 v63, 0xffff, v62
	v_xor_b32_e32 v62, 0xffff8000, v62
	s_delay_alu instid0(VALU_DEP_2) | instskip(NEXT) | instid1(VALU_DEP_1)
	v_lshrrev_b32_e32 v63, s43, v63
	v_and_b32_e32 v63, s48, v63
	s_delay_alu instid0(VALU_DEP_1)
	v_lshlrev_b32_e32 v63, 2, v63
	ds_load_b32 v63, v63
	s_wait_dscnt 0x0
	v_add_nc_u32_e32 v63, v63, v73
	global_store_b16 v63, v62, s[38:39] scale_offset
	s_wait_xcnt 0x0
	s_or_b32 exec_lo, exec_lo, s25
	v_cmp_lt_u32_e64 s25, v74, v141
	s_and_saveexec_b32 s26, s25
	s_cbranch_execz .LBB1038_202
.LBB1038_274:                           ;   in Loop: Header=BB1038_108 Depth=2
	ds_load_u16 v62, v94 offset:5120
	s_wait_dscnt 0x0
	v_and_b32_e32 v63, 0xffff, v62
	v_xor_b32_e32 v62, 0xffff8000, v62
	s_delay_alu instid0(VALU_DEP_2) | instskip(NEXT) | instid1(VALU_DEP_1)
	v_lshrrev_b32_e32 v63, s43, v63
	v_and_b32_e32 v63, s48, v63
	s_delay_alu instid0(VALU_DEP_1)
	v_lshlrev_b32_e32 v63, 2, v63
	ds_load_b32 v63, v63
	s_wait_dscnt 0x0
	v_add_nc_u32_e32 v63, v63, v74
	global_store_b16 v63, v62, s[38:39] scale_offset
	s_wait_xcnt 0x0
	s_or_b32 exec_lo, exec_lo, s26
	v_cmp_lt_u32_e64 s26, v75, v141
	s_and_saveexec_b32 s27, s26
	s_cbranch_execz .LBB1038_203
.LBB1038_275:                           ;   in Loop: Header=BB1038_108 Depth=2
	ds_load_u16 v62, v94 offset:5632
	s_wait_dscnt 0x0
	v_and_b32_e32 v63, 0xffff, v62
	v_xor_b32_e32 v62, 0xffff8000, v62
	s_delay_alu instid0(VALU_DEP_2) | instskip(NEXT) | instid1(VALU_DEP_1)
	v_lshrrev_b32_e32 v63, s43, v63
	v_and_b32_e32 v63, s48, v63
	s_delay_alu instid0(VALU_DEP_1)
	v_lshlrev_b32_e32 v63, 2, v63
	ds_load_b32 v63, v63
	s_wait_dscnt 0x0
	v_add_nc_u32_e32 v63, v63, v75
	global_store_b16 v63, v62, s[38:39] scale_offset
	s_wait_xcnt 0x0
	s_or_b32 exec_lo, exec_lo, s27
	v_cmp_lt_u32_e64 s27, v76, v141
	s_and_saveexec_b32 s28, s27
	s_cbranch_execz .LBB1038_204
.LBB1038_276:                           ;   in Loop: Header=BB1038_108 Depth=2
	ds_load_u16 v62, v94 offset:6144
	s_wait_dscnt 0x0
	v_and_b32_e32 v63, 0xffff, v62
	v_xor_b32_e32 v62, 0xffff8000, v62
	s_delay_alu instid0(VALU_DEP_2) | instskip(NEXT) | instid1(VALU_DEP_1)
	v_lshrrev_b32_e32 v63, s43, v63
	v_and_b32_e32 v63, s48, v63
	s_delay_alu instid0(VALU_DEP_1)
	v_lshlrev_b32_e32 v63, 2, v63
	ds_load_b32 v63, v63
	s_wait_dscnt 0x0
	v_add_nc_u32_e32 v63, v63, v76
	global_store_b16 v63, v62, s[38:39] scale_offset
	s_wait_xcnt 0x0
	s_or_b32 exec_lo, exec_lo, s28
	v_cmp_lt_u32_e64 s28, v77, v141
	s_and_saveexec_b32 s29, s28
	s_cbranch_execz .LBB1038_205
.LBB1038_277:                           ;   in Loop: Header=BB1038_108 Depth=2
	ds_load_u16 v62, v94 offset:6656
	s_wait_dscnt 0x0
	v_and_b32_e32 v63, 0xffff, v62
	v_xor_b32_e32 v62, 0xffff8000, v62
	s_delay_alu instid0(VALU_DEP_2) | instskip(NEXT) | instid1(VALU_DEP_1)
	v_lshrrev_b32_e32 v63, s43, v63
	v_and_b32_e32 v63, s48, v63
	s_delay_alu instid0(VALU_DEP_1)
	v_lshlrev_b32_e32 v63, 2, v63
	ds_load_b32 v63, v63
	s_wait_dscnt 0x0
	v_add_nc_u32_e32 v63, v63, v77
	global_store_b16 v63, v62, s[38:39] scale_offset
	s_wait_xcnt 0x0
	s_or_b32 exec_lo, exec_lo, s29
	v_cmp_lt_u32_e64 s29, v78, v141
	s_and_saveexec_b32 s30, s29
	s_cbranch_execz .LBB1038_206
.LBB1038_278:                           ;   in Loop: Header=BB1038_108 Depth=2
	ds_load_u16 v62, v94 offset:7168
	s_wait_dscnt 0x0
	v_and_b32_e32 v63, 0xffff, v62
	v_xor_b32_e32 v62, 0xffff8000, v62
	s_delay_alu instid0(VALU_DEP_2) | instskip(NEXT) | instid1(VALU_DEP_1)
	v_lshrrev_b32_e32 v63, s43, v63
	v_and_b32_e32 v63, s48, v63
	s_delay_alu instid0(VALU_DEP_1)
	v_lshlrev_b32_e32 v63, 2, v63
	ds_load_b32 v63, v63
	s_wait_dscnt 0x0
	v_add_nc_u32_e32 v63, v63, v78
	global_store_b16 v63, v62, s[38:39] scale_offset
	s_wait_xcnt 0x0
	s_or_b32 exec_lo, exec_lo, s30
	v_cmp_lt_u32_e64 s30, v79, v141
	s_and_saveexec_b32 s31, s30
	s_cbranch_execz .LBB1038_207
.LBB1038_279:                           ;   in Loop: Header=BB1038_108 Depth=2
	ds_load_u16 v62, v94 offset:7680
	s_wait_dscnt 0x0
	v_and_b32_e32 v63, 0xffff, v62
	v_xor_b32_e32 v62, 0xffff8000, v62
	s_delay_alu instid0(VALU_DEP_2) | instskip(NEXT) | instid1(VALU_DEP_1)
	v_lshrrev_b32_e32 v63, s43, v63
	v_and_b32_e32 v63, s48, v63
	s_delay_alu instid0(VALU_DEP_1)
	v_lshlrev_b32_e32 v63, 2, v63
	ds_load_b32 v63, v63
	s_wait_dscnt 0x0
	v_add_nc_u32_e32 v63, v63, v79
	global_store_b16 v63, v62, s[38:39] scale_offset
	s_wait_xcnt 0x0
	s_or_b32 exec_lo, exec_lo, s31
	v_cmp_lt_u32_e64 s31, v80, v141
	s_and_saveexec_b32 s33, s31
	s_cbranch_execz .LBB1038_208
.LBB1038_280:                           ;   in Loop: Header=BB1038_108 Depth=2
	ds_load_u16 v62, v94 offset:8192
	s_wait_dscnt 0x0
	v_and_b32_e32 v63, 0xffff, v62
	v_xor_b32_e32 v62, 0xffff8000, v62
	s_delay_alu instid0(VALU_DEP_2) | instskip(NEXT) | instid1(VALU_DEP_1)
	v_lshrrev_b32_e32 v63, s43, v63
	v_and_b32_e32 v63, s48, v63
	s_delay_alu instid0(VALU_DEP_1)
	v_lshlrev_b32_e32 v63, 2, v63
	ds_load_b32 v63, v63
	s_wait_dscnt 0x0
	v_add_nc_u32_e32 v63, v63, v80
	global_store_b16 v63, v62, s[38:39] scale_offset
	s_wait_xcnt 0x0
	s_or_b32 exec_lo, exec_lo, s33
	v_cmp_lt_u32_e64 s33, v81, v141
	s_and_saveexec_b32 s60, s33
	s_cbranch_execnz .LBB1038_209
	s_branch .LBB1038_210
.LBB1038_281:                           ;   in Loop: Header=BB1038_108 Depth=2
	global_load_b64 v[60:61], v[62:63], off
	s_wait_xcnt 0x0
	s_or_b32 exec_lo, exec_lo, s34
	s_delay_alu instid0(SALU_CYCLE_1)
	s_mov_b32 s60, exec_lo
	v_cmpx_lt_u32_e64 v105, v141
	s_cbranch_execz .LBB1038_212
.LBB1038_282:                           ;   in Loop: Header=BB1038_108 Depth=2
	global_load_b64 v[58:59], v[62:63], off offset:256
	s_wait_xcnt 0x0
	s_or_b32 exec_lo, exec_lo, s60
	s_delay_alu instid0(SALU_CYCLE_1)
	s_mov_b32 s60, exec_lo
	v_cmpx_lt_u32_e64 v106, v141
	s_cbranch_execz .LBB1038_213
.LBB1038_283:                           ;   in Loop: Header=BB1038_108 Depth=2
	global_load_b64 v[56:57], v[62:63], off offset:512
	s_wait_xcnt 0x0
	s_or_b32 exec_lo, exec_lo, s60
	s_delay_alu instid0(SALU_CYCLE_1)
	s_mov_b32 s60, exec_lo
	v_cmpx_lt_u32_e64 v107, v141
	s_cbranch_execz .LBB1038_214
.LBB1038_284:                           ;   in Loop: Header=BB1038_108 Depth=2
	global_load_b64 v[54:55], v[62:63], off offset:768
	s_wait_xcnt 0x0
	s_or_b32 exec_lo, exec_lo, s60
	s_delay_alu instid0(SALU_CYCLE_1)
	s_mov_b32 s60, exec_lo
	v_cmpx_lt_u32_e64 v108, v141
	s_cbranch_execz .LBB1038_215
.LBB1038_285:                           ;   in Loop: Header=BB1038_108 Depth=2
	global_load_b64 v[52:53], v[62:63], off offset:1024
	s_wait_xcnt 0x0
	s_or_b32 exec_lo, exec_lo, s60
	s_delay_alu instid0(SALU_CYCLE_1)
	s_mov_b32 s60, exec_lo
	v_cmpx_lt_u32_e64 v109, v141
	s_cbranch_execz .LBB1038_216
.LBB1038_286:                           ;   in Loop: Header=BB1038_108 Depth=2
	global_load_b64 v[50:51], v[62:63], off offset:1280
	s_wait_xcnt 0x0
	s_or_b32 exec_lo, exec_lo, s60
	s_delay_alu instid0(SALU_CYCLE_1)
	s_mov_b32 s60, exec_lo
	v_cmpx_lt_u32_e64 v110, v141
	s_cbranch_execz .LBB1038_217
.LBB1038_287:                           ;   in Loop: Header=BB1038_108 Depth=2
	global_load_b64 v[48:49], v[62:63], off offset:1536
	s_wait_xcnt 0x0
	s_or_b32 exec_lo, exec_lo, s60
	s_delay_alu instid0(SALU_CYCLE_1)
	s_mov_b32 s60, exec_lo
	v_cmpx_lt_u32_e64 v111, v141
	s_cbranch_execz .LBB1038_218
.LBB1038_288:                           ;   in Loop: Header=BB1038_108 Depth=2
	global_load_b64 v[46:47], v[62:63], off offset:1792
	s_wait_xcnt 0x0
	s_or_b32 exec_lo, exec_lo, s60
	s_delay_alu instid0(SALU_CYCLE_1)
	s_mov_b32 s60, exec_lo
	v_cmpx_lt_u32_e64 v112, v141
	s_cbranch_execz .LBB1038_219
.LBB1038_289:                           ;   in Loop: Header=BB1038_108 Depth=2
	global_load_b64 v[44:45], v[62:63], off offset:2048
	s_wait_xcnt 0x0
	s_or_b32 exec_lo, exec_lo, s60
	s_delay_alu instid0(SALU_CYCLE_1)
	s_mov_b32 s60, exec_lo
	v_cmpx_lt_u32_e64 v113, v141
	s_cbranch_execz .LBB1038_220
.LBB1038_290:                           ;   in Loop: Header=BB1038_108 Depth=2
	global_load_b64 v[42:43], v[62:63], off offset:2304
	s_wait_xcnt 0x0
	s_or_b32 exec_lo, exec_lo, s60
	s_delay_alu instid0(SALU_CYCLE_1)
	s_mov_b32 s60, exec_lo
	v_cmpx_lt_u32_e64 v114, v141
	s_cbranch_execz .LBB1038_221
.LBB1038_291:                           ;   in Loop: Header=BB1038_108 Depth=2
	global_load_b64 v[40:41], v[62:63], off offset:2560
	s_wait_xcnt 0x0
	s_or_b32 exec_lo, exec_lo, s60
	s_delay_alu instid0(SALU_CYCLE_1)
	s_mov_b32 s60, exec_lo
	v_cmpx_lt_u32_e64 v115, v141
	s_cbranch_execz .LBB1038_222
.LBB1038_292:                           ;   in Loop: Header=BB1038_108 Depth=2
	global_load_b64 v[38:39], v[62:63], off offset:2816
	s_wait_xcnt 0x0
	s_or_b32 exec_lo, exec_lo, s60
	s_delay_alu instid0(SALU_CYCLE_1)
	s_mov_b32 s60, exec_lo
	v_cmpx_lt_u32_e64 v116, v141
	s_cbranch_execz .LBB1038_223
.LBB1038_293:                           ;   in Loop: Header=BB1038_108 Depth=2
	global_load_b64 v[36:37], v[62:63], off offset:3072
	s_wait_xcnt 0x0
	s_or_b32 exec_lo, exec_lo, s60
	s_delay_alu instid0(SALU_CYCLE_1)
	s_mov_b32 s60, exec_lo
	v_cmpx_lt_u32_e64 v117, v141
	s_cbranch_execz .LBB1038_224
.LBB1038_294:                           ;   in Loop: Header=BB1038_108 Depth=2
	global_load_b64 v[34:35], v[62:63], off offset:3328
	s_wait_xcnt 0x0
	s_or_b32 exec_lo, exec_lo, s60
	s_delay_alu instid0(SALU_CYCLE_1)
	s_mov_b32 s60, exec_lo
	v_cmpx_lt_u32_e64 v118, v141
	s_cbranch_execz .LBB1038_225
.LBB1038_295:                           ;   in Loop: Header=BB1038_108 Depth=2
	global_load_b64 v[32:33], v[62:63], off offset:3584
	s_wait_xcnt 0x0
	s_or_b32 exec_lo, exec_lo, s60
	s_delay_alu instid0(SALU_CYCLE_1)
	s_mov_b32 s60, exec_lo
	v_cmpx_lt_u32_e64 v119, v141
	s_cbranch_execz .LBB1038_226
.LBB1038_296:                           ;   in Loop: Header=BB1038_108 Depth=2
	global_load_b64 v[30:31], v[62:63], off offset:3840
	s_wait_xcnt 0x0
	s_or_b32 exec_lo, exec_lo, s60
	s_delay_alu instid0(SALU_CYCLE_1)
	s_mov_b32 s60, exec_lo
	v_cmpx_lt_u32_e64 v120, v141
	s_cbranch_execz .LBB1038_227
.LBB1038_297:                           ;   in Loop: Header=BB1038_108 Depth=2
	global_load_b64 v[28:29], v[62:63], off offset:4096
	s_wait_xcnt 0x0
	s_or_b32 exec_lo, exec_lo, s60
	s_and_saveexec_b32 s34, vcc_lo
	s_cbranch_execz .LBB1038_228
.LBB1038_298:                           ;   in Loop: Header=BB1038_108 Depth=2
	ds_load_u16 v62, v94 offset:512
	s_wait_dscnt 0x0
	v_lshrrev_b32_e32 v62, s43, v62
	s_delay_alu instid0(VALU_DEP_1)
	v_and_b32_e32 v139, s48, v62
	s_or_b32 exec_lo, exec_lo, s34
	s_and_saveexec_b32 s34, s17
	s_cbranch_execz .LBB1038_229
.LBB1038_299:                           ;   in Loop: Header=BB1038_108 Depth=2
	ds_load_u16 v62, v94 offset:1024
	s_wait_dscnt 0x0
	v_lshrrev_b32_e32 v62, s43, v62
	s_delay_alu instid0(VALU_DEP_1)
	v_and_b32_e32 v138, s48, v62
	s_or_b32 exec_lo, exec_lo, s34
	s_and_saveexec_b32 s34, s18
	s_cbranch_execz .LBB1038_230
.LBB1038_300:                           ;   in Loop: Header=BB1038_108 Depth=2
	ds_load_u16 v62, v94 offset:1536
	s_wait_dscnt 0x0
	v_lshrrev_b32_e32 v62, s43, v62
	s_delay_alu instid0(VALU_DEP_1)
	v_and_b32_e32 v136, s48, v62
	s_or_b32 exec_lo, exec_lo, s34
	s_and_saveexec_b32 s34, s19
	s_cbranch_execz .LBB1038_231
.LBB1038_301:                           ;   in Loop: Header=BB1038_108 Depth=2
	ds_load_u16 v62, v94 offset:2048
	s_wait_dscnt 0x0
	v_lshrrev_b32_e32 v62, s43, v62
	s_delay_alu instid0(VALU_DEP_1)
	v_and_b32_e32 v135, s48, v62
	s_or_b32 exec_lo, exec_lo, s34
	s_and_saveexec_b32 s34, s20
	s_cbranch_execz .LBB1038_232
.LBB1038_302:                           ;   in Loop: Header=BB1038_108 Depth=2
	ds_load_u16 v62, v94 offset:2560
	s_wait_dscnt 0x0
	v_lshrrev_b32_e32 v62, s43, v62
	s_delay_alu instid0(VALU_DEP_1)
	v_and_b32_e32 v134, s48, v62
	s_or_b32 exec_lo, exec_lo, s34
	s_and_saveexec_b32 s34, s21
	s_cbranch_execz .LBB1038_233
.LBB1038_303:                           ;   in Loop: Header=BB1038_108 Depth=2
	ds_load_u16 v62, v94 offset:3072
	s_wait_dscnt 0x0
	v_lshrrev_b32_e32 v62, s43, v62
	s_delay_alu instid0(VALU_DEP_1)
	v_and_b32_e32 v133, s48, v62
	s_or_b32 exec_lo, exec_lo, s34
	s_and_saveexec_b32 s34, s22
	s_cbranch_execz .LBB1038_234
.LBB1038_304:                           ;   in Loop: Header=BB1038_108 Depth=2
	ds_load_u16 v62, v94 offset:3584
	s_wait_dscnt 0x0
	v_lshrrev_b32_e32 v62, s43, v62
	s_delay_alu instid0(VALU_DEP_1)
	v_and_b32_e32 v132, s48, v62
	s_or_b32 exec_lo, exec_lo, s34
	s_and_saveexec_b32 s34, s23
	s_cbranch_execz .LBB1038_235
.LBB1038_305:                           ;   in Loop: Header=BB1038_108 Depth=2
	ds_load_u16 v62, v94 offset:4096
	s_wait_dscnt 0x0
	v_lshrrev_b32_e32 v62, s43, v62
	s_delay_alu instid0(VALU_DEP_1)
	v_and_b32_e32 v131, s48, v62
	s_or_b32 exec_lo, exec_lo, s34
	s_and_saveexec_b32 s34, s24
	s_cbranch_execz .LBB1038_236
.LBB1038_306:                           ;   in Loop: Header=BB1038_108 Depth=2
	ds_load_u16 v62, v94 offset:4608
	s_wait_dscnt 0x0
	v_lshrrev_b32_e32 v62, s43, v62
	s_delay_alu instid0(VALU_DEP_1)
	v_and_b32_e32 v130, s48, v62
	s_or_b32 exec_lo, exec_lo, s34
	s_and_saveexec_b32 s34, s25
	s_cbranch_execz .LBB1038_237
.LBB1038_307:                           ;   in Loop: Header=BB1038_108 Depth=2
	ds_load_u16 v62, v94 offset:5120
	s_wait_dscnt 0x0
	v_lshrrev_b32_e32 v62, s43, v62
	s_delay_alu instid0(VALU_DEP_1)
	v_and_b32_e32 v129, s48, v62
	s_or_b32 exec_lo, exec_lo, s34
	s_and_saveexec_b32 s34, s26
	s_cbranch_execz .LBB1038_238
.LBB1038_308:                           ;   in Loop: Header=BB1038_108 Depth=2
	ds_load_u16 v62, v94 offset:5632
	s_wait_dscnt 0x0
	v_lshrrev_b32_e32 v62, s43, v62
	s_delay_alu instid0(VALU_DEP_1)
	v_and_b32_e32 v128, s48, v62
	s_or_b32 exec_lo, exec_lo, s34
	s_and_saveexec_b32 s34, s27
	s_cbranch_execz .LBB1038_239
.LBB1038_309:                           ;   in Loop: Header=BB1038_108 Depth=2
	ds_load_u16 v62, v94 offset:6144
	s_wait_dscnt 0x0
	v_lshrrev_b32_e32 v62, s43, v62
	s_delay_alu instid0(VALU_DEP_1)
	v_and_b32_e32 v127, s48, v62
	s_or_b32 exec_lo, exec_lo, s34
	s_and_saveexec_b32 s34, s28
	s_cbranch_execz .LBB1038_240
.LBB1038_310:                           ;   in Loop: Header=BB1038_108 Depth=2
	ds_load_u16 v62, v94 offset:6656
	s_wait_dscnt 0x0
	v_lshrrev_b32_e32 v62, s43, v62
	s_delay_alu instid0(VALU_DEP_1)
	v_and_b32_e32 v126, s48, v62
	s_or_b32 exec_lo, exec_lo, s34
	s_and_saveexec_b32 s34, s29
	s_cbranch_execz .LBB1038_241
.LBB1038_311:                           ;   in Loop: Header=BB1038_108 Depth=2
	ds_load_u16 v62, v94 offset:7168
	s_wait_dscnt 0x0
	v_lshrrev_b32_e32 v62, s43, v62
	s_delay_alu instid0(VALU_DEP_1)
	v_and_b32_e32 v125, s48, v62
	s_or_b32 exec_lo, exec_lo, s34
	s_and_saveexec_b32 s34, s30
	s_cbranch_execz .LBB1038_242
.LBB1038_312:                           ;   in Loop: Header=BB1038_108 Depth=2
	ds_load_u16 v62, v94 offset:7680
	s_wait_dscnt 0x0
	v_lshrrev_b32_e32 v62, s43, v62
	s_delay_alu instid0(VALU_DEP_1)
	v_and_b32_e32 v124, s48, v62
	s_or_b32 exec_lo, exec_lo, s34
	s_and_saveexec_b32 s34, s31
	s_cbranch_execz .LBB1038_243
.LBB1038_313:                           ;   in Loop: Header=BB1038_108 Depth=2
	ds_load_u16 v62, v94 offset:8192
	s_wait_dscnt 0x0
	v_lshrrev_b32_e32 v62, s43, v62
	s_delay_alu instid0(VALU_DEP_1)
	v_and_b32_e32 v123, s48, v62
	s_or_b32 exec_lo, exec_lo, s34
	s_and_saveexec_b32 s34, s33
	s_cbranch_execnz .LBB1038_244
	s_branch .LBB1038_245
.LBB1038_314:                           ;   in Loop: Header=BB1038_108 Depth=2
	v_lshlrev_b32_e32 v62, 2, v139
	v_add_nc_u32_e32 v63, v94, v95
	ds_load_b32 v64, v62
	ds_load_b64 v[62:63], v63 offset:512
	s_wait_dscnt 0x1
	v_add_nc_u32_e32 v64, v64, v2
	s_wait_dscnt 0x0
	global_store_b64 v64, v[62:63], s[44:45] scale_offset
	s_wait_xcnt 0x0
	s_or_b32 exec_lo, exec_lo, s34
	s_and_saveexec_b32 s34, s17
	s_cbranch_execz .LBB1038_247
.LBB1038_315:                           ;   in Loop: Header=BB1038_108 Depth=2
	v_dual_lshlrev_b32 v62, 2, v138 :: v_dual_add_nc_u32 v63, v94, v95
	ds_load_b32 v64, v62
	ds_load_b64 v[62:63], v63 offset:2560
	s_wait_dscnt 0x1
	v_add_nc_u32_e32 v64, v64, v66
	s_wait_dscnt 0x0
	global_store_b64 v64, v[62:63], s[44:45] scale_offset
	s_wait_xcnt 0x0
	s_or_b32 exec_lo, exec_lo, s34
	s_and_saveexec_b32 s17, s18
	s_cbranch_execz .LBB1038_248
.LBB1038_316:                           ;   in Loop: Header=BB1038_108 Depth=2
	v_dual_lshlrev_b32 v62, 2, v136 :: v_dual_add_nc_u32 v63, v94, v95
	ds_load_b32 v64, v62
	ds_load_b64 v[62:63], v63 offset:4608
	s_wait_dscnt 0x1
	v_add_nc_u32_e32 v64, v64, v67
	s_wait_dscnt 0x0
	global_store_b64 v64, v[62:63], s[44:45] scale_offset
	s_wait_xcnt 0x0
	s_or_b32 exec_lo, exec_lo, s17
	s_and_saveexec_b32 s17, s19
	s_cbranch_execz .LBB1038_249
.LBB1038_317:                           ;   in Loop: Header=BB1038_108 Depth=2
	v_lshlrev_b32_e32 v62, 2, v135
	v_add_nc_u32_e32 v63, v94, v95
	ds_load_b32 v64, v62
	ds_load_b64 v[62:63], v63 offset:6656
	s_wait_dscnt 0x1
	v_add_nc_u32_e32 v64, v64, v68
	s_wait_dscnt 0x0
	global_store_b64 v64, v[62:63], s[44:45] scale_offset
	s_wait_xcnt 0x0
	s_or_b32 exec_lo, exec_lo, s17
	s_and_saveexec_b32 s17, s20
	s_cbranch_execz .LBB1038_250
.LBB1038_318:                           ;   in Loop: Header=BB1038_108 Depth=2
	v_dual_lshlrev_b32 v62, 2, v134 :: v_dual_add_nc_u32 v63, v94, v95
	ds_load_b32 v64, v62
	ds_load_b64 v[62:63], v63 offset:8704
	s_wait_dscnt 0x1
	v_add_nc_u32_e32 v64, v64, v69
	s_wait_dscnt 0x0
	global_store_b64 v64, v[62:63], s[44:45] scale_offset
	s_wait_xcnt 0x0
	s_or_b32 exec_lo, exec_lo, s17
	s_and_saveexec_b32 s17, s21
	s_cbranch_execz .LBB1038_251
.LBB1038_319:                           ;   in Loop: Header=BB1038_108 Depth=2
	v_dual_lshlrev_b32 v62, 2, v133 :: v_dual_add_nc_u32 v63, v94, v95
	ds_load_b32 v64, v62
	ds_load_b64 v[62:63], v63 offset:10752
	s_wait_dscnt 0x1
	v_add_nc_u32_e32 v64, v64, v70
	s_wait_dscnt 0x0
	global_store_b64 v64, v[62:63], s[44:45] scale_offset
	s_wait_xcnt 0x0
	s_or_b32 exec_lo, exec_lo, s17
	s_and_saveexec_b32 s17, s22
	s_cbranch_execz .LBB1038_252
.LBB1038_320:                           ;   in Loop: Header=BB1038_108 Depth=2
	v_dual_lshlrev_b32 v62, 2, v132 :: v_dual_add_nc_u32 v63, v94, v95
	ds_load_b32 v64, v62
	ds_load_b64 v[62:63], v63 offset:12800
	s_wait_dscnt 0x1
	v_add_nc_u32_e32 v64, v64, v71
	s_wait_dscnt 0x0
	global_store_b64 v64, v[62:63], s[44:45] scale_offset
	s_wait_xcnt 0x0
	s_or_b32 exec_lo, exec_lo, s17
	s_and_saveexec_b32 s17, s23
	s_cbranch_execz .LBB1038_253
.LBB1038_321:                           ;   in Loop: Header=BB1038_108 Depth=2
	v_lshlrev_b32_e32 v62, 2, v131
	v_add_nc_u32_e32 v63, v94, v95
	ds_load_b32 v64, v62
	ds_load_b64 v[62:63], v63 offset:14848
	s_wait_dscnt 0x1
	v_add_nc_u32_e32 v64, v64, v72
	s_wait_dscnt 0x0
	global_store_b64 v64, v[62:63], s[44:45] scale_offset
	s_wait_xcnt 0x0
	s_or_b32 exec_lo, exec_lo, s17
	s_and_saveexec_b32 s17, s24
	s_cbranch_execz .LBB1038_254
.LBB1038_322:                           ;   in Loop: Header=BB1038_108 Depth=2
	v_dual_lshlrev_b32 v62, 2, v130 :: v_dual_add_nc_u32 v63, v94, v95
	ds_load_b32 v64, v62
	ds_load_b64 v[62:63], v63 offset:16896
	s_wait_dscnt 0x1
	v_add_nc_u32_e32 v64, v64, v73
	s_wait_dscnt 0x0
	global_store_b64 v64, v[62:63], s[44:45] scale_offset
	s_wait_xcnt 0x0
	s_or_b32 exec_lo, exec_lo, s17
	s_and_saveexec_b32 s17, s25
	s_cbranch_execz .LBB1038_255
.LBB1038_323:                           ;   in Loop: Header=BB1038_108 Depth=2
	v_dual_lshlrev_b32 v62, 2, v129 :: v_dual_add_nc_u32 v63, v94, v95
	ds_load_b32 v64, v62
	ds_load_b64 v[62:63], v63 offset:18944
	s_wait_dscnt 0x1
	v_add_nc_u32_e32 v64, v64, v74
	s_wait_dscnt 0x0
	global_store_b64 v64, v[62:63], s[44:45] scale_offset
	s_wait_xcnt 0x0
	s_or_b32 exec_lo, exec_lo, s17
	s_and_saveexec_b32 s17, s26
	s_cbranch_execz .LBB1038_256
.LBB1038_324:                           ;   in Loop: Header=BB1038_108 Depth=2
	v_dual_lshlrev_b32 v62, 2, v128 :: v_dual_add_nc_u32 v63, v94, v95
	ds_load_b32 v64, v62
	ds_load_b64 v[62:63], v63 offset:20992
	s_wait_dscnt 0x1
	v_add_nc_u32_e32 v64, v64, v75
	s_wait_dscnt 0x0
	global_store_b64 v64, v[62:63], s[44:45] scale_offset
	s_wait_xcnt 0x0
	s_or_b32 exec_lo, exec_lo, s17
	s_and_saveexec_b32 s17, s27
	s_cbranch_execz .LBB1038_257
.LBB1038_325:                           ;   in Loop: Header=BB1038_108 Depth=2
	v_lshlrev_b32_e32 v62, 2, v127
	v_add_nc_u32_e32 v63, v94, v95
	ds_load_b32 v64, v62
	ds_load_b64 v[62:63], v63 offset:23040
	s_wait_dscnt 0x1
	v_add_nc_u32_e32 v64, v64, v76
	s_wait_dscnt 0x0
	global_store_b64 v64, v[62:63], s[44:45] scale_offset
	s_wait_xcnt 0x0
	s_or_b32 exec_lo, exec_lo, s17
	s_and_saveexec_b32 s17, s28
	s_cbranch_execz .LBB1038_258
.LBB1038_326:                           ;   in Loop: Header=BB1038_108 Depth=2
	v_dual_lshlrev_b32 v62, 2, v126 :: v_dual_add_nc_u32 v63, v94, v95
	ds_load_b32 v64, v62
	ds_load_b64 v[62:63], v63 offset:25088
	s_wait_dscnt 0x1
	v_add_nc_u32_e32 v64, v64, v77
	s_wait_dscnt 0x0
	global_store_b64 v64, v[62:63], s[44:45] scale_offset
	s_wait_xcnt 0x0
	s_or_b32 exec_lo, exec_lo, s17
	s_and_saveexec_b32 s17, s29
	s_cbranch_execz .LBB1038_259
.LBB1038_327:                           ;   in Loop: Header=BB1038_108 Depth=2
	v_dual_lshlrev_b32 v62, 2, v125 :: v_dual_add_nc_u32 v63, v94, v95
	ds_load_b32 v64, v62
	ds_load_b64 v[62:63], v63 offset:27136
	s_wait_dscnt 0x1
	v_add_nc_u32_e32 v64, v64, v78
	s_wait_dscnt 0x0
	global_store_b64 v64, v[62:63], s[44:45] scale_offset
	s_wait_xcnt 0x0
	s_or_b32 exec_lo, exec_lo, s17
	s_and_saveexec_b32 s17, s30
	s_cbranch_execz .LBB1038_260
.LBB1038_328:                           ;   in Loop: Header=BB1038_108 Depth=2
	v_dual_lshlrev_b32 v62, 2, v124 :: v_dual_add_nc_u32 v63, v94, v95
	ds_load_b32 v64, v62
	ds_load_b64 v[62:63], v63 offset:29184
	s_wait_dscnt 0x1
	v_add_nc_u32_e32 v64, v64, v79
	s_wait_dscnt 0x0
	global_store_b64 v64, v[62:63], s[44:45] scale_offset
	s_wait_xcnt 0x0
	s_or_b32 exec_lo, exec_lo, s17
	s_and_saveexec_b32 s17, s31
	s_cbranch_execz .LBB1038_261
.LBB1038_329:                           ;   in Loop: Header=BB1038_108 Depth=2
	v_lshlrev_b32_e32 v62, 2, v123
	v_add_nc_u32_e32 v63, v94, v95
	ds_load_b32 v64, v62
	ds_load_b64 v[62:63], v63 offset:31232
	s_wait_dscnt 0x1
	v_add_nc_u32_e32 v64, v64, v80
	s_wait_dscnt 0x0
	global_store_b64 v64, v[62:63], s[44:45] scale_offset
	s_wait_xcnt 0x0
	s_or_b32 exec_lo, exec_lo, s17
	s_and_saveexec_b32 s17, s33
	s_cbranch_execnz .LBB1038_262
	s_branch .LBB1038_263
.LBB1038_330:                           ;   in Loop: Header=BB1038_20 Depth=1
	s_wait_dscnt 0x0
	s_barrier_signal -1
	s_mov_b32 s9, 0
	s_barrier_wait -1
.LBB1038_331:                           ;   in Loop: Header=BB1038_20 Depth=1
	s_and_b32 vcc_lo, exec_lo, s9
	s_cbranch_vccz .LBB1038_641
; %bb.332:                              ;   in Loop: Header=BB1038_20 Depth=1
	s_mov_b32 s9, s57
	s_mov_b32 s34, s55
	s_barrier_signal -1
	s_barrier_wait -1
                                        ; implicit-def: $vgpr23
                                        ; implicit-def: $vgpr24
                                        ; implicit-def: $vgpr25
                                        ; implicit-def: $vgpr26
                                        ; implicit-def: $vgpr27
                                        ; implicit-def: $vgpr28
                                        ; implicit-def: $vgpr29
                                        ; implicit-def: $vgpr30
                                        ; implicit-def: $vgpr31
                                        ; implicit-def: $vgpr32
                                        ; implicit-def: $vgpr33
                                        ; implicit-def: $vgpr34
                                        ; implicit-def: $vgpr35
                                        ; implicit-def: $vgpr36
                                        ; implicit-def: $vgpr37
                                        ; implicit-def: $vgpr38
                                        ; implicit-def: $vgpr39
	s_branch .LBB1038_334
.LBB1038_333:                           ;   in Loop: Header=BB1038_334 Depth=2
	s_or_b32 exec_lo, exec_lo, s10
	s_addk_co_i32 s9, 0xef00
	s_cmp_ge_u32 s12, s54
	s_mov_b32 s34, s12
	s_cbranch_scc1 .LBB1038_406
.LBB1038_334:                           ;   Parent Loop BB1038_20 Depth=1
                                        ; =>  This Inner Loop Header: Depth=2
	s_add_co_i32 s12, s34, 0x1100
	s_mov_b32 s10, -1
	s_cmp_gt_u32 s12, s54
                                        ; implicit-def: $vgpr40
                                        ; implicit-def: $vgpr41
                                        ; implicit-def: $vgpr42
                                        ; implicit-def: $vgpr43
                                        ; implicit-def: $vgpr44
                                        ; implicit-def: $vgpr45
                                        ; implicit-def: $vgpr46
                                        ; implicit-def: $vgpr47
                                        ; implicit-def: $vgpr48
                                        ; implicit-def: $vgpr49
                                        ; implicit-def: $vgpr50
                                        ; implicit-def: $vgpr51
                                        ; implicit-def: $vgpr52
                                        ; implicit-def: $vgpr53
                                        ; implicit-def: $vgpr54
                                        ; implicit-def: $vgpr55
                                        ; implicit-def: $vgpr56
	s_cbranch_scc1 .LBB1038_336
; %bb.335:                              ;   in Loop: Header=BB1038_334 Depth=2
	v_lshl_add_u64 v[58:59], s[34:35], 1, v[10:11]
	s_mov_b32 s10, 0
	s_clause 0x10
	global_load_u16 v40, v[58:59], off
	global_load_u16 v41, v[58:59], off offset:512
	global_load_u16 v42, v[58:59], off offset:1024
	global_load_u16 v43, v[58:59], off offset:1536
	global_load_u16 v44, v[58:59], off offset:2048
	global_load_u16 v45, v[58:59], off offset:2560
	global_load_u16 v46, v[58:59], off offset:3072
	global_load_u16 v47, v[58:59], off offset:3584
	global_load_u16 v48, v[58:59], off offset:4096
	global_load_u16 v49, v[58:59], off offset:4608
	global_load_u16 v50, v[58:59], off offset:5120
	global_load_u16 v51, v[58:59], off offset:5632
	global_load_u16 v52, v[58:59], off offset:6144
	global_load_u16 v53, v[58:59], off offset:6656
	global_load_u16 v54, v[58:59], off offset:7168
	global_load_u16 v55, v[58:59], off offset:7680
	global_load_u16 v56, v[58:59], off offset:8192
.LBB1038_336:                           ;   in Loop: Header=BB1038_334 Depth=2
	s_and_not1_b32 vcc_lo, exec_lo, s10
	s_movk_i32 s10, 0x1100
	s_cbranch_vccnz .LBB1038_356
; %bb.337:                              ;   in Loop: Header=BB1038_334 Depth=2
	s_lshl_b64 s[10:11], s[34:35], 1
	s_mov_b32 s13, exec_lo
	s_add_nc_u64 s[10:11], s[38:39], s[10:11]
	s_wait_xcnt 0x0
	v_cmpx_gt_u32_e64 s9, v2
	s_cbranch_execnz .LBB1038_390
; %bb.338:                              ;   in Loop: Header=BB1038_334 Depth=2
	s_or_b32 exec_lo, exec_lo, s13
	s_delay_alu instid0(SALU_CYCLE_1)
	s_mov_b32 s13, exec_lo
	v_cmpx_gt_u32_e64 s9, v66
	s_cbranch_execnz .LBB1038_391
.LBB1038_339:                           ;   in Loop: Header=BB1038_334 Depth=2
	s_or_b32 exec_lo, exec_lo, s13
	s_delay_alu instid0(SALU_CYCLE_1)
	s_mov_b32 s13, exec_lo
	v_cmpx_gt_u32_e64 s9, v67
	s_cbranch_execnz .LBB1038_392
.LBB1038_340:                           ;   in Loop: Header=BB1038_334 Depth=2
	s_or_b32 exec_lo, exec_lo, s13
	s_delay_alu instid0(SALU_CYCLE_1)
	s_mov_b32 s13, exec_lo
	v_cmpx_gt_u32_e64 s9, v68
	s_cbranch_execnz .LBB1038_393
.LBB1038_341:                           ;   in Loop: Header=BB1038_334 Depth=2
	s_or_b32 exec_lo, exec_lo, s13
	s_delay_alu instid0(SALU_CYCLE_1)
	s_mov_b32 s13, exec_lo
	v_cmpx_gt_u32_e64 s9, v69
	s_cbranch_execnz .LBB1038_394
.LBB1038_342:                           ;   in Loop: Header=BB1038_334 Depth=2
	s_or_b32 exec_lo, exec_lo, s13
	s_delay_alu instid0(SALU_CYCLE_1)
	s_mov_b32 s13, exec_lo
	v_cmpx_gt_u32_e64 s9, v70
	s_cbranch_execnz .LBB1038_395
.LBB1038_343:                           ;   in Loop: Header=BB1038_334 Depth=2
	s_or_b32 exec_lo, exec_lo, s13
	s_delay_alu instid0(SALU_CYCLE_1)
	s_mov_b32 s13, exec_lo
	v_cmpx_gt_u32_e64 s9, v71
	s_cbranch_execnz .LBB1038_396
.LBB1038_344:                           ;   in Loop: Header=BB1038_334 Depth=2
	s_or_b32 exec_lo, exec_lo, s13
	s_delay_alu instid0(SALU_CYCLE_1)
	s_mov_b32 s13, exec_lo
	v_cmpx_gt_u32_e64 s9, v72
	s_cbranch_execnz .LBB1038_397
.LBB1038_345:                           ;   in Loop: Header=BB1038_334 Depth=2
	s_or_b32 exec_lo, exec_lo, s13
	s_delay_alu instid0(SALU_CYCLE_1)
	s_mov_b32 s13, exec_lo
	v_cmpx_gt_u32_e64 s9, v73
	s_cbranch_execnz .LBB1038_398
.LBB1038_346:                           ;   in Loop: Header=BB1038_334 Depth=2
	s_or_b32 exec_lo, exec_lo, s13
	s_delay_alu instid0(SALU_CYCLE_1)
	s_mov_b32 s13, exec_lo
	v_cmpx_gt_u32_e64 s9, v74
	s_cbranch_execnz .LBB1038_399
.LBB1038_347:                           ;   in Loop: Header=BB1038_334 Depth=2
	s_or_b32 exec_lo, exec_lo, s13
	s_delay_alu instid0(SALU_CYCLE_1)
	s_mov_b32 s13, exec_lo
	v_cmpx_gt_u32_e64 s9, v75
	s_cbranch_execnz .LBB1038_400
.LBB1038_348:                           ;   in Loop: Header=BB1038_334 Depth=2
	s_or_b32 exec_lo, exec_lo, s13
	s_delay_alu instid0(SALU_CYCLE_1)
	s_mov_b32 s13, exec_lo
	v_cmpx_gt_u32_e64 s9, v76
	s_cbranch_execnz .LBB1038_401
.LBB1038_349:                           ;   in Loop: Header=BB1038_334 Depth=2
	s_or_b32 exec_lo, exec_lo, s13
	s_delay_alu instid0(SALU_CYCLE_1)
	s_mov_b32 s13, exec_lo
	v_cmpx_gt_u32_e64 s9, v77
	s_cbranch_execnz .LBB1038_402
.LBB1038_350:                           ;   in Loop: Header=BB1038_334 Depth=2
	s_or_b32 exec_lo, exec_lo, s13
	s_delay_alu instid0(SALU_CYCLE_1)
	s_mov_b32 s13, exec_lo
	v_cmpx_gt_u32_e64 s9, v78
	s_cbranch_execnz .LBB1038_403
.LBB1038_351:                           ;   in Loop: Header=BB1038_334 Depth=2
	s_or_b32 exec_lo, exec_lo, s13
	s_delay_alu instid0(SALU_CYCLE_1)
	s_mov_b32 s13, exec_lo
	v_cmpx_gt_u32_e64 s9, v79
	s_cbranch_execnz .LBB1038_404
.LBB1038_352:                           ;   in Loop: Header=BB1038_334 Depth=2
	s_or_b32 exec_lo, exec_lo, s13
	s_delay_alu instid0(SALU_CYCLE_1)
	s_mov_b32 s13, exec_lo
	v_cmpx_gt_u32_e64 s9, v80
	s_cbranch_execnz .LBB1038_405
.LBB1038_353:                           ;   in Loop: Header=BB1038_334 Depth=2
	s_or_b32 exec_lo, exec_lo, s13
	s_delay_alu instid0(SALU_CYCLE_1)
	s_mov_b32 s13, exec_lo
	v_cmpx_gt_u32_e64 s9, v81
	s_cbranch_execz .LBB1038_355
.LBB1038_354:                           ;   in Loop: Header=BB1038_334 Depth=2
	global_load_u16 v23, v2, s[10:11] offset:8192 scale_offset
.LBB1038_355:                           ;   in Loop: Header=BB1038_334 Depth=2
	s_wait_xcnt 0x0
	s_or_b32 exec_lo, exec_lo, s13
	s_wait_loadcnt 0x0
	v_dual_mov_b32 v40, v39 :: v_dual_mov_b32 v41, v38
	v_dual_mov_b32 v42, v37 :: v_dual_mov_b32 v43, v36
	;; [unrolled: 1-line block ×8, first 2 shown]
	v_mov_b32_e32 v56, v23
	s_mov_b32 s10, s9
.LBB1038_356:                           ;   in Loop: Header=BB1038_334 Depth=2
	s_wait_loadcnt 0x0
	s_delay_alu instid0(VALU_DEP_1)
	v_dual_mov_b32 v23, v56 :: v_dual_mov_b32 v24, v55
	v_dual_mov_b32 v25, v54 :: v_dual_mov_b32 v26, v53
	;; [unrolled: 1-line block ×8, first 2 shown]
	v_mov_b32_e32 v39, v40
	s_mov_b32 s11, exec_lo
	s_wait_xcnt 0x0
	v_cmpx_gt_u32_e64 s10, v2
	s_cbranch_execnz .LBB1038_373
; %bb.357:                              ;   in Loop: Header=BB1038_334 Depth=2
	s_or_b32 exec_lo, exec_lo, s11
	s_delay_alu instid0(SALU_CYCLE_1)
	s_mov_b32 s11, exec_lo
	v_cmpx_gt_u32_e64 s10, v66
	s_cbranch_execnz .LBB1038_374
.LBB1038_358:                           ;   in Loop: Header=BB1038_334 Depth=2
	s_or_b32 exec_lo, exec_lo, s11
	s_delay_alu instid0(SALU_CYCLE_1)
	s_mov_b32 s11, exec_lo
	v_cmpx_gt_u32_e64 s10, v67
	s_cbranch_execnz .LBB1038_375
.LBB1038_359:                           ;   in Loop: Header=BB1038_334 Depth=2
	s_or_b32 exec_lo, exec_lo, s11
	s_delay_alu instid0(SALU_CYCLE_1)
	s_mov_b32 s11, exec_lo
	v_cmpx_gt_u32_e64 s10, v68
	s_cbranch_execnz .LBB1038_376
.LBB1038_360:                           ;   in Loop: Header=BB1038_334 Depth=2
	s_or_b32 exec_lo, exec_lo, s11
	s_delay_alu instid0(SALU_CYCLE_1)
	s_mov_b32 s11, exec_lo
	v_cmpx_gt_u32_e64 s10, v69
	s_cbranch_execnz .LBB1038_377
.LBB1038_361:                           ;   in Loop: Header=BB1038_334 Depth=2
	s_or_b32 exec_lo, exec_lo, s11
	s_delay_alu instid0(SALU_CYCLE_1)
	s_mov_b32 s11, exec_lo
	v_cmpx_gt_u32_e64 s10, v70
	s_cbranch_execnz .LBB1038_378
.LBB1038_362:                           ;   in Loop: Header=BB1038_334 Depth=2
	s_or_b32 exec_lo, exec_lo, s11
	s_delay_alu instid0(SALU_CYCLE_1)
	s_mov_b32 s11, exec_lo
	v_cmpx_gt_u32_e64 s10, v71
	s_cbranch_execnz .LBB1038_379
.LBB1038_363:                           ;   in Loop: Header=BB1038_334 Depth=2
	s_or_b32 exec_lo, exec_lo, s11
	s_delay_alu instid0(SALU_CYCLE_1)
	s_mov_b32 s11, exec_lo
	v_cmpx_gt_u32_e64 s10, v72
	s_cbranch_execnz .LBB1038_380
.LBB1038_364:                           ;   in Loop: Header=BB1038_334 Depth=2
	s_or_b32 exec_lo, exec_lo, s11
	s_delay_alu instid0(SALU_CYCLE_1)
	s_mov_b32 s11, exec_lo
	v_cmpx_gt_u32_e64 s10, v73
	s_cbranch_execnz .LBB1038_381
.LBB1038_365:                           ;   in Loop: Header=BB1038_334 Depth=2
	s_or_b32 exec_lo, exec_lo, s11
	s_delay_alu instid0(SALU_CYCLE_1)
	s_mov_b32 s11, exec_lo
	v_cmpx_gt_u32_e64 s10, v74
	s_cbranch_execnz .LBB1038_382
.LBB1038_366:                           ;   in Loop: Header=BB1038_334 Depth=2
	s_or_b32 exec_lo, exec_lo, s11
	s_delay_alu instid0(SALU_CYCLE_1)
	s_mov_b32 s11, exec_lo
	v_cmpx_gt_u32_e64 s10, v75
	s_cbranch_execnz .LBB1038_383
.LBB1038_367:                           ;   in Loop: Header=BB1038_334 Depth=2
	s_or_b32 exec_lo, exec_lo, s11
	s_delay_alu instid0(SALU_CYCLE_1)
	s_mov_b32 s11, exec_lo
	v_cmpx_gt_u32_e64 s10, v76
	s_cbranch_execnz .LBB1038_384
.LBB1038_368:                           ;   in Loop: Header=BB1038_334 Depth=2
	s_or_b32 exec_lo, exec_lo, s11
	s_delay_alu instid0(SALU_CYCLE_1)
	s_mov_b32 s11, exec_lo
	v_cmpx_gt_u32_e64 s10, v77
	s_cbranch_execnz .LBB1038_385
.LBB1038_369:                           ;   in Loop: Header=BB1038_334 Depth=2
	s_or_b32 exec_lo, exec_lo, s11
	s_delay_alu instid0(SALU_CYCLE_1)
	s_mov_b32 s11, exec_lo
	v_cmpx_gt_u32_e64 s10, v78
	s_cbranch_execnz .LBB1038_386
.LBB1038_370:                           ;   in Loop: Header=BB1038_334 Depth=2
	s_or_b32 exec_lo, exec_lo, s11
	s_delay_alu instid0(SALU_CYCLE_1)
	s_mov_b32 s11, exec_lo
	v_cmpx_gt_u32_e64 s10, v79
	s_cbranch_execnz .LBB1038_387
.LBB1038_371:                           ;   in Loop: Header=BB1038_334 Depth=2
	s_or_b32 exec_lo, exec_lo, s11
	s_delay_alu instid0(SALU_CYCLE_1)
	s_mov_b32 s11, exec_lo
	v_cmpx_gt_u32_e64 s10, v80
	s_cbranch_execnz .LBB1038_388
.LBB1038_372:                           ;   in Loop: Header=BB1038_334 Depth=2
	s_or_b32 exec_lo, exec_lo, s11
	v_cmp_gt_u32_e32 vcc_lo, s10, v81
	s_and_saveexec_b32 s10, vcc_lo
	s_cbranch_execz .LBB1038_333
	s_branch .LBB1038_389
.LBB1038_373:                           ;   in Loop: Header=BB1038_334 Depth=2
	v_xor_b32_e32 v40, 0xffff8000, v39
	s_delay_alu instid0(VALU_DEP_1) | instskip(NEXT) | instid1(VALU_DEP_1)
	v_and_b32_e32 v40, 0xffff, v40
	v_lshrrev_b32_e32 v40, s43, v40
	s_delay_alu instid0(VALU_DEP_1) | instskip(NEXT) | instid1(VALU_DEP_1)
	v_and_b32_e32 v40, s48, v40
	v_lshl_or_b32 v40, v40, 4, v83
	ds_add_u32 v40, v97
	s_or_b32 exec_lo, exec_lo, s11
	s_delay_alu instid0(SALU_CYCLE_1)
	s_mov_b32 s11, exec_lo
	v_cmpx_gt_u32_e64 s10, v66
	s_cbranch_execz .LBB1038_358
.LBB1038_374:                           ;   in Loop: Header=BB1038_334 Depth=2
	v_xor_b32_e32 v40, 0xffff8000, v38
	s_delay_alu instid0(VALU_DEP_1) | instskip(NEXT) | instid1(VALU_DEP_1)
	v_and_b32_e32 v40, 0xffff, v40
	v_lshrrev_b32_e32 v40, s43, v40
	s_delay_alu instid0(VALU_DEP_1) | instskip(NEXT) | instid1(VALU_DEP_1)
	v_and_b32_e32 v40, s48, v40
	v_lshl_or_b32 v40, v40, 4, v83
	ds_add_u32 v40, v97
	s_or_b32 exec_lo, exec_lo, s11
	s_delay_alu instid0(SALU_CYCLE_1)
	s_mov_b32 s11, exec_lo
	v_cmpx_gt_u32_e64 s10, v67
	s_cbranch_execz .LBB1038_359
.LBB1038_375:                           ;   in Loop: Header=BB1038_334 Depth=2
	v_xor_b32_e32 v40, 0xffff8000, v37
	s_delay_alu instid0(VALU_DEP_1) | instskip(NEXT) | instid1(VALU_DEP_1)
	v_and_b32_e32 v40, 0xffff, v40
	v_lshrrev_b32_e32 v40, s43, v40
	s_delay_alu instid0(VALU_DEP_1) | instskip(NEXT) | instid1(VALU_DEP_1)
	v_and_b32_e32 v40, s48, v40
	v_lshl_or_b32 v40, v40, 4, v83
	ds_add_u32 v40, v97
	s_or_b32 exec_lo, exec_lo, s11
	s_delay_alu instid0(SALU_CYCLE_1)
	s_mov_b32 s11, exec_lo
	v_cmpx_gt_u32_e64 s10, v68
	s_cbranch_execz .LBB1038_360
.LBB1038_376:                           ;   in Loop: Header=BB1038_334 Depth=2
	v_xor_b32_e32 v40, 0xffff8000, v36
	s_delay_alu instid0(VALU_DEP_1) | instskip(NEXT) | instid1(VALU_DEP_1)
	v_and_b32_e32 v40, 0xffff, v40
	v_lshrrev_b32_e32 v40, s43, v40
	s_delay_alu instid0(VALU_DEP_1) | instskip(NEXT) | instid1(VALU_DEP_1)
	v_and_b32_e32 v40, s48, v40
	v_lshl_or_b32 v40, v40, 4, v83
	ds_add_u32 v40, v97
	s_or_b32 exec_lo, exec_lo, s11
	s_delay_alu instid0(SALU_CYCLE_1)
	s_mov_b32 s11, exec_lo
	v_cmpx_gt_u32_e64 s10, v69
	s_cbranch_execz .LBB1038_361
.LBB1038_377:                           ;   in Loop: Header=BB1038_334 Depth=2
	v_xor_b32_e32 v40, 0xffff8000, v35
	s_delay_alu instid0(VALU_DEP_1) | instskip(NEXT) | instid1(VALU_DEP_1)
	v_and_b32_e32 v40, 0xffff, v40
	v_lshrrev_b32_e32 v40, s43, v40
	s_delay_alu instid0(VALU_DEP_1) | instskip(NEXT) | instid1(VALU_DEP_1)
	v_and_b32_e32 v40, s48, v40
	v_lshl_or_b32 v40, v40, 4, v83
	ds_add_u32 v40, v97
	s_or_b32 exec_lo, exec_lo, s11
	s_delay_alu instid0(SALU_CYCLE_1)
	s_mov_b32 s11, exec_lo
	v_cmpx_gt_u32_e64 s10, v70
	s_cbranch_execz .LBB1038_362
.LBB1038_378:                           ;   in Loop: Header=BB1038_334 Depth=2
	v_xor_b32_e32 v40, 0xffff8000, v34
	s_delay_alu instid0(VALU_DEP_1) | instskip(NEXT) | instid1(VALU_DEP_1)
	v_and_b32_e32 v40, 0xffff, v40
	v_lshrrev_b32_e32 v40, s43, v40
	s_delay_alu instid0(VALU_DEP_1) | instskip(NEXT) | instid1(VALU_DEP_1)
	v_and_b32_e32 v40, s48, v40
	v_lshl_or_b32 v40, v40, 4, v83
	ds_add_u32 v40, v97
	s_or_b32 exec_lo, exec_lo, s11
	s_delay_alu instid0(SALU_CYCLE_1)
	s_mov_b32 s11, exec_lo
	v_cmpx_gt_u32_e64 s10, v71
	s_cbranch_execz .LBB1038_363
.LBB1038_379:                           ;   in Loop: Header=BB1038_334 Depth=2
	v_xor_b32_e32 v40, 0xffff8000, v33
	s_delay_alu instid0(VALU_DEP_1) | instskip(NEXT) | instid1(VALU_DEP_1)
	v_and_b32_e32 v40, 0xffff, v40
	v_lshrrev_b32_e32 v40, s43, v40
	s_delay_alu instid0(VALU_DEP_1) | instskip(NEXT) | instid1(VALU_DEP_1)
	v_and_b32_e32 v40, s48, v40
	v_lshl_or_b32 v40, v40, 4, v83
	ds_add_u32 v40, v97
	s_or_b32 exec_lo, exec_lo, s11
	s_delay_alu instid0(SALU_CYCLE_1)
	s_mov_b32 s11, exec_lo
	v_cmpx_gt_u32_e64 s10, v72
	s_cbranch_execz .LBB1038_364
.LBB1038_380:                           ;   in Loop: Header=BB1038_334 Depth=2
	v_xor_b32_e32 v40, 0xffff8000, v32
	s_delay_alu instid0(VALU_DEP_1) | instskip(NEXT) | instid1(VALU_DEP_1)
	v_and_b32_e32 v40, 0xffff, v40
	v_lshrrev_b32_e32 v40, s43, v40
	s_delay_alu instid0(VALU_DEP_1) | instskip(NEXT) | instid1(VALU_DEP_1)
	v_and_b32_e32 v40, s48, v40
	v_lshl_or_b32 v40, v40, 4, v83
	ds_add_u32 v40, v97
	s_or_b32 exec_lo, exec_lo, s11
	s_delay_alu instid0(SALU_CYCLE_1)
	s_mov_b32 s11, exec_lo
	v_cmpx_gt_u32_e64 s10, v73
	s_cbranch_execz .LBB1038_365
.LBB1038_381:                           ;   in Loop: Header=BB1038_334 Depth=2
	v_xor_b32_e32 v40, 0xffff8000, v31
	s_delay_alu instid0(VALU_DEP_1) | instskip(NEXT) | instid1(VALU_DEP_1)
	v_and_b32_e32 v40, 0xffff, v40
	v_lshrrev_b32_e32 v40, s43, v40
	s_delay_alu instid0(VALU_DEP_1) | instskip(NEXT) | instid1(VALU_DEP_1)
	v_and_b32_e32 v40, s48, v40
	v_lshl_or_b32 v40, v40, 4, v83
	ds_add_u32 v40, v97
	s_or_b32 exec_lo, exec_lo, s11
	s_delay_alu instid0(SALU_CYCLE_1)
	s_mov_b32 s11, exec_lo
	v_cmpx_gt_u32_e64 s10, v74
	s_cbranch_execz .LBB1038_366
.LBB1038_382:                           ;   in Loop: Header=BB1038_334 Depth=2
	v_xor_b32_e32 v40, 0xffff8000, v30
	s_delay_alu instid0(VALU_DEP_1) | instskip(NEXT) | instid1(VALU_DEP_1)
	v_and_b32_e32 v40, 0xffff, v40
	v_lshrrev_b32_e32 v40, s43, v40
	s_delay_alu instid0(VALU_DEP_1) | instskip(NEXT) | instid1(VALU_DEP_1)
	v_and_b32_e32 v40, s48, v40
	v_lshl_or_b32 v40, v40, 4, v83
	ds_add_u32 v40, v97
	s_or_b32 exec_lo, exec_lo, s11
	s_delay_alu instid0(SALU_CYCLE_1)
	s_mov_b32 s11, exec_lo
	v_cmpx_gt_u32_e64 s10, v75
	s_cbranch_execz .LBB1038_367
.LBB1038_383:                           ;   in Loop: Header=BB1038_334 Depth=2
	v_xor_b32_e32 v40, 0xffff8000, v29
	s_delay_alu instid0(VALU_DEP_1) | instskip(NEXT) | instid1(VALU_DEP_1)
	v_and_b32_e32 v40, 0xffff, v40
	v_lshrrev_b32_e32 v40, s43, v40
	s_delay_alu instid0(VALU_DEP_1) | instskip(NEXT) | instid1(VALU_DEP_1)
	v_and_b32_e32 v40, s48, v40
	v_lshl_or_b32 v40, v40, 4, v83
	ds_add_u32 v40, v97
	s_or_b32 exec_lo, exec_lo, s11
	s_delay_alu instid0(SALU_CYCLE_1)
	s_mov_b32 s11, exec_lo
	v_cmpx_gt_u32_e64 s10, v76
	s_cbranch_execz .LBB1038_368
.LBB1038_384:                           ;   in Loop: Header=BB1038_334 Depth=2
	v_xor_b32_e32 v40, 0xffff8000, v28
	s_delay_alu instid0(VALU_DEP_1) | instskip(NEXT) | instid1(VALU_DEP_1)
	v_and_b32_e32 v40, 0xffff, v40
	v_lshrrev_b32_e32 v40, s43, v40
	s_delay_alu instid0(VALU_DEP_1) | instskip(NEXT) | instid1(VALU_DEP_1)
	v_and_b32_e32 v40, s48, v40
	v_lshl_or_b32 v40, v40, 4, v83
	ds_add_u32 v40, v97
	s_or_b32 exec_lo, exec_lo, s11
	s_delay_alu instid0(SALU_CYCLE_1)
	s_mov_b32 s11, exec_lo
	v_cmpx_gt_u32_e64 s10, v77
	s_cbranch_execz .LBB1038_369
.LBB1038_385:                           ;   in Loop: Header=BB1038_334 Depth=2
	v_xor_b32_e32 v40, 0xffff8000, v27
	s_delay_alu instid0(VALU_DEP_1) | instskip(NEXT) | instid1(VALU_DEP_1)
	v_and_b32_e32 v40, 0xffff, v40
	v_lshrrev_b32_e32 v40, s43, v40
	s_delay_alu instid0(VALU_DEP_1) | instskip(NEXT) | instid1(VALU_DEP_1)
	v_and_b32_e32 v40, s48, v40
	v_lshl_or_b32 v40, v40, 4, v83
	ds_add_u32 v40, v97
	s_or_b32 exec_lo, exec_lo, s11
	s_delay_alu instid0(SALU_CYCLE_1)
	s_mov_b32 s11, exec_lo
	v_cmpx_gt_u32_e64 s10, v78
	s_cbranch_execz .LBB1038_370
.LBB1038_386:                           ;   in Loop: Header=BB1038_334 Depth=2
	v_xor_b32_e32 v40, 0xffff8000, v26
	s_delay_alu instid0(VALU_DEP_1) | instskip(NEXT) | instid1(VALU_DEP_1)
	v_and_b32_e32 v40, 0xffff, v40
	v_lshrrev_b32_e32 v40, s43, v40
	s_delay_alu instid0(VALU_DEP_1) | instskip(NEXT) | instid1(VALU_DEP_1)
	v_and_b32_e32 v40, s48, v40
	v_lshl_or_b32 v40, v40, 4, v83
	ds_add_u32 v40, v97
	s_or_b32 exec_lo, exec_lo, s11
	s_delay_alu instid0(SALU_CYCLE_1)
	s_mov_b32 s11, exec_lo
	v_cmpx_gt_u32_e64 s10, v79
	s_cbranch_execz .LBB1038_371
.LBB1038_387:                           ;   in Loop: Header=BB1038_334 Depth=2
	v_xor_b32_e32 v40, 0xffff8000, v25
	s_delay_alu instid0(VALU_DEP_1) | instskip(NEXT) | instid1(VALU_DEP_1)
	v_and_b32_e32 v40, 0xffff, v40
	v_lshrrev_b32_e32 v40, s43, v40
	s_delay_alu instid0(VALU_DEP_1) | instskip(NEXT) | instid1(VALU_DEP_1)
	v_and_b32_e32 v40, s48, v40
	v_lshl_or_b32 v40, v40, 4, v83
	ds_add_u32 v40, v97
	s_or_b32 exec_lo, exec_lo, s11
	s_delay_alu instid0(SALU_CYCLE_1)
	s_mov_b32 s11, exec_lo
	v_cmpx_gt_u32_e64 s10, v80
	s_cbranch_execz .LBB1038_372
.LBB1038_388:                           ;   in Loop: Header=BB1038_334 Depth=2
	v_xor_b32_e32 v40, 0xffff8000, v24
	s_delay_alu instid0(VALU_DEP_1) | instskip(NEXT) | instid1(VALU_DEP_1)
	v_and_b32_e32 v40, 0xffff, v40
	v_lshrrev_b32_e32 v40, s43, v40
	s_delay_alu instid0(VALU_DEP_1) | instskip(NEXT) | instid1(VALU_DEP_1)
	v_and_b32_e32 v40, s48, v40
	v_lshl_or_b32 v40, v40, 4, v83
	ds_add_u32 v40, v97
	s_or_b32 exec_lo, exec_lo, s11
	v_cmp_gt_u32_e32 vcc_lo, s10, v81
	s_and_saveexec_b32 s10, vcc_lo
	s_cbranch_execz .LBB1038_333
.LBB1038_389:                           ;   in Loop: Header=BB1038_334 Depth=2
	v_xor_b32_e32 v40, 0xffff8000, v23
	s_delay_alu instid0(VALU_DEP_1) | instskip(NEXT) | instid1(VALU_DEP_1)
	v_and_b32_e32 v40, 0xffff, v40
	v_lshrrev_b32_e32 v40, s43, v40
	s_delay_alu instid0(VALU_DEP_1) | instskip(NEXT) | instid1(VALU_DEP_1)
	v_and_b32_e32 v40, s48, v40
	v_lshl_or_b32 v40, v40, 4, v83
	ds_add_u32 v40, v97
	s_branch .LBB1038_333
.LBB1038_390:                           ;   in Loop: Header=BB1038_334 Depth=2
	global_load_u16 v39, v2, s[10:11] scale_offset
	s_wait_xcnt 0x0
	s_or_b32 exec_lo, exec_lo, s13
	s_delay_alu instid0(SALU_CYCLE_1)
	s_mov_b32 s13, exec_lo
	v_cmpx_gt_u32_e64 s9, v66
	s_cbranch_execz .LBB1038_339
.LBB1038_391:                           ;   in Loop: Header=BB1038_334 Depth=2
	global_load_u16 v38, v2, s[10:11] offset:512 scale_offset
	s_wait_xcnt 0x0
	s_or_b32 exec_lo, exec_lo, s13
	s_delay_alu instid0(SALU_CYCLE_1)
	s_mov_b32 s13, exec_lo
	v_cmpx_gt_u32_e64 s9, v67
	s_cbranch_execz .LBB1038_340
.LBB1038_392:                           ;   in Loop: Header=BB1038_334 Depth=2
	global_load_u16 v37, v2, s[10:11] offset:1024 scale_offset
	s_wait_xcnt 0x0
	s_or_b32 exec_lo, exec_lo, s13
	s_delay_alu instid0(SALU_CYCLE_1)
	s_mov_b32 s13, exec_lo
	v_cmpx_gt_u32_e64 s9, v68
	s_cbranch_execz .LBB1038_341
.LBB1038_393:                           ;   in Loop: Header=BB1038_334 Depth=2
	global_load_u16 v36, v2, s[10:11] offset:1536 scale_offset
	s_wait_xcnt 0x0
	s_or_b32 exec_lo, exec_lo, s13
	s_delay_alu instid0(SALU_CYCLE_1)
	s_mov_b32 s13, exec_lo
	v_cmpx_gt_u32_e64 s9, v69
	s_cbranch_execz .LBB1038_342
.LBB1038_394:                           ;   in Loop: Header=BB1038_334 Depth=2
	global_load_u16 v35, v2, s[10:11] offset:2048 scale_offset
	s_wait_xcnt 0x0
	s_or_b32 exec_lo, exec_lo, s13
	s_delay_alu instid0(SALU_CYCLE_1)
	s_mov_b32 s13, exec_lo
	v_cmpx_gt_u32_e64 s9, v70
	s_cbranch_execz .LBB1038_343
.LBB1038_395:                           ;   in Loop: Header=BB1038_334 Depth=2
	global_load_u16 v34, v2, s[10:11] offset:2560 scale_offset
	s_wait_xcnt 0x0
	s_or_b32 exec_lo, exec_lo, s13
	s_delay_alu instid0(SALU_CYCLE_1)
	s_mov_b32 s13, exec_lo
	v_cmpx_gt_u32_e64 s9, v71
	s_cbranch_execz .LBB1038_344
.LBB1038_396:                           ;   in Loop: Header=BB1038_334 Depth=2
	global_load_u16 v33, v2, s[10:11] offset:3072 scale_offset
	s_wait_xcnt 0x0
	s_or_b32 exec_lo, exec_lo, s13
	s_delay_alu instid0(SALU_CYCLE_1)
	s_mov_b32 s13, exec_lo
	v_cmpx_gt_u32_e64 s9, v72
	s_cbranch_execz .LBB1038_345
.LBB1038_397:                           ;   in Loop: Header=BB1038_334 Depth=2
	global_load_u16 v32, v2, s[10:11] offset:3584 scale_offset
	s_wait_xcnt 0x0
	s_or_b32 exec_lo, exec_lo, s13
	s_delay_alu instid0(SALU_CYCLE_1)
	s_mov_b32 s13, exec_lo
	v_cmpx_gt_u32_e64 s9, v73
	s_cbranch_execz .LBB1038_346
.LBB1038_398:                           ;   in Loop: Header=BB1038_334 Depth=2
	global_load_u16 v31, v2, s[10:11] offset:4096 scale_offset
	s_wait_xcnt 0x0
	s_or_b32 exec_lo, exec_lo, s13
	s_delay_alu instid0(SALU_CYCLE_1)
	s_mov_b32 s13, exec_lo
	v_cmpx_gt_u32_e64 s9, v74
	s_cbranch_execz .LBB1038_347
.LBB1038_399:                           ;   in Loop: Header=BB1038_334 Depth=2
	global_load_u16 v30, v2, s[10:11] offset:4608 scale_offset
	s_wait_xcnt 0x0
	s_or_b32 exec_lo, exec_lo, s13
	s_delay_alu instid0(SALU_CYCLE_1)
	s_mov_b32 s13, exec_lo
	v_cmpx_gt_u32_e64 s9, v75
	s_cbranch_execz .LBB1038_348
.LBB1038_400:                           ;   in Loop: Header=BB1038_334 Depth=2
	global_load_u16 v29, v2, s[10:11] offset:5120 scale_offset
	s_wait_xcnt 0x0
	s_or_b32 exec_lo, exec_lo, s13
	s_delay_alu instid0(SALU_CYCLE_1)
	s_mov_b32 s13, exec_lo
	v_cmpx_gt_u32_e64 s9, v76
	s_cbranch_execz .LBB1038_349
.LBB1038_401:                           ;   in Loop: Header=BB1038_334 Depth=2
	global_load_u16 v28, v2, s[10:11] offset:5632 scale_offset
	s_wait_xcnt 0x0
	s_or_b32 exec_lo, exec_lo, s13
	s_delay_alu instid0(SALU_CYCLE_1)
	s_mov_b32 s13, exec_lo
	v_cmpx_gt_u32_e64 s9, v77
	s_cbranch_execz .LBB1038_350
.LBB1038_402:                           ;   in Loop: Header=BB1038_334 Depth=2
	global_load_u16 v27, v2, s[10:11] offset:6144 scale_offset
	s_wait_xcnt 0x0
	s_or_b32 exec_lo, exec_lo, s13
	s_delay_alu instid0(SALU_CYCLE_1)
	s_mov_b32 s13, exec_lo
	v_cmpx_gt_u32_e64 s9, v78
	s_cbranch_execz .LBB1038_351
.LBB1038_403:                           ;   in Loop: Header=BB1038_334 Depth=2
	global_load_u16 v26, v2, s[10:11] offset:6656 scale_offset
	s_wait_xcnt 0x0
	s_or_b32 exec_lo, exec_lo, s13
	s_delay_alu instid0(SALU_CYCLE_1)
	s_mov_b32 s13, exec_lo
	v_cmpx_gt_u32_e64 s9, v79
	s_cbranch_execz .LBB1038_352
.LBB1038_404:                           ;   in Loop: Header=BB1038_334 Depth=2
	global_load_u16 v25, v2, s[10:11] offset:7168 scale_offset
	s_wait_xcnt 0x0
	s_or_b32 exec_lo, exec_lo, s13
	s_delay_alu instid0(SALU_CYCLE_1)
	s_mov_b32 s13, exec_lo
	v_cmpx_gt_u32_e64 s9, v80
	s_cbranch_execz .LBB1038_353
.LBB1038_405:                           ;   in Loop: Header=BB1038_334 Depth=2
	global_load_u16 v24, v2, s[10:11] offset:7680 scale_offset
	s_wait_xcnt 0x0
	s_or_b32 exec_lo, exec_lo, s13
	s_delay_alu instid0(SALU_CYCLE_1)
	s_mov_b32 s13, exec_lo
	v_cmpx_gt_u32_e64 s9, v81
	s_cbranch_execnz .LBB1038_354
	s_branch .LBB1038_355
.LBB1038_406:                           ;   in Loop: Header=BB1038_20 Depth=1
	v_mov_b32_e32 v23, 0
	s_wait_dscnt 0x0
	s_barrier_signal -1
	s_barrier_wait -1
	s_and_saveexec_b32 s9, s0
	s_cbranch_execz .LBB1038_408
; %bb.407:                              ;   in Loop: Header=BB1038_20 Depth=1
	ds_load_2addr_b64 v[24:27], v84 offset1:1
	s_wait_dscnt 0x0
	v_add_nc_u32_e32 v23, v25, v24
	s_delay_alu instid0(VALU_DEP_1)
	v_add3_u32 v23, v23, v26, v27
.LBB1038_408:                           ;   in Loop: Header=BB1038_20 Depth=1
	s_or_b32 exec_lo, exec_lo, s9
	s_delay_alu instid0(VALU_DEP_1)
	v_mov_b32_dpp v24, v23 row_shr:1 row_mask:0xf bank_mask:0xf
	v_cmp_eq_u32_e64 s9, 0, v98
	v_cmp_lt_u32_e64 s10, 1, v98
	v_cmp_lt_u32_e64 s11, 3, v98
	;; [unrolled: 1-line block ×3, first 2 shown]
	v_cmp_eq_u32_e64 s13, 0, v100
	v_cndmask_b32_e64 v24, v24, 0, s9
	s_delay_alu instid0(VALU_DEP_1) | instskip(NEXT) | instid1(VALU_DEP_1)
	v_add_nc_u32_e32 v23, v24, v23
	v_mov_b32_dpp v24, v23 row_shr:2 row_mask:0xf bank_mask:0xf
	s_delay_alu instid0(VALU_DEP_1) | instskip(NEXT) | instid1(VALU_DEP_1)
	v_cndmask_b32_e64 v24, 0, v24, s10
	v_add_nc_u32_e32 v23, v23, v24
	s_delay_alu instid0(VALU_DEP_1) | instskip(NEXT) | instid1(VALU_DEP_1)
	v_mov_b32_dpp v24, v23 row_shr:4 row_mask:0xf bank_mask:0xf
	v_cndmask_b32_e64 v24, 0, v24, s11
	s_delay_alu instid0(VALU_DEP_1) | instskip(NEXT) | instid1(VALU_DEP_1)
	v_add_nc_u32_e32 v23, v23, v24
	v_mov_b32_dpp v24, v23 row_shr:8 row_mask:0xf bank_mask:0xf
	s_delay_alu instid0(VALU_DEP_1) | instskip(NEXT) | instid1(VALU_DEP_1)
	v_cndmask_b32_e64 v24, 0, v24, s12
	v_add_nc_u32_e32 v23, v23, v24
	ds_swizzle_b32 v24, v23 offset:swizzle(BROADCAST,32,15)
	s_wait_dscnt 0x0
	v_and_b32_e32 v24, v99, v24
	s_delay_alu instid0(VALU_DEP_1)
	v_add_nc_u32_e32 v23, v23, v24
	s_and_saveexec_b32 s14, s1
; %bb.409:                              ;   in Loop: Header=BB1038_20 Depth=1
	ds_store_b32 v85, v23
; %bb.410:                              ;   in Loop: Header=BB1038_20 Depth=1
	s_or_b32 exec_lo, exec_lo, s14
	s_wait_dscnt 0x0
	s_barrier_signal -1
	s_barrier_wait -1
	s_and_saveexec_b32 s14, s4
	s_cbranch_execz .LBB1038_412
; %bb.411:                              ;   in Loop: Header=BB1038_20 Depth=1
	ds_load_b32 v24, v86
	v_cmp_ne_u32_e32 vcc_lo, 0, v101
	s_wait_dscnt 0x0
	v_mov_b32_dpp v25, v24 row_shr:1 row_mask:0xf bank_mask:0xf
	s_delay_alu instid0(VALU_DEP_1) | instskip(SKIP_1) | instid1(VALU_DEP_2)
	v_cndmask_b32_e32 v25, 0, v25, vcc_lo
	v_cmp_lt_u32_e32 vcc_lo, 1, v101
	v_add_nc_u32_e32 v24, v25, v24
	s_delay_alu instid0(VALU_DEP_1) | instskip(NEXT) | instid1(VALU_DEP_1)
	v_mov_b32_dpp v25, v24 row_shr:2 row_mask:0xf bank_mask:0xf
	v_cndmask_b32_e32 v25, 0, v25, vcc_lo
	s_delay_alu instid0(VALU_DEP_1)
	v_add_nc_u32_e32 v24, v24, v25
	ds_store_b32 v86, v24
.LBB1038_412:                           ;   in Loop: Header=BB1038_20 Depth=1
	s_or_b32 exec_lo, exec_lo, s14
	v_mov_b32_e32 v24, 0
	s_wait_dscnt 0x0
	s_barrier_signal -1
	s_barrier_wait -1
	s_and_saveexec_b32 s14, s5
; %bb.413:                              ;   in Loop: Header=BB1038_20 Depth=1
	ds_load_b32 v24, v87
; %bb.414:                              ;   in Loop: Header=BB1038_20 Depth=1
	s_or_b32 exec_lo, exec_lo, s14
	v_cmp_gt_i32_e32 vcc_lo, 0, v103
	s_wait_dscnt 0x0
	s_barrier_signal -1
	s_barrier_wait -1
	v_dual_cndmask_b32 v25, v103, v96, vcc_lo :: v_dual_add_nc_u32 v23, v24, v23
	s_delay_alu instid0(VALU_DEP_1)
	v_lshlrev_b32_e32 v121, 2, v25
	ds_bpermute_b32 v23, v121, v23
	s_and_saveexec_b32 s14, s0
	s_cbranch_execz .LBB1038_416
; %bb.415:                              ;   in Loop: Header=BB1038_20 Depth=1
	s_wait_dscnt 0x0
	v_cndmask_b32_e64 v23, v23, v24, s8
	s_delay_alu instid0(VALU_DEP_1)
	v_add_nc_u32_e32 v23, s55, v23
	ds_store_b32 v3, v23
.LBB1038_416:                           ;   in Loop: Header=BB1038_20 Depth=1
	s_or_b32 exec_lo, exec_lo, s14
	s_load_b64 s[14:15], s[52:53], 0x0
	s_mov_b32 s58, s57
                                        ; implicit-def: $vgpr30_vgpr31
                                        ; implicit-def: $vgpr32_vgpr33
                                        ; implicit-def: $vgpr34_vgpr35
                                        ; implicit-def: $vgpr36_vgpr37
                                        ; implicit-def: $vgpr38_vgpr39
                                        ; implicit-def: $vgpr40_vgpr41
                                        ; implicit-def: $vgpr42_vgpr43
                                        ; implicit-def: $vgpr44_vgpr45
                                        ; implicit-def: $vgpr46_vgpr47
                                        ; implicit-def: $vgpr48_vgpr49
                                        ; implicit-def: $vgpr50_vgpr51
                                        ; implicit-def: $vgpr52_vgpr53
                                        ; implicit-def: $vgpr54_vgpr55
                                        ; implicit-def: $vgpr56_vgpr57
                                        ; implicit-def: $vgpr58_vgpr59
                                        ; implicit-def: $vgpr60_vgpr61
                                        ; implicit-def: $vgpr122
                                        ; implicit-def: $vgpr123
                                        ; implicit-def: $vgpr124
                                        ; implicit-def: $vgpr125
                                        ; implicit-def: $vgpr126
                                        ; implicit-def: $vgpr127
                                        ; implicit-def: $vgpr128
                                        ; implicit-def: $vgpr129
                                        ; implicit-def: $vgpr130
                                        ; implicit-def: $vgpr131
                                        ; implicit-def: $vgpr132
                                        ; implicit-def: $vgpr133
                                        ; implicit-def: $vgpr134
                                        ; implicit-def: $vgpr135
                                        ; implicit-def: $vgpr136
                                        ; implicit-def: $vgpr138
                                        ; implicit-def: $vgpr139
                                        ; implicit-def: $vgpr137
                                        ; implicit-def: $vgpr140
	s_wait_kmcnt 0x0
	s_cmp_lt_u32 s51, s14
	s_cselect_b32 s34, 12, 18
	s_cmp_lt_u32 s42, s15
	s_mov_b32 s15, s35
	s_cselect_b32 s14, 14, 20
	s_delay_alu instid0(SALU_CYCLE_1)
	s_add_nc_u64 s[14:15], s[52:53], s[14:15]
	s_load_u16 s16, s[14:15], 0x0
	s_wait_xcnt 0x0
	s_add_nc_u64 s[14:15], s[52:53], s[34:35]
	s_mov_b32 s34, s55
	s_load_u16 s14, s[14:15], 0x0
	s_wait_xcnt 0x0
	v_cmp_lt_u32_e64 s15, 1, v104
	s_wait_dscnt 0x0
	s_wait_kmcnt 0x0
	v_mad_u32_u24 v23, v88, s16, v90
	v_cmp_lt_u32_e64 s16, 3, v104
	s_delay_alu instid0(VALU_DEP_2) | instskip(SKIP_2) | instid1(VALU_DEP_3)
	v_mad_u32 v24, v23, s14, v2
	v_mov_b32_e32 v23, v5
	v_cmp_eq_u32_e64 s14, 0, v104
	v_lshrrev_b32_e32 v28, 3, v24
	v_add_nc_u64_e32 v[24:25], v[12:13], v[4:5]
	s_delay_alu instid0(VALU_DEP_4) | instskip(NEXT) | instid1(VALU_DEP_3)
	v_add_nc_u64_e32 v[26:27], v[14:15], v[22:23]
	v_and_b32_e32 v23, 0x1ffffffc, v28
                                        ; implicit-def: $vgpr28_vgpr29
	s_branch .LBB1038_418
.LBB1038_417:                           ;   in Loop: Header=BB1038_418 Depth=2
	s_or_b32 exec_lo, exec_lo, s17
	s_addk_co_i32 s58, 0xef00
	s_cmp_lt_u32 s59, s54
	s_mov_b32 s34, s59
	s_cbranch_scc0 .LBB1038_640
.LBB1038_418:                           ;   Parent Loop BB1038_20 Depth=1
                                        ; =>  This Inner Loop Header: Depth=2
	s_add_co_i32 s59, s34, 0x1100
	s_delay_alu instid0(SALU_CYCLE_1)
	s_cmp_gt_u32 s59, s54
	s_cbranch_scc1 .LBB1038_420
; %bb.419:                              ;   in Loop: Header=BB1038_418 Depth=2
	s_delay_alu instid0(VALU_DEP_2)
	v_lshl_add_u64 v[62:63], s[34:35], 1, v[26:27]
	s_mov_b32 s17, -1
	s_clause 0xf
	global_load_u16 v143, v[62:63], off
	global_load_u16 v145, v[62:63], off offset:64
	global_load_u16 v147, v[62:63], off offset:128
	global_load_u16 v151, v[62:63], off offset:192
	global_load_u16 v155, v[62:63], off offset:256
	global_load_u16 v160, v[62:63], off offset:320
	global_load_u16 v166, v[62:63], off offset:384
	global_load_u16 v171, v[62:63], off offset:448
	global_load_u16 v176, v[62:63], off offset:512
	global_load_u16 v174, v[62:63], off offset:576
	global_load_u16 v169, v[62:63], off offset:640
	global_load_u16 v164, v[62:63], off offset:704
	global_load_u16 v161, v[62:63], off offset:768
	global_load_u16 v156, v[62:63], off offset:832
	global_load_u16 v65, v[62:63], off offset:896
	global_load_u16 v64, v[62:63], off offset:960
	s_movk_i32 s18, 0x1100
	s_cbranch_execz .LBB1038_421
	s_branch .LBB1038_454
.LBB1038_420:                           ;   in Loop: Header=BB1038_418 Depth=2
	s_mov_b32 s17, 0
                                        ; implicit-def: $vgpr143
                                        ; implicit-def: $vgpr145
                                        ; implicit-def: $vgpr147
                                        ; implicit-def: $vgpr151
                                        ; implicit-def: $vgpr155
                                        ; implicit-def: $vgpr160
                                        ; implicit-def: $vgpr166
                                        ; implicit-def: $vgpr171
                                        ; implicit-def: $vgpr176
                                        ; implicit-def: $vgpr174
                                        ; implicit-def: $vgpr169
                                        ; implicit-def: $vgpr164
                                        ; implicit-def: $vgpr161
                                        ; implicit-def: $vgpr156
                                        ; implicit-def: $vgpr65
                                        ; implicit-def: $vgpr64
	s_movk_i32 s18, 0x1100
.LBB1038_421:                           ;   in Loop: Header=BB1038_418 Depth=2
	s_wait_xcnt 0x0
	v_lshl_add_u64 v[62:63], s[34:35], 1, v[26:27]
	s_wait_loadcnt 0xe
	v_mov_b32_e32 v145, 0x7fff
	v_mov_b32_e32 v143, 0x7fff
	s_mov_b32 s17, exec_lo
	v_cmpx_gt_u32_e64 s58, v102
	s_cbranch_execz .LBB1038_423
; %bb.422:                              ;   in Loop: Header=BB1038_418 Depth=2
	global_load_u16 v143, v[62:63], off
.LBB1038_423:                           ;   in Loop: Header=BB1038_418 Depth=2
	s_wait_xcnt 0x0
	s_or_b32 exec_lo, exec_lo, s17
	s_delay_alu instid0(SALU_CYCLE_1)
	s_mov_b32 s17, exec_lo
	v_cmpx_gt_u32_e64 s58, v105
	s_cbranch_execz .LBB1038_425
; %bb.424:                              ;   in Loop: Header=BB1038_418 Depth=2
	global_load_u16 v145, v[62:63], off offset:64
.LBB1038_425:                           ;   in Loop: Header=BB1038_418 Depth=2
	s_wait_xcnt 0x0
	s_or_b32 exec_lo, exec_lo, s17
	s_wait_loadcnt 0xc
	v_mov_b32_e32 v151, 0x7fff
	v_mov_b32_e32 v147, 0x7fff
	s_mov_b32 s17, exec_lo
	v_cmpx_gt_u32_e64 s58, v106
	s_cbranch_execz .LBB1038_427
; %bb.426:                              ;   in Loop: Header=BB1038_418 Depth=2
	global_load_u16 v147, v[62:63], off offset:128
.LBB1038_427:                           ;   in Loop: Header=BB1038_418 Depth=2
	s_wait_xcnt 0x0
	s_or_b32 exec_lo, exec_lo, s17
	s_delay_alu instid0(SALU_CYCLE_1)
	s_mov_b32 s17, exec_lo
	v_cmpx_gt_u32_e64 s58, v107
	s_cbranch_execz .LBB1038_429
; %bb.428:                              ;   in Loop: Header=BB1038_418 Depth=2
	global_load_u16 v151, v[62:63], off offset:192
.LBB1038_429:                           ;   in Loop: Header=BB1038_418 Depth=2
	s_wait_xcnt 0x0
	s_or_b32 exec_lo, exec_lo, s17
	s_wait_loadcnt 0xa
	v_dual_mov_b32 v160, 0x7fff :: v_dual_mov_b32 v155, 0x7fff
	s_mov_b32 s17, exec_lo
	v_cmpx_gt_u32_e64 s58, v108
	s_cbranch_execz .LBB1038_431
; %bb.430:                              ;   in Loop: Header=BB1038_418 Depth=2
	global_load_u16 v155, v[62:63], off offset:256
.LBB1038_431:                           ;   in Loop: Header=BB1038_418 Depth=2
	s_wait_xcnt 0x0
	s_or_b32 exec_lo, exec_lo, s17
	s_delay_alu instid0(SALU_CYCLE_1)
	s_mov_b32 s17, exec_lo
	v_cmpx_gt_u32_e64 s58, v109
	s_cbranch_execz .LBB1038_433
; %bb.432:                              ;   in Loop: Header=BB1038_418 Depth=2
	global_load_u16 v160, v[62:63], off offset:320
.LBB1038_433:                           ;   in Loop: Header=BB1038_418 Depth=2
	s_wait_xcnt 0x0
	s_or_b32 exec_lo, exec_lo, s17
	s_wait_loadcnt 0x8
	v_dual_mov_b32 v171, 0x7fff :: v_dual_mov_b32 v166, 0x7fff
	s_mov_b32 s17, exec_lo
	v_cmpx_gt_u32_e64 s58, v110
	s_cbranch_execz .LBB1038_435
; %bb.434:                              ;   in Loop: Header=BB1038_418 Depth=2
	global_load_u16 v166, v[62:63], off offset:384
.LBB1038_435:                           ;   in Loop: Header=BB1038_418 Depth=2
	s_wait_xcnt 0x0
	s_or_b32 exec_lo, exec_lo, s17
	s_delay_alu instid0(SALU_CYCLE_1)
	s_mov_b32 s17, exec_lo
	v_cmpx_gt_u32_e64 s58, v111
	s_cbranch_execz .LBB1038_437
; %bb.436:                              ;   in Loop: Header=BB1038_418 Depth=2
	global_load_u16 v171, v[62:63], off offset:448
.LBB1038_437:                           ;   in Loop: Header=BB1038_418 Depth=2
	s_wait_xcnt 0x0
	s_or_b32 exec_lo, exec_lo, s17
	s_wait_loadcnt 0x6
	v_mov_b32_e32 v174, 0x7fff
	v_mov_b32_e32 v176, 0x7fff
	s_mov_b32 s17, exec_lo
	v_cmpx_gt_u32_e64 s58, v112
	s_cbranch_execz .LBB1038_439
; %bb.438:                              ;   in Loop: Header=BB1038_418 Depth=2
	global_load_u16 v176, v[62:63], off offset:512
.LBB1038_439:                           ;   in Loop: Header=BB1038_418 Depth=2
	s_wait_xcnt 0x0
	s_or_b32 exec_lo, exec_lo, s17
	s_delay_alu instid0(SALU_CYCLE_1)
	s_mov_b32 s17, exec_lo
	v_cmpx_gt_u32_e64 s58, v113
	s_cbranch_execz .LBB1038_441
; %bb.440:                              ;   in Loop: Header=BB1038_418 Depth=2
	global_load_u16 v174, v[62:63], off offset:576
.LBB1038_441:                           ;   in Loop: Header=BB1038_418 Depth=2
	s_wait_xcnt 0x0
	s_or_b32 exec_lo, exec_lo, s17
	s_wait_loadcnt 0x4
	v_dual_mov_b32 v164, 0x7fff :: v_dual_mov_b32 v169, 0x7fff
	s_mov_b32 s17, exec_lo
	v_cmpx_gt_u32_e64 s58, v114
	s_cbranch_execz .LBB1038_443
; %bb.442:                              ;   in Loop: Header=BB1038_418 Depth=2
	global_load_u16 v169, v[62:63], off offset:640
.LBB1038_443:                           ;   in Loop: Header=BB1038_418 Depth=2
	s_wait_xcnt 0x0
	s_or_b32 exec_lo, exec_lo, s17
	s_delay_alu instid0(SALU_CYCLE_1)
	s_mov_b32 s17, exec_lo
	v_cmpx_gt_u32_e64 s58, v115
	s_cbranch_execz .LBB1038_445
; %bb.444:                              ;   in Loop: Header=BB1038_418 Depth=2
	global_load_u16 v164, v[62:63], off offset:704
.LBB1038_445:                           ;   in Loop: Header=BB1038_418 Depth=2
	s_wait_xcnt 0x0
	s_or_b32 exec_lo, exec_lo, s17
	s_wait_loadcnt 0x2
	v_dual_mov_b32 v156, 0x7fff :: v_dual_mov_b32 v161, 0x7fff
	;; [unrolled: 19-line block ×3, first 2 shown]
	s_mov_b32 s17, exec_lo
	v_cmpx_gt_u32_e64 s58, v118
	s_cbranch_execz .LBB1038_451
; %bb.450:                              ;   in Loop: Header=BB1038_418 Depth=2
	global_load_u16 v65, v[62:63], off offset:896
.LBB1038_451:                           ;   in Loop: Header=BB1038_418 Depth=2
	s_wait_xcnt 0x0
	s_or_b32 exec_lo, exec_lo, s17
	s_delay_alu instid0(SALU_CYCLE_1)
	s_mov_b32 s17, exec_lo
	v_cmpx_gt_u32_e64 s58, v119
	s_cbranch_execz .LBB1038_453
; %bb.452:                              ;   in Loop: Header=BB1038_418 Depth=2
	global_load_u16 v64, v[62:63], off offset:960
.LBB1038_453:                           ;   in Loop: Header=BB1038_418 Depth=2
	s_wait_xcnt 0x0
	s_or_b32 exec_lo, exec_lo, s17
	v_cmp_gt_u32_e64 s17, s58, v120
	s_sub_co_i32 s18, s54, s34
.LBB1038_454:                           ;   in Loop: Header=BB1038_418 Depth=2
	v_dual_mov_b32 v142, -1 :: v_dual_mov_b32 v141, s58
	s_wait_xcnt 0x0
	s_and_saveexec_b32 s19, s17
	s_cbranch_execz .LBB1038_456
; %bb.455:                              ;   in Loop: Header=BB1038_418 Depth=2
	v_lshl_add_u64 v[62:63], s[34:35], 1, v[26:27]
	v_mov_b32_e32 v141, s18
	global_load_u16 v62, v[62:63], off offset:1024
	s_wait_loadcnt 0x0
	v_xor_b32_e32 v142, 0xffff8000, v62
.LBB1038_456:                           ;   in Loop: Header=BB1038_418 Depth=2
	s_wait_xcnt 0x0
	s_or_b32 exec_lo, exec_lo, s19
	s_wait_loadcnt 0xf
	v_xor_b32_e32 v143, 0xffff8000, v143
	ds_store_2addr_b32 v89, v5, v5 offset0:136 offset1:137
	ds_store_2addr_b32 v89, v5, v5 offset0:138 offset1:139
	ds_store_b32 v89, v5 offset:560
	s_wait_loadcnt_dscnt 0x0
	s_barrier_signal -1
	s_barrier_wait -1
	v_and_b32_e32 v62, 0xffff, v143
	; wave barrier
	s_delay_alu instid0(VALU_DEP_1) | instskip(NEXT) | instid1(VALU_DEP_1)
	v_lshrrev_b32_e32 v62, s43, v62
	v_bitop3_b32 v63, v62, 1, s48 bitop3:0x80
	v_and_b32_e32 v146, s48, v62
	s_delay_alu instid0(VALU_DEP_2) | instskip(NEXT) | instid1(VALU_DEP_1)
	v_add_co_u32 v62, s17, v63, -1
	v_cndmask_b32_e64 v63, 0, 1, s17
	s_delay_alu instid0(VALU_DEP_3) | instskip(NEXT) | instid1(VALU_DEP_2)
	v_dual_lshlrev_b32 v144, 30, v146 :: v_dual_lshlrev_b32 v148, 29, v146
	v_cmp_ne_u32_e32 vcc_lo, 0, v63
	s_delay_alu instid0(VALU_DEP_2) | instskip(SKIP_1) | instid1(VALU_DEP_4)
	v_cmp_gt_i32_e64 s17, 0, v144
	v_not_b32_e32 v63, v144
	v_not_b32_e32 v144, v148
	v_cmp_gt_i32_e64 s18, 0, v148
	v_bitop3_b32 v62, vcc_lo, exec_lo, v62 bitop3:0x48
	s_delay_alu instid0(VALU_DEP_3) | instskip(SKIP_2) | instid1(VALU_DEP_3)
	v_dual_ashrrev_i32 v63, 31, v63 :: v_dual_ashrrev_i32 v144, 31, v144
	v_dual_lshlrev_b32 v149, 28, v146 :: v_dual_lshlrev_b32 v150, 27, v146
	v_dual_lshlrev_b32 v152, 26, v146 :: v_dual_lshlrev_b32 v153, 25, v146
	v_xor_b32_e32 v144, s18, v144
	s_delay_alu instid0(VALU_DEP_3)
	v_cmp_gt_i32_e64 s19, 0, v149
	v_not_b32_e32 v148, v149
	v_not_b32_e32 v149, v150
	v_cmp_gt_i32_e64 s20, 0, v150
	v_cmp_gt_i32_e64 s21, 0, v152
	v_not_b32_e32 v150, v152
	v_not_b32_e32 v152, v153
	v_dual_ashrrev_i32 v148, 31, v148 :: v_dual_ashrrev_i32 v149, 31, v149
	s_delay_alu instid0(VALU_DEP_3) | instskip(SKIP_1) | instid1(VALU_DEP_3)
	v_dual_ashrrev_i32 v150, 31, v150 :: v_dual_bitop2_b32 v63, s17, v63 bitop3:0x14
	v_cmp_gt_i32_e64 s22, 0, v153
	v_dual_ashrrev_i32 v152, 31, v152 :: v_dual_bitop2_b32 v149, s20, v149 bitop3:0x14
	s_delay_alu instid0(VALU_DEP_4) | instskip(NEXT) | instid1(VALU_DEP_4)
	v_xor_b32_e32 v148, s19, v148
	v_bitop3_b32 v62, v62, v144, v63 bitop3:0x80
	v_xor_b32_e32 v63, s21, v150
	s_delay_alu instid0(VALU_DEP_4) | instskip(NEXT) | instid1(VALU_DEP_3)
	v_xor_b32_e32 v144, s22, v152
	v_bitop3_b32 v62, v62, v149, v148 bitop3:0x80
	s_delay_alu instid0(VALU_DEP_1) | instskip(SKIP_1) | instid1(VALU_DEP_2)
	v_bitop3_b32 v62, v62, v144, v63 bitop3:0x80
	v_mul_u32_u24_e32 v63, 36, v146
	v_mbcnt_lo_u32_b32 v144, v62, 0
	v_cmp_ne_u32_e64 s17, 0, v62
	s_delay_alu instid0(VALU_DEP_3) | instskip(NEXT) | instid1(VALU_DEP_3)
	v_add_nc_u32_e32 v146, v23, v63
	v_cmp_eq_u32_e32 vcc_lo, 0, v144
	s_and_b32 s18, s17, vcc_lo
	s_delay_alu instid0(SALU_CYCLE_1)
	s_and_saveexec_b32 s17, s18
; %bb.457:                              ;   in Loop: Header=BB1038_418 Depth=2
	v_bcnt_u32_b32 v62, v62, 0
	ds_store_b32 v146, v62 offset:544
; %bb.458:                              ;   in Loop: Header=BB1038_418 Depth=2
	s_or_b32 exec_lo, exec_lo, s17
	v_xor_b32_e32 v145, 0xffff8000, v145
	; wave barrier
	s_delay_alu instid0(VALU_DEP_1) | instskip(NEXT) | instid1(VALU_DEP_1)
	v_and_b32_e32 v62, 0xffff, v145
	v_lshrrev_b32_e32 v62, s43, v62
	s_delay_alu instid0(VALU_DEP_1) | instskip(SKIP_1) | instid1(VALU_DEP_2)
	v_bitop3_b32 v63, v62, 1, s48 bitop3:0x80
	v_and_b32_e32 v150, s48, v62
	v_add_co_u32 v62, s17, v63, -1
	s_delay_alu instid0(VALU_DEP_1) | instskip(NEXT) | instid1(VALU_DEP_3)
	v_cndmask_b32_e64 v63, 0, 1, s17
	v_dual_lshlrev_b32 v148, 30, v150 :: v_dual_lshlrev_b32 v149, 29, v150
	s_delay_alu instid0(VALU_DEP_2) | instskip(NEXT) | instid1(VALU_DEP_2)
	v_cmp_ne_u32_e32 vcc_lo, 0, v63
	v_cmp_gt_i32_e64 s17, 0, v148
	v_not_b32_e32 v63, v148
	s_delay_alu instid0(VALU_DEP_4) | instskip(SKIP_2) | instid1(VALU_DEP_3)
	v_not_b32_e32 v148, v149
	v_cmp_gt_i32_e64 s18, 0, v149
	v_bitop3_b32 v62, vcc_lo, exec_lo, v62 bitop3:0x48
	v_dual_ashrrev_i32 v63, 31, v63 :: v_dual_ashrrev_i32 v148, 31, v148
	v_dual_lshlrev_b32 v152, 28, v150 :: v_dual_lshlrev_b32 v153, 27, v150
	v_dual_lshlrev_b32 v154, 26, v150 :: v_dual_lshlrev_b32 v157, 25, v150
	s_delay_alu instid0(VALU_DEP_2) | instskip(SKIP_1) | instid1(VALU_DEP_4)
	v_cmp_gt_i32_e64 s19, 0, v152
	v_not_b32_e32 v149, v152
	v_cmp_gt_i32_e64 s20, 0, v153
	v_not_b32_e32 v152, v153
	;; [unrolled: 2-line block ×3, first 2 shown]
	v_not_b32_e32 v154, v157
	v_xor_b32_e32 v63, s17, v63
	v_dual_ashrrev_i32 v149, 31, v149 :: v_dual_bitop2_b32 v148, s18, v148 bitop3:0x14
	s_delay_alu instid0(VALU_DEP_4) | instskip(NEXT) | instid1(VALU_DEP_4)
	v_dual_ashrrev_i32 v152, 31, v152 :: v_dual_ashrrev_i32 v153, 31, v153
	v_ashrrev_i32_e32 v154, 31, v154
	s_delay_alu instid0(VALU_DEP_3)
	v_bitop3_b32 v62, v62, v148, v63 bitop3:0x80
	v_mad_u32_u24 v63, v150, 36, v23
	v_cmp_gt_i32_e64 s22, 0, v157
	v_xor_b32_e32 v152, s20, v152
	v_xor_b32_e32 v153, s21, v153
	ds_load_b32 v148, v63 offset:544
	v_mul_u32_u24_e32 v63, 36, v150
	v_xor_b32_e32 v149, s19, v149
	v_xor_b32_e32 v154, s22, v154
	; wave barrier
	s_delay_alu instid0(VALU_DEP_3) | instskip(NEXT) | instid1(VALU_DEP_3)
	v_add_nc_u32_e32 v150, v23, v63
	v_bitop3_b32 v62, v62, v152, v149 bitop3:0x80
	s_delay_alu instid0(VALU_DEP_1) | instskip(NEXT) | instid1(VALU_DEP_1)
	v_bitop3_b32 v62, v62, v154, v153 bitop3:0x80
	v_mbcnt_lo_u32_b32 v149, v62, 0
	v_cmp_ne_u32_e64 s17, 0, v62
	s_delay_alu instid0(VALU_DEP_2) | instskip(SKIP_1) | instid1(SALU_CYCLE_1)
	v_cmp_eq_u32_e32 vcc_lo, 0, v149
	s_and_b32 s18, s17, vcc_lo
	s_and_saveexec_b32 s17, s18
	s_cbranch_execz .LBB1038_460
; %bb.459:                              ;   in Loop: Header=BB1038_418 Depth=2
	s_wait_dscnt 0x0
	v_bcnt_u32_b32 v62, v62, v148
	ds_store_b32 v150, v62 offset:544
.LBB1038_460:                           ;   in Loop: Header=BB1038_418 Depth=2
	s_or_b32 exec_lo, exec_lo, s17
	v_xor_b32_e32 v147, 0xffff8000, v147
	; wave barrier
	s_delay_alu instid0(VALU_DEP_1) | instskip(NEXT) | instid1(VALU_DEP_1)
	v_and_b32_e32 v62, 0xffff, v147
	v_lshrrev_b32_e32 v62, s43, v62
	s_delay_alu instid0(VALU_DEP_1) | instskip(SKIP_1) | instid1(VALU_DEP_2)
	v_bitop3_b32 v63, v62, 1, s48 bitop3:0x80
	v_and_b32_e32 v154, s48, v62
	v_add_co_u32 v62, s17, v63, -1
	s_delay_alu instid0(VALU_DEP_1) | instskip(NEXT) | instid1(VALU_DEP_3)
	v_cndmask_b32_e64 v63, 0, 1, s17
	v_dual_lshlrev_b32 v152, 30, v154 :: v_dual_lshlrev_b32 v153, 29, v154
	s_delay_alu instid0(VALU_DEP_2) | instskip(NEXT) | instid1(VALU_DEP_2)
	v_cmp_ne_u32_e32 vcc_lo, 0, v63
	v_cmp_gt_i32_e64 s17, 0, v152
	v_not_b32_e32 v63, v152
	s_delay_alu instid0(VALU_DEP_4) | instskip(SKIP_2) | instid1(VALU_DEP_3)
	v_not_b32_e32 v152, v153
	v_cmp_gt_i32_e64 s18, 0, v153
	v_bitop3_b32 v62, vcc_lo, exec_lo, v62 bitop3:0x48
	v_dual_ashrrev_i32 v63, 31, v63 :: v_dual_ashrrev_i32 v152, 31, v152
	v_dual_lshlrev_b32 v157, 28, v154 :: v_dual_lshlrev_b32 v158, 27, v154
	v_dual_lshlrev_b32 v159, 26, v154 :: v_dual_lshlrev_b32 v162, 25, v154
	s_delay_alu instid0(VALU_DEP_3) | instskip(NEXT) | instid1(VALU_DEP_3)
	v_xor_b32_e32 v63, s17, v63
	v_cmp_gt_i32_e64 s19, 0, v157
	v_not_b32_e32 v153, v157
	v_not_b32_e32 v157, v158
	v_xor_b32_e32 v152, s18, v152
	v_cmp_gt_i32_e64 s20, 0, v158
	v_cmp_gt_i32_e64 s21, 0, v159
	v_ashrrev_i32_e32 v153, 31, v153
	v_ashrrev_i32_e32 v157, 31, v157
	v_not_b32_e32 v158, v159
	v_not_b32_e32 v159, v162
	v_bitop3_b32 v62, v62, v152, v63 bitop3:0x80
	v_mad_u32_u24 v63, v154, 36, v23
	v_cmp_gt_i32_e64 s22, 0, v162
	s_delay_alu instid0(VALU_DEP_4)
	v_dual_ashrrev_i32 v158, 31, v158 :: v_dual_ashrrev_i32 v159, 31, v159
	v_xor_b32_e32 v157, s20, v157
	ds_load_b32 v152, v63 offset:544
	v_mul_u32_u24_e32 v63, 36, v154
	v_xor_b32_e32 v153, s19, v153
	v_xor_b32_e32 v158, s21, v158
	;; [unrolled: 1-line block ×3, first 2 shown]
	s_delay_alu instid0(VALU_DEP_4) | instskip(NEXT) | instid1(VALU_DEP_4)
	v_add_nc_u32_e32 v154, v23, v63
	v_bitop3_b32 v62, v62, v157, v153 bitop3:0x80
	; wave barrier
	s_delay_alu instid0(VALU_DEP_1) | instskip(NEXT) | instid1(VALU_DEP_1)
	v_bitop3_b32 v62, v62, v159, v158 bitop3:0x80
	v_mbcnt_lo_u32_b32 v153, v62, 0
	v_cmp_ne_u32_e64 s17, 0, v62
	s_delay_alu instid0(VALU_DEP_2) | instskip(SKIP_1) | instid1(SALU_CYCLE_1)
	v_cmp_eq_u32_e32 vcc_lo, 0, v153
	s_and_b32 s18, s17, vcc_lo
	s_and_saveexec_b32 s17, s18
	s_cbranch_execz .LBB1038_462
; %bb.461:                              ;   in Loop: Header=BB1038_418 Depth=2
	s_wait_dscnt 0x0
	v_bcnt_u32_b32 v62, v62, v152
	ds_store_b32 v154, v62 offset:544
.LBB1038_462:                           ;   in Loop: Header=BB1038_418 Depth=2
	s_or_b32 exec_lo, exec_lo, s17
	v_xor_b32_e32 v151, 0xffff8000, v151
	; wave barrier
	s_delay_alu instid0(VALU_DEP_1) | instskip(NEXT) | instid1(VALU_DEP_1)
	v_and_b32_e32 v62, 0xffff, v151
	v_lshrrev_b32_e32 v62, s43, v62
	s_delay_alu instid0(VALU_DEP_1) | instskip(NEXT) | instid1(VALU_DEP_1)
	v_and_b32_e32 v159, s48, v62
	v_lshlrev_b32_e32 v157, 30, v159
	v_bitop3_b32 v63, v62, 1, s48 bitop3:0x80
	s_delay_alu instid0(VALU_DEP_1) | instskip(NEXT) | instid1(VALU_DEP_1)
	v_add_co_u32 v62, s17, v63, -1
	v_cndmask_b32_e64 v63, 0, 1, s17
	s_delay_alu instid0(VALU_DEP_4) | instskip(NEXT) | instid1(VALU_DEP_2)
	v_cmp_gt_i32_e64 s17, 0, v157
	v_cmp_ne_u32_e32 vcc_lo, 0, v63
	v_not_b32_e32 v63, v157
	v_bitop3_b32 v62, vcc_lo, exec_lo, v62 bitop3:0x48
	s_delay_alu instid0(VALU_DEP_2) | instskip(SKIP_2) | instid1(VALU_DEP_3)
	v_ashrrev_i32_e32 v63, 31, v63
	v_dual_lshlrev_b32 v158, 29, v159 :: v_dual_lshlrev_b32 v162, 28, v159
	v_dual_lshlrev_b32 v163, 27, v159 :: v_dual_lshlrev_b32 v165, 26, v159
	v_xor_b32_e32 v63, s17, v63
	s_delay_alu instid0(VALU_DEP_3)
	v_not_b32_e32 v157, v158
	v_lshlrev_b32_e32 v167, 25, v159
	v_cmp_gt_i32_e64 s18, 0, v158
	v_cmp_gt_i32_e64 s19, 0, v162
	v_not_b32_e32 v158, v162
	v_not_b32_e32 v162, v163
	v_ashrrev_i32_e32 v157, 31, v157
	v_cmp_gt_i32_e64 s20, 0, v163
	v_cmp_gt_i32_e64 s21, 0, v165
	v_ashrrev_i32_e32 v158, 31, v158
	s_delay_alu instid0(VALU_DEP_4) | instskip(SKIP_3) | instid1(VALU_DEP_4)
	v_dual_ashrrev_i32 v162, 31, v162 :: v_dual_bitop2_b32 v157, s18, v157 bitop3:0x14
	v_not_b32_e32 v163, v165
	v_not_b32_e32 v165, v167
	v_cmp_gt_i32_e64 s22, 0, v167
	v_xor_b32_e32 v162, s20, v162
	v_bitop3_b32 v62, v62, v157, v63 bitop3:0x80
	v_mad_u32_u24 v63, v159, 36, v23
	v_dual_ashrrev_i32 v163, 31, v163 :: v_dual_ashrrev_i32 v165, 31, v165
	ds_load_b32 v157, v63 offset:544
	v_mul_u32_u24_e32 v63, 36, v159
	v_xor_b32_e32 v158, s19, v158
	v_xor_b32_e32 v163, s21, v163
	;; [unrolled: 1-line block ×3, first 2 shown]
	s_delay_alu instid0(VALU_DEP_4) | instskip(NEXT) | instid1(VALU_DEP_4)
	v_add_nc_u32_e32 v159, v23, v63
	v_bitop3_b32 v62, v62, v162, v158 bitop3:0x80
	; wave barrier
	s_delay_alu instid0(VALU_DEP_1) | instskip(NEXT) | instid1(VALU_DEP_1)
	v_bitop3_b32 v62, v62, v165, v163 bitop3:0x80
	v_mbcnt_lo_u32_b32 v158, v62, 0
	v_cmp_ne_u32_e64 s17, 0, v62
	s_delay_alu instid0(VALU_DEP_2) | instskip(SKIP_1) | instid1(SALU_CYCLE_1)
	v_cmp_eq_u32_e32 vcc_lo, 0, v158
	s_and_b32 s18, s17, vcc_lo
	s_and_saveexec_b32 s17, s18
	s_cbranch_execz .LBB1038_464
; %bb.463:                              ;   in Loop: Header=BB1038_418 Depth=2
	s_wait_dscnt 0x0
	v_bcnt_u32_b32 v62, v62, v157
	ds_store_b32 v159, v62 offset:544
.LBB1038_464:                           ;   in Loop: Header=BB1038_418 Depth=2
	s_or_b32 exec_lo, exec_lo, s17
	v_xor_b32_e32 v155, 0xffff8000, v155
	; wave barrier
	s_delay_alu instid0(VALU_DEP_1) | instskip(NEXT) | instid1(VALU_DEP_1)
	v_and_b32_e32 v62, 0xffff, v155
	v_lshrrev_b32_e32 v62, s43, v62
	s_delay_alu instid0(VALU_DEP_1) | instskip(NEXT) | instid1(VALU_DEP_1)
	v_and_b32_e32 v165, s48, v62
	v_lshlrev_b32_e32 v162, 30, v165
	v_bitop3_b32 v63, v62, 1, s48 bitop3:0x80
	s_delay_alu instid0(VALU_DEP_1) | instskip(NEXT) | instid1(VALU_DEP_1)
	v_add_co_u32 v62, s17, v63, -1
	v_cndmask_b32_e64 v63, 0, 1, s17
	s_delay_alu instid0(VALU_DEP_4) | instskip(NEXT) | instid1(VALU_DEP_2)
	v_cmp_gt_i32_e64 s17, 0, v162
	v_cmp_ne_u32_e32 vcc_lo, 0, v63
	v_not_b32_e32 v63, v162
	v_bitop3_b32 v62, vcc_lo, exec_lo, v62 bitop3:0x48
	s_delay_alu instid0(VALU_DEP_2) | instskip(SKIP_2) | instid1(VALU_DEP_3)
	v_dual_ashrrev_i32 v63, 31, v63 :: v_dual_lshlrev_b32 v163, 29, v165
	v_dual_lshlrev_b32 v167, 28, v165 :: v_dual_lshlrev_b32 v168, 27, v165
	v_lshlrev_b32_e32 v170, 26, v165
	v_not_b32_e32 v162, v163
	v_lshlrev_b32_e32 v172, 25, v165
	v_cmp_gt_i32_e64 s18, 0, v163
	v_cmp_gt_i32_e64 s19, 0, v167
	v_not_b32_e32 v163, v167
	v_not_b32_e32 v167, v168
	v_ashrrev_i32_e32 v162, 31, v162
	v_cmp_gt_i32_e64 s20, 0, v168
	v_cmp_gt_i32_e64 s21, 0, v170
	v_not_b32_e32 v168, v170
	v_not_b32_e32 v170, v172
	v_dual_ashrrev_i32 v163, 31, v163 :: v_dual_bitop2_b32 v162, s18, v162 bitop3:0x14
	s_delay_alu instid0(VALU_DEP_3) | instskip(NEXT) | instid1(VALU_DEP_3)
	v_dual_ashrrev_i32 v167, 31, v167 :: v_dual_ashrrev_i32 v168, 31, v168
	v_dual_ashrrev_i32 v170, 31, v170 :: v_dual_bitop2_b32 v63, s17, v63 bitop3:0x14
	v_cmp_gt_i32_e64 s22, 0, v172
	s_delay_alu instid0(VALU_DEP_4) | instskip(NEXT) | instid1(VALU_DEP_4)
	v_xor_b32_e32 v163, s19, v163
	v_xor_b32_e32 v167, s20, v167
	s_delay_alu instid0(VALU_DEP_4) | instskip(SKIP_2) | instid1(VALU_DEP_3)
	v_bitop3_b32 v62, v62, v162, v63 bitop3:0x80
	v_mad_u32_u24 v63, v165, 36, v23
	v_xor_b32_e32 v170, s22, v170
	v_bitop3_b32 v62, v62, v167, v163 bitop3:0x80
	ds_load_b32 v162, v63 offset:544
	v_mul_u32_u24_e32 v63, 36, v165
	v_xor_b32_e32 v168, s21, v168
	; wave barrier
	s_delay_alu instid0(VALU_DEP_2) | instskip(NEXT) | instid1(VALU_DEP_2)
	v_add_nc_u32_e32 v165, v23, v63
	v_bitop3_b32 v62, v62, v170, v168 bitop3:0x80
	s_delay_alu instid0(VALU_DEP_1) | instskip(SKIP_1) | instid1(VALU_DEP_2)
	v_mbcnt_lo_u32_b32 v163, v62, 0
	v_cmp_ne_u32_e64 s17, 0, v62
	v_cmp_eq_u32_e32 vcc_lo, 0, v163
	s_and_b32 s18, s17, vcc_lo
	s_delay_alu instid0(SALU_CYCLE_1)
	s_and_saveexec_b32 s17, s18
	s_cbranch_execz .LBB1038_466
; %bb.465:                              ;   in Loop: Header=BB1038_418 Depth=2
	s_wait_dscnt 0x0
	v_bcnt_u32_b32 v62, v62, v162
	ds_store_b32 v165, v62 offset:544
.LBB1038_466:                           ;   in Loop: Header=BB1038_418 Depth=2
	s_or_b32 exec_lo, exec_lo, s17
	v_xor_b32_e32 v160, 0xffff8000, v160
	; wave barrier
	s_delay_alu instid0(VALU_DEP_1) | instskip(NEXT) | instid1(VALU_DEP_1)
	v_and_b32_e32 v62, 0xffff, v160
	v_lshrrev_b32_e32 v62, s43, v62
	s_delay_alu instid0(VALU_DEP_1) | instskip(SKIP_1) | instid1(VALU_DEP_2)
	v_bitop3_b32 v63, v62, 1, s48 bitop3:0x80
	v_and_b32_e32 v170, s48, v62
	v_add_co_u32 v62, s17, v63, -1
	s_delay_alu instid0(VALU_DEP_1) | instskip(NEXT) | instid1(VALU_DEP_3)
	v_cndmask_b32_e64 v63, 0, 1, s17
	v_dual_lshlrev_b32 v167, 30, v170 :: v_dual_lshlrev_b32 v168, 29, v170
	s_delay_alu instid0(VALU_DEP_2) | instskip(NEXT) | instid1(VALU_DEP_2)
	v_cmp_ne_u32_e32 vcc_lo, 0, v63
	v_cmp_gt_i32_e64 s17, 0, v167
	v_not_b32_e32 v63, v167
	s_delay_alu instid0(VALU_DEP_4) | instskip(SKIP_2) | instid1(VALU_DEP_4)
	v_not_b32_e32 v167, v168
	v_cmp_gt_i32_e64 s18, 0, v168
	v_bitop3_b32 v62, vcc_lo, exec_lo, v62 bitop3:0x48
	v_ashrrev_i32_e32 v63, 31, v63
	s_delay_alu instid0(VALU_DEP_4) | instskip(SKIP_1) | instid1(VALU_DEP_3)
	v_dual_ashrrev_i32 v167, 31, v167 :: v_dual_lshlrev_b32 v172, 28, v170
	v_dual_lshlrev_b32 v173, 27, v170 :: v_dual_lshlrev_b32 v175, 26, v170
	v_dual_lshlrev_b32 v177, 25, v170 :: v_dual_bitop2_b32 v63, s17, v63 bitop3:0x14
	s_delay_alu instid0(VALU_DEP_3) | instskip(SKIP_1) | instid1(VALU_DEP_4)
	v_cmp_gt_i32_e64 s19, 0, v172
	v_not_b32_e32 v168, v172
	v_not_b32_e32 v172, v173
	v_xor_b32_e32 v167, s18, v167
	v_cmp_gt_i32_e64 s20, 0, v173
	v_cmp_gt_i32_e64 s21, 0, v175
	v_ashrrev_i32_e32 v168, 31, v168
	v_ashrrev_i32_e32 v172, 31, v172
	v_not_b32_e32 v173, v175
	v_not_b32_e32 v175, v177
	v_bitop3_b32 v62, v62, v167, v63 bitop3:0x80
	v_mad_u32_u24 v63, v170, 36, v23
	v_cmp_gt_i32_e64 s22, 0, v177
	s_delay_alu instid0(VALU_DEP_4)
	v_dual_ashrrev_i32 v173, 31, v173 :: v_dual_ashrrev_i32 v175, 31, v175
	v_xor_b32_e32 v172, s20, v172
	ds_load_b32 v167, v63 offset:544
	v_mul_u32_u24_e32 v63, 36, v170
	v_xor_b32_e32 v168, s19, v168
	v_xor_b32_e32 v173, s21, v173
	v_xor_b32_e32 v175, s22, v175
	s_delay_alu instid0(VALU_DEP_4) | instskip(NEXT) | instid1(VALU_DEP_4)
	v_add_nc_u32_e32 v170, v23, v63
	v_bitop3_b32 v62, v62, v172, v168 bitop3:0x80
	; wave barrier
	s_delay_alu instid0(VALU_DEP_1) | instskip(NEXT) | instid1(VALU_DEP_1)
	v_bitop3_b32 v62, v62, v175, v173 bitop3:0x80
	v_mbcnt_lo_u32_b32 v168, v62, 0
	v_cmp_ne_u32_e64 s17, 0, v62
	s_delay_alu instid0(VALU_DEP_2) | instskip(SKIP_1) | instid1(SALU_CYCLE_1)
	v_cmp_eq_u32_e32 vcc_lo, 0, v168
	s_and_b32 s18, s17, vcc_lo
	s_and_saveexec_b32 s17, s18
	s_cbranch_execz .LBB1038_468
; %bb.467:                              ;   in Loop: Header=BB1038_418 Depth=2
	s_wait_dscnt 0x0
	v_bcnt_u32_b32 v62, v62, v167
	ds_store_b32 v170, v62 offset:544
.LBB1038_468:                           ;   in Loop: Header=BB1038_418 Depth=2
	s_or_b32 exec_lo, exec_lo, s17
	v_xor_b32_e32 v166, 0xffff8000, v166
	; wave barrier
	s_delay_alu instid0(VALU_DEP_1) | instskip(NEXT) | instid1(VALU_DEP_1)
	v_and_b32_e32 v62, 0xffff, v166
	v_lshrrev_b32_e32 v62, s43, v62
	s_delay_alu instid0(VALU_DEP_1) | instskip(NEXT) | instid1(VALU_DEP_1)
	v_and_b32_e32 v175, s48, v62
	v_lshlrev_b32_e32 v172, 30, v175
	v_bitop3_b32 v63, v62, 1, s48 bitop3:0x80
	s_delay_alu instid0(VALU_DEP_1) | instskip(NEXT) | instid1(VALU_DEP_1)
	v_add_co_u32 v62, s17, v63, -1
	v_cndmask_b32_e64 v63, 0, 1, s17
	s_delay_alu instid0(VALU_DEP_4) | instskip(NEXT) | instid1(VALU_DEP_2)
	v_cmp_gt_i32_e64 s17, 0, v172
	v_cmp_ne_u32_e32 vcc_lo, 0, v63
	v_not_b32_e32 v63, v172
	v_bitop3_b32 v62, vcc_lo, exec_lo, v62 bitop3:0x48
	s_delay_alu instid0(VALU_DEP_2) | instskip(SKIP_2) | instid1(VALU_DEP_3)
	v_ashrrev_i32_e32 v63, 31, v63
	v_dual_lshlrev_b32 v173, 29, v175 :: v_dual_lshlrev_b32 v177, 28, v175
	v_dual_lshlrev_b32 v178, 27, v175 :: v_dual_lshlrev_b32 v179, 26, v175
	v_xor_b32_e32 v63, s17, v63
	s_delay_alu instid0(VALU_DEP_3)
	v_not_b32_e32 v172, v173
	v_lshlrev_b32_e32 v180, 25, v175
	v_cmp_gt_i32_e64 s18, 0, v173
	v_cmp_gt_i32_e64 s19, 0, v177
	v_not_b32_e32 v173, v177
	v_not_b32_e32 v177, v178
	v_ashrrev_i32_e32 v172, 31, v172
	v_cmp_gt_i32_e64 s20, 0, v178
	v_cmp_gt_i32_e64 s21, 0, v179
	v_ashrrev_i32_e32 v173, 31, v173
	s_delay_alu instid0(VALU_DEP_4) | instskip(SKIP_3) | instid1(VALU_DEP_4)
	v_dual_ashrrev_i32 v177, 31, v177 :: v_dual_bitop2_b32 v172, s18, v172 bitop3:0x14
	v_not_b32_e32 v178, v179
	v_not_b32_e32 v179, v180
	v_cmp_gt_i32_e64 s22, 0, v180
	v_xor_b32_e32 v177, s20, v177
	v_bitop3_b32 v62, v62, v172, v63 bitop3:0x80
	v_mad_u32_u24 v63, v175, 36, v23
	v_dual_ashrrev_i32 v178, 31, v178 :: v_dual_ashrrev_i32 v179, 31, v179
	ds_load_b32 v172, v63 offset:544
	v_mul_u32_u24_e32 v63, 36, v175
	v_xor_b32_e32 v173, s19, v173
	v_xor_b32_e32 v178, s21, v178
	;; [unrolled: 1-line block ×3, first 2 shown]
	s_delay_alu instid0(VALU_DEP_4) | instskip(NEXT) | instid1(VALU_DEP_4)
	v_add_nc_u32_e32 v175, v23, v63
	v_bitop3_b32 v62, v62, v177, v173 bitop3:0x80
	; wave barrier
	s_delay_alu instid0(VALU_DEP_1) | instskip(NEXT) | instid1(VALU_DEP_1)
	v_bitop3_b32 v62, v62, v179, v178 bitop3:0x80
	v_mbcnt_lo_u32_b32 v173, v62, 0
	v_cmp_ne_u32_e64 s17, 0, v62
	s_delay_alu instid0(VALU_DEP_2) | instskip(SKIP_1) | instid1(SALU_CYCLE_1)
	v_cmp_eq_u32_e32 vcc_lo, 0, v173
	s_and_b32 s18, s17, vcc_lo
	s_and_saveexec_b32 s17, s18
	s_cbranch_execz .LBB1038_470
; %bb.469:                              ;   in Loop: Header=BB1038_418 Depth=2
	s_wait_dscnt 0x0
	v_bcnt_u32_b32 v62, v62, v172
	ds_store_b32 v175, v62 offset:544
.LBB1038_470:                           ;   in Loop: Header=BB1038_418 Depth=2
	s_or_b32 exec_lo, exec_lo, s17
	v_xor_b32_e32 v171, 0xffff8000, v171
	; wave barrier
	s_delay_alu instid0(VALU_DEP_1) | instskip(NEXT) | instid1(VALU_DEP_1)
	v_and_b32_e32 v62, 0xffff, v171
	v_lshrrev_b32_e32 v62, s43, v62
	s_delay_alu instid0(VALU_DEP_1) | instskip(NEXT) | instid1(VALU_DEP_1)
	v_and_b32_e32 v179, s48, v62
	v_lshlrev_b32_e32 v177, 30, v179
	v_bitop3_b32 v63, v62, 1, s48 bitop3:0x80
	s_delay_alu instid0(VALU_DEP_1) | instskip(NEXT) | instid1(VALU_DEP_1)
	v_add_co_u32 v62, s17, v63, -1
	v_cndmask_b32_e64 v63, 0, 1, s17
	s_delay_alu instid0(VALU_DEP_4) | instskip(NEXT) | instid1(VALU_DEP_2)
	v_cmp_gt_i32_e64 s17, 0, v177
	v_cmp_ne_u32_e32 vcc_lo, 0, v63
	v_not_b32_e32 v63, v177
	v_bitop3_b32 v62, vcc_lo, exec_lo, v62 bitop3:0x48
	s_delay_alu instid0(VALU_DEP_2) | instskip(SKIP_2) | instid1(VALU_DEP_2)
	v_ashrrev_i32_e32 v63, 31, v63
	v_dual_lshlrev_b32 v178, 29, v179 :: v_dual_lshlrev_b32 v180, 28, v179
	v_dual_lshlrev_b32 v181, 27, v179 :: v_dual_lshlrev_b32 v182, 26, v179
	v_not_b32_e32 v177, v178
	v_lshlrev_b32_e32 v183, 25, v179
	v_cmp_gt_i32_e64 s18, 0, v178
	v_cmp_gt_i32_e64 s19, 0, v180
	v_not_b32_e32 v178, v180
	v_ashrrev_i32_e32 v177, 31, v177
	v_cmp_gt_i32_e64 s20, 0, v181
	v_not_b32_e32 v180, v181
	v_cmp_gt_i32_e64 s21, 0, v182
	v_not_b32_e32 v181, v182
	v_not_b32_e32 v182, v183
	v_xor_b32_e32 v63, s17, v63
	v_dual_ashrrev_i32 v178, 31, v178 :: v_dual_bitop2_b32 v177, s18, v177 bitop3:0x14
	s_delay_alu instid0(VALU_DEP_4) | instskip(NEXT) | instid1(VALU_DEP_4)
	v_dual_ashrrev_i32 v180, 31, v180 :: v_dual_ashrrev_i32 v181, 31, v181
	v_ashrrev_i32_e32 v182, 31, v182
	s_delay_alu instid0(VALU_DEP_3)
	v_bitop3_b32 v62, v62, v177, v63 bitop3:0x80
	v_mad_u32_u24 v63, v179, 36, v23
	v_cmp_gt_i32_e64 s22, 0, v183
	v_xor_b32_e32 v180, s20, v180
	v_xor_b32_e32 v181, s21, v181
	ds_load_b32 v177, v63 offset:544
	v_mul_u32_u24_e32 v63, 36, v179
	v_xor_b32_e32 v178, s19, v178
	v_xor_b32_e32 v182, s22, v182
	; wave barrier
	s_delay_alu instid0(VALU_DEP_3) | instskip(NEXT) | instid1(VALU_DEP_3)
	v_add_nc_u32_e32 v179, v23, v63
	v_bitop3_b32 v62, v62, v180, v178 bitop3:0x80
	s_delay_alu instid0(VALU_DEP_1) | instskip(NEXT) | instid1(VALU_DEP_1)
	v_bitop3_b32 v62, v62, v182, v181 bitop3:0x80
	v_mbcnt_lo_u32_b32 v178, v62, 0
	v_cmp_ne_u32_e64 s17, 0, v62
	s_delay_alu instid0(VALU_DEP_2) | instskip(SKIP_1) | instid1(SALU_CYCLE_1)
	v_cmp_eq_u32_e32 vcc_lo, 0, v178
	s_and_b32 s18, s17, vcc_lo
	s_and_saveexec_b32 s17, s18
	s_cbranch_execz .LBB1038_472
; %bb.471:                              ;   in Loop: Header=BB1038_418 Depth=2
	s_wait_dscnt 0x0
	v_bcnt_u32_b32 v62, v62, v177
	ds_store_b32 v179, v62 offset:544
.LBB1038_472:                           ;   in Loop: Header=BB1038_418 Depth=2
	s_or_b32 exec_lo, exec_lo, s17
	v_xor_b32_e32 v176, 0xffff8000, v176
	; wave barrier
	s_delay_alu instid0(VALU_DEP_1) | instskip(NEXT) | instid1(VALU_DEP_1)
	v_and_b32_e32 v62, 0xffff, v176
	v_lshrrev_b32_e32 v62, s43, v62
	s_delay_alu instid0(VALU_DEP_1) | instskip(SKIP_1) | instid1(VALU_DEP_2)
	v_bitop3_b32 v63, v62, 1, s48 bitop3:0x80
	v_and_b32_e32 v182, s48, v62
	v_add_co_u32 v62, s17, v63, -1
	s_delay_alu instid0(VALU_DEP_1) | instskip(NEXT) | instid1(VALU_DEP_3)
	v_cndmask_b32_e64 v63, 0, 1, s17
	v_dual_lshlrev_b32 v180, 30, v182 :: v_dual_lshlrev_b32 v181, 29, v182
	s_delay_alu instid0(VALU_DEP_2) | instskip(NEXT) | instid1(VALU_DEP_2)
	v_cmp_ne_u32_e32 vcc_lo, 0, v63
	v_cmp_gt_i32_e64 s17, 0, v180
	v_not_b32_e32 v63, v180
	s_delay_alu instid0(VALU_DEP_4) | instskip(SKIP_2) | instid1(VALU_DEP_3)
	v_not_b32_e32 v180, v181
	v_cmp_gt_i32_e64 s18, 0, v181
	v_bitop3_b32 v62, vcc_lo, exec_lo, v62 bitop3:0x48
	v_dual_ashrrev_i32 v63, 31, v63 :: v_dual_ashrrev_i32 v180, 31, v180
	v_dual_lshlrev_b32 v183, 28, v182 :: v_dual_lshlrev_b32 v184, 27, v182
	v_dual_lshlrev_b32 v185, 26, v182 :: v_dual_lshlrev_b32 v186, 25, v182
	s_delay_alu instid0(VALU_DEP_2) | instskip(SKIP_1) | instid1(VALU_DEP_4)
	v_cmp_gt_i32_e64 s19, 0, v183
	v_not_b32_e32 v181, v183
	v_cmp_gt_i32_e64 s20, 0, v184
	v_not_b32_e32 v183, v184
	;; [unrolled: 2-line block ×3, first 2 shown]
	v_not_b32_e32 v185, v186
	v_xor_b32_e32 v63, s17, v63
	v_dual_ashrrev_i32 v181, 31, v181 :: v_dual_bitop2_b32 v180, s18, v180 bitop3:0x14
	s_delay_alu instid0(VALU_DEP_4) | instskip(NEXT) | instid1(VALU_DEP_4)
	v_dual_ashrrev_i32 v183, 31, v183 :: v_dual_ashrrev_i32 v184, 31, v184
	v_ashrrev_i32_e32 v185, 31, v185
	s_delay_alu instid0(VALU_DEP_3)
	v_bitop3_b32 v62, v62, v180, v63 bitop3:0x80
	v_mad_u32_u24 v63, v182, 36, v23
	v_cmp_gt_i32_e64 s22, 0, v186
	v_xor_b32_e32 v183, s20, v183
	v_xor_b32_e32 v184, s21, v184
	ds_load_b32 v180, v63 offset:544
	v_mul_u32_u24_e32 v63, 36, v182
	v_xor_b32_e32 v181, s19, v181
	v_xor_b32_e32 v185, s22, v185
	; wave barrier
	s_delay_alu instid0(VALU_DEP_3) | instskip(NEXT) | instid1(VALU_DEP_3)
	v_add_nc_u32_e32 v182, v23, v63
	v_bitop3_b32 v62, v62, v183, v181 bitop3:0x80
	s_delay_alu instid0(VALU_DEP_1) | instskip(NEXT) | instid1(VALU_DEP_1)
	v_bitop3_b32 v62, v62, v185, v184 bitop3:0x80
	v_mbcnt_lo_u32_b32 v181, v62, 0
	v_cmp_ne_u32_e64 s17, 0, v62
	s_delay_alu instid0(VALU_DEP_2) | instskip(SKIP_1) | instid1(SALU_CYCLE_1)
	v_cmp_eq_u32_e32 vcc_lo, 0, v181
	s_and_b32 s18, s17, vcc_lo
	s_and_saveexec_b32 s17, s18
	s_cbranch_execz .LBB1038_474
; %bb.473:                              ;   in Loop: Header=BB1038_418 Depth=2
	s_wait_dscnt 0x0
	v_bcnt_u32_b32 v62, v62, v180
	ds_store_b32 v182, v62 offset:544
.LBB1038_474:                           ;   in Loop: Header=BB1038_418 Depth=2
	s_or_b32 exec_lo, exec_lo, s17
	v_xor_b32_e32 v174, 0xffff8000, v174
	; wave barrier
	s_delay_alu instid0(VALU_DEP_1) | instskip(NEXT) | instid1(VALU_DEP_1)
	v_and_b32_e32 v62, 0xffff, v174
	v_lshrrev_b32_e32 v62, s43, v62
	s_delay_alu instid0(VALU_DEP_1) | instskip(NEXT) | instid1(VALU_DEP_1)
	v_and_b32_e32 v185, s48, v62
	v_lshlrev_b32_e32 v183, 30, v185
	v_bitop3_b32 v63, v62, 1, s48 bitop3:0x80
	s_delay_alu instid0(VALU_DEP_1) | instskip(NEXT) | instid1(VALU_DEP_1)
	v_add_co_u32 v62, s17, v63, -1
	v_cndmask_b32_e64 v63, 0, 1, s17
	s_delay_alu instid0(VALU_DEP_4) | instskip(NEXT) | instid1(VALU_DEP_2)
	v_cmp_gt_i32_e64 s17, 0, v183
	v_cmp_ne_u32_e32 vcc_lo, 0, v63
	v_not_b32_e32 v63, v183
	v_bitop3_b32 v62, vcc_lo, exec_lo, v62 bitop3:0x48
	s_delay_alu instid0(VALU_DEP_2) | instskip(SKIP_2) | instid1(VALU_DEP_3)
	v_dual_ashrrev_i32 v63, 31, v63 :: v_dual_lshlrev_b32 v184, 29, v185
	v_dual_lshlrev_b32 v186, 28, v185 :: v_dual_lshlrev_b32 v187, 27, v185
	v_lshlrev_b32_e32 v188, 26, v185
	v_not_b32_e32 v183, v184
	v_lshlrev_b32_e32 v189, 25, v185
	v_cmp_gt_i32_e64 s18, 0, v184
	v_cmp_gt_i32_e64 s19, 0, v186
	v_not_b32_e32 v184, v186
	v_ashrrev_i32_e32 v183, 31, v183
	v_cmp_gt_i32_e64 s20, 0, v187
	v_not_b32_e32 v186, v187
	v_cmp_gt_i32_e64 s21, 0, v188
	v_not_b32_e32 v187, v188
	v_not_b32_e32 v188, v189
	v_xor_b32_e32 v63, s17, v63
	v_dual_ashrrev_i32 v184, 31, v184 :: v_dual_bitop2_b32 v183, s18, v183 bitop3:0x14
	s_delay_alu instid0(VALU_DEP_3) | instskip(SKIP_1) | instid1(VALU_DEP_3)
	v_dual_ashrrev_i32 v186, 31, v186 :: v_dual_ashrrev_i32 v188, 31, v188
	v_cmp_gt_i32_e64 s22, 0, v189
	v_bitop3_b32 v62, v62, v183, v63 bitop3:0x80
	v_mad_u32_u24 v63, v185, 36, v23
	v_dual_ashrrev_i32 v187, 31, v187 :: v_dual_bitop2_b32 v184, s19, v184 bitop3:0x14
	s_delay_alu instid0(VALU_DEP_4) | instskip(SKIP_4) | instid1(VALU_DEP_3)
	v_xor_b32_e32 v188, s22, v188
	ds_load_b32 v183, v63 offset:544
	v_mul_u32_u24_e32 v63, 36, v185
	v_xor_b32_e32 v186, s20, v186
	v_xor_b32_e32 v187, s21, v187
	; wave barrier
	v_add_nc_u32_e32 v185, v23, v63
	s_delay_alu instid0(VALU_DEP_3) | instskip(NEXT) | instid1(VALU_DEP_1)
	v_bitop3_b32 v62, v62, v186, v184 bitop3:0x80
	v_bitop3_b32 v62, v62, v188, v187 bitop3:0x80
	s_delay_alu instid0(VALU_DEP_1) | instskip(SKIP_1) | instid1(VALU_DEP_2)
	v_mbcnt_lo_u32_b32 v184, v62, 0
	v_cmp_ne_u32_e64 s17, 0, v62
	v_cmp_eq_u32_e32 vcc_lo, 0, v184
	s_and_b32 s18, s17, vcc_lo
	s_delay_alu instid0(SALU_CYCLE_1)
	s_and_saveexec_b32 s17, s18
	s_cbranch_execz .LBB1038_476
; %bb.475:                              ;   in Loop: Header=BB1038_418 Depth=2
	s_wait_dscnt 0x0
	v_bcnt_u32_b32 v62, v62, v183
	ds_store_b32 v185, v62 offset:544
.LBB1038_476:                           ;   in Loop: Header=BB1038_418 Depth=2
	s_or_b32 exec_lo, exec_lo, s17
	v_xor_b32_e32 v169, 0xffff8000, v169
	; wave barrier
	s_delay_alu instid0(VALU_DEP_1) | instskip(NEXT) | instid1(VALU_DEP_1)
	v_and_b32_e32 v62, 0xffff, v169
	v_lshrrev_b32_e32 v62, s43, v62
	s_delay_alu instid0(VALU_DEP_1) | instskip(SKIP_1) | instid1(VALU_DEP_2)
	v_bitop3_b32 v63, v62, 1, s48 bitop3:0x80
	v_and_b32_e32 v186, s48, v62
	v_add_co_u32 v62, s17, v63, -1
	s_delay_alu instid0(VALU_DEP_1) | instskip(NEXT) | instid1(VALU_DEP_3)
	v_cndmask_b32_e64 v63, 0, 1, s17
	v_dual_lshlrev_b32 v187, 30, v186 :: v_dual_lshlrev_b32 v188, 29, v186
	s_delay_alu instid0(VALU_DEP_2) | instskip(NEXT) | instid1(VALU_DEP_2)
	v_cmp_ne_u32_e32 vcc_lo, 0, v63
	v_cmp_gt_i32_e64 s17, 0, v187
	v_not_b32_e32 v63, v187
	s_delay_alu instid0(VALU_DEP_4) | instskip(SKIP_2) | instid1(VALU_DEP_4)
	v_not_b32_e32 v187, v188
	v_cmp_gt_i32_e64 s18, 0, v188
	v_bitop3_b32 v62, vcc_lo, exec_lo, v62 bitop3:0x48
	v_ashrrev_i32_e32 v63, 31, v63
	s_delay_alu instid0(VALU_DEP_4) | instskip(SKIP_1) | instid1(VALU_DEP_2)
	v_dual_ashrrev_i32 v187, 31, v187 :: v_dual_lshlrev_b32 v189, 28, v186
	v_dual_lshlrev_b32 v190, 27, v186 :: v_dual_lshlrev_b32 v191, 26, v186
	v_dual_lshlrev_b32 v192, 25, v186 :: v_dual_bitop2_b32 v187, s18, v187 bitop3:0x14
	s_delay_alu instid0(VALU_DEP_3) | instskip(SKIP_1) | instid1(VALU_DEP_4)
	v_cmp_gt_i32_e64 s19, 0, v189
	v_not_b32_e32 v188, v189
	v_cmp_gt_i32_e64 s20, 0, v190
	v_not_b32_e32 v189, v190
	v_not_b32_e32 v190, v191
	v_xor_b32_e32 v63, s17, v63
	v_cmp_gt_i32_e64 s21, 0, v191
	v_not_b32_e32 v191, v192
	v_dual_ashrrev_i32 v188, 31, v188 :: v_dual_ashrrev_i32 v189, 31, v189
	v_ashrrev_i32_e32 v190, 31, v190
	v_bitop3_b32 v62, v62, v187, v63 bitop3:0x80
	v_mad_u32_u24 v63, v186, 36, v23
	v_cmp_gt_i32_e64 s22, 0, v192
	v_dual_ashrrev_i32 v191, 31, v191 :: v_dual_bitop2_b32 v188, s19, v188 bitop3:0x14
	v_xor_b32_e32 v190, s21, v190
	ds_load_b32 v187, v63 offset:544
	v_mul_u32_u24_e32 v63, 36, v186
	v_xor_b32_e32 v189, s20, v189
	v_xor_b32_e32 v191, s22, v191
	; wave barrier
	s_delay_alu instid0(VALU_DEP_2) | instskip(NEXT) | instid1(VALU_DEP_1)
	v_bitop3_b32 v62, v62, v189, v188 bitop3:0x80
	v_bitop3_b32 v62, v62, v191, v190 bitop3:0x80
	v_add_nc_u32_e32 v190, v23, v63
	s_delay_alu instid0(VALU_DEP_2) | instskip(SKIP_1) | instid1(VALU_DEP_2)
	v_mbcnt_lo_u32_b32 v188, v62, 0
	v_cmp_ne_u32_e64 s17, 0, v62
	v_cmp_eq_u32_e32 vcc_lo, 0, v188
	s_and_b32 s18, s17, vcc_lo
	s_delay_alu instid0(SALU_CYCLE_1)
	s_and_saveexec_b32 s17, s18
	s_cbranch_execz .LBB1038_478
; %bb.477:                              ;   in Loop: Header=BB1038_418 Depth=2
	s_wait_dscnt 0x0
	v_bcnt_u32_b32 v62, v62, v187
	ds_store_b32 v190, v62 offset:544
.LBB1038_478:                           ;   in Loop: Header=BB1038_418 Depth=2
	s_or_b32 exec_lo, exec_lo, s17
	v_xor_b32_e32 v186, 0xffff8000, v164
	; wave barrier
	s_delay_alu instid0(VALU_DEP_1) | instskip(NEXT) | instid1(VALU_DEP_1)
	v_and_b32_e32 v62, 0xffff, v186
	v_lshrrev_b32_e32 v62, s43, v62
	s_delay_alu instid0(VALU_DEP_1) | instskip(NEXT) | instid1(VALU_DEP_1)
	v_and_b32_e32 v164, s48, v62
	v_lshlrev_b32_e32 v189, 30, v164
	v_bitop3_b32 v63, v62, 1, s48 bitop3:0x80
	s_delay_alu instid0(VALU_DEP_1) | instskip(NEXT) | instid1(VALU_DEP_1)
	v_add_co_u32 v62, s17, v63, -1
	v_cndmask_b32_e64 v63, 0, 1, s17
	s_delay_alu instid0(VALU_DEP_4) | instskip(NEXT) | instid1(VALU_DEP_2)
	v_cmp_gt_i32_e64 s17, 0, v189
	v_cmp_ne_u32_e32 vcc_lo, 0, v63
	v_not_b32_e32 v63, v189
	v_bitop3_b32 v62, vcc_lo, exec_lo, v62 bitop3:0x48
	s_delay_alu instid0(VALU_DEP_2) | instskip(SKIP_2) | instid1(VALU_DEP_3)
	v_dual_ashrrev_i32 v63, 31, v63 :: v_dual_lshlrev_b32 v191, 29, v164
	v_dual_lshlrev_b32 v192, 28, v164 :: v_dual_lshlrev_b32 v193, 27, v164
	v_lshlrev_b32_e32 v194, 26, v164
	v_not_b32_e32 v189, v191
	v_lshlrev_b32_e32 v195, 25, v164
	v_cmp_gt_i32_e64 s18, 0, v191
	v_cmp_gt_i32_e64 s19, 0, v192
	v_not_b32_e32 v191, v192
	v_not_b32_e32 v192, v193
	v_ashrrev_i32_e32 v189, 31, v189
	v_cmp_gt_i32_e64 s20, 0, v193
	v_cmp_gt_i32_e64 s21, 0, v194
	v_not_b32_e32 v193, v194
	v_not_b32_e32 v194, v195
	v_dual_ashrrev_i32 v191, 31, v191 :: v_dual_ashrrev_i32 v192, 31, v192
	s_delay_alu instid0(VALU_DEP_3) | instskip(NEXT) | instid1(VALU_DEP_3)
	v_dual_ashrrev_i32 v193, 31, v193 :: v_dual_bitop2_b32 v63, s17, v63 bitop3:0x14
	v_dual_ashrrev_i32 v194, 31, v194 :: v_dual_bitop2_b32 v189, s18, v189 bitop3:0x14
	v_cmp_gt_i32_e64 s22, 0, v195
	s_delay_alu instid0(VALU_DEP_4) | instskip(SKIP_1) | instid1(VALU_DEP_4)
	v_xor_b32_e32 v191, s19, v191
	v_xor_b32_e32 v192, s20, v192
	v_bitop3_b32 v62, v62, v189, v63 bitop3:0x80
	v_mad_u32_u24 v63, v164, 36, v23
	v_xor_b32_e32 v189, s21, v193
	v_xor_b32_e32 v193, s22, v194
	s_delay_alu instid0(VALU_DEP_4) | instskip(SKIP_3) | instid1(VALU_DEP_2)
	v_bitop3_b32 v62, v62, v192, v191 bitop3:0x80
	ds_load_b32 v191, v63 offset:544
	v_mul_u32_u24_e32 v63, 36, v164
	; wave barrier
	v_bitop3_b32 v62, v62, v193, v189 bitop3:0x80
	v_add_nc_u32_e32 v164, v23, v63
	s_delay_alu instid0(VALU_DEP_2) | instskip(SKIP_1) | instid1(VALU_DEP_2)
	v_mbcnt_lo_u32_b32 v192, v62, 0
	v_cmp_ne_u32_e64 s17, 0, v62
	v_cmp_eq_u32_e32 vcc_lo, 0, v192
	s_and_b32 s18, s17, vcc_lo
	s_delay_alu instid0(SALU_CYCLE_1)
	s_and_saveexec_b32 s17, s18
	s_cbranch_execz .LBB1038_480
; %bb.479:                              ;   in Loop: Header=BB1038_418 Depth=2
	s_wait_dscnt 0x0
	v_bcnt_u32_b32 v62, v62, v191
	ds_store_b32 v164, v62 offset:544
.LBB1038_480:                           ;   in Loop: Header=BB1038_418 Depth=2
	s_or_b32 exec_lo, exec_lo, s17
	v_xor_b32_e32 v189, 0xffff8000, v161
	; wave barrier
	s_delay_alu instid0(VALU_DEP_1) | instskip(NEXT) | instid1(VALU_DEP_1)
	v_and_b32_e32 v62, 0xffff, v189
	v_lshrrev_b32_e32 v62, s43, v62
	s_delay_alu instid0(VALU_DEP_1) | instskip(NEXT) | instid1(VALU_DEP_1)
	v_and_b32_e32 v161, s48, v62
	v_lshlrev_b32_e32 v193, 30, v161
	v_bitop3_b32 v63, v62, 1, s48 bitop3:0x80
	s_delay_alu instid0(VALU_DEP_1) | instskip(NEXT) | instid1(VALU_DEP_1)
	v_add_co_u32 v62, s17, v63, -1
	v_cndmask_b32_e64 v63, 0, 1, s17
	s_delay_alu instid0(VALU_DEP_4) | instskip(NEXT) | instid1(VALU_DEP_2)
	v_cmp_gt_i32_e64 s17, 0, v193
	v_cmp_ne_u32_e32 vcc_lo, 0, v63
	v_not_b32_e32 v63, v193
	v_bitop3_b32 v62, vcc_lo, exec_lo, v62 bitop3:0x48
	s_delay_alu instid0(VALU_DEP_2) | instskip(SKIP_2) | instid1(VALU_DEP_3)
	v_dual_ashrrev_i32 v63, 31, v63 :: v_dual_lshlrev_b32 v194, 29, v161
	v_dual_lshlrev_b32 v195, 28, v161 :: v_dual_lshlrev_b32 v196, 27, v161
	v_lshlrev_b32_e32 v197, 26, v161
	v_not_b32_e32 v193, v194
	v_cmp_gt_i32_e64 s18, 0, v194
	s_delay_alu instid0(VALU_DEP_4)
	v_cmp_gt_i32_e64 s19, 0, v195
	v_not_b32_e32 v194, v195
	v_lshlrev_b32_e32 v198, 25, v161
	v_not_b32_e32 v195, v196
	v_ashrrev_i32_e32 v193, 31, v193
	v_cmp_gt_i32_e64 s20, 0, v196
	v_cmp_gt_i32_e64 s21, 0, v197
	v_not_b32_e32 v196, v197
	v_ashrrev_i32_e32 v194, 31, v194
	v_not_b32_e32 v197, v198
	v_ashrrev_i32_e32 v195, 31, v195
	s_delay_alu instid0(VALU_DEP_4) | instskip(SKIP_4) | instid1(VALU_DEP_4)
	v_dual_ashrrev_i32 v196, 31, v196 :: v_dual_bitop2_b32 v63, s17, v63 bitop3:0x14
	v_xor_b32_e32 v193, s18, v193
	v_cmp_gt_i32_e64 s22, 0, v198
	v_dual_ashrrev_i32 v197, 31, v197 :: v_dual_bitop2_b32 v194, s19, v194 bitop3:0x14
	v_xor_b32_e32 v195, s20, v195
	v_bitop3_b32 v62, v62, v193, v63 bitop3:0x80
	v_mad_u32_u24 v63, v161, 36, v23
	v_xor_b32_e32 v193, s21, v196
	v_xor_b32_e32 v196, s22, v197
	s_delay_alu instid0(VALU_DEP_4) | instskip(SKIP_3) | instid1(VALU_DEP_2)
	v_bitop3_b32 v62, v62, v195, v194 bitop3:0x80
	ds_load_b32 v194, v63 offset:544
	v_mul_u32_u24_e32 v63, 36, v161
	; wave barrier
	v_bitop3_b32 v62, v62, v196, v193 bitop3:0x80
	v_add_nc_u32_e32 v161, v23, v63
	s_delay_alu instid0(VALU_DEP_2) | instskip(SKIP_1) | instid1(VALU_DEP_2)
	v_mbcnt_lo_u32_b32 v195, v62, 0
	v_cmp_ne_u32_e64 s17, 0, v62
	v_cmp_eq_u32_e32 vcc_lo, 0, v195
	s_and_b32 s18, s17, vcc_lo
	s_delay_alu instid0(SALU_CYCLE_1)
	s_and_saveexec_b32 s17, s18
	s_cbranch_execz .LBB1038_482
; %bb.481:                              ;   in Loop: Header=BB1038_418 Depth=2
	s_wait_dscnt 0x0
	v_bcnt_u32_b32 v62, v62, v194
	ds_store_b32 v161, v62 offset:544
.LBB1038_482:                           ;   in Loop: Header=BB1038_418 Depth=2
	s_or_b32 exec_lo, exec_lo, s17
	v_xor_b32_e32 v193, 0xffff8000, v156
	; wave barrier
	s_delay_alu instid0(VALU_DEP_1) | instskip(NEXT) | instid1(VALU_DEP_1)
	v_and_b32_e32 v62, 0xffff, v193
	v_lshrrev_b32_e32 v62, s43, v62
	s_delay_alu instid0(VALU_DEP_1) | instskip(NEXT) | instid1(VALU_DEP_1)
	v_and_b32_e32 v156, s48, v62
	v_lshlrev_b32_e32 v196, 30, v156
	v_bitop3_b32 v63, v62, 1, s48 bitop3:0x80
	s_delay_alu instid0(VALU_DEP_1) | instskip(NEXT) | instid1(VALU_DEP_1)
	v_add_co_u32 v62, s17, v63, -1
	v_cndmask_b32_e64 v63, 0, 1, s17
	s_delay_alu instid0(VALU_DEP_4) | instskip(NEXT) | instid1(VALU_DEP_2)
	v_cmp_gt_i32_e64 s17, 0, v196
	v_cmp_ne_u32_e32 vcc_lo, 0, v63
	v_not_b32_e32 v63, v196
	v_bitop3_b32 v62, vcc_lo, exec_lo, v62 bitop3:0x48
	s_delay_alu instid0(VALU_DEP_2) | instskip(SKIP_2) | instid1(VALU_DEP_3)
	v_dual_ashrrev_i32 v63, 31, v63 :: v_dual_lshlrev_b32 v197, 29, v156
	v_dual_lshlrev_b32 v198, 28, v156 :: v_dual_lshlrev_b32 v199, 27, v156
	v_lshlrev_b32_e32 v200, 26, v156
	v_not_b32_e32 v196, v197
	v_cmp_gt_i32_e64 s18, 0, v197
	s_delay_alu instid0(VALU_DEP_4)
	v_cmp_gt_i32_e64 s19, 0, v198
	v_not_b32_e32 v197, v198
	v_lshlrev_b32_e32 v201, 25, v156
	v_not_b32_e32 v198, v199
	v_ashrrev_i32_e32 v196, 31, v196
	v_cmp_gt_i32_e64 s20, 0, v199
	v_cmp_gt_i32_e64 s21, 0, v200
	v_not_b32_e32 v199, v200
	v_ashrrev_i32_e32 v197, 31, v197
	v_not_b32_e32 v200, v201
	v_dual_ashrrev_i32 v198, 31, v198 :: v_dual_bitop2_b32 v63, s17, v63 bitop3:0x14
	s_delay_alu instid0(VALU_DEP_4) | instskip(SKIP_1) | instid1(VALU_DEP_4)
	v_dual_ashrrev_i32 v199, 31, v199 :: v_dual_bitop2_b32 v196, s18, v196 bitop3:0x14
	v_cmp_gt_i32_e64 s22, 0, v201
	v_dual_ashrrev_i32 v200, 31, v200 :: v_dual_bitop2_b32 v197, s19, v197 bitop3:0x14
	s_delay_alu instid0(VALU_DEP_4) | instskip(NEXT) | instid1(VALU_DEP_4)
	v_xor_b32_e32 v198, s20, v198
	v_bitop3_b32 v62, v62, v196, v63 bitop3:0x80
	v_mad_u32_u24 v63, v156, 36, v23
	v_xor_b32_e32 v196, s21, v199
	v_xor_b32_e32 v199, s22, v200
	s_delay_alu instid0(VALU_DEP_4) | instskip(SKIP_3) | instid1(VALU_DEP_2)
	v_bitop3_b32 v62, v62, v198, v197 bitop3:0x80
	ds_load_b32 v197, v63 offset:544
	v_mul_u32_u24_e32 v63, 36, v156
	; wave barrier
	v_bitop3_b32 v62, v62, v199, v196 bitop3:0x80
	v_add_nc_u32_e32 v156, v23, v63
	s_delay_alu instid0(VALU_DEP_2) | instskip(SKIP_1) | instid1(VALU_DEP_2)
	v_mbcnt_lo_u32_b32 v198, v62, 0
	v_cmp_ne_u32_e64 s17, 0, v62
	v_cmp_eq_u32_e32 vcc_lo, 0, v198
	s_and_b32 s18, s17, vcc_lo
	s_delay_alu instid0(SALU_CYCLE_1)
	s_and_saveexec_b32 s17, s18
	s_cbranch_execz .LBB1038_484
; %bb.483:                              ;   in Loop: Header=BB1038_418 Depth=2
	s_wait_dscnt 0x0
	v_bcnt_u32_b32 v62, v62, v197
	ds_store_b32 v156, v62 offset:544
.LBB1038_484:                           ;   in Loop: Header=BB1038_418 Depth=2
	s_or_b32 exec_lo, exec_lo, s17
	v_xor_b32_e32 v196, 0xffff8000, v65
	; wave barrier
	s_delay_alu instid0(VALU_DEP_1) | instskip(NEXT) | instid1(VALU_DEP_1)
	v_and_b32_e32 v62, 0xffff, v196
	v_lshrrev_b32_e32 v62, s43, v62
	s_delay_alu instid0(VALU_DEP_1) | instskip(NEXT) | instid1(VALU_DEP_1)
	v_and_b32_e32 v65, s48, v62
	v_lshlrev_b32_e32 v199, 30, v65
	v_bitop3_b32 v63, v62, 1, s48 bitop3:0x80
	s_delay_alu instid0(VALU_DEP_1) | instskip(NEXT) | instid1(VALU_DEP_1)
	v_add_co_u32 v62, s17, v63, -1
	v_cndmask_b32_e64 v63, 0, 1, s17
	s_delay_alu instid0(VALU_DEP_4) | instskip(NEXT) | instid1(VALU_DEP_2)
	v_cmp_gt_i32_e64 s17, 0, v199
	v_cmp_ne_u32_e32 vcc_lo, 0, v63
	v_not_b32_e32 v63, v199
	v_bitop3_b32 v62, vcc_lo, exec_lo, v62 bitop3:0x48
	s_delay_alu instid0(VALU_DEP_2) | instskip(SKIP_2) | instid1(VALU_DEP_3)
	v_dual_ashrrev_i32 v63, 31, v63 :: v_dual_lshlrev_b32 v200, 29, v65
	v_dual_lshlrev_b32 v201, 28, v65 :: v_dual_lshlrev_b32 v202, 27, v65
	v_lshlrev_b32_e32 v203, 26, v65
	v_not_b32_e32 v199, v200
	v_lshlrev_b32_e32 v204, 25, v65
	v_cmp_gt_i32_e64 s18, 0, v200
	v_cmp_gt_i32_e64 s19, 0, v201
	v_not_b32_e32 v200, v201
	v_not_b32_e32 v201, v202
	v_ashrrev_i32_e32 v199, 31, v199
	v_cmp_gt_i32_e64 s20, 0, v202
	v_cmp_gt_i32_e64 s21, 0, v203
	v_not_b32_e32 v202, v203
	v_not_b32_e32 v203, v204
	v_dual_ashrrev_i32 v200, 31, v200 :: v_dual_ashrrev_i32 v201, 31, v201
	s_delay_alu instid0(VALU_DEP_3) | instskip(SKIP_2) | instid1(VALU_DEP_4)
	v_dual_ashrrev_i32 v202, 31, v202 :: v_dual_bitop2_b32 v63, s17, v63 bitop3:0x14
	v_xor_b32_e32 v199, s18, v199
	v_cmp_gt_i32_e64 s22, 0, v204
	v_dual_ashrrev_i32 v203, 31, v203 :: v_dual_bitop2_b32 v200, s19, v200 bitop3:0x14
	v_xor_b32_e32 v201, s20, v201
	s_delay_alu instid0(VALU_DEP_4) | instskip(SKIP_3) | instid1(VALU_DEP_4)
	v_bitop3_b32 v62, v62, v199, v63 bitop3:0x80
	v_mad_u32_u24 v63, v65, 36, v23
	v_xor_b32_e32 v199, s21, v202
	v_xor_b32_e32 v202, s22, v203
	v_bitop3_b32 v62, v62, v201, v200 bitop3:0x80
	ds_load_b32 v200, v63 offset:544
	v_mul_u32_u24_e32 v63, 36, v65
	; wave barrier
	v_bitop3_b32 v62, v62, v202, v199 bitop3:0x80
	s_delay_alu instid0(VALU_DEP_2) | instskip(NEXT) | instid1(VALU_DEP_2)
	v_add_nc_u32_e32 v202, v23, v63
	v_mbcnt_lo_u32_b32 v201, v62, 0
	v_cmp_ne_u32_e64 s17, 0, v62
	s_delay_alu instid0(VALU_DEP_2) | instskip(SKIP_1) | instid1(SALU_CYCLE_1)
	v_cmp_eq_u32_e32 vcc_lo, 0, v201
	s_and_b32 s18, s17, vcc_lo
	s_and_saveexec_b32 s17, s18
	s_cbranch_execz .LBB1038_486
; %bb.485:                              ;   in Loop: Header=BB1038_418 Depth=2
	s_wait_dscnt 0x0
	v_bcnt_u32_b32 v62, v62, v200
	ds_store_b32 v202, v62 offset:544
.LBB1038_486:                           ;   in Loop: Header=BB1038_418 Depth=2
	s_or_b32 exec_lo, exec_lo, s17
	v_xor_b32_e32 v199, 0xffff8000, v64
	; wave barrier
	s_delay_alu instid0(VALU_DEP_1) | instskip(NEXT) | instid1(VALU_DEP_1)
	v_and_b32_e32 v62, 0xffff, v199
	v_lshrrev_b32_e32 v62, s43, v62
	s_delay_alu instid0(VALU_DEP_1) | instskip(NEXT) | instid1(VALU_DEP_1)
	v_and_b32_e32 v64, s48, v62
	v_lshlrev_b32_e32 v65, 30, v64
	v_bitop3_b32 v63, v62, 1, s48 bitop3:0x80
	s_delay_alu instid0(VALU_DEP_1) | instskip(NEXT) | instid1(VALU_DEP_1)
	v_add_co_u32 v62, s17, v63, -1
	v_cndmask_b32_e64 v63, 0, 1, s17
	s_delay_alu instid0(VALU_DEP_4) | instskip(NEXT) | instid1(VALU_DEP_2)
	v_cmp_gt_i32_e64 s17, 0, v65
	v_cmp_ne_u32_e32 vcc_lo, 0, v63
	v_not_b32_e32 v63, v65
	v_bitop3_b32 v62, vcc_lo, exec_lo, v62 bitop3:0x48
	s_delay_alu instid0(VALU_DEP_2) | instskip(SKIP_2) | instid1(VALU_DEP_3)
	v_dual_ashrrev_i32 v63, 31, v63 :: v_dual_lshlrev_b32 v203, 29, v64
	v_dual_lshlrev_b32 v204, 28, v64 :: v_dual_lshlrev_b32 v205, 27, v64
	v_lshlrev_b32_e32 v206, 26, v64
	v_not_b32_e32 v65, v203
	v_lshlrev_b32_e32 v207, 25, v64
	v_cmp_gt_i32_e64 s18, 0, v203
	v_cmp_gt_i32_e64 s19, 0, v204
	v_not_b32_e32 v203, v204
	v_not_b32_e32 v204, v205
	v_ashrrev_i32_e32 v65, 31, v65
	v_cmp_gt_i32_e64 s20, 0, v205
	v_cmp_gt_i32_e64 s21, 0, v206
	v_not_b32_e32 v205, v206
	v_not_b32_e32 v206, v207
	v_dual_ashrrev_i32 v203, 31, v203 :: v_dual_ashrrev_i32 v204, 31, v204
	s_delay_alu instid0(VALU_DEP_3) | instskip(NEXT) | instid1(VALU_DEP_3)
	v_dual_ashrrev_i32 v205, 31, v205 :: v_dual_bitop2_b32 v63, s17, v63 bitop3:0x14
	v_dual_ashrrev_i32 v206, 31, v206 :: v_dual_bitop2_b32 v65, s18, v65 bitop3:0x14
	v_cmp_gt_i32_e64 s22, 0, v207
	s_delay_alu instid0(VALU_DEP_4) | instskip(SKIP_1) | instid1(VALU_DEP_4)
	v_xor_b32_e32 v203, s19, v203
	v_xor_b32_e32 v204, s20, v204
	v_bitop3_b32 v62, v62, v65, v63 bitop3:0x80
	v_mad_u32_u24 v63, v64, 36, v23
	v_xor_b32_e32 v65, s21, v205
	v_xor_b32_e32 v205, s22, v206
	s_delay_alu instid0(VALU_DEP_4) | instskip(SKIP_3) | instid1(VALU_DEP_2)
	v_bitop3_b32 v62, v62, v204, v203 bitop3:0x80
	ds_load_b32 v203, v63 offset:544
	v_mul_u32_u24_e32 v63, 36, v64
	; wave barrier
	v_bitop3_b32 v62, v62, v205, v65 bitop3:0x80
	v_add_nc_u32_e32 v205, v23, v63
	s_delay_alu instid0(VALU_DEP_2) | instskip(SKIP_1) | instid1(VALU_DEP_2)
	v_mbcnt_lo_u32_b32 v204, v62, 0
	v_cmp_ne_u32_e64 s17, 0, v62
	v_cmp_eq_u32_e32 vcc_lo, 0, v204
	s_and_b32 s18, s17, vcc_lo
	s_delay_alu instid0(SALU_CYCLE_1)
	s_and_saveexec_b32 s17, s18
	s_cbranch_execz .LBB1038_488
; %bb.487:                              ;   in Loop: Header=BB1038_418 Depth=2
	s_wait_dscnt 0x0
	v_bcnt_u32_b32 v62, v62, v203
	ds_store_b32 v205, v62 offset:544
.LBB1038_488:                           ;   in Loop: Header=BB1038_418 Depth=2
	s_or_b32 exec_lo, exec_lo, s17
	v_and_b32_e32 v62, 0xffff, v142
	; wave barrier
	s_delay_alu instid0(VALU_DEP_1) | instskip(NEXT) | instid1(VALU_DEP_1)
	v_lshrrev_b32_e32 v62, s43, v62
	v_and_b32_e32 v64, s48, v62
	s_delay_alu instid0(VALU_DEP_1) | instskip(SKIP_1) | instid1(VALU_DEP_1)
	v_lshlrev_b32_e32 v65, 30, v64
	v_bitop3_b32 v63, v62, 1, s48 bitop3:0x80
	v_add_co_u32 v62, s17, v63, -1
	s_delay_alu instid0(VALU_DEP_1) | instskip(NEXT) | instid1(VALU_DEP_4)
	v_cndmask_b32_e64 v63, 0, 1, s17
	v_cmp_gt_i32_e64 s17, 0, v65
	s_delay_alu instid0(VALU_DEP_2) | instskip(SKIP_2) | instid1(VALU_DEP_2)
	v_cmp_ne_u32_e32 vcc_lo, 0, v63
	v_not_b32_e32 v63, v65
	v_bitop3_b32 v62, vcc_lo, exec_lo, v62 bitop3:0x48
	v_dual_ashrrev_i32 v63, 31, v63 :: v_dual_lshlrev_b32 v206, 29, v64
	v_dual_lshlrev_b32 v207, 28, v64 :: v_dual_lshlrev_b32 v208, 27, v64
	v_lshlrev_b32_e32 v209, 26, v64
	s_delay_alu instid0(VALU_DEP_3)
	v_not_b32_e32 v65, v206
	v_lshlrev_b32_e32 v210, 25, v64
	v_cmp_gt_i32_e64 s18, 0, v206
	v_cmp_gt_i32_e64 s19, 0, v207
	v_not_b32_e32 v206, v207
	v_not_b32_e32 v207, v208
	v_ashrrev_i32_e32 v65, 31, v65
	v_cmp_gt_i32_e64 s20, 0, v208
	v_cmp_gt_i32_e64 s21, 0, v209
	v_not_b32_e32 v208, v209
	v_dual_ashrrev_i32 v206, 31, v206 :: v_dual_ashrrev_i32 v207, 31, v207
	v_xor_b32_e32 v63, s17, v63
	v_xor_b32_e32 v65, s18, v65
	v_not_b32_e32 v209, v210
	s_delay_alu instid0(VALU_DEP_4) | instskip(SKIP_1) | instid1(VALU_DEP_4)
	v_dual_ashrrev_i32 v208, 31, v208 :: v_dual_bitop2_b32 v206, s19, v206 bitop3:0x14
	v_xor_b32_e32 v207, s20, v207
	v_bitop3_b32 v62, v62, v65, v63 bitop3:0x80
	v_cmp_gt_i32_e32 vcc_lo, 0, v210
	v_ashrrev_i32_e32 v63, 31, v209
	v_mad_u32_u24 v65, v64, 36, v23
	v_xor_b32_e32 v208, s21, v208
	v_bitop3_b32 v62, v62, v207, v206 bitop3:0x80
	s_delay_alu instid0(VALU_DEP_4) | instskip(SKIP_3) | instid1(VALU_DEP_2)
	v_xor_b32_e32 v63, vcc_lo, v63
	ds_load_b32 v206, v65 offset:544
	; wave barrier
	v_bitop3_b32 v62, v62, v63, v208 bitop3:0x80
	v_mul_u32_u24_e32 v63, 36, v64
	v_mbcnt_lo_u32_b32 v207, v62, 0
	v_cmp_ne_u32_e64 s17, 0, v62
	s_delay_alu instid0(VALU_DEP_3) | instskip(NEXT) | instid1(VALU_DEP_3)
	v_add_nc_u32_e32 v208, v23, v63
	v_cmp_eq_u32_e32 vcc_lo, 0, v207
	s_and_b32 s18, s17, vcc_lo
	s_delay_alu instid0(SALU_CYCLE_1)
	s_and_saveexec_b32 s17, s18
	s_cbranch_execz .LBB1038_490
; %bb.489:                              ;   in Loop: Header=BB1038_418 Depth=2
	s_wait_dscnt 0x0
	v_bcnt_u32_b32 v62, v62, v206
	ds_store_b32 v208, v62 offset:544
.LBB1038_490:                           ;   in Loop: Header=BB1038_418 Depth=2
	s_or_b32 exec_lo, exec_lo, s17
	; wave barrier
	s_wait_dscnt 0x0
	s_barrier_signal -1
	s_barrier_wait -1
	ds_load_2addr_b32 v[64:65], v89 offset0:136 offset1:137
	ds_load_2addr_b32 v[62:63], v89 offset0:138 offset1:139
	ds_load_b32 v209, v89 offset:560
	s_wait_dscnt 0x1
	v_add3_u32 v210, v65, v64, v62
	s_wait_dscnt 0x0
	s_delay_alu instid0(VALU_DEP_1) | instskip(NEXT) | instid1(VALU_DEP_1)
	v_add3_u32 v209, v210, v63, v209
	v_mov_b32_dpp v210, v209 row_shr:1 row_mask:0xf bank_mask:0xf
	s_delay_alu instid0(VALU_DEP_1) | instskip(NEXT) | instid1(VALU_DEP_1)
	v_cndmask_b32_e64 v210, v210, 0, s9
	v_add_nc_u32_e32 v209, v210, v209
	s_delay_alu instid0(VALU_DEP_1) | instskip(NEXT) | instid1(VALU_DEP_1)
	v_mov_b32_dpp v210, v209 row_shr:2 row_mask:0xf bank_mask:0xf
	v_cndmask_b32_e64 v210, 0, v210, s10
	s_delay_alu instid0(VALU_DEP_1) | instskip(NEXT) | instid1(VALU_DEP_1)
	v_add_nc_u32_e32 v209, v209, v210
	v_mov_b32_dpp v210, v209 row_shr:4 row_mask:0xf bank_mask:0xf
	s_delay_alu instid0(VALU_DEP_1) | instskip(NEXT) | instid1(VALU_DEP_1)
	v_cndmask_b32_e64 v210, 0, v210, s11
	v_add_nc_u32_e32 v209, v209, v210
	s_delay_alu instid0(VALU_DEP_1) | instskip(NEXT) | instid1(VALU_DEP_1)
	v_mov_b32_dpp v210, v209 row_shr:8 row_mask:0xf bank_mask:0xf
	v_cndmask_b32_e64 v210, 0, v210, s12
	s_delay_alu instid0(VALU_DEP_1) | instskip(SKIP_3) | instid1(VALU_DEP_1)
	v_add_nc_u32_e32 v209, v209, v210
	ds_swizzle_b32 v210, v209 offset:swizzle(BROADCAST,32,15)
	s_wait_dscnt 0x0
	v_cndmask_b32_e64 v210, v210, 0, s13
	v_add_nc_u32_e32 v209, v209, v210
	s_and_saveexec_b32 s17, s2
; %bb.491:                              ;   in Loop: Header=BB1038_418 Depth=2
	ds_store_b32 v82, v209 offset:512
; %bb.492:                              ;   in Loop: Header=BB1038_418 Depth=2
	s_or_b32 exec_lo, exec_lo, s17
	s_wait_dscnt 0x0
	s_barrier_signal -1
	s_barrier_wait -1
	s_and_saveexec_b32 s17, s3
	s_cbranch_execz .LBB1038_494
; %bb.493:                              ;   in Loop: Header=BB1038_418 Depth=2
	ds_load_b32 v210, v91 offset:512
	s_wait_dscnt 0x0
	v_mov_b32_dpp v211, v210 row_shr:1 row_mask:0xf bank_mask:0xf
	s_delay_alu instid0(VALU_DEP_1) | instskip(NEXT) | instid1(VALU_DEP_1)
	v_cndmask_b32_e64 v211, v211, 0, s14
	v_add_nc_u32_e32 v210, v211, v210
	s_delay_alu instid0(VALU_DEP_1) | instskip(NEXT) | instid1(VALU_DEP_1)
	v_mov_b32_dpp v211, v210 row_shr:2 row_mask:0xf bank_mask:0xf
	v_cndmask_b32_e64 v211, 0, v211, s15
	s_delay_alu instid0(VALU_DEP_1) | instskip(NEXT) | instid1(VALU_DEP_1)
	v_add_nc_u32_e32 v210, v210, v211
	v_mov_b32_dpp v211, v210 row_shr:4 row_mask:0xf bank_mask:0xf
	s_delay_alu instid0(VALU_DEP_1) | instskip(NEXT) | instid1(VALU_DEP_1)
	v_cndmask_b32_e64 v211, 0, v211, s16
	v_add_nc_u32_e32 v210, v210, v211
	ds_store_b32 v91, v210 offset:512
.LBB1038_494:                           ;   in Loop: Header=BB1038_418 Depth=2
	s_or_b32 exec_lo, exec_lo, s17
	v_mov_b32_e32 v210, 0
	s_wait_dscnt 0x0
	s_barrier_signal -1
	s_barrier_wait -1
	s_and_saveexec_b32 s17, s5
; %bb.495:                              ;   in Loop: Header=BB1038_418 Depth=2
	ds_load_b32 v210, v82 offset:508
; %bb.496:                              ;   in Loop: Header=BB1038_418 Depth=2
	s_or_b32 exec_lo, exec_lo, s17
	s_wait_dscnt 0x0
	v_add_nc_u32_e32 v209, v210, v209
	ds_bpermute_b32 v209, v121, v209
	s_wait_dscnt 0x0
	v_cndmask_b32_e64 v209, v209, v210, s8
	s_delay_alu instid0(VALU_DEP_1) | instskip(NEXT) | instid1(VALU_DEP_1)
	v_cndmask_b32_e64 v209, v209, 0, s6
	v_add_nc_u32_e32 v64, v209, v64
	s_delay_alu instid0(VALU_DEP_1) | instskip(NEXT) | instid1(VALU_DEP_1)
	v_add_nc_u32_e32 v65, v64, v65
	v_add_nc_u32_e32 v62, v65, v62
	s_delay_alu instid0(VALU_DEP_1)
	v_add_nc_u32_e32 v63, v62, v63
	ds_store_2addr_b32 v89, v209, v64 offset0:136 offset1:137
	ds_store_2addr_b32 v89, v65, v62 offset0:138 offset1:139
	ds_store_b32 v89, v63 offset:560
	s_wait_dscnt 0x0
	s_barrier_signal -1
	s_barrier_wait -1
	ds_load_b32 v64, v146 offset:544
	ds_load_b32 v65, v150 offset:544
	;; [unrolled: 1-line block ×17, first 2 shown]
	s_and_saveexec_b32 s17, s0
	s_cbranch_execz .LBB1038_500
; %bb.497:                              ;   in Loop: Header=BB1038_418 Depth=2
	ds_load_b32 v137, v92 offset:544
	v_mov_b32_e32 v140, 0x1100
	s_and_saveexec_b32 s18, s7
; %bb.498:                              ;   in Loop: Header=BB1038_418 Depth=2
	ds_load_b32 v140, v93 offset:544
; %bb.499:                              ;   in Loop: Header=BB1038_418 Depth=2
	s_or_b32 exec_lo, exec_lo, s18
	s_wait_dscnt 0x0
	v_sub_nc_u32_e32 v140, v140, v137
.LBB1038_500:                           ;   in Loop: Header=BB1038_418 Depth=2
	s_or_b32 exec_lo, exec_lo, s17
	s_wait_dscnt 0x0
	s_barrier_signal -1
	s_barrier_wait -1
	s_and_saveexec_b32 s17, s0
	s_cbranch_execz .LBB1038_502
; %bb.501:                              ;   in Loop: Header=BB1038_418 Depth=2
	ds_load_b32 v156, v3
	s_wait_dscnt 0x0
	v_sub_nc_u32_e32 v156, v156, v137
	ds_store_b32 v3, v156
.LBB1038_502:                           ;   in Loop: Header=BB1038_418 Depth=2
	s_or_b32 exec_lo, exec_lo, s17
	v_add3_u32 v161, v153, v152, v146
	v_add_nc_u32_e32 v165, v64, v144
	v_add3_u32 v164, v149, v148, v65
	v_add3_u32 v159, v158, v157, v150
	;; [unrolled: 1-line block ×4, first 2 shown]
	v_lshlrev_b32_e32 v62, 1, v161
	v_dual_lshlrev_b32 v162, 1, v165 :: v_dual_lshlrev_b32 v163, 1, v164
	v_add3_u32 v157, v168, v167, v209
	v_add3_u32 v156, v173, v172, v175
	;; [unrolled: 1-line block ×5, first 2 shown]
	v_lshlrev_b32_e32 v63, 1, v159
	v_add3_u32 v152, v184, v183, v185
	ds_store_b16 v162, v143 offset:512
	ds_store_b16 v163, v145 offset:512
	v_lshlrev_b32_e32 v143, 1, v158
	v_add3_u32 v150, v188, v187, v190
	v_dual_lshlrev_b32 v145, 1, v157 :: v_dual_lshlrev_b32 v162, 1, v156
	v_add3_u32 v149, v192, v191, v210
	v_add3_u32 v65, v195, v194, v211
	ds_store_b16 v62, v147 offset:512
	ds_store_b16 v63, v151 offset:512
	;; [unrolled: 1-line block ×5, first 2 shown]
	v_dual_lshlrev_b32 v62, 1, v154 :: v_dual_lshlrev_b32 v63, 1, v153
	v_add3_u32 v64, v198, v197, v212
	v_dual_lshlrev_b32 v143, 1, v152 :: v_dual_lshlrev_b32 v145, 1, v150
	v_add3_u32 v144, v207, v206, v170
	v_lshlrev_b32_e32 v147, 1, v149
	ds_store_b16 v62, v171 offset:512
	ds_store_b16 v63, v176 offset:512
	ds_store_b16 v143, v174 offset:512
	ds_store_b16 v145, v169 offset:512
	ds_store_b16 v147, v186 offset:512
	v_dual_lshlrev_b32 v62, 1, v65 :: v_dual_lshlrev_b32 v143, 1, v148
	v_cmp_lt_u32_e32 vcc_lo, v2, v141
	v_dual_lshlrev_b32 v63, 1, v64 :: v_dual_lshlrev_b32 v145, 1, v146
	v_lshlrev_b32_e32 v147, 1, v144
	ds_store_b16 v62, v189 offset:512
	ds_store_b16 v63, v193 offset:512
	;; [unrolled: 1-line block ×5, first 2 shown]
	s_wait_dscnt 0x0
	s_barrier_signal -1
	s_barrier_wait -1
	s_and_saveexec_b32 s17, vcc_lo
	s_cbranch_execnz .LBB1038_575
; %bb.503:                              ;   in Loop: Header=BB1038_418 Depth=2
	s_or_b32 exec_lo, exec_lo, s17
	v_cmp_lt_u32_e64 s17, v66, v141
	s_and_saveexec_b32 s18, s17
	s_cbranch_execnz .LBB1038_576
.LBB1038_504:                           ;   in Loop: Header=BB1038_418 Depth=2
	s_or_b32 exec_lo, exec_lo, s18
	v_cmp_lt_u32_e64 s18, v67, v141
	s_and_saveexec_b32 s19, s18
	s_cbranch_execnz .LBB1038_577
.LBB1038_505:                           ;   in Loop: Header=BB1038_418 Depth=2
	s_or_b32 exec_lo, exec_lo, s19
	v_cmp_lt_u32_e64 s19, v68, v141
	s_and_saveexec_b32 s20, s19
	s_cbranch_execnz .LBB1038_578
.LBB1038_506:                           ;   in Loop: Header=BB1038_418 Depth=2
	s_or_b32 exec_lo, exec_lo, s20
	v_cmp_lt_u32_e64 s20, v69, v141
	s_and_saveexec_b32 s21, s20
	s_cbranch_execnz .LBB1038_579
.LBB1038_507:                           ;   in Loop: Header=BB1038_418 Depth=2
	s_or_b32 exec_lo, exec_lo, s21
	v_cmp_lt_u32_e64 s21, v70, v141
	s_and_saveexec_b32 s22, s21
	s_cbranch_execnz .LBB1038_580
.LBB1038_508:                           ;   in Loop: Header=BB1038_418 Depth=2
	s_or_b32 exec_lo, exec_lo, s22
	v_cmp_lt_u32_e64 s22, v71, v141
	s_and_saveexec_b32 s23, s22
	s_cbranch_execnz .LBB1038_581
.LBB1038_509:                           ;   in Loop: Header=BB1038_418 Depth=2
	s_or_b32 exec_lo, exec_lo, s23
	v_cmp_lt_u32_e64 s23, v72, v141
	s_and_saveexec_b32 s24, s23
	s_cbranch_execnz .LBB1038_582
.LBB1038_510:                           ;   in Loop: Header=BB1038_418 Depth=2
	s_or_b32 exec_lo, exec_lo, s24
	v_cmp_lt_u32_e64 s24, v73, v141
	s_and_saveexec_b32 s25, s24
	s_cbranch_execnz .LBB1038_583
.LBB1038_511:                           ;   in Loop: Header=BB1038_418 Depth=2
	s_or_b32 exec_lo, exec_lo, s25
	v_cmp_lt_u32_e64 s25, v74, v141
	s_and_saveexec_b32 s26, s25
	s_cbranch_execnz .LBB1038_584
.LBB1038_512:                           ;   in Loop: Header=BB1038_418 Depth=2
	s_or_b32 exec_lo, exec_lo, s26
	v_cmp_lt_u32_e64 s26, v75, v141
	s_and_saveexec_b32 s27, s26
	s_cbranch_execnz .LBB1038_585
.LBB1038_513:                           ;   in Loop: Header=BB1038_418 Depth=2
	s_or_b32 exec_lo, exec_lo, s27
	v_cmp_lt_u32_e64 s27, v76, v141
	s_and_saveexec_b32 s28, s27
	s_cbranch_execnz .LBB1038_586
.LBB1038_514:                           ;   in Loop: Header=BB1038_418 Depth=2
	s_or_b32 exec_lo, exec_lo, s28
	v_cmp_lt_u32_e64 s28, v77, v141
	s_and_saveexec_b32 s29, s28
	s_cbranch_execnz .LBB1038_587
.LBB1038_515:                           ;   in Loop: Header=BB1038_418 Depth=2
	s_or_b32 exec_lo, exec_lo, s29
	v_cmp_lt_u32_e64 s29, v78, v141
	s_and_saveexec_b32 s30, s29
	s_cbranch_execnz .LBB1038_588
.LBB1038_516:                           ;   in Loop: Header=BB1038_418 Depth=2
	s_or_b32 exec_lo, exec_lo, s30
	v_cmp_lt_u32_e64 s30, v79, v141
	s_and_saveexec_b32 s31, s30
	s_cbranch_execnz .LBB1038_589
.LBB1038_517:                           ;   in Loop: Header=BB1038_418 Depth=2
	s_or_b32 exec_lo, exec_lo, s31
	v_cmp_lt_u32_e64 s31, v80, v141
	s_and_saveexec_b32 s33, s31
	s_cbranch_execnz .LBB1038_590
.LBB1038_518:                           ;   in Loop: Header=BB1038_418 Depth=2
	s_or_b32 exec_lo, exec_lo, s33
	v_cmp_lt_u32_e64 s33, v81, v141
	s_and_saveexec_b32 s60, s33
	s_cbranch_execz .LBB1038_520
.LBB1038_519:                           ;   in Loop: Header=BB1038_418 Depth=2
	ds_load_u16 v62, v94 offset:8704
	s_wait_dscnt 0x0
	v_and_b32_e32 v63, 0xffff, v62
	v_xor_b32_e32 v62, 0xffff8000, v62
	s_delay_alu instid0(VALU_DEP_2) | instskip(NEXT) | instid1(VALU_DEP_1)
	v_lshrrev_b32_e32 v63, s43, v63
	v_and_b32_e32 v63, s48, v63
	s_delay_alu instid0(VALU_DEP_1)
	v_lshlrev_b32_e32 v63, 2, v63
	ds_load_b32 v63, v63
	s_wait_dscnt 0x0
	v_add_nc_u32_e32 v63, v63, v81
	global_store_b16 v63, v62, s[40:41] scale_offset
.LBB1038_520:                           ;   in Loop: Header=BB1038_418 Depth=2
	s_wait_xcnt 0x0
	s_or_b32 exec_lo, exec_lo, s60
	v_lshl_add_u64 v[62:63], s[34:35], 3, v[24:25]
	v_cmp_lt_u32_e64 s34, v102, v141
	s_and_saveexec_b32 s60, s34
	s_delay_alu instid0(SALU_CYCLE_1)
	s_xor_b32 s34, exec_lo, s60
	s_cbranch_execnz .LBB1038_591
; %bb.521:                              ;   in Loop: Header=BB1038_418 Depth=2
	s_or_b32 exec_lo, exec_lo, s34
	s_delay_alu instid0(SALU_CYCLE_1)
	s_mov_b32 s60, exec_lo
	v_cmpx_lt_u32_e64 v105, v141
	s_cbranch_execnz .LBB1038_592
.LBB1038_522:                           ;   in Loop: Header=BB1038_418 Depth=2
	s_or_b32 exec_lo, exec_lo, s60
	s_delay_alu instid0(SALU_CYCLE_1)
	s_mov_b32 s60, exec_lo
	v_cmpx_lt_u32_e64 v106, v141
	s_cbranch_execnz .LBB1038_593
.LBB1038_523:                           ;   in Loop: Header=BB1038_418 Depth=2
	s_or_b32 exec_lo, exec_lo, s60
	s_delay_alu instid0(SALU_CYCLE_1)
	s_mov_b32 s60, exec_lo
	v_cmpx_lt_u32_e64 v107, v141
	s_cbranch_execnz .LBB1038_594
.LBB1038_524:                           ;   in Loop: Header=BB1038_418 Depth=2
	s_or_b32 exec_lo, exec_lo, s60
	s_delay_alu instid0(SALU_CYCLE_1)
	s_mov_b32 s60, exec_lo
	v_cmpx_lt_u32_e64 v108, v141
	s_cbranch_execnz .LBB1038_595
.LBB1038_525:                           ;   in Loop: Header=BB1038_418 Depth=2
	s_or_b32 exec_lo, exec_lo, s60
	s_delay_alu instid0(SALU_CYCLE_1)
	s_mov_b32 s60, exec_lo
	v_cmpx_lt_u32_e64 v109, v141
	s_cbranch_execnz .LBB1038_596
.LBB1038_526:                           ;   in Loop: Header=BB1038_418 Depth=2
	s_or_b32 exec_lo, exec_lo, s60
	s_delay_alu instid0(SALU_CYCLE_1)
	s_mov_b32 s60, exec_lo
	v_cmpx_lt_u32_e64 v110, v141
	s_cbranch_execnz .LBB1038_597
.LBB1038_527:                           ;   in Loop: Header=BB1038_418 Depth=2
	s_or_b32 exec_lo, exec_lo, s60
	s_delay_alu instid0(SALU_CYCLE_1)
	s_mov_b32 s60, exec_lo
	v_cmpx_lt_u32_e64 v111, v141
	s_cbranch_execnz .LBB1038_598
.LBB1038_528:                           ;   in Loop: Header=BB1038_418 Depth=2
	s_or_b32 exec_lo, exec_lo, s60
	s_delay_alu instid0(SALU_CYCLE_1)
	s_mov_b32 s60, exec_lo
	v_cmpx_lt_u32_e64 v112, v141
	s_cbranch_execnz .LBB1038_599
.LBB1038_529:                           ;   in Loop: Header=BB1038_418 Depth=2
	s_or_b32 exec_lo, exec_lo, s60
	s_delay_alu instid0(SALU_CYCLE_1)
	s_mov_b32 s60, exec_lo
	v_cmpx_lt_u32_e64 v113, v141
	s_cbranch_execnz .LBB1038_600
.LBB1038_530:                           ;   in Loop: Header=BB1038_418 Depth=2
	s_or_b32 exec_lo, exec_lo, s60
	s_delay_alu instid0(SALU_CYCLE_1)
	s_mov_b32 s60, exec_lo
	v_cmpx_lt_u32_e64 v114, v141
	s_cbranch_execnz .LBB1038_601
.LBB1038_531:                           ;   in Loop: Header=BB1038_418 Depth=2
	s_or_b32 exec_lo, exec_lo, s60
	s_delay_alu instid0(SALU_CYCLE_1)
	s_mov_b32 s60, exec_lo
	v_cmpx_lt_u32_e64 v115, v141
	s_cbranch_execnz .LBB1038_602
.LBB1038_532:                           ;   in Loop: Header=BB1038_418 Depth=2
	s_or_b32 exec_lo, exec_lo, s60
	s_delay_alu instid0(SALU_CYCLE_1)
	s_mov_b32 s60, exec_lo
	v_cmpx_lt_u32_e64 v116, v141
	s_cbranch_execnz .LBB1038_603
.LBB1038_533:                           ;   in Loop: Header=BB1038_418 Depth=2
	s_or_b32 exec_lo, exec_lo, s60
	s_delay_alu instid0(SALU_CYCLE_1)
	s_mov_b32 s60, exec_lo
	v_cmpx_lt_u32_e64 v117, v141
	s_cbranch_execnz .LBB1038_604
.LBB1038_534:                           ;   in Loop: Header=BB1038_418 Depth=2
	s_or_b32 exec_lo, exec_lo, s60
	s_delay_alu instid0(SALU_CYCLE_1)
	s_mov_b32 s60, exec_lo
	v_cmpx_lt_u32_e64 v118, v141
	s_cbranch_execnz .LBB1038_605
.LBB1038_535:                           ;   in Loop: Header=BB1038_418 Depth=2
	s_or_b32 exec_lo, exec_lo, s60
	s_delay_alu instid0(SALU_CYCLE_1)
	s_mov_b32 s60, exec_lo
	v_cmpx_lt_u32_e64 v119, v141
	s_cbranch_execnz .LBB1038_606
.LBB1038_536:                           ;   in Loop: Header=BB1038_418 Depth=2
	s_or_b32 exec_lo, exec_lo, s60
	s_delay_alu instid0(SALU_CYCLE_1)
	s_mov_b32 s60, exec_lo
	v_cmpx_lt_u32_e64 v120, v141
	s_cbranch_execnz .LBB1038_607
.LBB1038_537:                           ;   in Loop: Header=BB1038_418 Depth=2
	s_or_b32 exec_lo, exec_lo, s60
	s_and_saveexec_b32 s34, vcc_lo
	s_cbranch_execnz .LBB1038_608
.LBB1038_538:                           ;   in Loop: Header=BB1038_418 Depth=2
	s_or_b32 exec_lo, exec_lo, s34
	s_and_saveexec_b32 s34, s17
	s_cbranch_execnz .LBB1038_609
.LBB1038_539:                           ;   in Loop: Header=BB1038_418 Depth=2
	s_or_b32 exec_lo, exec_lo, s34
	s_and_saveexec_b32 s34, s18
	s_cbranch_execnz .LBB1038_610
.LBB1038_540:                           ;   in Loop: Header=BB1038_418 Depth=2
	s_or_b32 exec_lo, exec_lo, s34
	s_and_saveexec_b32 s34, s19
	s_cbranch_execnz .LBB1038_611
.LBB1038_541:                           ;   in Loop: Header=BB1038_418 Depth=2
	s_or_b32 exec_lo, exec_lo, s34
	s_and_saveexec_b32 s34, s20
	s_cbranch_execnz .LBB1038_612
.LBB1038_542:                           ;   in Loop: Header=BB1038_418 Depth=2
	s_or_b32 exec_lo, exec_lo, s34
	s_and_saveexec_b32 s34, s21
	s_cbranch_execnz .LBB1038_613
.LBB1038_543:                           ;   in Loop: Header=BB1038_418 Depth=2
	s_or_b32 exec_lo, exec_lo, s34
	s_and_saveexec_b32 s34, s22
	s_cbranch_execnz .LBB1038_614
.LBB1038_544:                           ;   in Loop: Header=BB1038_418 Depth=2
	s_or_b32 exec_lo, exec_lo, s34
	s_and_saveexec_b32 s34, s23
	s_cbranch_execnz .LBB1038_615
.LBB1038_545:                           ;   in Loop: Header=BB1038_418 Depth=2
	s_or_b32 exec_lo, exec_lo, s34
	s_and_saveexec_b32 s34, s24
	s_cbranch_execnz .LBB1038_616
.LBB1038_546:                           ;   in Loop: Header=BB1038_418 Depth=2
	s_or_b32 exec_lo, exec_lo, s34
	s_and_saveexec_b32 s34, s25
	s_cbranch_execnz .LBB1038_617
.LBB1038_547:                           ;   in Loop: Header=BB1038_418 Depth=2
	s_or_b32 exec_lo, exec_lo, s34
	s_and_saveexec_b32 s34, s26
	s_cbranch_execnz .LBB1038_618
.LBB1038_548:                           ;   in Loop: Header=BB1038_418 Depth=2
	s_or_b32 exec_lo, exec_lo, s34
	s_and_saveexec_b32 s34, s27
	s_cbranch_execnz .LBB1038_619
.LBB1038_549:                           ;   in Loop: Header=BB1038_418 Depth=2
	s_or_b32 exec_lo, exec_lo, s34
	s_and_saveexec_b32 s34, s28
	s_cbranch_execnz .LBB1038_620
.LBB1038_550:                           ;   in Loop: Header=BB1038_418 Depth=2
	s_or_b32 exec_lo, exec_lo, s34
	s_and_saveexec_b32 s34, s29
	s_cbranch_execnz .LBB1038_621
.LBB1038_551:                           ;   in Loop: Header=BB1038_418 Depth=2
	s_or_b32 exec_lo, exec_lo, s34
	s_and_saveexec_b32 s34, s30
	s_cbranch_execnz .LBB1038_622
.LBB1038_552:                           ;   in Loop: Header=BB1038_418 Depth=2
	s_or_b32 exec_lo, exec_lo, s34
	s_and_saveexec_b32 s34, s31
	s_cbranch_execnz .LBB1038_623
.LBB1038_553:                           ;   in Loop: Header=BB1038_418 Depth=2
	s_or_b32 exec_lo, exec_lo, s34
	s_and_saveexec_b32 s34, s33
	s_cbranch_execz .LBB1038_555
.LBB1038_554:                           ;   in Loop: Header=BB1038_418 Depth=2
	ds_load_u16 v62, v94 offset:8704
	s_wait_dscnt 0x0
	v_lshrrev_b32_e32 v62, s43, v62
	s_delay_alu instid0(VALU_DEP_1)
	v_and_b32_e32 v122, s48, v62
.LBB1038_555:                           ;   in Loop: Header=BB1038_418 Depth=2
	s_or_b32 exec_lo, exec_lo, s34
	v_dual_lshlrev_b32 v62, 3, v165 :: v_dual_lshlrev_b32 v63, 3, v164
	s_wait_loadcnt 0x0
	s_wait_storecnt 0x0
	s_barrier_signal -1
	s_barrier_wait -1
	ds_store_b64 v62, v[60:61] offset:512
	ds_store_b64 v63, v[58:59] offset:512
	v_dual_lshlrev_b32 v62, 3, v161 :: v_dual_lshlrev_b32 v63, 3, v159
	v_dual_lshlrev_b32 v141, 3, v158 :: v_dual_lshlrev_b32 v142, 3, v157
	v_lshlrev_b32_e32 v143, 3, v156
	ds_store_b64 v62, v[56:57] offset:512
	ds_store_b64 v63, v[54:55] offset:512
	ds_store_b64 v141, v[52:53] offset:512
	ds_store_b64 v142, v[50:51] offset:512
	ds_store_b64 v143, v[48:49] offset:512
	v_dual_lshlrev_b32 v62, 3, v154 :: v_dual_lshlrev_b32 v63, 3, v153
	v_dual_lshlrev_b32 v141, 3, v152 :: v_dual_lshlrev_b32 v142, 3, v150
	v_lshlrev_b32_e32 v143, 3, v149
	ds_store_b64 v62, v[46:47] offset:512
	ds_store_b64 v63, v[44:45] offset:512
	ds_store_b64 v141, v[42:43] offset:512
	;; [unrolled: 8-line block ×3, first 2 shown]
	ds_store_b64 v65, v[30:31] offset:512
	ds_store_b64 v141, v[28:29] offset:512
	s_wait_dscnt 0x0
	s_barrier_signal -1
	s_barrier_wait -1
	s_and_saveexec_b32 s34, vcc_lo
	s_cbranch_execnz .LBB1038_624
; %bb.556:                              ;   in Loop: Header=BB1038_418 Depth=2
	s_or_b32 exec_lo, exec_lo, s34
	s_and_saveexec_b32 s34, s17
	s_cbranch_execnz .LBB1038_625
.LBB1038_557:                           ;   in Loop: Header=BB1038_418 Depth=2
	s_or_b32 exec_lo, exec_lo, s34
	s_and_saveexec_b32 s17, s18
	s_cbranch_execnz .LBB1038_626
.LBB1038_558:                           ;   in Loop: Header=BB1038_418 Depth=2
	s_or_b32 exec_lo, exec_lo, s17
	s_and_saveexec_b32 s17, s19
	s_cbranch_execnz .LBB1038_627
.LBB1038_559:                           ;   in Loop: Header=BB1038_418 Depth=2
	s_or_b32 exec_lo, exec_lo, s17
	s_and_saveexec_b32 s17, s20
	s_cbranch_execnz .LBB1038_628
.LBB1038_560:                           ;   in Loop: Header=BB1038_418 Depth=2
	s_or_b32 exec_lo, exec_lo, s17
	s_and_saveexec_b32 s17, s21
	s_cbranch_execnz .LBB1038_629
.LBB1038_561:                           ;   in Loop: Header=BB1038_418 Depth=2
	s_or_b32 exec_lo, exec_lo, s17
	s_and_saveexec_b32 s17, s22
	s_cbranch_execnz .LBB1038_630
.LBB1038_562:                           ;   in Loop: Header=BB1038_418 Depth=2
	s_or_b32 exec_lo, exec_lo, s17
	s_and_saveexec_b32 s17, s23
	s_cbranch_execnz .LBB1038_631
.LBB1038_563:                           ;   in Loop: Header=BB1038_418 Depth=2
	s_or_b32 exec_lo, exec_lo, s17
	s_and_saveexec_b32 s17, s24
	s_cbranch_execnz .LBB1038_632
.LBB1038_564:                           ;   in Loop: Header=BB1038_418 Depth=2
	s_or_b32 exec_lo, exec_lo, s17
	s_and_saveexec_b32 s17, s25
	s_cbranch_execnz .LBB1038_633
.LBB1038_565:                           ;   in Loop: Header=BB1038_418 Depth=2
	s_or_b32 exec_lo, exec_lo, s17
	s_and_saveexec_b32 s17, s26
	s_cbranch_execnz .LBB1038_634
.LBB1038_566:                           ;   in Loop: Header=BB1038_418 Depth=2
	s_or_b32 exec_lo, exec_lo, s17
	s_and_saveexec_b32 s17, s27
	s_cbranch_execnz .LBB1038_635
.LBB1038_567:                           ;   in Loop: Header=BB1038_418 Depth=2
	s_or_b32 exec_lo, exec_lo, s17
	s_and_saveexec_b32 s17, s28
	s_cbranch_execnz .LBB1038_636
.LBB1038_568:                           ;   in Loop: Header=BB1038_418 Depth=2
	s_or_b32 exec_lo, exec_lo, s17
	s_and_saveexec_b32 s17, s29
	s_cbranch_execnz .LBB1038_637
.LBB1038_569:                           ;   in Loop: Header=BB1038_418 Depth=2
	s_or_b32 exec_lo, exec_lo, s17
	s_and_saveexec_b32 s17, s30
	s_cbranch_execnz .LBB1038_638
.LBB1038_570:                           ;   in Loop: Header=BB1038_418 Depth=2
	s_or_b32 exec_lo, exec_lo, s17
	s_and_saveexec_b32 s17, s31
	s_cbranch_execnz .LBB1038_639
.LBB1038_571:                           ;   in Loop: Header=BB1038_418 Depth=2
	s_or_b32 exec_lo, exec_lo, s17
	s_and_saveexec_b32 s17, s33
	s_cbranch_execz .LBB1038_573
.LBB1038_572:                           ;   in Loop: Header=BB1038_418 Depth=2
	v_dual_lshlrev_b32 v62, 2, v122 :: v_dual_add_nc_u32 v63, v94, v95
	ds_load_b32 v64, v62
	ds_load_b64 v[62:63], v63 offset:33280
	s_wait_dscnt 0x1
	v_add_nc_u32_e32 v64, v64, v81
	s_wait_dscnt 0x0
	global_store_b64 v64, v[62:63], s[46:47] scale_offset
.LBB1038_573:                           ;   in Loop: Header=BB1038_418 Depth=2
	s_wait_xcnt 0x0
	s_or_b32 exec_lo, exec_lo, s17
	s_wait_storecnt 0x0
	s_barrier_signal -1
	s_barrier_wait -1
	s_and_saveexec_b32 s17, s0
	s_cbranch_execz .LBB1038_417
; %bb.574:                              ;   in Loop: Header=BB1038_418 Depth=2
	ds_load_b32 v62, v3
	s_wait_dscnt 0x0
	v_add3_u32 v62, v137, v140, v62
	ds_store_b32 v3, v62
	s_branch .LBB1038_417
.LBB1038_575:                           ;   in Loop: Header=BB1038_418 Depth=2
	ds_load_u16 v62, v94 offset:512
	s_wait_dscnt 0x0
	v_and_b32_e32 v63, 0xffff, v62
	v_xor_b32_e32 v62, 0xffff8000, v62
	s_delay_alu instid0(VALU_DEP_2) | instskip(NEXT) | instid1(VALU_DEP_1)
	v_lshrrev_b32_e32 v63, s43, v63
	v_and_b32_e32 v63, s48, v63
	s_delay_alu instid0(VALU_DEP_1)
	v_lshlrev_b32_e32 v63, 2, v63
	ds_load_b32 v63, v63
	s_wait_dscnt 0x0
	v_add_nc_u32_e32 v63, v63, v2
	global_store_b16 v63, v62, s[40:41] scale_offset
	s_wait_xcnt 0x0
	s_or_b32 exec_lo, exec_lo, s17
	v_cmp_lt_u32_e64 s17, v66, v141
	s_and_saveexec_b32 s18, s17
	s_cbranch_execz .LBB1038_504
.LBB1038_576:                           ;   in Loop: Header=BB1038_418 Depth=2
	ds_load_u16 v62, v94 offset:1024
	s_wait_dscnt 0x0
	v_and_b32_e32 v63, 0xffff, v62
	v_xor_b32_e32 v62, 0xffff8000, v62
	s_delay_alu instid0(VALU_DEP_2) | instskip(NEXT) | instid1(VALU_DEP_1)
	v_lshrrev_b32_e32 v63, s43, v63
	v_and_b32_e32 v63, s48, v63
	s_delay_alu instid0(VALU_DEP_1)
	v_lshlrev_b32_e32 v63, 2, v63
	ds_load_b32 v63, v63
	s_wait_dscnt 0x0
	v_add_nc_u32_e32 v63, v63, v66
	global_store_b16 v63, v62, s[40:41] scale_offset
	s_wait_xcnt 0x0
	s_or_b32 exec_lo, exec_lo, s18
	v_cmp_lt_u32_e64 s18, v67, v141
	s_and_saveexec_b32 s19, s18
	s_cbranch_execz .LBB1038_505
.LBB1038_577:                           ;   in Loop: Header=BB1038_418 Depth=2
	ds_load_u16 v62, v94 offset:1536
	s_wait_dscnt 0x0
	v_and_b32_e32 v63, 0xffff, v62
	v_xor_b32_e32 v62, 0xffff8000, v62
	s_delay_alu instid0(VALU_DEP_2) | instskip(NEXT) | instid1(VALU_DEP_1)
	v_lshrrev_b32_e32 v63, s43, v63
	v_and_b32_e32 v63, s48, v63
	s_delay_alu instid0(VALU_DEP_1)
	v_lshlrev_b32_e32 v63, 2, v63
	ds_load_b32 v63, v63
	s_wait_dscnt 0x0
	v_add_nc_u32_e32 v63, v63, v67
	global_store_b16 v63, v62, s[40:41] scale_offset
	s_wait_xcnt 0x0
	s_or_b32 exec_lo, exec_lo, s19
	v_cmp_lt_u32_e64 s19, v68, v141
	s_and_saveexec_b32 s20, s19
	s_cbranch_execz .LBB1038_506
.LBB1038_578:                           ;   in Loop: Header=BB1038_418 Depth=2
	ds_load_u16 v62, v94 offset:2048
	s_wait_dscnt 0x0
	v_and_b32_e32 v63, 0xffff, v62
	v_xor_b32_e32 v62, 0xffff8000, v62
	s_delay_alu instid0(VALU_DEP_2) | instskip(NEXT) | instid1(VALU_DEP_1)
	v_lshrrev_b32_e32 v63, s43, v63
	v_and_b32_e32 v63, s48, v63
	s_delay_alu instid0(VALU_DEP_1)
	v_lshlrev_b32_e32 v63, 2, v63
	ds_load_b32 v63, v63
	s_wait_dscnt 0x0
	v_add_nc_u32_e32 v63, v63, v68
	global_store_b16 v63, v62, s[40:41] scale_offset
	s_wait_xcnt 0x0
	s_or_b32 exec_lo, exec_lo, s20
	v_cmp_lt_u32_e64 s20, v69, v141
	s_and_saveexec_b32 s21, s20
	s_cbranch_execz .LBB1038_507
.LBB1038_579:                           ;   in Loop: Header=BB1038_418 Depth=2
	ds_load_u16 v62, v94 offset:2560
	s_wait_dscnt 0x0
	v_and_b32_e32 v63, 0xffff, v62
	v_xor_b32_e32 v62, 0xffff8000, v62
	s_delay_alu instid0(VALU_DEP_2) | instskip(NEXT) | instid1(VALU_DEP_1)
	v_lshrrev_b32_e32 v63, s43, v63
	v_and_b32_e32 v63, s48, v63
	s_delay_alu instid0(VALU_DEP_1)
	v_lshlrev_b32_e32 v63, 2, v63
	ds_load_b32 v63, v63
	s_wait_dscnt 0x0
	v_add_nc_u32_e32 v63, v63, v69
	global_store_b16 v63, v62, s[40:41] scale_offset
	s_wait_xcnt 0x0
	s_or_b32 exec_lo, exec_lo, s21
	v_cmp_lt_u32_e64 s21, v70, v141
	s_and_saveexec_b32 s22, s21
	s_cbranch_execz .LBB1038_508
.LBB1038_580:                           ;   in Loop: Header=BB1038_418 Depth=2
	ds_load_u16 v62, v94 offset:3072
	s_wait_dscnt 0x0
	v_and_b32_e32 v63, 0xffff, v62
	v_xor_b32_e32 v62, 0xffff8000, v62
	s_delay_alu instid0(VALU_DEP_2) | instskip(NEXT) | instid1(VALU_DEP_1)
	v_lshrrev_b32_e32 v63, s43, v63
	v_and_b32_e32 v63, s48, v63
	s_delay_alu instid0(VALU_DEP_1)
	v_lshlrev_b32_e32 v63, 2, v63
	ds_load_b32 v63, v63
	s_wait_dscnt 0x0
	v_add_nc_u32_e32 v63, v63, v70
	global_store_b16 v63, v62, s[40:41] scale_offset
	s_wait_xcnt 0x0
	s_or_b32 exec_lo, exec_lo, s22
	v_cmp_lt_u32_e64 s22, v71, v141
	s_and_saveexec_b32 s23, s22
	s_cbranch_execz .LBB1038_509
.LBB1038_581:                           ;   in Loop: Header=BB1038_418 Depth=2
	ds_load_u16 v62, v94 offset:3584
	s_wait_dscnt 0x0
	v_and_b32_e32 v63, 0xffff, v62
	v_xor_b32_e32 v62, 0xffff8000, v62
	s_delay_alu instid0(VALU_DEP_2) | instskip(NEXT) | instid1(VALU_DEP_1)
	v_lshrrev_b32_e32 v63, s43, v63
	v_and_b32_e32 v63, s48, v63
	s_delay_alu instid0(VALU_DEP_1)
	v_lshlrev_b32_e32 v63, 2, v63
	ds_load_b32 v63, v63
	s_wait_dscnt 0x0
	v_add_nc_u32_e32 v63, v63, v71
	global_store_b16 v63, v62, s[40:41] scale_offset
	s_wait_xcnt 0x0
	s_or_b32 exec_lo, exec_lo, s23
	v_cmp_lt_u32_e64 s23, v72, v141
	s_and_saveexec_b32 s24, s23
	s_cbranch_execz .LBB1038_510
.LBB1038_582:                           ;   in Loop: Header=BB1038_418 Depth=2
	ds_load_u16 v62, v94 offset:4096
	s_wait_dscnt 0x0
	v_and_b32_e32 v63, 0xffff, v62
	v_xor_b32_e32 v62, 0xffff8000, v62
	s_delay_alu instid0(VALU_DEP_2) | instskip(NEXT) | instid1(VALU_DEP_1)
	v_lshrrev_b32_e32 v63, s43, v63
	v_and_b32_e32 v63, s48, v63
	s_delay_alu instid0(VALU_DEP_1)
	v_lshlrev_b32_e32 v63, 2, v63
	ds_load_b32 v63, v63
	s_wait_dscnt 0x0
	v_add_nc_u32_e32 v63, v63, v72
	global_store_b16 v63, v62, s[40:41] scale_offset
	s_wait_xcnt 0x0
	s_or_b32 exec_lo, exec_lo, s24
	v_cmp_lt_u32_e64 s24, v73, v141
	s_and_saveexec_b32 s25, s24
	s_cbranch_execz .LBB1038_511
.LBB1038_583:                           ;   in Loop: Header=BB1038_418 Depth=2
	ds_load_u16 v62, v94 offset:4608
	s_wait_dscnt 0x0
	v_and_b32_e32 v63, 0xffff, v62
	v_xor_b32_e32 v62, 0xffff8000, v62
	s_delay_alu instid0(VALU_DEP_2) | instskip(NEXT) | instid1(VALU_DEP_1)
	v_lshrrev_b32_e32 v63, s43, v63
	v_and_b32_e32 v63, s48, v63
	s_delay_alu instid0(VALU_DEP_1)
	v_lshlrev_b32_e32 v63, 2, v63
	ds_load_b32 v63, v63
	s_wait_dscnt 0x0
	v_add_nc_u32_e32 v63, v63, v73
	global_store_b16 v63, v62, s[40:41] scale_offset
	s_wait_xcnt 0x0
	s_or_b32 exec_lo, exec_lo, s25
	v_cmp_lt_u32_e64 s25, v74, v141
	s_and_saveexec_b32 s26, s25
	s_cbranch_execz .LBB1038_512
.LBB1038_584:                           ;   in Loop: Header=BB1038_418 Depth=2
	ds_load_u16 v62, v94 offset:5120
	s_wait_dscnt 0x0
	v_and_b32_e32 v63, 0xffff, v62
	v_xor_b32_e32 v62, 0xffff8000, v62
	s_delay_alu instid0(VALU_DEP_2) | instskip(NEXT) | instid1(VALU_DEP_1)
	v_lshrrev_b32_e32 v63, s43, v63
	v_and_b32_e32 v63, s48, v63
	s_delay_alu instid0(VALU_DEP_1)
	v_lshlrev_b32_e32 v63, 2, v63
	ds_load_b32 v63, v63
	s_wait_dscnt 0x0
	v_add_nc_u32_e32 v63, v63, v74
	global_store_b16 v63, v62, s[40:41] scale_offset
	s_wait_xcnt 0x0
	s_or_b32 exec_lo, exec_lo, s26
	v_cmp_lt_u32_e64 s26, v75, v141
	s_and_saveexec_b32 s27, s26
	s_cbranch_execz .LBB1038_513
.LBB1038_585:                           ;   in Loop: Header=BB1038_418 Depth=2
	ds_load_u16 v62, v94 offset:5632
	s_wait_dscnt 0x0
	v_and_b32_e32 v63, 0xffff, v62
	v_xor_b32_e32 v62, 0xffff8000, v62
	s_delay_alu instid0(VALU_DEP_2) | instskip(NEXT) | instid1(VALU_DEP_1)
	v_lshrrev_b32_e32 v63, s43, v63
	v_and_b32_e32 v63, s48, v63
	s_delay_alu instid0(VALU_DEP_1)
	v_lshlrev_b32_e32 v63, 2, v63
	ds_load_b32 v63, v63
	s_wait_dscnt 0x0
	v_add_nc_u32_e32 v63, v63, v75
	global_store_b16 v63, v62, s[40:41] scale_offset
	s_wait_xcnt 0x0
	s_or_b32 exec_lo, exec_lo, s27
	v_cmp_lt_u32_e64 s27, v76, v141
	s_and_saveexec_b32 s28, s27
	s_cbranch_execz .LBB1038_514
.LBB1038_586:                           ;   in Loop: Header=BB1038_418 Depth=2
	ds_load_u16 v62, v94 offset:6144
	s_wait_dscnt 0x0
	v_and_b32_e32 v63, 0xffff, v62
	v_xor_b32_e32 v62, 0xffff8000, v62
	s_delay_alu instid0(VALU_DEP_2) | instskip(NEXT) | instid1(VALU_DEP_1)
	v_lshrrev_b32_e32 v63, s43, v63
	v_and_b32_e32 v63, s48, v63
	s_delay_alu instid0(VALU_DEP_1)
	v_lshlrev_b32_e32 v63, 2, v63
	ds_load_b32 v63, v63
	s_wait_dscnt 0x0
	v_add_nc_u32_e32 v63, v63, v76
	global_store_b16 v63, v62, s[40:41] scale_offset
	s_wait_xcnt 0x0
	s_or_b32 exec_lo, exec_lo, s28
	v_cmp_lt_u32_e64 s28, v77, v141
	s_and_saveexec_b32 s29, s28
	s_cbranch_execz .LBB1038_515
.LBB1038_587:                           ;   in Loop: Header=BB1038_418 Depth=2
	ds_load_u16 v62, v94 offset:6656
	s_wait_dscnt 0x0
	v_and_b32_e32 v63, 0xffff, v62
	v_xor_b32_e32 v62, 0xffff8000, v62
	s_delay_alu instid0(VALU_DEP_2) | instskip(NEXT) | instid1(VALU_DEP_1)
	v_lshrrev_b32_e32 v63, s43, v63
	v_and_b32_e32 v63, s48, v63
	s_delay_alu instid0(VALU_DEP_1)
	v_lshlrev_b32_e32 v63, 2, v63
	ds_load_b32 v63, v63
	s_wait_dscnt 0x0
	v_add_nc_u32_e32 v63, v63, v77
	global_store_b16 v63, v62, s[40:41] scale_offset
	s_wait_xcnt 0x0
	s_or_b32 exec_lo, exec_lo, s29
	v_cmp_lt_u32_e64 s29, v78, v141
	s_and_saveexec_b32 s30, s29
	s_cbranch_execz .LBB1038_516
.LBB1038_588:                           ;   in Loop: Header=BB1038_418 Depth=2
	ds_load_u16 v62, v94 offset:7168
	s_wait_dscnt 0x0
	v_and_b32_e32 v63, 0xffff, v62
	v_xor_b32_e32 v62, 0xffff8000, v62
	s_delay_alu instid0(VALU_DEP_2) | instskip(NEXT) | instid1(VALU_DEP_1)
	v_lshrrev_b32_e32 v63, s43, v63
	v_and_b32_e32 v63, s48, v63
	s_delay_alu instid0(VALU_DEP_1)
	v_lshlrev_b32_e32 v63, 2, v63
	ds_load_b32 v63, v63
	s_wait_dscnt 0x0
	v_add_nc_u32_e32 v63, v63, v78
	global_store_b16 v63, v62, s[40:41] scale_offset
	s_wait_xcnt 0x0
	s_or_b32 exec_lo, exec_lo, s30
	v_cmp_lt_u32_e64 s30, v79, v141
	s_and_saveexec_b32 s31, s30
	s_cbranch_execz .LBB1038_517
.LBB1038_589:                           ;   in Loop: Header=BB1038_418 Depth=2
	ds_load_u16 v62, v94 offset:7680
	s_wait_dscnt 0x0
	v_and_b32_e32 v63, 0xffff, v62
	v_xor_b32_e32 v62, 0xffff8000, v62
	s_delay_alu instid0(VALU_DEP_2) | instskip(NEXT) | instid1(VALU_DEP_1)
	v_lshrrev_b32_e32 v63, s43, v63
	v_and_b32_e32 v63, s48, v63
	s_delay_alu instid0(VALU_DEP_1)
	v_lshlrev_b32_e32 v63, 2, v63
	ds_load_b32 v63, v63
	s_wait_dscnt 0x0
	v_add_nc_u32_e32 v63, v63, v79
	global_store_b16 v63, v62, s[40:41] scale_offset
	s_wait_xcnt 0x0
	s_or_b32 exec_lo, exec_lo, s31
	v_cmp_lt_u32_e64 s31, v80, v141
	s_and_saveexec_b32 s33, s31
	s_cbranch_execz .LBB1038_518
.LBB1038_590:                           ;   in Loop: Header=BB1038_418 Depth=2
	ds_load_u16 v62, v94 offset:8192
	s_wait_dscnt 0x0
	v_and_b32_e32 v63, 0xffff, v62
	v_xor_b32_e32 v62, 0xffff8000, v62
	s_delay_alu instid0(VALU_DEP_2) | instskip(NEXT) | instid1(VALU_DEP_1)
	v_lshrrev_b32_e32 v63, s43, v63
	v_and_b32_e32 v63, s48, v63
	s_delay_alu instid0(VALU_DEP_1)
	v_lshlrev_b32_e32 v63, 2, v63
	ds_load_b32 v63, v63
	s_wait_dscnt 0x0
	v_add_nc_u32_e32 v63, v63, v80
	global_store_b16 v63, v62, s[40:41] scale_offset
	s_wait_xcnt 0x0
	s_or_b32 exec_lo, exec_lo, s33
	v_cmp_lt_u32_e64 s33, v81, v141
	s_and_saveexec_b32 s60, s33
	s_cbranch_execnz .LBB1038_519
	s_branch .LBB1038_520
.LBB1038_591:                           ;   in Loop: Header=BB1038_418 Depth=2
	global_load_b64 v[60:61], v[62:63], off
	s_wait_xcnt 0x0
	s_or_b32 exec_lo, exec_lo, s34
	s_delay_alu instid0(SALU_CYCLE_1)
	s_mov_b32 s60, exec_lo
	v_cmpx_lt_u32_e64 v105, v141
	s_cbranch_execz .LBB1038_522
.LBB1038_592:                           ;   in Loop: Header=BB1038_418 Depth=2
	global_load_b64 v[58:59], v[62:63], off offset:256
	s_wait_xcnt 0x0
	s_or_b32 exec_lo, exec_lo, s60
	s_delay_alu instid0(SALU_CYCLE_1)
	s_mov_b32 s60, exec_lo
	v_cmpx_lt_u32_e64 v106, v141
	s_cbranch_execz .LBB1038_523
.LBB1038_593:                           ;   in Loop: Header=BB1038_418 Depth=2
	global_load_b64 v[56:57], v[62:63], off offset:512
	s_wait_xcnt 0x0
	s_or_b32 exec_lo, exec_lo, s60
	s_delay_alu instid0(SALU_CYCLE_1)
	s_mov_b32 s60, exec_lo
	v_cmpx_lt_u32_e64 v107, v141
	s_cbranch_execz .LBB1038_524
.LBB1038_594:                           ;   in Loop: Header=BB1038_418 Depth=2
	global_load_b64 v[54:55], v[62:63], off offset:768
	s_wait_xcnt 0x0
	s_or_b32 exec_lo, exec_lo, s60
	s_delay_alu instid0(SALU_CYCLE_1)
	s_mov_b32 s60, exec_lo
	v_cmpx_lt_u32_e64 v108, v141
	s_cbranch_execz .LBB1038_525
.LBB1038_595:                           ;   in Loop: Header=BB1038_418 Depth=2
	global_load_b64 v[52:53], v[62:63], off offset:1024
	s_wait_xcnt 0x0
	s_or_b32 exec_lo, exec_lo, s60
	s_delay_alu instid0(SALU_CYCLE_1)
	s_mov_b32 s60, exec_lo
	v_cmpx_lt_u32_e64 v109, v141
	s_cbranch_execz .LBB1038_526
.LBB1038_596:                           ;   in Loop: Header=BB1038_418 Depth=2
	global_load_b64 v[50:51], v[62:63], off offset:1280
	s_wait_xcnt 0x0
	s_or_b32 exec_lo, exec_lo, s60
	s_delay_alu instid0(SALU_CYCLE_1)
	s_mov_b32 s60, exec_lo
	v_cmpx_lt_u32_e64 v110, v141
	s_cbranch_execz .LBB1038_527
.LBB1038_597:                           ;   in Loop: Header=BB1038_418 Depth=2
	global_load_b64 v[48:49], v[62:63], off offset:1536
	s_wait_xcnt 0x0
	s_or_b32 exec_lo, exec_lo, s60
	s_delay_alu instid0(SALU_CYCLE_1)
	s_mov_b32 s60, exec_lo
	v_cmpx_lt_u32_e64 v111, v141
	s_cbranch_execz .LBB1038_528
.LBB1038_598:                           ;   in Loop: Header=BB1038_418 Depth=2
	global_load_b64 v[46:47], v[62:63], off offset:1792
	s_wait_xcnt 0x0
	s_or_b32 exec_lo, exec_lo, s60
	s_delay_alu instid0(SALU_CYCLE_1)
	s_mov_b32 s60, exec_lo
	v_cmpx_lt_u32_e64 v112, v141
	s_cbranch_execz .LBB1038_529
.LBB1038_599:                           ;   in Loop: Header=BB1038_418 Depth=2
	global_load_b64 v[44:45], v[62:63], off offset:2048
	s_wait_xcnt 0x0
	s_or_b32 exec_lo, exec_lo, s60
	s_delay_alu instid0(SALU_CYCLE_1)
	s_mov_b32 s60, exec_lo
	v_cmpx_lt_u32_e64 v113, v141
	s_cbranch_execz .LBB1038_530
.LBB1038_600:                           ;   in Loop: Header=BB1038_418 Depth=2
	global_load_b64 v[42:43], v[62:63], off offset:2304
	s_wait_xcnt 0x0
	s_or_b32 exec_lo, exec_lo, s60
	s_delay_alu instid0(SALU_CYCLE_1)
	s_mov_b32 s60, exec_lo
	v_cmpx_lt_u32_e64 v114, v141
	s_cbranch_execz .LBB1038_531
.LBB1038_601:                           ;   in Loop: Header=BB1038_418 Depth=2
	global_load_b64 v[40:41], v[62:63], off offset:2560
	s_wait_xcnt 0x0
	s_or_b32 exec_lo, exec_lo, s60
	s_delay_alu instid0(SALU_CYCLE_1)
	s_mov_b32 s60, exec_lo
	v_cmpx_lt_u32_e64 v115, v141
	s_cbranch_execz .LBB1038_532
.LBB1038_602:                           ;   in Loop: Header=BB1038_418 Depth=2
	global_load_b64 v[38:39], v[62:63], off offset:2816
	s_wait_xcnt 0x0
	s_or_b32 exec_lo, exec_lo, s60
	s_delay_alu instid0(SALU_CYCLE_1)
	s_mov_b32 s60, exec_lo
	v_cmpx_lt_u32_e64 v116, v141
	s_cbranch_execz .LBB1038_533
.LBB1038_603:                           ;   in Loop: Header=BB1038_418 Depth=2
	global_load_b64 v[36:37], v[62:63], off offset:3072
	s_wait_xcnt 0x0
	s_or_b32 exec_lo, exec_lo, s60
	s_delay_alu instid0(SALU_CYCLE_1)
	s_mov_b32 s60, exec_lo
	v_cmpx_lt_u32_e64 v117, v141
	s_cbranch_execz .LBB1038_534
.LBB1038_604:                           ;   in Loop: Header=BB1038_418 Depth=2
	global_load_b64 v[34:35], v[62:63], off offset:3328
	s_wait_xcnt 0x0
	s_or_b32 exec_lo, exec_lo, s60
	s_delay_alu instid0(SALU_CYCLE_1)
	s_mov_b32 s60, exec_lo
	v_cmpx_lt_u32_e64 v118, v141
	s_cbranch_execz .LBB1038_535
.LBB1038_605:                           ;   in Loop: Header=BB1038_418 Depth=2
	global_load_b64 v[32:33], v[62:63], off offset:3584
	s_wait_xcnt 0x0
	s_or_b32 exec_lo, exec_lo, s60
	s_delay_alu instid0(SALU_CYCLE_1)
	s_mov_b32 s60, exec_lo
	v_cmpx_lt_u32_e64 v119, v141
	s_cbranch_execz .LBB1038_536
.LBB1038_606:                           ;   in Loop: Header=BB1038_418 Depth=2
	global_load_b64 v[30:31], v[62:63], off offset:3840
	s_wait_xcnt 0x0
	s_or_b32 exec_lo, exec_lo, s60
	s_delay_alu instid0(SALU_CYCLE_1)
	s_mov_b32 s60, exec_lo
	v_cmpx_lt_u32_e64 v120, v141
	s_cbranch_execz .LBB1038_537
.LBB1038_607:                           ;   in Loop: Header=BB1038_418 Depth=2
	global_load_b64 v[28:29], v[62:63], off offset:4096
	s_wait_xcnt 0x0
	s_or_b32 exec_lo, exec_lo, s60
	s_and_saveexec_b32 s34, vcc_lo
	s_cbranch_execz .LBB1038_538
.LBB1038_608:                           ;   in Loop: Header=BB1038_418 Depth=2
	ds_load_u16 v62, v94 offset:512
	s_wait_dscnt 0x0
	v_lshrrev_b32_e32 v62, s43, v62
	s_delay_alu instid0(VALU_DEP_1)
	v_and_b32_e32 v139, s48, v62
	s_or_b32 exec_lo, exec_lo, s34
	s_and_saveexec_b32 s34, s17
	s_cbranch_execz .LBB1038_539
.LBB1038_609:                           ;   in Loop: Header=BB1038_418 Depth=2
	ds_load_u16 v62, v94 offset:1024
	s_wait_dscnt 0x0
	v_lshrrev_b32_e32 v62, s43, v62
	s_delay_alu instid0(VALU_DEP_1)
	v_and_b32_e32 v138, s48, v62
	s_or_b32 exec_lo, exec_lo, s34
	s_and_saveexec_b32 s34, s18
	s_cbranch_execz .LBB1038_540
.LBB1038_610:                           ;   in Loop: Header=BB1038_418 Depth=2
	ds_load_u16 v62, v94 offset:1536
	s_wait_dscnt 0x0
	v_lshrrev_b32_e32 v62, s43, v62
	s_delay_alu instid0(VALU_DEP_1)
	v_and_b32_e32 v136, s48, v62
	s_or_b32 exec_lo, exec_lo, s34
	s_and_saveexec_b32 s34, s19
	s_cbranch_execz .LBB1038_541
.LBB1038_611:                           ;   in Loop: Header=BB1038_418 Depth=2
	ds_load_u16 v62, v94 offset:2048
	s_wait_dscnt 0x0
	v_lshrrev_b32_e32 v62, s43, v62
	s_delay_alu instid0(VALU_DEP_1)
	v_and_b32_e32 v135, s48, v62
	s_or_b32 exec_lo, exec_lo, s34
	s_and_saveexec_b32 s34, s20
	s_cbranch_execz .LBB1038_542
.LBB1038_612:                           ;   in Loop: Header=BB1038_418 Depth=2
	ds_load_u16 v62, v94 offset:2560
	s_wait_dscnt 0x0
	v_lshrrev_b32_e32 v62, s43, v62
	s_delay_alu instid0(VALU_DEP_1)
	v_and_b32_e32 v134, s48, v62
	s_or_b32 exec_lo, exec_lo, s34
	s_and_saveexec_b32 s34, s21
	s_cbranch_execz .LBB1038_543
.LBB1038_613:                           ;   in Loop: Header=BB1038_418 Depth=2
	ds_load_u16 v62, v94 offset:3072
	s_wait_dscnt 0x0
	v_lshrrev_b32_e32 v62, s43, v62
	s_delay_alu instid0(VALU_DEP_1)
	v_and_b32_e32 v133, s48, v62
	s_or_b32 exec_lo, exec_lo, s34
	s_and_saveexec_b32 s34, s22
	s_cbranch_execz .LBB1038_544
.LBB1038_614:                           ;   in Loop: Header=BB1038_418 Depth=2
	ds_load_u16 v62, v94 offset:3584
	s_wait_dscnt 0x0
	v_lshrrev_b32_e32 v62, s43, v62
	s_delay_alu instid0(VALU_DEP_1)
	v_and_b32_e32 v132, s48, v62
	s_or_b32 exec_lo, exec_lo, s34
	s_and_saveexec_b32 s34, s23
	s_cbranch_execz .LBB1038_545
.LBB1038_615:                           ;   in Loop: Header=BB1038_418 Depth=2
	ds_load_u16 v62, v94 offset:4096
	s_wait_dscnt 0x0
	v_lshrrev_b32_e32 v62, s43, v62
	s_delay_alu instid0(VALU_DEP_1)
	v_and_b32_e32 v131, s48, v62
	s_or_b32 exec_lo, exec_lo, s34
	s_and_saveexec_b32 s34, s24
	s_cbranch_execz .LBB1038_546
.LBB1038_616:                           ;   in Loop: Header=BB1038_418 Depth=2
	ds_load_u16 v62, v94 offset:4608
	s_wait_dscnt 0x0
	v_lshrrev_b32_e32 v62, s43, v62
	s_delay_alu instid0(VALU_DEP_1)
	v_and_b32_e32 v130, s48, v62
	s_or_b32 exec_lo, exec_lo, s34
	s_and_saveexec_b32 s34, s25
	s_cbranch_execz .LBB1038_547
.LBB1038_617:                           ;   in Loop: Header=BB1038_418 Depth=2
	ds_load_u16 v62, v94 offset:5120
	s_wait_dscnt 0x0
	v_lshrrev_b32_e32 v62, s43, v62
	s_delay_alu instid0(VALU_DEP_1)
	v_and_b32_e32 v129, s48, v62
	s_or_b32 exec_lo, exec_lo, s34
	s_and_saveexec_b32 s34, s26
	s_cbranch_execz .LBB1038_548
.LBB1038_618:                           ;   in Loop: Header=BB1038_418 Depth=2
	ds_load_u16 v62, v94 offset:5632
	s_wait_dscnt 0x0
	v_lshrrev_b32_e32 v62, s43, v62
	s_delay_alu instid0(VALU_DEP_1)
	v_and_b32_e32 v128, s48, v62
	s_or_b32 exec_lo, exec_lo, s34
	s_and_saveexec_b32 s34, s27
	s_cbranch_execz .LBB1038_549
.LBB1038_619:                           ;   in Loop: Header=BB1038_418 Depth=2
	ds_load_u16 v62, v94 offset:6144
	s_wait_dscnt 0x0
	v_lshrrev_b32_e32 v62, s43, v62
	s_delay_alu instid0(VALU_DEP_1)
	v_and_b32_e32 v127, s48, v62
	s_or_b32 exec_lo, exec_lo, s34
	s_and_saveexec_b32 s34, s28
	s_cbranch_execz .LBB1038_550
.LBB1038_620:                           ;   in Loop: Header=BB1038_418 Depth=2
	ds_load_u16 v62, v94 offset:6656
	s_wait_dscnt 0x0
	v_lshrrev_b32_e32 v62, s43, v62
	s_delay_alu instid0(VALU_DEP_1)
	v_and_b32_e32 v126, s48, v62
	s_or_b32 exec_lo, exec_lo, s34
	s_and_saveexec_b32 s34, s29
	s_cbranch_execz .LBB1038_551
.LBB1038_621:                           ;   in Loop: Header=BB1038_418 Depth=2
	ds_load_u16 v62, v94 offset:7168
	s_wait_dscnt 0x0
	v_lshrrev_b32_e32 v62, s43, v62
	s_delay_alu instid0(VALU_DEP_1)
	v_and_b32_e32 v125, s48, v62
	s_or_b32 exec_lo, exec_lo, s34
	s_and_saveexec_b32 s34, s30
	s_cbranch_execz .LBB1038_552
.LBB1038_622:                           ;   in Loop: Header=BB1038_418 Depth=2
	ds_load_u16 v62, v94 offset:7680
	s_wait_dscnt 0x0
	v_lshrrev_b32_e32 v62, s43, v62
	s_delay_alu instid0(VALU_DEP_1)
	v_and_b32_e32 v124, s48, v62
	s_or_b32 exec_lo, exec_lo, s34
	s_and_saveexec_b32 s34, s31
	s_cbranch_execz .LBB1038_553
.LBB1038_623:                           ;   in Loop: Header=BB1038_418 Depth=2
	ds_load_u16 v62, v94 offset:8192
	s_wait_dscnt 0x0
	v_lshrrev_b32_e32 v62, s43, v62
	s_delay_alu instid0(VALU_DEP_1)
	v_and_b32_e32 v123, s48, v62
	s_or_b32 exec_lo, exec_lo, s34
	s_and_saveexec_b32 s34, s33
	s_cbranch_execnz .LBB1038_554
	s_branch .LBB1038_555
.LBB1038_624:                           ;   in Loop: Header=BB1038_418 Depth=2
	v_lshlrev_b32_e32 v62, 2, v139
	v_add_nc_u32_e32 v63, v94, v95
	ds_load_b32 v64, v62
	ds_load_b64 v[62:63], v63 offset:512
	s_wait_dscnt 0x1
	v_add_nc_u32_e32 v64, v64, v2
	s_wait_dscnt 0x0
	global_store_b64 v64, v[62:63], s[46:47] scale_offset
	s_wait_xcnt 0x0
	s_or_b32 exec_lo, exec_lo, s34
	s_and_saveexec_b32 s34, s17
	s_cbranch_execz .LBB1038_557
.LBB1038_625:                           ;   in Loop: Header=BB1038_418 Depth=2
	v_dual_lshlrev_b32 v62, 2, v138 :: v_dual_add_nc_u32 v63, v94, v95
	ds_load_b32 v64, v62
	ds_load_b64 v[62:63], v63 offset:2560
	s_wait_dscnt 0x1
	v_add_nc_u32_e32 v64, v64, v66
	s_wait_dscnt 0x0
	global_store_b64 v64, v[62:63], s[46:47] scale_offset
	s_wait_xcnt 0x0
	s_or_b32 exec_lo, exec_lo, s34
	s_and_saveexec_b32 s17, s18
	s_cbranch_execz .LBB1038_558
.LBB1038_626:                           ;   in Loop: Header=BB1038_418 Depth=2
	v_dual_lshlrev_b32 v62, 2, v136 :: v_dual_add_nc_u32 v63, v94, v95
	ds_load_b32 v64, v62
	ds_load_b64 v[62:63], v63 offset:4608
	s_wait_dscnt 0x1
	v_add_nc_u32_e32 v64, v64, v67
	s_wait_dscnt 0x0
	global_store_b64 v64, v[62:63], s[46:47] scale_offset
	s_wait_xcnt 0x0
	s_or_b32 exec_lo, exec_lo, s17
	s_and_saveexec_b32 s17, s19
	s_cbranch_execz .LBB1038_559
.LBB1038_627:                           ;   in Loop: Header=BB1038_418 Depth=2
	v_lshlrev_b32_e32 v62, 2, v135
	v_add_nc_u32_e32 v63, v94, v95
	ds_load_b32 v64, v62
	ds_load_b64 v[62:63], v63 offset:6656
	s_wait_dscnt 0x1
	v_add_nc_u32_e32 v64, v64, v68
	s_wait_dscnt 0x0
	global_store_b64 v64, v[62:63], s[46:47] scale_offset
	s_wait_xcnt 0x0
	s_or_b32 exec_lo, exec_lo, s17
	s_and_saveexec_b32 s17, s20
	s_cbranch_execz .LBB1038_560
.LBB1038_628:                           ;   in Loop: Header=BB1038_418 Depth=2
	v_dual_lshlrev_b32 v62, 2, v134 :: v_dual_add_nc_u32 v63, v94, v95
	ds_load_b32 v64, v62
	ds_load_b64 v[62:63], v63 offset:8704
	s_wait_dscnt 0x1
	v_add_nc_u32_e32 v64, v64, v69
	s_wait_dscnt 0x0
	global_store_b64 v64, v[62:63], s[46:47] scale_offset
	s_wait_xcnt 0x0
	s_or_b32 exec_lo, exec_lo, s17
	s_and_saveexec_b32 s17, s21
	s_cbranch_execz .LBB1038_561
.LBB1038_629:                           ;   in Loop: Header=BB1038_418 Depth=2
	v_dual_lshlrev_b32 v62, 2, v133 :: v_dual_add_nc_u32 v63, v94, v95
	ds_load_b32 v64, v62
	ds_load_b64 v[62:63], v63 offset:10752
	s_wait_dscnt 0x1
	v_add_nc_u32_e32 v64, v64, v70
	s_wait_dscnt 0x0
	global_store_b64 v64, v[62:63], s[46:47] scale_offset
	s_wait_xcnt 0x0
	s_or_b32 exec_lo, exec_lo, s17
	s_and_saveexec_b32 s17, s22
	s_cbranch_execz .LBB1038_562
.LBB1038_630:                           ;   in Loop: Header=BB1038_418 Depth=2
	v_dual_lshlrev_b32 v62, 2, v132 :: v_dual_add_nc_u32 v63, v94, v95
	ds_load_b32 v64, v62
	ds_load_b64 v[62:63], v63 offset:12800
	s_wait_dscnt 0x1
	v_add_nc_u32_e32 v64, v64, v71
	s_wait_dscnt 0x0
	global_store_b64 v64, v[62:63], s[46:47] scale_offset
	s_wait_xcnt 0x0
	s_or_b32 exec_lo, exec_lo, s17
	s_and_saveexec_b32 s17, s23
	s_cbranch_execz .LBB1038_563
.LBB1038_631:                           ;   in Loop: Header=BB1038_418 Depth=2
	v_lshlrev_b32_e32 v62, 2, v131
	v_add_nc_u32_e32 v63, v94, v95
	ds_load_b32 v64, v62
	ds_load_b64 v[62:63], v63 offset:14848
	s_wait_dscnt 0x1
	v_add_nc_u32_e32 v64, v64, v72
	s_wait_dscnt 0x0
	global_store_b64 v64, v[62:63], s[46:47] scale_offset
	s_wait_xcnt 0x0
	s_or_b32 exec_lo, exec_lo, s17
	s_and_saveexec_b32 s17, s24
	s_cbranch_execz .LBB1038_564
.LBB1038_632:                           ;   in Loop: Header=BB1038_418 Depth=2
	v_dual_lshlrev_b32 v62, 2, v130 :: v_dual_add_nc_u32 v63, v94, v95
	ds_load_b32 v64, v62
	ds_load_b64 v[62:63], v63 offset:16896
	s_wait_dscnt 0x1
	v_add_nc_u32_e32 v64, v64, v73
	s_wait_dscnt 0x0
	global_store_b64 v64, v[62:63], s[46:47] scale_offset
	s_wait_xcnt 0x0
	s_or_b32 exec_lo, exec_lo, s17
	s_and_saveexec_b32 s17, s25
	s_cbranch_execz .LBB1038_565
.LBB1038_633:                           ;   in Loop: Header=BB1038_418 Depth=2
	v_dual_lshlrev_b32 v62, 2, v129 :: v_dual_add_nc_u32 v63, v94, v95
	ds_load_b32 v64, v62
	ds_load_b64 v[62:63], v63 offset:18944
	s_wait_dscnt 0x1
	v_add_nc_u32_e32 v64, v64, v74
	s_wait_dscnt 0x0
	global_store_b64 v64, v[62:63], s[46:47] scale_offset
	s_wait_xcnt 0x0
	s_or_b32 exec_lo, exec_lo, s17
	s_and_saveexec_b32 s17, s26
	s_cbranch_execz .LBB1038_566
.LBB1038_634:                           ;   in Loop: Header=BB1038_418 Depth=2
	v_dual_lshlrev_b32 v62, 2, v128 :: v_dual_add_nc_u32 v63, v94, v95
	ds_load_b32 v64, v62
	ds_load_b64 v[62:63], v63 offset:20992
	s_wait_dscnt 0x1
	v_add_nc_u32_e32 v64, v64, v75
	s_wait_dscnt 0x0
	global_store_b64 v64, v[62:63], s[46:47] scale_offset
	s_wait_xcnt 0x0
	s_or_b32 exec_lo, exec_lo, s17
	s_and_saveexec_b32 s17, s27
	s_cbranch_execz .LBB1038_567
.LBB1038_635:                           ;   in Loop: Header=BB1038_418 Depth=2
	v_lshlrev_b32_e32 v62, 2, v127
	v_add_nc_u32_e32 v63, v94, v95
	ds_load_b32 v64, v62
	ds_load_b64 v[62:63], v63 offset:23040
	s_wait_dscnt 0x1
	v_add_nc_u32_e32 v64, v64, v76
	s_wait_dscnt 0x0
	global_store_b64 v64, v[62:63], s[46:47] scale_offset
	s_wait_xcnt 0x0
	s_or_b32 exec_lo, exec_lo, s17
	s_and_saveexec_b32 s17, s28
	s_cbranch_execz .LBB1038_568
.LBB1038_636:                           ;   in Loop: Header=BB1038_418 Depth=2
	v_dual_lshlrev_b32 v62, 2, v126 :: v_dual_add_nc_u32 v63, v94, v95
	ds_load_b32 v64, v62
	ds_load_b64 v[62:63], v63 offset:25088
	s_wait_dscnt 0x1
	v_add_nc_u32_e32 v64, v64, v77
	s_wait_dscnt 0x0
	global_store_b64 v64, v[62:63], s[46:47] scale_offset
	s_wait_xcnt 0x0
	s_or_b32 exec_lo, exec_lo, s17
	s_and_saveexec_b32 s17, s29
	s_cbranch_execz .LBB1038_569
.LBB1038_637:                           ;   in Loop: Header=BB1038_418 Depth=2
	v_dual_lshlrev_b32 v62, 2, v125 :: v_dual_add_nc_u32 v63, v94, v95
	ds_load_b32 v64, v62
	ds_load_b64 v[62:63], v63 offset:27136
	s_wait_dscnt 0x1
	v_add_nc_u32_e32 v64, v64, v78
	s_wait_dscnt 0x0
	global_store_b64 v64, v[62:63], s[46:47] scale_offset
	s_wait_xcnt 0x0
	s_or_b32 exec_lo, exec_lo, s17
	s_and_saveexec_b32 s17, s30
	s_cbranch_execz .LBB1038_570
.LBB1038_638:                           ;   in Loop: Header=BB1038_418 Depth=2
	v_dual_lshlrev_b32 v62, 2, v124 :: v_dual_add_nc_u32 v63, v94, v95
	ds_load_b32 v64, v62
	ds_load_b64 v[62:63], v63 offset:29184
	s_wait_dscnt 0x1
	v_add_nc_u32_e32 v64, v64, v79
	s_wait_dscnt 0x0
	global_store_b64 v64, v[62:63], s[46:47] scale_offset
	s_wait_xcnt 0x0
	s_or_b32 exec_lo, exec_lo, s17
	s_and_saveexec_b32 s17, s31
	s_cbranch_execz .LBB1038_571
.LBB1038_639:                           ;   in Loop: Header=BB1038_418 Depth=2
	v_lshlrev_b32_e32 v62, 2, v123
	v_add_nc_u32_e32 v63, v94, v95
	ds_load_b32 v64, v62
	ds_load_b64 v[62:63], v63 offset:31232
	s_wait_dscnt 0x1
	v_add_nc_u32_e32 v64, v64, v80
	s_wait_dscnt 0x0
	global_store_b64 v64, v[62:63], s[46:47] scale_offset
	s_wait_xcnt 0x0
	s_or_b32 exec_lo, exec_lo, s17
	s_and_saveexec_b32 s17, s33
	s_cbranch_execnz .LBB1038_572
	s_branch .LBB1038_573
.LBB1038_640:                           ;   in Loop: Header=BB1038_20 Depth=1
	s_wait_dscnt 0x0
	s_barrier_signal -1
	s_barrier_wait -1
.LBB1038_641:                           ;   in Loop: Header=BB1038_20 Depth=1
	s_mov_b32 s9, 0
.LBB1038_642:                           ;   in Loop: Header=BB1038_20 Depth=1
	s_delay_alu instid0(SALU_CYCLE_1)
	s_and_not1_b32 vcc_lo, exec_lo, s9
	s_cbranch_vccnz .LBB1038_19
; %bb.643:                              ;   in Loop: Header=BB1038_20 Depth=1
	s_and_b32 vcc_lo, exec_lo, s56
	s_mov_b32 s9, -1
	s_cbranch_vccz .LBB1038_953
; %bb.644:                              ;   in Loop: Header=BB1038_20 Depth=1
	s_mov_b32 s9, s57
	s_mov_b32 s34, s55
	s_barrier_signal -1
	s_barrier_wait -1
                                        ; implicit-def: $vgpr23
                                        ; implicit-def: $vgpr24
                                        ; implicit-def: $vgpr25
                                        ; implicit-def: $vgpr26
                                        ; implicit-def: $vgpr27
                                        ; implicit-def: $vgpr28
                                        ; implicit-def: $vgpr29
                                        ; implicit-def: $vgpr30
                                        ; implicit-def: $vgpr31
                                        ; implicit-def: $vgpr32
                                        ; implicit-def: $vgpr33
                                        ; implicit-def: $vgpr34
                                        ; implicit-def: $vgpr35
                                        ; implicit-def: $vgpr36
                                        ; implicit-def: $vgpr37
                                        ; implicit-def: $vgpr38
                                        ; implicit-def: $vgpr39
	s_branch .LBB1038_646
.LBB1038_645:                           ;   in Loop: Header=BB1038_646 Depth=2
	s_or_b32 exec_lo, exec_lo, s10
	s_addk_co_i32 s9, 0xef00
	s_cmp_ge_u32 s12, s54
	s_mov_b32 s34, s12
	s_cbranch_scc1 .LBB1038_718
.LBB1038_646:                           ;   Parent Loop BB1038_20 Depth=1
                                        ; =>  This Inner Loop Header: Depth=2
	s_add_co_i32 s12, s34, 0x1100
	s_mov_b32 s10, -1
	s_cmp_gt_u32 s12, s54
                                        ; implicit-def: $vgpr40
                                        ; implicit-def: $vgpr41
                                        ; implicit-def: $vgpr42
                                        ; implicit-def: $vgpr43
                                        ; implicit-def: $vgpr44
                                        ; implicit-def: $vgpr45
                                        ; implicit-def: $vgpr46
                                        ; implicit-def: $vgpr47
                                        ; implicit-def: $vgpr48
                                        ; implicit-def: $vgpr49
                                        ; implicit-def: $vgpr50
                                        ; implicit-def: $vgpr51
                                        ; implicit-def: $vgpr52
                                        ; implicit-def: $vgpr53
                                        ; implicit-def: $vgpr54
                                        ; implicit-def: $vgpr55
                                        ; implicit-def: $vgpr56
	s_cbranch_scc1 .LBB1038_648
; %bb.647:                              ;   in Loop: Header=BB1038_646 Depth=2
	v_lshl_add_u64 v[58:59], s[34:35], 1, v[16:17]
	s_mov_b32 s10, 0
	s_clause 0x10
	global_load_u16 v40, v[58:59], off
	global_load_u16 v41, v[58:59], off offset:512
	global_load_u16 v42, v[58:59], off offset:1024
	;; [unrolled: 1-line block ×16, first 2 shown]
.LBB1038_648:                           ;   in Loop: Header=BB1038_646 Depth=2
	s_and_not1_b32 vcc_lo, exec_lo, s10
	s_movk_i32 s10, 0x1100
	s_cbranch_vccnz .LBB1038_668
; %bb.649:                              ;   in Loop: Header=BB1038_646 Depth=2
	s_lshl_b64 s[10:11], s[34:35], 1
	s_mov_b32 s13, exec_lo
	s_add_nc_u64 s[10:11], s[36:37], s[10:11]
	s_wait_xcnt 0x0
	v_cmpx_gt_u32_e64 s9, v2
	s_cbranch_execnz .LBB1038_702
; %bb.650:                              ;   in Loop: Header=BB1038_646 Depth=2
	s_or_b32 exec_lo, exec_lo, s13
	s_delay_alu instid0(SALU_CYCLE_1)
	s_mov_b32 s13, exec_lo
	v_cmpx_gt_u32_e64 s9, v66
	s_cbranch_execnz .LBB1038_703
.LBB1038_651:                           ;   in Loop: Header=BB1038_646 Depth=2
	s_or_b32 exec_lo, exec_lo, s13
	s_delay_alu instid0(SALU_CYCLE_1)
	s_mov_b32 s13, exec_lo
	v_cmpx_gt_u32_e64 s9, v67
	s_cbranch_execnz .LBB1038_704
.LBB1038_652:                           ;   in Loop: Header=BB1038_646 Depth=2
	s_or_b32 exec_lo, exec_lo, s13
	s_delay_alu instid0(SALU_CYCLE_1)
	s_mov_b32 s13, exec_lo
	v_cmpx_gt_u32_e64 s9, v68
	s_cbranch_execnz .LBB1038_705
.LBB1038_653:                           ;   in Loop: Header=BB1038_646 Depth=2
	s_or_b32 exec_lo, exec_lo, s13
	s_delay_alu instid0(SALU_CYCLE_1)
	s_mov_b32 s13, exec_lo
	v_cmpx_gt_u32_e64 s9, v69
	s_cbranch_execnz .LBB1038_706
.LBB1038_654:                           ;   in Loop: Header=BB1038_646 Depth=2
	s_or_b32 exec_lo, exec_lo, s13
	s_delay_alu instid0(SALU_CYCLE_1)
	s_mov_b32 s13, exec_lo
	v_cmpx_gt_u32_e64 s9, v70
	s_cbranch_execnz .LBB1038_707
.LBB1038_655:                           ;   in Loop: Header=BB1038_646 Depth=2
	s_or_b32 exec_lo, exec_lo, s13
	s_delay_alu instid0(SALU_CYCLE_1)
	s_mov_b32 s13, exec_lo
	v_cmpx_gt_u32_e64 s9, v71
	s_cbranch_execnz .LBB1038_708
.LBB1038_656:                           ;   in Loop: Header=BB1038_646 Depth=2
	s_or_b32 exec_lo, exec_lo, s13
	s_delay_alu instid0(SALU_CYCLE_1)
	s_mov_b32 s13, exec_lo
	v_cmpx_gt_u32_e64 s9, v72
	s_cbranch_execnz .LBB1038_709
.LBB1038_657:                           ;   in Loop: Header=BB1038_646 Depth=2
	s_or_b32 exec_lo, exec_lo, s13
	s_delay_alu instid0(SALU_CYCLE_1)
	s_mov_b32 s13, exec_lo
	v_cmpx_gt_u32_e64 s9, v73
	s_cbranch_execnz .LBB1038_710
.LBB1038_658:                           ;   in Loop: Header=BB1038_646 Depth=2
	s_or_b32 exec_lo, exec_lo, s13
	s_delay_alu instid0(SALU_CYCLE_1)
	s_mov_b32 s13, exec_lo
	v_cmpx_gt_u32_e64 s9, v74
	s_cbranch_execnz .LBB1038_711
.LBB1038_659:                           ;   in Loop: Header=BB1038_646 Depth=2
	s_or_b32 exec_lo, exec_lo, s13
	s_delay_alu instid0(SALU_CYCLE_1)
	s_mov_b32 s13, exec_lo
	v_cmpx_gt_u32_e64 s9, v75
	s_cbranch_execnz .LBB1038_712
.LBB1038_660:                           ;   in Loop: Header=BB1038_646 Depth=2
	s_or_b32 exec_lo, exec_lo, s13
	s_delay_alu instid0(SALU_CYCLE_1)
	s_mov_b32 s13, exec_lo
	v_cmpx_gt_u32_e64 s9, v76
	s_cbranch_execnz .LBB1038_713
.LBB1038_661:                           ;   in Loop: Header=BB1038_646 Depth=2
	s_or_b32 exec_lo, exec_lo, s13
	s_delay_alu instid0(SALU_CYCLE_1)
	s_mov_b32 s13, exec_lo
	v_cmpx_gt_u32_e64 s9, v77
	s_cbranch_execnz .LBB1038_714
.LBB1038_662:                           ;   in Loop: Header=BB1038_646 Depth=2
	s_or_b32 exec_lo, exec_lo, s13
	s_delay_alu instid0(SALU_CYCLE_1)
	s_mov_b32 s13, exec_lo
	v_cmpx_gt_u32_e64 s9, v78
	s_cbranch_execnz .LBB1038_715
.LBB1038_663:                           ;   in Loop: Header=BB1038_646 Depth=2
	s_or_b32 exec_lo, exec_lo, s13
	s_delay_alu instid0(SALU_CYCLE_1)
	s_mov_b32 s13, exec_lo
	v_cmpx_gt_u32_e64 s9, v79
	s_cbranch_execnz .LBB1038_716
.LBB1038_664:                           ;   in Loop: Header=BB1038_646 Depth=2
	s_or_b32 exec_lo, exec_lo, s13
	s_delay_alu instid0(SALU_CYCLE_1)
	s_mov_b32 s13, exec_lo
	v_cmpx_gt_u32_e64 s9, v80
	s_cbranch_execnz .LBB1038_717
.LBB1038_665:                           ;   in Loop: Header=BB1038_646 Depth=2
	s_or_b32 exec_lo, exec_lo, s13
	s_delay_alu instid0(SALU_CYCLE_1)
	s_mov_b32 s13, exec_lo
	v_cmpx_gt_u32_e64 s9, v81
	s_cbranch_execz .LBB1038_667
.LBB1038_666:                           ;   in Loop: Header=BB1038_646 Depth=2
	global_load_u16 v23, v2, s[10:11] offset:8192 scale_offset
.LBB1038_667:                           ;   in Loop: Header=BB1038_646 Depth=2
	s_wait_xcnt 0x0
	s_or_b32 exec_lo, exec_lo, s13
	s_wait_loadcnt 0x0
	v_dual_mov_b32 v40, v39 :: v_dual_mov_b32 v41, v38
	v_dual_mov_b32 v42, v37 :: v_dual_mov_b32 v43, v36
	;; [unrolled: 1-line block ×8, first 2 shown]
	v_mov_b32_e32 v56, v23
	s_mov_b32 s10, s9
.LBB1038_668:                           ;   in Loop: Header=BB1038_646 Depth=2
	s_wait_loadcnt 0x0
	s_delay_alu instid0(VALU_DEP_1)
	v_dual_mov_b32 v23, v56 :: v_dual_mov_b32 v24, v55
	v_dual_mov_b32 v25, v54 :: v_dual_mov_b32 v26, v53
	;; [unrolled: 1-line block ×8, first 2 shown]
	v_mov_b32_e32 v39, v40
	s_mov_b32 s11, exec_lo
	s_wait_xcnt 0x0
	v_cmpx_gt_u32_e64 s10, v2
	s_cbranch_execnz .LBB1038_685
; %bb.669:                              ;   in Loop: Header=BB1038_646 Depth=2
	s_or_b32 exec_lo, exec_lo, s11
	s_delay_alu instid0(SALU_CYCLE_1)
	s_mov_b32 s11, exec_lo
	v_cmpx_gt_u32_e64 s10, v66
	s_cbranch_execnz .LBB1038_686
.LBB1038_670:                           ;   in Loop: Header=BB1038_646 Depth=2
	s_or_b32 exec_lo, exec_lo, s11
	s_delay_alu instid0(SALU_CYCLE_1)
	s_mov_b32 s11, exec_lo
	v_cmpx_gt_u32_e64 s10, v67
	s_cbranch_execnz .LBB1038_687
.LBB1038_671:                           ;   in Loop: Header=BB1038_646 Depth=2
	s_or_b32 exec_lo, exec_lo, s11
	s_delay_alu instid0(SALU_CYCLE_1)
	s_mov_b32 s11, exec_lo
	v_cmpx_gt_u32_e64 s10, v68
	s_cbranch_execnz .LBB1038_688
.LBB1038_672:                           ;   in Loop: Header=BB1038_646 Depth=2
	s_or_b32 exec_lo, exec_lo, s11
	s_delay_alu instid0(SALU_CYCLE_1)
	s_mov_b32 s11, exec_lo
	v_cmpx_gt_u32_e64 s10, v69
	s_cbranch_execnz .LBB1038_689
.LBB1038_673:                           ;   in Loop: Header=BB1038_646 Depth=2
	s_or_b32 exec_lo, exec_lo, s11
	s_delay_alu instid0(SALU_CYCLE_1)
	s_mov_b32 s11, exec_lo
	v_cmpx_gt_u32_e64 s10, v70
	s_cbranch_execnz .LBB1038_690
.LBB1038_674:                           ;   in Loop: Header=BB1038_646 Depth=2
	s_or_b32 exec_lo, exec_lo, s11
	s_delay_alu instid0(SALU_CYCLE_1)
	s_mov_b32 s11, exec_lo
	v_cmpx_gt_u32_e64 s10, v71
	s_cbranch_execnz .LBB1038_691
.LBB1038_675:                           ;   in Loop: Header=BB1038_646 Depth=2
	s_or_b32 exec_lo, exec_lo, s11
	s_delay_alu instid0(SALU_CYCLE_1)
	s_mov_b32 s11, exec_lo
	v_cmpx_gt_u32_e64 s10, v72
	s_cbranch_execnz .LBB1038_692
.LBB1038_676:                           ;   in Loop: Header=BB1038_646 Depth=2
	s_or_b32 exec_lo, exec_lo, s11
	s_delay_alu instid0(SALU_CYCLE_1)
	s_mov_b32 s11, exec_lo
	v_cmpx_gt_u32_e64 s10, v73
	s_cbranch_execnz .LBB1038_693
.LBB1038_677:                           ;   in Loop: Header=BB1038_646 Depth=2
	s_or_b32 exec_lo, exec_lo, s11
	s_delay_alu instid0(SALU_CYCLE_1)
	s_mov_b32 s11, exec_lo
	v_cmpx_gt_u32_e64 s10, v74
	s_cbranch_execnz .LBB1038_694
.LBB1038_678:                           ;   in Loop: Header=BB1038_646 Depth=2
	s_or_b32 exec_lo, exec_lo, s11
	s_delay_alu instid0(SALU_CYCLE_1)
	s_mov_b32 s11, exec_lo
	v_cmpx_gt_u32_e64 s10, v75
	s_cbranch_execnz .LBB1038_695
.LBB1038_679:                           ;   in Loop: Header=BB1038_646 Depth=2
	s_or_b32 exec_lo, exec_lo, s11
	s_delay_alu instid0(SALU_CYCLE_1)
	s_mov_b32 s11, exec_lo
	v_cmpx_gt_u32_e64 s10, v76
	s_cbranch_execnz .LBB1038_696
.LBB1038_680:                           ;   in Loop: Header=BB1038_646 Depth=2
	s_or_b32 exec_lo, exec_lo, s11
	s_delay_alu instid0(SALU_CYCLE_1)
	s_mov_b32 s11, exec_lo
	v_cmpx_gt_u32_e64 s10, v77
	s_cbranch_execnz .LBB1038_697
.LBB1038_681:                           ;   in Loop: Header=BB1038_646 Depth=2
	s_or_b32 exec_lo, exec_lo, s11
	s_delay_alu instid0(SALU_CYCLE_1)
	s_mov_b32 s11, exec_lo
	v_cmpx_gt_u32_e64 s10, v78
	s_cbranch_execnz .LBB1038_698
.LBB1038_682:                           ;   in Loop: Header=BB1038_646 Depth=2
	s_or_b32 exec_lo, exec_lo, s11
	s_delay_alu instid0(SALU_CYCLE_1)
	s_mov_b32 s11, exec_lo
	v_cmpx_gt_u32_e64 s10, v79
	s_cbranch_execnz .LBB1038_699
.LBB1038_683:                           ;   in Loop: Header=BB1038_646 Depth=2
	s_or_b32 exec_lo, exec_lo, s11
	s_delay_alu instid0(SALU_CYCLE_1)
	s_mov_b32 s11, exec_lo
	v_cmpx_gt_u32_e64 s10, v80
	s_cbranch_execnz .LBB1038_700
.LBB1038_684:                           ;   in Loop: Header=BB1038_646 Depth=2
	s_or_b32 exec_lo, exec_lo, s11
	v_cmp_gt_u32_e32 vcc_lo, s10, v81
	s_and_saveexec_b32 s10, vcc_lo
	s_cbranch_execz .LBB1038_645
	s_branch .LBB1038_701
.LBB1038_685:                           ;   in Loop: Header=BB1038_646 Depth=2
	v_xor_b32_e32 v40, 0xffff8000, v39
	s_delay_alu instid0(VALU_DEP_1) | instskip(NEXT) | instid1(VALU_DEP_1)
	v_and_b32_e32 v40, 0xffff, v40
	v_lshrrev_b32_e32 v40, s49, v40
	s_delay_alu instid0(VALU_DEP_1) | instskip(NEXT) | instid1(VALU_DEP_1)
	v_and_b32_e32 v40, s48, v40
	v_lshl_or_b32 v40, v40, 4, v83
	ds_add_u32 v40, v97
	s_or_b32 exec_lo, exec_lo, s11
	s_delay_alu instid0(SALU_CYCLE_1)
	s_mov_b32 s11, exec_lo
	v_cmpx_gt_u32_e64 s10, v66
	s_cbranch_execz .LBB1038_670
.LBB1038_686:                           ;   in Loop: Header=BB1038_646 Depth=2
	v_xor_b32_e32 v40, 0xffff8000, v38
	s_delay_alu instid0(VALU_DEP_1) | instskip(NEXT) | instid1(VALU_DEP_1)
	v_and_b32_e32 v40, 0xffff, v40
	v_lshrrev_b32_e32 v40, s49, v40
	s_delay_alu instid0(VALU_DEP_1) | instskip(NEXT) | instid1(VALU_DEP_1)
	v_and_b32_e32 v40, s48, v40
	v_lshl_or_b32 v40, v40, 4, v83
	ds_add_u32 v40, v97
	s_or_b32 exec_lo, exec_lo, s11
	s_delay_alu instid0(SALU_CYCLE_1)
	s_mov_b32 s11, exec_lo
	v_cmpx_gt_u32_e64 s10, v67
	s_cbranch_execz .LBB1038_671
.LBB1038_687:                           ;   in Loop: Header=BB1038_646 Depth=2
	v_xor_b32_e32 v40, 0xffff8000, v37
	s_delay_alu instid0(VALU_DEP_1) | instskip(NEXT) | instid1(VALU_DEP_1)
	v_and_b32_e32 v40, 0xffff, v40
	v_lshrrev_b32_e32 v40, s49, v40
	s_delay_alu instid0(VALU_DEP_1) | instskip(NEXT) | instid1(VALU_DEP_1)
	v_and_b32_e32 v40, s48, v40
	v_lshl_or_b32 v40, v40, 4, v83
	ds_add_u32 v40, v97
	s_or_b32 exec_lo, exec_lo, s11
	s_delay_alu instid0(SALU_CYCLE_1)
	s_mov_b32 s11, exec_lo
	v_cmpx_gt_u32_e64 s10, v68
	s_cbranch_execz .LBB1038_672
.LBB1038_688:                           ;   in Loop: Header=BB1038_646 Depth=2
	v_xor_b32_e32 v40, 0xffff8000, v36
	s_delay_alu instid0(VALU_DEP_1) | instskip(NEXT) | instid1(VALU_DEP_1)
	v_and_b32_e32 v40, 0xffff, v40
	v_lshrrev_b32_e32 v40, s49, v40
	s_delay_alu instid0(VALU_DEP_1) | instskip(NEXT) | instid1(VALU_DEP_1)
	v_and_b32_e32 v40, s48, v40
	v_lshl_or_b32 v40, v40, 4, v83
	ds_add_u32 v40, v97
	s_or_b32 exec_lo, exec_lo, s11
	s_delay_alu instid0(SALU_CYCLE_1)
	s_mov_b32 s11, exec_lo
	v_cmpx_gt_u32_e64 s10, v69
	s_cbranch_execz .LBB1038_673
.LBB1038_689:                           ;   in Loop: Header=BB1038_646 Depth=2
	v_xor_b32_e32 v40, 0xffff8000, v35
	s_delay_alu instid0(VALU_DEP_1) | instskip(NEXT) | instid1(VALU_DEP_1)
	v_and_b32_e32 v40, 0xffff, v40
	v_lshrrev_b32_e32 v40, s49, v40
	s_delay_alu instid0(VALU_DEP_1) | instskip(NEXT) | instid1(VALU_DEP_1)
	v_and_b32_e32 v40, s48, v40
	v_lshl_or_b32 v40, v40, 4, v83
	ds_add_u32 v40, v97
	s_or_b32 exec_lo, exec_lo, s11
	s_delay_alu instid0(SALU_CYCLE_1)
	s_mov_b32 s11, exec_lo
	v_cmpx_gt_u32_e64 s10, v70
	s_cbranch_execz .LBB1038_674
.LBB1038_690:                           ;   in Loop: Header=BB1038_646 Depth=2
	v_xor_b32_e32 v40, 0xffff8000, v34
	s_delay_alu instid0(VALU_DEP_1) | instskip(NEXT) | instid1(VALU_DEP_1)
	v_and_b32_e32 v40, 0xffff, v40
	v_lshrrev_b32_e32 v40, s49, v40
	s_delay_alu instid0(VALU_DEP_1) | instskip(NEXT) | instid1(VALU_DEP_1)
	v_and_b32_e32 v40, s48, v40
	v_lshl_or_b32 v40, v40, 4, v83
	ds_add_u32 v40, v97
	s_or_b32 exec_lo, exec_lo, s11
	s_delay_alu instid0(SALU_CYCLE_1)
	s_mov_b32 s11, exec_lo
	v_cmpx_gt_u32_e64 s10, v71
	s_cbranch_execz .LBB1038_675
.LBB1038_691:                           ;   in Loop: Header=BB1038_646 Depth=2
	v_xor_b32_e32 v40, 0xffff8000, v33
	s_delay_alu instid0(VALU_DEP_1) | instskip(NEXT) | instid1(VALU_DEP_1)
	v_and_b32_e32 v40, 0xffff, v40
	v_lshrrev_b32_e32 v40, s49, v40
	s_delay_alu instid0(VALU_DEP_1) | instskip(NEXT) | instid1(VALU_DEP_1)
	v_and_b32_e32 v40, s48, v40
	v_lshl_or_b32 v40, v40, 4, v83
	ds_add_u32 v40, v97
	s_or_b32 exec_lo, exec_lo, s11
	s_delay_alu instid0(SALU_CYCLE_1)
	s_mov_b32 s11, exec_lo
	v_cmpx_gt_u32_e64 s10, v72
	s_cbranch_execz .LBB1038_676
.LBB1038_692:                           ;   in Loop: Header=BB1038_646 Depth=2
	v_xor_b32_e32 v40, 0xffff8000, v32
	s_delay_alu instid0(VALU_DEP_1) | instskip(NEXT) | instid1(VALU_DEP_1)
	v_and_b32_e32 v40, 0xffff, v40
	v_lshrrev_b32_e32 v40, s49, v40
	s_delay_alu instid0(VALU_DEP_1) | instskip(NEXT) | instid1(VALU_DEP_1)
	v_and_b32_e32 v40, s48, v40
	v_lshl_or_b32 v40, v40, 4, v83
	ds_add_u32 v40, v97
	s_or_b32 exec_lo, exec_lo, s11
	s_delay_alu instid0(SALU_CYCLE_1)
	s_mov_b32 s11, exec_lo
	v_cmpx_gt_u32_e64 s10, v73
	s_cbranch_execz .LBB1038_677
.LBB1038_693:                           ;   in Loop: Header=BB1038_646 Depth=2
	v_xor_b32_e32 v40, 0xffff8000, v31
	s_delay_alu instid0(VALU_DEP_1) | instskip(NEXT) | instid1(VALU_DEP_1)
	v_and_b32_e32 v40, 0xffff, v40
	v_lshrrev_b32_e32 v40, s49, v40
	s_delay_alu instid0(VALU_DEP_1) | instskip(NEXT) | instid1(VALU_DEP_1)
	v_and_b32_e32 v40, s48, v40
	v_lshl_or_b32 v40, v40, 4, v83
	ds_add_u32 v40, v97
	s_or_b32 exec_lo, exec_lo, s11
	s_delay_alu instid0(SALU_CYCLE_1)
	s_mov_b32 s11, exec_lo
	v_cmpx_gt_u32_e64 s10, v74
	s_cbranch_execz .LBB1038_678
.LBB1038_694:                           ;   in Loop: Header=BB1038_646 Depth=2
	v_xor_b32_e32 v40, 0xffff8000, v30
	s_delay_alu instid0(VALU_DEP_1) | instskip(NEXT) | instid1(VALU_DEP_1)
	v_and_b32_e32 v40, 0xffff, v40
	v_lshrrev_b32_e32 v40, s49, v40
	s_delay_alu instid0(VALU_DEP_1) | instskip(NEXT) | instid1(VALU_DEP_1)
	v_and_b32_e32 v40, s48, v40
	v_lshl_or_b32 v40, v40, 4, v83
	ds_add_u32 v40, v97
	s_or_b32 exec_lo, exec_lo, s11
	s_delay_alu instid0(SALU_CYCLE_1)
	s_mov_b32 s11, exec_lo
	v_cmpx_gt_u32_e64 s10, v75
	s_cbranch_execz .LBB1038_679
.LBB1038_695:                           ;   in Loop: Header=BB1038_646 Depth=2
	v_xor_b32_e32 v40, 0xffff8000, v29
	s_delay_alu instid0(VALU_DEP_1) | instskip(NEXT) | instid1(VALU_DEP_1)
	v_and_b32_e32 v40, 0xffff, v40
	v_lshrrev_b32_e32 v40, s49, v40
	s_delay_alu instid0(VALU_DEP_1) | instskip(NEXT) | instid1(VALU_DEP_1)
	v_and_b32_e32 v40, s48, v40
	v_lshl_or_b32 v40, v40, 4, v83
	ds_add_u32 v40, v97
	s_or_b32 exec_lo, exec_lo, s11
	s_delay_alu instid0(SALU_CYCLE_1)
	s_mov_b32 s11, exec_lo
	v_cmpx_gt_u32_e64 s10, v76
	s_cbranch_execz .LBB1038_680
.LBB1038_696:                           ;   in Loop: Header=BB1038_646 Depth=2
	v_xor_b32_e32 v40, 0xffff8000, v28
	s_delay_alu instid0(VALU_DEP_1) | instskip(NEXT) | instid1(VALU_DEP_1)
	v_and_b32_e32 v40, 0xffff, v40
	v_lshrrev_b32_e32 v40, s49, v40
	s_delay_alu instid0(VALU_DEP_1) | instskip(NEXT) | instid1(VALU_DEP_1)
	v_and_b32_e32 v40, s48, v40
	v_lshl_or_b32 v40, v40, 4, v83
	ds_add_u32 v40, v97
	s_or_b32 exec_lo, exec_lo, s11
	s_delay_alu instid0(SALU_CYCLE_1)
	s_mov_b32 s11, exec_lo
	v_cmpx_gt_u32_e64 s10, v77
	s_cbranch_execz .LBB1038_681
.LBB1038_697:                           ;   in Loop: Header=BB1038_646 Depth=2
	v_xor_b32_e32 v40, 0xffff8000, v27
	s_delay_alu instid0(VALU_DEP_1) | instskip(NEXT) | instid1(VALU_DEP_1)
	v_and_b32_e32 v40, 0xffff, v40
	v_lshrrev_b32_e32 v40, s49, v40
	s_delay_alu instid0(VALU_DEP_1) | instskip(NEXT) | instid1(VALU_DEP_1)
	v_and_b32_e32 v40, s48, v40
	v_lshl_or_b32 v40, v40, 4, v83
	ds_add_u32 v40, v97
	s_or_b32 exec_lo, exec_lo, s11
	s_delay_alu instid0(SALU_CYCLE_1)
	s_mov_b32 s11, exec_lo
	v_cmpx_gt_u32_e64 s10, v78
	s_cbranch_execz .LBB1038_682
.LBB1038_698:                           ;   in Loop: Header=BB1038_646 Depth=2
	v_xor_b32_e32 v40, 0xffff8000, v26
	s_delay_alu instid0(VALU_DEP_1) | instskip(NEXT) | instid1(VALU_DEP_1)
	v_and_b32_e32 v40, 0xffff, v40
	v_lshrrev_b32_e32 v40, s49, v40
	s_delay_alu instid0(VALU_DEP_1) | instskip(NEXT) | instid1(VALU_DEP_1)
	v_and_b32_e32 v40, s48, v40
	v_lshl_or_b32 v40, v40, 4, v83
	ds_add_u32 v40, v97
	s_or_b32 exec_lo, exec_lo, s11
	s_delay_alu instid0(SALU_CYCLE_1)
	s_mov_b32 s11, exec_lo
	v_cmpx_gt_u32_e64 s10, v79
	s_cbranch_execz .LBB1038_683
.LBB1038_699:                           ;   in Loop: Header=BB1038_646 Depth=2
	v_xor_b32_e32 v40, 0xffff8000, v25
	s_delay_alu instid0(VALU_DEP_1) | instskip(NEXT) | instid1(VALU_DEP_1)
	v_and_b32_e32 v40, 0xffff, v40
	v_lshrrev_b32_e32 v40, s49, v40
	s_delay_alu instid0(VALU_DEP_1) | instskip(NEXT) | instid1(VALU_DEP_1)
	v_and_b32_e32 v40, s48, v40
	v_lshl_or_b32 v40, v40, 4, v83
	ds_add_u32 v40, v97
	s_or_b32 exec_lo, exec_lo, s11
	s_delay_alu instid0(SALU_CYCLE_1)
	s_mov_b32 s11, exec_lo
	v_cmpx_gt_u32_e64 s10, v80
	s_cbranch_execz .LBB1038_684
.LBB1038_700:                           ;   in Loop: Header=BB1038_646 Depth=2
	v_xor_b32_e32 v40, 0xffff8000, v24
	s_delay_alu instid0(VALU_DEP_1) | instskip(NEXT) | instid1(VALU_DEP_1)
	v_and_b32_e32 v40, 0xffff, v40
	v_lshrrev_b32_e32 v40, s49, v40
	s_delay_alu instid0(VALU_DEP_1) | instskip(NEXT) | instid1(VALU_DEP_1)
	v_and_b32_e32 v40, s48, v40
	v_lshl_or_b32 v40, v40, 4, v83
	ds_add_u32 v40, v97
	s_or_b32 exec_lo, exec_lo, s11
	v_cmp_gt_u32_e32 vcc_lo, s10, v81
	s_and_saveexec_b32 s10, vcc_lo
	s_cbranch_execz .LBB1038_645
.LBB1038_701:                           ;   in Loop: Header=BB1038_646 Depth=2
	v_xor_b32_e32 v40, 0xffff8000, v23
	s_delay_alu instid0(VALU_DEP_1) | instskip(NEXT) | instid1(VALU_DEP_1)
	v_and_b32_e32 v40, 0xffff, v40
	v_lshrrev_b32_e32 v40, s49, v40
	s_delay_alu instid0(VALU_DEP_1) | instskip(NEXT) | instid1(VALU_DEP_1)
	v_and_b32_e32 v40, s48, v40
	v_lshl_or_b32 v40, v40, 4, v83
	ds_add_u32 v40, v97
	s_branch .LBB1038_645
.LBB1038_702:                           ;   in Loop: Header=BB1038_646 Depth=2
	global_load_u16 v39, v2, s[10:11] scale_offset
	s_wait_xcnt 0x0
	s_or_b32 exec_lo, exec_lo, s13
	s_delay_alu instid0(SALU_CYCLE_1)
	s_mov_b32 s13, exec_lo
	v_cmpx_gt_u32_e64 s9, v66
	s_cbranch_execz .LBB1038_651
.LBB1038_703:                           ;   in Loop: Header=BB1038_646 Depth=2
	global_load_u16 v38, v2, s[10:11] offset:512 scale_offset
	s_wait_xcnt 0x0
	s_or_b32 exec_lo, exec_lo, s13
	s_delay_alu instid0(SALU_CYCLE_1)
	s_mov_b32 s13, exec_lo
	v_cmpx_gt_u32_e64 s9, v67
	s_cbranch_execz .LBB1038_652
.LBB1038_704:                           ;   in Loop: Header=BB1038_646 Depth=2
	global_load_u16 v37, v2, s[10:11] offset:1024 scale_offset
	s_wait_xcnt 0x0
	s_or_b32 exec_lo, exec_lo, s13
	s_delay_alu instid0(SALU_CYCLE_1)
	s_mov_b32 s13, exec_lo
	v_cmpx_gt_u32_e64 s9, v68
	s_cbranch_execz .LBB1038_653
.LBB1038_705:                           ;   in Loop: Header=BB1038_646 Depth=2
	global_load_u16 v36, v2, s[10:11] offset:1536 scale_offset
	s_wait_xcnt 0x0
	s_or_b32 exec_lo, exec_lo, s13
	s_delay_alu instid0(SALU_CYCLE_1)
	s_mov_b32 s13, exec_lo
	v_cmpx_gt_u32_e64 s9, v69
	s_cbranch_execz .LBB1038_654
.LBB1038_706:                           ;   in Loop: Header=BB1038_646 Depth=2
	global_load_u16 v35, v2, s[10:11] offset:2048 scale_offset
	s_wait_xcnt 0x0
	s_or_b32 exec_lo, exec_lo, s13
	s_delay_alu instid0(SALU_CYCLE_1)
	s_mov_b32 s13, exec_lo
	v_cmpx_gt_u32_e64 s9, v70
	s_cbranch_execz .LBB1038_655
.LBB1038_707:                           ;   in Loop: Header=BB1038_646 Depth=2
	global_load_u16 v34, v2, s[10:11] offset:2560 scale_offset
	s_wait_xcnt 0x0
	s_or_b32 exec_lo, exec_lo, s13
	s_delay_alu instid0(SALU_CYCLE_1)
	s_mov_b32 s13, exec_lo
	v_cmpx_gt_u32_e64 s9, v71
	s_cbranch_execz .LBB1038_656
.LBB1038_708:                           ;   in Loop: Header=BB1038_646 Depth=2
	global_load_u16 v33, v2, s[10:11] offset:3072 scale_offset
	s_wait_xcnt 0x0
	s_or_b32 exec_lo, exec_lo, s13
	s_delay_alu instid0(SALU_CYCLE_1)
	s_mov_b32 s13, exec_lo
	v_cmpx_gt_u32_e64 s9, v72
	s_cbranch_execz .LBB1038_657
.LBB1038_709:                           ;   in Loop: Header=BB1038_646 Depth=2
	global_load_u16 v32, v2, s[10:11] offset:3584 scale_offset
	s_wait_xcnt 0x0
	s_or_b32 exec_lo, exec_lo, s13
	s_delay_alu instid0(SALU_CYCLE_1)
	s_mov_b32 s13, exec_lo
	v_cmpx_gt_u32_e64 s9, v73
	s_cbranch_execz .LBB1038_658
.LBB1038_710:                           ;   in Loop: Header=BB1038_646 Depth=2
	global_load_u16 v31, v2, s[10:11] offset:4096 scale_offset
	s_wait_xcnt 0x0
	s_or_b32 exec_lo, exec_lo, s13
	s_delay_alu instid0(SALU_CYCLE_1)
	s_mov_b32 s13, exec_lo
	v_cmpx_gt_u32_e64 s9, v74
	s_cbranch_execz .LBB1038_659
.LBB1038_711:                           ;   in Loop: Header=BB1038_646 Depth=2
	global_load_u16 v30, v2, s[10:11] offset:4608 scale_offset
	s_wait_xcnt 0x0
	s_or_b32 exec_lo, exec_lo, s13
	s_delay_alu instid0(SALU_CYCLE_1)
	s_mov_b32 s13, exec_lo
	v_cmpx_gt_u32_e64 s9, v75
	s_cbranch_execz .LBB1038_660
.LBB1038_712:                           ;   in Loop: Header=BB1038_646 Depth=2
	global_load_u16 v29, v2, s[10:11] offset:5120 scale_offset
	s_wait_xcnt 0x0
	s_or_b32 exec_lo, exec_lo, s13
	s_delay_alu instid0(SALU_CYCLE_1)
	s_mov_b32 s13, exec_lo
	v_cmpx_gt_u32_e64 s9, v76
	s_cbranch_execz .LBB1038_661
.LBB1038_713:                           ;   in Loop: Header=BB1038_646 Depth=2
	global_load_u16 v28, v2, s[10:11] offset:5632 scale_offset
	s_wait_xcnt 0x0
	s_or_b32 exec_lo, exec_lo, s13
	s_delay_alu instid0(SALU_CYCLE_1)
	s_mov_b32 s13, exec_lo
	v_cmpx_gt_u32_e64 s9, v77
	s_cbranch_execz .LBB1038_662
.LBB1038_714:                           ;   in Loop: Header=BB1038_646 Depth=2
	global_load_u16 v27, v2, s[10:11] offset:6144 scale_offset
	s_wait_xcnt 0x0
	s_or_b32 exec_lo, exec_lo, s13
	s_delay_alu instid0(SALU_CYCLE_1)
	s_mov_b32 s13, exec_lo
	v_cmpx_gt_u32_e64 s9, v78
	s_cbranch_execz .LBB1038_663
.LBB1038_715:                           ;   in Loop: Header=BB1038_646 Depth=2
	global_load_u16 v26, v2, s[10:11] offset:6656 scale_offset
	s_wait_xcnt 0x0
	s_or_b32 exec_lo, exec_lo, s13
	s_delay_alu instid0(SALU_CYCLE_1)
	s_mov_b32 s13, exec_lo
	v_cmpx_gt_u32_e64 s9, v79
	s_cbranch_execz .LBB1038_664
.LBB1038_716:                           ;   in Loop: Header=BB1038_646 Depth=2
	global_load_u16 v25, v2, s[10:11] offset:7168 scale_offset
	s_wait_xcnt 0x0
	s_or_b32 exec_lo, exec_lo, s13
	s_delay_alu instid0(SALU_CYCLE_1)
	s_mov_b32 s13, exec_lo
	v_cmpx_gt_u32_e64 s9, v80
	s_cbranch_execz .LBB1038_665
.LBB1038_717:                           ;   in Loop: Header=BB1038_646 Depth=2
	global_load_u16 v24, v2, s[10:11] offset:7680 scale_offset
	s_wait_xcnt 0x0
	s_or_b32 exec_lo, exec_lo, s13
	s_delay_alu instid0(SALU_CYCLE_1)
	s_mov_b32 s13, exec_lo
	v_cmpx_gt_u32_e64 s9, v81
	s_cbranch_execnz .LBB1038_666
	s_branch .LBB1038_667
.LBB1038_718:                           ;   in Loop: Header=BB1038_20 Depth=1
	v_mov_b32_e32 v23, 0
	s_wait_dscnt 0x0
	s_barrier_signal -1
	s_barrier_wait -1
	s_and_saveexec_b32 s9, s0
	s_cbranch_execz .LBB1038_720
; %bb.719:                              ;   in Loop: Header=BB1038_20 Depth=1
	ds_load_2addr_b64 v[24:27], v84 offset1:1
	s_wait_dscnt 0x0
	v_add_nc_u32_e32 v23, v25, v24
	s_delay_alu instid0(VALU_DEP_1)
	v_add3_u32 v23, v23, v26, v27
.LBB1038_720:                           ;   in Loop: Header=BB1038_20 Depth=1
	s_or_b32 exec_lo, exec_lo, s9
	s_delay_alu instid0(VALU_DEP_1)
	v_mov_b32_dpp v24, v23 row_shr:1 row_mask:0xf bank_mask:0xf
	v_cmp_eq_u32_e64 s9, 0, v98
	v_cmp_lt_u32_e64 s10, 1, v98
	v_cmp_lt_u32_e64 s11, 3, v98
	;; [unrolled: 1-line block ×3, first 2 shown]
	v_cmp_eq_u32_e64 s13, 0, v100
	v_cndmask_b32_e64 v24, v24, 0, s9
	s_delay_alu instid0(VALU_DEP_1) | instskip(NEXT) | instid1(VALU_DEP_1)
	v_add_nc_u32_e32 v23, v24, v23
	v_mov_b32_dpp v24, v23 row_shr:2 row_mask:0xf bank_mask:0xf
	s_delay_alu instid0(VALU_DEP_1) | instskip(NEXT) | instid1(VALU_DEP_1)
	v_cndmask_b32_e64 v24, 0, v24, s10
	v_add_nc_u32_e32 v23, v23, v24
	s_delay_alu instid0(VALU_DEP_1) | instskip(NEXT) | instid1(VALU_DEP_1)
	v_mov_b32_dpp v24, v23 row_shr:4 row_mask:0xf bank_mask:0xf
	v_cndmask_b32_e64 v24, 0, v24, s11
	s_delay_alu instid0(VALU_DEP_1) | instskip(NEXT) | instid1(VALU_DEP_1)
	v_add_nc_u32_e32 v23, v23, v24
	v_mov_b32_dpp v24, v23 row_shr:8 row_mask:0xf bank_mask:0xf
	s_delay_alu instid0(VALU_DEP_1) | instskip(NEXT) | instid1(VALU_DEP_1)
	v_cndmask_b32_e64 v24, 0, v24, s12
	v_add_nc_u32_e32 v23, v23, v24
	ds_swizzle_b32 v24, v23 offset:swizzle(BROADCAST,32,15)
	s_wait_dscnt 0x0
	v_and_b32_e32 v24, v99, v24
	s_delay_alu instid0(VALU_DEP_1)
	v_add_nc_u32_e32 v23, v23, v24
	s_and_saveexec_b32 s14, s1
; %bb.721:                              ;   in Loop: Header=BB1038_20 Depth=1
	ds_store_b32 v85, v23
; %bb.722:                              ;   in Loop: Header=BB1038_20 Depth=1
	s_or_b32 exec_lo, exec_lo, s14
	s_wait_dscnt 0x0
	s_barrier_signal -1
	s_barrier_wait -1
	s_and_saveexec_b32 s14, s4
	s_cbranch_execz .LBB1038_724
; %bb.723:                              ;   in Loop: Header=BB1038_20 Depth=1
	ds_load_b32 v24, v86
	v_cmp_ne_u32_e32 vcc_lo, 0, v101
	s_wait_dscnt 0x0
	v_mov_b32_dpp v25, v24 row_shr:1 row_mask:0xf bank_mask:0xf
	s_delay_alu instid0(VALU_DEP_1) | instskip(SKIP_1) | instid1(VALU_DEP_2)
	v_cndmask_b32_e32 v25, 0, v25, vcc_lo
	v_cmp_lt_u32_e32 vcc_lo, 1, v101
	v_add_nc_u32_e32 v24, v25, v24
	s_delay_alu instid0(VALU_DEP_1) | instskip(NEXT) | instid1(VALU_DEP_1)
	v_mov_b32_dpp v25, v24 row_shr:2 row_mask:0xf bank_mask:0xf
	v_cndmask_b32_e32 v25, 0, v25, vcc_lo
	s_delay_alu instid0(VALU_DEP_1)
	v_add_nc_u32_e32 v24, v24, v25
	ds_store_b32 v86, v24
.LBB1038_724:                           ;   in Loop: Header=BB1038_20 Depth=1
	s_or_b32 exec_lo, exec_lo, s14
	v_mov_b32_e32 v24, 0
	s_wait_dscnt 0x0
	s_barrier_signal -1
	s_barrier_wait -1
	s_and_saveexec_b32 s14, s5
; %bb.725:                              ;   in Loop: Header=BB1038_20 Depth=1
	ds_load_b32 v24, v87
; %bb.726:                              ;   in Loop: Header=BB1038_20 Depth=1
	s_or_b32 exec_lo, exec_lo, s14
	v_cmp_gt_i32_e32 vcc_lo, 0, v103
	s_wait_dscnt 0x0
	s_barrier_signal -1
	s_barrier_wait -1
	v_dual_cndmask_b32 v25, v103, v96, vcc_lo :: v_dual_add_nc_u32 v23, v24, v23
	s_delay_alu instid0(VALU_DEP_1)
	v_lshlrev_b32_e32 v121, 2, v25
	ds_bpermute_b32 v23, v121, v23
	s_and_saveexec_b32 s14, s0
	s_cbranch_execz .LBB1038_728
; %bb.727:                              ;   in Loop: Header=BB1038_20 Depth=1
	s_wait_dscnt 0x0
	v_cndmask_b32_e64 v23, v23, v24, s8
	s_delay_alu instid0(VALU_DEP_1)
	v_add_nc_u32_e32 v23, s55, v23
	ds_store_b32 v3, v23
.LBB1038_728:                           ;   in Loop: Header=BB1038_20 Depth=1
	s_or_b32 exec_lo, exec_lo, s14
	s_load_b64 s[14:15], s[52:53], 0x0
	s_mov_b32 s58, s57
                                        ; implicit-def: $vgpr30_vgpr31
                                        ; implicit-def: $vgpr32_vgpr33
                                        ; implicit-def: $vgpr34_vgpr35
                                        ; implicit-def: $vgpr36_vgpr37
                                        ; implicit-def: $vgpr38_vgpr39
                                        ; implicit-def: $vgpr40_vgpr41
                                        ; implicit-def: $vgpr42_vgpr43
                                        ; implicit-def: $vgpr44_vgpr45
                                        ; implicit-def: $vgpr46_vgpr47
                                        ; implicit-def: $vgpr48_vgpr49
                                        ; implicit-def: $vgpr50_vgpr51
                                        ; implicit-def: $vgpr52_vgpr53
                                        ; implicit-def: $vgpr54_vgpr55
                                        ; implicit-def: $vgpr56_vgpr57
                                        ; implicit-def: $vgpr58_vgpr59
                                        ; implicit-def: $vgpr60_vgpr61
                                        ; implicit-def: $vgpr122
                                        ; implicit-def: $vgpr123
                                        ; implicit-def: $vgpr124
                                        ; implicit-def: $vgpr125
                                        ; implicit-def: $vgpr126
                                        ; implicit-def: $vgpr127
                                        ; implicit-def: $vgpr128
                                        ; implicit-def: $vgpr129
                                        ; implicit-def: $vgpr130
                                        ; implicit-def: $vgpr131
                                        ; implicit-def: $vgpr132
                                        ; implicit-def: $vgpr133
                                        ; implicit-def: $vgpr134
                                        ; implicit-def: $vgpr135
                                        ; implicit-def: $vgpr136
                                        ; implicit-def: $vgpr138
                                        ; implicit-def: $vgpr139
                                        ; implicit-def: $vgpr137
                                        ; implicit-def: $vgpr140
	s_wait_kmcnt 0x0
	s_cmp_lt_u32 s51, s14
	s_cselect_b32 s34, 12, 18
	s_cmp_lt_u32 s42, s15
	s_mov_b32 s15, s35
	s_cselect_b32 s14, 14, 20
	s_delay_alu instid0(SALU_CYCLE_1)
	s_add_nc_u64 s[14:15], s[52:53], s[14:15]
	s_load_u16 s16, s[14:15], 0x0
	s_wait_xcnt 0x0
	s_add_nc_u64 s[14:15], s[52:53], s[34:35]
	s_mov_b32 s34, s55
	s_load_u16 s14, s[14:15], 0x0
	s_wait_xcnt 0x0
	v_cmp_lt_u32_e64 s15, 1, v104
	s_wait_dscnt 0x0
	s_wait_kmcnt 0x0
	v_mad_u32_u24 v23, v88, s16, v90
	v_cmp_lt_u32_e64 s16, 3, v104
	s_delay_alu instid0(VALU_DEP_2) | instskip(SKIP_2) | instid1(VALU_DEP_3)
	v_mad_u32 v24, v23, s14, v2
	v_mov_b32_e32 v23, v5
	v_cmp_eq_u32_e64 s14, 0, v104
	v_lshrrev_b32_e32 v28, 3, v24
	v_add_nc_u64_e32 v[24:25], v[18:19], v[4:5]
	s_delay_alu instid0(VALU_DEP_4) | instskip(NEXT) | instid1(VALU_DEP_3)
	v_add_nc_u64_e32 v[26:27], v[20:21], v[22:23]
	v_and_b32_e32 v23, 0x1ffffffc, v28
                                        ; implicit-def: $vgpr28_vgpr29
	s_branch .LBB1038_730
.LBB1038_729:                           ;   in Loop: Header=BB1038_730 Depth=2
	s_or_b32 exec_lo, exec_lo, s17
	s_addk_co_i32 s58, 0xef00
	s_cmp_lt_u32 s59, s54
	s_mov_b32 s34, s59
	s_cbranch_scc0 .LBB1038_952
.LBB1038_730:                           ;   Parent Loop BB1038_20 Depth=1
                                        ; =>  This Inner Loop Header: Depth=2
	s_add_co_i32 s59, s34, 0x1100
	s_delay_alu instid0(SALU_CYCLE_1)
	s_cmp_gt_u32 s59, s54
	s_cbranch_scc1 .LBB1038_732
; %bb.731:                              ;   in Loop: Header=BB1038_730 Depth=2
	s_delay_alu instid0(VALU_DEP_2)
	v_lshl_add_u64 v[62:63], s[34:35], 1, v[26:27]
	s_mov_b32 s17, -1
	s_clause 0xf
	global_load_u16 v143, v[62:63], off
	global_load_u16 v145, v[62:63], off offset:64
	global_load_u16 v147, v[62:63], off offset:128
	;; [unrolled: 1-line block ×15, first 2 shown]
	s_movk_i32 s18, 0x1100
	s_cbranch_execz .LBB1038_733
	s_branch .LBB1038_766
.LBB1038_732:                           ;   in Loop: Header=BB1038_730 Depth=2
	s_mov_b32 s17, 0
                                        ; implicit-def: $vgpr143
                                        ; implicit-def: $vgpr145
                                        ; implicit-def: $vgpr147
                                        ; implicit-def: $vgpr151
                                        ; implicit-def: $vgpr155
                                        ; implicit-def: $vgpr160
                                        ; implicit-def: $vgpr166
                                        ; implicit-def: $vgpr171
                                        ; implicit-def: $vgpr176
                                        ; implicit-def: $vgpr174
                                        ; implicit-def: $vgpr169
                                        ; implicit-def: $vgpr164
                                        ; implicit-def: $vgpr161
                                        ; implicit-def: $vgpr156
                                        ; implicit-def: $vgpr65
                                        ; implicit-def: $vgpr64
	s_movk_i32 s18, 0x1100
.LBB1038_733:                           ;   in Loop: Header=BB1038_730 Depth=2
	s_wait_xcnt 0x0
	v_lshl_add_u64 v[62:63], s[34:35], 1, v[26:27]
	s_wait_loadcnt 0xe
	v_mov_b32_e32 v145, 0x7fff
	v_mov_b32_e32 v143, 0x7fff
	s_mov_b32 s17, exec_lo
	v_cmpx_gt_u32_e64 s58, v102
	s_cbranch_execz .LBB1038_735
; %bb.734:                              ;   in Loop: Header=BB1038_730 Depth=2
	global_load_u16 v143, v[62:63], off
.LBB1038_735:                           ;   in Loop: Header=BB1038_730 Depth=2
	s_wait_xcnt 0x0
	s_or_b32 exec_lo, exec_lo, s17
	s_delay_alu instid0(SALU_CYCLE_1)
	s_mov_b32 s17, exec_lo
	v_cmpx_gt_u32_e64 s58, v105
	s_cbranch_execz .LBB1038_737
; %bb.736:                              ;   in Loop: Header=BB1038_730 Depth=2
	global_load_u16 v145, v[62:63], off offset:64
.LBB1038_737:                           ;   in Loop: Header=BB1038_730 Depth=2
	s_wait_xcnt 0x0
	s_or_b32 exec_lo, exec_lo, s17
	s_wait_loadcnt 0xc
	v_mov_b32_e32 v151, 0x7fff
	v_mov_b32_e32 v147, 0x7fff
	s_mov_b32 s17, exec_lo
	v_cmpx_gt_u32_e64 s58, v106
	s_cbranch_execz .LBB1038_739
; %bb.738:                              ;   in Loop: Header=BB1038_730 Depth=2
	global_load_u16 v147, v[62:63], off offset:128
.LBB1038_739:                           ;   in Loop: Header=BB1038_730 Depth=2
	s_wait_xcnt 0x0
	s_or_b32 exec_lo, exec_lo, s17
	s_delay_alu instid0(SALU_CYCLE_1)
	s_mov_b32 s17, exec_lo
	v_cmpx_gt_u32_e64 s58, v107
	s_cbranch_execz .LBB1038_741
; %bb.740:                              ;   in Loop: Header=BB1038_730 Depth=2
	global_load_u16 v151, v[62:63], off offset:192
.LBB1038_741:                           ;   in Loop: Header=BB1038_730 Depth=2
	s_wait_xcnt 0x0
	s_or_b32 exec_lo, exec_lo, s17
	s_wait_loadcnt 0xa
	v_dual_mov_b32 v160, 0x7fff :: v_dual_mov_b32 v155, 0x7fff
	s_mov_b32 s17, exec_lo
	v_cmpx_gt_u32_e64 s58, v108
	s_cbranch_execz .LBB1038_743
; %bb.742:                              ;   in Loop: Header=BB1038_730 Depth=2
	global_load_u16 v155, v[62:63], off offset:256
.LBB1038_743:                           ;   in Loop: Header=BB1038_730 Depth=2
	s_wait_xcnt 0x0
	s_or_b32 exec_lo, exec_lo, s17
	s_delay_alu instid0(SALU_CYCLE_1)
	s_mov_b32 s17, exec_lo
	v_cmpx_gt_u32_e64 s58, v109
	s_cbranch_execz .LBB1038_745
; %bb.744:                              ;   in Loop: Header=BB1038_730 Depth=2
	global_load_u16 v160, v[62:63], off offset:320
.LBB1038_745:                           ;   in Loop: Header=BB1038_730 Depth=2
	s_wait_xcnt 0x0
	s_or_b32 exec_lo, exec_lo, s17
	s_wait_loadcnt 0x8
	v_dual_mov_b32 v171, 0x7fff :: v_dual_mov_b32 v166, 0x7fff
	s_mov_b32 s17, exec_lo
	v_cmpx_gt_u32_e64 s58, v110
	s_cbranch_execz .LBB1038_747
; %bb.746:                              ;   in Loop: Header=BB1038_730 Depth=2
	global_load_u16 v166, v[62:63], off offset:384
.LBB1038_747:                           ;   in Loop: Header=BB1038_730 Depth=2
	s_wait_xcnt 0x0
	s_or_b32 exec_lo, exec_lo, s17
	s_delay_alu instid0(SALU_CYCLE_1)
	s_mov_b32 s17, exec_lo
	v_cmpx_gt_u32_e64 s58, v111
	s_cbranch_execz .LBB1038_749
; %bb.748:                              ;   in Loop: Header=BB1038_730 Depth=2
	global_load_u16 v171, v[62:63], off offset:448
.LBB1038_749:                           ;   in Loop: Header=BB1038_730 Depth=2
	s_wait_xcnt 0x0
	s_or_b32 exec_lo, exec_lo, s17
	s_wait_loadcnt 0x6
	v_mov_b32_e32 v174, 0x7fff
	v_mov_b32_e32 v176, 0x7fff
	s_mov_b32 s17, exec_lo
	v_cmpx_gt_u32_e64 s58, v112
	s_cbranch_execz .LBB1038_751
; %bb.750:                              ;   in Loop: Header=BB1038_730 Depth=2
	global_load_u16 v176, v[62:63], off offset:512
.LBB1038_751:                           ;   in Loop: Header=BB1038_730 Depth=2
	s_wait_xcnt 0x0
	s_or_b32 exec_lo, exec_lo, s17
	s_delay_alu instid0(SALU_CYCLE_1)
	s_mov_b32 s17, exec_lo
	v_cmpx_gt_u32_e64 s58, v113
	s_cbranch_execz .LBB1038_753
; %bb.752:                              ;   in Loop: Header=BB1038_730 Depth=2
	global_load_u16 v174, v[62:63], off offset:576
.LBB1038_753:                           ;   in Loop: Header=BB1038_730 Depth=2
	s_wait_xcnt 0x0
	s_or_b32 exec_lo, exec_lo, s17
	s_wait_loadcnt 0x4
	v_dual_mov_b32 v164, 0x7fff :: v_dual_mov_b32 v169, 0x7fff
	s_mov_b32 s17, exec_lo
	v_cmpx_gt_u32_e64 s58, v114
	s_cbranch_execz .LBB1038_755
; %bb.754:                              ;   in Loop: Header=BB1038_730 Depth=2
	global_load_u16 v169, v[62:63], off offset:640
.LBB1038_755:                           ;   in Loop: Header=BB1038_730 Depth=2
	s_wait_xcnt 0x0
	s_or_b32 exec_lo, exec_lo, s17
	s_delay_alu instid0(SALU_CYCLE_1)
	s_mov_b32 s17, exec_lo
	v_cmpx_gt_u32_e64 s58, v115
	s_cbranch_execz .LBB1038_757
; %bb.756:                              ;   in Loop: Header=BB1038_730 Depth=2
	global_load_u16 v164, v[62:63], off offset:704
.LBB1038_757:                           ;   in Loop: Header=BB1038_730 Depth=2
	s_wait_xcnt 0x0
	s_or_b32 exec_lo, exec_lo, s17
	s_wait_loadcnt 0x2
	v_dual_mov_b32 v156, 0x7fff :: v_dual_mov_b32 v161, 0x7fff
	;; [unrolled: 19-line block ×3, first 2 shown]
	s_mov_b32 s17, exec_lo
	v_cmpx_gt_u32_e64 s58, v118
	s_cbranch_execz .LBB1038_763
; %bb.762:                              ;   in Loop: Header=BB1038_730 Depth=2
	global_load_u16 v65, v[62:63], off offset:896
.LBB1038_763:                           ;   in Loop: Header=BB1038_730 Depth=2
	s_wait_xcnt 0x0
	s_or_b32 exec_lo, exec_lo, s17
	s_delay_alu instid0(SALU_CYCLE_1)
	s_mov_b32 s17, exec_lo
	v_cmpx_gt_u32_e64 s58, v119
	s_cbranch_execz .LBB1038_765
; %bb.764:                              ;   in Loop: Header=BB1038_730 Depth=2
	global_load_u16 v64, v[62:63], off offset:960
.LBB1038_765:                           ;   in Loop: Header=BB1038_730 Depth=2
	s_wait_xcnt 0x0
	s_or_b32 exec_lo, exec_lo, s17
	v_cmp_gt_u32_e64 s17, s58, v120
	s_sub_co_i32 s18, s54, s34
.LBB1038_766:                           ;   in Loop: Header=BB1038_730 Depth=2
	v_dual_mov_b32 v142, -1 :: v_dual_mov_b32 v141, s58
	s_wait_xcnt 0x0
	s_and_saveexec_b32 s19, s17
	s_cbranch_execz .LBB1038_768
; %bb.767:                              ;   in Loop: Header=BB1038_730 Depth=2
	v_lshl_add_u64 v[62:63], s[34:35], 1, v[26:27]
	v_mov_b32_e32 v141, s18
	global_load_u16 v62, v[62:63], off offset:1024
	s_wait_loadcnt 0x0
	v_xor_b32_e32 v142, 0xffff8000, v62
.LBB1038_768:                           ;   in Loop: Header=BB1038_730 Depth=2
	s_wait_xcnt 0x0
	s_or_b32 exec_lo, exec_lo, s19
	s_wait_loadcnt 0xf
	v_xor_b32_e32 v143, 0xffff8000, v143
	ds_store_2addr_b32 v89, v5, v5 offset0:136 offset1:137
	ds_store_2addr_b32 v89, v5, v5 offset0:138 offset1:139
	ds_store_b32 v89, v5 offset:560
	s_wait_loadcnt_dscnt 0x0
	s_barrier_signal -1
	s_barrier_wait -1
	v_and_b32_e32 v62, 0xffff, v143
	; wave barrier
	s_delay_alu instid0(VALU_DEP_1) | instskip(NEXT) | instid1(VALU_DEP_1)
	v_lshrrev_b32_e32 v62, s49, v62
	v_bitop3_b32 v63, v62, 1, s48 bitop3:0x80
	v_and_b32_e32 v146, s48, v62
	s_delay_alu instid0(VALU_DEP_2) | instskip(NEXT) | instid1(VALU_DEP_1)
	v_add_co_u32 v62, s17, v63, -1
	v_cndmask_b32_e64 v63, 0, 1, s17
	s_delay_alu instid0(VALU_DEP_3) | instskip(NEXT) | instid1(VALU_DEP_2)
	v_dual_lshlrev_b32 v144, 30, v146 :: v_dual_lshlrev_b32 v148, 29, v146
	v_cmp_ne_u32_e32 vcc_lo, 0, v63
	s_delay_alu instid0(VALU_DEP_2) | instskip(SKIP_1) | instid1(VALU_DEP_4)
	v_cmp_gt_i32_e64 s17, 0, v144
	v_not_b32_e32 v63, v144
	v_not_b32_e32 v144, v148
	v_cmp_gt_i32_e64 s18, 0, v148
	v_bitop3_b32 v62, vcc_lo, exec_lo, v62 bitop3:0x48
	s_delay_alu instid0(VALU_DEP_3) | instskip(SKIP_2) | instid1(VALU_DEP_3)
	v_dual_ashrrev_i32 v63, 31, v63 :: v_dual_ashrrev_i32 v144, 31, v144
	v_dual_lshlrev_b32 v149, 28, v146 :: v_dual_lshlrev_b32 v150, 27, v146
	v_dual_lshlrev_b32 v152, 26, v146 :: v_dual_lshlrev_b32 v153, 25, v146
	v_xor_b32_e32 v144, s18, v144
	s_delay_alu instid0(VALU_DEP_3)
	v_cmp_gt_i32_e64 s19, 0, v149
	v_not_b32_e32 v148, v149
	v_not_b32_e32 v149, v150
	v_cmp_gt_i32_e64 s20, 0, v150
	v_cmp_gt_i32_e64 s21, 0, v152
	v_not_b32_e32 v150, v152
	v_not_b32_e32 v152, v153
	v_dual_ashrrev_i32 v148, 31, v148 :: v_dual_ashrrev_i32 v149, 31, v149
	s_delay_alu instid0(VALU_DEP_3) | instskip(SKIP_1) | instid1(VALU_DEP_3)
	v_dual_ashrrev_i32 v150, 31, v150 :: v_dual_bitop2_b32 v63, s17, v63 bitop3:0x14
	v_cmp_gt_i32_e64 s22, 0, v153
	v_dual_ashrrev_i32 v152, 31, v152 :: v_dual_bitop2_b32 v149, s20, v149 bitop3:0x14
	s_delay_alu instid0(VALU_DEP_4) | instskip(NEXT) | instid1(VALU_DEP_4)
	v_xor_b32_e32 v148, s19, v148
	v_bitop3_b32 v62, v62, v144, v63 bitop3:0x80
	v_xor_b32_e32 v63, s21, v150
	s_delay_alu instid0(VALU_DEP_4) | instskip(NEXT) | instid1(VALU_DEP_3)
	v_xor_b32_e32 v144, s22, v152
	v_bitop3_b32 v62, v62, v149, v148 bitop3:0x80
	s_delay_alu instid0(VALU_DEP_1) | instskip(SKIP_1) | instid1(VALU_DEP_2)
	v_bitop3_b32 v62, v62, v144, v63 bitop3:0x80
	v_mul_u32_u24_e32 v63, 36, v146
	v_mbcnt_lo_u32_b32 v144, v62, 0
	v_cmp_ne_u32_e64 s17, 0, v62
	s_delay_alu instid0(VALU_DEP_3) | instskip(NEXT) | instid1(VALU_DEP_3)
	v_add_nc_u32_e32 v146, v23, v63
	v_cmp_eq_u32_e32 vcc_lo, 0, v144
	s_and_b32 s18, s17, vcc_lo
	s_delay_alu instid0(SALU_CYCLE_1)
	s_and_saveexec_b32 s17, s18
; %bb.769:                              ;   in Loop: Header=BB1038_730 Depth=2
	v_bcnt_u32_b32 v62, v62, 0
	ds_store_b32 v146, v62 offset:544
; %bb.770:                              ;   in Loop: Header=BB1038_730 Depth=2
	s_or_b32 exec_lo, exec_lo, s17
	v_xor_b32_e32 v145, 0xffff8000, v145
	; wave barrier
	s_delay_alu instid0(VALU_DEP_1) | instskip(NEXT) | instid1(VALU_DEP_1)
	v_and_b32_e32 v62, 0xffff, v145
	v_lshrrev_b32_e32 v62, s49, v62
	s_delay_alu instid0(VALU_DEP_1) | instskip(SKIP_1) | instid1(VALU_DEP_2)
	v_bitop3_b32 v63, v62, 1, s48 bitop3:0x80
	v_and_b32_e32 v150, s48, v62
	v_add_co_u32 v62, s17, v63, -1
	s_delay_alu instid0(VALU_DEP_1) | instskip(NEXT) | instid1(VALU_DEP_3)
	v_cndmask_b32_e64 v63, 0, 1, s17
	v_dual_lshlrev_b32 v148, 30, v150 :: v_dual_lshlrev_b32 v149, 29, v150
	s_delay_alu instid0(VALU_DEP_2) | instskip(NEXT) | instid1(VALU_DEP_2)
	v_cmp_ne_u32_e32 vcc_lo, 0, v63
	v_cmp_gt_i32_e64 s17, 0, v148
	v_not_b32_e32 v63, v148
	s_delay_alu instid0(VALU_DEP_4) | instskip(SKIP_2) | instid1(VALU_DEP_3)
	v_not_b32_e32 v148, v149
	v_cmp_gt_i32_e64 s18, 0, v149
	v_bitop3_b32 v62, vcc_lo, exec_lo, v62 bitop3:0x48
	v_dual_ashrrev_i32 v63, 31, v63 :: v_dual_ashrrev_i32 v148, 31, v148
	v_dual_lshlrev_b32 v152, 28, v150 :: v_dual_lshlrev_b32 v153, 27, v150
	v_dual_lshlrev_b32 v154, 26, v150 :: v_dual_lshlrev_b32 v157, 25, v150
	s_delay_alu instid0(VALU_DEP_2) | instskip(SKIP_1) | instid1(VALU_DEP_4)
	v_cmp_gt_i32_e64 s19, 0, v152
	v_not_b32_e32 v149, v152
	v_cmp_gt_i32_e64 s20, 0, v153
	v_not_b32_e32 v152, v153
	;; [unrolled: 2-line block ×3, first 2 shown]
	v_not_b32_e32 v154, v157
	v_xor_b32_e32 v63, s17, v63
	v_dual_ashrrev_i32 v149, 31, v149 :: v_dual_bitop2_b32 v148, s18, v148 bitop3:0x14
	s_delay_alu instid0(VALU_DEP_4) | instskip(NEXT) | instid1(VALU_DEP_4)
	v_dual_ashrrev_i32 v152, 31, v152 :: v_dual_ashrrev_i32 v153, 31, v153
	v_ashrrev_i32_e32 v154, 31, v154
	s_delay_alu instid0(VALU_DEP_3)
	v_bitop3_b32 v62, v62, v148, v63 bitop3:0x80
	v_mad_u32_u24 v63, v150, 36, v23
	v_cmp_gt_i32_e64 s22, 0, v157
	v_xor_b32_e32 v152, s20, v152
	v_xor_b32_e32 v153, s21, v153
	ds_load_b32 v148, v63 offset:544
	v_mul_u32_u24_e32 v63, 36, v150
	v_xor_b32_e32 v149, s19, v149
	v_xor_b32_e32 v154, s22, v154
	; wave barrier
	s_delay_alu instid0(VALU_DEP_3) | instskip(NEXT) | instid1(VALU_DEP_3)
	v_add_nc_u32_e32 v150, v23, v63
	v_bitop3_b32 v62, v62, v152, v149 bitop3:0x80
	s_delay_alu instid0(VALU_DEP_1) | instskip(NEXT) | instid1(VALU_DEP_1)
	v_bitop3_b32 v62, v62, v154, v153 bitop3:0x80
	v_mbcnt_lo_u32_b32 v149, v62, 0
	v_cmp_ne_u32_e64 s17, 0, v62
	s_delay_alu instid0(VALU_DEP_2) | instskip(SKIP_1) | instid1(SALU_CYCLE_1)
	v_cmp_eq_u32_e32 vcc_lo, 0, v149
	s_and_b32 s18, s17, vcc_lo
	s_and_saveexec_b32 s17, s18
	s_cbranch_execz .LBB1038_772
; %bb.771:                              ;   in Loop: Header=BB1038_730 Depth=2
	s_wait_dscnt 0x0
	v_bcnt_u32_b32 v62, v62, v148
	ds_store_b32 v150, v62 offset:544
.LBB1038_772:                           ;   in Loop: Header=BB1038_730 Depth=2
	s_or_b32 exec_lo, exec_lo, s17
	v_xor_b32_e32 v147, 0xffff8000, v147
	; wave barrier
	s_delay_alu instid0(VALU_DEP_1) | instskip(NEXT) | instid1(VALU_DEP_1)
	v_and_b32_e32 v62, 0xffff, v147
	v_lshrrev_b32_e32 v62, s49, v62
	s_delay_alu instid0(VALU_DEP_1) | instskip(SKIP_1) | instid1(VALU_DEP_2)
	v_bitop3_b32 v63, v62, 1, s48 bitop3:0x80
	v_and_b32_e32 v154, s48, v62
	v_add_co_u32 v62, s17, v63, -1
	s_delay_alu instid0(VALU_DEP_1) | instskip(NEXT) | instid1(VALU_DEP_3)
	v_cndmask_b32_e64 v63, 0, 1, s17
	v_dual_lshlrev_b32 v152, 30, v154 :: v_dual_lshlrev_b32 v153, 29, v154
	s_delay_alu instid0(VALU_DEP_2) | instskip(NEXT) | instid1(VALU_DEP_2)
	v_cmp_ne_u32_e32 vcc_lo, 0, v63
	v_cmp_gt_i32_e64 s17, 0, v152
	v_not_b32_e32 v63, v152
	s_delay_alu instid0(VALU_DEP_4) | instskip(SKIP_2) | instid1(VALU_DEP_3)
	v_not_b32_e32 v152, v153
	v_cmp_gt_i32_e64 s18, 0, v153
	v_bitop3_b32 v62, vcc_lo, exec_lo, v62 bitop3:0x48
	v_dual_ashrrev_i32 v63, 31, v63 :: v_dual_ashrrev_i32 v152, 31, v152
	v_dual_lshlrev_b32 v157, 28, v154 :: v_dual_lshlrev_b32 v158, 27, v154
	v_dual_lshlrev_b32 v159, 26, v154 :: v_dual_lshlrev_b32 v162, 25, v154
	s_delay_alu instid0(VALU_DEP_3) | instskip(NEXT) | instid1(VALU_DEP_3)
	v_xor_b32_e32 v63, s17, v63
	v_cmp_gt_i32_e64 s19, 0, v157
	v_not_b32_e32 v153, v157
	v_not_b32_e32 v157, v158
	v_xor_b32_e32 v152, s18, v152
	v_cmp_gt_i32_e64 s20, 0, v158
	v_cmp_gt_i32_e64 s21, 0, v159
	v_ashrrev_i32_e32 v153, 31, v153
	v_ashrrev_i32_e32 v157, 31, v157
	v_not_b32_e32 v158, v159
	v_not_b32_e32 v159, v162
	v_bitop3_b32 v62, v62, v152, v63 bitop3:0x80
	v_mad_u32_u24 v63, v154, 36, v23
	v_cmp_gt_i32_e64 s22, 0, v162
	s_delay_alu instid0(VALU_DEP_4)
	v_dual_ashrrev_i32 v158, 31, v158 :: v_dual_ashrrev_i32 v159, 31, v159
	v_xor_b32_e32 v157, s20, v157
	ds_load_b32 v152, v63 offset:544
	v_mul_u32_u24_e32 v63, 36, v154
	v_xor_b32_e32 v153, s19, v153
	v_xor_b32_e32 v158, s21, v158
	;; [unrolled: 1-line block ×3, first 2 shown]
	s_delay_alu instid0(VALU_DEP_4) | instskip(NEXT) | instid1(VALU_DEP_4)
	v_add_nc_u32_e32 v154, v23, v63
	v_bitop3_b32 v62, v62, v157, v153 bitop3:0x80
	; wave barrier
	s_delay_alu instid0(VALU_DEP_1) | instskip(NEXT) | instid1(VALU_DEP_1)
	v_bitop3_b32 v62, v62, v159, v158 bitop3:0x80
	v_mbcnt_lo_u32_b32 v153, v62, 0
	v_cmp_ne_u32_e64 s17, 0, v62
	s_delay_alu instid0(VALU_DEP_2) | instskip(SKIP_1) | instid1(SALU_CYCLE_1)
	v_cmp_eq_u32_e32 vcc_lo, 0, v153
	s_and_b32 s18, s17, vcc_lo
	s_and_saveexec_b32 s17, s18
	s_cbranch_execz .LBB1038_774
; %bb.773:                              ;   in Loop: Header=BB1038_730 Depth=2
	s_wait_dscnt 0x0
	v_bcnt_u32_b32 v62, v62, v152
	ds_store_b32 v154, v62 offset:544
.LBB1038_774:                           ;   in Loop: Header=BB1038_730 Depth=2
	s_or_b32 exec_lo, exec_lo, s17
	v_xor_b32_e32 v151, 0xffff8000, v151
	; wave barrier
	s_delay_alu instid0(VALU_DEP_1) | instskip(NEXT) | instid1(VALU_DEP_1)
	v_and_b32_e32 v62, 0xffff, v151
	v_lshrrev_b32_e32 v62, s49, v62
	s_delay_alu instid0(VALU_DEP_1) | instskip(NEXT) | instid1(VALU_DEP_1)
	v_and_b32_e32 v159, s48, v62
	v_lshlrev_b32_e32 v157, 30, v159
	v_bitop3_b32 v63, v62, 1, s48 bitop3:0x80
	s_delay_alu instid0(VALU_DEP_1) | instskip(NEXT) | instid1(VALU_DEP_1)
	v_add_co_u32 v62, s17, v63, -1
	v_cndmask_b32_e64 v63, 0, 1, s17
	s_delay_alu instid0(VALU_DEP_4) | instskip(NEXT) | instid1(VALU_DEP_2)
	v_cmp_gt_i32_e64 s17, 0, v157
	v_cmp_ne_u32_e32 vcc_lo, 0, v63
	v_not_b32_e32 v63, v157
	v_bitop3_b32 v62, vcc_lo, exec_lo, v62 bitop3:0x48
	s_delay_alu instid0(VALU_DEP_2) | instskip(SKIP_2) | instid1(VALU_DEP_3)
	v_ashrrev_i32_e32 v63, 31, v63
	v_dual_lshlrev_b32 v158, 29, v159 :: v_dual_lshlrev_b32 v162, 28, v159
	v_dual_lshlrev_b32 v163, 27, v159 :: v_dual_lshlrev_b32 v165, 26, v159
	v_xor_b32_e32 v63, s17, v63
	s_delay_alu instid0(VALU_DEP_3)
	v_not_b32_e32 v157, v158
	v_lshlrev_b32_e32 v167, 25, v159
	v_cmp_gt_i32_e64 s18, 0, v158
	v_cmp_gt_i32_e64 s19, 0, v162
	v_not_b32_e32 v158, v162
	v_not_b32_e32 v162, v163
	v_ashrrev_i32_e32 v157, 31, v157
	v_cmp_gt_i32_e64 s20, 0, v163
	v_cmp_gt_i32_e64 s21, 0, v165
	v_ashrrev_i32_e32 v158, 31, v158
	s_delay_alu instid0(VALU_DEP_4) | instskip(SKIP_3) | instid1(VALU_DEP_4)
	v_dual_ashrrev_i32 v162, 31, v162 :: v_dual_bitop2_b32 v157, s18, v157 bitop3:0x14
	v_not_b32_e32 v163, v165
	v_not_b32_e32 v165, v167
	v_cmp_gt_i32_e64 s22, 0, v167
	v_xor_b32_e32 v162, s20, v162
	v_bitop3_b32 v62, v62, v157, v63 bitop3:0x80
	v_mad_u32_u24 v63, v159, 36, v23
	v_dual_ashrrev_i32 v163, 31, v163 :: v_dual_ashrrev_i32 v165, 31, v165
	ds_load_b32 v157, v63 offset:544
	v_mul_u32_u24_e32 v63, 36, v159
	v_xor_b32_e32 v158, s19, v158
	v_xor_b32_e32 v163, s21, v163
	;; [unrolled: 1-line block ×3, first 2 shown]
	s_delay_alu instid0(VALU_DEP_4) | instskip(NEXT) | instid1(VALU_DEP_4)
	v_add_nc_u32_e32 v159, v23, v63
	v_bitop3_b32 v62, v62, v162, v158 bitop3:0x80
	; wave barrier
	s_delay_alu instid0(VALU_DEP_1) | instskip(NEXT) | instid1(VALU_DEP_1)
	v_bitop3_b32 v62, v62, v165, v163 bitop3:0x80
	v_mbcnt_lo_u32_b32 v158, v62, 0
	v_cmp_ne_u32_e64 s17, 0, v62
	s_delay_alu instid0(VALU_DEP_2) | instskip(SKIP_1) | instid1(SALU_CYCLE_1)
	v_cmp_eq_u32_e32 vcc_lo, 0, v158
	s_and_b32 s18, s17, vcc_lo
	s_and_saveexec_b32 s17, s18
	s_cbranch_execz .LBB1038_776
; %bb.775:                              ;   in Loop: Header=BB1038_730 Depth=2
	s_wait_dscnt 0x0
	v_bcnt_u32_b32 v62, v62, v157
	ds_store_b32 v159, v62 offset:544
.LBB1038_776:                           ;   in Loop: Header=BB1038_730 Depth=2
	s_or_b32 exec_lo, exec_lo, s17
	v_xor_b32_e32 v155, 0xffff8000, v155
	; wave barrier
	s_delay_alu instid0(VALU_DEP_1) | instskip(NEXT) | instid1(VALU_DEP_1)
	v_and_b32_e32 v62, 0xffff, v155
	v_lshrrev_b32_e32 v62, s49, v62
	s_delay_alu instid0(VALU_DEP_1) | instskip(NEXT) | instid1(VALU_DEP_1)
	v_and_b32_e32 v165, s48, v62
	v_lshlrev_b32_e32 v162, 30, v165
	v_bitop3_b32 v63, v62, 1, s48 bitop3:0x80
	s_delay_alu instid0(VALU_DEP_1) | instskip(NEXT) | instid1(VALU_DEP_1)
	v_add_co_u32 v62, s17, v63, -1
	v_cndmask_b32_e64 v63, 0, 1, s17
	s_delay_alu instid0(VALU_DEP_4) | instskip(NEXT) | instid1(VALU_DEP_2)
	v_cmp_gt_i32_e64 s17, 0, v162
	v_cmp_ne_u32_e32 vcc_lo, 0, v63
	v_not_b32_e32 v63, v162
	v_bitop3_b32 v62, vcc_lo, exec_lo, v62 bitop3:0x48
	s_delay_alu instid0(VALU_DEP_2) | instskip(SKIP_2) | instid1(VALU_DEP_3)
	v_dual_ashrrev_i32 v63, 31, v63 :: v_dual_lshlrev_b32 v163, 29, v165
	v_dual_lshlrev_b32 v167, 28, v165 :: v_dual_lshlrev_b32 v168, 27, v165
	v_lshlrev_b32_e32 v170, 26, v165
	v_not_b32_e32 v162, v163
	v_lshlrev_b32_e32 v172, 25, v165
	v_cmp_gt_i32_e64 s18, 0, v163
	v_cmp_gt_i32_e64 s19, 0, v167
	v_not_b32_e32 v163, v167
	v_not_b32_e32 v167, v168
	v_ashrrev_i32_e32 v162, 31, v162
	v_cmp_gt_i32_e64 s20, 0, v168
	v_cmp_gt_i32_e64 s21, 0, v170
	v_not_b32_e32 v168, v170
	v_not_b32_e32 v170, v172
	v_dual_ashrrev_i32 v163, 31, v163 :: v_dual_bitop2_b32 v162, s18, v162 bitop3:0x14
	s_delay_alu instid0(VALU_DEP_3) | instskip(NEXT) | instid1(VALU_DEP_3)
	v_dual_ashrrev_i32 v167, 31, v167 :: v_dual_ashrrev_i32 v168, 31, v168
	v_dual_ashrrev_i32 v170, 31, v170 :: v_dual_bitop2_b32 v63, s17, v63 bitop3:0x14
	v_cmp_gt_i32_e64 s22, 0, v172
	s_delay_alu instid0(VALU_DEP_4) | instskip(NEXT) | instid1(VALU_DEP_4)
	v_xor_b32_e32 v163, s19, v163
	v_xor_b32_e32 v167, s20, v167
	s_delay_alu instid0(VALU_DEP_4) | instskip(SKIP_2) | instid1(VALU_DEP_3)
	v_bitop3_b32 v62, v62, v162, v63 bitop3:0x80
	v_mad_u32_u24 v63, v165, 36, v23
	v_xor_b32_e32 v170, s22, v170
	v_bitop3_b32 v62, v62, v167, v163 bitop3:0x80
	ds_load_b32 v162, v63 offset:544
	v_mul_u32_u24_e32 v63, 36, v165
	v_xor_b32_e32 v168, s21, v168
	; wave barrier
	s_delay_alu instid0(VALU_DEP_2) | instskip(NEXT) | instid1(VALU_DEP_2)
	v_add_nc_u32_e32 v165, v23, v63
	v_bitop3_b32 v62, v62, v170, v168 bitop3:0x80
	s_delay_alu instid0(VALU_DEP_1) | instskip(SKIP_1) | instid1(VALU_DEP_2)
	v_mbcnt_lo_u32_b32 v163, v62, 0
	v_cmp_ne_u32_e64 s17, 0, v62
	v_cmp_eq_u32_e32 vcc_lo, 0, v163
	s_and_b32 s18, s17, vcc_lo
	s_delay_alu instid0(SALU_CYCLE_1)
	s_and_saveexec_b32 s17, s18
	s_cbranch_execz .LBB1038_778
; %bb.777:                              ;   in Loop: Header=BB1038_730 Depth=2
	s_wait_dscnt 0x0
	v_bcnt_u32_b32 v62, v62, v162
	ds_store_b32 v165, v62 offset:544
.LBB1038_778:                           ;   in Loop: Header=BB1038_730 Depth=2
	s_or_b32 exec_lo, exec_lo, s17
	v_xor_b32_e32 v160, 0xffff8000, v160
	; wave barrier
	s_delay_alu instid0(VALU_DEP_1) | instskip(NEXT) | instid1(VALU_DEP_1)
	v_and_b32_e32 v62, 0xffff, v160
	v_lshrrev_b32_e32 v62, s49, v62
	s_delay_alu instid0(VALU_DEP_1) | instskip(SKIP_1) | instid1(VALU_DEP_2)
	v_bitop3_b32 v63, v62, 1, s48 bitop3:0x80
	v_and_b32_e32 v170, s48, v62
	v_add_co_u32 v62, s17, v63, -1
	s_delay_alu instid0(VALU_DEP_1) | instskip(NEXT) | instid1(VALU_DEP_3)
	v_cndmask_b32_e64 v63, 0, 1, s17
	v_dual_lshlrev_b32 v167, 30, v170 :: v_dual_lshlrev_b32 v168, 29, v170
	s_delay_alu instid0(VALU_DEP_2) | instskip(NEXT) | instid1(VALU_DEP_2)
	v_cmp_ne_u32_e32 vcc_lo, 0, v63
	v_cmp_gt_i32_e64 s17, 0, v167
	v_not_b32_e32 v63, v167
	s_delay_alu instid0(VALU_DEP_4) | instskip(SKIP_2) | instid1(VALU_DEP_4)
	v_not_b32_e32 v167, v168
	v_cmp_gt_i32_e64 s18, 0, v168
	v_bitop3_b32 v62, vcc_lo, exec_lo, v62 bitop3:0x48
	v_ashrrev_i32_e32 v63, 31, v63
	s_delay_alu instid0(VALU_DEP_4) | instskip(SKIP_1) | instid1(VALU_DEP_3)
	v_dual_ashrrev_i32 v167, 31, v167 :: v_dual_lshlrev_b32 v172, 28, v170
	v_dual_lshlrev_b32 v173, 27, v170 :: v_dual_lshlrev_b32 v175, 26, v170
	v_dual_lshlrev_b32 v177, 25, v170 :: v_dual_bitop2_b32 v63, s17, v63 bitop3:0x14
	s_delay_alu instid0(VALU_DEP_3) | instskip(SKIP_1) | instid1(VALU_DEP_4)
	v_cmp_gt_i32_e64 s19, 0, v172
	v_not_b32_e32 v168, v172
	v_not_b32_e32 v172, v173
	v_xor_b32_e32 v167, s18, v167
	v_cmp_gt_i32_e64 s20, 0, v173
	v_cmp_gt_i32_e64 s21, 0, v175
	v_ashrrev_i32_e32 v168, 31, v168
	v_ashrrev_i32_e32 v172, 31, v172
	v_not_b32_e32 v173, v175
	v_not_b32_e32 v175, v177
	v_bitop3_b32 v62, v62, v167, v63 bitop3:0x80
	v_mad_u32_u24 v63, v170, 36, v23
	v_cmp_gt_i32_e64 s22, 0, v177
	s_delay_alu instid0(VALU_DEP_4)
	v_dual_ashrrev_i32 v173, 31, v173 :: v_dual_ashrrev_i32 v175, 31, v175
	v_xor_b32_e32 v172, s20, v172
	ds_load_b32 v167, v63 offset:544
	v_mul_u32_u24_e32 v63, 36, v170
	v_xor_b32_e32 v168, s19, v168
	v_xor_b32_e32 v173, s21, v173
	;; [unrolled: 1-line block ×3, first 2 shown]
	s_delay_alu instid0(VALU_DEP_4) | instskip(NEXT) | instid1(VALU_DEP_4)
	v_add_nc_u32_e32 v170, v23, v63
	v_bitop3_b32 v62, v62, v172, v168 bitop3:0x80
	; wave barrier
	s_delay_alu instid0(VALU_DEP_1) | instskip(NEXT) | instid1(VALU_DEP_1)
	v_bitop3_b32 v62, v62, v175, v173 bitop3:0x80
	v_mbcnt_lo_u32_b32 v168, v62, 0
	v_cmp_ne_u32_e64 s17, 0, v62
	s_delay_alu instid0(VALU_DEP_2) | instskip(SKIP_1) | instid1(SALU_CYCLE_1)
	v_cmp_eq_u32_e32 vcc_lo, 0, v168
	s_and_b32 s18, s17, vcc_lo
	s_and_saveexec_b32 s17, s18
	s_cbranch_execz .LBB1038_780
; %bb.779:                              ;   in Loop: Header=BB1038_730 Depth=2
	s_wait_dscnt 0x0
	v_bcnt_u32_b32 v62, v62, v167
	ds_store_b32 v170, v62 offset:544
.LBB1038_780:                           ;   in Loop: Header=BB1038_730 Depth=2
	s_or_b32 exec_lo, exec_lo, s17
	v_xor_b32_e32 v166, 0xffff8000, v166
	; wave barrier
	s_delay_alu instid0(VALU_DEP_1) | instskip(NEXT) | instid1(VALU_DEP_1)
	v_and_b32_e32 v62, 0xffff, v166
	v_lshrrev_b32_e32 v62, s49, v62
	s_delay_alu instid0(VALU_DEP_1) | instskip(NEXT) | instid1(VALU_DEP_1)
	v_and_b32_e32 v175, s48, v62
	v_lshlrev_b32_e32 v172, 30, v175
	v_bitop3_b32 v63, v62, 1, s48 bitop3:0x80
	s_delay_alu instid0(VALU_DEP_1) | instskip(NEXT) | instid1(VALU_DEP_1)
	v_add_co_u32 v62, s17, v63, -1
	v_cndmask_b32_e64 v63, 0, 1, s17
	s_delay_alu instid0(VALU_DEP_4) | instskip(NEXT) | instid1(VALU_DEP_2)
	v_cmp_gt_i32_e64 s17, 0, v172
	v_cmp_ne_u32_e32 vcc_lo, 0, v63
	v_not_b32_e32 v63, v172
	v_bitop3_b32 v62, vcc_lo, exec_lo, v62 bitop3:0x48
	s_delay_alu instid0(VALU_DEP_2) | instskip(SKIP_2) | instid1(VALU_DEP_3)
	v_ashrrev_i32_e32 v63, 31, v63
	v_dual_lshlrev_b32 v173, 29, v175 :: v_dual_lshlrev_b32 v177, 28, v175
	v_dual_lshlrev_b32 v178, 27, v175 :: v_dual_lshlrev_b32 v179, 26, v175
	v_xor_b32_e32 v63, s17, v63
	s_delay_alu instid0(VALU_DEP_3)
	v_not_b32_e32 v172, v173
	v_lshlrev_b32_e32 v180, 25, v175
	v_cmp_gt_i32_e64 s18, 0, v173
	v_cmp_gt_i32_e64 s19, 0, v177
	v_not_b32_e32 v173, v177
	v_not_b32_e32 v177, v178
	v_ashrrev_i32_e32 v172, 31, v172
	v_cmp_gt_i32_e64 s20, 0, v178
	v_cmp_gt_i32_e64 s21, 0, v179
	v_ashrrev_i32_e32 v173, 31, v173
	s_delay_alu instid0(VALU_DEP_4) | instskip(SKIP_3) | instid1(VALU_DEP_4)
	v_dual_ashrrev_i32 v177, 31, v177 :: v_dual_bitop2_b32 v172, s18, v172 bitop3:0x14
	v_not_b32_e32 v178, v179
	v_not_b32_e32 v179, v180
	v_cmp_gt_i32_e64 s22, 0, v180
	v_xor_b32_e32 v177, s20, v177
	v_bitop3_b32 v62, v62, v172, v63 bitop3:0x80
	v_mad_u32_u24 v63, v175, 36, v23
	v_dual_ashrrev_i32 v178, 31, v178 :: v_dual_ashrrev_i32 v179, 31, v179
	ds_load_b32 v172, v63 offset:544
	v_mul_u32_u24_e32 v63, 36, v175
	v_xor_b32_e32 v173, s19, v173
	v_xor_b32_e32 v178, s21, v178
	;; [unrolled: 1-line block ×3, first 2 shown]
	s_delay_alu instid0(VALU_DEP_4) | instskip(NEXT) | instid1(VALU_DEP_4)
	v_add_nc_u32_e32 v175, v23, v63
	v_bitop3_b32 v62, v62, v177, v173 bitop3:0x80
	; wave barrier
	s_delay_alu instid0(VALU_DEP_1) | instskip(NEXT) | instid1(VALU_DEP_1)
	v_bitop3_b32 v62, v62, v179, v178 bitop3:0x80
	v_mbcnt_lo_u32_b32 v173, v62, 0
	v_cmp_ne_u32_e64 s17, 0, v62
	s_delay_alu instid0(VALU_DEP_2) | instskip(SKIP_1) | instid1(SALU_CYCLE_1)
	v_cmp_eq_u32_e32 vcc_lo, 0, v173
	s_and_b32 s18, s17, vcc_lo
	s_and_saveexec_b32 s17, s18
	s_cbranch_execz .LBB1038_782
; %bb.781:                              ;   in Loop: Header=BB1038_730 Depth=2
	s_wait_dscnt 0x0
	v_bcnt_u32_b32 v62, v62, v172
	ds_store_b32 v175, v62 offset:544
.LBB1038_782:                           ;   in Loop: Header=BB1038_730 Depth=2
	s_or_b32 exec_lo, exec_lo, s17
	v_xor_b32_e32 v171, 0xffff8000, v171
	; wave barrier
	s_delay_alu instid0(VALU_DEP_1) | instskip(NEXT) | instid1(VALU_DEP_1)
	v_and_b32_e32 v62, 0xffff, v171
	v_lshrrev_b32_e32 v62, s49, v62
	s_delay_alu instid0(VALU_DEP_1) | instskip(NEXT) | instid1(VALU_DEP_1)
	v_and_b32_e32 v179, s48, v62
	v_lshlrev_b32_e32 v177, 30, v179
	v_bitop3_b32 v63, v62, 1, s48 bitop3:0x80
	s_delay_alu instid0(VALU_DEP_1) | instskip(NEXT) | instid1(VALU_DEP_1)
	v_add_co_u32 v62, s17, v63, -1
	v_cndmask_b32_e64 v63, 0, 1, s17
	s_delay_alu instid0(VALU_DEP_4) | instskip(NEXT) | instid1(VALU_DEP_2)
	v_cmp_gt_i32_e64 s17, 0, v177
	v_cmp_ne_u32_e32 vcc_lo, 0, v63
	v_not_b32_e32 v63, v177
	v_bitop3_b32 v62, vcc_lo, exec_lo, v62 bitop3:0x48
	s_delay_alu instid0(VALU_DEP_2) | instskip(SKIP_2) | instid1(VALU_DEP_2)
	v_ashrrev_i32_e32 v63, 31, v63
	v_dual_lshlrev_b32 v178, 29, v179 :: v_dual_lshlrev_b32 v180, 28, v179
	v_dual_lshlrev_b32 v181, 27, v179 :: v_dual_lshlrev_b32 v182, 26, v179
	v_not_b32_e32 v177, v178
	v_lshlrev_b32_e32 v183, 25, v179
	v_cmp_gt_i32_e64 s18, 0, v178
	v_cmp_gt_i32_e64 s19, 0, v180
	v_not_b32_e32 v178, v180
	v_ashrrev_i32_e32 v177, 31, v177
	v_cmp_gt_i32_e64 s20, 0, v181
	v_not_b32_e32 v180, v181
	v_cmp_gt_i32_e64 s21, 0, v182
	v_not_b32_e32 v181, v182
	v_not_b32_e32 v182, v183
	v_xor_b32_e32 v63, s17, v63
	v_dual_ashrrev_i32 v178, 31, v178 :: v_dual_bitop2_b32 v177, s18, v177 bitop3:0x14
	s_delay_alu instid0(VALU_DEP_4) | instskip(NEXT) | instid1(VALU_DEP_4)
	v_dual_ashrrev_i32 v180, 31, v180 :: v_dual_ashrrev_i32 v181, 31, v181
	v_ashrrev_i32_e32 v182, 31, v182
	s_delay_alu instid0(VALU_DEP_3)
	v_bitop3_b32 v62, v62, v177, v63 bitop3:0x80
	v_mad_u32_u24 v63, v179, 36, v23
	v_cmp_gt_i32_e64 s22, 0, v183
	v_xor_b32_e32 v180, s20, v180
	v_xor_b32_e32 v181, s21, v181
	ds_load_b32 v177, v63 offset:544
	v_mul_u32_u24_e32 v63, 36, v179
	v_xor_b32_e32 v178, s19, v178
	v_xor_b32_e32 v182, s22, v182
	; wave barrier
	s_delay_alu instid0(VALU_DEP_3) | instskip(NEXT) | instid1(VALU_DEP_3)
	v_add_nc_u32_e32 v179, v23, v63
	v_bitop3_b32 v62, v62, v180, v178 bitop3:0x80
	s_delay_alu instid0(VALU_DEP_1) | instskip(NEXT) | instid1(VALU_DEP_1)
	v_bitop3_b32 v62, v62, v182, v181 bitop3:0x80
	v_mbcnt_lo_u32_b32 v178, v62, 0
	v_cmp_ne_u32_e64 s17, 0, v62
	s_delay_alu instid0(VALU_DEP_2) | instskip(SKIP_1) | instid1(SALU_CYCLE_1)
	v_cmp_eq_u32_e32 vcc_lo, 0, v178
	s_and_b32 s18, s17, vcc_lo
	s_and_saveexec_b32 s17, s18
	s_cbranch_execz .LBB1038_784
; %bb.783:                              ;   in Loop: Header=BB1038_730 Depth=2
	s_wait_dscnt 0x0
	v_bcnt_u32_b32 v62, v62, v177
	ds_store_b32 v179, v62 offset:544
.LBB1038_784:                           ;   in Loop: Header=BB1038_730 Depth=2
	s_or_b32 exec_lo, exec_lo, s17
	v_xor_b32_e32 v176, 0xffff8000, v176
	; wave barrier
	s_delay_alu instid0(VALU_DEP_1) | instskip(NEXT) | instid1(VALU_DEP_1)
	v_and_b32_e32 v62, 0xffff, v176
	v_lshrrev_b32_e32 v62, s49, v62
	s_delay_alu instid0(VALU_DEP_1) | instskip(SKIP_1) | instid1(VALU_DEP_2)
	v_bitop3_b32 v63, v62, 1, s48 bitop3:0x80
	v_and_b32_e32 v182, s48, v62
	v_add_co_u32 v62, s17, v63, -1
	s_delay_alu instid0(VALU_DEP_1) | instskip(NEXT) | instid1(VALU_DEP_3)
	v_cndmask_b32_e64 v63, 0, 1, s17
	v_dual_lshlrev_b32 v180, 30, v182 :: v_dual_lshlrev_b32 v181, 29, v182
	s_delay_alu instid0(VALU_DEP_2) | instskip(NEXT) | instid1(VALU_DEP_2)
	v_cmp_ne_u32_e32 vcc_lo, 0, v63
	v_cmp_gt_i32_e64 s17, 0, v180
	v_not_b32_e32 v63, v180
	s_delay_alu instid0(VALU_DEP_4) | instskip(SKIP_2) | instid1(VALU_DEP_3)
	v_not_b32_e32 v180, v181
	v_cmp_gt_i32_e64 s18, 0, v181
	v_bitop3_b32 v62, vcc_lo, exec_lo, v62 bitop3:0x48
	v_dual_ashrrev_i32 v63, 31, v63 :: v_dual_ashrrev_i32 v180, 31, v180
	v_dual_lshlrev_b32 v183, 28, v182 :: v_dual_lshlrev_b32 v184, 27, v182
	v_dual_lshlrev_b32 v185, 26, v182 :: v_dual_lshlrev_b32 v186, 25, v182
	s_delay_alu instid0(VALU_DEP_2) | instskip(SKIP_1) | instid1(VALU_DEP_4)
	v_cmp_gt_i32_e64 s19, 0, v183
	v_not_b32_e32 v181, v183
	v_cmp_gt_i32_e64 s20, 0, v184
	v_not_b32_e32 v183, v184
	;; [unrolled: 2-line block ×3, first 2 shown]
	v_not_b32_e32 v185, v186
	v_xor_b32_e32 v63, s17, v63
	v_dual_ashrrev_i32 v181, 31, v181 :: v_dual_bitop2_b32 v180, s18, v180 bitop3:0x14
	s_delay_alu instid0(VALU_DEP_4) | instskip(NEXT) | instid1(VALU_DEP_4)
	v_dual_ashrrev_i32 v183, 31, v183 :: v_dual_ashrrev_i32 v184, 31, v184
	v_ashrrev_i32_e32 v185, 31, v185
	s_delay_alu instid0(VALU_DEP_3)
	v_bitop3_b32 v62, v62, v180, v63 bitop3:0x80
	v_mad_u32_u24 v63, v182, 36, v23
	v_cmp_gt_i32_e64 s22, 0, v186
	v_xor_b32_e32 v183, s20, v183
	v_xor_b32_e32 v184, s21, v184
	ds_load_b32 v180, v63 offset:544
	v_mul_u32_u24_e32 v63, 36, v182
	v_xor_b32_e32 v181, s19, v181
	v_xor_b32_e32 v185, s22, v185
	; wave barrier
	s_delay_alu instid0(VALU_DEP_3) | instskip(NEXT) | instid1(VALU_DEP_3)
	v_add_nc_u32_e32 v182, v23, v63
	v_bitop3_b32 v62, v62, v183, v181 bitop3:0x80
	s_delay_alu instid0(VALU_DEP_1) | instskip(NEXT) | instid1(VALU_DEP_1)
	v_bitop3_b32 v62, v62, v185, v184 bitop3:0x80
	v_mbcnt_lo_u32_b32 v181, v62, 0
	v_cmp_ne_u32_e64 s17, 0, v62
	s_delay_alu instid0(VALU_DEP_2) | instskip(SKIP_1) | instid1(SALU_CYCLE_1)
	v_cmp_eq_u32_e32 vcc_lo, 0, v181
	s_and_b32 s18, s17, vcc_lo
	s_and_saveexec_b32 s17, s18
	s_cbranch_execz .LBB1038_786
; %bb.785:                              ;   in Loop: Header=BB1038_730 Depth=2
	s_wait_dscnt 0x0
	v_bcnt_u32_b32 v62, v62, v180
	ds_store_b32 v182, v62 offset:544
.LBB1038_786:                           ;   in Loop: Header=BB1038_730 Depth=2
	s_or_b32 exec_lo, exec_lo, s17
	v_xor_b32_e32 v174, 0xffff8000, v174
	; wave barrier
	s_delay_alu instid0(VALU_DEP_1) | instskip(NEXT) | instid1(VALU_DEP_1)
	v_and_b32_e32 v62, 0xffff, v174
	v_lshrrev_b32_e32 v62, s49, v62
	s_delay_alu instid0(VALU_DEP_1) | instskip(NEXT) | instid1(VALU_DEP_1)
	v_and_b32_e32 v185, s48, v62
	v_lshlrev_b32_e32 v183, 30, v185
	v_bitop3_b32 v63, v62, 1, s48 bitop3:0x80
	s_delay_alu instid0(VALU_DEP_1) | instskip(NEXT) | instid1(VALU_DEP_1)
	v_add_co_u32 v62, s17, v63, -1
	v_cndmask_b32_e64 v63, 0, 1, s17
	s_delay_alu instid0(VALU_DEP_4) | instskip(NEXT) | instid1(VALU_DEP_2)
	v_cmp_gt_i32_e64 s17, 0, v183
	v_cmp_ne_u32_e32 vcc_lo, 0, v63
	v_not_b32_e32 v63, v183
	v_bitop3_b32 v62, vcc_lo, exec_lo, v62 bitop3:0x48
	s_delay_alu instid0(VALU_DEP_2) | instskip(SKIP_2) | instid1(VALU_DEP_3)
	v_dual_ashrrev_i32 v63, 31, v63 :: v_dual_lshlrev_b32 v184, 29, v185
	v_dual_lshlrev_b32 v186, 28, v185 :: v_dual_lshlrev_b32 v187, 27, v185
	v_lshlrev_b32_e32 v188, 26, v185
	v_not_b32_e32 v183, v184
	v_lshlrev_b32_e32 v189, 25, v185
	v_cmp_gt_i32_e64 s18, 0, v184
	v_cmp_gt_i32_e64 s19, 0, v186
	v_not_b32_e32 v184, v186
	v_ashrrev_i32_e32 v183, 31, v183
	v_cmp_gt_i32_e64 s20, 0, v187
	v_not_b32_e32 v186, v187
	v_cmp_gt_i32_e64 s21, 0, v188
	v_not_b32_e32 v187, v188
	v_not_b32_e32 v188, v189
	v_xor_b32_e32 v63, s17, v63
	v_dual_ashrrev_i32 v184, 31, v184 :: v_dual_bitop2_b32 v183, s18, v183 bitop3:0x14
	s_delay_alu instid0(VALU_DEP_3) | instskip(SKIP_1) | instid1(VALU_DEP_3)
	v_dual_ashrrev_i32 v186, 31, v186 :: v_dual_ashrrev_i32 v188, 31, v188
	v_cmp_gt_i32_e64 s22, 0, v189
	v_bitop3_b32 v62, v62, v183, v63 bitop3:0x80
	v_mad_u32_u24 v63, v185, 36, v23
	v_dual_ashrrev_i32 v187, 31, v187 :: v_dual_bitop2_b32 v184, s19, v184 bitop3:0x14
	s_delay_alu instid0(VALU_DEP_4) | instskip(SKIP_4) | instid1(VALU_DEP_3)
	v_xor_b32_e32 v188, s22, v188
	ds_load_b32 v183, v63 offset:544
	v_mul_u32_u24_e32 v63, 36, v185
	v_xor_b32_e32 v186, s20, v186
	v_xor_b32_e32 v187, s21, v187
	; wave barrier
	v_add_nc_u32_e32 v185, v23, v63
	s_delay_alu instid0(VALU_DEP_3) | instskip(NEXT) | instid1(VALU_DEP_1)
	v_bitop3_b32 v62, v62, v186, v184 bitop3:0x80
	v_bitop3_b32 v62, v62, v188, v187 bitop3:0x80
	s_delay_alu instid0(VALU_DEP_1) | instskip(SKIP_1) | instid1(VALU_DEP_2)
	v_mbcnt_lo_u32_b32 v184, v62, 0
	v_cmp_ne_u32_e64 s17, 0, v62
	v_cmp_eq_u32_e32 vcc_lo, 0, v184
	s_and_b32 s18, s17, vcc_lo
	s_delay_alu instid0(SALU_CYCLE_1)
	s_and_saveexec_b32 s17, s18
	s_cbranch_execz .LBB1038_788
; %bb.787:                              ;   in Loop: Header=BB1038_730 Depth=2
	s_wait_dscnt 0x0
	v_bcnt_u32_b32 v62, v62, v183
	ds_store_b32 v185, v62 offset:544
.LBB1038_788:                           ;   in Loop: Header=BB1038_730 Depth=2
	s_or_b32 exec_lo, exec_lo, s17
	v_xor_b32_e32 v169, 0xffff8000, v169
	; wave barrier
	s_delay_alu instid0(VALU_DEP_1) | instskip(NEXT) | instid1(VALU_DEP_1)
	v_and_b32_e32 v62, 0xffff, v169
	v_lshrrev_b32_e32 v62, s49, v62
	s_delay_alu instid0(VALU_DEP_1) | instskip(SKIP_1) | instid1(VALU_DEP_2)
	v_bitop3_b32 v63, v62, 1, s48 bitop3:0x80
	v_and_b32_e32 v186, s48, v62
	v_add_co_u32 v62, s17, v63, -1
	s_delay_alu instid0(VALU_DEP_1) | instskip(NEXT) | instid1(VALU_DEP_3)
	v_cndmask_b32_e64 v63, 0, 1, s17
	v_dual_lshlrev_b32 v187, 30, v186 :: v_dual_lshlrev_b32 v188, 29, v186
	s_delay_alu instid0(VALU_DEP_2) | instskip(NEXT) | instid1(VALU_DEP_2)
	v_cmp_ne_u32_e32 vcc_lo, 0, v63
	v_cmp_gt_i32_e64 s17, 0, v187
	v_not_b32_e32 v63, v187
	s_delay_alu instid0(VALU_DEP_4) | instskip(SKIP_2) | instid1(VALU_DEP_4)
	v_not_b32_e32 v187, v188
	v_cmp_gt_i32_e64 s18, 0, v188
	v_bitop3_b32 v62, vcc_lo, exec_lo, v62 bitop3:0x48
	v_ashrrev_i32_e32 v63, 31, v63
	s_delay_alu instid0(VALU_DEP_4) | instskip(SKIP_1) | instid1(VALU_DEP_2)
	v_dual_ashrrev_i32 v187, 31, v187 :: v_dual_lshlrev_b32 v189, 28, v186
	v_dual_lshlrev_b32 v190, 27, v186 :: v_dual_lshlrev_b32 v191, 26, v186
	v_dual_lshlrev_b32 v192, 25, v186 :: v_dual_bitop2_b32 v187, s18, v187 bitop3:0x14
	s_delay_alu instid0(VALU_DEP_3) | instskip(SKIP_1) | instid1(VALU_DEP_4)
	v_cmp_gt_i32_e64 s19, 0, v189
	v_not_b32_e32 v188, v189
	v_cmp_gt_i32_e64 s20, 0, v190
	v_not_b32_e32 v189, v190
	v_not_b32_e32 v190, v191
	v_xor_b32_e32 v63, s17, v63
	v_cmp_gt_i32_e64 s21, 0, v191
	v_not_b32_e32 v191, v192
	v_dual_ashrrev_i32 v188, 31, v188 :: v_dual_ashrrev_i32 v189, 31, v189
	v_ashrrev_i32_e32 v190, 31, v190
	v_bitop3_b32 v62, v62, v187, v63 bitop3:0x80
	v_mad_u32_u24 v63, v186, 36, v23
	v_cmp_gt_i32_e64 s22, 0, v192
	v_dual_ashrrev_i32 v191, 31, v191 :: v_dual_bitop2_b32 v188, s19, v188 bitop3:0x14
	v_xor_b32_e32 v190, s21, v190
	ds_load_b32 v187, v63 offset:544
	v_mul_u32_u24_e32 v63, 36, v186
	v_xor_b32_e32 v189, s20, v189
	v_xor_b32_e32 v191, s22, v191
	; wave barrier
	s_delay_alu instid0(VALU_DEP_2) | instskip(NEXT) | instid1(VALU_DEP_1)
	v_bitop3_b32 v62, v62, v189, v188 bitop3:0x80
	v_bitop3_b32 v62, v62, v191, v190 bitop3:0x80
	v_add_nc_u32_e32 v190, v23, v63
	s_delay_alu instid0(VALU_DEP_2) | instskip(SKIP_1) | instid1(VALU_DEP_2)
	v_mbcnt_lo_u32_b32 v188, v62, 0
	v_cmp_ne_u32_e64 s17, 0, v62
	v_cmp_eq_u32_e32 vcc_lo, 0, v188
	s_and_b32 s18, s17, vcc_lo
	s_delay_alu instid0(SALU_CYCLE_1)
	s_and_saveexec_b32 s17, s18
	s_cbranch_execz .LBB1038_790
; %bb.789:                              ;   in Loop: Header=BB1038_730 Depth=2
	s_wait_dscnt 0x0
	v_bcnt_u32_b32 v62, v62, v187
	ds_store_b32 v190, v62 offset:544
.LBB1038_790:                           ;   in Loop: Header=BB1038_730 Depth=2
	s_or_b32 exec_lo, exec_lo, s17
	v_xor_b32_e32 v186, 0xffff8000, v164
	; wave barrier
	s_delay_alu instid0(VALU_DEP_1) | instskip(NEXT) | instid1(VALU_DEP_1)
	v_and_b32_e32 v62, 0xffff, v186
	v_lshrrev_b32_e32 v62, s49, v62
	s_delay_alu instid0(VALU_DEP_1) | instskip(NEXT) | instid1(VALU_DEP_1)
	v_and_b32_e32 v164, s48, v62
	v_lshlrev_b32_e32 v189, 30, v164
	v_bitop3_b32 v63, v62, 1, s48 bitop3:0x80
	s_delay_alu instid0(VALU_DEP_1) | instskip(NEXT) | instid1(VALU_DEP_1)
	v_add_co_u32 v62, s17, v63, -1
	v_cndmask_b32_e64 v63, 0, 1, s17
	s_delay_alu instid0(VALU_DEP_4) | instskip(NEXT) | instid1(VALU_DEP_2)
	v_cmp_gt_i32_e64 s17, 0, v189
	v_cmp_ne_u32_e32 vcc_lo, 0, v63
	v_not_b32_e32 v63, v189
	v_bitop3_b32 v62, vcc_lo, exec_lo, v62 bitop3:0x48
	s_delay_alu instid0(VALU_DEP_2) | instskip(SKIP_2) | instid1(VALU_DEP_3)
	v_dual_ashrrev_i32 v63, 31, v63 :: v_dual_lshlrev_b32 v191, 29, v164
	v_dual_lshlrev_b32 v192, 28, v164 :: v_dual_lshlrev_b32 v193, 27, v164
	v_lshlrev_b32_e32 v194, 26, v164
	v_not_b32_e32 v189, v191
	v_lshlrev_b32_e32 v195, 25, v164
	v_cmp_gt_i32_e64 s18, 0, v191
	v_cmp_gt_i32_e64 s19, 0, v192
	v_not_b32_e32 v191, v192
	v_not_b32_e32 v192, v193
	v_ashrrev_i32_e32 v189, 31, v189
	v_cmp_gt_i32_e64 s20, 0, v193
	v_cmp_gt_i32_e64 s21, 0, v194
	v_not_b32_e32 v193, v194
	v_not_b32_e32 v194, v195
	v_dual_ashrrev_i32 v191, 31, v191 :: v_dual_ashrrev_i32 v192, 31, v192
	s_delay_alu instid0(VALU_DEP_3) | instskip(NEXT) | instid1(VALU_DEP_3)
	v_dual_ashrrev_i32 v193, 31, v193 :: v_dual_bitop2_b32 v63, s17, v63 bitop3:0x14
	v_dual_ashrrev_i32 v194, 31, v194 :: v_dual_bitop2_b32 v189, s18, v189 bitop3:0x14
	v_cmp_gt_i32_e64 s22, 0, v195
	s_delay_alu instid0(VALU_DEP_4) | instskip(SKIP_1) | instid1(VALU_DEP_4)
	v_xor_b32_e32 v191, s19, v191
	v_xor_b32_e32 v192, s20, v192
	v_bitop3_b32 v62, v62, v189, v63 bitop3:0x80
	v_mad_u32_u24 v63, v164, 36, v23
	v_xor_b32_e32 v189, s21, v193
	v_xor_b32_e32 v193, s22, v194
	s_delay_alu instid0(VALU_DEP_4) | instskip(SKIP_3) | instid1(VALU_DEP_2)
	v_bitop3_b32 v62, v62, v192, v191 bitop3:0x80
	ds_load_b32 v191, v63 offset:544
	v_mul_u32_u24_e32 v63, 36, v164
	; wave barrier
	v_bitop3_b32 v62, v62, v193, v189 bitop3:0x80
	v_add_nc_u32_e32 v164, v23, v63
	s_delay_alu instid0(VALU_DEP_2) | instskip(SKIP_1) | instid1(VALU_DEP_2)
	v_mbcnt_lo_u32_b32 v192, v62, 0
	v_cmp_ne_u32_e64 s17, 0, v62
	v_cmp_eq_u32_e32 vcc_lo, 0, v192
	s_and_b32 s18, s17, vcc_lo
	s_delay_alu instid0(SALU_CYCLE_1)
	s_and_saveexec_b32 s17, s18
	s_cbranch_execz .LBB1038_792
; %bb.791:                              ;   in Loop: Header=BB1038_730 Depth=2
	s_wait_dscnt 0x0
	v_bcnt_u32_b32 v62, v62, v191
	ds_store_b32 v164, v62 offset:544
.LBB1038_792:                           ;   in Loop: Header=BB1038_730 Depth=2
	s_or_b32 exec_lo, exec_lo, s17
	v_xor_b32_e32 v189, 0xffff8000, v161
	; wave barrier
	s_delay_alu instid0(VALU_DEP_1) | instskip(NEXT) | instid1(VALU_DEP_1)
	v_and_b32_e32 v62, 0xffff, v189
	v_lshrrev_b32_e32 v62, s49, v62
	s_delay_alu instid0(VALU_DEP_1) | instskip(NEXT) | instid1(VALU_DEP_1)
	v_and_b32_e32 v161, s48, v62
	v_lshlrev_b32_e32 v193, 30, v161
	v_bitop3_b32 v63, v62, 1, s48 bitop3:0x80
	s_delay_alu instid0(VALU_DEP_1) | instskip(NEXT) | instid1(VALU_DEP_1)
	v_add_co_u32 v62, s17, v63, -1
	v_cndmask_b32_e64 v63, 0, 1, s17
	s_delay_alu instid0(VALU_DEP_4) | instskip(NEXT) | instid1(VALU_DEP_2)
	v_cmp_gt_i32_e64 s17, 0, v193
	v_cmp_ne_u32_e32 vcc_lo, 0, v63
	v_not_b32_e32 v63, v193
	v_bitop3_b32 v62, vcc_lo, exec_lo, v62 bitop3:0x48
	s_delay_alu instid0(VALU_DEP_2) | instskip(SKIP_2) | instid1(VALU_DEP_3)
	v_dual_ashrrev_i32 v63, 31, v63 :: v_dual_lshlrev_b32 v194, 29, v161
	v_dual_lshlrev_b32 v195, 28, v161 :: v_dual_lshlrev_b32 v196, 27, v161
	v_lshlrev_b32_e32 v197, 26, v161
	v_not_b32_e32 v193, v194
	v_cmp_gt_i32_e64 s18, 0, v194
	s_delay_alu instid0(VALU_DEP_4)
	v_cmp_gt_i32_e64 s19, 0, v195
	v_not_b32_e32 v194, v195
	v_lshlrev_b32_e32 v198, 25, v161
	v_not_b32_e32 v195, v196
	v_ashrrev_i32_e32 v193, 31, v193
	v_cmp_gt_i32_e64 s20, 0, v196
	v_cmp_gt_i32_e64 s21, 0, v197
	v_not_b32_e32 v196, v197
	v_ashrrev_i32_e32 v194, 31, v194
	v_not_b32_e32 v197, v198
	v_ashrrev_i32_e32 v195, 31, v195
	s_delay_alu instid0(VALU_DEP_4) | instskip(SKIP_4) | instid1(VALU_DEP_4)
	v_dual_ashrrev_i32 v196, 31, v196 :: v_dual_bitop2_b32 v63, s17, v63 bitop3:0x14
	v_xor_b32_e32 v193, s18, v193
	v_cmp_gt_i32_e64 s22, 0, v198
	v_dual_ashrrev_i32 v197, 31, v197 :: v_dual_bitop2_b32 v194, s19, v194 bitop3:0x14
	v_xor_b32_e32 v195, s20, v195
	v_bitop3_b32 v62, v62, v193, v63 bitop3:0x80
	v_mad_u32_u24 v63, v161, 36, v23
	v_xor_b32_e32 v193, s21, v196
	v_xor_b32_e32 v196, s22, v197
	s_delay_alu instid0(VALU_DEP_4) | instskip(SKIP_3) | instid1(VALU_DEP_2)
	v_bitop3_b32 v62, v62, v195, v194 bitop3:0x80
	ds_load_b32 v194, v63 offset:544
	v_mul_u32_u24_e32 v63, 36, v161
	; wave barrier
	v_bitop3_b32 v62, v62, v196, v193 bitop3:0x80
	v_add_nc_u32_e32 v161, v23, v63
	s_delay_alu instid0(VALU_DEP_2) | instskip(SKIP_1) | instid1(VALU_DEP_2)
	v_mbcnt_lo_u32_b32 v195, v62, 0
	v_cmp_ne_u32_e64 s17, 0, v62
	v_cmp_eq_u32_e32 vcc_lo, 0, v195
	s_and_b32 s18, s17, vcc_lo
	s_delay_alu instid0(SALU_CYCLE_1)
	s_and_saveexec_b32 s17, s18
	s_cbranch_execz .LBB1038_794
; %bb.793:                              ;   in Loop: Header=BB1038_730 Depth=2
	s_wait_dscnt 0x0
	v_bcnt_u32_b32 v62, v62, v194
	ds_store_b32 v161, v62 offset:544
.LBB1038_794:                           ;   in Loop: Header=BB1038_730 Depth=2
	s_or_b32 exec_lo, exec_lo, s17
	v_xor_b32_e32 v193, 0xffff8000, v156
	; wave barrier
	s_delay_alu instid0(VALU_DEP_1) | instskip(NEXT) | instid1(VALU_DEP_1)
	v_and_b32_e32 v62, 0xffff, v193
	v_lshrrev_b32_e32 v62, s49, v62
	s_delay_alu instid0(VALU_DEP_1) | instskip(NEXT) | instid1(VALU_DEP_1)
	v_and_b32_e32 v156, s48, v62
	v_lshlrev_b32_e32 v196, 30, v156
	v_bitop3_b32 v63, v62, 1, s48 bitop3:0x80
	s_delay_alu instid0(VALU_DEP_1) | instskip(NEXT) | instid1(VALU_DEP_1)
	v_add_co_u32 v62, s17, v63, -1
	v_cndmask_b32_e64 v63, 0, 1, s17
	s_delay_alu instid0(VALU_DEP_4) | instskip(NEXT) | instid1(VALU_DEP_2)
	v_cmp_gt_i32_e64 s17, 0, v196
	v_cmp_ne_u32_e32 vcc_lo, 0, v63
	v_not_b32_e32 v63, v196
	v_bitop3_b32 v62, vcc_lo, exec_lo, v62 bitop3:0x48
	s_delay_alu instid0(VALU_DEP_2) | instskip(SKIP_2) | instid1(VALU_DEP_3)
	v_dual_ashrrev_i32 v63, 31, v63 :: v_dual_lshlrev_b32 v197, 29, v156
	v_dual_lshlrev_b32 v198, 28, v156 :: v_dual_lshlrev_b32 v199, 27, v156
	v_lshlrev_b32_e32 v200, 26, v156
	v_not_b32_e32 v196, v197
	v_cmp_gt_i32_e64 s18, 0, v197
	s_delay_alu instid0(VALU_DEP_4)
	v_cmp_gt_i32_e64 s19, 0, v198
	v_not_b32_e32 v197, v198
	v_lshlrev_b32_e32 v201, 25, v156
	v_not_b32_e32 v198, v199
	v_ashrrev_i32_e32 v196, 31, v196
	v_cmp_gt_i32_e64 s20, 0, v199
	v_cmp_gt_i32_e64 s21, 0, v200
	v_not_b32_e32 v199, v200
	v_ashrrev_i32_e32 v197, 31, v197
	v_not_b32_e32 v200, v201
	v_dual_ashrrev_i32 v198, 31, v198 :: v_dual_bitop2_b32 v63, s17, v63 bitop3:0x14
	s_delay_alu instid0(VALU_DEP_4) | instskip(SKIP_1) | instid1(VALU_DEP_4)
	v_dual_ashrrev_i32 v199, 31, v199 :: v_dual_bitop2_b32 v196, s18, v196 bitop3:0x14
	v_cmp_gt_i32_e64 s22, 0, v201
	v_dual_ashrrev_i32 v200, 31, v200 :: v_dual_bitop2_b32 v197, s19, v197 bitop3:0x14
	s_delay_alu instid0(VALU_DEP_4) | instskip(NEXT) | instid1(VALU_DEP_4)
	v_xor_b32_e32 v198, s20, v198
	v_bitop3_b32 v62, v62, v196, v63 bitop3:0x80
	v_mad_u32_u24 v63, v156, 36, v23
	v_xor_b32_e32 v196, s21, v199
	v_xor_b32_e32 v199, s22, v200
	s_delay_alu instid0(VALU_DEP_4) | instskip(SKIP_3) | instid1(VALU_DEP_2)
	v_bitop3_b32 v62, v62, v198, v197 bitop3:0x80
	ds_load_b32 v197, v63 offset:544
	v_mul_u32_u24_e32 v63, 36, v156
	; wave barrier
	v_bitop3_b32 v62, v62, v199, v196 bitop3:0x80
	v_add_nc_u32_e32 v156, v23, v63
	s_delay_alu instid0(VALU_DEP_2) | instskip(SKIP_1) | instid1(VALU_DEP_2)
	v_mbcnt_lo_u32_b32 v198, v62, 0
	v_cmp_ne_u32_e64 s17, 0, v62
	v_cmp_eq_u32_e32 vcc_lo, 0, v198
	s_and_b32 s18, s17, vcc_lo
	s_delay_alu instid0(SALU_CYCLE_1)
	s_and_saveexec_b32 s17, s18
	s_cbranch_execz .LBB1038_796
; %bb.795:                              ;   in Loop: Header=BB1038_730 Depth=2
	s_wait_dscnt 0x0
	v_bcnt_u32_b32 v62, v62, v197
	ds_store_b32 v156, v62 offset:544
.LBB1038_796:                           ;   in Loop: Header=BB1038_730 Depth=2
	s_or_b32 exec_lo, exec_lo, s17
	v_xor_b32_e32 v196, 0xffff8000, v65
	; wave barrier
	s_delay_alu instid0(VALU_DEP_1) | instskip(NEXT) | instid1(VALU_DEP_1)
	v_and_b32_e32 v62, 0xffff, v196
	v_lshrrev_b32_e32 v62, s49, v62
	s_delay_alu instid0(VALU_DEP_1) | instskip(NEXT) | instid1(VALU_DEP_1)
	v_and_b32_e32 v65, s48, v62
	v_lshlrev_b32_e32 v199, 30, v65
	v_bitop3_b32 v63, v62, 1, s48 bitop3:0x80
	s_delay_alu instid0(VALU_DEP_1) | instskip(NEXT) | instid1(VALU_DEP_1)
	v_add_co_u32 v62, s17, v63, -1
	v_cndmask_b32_e64 v63, 0, 1, s17
	s_delay_alu instid0(VALU_DEP_4) | instskip(NEXT) | instid1(VALU_DEP_2)
	v_cmp_gt_i32_e64 s17, 0, v199
	v_cmp_ne_u32_e32 vcc_lo, 0, v63
	v_not_b32_e32 v63, v199
	v_bitop3_b32 v62, vcc_lo, exec_lo, v62 bitop3:0x48
	s_delay_alu instid0(VALU_DEP_2) | instskip(SKIP_2) | instid1(VALU_DEP_3)
	v_dual_ashrrev_i32 v63, 31, v63 :: v_dual_lshlrev_b32 v200, 29, v65
	v_dual_lshlrev_b32 v201, 28, v65 :: v_dual_lshlrev_b32 v202, 27, v65
	v_lshlrev_b32_e32 v203, 26, v65
	v_not_b32_e32 v199, v200
	v_lshlrev_b32_e32 v204, 25, v65
	v_cmp_gt_i32_e64 s18, 0, v200
	v_cmp_gt_i32_e64 s19, 0, v201
	v_not_b32_e32 v200, v201
	v_not_b32_e32 v201, v202
	v_ashrrev_i32_e32 v199, 31, v199
	v_cmp_gt_i32_e64 s20, 0, v202
	v_cmp_gt_i32_e64 s21, 0, v203
	v_not_b32_e32 v202, v203
	v_not_b32_e32 v203, v204
	v_dual_ashrrev_i32 v200, 31, v200 :: v_dual_ashrrev_i32 v201, 31, v201
	s_delay_alu instid0(VALU_DEP_3) | instskip(SKIP_2) | instid1(VALU_DEP_4)
	v_dual_ashrrev_i32 v202, 31, v202 :: v_dual_bitop2_b32 v63, s17, v63 bitop3:0x14
	v_xor_b32_e32 v199, s18, v199
	v_cmp_gt_i32_e64 s22, 0, v204
	v_dual_ashrrev_i32 v203, 31, v203 :: v_dual_bitop2_b32 v200, s19, v200 bitop3:0x14
	v_xor_b32_e32 v201, s20, v201
	s_delay_alu instid0(VALU_DEP_4) | instskip(SKIP_3) | instid1(VALU_DEP_4)
	v_bitop3_b32 v62, v62, v199, v63 bitop3:0x80
	v_mad_u32_u24 v63, v65, 36, v23
	v_xor_b32_e32 v199, s21, v202
	v_xor_b32_e32 v202, s22, v203
	v_bitop3_b32 v62, v62, v201, v200 bitop3:0x80
	ds_load_b32 v200, v63 offset:544
	v_mul_u32_u24_e32 v63, 36, v65
	; wave barrier
	v_bitop3_b32 v62, v62, v202, v199 bitop3:0x80
	s_delay_alu instid0(VALU_DEP_2) | instskip(NEXT) | instid1(VALU_DEP_2)
	v_add_nc_u32_e32 v202, v23, v63
	v_mbcnt_lo_u32_b32 v201, v62, 0
	v_cmp_ne_u32_e64 s17, 0, v62
	s_delay_alu instid0(VALU_DEP_2) | instskip(SKIP_1) | instid1(SALU_CYCLE_1)
	v_cmp_eq_u32_e32 vcc_lo, 0, v201
	s_and_b32 s18, s17, vcc_lo
	s_and_saveexec_b32 s17, s18
	s_cbranch_execz .LBB1038_798
; %bb.797:                              ;   in Loop: Header=BB1038_730 Depth=2
	s_wait_dscnt 0x0
	v_bcnt_u32_b32 v62, v62, v200
	ds_store_b32 v202, v62 offset:544
.LBB1038_798:                           ;   in Loop: Header=BB1038_730 Depth=2
	s_or_b32 exec_lo, exec_lo, s17
	v_xor_b32_e32 v199, 0xffff8000, v64
	; wave barrier
	s_delay_alu instid0(VALU_DEP_1) | instskip(NEXT) | instid1(VALU_DEP_1)
	v_and_b32_e32 v62, 0xffff, v199
	v_lshrrev_b32_e32 v62, s49, v62
	s_delay_alu instid0(VALU_DEP_1) | instskip(NEXT) | instid1(VALU_DEP_1)
	v_and_b32_e32 v64, s48, v62
	v_lshlrev_b32_e32 v65, 30, v64
	v_bitop3_b32 v63, v62, 1, s48 bitop3:0x80
	s_delay_alu instid0(VALU_DEP_1) | instskip(NEXT) | instid1(VALU_DEP_1)
	v_add_co_u32 v62, s17, v63, -1
	v_cndmask_b32_e64 v63, 0, 1, s17
	s_delay_alu instid0(VALU_DEP_4) | instskip(NEXT) | instid1(VALU_DEP_2)
	v_cmp_gt_i32_e64 s17, 0, v65
	v_cmp_ne_u32_e32 vcc_lo, 0, v63
	v_not_b32_e32 v63, v65
	v_bitop3_b32 v62, vcc_lo, exec_lo, v62 bitop3:0x48
	s_delay_alu instid0(VALU_DEP_2) | instskip(SKIP_2) | instid1(VALU_DEP_3)
	v_dual_ashrrev_i32 v63, 31, v63 :: v_dual_lshlrev_b32 v203, 29, v64
	v_dual_lshlrev_b32 v204, 28, v64 :: v_dual_lshlrev_b32 v205, 27, v64
	v_lshlrev_b32_e32 v206, 26, v64
	v_not_b32_e32 v65, v203
	v_lshlrev_b32_e32 v207, 25, v64
	v_cmp_gt_i32_e64 s18, 0, v203
	v_cmp_gt_i32_e64 s19, 0, v204
	v_not_b32_e32 v203, v204
	v_not_b32_e32 v204, v205
	v_ashrrev_i32_e32 v65, 31, v65
	v_cmp_gt_i32_e64 s20, 0, v205
	v_cmp_gt_i32_e64 s21, 0, v206
	v_not_b32_e32 v205, v206
	v_not_b32_e32 v206, v207
	v_dual_ashrrev_i32 v203, 31, v203 :: v_dual_ashrrev_i32 v204, 31, v204
	s_delay_alu instid0(VALU_DEP_3) | instskip(NEXT) | instid1(VALU_DEP_3)
	v_dual_ashrrev_i32 v205, 31, v205 :: v_dual_bitop2_b32 v63, s17, v63 bitop3:0x14
	v_dual_ashrrev_i32 v206, 31, v206 :: v_dual_bitop2_b32 v65, s18, v65 bitop3:0x14
	v_cmp_gt_i32_e64 s22, 0, v207
	s_delay_alu instid0(VALU_DEP_4) | instskip(SKIP_1) | instid1(VALU_DEP_4)
	v_xor_b32_e32 v203, s19, v203
	v_xor_b32_e32 v204, s20, v204
	v_bitop3_b32 v62, v62, v65, v63 bitop3:0x80
	v_mad_u32_u24 v63, v64, 36, v23
	v_xor_b32_e32 v65, s21, v205
	v_xor_b32_e32 v205, s22, v206
	s_delay_alu instid0(VALU_DEP_4) | instskip(SKIP_3) | instid1(VALU_DEP_2)
	v_bitop3_b32 v62, v62, v204, v203 bitop3:0x80
	ds_load_b32 v203, v63 offset:544
	v_mul_u32_u24_e32 v63, 36, v64
	; wave barrier
	v_bitop3_b32 v62, v62, v205, v65 bitop3:0x80
	v_add_nc_u32_e32 v205, v23, v63
	s_delay_alu instid0(VALU_DEP_2) | instskip(SKIP_1) | instid1(VALU_DEP_2)
	v_mbcnt_lo_u32_b32 v204, v62, 0
	v_cmp_ne_u32_e64 s17, 0, v62
	v_cmp_eq_u32_e32 vcc_lo, 0, v204
	s_and_b32 s18, s17, vcc_lo
	s_delay_alu instid0(SALU_CYCLE_1)
	s_and_saveexec_b32 s17, s18
	s_cbranch_execz .LBB1038_800
; %bb.799:                              ;   in Loop: Header=BB1038_730 Depth=2
	s_wait_dscnt 0x0
	v_bcnt_u32_b32 v62, v62, v203
	ds_store_b32 v205, v62 offset:544
.LBB1038_800:                           ;   in Loop: Header=BB1038_730 Depth=2
	s_or_b32 exec_lo, exec_lo, s17
	v_and_b32_e32 v62, 0xffff, v142
	; wave barrier
	s_delay_alu instid0(VALU_DEP_1) | instskip(NEXT) | instid1(VALU_DEP_1)
	v_lshrrev_b32_e32 v62, s49, v62
	v_and_b32_e32 v64, s48, v62
	s_delay_alu instid0(VALU_DEP_1) | instskip(SKIP_1) | instid1(VALU_DEP_1)
	v_lshlrev_b32_e32 v65, 30, v64
	v_bitop3_b32 v63, v62, 1, s48 bitop3:0x80
	v_add_co_u32 v62, s17, v63, -1
	s_delay_alu instid0(VALU_DEP_1) | instskip(NEXT) | instid1(VALU_DEP_4)
	v_cndmask_b32_e64 v63, 0, 1, s17
	v_cmp_gt_i32_e64 s17, 0, v65
	s_delay_alu instid0(VALU_DEP_2) | instskip(SKIP_2) | instid1(VALU_DEP_2)
	v_cmp_ne_u32_e32 vcc_lo, 0, v63
	v_not_b32_e32 v63, v65
	v_bitop3_b32 v62, vcc_lo, exec_lo, v62 bitop3:0x48
	v_dual_ashrrev_i32 v63, 31, v63 :: v_dual_lshlrev_b32 v206, 29, v64
	v_dual_lshlrev_b32 v207, 28, v64 :: v_dual_lshlrev_b32 v208, 27, v64
	v_lshlrev_b32_e32 v209, 26, v64
	s_delay_alu instid0(VALU_DEP_3)
	v_not_b32_e32 v65, v206
	v_lshlrev_b32_e32 v210, 25, v64
	v_cmp_gt_i32_e64 s18, 0, v206
	v_cmp_gt_i32_e64 s19, 0, v207
	v_not_b32_e32 v206, v207
	v_not_b32_e32 v207, v208
	v_ashrrev_i32_e32 v65, 31, v65
	v_cmp_gt_i32_e64 s20, 0, v208
	v_cmp_gt_i32_e64 s21, 0, v209
	v_not_b32_e32 v208, v209
	v_dual_ashrrev_i32 v206, 31, v206 :: v_dual_ashrrev_i32 v207, 31, v207
	v_xor_b32_e32 v63, s17, v63
	v_xor_b32_e32 v65, s18, v65
	v_not_b32_e32 v209, v210
	s_delay_alu instid0(VALU_DEP_4) | instskip(SKIP_1) | instid1(VALU_DEP_4)
	v_dual_ashrrev_i32 v208, 31, v208 :: v_dual_bitop2_b32 v206, s19, v206 bitop3:0x14
	v_xor_b32_e32 v207, s20, v207
	v_bitop3_b32 v62, v62, v65, v63 bitop3:0x80
	v_cmp_gt_i32_e32 vcc_lo, 0, v210
	v_ashrrev_i32_e32 v63, 31, v209
	v_mad_u32_u24 v65, v64, 36, v23
	v_xor_b32_e32 v208, s21, v208
	v_bitop3_b32 v62, v62, v207, v206 bitop3:0x80
	s_delay_alu instid0(VALU_DEP_4) | instskip(SKIP_3) | instid1(VALU_DEP_2)
	v_xor_b32_e32 v63, vcc_lo, v63
	ds_load_b32 v206, v65 offset:544
	; wave barrier
	v_bitop3_b32 v62, v62, v63, v208 bitop3:0x80
	v_mul_u32_u24_e32 v63, 36, v64
	v_mbcnt_lo_u32_b32 v207, v62, 0
	v_cmp_ne_u32_e64 s17, 0, v62
	s_delay_alu instid0(VALU_DEP_3) | instskip(NEXT) | instid1(VALU_DEP_3)
	v_add_nc_u32_e32 v208, v23, v63
	v_cmp_eq_u32_e32 vcc_lo, 0, v207
	s_and_b32 s18, s17, vcc_lo
	s_delay_alu instid0(SALU_CYCLE_1)
	s_and_saveexec_b32 s17, s18
	s_cbranch_execz .LBB1038_802
; %bb.801:                              ;   in Loop: Header=BB1038_730 Depth=2
	s_wait_dscnt 0x0
	v_bcnt_u32_b32 v62, v62, v206
	ds_store_b32 v208, v62 offset:544
.LBB1038_802:                           ;   in Loop: Header=BB1038_730 Depth=2
	s_or_b32 exec_lo, exec_lo, s17
	; wave barrier
	s_wait_dscnt 0x0
	s_barrier_signal -1
	s_barrier_wait -1
	ds_load_2addr_b32 v[64:65], v89 offset0:136 offset1:137
	ds_load_2addr_b32 v[62:63], v89 offset0:138 offset1:139
	ds_load_b32 v209, v89 offset:560
	s_wait_dscnt 0x1
	v_add3_u32 v210, v65, v64, v62
	s_wait_dscnt 0x0
	s_delay_alu instid0(VALU_DEP_1) | instskip(NEXT) | instid1(VALU_DEP_1)
	v_add3_u32 v209, v210, v63, v209
	v_mov_b32_dpp v210, v209 row_shr:1 row_mask:0xf bank_mask:0xf
	s_delay_alu instid0(VALU_DEP_1) | instskip(NEXT) | instid1(VALU_DEP_1)
	v_cndmask_b32_e64 v210, v210, 0, s9
	v_add_nc_u32_e32 v209, v210, v209
	s_delay_alu instid0(VALU_DEP_1) | instskip(NEXT) | instid1(VALU_DEP_1)
	v_mov_b32_dpp v210, v209 row_shr:2 row_mask:0xf bank_mask:0xf
	v_cndmask_b32_e64 v210, 0, v210, s10
	s_delay_alu instid0(VALU_DEP_1) | instskip(NEXT) | instid1(VALU_DEP_1)
	v_add_nc_u32_e32 v209, v209, v210
	v_mov_b32_dpp v210, v209 row_shr:4 row_mask:0xf bank_mask:0xf
	s_delay_alu instid0(VALU_DEP_1) | instskip(NEXT) | instid1(VALU_DEP_1)
	v_cndmask_b32_e64 v210, 0, v210, s11
	v_add_nc_u32_e32 v209, v209, v210
	s_delay_alu instid0(VALU_DEP_1) | instskip(NEXT) | instid1(VALU_DEP_1)
	v_mov_b32_dpp v210, v209 row_shr:8 row_mask:0xf bank_mask:0xf
	v_cndmask_b32_e64 v210, 0, v210, s12
	s_delay_alu instid0(VALU_DEP_1) | instskip(SKIP_3) | instid1(VALU_DEP_1)
	v_add_nc_u32_e32 v209, v209, v210
	ds_swizzle_b32 v210, v209 offset:swizzle(BROADCAST,32,15)
	s_wait_dscnt 0x0
	v_cndmask_b32_e64 v210, v210, 0, s13
	v_add_nc_u32_e32 v209, v209, v210
	s_and_saveexec_b32 s17, s2
; %bb.803:                              ;   in Loop: Header=BB1038_730 Depth=2
	ds_store_b32 v82, v209 offset:512
; %bb.804:                              ;   in Loop: Header=BB1038_730 Depth=2
	s_or_b32 exec_lo, exec_lo, s17
	s_wait_dscnt 0x0
	s_barrier_signal -1
	s_barrier_wait -1
	s_and_saveexec_b32 s17, s3
	s_cbranch_execz .LBB1038_806
; %bb.805:                              ;   in Loop: Header=BB1038_730 Depth=2
	ds_load_b32 v210, v91 offset:512
	s_wait_dscnt 0x0
	v_mov_b32_dpp v211, v210 row_shr:1 row_mask:0xf bank_mask:0xf
	s_delay_alu instid0(VALU_DEP_1) | instskip(NEXT) | instid1(VALU_DEP_1)
	v_cndmask_b32_e64 v211, v211, 0, s14
	v_add_nc_u32_e32 v210, v211, v210
	s_delay_alu instid0(VALU_DEP_1) | instskip(NEXT) | instid1(VALU_DEP_1)
	v_mov_b32_dpp v211, v210 row_shr:2 row_mask:0xf bank_mask:0xf
	v_cndmask_b32_e64 v211, 0, v211, s15
	s_delay_alu instid0(VALU_DEP_1) | instskip(NEXT) | instid1(VALU_DEP_1)
	v_add_nc_u32_e32 v210, v210, v211
	v_mov_b32_dpp v211, v210 row_shr:4 row_mask:0xf bank_mask:0xf
	s_delay_alu instid0(VALU_DEP_1) | instskip(NEXT) | instid1(VALU_DEP_1)
	v_cndmask_b32_e64 v211, 0, v211, s16
	v_add_nc_u32_e32 v210, v210, v211
	ds_store_b32 v91, v210 offset:512
.LBB1038_806:                           ;   in Loop: Header=BB1038_730 Depth=2
	s_or_b32 exec_lo, exec_lo, s17
	v_mov_b32_e32 v210, 0
	s_wait_dscnt 0x0
	s_barrier_signal -1
	s_barrier_wait -1
	s_and_saveexec_b32 s17, s5
; %bb.807:                              ;   in Loop: Header=BB1038_730 Depth=2
	ds_load_b32 v210, v82 offset:508
; %bb.808:                              ;   in Loop: Header=BB1038_730 Depth=2
	s_or_b32 exec_lo, exec_lo, s17
	s_wait_dscnt 0x0
	v_add_nc_u32_e32 v209, v210, v209
	ds_bpermute_b32 v209, v121, v209
	s_wait_dscnt 0x0
	v_cndmask_b32_e64 v209, v209, v210, s8
	s_delay_alu instid0(VALU_DEP_1) | instskip(NEXT) | instid1(VALU_DEP_1)
	v_cndmask_b32_e64 v209, v209, 0, s6
	v_add_nc_u32_e32 v64, v209, v64
	s_delay_alu instid0(VALU_DEP_1) | instskip(NEXT) | instid1(VALU_DEP_1)
	v_add_nc_u32_e32 v65, v64, v65
	v_add_nc_u32_e32 v62, v65, v62
	s_delay_alu instid0(VALU_DEP_1)
	v_add_nc_u32_e32 v63, v62, v63
	ds_store_2addr_b32 v89, v209, v64 offset0:136 offset1:137
	ds_store_2addr_b32 v89, v65, v62 offset0:138 offset1:139
	ds_store_b32 v89, v63 offset:560
	s_wait_dscnt 0x0
	s_barrier_signal -1
	s_barrier_wait -1
	ds_load_b32 v64, v146 offset:544
	ds_load_b32 v65, v150 offset:544
	ds_load_b32 v146, v154 offset:544
	ds_load_b32 v150, v159 offset:544
	ds_load_b32 v154, v165 offset:544
	ds_load_b32 v209, v170 offset:544
	ds_load_b32 v175, v175 offset:544
	ds_load_b32 v179, v179 offset:544
	ds_load_b32 v182, v182 offset:544
	ds_load_b32 v185, v185 offset:544
	ds_load_b32 v190, v190 offset:544
	ds_load_b32 v210, v164 offset:544
	ds_load_b32 v211, v161 offset:544
	ds_load_b32 v212, v156 offset:544
	ds_load_b32 v62, v202 offset:544
	ds_load_b32 v63, v205 offset:544
	ds_load_b32 v170, v208 offset:544
	s_and_saveexec_b32 s17, s0
	s_cbranch_execz .LBB1038_812
; %bb.809:                              ;   in Loop: Header=BB1038_730 Depth=2
	ds_load_b32 v137, v92 offset:544
	v_mov_b32_e32 v140, 0x1100
	s_and_saveexec_b32 s18, s7
; %bb.810:                              ;   in Loop: Header=BB1038_730 Depth=2
	ds_load_b32 v140, v93 offset:544
; %bb.811:                              ;   in Loop: Header=BB1038_730 Depth=2
	s_or_b32 exec_lo, exec_lo, s18
	s_wait_dscnt 0x0
	v_sub_nc_u32_e32 v140, v140, v137
.LBB1038_812:                           ;   in Loop: Header=BB1038_730 Depth=2
	s_or_b32 exec_lo, exec_lo, s17
	s_wait_dscnt 0x0
	s_barrier_signal -1
	s_barrier_wait -1
	s_and_saveexec_b32 s17, s0
	s_cbranch_execz .LBB1038_814
; %bb.813:                              ;   in Loop: Header=BB1038_730 Depth=2
	ds_load_b32 v156, v3
	s_wait_dscnt 0x0
	v_sub_nc_u32_e32 v156, v156, v137
	ds_store_b32 v3, v156
.LBB1038_814:                           ;   in Loop: Header=BB1038_730 Depth=2
	s_or_b32 exec_lo, exec_lo, s17
	v_add3_u32 v161, v153, v152, v146
	v_add_nc_u32_e32 v165, v64, v144
	v_add3_u32 v164, v149, v148, v65
	v_add3_u32 v159, v158, v157, v150
	;; [unrolled: 1-line block ×4, first 2 shown]
	v_lshlrev_b32_e32 v62, 1, v161
	v_dual_lshlrev_b32 v162, 1, v165 :: v_dual_lshlrev_b32 v163, 1, v164
	v_add3_u32 v157, v168, v167, v209
	v_add3_u32 v156, v173, v172, v175
	;; [unrolled: 1-line block ×5, first 2 shown]
	v_lshlrev_b32_e32 v63, 1, v159
	v_add3_u32 v152, v184, v183, v185
	ds_store_b16 v162, v143 offset:512
	ds_store_b16 v163, v145 offset:512
	v_lshlrev_b32_e32 v143, 1, v158
	v_add3_u32 v150, v188, v187, v190
	v_dual_lshlrev_b32 v145, 1, v157 :: v_dual_lshlrev_b32 v162, 1, v156
	v_add3_u32 v149, v192, v191, v210
	v_add3_u32 v65, v195, v194, v211
	ds_store_b16 v62, v147 offset:512
	ds_store_b16 v63, v151 offset:512
	;; [unrolled: 1-line block ×5, first 2 shown]
	v_dual_lshlrev_b32 v62, 1, v154 :: v_dual_lshlrev_b32 v63, 1, v153
	v_add3_u32 v64, v198, v197, v212
	v_dual_lshlrev_b32 v143, 1, v152 :: v_dual_lshlrev_b32 v145, 1, v150
	v_add3_u32 v144, v207, v206, v170
	v_lshlrev_b32_e32 v147, 1, v149
	ds_store_b16 v62, v171 offset:512
	ds_store_b16 v63, v176 offset:512
	;; [unrolled: 1-line block ×5, first 2 shown]
	v_dual_lshlrev_b32 v62, 1, v65 :: v_dual_lshlrev_b32 v143, 1, v148
	v_cmp_lt_u32_e32 vcc_lo, v2, v141
	v_dual_lshlrev_b32 v63, 1, v64 :: v_dual_lshlrev_b32 v145, 1, v146
	v_lshlrev_b32_e32 v147, 1, v144
	ds_store_b16 v62, v189 offset:512
	ds_store_b16 v63, v193 offset:512
	;; [unrolled: 1-line block ×5, first 2 shown]
	s_wait_dscnt 0x0
	s_barrier_signal -1
	s_barrier_wait -1
	s_and_saveexec_b32 s17, vcc_lo
	s_cbranch_execnz .LBB1038_887
; %bb.815:                              ;   in Loop: Header=BB1038_730 Depth=2
	s_or_b32 exec_lo, exec_lo, s17
	v_cmp_lt_u32_e64 s17, v66, v141
	s_and_saveexec_b32 s18, s17
	s_cbranch_execnz .LBB1038_888
.LBB1038_816:                           ;   in Loop: Header=BB1038_730 Depth=2
	s_or_b32 exec_lo, exec_lo, s18
	v_cmp_lt_u32_e64 s18, v67, v141
	s_and_saveexec_b32 s19, s18
	s_cbranch_execnz .LBB1038_889
.LBB1038_817:                           ;   in Loop: Header=BB1038_730 Depth=2
	s_or_b32 exec_lo, exec_lo, s19
	v_cmp_lt_u32_e64 s19, v68, v141
	s_and_saveexec_b32 s20, s19
	s_cbranch_execnz .LBB1038_890
.LBB1038_818:                           ;   in Loop: Header=BB1038_730 Depth=2
	s_or_b32 exec_lo, exec_lo, s20
	v_cmp_lt_u32_e64 s20, v69, v141
	s_and_saveexec_b32 s21, s20
	s_cbranch_execnz .LBB1038_891
.LBB1038_819:                           ;   in Loop: Header=BB1038_730 Depth=2
	s_or_b32 exec_lo, exec_lo, s21
	v_cmp_lt_u32_e64 s21, v70, v141
	s_and_saveexec_b32 s22, s21
	s_cbranch_execnz .LBB1038_892
.LBB1038_820:                           ;   in Loop: Header=BB1038_730 Depth=2
	s_or_b32 exec_lo, exec_lo, s22
	v_cmp_lt_u32_e64 s22, v71, v141
	s_and_saveexec_b32 s23, s22
	s_cbranch_execnz .LBB1038_893
.LBB1038_821:                           ;   in Loop: Header=BB1038_730 Depth=2
	s_or_b32 exec_lo, exec_lo, s23
	v_cmp_lt_u32_e64 s23, v72, v141
	s_and_saveexec_b32 s24, s23
	s_cbranch_execnz .LBB1038_894
.LBB1038_822:                           ;   in Loop: Header=BB1038_730 Depth=2
	s_or_b32 exec_lo, exec_lo, s24
	v_cmp_lt_u32_e64 s24, v73, v141
	s_and_saveexec_b32 s25, s24
	s_cbranch_execnz .LBB1038_895
.LBB1038_823:                           ;   in Loop: Header=BB1038_730 Depth=2
	s_or_b32 exec_lo, exec_lo, s25
	v_cmp_lt_u32_e64 s25, v74, v141
	s_and_saveexec_b32 s26, s25
	s_cbranch_execnz .LBB1038_896
.LBB1038_824:                           ;   in Loop: Header=BB1038_730 Depth=2
	s_or_b32 exec_lo, exec_lo, s26
	v_cmp_lt_u32_e64 s26, v75, v141
	s_and_saveexec_b32 s27, s26
	s_cbranch_execnz .LBB1038_897
.LBB1038_825:                           ;   in Loop: Header=BB1038_730 Depth=2
	s_or_b32 exec_lo, exec_lo, s27
	v_cmp_lt_u32_e64 s27, v76, v141
	s_and_saveexec_b32 s28, s27
	s_cbranch_execnz .LBB1038_898
.LBB1038_826:                           ;   in Loop: Header=BB1038_730 Depth=2
	s_or_b32 exec_lo, exec_lo, s28
	v_cmp_lt_u32_e64 s28, v77, v141
	s_and_saveexec_b32 s29, s28
	s_cbranch_execnz .LBB1038_899
.LBB1038_827:                           ;   in Loop: Header=BB1038_730 Depth=2
	s_or_b32 exec_lo, exec_lo, s29
	v_cmp_lt_u32_e64 s29, v78, v141
	s_and_saveexec_b32 s30, s29
	s_cbranch_execnz .LBB1038_900
.LBB1038_828:                           ;   in Loop: Header=BB1038_730 Depth=2
	s_or_b32 exec_lo, exec_lo, s30
	v_cmp_lt_u32_e64 s30, v79, v141
	s_and_saveexec_b32 s31, s30
	s_cbranch_execnz .LBB1038_901
.LBB1038_829:                           ;   in Loop: Header=BB1038_730 Depth=2
	s_or_b32 exec_lo, exec_lo, s31
	v_cmp_lt_u32_e64 s31, v80, v141
	s_and_saveexec_b32 s33, s31
	s_cbranch_execnz .LBB1038_902
.LBB1038_830:                           ;   in Loop: Header=BB1038_730 Depth=2
	s_or_b32 exec_lo, exec_lo, s33
	v_cmp_lt_u32_e64 s33, v81, v141
	s_and_saveexec_b32 s60, s33
	s_cbranch_execz .LBB1038_832
.LBB1038_831:                           ;   in Loop: Header=BB1038_730 Depth=2
	ds_load_u16 v62, v94 offset:8704
	s_wait_dscnt 0x0
	v_and_b32_e32 v63, 0xffff, v62
	v_xor_b32_e32 v62, 0xffff8000, v62
	s_delay_alu instid0(VALU_DEP_2) | instskip(NEXT) | instid1(VALU_DEP_1)
	v_lshrrev_b32_e32 v63, s49, v63
	v_and_b32_e32 v63, s48, v63
	s_delay_alu instid0(VALU_DEP_1)
	v_lshlrev_b32_e32 v63, 2, v63
	ds_load_b32 v63, v63
	s_wait_dscnt 0x0
	v_add_nc_u32_e32 v63, v63, v81
	global_store_b16 v63, v62, s[38:39] scale_offset
.LBB1038_832:                           ;   in Loop: Header=BB1038_730 Depth=2
	s_wait_xcnt 0x0
	s_or_b32 exec_lo, exec_lo, s60
	v_lshl_add_u64 v[62:63], s[34:35], 3, v[24:25]
	v_cmp_lt_u32_e64 s34, v102, v141
	s_and_saveexec_b32 s60, s34
	s_delay_alu instid0(SALU_CYCLE_1)
	s_xor_b32 s34, exec_lo, s60
	s_cbranch_execnz .LBB1038_903
; %bb.833:                              ;   in Loop: Header=BB1038_730 Depth=2
	s_or_b32 exec_lo, exec_lo, s34
	s_delay_alu instid0(SALU_CYCLE_1)
	s_mov_b32 s60, exec_lo
	v_cmpx_lt_u32_e64 v105, v141
	s_cbranch_execnz .LBB1038_904
.LBB1038_834:                           ;   in Loop: Header=BB1038_730 Depth=2
	s_or_b32 exec_lo, exec_lo, s60
	s_delay_alu instid0(SALU_CYCLE_1)
	s_mov_b32 s60, exec_lo
	v_cmpx_lt_u32_e64 v106, v141
	s_cbranch_execnz .LBB1038_905
.LBB1038_835:                           ;   in Loop: Header=BB1038_730 Depth=2
	s_or_b32 exec_lo, exec_lo, s60
	s_delay_alu instid0(SALU_CYCLE_1)
	s_mov_b32 s60, exec_lo
	v_cmpx_lt_u32_e64 v107, v141
	s_cbranch_execnz .LBB1038_906
.LBB1038_836:                           ;   in Loop: Header=BB1038_730 Depth=2
	s_or_b32 exec_lo, exec_lo, s60
	s_delay_alu instid0(SALU_CYCLE_1)
	s_mov_b32 s60, exec_lo
	v_cmpx_lt_u32_e64 v108, v141
	s_cbranch_execnz .LBB1038_907
.LBB1038_837:                           ;   in Loop: Header=BB1038_730 Depth=2
	s_or_b32 exec_lo, exec_lo, s60
	s_delay_alu instid0(SALU_CYCLE_1)
	s_mov_b32 s60, exec_lo
	v_cmpx_lt_u32_e64 v109, v141
	s_cbranch_execnz .LBB1038_908
.LBB1038_838:                           ;   in Loop: Header=BB1038_730 Depth=2
	s_or_b32 exec_lo, exec_lo, s60
	s_delay_alu instid0(SALU_CYCLE_1)
	s_mov_b32 s60, exec_lo
	v_cmpx_lt_u32_e64 v110, v141
	s_cbranch_execnz .LBB1038_909
.LBB1038_839:                           ;   in Loop: Header=BB1038_730 Depth=2
	s_or_b32 exec_lo, exec_lo, s60
	s_delay_alu instid0(SALU_CYCLE_1)
	s_mov_b32 s60, exec_lo
	v_cmpx_lt_u32_e64 v111, v141
	s_cbranch_execnz .LBB1038_910
.LBB1038_840:                           ;   in Loop: Header=BB1038_730 Depth=2
	s_or_b32 exec_lo, exec_lo, s60
	s_delay_alu instid0(SALU_CYCLE_1)
	s_mov_b32 s60, exec_lo
	v_cmpx_lt_u32_e64 v112, v141
	s_cbranch_execnz .LBB1038_911
.LBB1038_841:                           ;   in Loop: Header=BB1038_730 Depth=2
	s_or_b32 exec_lo, exec_lo, s60
	s_delay_alu instid0(SALU_CYCLE_1)
	s_mov_b32 s60, exec_lo
	v_cmpx_lt_u32_e64 v113, v141
	s_cbranch_execnz .LBB1038_912
.LBB1038_842:                           ;   in Loop: Header=BB1038_730 Depth=2
	s_or_b32 exec_lo, exec_lo, s60
	s_delay_alu instid0(SALU_CYCLE_1)
	s_mov_b32 s60, exec_lo
	v_cmpx_lt_u32_e64 v114, v141
	s_cbranch_execnz .LBB1038_913
.LBB1038_843:                           ;   in Loop: Header=BB1038_730 Depth=2
	s_or_b32 exec_lo, exec_lo, s60
	s_delay_alu instid0(SALU_CYCLE_1)
	s_mov_b32 s60, exec_lo
	v_cmpx_lt_u32_e64 v115, v141
	s_cbranch_execnz .LBB1038_914
.LBB1038_844:                           ;   in Loop: Header=BB1038_730 Depth=2
	s_or_b32 exec_lo, exec_lo, s60
	s_delay_alu instid0(SALU_CYCLE_1)
	s_mov_b32 s60, exec_lo
	v_cmpx_lt_u32_e64 v116, v141
	s_cbranch_execnz .LBB1038_915
.LBB1038_845:                           ;   in Loop: Header=BB1038_730 Depth=2
	s_or_b32 exec_lo, exec_lo, s60
	s_delay_alu instid0(SALU_CYCLE_1)
	s_mov_b32 s60, exec_lo
	v_cmpx_lt_u32_e64 v117, v141
	s_cbranch_execnz .LBB1038_916
.LBB1038_846:                           ;   in Loop: Header=BB1038_730 Depth=2
	s_or_b32 exec_lo, exec_lo, s60
	s_delay_alu instid0(SALU_CYCLE_1)
	s_mov_b32 s60, exec_lo
	v_cmpx_lt_u32_e64 v118, v141
	s_cbranch_execnz .LBB1038_917
.LBB1038_847:                           ;   in Loop: Header=BB1038_730 Depth=2
	s_or_b32 exec_lo, exec_lo, s60
	s_delay_alu instid0(SALU_CYCLE_1)
	s_mov_b32 s60, exec_lo
	v_cmpx_lt_u32_e64 v119, v141
	s_cbranch_execnz .LBB1038_918
.LBB1038_848:                           ;   in Loop: Header=BB1038_730 Depth=2
	s_or_b32 exec_lo, exec_lo, s60
	s_delay_alu instid0(SALU_CYCLE_1)
	s_mov_b32 s60, exec_lo
	v_cmpx_lt_u32_e64 v120, v141
	s_cbranch_execnz .LBB1038_919
.LBB1038_849:                           ;   in Loop: Header=BB1038_730 Depth=2
	s_or_b32 exec_lo, exec_lo, s60
	s_and_saveexec_b32 s34, vcc_lo
	s_cbranch_execnz .LBB1038_920
.LBB1038_850:                           ;   in Loop: Header=BB1038_730 Depth=2
	s_or_b32 exec_lo, exec_lo, s34
	s_and_saveexec_b32 s34, s17
	s_cbranch_execnz .LBB1038_921
.LBB1038_851:                           ;   in Loop: Header=BB1038_730 Depth=2
	s_or_b32 exec_lo, exec_lo, s34
	s_and_saveexec_b32 s34, s18
	s_cbranch_execnz .LBB1038_922
.LBB1038_852:                           ;   in Loop: Header=BB1038_730 Depth=2
	s_or_b32 exec_lo, exec_lo, s34
	s_and_saveexec_b32 s34, s19
	s_cbranch_execnz .LBB1038_923
.LBB1038_853:                           ;   in Loop: Header=BB1038_730 Depth=2
	s_or_b32 exec_lo, exec_lo, s34
	s_and_saveexec_b32 s34, s20
	s_cbranch_execnz .LBB1038_924
.LBB1038_854:                           ;   in Loop: Header=BB1038_730 Depth=2
	s_or_b32 exec_lo, exec_lo, s34
	s_and_saveexec_b32 s34, s21
	s_cbranch_execnz .LBB1038_925
.LBB1038_855:                           ;   in Loop: Header=BB1038_730 Depth=2
	s_or_b32 exec_lo, exec_lo, s34
	s_and_saveexec_b32 s34, s22
	s_cbranch_execnz .LBB1038_926
.LBB1038_856:                           ;   in Loop: Header=BB1038_730 Depth=2
	s_or_b32 exec_lo, exec_lo, s34
	s_and_saveexec_b32 s34, s23
	s_cbranch_execnz .LBB1038_927
.LBB1038_857:                           ;   in Loop: Header=BB1038_730 Depth=2
	s_or_b32 exec_lo, exec_lo, s34
	s_and_saveexec_b32 s34, s24
	s_cbranch_execnz .LBB1038_928
.LBB1038_858:                           ;   in Loop: Header=BB1038_730 Depth=2
	s_or_b32 exec_lo, exec_lo, s34
	s_and_saveexec_b32 s34, s25
	s_cbranch_execnz .LBB1038_929
.LBB1038_859:                           ;   in Loop: Header=BB1038_730 Depth=2
	s_or_b32 exec_lo, exec_lo, s34
	s_and_saveexec_b32 s34, s26
	s_cbranch_execnz .LBB1038_930
.LBB1038_860:                           ;   in Loop: Header=BB1038_730 Depth=2
	s_or_b32 exec_lo, exec_lo, s34
	s_and_saveexec_b32 s34, s27
	s_cbranch_execnz .LBB1038_931
.LBB1038_861:                           ;   in Loop: Header=BB1038_730 Depth=2
	s_or_b32 exec_lo, exec_lo, s34
	s_and_saveexec_b32 s34, s28
	s_cbranch_execnz .LBB1038_932
.LBB1038_862:                           ;   in Loop: Header=BB1038_730 Depth=2
	s_or_b32 exec_lo, exec_lo, s34
	s_and_saveexec_b32 s34, s29
	s_cbranch_execnz .LBB1038_933
.LBB1038_863:                           ;   in Loop: Header=BB1038_730 Depth=2
	s_or_b32 exec_lo, exec_lo, s34
	s_and_saveexec_b32 s34, s30
	s_cbranch_execnz .LBB1038_934
.LBB1038_864:                           ;   in Loop: Header=BB1038_730 Depth=2
	s_or_b32 exec_lo, exec_lo, s34
	s_and_saveexec_b32 s34, s31
	s_cbranch_execnz .LBB1038_935
.LBB1038_865:                           ;   in Loop: Header=BB1038_730 Depth=2
	s_or_b32 exec_lo, exec_lo, s34
	s_and_saveexec_b32 s34, s33
	s_cbranch_execz .LBB1038_867
.LBB1038_866:                           ;   in Loop: Header=BB1038_730 Depth=2
	ds_load_u16 v62, v94 offset:8704
	s_wait_dscnt 0x0
	v_lshrrev_b32_e32 v62, s49, v62
	s_delay_alu instid0(VALU_DEP_1)
	v_and_b32_e32 v122, s48, v62
.LBB1038_867:                           ;   in Loop: Header=BB1038_730 Depth=2
	s_or_b32 exec_lo, exec_lo, s34
	v_dual_lshlrev_b32 v62, 3, v165 :: v_dual_lshlrev_b32 v63, 3, v164
	s_wait_loadcnt 0x0
	s_wait_storecnt 0x0
	s_barrier_signal -1
	s_barrier_wait -1
	ds_store_b64 v62, v[60:61] offset:512
	ds_store_b64 v63, v[58:59] offset:512
	v_dual_lshlrev_b32 v62, 3, v161 :: v_dual_lshlrev_b32 v63, 3, v159
	v_dual_lshlrev_b32 v141, 3, v158 :: v_dual_lshlrev_b32 v142, 3, v157
	v_lshlrev_b32_e32 v143, 3, v156
	ds_store_b64 v62, v[56:57] offset:512
	ds_store_b64 v63, v[54:55] offset:512
	ds_store_b64 v141, v[52:53] offset:512
	ds_store_b64 v142, v[50:51] offset:512
	ds_store_b64 v143, v[48:49] offset:512
	v_dual_lshlrev_b32 v62, 3, v154 :: v_dual_lshlrev_b32 v63, 3, v153
	v_dual_lshlrev_b32 v141, 3, v152 :: v_dual_lshlrev_b32 v142, 3, v150
	v_lshlrev_b32_e32 v143, 3, v149
	ds_store_b64 v62, v[46:47] offset:512
	ds_store_b64 v63, v[44:45] offset:512
	ds_store_b64 v141, v[42:43] offset:512
	;; [unrolled: 8-line block ×3, first 2 shown]
	ds_store_b64 v65, v[30:31] offset:512
	ds_store_b64 v141, v[28:29] offset:512
	s_wait_dscnt 0x0
	s_barrier_signal -1
	s_barrier_wait -1
	s_and_saveexec_b32 s34, vcc_lo
	s_cbranch_execnz .LBB1038_936
; %bb.868:                              ;   in Loop: Header=BB1038_730 Depth=2
	s_or_b32 exec_lo, exec_lo, s34
	s_and_saveexec_b32 s34, s17
	s_cbranch_execnz .LBB1038_937
.LBB1038_869:                           ;   in Loop: Header=BB1038_730 Depth=2
	s_or_b32 exec_lo, exec_lo, s34
	s_and_saveexec_b32 s17, s18
	s_cbranch_execnz .LBB1038_938
.LBB1038_870:                           ;   in Loop: Header=BB1038_730 Depth=2
	s_or_b32 exec_lo, exec_lo, s17
	s_and_saveexec_b32 s17, s19
	s_cbranch_execnz .LBB1038_939
.LBB1038_871:                           ;   in Loop: Header=BB1038_730 Depth=2
	s_or_b32 exec_lo, exec_lo, s17
	s_and_saveexec_b32 s17, s20
	s_cbranch_execnz .LBB1038_940
.LBB1038_872:                           ;   in Loop: Header=BB1038_730 Depth=2
	s_or_b32 exec_lo, exec_lo, s17
	s_and_saveexec_b32 s17, s21
	s_cbranch_execnz .LBB1038_941
.LBB1038_873:                           ;   in Loop: Header=BB1038_730 Depth=2
	s_or_b32 exec_lo, exec_lo, s17
	s_and_saveexec_b32 s17, s22
	s_cbranch_execnz .LBB1038_942
.LBB1038_874:                           ;   in Loop: Header=BB1038_730 Depth=2
	s_or_b32 exec_lo, exec_lo, s17
	s_and_saveexec_b32 s17, s23
	s_cbranch_execnz .LBB1038_943
.LBB1038_875:                           ;   in Loop: Header=BB1038_730 Depth=2
	s_or_b32 exec_lo, exec_lo, s17
	s_and_saveexec_b32 s17, s24
	s_cbranch_execnz .LBB1038_944
.LBB1038_876:                           ;   in Loop: Header=BB1038_730 Depth=2
	s_or_b32 exec_lo, exec_lo, s17
	s_and_saveexec_b32 s17, s25
	s_cbranch_execnz .LBB1038_945
.LBB1038_877:                           ;   in Loop: Header=BB1038_730 Depth=2
	s_or_b32 exec_lo, exec_lo, s17
	s_and_saveexec_b32 s17, s26
	s_cbranch_execnz .LBB1038_946
.LBB1038_878:                           ;   in Loop: Header=BB1038_730 Depth=2
	s_or_b32 exec_lo, exec_lo, s17
	s_and_saveexec_b32 s17, s27
	s_cbranch_execnz .LBB1038_947
.LBB1038_879:                           ;   in Loop: Header=BB1038_730 Depth=2
	s_or_b32 exec_lo, exec_lo, s17
	s_and_saveexec_b32 s17, s28
	s_cbranch_execnz .LBB1038_948
.LBB1038_880:                           ;   in Loop: Header=BB1038_730 Depth=2
	s_or_b32 exec_lo, exec_lo, s17
	s_and_saveexec_b32 s17, s29
	s_cbranch_execnz .LBB1038_949
.LBB1038_881:                           ;   in Loop: Header=BB1038_730 Depth=2
	s_or_b32 exec_lo, exec_lo, s17
	s_and_saveexec_b32 s17, s30
	s_cbranch_execnz .LBB1038_950
.LBB1038_882:                           ;   in Loop: Header=BB1038_730 Depth=2
	s_or_b32 exec_lo, exec_lo, s17
	s_and_saveexec_b32 s17, s31
	s_cbranch_execnz .LBB1038_951
.LBB1038_883:                           ;   in Loop: Header=BB1038_730 Depth=2
	s_or_b32 exec_lo, exec_lo, s17
	s_and_saveexec_b32 s17, s33
	s_cbranch_execz .LBB1038_885
.LBB1038_884:                           ;   in Loop: Header=BB1038_730 Depth=2
	v_dual_lshlrev_b32 v62, 2, v122 :: v_dual_add_nc_u32 v63, v94, v95
	ds_load_b32 v64, v62
	ds_load_b64 v[62:63], v63 offset:33280
	s_wait_dscnt 0x1
	v_add_nc_u32_e32 v64, v64, v81
	s_wait_dscnt 0x0
	global_store_b64 v64, v[62:63], s[44:45] scale_offset
.LBB1038_885:                           ;   in Loop: Header=BB1038_730 Depth=2
	s_wait_xcnt 0x0
	s_or_b32 exec_lo, exec_lo, s17
	s_wait_storecnt 0x0
	s_barrier_signal -1
	s_barrier_wait -1
	s_and_saveexec_b32 s17, s0
	s_cbranch_execz .LBB1038_729
; %bb.886:                              ;   in Loop: Header=BB1038_730 Depth=2
	ds_load_b32 v62, v3
	s_wait_dscnt 0x0
	v_add3_u32 v62, v137, v140, v62
	ds_store_b32 v3, v62
	s_branch .LBB1038_729
.LBB1038_887:                           ;   in Loop: Header=BB1038_730 Depth=2
	ds_load_u16 v62, v94 offset:512
	s_wait_dscnt 0x0
	v_and_b32_e32 v63, 0xffff, v62
	v_xor_b32_e32 v62, 0xffff8000, v62
	s_delay_alu instid0(VALU_DEP_2) | instskip(NEXT) | instid1(VALU_DEP_1)
	v_lshrrev_b32_e32 v63, s49, v63
	v_and_b32_e32 v63, s48, v63
	s_delay_alu instid0(VALU_DEP_1)
	v_lshlrev_b32_e32 v63, 2, v63
	ds_load_b32 v63, v63
	s_wait_dscnt 0x0
	v_add_nc_u32_e32 v63, v63, v2
	global_store_b16 v63, v62, s[38:39] scale_offset
	s_wait_xcnt 0x0
	s_or_b32 exec_lo, exec_lo, s17
	v_cmp_lt_u32_e64 s17, v66, v141
	s_and_saveexec_b32 s18, s17
	s_cbranch_execz .LBB1038_816
.LBB1038_888:                           ;   in Loop: Header=BB1038_730 Depth=2
	ds_load_u16 v62, v94 offset:1024
	s_wait_dscnt 0x0
	v_and_b32_e32 v63, 0xffff, v62
	v_xor_b32_e32 v62, 0xffff8000, v62
	s_delay_alu instid0(VALU_DEP_2) | instskip(NEXT) | instid1(VALU_DEP_1)
	v_lshrrev_b32_e32 v63, s49, v63
	v_and_b32_e32 v63, s48, v63
	s_delay_alu instid0(VALU_DEP_1)
	v_lshlrev_b32_e32 v63, 2, v63
	ds_load_b32 v63, v63
	s_wait_dscnt 0x0
	v_add_nc_u32_e32 v63, v63, v66
	global_store_b16 v63, v62, s[38:39] scale_offset
	s_wait_xcnt 0x0
	s_or_b32 exec_lo, exec_lo, s18
	v_cmp_lt_u32_e64 s18, v67, v141
	s_and_saveexec_b32 s19, s18
	s_cbranch_execz .LBB1038_817
.LBB1038_889:                           ;   in Loop: Header=BB1038_730 Depth=2
	ds_load_u16 v62, v94 offset:1536
	s_wait_dscnt 0x0
	v_and_b32_e32 v63, 0xffff, v62
	v_xor_b32_e32 v62, 0xffff8000, v62
	s_delay_alu instid0(VALU_DEP_2) | instskip(NEXT) | instid1(VALU_DEP_1)
	v_lshrrev_b32_e32 v63, s49, v63
	v_and_b32_e32 v63, s48, v63
	s_delay_alu instid0(VALU_DEP_1)
	v_lshlrev_b32_e32 v63, 2, v63
	ds_load_b32 v63, v63
	s_wait_dscnt 0x0
	v_add_nc_u32_e32 v63, v63, v67
	global_store_b16 v63, v62, s[38:39] scale_offset
	s_wait_xcnt 0x0
	s_or_b32 exec_lo, exec_lo, s19
	v_cmp_lt_u32_e64 s19, v68, v141
	s_and_saveexec_b32 s20, s19
	s_cbranch_execz .LBB1038_818
.LBB1038_890:                           ;   in Loop: Header=BB1038_730 Depth=2
	ds_load_u16 v62, v94 offset:2048
	s_wait_dscnt 0x0
	v_and_b32_e32 v63, 0xffff, v62
	v_xor_b32_e32 v62, 0xffff8000, v62
	s_delay_alu instid0(VALU_DEP_2) | instskip(NEXT) | instid1(VALU_DEP_1)
	v_lshrrev_b32_e32 v63, s49, v63
	v_and_b32_e32 v63, s48, v63
	s_delay_alu instid0(VALU_DEP_1)
	v_lshlrev_b32_e32 v63, 2, v63
	ds_load_b32 v63, v63
	s_wait_dscnt 0x0
	v_add_nc_u32_e32 v63, v63, v68
	global_store_b16 v63, v62, s[38:39] scale_offset
	s_wait_xcnt 0x0
	s_or_b32 exec_lo, exec_lo, s20
	v_cmp_lt_u32_e64 s20, v69, v141
	s_and_saveexec_b32 s21, s20
	s_cbranch_execz .LBB1038_819
.LBB1038_891:                           ;   in Loop: Header=BB1038_730 Depth=2
	ds_load_u16 v62, v94 offset:2560
	s_wait_dscnt 0x0
	v_and_b32_e32 v63, 0xffff, v62
	v_xor_b32_e32 v62, 0xffff8000, v62
	s_delay_alu instid0(VALU_DEP_2) | instskip(NEXT) | instid1(VALU_DEP_1)
	v_lshrrev_b32_e32 v63, s49, v63
	v_and_b32_e32 v63, s48, v63
	s_delay_alu instid0(VALU_DEP_1)
	v_lshlrev_b32_e32 v63, 2, v63
	ds_load_b32 v63, v63
	s_wait_dscnt 0x0
	v_add_nc_u32_e32 v63, v63, v69
	global_store_b16 v63, v62, s[38:39] scale_offset
	s_wait_xcnt 0x0
	s_or_b32 exec_lo, exec_lo, s21
	v_cmp_lt_u32_e64 s21, v70, v141
	s_and_saveexec_b32 s22, s21
	s_cbranch_execz .LBB1038_820
.LBB1038_892:                           ;   in Loop: Header=BB1038_730 Depth=2
	ds_load_u16 v62, v94 offset:3072
	s_wait_dscnt 0x0
	v_and_b32_e32 v63, 0xffff, v62
	v_xor_b32_e32 v62, 0xffff8000, v62
	s_delay_alu instid0(VALU_DEP_2) | instskip(NEXT) | instid1(VALU_DEP_1)
	v_lshrrev_b32_e32 v63, s49, v63
	v_and_b32_e32 v63, s48, v63
	s_delay_alu instid0(VALU_DEP_1)
	v_lshlrev_b32_e32 v63, 2, v63
	ds_load_b32 v63, v63
	s_wait_dscnt 0x0
	v_add_nc_u32_e32 v63, v63, v70
	global_store_b16 v63, v62, s[38:39] scale_offset
	s_wait_xcnt 0x0
	s_or_b32 exec_lo, exec_lo, s22
	v_cmp_lt_u32_e64 s22, v71, v141
	s_and_saveexec_b32 s23, s22
	s_cbranch_execz .LBB1038_821
.LBB1038_893:                           ;   in Loop: Header=BB1038_730 Depth=2
	ds_load_u16 v62, v94 offset:3584
	s_wait_dscnt 0x0
	v_and_b32_e32 v63, 0xffff, v62
	v_xor_b32_e32 v62, 0xffff8000, v62
	s_delay_alu instid0(VALU_DEP_2) | instskip(NEXT) | instid1(VALU_DEP_1)
	v_lshrrev_b32_e32 v63, s49, v63
	v_and_b32_e32 v63, s48, v63
	s_delay_alu instid0(VALU_DEP_1)
	v_lshlrev_b32_e32 v63, 2, v63
	ds_load_b32 v63, v63
	s_wait_dscnt 0x0
	v_add_nc_u32_e32 v63, v63, v71
	global_store_b16 v63, v62, s[38:39] scale_offset
	s_wait_xcnt 0x0
	s_or_b32 exec_lo, exec_lo, s23
	v_cmp_lt_u32_e64 s23, v72, v141
	s_and_saveexec_b32 s24, s23
	s_cbranch_execz .LBB1038_822
.LBB1038_894:                           ;   in Loop: Header=BB1038_730 Depth=2
	ds_load_u16 v62, v94 offset:4096
	s_wait_dscnt 0x0
	v_and_b32_e32 v63, 0xffff, v62
	v_xor_b32_e32 v62, 0xffff8000, v62
	s_delay_alu instid0(VALU_DEP_2) | instskip(NEXT) | instid1(VALU_DEP_1)
	v_lshrrev_b32_e32 v63, s49, v63
	v_and_b32_e32 v63, s48, v63
	s_delay_alu instid0(VALU_DEP_1)
	v_lshlrev_b32_e32 v63, 2, v63
	ds_load_b32 v63, v63
	s_wait_dscnt 0x0
	v_add_nc_u32_e32 v63, v63, v72
	global_store_b16 v63, v62, s[38:39] scale_offset
	s_wait_xcnt 0x0
	s_or_b32 exec_lo, exec_lo, s24
	v_cmp_lt_u32_e64 s24, v73, v141
	s_and_saveexec_b32 s25, s24
	s_cbranch_execz .LBB1038_823
.LBB1038_895:                           ;   in Loop: Header=BB1038_730 Depth=2
	ds_load_u16 v62, v94 offset:4608
	s_wait_dscnt 0x0
	v_and_b32_e32 v63, 0xffff, v62
	v_xor_b32_e32 v62, 0xffff8000, v62
	s_delay_alu instid0(VALU_DEP_2) | instskip(NEXT) | instid1(VALU_DEP_1)
	v_lshrrev_b32_e32 v63, s49, v63
	v_and_b32_e32 v63, s48, v63
	s_delay_alu instid0(VALU_DEP_1)
	v_lshlrev_b32_e32 v63, 2, v63
	ds_load_b32 v63, v63
	s_wait_dscnt 0x0
	v_add_nc_u32_e32 v63, v63, v73
	global_store_b16 v63, v62, s[38:39] scale_offset
	s_wait_xcnt 0x0
	s_or_b32 exec_lo, exec_lo, s25
	v_cmp_lt_u32_e64 s25, v74, v141
	s_and_saveexec_b32 s26, s25
	s_cbranch_execz .LBB1038_824
.LBB1038_896:                           ;   in Loop: Header=BB1038_730 Depth=2
	ds_load_u16 v62, v94 offset:5120
	s_wait_dscnt 0x0
	v_and_b32_e32 v63, 0xffff, v62
	v_xor_b32_e32 v62, 0xffff8000, v62
	s_delay_alu instid0(VALU_DEP_2) | instskip(NEXT) | instid1(VALU_DEP_1)
	v_lshrrev_b32_e32 v63, s49, v63
	v_and_b32_e32 v63, s48, v63
	s_delay_alu instid0(VALU_DEP_1)
	v_lshlrev_b32_e32 v63, 2, v63
	ds_load_b32 v63, v63
	s_wait_dscnt 0x0
	v_add_nc_u32_e32 v63, v63, v74
	global_store_b16 v63, v62, s[38:39] scale_offset
	s_wait_xcnt 0x0
	s_or_b32 exec_lo, exec_lo, s26
	v_cmp_lt_u32_e64 s26, v75, v141
	s_and_saveexec_b32 s27, s26
	s_cbranch_execz .LBB1038_825
.LBB1038_897:                           ;   in Loop: Header=BB1038_730 Depth=2
	ds_load_u16 v62, v94 offset:5632
	s_wait_dscnt 0x0
	v_and_b32_e32 v63, 0xffff, v62
	v_xor_b32_e32 v62, 0xffff8000, v62
	s_delay_alu instid0(VALU_DEP_2) | instskip(NEXT) | instid1(VALU_DEP_1)
	v_lshrrev_b32_e32 v63, s49, v63
	v_and_b32_e32 v63, s48, v63
	s_delay_alu instid0(VALU_DEP_1)
	v_lshlrev_b32_e32 v63, 2, v63
	ds_load_b32 v63, v63
	s_wait_dscnt 0x0
	v_add_nc_u32_e32 v63, v63, v75
	global_store_b16 v63, v62, s[38:39] scale_offset
	s_wait_xcnt 0x0
	s_or_b32 exec_lo, exec_lo, s27
	v_cmp_lt_u32_e64 s27, v76, v141
	s_and_saveexec_b32 s28, s27
	s_cbranch_execz .LBB1038_826
.LBB1038_898:                           ;   in Loop: Header=BB1038_730 Depth=2
	ds_load_u16 v62, v94 offset:6144
	s_wait_dscnt 0x0
	v_and_b32_e32 v63, 0xffff, v62
	v_xor_b32_e32 v62, 0xffff8000, v62
	s_delay_alu instid0(VALU_DEP_2) | instskip(NEXT) | instid1(VALU_DEP_1)
	v_lshrrev_b32_e32 v63, s49, v63
	v_and_b32_e32 v63, s48, v63
	s_delay_alu instid0(VALU_DEP_1)
	v_lshlrev_b32_e32 v63, 2, v63
	ds_load_b32 v63, v63
	s_wait_dscnt 0x0
	v_add_nc_u32_e32 v63, v63, v76
	global_store_b16 v63, v62, s[38:39] scale_offset
	s_wait_xcnt 0x0
	s_or_b32 exec_lo, exec_lo, s28
	v_cmp_lt_u32_e64 s28, v77, v141
	s_and_saveexec_b32 s29, s28
	s_cbranch_execz .LBB1038_827
.LBB1038_899:                           ;   in Loop: Header=BB1038_730 Depth=2
	ds_load_u16 v62, v94 offset:6656
	s_wait_dscnt 0x0
	v_and_b32_e32 v63, 0xffff, v62
	v_xor_b32_e32 v62, 0xffff8000, v62
	s_delay_alu instid0(VALU_DEP_2) | instskip(NEXT) | instid1(VALU_DEP_1)
	v_lshrrev_b32_e32 v63, s49, v63
	v_and_b32_e32 v63, s48, v63
	s_delay_alu instid0(VALU_DEP_1)
	v_lshlrev_b32_e32 v63, 2, v63
	ds_load_b32 v63, v63
	s_wait_dscnt 0x0
	v_add_nc_u32_e32 v63, v63, v77
	global_store_b16 v63, v62, s[38:39] scale_offset
	s_wait_xcnt 0x0
	s_or_b32 exec_lo, exec_lo, s29
	v_cmp_lt_u32_e64 s29, v78, v141
	s_and_saveexec_b32 s30, s29
	s_cbranch_execz .LBB1038_828
.LBB1038_900:                           ;   in Loop: Header=BB1038_730 Depth=2
	ds_load_u16 v62, v94 offset:7168
	s_wait_dscnt 0x0
	v_and_b32_e32 v63, 0xffff, v62
	v_xor_b32_e32 v62, 0xffff8000, v62
	s_delay_alu instid0(VALU_DEP_2) | instskip(NEXT) | instid1(VALU_DEP_1)
	v_lshrrev_b32_e32 v63, s49, v63
	v_and_b32_e32 v63, s48, v63
	s_delay_alu instid0(VALU_DEP_1)
	v_lshlrev_b32_e32 v63, 2, v63
	ds_load_b32 v63, v63
	s_wait_dscnt 0x0
	v_add_nc_u32_e32 v63, v63, v78
	global_store_b16 v63, v62, s[38:39] scale_offset
	s_wait_xcnt 0x0
	s_or_b32 exec_lo, exec_lo, s30
	v_cmp_lt_u32_e64 s30, v79, v141
	s_and_saveexec_b32 s31, s30
	s_cbranch_execz .LBB1038_829
.LBB1038_901:                           ;   in Loop: Header=BB1038_730 Depth=2
	ds_load_u16 v62, v94 offset:7680
	s_wait_dscnt 0x0
	v_and_b32_e32 v63, 0xffff, v62
	v_xor_b32_e32 v62, 0xffff8000, v62
	s_delay_alu instid0(VALU_DEP_2) | instskip(NEXT) | instid1(VALU_DEP_1)
	v_lshrrev_b32_e32 v63, s49, v63
	v_and_b32_e32 v63, s48, v63
	s_delay_alu instid0(VALU_DEP_1)
	v_lshlrev_b32_e32 v63, 2, v63
	ds_load_b32 v63, v63
	s_wait_dscnt 0x0
	v_add_nc_u32_e32 v63, v63, v79
	global_store_b16 v63, v62, s[38:39] scale_offset
	s_wait_xcnt 0x0
	s_or_b32 exec_lo, exec_lo, s31
	v_cmp_lt_u32_e64 s31, v80, v141
	s_and_saveexec_b32 s33, s31
	s_cbranch_execz .LBB1038_830
.LBB1038_902:                           ;   in Loop: Header=BB1038_730 Depth=2
	ds_load_u16 v62, v94 offset:8192
	s_wait_dscnt 0x0
	v_and_b32_e32 v63, 0xffff, v62
	v_xor_b32_e32 v62, 0xffff8000, v62
	s_delay_alu instid0(VALU_DEP_2) | instskip(NEXT) | instid1(VALU_DEP_1)
	v_lshrrev_b32_e32 v63, s49, v63
	v_and_b32_e32 v63, s48, v63
	s_delay_alu instid0(VALU_DEP_1)
	v_lshlrev_b32_e32 v63, 2, v63
	ds_load_b32 v63, v63
	s_wait_dscnt 0x0
	v_add_nc_u32_e32 v63, v63, v80
	global_store_b16 v63, v62, s[38:39] scale_offset
	s_wait_xcnt 0x0
	s_or_b32 exec_lo, exec_lo, s33
	v_cmp_lt_u32_e64 s33, v81, v141
	s_and_saveexec_b32 s60, s33
	s_cbranch_execnz .LBB1038_831
	s_branch .LBB1038_832
.LBB1038_903:                           ;   in Loop: Header=BB1038_730 Depth=2
	global_load_b64 v[60:61], v[62:63], off
	s_wait_xcnt 0x0
	s_or_b32 exec_lo, exec_lo, s34
	s_delay_alu instid0(SALU_CYCLE_1)
	s_mov_b32 s60, exec_lo
	v_cmpx_lt_u32_e64 v105, v141
	s_cbranch_execz .LBB1038_834
.LBB1038_904:                           ;   in Loop: Header=BB1038_730 Depth=2
	global_load_b64 v[58:59], v[62:63], off offset:256
	s_wait_xcnt 0x0
	s_or_b32 exec_lo, exec_lo, s60
	s_delay_alu instid0(SALU_CYCLE_1)
	s_mov_b32 s60, exec_lo
	v_cmpx_lt_u32_e64 v106, v141
	s_cbranch_execz .LBB1038_835
.LBB1038_905:                           ;   in Loop: Header=BB1038_730 Depth=2
	global_load_b64 v[56:57], v[62:63], off offset:512
	s_wait_xcnt 0x0
	s_or_b32 exec_lo, exec_lo, s60
	s_delay_alu instid0(SALU_CYCLE_1)
	s_mov_b32 s60, exec_lo
	v_cmpx_lt_u32_e64 v107, v141
	s_cbranch_execz .LBB1038_836
.LBB1038_906:                           ;   in Loop: Header=BB1038_730 Depth=2
	global_load_b64 v[54:55], v[62:63], off offset:768
	s_wait_xcnt 0x0
	s_or_b32 exec_lo, exec_lo, s60
	s_delay_alu instid0(SALU_CYCLE_1)
	s_mov_b32 s60, exec_lo
	v_cmpx_lt_u32_e64 v108, v141
	s_cbranch_execz .LBB1038_837
.LBB1038_907:                           ;   in Loop: Header=BB1038_730 Depth=2
	global_load_b64 v[52:53], v[62:63], off offset:1024
	s_wait_xcnt 0x0
	s_or_b32 exec_lo, exec_lo, s60
	s_delay_alu instid0(SALU_CYCLE_1)
	s_mov_b32 s60, exec_lo
	v_cmpx_lt_u32_e64 v109, v141
	s_cbranch_execz .LBB1038_838
.LBB1038_908:                           ;   in Loop: Header=BB1038_730 Depth=2
	global_load_b64 v[50:51], v[62:63], off offset:1280
	s_wait_xcnt 0x0
	s_or_b32 exec_lo, exec_lo, s60
	s_delay_alu instid0(SALU_CYCLE_1)
	s_mov_b32 s60, exec_lo
	v_cmpx_lt_u32_e64 v110, v141
	s_cbranch_execz .LBB1038_839
.LBB1038_909:                           ;   in Loop: Header=BB1038_730 Depth=2
	global_load_b64 v[48:49], v[62:63], off offset:1536
	s_wait_xcnt 0x0
	s_or_b32 exec_lo, exec_lo, s60
	s_delay_alu instid0(SALU_CYCLE_1)
	s_mov_b32 s60, exec_lo
	v_cmpx_lt_u32_e64 v111, v141
	s_cbranch_execz .LBB1038_840
.LBB1038_910:                           ;   in Loop: Header=BB1038_730 Depth=2
	global_load_b64 v[46:47], v[62:63], off offset:1792
	s_wait_xcnt 0x0
	s_or_b32 exec_lo, exec_lo, s60
	s_delay_alu instid0(SALU_CYCLE_1)
	s_mov_b32 s60, exec_lo
	v_cmpx_lt_u32_e64 v112, v141
	s_cbranch_execz .LBB1038_841
.LBB1038_911:                           ;   in Loop: Header=BB1038_730 Depth=2
	global_load_b64 v[44:45], v[62:63], off offset:2048
	s_wait_xcnt 0x0
	s_or_b32 exec_lo, exec_lo, s60
	s_delay_alu instid0(SALU_CYCLE_1)
	s_mov_b32 s60, exec_lo
	v_cmpx_lt_u32_e64 v113, v141
	s_cbranch_execz .LBB1038_842
.LBB1038_912:                           ;   in Loop: Header=BB1038_730 Depth=2
	global_load_b64 v[42:43], v[62:63], off offset:2304
	s_wait_xcnt 0x0
	s_or_b32 exec_lo, exec_lo, s60
	s_delay_alu instid0(SALU_CYCLE_1)
	s_mov_b32 s60, exec_lo
	v_cmpx_lt_u32_e64 v114, v141
	s_cbranch_execz .LBB1038_843
.LBB1038_913:                           ;   in Loop: Header=BB1038_730 Depth=2
	global_load_b64 v[40:41], v[62:63], off offset:2560
	s_wait_xcnt 0x0
	s_or_b32 exec_lo, exec_lo, s60
	s_delay_alu instid0(SALU_CYCLE_1)
	s_mov_b32 s60, exec_lo
	v_cmpx_lt_u32_e64 v115, v141
	s_cbranch_execz .LBB1038_844
.LBB1038_914:                           ;   in Loop: Header=BB1038_730 Depth=2
	global_load_b64 v[38:39], v[62:63], off offset:2816
	s_wait_xcnt 0x0
	s_or_b32 exec_lo, exec_lo, s60
	s_delay_alu instid0(SALU_CYCLE_1)
	s_mov_b32 s60, exec_lo
	v_cmpx_lt_u32_e64 v116, v141
	s_cbranch_execz .LBB1038_845
.LBB1038_915:                           ;   in Loop: Header=BB1038_730 Depth=2
	global_load_b64 v[36:37], v[62:63], off offset:3072
	s_wait_xcnt 0x0
	s_or_b32 exec_lo, exec_lo, s60
	s_delay_alu instid0(SALU_CYCLE_1)
	s_mov_b32 s60, exec_lo
	v_cmpx_lt_u32_e64 v117, v141
	s_cbranch_execz .LBB1038_846
.LBB1038_916:                           ;   in Loop: Header=BB1038_730 Depth=2
	global_load_b64 v[34:35], v[62:63], off offset:3328
	s_wait_xcnt 0x0
	s_or_b32 exec_lo, exec_lo, s60
	s_delay_alu instid0(SALU_CYCLE_1)
	s_mov_b32 s60, exec_lo
	v_cmpx_lt_u32_e64 v118, v141
	s_cbranch_execz .LBB1038_847
.LBB1038_917:                           ;   in Loop: Header=BB1038_730 Depth=2
	global_load_b64 v[32:33], v[62:63], off offset:3584
	s_wait_xcnt 0x0
	s_or_b32 exec_lo, exec_lo, s60
	s_delay_alu instid0(SALU_CYCLE_1)
	s_mov_b32 s60, exec_lo
	v_cmpx_lt_u32_e64 v119, v141
	s_cbranch_execz .LBB1038_848
.LBB1038_918:                           ;   in Loop: Header=BB1038_730 Depth=2
	global_load_b64 v[30:31], v[62:63], off offset:3840
	s_wait_xcnt 0x0
	s_or_b32 exec_lo, exec_lo, s60
	s_delay_alu instid0(SALU_CYCLE_1)
	s_mov_b32 s60, exec_lo
	v_cmpx_lt_u32_e64 v120, v141
	s_cbranch_execz .LBB1038_849
.LBB1038_919:                           ;   in Loop: Header=BB1038_730 Depth=2
	global_load_b64 v[28:29], v[62:63], off offset:4096
	s_wait_xcnt 0x0
	s_or_b32 exec_lo, exec_lo, s60
	s_and_saveexec_b32 s34, vcc_lo
	s_cbranch_execz .LBB1038_850
.LBB1038_920:                           ;   in Loop: Header=BB1038_730 Depth=2
	ds_load_u16 v62, v94 offset:512
	s_wait_dscnt 0x0
	v_lshrrev_b32_e32 v62, s49, v62
	s_delay_alu instid0(VALU_DEP_1)
	v_and_b32_e32 v139, s48, v62
	s_or_b32 exec_lo, exec_lo, s34
	s_and_saveexec_b32 s34, s17
	s_cbranch_execz .LBB1038_851
.LBB1038_921:                           ;   in Loop: Header=BB1038_730 Depth=2
	ds_load_u16 v62, v94 offset:1024
	s_wait_dscnt 0x0
	v_lshrrev_b32_e32 v62, s49, v62
	s_delay_alu instid0(VALU_DEP_1)
	v_and_b32_e32 v138, s48, v62
	s_or_b32 exec_lo, exec_lo, s34
	s_and_saveexec_b32 s34, s18
	s_cbranch_execz .LBB1038_852
.LBB1038_922:                           ;   in Loop: Header=BB1038_730 Depth=2
	ds_load_u16 v62, v94 offset:1536
	s_wait_dscnt 0x0
	v_lshrrev_b32_e32 v62, s49, v62
	s_delay_alu instid0(VALU_DEP_1)
	v_and_b32_e32 v136, s48, v62
	s_or_b32 exec_lo, exec_lo, s34
	s_and_saveexec_b32 s34, s19
	s_cbranch_execz .LBB1038_853
.LBB1038_923:                           ;   in Loop: Header=BB1038_730 Depth=2
	ds_load_u16 v62, v94 offset:2048
	s_wait_dscnt 0x0
	v_lshrrev_b32_e32 v62, s49, v62
	s_delay_alu instid0(VALU_DEP_1)
	v_and_b32_e32 v135, s48, v62
	s_or_b32 exec_lo, exec_lo, s34
	s_and_saveexec_b32 s34, s20
	s_cbranch_execz .LBB1038_854
.LBB1038_924:                           ;   in Loop: Header=BB1038_730 Depth=2
	ds_load_u16 v62, v94 offset:2560
	s_wait_dscnt 0x0
	v_lshrrev_b32_e32 v62, s49, v62
	s_delay_alu instid0(VALU_DEP_1)
	v_and_b32_e32 v134, s48, v62
	s_or_b32 exec_lo, exec_lo, s34
	s_and_saveexec_b32 s34, s21
	s_cbranch_execz .LBB1038_855
.LBB1038_925:                           ;   in Loop: Header=BB1038_730 Depth=2
	ds_load_u16 v62, v94 offset:3072
	s_wait_dscnt 0x0
	v_lshrrev_b32_e32 v62, s49, v62
	s_delay_alu instid0(VALU_DEP_1)
	v_and_b32_e32 v133, s48, v62
	s_or_b32 exec_lo, exec_lo, s34
	s_and_saveexec_b32 s34, s22
	s_cbranch_execz .LBB1038_856
.LBB1038_926:                           ;   in Loop: Header=BB1038_730 Depth=2
	ds_load_u16 v62, v94 offset:3584
	s_wait_dscnt 0x0
	v_lshrrev_b32_e32 v62, s49, v62
	s_delay_alu instid0(VALU_DEP_1)
	v_and_b32_e32 v132, s48, v62
	s_or_b32 exec_lo, exec_lo, s34
	s_and_saveexec_b32 s34, s23
	s_cbranch_execz .LBB1038_857
.LBB1038_927:                           ;   in Loop: Header=BB1038_730 Depth=2
	ds_load_u16 v62, v94 offset:4096
	s_wait_dscnt 0x0
	v_lshrrev_b32_e32 v62, s49, v62
	s_delay_alu instid0(VALU_DEP_1)
	v_and_b32_e32 v131, s48, v62
	s_or_b32 exec_lo, exec_lo, s34
	s_and_saveexec_b32 s34, s24
	s_cbranch_execz .LBB1038_858
.LBB1038_928:                           ;   in Loop: Header=BB1038_730 Depth=2
	ds_load_u16 v62, v94 offset:4608
	s_wait_dscnt 0x0
	v_lshrrev_b32_e32 v62, s49, v62
	s_delay_alu instid0(VALU_DEP_1)
	v_and_b32_e32 v130, s48, v62
	s_or_b32 exec_lo, exec_lo, s34
	s_and_saveexec_b32 s34, s25
	s_cbranch_execz .LBB1038_859
.LBB1038_929:                           ;   in Loop: Header=BB1038_730 Depth=2
	ds_load_u16 v62, v94 offset:5120
	s_wait_dscnt 0x0
	v_lshrrev_b32_e32 v62, s49, v62
	s_delay_alu instid0(VALU_DEP_1)
	v_and_b32_e32 v129, s48, v62
	s_or_b32 exec_lo, exec_lo, s34
	s_and_saveexec_b32 s34, s26
	s_cbranch_execz .LBB1038_860
.LBB1038_930:                           ;   in Loop: Header=BB1038_730 Depth=2
	ds_load_u16 v62, v94 offset:5632
	s_wait_dscnt 0x0
	v_lshrrev_b32_e32 v62, s49, v62
	s_delay_alu instid0(VALU_DEP_1)
	v_and_b32_e32 v128, s48, v62
	s_or_b32 exec_lo, exec_lo, s34
	s_and_saveexec_b32 s34, s27
	s_cbranch_execz .LBB1038_861
.LBB1038_931:                           ;   in Loop: Header=BB1038_730 Depth=2
	ds_load_u16 v62, v94 offset:6144
	s_wait_dscnt 0x0
	v_lshrrev_b32_e32 v62, s49, v62
	s_delay_alu instid0(VALU_DEP_1)
	v_and_b32_e32 v127, s48, v62
	s_or_b32 exec_lo, exec_lo, s34
	s_and_saveexec_b32 s34, s28
	s_cbranch_execz .LBB1038_862
.LBB1038_932:                           ;   in Loop: Header=BB1038_730 Depth=2
	ds_load_u16 v62, v94 offset:6656
	s_wait_dscnt 0x0
	v_lshrrev_b32_e32 v62, s49, v62
	s_delay_alu instid0(VALU_DEP_1)
	v_and_b32_e32 v126, s48, v62
	s_or_b32 exec_lo, exec_lo, s34
	s_and_saveexec_b32 s34, s29
	s_cbranch_execz .LBB1038_863
.LBB1038_933:                           ;   in Loop: Header=BB1038_730 Depth=2
	ds_load_u16 v62, v94 offset:7168
	s_wait_dscnt 0x0
	v_lshrrev_b32_e32 v62, s49, v62
	s_delay_alu instid0(VALU_DEP_1)
	v_and_b32_e32 v125, s48, v62
	s_or_b32 exec_lo, exec_lo, s34
	s_and_saveexec_b32 s34, s30
	s_cbranch_execz .LBB1038_864
.LBB1038_934:                           ;   in Loop: Header=BB1038_730 Depth=2
	ds_load_u16 v62, v94 offset:7680
	s_wait_dscnt 0x0
	v_lshrrev_b32_e32 v62, s49, v62
	s_delay_alu instid0(VALU_DEP_1)
	v_and_b32_e32 v124, s48, v62
	s_or_b32 exec_lo, exec_lo, s34
	s_and_saveexec_b32 s34, s31
	s_cbranch_execz .LBB1038_865
.LBB1038_935:                           ;   in Loop: Header=BB1038_730 Depth=2
	ds_load_u16 v62, v94 offset:8192
	s_wait_dscnt 0x0
	v_lshrrev_b32_e32 v62, s49, v62
	s_delay_alu instid0(VALU_DEP_1)
	v_and_b32_e32 v123, s48, v62
	s_or_b32 exec_lo, exec_lo, s34
	s_and_saveexec_b32 s34, s33
	s_cbranch_execnz .LBB1038_866
	s_branch .LBB1038_867
.LBB1038_936:                           ;   in Loop: Header=BB1038_730 Depth=2
	v_lshlrev_b32_e32 v62, 2, v139
	v_add_nc_u32_e32 v63, v94, v95
	ds_load_b32 v64, v62
	ds_load_b64 v[62:63], v63 offset:512
	s_wait_dscnt 0x1
	v_add_nc_u32_e32 v64, v64, v2
	s_wait_dscnt 0x0
	global_store_b64 v64, v[62:63], s[44:45] scale_offset
	s_wait_xcnt 0x0
	s_or_b32 exec_lo, exec_lo, s34
	s_and_saveexec_b32 s34, s17
	s_cbranch_execz .LBB1038_869
.LBB1038_937:                           ;   in Loop: Header=BB1038_730 Depth=2
	v_dual_lshlrev_b32 v62, 2, v138 :: v_dual_add_nc_u32 v63, v94, v95
	ds_load_b32 v64, v62
	ds_load_b64 v[62:63], v63 offset:2560
	s_wait_dscnt 0x1
	v_add_nc_u32_e32 v64, v64, v66
	s_wait_dscnt 0x0
	global_store_b64 v64, v[62:63], s[44:45] scale_offset
	s_wait_xcnt 0x0
	s_or_b32 exec_lo, exec_lo, s34
	s_and_saveexec_b32 s17, s18
	s_cbranch_execz .LBB1038_870
.LBB1038_938:                           ;   in Loop: Header=BB1038_730 Depth=2
	v_dual_lshlrev_b32 v62, 2, v136 :: v_dual_add_nc_u32 v63, v94, v95
	ds_load_b32 v64, v62
	ds_load_b64 v[62:63], v63 offset:4608
	s_wait_dscnt 0x1
	v_add_nc_u32_e32 v64, v64, v67
	s_wait_dscnt 0x0
	global_store_b64 v64, v[62:63], s[44:45] scale_offset
	s_wait_xcnt 0x0
	s_or_b32 exec_lo, exec_lo, s17
	s_and_saveexec_b32 s17, s19
	s_cbranch_execz .LBB1038_871
.LBB1038_939:                           ;   in Loop: Header=BB1038_730 Depth=2
	v_lshlrev_b32_e32 v62, 2, v135
	v_add_nc_u32_e32 v63, v94, v95
	ds_load_b32 v64, v62
	ds_load_b64 v[62:63], v63 offset:6656
	s_wait_dscnt 0x1
	v_add_nc_u32_e32 v64, v64, v68
	s_wait_dscnt 0x0
	global_store_b64 v64, v[62:63], s[44:45] scale_offset
	s_wait_xcnt 0x0
	s_or_b32 exec_lo, exec_lo, s17
	s_and_saveexec_b32 s17, s20
	s_cbranch_execz .LBB1038_872
.LBB1038_940:                           ;   in Loop: Header=BB1038_730 Depth=2
	v_dual_lshlrev_b32 v62, 2, v134 :: v_dual_add_nc_u32 v63, v94, v95
	ds_load_b32 v64, v62
	ds_load_b64 v[62:63], v63 offset:8704
	s_wait_dscnt 0x1
	v_add_nc_u32_e32 v64, v64, v69
	s_wait_dscnt 0x0
	global_store_b64 v64, v[62:63], s[44:45] scale_offset
	s_wait_xcnt 0x0
	s_or_b32 exec_lo, exec_lo, s17
	s_and_saveexec_b32 s17, s21
	s_cbranch_execz .LBB1038_873
.LBB1038_941:                           ;   in Loop: Header=BB1038_730 Depth=2
	v_dual_lshlrev_b32 v62, 2, v133 :: v_dual_add_nc_u32 v63, v94, v95
	ds_load_b32 v64, v62
	ds_load_b64 v[62:63], v63 offset:10752
	s_wait_dscnt 0x1
	v_add_nc_u32_e32 v64, v64, v70
	s_wait_dscnt 0x0
	global_store_b64 v64, v[62:63], s[44:45] scale_offset
	s_wait_xcnt 0x0
	s_or_b32 exec_lo, exec_lo, s17
	s_and_saveexec_b32 s17, s22
	s_cbranch_execz .LBB1038_874
.LBB1038_942:                           ;   in Loop: Header=BB1038_730 Depth=2
	v_dual_lshlrev_b32 v62, 2, v132 :: v_dual_add_nc_u32 v63, v94, v95
	ds_load_b32 v64, v62
	ds_load_b64 v[62:63], v63 offset:12800
	s_wait_dscnt 0x1
	v_add_nc_u32_e32 v64, v64, v71
	s_wait_dscnt 0x0
	global_store_b64 v64, v[62:63], s[44:45] scale_offset
	s_wait_xcnt 0x0
	s_or_b32 exec_lo, exec_lo, s17
	s_and_saveexec_b32 s17, s23
	s_cbranch_execz .LBB1038_875
.LBB1038_943:                           ;   in Loop: Header=BB1038_730 Depth=2
	v_lshlrev_b32_e32 v62, 2, v131
	v_add_nc_u32_e32 v63, v94, v95
	ds_load_b32 v64, v62
	ds_load_b64 v[62:63], v63 offset:14848
	s_wait_dscnt 0x1
	v_add_nc_u32_e32 v64, v64, v72
	s_wait_dscnt 0x0
	global_store_b64 v64, v[62:63], s[44:45] scale_offset
	s_wait_xcnt 0x0
	s_or_b32 exec_lo, exec_lo, s17
	s_and_saveexec_b32 s17, s24
	s_cbranch_execz .LBB1038_876
.LBB1038_944:                           ;   in Loop: Header=BB1038_730 Depth=2
	v_dual_lshlrev_b32 v62, 2, v130 :: v_dual_add_nc_u32 v63, v94, v95
	ds_load_b32 v64, v62
	ds_load_b64 v[62:63], v63 offset:16896
	s_wait_dscnt 0x1
	v_add_nc_u32_e32 v64, v64, v73
	s_wait_dscnt 0x0
	global_store_b64 v64, v[62:63], s[44:45] scale_offset
	s_wait_xcnt 0x0
	s_or_b32 exec_lo, exec_lo, s17
	s_and_saveexec_b32 s17, s25
	s_cbranch_execz .LBB1038_877
.LBB1038_945:                           ;   in Loop: Header=BB1038_730 Depth=2
	v_dual_lshlrev_b32 v62, 2, v129 :: v_dual_add_nc_u32 v63, v94, v95
	ds_load_b32 v64, v62
	ds_load_b64 v[62:63], v63 offset:18944
	s_wait_dscnt 0x1
	v_add_nc_u32_e32 v64, v64, v74
	s_wait_dscnt 0x0
	global_store_b64 v64, v[62:63], s[44:45] scale_offset
	s_wait_xcnt 0x0
	s_or_b32 exec_lo, exec_lo, s17
	s_and_saveexec_b32 s17, s26
	s_cbranch_execz .LBB1038_878
.LBB1038_946:                           ;   in Loop: Header=BB1038_730 Depth=2
	v_dual_lshlrev_b32 v62, 2, v128 :: v_dual_add_nc_u32 v63, v94, v95
	ds_load_b32 v64, v62
	ds_load_b64 v[62:63], v63 offset:20992
	s_wait_dscnt 0x1
	v_add_nc_u32_e32 v64, v64, v75
	s_wait_dscnt 0x0
	global_store_b64 v64, v[62:63], s[44:45] scale_offset
	s_wait_xcnt 0x0
	s_or_b32 exec_lo, exec_lo, s17
	s_and_saveexec_b32 s17, s27
	s_cbranch_execz .LBB1038_879
.LBB1038_947:                           ;   in Loop: Header=BB1038_730 Depth=2
	v_lshlrev_b32_e32 v62, 2, v127
	v_add_nc_u32_e32 v63, v94, v95
	ds_load_b32 v64, v62
	ds_load_b64 v[62:63], v63 offset:23040
	s_wait_dscnt 0x1
	v_add_nc_u32_e32 v64, v64, v76
	s_wait_dscnt 0x0
	global_store_b64 v64, v[62:63], s[44:45] scale_offset
	s_wait_xcnt 0x0
	s_or_b32 exec_lo, exec_lo, s17
	s_and_saveexec_b32 s17, s28
	s_cbranch_execz .LBB1038_880
.LBB1038_948:                           ;   in Loop: Header=BB1038_730 Depth=2
	v_dual_lshlrev_b32 v62, 2, v126 :: v_dual_add_nc_u32 v63, v94, v95
	ds_load_b32 v64, v62
	ds_load_b64 v[62:63], v63 offset:25088
	s_wait_dscnt 0x1
	v_add_nc_u32_e32 v64, v64, v77
	s_wait_dscnt 0x0
	global_store_b64 v64, v[62:63], s[44:45] scale_offset
	s_wait_xcnt 0x0
	s_or_b32 exec_lo, exec_lo, s17
	s_and_saveexec_b32 s17, s29
	s_cbranch_execz .LBB1038_881
.LBB1038_949:                           ;   in Loop: Header=BB1038_730 Depth=2
	v_dual_lshlrev_b32 v62, 2, v125 :: v_dual_add_nc_u32 v63, v94, v95
	ds_load_b32 v64, v62
	ds_load_b64 v[62:63], v63 offset:27136
	s_wait_dscnt 0x1
	v_add_nc_u32_e32 v64, v64, v78
	s_wait_dscnt 0x0
	global_store_b64 v64, v[62:63], s[44:45] scale_offset
	s_wait_xcnt 0x0
	s_or_b32 exec_lo, exec_lo, s17
	s_and_saveexec_b32 s17, s30
	s_cbranch_execz .LBB1038_882
.LBB1038_950:                           ;   in Loop: Header=BB1038_730 Depth=2
	v_dual_lshlrev_b32 v62, 2, v124 :: v_dual_add_nc_u32 v63, v94, v95
	ds_load_b32 v64, v62
	ds_load_b64 v[62:63], v63 offset:29184
	s_wait_dscnt 0x1
	v_add_nc_u32_e32 v64, v64, v79
	s_wait_dscnt 0x0
	global_store_b64 v64, v[62:63], s[44:45] scale_offset
	s_wait_xcnt 0x0
	s_or_b32 exec_lo, exec_lo, s17
	s_and_saveexec_b32 s17, s31
	s_cbranch_execz .LBB1038_883
.LBB1038_951:                           ;   in Loop: Header=BB1038_730 Depth=2
	v_lshlrev_b32_e32 v62, 2, v123
	v_add_nc_u32_e32 v63, v94, v95
	ds_load_b32 v64, v62
	ds_load_b64 v[62:63], v63 offset:31232
	s_wait_dscnt 0x1
	v_add_nc_u32_e32 v64, v64, v80
	s_wait_dscnt 0x0
	global_store_b64 v64, v[62:63], s[44:45] scale_offset
	s_wait_xcnt 0x0
	s_or_b32 exec_lo, exec_lo, s17
	s_and_saveexec_b32 s17, s33
	s_cbranch_execnz .LBB1038_884
	s_branch .LBB1038_885
.LBB1038_952:                           ;   in Loop: Header=BB1038_20 Depth=1
	s_wait_dscnt 0x0
	s_barrier_signal -1
	s_mov_b32 s9, 0
	s_barrier_wait -1
.LBB1038_953:                           ;   in Loop: Header=BB1038_20 Depth=1
	s_and_b32 vcc_lo, exec_lo, s9
	s_cbranch_vccz .LBB1038_19
; %bb.954:                              ;   in Loop: Header=BB1038_20 Depth=1
	s_mov_b32 s9, s57
	s_mov_b32 s34, s55
	s_barrier_signal -1
	s_barrier_wait -1
                                        ; implicit-def: $vgpr23
                                        ; implicit-def: $vgpr24
                                        ; implicit-def: $vgpr25
                                        ; implicit-def: $vgpr26
                                        ; implicit-def: $vgpr27
                                        ; implicit-def: $vgpr28
                                        ; implicit-def: $vgpr29
                                        ; implicit-def: $vgpr30
                                        ; implicit-def: $vgpr31
                                        ; implicit-def: $vgpr32
                                        ; implicit-def: $vgpr33
                                        ; implicit-def: $vgpr34
                                        ; implicit-def: $vgpr35
                                        ; implicit-def: $vgpr36
                                        ; implicit-def: $vgpr37
                                        ; implicit-def: $vgpr38
                                        ; implicit-def: $vgpr39
	s_branch .LBB1038_956
.LBB1038_955:                           ;   in Loop: Header=BB1038_956 Depth=2
	s_or_b32 exec_lo, exec_lo, s10
	s_addk_co_i32 s9, 0xef00
	s_cmp_ge_u32 s12, s54
	s_mov_b32 s34, s12
	s_cbranch_scc1 .LBB1038_1028
.LBB1038_956:                           ;   Parent Loop BB1038_20 Depth=1
                                        ; =>  This Inner Loop Header: Depth=2
	s_add_co_i32 s12, s34, 0x1100
	s_mov_b32 s10, -1
	s_cmp_gt_u32 s12, s54
                                        ; implicit-def: $vgpr40
                                        ; implicit-def: $vgpr41
                                        ; implicit-def: $vgpr42
                                        ; implicit-def: $vgpr43
                                        ; implicit-def: $vgpr44
                                        ; implicit-def: $vgpr45
                                        ; implicit-def: $vgpr46
                                        ; implicit-def: $vgpr47
                                        ; implicit-def: $vgpr48
                                        ; implicit-def: $vgpr49
                                        ; implicit-def: $vgpr50
                                        ; implicit-def: $vgpr51
                                        ; implicit-def: $vgpr52
                                        ; implicit-def: $vgpr53
                                        ; implicit-def: $vgpr54
                                        ; implicit-def: $vgpr55
                                        ; implicit-def: $vgpr56
	s_cbranch_scc1 .LBB1038_958
; %bb.957:                              ;   in Loop: Header=BB1038_956 Depth=2
	v_lshl_add_u64 v[58:59], s[34:35], 1, v[16:17]
	s_mov_b32 s10, 0
	s_clause 0x10
	global_load_u16 v40, v[58:59], off
	global_load_u16 v41, v[58:59], off offset:512
	global_load_u16 v42, v[58:59], off offset:1024
	;; [unrolled: 1-line block ×16, first 2 shown]
.LBB1038_958:                           ;   in Loop: Header=BB1038_956 Depth=2
	s_and_not1_b32 vcc_lo, exec_lo, s10
	s_movk_i32 s10, 0x1100
	s_cbranch_vccnz .LBB1038_978
; %bb.959:                              ;   in Loop: Header=BB1038_956 Depth=2
	s_lshl_b64 s[10:11], s[34:35], 1
	s_mov_b32 s13, exec_lo
	s_add_nc_u64 s[10:11], s[36:37], s[10:11]
	s_wait_xcnt 0x0
	v_cmpx_gt_u32_e64 s9, v2
	s_cbranch_execnz .LBB1038_1012
; %bb.960:                              ;   in Loop: Header=BB1038_956 Depth=2
	s_or_b32 exec_lo, exec_lo, s13
	s_delay_alu instid0(SALU_CYCLE_1)
	s_mov_b32 s13, exec_lo
	v_cmpx_gt_u32_e64 s9, v66
	s_cbranch_execnz .LBB1038_1013
.LBB1038_961:                           ;   in Loop: Header=BB1038_956 Depth=2
	s_or_b32 exec_lo, exec_lo, s13
	s_delay_alu instid0(SALU_CYCLE_1)
	s_mov_b32 s13, exec_lo
	v_cmpx_gt_u32_e64 s9, v67
	s_cbranch_execnz .LBB1038_1014
.LBB1038_962:                           ;   in Loop: Header=BB1038_956 Depth=2
	s_or_b32 exec_lo, exec_lo, s13
	s_delay_alu instid0(SALU_CYCLE_1)
	s_mov_b32 s13, exec_lo
	v_cmpx_gt_u32_e64 s9, v68
	s_cbranch_execnz .LBB1038_1015
.LBB1038_963:                           ;   in Loop: Header=BB1038_956 Depth=2
	s_or_b32 exec_lo, exec_lo, s13
	s_delay_alu instid0(SALU_CYCLE_1)
	s_mov_b32 s13, exec_lo
	v_cmpx_gt_u32_e64 s9, v69
	s_cbranch_execnz .LBB1038_1016
.LBB1038_964:                           ;   in Loop: Header=BB1038_956 Depth=2
	s_or_b32 exec_lo, exec_lo, s13
	s_delay_alu instid0(SALU_CYCLE_1)
	s_mov_b32 s13, exec_lo
	v_cmpx_gt_u32_e64 s9, v70
	s_cbranch_execnz .LBB1038_1017
.LBB1038_965:                           ;   in Loop: Header=BB1038_956 Depth=2
	s_or_b32 exec_lo, exec_lo, s13
	s_delay_alu instid0(SALU_CYCLE_1)
	s_mov_b32 s13, exec_lo
	v_cmpx_gt_u32_e64 s9, v71
	s_cbranch_execnz .LBB1038_1018
.LBB1038_966:                           ;   in Loop: Header=BB1038_956 Depth=2
	s_or_b32 exec_lo, exec_lo, s13
	s_delay_alu instid0(SALU_CYCLE_1)
	s_mov_b32 s13, exec_lo
	v_cmpx_gt_u32_e64 s9, v72
	s_cbranch_execnz .LBB1038_1019
.LBB1038_967:                           ;   in Loop: Header=BB1038_956 Depth=2
	s_or_b32 exec_lo, exec_lo, s13
	s_delay_alu instid0(SALU_CYCLE_1)
	s_mov_b32 s13, exec_lo
	v_cmpx_gt_u32_e64 s9, v73
	s_cbranch_execnz .LBB1038_1020
.LBB1038_968:                           ;   in Loop: Header=BB1038_956 Depth=2
	s_or_b32 exec_lo, exec_lo, s13
	s_delay_alu instid0(SALU_CYCLE_1)
	s_mov_b32 s13, exec_lo
	v_cmpx_gt_u32_e64 s9, v74
	s_cbranch_execnz .LBB1038_1021
.LBB1038_969:                           ;   in Loop: Header=BB1038_956 Depth=2
	s_or_b32 exec_lo, exec_lo, s13
	s_delay_alu instid0(SALU_CYCLE_1)
	s_mov_b32 s13, exec_lo
	v_cmpx_gt_u32_e64 s9, v75
	s_cbranch_execnz .LBB1038_1022
.LBB1038_970:                           ;   in Loop: Header=BB1038_956 Depth=2
	s_or_b32 exec_lo, exec_lo, s13
	s_delay_alu instid0(SALU_CYCLE_1)
	s_mov_b32 s13, exec_lo
	v_cmpx_gt_u32_e64 s9, v76
	s_cbranch_execnz .LBB1038_1023
.LBB1038_971:                           ;   in Loop: Header=BB1038_956 Depth=2
	s_or_b32 exec_lo, exec_lo, s13
	s_delay_alu instid0(SALU_CYCLE_1)
	s_mov_b32 s13, exec_lo
	v_cmpx_gt_u32_e64 s9, v77
	s_cbranch_execnz .LBB1038_1024
.LBB1038_972:                           ;   in Loop: Header=BB1038_956 Depth=2
	s_or_b32 exec_lo, exec_lo, s13
	s_delay_alu instid0(SALU_CYCLE_1)
	s_mov_b32 s13, exec_lo
	v_cmpx_gt_u32_e64 s9, v78
	s_cbranch_execnz .LBB1038_1025
.LBB1038_973:                           ;   in Loop: Header=BB1038_956 Depth=2
	s_or_b32 exec_lo, exec_lo, s13
	s_delay_alu instid0(SALU_CYCLE_1)
	s_mov_b32 s13, exec_lo
	v_cmpx_gt_u32_e64 s9, v79
	s_cbranch_execnz .LBB1038_1026
.LBB1038_974:                           ;   in Loop: Header=BB1038_956 Depth=2
	s_or_b32 exec_lo, exec_lo, s13
	s_delay_alu instid0(SALU_CYCLE_1)
	s_mov_b32 s13, exec_lo
	v_cmpx_gt_u32_e64 s9, v80
	s_cbranch_execnz .LBB1038_1027
.LBB1038_975:                           ;   in Loop: Header=BB1038_956 Depth=2
	s_or_b32 exec_lo, exec_lo, s13
	s_delay_alu instid0(SALU_CYCLE_1)
	s_mov_b32 s13, exec_lo
	v_cmpx_gt_u32_e64 s9, v81
	s_cbranch_execz .LBB1038_977
.LBB1038_976:                           ;   in Loop: Header=BB1038_956 Depth=2
	global_load_u16 v23, v2, s[10:11] offset:8192 scale_offset
.LBB1038_977:                           ;   in Loop: Header=BB1038_956 Depth=2
	s_wait_xcnt 0x0
	s_or_b32 exec_lo, exec_lo, s13
	s_wait_loadcnt 0x0
	v_dual_mov_b32 v40, v39 :: v_dual_mov_b32 v41, v38
	v_dual_mov_b32 v42, v37 :: v_dual_mov_b32 v43, v36
	v_dual_mov_b32 v44, v35 :: v_dual_mov_b32 v45, v34
	v_dual_mov_b32 v46, v33 :: v_dual_mov_b32 v47, v32
	v_dual_mov_b32 v48, v31 :: v_dual_mov_b32 v49, v30
	v_dual_mov_b32 v50, v29 :: v_dual_mov_b32 v51, v28
	v_dual_mov_b32 v52, v27 :: v_dual_mov_b32 v53, v26
	v_dual_mov_b32 v54, v25 :: v_dual_mov_b32 v55, v24
	v_mov_b32_e32 v56, v23
	s_mov_b32 s10, s9
.LBB1038_978:                           ;   in Loop: Header=BB1038_956 Depth=2
	s_wait_loadcnt 0x0
	s_delay_alu instid0(VALU_DEP_1)
	v_dual_mov_b32 v23, v56 :: v_dual_mov_b32 v24, v55
	v_dual_mov_b32 v25, v54 :: v_dual_mov_b32 v26, v53
	;; [unrolled: 1-line block ×8, first 2 shown]
	v_mov_b32_e32 v39, v40
	s_mov_b32 s11, exec_lo
	s_wait_xcnt 0x0
	v_cmpx_gt_u32_e64 s10, v2
	s_cbranch_execnz .LBB1038_995
; %bb.979:                              ;   in Loop: Header=BB1038_956 Depth=2
	s_or_b32 exec_lo, exec_lo, s11
	s_delay_alu instid0(SALU_CYCLE_1)
	s_mov_b32 s11, exec_lo
	v_cmpx_gt_u32_e64 s10, v66
	s_cbranch_execnz .LBB1038_996
.LBB1038_980:                           ;   in Loop: Header=BB1038_956 Depth=2
	s_or_b32 exec_lo, exec_lo, s11
	s_delay_alu instid0(SALU_CYCLE_1)
	s_mov_b32 s11, exec_lo
	v_cmpx_gt_u32_e64 s10, v67
	s_cbranch_execnz .LBB1038_997
.LBB1038_981:                           ;   in Loop: Header=BB1038_956 Depth=2
	s_or_b32 exec_lo, exec_lo, s11
	s_delay_alu instid0(SALU_CYCLE_1)
	s_mov_b32 s11, exec_lo
	v_cmpx_gt_u32_e64 s10, v68
	s_cbranch_execnz .LBB1038_998
.LBB1038_982:                           ;   in Loop: Header=BB1038_956 Depth=2
	s_or_b32 exec_lo, exec_lo, s11
	s_delay_alu instid0(SALU_CYCLE_1)
	s_mov_b32 s11, exec_lo
	v_cmpx_gt_u32_e64 s10, v69
	s_cbranch_execnz .LBB1038_999
.LBB1038_983:                           ;   in Loop: Header=BB1038_956 Depth=2
	s_or_b32 exec_lo, exec_lo, s11
	s_delay_alu instid0(SALU_CYCLE_1)
	s_mov_b32 s11, exec_lo
	v_cmpx_gt_u32_e64 s10, v70
	s_cbranch_execnz .LBB1038_1000
.LBB1038_984:                           ;   in Loop: Header=BB1038_956 Depth=2
	s_or_b32 exec_lo, exec_lo, s11
	s_delay_alu instid0(SALU_CYCLE_1)
	s_mov_b32 s11, exec_lo
	v_cmpx_gt_u32_e64 s10, v71
	s_cbranch_execnz .LBB1038_1001
.LBB1038_985:                           ;   in Loop: Header=BB1038_956 Depth=2
	s_or_b32 exec_lo, exec_lo, s11
	s_delay_alu instid0(SALU_CYCLE_1)
	s_mov_b32 s11, exec_lo
	v_cmpx_gt_u32_e64 s10, v72
	s_cbranch_execnz .LBB1038_1002
.LBB1038_986:                           ;   in Loop: Header=BB1038_956 Depth=2
	s_or_b32 exec_lo, exec_lo, s11
	s_delay_alu instid0(SALU_CYCLE_1)
	s_mov_b32 s11, exec_lo
	v_cmpx_gt_u32_e64 s10, v73
	s_cbranch_execnz .LBB1038_1003
.LBB1038_987:                           ;   in Loop: Header=BB1038_956 Depth=2
	s_or_b32 exec_lo, exec_lo, s11
	s_delay_alu instid0(SALU_CYCLE_1)
	s_mov_b32 s11, exec_lo
	v_cmpx_gt_u32_e64 s10, v74
	s_cbranch_execnz .LBB1038_1004
.LBB1038_988:                           ;   in Loop: Header=BB1038_956 Depth=2
	s_or_b32 exec_lo, exec_lo, s11
	s_delay_alu instid0(SALU_CYCLE_1)
	s_mov_b32 s11, exec_lo
	v_cmpx_gt_u32_e64 s10, v75
	s_cbranch_execnz .LBB1038_1005
.LBB1038_989:                           ;   in Loop: Header=BB1038_956 Depth=2
	s_or_b32 exec_lo, exec_lo, s11
	s_delay_alu instid0(SALU_CYCLE_1)
	s_mov_b32 s11, exec_lo
	v_cmpx_gt_u32_e64 s10, v76
	s_cbranch_execnz .LBB1038_1006
.LBB1038_990:                           ;   in Loop: Header=BB1038_956 Depth=2
	s_or_b32 exec_lo, exec_lo, s11
	s_delay_alu instid0(SALU_CYCLE_1)
	s_mov_b32 s11, exec_lo
	v_cmpx_gt_u32_e64 s10, v77
	s_cbranch_execnz .LBB1038_1007
.LBB1038_991:                           ;   in Loop: Header=BB1038_956 Depth=2
	s_or_b32 exec_lo, exec_lo, s11
	s_delay_alu instid0(SALU_CYCLE_1)
	s_mov_b32 s11, exec_lo
	v_cmpx_gt_u32_e64 s10, v78
	s_cbranch_execnz .LBB1038_1008
.LBB1038_992:                           ;   in Loop: Header=BB1038_956 Depth=2
	s_or_b32 exec_lo, exec_lo, s11
	s_delay_alu instid0(SALU_CYCLE_1)
	s_mov_b32 s11, exec_lo
	v_cmpx_gt_u32_e64 s10, v79
	s_cbranch_execnz .LBB1038_1009
.LBB1038_993:                           ;   in Loop: Header=BB1038_956 Depth=2
	s_or_b32 exec_lo, exec_lo, s11
	s_delay_alu instid0(SALU_CYCLE_1)
	s_mov_b32 s11, exec_lo
	v_cmpx_gt_u32_e64 s10, v80
	s_cbranch_execnz .LBB1038_1010
.LBB1038_994:                           ;   in Loop: Header=BB1038_956 Depth=2
	s_or_b32 exec_lo, exec_lo, s11
	v_cmp_gt_u32_e32 vcc_lo, s10, v81
	s_and_saveexec_b32 s10, vcc_lo
	s_cbranch_execz .LBB1038_955
	s_branch .LBB1038_1011
.LBB1038_995:                           ;   in Loop: Header=BB1038_956 Depth=2
	v_xor_b32_e32 v40, 0xffff8000, v39
	s_delay_alu instid0(VALU_DEP_1) | instskip(NEXT) | instid1(VALU_DEP_1)
	v_and_b32_e32 v40, 0xffff, v40
	v_lshrrev_b32_e32 v40, s49, v40
	s_delay_alu instid0(VALU_DEP_1) | instskip(NEXT) | instid1(VALU_DEP_1)
	v_and_b32_e32 v40, s48, v40
	v_lshl_or_b32 v40, v40, 4, v83
	ds_add_u32 v40, v97
	s_or_b32 exec_lo, exec_lo, s11
	s_delay_alu instid0(SALU_CYCLE_1)
	s_mov_b32 s11, exec_lo
	v_cmpx_gt_u32_e64 s10, v66
	s_cbranch_execz .LBB1038_980
.LBB1038_996:                           ;   in Loop: Header=BB1038_956 Depth=2
	v_xor_b32_e32 v40, 0xffff8000, v38
	s_delay_alu instid0(VALU_DEP_1) | instskip(NEXT) | instid1(VALU_DEP_1)
	v_and_b32_e32 v40, 0xffff, v40
	v_lshrrev_b32_e32 v40, s49, v40
	s_delay_alu instid0(VALU_DEP_1) | instskip(NEXT) | instid1(VALU_DEP_1)
	v_and_b32_e32 v40, s48, v40
	v_lshl_or_b32 v40, v40, 4, v83
	ds_add_u32 v40, v97
	s_or_b32 exec_lo, exec_lo, s11
	s_delay_alu instid0(SALU_CYCLE_1)
	s_mov_b32 s11, exec_lo
	v_cmpx_gt_u32_e64 s10, v67
	s_cbranch_execz .LBB1038_981
.LBB1038_997:                           ;   in Loop: Header=BB1038_956 Depth=2
	v_xor_b32_e32 v40, 0xffff8000, v37
	s_delay_alu instid0(VALU_DEP_1) | instskip(NEXT) | instid1(VALU_DEP_1)
	v_and_b32_e32 v40, 0xffff, v40
	v_lshrrev_b32_e32 v40, s49, v40
	s_delay_alu instid0(VALU_DEP_1) | instskip(NEXT) | instid1(VALU_DEP_1)
	v_and_b32_e32 v40, s48, v40
	v_lshl_or_b32 v40, v40, 4, v83
	ds_add_u32 v40, v97
	s_or_b32 exec_lo, exec_lo, s11
	s_delay_alu instid0(SALU_CYCLE_1)
	s_mov_b32 s11, exec_lo
	v_cmpx_gt_u32_e64 s10, v68
	s_cbranch_execz .LBB1038_982
.LBB1038_998:                           ;   in Loop: Header=BB1038_956 Depth=2
	v_xor_b32_e32 v40, 0xffff8000, v36
	s_delay_alu instid0(VALU_DEP_1) | instskip(NEXT) | instid1(VALU_DEP_1)
	v_and_b32_e32 v40, 0xffff, v40
	v_lshrrev_b32_e32 v40, s49, v40
	s_delay_alu instid0(VALU_DEP_1) | instskip(NEXT) | instid1(VALU_DEP_1)
	v_and_b32_e32 v40, s48, v40
	v_lshl_or_b32 v40, v40, 4, v83
	ds_add_u32 v40, v97
	s_or_b32 exec_lo, exec_lo, s11
	s_delay_alu instid0(SALU_CYCLE_1)
	s_mov_b32 s11, exec_lo
	v_cmpx_gt_u32_e64 s10, v69
	s_cbranch_execz .LBB1038_983
.LBB1038_999:                           ;   in Loop: Header=BB1038_956 Depth=2
	v_xor_b32_e32 v40, 0xffff8000, v35
	s_delay_alu instid0(VALU_DEP_1) | instskip(NEXT) | instid1(VALU_DEP_1)
	v_and_b32_e32 v40, 0xffff, v40
	v_lshrrev_b32_e32 v40, s49, v40
	s_delay_alu instid0(VALU_DEP_1) | instskip(NEXT) | instid1(VALU_DEP_1)
	v_and_b32_e32 v40, s48, v40
	v_lshl_or_b32 v40, v40, 4, v83
	ds_add_u32 v40, v97
	s_or_b32 exec_lo, exec_lo, s11
	s_delay_alu instid0(SALU_CYCLE_1)
	s_mov_b32 s11, exec_lo
	v_cmpx_gt_u32_e64 s10, v70
	s_cbranch_execz .LBB1038_984
.LBB1038_1000:                          ;   in Loop: Header=BB1038_956 Depth=2
	v_xor_b32_e32 v40, 0xffff8000, v34
	s_delay_alu instid0(VALU_DEP_1) | instskip(NEXT) | instid1(VALU_DEP_1)
	v_and_b32_e32 v40, 0xffff, v40
	v_lshrrev_b32_e32 v40, s49, v40
	s_delay_alu instid0(VALU_DEP_1) | instskip(NEXT) | instid1(VALU_DEP_1)
	v_and_b32_e32 v40, s48, v40
	v_lshl_or_b32 v40, v40, 4, v83
	ds_add_u32 v40, v97
	s_or_b32 exec_lo, exec_lo, s11
	s_delay_alu instid0(SALU_CYCLE_1)
	s_mov_b32 s11, exec_lo
	v_cmpx_gt_u32_e64 s10, v71
	s_cbranch_execz .LBB1038_985
.LBB1038_1001:                          ;   in Loop: Header=BB1038_956 Depth=2
	v_xor_b32_e32 v40, 0xffff8000, v33
	s_delay_alu instid0(VALU_DEP_1) | instskip(NEXT) | instid1(VALU_DEP_1)
	v_and_b32_e32 v40, 0xffff, v40
	v_lshrrev_b32_e32 v40, s49, v40
	s_delay_alu instid0(VALU_DEP_1) | instskip(NEXT) | instid1(VALU_DEP_1)
	v_and_b32_e32 v40, s48, v40
	v_lshl_or_b32 v40, v40, 4, v83
	ds_add_u32 v40, v97
	s_or_b32 exec_lo, exec_lo, s11
	s_delay_alu instid0(SALU_CYCLE_1)
	s_mov_b32 s11, exec_lo
	v_cmpx_gt_u32_e64 s10, v72
	s_cbranch_execz .LBB1038_986
.LBB1038_1002:                          ;   in Loop: Header=BB1038_956 Depth=2
	v_xor_b32_e32 v40, 0xffff8000, v32
	s_delay_alu instid0(VALU_DEP_1) | instskip(NEXT) | instid1(VALU_DEP_1)
	v_and_b32_e32 v40, 0xffff, v40
	v_lshrrev_b32_e32 v40, s49, v40
	s_delay_alu instid0(VALU_DEP_1) | instskip(NEXT) | instid1(VALU_DEP_1)
	v_and_b32_e32 v40, s48, v40
	v_lshl_or_b32 v40, v40, 4, v83
	ds_add_u32 v40, v97
	s_or_b32 exec_lo, exec_lo, s11
	s_delay_alu instid0(SALU_CYCLE_1)
	s_mov_b32 s11, exec_lo
	v_cmpx_gt_u32_e64 s10, v73
	s_cbranch_execz .LBB1038_987
.LBB1038_1003:                          ;   in Loop: Header=BB1038_956 Depth=2
	v_xor_b32_e32 v40, 0xffff8000, v31
	s_delay_alu instid0(VALU_DEP_1) | instskip(NEXT) | instid1(VALU_DEP_1)
	v_and_b32_e32 v40, 0xffff, v40
	v_lshrrev_b32_e32 v40, s49, v40
	s_delay_alu instid0(VALU_DEP_1) | instskip(NEXT) | instid1(VALU_DEP_1)
	v_and_b32_e32 v40, s48, v40
	v_lshl_or_b32 v40, v40, 4, v83
	ds_add_u32 v40, v97
	s_or_b32 exec_lo, exec_lo, s11
	s_delay_alu instid0(SALU_CYCLE_1)
	s_mov_b32 s11, exec_lo
	v_cmpx_gt_u32_e64 s10, v74
	s_cbranch_execz .LBB1038_988
.LBB1038_1004:                          ;   in Loop: Header=BB1038_956 Depth=2
	v_xor_b32_e32 v40, 0xffff8000, v30
	s_delay_alu instid0(VALU_DEP_1) | instskip(NEXT) | instid1(VALU_DEP_1)
	v_and_b32_e32 v40, 0xffff, v40
	v_lshrrev_b32_e32 v40, s49, v40
	s_delay_alu instid0(VALU_DEP_1) | instskip(NEXT) | instid1(VALU_DEP_1)
	v_and_b32_e32 v40, s48, v40
	v_lshl_or_b32 v40, v40, 4, v83
	ds_add_u32 v40, v97
	s_or_b32 exec_lo, exec_lo, s11
	s_delay_alu instid0(SALU_CYCLE_1)
	s_mov_b32 s11, exec_lo
	v_cmpx_gt_u32_e64 s10, v75
	s_cbranch_execz .LBB1038_989
.LBB1038_1005:                          ;   in Loop: Header=BB1038_956 Depth=2
	v_xor_b32_e32 v40, 0xffff8000, v29
	s_delay_alu instid0(VALU_DEP_1) | instskip(NEXT) | instid1(VALU_DEP_1)
	v_and_b32_e32 v40, 0xffff, v40
	v_lshrrev_b32_e32 v40, s49, v40
	s_delay_alu instid0(VALU_DEP_1) | instskip(NEXT) | instid1(VALU_DEP_1)
	v_and_b32_e32 v40, s48, v40
	v_lshl_or_b32 v40, v40, 4, v83
	ds_add_u32 v40, v97
	s_or_b32 exec_lo, exec_lo, s11
	s_delay_alu instid0(SALU_CYCLE_1)
	s_mov_b32 s11, exec_lo
	v_cmpx_gt_u32_e64 s10, v76
	s_cbranch_execz .LBB1038_990
.LBB1038_1006:                          ;   in Loop: Header=BB1038_956 Depth=2
	v_xor_b32_e32 v40, 0xffff8000, v28
	s_delay_alu instid0(VALU_DEP_1) | instskip(NEXT) | instid1(VALU_DEP_1)
	v_and_b32_e32 v40, 0xffff, v40
	v_lshrrev_b32_e32 v40, s49, v40
	s_delay_alu instid0(VALU_DEP_1) | instskip(NEXT) | instid1(VALU_DEP_1)
	v_and_b32_e32 v40, s48, v40
	v_lshl_or_b32 v40, v40, 4, v83
	ds_add_u32 v40, v97
	s_or_b32 exec_lo, exec_lo, s11
	s_delay_alu instid0(SALU_CYCLE_1)
	s_mov_b32 s11, exec_lo
	v_cmpx_gt_u32_e64 s10, v77
	s_cbranch_execz .LBB1038_991
.LBB1038_1007:                          ;   in Loop: Header=BB1038_956 Depth=2
	v_xor_b32_e32 v40, 0xffff8000, v27
	s_delay_alu instid0(VALU_DEP_1) | instskip(NEXT) | instid1(VALU_DEP_1)
	v_and_b32_e32 v40, 0xffff, v40
	v_lshrrev_b32_e32 v40, s49, v40
	s_delay_alu instid0(VALU_DEP_1) | instskip(NEXT) | instid1(VALU_DEP_1)
	v_and_b32_e32 v40, s48, v40
	v_lshl_or_b32 v40, v40, 4, v83
	ds_add_u32 v40, v97
	s_or_b32 exec_lo, exec_lo, s11
	s_delay_alu instid0(SALU_CYCLE_1)
	s_mov_b32 s11, exec_lo
	v_cmpx_gt_u32_e64 s10, v78
	s_cbranch_execz .LBB1038_992
.LBB1038_1008:                          ;   in Loop: Header=BB1038_956 Depth=2
	v_xor_b32_e32 v40, 0xffff8000, v26
	s_delay_alu instid0(VALU_DEP_1) | instskip(NEXT) | instid1(VALU_DEP_1)
	v_and_b32_e32 v40, 0xffff, v40
	v_lshrrev_b32_e32 v40, s49, v40
	s_delay_alu instid0(VALU_DEP_1) | instskip(NEXT) | instid1(VALU_DEP_1)
	v_and_b32_e32 v40, s48, v40
	v_lshl_or_b32 v40, v40, 4, v83
	ds_add_u32 v40, v97
	s_or_b32 exec_lo, exec_lo, s11
	s_delay_alu instid0(SALU_CYCLE_1)
	s_mov_b32 s11, exec_lo
	v_cmpx_gt_u32_e64 s10, v79
	s_cbranch_execz .LBB1038_993
.LBB1038_1009:                          ;   in Loop: Header=BB1038_956 Depth=2
	v_xor_b32_e32 v40, 0xffff8000, v25
	s_delay_alu instid0(VALU_DEP_1) | instskip(NEXT) | instid1(VALU_DEP_1)
	v_and_b32_e32 v40, 0xffff, v40
	v_lshrrev_b32_e32 v40, s49, v40
	s_delay_alu instid0(VALU_DEP_1) | instskip(NEXT) | instid1(VALU_DEP_1)
	v_and_b32_e32 v40, s48, v40
	v_lshl_or_b32 v40, v40, 4, v83
	ds_add_u32 v40, v97
	s_or_b32 exec_lo, exec_lo, s11
	s_delay_alu instid0(SALU_CYCLE_1)
	s_mov_b32 s11, exec_lo
	v_cmpx_gt_u32_e64 s10, v80
	s_cbranch_execz .LBB1038_994
.LBB1038_1010:                          ;   in Loop: Header=BB1038_956 Depth=2
	v_xor_b32_e32 v40, 0xffff8000, v24
	s_delay_alu instid0(VALU_DEP_1) | instskip(NEXT) | instid1(VALU_DEP_1)
	v_and_b32_e32 v40, 0xffff, v40
	v_lshrrev_b32_e32 v40, s49, v40
	s_delay_alu instid0(VALU_DEP_1) | instskip(NEXT) | instid1(VALU_DEP_1)
	v_and_b32_e32 v40, s48, v40
	v_lshl_or_b32 v40, v40, 4, v83
	ds_add_u32 v40, v97
	s_or_b32 exec_lo, exec_lo, s11
	v_cmp_gt_u32_e32 vcc_lo, s10, v81
	s_and_saveexec_b32 s10, vcc_lo
	s_cbranch_execz .LBB1038_955
.LBB1038_1011:                          ;   in Loop: Header=BB1038_956 Depth=2
	v_xor_b32_e32 v40, 0xffff8000, v23
	s_delay_alu instid0(VALU_DEP_1) | instskip(NEXT) | instid1(VALU_DEP_1)
	v_and_b32_e32 v40, 0xffff, v40
	v_lshrrev_b32_e32 v40, s49, v40
	s_delay_alu instid0(VALU_DEP_1) | instskip(NEXT) | instid1(VALU_DEP_1)
	v_and_b32_e32 v40, s48, v40
	v_lshl_or_b32 v40, v40, 4, v83
	ds_add_u32 v40, v97
	s_branch .LBB1038_955
.LBB1038_1012:                          ;   in Loop: Header=BB1038_956 Depth=2
	global_load_u16 v39, v2, s[10:11] scale_offset
	s_wait_xcnt 0x0
	s_or_b32 exec_lo, exec_lo, s13
	s_delay_alu instid0(SALU_CYCLE_1)
	s_mov_b32 s13, exec_lo
	v_cmpx_gt_u32_e64 s9, v66
	s_cbranch_execz .LBB1038_961
.LBB1038_1013:                          ;   in Loop: Header=BB1038_956 Depth=2
	global_load_u16 v38, v2, s[10:11] offset:512 scale_offset
	s_wait_xcnt 0x0
	s_or_b32 exec_lo, exec_lo, s13
	s_delay_alu instid0(SALU_CYCLE_1)
	s_mov_b32 s13, exec_lo
	v_cmpx_gt_u32_e64 s9, v67
	s_cbranch_execz .LBB1038_962
.LBB1038_1014:                          ;   in Loop: Header=BB1038_956 Depth=2
	global_load_u16 v37, v2, s[10:11] offset:1024 scale_offset
	s_wait_xcnt 0x0
	s_or_b32 exec_lo, exec_lo, s13
	s_delay_alu instid0(SALU_CYCLE_1)
	s_mov_b32 s13, exec_lo
	v_cmpx_gt_u32_e64 s9, v68
	s_cbranch_execz .LBB1038_963
.LBB1038_1015:                          ;   in Loop: Header=BB1038_956 Depth=2
	global_load_u16 v36, v2, s[10:11] offset:1536 scale_offset
	s_wait_xcnt 0x0
	s_or_b32 exec_lo, exec_lo, s13
	s_delay_alu instid0(SALU_CYCLE_1)
	s_mov_b32 s13, exec_lo
	v_cmpx_gt_u32_e64 s9, v69
	s_cbranch_execz .LBB1038_964
.LBB1038_1016:                          ;   in Loop: Header=BB1038_956 Depth=2
	global_load_u16 v35, v2, s[10:11] offset:2048 scale_offset
	s_wait_xcnt 0x0
	s_or_b32 exec_lo, exec_lo, s13
	s_delay_alu instid0(SALU_CYCLE_1)
	s_mov_b32 s13, exec_lo
	v_cmpx_gt_u32_e64 s9, v70
	s_cbranch_execz .LBB1038_965
.LBB1038_1017:                          ;   in Loop: Header=BB1038_956 Depth=2
	global_load_u16 v34, v2, s[10:11] offset:2560 scale_offset
	s_wait_xcnt 0x0
	s_or_b32 exec_lo, exec_lo, s13
	s_delay_alu instid0(SALU_CYCLE_1)
	s_mov_b32 s13, exec_lo
	v_cmpx_gt_u32_e64 s9, v71
	s_cbranch_execz .LBB1038_966
.LBB1038_1018:                          ;   in Loop: Header=BB1038_956 Depth=2
	global_load_u16 v33, v2, s[10:11] offset:3072 scale_offset
	s_wait_xcnt 0x0
	s_or_b32 exec_lo, exec_lo, s13
	s_delay_alu instid0(SALU_CYCLE_1)
	s_mov_b32 s13, exec_lo
	v_cmpx_gt_u32_e64 s9, v72
	s_cbranch_execz .LBB1038_967
.LBB1038_1019:                          ;   in Loop: Header=BB1038_956 Depth=2
	global_load_u16 v32, v2, s[10:11] offset:3584 scale_offset
	s_wait_xcnt 0x0
	s_or_b32 exec_lo, exec_lo, s13
	s_delay_alu instid0(SALU_CYCLE_1)
	s_mov_b32 s13, exec_lo
	v_cmpx_gt_u32_e64 s9, v73
	s_cbranch_execz .LBB1038_968
.LBB1038_1020:                          ;   in Loop: Header=BB1038_956 Depth=2
	global_load_u16 v31, v2, s[10:11] offset:4096 scale_offset
	s_wait_xcnt 0x0
	s_or_b32 exec_lo, exec_lo, s13
	s_delay_alu instid0(SALU_CYCLE_1)
	s_mov_b32 s13, exec_lo
	v_cmpx_gt_u32_e64 s9, v74
	s_cbranch_execz .LBB1038_969
.LBB1038_1021:                          ;   in Loop: Header=BB1038_956 Depth=2
	global_load_u16 v30, v2, s[10:11] offset:4608 scale_offset
	s_wait_xcnt 0x0
	s_or_b32 exec_lo, exec_lo, s13
	s_delay_alu instid0(SALU_CYCLE_1)
	s_mov_b32 s13, exec_lo
	v_cmpx_gt_u32_e64 s9, v75
	s_cbranch_execz .LBB1038_970
.LBB1038_1022:                          ;   in Loop: Header=BB1038_956 Depth=2
	global_load_u16 v29, v2, s[10:11] offset:5120 scale_offset
	s_wait_xcnt 0x0
	s_or_b32 exec_lo, exec_lo, s13
	s_delay_alu instid0(SALU_CYCLE_1)
	s_mov_b32 s13, exec_lo
	v_cmpx_gt_u32_e64 s9, v76
	s_cbranch_execz .LBB1038_971
.LBB1038_1023:                          ;   in Loop: Header=BB1038_956 Depth=2
	global_load_u16 v28, v2, s[10:11] offset:5632 scale_offset
	s_wait_xcnt 0x0
	s_or_b32 exec_lo, exec_lo, s13
	s_delay_alu instid0(SALU_CYCLE_1)
	s_mov_b32 s13, exec_lo
	v_cmpx_gt_u32_e64 s9, v77
	s_cbranch_execz .LBB1038_972
.LBB1038_1024:                          ;   in Loop: Header=BB1038_956 Depth=2
	global_load_u16 v27, v2, s[10:11] offset:6144 scale_offset
	s_wait_xcnt 0x0
	s_or_b32 exec_lo, exec_lo, s13
	s_delay_alu instid0(SALU_CYCLE_1)
	s_mov_b32 s13, exec_lo
	v_cmpx_gt_u32_e64 s9, v78
	s_cbranch_execz .LBB1038_973
.LBB1038_1025:                          ;   in Loop: Header=BB1038_956 Depth=2
	global_load_u16 v26, v2, s[10:11] offset:6656 scale_offset
	s_wait_xcnt 0x0
	s_or_b32 exec_lo, exec_lo, s13
	s_delay_alu instid0(SALU_CYCLE_1)
	s_mov_b32 s13, exec_lo
	v_cmpx_gt_u32_e64 s9, v79
	s_cbranch_execz .LBB1038_974
.LBB1038_1026:                          ;   in Loop: Header=BB1038_956 Depth=2
	global_load_u16 v25, v2, s[10:11] offset:7168 scale_offset
	s_wait_xcnt 0x0
	s_or_b32 exec_lo, exec_lo, s13
	s_delay_alu instid0(SALU_CYCLE_1)
	s_mov_b32 s13, exec_lo
	v_cmpx_gt_u32_e64 s9, v80
	s_cbranch_execz .LBB1038_975
.LBB1038_1027:                          ;   in Loop: Header=BB1038_956 Depth=2
	global_load_u16 v24, v2, s[10:11] offset:7680 scale_offset
	s_wait_xcnt 0x0
	s_or_b32 exec_lo, exec_lo, s13
	s_delay_alu instid0(SALU_CYCLE_1)
	s_mov_b32 s13, exec_lo
	v_cmpx_gt_u32_e64 s9, v81
	s_cbranch_execnz .LBB1038_976
	s_branch .LBB1038_977
.LBB1038_1028:                          ;   in Loop: Header=BB1038_20 Depth=1
	v_mov_b32_e32 v23, 0
	s_wait_dscnt 0x0
	s_barrier_signal -1
	s_barrier_wait -1
	s_and_saveexec_b32 s9, s0
	s_cbranch_execz .LBB1038_1030
; %bb.1029:                             ;   in Loop: Header=BB1038_20 Depth=1
	ds_load_2addr_b64 v[24:27], v84 offset1:1
	s_wait_dscnt 0x0
	v_add_nc_u32_e32 v23, v25, v24
	s_delay_alu instid0(VALU_DEP_1)
	v_add3_u32 v23, v23, v26, v27
.LBB1038_1030:                          ;   in Loop: Header=BB1038_20 Depth=1
	s_or_b32 exec_lo, exec_lo, s9
	s_delay_alu instid0(VALU_DEP_1)
	v_mov_b32_dpp v24, v23 row_shr:1 row_mask:0xf bank_mask:0xf
	v_cmp_eq_u32_e64 s9, 0, v98
	v_cmp_lt_u32_e64 s10, 1, v98
	v_cmp_lt_u32_e64 s11, 3, v98
	;; [unrolled: 1-line block ×3, first 2 shown]
	v_cmp_eq_u32_e64 s13, 0, v100
	v_cndmask_b32_e64 v24, v24, 0, s9
	s_delay_alu instid0(VALU_DEP_1) | instskip(NEXT) | instid1(VALU_DEP_1)
	v_add_nc_u32_e32 v23, v24, v23
	v_mov_b32_dpp v24, v23 row_shr:2 row_mask:0xf bank_mask:0xf
	s_delay_alu instid0(VALU_DEP_1) | instskip(NEXT) | instid1(VALU_DEP_1)
	v_cndmask_b32_e64 v24, 0, v24, s10
	v_add_nc_u32_e32 v23, v23, v24
	s_delay_alu instid0(VALU_DEP_1) | instskip(NEXT) | instid1(VALU_DEP_1)
	v_mov_b32_dpp v24, v23 row_shr:4 row_mask:0xf bank_mask:0xf
	v_cndmask_b32_e64 v24, 0, v24, s11
	s_delay_alu instid0(VALU_DEP_1) | instskip(NEXT) | instid1(VALU_DEP_1)
	v_add_nc_u32_e32 v23, v23, v24
	v_mov_b32_dpp v24, v23 row_shr:8 row_mask:0xf bank_mask:0xf
	s_delay_alu instid0(VALU_DEP_1) | instskip(NEXT) | instid1(VALU_DEP_1)
	v_cndmask_b32_e64 v24, 0, v24, s12
	v_add_nc_u32_e32 v23, v23, v24
	ds_swizzle_b32 v24, v23 offset:swizzle(BROADCAST,32,15)
	s_wait_dscnt 0x0
	v_and_b32_e32 v24, v99, v24
	s_delay_alu instid0(VALU_DEP_1)
	v_add_nc_u32_e32 v23, v23, v24
	s_and_saveexec_b32 s14, s1
; %bb.1031:                             ;   in Loop: Header=BB1038_20 Depth=1
	ds_store_b32 v85, v23
; %bb.1032:                             ;   in Loop: Header=BB1038_20 Depth=1
	s_or_b32 exec_lo, exec_lo, s14
	s_wait_dscnt 0x0
	s_barrier_signal -1
	s_barrier_wait -1
	s_and_saveexec_b32 s14, s4
	s_cbranch_execz .LBB1038_1034
; %bb.1033:                             ;   in Loop: Header=BB1038_20 Depth=1
	ds_load_b32 v24, v86
	v_cmp_ne_u32_e32 vcc_lo, 0, v101
	s_wait_dscnt 0x0
	v_mov_b32_dpp v25, v24 row_shr:1 row_mask:0xf bank_mask:0xf
	s_delay_alu instid0(VALU_DEP_1) | instskip(SKIP_1) | instid1(VALU_DEP_2)
	v_cndmask_b32_e32 v25, 0, v25, vcc_lo
	v_cmp_lt_u32_e32 vcc_lo, 1, v101
	v_add_nc_u32_e32 v24, v25, v24
	s_delay_alu instid0(VALU_DEP_1) | instskip(NEXT) | instid1(VALU_DEP_1)
	v_mov_b32_dpp v25, v24 row_shr:2 row_mask:0xf bank_mask:0xf
	v_cndmask_b32_e32 v25, 0, v25, vcc_lo
	s_delay_alu instid0(VALU_DEP_1)
	v_add_nc_u32_e32 v24, v24, v25
	ds_store_b32 v86, v24
.LBB1038_1034:                          ;   in Loop: Header=BB1038_20 Depth=1
	s_or_b32 exec_lo, exec_lo, s14
	v_mov_b32_e32 v24, 0
	s_wait_dscnt 0x0
	s_barrier_signal -1
	s_barrier_wait -1
	s_and_saveexec_b32 s14, s5
; %bb.1035:                             ;   in Loop: Header=BB1038_20 Depth=1
	ds_load_b32 v24, v87
; %bb.1036:                             ;   in Loop: Header=BB1038_20 Depth=1
	s_or_b32 exec_lo, exec_lo, s14
	v_cmp_gt_i32_e32 vcc_lo, 0, v103
	s_wait_dscnt 0x0
	s_barrier_signal -1
	s_barrier_wait -1
	v_dual_cndmask_b32 v25, v103, v96, vcc_lo :: v_dual_add_nc_u32 v23, v24, v23
	s_delay_alu instid0(VALU_DEP_1)
	v_lshlrev_b32_e32 v121, 2, v25
	ds_bpermute_b32 v23, v121, v23
	s_and_saveexec_b32 s14, s0
	s_cbranch_execz .LBB1038_1038
; %bb.1037:                             ;   in Loop: Header=BB1038_20 Depth=1
	s_wait_dscnt 0x0
	v_cndmask_b32_e64 v23, v23, v24, s8
	s_delay_alu instid0(VALU_DEP_1)
	v_add_nc_u32_e32 v23, s55, v23
	ds_store_b32 v3, v23
.LBB1038_1038:                          ;   in Loop: Header=BB1038_20 Depth=1
	s_or_b32 exec_lo, exec_lo, s14
	s_load_b64 s[14:15], s[52:53], 0x0
	s_mov_b32 s58, s57
                                        ; implicit-def: $vgpr30_vgpr31
                                        ; implicit-def: $vgpr32_vgpr33
                                        ; implicit-def: $vgpr34_vgpr35
                                        ; implicit-def: $vgpr36_vgpr37
                                        ; implicit-def: $vgpr38_vgpr39
                                        ; implicit-def: $vgpr40_vgpr41
                                        ; implicit-def: $vgpr42_vgpr43
                                        ; implicit-def: $vgpr44_vgpr45
                                        ; implicit-def: $vgpr46_vgpr47
                                        ; implicit-def: $vgpr48_vgpr49
                                        ; implicit-def: $vgpr50_vgpr51
                                        ; implicit-def: $vgpr52_vgpr53
                                        ; implicit-def: $vgpr54_vgpr55
                                        ; implicit-def: $vgpr56_vgpr57
                                        ; implicit-def: $vgpr58_vgpr59
                                        ; implicit-def: $vgpr60_vgpr61
                                        ; implicit-def: $vgpr122
                                        ; implicit-def: $vgpr123
                                        ; implicit-def: $vgpr124
                                        ; implicit-def: $vgpr125
                                        ; implicit-def: $vgpr126
                                        ; implicit-def: $vgpr127
                                        ; implicit-def: $vgpr128
                                        ; implicit-def: $vgpr129
                                        ; implicit-def: $vgpr130
                                        ; implicit-def: $vgpr131
                                        ; implicit-def: $vgpr132
                                        ; implicit-def: $vgpr133
                                        ; implicit-def: $vgpr134
                                        ; implicit-def: $vgpr135
                                        ; implicit-def: $vgpr136
                                        ; implicit-def: $vgpr138
                                        ; implicit-def: $vgpr139
                                        ; implicit-def: $vgpr137
                                        ; implicit-def: $vgpr140
	s_wait_kmcnt 0x0
	s_cmp_lt_u32 s51, s14
	s_cselect_b32 s34, 12, 18
	s_cmp_lt_u32 s42, s15
	s_mov_b32 s15, s35
	s_cselect_b32 s14, 14, 20
	s_delay_alu instid0(SALU_CYCLE_1)
	s_add_nc_u64 s[14:15], s[52:53], s[14:15]
	s_load_u16 s16, s[14:15], 0x0
	s_wait_xcnt 0x0
	s_add_nc_u64 s[14:15], s[52:53], s[34:35]
	s_mov_b32 s34, s55
	s_load_u16 s14, s[14:15], 0x0
	s_wait_xcnt 0x0
	v_cmp_lt_u32_e64 s15, 1, v104
	s_wait_dscnt 0x0
	s_wait_kmcnt 0x0
	v_mad_u32_u24 v23, v88, s16, v90
	v_cmp_lt_u32_e64 s16, 3, v104
	s_delay_alu instid0(VALU_DEP_2) | instskip(SKIP_2) | instid1(VALU_DEP_3)
	v_mad_u32 v24, v23, s14, v2
	v_mov_b32_e32 v23, v5
	v_cmp_eq_u32_e64 s14, 0, v104
	v_lshrrev_b32_e32 v28, 3, v24
	v_add_nc_u64_e32 v[24:25], v[18:19], v[4:5]
	s_delay_alu instid0(VALU_DEP_4) | instskip(NEXT) | instid1(VALU_DEP_3)
	v_add_nc_u64_e32 v[26:27], v[20:21], v[22:23]
	v_and_b32_e32 v23, 0x1ffffffc, v28
                                        ; implicit-def: $vgpr28_vgpr29
	s_branch .LBB1038_1040
.LBB1038_1039:                          ;   in Loop: Header=BB1038_1040 Depth=2
	s_or_b32 exec_lo, exec_lo, s17
	s_addk_co_i32 s58, 0xef00
	s_cmp_lt_u32 s59, s54
	s_mov_b32 s34, s59
	s_cbranch_scc0 .LBB1038_18
.LBB1038_1040:                          ;   Parent Loop BB1038_20 Depth=1
                                        ; =>  This Inner Loop Header: Depth=2
	s_add_co_i32 s59, s34, 0x1100
	s_delay_alu instid0(SALU_CYCLE_1)
	s_cmp_gt_u32 s59, s54
	s_cbranch_scc1 .LBB1038_1042
; %bb.1041:                             ;   in Loop: Header=BB1038_1040 Depth=2
	s_delay_alu instid0(VALU_DEP_2)
	v_lshl_add_u64 v[62:63], s[34:35], 1, v[26:27]
	s_mov_b32 s17, -1
	s_clause 0xf
	global_load_u16 v143, v[62:63], off
	global_load_u16 v145, v[62:63], off offset:64
	global_load_u16 v147, v[62:63], off offset:128
	;; [unrolled: 1-line block ×15, first 2 shown]
	s_movk_i32 s18, 0x1100
	s_cbranch_execz .LBB1038_1043
	s_branch .LBB1038_1076
.LBB1038_1042:                          ;   in Loop: Header=BB1038_1040 Depth=2
	s_mov_b32 s17, 0
                                        ; implicit-def: $vgpr143
                                        ; implicit-def: $vgpr145
                                        ; implicit-def: $vgpr147
                                        ; implicit-def: $vgpr151
                                        ; implicit-def: $vgpr155
                                        ; implicit-def: $vgpr160
                                        ; implicit-def: $vgpr166
                                        ; implicit-def: $vgpr171
                                        ; implicit-def: $vgpr176
                                        ; implicit-def: $vgpr174
                                        ; implicit-def: $vgpr169
                                        ; implicit-def: $vgpr164
                                        ; implicit-def: $vgpr161
                                        ; implicit-def: $vgpr156
                                        ; implicit-def: $vgpr65
                                        ; implicit-def: $vgpr64
	s_movk_i32 s18, 0x1100
.LBB1038_1043:                          ;   in Loop: Header=BB1038_1040 Depth=2
	s_wait_xcnt 0x0
	v_lshl_add_u64 v[62:63], s[34:35], 1, v[26:27]
	s_wait_loadcnt 0xe
	v_mov_b32_e32 v145, 0x7fff
	v_mov_b32_e32 v143, 0x7fff
	s_mov_b32 s17, exec_lo
	v_cmpx_gt_u32_e64 s58, v102
	s_cbranch_execz .LBB1038_1045
; %bb.1044:                             ;   in Loop: Header=BB1038_1040 Depth=2
	global_load_u16 v143, v[62:63], off
.LBB1038_1045:                          ;   in Loop: Header=BB1038_1040 Depth=2
	s_wait_xcnt 0x0
	s_or_b32 exec_lo, exec_lo, s17
	s_delay_alu instid0(SALU_CYCLE_1)
	s_mov_b32 s17, exec_lo
	v_cmpx_gt_u32_e64 s58, v105
	s_cbranch_execz .LBB1038_1047
; %bb.1046:                             ;   in Loop: Header=BB1038_1040 Depth=2
	global_load_u16 v145, v[62:63], off offset:64
.LBB1038_1047:                          ;   in Loop: Header=BB1038_1040 Depth=2
	s_wait_xcnt 0x0
	s_or_b32 exec_lo, exec_lo, s17
	s_wait_loadcnt 0xc
	v_mov_b32_e32 v151, 0x7fff
	v_mov_b32_e32 v147, 0x7fff
	s_mov_b32 s17, exec_lo
	v_cmpx_gt_u32_e64 s58, v106
	s_cbranch_execz .LBB1038_1049
; %bb.1048:                             ;   in Loop: Header=BB1038_1040 Depth=2
	global_load_u16 v147, v[62:63], off offset:128
.LBB1038_1049:                          ;   in Loop: Header=BB1038_1040 Depth=2
	s_wait_xcnt 0x0
	s_or_b32 exec_lo, exec_lo, s17
	s_delay_alu instid0(SALU_CYCLE_1)
	s_mov_b32 s17, exec_lo
	v_cmpx_gt_u32_e64 s58, v107
	s_cbranch_execz .LBB1038_1051
; %bb.1050:                             ;   in Loop: Header=BB1038_1040 Depth=2
	global_load_u16 v151, v[62:63], off offset:192
.LBB1038_1051:                          ;   in Loop: Header=BB1038_1040 Depth=2
	s_wait_xcnt 0x0
	s_or_b32 exec_lo, exec_lo, s17
	s_wait_loadcnt 0xa
	v_dual_mov_b32 v160, 0x7fff :: v_dual_mov_b32 v155, 0x7fff
	s_mov_b32 s17, exec_lo
	v_cmpx_gt_u32_e64 s58, v108
	s_cbranch_execz .LBB1038_1053
; %bb.1052:                             ;   in Loop: Header=BB1038_1040 Depth=2
	global_load_u16 v155, v[62:63], off offset:256
.LBB1038_1053:                          ;   in Loop: Header=BB1038_1040 Depth=2
	s_wait_xcnt 0x0
	s_or_b32 exec_lo, exec_lo, s17
	s_delay_alu instid0(SALU_CYCLE_1)
	s_mov_b32 s17, exec_lo
	v_cmpx_gt_u32_e64 s58, v109
	s_cbranch_execz .LBB1038_1055
; %bb.1054:                             ;   in Loop: Header=BB1038_1040 Depth=2
	global_load_u16 v160, v[62:63], off offset:320
.LBB1038_1055:                          ;   in Loop: Header=BB1038_1040 Depth=2
	s_wait_xcnt 0x0
	s_or_b32 exec_lo, exec_lo, s17
	s_wait_loadcnt 0x8
	v_dual_mov_b32 v171, 0x7fff :: v_dual_mov_b32 v166, 0x7fff
	s_mov_b32 s17, exec_lo
	v_cmpx_gt_u32_e64 s58, v110
	s_cbranch_execz .LBB1038_1057
; %bb.1056:                             ;   in Loop: Header=BB1038_1040 Depth=2
	global_load_u16 v166, v[62:63], off offset:384
.LBB1038_1057:                          ;   in Loop: Header=BB1038_1040 Depth=2
	s_wait_xcnt 0x0
	s_or_b32 exec_lo, exec_lo, s17
	s_delay_alu instid0(SALU_CYCLE_1)
	s_mov_b32 s17, exec_lo
	v_cmpx_gt_u32_e64 s58, v111
	s_cbranch_execz .LBB1038_1059
; %bb.1058:                             ;   in Loop: Header=BB1038_1040 Depth=2
	global_load_u16 v171, v[62:63], off offset:448
.LBB1038_1059:                          ;   in Loop: Header=BB1038_1040 Depth=2
	s_wait_xcnt 0x0
	s_or_b32 exec_lo, exec_lo, s17
	s_wait_loadcnt 0x6
	v_mov_b32_e32 v174, 0x7fff
	v_mov_b32_e32 v176, 0x7fff
	s_mov_b32 s17, exec_lo
	v_cmpx_gt_u32_e64 s58, v112
	s_cbranch_execz .LBB1038_1061
; %bb.1060:                             ;   in Loop: Header=BB1038_1040 Depth=2
	global_load_u16 v176, v[62:63], off offset:512
.LBB1038_1061:                          ;   in Loop: Header=BB1038_1040 Depth=2
	s_wait_xcnt 0x0
	s_or_b32 exec_lo, exec_lo, s17
	s_delay_alu instid0(SALU_CYCLE_1)
	s_mov_b32 s17, exec_lo
	v_cmpx_gt_u32_e64 s58, v113
	s_cbranch_execz .LBB1038_1063
; %bb.1062:                             ;   in Loop: Header=BB1038_1040 Depth=2
	global_load_u16 v174, v[62:63], off offset:576
.LBB1038_1063:                          ;   in Loop: Header=BB1038_1040 Depth=2
	s_wait_xcnt 0x0
	s_or_b32 exec_lo, exec_lo, s17
	s_wait_loadcnt 0x4
	v_dual_mov_b32 v164, 0x7fff :: v_dual_mov_b32 v169, 0x7fff
	s_mov_b32 s17, exec_lo
	v_cmpx_gt_u32_e64 s58, v114
	s_cbranch_execz .LBB1038_1065
; %bb.1064:                             ;   in Loop: Header=BB1038_1040 Depth=2
	global_load_u16 v169, v[62:63], off offset:640
.LBB1038_1065:                          ;   in Loop: Header=BB1038_1040 Depth=2
	s_wait_xcnt 0x0
	s_or_b32 exec_lo, exec_lo, s17
	s_delay_alu instid0(SALU_CYCLE_1)
	s_mov_b32 s17, exec_lo
	v_cmpx_gt_u32_e64 s58, v115
	s_cbranch_execz .LBB1038_1067
; %bb.1066:                             ;   in Loop: Header=BB1038_1040 Depth=2
	global_load_u16 v164, v[62:63], off offset:704
.LBB1038_1067:                          ;   in Loop: Header=BB1038_1040 Depth=2
	s_wait_xcnt 0x0
	s_or_b32 exec_lo, exec_lo, s17
	s_wait_loadcnt 0x2
	v_dual_mov_b32 v156, 0x7fff :: v_dual_mov_b32 v161, 0x7fff
	;; [unrolled: 19-line block ×3, first 2 shown]
	s_mov_b32 s17, exec_lo
	v_cmpx_gt_u32_e64 s58, v118
	s_cbranch_execz .LBB1038_1073
; %bb.1072:                             ;   in Loop: Header=BB1038_1040 Depth=2
	global_load_u16 v65, v[62:63], off offset:896
.LBB1038_1073:                          ;   in Loop: Header=BB1038_1040 Depth=2
	s_wait_xcnt 0x0
	s_or_b32 exec_lo, exec_lo, s17
	s_delay_alu instid0(SALU_CYCLE_1)
	s_mov_b32 s17, exec_lo
	v_cmpx_gt_u32_e64 s58, v119
	s_cbranch_execz .LBB1038_1075
; %bb.1074:                             ;   in Loop: Header=BB1038_1040 Depth=2
	global_load_u16 v64, v[62:63], off offset:960
.LBB1038_1075:                          ;   in Loop: Header=BB1038_1040 Depth=2
	s_wait_xcnt 0x0
	s_or_b32 exec_lo, exec_lo, s17
	v_cmp_gt_u32_e64 s17, s58, v120
	s_sub_co_i32 s18, s54, s34
.LBB1038_1076:                          ;   in Loop: Header=BB1038_1040 Depth=2
	v_dual_mov_b32 v142, -1 :: v_dual_mov_b32 v141, s58
	s_wait_xcnt 0x0
	s_and_saveexec_b32 s19, s17
	s_cbranch_execz .LBB1038_1078
; %bb.1077:                             ;   in Loop: Header=BB1038_1040 Depth=2
	v_lshl_add_u64 v[62:63], s[34:35], 1, v[26:27]
	v_mov_b32_e32 v141, s18
	global_load_u16 v62, v[62:63], off offset:1024
	s_wait_loadcnt 0x0
	v_xor_b32_e32 v142, 0xffff8000, v62
.LBB1038_1078:                          ;   in Loop: Header=BB1038_1040 Depth=2
	s_wait_xcnt 0x0
	s_or_b32 exec_lo, exec_lo, s19
	s_wait_loadcnt 0xf
	v_xor_b32_e32 v143, 0xffff8000, v143
	ds_store_2addr_b32 v89, v5, v5 offset0:136 offset1:137
	ds_store_2addr_b32 v89, v5, v5 offset0:138 offset1:139
	ds_store_b32 v89, v5 offset:560
	s_wait_loadcnt_dscnt 0x0
	s_barrier_signal -1
	s_barrier_wait -1
	v_and_b32_e32 v62, 0xffff, v143
	; wave barrier
	s_delay_alu instid0(VALU_DEP_1) | instskip(NEXT) | instid1(VALU_DEP_1)
	v_lshrrev_b32_e32 v62, s49, v62
	v_bitop3_b32 v63, v62, 1, s48 bitop3:0x80
	v_and_b32_e32 v146, s48, v62
	s_delay_alu instid0(VALU_DEP_2) | instskip(NEXT) | instid1(VALU_DEP_1)
	v_add_co_u32 v62, s17, v63, -1
	v_cndmask_b32_e64 v63, 0, 1, s17
	s_delay_alu instid0(VALU_DEP_3) | instskip(NEXT) | instid1(VALU_DEP_2)
	v_dual_lshlrev_b32 v144, 30, v146 :: v_dual_lshlrev_b32 v148, 29, v146
	v_cmp_ne_u32_e32 vcc_lo, 0, v63
	s_delay_alu instid0(VALU_DEP_2) | instskip(SKIP_1) | instid1(VALU_DEP_4)
	v_cmp_gt_i32_e64 s17, 0, v144
	v_not_b32_e32 v63, v144
	v_not_b32_e32 v144, v148
	v_cmp_gt_i32_e64 s18, 0, v148
	v_bitop3_b32 v62, vcc_lo, exec_lo, v62 bitop3:0x48
	s_delay_alu instid0(VALU_DEP_3) | instskip(SKIP_2) | instid1(VALU_DEP_3)
	v_dual_ashrrev_i32 v63, 31, v63 :: v_dual_ashrrev_i32 v144, 31, v144
	v_dual_lshlrev_b32 v149, 28, v146 :: v_dual_lshlrev_b32 v150, 27, v146
	v_dual_lshlrev_b32 v152, 26, v146 :: v_dual_lshlrev_b32 v153, 25, v146
	v_xor_b32_e32 v144, s18, v144
	s_delay_alu instid0(VALU_DEP_3)
	v_cmp_gt_i32_e64 s19, 0, v149
	v_not_b32_e32 v148, v149
	v_not_b32_e32 v149, v150
	v_cmp_gt_i32_e64 s20, 0, v150
	v_cmp_gt_i32_e64 s21, 0, v152
	v_not_b32_e32 v150, v152
	v_not_b32_e32 v152, v153
	v_dual_ashrrev_i32 v148, 31, v148 :: v_dual_ashrrev_i32 v149, 31, v149
	s_delay_alu instid0(VALU_DEP_3) | instskip(SKIP_1) | instid1(VALU_DEP_3)
	v_dual_ashrrev_i32 v150, 31, v150 :: v_dual_bitop2_b32 v63, s17, v63 bitop3:0x14
	v_cmp_gt_i32_e64 s22, 0, v153
	v_dual_ashrrev_i32 v152, 31, v152 :: v_dual_bitop2_b32 v149, s20, v149 bitop3:0x14
	s_delay_alu instid0(VALU_DEP_4) | instskip(NEXT) | instid1(VALU_DEP_4)
	v_xor_b32_e32 v148, s19, v148
	v_bitop3_b32 v62, v62, v144, v63 bitop3:0x80
	v_xor_b32_e32 v63, s21, v150
	s_delay_alu instid0(VALU_DEP_4) | instskip(NEXT) | instid1(VALU_DEP_3)
	v_xor_b32_e32 v144, s22, v152
	v_bitop3_b32 v62, v62, v149, v148 bitop3:0x80
	s_delay_alu instid0(VALU_DEP_1) | instskip(SKIP_1) | instid1(VALU_DEP_2)
	v_bitop3_b32 v62, v62, v144, v63 bitop3:0x80
	v_mul_u32_u24_e32 v63, 36, v146
	v_mbcnt_lo_u32_b32 v144, v62, 0
	v_cmp_ne_u32_e64 s17, 0, v62
	s_delay_alu instid0(VALU_DEP_3) | instskip(NEXT) | instid1(VALU_DEP_3)
	v_add_nc_u32_e32 v146, v23, v63
	v_cmp_eq_u32_e32 vcc_lo, 0, v144
	s_and_b32 s18, s17, vcc_lo
	s_delay_alu instid0(SALU_CYCLE_1)
	s_and_saveexec_b32 s17, s18
; %bb.1079:                             ;   in Loop: Header=BB1038_1040 Depth=2
	v_bcnt_u32_b32 v62, v62, 0
	ds_store_b32 v146, v62 offset:544
; %bb.1080:                             ;   in Loop: Header=BB1038_1040 Depth=2
	s_or_b32 exec_lo, exec_lo, s17
	v_xor_b32_e32 v145, 0xffff8000, v145
	; wave barrier
	s_delay_alu instid0(VALU_DEP_1) | instskip(NEXT) | instid1(VALU_DEP_1)
	v_and_b32_e32 v62, 0xffff, v145
	v_lshrrev_b32_e32 v62, s49, v62
	s_delay_alu instid0(VALU_DEP_1) | instskip(SKIP_1) | instid1(VALU_DEP_2)
	v_bitop3_b32 v63, v62, 1, s48 bitop3:0x80
	v_and_b32_e32 v150, s48, v62
	v_add_co_u32 v62, s17, v63, -1
	s_delay_alu instid0(VALU_DEP_1) | instskip(NEXT) | instid1(VALU_DEP_3)
	v_cndmask_b32_e64 v63, 0, 1, s17
	v_dual_lshlrev_b32 v148, 30, v150 :: v_dual_lshlrev_b32 v149, 29, v150
	s_delay_alu instid0(VALU_DEP_2) | instskip(NEXT) | instid1(VALU_DEP_2)
	v_cmp_ne_u32_e32 vcc_lo, 0, v63
	v_cmp_gt_i32_e64 s17, 0, v148
	v_not_b32_e32 v63, v148
	s_delay_alu instid0(VALU_DEP_4) | instskip(SKIP_2) | instid1(VALU_DEP_3)
	v_not_b32_e32 v148, v149
	v_cmp_gt_i32_e64 s18, 0, v149
	v_bitop3_b32 v62, vcc_lo, exec_lo, v62 bitop3:0x48
	v_dual_ashrrev_i32 v63, 31, v63 :: v_dual_ashrrev_i32 v148, 31, v148
	v_dual_lshlrev_b32 v152, 28, v150 :: v_dual_lshlrev_b32 v153, 27, v150
	v_dual_lshlrev_b32 v154, 26, v150 :: v_dual_lshlrev_b32 v157, 25, v150
	s_delay_alu instid0(VALU_DEP_2) | instskip(SKIP_1) | instid1(VALU_DEP_4)
	v_cmp_gt_i32_e64 s19, 0, v152
	v_not_b32_e32 v149, v152
	v_cmp_gt_i32_e64 s20, 0, v153
	v_not_b32_e32 v152, v153
	;; [unrolled: 2-line block ×3, first 2 shown]
	v_not_b32_e32 v154, v157
	v_xor_b32_e32 v63, s17, v63
	v_dual_ashrrev_i32 v149, 31, v149 :: v_dual_bitop2_b32 v148, s18, v148 bitop3:0x14
	s_delay_alu instid0(VALU_DEP_4) | instskip(NEXT) | instid1(VALU_DEP_4)
	v_dual_ashrrev_i32 v152, 31, v152 :: v_dual_ashrrev_i32 v153, 31, v153
	v_ashrrev_i32_e32 v154, 31, v154
	s_delay_alu instid0(VALU_DEP_3)
	v_bitop3_b32 v62, v62, v148, v63 bitop3:0x80
	v_mad_u32_u24 v63, v150, 36, v23
	v_cmp_gt_i32_e64 s22, 0, v157
	v_xor_b32_e32 v152, s20, v152
	v_xor_b32_e32 v153, s21, v153
	ds_load_b32 v148, v63 offset:544
	v_mul_u32_u24_e32 v63, 36, v150
	v_xor_b32_e32 v149, s19, v149
	v_xor_b32_e32 v154, s22, v154
	; wave barrier
	s_delay_alu instid0(VALU_DEP_3) | instskip(NEXT) | instid1(VALU_DEP_3)
	v_add_nc_u32_e32 v150, v23, v63
	v_bitop3_b32 v62, v62, v152, v149 bitop3:0x80
	s_delay_alu instid0(VALU_DEP_1) | instskip(NEXT) | instid1(VALU_DEP_1)
	v_bitop3_b32 v62, v62, v154, v153 bitop3:0x80
	v_mbcnt_lo_u32_b32 v149, v62, 0
	v_cmp_ne_u32_e64 s17, 0, v62
	s_delay_alu instid0(VALU_DEP_2) | instskip(SKIP_1) | instid1(SALU_CYCLE_1)
	v_cmp_eq_u32_e32 vcc_lo, 0, v149
	s_and_b32 s18, s17, vcc_lo
	s_and_saveexec_b32 s17, s18
	s_cbranch_execz .LBB1038_1082
; %bb.1081:                             ;   in Loop: Header=BB1038_1040 Depth=2
	s_wait_dscnt 0x0
	v_bcnt_u32_b32 v62, v62, v148
	ds_store_b32 v150, v62 offset:544
.LBB1038_1082:                          ;   in Loop: Header=BB1038_1040 Depth=2
	s_or_b32 exec_lo, exec_lo, s17
	v_xor_b32_e32 v147, 0xffff8000, v147
	; wave barrier
	s_delay_alu instid0(VALU_DEP_1) | instskip(NEXT) | instid1(VALU_DEP_1)
	v_and_b32_e32 v62, 0xffff, v147
	v_lshrrev_b32_e32 v62, s49, v62
	s_delay_alu instid0(VALU_DEP_1) | instskip(SKIP_1) | instid1(VALU_DEP_2)
	v_bitop3_b32 v63, v62, 1, s48 bitop3:0x80
	v_and_b32_e32 v154, s48, v62
	v_add_co_u32 v62, s17, v63, -1
	s_delay_alu instid0(VALU_DEP_1) | instskip(NEXT) | instid1(VALU_DEP_3)
	v_cndmask_b32_e64 v63, 0, 1, s17
	v_dual_lshlrev_b32 v152, 30, v154 :: v_dual_lshlrev_b32 v153, 29, v154
	s_delay_alu instid0(VALU_DEP_2) | instskip(NEXT) | instid1(VALU_DEP_2)
	v_cmp_ne_u32_e32 vcc_lo, 0, v63
	v_cmp_gt_i32_e64 s17, 0, v152
	v_not_b32_e32 v63, v152
	s_delay_alu instid0(VALU_DEP_4) | instskip(SKIP_2) | instid1(VALU_DEP_3)
	v_not_b32_e32 v152, v153
	v_cmp_gt_i32_e64 s18, 0, v153
	v_bitop3_b32 v62, vcc_lo, exec_lo, v62 bitop3:0x48
	v_dual_ashrrev_i32 v63, 31, v63 :: v_dual_ashrrev_i32 v152, 31, v152
	v_dual_lshlrev_b32 v157, 28, v154 :: v_dual_lshlrev_b32 v158, 27, v154
	v_dual_lshlrev_b32 v159, 26, v154 :: v_dual_lshlrev_b32 v162, 25, v154
	s_delay_alu instid0(VALU_DEP_3) | instskip(NEXT) | instid1(VALU_DEP_3)
	v_xor_b32_e32 v63, s17, v63
	v_cmp_gt_i32_e64 s19, 0, v157
	v_not_b32_e32 v153, v157
	v_not_b32_e32 v157, v158
	v_xor_b32_e32 v152, s18, v152
	v_cmp_gt_i32_e64 s20, 0, v158
	v_cmp_gt_i32_e64 s21, 0, v159
	v_ashrrev_i32_e32 v153, 31, v153
	v_ashrrev_i32_e32 v157, 31, v157
	v_not_b32_e32 v158, v159
	v_not_b32_e32 v159, v162
	v_bitop3_b32 v62, v62, v152, v63 bitop3:0x80
	v_mad_u32_u24 v63, v154, 36, v23
	v_cmp_gt_i32_e64 s22, 0, v162
	s_delay_alu instid0(VALU_DEP_4)
	v_dual_ashrrev_i32 v158, 31, v158 :: v_dual_ashrrev_i32 v159, 31, v159
	v_xor_b32_e32 v157, s20, v157
	ds_load_b32 v152, v63 offset:544
	v_mul_u32_u24_e32 v63, 36, v154
	v_xor_b32_e32 v153, s19, v153
	v_xor_b32_e32 v158, s21, v158
	;; [unrolled: 1-line block ×3, first 2 shown]
	s_delay_alu instid0(VALU_DEP_4) | instskip(NEXT) | instid1(VALU_DEP_4)
	v_add_nc_u32_e32 v154, v23, v63
	v_bitop3_b32 v62, v62, v157, v153 bitop3:0x80
	; wave barrier
	s_delay_alu instid0(VALU_DEP_1) | instskip(NEXT) | instid1(VALU_DEP_1)
	v_bitop3_b32 v62, v62, v159, v158 bitop3:0x80
	v_mbcnt_lo_u32_b32 v153, v62, 0
	v_cmp_ne_u32_e64 s17, 0, v62
	s_delay_alu instid0(VALU_DEP_2) | instskip(SKIP_1) | instid1(SALU_CYCLE_1)
	v_cmp_eq_u32_e32 vcc_lo, 0, v153
	s_and_b32 s18, s17, vcc_lo
	s_and_saveexec_b32 s17, s18
	s_cbranch_execz .LBB1038_1084
; %bb.1083:                             ;   in Loop: Header=BB1038_1040 Depth=2
	s_wait_dscnt 0x0
	v_bcnt_u32_b32 v62, v62, v152
	ds_store_b32 v154, v62 offset:544
.LBB1038_1084:                          ;   in Loop: Header=BB1038_1040 Depth=2
	s_or_b32 exec_lo, exec_lo, s17
	v_xor_b32_e32 v151, 0xffff8000, v151
	; wave barrier
	s_delay_alu instid0(VALU_DEP_1) | instskip(NEXT) | instid1(VALU_DEP_1)
	v_and_b32_e32 v62, 0xffff, v151
	v_lshrrev_b32_e32 v62, s49, v62
	s_delay_alu instid0(VALU_DEP_1) | instskip(NEXT) | instid1(VALU_DEP_1)
	v_and_b32_e32 v159, s48, v62
	v_lshlrev_b32_e32 v157, 30, v159
	v_bitop3_b32 v63, v62, 1, s48 bitop3:0x80
	s_delay_alu instid0(VALU_DEP_1) | instskip(NEXT) | instid1(VALU_DEP_1)
	v_add_co_u32 v62, s17, v63, -1
	v_cndmask_b32_e64 v63, 0, 1, s17
	s_delay_alu instid0(VALU_DEP_4) | instskip(NEXT) | instid1(VALU_DEP_2)
	v_cmp_gt_i32_e64 s17, 0, v157
	v_cmp_ne_u32_e32 vcc_lo, 0, v63
	v_not_b32_e32 v63, v157
	v_bitop3_b32 v62, vcc_lo, exec_lo, v62 bitop3:0x48
	s_delay_alu instid0(VALU_DEP_2) | instskip(SKIP_2) | instid1(VALU_DEP_3)
	v_ashrrev_i32_e32 v63, 31, v63
	v_dual_lshlrev_b32 v158, 29, v159 :: v_dual_lshlrev_b32 v162, 28, v159
	v_dual_lshlrev_b32 v163, 27, v159 :: v_dual_lshlrev_b32 v165, 26, v159
	v_xor_b32_e32 v63, s17, v63
	s_delay_alu instid0(VALU_DEP_3)
	v_not_b32_e32 v157, v158
	v_lshlrev_b32_e32 v167, 25, v159
	v_cmp_gt_i32_e64 s18, 0, v158
	v_cmp_gt_i32_e64 s19, 0, v162
	v_not_b32_e32 v158, v162
	v_not_b32_e32 v162, v163
	v_ashrrev_i32_e32 v157, 31, v157
	v_cmp_gt_i32_e64 s20, 0, v163
	v_cmp_gt_i32_e64 s21, 0, v165
	v_ashrrev_i32_e32 v158, 31, v158
	s_delay_alu instid0(VALU_DEP_4) | instskip(SKIP_3) | instid1(VALU_DEP_4)
	v_dual_ashrrev_i32 v162, 31, v162 :: v_dual_bitop2_b32 v157, s18, v157 bitop3:0x14
	v_not_b32_e32 v163, v165
	v_not_b32_e32 v165, v167
	v_cmp_gt_i32_e64 s22, 0, v167
	v_xor_b32_e32 v162, s20, v162
	v_bitop3_b32 v62, v62, v157, v63 bitop3:0x80
	v_mad_u32_u24 v63, v159, 36, v23
	v_dual_ashrrev_i32 v163, 31, v163 :: v_dual_ashrrev_i32 v165, 31, v165
	ds_load_b32 v157, v63 offset:544
	v_mul_u32_u24_e32 v63, 36, v159
	v_xor_b32_e32 v158, s19, v158
	v_xor_b32_e32 v163, s21, v163
	;; [unrolled: 1-line block ×3, first 2 shown]
	s_delay_alu instid0(VALU_DEP_4) | instskip(NEXT) | instid1(VALU_DEP_4)
	v_add_nc_u32_e32 v159, v23, v63
	v_bitop3_b32 v62, v62, v162, v158 bitop3:0x80
	; wave barrier
	s_delay_alu instid0(VALU_DEP_1) | instskip(NEXT) | instid1(VALU_DEP_1)
	v_bitop3_b32 v62, v62, v165, v163 bitop3:0x80
	v_mbcnt_lo_u32_b32 v158, v62, 0
	v_cmp_ne_u32_e64 s17, 0, v62
	s_delay_alu instid0(VALU_DEP_2) | instskip(SKIP_1) | instid1(SALU_CYCLE_1)
	v_cmp_eq_u32_e32 vcc_lo, 0, v158
	s_and_b32 s18, s17, vcc_lo
	s_and_saveexec_b32 s17, s18
	s_cbranch_execz .LBB1038_1086
; %bb.1085:                             ;   in Loop: Header=BB1038_1040 Depth=2
	s_wait_dscnt 0x0
	v_bcnt_u32_b32 v62, v62, v157
	ds_store_b32 v159, v62 offset:544
.LBB1038_1086:                          ;   in Loop: Header=BB1038_1040 Depth=2
	s_or_b32 exec_lo, exec_lo, s17
	v_xor_b32_e32 v155, 0xffff8000, v155
	; wave barrier
	s_delay_alu instid0(VALU_DEP_1) | instskip(NEXT) | instid1(VALU_DEP_1)
	v_and_b32_e32 v62, 0xffff, v155
	v_lshrrev_b32_e32 v62, s49, v62
	s_delay_alu instid0(VALU_DEP_1) | instskip(NEXT) | instid1(VALU_DEP_1)
	v_and_b32_e32 v165, s48, v62
	v_lshlrev_b32_e32 v162, 30, v165
	v_bitop3_b32 v63, v62, 1, s48 bitop3:0x80
	s_delay_alu instid0(VALU_DEP_1) | instskip(NEXT) | instid1(VALU_DEP_1)
	v_add_co_u32 v62, s17, v63, -1
	v_cndmask_b32_e64 v63, 0, 1, s17
	s_delay_alu instid0(VALU_DEP_4) | instskip(NEXT) | instid1(VALU_DEP_2)
	v_cmp_gt_i32_e64 s17, 0, v162
	v_cmp_ne_u32_e32 vcc_lo, 0, v63
	v_not_b32_e32 v63, v162
	v_bitop3_b32 v62, vcc_lo, exec_lo, v62 bitop3:0x48
	s_delay_alu instid0(VALU_DEP_2) | instskip(SKIP_2) | instid1(VALU_DEP_3)
	v_dual_ashrrev_i32 v63, 31, v63 :: v_dual_lshlrev_b32 v163, 29, v165
	v_dual_lshlrev_b32 v167, 28, v165 :: v_dual_lshlrev_b32 v168, 27, v165
	v_lshlrev_b32_e32 v170, 26, v165
	v_not_b32_e32 v162, v163
	v_lshlrev_b32_e32 v172, 25, v165
	v_cmp_gt_i32_e64 s18, 0, v163
	v_cmp_gt_i32_e64 s19, 0, v167
	v_not_b32_e32 v163, v167
	v_not_b32_e32 v167, v168
	v_ashrrev_i32_e32 v162, 31, v162
	v_cmp_gt_i32_e64 s20, 0, v168
	v_cmp_gt_i32_e64 s21, 0, v170
	v_not_b32_e32 v168, v170
	v_not_b32_e32 v170, v172
	v_dual_ashrrev_i32 v163, 31, v163 :: v_dual_bitop2_b32 v162, s18, v162 bitop3:0x14
	s_delay_alu instid0(VALU_DEP_3) | instskip(NEXT) | instid1(VALU_DEP_3)
	v_dual_ashrrev_i32 v167, 31, v167 :: v_dual_ashrrev_i32 v168, 31, v168
	v_dual_ashrrev_i32 v170, 31, v170 :: v_dual_bitop2_b32 v63, s17, v63 bitop3:0x14
	v_cmp_gt_i32_e64 s22, 0, v172
	s_delay_alu instid0(VALU_DEP_4) | instskip(NEXT) | instid1(VALU_DEP_4)
	v_xor_b32_e32 v163, s19, v163
	v_xor_b32_e32 v167, s20, v167
	s_delay_alu instid0(VALU_DEP_4) | instskip(SKIP_2) | instid1(VALU_DEP_3)
	v_bitop3_b32 v62, v62, v162, v63 bitop3:0x80
	v_mad_u32_u24 v63, v165, 36, v23
	v_xor_b32_e32 v170, s22, v170
	v_bitop3_b32 v62, v62, v167, v163 bitop3:0x80
	ds_load_b32 v162, v63 offset:544
	v_mul_u32_u24_e32 v63, 36, v165
	v_xor_b32_e32 v168, s21, v168
	; wave barrier
	s_delay_alu instid0(VALU_DEP_2) | instskip(NEXT) | instid1(VALU_DEP_2)
	v_add_nc_u32_e32 v165, v23, v63
	v_bitop3_b32 v62, v62, v170, v168 bitop3:0x80
	s_delay_alu instid0(VALU_DEP_1) | instskip(SKIP_1) | instid1(VALU_DEP_2)
	v_mbcnt_lo_u32_b32 v163, v62, 0
	v_cmp_ne_u32_e64 s17, 0, v62
	v_cmp_eq_u32_e32 vcc_lo, 0, v163
	s_and_b32 s18, s17, vcc_lo
	s_delay_alu instid0(SALU_CYCLE_1)
	s_and_saveexec_b32 s17, s18
	s_cbranch_execz .LBB1038_1088
; %bb.1087:                             ;   in Loop: Header=BB1038_1040 Depth=2
	s_wait_dscnt 0x0
	v_bcnt_u32_b32 v62, v62, v162
	ds_store_b32 v165, v62 offset:544
.LBB1038_1088:                          ;   in Loop: Header=BB1038_1040 Depth=2
	s_or_b32 exec_lo, exec_lo, s17
	v_xor_b32_e32 v160, 0xffff8000, v160
	; wave barrier
	s_delay_alu instid0(VALU_DEP_1) | instskip(NEXT) | instid1(VALU_DEP_1)
	v_and_b32_e32 v62, 0xffff, v160
	v_lshrrev_b32_e32 v62, s49, v62
	s_delay_alu instid0(VALU_DEP_1) | instskip(SKIP_1) | instid1(VALU_DEP_2)
	v_bitop3_b32 v63, v62, 1, s48 bitop3:0x80
	v_and_b32_e32 v170, s48, v62
	v_add_co_u32 v62, s17, v63, -1
	s_delay_alu instid0(VALU_DEP_1) | instskip(NEXT) | instid1(VALU_DEP_3)
	v_cndmask_b32_e64 v63, 0, 1, s17
	v_dual_lshlrev_b32 v167, 30, v170 :: v_dual_lshlrev_b32 v168, 29, v170
	s_delay_alu instid0(VALU_DEP_2) | instskip(NEXT) | instid1(VALU_DEP_2)
	v_cmp_ne_u32_e32 vcc_lo, 0, v63
	v_cmp_gt_i32_e64 s17, 0, v167
	v_not_b32_e32 v63, v167
	s_delay_alu instid0(VALU_DEP_4) | instskip(SKIP_2) | instid1(VALU_DEP_4)
	v_not_b32_e32 v167, v168
	v_cmp_gt_i32_e64 s18, 0, v168
	v_bitop3_b32 v62, vcc_lo, exec_lo, v62 bitop3:0x48
	v_ashrrev_i32_e32 v63, 31, v63
	s_delay_alu instid0(VALU_DEP_4) | instskip(SKIP_1) | instid1(VALU_DEP_3)
	v_dual_ashrrev_i32 v167, 31, v167 :: v_dual_lshlrev_b32 v172, 28, v170
	v_dual_lshlrev_b32 v173, 27, v170 :: v_dual_lshlrev_b32 v175, 26, v170
	v_dual_lshlrev_b32 v177, 25, v170 :: v_dual_bitop2_b32 v63, s17, v63 bitop3:0x14
	s_delay_alu instid0(VALU_DEP_3) | instskip(SKIP_1) | instid1(VALU_DEP_4)
	v_cmp_gt_i32_e64 s19, 0, v172
	v_not_b32_e32 v168, v172
	v_not_b32_e32 v172, v173
	v_xor_b32_e32 v167, s18, v167
	v_cmp_gt_i32_e64 s20, 0, v173
	v_cmp_gt_i32_e64 s21, 0, v175
	v_ashrrev_i32_e32 v168, 31, v168
	v_ashrrev_i32_e32 v172, 31, v172
	v_not_b32_e32 v173, v175
	v_not_b32_e32 v175, v177
	v_bitop3_b32 v62, v62, v167, v63 bitop3:0x80
	v_mad_u32_u24 v63, v170, 36, v23
	v_cmp_gt_i32_e64 s22, 0, v177
	s_delay_alu instid0(VALU_DEP_4)
	v_dual_ashrrev_i32 v173, 31, v173 :: v_dual_ashrrev_i32 v175, 31, v175
	v_xor_b32_e32 v172, s20, v172
	ds_load_b32 v167, v63 offset:544
	v_mul_u32_u24_e32 v63, 36, v170
	v_xor_b32_e32 v168, s19, v168
	v_xor_b32_e32 v173, s21, v173
	;; [unrolled: 1-line block ×3, first 2 shown]
	s_delay_alu instid0(VALU_DEP_4) | instskip(NEXT) | instid1(VALU_DEP_4)
	v_add_nc_u32_e32 v170, v23, v63
	v_bitop3_b32 v62, v62, v172, v168 bitop3:0x80
	; wave barrier
	s_delay_alu instid0(VALU_DEP_1) | instskip(NEXT) | instid1(VALU_DEP_1)
	v_bitop3_b32 v62, v62, v175, v173 bitop3:0x80
	v_mbcnt_lo_u32_b32 v168, v62, 0
	v_cmp_ne_u32_e64 s17, 0, v62
	s_delay_alu instid0(VALU_DEP_2) | instskip(SKIP_1) | instid1(SALU_CYCLE_1)
	v_cmp_eq_u32_e32 vcc_lo, 0, v168
	s_and_b32 s18, s17, vcc_lo
	s_and_saveexec_b32 s17, s18
	s_cbranch_execz .LBB1038_1090
; %bb.1089:                             ;   in Loop: Header=BB1038_1040 Depth=2
	s_wait_dscnt 0x0
	v_bcnt_u32_b32 v62, v62, v167
	ds_store_b32 v170, v62 offset:544
.LBB1038_1090:                          ;   in Loop: Header=BB1038_1040 Depth=2
	s_or_b32 exec_lo, exec_lo, s17
	v_xor_b32_e32 v166, 0xffff8000, v166
	; wave barrier
	s_delay_alu instid0(VALU_DEP_1) | instskip(NEXT) | instid1(VALU_DEP_1)
	v_and_b32_e32 v62, 0xffff, v166
	v_lshrrev_b32_e32 v62, s49, v62
	s_delay_alu instid0(VALU_DEP_1) | instskip(NEXT) | instid1(VALU_DEP_1)
	v_and_b32_e32 v175, s48, v62
	v_lshlrev_b32_e32 v172, 30, v175
	v_bitop3_b32 v63, v62, 1, s48 bitop3:0x80
	s_delay_alu instid0(VALU_DEP_1) | instskip(NEXT) | instid1(VALU_DEP_1)
	v_add_co_u32 v62, s17, v63, -1
	v_cndmask_b32_e64 v63, 0, 1, s17
	s_delay_alu instid0(VALU_DEP_4) | instskip(NEXT) | instid1(VALU_DEP_2)
	v_cmp_gt_i32_e64 s17, 0, v172
	v_cmp_ne_u32_e32 vcc_lo, 0, v63
	v_not_b32_e32 v63, v172
	v_bitop3_b32 v62, vcc_lo, exec_lo, v62 bitop3:0x48
	s_delay_alu instid0(VALU_DEP_2) | instskip(SKIP_2) | instid1(VALU_DEP_3)
	v_ashrrev_i32_e32 v63, 31, v63
	v_dual_lshlrev_b32 v173, 29, v175 :: v_dual_lshlrev_b32 v177, 28, v175
	v_dual_lshlrev_b32 v178, 27, v175 :: v_dual_lshlrev_b32 v179, 26, v175
	v_xor_b32_e32 v63, s17, v63
	s_delay_alu instid0(VALU_DEP_3)
	v_not_b32_e32 v172, v173
	v_lshlrev_b32_e32 v180, 25, v175
	v_cmp_gt_i32_e64 s18, 0, v173
	v_cmp_gt_i32_e64 s19, 0, v177
	v_not_b32_e32 v173, v177
	v_not_b32_e32 v177, v178
	v_ashrrev_i32_e32 v172, 31, v172
	v_cmp_gt_i32_e64 s20, 0, v178
	v_cmp_gt_i32_e64 s21, 0, v179
	v_ashrrev_i32_e32 v173, 31, v173
	s_delay_alu instid0(VALU_DEP_4) | instskip(SKIP_3) | instid1(VALU_DEP_4)
	v_dual_ashrrev_i32 v177, 31, v177 :: v_dual_bitop2_b32 v172, s18, v172 bitop3:0x14
	v_not_b32_e32 v178, v179
	v_not_b32_e32 v179, v180
	v_cmp_gt_i32_e64 s22, 0, v180
	v_xor_b32_e32 v177, s20, v177
	v_bitop3_b32 v62, v62, v172, v63 bitop3:0x80
	v_mad_u32_u24 v63, v175, 36, v23
	v_dual_ashrrev_i32 v178, 31, v178 :: v_dual_ashrrev_i32 v179, 31, v179
	ds_load_b32 v172, v63 offset:544
	v_mul_u32_u24_e32 v63, 36, v175
	v_xor_b32_e32 v173, s19, v173
	v_xor_b32_e32 v178, s21, v178
	;; [unrolled: 1-line block ×3, first 2 shown]
	s_delay_alu instid0(VALU_DEP_4) | instskip(NEXT) | instid1(VALU_DEP_4)
	v_add_nc_u32_e32 v175, v23, v63
	v_bitop3_b32 v62, v62, v177, v173 bitop3:0x80
	; wave barrier
	s_delay_alu instid0(VALU_DEP_1) | instskip(NEXT) | instid1(VALU_DEP_1)
	v_bitop3_b32 v62, v62, v179, v178 bitop3:0x80
	v_mbcnt_lo_u32_b32 v173, v62, 0
	v_cmp_ne_u32_e64 s17, 0, v62
	s_delay_alu instid0(VALU_DEP_2) | instskip(SKIP_1) | instid1(SALU_CYCLE_1)
	v_cmp_eq_u32_e32 vcc_lo, 0, v173
	s_and_b32 s18, s17, vcc_lo
	s_and_saveexec_b32 s17, s18
	s_cbranch_execz .LBB1038_1092
; %bb.1091:                             ;   in Loop: Header=BB1038_1040 Depth=2
	s_wait_dscnt 0x0
	v_bcnt_u32_b32 v62, v62, v172
	ds_store_b32 v175, v62 offset:544
.LBB1038_1092:                          ;   in Loop: Header=BB1038_1040 Depth=2
	s_or_b32 exec_lo, exec_lo, s17
	v_xor_b32_e32 v171, 0xffff8000, v171
	; wave barrier
	s_delay_alu instid0(VALU_DEP_1) | instskip(NEXT) | instid1(VALU_DEP_1)
	v_and_b32_e32 v62, 0xffff, v171
	v_lshrrev_b32_e32 v62, s49, v62
	s_delay_alu instid0(VALU_DEP_1) | instskip(NEXT) | instid1(VALU_DEP_1)
	v_and_b32_e32 v179, s48, v62
	v_lshlrev_b32_e32 v177, 30, v179
	v_bitop3_b32 v63, v62, 1, s48 bitop3:0x80
	s_delay_alu instid0(VALU_DEP_1) | instskip(NEXT) | instid1(VALU_DEP_1)
	v_add_co_u32 v62, s17, v63, -1
	v_cndmask_b32_e64 v63, 0, 1, s17
	s_delay_alu instid0(VALU_DEP_4) | instskip(NEXT) | instid1(VALU_DEP_2)
	v_cmp_gt_i32_e64 s17, 0, v177
	v_cmp_ne_u32_e32 vcc_lo, 0, v63
	v_not_b32_e32 v63, v177
	v_bitop3_b32 v62, vcc_lo, exec_lo, v62 bitop3:0x48
	s_delay_alu instid0(VALU_DEP_2) | instskip(SKIP_2) | instid1(VALU_DEP_2)
	v_ashrrev_i32_e32 v63, 31, v63
	v_dual_lshlrev_b32 v178, 29, v179 :: v_dual_lshlrev_b32 v180, 28, v179
	v_dual_lshlrev_b32 v181, 27, v179 :: v_dual_lshlrev_b32 v182, 26, v179
	v_not_b32_e32 v177, v178
	v_lshlrev_b32_e32 v183, 25, v179
	v_cmp_gt_i32_e64 s18, 0, v178
	v_cmp_gt_i32_e64 s19, 0, v180
	v_not_b32_e32 v178, v180
	v_ashrrev_i32_e32 v177, 31, v177
	v_cmp_gt_i32_e64 s20, 0, v181
	v_not_b32_e32 v180, v181
	v_cmp_gt_i32_e64 s21, 0, v182
	v_not_b32_e32 v181, v182
	v_not_b32_e32 v182, v183
	v_xor_b32_e32 v63, s17, v63
	v_dual_ashrrev_i32 v178, 31, v178 :: v_dual_bitop2_b32 v177, s18, v177 bitop3:0x14
	s_delay_alu instid0(VALU_DEP_4) | instskip(NEXT) | instid1(VALU_DEP_4)
	v_dual_ashrrev_i32 v180, 31, v180 :: v_dual_ashrrev_i32 v181, 31, v181
	v_ashrrev_i32_e32 v182, 31, v182
	s_delay_alu instid0(VALU_DEP_3)
	v_bitop3_b32 v62, v62, v177, v63 bitop3:0x80
	v_mad_u32_u24 v63, v179, 36, v23
	v_cmp_gt_i32_e64 s22, 0, v183
	v_xor_b32_e32 v180, s20, v180
	v_xor_b32_e32 v181, s21, v181
	ds_load_b32 v177, v63 offset:544
	v_mul_u32_u24_e32 v63, 36, v179
	v_xor_b32_e32 v178, s19, v178
	v_xor_b32_e32 v182, s22, v182
	; wave barrier
	s_delay_alu instid0(VALU_DEP_3) | instskip(NEXT) | instid1(VALU_DEP_3)
	v_add_nc_u32_e32 v179, v23, v63
	v_bitop3_b32 v62, v62, v180, v178 bitop3:0x80
	s_delay_alu instid0(VALU_DEP_1) | instskip(NEXT) | instid1(VALU_DEP_1)
	v_bitop3_b32 v62, v62, v182, v181 bitop3:0x80
	v_mbcnt_lo_u32_b32 v178, v62, 0
	v_cmp_ne_u32_e64 s17, 0, v62
	s_delay_alu instid0(VALU_DEP_2) | instskip(SKIP_1) | instid1(SALU_CYCLE_1)
	v_cmp_eq_u32_e32 vcc_lo, 0, v178
	s_and_b32 s18, s17, vcc_lo
	s_and_saveexec_b32 s17, s18
	s_cbranch_execz .LBB1038_1094
; %bb.1093:                             ;   in Loop: Header=BB1038_1040 Depth=2
	s_wait_dscnt 0x0
	v_bcnt_u32_b32 v62, v62, v177
	ds_store_b32 v179, v62 offset:544
.LBB1038_1094:                          ;   in Loop: Header=BB1038_1040 Depth=2
	s_or_b32 exec_lo, exec_lo, s17
	v_xor_b32_e32 v176, 0xffff8000, v176
	; wave barrier
	s_delay_alu instid0(VALU_DEP_1) | instskip(NEXT) | instid1(VALU_DEP_1)
	v_and_b32_e32 v62, 0xffff, v176
	v_lshrrev_b32_e32 v62, s49, v62
	s_delay_alu instid0(VALU_DEP_1) | instskip(SKIP_1) | instid1(VALU_DEP_2)
	v_bitop3_b32 v63, v62, 1, s48 bitop3:0x80
	v_and_b32_e32 v182, s48, v62
	v_add_co_u32 v62, s17, v63, -1
	s_delay_alu instid0(VALU_DEP_1) | instskip(NEXT) | instid1(VALU_DEP_3)
	v_cndmask_b32_e64 v63, 0, 1, s17
	v_dual_lshlrev_b32 v180, 30, v182 :: v_dual_lshlrev_b32 v181, 29, v182
	s_delay_alu instid0(VALU_DEP_2) | instskip(NEXT) | instid1(VALU_DEP_2)
	v_cmp_ne_u32_e32 vcc_lo, 0, v63
	v_cmp_gt_i32_e64 s17, 0, v180
	v_not_b32_e32 v63, v180
	s_delay_alu instid0(VALU_DEP_4) | instskip(SKIP_2) | instid1(VALU_DEP_3)
	v_not_b32_e32 v180, v181
	v_cmp_gt_i32_e64 s18, 0, v181
	v_bitop3_b32 v62, vcc_lo, exec_lo, v62 bitop3:0x48
	v_dual_ashrrev_i32 v63, 31, v63 :: v_dual_ashrrev_i32 v180, 31, v180
	v_dual_lshlrev_b32 v183, 28, v182 :: v_dual_lshlrev_b32 v184, 27, v182
	v_dual_lshlrev_b32 v185, 26, v182 :: v_dual_lshlrev_b32 v186, 25, v182
	s_delay_alu instid0(VALU_DEP_2) | instskip(SKIP_1) | instid1(VALU_DEP_4)
	v_cmp_gt_i32_e64 s19, 0, v183
	v_not_b32_e32 v181, v183
	v_cmp_gt_i32_e64 s20, 0, v184
	v_not_b32_e32 v183, v184
	;; [unrolled: 2-line block ×3, first 2 shown]
	v_not_b32_e32 v185, v186
	v_xor_b32_e32 v63, s17, v63
	v_dual_ashrrev_i32 v181, 31, v181 :: v_dual_bitop2_b32 v180, s18, v180 bitop3:0x14
	s_delay_alu instid0(VALU_DEP_4) | instskip(NEXT) | instid1(VALU_DEP_4)
	v_dual_ashrrev_i32 v183, 31, v183 :: v_dual_ashrrev_i32 v184, 31, v184
	v_ashrrev_i32_e32 v185, 31, v185
	s_delay_alu instid0(VALU_DEP_3)
	v_bitop3_b32 v62, v62, v180, v63 bitop3:0x80
	v_mad_u32_u24 v63, v182, 36, v23
	v_cmp_gt_i32_e64 s22, 0, v186
	v_xor_b32_e32 v183, s20, v183
	v_xor_b32_e32 v184, s21, v184
	ds_load_b32 v180, v63 offset:544
	v_mul_u32_u24_e32 v63, 36, v182
	v_xor_b32_e32 v181, s19, v181
	v_xor_b32_e32 v185, s22, v185
	; wave barrier
	s_delay_alu instid0(VALU_DEP_3) | instskip(NEXT) | instid1(VALU_DEP_3)
	v_add_nc_u32_e32 v182, v23, v63
	v_bitop3_b32 v62, v62, v183, v181 bitop3:0x80
	s_delay_alu instid0(VALU_DEP_1) | instskip(NEXT) | instid1(VALU_DEP_1)
	v_bitop3_b32 v62, v62, v185, v184 bitop3:0x80
	v_mbcnt_lo_u32_b32 v181, v62, 0
	v_cmp_ne_u32_e64 s17, 0, v62
	s_delay_alu instid0(VALU_DEP_2) | instskip(SKIP_1) | instid1(SALU_CYCLE_1)
	v_cmp_eq_u32_e32 vcc_lo, 0, v181
	s_and_b32 s18, s17, vcc_lo
	s_and_saveexec_b32 s17, s18
	s_cbranch_execz .LBB1038_1096
; %bb.1095:                             ;   in Loop: Header=BB1038_1040 Depth=2
	s_wait_dscnt 0x0
	v_bcnt_u32_b32 v62, v62, v180
	ds_store_b32 v182, v62 offset:544
.LBB1038_1096:                          ;   in Loop: Header=BB1038_1040 Depth=2
	s_or_b32 exec_lo, exec_lo, s17
	v_xor_b32_e32 v174, 0xffff8000, v174
	; wave barrier
	s_delay_alu instid0(VALU_DEP_1) | instskip(NEXT) | instid1(VALU_DEP_1)
	v_and_b32_e32 v62, 0xffff, v174
	v_lshrrev_b32_e32 v62, s49, v62
	s_delay_alu instid0(VALU_DEP_1) | instskip(NEXT) | instid1(VALU_DEP_1)
	v_and_b32_e32 v185, s48, v62
	v_lshlrev_b32_e32 v183, 30, v185
	v_bitop3_b32 v63, v62, 1, s48 bitop3:0x80
	s_delay_alu instid0(VALU_DEP_1) | instskip(NEXT) | instid1(VALU_DEP_1)
	v_add_co_u32 v62, s17, v63, -1
	v_cndmask_b32_e64 v63, 0, 1, s17
	s_delay_alu instid0(VALU_DEP_4) | instskip(NEXT) | instid1(VALU_DEP_2)
	v_cmp_gt_i32_e64 s17, 0, v183
	v_cmp_ne_u32_e32 vcc_lo, 0, v63
	v_not_b32_e32 v63, v183
	v_bitop3_b32 v62, vcc_lo, exec_lo, v62 bitop3:0x48
	s_delay_alu instid0(VALU_DEP_2) | instskip(SKIP_2) | instid1(VALU_DEP_3)
	v_dual_ashrrev_i32 v63, 31, v63 :: v_dual_lshlrev_b32 v184, 29, v185
	v_dual_lshlrev_b32 v186, 28, v185 :: v_dual_lshlrev_b32 v187, 27, v185
	v_lshlrev_b32_e32 v188, 26, v185
	v_not_b32_e32 v183, v184
	v_lshlrev_b32_e32 v189, 25, v185
	v_cmp_gt_i32_e64 s18, 0, v184
	v_cmp_gt_i32_e64 s19, 0, v186
	v_not_b32_e32 v184, v186
	v_ashrrev_i32_e32 v183, 31, v183
	v_cmp_gt_i32_e64 s20, 0, v187
	v_not_b32_e32 v186, v187
	v_cmp_gt_i32_e64 s21, 0, v188
	v_not_b32_e32 v187, v188
	v_not_b32_e32 v188, v189
	v_xor_b32_e32 v63, s17, v63
	v_dual_ashrrev_i32 v184, 31, v184 :: v_dual_bitop2_b32 v183, s18, v183 bitop3:0x14
	s_delay_alu instid0(VALU_DEP_3) | instskip(SKIP_1) | instid1(VALU_DEP_3)
	v_dual_ashrrev_i32 v186, 31, v186 :: v_dual_ashrrev_i32 v188, 31, v188
	v_cmp_gt_i32_e64 s22, 0, v189
	v_bitop3_b32 v62, v62, v183, v63 bitop3:0x80
	v_mad_u32_u24 v63, v185, 36, v23
	v_dual_ashrrev_i32 v187, 31, v187 :: v_dual_bitop2_b32 v184, s19, v184 bitop3:0x14
	s_delay_alu instid0(VALU_DEP_4) | instskip(SKIP_4) | instid1(VALU_DEP_3)
	v_xor_b32_e32 v188, s22, v188
	ds_load_b32 v183, v63 offset:544
	v_mul_u32_u24_e32 v63, 36, v185
	v_xor_b32_e32 v186, s20, v186
	v_xor_b32_e32 v187, s21, v187
	; wave barrier
	v_add_nc_u32_e32 v185, v23, v63
	s_delay_alu instid0(VALU_DEP_3) | instskip(NEXT) | instid1(VALU_DEP_1)
	v_bitop3_b32 v62, v62, v186, v184 bitop3:0x80
	v_bitop3_b32 v62, v62, v188, v187 bitop3:0x80
	s_delay_alu instid0(VALU_DEP_1) | instskip(SKIP_1) | instid1(VALU_DEP_2)
	v_mbcnt_lo_u32_b32 v184, v62, 0
	v_cmp_ne_u32_e64 s17, 0, v62
	v_cmp_eq_u32_e32 vcc_lo, 0, v184
	s_and_b32 s18, s17, vcc_lo
	s_delay_alu instid0(SALU_CYCLE_1)
	s_and_saveexec_b32 s17, s18
	s_cbranch_execz .LBB1038_1098
; %bb.1097:                             ;   in Loop: Header=BB1038_1040 Depth=2
	s_wait_dscnt 0x0
	v_bcnt_u32_b32 v62, v62, v183
	ds_store_b32 v185, v62 offset:544
.LBB1038_1098:                          ;   in Loop: Header=BB1038_1040 Depth=2
	s_or_b32 exec_lo, exec_lo, s17
	v_xor_b32_e32 v169, 0xffff8000, v169
	; wave barrier
	s_delay_alu instid0(VALU_DEP_1) | instskip(NEXT) | instid1(VALU_DEP_1)
	v_and_b32_e32 v62, 0xffff, v169
	v_lshrrev_b32_e32 v62, s49, v62
	s_delay_alu instid0(VALU_DEP_1) | instskip(SKIP_1) | instid1(VALU_DEP_2)
	v_and_b32_e32 v186, s48, v62
	v_bitop3_b32 v63, v62, 1, s48 bitop3:0x80
	v_lshlrev_b32_e32 v187, 29, v186
	s_delay_alu instid0(VALU_DEP_2) | instskip(NEXT) | instid1(VALU_DEP_1)
	v_add_co_u32 v62, s17, v63, -1
	v_cndmask_b32_e64 v192, 0, 1, s17
	s_delay_alu instid0(VALU_DEP_3) | instskip(SKIP_1) | instid1(VALU_DEP_3)
	v_cmp_gt_i32_e64 s17, 0, v187
	v_not_b32_e32 v187, v187
	v_cmp_ne_u32_e64 s22, 0, v192
	s_delay_alu instid0(VALU_DEP_2) | instskip(SKIP_2) | instid1(VALU_DEP_3)
	v_dual_ashrrev_i32 v187, 31, v187 :: v_dual_lshlrev_b32 v63, 30, v186
	v_dual_lshlrev_b32 v188, 28, v186 :: v_dual_lshlrev_b32 v189, 27, v186
	v_dual_lshlrev_b32 v190, 26, v186 :: v_dual_lshlrev_b32 v191, 25, v186
	v_cmp_gt_i32_e32 vcc_lo, 0, v63
	v_not_b32_e32 v63, v63
	s_delay_alu instid0(VALU_DEP_4)
	v_cmp_gt_i32_e64 s18, 0, v188
	v_not_b32_e32 v188, v188
	v_cmp_gt_i32_e64 s19, 0, v189
	v_not_b32_e32 v189, v189
	v_ashrrev_i32_e32 v63, 31, v63
	v_cmp_gt_i32_e64 s20, 0, v190
	v_not_b32_e32 v190, v190
	v_bitop3_b32 v62, s22, exec_lo, v62 bitop3:0x48
	v_xor_b32_e32 v187, s17, v187
	v_xor_b32_e32 v63, vcc_lo, v63
	v_cmp_gt_i32_e64 s21, 0, v191
	v_not_b32_e32 v191, v191
	v_dual_ashrrev_i32 v188, 31, v188 :: v_dual_ashrrev_i32 v189, 31, v189
	v_ashrrev_i32_e32 v190, 31, v190
	v_bitop3_b32 v62, v62, v187, v63 bitop3:0x80
	v_mad_u32_u24 v63, v186, 36, v23
	s_delay_alu instid0(VALU_DEP_4) | instskip(NEXT) | instid1(VALU_DEP_4)
	v_dual_ashrrev_i32 v191, 31, v191 :: v_dual_bitop2_b32 v188, s18, v188 bitop3:0x14
	v_xor_b32_e32 v190, s20, v190
	ds_load_b32 v187, v63 offset:544
	v_mul_u32_u24_e32 v63, 36, v186
	v_xor_b32_e32 v189, s19, v189
	v_xor_b32_e32 v191, s21, v191
	; wave barrier
	s_delay_alu instid0(VALU_DEP_2) | instskip(NEXT) | instid1(VALU_DEP_1)
	v_bitop3_b32 v62, v62, v189, v188 bitop3:0x80
	v_bitop3_b32 v62, v62, v191, v190 bitop3:0x80
	v_add_nc_u32_e32 v190, v23, v63
	s_delay_alu instid0(VALU_DEP_2) | instskip(SKIP_1) | instid1(VALU_DEP_2)
	v_mbcnt_lo_u32_b32 v188, v62, 0
	v_cmp_ne_u32_e64 s17, 0, v62
	v_cmp_eq_u32_e32 vcc_lo, 0, v188
	s_and_b32 s18, s17, vcc_lo
	s_delay_alu instid0(SALU_CYCLE_1)
	s_and_saveexec_b32 s17, s18
	s_cbranch_execz .LBB1038_1100
; %bb.1099:                             ;   in Loop: Header=BB1038_1040 Depth=2
	s_wait_dscnt 0x0
	v_bcnt_u32_b32 v62, v62, v187
	ds_store_b32 v190, v62 offset:544
.LBB1038_1100:                          ;   in Loop: Header=BB1038_1040 Depth=2
	s_or_b32 exec_lo, exec_lo, s17
	v_xor_b32_e32 v186, 0xffff8000, v164
	; wave barrier
	s_delay_alu instid0(VALU_DEP_1) | instskip(NEXT) | instid1(VALU_DEP_1)
	v_and_b32_e32 v62, 0xffff, v186
	v_lshrrev_b32_e32 v62, s49, v62
	s_delay_alu instid0(VALU_DEP_1) | instskip(NEXT) | instid1(VALU_DEP_1)
	v_and_b32_e32 v164, s48, v62
	v_lshlrev_b32_e32 v189, 30, v164
	v_bitop3_b32 v63, v62, 1, s48 bitop3:0x80
	s_delay_alu instid0(VALU_DEP_1) | instskip(NEXT) | instid1(VALU_DEP_1)
	v_add_co_u32 v62, s17, v63, -1
	v_cndmask_b32_e64 v63, 0, 1, s17
	s_delay_alu instid0(VALU_DEP_4) | instskip(NEXT) | instid1(VALU_DEP_2)
	v_cmp_gt_i32_e64 s17, 0, v189
	v_cmp_ne_u32_e32 vcc_lo, 0, v63
	v_not_b32_e32 v63, v189
	v_bitop3_b32 v62, vcc_lo, exec_lo, v62 bitop3:0x48
	s_delay_alu instid0(VALU_DEP_2) | instskip(SKIP_2) | instid1(VALU_DEP_3)
	v_dual_ashrrev_i32 v63, 31, v63 :: v_dual_lshlrev_b32 v191, 29, v164
	v_dual_lshlrev_b32 v192, 28, v164 :: v_dual_lshlrev_b32 v193, 27, v164
	v_lshlrev_b32_e32 v194, 26, v164
	v_not_b32_e32 v189, v191
	v_lshlrev_b32_e32 v195, 25, v164
	v_cmp_gt_i32_e64 s18, 0, v191
	v_cmp_gt_i32_e64 s19, 0, v192
	v_not_b32_e32 v191, v192
	v_not_b32_e32 v192, v193
	v_ashrrev_i32_e32 v189, 31, v189
	v_cmp_gt_i32_e64 s20, 0, v193
	v_cmp_gt_i32_e64 s21, 0, v194
	v_not_b32_e32 v193, v194
	v_not_b32_e32 v194, v195
	v_dual_ashrrev_i32 v191, 31, v191 :: v_dual_ashrrev_i32 v192, 31, v192
	s_delay_alu instid0(VALU_DEP_3) | instskip(NEXT) | instid1(VALU_DEP_3)
	v_dual_ashrrev_i32 v193, 31, v193 :: v_dual_bitop2_b32 v63, s17, v63 bitop3:0x14
	v_dual_ashrrev_i32 v194, 31, v194 :: v_dual_bitop2_b32 v189, s18, v189 bitop3:0x14
	v_cmp_gt_i32_e64 s22, 0, v195
	s_delay_alu instid0(VALU_DEP_4) | instskip(SKIP_1) | instid1(VALU_DEP_4)
	v_xor_b32_e32 v191, s19, v191
	v_xor_b32_e32 v192, s20, v192
	v_bitop3_b32 v62, v62, v189, v63 bitop3:0x80
	v_mad_u32_u24 v63, v164, 36, v23
	v_xor_b32_e32 v189, s21, v193
	v_xor_b32_e32 v193, s22, v194
	s_delay_alu instid0(VALU_DEP_4) | instskip(SKIP_3) | instid1(VALU_DEP_2)
	v_bitop3_b32 v62, v62, v192, v191 bitop3:0x80
	ds_load_b32 v191, v63 offset:544
	v_mul_u32_u24_e32 v63, 36, v164
	; wave barrier
	v_bitop3_b32 v62, v62, v193, v189 bitop3:0x80
	v_add_nc_u32_e32 v164, v23, v63
	s_delay_alu instid0(VALU_DEP_2) | instskip(SKIP_1) | instid1(VALU_DEP_2)
	v_mbcnt_lo_u32_b32 v192, v62, 0
	v_cmp_ne_u32_e64 s17, 0, v62
	v_cmp_eq_u32_e32 vcc_lo, 0, v192
	s_and_b32 s18, s17, vcc_lo
	s_delay_alu instid0(SALU_CYCLE_1)
	s_and_saveexec_b32 s17, s18
	s_cbranch_execz .LBB1038_1102
; %bb.1101:                             ;   in Loop: Header=BB1038_1040 Depth=2
	s_wait_dscnt 0x0
	v_bcnt_u32_b32 v62, v62, v191
	ds_store_b32 v164, v62 offset:544
.LBB1038_1102:                          ;   in Loop: Header=BB1038_1040 Depth=2
	s_or_b32 exec_lo, exec_lo, s17
	v_xor_b32_e32 v189, 0xffff8000, v161
	; wave barrier
	s_delay_alu instid0(VALU_DEP_1) | instskip(NEXT) | instid1(VALU_DEP_1)
	v_and_b32_e32 v62, 0xffff, v189
	v_lshrrev_b32_e32 v62, s49, v62
	s_delay_alu instid0(VALU_DEP_1) | instskip(NEXT) | instid1(VALU_DEP_1)
	v_and_b32_e32 v161, s48, v62
	v_lshlrev_b32_e32 v193, 30, v161
	v_bitop3_b32 v63, v62, 1, s48 bitop3:0x80
	s_delay_alu instid0(VALU_DEP_1) | instskip(NEXT) | instid1(VALU_DEP_1)
	v_add_co_u32 v62, s17, v63, -1
	v_cndmask_b32_e64 v63, 0, 1, s17
	s_delay_alu instid0(VALU_DEP_4) | instskip(NEXT) | instid1(VALU_DEP_2)
	v_cmp_gt_i32_e64 s17, 0, v193
	v_cmp_ne_u32_e32 vcc_lo, 0, v63
	v_not_b32_e32 v63, v193
	v_bitop3_b32 v62, vcc_lo, exec_lo, v62 bitop3:0x48
	s_delay_alu instid0(VALU_DEP_2) | instskip(SKIP_2) | instid1(VALU_DEP_3)
	v_dual_ashrrev_i32 v63, 31, v63 :: v_dual_lshlrev_b32 v194, 29, v161
	v_dual_lshlrev_b32 v195, 28, v161 :: v_dual_lshlrev_b32 v196, 27, v161
	v_lshlrev_b32_e32 v197, 26, v161
	v_not_b32_e32 v193, v194
	v_cmp_gt_i32_e64 s18, 0, v194
	s_delay_alu instid0(VALU_DEP_4)
	v_cmp_gt_i32_e64 s19, 0, v195
	v_not_b32_e32 v194, v195
	v_lshlrev_b32_e32 v198, 25, v161
	v_not_b32_e32 v195, v196
	v_ashrrev_i32_e32 v193, 31, v193
	v_cmp_gt_i32_e64 s20, 0, v196
	v_cmp_gt_i32_e64 s21, 0, v197
	v_not_b32_e32 v196, v197
	v_ashrrev_i32_e32 v194, 31, v194
	v_not_b32_e32 v197, v198
	v_ashrrev_i32_e32 v195, 31, v195
	s_delay_alu instid0(VALU_DEP_4) | instskip(SKIP_4) | instid1(VALU_DEP_4)
	v_dual_ashrrev_i32 v196, 31, v196 :: v_dual_bitop2_b32 v63, s17, v63 bitop3:0x14
	v_xor_b32_e32 v193, s18, v193
	v_cmp_gt_i32_e64 s22, 0, v198
	v_dual_ashrrev_i32 v197, 31, v197 :: v_dual_bitop2_b32 v194, s19, v194 bitop3:0x14
	v_xor_b32_e32 v195, s20, v195
	v_bitop3_b32 v62, v62, v193, v63 bitop3:0x80
	v_mad_u32_u24 v63, v161, 36, v23
	v_xor_b32_e32 v193, s21, v196
	v_xor_b32_e32 v196, s22, v197
	s_delay_alu instid0(VALU_DEP_4) | instskip(SKIP_3) | instid1(VALU_DEP_2)
	v_bitop3_b32 v62, v62, v195, v194 bitop3:0x80
	ds_load_b32 v194, v63 offset:544
	v_mul_u32_u24_e32 v63, 36, v161
	; wave barrier
	v_bitop3_b32 v62, v62, v196, v193 bitop3:0x80
	v_add_nc_u32_e32 v161, v23, v63
	s_delay_alu instid0(VALU_DEP_2) | instskip(SKIP_1) | instid1(VALU_DEP_2)
	v_mbcnt_lo_u32_b32 v195, v62, 0
	v_cmp_ne_u32_e64 s17, 0, v62
	v_cmp_eq_u32_e32 vcc_lo, 0, v195
	s_and_b32 s18, s17, vcc_lo
	s_delay_alu instid0(SALU_CYCLE_1)
	s_and_saveexec_b32 s17, s18
	s_cbranch_execz .LBB1038_1104
; %bb.1103:                             ;   in Loop: Header=BB1038_1040 Depth=2
	s_wait_dscnt 0x0
	v_bcnt_u32_b32 v62, v62, v194
	ds_store_b32 v161, v62 offset:544
.LBB1038_1104:                          ;   in Loop: Header=BB1038_1040 Depth=2
	s_or_b32 exec_lo, exec_lo, s17
	v_xor_b32_e32 v193, 0xffff8000, v156
	; wave barrier
	s_delay_alu instid0(VALU_DEP_1) | instskip(NEXT) | instid1(VALU_DEP_1)
	v_and_b32_e32 v62, 0xffff, v193
	v_lshrrev_b32_e32 v62, s49, v62
	s_delay_alu instid0(VALU_DEP_1) | instskip(NEXT) | instid1(VALU_DEP_1)
	v_and_b32_e32 v156, s48, v62
	v_lshlrev_b32_e32 v196, 30, v156
	v_bitop3_b32 v63, v62, 1, s48 bitop3:0x80
	s_delay_alu instid0(VALU_DEP_1) | instskip(NEXT) | instid1(VALU_DEP_1)
	v_add_co_u32 v62, s17, v63, -1
	v_cndmask_b32_e64 v63, 0, 1, s17
	s_delay_alu instid0(VALU_DEP_4) | instskip(NEXT) | instid1(VALU_DEP_2)
	v_cmp_gt_i32_e64 s17, 0, v196
	v_cmp_ne_u32_e32 vcc_lo, 0, v63
	v_not_b32_e32 v63, v196
	v_bitop3_b32 v62, vcc_lo, exec_lo, v62 bitop3:0x48
	s_delay_alu instid0(VALU_DEP_2) | instskip(SKIP_2) | instid1(VALU_DEP_3)
	v_dual_ashrrev_i32 v63, 31, v63 :: v_dual_lshlrev_b32 v197, 29, v156
	v_dual_lshlrev_b32 v198, 28, v156 :: v_dual_lshlrev_b32 v199, 27, v156
	v_lshlrev_b32_e32 v200, 26, v156
	v_not_b32_e32 v196, v197
	v_cmp_gt_i32_e64 s18, 0, v197
	s_delay_alu instid0(VALU_DEP_4)
	v_cmp_gt_i32_e64 s19, 0, v198
	v_not_b32_e32 v197, v198
	v_lshlrev_b32_e32 v201, 25, v156
	v_not_b32_e32 v198, v199
	v_ashrrev_i32_e32 v196, 31, v196
	v_cmp_gt_i32_e64 s20, 0, v199
	v_cmp_gt_i32_e64 s21, 0, v200
	v_not_b32_e32 v199, v200
	v_ashrrev_i32_e32 v197, 31, v197
	v_not_b32_e32 v200, v201
	v_dual_ashrrev_i32 v198, 31, v198 :: v_dual_bitop2_b32 v63, s17, v63 bitop3:0x14
	s_delay_alu instid0(VALU_DEP_4) | instskip(SKIP_1) | instid1(VALU_DEP_4)
	v_dual_ashrrev_i32 v199, 31, v199 :: v_dual_bitop2_b32 v196, s18, v196 bitop3:0x14
	v_cmp_gt_i32_e64 s22, 0, v201
	v_dual_ashrrev_i32 v200, 31, v200 :: v_dual_bitop2_b32 v197, s19, v197 bitop3:0x14
	s_delay_alu instid0(VALU_DEP_4) | instskip(NEXT) | instid1(VALU_DEP_4)
	v_xor_b32_e32 v198, s20, v198
	v_bitop3_b32 v62, v62, v196, v63 bitop3:0x80
	v_mad_u32_u24 v63, v156, 36, v23
	v_xor_b32_e32 v196, s21, v199
	v_xor_b32_e32 v199, s22, v200
	s_delay_alu instid0(VALU_DEP_4) | instskip(SKIP_3) | instid1(VALU_DEP_2)
	v_bitop3_b32 v62, v62, v198, v197 bitop3:0x80
	ds_load_b32 v197, v63 offset:544
	v_mul_u32_u24_e32 v63, 36, v156
	; wave barrier
	v_bitop3_b32 v62, v62, v199, v196 bitop3:0x80
	v_add_nc_u32_e32 v156, v23, v63
	s_delay_alu instid0(VALU_DEP_2) | instskip(SKIP_1) | instid1(VALU_DEP_2)
	v_mbcnt_lo_u32_b32 v198, v62, 0
	v_cmp_ne_u32_e64 s17, 0, v62
	v_cmp_eq_u32_e32 vcc_lo, 0, v198
	s_and_b32 s18, s17, vcc_lo
	s_delay_alu instid0(SALU_CYCLE_1)
	s_and_saveexec_b32 s17, s18
	s_cbranch_execz .LBB1038_1106
; %bb.1105:                             ;   in Loop: Header=BB1038_1040 Depth=2
	s_wait_dscnt 0x0
	v_bcnt_u32_b32 v62, v62, v197
	ds_store_b32 v156, v62 offset:544
.LBB1038_1106:                          ;   in Loop: Header=BB1038_1040 Depth=2
	s_or_b32 exec_lo, exec_lo, s17
	v_xor_b32_e32 v196, 0xffff8000, v65
	; wave barrier
	s_delay_alu instid0(VALU_DEP_1) | instskip(NEXT) | instid1(VALU_DEP_1)
	v_and_b32_e32 v62, 0xffff, v196
	v_lshrrev_b32_e32 v62, s49, v62
	s_delay_alu instid0(VALU_DEP_1) | instskip(NEXT) | instid1(VALU_DEP_1)
	v_and_b32_e32 v65, s48, v62
	v_lshlrev_b32_e32 v199, 30, v65
	v_bitop3_b32 v63, v62, 1, s48 bitop3:0x80
	s_delay_alu instid0(VALU_DEP_1) | instskip(NEXT) | instid1(VALU_DEP_1)
	v_add_co_u32 v62, s17, v63, -1
	v_cndmask_b32_e64 v63, 0, 1, s17
	s_delay_alu instid0(VALU_DEP_4) | instskip(NEXT) | instid1(VALU_DEP_2)
	v_cmp_gt_i32_e64 s17, 0, v199
	v_cmp_ne_u32_e32 vcc_lo, 0, v63
	v_not_b32_e32 v63, v199
	v_bitop3_b32 v62, vcc_lo, exec_lo, v62 bitop3:0x48
	s_delay_alu instid0(VALU_DEP_2) | instskip(SKIP_2) | instid1(VALU_DEP_3)
	v_dual_ashrrev_i32 v63, 31, v63 :: v_dual_lshlrev_b32 v200, 29, v65
	v_dual_lshlrev_b32 v201, 28, v65 :: v_dual_lshlrev_b32 v202, 27, v65
	v_lshlrev_b32_e32 v203, 26, v65
	v_not_b32_e32 v199, v200
	v_lshlrev_b32_e32 v204, 25, v65
	v_cmp_gt_i32_e64 s18, 0, v200
	v_cmp_gt_i32_e64 s19, 0, v201
	v_not_b32_e32 v200, v201
	v_not_b32_e32 v201, v202
	v_ashrrev_i32_e32 v199, 31, v199
	v_cmp_gt_i32_e64 s20, 0, v202
	v_cmp_gt_i32_e64 s21, 0, v203
	v_not_b32_e32 v202, v203
	v_not_b32_e32 v203, v204
	v_dual_ashrrev_i32 v200, 31, v200 :: v_dual_ashrrev_i32 v201, 31, v201
	s_delay_alu instid0(VALU_DEP_3) | instskip(SKIP_2) | instid1(VALU_DEP_4)
	v_dual_ashrrev_i32 v202, 31, v202 :: v_dual_bitop2_b32 v63, s17, v63 bitop3:0x14
	v_xor_b32_e32 v199, s18, v199
	v_cmp_gt_i32_e64 s22, 0, v204
	v_dual_ashrrev_i32 v203, 31, v203 :: v_dual_bitop2_b32 v200, s19, v200 bitop3:0x14
	v_xor_b32_e32 v201, s20, v201
	s_delay_alu instid0(VALU_DEP_4) | instskip(SKIP_3) | instid1(VALU_DEP_4)
	v_bitop3_b32 v62, v62, v199, v63 bitop3:0x80
	v_mad_u32_u24 v63, v65, 36, v23
	v_xor_b32_e32 v199, s21, v202
	v_xor_b32_e32 v202, s22, v203
	v_bitop3_b32 v62, v62, v201, v200 bitop3:0x80
	ds_load_b32 v200, v63 offset:544
	v_mul_u32_u24_e32 v63, 36, v65
	; wave barrier
	v_bitop3_b32 v62, v62, v202, v199 bitop3:0x80
	s_delay_alu instid0(VALU_DEP_2) | instskip(NEXT) | instid1(VALU_DEP_2)
	v_add_nc_u32_e32 v202, v23, v63
	v_mbcnt_lo_u32_b32 v201, v62, 0
	v_cmp_ne_u32_e64 s17, 0, v62
	s_delay_alu instid0(VALU_DEP_2) | instskip(SKIP_1) | instid1(SALU_CYCLE_1)
	v_cmp_eq_u32_e32 vcc_lo, 0, v201
	s_and_b32 s18, s17, vcc_lo
	s_and_saveexec_b32 s17, s18
	s_cbranch_execz .LBB1038_1108
; %bb.1107:                             ;   in Loop: Header=BB1038_1040 Depth=2
	s_wait_dscnt 0x0
	v_bcnt_u32_b32 v62, v62, v200
	ds_store_b32 v202, v62 offset:544
.LBB1038_1108:                          ;   in Loop: Header=BB1038_1040 Depth=2
	s_or_b32 exec_lo, exec_lo, s17
	v_xor_b32_e32 v199, 0xffff8000, v64
	; wave barrier
	s_delay_alu instid0(VALU_DEP_1) | instskip(NEXT) | instid1(VALU_DEP_1)
	v_and_b32_e32 v62, 0xffff, v199
	v_lshrrev_b32_e32 v62, s49, v62
	s_delay_alu instid0(VALU_DEP_1) | instskip(NEXT) | instid1(VALU_DEP_1)
	v_and_b32_e32 v64, s48, v62
	v_lshlrev_b32_e32 v65, 30, v64
	v_bitop3_b32 v63, v62, 1, s48 bitop3:0x80
	s_delay_alu instid0(VALU_DEP_1) | instskip(NEXT) | instid1(VALU_DEP_1)
	v_add_co_u32 v62, s17, v63, -1
	v_cndmask_b32_e64 v63, 0, 1, s17
	s_delay_alu instid0(VALU_DEP_4) | instskip(NEXT) | instid1(VALU_DEP_2)
	v_cmp_gt_i32_e64 s17, 0, v65
	v_cmp_ne_u32_e32 vcc_lo, 0, v63
	v_not_b32_e32 v63, v65
	v_bitop3_b32 v62, vcc_lo, exec_lo, v62 bitop3:0x48
	s_delay_alu instid0(VALU_DEP_2) | instskip(SKIP_2) | instid1(VALU_DEP_3)
	v_dual_ashrrev_i32 v63, 31, v63 :: v_dual_lshlrev_b32 v203, 29, v64
	v_dual_lshlrev_b32 v204, 28, v64 :: v_dual_lshlrev_b32 v205, 27, v64
	v_lshlrev_b32_e32 v206, 26, v64
	v_not_b32_e32 v65, v203
	v_lshlrev_b32_e32 v207, 25, v64
	v_cmp_gt_i32_e64 s18, 0, v203
	v_cmp_gt_i32_e64 s19, 0, v204
	v_not_b32_e32 v203, v204
	v_not_b32_e32 v204, v205
	v_ashrrev_i32_e32 v65, 31, v65
	v_cmp_gt_i32_e64 s20, 0, v205
	v_cmp_gt_i32_e64 s21, 0, v206
	v_not_b32_e32 v205, v206
	v_not_b32_e32 v206, v207
	v_dual_ashrrev_i32 v203, 31, v203 :: v_dual_ashrrev_i32 v204, 31, v204
	s_delay_alu instid0(VALU_DEP_3) | instskip(NEXT) | instid1(VALU_DEP_3)
	v_dual_ashrrev_i32 v205, 31, v205 :: v_dual_bitop2_b32 v63, s17, v63 bitop3:0x14
	v_dual_ashrrev_i32 v206, 31, v206 :: v_dual_bitop2_b32 v65, s18, v65 bitop3:0x14
	v_cmp_gt_i32_e64 s22, 0, v207
	s_delay_alu instid0(VALU_DEP_4) | instskip(SKIP_1) | instid1(VALU_DEP_4)
	v_xor_b32_e32 v203, s19, v203
	v_xor_b32_e32 v204, s20, v204
	v_bitop3_b32 v62, v62, v65, v63 bitop3:0x80
	v_mad_u32_u24 v63, v64, 36, v23
	v_xor_b32_e32 v65, s21, v205
	v_xor_b32_e32 v205, s22, v206
	s_delay_alu instid0(VALU_DEP_4) | instskip(SKIP_3) | instid1(VALU_DEP_2)
	v_bitop3_b32 v62, v62, v204, v203 bitop3:0x80
	ds_load_b32 v203, v63 offset:544
	v_mul_u32_u24_e32 v63, 36, v64
	; wave barrier
	v_bitop3_b32 v62, v62, v205, v65 bitop3:0x80
	v_add_nc_u32_e32 v205, v23, v63
	s_delay_alu instid0(VALU_DEP_2) | instskip(SKIP_1) | instid1(VALU_DEP_2)
	v_mbcnt_lo_u32_b32 v204, v62, 0
	v_cmp_ne_u32_e64 s17, 0, v62
	v_cmp_eq_u32_e32 vcc_lo, 0, v204
	s_and_b32 s18, s17, vcc_lo
	s_delay_alu instid0(SALU_CYCLE_1)
	s_and_saveexec_b32 s17, s18
	s_cbranch_execz .LBB1038_1110
; %bb.1109:                             ;   in Loop: Header=BB1038_1040 Depth=2
	s_wait_dscnt 0x0
	v_bcnt_u32_b32 v62, v62, v203
	ds_store_b32 v205, v62 offset:544
.LBB1038_1110:                          ;   in Loop: Header=BB1038_1040 Depth=2
	s_or_b32 exec_lo, exec_lo, s17
	v_and_b32_e32 v62, 0xffff, v142
	; wave barrier
	s_delay_alu instid0(VALU_DEP_1) | instskip(NEXT) | instid1(VALU_DEP_1)
	v_lshrrev_b32_e32 v62, s49, v62
	v_and_b32_e32 v64, s48, v62
	s_delay_alu instid0(VALU_DEP_1) | instskip(SKIP_1) | instid1(VALU_DEP_1)
	v_lshlrev_b32_e32 v65, 30, v64
	v_bitop3_b32 v63, v62, 1, s48 bitop3:0x80
	v_add_co_u32 v62, s17, v63, -1
	s_delay_alu instid0(VALU_DEP_1) | instskip(NEXT) | instid1(VALU_DEP_4)
	v_cndmask_b32_e64 v63, 0, 1, s17
	v_cmp_gt_i32_e64 s17, 0, v65
	s_delay_alu instid0(VALU_DEP_2) | instskip(SKIP_2) | instid1(VALU_DEP_2)
	v_cmp_ne_u32_e32 vcc_lo, 0, v63
	v_not_b32_e32 v63, v65
	v_bitop3_b32 v62, vcc_lo, exec_lo, v62 bitop3:0x48
	v_dual_ashrrev_i32 v63, 31, v63 :: v_dual_lshlrev_b32 v206, 29, v64
	v_dual_lshlrev_b32 v207, 28, v64 :: v_dual_lshlrev_b32 v208, 27, v64
	v_lshlrev_b32_e32 v209, 26, v64
	s_delay_alu instid0(VALU_DEP_3)
	v_not_b32_e32 v65, v206
	v_lshlrev_b32_e32 v210, 25, v64
	v_cmp_gt_i32_e64 s18, 0, v206
	v_cmp_gt_i32_e64 s19, 0, v207
	v_not_b32_e32 v206, v207
	v_not_b32_e32 v207, v208
	v_ashrrev_i32_e32 v65, 31, v65
	v_cmp_gt_i32_e64 s20, 0, v208
	v_cmp_gt_i32_e64 s21, 0, v209
	v_not_b32_e32 v208, v209
	v_dual_ashrrev_i32 v206, 31, v206 :: v_dual_ashrrev_i32 v207, 31, v207
	v_xor_b32_e32 v63, s17, v63
	v_xor_b32_e32 v65, s18, v65
	v_not_b32_e32 v209, v210
	s_delay_alu instid0(VALU_DEP_4) | instskip(SKIP_1) | instid1(VALU_DEP_4)
	v_dual_ashrrev_i32 v208, 31, v208 :: v_dual_bitop2_b32 v206, s19, v206 bitop3:0x14
	v_xor_b32_e32 v207, s20, v207
	v_bitop3_b32 v62, v62, v65, v63 bitop3:0x80
	v_cmp_gt_i32_e32 vcc_lo, 0, v210
	v_ashrrev_i32_e32 v63, 31, v209
	v_mad_u32_u24 v65, v64, 36, v23
	v_xor_b32_e32 v208, s21, v208
	v_bitop3_b32 v62, v62, v207, v206 bitop3:0x80
	s_delay_alu instid0(VALU_DEP_4) | instskip(SKIP_3) | instid1(VALU_DEP_2)
	v_xor_b32_e32 v63, vcc_lo, v63
	ds_load_b32 v206, v65 offset:544
	; wave barrier
	v_bitop3_b32 v62, v62, v63, v208 bitop3:0x80
	v_mul_u32_u24_e32 v63, 36, v64
	v_mbcnt_lo_u32_b32 v207, v62, 0
	v_cmp_ne_u32_e64 s17, 0, v62
	s_delay_alu instid0(VALU_DEP_3) | instskip(NEXT) | instid1(VALU_DEP_3)
	v_add_nc_u32_e32 v208, v23, v63
	v_cmp_eq_u32_e32 vcc_lo, 0, v207
	s_and_b32 s18, s17, vcc_lo
	s_delay_alu instid0(SALU_CYCLE_1)
	s_and_saveexec_b32 s17, s18
	s_cbranch_execz .LBB1038_1112
; %bb.1111:                             ;   in Loop: Header=BB1038_1040 Depth=2
	s_wait_dscnt 0x0
	v_bcnt_u32_b32 v62, v62, v206
	ds_store_b32 v208, v62 offset:544
.LBB1038_1112:                          ;   in Loop: Header=BB1038_1040 Depth=2
	s_or_b32 exec_lo, exec_lo, s17
	; wave barrier
	s_wait_dscnt 0x0
	s_barrier_signal -1
	s_barrier_wait -1
	ds_load_2addr_b32 v[64:65], v89 offset0:136 offset1:137
	ds_load_2addr_b32 v[62:63], v89 offset0:138 offset1:139
	ds_load_b32 v209, v89 offset:560
	s_wait_dscnt 0x1
	v_add3_u32 v210, v65, v64, v62
	s_wait_dscnt 0x0
	s_delay_alu instid0(VALU_DEP_1) | instskip(NEXT) | instid1(VALU_DEP_1)
	v_add3_u32 v209, v210, v63, v209
	v_mov_b32_dpp v210, v209 row_shr:1 row_mask:0xf bank_mask:0xf
	s_delay_alu instid0(VALU_DEP_1) | instskip(NEXT) | instid1(VALU_DEP_1)
	v_cndmask_b32_e64 v210, v210, 0, s9
	v_add_nc_u32_e32 v209, v210, v209
	s_delay_alu instid0(VALU_DEP_1) | instskip(NEXT) | instid1(VALU_DEP_1)
	v_mov_b32_dpp v210, v209 row_shr:2 row_mask:0xf bank_mask:0xf
	v_cndmask_b32_e64 v210, 0, v210, s10
	s_delay_alu instid0(VALU_DEP_1) | instskip(NEXT) | instid1(VALU_DEP_1)
	v_add_nc_u32_e32 v209, v209, v210
	v_mov_b32_dpp v210, v209 row_shr:4 row_mask:0xf bank_mask:0xf
	s_delay_alu instid0(VALU_DEP_1) | instskip(NEXT) | instid1(VALU_DEP_1)
	v_cndmask_b32_e64 v210, 0, v210, s11
	v_add_nc_u32_e32 v209, v209, v210
	s_delay_alu instid0(VALU_DEP_1) | instskip(NEXT) | instid1(VALU_DEP_1)
	v_mov_b32_dpp v210, v209 row_shr:8 row_mask:0xf bank_mask:0xf
	v_cndmask_b32_e64 v210, 0, v210, s12
	s_delay_alu instid0(VALU_DEP_1) | instskip(SKIP_3) | instid1(VALU_DEP_1)
	v_add_nc_u32_e32 v209, v209, v210
	ds_swizzle_b32 v210, v209 offset:swizzle(BROADCAST,32,15)
	s_wait_dscnt 0x0
	v_cndmask_b32_e64 v210, v210, 0, s13
	v_add_nc_u32_e32 v209, v209, v210
	s_and_saveexec_b32 s17, s2
; %bb.1113:                             ;   in Loop: Header=BB1038_1040 Depth=2
	ds_store_b32 v82, v209 offset:512
; %bb.1114:                             ;   in Loop: Header=BB1038_1040 Depth=2
	s_or_b32 exec_lo, exec_lo, s17
	s_wait_dscnt 0x0
	s_barrier_signal -1
	s_barrier_wait -1
	s_and_saveexec_b32 s17, s3
	s_cbranch_execz .LBB1038_1116
; %bb.1115:                             ;   in Loop: Header=BB1038_1040 Depth=2
	ds_load_b32 v210, v91 offset:512
	s_wait_dscnt 0x0
	v_mov_b32_dpp v211, v210 row_shr:1 row_mask:0xf bank_mask:0xf
	s_delay_alu instid0(VALU_DEP_1) | instskip(NEXT) | instid1(VALU_DEP_1)
	v_cndmask_b32_e64 v211, v211, 0, s14
	v_add_nc_u32_e32 v210, v211, v210
	s_delay_alu instid0(VALU_DEP_1) | instskip(NEXT) | instid1(VALU_DEP_1)
	v_mov_b32_dpp v211, v210 row_shr:2 row_mask:0xf bank_mask:0xf
	v_cndmask_b32_e64 v211, 0, v211, s15
	s_delay_alu instid0(VALU_DEP_1) | instskip(NEXT) | instid1(VALU_DEP_1)
	v_add_nc_u32_e32 v210, v210, v211
	v_mov_b32_dpp v211, v210 row_shr:4 row_mask:0xf bank_mask:0xf
	s_delay_alu instid0(VALU_DEP_1) | instskip(NEXT) | instid1(VALU_DEP_1)
	v_cndmask_b32_e64 v211, 0, v211, s16
	v_add_nc_u32_e32 v210, v210, v211
	ds_store_b32 v91, v210 offset:512
.LBB1038_1116:                          ;   in Loop: Header=BB1038_1040 Depth=2
	s_or_b32 exec_lo, exec_lo, s17
	v_mov_b32_e32 v210, 0
	s_wait_dscnt 0x0
	s_barrier_signal -1
	s_barrier_wait -1
	s_and_saveexec_b32 s17, s5
; %bb.1117:                             ;   in Loop: Header=BB1038_1040 Depth=2
	ds_load_b32 v210, v82 offset:508
; %bb.1118:                             ;   in Loop: Header=BB1038_1040 Depth=2
	s_or_b32 exec_lo, exec_lo, s17
	s_wait_dscnt 0x0
	v_add_nc_u32_e32 v209, v210, v209
	ds_bpermute_b32 v209, v121, v209
	s_wait_dscnt 0x0
	v_cndmask_b32_e64 v209, v209, v210, s8
	s_delay_alu instid0(VALU_DEP_1) | instskip(NEXT) | instid1(VALU_DEP_1)
	v_cndmask_b32_e64 v209, v209, 0, s6
	v_add_nc_u32_e32 v64, v209, v64
	s_delay_alu instid0(VALU_DEP_1) | instskip(NEXT) | instid1(VALU_DEP_1)
	v_add_nc_u32_e32 v65, v64, v65
	v_add_nc_u32_e32 v62, v65, v62
	s_delay_alu instid0(VALU_DEP_1)
	v_add_nc_u32_e32 v63, v62, v63
	ds_store_2addr_b32 v89, v209, v64 offset0:136 offset1:137
	ds_store_2addr_b32 v89, v65, v62 offset0:138 offset1:139
	ds_store_b32 v89, v63 offset:560
	s_wait_dscnt 0x0
	s_barrier_signal -1
	s_barrier_wait -1
	ds_load_b32 v64, v146 offset:544
	ds_load_b32 v65, v150 offset:544
	;; [unrolled: 1-line block ×17, first 2 shown]
	s_and_saveexec_b32 s17, s0
	s_cbranch_execz .LBB1038_1122
; %bb.1119:                             ;   in Loop: Header=BB1038_1040 Depth=2
	ds_load_b32 v137, v92 offset:544
	v_mov_b32_e32 v140, 0x1100
	s_and_saveexec_b32 s18, s7
; %bb.1120:                             ;   in Loop: Header=BB1038_1040 Depth=2
	ds_load_b32 v140, v93 offset:544
; %bb.1121:                             ;   in Loop: Header=BB1038_1040 Depth=2
	s_or_b32 exec_lo, exec_lo, s18
	s_wait_dscnt 0x0
	v_sub_nc_u32_e32 v140, v140, v137
.LBB1038_1122:                          ;   in Loop: Header=BB1038_1040 Depth=2
	s_or_b32 exec_lo, exec_lo, s17
	s_wait_dscnt 0x0
	s_barrier_signal -1
	s_barrier_wait -1
	s_and_saveexec_b32 s17, s0
	s_cbranch_execz .LBB1038_1124
; %bb.1123:                             ;   in Loop: Header=BB1038_1040 Depth=2
	ds_load_b32 v156, v3
	s_wait_dscnt 0x0
	v_sub_nc_u32_e32 v156, v156, v137
	ds_store_b32 v3, v156
.LBB1038_1124:                          ;   in Loop: Header=BB1038_1040 Depth=2
	s_or_b32 exec_lo, exec_lo, s17
	v_add3_u32 v161, v153, v152, v146
	v_add_nc_u32_e32 v165, v64, v144
	v_add3_u32 v164, v149, v148, v65
	v_add3_u32 v159, v158, v157, v150
	;; [unrolled: 1-line block ×4, first 2 shown]
	v_lshlrev_b32_e32 v62, 1, v161
	v_dual_lshlrev_b32 v162, 1, v165 :: v_dual_lshlrev_b32 v163, 1, v164
	v_add3_u32 v157, v168, v167, v209
	v_add3_u32 v156, v173, v172, v175
	;; [unrolled: 1-line block ×5, first 2 shown]
	v_lshlrev_b32_e32 v63, 1, v159
	v_add3_u32 v152, v184, v183, v185
	ds_store_b16 v162, v143 offset:512
	ds_store_b16 v163, v145 offset:512
	v_lshlrev_b32_e32 v143, 1, v158
	v_add3_u32 v150, v188, v187, v190
	v_dual_lshlrev_b32 v145, 1, v157 :: v_dual_lshlrev_b32 v162, 1, v156
	v_add3_u32 v149, v192, v191, v210
	v_add3_u32 v65, v195, v194, v211
	ds_store_b16 v62, v147 offset:512
	ds_store_b16 v63, v151 offset:512
	;; [unrolled: 1-line block ×5, first 2 shown]
	v_dual_lshlrev_b32 v62, 1, v154 :: v_dual_lshlrev_b32 v63, 1, v153
	v_add3_u32 v64, v198, v197, v212
	v_dual_lshlrev_b32 v143, 1, v152 :: v_dual_lshlrev_b32 v145, 1, v150
	v_add3_u32 v144, v207, v206, v170
	v_lshlrev_b32_e32 v147, 1, v149
	ds_store_b16 v62, v171 offset:512
	ds_store_b16 v63, v176 offset:512
	;; [unrolled: 1-line block ×5, first 2 shown]
	v_dual_lshlrev_b32 v62, 1, v65 :: v_dual_lshlrev_b32 v143, 1, v148
	v_cmp_lt_u32_e32 vcc_lo, v2, v141
	v_dual_lshlrev_b32 v63, 1, v64 :: v_dual_lshlrev_b32 v145, 1, v146
	v_lshlrev_b32_e32 v147, 1, v144
	ds_store_b16 v62, v189 offset:512
	ds_store_b16 v63, v193 offset:512
	;; [unrolled: 1-line block ×5, first 2 shown]
	s_wait_dscnt 0x0
	s_barrier_signal -1
	s_barrier_wait -1
	s_and_saveexec_b32 s17, vcc_lo
	s_cbranch_execnz .LBB1038_1197
; %bb.1125:                             ;   in Loop: Header=BB1038_1040 Depth=2
	s_or_b32 exec_lo, exec_lo, s17
	v_cmp_lt_u32_e64 s17, v66, v141
	s_and_saveexec_b32 s18, s17
	s_cbranch_execnz .LBB1038_1198
.LBB1038_1126:                          ;   in Loop: Header=BB1038_1040 Depth=2
	s_or_b32 exec_lo, exec_lo, s18
	v_cmp_lt_u32_e64 s18, v67, v141
	s_and_saveexec_b32 s19, s18
	s_cbranch_execnz .LBB1038_1199
.LBB1038_1127:                          ;   in Loop: Header=BB1038_1040 Depth=2
	s_or_b32 exec_lo, exec_lo, s19
	v_cmp_lt_u32_e64 s19, v68, v141
	s_and_saveexec_b32 s20, s19
	s_cbranch_execnz .LBB1038_1200
.LBB1038_1128:                          ;   in Loop: Header=BB1038_1040 Depth=2
	s_or_b32 exec_lo, exec_lo, s20
	v_cmp_lt_u32_e64 s20, v69, v141
	s_and_saveexec_b32 s21, s20
	s_cbranch_execnz .LBB1038_1201
.LBB1038_1129:                          ;   in Loop: Header=BB1038_1040 Depth=2
	s_or_b32 exec_lo, exec_lo, s21
	v_cmp_lt_u32_e64 s21, v70, v141
	s_and_saveexec_b32 s22, s21
	s_cbranch_execnz .LBB1038_1202
.LBB1038_1130:                          ;   in Loop: Header=BB1038_1040 Depth=2
	s_or_b32 exec_lo, exec_lo, s22
	v_cmp_lt_u32_e64 s22, v71, v141
	s_and_saveexec_b32 s23, s22
	s_cbranch_execnz .LBB1038_1203
.LBB1038_1131:                          ;   in Loop: Header=BB1038_1040 Depth=2
	s_or_b32 exec_lo, exec_lo, s23
	v_cmp_lt_u32_e64 s23, v72, v141
	s_and_saveexec_b32 s24, s23
	s_cbranch_execnz .LBB1038_1204
.LBB1038_1132:                          ;   in Loop: Header=BB1038_1040 Depth=2
	s_or_b32 exec_lo, exec_lo, s24
	v_cmp_lt_u32_e64 s24, v73, v141
	s_and_saveexec_b32 s25, s24
	s_cbranch_execnz .LBB1038_1205
.LBB1038_1133:                          ;   in Loop: Header=BB1038_1040 Depth=2
	s_or_b32 exec_lo, exec_lo, s25
	v_cmp_lt_u32_e64 s25, v74, v141
	s_and_saveexec_b32 s26, s25
	s_cbranch_execnz .LBB1038_1206
.LBB1038_1134:                          ;   in Loop: Header=BB1038_1040 Depth=2
	s_or_b32 exec_lo, exec_lo, s26
	v_cmp_lt_u32_e64 s26, v75, v141
	s_and_saveexec_b32 s27, s26
	s_cbranch_execnz .LBB1038_1207
.LBB1038_1135:                          ;   in Loop: Header=BB1038_1040 Depth=2
	s_or_b32 exec_lo, exec_lo, s27
	v_cmp_lt_u32_e64 s27, v76, v141
	s_and_saveexec_b32 s28, s27
	s_cbranch_execnz .LBB1038_1208
.LBB1038_1136:                          ;   in Loop: Header=BB1038_1040 Depth=2
	s_or_b32 exec_lo, exec_lo, s28
	v_cmp_lt_u32_e64 s28, v77, v141
	s_and_saveexec_b32 s29, s28
	s_cbranch_execnz .LBB1038_1209
.LBB1038_1137:                          ;   in Loop: Header=BB1038_1040 Depth=2
	s_or_b32 exec_lo, exec_lo, s29
	v_cmp_lt_u32_e64 s29, v78, v141
	s_and_saveexec_b32 s30, s29
	s_cbranch_execnz .LBB1038_1210
.LBB1038_1138:                          ;   in Loop: Header=BB1038_1040 Depth=2
	s_or_b32 exec_lo, exec_lo, s30
	v_cmp_lt_u32_e64 s30, v79, v141
	s_and_saveexec_b32 s31, s30
	s_cbranch_execnz .LBB1038_1211
.LBB1038_1139:                          ;   in Loop: Header=BB1038_1040 Depth=2
	s_or_b32 exec_lo, exec_lo, s31
	v_cmp_lt_u32_e64 s31, v80, v141
	s_and_saveexec_b32 s33, s31
	s_cbranch_execnz .LBB1038_1212
.LBB1038_1140:                          ;   in Loop: Header=BB1038_1040 Depth=2
	s_or_b32 exec_lo, exec_lo, s33
	v_cmp_lt_u32_e64 s33, v81, v141
	s_and_saveexec_b32 s60, s33
	s_cbranch_execz .LBB1038_1142
.LBB1038_1141:                          ;   in Loop: Header=BB1038_1040 Depth=2
	ds_load_u16 v62, v94 offset:8704
	s_wait_dscnt 0x0
	v_and_b32_e32 v63, 0xffff, v62
	v_xor_b32_e32 v62, 0xffff8000, v62
	s_delay_alu instid0(VALU_DEP_2) | instskip(NEXT) | instid1(VALU_DEP_1)
	v_lshrrev_b32_e32 v63, s49, v63
	v_and_b32_e32 v63, s48, v63
	s_delay_alu instid0(VALU_DEP_1)
	v_lshlrev_b32_e32 v63, 2, v63
	ds_load_b32 v63, v63
	s_wait_dscnt 0x0
	v_add_nc_u32_e32 v63, v63, v81
	global_store_b16 v63, v62, s[40:41] scale_offset
.LBB1038_1142:                          ;   in Loop: Header=BB1038_1040 Depth=2
	s_wait_xcnt 0x0
	s_or_b32 exec_lo, exec_lo, s60
	v_lshl_add_u64 v[62:63], s[34:35], 3, v[24:25]
	v_cmp_lt_u32_e64 s34, v102, v141
	s_and_saveexec_b32 s60, s34
	s_delay_alu instid0(SALU_CYCLE_1)
	s_xor_b32 s34, exec_lo, s60
	s_cbranch_execnz .LBB1038_1213
; %bb.1143:                             ;   in Loop: Header=BB1038_1040 Depth=2
	s_or_b32 exec_lo, exec_lo, s34
	s_delay_alu instid0(SALU_CYCLE_1)
	s_mov_b32 s60, exec_lo
	v_cmpx_lt_u32_e64 v105, v141
	s_cbranch_execnz .LBB1038_1214
.LBB1038_1144:                          ;   in Loop: Header=BB1038_1040 Depth=2
	s_or_b32 exec_lo, exec_lo, s60
	s_delay_alu instid0(SALU_CYCLE_1)
	s_mov_b32 s60, exec_lo
	v_cmpx_lt_u32_e64 v106, v141
	s_cbranch_execnz .LBB1038_1215
.LBB1038_1145:                          ;   in Loop: Header=BB1038_1040 Depth=2
	s_or_b32 exec_lo, exec_lo, s60
	s_delay_alu instid0(SALU_CYCLE_1)
	s_mov_b32 s60, exec_lo
	v_cmpx_lt_u32_e64 v107, v141
	s_cbranch_execnz .LBB1038_1216
.LBB1038_1146:                          ;   in Loop: Header=BB1038_1040 Depth=2
	s_or_b32 exec_lo, exec_lo, s60
	s_delay_alu instid0(SALU_CYCLE_1)
	s_mov_b32 s60, exec_lo
	v_cmpx_lt_u32_e64 v108, v141
	s_cbranch_execnz .LBB1038_1217
.LBB1038_1147:                          ;   in Loop: Header=BB1038_1040 Depth=2
	s_or_b32 exec_lo, exec_lo, s60
	s_delay_alu instid0(SALU_CYCLE_1)
	s_mov_b32 s60, exec_lo
	v_cmpx_lt_u32_e64 v109, v141
	s_cbranch_execnz .LBB1038_1218
.LBB1038_1148:                          ;   in Loop: Header=BB1038_1040 Depth=2
	s_or_b32 exec_lo, exec_lo, s60
	s_delay_alu instid0(SALU_CYCLE_1)
	s_mov_b32 s60, exec_lo
	v_cmpx_lt_u32_e64 v110, v141
	s_cbranch_execnz .LBB1038_1219
.LBB1038_1149:                          ;   in Loop: Header=BB1038_1040 Depth=2
	s_or_b32 exec_lo, exec_lo, s60
	s_delay_alu instid0(SALU_CYCLE_1)
	s_mov_b32 s60, exec_lo
	v_cmpx_lt_u32_e64 v111, v141
	s_cbranch_execnz .LBB1038_1220
.LBB1038_1150:                          ;   in Loop: Header=BB1038_1040 Depth=2
	s_or_b32 exec_lo, exec_lo, s60
	s_delay_alu instid0(SALU_CYCLE_1)
	s_mov_b32 s60, exec_lo
	v_cmpx_lt_u32_e64 v112, v141
	s_cbranch_execnz .LBB1038_1221
.LBB1038_1151:                          ;   in Loop: Header=BB1038_1040 Depth=2
	s_or_b32 exec_lo, exec_lo, s60
	s_delay_alu instid0(SALU_CYCLE_1)
	s_mov_b32 s60, exec_lo
	v_cmpx_lt_u32_e64 v113, v141
	s_cbranch_execnz .LBB1038_1222
.LBB1038_1152:                          ;   in Loop: Header=BB1038_1040 Depth=2
	s_or_b32 exec_lo, exec_lo, s60
	s_delay_alu instid0(SALU_CYCLE_1)
	s_mov_b32 s60, exec_lo
	v_cmpx_lt_u32_e64 v114, v141
	s_cbranch_execnz .LBB1038_1223
.LBB1038_1153:                          ;   in Loop: Header=BB1038_1040 Depth=2
	s_or_b32 exec_lo, exec_lo, s60
	s_delay_alu instid0(SALU_CYCLE_1)
	s_mov_b32 s60, exec_lo
	v_cmpx_lt_u32_e64 v115, v141
	s_cbranch_execnz .LBB1038_1224
.LBB1038_1154:                          ;   in Loop: Header=BB1038_1040 Depth=2
	s_or_b32 exec_lo, exec_lo, s60
	s_delay_alu instid0(SALU_CYCLE_1)
	s_mov_b32 s60, exec_lo
	v_cmpx_lt_u32_e64 v116, v141
	s_cbranch_execnz .LBB1038_1225
.LBB1038_1155:                          ;   in Loop: Header=BB1038_1040 Depth=2
	s_or_b32 exec_lo, exec_lo, s60
	s_delay_alu instid0(SALU_CYCLE_1)
	s_mov_b32 s60, exec_lo
	v_cmpx_lt_u32_e64 v117, v141
	s_cbranch_execnz .LBB1038_1226
.LBB1038_1156:                          ;   in Loop: Header=BB1038_1040 Depth=2
	s_or_b32 exec_lo, exec_lo, s60
	s_delay_alu instid0(SALU_CYCLE_1)
	s_mov_b32 s60, exec_lo
	v_cmpx_lt_u32_e64 v118, v141
	s_cbranch_execnz .LBB1038_1227
.LBB1038_1157:                          ;   in Loop: Header=BB1038_1040 Depth=2
	s_or_b32 exec_lo, exec_lo, s60
	s_delay_alu instid0(SALU_CYCLE_1)
	s_mov_b32 s60, exec_lo
	v_cmpx_lt_u32_e64 v119, v141
	s_cbranch_execnz .LBB1038_1228
.LBB1038_1158:                          ;   in Loop: Header=BB1038_1040 Depth=2
	s_or_b32 exec_lo, exec_lo, s60
	s_delay_alu instid0(SALU_CYCLE_1)
	s_mov_b32 s60, exec_lo
	v_cmpx_lt_u32_e64 v120, v141
	s_cbranch_execnz .LBB1038_1229
.LBB1038_1159:                          ;   in Loop: Header=BB1038_1040 Depth=2
	s_or_b32 exec_lo, exec_lo, s60
	s_and_saveexec_b32 s34, vcc_lo
	s_cbranch_execnz .LBB1038_1230
.LBB1038_1160:                          ;   in Loop: Header=BB1038_1040 Depth=2
	s_or_b32 exec_lo, exec_lo, s34
	s_and_saveexec_b32 s34, s17
	s_cbranch_execnz .LBB1038_1231
.LBB1038_1161:                          ;   in Loop: Header=BB1038_1040 Depth=2
	s_or_b32 exec_lo, exec_lo, s34
	s_and_saveexec_b32 s34, s18
	s_cbranch_execnz .LBB1038_1232
.LBB1038_1162:                          ;   in Loop: Header=BB1038_1040 Depth=2
	s_or_b32 exec_lo, exec_lo, s34
	s_and_saveexec_b32 s34, s19
	s_cbranch_execnz .LBB1038_1233
.LBB1038_1163:                          ;   in Loop: Header=BB1038_1040 Depth=2
	s_or_b32 exec_lo, exec_lo, s34
	s_and_saveexec_b32 s34, s20
	s_cbranch_execnz .LBB1038_1234
.LBB1038_1164:                          ;   in Loop: Header=BB1038_1040 Depth=2
	s_or_b32 exec_lo, exec_lo, s34
	s_and_saveexec_b32 s34, s21
	s_cbranch_execnz .LBB1038_1235
.LBB1038_1165:                          ;   in Loop: Header=BB1038_1040 Depth=2
	s_or_b32 exec_lo, exec_lo, s34
	s_and_saveexec_b32 s34, s22
	s_cbranch_execnz .LBB1038_1236
.LBB1038_1166:                          ;   in Loop: Header=BB1038_1040 Depth=2
	s_or_b32 exec_lo, exec_lo, s34
	s_and_saveexec_b32 s34, s23
	s_cbranch_execnz .LBB1038_1237
.LBB1038_1167:                          ;   in Loop: Header=BB1038_1040 Depth=2
	s_or_b32 exec_lo, exec_lo, s34
	s_and_saveexec_b32 s34, s24
	s_cbranch_execnz .LBB1038_1238
.LBB1038_1168:                          ;   in Loop: Header=BB1038_1040 Depth=2
	s_or_b32 exec_lo, exec_lo, s34
	s_and_saveexec_b32 s34, s25
	s_cbranch_execnz .LBB1038_1239
.LBB1038_1169:                          ;   in Loop: Header=BB1038_1040 Depth=2
	s_or_b32 exec_lo, exec_lo, s34
	s_and_saveexec_b32 s34, s26
	s_cbranch_execnz .LBB1038_1240
.LBB1038_1170:                          ;   in Loop: Header=BB1038_1040 Depth=2
	s_or_b32 exec_lo, exec_lo, s34
	s_and_saveexec_b32 s34, s27
	s_cbranch_execnz .LBB1038_1241
.LBB1038_1171:                          ;   in Loop: Header=BB1038_1040 Depth=2
	s_or_b32 exec_lo, exec_lo, s34
	s_and_saveexec_b32 s34, s28
	s_cbranch_execnz .LBB1038_1242
.LBB1038_1172:                          ;   in Loop: Header=BB1038_1040 Depth=2
	s_or_b32 exec_lo, exec_lo, s34
	s_and_saveexec_b32 s34, s29
	s_cbranch_execnz .LBB1038_1243
.LBB1038_1173:                          ;   in Loop: Header=BB1038_1040 Depth=2
	s_or_b32 exec_lo, exec_lo, s34
	s_and_saveexec_b32 s34, s30
	s_cbranch_execnz .LBB1038_1244
.LBB1038_1174:                          ;   in Loop: Header=BB1038_1040 Depth=2
	s_or_b32 exec_lo, exec_lo, s34
	s_and_saveexec_b32 s34, s31
	s_cbranch_execnz .LBB1038_1245
.LBB1038_1175:                          ;   in Loop: Header=BB1038_1040 Depth=2
	s_or_b32 exec_lo, exec_lo, s34
	s_and_saveexec_b32 s34, s33
	s_cbranch_execz .LBB1038_1177
.LBB1038_1176:                          ;   in Loop: Header=BB1038_1040 Depth=2
	ds_load_u16 v62, v94 offset:8704
	s_wait_dscnt 0x0
	v_lshrrev_b32_e32 v62, s49, v62
	s_delay_alu instid0(VALU_DEP_1)
	v_and_b32_e32 v122, s48, v62
.LBB1038_1177:                          ;   in Loop: Header=BB1038_1040 Depth=2
	s_or_b32 exec_lo, exec_lo, s34
	v_dual_lshlrev_b32 v62, 3, v165 :: v_dual_lshlrev_b32 v63, 3, v164
	s_wait_loadcnt 0x0
	s_wait_storecnt 0x0
	s_barrier_signal -1
	s_barrier_wait -1
	ds_store_b64 v62, v[60:61] offset:512
	ds_store_b64 v63, v[58:59] offset:512
	v_dual_lshlrev_b32 v62, 3, v161 :: v_dual_lshlrev_b32 v63, 3, v159
	v_dual_lshlrev_b32 v141, 3, v158 :: v_dual_lshlrev_b32 v142, 3, v157
	v_lshlrev_b32_e32 v143, 3, v156
	ds_store_b64 v62, v[56:57] offset:512
	ds_store_b64 v63, v[54:55] offset:512
	ds_store_b64 v141, v[52:53] offset:512
	ds_store_b64 v142, v[50:51] offset:512
	ds_store_b64 v143, v[48:49] offset:512
	v_dual_lshlrev_b32 v62, 3, v154 :: v_dual_lshlrev_b32 v63, 3, v153
	v_dual_lshlrev_b32 v141, 3, v152 :: v_dual_lshlrev_b32 v142, 3, v150
	v_lshlrev_b32_e32 v143, 3, v149
	ds_store_b64 v62, v[46:47] offset:512
	ds_store_b64 v63, v[44:45] offset:512
	ds_store_b64 v141, v[42:43] offset:512
	;; [unrolled: 8-line block ×3, first 2 shown]
	ds_store_b64 v65, v[30:31] offset:512
	ds_store_b64 v141, v[28:29] offset:512
	v_add_nc_u32_e32 v62, v94, v95
	s_wait_dscnt 0x0
	s_barrier_signal -1
	s_barrier_wait -1
	s_and_saveexec_b32 s34, vcc_lo
	s_cbranch_execnz .LBB1038_1246
; %bb.1178:                             ;   in Loop: Header=BB1038_1040 Depth=2
	s_or_b32 exec_lo, exec_lo, s34
	s_and_saveexec_b32 s34, s17
	s_cbranch_execnz .LBB1038_1247
.LBB1038_1179:                          ;   in Loop: Header=BB1038_1040 Depth=2
	s_or_b32 exec_lo, exec_lo, s34
	s_and_saveexec_b32 s17, s18
	s_cbranch_execnz .LBB1038_1248
.LBB1038_1180:                          ;   in Loop: Header=BB1038_1040 Depth=2
	s_or_b32 exec_lo, exec_lo, s17
	s_and_saveexec_b32 s17, s19
	s_cbranch_execnz .LBB1038_1249
.LBB1038_1181:                          ;   in Loop: Header=BB1038_1040 Depth=2
	s_or_b32 exec_lo, exec_lo, s17
	s_and_saveexec_b32 s17, s20
	s_cbranch_execnz .LBB1038_1250
.LBB1038_1182:                          ;   in Loop: Header=BB1038_1040 Depth=2
	s_or_b32 exec_lo, exec_lo, s17
	s_and_saveexec_b32 s17, s21
	s_cbranch_execnz .LBB1038_1251
.LBB1038_1183:                          ;   in Loop: Header=BB1038_1040 Depth=2
	s_or_b32 exec_lo, exec_lo, s17
	s_and_saveexec_b32 s17, s22
	s_cbranch_execnz .LBB1038_1252
.LBB1038_1184:                          ;   in Loop: Header=BB1038_1040 Depth=2
	s_or_b32 exec_lo, exec_lo, s17
	s_and_saveexec_b32 s17, s23
	s_cbranch_execnz .LBB1038_1253
.LBB1038_1185:                          ;   in Loop: Header=BB1038_1040 Depth=2
	s_or_b32 exec_lo, exec_lo, s17
	s_and_saveexec_b32 s17, s24
	s_cbranch_execnz .LBB1038_1254
.LBB1038_1186:                          ;   in Loop: Header=BB1038_1040 Depth=2
	s_or_b32 exec_lo, exec_lo, s17
	s_and_saveexec_b32 s17, s25
	s_cbranch_execnz .LBB1038_1255
.LBB1038_1187:                          ;   in Loop: Header=BB1038_1040 Depth=2
	s_or_b32 exec_lo, exec_lo, s17
	s_and_saveexec_b32 s17, s26
	s_cbranch_execnz .LBB1038_1256
.LBB1038_1188:                          ;   in Loop: Header=BB1038_1040 Depth=2
	s_or_b32 exec_lo, exec_lo, s17
	s_and_saveexec_b32 s17, s27
	s_cbranch_execnz .LBB1038_1257
.LBB1038_1189:                          ;   in Loop: Header=BB1038_1040 Depth=2
	s_or_b32 exec_lo, exec_lo, s17
	s_and_saveexec_b32 s17, s28
	s_cbranch_execnz .LBB1038_1258
.LBB1038_1190:                          ;   in Loop: Header=BB1038_1040 Depth=2
	s_or_b32 exec_lo, exec_lo, s17
	s_and_saveexec_b32 s17, s29
	s_cbranch_execnz .LBB1038_1259
.LBB1038_1191:                          ;   in Loop: Header=BB1038_1040 Depth=2
	s_or_b32 exec_lo, exec_lo, s17
	s_and_saveexec_b32 s17, s30
	s_cbranch_execnz .LBB1038_1260
.LBB1038_1192:                          ;   in Loop: Header=BB1038_1040 Depth=2
	s_or_b32 exec_lo, exec_lo, s17
	s_and_saveexec_b32 s17, s31
	s_cbranch_execnz .LBB1038_1261
.LBB1038_1193:                          ;   in Loop: Header=BB1038_1040 Depth=2
	s_or_b32 exec_lo, exec_lo, s17
	s_and_saveexec_b32 s17, s33
	s_cbranch_execz .LBB1038_1195
.LBB1038_1194:                          ;   in Loop: Header=BB1038_1040 Depth=2
	v_lshlrev_b32_e32 v63, 2, v122
	ds_load_b32 v64, v63
	ds_load_b64 v[62:63], v62 offset:33280
	s_wait_dscnt 0x1
	v_add_nc_u32_e32 v64, v64, v81
	s_wait_dscnt 0x0
	global_store_b64 v64, v[62:63], s[46:47] scale_offset
.LBB1038_1195:                          ;   in Loop: Header=BB1038_1040 Depth=2
	s_wait_xcnt 0x0
	s_or_b32 exec_lo, exec_lo, s17
	s_wait_storecnt 0x0
	s_barrier_signal -1
	s_barrier_wait -1
	s_and_saveexec_b32 s17, s0
	s_cbranch_execz .LBB1038_1039
; %bb.1196:                             ;   in Loop: Header=BB1038_1040 Depth=2
	ds_load_b32 v62, v3
	s_wait_dscnt 0x0
	v_add3_u32 v62, v137, v140, v62
	ds_store_b32 v3, v62
	s_branch .LBB1038_1039
.LBB1038_1197:                          ;   in Loop: Header=BB1038_1040 Depth=2
	ds_load_u16 v62, v94 offset:512
	s_wait_dscnt 0x0
	v_and_b32_e32 v63, 0xffff, v62
	v_xor_b32_e32 v62, 0xffff8000, v62
	s_delay_alu instid0(VALU_DEP_2) | instskip(NEXT) | instid1(VALU_DEP_1)
	v_lshrrev_b32_e32 v63, s49, v63
	v_and_b32_e32 v63, s48, v63
	s_delay_alu instid0(VALU_DEP_1)
	v_lshlrev_b32_e32 v63, 2, v63
	ds_load_b32 v63, v63
	s_wait_dscnt 0x0
	v_add_nc_u32_e32 v63, v63, v2
	global_store_b16 v63, v62, s[40:41] scale_offset
	s_wait_xcnt 0x0
	s_or_b32 exec_lo, exec_lo, s17
	v_cmp_lt_u32_e64 s17, v66, v141
	s_and_saveexec_b32 s18, s17
	s_cbranch_execz .LBB1038_1126
.LBB1038_1198:                          ;   in Loop: Header=BB1038_1040 Depth=2
	ds_load_u16 v62, v94 offset:1024
	s_wait_dscnt 0x0
	v_and_b32_e32 v63, 0xffff, v62
	v_xor_b32_e32 v62, 0xffff8000, v62
	s_delay_alu instid0(VALU_DEP_2) | instskip(NEXT) | instid1(VALU_DEP_1)
	v_lshrrev_b32_e32 v63, s49, v63
	v_and_b32_e32 v63, s48, v63
	s_delay_alu instid0(VALU_DEP_1)
	v_lshlrev_b32_e32 v63, 2, v63
	ds_load_b32 v63, v63
	s_wait_dscnt 0x0
	v_add_nc_u32_e32 v63, v63, v66
	global_store_b16 v63, v62, s[40:41] scale_offset
	s_wait_xcnt 0x0
	s_or_b32 exec_lo, exec_lo, s18
	v_cmp_lt_u32_e64 s18, v67, v141
	s_and_saveexec_b32 s19, s18
	s_cbranch_execz .LBB1038_1127
.LBB1038_1199:                          ;   in Loop: Header=BB1038_1040 Depth=2
	ds_load_u16 v62, v94 offset:1536
	s_wait_dscnt 0x0
	v_and_b32_e32 v63, 0xffff, v62
	v_xor_b32_e32 v62, 0xffff8000, v62
	s_delay_alu instid0(VALU_DEP_2) | instskip(NEXT) | instid1(VALU_DEP_1)
	v_lshrrev_b32_e32 v63, s49, v63
	v_and_b32_e32 v63, s48, v63
	s_delay_alu instid0(VALU_DEP_1)
	v_lshlrev_b32_e32 v63, 2, v63
	ds_load_b32 v63, v63
	s_wait_dscnt 0x0
	v_add_nc_u32_e32 v63, v63, v67
	global_store_b16 v63, v62, s[40:41] scale_offset
	s_wait_xcnt 0x0
	s_or_b32 exec_lo, exec_lo, s19
	v_cmp_lt_u32_e64 s19, v68, v141
	s_and_saveexec_b32 s20, s19
	s_cbranch_execz .LBB1038_1128
.LBB1038_1200:                          ;   in Loop: Header=BB1038_1040 Depth=2
	ds_load_u16 v62, v94 offset:2048
	s_wait_dscnt 0x0
	v_and_b32_e32 v63, 0xffff, v62
	v_xor_b32_e32 v62, 0xffff8000, v62
	s_delay_alu instid0(VALU_DEP_2) | instskip(NEXT) | instid1(VALU_DEP_1)
	v_lshrrev_b32_e32 v63, s49, v63
	v_and_b32_e32 v63, s48, v63
	s_delay_alu instid0(VALU_DEP_1)
	v_lshlrev_b32_e32 v63, 2, v63
	ds_load_b32 v63, v63
	s_wait_dscnt 0x0
	v_add_nc_u32_e32 v63, v63, v68
	global_store_b16 v63, v62, s[40:41] scale_offset
	s_wait_xcnt 0x0
	s_or_b32 exec_lo, exec_lo, s20
	v_cmp_lt_u32_e64 s20, v69, v141
	s_and_saveexec_b32 s21, s20
	s_cbranch_execz .LBB1038_1129
.LBB1038_1201:                          ;   in Loop: Header=BB1038_1040 Depth=2
	ds_load_u16 v62, v94 offset:2560
	s_wait_dscnt 0x0
	v_and_b32_e32 v63, 0xffff, v62
	v_xor_b32_e32 v62, 0xffff8000, v62
	s_delay_alu instid0(VALU_DEP_2) | instskip(NEXT) | instid1(VALU_DEP_1)
	v_lshrrev_b32_e32 v63, s49, v63
	v_and_b32_e32 v63, s48, v63
	s_delay_alu instid0(VALU_DEP_1)
	v_lshlrev_b32_e32 v63, 2, v63
	ds_load_b32 v63, v63
	s_wait_dscnt 0x0
	v_add_nc_u32_e32 v63, v63, v69
	global_store_b16 v63, v62, s[40:41] scale_offset
	s_wait_xcnt 0x0
	s_or_b32 exec_lo, exec_lo, s21
	v_cmp_lt_u32_e64 s21, v70, v141
	s_and_saveexec_b32 s22, s21
	s_cbranch_execz .LBB1038_1130
.LBB1038_1202:                          ;   in Loop: Header=BB1038_1040 Depth=2
	ds_load_u16 v62, v94 offset:3072
	s_wait_dscnt 0x0
	v_and_b32_e32 v63, 0xffff, v62
	v_xor_b32_e32 v62, 0xffff8000, v62
	s_delay_alu instid0(VALU_DEP_2) | instskip(NEXT) | instid1(VALU_DEP_1)
	v_lshrrev_b32_e32 v63, s49, v63
	v_and_b32_e32 v63, s48, v63
	s_delay_alu instid0(VALU_DEP_1)
	v_lshlrev_b32_e32 v63, 2, v63
	ds_load_b32 v63, v63
	s_wait_dscnt 0x0
	v_add_nc_u32_e32 v63, v63, v70
	global_store_b16 v63, v62, s[40:41] scale_offset
	s_wait_xcnt 0x0
	s_or_b32 exec_lo, exec_lo, s22
	v_cmp_lt_u32_e64 s22, v71, v141
	s_and_saveexec_b32 s23, s22
	s_cbranch_execz .LBB1038_1131
.LBB1038_1203:                          ;   in Loop: Header=BB1038_1040 Depth=2
	ds_load_u16 v62, v94 offset:3584
	s_wait_dscnt 0x0
	v_and_b32_e32 v63, 0xffff, v62
	v_xor_b32_e32 v62, 0xffff8000, v62
	s_delay_alu instid0(VALU_DEP_2) | instskip(NEXT) | instid1(VALU_DEP_1)
	v_lshrrev_b32_e32 v63, s49, v63
	v_and_b32_e32 v63, s48, v63
	s_delay_alu instid0(VALU_DEP_1)
	v_lshlrev_b32_e32 v63, 2, v63
	ds_load_b32 v63, v63
	s_wait_dscnt 0x0
	v_add_nc_u32_e32 v63, v63, v71
	global_store_b16 v63, v62, s[40:41] scale_offset
	s_wait_xcnt 0x0
	s_or_b32 exec_lo, exec_lo, s23
	v_cmp_lt_u32_e64 s23, v72, v141
	s_and_saveexec_b32 s24, s23
	s_cbranch_execz .LBB1038_1132
.LBB1038_1204:                          ;   in Loop: Header=BB1038_1040 Depth=2
	ds_load_u16 v62, v94 offset:4096
	s_wait_dscnt 0x0
	v_and_b32_e32 v63, 0xffff, v62
	v_xor_b32_e32 v62, 0xffff8000, v62
	s_delay_alu instid0(VALU_DEP_2) | instskip(NEXT) | instid1(VALU_DEP_1)
	v_lshrrev_b32_e32 v63, s49, v63
	v_and_b32_e32 v63, s48, v63
	s_delay_alu instid0(VALU_DEP_1)
	v_lshlrev_b32_e32 v63, 2, v63
	ds_load_b32 v63, v63
	s_wait_dscnt 0x0
	v_add_nc_u32_e32 v63, v63, v72
	global_store_b16 v63, v62, s[40:41] scale_offset
	s_wait_xcnt 0x0
	s_or_b32 exec_lo, exec_lo, s24
	v_cmp_lt_u32_e64 s24, v73, v141
	s_and_saveexec_b32 s25, s24
	s_cbranch_execz .LBB1038_1133
.LBB1038_1205:                          ;   in Loop: Header=BB1038_1040 Depth=2
	ds_load_u16 v62, v94 offset:4608
	s_wait_dscnt 0x0
	v_and_b32_e32 v63, 0xffff, v62
	v_xor_b32_e32 v62, 0xffff8000, v62
	s_delay_alu instid0(VALU_DEP_2) | instskip(NEXT) | instid1(VALU_DEP_1)
	v_lshrrev_b32_e32 v63, s49, v63
	v_and_b32_e32 v63, s48, v63
	s_delay_alu instid0(VALU_DEP_1)
	v_lshlrev_b32_e32 v63, 2, v63
	ds_load_b32 v63, v63
	s_wait_dscnt 0x0
	v_add_nc_u32_e32 v63, v63, v73
	global_store_b16 v63, v62, s[40:41] scale_offset
	s_wait_xcnt 0x0
	s_or_b32 exec_lo, exec_lo, s25
	v_cmp_lt_u32_e64 s25, v74, v141
	s_and_saveexec_b32 s26, s25
	s_cbranch_execz .LBB1038_1134
.LBB1038_1206:                          ;   in Loop: Header=BB1038_1040 Depth=2
	ds_load_u16 v62, v94 offset:5120
	s_wait_dscnt 0x0
	v_and_b32_e32 v63, 0xffff, v62
	v_xor_b32_e32 v62, 0xffff8000, v62
	s_delay_alu instid0(VALU_DEP_2) | instskip(NEXT) | instid1(VALU_DEP_1)
	v_lshrrev_b32_e32 v63, s49, v63
	v_and_b32_e32 v63, s48, v63
	s_delay_alu instid0(VALU_DEP_1)
	v_lshlrev_b32_e32 v63, 2, v63
	ds_load_b32 v63, v63
	s_wait_dscnt 0x0
	v_add_nc_u32_e32 v63, v63, v74
	global_store_b16 v63, v62, s[40:41] scale_offset
	s_wait_xcnt 0x0
	s_or_b32 exec_lo, exec_lo, s26
	v_cmp_lt_u32_e64 s26, v75, v141
	s_and_saveexec_b32 s27, s26
	s_cbranch_execz .LBB1038_1135
.LBB1038_1207:                          ;   in Loop: Header=BB1038_1040 Depth=2
	ds_load_u16 v62, v94 offset:5632
	s_wait_dscnt 0x0
	v_and_b32_e32 v63, 0xffff, v62
	v_xor_b32_e32 v62, 0xffff8000, v62
	s_delay_alu instid0(VALU_DEP_2) | instskip(NEXT) | instid1(VALU_DEP_1)
	v_lshrrev_b32_e32 v63, s49, v63
	v_and_b32_e32 v63, s48, v63
	s_delay_alu instid0(VALU_DEP_1)
	v_lshlrev_b32_e32 v63, 2, v63
	ds_load_b32 v63, v63
	s_wait_dscnt 0x0
	v_add_nc_u32_e32 v63, v63, v75
	global_store_b16 v63, v62, s[40:41] scale_offset
	s_wait_xcnt 0x0
	s_or_b32 exec_lo, exec_lo, s27
	v_cmp_lt_u32_e64 s27, v76, v141
	s_and_saveexec_b32 s28, s27
	s_cbranch_execz .LBB1038_1136
.LBB1038_1208:                          ;   in Loop: Header=BB1038_1040 Depth=2
	ds_load_u16 v62, v94 offset:6144
	s_wait_dscnt 0x0
	v_and_b32_e32 v63, 0xffff, v62
	v_xor_b32_e32 v62, 0xffff8000, v62
	s_delay_alu instid0(VALU_DEP_2) | instskip(NEXT) | instid1(VALU_DEP_1)
	v_lshrrev_b32_e32 v63, s49, v63
	v_and_b32_e32 v63, s48, v63
	s_delay_alu instid0(VALU_DEP_1)
	v_lshlrev_b32_e32 v63, 2, v63
	ds_load_b32 v63, v63
	s_wait_dscnt 0x0
	v_add_nc_u32_e32 v63, v63, v76
	global_store_b16 v63, v62, s[40:41] scale_offset
	s_wait_xcnt 0x0
	s_or_b32 exec_lo, exec_lo, s28
	v_cmp_lt_u32_e64 s28, v77, v141
	s_and_saveexec_b32 s29, s28
	s_cbranch_execz .LBB1038_1137
.LBB1038_1209:                          ;   in Loop: Header=BB1038_1040 Depth=2
	ds_load_u16 v62, v94 offset:6656
	s_wait_dscnt 0x0
	v_and_b32_e32 v63, 0xffff, v62
	v_xor_b32_e32 v62, 0xffff8000, v62
	s_delay_alu instid0(VALU_DEP_2) | instskip(NEXT) | instid1(VALU_DEP_1)
	v_lshrrev_b32_e32 v63, s49, v63
	v_and_b32_e32 v63, s48, v63
	s_delay_alu instid0(VALU_DEP_1)
	v_lshlrev_b32_e32 v63, 2, v63
	ds_load_b32 v63, v63
	s_wait_dscnt 0x0
	v_add_nc_u32_e32 v63, v63, v77
	global_store_b16 v63, v62, s[40:41] scale_offset
	s_wait_xcnt 0x0
	s_or_b32 exec_lo, exec_lo, s29
	v_cmp_lt_u32_e64 s29, v78, v141
	s_and_saveexec_b32 s30, s29
	s_cbranch_execz .LBB1038_1138
.LBB1038_1210:                          ;   in Loop: Header=BB1038_1040 Depth=2
	ds_load_u16 v62, v94 offset:7168
	s_wait_dscnt 0x0
	v_and_b32_e32 v63, 0xffff, v62
	v_xor_b32_e32 v62, 0xffff8000, v62
	s_delay_alu instid0(VALU_DEP_2) | instskip(NEXT) | instid1(VALU_DEP_1)
	v_lshrrev_b32_e32 v63, s49, v63
	v_and_b32_e32 v63, s48, v63
	s_delay_alu instid0(VALU_DEP_1)
	v_lshlrev_b32_e32 v63, 2, v63
	ds_load_b32 v63, v63
	s_wait_dscnt 0x0
	v_add_nc_u32_e32 v63, v63, v78
	global_store_b16 v63, v62, s[40:41] scale_offset
	s_wait_xcnt 0x0
	s_or_b32 exec_lo, exec_lo, s30
	v_cmp_lt_u32_e64 s30, v79, v141
	s_and_saveexec_b32 s31, s30
	s_cbranch_execz .LBB1038_1139
.LBB1038_1211:                          ;   in Loop: Header=BB1038_1040 Depth=2
	ds_load_u16 v62, v94 offset:7680
	s_wait_dscnt 0x0
	v_and_b32_e32 v63, 0xffff, v62
	v_xor_b32_e32 v62, 0xffff8000, v62
	s_delay_alu instid0(VALU_DEP_2) | instskip(NEXT) | instid1(VALU_DEP_1)
	v_lshrrev_b32_e32 v63, s49, v63
	v_and_b32_e32 v63, s48, v63
	s_delay_alu instid0(VALU_DEP_1)
	v_lshlrev_b32_e32 v63, 2, v63
	ds_load_b32 v63, v63
	s_wait_dscnt 0x0
	v_add_nc_u32_e32 v63, v63, v79
	global_store_b16 v63, v62, s[40:41] scale_offset
	s_wait_xcnt 0x0
	s_or_b32 exec_lo, exec_lo, s31
	v_cmp_lt_u32_e64 s31, v80, v141
	s_and_saveexec_b32 s33, s31
	s_cbranch_execz .LBB1038_1140
.LBB1038_1212:                          ;   in Loop: Header=BB1038_1040 Depth=2
	ds_load_u16 v62, v94 offset:8192
	s_wait_dscnt 0x0
	v_and_b32_e32 v63, 0xffff, v62
	v_xor_b32_e32 v62, 0xffff8000, v62
	s_delay_alu instid0(VALU_DEP_2) | instskip(NEXT) | instid1(VALU_DEP_1)
	v_lshrrev_b32_e32 v63, s49, v63
	v_and_b32_e32 v63, s48, v63
	s_delay_alu instid0(VALU_DEP_1)
	v_lshlrev_b32_e32 v63, 2, v63
	ds_load_b32 v63, v63
	s_wait_dscnt 0x0
	v_add_nc_u32_e32 v63, v63, v80
	global_store_b16 v63, v62, s[40:41] scale_offset
	s_wait_xcnt 0x0
	s_or_b32 exec_lo, exec_lo, s33
	v_cmp_lt_u32_e64 s33, v81, v141
	s_and_saveexec_b32 s60, s33
	s_cbranch_execnz .LBB1038_1141
	s_branch .LBB1038_1142
.LBB1038_1213:                          ;   in Loop: Header=BB1038_1040 Depth=2
	global_load_b64 v[60:61], v[62:63], off
	s_wait_xcnt 0x0
	s_or_b32 exec_lo, exec_lo, s34
	s_delay_alu instid0(SALU_CYCLE_1)
	s_mov_b32 s60, exec_lo
	v_cmpx_lt_u32_e64 v105, v141
	s_cbranch_execz .LBB1038_1144
.LBB1038_1214:                          ;   in Loop: Header=BB1038_1040 Depth=2
	global_load_b64 v[58:59], v[62:63], off offset:256
	s_wait_xcnt 0x0
	s_or_b32 exec_lo, exec_lo, s60
	s_delay_alu instid0(SALU_CYCLE_1)
	s_mov_b32 s60, exec_lo
	v_cmpx_lt_u32_e64 v106, v141
	s_cbranch_execz .LBB1038_1145
.LBB1038_1215:                          ;   in Loop: Header=BB1038_1040 Depth=2
	global_load_b64 v[56:57], v[62:63], off offset:512
	s_wait_xcnt 0x0
	s_or_b32 exec_lo, exec_lo, s60
	s_delay_alu instid0(SALU_CYCLE_1)
	s_mov_b32 s60, exec_lo
	v_cmpx_lt_u32_e64 v107, v141
	s_cbranch_execz .LBB1038_1146
.LBB1038_1216:                          ;   in Loop: Header=BB1038_1040 Depth=2
	global_load_b64 v[54:55], v[62:63], off offset:768
	s_wait_xcnt 0x0
	s_or_b32 exec_lo, exec_lo, s60
	s_delay_alu instid0(SALU_CYCLE_1)
	s_mov_b32 s60, exec_lo
	v_cmpx_lt_u32_e64 v108, v141
	s_cbranch_execz .LBB1038_1147
.LBB1038_1217:                          ;   in Loop: Header=BB1038_1040 Depth=2
	global_load_b64 v[52:53], v[62:63], off offset:1024
	s_wait_xcnt 0x0
	s_or_b32 exec_lo, exec_lo, s60
	s_delay_alu instid0(SALU_CYCLE_1)
	s_mov_b32 s60, exec_lo
	v_cmpx_lt_u32_e64 v109, v141
	s_cbranch_execz .LBB1038_1148
.LBB1038_1218:                          ;   in Loop: Header=BB1038_1040 Depth=2
	global_load_b64 v[50:51], v[62:63], off offset:1280
	s_wait_xcnt 0x0
	s_or_b32 exec_lo, exec_lo, s60
	s_delay_alu instid0(SALU_CYCLE_1)
	s_mov_b32 s60, exec_lo
	v_cmpx_lt_u32_e64 v110, v141
	s_cbranch_execz .LBB1038_1149
.LBB1038_1219:                          ;   in Loop: Header=BB1038_1040 Depth=2
	global_load_b64 v[48:49], v[62:63], off offset:1536
	s_wait_xcnt 0x0
	s_or_b32 exec_lo, exec_lo, s60
	s_delay_alu instid0(SALU_CYCLE_1)
	s_mov_b32 s60, exec_lo
	v_cmpx_lt_u32_e64 v111, v141
	s_cbranch_execz .LBB1038_1150
.LBB1038_1220:                          ;   in Loop: Header=BB1038_1040 Depth=2
	global_load_b64 v[46:47], v[62:63], off offset:1792
	s_wait_xcnt 0x0
	s_or_b32 exec_lo, exec_lo, s60
	s_delay_alu instid0(SALU_CYCLE_1)
	s_mov_b32 s60, exec_lo
	v_cmpx_lt_u32_e64 v112, v141
	s_cbranch_execz .LBB1038_1151
.LBB1038_1221:                          ;   in Loop: Header=BB1038_1040 Depth=2
	global_load_b64 v[44:45], v[62:63], off offset:2048
	s_wait_xcnt 0x0
	s_or_b32 exec_lo, exec_lo, s60
	s_delay_alu instid0(SALU_CYCLE_1)
	s_mov_b32 s60, exec_lo
	v_cmpx_lt_u32_e64 v113, v141
	s_cbranch_execz .LBB1038_1152
.LBB1038_1222:                          ;   in Loop: Header=BB1038_1040 Depth=2
	global_load_b64 v[42:43], v[62:63], off offset:2304
	s_wait_xcnt 0x0
	s_or_b32 exec_lo, exec_lo, s60
	s_delay_alu instid0(SALU_CYCLE_1)
	s_mov_b32 s60, exec_lo
	v_cmpx_lt_u32_e64 v114, v141
	s_cbranch_execz .LBB1038_1153
.LBB1038_1223:                          ;   in Loop: Header=BB1038_1040 Depth=2
	global_load_b64 v[40:41], v[62:63], off offset:2560
	s_wait_xcnt 0x0
	s_or_b32 exec_lo, exec_lo, s60
	s_delay_alu instid0(SALU_CYCLE_1)
	s_mov_b32 s60, exec_lo
	v_cmpx_lt_u32_e64 v115, v141
	s_cbranch_execz .LBB1038_1154
.LBB1038_1224:                          ;   in Loop: Header=BB1038_1040 Depth=2
	global_load_b64 v[38:39], v[62:63], off offset:2816
	s_wait_xcnt 0x0
	s_or_b32 exec_lo, exec_lo, s60
	s_delay_alu instid0(SALU_CYCLE_1)
	s_mov_b32 s60, exec_lo
	v_cmpx_lt_u32_e64 v116, v141
	s_cbranch_execz .LBB1038_1155
.LBB1038_1225:                          ;   in Loop: Header=BB1038_1040 Depth=2
	global_load_b64 v[36:37], v[62:63], off offset:3072
	s_wait_xcnt 0x0
	s_or_b32 exec_lo, exec_lo, s60
	s_delay_alu instid0(SALU_CYCLE_1)
	s_mov_b32 s60, exec_lo
	v_cmpx_lt_u32_e64 v117, v141
	s_cbranch_execz .LBB1038_1156
.LBB1038_1226:                          ;   in Loop: Header=BB1038_1040 Depth=2
	global_load_b64 v[34:35], v[62:63], off offset:3328
	s_wait_xcnt 0x0
	s_or_b32 exec_lo, exec_lo, s60
	s_delay_alu instid0(SALU_CYCLE_1)
	s_mov_b32 s60, exec_lo
	v_cmpx_lt_u32_e64 v118, v141
	s_cbranch_execz .LBB1038_1157
.LBB1038_1227:                          ;   in Loop: Header=BB1038_1040 Depth=2
	global_load_b64 v[32:33], v[62:63], off offset:3584
	s_wait_xcnt 0x0
	s_or_b32 exec_lo, exec_lo, s60
	s_delay_alu instid0(SALU_CYCLE_1)
	s_mov_b32 s60, exec_lo
	v_cmpx_lt_u32_e64 v119, v141
	s_cbranch_execz .LBB1038_1158
.LBB1038_1228:                          ;   in Loop: Header=BB1038_1040 Depth=2
	global_load_b64 v[30:31], v[62:63], off offset:3840
	s_wait_xcnt 0x0
	s_or_b32 exec_lo, exec_lo, s60
	s_delay_alu instid0(SALU_CYCLE_1)
	s_mov_b32 s60, exec_lo
	v_cmpx_lt_u32_e64 v120, v141
	s_cbranch_execz .LBB1038_1159
.LBB1038_1229:                          ;   in Loop: Header=BB1038_1040 Depth=2
	global_load_b64 v[28:29], v[62:63], off offset:4096
	s_wait_xcnt 0x0
	s_or_b32 exec_lo, exec_lo, s60
	s_and_saveexec_b32 s34, vcc_lo
	s_cbranch_execz .LBB1038_1160
.LBB1038_1230:                          ;   in Loop: Header=BB1038_1040 Depth=2
	ds_load_u16 v62, v94 offset:512
	s_wait_dscnt 0x0
	v_lshrrev_b32_e32 v62, s49, v62
	s_delay_alu instid0(VALU_DEP_1)
	v_and_b32_e32 v139, s48, v62
	s_or_b32 exec_lo, exec_lo, s34
	s_and_saveexec_b32 s34, s17
	s_cbranch_execz .LBB1038_1161
.LBB1038_1231:                          ;   in Loop: Header=BB1038_1040 Depth=2
	ds_load_u16 v62, v94 offset:1024
	s_wait_dscnt 0x0
	v_lshrrev_b32_e32 v62, s49, v62
	s_delay_alu instid0(VALU_DEP_1)
	v_and_b32_e32 v138, s48, v62
	s_or_b32 exec_lo, exec_lo, s34
	s_and_saveexec_b32 s34, s18
	s_cbranch_execz .LBB1038_1162
.LBB1038_1232:                          ;   in Loop: Header=BB1038_1040 Depth=2
	ds_load_u16 v62, v94 offset:1536
	s_wait_dscnt 0x0
	v_lshrrev_b32_e32 v62, s49, v62
	s_delay_alu instid0(VALU_DEP_1)
	v_and_b32_e32 v136, s48, v62
	s_or_b32 exec_lo, exec_lo, s34
	s_and_saveexec_b32 s34, s19
	s_cbranch_execz .LBB1038_1163
.LBB1038_1233:                          ;   in Loop: Header=BB1038_1040 Depth=2
	ds_load_u16 v62, v94 offset:2048
	s_wait_dscnt 0x0
	v_lshrrev_b32_e32 v62, s49, v62
	s_delay_alu instid0(VALU_DEP_1)
	v_and_b32_e32 v135, s48, v62
	s_or_b32 exec_lo, exec_lo, s34
	s_and_saveexec_b32 s34, s20
	s_cbranch_execz .LBB1038_1164
.LBB1038_1234:                          ;   in Loop: Header=BB1038_1040 Depth=2
	ds_load_u16 v62, v94 offset:2560
	s_wait_dscnt 0x0
	v_lshrrev_b32_e32 v62, s49, v62
	s_delay_alu instid0(VALU_DEP_1)
	v_and_b32_e32 v134, s48, v62
	s_or_b32 exec_lo, exec_lo, s34
	s_and_saveexec_b32 s34, s21
	s_cbranch_execz .LBB1038_1165
.LBB1038_1235:                          ;   in Loop: Header=BB1038_1040 Depth=2
	ds_load_u16 v62, v94 offset:3072
	s_wait_dscnt 0x0
	v_lshrrev_b32_e32 v62, s49, v62
	s_delay_alu instid0(VALU_DEP_1)
	v_and_b32_e32 v133, s48, v62
	s_or_b32 exec_lo, exec_lo, s34
	s_and_saveexec_b32 s34, s22
	s_cbranch_execz .LBB1038_1166
.LBB1038_1236:                          ;   in Loop: Header=BB1038_1040 Depth=2
	ds_load_u16 v62, v94 offset:3584
	s_wait_dscnt 0x0
	v_lshrrev_b32_e32 v62, s49, v62
	s_delay_alu instid0(VALU_DEP_1)
	v_and_b32_e32 v132, s48, v62
	s_or_b32 exec_lo, exec_lo, s34
	s_and_saveexec_b32 s34, s23
	s_cbranch_execz .LBB1038_1167
.LBB1038_1237:                          ;   in Loop: Header=BB1038_1040 Depth=2
	ds_load_u16 v62, v94 offset:4096
	s_wait_dscnt 0x0
	v_lshrrev_b32_e32 v62, s49, v62
	s_delay_alu instid0(VALU_DEP_1)
	v_and_b32_e32 v131, s48, v62
	s_or_b32 exec_lo, exec_lo, s34
	s_and_saveexec_b32 s34, s24
	s_cbranch_execz .LBB1038_1168
.LBB1038_1238:                          ;   in Loop: Header=BB1038_1040 Depth=2
	ds_load_u16 v62, v94 offset:4608
	s_wait_dscnt 0x0
	v_lshrrev_b32_e32 v62, s49, v62
	s_delay_alu instid0(VALU_DEP_1)
	v_and_b32_e32 v130, s48, v62
	s_or_b32 exec_lo, exec_lo, s34
	s_and_saveexec_b32 s34, s25
	s_cbranch_execz .LBB1038_1169
.LBB1038_1239:                          ;   in Loop: Header=BB1038_1040 Depth=2
	ds_load_u16 v62, v94 offset:5120
	s_wait_dscnt 0x0
	v_lshrrev_b32_e32 v62, s49, v62
	s_delay_alu instid0(VALU_DEP_1)
	v_and_b32_e32 v129, s48, v62
	s_or_b32 exec_lo, exec_lo, s34
	s_and_saveexec_b32 s34, s26
	s_cbranch_execz .LBB1038_1170
.LBB1038_1240:                          ;   in Loop: Header=BB1038_1040 Depth=2
	ds_load_u16 v62, v94 offset:5632
	s_wait_dscnt 0x0
	v_lshrrev_b32_e32 v62, s49, v62
	s_delay_alu instid0(VALU_DEP_1)
	v_and_b32_e32 v128, s48, v62
	s_or_b32 exec_lo, exec_lo, s34
	s_and_saveexec_b32 s34, s27
	s_cbranch_execz .LBB1038_1171
.LBB1038_1241:                          ;   in Loop: Header=BB1038_1040 Depth=2
	ds_load_u16 v62, v94 offset:6144
	s_wait_dscnt 0x0
	v_lshrrev_b32_e32 v62, s49, v62
	s_delay_alu instid0(VALU_DEP_1)
	v_and_b32_e32 v127, s48, v62
	s_or_b32 exec_lo, exec_lo, s34
	s_and_saveexec_b32 s34, s28
	s_cbranch_execz .LBB1038_1172
.LBB1038_1242:                          ;   in Loop: Header=BB1038_1040 Depth=2
	ds_load_u16 v62, v94 offset:6656
	s_wait_dscnt 0x0
	v_lshrrev_b32_e32 v62, s49, v62
	s_delay_alu instid0(VALU_DEP_1)
	v_and_b32_e32 v126, s48, v62
	s_or_b32 exec_lo, exec_lo, s34
	s_and_saveexec_b32 s34, s29
	s_cbranch_execz .LBB1038_1173
.LBB1038_1243:                          ;   in Loop: Header=BB1038_1040 Depth=2
	ds_load_u16 v62, v94 offset:7168
	s_wait_dscnt 0x0
	v_lshrrev_b32_e32 v62, s49, v62
	s_delay_alu instid0(VALU_DEP_1)
	v_and_b32_e32 v125, s48, v62
	s_or_b32 exec_lo, exec_lo, s34
	s_and_saveexec_b32 s34, s30
	s_cbranch_execz .LBB1038_1174
.LBB1038_1244:                          ;   in Loop: Header=BB1038_1040 Depth=2
	ds_load_u16 v62, v94 offset:7680
	s_wait_dscnt 0x0
	v_lshrrev_b32_e32 v62, s49, v62
	s_delay_alu instid0(VALU_DEP_1)
	v_and_b32_e32 v124, s48, v62
	s_or_b32 exec_lo, exec_lo, s34
	s_and_saveexec_b32 s34, s31
	s_cbranch_execz .LBB1038_1175
.LBB1038_1245:                          ;   in Loop: Header=BB1038_1040 Depth=2
	ds_load_u16 v62, v94 offset:8192
	s_wait_dscnt 0x0
	v_lshrrev_b32_e32 v62, s49, v62
	s_delay_alu instid0(VALU_DEP_1)
	v_and_b32_e32 v123, s48, v62
	s_or_b32 exec_lo, exec_lo, s34
	s_and_saveexec_b32 s34, s33
	s_cbranch_execnz .LBB1038_1176
	s_branch .LBB1038_1177
.LBB1038_1246:                          ;   in Loop: Header=BB1038_1040 Depth=2
	v_lshlrev_b32_e32 v63, 2, v139
	ds_load_b32 v63, v63
	ds_load_b64 v[64:65], v62 offset:512
	s_wait_dscnt 0x1
	v_add_nc_u32_e32 v63, v63, v2
	s_wait_dscnt 0x0
	global_store_b64 v63, v[64:65], s[46:47] scale_offset
	s_wait_xcnt 0x0
	s_or_b32 exec_lo, exec_lo, s34
	s_and_saveexec_b32 s34, s17
	s_cbranch_execz .LBB1038_1179
.LBB1038_1247:                          ;   in Loop: Header=BB1038_1040 Depth=2
	v_lshlrev_b32_e32 v63, 2, v138
	ds_load_b32 v63, v63
	ds_load_b64 v[64:65], v62 offset:2560
	s_wait_dscnt 0x1
	v_add_nc_u32_e32 v63, v63, v66
	s_wait_dscnt 0x0
	global_store_b64 v63, v[64:65], s[46:47] scale_offset
	s_wait_xcnt 0x0
	s_or_b32 exec_lo, exec_lo, s34
	s_and_saveexec_b32 s17, s18
	s_cbranch_execz .LBB1038_1180
.LBB1038_1248:                          ;   in Loop: Header=BB1038_1040 Depth=2
	v_lshlrev_b32_e32 v63, 2, v136
	ds_load_b32 v63, v63
	ds_load_b64 v[64:65], v62 offset:4608
	s_wait_dscnt 0x1
	v_add_nc_u32_e32 v63, v63, v67
	s_wait_dscnt 0x0
	global_store_b64 v63, v[64:65], s[46:47] scale_offset
	s_wait_xcnt 0x0
	s_or_b32 exec_lo, exec_lo, s17
	s_and_saveexec_b32 s17, s19
	s_cbranch_execz .LBB1038_1181
.LBB1038_1249:                          ;   in Loop: Header=BB1038_1040 Depth=2
	v_lshlrev_b32_e32 v63, 2, v135
	ds_load_b32 v63, v63
	ds_load_b64 v[64:65], v62 offset:6656
	s_wait_dscnt 0x1
	v_add_nc_u32_e32 v63, v63, v68
	s_wait_dscnt 0x0
	global_store_b64 v63, v[64:65], s[46:47] scale_offset
	s_wait_xcnt 0x0
	s_or_b32 exec_lo, exec_lo, s17
	s_and_saveexec_b32 s17, s20
	s_cbranch_execz .LBB1038_1182
.LBB1038_1250:                          ;   in Loop: Header=BB1038_1040 Depth=2
	v_lshlrev_b32_e32 v63, 2, v134
	ds_load_b32 v63, v63
	ds_load_b64 v[64:65], v62 offset:8704
	s_wait_dscnt 0x1
	v_add_nc_u32_e32 v63, v63, v69
	s_wait_dscnt 0x0
	global_store_b64 v63, v[64:65], s[46:47] scale_offset
	s_wait_xcnt 0x0
	s_or_b32 exec_lo, exec_lo, s17
	s_and_saveexec_b32 s17, s21
	s_cbranch_execz .LBB1038_1183
.LBB1038_1251:                          ;   in Loop: Header=BB1038_1040 Depth=2
	v_lshlrev_b32_e32 v63, 2, v133
	ds_load_b32 v63, v63
	ds_load_b64 v[64:65], v62 offset:10752
	s_wait_dscnt 0x1
	v_add_nc_u32_e32 v63, v63, v70
	s_wait_dscnt 0x0
	global_store_b64 v63, v[64:65], s[46:47] scale_offset
	s_wait_xcnt 0x0
	s_or_b32 exec_lo, exec_lo, s17
	s_and_saveexec_b32 s17, s22
	s_cbranch_execz .LBB1038_1184
.LBB1038_1252:                          ;   in Loop: Header=BB1038_1040 Depth=2
	v_lshlrev_b32_e32 v63, 2, v132
	ds_load_b32 v63, v63
	ds_load_b64 v[64:65], v62 offset:12800
	s_wait_dscnt 0x1
	v_add_nc_u32_e32 v63, v63, v71
	s_wait_dscnt 0x0
	global_store_b64 v63, v[64:65], s[46:47] scale_offset
	s_wait_xcnt 0x0
	s_or_b32 exec_lo, exec_lo, s17
	s_and_saveexec_b32 s17, s23
	s_cbranch_execz .LBB1038_1185
.LBB1038_1253:                          ;   in Loop: Header=BB1038_1040 Depth=2
	v_lshlrev_b32_e32 v63, 2, v131
	ds_load_b32 v63, v63
	ds_load_b64 v[64:65], v62 offset:14848
	s_wait_dscnt 0x1
	v_add_nc_u32_e32 v63, v63, v72
	s_wait_dscnt 0x0
	global_store_b64 v63, v[64:65], s[46:47] scale_offset
	s_wait_xcnt 0x0
	s_or_b32 exec_lo, exec_lo, s17
	s_and_saveexec_b32 s17, s24
	s_cbranch_execz .LBB1038_1186
.LBB1038_1254:                          ;   in Loop: Header=BB1038_1040 Depth=2
	v_lshlrev_b32_e32 v63, 2, v130
	ds_load_b32 v63, v63
	ds_load_b64 v[64:65], v62 offset:16896
	s_wait_dscnt 0x1
	v_add_nc_u32_e32 v63, v63, v73
	s_wait_dscnt 0x0
	global_store_b64 v63, v[64:65], s[46:47] scale_offset
	s_wait_xcnt 0x0
	s_or_b32 exec_lo, exec_lo, s17
	s_and_saveexec_b32 s17, s25
	s_cbranch_execz .LBB1038_1187
.LBB1038_1255:                          ;   in Loop: Header=BB1038_1040 Depth=2
	v_lshlrev_b32_e32 v63, 2, v129
	ds_load_b32 v63, v63
	ds_load_b64 v[64:65], v62 offset:18944
	s_wait_dscnt 0x1
	v_add_nc_u32_e32 v63, v63, v74
	s_wait_dscnt 0x0
	global_store_b64 v63, v[64:65], s[46:47] scale_offset
	s_wait_xcnt 0x0
	s_or_b32 exec_lo, exec_lo, s17
	s_and_saveexec_b32 s17, s26
	s_cbranch_execz .LBB1038_1188
.LBB1038_1256:                          ;   in Loop: Header=BB1038_1040 Depth=2
	v_lshlrev_b32_e32 v63, 2, v128
	ds_load_b32 v63, v63
	ds_load_b64 v[64:65], v62 offset:20992
	s_wait_dscnt 0x1
	v_add_nc_u32_e32 v63, v63, v75
	s_wait_dscnt 0x0
	global_store_b64 v63, v[64:65], s[46:47] scale_offset
	s_wait_xcnt 0x0
	s_or_b32 exec_lo, exec_lo, s17
	s_and_saveexec_b32 s17, s27
	s_cbranch_execz .LBB1038_1189
.LBB1038_1257:                          ;   in Loop: Header=BB1038_1040 Depth=2
	v_lshlrev_b32_e32 v63, 2, v127
	ds_load_b32 v63, v63
	ds_load_b64 v[64:65], v62 offset:23040
	s_wait_dscnt 0x1
	v_add_nc_u32_e32 v63, v63, v76
	s_wait_dscnt 0x0
	global_store_b64 v63, v[64:65], s[46:47] scale_offset
	s_wait_xcnt 0x0
	s_or_b32 exec_lo, exec_lo, s17
	s_and_saveexec_b32 s17, s28
	s_cbranch_execz .LBB1038_1190
.LBB1038_1258:                          ;   in Loop: Header=BB1038_1040 Depth=2
	v_lshlrev_b32_e32 v63, 2, v126
	ds_load_b32 v63, v63
	ds_load_b64 v[64:65], v62 offset:25088
	s_wait_dscnt 0x1
	v_add_nc_u32_e32 v63, v63, v77
	s_wait_dscnt 0x0
	global_store_b64 v63, v[64:65], s[46:47] scale_offset
	s_wait_xcnt 0x0
	s_or_b32 exec_lo, exec_lo, s17
	s_and_saveexec_b32 s17, s29
	s_cbranch_execz .LBB1038_1191
.LBB1038_1259:                          ;   in Loop: Header=BB1038_1040 Depth=2
	v_lshlrev_b32_e32 v63, 2, v125
	ds_load_b32 v63, v63
	ds_load_b64 v[64:65], v62 offset:27136
	s_wait_dscnt 0x1
	v_add_nc_u32_e32 v63, v63, v78
	s_wait_dscnt 0x0
	global_store_b64 v63, v[64:65], s[46:47] scale_offset
	s_wait_xcnt 0x0
	s_or_b32 exec_lo, exec_lo, s17
	s_and_saveexec_b32 s17, s30
	s_cbranch_execz .LBB1038_1192
.LBB1038_1260:                          ;   in Loop: Header=BB1038_1040 Depth=2
	v_lshlrev_b32_e32 v63, 2, v124
	ds_load_b32 v63, v63
	ds_load_b64 v[64:65], v62 offset:29184
	s_wait_dscnt 0x1
	v_add_nc_u32_e32 v63, v63, v79
	s_wait_dscnt 0x0
	global_store_b64 v63, v[64:65], s[46:47] scale_offset
	s_wait_xcnt 0x0
	s_or_b32 exec_lo, exec_lo, s17
	s_and_saveexec_b32 s17, s31
	s_cbranch_execz .LBB1038_1193
.LBB1038_1261:                          ;   in Loop: Header=BB1038_1040 Depth=2
	v_lshlrev_b32_e32 v63, 2, v123
	ds_load_b32 v63, v63
	ds_load_b64 v[64:65], v62 offset:31232
	s_wait_dscnt 0x1
	v_add_nc_u32_e32 v63, v63, v80
	s_wait_dscnt 0x0
	global_store_b64 v63, v[64:65], s[46:47] scale_offset
	s_wait_xcnt 0x0
	s_or_b32 exec_lo, exec_lo, s17
	s_and_saveexec_b32 s17, s33
	s_cbranch_execnz .LBB1038_1194
	s_branch .LBB1038_1195
.LBB1038_1262:
	s_endpgm
	.section	.rodata,"a",@progbits
	.p2align	6, 0x0
	.amdhsa_kernel _ZN7rocprim17ROCPRIM_400000_NS6detail17trampoline_kernelINS0_14default_configENS1_36segmented_radix_sort_config_selectorIslEEZNS1_25segmented_radix_sort_implIS3_Lb0EPKsPsPKlPlN2at6native12_GLOBAL__N_18offset_tEEE10hipError_tPvRmT1_PNSt15iterator_traitsISK_E10value_typeET2_T3_PNSL_ISQ_E10value_typeET4_jRbjT5_SW_jjP12ihipStream_tbEUlT_E2_NS1_11comp_targetILNS1_3genE0ELNS1_11target_archE4294967295ELNS1_3gpuE0ELNS1_3repE0EEENS1_30default_config_static_selectorELNS0_4arch9wavefront6targetE0EEEvSK_
		.amdhsa_group_segment_fixed_size 35344
		.amdhsa_private_segment_fixed_size 0
		.amdhsa_kernarg_size 336
		.amdhsa_user_sgpr_count 4
		.amdhsa_user_sgpr_dispatch_ptr 0
		.amdhsa_user_sgpr_queue_ptr 1
		.amdhsa_user_sgpr_kernarg_segment_ptr 1
		.amdhsa_user_sgpr_dispatch_id 0
		.amdhsa_user_sgpr_kernarg_preload_length 0
		.amdhsa_user_sgpr_kernarg_preload_offset 0
		.amdhsa_user_sgpr_private_segment_size 0
		.amdhsa_wavefront_size32 1
		.amdhsa_uses_dynamic_stack 0
		.amdhsa_enable_private_segment 0
		.amdhsa_system_sgpr_workgroup_id_x 1
		.amdhsa_system_sgpr_workgroup_id_y 1
		.amdhsa_system_sgpr_workgroup_id_z 0
		.amdhsa_system_sgpr_workgroup_info 0
		.amdhsa_system_vgpr_workitem_id 2
		.amdhsa_next_free_vgpr 304
		.amdhsa_next_free_sgpr 61
		.amdhsa_named_barrier_count 0
		.amdhsa_reserve_vcc 1
		.amdhsa_float_round_mode_32 0
		.amdhsa_float_round_mode_16_64 0
		.amdhsa_float_denorm_mode_32 3
		.amdhsa_float_denorm_mode_16_64 3
		.amdhsa_fp16_overflow 0
		.amdhsa_memory_ordered 1
		.amdhsa_forward_progress 1
		.amdhsa_inst_pref_size 255
		.amdhsa_round_robin_scheduling 0
		.amdhsa_exception_fp_ieee_invalid_op 0
		.amdhsa_exception_fp_denorm_src 0
		.amdhsa_exception_fp_ieee_div_zero 0
		.amdhsa_exception_fp_ieee_overflow 0
		.amdhsa_exception_fp_ieee_underflow 0
		.amdhsa_exception_fp_ieee_inexact 0
		.amdhsa_exception_int_div_zero 0
	.end_amdhsa_kernel
	.section	.text._ZN7rocprim17ROCPRIM_400000_NS6detail17trampoline_kernelINS0_14default_configENS1_36segmented_radix_sort_config_selectorIslEEZNS1_25segmented_radix_sort_implIS3_Lb0EPKsPsPKlPlN2at6native12_GLOBAL__N_18offset_tEEE10hipError_tPvRmT1_PNSt15iterator_traitsISK_E10value_typeET2_T3_PNSL_ISQ_E10value_typeET4_jRbjT5_SW_jjP12ihipStream_tbEUlT_E2_NS1_11comp_targetILNS1_3genE0ELNS1_11target_archE4294967295ELNS1_3gpuE0ELNS1_3repE0EEENS1_30default_config_static_selectorELNS0_4arch9wavefront6targetE0EEEvSK_,"axG",@progbits,_ZN7rocprim17ROCPRIM_400000_NS6detail17trampoline_kernelINS0_14default_configENS1_36segmented_radix_sort_config_selectorIslEEZNS1_25segmented_radix_sort_implIS3_Lb0EPKsPsPKlPlN2at6native12_GLOBAL__N_18offset_tEEE10hipError_tPvRmT1_PNSt15iterator_traitsISK_E10value_typeET2_T3_PNSL_ISQ_E10value_typeET4_jRbjT5_SW_jjP12ihipStream_tbEUlT_E2_NS1_11comp_targetILNS1_3genE0ELNS1_11target_archE4294967295ELNS1_3gpuE0ELNS1_3repE0EEENS1_30default_config_static_selectorELNS0_4arch9wavefront6targetE0EEEvSK_,comdat
.Lfunc_end1038:
	.size	_ZN7rocprim17ROCPRIM_400000_NS6detail17trampoline_kernelINS0_14default_configENS1_36segmented_radix_sort_config_selectorIslEEZNS1_25segmented_radix_sort_implIS3_Lb0EPKsPsPKlPlN2at6native12_GLOBAL__N_18offset_tEEE10hipError_tPvRmT1_PNSt15iterator_traitsISK_E10value_typeET2_T3_PNSL_ISQ_E10value_typeET4_jRbjT5_SW_jjP12ihipStream_tbEUlT_E2_NS1_11comp_targetILNS1_3genE0ELNS1_11target_archE4294967295ELNS1_3gpuE0ELNS1_3repE0EEENS1_30default_config_static_selectorELNS0_4arch9wavefront6targetE0EEEvSK_, .Lfunc_end1038-_ZN7rocprim17ROCPRIM_400000_NS6detail17trampoline_kernelINS0_14default_configENS1_36segmented_radix_sort_config_selectorIslEEZNS1_25segmented_radix_sort_implIS3_Lb0EPKsPsPKlPlN2at6native12_GLOBAL__N_18offset_tEEE10hipError_tPvRmT1_PNSt15iterator_traitsISK_E10value_typeET2_T3_PNSL_ISQ_E10value_typeET4_jRbjT5_SW_jjP12ihipStream_tbEUlT_E2_NS1_11comp_targetILNS1_3genE0ELNS1_11target_archE4294967295ELNS1_3gpuE0ELNS1_3repE0EEENS1_30default_config_static_selectorELNS0_4arch9wavefront6targetE0EEEvSK_
                                        ; -- End function
	.set _ZN7rocprim17ROCPRIM_400000_NS6detail17trampoline_kernelINS0_14default_configENS1_36segmented_radix_sort_config_selectorIslEEZNS1_25segmented_radix_sort_implIS3_Lb0EPKsPsPKlPlN2at6native12_GLOBAL__N_18offset_tEEE10hipError_tPvRmT1_PNSt15iterator_traitsISK_E10value_typeET2_T3_PNSL_ISQ_E10value_typeET4_jRbjT5_SW_jjP12ihipStream_tbEUlT_E2_NS1_11comp_targetILNS1_3genE0ELNS1_11target_archE4294967295ELNS1_3gpuE0ELNS1_3repE0EEENS1_30default_config_static_selectorELNS0_4arch9wavefront6targetE0EEEvSK_.num_vgpr, max(213, .L_ZN7rocprim17ROCPRIM_400000_NS6detail26segmented_warp_sort_helperINS1_20WarpSortHelperConfigILj32ELj4ELj256EEEslLi256ELb0EvE4sortIPKsPsPKlPlEEvT_T0_T1_T2_jjjjRNS5_12storage_typeE.num_vgpr, .L_ZN7rocprim17ROCPRIM_400000_NS6detail40segmented_radix_sort_single_block_helperIslLj256ELj17ELb0EE4sortIPKsPsPKlPlEEbT_T0_T1_T2_jjjjRNS3_12storage_typeE.num_vgpr)
	.set _ZN7rocprim17ROCPRIM_400000_NS6detail17trampoline_kernelINS0_14default_configENS1_36segmented_radix_sort_config_selectorIslEEZNS1_25segmented_radix_sort_implIS3_Lb0EPKsPsPKlPlN2at6native12_GLOBAL__N_18offset_tEEE10hipError_tPvRmT1_PNSt15iterator_traitsISK_E10value_typeET2_T3_PNSL_ISQ_E10value_typeET4_jRbjT5_SW_jjP12ihipStream_tbEUlT_E2_NS1_11comp_targetILNS1_3genE0ELNS1_11target_archE4294967295ELNS1_3gpuE0ELNS1_3repE0EEENS1_30default_config_static_selectorELNS0_4arch9wavefront6targetE0EEEvSK_.num_agpr, max(0, .L_ZN7rocprim17ROCPRIM_400000_NS6detail26segmented_warp_sort_helperINS1_20WarpSortHelperConfigILj32ELj4ELj256EEEslLi256ELb0EvE4sortIPKsPsPKlPlEEvT_T0_T1_T2_jjjjRNS5_12storage_typeE.num_agpr, .L_ZN7rocprim17ROCPRIM_400000_NS6detail40segmented_radix_sort_single_block_helperIslLj256ELj17ELb0EE4sortIPKsPsPKlPlEEbT_T0_T1_T2_jjjjRNS3_12storage_typeE.num_agpr)
	.set _ZN7rocprim17ROCPRIM_400000_NS6detail17trampoline_kernelINS0_14default_configENS1_36segmented_radix_sort_config_selectorIslEEZNS1_25segmented_radix_sort_implIS3_Lb0EPKsPsPKlPlN2at6native12_GLOBAL__N_18offset_tEEE10hipError_tPvRmT1_PNSt15iterator_traitsISK_E10value_typeET2_T3_PNSL_ISQ_E10value_typeET4_jRbjT5_SW_jjP12ihipStream_tbEUlT_E2_NS1_11comp_targetILNS1_3genE0ELNS1_11target_archE4294967295ELNS1_3gpuE0ELNS1_3repE0EEENS1_30default_config_static_selectorELNS0_4arch9wavefront6targetE0EEEvSK_.numbered_sgpr, max(61, .L_ZN7rocprim17ROCPRIM_400000_NS6detail26segmented_warp_sort_helperINS1_20WarpSortHelperConfigILj32ELj4ELj256EEEslLi256ELb0EvE4sortIPKsPsPKlPlEEvT_T0_T1_T2_jjjjRNS5_12storage_typeE.numbered_sgpr, .L_ZN7rocprim17ROCPRIM_400000_NS6detail40segmented_radix_sort_single_block_helperIslLj256ELj17ELb0EE4sortIPKsPsPKlPlEEbT_T0_T1_T2_jjjjRNS3_12storage_typeE.numbered_sgpr)
	.set _ZN7rocprim17ROCPRIM_400000_NS6detail17trampoline_kernelINS0_14default_configENS1_36segmented_radix_sort_config_selectorIslEEZNS1_25segmented_radix_sort_implIS3_Lb0EPKsPsPKlPlN2at6native12_GLOBAL__N_18offset_tEEE10hipError_tPvRmT1_PNSt15iterator_traitsISK_E10value_typeET2_T3_PNSL_ISQ_E10value_typeET4_jRbjT5_SW_jjP12ihipStream_tbEUlT_E2_NS1_11comp_targetILNS1_3genE0ELNS1_11target_archE4294967295ELNS1_3gpuE0ELNS1_3repE0EEENS1_30default_config_static_selectorELNS0_4arch9wavefront6targetE0EEEvSK_.num_named_barrier, max(0, .L_ZN7rocprim17ROCPRIM_400000_NS6detail26segmented_warp_sort_helperINS1_20WarpSortHelperConfigILj32ELj4ELj256EEEslLi256ELb0EvE4sortIPKsPsPKlPlEEvT_T0_T1_T2_jjjjRNS5_12storage_typeE.num_named_barrier, .L_ZN7rocprim17ROCPRIM_400000_NS6detail40segmented_radix_sort_single_block_helperIslLj256ELj17ELb0EE4sortIPKsPsPKlPlEEbT_T0_T1_T2_jjjjRNS3_12storage_typeE.num_named_barrier)
	.set _ZN7rocprim17ROCPRIM_400000_NS6detail17trampoline_kernelINS0_14default_configENS1_36segmented_radix_sort_config_selectorIslEEZNS1_25segmented_radix_sort_implIS3_Lb0EPKsPsPKlPlN2at6native12_GLOBAL__N_18offset_tEEE10hipError_tPvRmT1_PNSt15iterator_traitsISK_E10value_typeET2_T3_PNSL_ISQ_E10value_typeET4_jRbjT5_SW_jjP12ihipStream_tbEUlT_E2_NS1_11comp_targetILNS1_3genE0ELNS1_11target_archE4294967295ELNS1_3gpuE0ELNS1_3repE0EEENS1_30default_config_static_selectorELNS0_4arch9wavefront6targetE0EEEvSK_.private_seg_size, 0+max(.L_ZN7rocprim17ROCPRIM_400000_NS6detail26segmented_warp_sort_helperINS1_20WarpSortHelperConfigILj32ELj4ELj256EEEslLi256ELb0EvE4sortIPKsPsPKlPlEEvT_T0_T1_T2_jjjjRNS5_12storage_typeE.private_seg_size, .L_ZN7rocprim17ROCPRIM_400000_NS6detail40segmented_radix_sort_single_block_helperIslLj256ELj17ELb0EE4sortIPKsPsPKlPlEEbT_T0_T1_T2_jjjjRNS3_12storage_typeE.private_seg_size)
	.set _ZN7rocprim17ROCPRIM_400000_NS6detail17trampoline_kernelINS0_14default_configENS1_36segmented_radix_sort_config_selectorIslEEZNS1_25segmented_radix_sort_implIS3_Lb0EPKsPsPKlPlN2at6native12_GLOBAL__N_18offset_tEEE10hipError_tPvRmT1_PNSt15iterator_traitsISK_E10value_typeET2_T3_PNSL_ISQ_E10value_typeET4_jRbjT5_SW_jjP12ihipStream_tbEUlT_E2_NS1_11comp_targetILNS1_3genE0ELNS1_11target_archE4294967295ELNS1_3gpuE0ELNS1_3repE0EEENS1_30default_config_static_selectorELNS0_4arch9wavefront6targetE0EEEvSK_.uses_vcc, or(1, .L_ZN7rocprim17ROCPRIM_400000_NS6detail26segmented_warp_sort_helperINS1_20WarpSortHelperConfigILj32ELj4ELj256EEEslLi256ELb0EvE4sortIPKsPsPKlPlEEvT_T0_T1_T2_jjjjRNS5_12storage_typeE.uses_vcc, .L_ZN7rocprim17ROCPRIM_400000_NS6detail40segmented_radix_sort_single_block_helperIslLj256ELj17ELb0EE4sortIPKsPsPKlPlEEbT_T0_T1_T2_jjjjRNS3_12storage_typeE.uses_vcc)
	.set _ZN7rocprim17ROCPRIM_400000_NS6detail17trampoline_kernelINS0_14default_configENS1_36segmented_radix_sort_config_selectorIslEEZNS1_25segmented_radix_sort_implIS3_Lb0EPKsPsPKlPlN2at6native12_GLOBAL__N_18offset_tEEE10hipError_tPvRmT1_PNSt15iterator_traitsISK_E10value_typeET2_T3_PNSL_ISQ_E10value_typeET4_jRbjT5_SW_jjP12ihipStream_tbEUlT_E2_NS1_11comp_targetILNS1_3genE0ELNS1_11target_archE4294967295ELNS1_3gpuE0ELNS1_3repE0EEENS1_30default_config_static_selectorELNS0_4arch9wavefront6targetE0EEEvSK_.uses_flat_scratch, or(0, .L_ZN7rocprim17ROCPRIM_400000_NS6detail26segmented_warp_sort_helperINS1_20WarpSortHelperConfigILj32ELj4ELj256EEEslLi256ELb0EvE4sortIPKsPsPKlPlEEvT_T0_T1_T2_jjjjRNS5_12storage_typeE.uses_flat_scratch, .L_ZN7rocprim17ROCPRIM_400000_NS6detail40segmented_radix_sort_single_block_helperIslLj256ELj17ELb0EE4sortIPKsPsPKlPlEEbT_T0_T1_T2_jjjjRNS3_12storage_typeE.uses_flat_scratch)
	.set _ZN7rocprim17ROCPRIM_400000_NS6detail17trampoline_kernelINS0_14default_configENS1_36segmented_radix_sort_config_selectorIslEEZNS1_25segmented_radix_sort_implIS3_Lb0EPKsPsPKlPlN2at6native12_GLOBAL__N_18offset_tEEE10hipError_tPvRmT1_PNSt15iterator_traitsISK_E10value_typeET2_T3_PNSL_ISQ_E10value_typeET4_jRbjT5_SW_jjP12ihipStream_tbEUlT_E2_NS1_11comp_targetILNS1_3genE0ELNS1_11target_archE4294967295ELNS1_3gpuE0ELNS1_3repE0EEENS1_30default_config_static_selectorELNS0_4arch9wavefront6targetE0EEEvSK_.has_dyn_sized_stack, or(0, .L_ZN7rocprim17ROCPRIM_400000_NS6detail26segmented_warp_sort_helperINS1_20WarpSortHelperConfigILj32ELj4ELj256EEEslLi256ELb0EvE4sortIPKsPsPKlPlEEvT_T0_T1_T2_jjjjRNS5_12storage_typeE.has_dyn_sized_stack, .L_ZN7rocprim17ROCPRIM_400000_NS6detail40segmented_radix_sort_single_block_helperIslLj256ELj17ELb0EE4sortIPKsPsPKlPlEEbT_T0_T1_T2_jjjjRNS3_12storage_typeE.has_dyn_sized_stack)
	.set _ZN7rocprim17ROCPRIM_400000_NS6detail17trampoline_kernelINS0_14default_configENS1_36segmented_radix_sort_config_selectorIslEEZNS1_25segmented_radix_sort_implIS3_Lb0EPKsPsPKlPlN2at6native12_GLOBAL__N_18offset_tEEE10hipError_tPvRmT1_PNSt15iterator_traitsISK_E10value_typeET2_T3_PNSL_ISQ_E10value_typeET4_jRbjT5_SW_jjP12ihipStream_tbEUlT_E2_NS1_11comp_targetILNS1_3genE0ELNS1_11target_archE4294967295ELNS1_3gpuE0ELNS1_3repE0EEENS1_30default_config_static_selectorELNS0_4arch9wavefront6targetE0EEEvSK_.has_recursion, or(0, .L_ZN7rocprim17ROCPRIM_400000_NS6detail26segmented_warp_sort_helperINS1_20WarpSortHelperConfigILj32ELj4ELj256EEEslLi256ELb0EvE4sortIPKsPsPKlPlEEvT_T0_T1_T2_jjjjRNS5_12storage_typeE.has_recursion, .L_ZN7rocprim17ROCPRIM_400000_NS6detail40segmented_radix_sort_single_block_helperIslLj256ELj17ELb0EE4sortIPKsPsPKlPlEEbT_T0_T1_T2_jjjjRNS3_12storage_typeE.has_recursion)
	.set _ZN7rocprim17ROCPRIM_400000_NS6detail17trampoline_kernelINS0_14default_configENS1_36segmented_radix_sort_config_selectorIslEEZNS1_25segmented_radix_sort_implIS3_Lb0EPKsPsPKlPlN2at6native12_GLOBAL__N_18offset_tEEE10hipError_tPvRmT1_PNSt15iterator_traitsISK_E10value_typeET2_T3_PNSL_ISQ_E10value_typeET4_jRbjT5_SW_jjP12ihipStream_tbEUlT_E2_NS1_11comp_targetILNS1_3genE0ELNS1_11target_archE4294967295ELNS1_3gpuE0ELNS1_3repE0EEENS1_30default_config_static_selectorELNS0_4arch9wavefront6targetE0EEEvSK_.has_indirect_call, or(0, .L_ZN7rocprim17ROCPRIM_400000_NS6detail26segmented_warp_sort_helperINS1_20WarpSortHelperConfigILj32ELj4ELj256EEEslLi256ELb0EvE4sortIPKsPsPKlPlEEvT_T0_T1_T2_jjjjRNS5_12storage_typeE.has_indirect_call, .L_ZN7rocprim17ROCPRIM_400000_NS6detail40segmented_radix_sort_single_block_helperIslLj256ELj17ELb0EE4sortIPKsPsPKlPlEEbT_T0_T1_T2_jjjjRNS3_12storage_typeE.has_indirect_call)
	.section	.AMDGPU.csdata,"",@progbits
; Kernel info:
; codeLenInByte = 72528
; TotalNumSgprs: 63
; NumVgprs: 304
; ScratchSize: 0
; MemoryBound: 0
; FloatMode: 240
; IeeeMode: 1
; LDSByteSize: 35344 bytes/workgroup (compile time only)
; SGPRBlocks: 0
; VGPRBlocks: 18
; NumSGPRsForWavesPerEU: 63
; NumVGPRsForWavesPerEU: 304
; NamedBarCnt: 0
; Occupancy: 3
; WaveLimiterHint : 1
; COMPUTE_PGM_RSRC2:SCRATCH_EN: 0
; COMPUTE_PGM_RSRC2:USER_SGPR: 4
; COMPUTE_PGM_RSRC2:TRAP_HANDLER: 0
; COMPUTE_PGM_RSRC2:TGID_X_EN: 1
; COMPUTE_PGM_RSRC2:TGID_Y_EN: 1
; COMPUTE_PGM_RSRC2:TGID_Z_EN: 0
; COMPUTE_PGM_RSRC2:TIDIG_COMP_CNT: 2
	.section	.text._ZN7rocprim17ROCPRIM_400000_NS6detail17trampoline_kernelINS0_14default_configENS1_36segmented_radix_sort_config_selectorIslEEZNS1_25segmented_radix_sort_implIS3_Lb0EPKsPsPKlPlN2at6native12_GLOBAL__N_18offset_tEEE10hipError_tPvRmT1_PNSt15iterator_traitsISK_E10value_typeET2_T3_PNSL_ISQ_E10value_typeET4_jRbjT5_SW_jjP12ihipStream_tbEUlT_E2_NS1_11comp_targetILNS1_3genE5ELNS1_11target_archE942ELNS1_3gpuE9ELNS1_3repE0EEENS1_30default_config_static_selectorELNS0_4arch9wavefront6targetE0EEEvSK_,"axG",@progbits,_ZN7rocprim17ROCPRIM_400000_NS6detail17trampoline_kernelINS0_14default_configENS1_36segmented_radix_sort_config_selectorIslEEZNS1_25segmented_radix_sort_implIS3_Lb0EPKsPsPKlPlN2at6native12_GLOBAL__N_18offset_tEEE10hipError_tPvRmT1_PNSt15iterator_traitsISK_E10value_typeET2_T3_PNSL_ISQ_E10value_typeET4_jRbjT5_SW_jjP12ihipStream_tbEUlT_E2_NS1_11comp_targetILNS1_3genE5ELNS1_11target_archE942ELNS1_3gpuE9ELNS1_3repE0EEENS1_30default_config_static_selectorELNS0_4arch9wavefront6targetE0EEEvSK_,comdat
	.globl	_ZN7rocprim17ROCPRIM_400000_NS6detail17trampoline_kernelINS0_14default_configENS1_36segmented_radix_sort_config_selectorIslEEZNS1_25segmented_radix_sort_implIS3_Lb0EPKsPsPKlPlN2at6native12_GLOBAL__N_18offset_tEEE10hipError_tPvRmT1_PNSt15iterator_traitsISK_E10value_typeET2_T3_PNSL_ISQ_E10value_typeET4_jRbjT5_SW_jjP12ihipStream_tbEUlT_E2_NS1_11comp_targetILNS1_3genE5ELNS1_11target_archE942ELNS1_3gpuE9ELNS1_3repE0EEENS1_30default_config_static_selectorELNS0_4arch9wavefront6targetE0EEEvSK_ ; -- Begin function _ZN7rocprim17ROCPRIM_400000_NS6detail17trampoline_kernelINS0_14default_configENS1_36segmented_radix_sort_config_selectorIslEEZNS1_25segmented_radix_sort_implIS3_Lb0EPKsPsPKlPlN2at6native12_GLOBAL__N_18offset_tEEE10hipError_tPvRmT1_PNSt15iterator_traitsISK_E10value_typeET2_T3_PNSL_ISQ_E10value_typeET4_jRbjT5_SW_jjP12ihipStream_tbEUlT_E2_NS1_11comp_targetILNS1_3genE5ELNS1_11target_archE942ELNS1_3gpuE9ELNS1_3repE0EEENS1_30default_config_static_selectorELNS0_4arch9wavefront6targetE0EEEvSK_
	.p2align	8
	.type	_ZN7rocprim17ROCPRIM_400000_NS6detail17trampoline_kernelINS0_14default_configENS1_36segmented_radix_sort_config_selectorIslEEZNS1_25segmented_radix_sort_implIS3_Lb0EPKsPsPKlPlN2at6native12_GLOBAL__N_18offset_tEEE10hipError_tPvRmT1_PNSt15iterator_traitsISK_E10value_typeET2_T3_PNSL_ISQ_E10value_typeET4_jRbjT5_SW_jjP12ihipStream_tbEUlT_E2_NS1_11comp_targetILNS1_3genE5ELNS1_11target_archE942ELNS1_3gpuE9ELNS1_3repE0EEENS1_30default_config_static_selectorELNS0_4arch9wavefront6targetE0EEEvSK_,@function
_ZN7rocprim17ROCPRIM_400000_NS6detail17trampoline_kernelINS0_14default_configENS1_36segmented_radix_sort_config_selectorIslEEZNS1_25segmented_radix_sort_implIS3_Lb0EPKsPsPKlPlN2at6native12_GLOBAL__N_18offset_tEEE10hipError_tPvRmT1_PNSt15iterator_traitsISK_E10value_typeET2_T3_PNSL_ISQ_E10value_typeET4_jRbjT5_SW_jjP12ihipStream_tbEUlT_E2_NS1_11comp_targetILNS1_3genE5ELNS1_11target_archE942ELNS1_3gpuE9ELNS1_3repE0EEENS1_30default_config_static_selectorELNS0_4arch9wavefront6targetE0EEEvSK_: ; @_ZN7rocprim17ROCPRIM_400000_NS6detail17trampoline_kernelINS0_14default_configENS1_36segmented_radix_sort_config_selectorIslEEZNS1_25segmented_radix_sort_implIS3_Lb0EPKsPsPKlPlN2at6native12_GLOBAL__N_18offset_tEEE10hipError_tPvRmT1_PNSt15iterator_traitsISK_E10value_typeET2_T3_PNSL_ISQ_E10value_typeET4_jRbjT5_SW_jjP12ihipStream_tbEUlT_E2_NS1_11comp_targetILNS1_3genE5ELNS1_11target_archE942ELNS1_3gpuE9ELNS1_3repE0EEENS1_30default_config_static_selectorELNS0_4arch9wavefront6targetE0EEEvSK_
; %bb.0:
	.section	.rodata,"a",@progbits
	.p2align	6, 0x0
	.amdhsa_kernel _ZN7rocprim17ROCPRIM_400000_NS6detail17trampoline_kernelINS0_14default_configENS1_36segmented_radix_sort_config_selectorIslEEZNS1_25segmented_radix_sort_implIS3_Lb0EPKsPsPKlPlN2at6native12_GLOBAL__N_18offset_tEEE10hipError_tPvRmT1_PNSt15iterator_traitsISK_E10value_typeET2_T3_PNSL_ISQ_E10value_typeET4_jRbjT5_SW_jjP12ihipStream_tbEUlT_E2_NS1_11comp_targetILNS1_3genE5ELNS1_11target_archE942ELNS1_3gpuE9ELNS1_3repE0EEENS1_30default_config_static_selectorELNS0_4arch9wavefront6targetE0EEEvSK_
		.amdhsa_group_segment_fixed_size 0
		.amdhsa_private_segment_fixed_size 0
		.amdhsa_kernarg_size 80
		.amdhsa_user_sgpr_count 2
		.amdhsa_user_sgpr_dispatch_ptr 0
		.amdhsa_user_sgpr_queue_ptr 0
		.amdhsa_user_sgpr_kernarg_segment_ptr 1
		.amdhsa_user_sgpr_dispatch_id 0
		.amdhsa_user_sgpr_kernarg_preload_length 0
		.amdhsa_user_sgpr_kernarg_preload_offset 0
		.amdhsa_user_sgpr_private_segment_size 0
		.amdhsa_wavefront_size32 1
		.amdhsa_uses_dynamic_stack 0
		.amdhsa_enable_private_segment 0
		.amdhsa_system_sgpr_workgroup_id_x 1
		.amdhsa_system_sgpr_workgroup_id_y 0
		.amdhsa_system_sgpr_workgroup_id_z 0
		.amdhsa_system_sgpr_workgroup_info 0
		.amdhsa_system_vgpr_workitem_id 0
		.amdhsa_next_free_vgpr 1
		.amdhsa_next_free_sgpr 1
		.amdhsa_named_barrier_count 0
		.amdhsa_reserve_vcc 0
		.amdhsa_float_round_mode_32 0
		.amdhsa_float_round_mode_16_64 0
		.amdhsa_float_denorm_mode_32 3
		.amdhsa_float_denorm_mode_16_64 3
		.amdhsa_fp16_overflow 0
		.amdhsa_memory_ordered 1
		.amdhsa_forward_progress 1
		.amdhsa_inst_pref_size 0
		.amdhsa_round_robin_scheduling 0
		.amdhsa_exception_fp_ieee_invalid_op 0
		.amdhsa_exception_fp_denorm_src 0
		.amdhsa_exception_fp_ieee_div_zero 0
		.amdhsa_exception_fp_ieee_overflow 0
		.amdhsa_exception_fp_ieee_underflow 0
		.amdhsa_exception_fp_ieee_inexact 0
		.amdhsa_exception_int_div_zero 0
	.end_amdhsa_kernel
	.section	.text._ZN7rocprim17ROCPRIM_400000_NS6detail17trampoline_kernelINS0_14default_configENS1_36segmented_radix_sort_config_selectorIslEEZNS1_25segmented_radix_sort_implIS3_Lb0EPKsPsPKlPlN2at6native12_GLOBAL__N_18offset_tEEE10hipError_tPvRmT1_PNSt15iterator_traitsISK_E10value_typeET2_T3_PNSL_ISQ_E10value_typeET4_jRbjT5_SW_jjP12ihipStream_tbEUlT_E2_NS1_11comp_targetILNS1_3genE5ELNS1_11target_archE942ELNS1_3gpuE9ELNS1_3repE0EEENS1_30default_config_static_selectorELNS0_4arch9wavefront6targetE0EEEvSK_,"axG",@progbits,_ZN7rocprim17ROCPRIM_400000_NS6detail17trampoline_kernelINS0_14default_configENS1_36segmented_radix_sort_config_selectorIslEEZNS1_25segmented_radix_sort_implIS3_Lb0EPKsPsPKlPlN2at6native12_GLOBAL__N_18offset_tEEE10hipError_tPvRmT1_PNSt15iterator_traitsISK_E10value_typeET2_T3_PNSL_ISQ_E10value_typeET4_jRbjT5_SW_jjP12ihipStream_tbEUlT_E2_NS1_11comp_targetILNS1_3genE5ELNS1_11target_archE942ELNS1_3gpuE9ELNS1_3repE0EEENS1_30default_config_static_selectorELNS0_4arch9wavefront6targetE0EEEvSK_,comdat
.Lfunc_end1039:
	.size	_ZN7rocprim17ROCPRIM_400000_NS6detail17trampoline_kernelINS0_14default_configENS1_36segmented_radix_sort_config_selectorIslEEZNS1_25segmented_radix_sort_implIS3_Lb0EPKsPsPKlPlN2at6native12_GLOBAL__N_18offset_tEEE10hipError_tPvRmT1_PNSt15iterator_traitsISK_E10value_typeET2_T3_PNSL_ISQ_E10value_typeET4_jRbjT5_SW_jjP12ihipStream_tbEUlT_E2_NS1_11comp_targetILNS1_3genE5ELNS1_11target_archE942ELNS1_3gpuE9ELNS1_3repE0EEENS1_30default_config_static_selectorELNS0_4arch9wavefront6targetE0EEEvSK_, .Lfunc_end1039-_ZN7rocprim17ROCPRIM_400000_NS6detail17trampoline_kernelINS0_14default_configENS1_36segmented_radix_sort_config_selectorIslEEZNS1_25segmented_radix_sort_implIS3_Lb0EPKsPsPKlPlN2at6native12_GLOBAL__N_18offset_tEEE10hipError_tPvRmT1_PNSt15iterator_traitsISK_E10value_typeET2_T3_PNSL_ISQ_E10value_typeET4_jRbjT5_SW_jjP12ihipStream_tbEUlT_E2_NS1_11comp_targetILNS1_3genE5ELNS1_11target_archE942ELNS1_3gpuE9ELNS1_3repE0EEENS1_30default_config_static_selectorELNS0_4arch9wavefront6targetE0EEEvSK_
                                        ; -- End function
	.set _ZN7rocprim17ROCPRIM_400000_NS6detail17trampoline_kernelINS0_14default_configENS1_36segmented_radix_sort_config_selectorIslEEZNS1_25segmented_radix_sort_implIS3_Lb0EPKsPsPKlPlN2at6native12_GLOBAL__N_18offset_tEEE10hipError_tPvRmT1_PNSt15iterator_traitsISK_E10value_typeET2_T3_PNSL_ISQ_E10value_typeET4_jRbjT5_SW_jjP12ihipStream_tbEUlT_E2_NS1_11comp_targetILNS1_3genE5ELNS1_11target_archE942ELNS1_3gpuE9ELNS1_3repE0EEENS1_30default_config_static_selectorELNS0_4arch9wavefront6targetE0EEEvSK_.num_vgpr, 0
	.set _ZN7rocprim17ROCPRIM_400000_NS6detail17trampoline_kernelINS0_14default_configENS1_36segmented_radix_sort_config_selectorIslEEZNS1_25segmented_radix_sort_implIS3_Lb0EPKsPsPKlPlN2at6native12_GLOBAL__N_18offset_tEEE10hipError_tPvRmT1_PNSt15iterator_traitsISK_E10value_typeET2_T3_PNSL_ISQ_E10value_typeET4_jRbjT5_SW_jjP12ihipStream_tbEUlT_E2_NS1_11comp_targetILNS1_3genE5ELNS1_11target_archE942ELNS1_3gpuE9ELNS1_3repE0EEENS1_30default_config_static_selectorELNS0_4arch9wavefront6targetE0EEEvSK_.num_agpr, 0
	.set _ZN7rocprim17ROCPRIM_400000_NS6detail17trampoline_kernelINS0_14default_configENS1_36segmented_radix_sort_config_selectorIslEEZNS1_25segmented_radix_sort_implIS3_Lb0EPKsPsPKlPlN2at6native12_GLOBAL__N_18offset_tEEE10hipError_tPvRmT1_PNSt15iterator_traitsISK_E10value_typeET2_T3_PNSL_ISQ_E10value_typeET4_jRbjT5_SW_jjP12ihipStream_tbEUlT_E2_NS1_11comp_targetILNS1_3genE5ELNS1_11target_archE942ELNS1_3gpuE9ELNS1_3repE0EEENS1_30default_config_static_selectorELNS0_4arch9wavefront6targetE0EEEvSK_.numbered_sgpr, 0
	.set _ZN7rocprim17ROCPRIM_400000_NS6detail17trampoline_kernelINS0_14default_configENS1_36segmented_radix_sort_config_selectorIslEEZNS1_25segmented_radix_sort_implIS3_Lb0EPKsPsPKlPlN2at6native12_GLOBAL__N_18offset_tEEE10hipError_tPvRmT1_PNSt15iterator_traitsISK_E10value_typeET2_T3_PNSL_ISQ_E10value_typeET4_jRbjT5_SW_jjP12ihipStream_tbEUlT_E2_NS1_11comp_targetILNS1_3genE5ELNS1_11target_archE942ELNS1_3gpuE9ELNS1_3repE0EEENS1_30default_config_static_selectorELNS0_4arch9wavefront6targetE0EEEvSK_.num_named_barrier, 0
	.set _ZN7rocprim17ROCPRIM_400000_NS6detail17trampoline_kernelINS0_14default_configENS1_36segmented_radix_sort_config_selectorIslEEZNS1_25segmented_radix_sort_implIS3_Lb0EPKsPsPKlPlN2at6native12_GLOBAL__N_18offset_tEEE10hipError_tPvRmT1_PNSt15iterator_traitsISK_E10value_typeET2_T3_PNSL_ISQ_E10value_typeET4_jRbjT5_SW_jjP12ihipStream_tbEUlT_E2_NS1_11comp_targetILNS1_3genE5ELNS1_11target_archE942ELNS1_3gpuE9ELNS1_3repE0EEENS1_30default_config_static_selectorELNS0_4arch9wavefront6targetE0EEEvSK_.private_seg_size, 0
	.set _ZN7rocprim17ROCPRIM_400000_NS6detail17trampoline_kernelINS0_14default_configENS1_36segmented_radix_sort_config_selectorIslEEZNS1_25segmented_radix_sort_implIS3_Lb0EPKsPsPKlPlN2at6native12_GLOBAL__N_18offset_tEEE10hipError_tPvRmT1_PNSt15iterator_traitsISK_E10value_typeET2_T3_PNSL_ISQ_E10value_typeET4_jRbjT5_SW_jjP12ihipStream_tbEUlT_E2_NS1_11comp_targetILNS1_3genE5ELNS1_11target_archE942ELNS1_3gpuE9ELNS1_3repE0EEENS1_30default_config_static_selectorELNS0_4arch9wavefront6targetE0EEEvSK_.uses_vcc, 0
	.set _ZN7rocprim17ROCPRIM_400000_NS6detail17trampoline_kernelINS0_14default_configENS1_36segmented_radix_sort_config_selectorIslEEZNS1_25segmented_radix_sort_implIS3_Lb0EPKsPsPKlPlN2at6native12_GLOBAL__N_18offset_tEEE10hipError_tPvRmT1_PNSt15iterator_traitsISK_E10value_typeET2_T3_PNSL_ISQ_E10value_typeET4_jRbjT5_SW_jjP12ihipStream_tbEUlT_E2_NS1_11comp_targetILNS1_3genE5ELNS1_11target_archE942ELNS1_3gpuE9ELNS1_3repE0EEENS1_30default_config_static_selectorELNS0_4arch9wavefront6targetE0EEEvSK_.uses_flat_scratch, 0
	.set _ZN7rocprim17ROCPRIM_400000_NS6detail17trampoline_kernelINS0_14default_configENS1_36segmented_radix_sort_config_selectorIslEEZNS1_25segmented_radix_sort_implIS3_Lb0EPKsPsPKlPlN2at6native12_GLOBAL__N_18offset_tEEE10hipError_tPvRmT1_PNSt15iterator_traitsISK_E10value_typeET2_T3_PNSL_ISQ_E10value_typeET4_jRbjT5_SW_jjP12ihipStream_tbEUlT_E2_NS1_11comp_targetILNS1_3genE5ELNS1_11target_archE942ELNS1_3gpuE9ELNS1_3repE0EEENS1_30default_config_static_selectorELNS0_4arch9wavefront6targetE0EEEvSK_.has_dyn_sized_stack, 0
	.set _ZN7rocprim17ROCPRIM_400000_NS6detail17trampoline_kernelINS0_14default_configENS1_36segmented_radix_sort_config_selectorIslEEZNS1_25segmented_radix_sort_implIS3_Lb0EPKsPsPKlPlN2at6native12_GLOBAL__N_18offset_tEEE10hipError_tPvRmT1_PNSt15iterator_traitsISK_E10value_typeET2_T3_PNSL_ISQ_E10value_typeET4_jRbjT5_SW_jjP12ihipStream_tbEUlT_E2_NS1_11comp_targetILNS1_3genE5ELNS1_11target_archE942ELNS1_3gpuE9ELNS1_3repE0EEENS1_30default_config_static_selectorELNS0_4arch9wavefront6targetE0EEEvSK_.has_recursion, 0
	.set _ZN7rocprim17ROCPRIM_400000_NS6detail17trampoline_kernelINS0_14default_configENS1_36segmented_radix_sort_config_selectorIslEEZNS1_25segmented_radix_sort_implIS3_Lb0EPKsPsPKlPlN2at6native12_GLOBAL__N_18offset_tEEE10hipError_tPvRmT1_PNSt15iterator_traitsISK_E10value_typeET2_T3_PNSL_ISQ_E10value_typeET4_jRbjT5_SW_jjP12ihipStream_tbEUlT_E2_NS1_11comp_targetILNS1_3genE5ELNS1_11target_archE942ELNS1_3gpuE9ELNS1_3repE0EEENS1_30default_config_static_selectorELNS0_4arch9wavefront6targetE0EEEvSK_.has_indirect_call, 0
	.section	.AMDGPU.csdata,"",@progbits
; Kernel info:
; codeLenInByte = 0
; TotalNumSgprs: 0
; NumVgprs: 0
; ScratchSize: 0
; MemoryBound: 0
; FloatMode: 240
; IeeeMode: 1
; LDSByteSize: 0 bytes/workgroup (compile time only)
; SGPRBlocks: 0
; VGPRBlocks: 0
; NumSGPRsForWavesPerEU: 1
; NumVGPRsForWavesPerEU: 1
; NamedBarCnt: 0
; Occupancy: 16
; WaveLimiterHint : 0
; COMPUTE_PGM_RSRC2:SCRATCH_EN: 0
; COMPUTE_PGM_RSRC2:USER_SGPR: 2
; COMPUTE_PGM_RSRC2:TRAP_HANDLER: 0
; COMPUTE_PGM_RSRC2:TGID_X_EN: 1
; COMPUTE_PGM_RSRC2:TGID_Y_EN: 0
; COMPUTE_PGM_RSRC2:TGID_Z_EN: 0
; COMPUTE_PGM_RSRC2:TIDIG_COMP_CNT: 0
	.section	.text._ZN7rocprim17ROCPRIM_400000_NS6detail17trampoline_kernelINS0_14default_configENS1_36segmented_radix_sort_config_selectorIslEEZNS1_25segmented_radix_sort_implIS3_Lb0EPKsPsPKlPlN2at6native12_GLOBAL__N_18offset_tEEE10hipError_tPvRmT1_PNSt15iterator_traitsISK_E10value_typeET2_T3_PNSL_ISQ_E10value_typeET4_jRbjT5_SW_jjP12ihipStream_tbEUlT_E2_NS1_11comp_targetILNS1_3genE4ELNS1_11target_archE910ELNS1_3gpuE8ELNS1_3repE0EEENS1_30default_config_static_selectorELNS0_4arch9wavefront6targetE0EEEvSK_,"axG",@progbits,_ZN7rocprim17ROCPRIM_400000_NS6detail17trampoline_kernelINS0_14default_configENS1_36segmented_radix_sort_config_selectorIslEEZNS1_25segmented_radix_sort_implIS3_Lb0EPKsPsPKlPlN2at6native12_GLOBAL__N_18offset_tEEE10hipError_tPvRmT1_PNSt15iterator_traitsISK_E10value_typeET2_T3_PNSL_ISQ_E10value_typeET4_jRbjT5_SW_jjP12ihipStream_tbEUlT_E2_NS1_11comp_targetILNS1_3genE4ELNS1_11target_archE910ELNS1_3gpuE8ELNS1_3repE0EEENS1_30default_config_static_selectorELNS0_4arch9wavefront6targetE0EEEvSK_,comdat
	.globl	_ZN7rocprim17ROCPRIM_400000_NS6detail17trampoline_kernelINS0_14default_configENS1_36segmented_radix_sort_config_selectorIslEEZNS1_25segmented_radix_sort_implIS3_Lb0EPKsPsPKlPlN2at6native12_GLOBAL__N_18offset_tEEE10hipError_tPvRmT1_PNSt15iterator_traitsISK_E10value_typeET2_T3_PNSL_ISQ_E10value_typeET4_jRbjT5_SW_jjP12ihipStream_tbEUlT_E2_NS1_11comp_targetILNS1_3genE4ELNS1_11target_archE910ELNS1_3gpuE8ELNS1_3repE0EEENS1_30default_config_static_selectorELNS0_4arch9wavefront6targetE0EEEvSK_ ; -- Begin function _ZN7rocprim17ROCPRIM_400000_NS6detail17trampoline_kernelINS0_14default_configENS1_36segmented_radix_sort_config_selectorIslEEZNS1_25segmented_radix_sort_implIS3_Lb0EPKsPsPKlPlN2at6native12_GLOBAL__N_18offset_tEEE10hipError_tPvRmT1_PNSt15iterator_traitsISK_E10value_typeET2_T3_PNSL_ISQ_E10value_typeET4_jRbjT5_SW_jjP12ihipStream_tbEUlT_E2_NS1_11comp_targetILNS1_3genE4ELNS1_11target_archE910ELNS1_3gpuE8ELNS1_3repE0EEENS1_30default_config_static_selectorELNS0_4arch9wavefront6targetE0EEEvSK_
	.p2align	8
	.type	_ZN7rocprim17ROCPRIM_400000_NS6detail17trampoline_kernelINS0_14default_configENS1_36segmented_radix_sort_config_selectorIslEEZNS1_25segmented_radix_sort_implIS3_Lb0EPKsPsPKlPlN2at6native12_GLOBAL__N_18offset_tEEE10hipError_tPvRmT1_PNSt15iterator_traitsISK_E10value_typeET2_T3_PNSL_ISQ_E10value_typeET4_jRbjT5_SW_jjP12ihipStream_tbEUlT_E2_NS1_11comp_targetILNS1_3genE4ELNS1_11target_archE910ELNS1_3gpuE8ELNS1_3repE0EEENS1_30default_config_static_selectorELNS0_4arch9wavefront6targetE0EEEvSK_,@function
_ZN7rocprim17ROCPRIM_400000_NS6detail17trampoline_kernelINS0_14default_configENS1_36segmented_radix_sort_config_selectorIslEEZNS1_25segmented_radix_sort_implIS3_Lb0EPKsPsPKlPlN2at6native12_GLOBAL__N_18offset_tEEE10hipError_tPvRmT1_PNSt15iterator_traitsISK_E10value_typeET2_T3_PNSL_ISQ_E10value_typeET4_jRbjT5_SW_jjP12ihipStream_tbEUlT_E2_NS1_11comp_targetILNS1_3genE4ELNS1_11target_archE910ELNS1_3gpuE8ELNS1_3repE0EEENS1_30default_config_static_selectorELNS0_4arch9wavefront6targetE0EEEvSK_: ; @_ZN7rocprim17ROCPRIM_400000_NS6detail17trampoline_kernelINS0_14default_configENS1_36segmented_radix_sort_config_selectorIslEEZNS1_25segmented_radix_sort_implIS3_Lb0EPKsPsPKlPlN2at6native12_GLOBAL__N_18offset_tEEE10hipError_tPvRmT1_PNSt15iterator_traitsISK_E10value_typeET2_T3_PNSL_ISQ_E10value_typeET4_jRbjT5_SW_jjP12ihipStream_tbEUlT_E2_NS1_11comp_targetILNS1_3genE4ELNS1_11target_archE910ELNS1_3gpuE8ELNS1_3repE0EEENS1_30default_config_static_selectorELNS0_4arch9wavefront6targetE0EEEvSK_
; %bb.0:
	.section	.rodata,"a",@progbits
	.p2align	6, 0x0
	.amdhsa_kernel _ZN7rocprim17ROCPRIM_400000_NS6detail17trampoline_kernelINS0_14default_configENS1_36segmented_radix_sort_config_selectorIslEEZNS1_25segmented_radix_sort_implIS3_Lb0EPKsPsPKlPlN2at6native12_GLOBAL__N_18offset_tEEE10hipError_tPvRmT1_PNSt15iterator_traitsISK_E10value_typeET2_T3_PNSL_ISQ_E10value_typeET4_jRbjT5_SW_jjP12ihipStream_tbEUlT_E2_NS1_11comp_targetILNS1_3genE4ELNS1_11target_archE910ELNS1_3gpuE8ELNS1_3repE0EEENS1_30default_config_static_selectorELNS0_4arch9wavefront6targetE0EEEvSK_
		.amdhsa_group_segment_fixed_size 0
		.amdhsa_private_segment_fixed_size 0
		.amdhsa_kernarg_size 80
		.amdhsa_user_sgpr_count 2
		.amdhsa_user_sgpr_dispatch_ptr 0
		.amdhsa_user_sgpr_queue_ptr 0
		.amdhsa_user_sgpr_kernarg_segment_ptr 1
		.amdhsa_user_sgpr_dispatch_id 0
		.amdhsa_user_sgpr_kernarg_preload_length 0
		.amdhsa_user_sgpr_kernarg_preload_offset 0
		.amdhsa_user_sgpr_private_segment_size 0
		.amdhsa_wavefront_size32 1
		.amdhsa_uses_dynamic_stack 0
		.amdhsa_enable_private_segment 0
		.amdhsa_system_sgpr_workgroup_id_x 1
		.amdhsa_system_sgpr_workgroup_id_y 0
		.amdhsa_system_sgpr_workgroup_id_z 0
		.amdhsa_system_sgpr_workgroup_info 0
		.amdhsa_system_vgpr_workitem_id 0
		.amdhsa_next_free_vgpr 1
		.amdhsa_next_free_sgpr 1
		.amdhsa_named_barrier_count 0
		.amdhsa_reserve_vcc 0
		.amdhsa_float_round_mode_32 0
		.amdhsa_float_round_mode_16_64 0
		.amdhsa_float_denorm_mode_32 3
		.amdhsa_float_denorm_mode_16_64 3
		.amdhsa_fp16_overflow 0
		.amdhsa_memory_ordered 1
		.amdhsa_forward_progress 1
		.amdhsa_inst_pref_size 0
		.amdhsa_round_robin_scheduling 0
		.amdhsa_exception_fp_ieee_invalid_op 0
		.amdhsa_exception_fp_denorm_src 0
		.amdhsa_exception_fp_ieee_div_zero 0
		.amdhsa_exception_fp_ieee_overflow 0
		.amdhsa_exception_fp_ieee_underflow 0
		.amdhsa_exception_fp_ieee_inexact 0
		.amdhsa_exception_int_div_zero 0
	.end_amdhsa_kernel
	.section	.text._ZN7rocprim17ROCPRIM_400000_NS6detail17trampoline_kernelINS0_14default_configENS1_36segmented_radix_sort_config_selectorIslEEZNS1_25segmented_radix_sort_implIS3_Lb0EPKsPsPKlPlN2at6native12_GLOBAL__N_18offset_tEEE10hipError_tPvRmT1_PNSt15iterator_traitsISK_E10value_typeET2_T3_PNSL_ISQ_E10value_typeET4_jRbjT5_SW_jjP12ihipStream_tbEUlT_E2_NS1_11comp_targetILNS1_3genE4ELNS1_11target_archE910ELNS1_3gpuE8ELNS1_3repE0EEENS1_30default_config_static_selectorELNS0_4arch9wavefront6targetE0EEEvSK_,"axG",@progbits,_ZN7rocprim17ROCPRIM_400000_NS6detail17trampoline_kernelINS0_14default_configENS1_36segmented_radix_sort_config_selectorIslEEZNS1_25segmented_radix_sort_implIS3_Lb0EPKsPsPKlPlN2at6native12_GLOBAL__N_18offset_tEEE10hipError_tPvRmT1_PNSt15iterator_traitsISK_E10value_typeET2_T3_PNSL_ISQ_E10value_typeET4_jRbjT5_SW_jjP12ihipStream_tbEUlT_E2_NS1_11comp_targetILNS1_3genE4ELNS1_11target_archE910ELNS1_3gpuE8ELNS1_3repE0EEENS1_30default_config_static_selectorELNS0_4arch9wavefront6targetE0EEEvSK_,comdat
.Lfunc_end1040:
	.size	_ZN7rocprim17ROCPRIM_400000_NS6detail17trampoline_kernelINS0_14default_configENS1_36segmented_radix_sort_config_selectorIslEEZNS1_25segmented_radix_sort_implIS3_Lb0EPKsPsPKlPlN2at6native12_GLOBAL__N_18offset_tEEE10hipError_tPvRmT1_PNSt15iterator_traitsISK_E10value_typeET2_T3_PNSL_ISQ_E10value_typeET4_jRbjT5_SW_jjP12ihipStream_tbEUlT_E2_NS1_11comp_targetILNS1_3genE4ELNS1_11target_archE910ELNS1_3gpuE8ELNS1_3repE0EEENS1_30default_config_static_selectorELNS0_4arch9wavefront6targetE0EEEvSK_, .Lfunc_end1040-_ZN7rocprim17ROCPRIM_400000_NS6detail17trampoline_kernelINS0_14default_configENS1_36segmented_radix_sort_config_selectorIslEEZNS1_25segmented_radix_sort_implIS3_Lb0EPKsPsPKlPlN2at6native12_GLOBAL__N_18offset_tEEE10hipError_tPvRmT1_PNSt15iterator_traitsISK_E10value_typeET2_T3_PNSL_ISQ_E10value_typeET4_jRbjT5_SW_jjP12ihipStream_tbEUlT_E2_NS1_11comp_targetILNS1_3genE4ELNS1_11target_archE910ELNS1_3gpuE8ELNS1_3repE0EEENS1_30default_config_static_selectorELNS0_4arch9wavefront6targetE0EEEvSK_
                                        ; -- End function
	.set _ZN7rocprim17ROCPRIM_400000_NS6detail17trampoline_kernelINS0_14default_configENS1_36segmented_radix_sort_config_selectorIslEEZNS1_25segmented_radix_sort_implIS3_Lb0EPKsPsPKlPlN2at6native12_GLOBAL__N_18offset_tEEE10hipError_tPvRmT1_PNSt15iterator_traitsISK_E10value_typeET2_T3_PNSL_ISQ_E10value_typeET4_jRbjT5_SW_jjP12ihipStream_tbEUlT_E2_NS1_11comp_targetILNS1_3genE4ELNS1_11target_archE910ELNS1_3gpuE8ELNS1_3repE0EEENS1_30default_config_static_selectorELNS0_4arch9wavefront6targetE0EEEvSK_.num_vgpr, 0
	.set _ZN7rocprim17ROCPRIM_400000_NS6detail17trampoline_kernelINS0_14default_configENS1_36segmented_radix_sort_config_selectorIslEEZNS1_25segmented_radix_sort_implIS3_Lb0EPKsPsPKlPlN2at6native12_GLOBAL__N_18offset_tEEE10hipError_tPvRmT1_PNSt15iterator_traitsISK_E10value_typeET2_T3_PNSL_ISQ_E10value_typeET4_jRbjT5_SW_jjP12ihipStream_tbEUlT_E2_NS1_11comp_targetILNS1_3genE4ELNS1_11target_archE910ELNS1_3gpuE8ELNS1_3repE0EEENS1_30default_config_static_selectorELNS0_4arch9wavefront6targetE0EEEvSK_.num_agpr, 0
	.set _ZN7rocprim17ROCPRIM_400000_NS6detail17trampoline_kernelINS0_14default_configENS1_36segmented_radix_sort_config_selectorIslEEZNS1_25segmented_radix_sort_implIS3_Lb0EPKsPsPKlPlN2at6native12_GLOBAL__N_18offset_tEEE10hipError_tPvRmT1_PNSt15iterator_traitsISK_E10value_typeET2_T3_PNSL_ISQ_E10value_typeET4_jRbjT5_SW_jjP12ihipStream_tbEUlT_E2_NS1_11comp_targetILNS1_3genE4ELNS1_11target_archE910ELNS1_3gpuE8ELNS1_3repE0EEENS1_30default_config_static_selectorELNS0_4arch9wavefront6targetE0EEEvSK_.numbered_sgpr, 0
	.set _ZN7rocprim17ROCPRIM_400000_NS6detail17trampoline_kernelINS0_14default_configENS1_36segmented_radix_sort_config_selectorIslEEZNS1_25segmented_radix_sort_implIS3_Lb0EPKsPsPKlPlN2at6native12_GLOBAL__N_18offset_tEEE10hipError_tPvRmT1_PNSt15iterator_traitsISK_E10value_typeET2_T3_PNSL_ISQ_E10value_typeET4_jRbjT5_SW_jjP12ihipStream_tbEUlT_E2_NS1_11comp_targetILNS1_3genE4ELNS1_11target_archE910ELNS1_3gpuE8ELNS1_3repE0EEENS1_30default_config_static_selectorELNS0_4arch9wavefront6targetE0EEEvSK_.num_named_barrier, 0
	.set _ZN7rocprim17ROCPRIM_400000_NS6detail17trampoline_kernelINS0_14default_configENS1_36segmented_radix_sort_config_selectorIslEEZNS1_25segmented_radix_sort_implIS3_Lb0EPKsPsPKlPlN2at6native12_GLOBAL__N_18offset_tEEE10hipError_tPvRmT1_PNSt15iterator_traitsISK_E10value_typeET2_T3_PNSL_ISQ_E10value_typeET4_jRbjT5_SW_jjP12ihipStream_tbEUlT_E2_NS1_11comp_targetILNS1_3genE4ELNS1_11target_archE910ELNS1_3gpuE8ELNS1_3repE0EEENS1_30default_config_static_selectorELNS0_4arch9wavefront6targetE0EEEvSK_.private_seg_size, 0
	.set _ZN7rocprim17ROCPRIM_400000_NS6detail17trampoline_kernelINS0_14default_configENS1_36segmented_radix_sort_config_selectorIslEEZNS1_25segmented_radix_sort_implIS3_Lb0EPKsPsPKlPlN2at6native12_GLOBAL__N_18offset_tEEE10hipError_tPvRmT1_PNSt15iterator_traitsISK_E10value_typeET2_T3_PNSL_ISQ_E10value_typeET4_jRbjT5_SW_jjP12ihipStream_tbEUlT_E2_NS1_11comp_targetILNS1_3genE4ELNS1_11target_archE910ELNS1_3gpuE8ELNS1_3repE0EEENS1_30default_config_static_selectorELNS0_4arch9wavefront6targetE0EEEvSK_.uses_vcc, 0
	.set _ZN7rocprim17ROCPRIM_400000_NS6detail17trampoline_kernelINS0_14default_configENS1_36segmented_radix_sort_config_selectorIslEEZNS1_25segmented_radix_sort_implIS3_Lb0EPKsPsPKlPlN2at6native12_GLOBAL__N_18offset_tEEE10hipError_tPvRmT1_PNSt15iterator_traitsISK_E10value_typeET2_T3_PNSL_ISQ_E10value_typeET4_jRbjT5_SW_jjP12ihipStream_tbEUlT_E2_NS1_11comp_targetILNS1_3genE4ELNS1_11target_archE910ELNS1_3gpuE8ELNS1_3repE0EEENS1_30default_config_static_selectorELNS0_4arch9wavefront6targetE0EEEvSK_.uses_flat_scratch, 0
	.set _ZN7rocprim17ROCPRIM_400000_NS6detail17trampoline_kernelINS0_14default_configENS1_36segmented_radix_sort_config_selectorIslEEZNS1_25segmented_radix_sort_implIS3_Lb0EPKsPsPKlPlN2at6native12_GLOBAL__N_18offset_tEEE10hipError_tPvRmT1_PNSt15iterator_traitsISK_E10value_typeET2_T3_PNSL_ISQ_E10value_typeET4_jRbjT5_SW_jjP12ihipStream_tbEUlT_E2_NS1_11comp_targetILNS1_3genE4ELNS1_11target_archE910ELNS1_3gpuE8ELNS1_3repE0EEENS1_30default_config_static_selectorELNS0_4arch9wavefront6targetE0EEEvSK_.has_dyn_sized_stack, 0
	.set _ZN7rocprim17ROCPRIM_400000_NS6detail17trampoline_kernelINS0_14default_configENS1_36segmented_radix_sort_config_selectorIslEEZNS1_25segmented_radix_sort_implIS3_Lb0EPKsPsPKlPlN2at6native12_GLOBAL__N_18offset_tEEE10hipError_tPvRmT1_PNSt15iterator_traitsISK_E10value_typeET2_T3_PNSL_ISQ_E10value_typeET4_jRbjT5_SW_jjP12ihipStream_tbEUlT_E2_NS1_11comp_targetILNS1_3genE4ELNS1_11target_archE910ELNS1_3gpuE8ELNS1_3repE0EEENS1_30default_config_static_selectorELNS0_4arch9wavefront6targetE0EEEvSK_.has_recursion, 0
	.set _ZN7rocprim17ROCPRIM_400000_NS6detail17trampoline_kernelINS0_14default_configENS1_36segmented_radix_sort_config_selectorIslEEZNS1_25segmented_radix_sort_implIS3_Lb0EPKsPsPKlPlN2at6native12_GLOBAL__N_18offset_tEEE10hipError_tPvRmT1_PNSt15iterator_traitsISK_E10value_typeET2_T3_PNSL_ISQ_E10value_typeET4_jRbjT5_SW_jjP12ihipStream_tbEUlT_E2_NS1_11comp_targetILNS1_3genE4ELNS1_11target_archE910ELNS1_3gpuE8ELNS1_3repE0EEENS1_30default_config_static_selectorELNS0_4arch9wavefront6targetE0EEEvSK_.has_indirect_call, 0
	.section	.AMDGPU.csdata,"",@progbits
; Kernel info:
; codeLenInByte = 0
; TotalNumSgprs: 0
; NumVgprs: 0
; ScratchSize: 0
; MemoryBound: 0
; FloatMode: 240
; IeeeMode: 1
; LDSByteSize: 0 bytes/workgroup (compile time only)
; SGPRBlocks: 0
; VGPRBlocks: 0
; NumSGPRsForWavesPerEU: 1
; NumVGPRsForWavesPerEU: 1
; NamedBarCnt: 0
; Occupancy: 16
; WaveLimiterHint : 0
; COMPUTE_PGM_RSRC2:SCRATCH_EN: 0
; COMPUTE_PGM_RSRC2:USER_SGPR: 2
; COMPUTE_PGM_RSRC2:TRAP_HANDLER: 0
; COMPUTE_PGM_RSRC2:TGID_X_EN: 1
; COMPUTE_PGM_RSRC2:TGID_Y_EN: 0
; COMPUTE_PGM_RSRC2:TGID_Z_EN: 0
; COMPUTE_PGM_RSRC2:TIDIG_COMP_CNT: 0
	.section	.text._ZN7rocprim17ROCPRIM_400000_NS6detail17trampoline_kernelINS0_14default_configENS1_36segmented_radix_sort_config_selectorIslEEZNS1_25segmented_radix_sort_implIS3_Lb0EPKsPsPKlPlN2at6native12_GLOBAL__N_18offset_tEEE10hipError_tPvRmT1_PNSt15iterator_traitsISK_E10value_typeET2_T3_PNSL_ISQ_E10value_typeET4_jRbjT5_SW_jjP12ihipStream_tbEUlT_E2_NS1_11comp_targetILNS1_3genE3ELNS1_11target_archE908ELNS1_3gpuE7ELNS1_3repE0EEENS1_30default_config_static_selectorELNS0_4arch9wavefront6targetE0EEEvSK_,"axG",@progbits,_ZN7rocprim17ROCPRIM_400000_NS6detail17trampoline_kernelINS0_14default_configENS1_36segmented_radix_sort_config_selectorIslEEZNS1_25segmented_radix_sort_implIS3_Lb0EPKsPsPKlPlN2at6native12_GLOBAL__N_18offset_tEEE10hipError_tPvRmT1_PNSt15iterator_traitsISK_E10value_typeET2_T3_PNSL_ISQ_E10value_typeET4_jRbjT5_SW_jjP12ihipStream_tbEUlT_E2_NS1_11comp_targetILNS1_3genE3ELNS1_11target_archE908ELNS1_3gpuE7ELNS1_3repE0EEENS1_30default_config_static_selectorELNS0_4arch9wavefront6targetE0EEEvSK_,comdat
	.globl	_ZN7rocprim17ROCPRIM_400000_NS6detail17trampoline_kernelINS0_14default_configENS1_36segmented_radix_sort_config_selectorIslEEZNS1_25segmented_radix_sort_implIS3_Lb0EPKsPsPKlPlN2at6native12_GLOBAL__N_18offset_tEEE10hipError_tPvRmT1_PNSt15iterator_traitsISK_E10value_typeET2_T3_PNSL_ISQ_E10value_typeET4_jRbjT5_SW_jjP12ihipStream_tbEUlT_E2_NS1_11comp_targetILNS1_3genE3ELNS1_11target_archE908ELNS1_3gpuE7ELNS1_3repE0EEENS1_30default_config_static_selectorELNS0_4arch9wavefront6targetE0EEEvSK_ ; -- Begin function _ZN7rocprim17ROCPRIM_400000_NS6detail17trampoline_kernelINS0_14default_configENS1_36segmented_radix_sort_config_selectorIslEEZNS1_25segmented_radix_sort_implIS3_Lb0EPKsPsPKlPlN2at6native12_GLOBAL__N_18offset_tEEE10hipError_tPvRmT1_PNSt15iterator_traitsISK_E10value_typeET2_T3_PNSL_ISQ_E10value_typeET4_jRbjT5_SW_jjP12ihipStream_tbEUlT_E2_NS1_11comp_targetILNS1_3genE3ELNS1_11target_archE908ELNS1_3gpuE7ELNS1_3repE0EEENS1_30default_config_static_selectorELNS0_4arch9wavefront6targetE0EEEvSK_
	.p2align	8
	.type	_ZN7rocprim17ROCPRIM_400000_NS6detail17trampoline_kernelINS0_14default_configENS1_36segmented_radix_sort_config_selectorIslEEZNS1_25segmented_radix_sort_implIS3_Lb0EPKsPsPKlPlN2at6native12_GLOBAL__N_18offset_tEEE10hipError_tPvRmT1_PNSt15iterator_traitsISK_E10value_typeET2_T3_PNSL_ISQ_E10value_typeET4_jRbjT5_SW_jjP12ihipStream_tbEUlT_E2_NS1_11comp_targetILNS1_3genE3ELNS1_11target_archE908ELNS1_3gpuE7ELNS1_3repE0EEENS1_30default_config_static_selectorELNS0_4arch9wavefront6targetE0EEEvSK_,@function
_ZN7rocprim17ROCPRIM_400000_NS6detail17trampoline_kernelINS0_14default_configENS1_36segmented_radix_sort_config_selectorIslEEZNS1_25segmented_radix_sort_implIS3_Lb0EPKsPsPKlPlN2at6native12_GLOBAL__N_18offset_tEEE10hipError_tPvRmT1_PNSt15iterator_traitsISK_E10value_typeET2_T3_PNSL_ISQ_E10value_typeET4_jRbjT5_SW_jjP12ihipStream_tbEUlT_E2_NS1_11comp_targetILNS1_3genE3ELNS1_11target_archE908ELNS1_3gpuE7ELNS1_3repE0EEENS1_30default_config_static_selectorELNS0_4arch9wavefront6targetE0EEEvSK_: ; @_ZN7rocprim17ROCPRIM_400000_NS6detail17trampoline_kernelINS0_14default_configENS1_36segmented_radix_sort_config_selectorIslEEZNS1_25segmented_radix_sort_implIS3_Lb0EPKsPsPKlPlN2at6native12_GLOBAL__N_18offset_tEEE10hipError_tPvRmT1_PNSt15iterator_traitsISK_E10value_typeET2_T3_PNSL_ISQ_E10value_typeET4_jRbjT5_SW_jjP12ihipStream_tbEUlT_E2_NS1_11comp_targetILNS1_3genE3ELNS1_11target_archE908ELNS1_3gpuE7ELNS1_3repE0EEENS1_30default_config_static_selectorELNS0_4arch9wavefront6targetE0EEEvSK_
; %bb.0:
	.section	.rodata,"a",@progbits
	.p2align	6, 0x0
	.amdhsa_kernel _ZN7rocprim17ROCPRIM_400000_NS6detail17trampoline_kernelINS0_14default_configENS1_36segmented_radix_sort_config_selectorIslEEZNS1_25segmented_radix_sort_implIS3_Lb0EPKsPsPKlPlN2at6native12_GLOBAL__N_18offset_tEEE10hipError_tPvRmT1_PNSt15iterator_traitsISK_E10value_typeET2_T3_PNSL_ISQ_E10value_typeET4_jRbjT5_SW_jjP12ihipStream_tbEUlT_E2_NS1_11comp_targetILNS1_3genE3ELNS1_11target_archE908ELNS1_3gpuE7ELNS1_3repE0EEENS1_30default_config_static_selectorELNS0_4arch9wavefront6targetE0EEEvSK_
		.amdhsa_group_segment_fixed_size 0
		.amdhsa_private_segment_fixed_size 0
		.amdhsa_kernarg_size 80
		.amdhsa_user_sgpr_count 2
		.amdhsa_user_sgpr_dispatch_ptr 0
		.amdhsa_user_sgpr_queue_ptr 0
		.amdhsa_user_sgpr_kernarg_segment_ptr 1
		.amdhsa_user_sgpr_dispatch_id 0
		.amdhsa_user_sgpr_kernarg_preload_length 0
		.amdhsa_user_sgpr_kernarg_preload_offset 0
		.amdhsa_user_sgpr_private_segment_size 0
		.amdhsa_wavefront_size32 1
		.amdhsa_uses_dynamic_stack 0
		.amdhsa_enable_private_segment 0
		.amdhsa_system_sgpr_workgroup_id_x 1
		.amdhsa_system_sgpr_workgroup_id_y 0
		.amdhsa_system_sgpr_workgroup_id_z 0
		.amdhsa_system_sgpr_workgroup_info 0
		.amdhsa_system_vgpr_workitem_id 0
		.amdhsa_next_free_vgpr 1
		.amdhsa_next_free_sgpr 1
		.amdhsa_named_barrier_count 0
		.amdhsa_reserve_vcc 0
		.amdhsa_float_round_mode_32 0
		.amdhsa_float_round_mode_16_64 0
		.amdhsa_float_denorm_mode_32 3
		.amdhsa_float_denorm_mode_16_64 3
		.amdhsa_fp16_overflow 0
		.amdhsa_memory_ordered 1
		.amdhsa_forward_progress 1
		.amdhsa_inst_pref_size 0
		.amdhsa_round_robin_scheduling 0
		.amdhsa_exception_fp_ieee_invalid_op 0
		.amdhsa_exception_fp_denorm_src 0
		.amdhsa_exception_fp_ieee_div_zero 0
		.amdhsa_exception_fp_ieee_overflow 0
		.amdhsa_exception_fp_ieee_underflow 0
		.amdhsa_exception_fp_ieee_inexact 0
		.amdhsa_exception_int_div_zero 0
	.end_amdhsa_kernel
	.section	.text._ZN7rocprim17ROCPRIM_400000_NS6detail17trampoline_kernelINS0_14default_configENS1_36segmented_radix_sort_config_selectorIslEEZNS1_25segmented_radix_sort_implIS3_Lb0EPKsPsPKlPlN2at6native12_GLOBAL__N_18offset_tEEE10hipError_tPvRmT1_PNSt15iterator_traitsISK_E10value_typeET2_T3_PNSL_ISQ_E10value_typeET4_jRbjT5_SW_jjP12ihipStream_tbEUlT_E2_NS1_11comp_targetILNS1_3genE3ELNS1_11target_archE908ELNS1_3gpuE7ELNS1_3repE0EEENS1_30default_config_static_selectorELNS0_4arch9wavefront6targetE0EEEvSK_,"axG",@progbits,_ZN7rocprim17ROCPRIM_400000_NS6detail17trampoline_kernelINS0_14default_configENS1_36segmented_radix_sort_config_selectorIslEEZNS1_25segmented_radix_sort_implIS3_Lb0EPKsPsPKlPlN2at6native12_GLOBAL__N_18offset_tEEE10hipError_tPvRmT1_PNSt15iterator_traitsISK_E10value_typeET2_T3_PNSL_ISQ_E10value_typeET4_jRbjT5_SW_jjP12ihipStream_tbEUlT_E2_NS1_11comp_targetILNS1_3genE3ELNS1_11target_archE908ELNS1_3gpuE7ELNS1_3repE0EEENS1_30default_config_static_selectorELNS0_4arch9wavefront6targetE0EEEvSK_,comdat
.Lfunc_end1041:
	.size	_ZN7rocprim17ROCPRIM_400000_NS6detail17trampoline_kernelINS0_14default_configENS1_36segmented_radix_sort_config_selectorIslEEZNS1_25segmented_radix_sort_implIS3_Lb0EPKsPsPKlPlN2at6native12_GLOBAL__N_18offset_tEEE10hipError_tPvRmT1_PNSt15iterator_traitsISK_E10value_typeET2_T3_PNSL_ISQ_E10value_typeET4_jRbjT5_SW_jjP12ihipStream_tbEUlT_E2_NS1_11comp_targetILNS1_3genE3ELNS1_11target_archE908ELNS1_3gpuE7ELNS1_3repE0EEENS1_30default_config_static_selectorELNS0_4arch9wavefront6targetE0EEEvSK_, .Lfunc_end1041-_ZN7rocprim17ROCPRIM_400000_NS6detail17trampoline_kernelINS0_14default_configENS1_36segmented_radix_sort_config_selectorIslEEZNS1_25segmented_radix_sort_implIS3_Lb0EPKsPsPKlPlN2at6native12_GLOBAL__N_18offset_tEEE10hipError_tPvRmT1_PNSt15iterator_traitsISK_E10value_typeET2_T3_PNSL_ISQ_E10value_typeET4_jRbjT5_SW_jjP12ihipStream_tbEUlT_E2_NS1_11comp_targetILNS1_3genE3ELNS1_11target_archE908ELNS1_3gpuE7ELNS1_3repE0EEENS1_30default_config_static_selectorELNS0_4arch9wavefront6targetE0EEEvSK_
                                        ; -- End function
	.set _ZN7rocprim17ROCPRIM_400000_NS6detail17trampoline_kernelINS0_14default_configENS1_36segmented_radix_sort_config_selectorIslEEZNS1_25segmented_radix_sort_implIS3_Lb0EPKsPsPKlPlN2at6native12_GLOBAL__N_18offset_tEEE10hipError_tPvRmT1_PNSt15iterator_traitsISK_E10value_typeET2_T3_PNSL_ISQ_E10value_typeET4_jRbjT5_SW_jjP12ihipStream_tbEUlT_E2_NS1_11comp_targetILNS1_3genE3ELNS1_11target_archE908ELNS1_3gpuE7ELNS1_3repE0EEENS1_30default_config_static_selectorELNS0_4arch9wavefront6targetE0EEEvSK_.num_vgpr, 0
	.set _ZN7rocprim17ROCPRIM_400000_NS6detail17trampoline_kernelINS0_14default_configENS1_36segmented_radix_sort_config_selectorIslEEZNS1_25segmented_radix_sort_implIS3_Lb0EPKsPsPKlPlN2at6native12_GLOBAL__N_18offset_tEEE10hipError_tPvRmT1_PNSt15iterator_traitsISK_E10value_typeET2_T3_PNSL_ISQ_E10value_typeET4_jRbjT5_SW_jjP12ihipStream_tbEUlT_E2_NS1_11comp_targetILNS1_3genE3ELNS1_11target_archE908ELNS1_3gpuE7ELNS1_3repE0EEENS1_30default_config_static_selectorELNS0_4arch9wavefront6targetE0EEEvSK_.num_agpr, 0
	.set _ZN7rocprim17ROCPRIM_400000_NS6detail17trampoline_kernelINS0_14default_configENS1_36segmented_radix_sort_config_selectorIslEEZNS1_25segmented_radix_sort_implIS3_Lb0EPKsPsPKlPlN2at6native12_GLOBAL__N_18offset_tEEE10hipError_tPvRmT1_PNSt15iterator_traitsISK_E10value_typeET2_T3_PNSL_ISQ_E10value_typeET4_jRbjT5_SW_jjP12ihipStream_tbEUlT_E2_NS1_11comp_targetILNS1_3genE3ELNS1_11target_archE908ELNS1_3gpuE7ELNS1_3repE0EEENS1_30default_config_static_selectorELNS0_4arch9wavefront6targetE0EEEvSK_.numbered_sgpr, 0
	.set _ZN7rocprim17ROCPRIM_400000_NS6detail17trampoline_kernelINS0_14default_configENS1_36segmented_radix_sort_config_selectorIslEEZNS1_25segmented_radix_sort_implIS3_Lb0EPKsPsPKlPlN2at6native12_GLOBAL__N_18offset_tEEE10hipError_tPvRmT1_PNSt15iterator_traitsISK_E10value_typeET2_T3_PNSL_ISQ_E10value_typeET4_jRbjT5_SW_jjP12ihipStream_tbEUlT_E2_NS1_11comp_targetILNS1_3genE3ELNS1_11target_archE908ELNS1_3gpuE7ELNS1_3repE0EEENS1_30default_config_static_selectorELNS0_4arch9wavefront6targetE0EEEvSK_.num_named_barrier, 0
	.set _ZN7rocprim17ROCPRIM_400000_NS6detail17trampoline_kernelINS0_14default_configENS1_36segmented_radix_sort_config_selectorIslEEZNS1_25segmented_radix_sort_implIS3_Lb0EPKsPsPKlPlN2at6native12_GLOBAL__N_18offset_tEEE10hipError_tPvRmT1_PNSt15iterator_traitsISK_E10value_typeET2_T3_PNSL_ISQ_E10value_typeET4_jRbjT5_SW_jjP12ihipStream_tbEUlT_E2_NS1_11comp_targetILNS1_3genE3ELNS1_11target_archE908ELNS1_3gpuE7ELNS1_3repE0EEENS1_30default_config_static_selectorELNS0_4arch9wavefront6targetE0EEEvSK_.private_seg_size, 0
	.set _ZN7rocprim17ROCPRIM_400000_NS6detail17trampoline_kernelINS0_14default_configENS1_36segmented_radix_sort_config_selectorIslEEZNS1_25segmented_radix_sort_implIS3_Lb0EPKsPsPKlPlN2at6native12_GLOBAL__N_18offset_tEEE10hipError_tPvRmT1_PNSt15iterator_traitsISK_E10value_typeET2_T3_PNSL_ISQ_E10value_typeET4_jRbjT5_SW_jjP12ihipStream_tbEUlT_E2_NS1_11comp_targetILNS1_3genE3ELNS1_11target_archE908ELNS1_3gpuE7ELNS1_3repE0EEENS1_30default_config_static_selectorELNS0_4arch9wavefront6targetE0EEEvSK_.uses_vcc, 0
	.set _ZN7rocprim17ROCPRIM_400000_NS6detail17trampoline_kernelINS0_14default_configENS1_36segmented_radix_sort_config_selectorIslEEZNS1_25segmented_radix_sort_implIS3_Lb0EPKsPsPKlPlN2at6native12_GLOBAL__N_18offset_tEEE10hipError_tPvRmT1_PNSt15iterator_traitsISK_E10value_typeET2_T3_PNSL_ISQ_E10value_typeET4_jRbjT5_SW_jjP12ihipStream_tbEUlT_E2_NS1_11comp_targetILNS1_3genE3ELNS1_11target_archE908ELNS1_3gpuE7ELNS1_3repE0EEENS1_30default_config_static_selectorELNS0_4arch9wavefront6targetE0EEEvSK_.uses_flat_scratch, 0
	.set _ZN7rocprim17ROCPRIM_400000_NS6detail17trampoline_kernelINS0_14default_configENS1_36segmented_radix_sort_config_selectorIslEEZNS1_25segmented_radix_sort_implIS3_Lb0EPKsPsPKlPlN2at6native12_GLOBAL__N_18offset_tEEE10hipError_tPvRmT1_PNSt15iterator_traitsISK_E10value_typeET2_T3_PNSL_ISQ_E10value_typeET4_jRbjT5_SW_jjP12ihipStream_tbEUlT_E2_NS1_11comp_targetILNS1_3genE3ELNS1_11target_archE908ELNS1_3gpuE7ELNS1_3repE0EEENS1_30default_config_static_selectorELNS0_4arch9wavefront6targetE0EEEvSK_.has_dyn_sized_stack, 0
	.set _ZN7rocprim17ROCPRIM_400000_NS6detail17trampoline_kernelINS0_14default_configENS1_36segmented_radix_sort_config_selectorIslEEZNS1_25segmented_radix_sort_implIS3_Lb0EPKsPsPKlPlN2at6native12_GLOBAL__N_18offset_tEEE10hipError_tPvRmT1_PNSt15iterator_traitsISK_E10value_typeET2_T3_PNSL_ISQ_E10value_typeET4_jRbjT5_SW_jjP12ihipStream_tbEUlT_E2_NS1_11comp_targetILNS1_3genE3ELNS1_11target_archE908ELNS1_3gpuE7ELNS1_3repE0EEENS1_30default_config_static_selectorELNS0_4arch9wavefront6targetE0EEEvSK_.has_recursion, 0
	.set _ZN7rocprim17ROCPRIM_400000_NS6detail17trampoline_kernelINS0_14default_configENS1_36segmented_radix_sort_config_selectorIslEEZNS1_25segmented_radix_sort_implIS3_Lb0EPKsPsPKlPlN2at6native12_GLOBAL__N_18offset_tEEE10hipError_tPvRmT1_PNSt15iterator_traitsISK_E10value_typeET2_T3_PNSL_ISQ_E10value_typeET4_jRbjT5_SW_jjP12ihipStream_tbEUlT_E2_NS1_11comp_targetILNS1_3genE3ELNS1_11target_archE908ELNS1_3gpuE7ELNS1_3repE0EEENS1_30default_config_static_selectorELNS0_4arch9wavefront6targetE0EEEvSK_.has_indirect_call, 0
	.section	.AMDGPU.csdata,"",@progbits
; Kernel info:
; codeLenInByte = 0
; TotalNumSgprs: 0
; NumVgprs: 0
; ScratchSize: 0
; MemoryBound: 0
; FloatMode: 240
; IeeeMode: 1
; LDSByteSize: 0 bytes/workgroup (compile time only)
; SGPRBlocks: 0
; VGPRBlocks: 0
; NumSGPRsForWavesPerEU: 1
; NumVGPRsForWavesPerEU: 1
; NamedBarCnt: 0
; Occupancy: 16
; WaveLimiterHint : 0
; COMPUTE_PGM_RSRC2:SCRATCH_EN: 0
; COMPUTE_PGM_RSRC2:USER_SGPR: 2
; COMPUTE_PGM_RSRC2:TRAP_HANDLER: 0
; COMPUTE_PGM_RSRC2:TGID_X_EN: 1
; COMPUTE_PGM_RSRC2:TGID_Y_EN: 0
; COMPUTE_PGM_RSRC2:TGID_Z_EN: 0
; COMPUTE_PGM_RSRC2:TIDIG_COMP_CNT: 0
	.section	.text._ZN7rocprim17ROCPRIM_400000_NS6detail17trampoline_kernelINS0_14default_configENS1_36segmented_radix_sort_config_selectorIslEEZNS1_25segmented_radix_sort_implIS3_Lb0EPKsPsPKlPlN2at6native12_GLOBAL__N_18offset_tEEE10hipError_tPvRmT1_PNSt15iterator_traitsISK_E10value_typeET2_T3_PNSL_ISQ_E10value_typeET4_jRbjT5_SW_jjP12ihipStream_tbEUlT_E2_NS1_11comp_targetILNS1_3genE2ELNS1_11target_archE906ELNS1_3gpuE6ELNS1_3repE0EEENS1_30default_config_static_selectorELNS0_4arch9wavefront6targetE0EEEvSK_,"axG",@progbits,_ZN7rocprim17ROCPRIM_400000_NS6detail17trampoline_kernelINS0_14default_configENS1_36segmented_radix_sort_config_selectorIslEEZNS1_25segmented_radix_sort_implIS3_Lb0EPKsPsPKlPlN2at6native12_GLOBAL__N_18offset_tEEE10hipError_tPvRmT1_PNSt15iterator_traitsISK_E10value_typeET2_T3_PNSL_ISQ_E10value_typeET4_jRbjT5_SW_jjP12ihipStream_tbEUlT_E2_NS1_11comp_targetILNS1_3genE2ELNS1_11target_archE906ELNS1_3gpuE6ELNS1_3repE0EEENS1_30default_config_static_selectorELNS0_4arch9wavefront6targetE0EEEvSK_,comdat
	.globl	_ZN7rocprim17ROCPRIM_400000_NS6detail17trampoline_kernelINS0_14default_configENS1_36segmented_radix_sort_config_selectorIslEEZNS1_25segmented_radix_sort_implIS3_Lb0EPKsPsPKlPlN2at6native12_GLOBAL__N_18offset_tEEE10hipError_tPvRmT1_PNSt15iterator_traitsISK_E10value_typeET2_T3_PNSL_ISQ_E10value_typeET4_jRbjT5_SW_jjP12ihipStream_tbEUlT_E2_NS1_11comp_targetILNS1_3genE2ELNS1_11target_archE906ELNS1_3gpuE6ELNS1_3repE0EEENS1_30default_config_static_selectorELNS0_4arch9wavefront6targetE0EEEvSK_ ; -- Begin function _ZN7rocprim17ROCPRIM_400000_NS6detail17trampoline_kernelINS0_14default_configENS1_36segmented_radix_sort_config_selectorIslEEZNS1_25segmented_radix_sort_implIS3_Lb0EPKsPsPKlPlN2at6native12_GLOBAL__N_18offset_tEEE10hipError_tPvRmT1_PNSt15iterator_traitsISK_E10value_typeET2_T3_PNSL_ISQ_E10value_typeET4_jRbjT5_SW_jjP12ihipStream_tbEUlT_E2_NS1_11comp_targetILNS1_3genE2ELNS1_11target_archE906ELNS1_3gpuE6ELNS1_3repE0EEENS1_30default_config_static_selectorELNS0_4arch9wavefront6targetE0EEEvSK_
	.p2align	8
	.type	_ZN7rocprim17ROCPRIM_400000_NS6detail17trampoline_kernelINS0_14default_configENS1_36segmented_radix_sort_config_selectorIslEEZNS1_25segmented_radix_sort_implIS3_Lb0EPKsPsPKlPlN2at6native12_GLOBAL__N_18offset_tEEE10hipError_tPvRmT1_PNSt15iterator_traitsISK_E10value_typeET2_T3_PNSL_ISQ_E10value_typeET4_jRbjT5_SW_jjP12ihipStream_tbEUlT_E2_NS1_11comp_targetILNS1_3genE2ELNS1_11target_archE906ELNS1_3gpuE6ELNS1_3repE0EEENS1_30default_config_static_selectorELNS0_4arch9wavefront6targetE0EEEvSK_,@function
_ZN7rocprim17ROCPRIM_400000_NS6detail17trampoline_kernelINS0_14default_configENS1_36segmented_radix_sort_config_selectorIslEEZNS1_25segmented_radix_sort_implIS3_Lb0EPKsPsPKlPlN2at6native12_GLOBAL__N_18offset_tEEE10hipError_tPvRmT1_PNSt15iterator_traitsISK_E10value_typeET2_T3_PNSL_ISQ_E10value_typeET4_jRbjT5_SW_jjP12ihipStream_tbEUlT_E2_NS1_11comp_targetILNS1_3genE2ELNS1_11target_archE906ELNS1_3gpuE6ELNS1_3repE0EEENS1_30default_config_static_selectorELNS0_4arch9wavefront6targetE0EEEvSK_: ; @_ZN7rocprim17ROCPRIM_400000_NS6detail17trampoline_kernelINS0_14default_configENS1_36segmented_radix_sort_config_selectorIslEEZNS1_25segmented_radix_sort_implIS3_Lb0EPKsPsPKlPlN2at6native12_GLOBAL__N_18offset_tEEE10hipError_tPvRmT1_PNSt15iterator_traitsISK_E10value_typeET2_T3_PNSL_ISQ_E10value_typeET4_jRbjT5_SW_jjP12ihipStream_tbEUlT_E2_NS1_11comp_targetILNS1_3genE2ELNS1_11target_archE906ELNS1_3gpuE6ELNS1_3repE0EEENS1_30default_config_static_selectorELNS0_4arch9wavefront6targetE0EEEvSK_
; %bb.0:
	.section	.rodata,"a",@progbits
	.p2align	6, 0x0
	.amdhsa_kernel _ZN7rocprim17ROCPRIM_400000_NS6detail17trampoline_kernelINS0_14default_configENS1_36segmented_radix_sort_config_selectorIslEEZNS1_25segmented_radix_sort_implIS3_Lb0EPKsPsPKlPlN2at6native12_GLOBAL__N_18offset_tEEE10hipError_tPvRmT1_PNSt15iterator_traitsISK_E10value_typeET2_T3_PNSL_ISQ_E10value_typeET4_jRbjT5_SW_jjP12ihipStream_tbEUlT_E2_NS1_11comp_targetILNS1_3genE2ELNS1_11target_archE906ELNS1_3gpuE6ELNS1_3repE0EEENS1_30default_config_static_selectorELNS0_4arch9wavefront6targetE0EEEvSK_
		.amdhsa_group_segment_fixed_size 0
		.amdhsa_private_segment_fixed_size 0
		.amdhsa_kernarg_size 80
		.amdhsa_user_sgpr_count 2
		.amdhsa_user_sgpr_dispatch_ptr 0
		.amdhsa_user_sgpr_queue_ptr 0
		.amdhsa_user_sgpr_kernarg_segment_ptr 1
		.amdhsa_user_sgpr_dispatch_id 0
		.amdhsa_user_sgpr_kernarg_preload_length 0
		.amdhsa_user_sgpr_kernarg_preload_offset 0
		.amdhsa_user_sgpr_private_segment_size 0
		.amdhsa_wavefront_size32 1
		.amdhsa_uses_dynamic_stack 0
		.amdhsa_enable_private_segment 0
		.amdhsa_system_sgpr_workgroup_id_x 1
		.amdhsa_system_sgpr_workgroup_id_y 0
		.amdhsa_system_sgpr_workgroup_id_z 0
		.amdhsa_system_sgpr_workgroup_info 0
		.amdhsa_system_vgpr_workitem_id 0
		.amdhsa_next_free_vgpr 1
		.amdhsa_next_free_sgpr 1
		.amdhsa_named_barrier_count 0
		.amdhsa_reserve_vcc 0
		.amdhsa_float_round_mode_32 0
		.amdhsa_float_round_mode_16_64 0
		.amdhsa_float_denorm_mode_32 3
		.amdhsa_float_denorm_mode_16_64 3
		.amdhsa_fp16_overflow 0
		.amdhsa_memory_ordered 1
		.amdhsa_forward_progress 1
		.amdhsa_inst_pref_size 0
		.amdhsa_round_robin_scheduling 0
		.amdhsa_exception_fp_ieee_invalid_op 0
		.amdhsa_exception_fp_denorm_src 0
		.amdhsa_exception_fp_ieee_div_zero 0
		.amdhsa_exception_fp_ieee_overflow 0
		.amdhsa_exception_fp_ieee_underflow 0
		.amdhsa_exception_fp_ieee_inexact 0
		.amdhsa_exception_int_div_zero 0
	.end_amdhsa_kernel
	.section	.text._ZN7rocprim17ROCPRIM_400000_NS6detail17trampoline_kernelINS0_14default_configENS1_36segmented_radix_sort_config_selectorIslEEZNS1_25segmented_radix_sort_implIS3_Lb0EPKsPsPKlPlN2at6native12_GLOBAL__N_18offset_tEEE10hipError_tPvRmT1_PNSt15iterator_traitsISK_E10value_typeET2_T3_PNSL_ISQ_E10value_typeET4_jRbjT5_SW_jjP12ihipStream_tbEUlT_E2_NS1_11comp_targetILNS1_3genE2ELNS1_11target_archE906ELNS1_3gpuE6ELNS1_3repE0EEENS1_30default_config_static_selectorELNS0_4arch9wavefront6targetE0EEEvSK_,"axG",@progbits,_ZN7rocprim17ROCPRIM_400000_NS6detail17trampoline_kernelINS0_14default_configENS1_36segmented_radix_sort_config_selectorIslEEZNS1_25segmented_radix_sort_implIS3_Lb0EPKsPsPKlPlN2at6native12_GLOBAL__N_18offset_tEEE10hipError_tPvRmT1_PNSt15iterator_traitsISK_E10value_typeET2_T3_PNSL_ISQ_E10value_typeET4_jRbjT5_SW_jjP12ihipStream_tbEUlT_E2_NS1_11comp_targetILNS1_3genE2ELNS1_11target_archE906ELNS1_3gpuE6ELNS1_3repE0EEENS1_30default_config_static_selectorELNS0_4arch9wavefront6targetE0EEEvSK_,comdat
.Lfunc_end1042:
	.size	_ZN7rocprim17ROCPRIM_400000_NS6detail17trampoline_kernelINS0_14default_configENS1_36segmented_radix_sort_config_selectorIslEEZNS1_25segmented_radix_sort_implIS3_Lb0EPKsPsPKlPlN2at6native12_GLOBAL__N_18offset_tEEE10hipError_tPvRmT1_PNSt15iterator_traitsISK_E10value_typeET2_T3_PNSL_ISQ_E10value_typeET4_jRbjT5_SW_jjP12ihipStream_tbEUlT_E2_NS1_11comp_targetILNS1_3genE2ELNS1_11target_archE906ELNS1_3gpuE6ELNS1_3repE0EEENS1_30default_config_static_selectorELNS0_4arch9wavefront6targetE0EEEvSK_, .Lfunc_end1042-_ZN7rocprim17ROCPRIM_400000_NS6detail17trampoline_kernelINS0_14default_configENS1_36segmented_radix_sort_config_selectorIslEEZNS1_25segmented_radix_sort_implIS3_Lb0EPKsPsPKlPlN2at6native12_GLOBAL__N_18offset_tEEE10hipError_tPvRmT1_PNSt15iterator_traitsISK_E10value_typeET2_T3_PNSL_ISQ_E10value_typeET4_jRbjT5_SW_jjP12ihipStream_tbEUlT_E2_NS1_11comp_targetILNS1_3genE2ELNS1_11target_archE906ELNS1_3gpuE6ELNS1_3repE0EEENS1_30default_config_static_selectorELNS0_4arch9wavefront6targetE0EEEvSK_
                                        ; -- End function
	.set _ZN7rocprim17ROCPRIM_400000_NS6detail17trampoline_kernelINS0_14default_configENS1_36segmented_radix_sort_config_selectorIslEEZNS1_25segmented_radix_sort_implIS3_Lb0EPKsPsPKlPlN2at6native12_GLOBAL__N_18offset_tEEE10hipError_tPvRmT1_PNSt15iterator_traitsISK_E10value_typeET2_T3_PNSL_ISQ_E10value_typeET4_jRbjT5_SW_jjP12ihipStream_tbEUlT_E2_NS1_11comp_targetILNS1_3genE2ELNS1_11target_archE906ELNS1_3gpuE6ELNS1_3repE0EEENS1_30default_config_static_selectorELNS0_4arch9wavefront6targetE0EEEvSK_.num_vgpr, 0
	.set _ZN7rocprim17ROCPRIM_400000_NS6detail17trampoline_kernelINS0_14default_configENS1_36segmented_radix_sort_config_selectorIslEEZNS1_25segmented_radix_sort_implIS3_Lb0EPKsPsPKlPlN2at6native12_GLOBAL__N_18offset_tEEE10hipError_tPvRmT1_PNSt15iterator_traitsISK_E10value_typeET2_T3_PNSL_ISQ_E10value_typeET4_jRbjT5_SW_jjP12ihipStream_tbEUlT_E2_NS1_11comp_targetILNS1_3genE2ELNS1_11target_archE906ELNS1_3gpuE6ELNS1_3repE0EEENS1_30default_config_static_selectorELNS0_4arch9wavefront6targetE0EEEvSK_.num_agpr, 0
	.set _ZN7rocprim17ROCPRIM_400000_NS6detail17trampoline_kernelINS0_14default_configENS1_36segmented_radix_sort_config_selectorIslEEZNS1_25segmented_radix_sort_implIS3_Lb0EPKsPsPKlPlN2at6native12_GLOBAL__N_18offset_tEEE10hipError_tPvRmT1_PNSt15iterator_traitsISK_E10value_typeET2_T3_PNSL_ISQ_E10value_typeET4_jRbjT5_SW_jjP12ihipStream_tbEUlT_E2_NS1_11comp_targetILNS1_3genE2ELNS1_11target_archE906ELNS1_3gpuE6ELNS1_3repE0EEENS1_30default_config_static_selectorELNS0_4arch9wavefront6targetE0EEEvSK_.numbered_sgpr, 0
	.set _ZN7rocprim17ROCPRIM_400000_NS6detail17trampoline_kernelINS0_14default_configENS1_36segmented_radix_sort_config_selectorIslEEZNS1_25segmented_radix_sort_implIS3_Lb0EPKsPsPKlPlN2at6native12_GLOBAL__N_18offset_tEEE10hipError_tPvRmT1_PNSt15iterator_traitsISK_E10value_typeET2_T3_PNSL_ISQ_E10value_typeET4_jRbjT5_SW_jjP12ihipStream_tbEUlT_E2_NS1_11comp_targetILNS1_3genE2ELNS1_11target_archE906ELNS1_3gpuE6ELNS1_3repE0EEENS1_30default_config_static_selectorELNS0_4arch9wavefront6targetE0EEEvSK_.num_named_barrier, 0
	.set _ZN7rocprim17ROCPRIM_400000_NS6detail17trampoline_kernelINS0_14default_configENS1_36segmented_radix_sort_config_selectorIslEEZNS1_25segmented_radix_sort_implIS3_Lb0EPKsPsPKlPlN2at6native12_GLOBAL__N_18offset_tEEE10hipError_tPvRmT1_PNSt15iterator_traitsISK_E10value_typeET2_T3_PNSL_ISQ_E10value_typeET4_jRbjT5_SW_jjP12ihipStream_tbEUlT_E2_NS1_11comp_targetILNS1_3genE2ELNS1_11target_archE906ELNS1_3gpuE6ELNS1_3repE0EEENS1_30default_config_static_selectorELNS0_4arch9wavefront6targetE0EEEvSK_.private_seg_size, 0
	.set _ZN7rocprim17ROCPRIM_400000_NS6detail17trampoline_kernelINS0_14default_configENS1_36segmented_radix_sort_config_selectorIslEEZNS1_25segmented_radix_sort_implIS3_Lb0EPKsPsPKlPlN2at6native12_GLOBAL__N_18offset_tEEE10hipError_tPvRmT1_PNSt15iterator_traitsISK_E10value_typeET2_T3_PNSL_ISQ_E10value_typeET4_jRbjT5_SW_jjP12ihipStream_tbEUlT_E2_NS1_11comp_targetILNS1_3genE2ELNS1_11target_archE906ELNS1_3gpuE6ELNS1_3repE0EEENS1_30default_config_static_selectorELNS0_4arch9wavefront6targetE0EEEvSK_.uses_vcc, 0
	.set _ZN7rocprim17ROCPRIM_400000_NS6detail17trampoline_kernelINS0_14default_configENS1_36segmented_radix_sort_config_selectorIslEEZNS1_25segmented_radix_sort_implIS3_Lb0EPKsPsPKlPlN2at6native12_GLOBAL__N_18offset_tEEE10hipError_tPvRmT1_PNSt15iterator_traitsISK_E10value_typeET2_T3_PNSL_ISQ_E10value_typeET4_jRbjT5_SW_jjP12ihipStream_tbEUlT_E2_NS1_11comp_targetILNS1_3genE2ELNS1_11target_archE906ELNS1_3gpuE6ELNS1_3repE0EEENS1_30default_config_static_selectorELNS0_4arch9wavefront6targetE0EEEvSK_.uses_flat_scratch, 0
	.set _ZN7rocprim17ROCPRIM_400000_NS6detail17trampoline_kernelINS0_14default_configENS1_36segmented_radix_sort_config_selectorIslEEZNS1_25segmented_radix_sort_implIS3_Lb0EPKsPsPKlPlN2at6native12_GLOBAL__N_18offset_tEEE10hipError_tPvRmT1_PNSt15iterator_traitsISK_E10value_typeET2_T3_PNSL_ISQ_E10value_typeET4_jRbjT5_SW_jjP12ihipStream_tbEUlT_E2_NS1_11comp_targetILNS1_3genE2ELNS1_11target_archE906ELNS1_3gpuE6ELNS1_3repE0EEENS1_30default_config_static_selectorELNS0_4arch9wavefront6targetE0EEEvSK_.has_dyn_sized_stack, 0
	.set _ZN7rocprim17ROCPRIM_400000_NS6detail17trampoline_kernelINS0_14default_configENS1_36segmented_radix_sort_config_selectorIslEEZNS1_25segmented_radix_sort_implIS3_Lb0EPKsPsPKlPlN2at6native12_GLOBAL__N_18offset_tEEE10hipError_tPvRmT1_PNSt15iterator_traitsISK_E10value_typeET2_T3_PNSL_ISQ_E10value_typeET4_jRbjT5_SW_jjP12ihipStream_tbEUlT_E2_NS1_11comp_targetILNS1_3genE2ELNS1_11target_archE906ELNS1_3gpuE6ELNS1_3repE0EEENS1_30default_config_static_selectorELNS0_4arch9wavefront6targetE0EEEvSK_.has_recursion, 0
	.set _ZN7rocprim17ROCPRIM_400000_NS6detail17trampoline_kernelINS0_14default_configENS1_36segmented_radix_sort_config_selectorIslEEZNS1_25segmented_radix_sort_implIS3_Lb0EPKsPsPKlPlN2at6native12_GLOBAL__N_18offset_tEEE10hipError_tPvRmT1_PNSt15iterator_traitsISK_E10value_typeET2_T3_PNSL_ISQ_E10value_typeET4_jRbjT5_SW_jjP12ihipStream_tbEUlT_E2_NS1_11comp_targetILNS1_3genE2ELNS1_11target_archE906ELNS1_3gpuE6ELNS1_3repE0EEENS1_30default_config_static_selectorELNS0_4arch9wavefront6targetE0EEEvSK_.has_indirect_call, 0
	.section	.AMDGPU.csdata,"",@progbits
; Kernel info:
; codeLenInByte = 0
; TotalNumSgprs: 0
; NumVgprs: 0
; ScratchSize: 0
; MemoryBound: 0
; FloatMode: 240
; IeeeMode: 1
; LDSByteSize: 0 bytes/workgroup (compile time only)
; SGPRBlocks: 0
; VGPRBlocks: 0
; NumSGPRsForWavesPerEU: 1
; NumVGPRsForWavesPerEU: 1
; NamedBarCnt: 0
; Occupancy: 16
; WaveLimiterHint : 0
; COMPUTE_PGM_RSRC2:SCRATCH_EN: 0
; COMPUTE_PGM_RSRC2:USER_SGPR: 2
; COMPUTE_PGM_RSRC2:TRAP_HANDLER: 0
; COMPUTE_PGM_RSRC2:TGID_X_EN: 1
; COMPUTE_PGM_RSRC2:TGID_Y_EN: 0
; COMPUTE_PGM_RSRC2:TGID_Z_EN: 0
; COMPUTE_PGM_RSRC2:TIDIG_COMP_CNT: 0
	.section	.text._ZN7rocprim17ROCPRIM_400000_NS6detail17trampoline_kernelINS0_14default_configENS1_36segmented_radix_sort_config_selectorIslEEZNS1_25segmented_radix_sort_implIS3_Lb0EPKsPsPKlPlN2at6native12_GLOBAL__N_18offset_tEEE10hipError_tPvRmT1_PNSt15iterator_traitsISK_E10value_typeET2_T3_PNSL_ISQ_E10value_typeET4_jRbjT5_SW_jjP12ihipStream_tbEUlT_E2_NS1_11comp_targetILNS1_3genE10ELNS1_11target_archE1201ELNS1_3gpuE5ELNS1_3repE0EEENS1_30default_config_static_selectorELNS0_4arch9wavefront6targetE0EEEvSK_,"axG",@progbits,_ZN7rocprim17ROCPRIM_400000_NS6detail17trampoline_kernelINS0_14default_configENS1_36segmented_radix_sort_config_selectorIslEEZNS1_25segmented_radix_sort_implIS3_Lb0EPKsPsPKlPlN2at6native12_GLOBAL__N_18offset_tEEE10hipError_tPvRmT1_PNSt15iterator_traitsISK_E10value_typeET2_T3_PNSL_ISQ_E10value_typeET4_jRbjT5_SW_jjP12ihipStream_tbEUlT_E2_NS1_11comp_targetILNS1_3genE10ELNS1_11target_archE1201ELNS1_3gpuE5ELNS1_3repE0EEENS1_30default_config_static_selectorELNS0_4arch9wavefront6targetE0EEEvSK_,comdat
	.globl	_ZN7rocprim17ROCPRIM_400000_NS6detail17trampoline_kernelINS0_14default_configENS1_36segmented_radix_sort_config_selectorIslEEZNS1_25segmented_radix_sort_implIS3_Lb0EPKsPsPKlPlN2at6native12_GLOBAL__N_18offset_tEEE10hipError_tPvRmT1_PNSt15iterator_traitsISK_E10value_typeET2_T3_PNSL_ISQ_E10value_typeET4_jRbjT5_SW_jjP12ihipStream_tbEUlT_E2_NS1_11comp_targetILNS1_3genE10ELNS1_11target_archE1201ELNS1_3gpuE5ELNS1_3repE0EEENS1_30default_config_static_selectorELNS0_4arch9wavefront6targetE0EEEvSK_ ; -- Begin function _ZN7rocprim17ROCPRIM_400000_NS6detail17trampoline_kernelINS0_14default_configENS1_36segmented_radix_sort_config_selectorIslEEZNS1_25segmented_radix_sort_implIS3_Lb0EPKsPsPKlPlN2at6native12_GLOBAL__N_18offset_tEEE10hipError_tPvRmT1_PNSt15iterator_traitsISK_E10value_typeET2_T3_PNSL_ISQ_E10value_typeET4_jRbjT5_SW_jjP12ihipStream_tbEUlT_E2_NS1_11comp_targetILNS1_3genE10ELNS1_11target_archE1201ELNS1_3gpuE5ELNS1_3repE0EEENS1_30default_config_static_selectorELNS0_4arch9wavefront6targetE0EEEvSK_
	.p2align	8
	.type	_ZN7rocprim17ROCPRIM_400000_NS6detail17trampoline_kernelINS0_14default_configENS1_36segmented_radix_sort_config_selectorIslEEZNS1_25segmented_radix_sort_implIS3_Lb0EPKsPsPKlPlN2at6native12_GLOBAL__N_18offset_tEEE10hipError_tPvRmT1_PNSt15iterator_traitsISK_E10value_typeET2_T3_PNSL_ISQ_E10value_typeET4_jRbjT5_SW_jjP12ihipStream_tbEUlT_E2_NS1_11comp_targetILNS1_3genE10ELNS1_11target_archE1201ELNS1_3gpuE5ELNS1_3repE0EEENS1_30default_config_static_selectorELNS0_4arch9wavefront6targetE0EEEvSK_,@function
_ZN7rocprim17ROCPRIM_400000_NS6detail17trampoline_kernelINS0_14default_configENS1_36segmented_radix_sort_config_selectorIslEEZNS1_25segmented_radix_sort_implIS3_Lb0EPKsPsPKlPlN2at6native12_GLOBAL__N_18offset_tEEE10hipError_tPvRmT1_PNSt15iterator_traitsISK_E10value_typeET2_T3_PNSL_ISQ_E10value_typeET4_jRbjT5_SW_jjP12ihipStream_tbEUlT_E2_NS1_11comp_targetILNS1_3genE10ELNS1_11target_archE1201ELNS1_3gpuE5ELNS1_3repE0EEENS1_30default_config_static_selectorELNS0_4arch9wavefront6targetE0EEEvSK_: ; @_ZN7rocprim17ROCPRIM_400000_NS6detail17trampoline_kernelINS0_14default_configENS1_36segmented_radix_sort_config_selectorIslEEZNS1_25segmented_radix_sort_implIS3_Lb0EPKsPsPKlPlN2at6native12_GLOBAL__N_18offset_tEEE10hipError_tPvRmT1_PNSt15iterator_traitsISK_E10value_typeET2_T3_PNSL_ISQ_E10value_typeET4_jRbjT5_SW_jjP12ihipStream_tbEUlT_E2_NS1_11comp_targetILNS1_3genE10ELNS1_11target_archE1201ELNS1_3gpuE5ELNS1_3repE0EEENS1_30default_config_static_selectorELNS0_4arch9wavefront6targetE0EEEvSK_
; %bb.0:
	.section	.rodata,"a",@progbits
	.p2align	6, 0x0
	.amdhsa_kernel _ZN7rocprim17ROCPRIM_400000_NS6detail17trampoline_kernelINS0_14default_configENS1_36segmented_radix_sort_config_selectorIslEEZNS1_25segmented_radix_sort_implIS3_Lb0EPKsPsPKlPlN2at6native12_GLOBAL__N_18offset_tEEE10hipError_tPvRmT1_PNSt15iterator_traitsISK_E10value_typeET2_T3_PNSL_ISQ_E10value_typeET4_jRbjT5_SW_jjP12ihipStream_tbEUlT_E2_NS1_11comp_targetILNS1_3genE10ELNS1_11target_archE1201ELNS1_3gpuE5ELNS1_3repE0EEENS1_30default_config_static_selectorELNS0_4arch9wavefront6targetE0EEEvSK_
		.amdhsa_group_segment_fixed_size 0
		.amdhsa_private_segment_fixed_size 0
		.amdhsa_kernarg_size 80
		.amdhsa_user_sgpr_count 2
		.amdhsa_user_sgpr_dispatch_ptr 0
		.amdhsa_user_sgpr_queue_ptr 0
		.amdhsa_user_sgpr_kernarg_segment_ptr 1
		.amdhsa_user_sgpr_dispatch_id 0
		.amdhsa_user_sgpr_kernarg_preload_length 0
		.amdhsa_user_sgpr_kernarg_preload_offset 0
		.amdhsa_user_sgpr_private_segment_size 0
		.amdhsa_wavefront_size32 1
		.amdhsa_uses_dynamic_stack 0
		.amdhsa_enable_private_segment 0
		.amdhsa_system_sgpr_workgroup_id_x 1
		.amdhsa_system_sgpr_workgroup_id_y 0
		.amdhsa_system_sgpr_workgroup_id_z 0
		.amdhsa_system_sgpr_workgroup_info 0
		.amdhsa_system_vgpr_workitem_id 0
		.amdhsa_next_free_vgpr 1
		.amdhsa_next_free_sgpr 1
		.amdhsa_named_barrier_count 0
		.amdhsa_reserve_vcc 0
		.amdhsa_float_round_mode_32 0
		.amdhsa_float_round_mode_16_64 0
		.amdhsa_float_denorm_mode_32 3
		.amdhsa_float_denorm_mode_16_64 3
		.amdhsa_fp16_overflow 0
		.amdhsa_memory_ordered 1
		.amdhsa_forward_progress 1
		.amdhsa_inst_pref_size 0
		.amdhsa_round_robin_scheduling 0
		.amdhsa_exception_fp_ieee_invalid_op 0
		.amdhsa_exception_fp_denorm_src 0
		.amdhsa_exception_fp_ieee_div_zero 0
		.amdhsa_exception_fp_ieee_overflow 0
		.amdhsa_exception_fp_ieee_underflow 0
		.amdhsa_exception_fp_ieee_inexact 0
		.amdhsa_exception_int_div_zero 0
	.end_amdhsa_kernel
	.section	.text._ZN7rocprim17ROCPRIM_400000_NS6detail17trampoline_kernelINS0_14default_configENS1_36segmented_radix_sort_config_selectorIslEEZNS1_25segmented_radix_sort_implIS3_Lb0EPKsPsPKlPlN2at6native12_GLOBAL__N_18offset_tEEE10hipError_tPvRmT1_PNSt15iterator_traitsISK_E10value_typeET2_T3_PNSL_ISQ_E10value_typeET4_jRbjT5_SW_jjP12ihipStream_tbEUlT_E2_NS1_11comp_targetILNS1_3genE10ELNS1_11target_archE1201ELNS1_3gpuE5ELNS1_3repE0EEENS1_30default_config_static_selectorELNS0_4arch9wavefront6targetE0EEEvSK_,"axG",@progbits,_ZN7rocprim17ROCPRIM_400000_NS6detail17trampoline_kernelINS0_14default_configENS1_36segmented_radix_sort_config_selectorIslEEZNS1_25segmented_radix_sort_implIS3_Lb0EPKsPsPKlPlN2at6native12_GLOBAL__N_18offset_tEEE10hipError_tPvRmT1_PNSt15iterator_traitsISK_E10value_typeET2_T3_PNSL_ISQ_E10value_typeET4_jRbjT5_SW_jjP12ihipStream_tbEUlT_E2_NS1_11comp_targetILNS1_3genE10ELNS1_11target_archE1201ELNS1_3gpuE5ELNS1_3repE0EEENS1_30default_config_static_selectorELNS0_4arch9wavefront6targetE0EEEvSK_,comdat
.Lfunc_end1043:
	.size	_ZN7rocprim17ROCPRIM_400000_NS6detail17trampoline_kernelINS0_14default_configENS1_36segmented_radix_sort_config_selectorIslEEZNS1_25segmented_radix_sort_implIS3_Lb0EPKsPsPKlPlN2at6native12_GLOBAL__N_18offset_tEEE10hipError_tPvRmT1_PNSt15iterator_traitsISK_E10value_typeET2_T3_PNSL_ISQ_E10value_typeET4_jRbjT5_SW_jjP12ihipStream_tbEUlT_E2_NS1_11comp_targetILNS1_3genE10ELNS1_11target_archE1201ELNS1_3gpuE5ELNS1_3repE0EEENS1_30default_config_static_selectorELNS0_4arch9wavefront6targetE0EEEvSK_, .Lfunc_end1043-_ZN7rocprim17ROCPRIM_400000_NS6detail17trampoline_kernelINS0_14default_configENS1_36segmented_radix_sort_config_selectorIslEEZNS1_25segmented_radix_sort_implIS3_Lb0EPKsPsPKlPlN2at6native12_GLOBAL__N_18offset_tEEE10hipError_tPvRmT1_PNSt15iterator_traitsISK_E10value_typeET2_T3_PNSL_ISQ_E10value_typeET4_jRbjT5_SW_jjP12ihipStream_tbEUlT_E2_NS1_11comp_targetILNS1_3genE10ELNS1_11target_archE1201ELNS1_3gpuE5ELNS1_3repE0EEENS1_30default_config_static_selectorELNS0_4arch9wavefront6targetE0EEEvSK_
                                        ; -- End function
	.set _ZN7rocprim17ROCPRIM_400000_NS6detail17trampoline_kernelINS0_14default_configENS1_36segmented_radix_sort_config_selectorIslEEZNS1_25segmented_radix_sort_implIS3_Lb0EPKsPsPKlPlN2at6native12_GLOBAL__N_18offset_tEEE10hipError_tPvRmT1_PNSt15iterator_traitsISK_E10value_typeET2_T3_PNSL_ISQ_E10value_typeET4_jRbjT5_SW_jjP12ihipStream_tbEUlT_E2_NS1_11comp_targetILNS1_3genE10ELNS1_11target_archE1201ELNS1_3gpuE5ELNS1_3repE0EEENS1_30default_config_static_selectorELNS0_4arch9wavefront6targetE0EEEvSK_.num_vgpr, 0
	.set _ZN7rocprim17ROCPRIM_400000_NS6detail17trampoline_kernelINS0_14default_configENS1_36segmented_radix_sort_config_selectorIslEEZNS1_25segmented_radix_sort_implIS3_Lb0EPKsPsPKlPlN2at6native12_GLOBAL__N_18offset_tEEE10hipError_tPvRmT1_PNSt15iterator_traitsISK_E10value_typeET2_T3_PNSL_ISQ_E10value_typeET4_jRbjT5_SW_jjP12ihipStream_tbEUlT_E2_NS1_11comp_targetILNS1_3genE10ELNS1_11target_archE1201ELNS1_3gpuE5ELNS1_3repE0EEENS1_30default_config_static_selectorELNS0_4arch9wavefront6targetE0EEEvSK_.num_agpr, 0
	.set _ZN7rocprim17ROCPRIM_400000_NS6detail17trampoline_kernelINS0_14default_configENS1_36segmented_radix_sort_config_selectorIslEEZNS1_25segmented_radix_sort_implIS3_Lb0EPKsPsPKlPlN2at6native12_GLOBAL__N_18offset_tEEE10hipError_tPvRmT1_PNSt15iterator_traitsISK_E10value_typeET2_T3_PNSL_ISQ_E10value_typeET4_jRbjT5_SW_jjP12ihipStream_tbEUlT_E2_NS1_11comp_targetILNS1_3genE10ELNS1_11target_archE1201ELNS1_3gpuE5ELNS1_3repE0EEENS1_30default_config_static_selectorELNS0_4arch9wavefront6targetE0EEEvSK_.numbered_sgpr, 0
	.set _ZN7rocprim17ROCPRIM_400000_NS6detail17trampoline_kernelINS0_14default_configENS1_36segmented_radix_sort_config_selectorIslEEZNS1_25segmented_radix_sort_implIS3_Lb0EPKsPsPKlPlN2at6native12_GLOBAL__N_18offset_tEEE10hipError_tPvRmT1_PNSt15iterator_traitsISK_E10value_typeET2_T3_PNSL_ISQ_E10value_typeET4_jRbjT5_SW_jjP12ihipStream_tbEUlT_E2_NS1_11comp_targetILNS1_3genE10ELNS1_11target_archE1201ELNS1_3gpuE5ELNS1_3repE0EEENS1_30default_config_static_selectorELNS0_4arch9wavefront6targetE0EEEvSK_.num_named_barrier, 0
	.set _ZN7rocprim17ROCPRIM_400000_NS6detail17trampoline_kernelINS0_14default_configENS1_36segmented_radix_sort_config_selectorIslEEZNS1_25segmented_radix_sort_implIS3_Lb0EPKsPsPKlPlN2at6native12_GLOBAL__N_18offset_tEEE10hipError_tPvRmT1_PNSt15iterator_traitsISK_E10value_typeET2_T3_PNSL_ISQ_E10value_typeET4_jRbjT5_SW_jjP12ihipStream_tbEUlT_E2_NS1_11comp_targetILNS1_3genE10ELNS1_11target_archE1201ELNS1_3gpuE5ELNS1_3repE0EEENS1_30default_config_static_selectorELNS0_4arch9wavefront6targetE0EEEvSK_.private_seg_size, 0
	.set _ZN7rocprim17ROCPRIM_400000_NS6detail17trampoline_kernelINS0_14default_configENS1_36segmented_radix_sort_config_selectorIslEEZNS1_25segmented_radix_sort_implIS3_Lb0EPKsPsPKlPlN2at6native12_GLOBAL__N_18offset_tEEE10hipError_tPvRmT1_PNSt15iterator_traitsISK_E10value_typeET2_T3_PNSL_ISQ_E10value_typeET4_jRbjT5_SW_jjP12ihipStream_tbEUlT_E2_NS1_11comp_targetILNS1_3genE10ELNS1_11target_archE1201ELNS1_3gpuE5ELNS1_3repE0EEENS1_30default_config_static_selectorELNS0_4arch9wavefront6targetE0EEEvSK_.uses_vcc, 0
	.set _ZN7rocprim17ROCPRIM_400000_NS6detail17trampoline_kernelINS0_14default_configENS1_36segmented_radix_sort_config_selectorIslEEZNS1_25segmented_radix_sort_implIS3_Lb0EPKsPsPKlPlN2at6native12_GLOBAL__N_18offset_tEEE10hipError_tPvRmT1_PNSt15iterator_traitsISK_E10value_typeET2_T3_PNSL_ISQ_E10value_typeET4_jRbjT5_SW_jjP12ihipStream_tbEUlT_E2_NS1_11comp_targetILNS1_3genE10ELNS1_11target_archE1201ELNS1_3gpuE5ELNS1_3repE0EEENS1_30default_config_static_selectorELNS0_4arch9wavefront6targetE0EEEvSK_.uses_flat_scratch, 0
	.set _ZN7rocprim17ROCPRIM_400000_NS6detail17trampoline_kernelINS0_14default_configENS1_36segmented_radix_sort_config_selectorIslEEZNS1_25segmented_radix_sort_implIS3_Lb0EPKsPsPKlPlN2at6native12_GLOBAL__N_18offset_tEEE10hipError_tPvRmT1_PNSt15iterator_traitsISK_E10value_typeET2_T3_PNSL_ISQ_E10value_typeET4_jRbjT5_SW_jjP12ihipStream_tbEUlT_E2_NS1_11comp_targetILNS1_3genE10ELNS1_11target_archE1201ELNS1_3gpuE5ELNS1_3repE0EEENS1_30default_config_static_selectorELNS0_4arch9wavefront6targetE0EEEvSK_.has_dyn_sized_stack, 0
	.set _ZN7rocprim17ROCPRIM_400000_NS6detail17trampoline_kernelINS0_14default_configENS1_36segmented_radix_sort_config_selectorIslEEZNS1_25segmented_radix_sort_implIS3_Lb0EPKsPsPKlPlN2at6native12_GLOBAL__N_18offset_tEEE10hipError_tPvRmT1_PNSt15iterator_traitsISK_E10value_typeET2_T3_PNSL_ISQ_E10value_typeET4_jRbjT5_SW_jjP12ihipStream_tbEUlT_E2_NS1_11comp_targetILNS1_3genE10ELNS1_11target_archE1201ELNS1_3gpuE5ELNS1_3repE0EEENS1_30default_config_static_selectorELNS0_4arch9wavefront6targetE0EEEvSK_.has_recursion, 0
	.set _ZN7rocprim17ROCPRIM_400000_NS6detail17trampoline_kernelINS0_14default_configENS1_36segmented_radix_sort_config_selectorIslEEZNS1_25segmented_radix_sort_implIS3_Lb0EPKsPsPKlPlN2at6native12_GLOBAL__N_18offset_tEEE10hipError_tPvRmT1_PNSt15iterator_traitsISK_E10value_typeET2_T3_PNSL_ISQ_E10value_typeET4_jRbjT5_SW_jjP12ihipStream_tbEUlT_E2_NS1_11comp_targetILNS1_3genE10ELNS1_11target_archE1201ELNS1_3gpuE5ELNS1_3repE0EEENS1_30default_config_static_selectorELNS0_4arch9wavefront6targetE0EEEvSK_.has_indirect_call, 0
	.section	.AMDGPU.csdata,"",@progbits
; Kernel info:
; codeLenInByte = 0
; TotalNumSgprs: 0
; NumVgprs: 0
; ScratchSize: 0
; MemoryBound: 0
; FloatMode: 240
; IeeeMode: 1
; LDSByteSize: 0 bytes/workgroup (compile time only)
; SGPRBlocks: 0
; VGPRBlocks: 0
; NumSGPRsForWavesPerEU: 1
; NumVGPRsForWavesPerEU: 1
; NamedBarCnt: 0
; Occupancy: 16
; WaveLimiterHint : 0
; COMPUTE_PGM_RSRC2:SCRATCH_EN: 0
; COMPUTE_PGM_RSRC2:USER_SGPR: 2
; COMPUTE_PGM_RSRC2:TRAP_HANDLER: 0
; COMPUTE_PGM_RSRC2:TGID_X_EN: 1
; COMPUTE_PGM_RSRC2:TGID_Y_EN: 0
; COMPUTE_PGM_RSRC2:TGID_Z_EN: 0
; COMPUTE_PGM_RSRC2:TIDIG_COMP_CNT: 0
	.section	.text._ZN7rocprim17ROCPRIM_400000_NS6detail17trampoline_kernelINS0_14default_configENS1_36segmented_radix_sort_config_selectorIslEEZNS1_25segmented_radix_sort_implIS3_Lb0EPKsPsPKlPlN2at6native12_GLOBAL__N_18offset_tEEE10hipError_tPvRmT1_PNSt15iterator_traitsISK_E10value_typeET2_T3_PNSL_ISQ_E10value_typeET4_jRbjT5_SW_jjP12ihipStream_tbEUlT_E2_NS1_11comp_targetILNS1_3genE10ELNS1_11target_archE1200ELNS1_3gpuE4ELNS1_3repE0EEENS1_30default_config_static_selectorELNS0_4arch9wavefront6targetE0EEEvSK_,"axG",@progbits,_ZN7rocprim17ROCPRIM_400000_NS6detail17trampoline_kernelINS0_14default_configENS1_36segmented_radix_sort_config_selectorIslEEZNS1_25segmented_radix_sort_implIS3_Lb0EPKsPsPKlPlN2at6native12_GLOBAL__N_18offset_tEEE10hipError_tPvRmT1_PNSt15iterator_traitsISK_E10value_typeET2_T3_PNSL_ISQ_E10value_typeET4_jRbjT5_SW_jjP12ihipStream_tbEUlT_E2_NS1_11comp_targetILNS1_3genE10ELNS1_11target_archE1200ELNS1_3gpuE4ELNS1_3repE0EEENS1_30default_config_static_selectorELNS0_4arch9wavefront6targetE0EEEvSK_,comdat
	.globl	_ZN7rocprim17ROCPRIM_400000_NS6detail17trampoline_kernelINS0_14default_configENS1_36segmented_radix_sort_config_selectorIslEEZNS1_25segmented_radix_sort_implIS3_Lb0EPKsPsPKlPlN2at6native12_GLOBAL__N_18offset_tEEE10hipError_tPvRmT1_PNSt15iterator_traitsISK_E10value_typeET2_T3_PNSL_ISQ_E10value_typeET4_jRbjT5_SW_jjP12ihipStream_tbEUlT_E2_NS1_11comp_targetILNS1_3genE10ELNS1_11target_archE1200ELNS1_3gpuE4ELNS1_3repE0EEENS1_30default_config_static_selectorELNS0_4arch9wavefront6targetE0EEEvSK_ ; -- Begin function _ZN7rocprim17ROCPRIM_400000_NS6detail17trampoline_kernelINS0_14default_configENS1_36segmented_radix_sort_config_selectorIslEEZNS1_25segmented_radix_sort_implIS3_Lb0EPKsPsPKlPlN2at6native12_GLOBAL__N_18offset_tEEE10hipError_tPvRmT1_PNSt15iterator_traitsISK_E10value_typeET2_T3_PNSL_ISQ_E10value_typeET4_jRbjT5_SW_jjP12ihipStream_tbEUlT_E2_NS1_11comp_targetILNS1_3genE10ELNS1_11target_archE1200ELNS1_3gpuE4ELNS1_3repE0EEENS1_30default_config_static_selectorELNS0_4arch9wavefront6targetE0EEEvSK_
	.p2align	8
	.type	_ZN7rocprim17ROCPRIM_400000_NS6detail17trampoline_kernelINS0_14default_configENS1_36segmented_radix_sort_config_selectorIslEEZNS1_25segmented_radix_sort_implIS3_Lb0EPKsPsPKlPlN2at6native12_GLOBAL__N_18offset_tEEE10hipError_tPvRmT1_PNSt15iterator_traitsISK_E10value_typeET2_T3_PNSL_ISQ_E10value_typeET4_jRbjT5_SW_jjP12ihipStream_tbEUlT_E2_NS1_11comp_targetILNS1_3genE10ELNS1_11target_archE1200ELNS1_3gpuE4ELNS1_3repE0EEENS1_30default_config_static_selectorELNS0_4arch9wavefront6targetE0EEEvSK_,@function
_ZN7rocprim17ROCPRIM_400000_NS6detail17trampoline_kernelINS0_14default_configENS1_36segmented_radix_sort_config_selectorIslEEZNS1_25segmented_radix_sort_implIS3_Lb0EPKsPsPKlPlN2at6native12_GLOBAL__N_18offset_tEEE10hipError_tPvRmT1_PNSt15iterator_traitsISK_E10value_typeET2_T3_PNSL_ISQ_E10value_typeET4_jRbjT5_SW_jjP12ihipStream_tbEUlT_E2_NS1_11comp_targetILNS1_3genE10ELNS1_11target_archE1200ELNS1_3gpuE4ELNS1_3repE0EEENS1_30default_config_static_selectorELNS0_4arch9wavefront6targetE0EEEvSK_: ; @_ZN7rocprim17ROCPRIM_400000_NS6detail17trampoline_kernelINS0_14default_configENS1_36segmented_radix_sort_config_selectorIslEEZNS1_25segmented_radix_sort_implIS3_Lb0EPKsPsPKlPlN2at6native12_GLOBAL__N_18offset_tEEE10hipError_tPvRmT1_PNSt15iterator_traitsISK_E10value_typeET2_T3_PNSL_ISQ_E10value_typeET4_jRbjT5_SW_jjP12ihipStream_tbEUlT_E2_NS1_11comp_targetILNS1_3genE10ELNS1_11target_archE1200ELNS1_3gpuE4ELNS1_3repE0EEENS1_30default_config_static_selectorELNS0_4arch9wavefront6targetE0EEEvSK_
; %bb.0:
	.section	.rodata,"a",@progbits
	.p2align	6, 0x0
	.amdhsa_kernel _ZN7rocprim17ROCPRIM_400000_NS6detail17trampoline_kernelINS0_14default_configENS1_36segmented_radix_sort_config_selectorIslEEZNS1_25segmented_radix_sort_implIS3_Lb0EPKsPsPKlPlN2at6native12_GLOBAL__N_18offset_tEEE10hipError_tPvRmT1_PNSt15iterator_traitsISK_E10value_typeET2_T3_PNSL_ISQ_E10value_typeET4_jRbjT5_SW_jjP12ihipStream_tbEUlT_E2_NS1_11comp_targetILNS1_3genE10ELNS1_11target_archE1200ELNS1_3gpuE4ELNS1_3repE0EEENS1_30default_config_static_selectorELNS0_4arch9wavefront6targetE0EEEvSK_
		.amdhsa_group_segment_fixed_size 0
		.amdhsa_private_segment_fixed_size 0
		.amdhsa_kernarg_size 80
		.amdhsa_user_sgpr_count 2
		.amdhsa_user_sgpr_dispatch_ptr 0
		.amdhsa_user_sgpr_queue_ptr 0
		.amdhsa_user_sgpr_kernarg_segment_ptr 1
		.amdhsa_user_sgpr_dispatch_id 0
		.amdhsa_user_sgpr_kernarg_preload_length 0
		.amdhsa_user_sgpr_kernarg_preload_offset 0
		.amdhsa_user_sgpr_private_segment_size 0
		.amdhsa_wavefront_size32 1
		.amdhsa_uses_dynamic_stack 0
		.amdhsa_enable_private_segment 0
		.amdhsa_system_sgpr_workgroup_id_x 1
		.amdhsa_system_sgpr_workgroup_id_y 0
		.amdhsa_system_sgpr_workgroup_id_z 0
		.amdhsa_system_sgpr_workgroup_info 0
		.amdhsa_system_vgpr_workitem_id 0
		.amdhsa_next_free_vgpr 1
		.amdhsa_next_free_sgpr 1
		.amdhsa_named_barrier_count 0
		.amdhsa_reserve_vcc 0
		.amdhsa_float_round_mode_32 0
		.amdhsa_float_round_mode_16_64 0
		.amdhsa_float_denorm_mode_32 3
		.amdhsa_float_denorm_mode_16_64 3
		.amdhsa_fp16_overflow 0
		.amdhsa_memory_ordered 1
		.amdhsa_forward_progress 1
		.amdhsa_inst_pref_size 0
		.amdhsa_round_robin_scheduling 0
		.amdhsa_exception_fp_ieee_invalid_op 0
		.amdhsa_exception_fp_denorm_src 0
		.amdhsa_exception_fp_ieee_div_zero 0
		.amdhsa_exception_fp_ieee_overflow 0
		.amdhsa_exception_fp_ieee_underflow 0
		.amdhsa_exception_fp_ieee_inexact 0
		.amdhsa_exception_int_div_zero 0
	.end_amdhsa_kernel
	.section	.text._ZN7rocprim17ROCPRIM_400000_NS6detail17trampoline_kernelINS0_14default_configENS1_36segmented_radix_sort_config_selectorIslEEZNS1_25segmented_radix_sort_implIS3_Lb0EPKsPsPKlPlN2at6native12_GLOBAL__N_18offset_tEEE10hipError_tPvRmT1_PNSt15iterator_traitsISK_E10value_typeET2_T3_PNSL_ISQ_E10value_typeET4_jRbjT5_SW_jjP12ihipStream_tbEUlT_E2_NS1_11comp_targetILNS1_3genE10ELNS1_11target_archE1200ELNS1_3gpuE4ELNS1_3repE0EEENS1_30default_config_static_selectorELNS0_4arch9wavefront6targetE0EEEvSK_,"axG",@progbits,_ZN7rocprim17ROCPRIM_400000_NS6detail17trampoline_kernelINS0_14default_configENS1_36segmented_radix_sort_config_selectorIslEEZNS1_25segmented_radix_sort_implIS3_Lb0EPKsPsPKlPlN2at6native12_GLOBAL__N_18offset_tEEE10hipError_tPvRmT1_PNSt15iterator_traitsISK_E10value_typeET2_T3_PNSL_ISQ_E10value_typeET4_jRbjT5_SW_jjP12ihipStream_tbEUlT_E2_NS1_11comp_targetILNS1_3genE10ELNS1_11target_archE1200ELNS1_3gpuE4ELNS1_3repE0EEENS1_30default_config_static_selectorELNS0_4arch9wavefront6targetE0EEEvSK_,comdat
.Lfunc_end1044:
	.size	_ZN7rocprim17ROCPRIM_400000_NS6detail17trampoline_kernelINS0_14default_configENS1_36segmented_radix_sort_config_selectorIslEEZNS1_25segmented_radix_sort_implIS3_Lb0EPKsPsPKlPlN2at6native12_GLOBAL__N_18offset_tEEE10hipError_tPvRmT1_PNSt15iterator_traitsISK_E10value_typeET2_T3_PNSL_ISQ_E10value_typeET4_jRbjT5_SW_jjP12ihipStream_tbEUlT_E2_NS1_11comp_targetILNS1_3genE10ELNS1_11target_archE1200ELNS1_3gpuE4ELNS1_3repE0EEENS1_30default_config_static_selectorELNS0_4arch9wavefront6targetE0EEEvSK_, .Lfunc_end1044-_ZN7rocprim17ROCPRIM_400000_NS6detail17trampoline_kernelINS0_14default_configENS1_36segmented_radix_sort_config_selectorIslEEZNS1_25segmented_radix_sort_implIS3_Lb0EPKsPsPKlPlN2at6native12_GLOBAL__N_18offset_tEEE10hipError_tPvRmT1_PNSt15iterator_traitsISK_E10value_typeET2_T3_PNSL_ISQ_E10value_typeET4_jRbjT5_SW_jjP12ihipStream_tbEUlT_E2_NS1_11comp_targetILNS1_3genE10ELNS1_11target_archE1200ELNS1_3gpuE4ELNS1_3repE0EEENS1_30default_config_static_selectorELNS0_4arch9wavefront6targetE0EEEvSK_
                                        ; -- End function
	.set _ZN7rocprim17ROCPRIM_400000_NS6detail17trampoline_kernelINS0_14default_configENS1_36segmented_radix_sort_config_selectorIslEEZNS1_25segmented_radix_sort_implIS3_Lb0EPKsPsPKlPlN2at6native12_GLOBAL__N_18offset_tEEE10hipError_tPvRmT1_PNSt15iterator_traitsISK_E10value_typeET2_T3_PNSL_ISQ_E10value_typeET4_jRbjT5_SW_jjP12ihipStream_tbEUlT_E2_NS1_11comp_targetILNS1_3genE10ELNS1_11target_archE1200ELNS1_3gpuE4ELNS1_3repE0EEENS1_30default_config_static_selectorELNS0_4arch9wavefront6targetE0EEEvSK_.num_vgpr, 0
	.set _ZN7rocprim17ROCPRIM_400000_NS6detail17trampoline_kernelINS0_14default_configENS1_36segmented_radix_sort_config_selectorIslEEZNS1_25segmented_radix_sort_implIS3_Lb0EPKsPsPKlPlN2at6native12_GLOBAL__N_18offset_tEEE10hipError_tPvRmT1_PNSt15iterator_traitsISK_E10value_typeET2_T3_PNSL_ISQ_E10value_typeET4_jRbjT5_SW_jjP12ihipStream_tbEUlT_E2_NS1_11comp_targetILNS1_3genE10ELNS1_11target_archE1200ELNS1_3gpuE4ELNS1_3repE0EEENS1_30default_config_static_selectorELNS0_4arch9wavefront6targetE0EEEvSK_.num_agpr, 0
	.set _ZN7rocprim17ROCPRIM_400000_NS6detail17trampoline_kernelINS0_14default_configENS1_36segmented_radix_sort_config_selectorIslEEZNS1_25segmented_radix_sort_implIS3_Lb0EPKsPsPKlPlN2at6native12_GLOBAL__N_18offset_tEEE10hipError_tPvRmT1_PNSt15iterator_traitsISK_E10value_typeET2_T3_PNSL_ISQ_E10value_typeET4_jRbjT5_SW_jjP12ihipStream_tbEUlT_E2_NS1_11comp_targetILNS1_3genE10ELNS1_11target_archE1200ELNS1_3gpuE4ELNS1_3repE0EEENS1_30default_config_static_selectorELNS0_4arch9wavefront6targetE0EEEvSK_.numbered_sgpr, 0
	.set _ZN7rocprim17ROCPRIM_400000_NS6detail17trampoline_kernelINS0_14default_configENS1_36segmented_radix_sort_config_selectorIslEEZNS1_25segmented_radix_sort_implIS3_Lb0EPKsPsPKlPlN2at6native12_GLOBAL__N_18offset_tEEE10hipError_tPvRmT1_PNSt15iterator_traitsISK_E10value_typeET2_T3_PNSL_ISQ_E10value_typeET4_jRbjT5_SW_jjP12ihipStream_tbEUlT_E2_NS1_11comp_targetILNS1_3genE10ELNS1_11target_archE1200ELNS1_3gpuE4ELNS1_3repE0EEENS1_30default_config_static_selectorELNS0_4arch9wavefront6targetE0EEEvSK_.num_named_barrier, 0
	.set _ZN7rocprim17ROCPRIM_400000_NS6detail17trampoline_kernelINS0_14default_configENS1_36segmented_radix_sort_config_selectorIslEEZNS1_25segmented_radix_sort_implIS3_Lb0EPKsPsPKlPlN2at6native12_GLOBAL__N_18offset_tEEE10hipError_tPvRmT1_PNSt15iterator_traitsISK_E10value_typeET2_T3_PNSL_ISQ_E10value_typeET4_jRbjT5_SW_jjP12ihipStream_tbEUlT_E2_NS1_11comp_targetILNS1_3genE10ELNS1_11target_archE1200ELNS1_3gpuE4ELNS1_3repE0EEENS1_30default_config_static_selectorELNS0_4arch9wavefront6targetE0EEEvSK_.private_seg_size, 0
	.set _ZN7rocprim17ROCPRIM_400000_NS6detail17trampoline_kernelINS0_14default_configENS1_36segmented_radix_sort_config_selectorIslEEZNS1_25segmented_radix_sort_implIS3_Lb0EPKsPsPKlPlN2at6native12_GLOBAL__N_18offset_tEEE10hipError_tPvRmT1_PNSt15iterator_traitsISK_E10value_typeET2_T3_PNSL_ISQ_E10value_typeET4_jRbjT5_SW_jjP12ihipStream_tbEUlT_E2_NS1_11comp_targetILNS1_3genE10ELNS1_11target_archE1200ELNS1_3gpuE4ELNS1_3repE0EEENS1_30default_config_static_selectorELNS0_4arch9wavefront6targetE0EEEvSK_.uses_vcc, 0
	.set _ZN7rocprim17ROCPRIM_400000_NS6detail17trampoline_kernelINS0_14default_configENS1_36segmented_radix_sort_config_selectorIslEEZNS1_25segmented_radix_sort_implIS3_Lb0EPKsPsPKlPlN2at6native12_GLOBAL__N_18offset_tEEE10hipError_tPvRmT1_PNSt15iterator_traitsISK_E10value_typeET2_T3_PNSL_ISQ_E10value_typeET4_jRbjT5_SW_jjP12ihipStream_tbEUlT_E2_NS1_11comp_targetILNS1_3genE10ELNS1_11target_archE1200ELNS1_3gpuE4ELNS1_3repE0EEENS1_30default_config_static_selectorELNS0_4arch9wavefront6targetE0EEEvSK_.uses_flat_scratch, 0
	.set _ZN7rocprim17ROCPRIM_400000_NS6detail17trampoline_kernelINS0_14default_configENS1_36segmented_radix_sort_config_selectorIslEEZNS1_25segmented_radix_sort_implIS3_Lb0EPKsPsPKlPlN2at6native12_GLOBAL__N_18offset_tEEE10hipError_tPvRmT1_PNSt15iterator_traitsISK_E10value_typeET2_T3_PNSL_ISQ_E10value_typeET4_jRbjT5_SW_jjP12ihipStream_tbEUlT_E2_NS1_11comp_targetILNS1_3genE10ELNS1_11target_archE1200ELNS1_3gpuE4ELNS1_3repE0EEENS1_30default_config_static_selectorELNS0_4arch9wavefront6targetE0EEEvSK_.has_dyn_sized_stack, 0
	.set _ZN7rocprim17ROCPRIM_400000_NS6detail17trampoline_kernelINS0_14default_configENS1_36segmented_radix_sort_config_selectorIslEEZNS1_25segmented_radix_sort_implIS3_Lb0EPKsPsPKlPlN2at6native12_GLOBAL__N_18offset_tEEE10hipError_tPvRmT1_PNSt15iterator_traitsISK_E10value_typeET2_T3_PNSL_ISQ_E10value_typeET4_jRbjT5_SW_jjP12ihipStream_tbEUlT_E2_NS1_11comp_targetILNS1_3genE10ELNS1_11target_archE1200ELNS1_3gpuE4ELNS1_3repE0EEENS1_30default_config_static_selectorELNS0_4arch9wavefront6targetE0EEEvSK_.has_recursion, 0
	.set _ZN7rocprim17ROCPRIM_400000_NS6detail17trampoline_kernelINS0_14default_configENS1_36segmented_radix_sort_config_selectorIslEEZNS1_25segmented_radix_sort_implIS3_Lb0EPKsPsPKlPlN2at6native12_GLOBAL__N_18offset_tEEE10hipError_tPvRmT1_PNSt15iterator_traitsISK_E10value_typeET2_T3_PNSL_ISQ_E10value_typeET4_jRbjT5_SW_jjP12ihipStream_tbEUlT_E2_NS1_11comp_targetILNS1_3genE10ELNS1_11target_archE1200ELNS1_3gpuE4ELNS1_3repE0EEENS1_30default_config_static_selectorELNS0_4arch9wavefront6targetE0EEEvSK_.has_indirect_call, 0
	.section	.AMDGPU.csdata,"",@progbits
; Kernel info:
; codeLenInByte = 0
; TotalNumSgprs: 0
; NumVgprs: 0
; ScratchSize: 0
; MemoryBound: 0
; FloatMode: 240
; IeeeMode: 1
; LDSByteSize: 0 bytes/workgroup (compile time only)
; SGPRBlocks: 0
; VGPRBlocks: 0
; NumSGPRsForWavesPerEU: 1
; NumVGPRsForWavesPerEU: 1
; NamedBarCnt: 0
; Occupancy: 16
; WaveLimiterHint : 0
; COMPUTE_PGM_RSRC2:SCRATCH_EN: 0
; COMPUTE_PGM_RSRC2:USER_SGPR: 2
; COMPUTE_PGM_RSRC2:TRAP_HANDLER: 0
; COMPUTE_PGM_RSRC2:TGID_X_EN: 1
; COMPUTE_PGM_RSRC2:TGID_Y_EN: 0
; COMPUTE_PGM_RSRC2:TGID_Z_EN: 0
; COMPUTE_PGM_RSRC2:TIDIG_COMP_CNT: 0
	.section	.text._ZN7rocprim17ROCPRIM_400000_NS6detail17trampoline_kernelINS0_14default_configENS1_36segmented_radix_sort_config_selectorIslEEZNS1_25segmented_radix_sort_implIS3_Lb0EPKsPsPKlPlN2at6native12_GLOBAL__N_18offset_tEEE10hipError_tPvRmT1_PNSt15iterator_traitsISK_E10value_typeET2_T3_PNSL_ISQ_E10value_typeET4_jRbjT5_SW_jjP12ihipStream_tbEUlT_E2_NS1_11comp_targetILNS1_3genE9ELNS1_11target_archE1100ELNS1_3gpuE3ELNS1_3repE0EEENS1_30default_config_static_selectorELNS0_4arch9wavefront6targetE0EEEvSK_,"axG",@progbits,_ZN7rocprim17ROCPRIM_400000_NS6detail17trampoline_kernelINS0_14default_configENS1_36segmented_radix_sort_config_selectorIslEEZNS1_25segmented_radix_sort_implIS3_Lb0EPKsPsPKlPlN2at6native12_GLOBAL__N_18offset_tEEE10hipError_tPvRmT1_PNSt15iterator_traitsISK_E10value_typeET2_T3_PNSL_ISQ_E10value_typeET4_jRbjT5_SW_jjP12ihipStream_tbEUlT_E2_NS1_11comp_targetILNS1_3genE9ELNS1_11target_archE1100ELNS1_3gpuE3ELNS1_3repE0EEENS1_30default_config_static_selectorELNS0_4arch9wavefront6targetE0EEEvSK_,comdat
	.globl	_ZN7rocprim17ROCPRIM_400000_NS6detail17trampoline_kernelINS0_14default_configENS1_36segmented_radix_sort_config_selectorIslEEZNS1_25segmented_radix_sort_implIS3_Lb0EPKsPsPKlPlN2at6native12_GLOBAL__N_18offset_tEEE10hipError_tPvRmT1_PNSt15iterator_traitsISK_E10value_typeET2_T3_PNSL_ISQ_E10value_typeET4_jRbjT5_SW_jjP12ihipStream_tbEUlT_E2_NS1_11comp_targetILNS1_3genE9ELNS1_11target_archE1100ELNS1_3gpuE3ELNS1_3repE0EEENS1_30default_config_static_selectorELNS0_4arch9wavefront6targetE0EEEvSK_ ; -- Begin function _ZN7rocprim17ROCPRIM_400000_NS6detail17trampoline_kernelINS0_14default_configENS1_36segmented_radix_sort_config_selectorIslEEZNS1_25segmented_radix_sort_implIS3_Lb0EPKsPsPKlPlN2at6native12_GLOBAL__N_18offset_tEEE10hipError_tPvRmT1_PNSt15iterator_traitsISK_E10value_typeET2_T3_PNSL_ISQ_E10value_typeET4_jRbjT5_SW_jjP12ihipStream_tbEUlT_E2_NS1_11comp_targetILNS1_3genE9ELNS1_11target_archE1100ELNS1_3gpuE3ELNS1_3repE0EEENS1_30default_config_static_selectorELNS0_4arch9wavefront6targetE0EEEvSK_
	.p2align	8
	.type	_ZN7rocprim17ROCPRIM_400000_NS6detail17trampoline_kernelINS0_14default_configENS1_36segmented_radix_sort_config_selectorIslEEZNS1_25segmented_radix_sort_implIS3_Lb0EPKsPsPKlPlN2at6native12_GLOBAL__N_18offset_tEEE10hipError_tPvRmT1_PNSt15iterator_traitsISK_E10value_typeET2_T3_PNSL_ISQ_E10value_typeET4_jRbjT5_SW_jjP12ihipStream_tbEUlT_E2_NS1_11comp_targetILNS1_3genE9ELNS1_11target_archE1100ELNS1_3gpuE3ELNS1_3repE0EEENS1_30default_config_static_selectorELNS0_4arch9wavefront6targetE0EEEvSK_,@function
_ZN7rocprim17ROCPRIM_400000_NS6detail17trampoline_kernelINS0_14default_configENS1_36segmented_radix_sort_config_selectorIslEEZNS1_25segmented_radix_sort_implIS3_Lb0EPKsPsPKlPlN2at6native12_GLOBAL__N_18offset_tEEE10hipError_tPvRmT1_PNSt15iterator_traitsISK_E10value_typeET2_T3_PNSL_ISQ_E10value_typeET4_jRbjT5_SW_jjP12ihipStream_tbEUlT_E2_NS1_11comp_targetILNS1_3genE9ELNS1_11target_archE1100ELNS1_3gpuE3ELNS1_3repE0EEENS1_30default_config_static_selectorELNS0_4arch9wavefront6targetE0EEEvSK_: ; @_ZN7rocprim17ROCPRIM_400000_NS6detail17trampoline_kernelINS0_14default_configENS1_36segmented_radix_sort_config_selectorIslEEZNS1_25segmented_radix_sort_implIS3_Lb0EPKsPsPKlPlN2at6native12_GLOBAL__N_18offset_tEEE10hipError_tPvRmT1_PNSt15iterator_traitsISK_E10value_typeET2_T3_PNSL_ISQ_E10value_typeET4_jRbjT5_SW_jjP12ihipStream_tbEUlT_E2_NS1_11comp_targetILNS1_3genE9ELNS1_11target_archE1100ELNS1_3gpuE3ELNS1_3repE0EEENS1_30default_config_static_selectorELNS0_4arch9wavefront6targetE0EEEvSK_
; %bb.0:
	.section	.rodata,"a",@progbits
	.p2align	6, 0x0
	.amdhsa_kernel _ZN7rocprim17ROCPRIM_400000_NS6detail17trampoline_kernelINS0_14default_configENS1_36segmented_radix_sort_config_selectorIslEEZNS1_25segmented_radix_sort_implIS3_Lb0EPKsPsPKlPlN2at6native12_GLOBAL__N_18offset_tEEE10hipError_tPvRmT1_PNSt15iterator_traitsISK_E10value_typeET2_T3_PNSL_ISQ_E10value_typeET4_jRbjT5_SW_jjP12ihipStream_tbEUlT_E2_NS1_11comp_targetILNS1_3genE9ELNS1_11target_archE1100ELNS1_3gpuE3ELNS1_3repE0EEENS1_30default_config_static_selectorELNS0_4arch9wavefront6targetE0EEEvSK_
		.amdhsa_group_segment_fixed_size 0
		.amdhsa_private_segment_fixed_size 0
		.amdhsa_kernarg_size 80
		.amdhsa_user_sgpr_count 2
		.amdhsa_user_sgpr_dispatch_ptr 0
		.amdhsa_user_sgpr_queue_ptr 0
		.amdhsa_user_sgpr_kernarg_segment_ptr 1
		.amdhsa_user_sgpr_dispatch_id 0
		.amdhsa_user_sgpr_kernarg_preload_length 0
		.amdhsa_user_sgpr_kernarg_preload_offset 0
		.amdhsa_user_sgpr_private_segment_size 0
		.amdhsa_wavefront_size32 1
		.amdhsa_uses_dynamic_stack 0
		.amdhsa_enable_private_segment 0
		.amdhsa_system_sgpr_workgroup_id_x 1
		.amdhsa_system_sgpr_workgroup_id_y 0
		.amdhsa_system_sgpr_workgroup_id_z 0
		.amdhsa_system_sgpr_workgroup_info 0
		.amdhsa_system_vgpr_workitem_id 0
		.amdhsa_next_free_vgpr 1
		.amdhsa_next_free_sgpr 1
		.amdhsa_named_barrier_count 0
		.amdhsa_reserve_vcc 0
		.amdhsa_float_round_mode_32 0
		.amdhsa_float_round_mode_16_64 0
		.amdhsa_float_denorm_mode_32 3
		.amdhsa_float_denorm_mode_16_64 3
		.amdhsa_fp16_overflow 0
		.amdhsa_memory_ordered 1
		.amdhsa_forward_progress 1
		.amdhsa_inst_pref_size 0
		.amdhsa_round_robin_scheduling 0
		.amdhsa_exception_fp_ieee_invalid_op 0
		.amdhsa_exception_fp_denorm_src 0
		.amdhsa_exception_fp_ieee_div_zero 0
		.amdhsa_exception_fp_ieee_overflow 0
		.amdhsa_exception_fp_ieee_underflow 0
		.amdhsa_exception_fp_ieee_inexact 0
		.amdhsa_exception_int_div_zero 0
	.end_amdhsa_kernel
	.section	.text._ZN7rocprim17ROCPRIM_400000_NS6detail17trampoline_kernelINS0_14default_configENS1_36segmented_radix_sort_config_selectorIslEEZNS1_25segmented_radix_sort_implIS3_Lb0EPKsPsPKlPlN2at6native12_GLOBAL__N_18offset_tEEE10hipError_tPvRmT1_PNSt15iterator_traitsISK_E10value_typeET2_T3_PNSL_ISQ_E10value_typeET4_jRbjT5_SW_jjP12ihipStream_tbEUlT_E2_NS1_11comp_targetILNS1_3genE9ELNS1_11target_archE1100ELNS1_3gpuE3ELNS1_3repE0EEENS1_30default_config_static_selectorELNS0_4arch9wavefront6targetE0EEEvSK_,"axG",@progbits,_ZN7rocprim17ROCPRIM_400000_NS6detail17trampoline_kernelINS0_14default_configENS1_36segmented_radix_sort_config_selectorIslEEZNS1_25segmented_radix_sort_implIS3_Lb0EPKsPsPKlPlN2at6native12_GLOBAL__N_18offset_tEEE10hipError_tPvRmT1_PNSt15iterator_traitsISK_E10value_typeET2_T3_PNSL_ISQ_E10value_typeET4_jRbjT5_SW_jjP12ihipStream_tbEUlT_E2_NS1_11comp_targetILNS1_3genE9ELNS1_11target_archE1100ELNS1_3gpuE3ELNS1_3repE0EEENS1_30default_config_static_selectorELNS0_4arch9wavefront6targetE0EEEvSK_,comdat
.Lfunc_end1045:
	.size	_ZN7rocprim17ROCPRIM_400000_NS6detail17trampoline_kernelINS0_14default_configENS1_36segmented_radix_sort_config_selectorIslEEZNS1_25segmented_radix_sort_implIS3_Lb0EPKsPsPKlPlN2at6native12_GLOBAL__N_18offset_tEEE10hipError_tPvRmT1_PNSt15iterator_traitsISK_E10value_typeET2_T3_PNSL_ISQ_E10value_typeET4_jRbjT5_SW_jjP12ihipStream_tbEUlT_E2_NS1_11comp_targetILNS1_3genE9ELNS1_11target_archE1100ELNS1_3gpuE3ELNS1_3repE0EEENS1_30default_config_static_selectorELNS0_4arch9wavefront6targetE0EEEvSK_, .Lfunc_end1045-_ZN7rocprim17ROCPRIM_400000_NS6detail17trampoline_kernelINS0_14default_configENS1_36segmented_radix_sort_config_selectorIslEEZNS1_25segmented_radix_sort_implIS3_Lb0EPKsPsPKlPlN2at6native12_GLOBAL__N_18offset_tEEE10hipError_tPvRmT1_PNSt15iterator_traitsISK_E10value_typeET2_T3_PNSL_ISQ_E10value_typeET4_jRbjT5_SW_jjP12ihipStream_tbEUlT_E2_NS1_11comp_targetILNS1_3genE9ELNS1_11target_archE1100ELNS1_3gpuE3ELNS1_3repE0EEENS1_30default_config_static_selectorELNS0_4arch9wavefront6targetE0EEEvSK_
                                        ; -- End function
	.set _ZN7rocprim17ROCPRIM_400000_NS6detail17trampoline_kernelINS0_14default_configENS1_36segmented_radix_sort_config_selectorIslEEZNS1_25segmented_radix_sort_implIS3_Lb0EPKsPsPKlPlN2at6native12_GLOBAL__N_18offset_tEEE10hipError_tPvRmT1_PNSt15iterator_traitsISK_E10value_typeET2_T3_PNSL_ISQ_E10value_typeET4_jRbjT5_SW_jjP12ihipStream_tbEUlT_E2_NS1_11comp_targetILNS1_3genE9ELNS1_11target_archE1100ELNS1_3gpuE3ELNS1_3repE0EEENS1_30default_config_static_selectorELNS0_4arch9wavefront6targetE0EEEvSK_.num_vgpr, 0
	.set _ZN7rocprim17ROCPRIM_400000_NS6detail17trampoline_kernelINS0_14default_configENS1_36segmented_radix_sort_config_selectorIslEEZNS1_25segmented_radix_sort_implIS3_Lb0EPKsPsPKlPlN2at6native12_GLOBAL__N_18offset_tEEE10hipError_tPvRmT1_PNSt15iterator_traitsISK_E10value_typeET2_T3_PNSL_ISQ_E10value_typeET4_jRbjT5_SW_jjP12ihipStream_tbEUlT_E2_NS1_11comp_targetILNS1_3genE9ELNS1_11target_archE1100ELNS1_3gpuE3ELNS1_3repE0EEENS1_30default_config_static_selectorELNS0_4arch9wavefront6targetE0EEEvSK_.num_agpr, 0
	.set _ZN7rocprim17ROCPRIM_400000_NS6detail17trampoline_kernelINS0_14default_configENS1_36segmented_radix_sort_config_selectorIslEEZNS1_25segmented_radix_sort_implIS3_Lb0EPKsPsPKlPlN2at6native12_GLOBAL__N_18offset_tEEE10hipError_tPvRmT1_PNSt15iterator_traitsISK_E10value_typeET2_T3_PNSL_ISQ_E10value_typeET4_jRbjT5_SW_jjP12ihipStream_tbEUlT_E2_NS1_11comp_targetILNS1_3genE9ELNS1_11target_archE1100ELNS1_3gpuE3ELNS1_3repE0EEENS1_30default_config_static_selectorELNS0_4arch9wavefront6targetE0EEEvSK_.numbered_sgpr, 0
	.set _ZN7rocprim17ROCPRIM_400000_NS6detail17trampoline_kernelINS0_14default_configENS1_36segmented_radix_sort_config_selectorIslEEZNS1_25segmented_radix_sort_implIS3_Lb0EPKsPsPKlPlN2at6native12_GLOBAL__N_18offset_tEEE10hipError_tPvRmT1_PNSt15iterator_traitsISK_E10value_typeET2_T3_PNSL_ISQ_E10value_typeET4_jRbjT5_SW_jjP12ihipStream_tbEUlT_E2_NS1_11comp_targetILNS1_3genE9ELNS1_11target_archE1100ELNS1_3gpuE3ELNS1_3repE0EEENS1_30default_config_static_selectorELNS0_4arch9wavefront6targetE0EEEvSK_.num_named_barrier, 0
	.set _ZN7rocprim17ROCPRIM_400000_NS6detail17trampoline_kernelINS0_14default_configENS1_36segmented_radix_sort_config_selectorIslEEZNS1_25segmented_radix_sort_implIS3_Lb0EPKsPsPKlPlN2at6native12_GLOBAL__N_18offset_tEEE10hipError_tPvRmT1_PNSt15iterator_traitsISK_E10value_typeET2_T3_PNSL_ISQ_E10value_typeET4_jRbjT5_SW_jjP12ihipStream_tbEUlT_E2_NS1_11comp_targetILNS1_3genE9ELNS1_11target_archE1100ELNS1_3gpuE3ELNS1_3repE0EEENS1_30default_config_static_selectorELNS0_4arch9wavefront6targetE0EEEvSK_.private_seg_size, 0
	.set _ZN7rocprim17ROCPRIM_400000_NS6detail17trampoline_kernelINS0_14default_configENS1_36segmented_radix_sort_config_selectorIslEEZNS1_25segmented_radix_sort_implIS3_Lb0EPKsPsPKlPlN2at6native12_GLOBAL__N_18offset_tEEE10hipError_tPvRmT1_PNSt15iterator_traitsISK_E10value_typeET2_T3_PNSL_ISQ_E10value_typeET4_jRbjT5_SW_jjP12ihipStream_tbEUlT_E2_NS1_11comp_targetILNS1_3genE9ELNS1_11target_archE1100ELNS1_3gpuE3ELNS1_3repE0EEENS1_30default_config_static_selectorELNS0_4arch9wavefront6targetE0EEEvSK_.uses_vcc, 0
	.set _ZN7rocprim17ROCPRIM_400000_NS6detail17trampoline_kernelINS0_14default_configENS1_36segmented_radix_sort_config_selectorIslEEZNS1_25segmented_radix_sort_implIS3_Lb0EPKsPsPKlPlN2at6native12_GLOBAL__N_18offset_tEEE10hipError_tPvRmT1_PNSt15iterator_traitsISK_E10value_typeET2_T3_PNSL_ISQ_E10value_typeET4_jRbjT5_SW_jjP12ihipStream_tbEUlT_E2_NS1_11comp_targetILNS1_3genE9ELNS1_11target_archE1100ELNS1_3gpuE3ELNS1_3repE0EEENS1_30default_config_static_selectorELNS0_4arch9wavefront6targetE0EEEvSK_.uses_flat_scratch, 0
	.set _ZN7rocprim17ROCPRIM_400000_NS6detail17trampoline_kernelINS0_14default_configENS1_36segmented_radix_sort_config_selectorIslEEZNS1_25segmented_radix_sort_implIS3_Lb0EPKsPsPKlPlN2at6native12_GLOBAL__N_18offset_tEEE10hipError_tPvRmT1_PNSt15iterator_traitsISK_E10value_typeET2_T3_PNSL_ISQ_E10value_typeET4_jRbjT5_SW_jjP12ihipStream_tbEUlT_E2_NS1_11comp_targetILNS1_3genE9ELNS1_11target_archE1100ELNS1_3gpuE3ELNS1_3repE0EEENS1_30default_config_static_selectorELNS0_4arch9wavefront6targetE0EEEvSK_.has_dyn_sized_stack, 0
	.set _ZN7rocprim17ROCPRIM_400000_NS6detail17trampoline_kernelINS0_14default_configENS1_36segmented_radix_sort_config_selectorIslEEZNS1_25segmented_radix_sort_implIS3_Lb0EPKsPsPKlPlN2at6native12_GLOBAL__N_18offset_tEEE10hipError_tPvRmT1_PNSt15iterator_traitsISK_E10value_typeET2_T3_PNSL_ISQ_E10value_typeET4_jRbjT5_SW_jjP12ihipStream_tbEUlT_E2_NS1_11comp_targetILNS1_3genE9ELNS1_11target_archE1100ELNS1_3gpuE3ELNS1_3repE0EEENS1_30default_config_static_selectorELNS0_4arch9wavefront6targetE0EEEvSK_.has_recursion, 0
	.set _ZN7rocprim17ROCPRIM_400000_NS6detail17trampoline_kernelINS0_14default_configENS1_36segmented_radix_sort_config_selectorIslEEZNS1_25segmented_radix_sort_implIS3_Lb0EPKsPsPKlPlN2at6native12_GLOBAL__N_18offset_tEEE10hipError_tPvRmT1_PNSt15iterator_traitsISK_E10value_typeET2_T3_PNSL_ISQ_E10value_typeET4_jRbjT5_SW_jjP12ihipStream_tbEUlT_E2_NS1_11comp_targetILNS1_3genE9ELNS1_11target_archE1100ELNS1_3gpuE3ELNS1_3repE0EEENS1_30default_config_static_selectorELNS0_4arch9wavefront6targetE0EEEvSK_.has_indirect_call, 0
	.section	.AMDGPU.csdata,"",@progbits
; Kernel info:
; codeLenInByte = 0
; TotalNumSgprs: 0
; NumVgprs: 0
; ScratchSize: 0
; MemoryBound: 0
; FloatMode: 240
; IeeeMode: 1
; LDSByteSize: 0 bytes/workgroup (compile time only)
; SGPRBlocks: 0
; VGPRBlocks: 0
; NumSGPRsForWavesPerEU: 1
; NumVGPRsForWavesPerEU: 1
; NamedBarCnt: 0
; Occupancy: 16
; WaveLimiterHint : 0
; COMPUTE_PGM_RSRC2:SCRATCH_EN: 0
; COMPUTE_PGM_RSRC2:USER_SGPR: 2
; COMPUTE_PGM_RSRC2:TRAP_HANDLER: 0
; COMPUTE_PGM_RSRC2:TGID_X_EN: 1
; COMPUTE_PGM_RSRC2:TGID_Y_EN: 0
; COMPUTE_PGM_RSRC2:TGID_Z_EN: 0
; COMPUTE_PGM_RSRC2:TIDIG_COMP_CNT: 0
	.section	.text._ZN7rocprim17ROCPRIM_400000_NS6detail17trampoline_kernelINS0_14default_configENS1_36segmented_radix_sort_config_selectorIslEEZNS1_25segmented_radix_sort_implIS3_Lb0EPKsPsPKlPlN2at6native12_GLOBAL__N_18offset_tEEE10hipError_tPvRmT1_PNSt15iterator_traitsISK_E10value_typeET2_T3_PNSL_ISQ_E10value_typeET4_jRbjT5_SW_jjP12ihipStream_tbEUlT_E2_NS1_11comp_targetILNS1_3genE8ELNS1_11target_archE1030ELNS1_3gpuE2ELNS1_3repE0EEENS1_30default_config_static_selectorELNS0_4arch9wavefront6targetE0EEEvSK_,"axG",@progbits,_ZN7rocprim17ROCPRIM_400000_NS6detail17trampoline_kernelINS0_14default_configENS1_36segmented_radix_sort_config_selectorIslEEZNS1_25segmented_radix_sort_implIS3_Lb0EPKsPsPKlPlN2at6native12_GLOBAL__N_18offset_tEEE10hipError_tPvRmT1_PNSt15iterator_traitsISK_E10value_typeET2_T3_PNSL_ISQ_E10value_typeET4_jRbjT5_SW_jjP12ihipStream_tbEUlT_E2_NS1_11comp_targetILNS1_3genE8ELNS1_11target_archE1030ELNS1_3gpuE2ELNS1_3repE0EEENS1_30default_config_static_selectorELNS0_4arch9wavefront6targetE0EEEvSK_,comdat
	.globl	_ZN7rocprim17ROCPRIM_400000_NS6detail17trampoline_kernelINS0_14default_configENS1_36segmented_radix_sort_config_selectorIslEEZNS1_25segmented_radix_sort_implIS3_Lb0EPKsPsPKlPlN2at6native12_GLOBAL__N_18offset_tEEE10hipError_tPvRmT1_PNSt15iterator_traitsISK_E10value_typeET2_T3_PNSL_ISQ_E10value_typeET4_jRbjT5_SW_jjP12ihipStream_tbEUlT_E2_NS1_11comp_targetILNS1_3genE8ELNS1_11target_archE1030ELNS1_3gpuE2ELNS1_3repE0EEENS1_30default_config_static_selectorELNS0_4arch9wavefront6targetE0EEEvSK_ ; -- Begin function _ZN7rocprim17ROCPRIM_400000_NS6detail17trampoline_kernelINS0_14default_configENS1_36segmented_radix_sort_config_selectorIslEEZNS1_25segmented_radix_sort_implIS3_Lb0EPKsPsPKlPlN2at6native12_GLOBAL__N_18offset_tEEE10hipError_tPvRmT1_PNSt15iterator_traitsISK_E10value_typeET2_T3_PNSL_ISQ_E10value_typeET4_jRbjT5_SW_jjP12ihipStream_tbEUlT_E2_NS1_11comp_targetILNS1_3genE8ELNS1_11target_archE1030ELNS1_3gpuE2ELNS1_3repE0EEENS1_30default_config_static_selectorELNS0_4arch9wavefront6targetE0EEEvSK_
	.p2align	8
	.type	_ZN7rocprim17ROCPRIM_400000_NS6detail17trampoline_kernelINS0_14default_configENS1_36segmented_radix_sort_config_selectorIslEEZNS1_25segmented_radix_sort_implIS3_Lb0EPKsPsPKlPlN2at6native12_GLOBAL__N_18offset_tEEE10hipError_tPvRmT1_PNSt15iterator_traitsISK_E10value_typeET2_T3_PNSL_ISQ_E10value_typeET4_jRbjT5_SW_jjP12ihipStream_tbEUlT_E2_NS1_11comp_targetILNS1_3genE8ELNS1_11target_archE1030ELNS1_3gpuE2ELNS1_3repE0EEENS1_30default_config_static_selectorELNS0_4arch9wavefront6targetE0EEEvSK_,@function
_ZN7rocprim17ROCPRIM_400000_NS6detail17trampoline_kernelINS0_14default_configENS1_36segmented_radix_sort_config_selectorIslEEZNS1_25segmented_radix_sort_implIS3_Lb0EPKsPsPKlPlN2at6native12_GLOBAL__N_18offset_tEEE10hipError_tPvRmT1_PNSt15iterator_traitsISK_E10value_typeET2_T3_PNSL_ISQ_E10value_typeET4_jRbjT5_SW_jjP12ihipStream_tbEUlT_E2_NS1_11comp_targetILNS1_3genE8ELNS1_11target_archE1030ELNS1_3gpuE2ELNS1_3repE0EEENS1_30default_config_static_selectorELNS0_4arch9wavefront6targetE0EEEvSK_: ; @_ZN7rocprim17ROCPRIM_400000_NS6detail17trampoline_kernelINS0_14default_configENS1_36segmented_radix_sort_config_selectorIslEEZNS1_25segmented_radix_sort_implIS3_Lb0EPKsPsPKlPlN2at6native12_GLOBAL__N_18offset_tEEE10hipError_tPvRmT1_PNSt15iterator_traitsISK_E10value_typeET2_T3_PNSL_ISQ_E10value_typeET4_jRbjT5_SW_jjP12ihipStream_tbEUlT_E2_NS1_11comp_targetILNS1_3genE8ELNS1_11target_archE1030ELNS1_3gpuE2ELNS1_3repE0EEENS1_30default_config_static_selectorELNS0_4arch9wavefront6targetE0EEEvSK_
; %bb.0:
	.section	.rodata,"a",@progbits
	.p2align	6, 0x0
	.amdhsa_kernel _ZN7rocprim17ROCPRIM_400000_NS6detail17trampoline_kernelINS0_14default_configENS1_36segmented_radix_sort_config_selectorIslEEZNS1_25segmented_radix_sort_implIS3_Lb0EPKsPsPKlPlN2at6native12_GLOBAL__N_18offset_tEEE10hipError_tPvRmT1_PNSt15iterator_traitsISK_E10value_typeET2_T3_PNSL_ISQ_E10value_typeET4_jRbjT5_SW_jjP12ihipStream_tbEUlT_E2_NS1_11comp_targetILNS1_3genE8ELNS1_11target_archE1030ELNS1_3gpuE2ELNS1_3repE0EEENS1_30default_config_static_selectorELNS0_4arch9wavefront6targetE0EEEvSK_
		.amdhsa_group_segment_fixed_size 0
		.amdhsa_private_segment_fixed_size 0
		.amdhsa_kernarg_size 80
		.amdhsa_user_sgpr_count 2
		.amdhsa_user_sgpr_dispatch_ptr 0
		.amdhsa_user_sgpr_queue_ptr 0
		.amdhsa_user_sgpr_kernarg_segment_ptr 1
		.amdhsa_user_sgpr_dispatch_id 0
		.amdhsa_user_sgpr_kernarg_preload_length 0
		.amdhsa_user_sgpr_kernarg_preload_offset 0
		.amdhsa_user_sgpr_private_segment_size 0
		.amdhsa_wavefront_size32 1
		.amdhsa_uses_dynamic_stack 0
		.amdhsa_enable_private_segment 0
		.amdhsa_system_sgpr_workgroup_id_x 1
		.amdhsa_system_sgpr_workgroup_id_y 0
		.amdhsa_system_sgpr_workgroup_id_z 0
		.amdhsa_system_sgpr_workgroup_info 0
		.amdhsa_system_vgpr_workitem_id 0
		.amdhsa_next_free_vgpr 1
		.amdhsa_next_free_sgpr 1
		.amdhsa_named_barrier_count 0
		.amdhsa_reserve_vcc 0
		.amdhsa_float_round_mode_32 0
		.amdhsa_float_round_mode_16_64 0
		.amdhsa_float_denorm_mode_32 3
		.amdhsa_float_denorm_mode_16_64 3
		.amdhsa_fp16_overflow 0
		.amdhsa_memory_ordered 1
		.amdhsa_forward_progress 1
		.amdhsa_inst_pref_size 0
		.amdhsa_round_robin_scheduling 0
		.amdhsa_exception_fp_ieee_invalid_op 0
		.amdhsa_exception_fp_denorm_src 0
		.amdhsa_exception_fp_ieee_div_zero 0
		.amdhsa_exception_fp_ieee_overflow 0
		.amdhsa_exception_fp_ieee_underflow 0
		.amdhsa_exception_fp_ieee_inexact 0
		.amdhsa_exception_int_div_zero 0
	.end_amdhsa_kernel
	.section	.text._ZN7rocprim17ROCPRIM_400000_NS6detail17trampoline_kernelINS0_14default_configENS1_36segmented_radix_sort_config_selectorIslEEZNS1_25segmented_radix_sort_implIS3_Lb0EPKsPsPKlPlN2at6native12_GLOBAL__N_18offset_tEEE10hipError_tPvRmT1_PNSt15iterator_traitsISK_E10value_typeET2_T3_PNSL_ISQ_E10value_typeET4_jRbjT5_SW_jjP12ihipStream_tbEUlT_E2_NS1_11comp_targetILNS1_3genE8ELNS1_11target_archE1030ELNS1_3gpuE2ELNS1_3repE0EEENS1_30default_config_static_selectorELNS0_4arch9wavefront6targetE0EEEvSK_,"axG",@progbits,_ZN7rocprim17ROCPRIM_400000_NS6detail17trampoline_kernelINS0_14default_configENS1_36segmented_radix_sort_config_selectorIslEEZNS1_25segmented_radix_sort_implIS3_Lb0EPKsPsPKlPlN2at6native12_GLOBAL__N_18offset_tEEE10hipError_tPvRmT1_PNSt15iterator_traitsISK_E10value_typeET2_T3_PNSL_ISQ_E10value_typeET4_jRbjT5_SW_jjP12ihipStream_tbEUlT_E2_NS1_11comp_targetILNS1_3genE8ELNS1_11target_archE1030ELNS1_3gpuE2ELNS1_3repE0EEENS1_30default_config_static_selectorELNS0_4arch9wavefront6targetE0EEEvSK_,comdat
.Lfunc_end1046:
	.size	_ZN7rocprim17ROCPRIM_400000_NS6detail17trampoline_kernelINS0_14default_configENS1_36segmented_radix_sort_config_selectorIslEEZNS1_25segmented_radix_sort_implIS3_Lb0EPKsPsPKlPlN2at6native12_GLOBAL__N_18offset_tEEE10hipError_tPvRmT1_PNSt15iterator_traitsISK_E10value_typeET2_T3_PNSL_ISQ_E10value_typeET4_jRbjT5_SW_jjP12ihipStream_tbEUlT_E2_NS1_11comp_targetILNS1_3genE8ELNS1_11target_archE1030ELNS1_3gpuE2ELNS1_3repE0EEENS1_30default_config_static_selectorELNS0_4arch9wavefront6targetE0EEEvSK_, .Lfunc_end1046-_ZN7rocprim17ROCPRIM_400000_NS6detail17trampoline_kernelINS0_14default_configENS1_36segmented_radix_sort_config_selectorIslEEZNS1_25segmented_radix_sort_implIS3_Lb0EPKsPsPKlPlN2at6native12_GLOBAL__N_18offset_tEEE10hipError_tPvRmT1_PNSt15iterator_traitsISK_E10value_typeET2_T3_PNSL_ISQ_E10value_typeET4_jRbjT5_SW_jjP12ihipStream_tbEUlT_E2_NS1_11comp_targetILNS1_3genE8ELNS1_11target_archE1030ELNS1_3gpuE2ELNS1_3repE0EEENS1_30default_config_static_selectorELNS0_4arch9wavefront6targetE0EEEvSK_
                                        ; -- End function
	.set _ZN7rocprim17ROCPRIM_400000_NS6detail17trampoline_kernelINS0_14default_configENS1_36segmented_radix_sort_config_selectorIslEEZNS1_25segmented_radix_sort_implIS3_Lb0EPKsPsPKlPlN2at6native12_GLOBAL__N_18offset_tEEE10hipError_tPvRmT1_PNSt15iterator_traitsISK_E10value_typeET2_T3_PNSL_ISQ_E10value_typeET4_jRbjT5_SW_jjP12ihipStream_tbEUlT_E2_NS1_11comp_targetILNS1_3genE8ELNS1_11target_archE1030ELNS1_3gpuE2ELNS1_3repE0EEENS1_30default_config_static_selectorELNS0_4arch9wavefront6targetE0EEEvSK_.num_vgpr, 0
	.set _ZN7rocprim17ROCPRIM_400000_NS6detail17trampoline_kernelINS0_14default_configENS1_36segmented_radix_sort_config_selectorIslEEZNS1_25segmented_radix_sort_implIS3_Lb0EPKsPsPKlPlN2at6native12_GLOBAL__N_18offset_tEEE10hipError_tPvRmT1_PNSt15iterator_traitsISK_E10value_typeET2_T3_PNSL_ISQ_E10value_typeET4_jRbjT5_SW_jjP12ihipStream_tbEUlT_E2_NS1_11comp_targetILNS1_3genE8ELNS1_11target_archE1030ELNS1_3gpuE2ELNS1_3repE0EEENS1_30default_config_static_selectorELNS0_4arch9wavefront6targetE0EEEvSK_.num_agpr, 0
	.set _ZN7rocprim17ROCPRIM_400000_NS6detail17trampoline_kernelINS0_14default_configENS1_36segmented_radix_sort_config_selectorIslEEZNS1_25segmented_radix_sort_implIS3_Lb0EPKsPsPKlPlN2at6native12_GLOBAL__N_18offset_tEEE10hipError_tPvRmT1_PNSt15iterator_traitsISK_E10value_typeET2_T3_PNSL_ISQ_E10value_typeET4_jRbjT5_SW_jjP12ihipStream_tbEUlT_E2_NS1_11comp_targetILNS1_3genE8ELNS1_11target_archE1030ELNS1_3gpuE2ELNS1_3repE0EEENS1_30default_config_static_selectorELNS0_4arch9wavefront6targetE0EEEvSK_.numbered_sgpr, 0
	.set _ZN7rocprim17ROCPRIM_400000_NS6detail17trampoline_kernelINS0_14default_configENS1_36segmented_radix_sort_config_selectorIslEEZNS1_25segmented_radix_sort_implIS3_Lb0EPKsPsPKlPlN2at6native12_GLOBAL__N_18offset_tEEE10hipError_tPvRmT1_PNSt15iterator_traitsISK_E10value_typeET2_T3_PNSL_ISQ_E10value_typeET4_jRbjT5_SW_jjP12ihipStream_tbEUlT_E2_NS1_11comp_targetILNS1_3genE8ELNS1_11target_archE1030ELNS1_3gpuE2ELNS1_3repE0EEENS1_30default_config_static_selectorELNS0_4arch9wavefront6targetE0EEEvSK_.num_named_barrier, 0
	.set _ZN7rocprim17ROCPRIM_400000_NS6detail17trampoline_kernelINS0_14default_configENS1_36segmented_radix_sort_config_selectorIslEEZNS1_25segmented_radix_sort_implIS3_Lb0EPKsPsPKlPlN2at6native12_GLOBAL__N_18offset_tEEE10hipError_tPvRmT1_PNSt15iterator_traitsISK_E10value_typeET2_T3_PNSL_ISQ_E10value_typeET4_jRbjT5_SW_jjP12ihipStream_tbEUlT_E2_NS1_11comp_targetILNS1_3genE8ELNS1_11target_archE1030ELNS1_3gpuE2ELNS1_3repE0EEENS1_30default_config_static_selectorELNS0_4arch9wavefront6targetE0EEEvSK_.private_seg_size, 0
	.set _ZN7rocprim17ROCPRIM_400000_NS6detail17trampoline_kernelINS0_14default_configENS1_36segmented_radix_sort_config_selectorIslEEZNS1_25segmented_radix_sort_implIS3_Lb0EPKsPsPKlPlN2at6native12_GLOBAL__N_18offset_tEEE10hipError_tPvRmT1_PNSt15iterator_traitsISK_E10value_typeET2_T3_PNSL_ISQ_E10value_typeET4_jRbjT5_SW_jjP12ihipStream_tbEUlT_E2_NS1_11comp_targetILNS1_3genE8ELNS1_11target_archE1030ELNS1_3gpuE2ELNS1_3repE0EEENS1_30default_config_static_selectorELNS0_4arch9wavefront6targetE0EEEvSK_.uses_vcc, 0
	.set _ZN7rocprim17ROCPRIM_400000_NS6detail17trampoline_kernelINS0_14default_configENS1_36segmented_radix_sort_config_selectorIslEEZNS1_25segmented_radix_sort_implIS3_Lb0EPKsPsPKlPlN2at6native12_GLOBAL__N_18offset_tEEE10hipError_tPvRmT1_PNSt15iterator_traitsISK_E10value_typeET2_T3_PNSL_ISQ_E10value_typeET4_jRbjT5_SW_jjP12ihipStream_tbEUlT_E2_NS1_11comp_targetILNS1_3genE8ELNS1_11target_archE1030ELNS1_3gpuE2ELNS1_3repE0EEENS1_30default_config_static_selectorELNS0_4arch9wavefront6targetE0EEEvSK_.uses_flat_scratch, 0
	.set _ZN7rocprim17ROCPRIM_400000_NS6detail17trampoline_kernelINS0_14default_configENS1_36segmented_radix_sort_config_selectorIslEEZNS1_25segmented_radix_sort_implIS3_Lb0EPKsPsPKlPlN2at6native12_GLOBAL__N_18offset_tEEE10hipError_tPvRmT1_PNSt15iterator_traitsISK_E10value_typeET2_T3_PNSL_ISQ_E10value_typeET4_jRbjT5_SW_jjP12ihipStream_tbEUlT_E2_NS1_11comp_targetILNS1_3genE8ELNS1_11target_archE1030ELNS1_3gpuE2ELNS1_3repE0EEENS1_30default_config_static_selectorELNS0_4arch9wavefront6targetE0EEEvSK_.has_dyn_sized_stack, 0
	.set _ZN7rocprim17ROCPRIM_400000_NS6detail17trampoline_kernelINS0_14default_configENS1_36segmented_radix_sort_config_selectorIslEEZNS1_25segmented_radix_sort_implIS3_Lb0EPKsPsPKlPlN2at6native12_GLOBAL__N_18offset_tEEE10hipError_tPvRmT1_PNSt15iterator_traitsISK_E10value_typeET2_T3_PNSL_ISQ_E10value_typeET4_jRbjT5_SW_jjP12ihipStream_tbEUlT_E2_NS1_11comp_targetILNS1_3genE8ELNS1_11target_archE1030ELNS1_3gpuE2ELNS1_3repE0EEENS1_30default_config_static_selectorELNS0_4arch9wavefront6targetE0EEEvSK_.has_recursion, 0
	.set _ZN7rocprim17ROCPRIM_400000_NS6detail17trampoline_kernelINS0_14default_configENS1_36segmented_radix_sort_config_selectorIslEEZNS1_25segmented_radix_sort_implIS3_Lb0EPKsPsPKlPlN2at6native12_GLOBAL__N_18offset_tEEE10hipError_tPvRmT1_PNSt15iterator_traitsISK_E10value_typeET2_T3_PNSL_ISQ_E10value_typeET4_jRbjT5_SW_jjP12ihipStream_tbEUlT_E2_NS1_11comp_targetILNS1_3genE8ELNS1_11target_archE1030ELNS1_3gpuE2ELNS1_3repE0EEENS1_30default_config_static_selectorELNS0_4arch9wavefront6targetE0EEEvSK_.has_indirect_call, 0
	.section	.AMDGPU.csdata,"",@progbits
; Kernel info:
; codeLenInByte = 0
; TotalNumSgprs: 0
; NumVgprs: 0
; ScratchSize: 0
; MemoryBound: 0
; FloatMode: 240
; IeeeMode: 1
; LDSByteSize: 0 bytes/workgroup (compile time only)
; SGPRBlocks: 0
; VGPRBlocks: 0
; NumSGPRsForWavesPerEU: 1
; NumVGPRsForWavesPerEU: 1
; NamedBarCnt: 0
; Occupancy: 16
; WaveLimiterHint : 0
; COMPUTE_PGM_RSRC2:SCRATCH_EN: 0
; COMPUTE_PGM_RSRC2:USER_SGPR: 2
; COMPUTE_PGM_RSRC2:TRAP_HANDLER: 0
; COMPUTE_PGM_RSRC2:TGID_X_EN: 1
; COMPUTE_PGM_RSRC2:TGID_Y_EN: 0
; COMPUTE_PGM_RSRC2:TGID_Z_EN: 0
; COMPUTE_PGM_RSRC2:TIDIG_COMP_CNT: 0
	.section	.text._ZN2at6native12_GLOBAL__N_123sort_postprocess_kernelIdEEvPKT_PS3_PlPK15HIP_vector_typeIiLj2EEii,"axG",@progbits,_ZN2at6native12_GLOBAL__N_123sort_postprocess_kernelIdEEvPKT_PS3_PlPK15HIP_vector_typeIiLj2EEii,comdat
	.globl	_ZN2at6native12_GLOBAL__N_123sort_postprocess_kernelIdEEvPKT_PS3_PlPK15HIP_vector_typeIiLj2EEii ; -- Begin function _ZN2at6native12_GLOBAL__N_123sort_postprocess_kernelIdEEvPKT_PS3_PlPK15HIP_vector_typeIiLj2EEii
	.p2align	8
	.type	_ZN2at6native12_GLOBAL__N_123sort_postprocess_kernelIdEEvPKT_PS3_PlPK15HIP_vector_typeIiLj2EEii,@function
_ZN2at6native12_GLOBAL__N_123sort_postprocess_kernelIdEEvPKT_PS3_PlPK15HIP_vector_typeIiLj2EEii: ; @_ZN2at6native12_GLOBAL__N_123sort_postprocess_kernelIdEEvPKT_PS3_PlPK15HIP_vector_typeIiLj2EEii
; %bb.0:
	s_clause 0x1
	s_load_b32 s2, s[0:1], 0x34
	s_load_b64 s[4:5], s[0:1], 0x20
	s_bfe_u32 s7, ttmp6, 0x4000c
	s_and_b32 s6, ttmp6, 15
	s_add_co_i32 s7, s7, 1
	s_getreg_b32 s8, hwreg(HW_REG_IB_STS2, 6, 4)
	s_mul_i32 s7, ttmp9, s7
	s_mov_b32 s3, 0
	s_add_co_i32 s6, s6, s7
	s_cmp_eq_u32 s8, 0
	v_mov_b32_e32 v1, 0
	s_mov_b32 s19, s3
	s_cselect_b32 s18, ttmp9, s6
	s_mov_b32 s17, s3
	s_wait_kmcnt 0x0
	s_and_b32 s16, s2, 0xffff
	s_mul_i32 s14, s5, s4
	s_mul_u64 s[12:13], s[16:17], s[18:19]
	s_ashr_i32 s15, s14, 31
	v_add_nc_u64_e32 v[2:3], s[12:13], v[0:1]
	s_mov_b32 s2, exec_lo
	s_delay_alu instid0(VALU_DEP_1)
	v_cmpx_gt_i64_e64 s[14:15], v[2:3]
	s_cbranch_execz .LBB1047_3
; %bb.1:
	s_abs_i32 s17, s5
	s_add_nc_u64 s[20:21], s[0:1], 40
	s_cvt_f32_u32 s2, s17
	s_sub_co_i32 s19, 0, s17
	s_mul_i32 s18, s18, s16
	s_delay_alu instid0(SALU_CYCLE_1)
	v_rcp_iflag_f32_e32 v2, s2
	s_load_b32 s2, s[20:21], 0x0
	s_load_b256 s[4:11], s[0:1], 0x0
	s_wait_xcnt 0x0
	s_mov_b32 s1, s3
	v_nop
	s_delay_alu instid0(TRANS32_DEP_1) | instskip(SKIP_2) | instid1(SALU_CYCLE_3)
	v_readfirstlane_b32 s0, v2
	v_mov_b64_e32 v[2:3], v[0:1]
	s_mul_f32 s0, s0, 0x4f7ffffe
	s_cvt_u32_f32 s0, s0
	s_wait_kmcnt 0x0
	s_mul_i32 s2, s2, s16
	s_delay_alu instid0(SALU_CYCLE_1) | instskip(SKIP_2) | instid1(SALU_CYCLE_1)
	s_mul_i32 s19, s19, s0
	s_mov_b32 s16, s3
	s_mul_hi_u32 s19, s0, s19
	s_add_co_i32 s0, s0, s19
.LBB1047_2:                             ; =>This Inner Loop Header: Depth=1
	v_add_nc_u32_e32 v6, s18, v2
	v_add_nc_u64_e32 v[2:3], s[2:3], v[2:3]
	s_delay_alu instid0(VALU_DEP_2) | instskip(NEXT) | instid1(VALU_DEP_2)
	v_sub_nc_u32_e32 v0, 0, v6
	v_add_nc_u64_e32 v[12:13], s[12:13], v[2:3]
	s_delay_alu instid0(VALU_DEP_2) | instskip(NEXT) | instid1(VALU_DEP_1)
	v_max_i32_e32 v0, v6, v0
	v_mul_u64_e32 v[4:5], s[0:1], v[0:1]
	s_delay_alu instid0(VALU_DEP_1) | instskip(NEXT) | instid1(VALU_DEP_1)
	v_mul_lo_u32 v4, v5, s17
	v_dual_sub_nc_u32 v0, v0, v4 :: v_dual_ashrrev_i32 v7, 31, v6
	s_delay_alu instid0(VALU_DEP_1) | instskip(SKIP_1) | instid1(VALU_DEP_2)
	v_subrev_nc_u32_e32 v4, s17, v0
	v_cmp_le_u32_e32 vcc_lo, s17, v0
	v_cndmask_b32_e32 v0, v0, v4, vcc_lo
	s_delay_alu instid0(VALU_DEP_1) | instskip(SKIP_1) | instid1(VALU_DEP_2)
	v_subrev_nc_u32_e32 v4, s17, v0
	v_cmp_le_u32_e32 vcc_lo, s17, v0
	v_dual_cndmask_b32 v0, v0, v4, vcc_lo :: v_dual_add_nc_u32 v4, v6, v7
	v_cmp_le_i64_e32 vcc_lo, s[14:15], v[12:13]
	s_delay_alu instid0(VALU_DEP_2) | instskip(SKIP_1) | instid1(VALU_DEP_1)
	v_xor_b32_e32 v0, v0, v7
	s_or_b32 s16, vcc_lo, s16
	v_sub_nc_u32_e32 v4, v4, v0
	s_delay_alu instid0(VALU_DEP_1) | instskip(NEXT) | instid1(VALU_DEP_1)
	v_dual_sub_nc_u32 v6, v0, v7 :: v_dual_ashrrev_i32 v5, 31, v4
	v_ashrrev_i32_e32 v7, 31, v6
	s_delay_alu instid0(VALU_DEP_2) | instskip(NEXT) | instid1(VALU_DEP_2)
	v_lshlrev_b64_e32 v[4:5], 3, v[4:5]
	v_lshlrev_b64_e32 v[6:7], 3, v[6:7]
	s_delay_alu instid0(VALU_DEP_2) | instskip(SKIP_3) | instid1(VALU_DEP_4)
	v_add_nc_u64_e32 v[8:9], s[10:11], v[4:5]
	v_add_nc_u64_e32 v[10:11], s[4:5], v[4:5]
	;; [unrolled: 1-line block ×5, first 2 shown]
	s_delay_alu instid0(VALU_DEP_3) | instskip(NEXT) | instid1(VALU_DEP_3)
	v_add_nc_u64_e32 v[12:13], v[14:15], v[6:7]
	v_add_nc_u64_e32 v[4:5], v[4:5], v[6:7]
	global_load_b32 v8, v[8:9], off offset:4
	s_wait_loadcnt 0x0
	s_wait_xcnt 0x0
	v_ashrrev_i32_e32 v9, 31, v8
	s_delay_alu instid0(VALU_DEP_1)
	v_lshl_add_u64 v[10:11], v[8:9], 3, v[10:11]
	global_load_b64 v[10:11], v[10:11], off
	global_store_b64 v[12:13], v[8:9], off
	s_wait_loadcnt 0x0
	global_store_b64 v[4:5], v[10:11], off
	s_wait_xcnt 0x0
	s_and_not1_b32 exec_lo, exec_lo, s16
	s_cbranch_execnz .LBB1047_2
.LBB1047_3:
	s_endpgm
	.section	.rodata,"a",@progbits
	.p2align	6, 0x0
	.amdhsa_kernel _ZN2at6native12_GLOBAL__N_123sort_postprocess_kernelIdEEvPKT_PS3_PlPK15HIP_vector_typeIiLj2EEii
		.amdhsa_group_segment_fixed_size 0
		.amdhsa_private_segment_fixed_size 0
		.amdhsa_kernarg_size 296
		.amdhsa_user_sgpr_count 2
		.amdhsa_user_sgpr_dispatch_ptr 0
		.amdhsa_user_sgpr_queue_ptr 0
		.amdhsa_user_sgpr_kernarg_segment_ptr 1
		.amdhsa_user_sgpr_dispatch_id 0
		.amdhsa_user_sgpr_kernarg_preload_length 0
		.amdhsa_user_sgpr_kernarg_preload_offset 0
		.amdhsa_user_sgpr_private_segment_size 0
		.amdhsa_wavefront_size32 1
		.amdhsa_uses_dynamic_stack 0
		.amdhsa_enable_private_segment 0
		.amdhsa_system_sgpr_workgroup_id_x 1
		.amdhsa_system_sgpr_workgroup_id_y 0
		.amdhsa_system_sgpr_workgroup_id_z 0
		.amdhsa_system_sgpr_workgroup_info 0
		.amdhsa_system_vgpr_workitem_id 0
		.amdhsa_next_free_vgpr 16
		.amdhsa_next_free_sgpr 22
		.amdhsa_named_barrier_count 0
		.amdhsa_reserve_vcc 1
		.amdhsa_float_round_mode_32 0
		.amdhsa_float_round_mode_16_64 0
		.amdhsa_float_denorm_mode_32 3
		.amdhsa_float_denorm_mode_16_64 3
		.amdhsa_fp16_overflow 0
		.amdhsa_memory_ordered 1
		.amdhsa_forward_progress 1
		.amdhsa_inst_pref_size 4
		.amdhsa_round_robin_scheduling 0
		.amdhsa_exception_fp_ieee_invalid_op 0
		.amdhsa_exception_fp_denorm_src 0
		.amdhsa_exception_fp_ieee_div_zero 0
		.amdhsa_exception_fp_ieee_overflow 0
		.amdhsa_exception_fp_ieee_underflow 0
		.amdhsa_exception_fp_ieee_inexact 0
		.amdhsa_exception_int_div_zero 0
	.end_amdhsa_kernel
	.section	.text._ZN2at6native12_GLOBAL__N_123sort_postprocess_kernelIdEEvPKT_PS3_PlPK15HIP_vector_typeIiLj2EEii,"axG",@progbits,_ZN2at6native12_GLOBAL__N_123sort_postprocess_kernelIdEEvPKT_PS3_PlPK15HIP_vector_typeIiLj2EEii,comdat
.Lfunc_end1047:
	.size	_ZN2at6native12_GLOBAL__N_123sort_postprocess_kernelIdEEvPKT_PS3_PlPK15HIP_vector_typeIiLj2EEii, .Lfunc_end1047-_ZN2at6native12_GLOBAL__N_123sort_postprocess_kernelIdEEvPKT_PS3_PlPK15HIP_vector_typeIiLj2EEii
                                        ; -- End function
	.set _ZN2at6native12_GLOBAL__N_123sort_postprocess_kernelIdEEvPKT_PS3_PlPK15HIP_vector_typeIiLj2EEii.num_vgpr, 16
	.set _ZN2at6native12_GLOBAL__N_123sort_postprocess_kernelIdEEvPKT_PS3_PlPK15HIP_vector_typeIiLj2EEii.num_agpr, 0
	.set _ZN2at6native12_GLOBAL__N_123sort_postprocess_kernelIdEEvPKT_PS3_PlPK15HIP_vector_typeIiLj2EEii.numbered_sgpr, 22
	.set _ZN2at6native12_GLOBAL__N_123sort_postprocess_kernelIdEEvPKT_PS3_PlPK15HIP_vector_typeIiLj2EEii.num_named_barrier, 0
	.set _ZN2at6native12_GLOBAL__N_123sort_postprocess_kernelIdEEvPKT_PS3_PlPK15HIP_vector_typeIiLj2EEii.private_seg_size, 0
	.set _ZN2at6native12_GLOBAL__N_123sort_postprocess_kernelIdEEvPKT_PS3_PlPK15HIP_vector_typeIiLj2EEii.uses_vcc, 1
	.set _ZN2at6native12_GLOBAL__N_123sort_postprocess_kernelIdEEvPKT_PS3_PlPK15HIP_vector_typeIiLj2EEii.uses_flat_scratch, 0
	.set _ZN2at6native12_GLOBAL__N_123sort_postprocess_kernelIdEEvPKT_PS3_PlPK15HIP_vector_typeIiLj2EEii.has_dyn_sized_stack, 0
	.set _ZN2at6native12_GLOBAL__N_123sort_postprocess_kernelIdEEvPKT_PS3_PlPK15HIP_vector_typeIiLj2EEii.has_recursion, 0
	.set _ZN2at6native12_GLOBAL__N_123sort_postprocess_kernelIdEEvPKT_PS3_PlPK15HIP_vector_typeIiLj2EEii.has_indirect_call, 0
	.section	.AMDGPU.csdata,"",@progbits
; Kernel info:
; codeLenInByte = 504
; TotalNumSgprs: 24
; NumVgprs: 16
; ScratchSize: 0
; MemoryBound: 0
; FloatMode: 240
; IeeeMode: 1
; LDSByteSize: 0 bytes/workgroup (compile time only)
; SGPRBlocks: 0
; VGPRBlocks: 0
; NumSGPRsForWavesPerEU: 24
; NumVGPRsForWavesPerEU: 16
; NamedBarCnt: 0
; Occupancy: 16
; WaveLimiterHint : 1
; COMPUTE_PGM_RSRC2:SCRATCH_EN: 0
; COMPUTE_PGM_RSRC2:USER_SGPR: 2
; COMPUTE_PGM_RSRC2:TRAP_HANDLER: 0
; COMPUTE_PGM_RSRC2:TGID_X_EN: 1
; COMPUTE_PGM_RSRC2:TGID_Y_EN: 0
; COMPUTE_PGM_RSRC2:TGID_Z_EN: 0
; COMPUTE_PGM_RSRC2:TIDIG_COMP_CNT: 0
	.section	.text._ZN7rocprim17ROCPRIM_400000_NS6detail17trampoline_kernelINS0_13select_configILj256ELj13ELNS0_17block_load_methodE3ELS4_3ELS4_3ELNS0_20block_scan_algorithmE0ELj4294967295EEENS1_25partition_config_selectorILNS1_17partition_subalgoE4EjNS0_10empty_typeEbEEZZNS1_14partition_implILS8_4ELb0ES6_15HIP_vector_typeIjLj2EENS0_17counting_iteratorIjlEEPS9_SG_NS0_5tupleIJPjSI_NS0_16reverse_iteratorISI_EEEEENSH_IJSG_SG_SG_EEES9_SI_JZNS1_25segmented_radix_sort_implINS0_14default_configELb1EPKdPdPKlPlN2at6native12_GLOBAL__N_18offset_tEEE10hipError_tPvRmT1_PNSt15iterator_traitsIS12_E10value_typeET2_T3_PNS13_IS18_E10value_typeET4_jRbjT5_S1E_jjP12ihipStream_tbEUljE_ZNSN_ISO_Lb1ESQ_SR_ST_SU_SY_EESZ_S10_S11_S12_S16_S17_S18_S1B_S1C_jS1D_jS1E_S1E_jjS1G_bEUljE0_EEESZ_S10_S11_S18_S1C_S1E_T6_T7_T9_mT8_S1G_bDpT10_ENKUlT_T0_E_clISt17integral_constantIbLb0EES1U_EEDaS1P_S1Q_EUlS1P_E_NS1_11comp_targetILNS1_3genE0ELNS1_11target_archE4294967295ELNS1_3gpuE0ELNS1_3repE0EEENS1_30default_config_static_selectorELNS0_4arch9wavefront6targetE0EEEvS12_,"axG",@progbits,_ZN7rocprim17ROCPRIM_400000_NS6detail17trampoline_kernelINS0_13select_configILj256ELj13ELNS0_17block_load_methodE3ELS4_3ELS4_3ELNS0_20block_scan_algorithmE0ELj4294967295EEENS1_25partition_config_selectorILNS1_17partition_subalgoE4EjNS0_10empty_typeEbEEZZNS1_14partition_implILS8_4ELb0ES6_15HIP_vector_typeIjLj2EENS0_17counting_iteratorIjlEEPS9_SG_NS0_5tupleIJPjSI_NS0_16reverse_iteratorISI_EEEEENSH_IJSG_SG_SG_EEES9_SI_JZNS1_25segmented_radix_sort_implINS0_14default_configELb1EPKdPdPKlPlN2at6native12_GLOBAL__N_18offset_tEEE10hipError_tPvRmT1_PNSt15iterator_traitsIS12_E10value_typeET2_T3_PNS13_IS18_E10value_typeET4_jRbjT5_S1E_jjP12ihipStream_tbEUljE_ZNSN_ISO_Lb1ESQ_SR_ST_SU_SY_EESZ_S10_S11_S12_S16_S17_S18_S1B_S1C_jS1D_jS1E_S1E_jjS1G_bEUljE0_EEESZ_S10_S11_S18_S1C_S1E_T6_T7_T9_mT8_S1G_bDpT10_ENKUlT_T0_E_clISt17integral_constantIbLb0EES1U_EEDaS1P_S1Q_EUlS1P_E_NS1_11comp_targetILNS1_3genE0ELNS1_11target_archE4294967295ELNS1_3gpuE0ELNS1_3repE0EEENS1_30default_config_static_selectorELNS0_4arch9wavefront6targetE0EEEvS12_,comdat
	.globl	_ZN7rocprim17ROCPRIM_400000_NS6detail17trampoline_kernelINS0_13select_configILj256ELj13ELNS0_17block_load_methodE3ELS4_3ELS4_3ELNS0_20block_scan_algorithmE0ELj4294967295EEENS1_25partition_config_selectorILNS1_17partition_subalgoE4EjNS0_10empty_typeEbEEZZNS1_14partition_implILS8_4ELb0ES6_15HIP_vector_typeIjLj2EENS0_17counting_iteratorIjlEEPS9_SG_NS0_5tupleIJPjSI_NS0_16reverse_iteratorISI_EEEEENSH_IJSG_SG_SG_EEES9_SI_JZNS1_25segmented_radix_sort_implINS0_14default_configELb1EPKdPdPKlPlN2at6native12_GLOBAL__N_18offset_tEEE10hipError_tPvRmT1_PNSt15iterator_traitsIS12_E10value_typeET2_T3_PNS13_IS18_E10value_typeET4_jRbjT5_S1E_jjP12ihipStream_tbEUljE_ZNSN_ISO_Lb1ESQ_SR_ST_SU_SY_EESZ_S10_S11_S12_S16_S17_S18_S1B_S1C_jS1D_jS1E_S1E_jjS1G_bEUljE0_EEESZ_S10_S11_S18_S1C_S1E_T6_T7_T9_mT8_S1G_bDpT10_ENKUlT_T0_E_clISt17integral_constantIbLb0EES1U_EEDaS1P_S1Q_EUlS1P_E_NS1_11comp_targetILNS1_3genE0ELNS1_11target_archE4294967295ELNS1_3gpuE0ELNS1_3repE0EEENS1_30default_config_static_selectorELNS0_4arch9wavefront6targetE0EEEvS12_ ; -- Begin function _ZN7rocprim17ROCPRIM_400000_NS6detail17trampoline_kernelINS0_13select_configILj256ELj13ELNS0_17block_load_methodE3ELS4_3ELS4_3ELNS0_20block_scan_algorithmE0ELj4294967295EEENS1_25partition_config_selectorILNS1_17partition_subalgoE4EjNS0_10empty_typeEbEEZZNS1_14partition_implILS8_4ELb0ES6_15HIP_vector_typeIjLj2EENS0_17counting_iteratorIjlEEPS9_SG_NS0_5tupleIJPjSI_NS0_16reverse_iteratorISI_EEEEENSH_IJSG_SG_SG_EEES9_SI_JZNS1_25segmented_radix_sort_implINS0_14default_configELb1EPKdPdPKlPlN2at6native12_GLOBAL__N_18offset_tEEE10hipError_tPvRmT1_PNSt15iterator_traitsIS12_E10value_typeET2_T3_PNS13_IS18_E10value_typeET4_jRbjT5_S1E_jjP12ihipStream_tbEUljE_ZNSN_ISO_Lb1ESQ_SR_ST_SU_SY_EESZ_S10_S11_S12_S16_S17_S18_S1B_S1C_jS1D_jS1E_S1E_jjS1G_bEUljE0_EEESZ_S10_S11_S18_S1C_S1E_T6_T7_T9_mT8_S1G_bDpT10_ENKUlT_T0_E_clISt17integral_constantIbLb0EES1U_EEDaS1P_S1Q_EUlS1P_E_NS1_11comp_targetILNS1_3genE0ELNS1_11target_archE4294967295ELNS1_3gpuE0ELNS1_3repE0EEENS1_30default_config_static_selectorELNS0_4arch9wavefront6targetE0EEEvS12_
	.p2align	8
	.type	_ZN7rocprim17ROCPRIM_400000_NS6detail17trampoline_kernelINS0_13select_configILj256ELj13ELNS0_17block_load_methodE3ELS4_3ELS4_3ELNS0_20block_scan_algorithmE0ELj4294967295EEENS1_25partition_config_selectorILNS1_17partition_subalgoE4EjNS0_10empty_typeEbEEZZNS1_14partition_implILS8_4ELb0ES6_15HIP_vector_typeIjLj2EENS0_17counting_iteratorIjlEEPS9_SG_NS0_5tupleIJPjSI_NS0_16reverse_iteratorISI_EEEEENSH_IJSG_SG_SG_EEES9_SI_JZNS1_25segmented_radix_sort_implINS0_14default_configELb1EPKdPdPKlPlN2at6native12_GLOBAL__N_18offset_tEEE10hipError_tPvRmT1_PNSt15iterator_traitsIS12_E10value_typeET2_T3_PNS13_IS18_E10value_typeET4_jRbjT5_S1E_jjP12ihipStream_tbEUljE_ZNSN_ISO_Lb1ESQ_SR_ST_SU_SY_EESZ_S10_S11_S12_S16_S17_S18_S1B_S1C_jS1D_jS1E_S1E_jjS1G_bEUljE0_EEESZ_S10_S11_S18_S1C_S1E_T6_T7_T9_mT8_S1G_bDpT10_ENKUlT_T0_E_clISt17integral_constantIbLb0EES1U_EEDaS1P_S1Q_EUlS1P_E_NS1_11comp_targetILNS1_3genE0ELNS1_11target_archE4294967295ELNS1_3gpuE0ELNS1_3repE0EEENS1_30default_config_static_selectorELNS0_4arch9wavefront6targetE0EEEvS12_,@function
_ZN7rocprim17ROCPRIM_400000_NS6detail17trampoline_kernelINS0_13select_configILj256ELj13ELNS0_17block_load_methodE3ELS4_3ELS4_3ELNS0_20block_scan_algorithmE0ELj4294967295EEENS1_25partition_config_selectorILNS1_17partition_subalgoE4EjNS0_10empty_typeEbEEZZNS1_14partition_implILS8_4ELb0ES6_15HIP_vector_typeIjLj2EENS0_17counting_iteratorIjlEEPS9_SG_NS0_5tupleIJPjSI_NS0_16reverse_iteratorISI_EEEEENSH_IJSG_SG_SG_EEES9_SI_JZNS1_25segmented_radix_sort_implINS0_14default_configELb1EPKdPdPKlPlN2at6native12_GLOBAL__N_18offset_tEEE10hipError_tPvRmT1_PNSt15iterator_traitsIS12_E10value_typeET2_T3_PNS13_IS18_E10value_typeET4_jRbjT5_S1E_jjP12ihipStream_tbEUljE_ZNSN_ISO_Lb1ESQ_SR_ST_SU_SY_EESZ_S10_S11_S12_S16_S17_S18_S1B_S1C_jS1D_jS1E_S1E_jjS1G_bEUljE0_EEESZ_S10_S11_S18_S1C_S1E_T6_T7_T9_mT8_S1G_bDpT10_ENKUlT_T0_E_clISt17integral_constantIbLb0EES1U_EEDaS1P_S1Q_EUlS1P_E_NS1_11comp_targetILNS1_3genE0ELNS1_11target_archE4294967295ELNS1_3gpuE0ELNS1_3repE0EEENS1_30default_config_static_selectorELNS0_4arch9wavefront6targetE0EEEvS12_: ; @_ZN7rocprim17ROCPRIM_400000_NS6detail17trampoline_kernelINS0_13select_configILj256ELj13ELNS0_17block_load_methodE3ELS4_3ELS4_3ELNS0_20block_scan_algorithmE0ELj4294967295EEENS1_25partition_config_selectorILNS1_17partition_subalgoE4EjNS0_10empty_typeEbEEZZNS1_14partition_implILS8_4ELb0ES6_15HIP_vector_typeIjLj2EENS0_17counting_iteratorIjlEEPS9_SG_NS0_5tupleIJPjSI_NS0_16reverse_iteratorISI_EEEEENSH_IJSG_SG_SG_EEES9_SI_JZNS1_25segmented_radix_sort_implINS0_14default_configELb1EPKdPdPKlPlN2at6native12_GLOBAL__N_18offset_tEEE10hipError_tPvRmT1_PNSt15iterator_traitsIS12_E10value_typeET2_T3_PNS13_IS18_E10value_typeET4_jRbjT5_S1E_jjP12ihipStream_tbEUljE_ZNSN_ISO_Lb1ESQ_SR_ST_SU_SY_EESZ_S10_S11_S12_S16_S17_S18_S1B_S1C_jS1D_jS1E_S1E_jjS1G_bEUljE0_EEESZ_S10_S11_S18_S1C_S1E_T6_T7_T9_mT8_S1G_bDpT10_ENKUlT_T0_E_clISt17integral_constantIbLb0EES1U_EEDaS1P_S1Q_EUlS1P_E_NS1_11comp_targetILNS1_3genE0ELNS1_11target_archE4294967295ELNS1_3gpuE0ELNS1_3repE0EEENS1_30default_config_static_selectorELNS0_4arch9wavefront6targetE0EEEvS12_
; %bb.0:
	s_clause 0x4
	s_load_b128 s[24:27], s[0:1], 0x58
	s_load_b32 s4, s[0:1], 0x80
	s_load_b64 s[34:35], s[0:1], 0x10
	s_load_b64 s[2:3], s[0:1], 0x68
	s_load_b32 s8, s[0:1], 0x8
	s_bfe_u32 s5, ttmp6, 0x4000c
	s_and_b32 s6, ttmp6, 15
	s_add_co_i32 s5, s5, 1
	s_getreg_b32 s7, hwreg(HW_REG_IB_STS2, 6, 4)
	s_mul_i32 s5, ttmp9, s5
	s_load_b64 s[42:43], s[0:1], 0xa8
	s_add_co_i32 s6, s6, s5
	s_cmp_eq_u32 s7, 0
	s_load_b256 s[16:23], s[0:1], 0x88
	s_cselect_b32 s33, ttmp9, s6
	s_mov_b32 s5, 0
	s_mul_i32 s40, s33, 0xd00
	s_wait_kmcnt 0x0
	s_add_co_i32 s9, s4, -1
	s_mulk_i32 s4, 0xd00
	s_load_b128 s[28:31], s[26:27], 0x0
	s_cmp_eq_u32 s33, s9
	s_add_nc_u64 s[6:7], s[34:35], s[4:5]
	s_cselect_b32 s15, -1, 0
	s_cmp_lg_u32 s33, s9
	v_cmp_gt_u64_e64 s3, s[2:3], s[6:7]
	s_cselect_b32 s5, -1, 0
	s_add_co_i32 s6, s8, s40
	s_delay_alu instid0(SALU_CYCLE_1) | instskip(NEXT) | instid1(SALU_CYCLE_1)
	s_add_co_i32 s6, s6, s34
	v_add_nc_u32_e32 v1, s6, v0
	s_or_b32 s3, s5, s3
	s_mov_b32 s5, -1
	s_and_b32 vcc_lo, exec_lo, s3
	s_delay_alu instid0(VALU_DEP_1)
	v_add_nc_u32_e32 v2, 0x100, v1
	v_add_nc_u32_e32 v3, 0x200, v1
	;; [unrolled: 1-line block ×12, first 2 shown]
	s_cbranch_vccz .LBB1048_2
; %bb.1:
	v_lshlrev_b32_e32 v14, 2, v0
	s_mov_b32 s5, 0
	ds_store_2addr_stride64_b32 v14, v1, v2 offset1:4
	ds_store_2addr_stride64_b32 v14, v3, v4 offset0:8 offset1:12
	ds_store_2addr_stride64_b32 v14, v5, v6 offset0:16 offset1:20
	;; [unrolled: 1-line block ×5, first 2 shown]
	ds_store_b32 v14, v13 offset:12288
	s_wait_dscnt 0x0
	s_barrier_signal -1
	s_barrier_wait -1
.LBB1048_2:
	s_and_not1_b32 vcc_lo, exec_lo, s5
	s_add_co_i32 s4, s4, s34
	s_cbranch_vccnz .LBB1048_4
; %bb.3:
	v_lshlrev_b32_e32 v14, 2, v0
	ds_store_2addr_stride64_b32 v14, v1, v2 offset1:4
	ds_store_2addr_stride64_b32 v14, v3, v4 offset0:8 offset1:12
	ds_store_2addr_stride64_b32 v14, v5, v6 offset0:16 offset1:20
	;; [unrolled: 1-line block ×5, first 2 shown]
	ds_store_b32 v14, v13 offset:12288
	s_wait_dscnt 0x0
	s_barrier_signal -1
	s_barrier_wait -1
.LBB1048_4:
	v_mul_u32_u24_e32 v30, 13, v0
	s_load_b128 s[36:39], s[0:1], 0x28
	s_wait_xcnt 0x0
	s_load_b64 s[26:27], s[0:1], 0x38
	v_cndmask_b32_e64 v29, 0, 1, s3
	s_sub_co_i32 s41, s2, s4
	v_lshlrev_b32_e32 v1, 2, v30
	s_and_not1_b32 vcc_lo, exec_lo, s3
	ds_load_b32 v28, v1 offset:48
	ds_load_2addr_b32 v[10:11], v1 offset0:10 offset1:11
	ds_load_2addr_b32 v[12:13], v1 offset0:8 offset1:9
	;; [unrolled: 1-line block ×4, first 2 shown]
	ds_load_2addr_b32 v[20:21], v1 offset1:1
	ds_load_2addr_b32 v[18:19], v1 offset0:2 offset1:3
	s_wait_dscnt 0x0
	s_barrier_signal -1
	s_barrier_wait -1
	s_cbranch_vccnz .LBB1048_32
; %bb.5:
	v_dual_add_nc_u32 v1, s17, v20 :: v_dual_add_nc_u32 v2, s19, v20
	s_mov_b32 s45, 0
	s_mov_b32 s44, 0
	s_mov_b32 s3, exec_lo
	s_delay_alu instid0(VALU_DEP_1) | instskip(SKIP_1) | instid1(VALU_DEP_1)
	v_mul_lo_u32 v1, v1, s16
	v_mul_lo_u32 v2, v2, s18
	v_sub_nc_u32_e32 v1, v1, v2
	s_delay_alu instid0(VALU_DEP_1)
	v_cmp_lt_u32_e32 vcc_lo, s20, v1
	v_cmpx_ge_u32_e64 s20, v1
	s_cbranch_execz .LBB1048_7
; %bb.6:
	v_dual_add_nc_u32 v1, s22, v20 :: v_dual_add_nc_u32 v2, s42, v20
	s_delay_alu instid0(VALU_DEP_1) | instskip(NEXT) | instid1(VALU_DEP_2)
	v_mul_lo_u32 v1, v1, s21
	v_mul_lo_u32 v2, v2, s23
	s_delay_alu instid0(VALU_DEP_1) | instskip(NEXT) | instid1(VALU_DEP_1)
	v_sub_nc_u32_e32 v1, v1, v2
	v_cmp_lt_u32_e64 s2, s43, v1
	s_and_b32 s44, s2, exec_lo
.LBB1048_7:
	s_or_b32 exec_lo, exec_lo, s3
	v_dual_add_nc_u32 v1, s17, v21 :: v_dual_add_nc_u32 v2, s19, v21
	s_mov_b32 s4, exec_lo
	s_delay_alu instid0(VALU_DEP_1) | instskip(NEXT) | instid1(VALU_DEP_2)
	v_mul_lo_u32 v1, v1, s16
	v_mul_lo_u32 v2, v2, s18
	s_delay_alu instid0(VALU_DEP_1) | instskip(NEXT) | instid1(VALU_DEP_1)
	v_sub_nc_u32_e32 v1, v1, v2
	v_cmp_lt_u32_e64 s2, s20, v1
	v_cmpx_ge_u32_e64 s20, v1
	s_cbranch_execz .LBB1048_9
; %bb.8:
	v_dual_add_nc_u32 v1, s22, v21 :: v_dual_add_nc_u32 v2, s42, v21
	s_delay_alu instid0(VALU_DEP_1) | instskip(NEXT) | instid1(VALU_DEP_2)
	v_mul_lo_u32 v1, v1, s21
	v_mul_lo_u32 v2, v2, s23
	s_delay_alu instid0(VALU_DEP_1) | instskip(NEXT) | instid1(VALU_DEP_1)
	v_sub_nc_u32_e32 v1, v1, v2
	v_cmp_lt_u32_e64 s3, s43, v1
	s_and_b32 s45, s3, exec_lo
.LBB1048_9:
	s_or_b32 exec_lo, exec_lo, s4
	v_dual_add_nc_u32 v1, s17, v18 :: v_dual_add_nc_u32 v2, s19, v18
	s_mov_b32 s47, 0
	s_mov_b32 s46, 0
	s_mov_b32 s5, exec_lo
	s_delay_alu instid0(VALU_DEP_1) | instskip(SKIP_1) | instid1(VALU_DEP_1)
	v_mul_lo_u32 v1, v1, s16
	v_mul_lo_u32 v2, v2, s18
	v_sub_nc_u32_e32 v1, v1, v2
	s_delay_alu instid0(VALU_DEP_1)
	v_cmp_lt_u32_e64 s3, s20, v1
	v_cmpx_ge_u32_e64 s20, v1
	s_cbranch_execz .LBB1048_11
; %bb.10:
	v_dual_add_nc_u32 v1, s22, v18 :: v_dual_add_nc_u32 v2, s42, v18
	s_delay_alu instid0(VALU_DEP_1) | instskip(NEXT) | instid1(VALU_DEP_2)
	v_mul_lo_u32 v1, v1, s21
	v_mul_lo_u32 v2, v2, s23
	s_delay_alu instid0(VALU_DEP_1) | instskip(NEXT) | instid1(VALU_DEP_1)
	v_sub_nc_u32_e32 v1, v1, v2
	v_cmp_lt_u32_e64 s4, s43, v1
	s_and_b32 s46, s4, exec_lo
.LBB1048_11:
	s_or_b32 exec_lo, exec_lo, s5
	v_dual_add_nc_u32 v1, s17, v19 :: v_dual_add_nc_u32 v2, s19, v19
	s_mov_b32 s6, exec_lo
	s_delay_alu instid0(VALU_DEP_1) | instskip(NEXT) | instid1(VALU_DEP_2)
	v_mul_lo_u32 v1, v1, s16
	v_mul_lo_u32 v2, v2, s18
	s_delay_alu instid0(VALU_DEP_1) | instskip(NEXT) | instid1(VALU_DEP_1)
	v_sub_nc_u32_e32 v1, v1, v2
	v_cmp_lt_u32_e64 s4, s20, v1
	v_cmpx_ge_u32_e64 s20, v1
	s_cbranch_execz .LBB1048_13
; %bb.12:
	v_dual_add_nc_u32 v1, s22, v19 :: v_dual_add_nc_u32 v2, s42, v19
	s_delay_alu instid0(VALU_DEP_1) | instskip(NEXT) | instid1(VALU_DEP_2)
	v_mul_lo_u32 v1, v1, s21
	v_mul_lo_u32 v2, v2, s23
	s_delay_alu instid0(VALU_DEP_1) | instskip(NEXT) | instid1(VALU_DEP_1)
	v_sub_nc_u32_e32 v1, v1, v2
	v_cmp_lt_u32_e64 s5, s43, v1
	s_and_b32 s47, s5, exec_lo
.LBB1048_13:
	s_or_b32 exec_lo, exec_lo, s6
	v_dual_add_nc_u32 v1, s17, v16 :: v_dual_add_nc_u32 v2, s19, v16
	s_mov_b32 s49, 0
	s_mov_b32 s48, 0
	s_mov_b32 s7, exec_lo
	s_delay_alu instid0(VALU_DEP_1) | instskip(SKIP_1) | instid1(VALU_DEP_1)
	v_mul_lo_u32 v1, v1, s16
	v_mul_lo_u32 v2, v2, s18
	v_sub_nc_u32_e32 v1, v1, v2
	s_delay_alu instid0(VALU_DEP_1)
	v_cmp_lt_u32_e64 s5, s20, v1
	;; [unrolled: 44-line block ×6, first 2 shown]
	v_cmpx_ge_u32_e64 s20, v1
	s_cbranch_execz .LBB1048_31
; %bb.30:
	v_dual_add_nc_u32 v1, s22, v28 :: v_dual_add_nc_u32 v2, s42, v28
	s_delay_alu instid0(VALU_DEP_1) | instskip(NEXT) | instid1(VALU_DEP_2)
	v_mul_lo_u32 v1, v1, s21
	v_mul_lo_u32 v2, v2, s23
	s_delay_alu instid0(VALU_DEP_1) | instskip(NEXT) | instid1(VALU_DEP_1)
	v_sub_nc_u32_e32 v1, v1, v2
	v_cmp_lt_u32_e64 s14, s43, v1
	s_and_b32 s57, s14, exec_lo
.LBB1048_31:
	s_or_b32 exec_lo, exec_lo, s58
	v_cndmask_b32_e64 v2, 0, 1, s2
	v_cndmask_b32_e64 v4, 0, 1, s4
	v_cndmask_b32_e64 v1, 0, 1, vcc_lo
	v_cndmask_b32_e64 v3, 0, 1, s3
	v_cndmask_b32_e64 v6, 0, 1, s6
	v_lshlrev_b16 v2, 8, v2
	v_lshlrev_b16 v4, 8, v4
	v_cndmask_b32_e64 v8, 0, 1, s8
	v_cndmask_b32_e64 v22, 0, 1, s10
	;; [unrolled: 1-line block ×3, first 2 shown]
	v_or_b32_e32 v1, v1, v2
	v_or_b32_e32 v2, v3, v4
	v_cndmask_b32_e64 v4, 0, 1, s46
	v_cndmask_b32_e64 v5, 0, 1, s5
	;; [unrolled: 1-line block ×4, first 2 shown]
	v_lshlrev_b32_e32 v2, 16, v2
	v_and_b32_e32 v1, 0xffff, v1
	v_cndmask_b32_e64 v33, 0, 1, s50
	v_cndmask_b32_e64 v36, 0, 1, s48
	;; [unrolled: 1-line block ×4, first 2 shown]
	v_or_b32_e32 v31, v1, v2
	v_lshlrev_b16 v1, 8, v6
	v_lshlrev_b16 v2, 8, v8
	;; [unrolled: 1-line block ×5, first 2 shown]
	v_cndmask_b32_e64 v7, 0, 1, s7
	v_cndmask_b32_e64 v24, 0, 1, s56
	;; [unrolled: 1-line block ×6, first 2 shown]
	v_lshlrev_b16 v22, 8, v39
	v_or_b32_e32 v4, v37, v4
	v_or_b32_e32 v1, v5, v1
	;; [unrolled: 1-line block ×4, first 2 shown]
	v_lshlrev_b16 v8, 8, v36
	v_lshlrev_b16 v9, 8, v33
	v_cndmask_b32_e64 v26, 0, 1, s54
	v_cndmask_b32_e64 v32, 0, 1, s51
	v_lshlrev_b16 v23, 8, v24
	v_or_b32_e32 v3, v3, v8
	v_or_b32_e32 v8, v35, v9
	;; [unrolled: 1-line block ×4, first 2 shown]
	v_lshlrev_b16 v22, 8, v27
	v_and_b32_e32 v5, 0xffff, v5
	v_lshlrev_b32_e32 v4, 16, v4
	v_and_b32_e32 v1, 0xffff, v1
	v_and_b32_e32 v7, 0xffff, v7
	v_or_b32_e32 v9, v32, v22
	v_or_b32_e32 v22, v26, v23
	v_and_b32_e32 v3, 0xffff, v3
	v_dual_lshlrev_b32 v8, 16, v8 :: v_dual_lshlrev_b32 v2, 16, v2
	s_delay_alu instid0(VALU_DEP_4) | instskip(NEXT) | instid1(VALU_DEP_4)
	v_and_b32_e32 v9, 0xffff, v9
	v_lshlrev_b32_e32 v22, 16, v22
	v_lshlrev_b32_e32 v6, 16, v6
	v_cndmask_b32_e64 v34, 0, 1, s55
	v_cndmask_b32_e64 v38, 0, 1, s57
	v_or_b32_e32 v33, v1, v2
	v_or_b32_e32 v37, v7, v4
	;; [unrolled: 1-line block ×5, first 2 shown]
	s_load_b64 s[4:5], s[0:1], 0x78
	s_and_b32 vcc_lo, exec_lo, s52
	s_add_co_i32 s6, s41, 0xd00
	s_cbranch_vccnz .LBB1048_33
	s_branch .LBB1048_110
.LBB1048_32:
                                        ; implicit-def: $vgpr38
                                        ; implicit-def: $vgpr34
                                        ; implicit-def: $vgpr35
                                        ; implicit-def: $vgpr32
                                        ; implicit-def: $vgpr37
                                        ; implicit-def: $vgpr36
                                        ; implicit-def: $vgpr33
                                        ; implicit-def: $vgpr31
	s_load_b64 s[4:5], s[0:1], 0x78
	s_add_co_i32 s6, s41, 0xd00
	s_cbranch_execz .LBB1048_110
.LBB1048_33:
	v_dual_mov_b32 v2, 0 :: v_dual_mov_b32 v1, 0
	s_wait_xcnt 0x0
	s_mov_b32 s1, exec_lo
	v_cmpx_gt_u32_e64 s6, v30
	s_cbranch_execz .LBB1048_37
; %bb.34:
	v_dual_add_nc_u32 v1, s17, v20 :: v_dual_add_nc_u32 v2, s19, v20
	s_mov_b32 s3, 0
	s_mov_b32 s2, exec_lo
	s_delay_alu instid0(VALU_DEP_1) | instskip(NEXT) | instid1(VALU_DEP_2)
	v_mul_lo_u32 v1, v1, s16
	v_mul_lo_u32 v2, v2, s18
	s_delay_alu instid0(VALU_DEP_1) | instskip(NEXT) | instid1(VALU_DEP_1)
	v_sub_nc_u32_e32 v1, v1, v2
	v_cmp_lt_u32_e32 vcc_lo, s20, v1
	v_cmpx_ge_u32_e64 s20, v1
	s_cbranch_execz .LBB1048_36
; %bb.35:
	v_dual_add_nc_u32 v1, s22, v20 :: v_dual_add_nc_u32 v2, s42, v20
	s_delay_alu instid0(VALU_DEP_1) | instskip(NEXT) | instid1(VALU_DEP_2)
	v_mul_lo_u32 v1, v1, s21
	v_mul_lo_u32 v2, v2, s23
	s_delay_alu instid0(VALU_DEP_1) | instskip(NEXT) | instid1(VALU_DEP_1)
	v_sub_nc_u32_e32 v1, v1, v2
	v_cmp_lt_u32_e64 s0, s43, v1
	s_and_b32 s3, s0, exec_lo
.LBB1048_36:
	s_or_b32 exec_lo, exec_lo, s2
	v_cndmask_b32_e64 v2, 0, 1, s3
	v_cndmask_b32_e64 v1, 0, 1, vcc_lo
.LBB1048_37:
	s_or_b32 exec_lo, exec_lo, s1
	s_delay_alu instid0(VALU_DEP_2) | instskip(SKIP_2) | instid1(VALU_DEP_3)
	v_lshlrev_b16 v2, 8, v2
	v_add_nc_u32_e32 v3, 1, v30
	v_lshlrev_b16 v9, 8, 0
                                        ; implicit-def: $vgpr5
                                        ; implicit-def: $vgpr7
                                        ; implicit-def: $vgpr4
                                        ; implicit-def: $vgpr8
	v_and_b32_e32 v6, 0xffff, v2
	s_delay_alu instid0(VALU_DEP_3) | instskip(NEXT) | instid1(VALU_DEP_2)
	v_cmp_le_u32_e32 vcc_lo, s6, v3
                                        ; implicit-def: $vgpr3
                                        ; implicit-def: $vgpr2
	v_lshrrev_b32_e32 v22, 8, v6
	s_and_saveexec_b32 s0, vcc_lo
	s_delay_alu instid0(SALU_CYCLE_1)
	s_xor_b32 s0, exec_lo, s0
	s_cbranch_execz .LBB1048_39
; %bb.38:
	s_delay_alu instid0(VALU_DEP_1) | instskip(SKIP_3) | instid1(VALU_DEP_4)
	v_lshlrev_b16 v2, 8, v22
	v_bitop3_b16 v3, 0, v9, 0xff bitop3:0xec
	v_and_b32_e32 v8, 0xff, v1
                                        ; implicit-def: $vgpr1
                                        ; implicit-def: $vgpr9
                                        ; implicit-def: $vgpr22
	v_mov_b32_e32 v5, 0
	v_bitop3_b16 v6, v6, v2, 0xff bitop3:0xec
	v_mov_b32_e32 v2, 0
	v_and_b32_e32 v4, 0xffff, v3
	v_and_b32_e32 v3, 0xffff, v3
	s_delay_alu instid0(VALU_DEP_4)
	v_and_b32_e32 v7, 0xffff, v6
                                        ; implicit-def: $vgpr6
.LBB1048_39:
	s_and_not1_saveexec_b32 s1, s0
	s_cbranch_execz .LBB1048_43
; %bb.40:
	v_dual_add_nc_u32 v2, s17, v21 :: v_dual_add_nc_u32 v3, s19, v21
	s_mov_b32 s2, 0
	s_mov_b32 s3, exec_lo
	s_delay_alu instid0(VALU_DEP_1) | instskip(NEXT) | instid1(VALU_DEP_2)
	v_mul_lo_u32 v2, v2, s16
	v_mul_lo_u32 v3, v3, s18
	s_delay_alu instid0(VALU_DEP_1) | instskip(NEXT) | instid1(VALU_DEP_1)
	v_sub_nc_u32_e32 v2, v2, v3
	v_cmp_lt_u32_e32 vcc_lo, s20, v2
	v_cmpx_ge_u32_e64 s20, v2
	s_cbranch_execz .LBB1048_42
; %bb.41:
	v_dual_add_nc_u32 v2, s22, v21 :: v_dual_add_nc_u32 v3, s42, v21
	s_delay_alu instid0(VALU_DEP_1) | instskip(NEXT) | instid1(VALU_DEP_2)
	v_mul_lo_u32 v2, v2, s21
	v_mul_lo_u32 v3, v3, s23
	s_delay_alu instid0(VALU_DEP_1) | instskip(NEXT) | instid1(VALU_DEP_1)
	v_sub_nc_u32_e32 v2, v2, v3
	v_cmp_lt_u32_e64 s0, s43, v2
	s_and_b32 s2, s0, exec_lo
.LBB1048_42:
	s_or_b32 exec_lo, exec_lo, s3
	v_cndmask_b32_e64 v2, 0, 1, vcc_lo
	v_lshlrev_b16 v3, 8, v22
	v_cndmask_b32_e64 v7, 0, 1, s2
	v_mov_b32_e32 v5, 0
	s_delay_alu instid0(VALU_DEP_4) | instskip(NEXT) | instid1(VALU_DEP_4)
	v_lshlrev_b16 v2, 8, v2
	v_bitop3_b16 v3, v6, v3, 0xff bitop3:0xec
	v_bitop3_b16 v6, 0, v9, 0xff bitop3:0xec
	s_delay_alu instid0(VALU_DEP_3) | instskip(NEXT) | instid1(VALU_DEP_3)
	v_bitop3_b16 v1, v1, v2, 0xff bitop3:0xec
	v_and_b32_e32 v3, 0xffff, v3
	v_mov_b32_e32 v2, 0
	s_delay_alu instid0(VALU_DEP_4) | instskip(NEXT) | instid1(VALU_DEP_4)
	v_and_b32_e32 v4, 0xffff, v6
	v_and_b32_e32 v8, 0xffff, v1
	s_delay_alu instid0(VALU_DEP_4)
	v_lshl_or_b32 v7, v7, 16, v3
	v_and_b32_e32 v3, 0xffff, v6
.LBB1048_43:
	s_or_b32 exec_lo, exec_lo, s1
	s_delay_alu instid0(VALU_DEP_3) | instskip(NEXT) | instid1(VALU_DEP_1)
	v_dual_add_nc_u32 v1, 2, v30 :: v_dual_lshrrev_b32 v9, 8, v8
                                        ; implicit-def: $vgpr6
	v_cmp_le_u32_e32 vcc_lo, s6, v1
                                        ; implicit-def: $vgpr1
	s_and_saveexec_b32 s0, vcc_lo
	s_delay_alu instid0(SALU_CYCLE_1)
	s_xor_b32 s0, exec_lo, s0
	s_cbranch_execz .LBB1048_45
; %bb.44:
	v_lshlrev_b16 v1, 8, v9
	v_and_b32_e32 v9, 0xff0000, v7
	v_perm_b32 v4, v4, v4, 0x3060504
	s_delay_alu instid0(VALU_DEP_3) | instskip(NEXT) | instid1(VALU_DEP_1)
	v_bitop3_b16 v1, v8, v1, 0xff bitop3:0xec
	v_and_b32_e32 v1, 0xffff, v1
	s_delay_alu instid0(VALU_DEP_1)
	v_and_or_b32 v6, 0xff000000, v8, v1
	v_perm_b32 v1, v7, v9, 0x3020504
                                        ; implicit-def: $vgpr9
                                        ; implicit-def: $vgpr8
                                        ; implicit-def: $vgpr7
.LBB1048_45:
	s_and_not1_saveexec_b32 s1, s0
	s_cbranch_execz .LBB1048_49
; %bb.46:
	v_dual_add_nc_u32 v1, s17, v18 :: v_dual_add_nc_u32 v6, s19, v18
	s_mov_b32 s2, 0
	s_mov_b32 s3, exec_lo
	s_delay_alu instid0(VALU_DEP_1) | instskip(NEXT) | instid1(VALU_DEP_2)
	v_mul_lo_u32 v1, v1, s16
	v_mul_lo_u32 v6, v6, s18
	s_delay_alu instid0(VALU_DEP_1) | instskip(NEXT) | instid1(VALU_DEP_1)
	v_sub_nc_u32_e32 v1, v1, v6
	v_cmp_lt_u32_e32 vcc_lo, s20, v1
	v_cmpx_ge_u32_e64 s20, v1
	s_cbranch_execz .LBB1048_48
; %bb.47:
	v_dual_add_nc_u32 v1, s22, v18 :: v_dual_add_nc_u32 v6, s42, v18
	s_delay_alu instid0(VALU_DEP_1) | instskip(NEXT) | instid1(VALU_DEP_2)
	v_mul_lo_u32 v1, v1, s21
	v_mul_lo_u32 v6, v6, s23
	s_delay_alu instid0(VALU_DEP_1) | instskip(NEXT) | instid1(VALU_DEP_1)
	v_sub_nc_u32_e32 v1, v1, v6
	v_cmp_lt_u32_e64 s0, s43, v1
	s_and_b32 s2, s0, exec_lo
.LBB1048_48:
	s_or_b32 exec_lo, exec_lo, s3
	v_dual_lshrrev_b32 v1, 24, v8 :: v_dual_lshrrev_b32 v23, 8, v7
	v_cndmask_b32_e64 v6, 0, 1, s2
	v_cndmask_b32_e64 v22, 0, 1, vcc_lo
	v_lshlrev_b16 v9, 8, v9
	s_delay_alu instid0(VALU_DEP_4)
	v_lshlrev_b16 v1, 8, v1
	v_lshrrev_b32_e32 v24, 16, v7
	v_lshlrev_b16 v6, 8, v6
	v_lshlrev_b16 v23, 8, v23
	v_bitop3_b16 v8, v8, v9, 0xff bitop3:0xec
	v_or_b32_e32 v1, v22, v1
	s_delay_alu instid0(VALU_DEP_4) | instskip(NEXT) | instid1(VALU_DEP_4)
	v_bitop3_b16 v6, v24, v6, 0xff bitop3:0xec
	v_bitop3_b16 v7, v7, v23, 0xff bitop3:0xec
	s_delay_alu instid0(VALU_DEP_4) | instskip(NEXT) | instid1(VALU_DEP_3)
	v_and_b32_e32 v8, 0xffff, v8
	v_dual_lshlrev_b32 v1, 16, v1 :: v_dual_lshlrev_b32 v9, 16, v6
	s_delay_alu instid0(VALU_DEP_3) | instskip(NEXT) | instid1(VALU_DEP_2)
	v_and_b32_e32 v7, 0xffff, v7
	v_or_b32_e32 v6, v8, v1
	s_delay_alu instid0(VALU_DEP_2)
	v_or_b32_e32 v1, v7, v9
.LBB1048_49:
	s_or_b32 exec_lo, exec_lo, s1
	v_dual_add_nc_u32 v8, 3, v30 :: v_dual_lshrrev_b32 v9, 24, v5
	v_lshrrev_b32_e32 v7, 16, v5
                                        ; implicit-def: $vgpr31
	s_delay_alu instid0(VALU_DEP_2) | instskip(SKIP_2) | instid1(SALU_CYCLE_1)
	v_cmp_le_u32_e32 vcc_lo, s6, v8
	v_lshrrev_b32_e32 v8, 8, v5
                                        ; implicit-def: $vgpr5
	s_and_saveexec_b32 s0, vcc_lo
	s_xor_b32 s0, exec_lo, s0
	s_cbranch_execz .LBB1048_51
; %bb.50:
	v_lshlrev_b16 v5, 8, v9
	v_lshlrev_b16 v8, 8, v8
	v_perm_b32 v4, v4, v4, 0x3060504
	v_perm_b32 v3, v3, v3, 0x3060504
                                        ; implicit-def: $vgpr9
	s_delay_alu instid0(VALU_DEP_4) | instskip(SKIP_2) | instid1(VALU_DEP_3)
	v_bitop3_b16 v5, v7, v5, 0xff bitop3:0xec
	v_and_b32_e32 v7, 0xff0000, v6
	v_and_b32_e32 v8, 0xffff, v8
	v_lshlrev_b32_e32 v5, 16, v5
	s_delay_alu instid0(VALU_DEP_3) | instskip(NEXT) | instid1(VALU_DEP_2)
	v_perm_b32 v31, v6, v7, 0x3020504
                                        ; implicit-def: $vgpr6
                                        ; implicit-def: $vgpr7
	v_or_b32_e32 v5, v8, v5
                                        ; implicit-def: $vgpr8
.LBB1048_51:
	s_and_not1_saveexec_b32 s1, s0
	s_cbranch_execz .LBB1048_55
; %bb.52:
	v_dual_add_nc_u32 v5, s17, v19 :: v_dual_add_nc_u32 v22, s19, v19
	s_mov_b32 s2, 0
	s_mov_b32 s3, exec_lo
	s_delay_alu instid0(VALU_DEP_1) | instskip(NEXT) | instid1(VALU_DEP_2)
	v_mul_lo_u32 v5, v5, s16
	v_mul_lo_u32 v22, v22, s18
	s_delay_alu instid0(VALU_DEP_1) | instskip(NEXT) | instid1(VALU_DEP_1)
	v_sub_nc_u32_e32 v5, v5, v22
	v_cmp_lt_u32_e32 vcc_lo, s20, v5
	v_cmpx_ge_u32_e64 s20, v5
	s_cbranch_execz .LBB1048_54
; %bb.53:
	v_dual_add_nc_u32 v5, s22, v19 :: v_dual_add_nc_u32 v22, s42, v19
	s_delay_alu instid0(VALU_DEP_1) | instskip(NEXT) | instid1(VALU_DEP_2)
	v_mul_lo_u32 v5, v5, s21
	v_mul_lo_u32 v22, v22, s23
	s_delay_alu instid0(VALU_DEP_1) | instskip(NEXT) | instid1(VALU_DEP_1)
	v_sub_nc_u32_e32 v5, v5, v22
	v_cmp_lt_u32_e64 s0, s43, v5
	s_and_b32 s2, s0, exec_lo
.LBB1048_54:
	s_or_b32 exec_lo, exec_lo, s3
	v_cndmask_b32_e64 v5, 0, 1, vcc_lo
	v_dual_lshrrev_b32 v22, 8, v6 :: v_dual_lshrrev_b32 v24, 16, v6
	v_cndmask_b32_e64 v23, 0, 1, s2
	v_lshlrev_b16 v9, 8, v9
	s_delay_alu instid0(VALU_DEP_4) | instskip(NEXT) | instid1(VALU_DEP_4)
	v_lshlrev_b16 v5, 8, v5
	v_lshlrev_b16 v22, 8, v22
	;; [unrolled: 1-line block ×3, first 2 shown]
	s_delay_alu instid0(VALU_DEP_4) | instskip(NEXT) | instid1(VALU_DEP_4)
	v_bitop3_b16 v7, v7, v9, 0xff bitop3:0xec
	v_bitop3_b16 v5, v24, v5, 0xff bitop3:0xec
	s_delay_alu instid0(VALU_DEP_4) | instskip(NEXT) | instid1(VALU_DEP_3)
	v_bitop3_b16 v6, v6, v22, 0xff bitop3:0xec
	v_dual_lshlrev_b32 v7, 16, v7 :: v_dual_bitop2_b32 v8, v23, v8 bitop3:0x54
	s_delay_alu instid0(VALU_DEP_3) | instskip(NEXT) | instid1(VALU_DEP_3)
	v_lshlrev_b32_e32 v5, 16, v5
	v_and_b32_e32 v6, 0xffff, v6
	s_delay_alu instid0(VALU_DEP_3) | instskip(NEXT) | instid1(VALU_DEP_2)
	v_and_b32_e32 v8, 0xffff, v8
	v_or_b32_e32 v31, v6, v5
	s_delay_alu instid0(VALU_DEP_2)
	v_or_b32_e32 v5, v8, v7
.LBB1048_55:
	s_or_b32 exec_lo, exec_lo, s1
	v_dual_add_nc_u32 v6, 4, v30 :: v_dual_lshrrev_b32 v22, 8, v4
	v_dual_lshrrev_b32 v7, 16, v4 :: v_dual_lshrrev_b32 v23, 24, v4
	s_delay_alu instid0(VALU_DEP_3) | instskip(NEXT) | instid1(VALU_DEP_3)
	v_dual_lshrrev_b32 v9, 24, v5 :: v_dual_lshrrev_b32 v8, 16, v5
	v_cmp_le_u32_e32 vcc_lo, s6, v6
                                        ; implicit-def: $vgpr4
                                        ; implicit-def: $vgpr6
	s_and_saveexec_b32 s0, vcc_lo
	s_delay_alu instid0(SALU_CYCLE_1)
	s_xor_b32 s0, exec_lo, s0
	s_cbranch_execz .LBB1048_57
; %bb.56:
	v_lshlrev_b16 v4, 8, v23
	v_lshlrev_b16 v6, 8, v22
	;; [unrolled: 1-line block ×3, first 2 shown]
	v_perm_b32 v3, v3, v3, 0x3060504
                                        ; implicit-def: $vgpr22
                                        ; implicit-def: $vgpr23
	s_delay_alu instid0(VALU_DEP_4) | instskip(NEXT) | instid1(VALU_DEP_4)
	v_bitop3_b16 v4, v7, v4, 0xff bitop3:0xec
	v_and_b32_e32 v6, 0xffff, v6
	s_delay_alu instid0(VALU_DEP_4) | instskip(NEXT) | instid1(VALU_DEP_3)
	v_bitop3_b16 v7, v8, v9, 0xff bitop3:0xec
                                        ; implicit-def: $vgpr9
	v_lshlrev_b32_e32 v8, 16, v4
	s_delay_alu instid0(VALU_DEP_2) | instskip(NEXT) | instid1(VALU_DEP_2)
	v_perm_b32 v4, v7, v5, 0x5040c00
                                        ; implicit-def: $vgpr5
                                        ; implicit-def: $vgpr7
	v_or_b32_e32 v6, v6, v8
                                        ; implicit-def: $vgpr8
.LBB1048_57:
	s_and_not1_saveexec_b32 s1, s0
	s_cbranch_execz .LBB1048_61
; %bb.58:
	v_dual_add_nc_u32 v4, s17, v16 :: v_dual_add_nc_u32 v6, s19, v16
	s_mov_b32 s2, 0
	s_mov_b32 s3, exec_lo
	s_delay_alu instid0(VALU_DEP_1) | instskip(NEXT) | instid1(VALU_DEP_2)
	v_mul_lo_u32 v4, v4, s16
	v_mul_lo_u32 v6, v6, s18
	s_delay_alu instid0(VALU_DEP_1) | instskip(NEXT) | instid1(VALU_DEP_1)
	v_sub_nc_u32_e32 v4, v4, v6
	v_cmp_lt_u32_e32 vcc_lo, s20, v4
	v_cmpx_ge_u32_e64 s20, v4
	s_cbranch_execz .LBB1048_60
; %bb.59:
	v_dual_add_nc_u32 v4, s22, v16 :: v_dual_add_nc_u32 v6, s42, v16
	s_delay_alu instid0(VALU_DEP_1) | instskip(NEXT) | instid1(VALU_DEP_2)
	v_mul_lo_u32 v4, v4, s21
	v_mul_lo_u32 v6, v6, s23
	s_delay_alu instid0(VALU_DEP_1) | instskip(NEXT) | instid1(VALU_DEP_1)
	v_sub_nc_u32_e32 v4, v4, v6
	v_cmp_lt_u32_e64 s0, s43, v4
	s_and_b32 s2, s0, exec_lo
.LBB1048_60:
	s_or_b32 exec_lo, exec_lo, s3
	v_cndmask_b32_e64 v4, 0, 1, s2
	v_cndmask_b32_e64 v6, 0, 1, vcc_lo
	v_lshlrev_b16 v23, 8, v23
	v_lshlrev_b16 v22, 8, v22
	;; [unrolled: 1-line block ×4, first 2 shown]
	s_delay_alu instid0(VALU_DEP_4) | instskip(NEXT) | instid1(VALU_DEP_4)
	v_bitop3_b16 v7, v7, v23, 0xff bitop3:0xec
	v_or_b32_e32 v6, v6, v22
	s_delay_alu instid0(VALU_DEP_4) | instskip(NEXT) | instid1(VALU_DEP_4)
	v_bitop3_b16 v8, v8, v9, 0xff bitop3:0xec
	v_bitop3_b16 v4, v5, v4, 0xff bitop3:0xec
	s_delay_alu instid0(VALU_DEP_4) | instskip(NEXT) | instid1(VALU_DEP_4)
	v_lshlrev_b32_e32 v5, 16, v7
	v_and_b32_e32 v6, 0xffff, v6
	s_delay_alu instid0(VALU_DEP_4) | instskip(NEXT) | instid1(VALU_DEP_4)
	v_lshlrev_b32_e32 v7, 16, v8
	v_and_b32_e32 v4, 0xffff, v4
	s_delay_alu instid0(VALU_DEP_3) | instskip(NEXT) | instid1(VALU_DEP_2)
	v_or_b32_e32 v6, v6, v5
	v_or_b32_e32 v4, v4, v7
.LBB1048_61:
	s_or_b32 exec_lo, exec_lo, s1
	s_delay_alu instid0(VALU_DEP_1) | instskip(NEXT) | instid1(VALU_DEP_2)
	v_dual_add_nc_u32 v5, 5, v30 :: v_dual_lshrrev_b32 v22, 8, v4
	v_dual_lshrrev_b32 v8, 16, v6 :: v_dual_lshrrev_b32 v9, 24, v6
                                        ; implicit-def: $vgpr7
	s_delay_alu instid0(VALU_DEP_2) | instskip(SKIP_1) | instid1(SALU_CYCLE_1)
	v_cmp_le_u32_e32 vcc_lo, s6, v5
                                        ; implicit-def: $vgpr5
	s_and_saveexec_b32 s0, vcc_lo
	s_xor_b32 s0, exec_lo, s0
	s_cbranch_execz .LBB1048_63
; %bb.62:
	v_lshlrev_b16 v5, 8, v22
	v_lshlrev_b16 v7, 8, v9
	v_perm_b32 v3, v3, v3, 0x3060504
                                        ; implicit-def: $vgpr9
                                        ; implicit-def: $vgpr22
	s_delay_alu instid0(VALU_DEP_3) | instskip(NEXT) | instid1(VALU_DEP_3)
	v_bitop3_b16 v5, v4, v5, 0xff bitop3:0xec
	v_bitop3_b16 v7, v8, v7, 0xff bitop3:0xec
                                        ; implicit-def: $vgpr8
	s_delay_alu instid0(VALU_DEP_2) | instskip(NEXT) | instid1(VALU_DEP_2)
	v_and_b32_e32 v5, 0xffff, v5
	v_perm_b32 v7, v7, v6, 0x5040c00
                                        ; implicit-def: $vgpr6
	s_delay_alu instid0(VALU_DEP_2)
	v_and_or_b32 v5, 0xff000000, v4, v5
                                        ; implicit-def: $vgpr4
.LBB1048_63:
	s_and_not1_saveexec_b32 s1, s0
	s_cbranch_execz .LBB1048_67
; %bb.64:
	v_dual_add_nc_u32 v5, s17, v17 :: v_dual_add_nc_u32 v7, s19, v17
	s_mov_b32 s2, 0
	s_mov_b32 s3, exec_lo
	s_delay_alu instid0(VALU_DEP_1) | instskip(NEXT) | instid1(VALU_DEP_2)
	v_mul_lo_u32 v5, v5, s16
	v_mul_lo_u32 v7, v7, s18
	s_delay_alu instid0(VALU_DEP_1) | instskip(NEXT) | instid1(VALU_DEP_1)
	v_sub_nc_u32_e32 v5, v5, v7
	v_cmp_lt_u32_e32 vcc_lo, s20, v5
	v_cmpx_ge_u32_e64 s20, v5
	s_cbranch_execz .LBB1048_66
; %bb.65:
	v_dual_add_nc_u32 v5, s22, v17 :: v_dual_add_nc_u32 v7, s42, v17
	s_delay_alu instid0(VALU_DEP_1) | instskip(NEXT) | instid1(VALU_DEP_2)
	v_mul_lo_u32 v5, v5, s21
	v_mul_lo_u32 v7, v7, s23
	s_delay_alu instid0(VALU_DEP_1) | instskip(NEXT) | instid1(VALU_DEP_1)
	v_sub_nc_u32_e32 v5, v5, v7
	v_cmp_lt_u32_e64 s0, s43, v5
	s_and_b32 s2, s0, exec_lo
.LBB1048_66:
	s_or_b32 exec_lo, exec_lo, s3
	v_cndmask_b32_e64 v5, 0, 1, vcc_lo
	v_lshrrev_b32_e32 v7, 24, v4
	v_cndmask_b32_e64 v23, 0, 1, s2
	v_lshlrev_b16 v9, 8, v9
	v_lshlrev_b16 v22, 8, v22
	;; [unrolled: 1-line block ×4, first 2 shown]
	s_delay_alu instid0(VALU_DEP_4) | instskip(NEXT) | instid1(VALU_DEP_4)
	v_bitop3_b16 v8, v8, v9, 0xff bitop3:0xec
	v_bitop3_b16 v4, v4, v22, 0xff bitop3:0xec
	s_delay_alu instid0(VALU_DEP_4) | instskip(NEXT) | instid1(VALU_DEP_3)
	v_bitop3_b16 v5, v6, v5, 0xff bitop3:0xec
	v_dual_lshlrev_b32 v7, 16, v8 :: v_dual_bitop2_b32 v6, v23, v7 bitop3:0x54
	s_delay_alu instid0(VALU_DEP_3) | instskip(NEXT) | instid1(VALU_DEP_3)
	v_and_b32_e32 v4, 0xffff, v4
	v_and_b32_e32 v5, 0xffff, v5
	s_delay_alu instid0(VALU_DEP_1) | instskip(NEXT) | instid1(VALU_DEP_1)
	v_dual_lshlrev_b32 v6, 16, v6 :: v_dual_bitop2_b32 v7, v5, v7 bitop3:0x54
	v_or_b32_e32 v5, v4, v6
.LBB1048_67:
	s_or_b32 exec_lo, exec_lo, s1
	s_delay_alu instid0(VALU_DEP_2) | instskip(NEXT) | instid1(VALU_DEP_1)
	v_dual_add_nc_u32 v4, 6, v30 :: v_dual_lshrrev_b32 v6, 8, v7
                                        ; implicit-def: $vgpr32
	v_cmp_le_u32_e32 vcc_lo, s6, v4
                                        ; implicit-def: $vgpr4
	s_and_saveexec_b32 s0, vcc_lo
	s_delay_alu instid0(SALU_CYCLE_1)
	s_xor_b32 s0, exec_lo, s0
	s_cbranch_execz .LBB1048_69
; %bb.68:
	v_lshlrev_b16 v4, 8, v6
	v_and_b32_e32 v6, 0xff0000, v5
	v_perm_b32 v3, v3, v3, 0x3060504
	s_delay_alu instid0(VALU_DEP_3) | instskip(NEXT) | instid1(VALU_DEP_3)
	v_bitop3_b16 v4, v7, v4, 0xff bitop3:0xec
	v_perm_b32 v32, v5, v6, 0x3020504
                                        ; implicit-def: $vgpr6
                                        ; implicit-def: $vgpr5
	s_delay_alu instid0(VALU_DEP_2) | instskip(NEXT) | instid1(VALU_DEP_1)
	v_and_b32_e32 v4, 0xffff, v4
	v_and_or_b32 v4, 0xff000000, v7, v4
                                        ; implicit-def: $vgpr7
.LBB1048_69:
	s_and_not1_saveexec_b32 s1, s0
	s_cbranch_execz .LBB1048_73
; %bb.70:
	v_dual_add_nc_u32 v4, s17, v14 :: v_dual_add_nc_u32 v8, s19, v14
	s_mov_b32 s2, 0
	s_mov_b32 s3, exec_lo
	s_delay_alu instid0(VALU_DEP_1) | instskip(NEXT) | instid1(VALU_DEP_2)
	v_mul_lo_u32 v4, v4, s16
	v_mul_lo_u32 v8, v8, s18
	s_delay_alu instid0(VALU_DEP_1) | instskip(NEXT) | instid1(VALU_DEP_1)
	v_sub_nc_u32_e32 v4, v4, v8
	v_cmp_lt_u32_e32 vcc_lo, s20, v4
	v_cmpx_ge_u32_e64 s20, v4
	s_cbranch_execz .LBB1048_72
; %bb.71:
	v_dual_add_nc_u32 v4, s22, v14 :: v_dual_add_nc_u32 v8, s42, v14
	s_delay_alu instid0(VALU_DEP_1) | instskip(NEXT) | instid1(VALU_DEP_2)
	v_mul_lo_u32 v4, v4, s21
	v_mul_lo_u32 v8, v8, s23
	s_delay_alu instid0(VALU_DEP_1) | instskip(NEXT) | instid1(VALU_DEP_1)
	v_sub_nc_u32_e32 v4, v4, v8
	v_cmp_lt_u32_e64 s0, s43, v4
	s_and_b32 s2, s0, exec_lo
.LBB1048_72:
	s_or_b32 exec_lo, exec_lo, s3
	v_dual_lshrrev_b32 v4, 24, v7 :: v_dual_lshrrev_b32 v22, 8, v5
	v_cndmask_b32_e64 v8, 0, 1, s2
	v_cndmask_b32_e64 v9, 0, 1, vcc_lo
	v_lshlrev_b16 v6, 8, v6
	s_delay_alu instid0(VALU_DEP_4)
	v_lshlrev_b16 v4, 8, v4
	v_lshrrev_b32_e32 v23, 16, v5
	v_lshlrev_b16 v8, 8, v8
	v_lshlrev_b16 v22, 8, v22
	v_bitop3_b16 v6, v7, v6, 0xff bitop3:0xec
	v_or_b32_e32 v4, v9, v4
	s_delay_alu instid0(VALU_DEP_4) | instskip(NEXT) | instid1(VALU_DEP_4)
	v_bitop3_b16 v7, v23, v8, 0xff bitop3:0xec
	v_bitop3_b16 v5, v5, v22, 0xff bitop3:0xec
	s_delay_alu instid0(VALU_DEP_4) | instskip(NEXT) | instid1(VALU_DEP_3)
	v_and_b32_e32 v6, 0xffff, v6
	v_dual_lshlrev_b32 v4, 16, v4 :: v_dual_lshlrev_b32 v7, 16, v7
	s_delay_alu instid0(VALU_DEP_3) | instskip(NEXT) | instid1(VALU_DEP_2)
	v_and_b32_e32 v5, 0xffff, v5
	v_or_b32_e32 v4, v6, v4
	s_delay_alu instid0(VALU_DEP_2)
	v_or_b32_e32 v32, v5, v7
.LBB1048_73:
	s_or_b32 exec_lo, exec_lo, s1
	v_dual_add_nc_u32 v7, 7, v30 :: v_dual_lshrrev_b32 v5, 8, v3
	v_lshrrev_b32_e32 v6, 16, v3
                                        ; implicit-def: $vgpr33
	s_delay_alu instid0(VALU_DEP_2) | instskip(SKIP_2) | instid1(SALU_CYCLE_1)
	v_cmp_le_u32_e32 vcc_lo, s6, v7
	v_lshrrev_b32_e32 v7, 24, v3
                                        ; implicit-def: $vgpr3
	s_and_saveexec_b32 s0, vcc_lo
	s_xor_b32 s0, exec_lo, s0
	s_cbranch_execz .LBB1048_75
; %bb.74:
	s_delay_alu instid0(VALU_DEP_1) | instskip(SKIP_1) | instid1(VALU_DEP_2)
	v_lshlrev_b16 v3, 8, v7
	v_lshlrev_b16 v5, 8, v5
                                        ; implicit-def: $vgpr7
	v_bitop3_b16 v3, v6, v3, 0xff bitop3:0xec
	v_and_b32_e32 v6, 0xff0000, v4
	s_delay_alu instid0(VALU_DEP_3) | instskip(NEXT) | instid1(VALU_DEP_3)
	v_and_b32_e32 v5, 0xffff, v5
	v_lshlrev_b32_e32 v3, 16, v3
	s_delay_alu instid0(VALU_DEP_3) | instskip(NEXT) | instid1(VALU_DEP_2)
	v_perm_b32 v33, v4, v6, 0x3020504
                                        ; implicit-def: $vgpr4
                                        ; implicit-def: $vgpr6
	v_or_b32_e32 v3, v5, v3
                                        ; implicit-def: $vgpr5
.LBB1048_75:
	s_and_not1_saveexec_b32 s1, s0
	s_cbranch_execz .LBB1048_79
; %bb.76:
	v_dual_add_nc_u32 v3, s17, v15 :: v_dual_add_nc_u32 v8, s19, v15
	s_mov_b32 s2, 0
	s_mov_b32 s3, exec_lo
	s_delay_alu instid0(VALU_DEP_1) | instskip(NEXT) | instid1(VALU_DEP_2)
	v_mul_lo_u32 v3, v3, s16
	v_mul_lo_u32 v8, v8, s18
	s_delay_alu instid0(VALU_DEP_1) | instskip(NEXT) | instid1(VALU_DEP_1)
	v_sub_nc_u32_e32 v3, v3, v8
	v_cmp_lt_u32_e32 vcc_lo, s20, v3
	v_cmpx_ge_u32_e64 s20, v3
	s_cbranch_execz .LBB1048_78
; %bb.77:
	v_dual_add_nc_u32 v3, s22, v15 :: v_dual_add_nc_u32 v8, s42, v15
	s_delay_alu instid0(VALU_DEP_1) | instskip(NEXT) | instid1(VALU_DEP_2)
	v_mul_lo_u32 v3, v3, s21
	v_mul_lo_u32 v8, v8, s23
	s_delay_alu instid0(VALU_DEP_1) | instskip(NEXT) | instid1(VALU_DEP_1)
	v_sub_nc_u32_e32 v3, v3, v8
	v_cmp_lt_u32_e64 s0, s43, v3
	s_and_b32 s2, s0, exec_lo
.LBB1048_78:
	s_or_b32 exec_lo, exec_lo, s3
	v_cndmask_b32_e64 v3, 0, 1, vcc_lo
	v_dual_lshrrev_b32 v8, 8, v4 :: v_dual_lshrrev_b32 v22, 16, v4
	v_cndmask_b32_e64 v9, 0, 1, s2
	v_lshlrev_b16 v7, 8, v7
	s_delay_alu instid0(VALU_DEP_4) | instskip(NEXT) | instid1(VALU_DEP_4)
	v_lshlrev_b16 v3, 8, v3
	v_lshlrev_b16 v8, 8, v8
	;; [unrolled: 1-line block ×3, first 2 shown]
	s_delay_alu instid0(VALU_DEP_4) | instskip(NEXT) | instid1(VALU_DEP_4)
	v_bitop3_b16 v6, v6, v7, 0xff bitop3:0xec
	v_bitop3_b16 v3, v22, v3, 0xff bitop3:0xec
	s_delay_alu instid0(VALU_DEP_4) | instskip(NEXT) | instid1(VALU_DEP_3)
	v_bitop3_b16 v4, v4, v8, 0xff bitop3:0xec
	v_dual_lshlrev_b32 v6, 16, v6 :: v_dual_bitop2_b32 v5, v9, v5 bitop3:0x54
	s_delay_alu instid0(VALU_DEP_3) | instskip(NEXT) | instid1(VALU_DEP_3)
	v_lshlrev_b32_e32 v3, 16, v3
	v_and_b32_e32 v4, 0xffff, v4
	s_delay_alu instid0(VALU_DEP_3) | instskip(NEXT) | instid1(VALU_DEP_2)
	v_and_b32_e32 v5, 0xffff, v5
	v_or_b32_e32 v33, v4, v3
	s_delay_alu instid0(VALU_DEP_2)
	v_or_b32_e32 v3, v5, v6
.LBB1048_79:
	s_or_b32 exec_lo, exec_lo, s1
	s_delay_alu instid0(VALU_DEP_1) | instskip(SKIP_2) | instid1(VALU_DEP_3)
	v_dual_add_nc_u32 v4, 8, v30 :: v_dual_lshrrev_b32 v5, 16, v3
	v_dual_lshrrev_b32 v6, 24, v3 :: v_dual_lshrrev_b32 v9, 24, v2
	v_dual_lshrrev_b32 v7, 16, v2 :: v_dual_lshrrev_b32 v8, 8, v2
	v_cmp_le_u32_e32 vcc_lo, s6, v4
                                        ; implicit-def: $vgpr2
                                        ; implicit-def: $vgpr4
	s_and_saveexec_b32 s0, vcc_lo
	s_delay_alu instid0(SALU_CYCLE_1)
	s_xor_b32 s0, exec_lo, s0
	s_cbranch_execz .LBB1048_81
; %bb.80:
	v_lshlrev_b16 v2, 8, v9
	v_lshlrev_b16 v4, 8, v8
	;; [unrolled: 1-line block ×3, first 2 shown]
	v_perm_b32 v1, v1, v1, 0x3060504
                                        ; implicit-def: $vgpr9
                                        ; implicit-def: $vgpr8
	s_delay_alu instid0(VALU_DEP_4) | instskip(NEXT) | instid1(VALU_DEP_4)
	v_bitop3_b16 v2, v7, v2, 0xff bitop3:0xec
	v_and_b32_e32 v4, 0xffff, v4
	s_delay_alu instid0(VALU_DEP_4) | instskip(NEXT) | instid1(VALU_DEP_3)
	v_bitop3_b16 v5, v5, v6, 0xff bitop3:0xec
                                        ; implicit-def: $vgpr6
                                        ; implicit-def: $vgpr7
	v_lshlrev_b32_e32 v2, 16, v2
	s_delay_alu instid0(VALU_DEP_1) | instskip(NEXT) | instid1(VALU_DEP_3)
	v_or_b32_e32 v4, v4, v2
	v_perm_b32 v2, v5, v3, 0x5040c00
                                        ; implicit-def: $vgpr3
                                        ; implicit-def: $vgpr5
.LBB1048_81:
	s_and_not1_saveexec_b32 s1, s0
	s_cbranch_execz .LBB1048_85
; %bb.82:
	v_dual_add_nc_u32 v2, s17, v12 :: v_dual_add_nc_u32 v4, s19, v12
	s_mov_b32 s2, 0
	s_mov_b32 s3, exec_lo
	s_delay_alu instid0(VALU_DEP_1) | instskip(NEXT) | instid1(VALU_DEP_2)
	v_mul_lo_u32 v2, v2, s16
	v_mul_lo_u32 v4, v4, s18
	s_delay_alu instid0(VALU_DEP_1) | instskip(NEXT) | instid1(VALU_DEP_1)
	v_sub_nc_u32_e32 v2, v2, v4
	v_cmp_lt_u32_e32 vcc_lo, s20, v2
	v_cmpx_ge_u32_e64 s20, v2
	s_cbranch_execz .LBB1048_84
; %bb.83:
	v_dual_add_nc_u32 v2, s22, v12 :: v_dual_add_nc_u32 v4, s42, v12
	s_delay_alu instid0(VALU_DEP_1) | instskip(NEXT) | instid1(VALU_DEP_2)
	v_mul_lo_u32 v2, v2, s21
	v_mul_lo_u32 v4, v4, s23
	s_delay_alu instid0(VALU_DEP_1) | instskip(NEXT) | instid1(VALU_DEP_1)
	v_sub_nc_u32_e32 v2, v2, v4
	v_cmp_lt_u32_e64 s0, s43, v2
	s_and_b32 s2, s0, exec_lo
.LBB1048_84:
	s_or_b32 exec_lo, exec_lo, s3
	v_cndmask_b32_e64 v2, 0, 1, s2
	v_cndmask_b32_e64 v4, 0, 1, vcc_lo
	v_lshlrev_b16 v9, 8, v9
	v_lshlrev_b16 v8, 8, v8
	;; [unrolled: 1-line block ×4, first 2 shown]
	s_delay_alu instid0(VALU_DEP_4) | instskip(NEXT) | instid1(VALU_DEP_4)
	v_bitop3_b16 v7, v7, v9, 0xff bitop3:0xec
	v_or_b32_e32 v4, v4, v8
	s_delay_alu instid0(VALU_DEP_4) | instskip(NEXT) | instid1(VALU_DEP_4)
	v_bitop3_b16 v5, v5, v6, 0xff bitop3:0xec
	v_bitop3_b16 v2, v3, v2, 0xff bitop3:0xec
	s_delay_alu instid0(VALU_DEP_4) | instskip(NEXT) | instid1(VALU_DEP_4)
	v_lshlrev_b32_e32 v3, 16, v7
	v_and_b32_e32 v4, 0xffff, v4
	s_delay_alu instid0(VALU_DEP_4) | instskip(NEXT) | instid1(VALU_DEP_4)
	v_lshlrev_b32_e32 v5, 16, v5
	v_and_b32_e32 v2, 0xffff, v2
	s_delay_alu instid0(VALU_DEP_3) | instskip(NEXT) | instid1(VALU_DEP_2)
	v_or_b32_e32 v4, v4, v3
	v_or_b32_e32 v2, v2, v5
.LBB1048_85:
	s_or_b32 exec_lo, exec_lo, s1
	s_delay_alu instid0(VALU_DEP_2) | instskip(NEXT) | instid1(VALU_DEP_2)
	v_dual_add_nc_u32 v3, 9, v30 :: v_dual_lshrrev_b32 v8, 24, v4
	v_dual_lshrrev_b32 v7, 8, v2 :: v_dual_lshrrev_b32 v6, 16, v4
                                        ; implicit-def: $vgpr5
	s_delay_alu instid0(VALU_DEP_2) | instskip(SKIP_1) | instid1(SALU_CYCLE_1)
	v_cmp_le_u32_e32 vcc_lo, s6, v3
                                        ; implicit-def: $vgpr3
	s_and_saveexec_b32 s0, vcc_lo
	s_xor_b32 s0, exec_lo, s0
	s_cbranch_execz .LBB1048_87
; %bb.86:
	v_lshlrev_b16 v3, 8, v7
	v_lshlrev_b16 v5, 8, v8
	v_perm_b32 v1, v1, v1, 0x3060504
                                        ; implicit-def: $vgpr7
                                        ; implicit-def: $vgpr8
	s_delay_alu instid0(VALU_DEP_3) | instskip(NEXT) | instid1(VALU_DEP_3)
	v_bitop3_b16 v3, v2, v3, 0xff bitop3:0xec
	v_bitop3_b16 v5, v6, v5, 0xff bitop3:0xec
                                        ; implicit-def: $vgpr6
	s_delay_alu instid0(VALU_DEP_2) | instskip(NEXT) | instid1(VALU_DEP_2)
	v_and_b32_e32 v3, 0xffff, v3
	v_perm_b32 v5, v5, v4, 0x5040c00
                                        ; implicit-def: $vgpr4
	s_delay_alu instid0(VALU_DEP_2)
	v_and_or_b32 v3, 0xff000000, v2, v3
                                        ; implicit-def: $vgpr2
.LBB1048_87:
	s_and_not1_saveexec_b32 s1, s0
	s_cbranch_execz .LBB1048_91
; %bb.88:
	v_dual_add_nc_u32 v3, s17, v13 :: v_dual_add_nc_u32 v5, s19, v13
	s_mov_b32 s2, 0
	s_mov_b32 s3, exec_lo
	s_delay_alu instid0(VALU_DEP_1) | instskip(NEXT) | instid1(VALU_DEP_2)
	v_mul_lo_u32 v3, v3, s16
	v_mul_lo_u32 v5, v5, s18
	s_delay_alu instid0(VALU_DEP_1) | instskip(NEXT) | instid1(VALU_DEP_1)
	v_sub_nc_u32_e32 v3, v3, v5
	v_cmp_lt_u32_e32 vcc_lo, s20, v3
	v_cmpx_ge_u32_e64 s20, v3
	s_cbranch_execz .LBB1048_90
; %bb.89:
	v_dual_add_nc_u32 v3, s22, v13 :: v_dual_add_nc_u32 v5, s42, v13
	s_delay_alu instid0(VALU_DEP_1) | instskip(NEXT) | instid1(VALU_DEP_2)
	v_mul_lo_u32 v3, v3, s21
	v_mul_lo_u32 v5, v5, s23
	s_delay_alu instid0(VALU_DEP_1) | instskip(NEXT) | instid1(VALU_DEP_1)
	v_sub_nc_u32_e32 v3, v3, v5
	v_cmp_lt_u32_e64 s0, s43, v3
	s_and_b32 s2, s0, exec_lo
.LBB1048_90:
	s_or_b32 exec_lo, exec_lo, s3
	v_cndmask_b32_e64 v3, 0, 1, vcc_lo
	v_lshrrev_b32_e32 v5, 24, v2
	v_cndmask_b32_e64 v9, 0, 1, s2
	v_lshlrev_b16 v8, 8, v8
	v_lshlrev_b16 v7, 8, v7
	;; [unrolled: 1-line block ×4, first 2 shown]
	s_delay_alu instid0(VALU_DEP_4) | instskip(NEXT) | instid1(VALU_DEP_4)
	v_bitop3_b16 v6, v6, v8, 0xff bitop3:0xec
	v_bitop3_b16 v2, v2, v7, 0xff bitop3:0xec
	s_delay_alu instid0(VALU_DEP_4) | instskip(NEXT) | instid1(VALU_DEP_3)
	v_bitop3_b16 v3, v4, v3, 0xff bitop3:0xec
	v_dual_lshlrev_b32 v5, 16, v6 :: v_dual_bitop2_b32 v4, v9, v5 bitop3:0x54
	s_delay_alu instid0(VALU_DEP_3) | instskip(NEXT) | instid1(VALU_DEP_3)
	v_and_b32_e32 v2, 0xffff, v2
	v_and_b32_e32 v3, 0xffff, v3
	s_delay_alu instid0(VALU_DEP_1) | instskip(NEXT) | instid1(VALU_DEP_1)
	v_dual_lshlrev_b32 v4, 16, v4 :: v_dual_bitop2_b32 v5, v3, v5 bitop3:0x54
	v_or_b32_e32 v3, v2, v4
.LBB1048_91:
	s_or_b32 exec_lo, exec_lo, s1
	s_delay_alu instid0(VALU_DEP_2) | instskip(NEXT) | instid1(VALU_DEP_1)
	v_dual_add_nc_u32 v2, 10, v30 :: v_dual_lshrrev_b32 v4, 8, v5
                                        ; implicit-def: $vgpr35
	v_cmp_le_u32_e32 vcc_lo, s6, v2
                                        ; implicit-def: $vgpr2
	s_and_saveexec_b32 s0, vcc_lo
	s_delay_alu instid0(SALU_CYCLE_1)
	s_xor_b32 s0, exec_lo, s0
	s_cbranch_execz .LBB1048_93
; %bb.92:
	v_lshlrev_b16 v2, 8, v4
	v_and_b32_e32 v4, 0xff0000, v3
	v_perm_b32 v1, v1, v1, 0x3060504
	s_delay_alu instid0(VALU_DEP_3) | instskip(NEXT) | instid1(VALU_DEP_3)
	v_bitop3_b16 v2, v5, v2, 0xff bitop3:0xec
	v_perm_b32 v35, v3, v4, 0x3020504
                                        ; implicit-def: $vgpr4
                                        ; implicit-def: $vgpr3
	s_delay_alu instid0(VALU_DEP_2) | instskip(NEXT) | instid1(VALU_DEP_1)
	v_and_b32_e32 v2, 0xffff, v2
	v_and_or_b32 v2, 0xff000000, v5, v2
                                        ; implicit-def: $vgpr5
.LBB1048_93:
	s_and_not1_saveexec_b32 s1, s0
	s_cbranch_execz .LBB1048_97
; %bb.94:
	v_dual_add_nc_u32 v2, s17, v10 :: v_dual_add_nc_u32 v6, s19, v10
	s_mov_b32 s2, 0
	s_mov_b32 s3, exec_lo
	s_delay_alu instid0(VALU_DEP_1) | instskip(NEXT) | instid1(VALU_DEP_2)
	v_mul_lo_u32 v2, v2, s16
	v_mul_lo_u32 v6, v6, s18
	s_delay_alu instid0(VALU_DEP_1) | instskip(NEXT) | instid1(VALU_DEP_1)
	v_sub_nc_u32_e32 v2, v2, v6
	v_cmp_lt_u32_e32 vcc_lo, s20, v2
	v_cmpx_ge_u32_e64 s20, v2
	s_cbranch_execz .LBB1048_96
; %bb.95:
	v_dual_add_nc_u32 v2, s22, v10 :: v_dual_add_nc_u32 v6, s42, v10
	s_delay_alu instid0(VALU_DEP_1) | instskip(NEXT) | instid1(VALU_DEP_2)
	v_mul_lo_u32 v2, v2, s21
	v_mul_lo_u32 v6, v6, s23
	s_delay_alu instid0(VALU_DEP_1) | instskip(NEXT) | instid1(VALU_DEP_1)
	v_sub_nc_u32_e32 v2, v2, v6
	v_cmp_lt_u32_e64 s0, s43, v2
	s_and_b32 s2, s0, exec_lo
.LBB1048_96:
	s_or_b32 exec_lo, exec_lo, s3
	v_dual_lshrrev_b32 v2, 24, v5 :: v_dual_lshrrev_b32 v8, 8, v3
	v_cndmask_b32_e64 v6, 0, 1, s2
	v_cndmask_b32_e64 v7, 0, 1, vcc_lo
	v_lshlrev_b16 v4, 8, v4
	s_delay_alu instid0(VALU_DEP_4)
	v_lshlrev_b16 v2, 8, v2
	v_lshrrev_b32_e32 v9, 16, v3
	v_lshlrev_b16 v6, 8, v6
	v_lshlrev_b16 v8, 8, v8
	v_bitop3_b16 v4, v5, v4, 0xff bitop3:0xec
	v_or_b32_e32 v2, v7, v2
	s_delay_alu instid0(VALU_DEP_4) | instskip(NEXT) | instid1(VALU_DEP_4)
	v_bitop3_b16 v5, v9, v6, 0xff bitop3:0xec
	v_bitop3_b16 v3, v3, v8, 0xff bitop3:0xec
	s_delay_alu instid0(VALU_DEP_4) | instskip(NEXT) | instid1(VALU_DEP_3)
	v_and_b32_e32 v4, 0xffff, v4
	v_dual_lshlrev_b32 v2, 16, v2 :: v_dual_lshlrev_b32 v5, 16, v5
	s_delay_alu instid0(VALU_DEP_3) | instskip(NEXT) | instid1(VALU_DEP_2)
	v_and_b32_e32 v3, 0xffff, v3
	v_or_b32_e32 v2, v4, v2
	s_delay_alu instid0(VALU_DEP_2)
	v_or_b32_e32 v35, v3, v5
.LBB1048_97:
	s_or_b32 exec_lo, exec_lo, s1
	v_dual_mov_b32 v34, 0 :: v_dual_add_nc_u32 v3, 11, v30
	s_mov_b32 s0, exec_lo
                                        ; implicit-def: $vgpr36
	s_delay_alu instid0(VALU_DEP_1)
	v_cmpx_le_u32_e64 s6, v3
	s_xor_b32 s0, exec_lo, s0
; %bb.98:
	v_and_b32_e32 v3, 0xff0000, v2
	v_perm_b32 v1, v1, v1, 0x3060504
	s_delay_alu instid0(VALU_DEP_2)
	v_perm_b32 v36, v2, v3, 0x3020504
                                        ; implicit-def: $vgpr2
; %bb.99:
	s_and_not1_saveexec_b32 s1, s0
	s_cbranch_execz .LBB1048_103
; %bb.100:
	v_dual_add_nc_u32 v3, s17, v11 :: v_dual_add_nc_u32 v4, s19, v11
	s_mov_b32 s2, 0
	s_mov_b32 s3, exec_lo
	s_delay_alu instid0(VALU_DEP_1) | instskip(NEXT) | instid1(VALU_DEP_2)
	v_mul_lo_u32 v3, v3, s16
	v_mul_lo_u32 v4, v4, s18
	s_delay_alu instid0(VALU_DEP_1) | instskip(NEXT) | instid1(VALU_DEP_1)
	v_sub_nc_u32_e32 v3, v3, v4
	v_cmp_lt_u32_e32 vcc_lo, s20, v3
	v_cmpx_ge_u32_e64 s20, v3
	s_cbranch_execz .LBB1048_102
; %bb.101:
	v_dual_add_nc_u32 v3, s22, v11 :: v_dual_add_nc_u32 v4, s42, v11
	s_delay_alu instid0(VALU_DEP_1) | instskip(NEXT) | instid1(VALU_DEP_2)
	v_mul_lo_u32 v3, v3, s21
	v_mul_lo_u32 v4, v4, s23
	s_delay_alu instid0(VALU_DEP_1) | instskip(NEXT) | instid1(VALU_DEP_1)
	v_sub_nc_u32_e32 v3, v3, v4
	v_cmp_lt_u32_e64 s0, s43, v3
	s_and_b32 s2, s0, exec_lo
.LBB1048_102:
	s_or_b32 exec_lo, exec_lo, s3
	v_cndmask_b32_e64 v3, 0, 1, vcc_lo
	v_dual_lshrrev_b32 v4, 8, v2 :: v_dual_lshrrev_b32 v5, 16, v2
	v_cndmask_b32_e64 v34, 0, 1, s2
	s_delay_alu instid0(VALU_DEP_3) | instskip(NEXT) | instid1(VALU_DEP_3)
	v_lshlrev_b16 v3, 8, v3
	v_lshlrev_b16 v4, 8, v4
	s_delay_alu instid0(VALU_DEP_2) | instskip(NEXT) | instid1(VALU_DEP_2)
	v_bitop3_b16 v3, v5, v3, 0xff bitop3:0xec
	v_bitop3_b16 v2, v2, v4, 0xff bitop3:0xec
	s_delay_alu instid0(VALU_DEP_2) | instskip(NEXT) | instid1(VALU_DEP_2)
	v_lshlrev_b32_e32 v3, 16, v3
	v_and_b32_e32 v2, 0xffff, v2
	s_delay_alu instid0(VALU_DEP_1)
	v_or_b32_e32 v36, v2, v3
.LBB1048_103:
	s_or_b32 exec_lo, exec_lo, s1
	v_dual_add_nc_u32 v4, 12, v30 :: v_dual_lshrrev_b32 v2, 8, v1
	v_dual_lshrrev_b32 v3, 16, v1 :: v_dual_lshrrev_b32 v1, 24, v1
	s_mov_b32 s0, exec_lo
                                        ; implicit-def: $vgpr37
	s_delay_alu instid0(VALU_DEP_2)
	v_cmpx_le_u32_e64 s6, v4
	s_xor_b32 s0, exec_lo, s0
; %bb.104:
	s_delay_alu instid0(VALU_DEP_2) | instskip(SKIP_1) | instid1(VALU_DEP_2)
	v_lshlrev_b16 v1, 8, v1
	v_lshlrev_b16 v2, 8, v2
	v_bitop3_b16 v1, v3, v1, 0xff bitop3:0xec
	s_delay_alu instid0(VALU_DEP_2) | instskip(NEXT) | instid1(VALU_DEP_2)
	v_and_b32_e32 v2, 0xffff, v2
                                        ; implicit-def: $vgpr3
	v_lshlrev_b32_e32 v1, 16, v1
	s_delay_alu instid0(VALU_DEP_1)
	v_or_b32_e32 v37, v2, v1
                                        ; implicit-def: $vgpr1
                                        ; implicit-def: $vgpr2
; %bb.105:
	s_or_saveexec_b32 s1, s0
	v_mov_b32_e32 v38, 0
	s_xor_b32 exec_lo, exec_lo, s1
	s_cbranch_execz .LBB1048_109
; %bb.106:
	v_dual_add_nc_u32 v4, s19, v28 :: v_dual_add_nc_u32 v5, s17, v28
	s_mov_b32 s2, 0
	s_mov_b32 s3, exec_lo
	s_delay_alu instid0(VALU_DEP_1) | instskip(NEXT) | instid1(VALU_DEP_2)
	v_mul_lo_u32 v4, v4, s18
	v_mul_lo_u32 v5, v5, s16
	s_delay_alu instid0(VALU_DEP_1) | instskip(NEXT) | instid1(VALU_DEP_1)
	v_sub_nc_u32_e32 v4, v5, v4
	v_cmp_lt_u32_e32 vcc_lo, s20, v4
	v_cmpx_ge_u32_e64 s20, v4
	s_cbranch_execz .LBB1048_108
; %bb.107:
	v_dual_add_nc_u32 v4, s42, v28 :: v_dual_add_nc_u32 v5, s22, v28
	s_delay_alu instid0(VALU_DEP_1) | instskip(NEXT) | instid1(VALU_DEP_2)
	v_mul_lo_u32 v4, v4, s23
	v_mul_lo_u32 v5, v5, s21
	s_delay_alu instid0(VALU_DEP_1) | instskip(NEXT) | instid1(VALU_DEP_1)
	v_sub_nc_u32_e32 v4, v5, v4
	v_cmp_lt_u32_e64 s0, s43, v4
	s_and_b32 s2, s0, exec_lo
.LBB1048_108:
	s_or_b32 exec_lo, exec_lo, s3
	v_cndmask_b32_e64 v4, 0, 1, vcc_lo
	v_lshlrev_b16 v1, 8, v1
	v_lshlrev_b16 v2, 8, v2
	v_cndmask_b32_e64 v38, 0, 1, s2
	s_delay_alu instid0(VALU_DEP_3) | instskip(NEXT) | instid1(VALU_DEP_1)
	v_bitop3_b16 v1, v3, v1, 0xff bitop3:0xec
	v_dual_lshlrev_b32 v1, 16, v1 :: v_dual_bitop2_b32 v2, v4, v2 bitop3:0x54
	s_delay_alu instid0(VALU_DEP_1) | instskip(NEXT) | instid1(VALU_DEP_1)
	v_and_b32_e32 v2, 0xffff, v2
	v_or_b32_e32 v37, v2, v1
.LBB1048_109:
	s_or_b32 exec_lo, exec_lo, s1
.LBB1048_110:
	v_and_b32_e32 v61, 0xff, v31
	s_delay_alu instid0(VALU_DEP_2)
	v_bfe_u32 v62, v37, 8, 8
	v_bfe_u32 v59, v31, 8, 8
	;; [unrolled: 1-line block ×4, first 2 shown]
	v_dual_lshrrev_b32 v44, 24, v37 :: v_dual_lshrrev_b32 v43, 24, v31
	v_and_b32_e32 v57, 0xff, v32
	v_and_b32_e32 v55, 0xff, v33
	v_bfe_u32 v56, v32, 8, 8
	v_add3_u32 v1, v59, v61, v58
	v_add3_u32 v2, v60, v62, v44
	v_bfe_u32 v53, v33, 8, 8
	v_bfe_u32 v54, v32, 16, 8
	;; [unrolled: 1-line block ×3, first 2 shown]
	v_dual_lshrrev_b32 v42, 24, v32 :: v_dual_lshrrev_b32 v41, 24, v33
	v_add3_u32 v1, v1, v43, v55
	v_add3_u32 v2, v2, v57, v56
	v_and_b32_e32 v52, 0xff, v35
	v_and_b32_e32 v48, 0xff, v36
	v_bfe_u32 v50, v35, 8, 8
	v_add3_u32 v1, v1, v53, v51
	v_add3_u32 v2, v2, v54, v42
	v_bfe_u32 v47, v36, 8, 8
	v_bfe_u32 v49, v35, 16, 8
	;; [unrolled: 1-line block ×3, first 2 shown]
	v_dual_lshrrev_b32 v40, 24, v35 :: v_dual_lshrrev_b32 v39, 24, v36
	v_add3_u32 v1, v1, v41, v48
	v_add3_u32 v2, v2, v52, v50
	v_mbcnt_lo_u32_b32 v63, -1, 0
	v_and_b32_e32 v45, 0xff, v34
	v_and_b32_e32 v3, 0xff, v37
	v_and_b32_e32 v4, 0xff, v38
	v_add3_u32 v1, v1, v47, v46
	v_add3_u32 v2, v2, v49, v40
	v_dual_lshrrev_b32 v64, 5, v0 :: v_dual_bitop2_b32 v65, 15, v63 bitop3:0x40
	v_and_b32_e32 v67, 16, v63
	s_delay_alu instid0(VALU_DEP_4) | instskip(NEXT) | instid1(VALU_DEP_4)
	v_add3_u32 v68, v1, v39, v3
	v_add3_u32 v69, v2, v45, v4
	s_wait_xcnt 0x0
	v_cmp_eq_u32_e64 s1, 0, v65
	v_cmp_lt_u32_e64 s0, 1, v65
	v_cmp_lt_u32_e64 s2, 3, v65
	v_or_b32_e32 v66, 31, v0
	s_cmp_lg_u32 s33, 0
	s_mov_b32 s3, -1
	v_cmp_lt_u32_e32 vcc_lo, 7, v65
	s_cbranch_scc0 .LBB1048_131
; %bb.111:
	v_mov_b32_dpp v1, v69 row_shr:1 row_mask:0xf bank_mask:0xf
	v_mov_b32_dpp v2, v68 row_shr:1 row_mask:0xf bank_mask:0xf
	s_mov_b32 s3, exec_lo
	s_delay_alu instid0(VALU_DEP_1) | instskip(NEXT) | instid1(VALU_DEP_1)
	v_dual_add_nc_u32 v1, v1, v69 :: v_dual_add_nc_u32 v2, v2, v68
	v_dual_cndmask_b32 v1, v1, v69, s1 :: v_dual_cndmask_b32 v2, v2, v68, s1
	s_delay_alu instid0(VALU_DEP_1) | instskip(NEXT) | instid1(VALU_DEP_2)
	v_mov_b32_dpp v3, v1 row_shr:2 row_mask:0xf bank_mask:0xf
	v_mov_b32_dpp v4, v2 row_shr:2 row_mask:0xf bank_mask:0xf
	s_delay_alu instid0(VALU_DEP_1) | instskip(NEXT) | instid1(VALU_DEP_1)
	v_dual_add_nc_u32 v3, v1, v3 :: v_dual_add_nc_u32 v4, v2, v4
	v_dual_cndmask_b32 v1, v1, v3, s0 :: v_dual_cndmask_b32 v2, v2, v4, s0
	s_delay_alu instid0(VALU_DEP_1) | instskip(NEXT) | instid1(VALU_DEP_2)
	v_mov_b32_dpp v3, v1 row_shr:4 row_mask:0xf bank_mask:0xf
	v_mov_b32_dpp v4, v2 row_shr:4 row_mask:0xf bank_mask:0xf
	;; [unrolled: 6-line block ×3, first 2 shown]
	s_delay_alu instid0(VALU_DEP_1) | instskip(NEXT) | instid1(VALU_DEP_1)
	v_dual_add_nc_u32 v3, v1, v3 :: v_dual_add_nc_u32 v4, v2, v4
	v_dual_cndmask_b32 v1, v1, v3 :: v_dual_cndmask_b32 v2, v2, v4
	v_cmp_eq_u32_e32 vcc_lo, 0, v67
	ds_swizzle_b32 v3, v1 offset:swizzle(BROADCAST,32,15)
	ds_swizzle_b32 v4, v2 offset:swizzle(BROADCAST,32,15)
	s_wait_dscnt 0x0
	v_dual_add_nc_u32 v3, v1, v3 :: v_dual_add_nc_u32 v4, v2, v4
	v_cmpx_eq_u32_e64 v0, v66
; %bb.112:
	s_delay_alu instid0(VALU_DEP_2) | instskip(NEXT) | instid1(VALU_DEP_3)
	v_dual_lshlrev_b32 v5, 3, v64 :: v_dual_cndmask_b32 v7, v3, v1, vcc_lo
	v_cndmask_b32_e32 v6, v4, v2, vcc_lo
	ds_store_b64 v5, v[6:7]
; %bb.113:
	s_or_b32 exec_lo, exec_lo, s3
	s_delay_alu instid0(SALU_CYCLE_1)
	s_mov_b32 s3, exec_lo
	s_wait_dscnt 0x0
	s_barrier_signal -1
	s_barrier_wait -1
	v_cmpx_gt_u32_e32 8, v0
	s_cbranch_execz .LBB1048_115
; %bb.114:
	v_dual_lshlrev_b32 v5, 3, v0 :: v_dual_bitop2_b32 v22, 7, v63 bitop3:0x40
	ds_load_b64 v[6:7], v5
	v_cmp_eq_u32_e64 s2, 0, v22
	s_wait_dscnt 0x0
	v_mov_b32_dpp v8, v6 row_shr:1 row_mask:0xf bank_mask:0xf
	v_mov_b32_dpp v9, v7 row_shr:1 row_mask:0xf bank_mask:0xf
	s_delay_alu instid0(VALU_DEP_1) | instskip(NEXT) | instid1(VALU_DEP_1)
	v_dual_add_nc_u32 v8, v8, v6 :: v_dual_add_nc_u32 v9, v9, v7
	v_dual_cndmask_b32 v6, v8, v6, s2 :: v_dual_cndmask_b32 v7, v9, v7, s2
	v_cmp_lt_u32_e64 s2, 1, v22
	s_delay_alu instid0(VALU_DEP_2) | instskip(NEXT) | instid1(VALU_DEP_3)
	v_mov_b32_dpp v8, v6 row_shr:2 row_mask:0xf bank_mask:0xf
	v_mov_b32_dpp v9, v7 row_shr:2 row_mask:0xf bank_mask:0xf
	s_delay_alu instid0(VALU_DEP_1) | instskip(NEXT) | instid1(VALU_DEP_1)
	v_dual_add_nc_u32 v8, v6, v8 :: v_dual_add_nc_u32 v9, v7, v9
	v_dual_cndmask_b32 v6, v6, v8, s2 :: v_dual_cndmask_b32 v7, v7, v9, s2
	v_cmp_lt_u32_e64 s2, 3, v22
	s_delay_alu instid0(VALU_DEP_2) | instskip(NEXT) | instid1(VALU_DEP_3)
	v_mov_b32_dpp v8, v6 row_shr:4 row_mask:0xf bank_mask:0xf
	v_mov_b32_dpp v9, v7 row_shr:4 row_mask:0xf bank_mask:0xf
	s_delay_alu instid0(VALU_DEP_1) | instskip(NEXT) | instid1(VALU_DEP_1)
	v_dual_cndmask_b32 v8, 0, v8, s2 :: v_dual_cndmask_b32 v9, 0, v9, s2
	v_dual_add_nc_u32 v6, v8, v6 :: v_dual_add_nc_u32 v7, v9, v7
	ds_store_b64 v5, v[6:7]
.LBB1048_115:
	s_or_b32 exec_lo, exec_lo, s3
	v_dual_cndmask_b32 v1, v3, v1 :: v_dual_cndmask_b32 v2, v4, v2
	s_mov_b32 s3, exec_lo
	v_cmp_gt_u32_e32 vcc_lo, 32, v0
	s_wait_dscnt 0x0
	s_barrier_signal -1
	s_barrier_wait -1
                                        ; implicit-def: $vgpr22
	v_cmpx_lt_u32_e32 31, v0
	s_cbranch_execz .LBB1048_117
; %bb.116:
	v_lshl_add_u32 v3, v64, 3, -8
	ds_load_b64 v[22:23], v3
	s_wait_dscnt 0x0
	v_dual_add_nc_u32 v1, v23, v1 :: v_dual_add_nc_u32 v2, v22, v2
.LBB1048_117:
	s_or_b32 exec_lo, exec_lo, s3
	v_sub_co_u32 v3, s2, v63, 1
	s_delay_alu instid0(VALU_DEP_1) | instskip(NEXT) | instid1(VALU_DEP_1)
	v_cmp_gt_i32_e64 s3, 0, v3
	v_cndmask_b32_e64 v3, v3, v63, s3
	s_delay_alu instid0(VALU_DEP_1)
	v_lshlrev_b32_e32 v3, 2, v3
	ds_bpermute_b32 v70, v3, v2
	ds_bpermute_b32 v1, v3, v1
	s_and_saveexec_b32 s3, vcc_lo
	s_cbranch_execz .LBB1048_136
; %bb.118:
	v_mov_b32_e32 v5, 0
	ds_load_b64 v[2:3], v5 offset:56
	s_and_saveexec_b32 s7, s2
	s_cbranch_execz .LBB1048_120
; %bb.119:
	s_add_co_i32 s8, s33, 32
	s_mov_b32 s9, 0
	v_mov_b32_e32 v4, 1
	s_lshl_b64 s[8:9], s[8:9], 4
	s_wait_kmcnt 0x0
	s_add_nc_u64 s[8:9], s[4:5], s[8:9]
	s_delay_alu instid0(SALU_CYCLE_1)
	v_mov_b64_e32 v[6:7], s[8:9]
	s_wait_dscnt 0x0
	;;#ASMSTART
	global_store_b128 v[6:7], v[2:5] off scope:SCOPE_DEV	
s_wait_storecnt 0x0
	;;#ASMEND
.LBB1048_120:
	s_or_b32 exec_lo, exec_lo, s7
	v_xad_u32 v24, v63, -1, s33
	s_mov_b32 s8, 0
	s_mov_b32 s7, exec_lo
	s_delay_alu instid0(VALU_DEP_1) | instskip(SKIP_1) | instid1(VALU_DEP_1)
	v_add_nc_u32_e32 v4, 32, v24
	s_wait_kmcnt 0x0
	v_lshl_add_u64 v[4:5], v[4:5], 4, s[4:5]
	;;#ASMSTART
	global_load_b128 v[6:9], v[4:5] off scope:SCOPE_DEV	
s_wait_loadcnt 0x0
	;;#ASMEND
	v_and_b32_e32 v9, 0xff, v8
	s_delay_alu instid0(VALU_DEP_1)
	v_cmpx_eq_u16_e32 0, v9
	s_cbranch_execz .LBB1048_123
.LBB1048_121:                           ; =>This Inner Loop Header: Depth=1
	;;#ASMSTART
	global_load_b128 v[6:9], v[4:5] off scope:SCOPE_DEV	
s_wait_loadcnt 0x0
	;;#ASMEND
	v_and_b32_e32 v9, 0xff, v8
	s_delay_alu instid0(VALU_DEP_1) | instskip(SKIP_1) | instid1(SALU_CYCLE_1)
	v_cmp_ne_u16_e32 vcc_lo, 0, v9
	s_or_b32 s8, vcc_lo, s8
	s_and_not1_b32 exec_lo, exec_lo, s8
	s_cbranch_execnz .LBB1048_121
; %bb.122:
	s_or_b32 exec_lo, exec_lo, s8
.LBB1048_123:
	s_delay_alu instid0(SALU_CYCLE_1)
	s_or_b32 exec_lo, exec_lo, s7
	v_cmp_ne_u32_e32 vcc_lo, 31, v63
	v_lshlrev_b32_e64 v72, v63, -1
	v_lshl_or_b32 v79, v63, 2, 64
	v_dual_add_nc_u32 v76, 4, v63 :: v_dual_add_nc_u32 v80, 16, v63
	v_add_co_ci_u32_e64 v4, null, 0, v63, vcc_lo
	s_delay_alu instid0(VALU_DEP_1)
	v_lshlrev_b32_e32 v71, 2, v4
	v_and_b32_e32 v4, 0xff, v8
	ds_bpermute_b32 v5, v71, v7
	v_cmp_eq_u16_e32 vcc_lo, 2, v4
	s_wait_dscnt 0x0
	v_add_nc_u32_e32 v5, v5, v7
	ds_bpermute_b32 v4, v71, v6
	v_and_b32_e32 v9, vcc_lo, v72
	v_cmp_gt_u32_e32 vcc_lo, 30, v63
	v_cndmask_b32_e64 v25, 0, 2, vcc_lo
	s_delay_alu instid0(VALU_DEP_1) | instskip(SKIP_3) | instid1(VALU_DEP_1)
	v_add_lshl_u32 v73, v25, v63, 2
	s_wait_dscnt 0x0
	v_add_nc_u32_e32 v4, v4, v6
	v_or_b32_e32 v9, 0x80000000, v9
	v_ctz_i32_b32_e32 v9, v9
	s_delay_alu instid0(VALU_DEP_1) | instskip(NEXT) | instid1(VALU_DEP_4)
	v_cmp_lt_u32_e32 vcc_lo, v63, v9
	v_dual_cndmask_b32 v5, v7, v5 :: v_dual_cndmask_b32 v4, v6, v4
	v_cmp_gt_u32_e32 vcc_lo, 28, v63
	ds_bpermute_b32 v6, v73, v5
	ds_bpermute_b32 v7, v73, v4
	v_add_nc_u32_e32 v74, 2, v63
	v_cndmask_b32_e64 v25, 0, 4, vcc_lo
	s_delay_alu instid0(VALU_DEP_1) | instskip(SKIP_4) | instid1(VALU_DEP_2)
	v_add_lshl_u32 v75, v25, v63, 2
	s_wait_dscnt 0x1
	v_add_nc_u32_e32 v6, v5, v6
	v_cmp_gt_u32_e32 vcc_lo, v74, v9
	s_wait_dscnt 0x0
	v_dual_add_nc_u32 v7, v4, v7 :: v_dual_cndmask_b32 v5, v6, v5, vcc_lo
	s_delay_alu instid0(VALU_DEP_1)
	v_cndmask_b32_e32 v4, v7, v4, vcc_lo
	v_cmp_gt_u32_e32 vcc_lo, 24, v63
	ds_bpermute_b32 v6, v75, v5
	ds_bpermute_b32 v7, v75, v4
	v_cndmask_b32_e64 v25, 0, 8, vcc_lo
	v_cmp_gt_u32_e32 vcc_lo, v76, v9
	s_delay_alu instid0(VALU_DEP_2) | instskip(SKIP_3) | instid1(VALU_DEP_1)
	v_add_lshl_u32 v77, v25, v63, 2
	s_wait_dscnt 0x1
	v_dual_mov_b32 v25, 0 :: v_dual_add_nc_u32 v6, v5, v6
	s_wait_dscnt 0x0
	v_dual_add_nc_u32 v7, v4, v7 :: v_dual_cndmask_b32 v5, v6, v5, vcc_lo
	s_delay_alu instid0(VALU_DEP_1) | instskip(SKIP_4) | instid1(VALU_DEP_1)
	v_cndmask_b32_e32 v4, v7, v4, vcc_lo
	ds_bpermute_b32 v6, v77, v5
	ds_bpermute_b32 v7, v77, v4
	s_wait_dscnt 0x1
	v_dual_add_nc_u32 v78, 8, v63 :: v_dual_add_nc_u32 v6, v5, v6
	v_cmp_gt_u32_e32 vcc_lo, v78, v9
	s_wait_dscnt 0x0
	s_delay_alu instid0(VALU_DEP_2) | instskip(NEXT) | instid1(VALU_DEP_1)
	v_dual_add_nc_u32 v7, v4, v7 :: v_dual_cndmask_b32 v5, v6, v5, vcc_lo
	v_cndmask_b32_e32 v4, v7, v4, vcc_lo
	v_cmp_le_u32_e32 vcc_lo, v80, v9
	ds_bpermute_b32 v7, v79, v5
	ds_bpermute_b32 v6, v79, v4
	s_wait_dscnt 0x0
	v_dual_cndmask_b32 v7, 0, v7 :: v_dual_cndmask_b32 v6, 0, v6
	s_delay_alu instid0(VALU_DEP_1)
	v_dual_add_nc_u32 v7, v7, v5 :: v_dual_add_nc_u32 v6, v6, v4
	s_branch .LBB1048_127
.LBB1048_124:                           ;   in Loop: Header=BB1048_127 Depth=1
	s_or_b32 exec_lo, exec_lo, s8
.LBB1048_125:                           ;   in Loop: Header=BB1048_127 Depth=1
	s_delay_alu instid0(SALU_CYCLE_1)
	s_or_b32 exec_lo, exec_lo, s7
	ds_bpermute_b32 v9, v71, v6
	ds_bpermute_b32 v26, v71, v7
	v_and_b32_e32 v27, 0xff, v8
	v_subrev_nc_u32_e32 v24, 32, v24
	s_mov_b32 s7, 0
	s_delay_alu instid0(VALU_DEP_2) | instskip(SKIP_1) | instid1(VALU_DEP_1)
	v_cmp_eq_u16_e32 vcc_lo, 2, v27
	v_and_or_b32 v27, vcc_lo, v72, 0x80000000
	v_ctz_i32_b32_e32 v27, v27
	s_wait_dscnt 0x0
	v_dual_add_nc_u32 v9, v9, v6 :: v_dual_add_nc_u32 v26, v26, v7
	s_delay_alu instid0(VALU_DEP_2) | instskip(NEXT) | instid1(VALU_DEP_2)
	v_cmp_lt_u32_e32 vcc_lo, v63, v27
	v_dual_cndmask_b32 v7, v7, v26 :: v_dual_cndmask_b32 v6, v6, v9
	v_cmp_gt_u32_e32 vcc_lo, v74, v27
	ds_bpermute_b32 v26, v73, v7
	ds_bpermute_b32 v9, v73, v6
	s_wait_dscnt 0x0
	v_dual_add_nc_u32 v26, v7, v26 :: v_dual_add_nc_u32 v9, v6, v9
	s_delay_alu instid0(VALU_DEP_1)
	v_dual_cndmask_b32 v7, v26, v7 :: v_dual_cndmask_b32 v6, v9, v6
	v_cmp_gt_u32_e32 vcc_lo, v76, v27
	ds_bpermute_b32 v26, v75, v7
	ds_bpermute_b32 v9, v75, v6
	s_wait_dscnt 0x0
	v_dual_add_nc_u32 v26, v7, v26 :: v_dual_add_nc_u32 v9, v6, v9
	s_delay_alu instid0(VALU_DEP_1)
	;; [unrolled: 7-line block ×3, first 2 shown]
	v_dual_cndmask_b32 v7, v26, v7 :: v_dual_cndmask_b32 v6, v9, v6
	v_cmp_le_u32_e32 vcc_lo, v80, v27
	ds_bpermute_b32 v26, v79, v7
	ds_bpermute_b32 v9, v79, v6
	s_wait_dscnt 0x0
	v_dual_cndmask_b32 v26, 0, v26 :: v_dual_cndmask_b32 v9, 0, v9
	s_delay_alu instid0(VALU_DEP_1) | instskip(NEXT) | instid1(VALU_DEP_2)
	v_add3_u32 v7, v7, v5, v26
	v_add3_u32 v6, v6, v4, v9
.LBB1048_126:                           ;   in Loop: Header=BB1048_127 Depth=1
	s_and_b32 vcc_lo, exec_lo, s7
	s_cbranch_vccnz .LBB1048_132
.LBB1048_127:                           ; =>This Loop Header: Depth=1
                                        ;     Child Loop BB1048_130 Depth 2
	v_and_b32_e32 v4, 0xff, v8
	s_mov_b32 s7, -1
                                        ; implicit-def: $vgpr8
	s_delay_alu instid0(VALU_DEP_1)
	v_cmp_ne_u16_e32 vcc_lo, 2, v4
	v_mov_b64_e32 v[4:5], v[6:7]
                                        ; implicit-def: $vgpr6_vgpr7
	s_cmp_lg_u32 vcc_lo, exec_lo
	s_cbranch_scc1 .LBB1048_126
; %bb.128:                              ;   in Loop: Header=BB1048_127 Depth=1
	v_lshl_add_u64 v[26:27], v[24:25], 4, s[4:5]
	;;#ASMSTART
	global_load_b128 v[6:9], v[26:27] off scope:SCOPE_DEV	
s_wait_loadcnt 0x0
	;;#ASMEND
	v_and_b32_e32 v9, 0xff, v8
	s_mov_b32 s7, exec_lo
	s_delay_alu instid0(VALU_DEP_1)
	v_cmpx_eq_u16_e32 0, v9
	s_cbranch_execz .LBB1048_125
; %bb.129:                              ;   in Loop: Header=BB1048_127 Depth=1
	s_mov_b32 s8, 0
.LBB1048_130:                           ;   Parent Loop BB1048_127 Depth=1
                                        ; =>  This Inner Loop Header: Depth=2
	;;#ASMSTART
	global_load_b128 v[6:9], v[26:27] off scope:SCOPE_DEV	
s_wait_loadcnt 0x0
	;;#ASMEND
	v_and_b32_e32 v9, 0xff, v8
	s_delay_alu instid0(VALU_DEP_1) | instskip(SKIP_1) | instid1(SALU_CYCLE_1)
	v_cmp_ne_u16_e32 vcc_lo, 0, v9
	s_or_b32 s8, vcc_lo, s8
	s_and_not1_b32 exec_lo, exec_lo, s8
	s_cbranch_execnz .LBB1048_130
	s_branch .LBB1048_124
.LBB1048_131:
                                        ; implicit-def: $vgpr1
                                        ; implicit-def: $vgpr4
                                        ; implicit-def: $vgpr6
                                        ; implicit-def: $vgpr8
                                        ; implicit-def: $vgpr22
	s_and_b32 vcc_lo, exec_lo, s3
	s_cbranch_vccnz .LBB1048_137
	s_branch .LBB1048_146
.LBB1048_132:
	s_and_saveexec_b32 s7, s2
	s_cbranch_execz .LBB1048_134
; %bb.133:
	s_add_co_i32 s8, s33, 32
	s_mov_b32 s9, 0
	v_dual_mov_b32 v8, 2 :: v_dual_mov_b32 v9, 0
	s_lshl_b64 s[8:9], s[8:9], 4
	v_dual_add_nc_u32 v7, v5, v3 :: v_dual_add_nc_u32 v6, v4, v2
	s_add_nc_u64 s[8:9], s[4:5], s[8:9]
	s_delay_alu instid0(SALU_CYCLE_1)
	v_mov_b64_e32 v[24:25], s[8:9]
	;;#ASMSTART
	global_store_b128 v[24:25], v[6:9] off scope:SCOPE_DEV	
s_wait_storecnt 0x0
	;;#ASMEND
	ds_store_b128 v9, v[2:5] offset:13312
.LBB1048_134:
	s_or_b32 exec_lo, exec_lo, s7
	v_cmp_eq_u32_e32 vcc_lo, 0, v0
	s_and_b32 exec_lo, exec_lo, vcc_lo
; %bb.135:
	v_mov_b32_e32 v2, 0
	ds_store_b64 v2, v[4:5] offset:56
.LBB1048_136:
	s_or_b32 exec_lo, exec_lo, s3
	s_wait_dscnt 0x0
	v_dual_mov_b32 v2, 0 :: v_dual_cndmask_b32 v1, v1, v23, s2
	s_barrier_signal -1
	s_barrier_wait -1
	ds_load_b64 v[8:9], v2 offset:56
	s_wait_dscnt 0x0
	s_barrier_signal -1
	s_barrier_wait -1
	ds_load_b128 v[2:5], v2 offset:13312
	v_cndmask_b32_e64 v6, v70, v22, s2
	v_cmp_eq_u32_e32 vcc_lo, 0, v0
	s_delay_alu instid0(VALU_DEP_2) | instskip(SKIP_2) | instid1(VALU_DEP_2)
	v_dual_add_nc_u32 v1, v9, v1 :: v_dual_add_nc_u32 v7, v8, v6
	s_wait_dscnt 0x0
	v_mov_b32_e32 v6, v5
	v_dual_cndmask_b32 v1, v1, v9 :: v_dual_cndmask_b32 v22, v7, v8
	v_mov_b32_e32 v8, v3
	s_branch .LBB1048_146
.LBB1048_137:
	v_mov_b32_dpp v1, v68 row_shr:1 row_mask:0xf bank_mask:0xf
	v_mov_b32_dpp v2, v69 row_shr:1 row_mask:0xf bank_mask:0xf
	v_cmp_lt_u32_e32 vcc_lo, 3, v65
	s_delay_alu instid0(VALU_DEP_2) | instskip(NEXT) | instid1(VALU_DEP_1)
	v_dual_add_nc_u32 v1, v1, v68 :: v_dual_add_nc_u32 v2, v2, v69
	v_dual_cndmask_b32 v1, v1, v68, s1 :: v_dual_cndmask_b32 v2, v2, v69, s1
	s_mov_b32 s1, exec_lo
	s_delay_alu instid0(VALU_DEP_1) | instskip(NEXT) | instid1(VALU_DEP_2)
	v_mov_b32_dpp v3, v1 row_shr:2 row_mask:0xf bank_mask:0xf
	v_mov_b32_dpp v4, v2 row_shr:2 row_mask:0xf bank_mask:0xf
	s_delay_alu instid0(VALU_DEP_1) | instskip(NEXT) | instid1(VALU_DEP_1)
	v_dual_add_nc_u32 v3, v1, v3 :: v_dual_add_nc_u32 v4, v2, v4
	v_dual_cndmask_b32 v1, v1, v3, s0 :: v_dual_cndmask_b32 v2, v2, v4, s0
	s_delay_alu instid0(VALU_DEP_1) | instskip(NEXT) | instid1(VALU_DEP_2)
	v_mov_b32_dpp v3, v1 row_shr:4 row_mask:0xf bank_mask:0xf
	v_mov_b32_dpp v4, v2 row_shr:4 row_mask:0xf bank_mask:0xf
	s_delay_alu instid0(VALU_DEP_1) | instskip(NEXT) | instid1(VALU_DEP_1)
	v_dual_add_nc_u32 v3, v1, v3 :: v_dual_add_nc_u32 v4, v2, v4
	v_dual_cndmask_b32 v3, v1, v3 :: v_dual_cndmask_b32 v2, v2, v4
	v_cmp_lt_u32_e32 vcc_lo, 7, v65
	s_delay_alu instid0(VALU_DEP_2) | instskip(NEXT) | instid1(VALU_DEP_3)
	v_mov_b32_dpp v1, v3 row_shr:8 row_mask:0xf bank_mask:0xf
	v_mov_b32_dpp v4, v2 row_shr:8 row_mask:0xf bank_mask:0xf
	s_delay_alu instid0(VALU_DEP_1) | instskip(NEXT) | instid1(VALU_DEP_1)
	v_dual_add_nc_u32 v5, v3, v1 :: v_dual_add_nc_u32 v1, v2, v4
	v_cndmask_b32_e32 v1, v2, v1, vcc_lo
	s_delay_alu instid0(VALU_DEP_2)
	v_cndmask_b32_e32 v2, v3, v5, vcc_lo
	v_cmp_eq_u32_e32 vcc_lo, 0, v67
	ds_swizzle_b32 v4, v2 offset:swizzle(BROADCAST,32,15)
	s_wait_dscnt 0x0
	v_add_nc_u32_e32 v4, v2, v4
	ds_swizzle_b32 v3, v1 offset:swizzle(BROADCAST,32,15)
	s_wait_dscnt 0x0
	v_add_nc_u32_e32 v3, v1, v3
	v_cmpx_eq_u32_e64 v0, v66
; %bb.138:
	s_delay_alu instid0(VALU_DEP_2)
	v_dual_cndmask_b32 v6, v4, v2 :: v_dual_cndmask_b32 v7, v3, v1
	v_lshlrev_b32_e32 v5, 3, v64
	ds_store_b64 v5, v[6:7]
; %bb.139:
	s_or_b32 exec_lo, exec_lo, s1
	s_delay_alu instid0(SALU_CYCLE_1)
	s_mov_b32 s1, exec_lo
	s_wait_dscnt 0x0
	s_barrier_signal -1
	s_barrier_wait -1
	v_cmpx_gt_u32_e32 8, v0
	s_cbranch_execz .LBB1048_141
; %bb.140:
	v_dual_lshlrev_b32 v5, 3, v0 :: v_dual_bitop2_b32 v22, 7, v63 bitop3:0x40
	ds_load_b64 v[6:7], v5
	v_cmp_eq_u32_e64 s0, 0, v22
	s_wait_dscnt 0x0
	v_mov_b32_dpp v8, v6 row_shr:1 row_mask:0xf bank_mask:0xf
	v_mov_b32_dpp v9, v7 row_shr:1 row_mask:0xf bank_mask:0xf
	s_delay_alu instid0(VALU_DEP_1) | instskip(NEXT) | instid1(VALU_DEP_1)
	v_dual_add_nc_u32 v8, v8, v6 :: v_dual_add_nc_u32 v9, v9, v7
	v_dual_cndmask_b32 v6, v8, v6, s0 :: v_dual_cndmask_b32 v7, v9, v7, s0
	v_cmp_lt_u32_e64 s0, 1, v22
	s_delay_alu instid0(VALU_DEP_2) | instskip(NEXT) | instid1(VALU_DEP_3)
	v_mov_b32_dpp v8, v6 row_shr:2 row_mask:0xf bank_mask:0xf
	v_mov_b32_dpp v9, v7 row_shr:2 row_mask:0xf bank_mask:0xf
	s_delay_alu instid0(VALU_DEP_1) | instskip(NEXT) | instid1(VALU_DEP_1)
	v_dual_add_nc_u32 v8, v6, v8 :: v_dual_add_nc_u32 v9, v7, v9
	v_dual_cndmask_b32 v6, v6, v8, s0 :: v_dual_cndmask_b32 v7, v7, v9, s0
	v_cmp_lt_u32_e64 s0, 3, v22
	s_delay_alu instid0(VALU_DEP_2) | instskip(NEXT) | instid1(VALU_DEP_3)
	v_mov_b32_dpp v8, v6 row_shr:4 row_mask:0xf bank_mask:0xf
	v_mov_b32_dpp v9, v7 row_shr:4 row_mask:0xf bank_mask:0xf
	s_delay_alu instid0(VALU_DEP_1) | instskip(NEXT) | instid1(VALU_DEP_1)
	v_dual_cndmask_b32 v8, 0, v8, s0 :: v_dual_cndmask_b32 v9, 0, v9, s0
	v_dual_add_nc_u32 v6, v8, v6 :: v_dual_add_nc_u32 v7, v9, v7
	ds_store_b64 v5, v[6:7]
.LBB1048_141:
	s_or_b32 exec_lo, exec_lo, s1
	v_dual_mov_b32 v5, 0 :: v_dual_mov_b32 v6, 0
	v_mov_b32_e32 v7, 0
	s_mov_b32 s1, exec_lo
	s_wait_dscnt 0x0
	s_barrier_signal -1
	s_barrier_wait -1
	v_cmpx_lt_u32_e32 31, v0
; %bb.142:
	v_lshl_add_u32 v6, v64, 3, -8
	ds_load_b64 v[6:7], v6
; %bb.143:
	s_or_b32 exec_lo, exec_lo, s1
	v_sub_co_u32 v8, s0, v63, 1
	v_dual_cndmask_b32 v2, v4, v2 :: v_dual_cndmask_b32 v1, v3, v1
	v_cmp_eq_u32_e32 vcc_lo, 0, v0
	s_delay_alu instid0(VALU_DEP_3) | instskip(SKIP_1) | instid1(VALU_DEP_1)
	v_cmp_gt_i32_e64 s1, 0, v8
	s_wait_dscnt 0x0
	v_dual_add_nc_u32 v2, v6, v2 :: v_dual_cndmask_b32 v4, v8, v63, s1
	s_delay_alu instid0(VALU_DEP_1)
	v_dual_lshlrev_b32 v3, 2, v4 :: v_dual_add_nc_u32 v4, v7, v1
	ds_bpermute_b32 v1, v3, v2
	ds_bpermute_b32 v8, v3, v4
	ds_load_b64 v[2:3], v5 offset:56
	s_and_saveexec_b32 s1, vcc_lo
	s_cbranch_execz .LBB1048_145
; %bb.144:
	s_wait_kmcnt 0x0
	s_add_nc_u64 s[2:3], s[4:5], 0x200
	v_dual_mov_b32 v4, 2 :: v_dual_mov_b32 v5, 0
	v_mov_b64_e32 v[22:23], s[2:3]
	s_wait_dscnt 0x0
	;;#ASMSTART
	global_store_b128 v[22:23], v[2:5] off scope:SCOPE_DEV	
s_wait_storecnt 0x0
	;;#ASMEND
.LBB1048_145:
	s_or_b32 exec_lo, exec_lo, s1
	s_wait_dscnt 0x1
	v_dual_cndmask_b32 v5, v8, v7, s0 :: v_dual_cndmask_b32 v7, v1, v6, s0
	v_dual_mov_b32 v6, 0 :: v_dual_mov_b32 v4, 0
	s_wait_dscnt 0x0
	v_mov_b32_e32 v8, v3
	s_delay_alu instid0(VALU_DEP_3)
	v_cndmask_b32_e64 v1, v5, 0, vcc_lo
	v_cndmask_b32_e64 v22, v7, 0, vcc_lo
	s_barrier_signal -1
	s_barrier_wait -1
.LBB1048_146:
	s_delay_alu instid0(VALU_DEP_1) | instskip(SKIP_1) | instid1(VALU_DEP_2)
	v_dual_add_nc_u32 v62, v1, v62 :: v_dual_add_nc_u32 v70, v22, v61
	v_dual_mov_b32 v5, 0 :: v_dual_lshrrev_b32 v68, 16, v37
	v_dual_lshrrev_b32 v3, 8, v37 :: v_dual_add_nc_u32 v71, v62, v60
	s_delay_alu instid0(VALU_DEP_3) | instskip(SKIP_1) | instid1(VALU_DEP_3)
	v_dual_add_nc_u32 v59, v70, v59 :: v_dual_lshlrev_b32 v60, 1, v2
	v_dual_sub_nc_u32 v72, v22, v4 :: v_dual_sub_nc_u32 v1, v1, v6
	v_dual_add_nc_u32 v73, v71, v44 :: v_dual_bitop2_b32 v74, 1, v31 bitop3:0x40
	s_delay_alu instid0(VALU_DEP_3) | instskip(NEXT) | instid1(VALU_DEP_3)
	v_dual_add_nc_u32 v58, v59, v58 :: v_dual_bitop2_b32 v75, 1, v3 bitop3:0x40
	v_dual_add_nc_u32 v1, v1, v2 :: v_dual_sub_nc_u32 v70, v70, v4
	s_delay_alu instid0(VALU_DEP_2)
	v_dual_add_nc_u32 v57, v73, v57 :: v_dual_add_nc_u32 v76, v58, v43
	v_mov_b32_e32 v61, v5
	s_wait_kmcnt 0x0
	v_add_nc_u64_e32 v[22:23], s[28:29], v[4:5]
	v_dual_mov_b32 v3, v5 :: v_dual_mov_b32 v7, v5
	v_dual_add_nc_u32 v55, v76, v55 :: v_dual_add_nc_u32 v56, v57, v56
	v_cmp_eq_u32_e32 vcc_lo, 1, v75
	v_dual_lshrrev_b32 v69, 8, v31 :: v_dual_lshrrev_b32 v67, 16, v31
	s_delay_alu instid0(VALU_DEP_3) | instskip(NEXT) | instid1(VALU_DEP_4)
	v_dual_add_nc_u32 v53, v55, v53 :: v_dual_mov_b32 v9, v5
	v_add_nc_u32_e32 v54, v56, v54
	v_add3_u32 v5, v60, v8, v30
	s_delay_alu instid0(VALU_DEP_3) | instskip(NEXT) | instid1(VALU_DEP_3)
	v_dual_sub_nc_u32 v62, v62, v6 :: v_dual_add_nc_u32 v51, v53, v51
	v_dual_add_nc_u32 v78, v72, v1 :: v_dual_add_nc_u32 v77, v54, v42
	s_delay_alu instid0(VALU_DEP_2) | instskip(NEXT) | instid1(VALU_DEP_2)
	v_dual_sub_nc_u32 v59, v59, v4 :: v_dual_add_nc_u32 v62, v62, v2
	v_dual_add_nc_u32 v79, v51, v41 :: v_dual_sub_nc_u32 v78, v5, v78
	s_delay_alu instid0(VALU_DEP_3) | instskip(SKIP_1) | instid1(VALU_DEP_3)
	v_add_nc_u32_e32 v52, v77, v52
	v_dual_sub_nc_u32 v73, v73, v6 :: v_dual_sub_nc_u32 v58, v58, v4
	v_add_nc_u32_e32 v48, v79, v48
	s_delay_alu instid0(VALU_DEP_4) | instskip(SKIP_2) | instid1(VALU_DEP_4)
	v_dual_sub_nc_u32 v71, v71, v6 :: v_dual_cndmask_b32 v1, v78, v1, vcc_lo
	v_cmp_eq_u32_e32 vcc_lo, 1, v74
	v_add_nc_u32_e32 v50, v52, v50
	v_dual_add_nc_u32 v80, v62, v70 :: v_dual_add_nc_u32 v47, v48, v47
	v_dual_lshrrev_b32 v66, 8, v32 :: v_dual_lshrrev_b32 v65, 16, v32
	v_dual_cndmask_b32 v1, v1, v72, vcc_lo :: v_dual_add_nc_u32 v71, v71, v2
	s_delay_alu instid0(VALU_DEP_3) | instskip(NEXT) | instid1(VALU_DEP_4)
	v_dual_add_nc_u32 v49, v50, v49 :: v_dual_add_nc_u32 v46, v47, v46
	v_sub_nc_u32_e32 v74, v5, v80
	s_delay_alu instid0(VALU_DEP_3) | instskip(NEXT) | instid1(VALU_DEP_3)
	v_dual_add_nc_u32 v75, v71, v59 :: v_dual_bitop2_b32 v68, 1, v68 bitop3:0x40
	v_dual_add_nc_u32 v72, v49, v40 :: v_dual_bitop2_b32 v69, 1, v69 bitop3:0x40
	s_delay_alu instid0(VALU_DEP_3) | instskip(NEXT) | instid1(VALU_DEP_3)
	v_add_nc_u32_e32 v74, 1, v74
	v_cmp_eq_u32_e32 vcc_lo, 1, v68
	s_delay_alu instid0(VALU_DEP_3) | instskip(SKIP_1) | instid1(VALU_DEP_4)
	v_dual_sub_nc_u32 v75, v5, v75 :: v_dual_add_nc_u32 v45, v72, v45
	v_dual_add_nc_u32 v68, v73, v2 :: v_dual_bitop2_b32 v44, 1, v44 bitop3:0x40
	v_cndmask_b32_e32 v62, v74, v62, vcc_lo
	v_cmp_eq_u32_e32 vcc_lo, 1, v69
	s_delay_alu instid0(VALU_DEP_3)
	v_dual_add_nc_u32 v73, 2, v75 :: v_dual_add_nc_u32 v69, v58, v68
	v_dual_lshlrev_b32 v1, 2, v1 :: v_dual_bitop2_b32 v67, 1, v67 bitop3:0x40
	v_add_nc_u32_e32 v78, v46, v39
	v_cndmask_b32_e32 v62, v62, v70, vcc_lo
	v_cmp_eq_u32_e32 vcc_lo, 1, v44
	v_dual_sub_nc_u32 v57, v57, v6 :: v_dual_bitop2_b32 v43, 1, v43 bitop3:0x40
	ds_store_b32 v1, v20
	v_dual_lshlrev_b32 v20, 2, v62 :: v_dual_cndmask_b32 v44, v73, v71, vcc_lo
	v_cmp_eq_u32_e32 vcc_lo, 1, v67
	v_sub_nc_u32_e32 v1, v5, v69
	v_dual_lshrrev_b32 v63, 16, v33 :: v_dual_lshrrev_b32 v64, 8, v33
	ds_store_b32 v20, v21
	v_dual_cndmask_b32 v44, v44, v59, vcc_lo :: v_dual_bitop2_b32 v32, 1, v32 bitop3:0x40
	v_dual_add_nc_u32 v1, 3, v1 :: v_dual_add_nc_u32 v57, v57, v2
	v_dual_sub_nc_u32 v54, v54, v6 :: v_dual_lshrrev_b32 v25, 16, v35
	v_lshrrev_b32_e32 v27, 8, v35
	s_delay_alu instid0(VALU_DEP_4)
	v_cmp_eq_u32_e32 vcc_lo, 1, v32
	v_sub_nc_u32_e32 v56, v56, v6
	v_sub_nc_u32_e32 v32, v76, v4
	v_dual_lshrrev_b32 v26, 8, v36 :: v_dual_lshrrev_b32 v24, 16, v36
	v_cndmask_b32_e32 v1, v1, v68, vcc_lo
	v_cmp_eq_u32_e32 vcc_lo, 1, v43
	v_dual_sub_nc_u32 v55, v55, v4 :: v_dual_add_nc_u32 v56, v56, v2
	v_dual_add_nc_u32 v43, v32, v57 :: v_dual_lshlrev_b32 v21, 2, v44
	s_delay_alu instid0(VALU_DEP_4) | instskip(NEXT) | instid1(VALU_DEP_2)
	v_dual_cndmask_b32 v1, v1, v58, vcc_lo :: v_dual_bitop2_b32 v58, 1, v65 bitop3:0x40
	v_dual_add_nc_u32 v20, v55, v56 :: v_dual_sub_nc_u32 v43, v5, v43
	s_delay_alu instid0(VALU_DEP_2) | instskip(NEXT) | instid1(VALU_DEP_2)
	v_dual_lshlrev_b32 v1, 2, v1 :: v_dual_bitop2_b32 v44, 1, v66 bitop3:0x40
	v_dual_sub_nc_u32 v20, v5, v20 :: v_dual_bitop2_b32 v33, 1, v33 bitop3:0x40
	s_delay_alu instid0(VALU_DEP_3) | instskip(NEXT) | instid1(VALU_DEP_3)
	v_add_nc_u32_e32 v43, 4, v43
	v_cmp_eq_u32_e32 vcc_lo, 1, v44
	v_dual_sub_nc_u32 v53, v53, v4 :: v_dual_add_nc_u32 v54, v54, v2
	s_delay_alu instid0(VALU_DEP_4)
	v_add_nc_u32_e32 v20, 5, v20
	ds_store_b32 v21, v18
	v_cndmask_b32_e32 v43, v43, v57, vcc_lo
	v_cmp_eq_u32_e32 vcc_lo, 1, v58
	v_and_b32_e32 v44, 1, v64
	ds_store_b32 v1, v19
	v_and_b32_e32 v21, 1, v63
	v_sub_nc_u64_e32 v[30:31], s[30:31], v[2:3]
	v_dual_cndmask_b32 v20, v20, v56, vcc_lo :: v_dual_add_nc_u32 v56, v53, v54
	v_cmp_eq_u32_e32 vcc_lo, 1, v33
	v_sub_nc_u32_e32 v33, v52, v6
	s_mov_b32 s41, 0
	s_delay_alu instid0(VALU_DEP_3)
	v_dual_sub_nc_u32 v18, v5, v56 :: v_dual_bitop2_b32 v27, 1, v27 bitop3:0x40
	v_cndmask_b32_e32 v32, v43, v32, vcc_lo
	v_cmp_eq_u32_e32 vcc_lo, 1, v44
	v_add_nc_u64_e32 v[30:31], v[30:31], v[6:7]
	s_add_nc_u64 s[0:1], s[34:35], s[40:41]
	v_dual_add_nc_u32 v18, 6, v18 :: v_dual_cndmask_b32 v20, v20, v55, vcc_lo
	v_dual_lshlrev_b32 v1, 2, v32 :: v_dual_sub_nc_u32 v32, v77, v6
	s_delay_alu instid0(VALU_DEP_2)
	v_dual_lshlrev_b32 v19, 2, v20 :: v_dual_bitop2_b32 v20, 1, v42 bitop3:0x40
	v_sub_nc_u32_e32 v42, v79, v4
	ds_store_b32 v1, v16
	ds_store_b32 v19, v17
	v_cmp_eq_u32_e32 vcc_lo, 1, v20
	v_dual_sub_nc_u32 v20, v51, v4 :: v_dual_add_nc_u32 v32, v32, v2
	v_dual_add_nc_u32 v33, v33, v2 :: v_dual_bitop2_b32 v19, 1, v35 bitop3:0x40
	v_cndmask_b32_e32 v18, v18, v54, vcc_lo
	v_cmp_eq_u32_e32 vcc_lo, 1, v21
	s_delay_alu instid0(VALU_DEP_4) | instskip(NEXT) | instid1(VALU_DEP_3)
	v_add_nc_u32_e32 v21, v20, v32
	v_dual_cndmask_b32 v18, v18, v53 :: v_dual_sub_nc_u32 v35, v48, v4
	v_add_nc_u32_e32 v1, v42, v33
	s_delay_alu instid0(VALU_DEP_3) | instskip(SKIP_1) | instid1(VALU_DEP_4)
	v_dual_sub_nc_u32 v17, v5, v21 :: v_dual_sub_nc_u32 v21, v50, v6
	v_cmp_eq_u32_e32 vcc_lo, 1, v19
	v_dual_lshlrev_b32 v16, 2, v18 :: v_dual_bitop2_b32 v18, 1, v41 bitop3:0x40
	s_delay_alu instid0(VALU_DEP_4) | instskip(NEXT) | instid1(VALU_DEP_4)
	v_sub_nc_u32_e32 v1, v5, v1
	v_dual_add_nc_u32 v17, 7, v17 :: v_dual_add_nc_u32 v21, v21, v2
	ds_store_b32 v16, v14
	v_dual_add_nc_u32 v1, 8, v1 :: v_dual_cndmask_b32 v17, v17, v32, vcc_lo
	v_cmp_eq_u32_e32 vcc_lo, 1, v27
	v_dual_add_nc_u32 v27, v35, v21 :: v_dual_bitop2_b32 v19, 1, v36 bitop3:0x40
	s_delay_alu instid0(VALU_DEP_3) | instskip(SKIP_1) | instid1(VALU_DEP_3)
	v_cndmask_b32_e32 v1, v1, v33, vcc_lo
	v_cmp_eq_u32_e32 vcc_lo, 1, v18
	v_dual_sub_nc_u32 v14, v5, v27 :: v_dual_bitop2_b32 v18, 1, v25 bitop3:0x40
	v_cndmask_b32_e32 v17, v17, v20, vcc_lo
	v_cmp_eq_u32_e32 vcc_lo, 1, v19
	v_dual_sub_nc_u32 v19, v47, v4 :: v_dual_cndmask_b32 v1, v1, v42, vcc_lo
	s_delay_alu instid0(VALU_DEP_4) | instskip(NEXT) | instid1(VALU_DEP_2)
	v_cmp_eq_u32_e32 vcc_lo, 1, v18
	v_lshlrev_b32_e32 v1, 2, v1
	v_dual_lshlrev_b32 v16, 2, v17 :: v_dual_sub_nc_u32 v17, v49, v6
	ds_store_b32 v16, v15
	v_add_nc_u32_e32 v17, v17, v2
	v_add_nc_u32_e32 v14, 9, v14
	ds_store_b32 v1, v12
	v_dual_sub_nc_u32 v16, v45, v6 :: v_dual_add_nc_u32 v15, v19, v17
	v_dual_cndmask_b32 v14, v14, v21, vcc_lo :: v_dual_bitop2_b32 v20, 1, v26 bitop3:0x40
	v_sub_nc_u32_e32 v12, v72, v6
	s_delay_alu instid0(VALU_DEP_3) | instskip(NEXT) | instid1(VALU_DEP_3)
	v_add_nc_u32_e32 v16, v16, v2
	v_cmp_eq_u32_e32 vcc_lo, 1, v20
	v_sub_nc_u32_e32 v20, v78, v4
	v_cndmask_b32_e32 v1, v14, v35, vcc_lo
	v_dual_sub_nc_u32 v14, v5, v15 :: v_dual_bitop2_b32 v15, 1, v40 bitop3:0x40
	v_dual_sub_nc_u32 v18, v46, v4 :: v_dual_add_nc_u32 v12, v12, v2
	s_delay_alu instid0(VALU_DEP_2) | instskip(NEXT) | instid1(VALU_DEP_3)
	v_dual_add_nc_u32 v14, 10, v14 :: v_dual_bitop2_b32 v4, 1, v24 bitop3:0x40
	v_cmp_eq_u32_e32 vcc_lo, 1, v15
	v_add_nc_u32_e32 v15, v20, v16
	s_delay_alu instid0(VALU_DEP_4) | instskip(NEXT) | instid1(VALU_DEP_4)
	v_dual_add_nc_u32 v21, v18, v12 :: v_dual_lshlrev_b32 v1, 2, v1
	v_cndmask_b32_e32 v14, v14, v17, vcc_lo
	v_cmp_eq_u32_e32 vcc_lo, 1, v4
	s_delay_alu instid0(VALU_DEP_3) | instskip(SKIP_4) | instid1(VALU_DEP_3)
	v_dual_sub_nc_u32 v17, v5, v21 :: v_dual_sub_nc_u32 v4, v5, v15
	ds_store_b32 v1, v13
	v_dual_cndmask_b32 v14, v14, v19, vcc_lo :: v_dual_bitop2_b32 v19, 1, v34 bitop3:0x40
	v_dual_add_nc_u32 v17, 11, v17 :: v_dual_bitop2_b32 v15, 1, v39 bitop3:0x40
	v_dual_add_nc_u32 v24, 12, v4 :: v_dual_bitop2_b32 v21, 1, v38 bitop3:0x40
	v_cmp_eq_u32_e32 vcc_lo, 1, v19
	v_add_nc_u64_e32 v[4:5], v[8:9], v[60:61]
	s_delay_alu instid0(VALU_DEP_4) | instskip(SKIP_2) | instid1(VALU_DEP_4)
	v_dual_lshlrev_b32 v14, 2, v14 :: v_dual_cndmask_b32 v12, v17, v12, vcc_lo
	v_and_b32_e32 v17, 1, v37
	v_cmp_eq_u32_e32 vcc_lo, 1, v21
	v_add_nc_u64_e32 v[4:5], v[4:5], v[30:31]
	ds_store_b32 v14, v10
	v_cndmask_b32_e32 v16, v24, v16, vcc_lo
	v_cmp_eq_u32_e32 vcc_lo, 1, v15
	v_add_nc_u64_e32 v[4:5], v[4:5], v[22:23]
	v_cndmask_b32_e32 v12, v12, v18, vcc_lo
	v_cmp_eq_u32_e32 vcc_lo, 1, v17
	v_cndmask_b32_e32 v15, v16, v20, vcc_lo
	v_cmp_ne_u32_e32 vcc_lo, 1, v29
	s_delay_alu instid0(VALU_DEP_2)
	v_dual_lshlrev_b32 v10, 2, v15 :: v_dual_lshlrev_b32 v1, 2, v12
	v_lshlrev_b64_e32 v[12:13], 2, v[30:31]
	v_lshlrev_b64_e32 v[14:15], 2, v[22:23]
	s_and_b32 vcc_lo, exec_lo, vcc_lo
	ds_store_b32 v1, v11
	ds_store_b32 v10, v28
	v_sub_nc_u64_e32 v[10:11], s[0:1], v[4:5]
	v_add_nc_u64_e32 v[4:5], s[38:39], v[12:13]
	v_add_nc_u64_e32 v[12:13], s[36:37], v[14:15]
	v_add_nc_u32_e32 v14, v2, v8
	s_mov_b32 s0, -1
	s_wait_dscnt 0x0
	s_barrier_signal -1
	s_barrier_wait -1
	s_cbranch_vccz .LBB1048_150
; %bb.147:
	s_and_b32 vcc_lo, exec_lo, s0
	s_cbranch_vccnz .LBB1048_255
.LBB1048_148:
	v_cmp_eq_u32_e32 vcc_lo, 0, v0
	s_and_b32 s0, vcc_lo, s15
	s_delay_alu instid0(SALU_CYCLE_1)
	s_and_saveexec_b32 s1, s0
	s_cbranch_execnz .LBB1048_373
.LBB1048_149:
	s_sendmsg sendmsg(MSG_DEALLOC_VGPRS)
	s_endpgm
.LBB1048_150:
	s_mov_b32 s0, exec_lo
	v_cmpx_ge_u32_e64 v0, v2
	s_xor_b32 s0, exec_lo, s0
	s_cbranch_execz .LBB1048_156
; %bb.151:
	v_mov_b32_e32 v1, 0
	s_mov_b32 s1, exec_lo
	v_cmpx_ge_u32_e64 v0, v14
	s_xor_b32 s1, exec_lo, s1
	s_cbranch_execz .LBB1048_153
; %bb.152:
	v_lshlrev_b32_e32 v15, 2, v0
	v_add_nc_u64_e32 v[16:17], v[10:11], v[0:1]
	ds_load_b32 v1, v15
	v_lshlrev_b64_e32 v[16:17], 2, v[16:17]
	s_delay_alu instid0(VALU_DEP_1)
	v_sub_nc_u64_e32 v[16:17], s[26:27], v[16:17]
	s_wait_dscnt 0x0
	global_store_b32 v[16:17], v1, off offset:-4
.LBB1048_153:
	s_wait_xcnt 0x0
	s_and_not1_saveexec_b32 s1, s1
	s_cbranch_execz .LBB1048_155
; %bb.154:
	v_lshlrev_b32_e32 v1, 2, v0
	v_readfirstlane_b32 s2, v4
	v_readfirstlane_b32 s3, v5
	ds_load_b32 v1, v1
	s_wait_dscnt 0x0
	global_store_b32 v0, v1, s[2:3] scale_offset
.LBB1048_155:
	s_wait_xcnt 0x0
	s_or_b32 exec_lo, exec_lo, s1
.LBB1048_156:
	s_and_not1_saveexec_b32 s0, s0
	s_cbranch_execz .LBB1048_158
; %bb.157:
	v_lshlrev_b32_e32 v1, 2, v0
	v_readfirstlane_b32 s2, v12
	v_readfirstlane_b32 s3, v13
	ds_load_b32 v1, v1
	s_wait_dscnt 0x0
	global_store_b32 v0, v1, s[2:3] scale_offset
.LBB1048_158:
	s_wait_xcnt 0x0
	s_or_b32 exec_lo, exec_lo, s0
	v_or_b32_e32 v1, 0x100, v0
	s_mov_b32 s0, exec_lo
	s_delay_alu instid0(VALU_DEP_1)
	v_cmpx_ge_u32_e64 v1, v2
	s_xor_b32 s0, exec_lo, s0
	s_cbranch_execz .LBB1048_164
; %bb.159:
	s_mov_b32 s1, exec_lo
	v_cmpx_ge_u32_e64 v1, v14
	s_xor_b32 s1, exec_lo, s1
	s_cbranch_execz .LBB1048_161
; %bb.160:
	v_dual_mov_b32 v1, 0 :: v_dual_lshlrev_b32 v15, 2, v0
	s_delay_alu instid0(VALU_DEP_1) | instskip(SKIP_2) | instid1(VALU_DEP_1)
	v_add_nc_u64_e32 v[16:17], v[10:11], v[0:1]
	ds_load_b32 v1, v15 offset:1024
	v_lshlrev_b64_e32 v[16:17], 2, v[16:17]
	v_sub_nc_u64_e32 v[16:17], s[26:27], v[16:17]
	s_wait_dscnt 0x0
	global_store_b32 v[16:17], v1, off offset:-1028
.LBB1048_161:
	s_wait_xcnt 0x0
	s_and_not1_saveexec_b32 s1, s1
	s_cbranch_execz .LBB1048_163
; %bb.162:
	v_lshlrev_b32_e32 v1, 2, v0
	v_readfirstlane_b32 s2, v4
	v_readfirstlane_b32 s3, v5
	ds_load_b32 v1, v1 offset:1024
	s_wait_dscnt 0x0
	global_store_b32 v0, v1, s[2:3] offset:1024 scale_offset
.LBB1048_163:
	s_wait_xcnt 0x0
	s_or_b32 exec_lo, exec_lo, s1
.LBB1048_164:
	s_and_not1_saveexec_b32 s0, s0
	s_cbranch_execz .LBB1048_166
; %bb.165:
	v_lshlrev_b32_e32 v1, 2, v0
	v_readfirstlane_b32 s2, v12
	v_readfirstlane_b32 s3, v13
	ds_load_b32 v1, v1 offset:1024
	s_wait_dscnt 0x0
	global_store_b32 v0, v1, s[2:3] offset:1024 scale_offset
.LBB1048_166:
	s_wait_xcnt 0x0
	s_or_b32 exec_lo, exec_lo, s0
	v_or_b32_e32 v1, 0x200, v0
	s_mov_b32 s0, exec_lo
	s_delay_alu instid0(VALU_DEP_1)
	v_cmpx_ge_u32_e64 v1, v2
	s_xor_b32 s0, exec_lo, s0
	s_cbranch_execz .LBB1048_172
; %bb.167:
	s_mov_b32 s1, exec_lo
	v_cmpx_ge_u32_e64 v1, v14
	s_xor_b32 s1, exec_lo, s1
	s_cbranch_execz .LBB1048_169
; %bb.168:
	v_dual_mov_b32 v1, 0 :: v_dual_lshlrev_b32 v15, 2, v0
	s_delay_alu instid0(VALU_DEP_1) | instskip(SKIP_2) | instid1(VALU_DEP_1)
	v_add_nc_u64_e32 v[16:17], v[10:11], v[0:1]
	ds_load_b32 v1, v15 offset:2048
	v_lshlrev_b64_e32 v[16:17], 2, v[16:17]
	v_sub_nc_u64_e32 v[16:17], s[26:27], v[16:17]
	s_wait_dscnt 0x0
	global_store_b32 v[16:17], v1, off offset:-2052
.LBB1048_169:
	s_wait_xcnt 0x0
	s_and_not1_saveexec_b32 s1, s1
	s_cbranch_execz .LBB1048_171
; %bb.170:
	v_lshlrev_b32_e32 v1, 2, v0
	v_readfirstlane_b32 s2, v4
	v_readfirstlane_b32 s3, v5
	ds_load_b32 v1, v1 offset:2048
	s_wait_dscnt 0x0
	global_store_b32 v0, v1, s[2:3] offset:2048 scale_offset
.LBB1048_171:
	s_wait_xcnt 0x0
	s_or_b32 exec_lo, exec_lo, s1
.LBB1048_172:
	s_and_not1_saveexec_b32 s0, s0
	s_cbranch_execz .LBB1048_174
; %bb.173:
	v_lshlrev_b32_e32 v1, 2, v0
	v_readfirstlane_b32 s2, v12
	v_readfirstlane_b32 s3, v13
	ds_load_b32 v1, v1 offset:2048
	s_wait_dscnt 0x0
	global_store_b32 v0, v1, s[2:3] offset:2048 scale_offset
.LBB1048_174:
	;; [unrolled: 47-line block ×12, first 2 shown]
	s_wait_xcnt 0x0
	s_or_b32 exec_lo, exec_lo, s0
	s_branch .LBB1048_148
.LBB1048_255:
	s_mov_b32 s0, exec_lo
	v_cmpx_gt_u32_e64 s6, v0
	s_cbranch_execz .LBB1048_264
; %bb.256:
	s_mov_b32 s1, exec_lo
	v_cmpx_ge_u32_e64 v0, v2
	s_xor_b32 s1, exec_lo, s1
	s_cbranch_execz .LBB1048_262
; %bb.257:
	v_mov_b32_e32 v1, 0
	s_mov_b32 s2, exec_lo
	v_cmpx_ge_u32_e64 v0, v14
	s_xor_b32 s2, exec_lo, s2
	s_cbranch_execz .LBB1048_259
; %bb.258:
	v_lshlrev_b32_e32 v15, 2, v0
	v_add_nc_u64_e32 v[16:17], v[10:11], v[0:1]
	ds_load_b32 v1, v15
	v_lshlrev_b64_e32 v[16:17], 2, v[16:17]
	s_delay_alu instid0(VALU_DEP_1)
	v_sub_nc_u64_e32 v[16:17], s[26:27], v[16:17]
	s_wait_dscnt 0x0
	global_store_b32 v[16:17], v1, off offset:-4
.LBB1048_259:
	s_wait_xcnt 0x0
	s_and_not1_saveexec_b32 s2, s2
	s_cbranch_execz .LBB1048_261
; %bb.260:
	v_lshlrev_b32_e32 v1, 2, v0
	v_readfirstlane_b32 s4, v4
	v_readfirstlane_b32 s5, v5
	ds_load_b32 v1, v1
	s_wait_dscnt 0x0
	global_store_b32 v0, v1, s[4:5] scale_offset
.LBB1048_261:
	s_wait_xcnt 0x0
	s_or_b32 exec_lo, exec_lo, s2
.LBB1048_262:
	s_and_not1_saveexec_b32 s1, s1
	s_cbranch_execz .LBB1048_264
; %bb.263:
	v_lshlrev_b32_e32 v1, 2, v0
	v_readfirstlane_b32 s2, v12
	v_readfirstlane_b32 s3, v13
	ds_load_b32 v1, v1
	s_wait_dscnt 0x0
	global_store_b32 v0, v1, s[2:3] scale_offset
.LBB1048_264:
	s_wait_xcnt 0x0
	s_or_b32 exec_lo, exec_lo, s0
	v_or_b32_e32 v1, 0x100, v0
	s_mov_b32 s0, exec_lo
	s_delay_alu instid0(VALU_DEP_1)
	v_cmpx_gt_u32_e64 s6, v1
	s_cbranch_execz .LBB1048_273
; %bb.265:
	s_mov_b32 s1, exec_lo
	v_cmpx_ge_u32_e64 v1, v2
	s_xor_b32 s1, exec_lo, s1
	s_cbranch_execz .LBB1048_271
; %bb.266:
	s_mov_b32 s2, exec_lo
	v_cmpx_ge_u32_e64 v1, v14
	s_xor_b32 s2, exec_lo, s2
	s_cbranch_execz .LBB1048_268
; %bb.267:
	v_dual_mov_b32 v1, 0 :: v_dual_lshlrev_b32 v15, 2, v0
	s_delay_alu instid0(VALU_DEP_1) | instskip(SKIP_2) | instid1(VALU_DEP_1)
	v_add_nc_u64_e32 v[16:17], v[10:11], v[0:1]
	ds_load_b32 v1, v15 offset:1024
	v_lshlrev_b64_e32 v[16:17], 2, v[16:17]
	v_sub_nc_u64_e32 v[16:17], s[26:27], v[16:17]
	s_wait_dscnt 0x0
	global_store_b32 v[16:17], v1, off offset:-1028
.LBB1048_268:
	s_wait_xcnt 0x0
	s_and_not1_saveexec_b32 s2, s2
	s_cbranch_execz .LBB1048_270
; %bb.269:
	v_lshlrev_b32_e32 v1, 2, v0
	v_readfirstlane_b32 s4, v4
	v_readfirstlane_b32 s5, v5
	ds_load_b32 v1, v1 offset:1024
	s_wait_dscnt 0x0
	global_store_b32 v0, v1, s[4:5] offset:1024 scale_offset
.LBB1048_270:
	s_wait_xcnt 0x0
	s_or_b32 exec_lo, exec_lo, s2
.LBB1048_271:
	s_and_not1_saveexec_b32 s1, s1
	s_cbranch_execz .LBB1048_273
; %bb.272:
	v_lshlrev_b32_e32 v1, 2, v0
	v_readfirstlane_b32 s2, v12
	v_readfirstlane_b32 s3, v13
	ds_load_b32 v1, v1 offset:1024
	s_wait_dscnt 0x0
	global_store_b32 v0, v1, s[2:3] offset:1024 scale_offset
.LBB1048_273:
	s_wait_xcnt 0x0
	s_or_b32 exec_lo, exec_lo, s0
	v_or_b32_e32 v1, 0x200, v0
	s_mov_b32 s0, exec_lo
	s_delay_alu instid0(VALU_DEP_1)
	v_cmpx_gt_u32_e64 s6, v1
	s_cbranch_execz .LBB1048_282
; %bb.274:
	s_mov_b32 s1, exec_lo
	v_cmpx_ge_u32_e64 v1, v2
	s_xor_b32 s1, exec_lo, s1
	s_cbranch_execz .LBB1048_280
; %bb.275:
	s_mov_b32 s2, exec_lo
	v_cmpx_ge_u32_e64 v1, v14
	s_xor_b32 s2, exec_lo, s2
	s_cbranch_execz .LBB1048_277
; %bb.276:
	v_dual_mov_b32 v1, 0 :: v_dual_lshlrev_b32 v15, 2, v0
	s_delay_alu instid0(VALU_DEP_1) | instskip(SKIP_2) | instid1(VALU_DEP_1)
	v_add_nc_u64_e32 v[16:17], v[10:11], v[0:1]
	ds_load_b32 v1, v15 offset:2048
	v_lshlrev_b64_e32 v[16:17], 2, v[16:17]
	v_sub_nc_u64_e32 v[16:17], s[26:27], v[16:17]
	s_wait_dscnt 0x0
	global_store_b32 v[16:17], v1, off offset:-2052
.LBB1048_277:
	s_wait_xcnt 0x0
	s_and_not1_saveexec_b32 s2, s2
	s_cbranch_execz .LBB1048_279
; %bb.278:
	v_lshlrev_b32_e32 v1, 2, v0
	v_readfirstlane_b32 s4, v4
	v_readfirstlane_b32 s5, v5
	ds_load_b32 v1, v1 offset:2048
	s_wait_dscnt 0x0
	global_store_b32 v0, v1, s[4:5] offset:2048 scale_offset
.LBB1048_279:
	s_wait_xcnt 0x0
	s_or_b32 exec_lo, exec_lo, s2
.LBB1048_280:
	s_and_not1_saveexec_b32 s1, s1
	s_cbranch_execz .LBB1048_282
; %bb.281:
	v_lshlrev_b32_e32 v1, 2, v0
	v_readfirstlane_b32 s2, v12
	v_readfirstlane_b32 s3, v13
	ds_load_b32 v1, v1 offset:2048
	s_wait_dscnt 0x0
	global_store_b32 v0, v1, s[2:3] offset:2048 scale_offset
.LBB1048_282:
	;; [unrolled: 51-line block ×11, first 2 shown]
	s_wait_xcnt 0x0
	s_or_b32 exec_lo, exec_lo, s0
	v_or_b32_e32 v1, 0xc00, v0
	s_mov_b32 s0, exec_lo
	s_delay_alu instid0(VALU_DEP_1)
	v_cmpx_gt_u32_e64 s6, v1
	s_cbranch_execz .LBB1048_372
; %bb.364:
	s_mov_b32 s1, exec_lo
	v_cmpx_ge_u32_e64 v1, v2
	s_xor_b32 s1, exec_lo, s1
	s_cbranch_execz .LBB1048_370
; %bb.365:
	s_mov_b32 s2, exec_lo
	v_cmpx_ge_u32_e64 v1, v14
	s_xor_b32 s2, exec_lo, s2
	s_cbranch_execz .LBB1048_367
; %bb.366:
	v_dual_mov_b32 v1, 0 :: v_dual_lshlrev_b32 v12, 2, v0
	s_delay_alu instid0(VALU_DEP_1) | instskip(SKIP_2) | instid1(VALU_DEP_1)
	v_add_nc_u64_e32 v[4:5], v[10:11], v[0:1]
	ds_load_b32 v1, v12 offset:12288
	v_lshlrev_b64_e32 v[4:5], 2, v[4:5]
	v_sub_nc_u64_e32 v[4:5], s[26:27], v[4:5]
	s_wait_dscnt 0x0
	global_store_b32 v[4:5], v1, off offset:-12292
                                        ; implicit-def: $vgpr4_vgpr5
.LBB1048_367:
	s_wait_xcnt 0x0
	s_and_not1_saveexec_b32 s2, s2
	s_cbranch_execz .LBB1048_369
; %bb.368:
	v_lshlrev_b32_e32 v1, 2, v0
	v_readfirstlane_b32 s4, v4
	v_readfirstlane_b32 s5, v5
	ds_load_b32 v1, v1 offset:12288
	s_wait_dscnt 0x0
	global_store_b32 v0, v1, s[4:5] offset:12288 scale_offset
.LBB1048_369:
	s_wait_xcnt 0x0
	s_or_b32 exec_lo, exec_lo, s2
                                        ; implicit-def: $vgpr12_vgpr13
.LBB1048_370:
	s_and_not1_saveexec_b32 s1, s1
	s_cbranch_execz .LBB1048_372
; %bb.371:
	v_lshlrev_b32_e32 v1, 2, v0
	v_readfirstlane_b32 s2, v12
	v_readfirstlane_b32 s3, v13
	ds_load_b32 v1, v1 offset:12288
	s_wait_dscnt 0x0
	global_store_b32 v0, v1, s[2:3] offset:12288 scale_offset
.LBB1048_372:
	s_wait_xcnt 0x0
	s_or_b32 exec_lo, exec_lo, s0
	v_cmp_eq_u32_e32 vcc_lo, 0, v0
	s_and_b32 s0, vcc_lo, s15
	s_delay_alu instid0(SALU_CYCLE_1)
	s_and_saveexec_b32 s1, s0
	s_cbranch_execz .LBB1048_149
.LBB1048_373:
	v_add_nc_u64_e32 v[0:1], s[30:31], v[8:9]
	v_add_nc_u64_e32 v[2:3], v[22:23], v[2:3]
	s_delay_alu instid0(VALU_DEP_2)
	v_add_nc_u64_e32 v[4:5], v[0:1], v[6:7]
	v_mov_b32_e32 v0, 0
	global_store_b128 v0, v[2:5], s[24:25]
	s_sendmsg sendmsg(MSG_DEALLOC_VGPRS)
	s_endpgm
	.section	.rodata,"a",@progbits
	.p2align	6, 0x0
	.amdhsa_kernel _ZN7rocprim17ROCPRIM_400000_NS6detail17trampoline_kernelINS0_13select_configILj256ELj13ELNS0_17block_load_methodE3ELS4_3ELS4_3ELNS0_20block_scan_algorithmE0ELj4294967295EEENS1_25partition_config_selectorILNS1_17partition_subalgoE4EjNS0_10empty_typeEbEEZZNS1_14partition_implILS8_4ELb0ES6_15HIP_vector_typeIjLj2EENS0_17counting_iteratorIjlEEPS9_SG_NS0_5tupleIJPjSI_NS0_16reverse_iteratorISI_EEEEENSH_IJSG_SG_SG_EEES9_SI_JZNS1_25segmented_radix_sort_implINS0_14default_configELb1EPKdPdPKlPlN2at6native12_GLOBAL__N_18offset_tEEE10hipError_tPvRmT1_PNSt15iterator_traitsIS12_E10value_typeET2_T3_PNS13_IS18_E10value_typeET4_jRbjT5_S1E_jjP12ihipStream_tbEUljE_ZNSN_ISO_Lb1ESQ_SR_ST_SU_SY_EESZ_S10_S11_S12_S16_S17_S18_S1B_S1C_jS1D_jS1E_S1E_jjS1G_bEUljE0_EEESZ_S10_S11_S18_S1C_S1E_T6_T7_T9_mT8_S1G_bDpT10_ENKUlT_T0_E_clISt17integral_constantIbLb0EES1U_EEDaS1P_S1Q_EUlS1P_E_NS1_11comp_targetILNS1_3genE0ELNS1_11target_archE4294967295ELNS1_3gpuE0ELNS1_3repE0EEENS1_30default_config_static_selectorELNS0_4arch9wavefront6targetE0EEEvS12_
		.amdhsa_group_segment_fixed_size 13328
		.amdhsa_private_segment_fixed_size 0
		.amdhsa_kernarg_size 176
		.amdhsa_user_sgpr_count 2
		.amdhsa_user_sgpr_dispatch_ptr 0
		.amdhsa_user_sgpr_queue_ptr 0
		.amdhsa_user_sgpr_kernarg_segment_ptr 1
		.amdhsa_user_sgpr_dispatch_id 0
		.amdhsa_user_sgpr_kernarg_preload_length 0
		.amdhsa_user_sgpr_kernarg_preload_offset 0
		.amdhsa_user_sgpr_private_segment_size 0
		.amdhsa_wavefront_size32 1
		.amdhsa_uses_dynamic_stack 0
		.amdhsa_enable_private_segment 0
		.amdhsa_system_sgpr_workgroup_id_x 1
		.amdhsa_system_sgpr_workgroup_id_y 0
		.amdhsa_system_sgpr_workgroup_id_z 0
		.amdhsa_system_sgpr_workgroup_info 0
		.amdhsa_system_vgpr_workitem_id 0
		.amdhsa_next_free_vgpr 81
		.amdhsa_next_free_sgpr 59
		.amdhsa_named_barrier_count 0
		.amdhsa_reserve_vcc 1
		.amdhsa_float_round_mode_32 0
		.amdhsa_float_round_mode_16_64 0
		.amdhsa_float_denorm_mode_32 3
		.amdhsa_float_denorm_mode_16_64 3
		.amdhsa_fp16_overflow 0
		.amdhsa_memory_ordered 1
		.amdhsa_forward_progress 1
		.amdhsa_inst_pref_size 139
		.amdhsa_round_robin_scheduling 0
		.amdhsa_exception_fp_ieee_invalid_op 0
		.amdhsa_exception_fp_denorm_src 0
		.amdhsa_exception_fp_ieee_div_zero 0
		.amdhsa_exception_fp_ieee_overflow 0
		.amdhsa_exception_fp_ieee_underflow 0
		.amdhsa_exception_fp_ieee_inexact 0
		.amdhsa_exception_int_div_zero 0
	.end_amdhsa_kernel
	.section	.text._ZN7rocprim17ROCPRIM_400000_NS6detail17trampoline_kernelINS0_13select_configILj256ELj13ELNS0_17block_load_methodE3ELS4_3ELS4_3ELNS0_20block_scan_algorithmE0ELj4294967295EEENS1_25partition_config_selectorILNS1_17partition_subalgoE4EjNS0_10empty_typeEbEEZZNS1_14partition_implILS8_4ELb0ES6_15HIP_vector_typeIjLj2EENS0_17counting_iteratorIjlEEPS9_SG_NS0_5tupleIJPjSI_NS0_16reverse_iteratorISI_EEEEENSH_IJSG_SG_SG_EEES9_SI_JZNS1_25segmented_radix_sort_implINS0_14default_configELb1EPKdPdPKlPlN2at6native12_GLOBAL__N_18offset_tEEE10hipError_tPvRmT1_PNSt15iterator_traitsIS12_E10value_typeET2_T3_PNS13_IS18_E10value_typeET4_jRbjT5_S1E_jjP12ihipStream_tbEUljE_ZNSN_ISO_Lb1ESQ_SR_ST_SU_SY_EESZ_S10_S11_S12_S16_S17_S18_S1B_S1C_jS1D_jS1E_S1E_jjS1G_bEUljE0_EEESZ_S10_S11_S18_S1C_S1E_T6_T7_T9_mT8_S1G_bDpT10_ENKUlT_T0_E_clISt17integral_constantIbLb0EES1U_EEDaS1P_S1Q_EUlS1P_E_NS1_11comp_targetILNS1_3genE0ELNS1_11target_archE4294967295ELNS1_3gpuE0ELNS1_3repE0EEENS1_30default_config_static_selectorELNS0_4arch9wavefront6targetE0EEEvS12_,"axG",@progbits,_ZN7rocprim17ROCPRIM_400000_NS6detail17trampoline_kernelINS0_13select_configILj256ELj13ELNS0_17block_load_methodE3ELS4_3ELS4_3ELNS0_20block_scan_algorithmE0ELj4294967295EEENS1_25partition_config_selectorILNS1_17partition_subalgoE4EjNS0_10empty_typeEbEEZZNS1_14partition_implILS8_4ELb0ES6_15HIP_vector_typeIjLj2EENS0_17counting_iteratorIjlEEPS9_SG_NS0_5tupleIJPjSI_NS0_16reverse_iteratorISI_EEEEENSH_IJSG_SG_SG_EEES9_SI_JZNS1_25segmented_radix_sort_implINS0_14default_configELb1EPKdPdPKlPlN2at6native12_GLOBAL__N_18offset_tEEE10hipError_tPvRmT1_PNSt15iterator_traitsIS12_E10value_typeET2_T3_PNS13_IS18_E10value_typeET4_jRbjT5_S1E_jjP12ihipStream_tbEUljE_ZNSN_ISO_Lb1ESQ_SR_ST_SU_SY_EESZ_S10_S11_S12_S16_S17_S18_S1B_S1C_jS1D_jS1E_S1E_jjS1G_bEUljE0_EEESZ_S10_S11_S18_S1C_S1E_T6_T7_T9_mT8_S1G_bDpT10_ENKUlT_T0_E_clISt17integral_constantIbLb0EES1U_EEDaS1P_S1Q_EUlS1P_E_NS1_11comp_targetILNS1_3genE0ELNS1_11target_archE4294967295ELNS1_3gpuE0ELNS1_3repE0EEENS1_30default_config_static_selectorELNS0_4arch9wavefront6targetE0EEEvS12_,comdat
.Lfunc_end1048:
	.size	_ZN7rocprim17ROCPRIM_400000_NS6detail17trampoline_kernelINS0_13select_configILj256ELj13ELNS0_17block_load_methodE3ELS4_3ELS4_3ELNS0_20block_scan_algorithmE0ELj4294967295EEENS1_25partition_config_selectorILNS1_17partition_subalgoE4EjNS0_10empty_typeEbEEZZNS1_14partition_implILS8_4ELb0ES6_15HIP_vector_typeIjLj2EENS0_17counting_iteratorIjlEEPS9_SG_NS0_5tupleIJPjSI_NS0_16reverse_iteratorISI_EEEEENSH_IJSG_SG_SG_EEES9_SI_JZNS1_25segmented_radix_sort_implINS0_14default_configELb1EPKdPdPKlPlN2at6native12_GLOBAL__N_18offset_tEEE10hipError_tPvRmT1_PNSt15iterator_traitsIS12_E10value_typeET2_T3_PNS13_IS18_E10value_typeET4_jRbjT5_S1E_jjP12ihipStream_tbEUljE_ZNSN_ISO_Lb1ESQ_SR_ST_SU_SY_EESZ_S10_S11_S12_S16_S17_S18_S1B_S1C_jS1D_jS1E_S1E_jjS1G_bEUljE0_EEESZ_S10_S11_S18_S1C_S1E_T6_T7_T9_mT8_S1G_bDpT10_ENKUlT_T0_E_clISt17integral_constantIbLb0EES1U_EEDaS1P_S1Q_EUlS1P_E_NS1_11comp_targetILNS1_3genE0ELNS1_11target_archE4294967295ELNS1_3gpuE0ELNS1_3repE0EEENS1_30default_config_static_selectorELNS0_4arch9wavefront6targetE0EEEvS12_, .Lfunc_end1048-_ZN7rocprim17ROCPRIM_400000_NS6detail17trampoline_kernelINS0_13select_configILj256ELj13ELNS0_17block_load_methodE3ELS4_3ELS4_3ELNS0_20block_scan_algorithmE0ELj4294967295EEENS1_25partition_config_selectorILNS1_17partition_subalgoE4EjNS0_10empty_typeEbEEZZNS1_14partition_implILS8_4ELb0ES6_15HIP_vector_typeIjLj2EENS0_17counting_iteratorIjlEEPS9_SG_NS0_5tupleIJPjSI_NS0_16reverse_iteratorISI_EEEEENSH_IJSG_SG_SG_EEES9_SI_JZNS1_25segmented_radix_sort_implINS0_14default_configELb1EPKdPdPKlPlN2at6native12_GLOBAL__N_18offset_tEEE10hipError_tPvRmT1_PNSt15iterator_traitsIS12_E10value_typeET2_T3_PNS13_IS18_E10value_typeET4_jRbjT5_S1E_jjP12ihipStream_tbEUljE_ZNSN_ISO_Lb1ESQ_SR_ST_SU_SY_EESZ_S10_S11_S12_S16_S17_S18_S1B_S1C_jS1D_jS1E_S1E_jjS1G_bEUljE0_EEESZ_S10_S11_S18_S1C_S1E_T6_T7_T9_mT8_S1G_bDpT10_ENKUlT_T0_E_clISt17integral_constantIbLb0EES1U_EEDaS1P_S1Q_EUlS1P_E_NS1_11comp_targetILNS1_3genE0ELNS1_11target_archE4294967295ELNS1_3gpuE0ELNS1_3repE0EEENS1_30default_config_static_selectorELNS0_4arch9wavefront6targetE0EEEvS12_
                                        ; -- End function
	.set _ZN7rocprim17ROCPRIM_400000_NS6detail17trampoline_kernelINS0_13select_configILj256ELj13ELNS0_17block_load_methodE3ELS4_3ELS4_3ELNS0_20block_scan_algorithmE0ELj4294967295EEENS1_25partition_config_selectorILNS1_17partition_subalgoE4EjNS0_10empty_typeEbEEZZNS1_14partition_implILS8_4ELb0ES6_15HIP_vector_typeIjLj2EENS0_17counting_iteratorIjlEEPS9_SG_NS0_5tupleIJPjSI_NS0_16reverse_iteratorISI_EEEEENSH_IJSG_SG_SG_EEES9_SI_JZNS1_25segmented_radix_sort_implINS0_14default_configELb1EPKdPdPKlPlN2at6native12_GLOBAL__N_18offset_tEEE10hipError_tPvRmT1_PNSt15iterator_traitsIS12_E10value_typeET2_T3_PNS13_IS18_E10value_typeET4_jRbjT5_S1E_jjP12ihipStream_tbEUljE_ZNSN_ISO_Lb1ESQ_SR_ST_SU_SY_EESZ_S10_S11_S12_S16_S17_S18_S1B_S1C_jS1D_jS1E_S1E_jjS1G_bEUljE0_EEESZ_S10_S11_S18_S1C_S1E_T6_T7_T9_mT8_S1G_bDpT10_ENKUlT_T0_E_clISt17integral_constantIbLb0EES1U_EEDaS1P_S1Q_EUlS1P_E_NS1_11comp_targetILNS1_3genE0ELNS1_11target_archE4294967295ELNS1_3gpuE0ELNS1_3repE0EEENS1_30default_config_static_selectorELNS0_4arch9wavefront6targetE0EEEvS12_.num_vgpr, 81
	.set _ZN7rocprim17ROCPRIM_400000_NS6detail17trampoline_kernelINS0_13select_configILj256ELj13ELNS0_17block_load_methodE3ELS4_3ELS4_3ELNS0_20block_scan_algorithmE0ELj4294967295EEENS1_25partition_config_selectorILNS1_17partition_subalgoE4EjNS0_10empty_typeEbEEZZNS1_14partition_implILS8_4ELb0ES6_15HIP_vector_typeIjLj2EENS0_17counting_iteratorIjlEEPS9_SG_NS0_5tupleIJPjSI_NS0_16reverse_iteratorISI_EEEEENSH_IJSG_SG_SG_EEES9_SI_JZNS1_25segmented_radix_sort_implINS0_14default_configELb1EPKdPdPKlPlN2at6native12_GLOBAL__N_18offset_tEEE10hipError_tPvRmT1_PNSt15iterator_traitsIS12_E10value_typeET2_T3_PNS13_IS18_E10value_typeET4_jRbjT5_S1E_jjP12ihipStream_tbEUljE_ZNSN_ISO_Lb1ESQ_SR_ST_SU_SY_EESZ_S10_S11_S12_S16_S17_S18_S1B_S1C_jS1D_jS1E_S1E_jjS1G_bEUljE0_EEESZ_S10_S11_S18_S1C_S1E_T6_T7_T9_mT8_S1G_bDpT10_ENKUlT_T0_E_clISt17integral_constantIbLb0EES1U_EEDaS1P_S1Q_EUlS1P_E_NS1_11comp_targetILNS1_3genE0ELNS1_11target_archE4294967295ELNS1_3gpuE0ELNS1_3repE0EEENS1_30default_config_static_selectorELNS0_4arch9wavefront6targetE0EEEvS12_.num_agpr, 0
	.set _ZN7rocprim17ROCPRIM_400000_NS6detail17trampoline_kernelINS0_13select_configILj256ELj13ELNS0_17block_load_methodE3ELS4_3ELS4_3ELNS0_20block_scan_algorithmE0ELj4294967295EEENS1_25partition_config_selectorILNS1_17partition_subalgoE4EjNS0_10empty_typeEbEEZZNS1_14partition_implILS8_4ELb0ES6_15HIP_vector_typeIjLj2EENS0_17counting_iteratorIjlEEPS9_SG_NS0_5tupleIJPjSI_NS0_16reverse_iteratorISI_EEEEENSH_IJSG_SG_SG_EEES9_SI_JZNS1_25segmented_radix_sort_implINS0_14default_configELb1EPKdPdPKlPlN2at6native12_GLOBAL__N_18offset_tEEE10hipError_tPvRmT1_PNSt15iterator_traitsIS12_E10value_typeET2_T3_PNS13_IS18_E10value_typeET4_jRbjT5_S1E_jjP12ihipStream_tbEUljE_ZNSN_ISO_Lb1ESQ_SR_ST_SU_SY_EESZ_S10_S11_S12_S16_S17_S18_S1B_S1C_jS1D_jS1E_S1E_jjS1G_bEUljE0_EEESZ_S10_S11_S18_S1C_S1E_T6_T7_T9_mT8_S1G_bDpT10_ENKUlT_T0_E_clISt17integral_constantIbLb0EES1U_EEDaS1P_S1Q_EUlS1P_E_NS1_11comp_targetILNS1_3genE0ELNS1_11target_archE4294967295ELNS1_3gpuE0ELNS1_3repE0EEENS1_30default_config_static_selectorELNS0_4arch9wavefront6targetE0EEEvS12_.numbered_sgpr, 59
	.set _ZN7rocprim17ROCPRIM_400000_NS6detail17trampoline_kernelINS0_13select_configILj256ELj13ELNS0_17block_load_methodE3ELS4_3ELS4_3ELNS0_20block_scan_algorithmE0ELj4294967295EEENS1_25partition_config_selectorILNS1_17partition_subalgoE4EjNS0_10empty_typeEbEEZZNS1_14partition_implILS8_4ELb0ES6_15HIP_vector_typeIjLj2EENS0_17counting_iteratorIjlEEPS9_SG_NS0_5tupleIJPjSI_NS0_16reverse_iteratorISI_EEEEENSH_IJSG_SG_SG_EEES9_SI_JZNS1_25segmented_radix_sort_implINS0_14default_configELb1EPKdPdPKlPlN2at6native12_GLOBAL__N_18offset_tEEE10hipError_tPvRmT1_PNSt15iterator_traitsIS12_E10value_typeET2_T3_PNS13_IS18_E10value_typeET4_jRbjT5_S1E_jjP12ihipStream_tbEUljE_ZNSN_ISO_Lb1ESQ_SR_ST_SU_SY_EESZ_S10_S11_S12_S16_S17_S18_S1B_S1C_jS1D_jS1E_S1E_jjS1G_bEUljE0_EEESZ_S10_S11_S18_S1C_S1E_T6_T7_T9_mT8_S1G_bDpT10_ENKUlT_T0_E_clISt17integral_constantIbLb0EES1U_EEDaS1P_S1Q_EUlS1P_E_NS1_11comp_targetILNS1_3genE0ELNS1_11target_archE4294967295ELNS1_3gpuE0ELNS1_3repE0EEENS1_30default_config_static_selectorELNS0_4arch9wavefront6targetE0EEEvS12_.num_named_barrier, 0
	.set _ZN7rocprim17ROCPRIM_400000_NS6detail17trampoline_kernelINS0_13select_configILj256ELj13ELNS0_17block_load_methodE3ELS4_3ELS4_3ELNS0_20block_scan_algorithmE0ELj4294967295EEENS1_25partition_config_selectorILNS1_17partition_subalgoE4EjNS0_10empty_typeEbEEZZNS1_14partition_implILS8_4ELb0ES6_15HIP_vector_typeIjLj2EENS0_17counting_iteratorIjlEEPS9_SG_NS0_5tupleIJPjSI_NS0_16reverse_iteratorISI_EEEEENSH_IJSG_SG_SG_EEES9_SI_JZNS1_25segmented_radix_sort_implINS0_14default_configELb1EPKdPdPKlPlN2at6native12_GLOBAL__N_18offset_tEEE10hipError_tPvRmT1_PNSt15iterator_traitsIS12_E10value_typeET2_T3_PNS13_IS18_E10value_typeET4_jRbjT5_S1E_jjP12ihipStream_tbEUljE_ZNSN_ISO_Lb1ESQ_SR_ST_SU_SY_EESZ_S10_S11_S12_S16_S17_S18_S1B_S1C_jS1D_jS1E_S1E_jjS1G_bEUljE0_EEESZ_S10_S11_S18_S1C_S1E_T6_T7_T9_mT8_S1G_bDpT10_ENKUlT_T0_E_clISt17integral_constantIbLb0EES1U_EEDaS1P_S1Q_EUlS1P_E_NS1_11comp_targetILNS1_3genE0ELNS1_11target_archE4294967295ELNS1_3gpuE0ELNS1_3repE0EEENS1_30default_config_static_selectorELNS0_4arch9wavefront6targetE0EEEvS12_.private_seg_size, 0
	.set _ZN7rocprim17ROCPRIM_400000_NS6detail17trampoline_kernelINS0_13select_configILj256ELj13ELNS0_17block_load_methodE3ELS4_3ELS4_3ELNS0_20block_scan_algorithmE0ELj4294967295EEENS1_25partition_config_selectorILNS1_17partition_subalgoE4EjNS0_10empty_typeEbEEZZNS1_14partition_implILS8_4ELb0ES6_15HIP_vector_typeIjLj2EENS0_17counting_iteratorIjlEEPS9_SG_NS0_5tupleIJPjSI_NS0_16reverse_iteratorISI_EEEEENSH_IJSG_SG_SG_EEES9_SI_JZNS1_25segmented_radix_sort_implINS0_14default_configELb1EPKdPdPKlPlN2at6native12_GLOBAL__N_18offset_tEEE10hipError_tPvRmT1_PNSt15iterator_traitsIS12_E10value_typeET2_T3_PNS13_IS18_E10value_typeET4_jRbjT5_S1E_jjP12ihipStream_tbEUljE_ZNSN_ISO_Lb1ESQ_SR_ST_SU_SY_EESZ_S10_S11_S12_S16_S17_S18_S1B_S1C_jS1D_jS1E_S1E_jjS1G_bEUljE0_EEESZ_S10_S11_S18_S1C_S1E_T6_T7_T9_mT8_S1G_bDpT10_ENKUlT_T0_E_clISt17integral_constantIbLb0EES1U_EEDaS1P_S1Q_EUlS1P_E_NS1_11comp_targetILNS1_3genE0ELNS1_11target_archE4294967295ELNS1_3gpuE0ELNS1_3repE0EEENS1_30default_config_static_selectorELNS0_4arch9wavefront6targetE0EEEvS12_.uses_vcc, 1
	.set _ZN7rocprim17ROCPRIM_400000_NS6detail17trampoline_kernelINS0_13select_configILj256ELj13ELNS0_17block_load_methodE3ELS4_3ELS4_3ELNS0_20block_scan_algorithmE0ELj4294967295EEENS1_25partition_config_selectorILNS1_17partition_subalgoE4EjNS0_10empty_typeEbEEZZNS1_14partition_implILS8_4ELb0ES6_15HIP_vector_typeIjLj2EENS0_17counting_iteratorIjlEEPS9_SG_NS0_5tupleIJPjSI_NS0_16reverse_iteratorISI_EEEEENSH_IJSG_SG_SG_EEES9_SI_JZNS1_25segmented_radix_sort_implINS0_14default_configELb1EPKdPdPKlPlN2at6native12_GLOBAL__N_18offset_tEEE10hipError_tPvRmT1_PNSt15iterator_traitsIS12_E10value_typeET2_T3_PNS13_IS18_E10value_typeET4_jRbjT5_S1E_jjP12ihipStream_tbEUljE_ZNSN_ISO_Lb1ESQ_SR_ST_SU_SY_EESZ_S10_S11_S12_S16_S17_S18_S1B_S1C_jS1D_jS1E_S1E_jjS1G_bEUljE0_EEESZ_S10_S11_S18_S1C_S1E_T6_T7_T9_mT8_S1G_bDpT10_ENKUlT_T0_E_clISt17integral_constantIbLb0EES1U_EEDaS1P_S1Q_EUlS1P_E_NS1_11comp_targetILNS1_3genE0ELNS1_11target_archE4294967295ELNS1_3gpuE0ELNS1_3repE0EEENS1_30default_config_static_selectorELNS0_4arch9wavefront6targetE0EEEvS12_.uses_flat_scratch, 0
	.set _ZN7rocprim17ROCPRIM_400000_NS6detail17trampoline_kernelINS0_13select_configILj256ELj13ELNS0_17block_load_methodE3ELS4_3ELS4_3ELNS0_20block_scan_algorithmE0ELj4294967295EEENS1_25partition_config_selectorILNS1_17partition_subalgoE4EjNS0_10empty_typeEbEEZZNS1_14partition_implILS8_4ELb0ES6_15HIP_vector_typeIjLj2EENS0_17counting_iteratorIjlEEPS9_SG_NS0_5tupleIJPjSI_NS0_16reverse_iteratorISI_EEEEENSH_IJSG_SG_SG_EEES9_SI_JZNS1_25segmented_radix_sort_implINS0_14default_configELb1EPKdPdPKlPlN2at6native12_GLOBAL__N_18offset_tEEE10hipError_tPvRmT1_PNSt15iterator_traitsIS12_E10value_typeET2_T3_PNS13_IS18_E10value_typeET4_jRbjT5_S1E_jjP12ihipStream_tbEUljE_ZNSN_ISO_Lb1ESQ_SR_ST_SU_SY_EESZ_S10_S11_S12_S16_S17_S18_S1B_S1C_jS1D_jS1E_S1E_jjS1G_bEUljE0_EEESZ_S10_S11_S18_S1C_S1E_T6_T7_T9_mT8_S1G_bDpT10_ENKUlT_T0_E_clISt17integral_constantIbLb0EES1U_EEDaS1P_S1Q_EUlS1P_E_NS1_11comp_targetILNS1_3genE0ELNS1_11target_archE4294967295ELNS1_3gpuE0ELNS1_3repE0EEENS1_30default_config_static_selectorELNS0_4arch9wavefront6targetE0EEEvS12_.has_dyn_sized_stack, 0
	.set _ZN7rocprim17ROCPRIM_400000_NS6detail17trampoline_kernelINS0_13select_configILj256ELj13ELNS0_17block_load_methodE3ELS4_3ELS4_3ELNS0_20block_scan_algorithmE0ELj4294967295EEENS1_25partition_config_selectorILNS1_17partition_subalgoE4EjNS0_10empty_typeEbEEZZNS1_14partition_implILS8_4ELb0ES6_15HIP_vector_typeIjLj2EENS0_17counting_iteratorIjlEEPS9_SG_NS0_5tupleIJPjSI_NS0_16reverse_iteratorISI_EEEEENSH_IJSG_SG_SG_EEES9_SI_JZNS1_25segmented_radix_sort_implINS0_14default_configELb1EPKdPdPKlPlN2at6native12_GLOBAL__N_18offset_tEEE10hipError_tPvRmT1_PNSt15iterator_traitsIS12_E10value_typeET2_T3_PNS13_IS18_E10value_typeET4_jRbjT5_S1E_jjP12ihipStream_tbEUljE_ZNSN_ISO_Lb1ESQ_SR_ST_SU_SY_EESZ_S10_S11_S12_S16_S17_S18_S1B_S1C_jS1D_jS1E_S1E_jjS1G_bEUljE0_EEESZ_S10_S11_S18_S1C_S1E_T6_T7_T9_mT8_S1G_bDpT10_ENKUlT_T0_E_clISt17integral_constantIbLb0EES1U_EEDaS1P_S1Q_EUlS1P_E_NS1_11comp_targetILNS1_3genE0ELNS1_11target_archE4294967295ELNS1_3gpuE0ELNS1_3repE0EEENS1_30default_config_static_selectorELNS0_4arch9wavefront6targetE0EEEvS12_.has_recursion, 0
	.set _ZN7rocprim17ROCPRIM_400000_NS6detail17trampoline_kernelINS0_13select_configILj256ELj13ELNS0_17block_load_methodE3ELS4_3ELS4_3ELNS0_20block_scan_algorithmE0ELj4294967295EEENS1_25partition_config_selectorILNS1_17partition_subalgoE4EjNS0_10empty_typeEbEEZZNS1_14partition_implILS8_4ELb0ES6_15HIP_vector_typeIjLj2EENS0_17counting_iteratorIjlEEPS9_SG_NS0_5tupleIJPjSI_NS0_16reverse_iteratorISI_EEEEENSH_IJSG_SG_SG_EEES9_SI_JZNS1_25segmented_radix_sort_implINS0_14default_configELb1EPKdPdPKlPlN2at6native12_GLOBAL__N_18offset_tEEE10hipError_tPvRmT1_PNSt15iterator_traitsIS12_E10value_typeET2_T3_PNS13_IS18_E10value_typeET4_jRbjT5_S1E_jjP12ihipStream_tbEUljE_ZNSN_ISO_Lb1ESQ_SR_ST_SU_SY_EESZ_S10_S11_S12_S16_S17_S18_S1B_S1C_jS1D_jS1E_S1E_jjS1G_bEUljE0_EEESZ_S10_S11_S18_S1C_S1E_T6_T7_T9_mT8_S1G_bDpT10_ENKUlT_T0_E_clISt17integral_constantIbLb0EES1U_EEDaS1P_S1Q_EUlS1P_E_NS1_11comp_targetILNS1_3genE0ELNS1_11target_archE4294967295ELNS1_3gpuE0ELNS1_3repE0EEENS1_30default_config_static_selectorELNS0_4arch9wavefront6targetE0EEEvS12_.has_indirect_call, 0
	.section	.AMDGPU.csdata,"",@progbits
; Kernel info:
; codeLenInByte = 17784
; TotalNumSgprs: 61
; NumVgprs: 81
; ScratchSize: 0
; MemoryBound: 0
; FloatMode: 240
; IeeeMode: 1
; LDSByteSize: 13328 bytes/workgroup (compile time only)
; SGPRBlocks: 0
; VGPRBlocks: 5
; NumSGPRsForWavesPerEU: 61
; NumVGPRsForWavesPerEU: 81
; NamedBarCnt: 0
; Occupancy: 10
; WaveLimiterHint : 1
; COMPUTE_PGM_RSRC2:SCRATCH_EN: 0
; COMPUTE_PGM_RSRC2:USER_SGPR: 2
; COMPUTE_PGM_RSRC2:TRAP_HANDLER: 0
; COMPUTE_PGM_RSRC2:TGID_X_EN: 1
; COMPUTE_PGM_RSRC2:TGID_Y_EN: 0
; COMPUTE_PGM_RSRC2:TGID_Z_EN: 0
; COMPUTE_PGM_RSRC2:TIDIG_COMP_CNT: 0
	.section	.text._ZN7rocprim17ROCPRIM_400000_NS6detail17trampoline_kernelINS0_13select_configILj256ELj13ELNS0_17block_load_methodE3ELS4_3ELS4_3ELNS0_20block_scan_algorithmE0ELj4294967295EEENS1_25partition_config_selectorILNS1_17partition_subalgoE4EjNS0_10empty_typeEbEEZZNS1_14partition_implILS8_4ELb0ES6_15HIP_vector_typeIjLj2EENS0_17counting_iteratorIjlEEPS9_SG_NS0_5tupleIJPjSI_NS0_16reverse_iteratorISI_EEEEENSH_IJSG_SG_SG_EEES9_SI_JZNS1_25segmented_radix_sort_implINS0_14default_configELb1EPKdPdPKlPlN2at6native12_GLOBAL__N_18offset_tEEE10hipError_tPvRmT1_PNSt15iterator_traitsIS12_E10value_typeET2_T3_PNS13_IS18_E10value_typeET4_jRbjT5_S1E_jjP12ihipStream_tbEUljE_ZNSN_ISO_Lb1ESQ_SR_ST_SU_SY_EESZ_S10_S11_S12_S16_S17_S18_S1B_S1C_jS1D_jS1E_S1E_jjS1G_bEUljE0_EEESZ_S10_S11_S18_S1C_S1E_T6_T7_T9_mT8_S1G_bDpT10_ENKUlT_T0_E_clISt17integral_constantIbLb0EES1U_EEDaS1P_S1Q_EUlS1P_E_NS1_11comp_targetILNS1_3genE5ELNS1_11target_archE942ELNS1_3gpuE9ELNS1_3repE0EEENS1_30default_config_static_selectorELNS0_4arch9wavefront6targetE0EEEvS12_,"axG",@progbits,_ZN7rocprim17ROCPRIM_400000_NS6detail17trampoline_kernelINS0_13select_configILj256ELj13ELNS0_17block_load_methodE3ELS4_3ELS4_3ELNS0_20block_scan_algorithmE0ELj4294967295EEENS1_25partition_config_selectorILNS1_17partition_subalgoE4EjNS0_10empty_typeEbEEZZNS1_14partition_implILS8_4ELb0ES6_15HIP_vector_typeIjLj2EENS0_17counting_iteratorIjlEEPS9_SG_NS0_5tupleIJPjSI_NS0_16reverse_iteratorISI_EEEEENSH_IJSG_SG_SG_EEES9_SI_JZNS1_25segmented_radix_sort_implINS0_14default_configELb1EPKdPdPKlPlN2at6native12_GLOBAL__N_18offset_tEEE10hipError_tPvRmT1_PNSt15iterator_traitsIS12_E10value_typeET2_T3_PNS13_IS18_E10value_typeET4_jRbjT5_S1E_jjP12ihipStream_tbEUljE_ZNSN_ISO_Lb1ESQ_SR_ST_SU_SY_EESZ_S10_S11_S12_S16_S17_S18_S1B_S1C_jS1D_jS1E_S1E_jjS1G_bEUljE0_EEESZ_S10_S11_S18_S1C_S1E_T6_T7_T9_mT8_S1G_bDpT10_ENKUlT_T0_E_clISt17integral_constantIbLb0EES1U_EEDaS1P_S1Q_EUlS1P_E_NS1_11comp_targetILNS1_3genE5ELNS1_11target_archE942ELNS1_3gpuE9ELNS1_3repE0EEENS1_30default_config_static_selectorELNS0_4arch9wavefront6targetE0EEEvS12_,comdat
	.globl	_ZN7rocprim17ROCPRIM_400000_NS6detail17trampoline_kernelINS0_13select_configILj256ELj13ELNS0_17block_load_methodE3ELS4_3ELS4_3ELNS0_20block_scan_algorithmE0ELj4294967295EEENS1_25partition_config_selectorILNS1_17partition_subalgoE4EjNS0_10empty_typeEbEEZZNS1_14partition_implILS8_4ELb0ES6_15HIP_vector_typeIjLj2EENS0_17counting_iteratorIjlEEPS9_SG_NS0_5tupleIJPjSI_NS0_16reverse_iteratorISI_EEEEENSH_IJSG_SG_SG_EEES9_SI_JZNS1_25segmented_radix_sort_implINS0_14default_configELb1EPKdPdPKlPlN2at6native12_GLOBAL__N_18offset_tEEE10hipError_tPvRmT1_PNSt15iterator_traitsIS12_E10value_typeET2_T3_PNS13_IS18_E10value_typeET4_jRbjT5_S1E_jjP12ihipStream_tbEUljE_ZNSN_ISO_Lb1ESQ_SR_ST_SU_SY_EESZ_S10_S11_S12_S16_S17_S18_S1B_S1C_jS1D_jS1E_S1E_jjS1G_bEUljE0_EEESZ_S10_S11_S18_S1C_S1E_T6_T7_T9_mT8_S1G_bDpT10_ENKUlT_T0_E_clISt17integral_constantIbLb0EES1U_EEDaS1P_S1Q_EUlS1P_E_NS1_11comp_targetILNS1_3genE5ELNS1_11target_archE942ELNS1_3gpuE9ELNS1_3repE0EEENS1_30default_config_static_selectorELNS0_4arch9wavefront6targetE0EEEvS12_ ; -- Begin function _ZN7rocprim17ROCPRIM_400000_NS6detail17trampoline_kernelINS0_13select_configILj256ELj13ELNS0_17block_load_methodE3ELS4_3ELS4_3ELNS0_20block_scan_algorithmE0ELj4294967295EEENS1_25partition_config_selectorILNS1_17partition_subalgoE4EjNS0_10empty_typeEbEEZZNS1_14partition_implILS8_4ELb0ES6_15HIP_vector_typeIjLj2EENS0_17counting_iteratorIjlEEPS9_SG_NS0_5tupleIJPjSI_NS0_16reverse_iteratorISI_EEEEENSH_IJSG_SG_SG_EEES9_SI_JZNS1_25segmented_radix_sort_implINS0_14default_configELb1EPKdPdPKlPlN2at6native12_GLOBAL__N_18offset_tEEE10hipError_tPvRmT1_PNSt15iterator_traitsIS12_E10value_typeET2_T3_PNS13_IS18_E10value_typeET4_jRbjT5_S1E_jjP12ihipStream_tbEUljE_ZNSN_ISO_Lb1ESQ_SR_ST_SU_SY_EESZ_S10_S11_S12_S16_S17_S18_S1B_S1C_jS1D_jS1E_S1E_jjS1G_bEUljE0_EEESZ_S10_S11_S18_S1C_S1E_T6_T7_T9_mT8_S1G_bDpT10_ENKUlT_T0_E_clISt17integral_constantIbLb0EES1U_EEDaS1P_S1Q_EUlS1P_E_NS1_11comp_targetILNS1_3genE5ELNS1_11target_archE942ELNS1_3gpuE9ELNS1_3repE0EEENS1_30default_config_static_selectorELNS0_4arch9wavefront6targetE0EEEvS12_
	.p2align	8
	.type	_ZN7rocprim17ROCPRIM_400000_NS6detail17trampoline_kernelINS0_13select_configILj256ELj13ELNS0_17block_load_methodE3ELS4_3ELS4_3ELNS0_20block_scan_algorithmE0ELj4294967295EEENS1_25partition_config_selectorILNS1_17partition_subalgoE4EjNS0_10empty_typeEbEEZZNS1_14partition_implILS8_4ELb0ES6_15HIP_vector_typeIjLj2EENS0_17counting_iteratorIjlEEPS9_SG_NS0_5tupleIJPjSI_NS0_16reverse_iteratorISI_EEEEENSH_IJSG_SG_SG_EEES9_SI_JZNS1_25segmented_radix_sort_implINS0_14default_configELb1EPKdPdPKlPlN2at6native12_GLOBAL__N_18offset_tEEE10hipError_tPvRmT1_PNSt15iterator_traitsIS12_E10value_typeET2_T3_PNS13_IS18_E10value_typeET4_jRbjT5_S1E_jjP12ihipStream_tbEUljE_ZNSN_ISO_Lb1ESQ_SR_ST_SU_SY_EESZ_S10_S11_S12_S16_S17_S18_S1B_S1C_jS1D_jS1E_S1E_jjS1G_bEUljE0_EEESZ_S10_S11_S18_S1C_S1E_T6_T7_T9_mT8_S1G_bDpT10_ENKUlT_T0_E_clISt17integral_constantIbLb0EES1U_EEDaS1P_S1Q_EUlS1P_E_NS1_11comp_targetILNS1_3genE5ELNS1_11target_archE942ELNS1_3gpuE9ELNS1_3repE0EEENS1_30default_config_static_selectorELNS0_4arch9wavefront6targetE0EEEvS12_,@function
_ZN7rocprim17ROCPRIM_400000_NS6detail17trampoline_kernelINS0_13select_configILj256ELj13ELNS0_17block_load_methodE3ELS4_3ELS4_3ELNS0_20block_scan_algorithmE0ELj4294967295EEENS1_25partition_config_selectorILNS1_17partition_subalgoE4EjNS0_10empty_typeEbEEZZNS1_14partition_implILS8_4ELb0ES6_15HIP_vector_typeIjLj2EENS0_17counting_iteratorIjlEEPS9_SG_NS0_5tupleIJPjSI_NS0_16reverse_iteratorISI_EEEEENSH_IJSG_SG_SG_EEES9_SI_JZNS1_25segmented_radix_sort_implINS0_14default_configELb1EPKdPdPKlPlN2at6native12_GLOBAL__N_18offset_tEEE10hipError_tPvRmT1_PNSt15iterator_traitsIS12_E10value_typeET2_T3_PNS13_IS18_E10value_typeET4_jRbjT5_S1E_jjP12ihipStream_tbEUljE_ZNSN_ISO_Lb1ESQ_SR_ST_SU_SY_EESZ_S10_S11_S12_S16_S17_S18_S1B_S1C_jS1D_jS1E_S1E_jjS1G_bEUljE0_EEESZ_S10_S11_S18_S1C_S1E_T6_T7_T9_mT8_S1G_bDpT10_ENKUlT_T0_E_clISt17integral_constantIbLb0EES1U_EEDaS1P_S1Q_EUlS1P_E_NS1_11comp_targetILNS1_3genE5ELNS1_11target_archE942ELNS1_3gpuE9ELNS1_3repE0EEENS1_30default_config_static_selectorELNS0_4arch9wavefront6targetE0EEEvS12_: ; @_ZN7rocprim17ROCPRIM_400000_NS6detail17trampoline_kernelINS0_13select_configILj256ELj13ELNS0_17block_load_methodE3ELS4_3ELS4_3ELNS0_20block_scan_algorithmE0ELj4294967295EEENS1_25partition_config_selectorILNS1_17partition_subalgoE4EjNS0_10empty_typeEbEEZZNS1_14partition_implILS8_4ELb0ES6_15HIP_vector_typeIjLj2EENS0_17counting_iteratorIjlEEPS9_SG_NS0_5tupleIJPjSI_NS0_16reverse_iteratorISI_EEEEENSH_IJSG_SG_SG_EEES9_SI_JZNS1_25segmented_radix_sort_implINS0_14default_configELb1EPKdPdPKlPlN2at6native12_GLOBAL__N_18offset_tEEE10hipError_tPvRmT1_PNSt15iterator_traitsIS12_E10value_typeET2_T3_PNS13_IS18_E10value_typeET4_jRbjT5_S1E_jjP12ihipStream_tbEUljE_ZNSN_ISO_Lb1ESQ_SR_ST_SU_SY_EESZ_S10_S11_S12_S16_S17_S18_S1B_S1C_jS1D_jS1E_S1E_jjS1G_bEUljE0_EEESZ_S10_S11_S18_S1C_S1E_T6_T7_T9_mT8_S1G_bDpT10_ENKUlT_T0_E_clISt17integral_constantIbLb0EES1U_EEDaS1P_S1Q_EUlS1P_E_NS1_11comp_targetILNS1_3genE5ELNS1_11target_archE942ELNS1_3gpuE9ELNS1_3repE0EEENS1_30default_config_static_selectorELNS0_4arch9wavefront6targetE0EEEvS12_
; %bb.0:
	.section	.rodata,"a",@progbits
	.p2align	6, 0x0
	.amdhsa_kernel _ZN7rocprim17ROCPRIM_400000_NS6detail17trampoline_kernelINS0_13select_configILj256ELj13ELNS0_17block_load_methodE3ELS4_3ELS4_3ELNS0_20block_scan_algorithmE0ELj4294967295EEENS1_25partition_config_selectorILNS1_17partition_subalgoE4EjNS0_10empty_typeEbEEZZNS1_14partition_implILS8_4ELb0ES6_15HIP_vector_typeIjLj2EENS0_17counting_iteratorIjlEEPS9_SG_NS0_5tupleIJPjSI_NS0_16reverse_iteratorISI_EEEEENSH_IJSG_SG_SG_EEES9_SI_JZNS1_25segmented_radix_sort_implINS0_14default_configELb1EPKdPdPKlPlN2at6native12_GLOBAL__N_18offset_tEEE10hipError_tPvRmT1_PNSt15iterator_traitsIS12_E10value_typeET2_T3_PNS13_IS18_E10value_typeET4_jRbjT5_S1E_jjP12ihipStream_tbEUljE_ZNSN_ISO_Lb1ESQ_SR_ST_SU_SY_EESZ_S10_S11_S12_S16_S17_S18_S1B_S1C_jS1D_jS1E_S1E_jjS1G_bEUljE0_EEESZ_S10_S11_S18_S1C_S1E_T6_T7_T9_mT8_S1G_bDpT10_ENKUlT_T0_E_clISt17integral_constantIbLb0EES1U_EEDaS1P_S1Q_EUlS1P_E_NS1_11comp_targetILNS1_3genE5ELNS1_11target_archE942ELNS1_3gpuE9ELNS1_3repE0EEENS1_30default_config_static_selectorELNS0_4arch9wavefront6targetE0EEEvS12_
		.amdhsa_group_segment_fixed_size 0
		.amdhsa_private_segment_fixed_size 0
		.amdhsa_kernarg_size 176
		.amdhsa_user_sgpr_count 2
		.amdhsa_user_sgpr_dispatch_ptr 0
		.amdhsa_user_sgpr_queue_ptr 0
		.amdhsa_user_sgpr_kernarg_segment_ptr 1
		.amdhsa_user_sgpr_dispatch_id 0
		.amdhsa_user_sgpr_kernarg_preload_length 0
		.amdhsa_user_sgpr_kernarg_preload_offset 0
		.amdhsa_user_sgpr_private_segment_size 0
		.amdhsa_wavefront_size32 1
		.amdhsa_uses_dynamic_stack 0
		.amdhsa_enable_private_segment 0
		.amdhsa_system_sgpr_workgroup_id_x 1
		.amdhsa_system_sgpr_workgroup_id_y 0
		.amdhsa_system_sgpr_workgroup_id_z 0
		.amdhsa_system_sgpr_workgroup_info 0
		.amdhsa_system_vgpr_workitem_id 0
		.amdhsa_next_free_vgpr 1
		.amdhsa_next_free_sgpr 1
		.amdhsa_named_barrier_count 0
		.amdhsa_reserve_vcc 0
		.amdhsa_float_round_mode_32 0
		.amdhsa_float_round_mode_16_64 0
		.amdhsa_float_denorm_mode_32 3
		.amdhsa_float_denorm_mode_16_64 3
		.amdhsa_fp16_overflow 0
		.amdhsa_memory_ordered 1
		.amdhsa_forward_progress 1
		.amdhsa_inst_pref_size 0
		.amdhsa_round_robin_scheduling 0
		.amdhsa_exception_fp_ieee_invalid_op 0
		.amdhsa_exception_fp_denorm_src 0
		.amdhsa_exception_fp_ieee_div_zero 0
		.amdhsa_exception_fp_ieee_overflow 0
		.amdhsa_exception_fp_ieee_underflow 0
		.amdhsa_exception_fp_ieee_inexact 0
		.amdhsa_exception_int_div_zero 0
	.end_amdhsa_kernel
	.section	.text._ZN7rocprim17ROCPRIM_400000_NS6detail17trampoline_kernelINS0_13select_configILj256ELj13ELNS0_17block_load_methodE3ELS4_3ELS4_3ELNS0_20block_scan_algorithmE0ELj4294967295EEENS1_25partition_config_selectorILNS1_17partition_subalgoE4EjNS0_10empty_typeEbEEZZNS1_14partition_implILS8_4ELb0ES6_15HIP_vector_typeIjLj2EENS0_17counting_iteratorIjlEEPS9_SG_NS0_5tupleIJPjSI_NS0_16reverse_iteratorISI_EEEEENSH_IJSG_SG_SG_EEES9_SI_JZNS1_25segmented_radix_sort_implINS0_14default_configELb1EPKdPdPKlPlN2at6native12_GLOBAL__N_18offset_tEEE10hipError_tPvRmT1_PNSt15iterator_traitsIS12_E10value_typeET2_T3_PNS13_IS18_E10value_typeET4_jRbjT5_S1E_jjP12ihipStream_tbEUljE_ZNSN_ISO_Lb1ESQ_SR_ST_SU_SY_EESZ_S10_S11_S12_S16_S17_S18_S1B_S1C_jS1D_jS1E_S1E_jjS1G_bEUljE0_EEESZ_S10_S11_S18_S1C_S1E_T6_T7_T9_mT8_S1G_bDpT10_ENKUlT_T0_E_clISt17integral_constantIbLb0EES1U_EEDaS1P_S1Q_EUlS1P_E_NS1_11comp_targetILNS1_3genE5ELNS1_11target_archE942ELNS1_3gpuE9ELNS1_3repE0EEENS1_30default_config_static_selectorELNS0_4arch9wavefront6targetE0EEEvS12_,"axG",@progbits,_ZN7rocprim17ROCPRIM_400000_NS6detail17trampoline_kernelINS0_13select_configILj256ELj13ELNS0_17block_load_methodE3ELS4_3ELS4_3ELNS0_20block_scan_algorithmE0ELj4294967295EEENS1_25partition_config_selectorILNS1_17partition_subalgoE4EjNS0_10empty_typeEbEEZZNS1_14partition_implILS8_4ELb0ES6_15HIP_vector_typeIjLj2EENS0_17counting_iteratorIjlEEPS9_SG_NS0_5tupleIJPjSI_NS0_16reverse_iteratorISI_EEEEENSH_IJSG_SG_SG_EEES9_SI_JZNS1_25segmented_radix_sort_implINS0_14default_configELb1EPKdPdPKlPlN2at6native12_GLOBAL__N_18offset_tEEE10hipError_tPvRmT1_PNSt15iterator_traitsIS12_E10value_typeET2_T3_PNS13_IS18_E10value_typeET4_jRbjT5_S1E_jjP12ihipStream_tbEUljE_ZNSN_ISO_Lb1ESQ_SR_ST_SU_SY_EESZ_S10_S11_S12_S16_S17_S18_S1B_S1C_jS1D_jS1E_S1E_jjS1G_bEUljE0_EEESZ_S10_S11_S18_S1C_S1E_T6_T7_T9_mT8_S1G_bDpT10_ENKUlT_T0_E_clISt17integral_constantIbLb0EES1U_EEDaS1P_S1Q_EUlS1P_E_NS1_11comp_targetILNS1_3genE5ELNS1_11target_archE942ELNS1_3gpuE9ELNS1_3repE0EEENS1_30default_config_static_selectorELNS0_4arch9wavefront6targetE0EEEvS12_,comdat
.Lfunc_end1049:
	.size	_ZN7rocprim17ROCPRIM_400000_NS6detail17trampoline_kernelINS0_13select_configILj256ELj13ELNS0_17block_load_methodE3ELS4_3ELS4_3ELNS0_20block_scan_algorithmE0ELj4294967295EEENS1_25partition_config_selectorILNS1_17partition_subalgoE4EjNS0_10empty_typeEbEEZZNS1_14partition_implILS8_4ELb0ES6_15HIP_vector_typeIjLj2EENS0_17counting_iteratorIjlEEPS9_SG_NS0_5tupleIJPjSI_NS0_16reverse_iteratorISI_EEEEENSH_IJSG_SG_SG_EEES9_SI_JZNS1_25segmented_radix_sort_implINS0_14default_configELb1EPKdPdPKlPlN2at6native12_GLOBAL__N_18offset_tEEE10hipError_tPvRmT1_PNSt15iterator_traitsIS12_E10value_typeET2_T3_PNS13_IS18_E10value_typeET4_jRbjT5_S1E_jjP12ihipStream_tbEUljE_ZNSN_ISO_Lb1ESQ_SR_ST_SU_SY_EESZ_S10_S11_S12_S16_S17_S18_S1B_S1C_jS1D_jS1E_S1E_jjS1G_bEUljE0_EEESZ_S10_S11_S18_S1C_S1E_T6_T7_T9_mT8_S1G_bDpT10_ENKUlT_T0_E_clISt17integral_constantIbLb0EES1U_EEDaS1P_S1Q_EUlS1P_E_NS1_11comp_targetILNS1_3genE5ELNS1_11target_archE942ELNS1_3gpuE9ELNS1_3repE0EEENS1_30default_config_static_selectorELNS0_4arch9wavefront6targetE0EEEvS12_, .Lfunc_end1049-_ZN7rocprim17ROCPRIM_400000_NS6detail17trampoline_kernelINS0_13select_configILj256ELj13ELNS0_17block_load_methodE3ELS4_3ELS4_3ELNS0_20block_scan_algorithmE0ELj4294967295EEENS1_25partition_config_selectorILNS1_17partition_subalgoE4EjNS0_10empty_typeEbEEZZNS1_14partition_implILS8_4ELb0ES6_15HIP_vector_typeIjLj2EENS0_17counting_iteratorIjlEEPS9_SG_NS0_5tupleIJPjSI_NS0_16reverse_iteratorISI_EEEEENSH_IJSG_SG_SG_EEES9_SI_JZNS1_25segmented_radix_sort_implINS0_14default_configELb1EPKdPdPKlPlN2at6native12_GLOBAL__N_18offset_tEEE10hipError_tPvRmT1_PNSt15iterator_traitsIS12_E10value_typeET2_T3_PNS13_IS18_E10value_typeET4_jRbjT5_S1E_jjP12ihipStream_tbEUljE_ZNSN_ISO_Lb1ESQ_SR_ST_SU_SY_EESZ_S10_S11_S12_S16_S17_S18_S1B_S1C_jS1D_jS1E_S1E_jjS1G_bEUljE0_EEESZ_S10_S11_S18_S1C_S1E_T6_T7_T9_mT8_S1G_bDpT10_ENKUlT_T0_E_clISt17integral_constantIbLb0EES1U_EEDaS1P_S1Q_EUlS1P_E_NS1_11comp_targetILNS1_3genE5ELNS1_11target_archE942ELNS1_3gpuE9ELNS1_3repE0EEENS1_30default_config_static_selectorELNS0_4arch9wavefront6targetE0EEEvS12_
                                        ; -- End function
	.set _ZN7rocprim17ROCPRIM_400000_NS6detail17trampoline_kernelINS0_13select_configILj256ELj13ELNS0_17block_load_methodE3ELS4_3ELS4_3ELNS0_20block_scan_algorithmE0ELj4294967295EEENS1_25partition_config_selectorILNS1_17partition_subalgoE4EjNS0_10empty_typeEbEEZZNS1_14partition_implILS8_4ELb0ES6_15HIP_vector_typeIjLj2EENS0_17counting_iteratorIjlEEPS9_SG_NS0_5tupleIJPjSI_NS0_16reverse_iteratorISI_EEEEENSH_IJSG_SG_SG_EEES9_SI_JZNS1_25segmented_radix_sort_implINS0_14default_configELb1EPKdPdPKlPlN2at6native12_GLOBAL__N_18offset_tEEE10hipError_tPvRmT1_PNSt15iterator_traitsIS12_E10value_typeET2_T3_PNS13_IS18_E10value_typeET4_jRbjT5_S1E_jjP12ihipStream_tbEUljE_ZNSN_ISO_Lb1ESQ_SR_ST_SU_SY_EESZ_S10_S11_S12_S16_S17_S18_S1B_S1C_jS1D_jS1E_S1E_jjS1G_bEUljE0_EEESZ_S10_S11_S18_S1C_S1E_T6_T7_T9_mT8_S1G_bDpT10_ENKUlT_T0_E_clISt17integral_constantIbLb0EES1U_EEDaS1P_S1Q_EUlS1P_E_NS1_11comp_targetILNS1_3genE5ELNS1_11target_archE942ELNS1_3gpuE9ELNS1_3repE0EEENS1_30default_config_static_selectorELNS0_4arch9wavefront6targetE0EEEvS12_.num_vgpr, 0
	.set _ZN7rocprim17ROCPRIM_400000_NS6detail17trampoline_kernelINS0_13select_configILj256ELj13ELNS0_17block_load_methodE3ELS4_3ELS4_3ELNS0_20block_scan_algorithmE0ELj4294967295EEENS1_25partition_config_selectorILNS1_17partition_subalgoE4EjNS0_10empty_typeEbEEZZNS1_14partition_implILS8_4ELb0ES6_15HIP_vector_typeIjLj2EENS0_17counting_iteratorIjlEEPS9_SG_NS0_5tupleIJPjSI_NS0_16reverse_iteratorISI_EEEEENSH_IJSG_SG_SG_EEES9_SI_JZNS1_25segmented_radix_sort_implINS0_14default_configELb1EPKdPdPKlPlN2at6native12_GLOBAL__N_18offset_tEEE10hipError_tPvRmT1_PNSt15iterator_traitsIS12_E10value_typeET2_T3_PNS13_IS18_E10value_typeET4_jRbjT5_S1E_jjP12ihipStream_tbEUljE_ZNSN_ISO_Lb1ESQ_SR_ST_SU_SY_EESZ_S10_S11_S12_S16_S17_S18_S1B_S1C_jS1D_jS1E_S1E_jjS1G_bEUljE0_EEESZ_S10_S11_S18_S1C_S1E_T6_T7_T9_mT8_S1G_bDpT10_ENKUlT_T0_E_clISt17integral_constantIbLb0EES1U_EEDaS1P_S1Q_EUlS1P_E_NS1_11comp_targetILNS1_3genE5ELNS1_11target_archE942ELNS1_3gpuE9ELNS1_3repE0EEENS1_30default_config_static_selectorELNS0_4arch9wavefront6targetE0EEEvS12_.num_agpr, 0
	.set _ZN7rocprim17ROCPRIM_400000_NS6detail17trampoline_kernelINS0_13select_configILj256ELj13ELNS0_17block_load_methodE3ELS4_3ELS4_3ELNS0_20block_scan_algorithmE0ELj4294967295EEENS1_25partition_config_selectorILNS1_17partition_subalgoE4EjNS0_10empty_typeEbEEZZNS1_14partition_implILS8_4ELb0ES6_15HIP_vector_typeIjLj2EENS0_17counting_iteratorIjlEEPS9_SG_NS0_5tupleIJPjSI_NS0_16reverse_iteratorISI_EEEEENSH_IJSG_SG_SG_EEES9_SI_JZNS1_25segmented_radix_sort_implINS0_14default_configELb1EPKdPdPKlPlN2at6native12_GLOBAL__N_18offset_tEEE10hipError_tPvRmT1_PNSt15iterator_traitsIS12_E10value_typeET2_T3_PNS13_IS18_E10value_typeET4_jRbjT5_S1E_jjP12ihipStream_tbEUljE_ZNSN_ISO_Lb1ESQ_SR_ST_SU_SY_EESZ_S10_S11_S12_S16_S17_S18_S1B_S1C_jS1D_jS1E_S1E_jjS1G_bEUljE0_EEESZ_S10_S11_S18_S1C_S1E_T6_T7_T9_mT8_S1G_bDpT10_ENKUlT_T0_E_clISt17integral_constantIbLb0EES1U_EEDaS1P_S1Q_EUlS1P_E_NS1_11comp_targetILNS1_3genE5ELNS1_11target_archE942ELNS1_3gpuE9ELNS1_3repE0EEENS1_30default_config_static_selectorELNS0_4arch9wavefront6targetE0EEEvS12_.numbered_sgpr, 0
	.set _ZN7rocprim17ROCPRIM_400000_NS6detail17trampoline_kernelINS0_13select_configILj256ELj13ELNS0_17block_load_methodE3ELS4_3ELS4_3ELNS0_20block_scan_algorithmE0ELj4294967295EEENS1_25partition_config_selectorILNS1_17partition_subalgoE4EjNS0_10empty_typeEbEEZZNS1_14partition_implILS8_4ELb0ES6_15HIP_vector_typeIjLj2EENS0_17counting_iteratorIjlEEPS9_SG_NS0_5tupleIJPjSI_NS0_16reverse_iteratorISI_EEEEENSH_IJSG_SG_SG_EEES9_SI_JZNS1_25segmented_radix_sort_implINS0_14default_configELb1EPKdPdPKlPlN2at6native12_GLOBAL__N_18offset_tEEE10hipError_tPvRmT1_PNSt15iterator_traitsIS12_E10value_typeET2_T3_PNS13_IS18_E10value_typeET4_jRbjT5_S1E_jjP12ihipStream_tbEUljE_ZNSN_ISO_Lb1ESQ_SR_ST_SU_SY_EESZ_S10_S11_S12_S16_S17_S18_S1B_S1C_jS1D_jS1E_S1E_jjS1G_bEUljE0_EEESZ_S10_S11_S18_S1C_S1E_T6_T7_T9_mT8_S1G_bDpT10_ENKUlT_T0_E_clISt17integral_constantIbLb0EES1U_EEDaS1P_S1Q_EUlS1P_E_NS1_11comp_targetILNS1_3genE5ELNS1_11target_archE942ELNS1_3gpuE9ELNS1_3repE0EEENS1_30default_config_static_selectorELNS0_4arch9wavefront6targetE0EEEvS12_.num_named_barrier, 0
	.set _ZN7rocprim17ROCPRIM_400000_NS6detail17trampoline_kernelINS0_13select_configILj256ELj13ELNS0_17block_load_methodE3ELS4_3ELS4_3ELNS0_20block_scan_algorithmE0ELj4294967295EEENS1_25partition_config_selectorILNS1_17partition_subalgoE4EjNS0_10empty_typeEbEEZZNS1_14partition_implILS8_4ELb0ES6_15HIP_vector_typeIjLj2EENS0_17counting_iteratorIjlEEPS9_SG_NS0_5tupleIJPjSI_NS0_16reverse_iteratorISI_EEEEENSH_IJSG_SG_SG_EEES9_SI_JZNS1_25segmented_radix_sort_implINS0_14default_configELb1EPKdPdPKlPlN2at6native12_GLOBAL__N_18offset_tEEE10hipError_tPvRmT1_PNSt15iterator_traitsIS12_E10value_typeET2_T3_PNS13_IS18_E10value_typeET4_jRbjT5_S1E_jjP12ihipStream_tbEUljE_ZNSN_ISO_Lb1ESQ_SR_ST_SU_SY_EESZ_S10_S11_S12_S16_S17_S18_S1B_S1C_jS1D_jS1E_S1E_jjS1G_bEUljE0_EEESZ_S10_S11_S18_S1C_S1E_T6_T7_T9_mT8_S1G_bDpT10_ENKUlT_T0_E_clISt17integral_constantIbLb0EES1U_EEDaS1P_S1Q_EUlS1P_E_NS1_11comp_targetILNS1_3genE5ELNS1_11target_archE942ELNS1_3gpuE9ELNS1_3repE0EEENS1_30default_config_static_selectorELNS0_4arch9wavefront6targetE0EEEvS12_.private_seg_size, 0
	.set _ZN7rocprim17ROCPRIM_400000_NS6detail17trampoline_kernelINS0_13select_configILj256ELj13ELNS0_17block_load_methodE3ELS4_3ELS4_3ELNS0_20block_scan_algorithmE0ELj4294967295EEENS1_25partition_config_selectorILNS1_17partition_subalgoE4EjNS0_10empty_typeEbEEZZNS1_14partition_implILS8_4ELb0ES6_15HIP_vector_typeIjLj2EENS0_17counting_iteratorIjlEEPS9_SG_NS0_5tupleIJPjSI_NS0_16reverse_iteratorISI_EEEEENSH_IJSG_SG_SG_EEES9_SI_JZNS1_25segmented_radix_sort_implINS0_14default_configELb1EPKdPdPKlPlN2at6native12_GLOBAL__N_18offset_tEEE10hipError_tPvRmT1_PNSt15iterator_traitsIS12_E10value_typeET2_T3_PNS13_IS18_E10value_typeET4_jRbjT5_S1E_jjP12ihipStream_tbEUljE_ZNSN_ISO_Lb1ESQ_SR_ST_SU_SY_EESZ_S10_S11_S12_S16_S17_S18_S1B_S1C_jS1D_jS1E_S1E_jjS1G_bEUljE0_EEESZ_S10_S11_S18_S1C_S1E_T6_T7_T9_mT8_S1G_bDpT10_ENKUlT_T0_E_clISt17integral_constantIbLb0EES1U_EEDaS1P_S1Q_EUlS1P_E_NS1_11comp_targetILNS1_3genE5ELNS1_11target_archE942ELNS1_3gpuE9ELNS1_3repE0EEENS1_30default_config_static_selectorELNS0_4arch9wavefront6targetE0EEEvS12_.uses_vcc, 0
	.set _ZN7rocprim17ROCPRIM_400000_NS6detail17trampoline_kernelINS0_13select_configILj256ELj13ELNS0_17block_load_methodE3ELS4_3ELS4_3ELNS0_20block_scan_algorithmE0ELj4294967295EEENS1_25partition_config_selectorILNS1_17partition_subalgoE4EjNS0_10empty_typeEbEEZZNS1_14partition_implILS8_4ELb0ES6_15HIP_vector_typeIjLj2EENS0_17counting_iteratorIjlEEPS9_SG_NS0_5tupleIJPjSI_NS0_16reverse_iteratorISI_EEEEENSH_IJSG_SG_SG_EEES9_SI_JZNS1_25segmented_radix_sort_implINS0_14default_configELb1EPKdPdPKlPlN2at6native12_GLOBAL__N_18offset_tEEE10hipError_tPvRmT1_PNSt15iterator_traitsIS12_E10value_typeET2_T3_PNS13_IS18_E10value_typeET4_jRbjT5_S1E_jjP12ihipStream_tbEUljE_ZNSN_ISO_Lb1ESQ_SR_ST_SU_SY_EESZ_S10_S11_S12_S16_S17_S18_S1B_S1C_jS1D_jS1E_S1E_jjS1G_bEUljE0_EEESZ_S10_S11_S18_S1C_S1E_T6_T7_T9_mT8_S1G_bDpT10_ENKUlT_T0_E_clISt17integral_constantIbLb0EES1U_EEDaS1P_S1Q_EUlS1P_E_NS1_11comp_targetILNS1_3genE5ELNS1_11target_archE942ELNS1_3gpuE9ELNS1_3repE0EEENS1_30default_config_static_selectorELNS0_4arch9wavefront6targetE0EEEvS12_.uses_flat_scratch, 0
	.set _ZN7rocprim17ROCPRIM_400000_NS6detail17trampoline_kernelINS0_13select_configILj256ELj13ELNS0_17block_load_methodE3ELS4_3ELS4_3ELNS0_20block_scan_algorithmE0ELj4294967295EEENS1_25partition_config_selectorILNS1_17partition_subalgoE4EjNS0_10empty_typeEbEEZZNS1_14partition_implILS8_4ELb0ES6_15HIP_vector_typeIjLj2EENS0_17counting_iteratorIjlEEPS9_SG_NS0_5tupleIJPjSI_NS0_16reverse_iteratorISI_EEEEENSH_IJSG_SG_SG_EEES9_SI_JZNS1_25segmented_radix_sort_implINS0_14default_configELb1EPKdPdPKlPlN2at6native12_GLOBAL__N_18offset_tEEE10hipError_tPvRmT1_PNSt15iterator_traitsIS12_E10value_typeET2_T3_PNS13_IS18_E10value_typeET4_jRbjT5_S1E_jjP12ihipStream_tbEUljE_ZNSN_ISO_Lb1ESQ_SR_ST_SU_SY_EESZ_S10_S11_S12_S16_S17_S18_S1B_S1C_jS1D_jS1E_S1E_jjS1G_bEUljE0_EEESZ_S10_S11_S18_S1C_S1E_T6_T7_T9_mT8_S1G_bDpT10_ENKUlT_T0_E_clISt17integral_constantIbLb0EES1U_EEDaS1P_S1Q_EUlS1P_E_NS1_11comp_targetILNS1_3genE5ELNS1_11target_archE942ELNS1_3gpuE9ELNS1_3repE0EEENS1_30default_config_static_selectorELNS0_4arch9wavefront6targetE0EEEvS12_.has_dyn_sized_stack, 0
	.set _ZN7rocprim17ROCPRIM_400000_NS6detail17trampoline_kernelINS0_13select_configILj256ELj13ELNS0_17block_load_methodE3ELS4_3ELS4_3ELNS0_20block_scan_algorithmE0ELj4294967295EEENS1_25partition_config_selectorILNS1_17partition_subalgoE4EjNS0_10empty_typeEbEEZZNS1_14partition_implILS8_4ELb0ES6_15HIP_vector_typeIjLj2EENS0_17counting_iteratorIjlEEPS9_SG_NS0_5tupleIJPjSI_NS0_16reverse_iteratorISI_EEEEENSH_IJSG_SG_SG_EEES9_SI_JZNS1_25segmented_radix_sort_implINS0_14default_configELb1EPKdPdPKlPlN2at6native12_GLOBAL__N_18offset_tEEE10hipError_tPvRmT1_PNSt15iterator_traitsIS12_E10value_typeET2_T3_PNS13_IS18_E10value_typeET4_jRbjT5_S1E_jjP12ihipStream_tbEUljE_ZNSN_ISO_Lb1ESQ_SR_ST_SU_SY_EESZ_S10_S11_S12_S16_S17_S18_S1B_S1C_jS1D_jS1E_S1E_jjS1G_bEUljE0_EEESZ_S10_S11_S18_S1C_S1E_T6_T7_T9_mT8_S1G_bDpT10_ENKUlT_T0_E_clISt17integral_constantIbLb0EES1U_EEDaS1P_S1Q_EUlS1P_E_NS1_11comp_targetILNS1_3genE5ELNS1_11target_archE942ELNS1_3gpuE9ELNS1_3repE0EEENS1_30default_config_static_selectorELNS0_4arch9wavefront6targetE0EEEvS12_.has_recursion, 0
	.set _ZN7rocprim17ROCPRIM_400000_NS6detail17trampoline_kernelINS0_13select_configILj256ELj13ELNS0_17block_load_methodE3ELS4_3ELS4_3ELNS0_20block_scan_algorithmE0ELj4294967295EEENS1_25partition_config_selectorILNS1_17partition_subalgoE4EjNS0_10empty_typeEbEEZZNS1_14partition_implILS8_4ELb0ES6_15HIP_vector_typeIjLj2EENS0_17counting_iteratorIjlEEPS9_SG_NS0_5tupleIJPjSI_NS0_16reverse_iteratorISI_EEEEENSH_IJSG_SG_SG_EEES9_SI_JZNS1_25segmented_radix_sort_implINS0_14default_configELb1EPKdPdPKlPlN2at6native12_GLOBAL__N_18offset_tEEE10hipError_tPvRmT1_PNSt15iterator_traitsIS12_E10value_typeET2_T3_PNS13_IS18_E10value_typeET4_jRbjT5_S1E_jjP12ihipStream_tbEUljE_ZNSN_ISO_Lb1ESQ_SR_ST_SU_SY_EESZ_S10_S11_S12_S16_S17_S18_S1B_S1C_jS1D_jS1E_S1E_jjS1G_bEUljE0_EEESZ_S10_S11_S18_S1C_S1E_T6_T7_T9_mT8_S1G_bDpT10_ENKUlT_T0_E_clISt17integral_constantIbLb0EES1U_EEDaS1P_S1Q_EUlS1P_E_NS1_11comp_targetILNS1_3genE5ELNS1_11target_archE942ELNS1_3gpuE9ELNS1_3repE0EEENS1_30default_config_static_selectorELNS0_4arch9wavefront6targetE0EEEvS12_.has_indirect_call, 0
	.section	.AMDGPU.csdata,"",@progbits
; Kernel info:
; codeLenInByte = 0
; TotalNumSgprs: 0
; NumVgprs: 0
; ScratchSize: 0
; MemoryBound: 0
; FloatMode: 240
; IeeeMode: 1
; LDSByteSize: 0 bytes/workgroup (compile time only)
; SGPRBlocks: 0
; VGPRBlocks: 0
; NumSGPRsForWavesPerEU: 1
; NumVGPRsForWavesPerEU: 1
; NamedBarCnt: 0
; Occupancy: 16
; WaveLimiterHint : 0
; COMPUTE_PGM_RSRC2:SCRATCH_EN: 0
; COMPUTE_PGM_RSRC2:USER_SGPR: 2
; COMPUTE_PGM_RSRC2:TRAP_HANDLER: 0
; COMPUTE_PGM_RSRC2:TGID_X_EN: 1
; COMPUTE_PGM_RSRC2:TGID_Y_EN: 0
; COMPUTE_PGM_RSRC2:TGID_Z_EN: 0
; COMPUTE_PGM_RSRC2:TIDIG_COMP_CNT: 0
	.section	.text._ZN7rocprim17ROCPRIM_400000_NS6detail17trampoline_kernelINS0_13select_configILj256ELj13ELNS0_17block_load_methodE3ELS4_3ELS4_3ELNS0_20block_scan_algorithmE0ELj4294967295EEENS1_25partition_config_selectorILNS1_17partition_subalgoE4EjNS0_10empty_typeEbEEZZNS1_14partition_implILS8_4ELb0ES6_15HIP_vector_typeIjLj2EENS0_17counting_iteratorIjlEEPS9_SG_NS0_5tupleIJPjSI_NS0_16reverse_iteratorISI_EEEEENSH_IJSG_SG_SG_EEES9_SI_JZNS1_25segmented_radix_sort_implINS0_14default_configELb1EPKdPdPKlPlN2at6native12_GLOBAL__N_18offset_tEEE10hipError_tPvRmT1_PNSt15iterator_traitsIS12_E10value_typeET2_T3_PNS13_IS18_E10value_typeET4_jRbjT5_S1E_jjP12ihipStream_tbEUljE_ZNSN_ISO_Lb1ESQ_SR_ST_SU_SY_EESZ_S10_S11_S12_S16_S17_S18_S1B_S1C_jS1D_jS1E_S1E_jjS1G_bEUljE0_EEESZ_S10_S11_S18_S1C_S1E_T6_T7_T9_mT8_S1G_bDpT10_ENKUlT_T0_E_clISt17integral_constantIbLb0EES1U_EEDaS1P_S1Q_EUlS1P_E_NS1_11comp_targetILNS1_3genE4ELNS1_11target_archE910ELNS1_3gpuE8ELNS1_3repE0EEENS1_30default_config_static_selectorELNS0_4arch9wavefront6targetE0EEEvS12_,"axG",@progbits,_ZN7rocprim17ROCPRIM_400000_NS6detail17trampoline_kernelINS0_13select_configILj256ELj13ELNS0_17block_load_methodE3ELS4_3ELS4_3ELNS0_20block_scan_algorithmE0ELj4294967295EEENS1_25partition_config_selectorILNS1_17partition_subalgoE4EjNS0_10empty_typeEbEEZZNS1_14partition_implILS8_4ELb0ES6_15HIP_vector_typeIjLj2EENS0_17counting_iteratorIjlEEPS9_SG_NS0_5tupleIJPjSI_NS0_16reverse_iteratorISI_EEEEENSH_IJSG_SG_SG_EEES9_SI_JZNS1_25segmented_radix_sort_implINS0_14default_configELb1EPKdPdPKlPlN2at6native12_GLOBAL__N_18offset_tEEE10hipError_tPvRmT1_PNSt15iterator_traitsIS12_E10value_typeET2_T3_PNS13_IS18_E10value_typeET4_jRbjT5_S1E_jjP12ihipStream_tbEUljE_ZNSN_ISO_Lb1ESQ_SR_ST_SU_SY_EESZ_S10_S11_S12_S16_S17_S18_S1B_S1C_jS1D_jS1E_S1E_jjS1G_bEUljE0_EEESZ_S10_S11_S18_S1C_S1E_T6_T7_T9_mT8_S1G_bDpT10_ENKUlT_T0_E_clISt17integral_constantIbLb0EES1U_EEDaS1P_S1Q_EUlS1P_E_NS1_11comp_targetILNS1_3genE4ELNS1_11target_archE910ELNS1_3gpuE8ELNS1_3repE0EEENS1_30default_config_static_selectorELNS0_4arch9wavefront6targetE0EEEvS12_,comdat
	.globl	_ZN7rocprim17ROCPRIM_400000_NS6detail17trampoline_kernelINS0_13select_configILj256ELj13ELNS0_17block_load_methodE3ELS4_3ELS4_3ELNS0_20block_scan_algorithmE0ELj4294967295EEENS1_25partition_config_selectorILNS1_17partition_subalgoE4EjNS0_10empty_typeEbEEZZNS1_14partition_implILS8_4ELb0ES6_15HIP_vector_typeIjLj2EENS0_17counting_iteratorIjlEEPS9_SG_NS0_5tupleIJPjSI_NS0_16reverse_iteratorISI_EEEEENSH_IJSG_SG_SG_EEES9_SI_JZNS1_25segmented_radix_sort_implINS0_14default_configELb1EPKdPdPKlPlN2at6native12_GLOBAL__N_18offset_tEEE10hipError_tPvRmT1_PNSt15iterator_traitsIS12_E10value_typeET2_T3_PNS13_IS18_E10value_typeET4_jRbjT5_S1E_jjP12ihipStream_tbEUljE_ZNSN_ISO_Lb1ESQ_SR_ST_SU_SY_EESZ_S10_S11_S12_S16_S17_S18_S1B_S1C_jS1D_jS1E_S1E_jjS1G_bEUljE0_EEESZ_S10_S11_S18_S1C_S1E_T6_T7_T9_mT8_S1G_bDpT10_ENKUlT_T0_E_clISt17integral_constantIbLb0EES1U_EEDaS1P_S1Q_EUlS1P_E_NS1_11comp_targetILNS1_3genE4ELNS1_11target_archE910ELNS1_3gpuE8ELNS1_3repE0EEENS1_30default_config_static_selectorELNS0_4arch9wavefront6targetE0EEEvS12_ ; -- Begin function _ZN7rocprim17ROCPRIM_400000_NS6detail17trampoline_kernelINS0_13select_configILj256ELj13ELNS0_17block_load_methodE3ELS4_3ELS4_3ELNS0_20block_scan_algorithmE0ELj4294967295EEENS1_25partition_config_selectorILNS1_17partition_subalgoE4EjNS0_10empty_typeEbEEZZNS1_14partition_implILS8_4ELb0ES6_15HIP_vector_typeIjLj2EENS0_17counting_iteratorIjlEEPS9_SG_NS0_5tupleIJPjSI_NS0_16reverse_iteratorISI_EEEEENSH_IJSG_SG_SG_EEES9_SI_JZNS1_25segmented_radix_sort_implINS0_14default_configELb1EPKdPdPKlPlN2at6native12_GLOBAL__N_18offset_tEEE10hipError_tPvRmT1_PNSt15iterator_traitsIS12_E10value_typeET2_T3_PNS13_IS18_E10value_typeET4_jRbjT5_S1E_jjP12ihipStream_tbEUljE_ZNSN_ISO_Lb1ESQ_SR_ST_SU_SY_EESZ_S10_S11_S12_S16_S17_S18_S1B_S1C_jS1D_jS1E_S1E_jjS1G_bEUljE0_EEESZ_S10_S11_S18_S1C_S1E_T6_T7_T9_mT8_S1G_bDpT10_ENKUlT_T0_E_clISt17integral_constantIbLb0EES1U_EEDaS1P_S1Q_EUlS1P_E_NS1_11comp_targetILNS1_3genE4ELNS1_11target_archE910ELNS1_3gpuE8ELNS1_3repE0EEENS1_30default_config_static_selectorELNS0_4arch9wavefront6targetE0EEEvS12_
	.p2align	8
	.type	_ZN7rocprim17ROCPRIM_400000_NS6detail17trampoline_kernelINS0_13select_configILj256ELj13ELNS0_17block_load_methodE3ELS4_3ELS4_3ELNS0_20block_scan_algorithmE0ELj4294967295EEENS1_25partition_config_selectorILNS1_17partition_subalgoE4EjNS0_10empty_typeEbEEZZNS1_14partition_implILS8_4ELb0ES6_15HIP_vector_typeIjLj2EENS0_17counting_iteratorIjlEEPS9_SG_NS0_5tupleIJPjSI_NS0_16reverse_iteratorISI_EEEEENSH_IJSG_SG_SG_EEES9_SI_JZNS1_25segmented_radix_sort_implINS0_14default_configELb1EPKdPdPKlPlN2at6native12_GLOBAL__N_18offset_tEEE10hipError_tPvRmT1_PNSt15iterator_traitsIS12_E10value_typeET2_T3_PNS13_IS18_E10value_typeET4_jRbjT5_S1E_jjP12ihipStream_tbEUljE_ZNSN_ISO_Lb1ESQ_SR_ST_SU_SY_EESZ_S10_S11_S12_S16_S17_S18_S1B_S1C_jS1D_jS1E_S1E_jjS1G_bEUljE0_EEESZ_S10_S11_S18_S1C_S1E_T6_T7_T9_mT8_S1G_bDpT10_ENKUlT_T0_E_clISt17integral_constantIbLb0EES1U_EEDaS1P_S1Q_EUlS1P_E_NS1_11comp_targetILNS1_3genE4ELNS1_11target_archE910ELNS1_3gpuE8ELNS1_3repE0EEENS1_30default_config_static_selectorELNS0_4arch9wavefront6targetE0EEEvS12_,@function
_ZN7rocprim17ROCPRIM_400000_NS6detail17trampoline_kernelINS0_13select_configILj256ELj13ELNS0_17block_load_methodE3ELS4_3ELS4_3ELNS0_20block_scan_algorithmE0ELj4294967295EEENS1_25partition_config_selectorILNS1_17partition_subalgoE4EjNS0_10empty_typeEbEEZZNS1_14partition_implILS8_4ELb0ES6_15HIP_vector_typeIjLj2EENS0_17counting_iteratorIjlEEPS9_SG_NS0_5tupleIJPjSI_NS0_16reverse_iteratorISI_EEEEENSH_IJSG_SG_SG_EEES9_SI_JZNS1_25segmented_radix_sort_implINS0_14default_configELb1EPKdPdPKlPlN2at6native12_GLOBAL__N_18offset_tEEE10hipError_tPvRmT1_PNSt15iterator_traitsIS12_E10value_typeET2_T3_PNS13_IS18_E10value_typeET4_jRbjT5_S1E_jjP12ihipStream_tbEUljE_ZNSN_ISO_Lb1ESQ_SR_ST_SU_SY_EESZ_S10_S11_S12_S16_S17_S18_S1B_S1C_jS1D_jS1E_S1E_jjS1G_bEUljE0_EEESZ_S10_S11_S18_S1C_S1E_T6_T7_T9_mT8_S1G_bDpT10_ENKUlT_T0_E_clISt17integral_constantIbLb0EES1U_EEDaS1P_S1Q_EUlS1P_E_NS1_11comp_targetILNS1_3genE4ELNS1_11target_archE910ELNS1_3gpuE8ELNS1_3repE0EEENS1_30default_config_static_selectorELNS0_4arch9wavefront6targetE0EEEvS12_: ; @_ZN7rocprim17ROCPRIM_400000_NS6detail17trampoline_kernelINS0_13select_configILj256ELj13ELNS0_17block_load_methodE3ELS4_3ELS4_3ELNS0_20block_scan_algorithmE0ELj4294967295EEENS1_25partition_config_selectorILNS1_17partition_subalgoE4EjNS0_10empty_typeEbEEZZNS1_14partition_implILS8_4ELb0ES6_15HIP_vector_typeIjLj2EENS0_17counting_iteratorIjlEEPS9_SG_NS0_5tupleIJPjSI_NS0_16reverse_iteratorISI_EEEEENSH_IJSG_SG_SG_EEES9_SI_JZNS1_25segmented_radix_sort_implINS0_14default_configELb1EPKdPdPKlPlN2at6native12_GLOBAL__N_18offset_tEEE10hipError_tPvRmT1_PNSt15iterator_traitsIS12_E10value_typeET2_T3_PNS13_IS18_E10value_typeET4_jRbjT5_S1E_jjP12ihipStream_tbEUljE_ZNSN_ISO_Lb1ESQ_SR_ST_SU_SY_EESZ_S10_S11_S12_S16_S17_S18_S1B_S1C_jS1D_jS1E_S1E_jjS1G_bEUljE0_EEESZ_S10_S11_S18_S1C_S1E_T6_T7_T9_mT8_S1G_bDpT10_ENKUlT_T0_E_clISt17integral_constantIbLb0EES1U_EEDaS1P_S1Q_EUlS1P_E_NS1_11comp_targetILNS1_3genE4ELNS1_11target_archE910ELNS1_3gpuE8ELNS1_3repE0EEENS1_30default_config_static_selectorELNS0_4arch9wavefront6targetE0EEEvS12_
; %bb.0:
	.section	.rodata,"a",@progbits
	.p2align	6, 0x0
	.amdhsa_kernel _ZN7rocprim17ROCPRIM_400000_NS6detail17trampoline_kernelINS0_13select_configILj256ELj13ELNS0_17block_load_methodE3ELS4_3ELS4_3ELNS0_20block_scan_algorithmE0ELj4294967295EEENS1_25partition_config_selectorILNS1_17partition_subalgoE4EjNS0_10empty_typeEbEEZZNS1_14partition_implILS8_4ELb0ES6_15HIP_vector_typeIjLj2EENS0_17counting_iteratorIjlEEPS9_SG_NS0_5tupleIJPjSI_NS0_16reverse_iteratorISI_EEEEENSH_IJSG_SG_SG_EEES9_SI_JZNS1_25segmented_radix_sort_implINS0_14default_configELb1EPKdPdPKlPlN2at6native12_GLOBAL__N_18offset_tEEE10hipError_tPvRmT1_PNSt15iterator_traitsIS12_E10value_typeET2_T3_PNS13_IS18_E10value_typeET4_jRbjT5_S1E_jjP12ihipStream_tbEUljE_ZNSN_ISO_Lb1ESQ_SR_ST_SU_SY_EESZ_S10_S11_S12_S16_S17_S18_S1B_S1C_jS1D_jS1E_S1E_jjS1G_bEUljE0_EEESZ_S10_S11_S18_S1C_S1E_T6_T7_T9_mT8_S1G_bDpT10_ENKUlT_T0_E_clISt17integral_constantIbLb0EES1U_EEDaS1P_S1Q_EUlS1P_E_NS1_11comp_targetILNS1_3genE4ELNS1_11target_archE910ELNS1_3gpuE8ELNS1_3repE0EEENS1_30default_config_static_selectorELNS0_4arch9wavefront6targetE0EEEvS12_
		.amdhsa_group_segment_fixed_size 0
		.amdhsa_private_segment_fixed_size 0
		.amdhsa_kernarg_size 176
		.amdhsa_user_sgpr_count 2
		.amdhsa_user_sgpr_dispatch_ptr 0
		.amdhsa_user_sgpr_queue_ptr 0
		.amdhsa_user_sgpr_kernarg_segment_ptr 1
		.amdhsa_user_sgpr_dispatch_id 0
		.amdhsa_user_sgpr_kernarg_preload_length 0
		.amdhsa_user_sgpr_kernarg_preload_offset 0
		.amdhsa_user_sgpr_private_segment_size 0
		.amdhsa_wavefront_size32 1
		.amdhsa_uses_dynamic_stack 0
		.amdhsa_enable_private_segment 0
		.amdhsa_system_sgpr_workgroup_id_x 1
		.amdhsa_system_sgpr_workgroup_id_y 0
		.amdhsa_system_sgpr_workgroup_id_z 0
		.amdhsa_system_sgpr_workgroup_info 0
		.amdhsa_system_vgpr_workitem_id 0
		.amdhsa_next_free_vgpr 1
		.amdhsa_next_free_sgpr 1
		.amdhsa_named_barrier_count 0
		.amdhsa_reserve_vcc 0
		.amdhsa_float_round_mode_32 0
		.amdhsa_float_round_mode_16_64 0
		.amdhsa_float_denorm_mode_32 3
		.amdhsa_float_denorm_mode_16_64 3
		.amdhsa_fp16_overflow 0
		.amdhsa_memory_ordered 1
		.amdhsa_forward_progress 1
		.amdhsa_inst_pref_size 0
		.amdhsa_round_robin_scheduling 0
		.amdhsa_exception_fp_ieee_invalid_op 0
		.amdhsa_exception_fp_denorm_src 0
		.amdhsa_exception_fp_ieee_div_zero 0
		.amdhsa_exception_fp_ieee_overflow 0
		.amdhsa_exception_fp_ieee_underflow 0
		.amdhsa_exception_fp_ieee_inexact 0
		.amdhsa_exception_int_div_zero 0
	.end_amdhsa_kernel
	.section	.text._ZN7rocprim17ROCPRIM_400000_NS6detail17trampoline_kernelINS0_13select_configILj256ELj13ELNS0_17block_load_methodE3ELS4_3ELS4_3ELNS0_20block_scan_algorithmE0ELj4294967295EEENS1_25partition_config_selectorILNS1_17partition_subalgoE4EjNS0_10empty_typeEbEEZZNS1_14partition_implILS8_4ELb0ES6_15HIP_vector_typeIjLj2EENS0_17counting_iteratorIjlEEPS9_SG_NS0_5tupleIJPjSI_NS0_16reverse_iteratorISI_EEEEENSH_IJSG_SG_SG_EEES9_SI_JZNS1_25segmented_radix_sort_implINS0_14default_configELb1EPKdPdPKlPlN2at6native12_GLOBAL__N_18offset_tEEE10hipError_tPvRmT1_PNSt15iterator_traitsIS12_E10value_typeET2_T3_PNS13_IS18_E10value_typeET4_jRbjT5_S1E_jjP12ihipStream_tbEUljE_ZNSN_ISO_Lb1ESQ_SR_ST_SU_SY_EESZ_S10_S11_S12_S16_S17_S18_S1B_S1C_jS1D_jS1E_S1E_jjS1G_bEUljE0_EEESZ_S10_S11_S18_S1C_S1E_T6_T7_T9_mT8_S1G_bDpT10_ENKUlT_T0_E_clISt17integral_constantIbLb0EES1U_EEDaS1P_S1Q_EUlS1P_E_NS1_11comp_targetILNS1_3genE4ELNS1_11target_archE910ELNS1_3gpuE8ELNS1_3repE0EEENS1_30default_config_static_selectorELNS0_4arch9wavefront6targetE0EEEvS12_,"axG",@progbits,_ZN7rocprim17ROCPRIM_400000_NS6detail17trampoline_kernelINS0_13select_configILj256ELj13ELNS0_17block_load_methodE3ELS4_3ELS4_3ELNS0_20block_scan_algorithmE0ELj4294967295EEENS1_25partition_config_selectorILNS1_17partition_subalgoE4EjNS0_10empty_typeEbEEZZNS1_14partition_implILS8_4ELb0ES6_15HIP_vector_typeIjLj2EENS0_17counting_iteratorIjlEEPS9_SG_NS0_5tupleIJPjSI_NS0_16reverse_iteratorISI_EEEEENSH_IJSG_SG_SG_EEES9_SI_JZNS1_25segmented_radix_sort_implINS0_14default_configELb1EPKdPdPKlPlN2at6native12_GLOBAL__N_18offset_tEEE10hipError_tPvRmT1_PNSt15iterator_traitsIS12_E10value_typeET2_T3_PNS13_IS18_E10value_typeET4_jRbjT5_S1E_jjP12ihipStream_tbEUljE_ZNSN_ISO_Lb1ESQ_SR_ST_SU_SY_EESZ_S10_S11_S12_S16_S17_S18_S1B_S1C_jS1D_jS1E_S1E_jjS1G_bEUljE0_EEESZ_S10_S11_S18_S1C_S1E_T6_T7_T9_mT8_S1G_bDpT10_ENKUlT_T0_E_clISt17integral_constantIbLb0EES1U_EEDaS1P_S1Q_EUlS1P_E_NS1_11comp_targetILNS1_3genE4ELNS1_11target_archE910ELNS1_3gpuE8ELNS1_3repE0EEENS1_30default_config_static_selectorELNS0_4arch9wavefront6targetE0EEEvS12_,comdat
.Lfunc_end1050:
	.size	_ZN7rocprim17ROCPRIM_400000_NS6detail17trampoline_kernelINS0_13select_configILj256ELj13ELNS0_17block_load_methodE3ELS4_3ELS4_3ELNS0_20block_scan_algorithmE0ELj4294967295EEENS1_25partition_config_selectorILNS1_17partition_subalgoE4EjNS0_10empty_typeEbEEZZNS1_14partition_implILS8_4ELb0ES6_15HIP_vector_typeIjLj2EENS0_17counting_iteratorIjlEEPS9_SG_NS0_5tupleIJPjSI_NS0_16reverse_iteratorISI_EEEEENSH_IJSG_SG_SG_EEES9_SI_JZNS1_25segmented_radix_sort_implINS0_14default_configELb1EPKdPdPKlPlN2at6native12_GLOBAL__N_18offset_tEEE10hipError_tPvRmT1_PNSt15iterator_traitsIS12_E10value_typeET2_T3_PNS13_IS18_E10value_typeET4_jRbjT5_S1E_jjP12ihipStream_tbEUljE_ZNSN_ISO_Lb1ESQ_SR_ST_SU_SY_EESZ_S10_S11_S12_S16_S17_S18_S1B_S1C_jS1D_jS1E_S1E_jjS1G_bEUljE0_EEESZ_S10_S11_S18_S1C_S1E_T6_T7_T9_mT8_S1G_bDpT10_ENKUlT_T0_E_clISt17integral_constantIbLb0EES1U_EEDaS1P_S1Q_EUlS1P_E_NS1_11comp_targetILNS1_3genE4ELNS1_11target_archE910ELNS1_3gpuE8ELNS1_3repE0EEENS1_30default_config_static_selectorELNS0_4arch9wavefront6targetE0EEEvS12_, .Lfunc_end1050-_ZN7rocprim17ROCPRIM_400000_NS6detail17trampoline_kernelINS0_13select_configILj256ELj13ELNS0_17block_load_methodE3ELS4_3ELS4_3ELNS0_20block_scan_algorithmE0ELj4294967295EEENS1_25partition_config_selectorILNS1_17partition_subalgoE4EjNS0_10empty_typeEbEEZZNS1_14partition_implILS8_4ELb0ES6_15HIP_vector_typeIjLj2EENS0_17counting_iteratorIjlEEPS9_SG_NS0_5tupleIJPjSI_NS0_16reverse_iteratorISI_EEEEENSH_IJSG_SG_SG_EEES9_SI_JZNS1_25segmented_radix_sort_implINS0_14default_configELb1EPKdPdPKlPlN2at6native12_GLOBAL__N_18offset_tEEE10hipError_tPvRmT1_PNSt15iterator_traitsIS12_E10value_typeET2_T3_PNS13_IS18_E10value_typeET4_jRbjT5_S1E_jjP12ihipStream_tbEUljE_ZNSN_ISO_Lb1ESQ_SR_ST_SU_SY_EESZ_S10_S11_S12_S16_S17_S18_S1B_S1C_jS1D_jS1E_S1E_jjS1G_bEUljE0_EEESZ_S10_S11_S18_S1C_S1E_T6_T7_T9_mT8_S1G_bDpT10_ENKUlT_T0_E_clISt17integral_constantIbLb0EES1U_EEDaS1P_S1Q_EUlS1P_E_NS1_11comp_targetILNS1_3genE4ELNS1_11target_archE910ELNS1_3gpuE8ELNS1_3repE0EEENS1_30default_config_static_selectorELNS0_4arch9wavefront6targetE0EEEvS12_
                                        ; -- End function
	.set _ZN7rocprim17ROCPRIM_400000_NS6detail17trampoline_kernelINS0_13select_configILj256ELj13ELNS0_17block_load_methodE3ELS4_3ELS4_3ELNS0_20block_scan_algorithmE0ELj4294967295EEENS1_25partition_config_selectorILNS1_17partition_subalgoE4EjNS0_10empty_typeEbEEZZNS1_14partition_implILS8_4ELb0ES6_15HIP_vector_typeIjLj2EENS0_17counting_iteratorIjlEEPS9_SG_NS0_5tupleIJPjSI_NS0_16reverse_iteratorISI_EEEEENSH_IJSG_SG_SG_EEES9_SI_JZNS1_25segmented_radix_sort_implINS0_14default_configELb1EPKdPdPKlPlN2at6native12_GLOBAL__N_18offset_tEEE10hipError_tPvRmT1_PNSt15iterator_traitsIS12_E10value_typeET2_T3_PNS13_IS18_E10value_typeET4_jRbjT5_S1E_jjP12ihipStream_tbEUljE_ZNSN_ISO_Lb1ESQ_SR_ST_SU_SY_EESZ_S10_S11_S12_S16_S17_S18_S1B_S1C_jS1D_jS1E_S1E_jjS1G_bEUljE0_EEESZ_S10_S11_S18_S1C_S1E_T6_T7_T9_mT8_S1G_bDpT10_ENKUlT_T0_E_clISt17integral_constantIbLb0EES1U_EEDaS1P_S1Q_EUlS1P_E_NS1_11comp_targetILNS1_3genE4ELNS1_11target_archE910ELNS1_3gpuE8ELNS1_3repE0EEENS1_30default_config_static_selectorELNS0_4arch9wavefront6targetE0EEEvS12_.num_vgpr, 0
	.set _ZN7rocprim17ROCPRIM_400000_NS6detail17trampoline_kernelINS0_13select_configILj256ELj13ELNS0_17block_load_methodE3ELS4_3ELS4_3ELNS0_20block_scan_algorithmE0ELj4294967295EEENS1_25partition_config_selectorILNS1_17partition_subalgoE4EjNS0_10empty_typeEbEEZZNS1_14partition_implILS8_4ELb0ES6_15HIP_vector_typeIjLj2EENS0_17counting_iteratorIjlEEPS9_SG_NS0_5tupleIJPjSI_NS0_16reverse_iteratorISI_EEEEENSH_IJSG_SG_SG_EEES9_SI_JZNS1_25segmented_radix_sort_implINS0_14default_configELb1EPKdPdPKlPlN2at6native12_GLOBAL__N_18offset_tEEE10hipError_tPvRmT1_PNSt15iterator_traitsIS12_E10value_typeET2_T3_PNS13_IS18_E10value_typeET4_jRbjT5_S1E_jjP12ihipStream_tbEUljE_ZNSN_ISO_Lb1ESQ_SR_ST_SU_SY_EESZ_S10_S11_S12_S16_S17_S18_S1B_S1C_jS1D_jS1E_S1E_jjS1G_bEUljE0_EEESZ_S10_S11_S18_S1C_S1E_T6_T7_T9_mT8_S1G_bDpT10_ENKUlT_T0_E_clISt17integral_constantIbLb0EES1U_EEDaS1P_S1Q_EUlS1P_E_NS1_11comp_targetILNS1_3genE4ELNS1_11target_archE910ELNS1_3gpuE8ELNS1_3repE0EEENS1_30default_config_static_selectorELNS0_4arch9wavefront6targetE0EEEvS12_.num_agpr, 0
	.set _ZN7rocprim17ROCPRIM_400000_NS6detail17trampoline_kernelINS0_13select_configILj256ELj13ELNS0_17block_load_methodE3ELS4_3ELS4_3ELNS0_20block_scan_algorithmE0ELj4294967295EEENS1_25partition_config_selectorILNS1_17partition_subalgoE4EjNS0_10empty_typeEbEEZZNS1_14partition_implILS8_4ELb0ES6_15HIP_vector_typeIjLj2EENS0_17counting_iteratorIjlEEPS9_SG_NS0_5tupleIJPjSI_NS0_16reverse_iteratorISI_EEEEENSH_IJSG_SG_SG_EEES9_SI_JZNS1_25segmented_radix_sort_implINS0_14default_configELb1EPKdPdPKlPlN2at6native12_GLOBAL__N_18offset_tEEE10hipError_tPvRmT1_PNSt15iterator_traitsIS12_E10value_typeET2_T3_PNS13_IS18_E10value_typeET4_jRbjT5_S1E_jjP12ihipStream_tbEUljE_ZNSN_ISO_Lb1ESQ_SR_ST_SU_SY_EESZ_S10_S11_S12_S16_S17_S18_S1B_S1C_jS1D_jS1E_S1E_jjS1G_bEUljE0_EEESZ_S10_S11_S18_S1C_S1E_T6_T7_T9_mT8_S1G_bDpT10_ENKUlT_T0_E_clISt17integral_constantIbLb0EES1U_EEDaS1P_S1Q_EUlS1P_E_NS1_11comp_targetILNS1_3genE4ELNS1_11target_archE910ELNS1_3gpuE8ELNS1_3repE0EEENS1_30default_config_static_selectorELNS0_4arch9wavefront6targetE0EEEvS12_.numbered_sgpr, 0
	.set _ZN7rocprim17ROCPRIM_400000_NS6detail17trampoline_kernelINS0_13select_configILj256ELj13ELNS0_17block_load_methodE3ELS4_3ELS4_3ELNS0_20block_scan_algorithmE0ELj4294967295EEENS1_25partition_config_selectorILNS1_17partition_subalgoE4EjNS0_10empty_typeEbEEZZNS1_14partition_implILS8_4ELb0ES6_15HIP_vector_typeIjLj2EENS0_17counting_iteratorIjlEEPS9_SG_NS0_5tupleIJPjSI_NS0_16reverse_iteratorISI_EEEEENSH_IJSG_SG_SG_EEES9_SI_JZNS1_25segmented_radix_sort_implINS0_14default_configELb1EPKdPdPKlPlN2at6native12_GLOBAL__N_18offset_tEEE10hipError_tPvRmT1_PNSt15iterator_traitsIS12_E10value_typeET2_T3_PNS13_IS18_E10value_typeET4_jRbjT5_S1E_jjP12ihipStream_tbEUljE_ZNSN_ISO_Lb1ESQ_SR_ST_SU_SY_EESZ_S10_S11_S12_S16_S17_S18_S1B_S1C_jS1D_jS1E_S1E_jjS1G_bEUljE0_EEESZ_S10_S11_S18_S1C_S1E_T6_T7_T9_mT8_S1G_bDpT10_ENKUlT_T0_E_clISt17integral_constantIbLb0EES1U_EEDaS1P_S1Q_EUlS1P_E_NS1_11comp_targetILNS1_3genE4ELNS1_11target_archE910ELNS1_3gpuE8ELNS1_3repE0EEENS1_30default_config_static_selectorELNS0_4arch9wavefront6targetE0EEEvS12_.num_named_barrier, 0
	.set _ZN7rocprim17ROCPRIM_400000_NS6detail17trampoline_kernelINS0_13select_configILj256ELj13ELNS0_17block_load_methodE3ELS4_3ELS4_3ELNS0_20block_scan_algorithmE0ELj4294967295EEENS1_25partition_config_selectorILNS1_17partition_subalgoE4EjNS0_10empty_typeEbEEZZNS1_14partition_implILS8_4ELb0ES6_15HIP_vector_typeIjLj2EENS0_17counting_iteratorIjlEEPS9_SG_NS0_5tupleIJPjSI_NS0_16reverse_iteratorISI_EEEEENSH_IJSG_SG_SG_EEES9_SI_JZNS1_25segmented_radix_sort_implINS0_14default_configELb1EPKdPdPKlPlN2at6native12_GLOBAL__N_18offset_tEEE10hipError_tPvRmT1_PNSt15iterator_traitsIS12_E10value_typeET2_T3_PNS13_IS18_E10value_typeET4_jRbjT5_S1E_jjP12ihipStream_tbEUljE_ZNSN_ISO_Lb1ESQ_SR_ST_SU_SY_EESZ_S10_S11_S12_S16_S17_S18_S1B_S1C_jS1D_jS1E_S1E_jjS1G_bEUljE0_EEESZ_S10_S11_S18_S1C_S1E_T6_T7_T9_mT8_S1G_bDpT10_ENKUlT_T0_E_clISt17integral_constantIbLb0EES1U_EEDaS1P_S1Q_EUlS1P_E_NS1_11comp_targetILNS1_3genE4ELNS1_11target_archE910ELNS1_3gpuE8ELNS1_3repE0EEENS1_30default_config_static_selectorELNS0_4arch9wavefront6targetE0EEEvS12_.private_seg_size, 0
	.set _ZN7rocprim17ROCPRIM_400000_NS6detail17trampoline_kernelINS0_13select_configILj256ELj13ELNS0_17block_load_methodE3ELS4_3ELS4_3ELNS0_20block_scan_algorithmE0ELj4294967295EEENS1_25partition_config_selectorILNS1_17partition_subalgoE4EjNS0_10empty_typeEbEEZZNS1_14partition_implILS8_4ELb0ES6_15HIP_vector_typeIjLj2EENS0_17counting_iteratorIjlEEPS9_SG_NS0_5tupleIJPjSI_NS0_16reverse_iteratorISI_EEEEENSH_IJSG_SG_SG_EEES9_SI_JZNS1_25segmented_radix_sort_implINS0_14default_configELb1EPKdPdPKlPlN2at6native12_GLOBAL__N_18offset_tEEE10hipError_tPvRmT1_PNSt15iterator_traitsIS12_E10value_typeET2_T3_PNS13_IS18_E10value_typeET4_jRbjT5_S1E_jjP12ihipStream_tbEUljE_ZNSN_ISO_Lb1ESQ_SR_ST_SU_SY_EESZ_S10_S11_S12_S16_S17_S18_S1B_S1C_jS1D_jS1E_S1E_jjS1G_bEUljE0_EEESZ_S10_S11_S18_S1C_S1E_T6_T7_T9_mT8_S1G_bDpT10_ENKUlT_T0_E_clISt17integral_constantIbLb0EES1U_EEDaS1P_S1Q_EUlS1P_E_NS1_11comp_targetILNS1_3genE4ELNS1_11target_archE910ELNS1_3gpuE8ELNS1_3repE0EEENS1_30default_config_static_selectorELNS0_4arch9wavefront6targetE0EEEvS12_.uses_vcc, 0
	.set _ZN7rocprim17ROCPRIM_400000_NS6detail17trampoline_kernelINS0_13select_configILj256ELj13ELNS0_17block_load_methodE3ELS4_3ELS4_3ELNS0_20block_scan_algorithmE0ELj4294967295EEENS1_25partition_config_selectorILNS1_17partition_subalgoE4EjNS0_10empty_typeEbEEZZNS1_14partition_implILS8_4ELb0ES6_15HIP_vector_typeIjLj2EENS0_17counting_iteratorIjlEEPS9_SG_NS0_5tupleIJPjSI_NS0_16reverse_iteratorISI_EEEEENSH_IJSG_SG_SG_EEES9_SI_JZNS1_25segmented_radix_sort_implINS0_14default_configELb1EPKdPdPKlPlN2at6native12_GLOBAL__N_18offset_tEEE10hipError_tPvRmT1_PNSt15iterator_traitsIS12_E10value_typeET2_T3_PNS13_IS18_E10value_typeET4_jRbjT5_S1E_jjP12ihipStream_tbEUljE_ZNSN_ISO_Lb1ESQ_SR_ST_SU_SY_EESZ_S10_S11_S12_S16_S17_S18_S1B_S1C_jS1D_jS1E_S1E_jjS1G_bEUljE0_EEESZ_S10_S11_S18_S1C_S1E_T6_T7_T9_mT8_S1G_bDpT10_ENKUlT_T0_E_clISt17integral_constantIbLb0EES1U_EEDaS1P_S1Q_EUlS1P_E_NS1_11comp_targetILNS1_3genE4ELNS1_11target_archE910ELNS1_3gpuE8ELNS1_3repE0EEENS1_30default_config_static_selectorELNS0_4arch9wavefront6targetE0EEEvS12_.uses_flat_scratch, 0
	.set _ZN7rocprim17ROCPRIM_400000_NS6detail17trampoline_kernelINS0_13select_configILj256ELj13ELNS0_17block_load_methodE3ELS4_3ELS4_3ELNS0_20block_scan_algorithmE0ELj4294967295EEENS1_25partition_config_selectorILNS1_17partition_subalgoE4EjNS0_10empty_typeEbEEZZNS1_14partition_implILS8_4ELb0ES6_15HIP_vector_typeIjLj2EENS0_17counting_iteratorIjlEEPS9_SG_NS0_5tupleIJPjSI_NS0_16reverse_iteratorISI_EEEEENSH_IJSG_SG_SG_EEES9_SI_JZNS1_25segmented_radix_sort_implINS0_14default_configELb1EPKdPdPKlPlN2at6native12_GLOBAL__N_18offset_tEEE10hipError_tPvRmT1_PNSt15iterator_traitsIS12_E10value_typeET2_T3_PNS13_IS18_E10value_typeET4_jRbjT5_S1E_jjP12ihipStream_tbEUljE_ZNSN_ISO_Lb1ESQ_SR_ST_SU_SY_EESZ_S10_S11_S12_S16_S17_S18_S1B_S1C_jS1D_jS1E_S1E_jjS1G_bEUljE0_EEESZ_S10_S11_S18_S1C_S1E_T6_T7_T9_mT8_S1G_bDpT10_ENKUlT_T0_E_clISt17integral_constantIbLb0EES1U_EEDaS1P_S1Q_EUlS1P_E_NS1_11comp_targetILNS1_3genE4ELNS1_11target_archE910ELNS1_3gpuE8ELNS1_3repE0EEENS1_30default_config_static_selectorELNS0_4arch9wavefront6targetE0EEEvS12_.has_dyn_sized_stack, 0
	.set _ZN7rocprim17ROCPRIM_400000_NS6detail17trampoline_kernelINS0_13select_configILj256ELj13ELNS0_17block_load_methodE3ELS4_3ELS4_3ELNS0_20block_scan_algorithmE0ELj4294967295EEENS1_25partition_config_selectorILNS1_17partition_subalgoE4EjNS0_10empty_typeEbEEZZNS1_14partition_implILS8_4ELb0ES6_15HIP_vector_typeIjLj2EENS0_17counting_iteratorIjlEEPS9_SG_NS0_5tupleIJPjSI_NS0_16reverse_iteratorISI_EEEEENSH_IJSG_SG_SG_EEES9_SI_JZNS1_25segmented_radix_sort_implINS0_14default_configELb1EPKdPdPKlPlN2at6native12_GLOBAL__N_18offset_tEEE10hipError_tPvRmT1_PNSt15iterator_traitsIS12_E10value_typeET2_T3_PNS13_IS18_E10value_typeET4_jRbjT5_S1E_jjP12ihipStream_tbEUljE_ZNSN_ISO_Lb1ESQ_SR_ST_SU_SY_EESZ_S10_S11_S12_S16_S17_S18_S1B_S1C_jS1D_jS1E_S1E_jjS1G_bEUljE0_EEESZ_S10_S11_S18_S1C_S1E_T6_T7_T9_mT8_S1G_bDpT10_ENKUlT_T0_E_clISt17integral_constantIbLb0EES1U_EEDaS1P_S1Q_EUlS1P_E_NS1_11comp_targetILNS1_3genE4ELNS1_11target_archE910ELNS1_3gpuE8ELNS1_3repE0EEENS1_30default_config_static_selectorELNS0_4arch9wavefront6targetE0EEEvS12_.has_recursion, 0
	.set _ZN7rocprim17ROCPRIM_400000_NS6detail17trampoline_kernelINS0_13select_configILj256ELj13ELNS0_17block_load_methodE3ELS4_3ELS4_3ELNS0_20block_scan_algorithmE0ELj4294967295EEENS1_25partition_config_selectorILNS1_17partition_subalgoE4EjNS0_10empty_typeEbEEZZNS1_14partition_implILS8_4ELb0ES6_15HIP_vector_typeIjLj2EENS0_17counting_iteratorIjlEEPS9_SG_NS0_5tupleIJPjSI_NS0_16reverse_iteratorISI_EEEEENSH_IJSG_SG_SG_EEES9_SI_JZNS1_25segmented_radix_sort_implINS0_14default_configELb1EPKdPdPKlPlN2at6native12_GLOBAL__N_18offset_tEEE10hipError_tPvRmT1_PNSt15iterator_traitsIS12_E10value_typeET2_T3_PNS13_IS18_E10value_typeET4_jRbjT5_S1E_jjP12ihipStream_tbEUljE_ZNSN_ISO_Lb1ESQ_SR_ST_SU_SY_EESZ_S10_S11_S12_S16_S17_S18_S1B_S1C_jS1D_jS1E_S1E_jjS1G_bEUljE0_EEESZ_S10_S11_S18_S1C_S1E_T6_T7_T9_mT8_S1G_bDpT10_ENKUlT_T0_E_clISt17integral_constantIbLb0EES1U_EEDaS1P_S1Q_EUlS1P_E_NS1_11comp_targetILNS1_3genE4ELNS1_11target_archE910ELNS1_3gpuE8ELNS1_3repE0EEENS1_30default_config_static_selectorELNS0_4arch9wavefront6targetE0EEEvS12_.has_indirect_call, 0
	.section	.AMDGPU.csdata,"",@progbits
; Kernel info:
; codeLenInByte = 0
; TotalNumSgprs: 0
; NumVgprs: 0
; ScratchSize: 0
; MemoryBound: 0
; FloatMode: 240
; IeeeMode: 1
; LDSByteSize: 0 bytes/workgroup (compile time only)
; SGPRBlocks: 0
; VGPRBlocks: 0
; NumSGPRsForWavesPerEU: 1
; NumVGPRsForWavesPerEU: 1
; NamedBarCnt: 0
; Occupancy: 16
; WaveLimiterHint : 0
; COMPUTE_PGM_RSRC2:SCRATCH_EN: 0
; COMPUTE_PGM_RSRC2:USER_SGPR: 2
; COMPUTE_PGM_RSRC2:TRAP_HANDLER: 0
; COMPUTE_PGM_RSRC2:TGID_X_EN: 1
; COMPUTE_PGM_RSRC2:TGID_Y_EN: 0
; COMPUTE_PGM_RSRC2:TGID_Z_EN: 0
; COMPUTE_PGM_RSRC2:TIDIG_COMP_CNT: 0
	.section	.text._ZN7rocprim17ROCPRIM_400000_NS6detail17trampoline_kernelINS0_13select_configILj256ELj13ELNS0_17block_load_methodE3ELS4_3ELS4_3ELNS0_20block_scan_algorithmE0ELj4294967295EEENS1_25partition_config_selectorILNS1_17partition_subalgoE4EjNS0_10empty_typeEbEEZZNS1_14partition_implILS8_4ELb0ES6_15HIP_vector_typeIjLj2EENS0_17counting_iteratorIjlEEPS9_SG_NS0_5tupleIJPjSI_NS0_16reverse_iteratorISI_EEEEENSH_IJSG_SG_SG_EEES9_SI_JZNS1_25segmented_radix_sort_implINS0_14default_configELb1EPKdPdPKlPlN2at6native12_GLOBAL__N_18offset_tEEE10hipError_tPvRmT1_PNSt15iterator_traitsIS12_E10value_typeET2_T3_PNS13_IS18_E10value_typeET4_jRbjT5_S1E_jjP12ihipStream_tbEUljE_ZNSN_ISO_Lb1ESQ_SR_ST_SU_SY_EESZ_S10_S11_S12_S16_S17_S18_S1B_S1C_jS1D_jS1E_S1E_jjS1G_bEUljE0_EEESZ_S10_S11_S18_S1C_S1E_T6_T7_T9_mT8_S1G_bDpT10_ENKUlT_T0_E_clISt17integral_constantIbLb0EES1U_EEDaS1P_S1Q_EUlS1P_E_NS1_11comp_targetILNS1_3genE3ELNS1_11target_archE908ELNS1_3gpuE7ELNS1_3repE0EEENS1_30default_config_static_selectorELNS0_4arch9wavefront6targetE0EEEvS12_,"axG",@progbits,_ZN7rocprim17ROCPRIM_400000_NS6detail17trampoline_kernelINS0_13select_configILj256ELj13ELNS0_17block_load_methodE3ELS4_3ELS4_3ELNS0_20block_scan_algorithmE0ELj4294967295EEENS1_25partition_config_selectorILNS1_17partition_subalgoE4EjNS0_10empty_typeEbEEZZNS1_14partition_implILS8_4ELb0ES6_15HIP_vector_typeIjLj2EENS0_17counting_iteratorIjlEEPS9_SG_NS0_5tupleIJPjSI_NS0_16reverse_iteratorISI_EEEEENSH_IJSG_SG_SG_EEES9_SI_JZNS1_25segmented_radix_sort_implINS0_14default_configELb1EPKdPdPKlPlN2at6native12_GLOBAL__N_18offset_tEEE10hipError_tPvRmT1_PNSt15iterator_traitsIS12_E10value_typeET2_T3_PNS13_IS18_E10value_typeET4_jRbjT5_S1E_jjP12ihipStream_tbEUljE_ZNSN_ISO_Lb1ESQ_SR_ST_SU_SY_EESZ_S10_S11_S12_S16_S17_S18_S1B_S1C_jS1D_jS1E_S1E_jjS1G_bEUljE0_EEESZ_S10_S11_S18_S1C_S1E_T6_T7_T9_mT8_S1G_bDpT10_ENKUlT_T0_E_clISt17integral_constantIbLb0EES1U_EEDaS1P_S1Q_EUlS1P_E_NS1_11comp_targetILNS1_3genE3ELNS1_11target_archE908ELNS1_3gpuE7ELNS1_3repE0EEENS1_30default_config_static_selectorELNS0_4arch9wavefront6targetE0EEEvS12_,comdat
	.globl	_ZN7rocprim17ROCPRIM_400000_NS6detail17trampoline_kernelINS0_13select_configILj256ELj13ELNS0_17block_load_methodE3ELS4_3ELS4_3ELNS0_20block_scan_algorithmE0ELj4294967295EEENS1_25partition_config_selectorILNS1_17partition_subalgoE4EjNS0_10empty_typeEbEEZZNS1_14partition_implILS8_4ELb0ES6_15HIP_vector_typeIjLj2EENS0_17counting_iteratorIjlEEPS9_SG_NS0_5tupleIJPjSI_NS0_16reverse_iteratorISI_EEEEENSH_IJSG_SG_SG_EEES9_SI_JZNS1_25segmented_radix_sort_implINS0_14default_configELb1EPKdPdPKlPlN2at6native12_GLOBAL__N_18offset_tEEE10hipError_tPvRmT1_PNSt15iterator_traitsIS12_E10value_typeET2_T3_PNS13_IS18_E10value_typeET4_jRbjT5_S1E_jjP12ihipStream_tbEUljE_ZNSN_ISO_Lb1ESQ_SR_ST_SU_SY_EESZ_S10_S11_S12_S16_S17_S18_S1B_S1C_jS1D_jS1E_S1E_jjS1G_bEUljE0_EEESZ_S10_S11_S18_S1C_S1E_T6_T7_T9_mT8_S1G_bDpT10_ENKUlT_T0_E_clISt17integral_constantIbLb0EES1U_EEDaS1P_S1Q_EUlS1P_E_NS1_11comp_targetILNS1_3genE3ELNS1_11target_archE908ELNS1_3gpuE7ELNS1_3repE0EEENS1_30default_config_static_selectorELNS0_4arch9wavefront6targetE0EEEvS12_ ; -- Begin function _ZN7rocprim17ROCPRIM_400000_NS6detail17trampoline_kernelINS0_13select_configILj256ELj13ELNS0_17block_load_methodE3ELS4_3ELS4_3ELNS0_20block_scan_algorithmE0ELj4294967295EEENS1_25partition_config_selectorILNS1_17partition_subalgoE4EjNS0_10empty_typeEbEEZZNS1_14partition_implILS8_4ELb0ES6_15HIP_vector_typeIjLj2EENS0_17counting_iteratorIjlEEPS9_SG_NS0_5tupleIJPjSI_NS0_16reverse_iteratorISI_EEEEENSH_IJSG_SG_SG_EEES9_SI_JZNS1_25segmented_radix_sort_implINS0_14default_configELb1EPKdPdPKlPlN2at6native12_GLOBAL__N_18offset_tEEE10hipError_tPvRmT1_PNSt15iterator_traitsIS12_E10value_typeET2_T3_PNS13_IS18_E10value_typeET4_jRbjT5_S1E_jjP12ihipStream_tbEUljE_ZNSN_ISO_Lb1ESQ_SR_ST_SU_SY_EESZ_S10_S11_S12_S16_S17_S18_S1B_S1C_jS1D_jS1E_S1E_jjS1G_bEUljE0_EEESZ_S10_S11_S18_S1C_S1E_T6_T7_T9_mT8_S1G_bDpT10_ENKUlT_T0_E_clISt17integral_constantIbLb0EES1U_EEDaS1P_S1Q_EUlS1P_E_NS1_11comp_targetILNS1_3genE3ELNS1_11target_archE908ELNS1_3gpuE7ELNS1_3repE0EEENS1_30default_config_static_selectorELNS0_4arch9wavefront6targetE0EEEvS12_
	.p2align	8
	.type	_ZN7rocprim17ROCPRIM_400000_NS6detail17trampoline_kernelINS0_13select_configILj256ELj13ELNS0_17block_load_methodE3ELS4_3ELS4_3ELNS0_20block_scan_algorithmE0ELj4294967295EEENS1_25partition_config_selectorILNS1_17partition_subalgoE4EjNS0_10empty_typeEbEEZZNS1_14partition_implILS8_4ELb0ES6_15HIP_vector_typeIjLj2EENS0_17counting_iteratorIjlEEPS9_SG_NS0_5tupleIJPjSI_NS0_16reverse_iteratorISI_EEEEENSH_IJSG_SG_SG_EEES9_SI_JZNS1_25segmented_radix_sort_implINS0_14default_configELb1EPKdPdPKlPlN2at6native12_GLOBAL__N_18offset_tEEE10hipError_tPvRmT1_PNSt15iterator_traitsIS12_E10value_typeET2_T3_PNS13_IS18_E10value_typeET4_jRbjT5_S1E_jjP12ihipStream_tbEUljE_ZNSN_ISO_Lb1ESQ_SR_ST_SU_SY_EESZ_S10_S11_S12_S16_S17_S18_S1B_S1C_jS1D_jS1E_S1E_jjS1G_bEUljE0_EEESZ_S10_S11_S18_S1C_S1E_T6_T7_T9_mT8_S1G_bDpT10_ENKUlT_T0_E_clISt17integral_constantIbLb0EES1U_EEDaS1P_S1Q_EUlS1P_E_NS1_11comp_targetILNS1_3genE3ELNS1_11target_archE908ELNS1_3gpuE7ELNS1_3repE0EEENS1_30default_config_static_selectorELNS0_4arch9wavefront6targetE0EEEvS12_,@function
_ZN7rocprim17ROCPRIM_400000_NS6detail17trampoline_kernelINS0_13select_configILj256ELj13ELNS0_17block_load_methodE3ELS4_3ELS4_3ELNS0_20block_scan_algorithmE0ELj4294967295EEENS1_25partition_config_selectorILNS1_17partition_subalgoE4EjNS0_10empty_typeEbEEZZNS1_14partition_implILS8_4ELb0ES6_15HIP_vector_typeIjLj2EENS0_17counting_iteratorIjlEEPS9_SG_NS0_5tupleIJPjSI_NS0_16reverse_iteratorISI_EEEEENSH_IJSG_SG_SG_EEES9_SI_JZNS1_25segmented_radix_sort_implINS0_14default_configELb1EPKdPdPKlPlN2at6native12_GLOBAL__N_18offset_tEEE10hipError_tPvRmT1_PNSt15iterator_traitsIS12_E10value_typeET2_T3_PNS13_IS18_E10value_typeET4_jRbjT5_S1E_jjP12ihipStream_tbEUljE_ZNSN_ISO_Lb1ESQ_SR_ST_SU_SY_EESZ_S10_S11_S12_S16_S17_S18_S1B_S1C_jS1D_jS1E_S1E_jjS1G_bEUljE0_EEESZ_S10_S11_S18_S1C_S1E_T6_T7_T9_mT8_S1G_bDpT10_ENKUlT_T0_E_clISt17integral_constantIbLb0EES1U_EEDaS1P_S1Q_EUlS1P_E_NS1_11comp_targetILNS1_3genE3ELNS1_11target_archE908ELNS1_3gpuE7ELNS1_3repE0EEENS1_30default_config_static_selectorELNS0_4arch9wavefront6targetE0EEEvS12_: ; @_ZN7rocprim17ROCPRIM_400000_NS6detail17trampoline_kernelINS0_13select_configILj256ELj13ELNS0_17block_load_methodE3ELS4_3ELS4_3ELNS0_20block_scan_algorithmE0ELj4294967295EEENS1_25partition_config_selectorILNS1_17partition_subalgoE4EjNS0_10empty_typeEbEEZZNS1_14partition_implILS8_4ELb0ES6_15HIP_vector_typeIjLj2EENS0_17counting_iteratorIjlEEPS9_SG_NS0_5tupleIJPjSI_NS0_16reverse_iteratorISI_EEEEENSH_IJSG_SG_SG_EEES9_SI_JZNS1_25segmented_radix_sort_implINS0_14default_configELb1EPKdPdPKlPlN2at6native12_GLOBAL__N_18offset_tEEE10hipError_tPvRmT1_PNSt15iterator_traitsIS12_E10value_typeET2_T3_PNS13_IS18_E10value_typeET4_jRbjT5_S1E_jjP12ihipStream_tbEUljE_ZNSN_ISO_Lb1ESQ_SR_ST_SU_SY_EESZ_S10_S11_S12_S16_S17_S18_S1B_S1C_jS1D_jS1E_S1E_jjS1G_bEUljE0_EEESZ_S10_S11_S18_S1C_S1E_T6_T7_T9_mT8_S1G_bDpT10_ENKUlT_T0_E_clISt17integral_constantIbLb0EES1U_EEDaS1P_S1Q_EUlS1P_E_NS1_11comp_targetILNS1_3genE3ELNS1_11target_archE908ELNS1_3gpuE7ELNS1_3repE0EEENS1_30default_config_static_selectorELNS0_4arch9wavefront6targetE0EEEvS12_
; %bb.0:
	.section	.rodata,"a",@progbits
	.p2align	6, 0x0
	.amdhsa_kernel _ZN7rocprim17ROCPRIM_400000_NS6detail17trampoline_kernelINS0_13select_configILj256ELj13ELNS0_17block_load_methodE3ELS4_3ELS4_3ELNS0_20block_scan_algorithmE0ELj4294967295EEENS1_25partition_config_selectorILNS1_17partition_subalgoE4EjNS0_10empty_typeEbEEZZNS1_14partition_implILS8_4ELb0ES6_15HIP_vector_typeIjLj2EENS0_17counting_iteratorIjlEEPS9_SG_NS0_5tupleIJPjSI_NS0_16reverse_iteratorISI_EEEEENSH_IJSG_SG_SG_EEES9_SI_JZNS1_25segmented_radix_sort_implINS0_14default_configELb1EPKdPdPKlPlN2at6native12_GLOBAL__N_18offset_tEEE10hipError_tPvRmT1_PNSt15iterator_traitsIS12_E10value_typeET2_T3_PNS13_IS18_E10value_typeET4_jRbjT5_S1E_jjP12ihipStream_tbEUljE_ZNSN_ISO_Lb1ESQ_SR_ST_SU_SY_EESZ_S10_S11_S12_S16_S17_S18_S1B_S1C_jS1D_jS1E_S1E_jjS1G_bEUljE0_EEESZ_S10_S11_S18_S1C_S1E_T6_T7_T9_mT8_S1G_bDpT10_ENKUlT_T0_E_clISt17integral_constantIbLb0EES1U_EEDaS1P_S1Q_EUlS1P_E_NS1_11comp_targetILNS1_3genE3ELNS1_11target_archE908ELNS1_3gpuE7ELNS1_3repE0EEENS1_30default_config_static_selectorELNS0_4arch9wavefront6targetE0EEEvS12_
		.amdhsa_group_segment_fixed_size 0
		.amdhsa_private_segment_fixed_size 0
		.amdhsa_kernarg_size 176
		.amdhsa_user_sgpr_count 2
		.amdhsa_user_sgpr_dispatch_ptr 0
		.amdhsa_user_sgpr_queue_ptr 0
		.amdhsa_user_sgpr_kernarg_segment_ptr 1
		.amdhsa_user_sgpr_dispatch_id 0
		.amdhsa_user_sgpr_kernarg_preload_length 0
		.amdhsa_user_sgpr_kernarg_preload_offset 0
		.amdhsa_user_sgpr_private_segment_size 0
		.amdhsa_wavefront_size32 1
		.amdhsa_uses_dynamic_stack 0
		.amdhsa_enable_private_segment 0
		.amdhsa_system_sgpr_workgroup_id_x 1
		.amdhsa_system_sgpr_workgroup_id_y 0
		.amdhsa_system_sgpr_workgroup_id_z 0
		.amdhsa_system_sgpr_workgroup_info 0
		.amdhsa_system_vgpr_workitem_id 0
		.amdhsa_next_free_vgpr 1
		.amdhsa_next_free_sgpr 1
		.amdhsa_named_barrier_count 0
		.amdhsa_reserve_vcc 0
		.amdhsa_float_round_mode_32 0
		.amdhsa_float_round_mode_16_64 0
		.amdhsa_float_denorm_mode_32 3
		.amdhsa_float_denorm_mode_16_64 3
		.amdhsa_fp16_overflow 0
		.amdhsa_memory_ordered 1
		.amdhsa_forward_progress 1
		.amdhsa_inst_pref_size 0
		.amdhsa_round_robin_scheduling 0
		.amdhsa_exception_fp_ieee_invalid_op 0
		.amdhsa_exception_fp_denorm_src 0
		.amdhsa_exception_fp_ieee_div_zero 0
		.amdhsa_exception_fp_ieee_overflow 0
		.amdhsa_exception_fp_ieee_underflow 0
		.amdhsa_exception_fp_ieee_inexact 0
		.amdhsa_exception_int_div_zero 0
	.end_amdhsa_kernel
	.section	.text._ZN7rocprim17ROCPRIM_400000_NS6detail17trampoline_kernelINS0_13select_configILj256ELj13ELNS0_17block_load_methodE3ELS4_3ELS4_3ELNS0_20block_scan_algorithmE0ELj4294967295EEENS1_25partition_config_selectorILNS1_17partition_subalgoE4EjNS0_10empty_typeEbEEZZNS1_14partition_implILS8_4ELb0ES6_15HIP_vector_typeIjLj2EENS0_17counting_iteratorIjlEEPS9_SG_NS0_5tupleIJPjSI_NS0_16reverse_iteratorISI_EEEEENSH_IJSG_SG_SG_EEES9_SI_JZNS1_25segmented_radix_sort_implINS0_14default_configELb1EPKdPdPKlPlN2at6native12_GLOBAL__N_18offset_tEEE10hipError_tPvRmT1_PNSt15iterator_traitsIS12_E10value_typeET2_T3_PNS13_IS18_E10value_typeET4_jRbjT5_S1E_jjP12ihipStream_tbEUljE_ZNSN_ISO_Lb1ESQ_SR_ST_SU_SY_EESZ_S10_S11_S12_S16_S17_S18_S1B_S1C_jS1D_jS1E_S1E_jjS1G_bEUljE0_EEESZ_S10_S11_S18_S1C_S1E_T6_T7_T9_mT8_S1G_bDpT10_ENKUlT_T0_E_clISt17integral_constantIbLb0EES1U_EEDaS1P_S1Q_EUlS1P_E_NS1_11comp_targetILNS1_3genE3ELNS1_11target_archE908ELNS1_3gpuE7ELNS1_3repE0EEENS1_30default_config_static_selectorELNS0_4arch9wavefront6targetE0EEEvS12_,"axG",@progbits,_ZN7rocprim17ROCPRIM_400000_NS6detail17trampoline_kernelINS0_13select_configILj256ELj13ELNS0_17block_load_methodE3ELS4_3ELS4_3ELNS0_20block_scan_algorithmE0ELj4294967295EEENS1_25partition_config_selectorILNS1_17partition_subalgoE4EjNS0_10empty_typeEbEEZZNS1_14partition_implILS8_4ELb0ES6_15HIP_vector_typeIjLj2EENS0_17counting_iteratorIjlEEPS9_SG_NS0_5tupleIJPjSI_NS0_16reverse_iteratorISI_EEEEENSH_IJSG_SG_SG_EEES9_SI_JZNS1_25segmented_radix_sort_implINS0_14default_configELb1EPKdPdPKlPlN2at6native12_GLOBAL__N_18offset_tEEE10hipError_tPvRmT1_PNSt15iterator_traitsIS12_E10value_typeET2_T3_PNS13_IS18_E10value_typeET4_jRbjT5_S1E_jjP12ihipStream_tbEUljE_ZNSN_ISO_Lb1ESQ_SR_ST_SU_SY_EESZ_S10_S11_S12_S16_S17_S18_S1B_S1C_jS1D_jS1E_S1E_jjS1G_bEUljE0_EEESZ_S10_S11_S18_S1C_S1E_T6_T7_T9_mT8_S1G_bDpT10_ENKUlT_T0_E_clISt17integral_constantIbLb0EES1U_EEDaS1P_S1Q_EUlS1P_E_NS1_11comp_targetILNS1_3genE3ELNS1_11target_archE908ELNS1_3gpuE7ELNS1_3repE0EEENS1_30default_config_static_selectorELNS0_4arch9wavefront6targetE0EEEvS12_,comdat
.Lfunc_end1051:
	.size	_ZN7rocprim17ROCPRIM_400000_NS6detail17trampoline_kernelINS0_13select_configILj256ELj13ELNS0_17block_load_methodE3ELS4_3ELS4_3ELNS0_20block_scan_algorithmE0ELj4294967295EEENS1_25partition_config_selectorILNS1_17partition_subalgoE4EjNS0_10empty_typeEbEEZZNS1_14partition_implILS8_4ELb0ES6_15HIP_vector_typeIjLj2EENS0_17counting_iteratorIjlEEPS9_SG_NS0_5tupleIJPjSI_NS0_16reverse_iteratorISI_EEEEENSH_IJSG_SG_SG_EEES9_SI_JZNS1_25segmented_radix_sort_implINS0_14default_configELb1EPKdPdPKlPlN2at6native12_GLOBAL__N_18offset_tEEE10hipError_tPvRmT1_PNSt15iterator_traitsIS12_E10value_typeET2_T3_PNS13_IS18_E10value_typeET4_jRbjT5_S1E_jjP12ihipStream_tbEUljE_ZNSN_ISO_Lb1ESQ_SR_ST_SU_SY_EESZ_S10_S11_S12_S16_S17_S18_S1B_S1C_jS1D_jS1E_S1E_jjS1G_bEUljE0_EEESZ_S10_S11_S18_S1C_S1E_T6_T7_T9_mT8_S1G_bDpT10_ENKUlT_T0_E_clISt17integral_constantIbLb0EES1U_EEDaS1P_S1Q_EUlS1P_E_NS1_11comp_targetILNS1_3genE3ELNS1_11target_archE908ELNS1_3gpuE7ELNS1_3repE0EEENS1_30default_config_static_selectorELNS0_4arch9wavefront6targetE0EEEvS12_, .Lfunc_end1051-_ZN7rocprim17ROCPRIM_400000_NS6detail17trampoline_kernelINS0_13select_configILj256ELj13ELNS0_17block_load_methodE3ELS4_3ELS4_3ELNS0_20block_scan_algorithmE0ELj4294967295EEENS1_25partition_config_selectorILNS1_17partition_subalgoE4EjNS0_10empty_typeEbEEZZNS1_14partition_implILS8_4ELb0ES6_15HIP_vector_typeIjLj2EENS0_17counting_iteratorIjlEEPS9_SG_NS0_5tupleIJPjSI_NS0_16reverse_iteratorISI_EEEEENSH_IJSG_SG_SG_EEES9_SI_JZNS1_25segmented_radix_sort_implINS0_14default_configELb1EPKdPdPKlPlN2at6native12_GLOBAL__N_18offset_tEEE10hipError_tPvRmT1_PNSt15iterator_traitsIS12_E10value_typeET2_T3_PNS13_IS18_E10value_typeET4_jRbjT5_S1E_jjP12ihipStream_tbEUljE_ZNSN_ISO_Lb1ESQ_SR_ST_SU_SY_EESZ_S10_S11_S12_S16_S17_S18_S1B_S1C_jS1D_jS1E_S1E_jjS1G_bEUljE0_EEESZ_S10_S11_S18_S1C_S1E_T6_T7_T9_mT8_S1G_bDpT10_ENKUlT_T0_E_clISt17integral_constantIbLb0EES1U_EEDaS1P_S1Q_EUlS1P_E_NS1_11comp_targetILNS1_3genE3ELNS1_11target_archE908ELNS1_3gpuE7ELNS1_3repE0EEENS1_30default_config_static_selectorELNS0_4arch9wavefront6targetE0EEEvS12_
                                        ; -- End function
	.set _ZN7rocprim17ROCPRIM_400000_NS6detail17trampoline_kernelINS0_13select_configILj256ELj13ELNS0_17block_load_methodE3ELS4_3ELS4_3ELNS0_20block_scan_algorithmE0ELj4294967295EEENS1_25partition_config_selectorILNS1_17partition_subalgoE4EjNS0_10empty_typeEbEEZZNS1_14partition_implILS8_4ELb0ES6_15HIP_vector_typeIjLj2EENS0_17counting_iteratorIjlEEPS9_SG_NS0_5tupleIJPjSI_NS0_16reverse_iteratorISI_EEEEENSH_IJSG_SG_SG_EEES9_SI_JZNS1_25segmented_radix_sort_implINS0_14default_configELb1EPKdPdPKlPlN2at6native12_GLOBAL__N_18offset_tEEE10hipError_tPvRmT1_PNSt15iterator_traitsIS12_E10value_typeET2_T3_PNS13_IS18_E10value_typeET4_jRbjT5_S1E_jjP12ihipStream_tbEUljE_ZNSN_ISO_Lb1ESQ_SR_ST_SU_SY_EESZ_S10_S11_S12_S16_S17_S18_S1B_S1C_jS1D_jS1E_S1E_jjS1G_bEUljE0_EEESZ_S10_S11_S18_S1C_S1E_T6_T7_T9_mT8_S1G_bDpT10_ENKUlT_T0_E_clISt17integral_constantIbLb0EES1U_EEDaS1P_S1Q_EUlS1P_E_NS1_11comp_targetILNS1_3genE3ELNS1_11target_archE908ELNS1_3gpuE7ELNS1_3repE0EEENS1_30default_config_static_selectorELNS0_4arch9wavefront6targetE0EEEvS12_.num_vgpr, 0
	.set _ZN7rocprim17ROCPRIM_400000_NS6detail17trampoline_kernelINS0_13select_configILj256ELj13ELNS0_17block_load_methodE3ELS4_3ELS4_3ELNS0_20block_scan_algorithmE0ELj4294967295EEENS1_25partition_config_selectorILNS1_17partition_subalgoE4EjNS0_10empty_typeEbEEZZNS1_14partition_implILS8_4ELb0ES6_15HIP_vector_typeIjLj2EENS0_17counting_iteratorIjlEEPS9_SG_NS0_5tupleIJPjSI_NS0_16reverse_iteratorISI_EEEEENSH_IJSG_SG_SG_EEES9_SI_JZNS1_25segmented_radix_sort_implINS0_14default_configELb1EPKdPdPKlPlN2at6native12_GLOBAL__N_18offset_tEEE10hipError_tPvRmT1_PNSt15iterator_traitsIS12_E10value_typeET2_T3_PNS13_IS18_E10value_typeET4_jRbjT5_S1E_jjP12ihipStream_tbEUljE_ZNSN_ISO_Lb1ESQ_SR_ST_SU_SY_EESZ_S10_S11_S12_S16_S17_S18_S1B_S1C_jS1D_jS1E_S1E_jjS1G_bEUljE0_EEESZ_S10_S11_S18_S1C_S1E_T6_T7_T9_mT8_S1G_bDpT10_ENKUlT_T0_E_clISt17integral_constantIbLb0EES1U_EEDaS1P_S1Q_EUlS1P_E_NS1_11comp_targetILNS1_3genE3ELNS1_11target_archE908ELNS1_3gpuE7ELNS1_3repE0EEENS1_30default_config_static_selectorELNS0_4arch9wavefront6targetE0EEEvS12_.num_agpr, 0
	.set _ZN7rocprim17ROCPRIM_400000_NS6detail17trampoline_kernelINS0_13select_configILj256ELj13ELNS0_17block_load_methodE3ELS4_3ELS4_3ELNS0_20block_scan_algorithmE0ELj4294967295EEENS1_25partition_config_selectorILNS1_17partition_subalgoE4EjNS0_10empty_typeEbEEZZNS1_14partition_implILS8_4ELb0ES6_15HIP_vector_typeIjLj2EENS0_17counting_iteratorIjlEEPS9_SG_NS0_5tupleIJPjSI_NS0_16reverse_iteratorISI_EEEEENSH_IJSG_SG_SG_EEES9_SI_JZNS1_25segmented_radix_sort_implINS0_14default_configELb1EPKdPdPKlPlN2at6native12_GLOBAL__N_18offset_tEEE10hipError_tPvRmT1_PNSt15iterator_traitsIS12_E10value_typeET2_T3_PNS13_IS18_E10value_typeET4_jRbjT5_S1E_jjP12ihipStream_tbEUljE_ZNSN_ISO_Lb1ESQ_SR_ST_SU_SY_EESZ_S10_S11_S12_S16_S17_S18_S1B_S1C_jS1D_jS1E_S1E_jjS1G_bEUljE0_EEESZ_S10_S11_S18_S1C_S1E_T6_T7_T9_mT8_S1G_bDpT10_ENKUlT_T0_E_clISt17integral_constantIbLb0EES1U_EEDaS1P_S1Q_EUlS1P_E_NS1_11comp_targetILNS1_3genE3ELNS1_11target_archE908ELNS1_3gpuE7ELNS1_3repE0EEENS1_30default_config_static_selectorELNS0_4arch9wavefront6targetE0EEEvS12_.numbered_sgpr, 0
	.set _ZN7rocprim17ROCPRIM_400000_NS6detail17trampoline_kernelINS0_13select_configILj256ELj13ELNS0_17block_load_methodE3ELS4_3ELS4_3ELNS0_20block_scan_algorithmE0ELj4294967295EEENS1_25partition_config_selectorILNS1_17partition_subalgoE4EjNS0_10empty_typeEbEEZZNS1_14partition_implILS8_4ELb0ES6_15HIP_vector_typeIjLj2EENS0_17counting_iteratorIjlEEPS9_SG_NS0_5tupleIJPjSI_NS0_16reverse_iteratorISI_EEEEENSH_IJSG_SG_SG_EEES9_SI_JZNS1_25segmented_radix_sort_implINS0_14default_configELb1EPKdPdPKlPlN2at6native12_GLOBAL__N_18offset_tEEE10hipError_tPvRmT1_PNSt15iterator_traitsIS12_E10value_typeET2_T3_PNS13_IS18_E10value_typeET4_jRbjT5_S1E_jjP12ihipStream_tbEUljE_ZNSN_ISO_Lb1ESQ_SR_ST_SU_SY_EESZ_S10_S11_S12_S16_S17_S18_S1B_S1C_jS1D_jS1E_S1E_jjS1G_bEUljE0_EEESZ_S10_S11_S18_S1C_S1E_T6_T7_T9_mT8_S1G_bDpT10_ENKUlT_T0_E_clISt17integral_constantIbLb0EES1U_EEDaS1P_S1Q_EUlS1P_E_NS1_11comp_targetILNS1_3genE3ELNS1_11target_archE908ELNS1_3gpuE7ELNS1_3repE0EEENS1_30default_config_static_selectorELNS0_4arch9wavefront6targetE0EEEvS12_.num_named_barrier, 0
	.set _ZN7rocprim17ROCPRIM_400000_NS6detail17trampoline_kernelINS0_13select_configILj256ELj13ELNS0_17block_load_methodE3ELS4_3ELS4_3ELNS0_20block_scan_algorithmE0ELj4294967295EEENS1_25partition_config_selectorILNS1_17partition_subalgoE4EjNS0_10empty_typeEbEEZZNS1_14partition_implILS8_4ELb0ES6_15HIP_vector_typeIjLj2EENS0_17counting_iteratorIjlEEPS9_SG_NS0_5tupleIJPjSI_NS0_16reverse_iteratorISI_EEEEENSH_IJSG_SG_SG_EEES9_SI_JZNS1_25segmented_radix_sort_implINS0_14default_configELb1EPKdPdPKlPlN2at6native12_GLOBAL__N_18offset_tEEE10hipError_tPvRmT1_PNSt15iterator_traitsIS12_E10value_typeET2_T3_PNS13_IS18_E10value_typeET4_jRbjT5_S1E_jjP12ihipStream_tbEUljE_ZNSN_ISO_Lb1ESQ_SR_ST_SU_SY_EESZ_S10_S11_S12_S16_S17_S18_S1B_S1C_jS1D_jS1E_S1E_jjS1G_bEUljE0_EEESZ_S10_S11_S18_S1C_S1E_T6_T7_T9_mT8_S1G_bDpT10_ENKUlT_T0_E_clISt17integral_constantIbLb0EES1U_EEDaS1P_S1Q_EUlS1P_E_NS1_11comp_targetILNS1_3genE3ELNS1_11target_archE908ELNS1_3gpuE7ELNS1_3repE0EEENS1_30default_config_static_selectorELNS0_4arch9wavefront6targetE0EEEvS12_.private_seg_size, 0
	.set _ZN7rocprim17ROCPRIM_400000_NS6detail17trampoline_kernelINS0_13select_configILj256ELj13ELNS0_17block_load_methodE3ELS4_3ELS4_3ELNS0_20block_scan_algorithmE0ELj4294967295EEENS1_25partition_config_selectorILNS1_17partition_subalgoE4EjNS0_10empty_typeEbEEZZNS1_14partition_implILS8_4ELb0ES6_15HIP_vector_typeIjLj2EENS0_17counting_iteratorIjlEEPS9_SG_NS0_5tupleIJPjSI_NS0_16reverse_iteratorISI_EEEEENSH_IJSG_SG_SG_EEES9_SI_JZNS1_25segmented_radix_sort_implINS0_14default_configELb1EPKdPdPKlPlN2at6native12_GLOBAL__N_18offset_tEEE10hipError_tPvRmT1_PNSt15iterator_traitsIS12_E10value_typeET2_T3_PNS13_IS18_E10value_typeET4_jRbjT5_S1E_jjP12ihipStream_tbEUljE_ZNSN_ISO_Lb1ESQ_SR_ST_SU_SY_EESZ_S10_S11_S12_S16_S17_S18_S1B_S1C_jS1D_jS1E_S1E_jjS1G_bEUljE0_EEESZ_S10_S11_S18_S1C_S1E_T6_T7_T9_mT8_S1G_bDpT10_ENKUlT_T0_E_clISt17integral_constantIbLb0EES1U_EEDaS1P_S1Q_EUlS1P_E_NS1_11comp_targetILNS1_3genE3ELNS1_11target_archE908ELNS1_3gpuE7ELNS1_3repE0EEENS1_30default_config_static_selectorELNS0_4arch9wavefront6targetE0EEEvS12_.uses_vcc, 0
	.set _ZN7rocprim17ROCPRIM_400000_NS6detail17trampoline_kernelINS0_13select_configILj256ELj13ELNS0_17block_load_methodE3ELS4_3ELS4_3ELNS0_20block_scan_algorithmE0ELj4294967295EEENS1_25partition_config_selectorILNS1_17partition_subalgoE4EjNS0_10empty_typeEbEEZZNS1_14partition_implILS8_4ELb0ES6_15HIP_vector_typeIjLj2EENS0_17counting_iteratorIjlEEPS9_SG_NS0_5tupleIJPjSI_NS0_16reverse_iteratorISI_EEEEENSH_IJSG_SG_SG_EEES9_SI_JZNS1_25segmented_radix_sort_implINS0_14default_configELb1EPKdPdPKlPlN2at6native12_GLOBAL__N_18offset_tEEE10hipError_tPvRmT1_PNSt15iterator_traitsIS12_E10value_typeET2_T3_PNS13_IS18_E10value_typeET4_jRbjT5_S1E_jjP12ihipStream_tbEUljE_ZNSN_ISO_Lb1ESQ_SR_ST_SU_SY_EESZ_S10_S11_S12_S16_S17_S18_S1B_S1C_jS1D_jS1E_S1E_jjS1G_bEUljE0_EEESZ_S10_S11_S18_S1C_S1E_T6_T7_T9_mT8_S1G_bDpT10_ENKUlT_T0_E_clISt17integral_constantIbLb0EES1U_EEDaS1P_S1Q_EUlS1P_E_NS1_11comp_targetILNS1_3genE3ELNS1_11target_archE908ELNS1_3gpuE7ELNS1_3repE0EEENS1_30default_config_static_selectorELNS0_4arch9wavefront6targetE0EEEvS12_.uses_flat_scratch, 0
	.set _ZN7rocprim17ROCPRIM_400000_NS6detail17trampoline_kernelINS0_13select_configILj256ELj13ELNS0_17block_load_methodE3ELS4_3ELS4_3ELNS0_20block_scan_algorithmE0ELj4294967295EEENS1_25partition_config_selectorILNS1_17partition_subalgoE4EjNS0_10empty_typeEbEEZZNS1_14partition_implILS8_4ELb0ES6_15HIP_vector_typeIjLj2EENS0_17counting_iteratorIjlEEPS9_SG_NS0_5tupleIJPjSI_NS0_16reverse_iteratorISI_EEEEENSH_IJSG_SG_SG_EEES9_SI_JZNS1_25segmented_radix_sort_implINS0_14default_configELb1EPKdPdPKlPlN2at6native12_GLOBAL__N_18offset_tEEE10hipError_tPvRmT1_PNSt15iterator_traitsIS12_E10value_typeET2_T3_PNS13_IS18_E10value_typeET4_jRbjT5_S1E_jjP12ihipStream_tbEUljE_ZNSN_ISO_Lb1ESQ_SR_ST_SU_SY_EESZ_S10_S11_S12_S16_S17_S18_S1B_S1C_jS1D_jS1E_S1E_jjS1G_bEUljE0_EEESZ_S10_S11_S18_S1C_S1E_T6_T7_T9_mT8_S1G_bDpT10_ENKUlT_T0_E_clISt17integral_constantIbLb0EES1U_EEDaS1P_S1Q_EUlS1P_E_NS1_11comp_targetILNS1_3genE3ELNS1_11target_archE908ELNS1_3gpuE7ELNS1_3repE0EEENS1_30default_config_static_selectorELNS0_4arch9wavefront6targetE0EEEvS12_.has_dyn_sized_stack, 0
	.set _ZN7rocprim17ROCPRIM_400000_NS6detail17trampoline_kernelINS0_13select_configILj256ELj13ELNS0_17block_load_methodE3ELS4_3ELS4_3ELNS0_20block_scan_algorithmE0ELj4294967295EEENS1_25partition_config_selectorILNS1_17partition_subalgoE4EjNS0_10empty_typeEbEEZZNS1_14partition_implILS8_4ELb0ES6_15HIP_vector_typeIjLj2EENS0_17counting_iteratorIjlEEPS9_SG_NS0_5tupleIJPjSI_NS0_16reverse_iteratorISI_EEEEENSH_IJSG_SG_SG_EEES9_SI_JZNS1_25segmented_radix_sort_implINS0_14default_configELb1EPKdPdPKlPlN2at6native12_GLOBAL__N_18offset_tEEE10hipError_tPvRmT1_PNSt15iterator_traitsIS12_E10value_typeET2_T3_PNS13_IS18_E10value_typeET4_jRbjT5_S1E_jjP12ihipStream_tbEUljE_ZNSN_ISO_Lb1ESQ_SR_ST_SU_SY_EESZ_S10_S11_S12_S16_S17_S18_S1B_S1C_jS1D_jS1E_S1E_jjS1G_bEUljE0_EEESZ_S10_S11_S18_S1C_S1E_T6_T7_T9_mT8_S1G_bDpT10_ENKUlT_T0_E_clISt17integral_constantIbLb0EES1U_EEDaS1P_S1Q_EUlS1P_E_NS1_11comp_targetILNS1_3genE3ELNS1_11target_archE908ELNS1_3gpuE7ELNS1_3repE0EEENS1_30default_config_static_selectorELNS0_4arch9wavefront6targetE0EEEvS12_.has_recursion, 0
	.set _ZN7rocprim17ROCPRIM_400000_NS6detail17trampoline_kernelINS0_13select_configILj256ELj13ELNS0_17block_load_methodE3ELS4_3ELS4_3ELNS0_20block_scan_algorithmE0ELj4294967295EEENS1_25partition_config_selectorILNS1_17partition_subalgoE4EjNS0_10empty_typeEbEEZZNS1_14partition_implILS8_4ELb0ES6_15HIP_vector_typeIjLj2EENS0_17counting_iteratorIjlEEPS9_SG_NS0_5tupleIJPjSI_NS0_16reverse_iteratorISI_EEEEENSH_IJSG_SG_SG_EEES9_SI_JZNS1_25segmented_radix_sort_implINS0_14default_configELb1EPKdPdPKlPlN2at6native12_GLOBAL__N_18offset_tEEE10hipError_tPvRmT1_PNSt15iterator_traitsIS12_E10value_typeET2_T3_PNS13_IS18_E10value_typeET4_jRbjT5_S1E_jjP12ihipStream_tbEUljE_ZNSN_ISO_Lb1ESQ_SR_ST_SU_SY_EESZ_S10_S11_S12_S16_S17_S18_S1B_S1C_jS1D_jS1E_S1E_jjS1G_bEUljE0_EEESZ_S10_S11_S18_S1C_S1E_T6_T7_T9_mT8_S1G_bDpT10_ENKUlT_T0_E_clISt17integral_constantIbLb0EES1U_EEDaS1P_S1Q_EUlS1P_E_NS1_11comp_targetILNS1_3genE3ELNS1_11target_archE908ELNS1_3gpuE7ELNS1_3repE0EEENS1_30default_config_static_selectorELNS0_4arch9wavefront6targetE0EEEvS12_.has_indirect_call, 0
	.section	.AMDGPU.csdata,"",@progbits
; Kernel info:
; codeLenInByte = 0
; TotalNumSgprs: 0
; NumVgprs: 0
; ScratchSize: 0
; MemoryBound: 0
; FloatMode: 240
; IeeeMode: 1
; LDSByteSize: 0 bytes/workgroup (compile time only)
; SGPRBlocks: 0
; VGPRBlocks: 0
; NumSGPRsForWavesPerEU: 1
; NumVGPRsForWavesPerEU: 1
; NamedBarCnt: 0
; Occupancy: 16
; WaveLimiterHint : 0
; COMPUTE_PGM_RSRC2:SCRATCH_EN: 0
; COMPUTE_PGM_RSRC2:USER_SGPR: 2
; COMPUTE_PGM_RSRC2:TRAP_HANDLER: 0
; COMPUTE_PGM_RSRC2:TGID_X_EN: 1
; COMPUTE_PGM_RSRC2:TGID_Y_EN: 0
; COMPUTE_PGM_RSRC2:TGID_Z_EN: 0
; COMPUTE_PGM_RSRC2:TIDIG_COMP_CNT: 0
	.section	.text._ZN7rocprim17ROCPRIM_400000_NS6detail17trampoline_kernelINS0_13select_configILj256ELj13ELNS0_17block_load_methodE3ELS4_3ELS4_3ELNS0_20block_scan_algorithmE0ELj4294967295EEENS1_25partition_config_selectorILNS1_17partition_subalgoE4EjNS0_10empty_typeEbEEZZNS1_14partition_implILS8_4ELb0ES6_15HIP_vector_typeIjLj2EENS0_17counting_iteratorIjlEEPS9_SG_NS0_5tupleIJPjSI_NS0_16reverse_iteratorISI_EEEEENSH_IJSG_SG_SG_EEES9_SI_JZNS1_25segmented_radix_sort_implINS0_14default_configELb1EPKdPdPKlPlN2at6native12_GLOBAL__N_18offset_tEEE10hipError_tPvRmT1_PNSt15iterator_traitsIS12_E10value_typeET2_T3_PNS13_IS18_E10value_typeET4_jRbjT5_S1E_jjP12ihipStream_tbEUljE_ZNSN_ISO_Lb1ESQ_SR_ST_SU_SY_EESZ_S10_S11_S12_S16_S17_S18_S1B_S1C_jS1D_jS1E_S1E_jjS1G_bEUljE0_EEESZ_S10_S11_S18_S1C_S1E_T6_T7_T9_mT8_S1G_bDpT10_ENKUlT_T0_E_clISt17integral_constantIbLb0EES1U_EEDaS1P_S1Q_EUlS1P_E_NS1_11comp_targetILNS1_3genE2ELNS1_11target_archE906ELNS1_3gpuE6ELNS1_3repE0EEENS1_30default_config_static_selectorELNS0_4arch9wavefront6targetE0EEEvS12_,"axG",@progbits,_ZN7rocprim17ROCPRIM_400000_NS6detail17trampoline_kernelINS0_13select_configILj256ELj13ELNS0_17block_load_methodE3ELS4_3ELS4_3ELNS0_20block_scan_algorithmE0ELj4294967295EEENS1_25partition_config_selectorILNS1_17partition_subalgoE4EjNS0_10empty_typeEbEEZZNS1_14partition_implILS8_4ELb0ES6_15HIP_vector_typeIjLj2EENS0_17counting_iteratorIjlEEPS9_SG_NS0_5tupleIJPjSI_NS0_16reverse_iteratorISI_EEEEENSH_IJSG_SG_SG_EEES9_SI_JZNS1_25segmented_radix_sort_implINS0_14default_configELb1EPKdPdPKlPlN2at6native12_GLOBAL__N_18offset_tEEE10hipError_tPvRmT1_PNSt15iterator_traitsIS12_E10value_typeET2_T3_PNS13_IS18_E10value_typeET4_jRbjT5_S1E_jjP12ihipStream_tbEUljE_ZNSN_ISO_Lb1ESQ_SR_ST_SU_SY_EESZ_S10_S11_S12_S16_S17_S18_S1B_S1C_jS1D_jS1E_S1E_jjS1G_bEUljE0_EEESZ_S10_S11_S18_S1C_S1E_T6_T7_T9_mT8_S1G_bDpT10_ENKUlT_T0_E_clISt17integral_constantIbLb0EES1U_EEDaS1P_S1Q_EUlS1P_E_NS1_11comp_targetILNS1_3genE2ELNS1_11target_archE906ELNS1_3gpuE6ELNS1_3repE0EEENS1_30default_config_static_selectorELNS0_4arch9wavefront6targetE0EEEvS12_,comdat
	.globl	_ZN7rocprim17ROCPRIM_400000_NS6detail17trampoline_kernelINS0_13select_configILj256ELj13ELNS0_17block_load_methodE3ELS4_3ELS4_3ELNS0_20block_scan_algorithmE0ELj4294967295EEENS1_25partition_config_selectorILNS1_17partition_subalgoE4EjNS0_10empty_typeEbEEZZNS1_14partition_implILS8_4ELb0ES6_15HIP_vector_typeIjLj2EENS0_17counting_iteratorIjlEEPS9_SG_NS0_5tupleIJPjSI_NS0_16reverse_iteratorISI_EEEEENSH_IJSG_SG_SG_EEES9_SI_JZNS1_25segmented_radix_sort_implINS0_14default_configELb1EPKdPdPKlPlN2at6native12_GLOBAL__N_18offset_tEEE10hipError_tPvRmT1_PNSt15iterator_traitsIS12_E10value_typeET2_T3_PNS13_IS18_E10value_typeET4_jRbjT5_S1E_jjP12ihipStream_tbEUljE_ZNSN_ISO_Lb1ESQ_SR_ST_SU_SY_EESZ_S10_S11_S12_S16_S17_S18_S1B_S1C_jS1D_jS1E_S1E_jjS1G_bEUljE0_EEESZ_S10_S11_S18_S1C_S1E_T6_T7_T9_mT8_S1G_bDpT10_ENKUlT_T0_E_clISt17integral_constantIbLb0EES1U_EEDaS1P_S1Q_EUlS1P_E_NS1_11comp_targetILNS1_3genE2ELNS1_11target_archE906ELNS1_3gpuE6ELNS1_3repE0EEENS1_30default_config_static_selectorELNS0_4arch9wavefront6targetE0EEEvS12_ ; -- Begin function _ZN7rocprim17ROCPRIM_400000_NS6detail17trampoline_kernelINS0_13select_configILj256ELj13ELNS0_17block_load_methodE3ELS4_3ELS4_3ELNS0_20block_scan_algorithmE0ELj4294967295EEENS1_25partition_config_selectorILNS1_17partition_subalgoE4EjNS0_10empty_typeEbEEZZNS1_14partition_implILS8_4ELb0ES6_15HIP_vector_typeIjLj2EENS0_17counting_iteratorIjlEEPS9_SG_NS0_5tupleIJPjSI_NS0_16reverse_iteratorISI_EEEEENSH_IJSG_SG_SG_EEES9_SI_JZNS1_25segmented_radix_sort_implINS0_14default_configELb1EPKdPdPKlPlN2at6native12_GLOBAL__N_18offset_tEEE10hipError_tPvRmT1_PNSt15iterator_traitsIS12_E10value_typeET2_T3_PNS13_IS18_E10value_typeET4_jRbjT5_S1E_jjP12ihipStream_tbEUljE_ZNSN_ISO_Lb1ESQ_SR_ST_SU_SY_EESZ_S10_S11_S12_S16_S17_S18_S1B_S1C_jS1D_jS1E_S1E_jjS1G_bEUljE0_EEESZ_S10_S11_S18_S1C_S1E_T6_T7_T9_mT8_S1G_bDpT10_ENKUlT_T0_E_clISt17integral_constantIbLb0EES1U_EEDaS1P_S1Q_EUlS1P_E_NS1_11comp_targetILNS1_3genE2ELNS1_11target_archE906ELNS1_3gpuE6ELNS1_3repE0EEENS1_30default_config_static_selectorELNS0_4arch9wavefront6targetE0EEEvS12_
	.p2align	8
	.type	_ZN7rocprim17ROCPRIM_400000_NS6detail17trampoline_kernelINS0_13select_configILj256ELj13ELNS0_17block_load_methodE3ELS4_3ELS4_3ELNS0_20block_scan_algorithmE0ELj4294967295EEENS1_25partition_config_selectorILNS1_17partition_subalgoE4EjNS0_10empty_typeEbEEZZNS1_14partition_implILS8_4ELb0ES6_15HIP_vector_typeIjLj2EENS0_17counting_iteratorIjlEEPS9_SG_NS0_5tupleIJPjSI_NS0_16reverse_iteratorISI_EEEEENSH_IJSG_SG_SG_EEES9_SI_JZNS1_25segmented_radix_sort_implINS0_14default_configELb1EPKdPdPKlPlN2at6native12_GLOBAL__N_18offset_tEEE10hipError_tPvRmT1_PNSt15iterator_traitsIS12_E10value_typeET2_T3_PNS13_IS18_E10value_typeET4_jRbjT5_S1E_jjP12ihipStream_tbEUljE_ZNSN_ISO_Lb1ESQ_SR_ST_SU_SY_EESZ_S10_S11_S12_S16_S17_S18_S1B_S1C_jS1D_jS1E_S1E_jjS1G_bEUljE0_EEESZ_S10_S11_S18_S1C_S1E_T6_T7_T9_mT8_S1G_bDpT10_ENKUlT_T0_E_clISt17integral_constantIbLb0EES1U_EEDaS1P_S1Q_EUlS1P_E_NS1_11comp_targetILNS1_3genE2ELNS1_11target_archE906ELNS1_3gpuE6ELNS1_3repE0EEENS1_30default_config_static_selectorELNS0_4arch9wavefront6targetE0EEEvS12_,@function
_ZN7rocprim17ROCPRIM_400000_NS6detail17trampoline_kernelINS0_13select_configILj256ELj13ELNS0_17block_load_methodE3ELS4_3ELS4_3ELNS0_20block_scan_algorithmE0ELj4294967295EEENS1_25partition_config_selectorILNS1_17partition_subalgoE4EjNS0_10empty_typeEbEEZZNS1_14partition_implILS8_4ELb0ES6_15HIP_vector_typeIjLj2EENS0_17counting_iteratorIjlEEPS9_SG_NS0_5tupleIJPjSI_NS0_16reverse_iteratorISI_EEEEENSH_IJSG_SG_SG_EEES9_SI_JZNS1_25segmented_radix_sort_implINS0_14default_configELb1EPKdPdPKlPlN2at6native12_GLOBAL__N_18offset_tEEE10hipError_tPvRmT1_PNSt15iterator_traitsIS12_E10value_typeET2_T3_PNS13_IS18_E10value_typeET4_jRbjT5_S1E_jjP12ihipStream_tbEUljE_ZNSN_ISO_Lb1ESQ_SR_ST_SU_SY_EESZ_S10_S11_S12_S16_S17_S18_S1B_S1C_jS1D_jS1E_S1E_jjS1G_bEUljE0_EEESZ_S10_S11_S18_S1C_S1E_T6_T7_T9_mT8_S1G_bDpT10_ENKUlT_T0_E_clISt17integral_constantIbLb0EES1U_EEDaS1P_S1Q_EUlS1P_E_NS1_11comp_targetILNS1_3genE2ELNS1_11target_archE906ELNS1_3gpuE6ELNS1_3repE0EEENS1_30default_config_static_selectorELNS0_4arch9wavefront6targetE0EEEvS12_: ; @_ZN7rocprim17ROCPRIM_400000_NS6detail17trampoline_kernelINS0_13select_configILj256ELj13ELNS0_17block_load_methodE3ELS4_3ELS4_3ELNS0_20block_scan_algorithmE0ELj4294967295EEENS1_25partition_config_selectorILNS1_17partition_subalgoE4EjNS0_10empty_typeEbEEZZNS1_14partition_implILS8_4ELb0ES6_15HIP_vector_typeIjLj2EENS0_17counting_iteratorIjlEEPS9_SG_NS0_5tupleIJPjSI_NS0_16reverse_iteratorISI_EEEEENSH_IJSG_SG_SG_EEES9_SI_JZNS1_25segmented_radix_sort_implINS0_14default_configELb1EPKdPdPKlPlN2at6native12_GLOBAL__N_18offset_tEEE10hipError_tPvRmT1_PNSt15iterator_traitsIS12_E10value_typeET2_T3_PNS13_IS18_E10value_typeET4_jRbjT5_S1E_jjP12ihipStream_tbEUljE_ZNSN_ISO_Lb1ESQ_SR_ST_SU_SY_EESZ_S10_S11_S12_S16_S17_S18_S1B_S1C_jS1D_jS1E_S1E_jjS1G_bEUljE0_EEESZ_S10_S11_S18_S1C_S1E_T6_T7_T9_mT8_S1G_bDpT10_ENKUlT_T0_E_clISt17integral_constantIbLb0EES1U_EEDaS1P_S1Q_EUlS1P_E_NS1_11comp_targetILNS1_3genE2ELNS1_11target_archE906ELNS1_3gpuE6ELNS1_3repE0EEENS1_30default_config_static_selectorELNS0_4arch9wavefront6targetE0EEEvS12_
; %bb.0:
	.section	.rodata,"a",@progbits
	.p2align	6, 0x0
	.amdhsa_kernel _ZN7rocprim17ROCPRIM_400000_NS6detail17trampoline_kernelINS0_13select_configILj256ELj13ELNS0_17block_load_methodE3ELS4_3ELS4_3ELNS0_20block_scan_algorithmE0ELj4294967295EEENS1_25partition_config_selectorILNS1_17partition_subalgoE4EjNS0_10empty_typeEbEEZZNS1_14partition_implILS8_4ELb0ES6_15HIP_vector_typeIjLj2EENS0_17counting_iteratorIjlEEPS9_SG_NS0_5tupleIJPjSI_NS0_16reverse_iteratorISI_EEEEENSH_IJSG_SG_SG_EEES9_SI_JZNS1_25segmented_radix_sort_implINS0_14default_configELb1EPKdPdPKlPlN2at6native12_GLOBAL__N_18offset_tEEE10hipError_tPvRmT1_PNSt15iterator_traitsIS12_E10value_typeET2_T3_PNS13_IS18_E10value_typeET4_jRbjT5_S1E_jjP12ihipStream_tbEUljE_ZNSN_ISO_Lb1ESQ_SR_ST_SU_SY_EESZ_S10_S11_S12_S16_S17_S18_S1B_S1C_jS1D_jS1E_S1E_jjS1G_bEUljE0_EEESZ_S10_S11_S18_S1C_S1E_T6_T7_T9_mT8_S1G_bDpT10_ENKUlT_T0_E_clISt17integral_constantIbLb0EES1U_EEDaS1P_S1Q_EUlS1P_E_NS1_11comp_targetILNS1_3genE2ELNS1_11target_archE906ELNS1_3gpuE6ELNS1_3repE0EEENS1_30default_config_static_selectorELNS0_4arch9wavefront6targetE0EEEvS12_
		.amdhsa_group_segment_fixed_size 0
		.amdhsa_private_segment_fixed_size 0
		.amdhsa_kernarg_size 176
		.amdhsa_user_sgpr_count 2
		.amdhsa_user_sgpr_dispatch_ptr 0
		.amdhsa_user_sgpr_queue_ptr 0
		.amdhsa_user_sgpr_kernarg_segment_ptr 1
		.amdhsa_user_sgpr_dispatch_id 0
		.amdhsa_user_sgpr_kernarg_preload_length 0
		.amdhsa_user_sgpr_kernarg_preload_offset 0
		.amdhsa_user_sgpr_private_segment_size 0
		.amdhsa_wavefront_size32 1
		.amdhsa_uses_dynamic_stack 0
		.amdhsa_enable_private_segment 0
		.amdhsa_system_sgpr_workgroup_id_x 1
		.amdhsa_system_sgpr_workgroup_id_y 0
		.amdhsa_system_sgpr_workgroup_id_z 0
		.amdhsa_system_sgpr_workgroup_info 0
		.amdhsa_system_vgpr_workitem_id 0
		.amdhsa_next_free_vgpr 1
		.amdhsa_next_free_sgpr 1
		.amdhsa_named_barrier_count 0
		.amdhsa_reserve_vcc 0
		.amdhsa_float_round_mode_32 0
		.amdhsa_float_round_mode_16_64 0
		.amdhsa_float_denorm_mode_32 3
		.amdhsa_float_denorm_mode_16_64 3
		.amdhsa_fp16_overflow 0
		.amdhsa_memory_ordered 1
		.amdhsa_forward_progress 1
		.amdhsa_inst_pref_size 0
		.amdhsa_round_robin_scheduling 0
		.amdhsa_exception_fp_ieee_invalid_op 0
		.amdhsa_exception_fp_denorm_src 0
		.amdhsa_exception_fp_ieee_div_zero 0
		.amdhsa_exception_fp_ieee_overflow 0
		.amdhsa_exception_fp_ieee_underflow 0
		.amdhsa_exception_fp_ieee_inexact 0
		.amdhsa_exception_int_div_zero 0
	.end_amdhsa_kernel
	.section	.text._ZN7rocprim17ROCPRIM_400000_NS6detail17trampoline_kernelINS0_13select_configILj256ELj13ELNS0_17block_load_methodE3ELS4_3ELS4_3ELNS0_20block_scan_algorithmE0ELj4294967295EEENS1_25partition_config_selectorILNS1_17partition_subalgoE4EjNS0_10empty_typeEbEEZZNS1_14partition_implILS8_4ELb0ES6_15HIP_vector_typeIjLj2EENS0_17counting_iteratorIjlEEPS9_SG_NS0_5tupleIJPjSI_NS0_16reverse_iteratorISI_EEEEENSH_IJSG_SG_SG_EEES9_SI_JZNS1_25segmented_radix_sort_implINS0_14default_configELb1EPKdPdPKlPlN2at6native12_GLOBAL__N_18offset_tEEE10hipError_tPvRmT1_PNSt15iterator_traitsIS12_E10value_typeET2_T3_PNS13_IS18_E10value_typeET4_jRbjT5_S1E_jjP12ihipStream_tbEUljE_ZNSN_ISO_Lb1ESQ_SR_ST_SU_SY_EESZ_S10_S11_S12_S16_S17_S18_S1B_S1C_jS1D_jS1E_S1E_jjS1G_bEUljE0_EEESZ_S10_S11_S18_S1C_S1E_T6_T7_T9_mT8_S1G_bDpT10_ENKUlT_T0_E_clISt17integral_constantIbLb0EES1U_EEDaS1P_S1Q_EUlS1P_E_NS1_11comp_targetILNS1_3genE2ELNS1_11target_archE906ELNS1_3gpuE6ELNS1_3repE0EEENS1_30default_config_static_selectorELNS0_4arch9wavefront6targetE0EEEvS12_,"axG",@progbits,_ZN7rocprim17ROCPRIM_400000_NS6detail17trampoline_kernelINS0_13select_configILj256ELj13ELNS0_17block_load_methodE3ELS4_3ELS4_3ELNS0_20block_scan_algorithmE0ELj4294967295EEENS1_25partition_config_selectorILNS1_17partition_subalgoE4EjNS0_10empty_typeEbEEZZNS1_14partition_implILS8_4ELb0ES6_15HIP_vector_typeIjLj2EENS0_17counting_iteratorIjlEEPS9_SG_NS0_5tupleIJPjSI_NS0_16reverse_iteratorISI_EEEEENSH_IJSG_SG_SG_EEES9_SI_JZNS1_25segmented_radix_sort_implINS0_14default_configELb1EPKdPdPKlPlN2at6native12_GLOBAL__N_18offset_tEEE10hipError_tPvRmT1_PNSt15iterator_traitsIS12_E10value_typeET2_T3_PNS13_IS18_E10value_typeET4_jRbjT5_S1E_jjP12ihipStream_tbEUljE_ZNSN_ISO_Lb1ESQ_SR_ST_SU_SY_EESZ_S10_S11_S12_S16_S17_S18_S1B_S1C_jS1D_jS1E_S1E_jjS1G_bEUljE0_EEESZ_S10_S11_S18_S1C_S1E_T6_T7_T9_mT8_S1G_bDpT10_ENKUlT_T0_E_clISt17integral_constantIbLb0EES1U_EEDaS1P_S1Q_EUlS1P_E_NS1_11comp_targetILNS1_3genE2ELNS1_11target_archE906ELNS1_3gpuE6ELNS1_3repE0EEENS1_30default_config_static_selectorELNS0_4arch9wavefront6targetE0EEEvS12_,comdat
.Lfunc_end1052:
	.size	_ZN7rocprim17ROCPRIM_400000_NS6detail17trampoline_kernelINS0_13select_configILj256ELj13ELNS0_17block_load_methodE3ELS4_3ELS4_3ELNS0_20block_scan_algorithmE0ELj4294967295EEENS1_25partition_config_selectorILNS1_17partition_subalgoE4EjNS0_10empty_typeEbEEZZNS1_14partition_implILS8_4ELb0ES6_15HIP_vector_typeIjLj2EENS0_17counting_iteratorIjlEEPS9_SG_NS0_5tupleIJPjSI_NS0_16reverse_iteratorISI_EEEEENSH_IJSG_SG_SG_EEES9_SI_JZNS1_25segmented_radix_sort_implINS0_14default_configELb1EPKdPdPKlPlN2at6native12_GLOBAL__N_18offset_tEEE10hipError_tPvRmT1_PNSt15iterator_traitsIS12_E10value_typeET2_T3_PNS13_IS18_E10value_typeET4_jRbjT5_S1E_jjP12ihipStream_tbEUljE_ZNSN_ISO_Lb1ESQ_SR_ST_SU_SY_EESZ_S10_S11_S12_S16_S17_S18_S1B_S1C_jS1D_jS1E_S1E_jjS1G_bEUljE0_EEESZ_S10_S11_S18_S1C_S1E_T6_T7_T9_mT8_S1G_bDpT10_ENKUlT_T0_E_clISt17integral_constantIbLb0EES1U_EEDaS1P_S1Q_EUlS1P_E_NS1_11comp_targetILNS1_3genE2ELNS1_11target_archE906ELNS1_3gpuE6ELNS1_3repE0EEENS1_30default_config_static_selectorELNS0_4arch9wavefront6targetE0EEEvS12_, .Lfunc_end1052-_ZN7rocprim17ROCPRIM_400000_NS6detail17trampoline_kernelINS0_13select_configILj256ELj13ELNS0_17block_load_methodE3ELS4_3ELS4_3ELNS0_20block_scan_algorithmE0ELj4294967295EEENS1_25partition_config_selectorILNS1_17partition_subalgoE4EjNS0_10empty_typeEbEEZZNS1_14partition_implILS8_4ELb0ES6_15HIP_vector_typeIjLj2EENS0_17counting_iteratorIjlEEPS9_SG_NS0_5tupleIJPjSI_NS0_16reverse_iteratorISI_EEEEENSH_IJSG_SG_SG_EEES9_SI_JZNS1_25segmented_radix_sort_implINS0_14default_configELb1EPKdPdPKlPlN2at6native12_GLOBAL__N_18offset_tEEE10hipError_tPvRmT1_PNSt15iterator_traitsIS12_E10value_typeET2_T3_PNS13_IS18_E10value_typeET4_jRbjT5_S1E_jjP12ihipStream_tbEUljE_ZNSN_ISO_Lb1ESQ_SR_ST_SU_SY_EESZ_S10_S11_S12_S16_S17_S18_S1B_S1C_jS1D_jS1E_S1E_jjS1G_bEUljE0_EEESZ_S10_S11_S18_S1C_S1E_T6_T7_T9_mT8_S1G_bDpT10_ENKUlT_T0_E_clISt17integral_constantIbLb0EES1U_EEDaS1P_S1Q_EUlS1P_E_NS1_11comp_targetILNS1_3genE2ELNS1_11target_archE906ELNS1_3gpuE6ELNS1_3repE0EEENS1_30default_config_static_selectorELNS0_4arch9wavefront6targetE0EEEvS12_
                                        ; -- End function
	.set _ZN7rocprim17ROCPRIM_400000_NS6detail17trampoline_kernelINS0_13select_configILj256ELj13ELNS0_17block_load_methodE3ELS4_3ELS4_3ELNS0_20block_scan_algorithmE0ELj4294967295EEENS1_25partition_config_selectorILNS1_17partition_subalgoE4EjNS0_10empty_typeEbEEZZNS1_14partition_implILS8_4ELb0ES6_15HIP_vector_typeIjLj2EENS0_17counting_iteratorIjlEEPS9_SG_NS0_5tupleIJPjSI_NS0_16reverse_iteratorISI_EEEEENSH_IJSG_SG_SG_EEES9_SI_JZNS1_25segmented_radix_sort_implINS0_14default_configELb1EPKdPdPKlPlN2at6native12_GLOBAL__N_18offset_tEEE10hipError_tPvRmT1_PNSt15iterator_traitsIS12_E10value_typeET2_T3_PNS13_IS18_E10value_typeET4_jRbjT5_S1E_jjP12ihipStream_tbEUljE_ZNSN_ISO_Lb1ESQ_SR_ST_SU_SY_EESZ_S10_S11_S12_S16_S17_S18_S1B_S1C_jS1D_jS1E_S1E_jjS1G_bEUljE0_EEESZ_S10_S11_S18_S1C_S1E_T6_T7_T9_mT8_S1G_bDpT10_ENKUlT_T0_E_clISt17integral_constantIbLb0EES1U_EEDaS1P_S1Q_EUlS1P_E_NS1_11comp_targetILNS1_3genE2ELNS1_11target_archE906ELNS1_3gpuE6ELNS1_3repE0EEENS1_30default_config_static_selectorELNS0_4arch9wavefront6targetE0EEEvS12_.num_vgpr, 0
	.set _ZN7rocprim17ROCPRIM_400000_NS6detail17trampoline_kernelINS0_13select_configILj256ELj13ELNS0_17block_load_methodE3ELS4_3ELS4_3ELNS0_20block_scan_algorithmE0ELj4294967295EEENS1_25partition_config_selectorILNS1_17partition_subalgoE4EjNS0_10empty_typeEbEEZZNS1_14partition_implILS8_4ELb0ES6_15HIP_vector_typeIjLj2EENS0_17counting_iteratorIjlEEPS9_SG_NS0_5tupleIJPjSI_NS0_16reverse_iteratorISI_EEEEENSH_IJSG_SG_SG_EEES9_SI_JZNS1_25segmented_radix_sort_implINS0_14default_configELb1EPKdPdPKlPlN2at6native12_GLOBAL__N_18offset_tEEE10hipError_tPvRmT1_PNSt15iterator_traitsIS12_E10value_typeET2_T3_PNS13_IS18_E10value_typeET4_jRbjT5_S1E_jjP12ihipStream_tbEUljE_ZNSN_ISO_Lb1ESQ_SR_ST_SU_SY_EESZ_S10_S11_S12_S16_S17_S18_S1B_S1C_jS1D_jS1E_S1E_jjS1G_bEUljE0_EEESZ_S10_S11_S18_S1C_S1E_T6_T7_T9_mT8_S1G_bDpT10_ENKUlT_T0_E_clISt17integral_constantIbLb0EES1U_EEDaS1P_S1Q_EUlS1P_E_NS1_11comp_targetILNS1_3genE2ELNS1_11target_archE906ELNS1_3gpuE6ELNS1_3repE0EEENS1_30default_config_static_selectorELNS0_4arch9wavefront6targetE0EEEvS12_.num_agpr, 0
	.set _ZN7rocprim17ROCPRIM_400000_NS6detail17trampoline_kernelINS0_13select_configILj256ELj13ELNS0_17block_load_methodE3ELS4_3ELS4_3ELNS0_20block_scan_algorithmE0ELj4294967295EEENS1_25partition_config_selectorILNS1_17partition_subalgoE4EjNS0_10empty_typeEbEEZZNS1_14partition_implILS8_4ELb0ES6_15HIP_vector_typeIjLj2EENS0_17counting_iteratorIjlEEPS9_SG_NS0_5tupleIJPjSI_NS0_16reverse_iteratorISI_EEEEENSH_IJSG_SG_SG_EEES9_SI_JZNS1_25segmented_radix_sort_implINS0_14default_configELb1EPKdPdPKlPlN2at6native12_GLOBAL__N_18offset_tEEE10hipError_tPvRmT1_PNSt15iterator_traitsIS12_E10value_typeET2_T3_PNS13_IS18_E10value_typeET4_jRbjT5_S1E_jjP12ihipStream_tbEUljE_ZNSN_ISO_Lb1ESQ_SR_ST_SU_SY_EESZ_S10_S11_S12_S16_S17_S18_S1B_S1C_jS1D_jS1E_S1E_jjS1G_bEUljE0_EEESZ_S10_S11_S18_S1C_S1E_T6_T7_T9_mT8_S1G_bDpT10_ENKUlT_T0_E_clISt17integral_constantIbLb0EES1U_EEDaS1P_S1Q_EUlS1P_E_NS1_11comp_targetILNS1_3genE2ELNS1_11target_archE906ELNS1_3gpuE6ELNS1_3repE0EEENS1_30default_config_static_selectorELNS0_4arch9wavefront6targetE0EEEvS12_.numbered_sgpr, 0
	.set _ZN7rocprim17ROCPRIM_400000_NS6detail17trampoline_kernelINS0_13select_configILj256ELj13ELNS0_17block_load_methodE3ELS4_3ELS4_3ELNS0_20block_scan_algorithmE0ELj4294967295EEENS1_25partition_config_selectorILNS1_17partition_subalgoE4EjNS0_10empty_typeEbEEZZNS1_14partition_implILS8_4ELb0ES6_15HIP_vector_typeIjLj2EENS0_17counting_iteratorIjlEEPS9_SG_NS0_5tupleIJPjSI_NS0_16reverse_iteratorISI_EEEEENSH_IJSG_SG_SG_EEES9_SI_JZNS1_25segmented_radix_sort_implINS0_14default_configELb1EPKdPdPKlPlN2at6native12_GLOBAL__N_18offset_tEEE10hipError_tPvRmT1_PNSt15iterator_traitsIS12_E10value_typeET2_T3_PNS13_IS18_E10value_typeET4_jRbjT5_S1E_jjP12ihipStream_tbEUljE_ZNSN_ISO_Lb1ESQ_SR_ST_SU_SY_EESZ_S10_S11_S12_S16_S17_S18_S1B_S1C_jS1D_jS1E_S1E_jjS1G_bEUljE0_EEESZ_S10_S11_S18_S1C_S1E_T6_T7_T9_mT8_S1G_bDpT10_ENKUlT_T0_E_clISt17integral_constantIbLb0EES1U_EEDaS1P_S1Q_EUlS1P_E_NS1_11comp_targetILNS1_3genE2ELNS1_11target_archE906ELNS1_3gpuE6ELNS1_3repE0EEENS1_30default_config_static_selectorELNS0_4arch9wavefront6targetE0EEEvS12_.num_named_barrier, 0
	.set _ZN7rocprim17ROCPRIM_400000_NS6detail17trampoline_kernelINS0_13select_configILj256ELj13ELNS0_17block_load_methodE3ELS4_3ELS4_3ELNS0_20block_scan_algorithmE0ELj4294967295EEENS1_25partition_config_selectorILNS1_17partition_subalgoE4EjNS0_10empty_typeEbEEZZNS1_14partition_implILS8_4ELb0ES6_15HIP_vector_typeIjLj2EENS0_17counting_iteratorIjlEEPS9_SG_NS0_5tupleIJPjSI_NS0_16reverse_iteratorISI_EEEEENSH_IJSG_SG_SG_EEES9_SI_JZNS1_25segmented_radix_sort_implINS0_14default_configELb1EPKdPdPKlPlN2at6native12_GLOBAL__N_18offset_tEEE10hipError_tPvRmT1_PNSt15iterator_traitsIS12_E10value_typeET2_T3_PNS13_IS18_E10value_typeET4_jRbjT5_S1E_jjP12ihipStream_tbEUljE_ZNSN_ISO_Lb1ESQ_SR_ST_SU_SY_EESZ_S10_S11_S12_S16_S17_S18_S1B_S1C_jS1D_jS1E_S1E_jjS1G_bEUljE0_EEESZ_S10_S11_S18_S1C_S1E_T6_T7_T9_mT8_S1G_bDpT10_ENKUlT_T0_E_clISt17integral_constantIbLb0EES1U_EEDaS1P_S1Q_EUlS1P_E_NS1_11comp_targetILNS1_3genE2ELNS1_11target_archE906ELNS1_3gpuE6ELNS1_3repE0EEENS1_30default_config_static_selectorELNS0_4arch9wavefront6targetE0EEEvS12_.private_seg_size, 0
	.set _ZN7rocprim17ROCPRIM_400000_NS6detail17trampoline_kernelINS0_13select_configILj256ELj13ELNS0_17block_load_methodE3ELS4_3ELS4_3ELNS0_20block_scan_algorithmE0ELj4294967295EEENS1_25partition_config_selectorILNS1_17partition_subalgoE4EjNS0_10empty_typeEbEEZZNS1_14partition_implILS8_4ELb0ES6_15HIP_vector_typeIjLj2EENS0_17counting_iteratorIjlEEPS9_SG_NS0_5tupleIJPjSI_NS0_16reverse_iteratorISI_EEEEENSH_IJSG_SG_SG_EEES9_SI_JZNS1_25segmented_radix_sort_implINS0_14default_configELb1EPKdPdPKlPlN2at6native12_GLOBAL__N_18offset_tEEE10hipError_tPvRmT1_PNSt15iterator_traitsIS12_E10value_typeET2_T3_PNS13_IS18_E10value_typeET4_jRbjT5_S1E_jjP12ihipStream_tbEUljE_ZNSN_ISO_Lb1ESQ_SR_ST_SU_SY_EESZ_S10_S11_S12_S16_S17_S18_S1B_S1C_jS1D_jS1E_S1E_jjS1G_bEUljE0_EEESZ_S10_S11_S18_S1C_S1E_T6_T7_T9_mT8_S1G_bDpT10_ENKUlT_T0_E_clISt17integral_constantIbLb0EES1U_EEDaS1P_S1Q_EUlS1P_E_NS1_11comp_targetILNS1_3genE2ELNS1_11target_archE906ELNS1_3gpuE6ELNS1_3repE0EEENS1_30default_config_static_selectorELNS0_4arch9wavefront6targetE0EEEvS12_.uses_vcc, 0
	.set _ZN7rocprim17ROCPRIM_400000_NS6detail17trampoline_kernelINS0_13select_configILj256ELj13ELNS0_17block_load_methodE3ELS4_3ELS4_3ELNS0_20block_scan_algorithmE0ELj4294967295EEENS1_25partition_config_selectorILNS1_17partition_subalgoE4EjNS0_10empty_typeEbEEZZNS1_14partition_implILS8_4ELb0ES6_15HIP_vector_typeIjLj2EENS0_17counting_iteratorIjlEEPS9_SG_NS0_5tupleIJPjSI_NS0_16reverse_iteratorISI_EEEEENSH_IJSG_SG_SG_EEES9_SI_JZNS1_25segmented_radix_sort_implINS0_14default_configELb1EPKdPdPKlPlN2at6native12_GLOBAL__N_18offset_tEEE10hipError_tPvRmT1_PNSt15iterator_traitsIS12_E10value_typeET2_T3_PNS13_IS18_E10value_typeET4_jRbjT5_S1E_jjP12ihipStream_tbEUljE_ZNSN_ISO_Lb1ESQ_SR_ST_SU_SY_EESZ_S10_S11_S12_S16_S17_S18_S1B_S1C_jS1D_jS1E_S1E_jjS1G_bEUljE0_EEESZ_S10_S11_S18_S1C_S1E_T6_T7_T9_mT8_S1G_bDpT10_ENKUlT_T0_E_clISt17integral_constantIbLb0EES1U_EEDaS1P_S1Q_EUlS1P_E_NS1_11comp_targetILNS1_3genE2ELNS1_11target_archE906ELNS1_3gpuE6ELNS1_3repE0EEENS1_30default_config_static_selectorELNS0_4arch9wavefront6targetE0EEEvS12_.uses_flat_scratch, 0
	.set _ZN7rocprim17ROCPRIM_400000_NS6detail17trampoline_kernelINS0_13select_configILj256ELj13ELNS0_17block_load_methodE3ELS4_3ELS4_3ELNS0_20block_scan_algorithmE0ELj4294967295EEENS1_25partition_config_selectorILNS1_17partition_subalgoE4EjNS0_10empty_typeEbEEZZNS1_14partition_implILS8_4ELb0ES6_15HIP_vector_typeIjLj2EENS0_17counting_iteratorIjlEEPS9_SG_NS0_5tupleIJPjSI_NS0_16reverse_iteratorISI_EEEEENSH_IJSG_SG_SG_EEES9_SI_JZNS1_25segmented_radix_sort_implINS0_14default_configELb1EPKdPdPKlPlN2at6native12_GLOBAL__N_18offset_tEEE10hipError_tPvRmT1_PNSt15iterator_traitsIS12_E10value_typeET2_T3_PNS13_IS18_E10value_typeET4_jRbjT5_S1E_jjP12ihipStream_tbEUljE_ZNSN_ISO_Lb1ESQ_SR_ST_SU_SY_EESZ_S10_S11_S12_S16_S17_S18_S1B_S1C_jS1D_jS1E_S1E_jjS1G_bEUljE0_EEESZ_S10_S11_S18_S1C_S1E_T6_T7_T9_mT8_S1G_bDpT10_ENKUlT_T0_E_clISt17integral_constantIbLb0EES1U_EEDaS1P_S1Q_EUlS1P_E_NS1_11comp_targetILNS1_3genE2ELNS1_11target_archE906ELNS1_3gpuE6ELNS1_3repE0EEENS1_30default_config_static_selectorELNS0_4arch9wavefront6targetE0EEEvS12_.has_dyn_sized_stack, 0
	.set _ZN7rocprim17ROCPRIM_400000_NS6detail17trampoline_kernelINS0_13select_configILj256ELj13ELNS0_17block_load_methodE3ELS4_3ELS4_3ELNS0_20block_scan_algorithmE0ELj4294967295EEENS1_25partition_config_selectorILNS1_17partition_subalgoE4EjNS0_10empty_typeEbEEZZNS1_14partition_implILS8_4ELb0ES6_15HIP_vector_typeIjLj2EENS0_17counting_iteratorIjlEEPS9_SG_NS0_5tupleIJPjSI_NS0_16reverse_iteratorISI_EEEEENSH_IJSG_SG_SG_EEES9_SI_JZNS1_25segmented_radix_sort_implINS0_14default_configELb1EPKdPdPKlPlN2at6native12_GLOBAL__N_18offset_tEEE10hipError_tPvRmT1_PNSt15iterator_traitsIS12_E10value_typeET2_T3_PNS13_IS18_E10value_typeET4_jRbjT5_S1E_jjP12ihipStream_tbEUljE_ZNSN_ISO_Lb1ESQ_SR_ST_SU_SY_EESZ_S10_S11_S12_S16_S17_S18_S1B_S1C_jS1D_jS1E_S1E_jjS1G_bEUljE0_EEESZ_S10_S11_S18_S1C_S1E_T6_T7_T9_mT8_S1G_bDpT10_ENKUlT_T0_E_clISt17integral_constantIbLb0EES1U_EEDaS1P_S1Q_EUlS1P_E_NS1_11comp_targetILNS1_3genE2ELNS1_11target_archE906ELNS1_3gpuE6ELNS1_3repE0EEENS1_30default_config_static_selectorELNS0_4arch9wavefront6targetE0EEEvS12_.has_recursion, 0
	.set _ZN7rocprim17ROCPRIM_400000_NS6detail17trampoline_kernelINS0_13select_configILj256ELj13ELNS0_17block_load_methodE3ELS4_3ELS4_3ELNS0_20block_scan_algorithmE0ELj4294967295EEENS1_25partition_config_selectorILNS1_17partition_subalgoE4EjNS0_10empty_typeEbEEZZNS1_14partition_implILS8_4ELb0ES6_15HIP_vector_typeIjLj2EENS0_17counting_iteratorIjlEEPS9_SG_NS0_5tupleIJPjSI_NS0_16reverse_iteratorISI_EEEEENSH_IJSG_SG_SG_EEES9_SI_JZNS1_25segmented_radix_sort_implINS0_14default_configELb1EPKdPdPKlPlN2at6native12_GLOBAL__N_18offset_tEEE10hipError_tPvRmT1_PNSt15iterator_traitsIS12_E10value_typeET2_T3_PNS13_IS18_E10value_typeET4_jRbjT5_S1E_jjP12ihipStream_tbEUljE_ZNSN_ISO_Lb1ESQ_SR_ST_SU_SY_EESZ_S10_S11_S12_S16_S17_S18_S1B_S1C_jS1D_jS1E_S1E_jjS1G_bEUljE0_EEESZ_S10_S11_S18_S1C_S1E_T6_T7_T9_mT8_S1G_bDpT10_ENKUlT_T0_E_clISt17integral_constantIbLb0EES1U_EEDaS1P_S1Q_EUlS1P_E_NS1_11comp_targetILNS1_3genE2ELNS1_11target_archE906ELNS1_3gpuE6ELNS1_3repE0EEENS1_30default_config_static_selectorELNS0_4arch9wavefront6targetE0EEEvS12_.has_indirect_call, 0
	.section	.AMDGPU.csdata,"",@progbits
; Kernel info:
; codeLenInByte = 0
; TotalNumSgprs: 0
; NumVgprs: 0
; ScratchSize: 0
; MemoryBound: 0
; FloatMode: 240
; IeeeMode: 1
; LDSByteSize: 0 bytes/workgroup (compile time only)
; SGPRBlocks: 0
; VGPRBlocks: 0
; NumSGPRsForWavesPerEU: 1
; NumVGPRsForWavesPerEU: 1
; NamedBarCnt: 0
; Occupancy: 16
; WaveLimiterHint : 0
; COMPUTE_PGM_RSRC2:SCRATCH_EN: 0
; COMPUTE_PGM_RSRC2:USER_SGPR: 2
; COMPUTE_PGM_RSRC2:TRAP_HANDLER: 0
; COMPUTE_PGM_RSRC2:TGID_X_EN: 1
; COMPUTE_PGM_RSRC2:TGID_Y_EN: 0
; COMPUTE_PGM_RSRC2:TGID_Z_EN: 0
; COMPUTE_PGM_RSRC2:TIDIG_COMP_CNT: 0
	.section	.text._ZN7rocprim17ROCPRIM_400000_NS6detail17trampoline_kernelINS0_13select_configILj256ELj13ELNS0_17block_load_methodE3ELS4_3ELS4_3ELNS0_20block_scan_algorithmE0ELj4294967295EEENS1_25partition_config_selectorILNS1_17partition_subalgoE4EjNS0_10empty_typeEbEEZZNS1_14partition_implILS8_4ELb0ES6_15HIP_vector_typeIjLj2EENS0_17counting_iteratorIjlEEPS9_SG_NS0_5tupleIJPjSI_NS0_16reverse_iteratorISI_EEEEENSH_IJSG_SG_SG_EEES9_SI_JZNS1_25segmented_radix_sort_implINS0_14default_configELb1EPKdPdPKlPlN2at6native12_GLOBAL__N_18offset_tEEE10hipError_tPvRmT1_PNSt15iterator_traitsIS12_E10value_typeET2_T3_PNS13_IS18_E10value_typeET4_jRbjT5_S1E_jjP12ihipStream_tbEUljE_ZNSN_ISO_Lb1ESQ_SR_ST_SU_SY_EESZ_S10_S11_S12_S16_S17_S18_S1B_S1C_jS1D_jS1E_S1E_jjS1G_bEUljE0_EEESZ_S10_S11_S18_S1C_S1E_T6_T7_T9_mT8_S1G_bDpT10_ENKUlT_T0_E_clISt17integral_constantIbLb0EES1U_EEDaS1P_S1Q_EUlS1P_E_NS1_11comp_targetILNS1_3genE10ELNS1_11target_archE1200ELNS1_3gpuE4ELNS1_3repE0EEENS1_30default_config_static_selectorELNS0_4arch9wavefront6targetE0EEEvS12_,"axG",@progbits,_ZN7rocprim17ROCPRIM_400000_NS6detail17trampoline_kernelINS0_13select_configILj256ELj13ELNS0_17block_load_methodE3ELS4_3ELS4_3ELNS0_20block_scan_algorithmE0ELj4294967295EEENS1_25partition_config_selectorILNS1_17partition_subalgoE4EjNS0_10empty_typeEbEEZZNS1_14partition_implILS8_4ELb0ES6_15HIP_vector_typeIjLj2EENS0_17counting_iteratorIjlEEPS9_SG_NS0_5tupleIJPjSI_NS0_16reverse_iteratorISI_EEEEENSH_IJSG_SG_SG_EEES9_SI_JZNS1_25segmented_radix_sort_implINS0_14default_configELb1EPKdPdPKlPlN2at6native12_GLOBAL__N_18offset_tEEE10hipError_tPvRmT1_PNSt15iterator_traitsIS12_E10value_typeET2_T3_PNS13_IS18_E10value_typeET4_jRbjT5_S1E_jjP12ihipStream_tbEUljE_ZNSN_ISO_Lb1ESQ_SR_ST_SU_SY_EESZ_S10_S11_S12_S16_S17_S18_S1B_S1C_jS1D_jS1E_S1E_jjS1G_bEUljE0_EEESZ_S10_S11_S18_S1C_S1E_T6_T7_T9_mT8_S1G_bDpT10_ENKUlT_T0_E_clISt17integral_constantIbLb0EES1U_EEDaS1P_S1Q_EUlS1P_E_NS1_11comp_targetILNS1_3genE10ELNS1_11target_archE1200ELNS1_3gpuE4ELNS1_3repE0EEENS1_30default_config_static_selectorELNS0_4arch9wavefront6targetE0EEEvS12_,comdat
	.globl	_ZN7rocprim17ROCPRIM_400000_NS6detail17trampoline_kernelINS0_13select_configILj256ELj13ELNS0_17block_load_methodE3ELS4_3ELS4_3ELNS0_20block_scan_algorithmE0ELj4294967295EEENS1_25partition_config_selectorILNS1_17partition_subalgoE4EjNS0_10empty_typeEbEEZZNS1_14partition_implILS8_4ELb0ES6_15HIP_vector_typeIjLj2EENS0_17counting_iteratorIjlEEPS9_SG_NS0_5tupleIJPjSI_NS0_16reverse_iteratorISI_EEEEENSH_IJSG_SG_SG_EEES9_SI_JZNS1_25segmented_radix_sort_implINS0_14default_configELb1EPKdPdPKlPlN2at6native12_GLOBAL__N_18offset_tEEE10hipError_tPvRmT1_PNSt15iterator_traitsIS12_E10value_typeET2_T3_PNS13_IS18_E10value_typeET4_jRbjT5_S1E_jjP12ihipStream_tbEUljE_ZNSN_ISO_Lb1ESQ_SR_ST_SU_SY_EESZ_S10_S11_S12_S16_S17_S18_S1B_S1C_jS1D_jS1E_S1E_jjS1G_bEUljE0_EEESZ_S10_S11_S18_S1C_S1E_T6_T7_T9_mT8_S1G_bDpT10_ENKUlT_T0_E_clISt17integral_constantIbLb0EES1U_EEDaS1P_S1Q_EUlS1P_E_NS1_11comp_targetILNS1_3genE10ELNS1_11target_archE1200ELNS1_3gpuE4ELNS1_3repE0EEENS1_30default_config_static_selectorELNS0_4arch9wavefront6targetE0EEEvS12_ ; -- Begin function _ZN7rocprim17ROCPRIM_400000_NS6detail17trampoline_kernelINS0_13select_configILj256ELj13ELNS0_17block_load_methodE3ELS4_3ELS4_3ELNS0_20block_scan_algorithmE0ELj4294967295EEENS1_25partition_config_selectorILNS1_17partition_subalgoE4EjNS0_10empty_typeEbEEZZNS1_14partition_implILS8_4ELb0ES6_15HIP_vector_typeIjLj2EENS0_17counting_iteratorIjlEEPS9_SG_NS0_5tupleIJPjSI_NS0_16reverse_iteratorISI_EEEEENSH_IJSG_SG_SG_EEES9_SI_JZNS1_25segmented_radix_sort_implINS0_14default_configELb1EPKdPdPKlPlN2at6native12_GLOBAL__N_18offset_tEEE10hipError_tPvRmT1_PNSt15iterator_traitsIS12_E10value_typeET2_T3_PNS13_IS18_E10value_typeET4_jRbjT5_S1E_jjP12ihipStream_tbEUljE_ZNSN_ISO_Lb1ESQ_SR_ST_SU_SY_EESZ_S10_S11_S12_S16_S17_S18_S1B_S1C_jS1D_jS1E_S1E_jjS1G_bEUljE0_EEESZ_S10_S11_S18_S1C_S1E_T6_T7_T9_mT8_S1G_bDpT10_ENKUlT_T0_E_clISt17integral_constantIbLb0EES1U_EEDaS1P_S1Q_EUlS1P_E_NS1_11comp_targetILNS1_3genE10ELNS1_11target_archE1200ELNS1_3gpuE4ELNS1_3repE0EEENS1_30default_config_static_selectorELNS0_4arch9wavefront6targetE0EEEvS12_
	.p2align	8
	.type	_ZN7rocprim17ROCPRIM_400000_NS6detail17trampoline_kernelINS0_13select_configILj256ELj13ELNS0_17block_load_methodE3ELS4_3ELS4_3ELNS0_20block_scan_algorithmE0ELj4294967295EEENS1_25partition_config_selectorILNS1_17partition_subalgoE4EjNS0_10empty_typeEbEEZZNS1_14partition_implILS8_4ELb0ES6_15HIP_vector_typeIjLj2EENS0_17counting_iteratorIjlEEPS9_SG_NS0_5tupleIJPjSI_NS0_16reverse_iteratorISI_EEEEENSH_IJSG_SG_SG_EEES9_SI_JZNS1_25segmented_radix_sort_implINS0_14default_configELb1EPKdPdPKlPlN2at6native12_GLOBAL__N_18offset_tEEE10hipError_tPvRmT1_PNSt15iterator_traitsIS12_E10value_typeET2_T3_PNS13_IS18_E10value_typeET4_jRbjT5_S1E_jjP12ihipStream_tbEUljE_ZNSN_ISO_Lb1ESQ_SR_ST_SU_SY_EESZ_S10_S11_S12_S16_S17_S18_S1B_S1C_jS1D_jS1E_S1E_jjS1G_bEUljE0_EEESZ_S10_S11_S18_S1C_S1E_T6_T7_T9_mT8_S1G_bDpT10_ENKUlT_T0_E_clISt17integral_constantIbLb0EES1U_EEDaS1P_S1Q_EUlS1P_E_NS1_11comp_targetILNS1_3genE10ELNS1_11target_archE1200ELNS1_3gpuE4ELNS1_3repE0EEENS1_30default_config_static_selectorELNS0_4arch9wavefront6targetE0EEEvS12_,@function
_ZN7rocprim17ROCPRIM_400000_NS6detail17trampoline_kernelINS0_13select_configILj256ELj13ELNS0_17block_load_methodE3ELS4_3ELS4_3ELNS0_20block_scan_algorithmE0ELj4294967295EEENS1_25partition_config_selectorILNS1_17partition_subalgoE4EjNS0_10empty_typeEbEEZZNS1_14partition_implILS8_4ELb0ES6_15HIP_vector_typeIjLj2EENS0_17counting_iteratorIjlEEPS9_SG_NS0_5tupleIJPjSI_NS0_16reverse_iteratorISI_EEEEENSH_IJSG_SG_SG_EEES9_SI_JZNS1_25segmented_radix_sort_implINS0_14default_configELb1EPKdPdPKlPlN2at6native12_GLOBAL__N_18offset_tEEE10hipError_tPvRmT1_PNSt15iterator_traitsIS12_E10value_typeET2_T3_PNS13_IS18_E10value_typeET4_jRbjT5_S1E_jjP12ihipStream_tbEUljE_ZNSN_ISO_Lb1ESQ_SR_ST_SU_SY_EESZ_S10_S11_S12_S16_S17_S18_S1B_S1C_jS1D_jS1E_S1E_jjS1G_bEUljE0_EEESZ_S10_S11_S18_S1C_S1E_T6_T7_T9_mT8_S1G_bDpT10_ENKUlT_T0_E_clISt17integral_constantIbLb0EES1U_EEDaS1P_S1Q_EUlS1P_E_NS1_11comp_targetILNS1_3genE10ELNS1_11target_archE1200ELNS1_3gpuE4ELNS1_3repE0EEENS1_30default_config_static_selectorELNS0_4arch9wavefront6targetE0EEEvS12_: ; @_ZN7rocprim17ROCPRIM_400000_NS6detail17trampoline_kernelINS0_13select_configILj256ELj13ELNS0_17block_load_methodE3ELS4_3ELS4_3ELNS0_20block_scan_algorithmE0ELj4294967295EEENS1_25partition_config_selectorILNS1_17partition_subalgoE4EjNS0_10empty_typeEbEEZZNS1_14partition_implILS8_4ELb0ES6_15HIP_vector_typeIjLj2EENS0_17counting_iteratorIjlEEPS9_SG_NS0_5tupleIJPjSI_NS0_16reverse_iteratorISI_EEEEENSH_IJSG_SG_SG_EEES9_SI_JZNS1_25segmented_radix_sort_implINS0_14default_configELb1EPKdPdPKlPlN2at6native12_GLOBAL__N_18offset_tEEE10hipError_tPvRmT1_PNSt15iterator_traitsIS12_E10value_typeET2_T3_PNS13_IS18_E10value_typeET4_jRbjT5_S1E_jjP12ihipStream_tbEUljE_ZNSN_ISO_Lb1ESQ_SR_ST_SU_SY_EESZ_S10_S11_S12_S16_S17_S18_S1B_S1C_jS1D_jS1E_S1E_jjS1G_bEUljE0_EEESZ_S10_S11_S18_S1C_S1E_T6_T7_T9_mT8_S1G_bDpT10_ENKUlT_T0_E_clISt17integral_constantIbLb0EES1U_EEDaS1P_S1Q_EUlS1P_E_NS1_11comp_targetILNS1_3genE10ELNS1_11target_archE1200ELNS1_3gpuE4ELNS1_3repE0EEENS1_30default_config_static_selectorELNS0_4arch9wavefront6targetE0EEEvS12_
; %bb.0:
	.section	.rodata,"a",@progbits
	.p2align	6, 0x0
	.amdhsa_kernel _ZN7rocprim17ROCPRIM_400000_NS6detail17trampoline_kernelINS0_13select_configILj256ELj13ELNS0_17block_load_methodE3ELS4_3ELS4_3ELNS0_20block_scan_algorithmE0ELj4294967295EEENS1_25partition_config_selectorILNS1_17partition_subalgoE4EjNS0_10empty_typeEbEEZZNS1_14partition_implILS8_4ELb0ES6_15HIP_vector_typeIjLj2EENS0_17counting_iteratorIjlEEPS9_SG_NS0_5tupleIJPjSI_NS0_16reverse_iteratorISI_EEEEENSH_IJSG_SG_SG_EEES9_SI_JZNS1_25segmented_radix_sort_implINS0_14default_configELb1EPKdPdPKlPlN2at6native12_GLOBAL__N_18offset_tEEE10hipError_tPvRmT1_PNSt15iterator_traitsIS12_E10value_typeET2_T3_PNS13_IS18_E10value_typeET4_jRbjT5_S1E_jjP12ihipStream_tbEUljE_ZNSN_ISO_Lb1ESQ_SR_ST_SU_SY_EESZ_S10_S11_S12_S16_S17_S18_S1B_S1C_jS1D_jS1E_S1E_jjS1G_bEUljE0_EEESZ_S10_S11_S18_S1C_S1E_T6_T7_T9_mT8_S1G_bDpT10_ENKUlT_T0_E_clISt17integral_constantIbLb0EES1U_EEDaS1P_S1Q_EUlS1P_E_NS1_11comp_targetILNS1_3genE10ELNS1_11target_archE1200ELNS1_3gpuE4ELNS1_3repE0EEENS1_30default_config_static_selectorELNS0_4arch9wavefront6targetE0EEEvS12_
		.amdhsa_group_segment_fixed_size 0
		.amdhsa_private_segment_fixed_size 0
		.amdhsa_kernarg_size 176
		.amdhsa_user_sgpr_count 2
		.amdhsa_user_sgpr_dispatch_ptr 0
		.amdhsa_user_sgpr_queue_ptr 0
		.amdhsa_user_sgpr_kernarg_segment_ptr 1
		.amdhsa_user_sgpr_dispatch_id 0
		.amdhsa_user_sgpr_kernarg_preload_length 0
		.amdhsa_user_sgpr_kernarg_preload_offset 0
		.amdhsa_user_sgpr_private_segment_size 0
		.amdhsa_wavefront_size32 1
		.amdhsa_uses_dynamic_stack 0
		.amdhsa_enable_private_segment 0
		.amdhsa_system_sgpr_workgroup_id_x 1
		.amdhsa_system_sgpr_workgroup_id_y 0
		.amdhsa_system_sgpr_workgroup_id_z 0
		.amdhsa_system_sgpr_workgroup_info 0
		.amdhsa_system_vgpr_workitem_id 0
		.amdhsa_next_free_vgpr 1
		.amdhsa_next_free_sgpr 1
		.amdhsa_named_barrier_count 0
		.amdhsa_reserve_vcc 0
		.amdhsa_float_round_mode_32 0
		.amdhsa_float_round_mode_16_64 0
		.amdhsa_float_denorm_mode_32 3
		.amdhsa_float_denorm_mode_16_64 3
		.amdhsa_fp16_overflow 0
		.amdhsa_memory_ordered 1
		.amdhsa_forward_progress 1
		.amdhsa_inst_pref_size 0
		.amdhsa_round_robin_scheduling 0
		.amdhsa_exception_fp_ieee_invalid_op 0
		.amdhsa_exception_fp_denorm_src 0
		.amdhsa_exception_fp_ieee_div_zero 0
		.amdhsa_exception_fp_ieee_overflow 0
		.amdhsa_exception_fp_ieee_underflow 0
		.amdhsa_exception_fp_ieee_inexact 0
		.amdhsa_exception_int_div_zero 0
	.end_amdhsa_kernel
	.section	.text._ZN7rocprim17ROCPRIM_400000_NS6detail17trampoline_kernelINS0_13select_configILj256ELj13ELNS0_17block_load_methodE3ELS4_3ELS4_3ELNS0_20block_scan_algorithmE0ELj4294967295EEENS1_25partition_config_selectorILNS1_17partition_subalgoE4EjNS0_10empty_typeEbEEZZNS1_14partition_implILS8_4ELb0ES6_15HIP_vector_typeIjLj2EENS0_17counting_iteratorIjlEEPS9_SG_NS0_5tupleIJPjSI_NS0_16reverse_iteratorISI_EEEEENSH_IJSG_SG_SG_EEES9_SI_JZNS1_25segmented_radix_sort_implINS0_14default_configELb1EPKdPdPKlPlN2at6native12_GLOBAL__N_18offset_tEEE10hipError_tPvRmT1_PNSt15iterator_traitsIS12_E10value_typeET2_T3_PNS13_IS18_E10value_typeET4_jRbjT5_S1E_jjP12ihipStream_tbEUljE_ZNSN_ISO_Lb1ESQ_SR_ST_SU_SY_EESZ_S10_S11_S12_S16_S17_S18_S1B_S1C_jS1D_jS1E_S1E_jjS1G_bEUljE0_EEESZ_S10_S11_S18_S1C_S1E_T6_T7_T9_mT8_S1G_bDpT10_ENKUlT_T0_E_clISt17integral_constantIbLb0EES1U_EEDaS1P_S1Q_EUlS1P_E_NS1_11comp_targetILNS1_3genE10ELNS1_11target_archE1200ELNS1_3gpuE4ELNS1_3repE0EEENS1_30default_config_static_selectorELNS0_4arch9wavefront6targetE0EEEvS12_,"axG",@progbits,_ZN7rocprim17ROCPRIM_400000_NS6detail17trampoline_kernelINS0_13select_configILj256ELj13ELNS0_17block_load_methodE3ELS4_3ELS4_3ELNS0_20block_scan_algorithmE0ELj4294967295EEENS1_25partition_config_selectorILNS1_17partition_subalgoE4EjNS0_10empty_typeEbEEZZNS1_14partition_implILS8_4ELb0ES6_15HIP_vector_typeIjLj2EENS0_17counting_iteratorIjlEEPS9_SG_NS0_5tupleIJPjSI_NS0_16reverse_iteratorISI_EEEEENSH_IJSG_SG_SG_EEES9_SI_JZNS1_25segmented_radix_sort_implINS0_14default_configELb1EPKdPdPKlPlN2at6native12_GLOBAL__N_18offset_tEEE10hipError_tPvRmT1_PNSt15iterator_traitsIS12_E10value_typeET2_T3_PNS13_IS18_E10value_typeET4_jRbjT5_S1E_jjP12ihipStream_tbEUljE_ZNSN_ISO_Lb1ESQ_SR_ST_SU_SY_EESZ_S10_S11_S12_S16_S17_S18_S1B_S1C_jS1D_jS1E_S1E_jjS1G_bEUljE0_EEESZ_S10_S11_S18_S1C_S1E_T6_T7_T9_mT8_S1G_bDpT10_ENKUlT_T0_E_clISt17integral_constantIbLb0EES1U_EEDaS1P_S1Q_EUlS1P_E_NS1_11comp_targetILNS1_3genE10ELNS1_11target_archE1200ELNS1_3gpuE4ELNS1_3repE0EEENS1_30default_config_static_selectorELNS0_4arch9wavefront6targetE0EEEvS12_,comdat
.Lfunc_end1053:
	.size	_ZN7rocprim17ROCPRIM_400000_NS6detail17trampoline_kernelINS0_13select_configILj256ELj13ELNS0_17block_load_methodE3ELS4_3ELS4_3ELNS0_20block_scan_algorithmE0ELj4294967295EEENS1_25partition_config_selectorILNS1_17partition_subalgoE4EjNS0_10empty_typeEbEEZZNS1_14partition_implILS8_4ELb0ES6_15HIP_vector_typeIjLj2EENS0_17counting_iteratorIjlEEPS9_SG_NS0_5tupleIJPjSI_NS0_16reverse_iteratorISI_EEEEENSH_IJSG_SG_SG_EEES9_SI_JZNS1_25segmented_radix_sort_implINS0_14default_configELb1EPKdPdPKlPlN2at6native12_GLOBAL__N_18offset_tEEE10hipError_tPvRmT1_PNSt15iterator_traitsIS12_E10value_typeET2_T3_PNS13_IS18_E10value_typeET4_jRbjT5_S1E_jjP12ihipStream_tbEUljE_ZNSN_ISO_Lb1ESQ_SR_ST_SU_SY_EESZ_S10_S11_S12_S16_S17_S18_S1B_S1C_jS1D_jS1E_S1E_jjS1G_bEUljE0_EEESZ_S10_S11_S18_S1C_S1E_T6_T7_T9_mT8_S1G_bDpT10_ENKUlT_T0_E_clISt17integral_constantIbLb0EES1U_EEDaS1P_S1Q_EUlS1P_E_NS1_11comp_targetILNS1_3genE10ELNS1_11target_archE1200ELNS1_3gpuE4ELNS1_3repE0EEENS1_30default_config_static_selectorELNS0_4arch9wavefront6targetE0EEEvS12_, .Lfunc_end1053-_ZN7rocprim17ROCPRIM_400000_NS6detail17trampoline_kernelINS0_13select_configILj256ELj13ELNS0_17block_load_methodE3ELS4_3ELS4_3ELNS0_20block_scan_algorithmE0ELj4294967295EEENS1_25partition_config_selectorILNS1_17partition_subalgoE4EjNS0_10empty_typeEbEEZZNS1_14partition_implILS8_4ELb0ES6_15HIP_vector_typeIjLj2EENS0_17counting_iteratorIjlEEPS9_SG_NS0_5tupleIJPjSI_NS0_16reverse_iteratorISI_EEEEENSH_IJSG_SG_SG_EEES9_SI_JZNS1_25segmented_radix_sort_implINS0_14default_configELb1EPKdPdPKlPlN2at6native12_GLOBAL__N_18offset_tEEE10hipError_tPvRmT1_PNSt15iterator_traitsIS12_E10value_typeET2_T3_PNS13_IS18_E10value_typeET4_jRbjT5_S1E_jjP12ihipStream_tbEUljE_ZNSN_ISO_Lb1ESQ_SR_ST_SU_SY_EESZ_S10_S11_S12_S16_S17_S18_S1B_S1C_jS1D_jS1E_S1E_jjS1G_bEUljE0_EEESZ_S10_S11_S18_S1C_S1E_T6_T7_T9_mT8_S1G_bDpT10_ENKUlT_T0_E_clISt17integral_constantIbLb0EES1U_EEDaS1P_S1Q_EUlS1P_E_NS1_11comp_targetILNS1_3genE10ELNS1_11target_archE1200ELNS1_3gpuE4ELNS1_3repE0EEENS1_30default_config_static_selectorELNS0_4arch9wavefront6targetE0EEEvS12_
                                        ; -- End function
	.set _ZN7rocprim17ROCPRIM_400000_NS6detail17trampoline_kernelINS0_13select_configILj256ELj13ELNS0_17block_load_methodE3ELS4_3ELS4_3ELNS0_20block_scan_algorithmE0ELj4294967295EEENS1_25partition_config_selectorILNS1_17partition_subalgoE4EjNS0_10empty_typeEbEEZZNS1_14partition_implILS8_4ELb0ES6_15HIP_vector_typeIjLj2EENS0_17counting_iteratorIjlEEPS9_SG_NS0_5tupleIJPjSI_NS0_16reverse_iteratorISI_EEEEENSH_IJSG_SG_SG_EEES9_SI_JZNS1_25segmented_radix_sort_implINS0_14default_configELb1EPKdPdPKlPlN2at6native12_GLOBAL__N_18offset_tEEE10hipError_tPvRmT1_PNSt15iterator_traitsIS12_E10value_typeET2_T3_PNS13_IS18_E10value_typeET4_jRbjT5_S1E_jjP12ihipStream_tbEUljE_ZNSN_ISO_Lb1ESQ_SR_ST_SU_SY_EESZ_S10_S11_S12_S16_S17_S18_S1B_S1C_jS1D_jS1E_S1E_jjS1G_bEUljE0_EEESZ_S10_S11_S18_S1C_S1E_T6_T7_T9_mT8_S1G_bDpT10_ENKUlT_T0_E_clISt17integral_constantIbLb0EES1U_EEDaS1P_S1Q_EUlS1P_E_NS1_11comp_targetILNS1_3genE10ELNS1_11target_archE1200ELNS1_3gpuE4ELNS1_3repE0EEENS1_30default_config_static_selectorELNS0_4arch9wavefront6targetE0EEEvS12_.num_vgpr, 0
	.set _ZN7rocprim17ROCPRIM_400000_NS6detail17trampoline_kernelINS0_13select_configILj256ELj13ELNS0_17block_load_methodE3ELS4_3ELS4_3ELNS0_20block_scan_algorithmE0ELj4294967295EEENS1_25partition_config_selectorILNS1_17partition_subalgoE4EjNS0_10empty_typeEbEEZZNS1_14partition_implILS8_4ELb0ES6_15HIP_vector_typeIjLj2EENS0_17counting_iteratorIjlEEPS9_SG_NS0_5tupleIJPjSI_NS0_16reverse_iteratorISI_EEEEENSH_IJSG_SG_SG_EEES9_SI_JZNS1_25segmented_radix_sort_implINS0_14default_configELb1EPKdPdPKlPlN2at6native12_GLOBAL__N_18offset_tEEE10hipError_tPvRmT1_PNSt15iterator_traitsIS12_E10value_typeET2_T3_PNS13_IS18_E10value_typeET4_jRbjT5_S1E_jjP12ihipStream_tbEUljE_ZNSN_ISO_Lb1ESQ_SR_ST_SU_SY_EESZ_S10_S11_S12_S16_S17_S18_S1B_S1C_jS1D_jS1E_S1E_jjS1G_bEUljE0_EEESZ_S10_S11_S18_S1C_S1E_T6_T7_T9_mT8_S1G_bDpT10_ENKUlT_T0_E_clISt17integral_constantIbLb0EES1U_EEDaS1P_S1Q_EUlS1P_E_NS1_11comp_targetILNS1_3genE10ELNS1_11target_archE1200ELNS1_3gpuE4ELNS1_3repE0EEENS1_30default_config_static_selectorELNS0_4arch9wavefront6targetE0EEEvS12_.num_agpr, 0
	.set _ZN7rocprim17ROCPRIM_400000_NS6detail17trampoline_kernelINS0_13select_configILj256ELj13ELNS0_17block_load_methodE3ELS4_3ELS4_3ELNS0_20block_scan_algorithmE0ELj4294967295EEENS1_25partition_config_selectorILNS1_17partition_subalgoE4EjNS0_10empty_typeEbEEZZNS1_14partition_implILS8_4ELb0ES6_15HIP_vector_typeIjLj2EENS0_17counting_iteratorIjlEEPS9_SG_NS0_5tupleIJPjSI_NS0_16reverse_iteratorISI_EEEEENSH_IJSG_SG_SG_EEES9_SI_JZNS1_25segmented_radix_sort_implINS0_14default_configELb1EPKdPdPKlPlN2at6native12_GLOBAL__N_18offset_tEEE10hipError_tPvRmT1_PNSt15iterator_traitsIS12_E10value_typeET2_T3_PNS13_IS18_E10value_typeET4_jRbjT5_S1E_jjP12ihipStream_tbEUljE_ZNSN_ISO_Lb1ESQ_SR_ST_SU_SY_EESZ_S10_S11_S12_S16_S17_S18_S1B_S1C_jS1D_jS1E_S1E_jjS1G_bEUljE0_EEESZ_S10_S11_S18_S1C_S1E_T6_T7_T9_mT8_S1G_bDpT10_ENKUlT_T0_E_clISt17integral_constantIbLb0EES1U_EEDaS1P_S1Q_EUlS1P_E_NS1_11comp_targetILNS1_3genE10ELNS1_11target_archE1200ELNS1_3gpuE4ELNS1_3repE0EEENS1_30default_config_static_selectorELNS0_4arch9wavefront6targetE0EEEvS12_.numbered_sgpr, 0
	.set _ZN7rocprim17ROCPRIM_400000_NS6detail17trampoline_kernelINS0_13select_configILj256ELj13ELNS0_17block_load_methodE3ELS4_3ELS4_3ELNS0_20block_scan_algorithmE0ELj4294967295EEENS1_25partition_config_selectorILNS1_17partition_subalgoE4EjNS0_10empty_typeEbEEZZNS1_14partition_implILS8_4ELb0ES6_15HIP_vector_typeIjLj2EENS0_17counting_iteratorIjlEEPS9_SG_NS0_5tupleIJPjSI_NS0_16reverse_iteratorISI_EEEEENSH_IJSG_SG_SG_EEES9_SI_JZNS1_25segmented_radix_sort_implINS0_14default_configELb1EPKdPdPKlPlN2at6native12_GLOBAL__N_18offset_tEEE10hipError_tPvRmT1_PNSt15iterator_traitsIS12_E10value_typeET2_T3_PNS13_IS18_E10value_typeET4_jRbjT5_S1E_jjP12ihipStream_tbEUljE_ZNSN_ISO_Lb1ESQ_SR_ST_SU_SY_EESZ_S10_S11_S12_S16_S17_S18_S1B_S1C_jS1D_jS1E_S1E_jjS1G_bEUljE0_EEESZ_S10_S11_S18_S1C_S1E_T6_T7_T9_mT8_S1G_bDpT10_ENKUlT_T0_E_clISt17integral_constantIbLb0EES1U_EEDaS1P_S1Q_EUlS1P_E_NS1_11comp_targetILNS1_3genE10ELNS1_11target_archE1200ELNS1_3gpuE4ELNS1_3repE0EEENS1_30default_config_static_selectorELNS0_4arch9wavefront6targetE0EEEvS12_.num_named_barrier, 0
	.set _ZN7rocprim17ROCPRIM_400000_NS6detail17trampoline_kernelINS0_13select_configILj256ELj13ELNS0_17block_load_methodE3ELS4_3ELS4_3ELNS0_20block_scan_algorithmE0ELj4294967295EEENS1_25partition_config_selectorILNS1_17partition_subalgoE4EjNS0_10empty_typeEbEEZZNS1_14partition_implILS8_4ELb0ES6_15HIP_vector_typeIjLj2EENS0_17counting_iteratorIjlEEPS9_SG_NS0_5tupleIJPjSI_NS0_16reverse_iteratorISI_EEEEENSH_IJSG_SG_SG_EEES9_SI_JZNS1_25segmented_radix_sort_implINS0_14default_configELb1EPKdPdPKlPlN2at6native12_GLOBAL__N_18offset_tEEE10hipError_tPvRmT1_PNSt15iterator_traitsIS12_E10value_typeET2_T3_PNS13_IS18_E10value_typeET4_jRbjT5_S1E_jjP12ihipStream_tbEUljE_ZNSN_ISO_Lb1ESQ_SR_ST_SU_SY_EESZ_S10_S11_S12_S16_S17_S18_S1B_S1C_jS1D_jS1E_S1E_jjS1G_bEUljE0_EEESZ_S10_S11_S18_S1C_S1E_T6_T7_T9_mT8_S1G_bDpT10_ENKUlT_T0_E_clISt17integral_constantIbLb0EES1U_EEDaS1P_S1Q_EUlS1P_E_NS1_11comp_targetILNS1_3genE10ELNS1_11target_archE1200ELNS1_3gpuE4ELNS1_3repE0EEENS1_30default_config_static_selectorELNS0_4arch9wavefront6targetE0EEEvS12_.private_seg_size, 0
	.set _ZN7rocprim17ROCPRIM_400000_NS6detail17trampoline_kernelINS0_13select_configILj256ELj13ELNS0_17block_load_methodE3ELS4_3ELS4_3ELNS0_20block_scan_algorithmE0ELj4294967295EEENS1_25partition_config_selectorILNS1_17partition_subalgoE4EjNS0_10empty_typeEbEEZZNS1_14partition_implILS8_4ELb0ES6_15HIP_vector_typeIjLj2EENS0_17counting_iteratorIjlEEPS9_SG_NS0_5tupleIJPjSI_NS0_16reverse_iteratorISI_EEEEENSH_IJSG_SG_SG_EEES9_SI_JZNS1_25segmented_radix_sort_implINS0_14default_configELb1EPKdPdPKlPlN2at6native12_GLOBAL__N_18offset_tEEE10hipError_tPvRmT1_PNSt15iterator_traitsIS12_E10value_typeET2_T3_PNS13_IS18_E10value_typeET4_jRbjT5_S1E_jjP12ihipStream_tbEUljE_ZNSN_ISO_Lb1ESQ_SR_ST_SU_SY_EESZ_S10_S11_S12_S16_S17_S18_S1B_S1C_jS1D_jS1E_S1E_jjS1G_bEUljE0_EEESZ_S10_S11_S18_S1C_S1E_T6_T7_T9_mT8_S1G_bDpT10_ENKUlT_T0_E_clISt17integral_constantIbLb0EES1U_EEDaS1P_S1Q_EUlS1P_E_NS1_11comp_targetILNS1_3genE10ELNS1_11target_archE1200ELNS1_3gpuE4ELNS1_3repE0EEENS1_30default_config_static_selectorELNS0_4arch9wavefront6targetE0EEEvS12_.uses_vcc, 0
	.set _ZN7rocprim17ROCPRIM_400000_NS6detail17trampoline_kernelINS0_13select_configILj256ELj13ELNS0_17block_load_methodE3ELS4_3ELS4_3ELNS0_20block_scan_algorithmE0ELj4294967295EEENS1_25partition_config_selectorILNS1_17partition_subalgoE4EjNS0_10empty_typeEbEEZZNS1_14partition_implILS8_4ELb0ES6_15HIP_vector_typeIjLj2EENS0_17counting_iteratorIjlEEPS9_SG_NS0_5tupleIJPjSI_NS0_16reverse_iteratorISI_EEEEENSH_IJSG_SG_SG_EEES9_SI_JZNS1_25segmented_radix_sort_implINS0_14default_configELb1EPKdPdPKlPlN2at6native12_GLOBAL__N_18offset_tEEE10hipError_tPvRmT1_PNSt15iterator_traitsIS12_E10value_typeET2_T3_PNS13_IS18_E10value_typeET4_jRbjT5_S1E_jjP12ihipStream_tbEUljE_ZNSN_ISO_Lb1ESQ_SR_ST_SU_SY_EESZ_S10_S11_S12_S16_S17_S18_S1B_S1C_jS1D_jS1E_S1E_jjS1G_bEUljE0_EEESZ_S10_S11_S18_S1C_S1E_T6_T7_T9_mT8_S1G_bDpT10_ENKUlT_T0_E_clISt17integral_constantIbLb0EES1U_EEDaS1P_S1Q_EUlS1P_E_NS1_11comp_targetILNS1_3genE10ELNS1_11target_archE1200ELNS1_3gpuE4ELNS1_3repE0EEENS1_30default_config_static_selectorELNS0_4arch9wavefront6targetE0EEEvS12_.uses_flat_scratch, 0
	.set _ZN7rocprim17ROCPRIM_400000_NS6detail17trampoline_kernelINS0_13select_configILj256ELj13ELNS0_17block_load_methodE3ELS4_3ELS4_3ELNS0_20block_scan_algorithmE0ELj4294967295EEENS1_25partition_config_selectorILNS1_17partition_subalgoE4EjNS0_10empty_typeEbEEZZNS1_14partition_implILS8_4ELb0ES6_15HIP_vector_typeIjLj2EENS0_17counting_iteratorIjlEEPS9_SG_NS0_5tupleIJPjSI_NS0_16reverse_iteratorISI_EEEEENSH_IJSG_SG_SG_EEES9_SI_JZNS1_25segmented_radix_sort_implINS0_14default_configELb1EPKdPdPKlPlN2at6native12_GLOBAL__N_18offset_tEEE10hipError_tPvRmT1_PNSt15iterator_traitsIS12_E10value_typeET2_T3_PNS13_IS18_E10value_typeET4_jRbjT5_S1E_jjP12ihipStream_tbEUljE_ZNSN_ISO_Lb1ESQ_SR_ST_SU_SY_EESZ_S10_S11_S12_S16_S17_S18_S1B_S1C_jS1D_jS1E_S1E_jjS1G_bEUljE0_EEESZ_S10_S11_S18_S1C_S1E_T6_T7_T9_mT8_S1G_bDpT10_ENKUlT_T0_E_clISt17integral_constantIbLb0EES1U_EEDaS1P_S1Q_EUlS1P_E_NS1_11comp_targetILNS1_3genE10ELNS1_11target_archE1200ELNS1_3gpuE4ELNS1_3repE0EEENS1_30default_config_static_selectorELNS0_4arch9wavefront6targetE0EEEvS12_.has_dyn_sized_stack, 0
	.set _ZN7rocprim17ROCPRIM_400000_NS6detail17trampoline_kernelINS0_13select_configILj256ELj13ELNS0_17block_load_methodE3ELS4_3ELS4_3ELNS0_20block_scan_algorithmE0ELj4294967295EEENS1_25partition_config_selectorILNS1_17partition_subalgoE4EjNS0_10empty_typeEbEEZZNS1_14partition_implILS8_4ELb0ES6_15HIP_vector_typeIjLj2EENS0_17counting_iteratorIjlEEPS9_SG_NS0_5tupleIJPjSI_NS0_16reverse_iteratorISI_EEEEENSH_IJSG_SG_SG_EEES9_SI_JZNS1_25segmented_radix_sort_implINS0_14default_configELb1EPKdPdPKlPlN2at6native12_GLOBAL__N_18offset_tEEE10hipError_tPvRmT1_PNSt15iterator_traitsIS12_E10value_typeET2_T3_PNS13_IS18_E10value_typeET4_jRbjT5_S1E_jjP12ihipStream_tbEUljE_ZNSN_ISO_Lb1ESQ_SR_ST_SU_SY_EESZ_S10_S11_S12_S16_S17_S18_S1B_S1C_jS1D_jS1E_S1E_jjS1G_bEUljE0_EEESZ_S10_S11_S18_S1C_S1E_T6_T7_T9_mT8_S1G_bDpT10_ENKUlT_T0_E_clISt17integral_constantIbLb0EES1U_EEDaS1P_S1Q_EUlS1P_E_NS1_11comp_targetILNS1_3genE10ELNS1_11target_archE1200ELNS1_3gpuE4ELNS1_3repE0EEENS1_30default_config_static_selectorELNS0_4arch9wavefront6targetE0EEEvS12_.has_recursion, 0
	.set _ZN7rocprim17ROCPRIM_400000_NS6detail17trampoline_kernelINS0_13select_configILj256ELj13ELNS0_17block_load_methodE3ELS4_3ELS4_3ELNS0_20block_scan_algorithmE0ELj4294967295EEENS1_25partition_config_selectorILNS1_17partition_subalgoE4EjNS0_10empty_typeEbEEZZNS1_14partition_implILS8_4ELb0ES6_15HIP_vector_typeIjLj2EENS0_17counting_iteratorIjlEEPS9_SG_NS0_5tupleIJPjSI_NS0_16reverse_iteratorISI_EEEEENSH_IJSG_SG_SG_EEES9_SI_JZNS1_25segmented_radix_sort_implINS0_14default_configELb1EPKdPdPKlPlN2at6native12_GLOBAL__N_18offset_tEEE10hipError_tPvRmT1_PNSt15iterator_traitsIS12_E10value_typeET2_T3_PNS13_IS18_E10value_typeET4_jRbjT5_S1E_jjP12ihipStream_tbEUljE_ZNSN_ISO_Lb1ESQ_SR_ST_SU_SY_EESZ_S10_S11_S12_S16_S17_S18_S1B_S1C_jS1D_jS1E_S1E_jjS1G_bEUljE0_EEESZ_S10_S11_S18_S1C_S1E_T6_T7_T9_mT8_S1G_bDpT10_ENKUlT_T0_E_clISt17integral_constantIbLb0EES1U_EEDaS1P_S1Q_EUlS1P_E_NS1_11comp_targetILNS1_3genE10ELNS1_11target_archE1200ELNS1_3gpuE4ELNS1_3repE0EEENS1_30default_config_static_selectorELNS0_4arch9wavefront6targetE0EEEvS12_.has_indirect_call, 0
	.section	.AMDGPU.csdata,"",@progbits
; Kernel info:
; codeLenInByte = 0
; TotalNumSgprs: 0
; NumVgprs: 0
; ScratchSize: 0
; MemoryBound: 0
; FloatMode: 240
; IeeeMode: 1
; LDSByteSize: 0 bytes/workgroup (compile time only)
; SGPRBlocks: 0
; VGPRBlocks: 0
; NumSGPRsForWavesPerEU: 1
; NumVGPRsForWavesPerEU: 1
; NamedBarCnt: 0
; Occupancy: 16
; WaveLimiterHint : 0
; COMPUTE_PGM_RSRC2:SCRATCH_EN: 0
; COMPUTE_PGM_RSRC2:USER_SGPR: 2
; COMPUTE_PGM_RSRC2:TRAP_HANDLER: 0
; COMPUTE_PGM_RSRC2:TGID_X_EN: 1
; COMPUTE_PGM_RSRC2:TGID_Y_EN: 0
; COMPUTE_PGM_RSRC2:TGID_Z_EN: 0
; COMPUTE_PGM_RSRC2:TIDIG_COMP_CNT: 0
	.section	.text._ZN7rocprim17ROCPRIM_400000_NS6detail17trampoline_kernelINS0_13select_configILj256ELj13ELNS0_17block_load_methodE3ELS4_3ELS4_3ELNS0_20block_scan_algorithmE0ELj4294967295EEENS1_25partition_config_selectorILNS1_17partition_subalgoE4EjNS0_10empty_typeEbEEZZNS1_14partition_implILS8_4ELb0ES6_15HIP_vector_typeIjLj2EENS0_17counting_iteratorIjlEEPS9_SG_NS0_5tupleIJPjSI_NS0_16reverse_iteratorISI_EEEEENSH_IJSG_SG_SG_EEES9_SI_JZNS1_25segmented_radix_sort_implINS0_14default_configELb1EPKdPdPKlPlN2at6native12_GLOBAL__N_18offset_tEEE10hipError_tPvRmT1_PNSt15iterator_traitsIS12_E10value_typeET2_T3_PNS13_IS18_E10value_typeET4_jRbjT5_S1E_jjP12ihipStream_tbEUljE_ZNSN_ISO_Lb1ESQ_SR_ST_SU_SY_EESZ_S10_S11_S12_S16_S17_S18_S1B_S1C_jS1D_jS1E_S1E_jjS1G_bEUljE0_EEESZ_S10_S11_S18_S1C_S1E_T6_T7_T9_mT8_S1G_bDpT10_ENKUlT_T0_E_clISt17integral_constantIbLb0EES1U_EEDaS1P_S1Q_EUlS1P_E_NS1_11comp_targetILNS1_3genE9ELNS1_11target_archE1100ELNS1_3gpuE3ELNS1_3repE0EEENS1_30default_config_static_selectorELNS0_4arch9wavefront6targetE0EEEvS12_,"axG",@progbits,_ZN7rocprim17ROCPRIM_400000_NS6detail17trampoline_kernelINS0_13select_configILj256ELj13ELNS0_17block_load_methodE3ELS4_3ELS4_3ELNS0_20block_scan_algorithmE0ELj4294967295EEENS1_25partition_config_selectorILNS1_17partition_subalgoE4EjNS0_10empty_typeEbEEZZNS1_14partition_implILS8_4ELb0ES6_15HIP_vector_typeIjLj2EENS0_17counting_iteratorIjlEEPS9_SG_NS0_5tupleIJPjSI_NS0_16reverse_iteratorISI_EEEEENSH_IJSG_SG_SG_EEES9_SI_JZNS1_25segmented_radix_sort_implINS0_14default_configELb1EPKdPdPKlPlN2at6native12_GLOBAL__N_18offset_tEEE10hipError_tPvRmT1_PNSt15iterator_traitsIS12_E10value_typeET2_T3_PNS13_IS18_E10value_typeET4_jRbjT5_S1E_jjP12ihipStream_tbEUljE_ZNSN_ISO_Lb1ESQ_SR_ST_SU_SY_EESZ_S10_S11_S12_S16_S17_S18_S1B_S1C_jS1D_jS1E_S1E_jjS1G_bEUljE0_EEESZ_S10_S11_S18_S1C_S1E_T6_T7_T9_mT8_S1G_bDpT10_ENKUlT_T0_E_clISt17integral_constantIbLb0EES1U_EEDaS1P_S1Q_EUlS1P_E_NS1_11comp_targetILNS1_3genE9ELNS1_11target_archE1100ELNS1_3gpuE3ELNS1_3repE0EEENS1_30default_config_static_selectorELNS0_4arch9wavefront6targetE0EEEvS12_,comdat
	.globl	_ZN7rocprim17ROCPRIM_400000_NS6detail17trampoline_kernelINS0_13select_configILj256ELj13ELNS0_17block_load_methodE3ELS4_3ELS4_3ELNS0_20block_scan_algorithmE0ELj4294967295EEENS1_25partition_config_selectorILNS1_17partition_subalgoE4EjNS0_10empty_typeEbEEZZNS1_14partition_implILS8_4ELb0ES6_15HIP_vector_typeIjLj2EENS0_17counting_iteratorIjlEEPS9_SG_NS0_5tupleIJPjSI_NS0_16reverse_iteratorISI_EEEEENSH_IJSG_SG_SG_EEES9_SI_JZNS1_25segmented_radix_sort_implINS0_14default_configELb1EPKdPdPKlPlN2at6native12_GLOBAL__N_18offset_tEEE10hipError_tPvRmT1_PNSt15iterator_traitsIS12_E10value_typeET2_T3_PNS13_IS18_E10value_typeET4_jRbjT5_S1E_jjP12ihipStream_tbEUljE_ZNSN_ISO_Lb1ESQ_SR_ST_SU_SY_EESZ_S10_S11_S12_S16_S17_S18_S1B_S1C_jS1D_jS1E_S1E_jjS1G_bEUljE0_EEESZ_S10_S11_S18_S1C_S1E_T6_T7_T9_mT8_S1G_bDpT10_ENKUlT_T0_E_clISt17integral_constantIbLb0EES1U_EEDaS1P_S1Q_EUlS1P_E_NS1_11comp_targetILNS1_3genE9ELNS1_11target_archE1100ELNS1_3gpuE3ELNS1_3repE0EEENS1_30default_config_static_selectorELNS0_4arch9wavefront6targetE0EEEvS12_ ; -- Begin function _ZN7rocprim17ROCPRIM_400000_NS6detail17trampoline_kernelINS0_13select_configILj256ELj13ELNS0_17block_load_methodE3ELS4_3ELS4_3ELNS0_20block_scan_algorithmE0ELj4294967295EEENS1_25partition_config_selectorILNS1_17partition_subalgoE4EjNS0_10empty_typeEbEEZZNS1_14partition_implILS8_4ELb0ES6_15HIP_vector_typeIjLj2EENS0_17counting_iteratorIjlEEPS9_SG_NS0_5tupleIJPjSI_NS0_16reverse_iteratorISI_EEEEENSH_IJSG_SG_SG_EEES9_SI_JZNS1_25segmented_radix_sort_implINS0_14default_configELb1EPKdPdPKlPlN2at6native12_GLOBAL__N_18offset_tEEE10hipError_tPvRmT1_PNSt15iterator_traitsIS12_E10value_typeET2_T3_PNS13_IS18_E10value_typeET4_jRbjT5_S1E_jjP12ihipStream_tbEUljE_ZNSN_ISO_Lb1ESQ_SR_ST_SU_SY_EESZ_S10_S11_S12_S16_S17_S18_S1B_S1C_jS1D_jS1E_S1E_jjS1G_bEUljE0_EEESZ_S10_S11_S18_S1C_S1E_T6_T7_T9_mT8_S1G_bDpT10_ENKUlT_T0_E_clISt17integral_constantIbLb0EES1U_EEDaS1P_S1Q_EUlS1P_E_NS1_11comp_targetILNS1_3genE9ELNS1_11target_archE1100ELNS1_3gpuE3ELNS1_3repE0EEENS1_30default_config_static_selectorELNS0_4arch9wavefront6targetE0EEEvS12_
	.p2align	8
	.type	_ZN7rocprim17ROCPRIM_400000_NS6detail17trampoline_kernelINS0_13select_configILj256ELj13ELNS0_17block_load_methodE3ELS4_3ELS4_3ELNS0_20block_scan_algorithmE0ELj4294967295EEENS1_25partition_config_selectorILNS1_17partition_subalgoE4EjNS0_10empty_typeEbEEZZNS1_14partition_implILS8_4ELb0ES6_15HIP_vector_typeIjLj2EENS0_17counting_iteratorIjlEEPS9_SG_NS0_5tupleIJPjSI_NS0_16reverse_iteratorISI_EEEEENSH_IJSG_SG_SG_EEES9_SI_JZNS1_25segmented_radix_sort_implINS0_14default_configELb1EPKdPdPKlPlN2at6native12_GLOBAL__N_18offset_tEEE10hipError_tPvRmT1_PNSt15iterator_traitsIS12_E10value_typeET2_T3_PNS13_IS18_E10value_typeET4_jRbjT5_S1E_jjP12ihipStream_tbEUljE_ZNSN_ISO_Lb1ESQ_SR_ST_SU_SY_EESZ_S10_S11_S12_S16_S17_S18_S1B_S1C_jS1D_jS1E_S1E_jjS1G_bEUljE0_EEESZ_S10_S11_S18_S1C_S1E_T6_T7_T9_mT8_S1G_bDpT10_ENKUlT_T0_E_clISt17integral_constantIbLb0EES1U_EEDaS1P_S1Q_EUlS1P_E_NS1_11comp_targetILNS1_3genE9ELNS1_11target_archE1100ELNS1_3gpuE3ELNS1_3repE0EEENS1_30default_config_static_selectorELNS0_4arch9wavefront6targetE0EEEvS12_,@function
_ZN7rocprim17ROCPRIM_400000_NS6detail17trampoline_kernelINS0_13select_configILj256ELj13ELNS0_17block_load_methodE3ELS4_3ELS4_3ELNS0_20block_scan_algorithmE0ELj4294967295EEENS1_25partition_config_selectorILNS1_17partition_subalgoE4EjNS0_10empty_typeEbEEZZNS1_14partition_implILS8_4ELb0ES6_15HIP_vector_typeIjLj2EENS0_17counting_iteratorIjlEEPS9_SG_NS0_5tupleIJPjSI_NS0_16reverse_iteratorISI_EEEEENSH_IJSG_SG_SG_EEES9_SI_JZNS1_25segmented_radix_sort_implINS0_14default_configELb1EPKdPdPKlPlN2at6native12_GLOBAL__N_18offset_tEEE10hipError_tPvRmT1_PNSt15iterator_traitsIS12_E10value_typeET2_T3_PNS13_IS18_E10value_typeET4_jRbjT5_S1E_jjP12ihipStream_tbEUljE_ZNSN_ISO_Lb1ESQ_SR_ST_SU_SY_EESZ_S10_S11_S12_S16_S17_S18_S1B_S1C_jS1D_jS1E_S1E_jjS1G_bEUljE0_EEESZ_S10_S11_S18_S1C_S1E_T6_T7_T9_mT8_S1G_bDpT10_ENKUlT_T0_E_clISt17integral_constantIbLb0EES1U_EEDaS1P_S1Q_EUlS1P_E_NS1_11comp_targetILNS1_3genE9ELNS1_11target_archE1100ELNS1_3gpuE3ELNS1_3repE0EEENS1_30default_config_static_selectorELNS0_4arch9wavefront6targetE0EEEvS12_: ; @_ZN7rocprim17ROCPRIM_400000_NS6detail17trampoline_kernelINS0_13select_configILj256ELj13ELNS0_17block_load_methodE3ELS4_3ELS4_3ELNS0_20block_scan_algorithmE0ELj4294967295EEENS1_25partition_config_selectorILNS1_17partition_subalgoE4EjNS0_10empty_typeEbEEZZNS1_14partition_implILS8_4ELb0ES6_15HIP_vector_typeIjLj2EENS0_17counting_iteratorIjlEEPS9_SG_NS0_5tupleIJPjSI_NS0_16reverse_iteratorISI_EEEEENSH_IJSG_SG_SG_EEES9_SI_JZNS1_25segmented_radix_sort_implINS0_14default_configELb1EPKdPdPKlPlN2at6native12_GLOBAL__N_18offset_tEEE10hipError_tPvRmT1_PNSt15iterator_traitsIS12_E10value_typeET2_T3_PNS13_IS18_E10value_typeET4_jRbjT5_S1E_jjP12ihipStream_tbEUljE_ZNSN_ISO_Lb1ESQ_SR_ST_SU_SY_EESZ_S10_S11_S12_S16_S17_S18_S1B_S1C_jS1D_jS1E_S1E_jjS1G_bEUljE0_EEESZ_S10_S11_S18_S1C_S1E_T6_T7_T9_mT8_S1G_bDpT10_ENKUlT_T0_E_clISt17integral_constantIbLb0EES1U_EEDaS1P_S1Q_EUlS1P_E_NS1_11comp_targetILNS1_3genE9ELNS1_11target_archE1100ELNS1_3gpuE3ELNS1_3repE0EEENS1_30default_config_static_selectorELNS0_4arch9wavefront6targetE0EEEvS12_
; %bb.0:
	.section	.rodata,"a",@progbits
	.p2align	6, 0x0
	.amdhsa_kernel _ZN7rocprim17ROCPRIM_400000_NS6detail17trampoline_kernelINS0_13select_configILj256ELj13ELNS0_17block_load_methodE3ELS4_3ELS4_3ELNS0_20block_scan_algorithmE0ELj4294967295EEENS1_25partition_config_selectorILNS1_17partition_subalgoE4EjNS0_10empty_typeEbEEZZNS1_14partition_implILS8_4ELb0ES6_15HIP_vector_typeIjLj2EENS0_17counting_iteratorIjlEEPS9_SG_NS0_5tupleIJPjSI_NS0_16reverse_iteratorISI_EEEEENSH_IJSG_SG_SG_EEES9_SI_JZNS1_25segmented_radix_sort_implINS0_14default_configELb1EPKdPdPKlPlN2at6native12_GLOBAL__N_18offset_tEEE10hipError_tPvRmT1_PNSt15iterator_traitsIS12_E10value_typeET2_T3_PNS13_IS18_E10value_typeET4_jRbjT5_S1E_jjP12ihipStream_tbEUljE_ZNSN_ISO_Lb1ESQ_SR_ST_SU_SY_EESZ_S10_S11_S12_S16_S17_S18_S1B_S1C_jS1D_jS1E_S1E_jjS1G_bEUljE0_EEESZ_S10_S11_S18_S1C_S1E_T6_T7_T9_mT8_S1G_bDpT10_ENKUlT_T0_E_clISt17integral_constantIbLb0EES1U_EEDaS1P_S1Q_EUlS1P_E_NS1_11comp_targetILNS1_3genE9ELNS1_11target_archE1100ELNS1_3gpuE3ELNS1_3repE0EEENS1_30default_config_static_selectorELNS0_4arch9wavefront6targetE0EEEvS12_
		.amdhsa_group_segment_fixed_size 0
		.amdhsa_private_segment_fixed_size 0
		.amdhsa_kernarg_size 176
		.amdhsa_user_sgpr_count 2
		.amdhsa_user_sgpr_dispatch_ptr 0
		.amdhsa_user_sgpr_queue_ptr 0
		.amdhsa_user_sgpr_kernarg_segment_ptr 1
		.amdhsa_user_sgpr_dispatch_id 0
		.amdhsa_user_sgpr_kernarg_preload_length 0
		.amdhsa_user_sgpr_kernarg_preload_offset 0
		.amdhsa_user_sgpr_private_segment_size 0
		.amdhsa_wavefront_size32 1
		.amdhsa_uses_dynamic_stack 0
		.amdhsa_enable_private_segment 0
		.amdhsa_system_sgpr_workgroup_id_x 1
		.amdhsa_system_sgpr_workgroup_id_y 0
		.amdhsa_system_sgpr_workgroup_id_z 0
		.amdhsa_system_sgpr_workgroup_info 0
		.amdhsa_system_vgpr_workitem_id 0
		.amdhsa_next_free_vgpr 1
		.amdhsa_next_free_sgpr 1
		.amdhsa_named_barrier_count 0
		.amdhsa_reserve_vcc 0
		.amdhsa_float_round_mode_32 0
		.amdhsa_float_round_mode_16_64 0
		.amdhsa_float_denorm_mode_32 3
		.amdhsa_float_denorm_mode_16_64 3
		.amdhsa_fp16_overflow 0
		.amdhsa_memory_ordered 1
		.amdhsa_forward_progress 1
		.amdhsa_inst_pref_size 0
		.amdhsa_round_robin_scheduling 0
		.amdhsa_exception_fp_ieee_invalid_op 0
		.amdhsa_exception_fp_denorm_src 0
		.amdhsa_exception_fp_ieee_div_zero 0
		.amdhsa_exception_fp_ieee_overflow 0
		.amdhsa_exception_fp_ieee_underflow 0
		.amdhsa_exception_fp_ieee_inexact 0
		.amdhsa_exception_int_div_zero 0
	.end_amdhsa_kernel
	.section	.text._ZN7rocprim17ROCPRIM_400000_NS6detail17trampoline_kernelINS0_13select_configILj256ELj13ELNS0_17block_load_methodE3ELS4_3ELS4_3ELNS0_20block_scan_algorithmE0ELj4294967295EEENS1_25partition_config_selectorILNS1_17partition_subalgoE4EjNS0_10empty_typeEbEEZZNS1_14partition_implILS8_4ELb0ES6_15HIP_vector_typeIjLj2EENS0_17counting_iteratorIjlEEPS9_SG_NS0_5tupleIJPjSI_NS0_16reverse_iteratorISI_EEEEENSH_IJSG_SG_SG_EEES9_SI_JZNS1_25segmented_radix_sort_implINS0_14default_configELb1EPKdPdPKlPlN2at6native12_GLOBAL__N_18offset_tEEE10hipError_tPvRmT1_PNSt15iterator_traitsIS12_E10value_typeET2_T3_PNS13_IS18_E10value_typeET4_jRbjT5_S1E_jjP12ihipStream_tbEUljE_ZNSN_ISO_Lb1ESQ_SR_ST_SU_SY_EESZ_S10_S11_S12_S16_S17_S18_S1B_S1C_jS1D_jS1E_S1E_jjS1G_bEUljE0_EEESZ_S10_S11_S18_S1C_S1E_T6_T7_T9_mT8_S1G_bDpT10_ENKUlT_T0_E_clISt17integral_constantIbLb0EES1U_EEDaS1P_S1Q_EUlS1P_E_NS1_11comp_targetILNS1_3genE9ELNS1_11target_archE1100ELNS1_3gpuE3ELNS1_3repE0EEENS1_30default_config_static_selectorELNS0_4arch9wavefront6targetE0EEEvS12_,"axG",@progbits,_ZN7rocprim17ROCPRIM_400000_NS6detail17trampoline_kernelINS0_13select_configILj256ELj13ELNS0_17block_load_methodE3ELS4_3ELS4_3ELNS0_20block_scan_algorithmE0ELj4294967295EEENS1_25partition_config_selectorILNS1_17partition_subalgoE4EjNS0_10empty_typeEbEEZZNS1_14partition_implILS8_4ELb0ES6_15HIP_vector_typeIjLj2EENS0_17counting_iteratorIjlEEPS9_SG_NS0_5tupleIJPjSI_NS0_16reverse_iteratorISI_EEEEENSH_IJSG_SG_SG_EEES9_SI_JZNS1_25segmented_radix_sort_implINS0_14default_configELb1EPKdPdPKlPlN2at6native12_GLOBAL__N_18offset_tEEE10hipError_tPvRmT1_PNSt15iterator_traitsIS12_E10value_typeET2_T3_PNS13_IS18_E10value_typeET4_jRbjT5_S1E_jjP12ihipStream_tbEUljE_ZNSN_ISO_Lb1ESQ_SR_ST_SU_SY_EESZ_S10_S11_S12_S16_S17_S18_S1B_S1C_jS1D_jS1E_S1E_jjS1G_bEUljE0_EEESZ_S10_S11_S18_S1C_S1E_T6_T7_T9_mT8_S1G_bDpT10_ENKUlT_T0_E_clISt17integral_constantIbLb0EES1U_EEDaS1P_S1Q_EUlS1P_E_NS1_11comp_targetILNS1_3genE9ELNS1_11target_archE1100ELNS1_3gpuE3ELNS1_3repE0EEENS1_30default_config_static_selectorELNS0_4arch9wavefront6targetE0EEEvS12_,comdat
.Lfunc_end1054:
	.size	_ZN7rocprim17ROCPRIM_400000_NS6detail17trampoline_kernelINS0_13select_configILj256ELj13ELNS0_17block_load_methodE3ELS4_3ELS4_3ELNS0_20block_scan_algorithmE0ELj4294967295EEENS1_25partition_config_selectorILNS1_17partition_subalgoE4EjNS0_10empty_typeEbEEZZNS1_14partition_implILS8_4ELb0ES6_15HIP_vector_typeIjLj2EENS0_17counting_iteratorIjlEEPS9_SG_NS0_5tupleIJPjSI_NS0_16reverse_iteratorISI_EEEEENSH_IJSG_SG_SG_EEES9_SI_JZNS1_25segmented_radix_sort_implINS0_14default_configELb1EPKdPdPKlPlN2at6native12_GLOBAL__N_18offset_tEEE10hipError_tPvRmT1_PNSt15iterator_traitsIS12_E10value_typeET2_T3_PNS13_IS18_E10value_typeET4_jRbjT5_S1E_jjP12ihipStream_tbEUljE_ZNSN_ISO_Lb1ESQ_SR_ST_SU_SY_EESZ_S10_S11_S12_S16_S17_S18_S1B_S1C_jS1D_jS1E_S1E_jjS1G_bEUljE0_EEESZ_S10_S11_S18_S1C_S1E_T6_T7_T9_mT8_S1G_bDpT10_ENKUlT_T0_E_clISt17integral_constantIbLb0EES1U_EEDaS1P_S1Q_EUlS1P_E_NS1_11comp_targetILNS1_3genE9ELNS1_11target_archE1100ELNS1_3gpuE3ELNS1_3repE0EEENS1_30default_config_static_selectorELNS0_4arch9wavefront6targetE0EEEvS12_, .Lfunc_end1054-_ZN7rocprim17ROCPRIM_400000_NS6detail17trampoline_kernelINS0_13select_configILj256ELj13ELNS0_17block_load_methodE3ELS4_3ELS4_3ELNS0_20block_scan_algorithmE0ELj4294967295EEENS1_25partition_config_selectorILNS1_17partition_subalgoE4EjNS0_10empty_typeEbEEZZNS1_14partition_implILS8_4ELb0ES6_15HIP_vector_typeIjLj2EENS0_17counting_iteratorIjlEEPS9_SG_NS0_5tupleIJPjSI_NS0_16reverse_iteratorISI_EEEEENSH_IJSG_SG_SG_EEES9_SI_JZNS1_25segmented_radix_sort_implINS0_14default_configELb1EPKdPdPKlPlN2at6native12_GLOBAL__N_18offset_tEEE10hipError_tPvRmT1_PNSt15iterator_traitsIS12_E10value_typeET2_T3_PNS13_IS18_E10value_typeET4_jRbjT5_S1E_jjP12ihipStream_tbEUljE_ZNSN_ISO_Lb1ESQ_SR_ST_SU_SY_EESZ_S10_S11_S12_S16_S17_S18_S1B_S1C_jS1D_jS1E_S1E_jjS1G_bEUljE0_EEESZ_S10_S11_S18_S1C_S1E_T6_T7_T9_mT8_S1G_bDpT10_ENKUlT_T0_E_clISt17integral_constantIbLb0EES1U_EEDaS1P_S1Q_EUlS1P_E_NS1_11comp_targetILNS1_3genE9ELNS1_11target_archE1100ELNS1_3gpuE3ELNS1_3repE0EEENS1_30default_config_static_selectorELNS0_4arch9wavefront6targetE0EEEvS12_
                                        ; -- End function
	.set _ZN7rocprim17ROCPRIM_400000_NS6detail17trampoline_kernelINS0_13select_configILj256ELj13ELNS0_17block_load_methodE3ELS4_3ELS4_3ELNS0_20block_scan_algorithmE0ELj4294967295EEENS1_25partition_config_selectorILNS1_17partition_subalgoE4EjNS0_10empty_typeEbEEZZNS1_14partition_implILS8_4ELb0ES6_15HIP_vector_typeIjLj2EENS0_17counting_iteratorIjlEEPS9_SG_NS0_5tupleIJPjSI_NS0_16reverse_iteratorISI_EEEEENSH_IJSG_SG_SG_EEES9_SI_JZNS1_25segmented_radix_sort_implINS0_14default_configELb1EPKdPdPKlPlN2at6native12_GLOBAL__N_18offset_tEEE10hipError_tPvRmT1_PNSt15iterator_traitsIS12_E10value_typeET2_T3_PNS13_IS18_E10value_typeET4_jRbjT5_S1E_jjP12ihipStream_tbEUljE_ZNSN_ISO_Lb1ESQ_SR_ST_SU_SY_EESZ_S10_S11_S12_S16_S17_S18_S1B_S1C_jS1D_jS1E_S1E_jjS1G_bEUljE0_EEESZ_S10_S11_S18_S1C_S1E_T6_T7_T9_mT8_S1G_bDpT10_ENKUlT_T0_E_clISt17integral_constantIbLb0EES1U_EEDaS1P_S1Q_EUlS1P_E_NS1_11comp_targetILNS1_3genE9ELNS1_11target_archE1100ELNS1_3gpuE3ELNS1_3repE0EEENS1_30default_config_static_selectorELNS0_4arch9wavefront6targetE0EEEvS12_.num_vgpr, 0
	.set _ZN7rocprim17ROCPRIM_400000_NS6detail17trampoline_kernelINS0_13select_configILj256ELj13ELNS0_17block_load_methodE3ELS4_3ELS4_3ELNS0_20block_scan_algorithmE0ELj4294967295EEENS1_25partition_config_selectorILNS1_17partition_subalgoE4EjNS0_10empty_typeEbEEZZNS1_14partition_implILS8_4ELb0ES6_15HIP_vector_typeIjLj2EENS0_17counting_iteratorIjlEEPS9_SG_NS0_5tupleIJPjSI_NS0_16reverse_iteratorISI_EEEEENSH_IJSG_SG_SG_EEES9_SI_JZNS1_25segmented_radix_sort_implINS0_14default_configELb1EPKdPdPKlPlN2at6native12_GLOBAL__N_18offset_tEEE10hipError_tPvRmT1_PNSt15iterator_traitsIS12_E10value_typeET2_T3_PNS13_IS18_E10value_typeET4_jRbjT5_S1E_jjP12ihipStream_tbEUljE_ZNSN_ISO_Lb1ESQ_SR_ST_SU_SY_EESZ_S10_S11_S12_S16_S17_S18_S1B_S1C_jS1D_jS1E_S1E_jjS1G_bEUljE0_EEESZ_S10_S11_S18_S1C_S1E_T6_T7_T9_mT8_S1G_bDpT10_ENKUlT_T0_E_clISt17integral_constantIbLb0EES1U_EEDaS1P_S1Q_EUlS1P_E_NS1_11comp_targetILNS1_3genE9ELNS1_11target_archE1100ELNS1_3gpuE3ELNS1_3repE0EEENS1_30default_config_static_selectorELNS0_4arch9wavefront6targetE0EEEvS12_.num_agpr, 0
	.set _ZN7rocprim17ROCPRIM_400000_NS6detail17trampoline_kernelINS0_13select_configILj256ELj13ELNS0_17block_load_methodE3ELS4_3ELS4_3ELNS0_20block_scan_algorithmE0ELj4294967295EEENS1_25partition_config_selectorILNS1_17partition_subalgoE4EjNS0_10empty_typeEbEEZZNS1_14partition_implILS8_4ELb0ES6_15HIP_vector_typeIjLj2EENS0_17counting_iteratorIjlEEPS9_SG_NS0_5tupleIJPjSI_NS0_16reverse_iteratorISI_EEEEENSH_IJSG_SG_SG_EEES9_SI_JZNS1_25segmented_radix_sort_implINS0_14default_configELb1EPKdPdPKlPlN2at6native12_GLOBAL__N_18offset_tEEE10hipError_tPvRmT1_PNSt15iterator_traitsIS12_E10value_typeET2_T3_PNS13_IS18_E10value_typeET4_jRbjT5_S1E_jjP12ihipStream_tbEUljE_ZNSN_ISO_Lb1ESQ_SR_ST_SU_SY_EESZ_S10_S11_S12_S16_S17_S18_S1B_S1C_jS1D_jS1E_S1E_jjS1G_bEUljE0_EEESZ_S10_S11_S18_S1C_S1E_T6_T7_T9_mT8_S1G_bDpT10_ENKUlT_T0_E_clISt17integral_constantIbLb0EES1U_EEDaS1P_S1Q_EUlS1P_E_NS1_11comp_targetILNS1_3genE9ELNS1_11target_archE1100ELNS1_3gpuE3ELNS1_3repE0EEENS1_30default_config_static_selectorELNS0_4arch9wavefront6targetE0EEEvS12_.numbered_sgpr, 0
	.set _ZN7rocprim17ROCPRIM_400000_NS6detail17trampoline_kernelINS0_13select_configILj256ELj13ELNS0_17block_load_methodE3ELS4_3ELS4_3ELNS0_20block_scan_algorithmE0ELj4294967295EEENS1_25partition_config_selectorILNS1_17partition_subalgoE4EjNS0_10empty_typeEbEEZZNS1_14partition_implILS8_4ELb0ES6_15HIP_vector_typeIjLj2EENS0_17counting_iteratorIjlEEPS9_SG_NS0_5tupleIJPjSI_NS0_16reverse_iteratorISI_EEEEENSH_IJSG_SG_SG_EEES9_SI_JZNS1_25segmented_radix_sort_implINS0_14default_configELb1EPKdPdPKlPlN2at6native12_GLOBAL__N_18offset_tEEE10hipError_tPvRmT1_PNSt15iterator_traitsIS12_E10value_typeET2_T3_PNS13_IS18_E10value_typeET4_jRbjT5_S1E_jjP12ihipStream_tbEUljE_ZNSN_ISO_Lb1ESQ_SR_ST_SU_SY_EESZ_S10_S11_S12_S16_S17_S18_S1B_S1C_jS1D_jS1E_S1E_jjS1G_bEUljE0_EEESZ_S10_S11_S18_S1C_S1E_T6_T7_T9_mT8_S1G_bDpT10_ENKUlT_T0_E_clISt17integral_constantIbLb0EES1U_EEDaS1P_S1Q_EUlS1P_E_NS1_11comp_targetILNS1_3genE9ELNS1_11target_archE1100ELNS1_3gpuE3ELNS1_3repE0EEENS1_30default_config_static_selectorELNS0_4arch9wavefront6targetE0EEEvS12_.num_named_barrier, 0
	.set _ZN7rocprim17ROCPRIM_400000_NS6detail17trampoline_kernelINS0_13select_configILj256ELj13ELNS0_17block_load_methodE3ELS4_3ELS4_3ELNS0_20block_scan_algorithmE0ELj4294967295EEENS1_25partition_config_selectorILNS1_17partition_subalgoE4EjNS0_10empty_typeEbEEZZNS1_14partition_implILS8_4ELb0ES6_15HIP_vector_typeIjLj2EENS0_17counting_iteratorIjlEEPS9_SG_NS0_5tupleIJPjSI_NS0_16reverse_iteratorISI_EEEEENSH_IJSG_SG_SG_EEES9_SI_JZNS1_25segmented_radix_sort_implINS0_14default_configELb1EPKdPdPKlPlN2at6native12_GLOBAL__N_18offset_tEEE10hipError_tPvRmT1_PNSt15iterator_traitsIS12_E10value_typeET2_T3_PNS13_IS18_E10value_typeET4_jRbjT5_S1E_jjP12ihipStream_tbEUljE_ZNSN_ISO_Lb1ESQ_SR_ST_SU_SY_EESZ_S10_S11_S12_S16_S17_S18_S1B_S1C_jS1D_jS1E_S1E_jjS1G_bEUljE0_EEESZ_S10_S11_S18_S1C_S1E_T6_T7_T9_mT8_S1G_bDpT10_ENKUlT_T0_E_clISt17integral_constantIbLb0EES1U_EEDaS1P_S1Q_EUlS1P_E_NS1_11comp_targetILNS1_3genE9ELNS1_11target_archE1100ELNS1_3gpuE3ELNS1_3repE0EEENS1_30default_config_static_selectorELNS0_4arch9wavefront6targetE0EEEvS12_.private_seg_size, 0
	.set _ZN7rocprim17ROCPRIM_400000_NS6detail17trampoline_kernelINS0_13select_configILj256ELj13ELNS0_17block_load_methodE3ELS4_3ELS4_3ELNS0_20block_scan_algorithmE0ELj4294967295EEENS1_25partition_config_selectorILNS1_17partition_subalgoE4EjNS0_10empty_typeEbEEZZNS1_14partition_implILS8_4ELb0ES6_15HIP_vector_typeIjLj2EENS0_17counting_iteratorIjlEEPS9_SG_NS0_5tupleIJPjSI_NS0_16reverse_iteratorISI_EEEEENSH_IJSG_SG_SG_EEES9_SI_JZNS1_25segmented_radix_sort_implINS0_14default_configELb1EPKdPdPKlPlN2at6native12_GLOBAL__N_18offset_tEEE10hipError_tPvRmT1_PNSt15iterator_traitsIS12_E10value_typeET2_T3_PNS13_IS18_E10value_typeET4_jRbjT5_S1E_jjP12ihipStream_tbEUljE_ZNSN_ISO_Lb1ESQ_SR_ST_SU_SY_EESZ_S10_S11_S12_S16_S17_S18_S1B_S1C_jS1D_jS1E_S1E_jjS1G_bEUljE0_EEESZ_S10_S11_S18_S1C_S1E_T6_T7_T9_mT8_S1G_bDpT10_ENKUlT_T0_E_clISt17integral_constantIbLb0EES1U_EEDaS1P_S1Q_EUlS1P_E_NS1_11comp_targetILNS1_3genE9ELNS1_11target_archE1100ELNS1_3gpuE3ELNS1_3repE0EEENS1_30default_config_static_selectorELNS0_4arch9wavefront6targetE0EEEvS12_.uses_vcc, 0
	.set _ZN7rocprim17ROCPRIM_400000_NS6detail17trampoline_kernelINS0_13select_configILj256ELj13ELNS0_17block_load_methodE3ELS4_3ELS4_3ELNS0_20block_scan_algorithmE0ELj4294967295EEENS1_25partition_config_selectorILNS1_17partition_subalgoE4EjNS0_10empty_typeEbEEZZNS1_14partition_implILS8_4ELb0ES6_15HIP_vector_typeIjLj2EENS0_17counting_iteratorIjlEEPS9_SG_NS0_5tupleIJPjSI_NS0_16reverse_iteratorISI_EEEEENSH_IJSG_SG_SG_EEES9_SI_JZNS1_25segmented_radix_sort_implINS0_14default_configELb1EPKdPdPKlPlN2at6native12_GLOBAL__N_18offset_tEEE10hipError_tPvRmT1_PNSt15iterator_traitsIS12_E10value_typeET2_T3_PNS13_IS18_E10value_typeET4_jRbjT5_S1E_jjP12ihipStream_tbEUljE_ZNSN_ISO_Lb1ESQ_SR_ST_SU_SY_EESZ_S10_S11_S12_S16_S17_S18_S1B_S1C_jS1D_jS1E_S1E_jjS1G_bEUljE0_EEESZ_S10_S11_S18_S1C_S1E_T6_T7_T9_mT8_S1G_bDpT10_ENKUlT_T0_E_clISt17integral_constantIbLb0EES1U_EEDaS1P_S1Q_EUlS1P_E_NS1_11comp_targetILNS1_3genE9ELNS1_11target_archE1100ELNS1_3gpuE3ELNS1_3repE0EEENS1_30default_config_static_selectorELNS0_4arch9wavefront6targetE0EEEvS12_.uses_flat_scratch, 0
	.set _ZN7rocprim17ROCPRIM_400000_NS6detail17trampoline_kernelINS0_13select_configILj256ELj13ELNS0_17block_load_methodE3ELS4_3ELS4_3ELNS0_20block_scan_algorithmE0ELj4294967295EEENS1_25partition_config_selectorILNS1_17partition_subalgoE4EjNS0_10empty_typeEbEEZZNS1_14partition_implILS8_4ELb0ES6_15HIP_vector_typeIjLj2EENS0_17counting_iteratorIjlEEPS9_SG_NS0_5tupleIJPjSI_NS0_16reverse_iteratorISI_EEEEENSH_IJSG_SG_SG_EEES9_SI_JZNS1_25segmented_radix_sort_implINS0_14default_configELb1EPKdPdPKlPlN2at6native12_GLOBAL__N_18offset_tEEE10hipError_tPvRmT1_PNSt15iterator_traitsIS12_E10value_typeET2_T3_PNS13_IS18_E10value_typeET4_jRbjT5_S1E_jjP12ihipStream_tbEUljE_ZNSN_ISO_Lb1ESQ_SR_ST_SU_SY_EESZ_S10_S11_S12_S16_S17_S18_S1B_S1C_jS1D_jS1E_S1E_jjS1G_bEUljE0_EEESZ_S10_S11_S18_S1C_S1E_T6_T7_T9_mT8_S1G_bDpT10_ENKUlT_T0_E_clISt17integral_constantIbLb0EES1U_EEDaS1P_S1Q_EUlS1P_E_NS1_11comp_targetILNS1_3genE9ELNS1_11target_archE1100ELNS1_3gpuE3ELNS1_3repE0EEENS1_30default_config_static_selectorELNS0_4arch9wavefront6targetE0EEEvS12_.has_dyn_sized_stack, 0
	.set _ZN7rocprim17ROCPRIM_400000_NS6detail17trampoline_kernelINS0_13select_configILj256ELj13ELNS0_17block_load_methodE3ELS4_3ELS4_3ELNS0_20block_scan_algorithmE0ELj4294967295EEENS1_25partition_config_selectorILNS1_17partition_subalgoE4EjNS0_10empty_typeEbEEZZNS1_14partition_implILS8_4ELb0ES6_15HIP_vector_typeIjLj2EENS0_17counting_iteratorIjlEEPS9_SG_NS0_5tupleIJPjSI_NS0_16reverse_iteratorISI_EEEEENSH_IJSG_SG_SG_EEES9_SI_JZNS1_25segmented_radix_sort_implINS0_14default_configELb1EPKdPdPKlPlN2at6native12_GLOBAL__N_18offset_tEEE10hipError_tPvRmT1_PNSt15iterator_traitsIS12_E10value_typeET2_T3_PNS13_IS18_E10value_typeET4_jRbjT5_S1E_jjP12ihipStream_tbEUljE_ZNSN_ISO_Lb1ESQ_SR_ST_SU_SY_EESZ_S10_S11_S12_S16_S17_S18_S1B_S1C_jS1D_jS1E_S1E_jjS1G_bEUljE0_EEESZ_S10_S11_S18_S1C_S1E_T6_T7_T9_mT8_S1G_bDpT10_ENKUlT_T0_E_clISt17integral_constantIbLb0EES1U_EEDaS1P_S1Q_EUlS1P_E_NS1_11comp_targetILNS1_3genE9ELNS1_11target_archE1100ELNS1_3gpuE3ELNS1_3repE0EEENS1_30default_config_static_selectorELNS0_4arch9wavefront6targetE0EEEvS12_.has_recursion, 0
	.set _ZN7rocprim17ROCPRIM_400000_NS6detail17trampoline_kernelINS0_13select_configILj256ELj13ELNS0_17block_load_methodE3ELS4_3ELS4_3ELNS0_20block_scan_algorithmE0ELj4294967295EEENS1_25partition_config_selectorILNS1_17partition_subalgoE4EjNS0_10empty_typeEbEEZZNS1_14partition_implILS8_4ELb0ES6_15HIP_vector_typeIjLj2EENS0_17counting_iteratorIjlEEPS9_SG_NS0_5tupleIJPjSI_NS0_16reverse_iteratorISI_EEEEENSH_IJSG_SG_SG_EEES9_SI_JZNS1_25segmented_radix_sort_implINS0_14default_configELb1EPKdPdPKlPlN2at6native12_GLOBAL__N_18offset_tEEE10hipError_tPvRmT1_PNSt15iterator_traitsIS12_E10value_typeET2_T3_PNS13_IS18_E10value_typeET4_jRbjT5_S1E_jjP12ihipStream_tbEUljE_ZNSN_ISO_Lb1ESQ_SR_ST_SU_SY_EESZ_S10_S11_S12_S16_S17_S18_S1B_S1C_jS1D_jS1E_S1E_jjS1G_bEUljE0_EEESZ_S10_S11_S18_S1C_S1E_T6_T7_T9_mT8_S1G_bDpT10_ENKUlT_T0_E_clISt17integral_constantIbLb0EES1U_EEDaS1P_S1Q_EUlS1P_E_NS1_11comp_targetILNS1_3genE9ELNS1_11target_archE1100ELNS1_3gpuE3ELNS1_3repE0EEENS1_30default_config_static_selectorELNS0_4arch9wavefront6targetE0EEEvS12_.has_indirect_call, 0
	.section	.AMDGPU.csdata,"",@progbits
; Kernel info:
; codeLenInByte = 0
; TotalNumSgprs: 0
; NumVgprs: 0
; ScratchSize: 0
; MemoryBound: 0
; FloatMode: 240
; IeeeMode: 1
; LDSByteSize: 0 bytes/workgroup (compile time only)
; SGPRBlocks: 0
; VGPRBlocks: 0
; NumSGPRsForWavesPerEU: 1
; NumVGPRsForWavesPerEU: 1
; NamedBarCnt: 0
; Occupancy: 16
; WaveLimiterHint : 0
; COMPUTE_PGM_RSRC2:SCRATCH_EN: 0
; COMPUTE_PGM_RSRC2:USER_SGPR: 2
; COMPUTE_PGM_RSRC2:TRAP_HANDLER: 0
; COMPUTE_PGM_RSRC2:TGID_X_EN: 1
; COMPUTE_PGM_RSRC2:TGID_Y_EN: 0
; COMPUTE_PGM_RSRC2:TGID_Z_EN: 0
; COMPUTE_PGM_RSRC2:TIDIG_COMP_CNT: 0
	.section	.text._ZN7rocprim17ROCPRIM_400000_NS6detail17trampoline_kernelINS0_13select_configILj256ELj13ELNS0_17block_load_methodE3ELS4_3ELS4_3ELNS0_20block_scan_algorithmE0ELj4294967295EEENS1_25partition_config_selectorILNS1_17partition_subalgoE4EjNS0_10empty_typeEbEEZZNS1_14partition_implILS8_4ELb0ES6_15HIP_vector_typeIjLj2EENS0_17counting_iteratorIjlEEPS9_SG_NS0_5tupleIJPjSI_NS0_16reverse_iteratorISI_EEEEENSH_IJSG_SG_SG_EEES9_SI_JZNS1_25segmented_radix_sort_implINS0_14default_configELb1EPKdPdPKlPlN2at6native12_GLOBAL__N_18offset_tEEE10hipError_tPvRmT1_PNSt15iterator_traitsIS12_E10value_typeET2_T3_PNS13_IS18_E10value_typeET4_jRbjT5_S1E_jjP12ihipStream_tbEUljE_ZNSN_ISO_Lb1ESQ_SR_ST_SU_SY_EESZ_S10_S11_S12_S16_S17_S18_S1B_S1C_jS1D_jS1E_S1E_jjS1G_bEUljE0_EEESZ_S10_S11_S18_S1C_S1E_T6_T7_T9_mT8_S1G_bDpT10_ENKUlT_T0_E_clISt17integral_constantIbLb0EES1U_EEDaS1P_S1Q_EUlS1P_E_NS1_11comp_targetILNS1_3genE8ELNS1_11target_archE1030ELNS1_3gpuE2ELNS1_3repE0EEENS1_30default_config_static_selectorELNS0_4arch9wavefront6targetE0EEEvS12_,"axG",@progbits,_ZN7rocprim17ROCPRIM_400000_NS6detail17trampoline_kernelINS0_13select_configILj256ELj13ELNS0_17block_load_methodE3ELS4_3ELS4_3ELNS0_20block_scan_algorithmE0ELj4294967295EEENS1_25partition_config_selectorILNS1_17partition_subalgoE4EjNS0_10empty_typeEbEEZZNS1_14partition_implILS8_4ELb0ES6_15HIP_vector_typeIjLj2EENS0_17counting_iteratorIjlEEPS9_SG_NS0_5tupleIJPjSI_NS0_16reverse_iteratorISI_EEEEENSH_IJSG_SG_SG_EEES9_SI_JZNS1_25segmented_radix_sort_implINS0_14default_configELb1EPKdPdPKlPlN2at6native12_GLOBAL__N_18offset_tEEE10hipError_tPvRmT1_PNSt15iterator_traitsIS12_E10value_typeET2_T3_PNS13_IS18_E10value_typeET4_jRbjT5_S1E_jjP12ihipStream_tbEUljE_ZNSN_ISO_Lb1ESQ_SR_ST_SU_SY_EESZ_S10_S11_S12_S16_S17_S18_S1B_S1C_jS1D_jS1E_S1E_jjS1G_bEUljE0_EEESZ_S10_S11_S18_S1C_S1E_T6_T7_T9_mT8_S1G_bDpT10_ENKUlT_T0_E_clISt17integral_constantIbLb0EES1U_EEDaS1P_S1Q_EUlS1P_E_NS1_11comp_targetILNS1_3genE8ELNS1_11target_archE1030ELNS1_3gpuE2ELNS1_3repE0EEENS1_30default_config_static_selectorELNS0_4arch9wavefront6targetE0EEEvS12_,comdat
	.globl	_ZN7rocprim17ROCPRIM_400000_NS6detail17trampoline_kernelINS0_13select_configILj256ELj13ELNS0_17block_load_methodE3ELS4_3ELS4_3ELNS0_20block_scan_algorithmE0ELj4294967295EEENS1_25partition_config_selectorILNS1_17partition_subalgoE4EjNS0_10empty_typeEbEEZZNS1_14partition_implILS8_4ELb0ES6_15HIP_vector_typeIjLj2EENS0_17counting_iteratorIjlEEPS9_SG_NS0_5tupleIJPjSI_NS0_16reverse_iteratorISI_EEEEENSH_IJSG_SG_SG_EEES9_SI_JZNS1_25segmented_radix_sort_implINS0_14default_configELb1EPKdPdPKlPlN2at6native12_GLOBAL__N_18offset_tEEE10hipError_tPvRmT1_PNSt15iterator_traitsIS12_E10value_typeET2_T3_PNS13_IS18_E10value_typeET4_jRbjT5_S1E_jjP12ihipStream_tbEUljE_ZNSN_ISO_Lb1ESQ_SR_ST_SU_SY_EESZ_S10_S11_S12_S16_S17_S18_S1B_S1C_jS1D_jS1E_S1E_jjS1G_bEUljE0_EEESZ_S10_S11_S18_S1C_S1E_T6_T7_T9_mT8_S1G_bDpT10_ENKUlT_T0_E_clISt17integral_constantIbLb0EES1U_EEDaS1P_S1Q_EUlS1P_E_NS1_11comp_targetILNS1_3genE8ELNS1_11target_archE1030ELNS1_3gpuE2ELNS1_3repE0EEENS1_30default_config_static_selectorELNS0_4arch9wavefront6targetE0EEEvS12_ ; -- Begin function _ZN7rocprim17ROCPRIM_400000_NS6detail17trampoline_kernelINS0_13select_configILj256ELj13ELNS0_17block_load_methodE3ELS4_3ELS4_3ELNS0_20block_scan_algorithmE0ELj4294967295EEENS1_25partition_config_selectorILNS1_17partition_subalgoE4EjNS0_10empty_typeEbEEZZNS1_14partition_implILS8_4ELb0ES6_15HIP_vector_typeIjLj2EENS0_17counting_iteratorIjlEEPS9_SG_NS0_5tupleIJPjSI_NS0_16reverse_iteratorISI_EEEEENSH_IJSG_SG_SG_EEES9_SI_JZNS1_25segmented_radix_sort_implINS0_14default_configELb1EPKdPdPKlPlN2at6native12_GLOBAL__N_18offset_tEEE10hipError_tPvRmT1_PNSt15iterator_traitsIS12_E10value_typeET2_T3_PNS13_IS18_E10value_typeET4_jRbjT5_S1E_jjP12ihipStream_tbEUljE_ZNSN_ISO_Lb1ESQ_SR_ST_SU_SY_EESZ_S10_S11_S12_S16_S17_S18_S1B_S1C_jS1D_jS1E_S1E_jjS1G_bEUljE0_EEESZ_S10_S11_S18_S1C_S1E_T6_T7_T9_mT8_S1G_bDpT10_ENKUlT_T0_E_clISt17integral_constantIbLb0EES1U_EEDaS1P_S1Q_EUlS1P_E_NS1_11comp_targetILNS1_3genE8ELNS1_11target_archE1030ELNS1_3gpuE2ELNS1_3repE0EEENS1_30default_config_static_selectorELNS0_4arch9wavefront6targetE0EEEvS12_
	.p2align	8
	.type	_ZN7rocprim17ROCPRIM_400000_NS6detail17trampoline_kernelINS0_13select_configILj256ELj13ELNS0_17block_load_methodE3ELS4_3ELS4_3ELNS0_20block_scan_algorithmE0ELj4294967295EEENS1_25partition_config_selectorILNS1_17partition_subalgoE4EjNS0_10empty_typeEbEEZZNS1_14partition_implILS8_4ELb0ES6_15HIP_vector_typeIjLj2EENS0_17counting_iteratorIjlEEPS9_SG_NS0_5tupleIJPjSI_NS0_16reverse_iteratorISI_EEEEENSH_IJSG_SG_SG_EEES9_SI_JZNS1_25segmented_radix_sort_implINS0_14default_configELb1EPKdPdPKlPlN2at6native12_GLOBAL__N_18offset_tEEE10hipError_tPvRmT1_PNSt15iterator_traitsIS12_E10value_typeET2_T3_PNS13_IS18_E10value_typeET4_jRbjT5_S1E_jjP12ihipStream_tbEUljE_ZNSN_ISO_Lb1ESQ_SR_ST_SU_SY_EESZ_S10_S11_S12_S16_S17_S18_S1B_S1C_jS1D_jS1E_S1E_jjS1G_bEUljE0_EEESZ_S10_S11_S18_S1C_S1E_T6_T7_T9_mT8_S1G_bDpT10_ENKUlT_T0_E_clISt17integral_constantIbLb0EES1U_EEDaS1P_S1Q_EUlS1P_E_NS1_11comp_targetILNS1_3genE8ELNS1_11target_archE1030ELNS1_3gpuE2ELNS1_3repE0EEENS1_30default_config_static_selectorELNS0_4arch9wavefront6targetE0EEEvS12_,@function
_ZN7rocprim17ROCPRIM_400000_NS6detail17trampoline_kernelINS0_13select_configILj256ELj13ELNS0_17block_load_methodE3ELS4_3ELS4_3ELNS0_20block_scan_algorithmE0ELj4294967295EEENS1_25partition_config_selectorILNS1_17partition_subalgoE4EjNS0_10empty_typeEbEEZZNS1_14partition_implILS8_4ELb0ES6_15HIP_vector_typeIjLj2EENS0_17counting_iteratorIjlEEPS9_SG_NS0_5tupleIJPjSI_NS0_16reverse_iteratorISI_EEEEENSH_IJSG_SG_SG_EEES9_SI_JZNS1_25segmented_radix_sort_implINS0_14default_configELb1EPKdPdPKlPlN2at6native12_GLOBAL__N_18offset_tEEE10hipError_tPvRmT1_PNSt15iterator_traitsIS12_E10value_typeET2_T3_PNS13_IS18_E10value_typeET4_jRbjT5_S1E_jjP12ihipStream_tbEUljE_ZNSN_ISO_Lb1ESQ_SR_ST_SU_SY_EESZ_S10_S11_S12_S16_S17_S18_S1B_S1C_jS1D_jS1E_S1E_jjS1G_bEUljE0_EEESZ_S10_S11_S18_S1C_S1E_T6_T7_T9_mT8_S1G_bDpT10_ENKUlT_T0_E_clISt17integral_constantIbLb0EES1U_EEDaS1P_S1Q_EUlS1P_E_NS1_11comp_targetILNS1_3genE8ELNS1_11target_archE1030ELNS1_3gpuE2ELNS1_3repE0EEENS1_30default_config_static_selectorELNS0_4arch9wavefront6targetE0EEEvS12_: ; @_ZN7rocprim17ROCPRIM_400000_NS6detail17trampoline_kernelINS0_13select_configILj256ELj13ELNS0_17block_load_methodE3ELS4_3ELS4_3ELNS0_20block_scan_algorithmE0ELj4294967295EEENS1_25partition_config_selectorILNS1_17partition_subalgoE4EjNS0_10empty_typeEbEEZZNS1_14partition_implILS8_4ELb0ES6_15HIP_vector_typeIjLj2EENS0_17counting_iteratorIjlEEPS9_SG_NS0_5tupleIJPjSI_NS0_16reverse_iteratorISI_EEEEENSH_IJSG_SG_SG_EEES9_SI_JZNS1_25segmented_radix_sort_implINS0_14default_configELb1EPKdPdPKlPlN2at6native12_GLOBAL__N_18offset_tEEE10hipError_tPvRmT1_PNSt15iterator_traitsIS12_E10value_typeET2_T3_PNS13_IS18_E10value_typeET4_jRbjT5_S1E_jjP12ihipStream_tbEUljE_ZNSN_ISO_Lb1ESQ_SR_ST_SU_SY_EESZ_S10_S11_S12_S16_S17_S18_S1B_S1C_jS1D_jS1E_S1E_jjS1G_bEUljE0_EEESZ_S10_S11_S18_S1C_S1E_T6_T7_T9_mT8_S1G_bDpT10_ENKUlT_T0_E_clISt17integral_constantIbLb0EES1U_EEDaS1P_S1Q_EUlS1P_E_NS1_11comp_targetILNS1_3genE8ELNS1_11target_archE1030ELNS1_3gpuE2ELNS1_3repE0EEENS1_30default_config_static_selectorELNS0_4arch9wavefront6targetE0EEEvS12_
; %bb.0:
	.section	.rodata,"a",@progbits
	.p2align	6, 0x0
	.amdhsa_kernel _ZN7rocprim17ROCPRIM_400000_NS6detail17trampoline_kernelINS0_13select_configILj256ELj13ELNS0_17block_load_methodE3ELS4_3ELS4_3ELNS0_20block_scan_algorithmE0ELj4294967295EEENS1_25partition_config_selectorILNS1_17partition_subalgoE4EjNS0_10empty_typeEbEEZZNS1_14partition_implILS8_4ELb0ES6_15HIP_vector_typeIjLj2EENS0_17counting_iteratorIjlEEPS9_SG_NS0_5tupleIJPjSI_NS0_16reverse_iteratorISI_EEEEENSH_IJSG_SG_SG_EEES9_SI_JZNS1_25segmented_radix_sort_implINS0_14default_configELb1EPKdPdPKlPlN2at6native12_GLOBAL__N_18offset_tEEE10hipError_tPvRmT1_PNSt15iterator_traitsIS12_E10value_typeET2_T3_PNS13_IS18_E10value_typeET4_jRbjT5_S1E_jjP12ihipStream_tbEUljE_ZNSN_ISO_Lb1ESQ_SR_ST_SU_SY_EESZ_S10_S11_S12_S16_S17_S18_S1B_S1C_jS1D_jS1E_S1E_jjS1G_bEUljE0_EEESZ_S10_S11_S18_S1C_S1E_T6_T7_T9_mT8_S1G_bDpT10_ENKUlT_T0_E_clISt17integral_constantIbLb0EES1U_EEDaS1P_S1Q_EUlS1P_E_NS1_11comp_targetILNS1_3genE8ELNS1_11target_archE1030ELNS1_3gpuE2ELNS1_3repE0EEENS1_30default_config_static_selectorELNS0_4arch9wavefront6targetE0EEEvS12_
		.amdhsa_group_segment_fixed_size 0
		.amdhsa_private_segment_fixed_size 0
		.amdhsa_kernarg_size 176
		.amdhsa_user_sgpr_count 2
		.amdhsa_user_sgpr_dispatch_ptr 0
		.amdhsa_user_sgpr_queue_ptr 0
		.amdhsa_user_sgpr_kernarg_segment_ptr 1
		.amdhsa_user_sgpr_dispatch_id 0
		.amdhsa_user_sgpr_kernarg_preload_length 0
		.amdhsa_user_sgpr_kernarg_preload_offset 0
		.amdhsa_user_sgpr_private_segment_size 0
		.amdhsa_wavefront_size32 1
		.amdhsa_uses_dynamic_stack 0
		.amdhsa_enable_private_segment 0
		.amdhsa_system_sgpr_workgroup_id_x 1
		.amdhsa_system_sgpr_workgroup_id_y 0
		.amdhsa_system_sgpr_workgroup_id_z 0
		.amdhsa_system_sgpr_workgroup_info 0
		.amdhsa_system_vgpr_workitem_id 0
		.amdhsa_next_free_vgpr 1
		.amdhsa_next_free_sgpr 1
		.amdhsa_named_barrier_count 0
		.amdhsa_reserve_vcc 0
		.amdhsa_float_round_mode_32 0
		.amdhsa_float_round_mode_16_64 0
		.amdhsa_float_denorm_mode_32 3
		.amdhsa_float_denorm_mode_16_64 3
		.amdhsa_fp16_overflow 0
		.amdhsa_memory_ordered 1
		.amdhsa_forward_progress 1
		.amdhsa_inst_pref_size 0
		.amdhsa_round_robin_scheduling 0
		.amdhsa_exception_fp_ieee_invalid_op 0
		.amdhsa_exception_fp_denorm_src 0
		.amdhsa_exception_fp_ieee_div_zero 0
		.amdhsa_exception_fp_ieee_overflow 0
		.amdhsa_exception_fp_ieee_underflow 0
		.amdhsa_exception_fp_ieee_inexact 0
		.amdhsa_exception_int_div_zero 0
	.end_amdhsa_kernel
	.section	.text._ZN7rocprim17ROCPRIM_400000_NS6detail17trampoline_kernelINS0_13select_configILj256ELj13ELNS0_17block_load_methodE3ELS4_3ELS4_3ELNS0_20block_scan_algorithmE0ELj4294967295EEENS1_25partition_config_selectorILNS1_17partition_subalgoE4EjNS0_10empty_typeEbEEZZNS1_14partition_implILS8_4ELb0ES6_15HIP_vector_typeIjLj2EENS0_17counting_iteratorIjlEEPS9_SG_NS0_5tupleIJPjSI_NS0_16reverse_iteratorISI_EEEEENSH_IJSG_SG_SG_EEES9_SI_JZNS1_25segmented_radix_sort_implINS0_14default_configELb1EPKdPdPKlPlN2at6native12_GLOBAL__N_18offset_tEEE10hipError_tPvRmT1_PNSt15iterator_traitsIS12_E10value_typeET2_T3_PNS13_IS18_E10value_typeET4_jRbjT5_S1E_jjP12ihipStream_tbEUljE_ZNSN_ISO_Lb1ESQ_SR_ST_SU_SY_EESZ_S10_S11_S12_S16_S17_S18_S1B_S1C_jS1D_jS1E_S1E_jjS1G_bEUljE0_EEESZ_S10_S11_S18_S1C_S1E_T6_T7_T9_mT8_S1G_bDpT10_ENKUlT_T0_E_clISt17integral_constantIbLb0EES1U_EEDaS1P_S1Q_EUlS1P_E_NS1_11comp_targetILNS1_3genE8ELNS1_11target_archE1030ELNS1_3gpuE2ELNS1_3repE0EEENS1_30default_config_static_selectorELNS0_4arch9wavefront6targetE0EEEvS12_,"axG",@progbits,_ZN7rocprim17ROCPRIM_400000_NS6detail17trampoline_kernelINS0_13select_configILj256ELj13ELNS0_17block_load_methodE3ELS4_3ELS4_3ELNS0_20block_scan_algorithmE0ELj4294967295EEENS1_25partition_config_selectorILNS1_17partition_subalgoE4EjNS0_10empty_typeEbEEZZNS1_14partition_implILS8_4ELb0ES6_15HIP_vector_typeIjLj2EENS0_17counting_iteratorIjlEEPS9_SG_NS0_5tupleIJPjSI_NS0_16reverse_iteratorISI_EEEEENSH_IJSG_SG_SG_EEES9_SI_JZNS1_25segmented_radix_sort_implINS0_14default_configELb1EPKdPdPKlPlN2at6native12_GLOBAL__N_18offset_tEEE10hipError_tPvRmT1_PNSt15iterator_traitsIS12_E10value_typeET2_T3_PNS13_IS18_E10value_typeET4_jRbjT5_S1E_jjP12ihipStream_tbEUljE_ZNSN_ISO_Lb1ESQ_SR_ST_SU_SY_EESZ_S10_S11_S12_S16_S17_S18_S1B_S1C_jS1D_jS1E_S1E_jjS1G_bEUljE0_EEESZ_S10_S11_S18_S1C_S1E_T6_T7_T9_mT8_S1G_bDpT10_ENKUlT_T0_E_clISt17integral_constantIbLb0EES1U_EEDaS1P_S1Q_EUlS1P_E_NS1_11comp_targetILNS1_3genE8ELNS1_11target_archE1030ELNS1_3gpuE2ELNS1_3repE0EEENS1_30default_config_static_selectorELNS0_4arch9wavefront6targetE0EEEvS12_,comdat
.Lfunc_end1055:
	.size	_ZN7rocprim17ROCPRIM_400000_NS6detail17trampoline_kernelINS0_13select_configILj256ELj13ELNS0_17block_load_methodE3ELS4_3ELS4_3ELNS0_20block_scan_algorithmE0ELj4294967295EEENS1_25partition_config_selectorILNS1_17partition_subalgoE4EjNS0_10empty_typeEbEEZZNS1_14partition_implILS8_4ELb0ES6_15HIP_vector_typeIjLj2EENS0_17counting_iteratorIjlEEPS9_SG_NS0_5tupleIJPjSI_NS0_16reverse_iteratorISI_EEEEENSH_IJSG_SG_SG_EEES9_SI_JZNS1_25segmented_radix_sort_implINS0_14default_configELb1EPKdPdPKlPlN2at6native12_GLOBAL__N_18offset_tEEE10hipError_tPvRmT1_PNSt15iterator_traitsIS12_E10value_typeET2_T3_PNS13_IS18_E10value_typeET4_jRbjT5_S1E_jjP12ihipStream_tbEUljE_ZNSN_ISO_Lb1ESQ_SR_ST_SU_SY_EESZ_S10_S11_S12_S16_S17_S18_S1B_S1C_jS1D_jS1E_S1E_jjS1G_bEUljE0_EEESZ_S10_S11_S18_S1C_S1E_T6_T7_T9_mT8_S1G_bDpT10_ENKUlT_T0_E_clISt17integral_constantIbLb0EES1U_EEDaS1P_S1Q_EUlS1P_E_NS1_11comp_targetILNS1_3genE8ELNS1_11target_archE1030ELNS1_3gpuE2ELNS1_3repE0EEENS1_30default_config_static_selectorELNS0_4arch9wavefront6targetE0EEEvS12_, .Lfunc_end1055-_ZN7rocprim17ROCPRIM_400000_NS6detail17trampoline_kernelINS0_13select_configILj256ELj13ELNS0_17block_load_methodE3ELS4_3ELS4_3ELNS0_20block_scan_algorithmE0ELj4294967295EEENS1_25partition_config_selectorILNS1_17partition_subalgoE4EjNS0_10empty_typeEbEEZZNS1_14partition_implILS8_4ELb0ES6_15HIP_vector_typeIjLj2EENS0_17counting_iteratorIjlEEPS9_SG_NS0_5tupleIJPjSI_NS0_16reverse_iteratorISI_EEEEENSH_IJSG_SG_SG_EEES9_SI_JZNS1_25segmented_radix_sort_implINS0_14default_configELb1EPKdPdPKlPlN2at6native12_GLOBAL__N_18offset_tEEE10hipError_tPvRmT1_PNSt15iterator_traitsIS12_E10value_typeET2_T3_PNS13_IS18_E10value_typeET4_jRbjT5_S1E_jjP12ihipStream_tbEUljE_ZNSN_ISO_Lb1ESQ_SR_ST_SU_SY_EESZ_S10_S11_S12_S16_S17_S18_S1B_S1C_jS1D_jS1E_S1E_jjS1G_bEUljE0_EEESZ_S10_S11_S18_S1C_S1E_T6_T7_T9_mT8_S1G_bDpT10_ENKUlT_T0_E_clISt17integral_constantIbLb0EES1U_EEDaS1P_S1Q_EUlS1P_E_NS1_11comp_targetILNS1_3genE8ELNS1_11target_archE1030ELNS1_3gpuE2ELNS1_3repE0EEENS1_30default_config_static_selectorELNS0_4arch9wavefront6targetE0EEEvS12_
                                        ; -- End function
	.set _ZN7rocprim17ROCPRIM_400000_NS6detail17trampoline_kernelINS0_13select_configILj256ELj13ELNS0_17block_load_methodE3ELS4_3ELS4_3ELNS0_20block_scan_algorithmE0ELj4294967295EEENS1_25partition_config_selectorILNS1_17partition_subalgoE4EjNS0_10empty_typeEbEEZZNS1_14partition_implILS8_4ELb0ES6_15HIP_vector_typeIjLj2EENS0_17counting_iteratorIjlEEPS9_SG_NS0_5tupleIJPjSI_NS0_16reverse_iteratorISI_EEEEENSH_IJSG_SG_SG_EEES9_SI_JZNS1_25segmented_radix_sort_implINS0_14default_configELb1EPKdPdPKlPlN2at6native12_GLOBAL__N_18offset_tEEE10hipError_tPvRmT1_PNSt15iterator_traitsIS12_E10value_typeET2_T3_PNS13_IS18_E10value_typeET4_jRbjT5_S1E_jjP12ihipStream_tbEUljE_ZNSN_ISO_Lb1ESQ_SR_ST_SU_SY_EESZ_S10_S11_S12_S16_S17_S18_S1B_S1C_jS1D_jS1E_S1E_jjS1G_bEUljE0_EEESZ_S10_S11_S18_S1C_S1E_T6_T7_T9_mT8_S1G_bDpT10_ENKUlT_T0_E_clISt17integral_constantIbLb0EES1U_EEDaS1P_S1Q_EUlS1P_E_NS1_11comp_targetILNS1_3genE8ELNS1_11target_archE1030ELNS1_3gpuE2ELNS1_3repE0EEENS1_30default_config_static_selectorELNS0_4arch9wavefront6targetE0EEEvS12_.num_vgpr, 0
	.set _ZN7rocprim17ROCPRIM_400000_NS6detail17trampoline_kernelINS0_13select_configILj256ELj13ELNS0_17block_load_methodE3ELS4_3ELS4_3ELNS0_20block_scan_algorithmE0ELj4294967295EEENS1_25partition_config_selectorILNS1_17partition_subalgoE4EjNS0_10empty_typeEbEEZZNS1_14partition_implILS8_4ELb0ES6_15HIP_vector_typeIjLj2EENS0_17counting_iteratorIjlEEPS9_SG_NS0_5tupleIJPjSI_NS0_16reverse_iteratorISI_EEEEENSH_IJSG_SG_SG_EEES9_SI_JZNS1_25segmented_radix_sort_implINS0_14default_configELb1EPKdPdPKlPlN2at6native12_GLOBAL__N_18offset_tEEE10hipError_tPvRmT1_PNSt15iterator_traitsIS12_E10value_typeET2_T3_PNS13_IS18_E10value_typeET4_jRbjT5_S1E_jjP12ihipStream_tbEUljE_ZNSN_ISO_Lb1ESQ_SR_ST_SU_SY_EESZ_S10_S11_S12_S16_S17_S18_S1B_S1C_jS1D_jS1E_S1E_jjS1G_bEUljE0_EEESZ_S10_S11_S18_S1C_S1E_T6_T7_T9_mT8_S1G_bDpT10_ENKUlT_T0_E_clISt17integral_constantIbLb0EES1U_EEDaS1P_S1Q_EUlS1P_E_NS1_11comp_targetILNS1_3genE8ELNS1_11target_archE1030ELNS1_3gpuE2ELNS1_3repE0EEENS1_30default_config_static_selectorELNS0_4arch9wavefront6targetE0EEEvS12_.num_agpr, 0
	.set _ZN7rocprim17ROCPRIM_400000_NS6detail17trampoline_kernelINS0_13select_configILj256ELj13ELNS0_17block_load_methodE3ELS4_3ELS4_3ELNS0_20block_scan_algorithmE0ELj4294967295EEENS1_25partition_config_selectorILNS1_17partition_subalgoE4EjNS0_10empty_typeEbEEZZNS1_14partition_implILS8_4ELb0ES6_15HIP_vector_typeIjLj2EENS0_17counting_iteratorIjlEEPS9_SG_NS0_5tupleIJPjSI_NS0_16reverse_iteratorISI_EEEEENSH_IJSG_SG_SG_EEES9_SI_JZNS1_25segmented_radix_sort_implINS0_14default_configELb1EPKdPdPKlPlN2at6native12_GLOBAL__N_18offset_tEEE10hipError_tPvRmT1_PNSt15iterator_traitsIS12_E10value_typeET2_T3_PNS13_IS18_E10value_typeET4_jRbjT5_S1E_jjP12ihipStream_tbEUljE_ZNSN_ISO_Lb1ESQ_SR_ST_SU_SY_EESZ_S10_S11_S12_S16_S17_S18_S1B_S1C_jS1D_jS1E_S1E_jjS1G_bEUljE0_EEESZ_S10_S11_S18_S1C_S1E_T6_T7_T9_mT8_S1G_bDpT10_ENKUlT_T0_E_clISt17integral_constantIbLb0EES1U_EEDaS1P_S1Q_EUlS1P_E_NS1_11comp_targetILNS1_3genE8ELNS1_11target_archE1030ELNS1_3gpuE2ELNS1_3repE0EEENS1_30default_config_static_selectorELNS0_4arch9wavefront6targetE0EEEvS12_.numbered_sgpr, 0
	.set _ZN7rocprim17ROCPRIM_400000_NS6detail17trampoline_kernelINS0_13select_configILj256ELj13ELNS0_17block_load_methodE3ELS4_3ELS4_3ELNS0_20block_scan_algorithmE0ELj4294967295EEENS1_25partition_config_selectorILNS1_17partition_subalgoE4EjNS0_10empty_typeEbEEZZNS1_14partition_implILS8_4ELb0ES6_15HIP_vector_typeIjLj2EENS0_17counting_iteratorIjlEEPS9_SG_NS0_5tupleIJPjSI_NS0_16reverse_iteratorISI_EEEEENSH_IJSG_SG_SG_EEES9_SI_JZNS1_25segmented_radix_sort_implINS0_14default_configELb1EPKdPdPKlPlN2at6native12_GLOBAL__N_18offset_tEEE10hipError_tPvRmT1_PNSt15iterator_traitsIS12_E10value_typeET2_T3_PNS13_IS18_E10value_typeET4_jRbjT5_S1E_jjP12ihipStream_tbEUljE_ZNSN_ISO_Lb1ESQ_SR_ST_SU_SY_EESZ_S10_S11_S12_S16_S17_S18_S1B_S1C_jS1D_jS1E_S1E_jjS1G_bEUljE0_EEESZ_S10_S11_S18_S1C_S1E_T6_T7_T9_mT8_S1G_bDpT10_ENKUlT_T0_E_clISt17integral_constantIbLb0EES1U_EEDaS1P_S1Q_EUlS1P_E_NS1_11comp_targetILNS1_3genE8ELNS1_11target_archE1030ELNS1_3gpuE2ELNS1_3repE0EEENS1_30default_config_static_selectorELNS0_4arch9wavefront6targetE0EEEvS12_.num_named_barrier, 0
	.set _ZN7rocprim17ROCPRIM_400000_NS6detail17trampoline_kernelINS0_13select_configILj256ELj13ELNS0_17block_load_methodE3ELS4_3ELS4_3ELNS0_20block_scan_algorithmE0ELj4294967295EEENS1_25partition_config_selectorILNS1_17partition_subalgoE4EjNS0_10empty_typeEbEEZZNS1_14partition_implILS8_4ELb0ES6_15HIP_vector_typeIjLj2EENS0_17counting_iteratorIjlEEPS9_SG_NS0_5tupleIJPjSI_NS0_16reverse_iteratorISI_EEEEENSH_IJSG_SG_SG_EEES9_SI_JZNS1_25segmented_radix_sort_implINS0_14default_configELb1EPKdPdPKlPlN2at6native12_GLOBAL__N_18offset_tEEE10hipError_tPvRmT1_PNSt15iterator_traitsIS12_E10value_typeET2_T3_PNS13_IS18_E10value_typeET4_jRbjT5_S1E_jjP12ihipStream_tbEUljE_ZNSN_ISO_Lb1ESQ_SR_ST_SU_SY_EESZ_S10_S11_S12_S16_S17_S18_S1B_S1C_jS1D_jS1E_S1E_jjS1G_bEUljE0_EEESZ_S10_S11_S18_S1C_S1E_T6_T7_T9_mT8_S1G_bDpT10_ENKUlT_T0_E_clISt17integral_constantIbLb0EES1U_EEDaS1P_S1Q_EUlS1P_E_NS1_11comp_targetILNS1_3genE8ELNS1_11target_archE1030ELNS1_3gpuE2ELNS1_3repE0EEENS1_30default_config_static_selectorELNS0_4arch9wavefront6targetE0EEEvS12_.private_seg_size, 0
	.set _ZN7rocprim17ROCPRIM_400000_NS6detail17trampoline_kernelINS0_13select_configILj256ELj13ELNS0_17block_load_methodE3ELS4_3ELS4_3ELNS0_20block_scan_algorithmE0ELj4294967295EEENS1_25partition_config_selectorILNS1_17partition_subalgoE4EjNS0_10empty_typeEbEEZZNS1_14partition_implILS8_4ELb0ES6_15HIP_vector_typeIjLj2EENS0_17counting_iteratorIjlEEPS9_SG_NS0_5tupleIJPjSI_NS0_16reverse_iteratorISI_EEEEENSH_IJSG_SG_SG_EEES9_SI_JZNS1_25segmented_radix_sort_implINS0_14default_configELb1EPKdPdPKlPlN2at6native12_GLOBAL__N_18offset_tEEE10hipError_tPvRmT1_PNSt15iterator_traitsIS12_E10value_typeET2_T3_PNS13_IS18_E10value_typeET4_jRbjT5_S1E_jjP12ihipStream_tbEUljE_ZNSN_ISO_Lb1ESQ_SR_ST_SU_SY_EESZ_S10_S11_S12_S16_S17_S18_S1B_S1C_jS1D_jS1E_S1E_jjS1G_bEUljE0_EEESZ_S10_S11_S18_S1C_S1E_T6_T7_T9_mT8_S1G_bDpT10_ENKUlT_T0_E_clISt17integral_constantIbLb0EES1U_EEDaS1P_S1Q_EUlS1P_E_NS1_11comp_targetILNS1_3genE8ELNS1_11target_archE1030ELNS1_3gpuE2ELNS1_3repE0EEENS1_30default_config_static_selectorELNS0_4arch9wavefront6targetE0EEEvS12_.uses_vcc, 0
	.set _ZN7rocprim17ROCPRIM_400000_NS6detail17trampoline_kernelINS0_13select_configILj256ELj13ELNS0_17block_load_methodE3ELS4_3ELS4_3ELNS0_20block_scan_algorithmE0ELj4294967295EEENS1_25partition_config_selectorILNS1_17partition_subalgoE4EjNS0_10empty_typeEbEEZZNS1_14partition_implILS8_4ELb0ES6_15HIP_vector_typeIjLj2EENS0_17counting_iteratorIjlEEPS9_SG_NS0_5tupleIJPjSI_NS0_16reverse_iteratorISI_EEEEENSH_IJSG_SG_SG_EEES9_SI_JZNS1_25segmented_radix_sort_implINS0_14default_configELb1EPKdPdPKlPlN2at6native12_GLOBAL__N_18offset_tEEE10hipError_tPvRmT1_PNSt15iterator_traitsIS12_E10value_typeET2_T3_PNS13_IS18_E10value_typeET4_jRbjT5_S1E_jjP12ihipStream_tbEUljE_ZNSN_ISO_Lb1ESQ_SR_ST_SU_SY_EESZ_S10_S11_S12_S16_S17_S18_S1B_S1C_jS1D_jS1E_S1E_jjS1G_bEUljE0_EEESZ_S10_S11_S18_S1C_S1E_T6_T7_T9_mT8_S1G_bDpT10_ENKUlT_T0_E_clISt17integral_constantIbLb0EES1U_EEDaS1P_S1Q_EUlS1P_E_NS1_11comp_targetILNS1_3genE8ELNS1_11target_archE1030ELNS1_3gpuE2ELNS1_3repE0EEENS1_30default_config_static_selectorELNS0_4arch9wavefront6targetE0EEEvS12_.uses_flat_scratch, 0
	.set _ZN7rocprim17ROCPRIM_400000_NS6detail17trampoline_kernelINS0_13select_configILj256ELj13ELNS0_17block_load_methodE3ELS4_3ELS4_3ELNS0_20block_scan_algorithmE0ELj4294967295EEENS1_25partition_config_selectorILNS1_17partition_subalgoE4EjNS0_10empty_typeEbEEZZNS1_14partition_implILS8_4ELb0ES6_15HIP_vector_typeIjLj2EENS0_17counting_iteratorIjlEEPS9_SG_NS0_5tupleIJPjSI_NS0_16reverse_iteratorISI_EEEEENSH_IJSG_SG_SG_EEES9_SI_JZNS1_25segmented_radix_sort_implINS0_14default_configELb1EPKdPdPKlPlN2at6native12_GLOBAL__N_18offset_tEEE10hipError_tPvRmT1_PNSt15iterator_traitsIS12_E10value_typeET2_T3_PNS13_IS18_E10value_typeET4_jRbjT5_S1E_jjP12ihipStream_tbEUljE_ZNSN_ISO_Lb1ESQ_SR_ST_SU_SY_EESZ_S10_S11_S12_S16_S17_S18_S1B_S1C_jS1D_jS1E_S1E_jjS1G_bEUljE0_EEESZ_S10_S11_S18_S1C_S1E_T6_T7_T9_mT8_S1G_bDpT10_ENKUlT_T0_E_clISt17integral_constantIbLb0EES1U_EEDaS1P_S1Q_EUlS1P_E_NS1_11comp_targetILNS1_3genE8ELNS1_11target_archE1030ELNS1_3gpuE2ELNS1_3repE0EEENS1_30default_config_static_selectorELNS0_4arch9wavefront6targetE0EEEvS12_.has_dyn_sized_stack, 0
	.set _ZN7rocprim17ROCPRIM_400000_NS6detail17trampoline_kernelINS0_13select_configILj256ELj13ELNS0_17block_load_methodE3ELS4_3ELS4_3ELNS0_20block_scan_algorithmE0ELj4294967295EEENS1_25partition_config_selectorILNS1_17partition_subalgoE4EjNS0_10empty_typeEbEEZZNS1_14partition_implILS8_4ELb0ES6_15HIP_vector_typeIjLj2EENS0_17counting_iteratorIjlEEPS9_SG_NS0_5tupleIJPjSI_NS0_16reverse_iteratorISI_EEEEENSH_IJSG_SG_SG_EEES9_SI_JZNS1_25segmented_radix_sort_implINS0_14default_configELb1EPKdPdPKlPlN2at6native12_GLOBAL__N_18offset_tEEE10hipError_tPvRmT1_PNSt15iterator_traitsIS12_E10value_typeET2_T3_PNS13_IS18_E10value_typeET4_jRbjT5_S1E_jjP12ihipStream_tbEUljE_ZNSN_ISO_Lb1ESQ_SR_ST_SU_SY_EESZ_S10_S11_S12_S16_S17_S18_S1B_S1C_jS1D_jS1E_S1E_jjS1G_bEUljE0_EEESZ_S10_S11_S18_S1C_S1E_T6_T7_T9_mT8_S1G_bDpT10_ENKUlT_T0_E_clISt17integral_constantIbLb0EES1U_EEDaS1P_S1Q_EUlS1P_E_NS1_11comp_targetILNS1_3genE8ELNS1_11target_archE1030ELNS1_3gpuE2ELNS1_3repE0EEENS1_30default_config_static_selectorELNS0_4arch9wavefront6targetE0EEEvS12_.has_recursion, 0
	.set _ZN7rocprim17ROCPRIM_400000_NS6detail17trampoline_kernelINS0_13select_configILj256ELj13ELNS0_17block_load_methodE3ELS4_3ELS4_3ELNS0_20block_scan_algorithmE0ELj4294967295EEENS1_25partition_config_selectorILNS1_17partition_subalgoE4EjNS0_10empty_typeEbEEZZNS1_14partition_implILS8_4ELb0ES6_15HIP_vector_typeIjLj2EENS0_17counting_iteratorIjlEEPS9_SG_NS0_5tupleIJPjSI_NS0_16reverse_iteratorISI_EEEEENSH_IJSG_SG_SG_EEES9_SI_JZNS1_25segmented_radix_sort_implINS0_14default_configELb1EPKdPdPKlPlN2at6native12_GLOBAL__N_18offset_tEEE10hipError_tPvRmT1_PNSt15iterator_traitsIS12_E10value_typeET2_T3_PNS13_IS18_E10value_typeET4_jRbjT5_S1E_jjP12ihipStream_tbEUljE_ZNSN_ISO_Lb1ESQ_SR_ST_SU_SY_EESZ_S10_S11_S12_S16_S17_S18_S1B_S1C_jS1D_jS1E_S1E_jjS1G_bEUljE0_EEESZ_S10_S11_S18_S1C_S1E_T6_T7_T9_mT8_S1G_bDpT10_ENKUlT_T0_E_clISt17integral_constantIbLb0EES1U_EEDaS1P_S1Q_EUlS1P_E_NS1_11comp_targetILNS1_3genE8ELNS1_11target_archE1030ELNS1_3gpuE2ELNS1_3repE0EEENS1_30default_config_static_selectorELNS0_4arch9wavefront6targetE0EEEvS12_.has_indirect_call, 0
	.section	.AMDGPU.csdata,"",@progbits
; Kernel info:
; codeLenInByte = 0
; TotalNumSgprs: 0
; NumVgprs: 0
; ScratchSize: 0
; MemoryBound: 0
; FloatMode: 240
; IeeeMode: 1
; LDSByteSize: 0 bytes/workgroup (compile time only)
; SGPRBlocks: 0
; VGPRBlocks: 0
; NumSGPRsForWavesPerEU: 1
; NumVGPRsForWavesPerEU: 1
; NamedBarCnt: 0
; Occupancy: 16
; WaveLimiterHint : 0
; COMPUTE_PGM_RSRC2:SCRATCH_EN: 0
; COMPUTE_PGM_RSRC2:USER_SGPR: 2
; COMPUTE_PGM_RSRC2:TRAP_HANDLER: 0
; COMPUTE_PGM_RSRC2:TGID_X_EN: 1
; COMPUTE_PGM_RSRC2:TGID_Y_EN: 0
; COMPUTE_PGM_RSRC2:TGID_Z_EN: 0
; COMPUTE_PGM_RSRC2:TIDIG_COMP_CNT: 0
	.section	.text._ZN7rocprim17ROCPRIM_400000_NS6detail17trampoline_kernelINS0_13select_configILj256ELj13ELNS0_17block_load_methodE3ELS4_3ELS4_3ELNS0_20block_scan_algorithmE0ELj4294967295EEENS1_25partition_config_selectorILNS1_17partition_subalgoE4EjNS0_10empty_typeEbEEZZNS1_14partition_implILS8_4ELb0ES6_15HIP_vector_typeIjLj2EENS0_17counting_iteratorIjlEEPS9_SG_NS0_5tupleIJPjSI_NS0_16reverse_iteratorISI_EEEEENSH_IJSG_SG_SG_EEES9_SI_JZNS1_25segmented_radix_sort_implINS0_14default_configELb1EPKdPdPKlPlN2at6native12_GLOBAL__N_18offset_tEEE10hipError_tPvRmT1_PNSt15iterator_traitsIS12_E10value_typeET2_T3_PNS13_IS18_E10value_typeET4_jRbjT5_S1E_jjP12ihipStream_tbEUljE_ZNSN_ISO_Lb1ESQ_SR_ST_SU_SY_EESZ_S10_S11_S12_S16_S17_S18_S1B_S1C_jS1D_jS1E_S1E_jjS1G_bEUljE0_EEESZ_S10_S11_S18_S1C_S1E_T6_T7_T9_mT8_S1G_bDpT10_ENKUlT_T0_E_clISt17integral_constantIbLb1EES1U_EEDaS1P_S1Q_EUlS1P_E_NS1_11comp_targetILNS1_3genE0ELNS1_11target_archE4294967295ELNS1_3gpuE0ELNS1_3repE0EEENS1_30default_config_static_selectorELNS0_4arch9wavefront6targetE0EEEvS12_,"axG",@progbits,_ZN7rocprim17ROCPRIM_400000_NS6detail17trampoline_kernelINS0_13select_configILj256ELj13ELNS0_17block_load_methodE3ELS4_3ELS4_3ELNS0_20block_scan_algorithmE0ELj4294967295EEENS1_25partition_config_selectorILNS1_17partition_subalgoE4EjNS0_10empty_typeEbEEZZNS1_14partition_implILS8_4ELb0ES6_15HIP_vector_typeIjLj2EENS0_17counting_iteratorIjlEEPS9_SG_NS0_5tupleIJPjSI_NS0_16reverse_iteratorISI_EEEEENSH_IJSG_SG_SG_EEES9_SI_JZNS1_25segmented_radix_sort_implINS0_14default_configELb1EPKdPdPKlPlN2at6native12_GLOBAL__N_18offset_tEEE10hipError_tPvRmT1_PNSt15iterator_traitsIS12_E10value_typeET2_T3_PNS13_IS18_E10value_typeET4_jRbjT5_S1E_jjP12ihipStream_tbEUljE_ZNSN_ISO_Lb1ESQ_SR_ST_SU_SY_EESZ_S10_S11_S12_S16_S17_S18_S1B_S1C_jS1D_jS1E_S1E_jjS1G_bEUljE0_EEESZ_S10_S11_S18_S1C_S1E_T6_T7_T9_mT8_S1G_bDpT10_ENKUlT_T0_E_clISt17integral_constantIbLb1EES1U_EEDaS1P_S1Q_EUlS1P_E_NS1_11comp_targetILNS1_3genE0ELNS1_11target_archE4294967295ELNS1_3gpuE0ELNS1_3repE0EEENS1_30default_config_static_selectorELNS0_4arch9wavefront6targetE0EEEvS12_,comdat
	.globl	_ZN7rocprim17ROCPRIM_400000_NS6detail17trampoline_kernelINS0_13select_configILj256ELj13ELNS0_17block_load_methodE3ELS4_3ELS4_3ELNS0_20block_scan_algorithmE0ELj4294967295EEENS1_25partition_config_selectorILNS1_17partition_subalgoE4EjNS0_10empty_typeEbEEZZNS1_14partition_implILS8_4ELb0ES6_15HIP_vector_typeIjLj2EENS0_17counting_iteratorIjlEEPS9_SG_NS0_5tupleIJPjSI_NS0_16reverse_iteratorISI_EEEEENSH_IJSG_SG_SG_EEES9_SI_JZNS1_25segmented_radix_sort_implINS0_14default_configELb1EPKdPdPKlPlN2at6native12_GLOBAL__N_18offset_tEEE10hipError_tPvRmT1_PNSt15iterator_traitsIS12_E10value_typeET2_T3_PNS13_IS18_E10value_typeET4_jRbjT5_S1E_jjP12ihipStream_tbEUljE_ZNSN_ISO_Lb1ESQ_SR_ST_SU_SY_EESZ_S10_S11_S12_S16_S17_S18_S1B_S1C_jS1D_jS1E_S1E_jjS1G_bEUljE0_EEESZ_S10_S11_S18_S1C_S1E_T6_T7_T9_mT8_S1G_bDpT10_ENKUlT_T0_E_clISt17integral_constantIbLb1EES1U_EEDaS1P_S1Q_EUlS1P_E_NS1_11comp_targetILNS1_3genE0ELNS1_11target_archE4294967295ELNS1_3gpuE0ELNS1_3repE0EEENS1_30default_config_static_selectorELNS0_4arch9wavefront6targetE0EEEvS12_ ; -- Begin function _ZN7rocprim17ROCPRIM_400000_NS6detail17trampoline_kernelINS0_13select_configILj256ELj13ELNS0_17block_load_methodE3ELS4_3ELS4_3ELNS0_20block_scan_algorithmE0ELj4294967295EEENS1_25partition_config_selectorILNS1_17partition_subalgoE4EjNS0_10empty_typeEbEEZZNS1_14partition_implILS8_4ELb0ES6_15HIP_vector_typeIjLj2EENS0_17counting_iteratorIjlEEPS9_SG_NS0_5tupleIJPjSI_NS0_16reverse_iteratorISI_EEEEENSH_IJSG_SG_SG_EEES9_SI_JZNS1_25segmented_radix_sort_implINS0_14default_configELb1EPKdPdPKlPlN2at6native12_GLOBAL__N_18offset_tEEE10hipError_tPvRmT1_PNSt15iterator_traitsIS12_E10value_typeET2_T3_PNS13_IS18_E10value_typeET4_jRbjT5_S1E_jjP12ihipStream_tbEUljE_ZNSN_ISO_Lb1ESQ_SR_ST_SU_SY_EESZ_S10_S11_S12_S16_S17_S18_S1B_S1C_jS1D_jS1E_S1E_jjS1G_bEUljE0_EEESZ_S10_S11_S18_S1C_S1E_T6_T7_T9_mT8_S1G_bDpT10_ENKUlT_T0_E_clISt17integral_constantIbLb1EES1U_EEDaS1P_S1Q_EUlS1P_E_NS1_11comp_targetILNS1_3genE0ELNS1_11target_archE4294967295ELNS1_3gpuE0ELNS1_3repE0EEENS1_30default_config_static_selectorELNS0_4arch9wavefront6targetE0EEEvS12_
	.p2align	8
	.type	_ZN7rocprim17ROCPRIM_400000_NS6detail17trampoline_kernelINS0_13select_configILj256ELj13ELNS0_17block_load_methodE3ELS4_3ELS4_3ELNS0_20block_scan_algorithmE0ELj4294967295EEENS1_25partition_config_selectorILNS1_17partition_subalgoE4EjNS0_10empty_typeEbEEZZNS1_14partition_implILS8_4ELb0ES6_15HIP_vector_typeIjLj2EENS0_17counting_iteratorIjlEEPS9_SG_NS0_5tupleIJPjSI_NS0_16reverse_iteratorISI_EEEEENSH_IJSG_SG_SG_EEES9_SI_JZNS1_25segmented_radix_sort_implINS0_14default_configELb1EPKdPdPKlPlN2at6native12_GLOBAL__N_18offset_tEEE10hipError_tPvRmT1_PNSt15iterator_traitsIS12_E10value_typeET2_T3_PNS13_IS18_E10value_typeET4_jRbjT5_S1E_jjP12ihipStream_tbEUljE_ZNSN_ISO_Lb1ESQ_SR_ST_SU_SY_EESZ_S10_S11_S12_S16_S17_S18_S1B_S1C_jS1D_jS1E_S1E_jjS1G_bEUljE0_EEESZ_S10_S11_S18_S1C_S1E_T6_T7_T9_mT8_S1G_bDpT10_ENKUlT_T0_E_clISt17integral_constantIbLb1EES1U_EEDaS1P_S1Q_EUlS1P_E_NS1_11comp_targetILNS1_3genE0ELNS1_11target_archE4294967295ELNS1_3gpuE0ELNS1_3repE0EEENS1_30default_config_static_selectorELNS0_4arch9wavefront6targetE0EEEvS12_,@function
_ZN7rocprim17ROCPRIM_400000_NS6detail17trampoline_kernelINS0_13select_configILj256ELj13ELNS0_17block_load_methodE3ELS4_3ELS4_3ELNS0_20block_scan_algorithmE0ELj4294967295EEENS1_25partition_config_selectorILNS1_17partition_subalgoE4EjNS0_10empty_typeEbEEZZNS1_14partition_implILS8_4ELb0ES6_15HIP_vector_typeIjLj2EENS0_17counting_iteratorIjlEEPS9_SG_NS0_5tupleIJPjSI_NS0_16reverse_iteratorISI_EEEEENSH_IJSG_SG_SG_EEES9_SI_JZNS1_25segmented_radix_sort_implINS0_14default_configELb1EPKdPdPKlPlN2at6native12_GLOBAL__N_18offset_tEEE10hipError_tPvRmT1_PNSt15iterator_traitsIS12_E10value_typeET2_T3_PNS13_IS18_E10value_typeET4_jRbjT5_S1E_jjP12ihipStream_tbEUljE_ZNSN_ISO_Lb1ESQ_SR_ST_SU_SY_EESZ_S10_S11_S12_S16_S17_S18_S1B_S1C_jS1D_jS1E_S1E_jjS1G_bEUljE0_EEESZ_S10_S11_S18_S1C_S1E_T6_T7_T9_mT8_S1G_bDpT10_ENKUlT_T0_E_clISt17integral_constantIbLb1EES1U_EEDaS1P_S1Q_EUlS1P_E_NS1_11comp_targetILNS1_3genE0ELNS1_11target_archE4294967295ELNS1_3gpuE0ELNS1_3repE0EEENS1_30default_config_static_selectorELNS0_4arch9wavefront6targetE0EEEvS12_: ; @_ZN7rocprim17ROCPRIM_400000_NS6detail17trampoline_kernelINS0_13select_configILj256ELj13ELNS0_17block_load_methodE3ELS4_3ELS4_3ELNS0_20block_scan_algorithmE0ELj4294967295EEENS1_25partition_config_selectorILNS1_17partition_subalgoE4EjNS0_10empty_typeEbEEZZNS1_14partition_implILS8_4ELb0ES6_15HIP_vector_typeIjLj2EENS0_17counting_iteratorIjlEEPS9_SG_NS0_5tupleIJPjSI_NS0_16reverse_iteratorISI_EEEEENSH_IJSG_SG_SG_EEES9_SI_JZNS1_25segmented_radix_sort_implINS0_14default_configELb1EPKdPdPKlPlN2at6native12_GLOBAL__N_18offset_tEEE10hipError_tPvRmT1_PNSt15iterator_traitsIS12_E10value_typeET2_T3_PNS13_IS18_E10value_typeET4_jRbjT5_S1E_jjP12ihipStream_tbEUljE_ZNSN_ISO_Lb1ESQ_SR_ST_SU_SY_EESZ_S10_S11_S12_S16_S17_S18_S1B_S1C_jS1D_jS1E_S1E_jjS1G_bEUljE0_EEESZ_S10_S11_S18_S1C_S1E_T6_T7_T9_mT8_S1G_bDpT10_ENKUlT_T0_E_clISt17integral_constantIbLb1EES1U_EEDaS1P_S1Q_EUlS1P_E_NS1_11comp_targetILNS1_3genE0ELNS1_11target_archE4294967295ELNS1_3gpuE0ELNS1_3repE0EEENS1_30default_config_static_selectorELNS0_4arch9wavefront6targetE0EEEvS12_
; %bb.0:
	s_endpgm
	.section	.rodata,"a",@progbits
	.p2align	6, 0x0
	.amdhsa_kernel _ZN7rocprim17ROCPRIM_400000_NS6detail17trampoline_kernelINS0_13select_configILj256ELj13ELNS0_17block_load_methodE3ELS4_3ELS4_3ELNS0_20block_scan_algorithmE0ELj4294967295EEENS1_25partition_config_selectorILNS1_17partition_subalgoE4EjNS0_10empty_typeEbEEZZNS1_14partition_implILS8_4ELb0ES6_15HIP_vector_typeIjLj2EENS0_17counting_iteratorIjlEEPS9_SG_NS0_5tupleIJPjSI_NS0_16reverse_iteratorISI_EEEEENSH_IJSG_SG_SG_EEES9_SI_JZNS1_25segmented_radix_sort_implINS0_14default_configELb1EPKdPdPKlPlN2at6native12_GLOBAL__N_18offset_tEEE10hipError_tPvRmT1_PNSt15iterator_traitsIS12_E10value_typeET2_T3_PNS13_IS18_E10value_typeET4_jRbjT5_S1E_jjP12ihipStream_tbEUljE_ZNSN_ISO_Lb1ESQ_SR_ST_SU_SY_EESZ_S10_S11_S12_S16_S17_S18_S1B_S1C_jS1D_jS1E_S1E_jjS1G_bEUljE0_EEESZ_S10_S11_S18_S1C_S1E_T6_T7_T9_mT8_S1G_bDpT10_ENKUlT_T0_E_clISt17integral_constantIbLb1EES1U_EEDaS1P_S1Q_EUlS1P_E_NS1_11comp_targetILNS1_3genE0ELNS1_11target_archE4294967295ELNS1_3gpuE0ELNS1_3repE0EEENS1_30default_config_static_selectorELNS0_4arch9wavefront6targetE0EEEvS12_
		.amdhsa_group_segment_fixed_size 0
		.amdhsa_private_segment_fixed_size 0
		.amdhsa_kernarg_size 184
		.amdhsa_user_sgpr_count 2
		.amdhsa_user_sgpr_dispatch_ptr 0
		.amdhsa_user_sgpr_queue_ptr 0
		.amdhsa_user_sgpr_kernarg_segment_ptr 1
		.amdhsa_user_sgpr_dispatch_id 0
		.amdhsa_user_sgpr_kernarg_preload_length 0
		.amdhsa_user_sgpr_kernarg_preload_offset 0
		.amdhsa_user_sgpr_private_segment_size 0
		.amdhsa_wavefront_size32 1
		.amdhsa_uses_dynamic_stack 0
		.amdhsa_enable_private_segment 0
		.amdhsa_system_sgpr_workgroup_id_x 1
		.amdhsa_system_sgpr_workgroup_id_y 0
		.amdhsa_system_sgpr_workgroup_id_z 0
		.amdhsa_system_sgpr_workgroup_info 0
		.amdhsa_system_vgpr_workitem_id 0
		.amdhsa_next_free_vgpr 1
		.amdhsa_next_free_sgpr 1
		.amdhsa_named_barrier_count 0
		.amdhsa_reserve_vcc 0
		.amdhsa_float_round_mode_32 0
		.amdhsa_float_round_mode_16_64 0
		.amdhsa_float_denorm_mode_32 3
		.amdhsa_float_denorm_mode_16_64 3
		.amdhsa_fp16_overflow 0
		.amdhsa_memory_ordered 1
		.amdhsa_forward_progress 1
		.amdhsa_inst_pref_size 1
		.amdhsa_round_robin_scheduling 0
		.amdhsa_exception_fp_ieee_invalid_op 0
		.amdhsa_exception_fp_denorm_src 0
		.amdhsa_exception_fp_ieee_div_zero 0
		.amdhsa_exception_fp_ieee_overflow 0
		.amdhsa_exception_fp_ieee_underflow 0
		.amdhsa_exception_fp_ieee_inexact 0
		.amdhsa_exception_int_div_zero 0
	.end_amdhsa_kernel
	.section	.text._ZN7rocprim17ROCPRIM_400000_NS6detail17trampoline_kernelINS0_13select_configILj256ELj13ELNS0_17block_load_methodE3ELS4_3ELS4_3ELNS0_20block_scan_algorithmE0ELj4294967295EEENS1_25partition_config_selectorILNS1_17partition_subalgoE4EjNS0_10empty_typeEbEEZZNS1_14partition_implILS8_4ELb0ES6_15HIP_vector_typeIjLj2EENS0_17counting_iteratorIjlEEPS9_SG_NS0_5tupleIJPjSI_NS0_16reverse_iteratorISI_EEEEENSH_IJSG_SG_SG_EEES9_SI_JZNS1_25segmented_radix_sort_implINS0_14default_configELb1EPKdPdPKlPlN2at6native12_GLOBAL__N_18offset_tEEE10hipError_tPvRmT1_PNSt15iterator_traitsIS12_E10value_typeET2_T3_PNS13_IS18_E10value_typeET4_jRbjT5_S1E_jjP12ihipStream_tbEUljE_ZNSN_ISO_Lb1ESQ_SR_ST_SU_SY_EESZ_S10_S11_S12_S16_S17_S18_S1B_S1C_jS1D_jS1E_S1E_jjS1G_bEUljE0_EEESZ_S10_S11_S18_S1C_S1E_T6_T7_T9_mT8_S1G_bDpT10_ENKUlT_T0_E_clISt17integral_constantIbLb1EES1U_EEDaS1P_S1Q_EUlS1P_E_NS1_11comp_targetILNS1_3genE0ELNS1_11target_archE4294967295ELNS1_3gpuE0ELNS1_3repE0EEENS1_30default_config_static_selectorELNS0_4arch9wavefront6targetE0EEEvS12_,"axG",@progbits,_ZN7rocprim17ROCPRIM_400000_NS6detail17trampoline_kernelINS0_13select_configILj256ELj13ELNS0_17block_load_methodE3ELS4_3ELS4_3ELNS0_20block_scan_algorithmE0ELj4294967295EEENS1_25partition_config_selectorILNS1_17partition_subalgoE4EjNS0_10empty_typeEbEEZZNS1_14partition_implILS8_4ELb0ES6_15HIP_vector_typeIjLj2EENS0_17counting_iteratorIjlEEPS9_SG_NS0_5tupleIJPjSI_NS0_16reverse_iteratorISI_EEEEENSH_IJSG_SG_SG_EEES9_SI_JZNS1_25segmented_radix_sort_implINS0_14default_configELb1EPKdPdPKlPlN2at6native12_GLOBAL__N_18offset_tEEE10hipError_tPvRmT1_PNSt15iterator_traitsIS12_E10value_typeET2_T3_PNS13_IS18_E10value_typeET4_jRbjT5_S1E_jjP12ihipStream_tbEUljE_ZNSN_ISO_Lb1ESQ_SR_ST_SU_SY_EESZ_S10_S11_S12_S16_S17_S18_S1B_S1C_jS1D_jS1E_S1E_jjS1G_bEUljE0_EEESZ_S10_S11_S18_S1C_S1E_T6_T7_T9_mT8_S1G_bDpT10_ENKUlT_T0_E_clISt17integral_constantIbLb1EES1U_EEDaS1P_S1Q_EUlS1P_E_NS1_11comp_targetILNS1_3genE0ELNS1_11target_archE4294967295ELNS1_3gpuE0ELNS1_3repE0EEENS1_30default_config_static_selectorELNS0_4arch9wavefront6targetE0EEEvS12_,comdat
.Lfunc_end1056:
	.size	_ZN7rocprim17ROCPRIM_400000_NS6detail17trampoline_kernelINS0_13select_configILj256ELj13ELNS0_17block_load_methodE3ELS4_3ELS4_3ELNS0_20block_scan_algorithmE0ELj4294967295EEENS1_25partition_config_selectorILNS1_17partition_subalgoE4EjNS0_10empty_typeEbEEZZNS1_14partition_implILS8_4ELb0ES6_15HIP_vector_typeIjLj2EENS0_17counting_iteratorIjlEEPS9_SG_NS0_5tupleIJPjSI_NS0_16reverse_iteratorISI_EEEEENSH_IJSG_SG_SG_EEES9_SI_JZNS1_25segmented_radix_sort_implINS0_14default_configELb1EPKdPdPKlPlN2at6native12_GLOBAL__N_18offset_tEEE10hipError_tPvRmT1_PNSt15iterator_traitsIS12_E10value_typeET2_T3_PNS13_IS18_E10value_typeET4_jRbjT5_S1E_jjP12ihipStream_tbEUljE_ZNSN_ISO_Lb1ESQ_SR_ST_SU_SY_EESZ_S10_S11_S12_S16_S17_S18_S1B_S1C_jS1D_jS1E_S1E_jjS1G_bEUljE0_EEESZ_S10_S11_S18_S1C_S1E_T6_T7_T9_mT8_S1G_bDpT10_ENKUlT_T0_E_clISt17integral_constantIbLb1EES1U_EEDaS1P_S1Q_EUlS1P_E_NS1_11comp_targetILNS1_3genE0ELNS1_11target_archE4294967295ELNS1_3gpuE0ELNS1_3repE0EEENS1_30default_config_static_selectorELNS0_4arch9wavefront6targetE0EEEvS12_, .Lfunc_end1056-_ZN7rocprim17ROCPRIM_400000_NS6detail17trampoline_kernelINS0_13select_configILj256ELj13ELNS0_17block_load_methodE3ELS4_3ELS4_3ELNS0_20block_scan_algorithmE0ELj4294967295EEENS1_25partition_config_selectorILNS1_17partition_subalgoE4EjNS0_10empty_typeEbEEZZNS1_14partition_implILS8_4ELb0ES6_15HIP_vector_typeIjLj2EENS0_17counting_iteratorIjlEEPS9_SG_NS0_5tupleIJPjSI_NS0_16reverse_iteratorISI_EEEEENSH_IJSG_SG_SG_EEES9_SI_JZNS1_25segmented_radix_sort_implINS0_14default_configELb1EPKdPdPKlPlN2at6native12_GLOBAL__N_18offset_tEEE10hipError_tPvRmT1_PNSt15iterator_traitsIS12_E10value_typeET2_T3_PNS13_IS18_E10value_typeET4_jRbjT5_S1E_jjP12ihipStream_tbEUljE_ZNSN_ISO_Lb1ESQ_SR_ST_SU_SY_EESZ_S10_S11_S12_S16_S17_S18_S1B_S1C_jS1D_jS1E_S1E_jjS1G_bEUljE0_EEESZ_S10_S11_S18_S1C_S1E_T6_T7_T9_mT8_S1G_bDpT10_ENKUlT_T0_E_clISt17integral_constantIbLb1EES1U_EEDaS1P_S1Q_EUlS1P_E_NS1_11comp_targetILNS1_3genE0ELNS1_11target_archE4294967295ELNS1_3gpuE0ELNS1_3repE0EEENS1_30default_config_static_selectorELNS0_4arch9wavefront6targetE0EEEvS12_
                                        ; -- End function
	.set _ZN7rocprim17ROCPRIM_400000_NS6detail17trampoline_kernelINS0_13select_configILj256ELj13ELNS0_17block_load_methodE3ELS4_3ELS4_3ELNS0_20block_scan_algorithmE0ELj4294967295EEENS1_25partition_config_selectorILNS1_17partition_subalgoE4EjNS0_10empty_typeEbEEZZNS1_14partition_implILS8_4ELb0ES6_15HIP_vector_typeIjLj2EENS0_17counting_iteratorIjlEEPS9_SG_NS0_5tupleIJPjSI_NS0_16reverse_iteratorISI_EEEEENSH_IJSG_SG_SG_EEES9_SI_JZNS1_25segmented_radix_sort_implINS0_14default_configELb1EPKdPdPKlPlN2at6native12_GLOBAL__N_18offset_tEEE10hipError_tPvRmT1_PNSt15iterator_traitsIS12_E10value_typeET2_T3_PNS13_IS18_E10value_typeET4_jRbjT5_S1E_jjP12ihipStream_tbEUljE_ZNSN_ISO_Lb1ESQ_SR_ST_SU_SY_EESZ_S10_S11_S12_S16_S17_S18_S1B_S1C_jS1D_jS1E_S1E_jjS1G_bEUljE0_EEESZ_S10_S11_S18_S1C_S1E_T6_T7_T9_mT8_S1G_bDpT10_ENKUlT_T0_E_clISt17integral_constantIbLb1EES1U_EEDaS1P_S1Q_EUlS1P_E_NS1_11comp_targetILNS1_3genE0ELNS1_11target_archE4294967295ELNS1_3gpuE0ELNS1_3repE0EEENS1_30default_config_static_selectorELNS0_4arch9wavefront6targetE0EEEvS12_.num_vgpr, 0
	.set _ZN7rocprim17ROCPRIM_400000_NS6detail17trampoline_kernelINS0_13select_configILj256ELj13ELNS0_17block_load_methodE3ELS4_3ELS4_3ELNS0_20block_scan_algorithmE0ELj4294967295EEENS1_25partition_config_selectorILNS1_17partition_subalgoE4EjNS0_10empty_typeEbEEZZNS1_14partition_implILS8_4ELb0ES6_15HIP_vector_typeIjLj2EENS0_17counting_iteratorIjlEEPS9_SG_NS0_5tupleIJPjSI_NS0_16reverse_iteratorISI_EEEEENSH_IJSG_SG_SG_EEES9_SI_JZNS1_25segmented_radix_sort_implINS0_14default_configELb1EPKdPdPKlPlN2at6native12_GLOBAL__N_18offset_tEEE10hipError_tPvRmT1_PNSt15iterator_traitsIS12_E10value_typeET2_T3_PNS13_IS18_E10value_typeET4_jRbjT5_S1E_jjP12ihipStream_tbEUljE_ZNSN_ISO_Lb1ESQ_SR_ST_SU_SY_EESZ_S10_S11_S12_S16_S17_S18_S1B_S1C_jS1D_jS1E_S1E_jjS1G_bEUljE0_EEESZ_S10_S11_S18_S1C_S1E_T6_T7_T9_mT8_S1G_bDpT10_ENKUlT_T0_E_clISt17integral_constantIbLb1EES1U_EEDaS1P_S1Q_EUlS1P_E_NS1_11comp_targetILNS1_3genE0ELNS1_11target_archE4294967295ELNS1_3gpuE0ELNS1_3repE0EEENS1_30default_config_static_selectorELNS0_4arch9wavefront6targetE0EEEvS12_.num_agpr, 0
	.set _ZN7rocprim17ROCPRIM_400000_NS6detail17trampoline_kernelINS0_13select_configILj256ELj13ELNS0_17block_load_methodE3ELS4_3ELS4_3ELNS0_20block_scan_algorithmE0ELj4294967295EEENS1_25partition_config_selectorILNS1_17partition_subalgoE4EjNS0_10empty_typeEbEEZZNS1_14partition_implILS8_4ELb0ES6_15HIP_vector_typeIjLj2EENS0_17counting_iteratorIjlEEPS9_SG_NS0_5tupleIJPjSI_NS0_16reverse_iteratorISI_EEEEENSH_IJSG_SG_SG_EEES9_SI_JZNS1_25segmented_radix_sort_implINS0_14default_configELb1EPKdPdPKlPlN2at6native12_GLOBAL__N_18offset_tEEE10hipError_tPvRmT1_PNSt15iterator_traitsIS12_E10value_typeET2_T3_PNS13_IS18_E10value_typeET4_jRbjT5_S1E_jjP12ihipStream_tbEUljE_ZNSN_ISO_Lb1ESQ_SR_ST_SU_SY_EESZ_S10_S11_S12_S16_S17_S18_S1B_S1C_jS1D_jS1E_S1E_jjS1G_bEUljE0_EEESZ_S10_S11_S18_S1C_S1E_T6_T7_T9_mT8_S1G_bDpT10_ENKUlT_T0_E_clISt17integral_constantIbLb1EES1U_EEDaS1P_S1Q_EUlS1P_E_NS1_11comp_targetILNS1_3genE0ELNS1_11target_archE4294967295ELNS1_3gpuE0ELNS1_3repE0EEENS1_30default_config_static_selectorELNS0_4arch9wavefront6targetE0EEEvS12_.numbered_sgpr, 0
	.set _ZN7rocprim17ROCPRIM_400000_NS6detail17trampoline_kernelINS0_13select_configILj256ELj13ELNS0_17block_load_methodE3ELS4_3ELS4_3ELNS0_20block_scan_algorithmE0ELj4294967295EEENS1_25partition_config_selectorILNS1_17partition_subalgoE4EjNS0_10empty_typeEbEEZZNS1_14partition_implILS8_4ELb0ES6_15HIP_vector_typeIjLj2EENS0_17counting_iteratorIjlEEPS9_SG_NS0_5tupleIJPjSI_NS0_16reverse_iteratorISI_EEEEENSH_IJSG_SG_SG_EEES9_SI_JZNS1_25segmented_radix_sort_implINS0_14default_configELb1EPKdPdPKlPlN2at6native12_GLOBAL__N_18offset_tEEE10hipError_tPvRmT1_PNSt15iterator_traitsIS12_E10value_typeET2_T3_PNS13_IS18_E10value_typeET4_jRbjT5_S1E_jjP12ihipStream_tbEUljE_ZNSN_ISO_Lb1ESQ_SR_ST_SU_SY_EESZ_S10_S11_S12_S16_S17_S18_S1B_S1C_jS1D_jS1E_S1E_jjS1G_bEUljE0_EEESZ_S10_S11_S18_S1C_S1E_T6_T7_T9_mT8_S1G_bDpT10_ENKUlT_T0_E_clISt17integral_constantIbLb1EES1U_EEDaS1P_S1Q_EUlS1P_E_NS1_11comp_targetILNS1_3genE0ELNS1_11target_archE4294967295ELNS1_3gpuE0ELNS1_3repE0EEENS1_30default_config_static_selectorELNS0_4arch9wavefront6targetE0EEEvS12_.num_named_barrier, 0
	.set _ZN7rocprim17ROCPRIM_400000_NS6detail17trampoline_kernelINS0_13select_configILj256ELj13ELNS0_17block_load_methodE3ELS4_3ELS4_3ELNS0_20block_scan_algorithmE0ELj4294967295EEENS1_25partition_config_selectorILNS1_17partition_subalgoE4EjNS0_10empty_typeEbEEZZNS1_14partition_implILS8_4ELb0ES6_15HIP_vector_typeIjLj2EENS0_17counting_iteratorIjlEEPS9_SG_NS0_5tupleIJPjSI_NS0_16reverse_iteratorISI_EEEEENSH_IJSG_SG_SG_EEES9_SI_JZNS1_25segmented_radix_sort_implINS0_14default_configELb1EPKdPdPKlPlN2at6native12_GLOBAL__N_18offset_tEEE10hipError_tPvRmT1_PNSt15iterator_traitsIS12_E10value_typeET2_T3_PNS13_IS18_E10value_typeET4_jRbjT5_S1E_jjP12ihipStream_tbEUljE_ZNSN_ISO_Lb1ESQ_SR_ST_SU_SY_EESZ_S10_S11_S12_S16_S17_S18_S1B_S1C_jS1D_jS1E_S1E_jjS1G_bEUljE0_EEESZ_S10_S11_S18_S1C_S1E_T6_T7_T9_mT8_S1G_bDpT10_ENKUlT_T0_E_clISt17integral_constantIbLb1EES1U_EEDaS1P_S1Q_EUlS1P_E_NS1_11comp_targetILNS1_3genE0ELNS1_11target_archE4294967295ELNS1_3gpuE0ELNS1_3repE0EEENS1_30default_config_static_selectorELNS0_4arch9wavefront6targetE0EEEvS12_.private_seg_size, 0
	.set _ZN7rocprim17ROCPRIM_400000_NS6detail17trampoline_kernelINS0_13select_configILj256ELj13ELNS0_17block_load_methodE3ELS4_3ELS4_3ELNS0_20block_scan_algorithmE0ELj4294967295EEENS1_25partition_config_selectorILNS1_17partition_subalgoE4EjNS0_10empty_typeEbEEZZNS1_14partition_implILS8_4ELb0ES6_15HIP_vector_typeIjLj2EENS0_17counting_iteratorIjlEEPS9_SG_NS0_5tupleIJPjSI_NS0_16reverse_iteratorISI_EEEEENSH_IJSG_SG_SG_EEES9_SI_JZNS1_25segmented_radix_sort_implINS0_14default_configELb1EPKdPdPKlPlN2at6native12_GLOBAL__N_18offset_tEEE10hipError_tPvRmT1_PNSt15iterator_traitsIS12_E10value_typeET2_T3_PNS13_IS18_E10value_typeET4_jRbjT5_S1E_jjP12ihipStream_tbEUljE_ZNSN_ISO_Lb1ESQ_SR_ST_SU_SY_EESZ_S10_S11_S12_S16_S17_S18_S1B_S1C_jS1D_jS1E_S1E_jjS1G_bEUljE0_EEESZ_S10_S11_S18_S1C_S1E_T6_T7_T9_mT8_S1G_bDpT10_ENKUlT_T0_E_clISt17integral_constantIbLb1EES1U_EEDaS1P_S1Q_EUlS1P_E_NS1_11comp_targetILNS1_3genE0ELNS1_11target_archE4294967295ELNS1_3gpuE0ELNS1_3repE0EEENS1_30default_config_static_selectorELNS0_4arch9wavefront6targetE0EEEvS12_.uses_vcc, 0
	.set _ZN7rocprim17ROCPRIM_400000_NS6detail17trampoline_kernelINS0_13select_configILj256ELj13ELNS0_17block_load_methodE3ELS4_3ELS4_3ELNS0_20block_scan_algorithmE0ELj4294967295EEENS1_25partition_config_selectorILNS1_17partition_subalgoE4EjNS0_10empty_typeEbEEZZNS1_14partition_implILS8_4ELb0ES6_15HIP_vector_typeIjLj2EENS0_17counting_iteratorIjlEEPS9_SG_NS0_5tupleIJPjSI_NS0_16reverse_iteratorISI_EEEEENSH_IJSG_SG_SG_EEES9_SI_JZNS1_25segmented_radix_sort_implINS0_14default_configELb1EPKdPdPKlPlN2at6native12_GLOBAL__N_18offset_tEEE10hipError_tPvRmT1_PNSt15iterator_traitsIS12_E10value_typeET2_T3_PNS13_IS18_E10value_typeET4_jRbjT5_S1E_jjP12ihipStream_tbEUljE_ZNSN_ISO_Lb1ESQ_SR_ST_SU_SY_EESZ_S10_S11_S12_S16_S17_S18_S1B_S1C_jS1D_jS1E_S1E_jjS1G_bEUljE0_EEESZ_S10_S11_S18_S1C_S1E_T6_T7_T9_mT8_S1G_bDpT10_ENKUlT_T0_E_clISt17integral_constantIbLb1EES1U_EEDaS1P_S1Q_EUlS1P_E_NS1_11comp_targetILNS1_3genE0ELNS1_11target_archE4294967295ELNS1_3gpuE0ELNS1_3repE0EEENS1_30default_config_static_selectorELNS0_4arch9wavefront6targetE0EEEvS12_.uses_flat_scratch, 0
	.set _ZN7rocprim17ROCPRIM_400000_NS6detail17trampoline_kernelINS0_13select_configILj256ELj13ELNS0_17block_load_methodE3ELS4_3ELS4_3ELNS0_20block_scan_algorithmE0ELj4294967295EEENS1_25partition_config_selectorILNS1_17partition_subalgoE4EjNS0_10empty_typeEbEEZZNS1_14partition_implILS8_4ELb0ES6_15HIP_vector_typeIjLj2EENS0_17counting_iteratorIjlEEPS9_SG_NS0_5tupleIJPjSI_NS0_16reverse_iteratorISI_EEEEENSH_IJSG_SG_SG_EEES9_SI_JZNS1_25segmented_radix_sort_implINS0_14default_configELb1EPKdPdPKlPlN2at6native12_GLOBAL__N_18offset_tEEE10hipError_tPvRmT1_PNSt15iterator_traitsIS12_E10value_typeET2_T3_PNS13_IS18_E10value_typeET4_jRbjT5_S1E_jjP12ihipStream_tbEUljE_ZNSN_ISO_Lb1ESQ_SR_ST_SU_SY_EESZ_S10_S11_S12_S16_S17_S18_S1B_S1C_jS1D_jS1E_S1E_jjS1G_bEUljE0_EEESZ_S10_S11_S18_S1C_S1E_T6_T7_T9_mT8_S1G_bDpT10_ENKUlT_T0_E_clISt17integral_constantIbLb1EES1U_EEDaS1P_S1Q_EUlS1P_E_NS1_11comp_targetILNS1_3genE0ELNS1_11target_archE4294967295ELNS1_3gpuE0ELNS1_3repE0EEENS1_30default_config_static_selectorELNS0_4arch9wavefront6targetE0EEEvS12_.has_dyn_sized_stack, 0
	.set _ZN7rocprim17ROCPRIM_400000_NS6detail17trampoline_kernelINS0_13select_configILj256ELj13ELNS0_17block_load_methodE3ELS4_3ELS4_3ELNS0_20block_scan_algorithmE0ELj4294967295EEENS1_25partition_config_selectorILNS1_17partition_subalgoE4EjNS0_10empty_typeEbEEZZNS1_14partition_implILS8_4ELb0ES6_15HIP_vector_typeIjLj2EENS0_17counting_iteratorIjlEEPS9_SG_NS0_5tupleIJPjSI_NS0_16reverse_iteratorISI_EEEEENSH_IJSG_SG_SG_EEES9_SI_JZNS1_25segmented_radix_sort_implINS0_14default_configELb1EPKdPdPKlPlN2at6native12_GLOBAL__N_18offset_tEEE10hipError_tPvRmT1_PNSt15iterator_traitsIS12_E10value_typeET2_T3_PNS13_IS18_E10value_typeET4_jRbjT5_S1E_jjP12ihipStream_tbEUljE_ZNSN_ISO_Lb1ESQ_SR_ST_SU_SY_EESZ_S10_S11_S12_S16_S17_S18_S1B_S1C_jS1D_jS1E_S1E_jjS1G_bEUljE0_EEESZ_S10_S11_S18_S1C_S1E_T6_T7_T9_mT8_S1G_bDpT10_ENKUlT_T0_E_clISt17integral_constantIbLb1EES1U_EEDaS1P_S1Q_EUlS1P_E_NS1_11comp_targetILNS1_3genE0ELNS1_11target_archE4294967295ELNS1_3gpuE0ELNS1_3repE0EEENS1_30default_config_static_selectorELNS0_4arch9wavefront6targetE0EEEvS12_.has_recursion, 0
	.set _ZN7rocprim17ROCPRIM_400000_NS6detail17trampoline_kernelINS0_13select_configILj256ELj13ELNS0_17block_load_methodE3ELS4_3ELS4_3ELNS0_20block_scan_algorithmE0ELj4294967295EEENS1_25partition_config_selectorILNS1_17partition_subalgoE4EjNS0_10empty_typeEbEEZZNS1_14partition_implILS8_4ELb0ES6_15HIP_vector_typeIjLj2EENS0_17counting_iteratorIjlEEPS9_SG_NS0_5tupleIJPjSI_NS0_16reverse_iteratorISI_EEEEENSH_IJSG_SG_SG_EEES9_SI_JZNS1_25segmented_radix_sort_implINS0_14default_configELb1EPKdPdPKlPlN2at6native12_GLOBAL__N_18offset_tEEE10hipError_tPvRmT1_PNSt15iterator_traitsIS12_E10value_typeET2_T3_PNS13_IS18_E10value_typeET4_jRbjT5_S1E_jjP12ihipStream_tbEUljE_ZNSN_ISO_Lb1ESQ_SR_ST_SU_SY_EESZ_S10_S11_S12_S16_S17_S18_S1B_S1C_jS1D_jS1E_S1E_jjS1G_bEUljE0_EEESZ_S10_S11_S18_S1C_S1E_T6_T7_T9_mT8_S1G_bDpT10_ENKUlT_T0_E_clISt17integral_constantIbLb1EES1U_EEDaS1P_S1Q_EUlS1P_E_NS1_11comp_targetILNS1_3genE0ELNS1_11target_archE4294967295ELNS1_3gpuE0ELNS1_3repE0EEENS1_30default_config_static_selectorELNS0_4arch9wavefront6targetE0EEEvS12_.has_indirect_call, 0
	.section	.AMDGPU.csdata,"",@progbits
; Kernel info:
; codeLenInByte = 4
; TotalNumSgprs: 0
; NumVgprs: 0
; ScratchSize: 0
; MemoryBound: 0
; FloatMode: 240
; IeeeMode: 1
; LDSByteSize: 0 bytes/workgroup (compile time only)
; SGPRBlocks: 0
; VGPRBlocks: 0
; NumSGPRsForWavesPerEU: 1
; NumVGPRsForWavesPerEU: 1
; NamedBarCnt: 0
; Occupancy: 16
; WaveLimiterHint : 0
; COMPUTE_PGM_RSRC2:SCRATCH_EN: 0
; COMPUTE_PGM_RSRC2:USER_SGPR: 2
; COMPUTE_PGM_RSRC2:TRAP_HANDLER: 0
; COMPUTE_PGM_RSRC2:TGID_X_EN: 1
; COMPUTE_PGM_RSRC2:TGID_Y_EN: 0
; COMPUTE_PGM_RSRC2:TGID_Z_EN: 0
; COMPUTE_PGM_RSRC2:TIDIG_COMP_CNT: 0
	.section	.text._ZN7rocprim17ROCPRIM_400000_NS6detail17trampoline_kernelINS0_13select_configILj256ELj13ELNS0_17block_load_methodE3ELS4_3ELS4_3ELNS0_20block_scan_algorithmE0ELj4294967295EEENS1_25partition_config_selectorILNS1_17partition_subalgoE4EjNS0_10empty_typeEbEEZZNS1_14partition_implILS8_4ELb0ES6_15HIP_vector_typeIjLj2EENS0_17counting_iteratorIjlEEPS9_SG_NS0_5tupleIJPjSI_NS0_16reverse_iteratorISI_EEEEENSH_IJSG_SG_SG_EEES9_SI_JZNS1_25segmented_radix_sort_implINS0_14default_configELb1EPKdPdPKlPlN2at6native12_GLOBAL__N_18offset_tEEE10hipError_tPvRmT1_PNSt15iterator_traitsIS12_E10value_typeET2_T3_PNS13_IS18_E10value_typeET4_jRbjT5_S1E_jjP12ihipStream_tbEUljE_ZNSN_ISO_Lb1ESQ_SR_ST_SU_SY_EESZ_S10_S11_S12_S16_S17_S18_S1B_S1C_jS1D_jS1E_S1E_jjS1G_bEUljE0_EEESZ_S10_S11_S18_S1C_S1E_T6_T7_T9_mT8_S1G_bDpT10_ENKUlT_T0_E_clISt17integral_constantIbLb1EES1U_EEDaS1P_S1Q_EUlS1P_E_NS1_11comp_targetILNS1_3genE5ELNS1_11target_archE942ELNS1_3gpuE9ELNS1_3repE0EEENS1_30default_config_static_selectorELNS0_4arch9wavefront6targetE0EEEvS12_,"axG",@progbits,_ZN7rocprim17ROCPRIM_400000_NS6detail17trampoline_kernelINS0_13select_configILj256ELj13ELNS0_17block_load_methodE3ELS4_3ELS4_3ELNS0_20block_scan_algorithmE0ELj4294967295EEENS1_25partition_config_selectorILNS1_17partition_subalgoE4EjNS0_10empty_typeEbEEZZNS1_14partition_implILS8_4ELb0ES6_15HIP_vector_typeIjLj2EENS0_17counting_iteratorIjlEEPS9_SG_NS0_5tupleIJPjSI_NS0_16reverse_iteratorISI_EEEEENSH_IJSG_SG_SG_EEES9_SI_JZNS1_25segmented_radix_sort_implINS0_14default_configELb1EPKdPdPKlPlN2at6native12_GLOBAL__N_18offset_tEEE10hipError_tPvRmT1_PNSt15iterator_traitsIS12_E10value_typeET2_T3_PNS13_IS18_E10value_typeET4_jRbjT5_S1E_jjP12ihipStream_tbEUljE_ZNSN_ISO_Lb1ESQ_SR_ST_SU_SY_EESZ_S10_S11_S12_S16_S17_S18_S1B_S1C_jS1D_jS1E_S1E_jjS1G_bEUljE0_EEESZ_S10_S11_S18_S1C_S1E_T6_T7_T9_mT8_S1G_bDpT10_ENKUlT_T0_E_clISt17integral_constantIbLb1EES1U_EEDaS1P_S1Q_EUlS1P_E_NS1_11comp_targetILNS1_3genE5ELNS1_11target_archE942ELNS1_3gpuE9ELNS1_3repE0EEENS1_30default_config_static_selectorELNS0_4arch9wavefront6targetE0EEEvS12_,comdat
	.globl	_ZN7rocprim17ROCPRIM_400000_NS6detail17trampoline_kernelINS0_13select_configILj256ELj13ELNS0_17block_load_methodE3ELS4_3ELS4_3ELNS0_20block_scan_algorithmE0ELj4294967295EEENS1_25partition_config_selectorILNS1_17partition_subalgoE4EjNS0_10empty_typeEbEEZZNS1_14partition_implILS8_4ELb0ES6_15HIP_vector_typeIjLj2EENS0_17counting_iteratorIjlEEPS9_SG_NS0_5tupleIJPjSI_NS0_16reverse_iteratorISI_EEEEENSH_IJSG_SG_SG_EEES9_SI_JZNS1_25segmented_radix_sort_implINS0_14default_configELb1EPKdPdPKlPlN2at6native12_GLOBAL__N_18offset_tEEE10hipError_tPvRmT1_PNSt15iterator_traitsIS12_E10value_typeET2_T3_PNS13_IS18_E10value_typeET4_jRbjT5_S1E_jjP12ihipStream_tbEUljE_ZNSN_ISO_Lb1ESQ_SR_ST_SU_SY_EESZ_S10_S11_S12_S16_S17_S18_S1B_S1C_jS1D_jS1E_S1E_jjS1G_bEUljE0_EEESZ_S10_S11_S18_S1C_S1E_T6_T7_T9_mT8_S1G_bDpT10_ENKUlT_T0_E_clISt17integral_constantIbLb1EES1U_EEDaS1P_S1Q_EUlS1P_E_NS1_11comp_targetILNS1_3genE5ELNS1_11target_archE942ELNS1_3gpuE9ELNS1_3repE0EEENS1_30default_config_static_selectorELNS0_4arch9wavefront6targetE0EEEvS12_ ; -- Begin function _ZN7rocprim17ROCPRIM_400000_NS6detail17trampoline_kernelINS0_13select_configILj256ELj13ELNS0_17block_load_methodE3ELS4_3ELS4_3ELNS0_20block_scan_algorithmE0ELj4294967295EEENS1_25partition_config_selectorILNS1_17partition_subalgoE4EjNS0_10empty_typeEbEEZZNS1_14partition_implILS8_4ELb0ES6_15HIP_vector_typeIjLj2EENS0_17counting_iteratorIjlEEPS9_SG_NS0_5tupleIJPjSI_NS0_16reverse_iteratorISI_EEEEENSH_IJSG_SG_SG_EEES9_SI_JZNS1_25segmented_radix_sort_implINS0_14default_configELb1EPKdPdPKlPlN2at6native12_GLOBAL__N_18offset_tEEE10hipError_tPvRmT1_PNSt15iterator_traitsIS12_E10value_typeET2_T3_PNS13_IS18_E10value_typeET4_jRbjT5_S1E_jjP12ihipStream_tbEUljE_ZNSN_ISO_Lb1ESQ_SR_ST_SU_SY_EESZ_S10_S11_S12_S16_S17_S18_S1B_S1C_jS1D_jS1E_S1E_jjS1G_bEUljE0_EEESZ_S10_S11_S18_S1C_S1E_T6_T7_T9_mT8_S1G_bDpT10_ENKUlT_T0_E_clISt17integral_constantIbLb1EES1U_EEDaS1P_S1Q_EUlS1P_E_NS1_11comp_targetILNS1_3genE5ELNS1_11target_archE942ELNS1_3gpuE9ELNS1_3repE0EEENS1_30default_config_static_selectorELNS0_4arch9wavefront6targetE0EEEvS12_
	.p2align	8
	.type	_ZN7rocprim17ROCPRIM_400000_NS6detail17trampoline_kernelINS0_13select_configILj256ELj13ELNS0_17block_load_methodE3ELS4_3ELS4_3ELNS0_20block_scan_algorithmE0ELj4294967295EEENS1_25partition_config_selectorILNS1_17partition_subalgoE4EjNS0_10empty_typeEbEEZZNS1_14partition_implILS8_4ELb0ES6_15HIP_vector_typeIjLj2EENS0_17counting_iteratorIjlEEPS9_SG_NS0_5tupleIJPjSI_NS0_16reverse_iteratorISI_EEEEENSH_IJSG_SG_SG_EEES9_SI_JZNS1_25segmented_radix_sort_implINS0_14default_configELb1EPKdPdPKlPlN2at6native12_GLOBAL__N_18offset_tEEE10hipError_tPvRmT1_PNSt15iterator_traitsIS12_E10value_typeET2_T3_PNS13_IS18_E10value_typeET4_jRbjT5_S1E_jjP12ihipStream_tbEUljE_ZNSN_ISO_Lb1ESQ_SR_ST_SU_SY_EESZ_S10_S11_S12_S16_S17_S18_S1B_S1C_jS1D_jS1E_S1E_jjS1G_bEUljE0_EEESZ_S10_S11_S18_S1C_S1E_T6_T7_T9_mT8_S1G_bDpT10_ENKUlT_T0_E_clISt17integral_constantIbLb1EES1U_EEDaS1P_S1Q_EUlS1P_E_NS1_11comp_targetILNS1_3genE5ELNS1_11target_archE942ELNS1_3gpuE9ELNS1_3repE0EEENS1_30default_config_static_selectorELNS0_4arch9wavefront6targetE0EEEvS12_,@function
_ZN7rocprim17ROCPRIM_400000_NS6detail17trampoline_kernelINS0_13select_configILj256ELj13ELNS0_17block_load_methodE3ELS4_3ELS4_3ELNS0_20block_scan_algorithmE0ELj4294967295EEENS1_25partition_config_selectorILNS1_17partition_subalgoE4EjNS0_10empty_typeEbEEZZNS1_14partition_implILS8_4ELb0ES6_15HIP_vector_typeIjLj2EENS0_17counting_iteratorIjlEEPS9_SG_NS0_5tupleIJPjSI_NS0_16reverse_iteratorISI_EEEEENSH_IJSG_SG_SG_EEES9_SI_JZNS1_25segmented_radix_sort_implINS0_14default_configELb1EPKdPdPKlPlN2at6native12_GLOBAL__N_18offset_tEEE10hipError_tPvRmT1_PNSt15iterator_traitsIS12_E10value_typeET2_T3_PNS13_IS18_E10value_typeET4_jRbjT5_S1E_jjP12ihipStream_tbEUljE_ZNSN_ISO_Lb1ESQ_SR_ST_SU_SY_EESZ_S10_S11_S12_S16_S17_S18_S1B_S1C_jS1D_jS1E_S1E_jjS1G_bEUljE0_EEESZ_S10_S11_S18_S1C_S1E_T6_T7_T9_mT8_S1G_bDpT10_ENKUlT_T0_E_clISt17integral_constantIbLb1EES1U_EEDaS1P_S1Q_EUlS1P_E_NS1_11comp_targetILNS1_3genE5ELNS1_11target_archE942ELNS1_3gpuE9ELNS1_3repE0EEENS1_30default_config_static_selectorELNS0_4arch9wavefront6targetE0EEEvS12_: ; @_ZN7rocprim17ROCPRIM_400000_NS6detail17trampoline_kernelINS0_13select_configILj256ELj13ELNS0_17block_load_methodE3ELS4_3ELS4_3ELNS0_20block_scan_algorithmE0ELj4294967295EEENS1_25partition_config_selectorILNS1_17partition_subalgoE4EjNS0_10empty_typeEbEEZZNS1_14partition_implILS8_4ELb0ES6_15HIP_vector_typeIjLj2EENS0_17counting_iteratorIjlEEPS9_SG_NS0_5tupleIJPjSI_NS0_16reverse_iteratorISI_EEEEENSH_IJSG_SG_SG_EEES9_SI_JZNS1_25segmented_radix_sort_implINS0_14default_configELb1EPKdPdPKlPlN2at6native12_GLOBAL__N_18offset_tEEE10hipError_tPvRmT1_PNSt15iterator_traitsIS12_E10value_typeET2_T3_PNS13_IS18_E10value_typeET4_jRbjT5_S1E_jjP12ihipStream_tbEUljE_ZNSN_ISO_Lb1ESQ_SR_ST_SU_SY_EESZ_S10_S11_S12_S16_S17_S18_S1B_S1C_jS1D_jS1E_S1E_jjS1G_bEUljE0_EEESZ_S10_S11_S18_S1C_S1E_T6_T7_T9_mT8_S1G_bDpT10_ENKUlT_T0_E_clISt17integral_constantIbLb1EES1U_EEDaS1P_S1Q_EUlS1P_E_NS1_11comp_targetILNS1_3genE5ELNS1_11target_archE942ELNS1_3gpuE9ELNS1_3repE0EEENS1_30default_config_static_selectorELNS0_4arch9wavefront6targetE0EEEvS12_
; %bb.0:
	.section	.rodata,"a",@progbits
	.p2align	6, 0x0
	.amdhsa_kernel _ZN7rocprim17ROCPRIM_400000_NS6detail17trampoline_kernelINS0_13select_configILj256ELj13ELNS0_17block_load_methodE3ELS4_3ELS4_3ELNS0_20block_scan_algorithmE0ELj4294967295EEENS1_25partition_config_selectorILNS1_17partition_subalgoE4EjNS0_10empty_typeEbEEZZNS1_14partition_implILS8_4ELb0ES6_15HIP_vector_typeIjLj2EENS0_17counting_iteratorIjlEEPS9_SG_NS0_5tupleIJPjSI_NS0_16reverse_iteratorISI_EEEEENSH_IJSG_SG_SG_EEES9_SI_JZNS1_25segmented_radix_sort_implINS0_14default_configELb1EPKdPdPKlPlN2at6native12_GLOBAL__N_18offset_tEEE10hipError_tPvRmT1_PNSt15iterator_traitsIS12_E10value_typeET2_T3_PNS13_IS18_E10value_typeET4_jRbjT5_S1E_jjP12ihipStream_tbEUljE_ZNSN_ISO_Lb1ESQ_SR_ST_SU_SY_EESZ_S10_S11_S12_S16_S17_S18_S1B_S1C_jS1D_jS1E_S1E_jjS1G_bEUljE0_EEESZ_S10_S11_S18_S1C_S1E_T6_T7_T9_mT8_S1G_bDpT10_ENKUlT_T0_E_clISt17integral_constantIbLb1EES1U_EEDaS1P_S1Q_EUlS1P_E_NS1_11comp_targetILNS1_3genE5ELNS1_11target_archE942ELNS1_3gpuE9ELNS1_3repE0EEENS1_30default_config_static_selectorELNS0_4arch9wavefront6targetE0EEEvS12_
		.amdhsa_group_segment_fixed_size 0
		.amdhsa_private_segment_fixed_size 0
		.amdhsa_kernarg_size 184
		.amdhsa_user_sgpr_count 2
		.amdhsa_user_sgpr_dispatch_ptr 0
		.amdhsa_user_sgpr_queue_ptr 0
		.amdhsa_user_sgpr_kernarg_segment_ptr 1
		.amdhsa_user_sgpr_dispatch_id 0
		.amdhsa_user_sgpr_kernarg_preload_length 0
		.amdhsa_user_sgpr_kernarg_preload_offset 0
		.amdhsa_user_sgpr_private_segment_size 0
		.amdhsa_wavefront_size32 1
		.amdhsa_uses_dynamic_stack 0
		.amdhsa_enable_private_segment 0
		.amdhsa_system_sgpr_workgroup_id_x 1
		.amdhsa_system_sgpr_workgroup_id_y 0
		.amdhsa_system_sgpr_workgroup_id_z 0
		.amdhsa_system_sgpr_workgroup_info 0
		.amdhsa_system_vgpr_workitem_id 0
		.amdhsa_next_free_vgpr 1
		.amdhsa_next_free_sgpr 1
		.amdhsa_named_barrier_count 0
		.amdhsa_reserve_vcc 0
		.amdhsa_float_round_mode_32 0
		.amdhsa_float_round_mode_16_64 0
		.amdhsa_float_denorm_mode_32 3
		.amdhsa_float_denorm_mode_16_64 3
		.amdhsa_fp16_overflow 0
		.amdhsa_memory_ordered 1
		.amdhsa_forward_progress 1
		.amdhsa_inst_pref_size 0
		.amdhsa_round_robin_scheduling 0
		.amdhsa_exception_fp_ieee_invalid_op 0
		.amdhsa_exception_fp_denorm_src 0
		.amdhsa_exception_fp_ieee_div_zero 0
		.amdhsa_exception_fp_ieee_overflow 0
		.amdhsa_exception_fp_ieee_underflow 0
		.amdhsa_exception_fp_ieee_inexact 0
		.amdhsa_exception_int_div_zero 0
	.end_amdhsa_kernel
	.section	.text._ZN7rocprim17ROCPRIM_400000_NS6detail17trampoline_kernelINS0_13select_configILj256ELj13ELNS0_17block_load_methodE3ELS4_3ELS4_3ELNS0_20block_scan_algorithmE0ELj4294967295EEENS1_25partition_config_selectorILNS1_17partition_subalgoE4EjNS0_10empty_typeEbEEZZNS1_14partition_implILS8_4ELb0ES6_15HIP_vector_typeIjLj2EENS0_17counting_iteratorIjlEEPS9_SG_NS0_5tupleIJPjSI_NS0_16reverse_iteratorISI_EEEEENSH_IJSG_SG_SG_EEES9_SI_JZNS1_25segmented_radix_sort_implINS0_14default_configELb1EPKdPdPKlPlN2at6native12_GLOBAL__N_18offset_tEEE10hipError_tPvRmT1_PNSt15iterator_traitsIS12_E10value_typeET2_T3_PNS13_IS18_E10value_typeET4_jRbjT5_S1E_jjP12ihipStream_tbEUljE_ZNSN_ISO_Lb1ESQ_SR_ST_SU_SY_EESZ_S10_S11_S12_S16_S17_S18_S1B_S1C_jS1D_jS1E_S1E_jjS1G_bEUljE0_EEESZ_S10_S11_S18_S1C_S1E_T6_T7_T9_mT8_S1G_bDpT10_ENKUlT_T0_E_clISt17integral_constantIbLb1EES1U_EEDaS1P_S1Q_EUlS1P_E_NS1_11comp_targetILNS1_3genE5ELNS1_11target_archE942ELNS1_3gpuE9ELNS1_3repE0EEENS1_30default_config_static_selectorELNS0_4arch9wavefront6targetE0EEEvS12_,"axG",@progbits,_ZN7rocprim17ROCPRIM_400000_NS6detail17trampoline_kernelINS0_13select_configILj256ELj13ELNS0_17block_load_methodE3ELS4_3ELS4_3ELNS0_20block_scan_algorithmE0ELj4294967295EEENS1_25partition_config_selectorILNS1_17partition_subalgoE4EjNS0_10empty_typeEbEEZZNS1_14partition_implILS8_4ELb0ES6_15HIP_vector_typeIjLj2EENS0_17counting_iteratorIjlEEPS9_SG_NS0_5tupleIJPjSI_NS0_16reverse_iteratorISI_EEEEENSH_IJSG_SG_SG_EEES9_SI_JZNS1_25segmented_radix_sort_implINS0_14default_configELb1EPKdPdPKlPlN2at6native12_GLOBAL__N_18offset_tEEE10hipError_tPvRmT1_PNSt15iterator_traitsIS12_E10value_typeET2_T3_PNS13_IS18_E10value_typeET4_jRbjT5_S1E_jjP12ihipStream_tbEUljE_ZNSN_ISO_Lb1ESQ_SR_ST_SU_SY_EESZ_S10_S11_S12_S16_S17_S18_S1B_S1C_jS1D_jS1E_S1E_jjS1G_bEUljE0_EEESZ_S10_S11_S18_S1C_S1E_T6_T7_T9_mT8_S1G_bDpT10_ENKUlT_T0_E_clISt17integral_constantIbLb1EES1U_EEDaS1P_S1Q_EUlS1P_E_NS1_11comp_targetILNS1_3genE5ELNS1_11target_archE942ELNS1_3gpuE9ELNS1_3repE0EEENS1_30default_config_static_selectorELNS0_4arch9wavefront6targetE0EEEvS12_,comdat
.Lfunc_end1057:
	.size	_ZN7rocprim17ROCPRIM_400000_NS6detail17trampoline_kernelINS0_13select_configILj256ELj13ELNS0_17block_load_methodE3ELS4_3ELS4_3ELNS0_20block_scan_algorithmE0ELj4294967295EEENS1_25partition_config_selectorILNS1_17partition_subalgoE4EjNS0_10empty_typeEbEEZZNS1_14partition_implILS8_4ELb0ES6_15HIP_vector_typeIjLj2EENS0_17counting_iteratorIjlEEPS9_SG_NS0_5tupleIJPjSI_NS0_16reverse_iteratorISI_EEEEENSH_IJSG_SG_SG_EEES9_SI_JZNS1_25segmented_radix_sort_implINS0_14default_configELb1EPKdPdPKlPlN2at6native12_GLOBAL__N_18offset_tEEE10hipError_tPvRmT1_PNSt15iterator_traitsIS12_E10value_typeET2_T3_PNS13_IS18_E10value_typeET4_jRbjT5_S1E_jjP12ihipStream_tbEUljE_ZNSN_ISO_Lb1ESQ_SR_ST_SU_SY_EESZ_S10_S11_S12_S16_S17_S18_S1B_S1C_jS1D_jS1E_S1E_jjS1G_bEUljE0_EEESZ_S10_S11_S18_S1C_S1E_T6_T7_T9_mT8_S1G_bDpT10_ENKUlT_T0_E_clISt17integral_constantIbLb1EES1U_EEDaS1P_S1Q_EUlS1P_E_NS1_11comp_targetILNS1_3genE5ELNS1_11target_archE942ELNS1_3gpuE9ELNS1_3repE0EEENS1_30default_config_static_selectorELNS0_4arch9wavefront6targetE0EEEvS12_, .Lfunc_end1057-_ZN7rocprim17ROCPRIM_400000_NS6detail17trampoline_kernelINS0_13select_configILj256ELj13ELNS0_17block_load_methodE3ELS4_3ELS4_3ELNS0_20block_scan_algorithmE0ELj4294967295EEENS1_25partition_config_selectorILNS1_17partition_subalgoE4EjNS0_10empty_typeEbEEZZNS1_14partition_implILS8_4ELb0ES6_15HIP_vector_typeIjLj2EENS0_17counting_iteratorIjlEEPS9_SG_NS0_5tupleIJPjSI_NS0_16reverse_iteratorISI_EEEEENSH_IJSG_SG_SG_EEES9_SI_JZNS1_25segmented_radix_sort_implINS0_14default_configELb1EPKdPdPKlPlN2at6native12_GLOBAL__N_18offset_tEEE10hipError_tPvRmT1_PNSt15iterator_traitsIS12_E10value_typeET2_T3_PNS13_IS18_E10value_typeET4_jRbjT5_S1E_jjP12ihipStream_tbEUljE_ZNSN_ISO_Lb1ESQ_SR_ST_SU_SY_EESZ_S10_S11_S12_S16_S17_S18_S1B_S1C_jS1D_jS1E_S1E_jjS1G_bEUljE0_EEESZ_S10_S11_S18_S1C_S1E_T6_T7_T9_mT8_S1G_bDpT10_ENKUlT_T0_E_clISt17integral_constantIbLb1EES1U_EEDaS1P_S1Q_EUlS1P_E_NS1_11comp_targetILNS1_3genE5ELNS1_11target_archE942ELNS1_3gpuE9ELNS1_3repE0EEENS1_30default_config_static_selectorELNS0_4arch9wavefront6targetE0EEEvS12_
                                        ; -- End function
	.set _ZN7rocprim17ROCPRIM_400000_NS6detail17trampoline_kernelINS0_13select_configILj256ELj13ELNS0_17block_load_methodE3ELS4_3ELS4_3ELNS0_20block_scan_algorithmE0ELj4294967295EEENS1_25partition_config_selectorILNS1_17partition_subalgoE4EjNS0_10empty_typeEbEEZZNS1_14partition_implILS8_4ELb0ES6_15HIP_vector_typeIjLj2EENS0_17counting_iteratorIjlEEPS9_SG_NS0_5tupleIJPjSI_NS0_16reverse_iteratorISI_EEEEENSH_IJSG_SG_SG_EEES9_SI_JZNS1_25segmented_radix_sort_implINS0_14default_configELb1EPKdPdPKlPlN2at6native12_GLOBAL__N_18offset_tEEE10hipError_tPvRmT1_PNSt15iterator_traitsIS12_E10value_typeET2_T3_PNS13_IS18_E10value_typeET4_jRbjT5_S1E_jjP12ihipStream_tbEUljE_ZNSN_ISO_Lb1ESQ_SR_ST_SU_SY_EESZ_S10_S11_S12_S16_S17_S18_S1B_S1C_jS1D_jS1E_S1E_jjS1G_bEUljE0_EEESZ_S10_S11_S18_S1C_S1E_T6_T7_T9_mT8_S1G_bDpT10_ENKUlT_T0_E_clISt17integral_constantIbLb1EES1U_EEDaS1P_S1Q_EUlS1P_E_NS1_11comp_targetILNS1_3genE5ELNS1_11target_archE942ELNS1_3gpuE9ELNS1_3repE0EEENS1_30default_config_static_selectorELNS0_4arch9wavefront6targetE0EEEvS12_.num_vgpr, 0
	.set _ZN7rocprim17ROCPRIM_400000_NS6detail17trampoline_kernelINS0_13select_configILj256ELj13ELNS0_17block_load_methodE3ELS4_3ELS4_3ELNS0_20block_scan_algorithmE0ELj4294967295EEENS1_25partition_config_selectorILNS1_17partition_subalgoE4EjNS0_10empty_typeEbEEZZNS1_14partition_implILS8_4ELb0ES6_15HIP_vector_typeIjLj2EENS0_17counting_iteratorIjlEEPS9_SG_NS0_5tupleIJPjSI_NS0_16reverse_iteratorISI_EEEEENSH_IJSG_SG_SG_EEES9_SI_JZNS1_25segmented_radix_sort_implINS0_14default_configELb1EPKdPdPKlPlN2at6native12_GLOBAL__N_18offset_tEEE10hipError_tPvRmT1_PNSt15iterator_traitsIS12_E10value_typeET2_T3_PNS13_IS18_E10value_typeET4_jRbjT5_S1E_jjP12ihipStream_tbEUljE_ZNSN_ISO_Lb1ESQ_SR_ST_SU_SY_EESZ_S10_S11_S12_S16_S17_S18_S1B_S1C_jS1D_jS1E_S1E_jjS1G_bEUljE0_EEESZ_S10_S11_S18_S1C_S1E_T6_T7_T9_mT8_S1G_bDpT10_ENKUlT_T0_E_clISt17integral_constantIbLb1EES1U_EEDaS1P_S1Q_EUlS1P_E_NS1_11comp_targetILNS1_3genE5ELNS1_11target_archE942ELNS1_3gpuE9ELNS1_3repE0EEENS1_30default_config_static_selectorELNS0_4arch9wavefront6targetE0EEEvS12_.num_agpr, 0
	.set _ZN7rocprim17ROCPRIM_400000_NS6detail17trampoline_kernelINS0_13select_configILj256ELj13ELNS0_17block_load_methodE3ELS4_3ELS4_3ELNS0_20block_scan_algorithmE0ELj4294967295EEENS1_25partition_config_selectorILNS1_17partition_subalgoE4EjNS0_10empty_typeEbEEZZNS1_14partition_implILS8_4ELb0ES6_15HIP_vector_typeIjLj2EENS0_17counting_iteratorIjlEEPS9_SG_NS0_5tupleIJPjSI_NS0_16reverse_iteratorISI_EEEEENSH_IJSG_SG_SG_EEES9_SI_JZNS1_25segmented_radix_sort_implINS0_14default_configELb1EPKdPdPKlPlN2at6native12_GLOBAL__N_18offset_tEEE10hipError_tPvRmT1_PNSt15iterator_traitsIS12_E10value_typeET2_T3_PNS13_IS18_E10value_typeET4_jRbjT5_S1E_jjP12ihipStream_tbEUljE_ZNSN_ISO_Lb1ESQ_SR_ST_SU_SY_EESZ_S10_S11_S12_S16_S17_S18_S1B_S1C_jS1D_jS1E_S1E_jjS1G_bEUljE0_EEESZ_S10_S11_S18_S1C_S1E_T6_T7_T9_mT8_S1G_bDpT10_ENKUlT_T0_E_clISt17integral_constantIbLb1EES1U_EEDaS1P_S1Q_EUlS1P_E_NS1_11comp_targetILNS1_3genE5ELNS1_11target_archE942ELNS1_3gpuE9ELNS1_3repE0EEENS1_30default_config_static_selectorELNS0_4arch9wavefront6targetE0EEEvS12_.numbered_sgpr, 0
	.set _ZN7rocprim17ROCPRIM_400000_NS6detail17trampoline_kernelINS0_13select_configILj256ELj13ELNS0_17block_load_methodE3ELS4_3ELS4_3ELNS0_20block_scan_algorithmE0ELj4294967295EEENS1_25partition_config_selectorILNS1_17partition_subalgoE4EjNS0_10empty_typeEbEEZZNS1_14partition_implILS8_4ELb0ES6_15HIP_vector_typeIjLj2EENS0_17counting_iteratorIjlEEPS9_SG_NS0_5tupleIJPjSI_NS0_16reverse_iteratorISI_EEEEENSH_IJSG_SG_SG_EEES9_SI_JZNS1_25segmented_radix_sort_implINS0_14default_configELb1EPKdPdPKlPlN2at6native12_GLOBAL__N_18offset_tEEE10hipError_tPvRmT1_PNSt15iterator_traitsIS12_E10value_typeET2_T3_PNS13_IS18_E10value_typeET4_jRbjT5_S1E_jjP12ihipStream_tbEUljE_ZNSN_ISO_Lb1ESQ_SR_ST_SU_SY_EESZ_S10_S11_S12_S16_S17_S18_S1B_S1C_jS1D_jS1E_S1E_jjS1G_bEUljE0_EEESZ_S10_S11_S18_S1C_S1E_T6_T7_T9_mT8_S1G_bDpT10_ENKUlT_T0_E_clISt17integral_constantIbLb1EES1U_EEDaS1P_S1Q_EUlS1P_E_NS1_11comp_targetILNS1_3genE5ELNS1_11target_archE942ELNS1_3gpuE9ELNS1_3repE0EEENS1_30default_config_static_selectorELNS0_4arch9wavefront6targetE0EEEvS12_.num_named_barrier, 0
	.set _ZN7rocprim17ROCPRIM_400000_NS6detail17trampoline_kernelINS0_13select_configILj256ELj13ELNS0_17block_load_methodE3ELS4_3ELS4_3ELNS0_20block_scan_algorithmE0ELj4294967295EEENS1_25partition_config_selectorILNS1_17partition_subalgoE4EjNS0_10empty_typeEbEEZZNS1_14partition_implILS8_4ELb0ES6_15HIP_vector_typeIjLj2EENS0_17counting_iteratorIjlEEPS9_SG_NS0_5tupleIJPjSI_NS0_16reverse_iteratorISI_EEEEENSH_IJSG_SG_SG_EEES9_SI_JZNS1_25segmented_radix_sort_implINS0_14default_configELb1EPKdPdPKlPlN2at6native12_GLOBAL__N_18offset_tEEE10hipError_tPvRmT1_PNSt15iterator_traitsIS12_E10value_typeET2_T3_PNS13_IS18_E10value_typeET4_jRbjT5_S1E_jjP12ihipStream_tbEUljE_ZNSN_ISO_Lb1ESQ_SR_ST_SU_SY_EESZ_S10_S11_S12_S16_S17_S18_S1B_S1C_jS1D_jS1E_S1E_jjS1G_bEUljE0_EEESZ_S10_S11_S18_S1C_S1E_T6_T7_T9_mT8_S1G_bDpT10_ENKUlT_T0_E_clISt17integral_constantIbLb1EES1U_EEDaS1P_S1Q_EUlS1P_E_NS1_11comp_targetILNS1_3genE5ELNS1_11target_archE942ELNS1_3gpuE9ELNS1_3repE0EEENS1_30default_config_static_selectorELNS0_4arch9wavefront6targetE0EEEvS12_.private_seg_size, 0
	.set _ZN7rocprim17ROCPRIM_400000_NS6detail17trampoline_kernelINS0_13select_configILj256ELj13ELNS0_17block_load_methodE3ELS4_3ELS4_3ELNS0_20block_scan_algorithmE0ELj4294967295EEENS1_25partition_config_selectorILNS1_17partition_subalgoE4EjNS0_10empty_typeEbEEZZNS1_14partition_implILS8_4ELb0ES6_15HIP_vector_typeIjLj2EENS0_17counting_iteratorIjlEEPS9_SG_NS0_5tupleIJPjSI_NS0_16reverse_iteratorISI_EEEEENSH_IJSG_SG_SG_EEES9_SI_JZNS1_25segmented_radix_sort_implINS0_14default_configELb1EPKdPdPKlPlN2at6native12_GLOBAL__N_18offset_tEEE10hipError_tPvRmT1_PNSt15iterator_traitsIS12_E10value_typeET2_T3_PNS13_IS18_E10value_typeET4_jRbjT5_S1E_jjP12ihipStream_tbEUljE_ZNSN_ISO_Lb1ESQ_SR_ST_SU_SY_EESZ_S10_S11_S12_S16_S17_S18_S1B_S1C_jS1D_jS1E_S1E_jjS1G_bEUljE0_EEESZ_S10_S11_S18_S1C_S1E_T6_T7_T9_mT8_S1G_bDpT10_ENKUlT_T0_E_clISt17integral_constantIbLb1EES1U_EEDaS1P_S1Q_EUlS1P_E_NS1_11comp_targetILNS1_3genE5ELNS1_11target_archE942ELNS1_3gpuE9ELNS1_3repE0EEENS1_30default_config_static_selectorELNS0_4arch9wavefront6targetE0EEEvS12_.uses_vcc, 0
	.set _ZN7rocprim17ROCPRIM_400000_NS6detail17trampoline_kernelINS0_13select_configILj256ELj13ELNS0_17block_load_methodE3ELS4_3ELS4_3ELNS0_20block_scan_algorithmE0ELj4294967295EEENS1_25partition_config_selectorILNS1_17partition_subalgoE4EjNS0_10empty_typeEbEEZZNS1_14partition_implILS8_4ELb0ES6_15HIP_vector_typeIjLj2EENS0_17counting_iteratorIjlEEPS9_SG_NS0_5tupleIJPjSI_NS0_16reverse_iteratorISI_EEEEENSH_IJSG_SG_SG_EEES9_SI_JZNS1_25segmented_radix_sort_implINS0_14default_configELb1EPKdPdPKlPlN2at6native12_GLOBAL__N_18offset_tEEE10hipError_tPvRmT1_PNSt15iterator_traitsIS12_E10value_typeET2_T3_PNS13_IS18_E10value_typeET4_jRbjT5_S1E_jjP12ihipStream_tbEUljE_ZNSN_ISO_Lb1ESQ_SR_ST_SU_SY_EESZ_S10_S11_S12_S16_S17_S18_S1B_S1C_jS1D_jS1E_S1E_jjS1G_bEUljE0_EEESZ_S10_S11_S18_S1C_S1E_T6_T7_T9_mT8_S1G_bDpT10_ENKUlT_T0_E_clISt17integral_constantIbLb1EES1U_EEDaS1P_S1Q_EUlS1P_E_NS1_11comp_targetILNS1_3genE5ELNS1_11target_archE942ELNS1_3gpuE9ELNS1_3repE0EEENS1_30default_config_static_selectorELNS0_4arch9wavefront6targetE0EEEvS12_.uses_flat_scratch, 0
	.set _ZN7rocprim17ROCPRIM_400000_NS6detail17trampoline_kernelINS0_13select_configILj256ELj13ELNS0_17block_load_methodE3ELS4_3ELS4_3ELNS0_20block_scan_algorithmE0ELj4294967295EEENS1_25partition_config_selectorILNS1_17partition_subalgoE4EjNS0_10empty_typeEbEEZZNS1_14partition_implILS8_4ELb0ES6_15HIP_vector_typeIjLj2EENS0_17counting_iteratorIjlEEPS9_SG_NS0_5tupleIJPjSI_NS0_16reverse_iteratorISI_EEEEENSH_IJSG_SG_SG_EEES9_SI_JZNS1_25segmented_radix_sort_implINS0_14default_configELb1EPKdPdPKlPlN2at6native12_GLOBAL__N_18offset_tEEE10hipError_tPvRmT1_PNSt15iterator_traitsIS12_E10value_typeET2_T3_PNS13_IS18_E10value_typeET4_jRbjT5_S1E_jjP12ihipStream_tbEUljE_ZNSN_ISO_Lb1ESQ_SR_ST_SU_SY_EESZ_S10_S11_S12_S16_S17_S18_S1B_S1C_jS1D_jS1E_S1E_jjS1G_bEUljE0_EEESZ_S10_S11_S18_S1C_S1E_T6_T7_T9_mT8_S1G_bDpT10_ENKUlT_T0_E_clISt17integral_constantIbLb1EES1U_EEDaS1P_S1Q_EUlS1P_E_NS1_11comp_targetILNS1_3genE5ELNS1_11target_archE942ELNS1_3gpuE9ELNS1_3repE0EEENS1_30default_config_static_selectorELNS0_4arch9wavefront6targetE0EEEvS12_.has_dyn_sized_stack, 0
	.set _ZN7rocprim17ROCPRIM_400000_NS6detail17trampoline_kernelINS0_13select_configILj256ELj13ELNS0_17block_load_methodE3ELS4_3ELS4_3ELNS0_20block_scan_algorithmE0ELj4294967295EEENS1_25partition_config_selectorILNS1_17partition_subalgoE4EjNS0_10empty_typeEbEEZZNS1_14partition_implILS8_4ELb0ES6_15HIP_vector_typeIjLj2EENS0_17counting_iteratorIjlEEPS9_SG_NS0_5tupleIJPjSI_NS0_16reverse_iteratorISI_EEEEENSH_IJSG_SG_SG_EEES9_SI_JZNS1_25segmented_radix_sort_implINS0_14default_configELb1EPKdPdPKlPlN2at6native12_GLOBAL__N_18offset_tEEE10hipError_tPvRmT1_PNSt15iterator_traitsIS12_E10value_typeET2_T3_PNS13_IS18_E10value_typeET4_jRbjT5_S1E_jjP12ihipStream_tbEUljE_ZNSN_ISO_Lb1ESQ_SR_ST_SU_SY_EESZ_S10_S11_S12_S16_S17_S18_S1B_S1C_jS1D_jS1E_S1E_jjS1G_bEUljE0_EEESZ_S10_S11_S18_S1C_S1E_T6_T7_T9_mT8_S1G_bDpT10_ENKUlT_T0_E_clISt17integral_constantIbLb1EES1U_EEDaS1P_S1Q_EUlS1P_E_NS1_11comp_targetILNS1_3genE5ELNS1_11target_archE942ELNS1_3gpuE9ELNS1_3repE0EEENS1_30default_config_static_selectorELNS0_4arch9wavefront6targetE0EEEvS12_.has_recursion, 0
	.set _ZN7rocprim17ROCPRIM_400000_NS6detail17trampoline_kernelINS0_13select_configILj256ELj13ELNS0_17block_load_methodE3ELS4_3ELS4_3ELNS0_20block_scan_algorithmE0ELj4294967295EEENS1_25partition_config_selectorILNS1_17partition_subalgoE4EjNS0_10empty_typeEbEEZZNS1_14partition_implILS8_4ELb0ES6_15HIP_vector_typeIjLj2EENS0_17counting_iteratorIjlEEPS9_SG_NS0_5tupleIJPjSI_NS0_16reverse_iteratorISI_EEEEENSH_IJSG_SG_SG_EEES9_SI_JZNS1_25segmented_radix_sort_implINS0_14default_configELb1EPKdPdPKlPlN2at6native12_GLOBAL__N_18offset_tEEE10hipError_tPvRmT1_PNSt15iterator_traitsIS12_E10value_typeET2_T3_PNS13_IS18_E10value_typeET4_jRbjT5_S1E_jjP12ihipStream_tbEUljE_ZNSN_ISO_Lb1ESQ_SR_ST_SU_SY_EESZ_S10_S11_S12_S16_S17_S18_S1B_S1C_jS1D_jS1E_S1E_jjS1G_bEUljE0_EEESZ_S10_S11_S18_S1C_S1E_T6_T7_T9_mT8_S1G_bDpT10_ENKUlT_T0_E_clISt17integral_constantIbLb1EES1U_EEDaS1P_S1Q_EUlS1P_E_NS1_11comp_targetILNS1_3genE5ELNS1_11target_archE942ELNS1_3gpuE9ELNS1_3repE0EEENS1_30default_config_static_selectorELNS0_4arch9wavefront6targetE0EEEvS12_.has_indirect_call, 0
	.section	.AMDGPU.csdata,"",@progbits
; Kernel info:
; codeLenInByte = 0
; TotalNumSgprs: 0
; NumVgprs: 0
; ScratchSize: 0
; MemoryBound: 0
; FloatMode: 240
; IeeeMode: 1
; LDSByteSize: 0 bytes/workgroup (compile time only)
; SGPRBlocks: 0
; VGPRBlocks: 0
; NumSGPRsForWavesPerEU: 1
; NumVGPRsForWavesPerEU: 1
; NamedBarCnt: 0
; Occupancy: 16
; WaveLimiterHint : 0
; COMPUTE_PGM_RSRC2:SCRATCH_EN: 0
; COMPUTE_PGM_RSRC2:USER_SGPR: 2
; COMPUTE_PGM_RSRC2:TRAP_HANDLER: 0
; COMPUTE_PGM_RSRC2:TGID_X_EN: 1
; COMPUTE_PGM_RSRC2:TGID_Y_EN: 0
; COMPUTE_PGM_RSRC2:TGID_Z_EN: 0
; COMPUTE_PGM_RSRC2:TIDIG_COMP_CNT: 0
	.section	.text._ZN7rocprim17ROCPRIM_400000_NS6detail17trampoline_kernelINS0_13select_configILj256ELj13ELNS0_17block_load_methodE3ELS4_3ELS4_3ELNS0_20block_scan_algorithmE0ELj4294967295EEENS1_25partition_config_selectorILNS1_17partition_subalgoE4EjNS0_10empty_typeEbEEZZNS1_14partition_implILS8_4ELb0ES6_15HIP_vector_typeIjLj2EENS0_17counting_iteratorIjlEEPS9_SG_NS0_5tupleIJPjSI_NS0_16reverse_iteratorISI_EEEEENSH_IJSG_SG_SG_EEES9_SI_JZNS1_25segmented_radix_sort_implINS0_14default_configELb1EPKdPdPKlPlN2at6native12_GLOBAL__N_18offset_tEEE10hipError_tPvRmT1_PNSt15iterator_traitsIS12_E10value_typeET2_T3_PNS13_IS18_E10value_typeET4_jRbjT5_S1E_jjP12ihipStream_tbEUljE_ZNSN_ISO_Lb1ESQ_SR_ST_SU_SY_EESZ_S10_S11_S12_S16_S17_S18_S1B_S1C_jS1D_jS1E_S1E_jjS1G_bEUljE0_EEESZ_S10_S11_S18_S1C_S1E_T6_T7_T9_mT8_S1G_bDpT10_ENKUlT_T0_E_clISt17integral_constantIbLb1EES1U_EEDaS1P_S1Q_EUlS1P_E_NS1_11comp_targetILNS1_3genE4ELNS1_11target_archE910ELNS1_3gpuE8ELNS1_3repE0EEENS1_30default_config_static_selectorELNS0_4arch9wavefront6targetE0EEEvS12_,"axG",@progbits,_ZN7rocprim17ROCPRIM_400000_NS6detail17trampoline_kernelINS0_13select_configILj256ELj13ELNS0_17block_load_methodE3ELS4_3ELS4_3ELNS0_20block_scan_algorithmE0ELj4294967295EEENS1_25partition_config_selectorILNS1_17partition_subalgoE4EjNS0_10empty_typeEbEEZZNS1_14partition_implILS8_4ELb0ES6_15HIP_vector_typeIjLj2EENS0_17counting_iteratorIjlEEPS9_SG_NS0_5tupleIJPjSI_NS0_16reverse_iteratorISI_EEEEENSH_IJSG_SG_SG_EEES9_SI_JZNS1_25segmented_radix_sort_implINS0_14default_configELb1EPKdPdPKlPlN2at6native12_GLOBAL__N_18offset_tEEE10hipError_tPvRmT1_PNSt15iterator_traitsIS12_E10value_typeET2_T3_PNS13_IS18_E10value_typeET4_jRbjT5_S1E_jjP12ihipStream_tbEUljE_ZNSN_ISO_Lb1ESQ_SR_ST_SU_SY_EESZ_S10_S11_S12_S16_S17_S18_S1B_S1C_jS1D_jS1E_S1E_jjS1G_bEUljE0_EEESZ_S10_S11_S18_S1C_S1E_T6_T7_T9_mT8_S1G_bDpT10_ENKUlT_T0_E_clISt17integral_constantIbLb1EES1U_EEDaS1P_S1Q_EUlS1P_E_NS1_11comp_targetILNS1_3genE4ELNS1_11target_archE910ELNS1_3gpuE8ELNS1_3repE0EEENS1_30default_config_static_selectorELNS0_4arch9wavefront6targetE0EEEvS12_,comdat
	.globl	_ZN7rocprim17ROCPRIM_400000_NS6detail17trampoline_kernelINS0_13select_configILj256ELj13ELNS0_17block_load_methodE3ELS4_3ELS4_3ELNS0_20block_scan_algorithmE0ELj4294967295EEENS1_25partition_config_selectorILNS1_17partition_subalgoE4EjNS0_10empty_typeEbEEZZNS1_14partition_implILS8_4ELb0ES6_15HIP_vector_typeIjLj2EENS0_17counting_iteratorIjlEEPS9_SG_NS0_5tupleIJPjSI_NS0_16reverse_iteratorISI_EEEEENSH_IJSG_SG_SG_EEES9_SI_JZNS1_25segmented_radix_sort_implINS0_14default_configELb1EPKdPdPKlPlN2at6native12_GLOBAL__N_18offset_tEEE10hipError_tPvRmT1_PNSt15iterator_traitsIS12_E10value_typeET2_T3_PNS13_IS18_E10value_typeET4_jRbjT5_S1E_jjP12ihipStream_tbEUljE_ZNSN_ISO_Lb1ESQ_SR_ST_SU_SY_EESZ_S10_S11_S12_S16_S17_S18_S1B_S1C_jS1D_jS1E_S1E_jjS1G_bEUljE0_EEESZ_S10_S11_S18_S1C_S1E_T6_T7_T9_mT8_S1G_bDpT10_ENKUlT_T0_E_clISt17integral_constantIbLb1EES1U_EEDaS1P_S1Q_EUlS1P_E_NS1_11comp_targetILNS1_3genE4ELNS1_11target_archE910ELNS1_3gpuE8ELNS1_3repE0EEENS1_30default_config_static_selectorELNS0_4arch9wavefront6targetE0EEEvS12_ ; -- Begin function _ZN7rocprim17ROCPRIM_400000_NS6detail17trampoline_kernelINS0_13select_configILj256ELj13ELNS0_17block_load_methodE3ELS4_3ELS4_3ELNS0_20block_scan_algorithmE0ELj4294967295EEENS1_25partition_config_selectorILNS1_17partition_subalgoE4EjNS0_10empty_typeEbEEZZNS1_14partition_implILS8_4ELb0ES6_15HIP_vector_typeIjLj2EENS0_17counting_iteratorIjlEEPS9_SG_NS0_5tupleIJPjSI_NS0_16reverse_iteratorISI_EEEEENSH_IJSG_SG_SG_EEES9_SI_JZNS1_25segmented_radix_sort_implINS0_14default_configELb1EPKdPdPKlPlN2at6native12_GLOBAL__N_18offset_tEEE10hipError_tPvRmT1_PNSt15iterator_traitsIS12_E10value_typeET2_T3_PNS13_IS18_E10value_typeET4_jRbjT5_S1E_jjP12ihipStream_tbEUljE_ZNSN_ISO_Lb1ESQ_SR_ST_SU_SY_EESZ_S10_S11_S12_S16_S17_S18_S1B_S1C_jS1D_jS1E_S1E_jjS1G_bEUljE0_EEESZ_S10_S11_S18_S1C_S1E_T6_T7_T9_mT8_S1G_bDpT10_ENKUlT_T0_E_clISt17integral_constantIbLb1EES1U_EEDaS1P_S1Q_EUlS1P_E_NS1_11comp_targetILNS1_3genE4ELNS1_11target_archE910ELNS1_3gpuE8ELNS1_3repE0EEENS1_30default_config_static_selectorELNS0_4arch9wavefront6targetE0EEEvS12_
	.p2align	8
	.type	_ZN7rocprim17ROCPRIM_400000_NS6detail17trampoline_kernelINS0_13select_configILj256ELj13ELNS0_17block_load_methodE3ELS4_3ELS4_3ELNS0_20block_scan_algorithmE0ELj4294967295EEENS1_25partition_config_selectorILNS1_17partition_subalgoE4EjNS0_10empty_typeEbEEZZNS1_14partition_implILS8_4ELb0ES6_15HIP_vector_typeIjLj2EENS0_17counting_iteratorIjlEEPS9_SG_NS0_5tupleIJPjSI_NS0_16reverse_iteratorISI_EEEEENSH_IJSG_SG_SG_EEES9_SI_JZNS1_25segmented_radix_sort_implINS0_14default_configELb1EPKdPdPKlPlN2at6native12_GLOBAL__N_18offset_tEEE10hipError_tPvRmT1_PNSt15iterator_traitsIS12_E10value_typeET2_T3_PNS13_IS18_E10value_typeET4_jRbjT5_S1E_jjP12ihipStream_tbEUljE_ZNSN_ISO_Lb1ESQ_SR_ST_SU_SY_EESZ_S10_S11_S12_S16_S17_S18_S1B_S1C_jS1D_jS1E_S1E_jjS1G_bEUljE0_EEESZ_S10_S11_S18_S1C_S1E_T6_T7_T9_mT8_S1G_bDpT10_ENKUlT_T0_E_clISt17integral_constantIbLb1EES1U_EEDaS1P_S1Q_EUlS1P_E_NS1_11comp_targetILNS1_3genE4ELNS1_11target_archE910ELNS1_3gpuE8ELNS1_3repE0EEENS1_30default_config_static_selectorELNS0_4arch9wavefront6targetE0EEEvS12_,@function
_ZN7rocprim17ROCPRIM_400000_NS6detail17trampoline_kernelINS0_13select_configILj256ELj13ELNS0_17block_load_methodE3ELS4_3ELS4_3ELNS0_20block_scan_algorithmE0ELj4294967295EEENS1_25partition_config_selectorILNS1_17partition_subalgoE4EjNS0_10empty_typeEbEEZZNS1_14partition_implILS8_4ELb0ES6_15HIP_vector_typeIjLj2EENS0_17counting_iteratorIjlEEPS9_SG_NS0_5tupleIJPjSI_NS0_16reverse_iteratorISI_EEEEENSH_IJSG_SG_SG_EEES9_SI_JZNS1_25segmented_radix_sort_implINS0_14default_configELb1EPKdPdPKlPlN2at6native12_GLOBAL__N_18offset_tEEE10hipError_tPvRmT1_PNSt15iterator_traitsIS12_E10value_typeET2_T3_PNS13_IS18_E10value_typeET4_jRbjT5_S1E_jjP12ihipStream_tbEUljE_ZNSN_ISO_Lb1ESQ_SR_ST_SU_SY_EESZ_S10_S11_S12_S16_S17_S18_S1B_S1C_jS1D_jS1E_S1E_jjS1G_bEUljE0_EEESZ_S10_S11_S18_S1C_S1E_T6_T7_T9_mT8_S1G_bDpT10_ENKUlT_T0_E_clISt17integral_constantIbLb1EES1U_EEDaS1P_S1Q_EUlS1P_E_NS1_11comp_targetILNS1_3genE4ELNS1_11target_archE910ELNS1_3gpuE8ELNS1_3repE0EEENS1_30default_config_static_selectorELNS0_4arch9wavefront6targetE0EEEvS12_: ; @_ZN7rocprim17ROCPRIM_400000_NS6detail17trampoline_kernelINS0_13select_configILj256ELj13ELNS0_17block_load_methodE3ELS4_3ELS4_3ELNS0_20block_scan_algorithmE0ELj4294967295EEENS1_25partition_config_selectorILNS1_17partition_subalgoE4EjNS0_10empty_typeEbEEZZNS1_14partition_implILS8_4ELb0ES6_15HIP_vector_typeIjLj2EENS0_17counting_iteratorIjlEEPS9_SG_NS0_5tupleIJPjSI_NS0_16reverse_iteratorISI_EEEEENSH_IJSG_SG_SG_EEES9_SI_JZNS1_25segmented_radix_sort_implINS0_14default_configELb1EPKdPdPKlPlN2at6native12_GLOBAL__N_18offset_tEEE10hipError_tPvRmT1_PNSt15iterator_traitsIS12_E10value_typeET2_T3_PNS13_IS18_E10value_typeET4_jRbjT5_S1E_jjP12ihipStream_tbEUljE_ZNSN_ISO_Lb1ESQ_SR_ST_SU_SY_EESZ_S10_S11_S12_S16_S17_S18_S1B_S1C_jS1D_jS1E_S1E_jjS1G_bEUljE0_EEESZ_S10_S11_S18_S1C_S1E_T6_T7_T9_mT8_S1G_bDpT10_ENKUlT_T0_E_clISt17integral_constantIbLb1EES1U_EEDaS1P_S1Q_EUlS1P_E_NS1_11comp_targetILNS1_3genE4ELNS1_11target_archE910ELNS1_3gpuE8ELNS1_3repE0EEENS1_30default_config_static_selectorELNS0_4arch9wavefront6targetE0EEEvS12_
; %bb.0:
	.section	.rodata,"a",@progbits
	.p2align	6, 0x0
	.amdhsa_kernel _ZN7rocprim17ROCPRIM_400000_NS6detail17trampoline_kernelINS0_13select_configILj256ELj13ELNS0_17block_load_methodE3ELS4_3ELS4_3ELNS0_20block_scan_algorithmE0ELj4294967295EEENS1_25partition_config_selectorILNS1_17partition_subalgoE4EjNS0_10empty_typeEbEEZZNS1_14partition_implILS8_4ELb0ES6_15HIP_vector_typeIjLj2EENS0_17counting_iteratorIjlEEPS9_SG_NS0_5tupleIJPjSI_NS0_16reverse_iteratorISI_EEEEENSH_IJSG_SG_SG_EEES9_SI_JZNS1_25segmented_radix_sort_implINS0_14default_configELb1EPKdPdPKlPlN2at6native12_GLOBAL__N_18offset_tEEE10hipError_tPvRmT1_PNSt15iterator_traitsIS12_E10value_typeET2_T3_PNS13_IS18_E10value_typeET4_jRbjT5_S1E_jjP12ihipStream_tbEUljE_ZNSN_ISO_Lb1ESQ_SR_ST_SU_SY_EESZ_S10_S11_S12_S16_S17_S18_S1B_S1C_jS1D_jS1E_S1E_jjS1G_bEUljE0_EEESZ_S10_S11_S18_S1C_S1E_T6_T7_T9_mT8_S1G_bDpT10_ENKUlT_T0_E_clISt17integral_constantIbLb1EES1U_EEDaS1P_S1Q_EUlS1P_E_NS1_11comp_targetILNS1_3genE4ELNS1_11target_archE910ELNS1_3gpuE8ELNS1_3repE0EEENS1_30default_config_static_selectorELNS0_4arch9wavefront6targetE0EEEvS12_
		.amdhsa_group_segment_fixed_size 0
		.amdhsa_private_segment_fixed_size 0
		.amdhsa_kernarg_size 184
		.amdhsa_user_sgpr_count 2
		.amdhsa_user_sgpr_dispatch_ptr 0
		.amdhsa_user_sgpr_queue_ptr 0
		.amdhsa_user_sgpr_kernarg_segment_ptr 1
		.amdhsa_user_sgpr_dispatch_id 0
		.amdhsa_user_sgpr_kernarg_preload_length 0
		.amdhsa_user_sgpr_kernarg_preload_offset 0
		.amdhsa_user_sgpr_private_segment_size 0
		.amdhsa_wavefront_size32 1
		.amdhsa_uses_dynamic_stack 0
		.amdhsa_enable_private_segment 0
		.amdhsa_system_sgpr_workgroup_id_x 1
		.amdhsa_system_sgpr_workgroup_id_y 0
		.amdhsa_system_sgpr_workgroup_id_z 0
		.amdhsa_system_sgpr_workgroup_info 0
		.amdhsa_system_vgpr_workitem_id 0
		.amdhsa_next_free_vgpr 1
		.amdhsa_next_free_sgpr 1
		.amdhsa_named_barrier_count 0
		.amdhsa_reserve_vcc 0
		.amdhsa_float_round_mode_32 0
		.amdhsa_float_round_mode_16_64 0
		.amdhsa_float_denorm_mode_32 3
		.amdhsa_float_denorm_mode_16_64 3
		.amdhsa_fp16_overflow 0
		.amdhsa_memory_ordered 1
		.amdhsa_forward_progress 1
		.amdhsa_inst_pref_size 0
		.amdhsa_round_robin_scheduling 0
		.amdhsa_exception_fp_ieee_invalid_op 0
		.amdhsa_exception_fp_denorm_src 0
		.amdhsa_exception_fp_ieee_div_zero 0
		.amdhsa_exception_fp_ieee_overflow 0
		.amdhsa_exception_fp_ieee_underflow 0
		.amdhsa_exception_fp_ieee_inexact 0
		.amdhsa_exception_int_div_zero 0
	.end_amdhsa_kernel
	.section	.text._ZN7rocprim17ROCPRIM_400000_NS6detail17trampoline_kernelINS0_13select_configILj256ELj13ELNS0_17block_load_methodE3ELS4_3ELS4_3ELNS0_20block_scan_algorithmE0ELj4294967295EEENS1_25partition_config_selectorILNS1_17partition_subalgoE4EjNS0_10empty_typeEbEEZZNS1_14partition_implILS8_4ELb0ES6_15HIP_vector_typeIjLj2EENS0_17counting_iteratorIjlEEPS9_SG_NS0_5tupleIJPjSI_NS0_16reverse_iteratorISI_EEEEENSH_IJSG_SG_SG_EEES9_SI_JZNS1_25segmented_radix_sort_implINS0_14default_configELb1EPKdPdPKlPlN2at6native12_GLOBAL__N_18offset_tEEE10hipError_tPvRmT1_PNSt15iterator_traitsIS12_E10value_typeET2_T3_PNS13_IS18_E10value_typeET4_jRbjT5_S1E_jjP12ihipStream_tbEUljE_ZNSN_ISO_Lb1ESQ_SR_ST_SU_SY_EESZ_S10_S11_S12_S16_S17_S18_S1B_S1C_jS1D_jS1E_S1E_jjS1G_bEUljE0_EEESZ_S10_S11_S18_S1C_S1E_T6_T7_T9_mT8_S1G_bDpT10_ENKUlT_T0_E_clISt17integral_constantIbLb1EES1U_EEDaS1P_S1Q_EUlS1P_E_NS1_11comp_targetILNS1_3genE4ELNS1_11target_archE910ELNS1_3gpuE8ELNS1_3repE0EEENS1_30default_config_static_selectorELNS0_4arch9wavefront6targetE0EEEvS12_,"axG",@progbits,_ZN7rocprim17ROCPRIM_400000_NS6detail17trampoline_kernelINS0_13select_configILj256ELj13ELNS0_17block_load_methodE3ELS4_3ELS4_3ELNS0_20block_scan_algorithmE0ELj4294967295EEENS1_25partition_config_selectorILNS1_17partition_subalgoE4EjNS0_10empty_typeEbEEZZNS1_14partition_implILS8_4ELb0ES6_15HIP_vector_typeIjLj2EENS0_17counting_iteratorIjlEEPS9_SG_NS0_5tupleIJPjSI_NS0_16reverse_iteratorISI_EEEEENSH_IJSG_SG_SG_EEES9_SI_JZNS1_25segmented_radix_sort_implINS0_14default_configELb1EPKdPdPKlPlN2at6native12_GLOBAL__N_18offset_tEEE10hipError_tPvRmT1_PNSt15iterator_traitsIS12_E10value_typeET2_T3_PNS13_IS18_E10value_typeET4_jRbjT5_S1E_jjP12ihipStream_tbEUljE_ZNSN_ISO_Lb1ESQ_SR_ST_SU_SY_EESZ_S10_S11_S12_S16_S17_S18_S1B_S1C_jS1D_jS1E_S1E_jjS1G_bEUljE0_EEESZ_S10_S11_S18_S1C_S1E_T6_T7_T9_mT8_S1G_bDpT10_ENKUlT_T0_E_clISt17integral_constantIbLb1EES1U_EEDaS1P_S1Q_EUlS1P_E_NS1_11comp_targetILNS1_3genE4ELNS1_11target_archE910ELNS1_3gpuE8ELNS1_3repE0EEENS1_30default_config_static_selectorELNS0_4arch9wavefront6targetE0EEEvS12_,comdat
.Lfunc_end1058:
	.size	_ZN7rocprim17ROCPRIM_400000_NS6detail17trampoline_kernelINS0_13select_configILj256ELj13ELNS0_17block_load_methodE3ELS4_3ELS4_3ELNS0_20block_scan_algorithmE0ELj4294967295EEENS1_25partition_config_selectorILNS1_17partition_subalgoE4EjNS0_10empty_typeEbEEZZNS1_14partition_implILS8_4ELb0ES6_15HIP_vector_typeIjLj2EENS0_17counting_iteratorIjlEEPS9_SG_NS0_5tupleIJPjSI_NS0_16reverse_iteratorISI_EEEEENSH_IJSG_SG_SG_EEES9_SI_JZNS1_25segmented_radix_sort_implINS0_14default_configELb1EPKdPdPKlPlN2at6native12_GLOBAL__N_18offset_tEEE10hipError_tPvRmT1_PNSt15iterator_traitsIS12_E10value_typeET2_T3_PNS13_IS18_E10value_typeET4_jRbjT5_S1E_jjP12ihipStream_tbEUljE_ZNSN_ISO_Lb1ESQ_SR_ST_SU_SY_EESZ_S10_S11_S12_S16_S17_S18_S1B_S1C_jS1D_jS1E_S1E_jjS1G_bEUljE0_EEESZ_S10_S11_S18_S1C_S1E_T6_T7_T9_mT8_S1G_bDpT10_ENKUlT_T0_E_clISt17integral_constantIbLb1EES1U_EEDaS1P_S1Q_EUlS1P_E_NS1_11comp_targetILNS1_3genE4ELNS1_11target_archE910ELNS1_3gpuE8ELNS1_3repE0EEENS1_30default_config_static_selectorELNS0_4arch9wavefront6targetE0EEEvS12_, .Lfunc_end1058-_ZN7rocprim17ROCPRIM_400000_NS6detail17trampoline_kernelINS0_13select_configILj256ELj13ELNS0_17block_load_methodE3ELS4_3ELS4_3ELNS0_20block_scan_algorithmE0ELj4294967295EEENS1_25partition_config_selectorILNS1_17partition_subalgoE4EjNS0_10empty_typeEbEEZZNS1_14partition_implILS8_4ELb0ES6_15HIP_vector_typeIjLj2EENS0_17counting_iteratorIjlEEPS9_SG_NS0_5tupleIJPjSI_NS0_16reverse_iteratorISI_EEEEENSH_IJSG_SG_SG_EEES9_SI_JZNS1_25segmented_radix_sort_implINS0_14default_configELb1EPKdPdPKlPlN2at6native12_GLOBAL__N_18offset_tEEE10hipError_tPvRmT1_PNSt15iterator_traitsIS12_E10value_typeET2_T3_PNS13_IS18_E10value_typeET4_jRbjT5_S1E_jjP12ihipStream_tbEUljE_ZNSN_ISO_Lb1ESQ_SR_ST_SU_SY_EESZ_S10_S11_S12_S16_S17_S18_S1B_S1C_jS1D_jS1E_S1E_jjS1G_bEUljE0_EEESZ_S10_S11_S18_S1C_S1E_T6_T7_T9_mT8_S1G_bDpT10_ENKUlT_T0_E_clISt17integral_constantIbLb1EES1U_EEDaS1P_S1Q_EUlS1P_E_NS1_11comp_targetILNS1_3genE4ELNS1_11target_archE910ELNS1_3gpuE8ELNS1_3repE0EEENS1_30default_config_static_selectorELNS0_4arch9wavefront6targetE0EEEvS12_
                                        ; -- End function
	.set _ZN7rocprim17ROCPRIM_400000_NS6detail17trampoline_kernelINS0_13select_configILj256ELj13ELNS0_17block_load_methodE3ELS4_3ELS4_3ELNS0_20block_scan_algorithmE0ELj4294967295EEENS1_25partition_config_selectorILNS1_17partition_subalgoE4EjNS0_10empty_typeEbEEZZNS1_14partition_implILS8_4ELb0ES6_15HIP_vector_typeIjLj2EENS0_17counting_iteratorIjlEEPS9_SG_NS0_5tupleIJPjSI_NS0_16reverse_iteratorISI_EEEEENSH_IJSG_SG_SG_EEES9_SI_JZNS1_25segmented_radix_sort_implINS0_14default_configELb1EPKdPdPKlPlN2at6native12_GLOBAL__N_18offset_tEEE10hipError_tPvRmT1_PNSt15iterator_traitsIS12_E10value_typeET2_T3_PNS13_IS18_E10value_typeET4_jRbjT5_S1E_jjP12ihipStream_tbEUljE_ZNSN_ISO_Lb1ESQ_SR_ST_SU_SY_EESZ_S10_S11_S12_S16_S17_S18_S1B_S1C_jS1D_jS1E_S1E_jjS1G_bEUljE0_EEESZ_S10_S11_S18_S1C_S1E_T6_T7_T9_mT8_S1G_bDpT10_ENKUlT_T0_E_clISt17integral_constantIbLb1EES1U_EEDaS1P_S1Q_EUlS1P_E_NS1_11comp_targetILNS1_3genE4ELNS1_11target_archE910ELNS1_3gpuE8ELNS1_3repE0EEENS1_30default_config_static_selectorELNS0_4arch9wavefront6targetE0EEEvS12_.num_vgpr, 0
	.set _ZN7rocprim17ROCPRIM_400000_NS6detail17trampoline_kernelINS0_13select_configILj256ELj13ELNS0_17block_load_methodE3ELS4_3ELS4_3ELNS0_20block_scan_algorithmE0ELj4294967295EEENS1_25partition_config_selectorILNS1_17partition_subalgoE4EjNS0_10empty_typeEbEEZZNS1_14partition_implILS8_4ELb0ES6_15HIP_vector_typeIjLj2EENS0_17counting_iteratorIjlEEPS9_SG_NS0_5tupleIJPjSI_NS0_16reverse_iteratorISI_EEEEENSH_IJSG_SG_SG_EEES9_SI_JZNS1_25segmented_radix_sort_implINS0_14default_configELb1EPKdPdPKlPlN2at6native12_GLOBAL__N_18offset_tEEE10hipError_tPvRmT1_PNSt15iterator_traitsIS12_E10value_typeET2_T3_PNS13_IS18_E10value_typeET4_jRbjT5_S1E_jjP12ihipStream_tbEUljE_ZNSN_ISO_Lb1ESQ_SR_ST_SU_SY_EESZ_S10_S11_S12_S16_S17_S18_S1B_S1C_jS1D_jS1E_S1E_jjS1G_bEUljE0_EEESZ_S10_S11_S18_S1C_S1E_T6_T7_T9_mT8_S1G_bDpT10_ENKUlT_T0_E_clISt17integral_constantIbLb1EES1U_EEDaS1P_S1Q_EUlS1P_E_NS1_11comp_targetILNS1_3genE4ELNS1_11target_archE910ELNS1_3gpuE8ELNS1_3repE0EEENS1_30default_config_static_selectorELNS0_4arch9wavefront6targetE0EEEvS12_.num_agpr, 0
	.set _ZN7rocprim17ROCPRIM_400000_NS6detail17trampoline_kernelINS0_13select_configILj256ELj13ELNS0_17block_load_methodE3ELS4_3ELS4_3ELNS0_20block_scan_algorithmE0ELj4294967295EEENS1_25partition_config_selectorILNS1_17partition_subalgoE4EjNS0_10empty_typeEbEEZZNS1_14partition_implILS8_4ELb0ES6_15HIP_vector_typeIjLj2EENS0_17counting_iteratorIjlEEPS9_SG_NS0_5tupleIJPjSI_NS0_16reverse_iteratorISI_EEEEENSH_IJSG_SG_SG_EEES9_SI_JZNS1_25segmented_radix_sort_implINS0_14default_configELb1EPKdPdPKlPlN2at6native12_GLOBAL__N_18offset_tEEE10hipError_tPvRmT1_PNSt15iterator_traitsIS12_E10value_typeET2_T3_PNS13_IS18_E10value_typeET4_jRbjT5_S1E_jjP12ihipStream_tbEUljE_ZNSN_ISO_Lb1ESQ_SR_ST_SU_SY_EESZ_S10_S11_S12_S16_S17_S18_S1B_S1C_jS1D_jS1E_S1E_jjS1G_bEUljE0_EEESZ_S10_S11_S18_S1C_S1E_T6_T7_T9_mT8_S1G_bDpT10_ENKUlT_T0_E_clISt17integral_constantIbLb1EES1U_EEDaS1P_S1Q_EUlS1P_E_NS1_11comp_targetILNS1_3genE4ELNS1_11target_archE910ELNS1_3gpuE8ELNS1_3repE0EEENS1_30default_config_static_selectorELNS0_4arch9wavefront6targetE0EEEvS12_.numbered_sgpr, 0
	.set _ZN7rocprim17ROCPRIM_400000_NS6detail17trampoline_kernelINS0_13select_configILj256ELj13ELNS0_17block_load_methodE3ELS4_3ELS4_3ELNS0_20block_scan_algorithmE0ELj4294967295EEENS1_25partition_config_selectorILNS1_17partition_subalgoE4EjNS0_10empty_typeEbEEZZNS1_14partition_implILS8_4ELb0ES6_15HIP_vector_typeIjLj2EENS0_17counting_iteratorIjlEEPS9_SG_NS0_5tupleIJPjSI_NS0_16reverse_iteratorISI_EEEEENSH_IJSG_SG_SG_EEES9_SI_JZNS1_25segmented_radix_sort_implINS0_14default_configELb1EPKdPdPKlPlN2at6native12_GLOBAL__N_18offset_tEEE10hipError_tPvRmT1_PNSt15iterator_traitsIS12_E10value_typeET2_T3_PNS13_IS18_E10value_typeET4_jRbjT5_S1E_jjP12ihipStream_tbEUljE_ZNSN_ISO_Lb1ESQ_SR_ST_SU_SY_EESZ_S10_S11_S12_S16_S17_S18_S1B_S1C_jS1D_jS1E_S1E_jjS1G_bEUljE0_EEESZ_S10_S11_S18_S1C_S1E_T6_T7_T9_mT8_S1G_bDpT10_ENKUlT_T0_E_clISt17integral_constantIbLb1EES1U_EEDaS1P_S1Q_EUlS1P_E_NS1_11comp_targetILNS1_3genE4ELNS1_11target_archE910ELNS1_3gpuE8ELNS1_3repE0EEENS1_30default_config_static_selectorELNS0_4arch9wavefront6targetE0EEEvS12_.num_named_barrier, 0
	.set _ZN7rocprim17ROCPRIM_400000_NS6detail17trampoline_kernelINS0_13select_configILj256ELj13ELNS0_17block_load_methodE3ELS4_3ELS4_3ELNS0_20block_scan_algorithmE0ELj4294967295EEENS1_25partition_config_selectorILNS1_17partition_subalgoE4EjNS0_10empty_typeEbEEZZNS1_14partition_implILS8_4ELb0ES6_15HIP_vector_typeIjLj2EENS0_17counting_iteratorIjlEEPS9_SG_NS0_5tupleIJPjSI_NS0_16reverse_iteratorISI_EEEEENSH_IJSG_SG_SG_EEES9_SI_JZNS1_25segmented_radix_sort_implINS0_14default_configELb1EPKdPdPKlPlN2at6native12_GLOBAL__N_18offset_tEEE10hipError_tPvRmT1_PNSt15iterator_traitsIS12_E10value_typeET2_T3_PNS13_IS18_E10value_typeET4_jRbjT5_S1E_jjP12ihipStream_tbEUljE_ZNSN_ISO_Lb1ESQ_SR_ST_SU_SY_EESZ_S10_S11_S12_S16_S17_S18_S1B_S1C_jS1D_jS1E_S1E_jjS1G_bEUljE0_EEESZ_S10_S11_S18_S1C_S1E_T6_T7_T9_mT8_S1G_bDpT10_ENKUlT_T0_E_clISt17integral_constantIbLb1EES1U_EEDaS1P_S1Q_EUlS1P_E_NS1_11comp_targetILNS1_3genE4ELNS1_11target_archE910ELNS1_3gpuE8ELNS1_3repE0EEENS1_30default_config_static_selectorELNS0_4arch9wavefront6targetE0EEEvS12_.private_seg_size, 0
	.set _ZN7rocprim17ROCPRIM_400000_NS6detail17trampoline_kernelINS0_13select_configILj256ELj13ELNS0_17block_load_methodE3ELS4_3ELS4_3ELNS0_20block_scan_algorithmE0ELj4294967295EEENS1_25partition_config_selectorILNS1_17partition_subalgoE4EjNS0_10empty_typeEbEEZZNS1_14partition_implILS8_4ELb0ES6_15HIP_vector_typeIjLj2EENS0_17counting_iteratorIjlEEPS9_SG_NS0_5tupleIJPjSI_NS0_16reverse_iteratorISI_EEEEENSH_IJSG_SG_SG_EEES9_SI_JZNS1_25segmented_radix_sort_implINS0_14default_configELb1EPKdPdPKlPlN2at6native12_GLOBAL__N_18offset_tEEE10hipError_tPvRmT1_PNSt15iterator_traitsIS12_E10value_typeET2_T3_PNS13_IS18_E10value_typeET4_jRbjT5_S1E_jjP12ihipStream_tbEUljE_ZNSN_ISO_Lb1ESQ_SR_ST_SU_SY_EESZ_S10_S11_S12_S16_S17_S18_S1B_S1C_jS1D_jS1E_S1E_jjS1G_bEUljE0_EEESZ_S10_S11_S18_S1C_S1E_T6_T7_T9_mT8_S1G_bDpT10_ENKUlT_T0_E_clISt17integral_constantIbLb1EES1U_EEDaS1P_S1Q_EUlS1P_E_NS1_11comp_targetILNS1_3genE4ELNS1_11target_archE910ELNS1_3gpuE8ELNS1_3repE0EEENS1_30default_config_static_selectorELNS0_4arch9wavefront6targetE0EEEvS12_.uses_vcc, 0
	.set _ZN7rocprim17ROCPRIM_400000_NS6detail17trampoline_kernelINS0_13select_configILj256ELj13ELNS0_17block_load_methodE3ELS4_3ELS4_3ELNS0_20block_scan_algorithmE0ELj4294967295EEENS1_25partition_config_selectorILNS1_17partition_subalgoE4EjNS0_10empty_typeEbEEZZNS1_14partition_implILS8_4ELb0ES6_15HIP_vector_typeIjLj2EENS0_17counting_iteratorIjlEEPS9_SG_NS0_5tupleIJPjSI_NS0_16reverse_iteratorISI_EEEEENSH_IJSG_SG_SG_EEES9_SI_JZNS1_25segmented_radix_sort_implINS0_14default_configELb1EPKdPdPKlPlN2at6native12_GLOBAL__N_18offset_tEEE10hipError_tPvRmT1_PNSt15iterator_traitsIS12_E10value_typeET2_T3_PNS13_IS18_E10value_typeET4_jRbjT5_S1E_jjP12ihipStream_tbEUljE_ZNSN_ISO_Lb1ESQ_SR_ST_SU_SY_EESZ_S10_S11_S12_S16_S17_S18_S1B_S1C_jS1D_jS1E_S1E_jjS1G_bEUljE0_EEESZ_S10_S11_S18_S1C_S1E_T6_T7_T9_mT8_S1G_bDpT10_ENKUlT_T0_E_clISt17integral_constantIbLb1EES1U_EEDaS1P_S1Q_EUlS1P_E_NS1_11comp_targetILNS1_3genE4ELNS1_11target_archE910ELNS1_3gpuE8ELNS1_3repE0EEENS1_30default_config_static_selectorELNS0_4arch9wavefront6targetE0EEEvS12_.uses_flat_scratch, 0
	.set _ZN7rocprim17ROCPRIM_400000_NS6detail17trampoline_kernelINS0_13select_configILj256ELj13ELNS0_17block_load_methodE3ELS4_3ELS4_3ELNS0_20block_scan_algorithmE0ELj4294967295EEENS1_25partition_config_selectorILNS1_17partition_subalgoE4EjNS0_10empty_typeEbEEZZNS1_14partition_implILS8_4ELb0ES6_15HIP_vector_typeIjLj2EENS0_17counting_iteratorIjlEEPS9_SG_NS0_5tupleIJPjSI_NS0_16reverse_iteratorISI_EEEEENSH_IJSG_SG_SG_EEES9_SI_JZNS1_25segmented_radix_sort_implINS0_14default_configELb1EPKdPdPKlPlN2at6native12_GLOBAL__N_18offset_tEEE10hipError_tPvRmT1_PNSt15iterator_traitsIS12_E10value_typeET2_T3_PNS13_IS18_E10value_typeET4_jRbjT5_S1E_jjP12ihipStream_tbEUljE_ZNSN_ISO_Lb1ESQ_SR_ST_SU_SY_EESZ_S10_S11_S12_S16_S17_S18_S1B_S1C_jS1D_jS1E_S1E_jjS1G_bEUljE0_EEESZ_S10_S11_S18_S1C_S1E_T6_T7_T9_mT8_S1G_bDpT10_ENKUlT_T0_E_clISt17integral_constantIbLb1EES1U_EEDaS1P_S1Q_EUlS1P_E_NS1_11comp_targetILNS1_3genE4ELNS1_11target_archE910ELNS1_3gpuE8ELNS1_3repE0EEENS1_30default_config_static_selectorELNS0_4arch9wavefront6targetE0EEEvS12_.has_dyn_sized_stack, 0
	.set _ZN7rocprim17ROCPRIM_400000_NS6detail17trampoline_kernelINS0_13select_configILj256ELj13ELNS0_17block_load_methodE3ELS4_3ELS4_3ELNS0_20block_scan_algorithmE0ELj4294967295EEENS1_25partition_config_selectorILNS1_17partition_subalgoE4EjNS0_10empty_typeEbEEZZNS1_14partition_implILS8_4ELb0ES6_15HIP_vector_typeIjLj2EENS0_17counting_iteratorIjlEEPS9_SG_NS0_5tupleIJPjSI_NS0_16reverse_iteratorISI_EEEEENSH_IJSG_SG_SG_EEES9_SI_JZNS1_25segmented_radix_sort_implINS0_14default_configELb1EPKdPdPKlPlN2at6native12_GLOBAL__N_18offset_tEEE10hipError_tPvRmT1_PNSt15iterator_traitsIS12_E10value_typeET2_T3_PNS13_IS18_E10value_typeET4_jRbjT5_S1E_jjP12ihipStream_tbEUljE_ZNSN_ISO_Lb1ESQ_SR_ST_SU_SY_EESZ_S10_S11_S12_S16_S17_S18_S1B_S1C_jS1D_jS1E_S1E_jjS1G_bEUljE0_EEESZ_S10_S11_S18_S1C_S1E_T6_T7_T9_mT8_S1G_bDpT10_ENKUlT_T0_E_clISt17integral_constantIbLb1EES1U_EEDaS1P_S1Q_EUlS1P_E_NS1_11comp_targetILNS1_3genE4ELNS1_11target_archE910ELNS1_3gpuE8ELNS1_3repE0EEENS1_30default_config_static_selectorELNS0_4arch9wavefront6targetE0EEEvS12_.has_recursion, 0
	.set _ZN7rocprim17ROCPRIM_400000_NS6detail17trampoline_kernelINS0_13select_configILj256ELj13ELNS0_17block_load_methodE3ELS4_3ELS4_3ELNS0_20block_scan_algorithmE0ELj4294967295EEENS1_25partition_config_selectorILNS1_17partition_subalgoE4EjNS0_10empty_typeEbEEZZNS1_14partition_implILS8_4ELb0ES6_15HIP_vector_typeIjLj2EENS0_17counting_iteratorIjlEEPS9_SG_NS0_5tupleIJPjSI_NS0_16reverse_iteratorISI_EEEEENSH_IJSG_SG_SG_EEES9_SI_JZNS1_25segmented_radix_sort_implINS0_14default_configELb1EPKdPdPKlPlN2at6native12_GLOBAL__N_18offset_tEEE10hipError_tPvRmT1_PNSt15iterator_traitsIS12_E10value_typeET2_T3_PNS13_IS18_E10value_typeET4_jRbjT5_S1E_jjP12ihipStream_tbEUljE_ZNSN_ISO_Lb1ESQ_SR_ST_SU_SY_EESZ_S10_S11_S12_S16_S17_S18_S1B_S1C_jS1D_jS1E_S1E_jjS1G_bEUljE0_EEESZ_S10_S11_S18_S1C_S1E_T6_T7_T9_mT8_S1G_bDpT10_ENKUlT_T0_E_clISt17integral_constantIbLb1EES1U_EEDaS1P_S1Q_EUlS1P_E_NS1_11comp_targetILNS1_3genE4ELNS1_11target_archE910ELNS1_3gpuE8ELNS1_3repE0EEENS1_30default_config_static_selectorELNS0_4arch9wavefront6targetE0EEEvS12_.has_indirect_call, 0
	.section	.AMDGPU.csdata,"",@progbits
; Kernel info:
; codeLenInByte = 0
; TotalNumSgprs: 0
; NumVgprs: 0
; ScratchSize: 0
; MemoryBound: 0
; FloatMode: 240
; IeeeMode: 1
; LDSByteSize: 0 bytes/workgroup (compile time only)
; SGPRBlocks: 0
; VGPRBlocks: 0
; NumSGPRsForWavesPerEU: 1
; NumVGPRsForWavesPerEU: 1
; NamedBarCnt: 0
; Occupancy: 16
; WaveLimiterHint : 0
; COMPUTE_PGM_RSRC2:SCRATCH_EN: 0
; COMPUTE_PGM_RSRC2:USER_SGPR: 2
; COMPUTE_PGM_RSRC2:TRAP_HANDLER: 0
; COMPUTE_PGM_RSRC2:TGID_X_EN: 1
; COMPUTE_PGM_RSRC2:TGID_Y_EN: 0
; COMPUTE_PGM_RSRC2:TGID_Z_EN: 0
; COMPUTE_PGM_RSRC2:TIDIG_COMP_CNT: 0
	.section	.text._ZN7rocprim17ROCPRIM_400000_NS6detail17trampoline_kernelINS0_13select_configILj256ELj13ELNS0_17block_load_methodE3ELS4_3ELS4_3ELNS0_20block_scan_algorithmE0ELj4294967295EEENS1_25partition_config_selectorILNS1_17partition_subalgoE4EjNS0_10empty_typeEbEEZZNS1_14partition_implILS8_4ELb0ES6_15HIP_vector_typeIjLj2EENS0_17counting_iteratorIjlEEPS9_SG_NS0_5tupleIJPjSI_NS0_16reverse_iteratorISI_EEEEENSH_IJSG_SG_SG_EEES9_SI_JZNS1_25segmented_radix_sort_implINS0_14default_configELb1EPKdPdPKlPlN2at6native12_GLOBAL__N_18offset_tEEE10hipError_tPvRmT1_PNSt15iterator_traitsIS12_E10value_typeET2_T3_PNS13_IS18_E10value_typeET4_jRbjT5_S1E_jjP12ihipStream_tbEUljE_ZNSN_ISO_Lb1ESQ_SR_ST_SU_SY_EESZ_S10_S11_S12_S16_S17_S18_S1B_S1C_jS1D_jS1E_S1E_jjS1G_bEUljE0_EEESZ_S10_S11_S18_S1C_S1E_T6_T7_T9_mT8_S1G_bDpT10_ENKUlT_T0_E_clISt17integral_constantIbLb1EES1U_EEDaS1P_S1Q_EUlS1P_E_NS1_11comp_targetILNS1_3genE3ELNS1_11target_archE908ELNS1_3gpuE7ELNS1_3repE0EEENS1_30default_config_static_selectorELNS0_4arch9wavefront6targetE0EEEvS12_,"axG",@progbits,_ZN7rocprim17ROCPRIM_400000_NS6detail17trampoline_kernelINS0_13select_configILj256ELj13ELNS0_17block_load_methodE3ELS4_3ELS4_3ELNS0_20block_scan_algorithmE0ELj4294967295EEENS1_25partition_config_selectorILNS1_17partition_subalgoE4EjNS0_10empty_typeEbEEZZNS1_14partition_implILS8_4ELb0ES6_15HIP_vector_typeIjLj2EENS0_17counting_iteratorIjlEEPS9_SG_NS0_5tupleIJPjSI_NS0_16reverse_iteratorISI_EEEEENSH_IJSG_SG_SG_EEES9_SI_JZNS1_25segmented_radix_sort_implINS0_14default_configELb1EPKdPdPKlPlN2at6native12_GLOBAL__N_18offset_tEEE10hipError_tPvRmT1_PNSt15iterator_traitsIS12_E10value_typeET2_T3_PNS13_IS18_E10value_typeET4_jRbjT5_S1E_jjP12ihipStream_tbEUljE_ZNSN_ISO_Lb1ESQ_SR_ST_SU_SY_EESZ_S10_S11_S12_S16_S17_S18_S1B_S1C_jS1D_jS1E_S1E_jjS1G_bEUljE0_EEESZ_S10_S11_S18_S1C_S1E_T6_T7_T9_mT8_S1G_bDpT10_ENKUlT_T0_E_clISt17integral_constantIbLb1EES1U_EEDaS1P_S1Q_EUlS1P_E_NS1_11comp_targetILNS1_3genE3ELNS1_11target_archE908ELNS1_3gpuE7ELNS1_3repE0EEENS1_30default_config_static_selectorELNS0_4arch9wavefront6targetE0EEEvS12_,comdat
	.globl	_ZN7rocprim17ROCPRIM_400000_NS6detail17trampoline_kernelINS0_13select_configILj256ELj13ELNS0_17block_load_methodE3ELS4_3ELS4_3ELNS0_20block_scan_algorithmE0ELj4294967295EEENS1_25partition_config_selectorILNS1_17partition_subalgoE4EjNS0_10empty_typeEbEEZZNS1_14partition_implILS8_4ELb0ES6_15HIP_vector_typeIjLj2EENS0_17counting_iteratorIjlEEPS9_SG_NS0_5tupleIJPjSI_NS0_16reverse_iteratorISI_EEEEENSH_IJSG_SG_SG_EEES9_SI_JZNS1_25segmented_radix_sort_implINS0_14default_configELb1EPKdPdPKlPlN2at6native12_GLOBAL__N_18offset_tEEE10hipError_tPvRmT1_PNSt15iterator_traitsIS12_E10value_typeET2_T3_PNS13_IS18_E10value_typeET4_jRbjT5_S1E_jjP12ihipStream_tbEUljE_ZNSN_ISO_Lb1ESQ_SR_ST_SU_SY_EESZ_S10_S11_S12_S16_S17_S18_S1B_S1C_jS1D_jS1E_S1E_jjS1G_bEUljE0_EEESZ_S10_S11_S18_S1C_S1E_T6_T7_T9_mT8_S1G_bDpT10_ENKUlT_T0_E_clISt17integral_constantIbLb1EES1U_EEDaS1P_S1Q_EUlS1P_E_NS1_11comp_targetILNS1_3genE3ELNS1_11target_archE908ELNS1_3gpuE7ELNS1_3repE0EEENS1_30default_config_static_selectorELNS0_4arch9wavefront6targetE0EEEvS12_ ; -- Begin function _ZN7rocprim17ROCPRIM_400000_NS6detail17trampoline_kernelINS0_13select_configILj256ELj13ELNS0_17block_load_methodE3ELS4_3ELS4_3ELNS0_20block_scan_algorithmE0ELj4294967295EEENS1_25partition_config_selectorILNS1_17partition_subalgoE4EjNS0_10empty_typeEbEEZZNS1_14partition_implILS8_4ELb0ES6_15HIP_vector_typeIjLj2EENS0_17counting_iteratorIjlEEPS9_SG_NS0_5tupleIJPjSI_NS0_16reverse_iteratorISI_EEEEENSH_IJSG_SG_SG_EEES9_SI_JZNS1_25segmented_radix_sort_implINS0_14default_configELb1EPKdPdPKlPlN2at6native12_GLOBAL__N_18offset_tEEE10hipError_tPvRmT1_PNSt15iterator_traitsIS12_E10value_typeET2_T3_PNS13_IS18_E10value_typeET4_jRbjT5_S1E_jjP12ihipStream_tbEUljE_ZNSN_ISO_Lb1ESQ_SR_ST_SU_SY_EESZ_S10_S11_S12_S16_S17_S18_S1B_S1C_jS1D_jS1E_S1E_jjS1G_bEUljE0_EEESZ_S10_S11_S18_S1C_S1E_T6_T7_T9_mT8_S1G_bDpT10_ENKUlT_T0_E_clISt17integral_constantIbLb1EES1U_EEDaS1P_S1Q_EUlS1P_E_NS1_11comp_targetILNS1_3genE3ELNS1_11target_archE908ELNS1_3gpuE7ELNS1_3repE0EEENS1_30default_config_static_selectorELNS0_4arch9wavefront6targetE0EEEvS12_
	.p2align	8
	.type	_ZN7rocprim17ROCPRIM_400000_NS6detail17trampoline_kernelINS0_13select_configILj256ELj13ELNS0_17block_load_methodE3ELS4_3ELS4_3ELNS0_20block_scan_algorithmE0ELj4294967295EEENS1_25partition_config_selectorILNS1_17partition_subalgoE4EjNS0_10empty_typeEbEEZZNS1_14partition_implILS8_4ELb0ES6_15HIP_vector_typeIjLj2EENS0_17counting_iteratorIjlEEPS9_SG_NS0_5tupleIJPjSI_NS0_16reverse_iteratorISI_EEEEENSH_IJSG_SG_SG_EEES9_SI_JZNS1_25segmented_radix_sort_implINS0_14default_configELb1EPKdPdPKlPlN2at6native12_GLOBAL__N_18offset_tEEE10hipError_tPvRmT1_PNSt15iterator_traitsIS12_E10value_typeET2_T3_PNS13_IS18_E10value_typeET4_jRbjT5_S1E_jjP12ihipStream_tbEUljE_ZNSN_ISO_Lb1ESQ_SR_ST_SU_SY_EESZ_S10_S11_S12_S16_S17_S18_S1B_S1C_jS1D_jS1E_S1E_jjS1G_bEUljE0_EEESZ_S10_S11_S18_S1C_S1E_T6_T7_T9_mT8_S1G_bDpT10_ENKUlT_T0_E_clISt17integral_constantIbLb1EES1U_EEDaS1P_S1Q_EUlS1P_E_NS1_11comp_targetILNS1_3genE3ELNS1_11target_archE908ELNS1_3gpuE7ELNS1_3repE0EEENS1_30default_config_static_selectorELNS0_4arch9wavefront6targetE0EEEvS12_,@function
_ZN7rocprim17ROCPRIM_400000_NS6detail17trampoline_kernelINS0_13select_configILj256ELj13ELNS0_17block_load_methodE3ELS4_3ELS4_3ELNS0_20block_scan_algorithmE0ELj4294967295EEENS1_25partition_config_selectorILNS1_17partition_subalgoE4EjNS0_10empty_typeEbEEZZNS1_14partition_implILS8_4ELb0ES6_15HIP_vector_typeIjLj2EENS0_17counting_iteratorIjlEEPS9_SG_NS0_5tupleIJPjSI_NS0_16reverse_iteratorISI_EEEEENSH_IJSG_SG_SG_EEES9_SI_JZNS1_25segmented_radix_sort_implINS0_14default_configELb1EPKdPdPKlPlN2at6native12_GLOBAL__N_18offset_tEEE10hipError_tPvRmT1_PNSt15iterator_traitsIS12_E10value_typeET2_T3_PNS13_IS18_E10value_typeET4_jRbjT5_S1E_jjP12ihipStream_tbEUljE_ZNSN_ISO_Lb1ESQ_SR_ST_SU_SY_EESZ_S10_S11_S12_S16_S17_S18_S1B_S1C_jS1D_jS1E_S1E_jjS1G_bEUljE0_EEESZ_S10_S11_S18_S1C_S1E_T6_T7_T9_mT8_S1G_bDpT10_ENKUlT_T0_E_clISt17integral_constantIbLb1EES1U_EEDaS1P_S1Q_EUlS1P_E_NS1_11comp_targetILNS1_3genE3ELNS1_11target_archE908ELNS1_3gpuE7ELNS1_3repE0EEENS1_30default_config_static_selectorELNS0_4arch9wavefront6targetE0EEEvS12_: ; @_ZN7rocprim17ROCPRIM_400000_NS6detail17trampoline_kernelINS0_13select_configILj256ELj13ELNS0_17block_load_methodE3ELS4_3ELS4_3ELNS0_20block_scan_algorithmE0ELj4294967295EEENS1_25partition_config_selectorILNS1_17partition_subalgoE4EjNS0_10empty_typeEbEEZZNS1_14partition_implILS8_4ELb0ES6_15HIP_vector_typeIjLj2EENS0_17counting_iteratorIjlEEPS9_SG_NS0_5tupleIJPjSI_NS0_16reverse_iteratorISI_EEEEENSH_IJSG_SG_SG_EEES9_SI_JZNS1_25segmented_radix_sort_implINS0_14default_configELb1EPKdPdPKlPlN2at6native12_GLOBAL__N_18offset_tEEE10hipError_tPvRmT1_PNSt15iterator_traitsIS12_E10value_typeET2_T3_PNS13_IS18_E10value_typeET4_jRbjT5_S1E_jjP12ihipStream_tbEUljE_ZNSN_ISO_Lb1ESQ_SR_ST_SU_SY_EESZ_S10_S11_S12_S16_S17_S18_S1B_S1C_jS1D_jS1E_S1E_jjS1G_bEUljE0_EEESZ_S10_S11_S18_S1C_S1E_T6_T7_T9_mT8_S1G_bDpT10_ENKUlT_T0_E_clISt17integral_constantIbLb1EES1U_EEDaS1P_S1Q_EUlS1P_E_NS1_11comp_targetILNS1_3genE3ELNS1_11target_archE908ELNS1_3gpuE7ELNS1_3repE0EEENS1_30default_config_static_selectorELNS0_4arch9wavefront6targetE0EEEvS12_
; %bb.0:
	.section	.rodata,"a",@progbits
	.p2align	6, 0x0
	.amdhsa_kernel _ZN7rocprim17ROCPRIM_400000_NS6detail17trampoline_kernelINS0_13select_configILj256ELj13ELNS0_17block_load_methodE3ELS4_3ELS4_3ELNS0_20block_scan_algorithmE0ELj4294967295EEENS1_25partition_config_selectorILNS1_17partition_subalgoE4EjNS0_10empty_typeEbEEZZNS1_14partition_implILS8_4ELb0ES6_15HIP_vector_typeIjLj2EENS0_17counting_iteratorIjlEEPS9_SG_NS0_5tupleIJPjSI_NS0_16reverse_iteratorISI_EEEEENSH_IJSG_SG_SG_EEES9_SI_JZNS1_25segmented_radix_sort_implINS0_14default_configELb1EPKdPdPKlPlN2at6native12_GLOBAL__N_18offset_tEEE10hipError_tPvRmT1_PNSt15iterator_traitsIS12_E10value_typeET2_T3_PNS13_IS18_E10value_typeET4_jRbjT5_S1E_jjP12ihipStream_tbEUljE_ZNSN_ISO_Lb1ESQ_SR_ST_SU_SY_EESZ_S10_S11_S12_S16_S17_S18_S1B_S1C_jS1D_jS1E_S1E_jjS1G_bEUljE0_EEESZ_S10_S11_S18_S1C_S1E_T6_T7_T9_mT8_S1G_bDpT10_ENKUlT_T0_E_clISt17integral_constantIbLb1EES1U_EEDaS1P_S1Q_EUlS1P_E_NS1_11comp_targetILNS1_3genE3ELNS1_11target_archE908ELNS1_3gpuE7ELNS1_3repE0EEENS1_30default_config_static_selectorELNS0_4arch9wavefront6targetE0EEEvS12_
		.amdhsa_group_segment_fixed_size 0
		.amdhsa_private_segment_fixed_size 0
		.amdhsa_kernarg_size 184
		.amdhsa_user_sgpr_count 2
		.amdhsa_user_sgpr_dispatch_ptr 0
		.amdhsa_user_sgpr_queue_ptr 0
		.amdhsa_user_sgpr_kernarg_segment_ptr 1
		.amdhsa_user_sgpr_dispatch_id 0
		.amdhsa_user_sgpr_kernarg_preload_length 0
		.amdhsa_user_sgpr_kernarg_preload_offset 0
		.amdhsa_user_sgpr_private_segment_size 0
		.amdhsa_wavefront_size32 1
		.amdhsa_uses_dynamic_stack 0
		.amdhsa_enable_private_segment 0
		.amdhsa_system_sgpr_workgroup_id_x 1
		.amdhsa_system_sgpr_workgroup_id_y 0
		.amdhsa_system_sgpr_workgroup_id_z 0
		.amdhsa_system_sgpr_workgroup_info 0
		.amdhsa_system_vgpr_workitem_id 0
		.amdhsa_next_free_vgpr 1
		.amdhsa_next_free_sgpr 1
		.amdhsa_named_barrier_count 0
		.amdhsa_reserve_vcc 0
		.amdhsa_float_round_mode_32 0
		.amdhsa_float_round_mode_16_64 0
		.amdhsa_float_denorm_mode_32 3
		.amdhsa_float_denorm_mode_16_64 3
		.amdhsa_fp16_overflow 0
		.amdhsa_memory_ordered 1
		.amdhsa_forward_progress 1
		.amdhsa_inst_pref_size 0
		.amdhsa_round_robin_scheduling 0
		.amdhsa_exception_fp_ieee_invalid_op 0
		.amdhsa_exception_fp_denorm_src 0
		.amdhsa_exception_fp_ieee_div_zero 0
		.amdhsa_exception_fp_ieee_overflow 0
		.amdhsa_exception_fp_ieee_underflow 0
		.amdhsa_exception_fp_ieee_inexact 0
		.amdhsa_exception_int_div_zero 0
	.end_amdhsa_kernel
	.section	.text._ZN7rocprim17ROCPRIM_400000_NS6detail17trampoline_kernelINS0_13select_configILj256ELj13ELNS0_17block_load_methodE3ELS4_3ELS4_3ELNS0_20block_scan_algorithmE0ELj4294967295EEENS1_25partition_config_selectorILNS1_17partition_subalgoE4EjNS0_10empty_typeEbEEZZNS1_14partition_implILS8_4ELb0ES6_15HIP_vector_typeIjLj2EENS0_17counting_iteratorIjlEEPS9_SG_NS0_5tupleIJPjSI_NS0_16reverse_iteratorISI_EEEEENSH_IJSG_SG_SG_EEES9_SI_JZNS1_25segmented_radix_sort_implINS0_14default_configELb1EPKdPdPKlPlN2at6native12_GLOBAL__N_18offset_tEEE10hipError_tPvRmT1_PNSt15iterator_traitsIS12_E10value_typeET2_T3_PNS13_IS18_E10value_typeET4_jRbjT5_S1E_jjP12ihipStream_tbEUljE_ZNSN_ISO_Lb1ESQ_SR_ST_SU_SY_EESZ_S10_S11_S12_S16_S17_S18_S1B_S1C_jS1D_jS1E_S1E_jjS1G_bEUljE0_EEESZ_S10_S11_S18_S1C_S1E_T6_T7_T9_mT8_S1G_bDpT10_ENKUlT_T0_E_clISt17integral_constantIbLb1EES1U_EEDaS1P_S1Q_EUlS1P_E_NS1_11comp_targetILNS1_3genE3ELNS1_11target_archE908ELNS1_3gpuE7ELNS1_3repE0EEENS1_30default_config_static_selectorELNS0_4arch9wavefront6targetE0EEEvS12_,"axG",@progbits,_ZN7rocprim17ROCPRIM_400000_NS6detail17trampoline_kernelINS0_13select_configILj256ELj13ELNS0_17block_load_methodE3ELS4_3ELS4_3ELNS0_20block_scan_algorithmE0ELj4294967295EEENS1_25partition_config_selectorILNS1_17partition_subalgoE4EjNS0_10empty_typeEbEEZZNS1_14partition_implILS8_4ELb0ES6_15HIP_vector_typeIjLj2EENS0_17counting_iteratorIjlEEPS9_SG_NS0_5tupleIJPjSI_NS0_16reverse_iteratorISI_EEEEENSH_IJSG_SG_SG_EEES9_SI_JZNS1_25segmented_radix_sort_implINS0_14default_configELb1EPKdPdPKlPlN2at6native12_GLOBAL__N_18offset_tEEE10hipError_tPvRmT1_PNSt15iterator_traitsIS12_E10value_typeET2_T3_PNS13_IS18_E10value_typeET4_jRbjT5_S1E_jjP12ihipStream_tbEUljE_ZNSN_ISO_Lb1ESQ_SR_ST_SU_SY_EESZ_S10_S11_S12_S16_S17_S18_S1B_S1C_jS1D_jS1E_S1E_jjS1G_bEUljE0_EEESZ_S10_S11_S18_S1C_S1E_T6_T7_T9_mT8_S1G_bDpT10_ENKUlT_T0_E_clISt17integral_constantIbLb1EES1U_EEDaS1P_S1Q_EUlS1P_E_NS1_11comp_targetILNS1_3genE3ELNS1_11target_archE908ELNS1_3gpuE7ELNS1_3repE0EEENS1_30default_config_static_selectorELNS0_4arch9wavefront6targetE0EEEvS12_,comdat
.Lfunc_end1059:
	.size	_ZN7rocprim17ROCPRIM_400000_NS6detail17trampoline_kernelINS0_13select_configILj256ELj13ELNS0_17block_load_methodE3ELS4_3ELS4_3ELNS0_20block_scan_algorithmE0ELj4294967295EEENS1_25partition_config_selectorILNS1_17partition_subalgoE4EjNS0_10empty_typeEbEEZZNS1_14partition_implILS8_4ELb0ES6_15HIP_vector_typeIjLj2EENS0_17counting_iteratorIjlEEPS9_SG_NS0_5tupleIJPjSI_NS0_16reverse_iteratorISI_EEEEENSH_IJSG_SG_SG_EEES9_SI_JZNS1_25segmented_radix_sort_implINS0_14default_configELb1EPKdPdPKlPlN2at6native12_GLOBAL__N_18offset_tEEE10hipError_tPvRmT1_PNSt15iterator_traitsIS12_E10value_typeET2_T3_PNS13_IS18_E10value_typeET4_jRbjT5_S1E_jjP12ihipStream_tbEUljE_ZNSN_ISO_Lb1ESQ_SR_ST_SU_SY_EESZ_S10_S11_S12_S16_S17_S18_S1B_S1C_jS1D_jS1E_S1E_jjS1G_bEUljE0_EEESZ_S10_S11_S18_S1C_S1E_T6_T7_T9_mT8_S1G_bDpT10_ENKUlT_T0_E_clISt17integral_constantIbLb1EES1U_EEDaS1P_S1Q_EUlS1P_E_NS1_11comp_targetILNS1_3genE3ELNS1_11target_archE908ELNS1_3gpuE7ELNS1_3repE0EEENS1_30default_config_static_selectorELNS0_4arch9wavefront6targetE0EEEvS12_, .Lfunc_end1059-_ZN7rocprim17ROCPRIM_400000_NS6detail17trampoline_kernelINS0_13select_configILj256ELj13ELNS0_17block_load_methodE3ELS4_3ELS4_3ELNS0_20block_scan_algorithmE0ELj4294967295EEENS1_25partition_config_selectorILNS1_17partition_subalgoE4EjNS0_10empty_typeEbEEZZNS1_14partition_implILS8_4ELb0ES6_15HIP_vector_typeIjLj2EENS0_17counting_iteratorIjlEEPS9_SG_NS0_5tupleIJPjSI_NS0_16reverse_iteratorISI_EEEEENSH_IJSG_SG_SG_EEES9_SI_JZNS1_25segmented_radix_sort_implINS0_14default_configELb1EPKdPdPKlPlN2at6native12_GLOBAL__N_18offset_tEEE10hipError_tPvRmT1_PNSt15iterator_traitsIS12_E10value_typeET2_T3_PNS13_IS18_E10value_typeET4_jRbjT5_S1E_jjP12ihipStream_tbEUljE_ZNSN_ISO_Lb1ESQ_SR_ST_SU_SY_EESZ_S10_S11_S12_S16_S17_S18_S1B_S1C_jS1D_jS1E_S1E_jjS1G_bEUljE0_EEESZ_S10_S11_S18_S1C_S1E_T6_T7_T9_mT8_S1G_bDpT10_ENKUlT_T0_E_clISt17integral_constantIbLb1EES1U_EEDaS1P_S1Q_EUlS1P_E_NS1_11comp_targetILNS1_3genE3ELNS1_11target_archE908ELNS1_3gpuE7ELNS1_3repE0EEENS1_30default_config_static_selectorELNS0_4arch9wavefront6targetE0EEEvS12_
                                        ; -- End function
	.set _ZN7rocprim17ROCPRIM_400000_NS6detail17trampoline_kernelINS0_13select_configILj256ELj13ELNS0_17block_load_methodE3ELS4_3ELS4_3ELNS0_20block_scan_algorithmE0ELj4294967295EEENS1_25partition_config_selectorILNS1_17partition_subalgoE4EjNS0_10empty_typeEbEEZZNS1_14partition_implILS8_4ELb0ES6_15HIP_vector_typeIjLj2EENS0_17counting_iteratorIjlEEPS9_SG_NS0_5tupleIJPjSI_NS0_16reverse_iteratorISI_EEEEENSH_IJSG_SG_SG_EEES9_SI_JZNS1_25segmented_radix_sort_implINS0_14default_configELb1EPKdPdPKlPlN2at6native12_GLOBAL__N_18offset_tEEE10hipError_tPvRmT1_PNSt15iterator_traitsIS12_E10value_typeET2_T3_PNS13_IS18_E10value_typeET4_jRbjT5_S1E_jjP12ihipStream_tbEUljE_ZNSN_ISO_Lb1ESQ_SR_ST_SU_SY_EESZ_S10_S11_S12_S16_S17_S18_S1B_S1C_jS1D_jS1E_S1E_jjS1G_bEUljE0_EEESZ_S10_S11_S18_S1C_S1E_T6_T7_T9_mT8_S1G_bDpT10_ENKUlT_T0_E_clISt17integral_constantIbLb1EES1U_EEDaS1P_S1Q_EUlS1P_E_NS1_11comp_targetILNS1_3genE3ELNS1_11target_archE908ELNS1_3gpuE7ELNS1_3repE0EEENS1_30default_config_static_selectorELNS0_4arch9wavefront6targetE0EEEvS12_.num_vgpr, 0
	.set _ZN7rocprim17ROCPRIM_400000_NS6detail17trampoline_kernelINS0_13select_configILj256ELj13ELNS0_17block_load_methodE3ELS4_3ELS4_3ELNS0_20block_scan_algorithmE0ELj4294967295EEENS1_25partition_config_selectorILNS1_17partition_subalgoE4EjNS0_10empty_typeEbEEZZNS1_14partition_implILS8_4ELb0ES6_15HIP_vector_typeIjLj2EENS0_17counting_iteratorIjlEEPS9_SG_NS0_5tupleIJPjSI_NS0_16reverse_iteratorISI_EEEEENSH_IJSG_SG_SG_EEES9_SI_JZNS1_25segmented_radix_sort_implINS0_14default_configELb1EPKdPdPKlPlN2at6native12_GLOBAL__N_18offset_tEEE10hipError_tPvRmT1_PNSt15iterator_traitsIS12_E10value_typeET2_T3_PNS13_IS18_E10value_typeET4_jRbjT5_S1E_jjP12ihipStream_tbEUljE_ZNSN_ISO_Lb1ESQ_SR_ST_SU_SY_EESZ_S10_S11_S12_S16_S17_S18_S1B_S1C_jS1D_jS1E_S1E_jjS1G_bEUljE0_EEESZ_S10_S11_S18_S1C_S1E_T6_T7_T9_mT8_S1G_bDpT10_ENKUlT_T0_E_clISt17integral_constantIbLb1EES1U_EEDaS1P_S1Q_EUlS1P_E_NS1_11comp_targetILNS1_3genE3ELNS1_11target_archE908ELNS1_3gpuE7ELNS1_3repE0EEENS1_30default_config_static_selectorELNS0_4arch9wavefront6targetE0EEEvS12_.num_agpr, 0
	.set _ZN7rocprim17ROCPRIM_400000_NS6detail17trampoline_kernelINS0_13select_configILj256ELj13ELNS0_17block_load_methodE3ELS4_3ELS4_3ELNS0_20block_scan_algorithmE0ELj4294967295EEENS1_25partition_config_selectorILNS1_17partition_subalgoE4EjNS0_10empty_typeEbEEZZNS1_14partition_implILS8_4ELb0ES6_15HIP_vector_typeIjLj2EENS0_17counting_iteratorIjlEEPS9_SG_NS0_5tupleIJPjSI_NS0_16reverse_iteratorISI_EEEEENSH_IJSG_SG_SG_EEES9_SI_JZNS1_25segmented_radix_sort_implINS0_14default_configELb1EPKdPdPKlPlN2at6native12_GLOBAL__N_18offset_tEEE10hipError_tPvRmT1_PNSt15iterator_traitsIS12_E10value_typeET2_T3_PNS13_IS18_E10value_typeET4_jRbjT5_S1E_jjP12ihipStream_tbEUljE_ZNSN_ISO_Lb1ESQ_SR_ST_SU_SY_EESZ_S10_S11_S12_S16_S17_S18_S1B_S1C_jS1D_jS1E_S1E_jjS1G_bEUljE0_EEESZ_S10_S11_S18_S1C_S1E_T6_T7_T9_mT8_S1G_bDpT10_ENKUlT_T0_E_clISt17integral_constantIbLb1EES1U_EEDaS1P_S1Q_EUlS1P_E_NS1_11comp_targetILNS1_3genE3ELNS1_11target_archE908ELNS1_3gpuE7ELNS1_3repE0EEENS1_30default_config_static_selectorELNS0_4arch9wavefront6targetE0EEEvS12_.numbered_sgpr, 0
	.set _ZN7rocprim17ROCPRIM_400000_NS6detail17trampoline_kernelINS0_13select_configILj256ELj13ELNS0_17block_load_methodE3ELS4_3ELS4_3ELNS0_20block_scan_algorithmE0ELj4294967295EEENS1_25partition_config_selectorILNS1_17partition_subalgoE4EjNS0_10empty_typeEbEEZZNS1_14partition_implILS8_4ELb0ES6_15HIP_vector_typeIjLj2EENS0_17counting_iteratorIjlEEPS9_SG_NS0_5tupleIJPjSI_NS0_16reverse_iteratorISI_EEEEENSH_IJSG_SG_SG_EEES9_SI_JZNS1_25segmented_radix_sort_implINS0_14default_configELb1EPKdPdPKlPlN2at6native12_GLOBAL__N_18offset_tEEE10hipError_tPvRmT1_PNSt15iterator_traitsIS12_E10value_typeET2_T3_PNS13_IS18_E10value_typeET4_jRbjT5_S1E_jjP12ihipStream_tbEUljE_ZNSN_ISO_Lb1ESQ_SR_ST_SU_SY_EESZ_S10_S11_S12_S16_S17_S18_S1B_S1C_jS1D_jS1E_S1E_jjS1G_bEUljE0_EEESZ_S10_S11_S18_S1C_S1E_T6_T7_T9_mT8_S1G_bDpT10_ENKUlT_T0_E_clISt17integral_constantIbLb1EES1U_EEDaS1P_S1Q_EUlS1P_E_NS1_11comp_targetILNS1_3genE3ELNS1_11target_archE908ELNS1_3gpuE7ELNS1_3repE0EEENS1_30default_config_static_selectorELNS0_4arch9wavefront6targetE0EEEvS12_.num_named_barrier, 0
	.set _ZN7rocprim17ROCPRIM_400000_NS6detail17trampoline_kernelINS0_13select_configILj256ELj13ELNS0_17block_load_methodE3ELS4_3ELS4_3ELNS0_20block_scan_algorithmE0ELj4294967295EEENS1_25partition_config_selectorILNS1_17partition_subalgoE4EjNS0_10empty_typeEbEEZZNS1_14partition_implILS8_4ELb0ES6_15HIP_vector_typeIjLj2EENS0_17counting_iteratorIjlEEPS9_SG_NS0_5tupleIJPjSI_NS0_16reverse_iteratorISI_EEEEENSH_IJSG_SG_SG_EEES9_SI_JZNS1_25segmented_radix_sort_implINS0_14default_configELb1EPKdPdPKlPlN2at6native12_GLOBAL__N_18offset_tEEE10hipError_tPvRmT1_PNSt15iterator_traitsIS12_E10value_typeET2_T3_PNS13_IS18_E10value_typeET4_jRbjT5_S1E_jjP12ihipStream_tbEUljE_ZNSN_ISO_Lb1ESQ_SR_ST_SU_SY_EESZ_S10_S11_S12_S16_S17_S18_S1B_S1C_jS1D_jS1E_S1E_jjS1G_bEUljE0_EEESZ_S10_S11_S18_S1C_S1E_T6_T7_T9_mT8_S1G_bDpT10_ENKUlT_T0_E_clISt17integral_constantIbLb1EES1U_EEDaS1P_S1Q_EUlS1P_E_NS1_11comp_targetILNS1_3genE3ELNS1_11target_archE908ELNS1_3gpuE7ELNS1_3repE0EEENS1_30default_config_static_selectorELNS0_4arch9wavefront6targetE0EEEvS12_.private_seg_size, 0
	.set _ZN7rocprim17ROCPRIM_400000_NS6detail17trampoline_kernelINS0_13select_configILj256ELj13ELNS0_17block_load_methodE3ELS4_3ELS4_3ELNS0_20block_scan_algorithmE0ELj4294967295EEENS1_25partition_config_selectorILNS1_17partition_subalgoE4EjNS0_10empty_typeEbEEZZNS1_14partition_implILS8_4ELb0ES6_15HIP_vector_typeIjLj2EENS0_17counting_iteratorIjlEEPS9_SG_NS0_5tupleIJPjSI_NS0_16reverse_iteratorISI_EEEEENSH_IJSG_SG_SG_EEES9_SI_JZNS1_25segmented_radix_sort_implINS0_14default_configELb1EPKdPdPKlPlN2at6native12_GLOBAL__N_18offset_tEEE10hipError_tPvRmT1_PNSt15iterator_traitsIS12_E10value_typeET2_T3_PNS13_IS18_E10value_typeET4_jRbjT5_S1E_jjP12ihipStream_tbEUljE_ZNSN_ISO_Lb1ESQ_SR_ST_SU_SY_EESZ_S10_S11_S12_S16_S17_S18_S1B_S1C_jS1D_jS1E_S1E_jjS1G_bEUljE0_EEESZ_S10_S11_S18_S1C_S1E_T6_T7_T9_mT8_S1G_bDpT10_ENKUlT_T0_E_clISt17integral_constantIbLb1EES1U_EEDaS1P_S1Q_EUlS1P_E_NS1_11comp_targetILNS1_3genE3ELNS1_11target_archE908ELNS1_3gpuE7ELNS1_3repE0EEENS1_30default_config_static_selectorELNS0_4arch9wavefront6targetE0EEEvS12_.uses_vcc, 0
	.set _ZN7rocprim17ROCPRIM_400000_NS6detail17trampoline_kernelINS0_13select_configILj256ELj13ELNS0_17block_load_methodE3ELS4_3ELS4_3ELNS0_20block_scan_algorithmE0ELj4294967295EEENS1_25partition_config_selectorILNS1_17partition_subalgoE4EjNS0_10empty_typeEbEEZZNS1_14partition_implILS8_4ELb0ES6_15HIP_vector_typeIjLj2EENS0_17counting_iteratorIjlEEPS9_SG_NS0_5tupleIJPjSI_NS0_16reverse_iteratorISI_EEEEENSH_IJSG_SG_SG_EEES9_SI_JZNS1_25segmented_radix_sort_implINS0_14default_configELb1EPKdPdPKlPlN2at6native12_GLOBAL__N_18offset_tEEE10hipError_tPvRmT1_PNSt15iterator_traitsIS12_E10value_typeET2_T3_PNS13_IS18_E10value_typeET4_jRbjT5_S1E_jjP12ihipStream_tbEUljE_ZNSN_ISO_Lb1ESQ_SR_ST_SU_SY_EESZ_S10_S11_S12_S16_S17_S18_S1B_S1C_jS1D_jS1E_S1E_jjS1G_bEUljE0_EEESZ_S10_S11_S18_S1C_S1E_T6_T7_T9_mT8_S1G_bDpT10_ENKUlT_T0_E_clISt17integral_constantIbLb1EES1U_EEDaS1P_S1Q_EUlS1P_E_NS1_11comp_targetILNS1_3genE3ELNS1_11target_archE908ELNS1_3gpuE7ELNS1_3repE0EEENS1_30default_config_static_selectorELNS0_4arch9wavefront6targetE0EEEvS12_.uses_flat_scratch, 0
	.set _ZN7rocprim17ROCPRIM_400000_NS6detail17trampoline_kernelINS0_13select_configILj256ELj13ELNS0_17block_load_methodE3ELS4_3ELS4_3ELNS0_20block_scan_algorithmE0ELj4294967295EEENS1_25partition_config_selectorILNS1_17partition_subalgoE4EjNS0_10empty_typeEbEEZZNS1_14partition_implILS8_4ELb0ES6_15HIP_vector_typeIjLj2EENS0_17counting_iteratorIjlEEPS9_SG_NS0_5tupleIJPjSI_NS0_16reverse_iteratorISI_EEEEENSH_IJSG_SG_SG_EEES9_SI_JZNS1_25segmented_radix_sort_implINS0_14default_configELb1EPKdPdPKlPlN2at6native12_GLOBAL__N_18offset_tEEE10hipError_tPvRmT1_PNSt15iterator_traitsIS12_E10value_typeET2_T3_PNS13_IS18_E10value_typeET4_jRbjT5_S1E_jjP12ihipStream_tbEUljE_ZNSN_ISO_Lb1ESQ_SR_ST_SU_SY_EESZ_S10_S11_S12_S16_S17_S18_S1B_S1C_jS1D_jS1E_S1E_jjS1G_bEUljE0_EEESZ_S10_S11_S18_S1C_S1E_T6_T7_T9_mT8_S1G_bDpT10_ENKUlT_T0_E_clISt17integral_constantIbLb1EES1U_EEDaS1P_S1Q_EUlS1P_E_NS1_11comp_targetILNS1_3genE3ELNS1_11target_archE908ELNS1_3gpuE7ELNS1_3repE0EEENS1_30default_config_static_selectorELNS0_4arch9wavefront6targetE0EEEvS12_.has_dyn_sized_stack, 0
	.set _ZN7rocprim17ROCPRIM_400000_NS6detail17trampoline_kernelINS0_13select_configILj256ELj13ELNS0_17block_load_methodE3ELS4_3ELS4_3ELNS0_20block_scan_algorithmE0ELj4294967295EEENS1_25partition_config_selectorILNS1_17partition_subalgoE4EjNS0_10empty_typeEbEEZZNS1_14partition_implILS8_4ELb0ES6_15HIP_vector_typeIjLj2EENS0_17counting_iteratorIjlEEPS9_SG_NS0_5tupleIJPjSI_NS0_16reverse_iteratorISI_EEEEENSH_IJSG_SG_SG_EEES9_SI_JZNS1_25segmented_radix_sort_implINS0_14default_configELb1EPKdPdPKlPlN2at6native12_GLOBAL__N_18offset_tEEE10hipError_tPvRmT1_PNSt15iterator_traitsIS12_E10value_typeET2_T3_PNS13_IS18_E10value_typeET4_jRbjT5_S1E_jjP12ihipStream_tbEUljE_ZNSN_ISO_Lb1ESQ_SR_ST_SU_SY_EESZ_S10_S11_S12_S16_S17_S18_S1B_S1C_jS1D_jS1E_S1E_jjS1G_bEUljE0_EEESZ_S10_S11_S18_S1C_S1E_T6_T7_T9_mT8_S1G_bDpT10_ENKUlT_T0_E_clISt17integral_constantIbLb1EES1U_EEDaS1P_S1Q_EUlS1P_E_NS1_11comp_targetILNS1_3genE3ELNS1_11target_archE908ELNS1_3gpuE7ELNS1_3repE0EEENS1_30default_config_static_selectorELNS0_4arch9wavefront6targetE0EEEvS12_.has_recursion, 0
	.set _ZN7rocprim17ROCPRIM_400000_NS6detail17trampoline_kernelINS0_13select_configILj256ELj13ELNS0_17block_load_methodE3ELS4_3ELS4_3ELNS0_20block_scan_algorithmE0ELj4294967295EEENS1_25partition_config_selectorILNS1_17partition_subalgoE4EjNS0_10empty_typeEbEEZZNS1_14partition_implILS8_4ELb0ES6_15HIP_vector_typeIjLj2EENS0_17counting_iteratorIjlEEPS9_SG_NS0_5tupleIJPjSI_NS0_16reverse_iteratorISI_EEEEENSH_IJSG_SG_SG_EEES9_SI_JZNS1_25segmented_radix_sort_implINS0_14default_configELb1EPKdPdPKlPlN2at6native12_GLOBAL__N_18offset_tEEE10hipError_tPvRmT1_PNSt15iterator_traitsIS12_E10value_typeET2_T3_PNS13_IS18_E10value_typeET4_jRbjT5_S1E_jjP12ihipStream_tbEUljE_ZNSN_ISO_Lb1ESQ_SR_ST_SU_SY_EESZ_S10_S11_S12_S16_S17_S18_S1B_S1C_jS1D_jS1E_S1E_jjS1G_bEUljE0_EEESZ_S10_S11_S18_S1C_S1E_T6_T7_T9_mT8_S1G_bDpT10_ENKUlT_T0_E_clISt17integral_constantIbLb1EES1U_EEDaS1P_S1Q_EUlS1P_E_NS1_11comp_targetILNS1_3genE3ELNS1_11target_archE908ELNS1_3gpuE7ELNS1_3repE0EEENS1_30default_config_static_selectorELNS0_4arch9wavefront6targetE0EEEvS12_.has_indirect_call, 0
	.section	.AMDGPU.csdata,"",@progbits
; Kernel info:
; codeLenInByte = 0
; TotalNumSgprs: 0
; NumVgprs: 0
; ScratchSize: 0
; MemoryBound: 0
; FloatMode: 240
; IeeeMode: 1
; LDSByteSize: 0 bytes/workgroup (compile time only)
; SGPRBlocks: 0
; VGPRBlocks: 0
; NumSGPRsForWavesPerEU: 1
; NumVGPRsForWavesPerEU: 1
; NamedBarCnt: 0
; Occupancy: 16
; WaveLimiterHint : 0
; COMPUTE_PGM_RSRC2:SCRATCH_EN: 0
; COMPUTE_PGM_RSRC2:USER_SGPR: 2
; COMPUTE_PGM_RSRC2:TRAP_HANDLER: 0
; COMPUTE_PGM_RSRC2:TGID_X_EN: 1
; COMPUTE_PGM_RSRC2:TGID_Y_EN: 0
; COMPUTE_PGM_RSRC2:TGID_Z_EN: 0
; COMPUTE_PGM_RSRC2:TIDIG_COMP_CNT: 0
	.section	.text._ZN7rocprim17ROCPRIM_400000_NS6detail17trampoline_kernelINS0_13select_configILj256ELj13ELNS0_17block_load_methodE3ELS4_3ELS4_3ELNS0_20block_scan_algorithmE0ELj4294967295EEENS1_25partition_config_selectorILNS1_17partition_subalgoE4EjNS0_10empty_typeEbEEZZNS1_14partition_implILS8_4ELb0ES6_15HIP_vector_typeIjLj2EENS0_17counting_iteratorIjlEEPS9_SG_NS0_5tupleIJPjSI_NS0_16reverse_iteratorISI_EEEEENSH_IJSG_SG_SG_EEES9_SI_JZNS1_25segmented_radix_sort_implINS0_14default_configELb1EPKdPdPKlPlN2at6native12_GLOBAL__N_18offset_tEEE10hipError_tPvRmT1_PNSt15iterator_traitsIS12_E10value_typeET2_T3_PNS13_IS18_E10value_typeET4_jRbjT5_S1E_jjP12ihipStream_tbEUljE_ZNSN_ISO_Lb1ESQ_SR_ST_SU_SY_EESZ_S10_S11_S12_S16_S17_S18_S1B_S1C_jS1D_jS1E_S1E_jjS1G_bEUljE0_EEESZ_S10_S11_S18_S1C_S1E_T6_T7_T9_mT8_S1G_bDpT10_ENKUlT_T0_E_clISt17integral_constantIbLb1EES1U_EEDaS1P_S1Q_EUlS1P_E_NS1_11comp_targetILNS1_3genE2ELNS1_11target_archE906ELNS1_3gpuE6ELNS1_3repE0EEENS1_30default_config_static_selectorELNS0_4arch9wavefront6targetE0EEEvS12_,"axG",@progbits,_ZN7rocprim17ROCPRIM_400000_NS6detail17trampoline_kernelINS0_13select_configILj256ELj13ELNS0_17block_load_methodE3ELS4_3ELS4_3ELNS0_20block_scan_algorithmE0ELj4294967295EEENS1_25partition_config_selectorILNS1_17partition_subalgoE4EjNS0_10empty_typeEbEEZZNS1_14partition_implILS8_4ELb0ES6_15HIP_vector_typeIjLj2EENS0_17counting_iteratorIjlEEPS9_SG_NS0_5tupleIJPjSI_NS0_16reverse_iteratorISI_EEEEENSH_IJSG_SG_SG_EEES9_SI_JZNS1_25segmented_radix_sort_implINS0_14default_configELb1EPKdPdPKlPlN2at6native12_GLOBAL__N_18offset_tEEE10hipError_tPvRmT1_PNSt15iterator_traitsIS12_E10value_typeET2_T3_PNS13_IS18_E10value_typeET4_jRbjT5_S1E_jjP12ihipStream_tbEUljE_ZNSN_ISO_Lb1ESQ_SR_ST_SU_SY_EESZ_S10_S11_S12_S16_S17_S18_S1B_S1C_jS1D_jS1E_S1E_jjS1G_bEUljE0_EEESZ_S10_S11_S18_S1C_S1E_T6_T7_T9_mT8_S1G_bDpT10_ENKUlT_T0_E_clISt17integral_constantIbLb1EES1U_EEDaS1P_S1Q_EUlS1P_E_NS1_11comp_targetILNS1_3genE2ELNS1_11target_archE906ELNS1_3gpuE6ELNS1_3repE0EEENS1_30default_config_static_selectorELNS0_4arch9wavefront6targetE0EEEvS12_,comdat
	.globl	_ZN7rocprim17ROCPRIM_400000_NS6detail17trampoline_kernelINS0_13select_configILj256ELj13ELNS0_17block_load_methodE3ELS4_3ELS4_3ELNS0_20block_scan_algorithmE0ELj4294967295EEENS1_25partition_config_selectorILNS1_17partition_subalgoE4EjNS0_10empty_typeEbEEZZNS1_14partition_implILS8_4ELb0ES6_15HIP_vector_typeIjLj2EENS0_17counting_iteratorIjlEEPS9_SG_NS0_5tupleIJPjSI_NS0_16reverse_iteratorISI_EEEEENSH_IJSG_SG_SG_EEES9_SI_JZNS1_25segmented_radix_sort_implINS0_14default_configELb1EPKdPdPKlPlN2at6native12_GLOBAL__N_18offset_tEEE10hipError_tPvRmT1_PNSt15iterator_traitsIS12_E10value_typeET2_T3_PNS13_IS18_E10value_typeET4_jRbjT5_S1E_jjP12ihipStream_tbEUljE_ZNSN_ISO_Lb1ESQ_SR_ST_SU_SY_EESZ_S10_S11_S12_S16_S17_S18_S1B_S1C_jS1D_jS1E_S1E_jjS1G_bEUljE0_EEESZ_S10_S11_S18_S1C_S1E_T6_T7_T9_mT8_S1G_bDpT10_ENKUlT_T0_E_clISt17integral_constantIbLb1EES1U_EEDaS1P_S1Q_EUlS1P_E_NS1_11comp_targetILNS1_3genE2ELNS1_11target_archE906ELNS1_3gpuE6ELNS1_3repE0EEENS1_30default_config_static_selectorELNS0_4arch9wavefront6targetE0EEEvS12_ ; -- Begin function _ZN7rocprim17ROCPRIM_400000_NS6detail17trampoline_kernelINS0_13select_configILj256ELj13ELNS0_17block_load_methodE3ELS4_3ELS4_3ELNS0_20block_scan_algorithmE0ELj4294967295EEENS1_25partition_config_selectorILNS1_17partition_subalgoE4EjNS0_10empty_typeEbEEZZNS1_14partition_implILS8_4ELb0ES6_15HIP_vector_typeIjLj2EENS0_17counting_iteratorIjlEEPS9_SG_NS0_5tupleIJPjSI_NS0_16reverse_iteratorISI_EEEEENSH_IJSG_SG_SG_EEES9_SI_JZNS1_25segmented_radix_sort_implINS0_14default_configELb1EPKdPdPKlPlN2at6native12_GLOBAL__N_18offset_tEEE10hipError_tPvRmT1_PNSt15iterator_traitsIS12_E10value_typeET2_T3_PNS13_IS18_E10value_typeET4_jRbjT5_S1E_jjP12ihipStream_tbEUljE_ZNSN_ISO_Lb1ESQ_SR_ST_SU_SY_EESZ_S10_S11_S12_S16_S17_S18_S1B_S1C_jS1D_jS1E_S1E_jjS1G_bEUljE0_EEESZ_S10_S11_S18_S1C_S1E_T6_T7_T9_mT8_S1G_bDpT10_ENKUlT_T0_E_clISt17integral_constantIbLb1EES1U_EEDaS1P_S1Q_EUlS1P_E_NS1_11comp_targetILNS1_3genE2ELNS1_11target_archE906ELNS1_3gpuE6ELNS1_3repE0EEENS1_30default_config_static_selectorELNS0_4arch9wavefront6targetE0EEEvS12_
	.p2align	8
	.type	_ZN7rocprim17ROCPRIM_400000_NS6detail17trampoline_kernelINS0_13select_configILj256ELj13ELNS0_17block_load_methodE3ELS4_3ELS4_3ELNS0_20block_scan_algorithmE0ELj4294967295EEENS1_25partition_config_selectorILNS1_17partition_subalgoE4EjNS0_10empty_typeEbEEZZNS1_14partition_implILS8_4ELb0ES6_15HIP_vector_typeIjLj2EENS0_17counting_iteratorIjlEEPS9_SG_NS0_5tupleIJPjSI_NS0_16reverse_iteratorISI_EEEEENSH_IJSG_SG_SG_EEES9_SI_JZNS1_25segmented_radix_sort_implINS0_14default_configELb1EPKdPdPKlPlN2at6native12_GLOBAL__N_18offset_tEEE10hipError_tPvRmT1_PNSt15iterator_traitsIS12_E10value_typeET2_T3_PNS13_IS18_E10value_typeET4_jRbjT5_S1E_jjP12ihipStream_tbEUljE_ZNSN_ISO_Lb1ESQ_SR_ST_SU_SY_EESZ_S10_S11_S12_S16_S17_S18_S1B_S1C_jS1D_jS1E_S1E_jjS1G_bEUljE0_EEESZ_S10_S11_S18_S1C_S1E_T6_T7_T9_mT8_S1G_bDpT10_ENKUlT_T0_E_clISt17integral_constantIbLb1EES1U_EEDaS1P_S1Q_EUlS1P_E_NS1_11comp_targetILNS1_3genE2ELNS1_11target_archE906ELNS1_3gpuE6ELNS1_3repE0EEENS1_30default_config_static_selectorELNS0_4arch9wavefront6targetE0EEEvS12_,@function
_ZN7rocprim17ROCPRIM_400000_NS6detail17trampoline_kernelINS0_13select_configILj256ELj13ELNS0_17block_load_methodE3ELS4_3ELS4_3ELNS0_20block_scan_algorithmE0ELj4294967295EEENS1_25partition_config_selectorILNS1_17partition_subalgoE4EjNS0_10empty_typeEbEEZZNS1_14partition_implILS8_4ELb0ES6_15HIP_vector_typeIjLj2EENS0_17counting_iteratorIjlEEPS9_SG_NS0_5tupleIJPjSI_NS0_16reverse_iteratorISI_EEEEENSH_IJSG_SG_SG_EEES9_SI_JZNS1_25segmented_radix_sort_implINS0_14default_configELb1EPKdPdPKlPlN2at6native12_GLOBAL__N_18offset_tEEE10hipError_tPvRmT1_PNSt15iterator_traitsIS12_E10value_typeET2_T3_PNS13_IS18_E10value_typeET4_jRbjT5_S1E_jjP12ihipStream_tbEUljE_ZNSN_ISO_Lb1ESQ_SR_ST_SU_SY_EESZ_S10_S11_S12_S16_S17_S18_S1B_S1C_jS1D_jS1E_S1E_jjS1G_bEUljE0_EEESZ_S10_S11_S18_S1C_S1E_T6_T7_T9_mT8_S1G_bDpT10_ENKUlT_T0_E_clISt17integral_constantIbLb1EES1U_EEDaS1P_S1Q_EUlS1P_E_NS1_11comp_targetILNS1_3genE2ELNS1_11target_archE906ELNS1_3gpuE6ELNS1_3repE0EEENS1_30default_config_static_selectorELNS0_4arch9wavefront6targetE0EEEvS12_: ; @_ZN7rocprim17ROCPRIM_400000_NS6detail17trampoline_kernelINS0_13select_configILj256ELj13ELNS0_17block_load_methodE3ELS4_3ELS4_3ELNS0_20block_scan_algorithmE0ELj4294967295EEENS1_25partition_config_selectorILNS1_17partition_subalgoE4EjNS0_10empty_typeEbEEZZNS1_14partition_implILS8_4ELb0ES6_15HIP_vector_typeIjLj2EENS0_17counting_iteratorIjlEEPS9_SG_NS0_5tupleIJPjSI_NS0_16reverse_iteratorISI_EEEEENSH_IJSG_SG_SG_EEES9_SI_JZNS1_25segmented_radix_sort_implINS0_14default_configELb1EPKdPdPKlPlN2at6native12_GLOBAL__N_18offset_tEEE10hipError_tPvRmT1_PNSt15iterator_traitsIS12_E10value_typeET2_T3_PNS13_IS18_E10value_typeET4_jRbjT5_S1E_jjP12ihipStream_tbEUljE_ZNSN_ISO_Lb1ESQ_SR_ST_SU_SY_EESZ_S10_S11_S12_S16_S17_S18_S1B_S1C_jS1D_jS1E_S1E_jjS1G_bEUljE0_EEESZ_S10_S11_S18_S1C_S1E_T6_T7_T9_mT8_S1G_bDpT10_ENKUlT_T0_E_clISt17integral_constantIbLb1EES1U_EEDaS1P_S1Q_EUlS1P_E_NS1_11comp_targetILNS1_3genE2ELNS1_11target_archE906ELNS1_3gpuE6ELNS1_3repE0EEENS1_30default_config_static_selectorELNS0_4arch9wavefront6targetE0EEEvS12_
; %bb.0:
	.section	.rodata,"a",@progbits
	.p2align	6, 0x0
	.amdhsa_kernel _ZN7rocprim17ROCPRIM_400000_NS6detail17trampoline_kernelINS0_13select_configILj256ELj13ELNS0_17block_load_methodE3ELS4_3ELS4_3ELNS0_20block_scan_algorithmE0ELj4294967295EEENS1_25partition_config_selectorILNS1_17partition_subalgoE4EjNS0_10empty_typeEbEEZZNS1_14partition_implILS8_4ELb0ES6_15HIP_vector_typeIjLj2EENS0_17counting_iteratorIjlEEPS9_SG_NS0_5tupleIJPjSI_NS0_16reverse_iteratorISI_EEEEENSH_IJSG_SG_SG_EEES9_SI_JZNS1_25segmented_radix_sort_implINS0_14default_configELb1EPKdPdPKlPlN2at6native12_GLOBAL__N_18offset_tEEE10hipError_tPvRmT1_PNSt15iterator_traitsIS12_E10value_typeET2_T3_PNS13_IS18_E10value_typeET4_jRbjT5_S1E_jjP12ihipStream_tbEUljE_ZNSN_ISO_Lb1ESQ_SR_ST_SU_SY_EESZ_S10_S11_S12_S16_S17_S18_S1B_S1C_jS1D_jS1E_S1E_jjS1G_bEUljE0_EEESZ_S10_S11_S18_S1C_S1E_T6_T7_T9_mT8_S1G_bDpT10_ENKUlT_T0_E_clISt17integral_constantIbLb1EES1U_EEDaS1P_S1Q_EUlS1P_E_NS1_11comp_targetILNS1_3genE2ELNS1_11target_archE906ELNS1_3gpuE6ELNS1_3repE0EEENS1_30default_config_static_selectorELNS0_4arch9wavefront6targetE0EEEvS12_
		.amdhsa_group_segment_fixed_size 0
		.amdhsa_private_segment_fixed_size 0
		.amdhsa_kernarg_size 184
		.amdhsa_user_sgpr_count 2
		.amdhsa_user_sgpr_dispatch_ptr 0
		.amdhsa_user_sgpr_queue_ptr 0
		.amdhsa_user_sgpr_kernarg_segment_ptr 1
		.amdhsa_user_sgpr_dispatch_id 0
		.amdhsa_user_sgpr_kernarg_preload_length 0
		.amdhsa_user_sgpr_kernarg_preload_offset 0
		.amdhsa_user_sgpr_private_segment_size 0
		.amdhsa_wavefront_size32 1
		.amdhsa_uses_dynamic_stack 0
		.amdhsa_enable_private_segment 0
		.amdhsa_system_sgpr_workgroup_id_x 1
		.amdhsa_system_sgpr_workgroup_id_y 0
		.amdhsa_system_sgpr_workgroup_id_z 0
		.amdhsa_system_sgpr_workgroup_info 0
		.amdhsa_system_vgpr_workitem_id 0
		.amdhsa_next_free_vgpr 1
		.amdhsa_next_free_sgpr 1
		.amdhsa_named_barrier_count 0
		.amdhsa_reserve_vcc 0
		.amdhsa_float_round_mode_32 0
		.amdhsa_float_round_mode_16_64 0
		.amdhsa_float_denorm_mode_32 3
		.amdhsa_float_denorm_mode_16_64 3
		.amdhsa_fp16_overflow 0
		.amdhsa_memory_ordered 1
		.amdhsa_forward_progress 1
		.amdhsa_inst_pref_size 0
		.amdhsa_round_robin_scheduling 0
		.amdhsa_exception_fp_ieee_invalid_op 0
		.amdhsa_exception_fp_denorm_src 0
		.amdhsa_exception_fp_ieee_div_zero 0
		.amdhsa_exception_fp_ieee_overflow 0
		.amdhsa_exception_fp_ieee_underflow 0
		.amdhsa_exception_fp_ieee_inexact 0
		.amdhsa_exception_int_div_zero 0
	.end_amdhsa_kernel
	.section	.text._ZN7rocprim17ROCPRIM_400000_NS6detail17trampoline_kernelINS0_13select_configILj256ELj13ELNS0_17block_load_methodE3ELS4_3ELS4_3ELNS0_20block_scan_algorithmE0ELj4294967295EEENS1_25partition_config_selectorILNS1_17partition_subalgoE4EjNS0_10empty_typeEbEEZZNS1_14partition_implILS8_4ELb0ES6_15HIP_vector_typeIjLj2EENS0_17counting_iteratorIjlEEPS9_SG_NS0_5tupleIJPjSI_NS0_16reverse_iteratorISI_EEEEENSH_IJSG_SG_SG_EEES9_SI_JZNS1_25segmented_radix_sort_implINS0_14default_configELb1EPKdPdPKlPlN2at6native12_GLOBAL__N_18offset_tEEE10hipError_tPvRmT1_PNSt15iterator_traitsIS12_E10value_typeET2_T3_PNS13_IS18_E10value_typeET4_jRbjT5_S1E_jjP12ihipStream_tbEUljE_ZNSN_ISO_Lb1ESQ_SR_ST_SU_SY_EESZ_S10_S11_S12_S16_S17_S18_S1B_S1C_jS1D_jS1E_S1E_jjS1G_bEUljE0_EEESZ_S10_S11_S18_S1C_S1E_T6_T7_T9_mT8_S1G_bDpT10_ENKUlT_T0_E_clISt17integral_constantIbLb1EES1U_EEDaS1P_S1Q_EUlS1P_E_NS1_11comp_targetILNS1_3genE2ELNS1_11target_archE906ELNS1_3gpuE6ELNS1_3repE0EEENS1_30default_config_static_selectorELNS0_4arch9wavefront6targetE0EEEvS12_,"axG",@progbits,_ZN7rocprim17ROCPRIM_400000_NS6detail17trampoline_kernelINS0_13select_configILj256ELj13ELNS0_17block_load_methodE3ELS4_3ELS4_3ELNS0_20block_scan_algorithmE0ELj4294967295EEENS1_25partition_config_selectorILNS1_17partition_subalgoE4EjNS0_10empty_typeEbEEZZNS1_14partition_implILS8_4ELb0ES6_15HIP_vector_typeIjLj2EENS0_17counting_iteratorIjlEEPS9_SG_NS0_5tupleIJPjSI_NS0_16reverse_iteratorISI_EEEEENSH_IJSG_SG_SG_EEES9_SI_JZNS1_25segmented_radix_sort_implINS0_14default_configELb1EPKdPdPKlPlN2at6native12_GLOBAL__N_18offset_tEEE10hipError_tPvRmT1_PNSt15iterator_traitsIS12_E10value_typeET2_T3_PNS13_IS18_E10value_typeET4_jRbjT5_S1E_jjP12ihipStream_tbEUljE_ZNSN_ISO_Lb1ESQ_SR_ST_SU_SY_EESZ_S10_S11_S12_S16_S17_S18_S1B_S1C_jS1D_jS1E_S1E_jjS1G_bEUljE0_EEESZ_S10_S11_S18_S1C_S1E_T6_T7_T9_mT8_S1G_bDpT10_ENKUlT_T0_E_clISt17integral_constantIbLb1EES1U_EEDaS1P_S1Q_EUlS1P_E_NS1_11comp_targetILNS1_3genE2ELNS1_11target_archE906ELNS1_3gpuE6ELNS1_3repE0EEENS1_30default_config_static_selectorELNS0_4arch9wavefront6targetE0EEEvS12_,comdat
.Lfunc_end1060:
	.size	_ZN7rocprim17ROCPRIM_400000_NS6detail17trampoline_kernelINS0_13select_configILj256ELj13ELNS0_17block_load_methodE3ELS4_3ELS4_3ELNS0_20block_scan_algorithmE0ELj4294967295EEENS1_25partition_config_selectorILNS1_17partition_subalgoE4EjNS0_10empty_typeEbEEZZNS1_14partition_implILS8_4ELb0ES6_15HIP_vector_typeIjLj2EENS0_17counting_iteratorIjlEEPS9_SG_NS0_5tupleIJPjSI_NS0_16reverse_iteratorISI_EEEEENSH_IJSG_SG_SG_EEES9_SI_JZNS1_25segmented_radix_sort_implINS0_14default_configELb1EPKdPdPKlPlN2at6native12_GLOBAL__N_18offset_tEEE10hipError_tPvRmT1_PNSt15iterator_traitsIS12_E10value_typeET2_T3_PNS13_IS18_E10value_typeET4_jRbjT5_S1E_jjP12ihipStream_tbEUljE_ZNSN_ISO_Lb1ESQ_SR_ST_SU_SY_EESZ_S10_S11_S12_S16_S17_S18_S1B_S1C_jS1D_jS1E_S1E_jjS1G_bEUljE0_EEESZ_S10_S11_S18_S1C_S1E_T6_T7_T9_mT8_S1G_bDpT10_ENKUlT_T0_E_clISt17integral_constantIbLb1EES1U_EEDaS1P_S1Q_EUlS1P_E_NS1_11comp_targetILNS1_3genE2ELNS1_11target_archE906ELNS1_3gpuE6ELNS1_3repE0EEENS1_30default_config_static_selectorELNS0_4arch9wavefront6targetE0EEEvS12_, .Lfunc_end1060-_ZN7rocprim17ROCPRIM_400000_NS6detail17trampoline_kernelINS0_13select_configILj256ELj13ELNS0_17block_load_methodE3ELS4_3ELS4_3ELNS0_20block_scan_algorithmE0ELj4294967295EEENS1_25partition_config_selectorILNS1_17partition_subalgoE4EjNS0_10empty_typeEbEEZZNS1_14partition_implILS8_4ELb0ES6_15HIP_vector_typeIjLj2EENS0_17counting_iteratorIjlEEPS9_SG_NS0_5tupleIJPjSI_NS0_16reverse_iteratorISI_EEEEENSH_IJSG_SG_SG_EEES9_SI_JZNS1_25segmented_radix_sort_implINS0_14default_configELb1EPKdPdPKlPlN2at6native12_GLOBAL__N_18offset_tEEE10hipError_tPvRmT1_PNSt15iterator_traitsIS12_E10value_typeET2_T3_PNS13_IS18_E10value_typeET4_jRbjT5_S1E_jjP12ihipStream_tbEUljE_ZNSN_ISO_Lb1ESQ_SR_ST_SU_SY_EESZ_S10_S11_S12_S16_S17_S18_S1B_S1C_jS1D_jS1E_S1E_jjS1G_bEUljE0_EEESZ_S10_S11_S18_S1C_S1E_T6_T7_T9_mT8_S1G_bDpT10_ENKUlT_T0_E_clISt17integral_constantIbLb1EES1U_EEDaS1P_S1Q_EUlS1P_E_NS1_11comp_targetILNS1_3genE2ELNS1_11target_archE906ELNS1_3gpuE6ELNS1_3repE0EEENS1_30default_config_static_selectorELNS0_4arch9wavefront6targetE0EEEvS12_
                                        ; -- End function
	.set _ZN7rocprim17ROCPRIM_400000_NS6detail17trampoline_kernelINS0_13select_configILj256ELj13ELNS0_17block_load_methodE3ELS4_3ELS4_3ELNS0_20block_scan_algorithmE0ELj4294967295EEENS1_25partition_config_selectorILNS1_17partition_subalgoE4EjNS0_10empty_typeEbEEZZNS1_14partition_implILS8_4ELb0ES6_15HIP_vector_typeIjLj2EENS0_17counting_iteratorIjlEEPS9_SG_NS0_5tupleIJPjSI_NS0_16reverse_iteratorISI_EEEEENSH_IJSG_SG_SG_EEES9_SI_JZNS1_25segmented_radix_sort_implINS0_14default_configELb1EPKdPdPKlPlN2at6native12_GLOBAL__N_18offset_tEEE10hipError_tPvRmT1_PNSt15iterator_traitsIS12_E10value_typeET2_T3_PNS13_IS18_E10value_typeET4_jRbjT5_S1E_jjP12ihipStream_tbEUljE_ZNSN_ISO_Lb1ESQ_SR_ST_SU_SY_EESZ_S10_S11_S12_S16_S17_S18_S1B_S1C_jS1D_jS1E_S1E_jjS1G_bEUljE0_EEESZ_S10_S11_S18_S1C_S1E_T6_T7_T9_mT8_S1G_bDpT10_ENKUlT_T0_E_clISt17integral_constantIbLb1EES1U_EEDaS1P_S1Q_EUlS1P_E_NS1_11comp_targetILNS1_3genE2ELNS1_11target_archE906ELNS1_3gpuE6ELNS1_3repE0EEENS1_30default_config_static_selectorELNS0_4arch9wavefront6targetE0EEEvS12_.num_vgpr, 0
	.set _ZN7rocprim17ROCPRIM_400000_NS6detail17trampoline_kernelINS0_13select_configILj256ELj13ELNS0_17block_load_methodE3ELS4_3ELS4_3ELNS0_20block_scan_algorithmE0ELj4294967295EEENS1_25partition_config_selectorILNS1_17partition_subalgoE4EjNS0_10empty_typeEbEEZZNS1_14partition_implILS8_4ELb0ES6_15HIP_vector_typeIjLj2EENS0_17counting_iteratorIjlEEPS9_SG_NS0_5tupleIJPjSI_NS0_16reverse_iteratorISI_EEEEENSH_IJSG_SG_SG_EEES9_SI_JZNS1_25segmented_radix_sort_implINS0_14default_configELb1EPKdPdPKlPlN2at6native12_GLOBAL__N_18offset_tEEE10hipError_tPvRmT1_PNSt15iterator_traitsIS12_E10value_typeET2_T3_PNS13_IS18_E10value_typeET4_jRbjT5_S1E_jjP12ihipStream_tbEUljE_ZNSN_ISO_Lb1ESQ_SR_ST_SU_SY_EESZ_S10_S11_S12_S16_S17_S18_S1B_S1C_jS1D_jS1E_S1E_jjS1G_bEUljE0_EEESZ_S10_S11_S18_S1C_S1E_T6_T7_T9_mT8_S1G_bDpT10_ENKUlT_T0_E_clISt17integral_constantIbLb1EES1U_EEDaS1P_S1Q_EUlS1P_E_NS1_11comp_targetILNS1_3genE2ELNS1_11target_archE906ELNS1_3gpuE6ELNS1_3repE0EEENS1_30default_config_static_selectorELNS0_4arch9wavefront6targetE0EEEvS12_.num_agpr, 0
	.set _ZN7rocprim17ROCPRIM_400000_NS6detail17trampoline_kernelINS0_13select_configILj256ELj13ELNS0_17block_load_methodE3ELS4_3ELS4_3ELNS0_20block_scan_algorithmE0ELj4294967295EEENS1_25partition_config_selectorILNS1_17partition_subalgoE4EjNS0_10empty_typeEbEEZZNS1_14partition_implILS8_4ELb0ES6_15HIP_vector_typeIjLj2EENS0_17counting_iteratorIjlEEPS9_SG_NS0_5tupleIJPjSI_NS0_16reverse_iteratorISI_EEEEENSH_IJSG_SG_SG_EEES9_SI_JZNS1_25segmented_radix_sort_implINS0_14default_configELb1EPKdPdPKlPlN2at6native12_GLOBAL__N_18offset_tEEE10hipError_tPvRmT1_PNSt15iterator_traitsIS12_E10value_typeET2_T3_PNS13_IS18_E10value_typeET4_jRbjT5_S1E_jjP12ihipStream_tbEUljE_ZNSN_ISO_Lb1ESQ_SR_ST_SU_SY_EESZ_S10_S11_S12_S16_S17_S18_S1B_S1C_jS1D_jS1E_S1E_jjS1G_bEUljE0_EEESZ_S10_S11_S18_S1C_S1E_T6_T7_T9_mT8_S1G_bDpT10_ENKUlT_T0_E_clISt17integral_constantIbLb1EES1U_EEDaS1P_S1Q_EUlS1P_E_NS1_11comp_targetILNS1_3genE2ELNS1_11target_archE906ELNS1_3gpuE6ELNS1_3repE0EEENS1_30default_config_static_selectorELNS0_4arch9wavefront6targetE0EEEvS12_.numbered_sgpr, 0
	.set _ZN7rocprim17ROCPRIM_400000_NS6detail17trampoline_kernelINS0_13select_configILj256ELj13ELNS0_17block_load_methodE3ELS4_3ELS4_3ELNS0_20block_scan_algorithmE0ELj4294967295EEENS1_25partition_config_selectorILNS1_17partition_subalgoE4EjNS0_10empty_typeEbEEZZNS1_14partition_implILS8_4ELb0ES6_15HIP_vector_typeIjLj2EENS0_17counting_iteratorIjlEEPS9_SG_NS0_5tupleIJPjSI_NS0_16reverse_iteratorISI_EEEEENSH_IJSG_SG_SG_EEES9_SI_JZNS1_25segmented_radix_sort_implINS0_14default_configELb1EPKdPdPKlPlN2at6native12_GLOBAL__N_18offset_tEEE10hipError_tPvRmT1_PNSt15iterator_traitsIS12_E10value_typeET2_T3_PNS13_IS18_E10value_typeET4_jRbjT5_S1E_jjP12ihipStream_tbEUljE_ZNSN_ISO_Lb1ESQ_SR_ST_SU_SY_EESZ_S10_S11_S12_S16_S17_S18_S1B_S1C_jS1D_jS1E_S1E_jjS1G_bEUljE0_EEESZ_S10_S11_S18_S1C_S1E_T6_T7_T9_mT8_S1G_bDpT10_ENKUlT_T0_E_clISt17integral_constantIbLb1EES1U_EEDaS1P_S1Q_EUlS1P_E_NS1_11comp_targetILNS1_3genE2ELNS1_11target_archE906ELNS1_3gpuE6ELNS1_3repE0EEENS1_30default_config_static_selectorELNS0_4arch9wavefront6targetE0EEEvS12_.num_named_barrier, 0
	.set _ZN7rocprim17ROCPRIM_400000_NS6detail17trampoline_kernelINS0_13select_configILj256ELj13ELNS0_17block_load_methodE3ELS4_3ELS4_3ELNS0_20block_scan_algorithmE0ELj4294967295EEENS1_25partition_config_selectorILNS1_17partition_subalgoE4EjNS0_10empty_typeEbEEZZNS1_14partition_implILS8_4ELb0ES6_15HIP_vector_typeIjLj2EENS0_17counting_iteratorIjlEEPS9_SG_NS0_5tupleIJPjSI_NS0_16reverse_iteratorISI_EEEEENSH_IJSG_SG_SG_EEES9_SI_JZNS1_25segmented_radix_sort_implINS0_14default_configELb1EPKdPdPKlPlN2at6native12_GLOBAL__N_18offset_tEEE10hipError_tPvRmT1_PNSt15iterator_traitsIS12_E10value_typeET2_T3_PNS13_IS18_E10value_typeET4_jRbjT5_S1E_jjP12ihipStream_tbEUljE_ZNSN_ISO_Lb1ESQ_SR_ST_SU_SY_EESZ_S10_S11_S12_S16_S17_S18_S1B_S1C_jS1D_jS1E_S1E_jjS1G_bEUljE0_EEESZ_S10_S11_S18_S1C_S1E_T6_T7_T9_mT8_S1G_bDpT10_ENKUlT_T0_E_clISt17integral_constantIbLb1EES1U_EEDaS1P_S1Q_EUlS1P_E_NS1_11comp_targetILNS1_3genE2ELNS1_11target_archE906ELNS1_3gpuE6ELNS1_3repE0EEENS1_30default_config_static_selectorELNS0_4arch9wavefront6targetE0EEEvS12_.private_seg_size, 0
	.set _ZN7rocprim17ROCPRIM_400000_NS6detail17trampoline_kernelINS0_13select_configILj256ELj13ELNS0_17block_load_methodE3ELS4_3ELS4_3ELNS0_20block_scan_algorithmE0ELj4294967295EEENS1_25partition_config_selectorILNS1_17partition_subalgoE4EjNS0_10empty_typeEbEEZZNS1_14partition_implILS8_4ELb0ES6_15HIP_vector_typeIjLj2EENS0_17counting_iteratorIjlEEPS9_SG_NS0_5tupleIJPjSI_NS0_16reverse_iteratorISI_EEEEENSH_IJSG_SG_SG_EEES9_SI_JZNS1_25segmented_radix_sort_implINS0_14default_configELb1EPKdPdPKlPlN2at6native12_GLOBAL__N_18offset_tEEE10hipError_tPvRmT1_PNSt15iterator_traitsIS12_E10value_typeET2_T3_PNS13_IS18_E10value_typeET4_jRbjT5_S1E_jjP12ihipStream_tbEUljE_ZNSN_ISO_Lb1ESQ_SR_ST_SU_SY_EESZ_S10_S11_S12_S16_S17_S18_S1B_S1C_jS1D_jS1E_S1E_jjS1G_bEUljE0_EEESZ_S10_S11_S18_S1C_S1E_T6_T7_T9_mT8_S1G_bDpT10_ENKUlT_T0_E_clISt17integral_constantIbLb1EES1U_EEDaS1P_S1Q_EUlS1P_E_NS1_11comp_targetILNS1_3genE2ELNS1_11target_archE906ELNS1_3gpuE6ELNS1_3repE0EEENS1_30default_config_static_selectorELNS0_4arch9wavefront6targetE0EEEvS12_.uses_vcc, 0
	.set _ZN7rocprim17ROCPRIM_400000_NS6detail17trampoline_kernelINS0_13select_configILj256ELj13ELNS0_17block_load_methodE3ELS4_3ELS4_3ELNS0_20block_scan_algorithmE0ELj4294967295EEENS1_25partition_config_selectorILNS1_17partition_subalgoE4EjNS0_10empty_typeEbEEZZNS1_14partition_implILS8_4ELb0ES6_15HIP_vector_typeIjLj2EENS0_17counting_iteratorIjlEEPS9_SG_NS0_5tupleIJPjSI_NS0_16reverse_iteratorISI_EEEEENSH_IJSG_SG_SG_EEES9_SI_JZNS1_25segmented_radix_sort_implINS0_14default_configELb1EPKdPdPKlPlN2at6native12_GLOBAL__N_18offset_tEEE10hipError_tPvRmT1_PNSt15iterator_traitsIS12_E10value_typeET2_T3_PNS13_IS18_E10value_typeET4_jRbjT5_S1E_jjP12ihipStream_tbEUljE_ZNSN_ISO_Lb1ESQ_SR_ST_SU_SY_EESZ_S10_S11_S12_S16_S17_S18_S1B_S1C_jS1D_jS1E_S1E_jjS1G_bEUljE0_EEESZ_S10_S11_S18_S1C_S1E_T6_T7_T9_mT8_S1G_bDpT10_ENKUlT_T0_E_clISt17integral_constantIbLb1EES1U_EEDaS1P_S1Q_EUlS1P_E_NS1_11comp_targetILNS1_3genE2ELNS1_11target_archE906ELNS1_3gpuE6ELNS1_3repE0EEENS1_30default_config_static_selectorELNS0_4arch9wavefront6targetE0EEEvS12_.uses_flat_scratch, 0
	.set _ZN7rocprim17ROCPRIM_400000_NS6detail17trampoline_kernelINS0_13select_configILj256ELj13ELNS0_17block_load_methodE3ELS4_3ELS4_3ELNS0_20block_scan_algorithmE0ELj4294967295EEENS1_25partition_config_selectorILNS1_17partition_subalgoE4EjNS0_10empty_typeEbEEZZNS1_14partition_implILS8_4ELb0ES6_15HIP_vector_typeIjLj2EENS0_17counting_iteratorIjlEEPS9_SG_NS0_5tupleIJPjSI_NS0_16reverse_iteratorISI_EEEEENSH_IJSG_SG_SG_EEES9_SI_JZNS1_25segmented_radix_sort_implINS0_14default_configELb1EPKdPdPKlPlN2at6native12_GLOBAL__N_18offset_tEEE10hipError_tPvRmT1_PNSt15iterator_traitsIS12_E10value_typeET2_T3_PNS13_IS18_E10value_typeET4_jRbjT5_S1E_jjP12ihipStream_tbEUljE_ZNSN_ISO_Lb1ESQ_SR_ST_SU_SY_EESZ_S10_S11_S12_S16_S17_S18_S1B_S1C_jS1D_jS1E_S1E_jjS1G_bEUljE0_EEESZ_S10_S11_S18_S1C_S1E_T6_T7_T9_mT8_S1G_bDpT10_ENKUlT_T0_E_clISt17integral_constantIbLb1EES1U_EEDaS1P_S1Q_EUlS1P_E_NS1_11comp_targetILNS1_3genE2ELNS1_11target_archE906ELNS1_3gpuE6ELNS1_3repE0EEENS1_30default_config_static_selectorELNS0_4arch9wavefront6targetE0EEEvS12_.has_dyn_sized_stack, 0
	.set _ZN7rocprim17ROCPRIM_400000_NS6detail17trampoline_kernelINS0_13select_configILj256ELj13ELNS0_17block_load_methodE3ELS4_3ELS4_3ELNS0_20block_scan_algorithmE0ELj4294967295EEENS1_25partition_config_selectorILNS1_17partition_subalgoE4EjNS0_10empty_typeEbEEZZNS1_14partition_implILS8_4ELb0ES6_15HIP_vector_typeIjLj2EENS0_17counting_iteratorIjlEEPS9_SG_NS0_5tupleIJPjSI_NS0_16reverse_iteratorISI_EEEEENSH_IJSG_SG_SG_EEES9_SI_JZNS1_25segmented_radix_sort_implINS0_14default_configELb1EPKdPdPKlPlN2at6native12_GLOBAL__N_18offset_tEEE10hipError_tPvRmT1_PNSt15iterator_traitsIS12_E10value_typeET2_T3_PNS13_IS18_E10value_typeET4_jRbjT5_S1E_jjP12ihipStream_tbEUljE_ZNSN_ISO_Lb1ESQ_SR_ST_SU_SY_EESZ_S10_S11_S12_S16_S17_S18_S1B_S1C_jS1D_jS1E_S1E_jjS1G_bEUljE0_EEESZ_S10_S11_S18_S1C_S1E_T6_T7_T9_mT8_S1G_bDpT10_ENKUlT_T0_E_clISt17integral_constantIbLb1EES1U_EEDaS1P_S1Q_EUlS1P_E_NS1_11comp_targetILNS1_3genE2ELNS1_11target_archE906ELNS1_3gpuE6ELNS1_3repE0EEENS1_30default_config_static_selectorELNS0_4arch9wavefront6targetE0EEEvS12_.has_recursion, 0
	.set _ZN7rocprim17ROCPRIM_400000_NS6detail17trampoline_kernelINS0_13select_configILj256ELj13ELNS0_17block_load_methodE3ELS4_3ELS4_3ELNS0_20block_scan_algorithmE0ELj4294967295EEENS1_25partition_config_selectorILNS1_17partition_subalgoE4EjNS0_10empty_typeEbEEZZNS1_14partition_implILS8_4ELb0ES6_15HIP_vector_typeIjLj2EENS0_17counting_iteratorIjlEEPS9_SG_NS0_5tupleIJPjSI_NS0_16reverse_iteratorISI_EEEEENSH_IJSG_SG_SG_EEES9_SI_JZNS1_25segmented_radix_sort_implINS0_14default_configELb1EPKdPdPKlPlN2at6native12_GLOBAL__N_18offset_tEEE10hipError_tPvRmT1_PNSt15iterator_traitsIS12_E10value_typeET2_T3_PNS13_IS18_E10value_typeET4_jRbjT5_S1E_jjP12ihipStream_tbEUljE_ZNSN_ISO_Lb1ESQ_SR_ST_SU_SY_EESZ_S10_S11_S12_S16_S17_S18_S1B_S1C_jS1D_jS1E_S1E_jjS1G_bEUljE0_EEESZ_S10_S11_S18_S1C_S1E_T6_T7_T9_mT8_S1G_bDpT10_ENKUlT_T0_E_clISt17integral_constantIbLb1EES1U_EEDaS1P_S1Q_EUlS1P_E_NS1_11comp_targetILNS1_3genE2ELNS1_11target_archE906ELNS1_3gpuE6ELNS1_3repE0EEENS1_30default_config_static_selectorELNS0_4arch9wavefront6targetE0EEEvS12_.has_indirect_call, 0
	.section	.AMDGPU.csdata,"",@progbits
; Kernel info:
; codeLenInByte = 0
; TotalNumSgprs: 0
; NumVgprs: 0
; ScratchSize: 0
; MemoryBound: 0
; FloatMode: 240
; IeeeMode: 1
; LDSByteSize: 0 bytes/workgroup (compile time only)
; SGPRBlocks: 0
; VGPRBlocks: 0
; NumSGPRsForWavesPerEU: 1
; NumVGPRsForWavesPerEU: 1
; NamedBarCnt: 0
; Occupancy: 16
; WaveLimiterHint : 0
; COMPUTE_PGM_RSRC2:SCRATCH_EN: 0
; COMPUTE_PGM_RSRC2:USER_SGPR: 2
; COMPUTE_PGM_RSRC2:TRAP_HANDLER: 0
; COMPUTE_PGM_RSRC2:TGID_X_EN: 1
; COMPUTE_PGM_RSRC2:TGID_Y_EN: 0
; COMPUTE_PGM_RSRC2:TGID_Z_EN: 0
; COMPUTE_PGM_RSRC2:TIDIG_COMP_CNT: 0
	.section	.text._ZN7rocprim17ROCPRIM_400000_NS6detail17trampoline_kernelINS0_13select_configILj256ELj13ELNS0_17block_load_methodE3ELS4_3ELS4_3ELNS0_20block_scan_algorithmE0ELj4294967295EEENS1_25partition_config_selectorILNS1_17partition_subalgoE4EjNS0_10empty_typeEbEEZZNS1_14partition_implILS8_4ELb0ES6_15HIP_vector_typeIjLj2EENS0_17counting_iteratorIjlEEPS9_SG_NS0_5tupleIJPjSI_NS0_16reverse_iteratorISI_EEEEENSH_IJSG_SG_SG_EEES9_SI_JZNS1_25segmented_radix_sort_implINS0_14default_configELb1EPKdPdPKlPlN2at6native12_GLOBAL__N_18offset_tEEE10hipError_tPvRmT1_PNSt15iterator_traitsIS12_E10value_typeET2_T3_PNS13_IS18_E10value_typeET4_jRbjT5_S1E_jjP12ihipStream_tbEUljE_ZNSN_ISO_Lb1ESQ_SR_ST_SU_SY_EESZ_S10_S11_S12_S16_S17_S18_S1B_S1C_jS1D_jS1E_S1E_jjS1G_bEUljE0_EEESZ_S10_S11_S18_S1C_S1E_T6_T7_T9_mT8_S1G_bDpT10_ENKUlT_T0_E_clISt17integral_constantIbLb1EES1U_EEDaS1P_S1Q_EUlS1P_E_NS1_11comp_targetILNS1_3genE10ELNS1_11target_archE1200ELNS1_3gpuE4ELNS1_3repE0EEENS1_30default_config_static_selectorELNS0_4arch9wavefront6targetE0EEEvS12_,"axG",@progbits,_ZN7rocprim17ROCPRIM_400000_NS6detail17trampoline_kernelINS0_13select_configILj256ELj13ELNS0_17block_load_methodE3ELS4_3ELS4_3ELNS0_20block_scan_algorithmE0ELj4294967295EEENS1_25partition_config_selectorILNS1_17partition_subalgoE4EjNS0_10empty_typeEbEEZZNS1_14partition_implILS8_4ELb0ES6_15HIP_vector_typeIjLj2EENS0_17counting_iteratorIjlEEPS9_SG_NS0_5tupleIJPjSI_NS0_16reverse_iteratorISI_EEEEENSH_IJSG_SG_SG_EEES9_SI_JZNS1_25segmented_radix_sort_implINS0_14default_configELb1EPKdPdPKlPlN2at6native12_GLOBAL__N_18offset_tEEE10hipError_tPvRmT1_PNSt15iterator_traitsIS12_E10value_typeET2_T3_PNS13_IS18_E10value_typeET4_jRbjT5_S1E_jjP12ihipStream_tbEUljE_ZNSN_ISO_Lb1ESQ_SR_ST_SU_SY_EESZ_S10_S11_S12_S16_S17_S18_S1B_S1C_jS1D_jS1E_S1E_jjS1G_bEUljE0_EEESZ_S10_S11_S18_S1C_S1E_T6_T7_T9_mT8_S1G_bDpT10_ENKUlT_T0_E_clISt17integral_constantIbLb1EES1U_EEDaS1P_S1Q_EUlS1P_E_NS1_11comp_targetILNS1_3genE10ELNS1_11target_archE1200ELNS1_3gpuE4ELNS1_3repE0EEENS1_30default_config_static_selectorELNS0_4arch9wavefront6targetE0EEEvS12_,comdat
	.globl	_ZN7rocprim17ROCPRIM_400000_NS6detail17trampoline_kernelINS0_13select_configILj256ELj13ELNS0_17block_load_methodE3ELS4_3ELS4_3ELNS0_20block_scan_algorithmE0ELj4294967295EEENS1_25partition_config_selectorILNS1_17partition_subalgoE4EjNS0_10empty_typeEbEEZZNS1_14partition_implILS8_4ELb0ES6_15HIP_vector_typeIjLj2EENS0_17counting_iteratorIjlEEPS9_SG_NS0_5tupleIJPjSI_NS0_16reverse_iteratorISI_EEEEENSH_IJSG_SG_SG_EEES9_SI_JZNS1_25segmented_radix_sort_implINS0_14default_configELb1EPKdPdPKlPlN2at6native12_GLOBAL__N_18offset_tEEE10hipError_tPvRmT1_PNSt15iterator_traitsIS12_E10value_typeET2_T3_PNS13_IS18_E10value_typeET4_jRbjT5_S1E_jjP12ihipStream_tbEUljE_ZNSN_ISO_Lb1ESQ_SR_ST_SU_SY_EESZ_S10_S11_S12_S16_S17_S18_S1B_S1C_jS1D_jS1E_S1E_jjS1G_bEUljE0_EEESZ_S10_S11_S18_S1C_S1E_T6_T7_T9_mT8_S1G_bDpT10_ENKUlT_T0_E_clISt17integral_constantIbLb1EES1U_EEDaS1P_S1Q_EUlS1P_E_NS1_11comp_targetILNS1_3genE10ELNS1_11target_archE1200ELNS1_3gpuE4ELNS1_3repE0EEENS1_30default_config_static_selectorELNS0_4arch9wavefront6targetE0EEEvS12_ ; -- Begin function _ZN7rocprim17ROCPRIM_400000_NS6detail17trampoline_kernelINS0_13select_configILj256ELj13ELNS0_17block_load_methodE3ELS4_3ELS4_3ELNS0_20block_scan_algorithmE0ELj4294967295EEENS1_25partition_config_selectorILNS1_17partition_subalgoE4EjNS0_10empty_typeEbEEZZNS1_14partition_implILS8_4ELb0ES6_15HIP_vector_typeIjLj2EENS0_17counting_iteratorIjlEEPS9_SG_NS0_5tupleIJPjSI_NS0_16reverse_iteratorISI_EEEEENSH_IJSG_SG_SG_EEES9_SI_JZNS1_25segmented_radix_sort_implINS0_14default_configELb1EPKdPdPKlPlN2at6native12_GLOBAL__N_18offset_tEEE10hipError_tPvRmT1_PNSt15iterator_traitsIS12_E10value_typeET2_T3_PNS13_IS18_E10value_typeET4_jRbjT5_S1E_jjP12ihipStream_tbEUljE_ZNSN_ISO_Lb1ESQ_SR_ST_SU_SY_EESZ_S10_S11_S12_S16_S17_S18_S1B_S1C_jS1D_jS1E_S1E_jjS1G_bEUljE0_EEESZ_S10_S11_S18_S1C_S1E_T6_T7_T9_mT8_S1G_bDpT10_ENKUlT_T0_E_clISt17integral_constantIbLb1EES1U_EEDaS1P_S1Q_EUlS1P_E_NS1_11comp_targetILNS1_3genE10ELNS1_11target_archE1200ELNS1_3gpuE4ELNS1_3repE0EEENS1_30default_config_static_selectorELNS0_4arch9wavefront6targetE0EEEvS12_
	.p2align	8
	.type	_ZN7rocprim17ROCPRIM_400000_NS6detail17trampoline_kernelINS0_13select_configILj256ELj13ELNS0_17block_load_methodE3ELS4_3ELS4_3ELNS0_20block_scan_algorithmE0ELj4294967295EEENS1_25partition_config_selectorILNS1_17partition_subalgoE4EjNS0_10empty_typeEbEEZZNS1_14partition_implILS8_4ELb0ES6_15HIP_vector_typeIjLj2EENS0_17counting_iteratorIjlEEPS9_SG_NS0_5tupleIJPjSI_NS0_16reverse_iteratorISI_EEEEENSH_IJSG_SG_SG_EEES9_SI_JZNS1_25segmented_radix_sort_implINS0_14default_configELb1EPKdPdPKlPlN2at6native12_GLOBAL__N_18offset_tEEE10hipError_tPvRmT1_PNSt15iterator_traitsIS12_E10value_typeET2_T3_PNS13_IS18_E10value_typeET4_jRbjT5_S1E_jjP12ihipStream_tbEUljE_ZNSN_ISO_Lb1ESQ_SR_ST_SU_SY_EESZ_S10_S11_S12_S16_S17_S18_S1B_S1C_jS1D_jS1E_S1E_jjS1G_bEUljE0_EEESZ_S10_S11_S18_S1C_S1E_T6_T7_T9_mT8_S1G_bDpT10_ENKUlT_T0_E_clISt17integral_constantIbLb1EES1U_EEDaS1P_S1Q_EUlS1P_E_NS1_11comp_targetILNS1_3genE10ELNS1_11target_archE1200ELNS1_3gpuE4ELNS1_3repE0EEENS1_30default_config_static_selectorELNS0_4arch9wavefront6targetE0EEEvS12_,@function
_ZN7rocprim17ROCPRIM_400000_NS6detail17trampoline_kernelINS0_13select_configILj256ELj13ELNS0_17block_load_methodE3ELS4_3ELS4_3ELNS0_20block_scan_algorithmE0ELj4294967295EEENS1_25partition_config_selectorILNS1_17partition_subalgoE4EjNS0_10empty_typeEbEEZZNS1_14partition_implILS8_4ELb0ES6_15HIP_vector_typeIjLj2EENS0_17counting_iteratorIjlEEPS9_SG_NS0_5tupleIJPjSI_NS0_16reverse_iteratorISI_EEEEENSH_IJSG_SG_SG_EEES9_SI_JZNS1_25segmented_radix_sort_implINS0_14default_configELb1EPKdPdPKlPlN2at6native12_GLOBAL__N_18offset_tEEE10hipError_tPvRmT1_PNSt15iterator_traitsIS12_E10value_typeET2_T3_PNS13_IS18_E10value_typeET4_jRbjT5_S1E_jjP12ihipStream_tbEUljE_ZNSN_ISO_Lb1ESQ_SR_ST_SU_SY_EESZ_S10_S11_S12_S16_S17_S18_S1B_S1C_jS1D_jS1E_S1E_jjS1G_bEUljE0_EEESZ_S10_S11_S18_S1C_S1E_T6_T7_T9_mT8_S1G_bDpT10_ENKUlT_T0_E_clISt17integral_constantIbLb1EES1U_EEDaS1P_S1Q_EUlS1P_E_NS1_11comp_targetILNS1_3genE10ELNS1_11target_archE1200ELNS1_3gpuE4ELNS1_3repE0EEENS1_30default_config_static_selectorELNS0_4arch9wavefront6targetE0EEEvS12_: ; @_ZN7rocprim17ROCPRIM_400000_NS6detail17trampoline_kernelINS0_13select_configILj256ELj13ELNS0_17block_load_methodE3ELS4_3ELS4_3ELNS0_20block_scan_algorithmE0ELj4294967295EEENS1_25partition_config_selectorILNS1_17partition_subalgoE4EjNS0_10empty_typeEbEEZZNS1_14partition_implILS8_4ELb0ES6_15HIP_vector_typeIjLj2EENS0_17counting_iteratorIjlEEPS9_SG_NS0_5tupleIJPjSI_NS0_16reverse_iteratorISI_EEEEENSH_IJSG_SG_SG_EEES9_SI_JZNS1_25segmented_radix_sort_implINS0_14default_configELb1EPKdPdPKlPlN2at6native12_GLOBAL__N_18offset_tEEE10hipError_tPvRmT1_PNSt15iterator_traitsIS12_E10value_typeET2_T3_PNS13_IS18_E10value_typeET4_jRbjT5_S1E_jjP12ihipStream_tbEUljE_ZNSN_ISO_Lb1ESQ_SR_ST_SU_SY_EESZ_S10_S11_S12_S16_S17_S18_S1B_S1C_jS1D_jS1E_S1E_jjS1G_bEUljE0_EEESZ_S10_S11_S18_S1C_S1E_T6_T7_T9_mT8_S1G_bDpT10_ENKUlT_T0_E_clISt17integral_constantIbLb1EES1U_EEDaS1P_S1Q_EUlS1P_E_NS1_11comp_targetILNS1_3genE10ELNS1_11target_archE1200ELNS1_3gpuE4ELNS1_3repE0EEENS1_30default_config_static_selectorELNS0_4arch9wavefront6targetE0EEEvS12_
; %bb.0:
	.section	.rodata,"a",@progbits
	.p2align	6, 0x0
	.amdhsa_kernel _ZN7rocprim17ROCPRIM_400000_NS6detail17trampoline_kernelINS0_13select_configILj256ELj13ELNS0_17block_load_methodE3ELS4_3ELS4_3ELNS0_20block_scan_algorithmE0ELj4294967295EEENS1_25partition_config_selectorILNS1_17partition_subalgoE4EjNS0_10empty_typeEbEEZZNS1_14partition_implILS8_4ELb0ES6_15HIP_vector_typeIjLj2EENS0_17counting_iteratorIjlEEPS9_SG_NS0_5tupleIJPjSI_NS0_16reverse_iteratorISI_EEEEENSH_IJSG_SG_SG_EEES9_SI_JZNS1_25segmented_radix_sort_implINS0_14default_configELb1EPKdPdPKlPlN2at6native12_GLOBAL__N_18offset_tEEE10hipError_tPvRmT1_PNSt15iterator_traitsIS12_E10value_typeET2_T3_PNS13_IS18_E10value_typeET4_jRbjT5_S1E_jjP12ihipStream_tbEUljE_ZNSN_ISO_Lb1ESQ_SR_ST_SU_SY_EESZ_S10_S11_S12_S16_S17_S18_S1B_S1C_jS1D_jS1E_S1E_jjS1G_bEUljE0_EEESZ_S10_S11_S18_S1C_S1E_T6_T7_T9_mT8_S1G_bDpT10_ENKUlT_T0_E_clISt17integral_constantIbLb1EES1U_EEDaS1P_S1Q_EUlS1P_E_NS1_11comp_targetILNS1_3genE10ELNS1_11target_archE1200ELNS1_3gpuE4ELNS1_3repE0EEENS1_30default_config_static_selectorELNS0_4arch9wavefront6targetE0EEEvS12_
		.amdhsa_group_segment_fixed_size 0
		.amdhsa_private_segment_fixed_size 0
		.amdhsa_kernarg_size 184
		.amdhsa_user_sgpr_count 2
		.amdhsa_user_sgpr_dispatch_ptr 0
		.amdhsa_user_sgpr_queue_ptr 0
		.amdhsa_user_sgpr_kernarg_segment_ptr 1
		.amdhsa_user_sgpr_dispatch_id 0
		.amdhsa_user_sgpr_kernarg_preload_length 0
		.amdhsa_user_sgpr_kernarg_preload_offset 0
		.amdhsa_user_sgpr_private_segment_size 0
		.amdhsa_wavefront_size32 1
		.amdhsa_uses_dynamic_stack 0
		.amdhsa_enable_private_segment 0
		.amdhsa_system_sgpr_workgroup_id_x 1
		.amdhsa_system_sgpr_workgroup_id_y 0
		.amdhsa_system_sgpr_workgroup_id_z 0
		.amdhsa_system_sgpr_workgroup_info 0
		.amdhsa_system_vgpr_workitem_id 0
		.amdhsa_next_free_vgpr 1
		.amdhsa_next_free_sgpr 1
		.amdhsa_named_barrier_count 0
		.amdhsa_reserve_vcc 0
		.amdhsa_float_round_mode_32 0
		.amdhsa_float_round_mode_16_64 0
		.amdhsa_float_denorm_mode_32 3
		.amdhsa_float_denorm_mode_16_64 3
		.amdhsa_fp16_overflow 0
		.amdhsa_memory_ordered 1
		.amdhsa_forward_progress 1
		.amdhsa_inst_pref_size 0
		.amdhsa_round_robin_scheduling 0
		.amdhsa_exception_fp_ieee_invalid_op 0
		.amdhsa_exception_fp_denorm_src 0
		.amdhsa_exception_fp_ieee_div_zero 0
		.amdhsa_exception_fp_ieee_overflow 0
		.amdhsa_exception_fp_ieee_underflow 0
		.amdhsa_exception_fp_ieee_inexact 0
		.amdhsa_exception_int_div_zero 0
	.end_amdhsa_kernel
	.section	.text._ZN7rocprim17ROCPRIM_400000_NS6detail17trampoline_kernelINS0_13select_configILj256ELj13ELNS0_17block_load_methodE3ELS4_3ELS4_3ELNS0_20block_scan_algorithmE0ELj4294967295EEENS1_25partition_config_selectorILNS1_17partition_subalgoE4EjNS0_10empty_typeEbEEZZNS1_14partition_implILS8_4ELb0ES6_15HIP_vector_typeIjLj2EENS0_17counting_iteratorIjlEEPS9_SG_NS0_5tupleIJPjSI_NS0_16reverse_iteratorISI_EEEEENSH_IJSG_SG_SG_EEES9_SI_JZNS1_25segmented_radix_sort_implINS0_14default_configELb1EPKdPdPKlPlN2at6native12_GLOBAL__N_18offset_tEEE10hipError_tPvRmT1_PNSt15iterator_traitsIS12_E10value_typeET2_T3_PNS13_IS18_E10value_typeET4_jRbjT5_S1E_jjP12ihipStream_tbEUljE_ZNSN_ISO_Lb1ESQ_SR_ST_SU_SY_EESZ_S10_S11_S12_S16_S17_S18_S1B_S1C_jS1D_jS1E_S1E_jjS1G_bEUljE0_EEESZ_S10_S11_S18_S1C_S1E_T6_T7_T9_mT8_S1G_bDpT10_ENKUlT_T0_E_clISt17integral_constantIbLb1EES1U_EEDaS1P_S1Q_EUlS1P_E_NS1_11comp_targetILNS1_3genE10ELNS1_11target_archE1200ELNS1_3gpuE4ELNS1_3repE0EEENS1_30default_config_static_selectorELNS0_4arch9wavefront6targetE0EEEvS12_,"axG",@progbits,_ZN7rocprim17ROCPRIM_400000_NS6detail17trampoline_kernelINS0_13select_configILj256ELj13ELNS0_17block_load_methodE3ELS4_3ELS4_3ELNS0_20block_scan_algorithmE0ELj4294967295EEENS1_25partition_config_selectorILNS1_17partition_subalgoE4EjNS0_10empty_typeEbEEZZNS1_14partition_implILS8_4ELb0ES6_15HIP_vector_typeIjLj2EENS0_17counting_iteratorIjlEEPS9_SG_NS0_5tupleIJPjSI_NS0_16reverse_iteratorISI_EEEEENSH_IJSG_SG_SG_EEES9_SI_JZNS1_25segmented_radix_sort_implINS0_14default_configELb1EPKdPdPKlPlN2at6native12_GLOBAL__N_18offset_tEEE10hipError_tPvRmT1_PNSt15iterator_traitsIS12_E10value_typeET2_T3_PNS13_IS18_E10value_typeET4_jRbjT5_S1E_jjP12ihipStream_tbEUljE_ZNSN_ISO_Lb1ESQ_SR_ST_SU_SY_EESZ_S10_S11_S12_S16_S17_S18_S1B_S1C_jS1D_jS1E_S1E_jjS1G_bEUljE0_EEESZ_S10_S11_S18_S1C_S1E_T6_T7_T9_mT8_S1G_bDpT10_ENKUlT_T0_E_clISt17integral_constantIbLb1EES1U_EEDaS1P_S1Q_EUlS1P_E_NS1_11comp_targetILNS1_3genE10ELNS1_11target_archE1200ELNS1_3gpuE4ELNS1_3repE0EEENS1_30default_config_static_selectorELNS0_4arch9wavefront6targetE0EEEvS12_,comdat
.Lfunc_end1061:
	.size	_ZN7rocprim17ROCPRIM_400000_NS6detail17trampoline_kernelINS0_13select_configILj256ELj13ELNS0_17block_load_methodE3ELS4_3ELS4_3ELNS0_20block_scan_algorithmE0ELj4294967295EEENS1_25partition_config_selectorILNS1_17partition_subalgoE4EjNS0_10empty_typeEbEEZZNS1_14partition_implILS8_4ELb0ES6_15HIP_vector_typeIjLj2EENS0_17counting_iteratorIjlEEPS9_SG_NS0_5tupleIJPjSI_NS0_16reverse_iteratorISI_EEEEENSH_IJSG_SG_SG_EEES9_SI_JZNS1_25segmented_radix_sort_implINS0_14default_configELb1EPKdPdPKlPlN2at6native12_GLOBAL__N_18offset_tEEE10hipError_tPvRmT1_PNSt15iterator_traitsIS12_E10value_typeET2_T3_PNS13_IS18_E10value_typeET4_jRbjT5_S1E_jjP12ihipStream_tbEUljE_ZNSN_ISO_Lb1ESQ_SR_ST_SU_SY_EESZ_S10_S11_S12_S16_S17_S18_S1B_S1C_jS1D_jS1E_S1E_jjS1G_bEUljE0_EEESZ_S10_S11_S18_S1C_S1E_T6_T7_T9_mT8_S1G_bDpT10_ENKUlT_T0_E_clISt17integral_constantIbLb1EES1U_EEDaS1P_S1Q_EUlS1P_E_NS1_11comp_targetILNS1_3genE10ELNS1_11target_archE1200ELNS1_3gpuE4ELNS1_3repE0EEENS1_30default_config_static_selectorELNS0_4arch9wavefront6targetE0EEEvS12_, .Lfunc_end1061-_ZN7rocprim17ROCPRIM_400000_NS6detail17trampoline_kernelINS0_13select_configILj256ELj13ELNS0_17block_load_methodE3ELS4_3ELS4_3ELNS0_20block_scan_algorithmE0ELj4294967295EEENS1_25partition_config_selectorILNS1_17partition_subalgoE4EjNS0_10empty_typeEbEEZZNS1_14partition_implILS8_4ELb0ES6_15HIP_vector_typeIjLj2EENS0_17counting_iteratorIjlEEPS9_SG_NS0_5tupleIJPjSI_NS0_16reverse_iteratorISI_EEEEENSH_IJSG_SG_SG_EEES9_SI_JZNS1_25segmented_radix_sort_implINS0_14default_configELb1EPKdPdPKlPlN2at6native12_GLOBAL__N_18offset_tEEE10hipError_tPvRmT1_PNSt15iterator_traitsIS12_E10value_typeET2_T3_PNS13_IS18_E10value_typeET4_jRbjT5_S1E_jjP12ihipStream_tbEUljE_ZNSN_ISO_Lb1ESQ_SR_ST_SU_SY_EESZ_S10_S11_S12_S16_S17_S18_S1B_S1C_jS1D_jS1E_S1E_jjS1G_bEUljE0_EEESZ_S10_S11_S18_S1C_S1E_T6_T7_T9_mT8_S1G_bDpT10_ENKUlT_T0_E_clISt17integral_constantIbLb1EES1U_EEDaS1P_S1Q_EUlS1P_E_NS1_11comp_targetILNS1_3genE10ELNS1_11target_archE1200ELNS1_3gpuE4ELNS1_3repE0EEENS1_30default_config_static_selectorELNS0_4arch9wavefront6targetE0EEEvS12_
                                        ; -- End function
	.set _ZN7rocprim17ROCPRIM_400000_NS6detail17trampoline_kernelINS0_13select_configILj256ELj13ELNS0_17block_load_methodE3ELS4_3ELS4_3ELNS0_20block_scan_algorithmE0ELj4294967295EEENS1_25partition_config_selectorILNS1_17partition_subalgoE4EjNS0_10empty_typeEbEEZZNS1_14partition_implILS8_4ELb0ES6_15HIP_vector_typeIjLj2EENS0_17counting_iteratorIjlEEPS9_SG_NS0_5tupleIJPjSI_NS0_16reverse_iteratorISI_EEEEENSH_IJSG_SG_SG_EEES9_SI_JZNS1_25segmented_radix_sort_implINS0_14default_configELb1EPKdPdPKlPlN2at6native12_GLOBAL__N_18offset_tEEE10hipError_tPvRmT1_PNSt15iterator_traitsIS12_E10value_typeET2_T3_PNS13_IS18_E10value_typeET4_jRbjT5_S1E_jjP12ihipStream_tbEUljE_ZNSN_ISO_Lb1ESQ_SR_ST_SU_SY_EESZ_S10_S11_S12_S16_S17_S18_S1B_S1C_jS1D_jS1E_S1E_jjS1G_bEUljE0_EEESZ_S10_S11_S18_S1C_S1E_T6_T7_T9_mT8_S1G_bDpT10_ENKUlT_T0_E_clISt17integral_constantIbLb1EES1U_EEDaS1P_S1Q_EUlS1P_E_NS1_11comp_targetILNS1_3genE10ELNS1_11target_archE1200ELNS1_3gpuE4ELNS1_3repE0EEENS1_30default_config_static_selectorELNS0_4arch9wavefront6targetE0EEEvS12_.num_vgpr, 0
	.set _ZN7rocprim17ROCPRIM_400000_NS6detail17trampoline_kernelINS0_13select_configILj256ELj13ELNS0_17block_load_methodE3ELS4_3ELS4_3ELNS0_20block_scan_algorithmE0ELj4294967295EEENS1_25partition_config_selectorILNS1_17partition_subalgoE4EjNS0_10empty_typeEbEEZZNS1_14partition_implILS8_4ELb0ES6_15HIP_vector_typeIjLj2EENS0_17counting_iteratorIjlEEPS9_SG_NS0_5tupleIJPjSI_NS0_16reverse_iteratorISI_EEEEENSH_IJSG_SG_SG_EEES9_SI_JZNS1_25segmented_radix_sort_implINS0_14default_configELb1EPKdPdPKlPlN2at6native12_GLOBAL__N_18offset_tEEE10hipError_tPvRmT1_PNSt15iterator_traitsIS12_E10value_typeET2_T3_PNS13_IS18_E10value_typeET4_jRbjT5_S1E_jjP12ihipStream_tbEUljE_ZNSN_ISO_Lb1ESQ_SR_ST_SU_SY_EESZ_S10_S11_S12_S16_S17_S18_S1B_S1C_jS1D_jS1E_S1E_jjS1G_bEUljE0_EEESZ_S10_S11_S18_S1C_S1E_T6_T7_T9_mT8_S1G_bDpT10_ENKUlT_T0_E_clISt17integral_constantIbLb1EES1U_EEDaS1P_S1Q_EUlS1P_E_NS1_11comp_targetILNS1_3genE10ELNS1_11target_archE1200ELNS1_3gpuE4ELNS1_3repE0EEENS1_30default_config_static_selectorELNS0_4arch9wavefront6targetE0EEEvS12_.num_agpr, 0
	.set _ZN7rocprim17ROCPRIM_400000_NS6detail17trampoline_kernelINS0_13select_configILj256ELj13ELNS0_17block_load_methodE3ELS4_3ELS4_3ELNS0_20block_scan_algorithmE0ELj4294967295EEENS1_25partition_config_selectorILNS1_17partition_subalgoE4EjNS0_10empty_typeEbEEZZNS1_14partition_implILS8_4ELb0ES6_15HIP_vector_typeIjLj2EENS0_17counting_iteratorIjlEEPS9_SG_NS0_5tupleIJPjSI_NS0_16reverse_iteratorISI_EEEEENSH_IJSG_SG_SG_EEES9_SI_JZNS1_25segmented_radix_sort_implINS0_14default_configELb1EPKdPdPKlPlN2at6native12_GLOBAL__N_18offset_tEEE10hipError_tPvRmT1_PNSt15iterator_traitsIS12_E10value_typeET2_T3_PNS13_IS18_E10value_typeET4_jRbjT5_S1E_jjP12ihipStream_tbEUljE_ZNSN_ISO_Lb1ESQ_SR_ST_SU_SY_EESZ_S10_S11_S12_S16_S17_S18_S1B_S1C_jS1D_jS1E_S1E_jjS1G_bEUljE0_EEESZ_S10_S11_S18_S1C_S1E_T6_T7_T9_mT8_S1G_bDpT10_ENKUlT_T0_E_clISt17integral_constantIbLb1EES1U_EEDaS1P_S1Q_EUlS1P_E_NS1_11comp_targetILNS1_3genE10ELNS1_11target_archE1200ELNS1_3gpuE4ELNS1_3repE0EEENS1_30default_config_static_selectorELNS0_4arch9wavefront6targetE0EEEvS12_.numbered_sgpr, 0
	.set _ZN7rocprim17ROCPRIM_400000_NS6detail17trampoline_kernelINS0_13select_configILj256ELj13ELNS0_17block_load_methodE3ELS4_3ELS4_3ELNS0_20block_scan_algorithmE0ELj4294967295EEENS1_25partition_config_selectorILNS1_17partition_subalgoE4EjNS0_10empty_typeEbEEZZNS1_14partition_implILS8_4ELb0ES6_15HIP_vector_typeIjLj2EENS0_17counting_iteratorIjlEEPS9_SG_NS0_5tupleIJPjSI_NS0_16reverse_iteratorISI_EEEEENSH_IJSG_SG_SG_EEES9_SI_JZNS1_25segmented_radix_sort_implINS0_14default_configELb1EPKdPdPKlPlN2at6native12_GLOBAL__N_18offset_tEEE10hipError_tPvRmT1_PNSt15iterator_traitsIS12_E10value_typeET2_T3_PNS13_IS18_E10value_typeET4_jRbjT5_S1E_jjP12ihipStream_tbEUljE_ZNSN_ISO_Lb1ESQ_SR_ST_SU_SY_EESZ_S10_S11_S12_S16_S17_S18_S1B_S1C_jS1D_jS1E_S1E_jjS1G_bEUljE0_EEESZ_S10_S11_S18_S1C_S1E_T6_T7_T9_mT8_S1G_bDpT10_ENKUlT_T0_E_clISt17integral_constantIbLb1EES1U_EEDaS1P_S1Q_EUlS1P_E_NS1_11comp_targetILNS1_3genE10ELNS1_11target_archE1200ELNS1_3gpuE4ELNS1_3repE0EEENS1_30default_config_static_selectorELNS0_4arch9wavefront6targetE0EEEvS12_.num_named_barrier, 0
	.set _ZN7rocprim17ROCPRIM_400000_NS6detail17trampoline_kernelINS0_13select_configILj256ELj13ELNS0_17block_load_methodE3ELS4_3ELS4_3ELNS0_20block_scan_algorithmE0ELj4294967295EEENS1_25partition_config_selectorILNS1_17partition_subalgoE4EjNS0_10empty_typeEbEEZZNS1_14partition_implILS8_4ELb0ES6_15HIP_vector_typeIjLj2EENS0_17counting_iteratorIjlEEPS9_SG_NS0_5tupleIJPjSI_NS0_16reverse_iteratorISI_EEEEENSH_IJSG_SG_SG_EEES9_SI_JZNS1_25segmented_radix_sort_implINS0_14default_configELb1EPKdPdPKlPlN2at6native12_GLOBAL__N_18offset_tEEE10hipError_tPvRmT1_PNSt15iterator_traitsIS12_E10value_typeET2_T3_PNS13_IS18_E10value_typeET4_jRbjT5_S1E_jjP12ihipStream_tbEUljE_ZNSN_ISO_Lb1ESQ_SR_ST_SU_SY_EESZ_S10_S11_S12_S16_S17_S18_S1B_S1C_jS1D_jS1E_S1E_jjS1G_bEUljE0_EEESZ_S10_S11_S18_S1C_S1E_T6_T7_T9_mT8_S1G_bDpT10_ENKUlT_T0_E_clISt17integral_constantIbLb1EES1U_EEDaS1P_S1Q_EUlS1P_E_NS1_11comp_targetILNS1_3genE10ELNS1_11target_archE1200ELNS1_3gpuE4ELNS1_3repE0EEENS1_30default_config_static_selectorELNS0_4arch9wavefront6targetE0EEEvS12_.private_seg_size, 0
	.set _ZN7rocprim17ROCPRIM_400000_NS6detail17trampoline_kernelINS0_13select_configILj256ELj13ELNS0_17block_load_methodE3ELS4_3ELS4_3ELNS0_20block_scan_algorithmE0ELj4294967295EEENS1_25partition_config_selectorILNS1_17partition_subalgoE4EjNS0_10empty_typeEbEEZZNS1_14partition_implILS8_4ELb0ES6_15HIP_vector_typeIjLj2EENS0_17counting_iteratorIjlEEPS9_SG_NS0_5tupleIJPjSI_NS0_16reverse_iteratorISI_EEEEENSH_IJSG_SG_SG_EEES9_SI_JZNS1_25segmented_radix_sort_implINS0_14default_configELb1EPKdPdPKlPlN2at6native12_GLOBAL__N_18offset_tEEE10hipError_tPvRmT1_PNSt15iterator_traitsIS12_E10value_typeET2_T3_PNS13_IS18_E10value_typeET4_jRbjT5_S1E_jjP12ihipStream_tbEUljE_ZNSN_ISO_Lb1ESQ_SR_ST_SU_SY_EESZ_S10_S11_S12_S16_S17_S18_S1B_S1C_jS1D_jS1E_S1E_jjS1G_bEUljE0_EEESZ_S10_S11_S18_S1C_S1E_T6_T7_T9_mT8_S1G_bDpT10_ENKUlT_T0_E_clISt17integral_constantIbLb1EES1U_EEDaS1P_S1Q_EUlS1P_E_NS1_11comp_targetILNS1_3genE10ELNS1_11target_archE1200ELNS1_3gpuE4ELNS1_3repE0EEENS1_30default_config_static_selectorELNS0_4arch9wavefront6targetE0EEEvS12_.uses_vcc, 0
	.set _ZN7rocprim17ROCPRIM_400000_NS6detail17trampoline_kernelINS0_13select_configILj256ELj13ELNS0_17block_load_methodE3ELS4_3ELS4_3ELNS0_20block_scan_algorithmE0ELj4294967295EEENS1_25partition_config_selectorILNS1_17partition_subalgoE4EjNS0_10empty_typeEbEEZZNS1_14partition_implILS8_4ELb0ES6_15HIP_vector_typeIjLj2EENS0_17counting_iteratorIjlEEPS9_SG_NS0_5tupleIJPjSI_NS0_16reverse_iteratorISI_EEEEENSH_IJSG_SG_SG_EEES9_SI_JZNS1_25segmented_radix_sort_implINS0_14default_configELb1EPKdPdPKlPlN2at6native12_GLOBAL__N_18offset_tEEE10hipError_tPvRmT1_PNSt15iterator_traitsIS12_E10value_typeET2_T3_PNS13_IS18_E10value_typeET4_jRbjT5_S1E_jjP12ihipStream_tbEUljE_ZNSN_ISO_Lb1ESQ_SR_ST_SU_SY_EESZ_S10_S11_S12_S16_S17_S18_S1B_S1C_jS1D_jS1E_S1E_jjS1G_bEUljE0_EEESZ_S10_S11_S18_S1C_S1E_T6_T7_T9_mT8_S1G_bDpT10_ENKUlT_T0_E_clISt17integral_constantIbLb1EES1U_EEDaS1P_S1Q_EUlS1P_E_NS1_11comp_targetILNS1_3genE10ELNS1_11target_archE1200ELNS1_3gpuE4ELNS1_3repE0EEENS1_30default_config_static_selectorELNS0_4arch9wavefront6targetE0EEEvS12_.uses_flat_scratch, 0
	.set _ZN7rocprim17ROCPRIM_400000_NS6detail17trampoline_kernelINS0_13select_configILj256ELj13ELNS0_17block_load_methodE3ELS4_3ELS4_3ELNS0_20block_scan_algorithmE0ELj4294967295EEENS1_25partition_config_selectorILNS1_17partition_subalgoE4EjNS0_10empty_typeEbEEZZNS1_14partition_implILS8_4ELb0ES6_15HIP_vector_typeIjLj2EENS0_17counting_iteratorIjlEEPS9_SG_NS0_5tupleIJPjSI_NS0_16reverse_iteratorISI_EEEEENSH_IJSG_SG_SG_EEES9_SI_JZNS1_25segmented_radix_sort_implINS0_14default_configELb1EPKdPdPKlPlN2at6native12_GLOBAL__N_18offset_tEEE10hipError_tPvRmT1_PNSt15iterator_traitsIS12_E10value_typeET2_T3_PNS13_IS18_E10value_typeET4_jRbjT5_S1E_jjP12ihipStream_tbEUljE_ZNSN_ISO_Lb1ESQ_SR_ST_SU_SY_EESZ_S10_S11_S12_S16_S17_S18_S1B_S1C_jS1D_jS1E_S1E_jjS1G_bEUljE0_EEESZ_S10_S11_S18_S1C_S1E_T6_T7_T9_mT8_S1G_bDpT10_ENKUlT_T0_E_clISt17integral_constantIbLb1EES1U_EEDaS1P_S1Q_EUlS1P_E_NS1_11comp_targetILNS1_3genE10ELNS1_11target_archE1200ELNS1_3gpuE4ELNS1_3repE0EEENS1_30default_config_static_selectorELNS0_4arch9wavefront6targetE0EEEvS12_.has_dyn_sized_stack, 0
	.set _ZN7rocprim17ROCPRIM_400000_NS6detail17trampoline_kernelINS0_13select_configILj256ELj13ELNS0_17block_load_methodE3ELS4_3ELS4_3ELNS0_20block_scan_algorithmE0ELj4294967295EEENS1_25partition_config_selectorILNS1_17partition_subalgoE4EjNS0_10empty_typeEbEEZZNS1_14partition_implILS8_4ELb0ES6_15HIP_vector_typeIjLj2EENS0_17counting_iteratorIjlEEPS9_SG_NS0_5tupleIJPjSI_NS0_16reverse_iteratorISI_EEEEENSH_IJSG_SG_SG_EEES9_SI_JZNS1_25segmented_radix_sort_implINS0_14default_configELb1EPKdPdPKlPlN2at6native12_GLOBAL__N_18offset_tEEE10hipError_tPvRmT1_PNSt15iterator_traitsIS12_E10value_typeET2_T3_PNS13_IS18_E10value_typeET4_jRbjT5_S1E_jjP12ihipStream_tbEUljE_ZNSN_ISO_Lb1ESQ_SR_ST_SU_SY_EESZ_S10_S11_S12_S16_S17_S18_S1B_S1C_jS1D_jS1E_S1E_jjS1G_bEUljE0_EEESZ_S10_S11_S18_S1C_S1E_T6_T7_T9_mT8_S1G_bDpT10_ENKUlT_T0_E_clISt17integral_constantIbLb1EES1U_EEDaS1P_S1Q_EUlS1P_E_NS1_11comp_targetILNS1_3genE10ELNS1_11target_archE1200ELNS1_3gpuE4ELNS1_3repE0EEENS1_30default_config_static_selectorELNS0_4arch9wavefront6targetE0EEEvS12_.has_recursion, 0
	.set _ZN7rocprim17ROCPRIM_400000_NS6detail17trampoline_kernelINS0_13select_configILj256ELj13ELNS0_17block_load_methodE3ELS4_3ELS4_3ELNS0_20block_scan_algorithmE0ELj4294967295EEENS1_25partition_config_selectorILNS1_17partition_subalgoE4EjNS0_10empty_typeEbEEZZNS1_14partition_implILS8_4ELb0ES6_15HIP_vector_typeIjLj2EENS0_17counting_iteratorIjlEEPS9_SG_NS0_5tupleIJPjSI_NS0_16reverse_iteratorISI_EEEEENSH_IJSG_SG_SG_EEES9_SI_JZNS1_25segmented_radix_sort_implINS0_14default_configELb1EPKdPdPKlPlN2at6native12_GLOBAL__N_18offset_tEEE10hipError_tPvRmT1_PNSt15iterator_traitsIS12_E10value_typeET2_T3_PNS13_IS18_E10value_typeET4_jRbjT5_S1E_jjP12ihipStream_tbEUljE_ZNSN_ISO_Lb1ESQ_SR_ST_SU_SY_EESZ_S10_S11_S12_S16_S17_S18_S1B_S1C_jS1D_jS1E_S1E_jjS1G_bEUljE0_EEESZ_S10_S11_S18_S1C_S1E_T6_T7_T9_mT8_S1G_bDpT10_ENKUlT_T0_E_clISt17integral_constantIbLb1EES1U_EEDaS1P_S1Q_EUlS1P_E_NS1_11comp_targetILNS1_3genE10ELNS1_11target_archE1200ELNS1_3gpuE4ELNS1_3repE0EEENS1_30default_config_static_selectorELNS0_4arch9wavefront6targetE0EEEvS12_.has_indirect_call, 0
	.section	.AMDGPU.csdata,"",@progbits
; Kernel info:
; codeLenInByte = 0
; TotalNumSgprs: 0
; NumVgprs: 0
; ScratchSize: 0
; MemoryBound: 0
; FloatMode: 240
; IeeeMode: 1
; LDSByteSize: 0 bytes/workgroup (compile time only)
; SGPRBlocks: 0
; VGPRBlocks: 0
; NumSGPRsForWavesPerEU: 1
; NumVGPRsForWavesPerEU: 1
; NamedBarCnt: 0
; Occupancy: 16
; WaveLimiterHint : 0
; COMPUTE_PGM_RSRC2:SCRATCH_EN: 0
; COMPUTE_PGM_RSRC2:USER_SGPR: 2
; COMPUTE_PGM_RSRC2:TRAP_HANDLER: 0
; COMPUTE_PGM_RSRC2:TGID_X_EN: 1
; COMPUTE_PGM_RSRC2:TGID_Y_EN: 0
; COMPUTE_PGM_RSRC2:TGID_Z_EN: 0
; COMPUTE_PGM_RSRC2:TIDIG_COMP_CNT: 0
	.section	.text._ZN7rocprim17ROCPRIM_400000_NS6detail17trampoline_kernelINS0_13select_configILj256ELj13ELNS0_17block_load_methodE3ELS4_3ELS4_3ELNS0_20block_scan_algorithmE0ELj4294967295EEENS1_25partition_config_selectorILNS1_17partition_subalgoE4EjNS0_10empty_typeEbEEZZNS1_14partition_implILS8_4ELb0ES6_15HIP_vector_typeIjLj2EENS0_17counting_iteratorIjlEEPS9_SG_NS0_5tupleIJPjSI_NS0_16reverse_iteratorISI_EEEEENSH_IJSG_SG_SG_EEES9_SI_JZNS1_25segmented_radix_sort_implINS0_14default_configELb1EPKdPdPKlPlN2at6native12_GLOBAL__N_18offset_tEEE10hipError_tPvRmT1_PNSt15iterator_traitsIS12_E10value_typeET2_T3_PNS13_IS18_E10value_typeET4_jRbjT5_S1E_jjP12ihipStream_tbEUljE_ZNSN_ISO_Lb1ESQ_SR_ST_SU_SY_EESZ_S10_S11_S12_S16_S17_S18_S1B_S1C_jS1D_jS1E_S1E_jjS1G_bEUljE0_EEESZ_S10_S11_S18_S1C_S1E_T6_T7_T9_mT8_S1G_bDpT10_ENKUlT_T0_E_clISt17integral_constantIbLb1EES1U_EEDaS1P_S1Q_EUlS1P_E_NS1_11comp_targetILNS1_3genE9ELNS1_11target_archE1100ELNS1_3gpuE3ELNS1_3repE0EEENS1_30default_config_static_selectorELNS0_4arch9wavefront6targetE0EEEvS12_,"axG",@progbits,_ZN7rocprim17ROCPRIM_400000_NS6detail17trampoline_kernelINS0_13select_configILj256ELj13ELNS0_17block_load_methodE3ELS4_3ELS4_3ELNS0_20block_scan_algorithmE0ELj4294967295EEENS1_25partition_config_selectorILNS1_17partition_subalgoE4EjNS0_10empty_typeEbEEZZNS1_14partition_implILS8_4ELb0ES6_15HIP_vector_typeIjLj2EENS0_17counting_iteratorIjlEEPS9_SG_NS0_5tupleIJPjSI_NS0_16reverse_iteratorISI_EEEEENSH_IJSG_SG_SG_EEES9_SI_JZNS1_25segmented_radix_sort_implINS0_14default_configELb1EPKdPdPKlPlN2at6native12_GLOBAL__N_18offset_tEEE10hipError_tPvRmT1_PNSt15iterator_traitsIS12_E10value_typeET2_T3_PNS13_IS18_E10value_typeET4_jRbjT5_S1E_jjP12ihipStream_tbEUljE_ZNSN_ISO_Lb1ESQ_SR_ST_SU_SY_EESZ_S10_S11_S12_S16_S17_S18_S1B_S1C_jS1D_jS1E_S1E_jjS1G_bEUljE0_EEESZ_S10_S11_S18_S1C_S1E_T6_T7_T9_mT8_S1G_bDpT10_ENKUlT_T0_E_clISt17integral_constantIbLb1EES1U_EEDaS1P_S1Q_EUlS1P_E_NS1_11comp_targetILNS1_3genE9ELNS1_11target_archE1100ELNS1_3gpuE3ELNS1_3repE0EEENS1_30default_config_static_selectorELNS0_4arch9wavefront6targetE0EEEvS12_,comdat
	.globl	_ZN7rocprim17ROCPRIM_400000_NS6detail17trampoline_kernelINS0_13select_configILj256ELj13ELNS0_17block_load_methodE3ELS4_3ELS4_3ELNS0_20block_scan_algorithmE0ELj4294967295EEENS1_25partition_config_selectorILNS1_17partition_subalgoE4EjNS0_10empty_typeEbEEZZNS1_14partition_implILS8_4ELb0ES6_15HIP_vector_typeIjLj2EENS0_17counting_iteratorIjlEEPS9_SG_NS0_5tupleIJPjSI_NS0_16reverse_iteratorISI_EEEEENSH_IJSG_SG_SG_EEES9_SI_JZNS1_25segmented_radix_sort_implINS0_14default_configELb1EPKdPdPKlPlN2at6native12_GLOBAL__N_18offset_tEEE10hipError_tPvRmT1_PNSt15iterator_traitsIS12_E10value_typeET2_T3_PNS13_IS18_E10value_typeET4_jRbjT5_S1E_jjP12ihipStream_tbEUljE_ZNSN_ISO_Lb1ESQ_SR_ST_SU_SY_EESZ_S10_S11_S12_S16_S17_S18_S1B_S1C_jS1D_jS1E_S1E_jjS1G_bEUljE0_EEESZ_S10_S11_S18_S1C_S1E_T6_T7_T9_mT8_S1G_bDpT10_ENKUlT_T0_E_clISt17integral_constantIbLb1EES1U_EEDaS1P_S1Q_EUlS1P_E_NS1_11comp_targetILNS1_3genE9ELNS1_11target_archE1100ELNS1_3gpuE3ELNS1_3repE0EEENS1_30default_config_static_selectorELNS0_4arch9wavefront6targetE0EEEvS12_ ; -- Begin function _ZN7rocprim17ROCPRIM_400000_NS6detail17trampoline_kernelINS0_13select_configILj256ELj13ELNS0_17block_load_methodE3ELS4_3ELS4_3ELNS0_20block_scan_algorithmE0ELj4294967295EEENS1_25partition_config_selectorILNS1_17partition_subalgoE4EjNS0_10empty_typeEbEEZZNS1_14partition_implILS8_4ELb0ES6_15HIP_vector_typeIjLj2EENS0_17counting_iteratorIjlEEPS9_SG_NS0_5tupleIJPjSI_NS0_16reverse_iteratorISI_EEEEENSH_IJSG_SG_SG_EEES9_SI_JZNS1_25segmented_radix_sort_implINS0_14default_configELb1EPKdPdPKlPlN2at6native12_GLOBAL__N_18offset_tEEE10hipError_tPvRmT1_PNSt15iterator_traitsIS12_E10value_typeET2_T3_PNS13_IS18_E10value_typeET4_jRbjT5_S1E_jjP12ihipStream_tbEUljE_ZNSN_ISO_Lb1ESQ_SR_ST_SU_SY_EESZ_S10_S11_S12_S16_S17_S18_S1B_S1C_jS1D_jS1E_S1E_jjS1G_bEUljE0_EEESZ_S10_S11_S18_S1C_S1E_T6_T7_T9_mT8_S1G_bDpT10_ENKUlT_T0_E_clISt17integral_constantIbLb1EES1U_EEDaS1P_S1Q_EUlS1P_E_NS1_11comp_targetILNS1_3genE9ELNS1_11target_archE1100ELNS1_3gpuE3ELNS1_3repE0EEENS1_30default_config_static_selectorELNS0_4arch9wavefront6targetE0EEEvS12_
	.p2align	8
	.type	_ZN7rocprim17ROCPRIM_400000_NS6detail17trampoline_kernelINS0_13select_configILj256ELj13ELNS0_17block_load_methodE3ELS4_3ELS4_3ELNS0_20block_scan_algorithmE0ELj4294967295EEENS1_25partition_config_selectorILNS1_17partition_subalgoE4EjNS0_10empty_typeEbEEZZNS1_14partition_implILS8_4ELb0ES6_15HIP_vector_typeIjLj2EENS0_17counting_iteratorIjlEEPS9_SG_NS0_5tupleIJPjSI_NS0_16reverse_iteratorISI_EEEEENSH_IJSG_SG_SG_EEES9_SI_JZNS1_25segmented_radix_sort_implINS0_14default_configELb1EPKdPdPKlPlN2at6native12_GLOBAL__N_18offset_tEEE10hipError_tPvRmT1_PNSt15iterator_traitsIS12_E10value_typeET2_T3_PNS13_IS18_E10value_typeET4_jRbjT5_S1E_jjP12ihipStream_tbEUljE_ZNSN_ISO_Lb1ESQ_SR_ST_SU_SY_EESZ_S10_S11_S12_S16_S17_S18_S1B_S1C_jS1D_jS1E_S1E_jjS1G_bEUljE0_EEESZ_S10_S11_S18_S1C_S1E_T6_T7_T9_mT8_S1G_bDpT10_ENKUlT_T0_E_clISt17integral_constantIbLb1EES1U_EEDaS1P_S1Q_EUlS1P_E_NS1_11comp_targetILNS1_3genE9ELNS1_11target_archE1100ELNS1_3gpuE3ELNS1_3repE0EEENS1_30default_config_static_selectorELNS0_4arch9wavefront6targetE0EEEvS12_,@function
_ZN7rocprim17ROCPRIM_400000_NS6detail17trampoline_kernelINS0_13select_configILj256ELj13ELNS0_17block_load_methodE3ELS4_3ELS4_3ELNS0_20block_scan_algorithmE0ELj4294967295EEENS1_25partition_config_selectorILNS1_17partition_subalgoE4EjNS0_10empty_typeEbEEZZNS1_14partition_implILS8_4ELb0ES6_15HIP_vector_typeIjLj2EENS0_17counting_iteratorIjlEEPS9_SG_NS0_5tupleIJPjSI_NS0_16reverse_iteratorISI_EEEEENSH_IJSG_SG_SG_EEES9_SI_JZNS1_25segmented_radix_sort_implINS0_14default_configELb1EPKdPdPKlPlN2at6native12_GLOBAL__N_18offset_tEEE10hipError_tPvRmT1_PNSt15iterator_traitsIS12_E10value_typeET2_T3_PNS13_IS18_E10value_typeET4_jRbjT5_S1E_jjP12ihipStream_tbEUljE_ZNSN_ISO_Lb1ESQ_SR_ST_SU_SY_EESZ_S10_S11_S12_S16_S17_S18_S1B_S1C_jS1D_jS1E_S1E_jjS1G_bEUljE0_EEESZ_S10_S11_S18_S1C_S1E_T6_T7_T9_mT8_S1G_bDpT10_ENKUlT_T0_E_clISt17integral_constantIbLb1EES1U_EEDaS1P_S1Q_EUlS1P_E_NS1_11comp_targetILNS1_3genE9ELNS1_11target_archE1100ELNS1_3gpuE3ELNS1_3repE0EEENS1_30default_config_static_selectorELNS0_4arch9wavefront6targetE0EEEvS12_: ; @_ZN7rocprim17ROCPRIM_400000_NS6detail17trampoline_kernelINS0_13select_configILj256ELj13ELNS0_17block_load_methodE3ELS4_3ELS4_3ELNS0_20block_scan_algorithmE0ELj4294967295EEENS1_25partition_config_selectorILNS1_17partition_subalgoE4EjNS0_10empty_typeEbEEZZNS1_14partition_implILS8_4ELb0ES6_15HIP_vector_typeIjLj2EENS0_17counting_iteratorIjlEEPS9_SG_NS0_5tupleIJPjSI_NS0_16reverse_iteratorISI_EEEEENSH_IJSG_SG_SG_EEES9_SI_JZNS1_25segmented_radix_sort_implINS0_14default_configELb1EPKdPdPKlPlN2at6native12_GLOBAL__N_18offset_tEEE10hipError_tPvRmT1_PNSt15iterator_traitsIS12_E10value_typeET2_T3_PNS13_IS18_E10value_typeET4_jRbjT5_S1E_jjP12ihipStream_tbEUljE_ZNSN_ISO_Lb1ESQ_SR_ST_SU_SY_EESZ_S10_S11_S12_S16_S17_S18_S1B_S1C_jS1D_jS1E_S1E_jjS1G_bEUljE0_EEESZ_S10_S11_S18_S1C_S1E_T6_T7_T9_mT8_S1G_bDpT10_ENKUlT_T0_E_clISt17integral_constantIbLb1EES1U_EEDaS1P_S1Q_EUlS1P_E_NS1_11comp_targetILNS1_3genE9ELNS1_11target_archE1100ELNS1_3gpuE3ELNS1_3repE0EEENS1_30default_config_static_selectorELNS0_4arch9wavefront6targetE0EEEvS12_
; %bb.0:
	.section	.rodata,"a",@progbits
	.p2align	6, 0x0
	.amdhsa_kernel _ZN7rocprim17ROCPRIM_400000_NS6detail17trampoline_kernelINS0_13select_configILj256ELj13ELNS0_17block_load_methodE3ELS4_3ELS4_3ELNS0_20block_scan_algorithmE0ELj4294967295EEENS1_25partition_config_selectorILNS1_17partition_subalgoE4EjNS0_10empty_typeEbEEZZNS1_14partition_implILS8_4ELb0ES6_15HIP_vector_typeIjLj2EENS0_17counting_iteratorIjlEEPS9_SG_NS0_5tupleIJPjSI_NS0_16reverse_iteratorISI_EEEEENSH_IJSG_SG_SG_EEES9_SI_JZNS1_25segmented_radix_sort_implINS0_14default_configELb1EPKdPdPKlPlN2at6native12_GLOBAL__N_18offset_tEEE10hipError_tPvRmT1_PNSt15iterator_traitsIS12_E10value_typeET2_T3_PNS13_IS18_E10value_typeET4_jRbjT5_S1E_jjP12ihipStream_tbEUljE_ZNSN_ISO_Lb1ESQ_SR_ST_SU_SY_EESZ_S10_S11_S12_S16_S17_S18_S1B_S1C_jS1D_jS1E_S1E_jjS1G_bEUljE0_EEESZ_S10_S11_S18_S1C_S1E_T6_T7_T9_mT8_S1G_bDpT10_ENKUlT_T0_E_clISt17integral_constantIbLb1EES1U_EEDaS1P_S1Q_EUlS1P_E_NS1_11comp_targetILNS1_3genE9ELNS1_11target_archE1100ELNS1_3gpuE3ELNS1_3repE0EEENS1_30default_config_static_selectorELNS0_4arch9wavefront6targetE0EEEvS12_
		.amdhsa_group_segment_fixed_size 0
		.amdhsa_private_segment_fixed_size 0
		.amdhsa_kernarg_size 184
		.amdhsa_user_sgpr_count 2
		.amdhsa_user_sgpr_dispatch_ptr 0
		.amdhsa_user_sgpr_queue_ptr 0
		.amdhsa_user_sgpr_kernarg_segment_ptr 1
		.amdhsa_user_sgpr_dispatch_id 0
		.amdhsa_user_sgpr_kernarg_preload_length 0
		.amdhsa_user_sgpr_kernarg_preload_offset 0
		.amdhsa_user_sgpr_private_segment_size 0
		.amdhsa_wavefront_size32 1
		.amdhsa_uses_dynamic_stack 0
		.amdhsa_enable_private_segment 0
		.amdhsa_system_sgpr_workgroup_id_x 1
		.amdhsa_system_sgpr_workgroup_id_y 0
		.amdhsa_system_sgpr_workgroup_id_z 0
		.amdhsa_system_sgpr_workgroup_info 0
		.amdhsa_system_vgpr_workitem_id 0
		.amdhsa_next_free_vgpr 1
		.amdhsa_next_free_sgpr 1
		.amdhsa_named_barrier_count 0
		.amdhsa_reserve_vcc 0
		.amdhsa_float_round_mode_32 0
		.amdhsa_float_round_mode_16_64 0
		.amdhsa_float_denorm_mode_32 3
		.amdhsa_float_denorm_mode_16_64 3
		.amdhsa_fp16_overflow 0
		.amdhsa_memory_ordered 1
		.amdhsa_forward_progress 1
		.amdhsa_inst_pref_size 0
		.amdhsa_round_robin_scheduling 0
		.amdhsa_exception_fp_ieee_invalid_op 0
		.amdhsa_exception_fp_denorm_src 0
		.amdhsa_exception_fp_ieee_div_zero 0
		.amdhsa_exception_fp_ieee_overflow 0
		.amdhsa_exception_fp_ieee_underflow 0
		.amdhsa_exception_fp_ieee_inexact 0
		.amdhsa_exception_int_div_zero 0
	.end_amdhsa_kernel
	.section	.text._ZN7rocprim17ROCPRIM_400000_NS6detail17trampoline_kernelINS0_13select_configILj256ELj13ELNS0_17block_load_methodE3ELS4_3ELS4_3ELNS0_20block_scan_algorithmE0ELj4294967295EEENS1_25partition_config_selectorILNS1_17partition_subalgoE4EjNS0_10empty_typeEbEEZZNS1_14partition_implILS8_4ELb0ES6_15HIP_vector_typeIjLj2EENS0_17counting_iteratorIjlEEPS9_SG_NS0_5tupleIJPjSI_NS0_16reverse_iteratorISI_EEEEENSH_IJSG_SG_SG_EEES9_SI_JZNS1_25segmented_radix_sort_implINS0_14default_configELb1EPKdPdPKlPlN2at6native12_GLOBAL__N_18offset_tEEE10hipError_tPvRmT1_PNSt15iterator_traitsIS12_E10value_typeET2_T3_PNS13_IS18_E10value_typeET4_jRbjT5_S1E_jjP12ihipStream_tbEUljE_ZNSN_ISO_Lb1ESQ_SR_ST_SU_SY_EESZ_S10_S11_S12_S16_S17_S18_S1B_S1C_jS1D_jS1E_S1E_jjS1G_bEUljE0_EEESZ_S10_S11_S18_S1C_S1E_T6_T7_T9_mT8_S1G_bDpT10_ENKUlT_T0_E_clISt17integral_constantIbLb1EES1U_EEDaS1P_S1Q_EUlS1P_E_NS1_11comp_targetILNS1_3genE9ELNS1_11target_archE1100ELNS1_3gpuE3ELNS1_3repE0EEENS1_30default_config_static_selectorELNS0_4arch9wavefront6targetE0EEEvS12_,"axG",@progbits,_ZN7rocprim17ROCPRIM_400000_NS6detail17trampoline_kernelINS0_13select_configILj256ELj13ELNS0_17block_load_methodE3ELS4_3ELS4_3ELNS0_20block_scan_algorithmE0ELj4294967295EEENS1_25partition_config_selectorILNS1_17partition_subalgoE4EjNS0_10empty_typeEbEEZZNS1_14partition_implILS8_4ELb0ES6_15HIP_vector_typeIjLj2EENS0_17counting_iteratorIjlEEPS9_SG_NS0_5tupleIJPjSI_NS0_16reverse_iteratorISI_EEEEENSH_IJSG_SG_SG_EEES9_SI_JZNS1_25segmented_radix_sort_implINS0_14default_configELb1EPKdPdPKlPlN2at6native12_GLOBAL__N_18offset_tEEE10hipError_tPvRmT1_PNSt15iterator_traitsIS12_E10value_typeET2_T3_PNS13_IS18_E10value_typeET4_jRbjT5_S1E_jjP12ihipStream_tbEUljE_ZNSN_ISO_Lb1ESQ_SR_ST_SU_SY_EESZ_S10_S11_S12_S16_S17_S18_S1B_S1C_jS1D_jS1E_S1E_jjS1G_bEUljE0_EEESZ_S10_S11_S18_S1C_S1E_T6_T7_T9_mT8_S1G_bDpT10_ENKUlT_T0_E_clISt17integral_constantIbLb1EES1U_EEDaS1P_S1Q_EUlS1P_E_NS1_11comp_targetILNS1_3genE9ELNS1_11target_archE1100ELNS1_3gpuE3ELNS1_3repE0EEENS1_30default_config_static_selectorELNS0_4arch9wavefront6targetE0EEEvS12_,comdat
.Lfunc_end1062:
	.size	_ZN7rocprim17ROCPRIM_400000_NS6detail17trampoline_kernelINS0_13select_configILj256ELj13ELNS0_17block_load_methodE3ELS4_3ELS4_3ELNS0_20block_scan_algorithmE0ELj4294967295EEENS1_25partition_config_selectorILNS1_17partition_subalgoE4EjNS0_10empty_typeEbEEZZNS1_14partition_implILS8_4ELb0ES6_15HIP_vector_typeIjLj2EENS0_17counting_iteratorIjlEEPS9_SG_NS0_5tupleIJPjSI_NS0_16reverse_iteratorISI_EEEEENSH_IJSG_SG_SG_EEES9_SI_JZNS1_25segmented_radix_sort_implINS0_14default_configELb1EPKdPdPKlPlN2at6native12_GLOBAL__N_18offset_tEEE10hipError_tPvRmT1_PNSt15iterator_traitsIS12_E10value_typeET2_T3_PNS13_IS18_E10value_typeET4_jRbjT5_S1E_jjP12ihipStream_tbEUljE_ZNSN_ISO_Lb1ESQ_SR_ST_SU_SY_EESZ_S10_S11_S12_S16_S17_S18_S1B_S1C_jS1D_jS1E_S1E_jjS1G_bEUljE0_EEESZ_S10_S11_S18_S1C_S1E_T6_T7_T9_mT8_S1G_bDpT10_ENKUlT_T0_E_clISt17integral_constantIbLb1EES1U_EEDaS1P_S1Q_EUlS1P_E_NS1_11comp_targetILNS1_3genE9ELNS1_11target_archE1100ELNS1_3gpuE3ELNS1_3repE0EEENS1_30default_config_static_selectorELNS0_4arch9wavefront6targetE0EEEvS12_, .Lfunc_end1062-_ZN7rocprim17ROCPRIM_400000_NS6detail17trampoline_kernelINS0_13select_configILj256ELj13ELNS0_17block_load_methodE3ELS4_3ELS4_3ELNS0_20block_scan_algorithmE0ELj4294967295EEENS1_25partition_config_selectorILNS1_17partition_subalgoE4EjNS0_10empty_typeEbEEZZNS1_14partition_implILS8_4ELb0ES6_15HIP_vector_typeIjLj2EENS0_17counting_iteratorIjlEEPS9_SG_NS0_5tupleIJPjSI_NS0_16reverse_iteratorISI_EEEEENSH_IJSG_SG_SG_EEES9_SI_JZNS1_25segmented_radix_sort_implINS0_14default_configELb1EPKdPdPKlPlN2at6native12_GLOBAL__N_18offset_tEEE10hipError_tPvRmT1_PNSt15iterator_traitsIS12_E10value_typeET2_T3_PNS13_IS18_E10value_typeET4_jRbjT5_S1E_jjP12ihipStream_tbEUljE_ZNSN_ISO_Lb1ESQ_SR_ST_SU_SY_EESZ_S10_S11_S12_S16_S17_S18_S1B_S1C_jS1D_jS1E_S1E_jjS1G_bEUljE0_EEESZ_S10_S11_S18_S1C_S1E_T6_T7_T9_mT8_S1G_bDpT10_ENKUlT_T0_E_clISt17integral_constantIbLb1EES1U_EEDaS1P_S1Q_EUlS1P_E_NS1_11comp_targetILNS1_3genE9ELNS1_11target_archE1100ELNS1_3gpuE3ELNS1_3repE0EEENS1_30default_config_static_selectorELNS0_4arch9wavefront6targetE0EEEvS12_
                                        ; -- End function
	.set _ZN7rocprim17ROCPRIM_400000_NS6detail17trampoline_kernelINS0_13select_configILj256ELj13ELNS0_17block_load_methodE3ELS4_3ELS4_3ELNS0_20block_scan_algorithmE0ELj4294967295EEENS1_25partition_config_selectorILNS1_17partition_subalgoE4EjNS0_10empty_typeEbEEZZNS1_14partition_implILS8_4ELb0ES6_15HIP_vector_typeIjLj2EENS0_17counting_iteratorIjlEEPS9_SG_NS0_5tupleIJPjSI_NS0_16reverse_iteratorISI_EEEEENSH_IJSG_SG_SG_EEES9_SI_JZNS1_25segmented_radix_sort_implINS0_14default_configELb1EPKdPdPKlPlN2at6native12_GLOBAL__N_18offset_tEEE10hipError_tPvRmT1_PNSt15iterator_traitsIS12_E10value_typeET2_T3_PNS13_IS18_E10value_typeET4_jRbjT5_S1E_jjP12ihipStream_tbEUljE_ZNSN_ISO_Lb1ESQ_SR_ST_SU_SY_EESZ_S10_S11_S12_S16_S17_S18_S1B_S1C_jS1D_jS1E_S1E_jjS1G_bEUljE0_EEESZ_S10_S11_S18_S1C_S1E_T6_T7_T9_mT8_S1G_bDpT10_ENKUlT_T0_E_clISt17integral_constantIbLb1EES1U_EEDaS1P_S1Q_EUlS1P_E_NS1_11comp_targetILNS1_3genE9ELNS1_11target_archE1100ELNS1_3gpuE3ELNS1_3repE0EEENS1_30default_config_static_selectorELNS0_4arch9wavefront6targetE0EEEvS12_.num_vgpr, 0
	.set _ZN7rocprim17ROCPRIM_400000_NS6detail17trampoline_kernelINS0_13select_configILj256ELj13ELNS0_17block_load_methodE3ELS4_3ELS4_3ELNS0_20block_scan_algorithmE0ELj4294967295EEENS1_25partition_config_selectorILNS1_17partition_subalgoE4EjNS0_10empty_typeEbEEZZNS1_14partition_implILS8_4ELb0ES6_15HIP_vector_typeIjLj2EENS0_17counting_iteratorIjlEEPS9_SG_NS0_5tupleIJPjSI_NS0_16reverse_iteratorISI_EEEEENSH_IJSG_SG_SG_EEES9_SI_JZNS1_25segmented_radix_sort_implINS0_14default_configELb1EPKdPdPKlPlN2at6native12_GLOBAL__N_18offset_tEEE10hipError_tPvRmT1_PNSt15iterator_traitsIS12_E10value_typeET2_T3_PNS13_IS18_E10value_typeET4_jRbjT5_S1E_jjP12ihipStream_tbEUljE_ZNSN_ISO_Lb1ESQ_SR_ST_SU_SY_EESZ_S10_S11_S12_S16_S17_S18_S1B_S1C_jS1D_jS1E_S1E_jjS1G_bEUljE0_EEESZ_S10_S11_S18_S1C_S1E_T6_T7_T9_mT8_S1G_bDpT10_ENKUlT_T0_E_clISt17integral_constantIbLb1EES1U_EEDaS1P_S1Q_EUlS1P_E_NS1_11comp_targetILNS1_3genE9ELNS1_11target_archE1100ELNS1_3gpuE3ELNS1_3repE0EEENS1_30default_config_static_selectorELNS0_4arch9wavefront6targetE0EEEvS12_.num_agpr, 0
	.set _ZN7rocprim17ROCPRIM_400000_NS6detail17trampoline_kernelINS0_13select_configILj256ELj13ELNS0_17block_load_methodE3ELS4_3ELS4_3ELNS0_20block_scan_algorithmE0ELj4294967295EEENS1_25partition_config_selectorILNS1_17partition_subalgoE4EjNS0_10empty_typeEbEEZZNS1_14partition_implILS8_4ELb0ES6_15HIP_vector_typeIjLj2EENS0_17counting_iteratorIjlEEPS9_SG_NS0_5tupleIJPjSI_NS0_16reverse_iteratorISI_EEEEENSH_IJSG_SG_SG_EEES9_SI_JZNS1_25segmented_radix_sort_implINS0_14default_configELb1EPKdPdPKlPlN2at6native12_GLOBAL__N_18offset_tEEE10hipError_tPvRmT1_PNSt15iterator_traitsIS12_E10value_typeET2_T3_PNS13_IS18_E10value_typeET4_jRbjT5_S1E_jjP12ihipStream_tbEUljE_ZNSN_ISO_Lb1ESQ_SR_ST_SU_SY_EESZ_S10_S11_S12_S16_S17_S18_S1B_S1C_jS1D_jS1E_S1E_jjS1G_bEUljE0_EEESZ_S10_S11_S18_S1C_S1E_T6_T7_T9_mT8_S1G_bDpT10_ENKUlT_T0_E_clISt17integral_constantIbLb1EES1U_EEDaS1P_S1Q_EUlS1P_E_NS1_11comp_targetILNS1_3genE9ELNS1_11target_archE1100ELNS1_3gpuE3ELNS1_3repE0EEENS1_30default_config_static_selectorELNS0_4arch9wavefront6targetE0EEEvS12_.numbered_sgpr, 0
	.set _ZN7rocprim17ROCPRIM_400000_NS6detail17trampoline_kernelINS0_13select_configILj256ELj13ELNS0_17block_load_methodE3ELS4_3ELS4_3ELNS0_20block_scan_algorithmE0ELj4294967295EEENS1_25partition_config_selectorILNS1_17partition_subalgoE4EjNS0_10empty_typeEbEEZZNS1_14partition_implILS8_4ELb0ES6_15HIP_vector_typeIjLj2EENS0_17counting_iteratorIjlEEPS9_SG_NS0_5tupleIJPjSI_NS0_16reverse_iteratorISI_EEEEENSH_IJSG_SG_SG_EEES9_SI_JZNS1_25segmented_radix_sort_implINS0_14default_configELb1EPKdPdPKlPlN2at6native12_GLOBAL__N_18offset_tEEE10hipError_tPvRmT1_PNSt15iterator_traitsIS12_E10value_typeET2_T3_PNS13_IS18_E10value_typeET4_jRbjT5_S1E_jjP12ihipStream_tbEUljE_ZNSN_ISO_Lb1ESQ_SR_ST_SU_SY_EESZ_S10_S11_S12_S16_S17_S18_S1B_S1C_jS1D_jS1E_S1E_jjS1G_bEUljE0_EEESZ_S10_S11_S18_S1C_S1E_T6_T7_T9_mT8_S1G_bDpT10_ENKUlT_T0_E_clISt17integral_constantIbLb1EES1U_EEDaS1P_S1Q_EUlS1P_E_NS1_11comp_targetILNS1_3genE9ELNS1_11target_archE1100ELNS1_3gpuE3ELNS1_3repE0EEENS1_30default_config_static_selectorELNS0_4arch9wavefront6targetE0EEEvS12_.num_named_barrier, 0
	.set _ZN7rocprim17ROCPRIM_400000_NS6detail17trampoline_kernelINS0_13select_configILj256ELj13ELNS0_17block_load_methodE3ELS4_3ELS4_3ELNS0_20block_scan_algorithmE0ELj4294967295EEENS1_25partition_config_selectorILNS1_17partition_subalgoE4EjNS0_10empty_typeEbEEZZNS1_14partition_implILS8_4ELb0ES6_15HIP_vector_typeIjLj2EENS0_17counting_iteratorIjlEEPS9_SG_NS0_5tupleIJPjSI_NS0_16reverse_iteratorISI_EEEEENSH_IJSG_SG_SG_EEES9_SI_JZNS1_25segmented_radix_sort_implINS0_14default_configELb1EPKdPdPKlPlN2at6native12_GLOBAL__N_18offset_tEEE10hipError_tPvRmT1_PNSt15iterator_traitsIS12_E10value_typeET2_T3_PNS13_IS18_E10value_typeET4_jRbjT5_S1E_jjP12ihipStream_tbEUljE_ZNSN_ISO_Lb1ESQ_SR_ST_SU_SY_EESZ_S10_S11_S12_S16_S17_S18_S1B_S1C_jS1D_jS1E_S1E_jjS1G_bEUljE0_EEESZ_S10_S11_S18_S1C_S1E_T6_T7_T9_mT8_S1G_bDpT10_ENKUlT_T0_E_clISt17integral_constantIbLb1EES1U_EEDaS1P_S1Q_EUlS1P_E_NS1_11comp_targetILNS1_3genE9ELNS1_11target_archE1100ELNS1_3gpuE3ELNS1_3repE0EEENS1_30default_config_static_selectorELNS0_4arch9wavefront6targetE0EEEvS12_.private_seg_size, 0
	.set _ZN7rocprim17ROCPRIM_400000_NS6detail17trampoline_kernelINS0_13select_configILj256ELj13ELNS0_17block_load_methodE3ELS4_3ELS4_3ELNS0_20block_scan_algorithmE0ELj4294967295EEENS1_25partition_config_selectorILNS1_17partition_subalgoE4EjNS0_10empty_typeEbEEZZNS1_14partition_implILS8_4ELb0ES6_15HIP_vector_typeIjLj2EENS0_17counting_iteratorIjlEEPS9_SG_NS0_5tupleIJPjSI_NS0_16reverse_iteratorISI_EEEEENSH_IJSG_SG_SG_EEES9_SI_JZNS1_25segmented_radix_sort_implINS0_14default_configELb1EPKdPdPKlPlN2at6native12_GLOBAL__N_18offset_tEEE10hipError_tPvRmT1_PNSt15iterator_traitsIS12_E10value_typeET2_T3_PNS13_IS18_E10value_typeET4_jRbjT5_S1E_jjP12ihipStream_tbEUljE_ZNSN_ISO_Lb1ESQ_SR_ST_SU_SY_EESZ_S10_S11_S12_S16_S17_S18_S1B_S1C_jS1D_jS1E_S1E_jjS1G_bEUljE0_EEESZ_S10_S11_S18_S1C_S1E_T6_T7_T9_mT8_S1G_bDpT10_ENKUlT_T0_E_clISt17integral_constantIbLb1EES1U_EEDaS1P_S1Q_EUlS1P_E_NS1_11comp_targetILNS1_3genE9ELNS1_11target_archE1100ELNS1_3gpuE3ELNS1_3repE0EEENS1_30default_config_static_selectorELNS0_4arch9wavefront6targetE0EEEvS12_.uses_vcc, 0
	.set _ZN7rocprim17ROCPRIM_400000_NS6detail17trampoline_kernelINS0_13select_configILj256ELj13ELNS0_17block_load_methodE3ELS4_3ELS4_3ELNS0_20block_scan_algorithmE0ELj4294967295EEENS1_25partition_config_selectorILNS1_17partition_subalgoE4EjNS0_10empty_typeEbEEZZNS1_14partition_implILS8_4ELb0ES6_15HIP_vector_typeIjLj2EENS0_17counting_iteratorIjlEEPS9_SG_NS0_5tupleIJPjSI_NS0_16reverse_iteratorISI_EEEEENSH_IJSG_SG_SG_EEES9_SI_JZNS1_25segmented_radix_sort_implINS0_14default_configELb1EPKdPdPKlPlN2at6native12_GLOBAL__N_18offset_tEEE10hipError_tPvRmT1_PNSt15iterator_traitsIS12_E10value_typeET2_T3_PNS13_IS18_E10value_typeET4_jRbjT5_S1E_jjP12ihipStream_tbEUljE_ZNSN_ISO_Lb1ESQ_SR_ST_SU_SY_EESZ_S10_S11_S12_S16_S17_S18_S1B_S1C_jS1D_jS1E_S1E_jjS1G_bEUljE0_EEESZ_S10_S11_S18_S1C_S1E_T6_T7_T9_mT8_S1G_bDpT10_ENKUlT_T0_E_clISt17integral_constantIbLb1EES1U_EEDaS1P_S1Q_EUlS1P_E_NS1_11comp_targetILNS1_3genE9ELNS1_11target_archE1100ELNS1_3gpuE3ELNS1_3repE0EEENS1_30default_config_static_selectorELNS0_4arch9wavefront6targetE0EEEvS12_.uses_flat_scratch, 0
	.set _ZN7rocprim17ROCPRIM_400000_NS6detail17trampoline_kernelINS0_13select_configILj256ELj13ELNS0_17block_load_methodE3ELS4_3ELS4_3ELNS0_20block_scan_algorithmE0ELj4294967295EEENS1_25partition_config_selectorILNS1_17partition_subalgoE4EjNS0_10empty_typeEbEEZZNS1_14partition_implILS8_4ELb0ES6_15HIP_vector_typeIjLj2EENS0_17counting_iteratorIjlEEPS9_SG_NS0_5tupleIJPjSI_NS0_16reverse_iteratorISI_EEEEENSH_IJSG_SG_SG_EEES9_SI_JZNS1_25segmented_radix_sort_implINS0_14default_configELb1EPKdPdPKlPlN2at6native12_GLOBAL__N_18offset_tEEE10hipError_tPvRmT1_PNSt15iterator_traitsIS12_E10value_typeET2_T3_PNS13_IS18_E10value_typeET4_jRbjT5_S1E_jjP12ihipStream_tbEUljE_ZNSN_ISO_Lb1ESQ_SR_ST_SU_SY_EESZ_S10_S11_S12_S16_S17_S18_S1B_S1C_jS1D_jS1E_S1E_jjS1G_bEUljE0_EEESZ_S10_S11_S18_S1C_S1E_T6_T7_T9_mT8_S1G_bDpT10_ENKUlT_T0_E_clISt17integral_constantIbLb1EES1U_EEDaS1P_S1Q_EUlS1P_E_NS1_11comp_targetILNS1_3genE9ELNS1_11target_archE1100ELNS1_3gpuE3ELNS1_3repE0EEENS1_30default_config_static_selectorELNS0_4arch9wavefront6targetE0EEEvS12_.has_dyn_sized_stack, 0
	.set _ZN7rocprim17ROCPRIM_400000_NS6detail17trampoline_kernelINS0_13select_configILj256ELj13ELNS0_17block_load_methodE3ELS4_3ELS4_3ELNS0_20block_scan_algorithmE0ELj4294967295EEENS1_25partition_config_selectorILNS1_17partition_subalgoE4EjNS0_10empty_typeEbEEZZNS1_14partition_implILS8_4ELb0ES6_15HIP_vector_typeIjLj2EENS0_17counting_iteratorIjlEEPS9_SG_NS0_5tupleIJPjSI_NS0_16reverse_iteratorISI_EEEEENSH_IJSG_SG_SG_EEES9_SI_JZNS1_25segmented_radix_sort_implINS0_14default_configELb1EPKdPdPKlPlN2at6native12_GLOBAL__N_18offset_tEEE10hipError_tPvRmT1_PNSt15iterator_traitsIS12_E10value_typeET2_T3_PNS13_IS18_E10value_typeET4_jRbjT5_S1E_jjP12ihipStream_tbEUljE_ZNSN_ISO_Lb1ESQ_SR_ST_SU_SY_EESZ_S10_S11_S12_S16_S17_S18_S1B_S1C_jS1D_jS1E_S1E_jjS1G_bEUljE0_EEESZ_S10_S11_S18_S1C_S1E_T6_T7_T9_mT8_S1G_bDpT10_ENKUlT_T0_E_clISt17integral_constantIbLb1EES1U_EEDaS1P_S1Q_EUlS1P_E_NS1_11comp_targetILNS1_3genE9ELNS1_11target_archE1100ELNS1_3gpuE3ELNS1_3repE0EEENS1_30default_config_static_selectorELNS0_4arch9wavefront6targetE0EEEvS12_.has_recursion, 0
	.set _ZN7rocprim17ROCPRIM_400000_NS6detail17trampoline_kernelINS0_13select_configILj256ELj13ELNS0_17block_load_methodE3ELS4_3ELS4_3ELNS0_20block_scan_algorithmE0ELj4294967295EEENS1_25partition_config_selectorILNS1_17partition_subalgoE4EjNS0_10empty_typeEbEEZZNS1_14partition_implILS8_4ELb0ES6_15HIP_vector_typeIjLj2EENS0_17counting_iteratorIjlEEPS9_SG_NS0_5tupleIJPjSI_NS0_16reverse_iteratorISI_EEEEENSH_IJSG_SG_SG_EEES9_SI_JZNS1_25segmented_radix_sort_implINS0_14default_configELb1EPKdPdPKlPlN2at6native12_GLOBAL__N_18offset_tEEE10hipError_tPvRmT1_PNSt15iterator_traitsIS12_E10value_typeET2_T3_PNS13_IS18_E10value_typeET4_jRbjT5_S1E_jjP12ihipStream_tbEUljE_ZNSN_ISO_Lb1ESQ_SR_ST_SU_SY_EESZ_S10_S11_S12_S16_S17_S18_S1B_S1C_jS1D_jS1E_S1E_jjS1G_bEUljE0_EEESZ_S10_S11_S18_S1C_S1E_T6_T7_T9_mT8_S1G_bDpT10_ENKUlT_T0_E_clISt17integral_constantIbLb1EES1U_EEDaS1P_S1Q_EUlS1P_E_NS1_11comp_targetILNS1_3genE9ELNS1_11target_archE1100ELNS1_3gpuE3ELNS1_3repE0EEENS1_30default_config_static_selectorELNS0_4arch9wavefront6targetE0EEEvS12_.has_indirect_call, 0
	.section	.AMDGPU.csdata,"",@progbits
; Kernel info:
; codeLenInByte = 0
; TotalNumSgprs: 0
; NumVgprs: 0
; ScratchSize: 0
; MemoryBound: 0
; FloatMode: 240
; IeeeMode: 1
; LDSByteSize: 0 bytes/workgroup (compile time only)
; SGPRBlocks: 0
; VGPRBlocks: 0
; NumSGPRsForWavesPerEU: 1
; NumVGPRsForWavesPerEU: 1
; NamedBarCnt: 0
; Occupancy: 16
; WaveLimiterHint : 0
; COMPUTE_PGM_RSRC2:SCRATCH_EN: 0
; COMPUTE_PGM_RSRC2:USER_SGPR: 2
; COMPUTE_PGM_RSRC2:TRAP_HANDLER: 0
; COMPUTE_PGM_RSRC2:TGID_X_EN: 1
; COMPUTE_PGM_RSRC2:TGID_Y_EN: 0
; COMPUTE_PGM_RSRC2:TGID_Z_EN: 0
; COMPUTE_PGM_RSRC2:TIDIG_COMP_CNT: 0
	.section	.text._ZN7rocprim17ROCPRIM_400000_NS6detail17trampoline_kernelINS0_13select_configILj256ELj13ELNS0_17block_load_methodE3ELS4_3ELS4_3ELNS0_20block_scan_algorithmE0ELj4294967295EEENS1_25partition_config_selectorILNS1_17partition_subalgoE4EjNS0_10empty_typeEbEEZZNS1_14partition_implILS8_4ELb0ES6_15HIP_vector_typeIjLj2EENS0_17counting_iteratorIjlEEPS9_SG_NS0_5tupleIJPjSI_NS0_16reverse_iteratorISI_EEEEENSH_IJSG_SG_SG_EEES9_SI_JZNS1_25segmented_radix_sort_implINS0_14default_configELb1EPKdPdPKlPlN2at6native12_GLOBAL__N_18offset_tEEE10hipError_tPvRmT1_PNSt15iterator_traitsIS12_E10value_typeET2_T3_PNS13_IS18_E10value_typeET4_jRbjT5_S1E_jjP12ihipStream_tbEUljE_ZNSN_ISO_Lb1ESQ_SR_ST_SU_SY_EESZ_S10_S11_S12_S16_S17_S18_S1B_S1C_jS1D_jS1E_S1E_jjS1G_bEUljE0_EEESZ_S10_S11_S18_S1C_S1E_T6_T7_T9_mT8_S1G_bDpT10_ENKUlT_T0_E_clISt17integral_constantIbLb1EES1U_EEDaS1P_S1Q_EUlS1P_E_NS1_11comp_targetILNS1_3genE8ELNS1_11target_archE1030ELNS1_3gpuE2ELNS1_3repE0EEENS1_30default_config_static_selectorELNS0_4arch9wavefront6targetE0EEEvS12_,"axG",@progbits,_ZN7rocprim17ROCPRIM_400000_NS6detail17trampoline_kernelINS0_13select_configILj256ELj13ELNS0_17block_load_methodE3ELS4_3ELS4_3ELNS0_20block_scan_algorithmE0ELj4294967295EEENS1_25partition_config_selectorILNS1_17partition_subalgoE4EjNS0_10empty_typeEbEEZZNS1_14partition_implILS8_4ELb0ES6_15HIP_vector_typeIjLj2EENS0_17counting_iteratorIjlEEPS9_SG_NS0_5tupleIJPjSI_NS0_16reverse_iteratorISI_EEEEENSH_IJSG_SG_SG_EEES9_SI_JZNS1_25segmented_radix_sort_implINS0_14default_configELb1EPKdPdPKlPlN2at6native12_GLOBAL__N_18offset_tEEE10hipError_tPvRmT1_PNSt15iterator_traitsIS12_E10value_typeET2_T3_PNS13_IS18_E10value_typeET4_jRbjT5_S1E_jjP12ihipStream_tbEUljE_ZNSN_ISO_Lb1ESQ_SR_ST_SU_SY_EESZ_S10_S11_S12_S16_S17_S18_S1B_S1C_jS1D_jS1E_S1E_jjS1G_bEUljE0_EEESZ_S10_S11_S18_S1C_S1E_T6_T7_T9_mT8_S1G_bDpT10_ENKUlT_T0_E_clISt17integral_constantIbLb1EES1U_EEDaS1P_S1Q_EUlS1P_E_NS1_11comp_targetILNS1_3genE8ELNS1_11target_archE1030ELNS1_3gpuE2ELNS1_3repE0EEENS1_30default_config_static_selectorELNS0_4arch9wavefront6targetE0EEEvS12_,comdat
	.globl	_ZN7rocprim17ROCPRIM_400000_NS6detail17trampoline_kernelINS0_13select_configILj256ELj13ELNS0_17block_load_methodE3ELS4_3ELS4_3ELNS0_20block_scan_algorithmE0ELj4294967295EEENS1_25partition_config_selectorILNS1_17partition_subalgoE4EjNS0_10empty_typeEbEEZZNS1_14partition_implILS8_4ELb0ES6_15HIP_vector_typeIjLj2EENS0_17counting_iteratorIjlEEPS9_SG_NS0_5tupleIJPjSI_NS0_16reverse_iteratorISI_EEEEENSH_IJSG_SG_SG_EEES9_SI_JZNS1_25segmented_radix_sort_implINS0_14default_configELb1EPKdPdPKlPlN2at6native12_GLOBAL__N_18offset_tEEE10hipError_tPvRmT1_PNSt15iterator_traitsIS12_E10value_typeET2_T3_PNS13_IS18_E10value_typeET4_jRbjT5_S1E_jjP12ihipStream_tbEUljE_ZNSN_ISO_Lb1ESQ_SR_ST_SU_SY_EESZ_S10_S11_S12_S16_S17_S18_S1B_S1C_jS1D_jS1E_S1E_jjS1G_bEUljE0_EEESZ_S10_S11_S18_S1C_S1E_T6_T7_T9_mT8_S1G_bDpT10_ENKUlT_T0_E_clISt17integral_constantIbLb1EES1U_EEDaS1P_S1Q_EUlS1P_E_NS1_11comp_targetILNS1_3genE8ELNS1_11target_archE1030ELNS1_3gpuE2ELNS1_3repE0EEENS1_30default_config_static_selectorELNS0_4arch9wavefront6targetE0EEEvS12_ ; -- Begin function _ZN7rocprim17ROCPRIM_400000_NS6detail17trampoline_kernelINS0_13select_configILj256ELj13ELNS0_17block_load_methodE3ELS4_3ELS4_3ELNS0_20block_scan_algorithmE0ELj4294967295EEENS1_25partition_config_selectorILNS1_17partition_subalgoE4EjNS0_10empty_typeEbEEZZNS1_14partition_implILS8_4ELb0ES6_15HIP_vector_typeIjLj2EENS0_17counting_iteratorIjlEEPS9_SG_NS0_5tupleIJPjSI_NS0_16reverse_iteratorISI_EEEEENSH_IJSG_SG_SG_EEES9_SI_JZNS1_25segmented_radix_sort_implINS0_14default_configELb1EPKdPdPKlPlN2at6native12_GLOBAL__N_18offset_tEEE10hipError_tPvRmT1_PNSt15iterator_traitsIS12_E10value_typeET2_T3_PNS13_IS18_E10value_typeET4_jRbjT5_S1E_jjP12ihipStream_tbEUljE_ZNSN_ISO_Lb1ESQ_SR_ST_SU_SY_EESZ_S10_S11_S12_S16_S17_S18_S1B_S1C_jS1D_jS1E_S1E_jjS1G_bEUljE0_EEESZ_S10_S11_S18_S1C_S1E_T6_T7_T9_mT8_S1G_bDpT10_ENKUlT_T0_E_clISt17integral_constantIbLb1EES1U_EEDaS1P_S1Q_EUlS1P_E_NS1_11comp_targetILNS1_3genE8ELNS1_11target_archE1030ELNS1_3gpuE2ELNS1_3repE0EEENS1_30default_config_static_selectorELNS0_4arch9wavefront6targetE0EEEvS12_
	.p2align	8
	.type	_ZN7rocprim17ROCPRIM_400000_NS6detail17trampoline_kernelINS0_13select_configILj256ELj13ELNS0_17block_load_methodE3ELS4_3ELS4_3ELNS0_20block_scan_algorithmE0ELj4294967295EEENS1_25partition_config_selectorILNS1_17partition_subalgoE4EjNS0_10empty_typeEbEEZZNS1_14partition_implILS8_4ELb0ES6_15HIP_vector_typeIjLj2EENS0_17counting_iteratorIjlEEPS9_SG_NS0_5tupleIJPjSI_NS0_16reverse_iteratorISI_EEEEENSH_IJSG_SG_SG_EEES9_SI_JZNS1_25segmented_radix_sort_implINS0_14default_configELb1EPKdPdPKlPlN2at6native12_GLOBAL__N_18offset_tEEE10hipError_tPvRmT1_PNSt15iterator_traitsIS12_E10value_typeET2_T3_PNS13_IS18_E10value_typeET4_jRbjT5_S1E_jjP12ihipStream_tbEUljE_ZNSN_ISO_Lb1ESQ_SR_ST_SU_SY_EESZ_S10_S11_S12_S16_S17_S18_S1B_S1C_jS1D_jS1E_S1E_jjS1G_bEUljE0_EEESZ_S10_S11_S18_S1C_S1E_T6_T7_T9_mT8_S1G_bDpT10_ENKUlT_T0_E_clISt17integral_constantIbLb1EES1U_EEDaS1P_S1Q_EUlS1P_E_NS1_11comp_targetILNS1_3genE8ELNS1_11target_archE1030ELNS1_3gpuE2ELNS1_3repE0EEENS1_30default_config_static_selectorELNS0_4arch9wavefront6targetE0EEEvS12_,@function
_ZN7rocprim17ROCPRIM_400000_NS6detail17trampoline_kernelINS0_13select_configILj256ELj13ELNS0_17block_load_methodE3ELS4_3ELS4_3ELNS0_20block_scan_algorithmE0ELj4294967295EEENS1_25partition_config_selectorILNS1_17partition_subalgoE4EjNS0_10empty_typeEbEEZZNS1_14partition_implILS8_4ELb0ES6_15HIP_vector_typeIjLj2EENS0_17counting_iteratorIjlEEPS9_SG_NS0_5tupleIJPjSI_NS0_16reverse_iteratorISI_EEEEENSH_IJSG_SG_SG_EEES9_SI_JZNS1_25segmented_radix_sort_implINS0_14default_configELb1EPKdPdPKlPlN2at6native12_GLOBAL__N_18offset_tEEE10hipError_tPvRmT1_PNSt15iterator_traitsIS12_E10value_typeET2_T3_PNS13_IS18_E10value_typeET4_jRbjT5_S1E_jjP12ihipStream_tbEUljE_ZNSN_ISO_Lb1ESQ_SR_ST_SU_SY_EESZ_S10_S11_S12_S16_S17_S18_S1B_S1C_jS1D_jS1E_S1E_jjS1G_bEUljE0_EEESZ_S10_S11_S18_S1C_S1E_T6_T7_T9_mT8_S1G_bDpT10_ENKUlT_T0_E_clISt17integral_constantIbLb1EES1U_EEDaS1P_S1Q_EUlS1P_E_NS1_11comp_targetILNS1_3genE8ELNS1_11target_archE1030ELNS1_3gpuE2ELNS1_3repE0EEENS1_30default_config_static_selectorELNS0_4arch9wavefront6targetE0EEEvS12_: ; @_ZN7rocprim17ROCPRIM_400000_NS6detail17trampoline_kernelINS0_13select_configILj256ELj13ELNS0_17block_load_methodE3ELS4_3ELS4_3ELNS0_20block_scan_algorithmE0ELj4294967295EEENS1_25partition_config_selectorILNS1_17partition_subalgoE4EjNS0_10empty_typeEbEEZZNS1_14partition_implILS8_4ELb0ES6_15HIP_vector_typeIjLj2EENS0_17counting_iteratorIjlEEPS9_SG_NS0_5tupleIJPjSI_NS0_16reverse_iteratorISI_EEEEENSH_IJSG_SG_SG_EEES9_SI_JZNS1_25segmented_radix_sort_implINS0_14default_configELb1EPKdPdPKlPlN2at6native12_GLOBAL__N_18offset_tEEE10hipError_tPvRmT1_PNSt15iterator_traitsIS12_E10value_typeET2_T3_PNS13_IS18_E10value_typeET4_jRbjT5_S1E_jjP12ihipStream_tbEUljE_ZNSN_ISO_Lb1ESQ_SR_ST_SU_SY_EESZ_S10_S11_S12_S16_S17_S18_S1B_S1C_jS1D_jS1E_S1E_jjS1G_bEUljE0_EEESZ_S10_S11_S18_S1C_S1E_T6_T7_T9_mT8_S1G_bDpT10_ENKUlT_T0_E_clISt17integral_constantIbLb1EES1U_EEDaS1P_S1Q_EUlS1P_E_NS1_11comp_targetILNS1_3genE8ELNS1_11target_archE1030ELNS1_3gpuE2ELNS1_3repE0EEENS1_30default_config_static_selectorELNS0_4arch9wavefront6targetE0EEEvS12_
; %bb.0:
	.section	.rodata,"a",@progbits
	.p2align	6, 0x0
	.amdhsa_kernel _ZN7rocprim17ROCPRIM_400000_NS6detail17trampoline_kernelINS0_13select_configILj256ELj13ELNS0_17block_load_methodE3ELS4_3ELS4_3ELNS0_20block_scan_algorithmE0ELj4294967295EEENS1_25partition_config_selectorILNS1_17partition_subalgoE4EjNS0_10empty_typeEbEEZZNS1_14partition_implILS8_4ELb0ES6_15HIP_vector_typeIjLj2EENS0_17counting_iteratorIjlEEPS9_SG_NS0_5tupleIJPjSI_NS0_16reverse_iteratorISI_EEEEENSH_IJSG_SG_SG_EEES9_SI_JZNS1_25segmented_radix_sort_implINS0_14default_configELb1EPKdPdPKlPlN2at6native12_GLOBAL__N_18offset_tEEE10hipError_tPvRmT1_PNSt15iterator_traitsIS12_E10value_typeET2_T3_PNS13_IS18_E10value_typeET4_jRbjT5_S1E_jjP12ihipStream_tbEUljE_ZNSN_ISO_Lb1ESQ_SR_ST_SU_SY_EESZ_S10_S11_S12_S16_S17_S18_S1B_S1C_jS1D_jS1E_S1E_jjS1G_bEUljE0_EEESZ_S10_S11_S18_S1C_S1E_T6_T7_T9_mT8_S1G_bDpT10_ENKUlT_T0_E_clISt17integral_constantIbLb1EES1U_EEDaS1P_S1Q_EUlS1P_E_NS1_11comp_targetILNS1_3genE8ELNS1_11target_archE1030ELNS1_3gpuE2ELNS1_3repE0EEENS1_30default_config_static_selectorELNS0_4arch9wavefront6targetE0EEEvS12_
		.amdhsa_group_segment_fixed_size 0
		.amdhsa_private_segment_fixed_size 0
		.amdhsa_kernarg_size 184
		.amdhsa_user_sgpr_count 2
		.amdhsa_user_sgpr_dispatch_ptr 0
		.amdhsa_user_sgpr_queue_ptr 0
		.amdhsa_user_sgpr_kernarg_segment_ptr 1
		.amdhsa_user_sgpr_dispatch_id 0
		.amdhsa_user_sgpr_kernarg_preload_length 0
		.amdhsa_user_sgpr_kernarg_preload_offset 0
		.amdhsa_user_sgpr_private_segment_size 0
		.amdhsa_wavefront_size32 1
		.amdhsa_uses_dynamic_stack 0
		.amdhsa_enable_private_segment 0
		.amdhsa_system_sgpr_workgroup_id_x 1
		.amdhsa_system_sgpr_workgroup_id_y 0
		.amdhsa_system_sgpr_workgroup_id_z 0
		.amdhsa_system_sgpr_workgroup_info 0
		.amdhsa_system_vgpr_workitem_id 0
		.amdhsa_next_free_vgpr 1
		.amdhsa_next_free_sgpr 1
		.amdhsa_named_barrier_count 0
		.amdhsa_reserve_vcc 0
		.amdhsa_float_round_mode_32 0
		.amdhsa_float_round_mode_16_64 0
		.amdhsa_float_denorm_mode_32 3
		.amdhsa_float_denorm_mode_16_64 3
		.amdhsa_fp16_overflow 0
		.amdhsa_memory_ordered 1
		.amdhsa_forward_progress 1
		.amdhsa_inst_pref_size 0
		.amdhsa_round_robin_scheduling 0
		.amdhsa_exception_fp_ieee_invalid_op 0
		.amdhsa_exception_fp_denorm_src 0
		.amdhsa_exception_fp_ieee_div_zero 0
		.amdhsa_exception_fp_ieee_overflow 0
		.amdhsa_exception_fp_ieee_underflow 0
		.amdhsa_exception_fp_ieee_inexact 0
		.amdhsa_exception_int_div_zero 0
	.end_amdhsa_kernel
	.section	.text._ZN7rocprim17ROCPRIM_400000_NS6detail17trampoline_kernelINS0_13select_configILj256ELj13ELNS0_17block_load_methodE3ELS4_3ELS4_3ELNS0_20block_scan_algorithmE0ELj4294967295EEENS1_25partition_config_selectorILNS1_17partition_subalgoE4EjNS0_10empty_typeEbEEZZNS1_14partition_implILS8_4ELb0ES6_15HIP_vector_typeIjLj2EENS0_17counting_iteratorIjlEEPS9_SG_NS0_5tupleIJPjSI_NS0_16reverse_iteratorISI_EEEEENSH_IJSG_SG_SG_EEES9_SI_JZNS1_25segmented_radix_sort_implINS0_14default_configELb1EPKdPdPKlPlN2at6native12_GLOBAL__N_18offset_tEEE10hipError_tPvRmT1_PNSt15iterator_traitsIS12_E10value_typeET2_T3_PNS13_IS18_E10value_typeET4_jRbjT5_S1E_jjP12ihipStream_tbEUljE_ZNSN_ISO_Lb1ESQ_SR_ST_SU_SY_EESZ_S10_S11_S12_S16_S17_S18_S1B_S1C_jS1D_jS1E_S1E_jjS1G_bEUljE0_EEESZ_S10_S11_S18_S1C_S1E_T6_T7_T9_mT8_S1G_bDpT10_ENKUlT_T0_E_clISt17integral_constantIbLb1EES1U_EEDaS1P_S1Q_EUlS1P_E_NS1_11comp_targetILNS1_3genE8ELNS1_11target_archE1030ELNS1_3gpuE2ELNS1_3repE0EEENS1_30default_config_static_selectorELNS0_4arch9wavefront6targetE0EEEvS12_,"axG",@progbits,_ZN7rocprim17ROCPRIM_400000_NS6detail17trampoline_kernelINS0_13select_configILj256ELj13ELNS0_17block_load_methodE3ELS4_3ELS4_3ELNS0_20block_scan_algorithmE0ELj4294967295EEENS1_25partition_config_selectorILNS1_17partition_subalgoE4EjNS0_10empty_typeEbEEZZNS1_14partition_implILS8_4ELb0ES6_15HIP_vector_typeIjLj2EENS0_17counting_iteratorIjlEEPS9_SG_NS0_5tupleIJPjSI_NS0_16reverse_iteratorISI_EEEEENSH_IJSG_SG_SG_EEES9_SI_JZNS1_25segmented_radix_sort_implINS0_14default_configELb1EPKdPdPKlPlN2at6native12_GLOBAL__N_18offset_tEEE10hipError_tPvRmT1_PNSt15iterator_traitsIS12_E10value_typeET2_T3_PNS13_IS18_E10value_typeET4_jRbjT5_S1E_jjP12ihipStream_tbEUljE_ZNSN_ISO_Lb1ESQ_SR_ST_SU_SY_EESZ_S10_S11_S12_S16_S17_S18_S1B_S1C_jS1D_jS1E_S1E_jjS1G_bEUljE0_EEESZ_S10_S11_S18_S1C_S1E_T6_T7_T9_mT8_S1G_bDpT10_ENKUlT_T0_E_clISt17integral_constantIbLb1EES1U_EEDaS1P_S1Q_EUlS1P_E_NS1_11comp_targetILNS1_3genE8ELNS1_11target_archE1030ELNS1_3gpuE2ELNS1_3repE0EEENS1_30default_config_static_selectorELNS0_4arch9wavefront6targetE0EEEvS12_,comdat
.Lfunc_end1063:
	.size	_ZN7rocprim17ROCPRIM_400000_NS6detail17trampoline_kernelINS0_13select_configILj256ELj13ELNS0_17block_load_methodE3ELS4_3ELS4_3ELNS0_20block_scan_algorithmE0ELj4294967295EEENS1_25partition_config_selectorILNS1_17partition_subalgoE4EjNS0_10empty_typeEbEEZZNS1_14partition_implILS8_4ELb0ES6_15HIP_vector_typeIjLj2EENS0_17counting_iteratorIjlEEPS9_SG_NS0_5tupleIJPjSI_NS0_16reverse_iteratorISI_EEEEENSH_IJSG_SG_SG_EEES9_SI_JZNS1_25segmented_radix_sort_implINS0_14default_configELb1EPKdPdPKlPlN2at6native12_GLOBAL__N_18offset_tEEE10hipError_tPvRmT1_PNSt15iterator_traitsIS12_E10value_typeET2_T3_PNS13_IS18_E10value_typeET4_jRbjT5_S1E_jjP12ihipStream_tbEUljE_ZNSN_ISO_Lb1ESQ_SR_ST_SU_SY_EESZ_S10_S11_S12_S16_S17_S18_S1B_S1C_jS1D_jS1E_S1E_jjS1G_bEUljE0_EEESZ_S10_S11_S18_S1C_S1E_T6_T7_T9_mT8_S1G_bDpT10_ENKUlT_T0_E_clISt17integral_constantIbLb1EES1U_EEDaS1P_S1Q_EUlS1P_E_NS1_11comp_targetILNS1_3genE8ELNS1_11target_archE1030ELNS1_3gpuE2ELNS1_3repE0EEENS1_30default_config_static_selectorELNS0_4arch9wavefront6targetE0EEEvS12_, .Lfunc_end1063-_ZN7rocprim17ROCPRIM_400000_NS6detail17trampoline_kernelINS0_13select_configILj256ELj13ELNS0_17block_load_methodE3ELS4_3ELS4_3ELNS0_20block_scan_algorithmE0ELj4294967295EEENS1_25partition_config_selectorILNS1_17partition_subalgoE4EjNS0_10empty_typeEbEEZZNS1_14partition_implILS8_4ELb0ES6_15HIP_vector_typeIjLj2EENS0_17counting_iteratorIjlEEPS9_SG_NS0_5tupleIJPjSI_NS0_16reverse_iteratorISI_EEEEENSH_IJSG_SG_SG_EEES9_SI_JZNS1_25segmented_radix_sort_implINS0_14default_configELb1EPKdPdPKlPlN2at6native12_GLOBAL__N_18offset_tEEE10hipError_tPvRmT1_PNSt15iterator_traitsIS12_E10value_typeET2_T3_PNS13_IS18_E10value_typeET4_jRbjT5_S1E_jjP12ihipStream_tbEUljE_ZNSN_ISO_Lb1ESQ_SR_ST_SU_SY_EESZ_S10_S11_S12_S16_S17_S18_S1B_S1C_jS1D_jS1E_S1E_jjS1G_bEUljE0_EEESZ_S10_S11_S18_S1C_S1E_T6_T7_T9_mT8_S1G_bDpT10_ENKUlT_T0_E_clISt17integral_constantIbLb1EES1U_EEDaS1P_S1Q_EUlS1P_E_NS1_11comp_targetILNS1_3genE8ELNS1_11target_archE1030ELNS1_3gpuE2ELNS1_3repE0EEENS1_30default_config_static_selectorELNS0_4arch9wavefront6targetE0EEEvS12_
                                        ; -- End function
	.set _ZN7rocprim17ROCPRIM_400000_NS6detail17trampoline_kernelINS0_13select_configILj256ELj13ELNS0_17block_load_methodE3ELS4_3ELS4_3ELNS0_20block_scan_algorithmE0ELj4294967295EEENS1_25partition_config_selectorILNS1_17partition_subalgoE4EjNS0_10empty_typeEbEEZZNS1_14partition_implILS8_4ELb0ES6_15HIP_vector_typeIjLj2EENS0_17counting_iteratorIjlEEPS9_SG_NS0_5tupleIJPjSI_NS0_16reverse_iteratorISI_EEEEENSH_IJSG_SG_SG_EEES9_SI_JZNS1_25segmented_radix_sort_implINS0_14default_configELb1EPKdPdPKlPlN2at6native12_GLOBAL__N_18offset_tEEE10hipError_tPvRmT1_PNSt15iterator_traitsIS12_E10value_typeET2_T3_PNS13_IS18_E10value_typeET4_jRbjT5_S1E_jjP12ihipStream_tbEUljE_ZNSN_ISO_Lb1ESQ_SR_ST_SU_SY_EESZ_S10_S11_S12_S16_S17_S18_S1B_S1C_jS1D_jS1E_S1E_jjS1G_bEUljE0_EEESZ_S10_S11_S18_S1C_S1E_T6_T7_T9_mT8_S1G_bDpT10_ENKUlT_T0_E_clISt17integral_constantIbLb1EES1U_EEDaS1P_S1Q_EUlS1P_E_NS1_11comp_targetILNS1_3genE8ELNS1_11target_archE1030ELNS1_3gpuE2ELNS1_3repE0EEENS1_30default_config_static_selectorELNS0_4arch9wavefront6targetE0EEEvS12_.num_vgpr, 0
	.set _ZN7rocprim17ROCPRIM_400000_NS6detail17trampoline_kernelINS0_13select_configILj256ELj13ELNS0_17block_load_methodE3ELS4_3ELS4_3ELNS0_20block_scan_algorithmE0ELj4294967295EEENS1_25partition_config_selectorILNS1_17partition_subalgoE4EjNS0_10empty_typeEbEEZZNS1_14partition_implILS8_4ELb0ES6_15HIP_vector_typeIjLj2EENS0_17counting_iteratorIjlEEPS9_SG_NS0_5tupleIJPjSI_NS0_16reverse_iteratorISI_EEEEENSH_IJSG_SG_SG_EEES9_SI_JZNS1_25segmented_radix_sort_implINS0_14default_configELb1EPKdPdPKlPlN2at6native12_GLOBAL__N_18offset_tEEE10hipError_tPvRmT1_PNSt15iterator_traitsIS12_E10value_typeET2_T3_PNS13_IS18_E10value_typeET4_jRbjT5_S1E_jjP12ihipStream_tbEUljE_ZNSN_ISO_Lb1ESQ_SR_ST_SU_SY_EESZ_S10_S11_S12_S16_S17_S18_S1B_S1C_jS1D_jS1E_S1E_jjS1G_bEUljE0_EEESZ_S10_S11_S18_S1C_S1E_T6_T7_T9_mT8_S1G_bDpT10_ENKUlT_T0_E_clISt17integral_constantIbLb1EES1U_EEDaS1P_S1Q_EUlS1P_E_NS1_11comp_targetILNS1_3genE8ELNS1_11target_archE1030ELNS1_3gpuE2ELNS1_3repE0EEENS1_30default_config_static_selectorELNS0_4arch9wavefront6targetE0EEEvS12_.num_agpr, 0
	.set _ZN7rocprim17ROCPRIM_400000_NS6detail17trampoline_kernelINS0_13select_configILj256ELj13ELNS0_17block_load_methodE3ELS4_3ELS4_3ELNS0_20block_scan_algorithmE0ELj4294967295EEENS1_25partition_config_selectorILNS1_17partition_subalgoE4EjNS0_10empty_typeEbEEZZNS1_14partition_implILS8_4ELb0ES6_15HIP_vector_typeIjLj2EENS0_17counting_iteratorIjlEEPS9_SG_NS0_5tupleIJPjSI_NS0_16reverse_iteratorISI_EEEEENSH_IJSG_SG_SG_EEES9_SI_JZNS1_25segmented_radix_sort_implINS0_14default_configELb1EPKdPdPKlPlN2at6native12_GLOBAL__N_18offset_tEEE10hipError_tPvRmT1_PNSt15iterator_traitsIS12_E10value_typeET2_T3_PNS13_IS18_E10value_typeET4_jRbjT5_S1E_jjP12ihipStream_tbEUljE_ZNSN_ISO_Lb1ESQ_SR_ST_SU_SY_EESZ_S10_S11_S12_S16_S17_S18_S1B_S1C_jS1D_jS1E_S1E_jjS1G_bEUljE0_EEESZ_S10_S11_S18_S1C_S1E_T6_T7_T9_mT8_S1G_bDpT10_ENKUlT_T0_E_clISt17integral_constantIbLb1EES1U_EEDaS1P_S1Q_EUlS1P_E_NS1_11comp_targetILNS1_3genE8ELNS1_11target_archE1030ELNS1_3gpuE2ELNS1_3repE0EEENS1_30default_config_static_selectorELNS0_4arch9wavefront6targetE0EEEvS12_.numbered_sgpr, 0
	.set _ZN7rocprim17ROCPRIM_400000_NS6detail17trampoline_kernelINS0_13select_configILj256ELj13ELNS0_17block_load_methodE3ELS4_3ELS4_3ELNS0_20block_scan_algorithmE0ELj4294967295EEENS1_25partition_config_selectorILNS1_17partition_subalgoE4EjNS0_10empty_typeEbEEZZNS1_14partition_implILS8_4ELb0ES6_15HIP_vector_typeIjLj2EENS0_17counting_iteratorIjlEEPS9_SG_NS0_5tupleIJPjSI_NS0_16reverse_iteratorISI_EEEEENSH_IJSG_SG_SG_EEES9_SI_JZNS1_25segmented_radix_sort_implINS0_14default_configELb1EPKdPdPKlPlN2at6native12_GLOBAL__N_18offset_tEEE10hipError_tPvRmT1_PNSt15iterator_traitsIS12_E10value_typeET2_T3_PNS13_IS18_E10value_typeET4_jRbjT5_S1E_jjP12ihipStream_tbEUljE_ZNSN_ISO_Lb1ESQ_SR_ST_SU_SY_EESZ_S10_S11_S12_S16_S17_S18_S1B_S1C_jS1D_jS1E_S1E_jjS1G_bEUljE0_EEESZ_S10_S11_S18_S1C_S1E_T6_T7_T9_mT8_S1G_bDpT10_ENKUlT_T0_E_clISt17integral_constantIbLb1EES1U_EEDaS1P_S1Q_EUlS1P_E_NS1_11comp_targetILNS1_3genE8ELNS1_11target_archE1030ELNS1_3gpuE2ELNS1_3repE0EEENS1_30default_config_static_selectorELNS0_4arch9wavefront6targetE0EEEvS12_.num_named_barrier, 0
	.set _ZN7rocprim17ROCPRIM_400000_NS6detail17trampoline_kernelINS0_13select_configILj256ELj13ELNS0_17block_load_methodE3ELS4_3ELS4_3ELNS0_20block_scan_algorithmE0ELj4294967295EEENS1_25partition_config_selectorILNS1_17partition_subalgoE4EjNS0_10empty_typeEbEEZZNS1_14partition_implILS8_4ELb0ES6_15HIP_vector_typeIjLj2EENS0_17counting_iteratorIjlEEPS9_SG_NS0_5tupleIJPjSI_NS0_16reverse_iteratorISI_EEEEENSH_IJSG_SG_SG_EEES9_SI_JZNS1_25segmented_radix_sort_implINS0_14default_configELb1EPKdPdPKlPlN2at6native12_GLOBAL__N_18offset_tEEE10hipError_tPvRmT1_PNSt15iterator_traitsIS12_E10value_typeET2_T3_PNS13_IS18_E10value_typeET4_jRbjT5_S1E_jjP12ihipStream_tbEUljE_ZNSN_ISO_Lb1ESQ_SR_ST_SU_SY_EESZ_S10_S11_S12_S16_S17_S18_S1B_S1C_jS1D_jS1E_S1E_jjS1G_bEUljE0_EEESZ_S10_S11_S18_S1C_S1E_T6_T7_T9_mT8_S1G_bDpT10_ENKUlT_T0_E_clISt17integral_constantIbLb1EES1U_EEDaS1P_S1Q_EUlS1P_E_NS1_11comp_targetILNS1_3genE8ELNS1_11target_archE1030ELNS1_3gpuE2ELNS1_3repE0EEENS1_30default_config_static_selectorELNS0_4arch9wavefront6targetE0EEEvS12_.private_seg_size, 0
	.set _ZN7rocprim17ROCPRIM_400000_NS6detail17trampoline_kernelINS0_13select_configILj256ELj13ELNS0_17block_load_methodE3ELS4_3ELS4_3ELNS0_20block_scan_algorithmE0ELj4294967295EEENS1_25partition_config_selectorILNS1_17partition_subalgoE4EjNS0_10empty_typeEbEEZZNS1_14partition_implILS8_4ELb0ES6_15HIP_vector_typeIjLj2EENS0_17counting_iteratorIjlEEPS9_SG_NS0_5tupleIJPjSI_NS0_16reverse_iteratorISI_EEEEENSH_IJSG_SG_SG_EEES9_SI_JZNS1_25segmented_radix_sort_implINS0_14default_configELb1EPKdPdPKlPlN2at6native12_GLOBAL__N_18offset_tEEE10hipError_tPvRmT1_PNSt15iterator_traitsIS12_E10value_typeET2_T3_PNS13_IS18_E10value_typeET4_jRbjT5_S1E_jjP12ihipStream_tbEUljE_ZNSN_ISO_Lb1ESQ_SR_ST_SU_SY_EESZ_S10_S11_S12_S16_S17_S18_S1B_S1C_jS1D_jS1E_S1E_jjS1G_bEUljE0_EEESZ_S10_S11_S18_S1C_S1E_T6_T7_T9_mT8_S1G_bDpT10_ENKUlT_T0_E_clISt17integral_constantIbLb1EES1U_EEDaS1P_S1Q_EUlS1P_E_NS1_11comp_targetILNS1_3genE8ELNS1_11target_archE1030ELNS1_3gpuE2ELNS1_3repE0EEENS1_30default_config_static_selectorELNS0_4arch9wavefront6targetE0EEEvS12_.uses_vcc, 0
	.set _ZN7rocprim17ROCPRIM_400000_NS6detail17trampoline_kernelINS0_13select_configILj256ELj13ELNS0_17block_load_methodE3ELS4_3ELS4_3ELNS0_20block_scan_algorithmE0ELj4294967295EEENS1_25partition_config_selectorILNS1_17partition_subalgoE4EjNS0_10empty_typeEbEEZZNS1_14partition_implILS8_4ELb0ES6_15HIP_vector_typeIjLj2EENS0_17counting_iteratorIjlEEPS9_SG_NS0_5tupleIJPjSI_NS0_16reverse_iteratorISI_EEEEENSH_IJSG_SG_SG_EEES9_SI_JZNS1_25segmented_radix_sort_implINS0_14default_configELb1EPKdPdPKlPlN2at6native12_GLOBAL__N_18offset_tEEE10hipError_tPvRmT1_PNSt15iterator_traitsIS12_E10value_typeET2_T3_PNS13_IS18_E10value_typeET4_jRbjT5_S1E_jjP12ihipStream_tbEUljE_ZNSN_ISO_Lb1ESQ_SR_ST_SU_SY_EESZ_S10_S11_S12_S16_S17_S18_S1B_S1C_jS1D_jS1E_S1E_jjS1G_bEUljE0_EEESZ_S10_S11_S18_S1C_S1E_T6_T7_T9_mT8_S1G_bDpT10_ENKUlT_T0_E_clISt17integral_constantIbLb1EES1U_EEDaS1P_S1Q_EUlS1P_E_NS1_11comp_targetILNS1_3genE8ELNS1_11target_archE1030ELNS1_3gpuE2ELNS1_3repE0EEENS1_30default_config_static_selectorELNS0_4arch9wavefront6targetE0EEEvS12_.uses_flat_scratch, 0
	.set _ZN7rocprim17ROCPRIM_400000_NS6detail17trampoline_kernelINS0_13select_configILj256ELj13ELNS0_17block_load_methodE3ELS4_3ELS4_3ELNS0_20block_scan_algorithmE0ELj4294967295EEENS1_25partition_config_selectorILNS1_17partition_subalgoE4EjNS0_10empty_typeEbEEZZNS1_14partition_implILS8_4ELb0ES6_15HIP_vector_typeIjLj2EENS0_17counting_iteratorIjlEEPS9_SG_NS0_5tupleIJPjSI_NS0_16reverse_iteratorISI_EEEEENSH_IJSG_SG_SG_EEES9_SI_JZNS1_25segmented_radix_sort_implINS0_14default_configELb1EPKdPdPKlPlN2at6native12_GLOBAL__N_18offset_tEEE10hipError_tPvRmT1_PNSt15iterator_traitsIS12_E10value_typeET2_T3_PNS13_IS18_E10value_typeET4_jRbjT5_S1E_jjP12ihipStream_tbEUljE_ZNSN_ISO_Lb1ESQ_SR_ST_SU_SY_EESZ_S10_S11_S12_S16_S17_S18_S1B_S1C_jS1D_jS1E_S1E_jjS1G_bEUljE0_EEESZ_S10_S11_S18_S1C_S1E_T6_T7_T9_mT8_S1G_bDpT10_ENKUlT_T0_E_clISt17integral_constantIbLb1EES1U_EEDaS1P_S1Q_EUlS1P_E_NS1_11comp_targetILNS1_3genE8ELNS1_11target_archE1030ELNS1_3gpuE2ELNS1_3repE0EEENS1_30default_config_static_selectorELNS0_4arch9wavefront6targetE0EEEvS12_.has_dyn_sized_stack, 0
	.set _ZN7rocprim17ROCPRIM_400000_NS6detail17trampoline_kernelINS0_13select_configILj256ELj13ELNS0_17block_load_methodE3ELS4_3ELS4_3ELNS0_20block_scan_algorithmE0ELj4294967295EEENS1_25partition_config_selectorILNS1_17partition_subalgoE4EjNS0_10empty_typeEbEEZZNS1_14partition_implILS8_4ELb0ES6_15HIP_vector_typeIjLj2EENS0_17counting_iteratorIjlEEPS9_SG_NS0_5tupleIJPjSI_NS0_16reverse_iteratorISI_EEEEENSH_IJSG_SG_SG_EEES9_SI_JZNS1_25segmented_radix_sort_implINS0_14default_configELb1EPKdPdPKlPlN2at6native12_GLOBAL__N_18offset_tEEE10hipError_tPvRmT1_PNSt15iterator_traitsIS12_E10value_typeET2_T3_PNS13_IS18_E10value_typeET4_jRbjT5_S1E_jjP12ihipStream_tbEUljE_ZNSN_ISO_Lb1ESQ_SR_ST_SU_SY_EESZ_S10_S11_S12_S16_S17_S18_S1B_S1C_jS1D_jS1E_S1E_jjS1G_bEUljE0_EEESZ_S10_S11_S18_S1C_S1E_T6_T7_T9_mT8_S1G_bDpT10_ENKUlT_T0_E_clISt17integral_constantIbLb1EES1U_EEDaS1P_S1Q_EUlS1P_E_NS1_11comp_targetILNS1_3genE8ELNS1_11target_archE1030ELNS1_3gpuE2ELNS1_3repE0EEENS1_30default_config_static_selectorELNS0_4arch9wavefront6targetE0EEEvS12_.has_recursion, 0
	.set _ZN7rocprim17ROCPRIM_400000_NS6detail17trampoline_kernelINS0_13select_configILj256ELj13ELNS0_17block_load_methodE3ELS4_3ELS4_3ELNS0_20block_scan_algorithmE0ELj4294967295EEENS1_25partition_config_selectorILNS1_17partition_subalgoE4EjNS0_10empty_typeEbEEZZNS1_14partition_implILS8_4ELb0ES6_15HIP_vector_typeIjLj2EENS0_17counting_iteratorIjlEEPS9_SG_NS0_5tupleIJPjSI_NS0_16reverse_iteratorISI_EEEEENSH_IJSG_SG_SG_EEES9_SI_JZNS1_25segmented_radix_sort_implINS0_14default_configELb1EPKdPdPKlPlN2at6native12_GLOBAL__N_18offset_tEEE10hipError_tPvRmT1_PNSt15iterator_traitsIS12_E10value_typeET2_T3_PNS13_IS18_E10value_typeET4_jRbjT5_S1E_jjP12ihipStream_tbEUljE_ZNSN_ISO_Lb1ESQ_SR_ST_SU_SY_EESZ_S10_S11_S12_S16_S17_S18_S1B_S1C_jS1D_jS1E_S1E_jjS1G_bEUljE0_EEESZ_S10_S11_S18_S1C_S1E_T6_T7_T9_mT8_S1G_bDpT10_ENKUlT_T0_E_clISt17integral_constantIbLb1EES1U_EEDaS1P_S1Q_EUlS1P_E_NS1_11comp_targetILNS1_3genE8ELNS1_11target_archE1030ELNS1_3gpuE2ELNS1_3repE0EEENS1_30default_config_static_selectorELNS0_4arch9wavefront6targetE0EEEvS12_.has_indirect_call, 0
	.section	.AMDGPU.csdata,"",@progbits
; Kernel info:
; codeLenInByte = 0
; TotalNumSgprs: 0
; NumVgprs: 0
; ScratchSize: 0
; MemoryBound: 0
; FloatMode: 240
; IeeeMode: 1
; LDSByteSize: 0 bytes/workgroup (compile time only)
; SGPRBlocks: 0
; VGPRBlocks: 0
; NumSGPRsForWavesPerEU: 1
; NumVGPRsForWavesPerEU: 1
; NamedBarCnt: 0
; Occupancy: 16
; WaveLimiterHint : 0
; COMPUTE_PGM_RSRC2:SCRATCH_EN: 0
; COMPUTE_PGM_RSRC2:USER_SGPR: 2
; COMPUTE_PGM_RSRC2:TRAP_HANDLER: 0
; COMPUTE_PGM_RSRC2:TGID_X_EN: 1
; COMPUTE_PGM_RSRC2:TGID_Y_EN: 0
; COMPUTE_PGM_RSRC2:TGID_Z_EN: 0
; COMPUTE_PGM_RSRC2:TIDIG_COMP_CNT: 0
	.section	.text._ZN7rocprim17ROCPRIM_400000_NS6detail17trampoline_kernelINS0_13select_configILj256ELj13ELNS0_17block_load_methodE3ELS4_3ELS4_3ELNS0_20block_scan_algorithmE0ELj4294967295EEENS1_25partition_config_selectorILNS1_17partition_subalgoE4EjNS0_10empty_typeEbEEZZNS1_14partition_implILS8_4ELb0ES6_15HIP_vector_typeIjLj2EENS0_17counting_iteratorIjlEEPS9_SG_NS0_5tupleIJPjSI_NS0_16reverse_iteratorISI_EEEEENSH_IJSG_SG_SG_EEES9_SI_JZNS1_25segmented_radix_sort_implINS0_14default_configELb1EPKdPdPKlPlN2at6native12_GLOBAL__N_18offset_tEEE10hipError_tPvRmT1_PNSt15iterator_traitsIS12_E10value_typeET2_T3_PNS13_IS18_E10value_typeET4_jRbjT5_S1E_jjP12ihipStream_tbEUljE_ZNSN_ISO_Lb1ESQ_SR_ST_SU_SY_EESZ_S10_S11_S12_S16_S17_S18_S1B_S1C_jS1D_jS1E_S1E_jjS1G_bEUljE0_EEESZ_S10_S11_S18_S1C_S1E_T6_T7_T9_mT8_S1G_bDpT10_ENKUlT_T0_E_clISt17integral_constantIbLb1EES1T_IbLb0EEEEDaS1P_S1Q_EUlS1P_E_NS1_11comp_targetILNS1_3genE0ELNS1_11target_archE4294967295ELNS1_3gpuE0ELNS1_3repE0EEENS1_30default_config_static_selectorELNS0_4arch9wavefront6targetE0EEEvS12_,"axG",@progbits,_ZN7rocprim17ROCPRIM_400000_NS6detail17trampoline_kernelINS0_13select_configILj256ELj13ELNS0_17block_load_methodE3ELS4_3ELS4_3ELNS0_20block_scan_algorithmE0ELj4294967295EEENS1_25partition_config_selectorILNS1_17partition_subalgoE4EjNS0_10empty_typeEbEEZZNS1_14partition_implILS8_4ELb0ES6_15HIP_vector_typeIjLj2EENS0_17counting_iteratorIjlEEPS9_SG_NS0_5tupleIJPjSI_NS0_16reverse_iteratorISI_EEEEENSH_IJSG_SG_SG_EEES9_SI_JZNS1_25segmented_radix_sort_implINS0_14default_configELb1EPKdPdPKlPlN2at6native12_GLOBAL__N_18offset_tEEE10hipError_tPvRmT1_PNSt15iterator_traitsIS12_E10value_typeET2_T3_PNS13_IS18_E10value_typeET4_jRbjT5_S1E_jjP12ihipStream_tbEUljE_ZNSN_ISO_Lb1ESQ_SR_ST_SU_SY_EESZ_S10_S11_S12_S16_S17_S18_S1B_S1C_jS1D_jS1E_S1E_jjS1G_bEUljE0_EEESZ_S10_S11_S18_S1C_S1E_T6_T7_T9_mT8_S1G_bDpT10_ENKUlT_T0_E_clISt17integral_constantIbLb1EES1T_IbLb0EEEEDaS1P_S1Q_EUlS1P_E_NS1_11comp_targetILNS1_3genE0ELNS1_11target_archE4294967295ELNS1_3gpuE0ELNS1_3repE0EEENS1_30default_config_static_selectorELNS0_4arch9wavefront6targetE0EEEvS12_,comdat
	.globl	_ZN7rocprim17ROCPRIM_400000_NS6detail17trampoline_kernelINS0_13select_configILj256ELj13ELNS0_17block_load_methodE3ELS4_3ELS4_3ELNS0_20block_scan_algorithmE0ELj4294967295EEENS1_25partition_config_selectorILNS1_17partition_subalgoE4EjNS0_10empty_typeEbEEZZNS1_14partition_implILS8_4ELb0ES6_15HIP_vector_typeIjLj2EENS0_17counting_iteratorIjlEEPS9_SG_NS0_5tupleIJPjSI_NS0_16reverse_iteratorISI_EEEEENSH_IJSG_SG_SG_EEES9_SI_JZNS1_25segmented_radix_sort_implINS0_14default_configELb1EPKdPdPKlPlN2at6native12_GLOBAL__N_18offset_tEEE10hipError_tPvRmT1_PNSt15iterator_traitsIS12_E10value_typeET2_T3_PNS13_IS18_E10value_typeET4_jRbjT5_S1E_jjP12ihipStream_tbEUljE_ZNSN_ISO_Lb1ESQ_SR_ST_SU_SY_EESZ_S10_S11_S12_S16_S17_S18_S1B_S1C_jS1D_jS1E_S1E_jjS1G_bEUljE0_EEESZ_S10_S11_S18_S1C_S1E_T6_T7_T9_mT8_S1G_bDpT10_ENKUlT_T0_E_clISt17integral_constantIbLb1EES1T_IbLb0EEEEDaS1P_S1Q_EUlS1P_E_NS1_11comp_targetILNS1_3genE0ELNS1_11target_archE4294967295ELNS1_3gpuE0ELNS1_3repE0EEENS1_30default_config_static_selectorELNS0_4arch9wavefront6targetE0EEEvS12_ ; -- Begin function _ZN7rocprim17ROCPRIM_400000_NS6detail17trampoline_kernelINS0_13select_configILj256ELj13ELNS0_17block_load_methodE3ELS4_3ELS4_3ELNS0_20block_scan_algorithmE0ELj4294967295EEENS1_25partition_config_selectorILNS1_17partition_subalgoE4EjNS0_10empty_typeEbEEZZNS1_14partition_implILS8_4ELb0ES6_15HIP_vector_typeIjLj2EENS0_17counting_iteratorIjlEEPS9_SG_NS0_5tupleIJPjSI_NS0_16reverse_iteratorISI_EEEEENSH_IJSG_SG_SG_EEES9_SI_JZNS1_25segmented_radix_sort_implINS0_14default_configELb1EPKdPdPKlPlN2at6native12_GLOBAL__N_18offset_tEEE10hipError_tPvRmT1_PNSt15iterator_traitsIS12_E10value_typeET2_T3_PNS13_IS18_E10value_typeET4_jRbjT5_S1E_jjP12ihipStream_tbEUljE_ZNSN_ISO_Lb1ESQ_SR_ST_SU_SY_EESZ_S10_S11_S12_S16_S17_S18_S1B_S1C_jS1D_jS1E_S1E_jjS1G_bEUljE0_EEESZ_S10_S11_S18_S1C_S1E_T6_T7_T9_mT8_S1G_bDpT10_ENKUlT_T0_E_clISt17integral_constantIbLb1EES1T_IbLb0EEEEDaS1P_S1Q_EUlS1P_E_NS1_11comp_targetILNS1_3genE0ELNS1_11target_archE4294967295ELNS1_3gpuE0ELNS1_3repE0EEENS1_30default_config_static_selectorELNS0_4arch9wavefront6targetE0EEEvS12_
	.p2align	8
	.type	_ZN7rocprim17ROCPRIM_400000_NS6detail17trampoline_kernelINS0_13select_configILj256ELj13ELNS0_17block_load_methodE3ELS4_3ELS4_3ELNS0_20block_scan_algorithmE0ELj4294967295EEENS1_25partition_config_selectorILNS1_17partition_subalgoE4EjNS0_10empty_typeEbEEZZNS1_14partition_implILS8_4ELb0ES6_15HIP_vector_typeIjLj2EENS0_17counting_iteratorIjlEEPS9_SG_NS0_5tupleIJPjSI_NS0_16reverse_iteratorISI_EEEEENSH_IJSG_SG_SG_EEES9_SI_JZNS1_25segmented_radix_sort_implINS0_14default_configELb1EPKdPdPKlPlN2at6native12_GLOBAL__N_18offset_tEEE10hipError_tPvRmT1_PNSt15iterator_traitsIS12_E10value_typeET2_T3_PNS13_IS18_E10value_typeET4_jRbjT5_S1E_jjP12ihipStream_tbEUljE_ZNSN_ISO_Lb1ESQ_SR_ST_SU_SY_EESZ_S10_S11_S12_S16_S17_S18_S1B_S1C_jS1D_jS1E_S1E_jjS1G_bEUljE0_EEESZ_S10_S11_S18_S1C_S1E_T6_T7_T9_mT8_S1G_bDpT10_ENKUlT_T0_E_clISt17integral_constantIbLb1EES1T_IbLb0EEEEDaS1P_S1Q_EUlS1P_E_NS1_11comp_targetILNS1_3genE0ELNS1_11target_archE4294967295ELNS1_3gpuE0ELNS1_3repE0EEENS1_30default_config_static_selectorELNS0_4arch9wavefront6targetE0EEEvS12_,@function
_ZN7rocprim17ROCPRIM_400000_NS6detail17trampoline_kernelINS0_13select_configILj256ELj13ELNS0_17block_load_methodE3ELS4_3ELS4_3ELNS0_20block_scan_algorithmE0ELj4294967295EEENS1_25partition_config_selectorILNS1_17partition_subalgoE4EjNS0_10empty_typeEbEEZZNS1_14partition_implILS8_4ELb0ES6_15HIP_vector_typeIjLj2EENS0_17counting_iteratorIjlEEPS9_SG_NS0_5tupleIJPjSI_NS0_16reverse_iteratorISI_EEEEENSH_IJSG_SG_SG_EEES9_SI_JZNS1_25segmented_radix_sort_implINS0_14default_configELb1EPKdPdPKlPlN2at6native12_GLOBAL__N_18offset_tEEE10hipError_tPvRmT1_PNSt15iterator_traitsIS12_E10value_typeET2_T3_PNS13_IS18_E10value_typeET4_jRbjT5_S1E_jjP12ihipStream_tbEUljE_ZNSN_ISO_Lb1ESQ_SR_ST_SU_SY_EESZ_S10_S11_S12_S16_S17_S18_S1B_S1C_jS1D_jS1E_S1E_jjS1G_bEUljE0_EEESZ_S10_S11_S18_S1C_S1E_T6_T7_T9_mT8_S1G_bDpT10_ENKUlT_T0_E_clISt17integral_constantIbLb1EES1T_IbLb0EEEEDaS1P_S1Q_EUlS1P_E_NS1_11comp_targetILNS1_3genE0ELNS1_11target_archE4294967295ELNS1_3gpuE0ELNS1_3repE0EEENS1_30default_config_static_selectorELNS0_4arch9wavefront6targetE0EEEvS12_: ; @_ZN7rocprim17ROCPRIM_400000_NS6detail17trampoline_kernelINS0_13select_configILj256ELj13ELNS0_17block_load_methodE3ELS4_3ELS4_3ELNS0_20block_scan_algorithmE0ELj4294967295EEENS1_25partition_config_selectorILNS1_17partition_subalgoE4EjNS0_10empty_typeEbEEZZNS1_14partition_implILS8_4ELb0ES6_15HIP_vector_typeIjLj2EENS0_17counting_iteratorIjlEEPS9_SG_NS0_5tupleIJPjSI_NS0_16reverse_iteratorISI_EEEEENSH_IJSG_SG_SG_EEES9_SI_JZNS1_25segmented_radix_sort_implINS0_14default_configELb1EPKdPdPKlPlN2at6native12_GLOBAL__N_18offset_tEEE10hipError_tPvRmT1_PNSt15iterator_traitsIS12_E10value_typeET2_T3_PNS13_IS18_E10value_typeET4_jRbjT5_S1E_jjP12ihipStream_tbEUljE_ZNSN_ISO_Lb1ESQ_SR_ST_SU_SY_EESZ_S10_S11_S12_S16_S17_S18_S1B_S1C_jS1D_jS1E_S1E_jjS1G_bEUljE0_EEESZ_S10_S11_S18_S1C_S1E_T6_T7_T9_mT8_S1G_bDpT10_ENKUlT_T0_E_clISt17integral_constantIbLb1EES1T_IbLb0EEEEDaS1P_S1Q_EUlS1P_E_NS1_11comp_targetILNS1_3genE0ELNS1_11target_archE4294967295ELNS1_3gpuE0ELNS1_3repE0EEENS1_30default_config_static_selectorELNS0_4arch9wavefront6targetE0EEEvS12_
; %bb.0:
	s_endpgm
	.section	.rodata,"a",@progbits
	.p2align	6, 0x0
	.amdhsa_kernel _ZN7rocprim17ROCPRIM_400000_NS6detail17trampoline_kernelINS0_13select_configILj256ELj13ELNS0_17block_load_methodE3ELS4_3ELS4_3ELNS0_20block_scan_algorithmE0ELj4294967295EEENS1_25partition_config_selectorILNS1_17partition_subalgoE4EjNS0_10empty_typeEbEEZZNS1_14partition_implILS8_4ELb0ES6_15HIP_vector_typeIjLj2EENS0_17counting_iteratorIjlEEPS9_SG_NS0_5tupleIJPjSI_NS0_16reverse_iteratorISI_EEEEENSH_IJSG_SG_SG_EEES9_SI_JZNS1_25segmented_radix_sort_implINS0_14default_configELb1EPKdPdPKlPlN2at6native12_GLOBAL__N_18offset_tEEE10hipError_tPvRmT1_PNSt15iterator_traitsIS12_E10value_typeET2_T3_PNS13_IS18_E10value_typeET4_jRbjT5_S1E_jjP12ihipStream_tbEUljE_ZNSN_ISO_Lb1ESQ_SR_ST_SU_SY_EESZ_S10_S11_S12_S16_S17_S18_S1B_S1C_jS1D_jS1E_S1E_jjS1G_bEUljE0_EEESZ_S10_S11_S18_S1C_S1E_T6_T7_T9_mT8_S1G_bDpT10_ENKUlT_T0_E_clISt17integral_constantIbLb1EES1T_IbLb0EEEEDaS1P_S1Q_EUlS1P_E_NS1_11comp_targetILNS1_3genE0ELNS1_11target_archE4294967295ELNS1_3gpuE0ELNS1_3repE0EEENS1_30default_config_static_selectorELNS0_4arch9wavefront6targetE0EEEvS12_
		.amdhsa_group_segment_fixed_size 0
		.amdhsa_private_segment_fixed_size 0
		.amdhsa_kernarg_size 176
		.amdhsa_user_sgpr_count 2
		.amdhsa_user_sgpr_dispatch_ptr 0
		.amdhsa_user_sgpr_queue_ptr 0
		.amdhsa_user_sgpr_kernarg_segment_ptr 1
		.amdhsa_user_sgpr_dispatch_id 0
		.amdhsa_user_sgpr_kernarg_preload_length 0
		.amdhsa_user_sgpr_kernarg_preload_offset 0
		.amdhsa_user_sgpr_private_segment_size 0
		.amdhsa_wavefront_size32 1
		.amdhsa_uses_dynamic_stack 0
		.amdhsa_enable_private_segment 0
		.amdhsa_system_sgpr_workgroup_id_x 1
		.amdhsa_system_sgpr_workgroup_id_y 0
		.amdhsa_system_sgpr_workgroup_id_z 0
		.amdhsa_system_sgpr_workgroup_info 0
		.amdhsa_system_vgpr_workitem_id 0
		.amdhsa_next_free_vgpr 1
		.amdhsa_next_free_sgpr 1
		.amdhsa_named_barrier_count 0
		.amdhsa_reserve_vcc 0
		.amdhsa_float_round_mode_32 0
		.amdhsa_float_round_mode_16_64 0
		.amdhsa_float_denorm_mode_32 3
		.amdhsa_float_denorm_mode_16_64 3
		.amdhsa_fp16_overflow 0
		.amdhsa_memory_ordered 1
		.amdhsa_forward_progress 1
		.amdhsa_inst_pref_size 1
		.amdhsa_round_robin_scheduling 0
		.amdhsa_exception_fp_ieee_invalid_op 0
		.amdhsa_exception_fp_denorm_src 0
		.amdhsa_exception_fp_ieee_div_zero 0
		.amdhsa_exception_fp_ieee_overflow 0
		.amdhsa_exception_fp_ieee_underflow 0
		.amdhsa_exception_fp_ieee_inexact 0
		.amdhsa_exception_int_div_zero 0
	.end_amdhsa_kernel
	.section	.text._ZN7rocprim17ROCPRIM_400000_NS6detail17trampoline_kernelINS0_13select_configILj256ELj13ELNS0_17block_load_methodE3ELS4_3ELS4_3ELNS0_20block_scan_algorithmE0ELj4294967295EEENS1_25partition_config_selectorILNS1_17partition_subalgoE4EjNS0_10empty_typeEbEEZZNS1_14partition_implILS8_4ELb0ES6_15HIP_vector_typeIjLj2EENS0_17counting_iteratorIjlEEPS9_SG_NS0_5tupleIJPjSI_NS0_16reverse_iteratorISI_EEEEENSH_IJSG_SG_SG_EEES9_SI_JZNS1_25segmented_radix_sort_implINS0_14default_configELb1EPKdPdPKlPlN2at6native12_GLOBAL__N_18offset_tEEE10hipError_tPvRmT1_PNSt15iterator_traitsIS12_E10value_typeET2_T3_PNS13_IS18_E10value_typeET4_jRbjT5_S1E_jjP12ihipStream_tbEUljE_ZNSN_ISO_Lb1ESQ_SR_ST_SU_SY_EESZ_S10_S11_S12_S16_S17_S18_S1B_S1C_jS1D_jS1E_S1E_jjS1G_bEUljE0_EEESZ_S10_S11_S18_S1C_S1E_T6_T7_T9_mT8_S1G_bDpT10_ENKUlT_T0_E_clISt17integral_constantIbLb1EES1T_IbLb0EEEEDaS1P_S1Q_EUlS1P_E_NS1_11comp_targetILNS1_3genE0ELNS1_11target_archE4294967295ELNS1_3gpuE0ELNS1_3repE0EEENS1_30default_config_static_selectorELNS0_4arch9wavefront6targetE0EEEvS12_,"axG",@progbits,_ZN7rocprim17ROCPRIM_400000_NS6detail17trampoline_kernelINS0_13select_configILj256ELj13ELNS0_17block_load_methodE3ELS4_3ELS4_3ELNS0_20block_scan_algorithmE0ELj4294967295EEENS1_25partition_config_selectorILNS1_17partition_subalgoE4EjNS0_10empty_typeEbEEZZNS1_14partition_implILS8_4ELb0ES6_15HIP_vector_typeIjLj2EENS0_17counting_iteratorIjlEEPS9_SG_NS0_5tupleIJPjSI_NS0_16reverse_iteratorISI_EEEEENSH_IJSG_SG_SG_EEES9_SI_JZNS1_25segmented_radix_sort_implINS0_14default_configELb1EPKdPdPKlPlN2at6native12_GLOBAL__N_18offset_tEEE10hipError_tPvRmT1_PNSt15iterator_traitsIS12_E10value_typeET2_T3_PNS13_IS18_E10value_typeET4_jRbjT5_S1E_jjP12ihipStream_tbEUljE_ZNSN_ISO_Lb1ESQ_SR_ST_SU_SY_EESZ_S10_S11_S12_S16_S17_S18_S1B_S1C_jS1D_jS1E_S1E_jjS1G_bEUljE0_EEESZ_S10_S11_S18_S1C_S1E_T6_T7_T9_mT8_S1G_bDpT10_ENKUlT_T0_E_clISt17integral_constantIbLb1EES1T_IbLb0EEEEDaS1P_S1Q_EUlS1P_E_NS1_11comp_targetILNS1_3genE0ELNS1_11target_archE4294967295ELNS1_3gpuE0ELNS1_3repE0EEENS1_30default_config_static_selectorELNS0_4arch9wavefront6targetE0EEEvS12_,comdat
.Lfunc_end1064:
	.size	_ZN7rocprim17ROCPRIM_400000_NS6detail17trampoline_kernelINS0_13select_configILj256ELj13ELNS0_17block_load_methodE3ELS4_3ELS4_3ELNS0_20block_scan_algorithmE0ELj4294967295EEENS1_25partition_config_selectorILNS1_17partition_subalgoE4EjNS0_10empty_typeEbEEZZNS1_14partition_implILS8_4ELb0ES6_15HIP_vector_typeIjLj2EENS0_17counting_iteratorIjlEEPS9_SG_NS0_5tupleIJPjSI_NS0_16reverse_iteratorISI_EEEEENSH_IJSG_SG_SG_EEES9_SI_JZNS1_25segmented_radix_sort_implINS0_14default_configELb1EPKdPdPKlPlN2at6native12_GLOBAL__N_18offset_tEEE10hipError_tPvRmT1_PNSt15iterator_traitsIS12_E10value_typeET2_T3_PNS13_IS18_E10value_typeET4_jRbjT5_S1E_jjP12ihipStream_tbEUljE_ZNSN_ISO_Lb1ESQ_SR_ST_SU_SY_EESZ_S10_S11_S12_S16_S17_S18_S1B_S1C_jS1D_jS1E_S1E_jjS1G_bEUljE0_EEESZ_S10_S11_S18_S1C_S1E_T6_T7_T9_mT8_S1G_bDpT10_ENKUlT_T0_E_clISt17integral_constantIbLb1EES1T_IbLb0EEEEDaS1P_S1Q_EUlS1P_E_NS1_11comp_targetILNS1_3genE0ELNS1_11target_archE4294967295ELNS1_3gpuE0ELNS1_3repE0EEENS1_30default_config_static_selectorELNS0_4arch9wavefront6targetE0EEEvS12_, .Lfunc_end1064-_ZN7rocprim17ROCPRIM_400000_NS6detail17trampoline_kernelINS0_13select_configILj256ELj13ELNS0_17block_load_methodE3ELS4_3ELS4_3ELNS0_20block_scan_algorithmE0ELj4294967295EEENS1_25partition_config_selectorILNS1_17partition_subalgoE4EjNS0_10empty_typeEbEEZZNS1_14partition_implILS8_4ELb0ES6_15HIP_vector_typeIjLj2EENS0_17counting_iteratorIjlEEPS9_SG_NS0_5tupleIJPjSI_NS0_16reverse_iteratorISI_EEEEENSH_IJSG_SG_SG_EEES9_SI_JZNS1_25segmented_radix_sort_implINS0_14default_configELb1EPKdPdPKlPlN2at6native12_GLOBAL__N_18offset_tEEE10hipError_tPvRmT1_PNSt15iterator_traitsIS12_E10value_typeET2_T3_PNS13_IS18_E10value_typeET4_jRbjT5_S1E_jjP12ihipStream_tbEUljE_ZNSN_ISO_Lb1ESQ_SR_ST_SU_SY_EESZ_S10_S11_S12_S16_S17_S18_S1B_S1C_jS1D_jS1E_S1E_jjS1G_bEUljE0_EEESZ_S10_S11_S18_S1C_S1E_T6_T7_T9_mT8_S1G_bDpT10_ENKUlT_T0_E_clISt17integral_constantIbLb1EES1T_IbLb0EEEEDaS1P_S1Q_EUlS1P_E_NS1_11comp_targetILNS1_3genE0ELNS1_11target_archE4294967295ELNS1_3gpuE0ELNS1_3repE0EEENS1_30default_config_static_selectorELNS0_4arch9wavefront6targetE0EEEvS12_
                                        ; -- End function
	.set _ZN7rocprim17ROCPRIM_400000_NS6detail17trampoline_kernelINS0_13select_configILj256ELj13ELNS0_17block_load_methodE3ELS4_3ELS4_3ELNS0_20block_scan_algorithmE0ELj4294967295EEENS1_25partition_config_selectorILNS1_17partition_subalgoE4EjNS0_10empty_typeEbEEZZNS1_14partition_implILS8_4ELb0ES6_15HIP_vector_typeIjLj2EENS0_17counting_iteratorIjlEEPS9_SG_NS0_5tupleIJPjSI_NS0_16reverse_iteratorISI_EEEEENSH_IJSG_SG_SG_EEES9_SI_JZNS1_25segmented_radix_sort_implINS0_14default_configELb1EPKdPdPKlPlN2at6native12_GLOBAL__N_18offset_tEEE10hipError_tPvRmT1_PNSt15iterator_traitsIS12_E10value_typeET2_T3_PNS13_IS18_E10value_typeET4_jRbjT5_S1E_jjP12ihipStream_tbEUljE_ZNSN_ISO_Lb1ESQ_SR_ST_SU_SY_EESZ_S10_S11_S12_S16_S17_S18_S1B_S1C_jS1D_jS1E_S1E_jjS1G_bEUljE0_EEESZ_S10_S11_S18_S1C_S1E_T6_T7_T9_mT8_S1G_bDpT10_ENKUlT_T0_E_clISt17integral_constantIbLb1EES1T_IbLb0EEEEDaS1P_S1Q_EUlS1P_E_NS1_11comp_targetILNS1_3genE0ELNS1_11target_archE4294967295ELNS1_3gpuE0ELNS1_3repE0EEENS1_30default_config_static_selectorELNS0_4arch9wavefront6targetE0EEEvS12_.num_vgpr, 0
	.set _ZN7rocprim17ROCPRIM_400000_NS6detail17trampoline_kernelINS0_13select_configILj256ELj13ELNS0_17block_load_methodE3ELS4_3ELS4_3ELNS0_20block_scan_algorithmE0ELj4294967295EEENS1_25partition_config_selectorILNS1_17partition_subalgoE4EjNS0_10empty_typeEbEEZZNS1_14partition_implILS8_4ELb0ES6_15HIP_vector_typeIjLj2EENS0_17counting_iteratorIjlEEPS9_SG_NS0_5tupleIJPjSI_NS0_16reverse_iteratorISI_EEEEENSH_IJSG_SG_SG_EEES9_SI_JZNS1_25segmented_radix_sort_implINS0_14default_configELb1EPKdPdPKlPlN2at6native12_GLOBAL__N_18offset_tEEE10hipError_tPvRmT1_PNSt15iterator_traitsIS12_E10value_typeET2_T3_PNS13_IS18_E10value_typeET4_jRbjT5_S1E_jjP12ihipStream_tbEUljE_ZNSN_ISO_Lb1ESQ_SR_ST_SU_SY_EESZ_S10_S11_S12_S16_S17_S18_S1B_S1C_jS1D_jS1E_S1E_jjS1G_bEUljE0_EEESZ_S10_S11_S18_S1C_S1E_T6_T7_T9_mT8_S1G_bDpT10_ENKUlT_T0_E_clISt17integral_constantIbLb1EES1T_IbLb0EEEEDaS1P_S1Q_EUlS1P_E_NS1_11comp_targetILNS1_3genE0ELNS1_11target_archE4294967295ELNS1_3gpuE0ELNS1_3repE0EEENS1_30default_config_static_selectorELNS0_4arch9wavefront6targetE0EEEvS12_.num_agpr, 0
	.set _ZN7rocprim17ROCPRIM_400000_NS6detail17trampoline_kernelINS0_13select_configILj256ELj13ELNS0_17block_load_methodE3ELS4_3ELS4_3ELNS0_20block_scan_algorithmE0ELj4294967295EEENS1_25partition_config_selectorILNS1_17partition_subalgoE4EjNS0_10empty_typeEbEEZZNS1_14partition_implILS8_4ELb0ES6_15HIP_vector_typeIjLj2EENS0_17counting_iteratorIjlEEPS9_SG_NS0_5tupleIJPjSI_NS0_16reverse_iteratorISI_EEEEENSH_IJSG_SG_SG_EEES9_SI_JZNS1_25segmented_radix_sort_implINS0_14default_configELb1EPKdPdPKlPlN2at6native12_GLOBAL__N_18offset_tEEE10hipError_tPvRmT1_PNSt15iterator_traitsIS12_E10value_typeET2_T3_PNS13_IS18_E10value_typeET4_jRbjT5_S1E_jjP12ihipStream_tbEUljE_ZNSN_ISO_Lb1ESQ_SR_ST_SU_SY_EESZ_S10_S11_S12_S16_S17_S18_S1B_S1C_jS1D_jS1E_S1E_jjS1G_bEUljE0_EEESZ_S10_S11_S18_S1C_S1E_T6_T7_T9_mT8_S1G_bDpT10_ENKUlT_T0_E_clISt17integral_constantIbLb1EES1T_IbLb0EEEEDaS1P_S1Q_EUlS1P_E_NS1_11comp_targetILNS1_3genE0ELNS1_11target_archE4294967295ELNS1_3gpuE0ELNS1_3repE0EEENS1_30default_config_static_selectorELNS0_4arch9wavefront6targetE0EEEvS12_.numbered_sgpr, 0
	.set _ZN7rocprim17ROCPRIM_400000_NS6detail17trampoline_kernelINS0_13select_configILj256ELj13ELNS0_17block_load_methodE3ELS4_3ELS4_3ELNS0_20block_scan_algorithmE0ELj4294967295EEENS1_25partition_config_selectorILNS1_17partition_subalgoE4EjNS0_10empty_typeEbEEZZNS1_14partition_implILS8_4ELb0ES6_15HIP_vector_typeIjLj2EENS0_17counting_iteratorIjlEEPS9_SG_NS0_5tupleIJPjSI_NS0_16reverse_iteratorISI_EEEEENSH_IJSG_SG_SG_EEES9_SI_JZNS1_25segmented_radix_sort_implINS0_14default_configELb1EPKdPdPKlPlN2at6native12_GLOBAL__N_18offset_tEEE10hipError_tPvRmT1_PNSt15iterator_traitsIS12_E10value_typeET2_T3_PNS13_IS18_E10value_typeET4_jRbjT5_S1E_jjP12ihipStream_tbEUljE_ZNSN_ISO_Lb1ESQ_SR_ST_SU_SY_EESZ_S10_S11_S12_S16_S17_S18_S1B_S1C_jS1D_jS1E_S1E_jjS1G_bEUljE0_EEESZ_S10_S11_S18_S1C_S1E_T6_T7_T9_mT8_S1G_bDpT10_ENKUlT_T0_E_clISt17integral_constantIbLb1EES1T_IbLb0EEEEDaS1P_S1Q_EUlS1P_E_NS1_11comp_targetILNS1_3genE0ELNS1_11target_archE4294967295ELNS1_3gpuE0ELNS1_3repE0EEENS1_30default_config_static_selectorELNS0_4arch9wavefront6targetE0EEEvS12_.num_named_barrier, 0
	.set _ZN7rocprim17ROCPRIM_400000_NS6detail17trampoline_kernelINS0_13select_configILj256ELj13ELNS0_17block_load_methodE3ELS4_3ELS4_3ELNS0_20block_scan_algorithmE0ELj4294967295EEENS1_25partition_config_selectorILNS1_17partition_subalgoE4EjNS0_10empty_typeEbEEZZNS1_14partition_implILS8_4ELb0ES6_15HIP_vector_typeIjLj2EENS0_17counting_iteratorIjlEEPS9_SG_NS0_5tupleIJPjSI_NS0_16reverse_iteratorISI_EEEEENSH_IJSG_SG_SG_EEES9_SI_JZNS1_25segmented_radix_sort_implINS0_14default_configELb1EPKdPdPKlPlN2at6native12_GLOBAL__N_18offset_tEEE10hipError_tPvRmT1_PNSt15iterator_traitsIS12_E10value_typeET2_T3_PNS13_IS18_E10value_typeET4_jRbjT5_S1E_jjP12ihipStream_tbEUljE_ZNSN_ISO_Lb1ESQ_SR_ST_SU_SY_EESZ_S10_S11_S12_S16_S17_S18_S1B_S1C_jS1D_jS1E_S1E_jjS1G_bEUljE0_EEESZ_S10_S11_S18_S1C_S1E_T6_T7_T9_mT8_S1G_bDpT10_ENKUlT_T0_E_clISt17integral_constantIbLb1EES1T_IbLb0EEEEDaS1P_S1Q_EUlS1P_E_NS1_11comp_targetILNS1_3genE0ELNS1_11target_archE4294967295ELNS1_3gpuE0ELNS1_3repE0EEENS1_30default_config_static_selectorELNS0_4arch9wavefront6targetE0EEEvS12_.private_seg_size, 0
	.set _ZN7rocprim17ROCPRIM_400000_NS6detail17trampoline_kernelINS0_13select_configILj256ELj13ELNS0_17block_load_methodE3ELS4_3ELS4_3ELNS0_20block_scan_algorithmE0ELj4294967295EEENS1_25partition_config_selectorILNS1_17partition_subalgoE4EjNS0_10empty_typeEbEEZZNS1_14partition_implILS8_4ELb0ES6_15HIP_vector_typeIjLj2EENS0_17counting_iteratorIjlEEPS9_SG_NS0_5tupleIJPjSI_NS0_16reverse_iteratorISI_EEEEENSH_IJSG_SG_SG_EEES9_SI_JZNS1_25segmented_radix_sort_implINS0_14default_configELb1EPKdPdPKlPlN2at6native12_GLOBAL__N_18offset_tEEE10hipError_tPvRmT1_PNSt15iterator_traitsIS12_E10value_typeET2_T3_PNS13_IS18_E10value_typeET4_jRbjT5_S1E_jjP12ihipStream_tbEUljE_ZNSN_ISO_Lb1ESQ_SR_ST_SU_SY_EESZ_S10_S11_S12_S16_S17_S18_S1B_S1C_jS1D_jS1E_S1E_jjS1G_bEUljE0_EEESZ_S10_S11_S18_S1C_S1E_T6_T7_T9_mT8_S1G_bDpT10_ENKUlT_T0_E_clISt17integral_constantIbLb1EES1T_IbLb0EEEEDaS1P_S1Q_EUlS1P_E_NS1_11comp_targetILNS1_3genE0ELNS1_11target_archE4294967295ELNS1_3gpuE0ELNS1_3repE0EEENS1_30default_config_static_selectorELNS0_4arch9wavefront6targetE0EEEvS12_.uses_vcc, 0
	.set _ZN7rocprim17ROCPRIM_400000_NS6detail17trampoline_kernelINS0_13select_configILj256ELj13ELNS0_17block_load_methodE3ELS4_3ELS4_3ELNS0_20block_scan_algorithmE0ELj4294967295EEENS1_25partition_config_selectorILNS1_17partition_subalgoE4EjNS0_10empty_typeEbEEZZNS1_14partition_implILS8_4ELb0ES6_15HIP_vector_typeIjLj2EENS0_17counting_iteratorIjlEEPS9_SG_NS0_5tupleIJPjSI_NS0_16reverse_iteratorISI_EEEEENSH_IJSG_SG_SG_EEES9_SI_JZNS1_25segmented_radix_sort_implINS0_14default_configELb1EPKdPdPKlPlN2at6native12_GLOBAL__N_18offset_tEEE10hipError_tPvRmT1_PNSt15iterator_traitsIS12_E10value_typeET2_T3_PNS13_IS18_E10value_typeET4_jRbjT5_S1E_jjP12ihipStream_tbEUljE_ZNSN_ISO_Lb1ESQ_SR_ST_SU_SY_EESZ_S10_S11_S12_S16_S17_S18_S1B_S1C_jS1D_jS1E_S1E_jjS1G_bEUljE0_EEESZ_S10_S11_S18_S1C_S1E_T6_T7_T9_mT8_S1G_bDpT10_ENKUlT_T0_E_clISt17integral_constantIbLb1EES1T_IbLb0EEEEDaS1P_S1Q_EUlS1P_E_NS1_11comp_targetILNS1_3genE0ELNS1_11target_archE4294967295ELNS1_3gpuE0ELNS1_3repE0EEENS1_30default_config_static_selectorELNS0_4arch9wavefront6targetE0EEEvS12_.uses_flat_scratch, 0
	.set _ZN7rocprim17ROCPRIM_400000_NS6detail17trampoline_kernelINS0_13select_configILj256ELj13ELNS0_17block_load_methodE3ELS4_3ELS4_3ELNS0_20block_scan_algorithmE0ELj4294967295EEENS1_25partition_config_selectorILNS1_17partition_subalgoE4EjNS0_10empty_typeEbEEZZNS1_14partition_implILS8_4ELb0ES6_15HIP_vector_typeIjLj2EENS0_17counting_iteratorIjlEEPS9_SG_NS0_5tupleIJPjSI_NS0_16reverse_iteratorISI_EEEEENSH_IJSG_SG_SG_EEES9_SI_JZNS1_25segmented_radix_sort_implINS0_14default_configELb1EPKdPdPKlPlN2at6native12_GLOBAL__N_18offset_tEEE10hipError_tPvRmT1_PNSt15iterator_traitsIS12_E10value_typeET2_T3_PNS13_IS18_E10value_typeET4_jRbjT5_S1E_jjP12ihipStream_tbEUljE_ZNSN_ISO_Lb1ESQ_SR_ST_SU_SY_EESZ_S10_S11_S12_S16_S17_S18_S1B_S1C_jS1D_jS1E_S1E_jjS1G_bEUljE0_EEESZ_S10_S11_S18_S1C_S1E_T6_T7_T9_mT8_S1G_bDpT10_ENKUlT_T0_E_clISt17integral_constantIbLb1EES1T_IbLb0EEEEDaS1P_S1Q_EUlS1P_E_NS1_11comp_targetILNS1_3genE0ELNS1_11target_archE4294967295ELNS1_3gpuE0ELNS1_3repE0EEENS1_30default_config_static_selectorELNS0_4arch9wavefront6targetE0EEEvS12_.has_dyn_sized_stack, 0
	.set _ZN7rocprim17ROCPRIM_400000_NS6detail17trampoline_kernelINS0_13select_configILj256ELj13ELNS0_17block_load_methodE3ELS4_3ELS4_3ELNS0_20block_scan_algorithmE0ELj4294967295EEENS1_25partition_config_selectorILNS1_17partition_subalgoE4EjNS0_10empty_typeEbEEZZNS1_14partition_implILS8_4ELb0ES6_15HIP_vector_typeIjLj2EENS0_17counting_iteratorIjlEEPS9_SG_NS0_5tupleIJPjSI_NS0_16reverse_iteratorISI_EEEEENSH_IJSG_SG_SG_EEES9_SI_JZNS1_25segmented_radix_sort_implINS0_14default_configELb1EPKdPdPKlPlN2at6native12_GLOBAL__N_18offset_tEEE10hipError_tPvRmT1_PNSt15iterator_traitsIS12_E10value_typeET2_T3_PNS13_IS18_E10value_typeET4_jRbjT5_S1E_jjP12ihipStream_tbEUljE_ZNSN_ISO_Lb1ESQ_SR_ST_SU_SY_EESZ_S10_S11_S12_S16_S17_S18_S1B_S1C_jS1D_jS1E_S1E_jjS1G_bEUljE0_EEESZ_S10_S11_S18_S1C_S1E_T6_T7_T9_mT8_S1G_bDpT10_ENKUlT_T0_E_clISt17integral_constantIbLb1EES1T_IbLb0EEEEDaS1P_S1Q_EUlS1P_E_NS1_11comp_targetILNS1_3genE0ELNS1_11target_archE4294967295ELNS1_3gpuE0ELNS1_3repE0EEENS1_30default_config_static_selectorELNS0_4arch9wavefront6targetE0EEEvS12_.has_recursion, 0
	.set _ZN7rocprim17ROCPRIM_400000_NS6detail17trampoline_kernelINS0_13select_configILj256ELj13ELNS0_17block_load_methodE3ELS4_3ELS4_3ELNS0_20block_scan_algorithmE0ELj4294967295EEENS1_25partition_config_selectorILNS1_17partition_subalgoE4EjNS0_10empty_typeEbEEZZNS1_14partition_implILS8_4ELb0ES6_15HIP_vector_typeIjLj2EENS0_17counting_iteratorIjlEEPS9_SG_NS0_5tupleIJPjSI_NS0_16reverse_iteratorISI_EEEEENSH_IJSG_SG_SG_EEES9_SI_JZNS1_25segmented_radix_sort_implINS0_14default_configELb1EPKdPdPKlPlN2at6native12_GLOBAL__N_18offset_tEEE10hipError_tPvRmT1_PNSt15iterator_traitsIS12_E10value_typeET2_T3_PNS13_IS18_E10value_typeET4_jRbjT5_S1E_jjP12ihipStream_tbEUljE_ZNSN_ISO_Lb1ESQ_SR_ST_SU_SY_EESZ_S10_S11_S12_S16_S17_S18_S1B_S1C_jS1D_jS1E_S1E_jjS1G_bEUljE0_EEESZ_S10_S11_S18_S1C_S1E_T6_T7_T9_mT8_S1G_bDpT10_ENKUlT_T0_E_clISt17integral_constantIbLb1EES1T_IbLb0EEEEDaS1P_S1Q_EUlS1P_E_NS1_11comp_targetILNS1_3genE0ELNS1_11target_archE4294967295ELNS1_3gpuE0ELNS1_3repE0EEENS1_30default_config_static_selectorELNS0_4arch9wavefront6targetE0EEEvS12_.has_indirect_call, 0
	.section	.AMDGPU.csdata,"",@progbits
; Kernel info:
; codeLenInByte = 4
; TotalNumSgprs: 0
; NumVgprs: 0
; ScratchSize: 0
; MemoryBound: 0
; FloatMode: 240
; IeeeMode: 1
; LDSByteSize: 0 bytes/workgroup (compile time only)
; SGPRBlocks: 0
; VGPRBlocks: 0
; NumSGPRsForWavesPerEU: 1
; NumVGPRsForWavesPerEU: 1
; NamedBarCnt: 0
; Occupancy: 16
; WaveLimiterHint : 0
; COMPUTE_PGM_RSRC2:SCRATCH_EN: 0
; COMPUTE_PGM_RSRC2:USER_SGPR: 2
; COMPUTE_PGM_RSRC2:TRAP_HANDLER: 0
; COMPUTE_PGM_RSRC2:TGID_X_EN: 1
; COMPUTE_PGM_RSRC2:TGID_Y_EN: 0
; COMPUTE_PGM_RSRC2:TGID_Z_EN: 0
; COMPUTE_PGM_RSRC2:TIDIG_COMP_CNT: 0
	.section	.text._ZN7rocprim17ROCPRIM_400000_NS6detail17trampoline_kernelINS0_13select_configILj256ELj13ELNS0_17block_load_methodE3ELS4_3ELS4_3ELNS0_20block_scan_algorithmE0ELj4294967295EEENS1_25partition_config_selectorILNS1_17partition_subalgoE4EjNS0_10empty_typeEbEEZZNS1_14partition_implILS8_4ELb0ES6_15HIP_vector_typeIjLj2EENS0_17counting_iteratorIjlEEPS9_SG_NS0_5tupleIJPjSI_NS0_16reverse_iteratorISI_EEEEENSH_IJSG_SG_SG_EEES9_SI_JZNS1_25segmented_radix_sort_implINS0_14default_configELb1EPKdPdPKlPlN2at6native12_GLOBAL__N_18offset_tEEE10hipError_tPvRmT1_PNSt15iterator_traitsIS12_E10value_typeET2_T3_PNS13_IS18_E10value_typeET4_jRbjT5_S1E_jjP12ihipStream_tbEUljE_ZNSN_ISO_Lb1ESQ_SR_ST_SU_SY_EESZ_S10_S11_S12_S16_S17_S18_S1B_S1C_jS1D_jS1E_S1E_jjS1G_bEUljE0_EEESZ_S10_S11_S18_S1C_S1E_T6_T7_T9_mT8_S1G_bDpT10_ENKUlT_T0_E_clISt17integral_constantIbLb1EES1T_IbLb0EEEEDaS1P_S1Q_EUlS1P_E_NS1_11comp_targetILNS1_3genE5ELNS1_11target_archE942ELNS1_3gpuE9ELNS1_3repE0EEENS1_30default_config_static_selectorELNS0_4arch9wavefront6targetE0EEEvS12_,"axG",@progbits,_ZN7rocprim17ROCPRIM_400000_NS6detail17trampoline_kernelINS0_13select_configILj256ELj13ELNS0_17block_load_methodE3ELS4_3ELS4_3ELNS0_20block_scan_algorithmE0ELj4294967295EEENS1_25partition_config_selectorILNS1_17partition_subalgoE4EjNS0_10empty_typeEbEEZZNS1_14partition_implILS8_4ELb0ES6_15HIP_vector_typeIjLj2EENS0_17counting_iteratorIjlEEPS9_SG_NS0_5tupleIJPjSI_NS0_16reverse_iteratorISI_EEEEENSH_IJSG_SG_SG_EEES9_SI_JZNS1_25segmented_radix_sort_implINS0_14default_configELb1EPKdPdPKlPlN2at6native12_GLOBAL__N_18offset_tEEE10hipError_tPvRmT1_PNSt15iterator_traitsIS12_E10value_typeET2_T3_PNS13_IS18_E10value_typeET4_jRbjT5_S1E_jjP12ihipStream_tbEUljE_ZNSN_ISO_Lb1ESQ_SR_ST_SU_SY_EESZ_S10_S11_S12_S16_S17_S18_S1B_S1C_jS1D_jS1E_S1E_jjS1G_bEUljE0_EEESZ_S10_S11_S18_S1C_S1E_T6_T7_T9_mT8_S1G_bDpT10_ENKUlT_T0_E_clISt17integral_constantIbLb1EES1T_IbLb0EEEEDaS1P_S1Q_EUlS1P_E_NS1_11comp_targetILNS1_3genE5ELNS1_11target_archE942ELNS1_3gpuE9ELNS1_3repE0EEENS1_30default_config_static_selectorELNS0_4arch9wavefront6targetE0EEEvS12_,comdat
	.globl	_ZN7rocprim17ROCPRIM_400000_NS6detail17trampoline_kernelINS0_13select_configILj256ELj13ELNS0_17block_load_methodE3ELS4_3ELS4_3ELNS0_20block_scan_algorithmE0ELj4294967295EEENS1_25partition_config_selectorILNS1_17partition_subalgoE4EjNS0_10empty_typeEbEEZZNS1_14partition_implILS8_4ELb0ES6_15HIP_vector_typeIjLj2EENS0_17counting_iteratorIjlEEPS9_SG_NS0_5tupleIJPjSI_NS0_16reverse_iteratorISI_EEEEENSH_IJSG_SG_SG_EEES9_SI_JZNS1_25segmented_radix_sort_implINS0_14default_configELb1EPKdPdPKlPlN2at6native12_GLOBAL__N_18offset_tEEE10hipError_tPvRmT1_PNSt15iterator_traitsIS12_E10value_typeET2_T3_PNS13_IS18_E10value_typeET4_jRbjT5_S1E_jjP12ihipStream_tbEUljE_ZNSN_ISO_Lb1ESQ_SR_ST_SU_SY_EESZ_S10_S11_S12_S16_S17_S18_S1B_S1C_jS1D_jS1E_S1E_jjS1G_bEUljE0_EEESZ_S10_S11_S18_S1C_S1E_T6_T7_T9_mT8_S1G_bDpT10_ENKUlT_T0_E_clISt17integral_constantIbLb1EES1T_IbLb0EEEEDaS1P_S1Q_EUlS1P_E_NS1_11comp_targetILNS1_3genE5ELNS1_11target_archE942ELNS1_3gpuE9ELNS1_3repE0EEENS1_30default_config_static_selectorELNS0_4arch9wavefront6targetE0EEEvS12_ ; -- Begin function _ZN7rocprim17ROCPRIM_400000_NS6detail17trampoline_kernelINS0_13select_configILj256ELj13ELNS0_17block_load_methodE3ELS4_3ELS4_3ELNS0_20block_scan_algorithmE0ELj4294967295EEENS1_25partition_config_selectorILNS1_17partition_subalgoE4EjNS0_10empty_typeEbEEZZNS1_14partition_implILS8_4ELb0ES6_15HIP_vector_typeIjLj2EENS0_17counting_iteratorIjlEEPS9_SG_NS0_5tupleIJPjSI_NS0_16reverse_iteratorISI_EEEEENSH_IJSG_SG_SG_EEES9_SI_JZNS1_25segmented_radix_sort_implINS0_14default_configELb1EPKdPdPKlPlN2at6native12_GLOBAL__N_18offset_tEEE10hipError_tPvRmT1_PNSt15iterator_traitsIS12_E10value_typeET2_T3_PNS13_IS18_E10value_typeET4_jRbjT5_S1E_jjP12ihipStream_tbEUljE_ZNSN_ISO_Lb1ESQ_SR_ST_SU_SY_EESZ_S10_S11_S12_S16_S17_S18_S1B_S1C_jS1D_jS1E_S1E_jjS1G_bEUljE0_EEESZ_S10_S11_S18_S1C_S1E_T6_T7_T9_mT8_S1G_bDpT10_ENKUlT_T0_E_clISt17integral_constantIbLb1EES1T_IbLb0EEEEDaS1P_S1Q_EUlS1P_E_NS1_11comp_targetILNS1_3genE5ELNS1_11target_archE942ELNS1_3gpuE9ELNS1_3repE0EEENS1_30default_config_static_selectorELNS0_4arch9wavefront6targetE0EEEvS12_
	.p2align	8
	.type	_ZN7rocprim17ROCPRIM_400000_NS6detail17trampoline_kernelINS0_13select_configILj256ELj13ELNS0_17block_load_methodE3ELS4_3ELS4_3ELNS0_20block_scan_algorithmE0ELj4294967295EEENS1_25partition_config_selectorILNS1_17partition_subalgoE4EjNS0_10empty_typeEbEEZZNS1_14partition_implILS8_4ELb0ES6_15HIP_vector_typeIjLj2EENS0_17counting_iteratorIjlEEPS9_SG_NS0_5tupleIJPjSI_NS0_16reverse_iteratorISI_EEEEENSH_IJSG_SG_SG_EEES9_SI_JZNS1_25segmented_radix_sort_implINS0_14default_configELb1EPKdPdPKlPlN2at6native12_GLOBAL__N_18offset_tEEE10hipError_tPvRmT1_PNSt15iterator_traitsIS12_E10value_typeET2_T3_PNS13_IS18_E10value_typeET4_jRbjT5_S1E_jjP12ihipStream_tbEUljE_ZNSN_ISO_Lb1ESQ_SR_ST_SU_SY_EESZ_S10_S11_S12_S16_S17_S18_S1B_S1C_jS1D_jS1E_S1E_jjS1G_bEUljE0_EEESZ_S10_S11_S18_S1C_S1E_T6_T7_T9_mT8_S1G_bDpT10_ENKUlT_T0_E_clISt17integral_constantIbLb1EES1T_IbLb0EEEEDaS1P_S1Q_EUlS1P_E_NS1_11comp_targetILNS1_3genE5ELNS1_11target_archE942ELNS1_3gpuE9ELNS1_3repE0EEENS1_30default_config_static_selectorELNS0_4arch9wavefront6targetE0EEEvS12_,@function
_ZN7rocprim17ROCPRIM_400000_NS6detail17trampoline_kernelINS0_13select_configILj256ELj13ELNS0_17block_load_methodE3ELS4_3ELS4_3ELNS0_20block_scan_algorithmE0ELj4294967295EEENS1_25partition_config_selectorILNS1_17partition_subalgoE4EjNS0_10empty_typeEbEEZZNS1_14partition_implILS8_4ELb0ES6_15HIP_vector_typeIjLj2EENS0_17counting_iteratorIjlEEPS9_SG_NS0_5tupleIJPjSI_NS0_16reverse_iteratorISI_EEEEENSH_IJSG_SG_SG_EEES9_SI_JZNS1_25segmented_radix_sort_implINS0_14default_configELb1EPKdPdPKlPlN2at6native12_GLOBAL__N_18offset_tEEE10hipError_tPvRmT1_PNSt15iterator_traitsIS12_E10value_typeET2_T3_PNS13_IS18_E10value_typeET4_jRbjT5_S1E_jjP12ihipStream_tbEUljE_ZNSN_ISO_Lb1ESQ_SR_ST_SU_SY_EESZ_S10_S11_S12_S16_S17_S18_S1B_S1C_jS1D_jS1E_S1E_jjS1G_bEUljE0_EEESZ_S10_S11_S18_S1C_S1E_T6_T7_T9_mT8_S1G_bDpT10_ENKUlT_T0_E_clISt17integral_constantIbLb1EES1T_IbLb0EEEEDaS1P_S1Q_EUlS1P_E_NS1_11comp_targetILNS1_3genE5ELNS1_11target_archE942ELNS1_3gpuE9ELNS1_3repE0EEENS1_30default_config_static_selectorELNS0_4arch9wavefront6targetE0EEEvS12_: ; @_ZN7rocprim17ROCPRIM_400000_NS6detail17trampoline_kernelINS0_13select_configILj256ELj13ELNS0_17block_load_methodE3ELS4_3ELS4_3ELNS0_20block_scan_algorithmE0ELj4294967295EEENS1_25partition_config_selectorILNS1_17partition_subalgoE4EjNS0_10empty_typeEbEEZZNS1_14partition_implILS8_4ELb0ES6_15HIP_vector_typeIjLj2EENS0_17counting_iteratorIjlEEPS9_SG_NS0_5tupleIJPjSI_NS0_16reverse_iteratorISI_EEEEENSH_IJSG_SG_SG_EEES9_SI_JZNS1_25segmented_radix_sort_implINS0_14default_configELb1EPKdPdPKlPlN2at6native12_GLOBAL__N_18offset_tEEE10hipError_tPvRmT1_PNSt15iterator_traitsIS12_E10value_typeET2_T3_PNS13_IS18_E10value_typeET4_jRbjT5_S1E_jjP12ihipStream_tbEUljE_ZNSN_ISO_Lb1ESQ_SR_ST_SU_SY_EESZ_S10_S11_S12_S16_S17_S18_S1B_S1C_jS1D_jS1E_S1E_jjS1G_bEUljE0_EEESZ_S10_S11_S18_S1C_S1E_T6_T7_T9_mT8_S1G_bDpT10_ENKUlT_T0_E_clISt17integral_constantIbLb1EES1T_IbLb0EEEEDaS1P_S1Q_EUlS1P_E_NS1_11comp_targetILNS1_3genE5ELNS1_11target_archE942ELNS1_3gpuE9ELNS1_3repE0EEENS1_30default_config_static_selectorELNS0_4arch9wavefront6targetE0EEEvS12_
; %bb.0:
	.section	.rodata,"a",@progbits
	.p2align	6, 0x0
	.amdhsa_kernel _ZN7rocprim17ROCPRIM_400000_NS6detail17trampoline_kernelINS0_13select_configILj256ELj13ELNS0_17block_load_methodE3ELS4_3ELS4_3ELNS0_20block_scan_algorithmE0ELj4294967295EEENS1_25partition_config_selectorILNS1_17partition_subalgoE4EjNS0_10empty_typeEbEEZZNS1_14partition_implILS8_4ELb0ES6_15HIP_vector_typeIjLj2EENS0_17counting_iteratorIjlEEPS9_SG_NS0_5tupleIJPjSI_NS0_16reverse_iteratorISI_EEEEENSH_IJSG_SG_SG_EEES9_SI_JZNS1_25segmented_radix_sort_implINS0_14default_configELb1EPKdPdPKlPlN2at6native12_GLOBAL__N_18offset_tEEE10hipError_tPvRmT1_PNSt15iterator_traitsIS12_E10value_typeET2_T3_PNS13_IS18_E10value_typeET4_jRbjT5_S1E_jjP12ihipStream_tbEUljE_ZNSN_ISO_Lb1ESQ_SR_ST_SU_SY_EESZ_S10_S11_S12_S16_S17_S18_S1B_S1C_jS1D_jS1E_S1E_jjS1G_bEUljE0_EEESZ_S10_S11_S18_S1C_S1E_T6_T7_T9_mT8_S1G_bDpT10_ENKUlT_T0_E_clISt17integral_constantIbLb1EES1T_IbLb0EEEEDaS1P_S1Q_EUlS1P_E_NS1_11comp_targetILNS1_3genE5ELNS1_11target_archE942ELNS1_3gpuE9ELNS1_3repE0EEENS1_30default_config_static_selectorELNS0_4arch9wavefront6targetE0EEEvS12_
		.amdhsa_group_segment_fixed_size 0
		.amdhsa_private_segment_fixed_size 0
		.amdhsa_kernarg_size 176
		.amdhsa_user_sgpr_count 2
		.amdhsa_user_sgpr_dispatch_ptr 0
		.amdhsa_user_sgpr_queue_ptr 0
		.amdhsa_user_sgpr_kernarg_segment_ptr 1
		.amdhsa_user_sgpr_dispatch_id 0
		.amdhsa_user_sgpr_kernarg_preload_length 0
		.amdhsa_user_sgpr_kernarg_preload_offset 0
		.amdhsa_user_sgpr_private_segment_size 0
		.amdhsa_wavefront_size32 1
		.amdhsa_uses_dynamic_stack 0
		.amdhsa_enable_private_segment 0
		.amdhsa_system_sgpr_workgroup_id_x 1
		.amdhsa_system_sgpr_workgroup_id_y 0
		.amdhsa_system_sgpr_workgroup_id_z 0
		.amdhsa_system_sgpr_workgroup_info 0
		.amdhsa_system_vgpr_workitem_id 0
		.amdhsa_next_free_vgpr 1
		.amdhsa_next_free_sgpr 1
		.amdhsa_named_barrier_count 0
		.amdhsa_reserve_vcc 0
		.amdhsa_float_round_mode_32 0
		.amdhsa_float_round_mode_16_64 0
		.amdhsa_float_denorm_mode_32 3
		.amdhsa_float_denorm_mode_16_64 3
		.amdhsa_fp16_overflow 0
		.amdhsa_memory_ordered 1
		.amdhsa_forward_progress 1
		.amdhsa_inst_pref_size 0
		.amdhsa_round_robin_scheduling 0
		.amdhsa_exception_fp_ieee_invalid_op 0
		.amdhsa_exception_fp_denorm_src 0
		.amdhsa_exception_fp_ieee_div_zero 0
		.amdhsa_exception_fp_ieee_overflow 0
		.amdhsa_exception_fp_ieee_underflow 0
		.amdhsa_exception_fp_ieee_inexact 0
		.amdhsa_exception_int_div_zero 0
	.end_amdhsa_kernel
	.section	.text._ZN7rocprim17ROCPRIM_400000_NS6detail17trampoline_kernelINS0_13select_configILj256ELj13ELNS0_17block_load_methodE3ELS4_3ELS4_3ELNS0_20block_scan_algorithmE0ELj4294967295EEENS1_25partition_config_selectorILNS1_17partition_subalgoE4EjNS0_10empty_typeEbEEZZNS1_14partition_implILS8_4ELb0ES6_15HIP_vector_typeIjLj2EENS0_17counting_iteratorIjlEEPS9_SG_NS0_5tupleIJPjSI_NS0_16reverse_iteratorISI_EEEEENSH_IJSG_SG_SG_EEES9_SI_JZNS1_25segmented_radix_sort_implINS0_14default_configELb1EPKdPdPKlPlN2at6native12_GLOBAL__N_18offset_tEEE10hipError_tPvRmT1_PNSt15iterator_traitsIS12_E10value_typeET2_T3_PNS13_IS18_E10value_typeET4_jRbjT5_S1E_jjP12ihipStream_tbEUljE_ZNSN_ISO_Lb1ESQ_SR_ST_SU_SY_EESZ_S10_S11_S12_S16_S17_S18_S1B_S1C_jS1D_jS1E_S1E_jjS1G_bEUljE0_EEESZ_S10_S11_S18_S1C_S1E_T6_T7_T9_mT8_S1G_bDpT10_ENKUlT_T0_E_clISt17integral_constantIbLb1EES1T_IbLb0EEEEDaS1P_S1Q_EUlS1P_E_NS1_11comp_targetILNS1_3genE5ELNS1_11target_archE942ELNS1_3gpuE9ELNS1_3repE0EEENS1_30default_config_static_selectorELNS0_4arch9wavefront6targetE0EEEvS12_,"axG",@progbits,_ZN7rocprim17ROCPRIM_400000_NS6detail17trampoline_kernelINS0_13select_configILj256ELj13ELNS0_17block_load_methodE3ELS4_3ELS4_3ELNS0_20block_scan_algorithmE0ELj4294967295EEENS1_25partition_config_selectorILNS1_17partition_subalgoE4EjNS0_10empty_typeEbEEZZNS1_14partition_implILS8_4ELb0ES6_15HIP_vector_typeIjLj2EENS0_17counting_iteratorIjlEEPS9_SG_NS0_5tupleIJPjSI_NS0_16reverse_iteratorISI_EEEEENSH_IJSG_SG_SG_EEES9_SI_JZNS1_25segmented_radix_sort_implINS0_14default_configELb1EPKdPdPKlPlN2at6native12_GLOBAL__N_18offset_tEEE10hipError_tPvRmT1_PNSt15iterator_traitsIS12_E10value_typeET2_T3_PNS13_IS18_E10value_typeET4_jRbjT5_S1E_jjP12ihipStream_tbEUljE_ZNSN_ISO_Lb1ESQ_SR_ST_SU_SY_EESZ_S10_S11_S12_S16_S17_S18_S1B_S1C_jS1D_jS1E_S1E_jjS1G_bEUljE0_EEESZ_S10_S11_S18_S1C_S1E_T6_T7_T9_mT8_S1G_bDpT10_ENKUlT_T0_E_clISt17integral_constantIbLb1EES1T_IbLb0EEEEDaS1P_S1Q_EUlS1P_E_NS1_11comp_targetILNS1_3genE5ELNS1_11target_archE942ELNS1_3gpuE9ELNS1_3repE0EEENS1_30default_config_static_selectorELNS0_4arch9wavefront6targetE0EEEvS12_,comdat
.Lfunc_end1065:
	.size	_ZN7rocprim17ROCPRIM_400000_NS6detail17trampoline_kernelINS0_13select_configILj256ELj13ELNS0_17block_load_methodE3ELS4_3ELS4_3ELNS0_20block_scan_algorithmE0ELj4294967295EEENS1_25partition_config_selectorILNS1_17partition_subalgoE4EjNS0_10empty_typeEbEEZZNS1_14partition_implILS8_4ELb0ES6_15HIP_vector_typeIjLj2EENS0_17counting_iteratorIjlEEPS9_SG_NS0_5tupleIJPjSI_NS0_16reverse_iteratorISI_EEEEENSH_IJSG_SG_SG_EEES9_SI_JZNS1_25segmented_radix_sort_implINS0_14default_configELb1EPKdPdPKlPlN2at6native12_GLOBAL__N_18offset_tEEE10hipError_tPvRmT1_PNSt15iterator_traitsIS12_E10value_typeET2_T3_PNS13_IS18_E10value_typeET4_jRbjT5_S1E_jjP12ihipStream_tbEUljE_ZNSN_ISO_Lb1ESQ_SR_ST_SU_SY_EESZ_S10_S11_S12_S16_S17_S18_S1B_S1C_jS1D_jS1E_S1E_jjS1G_bEUljE0_EEESZ_S10_S11_S18_S1C_S1E_T6_T7_T9_mT8_S1G_bDpT10_ENKUlT_T0_E_clISt17integral_constantIbLb1EES1T_IbLb0EEEEDaS1P_S1Q_EUlS1P_E_NS1_11comp_targetILNS1_3genE5ELNS1_11target_archE942ELNS1_3gpuE9ELNS1_3repE0EEENS1_30default_config_static_selectorELNS0_4arch9wavefront6targetE0EEEvS12_, .Lfunc_end1065-_ZN7rocprim17ROCPRIM_400000_NS6detail17trampoline_kernelINS0_13select_configILj256ELj13ELNS0_17block_load_methodE3ELS4_3ELS4_3ELNS0_20block_scan_algorithmE0ELj4294967295EEENS1_25partition_config_selectorILNS1_17partition_subalgoE4EjNS0_10empty_typeEbEEZZNS1_14partition_implILS8_4ELb0ES6_15HIP_vector_typeIjLj2EENS0_17counting_iteratorIjlEEPS9_SG_NS0_5tupleIJPjSI_NS0_16reverse_iteratorISI_EEEEENSH_IJSG_SG_SG_EEES9_SI_JZNS1_25segmented_radix_sort_implINS0_14default_configELb1EPKdPdPKlPlN2at6native12_GLOBAL__N_18offset_tEEE10hipError_tPvRmT1_PNSt15iterator_traitsIS12_E10value_typeET2_T3_PNS13_IS18_E10value_typeET4_jRbjT5_S1E_jjP12ihipStream_tbEUljE_ZNSN_ISO_Lb1ESQ_SR_ST_SU_SY_EESZ_S10_S11_S12_S16_S17_S18_S1B_S1C_jS1D_jS1E_S1E_jjS1G_bEUljE0_EEESZ_S10_S11_S18_S1C_S1E_T6_T7_T9_mT8_S1G_bDpT10_ENKUlT_T0_E_clISt17integral_constantIbLb1EES1T_IbLb0EEEEDaS1P_S1Q_EUlS1P_E_NS1_11comp_targetILNS1_3genE5ELNS1_11target_archE942ELNS1_3gpuE9ELNS1_3repE0EEENS1_30default_config_static_selectorELNS0_4arch9wavefront6targetE0EEEvS12_
                                        ; -- End function
	.set _ZN7rocprim17ROCPRIM_400000_NS6detail17trampoline_kernelINS0_13select_configILj256ELj13ELNS0_17block_load_methodE3ELS4_3ELS4_3ELNS0_20block_scan_algorithmE0ELj4294967295EEENS1_25partition_config_selectorILNS1_17partition_subalgoE4EjNS0_10empty_typeEbEEZZNS1_14partition_implILS8_4ELb0ES6_15HIP_vector_typeIjLj2EENS0_17counting_iteratorIjlEEPS9_SG_NS0_5tupleIJPjSI_NS0_16reverse_iteratorISI_EEEEENSH_IJSG_SG_SG_EEES9_SI_JZNS1_25segmented_radix_sort_implINS0_14default_configELb1EPKdPdPKlPlN2at6native12_GLOBAL__N_18offset_tEEE10hipError_tPvRmT1_PNSt15iterator_traitsIS12_E10value_typeET2_T3_PNS13_IS18_E10value_typeET4_jRbjT5_S1E_jjP12ihipStream_tbEUljE_ZNSN_ISO_Lb1ESQ_SR_ST_SU_SY_EESZ_S10_S11_S12_S16_S17_S18_S1B_S1C_jS1D_jS1E_S1E_jjS1G_bEUljE0_EEESZ_S10_S11_S18_S1C_S1E_T6_T7_T9_mT8_S1G_bDpT10_ENKUlT_T0_E_clISt17integral_constantIbLb1EES1T_IbLb0EEEEDaS1P_S1Q_EUlS1P_E_NS1_11comp_targetILNS1_3genE5ELNS1_11target_archE942ELNS1_3gpuE9ELNS1_3repE0EEENS1_30default_config_static_selectorELNS0_4arch9wavefront6targetE0EEEvS12_.num_vgpr, 0
	.set _ZN7rocprim17ROCPRIM_400000_NS6detail17trampoline_kernelINS0_13select_configILj256ELj13ELNS0_17block_load_methodE3ELS4_3ELS4_3ELNS0_20block_scan_algorithmE0ELj4294967295EEENS1_25partition_config_selectorILNS1_17partition_subalgoE4EjNS0_10empty_typeEbEEZZNS1_14partition_implILS8_4ELb0ES6_15HIP_vector_typeIjLj2EENS0_17counting_iteratorIjlEEPS9_SG_NS0_5tupleIJPjSI_NS0_16reverse_iteratorISI_EEEEENSH_IJSG_SG_SG_EEES9_SI_JZNS1_25segmented_radix_sort_implINS0_14default_configELb1EPKdPdPKlPlN2at6native12_GLOBAL__N_18offset_tEEE10hipError_tPvRmT1_PNSt15iterator_traitsIS12_E10value_typeET2_T3_PNS13_IS18_E10value_typeET4_jRbjT5_S1E_jjP12ihipStream_tbEUljE_ZNSN_ISO_Lb1ESQ_SR_ST_SU_SY_EESZ_S10_S11_S12_S16_S17_S18_S1B_S1C_jS1D_jS1E_S1E_jjS1G_bEUljE0_EEESZ_S10_S11_S18_S1C_S1E_T6_T7_T9_mT8_S1G_bDpT10_ENKUlT_T0_E_clISt17integral_constantIbLb1EES1T_IbLb0EEEEDaS1P_S1Q_EUlS1P_E_NS1_11comp_targetILNS1_3genE5ELNS1_11target_archE942ELNS1_3gpuE9ELNS1_3repE0EEENS1_30default_config_static_selectorELNS0_4arch9wavefront6targetE0EEEvS12_.num_agpr, 0
	.set _ZN7rocprim17ROCPRIM_400000_NS6detail17trampoline_kernelINS0_13select_configILj256ELj13ELNS0_17block_load_methodE3ELS4_3ELS4_3ELNS0_20block_scan_algorithmE0ELj4294967295EEENS1_25partition_config_selectorILNS1_17partition_subalgoE4EjNS0_10empty_typeEbEEZZNS1_14partition_implILS8_4ELb0ES6_15HIP_vector_typeIjLj2EENS0_17counting_iteratorIjlEEPS9_SG_NS0_5tupleIJPjSI_NS0_16reverse_iteratorISI_EEEEENSH_IJSG_SG_SG_EEES9_SI_JZNS1_25segmented_radix_sort_implINS0_14default_configELb1EPKdPdPKlPlN2at6native12_GLOBAL__N_18offset_tEEE10hipError_tPvRmT1_PNSt15iterator_traitsIS12_E10value_typeET2_T3_PNS13_IS18_E10value_typeET4_jRbjT5_S1E_jjP12ihipStream_tbEUljE_ZNSN_ISO_Lb1ESQ_SR_ST_SU_SY_EESZ_S10_S11_S12_S16_S17_S18_S1B_S1C_jS1D_jS1E_S1E_jjS1G_bEUljE0_EEESZ_S10_S11_S18_S1C_S1E_T6_T7_T9_mT8_S1G_bDpT10_ENKUlT_T0_E_clISt17integral_constantIbLb1EES1T_IbLb0EEEEDaS1P_S1Q_EUlS1P_E_NS1_11comp_targetILNS1_3genE5ELNS1_11target_archE942ELNS1_3gpuE9ELNS1_3repE0EEENS1_30default_config_static_selectorELNS0_4arch9wavefront6targetE0EEEvS12_.numbered_sgpr, 0
	.set _ZN7rocprim17ROCPRIM_400000_NS6detail17trampoline_kernelINS0_13select_configILj256ELj13ELNS0_17block_load_methodE3ELS4_3ELS4_3ELNS0_20block_scan_algorithmE0ELj4294967295EEENS1_25partition_config_selectorILNS1_17partition_subalgoE4EjNS0_10empty_typeEbEEZZNS1_14partition_implILS8_4ELb0ES6_15HIP_vector_typeIjLj2EENS0_17counting_iteratorIjlEEPS9_SG_NS0_5tupleIJPjSI_NS0_16reverse_iteratorISI_EEEEENSH_IJSG_SG_SG_EEES9_SI_JZNS1_25segmented_radix_sort_implINS0_14default_configELb1EPKdPdPKlPlN2at6native12_GLOBAL__N_18offset_tEEE10hipError_tPvRmT1_PNSt15iterator_traitsIS12_E10value_typeET2_T3_PNS13_IS18_E10value_typeET4_jRbjT5_S1E_jjP12ihipStream_tbEUljE_ZNSN_ISO_Lb1ESQ_SR_ST_SU_SY_EESZ_S10_S11_S12_S16_S17_S18_S1B_S1C_jS1D_jS1E_S1E_jjS1G_bEUljE0_EEESZ_S10_S11_S18_S1C_S1E_T6_T7_T9_mT8_S1G_bDpT10_ENKUlT_T0_E_clISt17integral_constantIbLb1EES1T_IbLb0EEEEDaS1P_S1Q_EUlS1P_E_NS1_11comp_targetILNS1_3genE5ELNS1_11target_archE942ELNS1_3gpuE9ELNS1_3repE0EEENS1_30default_config_static_selectorELNS0_4arch9wavefront6targetE0EEEvS12_.num_named_barrier, 0
	.set _ZN7rocprim17ROCPRIM_400000_NS6detail17trampoline_kernelINS0_13select_configILj256ELj13ELNS0_17block_load_methodE3ELS4_3ELS4_3ELNS0_20block_scan_algorithmE0ELj4294967295EEENS1_25partition_config_selectorILNS1_17partition_subalgoE4EjNS0_10empty_typeEbEEZZNS1_14partition_implILS8_4ELb0ES6_15HIP_vector_typeIjLj2EENS0_17counting_iteratorIjlEEPS9_SG_NS0_5tupleIJPjSI_NS0_16reverse_iteratorISI_EEEEENSH_IJSG_SG_SG_EEES9_SI_JZNS1_25segmented_radix_sort_implINS0_14default_configELb1EPKdPdPKlPlN2at6native12_GLOBAL__N_18offset_tEEE10hipError_tPvRmT1_PNSt15iterator_traitsIS12_E10value_typeET2_T3_PNS13_IS18_E10value_typeET4_jRbjT5_S1E_jjP12ihipStream_tbEUljE_ZNSN_ISO_Lb1ESQ_SR_ST_SU_SY_EESZ_S10_S11_S12_S16_S17_S18_S1B_S1C_jS1D_jS1E_S1E_jjS1G_bEUljE0_EEESZ_S10_S11_S18_S1C_S1E_T6_T7_T9_mT8_S1G_bDpT10_ENKUlT_T0_E_clISt17integral_constantIbLb1EES1T_IbLb0EEEEDaS1P_S1Q_EUlS1P_E_NS1_11comp_targetILNS1_3genE5ELNS1_11target_archE942ELNS1_3gpuE9ELNS1_3repE0EEENS1_30default_config_static_selectorELNS0_4arch9wavefront6targetE0EEEvS12_.private_seg_size, 0
	.set _ZN7rocprim17ROCPRIM_400000_NS6detail17trampoline_kernelINS0_13select_configILj256ELj13ELNS0_17block_load_methodE3ELS4_3ELS4_3ELNS0_20block_scan_algorithmE0ELj4294967295EEENS1_25partition_config_selectorILNS1_17partition_subalgoE4EjNS0_10empty_typeEbEEZZNS1_14partition_implILS8_4ELb0ES6_15HIP_vector_typeIjLj2EENS0_17counting_iteratorIjlEEPS9_SG_NS0_5tupleIJPjSI_NS0_16reverse_iteratorISI_EEEEENSH_IJSG_SG_SG_EEES9_SI_JZNS1_25segmented_radix_sort_implINS0_14default_configELb1EPKdPdPKlPlN2at6native12_GLOBAL__N_18offset_tEEE10hipError_tPvRmT1_PNSt15iterator_traitsIS12_E10value_typeET2_T3_PNS13_IS18_E10value_typeET4_jRbjT5_S1E_jjP12ihipStream_tbEUljE_ZNSN_ISO_Lb1ESQ_SR_ST_SU_SY_EESZ_S10_S11_S12_S16_S17_S18_S1B_S1C_jS1D_jS1E_S1E_jjS1G_bEUljE0_EEESZ_S10_S11_S18_S1C_S1E_T6_T7_T9_mT8_S1G_bDpT10_ENKUlT_T0_E_clISt17integral_constantIbLb1EES1T_IbLb0EEEEDaS1P_S1Q_EUlS1P_E_NS1_11comp_targetILNS1_3genE5ELNS1_11target_archE942ELNS1_3gpuE9ELNS1_3repE0EEENS1_30default_config_static_selectorELNS0_4arch9wavefront6targetE0EEEvS12_.uses_vcc, 0
	.set _ZN7rocprim17ROCPRIM_400000_NS6detail17trampoline_kernelINS0_13select_configILj256ELj13ELNS0_17block_load_methodE3ELS4_3ELS4_3ELNS0_20block_scan_algorithmE0ELj4294967295EEENS1_25partition_config_selectorILNS1_17partition_subalgoE4EjNS0_10empty_typeEbEEZZNS1_14partition_implILS8_4ELb0ES6_15HIP_vector_typeIjLj2EENS0_17counting_iteratorIjlEEPS9_SG_NS0_5tupleIJPjSI_NS0_16reverse_iteratorISI_EEEEENSH_IJSG_SG_SG_EEES9_SI_JZNS1_25segmented_radix_sort_implINS0_14default_configELb1EPKdPdPKlPlN2at6native12_GLOBAL__N_18offset_tEEE10hipError_tPvRmT1_PNSt15iterator_traitsIS12_E10value_typeET2_T3_PNS13_IS18_E10value_typeET4_jRbjT5_S1E_jjP12ihipStream_tbEUljE_ZNSN_ISO_Lb1ESQ_SR_ST_SU_SY_EESZ_S10_S11_S12_S16_S17_S18_S1B_S1C_jS1D_jS1E_S1E_jjS1G_bEUljE0_EEESZ_S10_S11_S18_S1C_S1E_T6_T7_T9_mT8_S1G_bDpT10_ENKUlT_T0_E_clISt17integral_constantIbLb1EES1T_IbLb0EEEEDaS1P_S1Q_EUlS1P_E_NS1_11comp_targetILNS1_3genE5ELNS1_11target_archE942ELNS1_3gpuE9ELNS1_3repE0EEENS1_30default_config_static_selectorELNS0_4arch9wavefront6targetE0EEEvS12_.uses_flat_scratch, 0
	.set _ZN7rocprim17ROCPRIM_400000_NS6detail17trampoline_kernelINS0_13select_configILj256ELj13ELNS0_17block_load_methodE3ELS4_3ELS4_3ELNS0_20block_scan_algorithmE0ELj4294967295EEENS1_25partition_config_selectorILNS1_17partition_subalgoE4EjNS0_10empty_typeEbEEZZNS1_14partition_implILS8_4ELb0ES6_15HIP_vector_typeIjLj2EENS0_17counting_iteratorIjlEEPS9_SG_NS0_5tupleIJPjSI_NS0_16reverse_iteratorISI_EEEEENSH_IJSG_SG_SG_EEES9_SI_JZNS1_25segmented_radix_sort_implINS0_14default_configELb1EPKdPdPKlPlN2at6native12_GLOBAL__N_18offset_tEEE10hipError_tPvRmT1_PNSt15iterator_traitsIS12_E10value_typeET2_T3_PNS13_IS18_E10value_typeET4_jRbjT5_S1E_jjP12ihipStream_tbEUljE_ZNSN_ISO_Lb1ESQ_SR_ST_SU_SY_EESZ_S10_S11_S12_S16_S17_S18_S1B_S1C_jS1D_jS1E_S1E_jjS1G_bEUljE0_EEESZ_S10_S11_S18_S1C_S1E_T6_T7_T9_mT8_S1G_bDpT10_ENKUlT_T0_E_clISt17integral_constantIbLb1EES1T_IbLb0EEEEDaS1P_S1Q_EUlS1P_E_NS1_11comp_targetILNS1_3genE5ELNS1_11target_archE942ELNS1_3gpuE9ELNS1_3repE0EEENS1_30default_config_static_selectorELNS0_4arch9wavefront6targetE0EEEvS12_.has_dyn_sized_stack, 0
	.set _ZN7rocprim17ROCPRIM_400000_NS6detail17trampoline_kernelINS0_13select_configILj256ELj13ELNS0_17block_load_methodE3ELS4_3ELS4_3ELNS0_20block_scan_algorithmE0ELj4294967295EEENS1_25partition_config_selectorILNS1_17partition_subalgoE4EjNS0_10empty_typeEbEEZZNS1_14partition_implILS8_4ELb0ES6_15HIP_vector_typeIjLj2EENS0_17counting_iteratorIjlEEPS9_SG_NS0_5tupleIJPjSI_NS0_16reverse_iteratorISI_EEEEENSH_IJSG_SG_SG_EEES9_SI_JZNS1_25segmented_radix_sort_implINS0_14default_configELb1EPKdPdPKlPlN2at6native12_GLOBAL__N_18offset_tEEE10hipError_tPvRmT1_PNSt15iterator_traitsIS12_E10value_typeET2_T3_PNS13_IS18_E10value_typeET4_jRbjT5_S1E_jjP12ihipStream_tbEUljE_ZNSN_ISO_Lb1ESQ_SR_ST_SU_SY_EESZ_S10_S11_S12_S16_S17_S18_S1B_S1C_jS1D_jS1E_S1E_jjS1G_bEUljE0_EEESZ_S10_S11_S18_S1C_S1E_T6_T7_T9_mT8_S1G_bDpT10_ENKUlT_T0_E_clISt17integral_constantIbLb1EES1T_IbLb0EEEEDaS1P_S1Q_EUlS1P_E_NS1_11comp_targetILNS1_3genE5ELNS1_11target_archE942ELNS1_3gpuE9ELNS1_3repE0EEENS1_30default_config_static_selectorELNS0_4arch9wavefront6targetE0EEEvS12_.has_recursion, 0
	.set _ZN7rocprim17ROCPRIM_400000_NS6detail17trampoline_kernelINS0_13select_configILj256ELj13ELNS0_17block_load_methodE3ELS4_3ELS4_3ELNS0_20block_scan_algorithmE0ELj4294967295EEENS1_25partition_config_selectorILNS1_17partition_subalgoE4EjNS0_10empty_typeEbEEZZNS1_14partition_implILS8_4ELb0ES6_15HIP_vector_typeIjLj2EENS0_17counting_iteratorIjlEEPS9_SG_NS0_5tupleIJPjSI_NS0_16reverse_iteratorISI_EEEEENSH_IJSG_SG_SG_EEES9_SI_JZNS1_25segmented_radix_sort_implINS0_14default_configELb1EPKdPdPKlPlN2at6native12_GLOBAL__N_18offset_tEEE10hipError_tPvRmT1_PNSt15iterator_traitsIS12_E10value_typeET2_T3_PNS13_IS18_E10value_typeET4_jRbjT5_S1E_jjP12ihipStream_tbEUljE_ZNSN_ISO_Lb1ESQ_SR_ST_SU_SY_EESZ_S10_S11_S12_S16_S17_S18_S1B_S1C_jS1D_jS1E_S1E_jjS1G_bEUljE0_EEESZ_S10_S11_S18_S1C_S1E_T6_T7_T9_mT8_S1G_bDpT10_ENKUlT_T0_E_clISt17integral_constantIbLb1EES1T_IbLb0EEEEDaS1P_S1Q_EUlS1P_E_NS1_11comp_targetILNS1_3genE5ELNS1_11target_archE942ELNS1_3gpuE9ELNS1_3repE0EEENS1_30default_config_static_selectorELNS0_4arch9wavefront6targetE0EEEvS12_.has_indirect_call, 0
	.section	.AMDGPU.csdata,"",@progbits
; Kernel info:
; codeLenInByte = 0
; TotalNumSgprs: 0
; NumVgprs: 0
; ScratchSize: 0
; MemoryBound: 0
; FloatMode: 240
; IeeeMode: 1
; LDSByteSize: 0 bytes/workgroup (compile time only)
; SGPRBlocks: 0
; VGPRBlocks: 0
; NumSGPRsForWavesPerEU: 1
; NumVGPRsForWavesPerEU: 1
; NamedBarCnt: 0
; Occupancy: 16
; WaveLimiterHint : 0
; COMPUTE_PGM_RSRC2:SCRATCH_EN: 0
; COMPUTE_PGM_RSRC2:USER_SGPR: 2
; COMPUTE_PGM_RSRC2:TRAP_HANDLER: 0
; COMPUTE_PGM_RSRC2:TGID_X_EN: 1
; COMPUTE_PGM_RSRC2:TGID_Y_EN: 0
; COMPUTE_PGM_RSRC2:TGID_Z_EN: 0
; COMPUTE_PGM_RSRC2:TIDIG_COMP_CNT: 0
	.section	.text._ZN7rocprim17ROCPRIM_400000_NS6detail17trampoline_kernelINS0_13select_configILj256ELj13ELNS0_17block_load_methodE3ELS4_3ELS4_3ELNS0_20block_scan_algorithmE0ELj4294967295EEENS1_25partition_config_selectorILNS1_17partition_subalgoE4EjNS0_10empty_typeEbEEZZNS1_14partition_implILS8_4ELb0ES6_15HIP_vector_typeIjLj2EENS0_17counting_iteratorIjlEEPS9_SG_NS0_5tupleIJPjSI_NS0_16reverse_iteratorISI_EEEEENSH_IJSG_SG_SG_EEES9_SI_JZNS1_25segmented_radix_sort_implINS0_14default_configELb1EPKdPdPKlPlN2at6native12_GLOBAL__N_18offset_tEEE10hipError_tPvRmT1_PNSt15iterator_traitsIS12_E10value_typeET2_T3_PNS13_IS18_E10value_typeET4_jRbjT5_S1E_jjP12ihipStream_tbEUljE_ZNSN_ISO_Lb1ESQ_SR_ST_SU_SY_EESZ_S10_S11_S12_S16_S17_S18_S1B_S1C_jS1D_jS1E_S1E_jjS1G_bEUljE0_EEESZ_S10_S11_S18_S1C_S1E_T6_T7_T9_mT8_S1G_bDpT10_ENKUlT_T0_E_clISt17integral_constantIbLb1EES1T_IbLb0EEEEDaS1P_S1Q_EUlS1P_E_NS1_11comp_targetILNS1_3genE4ELNS1_11target_archE910ELNS1_3gpuE8ELNS1_3repE0EEENS1_30default_config_static_selectorELNS0_4arch9wavefront6targetE0EEEvS12_,"axG",@progbits,_ZN7rocprim17ROCPRIM_400000_NS6detail17trampoline_kernelINS0_13select_configILj256ELj13ELNS0_17block_load_methodE3ELS4_3ELS4_3ELNS0_20block_scan_algorithmE0ELj4294967295EEENS1_25partition_config_selectorILNS1_17partition_subalgoE4EjNS0_10empty_typeEbEEZZNS1_14partition_implILS8_4ELb0ES6_15HIP_vector_typeIjLj2EENS0_17counting_iteratorIjlEEPS9_SG_NS0_5tupleIJPjSI_NS0_16reverse_iteratorISI_EEEEENSH_IJSG_SG_SG_EEES9_SI_JZNS1_25segmented_radix_sort_implINS0_14default_configELb1EPKdPdPKlPlN2at6native12_GLOBAL__N_18offset_tEEE10hipError_tPvRmT1_PNSt15iterator_traitsIS12_E10value_typeET2_T3_PNS13_IS18_E10value_typeET4_jRbjT5_S1E_jjP12ihipStream_tbEUljE_ZNSN_ISO_Lb1ESQ_SR_ST_SU_SY_EESZ_S10_S11_S12_S16_S17_S18_S1B_S1C_jS1D_jS1E_S1E_jjS1G_bEUljE0_EEESZ_S10_S11_S18_S1C_S1E_T6_T7_T9_mT8_S1G_bDpT10_ENKUlT_T0_E_clISt17integral_constantIbLb1EES1T_IbLb0EEEEDaS1P_S1Q_EUlS1P_E_NS1_11comp_targetILNS1_3genE4ELNS1_11target_archE910ELNS1_3gpuE8ELNS1_3repE0EEENS1_30default_config_static_selectorELNS0_4arch9wavefront6targetE0EEEvS12_,comdat
	.globl	_ZN7rocprim17ROCPRIM_400000_NS6detail17trampoline_kernelINS0_13select_configILj256ELj13ELNS0_17block_load_methodE3ELS4_3ELS4_3ELNS0_20block_scan_algorithmE0ELj4294967295EEENS1_25partition_config_selectorILNS1_17partition_subalgoE4EjNS0_10empty_typeEbEEZZNS1_14partition_implILS8_4ELb0ES6_15HIP_vector_typeIjLj2EENS0_17counting_iteratorIjlEEPS9_SG_NS0_5tupleIJPjSI_NS0_16reverse_iteratorISI_EEEEENSH_IJSG_SG_SG_EEES9_SI_JZNS1_25segmented_radix_sort_implINS0_14default_configELb1EPKdPdPKlPlN2at6native12_GLOBAL__N_18offset_tEEE10hipError_tPvRmT1_PNSt15iterator_traitsIS12_E10value_typeET2_T3_PNS13_IS18_E10value_typeET4_jRbjT5_S1E_jjP12ihipStream_tbEUljE_ZNSN_ISO_Lb1ESQ_SR_ST_SU_SY_EESZ_S10_S11_S12_S16_S17_S18_S1B_S1C_jS1D_jS1E_S1E_jjS1G_bEUljE0_EEESZ_S10_S11_S18_S1C_S1E_T6_T7_T9_mT8_S1G_bDpT10_ENKUlT_T0_E_clISt17integral_constantIbLb1EES1T_IbLb0EEEEDaS1P_S1Q_EUlS1P_E_NS1_11comp_targetILNS1_3genE4ELNS1_11target_archE910ELNS1_3gpuE8ELNS1_3repE0EEENS1_30default_config_static_selectorELNS0_4arch9wavefront6targetE0EEEvS12_ ; -- Begin function _ZN7rocprim17ROCPRIM_400000_NS6detail17trampoline_kernelINS0_13select_configILj256ELj13ELNS0_17block_load_methodE3ELS4_3ELS4_3ELNS0_20block_scan_algorithmE0ELj4294967295EEENS1_25partition_config_selectorILNS1_17partition_subalgoE4EjNS0_10empty_typeEbEEZZNS1_14partition_implILS8_4ELb0ES6_15HIP_vector_typeIjLj2EENS0_17counting_iteratorIjlEEPS9_SG_NS0_5tupleIJPjSI_NS0_16reverse_iteratorISI_EEEEENSH_IJSG_SG_SG_EEES9_SI_JZNS1_25segmented_radix_sort_implINS0_14default_configELb1EPKdPdPKlPlN2at6native12_GLOBAL__N_18offset_tEEE10hipError_tPvRmT1_PNSt15iterator_traitsIS12_E10value_typeET2_T3_PNS13_IS18_E10value_typeET4_jRbjT5_S1E_jjP12ihipStream_tbEUljE_ZNSN_ISO_Lb1ESQ_SR_ST_SU_SY_EESZ_S10_S11_S12_S16_S17_S18_S1B_S1C_jS1D_jS1E_S1E_jjS1G_bEUljE0_EEESZ_S10_S11_S18_S1C_S1E_T6_T7_T9_mT8_S1G_bDpT10_ENKUlT_T0_E_clISt17integral_constantIbLb1EES1T_IbLb0EEEEDaS1P_S1Q_EUlS1P_E_NS1_11comp_targetILNS1_3genE4ELNS1_11target_archE910ELNS1_3gpuE8ELNS1_3repE0EEENS1_30default_config_static_selectorELNS0_4arch9wavefront6targetE0EEEvS12_
	.p2align	8
	.type	_ZN7rocprim17ROCPRIM_400000_NS6detail17trampoline_kernelINS0_13select_configILj256ELj13ELNS0_17block_load_methodE3ELS4_3ELS4_3ELNS0_20block_scan_algorithmE0ELj4294967295EEENS1_25partition_config_selectorILNS1_17partition_subalgoE4EjNS0_10empty_typeEbEEZZNS1_14partition_implILS8_4ELb0ES6_15HIP_vector_typeIjLj2EENS0_17counting_iteratorIjlEEPS9_SG_NS0_5tupleIJPjSI_NS0_16reverse_iteratorISI_EEEEENSH_IJSG_SG_SG_EEES9_SI_JZNS1_25segmented_radix_sort_implINS0_14default_configELb1EPKdPdPKlPlN2at6native12_GLOBAL__N_18offset_tEEE10hipError_tPvRmT1_PNSt15iterator_traitsIS12_E10value_typeET2_T3_PNS13_IS18_E10value_typeET4_jRbjT5_S1E_jjP12ihipStream_tbEUljE_ZNSN_ISO_Lb1ESQ_SR_ST_SU_SY_EESZ_S10_S11_S12_S16_S17_S18_S1B_S1C_jS1D_jS1E_S1E_jjS1G_bEUljE0_EEESZ_S10_S11_S18_S1C_S1E_T6_T7_T9_mT8_S1G_bDpT10_ENKUlT_T0_E_clISt17integral_constantIbLb1EES1T_IbLb0EEEEDaS1P_S1Q_EUlS1P_E_NS1_11comp_targetILNS1_3genE4ELNS1_11target_archE910ELNS1_3gpuE8ELNS1_3repE0EEENS1_30default_config_static_selectorELNS0_4arch9wavefront6targetE0EEEvS12_,@function
_ZN7rocprim17ROCPRIM_400000_NS6detail17trampoline_kernelINS0_13select_configILj256ELj13ELNS0_17block_load_methodE3ELS4_3ELS4_3ELNS0_20block_scan_algorithmE0ELj4294967295EEENS1_25partition_config_selectorILNS1_17partition_subalgoE4EjNS0_10empty_typeEbEEZZNS1_14partition_implILS8_4ELb0ES6_15HIP_vector_typeIjLj2EENS0_17counting_iteratorIjlEEPS9_SG_NS0_5tupleIJPjSI_NS0_16reverse_iteratorISI_EEEEENSH_IJSG_SG_SG_EEES9_SI_JZNS1_25segmented_radix_sort_implINS0_14default_configELb1EPKdPdPKlPlN2at6native12_GLOBAL__N_18offset_tEEE10hipError_tPvRmT1_PNSt15iterator_traitsIS12_E10value_typeET2_T3_PNS13_IS18_E10value_typeET4_jRbjT5_S1E_jjP12ihipStream_tbEUljE_ZNSN_ISO_Lb1ESQ_SR_ST_SU_SY_EESZ_S10_S11_S12_S16_S17_S18_S1B_S1C_jS1D_jS1E_S1E_jjS1G_bEUljE0_EEESZ_S10_S11_S18_S1C_S1E_T6_T7_T9_mT8_S1G_bDpT10_ENKUlT_T0_E_clISt17integral_constantIbLb1EES1T_IbLb0EEEEDaS1P_S1Q_EUlS1P_E_NS1_11comp_targetILNS1_3genE4ELNS1_11target_archE910ELNS1_3gpuE8ELNS1_3repE0EEENS1_30default_config_static_selectorELNS0_4arch9wavefront6targetE0EEEvS12_: ; @_ZN7rocprim17ROCPRIM_400000_NS6detail17trampoline_kernelINS0_13select_configILj256ELj13ELNS0_17block_load_methodE3ELS4_3ELS4_3ELNS0_20block_scan_algorithmE0ELj4294967295EEENS1_25partition_config_selectorILNS1_17partition_subalgoE4EjNS0_10empty_typeEbEEZZNS1_14partition_implILS8_4ELb0ES6_15HIP_vector_typeIjLj2EENS0_17counting_iteratorIjlEEPS9_SG_NS0_5tupleIJPjSI_NS0_16reverse_iteratorISI_EEEEENSH_IJSG_SG_SG_EEES9_SI_JZNS1_25segmented_radix_sort_implINS0_14default_configELb1EPKdPdPKlPlN2at6native12_GLOBAL__N_18offset_tEEE10hipError_tPvRmT1_PNSt15iterator_traitsIS12_E10value_typeET2_T3_PNS13_IS18_E10value_typeET4_jRbjT5_S1E_jjP12ihipStream_tbEUljE_ZNSN_ISO_Lb1ESQ_SR_ST_SU_SY_EESZ_S10_S11_S12_S16_S17_S18_S1B_S1C_jS1D_jS1E_S1E_jjS1G_bEUljE0_EEESZ_S10_S11_S18_S1C_S1E_T6_T7_T9_mT8_S1G_bDpT10_ENKUlT_T0_E_clISt17integral_constantIbLb1EES1T_IbLb0EEEEDaS1P_S1Q_EUlS1P_E_NS1_11comp_targetILNS1_3genE4ELNS1_11target_archE910ELNS1_3gpuE8ELNS1_3repE0EEENS1_30default_config_static_selectorELNS0_4arch9wavefront6targetE0EEEvS12_
; %bb.0:
	.section	.rodata,"a",@progbits
	.p2align	6, 0x0
	.amdhsa_kernel _ZN7rocprim17ROCPRIM_400000_NS6detail17trampoline_kernelINS0_13select_configILj256ELj13ELNS0_17block_load_methodE3ELS4_3ELS4_3ELNS0_20block_scan_algorithmE0ELj4294967295EEENS1_25partition_config_selectorILNS1_17partition_subalgoE4EjNS0_10empty_typeEbEEZZNS1_14partition_implILS8_4ELb0ES6_15HIP_vector_typeIjLj2EENS0_17counting_iteratorIjlEEPS9_SG_NS0_5tupleIJPjSI_NS0_16reverse_iteratorISI_EEEEENSH_IJSG_SG_SG_EEES9_SI_JZNS1_25segmented_radix_sort_implINS0_14default_configELb1EPKdPdPKlPlN2at6native12_GLOBAL__N_18offset_tEEE10hipError_tPvRmT1_PNSt15iterator_traitsIS12_E10value_typeET2_T3_PNS13_IS18_E10value_typeET4_jRbjT5_S1E_jjP12ihipStream_tbEUljE_ZNSN_ISO_Lb1ESQ_SR_ST_SU_SY_EESZ_S10_S11_S12_S16_S17_S18_S1B_S1C_jS1D_jS1E_S1E_jjS1G_bEUljE0_EEESZ_S10_S11_S18_S1C_S1E_T6_T7_T9_mT8_S1G_bDpT10_ENKUlT_T0_E_clISt17integral_constantIbLb1EES1T_IbLb0EEEEDaS1P_S1Q_EUlS1P_E_NS1_11comp_targetILNS1_3genE4ELNS1_11target_archE910ELNS1_3gpuE8ELNS1_3repE0EEENS1_30default_config_static_selectorELNS0_4arch9wavefront6targetE0EEEvS12_
		.amdhsa_group_segment_fixed_size 0
		.amdhsa_private_segment_fixed_size 0
		.amdhsa_kernarg_size 176
		.amdhsa_user_sgpr_count 2
		.amdhsa_user_sgpr_dispatch_ptr 0
		.amdhsa_user_sgpr_queue_ptr 0
		.amdhsa_user_sgpr_kernarg_segment_ptr 1
		.amdhsa_user_sgpr_dispatch_id 0
		.amdhsa_user_sgpr_kernarg_preload_length 0
		.amdhsa_user_sgpr_kernarg_preload_offset 0
		.amdhsa_user_sgpr_private_segment_size 0
		.amdhsa_wavefront_size32 1
		.amdhsa_uses_dynamic_stack 0
		.amdhsa_enable_private_segment 0
		.amdhsa_system_sgpr_workgroup_id_x 1
		.amdhsa_system_sgpr_workgroup_id_y 0
		.amdhsa_system_sgpr_workgroup_id_z 0
		.amdhsa_system_sgpr_workgroup_info 0
		.amdhsa_system_vgpr_workitem_id 0
		.amdhsa_next_free_vgpr 1
		.amdhsa_next_free_sgpr 1
		.amdhsa_named_barrier_count 0
		.amdhsa_reserve_vcc 0
		.amdhsa_float_round_mode_32 0
		.amdhsa_float_round_mode_16_64 0
		.amdhsa_float_denorm_mode_32 3
		.amdhsa_float_denorm_mode_16_64 3
		.amdhsa_fp16_overflow 0
		.amdhsa_memory_ordered 1
		.amdhsa_forward_progress 1
		.amdhsa_inst_pref_size 0
		.amdhsa_round_robin_scheduling 0
		.amdhsa_exception_fp_ieee_invalid_op 0
		.amdhsa_exception_fp_denorm_src 0
		.amdhsa_exception_fp_ieee_div_zero 0
		.amdhsa_exception_fp_ieee_overflow 0
		.amdhsa_exception_fp_ieee_underflow 0
		.amdhsa_exception_fp_ieee_inexact 0
		.amdhsa_exception_int_div_zero 0
	.end_amdhsa_kernel
	.section	.text._ZN7rocprim17ROCPRIM_400000_NS6detail17trampoline_kernelINS0_13select_configILj256ELj13ELNS0_17block_load_methodE3ELS4_3ELS4_3ELNS0_20block_scan_algorithmE0ELj4294967295EEENS1_25partition_config_selectorILNS1_17partition_subalgoE4EjNS0_10empty_typeEbEEZZNS1_14partition_implILS8_4ELb0ES6_15HIP_vector_typeIjLj2EENS0_17counting_iteratorIjlEEPS9_SG_NS0_5tupleIJPjSI_NS0_16reverse_iteratorISI_EEEEENSH_IJSG_SG_SG_EEES9_SI_JZNS1_25segmented_radix_sort_implINS0_14default_configELb1EPKdPdPKlPlN2at6native12_GLOBAL__N_18offset_tEEE10hipError_tPvRmT1_PNSt15iterator_traitsIS12_E10value_typeET2_T3_PNS13_IS18_E10value_typeET4_jRbjT5_S1E_jjP12ihipStream_tbEUljE_ZNSN_ISO_Lb1ESQ_SR_ST_SU_SY_EESZ_S10_S11_S12_S16_S17_S18_S1B_S1C_jS1D_jS1E_S1E_jjS1G_bEUljE0_EEESZ_S10_S11_S18_S1C_S1E_T6_T7_T9_mT8_S1G_bDpT10_ENKUlT_T0_E_clISt17integral_constantIbLb1EES1T_IbLb0EEEEDaS1P_S1Q_EUlS1P_E_NS1_11comp_targetILNS1_3genE4ELNS1_11target_archE910ELNS1_3gpuE8ELNS1_3repE0EEENS1_30default_config_static_selectorELNS0_4arch9wavefront6targetE0EEEvS12_,"axG",@progbits,_ZN7rocprim17ROCPRIM_400000_NS6detail17trampoline_kernelINS0_13select_configILj256ELj13ELNS0_17block_load_methodE3ELS4_3ELS4_3ELNS0_20block_scan_algorithmE0ELj4294967295EEENS1_25partition_config_selectorILNS1_17partition_subalgoE4EjNS0_10empty_typeEbEEZZNS1_14partition_implILS8_4ELb0ES6_15HIP_vector_typeIjLj2EENS0_17counting_iteratorIjlEEPS9_SG_NS0_5tupleIJPjSI_NS0_16reverse_iteratorISI_EEEEENSH_IJSG_SG_SG_EEES9_SI_JZNS1_25segmented_radix_sort_implINS0_14default_configELb1EPKdPdPKlPlN2at6native12_GLOBAL__N_18offset_tEEE10hipError_tPvRmT1_PNSt15iterator_traitsIS12_E10value_typeET2_T3_PNS13_IS18_E10value_typeET4_jRbjT5_S1E_jjP12ihipStream_tbEUljE_ZNSN_ISO_Lb1ESQ_SR_ST_SU_SY_EESZ_S10_S11_S12_S16_S17_S18_S1B_S1C_jS1D_jS1E_S1E_jjS1G_bEUljE0_EEESZ_S10_S11_S18_S1C_S1E_T6_T7_T9_mT8_S1G_bDpT10_ENKUlT_T0_E_clISt17integral_constantIbLb1EES1T_IbLb0EEEEDaS1P_S1Q_EUlS1P_E_NS1_11comp_targetILNS1_3genE4ELNS1_11target_archE910ELNS1_3gpuE8ELNS1_3repE0EEENS1_30default_config_static_selectorELNS0_4arch9wavefront6targetE0EEEvS12_,comdat
.Lfunc_end1066:
	.size	_ZN7rocprim17ROCPRIM_400000_NS6detail17trampoline_kernelINS0_13select_configILj256ELj13ELNS0_17block_load_methodE3ELS4_3ELS4_3ELNS0_20block_scan_algorithmE0ELj4294967295EEENS1_25partition_config_selectorILNS1_17partition_subalgoE4EjNS0_10empty_typeEbEEZZNS1_14partition_implILS8_4ELb0ES6_15HIP_vector_typeIjLj2EENS0_17counting_iteratorIjlEEPS9_SG_NS0_5tupleIJPjSI_NS0_16reverse_iteratorISI_EEEEENSH_IJSG_SG_SG_EEES9_SI_JZNS1_25segmented_radix_sort_implINS0_14default_configELb1EPKdPdPKlPlN2at6native12_GLOBAL__N_18offset_tEEE10hipError_tPvRmT1_PNSt15iterator_traitsIS12_E10value_typeET2_T3_PNS13_IS18_E10value_typeET4_jRbjT5_S1E_jjP12ihipStream_tbEUljE_ZNSN_ISO_Lb1ESQ_SR_ST_SU_SY_EESZ_S10_S11_S12_S16_S17_S18_S1B_S1C_jS1D_jS1E_S1E_jjS1G_bEUljE0_EEESZ_S10_S11_S18_S1C_S1E_T6_T7_T9_mT8_S1G_bDpT10_ENKUlT_T0_E_clISt17integral_constantIbLb1EES1T_IbLb0EEEEDaS1P_S1Q_EUlS1P_E_NS1_11comp_targetILNS1_3genE4ELNS1_11target_archE910ELNS1_3gpuE8ELNS1_3repE0EEENS1_30default_config_static_selectorELNS0_4arch9wavefront6targetE0EEEvS12_, .Lfunc_end1066-_ZN7rocprim17ROCPRIM_400000_NS6detail17trampoline_kernelINS0_13select_configILj256ELj13ELNS0_17block_load_methodE3ELS4_3ELS4_3ELNS0_20block_scan_algorithmE0ELj4294967295EEENS1_25partition_config_selectorILNS1_17partition_subalgoE4EjNS0_10empty_typeEbEEZZNS1_14partition_implILS8_4ELb0ES6_15HIP_vector_typeIjLj2EENS0_17counting_iteratorIjlEEPS9_SG_NS0_5tupleIJPjSI_NS0_16reverse_iteratorISI_EEEEENSH_IJSG_SG_SG_EEES9_SI_JZNS1_25segmented_radix_sort_implINS0_14default_configELb1EPKdPdPKlPlN2at6native12_GLOBAL__N_18offset_tEEE10hipError_tPvRmT1_PNSt15iterator_traitsIS12_E10value_typeET2_T3_PNS13_IS18_E10value_typeET4_jRbjT5_S1E_jjP12ihipStream_tbEUljE_ZNSN_ISO_Lb1ESQ_SR_ST_SU_SY_EESZ_S10_S11_S12_S16_S17_S18_S1B_S1C_jS1D_jS1E_S1E_jjS1G_bEUljE0_EEESZ_S10_S11_S18_S1C_S1E_T6_T7_T9_mT8_S1G_bDpT10_ENKUlT_T0_E_clISt17integral_constantIbLb1EES1T_IbLb0EEEEDaS1P_S1Q_EUlS1P_E_NS1_11comp_targetILNS1_3genE4ELNS1_11target_archE910ELNS1_3gpuE8ELNS1_3repE0EEENS1_30default_config_static_selectorELNS0_4arch9wavefront6targetE0EEEvS12_
                                        ; -- End function
	.set _ZN7rocprim17ROCPRIM_400000_NS6detail17trampoline_kernelINS0_13select_configILj256ELj13ELNS0_17block_load_methodE3ELS4_3ELS4_3ELNS0_20block_scan_algorithmE0ELj4294967295EEENS1_25partition_config_selectorILNS1_17partition_subalgoE4EjNS0_10empty_typeEbEEZZNS1_14partition_implILS8_4ELb0ES6_15HIP_vector_typeIjLj2EENS0_17counting_iteratorIjlEEPS9_SG_NS0_5tupleIJPjSI_NS0_16reverse_iteratorISI_EEEEENSH_IJSG_SG_SG_EEES9_SI_JZNS1_25segmented_radix_sort_implINS0_14default_configELb1EPKdPdPKlPlN2at6native12_GLOBAL__N_18offset_tEEE10hipError_tPvRmT1_PNSt15iterator_traitsIS12_E10value_typeET2_T3_PNS13_IS18_E10value_typeET4_jRbjT5_S1E_jjP12ihipStream_tbEUljE_ZNSN_ISO_Lb1ESQ_SR_ST_SU_SY_EESZ_S10_S11_S12_S16_S17_S18_S1B_S1C_jS1D_jS1E_S1E_jjS1G_bEUljE0_EEESZ_S10_S11_S18_S1C_S1E_T6_T7_T9_mT8_S1G_bDpT10_ENKUlT_T0_E_clISt17integral_constantIbLb1EES1T_IbLb0EEEEDaS1P_S1Q_EUlS1P_E_NS1_11comp_targetILNS1_3genE4ELNS1_11target_archE910ELNS1_3gpuE8ELNS1_3repE0EEENS1_30default_config_static_selectorELNS0_4arch9wavefront6targetE0EEEvS12_.num_vgpr, 0
	.set _ZN7rocprim17ROCPRIM_400000_NS6detail17trampoline_kernelINS0_13select_configILj256ELj13ELNS0_17block_load_methodE3ELS4_3ELS4_3ELNS0_20block_scan_algorithmE0ELj4294967295EEENS1_25partition_config_selectorILNS1_17partition_subalgoE4EjNS0_10empty_typeEbEEZZNS1_14partition_implILS8_4ELb0ES6_15HIP_vector_typeIjLj2EENS0_17counting_iteratorIjlEEPS9_SG_NS0_5tupleIJPjSI_NS0_16reverse_iteratorISI_EEEEENSH_IJSG_SG_SG_EEES9_SI_JZNS1_25segmented_radix_sort_implINS0_14default_configELb1EPKdPdPKlPlN2at6native12_GLOBAL__N_18offset_tEEE10hipError_tPvRmT1_PNSt15iterator_traitsIS12_E10value_typeET2_T3_PNS13_IS18_E10value_typeET4_jRbjT5_S1E_jjP12ihipStream_tbEUljE_ZNSN_ISO_Lb1ESQ_SR_ST_SU_SY_EESZ_S10_S11_S12_S16_S17_S18_S1B_S1C_jS1D_jS1E_S1E_jjS1G_bEUljE0_EEESZ_S10_S11_S18_S1C_S1E_T6_T7_T9_mT8_S1G_bDpT10_ENKUlT_T0_E_clISt17integral_constantIbLb1EES1T_IbLb0EEEEDaS1P_S1Q_EUlS1P_E_NS1_11comp_targetILNS1_3genE4ELNS1_11target_archE910ELNS1_3gpuE8ELNS1_3repE0EEENS1_30default_config_static_selectorELNS0_4arch9wavefront6targetE0EEEvS12_.num_agpr, 0
	.set _ZN7rocprim17ROCPRIM_400000_NS6detail17trampoline_kernelINS0_13select_configILj256ELj13ELNS0_17block_load_methodE3ELS4_3ELS4_3ELNS0_20block_scan_algorithmE0ELj4294967295EEENS1_25partition_config_selectorILNS1_17partition_subalgoE4EjNS0_10empty_typeEbEEZZNS1_14partition_implILS8_4ELb0ES6_15HIP_vector_typeIjLj2EENS0_17counting_iteratorIjlEEPS9_SG_NS0_5tupleIJPjSI_NS0_16reverse_iteratorISI_EEEEENSH_IJSG_SG_SG_EEES9_SI_JZNS1_25segmented_radix_sort_implINS0_14default_configELb1EPKdPdPKlPlN2at6native12_GLOBAL__N_18offset_tEEE10hipError_tPvRmT1_PNSt15iterator_traitsIS12_E10value_typeET2_T3_PNS13_IS18_E10value_typeET4_jRbjT5_S1E_jjP12ihipStream_tbEUljE_ZNSN_ISO_Lb1ESQ_SR_ST_SU_SY_EESZ_S10_S11_S12_S16_S17_S18_S1B_S1C_jS1D_jS1E_S1E_jjS1G_bEUljE0_EEESZ_S10_S11_S18_S1C_S1E_T6_T7_T9_mT8_S1G_bDpT10_ENKUlT_T0_E_clISt17integral_constantIbLb1EES1T_IbLb0EEEEDaS1P_S1Q_EUlS1P_E_NS1_11comp_targetILNS1_3genE4ELNS1_11target_archE910ELNS1_3gpuE8ELNS1_3repE0EEENS1_30default_config_static_selectorELNS0_4arch9wavefront6targetE0EEEvS12_.numbered_sgpr, 0
	.set _ZN7rocprim17ROCPRIM_400000_NS6detail17trampoline_kernelINS0_13select_configILj256ELj13ELNS0_17block_load_methodE3ELS4_3ELS4_3ELNS0_20block_scan_algorithmE0ELj4294967295EEENS1_25partition_config_selectorILNS1_17partition_subalgoE4EjNS0_10empty_typeEbEEZZNS1_14partition_implILS8_4ELb0ES6_15HIP_vector_typeIjLj2EENS0_17counting_iteratorIjlEEPS9_SG_NS0_5tupleIJPjSI_NS0_16reverse_iteratorISI_EEEEENSH_IJSG_SG_SG_EEES9_SI_JZNS1_25segmented_radix_sort_implINS0_14default_configELb1EPKdPdPKlPlN2at6native12_GLOBAL__N_18offset_tEEE10hipError_tPvRmT1_PNSt15iterator_traitsIS12_E10value_typeET2_T3_PNS13_IS18_E10value_typeET4_jRbjT5_S1E_jjP12ihipStream_tbEUljE_ZNSN_ISO_Lb1ESQ_SR_ST_SU_SY_EESZ_S10_S11_S12_S16_S17_S18_S1B_S1C_jS1D_jS1E_S1E_jjS1G_bEUljE0_EEESZ_S10_S11_S18_S1C_S1E_T6_T7_T9_mT8_S1G_bDpT10_ENKUlT_T0_E_clISt17integral_constantIbLb1EES1T_IbLb0EEEEDaS1P_S1Q_EUlS1P_E_NS1_11comp_targetILNS1_3genE4ELNS1_11target_archE910ELNS1_3gpuE8ELNS1_3repE0EEENS1_30default_config_static_selectorELNS0_4arch9wavefront6targetE0EEEvS12_.num_named_barrier, 0
	.set _ZN7rocprim17ROCPRIM_400000_NS6detail17trampoline_kernelINS0_13select_configILj256ELj13ELNS0_17block_load_methodE3ELS4_3ELS4_3ELNS0_20block_scan_algorithmE0ELj4294967295EEENS1_25partition_config_selectorILNS1_17partition_subalgoE4EjNS0_10empty_typeEbEEZZNS1_14partition_implILS8_4ELb0ES6_15HIP_vector_typeIjLj2EENS0_17counting_iteratorIjlEEPS9_SG_NS0_5tupleIJPjSI_NS0_16reverse_iteratorISI_EEEEENSH_IJSG_SG_SG_EEES9_SI_JZNS1_25segmented_radix_sort_implINS0_14default_configELb1EPKdPdPKlPlN2at6native12_GLOBAL__N_18offset_tEEE10hipError_tPvRmT1_PNSt15iterator_traitsIS12_E10value_typeET2_T3_PNS13_IS18_E10value_typeET4_jRbjT5_S1E_jjP12ihipStream_tbEUljE_ZNSN_ISO_Lb1ESQ_SR_ST_SU_SY_EESZ_S10_S11_S12_S16_S17_S18_S1B_S1C_jS1D_jS1E_S1E_jjS1G_bEUljE0_EEESZ_S10_S11_S18_S1C_S1E_T6_T7_T9_mT8_S1G_bDpT10_ENKUlT_T0_E_clISt17integral_constantIbLb1EES1T_IbLb0EEEEDaS1P_S1Q_EUlS1P_E_NS1_11comp_targetILNS1_3genE4ELNS1_11target_archE910ELNS1_3gpuE8ELNS1_3repE0EEENS1_30default_config_static_selectorELNS0_4arch9wavefront6targetE0EEEvS12_.private_seg_size, 0
	.set _ZN7rocprim17ROCPRIM_400000_NS6detail17trampoline_kernelINS0_13select_configILj256ELj13ELNS0_17block_load_methodE3ELS4_3ELS4_3ELNS0_20block_scan_algorithmE0ELj4294967295EEENS1_25partition_config_selectorILNS1_17partition_subalgoE4EjNS0_10empty_typeEbEEZZNS1_14partition_implILS8_4ELb0ES6_15HIP_vector_typeIjLj2EENS0_17counting_iteratorIjlEEPS9_SG_NS0_5tupleIJPjSI_NS0_16reverse_iteratorISI_EEEEENSH_IJSG_SG_SG_EEES9_SI_JZNS1_25segmented_radix_sort_implINS0_14default_configELb1EPKdPdPKlPlN2at6native12_GLOBAL__N_18offset_tEEE10hipError_tPvRmT1_PNSt15iterator_traitsIS12_E10value_typeET2_T3_PNS13_IS18_E10value_typeET4_jRbjT5_S1E_jjP12ihipStream_tbEUljE_ZNSN_ISO_Lb1ESQ_SR_ST_SU_SY_EESZ_S10_S11_S12_S16_S17_S18_S1B_S1C_jS1D_jS1E_S1E_jjS1G_bEUljE0_EEESZ_S10_S11_S18_S1C_S1E_T6_T7_T9_mT8_S1G_bDpT10_ENKUlT_T0_E_clISt17integral_constantIbLb1EES1T_IbLb0EEEEDaS1P_S1Q_EUlS1P_E_NS1_11comp_targetILNS1_3genE4ELNS1_11target_archE910ELNS1_3gpuE8ELNS1_3repE0EEENS1_30default_config_static_selectorELNS0_4arch9wavefront6targetE0EEEvS12_.uses_vcc, 0
	.set _ZN7rocprim17ROCPRIM_400000_NS6detail17trampoline_kernelINS0_13select_configILj256ELj13ELNS0_17block_load_methodE3ELS4_3ELS4_3ELNS0_20block_scan_algorithmE0ELj4294967295EEENS1_25partition_config_selectorILNS1_17partition_subalgoE4EjNS0_10empty_typeEbEEZZNS1_14partition_implILS8_4ELb0ES6_15HIP_vector_typeIjLj2EENS0_17counting_iteratorIjlEEPS9_SG_NS0_5tupleIJPjSI_NS0_16reverse_iteratorISI_EEEEENSH_IJSG_SG_SG_EEES9_SI_JZNS1_25segmented_radix_sort_implINS0_14default_configELb1EPKdPdPKlPlN2at6native12_GLOBAL__N_18offset_tEEE10hipError_tPvRmT1_PNSt15iterator_traitsIS12_E10value_typeET2_T3_PNS13_IS18_E10value_typeET4_jRbjT5_S1E_jjP12ihipStream_tbEUljE_ZNSN_ISO_Lb1ESQ_SR_ST_SU_SY_EESZ_S10_S11_S12_S16_S17_S18_S1B_S1C_jS1D_jS1E_S1E_jjS1G_bEUljE0_EEESZ_S10_S11_S18_S1C_S1E_T6_T7_T9_mT8_S1G_bDpT10_ENKUlT_T0_E_clISt17integral_constantIbLb1EES1T_IbLb0EEEEDaS1P_S1Q_EUlS1P_E_NS1_11comp_targetILNS1_3genE4ELNS1_11target_archE910ELNS1_3gpuE8ELNS1_3repE0EEENS1_30default_config_static_selectorELNS0_4arch9wavefront6targetE0EEEvS12_.uses_flat_scratch, 0
	.set _ZN7rocprim17ROCPRIM_400000_NS6detail17trampoline_kernelINS0_13select_configILj256ELj13ELNS0_17block_load_methodE3ELS4_3ELS4_3ELNS0_20block_scan_algorithmE0ELj4294967295EEENS1_25partition_config_selectorILNS1_17partition_subalgoE4EjNS0_10empty_typeEbEEZZNS1_14partition_implILS8_4ELb0ES6_15HIP_vector_typeIjLj2EENS0_17counting_iteratorIjlEEPS9_SG_NS0_5tupleIJPjSI_NS0_16reverse_iteratorISI_EEEEENSH_IJSG_SG_SG_EEES9_SI_JZNS1_25segmented_radix_sort_implINS0_14default_configELb1EPKdPdPKlPlN2at6native12_GLOBAL__N_18offset_tEEE10hipError_tPvRmT1_PNSt15iterator_traitsIS12_E10value_typeET2_T3_PNS13_IS18_E10value_typeET4_jRbjT5_S1E_jjP12ihipStream_tbEUljE_ZNSN_ISO_Lb1ESQ_SR_ST_SU_SY_EESZ_S10_S11_S12_S16_S17_S18_S1B_S1C_jS1D_jS1E_S1E_jjS1G_bEUljE0_EEESZ_S10_S11_S18_S1C_S1E_T6_T7_T9_mT8_S1G_bDpT10_ENKUlT_T0_E_clISt17integral_constantIbLb1EES1T_IbLb0EEEEDaS1P_S1Q_EUlS1P_E_NS1_11comp_targetILNS1_3genE4ELNS1_11target_archE910ELNS1_3gpuE8ELNS1_3repE0EEENS1_30default_config_static_selectorELNS0_4arch9wavefront6targetE0EEEvS12_.has_dyn_sized_stack, 0
	.set _ZN7rocprim17ROCPRIM_400000_NS6detail17trampoline_kernelINS0_13select_configILj256ELj13ELNS0_17block_load_methodE3ELS4_3ELS4_3ELNS0_20block_scan_algorithmE0ELj4294967295EEENS1_25partition_config_selectorILNS1_17partition_subalgoE4EjNS0_10empty_typeEbEEZZNS1_14partition_implILS8_4ELb0ES6_15HIP_vector_typeIjLj2EENS0_17counting_iteratorIjlEEPS9_SG_NS0_5tupleIJPjSI_NS0_16reverse_iteratorISI_EEEEENSH_IJSG_SG_SG_EEES9_SI_JZNS1_25segmented_radix_sort_implINS0_14default_configELb1EPKdPdPKlPlN2at6native12_GLOBAL__N_18offset_tEEE10hipError_tPvRmT1_PNSt15iterator_traitsIS12_E10value_typeET2_T3_PNS13_IS18_E10value_typeET4_jRbjT5_S1E_jjP12ihipStream_tbEUljE_ZNSN_ISO_Lb1ESQ_SR_ST_SU_SY_EESZ_S10_S11_S12_S16_S17_S18_S1B_S1C_jS1D_jS1E_S1E_jjS1G_bEUljE0_EEESZ_S10_S11_S18_S1C_S1E_T6_T7_T9_mT8_S1G_bDpT10_ENKUlT_T0_E_clISt17integral_constantIbLb1EES1T_IbLb0EEEEDaS1P_S1Q_EUlS1P_E_NS1_11comp_targetILNS1_3genE4ELNS1_11target_archE910ELNS1_3gpuE8ELNS1_3repE0EEENS1_30default_config_static_selectorELNS0_4arch9wavefront6targetE0EEEvS12_.has_recursion, 0
	.set _ZN7rocprim17ROCPRIM_400000_NS6detail17trampoline_kernelINS0_13select_configILj256ELj13ELNS0_17block_load_methodE3ELS4_3ELS4_3ELNS0_20block_scan_algorithmE0ELj4294967295EEENS1_25partition_config_selectorILNS1_17partition_subalgoE4EjNS0_10empty_typeEbEEZZNS1_14partition_implILS8_4ELb0ES6_15HIP_vector_typeIjLj2EENS0_17counting_iteratorIjlEEPS9_SG_NS0_5tupleIJPjSI_NS0_16reverse_iteratorISI_EEEEENSH_IJSG_SG_SG_EEES9_SI_JZNS1_25segmented_radix_sort_implINS0_14default_configELb1EPKdPdPKlPlN2at6native12_GLOBAL__N_18offset_tEEE10hipError_tPvRmT1_PNSt15iterator_traitsIS12_E10value_typeET2_T3_PNS13_IS18_E10value_typeET4_jRbjT5_S1E_jjP12ihipStream_tbEUljE_ZNSN_ISO_Lb1ESQ_SR_ST_SU_SY_EESZ_S10_S11_S12_S16_S17_S18_S1B_S1C_jS1D_jS1E_S1E_jjS1G_bEUljE0_EEESZ_S10_S11_S18_S1C_S1E_T6_T7_T9_mT8_S1G_bDpT10_ENKUlT_T0_E_clISt17integral_constantIbLb1EES1T_IbLb0EEEEDaS1P_S1Q_EUlS1P_E_NS1_11comp_targetILNS1_3genE4ELNS1_11target_archE910ELNS1_3gpuE8ELNS1_3repE0EEENS1_30default_config_static_selectorELNS0_4arch9wavefront6targetE0EEEvS12_.has_indirect_call, 0
	.section	.AMDGPU.csdata,"",@progbits
; Kernel info:
; codeLenInByte = 0
; TotalNumSgprs: 0
; NumVgprs: 0
; ScratchSize: 0
; MemoryBound: 0
; FloatMode: 240
; IeeeMode: 1
; LDSByteSize: 0 bytes/workgroup (compile time only)
; SGPRBlocks: 0
; VGPRBlocks: 0
; NumSGPRsForWavesPerEU: 1
; NumVGPRsForWavesPerEU: 1
; NamedBarCnt: 0
; Occupancy: 16
; WaveLimiterHint : 0
; COMPUTE_PGM_RSRC2:SCRATCH_EN: 0
; COMPUTE_PGM_RSRC2:USER_SGPR: 2
; COMPUTE_PGM_RSRC2:TRAP_HANDLER: 0
; COMPUTE_PGM_RSRC2:TGID_X_EN: 1
; COMPUTE_PGM_RSRC2:TGID_Y_EN: 0
; COMPUTE_PGM_RSRC2:TGID_Z_EN: 0
; COMPUTE_PGM_RSRC2:TIDIG_COMP_CNT: 0
	.section	.text._ZN7rocprim17ROCPRIM_400000_NS6detail17trampoline_kernelINS0_13select_configILj256ELj13ELNS0_17block_load_methodE3ELS4_3ELS4_3ELNS0_20block_scan_algorithmE0ELj4294967295EEENS1_25partition_config_selectorILNS1_17partition_subalgoE4EjNS0_10empty_typeEbEEZZNS1_14partition_implILS8_4ELb0ES6_15HIP_vector_typeIjLj2EENS0_17counting_iteratorIjlEEPS9_SG_NS0_5tupleIJPjSI_NS0_16reverse_iteratorISI_EEEEENSH_IJSG_SG_SG_EEES9_SI_JZNS1_25segmented_radix_sort_implINS0_14default_configELb1EPKdPdPKlPlN2at6native12_GLOBAL__N_18offset_tEEE10hipError_tPvRmT1_PNSt15iterator_traitsIS12_E10value_typeET2_T3_PNS13_IS18_E10value_typeET4_jRbjT5_S1E_jjP12ihipStream_tbEUljE_ZNSN_ISO_Lb1ESQ_SR_ST_SU_SY_EESZ_S10_S11_S12_S16_S17_S18_S1B_S1C_jS1D_jS1E_S1E_jjS1G_bEUljE0_EEESZ_S10_S11_S18_S1C_S1E_T6_T7_T9_mT8_S1G_bDpT10_ENKUlT_T0_E_clISt17integral_constantIbLb1EES1T_IbLb0EEEEDaS1P_S1Q_EUlS1P_E_NS1_11comp_targetILNS1_3genE3ELNS1_11target_archE908ELNS1_3gpuE7ELNS1_3repE0EEENS1_30default_config_static_selectorELNS0_4arch9wavefront6targetE0EEEvS12_,"axG",@progbits,_ZN7rocprim17ROCPRIM_400000_NS6detail17trampoline_kernelINS0_13select_configILj256ELj13ELNS0_17block_load_methodE3ELS4_3ELS4_3ELNS0_20block_scan_algorithmE0ELj4294967295EEENS1_25partition_config_selectorILNS1_17partition_subalgoE4EjNS0_10empty_typeEbEEZZNS1_14partition_implILS8_4ELb0ES6_15HIP_vector_typeIjLj2EENS0_17counting_iteratorIjlEEPS9_SG_NS0_5tupleIJPjSI_NS0_16reverse_iteratorISI_EEEEENSH_IJSG_SG_SG_EEES9_SI_JZNS1_25segmented_radix_sort_implINS0_14default_configELb1EPKdPdPKlPlN2at6native12_GLOBAL__N_18offset_tEEE10hipError_tPvRmT1_PNSt15iterator_traitsIS12_E10value_typeET2_T3_PNS13_IS18_E10value_typeET4_jRbjT5_S1E_jjP12ihipStream_tbEUljE_ZNSN_ISO_Lb1ESQ_SR_ST_SU_SY_EESZ_S10_S11_S12_S16_S17_S18_S1B_S1C_jS1D_jS1E_S1E_jjS1G_bEUljE0_EEESZ_S10_S11_S18_S1C_S1E_T6_T7_T9_mT8_S1G_bDpT10_ENKUlT_T0_E_clISt17integral_constantIbLb1EES1T_IbLb0EEEEDaS1P_S1Q_EUlS1P_E_NS1_11comp_targetILNS1_3genE3ELNS1_11target_archE908ELNS1_3gpuE7ELNS1_3repE0EEENS1_30default_config_static_selectorELNS0_4arch9wavefront6targetE0EEEvS12_,comdat
	.globl	_ZN7rocprim17ROCPRIM_400000_NS6detail17trampoline_kernelINS0_13select_configILj256ELj13ELNS0_17block_load_methodE3ELS4_3ELS4_3ELNS0_20block_scan_algorithmE0ELj4294967295EEENS1_25partition_config_selectorILNS1_17partition_subalgoE4EjNS0_10empty_typeEbEEZZNS1_14partition_implILS8_4ELb0ES6_15HIP_vector_typeIjLj2EENS0_17counting_iteratorIjlEEPS9_SG_NS0_5tupleIJPjSI_NS0_16reverse_iteratorISI_EEEEENSH_IJSG_SG_SG_EEES9_SI_JZNS1_25segmented_radix_sort_implINS0_14default_configELb1EPKdPdPKlPlN2at6native12_GLOBAL__N_18offset_tEEE10hipError_tPvRmT1_PNSt15iterator_traitsIS12_E10value_typeET2_T3_PNS13_IS18_E10value_typeET4_jRbjT5_S1E_jjP12ihipStream_tbEUljE_ZNSN_ISO_Lb1ESQ_SR_ST_SU_SY_EESZ_S10_S11_S12_S16_S17_S18_S1B_S1C_jS1D_jS1E_S1E_jjS1G_bEUljE0_EEESZ_S10_S11_S18_S1C_S1E_T6_T7_T9_mT8_S1G_bDpT10_ENKUlT_T0_E_clISt17integral_constantIbLb1EES1T_IbLb0EEEEDaS1P_S1Q_EUlS1P_E_NS1_11comp_targetILNS1_3genE3ELNS1_11target_archE908ELNS1_3gpuE7ELNS1_3repE0EEENS1_30default_config_static_selectorELNS0_4arch9wavefront6targetE0EEEvS12_ ; -- Begin function _ZN7rocprim17ROCPRIM_400000_NS6detail17trampoline_kernelINS0_13select_configILj256ELj13ELNS0_17block_load_methodE3ELS4_3ELS4_3ELNS0_20block_scan_algorithmE0ELj4294967295EEENS1_25partition_config_selectorILNS1_17partition_subalgoE4EjNS0_10empty_typeEbEEZZNS1_14partition_implILS8_4ELb0ES6_15HIP_vector_typeIjLj2EENS0_17counting_iteratorIjlEEPS9_SG_NS0_5tupleIJPjSI_NS0_16reverse_iteratorISI_EEEEENSH_IJSG_SG_SG_EEES9_SI_JZNS1_25segmented_radix_sort_implINS0_14default_configELb1EPKdPdPKlPlN2at6native12_GLOBAL__N_18offset_tEEE10hipError_tPvRmT1_PNSt15iterator_traitsIS12_E10value_typeET2_T3_PNS13_IS18_E10value_typeET4_jRbjT5_S1E_jjP12ihipStream_tbEUljE_ZNSN_ISO_Lb1ESQ_SR_ST_SU_SY_EESZ_S10_S11_S12_S16_S17_S18_S1B_S1C_jS1D_jS1E_S1E_jjS1G_bEUljE0_EEESZ_S10_S11_S18_S1C_S1E_T6_T7_T9_mT8_S1G_bDpT10_ENKUlT_T0_E_clISt17integral_constantIbLb1EES1T_IbLb0EEEEDaS1P_S1Q_EUlS1P_E_NS1_11comp_targetILNS1_3genE3ELNS1_11target_archE908ELNS1_3gpuE7ELNS1_3repE0EEENS1_30default_config_static_selectorELNS0_4arch9wavefront6targetE0EEEvS12_
	.p2align	8
	.type	_ZN7rocprim17ROCPRIM_400000_NS6detail17trampoline_kernelINS0_13select_configILj256ELj13ELNS0_17block_load_methodE3ELS4_3ELS4_3ELNS0_20block_scan_algorithmE0ELj4294967295EEENS1_25partition_config_selectorILNS1_17partition_subalgoE4EjNS0_10empty_typeEbEEZZNS1_14partition_implILS8_4ELb0ES6_15HIP_vector_typeIjLj2EENS0_17counting_iteratorIjlEEPS9_SG_NS0_5tupleIJPjSI_NS0_16reverse_iteratorISI_EEEEENSH_IJSG_SG_SG_EEES9_SI_JZNS1_25segmented_radix_sort_implINS0_14default_configELb1EPKdPdPKlPlN2at6native12_GLOBAL__N_18offset_tEEE10hipError_tPvRmT1_PNSt15iterator_traitsIS12_E10value_typeET2_T3_PNS13_IS18_E10value_typeET4_jRbjT5_S1E_jjP12ihipStream_tbEUljE_ZNSN_ISO_Lb1ESQ_SR_ST_SU_SY_EESZ_S10_S11_S12_S16_S17_S18_S1B_S1C_jS1D_jS1E_S1E_jjS1G_bEUljE0_EEESZ_S10_S11_S18_S1C_S1E_T6_T7_T9_mT8_S1G_bDpT10_ENKUlT_T0_E_clISt17integral_constantIbLb1EES1T_IbLb0EEEEDaS1P_S1Q_EUlS1P_E_NS1_11comp_targetILNS1_3genE3ELNS1_11target_archE908ELNS1_3gpuE7ELNS1_3repE0EEENS1_30default_config_static_selectorELNS0_4arch9wavefront6targetE0EEEvS12_,@function
_ZN7rocprim17ROCPRIM_400000_NS6detail17trampoline_kernelINS0_13select_configILj256ELj13ELNS0_17block_load_methodE3ELS4_3ELS4_3ELNS0_20block_scan_algorithmE0ELj4294967295EEENS1_25partition_config_selectorILNS1_17partition_subalgoE4EjNS0_10empty_typeEbEEZZNS1_14partition_implILS8_4ELb0ES6_15HIP_vector_typeIjLj2EENS0_17counting_iteratorIjlEEPS9_SG_NS0_5tupleIJPjSI_NS0_16reverse_iteratorISI_EEEEENSH_IJSG_SG_SG_EEES9_SI_JZNS1_25segmented_radix_sort_implINS0_14default_configELb1EPKdPdPKlPlN2at6native12_GLOBAL__N_18offset_tEEE10hipError_tPvRmT1_PNSt15iterator_traitsIS12_E10value_typeET2_T3_PNS13_IS18_E10value_typeET4_jRbjT5_S1E_jjP12ihipStream_tbEUljE_ZNSN_ISO_Lb1ESQ_SR_ST_SU_SY_EESZ_S10_S11_S12_S16_S17_S18_S1B_S1C_jS1D_jS1E_S1E_jjS1G_bEUljE0_EEESZ_S10_S11_S18_S1C_S1E_T6_T7_T9_mT8_S1G_bDpT10_ENKUlT_T0_E_clISt17integral_constantIbLb1EES1T_IbLb0EEEEDaS1P_S1Q_EUlS1P_E_NS1_11comp_targetILNS1_3genE3ELNS1_11target_archE908ELNS1_3gpuE7ELNS1_3repE0EEENS1_30default_config_static_selectorELNS0_4arch9wavefront6targetE0EEEvS12_: ; @_ZN7rocprim17ROCPRIM_400000_NS6detail17trampoline_kernelINS0_13select_configILj256ELj13ELNS0_17block_load_methodE3ELS4_3ELS4_3ELNS0_20block_scan_algorithmE0ELj4294967295EEENS1_25partition_config_selectorILNS1_17partition_subalgoE4EjNS0_10empty_typeEbEEZZNS1_14partition_implILS8_4ELb0ES6_15HIP_vector_typeIjLj2EENS0_17counting_iteratorIjlEEPS9_SG_NS0_5tupleIJPjSI_NS0_16reverse_iteratorISI_EEEEENSH_IJSG_SG_SG_EEES9_SI_JZNS1_25segmented_radix_sort_implINS0_14default_configELb1EPKdPdPKlPlN2at6native12_GLOBAL__N_18offset_tEEE10hipError_tPvRmT1_PNSt15iterator_traitsIS12_E10value_typeET2_T3_PNS13_IS18_E10value_typeET4_jRbjT5_S1E_jjP12ihipStream_tbEUljE_ZNSN_ISO_Lb1ESQ_SR_ST_SU_SY_EESZ_S10_S11_S12_S16_S17_S18_S1B_S1C_jS1D_jS1E_S1E_jjS1G_bEUljE0_EEESZ_S10_S11_S18_S1C_S1E_T6_T7_T9_mT8_S1G_bDpT10_ENKUlT_T0_E_clISt17integral_constantIbLb1EES1T_IbLb0EEEEDaS1P_S1Q_EUlS1P_E_NS1_11comp_targetILNS1_3genE3ELNS1_11target_archE908ELNS1_3gpuE7ELNS1_3repE0EEENS1_30default_config_static_selectorELNS0_4arch9wavefront6targetE0EEEvS12_
; %bb.0:
	.section	.rodata,"a",@progbits
	.p2align	6, 0x0
	.amdhsa_kernel _ZN7rocprim17ROCPRIM_400000_NS6detail17trampoline_kernelINS0_13select_configILj256ELj13ELNS0_17block_load_methodE3ELS4_3ELS4_3ELNS0_20block_scan_algorithmE0ELj4294967295EEENS1_25partition_config_selectorILNS1_17partition_subalgoE4EjNS0_10empty_typeEbEEZZNS1_14partition_implILS8_4ELb0ES6_15HIP_vector_typeIjLj2EENS0_17counting_iteratorIjlEEPS9_SG_NS0_5tupleIJPjSI_NS0_16reverse_iteratorISI_EEEEENSH_IJSG_SG_SG_EEES9_SI_JZNS1_25segmented_radix_sort_implINS0_14default_configELb1EPKdPdPKlPlN2at6native12_GLOBAL__N_18offset_tEEE10hipError_tPvRmT1_PNSt15iterator_traitsIS12_E10value_typeET2_T3_PNS13_IS18_E10value_typeET4_jRbjT5_S1E_jjP12ihipStream_tbEUljE_ZNSN_ISO_Lb1ESQ_SR_ST_SU_SY_EESZ_S10_S11_S12_S16_S17_S18_S1B_S1C_jS1D_jS1E_S1E_jjS1G_bEUljE0_EEESZ_S10_S11_S18_S1C_S1E_T6_T7_T9_mT8_S1G_bDpT10_ENKUlT_T0_E_clISt17integral_constantIbLb1EES1T_IbLb0EEEEDaS1P_S1Q_EUlS1P_E_NS1_11comp_targetILNS1_3genE3ELNS1_11target_archE908ELNS1_3gpuE7ELNS1_3repE0EEENS1_30default_config_static_selectorELNS0_4arch9wavefront6targetE0EEEvS12_
		.amdhsa_group_segment_fixed_size 0
		.amdhsa_private_segment_fixed_size 0
		.amdhsa_kernarg_size 176
		.amdhsa_user_sgpr_count 2
		.amdhsa_user_sgpr_dispatch_ptr 0
		.amdhsa_user_sgpr_queue_ptr 0
		.amdhsa_user_sgpr_kernarg_segment_ptr 1
		.amdhsa_user_sgpr_dispatch_id 0
		.amdhsa_user_sgpr_kernarg_preload_length 0
		.amdhsa_user_sgpr_kernarg_preload_offset 0
		.amdhsa_user_sgpr_private_segment_size 0
		.amdhsa_wavefront_size32 1
		.amdhsa_uses_dynamic_stack 0
		.amdhsa_enable_private_segment 0
		.amdhsa_system_sgpr_workgroup_id_x 1
		.amdhsa_system_sgpr_workgroup_id_y 0
		.amdhsa_system_sgpr_workgroup_id_z 0
		.amdhsa_system_sgpr_workgroup_info 0
		.amdhsa_system_vgpr_workitem_id 0
		.amdhsa_next_free_vgpr 1
		.amdhsa_next_free_sgpr 1
		.amdhsa_named_barrier_count 0
		.amdhsa_reserve_vcc 0
		.amdhsa_float_round_mode_32 0
		.amdhsa_float_round_mode_16_64 0
		.amdhsa_float_denorm_mode_32 3
		.amdhsa_float_denorm_mode_16_64 3
		.amdhsa_fp16_overflow 0
		.amdhsa_memory_ordered 1
		.amdhsa_forward_progress 1
		.amdhsa_inst_pref_size 0
		.amdhsa_round_robin_scheduling 0
		.amdhsa_exception_fp_ieee_invalid_op 0
		.amdhsa_exception_fp_denorm_src 0
		.amdhsa_exception_fp_ieee_div_zero 0
		.amdhsa_exception_fp_ieee_overflow 0
		.amdhsa_exception_fp_ieee_underflow 0
		.amdhsa_exception_fp_ieee_inexact 0
		.amdhsa_exception_int_div_zero 0
	.end_amdhsa_kernel
	.section	.text._ZN7rocprim17ROCPRIM_400000_NS6detail17trampoline_kernelINS0_13select_configILj256ELj13ELNS0_17block_load_methodE3ELS4_3ELS4_3ELNS0_20block_scan_algorithmE0ELj4294967295EEENS1_25partition_config_selectorILNS1_17partition_subalgoE4EjNS0_10empty_typeEbEEZZNS1_14partition_implILS8_4ELb0ES6_15HIP_vector_typeIjLj2EENS0_17counting_iteratorIjlEEPS9_SG_NS0_5tupleIJPjSI_NS0_16reverse_iteratorISI_EEEEENSH_IJSG_SG_SG_EEES9_SI_JZNS1_25segmented_radix_sort_implINS0_14default_configELb1EPKdPdPKlPlN2at6native12_GLOBAL__N_18offset_tEEE10hipError_tPvRmT1_PNSt15iterator_traitsIS12_E10value_typeET2_T3_PNS13_IS18_E10value_typeET4_jRbjT5_S1E_jjP12ihipStream_tbEUljE_ZNSN_ISO_Lb1ESQ_SR_ST_SU_SY_EESZ_S10_S11_S12_S16_S17_S18_S1B_S1C_jS1D_jS1E_S1E_jjS1G_bEUljE0_EEESZ_S10_S11_S18_S1C_S1E_T6_T7_T9_mT8_S1G_bDpT10_ENKUlT_T0_E_clISt17integral_constantIbLb1EES1T_IbLb0EEEEDaS1P_S1Q_EUlS1P_E_NS1_11comp_targetILNS1_3genE3ELNS1_11target_archE908ELNS1_3gpuE7ELNS1_3repE0EEENS1_30default_config_static_selectorELNS0_4arch9wavefront6targetE0EEEvS12_,"axG",@progbits,_ZN7rocprim17ROCPRIM_400000_NS6detail17trampoline_kernelINS0_13select_configILj256ELj13ELNS0_17block_load_methodE3ELS4_3ELS4_3ELNS0_20block_scan_algorithmE0ELj4294967295EEENS1_25partition_config_selectorILNS1_17partition_subalgoE4EjNS0_10empty_typeEbEEZZNS1_14partition_implILS8_4ELb0ES6_15HIP_vector_typeIjLj2EENS0_17counting_iteratorIjlEEPS9_SG_NS0_5tupleIJPjSI_NS0_16reverse_iteratorISI_EEEEENSH_IJSG_SG_SG_EEES9_SI_JZNS1_25segmented_radix_sort_implINS0_14default_configELb1EPKdPdPKlPlN2at6native12_GLOBAL__N_18offset_tEEE10hipError_tPvRmT1_PNSt15iterator_traitsIS12_E10value_typeET2_T3_PNS13_IS18_E10value_typeET4_jRbjT5_S1E_jjP12ihipStream_tbEUljE_ZNSN_ISO_Lb1ESQ_SR_ST_SU_SY_EESZ_S10_S11_S12_S16_S17_S18_S1B_S1C_jS1D_jS1E_S1E_jjS1G_bEUljE0_EEESZ_S10_S11_S18_S1C_S1E_T6_T7_T9_mT8_S1G_bDpT10_ENKUlT_T0_E_clISt17integral_constantIbLb1EES1T_IbLb0EEEEDaS1P_S1Q_EUlS1P_E_NS1_11comp_targetILNS1_3genE3ELNS1_11target_archE908ELNS1_3gpuE7ELNS1_3repE0EEENS1_30default_config_static_selectorELNS0_4arch9wavefront6targetE0EEEvS12_,comdat
.Lfunc_end1067:
	.size	_ZN7rocprim17ROCPRIM_400000_NS6detail17trampoline_kernelINS0_13select_configILj256ELj13ELNS0_17block_load_methodE3ELS4_3ELS4_3ELNS0_20block_scan_algorithmE0ELj4294967295EEENS1_25partition_config_selectorILNS1_17partition_subalgoE4EjNS0_10empty_typeEbEEZZNS1_14partition_implILS8_4ELb0ES6_15HIP_vector_typeIjLj2EENS0_17counting_iteratorIjlEEPS9_SG_NS0_5tupleIJPjSI_NS0_16reverse_iteratorISI_EEEEENSH_IJSG_SG_SG_EEES9_SI_JZNS1_25segmented_radix_sort_implINS0_14default_configELb1EPKdPdPKlPlN2at6native12_GLOBAL__N_18offset_tEEE10hipError_tPvRmT1_PNSt15iterator_traitsIS12_E10value_typeET2_T3_PNS13_IS18_E10value_typeET4_jRbjT5_S1E_jjP12ihipStream_tbEUljE_ZNSN_ISO_Lb1ESQ_SR_ST_SU_SY_EESZ_S10_S11_S12_S16_S17_S18_S1B_S1C_jS1D_jS1E_S1E_jjS1G_bEUljE0_EEESZ_S10_S11_S18_S1C_S1E_T6_T7_T9_mT8_S1G_bDpT10_ENKUlT_T0_E_clISt17integral_constantIbLb1EES1T_IbLb0EEEEDaS1P_S1Q_EUlS1P_E_NS1_11comp_targetILNS1_3genE3ELNS1_11target_archE908ELNS1_3gpuE7ELNS1_3repE0EEENS1_30default_config_static_selectorELNS0_4arch9wavefront6targetE0EEEvS12_, .Lfunc_end1067-_ZN7rocprim17ROCPRIM_400000_NS6detail17trampoline_kernelINS0_13select_configILj256ELj13ELNS0_17block_load_methodE3ELS4_3ELS4_3ELNS0_20block_scan_algorithmE0ELj4294967295EEENS1_25partition_config_selectorILNS1_17partition_subalgoE4EjNS0_10empty_typeEbEEZZNS1_14partition_implILS8_4ELb0ES6_15HIP_vector_typeIjLj2EENS0_17counting_iteratorIjlEEPS9_SG_NS0_5tupleIJPjSI_NS0_16reverse_iteratorISI_EEEEENSH_IJSG_SG_SG_EEES9_SI_JZNS1_25segmented_radix_sort_implINS0_14default_configELb1EPKdPdPKlPlN2at6native12_GLOBAL__N_18offset_tEEE10hipError_tPvRmT1_PNSt15iterator_traitsIS12_E10value_typeET2_T3_PNS13_IS18_E10value_typeET4_jRbjT5_S1E_jjP12ihipStream_tbEUljE_ZNSN_ISO_Lb1ESQ_SR_ST_SU_SY_EESZ_S10_S11_S12_S16_S17_S18_S1B_S1C_jS1D_jS1E_S1E_jjS1G_bEUljE0_EEESZ_S10_S11_S18_S1C_S1E_T6_T7_T9_mT8_S1G_bDpT10_ENKUlT_T0_E_clISt17integral_constantIbLb1EES1T_IbLb0EEEEDaS1P_S1Q_EUlS1P_E_NS1_11comp_targetILNS1_3genE3ELNS1_11target_archE908ELNS1_3gpuE7ELNS1_3repE0EEENS1_30default_config_static_selectorELNS0_4arch9wavefront6targetE0EEEvS12_
                                        ; -- End function
	.set _ZN7rocprim17ROCPRIM_400000_NS6detail17trampoline_kernelINS0_13select_configILj256ELj13ELNS0_17block_load_methodE3ELS4_3ELS4_3ELNS0_20block_scan_algorithmE0ELj4294967295EEENS1_25partition_config_selectorILNS1_17partition_subalgoE4EjNS0_10empty_typeEbEEZZNS1_14partition_implILS8_4ELb0ES6_15HIP_vector_typeIjLj2EENS0_17counting_iteratorIjlEEPS9_SG_NS0_5tupleIJPjSI_NS0_16reverse_iteratorISI_EEEEENSH_IJSG_SG_SG_EEES9_SI_JZNS1_25segmented_radix_sort_implINS0_14default_configELb1EPKdPdPKlPlN2at6native12_GLOBAL__N_18offset_tEEE10hipError_tPvRmT1_PNSt15iterator_traitsIS12_E10value_typeET2_T3_PNS13_IS18_E10value_typeET4_jRbjT5_S1E_jjP12ihipStream_tbEUljE_ZNSN_ISO_Lb1ESQ_SR_ST_SU_SY_EESZ_S10_S11_S12_S16_S17_S18_S1B_S1C_jS1D_jS1E_S1E_jjS1G_bEUljE0_EEESZ_S10_S11_S18_S1C_S1E_T6_T7_T9_mT8_S1G_bDpT10_ENKUlT_T0_E_clISt17integral_constantIbLb1EES1T_IbLb0EEEEDaS1P_S1Q_EUlS1P_E_NS1_11comp_targetILNS1_3genE3ELNS1_11target_archE908ELNS1_3gpuE7ELNS1_3repE0EEENS1_30default_config_static_selectorELNS0_4arch9wavefront6targetE0EEEvS12_.num_vgpr, 0
	.set _ZN7rocprim17ROCPRIM_400000_NS6detail17trampoline_kernelINS0_13select_configILj256ELj13ELNS0_17block_load_methodE3ELS4_3ELS4_3ELNS0_20block_scan_algorithmE0ELj4294967295EEENS1_25partition_config_selectorILNS1_17partition_subalgoE4EjNS0_10empty_typeEbEEZZNS1_14partition_implILS8_4ELb0ES6_15HIP_vector_typeIjLj2EENS0_17counting_iteratorIjlEEPS9_SG_NS0_5tupleIJPjSI_NS0_16reverse_iteratorISI_EEEEENSH_IJSG_SG_SG_EEES9_SI_JZNS1_25segmented_radix_sort_implINS0_14default_configELb1EPKdPdPKlPlN2at6native12_GLOBAL__N_18offset_tEEE10hipError_tPvRmT1_PNSt15iterator_traitsIS12_E10value_typeET2_T3_PNS13_IS18_E10value_typeET4_jRbjT5_S1E_jjP12ihipStream_tbEUljE_ZNSN_ISO_Lb1ESQ_SR_ST_SU_SY_EESZ_S10_S11_S12_S16_S17_S18_S1B_S1C_jS1D_jS1E_S1E_jjS1G_bEUljE0_EEESZ_S10_S11_S18_S1C_S1E_T6_T7_T9_mT8_S1G_bDpT10_ENKUlT_T0_E_clISt17integral_constantIbLb1EES1T_IbLb0EEEEDaS1P_S1Q_EUlS1P_E_NS1_11comp_targetILNS1_3genE3ELNS1_11target_archE908ELNS1_3gpuE7ELNS1_3repE0EEENS1_30default_config_static_selectorELNS0_4arch9wavefront6targetE0EEEvS12_.num_agpr, 0
	.set _ZN7rocprim17ROCPRIM_400000_NS6detail17trampoline_kernelINS0_13select_configILj256ELj13ELNS0_17block_load_methodE3ELS4_3ELS4_3ELNS0_20block_scan_algorithmE0ELj4294967295EEENS1_25partition_config_selectorILNS1_17partition_subalgoE4EjNS0_10empty_typeEbEEZZNS1_14partition_implILS8_4ELb0ES6_15HIP_vector_typeIjLj2EENS0_17counting_iteratorIjlEEPS9_SG_NS0_5tupleIJPjSI_NS0_16reverse_iteratorISI_EEEEENSH_IJSG_SG_SG_EEES9_SI_JZNS1_25segmented_radix_sort_implINS0_14default_configELb1EPKdPdPKlPlN2at6native12_GLOBAL__N_18offset_tEEE10hipError_tPvRmT1_PNSt15iterator_traitsIS12_E10value_typeET2_T3_PNS13_IS18_E10value_typeET4_jRbjT5_S1E_jjP12ihipStream_tbEUljE_ZNSN_ISO_Lb1ESQ_SR_ST_SU_SY_EESZ_S10_S11_S12_S16_S17_S18_S1B_S1C_jS1D_jS1E_S1E_jjS1G_bEUljE0_EEESZ_S10_S11_S18_S1C_S1E_T6_T7_T9_mT8_S1G_bDpT10_ENKUlT_T0_E_clISt17integral_constantIbLb1EES1T_IbLb0EEEEDaS1P_S1Q_EUlS1P_E_NS1_11comp_targetILNS1_3genE3ELNS1_11target_archE908ELNS1_3gpuE7ELNS1_3repE0EEENS1_30default_config_static_selectorELNS0_4arch9wavefront6targetE0EEEvS12_.numbered_sgpr, 0
	.set _ZN7rocprim17ROCPRIM_400000_NS6detail17trampoline_kernelINS0_13select_configILj256ELj13ELNS0_17block_load_methodE3ELS4_3ELS4_3ELNS0_20block_scan_algorithmE0ELj4294967295EEENS1_25partition_config_selectorILNS1_17partition_subalgoE4EjNS0_10empty_typeEbEEZZNS1_14partition_implILS8_4ELb0ES6_15HIP_vector_typeIjLj2EENS0_17counting_iteratorIjlEEPS9_SG_NS0_5tupleIJPjSI_NS0_16reverse_iteratorISI_EEEEENSH_IJSG_SG_SG_EEES9_SI_JZNS1_25segmented_radix_sort_implINS0_14default_configELb1EPKdPdPKlPlN2at6native12_GLOBAL__N_18offset_tEEE10hipError_tPvRmT1_PNSt15iterator_traitsIS12_E10value_typeET2_T3_PNS13_IS18_E10value_typeET4_jRbjT5_S1E_jjP12ihipStream_tbEUljE_ZNSN_ISO_Lb1ESQ_SR_ST_SU_SY_EESZ_S10_S11_S12_S16_S17_S18_S1B_S1C_jS1D_jS1E_S1E_jjS1G_bEUljE0_EEESZ_S10_S11_S18_S1C_S1E_T6_T7_T9_mT8_S1G_bDpT10_ENKUlT_T0_E_clISt17integral_constantIbLb1EES1T_IbLb0EEEEDaS1P_S1Q_EUlS1P_E_NS1_11comp_targetILNS1_3genE3ELNS1_11target_archE908ELNS1_3gpuE7ELNS1_3repE0EEENS1_30default_config_static_selectorELNS0_4arch9wavefront6targetE0EEEvS12_.num_named_barrier, 0
	.set _ZN7rocprim17ROCPRIM_400000_NS6detail17trampoline_kernelINS0_13select_configILj256ELj13ELNS0_17block_load_methodE3ELS4_3ELS4_3ELNS0_20block_scan_algorithmE0ELj4294967295EEENS1_25partition_config_selectorILNS1_17partition_subalgoE4EjNS0_10empty_typeEbEEZZNS1_14partition_implILS8_4ELb0ES6_15HIP_vector_typeIjLj2EENS0_17counting_iteratorIjlEEPS9_SG_NS0_5tupleIJPjSI_NS0_16reverse_iteratorISI_EEEEENSH_IJSG_SG_SG_EEES9_SI_JZNS1_25segmented_radix_sort_implINS0_14default_configELb1EPKdPdPKlPlN2at6native12_GLOBAL__N_18offset_tEEE10hipError_tPvRmT1_PNSt15iterator_traitsIS12_E10value_typeET2_T3_PNS13_IS18_E10value_typeET4_jRbjT5_S1E_jjP12ihipStream_tbEUljE_ZNSN_ISO_Lb1ESQ_SR_ST_SU_SY_EESZ_S10_S11_S12_S16_S17_S18_S1B_S1C_jS1D_jS1E_S1E_jjS1G_bEUljE0_EEESZ_S10_S11_S18_S1C_S1E_T6_T7_T9_mT8_S1G_bDpT10_ENKUlT_T0_E_clISt17integral_constantIbLb1EES1T_IbLb0EEEEDaS1P_S1Q_EUlS1P_E_NS1_11comp_targetILNS1_3genE3ELNS1_11target_archE908ELNS1_3gpuE7ELNS1_3repE0EEENS1_30default_config_static_selectorELNS0_4arch9wavefront6targetE0EEEvS12_.private_seg_size, 0
	.set _ZN7rocprim17ROCPRIM_400000_NS6detail17trampoline_kernelINS0_13select_configILj256ELj13ELNS0_17block_load_methodE3ELS4_3ELS4_3ELNS0_20block_scan_algorithmE0ELj4294967295EEENS1_25partition_config_selectorILNS1_17partition_subalgoE4EjNS0_10empty_typeEbEEZZNS1_14partition_implILS8_4ELb0ES6_15HIP_vector_typeIjLj2EENS0_17counting_iteratorIjlEEPS9_SG_NS0_5tupleIJPjSI_NS0_16reverse_iteratorISI_EEEEENSH_IJSG_SG_SG_EEES9_SI_JZNS1_25segmented_radix_sort_implINS0_14default_configELb1EPKdPdPKlPlN2at6native12_GLOBAL__N_18offset_tEEE10hipError_tPvRmT1_PNSt15iterator_traitsIS12_E10value_typeET2_T3_PNS13_IS18_E10value_typeET4_jRbjT5_S1E_jjP12ihipStream_tbEUljE_ZNSN_ISO_Lb1ESQ_SR_ST_SU_SY_EESZ_S10_S11_S12_S16_S17_S18_S1B_S1C_jS1D_jS1E_S1E_jjS1G_bEUljE0_EEESZ_S10_S11_S18_S1C_S1E_T6_T7_T9_mT8_S1G_bDpT10_ENKUlT_T0_E_clISt17integral_constantIbLb1EES1T_IbLb0EEEEDaS1P_S1Q_EUlS1P_E_NS1_11comp_targetILNS1_3genE3ELNS1_11target_archE908ELNS1_3gpuE7ELNS1_3repE0EEENS1_30default_config_static_selectorELNS0_4arch9wavefront6targetE0EEEvS12_.uses_vcc, 0
	.set _ZN7rocprim17ROCPRIM_400000_NS6detail17trampoline_kernelINS0_13select_configILj256ELj13ELNS0_17block_load_methodE3ELS4_3ELS4_3ELNS0_20block_scan_algorithmE0ELj4294967295EEENS1_25partition_config_selectorILNS1_17partition_subalgoE4EjNS0_10empty_typeEbEEZZNS1_14partition_implILS8_4ELb0ES6_15HIP_vector_typeIjLj2EENS0_17counting_iteratorIjlEEPS9_SG_NS0_5tupleIJPjSI_NS0_16reverse_iteratorISI_EEEEENSH_IJSG_SG_SG_EEES9_SI_JZNS1_25segmented_radix_sort_implINS0_14default_configELb1EPKdPdPKlPlN2at6native12_GLOBAL__N_18offset_tEEE10hipError_tPvRmT1_PNSt15iterator_traitsIS12_E10value_typeET2_T3_PNS13_IS18_E10value_typeET4_jRbjT5_S1E_jjP12ihipStream_tbEUljE_ZNSN_ISO_Lb1ESQ_SR_ST_SU_SY_EESZ_S10_S11_S12_S16_S17_S18_S1B_S1C_jS1D_jS1E_S1E_jjS1G_bEUljE0_EEESZ_S10_S11_S18_S1C_S1E_T6_T7_T9_mT8_S1G_bDpT10_ENKUlT_T0_E_clISt17integral_constantIbLb1EES1T_IbLb0EEEEDaS1P_S1Q_EUlS1P_E_NS1_11comp_targetILNS1_3genE3ELNS1_11target_archE908ELNS1_3gpuE7ELNS1_3repE0EEENS1_30default_config_static_selectorELNS0_4arch9wavefront6targetE0EEEvS12_.uses_flat_scratch, 0
	.set _ZN7rocprim17ROCPRIM_400000_NS6detail17trampoline_kernelINS0_13select_configILj256ELj13ELNS0_17block_load_methodE3ELS4_3ELS4_3ELNS0_20block_scan_algorithmE0ELj4294967295EEENS1_25partition_config_selectorILNS1_17partition_subalgoE4EjNS0_10empty_typeEbEEZZNS1_14partition_implILS8_4ELb0ES6_15HIP_vector_typeIjLj2EENS0_17counting_iteratorIjlEEPS9_SG_NS0_5tupleIJPjSI_NS0_16reverse_iteratorISI_EEEEENSH_IJSG_SG_SG_EEES9_SI_JZNS1_25segmented_radix_sort_implINS0_14default_configELb1EPKdPdPKlPlN2at6native12_GLOBAL__N_18offset_tEEE10hipError_tPvRmT1_PNSt15iterator_traitsIS12_E10value_typeET2_T3_PNS13_IS18_E10value_typeET4_jRbjT5_S1E_jjP12ihipStream_tbEUljE_ZNSN_ISO_Lb1ESQ_SR_ST_SU_SY_EESZ_S10_S11_S12_S16_S17_S18_S1B_S1C_jS1D_jS1E_S1E_jjS1G_bEUljE0_EEESZ_S10_S11_S18_S1C_S1E_T6_T7_T9_mT8_S1G_bDpT10_ENKUlT_T0_E_clISt17integral_constantIbLb1EES1T_IbLb0EEEEDaS1P_S1Q_EUlS1P_E_NS1_11comp_targetILNS1_3genE3ELNS1_11target_archE908ELNS1_3gpuE7ELNS1_3repE0EEENS1_30default_config_static_selectorELNS0_4arch9wavefront6targetE0EEEvS12_.has_dyn_sized_stack, 0
	.set _ZN7rocprim17ROCPRIM_400000_NS6detail17trampoline_kernelINS0_13select_configILj256ELj13ELNS0_17block_load_methodE3ELS4_3ELS4_3ELNS0_20block_scan_algorithmE0ELj4294967295EEENS1_25partition_config_selectorILNS1_17partition_subalgoE4EjNS0_10empty_typeEbEEZZNS1_14partition_implILS8_4ELb0ES6_15HIP_vector_typeIjLj2EENS0_17counting_iteratorIjlEEPS9_SG_NS0_5tupleIJPjSI_NS0_16reverse_iteratorISI_EEEEENSH_IJSG_SG_SG_EEES9_SI_JZNS1_25segmented_radix_sort_implINS0_14default_configELb1EPKdPdPKlPlN2at6native12_GLOBAL__N_18offset_tEEE10hipError_tPvRmT1_PNSt15iterator_traitsIS12_E10value_typeET2_T3_PNS13_IS18_E10value_typeET4_jRbjT5_S1E_jjP12ihipStream_tbEUljE_ZNSN_ISO_Lb1ESQ_SR_ST_SU_SY_EESZ_S10_S11_S12_S16_S17_S18_S1B_S1C_jS1D_jS1E_S1E_jjS1G_bEUljE0_EEESZ_S10_S11_S18_S1C_S1E_T6_T7_T9_mT8_S1G_bDpT10_ENKUlT_T0_E_clISt17integral_constantIbLb1EES1T_IbLb0EEEEDaS1P_S1Q_EUlS1P_E_NS1_11comp_targetILNS1_3genE3ELNS1_11target_archE908ELNS1_3gpuE7ELNS1_3repE0EEENS1_30default_config_static_selectorELNS0_4arch9wavefront6targetE0EEEvS12_.has_recursion, 0
	.set _ZN7rocprim17ROCPRIM_400000_NS6detail17trampoline_kernelINS0_13select_configILj256ELj13ELNS0_17block_load_methodE3ELS4_3ELS4_3ELNS0_20block_scan_algorithmE0ELj4294967295EEENS1_25partition_config_selectorILNS1_17partition_subalgoE4EjNS0_10empty_typeEbEEZZNS1_14partition_implILS8_4ELb0ES6_15HIP_vector_typeIjLj2EENS0_17counting_iteratorIjlEEPS9_SG_NS0_5tupleIJPjSI_NS0_16reverse_iteratorISI_EEEEENSH_IJSG_SG_SG_EEES9_SI_JZNS1_25segmented_radix_sort_implINS0_14default_configELb1EPKdPdPKlPlN2at6native12_GLOBAL__N_18offset_tEEE10hipError_tPvRmT1_PNSt15iterator_traitsIS12_E10value_typeET2_T3_PNS13_IS18_E10value_typeET4_jRbjT5_S1E_jjP12ihipStream_tbEUljE_ZNSN_ISO_Lb1ESQ_SR_ST_SU_SY_EESZ_S10_S11_S12_S16_S17_S18_S1B_S1C_jS1D_jS1E_S1E_jjS1G_bEUljE0_EEESZ_S10_S11_S18_S1C_S1E_T6_T7_T9_mT8_S1G_bDpT10_ENKUlT_T0_E_clISt17integral_constantIbLb1EES1T_IbLb0EEEEDaS1P_S1Q_EUlS1P_E_NS1_11comp_targetILNS1_3genE3ELNS1_11target_archE908ELNS1_3gpuE7ELNS1_3repE0EEENS1_30default_config_static_selectorELNS0_4arch9wavefront6targetE0EEEvS12_.has_indirect_call, 0
	.section	.AMDGPU.csdata,"",@progbits
; Kernel info:
; codeLenInByte = 0
; TotalNumSgprs: 0
; NumVgprs: 0
; ScratchSize: 0
; MemoryBound: 0
; FloatMode: 240
; IeeeMode: 1
; LDSByteSize: 0 bytes/workgroup (compile time only)
; SGPRBlocks: 0
; VGPRBlocks: 0
; NumSGPRsForWavesPerEU: 1
; NumVGPRsForWavesPerEU: 1
; NamedBarCnt: 0
; Occupancy: 16
; WaveLimiterHint : 0
; COMPUTE_PGM_RSRC2:SCRATCH_EN: 0
; COMPUTE_PGM_RSRC2:USER_SGPR: 2
; COMPUTE_PGM_RSRC2:TRAP_HANDLER: 0
; COMPUTE_PGM_RSRC2:TGID_X_EN: 1
; COMPUTE_PGM_RSRC2:TGID_Y_EN: 0
; COMPUTE_PGM_RSRC2:TGID_Z_EN: 0
; COMPUTE_PGM_RSRC2:TIDIG_COMP_CNT: 0
	.section	.text._ZN7rocprim17ROCPRIM_400000_NS6detail17trampoline_kernelINS0_13select_configILj256ELj13ELNS0_17block_load_methodE3ELS4_3ELS4_3ELNS0_20block_scan_algorithmE0ELj4294967295EEENS1_25partition_config_selectorILNS1_17partition_subalgoE4EjNS0_10empty_typeEbEEZZNS1_14partition_implILS8_4ELb0ES6_15HIP_vector_typeIjLj2EENS0_17counting_iteratorIjlEEPS9_SG_NS0_5tupleIJPjSI_NS0_16reverse_iteratorISI_EEEEENSH_IJSG_SG_SG_EEES9_SI_JZNS1_25segmented_radix_sort_implINS0_14default_configELb1EPKdPdPKlPlN2at6native12_GLOBAL__N_18offset_tEEE10hipError_tPvRmT1_PNSt15iterator_traitsIS12_E10value_typeET2_T3_PNS13_IS18_E10value_typeET4_jRbjT5_S1E_jjP12ihipStream_tbEUljE_ZNSN_ISO_Lb1ESQ_SR_ST_SU_SY_EESZ_S10_S11_S12_S16_S17_S18_S1B_S1C_jS1D_jS1E_S1E_jjS1G_bEUljE0_EEESZ_S10_S11_S18_S1C_S1E_T6_T7_T9_mT8_S1G_bDpT10_ENKUlT_T0_E_clISt17integral_constantIbLb1EES1T_IbLb0EEEEDaS1P_S1Q_EUlS1P_E_NS1_11comp_targetILNS1_3genE2ELNS1_11target_archE906ELNS1_3gpuE6ELNS1_3repE0EEENS1_30default_config_static_selectorELNS0_4arch9wavefront6targetE0EEEvS12_,"axG",@progbits,_ZN7rocprim17ROCPRIM_400000_NS6detail17trampoline_kernelINS0_13select_configILj256ELj13ELNS0_17block_load_methodE3ELS4_3ELS4_3ELNS0_20block_scan_algorithmE0ELj4294967295EEENS1_25partition_config_selectorILNS1_17partition_subalgoE4EjNS0_10empty_typeEbEEZZNS1_14partition_implILS8_4ELb0ES6_15HIP_vector_typeIjLj2EENS0_17counting_iteratorIjlEEPS9_SG_NS0_5tupleIJPjSI_NS0_16reverse_iteratorISI_EEEEENSH_IJSG_SG_SG_EEES9_SI_JZNS1_25segmented_radix_sort_implINS0_14default_configELb1EPKdPdPKlPlN2at6native12_GLOBAL__N_18offset_tEEE10hipError_tPvRmT1_PNSt15iterator_traitsIS12_E10value_typeET2_T3_PNS13_IS18_E10value_typeET4_jRbjT5_S1E_jjP12ihipStream_tbEUljE_ZNSN_ISO_Lb1ESQ_SR_ST_SU_SY_EESZ_S10_S11_S12_S16_S17_S18_S1B_S1C_jS1D_jS1E_S1E_jjS1G_bEUljE0_EEESZ_S10_S11_S18_S1C_S1E_T6_T7_T9_mT8_S1G_bDpT10_ENKUlT_T0_E_clISt17integral_constantIbLb1EES1T_IbLb0EEEEDaS1P_S1Q_EUlS1P_E_NS1_11comp_targetILNS1_3genE2ELNS1_11target_archE906ELNS1_3gpuE6ELNS1_3repE0EEENS1_30default_config_static_selectorELNS0_4arch9wavefront6targetE0EEEvS12_,comdat
	.globl	_ZN7rocprim17ROCPRIM_400000_NS6detail17trampoline_kernelINS0_13select_configILj256ELj13ELNS0_17block_load_methodE3ELS4_3ELS4_3ELNS0_20block_scan_algorithmE0ELj4294967295EEENS1_25partition_config_selectorILNS1_17partition_subalgoE4EjNS0_10empty_typeEbEEZZNS1_14partition_implILS8_4ELb0ES6_15HIP_vector_typeIjLj2EENS0_17counting_iteratorIjlEEPS9_SG_NS0_5tupleIJPjSI_NS0_16reverse_iteratorISI_EEEEENSH_IJSG_SG_SG_EEES9_SI_JZNS1_25segmented_radix_sort_implINS0_14default_configELb1EPKdPdPKlPlN2at6native12_GLOBAL__N_18offset_tEEE10hipError_tPvRmT1_PNSt15iterator_traitsIS12_E10value_typeET2_T3_PNS13_IS18_E10value_typeET4_jRbjT5_S1E_jjP12ihipStream_tbEUljE_ZNSN_ISO_Lb1ESQ_SR_ST_SU_SY_EESZ_S10_S11_S12_S16_S17_S18_S1B_S1C_jS1D_jS1E_S1E_jjS1G_bEUljE0_EEESZ_S10_S11_S18_S1C_S1E_T6_T7_T9_mT8_S1G_bDpT10_ENKUlT_T0_E_clISt17integral_constantIbLb1EES1T_IbLb0EEEEDaS1P_S1Q_EUlS1P_E_NS1_11comp_targetILNS1_3genE2ELNS1_11target_archE906ELNS1_3gpuE6ELNS1_3repE0EEENS1_30default_config_static_selectorELNS0_4arch9wavefront6targetE0EEEvS12_ ; -- Begin function _ZN7rocprim17ROCPRIM_400000_NS6detail17trampoline_kernelINS0_13select_configILj256ELj13ELNS0_17block_load_methodE3ELS4_3ELS4_3ELNS0_20block_scan_algorithmE0ELj4294967295EEENS1_25partition_config_selectorILNS1_17partition_subalgoE4EjNS0_10empty_typeEbEEZZNS1_14partition_implILS8_4ELb0ES6_15HIP_vector_typeIjLj2EENS0_17counting_iteratorIjlEEPS9_SG_NS0_5tupleIJPjSI_NS0_16reverse_iteratorISI_EEEEENSH_IJSG_SG_SG_EEES9_SI_JZNS1_25segmented_radix_sort_implINS0_14default_configELb1EPKdPdPKlPlN2at6native12_GLOBAL__N_18offset_tEEE10hipError_tPvRmT1_PNSt15iterator_traitsIS12_E10value_typeET2_T3_PNS13_IS18_E10value_typeET4_jRbjT5_S1E_jjP12ihipStream_tbEUljE_ZNSN_ISO_Lb1ESQ_SR_ST_SU_SY_EESZ_S10_S11_S12_S16_S17_S18_S1B_S1C_jS1D_jS1E_S1E_jjS1G_bEUljE0_EEESZ_S10_S11_S18_S1C_S1E_T6_T7_T9_mT8_S1G_bDpT10_ENKUlT_T0_E_clISt17integral_constantIbLb1EES1T_IbLb0EEEEDaS1P_S1Q_EUlS1P_E_NS1_11comp_targetILNS1_3genE2ELNS1_11target_archE906ELNS1_3gpuE6ELNS1_3repE0EEENS1_30default_config_static_selectorELNS0_4arch9wavefront6targetE0EEEvS12_
	.p2align	8
	.type	_ZN7rocprim17ROCPRIM_400000_NS6detail17trampoline_kernelINS0_13select_configILj256ELj13ELNS0_17block_load_methodE3ELS4_3ELS4_3ELNS0_20block_scan_algorithmE0ELj4294967295EEENS1_25partition_config_selectorILNS1_17partition_subalgoE4EjNS0_10empty_typeEbEEZZNS1_14partition_implILS8_4ELb0ES6_15HIP_vector_typeIjLj2EENS0_17counting_iteratorIjlEEPS9_SG_NS0_5tupleIJPjSI_NS0_16reverse_iteratorISI_EEEEENSH_IJSG_SG_SG_EEES9_SI_JZNS1_25segmented_radix_sort_implINS0_14default_configELb1EPKdPdPKlPlN2at6native12_GLOBAL__N_18offset_tEEE10hipError_tPvRmT1_PNSt15iterator_traitsIS12_E10value_typeET2_T3_PNS13_IS18_E10value_typeET4_jRbjT5_S1E_jjP12ihipStream_tbEUljE_ZNSN_ISO_Lb1ESQ_SR_ST_SU_SY_EESZ_S10_S11_S12_S16_S17_S18_S1B_S1C_jS1D_jS1E_S1E_jjS1G_bEUljE0_EEESZ_S10_S11_S18_S1C_S1E_T6_T7_T9_mT8_S1G_bDpT10_ENKUlT_T0_E_clISt17integral_constantIbLb1EES1T_IbLb0EEEEDaS1P_S1Q_EUlS1P_E_NS1_11comp_targetILNS1_3genE2ELNS1_11target_archE906ELNS1_3gpuE6ELNS1_3repE0EEENS1_30default_config_static_selectorELNS0_4arch9wavefront6targetE0EEEvS12_,@function
_ZN7rocprim17ROCPRIM_400000_NS6detail17trampoline_kernelINS0_13select_configILj256ELj13ELNS0_17block_load_methodE3ELS4_3ELS4_3ELNS0_20block_scan_algorithmE0ELj4294967295EEENS1_25partition_config_selectorILNS1_17partition_subalgoE4EjNS0_10empty_typeEbEEZZNS1_14partition_implILS8_4ELb0ES6_15HIP_vector_typeIjLj2EENS0_17counting_iteratorIjlEEPS9_SG_NS0_5tupleIJPjSI_NS0_16reverse_iteratorISI_EEEEENSH_IJSG_SG_SG_EEES9_SI_JZNS1_25segmented_radix_sort_implINS0_14default_configELb1EPKdPdPKlPlN2at6native12_GLOBAL__N_18offset_tEEE10hipError_tPvRmT1_PNSt15iterator_traitsIS12_E10value_typeET2_T3_PNS13_IS18_E10value_typeET4_jRbjT5_S1E_jjP12ihipStream_tbEUljE_ZNSN_ISO_Lb1ESQ_SR_ST_SU_SY_EESZ_S10_S11_S12_S16_S17_S18_S1B_S1C_jS1D_jS1E_S1E_jjS1G_bEUljE0_EEESZ_S10_S11_S18_S1C_S1E_T6_T7_T9_mT8_S1G_bDpT10_ENKUlT_T0_E_clISt17integral_constantIbLb1EES1T_IbLb0EEEEDaS1P_S1Q_EUlS1P_E_NS1_11comp_targetILNS1_3genE2ELNS1_11target_archE906ELNS1_3gpuE6ELNS1_3repE0EEENS1_30default_config_static_selectorELNS0_4arch9wavefront6targetE0EEEvS12_: ; @_ZN7rocprim17ROCPRIM_400000_NS6detail17trampoline_kernelINS0_13select_configILj256ELj13ELNS0_17block_load_methodE3ELS4_3ELS4_3ELNS0_20block_scan_algorithmE0ELj4294967295EEENS1_25partition_config_selectorILNS1_17partition_subalgoE4EjNS0_10empty_typeEbEEZZNS1_14partition_implILS8_4ELb0ES6_15HIP_vector_typeIjLj2EENS0_17counting_iteratorIjlEEPS9_SG_NS0_5tupleIJPjSI_NS0_16reverse_iteratorISI_EEEEENSH_IJSG_SG_SG_EEES9_SI_JZNS1_25segmented_radix_sort_implINS0_14default_configELb1EPKdPdPKlPlN2at6native12_GLOBAL__N_18offset_tEEE10hipError_tPvRmT1_PNSt15iterator_traitsIS12_E10value_typeET2_T3_PNS13_IS18_E10value_typeET4_jRbjT5_S1E_jjP12ihipStream_tbEUljE_ZNSN_ISO_Lb1ESQ_SR_ST_SU_SY_EESZ_S10_S11_S12_S16_S17_S18_S1B_S1C_jS1D_jS1E_S1E_jjS1G_bEUljE0_EEESZ_S10_S11_S18_S1C_S1E_T6_T7_T9_mT8_S1G_bDpT10_ENKUlT_T0_E_clISt17integral_constantIbLb1EES1T_IbLb0EEEEDaS1P_S1Q_EUlS1P_E_NS1_11comp_targetILNS1_3genE2ELNS1_11target_archE906ELNS1_3gpuE6ELNS1_3repE0EEENS1_30default_config_static_selectorELNS0_4arch9wavefront6targetE0EEEvS12_
; %bb.0:
	.section	.rodata,"a",@progbits
	.p2align	6, 0x0
	.amdhsa_kernel _ZN7rocprim17ROCPRIM_400000_NS6detail17trampoline_kernelINS0_13select_configILj256ELj13ELNS0_17block_load_methodE3ELS4_3ELS4_3ELNS0_20block_scan_algorithmE0ELj4294967295EEENS1_25partition_config_selectorILNS1_17partition_subalgoE4EjNS0_10empty_typeEbEEZZNS1_14partition_implILS8_4ELb0ES6_15HIP_vector_typeIjLj2EENS0_17counting_iteratorIjlEEPS9_SG_NS0_5tupleIJPjSI_NS0_16reverse_iteratorISI_EEEEENSH_IJSG_SG_SG_EEES9_SI_JZNS1_25segmented_radix_sort_implINS0_14default_configELb1EPKdPdPKlPlN2at6native12_GLOBAL__N_18offset_tEEE10hipError_tPvRmT1_PNSt15iterator_traitsIS12_E10value_typeET2_T3_PNS13_IS18_E10value_typeET4_jRbjT5_S1E_jjP12ihipStream_tbEUljE_ZNSN_ISO_Lb1ESQ_SR_ST_SU_SY_EESZ_S10_S11_S12_S16_S17_S18_S1B_S1C_jS1D_jS1E_S1E_jjS1G_bEUljE0_EEESZ_S10_S11_S18_S1C_S1E_T6_T7_T9_mT8_S1G_bDpT10_ENKUlT_T0_E_clISt17integral_constantIbLb1EES1T_IbLb0EEEEDaS1P_S1Q_EUlS1P_E_NS1_11comp_targetILNS1_3genE2ELNS1_11target_archE906ELNS1_3gpuE6ELNS1_3repE0EEENS1_30default_config_static_selectorELNS0_4arch9wavefront6targetE0EEEvS12_
		.amdhsa_group_segment_fixed_size 0
		.amdhsa_private_segment_fixed_size 0
		.amdhsa_kernarg_size 176
		.amdhsa_user_sgpr_count 2
		.amdhsa_user_sgpr_dispatch_ptr 0
		.amdhsa_user_sgpr_queue_ptr 0
		.amdhsa_user_sgpr_kernarg_segment_ptr 1
		.amdhsa_user_sgpr_dispatch_id 0
		.amdhsa_user_sgpr_kernarg_preload_length 0
		.amdhsa_user_sgpr_kernarg_preload_offset 0
		.amdhsa_user_sgpr_private_segment_size 0
		.amdhsa_wavefront_size32 1
		.amdhsa_uses_dynamic_stack 0
		.amdhsa_enable_private_segment 0
		.amdhsa_system_sgpr_workgroup_id_x 1
		.amdhsa_system_sgpr_workgroup_id_y 0
		.amdhsa_system_sgpr_workgroup_id_z 0
		.amdhsa_system_sgpr_workgroup_info 0
		.amdhsa_system_vgpr_workitem_id 0
		.amdhsa_next_free_vgpr 1
		.amdhsa_next_free_sgpr 1
		.amdhsa_named_barrier_count 0
		.amdhsa_reserve_vcc 0
		.amdhsa_float_round_mode_32 0
		.amdhsa_float_round_mode_16_64 0
		.amdhsa_float_denorm_mode_32 3
		.amdhsa_float_denorm_mode_16_64 3
		.amdhsa_fp16_overflow 0
		.amdhsa_memory_ordered 1
		.amdhsa_forward_progress 1
		.amdhsa_inst_pref_size 0
		.amdhsa_round_robin_scheduling 0
		.amdhsa_exception_fp_ieee_invalid_op 0
		.amdhsa_exception_fp_denorm_src 0
		.amdhsa_exception_fp_ieee_div_zero 0
		.amdhsa_exception_fp_ieee_overflow 0
		.amdhsa_exception_fp_ieee_underflow 0
		.amdhsa_exception_fp_ieee_inexact 0
		.amdhsa_exception_int_div_zero 0
	.end_amdhsa_kernel
	.section	.text._ZN7rocprim17ROCPRIM_400000_NS6detail17trampoline_kernelINS0_13select_configILj256ELj13ELNS0_17block_load_methodE3ELS4_3ELS4_3ELNS0_20block_scan_algorithmE0ELj4294967295EEENS1_25partition_config_selectorILNS1_17partition_subalgoE4EjNS0_10empty_typeEbEEZZNS1_14partition_implILS8_4ELb0ES6_15HIP_vector_typeIjLj2EENS0_17counting_iteratorIjlEEPS9_SG_NS0_5tupleIJPjSI_NS0_16reverse_iteratorISI_EEEEENSH_IJSG_SG_SG_EEES9_SI_JZNS1_25segmented_radix_sort_implINS0_14default_configELb1EPKdPdPKlPlN2at6native12_GLOBAL__N_18offset_tEEE10hipError_tPvRmT1_PNSt15iterator_traitsIS12_E10value_typeET2_T3_PNS13_IS18_E10value_typeET4_jRbjT5_S1E_jjP12ihipStream_tbEUljE_ZNSN_ISO_Lb1ESQ_SR_ST_SU_SY_EESZ_S10_S11_S12_S16_S17_S18_S1B_S1C_jS1D_jS1E_S1E_jjS1G_bEUljE0_EEESZ_S10_S11_S18_S1C_S1E_T6_T7_T9_mT8_S1G_bDpT10_ENKUlT_T0_E_clISt17integral_constantIbLb1EES1T_IbLb0EEEEDaS1P_S1Q_EUlS1P_E_NS1_11comp_targetILNS1_3genE2ELNS1_11target_archE906ELNS1_3gpuE6ELNS1_3repE0EEENS1_30default_config_static_selectorELNS0_4arch9wavefront6targetE0EEEvS12_,"axG",@progbits,_ZN7rocprim17ROCPRIM_400000_NS6detail17trampoline_kernelINS0_13select_configILj256ELj13ELNS0_17block_load_methodE3ELS4_3ELS4_3ELNS0_20block_scan_algorithmE0ELj4294967295EEENS1_25partition_config_selectorILNS1_17partition_subalgoE4EjNS0_10empty_typeEbEEZZNS1_14partition_implILS8_4ELb0ES6_15HIP_vector_typeIjLj2EENS0_17counting_iteratorIjlEEPS9_SG_NS0_5tupleIJPjSI_NS0_16reverse_iteratorISI_EEEEENSH_IJSG_SG_SG_EEES9_SI_JZNS1_25segmented_radix_sort_implINS0_14default_configELb1EPKdPdPKlPlN2at6native12_GLOBAL__N_18offset_tEEE10hipError_tPvRmT1_PNSt15iterator_traitsIS12_E10value_typeET2_T3_PNS13_IS18_E10value_typeET4_jRbjT5_S1E_jjP12ihipStream_tbEUljE_ZNSN_ISO_Lb1ESQ_SR_ST_SU_SY_EESZ_S10_S11_S12_S16_S17_S18_S1B_S1C_jS1D_jS1E_S1E_jjS1G_bEUljE0_EEESZ_S10_S11_S18_S1C_S1E_T6_T7_T9_mT8_S1G_bDpT10_ENKUlT_T0_E_clISt17integral_constantIbLb1EES1T_IbLb0EEEEDaS1P_S1Q_EUlS1P_E_NS1_11comp_targetILNS1_3genE2ELNS1_11target_archE906ELNS1_3gpuE6ELNS1_3repE0EEENS1_30default_config_static_selectorELNS0_4arch9wavefront6targetE0EEEvS12_,comdat
.Lfunc_end1068:
	.size	_ZN7rocprim17ROCPRIM_400000_NS6detail17trampoline_kernelINS0_13select_configILj256ELj13ELNS0_17block_load_methodE3ELS4_3ELS4_3ELNS0_20block_scan_algorithmE0ELj4294967295EEENS1_25partition_config_selectorILNS1_17partition_subalgoE4EjNS0_10empty_typeEbEEZZNS1_14partition_implILS8_4ELb0ES6_15HIP_vector_typeIjLj2EENS0_17counting_iteratorIjlEEPS9_SG_NS0_5tupleIJPjSI_NS0_16reverse_iteratorISI_EEEEENSH_IJSG_SG_SG_EEES9_SI_JZNS1_25segmented_radix_sort_implINS0_14default_configELb1EPKdPdPKlPlN2at6native12_GLOBAL__N_18offset_tEEE10hipError_tPvRmT1_PNSt15iterator_traitsIS12_E10value_typeET2_T3_PNS13_IS18_E10value_typeET4_jRbjT5_S1E_jjP12ihipStream_tbEUljE_ZNSN_ISO_Lb1ESQ_SR_ST_SU_SY_EESZ_S10_S11_S12_S16_S17_S18_S1B_S1C_jS1D_jS1E_S1E_jjS1G_bEUljE0_EEESZ_S10_S11_S18_S1C_S1E_T6_T7_T9_mT8_S1G_bDpT10_ENKUlT_T0_E_clISt17integral_constantIbLb1EES1T_IbLb0EEEEDaS1P_S1Q_EUlS1P_E_NS1_11comp_targetILNS1_3genE2ELNS1_11target_archE906ELNS1_3gpuE6ELNS1_3repE0EEENS1_30default_config_static_selectorELNS0_4arch9wavefront6targetE0EEEvS12_, .Lfunc_end1068-_ZN7rocprim17ROCPRIM_400000_NS6detail17trampoline_kernelINS0_13select_configILj256ELj13ELNS0_17block_load_methodE3ELS4_3ELS4_3ELNS0_20block_scan_algorithmE0ELj4294967295EEENS1_25partition_config_selectorILNS1_17partition_subalgoE4EjNS0_10empty_typeEbEEZZNS1_14partition_implILS8_4ELb0ES6_15HIP_vector_typeIjLj2EENS0_17counting_iteratorIjlEEPS9_SG_NS0_5tupleIJPjSI_NS0_16reverse_iteratorISI_EEEEENSH_IJSG_SG_SG_EEES9_SI_JZNS1_25segmented_radix_sort_implINS0_14default_configELb1EPKdPdPKlPlN2at6native12_GLOBAL__N_18offset_tEEE10hipError_tPvRmT1_PNSt15iterator_traitsIS12_E10value_typeET2_T3_PNS13_IS18_E10value_typeET4_jRbjT5_S1E_jjP12ihipStream_tbEUljE_ZNSN_ISO_Lb1ESQ_SR_ST_SU_SY_EESZ_S10_S11_S12_S16_S17_S18_S1B_S1C_jS1D_jS1E_S1E_jjS1G_bEUljE0_EEESZ_S10_S11_S18_S1C_S1E_T6_T7_T9_mT8_S1G_bDpT10_ENKUlT_T0_E_clISt17integral_constantIbLb1EES1T_IbLb0EEEEDaS1P_S1Q_EUlS1P_E_NS1_11comp_targetILNS1_3genE2ELNS1_11target_archE906ELNS1_3gpuE6ELNS1_3repE0EEENS1_30default_config_static_selectorELNS0_4arch9wavefront6targetE0EEEvS12_
                                        ; -- End function
	.set _ZN7rocprim17ROCPRIM_400000_NS6detail17trampoline_kernelINS0_13select_configILj256ELj13ELNS0_17block_load_methodE3ELS4_3ELS4_3ELNS0_20block_scan_algorithmE0ELj4294967295EEENS1_25partition_config_selectorILNS1_17partition_subalgoE4EjNS0_10empty_typeEbEEZZNS1_14partition_implILS8_4ELb0ES6_15HIP_vector_typeIjLj2EENS0_17counting_iteratorIjlEEPS9_SG_NS0_5tupleIJPjSI_NS0_16reverse_iteratorISI_EEEEENSH_IJSG_SG_SG_EEES9_SI_JZNS1_25segmented_radix_sort_implINS0_14default_configELb1EPKdPdPKlPlN2at6native12_GLOBAL__N_18offset_tEEE10hipError_tPvRmT1_PNSt15iterator_traitsIS12_E10value_typeET2_T3_PNS13_IS18_E10value_typeET4_jRbjT5_S1E_jjP12ihipStream_tbEUljE_ZNSN_ISO_Lb1ESQ_SR_ST_SU_SY_EESZ_S10_S11_S12_S16_S17_S18_S1B_S1C_jS1D_jS1E_S1E_jjS1G_bEUljE0_EEESZ_S10_S11_S18_S1C_S1E_T6_T7_T9_mT8_S1G_bDpT10_ENKUlT_T0_E_clISt17integral_constantIbLb1EES1T_IbLb0EEEEDaS1P_S1Q_EUlS1P_E_NS1_11comp_targetILNS1_3genE2ELNS1_11target_archE906ELNS1_3gpuE6ELNS1_3repE0EEENS1_30default_config_static_selectorELNS0_4arch9wavefront6targetE0EEEvS12_.num_vgpr, 0
	.set _ZN7rocprim17ROCPRIM_400000_NS6detail17trampoline_kernelINS0_13select_configILj256ELj13ELNS0_17block_load_methodE3ELS4_3ELS4_3ELNS0_20block_scan_algorithmE0ELj4294967295EEENS1_25partition_config_selectorILNS1_17partition_subalgoE4EjNS0_10empty_typeEbEEZZNS1_14partition_implILS8_4ELb0ES6_15HIP_vector_typeIjLj2EENS0_17counting_iteratorIjlEEPS9_SG_NS0_5tupleIJPjSI_NS0_16reverse_iteratorISI_EEEEENSH_IJSG_SG_SG_EEES9_SI_JZNS1_25segmented_radix_sort_implINS0_14default_configELb1EPKdPdPKlPlN2at6native12_GLOBAL__N_18offset_tEEE10hipError_tPvRmT1_PNSt15iterator_traitsIS12_E10value_typeET2_T3_PNS13_IS18_E10value_typeET4_jRbjT5_S1E_jjP12ihipStream_tbEUljE_ZNSN_ISO_Lb1ESQ_SR_ST_SU_SY_EESZ_S10_S11_S12_S16_S17_S18_S1B_S1C_jS1D_jS1E_S1E_jjS1G_bEUljE0_EEESZ_S10_S11_S18_S1C_S1E_T6_T7_T9_mT8_S1G_bDpT10_ENKUlT_T0_E_clISt17integral_constantIbLb1EES1T_IbLb0EEEEDaS1P_S1Q_EUlS1P_E_NS1_11comp_targetILNS1_3genE2ELNS1_11target_archE906ELNS1_3gpuE6ELNS1_3repE0EEENS1_30default_config_static_selectorELNS0_4arch9wavefront6targetE0EEEvS12_.num_agpr, 0
	.set _ZN7rocprim17ROCPRIM_400000_NS6detail17trampoline_kernelINS0_13select_configILj256ELj13ELNS0_17block_load_methodE3ELS4_3ELS4_3ELNS0_20block_scan_algorithmE0ELj4294967295EEENS1_25partition_config_selectorILNS1_17partition_subalgoE4EjNS0_10empty_typeEbEEZZNS1_14partition_implILS8_4ELb0ES6_15HIP_vector_typeIjLj2EENS0_17counting_iteratorIjlEEPS9_SG_NS0_5tupleIJPjSI_NS0_16reverse_iteratorISI_EEEEENSH_IJSG_SG_SG_EEES9_SI_JZNS1_25segmented_radix_sort_implINS0_14default_configELb1EPKdPdPKlPlN2at6native12_GLOBAL__N_18offset_tEEE10hipError_tPvRmT1_PNSt15iterator_traitsIS12_E10value_typeET2_T3_PNS13_IS18_E10value_typeET4_jRbjT5_S1E_jjP12ihipStream_tbEUljE_ZNSN_ISO_Lb1ESQ_SR_ST_SU_SY_EESZ_S10_S11_S12_S16_S17_S18_S1B_S1C_jS1D_jS1E_S1E_jjS1G_bEUljE0_EEESZ_S10_S11_S18_S1C_S1E_T6_T7_T9_mT8_S1G_bDpT10_ENKUlT_T0_E_clISt17integral_constantIbLb1EES1T_IbLb0EEEEDaS1P_S1Q_EUlS1P_E_NS1_11comp_targetILNS1_3genE2ELNS1_11target_archE906ELNS1_3gpuE6ELNS1_3repE0EEENS1_30default_config_static_selectorELNS0_4arch9wavefront6targetE0EEEvS12_.numbered_sgpr, 0
	.set _ZN7rocprim17ROCPRIM_400000_NS6detail17trampoline_kernelINS0_13select_configILj256ELj13ELNS0_17block_load_methodE3ELS4_3ELS4_3ELNS0_20block_scan_algorithmE0ELj4294967295EEENS1_25partition_config_selectorILNS1_17partition_subalgoE4EjNS0_10empty_typeEbEEZZNS1_14partition_implILS8_4ELb0ES6_15HIP_vector_typeIjLj2EENS0_17counting_iteratorIjlEEPS9_SG_NS0_5tupleIJPjSI_NS0_16reverse_iteratorISI_EEEEENSH_IJSG_SG_SG_EEES9_SI_JZNS1_25segmented_radix_sort_implINS0_14default_configELb1EPKdPdPKlPlN2at6native12_GLOBAL__N_18offset_tEEE10hipError_tPvRmT1_PNSt15iterator_traitsIS12_E10value_typeET2_T3_PNS13_IS18_E10value_typeET4_jRbjT5_S1E_jjP12ihipStream_tbEUljE_ZNSN_ISO_Lb1ESQ_SR_ST_SU_SY_EESZ_S10_S11_S12_S16_S17_S18_S1B_S1C_jS1D_jS1E_S1E_jjS1G_bEUljE0_EEESZ_S10_S11_S18_S1C_S1E_T6_T7_T9_mT8_S1G_bDpT10_ENKUlT_T0_E_clISt17integral_constantIbLb1EES1T_IbLb0EEEEDaS1P_S1Q_EUlS1P_E_NS1_11comp_targetILNS1_3genE2ELNS1_11target_archE906ELNS1_3gpuE6ELNS1_3repE0EEENS1_30default_config_static_selectorELNS0_4arch9wavefront6targetE0EEEvS12_.num_named_barrier, 0
	.set _ZN7rocprim17ROCPRIM_400000_NS6detail17trampoline_kernelINS0_13select_configILj256ELj13ELNS0_17block_load_methodE3ELS4_3ELS4_3ELNS0_20block_scan_algorithmE0ELj4294967295EEENS1_25partition_config_selectorILNS1_17partition_subalgoE4EjNS0_10empty_typeEbEEZZNS1_14partition_implILS8_4ELb0ES6_15HIP_vector_typeIjLj2EENS0_17counting_iteratorIjlEEPS9_SG_NS0_5tupleIJPjSI_NS0_16reverse_iteratorISI_EEEEENSH_IJSG_SG_SG_EEES9_SI_JZNS1_25segmented_radix_sort_implINS0_14default_configELb1EPKdPdPKlPlN2at6native12_GLOBAL__N_18offset_tEEE10hipError_tPvRmT1_PNSt15iterator_traitsIS12_E10value_typeET2_T3_PNS13_IS18_E10value_typeET4_jRbjT5_S1E_jjP12ihipStream_tbEUljE_ZNSN_ISO_Lb1ESQ_SR_ST_SU_SY_EESZ_S10_S11_S12_S16_S17_S18_S1B_S1C_jS1D_jS1E_S1E_jjS1G_bEUljE0_EEESZ_S10_S11_S18_S1C_S1E_T6_T7_T9_mT8_S1G_bDpT10_ENKUlT_T0_E_clISt17integral_constantIbLb1EES1T_IbLb0EEEEDaS1P_S1Q_EUlS1P_E_NS1_11comp_targetILNS1_3genE2ELNS1_11target_archE906ELNS1_3gpuE6ELNS1_3repE0EEENS1_30default_config_static_selectorELNS0_4arch9wavefront6targetE0EEEvS12_.private_seg_size, 0
	.set _ZN7rocprim17ROCPRIM_400000_NS6detail17trampoline_kernelINS0_13select_configILj256ELj13ELNS0_17block_load_methodE3ELS4_3ELS4_3ELNS0_20block_scan_algorithmE0ELj4294967295EEENS1_25partition_config_selectorILNS1_17partition_subalgoE4EjNS0_10empty_typeEbEEZZNS1_14partition_implILS8_4ELb0ES6_15HIP_vector_typeIjLj2EENS0_17counting_iteratorIjlEEPS9_SG_NS0_5tupleIJPjSI_NS0_16reverse_iteratorISI_EEEEENSH_IJSG_SG_SG_EEES9_SI_JZNS1_25segmented_radix_sort_implINS0_14default_configELb1EPKdPdPKlPlN2at6native12_GLOBAL__N_18offset_tEEE10hipError_tPvRmT1_PNSt15iterator_traitsIS12_E10value_typeET2_T3_PNS13_IS18_E10value_typeET4_jRbjT5_S1E_jjP12ihipStream_tbEUljE_ZNSN_ISO_Lb1ESQ_SR_ST_SU_SY_EESZ_S10_S11_S12_S16_S17_S18_S1B_S1C_jS1D_jS1E_S1E_jjS1G_bEUljE0_EEESZ_S10_S11_S18_S1C_S1E_T6_T7_T9_mT8_S1G_bDpT10_ENKUlT_T0_E_clISt17integral_constantIbLb1EES1T_IbLb0EEEEDaS1P_S1Q_EUlS1P_E_NS1_11comp_targetILNS1_3genE2ELNS1_11target_archE906ELNS1_3gpuE6ELNS1_3repE0EEENS1_30default_config_static_selectorELNS0_4arch9wavefront6targetE0EEEvS12_.uses_vcc, 0
	.set _ZN7rocprim17ROCPRIM_400000_NS6detail17trampoline_kernelINS0_13select_configILj256ELj13ELNS0_17block_load_methodE3ELS4_3ELS4_3ELNS0_20block_scan_algorithmE0ELj4294967295EEENS1_25partition_config_selectorILNS1_17partition_subalgoE4EjNS0_10empty_typeEbEEZZNS1_14partition_implILS8_4ELb0ES6_15HIP_vector_typeIjLj2EENS0_17counting_iteratorIjlEEPS9_SG_NS0_5tupleIJPjSI_NS0_16reverse_iteratorISI_EEEEENSH_IJSG_SG_SG_EEES9_SI_JZNS1_25segmented_radix_sort_implINS0_14default_configELb1EPKdPdPKlPlN2at6native12_GLOBAL__N_18offset_tEEE10hipError_tPvRmT1_PNSt15iterator_traitsIS12_E10value_typeET2_T3_PNS13_IS18_E10value_typeET4_jRbjT5_S1E_jjP12ihipStream_tbEUljE_ZNSN_ISO_Lb1ESQ_SR_ST_SU_SY_EESZ_S10_S11_S12_S16_S17_S18_S1B_S1C_jS1D_jS1E_S1E_jjS1G_bEUljE0_EEESZ_S10_S11_S18_S1C_S1E_T6_T7_T9_mT8_S1G_bDpT10_ENKUlT_T0_E_clISt17integral_constantIbLb1EES1T_IbLb0EEEEDaS1P_S1Q_EUlS1P_E_NS1_11comp_targetILNS1_3genE2ELNS1_11target_archE906ELNS1_3gpuE6ELNS1_3repE0EEENS1_30default_config_static_selectorELNS0_4arch9wavefront6targetE0EEEvS12_.uses_flat_scratch, 0
	.set _ZN7rocprim17ROCPRIM_400000_NS6detail17trampoline_kernelINS0_13select_configILj256ELj13ELNS0_17block_load_methodE3ELS4_3ELS4_3ELNS0_20block_scan_algorithmE0ELj4294967295EEENS1_25partition_config_selectorILNS1_17partition_subalgoE4EjNS0_10empty_typeEbEEZZNS1_14partition_implILS8_4ELb0ES6_15HIP_vector_typeIjLj2EENS0_17counting_iteratorIjlEEPS9_SG_NS0_5tupleIJPjSI_NS0_16reverse_iteratorISI_EEEEENSH_IJSG_SG_SG_EEES9_SI_JZNS1_25segmented_radix_sort_implINS0_14default_configELb1EPKdPdPKlPlN2at6native12_GLOBAL__N_18offset_tEEE10hipError_tPvRmT1_PNSt15iterator_traitsIS12_E10value_typeET2_T3_PNS13_IS18_E10value_typeET4_jRbjT5_S1E_jjP12ihipStream_tbEUljE_ZNSN_ISO_Lb1ESQ_SR_ST_SU_SY_EESZ_S10_S11_S12_S16_S17_S18_S1B_S1C_jS1D_jS1E_S1E_jjS1G_bEUljE0_EEESZ_S10_S11_S18_S1C_S1E_T6_T7_T9_mT8_S1G_bDpT10_ENKUlT_T0_E_clISt17integral_constantIbLb1EES1T_IbLb0EEEEDaS1P_S1Q_EUlS1P_E_NS1_11comp_targetILNS1_3genE2ELNS1_11target_archE906ELNS1_3gpuE6ELNS1_3repE0EEENS1_30default_config_static_selectorELNS0_4arch9wavefront6targetE0EEEvS12_.has_dyn_sized_stack, 0
	.set _ZN7rocprim17ROCPRIM_400000_NS6detail17trampoline_kernelINS0_13select_configILj256ELj13ELNS0_17block_load_methodE3ELS4_3ELS4_3ELNS0_20block_scan_algorithmE0ELj4294967295EEENS1_25partition_config_selectorILNS1_17partition_subalgoE4EjNS0_10empty_typeEbEEZZNS1_14partition_implILS8_4ELb0ES6_15HIP_vector_typeIjLj2EENS0_17counting_iteratorIjlEEPS9_SG_NS0_5tupleIJPjSI_NS0_16reverse_iteratorISI_EEEEENSH_IJSG_SG_SG_EEES9_SI_JZNS1_25segmented_radix_sort_implINS0_14default_configELb1EPKdPdPKlPlN2at6native12_GLOBAL__N_18offset_tEEE10hipError_tPvRmT1_PNSt15iterator_traitsIS12_E10value_typeET2_T3_PNS13_IS18_E10value_typeET4_jRbjT5_S1E_jjP12ihipStream_tbEUljE_ZNSN_ISO_Lb1ESQ_SR_ST_SU_SY_EESZ_S10_S11_S12_S16_S17_S18_S1B_S1C_jS1D_jS1E_S1E_jjS1G_bEUljE0_EEESZ_S10_S11_S18_S1C_S1E_T6_T7_T9_mT8_S1G_bDpT10_ENKUlT_T0_E_clISt17integral_constantIbLb1EES1T_IbLb0EEEEDaS1P_S1Q_EUlS1P_E_NS1_11comp_targetILNS1_3genE2ELNS1_11target_archE906ELNS1_3gpuE6ELNS1_3repE0EEENS1_30default_config_static_selectorELNS0_4arch9wavefront6targetE0EEEvS12_.has_recursion, 0
	.set _ZN7rocprim17ROCPRIM_400000_NS6detail17trampoline_kernelINS0_13select_configILj256ELj13ELNS0_17block_load_methodE3ELS4_3ELS4_3ELNS0_20block_scan_algorithmE0ELj4294967295EEENS1_25partition_config_selectorILNS1_17partition_subalgoE4EjNS0_10empty_typeEbEEZZNS1_14partition_implILS8_4ELb0ES6_15HIP_vector_typeIjLj2EENS0_17counting_iteratorIjlEEPS9_SG_NS0_5tupleIJPjSI_NS0_16reverse_iteratorISI_EEEEENSH_IJSG_SG_SG_EEES9_SI_JZNS1_25segmented_radix_sort_implINS0_14default_configELb1EPKdPdPKlPlN2at6native12_GLOBAL__N_18offset_tEEE10hipError_tPvRmT1_PNSt15iterator_traitsIS12_E10value_typeET2_T3_PNS13_IS18_E10value_typeET4_jRbjT5_S1E_jjP12ihipStream_tbEUljE_ZNSN_ISO_Lb1ESQ_SR_ST_SU_SY_EESZ_S10_S11_S12_S16_S17_S18_S1B_S1C_jS1D_jS1E_S1E_jjS1G_bEUljE0_EEESZ_S10_S11_S18_S1C_S1E_T6_T7_T9_mT8_S1G_bDpT10_ENKUlT_T0_E_clISt17integral_constantIbLb1EES1T_IbLb0EEEEDaS1P_S1Q_EUlS1P_E_NS1_11comp_targetILNS1_3genE2ELNS1_11target_archE906ELNS1_3gpuE6ELNS1_3repE0EEENS1_30default_config_static_selectorELNS0_4arch9wavefront6targetE0EEEvS12_.has_indirect_call, 0
	.section	.AMDGPU.csdata,"",@progbits
; Kernel info:
; codeLenInByte = 0
; TotalNumSgprs: 0
; NumVgprs: 0
; ScratchSize: 0
; MemoryBound: 0
; FloatMode: 240
; IeeeMode: 1
; LDSByteSize: 0 bytes/workgroup (compile time only)
; SGPRBlocks: 0
; VGPRBlocks: 0
; NumSGPRsForWavesPerEU: 1
; NumVGPRsForWavesPerEU: 1
; NamedBarCnt: 0
; Occupancy: 16
; WaveLimiterHint : 0
; COMPUTE_PGM_RSRC2:SCRATCH_EN: 0
; COMPUTE_PGM_RSRC2:USER_SGPR: 2
; COMPUTE_PGM_RSRC2:TRAP_HANDLER: 0
; COMPUTE_PGM_RSRC2:TGID_X_EN: 1
; COMPUTE_PGM_RSRC2:TGID_Y_EN: 0
; COMPUTE_PGM_RSRC2:TGID_Z_EN: 0
; COMPUTE_PGM_RSRC2:TIDIG_COMP_CNT: 0
	.section	.text._ZN7rocprim17ROCPRIM_400000_NS6detail17trampoline_kernelINS0_13select_configILj256ELj13ELNS0_17block_load_methodE3ELS4_3ELS4_3ELNS0_20block_scan_algorithmE0ELj4294967295EEENS1_25partition_config_selectorILNS1_17partition_subalgoE4EjNS0_10empty_typeEbEEZZNS1_14partition_implILS8_4ELb0ES6_15HIP_vector_typeIjLj2EENS0_17counting_iteratorIjlEEPS9_SG_NS0_5tupleIJPjSI_NS0_16reverse_iteratorISI_EEEEENSH_IJSG_SG_SG_EEES9_SI_JZNS1_25segmented_radix_sort_implINS0_14default_configELb1EPKdPdPKlPlN2at6native12_GLOBAL__N_18offset_tEEE10hipError_tPvRmT1_PNSt15iterator_traitsIS12_E10value_typeET2_T3_PNS13_IS18_E10value_typeET4_jRbjT5_S1E_jjP12ihipStream_tbEUljE_ZNSN_ISO_Lb1ESQ_SR_ST_SU_SY_EESZ_S10_S11_S12_S16_S17_S18_S1B_S1C_jS1D_jS1E_S1E_jjS1G_bEUljE0_EEESZ_S10_S11_S18_S1C_S1E_T6_T7_T9_mT8_S1G_bDpT10_ENKUlT_T0_E_clISt17integral_constantIbLb1EES1T_IbLb0EEEEDaS1P_S1Q_EUlS1P_E_NS1_11comp_targetILNS1_3genE10ELNS1_11target_archE1200ELNS1_3gpuE4ELNS1_3repE0EEENS1_30default_config_static_selectorELNS0_4arch9wavefront6targetE0EEEvS12_,"axG",@progbits,_ZN7rocprim17ROCPRIM_400000_NS6detail17trampoline_kernelINS0_13select_configILj256ELj13ELNS0_17block_load_methodE3ELS4_3ELS4_3ELNS0_20block_scan_algorithmE0ELj4294967295EEENS1_25partition_config_selectorILNS1_17partition_subalgoE4EjNS0_10empty_typeEbEEZZNS1_14partition_implILS8_4ELb0ES6_15HIP_vector_typeIjLj2EENS0_17counting_iteratorIjlEEPS9_SG_NS0_5tupleIJPjSI_NS0_16reverse_iteratorISI_EEEEENSH_IJSG_SG_SG_EEES9_SI_JZNS1_25segmented_radix_sort_implINS0_14default_configELb1EPKdPdPKlPlN2at6native12_GLOBAL__N_18offset_tEEE10hipError_tPvRmT1_PNSt15iterator_traitsIS12_E10value_typeET2_T3_PNS13_IS18_E10value_typeET4_jRbjT5_S1E_jjP12ihipStream_tbEUljE_ZNSN_ISO_Lb1ESQ_SR_ST_SU_SY_EESZ_S10_S11_S12_S16_S17_S18_S1B_S1C_jS1D_jS1E_S1E_jjS1G_bEUljE0_EEESZ_S10_S11_S18_S1C_S1E_T6_T7_T9_mT8_S1G_bDpT10_ENKUlT_T0_E_clISt17integral_constantIbLb1EES1T_IbLb0EEEEDaS1P_S1Q_EUlS1P_E_NS1_11comp_targetILNS1_3genE10ELNS1_11target_archE1200ELNS1_3gpuE4ELNS1_3repE0EEENS1_30default_config_static_selectorELNS0_4arch9wavefront6targetE0EEEvS12_,comdat
	.globl	_ZN7rocprim17ROCPRIM_400000_NS6detail17trampoline_kernelINS0_13select_configILj256ELj13ELNS0_17block_load_methodE3ELS4_3ELS4_3ELNS0_20block_scan_algorithmE0ELj4294967295EEENS1_25partition_config_selectorILNS1_17partition_subalgoE4EjNS0_10empty_typeEbEEZZNS1_14partition_implILS8_4ELb0ES6_15HIP_vector_typeIjLj2EENS0_17counting_iteratorIjlEEPS9_SG_NS0_5tupleIJPjSI_NS0_16reverse_iteratorISI_EEEEENSH_IJSG_SG_SG_EEES9_SI_JZNS1_25segmented_radix_sort_implINS0_14default_configELb1EPKdPdPKlPlN2at6native12_GLOBAL__N_18offset_tEEE10hipError_tPvRmT1_PNSt15iterator_traitsIS12_E10value_typeET2_T3_PNS13_IS18_E10value_typeET4_jRbjT5_S1E_jjP12ihipStream_tbEUljE_ZNSN_ISO_Lb1ESQ_SR_ST_SU_SY_EESZ_S10_S11_S12_S16_S17_S18_S1B_S1C_jS1D_jS1E_S1E_jjS1G_bEUljE0_EEESZ_S10_S11_S18_S1C_S1E_T6_T7_T9_mT8_S1G_bDpT10_ENKUlT_T0_E_clISt17integral_constantIbLb1EES1T_IbLb0EEEEDaS1P_S1Q_EUlS1P_E_NS1_11comp_targetILNS1_3genE10ELNS1_11target_archE1200ELNS1_3gpuE4ELNS1_3repE0EEENS1_30default_config_static_selectorELNS0_4arch9wavefront6targetE0EEEvS12_ ; -- Begin function _ZN7rocprim17ROCPRIM_400000_NS6detail17trampoline_kernelINS0_13select_configILj256ELj13ELNS0_17block_load_methodE3ELS4_3ELS4_3ELNS0_20block_scan_algorithmE0ELj4294967295EEENS1_25partition_config_selectorILNS1_17partition_subalgoE4EjNS0_10empty_typeEbEEZZNS1_14partition_implILS8_4ELb0ES6_15HIP_vector_typeIjLj2EENS0_17counting_iteratorIjlEEPS9_SG_NS0_5tupleIJPjSI_NS0_16reverse_iteratorISI_EEEEENSH_IJSG_SG_SG_EEES9_SI_JZNS1_25segmented_radix_sort_implINS0_14default_configELb1EPKdPdPKlPlN2at6native12_GLOBAL__N_18offset_tEEE10hipError_tPvRmT1_PNSt15iterator_traitsIS12_E10value_typeET2_T3_PNS13_IS18_E10value_typeET4_jRbjT5_S1E_jjP12ihipStream_tbEUljE_ZNSN_ISO_Lb1ESQ_SR_ST_SU_SY_EESZ_S10_S11_S12_S16_S17_S18_S1B_S1C_jS1D_jS1E_S1E_jjS1G_bEUljE0_EEESZ_S10_S11_S18_S1C_S1E_T6_T7_T9_mT8_S1G_bDpT10_ENKUlT_T0_E_clISt17integral_constantIbLb1EES1T_IbLb0EEEEDaS1P_S1Q_EUlS1P_E_NS1_11comp_targetILNS1_3genE10ELNS1_11target_archE1200ELNS1_3gpuE4ELNS1_3repE0EEENS1_30default_config_static_selectorELNS0_4arch9wavefront6targetE0EEEvS12_
	.p2align	8
	.type	_ZN7rocprim17ROCPRIM_400000_NS6detail17trampoline_kernelINS0_13select_configILj256ELj13ELNS0_17block_load_methodE3ELS4_3ELS4_3ELNS0_20block_scan_algorithmE0ELj4294967295EEENS1_25partition_config_selectorILNS1_17partition_subalgoE4EjNS0_10empty_typeEbEEZZNS1_14partition_implILS8_4ELb0ES6_15HIP_vector_typeIjLj2EENS0_17counting_iteratorIjlEEPS9_SG_NS0_5tupleIJPjSI_NS0_16reverse_iteratorISI_EEEEENSH_IJSG_SG_SG_EEES9_SI_JZNS1_25segmented_radix_sort_implINS0_14default_configELb1EPKdPdPKlPlN2at6native12_GLOBAL__N_18offset_tEEE10hipError_tPvRmT1_PNSt15iterator_traitsIS12_E10value_typeET2_T3_PNS13_IS18_E10value_typeET4_jRbjT5_S1E_jjP12ihipStream_tbEUljE_ZNSN_ISO_Lb1ESQ_SR_ST_SU_SY_EESZ_S10_S11_S12_S16_S17_S18_S1B_S1C_jS1D_jS1E_S1E_jjS1G_bEUljE0_EEESZ_S10_S11_S18_S1C_S1E_T6_T7_T9_mT8_S1G_bDpT10_ENKUlT_T0_E_clISt17integral_constantIbLb1EES1T_IbLb0EEEEDaS1P_S1Q_EUlS1P_E_NS1_11comp_targetILNS1_3genE10ELNS1_11target_archE1200ELNS1_3gpuE4ELNS1_3repE0EEENS1_30default_config_static_selectorELNS0_4arch9wavefront6targetE0EEEvS12_,@function
_ZN7rocprim17ROCPRIM_400000_NS6detail17trampoline_kernelINS0_13select_configILj256ELj13ELNS0_17block_load_methodE3ELS4_3ELS4_3ELNS0_20block_scan_algorithmE0ELj4294967295EEENS1_25partition_config_selectorILNS1_17partition_subalgoE4EjNS0_10empty_typeEbEEZZNS1_14partition_implILS8_4ELb0ES6_15HIP_vector_typeIjLj2EENS0_17counting_iteratorIjlEEPS9_SG_NS0_5tupleIJPjSI_NS0_16reverse_iteratorISI_EEEEENSH_IJSG_SG_SG_EEES9_SI_JZNS1_25segmented_radix_sort_implINS0_14default_configELb1EPKdPdPKlPlN2at6native12_GLOBAL__N_18offset_tEEE10hipError_tPvRmT1_PNSt15iterator_traitsIS12_E10value_typeET2_T3_PNS13_IS18_E10value_typeET4_jRbjT5_S1E_jjP12ihipStream_tbEUljE_ZNSN_ISO_Lb1ESQ_SR_ST_SU_SY_EESZ_S10_S11_S12_S16_S17_S18_S1B_S1C_jS1D_jS1E_S1E_jjS1G_bEUljE0_EEESZ_S10_S11_S18_S1C_S1E_T6_T7_T9_mT8_S1G_bDpT10_ENKUlT_T0_E_clISt17integral_constantIbLb1EES1T_IbLb0EEEEDaS1P_S1Q_EUlS1P_E_NS1_11comp_targetILNS1_3genE10ELNS1_11target_archE1200ELNS1_3gpuE4ELNS1_3repE0EEENS1_30default_config_static_selectorELNS0_4arch9wavefront6targetE0EEEvS12_: ; @_ZN7rocprim17ROCPRIM_400000_NS6detail17trampoline_kernelINS0_13select_configILj256ELj13ELNS0_17block_load_methodE3ELS4_3ELS4_3ELNS0_20block_scan_algorithmE0ELj4294967295EEENS1_25partition_config_selectorILNS1_17partition_subalgoE4EjNS0_10empty_typeEbEEZZNS1_14partition_implILS8_4ELb0ES6_15HIP_vector_typeIjLj2EENS0_17counting_iteratorIjlEEPS9_SG_NS0_5tupleIJPjSI_NS0_16reverse_iteratorISI_EEEEENSH_IJSG_SG_SG_EEES9_SI_JZNS1_25segmented_radix_sort_implINS0_14default_configELb1EPKdPdPKlPlN2at6native12_GLOBAL__N_18offset_tEEE10hipError_tPvRmT1_PNSt15iterator_traitsIS12_E10value_typeET2_T3_PNS13_IS18_E10value_typeET4_jRbjT5_S1E_jjP12ihipStream_tbEUljE_ZNSN_ISO_Lb1ESQ_SR_ST_SU_SY_EESZ_S10_S11_S12_S16_S17_S18_S1B_S1C_jS1D_jS1E_S1E_jjS1G_bEUljE0_EEESZ_S10_S11_S18_S1C_S1E_T6_T7_T9_mT8_S1G_bDpT10_ENKUlT_T0_E_clISt17integral_constantIbLb1EES1T_IbLb0EEEEDaS1P_S1Q_EUlS1P_E_NS1_11comp_targetILNS1_3genE10ELNS1_11target_archE1200ELNS1_3gpuE4ELNS1_3repE0EEENS1_30default_config_static_selectorELNS0_4arch9wavefront6targetE0EEEvS12_
; %bb.0:
	.section	.rodata,"a",@progbits
	.p2align	6, 0x0
	.amdhsa_kernel _ZN7rocprim17ROCPRIM_400000_NS6detail17trampoline_kernelINS0_13select_configILj256ELj13ELNS0_17block_load_methodE3ELS4_3ELS4_3ELNS0_20block_scan_algorithmE0ELj4294967295EEENS1_25partition_config_selectorILNS1_17partition_subalgoE4EjNS0_10empty_typeEbEEZZNS1_14partition_implILS8_4ELb0ES6_15HIP_vector_typeIjLj2EENS0_17counting_iteratorIjlEEPS9_SG_NS0_5tupleIJPjSI_NS0_16reverse_iteratorISI_EEEEENSH_IJSG_SG_SG_EEES9_SI_JZNS1_25segmented_radix_sort_implINS0_14default_configELb1EPKdPdPKlPlN2at6native12_GLOBAL__N_18offset_tEEE10hipError_tPvRmT1_PNSt15iterator_traitsIS12_E10value_typeET2_T3_PNS13_IS18_E10value_typeET4_jRbjT5_S1E_jjP12ihipStream_tbEUljE_ZNSN_ISO_Lb1ESQ_SR_ST_SU_SY_EESZ_S10_S11_S12_S16_S17_S18_S1B_S1C_jS1D_jS1E_S1E_jjS1G_bEUljE0_EEESZ_S10_S11_S18_S1C_S1E_T6_T7_T9_mT8_S1G_bDpT10_ENKUlT_T0_E_clISt17integral_constantIbLb1EES1T_IbLb0EEEEDaS1P_S1Q_EUlS1P_E_NS1_11comp_targetILNS1_3genE10ELNS1_11target_archE1200ELNS1_3gpuE4ELNS1_3repE0EEENS1_30default_config_static_selectorELNS0_4arch9wavefront6targetE0EEEvS12_
		.amdhsa_group_segment_fixed_size 0
		.amdhsa_private_segment_fixed_size 0
		.amdhsa_kernarg_size 176
		.amdhsa_user_sgpr_count 2
		.amdhsa_user_sgpr_dispatch_ptr 0
		.amdhsa_user_sgpr_queue_ptr 0
		.amdhsa_user_sgpr_kernarg_segment_ptr 1
		.amdhsa_user_sgpr_dispatch_id 0
		.amdhsa_user_sgpr_kernarg_preload_length 0
		.amdhsa_user_sgpr_kernarg_preload_offset 0
		.amdhsa_user_sgpr_private_segment_size 0
		.amdhsa_wavefront_size32 1
		.amdhsa_uses_dynamic_stack 0
		.amdhsa_enable_private_segment 0
		.amdhsa_system_sgpr_workgroup_id_x 1
		.amdhsa_system_sgpr_workgroup_id_y 0
		.amdhsa_system_sgpr_workgroup_id_z 0
		.amdhsa_system_sgpr_workgroup_info 0
		.amdhsa_system_vgpr_workitem_id 0
		.amdhsa_next_free_vgpr 1
		.amdhsa_next_free_sgpr 1
		.amdhsa_named_barrier_count 0
		.amdhsa_reserve_vcc 0
		.amdhsa_float_round_mode_32 0
		.amdhsa_float_round_mode_16_64 0
		.amdhsa_float_denorm_mode_32 3
		.amdhsa_float_denorm_mode_16_64 3
		.amdhsa_fp16_overflow 0
		.amdhsa_memory_ordered 1
		.amdhsa_forward_progress 1
		.amdhsa_inst_pref_size 0
		.amdhsa_round_robin_scheduling 0
		.amdhsa_exception_fp_ieee_invalid_op 0
		.amdhsa_exception_fp_denorm_src 0
		.amdhsa_exception_fp_ieee_div_zero 0
		.amdhsa_exception_fp_ieee_overflow 0
		.amdhsa_exception_fp_ieee_underflow 0
		.amdhsa_exception_fp_ieee_inexact 0
		.amdhsa_exception_int_div_zero 0
	.end_amdhsa_kernel
	.section	.text._ZN7rocprim17ROCPRIM_400000_NS6detail17trampoline_kernelINS0_13select_configILj256ELj13ELNS0_17block_load_methodE3ELS4_3ELS4_3ELNS0_20block_scan_algorithmE0ELj4294967295EEENS1_25partition_config_selectorILNS1_17partition_subalgoE4EjNS0_10empty_typeEbEEZZNS1_14partition_implILS8_4ELb0ES6_15HIP_vector_typeIjLj2EENS0_17counting_iteratorIjlEEPS9_SG_NS0_5tupleIJPjSI_NS0_16reverse_iteratorISI_EEEEENSH_IJSG_SG_SG_EEES9_SI_JZNS1_25segmented_radix_sort_implINS0_14default_configELb1EPKdPdPKlPlN2at6native12_GLOBAL__N_18offset_tEEE10hipError_tPvRmT1_PNSt15iterator_traitsIS12_E10value_typeET2_T3_PNS13_IS18_E10value_typeET4_jRbjT5_S1E_jjP12ihipStream_tbEUljE_ZNSN_ISO_Lb1ESQ_SR_ST_SU_SY_EESZ_S10_S11_S12_S16_S17_S18_S1B_S1C_jS1D_jS1E_S1E_jjS1G_bEUljE0_EEESZ_S10_S11_S18_S1C_S1E_T6_T7_T9_mT8_S1G_bDpT10_ENKUlT_T0_E_clISt17integral_constantIbLb1EES1T_IbLb0EEEEDaS1P_S1Q_EUlS1P_E_NS1_11comp_targetILNS1_3genE10ELNS1_11target_archE1200ELNS1_3gpuE4ELNS1_3repE0EEENS1_30default_config_static_selectorELNS0_4arch9wavefront6targetE0EEEvS12_,"axG",@progbits,_ZN7rocprim17ROCPRIM_400000_NS6detail17trampoline_kernelINS0_13select_configILj256ELj13ELNS0_17block_load_methodE3ELS4_3ELS4_3ELNS0_20block_scan_algorithmE0ELj4294967295EEENS1_25partition_config_selectorILNS1_17partition_subalgoE4EjNS0_10empty_typeEbEEZZNS1_14partition_implILS8_4ELb0ES6_15HIP_vector_typeIjLj2EENS0_17counting_iteratorIjlEEPS9_SG_NS0_5tupleIJPjSI_NS0_16reverse_iteratorISI_EEEEENSH_IJSG_SG_SG_EEES9_SI_JZNS1_25segmented_radix_sort_implINS0_14default_configELb1EPKdPdPKlPlN2at6native12_GLOBAL__N_18offset_tEEE10hipError_tPvRmT1_PNSt15iterator_traitsIS12_E10value_typeET2_T3_PNS13_IS18_E10value_typeET4_jRbjT5_S1E_jjP12ihipStream_tbEUljE_ZNSN_ISO_Lb1ESQ_SR_ST_SU_SY_EESZ_S10_S11_S12_S16_S17_S18_S1B_S1C_jS1D_jS1E_S1E_jjS1G_bEUljE0_EEESZ_S10_S11_S18_S1C_S1E_T6_T7_T9_mT8_S1G_bDpT10_ENKUlT_T0_E_clISt17integral_constantIbLb1EES1T_IbLb0EEEEDaS1P_S1Q_EUlS1P_E_NS1_11comp_targetILNS1_3genE10ELNS1_11target_archE1200ELNS1_3gpuE4ELNS1_3repE0EEENS1_30default_config_static_selectorELNS0_4arch9wavefront6targetE0EEEvS12_,comdat
.Lfunc_end1069:
	.size	_ZN7rocprim17ROCPRIM_400000_NS6detail17trampoline_kernelINS0_13select_configILj256ELj13ELNS0_17block_load_methodE3ELS4_3ELS4_3ELNS0_20block_scan_algorithmE0ELj4294967295EEENS1_25partition_config_selectorILNS1_17partition_subalgoE4EjNS0_10empty_typeEbEEZZNS1_14partition_implILS8_4ELb0ES6_15HIP_vector_typeIjLj2EENS0_17counting_iteratorIjlEEPS9_SG_NS0_5tupleIJPjSI_NS0_16reverse_iteratorISI_EEEEENSH_IJSG_SG_SG_EEES9_SI_JZNS1_25segmented_radix_sort_implINS0_14default_configELb1EPKdPdPKlPlN2at6native12_GLOBAL__N_18offset_tEEE10hipError_tPvRmT1_PNSt15iterator_traitsIS12_E10value_typeET2_T3_PNS13_IS18_E10value_typeET4_jRbjT5_S1E_jjP12ihipStream_tbEUljE_ZNSN_ISO_Lb1ESQ_SR_ST_SU_SY_EESZ_S10_S11_S12_S16_S17_S18_S1B_S1C_jS1D_jS1E_S1E_jjS1G_bEUljE0_EEESZ_S10_S11_S18_S1C_S1E_T6_T7_T9_mT8_S1G_bDpT10_ENKUlT_T0_E_clISt17integral_constantIbLb1EES1T_IbLb0EEEEDaS1P_S1Q_EUlS1P_E_NS1_11comp_targetILNS1_3genE10ELNS1_11target_archE1200ELNS1_3gpuE4ELNS1_3repE0EEENS1_30default_config_static_selectorELNS0_4arch9wavefront6targetE0EEEvS12_, .Lfunc_end1069-_ZN7rocprim17ROCPRIM_400000_NS6detail17trampoline_kernelINS0_13select_configILj256ELj13ELNS0_17block_load_methodE3ELS4_3ELS4_3ELNS0_20block_scan_algorithmE0ELj4294967295EEENS1_25partition_config_selectorILNS1_17partition_subalgoE4EjNS0_10empty_typeEbEEZZNS1_14partition_implILS8_4ELb0ES6_15HIP_vector_typeIjLj2EENS0_17counting_iteratorIjlEEPS9_SG_NS0_5tupleIJPjSI_NS0_16reverse_iteratorISI_EEEEENSH_IJSG_SG_SG_EEES9_SI_JZNS1_25segmented_radix_sort_implINS0_14default_configELb1EPKdPdPKlPlN2at6native12_GLOBAL__N_18offset_tEEE10hipError_tPvRmT1_PNSt15iterator_traitsIS12_E10value_typeET2_T3_PNS13_IS18_E10value_typeET4_jRbjT5_S1E_jjP12ihipStream_tbEUljE_ZNSN_ISO_Lb1ESQ_SR_ST_SU_SY_EESZ_S10_S11_S12_S16_S17_S18_S1B_S1C_jS1D_jS1E_S1E_jjS1G_bEUljE0_EEESZ_S10_S11_S18_S1C_S1E_T6_T7_T9_mT8_S1G_bDpT10_ENKUlT_T0_E_clISt17integral_constantIbLb1EES1T_IbLb0EEEEDaS1P_S1Q_EUlS1P_E_NS1_11comp_targetILNS1_3genE10ELNS1_11target_archE1200ELNS1_3gpuE4ELNS1_3repE0EEENS1_30default_config_static_selectorELNS0_4arch9wavefront6targetE0EEEvS12_
                                        ; -- End function
	.set _ZN7rocprim17ROCPRIM_400000_NS6detail17trampoline_kernelINS0_13select_configILj256ELj13ELNS0_17block_load_methodE3ELS4_3ELS4_3ELNS0_20block_scan_algorithmE0ELj4294967295EEENS1_25partition_config_selectorILNS1_17partition_subalgoE4EjNS0_10empty_typeEbEEZZNS1_14partition_implILS8_4ELb0ES6_15HIP_vector_typeIjLj2EENS0_17counting_iteratorIjlEEPS9_SG_NS0_5tupleIJPjSI_NS0_16reverse_iteratorISI_EEEEENSH_IJSG_SG_SG_EEES9_SI_JZNS1_25segmented_radix_sort_implINS0_14default_configELb1EPKdPdPKlPlN2at6native12_GLOBAL__N_18offset_tEEE10hipError_tPvRmT1_PNSt15iterator_traitsIS12_E10value_typeET2_T3_PNS13_IS18_E10value_typeET4_jRbjT5_S1E_jjP12ihipStream_tbEUljE_ZNSN_ISO_Lb1ESQ_SR_ST_SU_SY_EESZ_S10_S11_S12_S16_S17_S18_S1B_S1C_jS1D_jS1E_S1E_jjS1G_bEUljE0_EEESZ_S10_S11_S18_S1C_S1E_T6_T7_T9_mT8_S1G_bDpT10_ENKUlT_T0_E_clISt17integral_constantIbLb1EES1T_IbLb0EEEEDaS1P_S1Q_EUlS1P_E_NS1_11comp_targetILNS1_3genE10ELNS1_11target_archE1200ELNS1_3gpuE4ELNS1_3repE0EEENS1_30default_config_static_selectorELNS0_4arch9wavefront6targetE0EEEvS12_.num_vgpr, 0
	.set _ZN7rocprim17ROCPRIM_400000_NS6detail17trampoline_kernelINS0_13select_configILj256ELj13ELNS0_17block_load_methodE3ELS4_3ELS4_3ELNS0_20block_scan_algorithmE0ELj4294967295EEENS1_25partition_config_selectorILNS1_17partition_subalgoE4EjNS0_10empty_typeEbEEZZNS1_14partition_implILS8_4ELb0ES6_15HIP_vector_typeIjLj2EENS0_17counting_iteratorIjlEEPS9_SG_NS0_5tupleIJPjSI_NS0_16reverse_iteratorISI_EEEEENSH_IJSG_SG_SG_EEES9_SI_JZNS1_25segmented_radix_sort_implINS0_14default_configELb1EPKdPdPKlPlN2at6native12_GLOBAL__N_18offset_tEEE10hipError_tPvRmT1_PNSt15iterator_traitsIS12_E10value_typeET2_T3_PNS13_IS18_E10value_typeET4_jRbjT5_S1E_jjP12ihipStream_tbEUljE_ZNSN_ISO_Lb1ESQ_SR_ST_SU_SY_EESZ_S10_S11_S12_S16_S17_S18_S1B_S1C_jS1D_jS1E_S1E_jjS1G_bEUljE0_EEESZ_S10_S11_S18_S1C_S1E_T6_T7_T9_mT8_S1G_bDpT10_ENKUlT_T0_E_clISt17integral_constantIbLb1EES1T_IbLb0EEEEDaS1P_S1Q_EUlS1P_E_NS1_11comp_targetILNS1_3genE10ELNS1_11target_archE1200ELNS1_3gpuE4ELNS1_3repE0EEENS1_30default_config_static_selectorELNS0_4arch9wavefront6targetE0EEEvS12_.num_agpr, 0
	.set _ZN7rocprim17ROCPRIM_400000_NS6detail17trampoline_kernelINS0_13select_configILj256ELj13ELNS0_17block_load_methodE3ELS4_3ELS4_3ELNS0_20block_scan_algorithmE0ELj4294967295EEENS1_25partition_config_selectorILNS1_17partition_subalgoE4EjNS0_10empty_typeEbEEZZNS1_14partition_implILS8_4ELb0ES6_15HIP_vector_typeIjLj2EENS0_17counting_iteratorIjlEEPS9_SG_NS0_5tupleIJPjSI_NS0_16reverse_iteratorISI_EEEEENSH_IJSG_SG_SG_EEES9_SI_JZNS1_25segmented_radix_sort_implINS0_14default_configELb1EPKdPdPKlPlN2at6native12_GLOBAL__N_18offset_tEEE10hipError_tPvRmT1_PNSt15iterator_traitsIS12_E10value_typeET2_T3_PNS13_IS18_E10value_typeET4_jRbjT5_S1E_jjP12ihipStream_tbEUljE_ZNSN_ISO_Lb1ESQ_SR_ST_SU_SY_EESZ_S10_S11_S12_S16_S17_S18_S1B_S1C_jS1D_jS1E_S1E_jjS1G_bEUljE0_EEESZ_S10_S11_S18_S1C_S1E_T6_T7_T9_mT8_S1G_bDpT10_ENKUlT_T0_E_clISt17integral_constantIbLb1EES1T_IbLb0EEEEDaS1P_S1Q_EUlS1P_E_NS1_11comp_targetILNS1_3genE10ELNS1_11target_archE1200ELNS1_3gpuE4ELNS1_3repE0EEENS1_30default_config_static_selectorELNS0_4arch9wavefront6targetE0EEEvS12_.numbered_sgpr, 0
	.set _ZN7rocprim17ROCPRIM_400000_NS6detail17trampoline_kernelINS0_13select_configILj256ELj13ELNS0_17block_load_methodE3ELS4_3ELS4_3ELNS0_20block_scan_algorithmE0ELj4294967295EEENS1_25partition_config_selectorILNS1_17partition_subalgoE4EjNS0_10empty_typeEbEEZZNS1_14partition_implILS8_4ELb0ES6_15HIP_vector_typeIjLj2EENS0_17counting_iteratorIjlEEPS9_SG_NS0_5tupleIJPjSI_NS0_16reverse_iteratorISI_EEEEENSH_IJSG_SG_SG_EEES9_SI_JZNS1_25segmented_radix_sort_implINS0_14default_configELb1EPKdPdPKlPlN2at6native12_GLOBAL__N_18offset_tEEE10hipError_tPvRmT1_PNSt15iterator_traitsIS12_E10value_typeET2_T3_PNS13_IS18_E10value_typeET4_jRbjT5_S1E_jjP12ihipStream_tbEUljE_ZNSN_ISO_Lb1ESQ_SR_ST_SU_SY_EESZ_S10_S11_S12_S16_S17_S18_S1B_S1C_jS1D_jS1E_S1E_jjS1G_bEUljE0_EEESZ_S10_S11_S18_S1C_S1E_T6_T7_T9_mT8_S1G_bDpT10_ENKUlT_T0_E_clISt17integral_constantIbLb1EES1T_IbLb0EEEEDaS1P_S1Q_EUlS1P_E_NS1_11comp_targetILNS1_3genE10ELNS1_11target_archE1200ELNS1_3gpuE4ELNS1_3repE0EEENS1_30default_config_static_selectorELNS0_4arch9wavefront6targetE0EEEvS12_.num_named_barrier, 0
	.set _ZN7rocprim17ROCPRIM_400000_NS6detail17trampoline_kernelINS0_13select_configILj256ELj13ELNS0_17block_load_methodE3ELS4_3ELS4_3ELNS0_20block_scan_algorithmE0ELj4294967295EEENS1_25partition_config_selectorILNS1_17partition_subalgoE4EjNS0_10empty_typeEbEEZZNS1_14partition_implILS8_4ELb0ES6_15HIP_vector_typeIjLj2EENS0_17counting_iteratorIjlEEPS9_SG_NS0_5tupleIJPjSI_NS0_16reverse_iteratorISI_EEEEENSH_IJSG_SG_SG_EEES9_SI_JZNS1_25segmented_radix_sort_implINS0_14default_configELb1EPKdPdPKlPlN2at6native12_GLOBAL__N_18offset_tEEE10hipError_tPvRmT1_PNSt15iterator_traitsIS12_E10value_typeET2_T3_PNS13_IS18_E10value_typeET4_jRbjT5_S1E_jjP12ihipStream_tbEUljE_ZNSN_ISO_Lb1ESQ_SR_ST_SU_SY_EESZ_S10_S11_S12_S16_S17_S18_S1B_S1C_jS1D_jS1E_S1E_jjS1G_bEUljE0_EEESZ_S10_S11_S18_S1C_S1E_T6_T7_T9_mT8_S1G_bDpT10_ENKUlT_T0_E_clISt17integral_constantIbLb1EES1T_IbLb0EEEEDaS1P_S1Q_EUlS1P_E_NS1_11comp_targetILNS1_3genE10ELNS1_11target_archE1200ELNS1_3gpuE4ELNS1_3repE0EEENS1_30default_config_static_selectorELNS0_4arch9wavefront6targetE0EEEvS12_.private_seg_size, 0
	.set _ZN7rocprim17ROCPRIM_400000_NS6detail17trampoline_kernelINS0_13select_configILj256ELj13ELNS0_17block_load_methodE3ELS4_3ELS4_3ELNS0_20block_scan_algorithmE0ELj4294967295EEENS1_25partition_config_selectorILNS1_17partition_subalgoE4EjNS0_10empty_typeEbEEZZNS1_14partition_implILS8_4ELb0ES6_15HIP_vector_typeIjLj2EENS0_17counting_iteratorIjlEEPS9_SG_NS0_5tupleIJPjSI_NS0_16reverse_iteratorISI_EEEEENSH_IJSG_SG_SG_EEES9_SI_JZNS1_25segmented_radix_sort_implINS0_14default_configELb1EPKdPdPKlPlN2at6native12_GLOBAL__N_18offset_tEEE10hipError_tPvRmT1_PNSt15iterator_traitsIS12_E10value_typeET2_T3_PNS13_IS18_E10value_typeET4_jRbjT5_S1E_jjP12ihipStream_tbEUljE_ZNSN_ISO_Lb1ESQ_SR_ST_SU_SY_EESZ_S10_S11_S12_S16_S17_S18_S1B_S1C_jS1D_jS1E_S1E_jjS1G_bEUljE0_EEESZ_S10_S11_S18_S1C_S1E_T6_T7_T9_mT8_S1G_bDpT10_ENKUlT_T0_E_clISt17integral_constantIbLb1EES1T_IbLb0EEEEDaS1P_S1Q_EUlS1P_E_NS1_11comp_targetILNS1_3genE10ELNS1_11target_archE1200ELNS1_3gpuE4ELNS1_3repE0EEENS1_30default_config_static_selectorELNS0_4arch9wavefront6targetE0EEEvS12_.uses_vcc, 0
	.set _ZN7rocprim17ROCPRIM_400000_NS6detail17trampoline_kernelINS0_13select_configILj256ELj13ELNS0_17block_load_methodE3ELS4_3ELS4_3ELNS0_20block_scan_algorithmE0ELj4294967295EEENS1_25partition_config_selectorILNS1_17partition_subalgoE4EjNS0_10empty_typeEbEEZZNS1_14partition_implILS8_4ELb0ES6_15HIP_vector_typeIjLj2EENS0_17counting_iteratorIjlEEPS9_SG_NS0_5tupleIJPjSI_NS0_16reverse_iteratorISI_EEEEENSH_IJSG_SG_SG_EEES9_SI_JZNS1_25segmented_radix_sort_implINS0_14default_configELb1EPKdPdPKlPlN2at6native12_GLOBAL__N_18offset_tEEE10hipError_tPvRmT1_PNSt15iterator_traitsIS12_E10value_typeET2_T3_PNS13_IS18_E10value_typeET4_jRbjT5_S1E_jjP12ihipStream_tbEUljE_ZNSN_ISO_Lb1ESQ_SR_ST_SU_SY_EESZ_S10_S11_S12_S16_S17_S18_S1B_S1C_jS1D_jS1E_S1E_jjS1G_bEUljE0_EEESZ_S10_S11_S18_S1C_S1E_T6_T7_T9_mT8_S1G_bDpT10_ENKUlT_T0_E_clISt17integral_constantIbLb1EES1T_IbLb0EEEEDaS1P_S1Q_EUlS1P_E_NS1_11comp_targetILNS1_3genE10ELNS1_11target_archE1200ELNS1_3gpuE4ELNS1_3repE0EEENS1_30default_config_static_selectorELNS0_4arch9wavefront6targetE0EEEvS12_.uses_flat_scratch, 0
	.set _ZN7rocprim17ROCPRIM_400000_NS6detail17trampoline_kernelINS0_13select_configILj256ELj13ELNS0_17block_load_methodE3ELS4_3ELS4_3ELNS0_20block_scan_algorithmE0ELj4294967295EEENS1_25partition_config_selectorILNS1_17partition_subalgoE4EjNS0_10empty_typeEbEEZZNS1_14partition_implILS8_4ELb0ES6_15HIP_vector_typeIjLj2EENS0_17counting_iteratorIjlEEPS9_SG_NS0_5tupleIJPjSI_NS0_16reverse_iteratorISI_EEEEENSH_IJSG_SG_SG_EEES9_SI_JZNS1_25segmented_radix_sort_implINS0_14default_configELb1EPKdPdPKlPlN2at6native12_GLOBAL__N_18offset_tEEE10hipError_tPvRmT1_PNSt15iterator_traitsIS12_E10value_typeET2_T3_PNS13_IS18_E10value_typeET4_jRbjT5_S1E_jjP12ihipStream_tbEUljE_ZNSN_ISO_Lb1ESQ_SR_ST_SU_SY_EESZ_S10_S11_S12_S16_S17_S18_S1B_S1C_jS1D_jS1E_S1E_jjS1G_bEUljE0_EEESZ_S10_S11_S18_S1C_S1E_T6_T7_T9_mT8_S1G_bDpT10_ENKUlT_T0_E_clISt17integral_constantIbLb1EES1T_IbLb0EEEEDaS1P_S1Q_EUlS1P_E_NS1_11comp_targetILNS1_3genE10ELNS1_11target_archE1200ELNS1_3gpuE4ELNS1_3repE0EEENS1_30default_config_static_selectorELNS0_4arch9wavefront6targetE0EEEvS12_.has_dyn_sized_stack, 0
	.set _ZN7rocprim17ROCPRIM_400000_NS6detail17trampoline_kernelINS0_13select_configILj256ELj13ELNS0_17block_load_methodE3ELS4_3ELS4_3ELNS0_20block_scan_algorithmE0ELj4294967295EEENS1_25partition_config_selectorILNS1_17partition_subalgoE4EjNS0_10empty_typeEbEEZZNS1_14partition_implILS8_4ELb0ES6_15HIP_vector_typeIjLj2EENS0_17counting_iteratorIjlEEPS9_SG_NS0_5tupleIJPjSI_NS0_16reverse_iteratorISI_EEEEENSH_IJSG_SG_SG_EEES9_SI_JZNS1_25segmented_radix_sort_implINS0_14default_configELb1EPKdPdPKlPlN2at6native12_GLOBAL__N_18offset_tEEE10hipError_tPvRmT1_PNSt15iterator_traitsIS12_E10value_typeET2_T3_PNS13_IS18_E10value_typeET4_jRbjT5_S1E_jjP12ihipStream_tbEUljE_ZNSN_ISO_Lb1ESQ_SR_ST_SU_SY_EESZ_S10_S11_S12_S16_S17_S18_S1B_S1C_jS1D_jS1E_S1E_jjS1G_bEUljE0_EEESZ_S10_S11_S18_S1C_S1E_T6_T7_T9_mT8_S1G_bDpT10_ENKUlT_T0_E_clISt17integral_constantIbLb1EES1T_IbLb0EEEEDaS1P_S1Q_EUlS1P_E_NS1_11comp_targetILNS1_3genE10ELNS1_11target_archE1200ELNS1_3gpuE4ELNS1_3repE0EEENS1_30default_config_static_selectorELNS0_4arch9wavefront6targetE0EEEvS12_.has_recursion, 0
	.set _ZN7rocprim17ROCPRIM_400000_NS6detail17trampoline_kernelINS0_13select_configILj256ELj13ELNS0_17block_load_methodE3ELS4_3ELS4_3ELNS0_20block_scan_algorithmE0ELj4294967295EEENS1_25partition_config_selectorILNS1_17partition_subalgoE4EjNS0_10empty_typeEbEEZZNS1_14partition_implILS8_4ELb0ES6_15HIP_vector_typeIjLj2EENS0_17counting_iteratorIjlEEPS9_SG_NS0_5tupleIJPjSI_NS0_16reverse_iteratorISI_EEEEENSH_IJSG_SG_SG_EEES9_SI_JZNS1_25segmented_radix_sort_implINS0_14default_configELb1EPKdPdPKlPlN2at6native12_GLOBAL__N_18offset_tEEE10hipError_tPvRmT1_PNSt15iterator_traitsIS12_E10value_typeET2_T3_PNS13_IS18_E10value_typeET4_jRbjT5_S1E_jjP12ihipStream_tbEUljE_ZNSN_ISO_Lb1ESQ_SR_ST_SU_SY_EESZ_S10_S11_S12_S16_S17_S18_S1B_S1C_jS1D_jS1E_S1E_jjS1G_bEUljE0_EEESZ_S10_S11_S18_S1C_S1E_T6_T7_T9_mT8_S1G_bDpT10_ENKUlT_T0_E_clISt17integral_constantIbLb1EES1T_IbLb0EEEEDaS1P_S1Q_EUlS1P_E_NS1_11comp_targetILNS1_3genE10ELNS1_11target_archE1200ELNS1_3gpuE4ELNS1_3repE0EEENS1_30default_config_static_selectorELNS0_4arch9wavefront6targetE0EEEvS12_.has_indirect_call, 0
	.section	.AMDGPU.csdata,"",@progbits
; Kernel info:
; codeLenInByte = 0
; TotalNumSgprs: 0
; NumVgprs: 0
; ScratchSize: 0
; MemoryBound: 0
; FloatMode: 240
; IeeeMode: 1
; LDSByteSize: 0 bytes/workgroup (compile time only)
; SGPRBlocks: 0
; VGPRBlocks: 0
; NumSGPRsForWavesPerEU: 1
; NumVGPRsForWavesPerEU: 1
; NamedBarCnt: 0
; Occupancy: 16
; WaveLimiterHint : 0
; COMPUTE_PGM_RSRC2:SCRATCH_EN: 0
; COMPUTE_PGM_RSRC2:USER_SGPR: 2
; COMPUTE_PGM_RSRC2:TRAP_HANDLER: 0
; COMPUTE_PGM_RSRC2:TGID_X_EN: 1
; COMPUTE_PGM_RSRC2:TGID_Y_EN: 0
; COMPUTE_PGM_RSRC2:TGID_Z_EN: 0
; COMPUTE_PGM_RSRC2:TIDIG_COMP_CNT: 0
	.section	.text._ZN7rocprim17ROCPRIM_400000_NS6detail17trampoline_kernelINS0_13select_configILj256ELj13ELNS0_17block_load_methodE3ELS4_3ELS4_3ELNS0_20block_scan_algorithmE0ELj4294967295EEENS1_25partition_config_selectorILNS1_17partition_subalgoE4EjNS0_10empty_typeEbEEZZNS1_14partition_implILS8_4ELb0ES6_15HIP_vector_typeIjLj2EENS0_17counting_iteratorIjlEEPS9_SG_NS0_5tupleIJPjSI_NS0_16reverse_iteratorISI_EEEEENSH_IJSG_SG_SG_EEES9_SI_JZNS1_25segmented_radix_sort_implINS0_14default_configELb1EPKdPdPKlPlN2at6native12_GLOBAL__N_18offset_tEEE10hipError_tPvRmT1_PNSt15iterator_traitsIS12_E10value_typeET2_T3_PNS13_IS18_E10value_typeET4_jRbjT5_S1E_jjP12ihipStream_tbEUljE_ZNSN_ISO_Lb1ESQ_SR_ST_SU_SY_EESZ_S10_S11_S12_S16_S17_S18_S1B_S1C_jS1D_jS1E_S1E_jjS1G_bEUljE0_EEESZ_S10_S11_S18_S1C_S1E_T6_T7_T9_mT8_S1G_bDpT10_ENKUlT_T0_E_clISt17integral_constantIbLb1EES1T_IbLb0EEEEDaS1P_S1Q_EUlS1P_E_NS1_11comp_targetILNS1_3genE9ELNS1_11target_archE1100ELNS1_3gpuE3ELNS1_3repE0EEENS1_30default_config_static_selectorELNS0_4arch9wavefront6targetE0EEEvS12_,"axG",@progbits,_ZN7rocprim17ROCPRIM_400000_NS6detail17trampoline_kernelINS0_13select_configILj256ELj13ELNS0_17block_load_methodE3ELS4_3ELS4_3ELNS0_20block_scan_algorithmE0ELj4294967295EEENS1_25partition_config_selectorILNS1_17partition_subalgoE4EjNS0_10empty_typeEbEEZZNS1_14partition_implILS8_4ELb0ES6_15HIP_vector_typeIjLj2EENS0_17counting_iteratorIjlEEPS9_SG_NS0_5tupleIJPjSI_NS0_16reverse_iteratorISI_EEEEENSH_IJSG_SG_SG_EEES9_SI_JZNS1_25segmented_radix_sort_implINS0_14default_configELb1EPKdPdPKlPlN2at6native12_GLOBAL__N_18offset_tEEE10hipError_tPvRmT1_PNSt15iterator_traitsIS12_E10value_typeET2_T3_PNS13_IS18_E10value_typeET4_jRbjT5_S1E_jjP12ihipStream_tbEUljE_ZNSN_ISO_Lb1ESQ_SR_ST_SU_SY_EESZ_S10_S11_S12_S16_S17_S18_S1B_S1C_jS1D_jS1E_S1E_jjS1G_bEUljE0_EEESZ_S10_S11_S18_S1C_S1E_T6_T7_T9_mT8_S1G_bDpT10_ENKUlT_T0_E_clISt17integral_constantIbLb1EES1T_IbLb0EEEEDaS1P_S1Q_EUlS1P_E_NS1_11comp_targetILNS1_3genE9ELNS1_11target_archE1100ELNS1_3gpuE3ELNS1_3repE0EEENS1_30default_config_static_selectorELNS0_4arch9wavefront6targetE0EEEvS12_,comdat
	.globl	_ZN7rocprim17ROCPRIM_400000_NS6detail17trampoline_kernelINS0_13select_configILj256ELj13ELNS0_17block_load_methodE3ELS4_3ELS4_3ELNS0_20block_scan_algorithmE0ELj4294967295EEENS1_25partition_config_selectorILNS1_17partition_subalgoE4EjNS0_10empty_typeEbEEZZNS1_14partition_implILS8_4ELb0ES6_15HIP_vector_typeIjLj2EENS0_17counting_iteratorIjlEEPS9_SG_NS0_5tupleIJPjSI_NS0_16reverse_iteratorISI_EEEEENSH_IJSG_SG_SG_EEES9_SI_JZNS1_25segmented_radix_sort_implINS0_14default_configELb1EPKdPdPKlPlN2at6native12_GLOBAL__N_18offset_tEEE10hipError_tPvRmT1_PNSt15iterator_traitsIS12_E10value_typeET2_T3_PNS13_IS18_E10value_typeET4_jRbjT5_S1E_jjP12ihipStream_tbEUljE_ZNSN_ISO_Lb1ESQ_SR_ST_SU_SY_EESZ_S10_S11_S12_S16_S17_S18_S1B_S1C_jS1D_jS1E_S1E_jjS1G_bEUljE0_EEESZ_S10_S11_S18_S1C_S1E_T6_T7_T9_mT8_S1G_bDpT10_ENKUlT_T0_E_clISt17integral_constantIbLb1EES1T_IbLb0EEEEDaS1P_S1Q_EUlS1P_E_NS1_11comp_targetILNS1_3genE9ELNS1_11target_archE1100ELNS1_3gpuE3ELNS1_3repE0EEENS1_30default_config_static_selectorELNS0_4arch9wavefront6targetE0EEEvS12_ ; -- Begin function _ZN7rocprim17ROCPRIM_400000_NS6detail17trampoline_kernelINS0_13select_configILj256ELj13ELNS0_17block_load_methodE3ELS4_3ELS4_3ELNS0_20block_scan_algorithmE0ELj4294967295EEENS1_25partition_config_selectorILNS1_17partition_subalgoE4EjNS0_10empty_typeEbEEZZNS1_14partition_implILS8_4ELb0ES6_15HIP_vector_typeIjLj2EENS0_17counting_iteratorIjlEEPS9_SG_NS0_5tupleIJPjSI_NS0_16reverse_iteratorISI_EEEEENSH_IJSG_SG_SG_EEES9_SI_JZNS1_25segmented_radix_sort_implINS0_14default_configELb1EPKdPdPKlPlN2at6native12_GLOBAL__N_18offset_tEEE10hipError_tPvRmT1_PNSt15iterator_traitsIS12_E10value_typeET2_T3_PNS13_IS18_E10value_typeET4_jRbjT5_S1E_jjP12ihipStream_tbEUljE_ZNSN_ISO_Lb1ESQ_SR_ST_SU_SY_EESZ_S10_S11_S12_S16_S17_S18_S1B_S1C_jS1D_jS1E_S1E_jjS1G_bEUljE0_EEESZ_S10_S11_S18_S1C_S1E_T6_T7_T9_mT8_S1G_bDpT10_ENKUlT_T0_E_clISt17integral_constantIbLb1EES1T_IbLb0EEEEDaS1P_S1Q_EUlS1P_E_NS1_11comp_targetILNS1_3genE9ELNS1_11target_archE1100ELNS1_3gpuE3ELNS1_3repE0EEENS1_30default_config_static_selectorELNS0_4arch9wavefront6targetE0EEEvS12_
	.p2align	8
	.type	_ZN7rocprim17ROCPRIM_400000_NS6detail17trampoline_kernelINS0_13select_configILj256ELj13ELNS0_17block_load_methodE3ELS4_3ELS4_3ELNS0_20block_scan_algorithmE0ELj4294967295EEENS1_25partition_config_selectorILNS1_17partition_subalgoE4EjNS0_10empty_typeEbEEZZNS1_14partition_implILS8_4ELb0ES6_15HIP_vector_typeIjLj2EENS0_17counting_iteratorIjlEEPS9_SG_NS0_5tupleIJPjSI_NS0_16reverse_iteratorISI_EEEEENSH_IJSG_SG_SG_EEES9_SI_JZNS1_25segmented_radix_sort_implINS0_14default_configELb1EPKdPdPKlPlN2at6native12_GLOBAL__N_18offset_tEEE10hipError_tPvRmT1_PNSt15iterator_traitsIS12_E10value_typeET2_T3_PNS13_IS18_E10value_typeET4_jRbjT5_S1E_jjP12ihipStream_tbEUljE_ZNSN_ISO_Lb1ESQ_SR_ST_SU_SY_EESZ_S10_S11_S12_S16_S17_S18_S1B_S1C_jS1D_jS1E_S1E_jjS1G_bEUljE0_EEESZ_S10_S11_S18_S1C_S1E_T6_T7_T9_mT8_S1G_bDpT10_ENKUlT_T0_E_clISt17integral_constantIbLb1EES1T_IbLb0EEEEDaS1P_S1Q_EUlS1P_E_NS1_11comp_targetILNS1_3genE9ELNS1_11target_archE1100ELNS1_3gpuE3ELNS1_3repE0EEENS1_30default_config_static_selectorELNS0_4arch9wavefront6targetE0EEEvS12_,@function
_ZN7rocprim17ROCPRIM_400000_NS6detail17trampoline_kernelINS0_13select_configILj256ELj13ELNS0_17block_load_methodE3ELS4_3ELS4_3ELNS0_20block_scan_algorithmE0ELj4294967295EEENS1_25partition_config_selectorILNS1_17partition_subalgoE4EjNS0_10empty_typeEbEEZZNS1_14partition_implILS8_4ELb0ES6_15HIP_vector_typeIjLj2EENS0_17counting_iteratorIjlEEPS9_SG_NS0_5tupleIJPjSI_NS0_16reverse_iteratorISI_EEEEENSH_IJSG_SG_SG_EEES9_SI_JZNS1_25segmented_radix_sort_implINS0_14default_configELb1EPKdPdPKlPlN2at6native12_GLOBAL__N_18offset_tEEE10hipError_tPvRmT1_PNSt15iterator_traitsIS12_E10value_typeET2_T3_PNS13_IS18_E10value_typeET4_jRbjT5_S1E_jjP12ihipStream_tbEUljE_ZNSN_ISO_Lb1ESQ_SR_ST_SU_SY_EESZ_S10_S11_S12_S16_S17_S18_S1B_S1C_jS1D_jS1E_S1E_jjS1G_bEUljE0_EEESZ_S10_S11_S18_S1C_S1E_T6_T7_T9_mT8_S1G_bDpT10_ENKUlT_T0_E_clISt17integral_constantIbLb1EES1T_IbLb0EEEEDaS1P_S1Q_EUlS1P_E_NS1_11comp_targetILNS1_3genE9ELNS1_11target_archE1100ELNS1_3gpuE3ELNS1_3repE0EEENS1_30default_config_static_selectorELNS0_4arch9wavefront6targetE0EEEvS12_: ; @_ZN7rocprim17ROCPRIM_400000_NS6detail17trampoline_kernelINS0_13select_configILj256ELj13ELNS0_17block_load_methodE3ELS4_3ELS4_3ELNS0_20block_scan_algorithmE0ELj4294967295EEENS1_25partition_config_selectorILNS1_17partition_subalgoE4EjNS0_10empty_typeEbEEZZNS1_14partition_implILS8_4ELb0ES6_15HIP_vector_typeIjLj2EENS0_17counting_iteratorIjlEEPS9_SG_NS0_5tupleIJPjSI_NS0_16reverse_iteratorISI_EEEEENSH_IJSG_SG_SG_EEES9_SI_JZNS1_25segmented_radix_sort_implINS0_14default_configELb1EPKdPdPKlPlN2at6native12_GLOBAL__N_18offset_tEEE10hipError_tPvRmT1_PNSt15iterator_traitsIS12_E10value_typeET2_T3_PNS13_IS18_E10value_typeET4_jRbjT5_S1E_jjP12ihipStream_tbEUljE_ZNSN_ISO_Lb1ESQ_SR_ST_SU_SY_EESZ_S10_S11_S12_S16_S17_S18_S1B_S1C_jS1D_jS1E_S1E_jjS1G_bEUljE0_EEESZ_S10_S11_S18_S1C_S1E_T6_T7_T9_mT8_S1G_bDpT10_ENKUlT_T0_E_clISt17integral_constantIbLb1EES1T_IbLb0EEEEDaS1P_S1Q_EUlS1P_E_NS1_11comp_targetILNS1_3genE9ELNS1_11target_archE1100ELNS1_3gpuE3ELNS1_3repE0EEENS1_30default_config_static_selectorELNS0_4arch9wavefront6targetE0EEEvS12_
; %bb.0:
	.section	.rodata,"a",@progbits
	.p2align	6, 0x0
	.amdhsa_kernel _ZN7rocprim17ROCPRIM_400000_NS6detail17trampoline_kernelINS0_13select_configILj256ELj13ELNS0_17block_load_methodE3ELS4_3ELS4_3ELNS0_20block_scan_algorithmE0ELj4294967295EEENS1_25partition_config_selectorILNS1_17partition_subalgoE4EjNS0_10empty_typeEbEEZZNS1_14partition_implILS8_4ELb0ES6_15HIP_vector_typeIjLj2EENS0_17counting_iteratorIjlEEPS9_SG_NS0_5tupleIJPjSI_NS0_16reverse_iteratorISI_EEEEENSH_IJSG_SG_SG_EEES9_SI_JZNS1_25segmented_radix_sort_implINS0_14default_configELb1EPKdPdPKlPlN2at6native12_GLOBAL__N_18offset_tEEE10hipError_tPvRmT1_PNSt15iterator_traitsIS12_E10value_typeET2_T3_PNS13_IS18_E10value_typeET4_jRbjT5_S1E_jjP12ihipStream_tbEUljE_ZNSN_ISO_Lb1ESQ_SR_ST_SU_SY_EESZ_S10_S11_S12_S16_S17_S18_S1B_S1C_jS1D_jS1E_S1E_jjS1G_bEUljE0_EEESZ_S10_S11_S18_S1C_S1E_T6_T7_T9_mT8_S1G_bDpT10_ENKUlT_T0_E_clISt17integral_constantIbLb1EES1T_IbLb0EEEEDaS1P_S1Q_EUlS1P_E_NS1_11comp_targetILNS1_3genE9ELNS1_11target_archE1100ELNS1_3gpuE3ELNS1_3repE0EEENS1_30default_config_static_selectorELNS0_4arch9wavefront6targetE0EEEvS12_
		.amdhsa_group_segment_fixed_size 0
		.amdhsa_private_segment_fixed_size 0
		.amdhsa_kernarg_size 176
		.amdhsa_user_sgpr_count 2
		.amdhsa_user_sgpr_dispatch_ptr 0
		.amdhsa_user_sgpr_queue_ptr 0
		.amdhsa_user_sgpr_kernarg_segment_ptr 1
		.amdhsa_user_sgpr_dispatch_id 0
		.amdhsa_user_sgpr_kernarg_preload_length 0
		.amdhsa_user_sgpr_kernarg_preload_offset 0
		.amdhsa_user_sgpr_private_segment_size 0
		.amdhsa_wavefront_size32 1
		.amdhsa_uses_dynamic_stack 0
		.amdhsa_enable_private_segment 0
		.amdhsa_system_sgpr_workgroup_id_x 1
		.amdhsa_system_sgpr_workgroup_id_y 0
		.amdhsa_system_sgpr_workgroup_id_z 0
		.amdhsa_system_sgpr_workgroup_info 0
		.amdhsa_system_vgpr_workitem_id 0
		.amdhsa_next_free_vgpr 1
		.amdhsa_next_free_sgpr 1
		.amdhsa_named_barrier_count 0
		.amdhsa_reserve_vcc 0
		.amdhsa_float_round_mode_32 0
		.amdhsa_float_round_mode_16_64 0
		.amdhsa_float_denorm_mode_32 3
		.amdhsa_float_denorm_mode_16_64 3
		.amdhsa_fp16_overflow 0
		.amdhsa_memory_ordered 1
		.amdhsa_forward_progress 1
		.amdhsa_inst_pref_size 0
		.amdhsa_round_robin_scheduling 0
		.amdhsa_exception_fp_ieee_invalid_op 0
		.amdhsa_exception_fp_denorm_src 0
		.amdhsa_exception_fp_ieee_div_zero 0
		.amdhsa_exception_fp_ieee_overflow 0
		.amdhsa_exception_fp_ieee_underflow 0
		.amdhsa_exception_fp_ieee_inexact 0
		.amdhsa_exception_int_div_zero 0
	.end_amdhsa_kernel
	.section	.text._ZN7rocprim17ROCPRIM_400000_NS6detail17trampoline_kernelINS0_13select_configILj256ELj13ELNS0_17block_load_methodE3ELS4_3ELS4_3ELNS0_20block_scan_algorithmE0ELj4294967295EEENS1_25partition_config_selectorILNS1_17partition_subalgoE4EjNS0_10empty_typeEbEEZZNS1_14partition_implILS8_4ELb0ES6_15HIP_vector_typeIjLj2EENS0_17counting_iteratorIjlEEPS9_SG_NS0_5tupleIJPjSI_NS0_16reverse_iteratorISI_EEEEENSH_IJSG_SG_SG_EEES9_SI_JZNS1_25segmented_radix_sort_implINS0_14default_configELb1EPKdPdPKlPlN2at6native12_GLOBAL__N_18offset_tEEE10hipError_tPvRmT1_PNSt15iterator_traitsIS12_E10value_typeET2_T3_PNS13_IS18_E10value_typeET4_jRbjT5_S1E_jjP12ihipStream_tbEUljE_ZNSN_ISO_Lb1ESQ_SR_ST_SU_SY_EESZ_S10_S11_S12_S16_S17_S18_S1B_S1C_jS1D_jS1E_S1E_jjS1G_bEUljE0_EEESZ_S10_S11_S18_S1C_S1E_T6_T7_T9_mT8_S1G_bDpT10_ENKUlT_T0_E_clISt17integral_constantIbLb1EES1T_IbLb0EEEEDaS1P_S1Q_EUlS1P_E_NS1_11comp_targetILNS1_3genE9ELNS1_11target_archE1100ELNS1_3gpuE3ELNS1_3repE0EEENS1_30default_config_static_selectorELNS0_4arch9wavefront6targetE0EEEvS12_,"axG",@progbits,_ZN7rocprim17ROCPRIM_400000_NS6detail17trampoline_kernelINS0_13select_configILj256ELj13ELNS0_17block_load_methodE3ELS4_3ELS4_3ELNS0_20block_scan_algorithmE0ELj4294967295EEENS1_25partition_config_selectorILNS1_17partition_subalgoE4EjNS0_10empty_typeEbEEZZNS1_14partition_implILS8_4ELb0ES6_15HIP_vector_typeIjLj2EENS0_17counting_iteratorIjlEEPS9_SG_NS0_5tupleIJPjSI_NS0_16reverse_iteratorISI_EEEEENSH_IJSG_SG_SG_EEES9_SI_JZNS1_25segmented_radix_sort_implINS0_14default_configELb1EPKdPdPKlPlN2at6native12_GLOBAL__N_18offset_tEEE10hipError_tPvRmT1_PNSt15iterator_traitsIS12_E10value_typeET2_T3_PNS13_IS18_E10value_typeET4_jRbjT5_S1E_jjP12ihipStream_tbEUljE_ZNSN_ISO_Lb1ESQ_SR_ST_SU_SY_EESZ_S10_S11_S12_S16_S17_S18_S1B_S1C_jS1D_jS1E_S1E_jjS1G_bEUljE0_EEESZ_S10_S11_S18_S1C_S1E_T6_T7_T9_mT8_S1G_bDpT10_ENKUlT_T0_E_clISt17integral_constantIbLb1EES1T_IbLb0EEEEDaS1P_S1Q_EUlS1P_E_NS1_11comp_targetILNS1_3genE9ELNS1_11target_archE1100ELNS1_3gpuE3ELNS1_3repE0EEENS1_30default_config_static_selectorELNS0_4arch9wavefront6targetE0EEEvS12_,comdat
.Lfunc_end1070:
	.size	_ZN7rocprim17ROCPRIM_400000_NS6detail17trampoline_kernelINS0_13select_configILj256ELj13ELNS0_17block_load_methodE3ELS4_3ELS4_3ELNS0_20block_scan_algorithmE0ELj4294967295EEENS1_25partition_config_selectorILNS1_17partition_subalgoE4EjNS0_10empty_typeEbEEZZNS1_14partition_implILS8_4ELb0ES6_15HIP_vector_typeIjLj2EENS0_17counting_iteratorIjlEEPS9_SG_NS0_5tupleIJPjSI_NS0_16reverse_iteratorISI_EEEEENSH_IJSG_SG_SG_EEES9_SI_JZNS1_25segmented_radix_sort_implINS0_14default_configELb1EPKdPdPKlPlN2at6native12_GLOBAL__N_18offset_tEEE10hipError_tPvRmT1_PNSt15iterator_traitsIS12_E10value_typeET2_T3_PNS13_IS18_E10value_typeET4_jRbjT5_S1E_jjP12ihipStream_tbEUljE_ZNSN_ISO_Lb1ESQ_SR_ST_SU_SY_EESZ_S10_S11_S12_S16_S17_S18_S1B_S1C_jS1D_jS1E_S1E_jjS1G_bEUljE0_EEESZ_S10_S11_S18_S1C_S1E_T6_T7_T9_mT8_S1G_bDpT10_ENKUlT_T0_E_clISt17integral_constantIbLb1EES1T_IbLb0EEEEDaS1P_S1Q_EUlS1P_E_NS1_11comp_targetILNS1_3genE9ELNS1_11target_archE1100ELNS1_3gpuE3ELNS1_3repE0EEENS1_30default_config_static_selectorELNS0_4arch9wavefront6targetE0EEEvS12_, .Lfunc_end1070-_ZN7rocprim17ROCPRIM_400000_NS6detail17trampoline_kernelINS0_13select_configILj256ELj13ELNS0_17block_load_methodE3ELS4_3ELS4_3ELNS0_20block_scan_algorithmE0ELj4294967295EEENS1_25partition_config_selectorILNS1_17partition_subalgoE4EjNS0_10empty_typeEbEEZZNS1_14partition_implILS8_4ELb0ES6_15HIP_vector_typeIjLj2EENS0_17counting_iteratorIjlEEPS9_SG_NS0_5tupleIJPjSI_NS0_16reverse_iteratorISI_EEEEENSH_IJSG_SG_SG_EEES9_SI_JZNS1_25segmented_radix_sort_implINS0_14default_configELb1EPKdPdPKlPlN2at6native12_GLOBAL__N_18offset_tEEE10hipError_tPvRmT1_PNSt15iterator_traitsIS12_E10value_typeET2_T3_PNS13_IS18_E10value_typeET4_jRbjT5_S1E_jjP12ihipStream_tbEUljE_ZNSN_ISO_Lb1ESQ_SR_ST_SU_SY_EESZ_S10_S11_S12_S16_S17_S18_S1B_S1C_jS1D_jS1E_S1E_jjS1G_bEUljE0_EEESZ_S10_S11_S18_S1C_S1E_T6_T7_T9_mT8_S1G_bDpT10_ENKUlT_T0_E_clISt17integral_constantIbLb1EES1T_IbLb0EEEEDaS1P_S1Q_EUlS1P_E_NS1_11comp_targetILNS1_3genE9ELNS1_11target_archE1100ELNS1_3gpuE3ELNS1_3repE0EEENS1_30default_config_static_selectorELNS0_4arch9wavefront6targetE0EEEvS12_
                                        ; -- End function
	.set _ZN7rocprim17ROCPRIM_400000_NS6detail17trampoline_kernelINS0_13select_configILj256ELj13ELNS0_17block_load_methodE3ELS4_3ELS4_3ELNS0_20block_scan_algorithmE0ELj4294967295EEENS1_25partition_config_selectorILNS1_17partition_subalgoE4EjNS0_10empty_typeEbEEZZNS1_14partition_implILS8_4ELb0ES6_15HIP_vector_typeIjLj2EENS0_17counting_iteratorIjlEEPS9_SG_NS0_5tupleIJPjSI_NS0_16reverse_iteratorISI_EEEEENSH_IJSG_SG_SG_EEES9_SI_JZNS1_25segmented_radix_sort_implINS0_14default_configELb1EPKdPdPKlPlN2at6native12_GLOBAL__N_18offset_tEEE10hipError_tPvRmT1_PNSt15iterator_traitsIS12_E10value_typeET2_T3_PNS13_IS18_E10value_typeET4_jRbjT5_S1E_jjP12ihipStream_tbEUljE_ZNSN_ISO_Lb1ESQ_SR_ST_SU_SY_EESZ_S10_S11_S12_S16_S17_S18_S1B_S1C_jS1D_jS1E_S1E_jjS1G_bEUljE0_EEESZ_S10_S11_S18_S1C_S1E_T6_T7_T9_mT8_S1G_bDpT10_ENKUlT_T0_E_clISt17integral_constantIbLb1EES1T_IbLb0EEEEDaS1P_S1Q_EUlS1P_E_NS1_11comp_targetILNS1_3genE9ELNS1_11target_archE1100ELNS1_3gpuE3ELNS1_3repE0EEENS1_30default_config_static_selectorELNS0_4arch9wavefront6targetE0EEEvS12_.num_vgpr, 0
	.set _ZN7rocprim17ROCPRIM_400000_NS6detail17trampoline_kernelINS0_13select_configILj256ELj13ELNS0_17block_load_methodE3ELS4_3ELS4_3ELNS0_20block_scan_algorithmE0ELj4294967295EEENS1_25partition_config_selectorILNS1_17partition_subalgoE4EjNS0_10empty_typeEbEEZZNS1_14partition_implILS8_4ELb0ES6_15HIP_vector_typeIjLj2EENS0_17counting_iteratorIjlEEPS9_SG_NS0_5tupleIJPjSI_NS0_16reverse_iteratorISI_EEEEENSH_IJSG_SG_SG_EEES9_SI_JZNS1_25segmented_radix_sort_implINS0_14default_configELb1EPKdPdPKlPlN2at6native12_GLOBAL__N_18offset_tEEE10hipError_tPvRmT1_PNSt15iterator_traitsIS12_E10value_typeET2_T3_PNS13_IS18_E10value_typeET4_jRbjT5_S1E_jjP12ihipStream_tbEUljE_ZNSN_ISO_Lb1ESQ_SR_ST_SU_SY_EESZ_S10_S11_S12_S16_S17_S18_S1B_S1C_jS1D_jS1E_S1E_jjS1G_bEUljE0_EEESZ_S10_S11_S18_S1C_S1E_T6_T7_T9_mT8_S1G_bDpT10_ENKUlT_T0_E_clISt17integral_constantIbLb1EES1T_IbLb0EEEEDaS1P_S1Q_EUlS1P_E_NS1_11comp_targetILNS1_3genE9ELNS1_11target_archE1100ELNS1_3gpuE3ELNS1_3repE0EEENS1_30default_config_static_selectorELNS0_4arch9wavefront6targetE0EEEvS12_.num_agpr, 0
	.set _ZN7rocprim17ROCPRIM_400000_NS6detail17trampoline_kernelINS0_13select_configILj256ELj13ELNS0_17block_load_methodE3ELS4_3ELS4_3ELNS0_20block_scan_algorithmE0ELj4294967295EEENS1_25partition_config_selectorILNS1_17partition_subalgoE4EjNS0_10empty_typeEbEEZZNS1_14partition_implILS8_4ELb0ES6_15HIP_vector_typeIjLj2EENS0_17counting_iteratorIjlEEPS9_SG_NS0_5tupleIJPjSI_NS0_16reverse_iteratorISI_EEEEENSH_IJSG_SG_SG_EEES9_SI_JZNS1_25segmented_radix_sort_implINS0_14default_configELb1EPKdPdPKlPlN2at6native12_GLOBAL__N_18offset_tEEE10hipError_tPvRmT1_PNSt15iterator_traitsIS12_E10value_typeET2_T3_PNS13_IS18_E10value_typeET4_jRbjT5_S1E_jjP12ihipStream_tbEUljE_ZNSN_ISO_Lb1ESQ_SR_ST_SU_SY_EESZ_S10_S11_S12_S16_S17_S18_S1B_S1C_jS1D_jS1E_S1E_jjS1G_bEUljE0_EEESZ_S10_S11_S18_S1C_S1E_T6_T7_T9_mT8_S1G_bDpT10_ENKUlT_T0_E_clISt17integral_constantIbLb1EES1T_IbLb0EEEEDaS1P_S1Q_EUlS1P_E_NS1_11comp_targetILNS1_3genE9ELNS1_11target_archE1100ELNS1_3gpuE3ELNS1_3repE0EEENS1_30default_config_static_selectorELNS0_4arch9wavefront6targetE0EEEvS12_.numbered_sgpr, 0
	.set _ZN7rocprim17ROCPRIM_400000_NS6detail17trampoline_kernelINS0_13select_configILj256ELj13ELNS0_17block_load_methodE3ELS4_3ELS4_3ELNS0_20block_scan_algorithmE0ELj4294967295EEENS1_25partition_config_selectorILNS1_17partition_subalgoE4EjNS0_10empty_typeEbEEZZNS1_14partition_implILS8_4ELb0ES6_15HIP_vector_typeIjLj2EENS0_17counting_iteratorIjlEEPS9_SG_NS0_5tupleIJPjSI_NS0_16reverse_iteratorISI_EEEEENSH_IJSG_SG_SG_EEES9_SI_JZNS1_25segmented_radix_sort_implINS0_14default_configELb1EPKdPdPKlPlN2at6native12_GLOBAL__N_18offset_tEEE10hipError_tPvRmT1_PNSt15iterator_traitsIS12_E10value_typeET2_T3_PNS13_IS18_E10value_typeET4_jRbjT5_S1E_jjP12ihipStream_tbEUljE_ZNSN_ISO_Lb1ESQ_SR_ST_SU_SY_EESZ_S10_S11_S12_S16_S17_S18_S1B_S1C_jS1D_jS1E_S1E_jjS1G_bEUljE0_EEESZ_S10_S11_S18_S1C_S1E_T6_T7_T9_mT8_S1G_bDpT10_ENKUlT_T0_E_clISt17integral_constantIbLb1EES1T_IbLb0EEEEDaS1P_S1Q_EUlS1P_E_NS1_11comp_targetILNS1_3genE9ELNS1_11target_archE1100ELNS1_3gpuE3ELNS1_3repE0EEENS1_30default_config_static_selectorELNS0_4arch9wavefront6targetE0EEEvS12_.num_named_barrier, 0
	.set _ZN7rocprim17ROCPRIM_400000_NS6detail17trampoline_kernelINS0_13select_configILj256ELj13ELNS0_17block_load_methodE3ELS4_3ELS4_3ELNS0_20block_scan_algorithmE0ELj4294967295EEENS1_25partition_config_selectorILNS1_17partition_subalgoE4EjNS0_10empty_typeEbEEZZNS1_14partition_implILS8_4ELb0ES6_15HIP_vector_typeIjLj2EENS0_17counting_iteratorIjlEEPS9_SG_NS0_5tupleIJPjSI_NS0_16reverse_iteratorISI_EEEEENSH_IJSG_SG_SG_EEES9_SI_JZNS1_25segmented_radix_sort_implINS0_14default_configELb1EPKdPdPKlPlN2at6native12_GLOBAL__N_18offset_tEEE10hipError_tPvRmT1_PNSt15iterator_traitsIS12_E10value_typeET2_T3_PNS13_IS18_E10value_typeET4_jRbjT5_S1E_jjP12ihipStream_tbEUljE_ZNSN_ISO_Lb1ESQ_SR_ST_SU_SY_EESZ_S10_S11_S12_S16_S17_S18_S1B_S1C_jS1D_jS1E_S1E_jjS1G_bEUljE0_EEESZ_S10_S11_S18_S1C_S1E_T6_T7_T9_mT8_S1G_bDpT10_ENKUlT_T0_E_clISt17integral_constantIbLb1EES1T_IbLb0EEEEDaS1P_S1Q_EUlS1P_E_NS1_11comp_targetILNS1_3genE9ELNS1_11target_archE1100ELNS1_3gpuE3ELNS1_3repE0EEENS1_30default_config_static_selectorELNS0_4arch9wavefront6targetE0EEEvS12_.private_seg_size, 0
	.set _ZN7rocprim17ROCPRIM_400000_NS6detail17trampoline_kernelINS0_13select_configILj256ELj13ELNS0_17block_load_methodE3ELS4_3ELS4_3ELNS0_20block_scan_algorithmE0ELj4294967295EEENS1_25partition_config_selectorILNS1_17partition_subalgoE4EjNS0_10empty_typeEbEEZZNS1_14partition_implILS8_4ELb0ES6_15HIP_vector_typeIjLj2EENS0_17counting_iteratorIjlEEPS9_SG_NS0_5tupleIJPjSI_NS0_16reverse_iteratorISI_EEEEENSH_IJSG_SG_SG_EEES9_SI_JZNS1_25segmented_radix_sort_implINS0_14default_configELb1EPKdPdPKlPlN2at6native12_GLOBAL__N_18offset_tEEE10hipError_tPvRmT1_PNSt15iterator_traitsIS12_E10value_typeET2_T3_PNS13_IS18_E10value_typeET4_jRbjT5_S1E_jjP12ihipStream_tbEUljE_ZNSN_ISO_Lb1ESQ_SR_ST_SU_SY_EESZ_S10_S11_S12_S16_S17_S18_S1B_S1C_jS1D_jS1E_S1E_jjS1G_bEUljE0_EEESZ_S10_S11_S18_S1C_S1E_T6_T7_T9_mT8_S1G_bDpT10_ENKUlT_T0_E_clISt17integral_constantIbLb1EES1T_IbLb0EEEEDaS1P_S1Q_EUlS1P_E_NS1_11comp_targetILNS1_3genE9ELNS1_11target_archE1100ELNS1_3gpuE3ELNS1_3repE0EEENS1_30default_config_static_selectorELNS0_4arch9wavefront6targetE0EEEvS12_.uses_vcc, 0
	.set _ZN7rocprim17ROCPRIM_400000_NS6detail17trampoline_kernelINS0_13select_configILj256ELj13ELNS0_17block_load_methodE3ELS4_3ELS4_3ELNS0_20block_scan_algorithmE0ELj4294967295EEENS1_25partition_config_selectorILNS1_17partition_subalgoE4EjNS0_10empty_typeEbEEZZNS1_14partition_implILS8_4ELb0ES6_15HIP_vector_typeIjLj2EENS0_17counting_iteratorIjlEEPS9_SG_NS0_5tupleIJPjSI_NS0_16reverse_iteratorISI_EEEEENSH_IJSG_SG_SG_EEES9_SI_JZNS1_25segmented_radix_sort_implINS0_14default_configELb1EPKdPdPKlPlN2at6native12_GLOBAL__N_18offset_tEEE10hipError_tPvRmT1_PNSt15iterator_traitsIS12_E10value_typeET2_T3_PNS13_IS18_E10value_typeET4_jRbjT5_S1E_jjP12ihipStream_tbEUljE_ZNSN_ISO_Lb1ESQ_SR_ST_SU_SY_EESZ_S10_S11_S12_S16_S17_S18_S1B_S1C_jS1D_jS1E_S1E_jjS1G_bEUljE0_EEESZ_S10_S11_S18_S1C_S1E_T6_T7_T9_mT8_S1G_bDpT10_ENKUlT_T0_E_clISt17integral_constantIbLb1EES1T_IbLb0EEEEDaS1P_S1Q_EUlS1P_E_NS1_11comp_targetILNS1_3genE9ELNS1_11target_archE1100ELNS1_3gpuE3ELNS1_3repE0EEENS1_30default_config_static_selectorELNS0_4arch9wavefront6targetE0EEEvS12_.uses_flat_scratch, 0
	.set _ZN7rocprim17ROCPRIM_400000_NS6detail17trampoline_kernelINS0_13select_configILj256ELj13ELNS0_17block_load_methodE3ELS4_3ELS4_3ELNS0_20block_scan_algorithmE0ELj4294967295EEENS1_25partition_config_selectorILNS1_17partition_subalgoE4EjNS0_10empty_typeEbEEZZNS1_14partition_implILS8_4ELb0ES6_15HIP_vector_typeIjLj2EENS0_17counting_iteratorIjlEEPS9_SG_NS0_5tupleIJPjSI_NS0_16reverse_iteratorISI_EEEEENSH_IJSG_SG_SG_EEES9_SI_JZNS1_25segmented_radix_sort_implINS0_14default_configELb1EPKdPdPKlPlN2at6native12_GLOBAL__N_18offset_tEEE10hipError_tPvRmT1_PNSt15iterator_traitsIS12_E10value_typeET2_T3_PNS13_IS18_E10value_typeET4_jRbjT5_S1E_jjP12ihipStream_tbEUljE_ZNSN_ISO_Lb1ESQ_SR_ST_SU_SY_EESZ_S10_S11_S12_S16_S17_S18_S1B_S1C_jS1D_jS1E_S1E_jjS1G_bEUljE0_EEESZ_S10_S11_S18_S1C_S1E_T6_T7_T9_mT8_S1G_bDpT10_ENKUlT_T0_E_clISt17integral_constantIbLb1EES1T_IbLb0EEEEDaS1P_S1Q_EUlS1P_E_NS1_11comp_targetILNS1_3genE9ELNS1_11target_archE1100ELNS1_3gpuE3ELNS1_3repE0EEENS1_30default_config_static_selectorELNS0_4arch9wavefront6targetE0EEEvS12_.has_dyn_sized_stack, 0
	.set _ZN7rocprim17ROCPRIM_400000_NS6detail17trampoline_kernelINS0_13select_configILj256ELj13ELNS0_17block_load_methodE3ELS4_3ELS4_3ELNS0_20block_scan_algorithmE0ELj4294967295EEENS1_25partition_config_selectorILNS1_17partition_subalgoE4EjNS0_10empty_typeEbEEZZNS1_14partition_implILS8_4ELb0ES6_15HIP_vector_typeIjLj2EENS0_17counting_iteratorIjlEEPS9_SG_NS0_5tupleIJPjSI_NS0_16reverse_iteratorISI_EEEEENSH_IJSG_SG_SG_EEES9_SI_JZNS1_25segmented_radix_sort_implINS0_14default_configELb1EPKdPdPKlPlN2at6native12_GLOBAL__N_18offset_tEEE10hipError_tPvRmT1_PNSt15iterator_traitsIS12_E10value_typeET2_T3_PNS13_IS18_E10value_typeET4_jRbjT5_S1E_jjP12ihipStream_tbEUljE_ZNSN_ISO_Lb1ESQ_SR_ST_SU_SY_EESZ_S10_S11_S12_S16_S17_S18_S1B_S1C_jS1D_jS1E_S1E_jjS1G_bEUljE0_EEESZ_S10_S11_S18_S1C_S1E_T6_T7_T9_mT8_S1G_bDpT10_ENKUlT_T0_E_clISt17integral_constantIbLb1EES1T_IbLb0EEEEDaS1P_S1Q_EUlS1P_E_NS1_11comp_targetILNS1_3genE9ELNS1_11target_archE1100ELNS1_3gpuE3ELNS1_3repE0EEENS1_30default_config_static_selectorELNS0_4arch9wavefront6targetE0EEEvS12_.has_recursion, 0
	.set _ZN7rocprim17ROCPRIM_400000_NS6detail17trampoline_kernelINS0_13select_configILj256ELj13ELNS0_17block_load_methodE3ELS4_3ELS4_3ELNS0_20block_scan_algorithmE0ELj4294967295EEENS1_25partition_config_selectorILNS1_17partition_subalgoE4EjNS0_10empty_typeEbEEZZNS1_14partition_implILS8_4ELb0ES6_15HIP_vector_typeIjLj2EENS0_17counting_iteratorIjlEEPS9_SG_NS0_5tupleIJPjSI_NS0_16reverse_iteratorISI_EEEEENSH_IJSG_SG_SG_EEES9_SI_JZNS1_25segmented_radix_sort_implINS0_14default_configELb1EPKdPdPKlPlN2at6native12_GLOBAL__N_18offset_tEEE10hipError_tPvRmT1_PNSt15iterator_traitsIS12_E10value_typeET2_T3_PNS13_IS18_E10value_typeET4_jRbjT5_S1E_jjP12ihipStream_tbEUljE_ZNSN_ISO_Lb1ESQ_SR_ST_SU_SY_EESZ_S10_S11_S12_S16_S17_S18_S1B_S1C_jS1D_jS1E_S1E_jjS1G_bEUljE0_EEESZ_S10_S11_S18_S1C_S1E_T6_T7_T9_mT8_S1G_bDpT10_ENKUlT_T0_E_clISt17integral_constantIbLb1EES1T_IbLb0EEEEDaS1P_S1Q_EUlS1P_E_NS1_11comp_targetILNS1_3genE9ELNS1_11target_archE1100ELNS1_3gpuE3ELNS1_3repE0EEENS1_30default_config_static_selectorELNS0_4arch9wavefront6targetE0EEEvS12_.has_indirect_call, 0
	.section	.AMDGPU.csdata,"",@progbits
; Kernel info:
; codeLenInByte = 0
; TotalNumSgprs: 0
; NumVgprs: 0
; ScratchSize: 0
; MemoryBound: 0
; FloatMode: 240
; IeeeMode: 1
; LDSByteSize: 0 bytes/workgroup (compile time only)
; SGPRBlocks: 0
; VGPRBlocks: 0
; NumSGPRsForWavesPerEU: 1
; NumVGPRsForWavesPerEU: 1
; NamedBarCnt: 0
; Occupancy: 16
; WaveLimiterHint : 0
; COMPUTE_PGM_RSRC2:SCRATCH_EN: 0
; COMPUTE_PGM_RSRC2:USER_SGPR: 2
; COMPUTE_PGM_RSRC2:TRAP_HANDLER: 0
; COMPUTE_PGM_RSRC2:TGID_X_EN: 1
; COMPUTE_PGM_RSRC2:TGID_Y_EN: 0
; COMPUTE_PGM_RSRC2:TGID_Z_EN: 0
; COMPUTE_PGM_RSRC2:TIDIG_COMP_CNT: 0
	.section	.text._ZN7rocprim17ROCPRIM_400000_NS6detail17trampoline_kernelINS0_13select_configILj256ELj13ELNS0_17block_load_methodE3ELS4_3ELS4_3ELNS0_20block_scan_algorithmE0ELj4294967295EEENS1_25partition_config_selectorILNS1_17partition_subalgoE4EjNS0_10empty_typeEbEEZZNS1_14partition_implILS8_4ELb0ES6_15HIP_vector_typeIjLj2EENS0_17counting_iteratorIjlEEPS9_SG_NS0_5tupleIJPjSI_NS0_16reverse_iteratorISI_EEEEENSH_IJSG_SG_SG_EEES9_SI_JZNS1_25segmented_radix_sort_implINS0_14default_configELb1EPKdPdPKlPlN2at6native12_GLOBAL__N_18offset_tEEE10hipError_tPvRmT1_PNSt15iterator_traitsIS12_E10value_typeET2_T3_PNS13_IS18_E10value_typeET4_jRbjT5_S1E_jjP12ihipStream_tbEUljE_ZNSN_ISO_Lb1ESQ_SR_ST_SU_SY_EESZ_S10_S11_S12_S16_S17_S18_S1B_S1C_jS1D_jS1E_S1E_jjS1G_bEUljE0_EEESZ_S10_S11_S18_S1C_S1E_T6_T7_T9_mT8_S1G_bDpT10_ENKUlT_T0_E_clISt17integral_constantIbLb1EES1T_IbLb0EEEEDaS1P_S1Q_EUlS1P_E_NS1_11comp_targetILNS1_3genE8ELNS1_11target_archE1030ELNS1_3gpuE2ELNS1_3repE0EEENS1_30default_config_static_selectorELNS0_4arch9wavefront6targetE0EEEvS12_,"axG",@progbits,_ZN7rocprim17ROCPRIM_400000_NS6detail17trampoline_kernelINS0_13select_configILj256ELj13ELNS0_17block_load_methodE3ELS4_3ELS4_3ELNS0_20block_scan_algorithmE0ELj4294967295EEENS1_25partition_config_selectorILNS1_17partition_subalgoE4EjNS0_10empty_typeEbEEZZNS1_14partition_implILS8_4ELb0ES6_15HIP_vector_typeIjLj2EENS0_17counting_iteratorIjlEEPS9_SG_NS0_5tupleIJPjSI_NS0_16reverse_iteratorISI_EEEEENSH_IJSG_SG_SG_EEES9_SI_JZNS1_25segmented_radix_sort_implINS0_14default_configELb1EPKdPdPKlPlN2at6native12_GLOBAL__N_18offset_tEEE10hipError_tPvRmT1_PNSt15iterator_traitsIS12_E10value_typeET2_T3_PNS13_IS18_E10value_typeET4_jRbjT5_S1E_jjP12ihipStream_tbEUljE_ZNSN_ISO_Lb1ESQ_SR_ST_SU_SY_EESZ_S10_S11_S12_S16_S17_S18_S1B_S1C_jS1D_jS1E_S1E_jjS1G_bEUljE0_EEESZ_S10_S11_S18_S1C_S1E_T6_T7_T9_mT8_S1G_bDpT10_ENKUlT_T0_E_clISt17integral_constantIbLb1EES1T_IbLb0EEEEDaS1P_S1Q_EUlS1P_E_NS1_11comp_targetILNS1_3genE8ELNS1_11target_archE1030ELNS1_3gpuE2ELNS1_3repE0EEENS1_30default_config_static_selectorELNS0_4arch9wavefront6targetE0EEEvS12_,comdat
	.globl	_ZN7rocprim17ROCPRIM_400000_NS6detail17trampoline_kernelINS0_13select_configILj256ELj13ELNS0_17block_load_methodE3ELS4_3ELS4_3ELNS0_20block_scan_algorithmE0ELj4294967295EEENS1_25partition_config_selectorILNS1_17partition_subalgoE4EjNS0_10empty_typeEbEEZZNS1_14partition_implILS8_4ELb0ES6_15HIP_vector_typeIjLj2EENS0_17counting_iteratorIjlEEPS9_SG_NS0_5tupleIJPjSI_NS0_16reverse_iteratorISI_EEEEENSH_IJSG_SG_SG_EEES9_SI_JZNS1_25segmented_radix_sort_implINS0_14default_configELb1EPKdPdPKlPlN2at6native12_GLOBAL__N_18offset_tEEE10hipError_tPvRmT1_PNSt15iterator_traitsIS12_E10value_typeET2_T3_PNS13_IS18_E10value_typeET4_jRbjT5_S1E_jjP12ihipStream_tbEUljE_ZNSN_ISO_Lb1ESQ_SR_ST_SU_SY_EESZ_S10_S11_S12_S16_S17_S18_S1B_S1C_jS1D_jS1E_S1E_jjS1G_bEUljE0_EEESZ_S10_S11_S18_S1C_S1E_T6_T7_T9_mT8_S1G_bDpT10_ENKUlT_T0_E_clISt17integral_constantIbLb1EES1T_IbLb0EEEEDaS1P_S1Q_EUlS1P_E_NS1_11comp_targetILNS1_3genE8ELNS1_11target_archE1030ELNS1_3gpuE2ELNS1_3repE0EEENS1_30default_config_static_selectorELNS0_4arch9wavefront6targetE0EEEvS12_ ; -- Begin function _ZN7rocprim17ROCPRIM_400000_NS6detail17trampoline_kernelINS0_13select_configILj256ELj13ELNS0_17block_load_methodE3ELS4_3ELS4_3ELNS0_20block_scan_algorithmE0ELj4294967295EEENS1_25partition_config_selectorILNS1_17partition_subalgoE4EjNS0_10empty_typeEbEEZZNS1_14partition_implILS8_4ELb0ES6_15HIP_vector_typeIjLj2EENS0_17counting_iteratorIjlEEPS9_SG_NS0_5tupleIJPjSI_NS0_16reverse_iteratorISI_EEEEENSH_IJSG_SG_SG_EEES9_SI_JZNS1_25segmented_radix_sort_implINS0_14default_configELb1EPKdPdPKlPlN2at6native12_GLOBAL__N_18offset_tEEE10hipError_tPvRmT1_PNSt15iterator_traitsIS12_E10value_typeET2_T3_PNS13_IS18_E10value_typeET4_jRbjT5_S1E_jjP12ihipStream_tbEUljE_ZNSN_ISO_Lb1ESQ_SR_ST_SU_SY_EESZ_S10_S11_S12_S16_S17_S18_S1B_S1C_jS1D_jS1E_S1E_jjS1G_bEUljE0_EEESZ_S10_S11_S18_S1C_S1E_T6_T7_T9_mT8_S1G_bDpT10_ENKUlT_T0_E_clISt17integral_constantIbLb1EES1T_IbLb0EEEEDaS1P_S1Q_EUlS1P_E_NS1_11comp_targetILNS1_3genE8ELNS1_11target_archE1030ELNS1_3gpuE2ELNS1_3repE0EEENS1_30default_config_static_selectorELNS0_4arch9wavefront6targetE0EEEvS12_
	.p2align	8
	.type	_ZN7rocprim17ROCPRIM_400000_NS6detail17trampoline_kernelINS0_13select_configILj256ELj13ELNS0_17block_load_methodE3ELS4_3ELS4_3ELNS0_20block_scan_algorithmE0ELj4294967295EEENS1_25partition_config_selectorILNS1_17partition_subalgoE4EjNS0_10empty_typeEbEEZZNS1_14partition_implILS8_4ELb0ES6_15HIP_vector_typeIjLj2EENS0_17counting_iteratorIjlEEPS9_SG_NS0_5tupleIJPjSI_NS0_16reverse_iteratorISI_EEEEENSH_IJSG_SG_SG_EEES9_SI_JZNS1_25segmented_radix_sort_implINS0_14default_configELb1EPKdPdPKlPlN2at6native12_GLOBAL__N_18offset_tEEE10hipError_tPvRmT1_PNSt15iterator_traitsIS12_E10value_typeET2_T3_PNS13_IS18_E10value_typeET4_jRbjT5_S1E_jjP12ihipStream_tbEUljE_ZNSN_ISO_Lb1ESQ_SR_ST_SU_SY_EESZ_S10_S11_S12_S16_S17_S18_S1B_S1C_jS1D_jS1E_S1E_jjS1G_bEUljE0_EEESZ_S10_S11_S18_S1C_S1E_T6_T7_T9_mT8_S1G_bDpT10_ENKUlT_T0_E_clISt17integral_constantIbLb1EES1T_IbLb0EEEEDaS1P_S1Q_EUlS1P_E_NS1_11comp_targetILNS1_3genE8ELNS1_11target_archE1030ELNS1_3gpuE2ELNS1_3repE0EEENS1_30default_config_static_selectorELNS0_4arch9wavefront6targetE0EEEvS12_,@function
_ZN7rocprim17ROCPRIM_400000_NS6detail17trampoline_kernelINS0_13select_configILj256ELj13ELNS0_17block_load_methodE3ELS4_3ELS4_3ELNS0_20block_scan_algorithmE0ELj4294967295EEENS1_25partition_config_selectorILNS1_17partition_subalgoE4EjNS0_10empty_typeEbEEZZNS1_14partition_implILS8_4ELb0ES6_15HIP_vector_typeIjLj2EENS0_17counting_iteratorIjlEEPS9_SG_NS0_5tupleIJPjSI_NS0_16reverse_iteratorISI_EEEEENSH_IJSG_SG_SG_EEES9_SI_JZNS1_25segmented_radix_sort_implINS0_14default_configELb1EPKdPdPKlPlN2at6native12_GLOBAL__N_18offset_tEEE10hipError_tPvRmT1_PNSt15iterator_traitsIS12_E10value_typeET2_T3_PNS13_IS18_E10value_typeET4_jRbjT5_S1E_jjP12ihipStream_tbEUljE_ZNSN_ISO_Lb1ESQ_SR_ST_SU_SY_EESZ_S10_S11_S12_S16_S17_S18_S1B_S1C_jS1D_jS1E_S1E_jjS1G_bEUljE0_EEESZ_S10_S11_S18_S1C_S1E_T6_T7_T9_mT8_S1G_bDpT10_ENKUlT_T0_E_clISt17integral_constantIbLb1EES1T_IbLb0EEEEDaS1P_S1Q_EUlS1P_E_NS1_11comp_targetILNS1_3genE8ELNS1_11target_archE1030ELNS1_3gpuE2ELNS1_3repE0EEENS1_30default_config_static_selectorELNS0_4arch9wavefront6targetE0EEEvS12_: ; @_ZN7rocprim17ROCPRIM_400000_NS6detail17trampoline_kernelINS0_13select_configILj256ELj13ELNS0_17block_load_methodE3ELS4_3ELS4_3ELNS0_20block_scan_algorithmE0ELj4294967295EEENS1_25partition_config_selectorILNS1_17partition_subalgoE4EjNS0_10empty_typeEbEEZZNS1_14partition_implILS8_4ELb0ES6_15HIP_vector_typeIjLj2EENS0_17counting_iteratorIjlEEPS9_SG_NS0_5tupleIJPjSI_NS0_16reverse_iteratorISI_EEEEENSH_IJSG_SG_SG_EEES9_SI_JZNS1_25segmented_radix_sort_implINS0_14default_configELb1EPKdPdPKlPlN2at6native12_GLOBAL__N_18offset_tEEE10hipError_tPvRmT1_PNSt15iterator_traitsIS12_E10value_typeET2_T3_PNS13_IS18_E10value_typeET4_jRbjT5_S1E_jjP12ihipStream_tbEUljE_ZNSN_ISO_Lb1ESQ_SR_ST_SU_SY_EESZ_S10_S11_S12_S16_S17_S18_S1B_S1C_jS1D_jS1E_S1E_jjS1G_bEUljE0_EEESZ_S10_S11_S18_S1C_S1E_T6_T7_T9_mT8_S1G_bDpT10_ENKUlT_T0_E_clISt17integral_constantIbLb1EES1T_IbLb0EEEEDaS1P_S1Q_EUlS1P_E_NS1_11comp_targetILNS1_3genE8ELNS1_11target_archE1030ELNS1_3gpuE2ELNS1_3repE0EEENS1_30default_config_static_selectorELNS0_4arch9wavefront6targetE0EEEvS12_
; %bb.0:
	.section	.rodata,"a",@progbits
	.p2align	6, 0x0
	.amdhsa_kernel _ZN7rocprim17ROCPRIM_400000_NS6detail17trampoline_kernelINS0_13select_configILj256ELj13ELNS0_17block_load_methodE3ELS4_3ELS4_3ELNS0_20block_scan_algorithmE0ELj4294967295EEENS1_25partition_config_selectorILNS1_17partition_subalgoE4EjNS0_10empty_typeEbEEZZNS1_14partition_implILS8_4ELb0ES6_15HIP_vector_typeIjLj2EENS0_17counting_iteratorIjlEEPS9_SG_NS0_5tupleIJPjSI_NS0_16reverse_iteratorISI_EEEEENSH_IJSG_SG_SG_EEES9_SI_JZNS1_25segmented_radix_sort_implINS0_14default_configELb1EPKdPdPKlPlN2at6native12_GLOBAL__N_18offset_tEEE10hipError_tPvRmT1_PNSt15iterator_traitsIS12_E10value_typeET2_T3_PNS13_IS18_E10value_typeET4_jRbjT5_S1E_jjP12ihipStream_tbEUljE_ZNSN_ISO_Lb1ESQ_SR_ST_SU_SY_EESZ_S10_S11_S12_S16_S17_S18_S1B_S1C_jS1D_jS1E_S1E_jjS1G_bEUljE0_EEESZ_S10_S11_S18_S1C_S1E_T6_T7_T9_mT8_S1G_bDpT10_ENKUlT_T0_E_clISt17integral_constantIbLb1EES1T_IbLb0EEEEDaS1P_S1Q_EUlS1P_E_NS1_11comp_targetILNS1_3genE8ELNS1_11target_archE1030ELNS1_3gpuE2ELNS1_3repE0EEENS1_30default_config_static_selectorELNS0_4arch9wavefront6targetE0EEEvS12_
		.amdhsa_group_segment_fixed_size 0
		.amdhsa_private_segment_fixed_size 0
		.amdhsa_kernarg_size 176
		.amdhsa_user_sgpr_count 2
		.amdhsa_user_sgpr_dispatch_ptr 0
		.amdhsa_user_sgpr_queue_ptr 0
		.amdhsa_user_sgpr_kernarg_segment_ptr 1
		.amdhsa_user_sgpr_dispatch_id 0
		.amdhsa_user_sgpr_kernarg_preload_length 0
		.amdhsa_user_sgpr_kernarg_preload_offset 0
		.amdhsa_user_sgpr_private_segment_size 0
		.amdhsa_wavefront_size32 1
		.amdhsa_uses_dynamic_stack 0
		.amdhsa_enable_private_segment 0
		.amdhsa_system_sgpr_workgroup_id_x 1
		.amdhsa_system_sgpr_workgroup_id_y 0
		.amdhsa_system_sgpr_workgroup_id_z 0
		.amdhsa_system_sgpr_workgroup_info 0
		.amdhsa_system_vgpr_workitem_id 0
		.amdhsa_next_free_vgpr 1
		.amdhsa_next_free_sgpr 1
		.amdhsa_named_barrier_count 0
		.amdhsa_reserve_vcc 0
		.amdhsa_float_round_mode_32 0
		.amdhsa_float_round_mode_16_64 0
		.amdhsa_float_denorm_mode_32 3
		.amdhsa_float_denorm_mode_16_64 3
		.amdhsa_fp16_overflow 0
		.amdhsa_memory_ordered 1
		.amdhsa_forward_progress 1
		.amdhsa_inst_pref_size 0
		.amdhsa_round_robin_scheduling 0
		.amdhsa_exception_fp_ieee_invalid_op 0
		.amdhsa_exception_fp_denorm_src 0
		.amdhsa_exception_fp_ieee_div_zero 0
		.amdhsa_exception_fp_ieee_overflow 0
		.amdhsa_exception_fp_ieee_underflow 0
		.amdhsa_exception_fp_ieee_inexact 0
		.amdhsa_exception_int_div_zero 0
	.end_amdhsa_kernel
	.section	.text._ZN7rocprim17ROCPRIM_400000_NS6detail17trampoline_kernelINS0_13select_configILj256ELj13ELNS0_17block_load_methodE3ELS4_3ELS4_3ELNS0_20block_scan_algorithmE0ELj4294967295EEENS1_25partition_config_selectorILNS1_17partition_subalgoE4EjNS0_10empty_typeEbEEZZNS1_14partition_implILS8_4ELb0ES6_15HIP_vector_typeIjLj2EENS0_17counting_iteratorIjlEEPS9_SG_NS0_5tupleIJPjSI_NS0_16reverse_iteratorISI_EEEEENSH_IJSG_SG_SG_EEES9_SI_JZNS1_25segmented_radix_sort_implINS0_14default_configELb1EPKdPdPKlPlN2at6native12_GLOBAL__N_18offset_tEEE10hipError_tPvRmT1_PNSt15iterator_traitsIS12_E10value_typeET2_T3_PNS13_IS18_E10value_typeET4_jRbjT5_S1E_jjP12ihipStream_tbEUljE_ZNSN_ISO_Lb1ESQ_SR_ST_SU_SY_EESZ_S10_S11_S12_S16_S17_S18_S1B_S1C_jS1D_jS1E_S1E_jjS1G_bEUljE0_EEESZ_S10_S11_S18_S1C_S1E_T6_T7_T9_mT8_S1G_bDpT10_ENKUlT_T0_E_clISt17integral_constantIbLb1EES1T_IbLb0EEEEDaS1P_S1Q_EUlS1P_E_NS1_11comp_targetILNS1_3genE8ELNS1_11target_archE1030ELNS1_3gpuE2ELNS1_3repE0EEENS1_30default_config_static_selectorELNS0_4arch9wavefront6targetE0EEEvS12_,"axG",@progbits,_ZN7rocprim17ROCPRIM_400000_NS6detail17trampoline_kernelINS0_13select_configILj256ELj13ELNS0_17block_load_methodE3ELS4_3ELS4_3ELNS0_20block_scan_algorithmE0ELj4294967295EEENS1_25partition_config_selectorILNS1_17partition_subalgoE4EjNS0_10empty_typeEbEEZZNS1_14partition_implILS8_4ELb0ES6_15HIP_vector_typeIjLj2EENS0_17counting_iteratorIjlEEPS9_SG_NS0_5tupleIJPjSI_NS0_16reverse_iteratorISI_EEEEENSH_IJSG_SG_SG_EEES9_SI_JZNS1_25segmented_radix_sort_implINS0_14default_configELb1EPKdPdPKlPlN2at6native12_GLOBAL__N_18offset_tEEE10hipError_tPvRmT1_PNSt15iterator_traitsIS12_E10value_typeET2_T3_PNS13_IS18_E10value_typeET4_jRbjT5_S1E_jjP12ihipStream_tbEUljE_ZNSN_ISO_Lb1ESQ_SR_ST_SU_SY_EESZ_S10_S11_S12_S16_S17_S18_S1B_S1C_jS1D_jS1E_S1E_jjS1G_bEUljE0_EEESZ_S10_S11_S18_S1C_S1E_T6_T7_T9_mT8_S1G_bDpT10_ENKUlT_T0_E_clISt17integral_constantIbLb1EES1T_IbLb0EEEEDaS1P_S1Q_EUlS1P_E_NS1_11comp_targetILNS1_3genE8ELNS1_11target_archE1030ELNS1_3gpuE2ELNS1_3repE0EEENS1_30default_config_static_selectorELNS0_4arch9wavefront6targetE0EEEvS12_,comdat
.Lfunc_end1071:
	.size	_ZN7rocprim17ROCPRIM_400000_NS6detail17trampoline_kernelINS0_13select_configILj256ELj13ELNS0_17block_load_methodE3ELS4_3ELS4_3ELNS0_20block_scan_algorithmE0ELj4294967295EEENS1_25partition_config_selectorILNS1_17partition_subalgoE4EjNS0_10empty_typeEbEEZZNS1_14partition_implILS8_4ELb0ES6_15HIP_vector_typeIjLj2EENS0_17counting_iteratorIjlEEPS9_SG_NS0_5tupleIJPjSI_NS0_16reverse_iteratorISI_EEEEENSH_IJSG_SG_SG_EEES9_SI_JZNS1_25segmented_radix_sort_implINS0_14default_configELb1EPKdPdPKlPlN2at6native12_GLOBAL__N_18offset_tEEE10hipError_tPvRmT1_PNSt15iterator_traitsIS12_E10value_typeET2_T3_PNS13_IS18_E10value_typeET4_jRbjT5_S1E_jjP12ihipStream_tbEUljE_ZNSN_ISO_Lb1ESQ_SR_ST_SU_SY_EESZ_S10_S11_S12_S16_S17_S18_S1B_S1C_jS1D_jS1E_S1E_jjS1G_bEUljE0_EEESZ_S10_S11_S18_S1C_S1E_T6_T7_T9_mT8_S1G_bDpT10_ENKUlT_T0_E_clISt17integral_constantIbLb1EES1T_IbLb0EEEEDaS1P_S1Q_EUlS1P_E_NS1_11comp_targetILNS1_3genE8ELNS1_11target_archE1030ELNS1_3gpuE2ELNS1_3repE0EEENS1_30default_config_static_selectorELNS0_4arch9wavefront6targetE0EEEvS12_, .Lfunc_end1071-_ZN7rocprim17ROCPRIM_400000_NS6detail17trampoline_kernelINS0_13select_configILj256ELj13ELNS0_17block_load_methodE3ELS4_3ELS4_3ELNS0_20block_scan_algorithmE0ELj4294967295EEENS1_25partition_config_selectorILNS1_17partition_subalgoE4EjNS0_10empty_typeEbEEZZNS1_14partition_implILS8_4ELb0ES6_15HIP_vector_typeIjLj2EENS0_17counting_iteratorIjlEEPS9_SG_NS0_5tupleIJPjSI_NS0_16reverse_iteratorISI_EEEEENSH_IJSG_SG_SG_EEES9_SI_JZNS1_25segmented_radix_sort_implINS0_14default_configELb1EPKdPdPKlPlN2at6native12_GLOBAL__N_18offset_tEEE10hipError_tPvRmT1_PNSt15iterator_traitsIS12_E10value_typeET2_T3_PNS13_IS18_E10value_typeET4_jRbjT5_S1E_jjP12ihipStream_tbEUljE_ZNSN_ISO_Lb1ESQ_SR_ST_SU_SY_EESZ_S10_S11_S12_S16_S17_S18_S1B_S1C_jS1D_jS1E_S1E_jjS1G_bEUljE0_EEESZ_S10_S11_S18_S1C_S1E_T6_T7_T9_mT8_S1G_bDpT10_ENKUlT_T0_E_clISt17integral_constantIbLb1EES1T_IbLb0EEEEDaS1P_S1Q_EUlS1P_E_NS1_11comp_targetILNS1_3genE8ELNS1_11target_archE1030ELNS1_3gpuE2ELNS1_3repE0EEENS1_30default_config_static_selectorELNS0_4arch9wavefront6targetE0EEEvS12_
                                        ; -- End function
	.set _ZN7rocprim17ROCPRIM_400000_NS6detail17trampoline_kernelINS0_13select_configILj256ELj13ELNS0_17block_load_methodE3ELS4_3ELS4_3ELNS0_20block_scan_algorithmE0ELj4294967295EEENS1_25partition_config_selectorILNS1_17partition_subalgoE4EjNS0_10empty_typeEbEEZZNS1_14partition_implILS8_4ELb0ES6_15HIP_vector_typeIjLj2EENS0_17counting_iteratorIjlEEPS9_SG_NS0_5tupleIJPjSI_NS0_16reverse_iteratorISI_EEEEENSH_IJSG_SG_SG_EEES9_SI_JZNS1_25segmented_radix_sort_implINS0_14default_configELb1EPKdPdPKlPlN2at6native12_GLOBAL__N_18offset_tEEE10hipError_tPvRmT1_PNSt15iterator_traitsIS12_E10value_typeET2_T3_PNS13_IS18_E10value_typeET4_jRbjT5_S1E_jjP12ihipStream_tbEUljE_ZNSN_ISO_Lb1ESQ_SR_ST_SU_SY_EESZ_S10_S11_S12_S16_S17_S18_S1B_S1C_jS1D_jS1E_S1E_jjS1G_bEUljE0_EEESZ_S10_S11_S18_S1C_S1E_T6_T7_T9_mT8_S1G_bDpT10_ENKUlT_T0_E_clISt17integral_constantIbLb1EES1T_IbLb0EEEEDaS1P_S1Q_EUlS1P_E_NS1_11comp_targetILNS1_3genE8ELNS1_11target_archE1030ELNS1_3gpuE2ELNS1_3repE0EEENS1_30default_config_static_selectorELNS0_4arch9wavefront6targetE0EEEvS12_.num_vgpr, 0
	.set _ZN7rocprim17ROCPRIM_400000_NS6detail17trampoline_kernelINS0_13select_configILj256ELj13ELNS0_17block_load_methodE3ELS4_3ELS4_3ELNS0_20block_scan_algorithmE0ELj4294967295EEENS1_25partition_config_selectorILNS1_17partition_subalgoE4EjNS0_10empty_typeEbEEZZNS1_14partition_implILS8_4ELb0ES6_15HIP_vector_typeIjLj2EENS0_17counting_iteratorIjlEEPS9_SG_NS0_5tupleIJPjSI_NS0_16reverse_iteratorISI_EEEEENSH_IJSG_SG_SG_EEES9_SI_JZNS1_25segmented_radix_sort_implINS0_14default_configELb1EPKdPdPKlPlN2at6native12_GLOBAL__N_18offset_tEEE10hipError_tPvRmT1_PNSt15iterator_traitsIS12_E10value_typeET2_T3_PNS13_IS18_E10value_typeET4_jRbjT5_S1E_jjP12ihipStream_tbEUljE_ZNSN_ISO_Lb1ESQ_SR_ST_SU_SY_EESZ_S10_S11_S12_S16_S17_S18_S1B_S1C_jS1D_jS1E_S1E_jjS1G_bEUljE0_EEESZ_S10_S11_S18_S1C_S1E_T6_T7_T9_mT8_S1G_bDpT10_ENKUlT_T0_E_clISt17integral_constantIbLb1EES1T_IbLb0EEEEDaS1P_S1Q_EUlS1P_E_NS1_11comp_targetILNS1_3genE8ELNS1_11target_archE1030ELNS1_3gpuE2ELNS1_3repE0EEENS1_30default_config_static_selectorELNS0_4arch9wavefront6targetE0EEEvS12_.num_agpr, 0
	.set _ZN7rocprim17ROCPRIM_400000_NS6detail17trampoline_kernelINS0_13select_configILj256ELj13ELNS0_17block_load_methodE3ELS4_3ELS4_3ELNS0_20block_scan_algorithmE0ELj4294967295EEENS1_25partition_config_selectorILNS1_17partition_subalgoE4EjNS0_10empty_typeEbEEZZNS1_14partition_implILS8_4ELb0ES6_15HIP_vector_typeIjLj2EENS0_17counting_iteratorIjlEEPS9_SG_NS0_5tupleIJPjSI_NS0_16reverse_iteratorISI_EEEEENSH_IJSG_SG_SG_EEES9_SI_JZNS1_25segmented_radix_sort_implINS0_14default_configELb1EPKdPdPKlPlN2at6native12_GLOBAL__N_18offset_tEEE10hipError_tPvRmT1_PNSt15iterator_traitsIS12_E10value_typeET2_T3_PNS13_IS18_E10value_typeET4_jRbjT5_S1E_jjP12ihipStream_tbEUljE_ZNSN_ISO_Lb1ESQ_SR_ST_SU_SY_EESZ_S10_S11_S12_S16_S17_S18_S1B_S1C_jS1D_jS1E_S1E_jjS1G_bEUljE0_EEESZ_S10_S11_S18_S1C_S1E_T6_T7_T9_mT8_S1G_bDpT10_ENKUlT_T0_E_clISt17integral_constantIbLb1EES1T_IbLb0EEEEDaS1P_S1Q_EUlS1P_E_NS1_11comp_targetILNS1_3genE8ELNS1_11target_archE1030ELNS1_3gpuE2ELNS1_3repE0EEENS1_30default_config_static_selectorELNS0_4arch9wavefront6targetE0EEEvS12_.numbered_sgpr, 0
	.set _ZN7rocprim17ROCPRIM_400000_NS6detail17trampoline_kernelINS0_13select_configILj256ELj13ELNS0_17block_load_methodE3ELS4_3ELS4_3ELNS0_20block_scan_algorithmE0ELj4294967295EEENS1_25partition_config_selectorILNS1_17partition_subalgoE4EjNS0_10empty_typeEbEEZZNS1_14partition_implILS8_4ELb0ES6_15HIP_vector_typeIjLj2EENS0_17counting_iteratorIjlEEPS9_SG_NS0_5tupleIJPjSI_NS0_16reverse_iteratorISI_EEEEENSH_IJSG_SG_SG_EEES9_SI_JZNS1_25segmented_radix_sort_implINS0_14default_configELb1EPKdPdPKlPlN2at6native12_GLOBAL__N_18offset_tEEE10hipError_tPvRmT1_PNSt15iterator_traitsIS12_E10value_typeET2_T3_PNS13_IS18_E10value_typeET4_jRbjT5_S1E_jjP12ihipStream_tbEUljE_ZNSN_ISO_Lb1ESQ_SR_ST_SU_SY_EESZ_S10_S11_S12_S16_S17_S18_S1B_S1C_jS1D_jS1E_S1E_jjS1G_bEUljE0_EEESZ_S10_S11_S18_S1C_S1E_T6_T7_T9_mT8_S1G_bDpT10_ENKUlT_T0_E_clISt17integral_constantIbLb1EES1T_IbLb0EEEEDaS1P_S1Q_EUlS1P_E_NS1_11comp_targetILNS1_3genE8ELNS1_11target_archE1030ELNS1_3gpuE2ELNS1_3repE0EEENS1_30default_config_static_selectorELNS0_4arch9wavefront6targetE0EEEvS12_.num_named_barrier, 0
	.set _ZN7rocprim17ROCPRIM_400000_NS6detail17trampoline_kernelINS0_13select_configILj256ELj13ELNS0_17block_load_methodE3ELS4_3ELS4_3ELNS0_20block_scan_algorithmE0ELj4294967295EEENS1_25partition_config_selectorILNS1_17partition_subalgoE4EjNS0_10empty_typeEbEEZZNS1_14partition_implILS8_4ELb0ES6_15HIP_vector_typeIjLj2EENS0_17counting_iteratorIjlEEPS9_SG_NS0_5tupleIJPjSI_NS0_16reverse_iteratorISI_EEEEENSH_IJSG_SG_SG_EEES9_SI_JZNS1_25segmented_radix_sort_implINS0_14default_configELb1EPKdPdPKlPlN2at6native12_GLOBAL__N_18offset_tEEE10hipError_tPvRmT1_PNSt15iterator_traitsIS12_E10value_typeET2_T3_PNS13_IS18_E10value_typeET4_jRbjT5_S1E_jjP12ihipStream_tbEUljE_ZNSN_ISO_Lb1ESQ_SR_ST_SU_SY_EESZ_S10_S11_S12_S16_S17_S18_S1B_S1C_jS1D_jS1E_S1E_jjS1G_bEUljE0_EEESZ_S10_S11_S18_S1C_S1E_T6_T7_T9_mT8_S1G_bDpT10_ENKUlT_T0_E_clISt17integral_constantIbLb1EES1T_IbLb0EEEEDaS1P_S1Q_EUlS1P_E_NS1_11comp_targetILNS1_3genE8ELNS1_11target_archE1030ELNS1_3gpuE2ELNS1_3repE0EEENS1_30default_config_static_selectorELNS0_4arch9wavefront6targetE0EEEvS12_.private_seg_size, 0
	.set _ZN7rocprim17ROCPRIM_400000_NS6detail17trampoline_kernelINS0_13select_configILj256ELj13ELNS0_17block_load_methodE3ELS4_3ELS4_3ELNS0_20block_scan_algorithmE0ELj4294967295EEENS1_25partition_config_selectorILNS1_17partition_subalgoE4EjNS0_10empty_typeEbEEZZNS1_14partition_implILS8_4ELb0ES6_15HIP_vector_typeIjLj2EENS0_17counting_iteratorIjlEEPS9_SG_NS0_5tupleIJPjSI_NS0_16reverse_iteratorISI_EEEEENSH_IJSG_SG_SG_EEES9_SI_JZNS1_25segmented_radix_sort_implINS0_14default_configELb1EPKdPdPKlPlN2at6native12_GLOBAL__N_18offset_tEEE10hipError_tPvRmT1_PNSt15iterator_traitsIS12_E10value_typeET2_T3_PNS13_IS18_E10value_typeET4_jRbjT5_S1E_jjP12ihipStream_tbEUljE_ZNSN_ISO_Lb1ESQ_SR_ST_SU_SY_EESZ_S10_S11_S12_S16_S17_S18_S1B_S1C_jS1D_jS1E_S1E_jjS1G_bEUljE0_EEESZ_S10_S11_S18_S1C_S1E_T6_T7_T9_mT8_S1G_bDpT10_ENKUlT_T0_E_clISt17integral_constantIbLb1EES1T_IbLb0EEEEDaS1P_S1Q_EUlS1P_E_NS1_11comp_targetILNS1_3genE8ELNS1_11target_archE1030ELNS1_3gpuE2ELNS1_3repE0EEENS1_30default_config_static_selectorELNS0_4arch9wavefront6targetE0EEEvS12_.uses_vcc, 0
	.set _ZN7rocprim17ROCPRIM_400000_NS6detail17trampoline_kernelINS0_13select_configILj256ELj13ELNS0_17block_load_methodE3ELS4_3ELS4_3ELNS0_20block_scan_algorithmE0ELj4294967295EEENS1_25partition_config_selectorILNS1_17partition_subalgoE4EjNS0_10empty_typeEbEEZZNS1_14partition_implILS8_4ELb0ES6_15HIP_vector_typeIjLj2EENS0_17counting_iteratorIjlEEPS9_SG_NS0_5tupleIJPjSI_NS0_16reverse_iteratorISI_EEEEENSH_IJSG_SG_SG_EEES9_SI_JZNS1_25segmented_radix_sort_implINS0_14default_configELb1EPKdPdPKlPlN2at6native12_GLOBAL__N_18offset_tEEE10hipError_tPvRmT1_PNSt15iterator_traitsIS12_E10value_typeET2_T3_PNS13_IS18_E10value_typeET4_jRbjT5_S1E_jjP12ihipStream_tbEUljE_ZNSN_ISO_Lb1ESQ_SR_ST_SU_SY_EESZ_S10_S11_S12_S16_S17_S18_S1B_S1C_jS1D_jS1E_S1E_jjS1G_bEUljE0_EEESZ_S10_S11_S18_S1C_S1E_T6_T7_T9_mT8_S1G_bDpT10_ENKUlT_T0_E_clISt17integral_constantIbLb1EES1T_IbLb0EEEEDaS1P_S1Q_EUlS1P_E_NS1_11comp_targetILNS1_3genE8ELNS1_11target_archE1030ELNS1_3gpuE2ELNS1_3repE0EEENS1_30default_config_static_selectorELNS0_4arch9wavefront6targetE0EEEvS12_.uses_flat_scratch, 0
	.set _ZN7rocprim17ROCPRIM_400000_NS6detail17trampoline_kernelINS0_13select_configILj256ELj13ELNS0_17block_load_methodE3ELS4_3ELS4_3ELNS0_20block_scan_algorithmE0ELj4294967295EEENS1_25partition_config_selectorILNS1_17partition_subalgoE4EjNS0_10empty_typeEbEEZZNS1_14partition_implILS8_4ELb0ES6_15HIP_vector_typeIjLj2EENS0_17counting_iteratorIjlEEPS9_SG_NS0_5tupleIJPjSI_NS0_16reverse_iteratorISI_EEEEENSH_IJSG_SG_SG_EEES9_SI_JZNS1_25segmented_radix_sort_implINS0_14default_configELb1EPKdPdPKlPlN2at6native12_GLOBAL__N_18offset_tEEE10hipError_tPvRmT1_PNSt15iterator_traitsIS12_E10value_typeET2_T3_PNS13_IS18_E10value_typeET4_jRbjT5_S1E_jjP12ihipStream_tbEUljE_ZNSN_ISO_Lb1ESQ_SR_ST_SU_SY_EESZ_S10_S11_S12_S16_S17_S18_S1B_S1C_jS1D_jS1E_S1E_jjS1G_bEUljE0_EEESZ_S10_S11_S18_S1C_S1E_T6_T7_T9_mT8_S1G_bDpT10_ENKUlT_T0_E_clISt17integral_constantIbLb1EES1T_IbLb0EEEEDaS1P_S1Q_EUlS1P_E_NS1_11comp_targetILNS1_3genE8ELNS1_11target_archE1030ELNS1_3gpuE2ELNS1_3repE0EEENS1_30default_config_static_selectorELNS0_4arch9wavefront6targetE0EEEvS12_.has_dyn_sized_stack, 0
	.set _ZN7rocprim17ROCPRIM_400000_NS6detail17trampoline_kernelINS0_13select_configILj256ELj13ELNS0_17block_load_methodE3ELS4_3ELS4_3ELNS0_20block_scan_algorithmE0ELj4294967295EEENS1_25partition_config_selectorILNS1_17partition_subalgoE4EjNS0_10empty_typeEbEEZZNS1_14partition_implILS8_4ELb0ES6_15HIP_vector_typeIjLj2EENS0_17counting_iteratorIjlEEPS9_SG_NS0_5tupleIJPjSI_NS0_16reverse_iteratorISI_EEEEENSH_IJSG_SG_SG_EEES9_SI_JZNS1_25segmented_radix_sort_implINS0_14default_configELb1EPKdPdPKlPlN2at6native12_GLOBAL__N_18offset_tEEE10hipError_tPvRmT1_PNSt15iterator_traitsIS12_E10value_typeET2_T3_PNS13_IS18_E10value_typeET4_jRbjT5_S1E_jjP12ihipStream_tbEUljE_ZNSN_ISO_Lb1ESQ_SR_ST_SU_SY_EESZ_S10_S11_S12_S16_S17_S18_S1B_S1C_jS1D_jS1E_S1E_jjS1G_bEUljE0_EEESZ_S10_S11_S18_S1C_S1E_T6_T7_T9_mT8_S1G_bDpT10_ENKUlT_T0_E_clISt17integral_constantIbLb1EES1T_IbLb0EEEEDaS1P_S1Q_EUlS1P_E_NS1_11comp_targetILNS1_3genE8ELNS1_11target_archE1030ELNS1_3gpuE2ELNS1_3repE0EEENS1_30default_config_static_selectorELNS0_4arch9wavefront6targetE0EEEvS12_.has_recursion, 0
	.set _ZN7rocprim17ROCPRIM_400000_NS6detail17trampoline_kernelINS0_13select_configILj256ELj13ELNS0_17block_load_methodE3ELS4_3ELS4_3ELNS0_20block_scan_algorithmE0ELj4294967295EEENS1_25partition_config_selectorILNS1_17partition_subalgoE4EjNS0_10empty_typeEbEEZZNS1_14partition_implILS8_4ELb0ES6_15HIP_vector_typeIjLj2EENS0_17counting_iteratorIjlEEPS9_SG_NS0_5tupleIJPjSI_NS0_16reverse_iteratorISI_EEEEENSH_IJSG_SG_SG_EEES9_SI_JZNS1_25segmented_radix_sort_implINS0_14default_configELb1EPKdPdPKlPlN2at6native12_GLOBAL__N_18offset_tEEE10hipError_tPvRmT1_PNSt15iterator_traitsIS12_E10value_typeET2_T3_PNS13_IS18_E10value_typeET4_jRbjT5_S1E_jjP12ihipStream_tbEUljE_ZNSN_ISO_Lb1ESQ_SR_ST_SU_SY_EESZ_S10_S11_S12_S16_S17_S18_S1B_S1C_jS1D_jS1E_S1E_jjS1G_bEUljE0_EEESZ_S10_S11_S18_S1C_S1E_T6_T7_T9_mT8_S1G_bDpT10_ENKUlT_T0_E_clISt17integral_constantIbLb1EES1T_IbLb0EEEEDaS1P_S1Q_EUlS1P_E_NS1_11comp_targetILNS1_3genE8ELNS1_11target_archE1030ELNS1_3gpuE2ELNS1_3repE0EEENS1_30default_config_static_selectorELNS0_4arch9wavefront6targetE0EEEvS12_.has_indirect_call, 0
	.section	.AMDGPU.csdata,"",@progbits
; Kernel info:
; codeLenInByte = 0
; TotalNumSgprs: 0
; NumVgprs: 0
; ScratchSize: 0
; MemoryBound: 0
; FloatMode: 240
; IeeeMode: 1
; LDSByteSize: 0 bytes/workgroup (compile time only)
; SGPRBlocks: 0
; VGPRBlocks: 0
; NumSGPRsForWavesPerEU: 1
; NumVGPRsForWavesPerEU: 1
; NamedBarCnt: 0
; Occupancy: 16
; WaveLimiterHint : 0
; COMPUTE_PGM_RSRC2:SCRATCH_EN: 0
; COMPUTE_PGM_RSRC2:USER_SGPR: 2
; COMPUTE_PGM_RSRC2:TRAP_HANDLER: 0
; COMPUTE_PGM_RSRC2:TGID_X_EN: 1
; COMPUTE_PGM_RSRC2:TGID_Y_EN: 0
; COMPUTE_PGM_RSRC2:TGID_Z_EN: 0
; COMPUTE_PGM_RSRC2:TIDIG_COMP_CNT: 0
	.section	.text._ZN7rocprim17ROCPRIM_400000_NS6detail17trampoline_kernelINS0_13select_configILj256ELj13ELNS0_17block_load_methodE3ELS4_3ELS4_3ELNS0_20block_scan_algorithmE0ELj4294967295EEENS1_25partition_config_selectorILNS1_17partition_subalgoE4EjNS0_10empty_typeEbEEZZNS1_14partition_implILS8_4ELb0ES6_15HIP_vector_typeIjLj2EENS0_17counting_iteratorIjlEEPS9_SG_NS0_5tupleIJPjSI_NS0_16reverse_iteratorISI_EEEEENSH_IJSG_SG_SG_EEES9_SI_JZNS1_25segmented_radix_sort_implINS0_14default_configELb1EPKdPdPKlPlN2at6native12_GLOBAL__N_18offset_tEEE10hipError_tPvRmT1_PNSt15iterator_traitsIS12_E10value_typeET2_T3_PNS13_IS18_E10value_typeET4_jRbjT5_S1E_jjP12ihipStream_tbEUljE_ZNSN_ISO_Lb1ESQ_SR_ST_SU_SY_EESZ_S10_S11_S12_S16_S17_S18_S1B_S1C_jS1D_jS1E_S1E_jjS1G_bEUljE0_EEESZ_S10_S11_S18_S1C_S1E_T6_T7_T9_mT8_S1G_bDpT10_ENKUlT_T0_E_clISt17integral_constantIbLb0EES1T_IbLb1EEEEDaS1P_S1Q_EUlS1P_E_NS1_11comp_targetILNS1_3genE0ELNS1_11target_archE4294967295ELNS1_3gpuE0ELNS1_3repE0EEENS1_30default_config_static_selectorELNS0_4arch9wavefront6targetE0EEEvS12_,"axG",@progbits,_ZN7rocprim17ROCPRIM_400000_NS6detail17trampoline_kernelINS0_13select_configILj256ELj13ELNS0_17block_load_methodE3ELS4_3ELS4_3ELNS0_20block_scan_algorithmE0ELj4294967295EEENS1_25partition_config_selectorILNS1_17partition_subalgoE4EjNS0_10empty_typeEbEEZZNS1_14partition_implILS8_4ELb0ES6_15HIP_vector_typeIjLj2EENS0_17counting_iteratorIjlEEPS9_SG_NS0_5tupleIJPjSI_NS0_16reverse_iteratorISI_EEEEENSH_IJSG_SG_SG_EEES9_SI_JZNS1_25segmented_radix_sort_implINS0_14default_configELb1EPKdPdPKlPlN2at6native12_GLOBAL__N_18offset_tEEE10hipError_tPvRmT1_PNSt15iterator_traitsIS12_E10value_typeET2_T3_PNS13_IS18_E10value_typeET4_jRbjT5_S1E_jjP12ihipStream_tbEUljE_ZNSN_ISO_Lb1ESQ_SR_ST_SU_SY_EESZ_S10_S11_S12_S16_S17_S18_S1B_S1C_jS1D_jS1E_S1E_jjS1G_bEUljE0_EEESZ_S10_S11_S18_S1C_S1E_T6_T7_T9_mT8_S1G_bDpT10_ENKUlT_T0_E_clISt17integral_constantIbLb0EES1T_IbLb1EEEEDaS1P_S1Q_EUlS1P_E_NS1_11comp_targetILNS1_3genE0ELNS1_11target_archE4294967295ELNS1_3gpuE0ELNS1_3repE0EEENS1_30default_config_static_selectorELNS0_4arch9wavefront6targetE0EEEvS12_,comdat
	.globl	_ZN7rocprim17ROCPRIM_400000_NS6detail17trampoline_kernelINS0_13select_configILj256ELj13ELNS0_17block_load_methodE3ELS4_3ELS4_3ELNS0_20block_scan_algorithmE0ELj4294967295EEENS1_25partition_config_selectorILNS1_17partition_subalgoE4EjNS0_10empty_typeEbEEZZNS1_14partition_implILS8_4ELb0ES6_15HIP_vector_typeIjLj2EENS0_17counting_iteratorIjlEEPS9_SG_NS0_5tupleIJPjSI_NS0_16reverse_iteratorISI_EEEEENSH_IJSG_SG_SG_EEES9_SI_JZNS1_25segmented_radix_sort_implINS0_14default_configELb1EPKdPdPKlPlN2at6native12_GLOBAL__N_18offset_tEEE10hipError_tPvRmT1_PNSt15iterator_traitsIS12_E10value_typeET2_T3_PNS13_IS18_E10value_typeET4_jRbjT5_S1E_jjP12ihipStream_tbEUljE_ZNSN_ISO_Lb1ESQ_SR_ST_SU_SY_EESZ_S10_S11_S12_S16_S17_S18_S1B_S1C_jS1D_jS1E_S1E_jjS1G_bEUljE0_EEESZ_S10_S11_S18_S1C_S1E_T6_T7_T9_mT8_S1G_bDpT10_ENKUlT_T0_E_clISt17integral_constantIbLb0EES1T_IbLb1EEEEDaS1P_S1Q_EUlS1P_E_NS1_11comp_targetILNS1_3genE0ELNS1_11target_archE4294967295ELNS1_3gpuE0ELNS1_3repE0EEENS1_30default_config_static_selectorELNS0_4arch9wavefront6targetE0EEEvS12_ ; -- Begin function _ZN7rocprim17ROCPRIM_400000_NS6detail17trampoline_kernelINS0_13select_configILj256ELj13ELNS0_17block_load_methodE3ELS4_3ELS4_3ELNS0_20block_scan_algorithmE0ELj4294967295EEENS1_25partition_config_selectorILNS1_17partition_subalgoE4EjNS0_10empty_typeEbEEZZNS1_14partition_implILS8_4ELb0ES6_15HIP_vector_typeIjLj2EENS0_17counting_iteratorIjlEEPS9_SG_NS0_5tupleIJPjSI_NS0_16reverse_iteratorISI_EEEEENSH_IJSG_SG_SG_EEES9_SI_JZNS1_25segmented_radix_sort_implINS0_14default_configELb1EPKdPdPKlPlN2at6native12_GLOBAL__N_18offset_tEEE10hipError_tPvRmT1_PNSt15iterator_traitsIS12_E10value_typeET2_T3_PNS13_IS18_E10value_typeET4_jRbjT5_S1E_jjP12ihipStream_tbEUljE_ZNSN_ISO_Lb1ESQ_SR_ST_SU_SY_EESZ_S10_S11_S12_S16_S17_S18_S1B_S1C_jS1D_jS1E_S1E_jjS1G_bEUljE0_EEESZ_S10_S11_S18_S1C_S1E_T6_T7_T9_mT8_S1G_bDpT10_ENKUlT_T0_E_clISt17integral_constantIbLb0EES1T_IbLb1EEEEDaS1P_S1Q_EUlS1P_E_NS1_11comp_targetILNS1_3genE0ELNS1_11target_archE4294967295ELNS1_3gpuE0ELNS1_3repE0EEENS1_30default_config_static_selectorELNS0_4arch9wavefront6targetE0EEEvS12_
	.p2align	8
	.type	_ZN7rocprim17ROCPRIM_400000_NS6detail17trampoline_kernelINS0_13select_configILj256ELj13ELNS0_17block_load_methodE3ELS4_3ELS4_3ELNS0_20block_scan_algorithmE0ELj4294967295EEENS1_25partition_config_selectorILNS1_17partition_subalgoE4EjNS0_10empty_typeEbEEZZNS1_14partition_implILS8_4ELb0ES6_15HIP_vector_typeIjLj2EENS0_17counting_iteratorIjlEEPS9_SG_NS0_5tupleIJPjSI_NS0_16reverse_iteratorISI_EEEEENSH_IJSG_SG_SG_EEES9_SI_JZNS1_25segmented_radix_sort_implINS0_14default_configELb1EPKdPdPKlPlN2at6native12_GLOBAL__N_18offset_tEEE10hipError_tPvRmT1_PNSt15iterator_traitsIS12_E10value_typeET2_T3_PNS13_IS18_E10value_typeET4_jRbjT5_S1E_jjP12ihipStream_tbEUljE_ZNSN_ISO_Lb1ESQ_SR_ST_SU_SY_EESZ_S10_S11_S12_S16_S17_S18_S1B_S1C_jS1D_jS1E_S1E_jjS1G_bEUljE0_EEESZ_S10_S11_S18_S1C_S1E_T6_T7_T9_mT8_S1G_bDpT10_ENKUlT_T0_E_clISt17integral_constantIbLb0EES1T_IbLb1EEEEDaS1P_S1Q_EUlS1P_E_NS1_11comp_targetILNS1_3genE0ELNS1_11target_archE4294967295ELNS1_3gpuE0ELNS1_3repE0EEENS1_30default_config_static_selectorELNS0_4arch9wavefront6targetE0EEEvS12_,@function
_ZN7rocprim17ROCPRIM_400000_NS6detail17trampoline_kernelINS0_13select_configILj256ELj13ELNS0_17block_load_methodE3ELS4_3ELS4_3ELNS0_20block_scan_algorithmE0ELj4294967295EEENS1_25partition_config_selectorILNS1_17partition_subalgoE4EjNS0_10empty_typeEbEEZZNS1_14partition_implILS8_4ELb0ES6_15HIP_vector_typeIjLj2EENS0_17counting_iteratorIjlEEPS9_SG_NS0_5tupleIJPjSI_NS0_16reverse_iteratorISI_EEEEENSH_IJSG_SG_SG_EEES9_SI_JZNS1_25segmented_radix_sort_implINS0_14default_configELb1EPKdPdPKlPlN2at6native12_GLOBAL__N_18offset_tEEE10hipError_tPvRmT1_PNSt15iterator_traitsIS12_E10value_typeET2_T3_PNS13_IS18_E10value_typeET4_jRbjT5_S1E_jjP12ihipStream_tbEUljE_ZNSN_ISO_Lb1ESQ_SR_ST_SU_SY_EESZ_S10_S11_S12_S16_S17_S18_S1B_S1C_jS1D_jS1E_S1E_jjS1G_bEUljE0_EEESZ_S10_S11_S18_S1C_S1E_T6_T7_T9_mT8_S1G_bDpT10_ENKUlT_T0_E_clISt17integral_constantIbLb0EES1T_IbLb1EEEEDaS1P_S1Q_EUlS1P_E_NS1_11comp_targetILNS1_3genE0ELNS1_11target_archE4294967295ELNS1_3gpuE0ELNS1_3repE0EEENS1_30default_config_static_selectorELNS0_4arch9wavefront6targetE0EEEvS12_: ; @_ZN7rocprim17ROCPRIM_400000_NS6detail17trampoline_kernelINS0_13select_configILj256ELj13ELNS0_17block_load_methodE3ELS4_3ELS4_3ELNS0_20block_scan_algorithmE0ELj4294967295EEENS1_25partition_config_selectorILNS1_17partition_subalgoE4EjNS0_10empty_typeEbEEZZNS1_14partition_implILS8_4ELb0ES6_15HIP_vector_typeIjLj2EENS0_17counting_iteratorIjlEEPS9_SG_NS0_5tupleIJPjSI_NS0_16reverse_iteratorISI_EEEEENSH_IJSG_SG_SG_EEES9_SI_JZNS1_25segmented_radix_sort_implINS0_14default_configELb1EPKdPdPKlPlN2at6native12_GLOBAL__N_18offset_tEEE10hipError_tPvRmT1_PNSt15iterator_traitsIS12_E10value_typeET2_T3_PNS13_IS18_E10value_typeET4_jRbjT5_S1E_jjP12ihipStream_tbEUljE_ZNSN_ISO_Lb1ESQ_SR_ST_SU_SY_EESZ_S10_S11_S12_S16_S17_S18_S1B_S1C_jS1D_jS1E_S1E_jjS1G_bEUljE0_EEESZ_S10_S11_S18_S1C_S1E_T6_T7_T9_mT8_S1G_bDpT10_ENKUlT_T0_E_clISt17integral_constantIbLb0EES1T_IbLb1EEEEDaS1P_S1Q_EUlS1P_E_NS1_11comp_targetILNS1_3genE0ELNS1_11target_archE4294967295ELNS1_3gpuE0ELNS1_3repE0EEENS1_30default_config_static_selectorELNS0_4arch9wavefront6targetE0EEEvS12_
; %bb.0:
	s_clause 0x7
	s_load_b64 s[34:35], s[0:1], 0x10
	s_load_b128 s[28:31], s[0:1], 0x28
	s_load_b64 s[14:15], s[0:1], 0x38
	s_load_b128 s[24:27], s[0:1], 0x58
	s_load_b64 s[4:5], s[0:1], 0x68
	s_load_b64 s[36:37], s[0:1], 0x78
	;; [unrolled: 1-line block ×3, first 2 shown]
	s_load_b256 s[16:23], s[0:1], 0x90
	v_cmp_eq_u32_e64 s2, 0, v0
	s_and_saveexec_b32 s3, s2
	s_cbranch_execz .LBB1072_4
; %bb.1:
	s_mov_b32 s7, exec_lo
	s_mov_b32 s6, exec_lo
	v_mbcnt_lo_u32_b32 v1, s7, 0
                                        ; implicit-def: $vgpr2
	s_delay_alu instid0(VALU_DEP_1)
	v_cmpx_eq_u32_e32 0, v1
	s_cbranch_execz .LBB1072_3
; %bb.2:
	s_load_b64 s[8:9], s[0:1], 0x88
	s_bcnt1_i32_b32 s7, s7
	s_delay_alu instid0(SALU_CYCLE_1)
	v_dual_mov_b32 v2, 0 :: v_dual_mov_b32 v3, s7
	s_wait_xcnt 0x0
	s_wait_kmcnt 0x0
	global_atomic_add_u32 v2, v2, v3, s[8:9] th:TH_ATOMIC_RETURN scope:SCOPE_DEV
.LBB1072_3:
	s_wait_xcnt 0x0
	s_or_b32 exec_lo, exec_lo, s6
	s_wait_loadcnt 0x0
	v_readfirstlane_b32 s6, v2
	s_delay_alu instid0(VALU_DEP_1)
	v_dual_mov_b32 v2, 0 :: v_dual_add_nc_u32 v1, s6, v1
	ds_store_b32 v2, v1
.LBB1072_4:
	s_or_b32 exec_lo, exec_lo, s3
	v_mov_b32_e32 v1, 0
	s_clause 0x1
	s_load_b32 s3, s[0:1], 0x8
	s_load_b32 s6, s[0:1], 0x80
	s_wait_dscnt 0x0
	s_barrier_signal -1
	s_barrier_wait -1
	ds_load_b32 v6, v1
	s_wait_dscnt 0x0
	s_barrier_signal -1
	s_barrier_wait -1
	s_wait_kmcnt 0x0
	global_load_b128 v[2:5], v1, s[26:27]
	s_mov_b32 s1, 0
	s_add_co_i32 s3, s3, s34
	s_mul_i32 s0, s6, 0xd00
	s_add_co_i32 s6, s6, -1
	s_add_nc_u64 s[8:9], s[34:35], s[0:1]
	s_delay_alu instid0(SALU_CYCLE_1)
	v_cmp_gt_u64_e64 s1, s[4:5], s[8:9]
	v_mul_lo_u32 v14, 0xd00, v6
	s_wait_xcnt 0x0
	v_readfirstlane_b32 s27, v6
	v_cmp_ne_u32_e32 vcc_lo, s6, v6
	s_cmp_eq_u32 s27, s6
	s_cselect_b32 s26, -1, 0
	s_or_b32 s1, s1, vcc_lo
	v_add3_u32 v1, v14, s3, v0
	s_and_b32 vcc_lo, exec_lo, s1
	s_mov_b32 s3, -1
	s_delay_alu instid0(VALU_DEP_1)
	v_add_nc_u32_e32 v6, 0x100, v1
	v_add_nc_u32_e32 v7, 0x200, v1
	;; [unrolled: 1-line block ×12, first 2 shown]
	s_cbranch_vccz .LBB1072_6
; %bb.5:
	v_lshlrev_b32_e32 v19, 2, v0
	s_mov_b32 s3, 0
	ds_store_2addr_stride64_b32 v19, v1, v6 offset1:4
	ds_store_2addr_stride64_b32 v19, v7, v8 offset0:8 offset1:12
	ds_store_2addr_stride64_b32 v19, v9, v10 offset0:16 offset1:20
	;; [unrolled: 1-line block ×5, first 2 shown]
	ds_store_b32 v19, v18 offset:12288
	s_wait_loadcnt_dscnt 0x0
	s_barrier_signal -1
	s_barrier_wait -1
.LBB1072_6:
	s_and_not1_b32 vcc_lo, exec_lo, s3
	s_add_co_i32 s0, s0, s34
	s_cbranch_vccnz .LBB1072_8
; %bb.7:
	v_lshlrev_b32_e32 v19, 2, v0
	ds_store_2addr_stride64_b32 v19, v1, v6 offset1:4
	ds_store_2addr_stride64_b32 v19, v7, v8 offset0:8 offset1:12
	ds_store_2addr_stride64_b32 v19, v9, v10 offset0:16 offset1:20
	;; [unrolled: 1-line block ×5, first 2 shown]
	ds_store_b32 v19, v18 offset:12288
	s_wait_loadcnt_dscnt 0x0
	s_barrier_signal -1
	s_barrier_wait -1
.LBB1072_8:
	v_mul_u32_u24_e32 v15, 13, v0
	s_wait_loadcnt 0x0
	v_cndmask_b32_e64 v35, 0, 1, s1
	s_sub_co_i32 s33, s4, s0
	s_and_not1_b32 vcc_lo, exec_lo, s1
	v_lshlrev_b32_e32 v1, 2, v15
	ds_load_b32 v34, v1 offset:48
	ds_load_2addr_b32 v[16:17], v1 offset0:10 offset1:11
	ds_load_2addr_b32 v[18:19], v1 offset0:8 offset1:9
	;; [unrolled: 1-line block ×4, first 2 shown]
	ds_load_2addr_b32 v[26:27], v1 offset1:1
	ds_load_2addr_b32 v[24:25], v1 offset0:2 offset1:3
	s_wait_dscnt 0x0
	s_barrier_signal -1
	s_barrier_wait -1
	s_cbranch_vccnz .LBB1072_36
; %bb.9:
	v_dual_add_nc_u32 v1, s17, v26 :: v_dual_add_nc_u32 v6, s19, v26
	s_mov_b32 s41, 0
	s_mov_b32 s40, 0
	s_mov_b32 s1, exec_lo
	s_delay_alu instid0(VALU_DEP_1) | instskip(SKIP_1) | instid1(VALU_DEP_1)
	v_mul_lo_u32 v1, v1, s16
	v_mul_lo_u32 v6, v6, s18
	v_sub_nc_u32_e32 v1, v1, v6
	s_delay_alu instid0(VALU_DEP_1)
	v_cmp_lt_u32_e32 vcc_lo, s20, v1
	v_cmpx_ge_u32_e64 s20, v1
	s_cbranch_execz .LBB1072_11
; %bb.10:
	v_dual_add_nc_u32 v1, s22, v26 :: v_dual_add_nc_u32 v6, s38, v26
	s_delay_alu instid0(VALU_DEP_1) | instskip(NEXT) | instid1(VALU_DEP_2)
	v_mul_lo_u32 v1, v1, s21
	v_mul_lo_u32 v6, v6, s23
	s_delay_alu instid0(VALU_DEP_1) | instskip(NEXT) | instid1(VALU_DEP_1)
	v_sub_nc_u32_e32 v1, v1, v6
	v_cmp_lt_u32_e64 s0, s39, v1
	s_and_b32 s40, s0, exec_lo
.LBB1072_11:
	s_or_b32 exec_lo, exec_lo, s1
	v_dual_add_nc_u32 v1, s17, v27 :: v_dual_add_nc_u32 v6, s19, v27
	s_mov_b32 s3, exec_lo
	s_delay_alu instid0(VALU_DEP_1) | instskip(NEXT) | instid1(VALU_DEP_2)
	v_mul_lo_u32 v1, v1, s16
	v_mul_lo_u32 v6, v6, s18
	s_delay_alu instid0(VALU_DEP_1) | instskip(NEXT) | instid1(VALU_DEP_1)
	v_sub_nc_u32_e32 v1, v1, v6
	v_cmp_lt_u32_e64 s0, s20, v1
	v_cmpx_ge_u32_e64 s20, v1
	s_cbranch_execz .LBB1072_13
; %bb.12:
	v_dual_add_nc_u32 v1, s22, v27 :: v_dual_add_nc_u32 v6, s38, v27
	s_delay_alu instid0(VALU_DEP_1) | instskip(NEXT) | instid1(VALU_DEP_2)
	v_mul_lo_u32 v1, v1, s21
	v_mul_lo_u32 v6, v6, s23
	s_delay_alu instid0(VALU_DEP_1) | instskip(NEXT) | instid1(VALU_DEP_1)
	v_sub_nc_u32_e32 v1, v1, v6
	v_cmp_lt_u32_e64 s1, s39, v1
	s_and_b32 s41, s1, exec_lo
.LBB1072_13:
	s_or_b32 exec_lo, exec_lo, s3
	v_dual_add_nc_u32 v1, s17, v24 :: v_dual_add_nc_u32 v6, s19, v24
	s_mov_b32 s43, 0
	s_mov_b32 s42, 0
	s_mov_b32 s4, exec_lo
	s_delay_alu instid0(VALU_DEP_1) | instskip(SKIP_1) | instid1(VALU_DEP_1)
	v_mul_lo_u32 v1, v1, s16
	v_mul_lo_u32 v6, v6, s18
	v_sub_nc_u32_e32 v1, v1, v6
	s_delay_alu instid0(VALU_DEP_1)
	v_cmp_lt_u32_e64 s1, s20, v1
	v_cmpx_ge_u32_e64 s20, v1
	s_cbranch_execz .LBB1072_15
; %bb.14:
	v_dual_add_nc_u32 v1, s22, v24 :: v_dual_add_nc_u32 v6, s38, v24
	s_delay_alu instid0(VALU_DEP_1) | instskip(NEXT) | instid1(VALU_DEP_2)
	v_mul_lo_u32 v1, v1, s21
	v_mul_lo_u32 v6, v6, s23
	s_delay_alu instid0(VALU_DEP_1) | instskip(NEXT) | instid1(VALU_DEP_1)
	v_sub_nc_u32_e32 v1, v1, v6
	v_cmp_lt_u32_e64 s3, s39, v1
	s_and_b32 s42, s3, exec_lo
.LBB1072_15:
	s_or_b32 exec_lo, exec_lo, s4
	v_dual_add_nc_u32 v1, s17, v25 :: v_dual_add_nc_u32 v6, s19, v25
	s_mov_b32 s5, exec_lo
	s_delay_alu instid0(VALU_DEP_1) | instskip(NEXT) | instid1(VALU_DEP_2)
	v_mul_lo_u32 v1, v1, s16
	v_mul_lo_u32 v6, v6, s18
	s_delay_alu instid0(VALU_DEP_1) | instskip(NEXT) | instid1(VALU_DEP_1)
	v_sub_nc_u32_e32 v1, v1, v6
	v_cmp_lt_u32_e64 s3, s20, v1
	v_cmpx_ge_u32_e64 s20, v1
	s_cbranch_execz .LBB1072_17
; %bb.16:
	v_dual_add_nc_u32 v1, s22, v25 :: v_dual_add_nc_u32 v6, s38, v25
	s_delay_alu instid0(VALU_DEP_1) | instskip(NEXT) | instid1(VALU_DEP_2)
	v_mul_lo_u32 v1, v1, s21
	v_mul_lo_u32 v6, v6, s23
	s_delay_alu instid0(VALU_DEP_1) | instskip(NEXT) | instid1(VALU_DEP_1)
	v_sub_nc_u32_e32 v1, v1, v6
	v_cmp_lt_u32_e64 s4, s39, v1
	s_and_b32 s43, s4, exec_lo
.LBB1072_17:
	s_or_b32 exec_lo, exec_lo, s5
	v_dual_add_nc_u32 v1, s17, v22 :: v_dual_add_nc_u32 v6, s19, v22
	s_mov_b32 s45, 0
	s_mov_b32 s44, 0
	s_mov_b32 s6, exec_lo
	s_delay_alu instid0(VALU_DEP_1) | instskip(SKIP_1) | instid1(VALU_DEP_1)
	v_mul_lo_u32 v1, v1, s16
	v_mul_lo_u32 v6, v6, s18
	v_sub_nc_u32_e32 v1, v1, v6
	s_delay_alu instid0(VALU_DEP_1)
	v_cmp_lt_u32_e64 s4, s20, v1
	;; [unrolled: 44-line block ×6, first 2 shown]
	v_cmpx_ge_u32_e64 s20, v1
	s_cbranch_execz .LBB1072_35
; %bb.34:
	v_dual_add_nc_u32 v1, s22, v34 :: v_dual_add_nc_u32 v6, s38, v34
	s_delay_alu instid0(VALU_DEP_1) | instskip(NEXT) | instid1(VALU_DEP_2)
	v_mul_lo_u32 v1, v1, s21
	v_mul_lo_u32 v6, v6, s23
	s_delay_alu instid0(VALU_DEP_1) | instskip(NEXT) | instid1(VALU_DEP_1)
	v_sub_nc_u32_e32 v1, v1, v6
	v_cmp_lt_u32_e64 s13, s39, v1
	s_and_b32 s53, s13, exec_lo
.LBB1072_35:
	s_or_b32 exec_lo, exec_lo, s54
	v_cndmask_b32_e64 v6, 0, 1, s0
	v_cndmask_b32_e64 v8, 0, 1, s3
	v_cndmask_b32_e64 v1, 0, 1, vcc_lo
	v_cndmask_b32_e64 v7, 0, 1, s1
	v_cndmask_b32_e64 v10, 0, 1, s5
	v_lshlrev_b16 v6, 8, v6
	v_lshlrev_b16 v8, 8, v8
	v_cndmask_b32_e64 v12, 0, 1, s7
	v_cndmask_b32_e64 v28, 0, 1, s9
	;; [unrolled: 1-line block ×3, first 2 shown]
	v_or_b32_e32 v1, v1, v6
	v_or_b32_e32 v6, v7, v8
	v_cndmask_b32_e64 v8, 0, 1, s42
	v_cndmask_b32_e64 v9, 0, 1, s4
	;; [unrolled: 1-line block ×4, first 2 shown]
	v_lshlrev_b32_e32 v6, 16, v6
	v_and_b32_e32 v1, 0xffff, v1
	v_cndmask_b32_e64 v38, 0, 1, s46
	v_cndmask_b32_e64 v41, 0, 1, s44
	;; [unrolled: 1-line block ×4, first 2 shown]
	v_or_b32_e32 v36, v1, v6
	v_lshlrev_b16 v1, 8, v10
	v_lshlrev_b16 v6, 8, v12
	;; [unrolled: 1-line block ×5, first 2 shown]
	v_cndmask_b32_e64 v11, 0, 1, s6
	v_cndmask_b32_e64 v30, 0, 1, s52
	;; [unrolled: 1-line block ×6, first 2 shown]
	v_lshlrev_b16 v28, 8, v44
	v_or_b32_e32 v8, v42, v8
	v_or_b32_e32 v1, v9, v1
	;; [unrolled: 1-line block ×4, first 2 shown]
	v_lshlrev_b16 v12, 8, v41
	v_lshlrev_b16 v13, 8, v38
	v_cndmask_b32_e64 v32, 0, 1, s50
	v_cndmask_b32_e64 v37, 0, 1, s47
	v_lshlrev_b16 v29, 8, v30
	v_or_b32_e32 v7, v7, v12
	v_or_b32_e32 v12, v40, v13
	;; [unrolled: 1-line block ×4, first 2 shown]
	v_lshlrev_b16 v28, 8, v33
	v_dual_lshlrev_b32 v10, 16, v10 :: v_dual_lshlrev_b32 v8, 16, v8
	v_and_b32_e32 v1, 0xffff, v1
	s_delay_alu instid0(VALU_DEP_4) | instskip(NEXT) | instid1(VALU_DEP_4)
	v_and_b32_e32 v11, 0xffff, v11
	v_or_b32_e32 v13, v37, v28
	v_or_b32_e32 v28, v32, v29
	v_and_b32_e32 v7, 0xffff, v7
	v_dual_lshlrev_b32 v12, 16, v12 :: v_dual_lshlrev_b32 v6, 16, v6
	s_delay_alu instid0(VALU_DEP_4) | instskip(NEXT) | instid1(VALU_DEP_4)
	v_and_b32_e32 v13, 0xffff, v13
	v_lshlrev_b32_e32 v28, 16, v28
	v_and_b32_e32 v9, 0xffff, v9
	v_cndmask_b32_e64 v39, 0, 1, s51
	v_cndmask_b32_e64 v43, 0, 1, s53
	v_or_b32_e32 v38, v1, v6
	v_or_b32_e32 v42, v11, v8
	;; [unrolled: 1-line block ×5, first 2 shown]
	s_and_b32 vcc_lo, exec_lo, s48
	s_add_co_i32 s5, s33, 0xd00
	s_cbranch_vccnz .LBB1072_37
	s_branch .LBB1072_114
.LBB1072_36:
                                        ; implicit-def: $vgpr43
                                        ; implicit-def: $vgpr39
                                        ; implicit-def: $vgpr40
                                        ; implicit-def: $vgpr37
                                        ; implicit-def: $vgpr42
                                        ; implicit-def: $vgpr41
                                        ; implicit-def: $vgpr38
                                        ; implicit-def: $vgpr36
	s_add_co_i32 s5, s33, 0xd00
	s_cbranch_execz .LBB1072_114
.LBB1072_37:
	v_dual_mov_b32 v6, 0 :: v_dual_mov_b32 v1, 0
	s_mov_b32 s1, exec_lo
	v_cmpx_gt_u32_e64 s5, v15
	s_cbranch_execz .LBB1072_41
; %bb.38:
	v_dual_add_nc_u32 v1, s17, v26 :: v_dual_add_nc_u32 v6, s19, v26
	s_mov_b32 s4, 0
	s_mov_b32 s3, exec_lo
	s_delay_alu instid0(VALU_DEP_1) | instskip(NEXT) | instid1(VALU_DEP_2)
	v_mul_lo_u32 v1, v1, s16
	v_mul_lo_u32 v6, v6, s18
	s_delay_alu instid0(VALU_DEP_1) | instskip(NEXT) | instid1(VALU_DEP_1)
	v_sub_nc_u32_e32 v1, v1, v6
	v_cmp_lt_u32_e32 vcc_lo, s20, v1
	v_cmpx_ge_u32_e64 s20, v1
	s_cbranch_execz .LBB1072_40
; %bb.39:
	v_dual_add_nc_u32 v1, s22, v26 :: v_dual_add_nc_u32 v6, s38, v26
	s_delay_alu instid0(VALU_DEP_1) | instskip(NEXT) | instid1(VALU_DEP_2)
	v_mul_lo_u32 v1, v1, s21
	v_mul_lo_u32 v6, v6, s23
	s_delay_alu instid0(VALU_DEP_1) | instskip(NEXT) | instid1(VALU_DEP_1)
	v_sub_nc_u32_e32 v1, v1, v6
	v_cmp_lt_u32_e64 s0, s39, v1
	s_and_b32 s4, s0, exec_lo
.LBB1072_40:
	s_or_b32 exec_lo, exec_lo, s3
	v_cndmask_b32_e64 v6, 0, 1, s4
	v_cndmask_b32_e64 v1, 0, 1, vcc_lo
.LBB1072_41:
	s_or_b32 exec_lo, exec_lo, s1
	s_delay_alu instid0(VALU_DEP_2) | instskip(SKIP_1) | instid1(VALU_DEP_2)
	v_lshlrev_b16 v6, 8, v6
	v_lshlrev_b16 v13, 8, 0
                                        ; implicit-def: $vgpr9
                                        ; implicit-def: $vgpr11
                                        ; implicit-def: $vgpr8
                                        ; implicit-def: $vgpr12
	v_and_b32_e32 v10, 0xffff, v6
	v_add_nc_u32_e32 v7, 1, v15
                                        ; implicit-def: $vgpr6
	s_delay_alu instid0(VALU_DEP_2) | instskip(NEXT) | instid1(VALU_DEP_2)
	v_lshrrev_b32_e32 v28, 8, v10
	v_cmp_le_u32_e32 vcc_lo, s5, v7
                                        ; implicit-def: $vgpr7
	s_and_saveexec_b32 s0, vcc_lo
	s_delay_alu instid0(SALU_CYCLE_1)
	s_xor_b32 s0, exec_lo, s0
	s_cbranch_execz .LBB1072_43
; %bb.42:
	v_lshlrev_b16 v6, 8, v28
	v_bitop3_b16 v7, 0, v13, 0xff bitop3:0xec
	v_and_b32_e32 v12, 0xff, v1
                                        ; implicit-def: $vgpr1
                                        ; implicit-def: $vgpr13
                                        ; implicit-def: $vgpr28
	v_mov_b32_e32 v9, 0
	s_delay_alu instid0(VALU_DEP_4) | instskip(SKIP_3) | instid1(VALU_DEP_4)
	v_bitop3_b16 v10, v10, v6, 0xff bitop3:0xec
	v_mov_b32_e32 v6, 0
	v_and_b32_e32 v8, 0xffff, v7
	v_and_b32_e32 v7, 0xffff, v7
	;; [unrolled: 1-line block ×3, first 2 shown]
                                        ; implicit-def: $vgpr10
.LBB1072_43:
	s_and_not1_saveexec_b32 s1, s0
	s_cbranch_execz .LBB1072_47
; %bb.44:
	v_dual_add_nc_u32 v6, s17, v27 :: v_dual_add_nc_u32 v7, s19, v27
	s_mov_b32 s3, 0
	s_mov_b32 s4, exec_lo
	s_delay_alu instid0(VALU_DEP_1) | instskip(NEXT) | instid1(VALU_DEP_2)
	v_mul_lo_u32 v6, v6, s16
	v_mul_lo_u32 v7, v7, s18
	s_delay_alu instid0(VALU_DEP_1) | instskip(NEXT) | instid1(VALU_DEP_1)
	v_sub_nc_u32_e32 v6, v6, v7
	v_cmp_lt_u32_e32 vcc_lo, s20, v6
	v_cmpx_ge_u32_e64 s20, v6
	s_cbranch_execz .LBB1072_46
; %bb.45:
	v_dual_add_nc_u32 v6, s22, v27 :: v_dual_add_nc_u32 v7, s38, v27
	s_delay_alu instid0(VALU_DEP_1) | instskip(NEXT) | instid1(VALU_DEP_2)
	v_mul_lo_u32 v6, v6, s21
	v_mul_lo_u32 v7, v7, s23
	s_delay_alu instid0(VALU_DEP_1) | instskip(NEXT) | instid1(VALU_DEP_1)
	v_sub_nc_u32_e32 v6, v6, v7
	v_cmp_lt_u32_e64 s0, s39, v6
	s_and_b32 s3, s0, exec_lo
.LBB1072_46:
	s_or_b32 exec_lo, exec_lo, s4
	v_cndmask_b32_e64 v6, 0, 1, vcc_lo
	v_lshlrev_b16 v7, 8, v28
	v_cndmask_b32_e64 v11, 0, 1, s3
	v_mov_b32_e32 v9, 0
	s_delay_alu instid0(VALU_DEP_4) | instskip(NEXT) | instid1(VALU_DEP_4)
	v_lshlrev_b16 v6, 8, v6
	v_bitop3_b16 v7, v10, v7, 0xff bitop3:0xec
	v_bitop3_b16 v10, 0, v13, 0xff bitop3:0xec
	s_delay_alu instid0(VALU_DEP_3) | instskip(NEXT) | instid1(VALU_DEP_3)
	v_bitop3_b16 v1, v1, v6, 0xff bitop3:0xec
	v_and_b32_e32 v7, 0xffff, v7
	v_mov_b32_e32 v6, 0
	s_delay_alu instid0(VALU_DEP_4) | instskip(NEXT) | instid1(VALU_DEP_4)
	v_and_b32_e32 v8, 0xffff, v10
	v_and_b32_e32 v12, 0xffff, v1
	s_delay_alu instid0(VALU_DEP_4)
	v_lshl_or_b32 v11, v11, 16, v7
	v_and_b32_e32 v7, 0xffff, v10
.LBB1072_47:
	s_or_b32 exec_lo, exec_lo, s1
	s_delay_alu instid0(VALU_DEP_3) | instskip(NEXT) | instid1(VALU_DEP_1)
	v_dual_add_nc_u32 v1, 2, v15 :: v_dual_lshrrev_b32 v13, 8, v12
                                        ; implicit-def: $vgpr10
	v_cmp_le_u32_e32 vcc_lo, s5, v1
                                        ; implicit-def: $vgpr1
	s_and_saveexec_b32 s0, vcc_lo
	s_delay_alu instid0(SALU_CYCLE_1)
	s_xor_b32 s0, exec_lo, s0
	s_cbranch_execz .LBB1072_49
; %bb.48:
	v_lshlrev_b16 v1, 8, v13
	v_and_b32_e32 v13, 0xff0000, v11
	v_perm_b32 v8, v8, v8, 0x3060504
	s_delay_alu instid0(VALU_DEP_3) | instskip(NEXT) | instid1(VALU_DEP_1)
	v_bitop3_b16 v1, v12, v1, 0xff bitop3:0xec
	v_and_b32_e32 v1, 0xffff, v1
	s_delay_alu instid0(VALU_DEP_1)
	v_and_or_b32 v10, 0xff000000, v12, v1
	v_perm_b32 v1, v11, v13, 0x3020504
                                        ; implicit-def: $vgpr13
                                        ; implicit-def: $vgpr12
                                        ; implicit-def: $vgpr11
.LBB1072_49:
	s_and_not1_saveexec_b32 s1, s0
	s_cbranch_execz .LBB1072_53
; %bb.50:
	v_dual_add_nc_u32 v1, s17, v24 :: v_dual_add_nc_u32 v10, s19, v24
	s_mov_b32 s3, 0
	s_mov_b32 s4, exec_lo
	s_delay_alu instid0(VALU_DEP_1) | instskip(NEXT) | instid1(VALU_DEP_2)
	v_mul_lo_u32 v1, v1, s16
	v_mul_lo_u32 v10, v10, s18
	s_delay_alu instid0(VALU_DEP_1) | instskip(NEXT) | instid1(VALU_DEP_1)
	v_sub_nc_u32_e32 v1, v1, v10
	v_cmp_lt_u32_e32 vcc_lo, s20, v1
	v_cmpx_ge_u32_e64 s20, v1
	s_cbranch_execz .LBB1072_52
; %bb.51:
	v_dual_add_nc_u32 v1, s22, v24 :: v_dual_add_nc_u32 v10, s38, v24
	s_delay_alu instid0(VALU_DEP_1) | instskip(NEXT) | instid1(VALU_DEP_2)
	v_mul_lo_u32 v1, v1, s21
	v_mul_lo_u32 v10, v10, s23
	s_delay_alu instid0(VALU_DEP_1) | instskip(NEXT) | instid1(VALU_DEP_1)
	v_sub_nc_u32_e32 v1, v1, v10
	v_cmp_lt_u32_e64 s0, s39, v1
	s_and_b32 s3, s0, exec_lo
.LBB1072_52:
	s_or_b32 exec_lo, exec_lo, s4
	v_dual_lshrrev_b32 v1, 24, v12 :: v_dual_lshrrev_b32 v29, 8, v11
	v_cndmask_b32_e64 v10, 0, 1, s3
	v_cndmask_b32_e64 v28, 0, 1, vcc_lo
	v_lshlrev_b16 v13, 8, v13
	s_delay_alu instid0(VALU_DEP_4)
	v_lshlrev_b16 v1, 8, v1
	v_lshrrev_b32_e32 v30, 16, v11
	v_lshlrev_b16 v10, 8, v10
	v_lshlrev_b16 v29, 8, v29
	v_bitop3_b16 v12, v12, v13, 0xff bitop3:0xec
	v_or_b32_e32 v1, v28, v1
	s_delay_alu instid0(VALU_DEP_4) | instskip(NEXT) | instid1(VALU_DEP_4)
	v_bitop3_b16 v10, v30, v10, 0xff bitop3:0xec
	v_bitop3_b16 v11, v11, v29, 0xff bitop3:0xec
	s_delay_alu instid0(VALU_DEP_4) | instskip(NEXT) | instid1(VALU_DEP_3)
	v_and_b32_e32 v12, 0xffff, v12
	v_dual_lshlrev_b32 v1, 16, v1 :: v_dual_lshlrev_b32 v13, 16, v10
	s_delay_alu instid0(VALU_DEP_3) | instskip(NEXT) | instid1(VALU_DEP_2)
	v_and_b32_e32 v11, 0xffff, v11
	v_or_b32_e32 v10, v12, v1
	s_delay_alu instid0(VALU_DEP_2)
	v_or_b32_e32 v1, v11, v13
.LBB1072_53:
	s_or_b32 exec_lo, exec_lo, s1
	v_dual_add_nc_u32 v12, 3, v15 :: v_dual_lshrrev_b32 v13, 24, v9
	v_lshrrev_b32_e32 v11, 16, v9
                                        ; implicit-def: $vgpr36
	s_delay_alu instid0(VALU_DEP_2) | instskip(SKIP_2) | instid1(SALU_CYCLE_1)
	v_cmp_le_u32_e32 vcc_lo, s5, v12
	v_lshrrev_b32_e32 v12, 8, v9
                                        ; implicit-def: $vgpr9
	s_and_saveexec_b32 s0, vcc_lo
	s_xor_b32 s0, exec_lo, s0
	s_cbranch_execz .LBB1072_55
; %bb.54:
	v_lshlrev_b16 v9, 8, v13
	v_lshlrev_b16 v12, 8, v12
	v_perm_b32 v8, v8, v8, 0x3060504
	v_perm_b32 v7, v7, v7, 0x3060504
                                        ; implicit-def: $vgpr13
	s_delay_alu instid0(VALU_DEP_4) | instskip(SKIP_2) | instid1(VALU_DEP_3)
	v_bitop3_b16 v9, v11, v9, 0xff bitop3:0xec
	v_and_b32_e32 v11, 0xff0000, v10
	v_and_b32_e32 v12, 0xffff, v12
	v_lshlrev_b32_e32 v9, 16, v9
	s_delay_alu instid0(VALU_DEP_3) | instskip(NEXT) | instid1(VALU_DEP_2)
	v_perm_b32 v36, v10, v11, 0x3020504
                                        ; implicit-def: $vgpr10
                                        ; implicit-def: $vgpr11
	v_or_b32_e32 v9, v12, v9
                                        ; implicit-def: $vgpr12
.LBB1072_55:
	s_and_not1_saveexec_b32 s1, s0
	s_cbranch_execz .LBB1072_59
; %bb.56:
	v_dual_add_nc_u32 v9, s17, v25 :: v_dual_add_nc_u32 v28, s19, v25
	s_mov_b32 s3, 0
	s_mov_b32 s4, exec_lo
	s_delay_alu instid0(VALU_DEP_1) | instskip(NEXT) | instid1(VALU_DEP_2)
	v_mul_lo_u32 v9, v9, s16
	v_mul_lo_u32 v28, v28, s18
	s_delay_alu instid0(VALU_DEP_1) | instskip(NEXT) | instid1(VALU_DEP_1)
	v_sub_nc_u32_e32 v9, v9, v28
	v_cmp_lt_u32_e32 vcc_lo, s20, v9
	v_cmpx_ge_u32_e64 s20, v9
	s_cbranch_execz .LBB1072_58
; %bb.57:
	v_dual_add_nc_u32 v9, s22, v25 :: v_dual_add_nc_u32 v28, s38, v25
	s_delay_alu instid0(VALU_DEP_1) | instskip(NEXT) | instid1(VALU_DEP_2)
	v_mul_lo_u32 v9, v9, s21
	v_mul_lo_u32 v28, v28, s23
	s_delay_alu instid0(VALU_DEP_1) | instskip(NEXT) | instid1(VALU_DEP_1)
	v_sub_nc_u32_e32 v9, v9, v28
	v_cmp_lt_u32_e64 s0, s39, v9
	s_and_b32 s3, s0, exec_lo
.LBB1072_58:
	s_or_b32 exec_lo, exec_lo, s4
	v_cndmask_b32_e64 v9, 0, 1, vcc_lo
	v_dual_lshrrev_b32 v28, 8, v10 :: v_dual_lshrrev_b32 v30, 16, v10
	v_cndmask_b32_e64 v29, 0, 1, s3
	v_lshlrev_b16 v13, 8, v13
	s_delay_alu instid0(VALU_DEP_4) | instskip(NEXT) | instid1(VALU_DEP_4)
	v_lshlrev_b16 v9, 8, v9
	v_lshlrev_b16 v28, 8, v28
	;; [unrolled: 1-line block ×3, first 2 shown]
	s_delay_alu instid0(VALU_DEP_4) | instskip(NEXT) | instid1(VALU_DEP_4)
	v_bitop3_b16 v11, v11, v13, 0xff bitop3:0xec
	v_bitop3_b16 v9, v30, v9, 0xff bitop3:0xec
	s_delay_alu instid0(VALU_DEP_4) | instskip(NEXT) | instid1(VALU_DEP_3)
	v_bitop3_b16 v10, v10, v28, 0xff bitop3:0xec
	v_dual_lshlrev_b32 v11, 16, v11 :: v_dual_bitop2_b32 v12, v29, v12 bitop3:0x54
	s_delay_alu instid0(VALU_DEP_3) | instskip(NEXT) | instid1(VALU_DEP_3)
	v_lshlrev_b32_e32 v9, 16, v9
	v_and_b32_e32 v10, 0xffff, v10
	s_delay_alu instid0(VALU_DEP_3) | instskip(NEXT) | instid1(VALU_DEP_2)
	v_and_b32_e32 v12, 0xffff, v12
	v_or_b32_e32 v36, v10, v9
	s_delay_alu instid0(VALU_DEP_2)
	v_or_b32_e32 v9, v12, v11
.LBB1072_59:
	s_or_b32 exec_lo, exec_lo, s1
	v_dual_add_nc_u32 v10, 4, v15 :: v_dual_lshrrev_b32 v28, 8, v8
	v_dual_lshrrev_b32 v11, 16, v8 :: v_dual_lshrrev_b32 v29, 24, v8
	s_delay_alu instid0(VALU_DEP_3) | instskip(NEXT) | instid1(VALU_DEP_3)
	v_dual_lshrrev_b32 v13, 24, v9 :: v_dual_lshrrev_b32 v12, 16, v9
	v_cmp_le_u32_e32 vcc_lo, s5, v10
                                        ; implicit-def: $vgpr8
                                        ; implicit-def: $vgpr10
	s_and_saveexec_b32 s0, vcc_lo
	s_delay_alu instid0(SALU_CYCLE_1)
	s_xor_b32 s0, exec_lo, s0
	s_cbranch_execz .LBB1072_61
; %bb.60:
	v_lshlrev_b16 v8, 8, v29
	v_lshlrev_b16 v10, 8, v28
	;; [unrolled: 1-line block ×3, first 2 shown]
	v_perm_b32 v7, v7, v7, 0x3060504
                                        ; implicit-def: $vgpr28
                                        ; implicit-def: $vgpr29
	s_delay_alu instid0(VALU_DEP_4) | instskip(NEXT) | instid1(VALU_DEP_4)
	v_bitop3_b16 v8, v11, v8, 0xff bitop3:0xec
	v_and_b32_e32 v10, 0xffff, v10
	s_delay_alu instid0(VALU_DEP_4) | instskip(NEXT) | instid1(VALU_DEP_3)
	v_bitop3_b16 v11, v12, v13, 0xff bitop3:0xec
                                        ; implicit-def: $vgpr13
	v_lshlrev_b32_e32 v12, 16, v8
	s_delay_alu instid0(VALU_DEP_2) | instskip(NEXT) | instid1(VALU_DEP_2)
	v_perm_b32 v8, v11, v9, 0x5040c00
                                        ; implicit-def: $vgpr9
                                        ; implicit-def: $vgpr11
	v_or_b32_e32 v10, v10, v12
                                        ; implicit-def: $vgpr12
.LBB1072_61:
	s_and_not1_saveexec_b32 s1, s0
	s_cbranch_execz .LBB1072_65
; %bb.62:
	v_dual_add_nc_u32 v8, s17, v22 :: v_dual_add_nc_u32 v10, s19, v22
	s_mov_b32 s3, 0
	s_mov_b32 s4, exec_lo
	s_delay_alu instid0(VALU_DEP_1) | instskip(NEXT) | instid1(VALU_DEP_2)
	v_mul_lo_u32 v8, v8, s16
	v_mul_lo_u32 v10, v10, s18
	s_delay_alu instid0(VALU_DEP_1) | instskip(NEXT) | instid1(VALU_DEP_1)
	v_sub_nc_u32_e32 v8, v8, v10
	v_cmp_lt_u32_e32 vcc_lo, s20, v8
	v_cmpx_ge_u32_e64 s20, v8
	s_cbranch_execz .LBB1072_64
; %bb.63:
	v_dual_add_nc_u32 v8, s22, v22 :: v_dual_add_nc_u32 v10, s38, v22
	s_delay_alu instid0(VALU_DEP_1) | instskip(NEXT) | instid1(VALU_DEP_2)
	v_mul_lo_u32 v8, v8, s21
	v_mul_lo_u32 v10, v10, s23
	s_delay_alu instid0(VALU_DEP_1) | instskip(NEXT) | instid1(VALU_DEP_1)
	v_sub_nc_u32_e32 v8, v8, v10
	v_cmp_lt_u32_e64 s0, s39, v8
	s_and_b32 s3, s0, exec_lo
.LBB1072_64:
	s_or_b32 exec_lo, exec_lo, s4
	v_cndmask_b32_e64 v8, 0, 1, s3
	v_cndmask_b32_e64 v10, 0, 1, vcc_lo
	v_lshlrev_b16 v29, 8, v29
	v_lshlrev_b16 v28, 8, v28
	;; [unrolled: 1-line block ×4, first 2 shown]
	s_delay_alu instid0(VALU_DEP_4) | instskip(NEXT) | instid1(VALU_DEP_4)
	v_bitop3_b16 v11, v11, v29, 0xff bitop3:0xec
	v_or_b32_e32 v10, v10, v28
	s_delay_alu instid0(VALU_DEP_4) | instskip(NEXT) | instid1(VALU_DEP_4)
	v_bitop3_b16 v12, v12, v13, 0xff bitop3:0xec
	v_bitop3_b16 v8, v9, v8, 0xff bitop3:0xec
	s_delay_alu instid0(VALU_DEP_4) | instskip(NEXT) | instid1(VALU_DEP_4)
	v_lshlrev_b32_e32 v9, 16, v11
	v_and_b32_e32 v10, 0xffff, v10
	s_delay_alu instid0(VALU_DEP_4) | instskip(NEXT) | instid1(VALU_DEP_4)
	v_lshlrev_b32_e32 v11, 16, v12
	v_and_b32_e32 v8, 0xffff, v8
	s_delay_alu instid0(VALU_DEP_3) | instskip(NEXT) | instid1(VALU_DEP_2)
	v_or_b32_e32 v10, v10, v9
	v_or_b32_e32 v8, v8, v11
.LBB1072_65:
	s_or_b32 exec_lo, exec_lo, s1
	s_delay_alu instid0(VALU_DEP_1) | instskip(NEXT) | instid1(VALU_DEP_2)
	v_dual_add_nc_u32 v9, 5, v15 :: v_dual_lshrrev_b32 v12, 16, v10
	v_dual_lshrrev_b32 v13, 24, v10 :: v_dual_lshrrev_b32 v28, 8, v8
                                        ; implicit-def: $vgpr11
	s_delay_alu instid0(VALU_DEP_2) | instskip(SKIP_1) | instid1(SALU_CYCLE_1)
	v_cmp_le_u32_e32 vcc_lo, s5, v9
                                        ; implicit-def: $vgpr9
	s_and_saveexec_b32 s0, vcc_lo
	s_xor_b32 s0, exec_lo, s0
	s_cbranch_execz .LBB1072_67
; %bb.66:
	v_lshlrev_b16 v9, 8, v28
	v_lshlrev_b16 v11, 8, v13
	v_perm_b32 v7, v7, v7, 0x3060504
                                        ; implicit-def: $vgpr13
                                        ; implicit-def: $vgpr28
	s_delay_alu instid0(VALU_DEP_3) | instskip(NEXT) | instid1(VALU_DEP_3)
	v_bitop3_b16 v9, v8, v9, 0xff bitop3:0xec
	v_bitop3_b16 v11, v12, v11, 0xff bitop3:0xec
                                        ; implicit-def: $vgpr12
	s_delay_alu instid0(VALU_DEP_2) | instskip(NEXT) | instid1(VALU_DEP_2)
	v_and_b32_e32 v9, 0xffff, v9
	v_perm_b32 v11, v11, v10, 0x5040c00
                                        ; implicit-def: $vgpr10
	s_delay_alu instid0(VALU_DEP_2)
	v_and_or_b32 v9, 0xff000000, v8, v9
                                        ; implicit-def: $vgpr8
.LBB1072_67:
	s_and_not1_saveexec_b32 s1, s0
	s_cbranch_execz .LBB1072_71
; %bb.68:
	v_dual_add_nc_u32 v9, s17, v23 :: v_dual_add_nc_u32 v11, s19, v23
	s_mov_b32 s3, 0
	s_mov_b32 s4, exec_lo
	s_delay_alu instid0(VALU_DEP_1) | instskip(NEXT) | instid1(VALU_DEP_2)
	v_mul_lo_u32 v9, v9, s16
	v_mul_lo_u32 v11, v11, s18
	s_delay_alu instid0(VALU_DEP_1) | instskip(NEXT) | instid1(VALU_DEP_1)
	v_sub_nc_u32_e32 v9, v9, v11
	v_cmp_lt_u32_e32 vcc_lo, s20, v9
	v_cmpx_ge_u32_e64 s20, v9
	s_cbranch_execz .LBB1072_70
; %bb.69:
	v_dual_add_nc_u32 v9, s22, v23 :: v_dual_add_nc_u32 v11, s38, v23
	s_delay_alu instid0(VALU_DEP_1) | instskip(NEXT) | instid1(VALU_DEP_2)
	v_mul_lo_u32 v9, v9, s21
	v_mul_lo_u32 v11, v11, s23
	s_delay_alu instid0(VALU_DEP_1) | instskip(NEXT) | instid1(VALU_DEP_1)
	v_sub_nc_u32_e32 v9, v9, v11
	v_cmp_lt_u32_e64 s0, s39, v9
	s_and_b32 s3, s0, exec_lo
.LBB1072_70:
	s_or_b32 exec_lo, exec_lo, s4
	v_cndmask_b32_e64 v9, 0, 1, vcc_lo
	v_lshrrev_b32_e32 v11, 24, v8
	v_cndmask_b32_e64 v29, 0, 1, s3
	v_lshlrev_b16 v13, 8, v13
	v_lshlrev_b16 v28, 8, v28
	v_lshlrev_b16 v9, 8, v9
	v_lshlrev_b16 v11, 8, v11
	s_delay_alu instid0(VALU_DEP_4) | instskip(NEXT) | instid1(VALU_DEP_4)
	v_bitop3_b16 v12, v12, v13, 0xff bitop3:0xec
	v_bitop3_b16 v8, v8, v28, 0xff bitop3:0xec
	s_delay_alu instid0(VALU_DEP_4) | instskip(NEXT) | instid1(VALU_DEP_3)
	v_bitop3_b16 v9, v10, v9, 0xff bitop3:0xec
	v_dual_lshlrev_b32 v11, 16, v12 :: v_dual_bitop2_b32 v10, v29, v11 bitop3:0x54
	s_delay_alu instid0(VALU_DEP_3) | instskip(NEXT) | instid1(VALU_DEP_3)
	v_and_b32_e32 v8, 0xffff, v8
	v_and_b32_e32 v9, 0xffff, v9
	s_delay_alu instid0(VALU_DEP_1) | instskip(NEXT) | instid1(VALU_DEP_1)
	v_dual_lshlrev_b32 v10, 16, v10 :: v_dual_bitop2_b32 v11, v9, v11 bitop3:0x54
	v_or_b32_e32 v9, v8, v10
.LBB1072_71:
	s_or_b32 exec_lo, exec_lo, s1
	v_add_nc_u32_e32 v8, 6, v15
	s_delay_alu instid0(VALU_DEP_3) | instskip(NEXT) | instid1(VALU_DEP_2)
	v_lshrrev_b32_e32 v10, 8, v11
                                        ; implicit-def: $vgpr37
	v_cmp_le_u32_e32 vcc_lo, s5, v8
                                        ; implicit-def: $vgpr8
	s_and_saveexec_b32 s0, vcc_lo
	s_delay_alu instid0(SALU_CYCLE_1)
	s_xor_b32 s0, exec_lo, s0
	s_cbranch_execz .LBB1072_73
; %bb.72:
	v_lshlrev_b16 v8, 8, v10
	v_and_b32_e32 v10, 0xff0000, v9
	v_perm_b32 v7, v7, v7, 0x3060504
	s_delay_alu instid0(VALU_DEP_3) | instskip(NEXT) | instid1(VALU_DEP_3)
	v_bitop3_b16 v8, v11, v8, 0xff bitop3:0xec
	v_perm_b32 v37, v9, v10, 0x3020504
                                        ; implicit-def: $vgpr10
                                        ; implicit-def: $vgpr9
	s_delay_alu instid0(VALU_DEP_2) | instskip(NEXT) | instid1(VALU_DEP_1)
	v_and_b32_e32 v8, 0xffff, v8
	v_and_or_b32 v8, 0xff000000, v11, v8
                                        ; implicit-def: $vgpr11
.LBB1072_73:
	s_and_not1_saveexec_b32 s1, s0
	s_cbranch_execz .LBB1072_77
; %bb.74:
	v_dual_add_nc_u32 v8, s17, v20 :: v_dual_add_nc_u32 v12, s19, v20
	s_mov_b32 s3, 0
	s_mov_b32 s4, exec_lo
	s_delay_alu instid0(VALU_DEP_1) | instskip(NEXT) | instid1(VALU_DEP_2)
	v_mul_lo_u32 v8, v8, s16
	v_mul_lo_u32 v12, v12, s18
	s_delay_alu instid0(VALU_DEP_1) | instskip(NEXT) | instid1(VALU_DEP_1)
	v_sub_nc_u32_e32 v8, v8, v12
	v_cmp_lt_u32_e32 vcc_lo, s20, v8
	v_cmpx_ge_u32_e64 s20, v8
	s_cbranch_execz .LBB1072_76
; %bb.75:
	v_dual_add_nc_u32 v8, s22, v20 :: v_dual_add_nc_u32 v12, s38, v20
	s_delay_alu instid0(VALU_DEP_1) | instskip(NEXT) | instid1(VALU_DEP_2)
	v_mul_lo_u32 v8, v8, s21
	v_mul_lo_u32 v12, v12, s23
	s_delay_alu instid0(VALU_DEP_1) | instskip(NEXT) | instid1(VALU_DEP_1)
	v_sub_nc_u32_e32 v8, v8, v12
	v_cmp_lt_u32_e64 s0, s39, v8
	s_and_b32 s3, s0, exec_lo
.LBB1072_76:
	s_or_b32 exec_lo, exec_lo, s4
	v_dual_lshrrev_b32 v8, 24, v11 :: v_dual_lshrrev_b32 v28, 8, v9
	v_cndmask_b32_e64 v12, 0, 1, s3
	v_cndmask_b32_e64 v13, 0, 1, vcc_lo
	v_lshlrev_b16 v10, 8, v10
	s_delay_alu instid0(VALU_DEP_4)
	v_lshlrev_b16 v8, 8, v8
	v_lshrrev_b32_e32 v29, 16, v9
	v_lshlrev_b16 v12, 8, v12
	v_lshlrev_b16 v28, 8, v28
	v_bitop3_b16 v10, v11, v10, 0xff bitop3:0xec
	v_or_b32_e32 v8, v13, v8
	s_delay_alu instid0(VALU_DEP_4) | instskip(NEXT) | instid1(VALU_DEP_4)
	v_bitop3_b16 v11, v29, v12, 0xff bitop3:0xec
	v_bitop3_b16 v9, v9, v28, 0xff bitop3:0xec
	s_delay_alu instid0(VALU_DEP_4) | instskip(NEXT) | instid1(VALU_DEP_3)
	v_and_b32_e32 v10, 0xffff, v10
	v_dual_lshlrev_b32 v8, 16, v8 :: v_dual_lshlrev_b32 v11, 16, v11
	s_delay_alu instid0(VALU_DEP_3) | instskip(NEXT) | instid1(VALU_DEP_2)
	v_and_b32_e32 v9, 0xffff, v9
	v_or_b32_e32 v8, v10, v8
	s_delay_alu instid0(VALU_DEP_2)
	v_or_b32_e32 v37, v9, v11
.LBB1072_77:
	s_or_b32 exec_lo, exec_lo, s1
	v_add_nc_u32_e32 v11, 7, v15
	v_dual_lshrrev_b32 v9, 8, v7 :: v_dual_lshrrev_b32 v10, 16, v7
                                        ; implicit-def: $vgpr38
	s_delay_alu instid0(VALU_DEP_2) | instskip(SKIP_2) | instid1(SALU_CYCLE_1)
	v_cmp_le_u32_e32 vcc_lo, s5, v11
	v_lshrrev_b32_e32 v11, 24, v7
                                        ; implicit-def: $vgpr7
	s_and_saveexec_b32 s0, vcc_lo
	s_xor_b32 s0, exec_lo, s0
	s_cbranch_execz .LBB1072_79
; %bb.78:
	s_delay_alu instid0(VALU_DEP_1) | instskip(SKIP_1) | instid1(VALU_DEP_2)
	v_lshlrev_b16 v7, 8, v11
	v_lshlrev_b16 v9, 8, v9
                                        ; implicit-def: $vgpr11
	v_bitop3_b16 v7, v10, v7, 0xff bitop3:0xec
	v_and_b32_e32 v10, 0xff0000, v8
	s_delay_alu instid0(VALU_DEP_3) | instskip(NEXT) | instid1(VALU_DEP_3)
	v_and_b32_e32 v9, 0xffff, v9
	v_lshlrev_b32_e32 v7, 16, v7
	s_delay_alu instid0(VALU_DEP_3) | instskip(NEXT) | instid1(VALU_DEP_2)
	v_perm_b32 v38, v8, v10, 0x3020504
                                        ; implicit-def: $vgpr8
                                        ; implicit-def: $vgpr10
	v_or_b32_e32 v7, v9, v7
                                        ; implicit-def: $vgpr9
.LBB1072_79:
	s_and_not1_saveexec_b32 s1, s0
	s_cbranch_execz .LBB1072_83
; %bb.80:
	v_dual_add_nc_u32 v7, s17, v21 :: v_dual_add_nc_u32 v12, s19, v21
	s_mov_b32 s3, 0
	s_mov_b32 s4, exec_lo
	s_delay_alu instid0(VALU_DEP_1) | instskip(NEXT) | instid1(VALU_DEP_2)
	v_mul_lo_u32 v7, v7, s16
	v_mul_lo_u32 v12, v12, s18
	s_delay_alu instid0(VALU_DEP_1) | instskip(NEXT) | instid1(VALU_DEP_1)
	v_sub_nc_u32_e32 v7, v7, v12
	v_cmp_lt_u32_e32 vcc_lo, s20, v7
	v_cmpx_ge_u32_e64 s20, v7
	s_cbranch_execz .LBB1072_82
; %bb.81:
	v_dual_add_nc_u32 v7, s22, v21 :: v_dual_add_nc_u32 v12, s38, v21
	s_delay_alu instid0(VALU_DEP_1) | instskip(NEXT) | instid1(VALU_DEP_2)
	v_mul_lo_u32 v7, v7, s21
	v_mul_lo_u32 v12, v12, s23
	s_delay_alu instid0(VALU_DEP_1) | instskip(NEXT) | instid1(VALU_DEP_1)
	v_sub_nc_u32_e32 v7, v7, v12
	v_cmp_lt_u32_e64 s0, s39, v7
	s_and_b32 s3, s0, exec_lo
.LBB1072_82:
	s_or_b32 exec_lo, exec_lo, s4
	v_cndmask_b32_e64 v7, 0, 1, vcc_lo
	v_dual_lshrrev_b32 v12, 8, v8 :: v_dual_lshrrev_b32 v28, 16, v8
	v_cndmask_b32_e64 v13, 0, 1, s3
	v_lshlrev_b16 v11, 8, v11
	s_delay_alu instid0(VALU_DEP_4) | instskip(NEXT) | instid1(VALU_DEP_4)
	v_lshlrev_b16 v7, 8, v7
	v_lshlrev_b16 v12, 8, v12
	;; [unrolled: 1-line block ×3, first 2 shown]
	s_delay_alu instid0(VALU_DEP_4) | instskip(NEXT) | instid1(VALU_DEP_4)
	v_bitop3_b16 v10, v10, v11, 0xff bitop3:0xec
	v_bitop3_b16 v7, v28, v7, 0xff bitop3:0xec
	s_delay_alu instid0(VALU_DEP_4) | instskip(NEXT) | instid1(VALU_DEP_3)
	v_bitop3_b16 v8, v8, v12, 0xff bitop3:0xec
	v_dual_lshlrev_b32 v10, 16, v10 :: v_dual_bitop2_b32 v9, v13, v9 bitop3:0x54
	s_delay_alu instid0(VALU_DEP_3) | instskip(NEXT) | instid1(VALU_DEP_3)
	v_lshlrev_b32_e32 v7, 16, v7
	v_and_b32_e32 v8, 0xffff, v8
	s_delay_alu instid0(VALU_DEP_3) | instskip(NEXT) | instid1(VALU_DEP_2)
	v_and_b32_e32 v9, 0xffff, v9
	v_or_b32_e32 v38, v8, v7
	s_delay_alu instid0(VALU_DEP_2)
	v_or_b32_e32 v7, v9, v10
.LBB1072_83:
	s_or_b32 exec_lo, exec_lo, s1
	v_dual_add_nc_u32 v8, 8, v15 :: v_dual_lshrrev_b32 v13, 24, v6
	s_delay_alu instid0(VALU_DEP_2) | instskip(SKIP_1) | instid1(VALU_DEP_3)
	v_dual_lshrrev_b32 v9, 16, v7 :: v_dual_lshrrev_b32 v10, 24, v7
	v_dual_lshrrev_b32 v11, 16, v6 :: v_dual_lshrrev_b32 v12, 8, v6
	v_cmp_le_u32_e32 vcc_lo, s5, v8
                                        ; implicit-def: $vgpr6
                                        ; implicit-def: $vgpr8
	s_and_saveexec_b32 s0, vcc_lo
	s_delay_alu instid0(SALU_CYCLE_1)
	s_xor_b32 s0, exec_lo, s0
	s_cbranch_execz .LBB1072_85
; %bb.84:
	v_lshlrev_b16 v6, 8, v13
	v_lshlrev_b16 v8, 8, v12
	v_lshlrev_b16 v10, 8, v10
	v_perm_b32 v1, v1, v1, 0x3060504
                                        ; implicit-def: $vgpr13
                                        ; implicit-def: $vgpr12
	s_delay_alu instid0(VALU_DEP_4) | instskip(NEXT) | instid1(VALU_DEP_4)
	v_bitop3_b16 v6, v11, v6, 0xff bitop3:0xec
	v_and_b32_e32 v8, 0xffff, v8
	s_delay_alu instid0(VALU_DEP_4) | instskip(NEXT) | instid1(VALU_DEP_3)
	v_bitop3_b16 v9, v9, v10, 0xff bitop3:0xec
                                        ; implicit-def: $vgpr10
                                        ; implicit-def: $vgpr11
	v_lshlrev_b32_e32 v6, 16, v6
	s_delay_alu instid0(VALU_DEP_1) | instskip(NEXT) | instid1(VALU_DEP_3)
	v_or_b32_e32 v8, v8, v6
	v_perm_b32 v6, v9, v7, 0x5040c00
                                        ; implicit-def: $vgpr7
                                        ; implicit-def: $vgpr9
.LBB1072_85:
	s_and_not1_saveexec_b32 s1, s0
	s_cbranch_execz .LBB1072_89
; %bb.86:
	v_dual_add_nc_u32 v6, s17, v18 :: v_dual_add_nc_u32 v8, s19, v18
	s_mov_b32 s3, 0
	s_mov_b32 s4, exec_lo
	s_delay_alu instid0(VALU_DEP_1) | instskip(NEXT) | instid1(VALU_DEP_2)
	v_mul_lo_u32 v6, v6, s16
	v_mul_lo_u32 v8, v8, s18
	s_delay_alu instid0(VALU_DEP_1) | instskip(NEXT) | instid1(VALU_DEP_1)
	v_sub_nc_u32_e32 v6, v6, v8
	v_cmp_lt_u32_e32 vcc_lo, s20, v6
	v_cmpx_ge_u32_e64 s20, v6
	s_cbranch_execz .LBB1072_88
; %bb.87:
	v_dual_add_nc_u32 v6, s22, v18 :: v_dual_add_nc_u32 v8, s38, v18
	s_delay_alu instid0(VALU_DEP_1) | instskip(NEXT) | instid1(VALU_DEP_2)
	v_mul_lo_u32 v6, v6, s21
	v_mul_lo_u32 v8, v8, s23
	s_delay_alu instid0(VALU_DEP_1) | instskip(NEXT) | instid1(VALU_DEP_1)
	v_sub_nc_u32_e32 v6, v6, v8
	v_cmp_lt_u32_e64 s0, s39, v6
	s_and_b32 s3, s0, exec_lo
.LBB1072_88:
	s_or_b32 exec_lo, exec_lo, s4
	v_cndmask_b32_e64 v6, 0, 1, s3
	v_cndmask_b32_e64 v8, 0, 1, vcc_lo
	v_lshlrev_b16 v13, 8, v13
	v_lshlrev_b16 v12, 8, v12
	v_lshlrev_b16 v10, 8, v10
	v_lshlrev_b16 v6, 8, v6
	s_delay_alu instid0(VALU_DEP_4) | instskip(NEXT) | instid1(VALU_DEP_4)
	v_bitop3_b16 v11, v11, v13, 0xff bitop3:0xec
	v_or_b32_e32 v8, v8, v12
	s_delay_alu instid0(VALU_DEP_4) | instskip(NEXT) | instid1(VALU_DEP_4)
	v_bitop3_b16 v9, v9, v10, 0xff bitop3:0xec
	v_bitop3_b16 v6, v7, v6, 0xff bitop3:0xec
	s_delay_alu instid0(VALU_DEP_4) | instskip(NEXT) | instid1(VALU_DEP_4)
	v_lshlrev_b32_e32 v7, 16, v11
	v_and_b32_e32 v8, 0xffff, v8
	s_delay_alu instid0(VALU_DEP_4) | instskip(NEXT) | instid1(VALU_DEP_4)
	v_lshlrev_b32_e32 v9, 16, v9
	v_and_b32_e32 v6, 0xffff, v6
	s_delay_alu instid0(VALU_DEP_3) | instskip(NEXT) | instid1(VALU_DEP_2)
	v_or_b32_e32 v8, v8, v7
	v_or_b32_e32 v6, v6, v9
.LBB1072_89:
	s_or_b32 exec_lo, exec_lo, s1
	s_delay_alu instid0(VALU_DEP_1) | instskip(NEXT) | instid1(VALU_DEP_3)
	v_dual_add_nc_u32 v7, 9, v15 :: v_dual_lshrrev_b32 v11, 8, v6
	v_dual_lshrrev_b32 v12, 24, v8 :: v_dual_lshrrev_b32 v10, 16, v8
                                        ; implicit-def: $vgpr9
	s_delay_alu instid0(VALU_DEP_2) | instskip(SKIP_1) | instid1(SALU_CYCLE_1)
	v_cmp_le_u32_e32 vcc_lo, s5, v7
                                        ; implicit-def: $vgpr7
	s_and_saveexec_b32 s0, vcc_lo
	s_xor_b32 s0, exec_lo, s0
	s_cbranch_execz .LBB1072_91
; %bb.90:
	v_lshlrev_b16 v7, 8, v11
	v_lshlrev_b16 v9, 8, v12
	v_perm_b32 v1, v1, v1, 0x3060504
                                        ; implicit-def: $vgpr11
                                        ; implicit-def: $vgpr12
	s_delay_alu instid0(VALU_DEP_3) | instskip(NEXT) | instid1(VALU_DEP_3)
	v_bitop3_b16 v7, v6, v7, 0xff bitop3:0xec
	v_bitop3_b16 v9, v10, v9, 0xff bitop3:0xec
                                        ; implicit-def: $vgpr10
	s_delay_alu instid0(VALU_DEP_2) | instskip(NEXT) | instid1(VALU_DEP_2)
	v_and_b32_e32 v7, 0xffff, v7
	v_perm_b32 v9, v9, v8, 0x5040c00
                                        ; implicit-def: $vgpr8
	s_delay_alu instid0(VALU_DEP_2)
	v_and_or_b32 v7, 0xff000000, v6, v7
                                        ; implicit-def: $vgpr6
.LBB1072_91:
	s_and_not1_saveexec_b32 s1, s0
	s_cbranch_execz .LBB1072_95
; %bb.92:
	v_dual_add_nc_u32 v7, s17, v19 :: v_dual_add_nc_u32 v9, s19, v19
	s_mov_b32 s3, 0
	s_mov_b32 s4, exec_lo
	s_delay_alu instid0(VALU_DEP_1) | instskip(NEXT) | instid1(VALU_DEP_2)
	v_mul_lo_u32 v7, v7, s16
	v_mul_lo_u32 v9, v9, s18
	s_delay_alu instid0(VALU_DEP_1) | instskip(NEXT) | instid1(VALU_DEP_1)
	v_sub_nc_u32_e32 v7, v7, v9
	v_cmp_lt_u32_e32 vcc_lo, s20, v7
	v_cmpx_ge_u32_e64 s20, v7
	s_cbranch_execz .LBB1072_94
; %bb.93:
	v_dual_add_nc_u32 v7, s22, v19 :: v_dual_add_nc_u32 v9, s38, v19
	s_delay_alu instid0(VALU_DEP_1) | instskip(NEXT) | instid1(VALU_DEP_2)
	v_mul_lo_u32 v7, v7, s21
	v_mul_lo_u32 v9, v9, s23
	s_delay_alu instid0(VALU_DEP_1) | instskip(NEXT) | instid1(VALU_DEP_1)
	v_sub_nc_u32_e32 v7, v7, v9
	v_cmp_lt_u32_e64 s0, s39, v7
	s_and_b32 s3, s0, exec_lo
.LBB1072_94:
	s_or_b32 exec_lo, exec_lo, s4
	v_cndmask_b32_e64 v7, 0, 1, vcc_lo
	v_lshrrev_b32_e32 v9, 24, v6
	v_cndmask_b32_e64 v13, 0, 1, s3
	v_lshlrev_b16 v12, 8, v12
	v_lshlrev_b16 v11, 8, v11
	;; [unrolled: 1-line block ×4, first 2 shown]
	s_delay_alu instid0(VALU_DEP_4) | instskip(NEXT) | instid1(VALU_DEP_4)
	v_bitop3_b16 v10, v10, v12, 0xff bitop3:0xec
	v_bitop3_b16 v6, v6, v11, 0xff bitop3:0xec
	s_delay_alu instid0(VALU_DEP_4) | instskip(NEXT) | instid1(VALU_DEP_3)
	v_bitop3_b16 v7, v8, v7, 0xff bitop3:0xec
	v_dual_lshlrev_b32 v9, 16, v10 :: v_dual_bitop2_b32 v8, v13, v9 bitop3:0x54
	s_delay_alu instid0(VALU_DEP_3) | instskip(NEXT) | instid1(VALU_DEP_3)
	v_and_b32_e32 v6, 0xffff, v6
	v_and_b32_e32 v7, 0xffff, v7
	s_delay_alu instid0(VALU_DEP_1) | instskip(NEXT) | instid1(VALU_DEP_1)
	v_dual_lshlrev_b32 v8, 16, v8 :: v_dual_bitop2_b32 v9, v7, v9 bitop3:0x54
	v_or_b32_e32 v7, v6, v8
.LBB1072_95:
	s_or_b32 exec_lo, exec_lo, s1
	s_delay_alu instid0(VALU_DEP_2) | instskip(NEXT) | instid1(VALU_DEP_1)
	v_dual_add_nc_u32 v6, 10, v15 :: v_dual_lshrrev_b32 v8, 8, v9
                                        ; implicit-def: $vgpr40
	v_cmp_le_u32_e32 vcc_lo, s5, v6
                                        ; implicit-def: $vgpr6
	s_and_saveexec_b32 s0, vcc_lo
	s_delay_alu instid0(SALU_CYCLE_1)
	s_xor_b32 s0, exec_lo, s0
	s_cbranch_execz .LBB1072_97
; %bb.96:
	v_lshlrev_b16 v6, 8, v8
	v_and_b32_e32 v8, 0xff0000, v7
	v_perm_b32 v1, v1, v1, 0x3060504
	s_delay_alu instid0(VALU_DEP_3) | instskip(NEXT) | instid1(VALU_DEP_3)
	v_bitop3_b16 v6, v9, v6, 0xff bitop3:0xec
	v_perm_b32 v40, v7, v8, 0x3020504
                                        ; implicit-def: $vgpr8
                                        ; implicit-def: $vgpr7
	s_delay_alu instid0(VALU_DEP_2) | instskip(NEXT) | instid1(VALU_DEP_1)
	v_and_b32_e32 v6, 0xffff, v6
	v_and_or_b32 v6, 0xff000000, v9, v6
                                        ; implicit-def: $vgpr9
.LBB1072_97:
	s_and_not1_saveexec_b32 s1, s0
	s_cbranch_execz .LBB1072_101
; %bb.98:
	v_dual_add_nc_u32 v6, s17, v16 :: v_dual_add_nc_u32 v10, s19, v16
	s_mov_b32 s3, 0
	s_mov_b32 s4, exec_lo
	s_delay_alu instid0(VALU_DEP_1) | instskip(NEXT) | instid1(VALU_DEP_2)
	v_mul_lo_u32 v6, v6, s16
	v_mul_lo_u32 v10, v10, s18
	s_delay_alu instid0(VALU_DEP_1) | instskip(NEXT) | instid1(VALU_DEP_1)
	v_sub_nc_u32_e32 v6, v6, v10
	v_cmp_lt_u32_e32 vcc_lo, s20, v6
	v_cmpx_ge_u32_e64 s20, v6
	s_cbranch_execz .LBB1072_100
; %bb.99:
	v_dual_add_nc_u32 v6, s22, v16 :: v_dual_add_nc_u32 v10, s38, v16
	s_delay_alu instid0(VALU_DEP_1) | instskip(NEXT) | instid1(VALU_DEP_2)
	v_mul_lo_u32 v6, v6, s21
	v_mul_lo_u32 v10, v10, s23
	s_delay_alu instid0(VALU_DEP_1) | instskip(NEXT) | instid1(VALU_DEP_1)
	v_sub_nc_u32_e32 v6, v6, v10
	v_cmp_lt_u32_e64 s0, s39, v6
	s_and_b32 s3, s0, exec_lo
.LBB1072_100:
	s_or_b32 exec_lo, exec_lo, s4
	v_dual_lshrrev_b32 v6, 24, v9 :: v_dual_lshrrev_b32 v12, 8, v7
	v_cndmask_b32_e64 v10, 0, 1, s3
	v_cndmask_b32_e64 v11, 0, 1, vcc_lo
	v_lshlrev_b16 v8, 8, v8
	s_delay_alu instid0(VALU_DEP_4)
	v_lshlrev_b16 v6, 8, v6
	v_lshrrev_b32_e32 v13, 16, v7
	v_lshlrev_b16 v10, 8, v10
	v_lshlrev_b16 v12, 8, v12
	v_bitop3_b16 v8, v9, v8, 0xff bitop3:0xec
	v_or_b32_e32 v6, v11, v6
	s_delay_alu instid0(VALU_DEP_4) | instskip(NEXT) | instid1(VALU_DEP_4)
	v_bitop3_b16 v9, v13, v10, 0xff bitop3:0xec
	v_bitop3_b16 v7, v7, v12, 0xff bitop3:0xec
	s_delay_alu instid0(VALU_DEP_4) | instskip(NEXT) | instid1(VALU_DEP_3)
	v_and_b32_e32 v8, 0xffff, v8
	v_dual_lshlrev_b32 v6, 16, v6 :: v_dual_lshlrev_b32 v9, 16, v9
	s_delay_alu instid0(VALU_DEP_3) | instskip(NEXT) | instid1(VALU_DEP_2)
	v_and_b32_e32 v7, 0xffff, v7
	v_or_b32_e32 v6, v8, v6
	s_delay_alu instid0(VALU_DEP_2)
	v_or_b32_e32 v40, v7, v9
.LBB1072_101:
	s_or_b32 exec_lo, exec_lo, s1
	v_dual_add_nc_u32 v7, 11, v15 :: v_dual_mov_b32 v39, 0
	s_mov_b32 s0, exec_lo
                                        ; implicit-def: $vgpr41
	s_delay_alu instid0(VALU_DEP_1)
	v_cmpx_le_u32_e64 s5, v7
	s_xor_b32 s0, exec_lo, s0
; %bb.102:
	v_and_b32_e32 v7, 0xff0000, v6
	v_perm_b32 v1, v1, v1, 0x3060504
	s_delay_alu instid0(VALU_DEP_2)
	v_perm_b32 v41, v6, v7, 0x3020504
                                        ; implicit-def: $vgpr6
; %bb.103:
	s_and_not1_saveexec_b32 s1, s0
	s_cbranch_execz .LBB1072_107
; %bb.104:
	v_dual_add_nc_u32 v7, s17, v17 :: v_dual_add_nc_u32 v8, s19, v17
	s_mov_b32 s3, 0
	s_mov_b32 s4, exec_lo
	s_delay_alu instid0(VALU_DEP_1) | instskip(NEXT) | instid1(VALU_DEP_2)
	v_mul_lo_u32 v7, v7, s16
	v_mul_lo_u32 v8, v8, s18
	s_delay_alu instid0(VALU_DEP_1) | instskip(NEXT) | instid1(VALU_DEP_1)
	v_sub_nc_u32_e32 v7, v7, v8
	v_cmp_lt_u32_e32 vcc_lo, s20, v7
	v_cmpx_ge_u32_e64 s20, v7
	s_cbranch_execz .LBB1072_106
; %bb.105:
	v_dual_add_nc_u32 v7, s22, v17 :: v_dual_add_nc_u32 v8, s38, v17
	s_delay_alu instid0(VALU_DEP_1) | instskip(NEXT) | instid1(VALU_DEP_2)
	v_mul_lo_u32 v7, v7, s21
	v_mul_lo_u32 v8, v8, s23
	s_delay_alu instid0(VALU_DEP_1) | instskip(NEXT) | instid1(VALU_DEP_1)
	v_sub_nc_u32_e32 v7, v7, v8
	v_cmp_lt_u32_e64 s0, s39, v7
	s_and_b32 s3, s0, exec_lo
.LBB1072_106:
	s_or_b32 exec_lo, exec_lo, s4
	v_cndmask_b32_e64 v7, 0, 1, vcc_lo
	v_dual_lshrrev_b32 v8, 8, v6 :: v_dual_lshrrev_b32 v9, 16, v6
	v_cndmask_b32_e64 v39, 0, 1, s3
	s_delay_alu instid0(VALU_DEP_3) | instskip(NEXT) | instid1(VALU_DEP_3)
	v_lshlrev_b16 v7, 8, v7
	v_lshlrev_b16 v8, 8, v8
	s_delay_alu instid0(VALU_DEP_2) | instskip(NEXT) | instid1(VALU_DEP_2)
	v_bitop3_b16 v7, v9, v7, 0xff bitop3:0xec
	v_bitop3_b16 v6, v6, v8, 0xff bitop3:0xec
	s_delay_alu instid0(VALU_DEP_2) | instskip(NEXT) | instid1(VALU_DEP_2)
	v_lshlrev_b32_e32 v7, 16, v7
	v_and_b32_e32 v6, 0xffff, v6
	s_delay_alu instid0(VALU_DEP_1)
	v_or_b32_e32 v41, v6, v7
.LBB1072_107:
	s_or_b32 exec_lo, exec_lo, s1
	v_dual_add_nc_u32 v8, 12, v15 :: v_dual_lshrrev_b32 v6, 8, v1
	v_dual_lshrrev_b32 v7, 16, v1 :: v_dual_lshrrev_b32 v1, 24, v1
	s_mov_b32 s0, exec_lo
                                        ; implicit-def: $vgpr42
	s_delay_alu instid0(VALU_DEP_2)
	v_cmpx_le_u32_e64 s5, v8
	s_xor_b32 s0, exec_lo, s0
; %bb.108:
	s_delay_alu instid0(VALU_DEP_2) | instskip(SKIP_1) | instid1(VALU_DEP_2)
	v_lshlrev_b16 v1, 8, v1
	v_lshlrev_b16 v6, 8, v6
	v_bitop3_b16 v1, v7, v1, 0xff bitop3:0xec
	s_delay_alu instid0(VALU_DEP_2) | instskip(NEXT) | instid1(VALU_DEP_2)
	v_and_b32_e32 v6, 0xffff, v6
                                        ; implicit-def: $vgpr7
	v_lshlrev_b32_e32 v1, 16, v1
	s_delay_alu instid0(VALU_DEP_1)
	v_or_b32_e32 v42, v6, v1
                                        ; implicit-def: $vgpr1
                                        ; implicit-def: $vgpr6
; %bb.109:
	s_or_saveexec_b32 s1, s0
	v_mov_b32_e32 v43, 0
	s_xor_b32 exec_lo, exec_lo, s1
	s_cbranch_execz .LBB1072_113
; %bb.110:
	v_dual_add_nc_u32 v8, s19, v34 :: v_dual_add_nc_u32 v9, s17, v34
	s_mov_b32 s3, 0
	s_mov_b32 s4, exec_lo
	s_delay_alu instid0(VALU_DEP_1) | instskip(NEXT) | instid1(VALU_DEP_2)
	v_mul_lo_u32 v8, v8, s18
	v_mul_lo_u32 v9, v9, s16
	s_delay_alu instid0(VALU_DEP_1) | instskip(NEXT) | instid1(VALU_DEP_1)
	v_sub_nc_u32_e32 v8, v9, v8
	v_cmp_lt_u32_e32 vcc_lo, s20, v8
	v_cmpx_ge_u32_e64 s20, v8
	s_cbranch_execz .LBB1072_112
; %bb.111:
	v_dual_add_nc_u32 v8, s38, v34 :: v_dual_add_nc_u32 v9, s22, v34
	s_delay_alu instid0(VALU_DEP_1) | instskip(NEXT) | instid1(VALU_DEP_2)
	v_mul_lo_u32 v8, v8, s23
	v_mul_lo_u32 v9, v9, s21
	s_delay_alu instid0(VALU_DEP_1) | instskip(NEXT) | instid1(VALU_DEP_1)
	v_sub_nc_u32_e32 v8, v9, v8
	v_cmp_lt_u32_e64 s0, s39, v8
	s_and_b32 s3, s0, exec_lo
.LBB1072_112:
	s_or_b32 exec_lo, exec_lo, s4
	v_cndmask_b32_e64 v8, 0, 1, vcc_lo
	v_lshlrev_b16 v1, 8, v1
	v_lshlrev_b16 v6, 8, v6
	v_cndmask_b32_e64 v43, 0, 1, s3
	s_delay_alu instid0(VALU_DEP_3) | instskip(NEXT) | instid1(VALU_DEP_1)
	v_bitop3_b16 v1, v7, v1, 0xff bitop3:0xec
	v_dual_lshlrev_b32 v1, 16, v1 :: v_dual_bitop2_b32 v6, v8, v6 bitop3:0x54
	s_delay_alu instid0(VALU_DEP_1) | instskip(NEXT) | instid1(VALU_DEP_1)
	v_and_b32_e32 v6, 0xffff, v6
	v_or_b32_e32 v42, v6, v1
.LBB1072_113:
	s_or_b32 exec_lo, exec_lo, s1
.LBB1072_114:
	v_and_b32_e32 v66, 0xff, v36
	s_delay_alu instid0(VALU_DEP_2)
	v_bfe_u32 v67, v42, 8, 8
	v_bfe_u32 v64, v36, 8, 8
	v_bfe_u32 v65, v42, 16, 8
	v_bfe_u32 v63, v36, 16, 8
	v_dual_lshrrev_b32 v49, 24, v42 :: v_dual_lshrrev_b32 v48, 24, v36
	v_and_b32_e32 v62, 0xff, v37
	v_and_b32_e32 v60, 0xff, v38
	v_bfe_u32 v61, v37, 8, 8
	v_add3_u32 v1, v64, v66, v63
	v_add3_u32 v6, v65, v67, v49
	v_bfe_u32 v58, v38, 8, 8
	v_bfe_u32 v59, v37, 16, 8
	;; [unrolled: 1-line block ×3, first 2 shown]
	v_dual_lshrrev_b32 v47, 24, v37 :: v_dual_lshrrev_b32 v46, 24, v38
	v_add3_u32 v1, v1, v48, v60
	v_add3_u32 v6, v6, v62, v61
	v_and_b32_e32 v57, 0xff, v40
	v_and_b32_e32 v53, 0xff, v41
	v_bfe_u32 v55, v40, 8, 8
	v_add3_u32 v1, v1, v58, v56
	v_add3_u32 v6, v6, v59, v47
	v_bfe_u32 v52, v41, 8, 8
	v_bfe_u32 v54, v40, 16, 8
	;; [unrolled: 1-line block ×3, first 2 shown]
	v_dual_lshrrev_b32 v45, 24, v40 :: v_dual_lshrrev_b32 v44, 24, v41
	v_add3_u32 v1, v1, v46, v53
	v_add3_u32 v6, v6, v57, v55
	v_mbcnt_lo_u32_b32 v68, -1, 0
	v_and_b32_e32 v50, 0xff, v39
	v_and_b32_e32 v7, 0xff, v42
	v_and_b32_e32 v8, 0xff, v43
	v_add3_u32 v1, v1, v52, v51
	v_add3_u32 v6, v6, v54, v45
	v_and_b32_e32 v70, 15, v68
	v_and_b32_e32 v72, 16, v68
	v_dual_lshrrev_b32 v69, 5, v0 :: v_dual_bitop2_b32 v71, 31, v0 bitop3:0x54
	v_add3_u32 v73, v1, v44, v7
	v_add3_u32 v74, v6, v50, v8
	v_cmp_eq_u32_e64 s1, 0, v70
	v_cmp_lt_u32_e64 s0, 1, v70
	v_cmp_lt_u32_e64 s3, 3, v70
	s_cmp_lg_u32 s27, 0
	s_mov_b32 s4, -1
	v_cmp_lt_u32_e32 vcc_lo, 7, v70
	s_cbranch_scc0 .LBB1072_135
; %bb.115:
	v_mov_b32_dpp v1, v74 row_shr:1 row_mask:0xf bank_mask:0xf
	v_mov_b32_dpp v6, v73 row_shr:1 row_mask:0xf bank_mask:0xf
	s_mov_b32 s4, exec_lo
	s_delay_alu instid0(VALU_DEP_1) | instskip(NEXT) | instid1(VALU_DEP_1)
	v_dual_add_nc_u32 v1, v1, v74 :: v_dual_add_nc_u32 v6, v6, v73
	v_dual_cndmask_b32 v1, v1, v74, s1 :: v_dual_cndmask_b32 v6, v6, v73, s1
	s_delay_alu instid0(VALU_DEP_1) | instskip(NEXT) | instid1(VALU_DEP_2)
	v_mov_b32_dpp v7, v1 row_shr:2 row_mask:0xf bank_mask:0xf
	v_mov_b32_dpp v8, v6 row_shr:2 row_mask:0xf bank_mask:0xf
	s_delay_alu instid0(VALU_DEP_1) | instskip(NEXT) | instid1(VALU_DEP_1)
	v_dual_add_nc_u32 v7, v1, v7 :: v_dual_add_nc_u32 v8, v6, v8
	v_dual_cndmask_b32 v1, v1, v7, s0 :: v_dual_cndmask_b32 v6, v6, v8, s0
	s_delay_alu instid0(VALU_DEP_1) | instskip(NEXT) | instid1(VALU_DEP_2)
	v_mov_b32_dpp v7, v1 row_shr:4 row_mask:0xf bank_mask:0xf
	v_mov_b32_dpp v8, v6 row_shr:4 row_mask:0xf bank_mask:0xf
	;; [unrolled: 6-line block ×3, first 2 shown]
	s_delay_alu instid0(VALU_DEP_1) | instskip(NEXT) | instid1(VALU_DEP_1)
	v_dual_add_nc_u32 v7, v1, v7 :: v_dual_add_nc_u32 v8, v6, v8
	v_dual_cndmask_b32 v1, v1, v7 :: v_dual_cndmask_b32 v6, v6, v8
	v_cmp_eq_u32_e32 vcc_lo, 0, v72
	ds_swizzle_b32 v7, v1 offset:swizzle(BROADCAST,32,15)
	ds_swizzle_b32 v8, v6 offset:swizzle(BROADCAST,32,15)
	s_wait_dscnt 0x0
	v_dual_add_nc_u32 v7, v1, v7 :: v_dual_add_nc_u32 v8, v6, v8
	v_cmpx_eq_u32_e64 v0, v71
; %bb.116:
	s_delay_alu instid0(VALU_DEP_2) | instskip(NEXT) | instid1(VALU_DEP_3)
	v_dual_cndmask_b32 v10, v8, v6 :: v_dual_lshlrev_b32 v9, 3, v69
	v_cndmask_b32_e32 v11, v7, v1, vcc_lo
	ds_store_b64 v9, v[10:11]
; %bb.117:
	s_or_b32 exec_lo, exec_lo, s4
	s_delay_alu instid0(SALU_CYCLE_1)
	s_mov_b32 s4, exec_lo
	s_wait_dscnt 0x0
	s_barrier_signal -1
	s_barrier_wait -1
	v_cmpx_gt_u32_e32 8, v0
	s_cbranch_execz .LBB1072_119
; %bb.118:
	v_lshlrev_b32_e32 v9, 3, v0
	ds_load_b64 v[10:11], v9
	s_wait_dscnt 0x0
	v_mov_b32_dpp v12, v10 row_shr:1 row_mask:0xf bank_mask:0xf
	v_mov_b32_dpp v13, v11 row_shr:1 row_mask:0xf bank_mask:0xf
	s_delay_alu instid0(VALU_DEP_2) | instskip(NEXT) | instid1(VALU_DEP_2)
	v_dual_add_nc_u32 v12, v12, v10 :: v_dual_bitop2_b32 v28, 7, v68 bitop3:0x40
	v_add_nc_u32_e32 v13, v13, v11
	s_delay_alu instid0(VALU_DEP_2) | instskip(NEXT) | instid1(VALU_DEP_1)
	v_cmp_eq_u32_e64 s3, 0, v28
	v_dual_cndmask_b32 v11, v13, v11, s3 :: v_dual_cndmask_b32 v10, v12, v10, s3
	v_cmp_lt_u32_e64 s3, 1, v28
	s_delay_alu instid0(VALU_DEP_2) | instskip(NEXT) | instid1(VALU_DEP_3)
	v_mov_b32_dpp v13, v11 row_shr:2 row_mask:0xf bank_mask:0xf
	v_mov_b32_dpp v12, v10 row_shr:2 row_mask:0xf bank_mask:0xf
	s_delay_alu instid0(VALU_DEP_1) | instskip(NEXT) | instid1(VALU_DEP_1)
	v_dual_add_nc_u32 v13, v11, v13 :: v_dual_add_nc_u32 v12, v10, v12
	v_dual_cndmask_b32 v11, v11, v13, s3 :: v_dual_cndmask_b32 v10, v10, v12, s3
	v_cmp_lt_u32_e64 s3, 3, v28
	s_delay_alu instid0(VALU_DEP_2) | instskip(NEXT) | instid1(VALU_DEP_3)
	v_mov_b32_dpp v13, v11 row_shr:4 row_mask:0xf bank_mask:0xf
	v_mov_b32_dpp v12, v10 row_shr:4 row_mask:0xf bank_mask:0xf
	s_delay_alu instid0(VALU_DEP_1) | instskip(NEXT) | instid1(VALU_DEP_1)
	v_dual_cndmask_b32 v13, 0, v13, s3 :: v_dual_cndmask_b32 v12, 0, v12, s3
	v_dual_add_nc_u32 v11, v13, v11 :: v_dual_add_nc_u32 v10, v12, v10
	ds_store_b64 v9, v[10:11]
.LBB1072_119:
	s_or_b32 exec_lo, exec_lo, s4
	v_dual_cndmask_b32 v1, v7, v1 :: v_dual_cndmask_b32 v6, v8, v6
	s_mov_b32 s4, exec_lo
	v_cmp_gt_u32_e32 vcc_lo, 32, v0
	s_wait_dscnt 0x0
	s_barrier_signal -1
	s_barrier_wait -1
                                        ; implicit-def: $vgpr28
	v_cmpx_lt_u32_e32 31, v0
	s_cbranch_execz .LBB1072_121
; %bb.120:
	v_lshl_add_u32 v7, v69, 3, -8
	ds_load_b64 v[28:29], v7
	s_wait_dscnt 0x0
	v_dual_add_nc_u32 v1, v29, v1 :: v_dual_add_nc_u32 v6, v28, v6
.LBB1072_121:
	s_or_b32 exec_lo, exec_lo, s4
	v_sub_co_u32 v7, s3, v68, 1
	s_delay_alu instid0(VALU_DEP_1) | instskip(NEXT) | instid1(VALU_DEP_1)
	v_cmp_gt_i32_e64 s4, 0, v7
	v_cndmask_b32_e64 v7, v7, v68, s4
	s_delay_alu instid0(VALU_DEP_1)
	v_lshlrev_b32_e32 v7, 2, v7
	ds_bpermute_b32 v75, v7, v6
	ds_bpermute_b32 v1, v7, v1
	s_and_saveexec_b32 s4, vcc_lo
	s_cbranch_execz .LBB1072_140
; %bb.122:
	v_mov_b32_e32 v9, 0
	ds_load_b64 v[6:7], v9 offset:56
	s_and_saveexec_b32 s6, s3
	s_cbranch_execz .LBB1072_124
; %bb.123:
	s_add_co_i32 s8, s27, 32
	s_mov_b32 s9, 0
	v_mov_b32_e32 v8, 1
	s_lshl_b64 s[8:9], s[8:9], 4
	s_delay_alu instid0(SALU_CYCLE_1) | instskip(NEXT) | instid1(SALU_CYCLE_1)
	s_add_nc_u64 s[8:9], s[36:37], s[8:9]
	v_mov_b64_e32 v[10:11], s[8:9]
	s_wait_dscnt 0x0
	;;#ASMSTART
	global_store_b128 v[10:11], v[6:9] off scope:SCOPE_DEV	
s_wait_storecnt 0x0
	;;#ASMEND
.LBB1072_124:
	s_or_b32 exec_lo, exec_lo, s6
	v_xad_u32 v30, v68, -1, s27
	s_mov_b32 s7, 0
	s_mov_b32 s6, exec_lo
	s_delay_alu instid0(VALU_DEP_1) | instskip(NEXT) | instid1(VALU_DEP_1)
	v_add_nc_u32_e32 v8, 32, v30
	v_lshl_add_u64 v[8:9], v[8:9], 4, s[36:37]
	;;#ASMSTART
	global_load_b128 v[10:13], v[8:9] off scope:SCOPE_DEV	
s_wait_loadcnt 0x0
	;;#ASMEND
	v_and_b32_e32 v13, 0xff, v12
	s_delay_alu instid0(VALU_DEP_1)
	v_cmpx_eq_u16_e32 0, v13
	s_cbranch_execz .LBB1072_127
.LBB1072_125:                           ; =>This Inner Loop Header: Depth=1
	;;#ASMSTART
	global_load_b128 v[10:13], v[8:9] off scope:SCOPE_DEV	
s_wait_loadcnt 0x0
	;;#ASMEND
	v_and_b32_e32 v13, 0xff, v12
	s_delay_alu instid0(VALU_DEP_1) | instskip(SKIP_1) | instid1(SALU_CYCLE_1)
	v_cmp_ne_u16_e32 vcc_lo, 0, v13
	s_or_b32 s7, vcc_lo, s7
	s_and_not1_b32 exec_lo, exec_lo, s7
	s_cbranch_execnz .LBB1072_125
; %bb.126:
	s_or_b32 exec_lo, exec_lo, s7
.LBB1072_127:
	s_delay_alu instid0(SALU_CYCLE_1) | instskip(SKIP_4) | instid1(VALU_DEP_1)
	s_or_b32 exec_lo, exec_lo, s6
	v_cmp_ne_u32_e32 vcc_lo, 31, v68
	v_lshlrev_b32_e64 v77, v68, -1
	v_lshl_or_b32 v84, v68, 2, 64
	v_add_co_ci_u32_e64 v8, null, 0, v68, vcc_lo
	v_lshlrev_b32_e32 v76, 2, v8
	v_and_b32_e32 v8, 0xff, v12
	s_delay_alu instid0(VALU_DEP_1)
	v_cmp_eq_u16_e32 vcc_lo, 2, v8
	v_and_b32_e32 v13, vcc_lo, v77
	ds_bpermute_b32 v9, v76, v11
	ds_bpermute_b32 v8, v76, v10
	v_cmp_gt_u32_e32 vcc_lo, 30, v68
	v_or_b32_e32 v13, 0x80000000, v13
	v_cndmask_b32_e64 v31, 0, 2, vcc_lo
	s_delay_alu instid0(VALU_DEP_2) | instskip(NEXT) | instid1(VALU_DEP_2)
	v_ctz_i32_b32_e32 v13, v13
	v_add_lshl_u32 v78, v31, v68, 2
	s_delay_alu instid0(VALU_DEP_2) | instskip(SKIP_2) | instid1(VALU_DEP_1)
	v_cmp_lt_u32_e32 vcc_lo, v68, v13
	s_wait_dscnt 0x0
	v_dual_add_nc_u32 v9, v9, v11 :: v_dual_add_nc_u32 v8, v8, v10
	v_dual_cndmask_b32 v9, v11, v9 :: v_dual_cndmask_b32 v8, v10, v8
	v_cmp_gt_u32_e32 vcc_lo, 28, v68
	ds_bpermute_b32 v10, v78, v9
	ds_bpermute_b32 v11, v78, v8
	v_add_nc_u32_e32 v79, 2, v68
	v_cndmask_b32_e64 v31, 0, 4, vcc_lo
	s_delay_alu instid0(VALU_DEP_1) | instskip(SKIP_4) | instid1(VALU_DEP_2)
	v_add_lshl_u32 v80, v31, v68, 2
	s_wait_dscnt 0x1
	v_add_nc_u32_e32 v10, v9, v10
	v_cmp_gt_u32_e32 vcc_lo, v79, v13
	s_wait_dscnt 0x0
	v_dual_add_nc_u32 v11, v8, v11 :: v_dual_cndmask_b32 v9, v10, v9, vcc_lo
	ds_bpermute_b32 v10, v80, v9
	v_cndmask_b32_e32 v8, v11, v8, vcc_lo
	v_cmp_gt_u32_e32 vcc_lo, 24, v68
	v_cndmask_b32_e64 v31, 0, 8, vcc_lo
	s_delay_alu instid0(VALU_DEP_1)
	v_add_lshl_u32 v82, v31, v68, 2
	s_wait_dscnt 0x0
	v_dual_mov_b32 v31, 0 :: v_dual_add_nc_u32 v10, v9, v10
	ds_bpermute_b32 v11, v80, v8
	s_wait_dscnt 0x0
	v_dual_add_nc_u32 v81, 4, v68 :: v_dual_add_nc_u32 v11, v8, v11
	s_delay_alu instid0(VALU_DEP_1) | instskip(NEXT) | instid1(VALU_DEP_2)
	v_cmp_gt_u32_e32 vcc_lo, v81, v13
	v_dual_cndmask_b32 v9, v10, v9 :: v_dual_cndmask_b32 v8, v11, v8
	ds_bpermute_b32 v10, v82, v9
	ds_bpermute_b32 v11, v82, v8
	s_wait_dscnt 0x1
	v_dual_add_nc_u32 v83, 8, v68 :: v_dual_add_nc_u32 v10, v9, v10
	s_delay_alu instid0(VALU_DEP_1) | instskip(SKIP_1) | instid1(VALU_DEP_2)
	v_cmp_gt_u32_e32 vcc_lo, v83, v13
	s_wait_dscnt 0x0
	v_dual_add_nc_u32 v11, v8, v11 :: v_dual_cndmask_b32 v9, v10, v9, vcc_lo
	s_delay_alu instid0(VALU_DEP_1) | instskip(SKIP_3) | instid1(VALU_DEP_1)
	v_cndmask_b32_e32 v8, v11, v8, vcc_lo
	ds_bpermute_b32 v11, v84, v9
	ds_bpermute_b32 v10, v84, v8
	v_add_nc_u32_e32 v85, 16, v68
	v_cmp_le_u32_e32 vcc_lo, v85, v13
	s_wait_dscnt 0x0
	v_dual_cndmask_b32 v11, 0, v11 :: v_dual_cndmask_b32 v10, 0, v10
	s_delay_alu instid0(VALU_DEP_1)
	v_dual_add_nc_u32 v11, v11, v9 :: v_dual_add_nc_u32 v10, v10, v8
	s_branch .LBB1072_131
.LBB1072_128:                           ;   in Loop: Header=BB1072_131 Depth=1
	s_or_b32 exec_lo, exec_lo, s7
.LBB1072_129:                           ;   in Loop: Header=BB1072_131 Depth=1
	s_delay_alu instid0(SALU_CYCLE_1)
	s_or_b32 exec_lo, exec_lo, s6
	ds_bpermute_b32 v13, v76, v10
	ds_bpermute_b32 v32, v76, v11
	v_and_b32_e32 v33, 0xff, v12
	v_subrev_nc_u32_e32 v30, 32, v30
	s_mov_b32 s6, 0
	s_delay_alu instid0(VALU_DEP_2) | instskip(SKIP_1) | instid1(VALU_DEP_1)
	v_cmp_eq_u16_e32 vcc_lo, 2, v33
	v_and_or_b32 v33, vcc_lo, v77, 0x80000000
	v_ctz_i32_b32_e32 v33, v33
	s_wait_dscnt 0x0
	v_dual_add_nc_u32 v13, v13, v10 :: v_dual_add_nc_u32 v32, v32, v11
	s_delay_alu instid0(VALU_DEP_2) | instskip(NEXT) | instid1(VALU_DEP_2)
	v_cmp_lt_u32_e32 vcc_lo, v68, v33
	v_dual_cndmask_b32 v11, v11, v32 :: v_dual_cndmask_b32 v10, v10, v13
	v_cmp_gt_u32_e32 vcc_lo, v79, v33
	ds_bpermute_b32 v32, v78, v11
	ds_bpermute_b32 v13, v78, v10
	s_wait_dscnt 0x0
	v_dual_add_nc_u32 v32, v11, v32 :: v_dual_add_nc_u32 v13, v10, v13
	s_delay_alu instid0(VALU_DEP_1)
	v_dual_cndmask_b32 v11, v32, v11 :: v_dual_cndmask_b32 v10, v13, v10
	v_cmp_gt_u32_e32 vcc_lo, v81, v33
	ds_bpermute_b32 v32, v80, v11
	ds_bpermute_b32 v13, v80, v10
	s_wait_dscnt 0x0
	v_dual_add_nc_u32 v32, v11, v32 :: v_dual_add_nc_u32 v13, v10, v13
	s_delay_alu instid0(VALU_DEP_1)
	;; [unrolled: 7-line block ×3, first 2 shown]
	v_dual_cndmask_b32 v11, v32, v11 :: v_dual_cndmask_b32 v10, v13, v10
	v_cmp_le_u32_e32 vcc_lo, v85, v33
	ds_bpermute_b32 v32, v84, v11
	ds_bpermute_b32 v13, v84, v10
	s_wait_dscnt 0x0
	v_dual_cndmask_b32 v32, 0, v32 :: v_dual_cndmask_b32 v13, 0, v13
	s_delay_alu instid0(VALU_DEP_1) | instskip(NEXT) | instid1(VALU_DEP_2)
	v_add3_u32 v11, v11, v9, v32
	v_add3_u32 v10, v10, v8, v13
.LBB1072_130:                           ;   in Loop: Header=BB1072_131 Depth=1
	s_and_b32 vcc_lo, exec_lo, s6
	s_cbranch_vccnz .LBB1072_136
.LBB1072_131:                           ; =>This Loop Header: Depth=1
                                        ;     Child Loop BB1072_134 Depth 2
	v_and_b32_e32 v8, 0xff, v12
	s_mov_b32 s6, -1
                                        ; implicit-def: $vgpr12
	s_delay_alu instid0(VALU_DEP_1)
	v_cmp_ne_u16_e32 vcc_lo, 2, v8
	v_mov_b64_e32 v[8:9], v[10:11]
                                        ; implicit-def: $vgpr10_vgpr11
	s_cmp_lg_u32 vcc_lo, exec_lo
	s_cbranch_scc1 .LBB1072_130
; %bb.132:                              ;   in Loop: Header=BB1072_131 Depth=1
	v_lshl_add_u64 v[32:33], v[30:31], 4, s[36:37]
	;;#ASMSTART
	global_load_b128 v[10:13], v[32:33] off scope:SCOPE_DEV	
s_wait_loadcnt 0x0
	;;#ASMEND
	v_and_b32_e32 v13, 0xff, v12
	s_mov_b32 s6, exec_lo
	s_delay_alu instid0(VALU_DEP_1)
	v_cmpx_eq_u16_e32 0, v13
	s_cbranch_execz .LBB1072_129
; %bb.133:                              ;   in Loop: Header=BB1072_131 Depth=1
	s_mov_b32 s7, 0
.LBB1072_134:                           ;   Parent Loop BB1072_131 Depth=1
                                        ; =>  This Inner Loop Header: Depth=2
	;;#ASMSTART
	global_load_b128 v[10:13], v[32:33] off scope:SCOPE_DEV	
s_wait_loadcnt 0x0
	;;#ASMEND
	v_and_b32_e32 v13, 0xff, v12
	s_delay_alu instid0(VALU_DEP_1) | instskip(SKIP_1) | instid1(SALU_CYCLE_1)
	v_cmp_ne_u16_e32 vcc_lo, 0, v13
	s_or_b32 s7, vcc_lo, s7
	s_and_not1_b32 exec_lo, exec_lo, s7
	s_cbranch_execnz .LBB1072_134
	s_branch .LBB1072_128
.LBB1072_135:
                                        ; implicit-def: $vgpr1
                                        ; implicit-def: $vgpr8
                                        ; implicit-def: $vgpr10
                                        ; implicit-def: $vgpr12
                                        ; implicit-def: $vgpr28
	s_and_b32 vcc_lo, exec_lo, s4
	s_cbranch_vccnz .LBB1072_141
	s_branch .LBB1072_150
.LBB1072_136:
	s_and_saveexec_b32 s6, s3
	s_cbranch_execz .LBB1072_138
; %bb.137:
	s_add_co_i32 s8, s27, 32
	s_mov_b32 s9, 0
	v_dual_mov_b32 v12, 2 :: v_dual_mov_b32 v13, 0
	s_lshl_b64 s[8:9], s[8:9], 4
	v_dual_add_nc_u32 v11, v9, v7 :: v_dual_add_nc_u32 v10, v8, v6
	s_add_nc_u64 s[8:9], s[36:37], s[8:9]
	s_delay_alu instid0(SALU_CYCLE_1)
	v_mov_b64_e32 v[30:31], s[8:9]
	;;#ASMSTART
	global_store_b128 v[30:31], v[10:13] off scope:SCOPE_DEV	
s_wait_storecnt 0x0
	;;#ASMEND
	ds_store_b128 v13, v[6:9] offset:13312
.LBB1072_138:
	s_or_b32 exec_lo, exec_lo, s6
	s_delay_alu instid0(SALU_CYCLE_1)
	s_and_b32 exec_lo, exec_lo, s2
; %bb.139:
	v_mov_b32_e32 v6, 0
	ds_store_b64 v6, v[8:9] offset:56
.LBB1072_140:
	s_or_b32 exec_lo, exec_lo, s4
	s_wait_dscnt 0x0
	v_dual_mov_b32 v6, 0 :: v_dual_cndmask_b32 v1, v1, v29, s3
	s_barrier_signal -1
	s_barrier_wait -1
	ds_load_b64 v[12:13], v6 offset:56
	s_wait_dscnt 0x0
	s_barrier_signal -1
	s_barrier_wait -1
	ds_load_b128 v[6:9], v6 offset:13312
	v_cndmask_b32_e64 v10, v75, v28, s3
	s_delay_alu instid0(VALU_DEP_1) | instskip(SKIP_2) | instid1(VALU_DEP_2)
	v_dual_add_nc_u32 v1, v13, v1 :: v_dual_add_nc_u32 v11, v12, v10
	s_wait_dscnt 0x0
	v_mov_b32_e32 v10, v9
	v_dual_cndmask_b32 v1, v1, v13, s2 :: v_dual_cndmask_b32 v28, v11, v12, s2
	v_mov_b32_e32 v12, v7
	s_branch .LBB1072_150
.LBB1072_141:
	v_mov_b32_dpp v1, v73 row_shr:1 row_mask:0xf bank_mask:0xf
	v_mov_b32_dpp v6, v74 row_shr:1 row_mask:0xf bank_mask:0xf
	v_cmp_lt_u32_e32 vcc_lo, 3, v70
	s_delay_alu instid0(VALU_DEP_2) | instskip(NEXT) | instid1(VALU_DEP_1)
	v_dual_add_nc_u32 v1, v1, v73 :: v_dual_add_nc_u32 v6, v6, v74
	v_dual_cndmask_b32 v1, v1, v73, s1 :: v_dual_cndmask_b32 v6, v6, v74, s1
	s_mov_b32 s1, exec_lo
	s_delay_alu instid0(VALU_DEP_1) | instskip(NEXT) | instid1(VALU_DEP_2)
	v_mov_b32_dpp v7, v1 row_shr:2 row_mask:0xf bank_mask:0xf
	v_mov_b32_dpp v8, v6 row_shr:2 row_mask:0xf bank_mask:0xf
	s_delay_alu instid0(VALU_DEP_1) | instskip(NEXT) | instid1(VALU_DEP_1)
	v_dual_add_nc_u32 v7, v1, v7 :: v_dual_add_nc_u32 v8, v6, v8
	v_dual_cndmask_b32 v1, v1, v7, s0 :: v_dual_cndmask_b32 v6, v6, v8, s0
	s_delay_alu instid0(VALU_DEP_1) | instskip(NEXT) | instid1(VALU_DEP_2)
	v_mov_b32_dpp v7, v1 row_shr:4 row_mask:0xf bank_mask:0xf
	v_mov_b32_dpp v8, v6 row_shr:4 row_mask:0xf bank_mask:0xf
	s_delay_alu instid0(VALU_DEP_1) | instskip(NEXT) | instid1(VALU_DEP_1)
	v_dual_add_nc_u32 v7, v1, v7 :: v_dual_add_nc_u32 v8, v6, v8
	v_dual_cndmask_b32 v7, v1, v7 :: v_dual_cndmask_b32 v6, v6, v8
	v_cmp_lt_u32_e32 vcc_lo, 7, v70
	s_delay_alu instid0(VALU_DEP_2) | instskip(NEXT) | instid1(VALU_DEP_3)
	v_mov_b32_dpp v1, v7 row_shr:8 row_mask:0xf bank_mask:0xf
	v_mov_b32_dpp v8, v6 row_shr:8 row_mask:0xf bank_mask:0xf
	s_delay_alu instid0(VALU_DEP_1) | instskip(NEXT) | instid1(VALU_DEP_1)
	v_dual_add_nc_u32 v9, v7, v1 :: v_dual_add_nc_u32 v1, v6, v8
	v_cndmask_b32_e32 v1, v6, v1, vcc_lo
	s_delay_alu instid0(VALU_DEP_2)
	v_cndmask_b32_e32 v6, v7, v9, vcc_lo
	v_cmp_eq_u32_e32 vcc_lo, 0, v72
	ds_swizzle_b32 v8, v6 offset:swizzle(BROADCAST,32,15)
	s_wait_dscnt 0x0
	v_add_nc_u32_e32 v8, v6, v8
	ds_swizzle_b32 v7, v1 offset:swizzle(BROADCAST,32,15)
	s_wait_dscnt 0x0
	v_add_nc_u32_e32 v7, v1, v7
	v_cmpx_eq_u32_e64 v0, v71
; %bb.142:
	s_delay_alu instid0(VALU_DEP_2)
	v_dual_cndmask_b32 v10, v8, v6 :: v_dual_cndmask_b32 v11, v7, v1
	v_lshlrev_b32_e32 v9, 3, v69
	ds_store_b64 v9, v[10:11]
; %bb.143:
	s_or_b32 exec_lo, exec_lo, s1
	s_delay_alu instid0(SALU_CYCLE_1)
	s_mov_b32 s1, exec_lo
	s_wait_dscnt 0x0
	s_barrier_signal -1
	s_barrier_wait -1
	v_cmpx_gt_u32_e32 8, v0
	s_cbranch_execz .LBB1072_145
; %bb.144:
	v_lshlrev_b32_e32 v9, 3, v0
	ds_load_b64 v[10:11], v9
	s_wait_dscnt 0x0
	v_mov_b32_dpp v12, v10 row_shr:1 row_mask:0xf bank_mask:0xf
	v_mov_b32_dpp v13, v11 row_shr:1 row_mask:0xf bank_mask:0xf
	s_delay_alu instid0(VALU_DEP_2) | instskip(NEXT) | instid1(VALU_DEP_2)
	v_dual_add_nc_u32 v12, v12, v10 :: v_dual_bitop2_b32 v28, 7, v68 bitop3:0x40
	v_add_nc_u32_e32 v13, v13, v11
	s_delay_alu instid0(VALU_DEP_2) | instskip(NEXT) | instid1(VALU_DEP_1)
	v_cmp_eq_u32_e64 s0, 0, v28
	v_dual_cndmask_b32 v11, v13, v11, s0 :: v_dual_cndmask_b32 v10, v12, v10, s0
	v_cmp_lt_u32_e64 s0, 1, v28
	s_delay_alu instid0(VALU_DEP_2) | instskip(NEXT) | instid1(VALU_DEP_3)
	v_mov_b32_dpp v13, v11 row_shr:2 row_mask:0xf bank_mask:0xf
	v_mov_b32_dpp v12, v10 row_shr:2 row_mask:0xf bank_mask:0xf
	s_delay_alu instid0(VALU_DEP_1) | instskip(NEXT) | instid1(VALU_DEP_1)
	v_dual_add_nc_u32 v13, v11, v13 :: v_dual_add_nc_u32 v12, v10, v12
	v_dual_cndmask_b32 v11, v11, v13, s0 :: v_dual_cndmask_b32 v10, v10, v12, s0
	v_cmp_lt_u32_e64 s0, 3, v28
	s_delay_alu instid0(VALU_DEP_2) | instskip(NEXT) | instid1(VALU_DEP_3)
	v_mov_b32_dpp v13, v11 row_shr:4 row_mask:0xf bank_mask:0xf
	v_mov_b32_dpp v12, v10 row_shr:4 row_mask:0xf bank_mask:0xf
	s_delay_alu instid0(VALU_DEP_1) | instskip(NEXT) | instid1(VALU_DEP_1)
	v_dual_cndmask_b32 v13, 0, v13, s0 :: v_dual_cndmask_b32 v12, 0, v12, s0
	v_dual_add_nc_u32 v11, v13, v11 :: v_dual_add_nc_u32 v10, v12, v10
	ds_store_b64 v9, v[10:11]
.LBB1072_145:
	s_or_b32 exec_lo, exec_lo, s1
	v_dual_mov_b32 v9, 0 :: v_dual_mov_b32 v10, 0
	v_mov_b32_e32 v11, 0
	s_mov_b32 s1, exec_lo
	s_wait_dscnt 0x0
	s_barrier_signal -1
	s_barrier_wait -1
	v_cmpx_lt_u32_e32 31, v0
; %bb.146:
	v_lshl_add_u32 v10, v69, 3, -8
	ds_load_b64 v[10:11], v10
; %bb.147:
	s_or_b32 exec_lo, exec_lo, s1
	v_sub_co_u32 v12, s0, v68, 1
	v_dual_cndmask_b32 v6, v8, v6 :: v_dual_cndmask_b32 v1, v7, v1
	s_delay_alu instid0(VALU_DEP_2) | instskip(SKIP_1) | instid1(VALU_DEP_1)
	v_cmp_gt_i32_e64 s1, 0, v12
	s_wait_dscnt 0x0
	v_dual_add_nc_u32 v6, v10, v6 :: v_dual_cndmask_b32 v8, v12, v68, s1
	s_delay_alu instid0(VALU_DEP_1)
	v_dual_lshlrev_b32 v7, 2, v8 :: v_dual_add_nc_u32 v8, v11, v1
	ds_bpermute_b32 v1, v7, v6
	ds_bpermute_b32 v12, v7, v8
	ds_load_b64 v[6:7], v9 offset:56
	s_and_saveexec_b32 s1, s2
	s_cbranch_execz .LBB1072_149
; %bb.148:
	s_add_nc_u64 s[6:7], s[36:37], 0x200
	v_dual_mov_b32 v8, 2 :: v_dual_mov_b32 v9, 0
	v_mov_b64_e32 v[28:29], s[6:7]
	s_wait_dscnt 0x0
	;;#ASMSTART
	global_store_b128 v[28:29], v[6:9] off scope:SCOPE_DEV	
s_wait_storecnt 0x0
	;;#ASMEND
.LBB1072_149:
	s_or_b32 exec_lo, exec_lo, s1
	s_wait_dscnt 0x1
	v_dual_cndmask_b32 v9, v12, v11, s0 :: v_dual_cndmask_b32 v11, v1, v10, s0
	v_dual_mov_b32 v10, 0 :: v_dual_mov_b32 v8, 0
	s_wait_dscnt 0x0
	v_mov_b32_e32 v12, v7
	s_delay_alu instid0(VALU_DEP_3)
	v_cndmask_b32_e64 v1, v9, 0, s2
	v_cndmask_b32_e64 v28, v11, 0, s2
	s_barrier_signal -1
	s_barrier_wait -1
.LBB1072_150:
	s_delay_alu instid0(VALU_DEP_1) | instskip(SKIP_2) | instid1(VALU_DEP_3)
	v_dual_add_nc_u32 v74, v1, v67 :: v_dual_add_nc_u32 v75, v28, v66
	v_dual_lshrrev_b32 v72, 16, v42 :: v_dual_lshrrev_b32 v7, 8, v42
	v_dual_lshrrev_b32 v73, 8, v36 :: v_dual_lshrrev_b32 v71, 16, v36
	v_dual_add_nc_u32 v65, v74, v65 :: v_dual_add_nc_u32 v64, v75, v64
	v_dual_mov_b32 v9, 0 :: v_dual_lshlrev_b32 v66, 1, v6
	s_delay_alu instid0(VALU_DEP_2) | instskip(NEXT) | instid1(VALU_DEP_3)
	v_dual_add_nc_u32 v76, v65, v49 :: v_dual_bitop2_b32 v36, 1, v36 bitop3:0x40
	v_add_nc_u32_e32 v63, v64, v63
	v_dual_sub_nc_u32 v28, v28, v8 :: v_dual_sub_nc_u32 v1, v1, v10
	s_delay_alu instid0(VALU_DEP_3) | instskip(NEXT) | instid1(VALU_DEP_3)
	v_dual_add_nc_u32 v62, v76, v62 :: v_dual_bitop2_b32 v77, 1, v7 bitop3:0x40
	v_dual_mov_b32 v7, v9 :: v_dual_add_nc_u32 v78, v63, v48
	v_mov_b32_e32 v11, v9
	s_delay_alu instid0(VALU_DEP_3) | instskip(SKIP_1) | instid1(VALU_DEP_4)
	v_dual_add_nc_u32 v1, v1, v6 :: v_dual_add_nc_u32 v61, v62, v61
	v_add3_u32 v15, v66, v12, v15
	v_add_nc_u32_e32 v60, v78, v60
	s_delay_alu instid0(VALU_DEP_3) | instskip(NEXT) | instid1(VALU_DEP_4)
	v_dual_sub_nc_u32 v74, v74, v10 :: v_dual_add_nc_u32 v81, v28, v1
	v_dual_add_nc_u32 v79, v61, v59 :: v_dual_sub_nc_u32 v75, v75, v8
	s_delay_alu instid0(VALU_DEP_3) | instskip(SKIP_1) | instid1(VALU_DEP_4)
	v_add_nc_u32_e32 v80, v60, v58
	v_cmp_eq_u32_e32 vcc_lo, 1, v77
	v_dual_add_nc_u32 v74, v74, v6 :: v_dual_sub_nc_u32 v64, v64, v8
	s_delay_alu instid0(VALU_DEP_3) | instskip(SKIP_2) | instid1(VALU_DEP_3)
	v_dual_add_nc_u32 v82, v79, v47 :: v_dual_add_nc_u32 v56, v80, v56
	v_dual_sub_nc_u32 v81, v15, v81 :: v_dual_sub_nc_u32 v65, v65, v10
	v_sub_nc_u64_e32 v[58:59], v[4:5], v[6:7]
	v_dual_add_nc_u32 v57, v82, v57 :: v_dual_add_nc_u32 v83, v56, v46
	s_delay_alu instid0(VALU_DEP_3) | instskip(SKIP_1) | instid1(VALU_DEP_3)
	v_dual_cndmask_b32 v1, v81, v1, vcc_lo :: v_dual_add_nc_u32 v81, v74, v75
	v_cmp_eq_u32_e32 vcc_lo, 1, v36
	v_dual_add_nc_u32 v55, v57, v55 :: v_dual_add_nc_u32 v77, v83, v53
	v_and_b32_e32 v72, 1, v72
	v_dual_sub_nc_u32 v63, v63, v8 :: v_dual_bitop2_b32 v49, 1, v49 bitop3:0x40
	s_delay_alu instid0(VALU_DEP_3) | instskip(NEXT) | instid1(VALU_DEP_4)
	v_dual_cndmask_b32 v1, v1, v28 :: v_dual_add_nc_u32 v28, v55, v54
	v_add_nc_u32_e32 v36, v77, v52
	v_add_nc_u32_e32 v54, v65, v6
	v_add_nc_u64_e32 v[52:53], v[58:59], v[10:11]
	s_delay_alu instid0(VALU_DEP_4)
	v_lshlrev_b32_e32 v1, 2, v1
	v_add_nc_u32_e32 v58, v28, v45
	v_dual_add_nc_u32 v51, v36, v51 :: v_dual_sub_nc_u32 v59, v15, v81
	v_add_nc_u32_e32 v65, v54, v64
	ds_store_b32 v1, v26
	v_dual_add_nc_u32 v1, v58, v50 :: v_dual_add_nc_u32 v26, v51, v44
	v_dual_sub_nc_u32 v73, v76, v10 :: v_dual_bitop2_b32 v50, 1, v73 bitop3:0x40
	v_dual_sub_nc_u32 v65, v15, v65 :: v_dual_add_nc_u32 v59, 1, v59
	v_cmp_eq_u32_e32 vcc_lo, 1, v72
	s_delay_alu instid0(VALU_DEP_3) | instskip(NEXT) | instid1(VALU_DEP_3)
	v_dual_add_nc_u32 v73, v73, v6 :: v_dual_bitop2_b32 v71, 1, v71 bitop3:0x40
	v_add_nc_u32_e32 v65, 2, v65
	v_dual_lshrrev_b32 v70, 8, v37 :: v_dual_lshrrev_b32 v69, 16, v37
	v_cndmask_b32_e32 v59, v59, v74, vcc_lo
	v_cmp_eq_u32_e32 vcc_lo, 1, v49
	v_dual_add_nc_u32 v72, v63, v73 :: v_dual_lshrrev_b32 v33, 16, v38
	v_dual_lshrrev_b32 v68, 8, v38 :: v_dual_lshrrev_b32 v31, 16, v40
	v_dual_cndmask_b32 v49, v65, v54 :: v_dual_lshrrev_b32 v32, 8, v40
	v_cmp_eq_u32_e32 vcc_lo, 1, v50
	s_delay_alu instid0(VALU_DEP_4)
	v_dual_sub_nc_u32 v54, v15, v72 :: v_dual_lshrrev_b32 v30, 8, v41
	v_dual_lshrrev_b32 v29, 16, v41 :: v_dual_sub_nc_u32 v1, v1, v10
	v_cndmask_b32_e32 v50, v59, v75, vcc_lo
	v_cmp_eq_u32_e32 vcc_lo, 1, v71
	v_dual_sub_nc_u32 v59, v62, v10 :: v_dual_bitop2_b32 v37, 1, v37 bitop3:0x40
	v_dual_add_nc_u32 v54, 3, v54 :: v_dual_bitop2_b32 v48, 1, v48 bitop3:0x40
	v_cndmask_b32_e32 v49, v49, v64, vcc_lo
	v_dual_sub_nc_u32 v62, v78, v8 :: v_dual_lshlrev_b32 v50, 2, v50
	s_delay_alu instid0(VALU_DEP_4) | instskip(SKIP_1) | instid1(VALU_DEP_4)
	v_add_nc_u32_e32 v59, v59, v6
	v_cmp_eq_u32_e32 vcc_lo, 1, v37
	v_lshlrev_b32_e32 v49, 2, v49
	v_add_nc_u64_e32 v[2:3], v[2:3], v[8:9]
	ds_store_b32 v50, v27
	v_dual_sub_nc_u32 v27, v61, v10 :: v_dual_cndmask_b32 v37, v54, v73, vcc_lo
	v_add_nc_u32_e32 v54, v62, v59
	v_cmp_eq_u32_e32 vcc_lo, 1, v48
	ds_store_b32 v49, v24
	v_dual_sub_nc_u32 v48, v60, v8 :: v_dual_sub_nc_u32 v50, v79, v10
	v_dual_cndmask_b32 v37, v37, v63 :: v_dual_sub_nc_u32 v24, v15, v54
	v_dual_add_nc_u32 v27, v27, v6 :: v_dual_mov_b32 v67, v9
	s_delay_alu instid0(VALU_DEP_2) | instskip(NEXT) | instid1(VALU_DEP_3)
	v_dual_mov_b32 v13, v9 :: v_dual_add_nc_u32 v24, 4, v24
	v_dual_lshlrev_b32 v37, 2, v37 :: v_dual_bitop2_b32 v49, 1, v70 bitop3:0x40
	s_delay_alu instid0(VALU_DEP_3)
	v_add_nc_u32_e32 v54, v48, v27
	s_mov_b32 s0, -1
	v_and_b32_e32 v40, 1, v40
	ds_store_b32 v37, v25
	v_cmp_eq_u32_e32 vcc_lo, 1, v49
	v_dual_sub_nc_u32 v49, v80, v8 :: v_dual_bitop2_b32 v38, 1, v38 bitop3:0x40
	v_dual_add_nc_u32 v50, v50, v6 :: v_dual_bitop2_b32 v37, 1, v69 bitop3:0x40
	v_cndmask_b32_e32 v24, v24, v59, vcc_lo
	s_delay_alu instid0(VALU_DEP_3) | instskip(SKIP_1) | instid1(VALU_DEP_3)
	v_cmp_eq_u32_e32 vcc_lo, 1, v38
	v_and_b32_e32 v32, 1, v32
	v_dual_cndmask_b32 v24, v24, v62, vcc_lo :: v_dual_bitop2_b32 v31, 1, v31 bitop3:0x40
	v_sub_nc_u32_e32 v54, v15, v54
	v_cmp_eq_u32_e32 vcc_lo, 1, v37
	s_delay_alu instid0(VALU_DEP_3) | instskip(NEXT) | instid1(VALU_DEP_3)
	v_dual_sub_nc_u32 v37, v57, v10 :: v_dual_lshlrev_b32 v24, 2, v24
	v_add_nc_u32_e32 v38, 5, v54
	v_dual_add_nc_u32 v25, v49, v50 :: v_dual_bitop2_b32 v54, 1, v68 bitop3:0x40
	ds_store_b32 v24, v22
	v_dual_cndmask_b32 v27, v38, v27, vcc_lo :: v_dual_sub_nc_u32 v25, v15, v25
	v_and_b32_e32 v22, 1, v47
	v_cmp_eq_u32_e32 vcc_lo, 1, v54
	v_dual_sub_nc_u32 v38, v55, v10 :: v_dual_sub_nc_u32 v47, v77, v8
	s_delay_alu instid0(VALU_DEP_4) | instskip(SKIP_3) | instid1(VALU_DEP_3)
	v_dual_cndmask_b32 v25, v27, v48 :: v_dual_add_nc_u32 v24, 6, v25
	v_sub_nc_u32_e32 v27, v82, v10
	v_cmp_eq_u32_e32 vcc_lo, 1, v22
	v_and_b32_e32 v33, 1, v33
	v_dual_lshlrev_b32 v25, 2, v25 :: v_dual_add_nc_u32 v27, v27, v6
	v_cndmask_b32_e32 v22, v24, v50, vcc_lo
	v_sub_nc_u32_e32 v24, v56, v8
	s_delay_alu instid0(VALU_DEP_4)
	v_cmp_eq_u32_e32 vcc_lo, 1, v33
	ds_store_b32 v25, v23
	v_dual_sub_nc_u32 v23, v83, v8 :: v_dual_add_nc_u32 v25, v37, v6
	v_dual_cndmask_b32 v22, v22, v49 :: v_dual_add_nc_u32 v33, v24, v27
	v_and_b32_e32 v37, 1, v46
	v_cmp_eq_u32_e32 vcc_lo, 1, v40
	s_delay_alu instid0(VALU_DEP_4) | instskip(NEXT) | instid1(VALU_DEP_4)
	v_add_nc_u32_e32 v46, v23, v25
	v_dual_sub_nc_u32 v33, v15, v33 :: v_dual_lshlrev_b32 v22, 2, v22
	s_delay_alu instid0(VALU_DEP_1)
	v_dual_sub_nc_u32 v46, v15, v46 :: v_dual_add_nc_u32 v33, 7, v33
	v_add_nc_u32_e32 v38, v38, v6
	ds_store_b32 v22, v20
	v_dual_cndmask_b32 v27, v33, v27, vcc_lo :: v_dual_bitop2_b32 v22, 1, v45 bitop3:0x40
	v_cmp_eq_u32_e32 vcc_lo, 1, v37
	v_add_nc_u32_e32 v33, v47, v38
	s_delay_alu instid0(VALU_DEP_3) | instskip(SKIP_2) | instid1(VALU_DEP_3)
	v_dual_add_nc_u32 v40, 8, v46 :: v_dual_cndmask_b32 v24, v27, v24, vcc_lo
	v_and_b32_e32 v27, 1, v41
	v_cmp_eq_u32_e32 vcc_lo, 1, v32
	v_dual_sub_nc_u32 v33, v15, v33 :: v_dual_lshlrev_b32 v24, 2, v24
	s_delay_alu instid0(VALU_DEP_4) | instskip(NEXT) | instid1(VALU_DEP_4)
	v_cndmask_b32_e32 v25, v40, v25, vcc_lo
	v_cmp_eq_u32_e32 vcc_lo, 1, v27
	s_delay_alu instid0(VALU_DEP_3) | instskip(NEXT) | instid1(VALU_DEP_3)
	v_dual_add_nc_u32 v32, 9, v33 :: v_dual_bitop2_b32 v27, 1, v30 bitop3:0x40
	v_dual_cndmask_b32 v23, v25, v23 :: v_dual_sub_nc_u32 v30, v36, v8
	v_sub_nc_u32_e32 v25, v28, v10
	v_cmp_eq_u32_e32 vcc_lo, 1, v31
	s_delay_alu instid0(VALU_DEP_2)
	v_dual_lshlrev_b32 v23, 2, v23 :: v_dual_add_nc_u32 v25, v25, v6
	v_cndmask_b32_e32 v28, v32, v38, vcc_lo
	v_cmp_eq_u32_e32 vcc_lo, 1, v27
	ds_store_b32 v24, v21
	ds_store_b32 v23, v18
	v_sub_nc_u32_e32 v21, v58, v10
	v_dual_add_nc_u32 v20, v30, v25 :: v_dual_sub_nc_u32 v23, v51, v8
	v_dual_cndmask_b32 v27, v28, v47 :: v_dual_sub_nc_u32 v8, v26, v8
	s_delay_alu instid0(VALU_DEP_2) | instskip(NEXT) | instid1(VALU_DEP_2)
	v_dual_add_nc_u32 v1, v1, v6 :: v_dual_sub_nc_u32 v20, v15, v20
	v_dual_add_nc_u32 v21, v21, v6 :: v_dual_lshlrev_b32 v18, 2, v27
	v_cmp_eq_u32_e32 vcc_lo, 1, v22
	s_delay_alu instid0(VALU_DEP_3) | instskip(SKIP_3) | instid1(VALU_DEP_1)
	v_dual_add_nc_u32 v22, v8, v1 :: v_dual_add_nc_u32 v20, 10, v20
	ds_store_b32 v18, v19
	v_cndmask_b32_e32 v20, v20, v25, vcc_lo
	v_add_nc_u32_e32 v26, v23, v21
	v_dual_sub_nc_u32 v18, v15, v26 :: v_dual_bitop2_b32 v24, 1, v29 bitop3:0x40
	s_delay_alu instid0(VALU_DEP_1) | instskip(SKIP_1) | instid1(VALU_DEP_3)
	v_cmp_eq_u32_e32 vcc_lo, 1, v24
	v_dual_sub_nc_u32 v15, v15, v22 :: v_dual_bitop2_b32 v24, 1, v39 bitop3:0x40
	v_dual_add_nc_u32 v25, 11, v18 :: v_dual_bitop2_b32 v22, 1, v44 bitop3:0x40
	v_cndmask_b32_e32 v20, v20, v30, vcc_lo
	s_delay_alu instid0(VALU_DEP_3) | instskip(SKIP_4) | instid1(VALU_DEP_4)
	v_cmp_eq_u32_e32 vcc_lo, 1, v24
	v_and_b32_e32 v26, 1, v43
	v_dual_add_nc_u32 v15, 12, v15 :: v_dual_bitop2_b32 v24, 1, v42 bitop3:0x40
	v_add_nc_u64_e32 v[18:19], v[12:13], v[66:67]
	v_cndmask_b32_e32 v21, v25, v21, vcc_lo
	v_cmp_eq_u32_e32 vcc_lo, 1, v26
	s_delay_alu instid0(VALU_DEP_4)
	v_dual_cndmask_b32 v1, v15, v1 :: v_dual_lshlrev_b32 v20, 2, v20
	v_cmp_eq_u32_e32 vcc_lo, 1, v22
	v_add_nc_u64_e32 v[18:19], v[18:19], v[52:53]
	v_mov_b32_e32 v15, v9
	ds_store_b32 v20, v16
	v_cndmask_b32_e32 v21, v21, v23, vcc_lo
	v_cmp_eq_u32_e32 vcc_lo, 1, v24
	s_delay_alu instid0(VALU_DEP_2)
	v_dual_cndmask_b32 v1, v1, v8 :: v_dual_lshlrev_b32 v22, 2, v21
	v_add_nc_u64_e32 v[8:9], s[34:35], v[14:15]
	v_add_nc_u64_e32 v[14:15], v[18:19], v[2:3]
	v_lshlrev_b64_e32 v[18:19], 2, v[52:53]
	v_lshlrev_b64_e32 v[20:21], 2, v[2:3]
	v_lshlrev_b32_e32 v1, 2, v1
	v_cmp_ne_u32_e32 vcc_lo, 1, v35
	v_sub_nc_u64_e32 v[14:15], v[8:9], v[14:15]
	v_add_nc_u64_e32 v[8:9], s[30:31], v[18:19]
	v_add_nc_u32_e32 v18, v6, v12
	ds_store_b32 v22, v17
	ds_store_b32 v1, v34
	v_add_nc_u64_e32 v[16:17], s[28:29], v[20:21]
	s_wait_dscnt 0x0
	s_barrier_signal -1
	s_barrier_wait -1
	s_cbranch_vccz .LBB1072_154
; %bb.151:
	s_and_b32 vcc_lo, exec_lo, s0
	s_cbranch_vccnz .LBB1072_259
.LBB1072_152:
	s_and_b32 s0, s2, s26
	s_delay_alu instid0(SALU_CYCLE_1)
	s_and_saveexec_b32 s1, s0
	s_cbranch_execnz .LBB1072_377
.LBB1072_153:
	s_sendmsg sendmsg(MSG_DEALLOC_VGPRS)
	s_endpgm
.LBB1072_154:
	s_mov_b32 s0, exec_lo
	v_cmpx_ge_u32_e64 v0, v6
	s_xor_b32 s0, exec_lo, s0
	s_cbranch_execz .LBB1072_160
; %bb.155:
	v_mov_b32_e32 v1, 0
	s_mov_b32 s1, exec_lo
	v_cmpx_ge_u32_e64 v0, v18
	s_xor_b32 s1, exec_lo, s1
	s_cbranch_execz .LBB1072_157
; %bb.156:
	v_lshlrev_b32_e32 v19, 2, v0
	v_add_nc_u64_e32 v[20:21], v[14:15], v[0:1]
	ds_load_b32 v1, v19
	v_lshlrev_b64_e32 v[20:21], 2, v[20:21]
	s_delay_alu instid0(VALU_DEP_1)
	v_sub_nc_u64_e32 v[20:21], s[14:15], v[20:21]
	s_wait_dscnt 0x0
	global_store_b32 v[20:21], v1, off offset:-4
.LBB1072_157:
	s_wait_xcnt 0x0
	s_and_not1_saveexec_b32 s1, s1
	s_cbranch_execz .LBB1072_159
; %bb.158:
	v_lshlrev_b32_e32 v1, 2, v0
	v_readfirstlane_b32 s6, v8
	v_readfirstlane_b32 s7, v9
	ds_load_b32 v1, v1
	s_wait_dscnt 0x0
	global_store_b32 v0, v1, s[6:7] scale_offset
.LBB1072_159:
	s_wait_xcnt 0x0
	s_or_b32 exec_lo, exec_lo, s1
.LBB1072_160:
	s_and_not1_saveexec_b32 s0, s0
	s_cbranch_execz .LBB1072_162
; %bb.161:
	v_lshlrev_b32_e32 v1, 2, v0
	v_readfirstlane_b32 s6, v16
	v_readfirstlane_b32 s7, v17
	ds_load_b32 v1, v1
	s_wait_dscnt 0x0
	global_store_b32 v0, v1, s[6:7] scale_offset
.LBB1072_162:
	s_wait_xcnt 0x0
	s_or_b32 exec_lo, exec_lo, s0
	v_or_b32_e32 v1, 0x100, v0
	s_mov_b32 s0, exec_lo
	s_delay_alu instid0(VALU_DEP_1)
	v_cmpx_ge_u32_e64 v1, v6
	s_xor_b32 s0, exec_lo, s0
	s_cbranch_execz .LBB1072_168
; %bb.163:
	s_mov_b32 s1, exec_lo
	v_cmpx_ge_u32_e64 v1, v18
	s_xor_b32 s1, exec_lo, s1
	s_cbranch_execz .LBB1072_165
; %bb.164:
	v_dual_mov_b32 v1, 0 :: v_dual_lshlrev_b32 v19, 2, v0
	s_delay_alu instid0(VALU_DEP_1) | instskip(SKIP_2) | instid1(VALU_DEP_1)
	v_add_nc_u64_e32 v[20:21], v[14:15], v[0:1]
	ds_load_b32 v1, v19 offset:1024
	v_lshlrev_b64_e32 v[20:21], 2, v[20:21]
	v_sub_nc_u64_e32 v[20:21], s[14:15], v[20:21]
	s_wait_dscnt 0x0
	global_store_b32 v[20:21], v1, off offset:-1028
.LBB1072_165:
	s_wait_xcnt 0x0
	s_and_not1_saveexec_b32 s1, s1
	s_cbranch_execz .LBB1072_167
; %bb.166:
	v_lshlrev_b32_e32 v1, 2, v0
	v_readfirstlane_b32 s6, v8
	v_readfirstlane_b32 s7, v9
	ds_load_b32 v1, v1 offset:1024
	s_wait_dscnt 0x0
	global_store_b32 v0, v1, s[6:7] offset:1024 scale_offset
.LBB1072_167:
	s_wait_xcnt 0x0
	s_or_b32 exec_lo, exec_lo, s1
.LBB1072_168:
	s_and_not1_saveexec_b32 s0, s0
	s_cbranch_execz .LBB1072_170
; %bb.169:
	v_lshlrev_b32_e32 v1, 2, v0
	v_readfirstlane_b32 s6, v16
	v_readfirstlane_b32 s7, v17
	ds_load_b32 v1, v1 offset:1024
	s_wait_dscnt 0x0
	global_store_b32 v0, v1, s[6:7] offset:1024 scale_offset
.LBB1072_170:
	s_wait_xcnt 0x0
	s_or_b32 exec_lo, exec_lo, s0
	v_or_b32_e32 v1, 0x200, v0
	s_mov_b32 s0, exec_lo
	s_delay_alu instid0(VALU_DEP_1)
	v_cmpx_ge_u32_e64 v1, v6
	s_xor_b32 s0, exec_lo, s0
	s_cbranch_execz .LBB1072_176
; %bb.171:
	s_mov_b32 s1, exec_lo
	v_cmpx_ge_u32_e64 v1, v18
	s_xor_b32 s1, exec_lo, s1
	s_cbranch_execz .LBB1072_173
; %bb.172:
	v_dual_mov_b32 v1, 0 :: v_dual_lshlrev_b32 v19, 2, v0
	s_delay_alu instid0(VALU_DEP_1) | instskip(SKIP_2) | instid1(VALU_DEP_1)
	v_add_nc_u64_e32 v[20:21], v[14:15], v[0:1]
	ds_load_b32 v1, v19 offset:2048
	v_lshlrev_b64_e32 v[20:21], 2, v[20:21]
	v_sub_nc_u64_e32 v[20:21], s[14:15], v[20:21]
	s_wait_dscnt 0x0
	global_store_b32 v[20:21], v1, off offset:-2052
.LBB1072_173:
	s_wait_xcnt 0x0
	s_and_not1_saveexec_b32 s1, s1
	s_cbranch_execz .LBB1072_175
; %bb.174:
	v_lshlrev_b32_e32 v1, 2, v0
	v_readfirstlane_b32 s6, v8
	v_readfirstlane_b32 s7, v9
	ds_load_b32 v1, v1 offset:2048
	s_wait_dscnt 0x0
	global_store_b32 v0, v1, s[6:7] offset:2048 scale_offset
.LBB1072_175:
	s_wait_xcnt 0x0
	s_or_b32 exec_lo, exec_lo, s1
.LBB1072_176:
	s_and_not1_saveexec_b32 s0, s0
	s_cbranch_execz .LBB1072_178
; %bb.177:
	v_lshlrev_b32_e32 v1, 2, v0
	v_readfirstlane_b32 s6, v16
	v_readfirstlane_b32 s7, v17
	ds_load_b32 v1, v1 offset:2048
	s_wait_dscnt 0x0
	global_store_b32 v0, v1, s[6:7] offset:2048 scale_offset
.LBB1072_178:
	;; [unrolled: 47-line block ×12, first 2 shown]
	s_wait_xcnt 0x0
	s_or_b32 exec_lo, exec_lo, s0
	s_branch .LBB1072_152
.LBB1072_259:
	s_mov_b32 s0, exec_lo
	v_cmpx_gt_u32_e64 s5, v0
	s_cbranch_execz .LBB1072_268
; %bb.260:
	s_mov_b32 s1, exec_lo
	v_cmpx_ge_u32_e64 v0, v6
	s_xor_b32 s1, exec_lo, s1
	s_cbranch_execz .LBB1072_266
; %bb.261:
	v_mov_b32_e32 v1, 0
	s_mov_b32 s3, exec_lo
	v_cmpx_ge_u32_e64 v0, v18
	s_xor_b32 s3, exec_lo, s3
	s_cbranch_execz .LBB1072_263
; %bb.262:
	v_lshlrev_b32_e32 v19, 2, v0
	v_add_nc_u64_e32 v[20:21], v[14:15], v[0:1]
	ds_load_b32 v1, v19
	v_lshlrev_b64_e32 v[20:21], 2, v[20:21]
	s_delay_alu instid0(VALU_DEP_1)
	v_sub_nc_u64_e32 v[20:21], s[14:15], v[20:21]
	s_wait_dscnt 0x0
	global_store_b32 v[20:21], v1, off offset:-4
.LBB1072_263:
	s_wait_xcnt 0x0
	s_and_not1_saveexec_b32 s3, s3
	s_cbranch_execz .LBB1072_265
; %bb.264:
	v_lshlrev_b32_e32 v1, 2, v0
	v_readfirstlane_b32 s6, v8
	v_readfirstlane_b32 s7, v9
	ds_load_b32 v1, v1
	s_wait_dscnt 0x0
	global_store_b32 v0, v1, s[6:7] scale_offset
.LBB1072_265:
	s_wait_xcnt 0x0
	s_or_b32 exec_lo, exec_lo, s3
.LBB1072_266:
	s_and_not1_saveexec_b32 s1, s1
	s_cbranch_execz .LBB1072_268
; %bb.267:
	v_lshlrev_b32_e32 v1, 2, v0
	v_readfirstlane_b32 s6, v16
	v_readfirstlane_b32 s7, v17
	ds_load_b32 v1, v1
	s_wait_dscnt 0x0
	global_store_b32 v0, v1, s[6:7] scale_offset
.LBB1072_268:
	s_wait_xcnt 0x0
	s_or_b32 exec_lo, exec_lo, s0
	v_or_b32_e32 v1, 0x100, v0
	s_mov_b32 s0, exec_lo
	s_delay_alu instid0(VALU_DEP_1)
	v_cmpx_gt_u32_e64 s5, v1
	s_cbranch_execz .LBB1072_277
; %bb.269:
	s_mov_b32 s1, exec_lo
	v_cmpx_ge_u32_e64 v1, v6
	s_xor_b32 s1, exec_lo, s1
	s_cbranch_execz .LBB1072_275
; %bb.270:
	s_mov_b32 s3, exec_lo
	v_cmpx_ge_u32_e64 v1, v18
	s_xor_b32 s3, exec_lo, s3
	s_cbranch_execz .LBB1072_272
; %bb.271:
	v_dual_mov_b32 v1, 0 :: v_dual_lshlrev_b32 v19, 2, v0
	s_delay_alu instid0(VALU_DEP_1) | instskip(SKIP_2) | instid1(VALU_DEP_1)
	v_add_nc_u64_e32 v[20:21], v[14:15], v[0:1]
	ds_load_b32 v1, v19 offset:1024
	v_lshlrev_b64_e32 v[20:21], 2, v[20:21]
	v_sub_nc_u64_e32 v[20:21], s[14:15], v[20:21]
	s_wait_dscnt 0x0
	global_store_b32 v[20:21], v1, off offset:-1028
.LBB1072_272:
	s_wait_xcnt 0x0
	s_and_not1_saveexec_b32 s3, s3
	s_cbranch_execz .LBB1072_274
; %bb.273:
	v_lshlrev_b32_e32 v1, 2, v0
	v_readfirstlane_b32 s6, v8
	v_readfirstlane_b32 s7, v9
	ds_load_b32 v1, v1 offset:1024
	s_wait_dscnt 0x0
	global_store_b32 v0, v1, s[6:7] offset:1024 scale_offset
.LBB1072_274:
	s_wait_xcnt 0x0
	s_or_b32 exec_lo, exec_lo, s3
.LBB1072_275:
	s_and_not1_saveexec_b32 s1, s1
	s_cbranch_execz .LBB1072_277
; %bb.276:
	v_lshlrev_b32_e32 v1, 2, v0
	v_readfirstlane_b32 s6, v16
	v_readfirstlane_b32 s7, v17
	ds_load_b32 v1, v1 offset:1024
	s_wait_dscnt 0x0
	global_store_b32 v0, v1, s[6:7] offset:1024 scale_offset
.LBB1072_277:
	s_wait_xcnt 0x0
	s_or_b32 exec_lo, exec_lo, s0
	v_or_b32_e32 v1, 0x200, v0
	s_mov_b32 s0, exec_lo
	s_delay_alu instid0(VALU_DEP_1)
	v_cmpx_gt_u32_e64 s5, v1
	s_cbranch_execz .LBB1072_286
; %bb.278:
	s_mov_b32 s1, exec_lo
	v_cmpx_ge_u32_e64 v1, v6
	s_xor_b32 s1, exec_lo, s1
	s_cbranch_execz .LBB1072_284
; %bb.279:
	s_mov_b32 s3, exec_lo
	v_cmpx_ge_u32_e64 v1, v18
	s_xor_b32 s3, exec_lo, s3
	s_cbranch_execz .LBB1072_281
; %bb.280:
	v_dual_mov_b32 v1, 0 :: v_dual_lshlrev_b32 v19, 2, v0
	s_delay_alu instid0(VALU_DEP_1) | instskip(SKIP_2) | instid1(VALU_DEP_1)
	v_add_nc_u64_e32 v[20:21], v[14:15], v[0:1]
	ds_load_b32 v1, v19 offset:2048
	v_lshlrev_b64_e32 v[20:21], 2, v[20:21]
	v_sub_nc_u64_e32 v[20:21], s[14:15], v[20:21]
	s_wait_dscnt 0x0
	global_store_b32 v[20:21], v1, off offset:-2052
.LBB1072_281:
	s_wait_xcnt 0x0
	s_and_not1_saveexec_b32 s3, s3
	s_cbranch_execz .LBB1072_283
; %bb.282:
	v_lshlrev_b32_e32 v1, 2, v0
	v_readfirstlane_b32 s6, v8
	v_readfirstlane_b32 s7, v9
	ds_load_b32 v1, v1 offset:2048
	s_wait_dscnt 0x0
	global_store_b32 v0, v1, s[6:7] offset:2048 scale_offset
.LBB1072_283:
	s_wait_xcnt 0x0
	s_or_b32 exec_lo, exec_lo, s3
.LBB1072_284:
	s_and_not1_saveexec_b32 s1, s1
	s_cbranch_execz .LBB1072_286
; %bb.285:
	v_lshlrev_b32_e32 v1, 2, v0
	v_readfirstlane_b32 s6, v16
	v_readfirstlane_b32 s7, v17
	ds_load_b32 v1, v1 offset:2048
	s_wait_dscnt 0x0
	global_store_b32 v0, v1, s[6:7] offset:2048 scale_offset
.LBB1072_286:
	;; [unrolled: 51-line block ×11, first 2 shown]
	s_wait_xcnt 0x0
	s_or_b32 exec_lo, exec_lo, s0
	v_or_b32_e32 v1, 0xc00, v0
	s_mov_b32 s0, exec_lo
	s_delay_alu instid0(VALU_DEP_1)
	v_cmpx_gt_u32_e64 s5, v1
	s_cbranch_execz .LBB1072_376
; %bb.368:
	s_mov_b32 s1, exec_lo
	v_cmpx_ge_u32_e64 v1, v6
	s_xor_b32 s1, exec_lo, s1
	s_cbranch_execz .LBB1072_374
; %bb.369:
	s_mov_b32 s3, exec_lo
	v_cmpx_ge_u32_e64 v1, v18
	s_xor_b32 s3, exec_lo, s3
	s_cbranch_execz .LBB1072_371
; %bb.370:
	v_dual_mov_b32 v1, 0 :: v_dual_lshlrev_b32 v8, 2, v0
	s_delay_alu instid0(VALU_DEP_1) | instskip(SKIP_2) | instid1(VALU_DEP_1)
	v_add_nc_u64_e32 v[0:1], v[14:15], v[0:1]
	ds_load_b32 v8, v8 offset:12288
	v_lshlrev_b64_e32 v[0:1], 2, v[0:1]
	v_sub_nc_u64_e32 v[0:1], s[14:15], v[0:1]
	s_wait_dscnt 0x0
	global_store_b32 v[0:1], v8, off offset:-12292
                                        ; implicit-def: $vgpr0
                                        ; implicit-def: $vgpr8_vgpr9
.LBB1072_371:
	s_wait_xcnt 0x0
	s_and_not1_saveexec_b32 s3, s3
	s_cbranch_execz .LBB1072_373
; %bb.372:
	v_lshlrev_b32_e32 v1, 2, v0
	v_readfirstlane_b32 s4, v8
	v_readfirstlane_b32 s5, v9
	ds_load_b32 v1, v1 offset:12288
	s_wait_dscnt 0x0
	global_store_b32 v0, v1, s[4:5] offset:12288 scale_offset
.LBB1072_373:
	s_wait_xcnt 0x0
	s_or_b32 exec_lo, exec_lo, s3
                                        ; implicit-def: $vgpr0
                                        ; implicit-def: $vgpr16_vgpr17
.LBB1072_374:
	s_and_not1_saveexec_b32 s1, s1
	s_cbranch_execz .LBB1072_376
; %bb.375:
	v_lshlrev_b32_e32 v1, 2, v0
	v_readfirstlane_b32 s4, v16
	v_readfirstlane_b32 s5, v17
	ds_load_b32 v1, v1 offset:12288
	s_wait_dscnt 0x0
	global_store_b32 v0, v1, s[4:5] offset:12288 scale_offset
.LBB1072_376:
	s_wait_xcnt 0x0
	s_or_b32 exec_lo, exec_lo, s0
	s_and_b32 s0, s2, s26
	s_delay_alu instid0(SALU_CYCLE_1)
	s_and_saveexec_b32 s1, s0
	s_cbranch_execz .LBB1072_153
.LBB1072_377:
	v_add_nc_u64_e32 v[0:1], v[4:5], v[12:13]
	v_add_nc_u64_e32 v[2:3], v[2:3], v[6:7]
	s_delay_alu instid0(VALU_DEP_2)
	v_add_nc_u64_e32 v[4:5], v[0:1], v[10:11]
	v_mov_b32_e32 v0, 0
	global_store_b128 v0, v[2:5], s[24:25]
	s_sendmsg sendmsg(MSG_DEALLOC_VGPRS)
	s_endpgm
	.section	.rodata,"a",@progbits
	.p2align	6, 0x0
	.amdhsa_kernel _ZN7rocprim17ROCPRIM_400000_NS6detail17trampoline_kernelINS0_13select_configILj256ELj13ELNS0_17block_load_methodE3ELS4_3ELS4_3ELNS0_20block_scan_algorithmE0ELj4294967295EEENS1_25partition_config_selectorILNS1_17partition_subalgoE4EjNS0_10empty_typeEbEEZZNS1_14partition_implILS8_4ELb0ES6_15HIP_vector_typeIjLj2EENS0_17counting_iteratorIjlEEPS9_SG_NS0_5tupleIJPjSI_NS0_16reverse_iteratorISI_EEEEENSH_IJSG_SG_SG_EEES9_SI_JZNS1_25segmented_radix_sort_implINS0_14default_configELb1EPKdPdPKlPlN2at6native12_GLOBAL__N_18offset_tEEE10hipError_tPvRmT1_PNSt15iterator_traitsIS12_E10value_typeET2_T3_PNS13_IS18_E10value_typeET4_jRbjT5_S1E_jjP12ihipStream_tbEUljE_ZNSN_ISO_Lb1ESQ_SR_ST_SU_SY_EESZ_S10_S11_S12_S16_S17_S18_S1B_S1C_jS1D_jS1E_S1E_jjS1G_bEUljE0_EEESZ_S10_S11_S18_S1C_S1E_T6_T7_T9_mT8_S1G_bDpT10_ENKUlT_T0_E_clISt17integral_constantIbLb0EES1T_IbLb1EEEEDaS1P_S1Q_EUlS1P_E_NS1_11comp_targetILNS1_3genE0ELNS1_11target_archE4294967295ELNS1_3gpuE0ELNS1_3repE0EEENS1_30default_config_static_selectorELNS0_4arch9wavefront6targetE0EEEvS12_
		.amdhsa_group_segment_fixed_size 13328
		.amdhsa_private_segment_fixed_size 0
		.amdhsa_kernarg_size 184
		.amdhsa_user_sgpr_count 2
		.amdhsa_user_sgpr_dispatch_ptr 0
		.amdhsa_user_sgpr_queue_ptr 0
		.amdhsa_user_sgpr_kernarg_segment_ptr 1
		.amdhsa_user_sgpr_dispatch_id 0
		.amdhsa_user_sgpr_kernarg_preload_length 0
		.amdhsa_user_sgpr_kernarg_preload_offset 0
		.amdhsa_user_sgpr_private_segment_size 0
		.amdhsa_wavefront_size32 1
		.amdhsa_uses_dynamic_stack 0
		.amdhsa_enable_private_segment 0
		.amdhsa_system_sgpr_workgroup_id_x 1
		.amdhsa_system_sgpr_workgroup_id_y 0
		.amdhsa_system_sgpr_workgroup_id_z 0
		.amdhsa_system_sgpr_workgroup_info 0
		.amdhsa_system_vgpr_workitem_id 0
		.amdhsa_next_free_vgpr 86
		.amdhsa_next_free_sgpr 55
		.amdhsa_named_barrier_count 0
		.amdhsa_reserve_vcc 1
		.amdhsa_float_round_mode_32 0
		.amdhsa_float_round_mode_16_64 0
		.amdhsa_float_denorm_mode_32 3
		.amdhsa_float_denorm_mode_16_64 3
		.amdhsa_fp16_overflow 0
		.amdhsa_memory_ordered 1
		.amdhsa_forward_progress 1
		.amdhsa_inst_pref_size 140
		.amdhsa_round_robin_scheduling 0
		.amdhsa_exception_fp_ieee_invalid_op 0
		.amdhsa_exception_fp_denorm_src 0
		.amdhsa_exception_fp_ieee_div_zero 0
		.amdhsa_exception_fp_ieee_overflow 0
		.amdhsa_exception_fp_ieee_underflow 0
		.amdhsa_exception_fp_ieee_inexact 0
		.amdhsa_exception_int_div_zero 0
	.end_amdhsa_kernel
	.section	.text._ZN7rocprim17ROCPRIM_400000_NS6detail17trampoline_kernelINS0_13select_configILj256ELj13ELNS0_17block_load_methodE3ELS4_3ELS4_3ELNS0_20block_scan_algorithmE0ELj4294967295EEENS1_25partition_config_selectorILNS1_17partition_subalgoE4EjNS0_10empty_typeEbEEZZNS1_14partition_implILS8_4ELb0ES6_15HIP_vector_typeIjLj2EENS0_17counting_iteratorIjlEEPS9_SG_NS0_5tupleIJPjSI_NS0_16reverse_iteratorISI_EEEEENSH_IJSG_SG_SG_EEES9_SI_JZNS1_25segmented_radix_sort_implINS0_14default_configELb1EPKdPdPKlPlN2at6native12_GLOBAL__N_18offset_tEEE10hipError_tPvRmT1_PNSt15iterator_traitsIS12_E10value_typeET2_T3_PNS13_IS18_E10value_typeET4_jRbjT5_S1E_jjP12ihipStream_tbEUljE_ZNSN_ISO_Lb1ESQ_SR_ST_SU_SY_EESZ_S10_S11_S12_S16_S17_S18_S1B_S1C_jS1D_jS1E_S1E_jjS1G_bEUljE0_EEESZ_S10_S11_S18_S1C_S1E_T6_T7_T9_mT8_S1G_bDpT10_ENKUlT_T0_E_clISt17integral_constantIbLb0EES1T_IbLb1EEEEDaS1P_S1Q_EUlS1P_E_NS1_11comp_targetILNS1_3genE0ELNS1_11target_archE4294967295ELNS1_3gpuE0ELNS1_3repE0EEENS1_30default_config_static_selectorELNS0_4arch9wavefront6targetE0EEEvS12_,"axG",@progbits,_ZN7rocprim17ROCPRIM_400000_NS6detail17trampoline_kernelINS0_13select_configILj256ELj13ELNS0_17block_load_methodE3ELS4_3ELS4_3ELNS0_20block_scan_algorithmE0ELj4294967295EEENS1_25partition_config_selectorILNS1_17partition_subalgoE4EjNS0_10empty_typeEbEEZZNS1_14partition_implILS8_4ELb0ES6_15HIP_vector_typeIjLj2EENS0_17counting_iteratorIjlEEPS9_SG_NS0_5tupleIJPjSI_NS0_16reverse_iteratorISI_EEEEENSH_IJSG_SG_SG_EEES9_SI_JZNS1_25segmented_radix_sort_implINS0_14default_configELb1EPKdPdPKlPlN2at6native12_GLOBAL__N_18offset_tEEE10hipError_tPvRmT1_PNSt15iterator_traitsIS12_E10value_typeET2_T3_PNS13_IS18_E10value_typeET4_jRbjT5_S1E_jjP12ihipStream_tbEUljE_ZNSN_ISO_Lb1ESQ_SR_ST_SU_SY_EESZ_S10_S11_S12_S16_S17_S18_S1B_S1C_jS1D_jS1E_S1E_jjS1G_bEUljE0_EEESZ_S10_S11_S18_S1C_S1E_T6_T7_T9_mT8_S1G_bDpT10_ENKUlT_T0_E_clISt17integral_constantIbLb0EES1T_IbLb1EEEEDaS1P_S1Q_EUlS1P_E_NS1_11comp_targetILNS1_3genE0ELNS1_11target_archE4294967295ELNS1_3gpuE0ELNS1_3repE0EEENS1_30default_config_static_selectorELNS0_4arch9wavefront6targetE0EEEvS12_,comdat
.Lfunc_end1072:
	.size	_ZN7rocprim17ROCPRIM_400000_NS6detail17trampoline_kernelINS0_13select_configILj256ELj13ELNS0_17block_load_methodE3ELS4_3ELS4_3ELNS0_20block_scan_algorithmE0ELj4294967295EEENS1_25partition_config_selectorILNS1_17partition_subalgoE4EjNS0_10empty_typeEbEEZZNS1_14partition_implILS8_4ELb0ES6_15HIP_vector_typeIjLj2EENS0_17counting_iteratorIjlEEPS9_SG_NS0_5tupleIJPjSI_NS0_16reverse_iteratorISI_EEEEENSH_IJSG_SG_SG_EEES9_SI_JZNS1_25segmented_radix_sort_implINS0_14default_configELb1EPKdPdPKlPlN2at6native12_GLOBAL__N_18offset_tEEE10hipError_tPvRmT1_PNSt15iterator_traitsIS12_E10value_typeET2_T3_PNS13_IS18_E10value_typeET4_jRbjT5_S1E_jjP12ihipStream_tbEUljE_ZNSN_ISO_Lb1ESQ_SR_ST_SU_SY_EESZ_S10_S11_S12_S16_S17_S18_S1B_S1C_jS1D_jS1E_S1E_jjS1G_bEUljE0_EEESZ_S10_S11_S18_S1C_S1E_T6_T7_T9_mT8_S1G_bDpT10_ENKUlT_T0_E_clISt17integral_constantIbLb0EES1T_IbLb1EEEEDaS1P_S1Q_EUlS1P_E_NS1_11comp_targetILNS1_3genE0ELNS1_11target_archE4294967295ELNS1_3gpuE0ELNS1_3repE0EEENS1_30default_config_static_selectorELNS0_4arch9wavefront6targetE0EEEvS12_, .Lfunc_end1072-_ZN7rocprim17ROCPRIM_400000_NS6detail17trampoline_kernelINS0_13select_configILj256ELj13ELNS0_17block_load_methodE3ELS4_3ELS4_3ELNS0_20block_scan_algorithmE0ELj4294967295EEENS1_25partition_config_selectorILNS1_17partition_subalgoE4EjNS0_10empty_typeEbEEZZNS1_14partition_implILS8_4ELb0ES6_15HIP_vector_typeIjLj2EENS0_17counting_iteratorIjlEEPS9_SG_NS0_5tupleIJPjSI_NS0_16reverse_iteratorISI_EEEEENSH_IJSG_SG_SG_EEES9_SI_JZNS1_25segmented_radix_sort_implINS0_14default_configELb1EPKdPdPKlPlN2at6native12_GLOBAL__N_18offset_tEEE10hipError_tPvRmT1_PNSt15iterator_traitsIS12_E10value_typeET2_T3_PNS13_IS18_E10value_typeET4_jRbjT5_S1E_jjP12ihipStream_tbEUljE_ZNSN_ISO_Lb1ESQ_SR_ST_SU_SY_EESZ_S10_S11_S12_S16_S17_S18_S1B_S1C_jS1D_jS1E_S1E_jjS1G_bEUljE0_EEESZ_S10_S11_S18_S1C_S1E_T6_T7_T9_mT8_S1G_bDpT10_ENKUlT_T0_E_clISt17integral_constantIbLb0EES1T_IbLb1EEEEDaS1P_S1Q_EUlS1P_E_NS1_11comp_targetILNS1_3genE0ELNS1_11target_archE4294967295ELNS1_3gpuE0ELNS1_3repE0EEENS1_30default_config_static_selectorELNS0_4arch9wavefront6targetE0EEEvS12_
                                        ; -- End function
	.set _ZN7rocprim17ROCPRIM_400000_NS6detail17trampoline_kernelINS0_13select_configILj256ELj13ELNS0_17block_load_methodE3ELS4_3ELS4_3ELNS0_20block_scan_algorithmE0ELj4294967295EEENS1_25partition_config_selectorILNS1_17partition_subalgoE4EjNS0_10empty_typeEbEEZZNS1_14partition_implILS8_4ELb0ES6_15HIP_vector_typeIjLj2EENS0_17counting_iteratorIjlEEPS9_SG_NS0_5tupleIJPjSI_NS0_16reverse_iteratorISI_EEEEENSH_IJSG_SG_SG_EEES9_SI_JZNS1_25segmented_radix_sort_implINS0_14default_configELb1EPKdPdPKlPlN2at6native12_GLOBAL__N_18offset_tEEE10hipError_tPvRmT1_PNSt15iterator_traitsIS12_E10value_typeET2_T3_PNS13_IS18_E10value_typeET4_jRbjT5_S1E_jjP12ihipStream_tbEUljE_ZNSN_ISO_Lb1ESQ_SR_ST_SU_SY_EESZ_S10_S11_S12_S16_S17_S18_S1B_S1C_jS1D_jS1E_S1E_jjS1G_bEUljE0_EEESZ_S10_S11_S18_S1C_S1E_T6_T7_T9_mT8_S1G_bDpT10_ENKUlT_T0_E_clISt17integral_constantIbLb0EES1T_IbLb1EEEEDaS1P_S1Q_EUlS1P_E_NS1_11comp_targetILNS1_3genE0ELNS1_11target_archE4294967295ELNS1_3gpuE0ELNS1_3repE0EEENS1_30default_config_static_selectorELNS0_4arch9wavefront6targetE0EEEvS12_.num_vgpr, 86
	.set _ZN7rocprim17ROCPRIM_400000_NS6detail17trampoline_kernelINS0_13select_configILj256ELj13ELNS0_17block_load_methodE3ELS4_3ELS4_3ELNS0_20block_scan_algorithmE0ELj4294967295EEENS1_25partition_config_selectorILNS1_17partition_subalgoE4EjNS0_10empty_typeEbEEZZNS1_14partition_implILS8_4ELb0ES6_15HIP_vector_typeIjLj2EENS0_17counting_iteratorIjlEEPS9_SG_NS0_5tupleIJPjSI_NS0_16reverse_iteratorISI_EEEEENSH_IJSG_SG_SG_EEES9_SI_JZNS1_25segmented_radix_sort_implINS0_14default_configELb1EPKdPdPKlPlN2at6native12_GLOBAL__N_18offset_tEEE10hipError_tPvRmT1_PNSt15iterator_traitsIS12_E10value_typeET2_T3_PNS13_IS18_E10value_typeET4_jRbjT5_S1E_jjP12ihipStream_tbEUljE_ZNSN_ISO_Lb1ESQ_SR_ST_SU_SY_EESZ_S10_S11_S12_S16_S17_S18_S1B_S1C_jS1D_jS1E_S1E_jjS1G_bEUljE0_EEESZ_S10_S11_S18_S1C_S1E_T6_T7_T9_mT8_S1G_bDpT10_ENKUlT_T0_E_clISt17integral_constantIbLb0EES1T_IbLb1EEEEDaS1P_S1Q_EUlS1P_E_NS1_11comp_targetILNS1_3genE0ELNS1_11target_archE4294967295ELNS1_3gpuE0ELNS1_3repE0EEENS1_30default_config_static_selectorELNS0_4arch9wavefront6targetE0EEEvS12_.num_agpr, 0
	.set _ZN7rocprim17ROCPRIM_400000_NS6detail17trampoline_kernelINS0_13select_configILj256ELj13ELNS0_17block_load_methodE3ELS4_3ELS4_3ELNS0_20block_scan_algorithmE0ELj4294967295EEENS1_25partition_config_selectorILNS1_17partition_subalgoE4EjNS0_10empty_typeEbEEZZNS1_14partition_implILS8_4ELb0ES6_15HIP_vector_typeIjLj2EENS0_17counting_iteratorIjlEEPS9_SG_NS0_5tupleIJPjSI_NS0_16reverse_iteratorISI_EEEEENSH_IJSG_SG_SG_EEES9_SI_JZNS1_25segmented_radix_sort_implINS0_14default_configELb1EPKdPdPKlPlN2at6native12_GLOBAL__N_18offset_tEEE10hipError_tPvRmT1_PNSt15iterator_traitsIS12_E10value_typeET2_T3_PNS13_IS18_E10value_typeET4_jRbjT5_S1E_jjP12ihipStream_tbEUljE_ZNSN_ISO_Lb1ESQ_SR_ST_SU_SY_EESZ_S10_S11_S12_S16_S17_S18_S1B_S1C_jS1D_jS1E_S1E_jjS1G_bEUljE0_EEESZ_S10_S11_S18_S1C_S1E_T6_T7_T9_mT8_S1G_bDpT10_ENKUlT_T0_E_clISt17integral_constantIbLb0EES1T_IbLb1EEEEDaS1P_S1Q_EUlS1P_E_NS1_11comp_targetILNS1_3genE0ELNS1_11target_archE4294967295ELNS1_3gpuE0ELNS1_3repE0EEENS1_30default_config_static_selectorELNS0_4arch9wavefront6targetE0EEEvS12_.numbered_sgpr, 55
	.set _ZN7rocprim17ROCPRIM_400000_NS6detail17trampoline_kernelINS0_13select_configILj256ELj13ELNS0_17block_load_methodE3ELS4_3ELS4_3ELNS0_20block_scan_algorithmE0ELj4294967295EEENS1_25partition_config_selectorILNS1_17partition_subalgoE4EjNS0_10empty_typeEbEEZZNS1_14partition_implILS8_4ELb0ES6_15HIP_vector_typeIjLj2EENS0_17counting_iteratorIjlEEPS9_SG_NS0_5tupleIJPjSI_NS0_16reverse_iteratorISI_EEEEENSH_IJSG_SG_SG_EEES9_SI_JZNS1_25segmented_radix_sort_implINS0_14default_configELb1EPKdPdPKlPlN2at6native12_GLOBAL__N_18offset_tEEE10hipError_tPvRmT1_PNSt15iterator_traitsIS12_E10value_typeET2_T3_PNS13_IS18_E10value_typeET4_jRbjT5_S1E_jjP12ihipStream_tbEUljE_ZNSN_ISO_Lb1ESQ_SR_ST_SU_SY_EESZ_S10_S11_S12_S16_S17_S18_S1B_S1C_jS1D_jS1E_S1E_jjS1G_bEUljE0_EEESZ_S10_S11_S18_S1C_S1E_T6_T7_T9_mT8_S1G_bDpT10_ENKUlT_T0_E_clISt17integral_constantIbLb0EES1T_IbLb1EEEEDaS1P_S1Q_EUlS1P_E_NS1_11comp_targetILNS1_3genE0ELNS1_11target_archE4294967295ELNS1_3gpuE0ELNS1_3repE0EEENS1_30default_config_static_selectorELNS0_4arch9wavefront6targetE0EEEvS12_.num_named_barrier, 0
	.set _ZN7rocprim17ROCPRIM_400000_NS6detail17trampoline_kernelINS0_13select_configILj256ELj13ELNS0_17block_load_methodE3ELS4_3ELS4_3ELNS0_20block_scan_algorithmE0ELj4294967295EEENS1_25partition_config_selectorILNS1_17partition_subalgoE4EjNS0_10empty_typeEbEEZZNS1_14partition_implILS8_4ELb0ES6_15HIP_vector_typeIjLj2EENS0_17counting_iteratorIjlEEPS9_SG_NS0_5tupleIJPjSI_NS0_16reverse_iteratorISI_EEEEENSH_IJSG_SG_SG_EEES9_SI_JZNS1_25segmented_radix_sort_implINS0_14default_configELb1EPKdPdPKlPlN2at6native12_GLOBAL__N_18offset_tEEE10hipError_tPvRmT1_PNSt15iterator_traitsIS12_E10value_typeET2_T3_PNS13_IS18_E10value_typeET4_jRbjT5_S1E_jjP12ihipStream_tbEUljE_ZNSN_ISO_Lb1ESQ_SR_ST_SU_SY_EESZ_S10_S11_S12_S16_S17_S18_S1B_S1C_jS1D_jS1E_S1E_jjS1G_bEUljE0_EEESZ_S10_S11_S18_S1C_S1E_T6_T7_T9_mT8_S1G_bDpT10_ENKUlT_T0_E_clISt17integral_constantIbLb0EES1T_IbLb1EEEEDaS1P_S1Q_EUlS1P_E_NS1_11comp_targetILNS1_3genE0ELNS1_11target_archE4294967295ELNS1_3gpuE0ELNS1_3repE0EEENS1_30default_config_static_selectorELNS0_4arch9wavefront6targetE0EEEvS12_.private_seg_size, 0
	.set _ZN7rocprim17ROCPRIM_400000_NS6detail17trampoline_kernelINS0_13select_configILj256ELj13ELNS0_17block_load_methodE3ELS4_3ELS4_3ELNS0_20block_scan_algorithmE0ELj4294967295EEENS1_25partition_config_selectorILNS1_17partition_subalgoE4EjNS0_10empty_typeEbEEZZNS1_14partition_implILS8_4ELb0ES6_15HIP_vector_typeIjLj2EENS0_17counting_iteratorIjlEEPS9_SG_NS0_5tupleIJPjSI_NS0_16reverse_iteratorISI_EEEEENSH_IJSG_SG_SG_EEES9_SI_JZNS1_25segmented_radix_sort_implINS0_14default_configELb1EPKdPdPKlPlN2at6native12_GLOBAL__N_18offset_tEEE10hipError_tPvRmT1_PNSt15iterator_traitsIS12_E10value_typeET2_T3_PNS13_IS18_E10value_typeET4_jRbjT5_S1E_jjP12ihipStream_tbEUljE_ZNSN_ISO_Lb1ESQ_SR_ST_SU_SY_EESZ_S10_S11_S12_S16_S17_S18_S1B_S1C_jS1D_jS1E_S1E_jjS1G_bEUljE0_EEESZ_S10_S11_S18_S1C_S1E_T6_T7_T9_mT8_S1G_bDpT10_ENKUlT_T0_E_clISt17integral_constantIbLb0EES1T_IbLb1EEEEDaS1P_S1Q_EUlS1P_E_NS1_11comp_targetILNS1_3genE0ELNS1_11target_archE4294967295ELNS1_3gpuE0ELNS1_3repE0EEENS1_30default_config_static_selectorELNS0_4arch9wavefront6targetE0EEEvS12_.uses_vcc, 1
	.set _ZN7rocprim17ROCPRIM_400000_NS6detail17trampoline_kernelINS0_13select_configILj256ELj13ELNS0_17block_load_methodE3ELS4_3ELS4_3ELNS0_20block_scan_algorithmE0ELj4294967295EEENS1_25partition_config_selectorILNS1_17partition_subalgoE4EjNS0_10empty_typeEbEEZZNS1_14partition_implILS8_4ELb0ES6_15HIP_vector_typeIjLj2EENS0_17counting_iteratorIjlEEPS9_SG_NS0_5tupleIJPjSI_NS0_16reverse_iteratorISI_EEEEENSH_IJSG_SG_SG_EEES9_SI_JZNS1_25segmented_radix_sort_implINS0_14default_configELb1EPKdPdPKlPlN2at6native12_GLOBAL__N_18offset_tEEE10hipError_tPvRmT1_PNSt15iterator_traitsIS12_E10value_typeET2_T3_PNS13_IS18_E10value_typeET4_jRbjT5_S1E_jjP12ihipStream_tbEUljE_ZNSN_ISO_Lb1ESQ_SR_ST_SU_SY_EESZ_S10_S11_S12_S16_S17_S18_S1B_S1C_jS1D_jS1E_S1E_jjS1G_bEUljE0_EEESZ_S10_S11_S18_S1C_S1E_T6_T7_T9_mT8_S1G_bDpT10_ENKUlT_T0_E_clISt17integral_constantIbLb0EES1T_IbLb1EEEEDaS1P_S1Q_EUlS1P_E_NS1_11comp_targetILNS1_3genE0ELNS1_11target_archE4294967295ELNS1_3gpuE0ELNS1_3repE0EEENS1_30default_config_static_selectorELNS0_4arch9wavefront6targetE0EEEvS12_.uses_flat_scratch, 0
	.set _ZN7rocprim17ROCPRIM_400000_NS6detail17trampoline_kernelINS0_13select_configILj256ELj13ELNS0_17block_load_methodE3ELS4_3ELS4_3ELNS0_20block_scan_algorithmE0ELj4294967295EEENS1_25partition_config_selectorILNS1_17partition_subalgoE4EjNS0_10empty_typeEbEEZZNS1_14partition_implILS8_4ELb0ES6_15HIP_vector_typeIjLj2EENS0_17counting_iteratorIjlEEPS9_SG_NS0_5tupleIJPjSI_NS0_16reverse_iteratorISI_EEEEENSH_IJSG_SG_SG_EEES9_SI_JZNS1_25segmented_radix_sort_implINS0_14default_configELb1EPKdPdPKlPlN2at6native12_GLOBAL__N_18offset_tEEE10hipError_tPvRmT1_PNSt15iterator_traitsIS12_E10value_typeET2_T3_PNS13_IS18_E10value_typeET4_jRbjT5_S1E_jjP12ihipStream_tbEUljE_ZNSN_ISO_Lb1ESQ_SR_ST_SU_SY_EESZ_S10_S11_S12_S16_S17_S18_S1B_S1C_jS1D_jS1E_S1E_jjS1G_bEUljE0_EEESZ_S10_S11_S18_S1C_S1E_T6_T7_T9_mT8_S1G_bDpT10_ENKUlT_T0_E_clISt17integral_constantIbLb0EES1T_IbLb1EEEEDaS1P_S1Q_EUlS1P_E_NS1_11comp_targetILNS1_3genE0ELNS1_11target_archE4294967295ELNS1_3gpuE0ELNS1_3repE0EEENS1_30default_config_static_selectorELNS0_4arch9wavefront6targetE0EEEvS12_.has_dyn_sized_stack, 0
	.set _ZN7rocprim17ROCPRIM_400000_NS6detail17trampoline_kernelINS0_13select_configILj256ELj13ELNS0_17block_load_methodE3ELS4_3ELS4_3ELNS0_20block_scan_algorithmE0ELj4294967295EEENS1_25partition_config_selectorILNS1_17partition_subalgoE4EjNS0_10empty_typeEbEEZZNS1_14partition_implILS8_4ELb0ES6_15HIP_vector_typeIjLj2EENS0_17counting_iteratorIjlEEPS9_SG_NS0_5tupleIJPjSI_NS0_16reverse_iteratorISI_EEEEENSH_IJSG_SG_SG_EEES9_SI_JZNS1_25segmented_radix_sort_implINS0_14default_configELb1EPKdPdPKlPlN2at6native12_GLOBAL__N_18offset_tEEE10hipError_tPvRmT1_PNSt15iterator_traitsIS12_E10value_typeET2_T3_PNS13_IS18_E10value_typeET4_jRbjT5_S1E_jjP12ihipStream_tbEUljE_ZNSN_ISO_Lb1ESQ_SR_ST_SU_SY_EESZ_S10_S11_S12_S16_S17_S18_S1B_S1C_jS1D_jS1E_S1E_jjS1G_bEUljE0_EEESZ_S10_S11_S18_S1C_S1E_T6_T7_T9_mT8_S1G_bDpT10_ENKUlT_T0_E_clISt17integral_constantIbLb0EES1T_IbLb1EEEEDaS1P_S1Q_EUlS1P_E_NS1_11comp_targetILNS1_3genE0ELNS1_11target_archE4294967295ELNS1_3gpuE0ELNS1_3repE0EEENS1_30default_config_static_selectorELNS0_4arch9wavefront6targetE0EEEvS12_.has_recursion, 0
	.set _ZN7rocprim17ROCPRIM_400000_NS6detail17trampoline_kernelINS0_13select_configILj256ELj13ELNS0_17block_load_methodE3ELS4_3ELS4_3ELNS0_20block_scan_algorithmE0ELj4294967295EEENS1_25partition_config_selectorILNS1_17partition_subalgoE4EjNS0_10empty_typeEbEEZZNS1_14partition_implILS8_4ELb0ES6_15HIP_vector_typeIjLj2EENS0_17counting_iteratorIjlEEPS9_SG_NS0_5tupleIJPjSI_NS0_16reverse_iteratorISI_EEEEENSH_IJSG_SG_SG_EEES9_SI_JZNS1_25segmented_radix_sort_implINS0_14default_configELb1EPKdPdPKlPlN2at6native12_GLOBAL__N_18offset_tEEE10hipError_tPvRmT1_PNSt15iterator_traitsIS12_E10value_typeET2_T3_PNS13_IS18_E10value_typeET4_jRbjT5_S1E_jjP12ihipStream_tbEUljE_ZNSN_ISO_Lb1ESQ_SR_ST_SU_SY_EESZ_S10_S11_S12_S16_S17_S18_S1B_S1C_jS1D_jS1E_S1E_jjS1G_bEUljE0_EEESZ_S10_S11_S18_S1C_S1E_T6_T7_T9_mT8_S1G_bDpT10_ENKUlT_T0_E_clISt17integral_constantIbLb0EES1T_IbLb1EEEEDaS1P_S1Q_EUlS1P_E_NS1_11comp_targetILNS1_3genE0ELNS1_11target_archE4294967295ELNS1_3gpuE0ELNS1_3repE0EEENS1_30default_config_static_selectorELNS0_4arch9wavefront6targetE0EEEvS12_.has_indirect_call, 0
	.section	.AMDGPU.csdata,"",@progbits
; Kernel info:
; codeLenInByte = 17828
; TotalNumSgprs: 57
; NumVgprs: 86
; ScratchSize: 0
; MemoryBound: 0
; FloatMode: 240
; IeeeMode: 1
; LDSByteSize: 13328 bytes/workgroup (compile time only)
; SGPRBlocks: 0
; VGPRBlocks: 5
; NumSGPRsForWavesPerEU: 57
; NumVGPRsForWavesPerEU: 86
; NamedBarCnt: 0
; Occupancy: 10
; WaveLimiterHint : 1
; COMPUTE_PGM_RSRC2:SCRATCH_EN: 0
; COMPUTE_PGM_RSRC2:USER_SGPR: 2
; COMPUTE_PGM_RSRC2:TRAP_HANDLER: 0
; COMPUTE_PGM_RSRC2:TGID_X_EN: 1
; COMPUTE_PGM_RSRC2:TGID_Y_EN: 0
; COMPUTE_PGM_RSRC2:TGID_Z_EN: 0
; COMPUTE_PGM_RSRC2:TIDIG_COMP_CNT: 0
	.section	.text._ZN7rocprim17ROCPRIM_400000_NS6detail17trampoline_kernelINS0_13select_configILj256ELj13ELNS0_17block_load_methodE3ELS4_3ELS4_3ELNS0_20block_scan_algorithmE0ELj4294967295EEENS1_25partition_config_selectorILNS1_17partition_subalgoE4EjNS0_10empty_typeEbEEZZNS1_14partition_implILS8_4ELb0ES6_15HIP_vector_typeIjLj2EENS0_17counting_iteratorIjlEEPS9_SG_NS0_5tupleIJPjSI_NS0_16reverse_iteratorISI_EEEEENSH_IJSG_SG_SG_EEES9_SI_JZNS1_25segmented_radix_sort_implINS0_14default_configELb1EPKdPdPKlPlN2at6native12_GLOBAL__N_18offset_tEEE10hipError_tPvRmT1_PNSt15iterator_traitsIS12_E10value_typeET2_T3_PNS13_IS18_E10value_typeET4_jRbjT5_S1E_jjP12ihipStream_tbEUljE_ZNSN_ISO_Lb1ESQ_SR_ST_SU_SY_EESZ_S10_S11_S12_S16_S17_S18_S1B_S1C_jS1D_jS1E_S1E_jjS1G_bEUljE0_EEESZ_S10_S11_S18_S1C_S1E_T6_T7_T9_mT8_S1G_bDpT10_ENKUlT_T0_E_clISt17integral_constantIbLb0EES1T_IbLb1EEEEDaS1P_S1Q_EUlS1P_E_NS1_11comp_targetILNS1_3genE5ELNS1_11target_archE942ELNS1_3gpuE9ELNS1_3repE0EEENS1_30default_config_static_selectorELNS0_4arch9wavefront6targetE0EEEvS12_,"axG",@progbits,_ZN7rocprim17ROCPRIM_400000_NS6detail17trampoline_kernelINS0_13select_configILj256ELj13ELNS0_17block_load_methodE3ELS4_3ELS4_3ELNS0_20block_scan_algorithmE0ELj4294967295EEENS1_25partition_config_selectorILNS1_17partition_subalgoE4EjNS0_10empty_typeEbEEZZNS1_14partition_implILS8_4ELb0ES6_15HIP_vector_typeIjLj2EENS0_17counting_iteratorIjlEEPS9_SG_NS0_5tupleIJPjSI_NS0_16reverse_iteratorISI_EEEEENSH_IJSG_SG_SG_EEES9_SI_JZNS1_25segmented_radix_sort_implINS0_14default_configELb1EPKdPdPKlPlN2at6native12_GLOBAL__N_18offset_tEEE10hipError_tPvRmT1_PNSt15iterator_traitsIS12_E10value_typeET2_T3_PNS13_IS18_E10value_typeET4_jRbjT5_S1E_jjP12ihipStream_tbEUljE_ZNSN_ISO_Lb1ESQ_SR_ST_SU_SY_EESZ_S10_S11_S12_S16_S17_S18_S1B_S1C_jS1D_jS1E_S1E_jjS1G_bEUljE0_EEESZ_S10_S11_S18_S1C_S1E_T6_T7_T9_mT8_S1G_bDpT10_ENKUlT_T0_E_clISt17integral_constantIbLb0EES1T_IbLb1EEEEDaS1P_S1Q_EUlS1P_E_NS1_11comp_targetILNS1_3genE5ELNS1_11target_archE942ELNS1_3gpuE9ELNS1_3repE0EEENS1_30default_config_static_selectorELNS0_4arch9wavefront6targetE0EEEvS12_,comdat
	.globl	_ZN7rocprim17ROCPRIM_400000_NS6detail17trampoline_kernelINS0_13select_configILj256ELj13ELNS0_17block_load_methodE3ELS4_3ELS4_3ELNS0_20block_scan_algorithmE0ELj4294967295EEENS1_25partition_config_selectorILNS1_17partition_subalgoE4EjNS0_10empty_typeEbEEZZNS1_14partition_implILS8_4ELb0ES6_15HIP_vector_typeIjLj2EENS0_17counting_iteratorIjlEEPS9_SG_NS0_5tupleIJPjSI_NS0_16reverse_iteratorISI_EEEEENSH_IJSG_SG_SG_EEES9_SI_JZNS1_25segmented_radix_sort_implINS0_14default_configELb1EPKdPdPKlPlN2at6native12_GLOBAL__N_18offset_tEEE10hipError_tPvRmT1_PNSt15iterator_traitsIS12_E10value_typeET2_T3_PNS13_IS18_E10value_typeET4_jRbjT5_S1E_jjP12ihipStream_tbEUljE_ZNSN_ISO_Lb1ESQ_SR_ST_SU_SY_EESZ_S10_S11_S12_S16_S17_S18_S1B_S1C_jS1D_jS1E_S1E_jjS1G_bEUljE0_EEESZ_S10_S11_S18_S1C_S1E_T6_T7_T9_mT8_S1G_bDpT10_ENKUlT_T0_E_clISt17integral_constantIbLb0EES1T_IbLb1EEEEDaS1P_S1Q_EUlS1P_E_NS1_11comp_targetILNS1_3genE5ELNS1_11target_archE942ELNS1_3gpuE9ELNS1_3repE0EEENS1_30default_config_static_selectorELNS0_4arch9wavefront6targetE0EEEvS12_ ; -- Begin function _ZN7rocprim17ROCPRIM_400000_NS6detail17trampoline_kernelINS0_13select_configILj256ELj13ELNS0_17block_load_methodE3ELS4_3ELS4_3ELNS0_20block_scan_algorithmE0ELj4294967295EEENS1_25partition_config_selectorILNS1_17partition_subalgoE4EjNS0_10empty_typeEbEEZZNS1_14partition_implILS8_4ELb0ES6_15HIP_vector_typeIjLj2EENS0_17counting_iteratorIjlEEPS9_SG_NS0_5tupleIJPjSI_NS0_16reverse_iteratorISI_EEEEENSH_IJSG_SG_SG_EEES9_SI_JZNS1_25segmented_radix_sort_implINS0_14default_configELb1EPKdPdPKlPlN2at6native12_GLOBAL__N_18offset_tEEE10hipError_tPvRmT1_PNSt15iterator_traitsIS12_E10value_typeET2_T3_PNS13_IS18_E10value_typeET4_jRbjT5_S1E_jjP12ihipStream_tbEUljE_ZNSN_ISO_Lb1ESQ_SR_ST_SU_SY_EESZ_S10_S11_S12_S16_S17_S18_S1B_S1C_jS1D_jS1E_S1E_jjS1G_bEUljE0_EEESZ_S10_S11_S18_S1C_S1E_T6_T7_T9_mT8_S1G_bDpT10_ENKUlT_T0_E_clISt17integral_constantIbLb0EES1T_IbLb1EEEEDaS1P_S1Q_EUlS1P_E_NS1_11comp_targetILNS1_3genE5ELNS1_11target_archE942ELNS1_3gpuE9ELNS1_3repE0EEENS1_30default_config_static_selectorELNS0_4arch9wavefront6targetE0EEEvS12_
	.p2align	8
	.type	_ZN7rocprim17ROCPRIM_400000_NS6detail17trampoline_kernelINS0_13select_configILj256ELj13ELNS0_17block_load_methodE3ELS4_3ELS4_3ELNS0_20block_scan_algorithmE0ELj4294967295EEENS1_25partition_config_selectorILNS1_17partition_subalgoE4EjNS0_10empty_typeEbEEZZNS1_14partition_implILS8_4ELb0ES6_15HIP_vector_typeIjLj2EENS0_17counting_iteratorIjlEEPS9_SG_NS0_5tupleIJPjSI_NS0_16reverse_iteratorISI_EEEEENSH_IJSG_SG_SG_EEES9_SI_JZNS1_25segmented_radix_sort_implINS0_14default_configELb1EPKdPdPKlPlN2at6native12_GLOBAL__N_18offset_tEEE10hipError_tPvRmT1_PNSt15iterator_traitsIS12_E10value_typeET2_T3_PNS13_IS18_E10value_typeET4_jRbjT5_S1E_jjP12ihipStream_tbEUljE_ZNSN_ISO_Lb1ESQ_SR_ST_SU_SY_EESZ_S10_S11_S12_S16_S17_S18_S1B_S1C_jS1D_jS1E_S1E_jjS1G_bEUljE0_EEESZ_S10_S11_S18_S1C_S1E_T6_T7_T9_mT8_S1G_bDpT10_ENKUlT_T0_E_clISt17integral_constantIbLb0EES1T_IbLb1EEEEDaS1P_S1Q_EUlS1P_E_NS1_11comp_targetILNS1_3genE5ELNS1_11target_archE942ELNS1_3gpuE9ELNS1_3repE0EEENS1_30default_config_static_selectorELNS0_4arch9wavefront6targetE0EEEvS12_,@function
_ZN7rocprim17ROCPRIM_400000_NS6detail17trampoline_kernelINS0_13select_configILj256ELj13ELNS0_17block_load_methodE3ELS4_3ELS4_3ELNS0_20block_scan_algorithmE0ELj4294967295EEENS1_25partition_config_selectorILNS1_17partition_subalgoE4EjNS0_10empty_typeEbEEZZNS1_14partition_implILS8_4ELb0ES6_15HIP_vector_typeIjLj2EENS0_17counting_iteratorIjlEEPS9_SG_NS0_5tupleIJPjSI_NS0_16reverse_iteratorISI_EEEEENSH_IJSG_SG_SG_EEES9_SI_JZNS1_25segmented_radix_sort_implINS0_14default_configELb1EPKdPdPKlPlN2at6native12_GLOBAL__N_18offset_tEEE10hipError_tPvRmT1_PNSt15iterator_traitsIS12_E10value_typeET2_T3_PNS13_IS18_E10value_typeET4_jRbjT5_S1E_jjP12ihipStream_tbEUljE_ZNSN_ISO_Lb1ESQ_SR_ST_SU_SY_EESZ_S10_S11_S12_S16_S17_S18_S1B_S1C_jS1D_jS1E_S1E_jjS1G_bEUljE0_EEESZ_S10_S11_S18_S1C_S1E_T6_T7_T9_mT8_S1G_bDpT10_ENKUlT_T0_E_clISt17integral_constantIbLb0EES1T_IbLb1EEEEDaS1P_S1Q_EUlS1P_E_NS1_11comp_targetILNS1_3genE5ELNS1_11target_archE942ELNS1_3gpuE9ELNS1_3repE0EEENS1_30default_config_static_selectorELNS0_4arch9wavefront6targetE0EEEvS12_: ; @_ZN7rocprim17ROCPRIM_400000_NS6detail17trampoline_kernelINS0_13select_configILj256ELj13ELNS0_17block_load_methodE3ELS4_3ELS4_3ELNS0_20block_scan_algorithmE0ELj4294967295EEENS1_25partition_config_selectorILNS1_17partition_subalgoE4EjNS0_10empty_typeEbEEZZNS1_14partition_implILS8_4ELb0ES6_15HIP_vector_typeIjLj2EENS0_17counting_iteratorIjlEEPS9_SG_NS0_5tupleIJPjSI_NS0_16reverse_iteratorISI_EEEEENSH_IJSG_SG_SG_EEES9_SI_JZNS1_25segmented_radix_sort_implINS0_14default_configELb1EPKdPdPKlPlN2at6native12_GLOBAL__N_18offset_tEEE10hipError_tPvRmT1_PNSt15iterator_traitsIS12_E10value_typeET2_T3_PNS13_IS18_E10value_typeET4_jRbjT5_S1E_jjP12ihipStream_tbEUljE_ZNSN_ISO_Lb1ESQ_SR_ST_SU_SY_EESZ_S10_S11_S12_S16_S17_S18_S1B_S1C_jS1D_jS1E_S1E_jjS1G_bEUljE0_EEESZ_S10_S11_S18_S1C_S1E_T6_T7_T9_mT8_S1G_bDpT10_ENKUlT_T0_E_clISt17integral_constantIbLb0EES1T_IbLb1EEEEDaS1P_S1Q_EUlS1P_E_NS1_11comp_targetILNS1_3genE5ELNS1_11target_archE942ELNS1_3gpuE9ELNS1_3repE0EEENS1_30default_config_static_selectorELNS0_4arch9wavefront6targetE0EEEvS12_
; %bb.0:
	.section	.rodata,"a",@progbits
	.p2align	6, 0x0
	.amdhsa_kernel _ZN7rocprim17ROCPRIM_400000_NS6detail17trampoline_kernelINS0_13select_configILj256ELj13ELNS0_17block_load_methodE3ELS4_3ELS4_3ELNS0_20block_scan_algorithmE0ELj4294967295EEENS1_25partition_config_selectorILNS1_17partition_subalgoE4EjNS0_10empty_typeEbEEZZNS1_14partition_implILS8_4ELb0ES6_15HIP_vector_typeIjLj2EENS0_17counting_iteratorIjlEEPS9_SG_NS0_5tupleIJPjSI_NS0_16reverse_iteratorISI_EEEEENSH_IJSG_SG_SG_EEES9_SI_JZNS1_25segmented_radix_sort_implINS0_14default_configELb1EPKdPdPKlPlN2at6native12_GLOBAL__N_18offset_tEEE10hipError_tPvRmT1_PNSt15iterator_traitsIS12_E10value_typeET2_T3_PNS13_IS18_E10value_typeET4_jRbjT5_S1E_jjP12ihipStream_tbEUljE_ZNSN_ISO_Lb1ESQ_SR_ST_SU_SY_EESZ_S10_S11_S12_S16_S17_S18_S1B_S1C_jS1D_jS1E_S1E_jjS1G_bEUljE0_EEESZ_S10_S11_S18_S1C_S1E_T6_T7_T9_mT8_S1G_bDpT10_ENKUlT_T0_E_clISt17integral_constantIbLb0EES1T_IbLb1EEEEDaS1P_S1Q_EUlS1P_E_NS1_11comp_targetILNS1_3genE5ELNS1_11target_archE942ELNS1_3gpuE9ELNS1_3repE0EEENS1_30default_config_static_selectorELNS0_4arch9wavefront6targetE0EEEvS12_
		.amdhsa_group_segment_fixed_size 0
		.amdhsa_private_segment_fixed_size 0
		.amdhsa_kernarg_size 184
		.amdhsa_user_sgpr_count 2
		.amdhsa_user_sgpr_dispatch_ptr 0
		.amdhsa_user_sgpr_queue_ptr 0
		.amdhsa_user_sgpr_kernarg_segment_ptr 1
		.amdhsa_user_sgpr_dispatch_id 0
		.amdhsa_user_sgpr_kernarg_preload_length 0
		.amdhsa_user_sgpr_kernarg_preload_offset 0
		.amdhsa_user_sgpr_private_segment_size 0
		.amdhsa_wavefront_size32 1
		.amdhsa_uses_dynamic_stack 0
		.amdhsa_enable_private_segment 0
		.amdhsa_system_sgpr_workgroup_id_x 1
		.amdhsa_system_sgpr_workgroup_id_y 0
		.amdhsa_system_sgpr_workgroup_id_z 0
		.amdhsa_system_sgpr_workgroup_info 0
		.amdhsa_system_vgpr_workitem_id 0
		.amdhsa_next_free_vgpr 1
		.amdhsa_next_free_sgpr 1
		.amdhsa_named_barrier_count 0
		.amdhsa_reserve_vcc 0
		.amdhsa_float_round_mode_32 0
		.amdhsa_float_round_mode_16_64 0
		.amdhsa_float_denorm_mode_32 3
		.amdhsa_float_denorm_mode_16_64 3
		.amdhsa_fp16_overflow 0
		.amdhsa_memory_ordered 1
		.amdhsa_forward_progress 1
		.amdhsa_inst_pref_size 0
		.amdhsa_round_robin_scheduling 0
		.amdhsa_exception_fp_ieee_invalid_op 0
		.amdhsa_exception_fp_denorm_src 0
		.amdhsa_exception_fp_ieee_div_zero 0
		.amdhsa_exception_fp_ieee_overflow 0
		.amdhsa_exception_fp_ieee_underflow 0
		.amdhsa_exception_fp_ieee_inexact 0
		.amdhsa_exception_int_div_zero 0
	.end_amdhsa_kernel
	.section	.text._ZN7rocprim17ROCPRIM_400000_NS6detail17trampoline_kernelINS0_13select_configILj256ELj13ELNS0_17block_load_methodE3ELS4_3ELS4_3ELNS0_20block_scan_algorithmE0ELj4294967295EEENS1_25partition_config_selectorILNS1_17partition_subalgoE4EjNS0_10empty_typeEbEEZZNS1_14partition_implILS8_4ELb0ES6_15HIP_vector_typeIjLj2EENS0_17counting_iteratorIjlEEPS9_SG_NS0_5tupleIJPjSI_NS0_16reverse_iteratorISI_EEEEENSH_IJSG_SG_SG_EEES9_SI_JZNS1_25segmented_radix_sort_implINS0_14default_configELb1EPKdPdPKlPlN2at6native12_GLOBAL__N_18offset_tEEE10hipError_tPvRmT1_PNSt15iterator_traitsIS12_E10value_typeET2_T3_PNS13_IS18_E10value_typeET4_jRbjT5_S1E_jjP12ihipStream_tbEUljE_ZNSN_ISO_Lb1ESQ_SR_ST_SU_SY_EESZ_S10_S11_S12_S16_S17_S18_S1B_S1C_jS1D_jS1E_S1E_jjS1G_bEUljE0_EEESZ_S10_S11_S18_S1C_S1E_T6_T7_T9_mT8_S1G_bDpT10_ENKUlT_T0_E_clISt17integral_constantIbLb0EES1T_IbLb1EEEEDaS1P_S1Q_EUlS1P_E_NS1_11comp_targetILNS1_3genE5ELNS1_11target_archE942ELNS1_3gpuE9ELNS1_3repE0EEENS1_30default_config_static_selectorELNS0_4arch9wavefront6targetE0EEEvS12_,"axG",@progbits,_ZN7rocprim17ROCPRIM_400000_NS6detail17trampoline_kernelINS0_13select_configILj256ELj13ELNS0_17block_load_methodE3ELS4_3ELS4_3ELNS0_20block_scan_algorithmE0ELj4294967295EEENS1_25partition_config_selectorILNS1_17partition_subalgoE4EjNS0_10empty_typeEbEEZZNS1_14partition_implILS8_4ELb0ES6_15HIP_vector_typeIjLj2EENS0_17counting_iteratorIjlEEPS9_SG_NS0_5tupleIJPjSI_NS0_16reverse_iteratorISI_EEEEENSH_IJSG_SG_SG_EEES9_SI_JZNS1_25segmented_radix_sort_implINS0_14default_configELb1EPKdPdPKlPlN2at6native12_GLOBAL__N_18offset_tEEE10hipError_tPvRmT1_PNSt15iterator_traitsIS12_E10value_typeET2_T3_PNS13_IS18_E10value_typeET4_jRbjT5_S1E_jjP12ihipStream_tbEUljE_ZNSN_ISO_Lb1ESQ_SR_ST_SU_SY_EESZ_S10_S11_S12_S16_S17_S18_S1B_S1C_jS1D_jS1E_S1E_jjS1G_bEUljE0_EEESZ_S10_S11_S18_S1C_S1E_T6_T7_T9_mT8_S1G_bDpT10_ENKUlT_T0_E_clISt17integral_constantIbLb0EES1T_IbLb1EEEEDaS1P_S1Q_EUlS1P_E_NS1_11comp_targetILNS1_3genE5ELNS1_11target_archE942ELNS1_3gpuE9ELNS1_3repE0EEENS1_30default_config_static_selectorELNS0_4arch9wavefront6targetE0EEEvS12_,comdat
.Lfunc_end1073:
	.size	_ZN7rocprim17ROCPRIM_400000_NS6detail17trampoline_kernelINS0_13select_configILj256ELj13ELNS0_17block_load_methodE3ELS4_3ELS4_3ELNS0_20block_scan_algorithmE0ELj4294967295EEENS1_25partition_config_selectorILNS1_17partition_subalgoE4EjNS0_10empty_typeEbEEZZNS1_14partition_implILS8_4ELb0ES6_15HIP_vector_typeIjLj2EENS0_17counting_iteratorIjlEEPS9_SG_NS0_5tupleIJPjSI_NS0_16reverse_iteratorISI_EEEEENSH_IJSG_SG_SG_EEES9_SI_JZNS1_25segmented_radix_sort_implINS0_14default_configELb1EPKdPdPKlPlN2at6native12_GLOBAL__N_18offset_tEEE10hipError_tPvRmT1_PNSt15iterator_traitsIS12_E10value_typeET2_T3_PNS13_IS18_E10value_typeET4_jRbjT5_S1E_jjP12ihipStream_tbEUljE_ZNSN_ISO_Lb1ESQ_SR_ST_SU_SY_EESZ_S10_S11_S12_S16_S17_S18_S1B_S1C_jS1D_jS1E_S1E_jjS1G_bEUljE0_EEESZ_S10_S11_S18_S1C_S1E_T6_T7_T9_mT8_S1G_bDpT10_ENKUlT_T0_E_clISt17integral_constantIbLb0EES1T_IbLb1EEEEDaS1P_S1Q_EUlS1P_E_NS1_11comp_targetILNS1_3genE5ELNS1_11target_archE942ELNS1_3gpuE9ELNS1_3repE0EEENS1_30default_config_static_selectorELNS0_4arch9wavefront6targetE0EEEvS12_, .Lfunc_end1073-_ZN7rocprim17ROCPRIM_400000_NS6detail17trampoline_kernelINS0_13select_configILj256ELj13ELNS0_17block_load_methodE3ELS4_3ELS4_3ELNS0_20block_scan_algorithmE0ELj4294967295EEENS1_25partition_config_selectorILNS1_17partition_subalgoE4EjNS0_10empty_typeEbEEZZNS1_14partition_implILS8_4ELb0ES6_15HIP_vector_typeIjLj2EENS0_17counting_iteratorIjlEEPS9_SG_NS0_5tupleIJPjSI_NS0_16reverse_iteratorISI_EEEEENSH_IJSG_SG_SG_EEES9_SI_JZNS1_25segmented_radix_sort_implINS0_14default_configELb1EPKdPdPKlPlN2at6native12_GLOBAL__N_18offset_tEEE10hipError_tPvRmT1_PNSt15iterator_traitsIS12_E10value_typeET2_T3_PNS13_IS18_E10value_typeET4_jRbjT5_S1E_jjP12ihipStream_tbEUljE_ZNSN_ISO_Lb1ESQ_SR_ST_SU_SY_EESZ_S10_S11_S12_S16_S17_S18_S1B_S1C_jS1D_jS1E_S1E_jjS1G_bEUljE0_EEESZ_S10_S11_S18_S1C_S1E_T6_T7_T9_mT8_S1G_bDpT10_ENKUlT_T0_E_clISt17integral_constantIbLb0EES1T_IbLb1EEEEDaS1P_S1Q_EUlS1P_E_NS1_11comp_targetILNS1_3genE5ELNS1_11target_archE942ELNS1_3gpuE9ELNS1_3repE0EEENS1_30default_config_static_selectorELNS0_4arch9wavefront6targetE0EEEvS12_
                                        ; -- End function
	.set _ZN7rocprim17ROCPRIM_400000_NS6detail17trampoline_kernelINS0_13select_configILj256ELj13ELNS0_17block_load_methodE3ELS4_3ELS4_3ELNS0_20block_scan_algorithmE0ELj4294967295EEENS1_25partition_config_selectorILNS1_17partition_subalgoE4EjNS0_10empty_typeEbEEZZNS1_14partition_implILS8_4ELb0ES6_15HIP_vector_typeIjLj2EENS0_17counting_iteratorIjlEEPS9_SG_NS0_5tupleIJPjSI_NS0_16reverse_iteratorISI_EEEEENSH_IJSG_SG_SG_EEES9_SI_JZNS1_25segmented_radix_sort_implINS0_14default_configELb1EPKdPdPKlPlN2at6native12_GLOBAL__N_18offset_tEEE10hipError_tPvRmT1_PNSt15iterator_traitsIS12_E10value_typeET2_T3_PNS13_IS18_E10value_typeET4_jRbjT5_S1E_jjP12ihipStream_tbEUljE_ZNSN_ISO_Lb1ESQ_SR_ST_SU_SY_EESZ_S10_S11_S12_S16_S17_S18_S1B_S1C_jS1D_jS1E_S1E_jjS1G_bEUljE0_EEESZ_S10_S11_S18_S1C_S1E_T6_T7_T9_mT8_S1G_bDpT10_ENKUlT_T0_E_clISt17integral_constantIbLb0EES1T_IbLb1EEEEDaS1P_S1Q_EUlS1P_E_NS1_11comp_targetILNS1_3genE5ELNS1_11target_archE942ELNS1_3gpuE9ELNS1_3repE0EEENS1_30default_config_static_selectorELNS0_4arch9wavefront6targetE0EEEvS12_.num_vgpr, 0
	.set _ZN7rocprim17ROCPRIM_400000_NS6detail17trampoline_kernelINS0_13select_configILj256ELj13ELNS0_17block_load_methodE3ELS4_3ELS4_3ELNS0_20block_scan_algorithmE0ELj4294967295EEENS1_25partition_config_selectorILNS1_17partition_subalgoE4EjNS0_10empty_typeEbEEZZNS1_14partition_implILS8_4ELb0ES6_15HIP_vector_typeIjLj2EENS0_17counting_iteratorIjlEEPS9_SG_NS0_5tupleIJPjSI_NS0_16reverse_iteratorISI_EEEEENSH_IJSG_SG_SG_EEES9_SI_JZNS1_25segmented_radix_sort_implINS0_14default_configELb1EPKdPdPKlPlN2at6native12_GLOBAL__N_18offset_tEEE10hipError_tPvRmT1_PNSt15iterator_traitsIS12_E10value_typeET2_T3_PNS13_IS18_E10value_typeET4_jRbjT5_S1E_jjP12ihipStream_tbEUljE_ZNSN_ISO_Lb1ESQ_SR_ST_SU_SY_EESZ_S10_S11_S12_S16_S17_S18_S1B_S1C_jS1D_jS1E_S1E_jjS1G_bEUljE0_EEESZ_S10_S11_S18_S1C_S1E_T6_T7_T9_mT8_S1G_bDpT10_ENKUlT_T0_E_clISt17integral_constantIbLb0EES1T_IbLb1EEEEDaS1P_S1Q_EUlS1P_E_NS1_11comp_targetILNS1_3genE5ELNS1_11target_archE942ELNS1_3gpuE9ELNS1_3repE0EEENS1_30default_config_static_selectorELNS0_4arch9wavefront6targetE0EEEvS12_.num_agpr, 0
	.set _ZN7rocprim17ROCPRIM_400000_NS6detail17trampoline_kernelINS0_13select_configILj256ELj13ELNS0_17block_load_methodE3ELS4_3ELS4_3ELNS0_20block_scan_algorithmE0ELj4294967295EEENS1_25partition_config_selectorILNS1_17partition_subalgoE4EjNS0_10empty_typeEbEEZZNS1_14partition_implILS8_4ELb0ES6_15HIP_vector_typeIjLj2EENS0_17counting_iteratorIjlEEPS9_SG_NS0_5tupleIJPjSI_NS0_16reverse_iteratorISI_EEEEENSH_IJSG_SG_SG_EEES9_SI_JZNS1_25segmented_radix_sort_implINS0_14default_configELb1EPKdPdPKlPlN2at6native12_GLOBAL__N_18offset_tEEE10hipError_tPvRmT1_PNSt15iterator_traitsIS12_E10value_typeET2_T3_PNS13_IS18_E10value_typeET4_jRbjT5_S1E_jjP12ihipStream_tbEUljE_ZNSN_ISO_Lb1ESQ_SR_ST_SU_SY_EESZ_S10_S11_S12_S16_S17_S18_S1B_S1C_jS1D_jS1E_S1E_jjS1G_bEUljE0_EEESZ_S10_S11_S18_S1C_S1E_T6_T7_T9_mT8_S1G_bDpT10_ENKUlT_T0_E_clISt17integral_constantIbLb0EES1T_IbLb1EEEEDaS1P_S1Q_EUlS1P_E_NS1_11comp_targetILNS1_3genE5ELNS1_11target_archE942ELNS1_3gpuE9ELNS1_3repE0EEENS1_30default_config_static_selectorELNS0_4arch9wavefront6targetE0EEEvS12_.numbered_sgpr, 0
	.set _ZN7rocprim17ROCPRIM_400000_NS6detail17trampoline_kernelINS0_13select_configILj256ELj13ELNS0_17block_load_methodE3ELS4_3ELS4_3ELNS0_20block_scan_algorithmE0ELj4294967295EEENS1_25partition_config_selectorILNS1_17partition_subalgoE4EjNS0_10empty_typeEbEEZZNS1_14partition_implILS8_4ELb0ES6_15HIP_vector_typeIjLj2EENS0_17counting_iteratorIjlEEPS9_SG_NS0_5tupleIJPjSI_NS0_16reverse_iteratorISI_EEEEENSH_IJSG_SG_SG_EEES9_SI_JZNS1_25segmented_radix_sort_implINS0_14default_configELb1EPKdPdPKlPlN2at6native12_GLOBAL__N_18offset_tEEE10hipError_tPvRmT1_PNSt15iterator_traitsIS12_E10value_typeET2_T3_PNS13_IS18_E10value_typeET4_jRbjT5_S1E_jjP12ihipStream_tbEUljE_ZNSN_ISO_Lb1ESQ_SR_ST_SU_SY_EESZ_S10_S11_S12_S16_S17_S18_S1B_S1C_jS1D_jS1E_S1E_jjS1G_bEUljE0_EEESZ_S10_S11_S18_S1C_S1E_T6_T7_T9_mT8_S1G_bDpT10_ENKUlT_T0_E_clISt17integral_constantIbLb0EES1T_IbLb1EEEEDaS1P_S1Q_EUlS1P_E_NS1_11comp_targetILNS1_3genE5ELNS1_11target_archE942ELNS1_3gpuE9ELNS1_3repE0EEENS1_30default_config_static_selectorELNS0_4arch9wavefront6targetE0EEEvS12_.num_named_barrier, 0
	.set _ZN7rocprim17ROCPRIM_400000_NS6detail17trampoline_kernelINS0_13select_configILj256ELj13ELNS0_17block_load_methodE3ELS4_3ELS4_3ELNS0_20block_scan_algorithmE0ELj4294967295EEENS1_25partition_config_selectorILNS1_17partition_subalgoE4EjNS0_10empty_typeEbEEZZNS1_14partition_implILS8_4ELb0ES6_15HIP_vector_typeIjLj2EENS0_17counting_iteratorIjlEEPS9_SG_NS0_5tupleIJPjSI_NS0_16reverse_iteratorISI_EEEEENSH_IJSG_SG_SG_EEES9_SI_JZNS1_25segmented_radix_sort_implINS0_14default_configELb1EPKdPdPKlPlN2at6native12_GLOBAL__N_18offset_tEEE10hipError_tPvRmT1_PNSt15iterator_traitsIS12_E10value_typeET2_T3_PNS13_IS18_E10value_typeET4_jRbjT5_S1E_jjP12ihipStream_tbEUljE_ZNSN_ISO_Lb1ESQ_SR_ST_SU_SY_EESZ_S10_S11_S12_S16_S17_S18_S1B_S1C_jS1D_jS1E_S1E_jjS1G_bEUljE0_EEESZ_S10_S11_S18_S1C_S1E_T6_T7_T9_mT8_S1G_bDpT10_ENKUlT_T0_E_clISt17integral_constantIbLb0EES1T_IbLb1EEEEDaS1P_S1Q_EUlS1P_E_NS1_11comp_targetILNS1_3genE5ELNS1_11target_archE942ELNS1_3gpuE9ELNS1_3repE0EEENS1_30default_config_static_selectorELNS0_4arch9wavefront6targetE0EEEvS12_.private_seg_size, 0
	.set _ZN7rocprim17ROCPRIM_400000_NS6detail17trampoline_kernelINS0_13select_configILj256ELj13ELNS0_17block_load_methodE3ELS4_3ELS4_3ELNS0_20block_scan_algorithmE0ELj4294967295EEENS1_25partition_config_selectorILNS1_17partition_subalgoE4EjNS0_10empty_typeEbEEZZNS1_14partition_implILS8_4ELb0ES6_15HIP_vector_typeIjLj2EENS0_17counting_iteratorIjlEEPS9_SG_NS0_5tupleIJPjSI_NS0_16reverse_iteratorISI_EEEEENSH_IJSG_SG_SG_EEES9_SI_JZNS1_25segmented_radix_sort_implINS0_14default_configELb1EPKdPdPKlPlN2at6native12_GLOBAL__N_18offset_tEEE10hipError_tPvRmT1_PNSt15iterator_traitsIS12_E10value_typeET2_T3_PNS13_IS18_E10value_typeET4_jRbjT5_S1E_jjP12ihipStream_tbEUljE_ZNSN_ISO_Lb1ESQ_SR_ST_SU_SY_EESZ_S10_S11_S12_S16_S17_S18_S1B_S1C_jS1D_jS1E_S1E_jjS1G_bEUljE0_EEESZ_S10_S11_S18_S1C_S1E_T6_T7_T9_mT8_S1G_bDpT10_ENKUlT_T0_E_clISt17integral_constantIbLb0EES1T_IbLb1EEEEDaS1P_S1Q_EUlS1P_E_NS1_11comp_targetILNS1_3genE5ELNS1_11target_archE942ELNS1_3gpuE9ELNS1_3repE0EEENS1_30default_config_static_selectorELNS0_4arch9wavefront6targetE0EEEvS12_.uses_vcc, 0
	.set _ZN7rocprim17ROCPRIM_400000_NS6detail17trampoline_kernelINS0_13select_configILj256ELj13ELNS0_17block_load_methodE3ELS4_3ELS4_3ELNS0_20block_scan_algorithmE0ELj4294967295EEENS1_25partition_config_selectorILNS1_17partition_subalgoE4EjNS0_10empty_typeEbEEZZNS1_14partition_implILS8_4ELb0ES6_15HIP_vector_typeIjLj2EENS0_17counting_iteratorIjlEEPS9_SG_NS0_5tupleIJPjSI_NS0_16reverse_iteratorISI_EEEEENSH_IJSG_SG_SG_EEES9_SI_JZNS1_25segmented_radix_sort_implINS0_14default_configELb1EPKdPdPKlPlN2at6native12_GLOBAL__N_18offset_tEEE10hipError_tPvRmT1_PNSt15iterator_traitsIS12_E10value_typeET2_T3_PNS13_IS18_E10value_typeET4_jRbjT5_S1E_jjP12ihipStream_tbEUljE_ZNSN_ISO_Lb1ESQ_SR_ST_SU_SY_EESZ_S10_S11_S12_S16_S17_S18_S1B_S1C_jS1D_jS1E_S1E_jjS1G_bEUljE0_EEESZ_S10_S11_S18_S1C_S1E_T6_T7_T9_mT8_S1G_bDpT10_ENKUlT_T0_E_clISt17integral_constantIbLb0EES1T_IbLb1EEEEDaS1P_S1Q_EUlS1P_E_NS1_11comp_targetILNS1_3genE5ELNS1_11target_archE942ELNS1_3gpuE9ELNS1_3repE0EEENS1_30default_config_static_selectorELNS0_4arch9wavefront6targetE0EEEvS12_.uses_flat_scratch, 0
	.set _ZN7rocprim17ROCPRIM_400000_NS6detail17trampoline_kernelINS0_13select_configILj256ELj13ELNS0_17block_load_methodE3ELS4_3ELS4_3ELNS0_20block_scan_algorithmE0ELj4294967295EEENS1_25partition_config_selectorILNS1_17partition_subalgoE4EjNS0_10empty_typeEbEEZZNS1_14partition_implILS8_4ELb0ES6_15HIP_vector_typeIjLj2EENS0_17counting_iteratorIjlEEPS9_SG_NS0_5tupleIJPjSI_NS0_16reverse_iteratorISI_EEEEENSH_IJSG_SG_SG_EEES9_SI_JZNS1_25segmented_radix_sort_implINS0_14default_configELb1EPKdPdPKlPlN2at6native12_GLOBAL__N_18offset_tEEE10hipError_tPvRmT1_PNSt15iterator_traitsIS12_E10value_typeET2_T3_PNS13_IS18_E10value_typeET4_jRbjT5_S1E_jjP12ihipStream_tbEUljE_ZNSN_ISO_Lb1ESQ_SR_ST_SU_SY_EESZ_S10_S11_S12_S16_S17_S18_S1B_S1C_jS1D_jS1E_S1E_jjS1G_bEUljE0_EEESZ_S10_S11_S18_S1C_S1E_T6_T7_T9_mT8_S1G_bDpT10_ENKUlT_T0_E_clISt17integral_constantIbLb0EES1T_IbLb1EEEEDaS1P_S1Q_EUlS1P_E_NS1_11comp_targetILNS1_3genE5ELNS1_11target_archE942ELNS1_3gpuE9ELNS1_3repE0EEENS1_30default_config_static_selectorELNS0_4arch9wavefront6targetE0EEEvS12_.has_dyn_sized_stack, 0
	.set _ZN7rocprim17ROCPRIM_400000_NS6detail17trampoline_kernelINS0_13select_configILj256ELj13ELNS0_17block_load_methodE3ELS4_3ELS4_3ELNS0_20block_scan_algorithmE0ELj4294967295EEENS1_25partition_config_selectorILNS1_17partition_subalgoE4EjNS0_10empty_typeEbEEZZNS1_14partition_implILS8_4ELb0ES6_15HIP_vector_typeIjLj2EENS0_17counting_iteratorIjlEEPS9_SG_NS0_5tupleIJPjSI_NS0_16reverse_iteratorISI_EEEEENSH_IJSG_SG_SG_EEES9_SI_JZNS1_25segmented_radix_sort_implINS0_14default_configELb1EPKdPdPKlPlN2at6native12_GLOBAL__N_18offset_tEEE10hipError_tPvRmT1_PNSt15iterator_traitsIS12_E10value_typeET2_T3_PNS13_IS18_E10value_typeET4_jRbjT5_S1E_jjP12ihipStream_tbEUljE_ZNSN_ISO_Lb1ESQ_SR_ST_SU_SY_EESZ_S10_S11_S12_S16_S17_S18_S1B_S1C_jS1D_jS1E_S1E_jjS1G_bEUljE0_EEESZ_S10_S11_S18_S1C_S1E_T6_T7_T9_mT8_S1G_bDpT10_ENKUlT_T0_E_clISt17integral_constantIbLb0EES1T_IbLb1EEEEDaS1P_S1Q_EUlS1P_E_NS1_11comp_targetILNS1_3genE5ELNS1_11target_archE942ELNS1_3gpuE9ELNS1_3repE0EEENS1_30default_config_static_selectorELNS0_4arch9wavefront6targetE0EEEvS12_.has_recursion, 0
	.set _ZN7rocprim17ROCPRIM_400000_NS6detail17trampoline_kernelINS0_13select_configILj256ELj13ELNS0_17block_load_methodE3ELS4_3ELS4_3ELNS0_20block_scan_algorithmE0ELj4294967295EEENS1_25partition_config_selectorILNS1_17partition_subalgoE4EjNS0_10empty_typeEbEEZZNS1_14partition_implILS8_4ELb0ES6_15HIP_vector_typeIjLj2EENS0_17counting_iteratorIjlEEPS9_SG_NS0_5tupleIJPjSI_NS0_16reverse_iteratorISI_EEEEENSH_IJSG_SG_SG_EEES9_SI_JZNS1_25segmented_radix_sort_implINS0_14default_configELb1EPKdPdPKlPlN2at6native12_GLOBAL__N_18offset_tEEE10hipError_tPvRmT1_PNSt15iterator_traitsIS12_E10value_typeET2_T3_PNS13_IS18_E10value_typeET4_jRbjT5_S1E_jjP12ihipStream_tbEUljE_ZNSN_ISO_Lb1ESQ_SR_ST_SU_SY_EESZ_S10_S11_S12_S16_S17_S18_S1B_S1C_jS1D_jS1E_S1E_jjS1G_bEUljE0_EEESZ_S10_S11_S18_S1C_S1E_T6_T7_T9_mT8_S1G_bDpT10_ENKUlT_T0_E_clISt17integral_constantIbLb0EES1T_IbLb1EEEEDaS1P_S1Q_EUlS1P_E_NS1_11comp_targetILNS1_3genE5ELNS1_11target_archE942ELNS1_3gpuE9ELNS1_3repE0EEENS1_30default_config_static_selectorELNS0_4arch9wavefront6targetE0EEEvS12_.has_indirect_call, 0
	.section	.AMDGPU.csdata,"",@progbits
; Kernel info:
; codeLenInByte = 0
; TotalNumSgprs: 0
; NumVgprs: 0
; ScratchSize: 0
; MemoryBound: 0
; FloatMode: 240
; IeeeMode: 1
; LDSByteSize: 0 bytes/workgroup (compile time only)
; SGPRBlocks: 0
; VGPRBlocks: 0
; NumSGPRsForWavesPerEU: 1
; NumVGPRsForWavesPerEU: 1
; NamedBarCnt: 0
; Occupancy: 16
; WaveLimiterHint : 0
; COMPUTE_PGM_RSRC2:SCRATCH_EN: 0
; COMPUTE_PGM_RSRC2:USER_SGPR: 2
; COMPUTE_PGM_RSRC2:TRAP_HANDLER: 0
; COMPUTE_PGM_RSRC2:TGID_X_EN: 1
; COMPUTE_PGM_RSRC2:TGID_Y_EN: 0
; COMPUTE_PGM_RSRC2:TGID_Z_EN: 0
; COMPUTE_PGM_RSRC2:TIDIG_COMP_CNT: 0
	.section	.text._ZN7rocprim17ROCPRIM_400000_NS6detail17trampoline_kernelINS0_13select_configILj256ELj13ELNS0_17block_load_methodE3ELS4_3ELS4_3ELNS0_20block_scan_algorithmE0ELj4294967295EEENS1_25partition_config_selectorILNS1_17partition_subalgoE4EjNS0_10empty_typeEbEEZZNS1_14partition_implILS8_4ELb0ES6_15HIP_vector_typeIjLj2EENS0_17counting_iteratorIjlEEPS9_SG_NS0_5tupleIJPjSI_NS0_16reverse_iteratorISI_EEEEENSH_IJSG_SG_SG_EEES9_SI_JZNS1_25segmented_radix_sort_implINS0_14default_configELb1EPKdPdPKlPlN2at6native12_GLOBAL__N_18offset_tEEE10hipError_tPvRmT1_PNSt15iterator_traitsIS12_E10value_typeET2_T3_PNS13_IS18_E10value_typeET4_jRbjT5_S1E_jjP12ihipStream_tbEUljE_ZNSN_ISO_Lb1ESQ_SR_ST_SU_SY_EESZ_S10_S11_S12_S16_S17_S18_S1B_S1C_jS1D_jS1E_S1E_jjS1G_bEUljE0_EEESZ_S10_S11_S18_S1C_S1E_T6_T7_T9_mT8_S1G_bDpT10_ENKUlT_T0_E_clISt17integral_constantIbLb0EES1T_IbLb1EEEEDaS1P_S1Q_EUlS1P_E_NS1_11comp_targetILNS1_3genE4ELNS1_11target_archE910ELNS1_3gpuE8ELNS1_3repE0EEENS1_30default_config_static_selectorELNS0_4arch9wavefront6targetE0EEEvS12_,"axG",@progbits,_ZN7rocprim17ROCPRIM_400000_NS6detail17trampoline_kernelINS0_13select_configILj256ELj13ELNS0_17block_load_methodE3ELS4_3ELS4_3ELNS0_20block_scan_algorithmE0ELj4294967295EEENS1_25partition_config_selectorILNS1_17partition_subalgoE4EjNS0_10empty_typeEbEEZZNS1_14partition_implILS8_4ELb0ES6_15HIP_vector_typeIjLj2EENS0_17counting_iteratorIjlEEPS9_SG_NS0_5tupleIJPjSI_NS0_16reverse_iteratorISI_EEEEENSH_IJSG_SG_SG_EEES9_SI_JZNS1_25segmented_radix_sort_implINS0_14default_configELb1EPKdPdPKlPlN2at6native12_GLOBAL__N_18offset_tEEE10hipError_tPvRmT1_PNSt15iterator_traitsIS12_E10value_typeET2_T3_PNS13_IS18_E10value_typeET4_jRbjT5_S1E_jjP12ihipStream_tbEUljE_ZNSN_ISO_Lb1ESQ_SR_ST_SU_SY_EESZ_S10_S11_S12_S16_S17_S18_S1B_S1C_jS1D_jS1E_S1E_jjS1G_bEUljE0_EEESZ_S10_S11_S18_S1C_S1E_T6_T7_T9_mT8_S1G_bDpT10_ENKUlT_T0_E_clISt17integral_constantIbLb0EES1T_IbLb1EEEEDaS1P_S1Q_EUlS1P_E_NS1_11comp_targetILNS1_3genE4ELNS1_11target_archE910ELNS1_3gpuE8ELNS1_3repE0EEENS1_30default_config_static_selectorELNS0_4arch9wavefront6targetE0EEEvS12_,comdat
	.globl	_ZN7rocprim17ROCPRIM_400000_NS6detail17trampoline_kernelINS0_13select_configILj256ELj13ELNS0_17block_load_methodE3ELS4_3ELS4_3ELNS0_20block_scan_algorithmE0ELj4294967295EEENS1_25partition_config_selectorILNS1_17partition_subalgoE4EjNS0_10empty_typeEbEEZZNS1_14partition_implILS8_4ELb0ES6_15HIP_vector_typeIjLj2EENS0_17counting_iteratorIjlEEPS9_SG_NS0_5tupleIJPjSI_NS0_16reverse_iteratorISI_EEEEENSH_IJSG_SG_SG_EEES9_SI_JZNS1_25segmented_radix_sort_implINS0_14default_configELb1EPKdPdPKlPlN2at6native12_GLOBAL__N_18offset_tEEE10hipError_tPvRmT1_PNSt15iterator_traitsIS12_E10value_typeET2_T3_PNS13_IS18_E10value_typeET4_jRbjT5_S1E_jjP12ihipStream_tbEUljE_ZNSN_ISO_Lb1ESQ_SR_ST_SU_SY_EESZ_S10_S11_S12_S16_S17_S18_S1B_S1C_jS1D_jS1E_S1E_jjS1G_bEUljE0_EEESZ_S10_S11_S18_S1C_S1E_T6_T7_T9_mT8_S1G_bDpT10_ENKUlT_T0_E_clISt17integral_constantIbLb0EES1T_IbLb1EEEEDaS1P_S1Q_EUlS1P_E_NS1_11comp_targetILNS1_3genE4ELNS1_11target_archE910ELNS1_3gpuE8ELNS1_3repE0EEENS1_30default_config_static_selectorELNS0_4arch9wavefront6targetE0EEEvS12_ ; -- Begin function _ZN7rocprim17ROCPRIM_400000_NS6detail17trampoline_kernelINS0_13select_configILj256ELj13ELNS0_17block_load_methodE3ELS4_3ELS4_3ELNS0_20block_scan_algorithmE0ELj4294967295EEENS1_25partition_config_selectorILNS1_17partition_subalgoE4EjNS0_10empty_typeEbEEZZNS1_14partition_implILS8_4ELb0ES6_15HIP_vector_typeIjLj2EENS0_17counting_iteratorIjlEEPS9_SG_NS0_5tupleIJPjSI_NS0_16reverse_iteratorISI_EEEEENSH_IJSG_SG_SG_EEES9_SI_JZNS1_25segmented_radix_sort_implINS0_14default_configELb1EPKdPdPKlPlN2at6native12_GLOBAL__N_18offset_tEEE10hipError_tPvRmT1_PNSt15iterator_traitsIS12_E10value_typeET2_T3_PNS13_IS18_E10value_typeET4_jRbjT5_S1E_jjP12ihipStream_tbEUljE_ZNSN_ISO_Lb1ESQ_SR_ST_SU_SY_EESZ_S10_S11_S12_S16_S17_S18_S1B_S1C_jS1D_jS1E_S1E_jjS1G_bEUljE0_EEESZ_S10_S11_S18_S1C_S1E_T6_T7_T9_mT8_S1G_bDpT10_ENKUlT_T0_E_clISt17integral_constantIbLb0EES1T_IbLb1EEEEDaS1P_S1Q_EUlS1P_E_NS1_11comp_targetILNS1_3genE4ELNS1_11target_archE910ELNS1_3gpuE8ELNS1_3repE0EEENS1_30default_config_static_selectorELNS0_4arch9wavefront6targetE0EEEvS12_
	.p2align	8
	.type	_ZN7rocprim17ROCPRIM_400000_NS6detail17trampoline_kernelINS0_13select_configILj256ELj13ELNS0_17block_load_methodE3ELS4_3ELS4_3ELNS0_20block_scan_algorithmE0ELj4294967295EEENS1_25partition_config_selectorILNS1_17partition_subalgoE4EjNS0_10empty_typeEbEEZZNS1_14partition_implILS8_4ELb0ES6_15HIP_vector_typeIjLj2EENS0_17counting_iteratorIjlEEPS9_SG_NS0_5tupleIJPjSI_NS0_16reverse_iteratorISI_EEEEENSH_IJSG_SG_SG_EEES9_SI_JZNS1_25segmented_radix_sort_implINS0_14default_configELb1EPKdPdPKlPlN2at6native12_GLOBAL__N_18offset_tEEE10hipError_tPvRmT1_PNSt15iterator_traitsIS12_E10value_typeET2_T3_PNS13_IS18_E10value_typeET4_jRbjT5_S1E_jjP12ihipStream_tbEUljE_ZNSN_ISO_Lb1ESQ_SR_ST_SU_SY_EESZ_S10_S11_S12_S16_S17_S18_S1B_S1C_jS1D_jS1E_S1E_jjS1G_bEUljE0_EEESZ_S10_S11_S18_S1C_S1E_T6_T7_T9_mT8_S1G_bDpT10_ENKUlT_T0_E_clISt17integral_constantIbLb0EES1T_IbLb1EEEEDaS1P_S1Q_EUlS1P_E_NS1_11comp_targetILNS1_3genE4ELNS1_11target_archE910ELNS1_3gpuE8ELNS1_3repE0EEENS1_30default_config_static_selectorELNS0_4arch9wavefront6targetE0EEEvS12_,@function
_ZN7rocprim17ROCPRIM_400000_NS6detail17trampoline_kernelINS0_13select_configILj256ELj13ELNS0_17block_load_methodE3ELS4_3ELS4_3ELNS0_20block_scan_algorithmE0ELj4294967295EEENS1_25partition_config_selectorILNS1_17partition_subalgoE4EjNS0_10empty_typeEbEEZZNS1_14partition_implILS8_4ELb0ES6_15HIP_vector_typeIjLj2EENS0_17counting_iteratorIjlEEPS9_SG_NS0_5tupleIJPjSI_NS0_16reverse_iteratorISI_EEEEENSH_IJSG_SG_SG_EEES9_SI_JZNS1_25segmented_radix_sort_implINS0_14default_configELb1EPKdPdPKlPlN2at6native12_GLOBAL__N_18offset_tEEE10hipError_tPvRmT1_PNSt15iterator_traitsIS12_E10value_typeET2_T3_PNS13_IS18_E10value_typeET4_jRbjT5_S1E_jjP12ihipStream_tbEUljE_ZNSN_ISO_Lb1ESQ_SR_ST_SU_SY_EESZ_S10_S11_S12_S16_S17_S18_S1B_S1C_jS1D_jS1E_S1E_jjS1G_bEUljE0_EEESZ_S10_S11_S18_S1C_S1E_T6_T7_T9_mT8_S1G_bDpT10_ENKUlT_T0_E_clISt17integral_constantIbLb0EES1T_IbLb1EEEEDaS1P_S1Q_EUlS1P_E_NS1_11comp_targetILNS1_3genE4ELNS1_11target_archE910ELNS1_3gpuE8ELNS1_3repE0EEENS1_30default_config_static_selectorELNS0_4arch9wavefront6targetE0EEEvS12_: ; @_ZN7rocprim17ROCPRIM_400000_NS6detail17trampoline_kernelINS0_13select_configILj256ELj13ELNS0_17block_load_methodE3ELS4_3ELS4_3ELNS0_20block_scan_algorithmE0ELj4294967295EEENS1_25partition_config_selectorILNS1_17partition_subalgoE4EjNS0_10empty_typeEbEEZZNS1_14partition_implILS8_4ELb0ES6_15HIP_vector_typeIjLj2EENS0_17counting_iteratorIjlEEPS9_SG_NS0_5tupleIJPjSI_NS0_16reverse_iteratorISI_EEEEENSH_IJSG_SG_SG_EEES9_SI_JZNS1_25segmented_radix_sort_implINS0_14default_configELb1EPKdPdPKlPlN2at6native12_GLOBAL__N_18offset_tEEE10hipError_tPvRmT1_PNSt15iterator_traitsIS12_E10value_typeET2_T3_PNS13_IS18_E10value_typeET4_jRbjT5_S1E_jjP12ihipStream_tbEUljE_ZNSN_ISO_Lb1ESQ_SR_ST_SU_SY_EESZ_S10_S11_S12_S16_S17_S18_S1B_S1C_jS1D_jS1E_S1E_jjS1G_bEUljE0_EEESZ_S10_S11_S18_S1C_S1E_T6_T7_T9_mT8_S1G_bDpT10_ENKUlT_T0_E_clISt17integral_constantIbLb0EES1T_IbLb1EEEEDaS1P_S1Q_EUlS1P_E_NS1_11comp_targetILNS1_3genE4ELNS1_11target_archE910ELNS1_3gpuE8ELNS1_3repE0EEENS1_30default_config_static_selectorELNS0_4arch9wavefront6targetE0EEEvS12_
; %bb.0:
	.section	.rodata,"a",@progbits
	.p2align	6, 0x0
	.amdhsa_kernel _ZN7rocprim17ROCPRIM_400000_NS6detail17trampoline_kernelINS0_13select_configILj256ELj13ELNS0_17block_load_methodE3ELS4_3ELS4_3ELNS0_20block_scan_algorithmE0ELj4294967295EEENS1_25partition_config_selectorILNS1_17partition_subalgoE4EjNS0_10empty_typeEbEEZZNS1_14partition_implILS8_4ELb0ES6_15HIP_vector_typeIjLj2EENS0_17counting_iteratorIjlEEPS9_SG_NS0_5tupleIJPjSI_NS0_16reverse_iteratorISI_EEEEENSH_IJSG_SG_SG_EEES9_SI_JZNS1_25segmented_radix_sort_implINS0_14default_configELb1EPKdPdPKlPlN2at6native12_GLOBAL__N_18offset_tEEE10hipError_tPvRmT1_PNSt15iterator_traitsIS12_E10value_typeET2_T3_PNS13_IS18_E10value_typeET4_jRbjT5_S1E_jjP12ihipStream_tbEUljE_ZNSN_ISO_Lb1ESQ_SR_ST_SU_SY_EESZ_S10_S11_S12_S16_S17_S18_S1B_S1C_jS1D_jS1E_S1E_jjS1G_bEUljE0_EEESZ_S10_S11_S18_S1C_S1E_T6_T7_T9_mT8_S1G_bDpT10_ENKUlT_T0_E_clISt17integral_constantIbLb0EES1T_IbLb1EEEEDaS1P_S1Q_EUlS1P_E_NS1_11comp_targetILNS1_3genE4ELNS1_11target_archE910ELNS1_3gpuE8ELNS1_3repE0EEENS1_30default_config_static_selectorELNS0_4arch9wavefront6targetE0EEEvS12_
		.amdhsa_group_segment_fixed_size 0
		.amdhsa_private_segment_fixed_size 0
		.amdhsa_kernarg_size 184
		.amdhsa_user_sgpr_count 2
		.amdhsa_user_sgpr_dispatch_ptr 0
		.amdhsa_user_sgpr_queue_ptr 0
		.amdhsa_user_sgpr_kernarg_segment_ptr 1
		.amdhsa_user_sgpr_dispatch_id 0
		.amdhsa_user_sgpr_kernarg_preload_length 0
		.amdhsa_user_sgpr_kernarg_preload_offset 0
		.amdhsa_user_sgpr_private_segment_size 0
		.amdhsa_wavefront_size32 1
		.amdhsa_uses_dynamic_stack 0
		.amdhsa_enable_private_segment 0
		.amdhsa_system_sgpr_workgroup_id_x 1
		.amdhsa_system_sgpr_workgroup_id_y 0
		.amdhsa_system_sgpr_workgroup_id_z 0
		.amdhsa_system_sgpr_workgroup_info 0
		.amdhsa_system_vgpr_workitem_id 0
		.amdhsa_next_free_vgpr 1
		.amdhsa_next_free_sgpr 1
		.amdhsa_named_barrier_count 0
		.amdhsa_reserve_vcc 0
		.amdhsa_float_round_mode_32 0
		.amdhsa_float_round_mode_16_64 0
		.amdhsa_float_denorm_mode_32 3
		.amdhsa_float_denorm_mode_16_64 3
		.amdhsa_fp16_overflow 0
		.amdhsa_memory_ordered 1
		.amdhsa_forward_progress 1
		.amdhsa_inst_pref_size 0
		.amdhsa_round_robin_scheduling 0
		.amdhsa_exception_fp_ieee_invalid_op 0
		.amdhsa_exception_fp_denorm_src 0
		.amdhsa_exception_fp_ieee_div_zero 0
		.amdhsa_exception_fp_ieee_overflow 0
		.amdhsa_exception_fp_ieee_underflow 0
		.amdhsa_exception_fp_ieee_inexact 0
		.amdhsa_exception_int_div_zero 0
	.end_amdhsa_kernel
	.section	.text._ZN7rocprim17ROCPRIM_400000_NS6detail17trampoline_kernelINS0_13select_configILj256ELj13ELNS0_17block_load_methodE3ELS4_3ELS4_3ELNS0_20block_scan_algorithmE0ELj4294967295EEENS1_25partition_config_selectorILNS1_17partition_subalgoE4EjNS0_10empty_typeEbEEZZNS1_14partition_implILS8_4ELb0ES6_15HIP_vector_typeIjLj2EENS0_17counting_iteratorIjlEEPS9_SG_NS0_5tupleIJPjSI_NS0_16reverse_iteratorISI_EEEEENSH_IJSG_SG_SG_EEES9_SI_JZNS1_25segmented_radix_sort_implINS0_14default_configELb1EPKdPdPKlPlN2at6native12_GLOBAL__N_18offset_tEEE10hipError_tPvRmT1_PNSt15iterator_traitsIS12_E10value_typeET2_T3_PNS13_IS18_E10value_typeET4_jRbjT5_S1E_jjP12ihipStream_tbEUljE_ZNSN_ISO_Lb1ESQ_SR_ST_SU_SY_EESZ_S10_S11_S12_S16_S17_S18_S1B_S1C_jS1D_jS1E_S1E_jjS1G_bEUljE0_EEESZ_S10_S11_S18_S1C_S1E_T6_T7_T9_mT8_S1G_bDpT10_ENKUlT_T0_E_clISt17integral_constantIbLb0EES1T_IbLb1EEEEDaS1P_S1Q_EUlS1P_E_NS1_11comp_targetILNS1_3genE4ELNS1_11target_archE910ELNS1_3gpuE8ELNS1_3repE0EEENS1_30default_config_static_selectorELNS0_4arch9wavefront6targetE0EEEvS12_,"axG",@progbits,_ZN7rocprim17ROCPRIM_400000_NS6detail17trampoline_kernelINS0_13select_configILj256ELj13ELNS0_17block_load_methodE3ELS4_3ELS4_3ELNS0_20block_scan_algorithmE0ELj4294967295EEENS1_25partition_config_selectorILNS1_17partition_subalgoE4EjNS0_10empty_typeEbEEZZNS1_14partition_implILS8_4ELb0ES6_15HIP_vector_typeIjLj2EENS0_17counting_iteratorIjlEEPS9_SG_NS0_5tupleIJPjSI_NS0_16reverse_iteratorISI_EEEEENSH_IJSG_SG_SG_EEES9_SI_JZNS1_25segmented_radix_sort_implINS0_14default_configELb1EPKdPdPKlPlN2at6native12_GLOBAL__N_18offset_tEEE10hipError_tPvRmT1_PNSt15iterator_traitsIS12_E10value_typeET2_T3_PNS13_IS18_E10value_typeET4_jRbjT5_S1E_jjP12ihipStream_tbEUljE_ZNSN_ISO_Lb1ESQ_SR_ST_SU_SY_EESZ_S10_S11_S12_S16_S17_S18_S1B_S1C_jS1D_jS1E_S1E_jjS1G_bEUljE0_EEESZ_S10_S11_S18_S1C_S1E_T6_T7_T9_mT8_S1G_bDpT10_ENKUlT_T0_E_clISt17integral_constantIbLb0EES1T_IbLb1EEEEDaS1P_S1Q_EUlS1P_E_NS1_11comp_targetILNS1_3genE4ELNS1_11target_archE910ELNS1_3gpuE8ELNS1_3repE0EEENS1_30default_config_static_selectorELNS0_4arch9wavefront6targetE0EEEvS12_,comdat
.Lfunc_end1074:
	.size	_ZN7rocprim17ROCPRIM_400000_NS6detail17trampoline_kernelINS0_13select_configILj256ELj13ELNS0_17block_load_methodE3ELS4_3ELS4_3ELNS0_20block_scan_algorithmE0ELj4294967295EEENS1_25partition_config_selectorILNS1_17partition_subalgoE4EjNS0_10empty_typeEbEEZZNS1_14partition_implILS8_4ELb0ES6_15HIP_vector_typeIjLj2EENS0_17counting_iteratorIjlEEPS9_SG_NS0_5tupleIJPjSI_NS0_16reverse_iteratorISI_EEEEENSH_IJSG_SG_SG_EEES9_SI_JZNS1_25segmented_radix_sort_implINS0_14default_configELb1EPKdPdPKlPlN2at6native12_GLOBAL__N_18offset_tEEE10hipError_tPvRmT1_PNSt15iterator_traitsIS12_E10value_typeET2_T3_PNS13_IS18_E10value_typeET4_jRbjT5_S1E_jjP12ihipStream_tbEUljE_ZNSN_ISO_Lb1ESQ_SR_ST_SU_SY_EESZ_S10_S11_S12_S16_S17_S18_S1B_S1C_jS1D_jS1E_S1E_jjS1G_bEUljE0_EEESZ_S10_S11_S18_S1C_S1E_T6_T7_T9_mT8_S1G_bDpT10_ENKUlT_T0_E_clISt17integral_constantIbLb0EES1T_IbLb1EEEEDaS1P_S1Q_EUlS1P_E_NS1_11comp_targetILNS1_3genE4ELNS1_11target_archE910ELNS1_3gpuE8ELNS1_3repE0EEENS1_30default_config_static_selectorELNS0_4arch9wavefront6targetE0EEEvS12_, .Lfunc_end1074-_ZN7rocprim17ROCPRIM_400000_NS6detail17trampoline_kernelINS0_13select_configILj256ELj13ELNS0_17block_load_methodE3ELS4_3ELS4_3ELNS0_20block_scan_algorithmE0ELj4294967295EEENS1_25partition_config_selectorILNS1_17partition_subalgoE4EjNS0_10empty_typeEbEEZZNS1_14partition_implILS8_4ELb0ES6_15HIP_vector_typeIjLj2EENS0_17counting_iteratorIjlEEPS9_SG_NS0_5tupleIJPjSI_NS0_16reverse_iteratorISI_EEEEENSH_IJSG_SG_SG_EEES9_SI_JZNS1_25segmented_radix_sort_implINS0_14default_configELb1EPKdPdPKlPlN2at6native12_GLOBAL__N_18offset_tEEE10hipError_tPvRmT1_PNSt15iterator_traitsIS12_E10value_typeET2_T3_PNS13_IS18_E10value_typeET4_jRbjT5_S1E_jjP12ihipStream_tbEUljE_ZNSN_ISO_Lb1ESQ_SR_ST_SU_SY_EESZ_S10_S11_S12_S16_S17_S18_S1B_S1C_jS1D_jS1E_S1E_jjS1G_bEUljE0_EEESZ_S10_S11_S18_S1C_S1E_T6_T7_T9_mT8_S1G_bDpT10_ENKUlT_T0_E_clISt17integral_constantIbLb0EES1T_IbLb1EEEEDaS1P_S1Q_EUlS1P_E_NS1_11comp_targetILNS1_3genE4ELNS1_11target_archE910ELNS1_3gpuE8ELNS1_3repE0EEENS1_30default_config_static_selectorELNS0_4arch9wavefront6targetE0EEEvS12_
                                        ; -- End function
	.set _ZN7rocprim17ROCPRIM_400000_NS6detail17trampoline_kernelINS0_13select_configILj256ELj13ELNS0_17block_load_methodE3ELS4_3ELS4_3ELNS0_20block_scan_algorithmE0ELj4294967295EEENS1_25partition_config_selectorILNS1_17partition_subalgoE4EjNS0_10empty_typeEbEEZZNS1_14partition_implILS8_4ELb0ES6_15HIP_vector_typeIjLj2EENS0_17counting_iteratorIjlEEPS9_SG_NS0_5tupleIJPjSI_NS0_16reverse_iteratorISI_EEEEENSH_IJSG_SG_SG_EEES9_SI_JZNS1_25segmented_radix_sort_implINS0_14default_configELb1EPKdPdPKlPlN2at6native12_GLOBAL__N_18offset_tEEE10hipError_tPvRmT1_PNSt15iterator_traitsIS12_E10value_typeET2_T3_PNS13_IS18_E10value_typeET4_jRbjT5_S1E_jjP12ihipStream_tbEUljE_ZNSN_ISO_Lb1ESQ_SR_ST_SU_SY_EESZ_S10_S11_S12_S16_S17_S18_S1B_S1C_jS1D_jS1E_S1E_jjS1G_bEUljE0_EEESZ_S10_S11_S18_S1C_S1E_T6_T7_T9_mT8_S1G_bDpT10_ENKUlT_T0_E_clISt17integral_constantIbLb0EES1T_IbLb1EEEEDaS1P_S1Q_EUlS1P_E_NS1_11comp_targetILNS1_3genE4ELNS1_11target_archE910ELNS1_3gpuE8ELNS1_3repE0EEENS1_30default_config_static_selectorELNS0_4arch9wavefront6targetE0EEEvS12_.num_vgpr, 0
	.set _ZN7rocprim17ROCPRIM_400000_NS6detail17trampoline_kernelINS0_13select_configILj256ELj13ELNS0_17block_load_methodE3ELS4_3ELS4_3ELNS0_20block_scan_algorithmE0ELj4294967295EEENS1_25partition_config_selectorILNS1_17partition_subalgoE4EjNS0_10empty_typeEbEEZZNS1_14partition_implILS8_4ELb0ES6_15HIP_vector_typeIjLj2EENS0_17counting_iteratorIjlEEPS9_SG_NS0_5tupleIJPjSI_NS0_16reverse_iteratorISI_EEEEENSH_IJSG_SG_SG_EEES9_SI_JZNS1_25segmented_radix_sort_implINS0_14default_configELb1EPKdPdPKlPlN2at6native12_GLOBAL__N_18offset_tEEE10hipError_tPvRmT1_PNSt15iterator_traitsIS12_E10value_typeET2_T3_PNS13_IS18_E10value_typeET4_jRbjT5_S1E_jjP12ihipStream_tbEUljE_ZNSN_ISO_Lb1ESQ_SR_ST_SU_SY_EESZ_S10_S11_S12_S16_S17_S18_S1B_S1C_jS1D_jS1E_S1E_jjS1G_bEUljE0_EEESZ_S10_S11_S18_S1C_S1E_T6_T7_T9_mT8_S1G_bDpT10_ENKUlT_T0_E_clISt17integral_constantIbLb0EES1T_IbLb1EEEEDaS1P_S1Q_EUlS1P_E_NS1_11comp_targetILNS1_3genE4ELNS1_11target_archE910ELNS1_3gpuE8ELNS1_3repE0EEENS1_30default_config_static_selectorELNS0_4arch9wavefront6targetE0EEEvS12_.num_agpr, 0
	.set _ZN7rocprim17ROCPRIM_400000_NS6detail17trampoline_kernelINS0_13select_configILj256ELj13ELNS0_17block_load_methodE3ELS4_3ELS4_3ELNS0_20block_scan_algorithmE0ELj4294967295EEENS1_25partition_config_selectorILNS1_17partition_subalgoE4EjNS0_10empty_typeEbEEZZNS1_14partition_implILS8_4ELb0ES6_15HIP_vector_typeIjLj2EENS0_17counting_iteratorIjlEEPS9_SG_NS0_5tupleIJPjSI_NS0_16reverse_iteratorISI_EEEEENSH_IJSG_SG_SG_EEES9_SI_JZNS1_25segmented_radix_sort_implINS0_14default_configELb1EPKdPdPKlPlN2at6native12_GLOBAL__N_18offset_tEEE10hipError_tPvRmT1_PNSt15iterator_traitsIS12_E10value_typeET2_T3_PNS13_IS18_E10value_typeET4_jRbjT5_S1E_jjP12ihipStream_tbEUljE_ZNSN_ISO_Lb1ESQ_SR_ST_SU_SY_EESZ_S10_S11_S12_S16_S17_S18_S1B_S1C_jS1D_jS1E_S1E_jjS1G_bEUljE0_EEESZ_S10_S11_S18_S1C_S1E_T6_T7_T9_mT8_S1G_bDpT10_ENKUlT_T0_E_clISt17integral_constantIbLb0EES1T_IbLb1EEEEDaS1P_S1Q_EUlS1P_E_NS1_11comp_targetILNS1_3genE4ELNS1_11target_archE910ELNS1_3gpuE8ELNS1_3repE0EEENS1_30default_config_static_selectorELNS0_4arch9wavefront6targetE0EEEvS12_.numbered_sgpr, 0
	.set _ZN7rocprim17ROCPRIM_400000_NS6detail17trampoline_kernelINS0_13select_configILj256ELj13ELNS0_17block_load_methodE3ELS4_3ELS4_3ELNS0_20block_scan_algorithmE0ELj4294967295EEENS1_25partition_config_selectorILNS1_17partition_subalgoE4EjNS0_10empty_typeEbEEZZNS1_14partition_implILS8_4ELb0ES6_15HIP_vector_typeIjLj2EENS0_17counting_iteratorIjlEEPS9_SG_NS0_5tupleIJPjSI_NS0_16reverse_iteratorISI_EEEEENSH_IJSG_SG_SG_EEES9_SI_JZNS1_25segmented_radix_sort_implINS0_14default_configELb1EPKdPdPKlPlN2at6native12_GLOBAL__N_18offset_tEEE10hipError_tPvRmT1_PNSt15iterator_traitsIS12_E10value_typeET2_T3_PNS13_IS18_E10value_typeET4_jRbjT5_S1E_jjP12ihipStream_tbEUljE_ZNSN_ISO_Lb1ESQ_SR_ST_SU_SY_EESZ_S10_S11_S12_S16_S17_S18_S1B_S1C_jS1D_jS1E_S1E_jjS1G_bEUljE0_EEESZ_S10_S11_S18_S1C_S1E_T6_T7_T9_mT8_S1G_bDpT10_ENKUlT_T0_E_clISt17integral_constantIbLb0EES1T_IbLb1EEEEDaS1P_S1Q_EUlS1P_E_NS1_11comp_targetILNS1_3genE4ELNS1_11target_archE910ELNS1_3gpuE8ELNS1_3repE0EEENS1_30default_config_static_selectorELNS0_4arch9wavefront6targetE0EEEvS12_.num_named_barrier, 0
	.set _ZN7rocprim17ROCPRIM_400000_NS6detail17trampoline_kernelINS0_13select_configILj256ELj13ELNS0_17block_load_methodE3ELS4_3ELS4_3ELNS0_20block_scan_algorithmE0ELj4294967295EEENS1_25partition_config_selectorILNS1_17partition_subalgoE4EjNS0_10empty_typeEbEEZZNS1_14partition_implILS8_4ELb0ES6_15HIP_vector_typeIjLj2EENS0_17counting_iteratorIjlEEPS9_SG_NS0_5tupleIJPjSI_NS0_16reverse_iteratorISI_EEEEENSH_IJSG_SG_SG_EEES9_SI_JZNS1_25segmented_radix_sort_implINS0_14default_configELb1EPKdPdPKlPlN2at6native12_GLOBAL__N_18offset_tEEE10hipError_tPvRmT1_PNSt15iterator_traitsIS12_E10value_typeET2_T3_PNS13_IS18_E10value_typeET4_jRbjT5_S1E_jjP12ihipStream_tbEUljE_ZNSN_ISO_Lb1ESQ_SR_ST_SU_SY_EESZ_S10_S11_S12_S16_S17_S18_S1B_S1C_jS1D_jS1E_S1E_jjS1G_bEUljE0_EEESZ_S10_S11_S18_S1C_S1E_T6_T7_T9_mT8_S1G_bDpT10_ENKUlT_T0_E_clISt17integral_constantIbLb0EES1T_IbLb1EEEEDaS1P_S1Q_EUlS1P_E_NS1_11comp_targetILNS1_3genE4ELNS1_11target_archE910ELNS1_3gpuE8ELNS1_3repE0EEENS1_30default_config_static_selectorELNS0_4arch9wavefront6targetE0EEEvS12_.private_seg_size, 0
	.set _ZN7rocprim17ROCPRIM_400000_NS6detail17trampoline_kernelINS0_13select_configILj256ELj13ELNS0_17block_load_methodE3ELS4_3ELS4_3ELNS0_20block_scan_algorithmE0ELj4294967295EEENS1_25partition_config_selectorILNS1_17partition_subalgoE4EjNS0_10empty_typeEbEEZZNS1_14partition_implILS8_4ELb0ES6_15HIP_vector_typeIjLj2EENS0_17counting_iteratorIjlEEPS9_SG_NS0_5tupleIJPjSI_NS0_16reverse_iteratorISI_EEEEENSH_IJSG_SG_SG_EEES9_SI_JZNS1_25segmented_radix_sort_implINS0_14default_configELb1EPKdPdPKlPlN2at6native12_GLOBAL__N_18offset_tEEE10hipError_tPvRmT1_PNSt15iterator_traitsIS12_E10value_typeET2_T3_PNS13_IS18_E10value_typeET4_jRbjT5_S1E_jjP12ihipStream_tbEUljE_ZNSN_ISO_Lb1ESQ_SR_ST_SU_SY_EESZ_S10_S11_S12_S16_S17_S18_S1B_S1C_jS1D_jS1E_S1E_jjS1G_bEUljE0_EEESZ_S10_S11_S18_S1C_S1E_T6_T7_T9_mT8_S1G_bDpT10_ENKUlT_T0_E_clISt17integral_constantIbLb0EES1T_IbLb1EEEEDaS1P_S1Q_EUlS1P_E_NS1_11comp_targetILNS1_3genE4ELNS1_11target_archE910ELNS1_3gpuE8ELNS1_3repE0EEENS1_30default_config_static_selectorELNS0_4arch9wavefront6targetE0EEEvS12_.uses_vcc, 0
	.set _ZN7rocprim17ROCPRIM_400000_NS6detail17trampoline_kernelINS0_13select_configILj256ELj13ELNS0_17block_load_methodE3ELS4_3ELS4_3ELNS0_20block_scan_algorithmE0ELj4294967295EEENS1_25partition_config_selectorILNS1_17partition_subalgoE4EjNS0_10empty_typeEbEEZZNS1_14partition_implILS8_4ELb0ES6_15HIP_vector_typeIjLj2EENS0_17counting_iteratorIjlEEPS9_SG_NS0_5tupleIJPjSI_NS0_16reverse_iteratorISI_EEEEENSH_IJSG_SG_SG_EEES9_SI_JZNS1_25segmented_radix_sort_implINS0_14default_configELb1EPKdPdPKlPlN2at6native12_GLOBAL__N_18offset_tEEE10hipError_tPvRmT1_PNSt15iterator_traitsIS12_E10value_typeET2_T3_PNS13_IS18_E10value_typeET4_jRbjT5_S1E_jjP12ihipStream_tbEUljE_ZNSN_ISO_Lb1ESQ_SR_ST_SU_SY_EESZ_S10_S11_S12_S16_S17_S18_S1B_S1C_jS1D_jS1E_S1E_jjS1G_bEUljE0_EEESZ_S10_S11_S18_S1C_S1E_T6_T7_T9_mT8_S1G_bDpT10_ENKUlT_T0_E_clISt17integral_constantIbLb0EES1T_IbLb1EEEEDaS1P_S1Q_EUlS1P_E_NS1_11comp_targetILNS1_3genE4ELNS1_11target_archE910ELNS1_3gpuE8ELNS1_3repE0EEENS1_30default_config_static_selectorELNS0_4arch9wavefront6targetE0EEEvS12_.uses_flat_scratch, 0
	.set _ZN7rocprim17ROCPRIM_400000_NS6detail17trampoline_kernelINS0_13select_configILj256ELj13ELNS0_17block_load_methodE3ELS4_3ELS4_3ELNS0_20block_scan_algorithmE0ELj4294967295EEENS1_25partition_config_selectorILNS1_17partition_subalgoE4EjNS0_10empty_typeEbEEZZNS1_14partition_implILS8_4ELb0ES6_15HIP_vector_typeIjLj2EENS0_17counting_iteratorIjlEEPS9_SG_NS0_5tupleIJPjSI_NS0_16reverse_iteratorISI_EEEEENSH_IJSG_SG_SG_EEES9_SI_JZNS1_25segmented_radix_sort_implINS0_14default_configELb1EPKdPdPKlPlN2at6native12_GLOBAL__N_18offset_tEEE10hipError_tPvRmT1_PNSt15iterator_traitsIS12_E10value_typeET2_T3_PNS13_IS18_E10value_typeET4_jRbjT5_S1E_jjP12ihipStream_tbEUljE_ZNSN_ISO_Lb1ESQ_SR_ST_SU_SY_EESZ_S10_S11_S12_S16_S17_S18_S1B_S1C_jS1D_jS1E_S1E_jjS1G_bEUljE0_EEESZ_S10_S11_S18_S1C_S1E_T6_T7_T9_mT8_S1G_bDpT10_ENKUlT_T0_E_clISt17integral_constantIbLb0EES1T_IbLb1EEEEDaS1P_S1Q_EUlS1P_E_NS1_11comp_targetILNS1_3genE4ELNS1_11target_archE910ELNS1_3gpuE8ELNS1_3repE0EEENS1_30default_config_static_selectorELNS0_4arch9wavefront6targetE0EEEvS12_.has_dyn_sized_stack, 0
	.set _ZN7rocprim17ROCPRIM_400000_NS6detail17trampoline_kernelINS0_13select_configILj256ELj13ELNS0_17block_load_methodE3ELS4_3ELS4_3ELNS0_20block_scan_algorithmE0ELj4294967295EEENS1_25partition_config_selectorILNS1_17partition_subalgoE4EjNS0_10empty_typeEbEEZZNS1_14partition_implILS8_4ELb0ES6_15HIP_vector_typeIjLj2EENS0_17counting_iteratorIjlEEPS9_SG_NS0_5tupleIJPjSI_NS0_16reverse_iteratorISI_EEEEENSH_IJSG_SG_SG_EEES9_SI_JZNS1_25segmented_radix_sort_implINS0_14default_configELb1EPKdPdPKlPlN2at6native12_GLOBAL__N_18offset_tEEE10hipError_tPvRmT1_PNSt15iterator_traitsIS12_E10value_typeET2_T3_PNS13_IS18_E10value_typeET4_jRbjT5_S1E_jjP12ihipStream_tbEUljE_ZNSN_ISO_Lb1ESQ_SR_ST_SU_SY_EESZ_S10_S11_S12_S16_S17_S18_S1B_S1C_jS1D_jS1E_S1E_jjS1G_bEUljE0_EEESZ_S10_S11_S18_S1C_S1E_T6_T7_T9_mT8_S1G_bDpT10_ENKUlT_T0_E_clISt17integral_constantIbLb0EES1T_IbLb1EEEEDaS1P_S1Q_EUlS1P_E_NS1_11comp_targetILNS1_3genE4ELNS1_11target_archE910ELNS1_3gpuE8ELNS1_3repE0EEENS1_30default_config_static_selectorELNS0_4arch9wavefront6targetE0EEEvS12_.has_recursion, 0
	.set _ZN7rocprim17ROCPRIM_400000_NS6detail17trampoline_kernelINS0_13select_configILj256ELj13ELNS0_17block_load_methodE3ELS4_3ELS4_3ELNS0_20block_scan_algorithmE0ELj4294967295EEENS1_25partition_config_selectorILNS1_17partition_subalgoE4EjNS0_10empty_typeEbEEZZNS1_14partition_implILS8_4ELb0ES6_15HIP_vector_typeIjLj2EENS0_17counting_iteratorIjlEEPS9_SG_NS0_5tupleIJPjSI_NS0_16reverse_iteratorISI_EEEEENSH_IJSG_SG_SG_EEES9_SI_JZNS1_25segmented_radix_sort_implINS0_14default_configELb1EPKdPdPKlPlN2at6native12_GLOBAL__N_18offset_tEEE10hipError_tPvRmT1_PNSt15iterator_traitsIS12_E10value_typeET2_T3_PNS13_IS18_E10value_typeET4_jRbjT5_S1E_jjP12ihipStream_tbEUljE_ZNSN_ISO_Lb1ESQ_SR_ST_SU_SY_EESZ_S10_S11_S12_S16_S17_S18_S1B_S1C_jS1D_jS1E_S1E_jjS1G_bEUljE0_EEESZ_S10_S11_S18_S1C_S1E_T6_T7_T9_mT8_S1G_bDpT10_ENKUlT_T0_E_clISt17integral_constantIbLb0EES1T_IbLb1EEEEDaS1P_S1Q_EUlS1P_E_NS1_11comp_targetILNS1_3genE4ELNS1_11target_archE910ELNS1_3gpuE8ELNS1_3repE0EEENS1_30default_config_static_selectorELNS0_4arch9wavefront6targetE0EEEvS12_.has_indirect_call, 0
	.section	.AMDGPU.csdata,"",@progbits
; Kernel info:
; codeLenInByte = 0
; TotalNumSgprs: 0
; NumVgprs: 0
; ScratchSize: 0
; MemoryBound: 0
; FloatMode: 240
; IeeeMode: 1
; LDSByteSize: 0 bytes/workgroup (compile time only)
; SGPRBlocks: 0
; VGPRBlocks: 0
; NumSGPRsForWavesPerEU: 1
; NumVGPRsForWavesPerEU: 1
; NamedBarCnt: 0
; Occupancy: 16
; WaveLimiterHint : 0
; COMPUTE_PGM_RSRC2:SCRATCH_EN: 0
; COMPUTE_PGM_RSRC2:USER_SGPR: 2
; COMPUTE_PGM_RSRC2:TRAP_HANDLER: 0
; COMPUTE_PGM_RSRC2:TGID_X_EN: 1
; COMPUTE_PGM_RSRC2:TGID_Y_EN: 0
; COMPUTE_PGM_RSRC2:TGID_Z_EN: 0
; COMPUTE_PGM_RSRC2:TIDIG_COMP_CNT: 0
	.section	.text._ZN7rocprim17ROCPRIM_400000_NS6detail17trampoline_kernelINS0_13select_configILj256ELj13ELNS0_17block_load_methodE3ELS4_3ELS4_3ELNS0_20block_scan_algorithmE0ELj4294967295EEENS1_25partition_config_selectorILNS1_17partition_subalgoE4EjNS0_10empty_typeEbEEZZNS1_14partition_implILS8_4ELb0ES6_15HIP_vector_typeIjLj2EENS0_17counting_iteratorIjlEEPS9_SG_NS0_5tupleIJPjSI_NS0_16reverse_iteratorISI_EEEEENSH_IJSG_SG_SG_EEES9_SI_JZNS1_25segmented_radix_sort_implINS0_14default_configELb1EPKdPdPKlPlN2at6native12_GLOBAL__N_18offset_tEEE10hipError_tPvRmT1_PNSt15iterator_traitsIS12_E10value_typeET2_T3_PNS13_IS18_E10value_typeET4_jRbjT5_S1E_jjP12ihipStream_tbEUljE_ZNSN_ISO_Lb1ESQ_SR_ST_SU_SY_EESZ_S10_S11_S12_S16_S17_S18_S1B_S1C_jS1D_jS1E_S1E_jjS1G_bEUljE0_EEESZ_S10_S11_S18_S1C_S1E_T6_T7_T9_mT8_S1G_bDpT10_ENKUlT_T0_E_clISt17integral_constantIbLb0EES1T_IbLb1EEEEDaS1P_S1Q_EUlS1P_E_NS1_11comp_targetILNS1_3genE3ELNS1_11target_archE908ELNS1_3gpuE7ELNS1_3repE0EEENS1_30default_config_static_selectorELNS0_4arch9wavefront6targetE0EEEvS12_,"axG",@progbits,_ZN7rocprim17ROCPRIM_400000_NS6detail17trampoline_kernelINS0_13select_configILj256ELj13ELNS0_17block_load_methodE3ELS4_3ELS4_3ELNS0_20block_scan_algorithmE0ELj4294967295EEENS1_25partition_config_selectorILNS1_17partition_subalgoE4EjNS0_10empty_typeEbEEZZNS1_14partition_implILS8_4ELb0ES6_15HIP_vector_typeIjLj2EENS0_17counting_iteratorIjlEEPS9_SG_NS0_5tupleIJPjSI_NS0_16reverse_iteratorISI_EEEEENSH_IJSG_SG_SG_EEES9_SI_JZNS1_25segmented_radix_sort_implINS0_14default_configELb1EPKdPdPKlPlN2at6native12_GLOBAL__N_18offset_tEEE10hipError_tPvRmT1_PNSt15iterator_traitsIS12_E10value_typeET2_T3_PNS13_IS18_E10value_typeET4_jRbjT5_S1E_jjP12ihipStream_tbEUljE_ZNSN_ISO_Lb1ESQ_SR_ST_SU_SY_EESZ_S10_S11_S12_S16_S17_S18_S1B_S1C_jS1D_jS1E_S1E_jjS1G_bEUljE0_EEESZ_S10_S11_S18_S1C_S1E_T6_T7_T9_mT8_S1G_bDpT10_ENKUlT_T0_E_clISt17integral_constantIbLb0EES1T_IbLb1EEEEDaS1P_S1Q_EUlS1P_E_NS1_11comp_targetILNS1_3genE3ELNS1_11target_archE908ELNS1_3gpuE7ELNS1_3repE0EEENS1_30default_config_static_selectorELNS0_4arch9wavefront6targetE0EEEvS12_,comdat
	.globl	_ZN7rocprim17ROCPRIM_400000_NS6detail17trampoline_kernelINS0_13select_configILj256ELj13ELNS0_17block_load_methodE3ELS4_3ELS4_3ELNS0_20block_scan_algorithmE0ELj4294967295EEENS1_25partition_config_selectorILNS1_17partition_subalgoE4EjNS0_10empty_typeEbEEZZNS1_14partition_implILS8_4ELb0ES6_15HIP_vector_typeIjLj2EENS0_17counting_iteratorIjlEEPS9_SG_NS0_5tupleIJPjSI_NS0_16reverse_iteratorISI_EEEEENSH_IJSG_SG_SG_EEES9_SI_JZNS1_25segmented_radix_sort_implINS0_14default_configELb1EPKdPdPKlPlN2at6native12_GLOBAL__N_18offset_tEEE10hipError_tPvRmT1_PNSt15iterator_traitsIS12_E10value_typeET2_T3_PNS13_IS18_E10value_typeET4_jRbjT5_S1E_jjP12ihipStream_tbEUljE_ZNSN_ISO_Lb1ESQ_SR_ST_SU_SY_EESZ_S10_S11_S12_S16_S17_S18_S1B_S1C_jS1D_jS1E_S1E_jjS1G_bEUljE0_EEESZ_S10_S11_S18_S1C_S1E_T6_T7_T9_mT8_S1G_bDpT10_ENKUlT_T0_E_clISt17integral_constantIbLb0EES1T_IbLb1EEEEDaS1P_S1Q_EUlS1P_E_NS1_11comp_targetILNS1_3genE3ELNS1_11target_archE908ELNS1_3gpuE7ELNS1_3repE0EEENS1_30default_config_static_selectorELNS0_4arch9wavefront6targetE0EEEvS12_ ; -- Begin function _ZN7rocprim17ROCPRIM_400000_NS6detail17trampoline_kernelINS0_13select_configILj256ELj13ELNS0_17block_load_methodE3ELS4_3ELS4_3ELNS0_20block_scan_algorithmE0ELj4294967295EEENS1_25partition_config_selectorILNS1_17partition_subalgoE4EjNS0_10empty_typeEbEEZZNS1_14partition_implILS8_4ELb0ES6_15HIP_vector_typeIjLj2EENS0_17counting_iteratorIjlEEPS9_SG_NS0_5tupleIJPjSI_NS0_16reverse_iteratorISI_EEEEENSH_IJSG_SG_SG_EEES9_SI_JZNS1_25segmented_radix_sort_implINS0_14default_configELb1EPKdPdPKlPlN2at6native12_GLOBAL__N_18offset_tEEE10hipError_tPvRmT1_PNSt15iterator_traitsIS12_E10value_typeET2_T3_PNS13_IS18_E10value_typeET4_jRbjT5_S1E_jjP12ihipStream_tbEUljE_ZNSN_ISO_Lb1ESQ_SR_ST_SU_SY_EESZ_S10_S11_S12_S16_S17_S18_S1B_S1C_jS1D_jS1E_S1E_jjS1G_bEUljE0_EEESZ_S10_S11_S18_S1C_S1E_T6_T7_T9_mT8_S1G_bDpT10_ENKUlT_T0_E_clISt17integral_constantIbLb0EES1T_IbLb1EEEEDaS1P_S1Q_EUlS1P_E_NS1_11comp_targetILNS1_3genE3ELNS1_11target_archE908ELNS1_3gpuE7ELNS1_3repE0EEENS1_30default_config_static_selectorELNS0_4arch9wavefront6targetE0EEEvS12_
	.p2align	8
	.type	_ZN7rocprim17ROCPRIM_400000_NS6detail17trampoline_kernelINS0_13select_configILj256ELj13ELNS0_17block_load_methodE3ELS4_3ELS4_3ELNS0_20block_scan_algorithmE0ELj4294967295EEENS1_25partition_config_selectorILNS1_17partition_subalgoE4EjNS0_10empty_typeEbEEZZNS1_14partition_implILS8_4ELb0ES6_15HIP_vector_typeIjLj2EENS0_17counting_iteratorIjlEEPS9_SG_NS0_5tupleIJPjSI_NS0_16reverse_iteratorISI_EEEEENSH_IJSG_SG_SG_EEES9_SI_JZNS1_25segmented_radix_sort_implINS0_14default_configELb1EPKdPdPKlPlN2at6native12_GLOBAL__N_18offset_tEEE10hipError_tPvRmT1_PNSt15iterator_traitsIS12_E10value_typeET2_T3_PNS13_IS18_E10value_typeET4_jRbjT5_S1E_jjP12ihipStream_tbEUljE_ZNSN_ISO_Lb1ESQ_SR_ST_SU_SY_EESZ_S10_S11_S12_S16_S17_S18_S1B_S1C_jS1D_jS1E_S1E_jjS1G_bEUljE0_EEESZ_S10_S11_S18_S1C_S1E_T6_T7_T9_mT8_S1G_bDpT10_ENKUlT_T0_E_clISt17integral_constantIbLb0EES1T_IbLb1EEEEDaS1P_S1Q_EUlS1P_E_NS1_11comp_targetILNS1_3genE3ELNS1_11target_archE908ELNS1_3gpuE7ELNS1_3repE0EEENS1_30default_config_static_selectorELNS0_4arch9wavefront6targetE0EEEvS12_,@function
_ZN7rocprim17ROCPRIM_400000_NS6detail17trampoline_kernelINS0_13select_configILj256ELj13ELNS0_17block_load_methodE3ELS4_3ELS4_3ELNS0_20block_scan_algorithmE0ELj4294967295EEENS1_25partition_config_selectorILNS1_17partition_subalgoE4EjNS0_10empty_typeEbEEZZNS1_14partition_implILS8_4ELb0ES6_15HIP_vector_typeIjLj2EENS0_17counting_iteratorIjlEEPS9_SG_NS0_5tupleIJPjSI_NS0_16reverse_iteratorISI_EEEEENSH_IJSG_SG_SG_EEES9_SI_JZNS1_25segmented_radix_sort_implINS0_14default_configELb1EPKdPdPKlPlN2at6native12_GLOBAL__N_18offset_tEEE10hipError_tPvRmT1_PNSt15iterator_traitsIS12_E10value_typeET2_T3_PNS13_IS18_E10value_typeET4_jRbjT5_S1E_jjP12ihipStream_tbEUljE_ZNSN_ISO_Lb1ESQ_SR_ST_SU_SY_EESZ_S10_S11_S12_S16_S17_S18_S1B_S1C_jS1D_jS1E_S1E_jjS1G_bEUljE0_EEESZ_S10_S11_S18_S1C_S1E_T6_T7_T9_mT8_S1G_bDpT10_ENKUlT_T0_E_clISt17integral_constantIbLb0EES1T_IbLb1EEEEDaS1P_S1Q_EUlS1P_E_NS1_11comp_targetILNS1_3genE3ELNS1_11target_archE908ELNS1_3gpuE7ELNS1_3repE0EEENS1_30default_config_static_selectorELNS0_4arch9wavefront6targetE0EEEvS12_: ; @_ZN7rocprim17ROCPRIM_400000_NS6detail17trampoline_kernelINS0_13select_configILj256ELj13ELNS0_17block_load_methodE3ELS4_3ELS4_3ELNS0_20block_scan_algorithmE0ELj4294967295EEENS1_25partition_config_selectorILNS1_17partition_subalgoE4EjNS0_10empty_typeEbEEZZNS1_14partition_implILS8_4ELb0ES6_15HIP_vector_typeIjLj2EENS0_17counting_iteratorIjlEEPS9_SG_NS0_5tupleIJPjSI_NS0_16reverse_iteratorISI_EEEEENSH_IJSG_SG_SG_EEES9_SI_JZNS1_25segmented_radix_sort_implINS0_14default_configELb1EPKdPdPKlPlN2at6native12_GLOBAL__N_18offset_tEEE10hipError_tPvRmT1_PNSt15iterator_traitsIS12_E10value_typeET2_T3_PNS13_IS18_E10value_typeET4_jRbjT5_S1E_jjP12ihipStream_tbEUljE_ZNSN_ISO_Lb1ESQ_SR_ST_SU_SY_EESZ_S10_S11_S12_S16_S17_S18_S1B_S1C_jS1D_jS1E_S1E_jjS1G_bEUljE0_EEESZ_S10_S11_S18_S1C_S1E_T6_T7_T9_mT8_S1G_bDpT10_ENKUlT_T0_E_clISt17integral_constantIbLb0EES1T_IbLb1EEEEDaS1P_S1Q_EUlS1P_E_NS1_11comp_targetILNS1_3genE3ELNS1_11target_archE908ELNS1_3gpuE7ELNS1_3repE0EEENS1_30default_config_static_selectorELNS0_4arch9wavefront6targetE0EEEvS12_
; %bb.0:
	.section	.rodata,"a",@progbits
	.p2align	6, 0x0
	.amdhsa_kernel _ZN7rocprim17ROCPRIM_400000_NS6detail17trampoline_kernelINS0_13select_configILj256ELj13ELNS0_17block_load_methodE3ELS4_3ELS4_3ELNS0_20block_scan_algorithmE0ELj4294967295EEENS1_25partition_config_selectorILNS1_17partition_subalgoE4EjNS0_10empty_typeEbEEZZNS1_14partition_implILS8_4ELb0ES6_15HIP_vector_typeIjLj2EENS0_17counting_iteratorIjlEEPS9_SG_NS0_5tupleIJPjSI_NS0_16reverse_iteratorISI_EEEEENSH_IJSG_SG_SG_EEES9_SI_JZNS1_25segmented_radix_sort_implINS0_14default_configELb1EPKdPdPKlPlN2at6native12_GLOBAL__N_18offset_tEEE10hipError_tPvRmT1_PNSt15iterator_traitsIS12_E10value_typeET2_T3_PNS13_IS18_E10value_typeET4_jRbjT5_S1E_jjP12ihipStream_tbEUljE_ZNSN_ISO_Lb1ESQ_SR_ST_SU_SY_EESZ_S10_S11_S12_S16_S17_S18_S1B_S1C_jS1D_jS1E_S1E_jjS1G_bEUljE0_EEESZ_S10_S11_S18_S1C_S1E_T6_T7_T9_mT8_S1G_bDpT10_ENKUlT_T0_E_clISt17integral_constantIbLb0EES1T_IbLb1EEEEDaS1P_S1Q_EUlS1P_E_NS1_11comp_targetILNS1_3genE3ELNS1_11target_archE908ELNS1_3gpuE7ELNS1_3repE0EEENS1_30default_config_static_selectorELNS0_4arch9wavefront6targetE0EEEvS12_
		.amdhsa_group_segment_fixed_size 0
		.amdhsa_private_segment_fixed_size 0
		.amdhsa_kernarg_size 184
		.amdhsa_user_sgpr_count 2
		.amdhsa_user_sgpr_dispatch_ptr 0
		.amdhsa_user_sgpr_queue_ptr 0
		.amdhsa_user_sgpr_kernarg_segment_ptr 1
		.amdhsa_user_sgpr_dispatch_id 0
		.amdhsa_user_sgpr_kernarg_preload_length 0
		.amdhsa_user_sgpr_kernarg_preload_offset 0
		.amdhsa_user_sgpr_private_segment_size 0
		.amdhsa_wavefront_size32 1
		.amdhsa_uses_dynamic_stack 0
		.amdhsa_enable_private_segment 0
		.amdhsa_system_sgpr_workgroup_id_x 1
		.amdhsa_system_sgpr_workgroup_id_y 0
		.amdhsa_system_sgpr_workgroup_id_z 0
		.amdhsa_system_sgpr_workgroup_info 0
		.amdhsa_system_vgpr_workitem_id 0
		.amdhsa_next_free_vgpr 1
		.amdhsa_next_free_sgpr 1
		.amdhsa_named_barrier_count 0
		.amdhsa_reserve_vcc 0
		.amdhsa_float_round_mode_32 0
		.amdhsa_float_round_mode_16_64 0
		.amdhsa_float_denorm_mode_32 3
		.amdhsa_float_denorm_mode_16_64 3
		.amdhsa_fp16_overflow 0
		.amdhsa_memory_ordered 1
		.amdhsa_forward_progress 1
		.amdhsa_inst_pref_size 0
		.amdhsa_round_robin_scheduling 0
		.amdhsa_exception_fp_ieee_invalid_op 0
		.amdhsa_exception_fp_denorm_src 0
		.amdhsa_exception_fp_ieee_div_zero 0
		.amdhsa_exception_fp_ieee_overflow 0
		.amdhsa_exception_fp_ieee_underflow 0
		.amdhsa_exception_fp_ieee_inexact 0
		.amdhsa_exception_int_div_zero 0
	.end_amdhsa_kernel
	.section	.text._ZN7rocprim17ROCPRIM_400000_NS6detail17trampoline_kernelINS0_13select_configILj256ELj13ELNS0_17block_load_methodE3ELS4_3ELS4_3ELNS0_20block_scan_algorithmE0ELj4294967295EEENS1_25partition_config_selectorILNS1_17partition_subalgoE4EjNS0_10empty_typeEbEEZZNS1_14partition_implILS8_4ELb0ES6_15HIP_vector_typeIjLj2EENS0_17counting_iteratorIjlEEPS9_SG_NS0_5tupleIJPjSI_NS0_16reverse_iteratorISI_EEEEENSH_IJSG_SG_SG_EEES9_SI_JZNS1_25segmented_radix_sort_implINS0_14default_configELb1EPKdPdPKlPlN2at6native12_GLOBAL__N_18offset_tEEE10hipError_tPvRmT1_PNSt15iterator_traitsIS12_E10value_typeET2_T3_PNS13_IS18_E10value_typeET4_jRbjT5_S1E_jjP12ihipStream_tbEUljE_ZNSN_ISO_Lb1ESQ_SR_ST_SU_SY_EESZ_S10_S11_S12_S16_S17_S18_S1B_S1C_jS1D_jS1E_S1E_jjS1G_bEUljE0_EEESZ_S10_S11_S18_S1C_S1E_T6_T7_T9_mT8_S1G_bDpT10_ENKUlT_T0_E_clISt17integral_constantIbLb0EES1T_IbLb1EEEEDaS1P_S1Q_EUlS1P_E_NS1_11comp_targetILNS1_3genE3ELNS1_11target_archE908ELNS1_3gpuE7ELNS1_3repE0EEENS1_30default_config_static_selectorELNS0_4arch9wavefront6targetE0EEEvS12_,"axG",@progbits,_ZN7rocprim17ROCPRIM_400000_NS6detail17trampoline_kernelINS0_13select_configILj256ELj13ELNS0_17block_load_methodE3ELS4_3ELS4_3ELNS0_20block_scan_algorithmE0ELj4294967295EEENS1_25partition_config_selectorILNS1_17partition_subalgoE4EjNS0_10empty_typeEbEEZZNS1_14partition_implILS8_4ELb0ES6_15HIP_vector_typeIjLj2EENS0_17counting_iteratorIjlEEPS9_SG_NS0_5tupleIJPjSI_NS0_16reverse_iteratorISI_EEEEENSH_IJSG_SG_SG_EEES9_SI_JZNS1_25segmented_radix_sort_implINS0_14default_configELb1EPKdPdPKlPlN2at6native12_GLOBAL__N_18offset_tEEE10hipError_tPvRmT1_PNSt15iterator_traitsIS12_E10value_typeET2_T3_PNS13_IS18_E10value_typeET4_jRbjT5_S1E_jjP12ihipStream_tbEUljE_ZNSN_ISO_Lb1ESQ_SR_ST_SU_SY_EESZ_S10_S11_S12_S16_S17_S18_S1B_S1C_jS1D_jS1E_S1E_jjS1G_bEUljE0_EEESZ_S10_S11_S18_S1C_S1E_T6_T7_T9_mT8_S1G_bDpT10_ENKUlT_T0_E_clISt17integral_constantIbLb0EES1T_IbLb1EEEEDaS1P_S1Q_EUlS1P_E_NS1_11comp_targetILNS1_3genE3ELNS1_11target_archE908ELNS1_3gpuE7ELNS1_3repE0EEENS1_30default_config_static_selectorELNS0_4arch9wavefront6targetE0EEEvS12_,comdat
.Lfunc_end1075:
	.size	_ZN7rocprim17ROCPRIM_400000_NS6detail17trampoline_kernelINS0_13select_configILj256ELj13ELNS0_17block_load_methodE3ELS4_3ELS4_3ELNS0_20block_scan_algorithmE0ELj4294967295EEENS1_25partition_config_selectorILNS1_17partition_subalgoE4EjNS0_10empty_typeEbEEZZNS1_14partition_implILS8_4ELb0ES6_15HIP_vector_typeIjLj2EENS0_17counting_iteratorIjlEEPS9_SG_NS0_5tupleIJPjSI_NS0_16reverse_iteratorISI_EEEEENSH_IJSG_SG_SG_EEES9_SI_JZNS1_25segmented_radix_sort_implINS0_14default_configELb1EPKdPdPKlPlN2at6native12_GLOBAL__N_18offset_tEEE10hipError_tPvRmT1_PNSt15iterator_traitsIS12_E10value_typeET2_T3_PNS13_IS18_E10value_typeET4_jRbjT5_S1E_jjP12ihipStream_tbEUljE_ZNSN_ISO_Lb1ESQ_SR_ST_SU_SY_EESZ_S10_S11_S12_S16_S17_S18_S1B_S1C_jS1D_jS1E_S1E_jjS1G_bEUljE0_EEESZ_S10_S11_S18_S1C_S1E_T6_T7_T9_mT8_S1G_bDpT10_ENKUlT_T0_E_clISt17integral_constantIbLb0EES1T_IbLb1EEEEDaS1P_S1Q_EUlS1P_E_NS1_11comp_targetILNS1_3genE3ELNS1_11target_archE908ELNS1_3gpuE7ELNS1_3repE0EEENS1_30default_config_static_selectorELNS0_4arch9wavefront6targetE0EEEvS12_, .Lfunc_end1075-_ZN7rocprim17ROCPRIM_400000_NS6detail17trampoline_kernelINS0_13select_configILj256ELj13ELNS0_17block_load_methodE3ELS4_3ELS4_3ELNS0_20block_scan_algorithmE0ELj4294967295EEENS1_25partition_config_selectorILNS1_17partition_subalgoE4EjNS0_10empty_typeEbEEZZNS1_14partition_implILS8_4ELb0ES6_15HIP_vector_typeIjLj2EENS0_17counting_iteratorIjlEEPS9_SG_NS0_5tupleIJPjSI_NS0_16reverse_iteratorISI_EEEEENSH_IJSG_SG_SG_EEES9_SI_JZNS1_25segmented_radix_sort_implINS0_14default_configELb1EPKdPdPKlPlN2at6native12_GLOBAL__N_18offset_tEEE10hipError_tPvRmT1_PNSt15iterator_traitsIS12_E10value_typeET2_T3_PNS13_IS18_E10value_typeET4_jRbjT5_S1E_jjP12ihipStream_tbEUljE_ZNSN_ISO_Lb1ESQ_SR_ST_SU_SY_EESZ_S10_S11_S12_S16_S17_S18_S1B_S1C_jS1D_jS1E_S1E_jjS1G_bEUljE0_EEESZ_S10_S11_S18_S1C_S1E_T6_T7_T9_mT8_S1G_bDpT10_ENKUlT_T0_E_clISt17integral_constantIbLb0EES1T_IbLb1EEEEDaS1P_S1Q_EUlS1P_E_NS1_11comp_targetILNS1_3genE3ELNS1_11target_archE908ELNS1_3gpuE7ELNS1_3repE0EEENS1_30default_config_static_selectorELNS0_4arch9wavefront6targetE0EEEvS12_
                                        ; -- End function
	.set _ZN7rocprim17ROCPRIM_400000_NS6detail17trampoline_kernelINS0_13select_configILj256ELj13ELNS0_17block_load_methodE3ELS4_3ELS4_3ELNS0_20block_scan_algorithmE0ELj4294967295EEENS1_25partition_config_selectorILNS1_17partition_subalgoE4EjNS0_10empty_typeEbEEZZNS1_14partition_implILS8_4ELb0ES6_15HIP_vector_typeIjLj2EENS0_17counting_iteratorIjlEEPS9_SG_NS0_5tupleIJPjSI_NS0_16reverse_iteratorISI_EEEEENSH_IJSG_SG_SG_EEES9_SI_JZNS1_25segmented_radix_sort_implINS0_14default_configELb1EPKdPdPKlPlN2at6native12_GLOBAL__N_18offset_tEEE10hipError_tPvRmT1_PNSt15iterator_traitsIS12_E10value_typeET2_T3_PNS13_IS18_E10value_typeET4_jRbjT5_S1E_jjP12ihipStream_tbEUljE_ZNSN_ISO_Lb1ESQ_SR_ST_SU_SY_EESZ_S10_S11_S12_S16_S17_S18_S1B_S1C_jS1D_jS1E_S1E_jjS1G_bEUljE0_EEESZ_S10_S11_S18_S1C_S1E_T6_T7_T9_mT8_S1G_bDpT10_ENKUlT_T0_E_clISt17integral_constantIbLb0EES1T_IbLb1EEEEDaS1P_S1Q_EUlS1P_E_NS1_11comp_targetILNS1_3genE3ELNS1_11target_archE908ELNS1_3gpuE7ELNS1_3repE0EEENS1_30default_config_static_selectorELNS0_4arch9wavefront6targetE0EEEvS12_.num_vgpr, 0
	.set _ZN7rocprim17ROCPRIM_400000_NS6detail17trampoline_kernelINS0_13select_configILj256ELj13ELNS0_17block_load_methodE3ELS4_3ELS4_3ELNS0_20block_scan_algorithmE0ELj4294967295EEENS1_25partition_config_selectorILNS1_17partition_subalgoE4EjNS0_10empty_typeEbEEZZNS1_14partition_implILS8_4ELb0ES6_15HIP_vector_typeIjLj2EENS0_17counting_iteratorIjlEEPS9_SG_NS0_5tupleIJPjSI_NS0_16reverse_iteratorISI_EEEEENSH_IJSG_SG_SG_EEES9_SI_JZNS1_25segmented_radix_sort_implINS0_14default_configELb1EPKdPdPKlPlN2at6native12_GLOBAL__N_18offset_tEEE10hipError_tPvRmT1_PNSt15iterator_traitsIS12_E10value_typeET2_T3_PNS13_IS18_E10value_typeET4_jRbjT5_S1E_jjP12ihipStream_tbEUljE_ZNSN_ISO_Lb1ESQ_SR_ST_SU_SY_EESZ_S10_S11_S12_S16_S17_S18_S1B_S1C_jS1D_jS1E_S1E_jjS1G_bEUljE0_EEESZ_S10_S11_S18_S1C_S1E_T6_T7_T9_mT8_S1G_bDpT10_ENKUlT_T0_E_clISt17integral_constantIbLb0EES1T_IbLb1EEEEDaS1P_S1Q_EUlS1P_E_NS1_11comp_targetILNS1_3genE3ELNS1_11target_archE908ELNS1_3gpuE7ELNS1_3repE0EEENS1_30default_config_static_selectorELNS0_4arch9wavefront6targetE0EEEvS12_.num_agpr, 0
	.set _ZN7rocprim17ROCPRIM_400000_NS6detail17trampoline_kernelINS0_13select_configILj256ELj13ELNS0_17block_load_methodE3ELS4_3ELS4_3ELNS0_20block_scan_algorithmE0ELj4294967295EEENS1_25partition_config_selectorILNS1_17partition_subalgoE4EjNS0_10empty_typeEbEEZZNS1_14partition_implILS8_4ELb0ES6_15HIP_vector_typeIjLj2EENS0_17counting_iteratorIjlEEPS9_SG_NS0_5tupleIJPjSI_NS0_16reverse_iteratorISI_EEEEENSH_IJSG_SG_SG_EEES9_SI_JZNS1_25segmented_radix_sort_implINS0_14default_configELb1EPKdPdPKlPlN2at6native12_GLOBAL__N_18offset_tEEE10hipError_tPvRmT1_PNSt15iterator_traitsIS12_E10value_typeET2_T3_PNS13_IS18_E10value_typeET4_jRbjT5_S1E_jjP12ihipStream_tbEUljE_ZNSN_ISO_Lb1ESQ_SR_ST_SU_SY_EESZ_S10_S11_S12_S16_S17_S18_S1B_S1C_jS1D_jS1E_S1E_jjS1G_bEUljE0_EEESZ_S10_S11_S18_S1C_S1E_T6_T7_T9_mT8_S1G_bDpT10_ENKUlT_T0_E_clISt17integral_constantIbLb0EES1T_IbLb1EEEEDaS1P_S1Q_EUlS1P_E_NS1_11comp_targetILNS1_3genE3ELNS1_11target_archE908ELNS1_3gpuE7ELNS1_3repE0EEENS1_30default_config_static_selectorELNS0_4arch9wavefront6targetE0EEEvS12_.numbered_sgpr, 0
	.set _ZN7rocprim17ROCPRIM_400000_NS6detail17trampoline_kernelINS0_13select_configILj256ELj13ELNS0_17block_load_methodE3ELS4_3ELS4_3ELNS0_20block_scan_algorithmE0ELj4294967295EEENS1_25partition_config_selectorILNS1_17partition_subalgoE4EjNS0_10empty_typeEbEEZZNS1_14partition_implILS8_4ELb0ES6_15HIP_vector_typeIjLj2EENS0_17counting_iteratorIjlEEPS9_SG_NS0_5tupleIJPjSI_NS0_16reverse_iteratorISI_EEEEENSH_IJSG_SG_SG_EEES9_SI_JZNS1_25segmented_radix_sort_implINS0_14default_configELb1EPKdPdPKlPlN2at6native12_GLOBAL__N_18offset_tEEE10hipError_tPvRmT1_PNSt15iterator_traitsIS12_E10value_typeET2_T3_PNS13_IS18_E10value_typeET4_jRbjT5_S1E_jjP12ihipStream_tbEUljE_ZNSN_ISO_Lb1ESQ_SR_ST_SU_SY_EESZ_S10_S11_S12_S16_S17_S18_S1B_S1C_jS1D_jS1E_S1E_jjS1G_bEUljE0_EEESZ_S10_S11_S18_S1C_S1E_T6_T7_T9_mT8_S1G_bDpT10_ENKUlT_T0_E_clISt17integral_constantIbLb0EES1T_IbLb1EEEEDaS1P_S1Q_EUlS1P_E_NS1_11comp_targetILNS1_3genE3ELNS1_11target_archE908ELNS1_3gpuE7ELNS1_3repE0EEENS1_30default_config_static_selectorELNS0_4arch9wavefront6targetE0EEEvS12_.num_named_barrier, 0
	.set _ZN7rocprim17ROCPRIM_400000_NS6detail17trampoline_kernelINS0_13select_configILj256ELj13ELNS0_17block_load_methodE3ELS4_3ELS4_3ELNS0_20block_scan_algorithmE0ELj4294967295EEENS1_25partition_config_selectorILNS1_17partition_subalgoE4EjNS0_10empty_typeEbEEZZNS1_14partition_implILS8_4ELb0ES6_15HIP_vector_typeIjLj2EENS0_17counting_iteratorIjlEEPS9_SG_NS0_5tupleIJPjSI_NS0_16reverse_iteratorISI_EEEEENSH_IJSG_SG_SG_EEES9_SI_JZNS1_25segmented_radix_sort_implINS0_14default_configELb1EPKdPdPKlPlN2at6native12_GLOBAL__N_18offset_tEEE10hipError_tPvRmT1_PNSt15iterator_traitsIS12_E10value_typeET2_T3_PNS13_IS18_E10value_typeET4_jRbjT5_S1E_jjP12ihipStream_tbEUljE_ZNSN_ISO_Lb1ESQ_SR_ST_SU_SY_EESZ_S10_S11_S12_S16_S17_S18_S1B_S1C_jS1D_jS1E_S1E_jjS1G_bEUljE0_EEESZ_S10_S11_S18_S1C_S1E_T6_T7_T9_mT8_S1G_bDpT10_ENKUlT_T0_E_clISt17integral_constantIbLb0EES1T_IbLb1EEEEDaS1P_S1Q_EUlS1P_E_NS1_11comp_targetILNS1_3genE3ELNS1_11target_archE908ELNS1_3gpuE7ELNS1_3repE0EEENS1_30default_config_static_selectorELNS0_4arch9wavefront6targetE0EEEvS12_.private_seg_size, 0
	.set _ZN7rocprim17ROCPRIM_400000_NS6detail17trampoline_kernelINS0_13select_configILj256ELj13ELNS0_17block_load_methodE3ELS4_3ELS4_3ELNS0_20block_scan_algorithmE0ELj4294967295EEENS1_25partition_config_selectorILNS1_17partition_subalgoE4EjNS0_10empty_typeEbEEZZNS1_14partition_implILS8_4ELb0ES6_15HIP_vector_typeIjLj2EENS0_17counting_iteratorIjlEEPS9_SG_NS0_5tupleIJPjSI_NS0_16reverse_iteratorISI_EEEEENSH_IJSG_SG_SG_EEES9_SI_JZNS1_25segmented_radix_sort_implINS0_14default_configELb1EPKdPdPKlPlN2at6native12_GLOBAL__N_18offset_tEEE10hipError_tPvRmT1_PNSt15iterator_traitsIS12_E10value_typeET2_T3_PNS13_IS18_E10value_typeET4_jRbjT5_S1E_jjP12ihipStream_tbEUljE_ZNSN_ISO_Lb1ESQ_SR_ST_SU_SY_EESZ_S10_S11_S12_S16_S17_S18_S1B_S1C_jS1D_jS1E_S1E_jjS1G_bEUljE0_EEESZ_S10_S11_S18_S1C_S1E_T6_T7_T9_mT8_S1G_bDpT10_ENKUlT_T0_E_clISt17integral_constantIbLb0EES1T_IbLb1EEEEDaS1P_S1Q_EUlS1P_E_NS1_11comp_targetILNS1_3genE3ELNS1_11target_archE908ELNS1_3gpuE7ELNS1_3repE0EEENS1_30default_config_static_selectorELNS0_4arch9wavefront6targetE0EEEvS12_.uses_vcc, 0
	.set _ZN7rocprim17ROCPRIM_400000_NS6detail17trampoline_kernelINS0_13select_configILj256ELj13ELNS0_17block_load_methodE3ELS4_3ELS4_3ELNS0_20block_scan_algorithmE0ELj4294967295EEENS1_25partition_config_selectorILNS1_17partition_subalgoE4EjNS0_10empty_typeEbEEZZNS1_14partition_implILS8_4ELb0ES6_15HIP_vector_typeIjLj2EENS0_17counting_iteratorIjlEEPS9_SG_NS0_5tupleIJPjSI_NS0_16reverse_iteratorISI_EEEEENSH_IJSG_SG_SG_EEES9_SI_JZNS1_25segmented_radix_sort_implINS0_14default_configELb1EPKdPdPKlPlN2at6native12_GLOBAL__N_18offset_tEEE10hipError_tPvRmT1_PNSt15iterator_traitsIS12_E10value_typeET2_T3_PNS13_IS18_E10value_typeET4_jRbjT5_S1E_jjP12ihipStream_tbEUljE_ZNSN_ISO_Lb1ESQ_SR_ST_SU_SY_EESZ_S10_S11_S12_S16_S17_S18_S1B_S1C_jS1D_jS1E_S1E_jjS1G_bEUljE0_EEESZ_S10_S11_S18_S1C_S1E_T6_T7_T9_mT8_S1G_bDpT10_ENKUlT_T0_E_clISt17integral_constantIbLb0EES1T_IbLb1EEEEDaS1P_S1Q_EUlS1P_E_NS1_11comp_targetILNS1_3genE3ELNS1_11target_archE908ELNS1_3gpuE7ELNS1_3repE0EEENS1_30default_config_static_selectorELNS0_4arch9wavefront6targetE0EEEvS12_.uses_flat_scratch, 0
	.set _ZN7rocprim17ROCPRIM_400000_NS6detail17trampoline_kernelINS0_13select_configILj256ELj13ELNS0_17block_load_methodE3ELS4_3ELS4_3ELNS0_20block_scan_algorithmE0ELj4294967295EEENS1_25partition_config_selectorILNS1_17partition_subalgoE4EjNS0_10empty_typeEbEEZZNS1_14partition_implILS8_4ELb0ES6_15HIP_vector_typeIjLj2EENS0_17counting_iteratorIjlEEPS9_SG_NS0_5tupleIJPjSI_NS0_16reverse_iteratorISI_EEEEENSH_IJSG_SG_SG_EEES9_SI_JZNS1_25segmented_radix_sort_implINS0_14default_configELb1EPKdPdPKlPlN2at6native12_GLOBAL__N_18offset_tEEE10hipError_tPvRmT1_PNSt15iterator_traitsIS12_E10value_typeET2_T3_PNS13_IS18_E10value_typeET4_jRbjT5_S1E_jjP12ihipStream_tbEUljE_ZNSN_ISO_Lb1ESQ_SR_ST_SU_SY_EESZ_S10_S11_S12_S16_S17_S18_S1B_S1C_jS1D_jS1E_S1E_jjS1G_bEUljE0_EEESZ_S10_S11_S18_S1C_S1E_T6_T7_T9_mT8_S1G_bDpT10_ENKUlT_T0_E_clISt17integral_constantIbLb0EES1T_IbLb1EEEEDaS1P_S1Q_EUlS1P_E_NS1_11comp_targetILNS1_3genE3ELNS1_11target_archE908ELNS1_3gpuE7ELNS1_3repE0EEENS1_30default_config_static_selectorELNS0_4arch9wavefront6targetE0EEEvS12_.has_dyn_sized_stack, 0
	.set _ZN7rocprim17ROCPRIM_400000_NS6detail17trampoline_kernelINS0_13select_configILj256ELj13ELNS0_17block_load_methodE3ELS4_3ELS4_3ELNS0_20block_scan_algorithmE0ELj4294967295EEENS1_25partition_config_selectorILNS1_17partition_subalgoE4EjNS0_10empty_typeEbEEZZNS1_14partition_implILS8_4ELb0ES6_15HIP_vector_typeIjLj2EENS0_17counting_iteratorIjlEEPS9_SG_NS0_5tupleIJPjSI_NS0_16reverse_iteratorISI_EEEEENSH_IJSG_SG_SG_EEES9_SI_JZNS1_25segmented_radix_sort_implINS0_14default_configELb1EPKdPdPKlPlN2at6native12_GLOBAL__N_18offset_tEEE10hipError_tPvRmT1_PNSt15iterator_traitsIS12_E10value_typeET2_T3_PNS13_IS18_E10value_typeET4_jRbjT5_S1E_jjP12ihipStream_tbEUljE_ZNSN_ISO_Lb1ESQ_SR_ST_SU_SY_EESZ_S10_S11_S12_S16_S17_S18_S1B_S1C_jS1D_jS1E_S1E_jjS1G_bEUljE0_EEESZ_S10_S11_S18_S1C_S1E_T6_T7_T9_mT8_S1G_bDpT10_ENKUlT_T0_E_clISt17integral_constantIbLb0EES1T_IbLb1EEEEDaS1P_S1Q_EUlS1P_E_NS1_11comp_targetILNS1_3genE3ELNS1_11target_archE908ELNS1_3gpuE7ELNS1_3repE0EEENS1_30default_config_static_selectorELNS0_4arch9wavefront6targetE0EEEvS12_.has_recursion, 0
	.set _ZN7rocprim17ROCPRIM_400000_NS6detail17trampoline_kernelINS0_13select_configILj256ELj13ELNS0_17block_load_methodE3ELS4_3ELS4_3ELNS0_20block_scan_algorithmE0ELj4294967295EEENS1_25partition_config_selectorILNS1_17partition_subalgoE4EjNS0_10empty_typeEbEEZZNS1_14partition_implILS8_4ELb0ES6_15HIP_vector_typeIjLj2EENS0_17counting_iteratorIjlEEPS9_SG_NS0_5tupleIJPjSI_NS0_16reverse_iteratorISI_EEEEENSH_IJSG_SG_SG_EEES9_SI_JZNS1_25segmented_radix_sort_implINS0_14default_configELb1EPKdPdPKlPlN2at6native12_GLOBAL__N_18offset_tEEE10hipError_tPvRmT1_PNSt15iterator_traitsIS12_E10value_typeET2_T3_PNS13_IS18_E10value_typeET4_jRbjT5_S1E_jjP12ihipStream_tbEUljE_ZNSN_ISO_Lb1ESQ_SR_ST_SU_SY_EESZ_S10_S11_S12_S16_S17_S18_S1B_S1C_jS1D_jS1E_S1E_jjS1G_bEUljE0_EEESZ_S10_S11_S18_S1C_S1E_T6_T7_T9_mT8_S1G_bDpT10_ENKUlT_T0_E_clISt17integral_constantIbLb0EES1T_IbLb1EEEEDaS1P_S1Q_EUlS1P_E_NS1_11comp_targetILNS1_3genE3ELNS1_11target_archE908ELNS1_3gpuE7ELNS1_3repE0EEENS1_30default_config_static_selectorELNS0_4arch9wavefront6targetE0EEEvS12_.has_indirect_call, 0
	.section	.AMDGPU.csdata,"",@progbits
; Kernel info:
; codeLenInByte = 0
; TotalNumSgprs: 0
; NumVgprs: 0
; ScratchSize: 0
; MemoryBound: 0
; FloatMode: 240
; IeeeMode: 1
; LDSByteSize: 0 bytes/workgroup (compile time only)
; SGPRBlocks: 0
; VGPRBlocks: 0
; NumSGPRsForWavesPerEU: 1
; NumVGPRsForWavesPerEU: 1
; NamedBarCnt: 0
; Occupancy: 16
; WaveLimiterHint : 0
; COMPUTE_PGM_RSRC2:SCRATCH_EN: 0
; COMPUTE_PGM_RSRC2:USER_SGPR: 2
; COMPUTE_PGM_RSRC2:TRAP_HANDLER: 0
; COMPUTE_PGM_RSRC2:TGID_X_EN: 1
; COMPUTE_PGM_RSRC2:TGID_Y_EN: 0
; COMPUTE_PGM_RSRC2:TGID_Z_EN: 0
; COMPUTE_PGM_RSRC2:TIDIG_COMP_CNT: 0
	.section	.text._ZN7rocprim17ROCPRIM_400000_NS6detail17trampoline_kernelINS0_13select_configILj256ELj13ELNS0_17block_load_methodE3ELS4_3ELS4_3ELNS0_20block_scan_algorithmE0ELj4294967295EEENS1_25partition_config_selectorILNS1_17partition_subalgoE4EjNS0_10empty_typeEbEEZZNS1_14partition_implILS8_4ELb0ES6_15HIP_vector_typeIjLj2EENS0_17counting_iteratorIjlEEPS9_SG_NS0_5tupleIJPjSI_NS0_16reverse_iteratorISI_EEEEENSH_IJSG_SG_SG_EEES9_SI_JZNS1_25segmented_radix_sort_implINS0_14default_configELb1EPKdPdPKlPlN2at6native12_GLOBAL__N_18offset_tEEE10hipError_tPvRmT1_PNSt15iterator_traitsIS12_E10value_typeET2_T3_PNS13_IS18_E10value_typeET4_jRbjT5_S1E_jjP12ihipStream_tbEUljE_ZNSN_ISO_Lb1ESQ_SR_ST_SU_SY_EESZ_S10_S11_S12_S16_S17_S18_S1B_S1C_jS1D_jS1E_S1E_jjS1G_bEUljE0_EEESZ_S10_S11_S18_S1C_S1E_T6_T7_T9_mT8_S1G_bDpT10_ENKUlT_T0_E_clISt17integral_constantIbLb0EES1T_IbLb1EEEEDaS1P_S1Q_EUlS1P_E_NS1_11comp_targetILNS1_3genE2ELNS1_11target_archE906ELNS1_3gpuE6ELNS1_3repE0EEENS1_30default_config_static_selectorELNS0_4arch9wavefront6targetE0EEEvS12_,"axG",@progbits,_ZN7rocprim17ROCPRIM_400000_NS6detail17trampoline_kernelINS0_13select_configILj256ELj13ELNS0_17block_load_methodE3ELS4_3ELS4_3ELNS0_20block_scan_algorithmE0ELj4294967295EEENS1_25partition_config_selectorILNS1_17partition_subalgoE4EjNS0_10empty_typeEbEEZZNS1_14partition_implILS8_4ELb0ES6_15HIP_vector_typeIjLj2EENS0_17counting_iteratorIjlEEPS9_SG_NS0_5tupleIJPjSI_NS0_16reverse_iteratorISI_EEEEENSH_IJSG_SG_SG_EEES9_SI_JZNS1_25segmented_radix_sort_implINS0_14default_configELb1EPKdPdPKlPlN2at6native12_GLOBAL__N_18offset_tEEE10hipError_tPvRmT1_PNSt15iterator_traitsIS12_E10value_typeET2_T3_PNS13_IS18_E10value_typeET4_jRbjT5_S1E_jjP12ihipStream_tbEUljE_ZNSN_ISO_Lb1ESQ_SR_ST_SU_SY_EESZ_S10_S11_S12_S16_S17_S18_S1B_S1C_jS1D_jS1E_S1E_jjS1G_bEUljE0_EEESZ_S10_S11_S18_S1C_S1E_T6_T7_T9_mT8_S1G_bDpT10_ENKUlT_T0_E_clISt17integral_constantIbLb0EES1T_IbLb1EEEEDaS1P_S1Q_EUlS1P_E_NS1_11comp_targetILNS1_3genE2ELNS1_11target_archE906ELNS1_3gpuE6ELNS1_3repE0EEENS1_30default_config_static_selectorELNS0_4arch9wavefront6targetE0EEEvS12_,comdat
	.globl	_ZN7rocprim17ROCPRIM_400000_NS6detail17trampoline_kernelINS0_13select_configILj256ELj13ELNS0_17block_load_methodE3ELS4_3ELS4_3ELNS0_20block_scan_algorithmE0ELj4294967295EEENS1_25partition_config_selectorILNS1_17partition_subalgoE4EjNS0_10empty_typeEbEEZZNS1_14partition_implILS8_4ELb0ES6_15HIP_vector_typeIjLj2EENS0_17counting_iteratorIjlEEPS9_SG_NS0_5tupleIJPjSI_NS0_16reverse_iteratorISI_EEEEENSH_IJSG_SG_SG_EEES9_SI_JZNS1_25segmented_radix_sort_implINS0_14default_configELb1EPKdPdPKlPlN2at6native12_GLOBAL__N_18offset_tEEE10hipError_tPvRmT1_PNSt15iterator_traitsIS12_E10value_typeET2_T3_PNS13_IS18_E10value_typeET4_jRbjT5_S1E_jjP12ihipStream_tbEUljE_ZNSN_ISO_Lb1ESQ_SR_ST_SU_SY_EESZ_S10_S11_S12_S16_S17_S18_S1B_S1C_jS1D_jS1E_S1E_jjS1G_bEUljE0_EEESZ_S10_S11_S18_S1C_S1E_T6_T7_T9_mT8_S1G_bDpT10_ENKUlT_T0_E_clISt17integral_constantIbLb0EES1T_IbLb1EEEEDaS1P_S1Q_EUlS1P_E_NS1_11comp_targetILNS1_3genE2ELNS1_11target_archE906ELNS1_3gpuE6ELNS1_3repE0EEENS1_30default_config_static_selectorELNS0_4arch9wavefront6targetE0EEEvS12_ ; -- Begin function _ZN7rocprim17ROCPRIM_400000_NS6detail17trampoline_kernelINS0_13select_configILj256ELj13ELNS0_17block_load_methodE3ELS4_3ELS4_3ELNS0_20block_scan_algorithmE0ELj4294967295EEENS1_25partition_config_selectorILNS1_17partition_subalgoE4EjNS0_10empty_typeEbEEZZNS1_14partition_implILS8_4ELb0ES6_15HIP_vector_typeIjLj2EENS0_17counting_iteratorIjlEEPS9_SG_NS0_5tupleIJPjSI_NS0_16reverse_iteratorISI_EEEEENSH_IJSG_SG_SG_EEES9_SI_JZNS1_25segmented_radix_sort_implINS0_14default_configELb1EPKdPdPKlPlN2at6native12_GLOBAL__N_18offset_tEEE10hipError_tPvRmT1_PNSt15iterator_traitsIS12_E10value_typeET2_T3_PNS13_IS18_E10value_typeET4_jRbjT5_S1E_jjP12ihipStream_tbEUljE_ZNSN_ISO_Lb1ESQ_SR_ST_SU_SY_EESZ_S10_S11_S12_S16_S17_S18_S1B_S1C_jS1D_jS1E_S1E_jjS1G_bEUljE0_EEESZ_S10_S11_S18_S1C_S1E_T6_T7_T9_mT8_S1G_bDpT10_ENKUlT_T0_E_clISt17integral_constantIbLb0EES1T_IbLb1EEEEDaS1P_S1Q_EUlS1P_E_NS1_11comp_targetILNS1_3genE2ELNS1_11target_archE906ELNS1_3gpuE6ELNS1_3repE0EEENS1_30default_config_static_selectorELNS0_4arch9wavefront6targetE0EEEvS12_
	.p2align	8
	.type	_ZN7rocprim17ROCPRIM_400000_NS6detail17trampoline_kernelINS0_13select_configILj256ELj13ELNS0_17block_load_methodE3ELS4_3ELS4_3ELNS0_20block_scan_algorithmE0ELj4294967295EEENS1_25partition_config_selectorILNS1_17partition_subalgoE4EjNS0_10empty_typeEbEEZZNS1_14partition_implILS8_4ELb0ES6_15HIP_vector_typeIjLj2EENS0_17counting_iteratorIjlEEPS9_SG_NS0_5tupleIJPjSI_NS0_16reverse_iteratorISI_EEEEENSH_IJSG_SG_SG_EEES9_SI_JZNS1_25segmented_radix_sort_implINS0_14default_configELb1EPKdPdPKlPlN2at6native12_GLOBAL__N_18offset_tEEE10hipError_tPvRmT1_PNSt15iterator_traitsIS12_E10value_typeET2_T3_PNS13_IS18_E10value_typeET4_jRbjT5_S1E_jjP12ihipStream_tbEUljE_ZNSN_ISO_Lb1ESQ_SR_ST_SU_SY_EESZ_S10_S11_S12_S16_S17_S18_S1B_S1C_jS1D_jS1E_S1E_jjS1G_bEUljE0_EEESZ_S10_S11_S18_S1C_S1E_T6_T7_T9_mT8_S1G_bDpT10_ENKUlT_T0_E_clISt17integral_constantIbLb0EES1T_IbLb1EEEEDaS1P_S1Q_EUlS1P_E_NS1_11comp_targetILNS1_3genE2ELNS1_11target_archE906ELNS1_3gpuE6ELNS1_3repE0EEENS1_30default_config_static_selectorELNS0_4arch9wavefront6targetE0EEEvS12_,@function
_ZN7rocprim17ROCPRIM_400000_NS6detail17trampoline_kernelINS0_13select_configILj256ELj13ELNS0_17block_load_methodE3ELS4_3ELS4_3ELNS0_20block_scan_algorithmE0ELj4294967295EEENS1_25partition_config_selectorILNS1_17partition_subalgoE4EjNS0_10empty_typeEbEEZZNS1_14partition_implILS8_4ELb0ES6_15HIP_vector_typeIjLj2EENS0_17counting_iteratorIjlEEPS9_SG_NS0_5tupleIJPjSI_NS0_16reverse_iteratorISI_EEEEENSH_IJSG_SG_SG_EEES9_SI_JZNS1_25segmented_radix_sort_implINS0_14default_configELb1EPKdPdPKlPlN2at6native12_GLOBAL__N_18offset_tEEE10hipError_tPvRmT1_PNSt15iterator_traitsIS12_E10value_typeET2_T3_PNS13_IS18_E10value_typeET4_jRbjT5_S1E_jjP12ihipStream_tbEUljE_ZNSN_ISO_Lb1ESQ_SR_ST_SU_SY_EESZ_S10_S11_S12_S16_S17_S18_S1B_S1C_jS1D_jS1E_S1E_jjS1G_bEUljE0_EEESZ_S10_S11_S18_S1C_S1E_T6_T7_T9_mT8_S1G_bDpT10_ENKUlT_T0_E_clISt17integral_constantIbLb0EES1T_IbLb1EEEEDaS1P_S1Q_EUlS1P_E_NS1_11comp_targetILNS1_3genE2ELNS1_11target_archE906ELNS1_3gpuE6ELNS1_3repE0EEENS1_30default_config_static_selectorELNS0_4arch9wavefront6targetE0EEEvS12_: ; @_ZN7rocprim17ROCPRIM_400000_NS6detail17trampoline_kernelINS0_13select_configILj256ELj13ELNS0_17block_load_methodE3ELS4_3ELS4_3ELNS0_20block_scan_algorithmE0ELj4294967295EEENS1_25partition_config_selectorILNS1_17partition_subalgoE4EjNS0_10empty_typeEbEEZZNS1_14partition_implILS8_4ELb0ES6_15HIP_vector_typeIjLj2EENS0_17counting_iteratorIjlEEPS9_SG_NS0_5tupleIJPjSI_NS0_16reverse_iteratorISI_EEEEENSH_IJSG_SG_SG_EEES9_SI_JZNS1_25segmented_radix_sort_implINS0_14default_configELb1EPKdPdPKlPlN2at6native12_GLOBAL__N_18offset_tEEE10hipError_tPvRmT1_PNSt15iterator_traitsIS12_E10value_typeET2_T3_PNS13_IS18_E10value_typeET4_jRbjT5_S1E_jjP12ihipStream_tbEUljE_ZNSN_ISO_Lb1ESQ_SR_ST_SU_SY_EESZ_S10_S11_S12_S16_S17_S18_S1B_S1C_jS1D_jS1E_S1E_jjS1G_bEUljE0_EEESZ_S10_S11_S18_S1C_S1E_T6_T7_T9_mT8_S1G_bDpT10_ENKUlT_T0_E_clISt17integral_constantIbLb0EES1T_IbLb1EEEEDaS1P_S1Q_EUlS1P_E_NS1_11comp_targetILNS1_3genE2ELNS1_11target_archE906ELNS1_3gpuE6ELNS1_3repE0EEENS1_30default_config_static_selectorELNS0_4arch9wavefront6targetE0EEEvS12_
; %bb.0:
	.section	.rodata,"a",@progbits
	.p2align	6, 0x0
	.amdhsa_kernel _ZN7rocprim17ROCPRIM_400000_NS6detail17trampoline_kernelINS0_13select_configILj256ELj13ELNS0_17block_load_methodE3ELS4_3ELS4_3ELNS0_20block_scan_algorithmE0ELj4294967295EEENS1_25partition_config_selectorILNS1_17partition_subalgoE4EjNS0_10empty_typeEbEEZZNS1_14partition_implILS8_4ELb0ES6_15HIP_vector_typeIjLj2EENS0_17counting_iteratorIjlEEPS9_SG_NS0_5tupleIJPjSI_NS0_16reverse_iteratorISI_EEEEENSH_IJSG_SG_SG_EEES9_SI_JZNS1_25segmented_radix_sort_implINS0_14default_configELb1EPKdPdPKlPlN2at6native12_GLOBAL__N_18offset_tEEE10hipError_tPvRmT1_PNSt15iterator_traitsIS12_E10value_typeET2_T3_PNS13_IS18_E10value_typeET4_jRbjT5_S1E_jjP12ihipStream_tbEUljE_ZNSN_ISO_Lb1ESQ_SR_ST_SU_SY_EESZ_S10_S11_S12_S16_S17_S18_S1B_S1C_jS1D_jS1E_S1E_jjS1G_bEUljE0_EEESZ_S10_S11_S18_S1C_S1E_T6_T7_T9_mT8_S1G_bDpT10_ENKUlT_T0_E_clISt17integral_constantIbLb0EES1T_IbLb1EEEEDaS1P_S1Q_EUlS1P_E_NS1_11comp_targetILNS1_3genE2ELNS1_11target_archE906ELNS1_3gpuE6ELNS1_3repE0EEENS1_30default_config_static_selectorELNS0_4arch9wavefront6targetE0EEEvS12_
		.amdhsa_group_segment_fixed_size 0
		.amdhsa_private_segment_fixed_size 0
		.amdhsa_kernarg_size 184
		.amdhsa_user_sgpr_count 2
		.amdhsa_user_sgpr_dispatch_ptr 0
		.amdhsa_user_sgpr_queue_ptr 0
		.amdhsa_user_sgpr_kernarg_segment_ptr 1
		.amdhsa_user_sgpr_dispatch_id 0
		.amdhsa_user_sgpr_kernarg_preload_length 0
		.amdhsa_user_sgpr_kernarg_preload_offset 0
		.amdhsa_user_sgpr_private_segment_size 0
		.amdhsa_wavefront_size32 1
		.amdhsa_uses_dynamic_stack 0
		.amdhsa_enable_private_segment 0
		.amdhsa_system_sgpr_workgroup_id_x 1
		.amdhsa_system_sgpr_workgroup_id_y 0
		.amdhsa_system_sgpr_workgroup_id_z 0
		.amdhsa_system_sgpr_workgroup_info 0
		.amdhsa_system_vgpr_workitem_id 0
		.amdhsa_next_free_vgpr 1
		.amdhsa_next_free_sgpr 1
		.amdhsa_named_barrier_count 0
		.amdhsa_reserve_vcc 0
		.amdhsa_float_round_mode_32 0
		.amdhsa_float_round_mode_16_64 0
		.amdhsa_float_denorm_mode_32 3
		.amdhsa_float_denorm_mode_16_64 3
		.amdhsa_fp16_overflow 0
		.amdhsa_memory_ordered 1
		.amdhsa_forward_progress 1
		.amdhsa_inst_pref_size 0
		.amdhsa_round_robin_scheduling 0
		.amdhsa_exception_fp_ieee_invalid_op 0
		.amdhsa_exception_fp_denorm_src 0
		.amdhsa_exception_fp_ieee_div_zero 0
		.amdhsa_exception_fp_ieee_overflow 0
		.amdhsa_exception_fp_ieee_underflow 0
		.amdhsa_exception_fp_ieee_inexact 0
		.amdhsa_exception_int_div_zero 0
	.end_amdhsa_kernel
	.section	.text._ZN7rocprim17ROCPRIM_400000_NS6detail17trampoline_kernelINS0_13select_configILj256ELj13ELNS0_17block_load_methodE3ELS4_3ELS4_3ELNS0_20block_scan_algorithmE0ELj4294967295EEENS1_25partition_config_selectorILNS1_17partition_subalgoE4EjNS0_10empty_typeEbEEZZNS1_14partition_implILS8_4ELb0ES6_15HIP_vector_typeIjLj2EENS0_17counting_iteratorIjlEEPS9_SG_NS0_5tupleIJPjSI_NS0_16reverse_iteratorISI_EEEEENSH_IJSG_SG_SG_EEES9_SI_JZNS1_25segmented_radix_sort_implINS0_14default_configELb1EPKdPdPKlPlN2at6native12_GLOBAL__N_18offset_tEEE10hipError_tPvRmT1_PNSt15iterator_traitsIS12_E10value_typeET2_T3_PNS13_IS18_E10value_typeET4_jRbjT5_S1E_jjP12ihipStream_tbEUljE_ZNSN_ISO_Lb1ESQ_SR_ST_SU_SY_EESZ_S10_S11_S12_S16_S17_S18_S1B_S1C_jS1D_jS1E_S1E_jjS1G_bEUljE0_EEESZ_S10_S11_S18_S1C_S1E_T6_T7_T9_mT8_S1G_bDpT10_ENKUlT_T0_E_clISt17integral_constantIbLb0EES1T_IbLb1EEEEDaS1P_S1Q_EUlS1P_E_NS1_11comp_targetILNS1_3genE2ELNS1_11target_archE906ELNS1_3gpuE6ELNS1_3repE0EEENS1_30default_config_static_selectorELNS0_4arch9wavefront6targetE0EEEvS12_,"axG",@progbits,_ZN7rocprim17ROCPRIM_400000_NS6detail17trampoline_kernelINS0_13select_configILj256ELj13ELNS0_17block_load_methodE3ELS4_3ELS4_3ELNS0_20block_scan_algorithmE0ELj4294967295EEENS1_25partition_config_selectorILNS1_17partition_subalgoE4EjNS0_10empty_typeEbEEZZNS1_14partition_implILS8_4ELb0ES6_15HIP_vector_typeIjLj2EENS0_17counting_iteratorIjlEEPS9_SG_NS0_5tupleIJPjSI_NS0_16reverse_iteratorISI_EEEEENSH_IJSG_SG_SG_EEES9_SI_JZNS1_25segmented_radix_sort_implINS0_14default_configELb1EPKdPdPKlPlN2at6native12_GLOBAL__N_18offset_tEEE10hipError_tPvRmT1_PNSt15iterator_traitsIS12_E10value_typeET2_T3_PNS13_IS18_E10value_typeET4_jRbjT5_S1E_jjP12ihipStream_tbEUljE_ZNSN_ISO_Lb1ESQ_SR_ST_SU_SY_EESZ_S10_S11_S12_S16_S17_S18_S1B_S1C_jS1D_jS1E_S1E_jjS1G_bEUljE0_EEESZ_S10_S11_S18_S1C_S1E_T6_T7_T9_mT8_S1G_bDpT10_ENKUlT_T0_E_clISt17integral_constantIbLb0EES1T_IbLb1EEEEDaS1P_S1Q_EUlS1P_E_NS1_11comp_targetILNS1_3genE2ELNS1_11target_archE906ELNS1_3gpuE6ELNS1_3repE0EEENS1_30default_config_static_selectorELNS0_4arch9wavefront6targetE0EEEvS12_,comdat
.Lfunc_end1076:
	.size	_ZN7rocprim17ROCPRIM_400000_NS6detail17trampoline_kernelINS0_13select_configILj256ELj13ELNS0_17block_load_methodE3ELS4_3ELS4_3ELNS0_20block_scan_algorithmE0ELj4294967295EEENS1_25partition_config_selectorILNS1_17partition_subalgoE4EjNS0_10empty_typeEbEEZZNS1_14partition_implILS8_4ELb0ES6_15HIP_vector_typeIjLj2EENS0_17counting_iteratorIjlEEPS9_SG_NS0_5tupleIJPjSI_NS0_16reverse_iteratorISI_EEEEENSH_IJSG_SG_SG_EEES9_SI_JZNS1_25segmented_radix_sort_implINS0_14default_configELb1EPKdPdPKlPlN2at6native12_GLOBAL__N_18offset_tEEE10hipError_tPvRmT1_PNSt15iterator_traitsIS12_E10value_typeET2_T3_PNS13_IS18_E10value_typeET4_jRbjT5_S1E_jjP12ihipStream_tbEUljE_ZNSN_ISO_Lb1ESQ_SR_ST_SU_SY_EESZ_S10_S11_S12_S16_S17_S18_S1B_S1C_jS1D_jS1E_S1E_jjS1G_bEUljE0_EEESZ_S10_S11_S18_S1C_S1E_T6_T7_T9_mT8_S1G_bDpT10_ENKUlT_T0_E_clISt17integral_constantIbLb0EES1T_IbLb1EEEEDaS1P_S1Q_EUlS1P_E_NS1_11comp_targetILNS1_3genE2ELNS1_11target_archE906ELNS1_3gpuE6ELNS1_3repE0EEENS1_30default_config_static_selectorELNS0_4arch9wavefront6targetE0EEEvS12_, .Lfunc_end1076-_ZN7rocprim17ROCPRIM_400000_NS6detail17trampoline_kernelINS0_13select_configILj256ELj13ELNS0_17block_load_methodE3ELS4_3ELS4_3ELNS0_20block_scan_algorithmE0ELj4294967295EEENS1_25partition_config_selectorILNS1_17partition_subalgoE4EjNS0_10empty_typeEbEEZZNS1_14partition_implILS8_4ELb0ES6_15HIP_vector_typeIjLj2EENS0_17counting_iteratorIjlEEPS9_SG_NS0_5tupleIJPjSI_NS0_16reverse_iteratorISI_EEEEENSH_IJSG_SG_SG_EEES9_SI_JZNS1_25segmented_radix_sort_implINS0_14default_configELb1EPKdPdPKlPlN2at6native12_GLOBAL__N_18offset_tEEE10hipError_tPvRmT1_PNSt15iterator_traitsIS12_E10value_typeET2_T3_PNS13_IS18_E10value_typeET4_jRbjT5_S1E_jjP12ihipStream_tbEUljE_ZNSN_ISO_Lb1ESQ_SR_ST_SU_SY_EESZ_S10_S11_S12_S16_S17_S18_S1B_S1C_jS1D_jS1E_S1E_jjS1G_bEUljE0_EEESZ_S10_S11_S18_S1C_S1E_T6_T7_T9_mT8_S1G_bDpT10_ENKUlT_T0_E_clISt17integral_constantIbLb0EES1T_IbLb1EEEEDaS1P_S1Q_EUlS1P_E_NS1_11comp_targetILNS1_3genE2ELNS1_11target_archE906ELNS1_3gpuE6ELNS1_3repE0EEENS1_30default_config_static_selectorELNS0_4arch9wavefront6targetE0EEEvS12_
                                        ; -- End function
	.set _ZN7rocprim17ROCPRIM_400000_NS6detail17trampoline_kernelINS0_13select_configILj256ELj13ELNS0_17block_load_methodE3ELS4_3ELS4_3ELNS0_20block_scan_algorithmE0ELj4294967295EEENS1_25partition_config_selectorILNS1_17partition_subalgoE4EjNS0_10empty_typeEbEEZZNS1_14partition_implILS8_4ELb0ES6_15HIP_vector_typeIjLj2EENS0_17counting_iteratorIjlEEPS9_SG_NS0_5tupleIJPjSI_NS0_16reverse_iteratorISI_EEEEENSH_IJSG_SG_SG_EEES9_SI_JZNS1_25segmented_radix_sort_implINS0_14default_configELb1EPKdPdPKlPlN2at6native12_GLOBAL__N_18offset_tEEE10hipError_tPvRmT1_PNSt15iterator_traitsIS12_E10value_typeET2_T3_PNS13_IS18_E10value_typeET4_jRbjT5_S1E_jjP12ihipStream_tbEUljE_ZNSN_ISO_Lb1ESQ_SR_ST_SU_SY_EESZ_S10_S11_S12_S16_S17_S18_S1B_S1C_jS1D_jS1E_S1E_jjS1G_bEUljE0_EEESZ_S10_S11_S18_S1C_S1E_T6_T7_T9_mT8_S1G_bDpT10_ENKUlT_T0_E_clISt17integral_constantIbLb0EES1T_IbLb1EEEEDaS1P_S1Q_EUlS1P_E_NS1_11comp_targetILNS1_3genE2ELNS1_11target_archE906ELNS1_3gpuE6ELNS1_3repE0EEENS1_30default_config_static_selectorELNS0_4arch9wavefront6targetE0EEEvS12_.num_vgpr, 0
	.set _ZN7rocprim17ROCPRIM_400000_NS6detail17trampoline_kernelINS0_13select_configILj256ELj13ELNS0_17block_load_methodE3ELS4_3ELS4_3ELNS0_20block_scan_algorithmE0ELj4294967295EEENS1_25partition_config_selectorILNS1_17partition_subalgoE4EjNS0_10empty_typeEbEEZZNS1_14partition_implILS8_4ELb0ES6_15HIP_vector_typeIjLj2EENS0_17counting_iteratorIjlEEPS9_SG_NS0_5tupleIJPjSI_NS0_16reverse_iteratorISI_EEEEENSH_IJSG_SG_SG_EEES9_SI_JZNS1_25segmented_radix_sort_implINS0_14default_configELb1EPKdPdPKlPlN2at6native12_GLOBAL__N_18offset_tEEE10hipError_tPvRmT1_PNSt15iterator_traitsIS12_E10value_typeET2_T3_PNS13_IS18_E10value_typeET4_jRbjT5_S1E_jjP12ihipStream_tbEUljE_ZNSN_ISO_Lb1ESQ_SR_ST_SU_SY_EESZ_S10_S11_S12_S16_S17_S18_S1B_S1C_jS1D_jS1E_S1E_jjS1G_bEUljE0_EEESZ_S10_S11_S18_S1C_S1E_T6_T7_T9_mT8_S1G_bDpT10_ENKUlT_T0_E_clISt17integral_constantIbLb0EES1T_IbLb1EEEEDaS1P_S1Q_EUlS1P_E_NS1_11comp_targetILNS1_3genE2ELNS1_11target_archE906ELNS1_3gpuE6ELNS1_3repE0EEENS1_30default_config_static_selectorELNS0_4arch9wavefront6targetE0EEEvS12_.num_agpr, 0
	.set _ZN7rocprim17ROCPRIM_400000_NS6detail17trampoline_kernelINS0_13select_configILj256ELj13ELNS0_17block_load_methodE3ELS4_3ELS4_3ELNS0_20block_scan_algorithmE0ELj4294967295EEENS1_25partition_config_selectorILNS1_17partition_subalgoE4EjNS0_10empty_typeEbEEZZNS1_14partition_implILS8_4ELb0ES6_15HIP_vector_typeIjLj2EENS0_17counting_iteratorIjlEEPS9_SG_NS0_5tupleIJPjSI_NS0_16reverse_iteratorISI_EEEEENSH_IJSG_SG_SG_EEES9_SI_JZNS1_25segmented_radix_sort_implINS0_14default_configELb1EPKdPdPKlPlN2at6native12_GLOBAL__N_18offset_tEEE10hipError_tPvRmT1_PNSt15iterator_traitsIS12_E10value_typeET2_T3_PNS13_IS18_E10value_typeET4_jRbjT5_S1E_jjP12ihipStream_tbEUljE_ZNSN_ISO_Lb1ESQ_SR_ST_SU_SY_EESZ_S10_S11_S12_S16_S17_S18_S1B_S1C_jS1D_jS1E_S1E_jjS1G_bEUljE0_EEESZ_S10_S11_S18_S1C_S1E_T6_T7_T9_mT8_S1G_bDpT10_ENKUlT_T0_E_clISt17integral_constantIbLb0EES1T_IbLb1EEEEDaS1P_S1Q_EUlS1P_E_NS1_11comp_targetILNS1_3genE2ELNS1_11target_archE906ELNS1_3gpuE6ELNS1_3repE0EEENS1_30default_config_static_selectorELNS0_4arch9wavefront6targetE0EEEvS12_.numbered_sgpr, 0
	.set _ZN7rocprim17ROCPRIM_400000_NS6detail17trampoline_kernelINS0_13select_configILj256ELj13ELNS0_17block_load_methodE3ELS4_3ELS4_3ELNS0_20block_scan_algorithmE0ELj4294967295EEENS1_25partition_config_selectorILNS1_17partition_subalgoE4EjNS0_10empty_typeEbEEZZNS1_14partition_implILS8_4ELb0ES6_15HIP_vector_typeIjLj2EENS0_17counting_iteratorIjlEEPS9_SG_NS0_5tupleIJPjSI_NS0_16reverse_iteratorISI_EEEEENSH_IJSG_SG_SG_EEES9_SI_JZNS1_25segmented_radix_sort_implINS0_14default_configELb1EPKdPdPKlPlN2at6native12_GLOBAL__N_18offset_tEEE10hipError_tPvRmT1_PNSt15iterator_traitsIS12_E10value_typeET2_T3_PNS13_IS18_E10value_typeET4_jRbjT5_S1E_jjP12ihipStream_tbEUljE_ZNSN_ISO_Lb1ESQ_SR_ST_SU_SY_EESZ_S10_S11_S12_S16_S17_S18_S1B_S1C_jS1D_jS1E_S1E_jjS1G_bEUljE0_EEESZ_S10_S11_S18_S1C_S1E_T6_T7_T9_mT8_S1G_bDpT10_ENKUlT_T0_E_clISt17integral_constantIbLb0EES1T_IbLb1EEEEDaS1P_S1Q_EUlS1P_E_NS1_11comp_targetILNS1_3genE2ELNS1_11target_archE906ELNS1_3gpuE6ELNS1_3repE0EEENS1_30default_config_static_selectorELNS0_4arch9wavefront6targetE0EEEvS12_.num_named_barrier, 0
	.set _ZN7rocprim17ROCPRIM_400000_NS6detail17trampoline_kernelINS0_13select_configILj256ELj13ELNS0_17block_load_methodE3ELS4_3ELS4_3ELNS0_20block_scan_algorithmE0ELj4294967295EEENS1_25partition_config_selectorILNS1_17partition_subalgoE4EjNS0_10empty_typeEbEEZZNS1_14partition_implILS8_4ELb0ES6_15HIP_vector_typeIjLj2EENS0_17counting_iteratorIjlEEPS9_SG_NS0_5tupleIJPjSI_NS0_16reverse_iteratorISI_EEEEENSH_IJSG_SG_SG_EEES9_SI_JZNS1_25segmented_radix_sort_implINS0_14default_configELb1EPKdPdPKlPlN2at6native12_GLOBAL__N_18offset_tEEE10hipError_tPvRmT1_PNSt15iterator_traitsIS12_E10value_typeET2_T3_PNS13_IS18_E10value_typeET4_jRbjT5_S1E_jjP12ihipStream_tbEUljE_ZNSN_ISO_Lb1ESQ_SR_ST_SU_SY_EESZ_S10_S11_S12_S16_S17_S18_S1B_S1C_jS1D_jS1E_S1E_jjS1G_bEUljE0_EEESZ_S10_S11_S18_S1C_S1E_T6_T7_T9_mT8_S1G_bDpT10_ENKUlT_T0_E_clISt17integral_constantIbLb0EES1T_IbLb1EEEEDaS1P_S1Q_EUlS1P_E_NS1_11comp_targetILNS1_3genE2ELNS1_11target_archE906ELNS1_3gpuE6ELNS1_3repE0EEENS1_30default_config_static_selectorELNS0_4arch9wavefront6targetE0EEEvS12_.private_seg_size, 0
	.set _ZN7rocprim17ROCPRIM_400000_NS6detail17trampoline_kernelINS0_13select_configILj256ELj13ELNS0_17block_load_methodE3ELS4_3ELS4_3ELNS0_20block_scan_algorithmE0ELj4294967295EEENS1_25partition_config_selectorILNS1_17partition_subalgoE4EjNS0_10empty_typeEbEEZZNS1_14partition_implILS8_4ELb0ES6_15HIP_vector_typeIjLj2EENS0_17counting_iteratorIjlEEPS9_SG_NS0_5tupleIJPjSI_NS0_16reverse_iteratorISI_EEEEENSH_IJSG_SG_SG_EEES9_SI_JZNS1_25segmented_radix_sort_implINS0_14default_configELb1EPKdPdPKlPlN2at6native12_GLOBAL__N_18offset_tEEE10hipError_tPvRmT1_PNSt15iterator_traitsIS12_E10value_typeET2_T3_PNS13_IS18_E10value_typeET4_jRbjT5_S1E_jjP12ihipStream_tbEUljE_ZNSN_ISO_Lb1ESQ_SR_ST_SU_SY_EESZ_S10_S11_S12_S16_S17_S18_S1B_S1C_jS1D_jS1E_S1E_jjS1G_bEUljE0_EEESZ_S10_S11_S18_S1C_S1E_T6_T7_T9_mT8_S1G_bDpT10_ENKUlT_T0_E_clISt17integral_constantIbLb0EES1T_IbLb1EEEEDaS1P_S1Q_EUlS1P_E_NS1_11comp_targetILNS1_3genE2ELNS1_11target_archE906ELNS1_3gpuE6ELNS1_3repE0EEENS1_30default_config_static_selectorELNS0_4arch9wavefront6targetE0EEEvS12_.uses_vcc, 0
	.set _ZN7rocprim17ROCPRIM_400000_NS6detail17trampoline_kernelINS0_13select_configILj256ELj13ELNS0_17block_load_methodE3ELS4_3ELS4_3ELNS0_20block_scan_algorithmE0ELj4294967295EEENS1_25partition_config_selectorILNS1_17partition_subalgoE4EjNS0_10empty_typeEbEEZZNS1_14partition_implILS8_4ELb0ES6_15HIP_vector_typeIjLj2EENS0_17counting_iteratorIjlEEPS9_SG_NS0_5tupleIJPjSI_NS0_16reverse_iteratorISI_EEEEENSH_IJSG_SG_SG_EEES9_SI_JZNS1_25segmented_radix_sort_implINS0_14default_configELb1EPKdPdPKlPlN2at6native12_GLOBAL__N_18offset_tEEE10hipError_tPvRmT1_PNSt15iterator_traitsIS12_E10value_typeET2_T3_PNS13_IS18_E10value_typeET4_jRbjT5_S1E_jjP12ihipStream_tbEUljE_ZNSN_ISO_Lb1ESQ_SR_ST_SU_SY_EESZ_S10_S11_S12_S16_S17_S18_S1B_S1C_jS1D_jS1E_S1E_jjS1G_bEUljE0_EEESZ_S10_S11_S18_S1C_S1E_T6_T7_T9_mT8_S1G_bDpT10_ENKUlT_T0_E_clISt17integral_constantIbLb0EES1T_IbLb1EEEEDaS1P_S1Q_EUlS1P_E_NS1_11comp_targetILNS1_3genE2ELNS1_11target_archE906ELNS1_3gpuE6ELNS1_3repE0EEENS1_30default_config_static_selectorELNS0_4arch9wavefront6targetE0EEEvS12_.uses_flat_scratch, 0
	.set _ZN7rocprim17ROCPRIM_400000_NS6detail17trampoline_kernelINS0_13select_configILj256ELj13ELNS0_17block_load_methodE3ELS4_3ELS4_3ELNS0_20block_scan_algorithmE0ELj4294967295EEENS1_25partition_config_selectorILNS1_17partition_subalgoE4EjNS0_10empty_typeEbEEZZNS1_14partition_implILS8_4ELb0ES6_15HIP_vector_typeIjLj2EENS0_17counting_iteratorIjlEEPS9_SG_NS0_5tupleIJPjSI_NS0_16reverse_iteratorISI_EEEEENSH_IJSG_SG_SG_EEES9_SI_JZNS1_25segmented_radix_sort_implINS0_14default_configELb1EPKdPdPKlPlN2at6native12_GLOBAL__N_18offset_tEEE10hipError_tPvRmT1_PNSt15iterator_traitsIS12_E10value_typeET2_T3_PNS13_IS18_E10value_typeET4_jRbjT5_S1E_jjP12ihipStream_tbEUljE_ZNSN_ISO_Lb1ESQ_SR_ST_SU_SY_EESZ_S10_S11_S12_S16_S17_S18_S1B_S1C_jS1D_jS1E_S1E_jjS1G_bEUljE0_EEESZ_S10_S11_S18_S1C_S1E_T6_T7_T9_mT8_S1G_bDpT10_ENKUlT_T0_E_clISt17integral_constantIbLb0EES1T_IbLb1EEEEDaS1P_S1Q_EUlS1P_E_NS1_11comp_targetILNS1_3genE2ELNS1_11target_archE906ELNS1_3gpuE6ELNS1_3repE0EEENS1_30default_config_static_selectorELNS0_4arch9wavefront6targetE0EEEvS12_.has_dyn_sized_stack, 0
	.set _ZN7rocprim17ROCPRIM_400000_NS6detail17trampoline_kernelINS0_13select_configILj256ELj13ELNS0_17block_load_methodE3ELS4_3ELS4_3ELNS0_20block_scan_algorithmE0ELj4294967295EEENS1_25partition_config_selectorILNS1_17partition_subalgoE4EjNS0_10empty_typeEbEEZZNS1_14partition_implILS8_4ELb0ES6_15HIP_vector_typeIjLj2EENS0_17counting_iteratorIjlEEPS9_SG_NS0_5tupleIJPjSI_NS0_16reverse_iteratorISI_EEEEENSH_IJSG_SG_SG_EEES9_SI_JZNS1_25segmented_radix_sort_implINS0_14default_configELb1EPKdPdPKlPlN2at6native12_GLOBAL__N_18offset_tEEE10hipError_tPvRmT1_PNSt15iterator_traitsIS12_E10value_typeET2_T3_PNS13_IS18_E10value_typeET4_jRbjT5_S1E_jjP12ihipStream_tbEUljE_ZNSN_ISO_Lb1ESQ_SR_ST_SU_SY_EESZ_S10_S11_S12_S16_S17_S18_S1B_S1C_jS1D_jS1E_S1E_jjS1G_bEUljE0_EEESZ_S10_S11_S18_S1C_S1E_T6_T7_T9_mT8_S1G_bDpT10_ENKUlT_T0_E_clISt17integral_constantIbLb0EES1T_IbLb1EEEEDaS1P_S1Q_EUlS1P_E_NS1_11comp_targetILNS1_3genE2ELNS1_11target_archE906ELNS1_3gpuE6ELNS1_3repE0EEENS1_30default_config_static_selectorELNS0_4arch9wavefront6targetE0EEEvS12_.has_recursion, 0
	.set _ZN7rocprim17ROCPRIM_400000_NS6detail17trampoline_kernelINS0_13select_configILj256ELj13ELNS0_17block_load_methodE3ELS4_3ELS4_3ELNS0_20block_scan_algorithmE0ELj4294967295EEENS1_25partition_config_selectorILNS1_17partition_subalgoE4EjNS0_10empty_typeEbEEZZNS1_14partition_implILS8_4ELb0ES6_15HIP_vector_typeIjLj2EENS0_17counting_iteratorIjlEEPS9_SG_NS0_5tupleIJPjSI_NS0_16reverse_iteratorISI_EEEEENSH_IJSG_SG_SG_EEES9_SI_JZNS1_25segmented_radix_sort_implINS0_14default_configELb1EPKdPdPKlPlN2at6native12_GLOBAL__N_18offset_tEEE10hipError_tPvRmT1_PNSt15iterator_traitsIS12_E10value_typeET2_T3_PNS13_IS18_E10value_typeET4_jRbjT5_S1E_jjP12ihipStream_tbEUljE_ZNSN_ISO_Lb1ESQ_SR_ST_SU_SY_EESZ_S10_S11_S12_S16_S17_S18_S1B_S1C_jS1D_jS1E_S1E_jjS1G_bEUljE0_EEESZ_S10_S11_S18_S1C_S1E_T6_T7_T9_mT8_S1G_bDpT10_ENKUlT_T0_E_clISt17integral_constantIbLb0EES1T_IbLb1EEEEDaS1P_S1Q_EUlS1P_E_NS1_11comp_targetILNS1_3genE2ELNS1_11target_archE906ELNS1_3gpuE6ELNS1_3repE0EEENS1_30default_config_static_selectorELNS0_4arch9wavefront6targetE0EEEvS12_.has_indirect_call, 0
	.section	.AMDGPU.csdata,"",@progbits
; Kernel info:
; codeLenInByte = 0
; TotalNumSgprs: 0
; NumVgprs: 0
; ScratchSize: 0
; MemoryBound: 0
; FloatMode: 240
; IeeeMode: 1
; LDSByteSize: 0 bytes/workgroup (compile time only)
; SGPRBlocks: 0
; VGPRBlocks: 0
; NumSGPRsForWavesPerEU: 1
; NumVGPRsForWavesPerEU: 1
; NamedBarCnt: 0
; Occupancy: 16
; WaveLimiterHint : 0
; COMPUTE_PGM_RSRC2:SCRATCH_EN: 0
; COMPUTE_PGM_RSRC2:USER_SGPR: 2
; COMPUTE_PGM_RSRC2:TRAP_HANDLER: 0
; COMPUTE_PGM_RSRC2:TGID_X_EN: 1
; COMPUTE_PGM_RSRC2:TGID_Y_EN: 0
; COMPUTE_PGM_RSRC2:TGID_Z_EN: 0
; COMPUTE_PGM_RSRC2:TIDIG_COMP_CNT: 0
	.section	.text._ZN7rocprim17ROCPRIM_400000_NS6detail17trampoline_kernelINS0_13select_configILj256ELj13ELNS0_17block_load_methodE3ELS4_3ELS4_3ELNS0_20block_scan_algorithmE0ELj4294967295EEENS1_25partition_config_selectorILNS1_17partition_subalgoE4EjNS0_10empty_typeEbEEZZNS1_14partition_implILS8_4ELb0ES6_15HIP_vector_typeIjLj2EENS0_17counting_iteratorIjlEEPS9_SG_NS0_5tupleIJPjSI_NS0_16reverse_iteratorISI_EEEEENSH_IJSG_SG_SG_EEES9_SI_JZNS1_25segmented_radix_sort_implINS0_14default_configELb1EPKdPdPKlPlN2at6native12_GLOBAL__N_18offset_tEEE10hipError_tPvRmT1_PNSt15iterator_traitsIS12_E10value_typeET2_T3_PNS13_IS18_E10value_typeET4_jRbjT5_S1E_jjP12ihipStream_tbEUljE_ZNSN_ISO_Lb1ESQ_SR_ST_SU_SY_EESZ_S10_S11_S12_S16_S17_S18_S1B_S1C_jS1D_jS1E_S1E_jjS1G_bEUljE0_EEESZ_S10_S11_S18_S1C_S1E_T6_T7_T9_mT8_S1G_bDpT10_ENKUlT_T0_E_clISt17integral_constantIbLb0EES1T_IbLb1EEEEDaS1P_S1Q_EUlS1P_E_NS1_11comp_targetILNS1_3genE10ELNS1_11target_archE1200ELNS1_3gpuE4ELNS1_3repE0EEENS1_30default_config_static_selectorELNS0_4arch9wavefront6targetE0EEEvS12_,"axG",@progbits,_ZN7rocprim17ROCPRIM_400000_NS6detail17trampoline_kernelINS0_13select_configILj256ELj13ELNS0_17block_load_methodE3ELS4_3ELS4_3ELNS0_20block_scan_algorithmE0ELj4294967295EEENS1_25partition_config_selectorILNS1_17partition_subalgoE4EjNS0_10empty_typeEbEEZZNS1_14partition_implILS8_4ELb0ES6_15HIP_vector_typeIjLj2EENS0_17counting_iteratorIjlEEPS9_SG_NS0_5tupleIJPjSI_NS0_16reverse_iteratorISI_EEEEENSH_IJSG_SG_SG_EEES9_SI_JZNS1_25segmented_radix_sort_implINS0_14default_configELb1EPKdPdPKlPlN2at6native12_GLOBAL__N_18offset_tEEE10hipError_tPvRmT1_PNSt15iterator_traitsIS12_E10value_typeET2_T3_PNS13_IS18_E10value_typeET4_jRbjT5_S1E_jjP12ihipStream_tbEUljE_ZNSN_ISO_Lb1ESQ_SR_ST_SU_SY_EESZ_S10_S11_S12_S16_S17_S18_S1B_S1C_jS1D_jS1E_S1E_jjS1G_bEUljE0_EEESZ_S10_S11_S18_S1C_S1E_T6_T7_T9_mT8_S1G_bDpT10_ENKUlT_T0_E_clISt17integral_constantIbLb0EES1T_IbLb1EEEEDaS1P_S1Q_EUlS1P_E_NS1_11comp_targetILNS1_3genE10ELNS1_11target_archE1200ELNS1_3gpuE4ELNS1_3repE0EEENS1_30default_config_static_selectorELNS0_4arch9wavefront6targetE0EEEvS12_,comdat
	.globl	_ZN7rocprim17ROCPRIM_400000_NS6detail17trampoline_kernelINS0_13select_configILj256ELj13ELNS0_17block_load_methodE3ELS4_3ELS4_3ELNS0_20block_scan_algorithmE0ELj4294967295EEENS1_25partition_config_selectorILNS1_17partition_subalgoE4EjNS0_10empty_typeEbEEZZNS1_14partition_implILS8_4ELb0ES6_15HIP_vector_typeIjLj2EENS0_17counting_iteratorIjlEEPS9_SG_NS0_5tupleIJPjSI_NS0_16reverse_iteratorISI_EEEEENSH_IJSG_SG_SG_EEES9_SI_JZNS1_25segmented_radix_sort_implINS0_14default_configELb1EPKdPdPKlPlN2at6native12_GLOBAL__N_18offset_tEEE10hipError_tPvRmT1_PNSt15iterator_traitsIS12_E10value_typeET2_T3_PNS13_IS18_E10value_typeET4_jRbjT5_S1E_jjP12ihipStream_tbEUljE_ZNSN_ISO_Lb1ESQ_SR_ST_SU_SY_EESZ_S10_S11_S12_S16_S17_S18_S1B_S1C_jS1D_jS1E_S1E_jjS1G_bEUljE0_EEESZ_S10_S11_S18_S1C_S1E_T6_T7_T9_mT8_S1G_bDpT10_ENKUlT_T0_E_clISt17integral_constantIbLb0EES1T_IbLb1EEEEDaS1P_S1Q_EUlS1P_E_NS1_11comp_targetILNS1_3genE10ELNS1_11target_archE1200ELNS1_3gpuE4ELNS1_3repE0EEENS1_30default_config_static_selectorELNS0_4arch9wavefront6targetE0EEEvS12_ ; -- Begin function _ZN7rocprim17ROCPRIM_400000_NS6detail17trampoline_kernelINS0_13select_configILj256ELj13ELNS0_17block_load_methodE3ELS4_3ELS4_3ELNS0_20block_scan_algorithmE0ELj4294967295EEENS1_25partition_config_selectorILNS1_17partition_subalgoE4EjNS0_10empty_typeEbEEZZNS1_14partition_implILS8_4ELb0ES6_15HIP_vector_typeIjLj2EENS0_17counting_iteratorIjlEEPS9_SG_NS0_5tupleIJPjSI_NS0_16reverse_iteratorISI_EEEEENSH_IJSG_SG_SG_EEES9_SI_JZNS1_25segmented_radix_sort_implINS0_14default_configELb1EPKdPdPKlPlN2at6native12_GLOBAL__N_18offset_tEEE10hipError_tPvRmT1_PNSt15iterator_traitsIS12_E10value_typeET2_T3_PNS13_IS18_E10value_typeET4_jRbjT5_S1E_jjP12ihipStream_tbEUljE_ZNSN_ISO_Lb1ESQ_SR_ST_SU_SY_EESZ_S10_S11_S12_S16_S17_S18_S1B_S1C_jS1D_jS1E_S1E_jjS1G_bEUljE0_EEESZ_S10_S11_S18_S1C_S1E_T6_T7_T9_mT8_S1G_bDpT10_ENKUlT_T0_E_clISt17integral_constantIbLb0EES1T_IbLb1EEEEDaS1P_S1Q_EUlS1P_E_NS1_11comp_targetILNS1_3genE10ELNS1_11target_archE1200ELNS1_3gpuE4ELNS1_3repE0EEENS1_30default_config_static_selectorELNS0_4arch9wavefront6targetE0EEEvS12_
	.p2align	8
	.type	_ZN7rocprim17ROCPRIM_400000_NS6detail17trampoline_kernelINS0_13select_configILj256ELj13ELNS0_17block_load_methodE3ELS4_3ELS4_3ELNS0_20block_scan_algorithmE0ELj4294967295EEENS1_25partition_config_selectorILNS1_17partition_subalgoE4EjNS0_10empty_typeEbEEZZNS1_14partition_implILS8_4ELb0ES6_15HIP_vector_typeIjLj2EENS0_17counting_iteratorIjlEEPS9_SG_NS0_5tupleIJPjSI_NS0_16reverse_iteratorISI_EEEEENSH_IJSG_SG_SG_EEES9_SI_JZNS1_25segmented_radix_sort_implINS0_14default_configELb1EPKdPdPKlPlN2at6native12_GLOBAL__N_18offset_tEEE10hipError_tPvRmT1_PNSt15iterator_traitsIS12_E10value_typeET2_T3_PNS13_IS18_E10value_typeET4_jRbjT5_S1E_jjP12ihipStream_tbEUljE_ZNSN_ISO_Lb1ESQ_SR_ST_SU_SY_EESZ_S10_S11_S12_S16_S17_S18_S1B_S1C_jS1D_jS1E_S1E_jjS1G_bEUljE0_EEESZ_S10_S11_S18_S1C_S1E_T6_T7_T9_mT8_S1G_bDpT10_ENKUlT_T0_E_clISt17integral_constantIbLb0EES1T_IbLb1EEEEDaS1P_S1Q_EUlS1P_E_NS1_11comp_targetILNS1_3genE10ELNS1_11target_archE1200ELNS1_3gpuE4ELNS1_3repE0EEENS1_30default_config_static_selectorELNS0_4arch9wavefront6targetE0EEEvS12_,@function
_ZN7rocprim17ROCPRIM_400000_NS6detail17trampoline_kernelINS0_13select_configILj256ELj13ELNS0_17block_load_methodE3ELS4_3ELS4_3ELNS0_20block_scan_algorithmE0ELj4294967295EEENS1_25partition_config_selectorILNS1_17partition_subalgoE4EjNS0_10empty_typeEbEEZZNS1_14partition_implILS8_4ELb0ES6_15HIP_vector_typeIjLj2EENS0_17counting_iteratorIjlEEPS9_SG_NS0_5tupleIJPjSI_NS0_16reverse_iteratorISI_EEEEENSH_IJSG_SG_SG_EEES9_SI_JZNS1_25segmented_radix_sort_implINS0_14default_configELb1EPKdPdPKlPlN2at6native12_GLOBAL__N_18offset_tEEE10hipError_tPvRmT1_PNSt15iterator_traitsIS12_E10value_typeET2_T3_PNS13_IS18_E10value_typeET4_jRbjT5_S1E_jjP12ihipStream_tbEUljE_ZNSN_ISO_Lb1ESQ_SR_ST_SU_SY_EESZ_S10_S11_S12_S16_S17_S18_S1B_S1C_jS1D_jS1E_S1E_jjS1G_bEUljE0_EEESZ_S10_S11_S18_S1C_S1E_T6_T7_T9_mT8_S1G_bDpT10_ENKUlT_T0_E_clISt17integral_constantIbLb0EES1T_IbLb1EEEEDaS1P_S1Q_EUlS1P_E_NS1_11comp_targetILNS1_3genE10ELNS1_11target_archE1200ELNS1_3gpuE4ELNS1_3repE0EEENS1_30default_config_static_selectorELNS0_4arch9wavefront6targetE0EEEvS12_: ; @_ZN7rocprim17ROCPRIM_400000_NS6detail17trampoline_kernelINS0_13select_configILj256ELj13ELNS0_17block_load_methodE3ELS4_3ELS4_3ELNS0_20block_scan_algorithmE0ELj4294967295EEENS1_25partition_config_selectorILNS1_17partition_subalgoE4EjNS0_10empty_typeEbEEZZNS1_14partition_implILS8_4ELb0ES6_15HIP_vector_typeIjLj2EENS0_17counting_iteratorIjlEEPS9_SG_NS0_5tupleIJPjSI_NS0_16reverse_iteratorISI_EEEEENSH_IJSG_SG_SG_EEES9_SI_JZNS1_25segmented_radix_sort_implINS0_14default_configELb1EPKdPdPKlPlN2at6native12_GLOBAL__N_18offset_tEEE10hipError_tPvRmT1_PNSt15iterator_traitsIS12_E10value_typeET2_T3_PNS13_IS18_E10value_typeET4_jRbjT5_S1E_jjP12ihipStream_tbEUljE_ZNSN_ISO_Lb1ESQ_SR_ST_SU_SY_EESZ_S10_S11_S12_S16_S17_S18_S1B_S1C_jS1D_jS1E_S1E_jjS1G_bEUljE0_EEESZ_S10_S11_S18_S1C_S1E_T6_T7_T9_mT8_S1G_bDpT10_ENKUlT_T0_E_clISt17integral_constantIbLb0EES1T_IbLb1EEEEDaS1P_S1Q_EUlS1P_E_NS1_11comp_targetILNS1_3genE10ELNS1_11target_archE1200ELNS1_3gpuE4ELNS1_3repE0EEENS1_30default_config_static_selectorELNS0_4arch9wavefront6targetE0EEEvS12_
; %bb.0:
	.section	.rodata,"a",@progbits
	.p2align	6, 0x0
	.amdhsa_kernel _ZN7rocprim17ROCPRIM_400000_NS6detail17trampoline_kernelINS0_13select_configILj256ELj13ELNS0_17block_load_methodE3ELS4_3ELS4_3ELNS0_20block_scan_algorithmE0ELj4294967295EEENS1_25partition_config_selectorILNS1_17partition_subalgoE4EjNS0_10empty_typeEbEEZZNS1_14partition_implILS8_4ELb0ES6_15HIP_vector_typeIjLj2EENS0_17counting_iteratorIjlEEPS9_SG_NS0_5tupleIJPjSI_NS0_16reverse_iteratorISI_EEEEENSH_IJSG_SG_SG_EEES9_SI_JZNS1_25segmented_radix_sort_implINS0_14default_configELb1EPKdPdPKlPlN2at6native12_GLOBAL__N_18offset_tEEE10hipError_tPvRmT1_PNSt15iterator_traitsIS12_E10value_typeET2_T3_PNS13_IS18_E10value_typeET4_jRbjT5_S1E_jjP12ihipStream_tbEUljE_ZNSN_ISO_Lb1ESQ_SR_ST_SU_SY_EESZ_S10_S11_S12_S16_S17_S18_S1B_S1C_jS1D_jS1E_S1E_jjS1G_bEUljE0_EEESZ_S10_S11_S18_S1C_S1E_T6_T7_T9_mT8_S1G_bDpT10_ENKUlT_T0_E_clISt17integral_constantIbLb0EES1T_IbLb1EEEEDaS1P_S1Q_EUlS1P_E_NS1_11comp_targetILNS1_3genE10ELNS1_11target_archE1200ELNS1_3gpuE4ELNS1_3repE0EEENS1_30default_config_static_selectorELNS0_4arch9wavefront6targetE0EEEvS12_
		.amdhsa_group_segment_fixed_size 0
		.amdhsa_private_segment_fixed_size 0
		.amdhsa_kernarg_size 184
		.amdhsa_user_sgpr_count 2
		.amdhsa_user_sgpr_dispatch_ptr 0
		.amdhsa_user_sgpr_queue_ptr 0
		.amdhsa_user_sgpr_kernarg_segment_ptr 1
		.amdhsa_user_sgpr_dispatch_id 0
		.amdhsa_user_sgpr_kernarg_preload_length 0
		.amdhsa_user_sgpr_kernarg_preload_offset 0
		.amdhsa_user_sgpr_private_segment_size 0
		.amdhsa_wavefront_size32 1
		.amdhsa_uses_dynamic_stack 0
		.amdhsa_enable_private_segment 0
		.amdhsa_system_sgpr_workgroup_id_x 1
		.amdhsa_system_sgpr_workgroup_id_y 0
		.amdhsa_system_sgpr_workgroup_id_z 0
		.amdhsa_system_sgpr_workgroup_info 0
		.amdhsa_system_vgpr_workitem_id 0
		.amdhsa_next_free_vgpr 1
		.amdhsa_next_free_sgpr 1
		.amdhsa_named_barrier_count 0
		.amdhsa_reserve_vcc 0
		.amdhsa_float_round_mode_32 0
		.amdhsa_float_round_mode_16_64 0
		.amdhsa_float_denorm_mode_32 3
		.amdhsa_float_denorm_mode_16_64 3
		.amdhsa_fp16_overflow 0
		.amdhsa_memory_ordered 1
		.amdhsa_forward_progress 1
		.amdhsa_inst_pref_size 0
		.amdhsa_round_robin_scheduling 0
		.amdhsa_exception_fp_ieee_invalid_op 0
		.amdhsa_exception_fp_denorm_src 0
		.amdhsa_exception_fp_ieee_div_zero 0
		.amdhsa_exception_fp_ieee_overflow 0
		.amdhsa_exception_fp_ieee_underflow 0
		.amdhsa_exception_fp_ieee_inexact 0
		.amdhsa_exception_int_div_zero 0
	.end_amdhsa_kernel
	.section	.text._ZN7rocprim17ROCPRIM_400000_NS6detail17trampoline_kernelINS0_13select_configILj256ELj13ELNS0_17block_load_methodE3ELS4_3ELS4_3ELNS0_20block_scan_algorithmE0ELj4294967295EEENS1_25partition_config_selectorILNS1_17partition_subalgoE4EjNS0_10empty_typeEbEEZZNS1_14partition_implILS8_4ELb0ES6_15HIP_vector_typeIjLj2EENS0_17counting_iteratorIjlEEPS9_SG_NS0_5tupleIJPjSI_NS0_16reverse_iteratorISI_EEEEENSH_IJSG_SG_SG_EEES9_SI_JZNS1_25segmented_radix_sort_implINS0_14default_configELb1EPKdPdPKlPlN2at6native12_GLOBAL__N_18offset_tEEE10hipError_tPvRmT1_PNSt15iterator_traitsIS12_E10value_typeET2_T3_PNS13_IS18_E10value_typeET4_jRbjT5_S1E_jjP12ihipStream_tbEUljE_ZNSN_ISO_Lb1ESQ_SR_ST_SU_SY_EESZ_S10_S11_S12_S16_S17_S18_S1B_S1C_jS1D_jS1E_S1E_jjS1G_bEUljE0_EEESZ_S10_S11_S18_S1C_S1E_T6_T7_T9_mT8_S1G_bDpT10_ENKUlT_T0_E_clISt17integral_constantIbLb0EES1T_IbLb1EEEEDaS1P_S1Q_EUlS1P_E_NS1_11comp_targetILNS1_3genE10ELNS1_11target_archE1200ELNS1_3gpuE4ELNS1_3repE0EEENS1_30default_config_static_selectorELNS0_4arch9wavefront6targetE0EEEvS12_,"axG",@progbits,_ZN7rocprim17ROCPRIM_400000_NS6detail17trampoline_kernelINS0_13select_configILj256ELj13ELNS0_17block_load_methodE3ELS4_3ELS4_3ELNS0_20block_scan_algorithmE0ELj4294967295EEENS1_25partition_config_selectorILNS1_17partition_subalgoE4EjNS0_10empty_typeEbEEZZNS1_14partition_implILS8_4ELb0ES6_15HIP_vector_typeIjLj2EENS0_17counting_iteratorIjlEEPS9_SG_NS0_5tupleIJPjSI_NS0_16reverse_iteratorISI_EEEEENSH_IJSG_SG_SG_EEES9_SI_JZNS1_25segmented_radix_sort_implINS0_14default_configELb1EPKdPdPKlPlN2at6native12_GLOBAL__N_18offset_tEEE10hipError_tPvRmT1_PNSt15iterator_traitsIS12_E10value_typeET2_T3_PNS13_IS18_E10value_typeET4_jRbjT5_S1E_jjP12ihipStream_tbEUljE_ZNSN_ISO_Lb1ESQ_SR_ST_SU_SY_EESZ_S10_S11_S12_S16_S17_S18_S1B_S1C_jS1D_jS1E_S1E_jjS1G_bEUljE0_EEESZ_S10_S11_S18_S1C_S1E_T6_T7_T9_mT8_S1G_bDpT10_ENKUlT_T0_E_clISt17integral_constantIbLb0EES1T_IbLb1EEEEDaS1P_S1Q_EUlS1P_E_NS1_11comp_targetILNS1_3genE10ELNS1_11target_archE1200ELNS1_3gpuE4ELNS1_3repE0EEENS1_30default_config_static_selectorELNS0_4arch9wavefront6targetE0EEEvS12_,comdat
.Lfunc_end1077:
	.size	_ZN7rocprim17ROCPRIM_400000_NS6detail17trampoline_kernelINS0_13select_configILj256ELj13ELNS0_17block_load_methodE3ELS4_3ELS4_3ELNS0_20block_scan_algorithmE0ELj4294967295EEENS1_25partition_config_selectorILNS1_17partition_subalgoE4EjNS0_10empty_typeEbEEZZNS1_14partition_implILS8_4ELb0ES6_15HIP_vector_typeIjLj2EENS0_17counting_iteratorIjlEEPS9_SG_NS0_5tupleIJPjSI_NS0_16reverse_iteratorISI_EEEEENSH_IJSG_SG_SG_EEES9_SI_JZNS1_25segmented_radix_sort_implINS0_14default_configELb1EPKdPdPKlPlN2at6native12_GLOBAL__N_18offset_tEEE10hipError_tPvRmT1_PNSt15iterator_traitsIS12_E10value_typeET2_T3_PNS13_IS18_E10value_typeET4_jRbjT5_S1E_jjP12ihipStream_tbEUljE_ZNSN_ISO_Lb1ESQ_SR_ST_SU_SY_EESZ_S10_S11_S12_S16_S17_S18_S1B_S1C_jS1D_jS1E_S1E_jjS1G_bEUljE0_EEESZ_S10_S11_S18_S1C_S1E_T6_T7_T9_mT8_S1G_bDpT10_ENKUlT_T0_E_clISt17integral_constantIbLb0EES1T_IbLb1EEEEDaS1P_S1Q_EUlS1P_E_NS1_11comp_targetILNS1_3genE10ELNS1_11target_archE1200ELNS1_3gpuE4ELNS1_3repE0EEENS1_30default_config_static_selectorELNS0_4arch9wavefront6targetE0EEEvS12_, .Lfunc_end1077-_ZN7rocprim17ROCPRIM_400000_NS6detail17trampoline_kernelINS0_13select_configILj256ELj13ELNS0_17block_load_methodE3ELS4_3ELS4_3ELNS0_20block_scan_algorithmE0ELj4294967295EEENS1_25partition_config_selectorILNS1_17partition_subalgoE4EjNS0_10empty_typeEbEEZZNS1_14partition_implILS8_4ELb0ES6_15HIP_vector_typeIjLj2EENS0_17counting_iteratorIjlEEPS9_SG_NS0_5tupleIJPjSI_NS0_16reverse_iteratorISI_EEEEENSH_IJSG_SG_SG_EEES9_SI_JZNS1_25segmented_radix_sort_implINS0_14default_configELb1EPKdPdPKlPlN2at6native12_GLOBAL__N_18offset_tEEE10hipError_tPvRmT1_PNSt15iterator_traitsIS12_E10value_typeET2_T3_PNS13_IS18_E10value_typeET4_jRbjT5_S1E_jjP12ihipStream_tbEUljE_ZNSN_ISO_Lb1ESQ_SR_ST_SU_SY_EESZ_S10_S11_S12_S16_S17_S18_S1B_S1C_jS1D_jS1E_S1E_jjS1G_bEUljE0_EEESZ_S10_S11_S18_S1C_S1E_T6_T7_T9_mT8_S1G_bDpT10_ENKUlT_T0_E_clISt17integral_constantIbLb0EES1T_IbLb1EEEEDaS1P_S1Q_EUlS1P_E_NS1_11comp_targetILNS1_3genE10ELNS1_11target_archE1200ELNS1_3gpuE4ELNS1_3repE0EEENS1_30default_config_static_selectorELNS0_4arch9wavefront6targetE0EEEvS12_
                                        ; -- End function
	.set _ZN7rocprim17ROCPRIM_400000_NS6detail17trampoline_kernelINS0_13select_configILj256ELj13ELNS0_17block_load_methodE3ELS4_3ELS4_3ELNS0_20block_scan_algorithmE0ELj4294967295EEENS1_25partition_config_selectorILNS1_17partition_subalgoE4EjNS0_10empty_typeEbEEZZNS1_14partition_implILS8_4ELb0ES6_15HIP_vector_typeIjLj2EENS0_17counting_iteratorIjlEEPS9_SG_NS0_5tupleIJPjSI_NS0_16reverse_iteratorISI_EEEEENSH_IJSG_SG_SG_EEES9_SI_JZNS1_25segmented_radix_sort_implINS0_14default_configELb1EPKdPdPKlPlN2at6native12_GLOBAL__N_18offset_tEEE10hipError_tPvRmT1_PNSt15iterator_traitsIS12_E10value_typeET2_T3_PNS13_IS18_E10value_typeET4_jRbjT5_S1E_jjP12ihipStream_tbEUljE_ZNSN_ISO_Lb1ESQ_SR_ST_SU_SY_EESZ_S10_S11_S12_S16_S17_S18_S1B_S1C_jS1D_jS1E_S1E_jjS1G_bEUljE0_EEESZ_S10_S11_S18_S1C_S1E_T6_T7_T9_mT8_S1G_bDpT10_ENKUlT_T0_E_clISt17integral_constantIbLb0EES1T_IbLb1EEEEDaS1P_S1Q_EUlS1P_E_NS1_11comp_targetILNS1_3genE10ELNS1_11target_archE1200ELNS1_3gpuE4ELNS1_3repE0EEENS1_30default_config_static_selectorELNS0_4arch9wavefront6targetE0EEEvS12_.num_vgpr, 0
	.set _ZN7rocprim17ROCPRIM_400000_NS6detail17trampoline_kernelINS0_13select_configILj256ELj13ELNS0_17block_load_methodE3ELS4_3ELS4_3ELNS0_20block_scan_algorithmE0ELj4294967295EEENS1_25partition_config_selectorILNS1_17partition_subalgoE4EjNS0_10empty_typeEbEEZZNS1_14partition_implILS8_4ELb0ES6_15HIP_vector_typeIjLj2EENS0_17counting_iteratorIjlEEPS9_SG_NS0_5tupleIJPjSI_NS0_16reverse_iteratorISI_EEEEENSH_IJSG_SG_SG_EEES9_SI_JZNS1_25segmented_radix_sort_implINS0_14default_configELb1EPKdPdPKlPlN2at6native12_GLOBAL__N_18offset_tEEE10hipError_tPvRmT1_PNSt15iterator_traitsIS12_E10value_typeET2_T3_PNS13_IS18_E10value_typeET4_jRbjT5_S1E_jjP12ihipStream_tbEUljE_ZNSN_ISO_Lb1ESQ_SR_ST_SU_SY_EESZ_S10_S11_S12_S16_S17_S18_S1B_S1C_jS1D_jS1E_S1E_jjS1G_bEUljE0_EEESZ_S10_S11_S18_S1C_S1E_T6_T7_T9_mT8_S1G_bDpT10_ENKUlT_T0_E_clISt17integral_constantIbLb0EES1T_IbLb1EEEEDaS1P_S1Q_EUlS1P_E_NS1_11comp_targetILNS1_3genE10ELNS1_11target_archE1200ELNS1_3gpuE4ELNS1_3repE0EEENS1_30default_config_static_selectorELNS0_4arch9wavefront6targetE0EEEvS12_.num_agpr, 0
	.set _ZN7rocprim17ROCPRIM_400000_NS6detail17trampoline_kernelINS0_13select_configILj256ELj13ELNS0_17block_load_methodE3ELS4_3ELS4_3ELNS0_20block_scan_algorithmE0ELj4294967295EEENS1_25partition_config_selectorILNS1_17partition_subalgoE4EjNS0_10empty_typeEbEEZZNS1_14partition_implILS8_4ELb0ES6_15HIP_vector_typeIjLj2EENS0_17counting_iteratorIjlEEPS9_SG_NS0_5tupleIJPjSI_NS0_16reverse_iteratorISI_EEEEENSH_IJSG_SG_SG_EEES9_SI_JZNS1_25segmented_radix_sort_implINS0_14default_configELb1EPKdPdPKlPlN2at6native12_GLOBAL__N_18offset_tEEE10hipError_tPvRmT1_PNSt15iterator_traitsIS12_E10value_typeET2_T3_PNS13_IS18_E10value_typeET4_jRbjT5_S1E_jjP12ihipStream_tbEUljE_ZNSN_ISO_Lb1ESQ_SR_ST_SU_SY_EESZ_S10_S11_S12_S16_S17_S18_S1B_S1C_jS1D_jS1E_S1E_jjS1G_bEUljE0_EEESZ_S10_S11_S18_S1C_S1E_T6_T7_T9_mT8_S1G_bDpT10_ENKUlT_T0_E_clISt17integral_constantIbLb0EES1T_IbLb1EEEEDaS1P_S1Q_EUlS1P_E_NS1_11comp_targetILNS1_3genE10ELNS1_11target_archE1200ELNS1_3gpuE4ELNS1_3repE0EEENS1_30default_config_static_selectorELNS0_4arch9wavefront6targetE0EEEvS12_.numbered_sgpr, 0
	.set _ZN7rocprim17ROCPRIM_400000_NS6detail17trampoline_kernelINS0_13select_configILj256ELj13ELNS0_17block_load_methodE3ELS4_3ELS4_3ELNS0_20block_scan_algorithmE0ELj4294967295EEENS1_25partition_config_selectorILNS1_17partition_subalgoE4EjNS0_10empty_typeEbEEZZNS1_14partition_implILS8_4ELb0ES6_15HIP_vector_typeIjLj2EENS0_17counting_iteratorIjlEEPS9_SG_NS0_5tupleIJPjSI_NS0_16reverse_iteratorISI_EEEEENSH_IJSG_SG_SG_EEES9_SI_JZNS1_25segmented_radix_sort_implINS0_14default_configELb1EPKdPdPKlPlN2at6native12_GLOBAL__N_18offset_tEEE10hipError_tPvRmT1_PNSt15iterator_traitsIS12_E10value_typeET2_T3_PNS13_IS18_E10value_typeET4_jRbjT5_S1E_jjP12ihipStream_tbEUljE_ZNSN_ISO_Lb1ESQ_SR_ST_SU_SY_EESZ_S10_S11_S12_S16_S17_S18_S1B_S1C_jS1D_jS1E_S1E_jjS1G_bEUljE0_EEESZ_S10_S11_S18_S1C_S1E_T6_T7_T9_mT8_S1G_bDpT10_ENKUlT_T0_E_clISt17integral_constantIbLb0EES1T_IbLb1EEEEDaS1P_S1Q_EUlS1P_E_NS1_11comp_targetILNS1_3genE10ELNS1_11target_archE1200ELNS1_3gpuE4ELNS1_3repE0EEENS1_30default_config_static_selectorELNS0_4arch9wavefront6targetE0EEEvS12_.num_named_barrier, 0
	.set _ZN7rocprim17ROCPRIM_400000_NS6detail17trampoline_kernelINS0_13select_configILj256ELj13ELNS0_17block_load_methodE3ELS4_3ELS4_3ELNS0_20block_scan_algorithmE0ELj4294967295EEENS1_25partition_config_selectorILNS1_17partition_subalgoE4EjNS0_10empty_typeEbEEZZNS1_14partition_implILS8_4ELb0ES6_15HIP_vector_typeIjLj2EENS0_17counting_iteratorIjlEEPS9_SG_NS0_5tupleIJPjSI_NS0_16reverse_iteratorISI_EEEEENSH_IJSG_SG_SG_EEES9_SI_JZNS1_25segmented_radix_sort_implINS0_14default_configELb1EPKdPdPKlPlN2at6native12_GLOBAL__N_18offset_tEEE10hipError_tPvRmT1_PNSt15iterator_traitsIS12_E10value_typeET2_T3_PNS13_IS18_E10value_typeET4_jRbjT5_S1E_jjP12ihipStream_tbEUljE_ZNSN_ISO_Lb1ESQ_SR_ST_SU_SY_EESZ_S10_S11_S12_S16_S17_S18_S1B_S1C_jS1D_jS1E_S1E_jjS1G_bEUljE0_EEESZ_S10_S11_S18_S1C_S1E_T6_T7_T9_mT8_S1G_bDpT10_ENKUlT_T0_E_clISt17integral_constantIbLb0EES1T_IbLb1EEEEDaS1P_S1Q_EUlS1P_E_NS1_11comp_targetILNS1_3genE10ELNS1_11target_archE1200ELNS1_3gpuE4ELNS1_3repE0EEENS1_30default_config_static_selectorELNS0_4arch9wavefront6targetE0EEEvS12_.private_seg_size, 0
	.set _ZN7rocprim17ROCPRIM_400000_NS6detail17trampoline_kernelINS0_13select_configILj256ELj13ELNS0_17block_load_methodE3ELS4_3ELS4_3ELNS0_20block_scan_algorithmE0ELj4294967295EEENS1_25partition_config_selectorILNS1_17partition_subalgoE4EjNS0_10empty_typeEbEEZZNS1_14partition_implILS8_4ELb0ES6_15HIP_vector_typeIjLj2EENS0_17counting_iteratorIjlEEPS9_SG_NS0_5tupleIJPjSI_NS0_16reverse_iteratorISI_EEEEENSH_IJSG_SG_SG_EEES9_SI_JZNS1_25segmented_radix_sort_implINS0_14default_configELb1EPKdPdPKlPlN2at6native12_GLOBAL__N_18offset_tEEE10hipError_tPvRmT1_PNSt15iterator_traitsIS12_E10value_typeET2_T3_PNS13_IS18_E10value_typeET4_jRbjT5_S1E_jjP12ihipStream_tbEUljE_ZNSN_ISO_Lb1ESQ_SR_ST_SU_SY_EESZ_S10_S11_S12_S16_S17_S18_S1B_S1C_jS1D_jS1E_S1E_jjS1G_bEUljE0_EEESZ_S10_S11_S18_S1C_S1E_T6_T7_T9_mT8_S1G_bDpT10_ENKUlT_T0_E_clISt17integral_constantIbLb0EES1T_IbLb1EEEEDaS1P_S1Q_EUlS1P_E_NS1_11comp_targetILNS1_3genE10ELNS1_11target_archE1200ELNS1_3gpuE4ELNS1_3repE0EEENS1_30default_config_static_selectorELNS0_4arch9wavefront6targetE0EEEvS12_.uses_vcc, 0
	.set _ZN7rocprim17ROCPRIM_400000_NS6detail17trampoline_kernelINS0_13select_configILj256ELj13ELNS0_17block_load_methodE3ELS4_3ELS4_3ELNS0_20block_scan_algorithmE0ELj4294967295EEENS1_25partition_config_selectorILNS1_17partition_subalgoE4EjNS0_10empty_typeEbEEZZNS1_14partition_implILS8_4ELb0ES6_15HIP_vector_typeIjLj2EENS0_17counting_iteratorIjlEEPS9_SG_NS0_5tupleIJPjSI_NS0_16reverse_iteratorISI_EEEEENSH_IJSG_SG_SG_EEES9_SI_JZNS1_25segmented_radix_sort_implINS0_14default_configELb1EPKdPdPKlPlN2at6native12_GLOBAL__N_18offset_tEEE10hipError_tPvRmT1_PNSt15iterator_traitsIS12_E10value_typeET2_T3_PNS13_IS18_E10value_typeET4_jRbjT5_S1E_jjP12ihipStream_tbEUljE_ZNSN_ISO_Lb1ESQ_SR_ST_SU_SY_EESZ_S10_S11_S12_S16_S17_S18_S1B_S1C_jS1D_jS1E_S1E_jjS1G_bEUljE0_EEESZ_S10_S11_S18_S1C_S1E_T6_T7_T9_mT8_S1G_bDpT10_ENKUlT_T0_E_clISt17integral_constantIbLb0EES1T_IbLb1EEEEDaS1P_S1Q_EUlS1P_E_NS1_11comp_targetILNS1_3genE10ELNS1_11target_archE1200ELNS1_3gpuE4ELNS1_3repE0EEENS1_30default_config_static_selectorELNS0_4arch9wavefront6targetE0EEEvS12_.uses_flat_scratch, 0
	.set _ZN7rocprim17ROCPRIM_400000_NS6detail17trampoline_kernelINS0_13select_configILj256ELj13ELNS0_17block_load_methodE3ELS4_3ELS4_3ELNS0_20block_scan_algorithmE0ELj4294967295EEENS1_25partition_config_selectorILNS1_17partition_subalgoE4EjNS0_10empty_typeEbEEZZNS1_14partition_implILS8_4ELb0ES6_15HIP_vector_typeIjLj2EENS0_17counting_iteratorIjlEEPS9_SG_NS0_5tupleIJPjSI_NS0_16reverse_iteratorISI_EEEEENSH_IJSG_SG_SG_EEES9_SI_JZNS1_25segmented_radix_sort_implINS0_14default_configELb1EPKdPdPKlPlN2at6native12_GLOBAL__N_18offset_tEEE10hipError_tPvRmT1_PNSt15iterator_traitsIS12_E10value_typeET2_T3_PNS13_IS18_E10value_typeET4_jRbjT5_S1E_jjP12ihipStream_tbEUljE_ZNSN_ISO_Lb1ESQ_SR_ST_SU_SY_EESZ_S10_S11_S12_S16_S17_S18_S1B_S1C_jS1D_jS1E_S1E_jjS1G_bEUljE0_EEESZ_S10_S11_S18_S1C_S1E_T6_T7_T9_mT8_S1G_bDpT10_ENKUlT_T0_E_clISt17integral_constantIbLb0EES1T_IbLb1EEEEDaS1P_S1Q_EUlS1P_E_NS1_11comp_targetILNS1_3genE10ELNS1_11target_archE1200ELNS1_3gpuE4ELNS1_3repE0EEENS1_30default_config_static_selectorELNS0_4arch9wavefront6targetE0EEEvS12_.has_dyn_sized_stack, 0
	.set _ZN7rocprim17ROCPRIM_400000_NS6detail17trampoline_kernelINS0_13select_configILj256ELj13ELNS0_17block_load_methodE3ELS4_3ELS4_3ELNS0_20block_scan_algorithmE0ELj4294967295EEENS1_25partition_config_selectorILNS1_17partition_subalgoE4EjNS0_10empty_typeEbEEZZNS1_14partition_implILS8_4ELb0ES6_15HIP_vector_typeIjLj2EENS0_17counting_iteratorIjlEEPS9_SG_NS0_5tupleIJPjSI_NS0_16reverse_iteratorISI_EEEEENSH_IJSG_SG_SG_EEES9_SI_JZNS1_25segmented_radix_sort_implINS0_14default_configELb1EPKdPdPKlPlN2at6native12_GLOBAL__N_18offset_tEEE10hipError_tPvRmT1_PNSt15iterator_traitsIS12_E10value_typeET2_T3_PNS13_IS18_E10value_typeET4_jRbjT5_S1E_jjP12ihipStream_tbEUljE_ZNSN_ISO_Lb1ESQ_SR_ST_SU_SY_EESZ_S10_S11_S12_S16_S17_S18_S1B_S1C_jS1D_jS1E_S1E_jjS1G_bEUljE0_EEESZ_S10_S11_S18_S1C_S1E_T6_T7_T9_mT8_S1G_bDpT10_ENKUlT_T0_E_clISt17integral_constantIbLb0EES1T_IbLb1EEEEDaS1P_S1Q_EUlS1P_E_NS1_11comp_targetILNS1_3genE10ELNS1_11target_archE1200ELNS1_3gpuE4ELNS1_3repE0EEENS1_30default_config_static_selectorELNS0_4arch9wavefront6targetE0EEEvS12_.has_recursion, 0
	.set _ZN7rocprim17ROCPRIM_400000_NS6detail17trampoline_kernelINS0_13select_configILj256ELj13ELNS0_17block_load_methodE3ELS4_3ELS4_3ELNS0_20block_scan_algorithmE0ELj4294967295EEENS1_25partition_config_selectorILNS1_17partition_subalgoE4EjNS0_10empty_typeEbEEZZNS1_14partition_implILS8_4ELb0ES6_15HIP_vector_typeIjLj2EENS0_17counting_iteratorIjlEEPS9_SG_NS0_5tupleIJPjSI_NS0_16reverse_iteratorISI_EEEEENSH_IJSG_SG_SG_EEES9_SI_JZNS1_25segmented_radix_sort_implINS0_14default_configELb1EPKdPdPKlPlN2at6native12_GLOBAL__N_18offset_tEEE10hipError_tPvRmT1_PNSt15iterator_traitsIS12_E10value_typeET2_T3_PNS13_IS18_E10value_typeET4_jRbjT5_S1E_jjP12ihipStream_tbEUljE_ZNSN_ISO_Lb1ESQ_SR_ST_SU_SY_EESZ_S10_S11_S12_S16_S17_S18_S1B_S1C_jS1D_jS1E_S1E_jjS1G_bEUljE0_EEESZ_S10_S11_S18_S1C_S1E_T6_T7_T9_mT8_S1G_bDpT10_ENKUlT_T0_E_clISt17integral_constantIbLb0EES1T_IbLb1EEEEDaS1P_S1Q_EUlS1P_E_NS1_11comp_targetILNS1_3genE10ELNS1_11target_archE1200ELNS1_3gpuE4ELNS1_3repE0EEENS1_30default_config_static_selectorELNS0_4arch9wavefront6targetE0EEEvS12_.has_indirect_call, 0
	.section	.AMDGPU.csdata,"",@progbits
; Kernel info:
; codeLenInByte = 0
; TotalNumSgprs: 0
; NumVgprs: 0
; ScratchSize: 0
; MemoryBound: 0
; FloatMode: 240
; IeeeMode: 1
; LDSByteSize: 0 bytes/workgroup (compile time only)
; SGPRBlocks: 0
; VGPRBlocks: 0
; NumSGPRsForWavesPerEU: 1
; NumVGPRsForWavesPerEU: 1
; NamedBarCnt: 0
; Occupancy: 16
; WaveLimiterHint : 0
; COMPUTE_PGM_RSRC2:SCRATCH_EN: 0
; COMPUTE_PGM_RSRC2:USER_SGPR: 2
; COMPUTE_PGM_RSRC2:TRAP_HANDLER: 0
; COMPUTE_PGM_RSRC2:TGID_X_EN: 1
; COMPUTE_PGM_RSRC2:TGID_Y_EN: 0
; COMPUTE_PGM_RSRC2:TGID_Z_EN: 0
; COMPUTE_PGM_RSRC2:TIDIG_COMP_CNT: 0
	.section	.text._ZN7rocprim17ROCPRIM_400000_NS6detail17trampoline_kernelINS0_13select_configILj256ELj13ELNS0_17block_load_methodE3ELS4_3ELS4_3ELNS0_20block_scan_algorithmE0ELj4294967295EEENS1_25partition_config_selectorILNS1_17partition_subalgoE4EjNS0_10empty_typeEbEEZZNS1_14partition_implILS8_4ELb0ES6_15HIP_vector_typeIjLj2EENS0_17counting_iteratorIjlEEPS9_SG_NS0_5tupleIJPjSI_NS0_16reverse_iteratorISI_EEEEENSH_IJSG_SG_SG_EEES9_SI_JZNS1_25segmented_radix_sort_implINS0_14default_configELb1EPKdPdPKlPlN2at6native12_GLOBAL__N_18offset_tEEE10hipError_tPvRmT1_PNSt15iterator_traitsIS12_E10value_typeET2_T3_PNS13_IS18_E10value_typeET4_jRbjT5_S1E_jjP12ihipStream_tbEUljE_ZNSN_ISO_Lb1ESQ_SR_ST_SU_SY_EESZ_S10_S11_S12_S16_S17_S18_S1B_S1C_jS1D_jS1E_S1E_jjS1G_bEUljE0_EEESZ_S10_S11_S18_S1C_S1E_T6_T7_T9_mT8_S1G_bDpT10_ENKUlT_T0_E_clISt17integral_constantIbLb0EES1T_IbLb1EEEEDaS1P_S1Q_EUlS1P_E_NS1_11comp_targetILNS1_3genE9ELNS1_11target_archE1100ELNS1_3gpuE3ELNS1_3repE0EEENS1_30default_config_static_selectorELNS0_4arch9wavefront6targetE0EEEvS12_,"axG",@progbits,_ZN7rocprim17ROCPRIM_400000_NS6detail17trampoline_kernelINS0_13select_configILj256ELj13ELNS0_17block_load_methodE3ELS4_3ELS4_3ELNS0_20block_scan_algorithmE0ELj4294967295EEENS1_25partition_config_selectorILNS1_17partition_subalgoE4EjNS0_10empty_typeEbEEZZNS1_14partition_implILS8_4ELb0ES6_15HIP_vector_typeIjLj2EENS0_17counting_iteratorIjlEEPS9_SG_NS0_5tupleIJPjSI_NS0_16reverse_iteratorISI_EEEEENSH_IJSG_SG_SG_EEES9_SI_JZNS1_25segmented_radix_sort_implINS0_14default_configELb1EPKdPdPKlPlN2at6native12_GLOBAL__N_18offset_tEEE10hipError_tPvRmT1_PNSt15iterator_traitsIS12_E10value_typeET2_T3_PNS13_IS18_E10value_typeET4_jRbjT5_S1E_jjP12ihipStream_tbEUljE_ZNSN_ISO_Lb1ESQ_SR_ST_SU_SY_EESZ_S10_S11_S12_S16_S17_S18_S1B_S1C_jS1D_jS1E_S1E_jjS1G_bEUljE0_EEESZ_S10_S11_S18_S1C_S1E_T6_T7_T9_mT8_S1G_bDpT10_ENKUlT_T0_E_clISt17integral_constantIbLb0EES1T_IbLb1EEEEDaS1P_S1Q_EUlS1P_E_NS1_11comp_targetILNS1_3genE9ELNS1_11target_archE1100ELNS1_3gpuE3ELNS1_3repE0EEENS1_30default_config_static_selectorELNS0_4arch9wavefront6targetE0EEEvS12_,comdat
	.globl	_ZN7rocprim17ROCPRIM_400000_NS6detail17trampoline_kernelINS0_13select_configILj256ELj13ELNS0_17block_load_methodE3ELS4_3ELS4_3ELNS0_20block_scan_algorithmE0ELj4294967295EEENS1_25partition_config_selectorILNS1_17partition_subalgoE4EjNS0_10empty_typeEbEEZZNS1_14partition_implILS8_4ELb0ES6_15HIP_vector_typeIjLj2EENS0_17counting_iteratorIjlEEPS9_SG_NS0_5tupleIJPjSI_NS0_16reverse_iteratorISI_EEEEENSH_IJSG_SG_SG_EEES9_SI_JZNS1_25segmented_radix_sort_implINS0_14default_configELb1EPKdPdPKlPlN2at6native12_GLOBAL__N_18offset_tEEE10hipError_tPvRmT1_PNSt15iterator_traitsIS12_E10value_typeET2_T3_PNS13_IS18_E10value_typeET4_jRbjT5_S1E_jjP12ihipStream_tbEUljE_ZNSN_ISO_Lb1ESQ_SR_ST_SU_SY_EESZ_S10_S11_S12_S16_S17_S18_S1B_S1C_jS1D_jS1E_S1E_jjS1G_bEUljE0_EEESZ_S10_S11_S18_S1C_S1E_T6_T7_T9_mT8_S1G_bDpT10_ENKUlT_T0_E_clISt17integral_constantIbLb0EES1T_IbLb1EEEEDaS1P_S1Q_EUlS1P_E_NS1_11comp_targetILNS1_3genE9ELNS1_11target_archE1100ELNS1_3gpuE3ELNS1_3repE0EEENS1_30default_config_static_selectorELNS0_4arch9wavefront6targetE0EEEvS12_ ; -- Begin function _ZN7rocprim17ROCPRIM_400000_NS6detail17trampoline_kernelINS0_13select_configILj256ELj13ELNS0_17block_load_methodE3ELS4_3ELS4_3ELNS0_20block_scan_algorithmE0ELj4294967295EEENS1_25partition_config_selectorILNS1_17partition_subalgoE4EjNS0_10empty_typeEbEEZZNS1_14partition_implILS8_4ELb0ES6_15HIP_vector_typeIjLj2EENS0_17counting_iteratorIjlEEPS9_SG_NS0_5tupleIJPjSI_NS0_16reverse_iteratorISI_EEEEENSH_IJSG_SG_SG_EEES9_SI_JZNS1_25segmented_radix_sort_implINS0_14default_configELb1EPKdPdPKlPlN2at6native12_GLOBAL__N_18offset_tEEE10hipError_tPvRmT1_PNSt15iterator_traitsIS12_E10value_typeET2_T3_PNS13_IS18_E10value_typeET4_jRbjT5_S1E_jjP12ihipStream_tbEUljE_ZNSN_ISO_Lb1ESQ_SR_ST_SU_SY_EESZ_S10_S11_S12_S16_S17_S18_S1B_S1C_jS1D_jS1E_S1E_jjS1G_bEUljE0_EEESZ_S10_S11_S18_S1C_S1E_T6_T7_T9_mT8_S1G_bDpT10_ENKUlT_T0_E_clISt17integral_constantIbLb0EES1T_IbLb1EEEEDaS1P_S1Q_EUlS1P_E_NS1_11comp_targetILNS1_3genE9ELNS1_11target_archE1100ELNS1_3gpuE3ELNS1_3repE0EEENS1_30default_config_static_selectorELNS0_4arch9wavefront6targetE0EEEvS12_
	.p2align	8
	.type	_ZN7rocprim17ROCPRIM_400000_NS6detail17trampoline_kernelINS0_13select_configILj256ELj13ELNS0_17block_load_methodE3ELS4_3ELS4_3ELNS0_20block_scan_algorithmE0ELj4294967295EEENS1_25partition_config_selectorILNS1_17partition_subalgoE4EjNS0_10empty_typeEbEEZZNS1_14partition_implILS8_4ELb0ES6_15HIP_vector_typeIjLj2EENS0_17counting_iteratorIjlEEPS9_SG_NS0_5tupleIJPjSI_NS0_16reverse_iteratorISI_EEEEENSH_IJSG_SG_SG_EEES9_SI_JZNS1_25segmented_radix_sort_implINS0_14default_configELb1EPKdPdPKlPlN2at6native12_GLOBAL__N_18offset_tEEE10hipError_tPvRmT1_PNSt15iterator_traitsIS12_E10value_typeET2_T3_PNS13_IS18_E10value_typeET4_jRbjT5_S1E_jjP12ihipStream_tbEUljE_ZNSN_ISO_Lb1ESQ_SR_ST_SU_SY_EESZ_S10_S11_S12_S16_S17_S18_S1B_S1C_jS1D_jS1E_S1E_jjS1G_bEUljE0_EEESZ_S10_S11_S18_S1C_S1E_T6_T7_T9_mT8_S1G_bDpT10_ENKUlT_T0_E_clISt17integral_constantIbLb0EES1T_IbLb1EEEEDaS1P_S1Q_EUlS1P_E_NS1_11comp_targetILNS1_3genE9ELNS1_11target_archE1100ELNS1_3gpuE3ELNS1_3repE0EEENS1_30default_config_static_selectorELNS0_4arch9wavefront6targetE0EEEvS12_,@function
_ZN7rocprim17ROCPRIM_400000_NS6detail17trampoline_kernelINS0_13select_configILj256ELj13ELNS0_17block_load_methodE3ELS4_3ELS4_3ELNS0_20block_scan_algorithmE0ELj4294967295EEENS1_25partition_config_selectorILNS1_17partition_subalgoE4EjNS0_10empty_typeEbEEZZNS1_14partition_implILS8_4ELb0ES6_15HIP_vector_typeIjLj2EENS0_17counting_iteratorIjlEEPS9_SG_NS0_5tupleIJPjSI_NS0_16reverse_iteratorISI_EEEEENSH_IJSG_SG_SG_EEES9_SI_JZNS1_25segmented_radix_sort_implINS0_14default_configELb1EPKdPdPKlPlN2at6native12_GLOBAL__N_18offset_tEEE10hipError_tPvRmT1_PNSt15iterator_traitsIS12_E10value_typeET2_T3_PNS13_IS18_E10value_typeET4_jRbjT5_S1E_jjP12ihipStream_tbEUljE_ZNSN_ISO_Lb1ESQ_SR_ST_SU_SY_EESZ_S10_S11_S12_S16_S17_S18_S1B_S1C_jS1D_jS1E_S1E_jjS1G_bEUljE0_EEESZ_S10_S11_S18_S1C_S1E_T6_T7_T9_mT8_S1G_bDpT10_ENKUlT_T0_E_clISt17integral_constantIbLb0EES1T_IbLb1EEEEDaS1P_S1Q_EUlS1P_E_NS1_11comp_targetILNS1_3genE9ELNS1_11target_archE1100ELNS1_3gpuE3ELNS1_3repE0EEENS1_30default_config_static_selectorELNS0_4arch9wavefront6targetE0EEEvS12_: ; @_ZN7rocprim17ROCPRIM_400000_NS6detail17trampoline_kernelINS0_13select_configILj256ELj13ELNS0_17block_load_methodE3ELS4_3ELS4_3ELNS0_20block_scan_algorithmE0ELj4294967295EEENS1_25partition_config_selectorILNS1_17partition_subalgoE4EjNS0_10empty_typeEbEEZZNS1_14partition_implILS8_4ELb0ES6_15HIP_vector_typeIjLj2EENS0_17counting_iteratorIjlEEPS9_SG_NS0_5tupleIJPjSI_NS0_16reverse_iteratorISI_EEEEENSH_IJSG_SG_SG_EEES9_SI_JZNS1_25segmented_radix_sort_implINS0_14default_configELb1EPKdPdPKlPlN2at6native12_GLOBAL__N_18offset_tEEE10hipError_tPvRmT1_PNSt15iterator_traitsIS12_E10value_typeET2_T3_PNS13_IS18_E10value_typeET4_jRbjT5_S1E_jjP12ihipStream_tbEUljE_ZNSN_ISO_Lb1ESQ_SR_ST_SU_SY_EESZ_S10_S11_S12_S16_S17_S18_S1B_S1C_jS1D_jS1E_S1E_jjS1G_bEUljE0_EEESZ_S10_S11_S18_S1C_S1E_T6_T7_T9_mT8_S1G_bDpT10_ENKUlT_T0_E_clISt17integral_constantIbLb0EES1T_IbLb1EEEEDaS1P_S1Q_EUlS1P_E_NS1_11comp_targetILNS1_3genE9ELNS1_11target_archE1100ELNS1_3gpuE3ELNS1_3repE0EEENS1_30default_config_static_selectorELNS0_4arch9wavefront6targetE0EEEvS12_
; %bb.0:
	.section	.rodata,"a",@progbits
	.p2align	6, 0x0
	.amdhsa_kernel _ZN7rocprim17ROCPRIM_400000_NS6detail17trampoline_kernelINS0_13select_configILj256ELj13ELNS0_17block_load_methodE3ELS4_3ELS4_3ELNS0_20block_scan_algorithmE0ELj4294967295EEENS1_25partition_config_selectorILNS1_17partition_subalgoE4EjNS0_10empty_typeEbEEZZNS1_14partition_implILS8_4ELb0ES6_15HIP_vector_typeIjLj2EENS0_17counting_iteratorIjlEEPS9_SG_NS0_5tupleIJPjSI_NS0_16reverse_iteratorISI_EEEEENSH_IJSG_SG_SG_EEES9_SI_JZNS1_25segmented_radix_sort_implINS0_14default_configELb1EPKdPdPKlPlN2at6native12_GLOBAL__N_18offset_tEEE10hipError_tPvRmT1_PNSt15iterator_traitsIS12_E10value_typeET2_T3_PNS13_IS18_E10value_typeET4_jRbjT5_S1E_jjP12ihipStream_tbEUljE_ZNSN_ISO_Lb1ESQ_SR_ST_SU_SY_EESZ_S10_S11_S12_S16_S17_S18_S1B_S1C_jS1D_jS1E_S1E_jjS1G_bEUljE0_EEESZ_S10_S11_S18_S1C_S1E_T6_T7_T9_mT8_S1G_bDpT10_ENKUlT_T0_E_clISt17integral_constantIbLb0EES1T_IbLb1EEEEDaS1P_S1Q_EUlS1P_E_NS1_11comp_targetILNS1_3genE9ELNS1_11target_archE1100ELNS1_3gpuE3ELNS1_3repE0EEENS1_30default_config_static_selectorELNS0_4arch9wavefront6targetE0EEEvS12_
		.amdhsa_group_segment_fixed_size 0
		.amdhsa_private_segment_fixed_size 0
		.amdhsa_kernarg_size 184
		.amdhsa_user_sgpr_count 2
		.amdhsa_user_sgpr_dispatch_ptr 0
		.amdhsa_user_sgpr_queue_ptr 0
		.amdhsa_user_sgpr_kernarg_segment_ptr 1
		.amdhsa_user_sgpr_dispatch_id 0
		.amdhsa_user_sgpr_kernarg_preload_length 0
		.amdhsa_user_sgpr_kernarg_preload_offset 0
		.amdhsa_user_sgpr_private_segment_size 0
		.amdhsa_wavefront_size32 1
		.amdhsa_uses_dynamic_stack 0
		.amdhsa_enable_private_segment 0
		.amdhsa_system_sgpr_workgroup_id_x 1
		.amdhsa_system_sgpr_workgroup_id_y 0
		.amdhsa_system_sgpr_workgroup_id_z 0
		.amdhsa_system_sgpr_workgroup_info 0
		.amdhsa_system_vgpr_workitem_id 0
		.amdhsa_next_free_vgpr 1
		.amdhsa_next_free_sgpr 1
		.amdhsa_named_barrier_count 0
		.amdhsa_reserve_vcc 0
		.amdhsa_float_round_mode_32 0
		.amdhsa_float_round_mode_16_64 0
		.amdhsa_float_denorm_mode_32 3
		.amdhsa_float_denorm_mode_16_64 3
		.amdhsa_fp16_overflow 0
		.amdhsa_memory_ordered 1
		.amdhsa_forward_progress 1
		.amdhsa_inst_pref_size 0
		.amdhsa_round_robin_scheduling 0
		.amdhsa_exception_fp_ieee_invalid_op 0
		.amdhsa_exception_fp_denorm_src 0
		.amdhsa_exception_fp_ieee_div_zero 0
		.amdhsa_exception_fp_ieee_overflow 0
		.amdhsa_exception_fp_ieee_underflow 0
		.amdhsa_exception_fp_ieee_inexact 0
		.amdhsa_exception_int_div_zero 0
	.end_amdhsa_kernel
	.section	.text._ZN7rocprim17ROCPRIM_400000_NS6detail17trampoline_kernelINS0_13select_configILj256ELj13ELNS0_17block_load_methodE3ELS4_3ELS4_3ELNS0_20block_scan_algorithmE0ELj4294967295EEENS1_25partition_config_selectorILNS1_17partition_subalgoE4EjNS0_10empty_typeEbEEZZNS1_14partition_implILS8_4ELb0ES6_15HIP_vector_typeIjLj2EENS0_17counting_iteratorIjlEEPS9_SG_NS0_5tupleIJPjSI_NS0_16reverse_iteratorISI_EEEEENSH_IJSG_SG_SG_EEES9_SI_JZNS1_25segmented_radix_sort_implINS0_14default_configELb1EPKdPdPKlPlN2at6native12_GLOBAL__N_18offset_tEEE10hipError_tPvRmT1_PNSt15iterator_traitsIS12_E10value_typeET2_T3_PNS13_IS18_E10value_typeET4_jRbjT5_S1E_jjP12ihipStream_tbEUljE_ZNSN_ISO_Lb1ESQ_SR_ST_SU_SY_EESZ_S10_S11_S12_S16_S17_S18_S1B_S1C_jS1D_jS1E_S1E_jjS1G_bEUljE0_EEESZ_S10_S11_S18_S1C_S1E_T6_T7_T9_mT8_S1G_bDpT10_ENKUlT_T0_E_clISt17integral_constantIbLb0EES1T_IbLb1EEEEDaS1P_S1Q_EUlS1P_E_NS1_11comp_targetILNS1_3genE9ELNS1_11target_archE1100ELNS1_3gpuE3ELNS1_3repE0EEENS1_30default_config_static_selectorELNS0_4arch9wavefront6targetE0EEEvS12_,"axG",@progbits,_ZN7rocprim17ROCPRIM_400000_NS6detail17trampoline_kernelINS0_13select_configILj256ELj13ELNS0_17block_load_methodE3ELS4_3ELS4_3ELNS0_20block_scan_algorithmE0ELj4294967295EEENS1_25partition_config_selectorILNS1_17partition_subalgoE4EjNS0_10empty_typeEbEEZZNS1_14partition_implILS8_4ELb0ES6_15HIP_vector_typeIjLj2EENS0_17counting_iteratorIjlEEPS9_SG_NS0_5tupleIJPjSI_NS0_16reverse_iteratorISI_EEEEENSH_IJSG_SG_SG_EEES9_SI_JZNS1_25segmented_radix_sort_implINS0_14default_configELb1EPKdPdPKlPlN2at6native12_GLOBAL__N_18offset_tEEE10hipError_tPvRmT1_PNSt15iterator_traitsIS12_E10value_typeET2_T3_PNS13_IS18_E10value_typeET4_jRbjT5_S1E_jjP12ihipStream_tbEUljE_ZNSN_ISO_Lb1ESQ_SR_ST_SU_SY_EESZ_S10_S11_S12_S16_S17_S18_S1B_S1C_jS1D_jS1E_S1E_jjS1G_bEUljE0_EEESZ_S10_S11_S18_S1C_S1E_T6_T7_T9_mT8_S1G_bDpT10_ENKUlT_T0_E_clISt17integral_constantIbLb0EES1T_IbLb1EEEEDaS1P_S1Q_EUlS1P_E_NS1_11comp_targetILNS1_3genE9ELNS1_11target_archE1100ELNS1_3gpuE3ELNS1_3repE0EEENS1_30default_config_static_selectorELNS0_4arch9wavefront6targetE0EEEvS12_,comdat
.Lfunc_end1078:
	.size	_ZN7rocprim17ROCPRIM_400000_NS6detail17trampoline_kernelINS0_13select_configILj256ELj13ELNS0_17block_load_methodE3ELS4_3ELS4_3ELNS0_20block_scan_algorithmE0ELj4294967295EEENS1_25partition_config_selectorILNS1_17partition_subalgoE4EjNS0_10empty_typeEbEEZZNS1_14partition_implILS8_4ELb0ES6_15HIP_vector_typeIjLj2EENS0_17counting_iteratorIjlEEPS9_SG_NS0_5tupleIJPjSI_NS0_16reverse_iteratorISI_EEEEENSH_IJSG_SG_SG_EEES9_SI_JZNS1_25segmented_radix_sort_implINS0_14default_configELb1EPKdPdPKlPlN2at6native12_GLOBAL__N_18offset_tEEE10hipError_tPvRmT1_PNSt15iterator_traitsIS12_E10value_typeET2_T3_PNS13_IS18_E10value_typeET4_jRbjT5_S1E_jjP12ihipStream_tbEUljE_ZNSN_ISO_Lb1ESQ_SR_ST_SU_SY_EESZ_S10_S11_S12_S16_S17_S18_S1B_S1C_jS1D_jS1E_S1E_jjS1G_bEUljE0_EEESZ_S10_S11_S18_S1C_S1E_T6_T7_T9_mT8_S1G_bDpT10_ENKUlT_T0_E_clISt17integral_constantIbLb0EES1T_IbLb1EEEEDaS1P_S1Q_EUlS1P_E_NS1_11comp_targetILNS1_3genE9ELNS1_11target_archE1100ELNS1_3gpuE3ELNS1_3repE0EEENS1_30default_config_static_selectorELNS0_4arch9wavefront6targetE0EEEvS12_, .Lfunc_end1078-_ZN7rocprim17ROCPRIM_400000_NS6detail17trampoline_kernelINS0_13select_configILj256ELj13ELNS0_17block_load_methodE3ELS4_3ELS4_3ELNS0_20block_scan_algorithmE0ELj4294967295EEENS1_25partition_config_selectorILNS1_17partition_subalgoE4EjNS0_10empty_typeEbEEZZNS1_14partition_implILS8_4ELb0ES6_15HIP_vector_typeIjLj2EENS0_17counting_iteratorIjlEEPS9_SG_NS0_5tupleIJPjSI_NS0_16reverse_iteratorISI_EEEEENSH_IJSG_SG_SG_EEES9_SI_JZNS1_25segmented_radix_sort_implINS0_14default_configELb1EPKdPdPKlPlN2at6native12_GLOBAL__N_18offset_tEEE10hipError_tPvRmT1_PNSt15iterator_traitsIS12_E10value_typeET2_T3_PNS13_IS18_E10value_typeET4_jRbjT5_S1E_jjP12ihipStream_tbEUljE_ZNSN_ISO_Lb1ESQ_SR_ST_SU_SY_EESZ_S10_S11_S12_S16_S17_S18_S1B_S1C_jS1D_jS1E_S1E_jjS1G_bEUljE0_EEESZ_S10_S11_S18_S1C_S1E_T6_T7_T9_mT8_S1G_bDpT10_ENKUlT_T0_E_clISt17integral_constantIbLb0EES1T_IbLb1EEEEDaS1P_S1Q_EUlS1P_E_NS1_11comp_targetILNS1_3genE9ELNS1_11target_archE1100ELNS1_3gpuE3ELNS1_3repE0EEENS1_30default_config_static_selectorELNS0_4arch9wavefront6targetE0EEEvS12_
                                        ; -- End function
	.set _ZN7rocprim17ROCPRIM_400000_NS6detail17trampoline_kernelINS0_13select_configILj256ELj13ELNS0_17block_load_methodE3ELS4_3ELS4_3ELNS0_20block_scan_algorithmE0ELj4294967295EEENS1_25partition_config_selectorILNS1_17partition_subalgoE4EjNS0_10empty_typeEbEEZZNS1_14partition_implILS8_4ELb0ES6_15HIP_vector_typeIjLj2EENS0_17counting_iteratorIjlEEPS9_SG_NS0_5tupleIJPjSI_NS0_16reverse_iteratorISI_EEEEENSH_IJSG_SG_SG_EEES9_SI_JZNS1_25segmented_radix_sort_implINS0_14default_configELb1EPKdPdPKlPlN2at6native12_GLOBAL__N_18offset_tEEE10hipError_tPvRmT1_PNSt15iterator_traitsIS12_E10value_typeET2_T3_PNS13_IS18_E10value_typeET4_jRbjT5_S1E_jjP12ihipStream_tbEUljE_ZNSN_ISO_Lb1ESQ_SR_ST_SU_SY_EESZ_S10_S11_S12_S16_S17_S18_S1B_S1C_jS1D_jS1E_S1E_jjS1G_bEUljE0_EEESZ_S10_S11_S18_S1C_S1E_T6_T7_T9_mT8_S1G_bDpT10_ENKUlT_T0_E_clISt17integral_constantIbLb0EES1T_IbLb1EEEEDaS1P_S1Q_EUlS1P_E_NS1_11comp_targetILNS1_3genE9ELNS1_11target_archE1100ELNS1_3gpuE3ELNS1_3repE0EEENS1_30default_config_static_selectorELNS0_4arch9wavefront6targetE0EEEvS12_.num_vgpr, 0
	.set _ZN7rocprim17ROCPRIM_400000_NS6detail17trampoline_kernelINS0_13select_configILj256ELj13ELNS0_17block_load_methodE3ELS4_3ELS4_3ELNS0_20block_scan_algorithmE0ELj4294967295EEENS1_25partition_config_selectorILNS1_17partition_subalgoE4EjNS0_10empty_typeEbEEZZNS1_14partition_implILS8_4ELb0ES6_15HIP_vector_typeIjLj2EENS0_17counting_iteratorIjlEEPS9_SG_NS0_5tupleIJPjSI_NS0_16reverse_iteratorISI_EEEEENSH_IJSG_SG_SG_EEES9_SI_JZNS1_25segmented_radix_sort_implINS0_14default_configELb1EPKdPdPKlPlN2at6native12_GLOBAL__N_18offset_tEEE10hipError_tPvRmT1_PNSt15iterator_traitsIS12_E10value_typeET2_T3_PNS13_IS18_E10value_typeET4_jRbjT5_S1E_jjP12ihipStream_tbEUljE_ZNSN_ISO_Lb1ESQ_SR_ST_SU_SY_EESZ_S10_S11_S12_S16_S17_S18_S1B_S1C_jS1D_jS1E_S1E_jjS1G_bEUljE0_EEESZ_S10_S11_S18_S1C_S1E_T6_T7_T9_mT8_S1G_bDpT10_ENKUlT_T0_E_clISt17integral_constantIbLb0EES1T_IbLb1EEEEDaS1P_S1Q_EUlS1P_E_NS1_11comp_targetILNS1_3genE9ELNS1_11target_archE1100ELNS1_3gpuE3ELNS1_3repE0EEENS1_30default_config_static_selectorELNS0_4arch9wavefront6targetE0EEEvS12_.num_agpr, 0
	.set _ZN7rocprim17ROCPRIM_400000_NS6detail17trampoline_kernelINS0_13select_configILj256ELj13ELNS0_17block_load_methodE3ELS4_3ELS4_3ELNS0_20block_scan_algorithmE0ELj4294967295EEENS1_25partition_config_selectorILNS1_17partition_subalgoE4EjNS0_10empty_typeEbEEZZNS1_14partition_implILS8_4ELb0ES6_15HIP_vector_typeIjLj2EENS0_17counting_iteratorIjlEEPS9_SG_NS0_5tupleIJPjSI_NS0_16reverse_iteratorISI_EEEEENSH_IJSG_SG_SG_EEES9_SI_JZNS1_25segmented_radix_sort_implINS0_14default_configELb1EPKdPdPKlPlN2at6native12_GLOBAL__N_18offset_tEEE10hipError_tPvRmT1_PNSt15iterator_traitsIS12_E10value_typeET2_T3_PNS13_IS18_E10value_typeET4_jRbjT5_S1E_jjP12ihipStream_tbEUljE_ZNSN_ISO_Lb1ESQ_SR_ST_SU_SY_EESZ_S10_S11_S12_S16_S17_S18_S1B_S1C_jS1D_jS1E_S1E_jjS1G_bEUljE0_EEESZ_S10_S11_S18_S1C_S1E_T6_T7_T9_mT8_S1G_bDpT10_ENKUlT_T0_E_clISt17integral_constantIbLb0EES1T_IbLb1EEEEDaS1P_S1Q_EUlS1P_E_NS1_11comp_targetILNS1_3genE9ELNS1_11target_archE1100ELNS1_3gpuE3ELNS1_3repE0EEENS1_30default_config_static_selectorELNS0_4arch9wavefront6targetE0EEEvS12_.numbered_sgpr, 0
	.set _ZN7rocprim17ROCPRIM_400000_NS6detail17trampoline_kernelINS0_13select_configILj256ELj13ELNS0_17block_load_methodE3ELS4_3ELS4_3ELNS0_20block_scan_algorithmE0ELj4294967295EEENS1_25partition_config_selectorILNS1_17partition_subalgoE4EjNS0_10empty_typeEbEEZZNS1_14partition_implILS8_4ELb0ES6_15HIP_vector_typeIjLj2EENS0_17counting_iteratorIjlEEPS9_SG_NS0_5tupleIJPjSI_NS0_16reverse_iteratorISI_EEEEENSH_IJSG_SG_SG_EEES9_SI_JZNS1_25segmented_radix_sort_implINS0_14default_configELb1EPKdPdPKlPlN2at6native12_GLOBAL__N_18offset_tEEE10hipError_tPvRmT1_PNSt15iterator_traitsIS12_E10value_typeET2_T3_PNS13_IS18_E10value_typeET4_jRbjT5_S1E_jjP12ihipStream_tbEUljE_ZNSN_ISO_Lb1ESQ_SR_ST_SU_SY_EESZ_S10_S11_S12_S16_S17_S18_S1B_S1C_jS1D_jS1E_S1E_jjS1G_bEUljE0_EEESZ_S10_S11_S18_S1C_S1E_T6_T7_T9_mT8_S1G_bDpT10_ENKUlT_T0_E_clISt17integral_constantIbLb0EES1T_IbLb1EEEEDaS1P_S1Q_EUlS1P_E_NS1_11comp_targetILNS1_3genE9ELNS1_11target_archE1100ELNS1_3gpuE3ELNS1_3repE0EEENS1_30default_config_static_selectorELNS0_4arch9wavefront6targetE0EEEvS12_.num_named_barrier, 0
	.set _ZN7rocprim17ROCPRIM_400000_NS6detail17trampoline_kernelINS0_13select_configILj256ELj13ELNS0_17block_load_methodE3ELS4_3ELS4_3ELNS0_20block_scan_algorithmE0ELj4294967295EEENS1_25partition_config_selectorILNS1_17partition_subalgoE4EjNS0_10empty_typeEbEEZZNS1_14partition_implILS8_4ELb0ES6_15HIP_vector_typeIjLj2EENS0_17counting_iteratorIjlEEPS9_SG_NS0_5tupleIJPjSI_NS0_16reverse_iteratorISI_EEEEENSH_IJSG_SG_SG_EEES9_SI_JZNS1_25segmented_radix_sort_implINS0_14default_configELb1EPKdPdPKlPlN2at6native12_GLOBAL__N_18offset_tEEE10hipError_tPvRmT1_PNSt15iterator_traitsIS12_E10value_typeET2_T3_PNS13_IS18_E10value_typeET4_jRbjT5_S1E_jjP12ihipStream_tbEUljE_ZNSN_ISO_Lb1ESQ_SR_ST_SU_SY_EESZ_S10_S11_S12_S16_S17_S18_S1B_S1C_jS1D_jS1E_S1E_jjS1G_bEUljE0_EEESZ_S10_S11_S18_S1C_S1E_T6_T7_T9_mT8_S1G_bDpT10_ENKUlT_T0_E_clISt17integral_constantIbLb0EES1T_IbLb1EEEEDaS1P_S1Q_EUlS1P_E_NS1_11comp_targetILNS1_3genE9ELNS1_11target_archE1100ELNS1_3gpuE3ELNS1_3repE0EEENS1_30default_config_static_selectorELNS0_4arch9wavefront6targetE0EEEvS12_.private_seg_size, 0
	.set _ZN7rocprim17ROCPRIM_400000_NS6detail17trampoline_kernelINS0_13select_configILj256ELj13ELNS0_17block_load_methodE3ELS4_3ELS4_3ELNS0_20block_scan_algorithmE0ELj4294967295EEENS1_25partition_config_selectorILNS1_17partition_subalgoE4EjNS0_10empty_typeEbEEZZNS1_14partition_implILS8_4ELb0ES6_15HIP_vector_typeIjLj2EENS0_17counting_iteratorIjlEEPS9_SG_NS0_5tupleIJPjSI_NS0_16reverse_iteratorISI_EEEEENSH_IJSG_SG_SG_EEES9_SI_JZNS1_25segmented_radix_sort_implINS0_14default_configELb1EPKdPdPKlPlN2at6native12_GLOBAL__N_18offset_tEEE10hipError_tPvRmT1_PNSt15iterator_traitsIS12_E10value_typeET2_T3_PNS13_IS18_E10value_typeET4_jRbjT5_S1E_jjP12ihipStream_tbEUljE_ZNSN_ISO_Lb1ESQ_SR_ST_SU_SY_EESZ_S10_S11_S12_S16_S17_S18_S1B_S1C_jS1D_jS1E_S1E_jjS1G_bEUljE0_EEESZ_S10_S11_S18_S1C_S1E_T6_T7_T9_mT8_S1G_bDpT10_ENKUlT_T0_E_clISt17integral_constantIbLb0EES1T_IbLb1EEEEDaS1P_S1Q_EUlS1P_E_NS1_11comp_targetILNS1_3genE9ELNS1_11target_archE1100ELNS1_3gpuE3ELNS1_3repE0EEENS1_30default_config_static_selectorELNS0_4arch9wavefront6targetE0EEEvS12_.uses_vcc, 0
	.set _ZN7rocprim17ROCPRIM_400000_NS6detail17trampoline_kernelINS0_13select_configILj256ELj13ELNS0_17block_load_methodE3ELS4_3ELS4_3ELNS0_20block_scan_algorithmE0ELj4294967295EEENS1_25partition_config_selectorILNS1_17partition_subalgoE4EjNS0_10empty_typeEbEEZZNS1_14partition_implILS8_4ELb0ES6_15HIP_vector_typeIjLj2EENS0_17counting_iteratorIjlEEPS9_SG_NS0_5tupleIJPjSI_NS0_16reverse_iteratorISI_EEEEENSH_IJSG_SG_SG_EEES9_SI_JZNS1_25segmented_radix_sort_implINS0_14default_configELb1EPKdPdPKlPlN2at6native12_GLOBAL__N_18offset_tEEE10hipError_tPvRmT1_PNSt15iterator_traitsIS12_E10value_typeET2_T3_PNS13_IS18_E10value_typeET4_jRbjT5_S1E_jjP12ihipStream_tbEUljE_ZNSN_ISO_Lb1ESQ_SR_ST_SU_SY_EESZ_S10_S11_S12_S16_S17_S18_S1B_S1C_jS1D_jS1E_S1E_jjS1G_bEUljE0_EEESZ_S10_S11_S18_S1C_S1E_T6_T7_T9_mT8_S1G_bDpT10_ENKUlT_T0_E_clISt17integral_constantIbLb0EES1T_IbLb1EEEEDaS1P_S1Q_EUlS1P_E_NS1_11comp_targetILNS1_3genE9ELNS1_11target_archE1100ELNS1_3gpuE3ELNS1_3repE0EEENS1_30default_config_static_selectorELNS0_4arch9wavefront6targetE0EEEvS12_.uses_flat_scratch, 0
	.set _ZN7rocprim17ROCPRIM_400000_NS6detail17trampoline_kernelINS0_13select_configILj256ELj13ELNS0_17block_load_methodE3ELS4_3ELS4_3ELNS0_20block_scan_algorithmE0ELj4294967295EEENS1_25partition_config_selectorILNS1_17partition_subalgoE4EjNS0_10empty_typeEbEEZZNS1_14partition_implILS8_4ELb0ES6_15HIP_vector_typeIjLj2EENS0_17counting_iteratorIjlEEPS9_SG_NS0_5tupleIJPjSI_NS0_16reverse_iteratorISI_EEEEENSH_IJSG_SG_SG_EEES9_SI_JZNS1_25segmented_radix_sort_implINS0_14default_configELb1EPKdPdPKlPlN2at6native12_GLOBAL__N_18offset_tEEE10hipError_tPvRmT1_PNSt15iterator_traitsIS12_E10value_typeET2_T3_PNS13_IS18_E10value_typeET4_jRbjT5_S1E_jjP12ihipStream_tbEUljE_ZNSN_ISO_Lb1ESQ_SR_ST_SU_SY_EESZ_S10_S11_S12_S16_S17_S18_S1B_S1C_jS1D_jS1E_S1E_jjS1G_bEUljE0_EEESZ_S10_S11_S18_S1C_S1E_T6_T7_T9_mT8_S1G_bDpT10_ENKUlT_T0_E_clISt17integral_constantIbLb0EES1T_IbLb1EEEEDaS1P_S1Q_EUlS1P_E_NS1_11comp_targetILNS1_3genE9ELNS1_11target_archE1100ELNS1_3gpuE3ELNS1_3repE0EEENS1_30default_config_static_selectorELNS0_4arch9wavefront6targetE0EEEvS12_.has_dyn_sized_stack, 0
	.set _ZN7rocprim17ROCPRIM_400000_NS6detail17trampoline_kernelINS0_13select_configILj256ELj13ELNS0_17block_load_methodE3ELS4_3ELS4_3ELNS0_20block_scan_algorithmE0ELj4294967295EEENS1_25partition_config_selectorILNS1_17partition_subalgoE4EjNS0_10empty_typeEbEEZZNS1_14partition_implILS8_4ELb0ES6_15HIP_vector_typeIjLj2EENS0_17counting_iteratorIjlEEPS9_SG_NS0_5tupleIJPjSI_NS0_16reverse_iteratorISI_EEEEENSH_IJSG_SG_SG_EEES9_SI_JZNS1_25segmented_radix_sort_implINS0_14default_configELb1EPKdPdPKlPlN2at6native12_GLOBAL__N_18offset_tEEE10hipError_tPvRmT1_PNSt15iterator_traitsIS12_E10value_typeET2_T3_PNS13_IS18_E10value_typeET4_jRbjT5_S1E_jjP12ihipStream_tbEUljE_ZNSN_ISO_Lb1ESQ_SR_ST_SU_SY_EESZ_S10_S11_S12_S16_S17_S18_S1B_S1C_jS1D_jS1E_S1E_jjS1G_bEUljE0_EEESZ_S10_S11_S18_S1C_S1E_T6_T7_T9_mT8_S1G_bDpT10_ENKUlT_T0_E_clISt17integral_constantIbLb0EES1T_IbLb1EEEEDaS1P_S1Q_EUlS1P_E_NS1_11comp_targetILNS1_3genE9ELNS1_11target_archE1100ELNS1_3gpuE3ELNS1_3repE0EEENS1_30default_config_static_selectorELNS0_4arch9wavefront6targetE0EEEvS12_.has_recursion, 0
	.set _ZN7rocprim17ROCPRIM_400000_NS6detail17trampoline_kernelINS0_13select_configILj256ELj13ELNS0_17block_load_methodE3ELS4_3ELS4_3ELNS0_20block_scan_algorithmE0ELj4294967295EEENS1_25partition_config_selectorILNS1_17partition_subalgoE4EjNS0_10empty_typeEbEEZZNS1_14partition_implILS8_4ELb0ES6_15HIP_vector_typeIjLj2EENS0_17counting_iteratorIjlEEPS9_SG_NS0_5tupleIJPjSI_NS0_16reverse_iteratorISI_EEEEENSH_IJSG_SG_SG_EEES9_SI_JZNS1_25segmented_radix_sort_implINS0_14default_configELb1EPKdPdPKlPlN2at6native12_GLOBAL__N_18offset_tEEE10hipError_tPvRmT1_PNSt15iterator_traitsIS12_E10value_typeET2_T3_PNS13_IS18_E10value_typeET4_jRbjT5_S1E_jjP12ihipStream_tbEUljE_ZNSN_ISO_Lb1ESQ_SR_ST_SU_SY_EESZ_S10_S11_S12_S16_S17_S18_S1B_S1C_jS1D_jS1E_S1E_jjS1G_bEUljE0_EEESZ_S10_S11_S18_S1C_S1E_T6_T7_T9_mT8_S1G_bDpT10_ENKUlT_T0_E_clISt17integral_constantIbLb0EES1T_IbLb1EEEEDaS1P_S1Q_EUlS1P_E_NS1_11comp_targetILNS1_3genE9ELNS1_11target_archE1100ELNS1_3gpuE3ELNS1_3repE0EEENS1_30default_config_static_selectorELNS0_4arch9wavefront6targetE0EEEvS12_.has_indirect_call, 0
	.section	.AMDGPU.csdata,"",@progbits
; Kernel info:
; codeLenInByte = 0
; TotalNumSgprs: 0
; NumVgprs: 0
; ScratchSize: 0
; MemoryBound: 0
; FloatMode: 240
; IeeeMode: 1
; LDSByteSize: 0 bytes/workgroup (compile time only)
; SGPRBlocks: 0
; VGPRBlocks: 0
; NumSGPRsForWavesPerEU: 1
; NumVGPRsForWavesPerEU: 1
; NamedBarCnt: 0
; Occupancy: 16
; WaveLimiterHint : 0
; COMPUTE_PGM_RSRC2:SCRATCH_EN: 0
; COMPUTE_PGM_RSRC2:USER_SGPR: 2
; COMPUTE_PGM_RSRC2:TRAP_HANDLER: 0
; COMPUTE_PGM_RSRC2:TGID_X_EN: 1
; COMPUTE_PGM_RSRC2:TGID_Y_EN: 0
; COMPUTE_PGM_RSRC2:TGID_Z_EN: 0
; COMPUTE_PGM_RSRC2:TIDIG_COMP_CNT: 0
	.section	.text._ZN7rocprim17ROCPRIM_400000_NS6detail17trampoline_kernelINS0_13select_configILj256ELj13ELNS0_17block_load_methodE3ELS4_3ELS4_3ELNS0_20block_scan_algorithmE0ELj4294967295EEENS1_25partition_config_selectorILNS1_17partition_subalgoE4EjNS0_10empty_typeEbEEZZNS1_14partition_implILS8_4ELb0ES6_15HIP_vector_typeIjLj2EENS0_17counting_iteratorIjlEEPS9_SG_NS0_5tupleIJPjSI_NS0_16reverse_iteratorISI_EEEEENSH_IJSG_SG_SG_EEES9_SI_JZNS1_25segmented_radix_sort_implINS0_14default_configELb1EPKdPdPKlPlN2at6native12_GLOBAL__N_18offset_tEEE10hipError_tPvRmT1_PNSt15iterator_traitsIS12_E10value_typeET2_T3_PNS13_IS18_E10value_typeET4_jRbjT5_S1E_jjP12ihipStream_tbEUljE_ZNSN_ISO_Lb1ESQ_SR_ST_SU_SY_EESZ_S10_S11_S12_S16_S17_S18_S1B_S1C_jS1D_jS1E_S1E_jjS1G_bEUljE0_EEESZ_S10_S11_S18_S1C_S1E_T6_T7_T9_mT8_S1G_bDpT10_ENKUlT_T0_E_clISt17integral_constantIbLb0EES1T_IbLb1EEEEDaS1P_S1Q_EUlS1P_E_NS1_11comp_targetILNS1_3genE8ELNS1_11target_archE1030ELNS1_3gpuE2ELNS1_3repE0EEENS1_30default_config_static_selectorELNS0_4arch9wavefront6targetE0EEEvS12_,"axG",@progbits,_ZN7rocprim17ROCPRIM_400000_NS6detail17trampoline_kernelINS0_13select_configILj256ELj13ELNS0_17block_load_methodE3ELS4_3ELS4_3ELNS0_20block_scan_algorithmE0ELj4294967295EEENS1_25partition_config_selectorILNS1_17partition_subalgoE4EjNS0_10empty_typeEbEEZZNS1_14partition_implILS8_4ELb0ES6_15HIP_vector_typeIjLj2EENS0_17counting_iteratorIjlEEPS9_SG_NS0_5tupleIJPjSI_NS0_16reverse_iteratorISI_EEEEENSH_IJSG_SG_SG_EEES9_SI_JZNS1_25segmented_radix_sort_implINS0_14default_configELb1EPKdPdPKlPlN2at6native12_GLOBAL__N_18offset_tEEE10hipError_tPvRmT1_PNSt15iterator_traitsIS12_E10value_typeET2_T3_PNS13_IS18_E10value_typeET4_jRbjT5_S1E_jjP12ihipStream_tbEUljE_ZNSN_ISO_Lb1ESQ_SR_ST_SU_SY_EESZ_S10_S11_S12_S16_S17_S18_S1B_S1C_jS1D_jS1E_S1E_jjS1G_bEUljE0_EEESZ_S10_S11_S18_S1C_S1E_T6_T7_T9_mT8_S1G_bDpT10_ENKUlT_T0_E_clISt17integral_constantIbLb0EES1T_IbLb1EEEEDaS1P_S1Q_EUlS1P_E_NS1_11comp_targetILNS1_3genE8ELNS1_11target_archE1030ELNS1_3gpuE2ELNS1_3repE0EEENS1_30default_config_static_selectorELNS0_4arch9wavefront6targetE0EEEvS12_,comdat
	.globl	_ZN7rocprim17ROCPRIM_400000_NS6detail17trampoline_kernelINS0_13select_configILj256ELj13ELNS0_17block_load_methodE3ELS4_3ELS4_3ELNS0_20block_scan_algorithmE0ELj4294967295EEENS1_25partition_config_selectorILNS1_17partition_subalgoE4EjNS0_10empty_typeEbEEZZNS1_14partition_implILS8_4ELb0ES6_15HIP_vector_typeIjLj2EENS0_17counting_iteratorIjlEEPS9_SG_NS0_5tupleIJPjSI_NS0_16reverse_iteratorISI_EEEEENSH_IJSG_SG_SG_EEES9_SI_JZNS1_25segmented_radix_sort_implINS0_14default_configELb1EPKdPdPKlPlN2at6native12_GLOBAL__N_18offset_tEEE10hipError_tPvRmT1_PNSt15iterator_traitsIS12_E10value_typeET2_T3_PNS13_IS18_E10value_typeET4_jRbjT5_S1E_jjP12ihipStream_tbEUljE_ZNSN_ISO_Lb1ESQ_SR_ST_SU_SY_EESZ_S10_S11_S12_S16_S17_S18_S1B_S1C_jS1D_jS1E_S1E_jjS1G_bEUljE0_EEESZ_S10_S11_S18_S1C_S1E_T6_T7_T9_mT8_S1G_bDpT10_ENKUlT_T0_E_clISt17integral_constantIbLb0EES1T_IbLb1EEEEDaS1P_S1Q_EUlS1P_E_NS1_11comp_targetILNS1_3genE8ELNS1_11target_archE1030ELNS1_3gpuE2ELNS1_3repE0EEENS1_30default_config_static_selectorELNS0_4arch9wavefront6targetE0EEEvS12_ ; -- Begin function _ZN7rocprim17ROCPRIM_400000_NS6detail17trampoline_kernelINS0_13select_configILj256ELj13ELNS0_17block_load_methodE3ELS4_3ELS4_3ELNS0_20block_scan_algorithmE0ELj4294967295EEENS1_25partition_config_selectorILNS1_17partition_subalgoE4EjNS0_10empty_typeEbEEZZNS1_14partition_implILS8_4ELb0ES6_15HIP_vector_typeIjLj2EENS0_17counting_iteratorIjlEEPS9_SG_NS0_5tupleIJPjSI_NS0_16reverse_iteratorISI_EEEEENSH_IJSG_SG_SG_EEES9_SI_JZNS1_25segmented_radix_sort_implINS0_14default_configELb1EPKdPdPKlPlN2at6native12_GLOBAL__N_18offset_tEEE10hipError_tPvRmT1_PNSt15iterator_traitsIS12_E10value_typeET2_T3_PNS13_IS18_E10value_typeET4_jRbjT5_S1E_jjP12ihipStream_tbEUljE_ZNSN_ISO_Lb1ESQ_SR_ST_SU_SY_EESZ_S10_S11_S12_S16_S17_S18_S1B_S1C_jS1D_jS1E_S1E_jjS1G_bEUljE0_EEESZ_S10_S11_S18_S1C_S1E_T6_T7_T9_mT8_S1G_bDpT10_ENKUlT_T0_E_clISt17integral_constantIbLb0EES1T_IbLb1EEEEDaS1P_S1Q_EUlS1P_E_NS1_11comp_targetILNS1_3genE8ELNS1_11target_archE1030ELNS1_3gpuE2ELNS1_3repE0EEENS1_30default_config_static_selectorELNS0_4arch9wavefront6targetE0EEEvS12_
	.p2align	8
	.type	_ZN7rocprim17ROCPRIM_400000_NS6detail17trampoline_kernelINS0_13select_configILj256ELj13ELNS0_17block_load_methodE3ELS4_3ELS4_3ELNS0_20block_scan_algorithmE0ELj4294967295EEENS1_25partition_config_selectorILNS1_17partition_subalgoE4EjNS0_10empty_typeEbEEZZNS1_14partition_implILS8_4ELb0ES6_15HIP_vector_typeIjLj2EENS0_17counting_iteratorIjlEEPS9_SG_NS0_5tupleIJPjSI_NS0_16reverse_iteratorISI_EEEEENSH_IJSG_SG_SG_EEES9_SI_JZNS1_25segmented_radix_sort_implINS0_14default_configELb1EPKdPdPKlPlN2at6native12_GLOBAL__N_18offset_tEEE10hipError_tPvRmT1_PNSt15iterator_traitsIS12_E10value_typeET2_T3_PNS13_IS18_E10value_typeET4_jRbjT5_S1E_jjP12ihipStream_tbEUljE_ZNSN_ISO_Lb1ESQ_SR_ST_SU_SY_EESZ_S10_S11_S12_S16_S17_S18_S1B_S1C_jS1D_jS1E_S1E_jjS1G_bEUljE0_EEESZ_S10_S11_S18_S1C_S1E_T6_T7_T9_mT8_S1G_bDpT10_ENKUlT_T0_E_clISt17integral_constantIbLb0EES1T_IbLb1EEEEDaS1P_S1Q_EUlS1P_E_NS1_11comp_targetILNS1_3genE8ELNS1_11target_archE1030ELNS1_3gpuE2ELNS1_3repE0EEENS1_30default_config_static_selectorELNS0_4arch9wavefront6targetE0EEEvS12_,@function
_ZN7rocprim17ROCPRIM_400000_NS6detail17trampoline_kernelINS0_13select_configILj256ELj13ELNS0_17block_load_methodE3ELS4_3ELS4_3ELNS0_20block_scan_algorithmE0ELj4294967295EEENS1_25partition_config_selectorILNS1_17partition_subalgoE4EjNS0_10empty_typeEbEEZZNS1_14partition_implILS8_4ELb0ES6_15HIP_vector_typeIjLj2EENS0_17counting_iteratorIjlEEPS9_SG_NS0_5tupleIJPjSI_NS0_16reverse_iteratorISI_EEEEENSH_IJSG_SG_SG_EEES9_SI_JZNS1_25segmented_radix_sort_implINS0_14default_configELb1EPKdPdPKlPlN2at6native12_GLOBAL__N_18offset_tEEE10hipError_tPvRmT1_PNSt15iterator_traitsIS12_E10value_typeET2_T3_PNS13_IS18_E10value_typeET4_jRbjT5_S1E_jjP12ihipStream_tbEUljE_ZNSN_ISO_Lb1ESQ_SR_ST_SU_SY_EESZ_S10_S11_S12_S16_S17_S18_S1B_S1C_jS1D_jS1E_S1E_jjS1G_bEUljE0_EEESZ_S10_S11_S18_S1C_S1E_T6_T7_T9_mT8_S1G_bDpT10_ENKUlT_T0_E_clISt17integral_constantIbLb0EES1T_IbLb1EEEEDaS1P_S1Q_EUlS1P_E_NS1_11comp_targetILNS1_3genE8ELNS1_11target_archE1030ELNS1_3gpuE2ELNS1_3repE0EEENS1_30default_config_static_selectorELNS0_4arch9wavefront6targetE0EEEvS12_: ; @_ZN7rocprim17ROCPRIM_400000_NS6detail17trampoline_kernelINS0_13select_configILj256ELj13ELNS0_17block_load_methodE3ELS4_3ELS4_3ELNS0_20block_scan_algorithmE0ELj4294967295EEENS1_25partition_config_selectorILNS1_17partition_subalgoE4EjNS0_10empty_typeEbEEZZNS1_14partition_implILS8_4ELb0ES6_15HIP_vector_typeIjLj2EENS0_17counting_iteratorIjlEEPS9_SG_NS0_5tupleIJPjSI_NS0_16reverse_iteratorISI_EEEEENSH_IJSG_SG_SG_EEES9_SI_JZNS1_25segmented_radix_sort_implINS0_14default_configELb1EPKdPdPKlPlN2at6native12_GLOBAL__N_18offset_tEEE10hipError_tPvRmT1_PNSt15iterator_traitsIS12_E10value_typeET2_T3_PNS13_IS18_E10value_typeET4_jRbjT5_S1E_jjP12ihipStream_tbEUljE_ZNSN_ISO_Lb1ESQ_SR_ST_SU_SY_EESZ_S10_S11_S12_S16_S17_S18_S1B_S1C_jS1D_jS1E_S1E_jjS1G_bEUljE0_EEESZ_S10_S11_S18_S1C_S1E_T6_T7_T9_mT8_S1G_bDpT10_ENKUlT_T0_E_clISt17integral_constantIbLb0EES1T_IbLb1EEEEDaS1P_S1Q_EUlS1P_E_NS1_11comp_targetILNS1_3genE8ELNS1_11target_archE1030ELNS1_3gpuE2ELNS1_3repE0EEENS1_30default_config_static_selectorELNS0_4arch9wavefront6targetE0EEEvS12_
; %bb.0:
	.section	.rodata,"a",@progbits
	.p2align	6, 0x0
	.amdhsa_kernel _ZN7rocprim17ROCPRIM_400000_NS6detail17trampoline_kernelINS0_13select_configILj256ELj13ELNS0_17block_load_methodE3ELS4_3ELS4_3ELNS0_20block_scan_algorithmE0ELj4294967295EEENS1_25partition_config_selectorILNS1_17partition_subalgoE4EjNS0_10empty_typeEbEEZZNS1_14partition_implILS8_4ELb0ES6_15HIP_vector_typeIjLj2EENS0_17counting_iteratorIjlEEPS9_SG_NS0_5tupleIJPjSI_NS0_16reverse_iteratorISI_EEEEENSH_IJSG_SG_SG_EEES9_SI_JZNS1_25segmented_radix_sort_implINS0_14default_configELb1EPKdPdPKlPlN2at6native12_GLOBAL__N_18offset_tEEE10hipError_tPvRmT1_PNSt15iterator_traitsIS12_E10value_typeET2_T3_PNS13_IS18_E10value_typeET4_jRbjT5_S1E_jjP12ihipStream_tbEUljE_ZNSN_ISO_Lb1ESQ_SR_ST_SU_SY_EESZ_S10_S11_S12_S16_S17_S18_S1B_S1C_jS1D_jS1E_S1E_jjS1G_bEUljE0_EEESZ_S10_S11_S18_S1C_S1E_T6_T7_T9_mT8_S1G_bDpT10_ENKUlT_T0_E_clISt17integral_constantIbLb0EES1T_IbLb1EEEEDaS1P_S1Q_EUlS1P_E_NS1_11comp_targetILNS1_3genE8ELNS1_11target_archE1030ELNS1_3gpuE2ELNS1_3repE0EEENS1_30default_config_static_selectorELNS0_4arch9wavefront6targetE0EEEvS12_
		.amdhsa_group_segment_fixed_size 0
		.amdhsa_private_segment_fixed_size 0
		.amdhsa_kernarg_size 184
		.amdhsa_user_sgpr_count 2
		.amdhsa_user_sgpr_dispatch_ptr 0
		.amdhsa_user_sgpr_queue_ptr 0
		.amdhsa_user_sgpr_kernarg_segment_ptr 1
		.amdhsa_user_sgpr_dispatch_id 0
		.amdhsa_user_sgpr_kernarg_preload_length 0
		.amdhsa_user_sgpr_kernarg_preload_offset 0
		.amdhsa_user_sgpr_private_segment_size 0
		.amdhsa_wavefront_size32 1
		.amdhsa_uses_dynamic_stack 0
		.amdhsa_enable_private_segment 0
		.amdhsa_system_sgpr_workgroup_id_x 1
		.amdhsa_system_sgpr_workgroup_id_y 0
		.amdhsa_system_sgpr_workgroup_id_z 0
		.amdhsa_system_sgpr_workgroup_info 0
		.amdhsa_system_vgpr_workitem_id 0
		.amdhsa_next_free_vgpr 1
		.amdhsa_next_free_sgpr 1
		.amdhsa_named_barrier_count 0
		.amdhsa_reserve_vcc 0
		.amdhsa_float_round_mode_32 0
		.amdhsa_float_round_mode_16_64 0
		.amdhsa_float_denorm_mode_32 3
		.amdhsa_float_denorm_mode_16_64 3
		.amdhsa_fp16_overflow 0
		.amdhsa_memory_ordered 1
		.amdhsa_forward_progress 1
		.amdhsa_inst_pref_size 0
		.amdhsa_round_robin_scheduling 0
		.amdhsa_exception_fp_ieee_invalid_op 0
		.amdhsa_exception_fp_denorm_src 0
		.amdhsa_exception_fp_ieee_div_zero 0
		.amdhsa_exception_fp_ieee_overflow 0
		.amdhsa_exception_fp_ieee_underflow 0
		.amdhsa_exception_fp_ieee_inexact 0
		.amdhsa_exception_int_div_zero 0
	.end_amdhsa_kernel
	.section	.text._ZN7rocprim17ROCPRIM_400000_NS6detail17trampoline_kernelINS0_13select_configILj256ELj13ELNS0_17block_load_methodE3ELS4_3ELS4_3ELNS0_20block_scan_algorithmE0ELj4294967295EEENS1_25partition_config_selectorILNS1_17partition_subalgoE4EjNS0_10empty_typeEbEEZZNS1_14partition_implILS8_4ELb0ES6_15HIP_vector_typeIjLj2EENS0_17counting_iteratorIjlEEPS9_SG_NS0_5tupleIJPjSI_NS0_16reverse_iteratorISI_EEEEENSH_IJSG_SG_SG_EEES9_SI_JZNS1_25segmented_radix_sort_implINS0_14default_configELb1EPKdPdPKlPlN2at6native12_GLOBAL__N_18offset_tEEE10hipError_tPvRmT1_PNSt15iterator_traitsIS12_E10value_typeET2_T3_PNS13_IS18_E10value_typeET4_jRbjT5_S1E_jjP12ihipStream_tbEUljE_ZNSN_ISO_Lb1ESQ_SR_ST_SU_SY_EESZ_S10_S11_S12_S16_S17_S18_S1B_S1C_jS1D_jS1E_S1E_jjS1G_bEUljE0_EEESZ_S10_S11_S18_S1C_S1E_T6_T7_T9_mT8_S1G_bDpT10_ENKUlT_T0_E_clISt17integral_constantIbLb0EES1T_IbLb1EEEEDaS1P_S1Q_EUlS1P_E_NS1_11comp_targetILNS1_3genE8ELNS1_11target_archE1030ELNS1_3gpuE2ELNS1_3repE0EEENS1_30default_config_static_selectorELNS0_4arch9wavefront6targetE0EEEvS12_,"axG",@progbits,_ZN7rocprim17ROCPRIM_400000_NS6detail17trampoline_kernelINS0_13select_configILj256ELj13ELNS0_17block_load_methodE3ELS4_3ELS4_3ELNS0_20block_scan_algorithmE0ELj4294967295EEENS1_25partition_config_selectorILNS1_17partition_subalgoE4EjNS0_10empty_typeEbEEZZNS1_14partition_implILS8_4ELb0ES6_15HIP_vector_typeIjLj2EENS0_17counting_iteratorIjlEEPS9_SG_NS0_5tupleIJPjSI_NS0_16reverse_iteratorISI_EEEEENSH_IJSG_SG_SG_EEES9_SI_JZNS1_25segmented_radix_sort_implINS0_14default_configELb1EPKdPdPKlPlN2at6native12_GLOBAL__N_18offset_tEEE10hipError_tPvRmT1_PNSt15iterator_traitsIS12_E10value_typeET2_T3_PNS13_IS18_E10value_typeET4_jRbjT5_S1E_jjP12ihipStream_tbEUljE_ZNSN_ISO_Lb1ESQ_SR_ST_SU_SY_EESZ_S10_S11_S12_S16_S17_S18_S1B_S1C_jS1D_jS1E_S1E_jjS1G_bEUljE0_EEESZ_S10_S11_S18_S1C_S1E_T6_T7_T9_mT8_S1G_bDpT10_ENKUlT_T0_E_clISt17integral_constantIbLb0EES1T_IbLb1EEEEDaS1P_S1Q_EUlS1P_E_NS1_11comp_targetILNS1_3genE8ELNS1_11target_archE1030ELNS1_3gpuE2ELNS1_3repE0EEENS1_30default_config_static_selectorELNS0_4arch9wavefront6targetE0EEEvS12_,comdat
.Lfunc_end1079:
	.size	_ZN7rocprim17ROCPRIM_400000_NS6detail17trampoline_kernelINS0_13select_configILj256ELj13ELNS0_17block_load_methodE3ELS4_3ELS4_3ELNS0_20block_scan_algorithmE0ELj4294967295EEENS1_25partition_config_selectorILNS1_17partition_subalgoE4EjNS0_10empty_typeEbEEZZNS1_14partition_implILS8_4ELb0ES6_15HIP_vector_typeIjLj2EENS0_17counting_iteratorIjlEEPS9_SG_NS0_5tupleIJPjSI_NS0_16reverse_iteratorISI_EEEEENSH_IJSG_SG_SG_EEES9_SI_JZNS1_25segmented_radix_sort_implINS0_14default_configELb1EPKdPdPKlPlN2at6native12_GLOBAL__N_18offset_tEEE10hipError_tPvRmT1_PNSt15iterator_traitsIS12_E10value_typeET2_T3_PNS13_IS18_E10value_typeET4_jRbjT5_S1E_jjP12ihipStream_tbEUljE_ZNSN_ISO_Lb1ESQ_SR_ST_SU_SY_EESZ_S10_S11_S12_S16_S17_S18_S1B_S1C_jS1D_jS1E_S1E_jjS1G_bEUljE0_EEESZ_S10_S11_S18_S1C_S1E_T6_T7_T9_mT8_S1G_bDpT10_ENKUlT_T0_E_clISt17integral_constantIbLb0EES1T_IbLb1EEEEDaS1P_S1Q_EUlS1P_E_NS1_11comp_targetILNS1_3genE8ELNS1_11target_archE1030ELNS1_3gpuE2ELNS1_3repE0EEENS1_30default_config_static_selectorELNS0_4arch9wavefront6targetE0EEEvS12_, .Lfunc_end1079-_ZN7rocprim17ROCPRIM_400000_NS6detail17trampoline_kernelINS0_13select_configILj256ELj13ELNS0_17block_load_methodE3ELS4_3ELS4_3ELNS0_20block_scan_algorithmE0ELj4294967295EEENS1_25partition_config_selectorILNS1_17partition_subalgoE4EjNS0_10empty_typeEbEEZZNS1_14partition_implILS8_4ELb0ES6_15HIP_vector_typeIjLj2EENS0_17counting_iteratorIjlEEPS9_SG_NS0_5tupleIJPjSI_NS0_16reverse_iteratorISI_EEEEENSH_IJSG_SG_SG_EEES9_SI_JZNS1_25segmented_radix_sort_implINS0_14default_configELb1EPKdPdPKlPlN2at6native12_GLOBAL__N_18offset_tEEE10hipError_tPvRmT1_PNSt15iterator_traitsIS12_E10value_typeET2_T3_PNS13_IS18_E10value_typeET4_jRbjT5_S1E_jjP12ihipStream_tbEUljE_ZNSN_ISO_Lb1ESQ_SR_ST_SU_SY_EESZ_S10_S11_S12_S16_S17_S18_S1B_S1C_jS1D_jS1E_S1E_jjS1G_bEUljE0_EEESZ_S10_S11_S18_S1C_S1E_T6_T7_T9_mT8_S1G_bDpT10_ENKUlT_T0_E_clISt17integral_constantIbLb0EES1T_IbLb1EEEEDaS1P_S1Q_EUlS1P_E_NS1_11comp_targetILNS1_3genE8ELNS1_11target_archE1030ELNS1_3gpuE2ELNS1_3repE0EEENS1_30default_config_static_selectorELNS0_4arch9wavefront6targetE0EEEvS12_
                                        ; -- End function
	.set _ZN7rocprim17ROCPRIM_400000_NS6detail17trampoline_kernelINS0_13select_configILj256ELj13ELNS0_17block_load_methodE3ELS4_3ELS4_3ELNS0_20block_scan_algorithmE0ELj4294967295EEENS1_25partition_config_selectorILNS1_17partition_subalgoE4EjNS0_10empty_typeEbEEZZNS1_14partition_implILS8_4ELb0ES6_15HIP_vector_typeIjLj2EENS0_17counting_iteratorIjlEEPS9_SG_NS0_5tupleIJPjSI_NS0_16reverse_iteratorISI_EEEEENSH_IJSG_SG_SG_EEES9_SI_JZNS1_25segmented_radix_sort_implINS0_14default_configELb1EPKdPdPKlPlN2at6native12_GLOBAL__N_18offset_tEEE10hipError_tPvRmT1_PNSt15iterator_traitsIS12_E10value_typeET2_T3_PNS13_IS18_E10value_typeET4_jRbjT5_S1E_jjP12ihipStream_tbEUljE_ZNSN_ISO_Lb1ESQ_SR_ST_SU_SY_EESZ_S10_S11_S12_S16_S17_S18_S1B_S1C_jS1D_jS1E_S1E_jjS1G_bEUljE0_EEESZ_S10_S11_S18_S1C_S1E_T6_T7_T9_mT8_S1G_bDpT10_ENKUlT_T0_E_clISt17integral_constantIbLb0EES1T_IbLb1EEEEDaS1P_S1Q_EUlS1P_E_NS1_11comp_targetILNS1_3genE8ELNS1_11target_archE1030ELNS1_3gpuE2ELNS1_3repE0EEENS1_30default_config_static_selectorELNS0_4arch9wavefront6targetE0EEEvS12_.num_vgpr, 0
	.set _ZN7rocprim17ROCPRIM_400000_NS6detail17trampoline_kernelINS0_13select_configILj256ELj13ELNS0_17block_load_methodE3ELS4_3ELS4_3ELNS0_20block_scan_algorithmE0ELj4294967295EEENS1_25partition_config_selectorILNS1_17partition_subalgoE4EjNS0_10empty_typeEbEEZZNS1_14partition_implILS8_4ELb0ES6_15HIP_vector_typeIjLj2EENS0_17counting_iteratorIjlEEPS9_SG_NS0_5tupleIJPjSI_NS0_16reverse_iteratorISI_EEEEENSH_IJSG_SG_SG_EEES9_SI_JZNS1_25segmented_radix_sort_implINS0_14default_configELb1EPKdPdPKlPlN2at6native12_GLOBAL__N_18offset_tEEE10hipError_tPvRmT1_PNSt15iterator_traitsIS12_E10value_typeET2_T3_PNS13_IS18_E10value_typeET4_jRbjT5_S1E_jjP12ihipStream_tbEUljE_ZNSN_ISO_Lb1ESQ_SR_ST_SU_SY_EESZ_S10_S11_S12_S16_S17_S18_S1B_S1C_jS1D_jS1E_S1E_jjS1G_bEUljE0_EEESZ_S10_S11_S18_S1C_S1E_T6_T7_T9_mT8_S1G_bDpT10_ENKUlT_T0_E_clISt17integral_constantIbLb0EES1T_IbLb1EEEEDaS1P_S1Q_EUlS1P_E_NS1_11comp_targetILNS1_3genE8ELNS1_11target_archE1030ELNS1_3gpuE2ELNS1_3repE0EEENS1_30default_config_static_selectorELNS0_4arch9wavefront6targetE0EEEvS12_.num_agpr, 0
	.set _ZN7rocprim17ROCPRIM_400000_NS6detail17trampoline_kernelINS0_13select_configILj256ELj13ELNS0_17block_load_methodE3ELS4_3ELS4_3ELNS0_20block_scan_algorithmE0ELj4294967295EEENS1_25partition_config_selectorILNS1_17partition_subalgoE4EjNS0_10empty_typeEbEEZZNS1_14partition_implILS8_4ELb0ES6_15HIP_vector_typeIjLj2EENS0_17counting_iteratorIjlEEPS9_SG_NS0_5tupleIJPjSI_NS0_16reverse_iteratorISI_EEEEENSH_IJSG_SG_SG_EEES9_SI_JZNS1_25segmented_radix_sort_implINS0_14default_configELb1EPKdPdPKlPlN2at6native12_GLOBAL__N_18offset_tEEE10hipError_tPvRmT1_PNSt15iterator_traitsIS12_E10value_typeET2_T3_PNS13_IS18_E10value_typeET4_jRbjT5_S1E_jjP12ihipStream_tbEUljE_ZNSN_ISO_Lb1ESQ_SR_ST_SU_SY_EESZ_S10_S11_S12_S16_S17_S18_S1B_S1C_jS1D_jS1E_S1E_jjS1G_bEUljE0_EEESZ_S10_S11_S18_S1C_S1E_T6_T7_T9_mT8_S1G_bDpT10_ENKUlT_T0_E_clISt17integral_constantIbLb0EES1T_IbLb1EEEEDaS1P_S1Q_EUlS1P_E_NS1_11comp_targetILNS1_3genE8ELNS1_11target_archE1030ELNS1_3gpuE2ELNS1_3repE0EEENS1_30default_config_static_selectorELNS0_4arch9wavefront6targetE0EEEvS12_.numbered_sgpr, 0
	.set _ZN7rocprim17ROCPRIM_400000_NS6detail17trampoline_kernelINS0_13select_configILj256ELj13ELNS0_17block_load_methodE3ELS4_3ELS4_3ELNS0_20block_scan_algorithmE0ELj4294967295EEENS1_25partition_config_selectorILNS1_17partition_subalgoE4EjNS0_10empty_typeEbEEZZNS1_14partition_implILS8_4ELb0ES6_15HIP_vector_typeIjLj2EENS0_17counting_iteratorIjlEEPS9_SG_NS0_5tupleIJPjSI_NS0_16reverse_iteratorISI_EEEEENSH_IJSG_SG_SG_EEES9_SI_JZNS1_25segmented_radix_sort_implINS0_14default_configELb1EPKdPdPKlPlN2at6native12_GLOBAL__N_18offset_tEEE10hipError_tPvRmT1_PNSt15iterator_traitsIS12_E10value_typeET2_T3_PNS13_IS18_E10value_typeET4_jRbjT5_S1E_jjP12ihipStream_tbEUljE_ZNSN_ISO_Lb1ESQ_SR_ST_SU_SY_EESZ_S10_S11_S12_S16_S17_S18_S1B_S1C_jS1D_jS1E_S1E_jjS1G_bEUljE0_EEESZ_S10_S11_S18_S1C_S1E_T6_T7_T9_mT8_S1G_bDpT10_ENKUlT_T0_E_clISt17integral_constantIbLb0EES1T_IbLb1EEEEDaS1P_S1Q_EUlS1P_E_NS1_11comp_targetILNS1_3genE8ELNS1_11target_archE1030ELNS1_3gpuE2ELNS1_3repE0EEENS1_30default_config_static_selectorELNS0_4arch9wavefront6targetE0EEEvS12_.num_named_barrier, 0
	.set _ZN7rocprim17ROCPRIM_400000_NS6detail17trampoline_kernelINS0_13select_configILj256ELj13ELNS0_17block_load_methodE3ELS4_3ELS4_3ELNS0_20block_scan_algorithmE0ELj4294967295EEENS1_25partition_config_selectorILNS1_17partition_subalgoE4EjNS0_10empty_typeEbEEZZNS1_14partition_implILS8_4ELb0ES6_15HIP_vector_typeIjLj2EENS0_17counting_iteratorIjlEEPS9_SG_NS0_5tupleIJPjSI_NS0_16reverse_iteratorISI_EEEEENSH_IJSG_SG_SG_EEES9_SI_JZNS1_25segmented_radix_sort_implINS0_14default_configELb1EPKdPdPKlPlN2at6native12_GLOBAL__N_18offset_tEEE10hipError_tPvRmT1_PNSt15iterator_traitsIS12_E10value_typeET2_T3_PNS13_IS18_E10value_typeET4_jRbjT5_S1E_jjP12ihipStream_tbEUljE_ZNSN_ISO_Lb1ESQ_SR_ST_SU_SY_EESZ_S10_S11_S12_S16_S17_S18_S1B_S1C_jS1D_jS1E_S1E_jjS1G_bEUljE0_EEESZ_S10_S11_S18_S1C_S1E_T6_T7_T9_mT8_S1G_bDpT10_ENKUlT_T0_E_clISt17integral_constantIbLb0EES1T_IbLb1EEEEDaS1P_S1Q_EUlS1P_E_NS1_11comp_targetILNS1_3genE8ELNS1_11target_archE1030ELNS1_3gpuE2ELNS1_3repE0EEENS1_30default_config_static_selectorELNS0_4arch9wavefront6targetE0EEEvS12_.private_seg_size, 0
	.set _ZN7rocprim17ROCPRIM_400000_NS6detail17trampoline_kernelINS0_13select_configILj256ELj13ELNS0_17block_load_methodE3ELS4_3ELS4_3ELNS0_20block_scan_algorithmE0ELj4294967295EEENS1_25partition_config_selectorILNS1_17partition_subalgoE4EjNS0_10empty_typeEbEEZZNS1_14partition_implILS8_4ELb0ES6_15HIP_vector_typeIjLj2EENS0_17counting_iteratorIjlEEPS9_SG_NS0_5tupleIJPjSI_NS0_16reverse_iteratorISI_EEEEENSH_IJSG_SG_SG_EEES9_SI_JZNS1_25segmented_radix_sort_implINS0_14default_configELb1EPKdPdPKlPlN2at6native12_GLOBAL__N_18offset_tEEE10hipError_tPvRmT1_PNSt15iterator_traitsIS12_E10value_typeET2_T3_PNS13_IS18_E10value_typeET4_jRbjT5_S1E_jjP12ihipStream_tbEUljE_ZNSN_ISO_Lb1ESQ_SR_ST_SU_SY_EESZ_S10_S11_S12_S16_S17_S18_S1B_S1C_jS1D_jS1E_S1E_jjS1G_bEUljE0_EEESZ_S10_S11_S18_S1C_S1E_T6_T7_T9_mT8_S1G_bDpT10_ENKUlT_T0_E_clISt17integral_constantIbLb0EES1T_IbLb1EEEEDaS1P_S1Q_EUlS1P_E_NS1_11comp_targetILNS1_3genE8ELNS1_11target_archE1030ELNS1_3gpuE2ELNS1_3repE0EEENS1_30default_config_static_selectorELNS0_4arch9wavefront6targetE0EEEvS12_.uses_vcc, 0
	.set _ZN7rocprim17ROCPRIM_400000_NS6detail17trampoline_kernelINS0_13select_configILj256ELj13ELNS0_17block_load_methodE3ELS4_3ELS4_3ELNS0_20block_scan_algorithmE0ELj4294967295EEENS1_25partition_config_selectorILNS1_17partition_subalgoE4EjNS0_10empty_typeEbEEZZNS1_14partition_implILS8_4ELb0ES6_15HIP_vector_typeIjLj2EENS0_17counting_iteratorIjlEEPS9_SG_NS0_5tupleIJPjSI_NS0_16reverse_iteratorISI_EEEEENSH_IJSG_SG_SG_EEES9_SI_JZNS1_25segmented_radix_sort_implINS0_14default_configELb1EPKdPdPKlPlN2at6native12_GLOBAL__N_18offset_tEEE10hipError_tPvRmT1_PNSt15iterator_traitsIS12_E10value_typeET2_T3_PNS13_IS18_E10value_typeET4_jRbjT5_S1E_jjP12ihipStream_tbEUljE_ZNSN_ISO_Lb1ESQ_SR_ST_SU_SY_EESZ_S10_S11_S12_S16_S17_S18_S1B_S1C_jS1D_jS1E_S1E_jjS1G_bEUljE0_EEESZ_S10_S11_S18_S1C_S1E_T6_T7_T9_mT8_S1G_bDpT10_ENKUlT_T0_E_clISt17integral_constantIbLb0EES1T_IbLb1EEEEDaS1P_S1Q_EUlS1P_E_NS1_11comp_targetILNS1_3genE8ELNS1_11target_archE1030ELNS1_3gpuE2ELNS1_3repE0EEENS1_30default_config_static_selectorELNS0_4arch9wavefront6targetE0EEEvS12_.uses_flat_scratch, 0
	.set _ZN7rocprim17ROCPRIM_400000_NS6detail17trampoline_kernelINS0_13select_configILj256ELj13ELNS0_17block_load_methodE3ELS4_3ELS4_3ELNS0_20block_scan_algorithmE0ELj4294967295EEENS1_25partition_config_selectorILNS1_17partition_subalgoE4EjNS0_10empty_typeEbEEZZNS1_14partition_implILS8_4ELb0ES6_15HIP_vector_typeIjLj2EENS0_17counting_iteratorIjlEEPS9_SG_NS0_5tupleIJPjSI_NS0_16reverse_iteratorISI_EEEEENSH_IJSG_SG_SG_EEES9_SI_JZNS1_25segmented_radix_sort_implINS0_14default_configELb1EPKdPdPKlPlN2at6native12_GLOBAL__N_18offset_tEEE10hipError_tPvRmT1_PNSt15iterator_traitsIS12_E10value_typeET2_T3_PNS13_IS18_E10value_typeET4_jRbjT5_S1E_jjP12ihipStream_tbEUljE_ZNSN_ISO_Lb1ESQ_SR_ST_SU_SY_EESZ_S10_S11_S12_S16_S17_S18_S1B_S1C_jS1D_jS1E_S1E_jjS1G_bEUljE0_EEESZ_S10_S11_S18_S1C_S1E_T6_T7_T9_mT8_S1G_bDpT10_ENKUlT_T0_E_clISt17integral_constantIbLb0EES1T_IbLb1EEEEDaS1P_S1Q_EUlS1P_E_NS1_11comp_targetILNS1_3genE8ELNS1_11target_archE1030ELNS1_3gpuE2ELNS1_3repE0EEENS1_30default_config_static_selectorELNS0_4arch9wavefront6targetE0EEEvS12_.has_dyn_sized_stack, 0
	.set _ZN7rocprim17ROCPRIM_400000_NS6detail17trampoline_kernelINS0_13select_configILj256ELj13ELNS0_17block_load_methodE3ELS4_3ELS4_3ELNS0_20block_scan_algorithmE0ELj4294967295EEENS1_25partition_config_selectorILNS1_17partition_subalgoE4EjNS0_10empty_typeEbEEZZNS1_14partition_implILS8_4ELb0ES6_15HIP_vector_typeIjLj2EENS0_17counting_iteratorIjlEEPS9_SG_NS0_5tupleIJPjSI_NS0_16reverse_iteratorISI_EEEEENSH_IJSG_SG_SG_EEES9_SI_JZNS1_25segmented_radix_sort_implINS0_14default_configELb1EPKdPdPKlPlN2at6native12_GLOBAL__N_18offset_tEEE10hipError_tPvRmT1_PNSt15iterator_traitsIS12_E10value_typeET2_T3_PNS13_IS18_E10value_typeET4_jRbjT5_S1E_jjP12ihipStream_tbEUljE_ZNSN_ISO_Lb1ESQ_SR_ST_SU_SY_EESZ_S10_S11_S12_S16_S17_S18_S1B_S1C_jS1D_jS1E_S1E_jjS1G_bEUljE0_EEESZ_S10_S11_S18_S1C_S1E_T6_T7_T9_mT8_S1G_bDpT10_ENKUlT_T0_E_clISt17integral_constantIbLb0EES1T_IbLb1EEEEDaS1P_S1Q_EUlS1P_E_NS1_11comp_targetILNS1_3genE8ELNS1_11target_archE1030ELNS1_3gpuE2ELNS1_3repE0EEENS1_30default_config_static_selectorELNS0_4arch9wavefront6targetE0EEEvS12_.has_recursion, 0
	.set _ZN7rocprim17ROCPRIM_400000_NS6detail17trampoline_kernelINS0_13select_configILj256ELj13ELNS0_17block_load_methodE3ELS4_3ELS4_3ELNS0_20block_scan_algorithmE0ELj4294967295EEENS1_25partition_config_selectorILNS1_17partition_subalgoE4EjNS0_10empty_typeEbEEZZNS1_14partition_implILS8_4ELb0ES6_15HIP_vector_typeIjLj2EENS0_17counting_iteratorIjlEEPS9_SG_NS0_5tupleIJPjSI_NS0_16reverse_iteratorISI_EEEEENSH_IJSG_SG_SG_EEES9_SI_JZNS1_25segmented_radix_sort_implINS0_14default_configELb1EPKdPdPKlPlN2at6native12_GLOBAL__N_18offset_tEEE10hipError_tPvRmT1_PNSt15iterator_traitsIS12_E10value_typeET2_T3_PNS13_IS18_E10value_typeET4_jRbjT5_S1E_jjP12ihipStream_tbEUljE_ZNSN_ISO_Lb1ESQ_SR_ST_SU_SY_EESZ_S10_S11_S12_S16_S17_S18_S1B_S1C_jS1D_jS1E_S1E_jjS1G_bEUljE0_EEESZ_S10_S11_S18_S1C_S1E_T6_T7_T9_mT8_S1G_bDpT10_ENKUlT_T0_E_clISt17integral_constantIbLb0EES1T_IbLb1EEEEDaS1P_S1Q_EUlS1P_E_NS1_11comp_targetILNS1_3genE8ELNS1_11target_archE1030ELNS1_3gpuE2ELNS1_3repE0EEENS1_30default_config_static_selectorELNS0_4arch9wavefront6targetE0EEEvS12_.has_indirect_call, 0
	.section	.AMDGPU.csdata,"",@progbits
; Kernel info:
; codeLenInByte = 0
; TotalNumSgprs: 0
; NumVgprs: 0
; ScratchSize: 0
; MemoryBound: 0
; FloatMode: 240
; IeeeMode: 1
; LDSByteSize: 0 bytes/workgroup (compile time only)
; SGPRBlocks: 0
; VGPRBlocks: 0
; NumSGPRsForWavesPerEU: 1
; NumVGPRsForWavesPerEU: 1
; NamedBarCnt: 0
; Occupancy: 16
; WaveLimiterHint : 0
; COMPUTE_PGM_RSRC2:SCRATCH_EN: 0
; COMPUTE_PGM_RSRC2:USER_SGPR: 2
; COMPUTE_PGM_RSRC2:TRAP_HANDLER: 0
; COMPUTE_PGM_RSRC2:TGID_X_EN: 1
; COMPUTE_PGM_RSRC2:TGID_Y_EN: 0
; COMPUTE_PGM_RSRC2:TGID_Z_EN: 0
; COMPUTE_PGM_RSRC2:TIDIG_COMP_CNT: 0
	.section	.text._ZN7rocprim17ROCPRIM_400000_NS6detail17trampoline_kernelINS0_13select_configILj256ELj13ELNS0_17block_load_methodE3ELS4_3ELS4_3ELNS0_20block_scan_algorithmE0ELj4294967295EEENS1_25partition_config_selectorILNS1_17partition_subalgoE3EjNS0_10empty_typeEbEEZZNS1_14partition_implILS8_3ELb0ES6_jNS0_17counting_iteratorIjlEEPS9_SE_NS0_5tupleIJPjSE_EEENSF_IJSE_SE_EEES9_SG_JZNS1_25segmented_radix_sort_implINS0_14default_configELb1EPKdPdPKlPlN2at6native12_GLOBAL__N_18offset_tEEE10hipError_tPvRmT1_PNSt15iterator_traitsISY_E10value_typeET2_T3_PNSZ_IS14_E10value_typeET4_jRbjT5_S1A_jjP12ihipStream_tbEUljE_EEESV_SW_SX_S14_S18_S1A_T6_T7_T9_mT8_S1C_bDpT10_ENKUlT_T0_E_clISt17integral_constantIbLb0EES1P_EEDaS1K_S1L_EUlS1K_E_NS1_11comp_targetILNS1_3genE0ELNS1_11target_archE4294967295ELNS1_3gpuE0ELNS1_3repE0EEENS1_30default_config_static_selectorELNS0_4arch9wavefront6targetE0EEEvSY_,"axG",@progbits,_ZN7rocprim17ROCPRIM_400000_NS6detail17trampoline_kernelINS0_13select_configILj256ELj13ELNS0_17block_load_methodE3ELS4_3ELS4_3ELNS0_20block_scan_algorithmE0ELj4294967295EEENS1_25partition_config_selectorILNS1_17partition_subalgoE3EjNS0_10empty_typeEbEEZZNS1_14partition_implILS8_3ELb0ES6_jNS0_17counting_iteratorIjlEEPS9_SE_NS0_5tupleIJPjSE_EEENSF_IJSE_SE_EEES9_SG_JZNS1_25segmented_radix_sort_implINS0_14default_configELb1EPKdPdPKlPlN2at6native12_GLOBAL__N_18offset_tEEE10hipError_tPvRmT1_PNSt15iterator_traitsISY_E10value_typeET2_T3_PNSZ_IS14_E10value_typeET4_jRbjT5_S1A_jjP12ihipStream_tbEUljE_EEESV_SW_SX_S14_S18_S1A_T6_T7_T9_mT8_S1C_bDpT10_ENKUlT_T0_E_clISt17integral_constantIbLb0EES1P_EEDaS1K_S1L_EUlS1K_E_NS1_11comp_targetILNS1_3genE0ELNS1_11target_archE4294967295ELNS1_3gpuE0ELNS1_3repE0EEENS1_30default_config_static_selectorELNS0_4arch9wavefront6targetE0EEEvSY_,comdat
	.globl	_ZN7rocprim17ROCPRIM_400000_NS6detail17trampoline_kernelINS0_13select_configILj256ELj13ELNS0_17block_load_methodE3ELS4_3ELS4_3ELNS0_20block_scan_algorithmE0ELj4294967295EEENS1_25partition_config_selectorILNS1_17partition_subalgoE3EjNS0_10empty_typeEbEEZZNS1_14partition_implILS8_3ELb0ES6_jNS0_17counting_iteratorIjlEEPS9_SE_NS0_5tupleIJPjSE_EEENSF_IJSE_SE_EEES9_SG_JZNS1_25segmented_radix_sort_implINS0_14default_configELb1EPKdPdPKlPlN2at6native12_GLOBAL__N_18offset_tEEE10hipError_tPvRmT1_PNSt15iterator_traitsISY_E10value_typeET2_T3_PNSZ_IS14_E10value_typeET4_jRbjT5_S1A_jjP12ihipStream_tbEUljE_EEESV_SW_SX_S14_S18_S1A_T6_T7_T9_mT8_S1C_bDpT10_ENKUlT_T0_E_clISt17integral_constantIbLb0EES1P_EEDaS1K_S1L_EUlS1K_E_NS1_11comp_targetILNS1_3genE0ELNS1_11target_archE4294967295ELNS1_3gpuE0ELNS1_3repE0EEENS1_30default_config_static_selectorELNS0_4arch9wavefront6targetE0EEEvSY_ ; -- Begin function _ZN7rocprim17ROCPRIM_400000_NS6detail17trampoline_kernelINS0_13select_configILj256ELj13ELNS0_17block_load_methodE3ELS4_3ELS4_3ELNS0_20block_scan_algorithmE0ELj4294967295EEENS1_25partition_config_selectorILNS1_17partition_subalgoE3EjNS0_10empty_typeEbEEZZNS1_14partition_implILS8_3ELb0ES6_jNS0_17counting_iteratorIjlEEPS9_SE_NS0_5tupleIJPjSE_EEENSF_IJSE_SE_EEES9_SG_JZNS1_25segmented_radix_sort_implINS0_14default_configELb1EPKdPdPKlPlN2at6native12_GLOBAL__N_18offset_tEEE10hipError_tPvRmT1_PNSt15iterator_traitsISY_E10value_typeET2_T3_PNSZ_IS14_E10value_typeET4_jRbjT5_S1A_jjP12ihipStream_tbEUljE_EEESV_SW_SX_S14_S18_S1A_T6_T7_T9_mT8_S1C_bDpT10_ENKUlT_T0_E_clISt17integral_constantIbLb0EES1P_EEDaS1K_S1L_EUlS1K_E_NS1_11comp_targetILNS1_3genE0ELNS1_11target_archE4294967295ELNS1_3gpuE0ELNS1_3repE0EEENS1_30default_config_static_selectorELNS0_4arch9wavefront6targetE0EEEvSY_
	.p2align	8
	.type	_ZN7rocprim17ROCPRIM_400000_NS6detail17trampoline_kernelINS0_13select_configILj256ELj13ELNS0_17block_load_methodE3ELS4_3ELS4_3ELNS0_20block_scan_algorithmE0ELj4294967295EEENS1_25partition_config_selectorILNS1_17partition_subalgoE3EjNS0_10empty_typeEbEEZZNS1_14partition_implILS8_3ELb0ES6_jNS0_17counting_iteratorIjlEEPS9_SE_NS0_5tupleIJPjSE_EEENSF_IJSE_SE_EEES9_SG_JZNS1_25segmented_radix_sort_implINS0_14default_configELb1EPKdPdPKlPlN2at6native12_GLOBAL__N_18offset_tEEE10hipError_tPvRmT1_PNSt15iterator_traitsISY_E10value_typeET2_T3_PNSZ_IS14_E10value_typeET4_jRbjT5_S1A_jjP12ihipStream_tbEUljE_EEESV_SW_SX_S14_S18_S1A_T6_T7_T9_mT8_S1C_bDpT10_ENKUlT_T0_E_clISt17integral_constantIbLb0EES1P_EEDaS1K_S1L_EUlS1K_E_NS1_11comp_targetILNS1_3genE0ELNS1_11target_archE4294967295ELNS1_3gpuE0ELNS1_3repE0EEENS1_30default_config_static_selectorELNS0_4arch9wavefront6targetE0EEEvSY_,@function
_ZN7rocprim17ROCPRIM_400000_NS6detail17trampoline_kernelINS0_13select_configILj256ELj13ELNS0_17block_load_methodE3ELS4_3ELS4_3ELNS0_20block_scan_algorithmE0ELj4294967295EEENS1_25partition_config_selectorILNS1_17partition_subalgoE3EjNS0_10empty_typeEbEEZZNS1_14partition_implILS8_3ELb0ES6_jNS0_17counting_iteratorIjlEEPS9_SE_NS0_5tupleIJPjSE_EEENSF_IJSE_SE_EEES9_SG_JZNS1_25segmented_radix_sort_implINS0_14default_configELb1EPKdPdPKlPlN2at6native12_GLOBAL__N_18offset_tEEE10hipError_tPvRmT1_PNSt15iterator_traitsISY_E10value_typeET2_T3_PNSZ_IS14_E10value_typeET4_jRbjT5_S1A_jjP12ihipStream_tbEUljE_EEESV_SW_SX_S14_S18_S1A_T6_T7_T9_mT8_S1C_bDpT10_ENKUlT_T0_E_clISt17integral_constantIbLb0EES1P_EEDaS1K_S1L_EUlS1K_E_NS1_11comp_targetILNS1_3genE0ELNS1_11target_archE4294967295ELNS1_3gpuE0ELNS1_3repE0EEENS1_30default_config_static_selectorELNS0_4arch9wavefront6targetE0EEEvSY_: ; @_ZN7rocprim17ROCPRIM_400000_NS6detail17trampoline_kernelINS0_13select_configILj256ELj13ELNS0_17block_load_methodE3ELS4_3ELS4_3ELNS0_20block_scan_algorithmE0ELj4294967295EEENS1_25partition_config_selectorILNS1_17partition_subalgoE3EjNS0_10empty_typeEbEEZZNS1_14partition_implILS8_3ELb0ES6_jNS0_17counting_iteratorIjlEEPS9_SE_NS0_5tupleIJPjSE_EEENSF_IJSE_SE_EEES9_SG_JZNS1_25segmented_radix_sort_implINS0_14default_configELb1EPKdPdPKlPlN2at6native12_GLOBAL__N_18offset_tEEE10hipError_tPvRmT1_PNSt15iterator_traitsISY_E10value_typeET2_T3_PNSZ_IS14_E10value_typeET4_jRbjT5_S1A_jjP12ihipStream_tbEUljE_EEESV_SW_SX_S14_S18_S1A_T6_T7_T9_mT8_S1C_bDpT10_ENKUlT_T0_E_clISt17integral_constantIbLb0EES1P_EEDaS1K_S1L_EUlS1K_E_NS1_11comp_targetILNS1_3genE0ELNS1_11target_archE4294967295ELNS1_3gpuE0ELNS1_3repE0EEENS1_30default_config_static_selectorELNS0_4arch9wavefront6targetE0EEEvSY_
; %bb.0:
	s_clause 0x4
	s_load_b128 s[8:11], s[0:1], 0x48
	s_load_b32 s2, s[0:1], 0x70
	s_load_b64 s[12:13], s[0:1], 0x10
	s_load_b64 s[14:15], s[0:1], 0x58
	s_load_b32 s20, s[0:1], 0x8
	s_bfe_u32 s3, ttmp6, 0x4000c
	s_and_b32 s4, ttmp6, 15
	s_add_co_i32 s3, s3, 1
	s_getreg_b32 s5, hwreg(HW_REG_IB_STS2, 6, 4)
	s_mul_i32 s3, ttmp9, s3
	s_mov_b32 s17, 0
	s_add_co_i32 s16, s4, s3
	s_cmp_eq_u32 s5, 0
	s_clause 0x1
	s_load_b32 s3, s[0:1], 0x88
	s_load_b128 s[4:7], s[0:1], 0x78
	s_cselect_b32 s24, ttmp9, s16
	v_lshlrev_b32_e32 v19, 2, v0
	s_wait_kmcnt 0x0
	s_load_b64 s[18:19], s[10:11], 0x0
	s_mul_i32 s16, s2, 0xd00
	s_add_co_i32 s2, s2, -1
	s_add_co_i32 s21, s16, s12
	s_wait_xcnt 0x0
	s_add_nc_u64 s[10:11], s[12:13], s[16:17]
	s_sub_co_i32 s23, s14, s21
	v_cmp_gt_u64_e64 s11, s[14:15], s[10:11]
	s_addk_co_i32 s23, 0xd00
	s_cmp_eq_u32 s24, s2
	s_mul_i32 s10, s24, 0xd00
	s_cselect_b32 s22, -1, 0
	s_cmp_lg_u32 s24, s2
	s_mov_b32 s17, -1
	s_cselect_b32 s2, -1, 0
	s_add_co_i32 s16, s20, s10
	s_or_b32 s11, s2, s11
	s_add_co_i32 s16, s16, s12
	s_and_b32 vcc_lo, exec_lo, s11
	v_add_nc_u32_e32 v1, s16, v0
	s_cbranch_vccz .LBB1080_2
; %bb.1:
	s_delay_alu instid0(VALU_DEP_1)
	v_add_nc_u32_e32 v2, 0x100, v1
	v_add_nc_u32_e32 v3, 0x200, v1
	;; [unrolled: 1-line block ×12, first 2 shown]
	ds_store_2addr_stride64_b32 v19, v1, v2 offset1:4
	ds_store_2addr_stride64_b32 v19, v3, v4 offset0:8 offset1:12
	ds_store_2addr_stride64_b32 v19, v5, v6 offset0:16 offset1:20
	;; [unrolled: 1-line block ×5, first 2 shown]
	ds_store_b32 v19, v13 offset:12288
	s_wait_dscnt 0x0
	s_barrier_signal -1
	s_mov_b32 s17, 0
	s_barrier_wait -1
.LBB1080_2:
	v_cmp_gt_u32_e64 s2, s23, v0
	v_or_b32_e32 v40, 0x100, v0
	v_or_b32_e32 v38, 0x200, v0
	;; [unrolled: 1-line block ×12, first 2 shown]
	s_and_not1_b32 vcc_lo, exec_lo, s17
	s_cbranch_vccnz .LBB1080_4
; %bb.3:
	v_dual_add_nc_u32 v2, s16, v40 :: v_dual_cndmask_b32 v1, 0, v1, s2
	v_cmp_gt_u32_e32 vcc_lo, s23, v40
	v_dual_add_nc_u32 v3, s16, v38 :: v_dual_add_nc_u32 v4, s16, v36
	v_dual_add_nc_u32 v7, s16, v30 :: v_dual_add_nc_u32 v8, s16, v28
	s_delay_alu instid0(VALU_DEP_4)
	v_cndmask_b32_e32 v2, 0, v2, vcc_lo
	v_cmp_gt_u32_e32 vcc_lo, s23, v38
	v_dual_add_nc_u32 v11, s16, v22 :: v_dual_add_nc_u32 v12, s16, v20
	v_cndmask_b32_e32 v3, 0, v3, vcc_lo
	v_cmp_gt_u32_e32 vcc_lo, s23, v36
	v_dual_cndmask_b32 v4, 0, v4 :: v_dual_add_nc_u32 v5, s16, v34
	v_cmp_gt_u32_e32 vcc_lo, s23, v34
	s_delay_alu instid0(VALU_DEP_2) | instskip(SKIP_1) | instid1(VALU_DEP_2)
	v_dual_cndmask_b32 v5, 0, v5 :: v_dual_add_nc_u32 v6, s16, v32
	v_cmp_gt_u32_e32 vcc_lo, s23, v32
	v_cndmask_b32_e32 v6, 0, v6, vcc_lo
	v_cmp_gt_u32_e32 vcc_lo, s23, v30
	v_cndmask_b32_e32 v7, 0, v7, vcc_lo
	v_cmp_gt_u32_e32 vcc_lo, s23, v28
	v_dual_cndmask_b32 v8, 0, v8 :: v_dual_add_nc_u32 v9, s16, v26
	v_cmp_gt_u32_e32 vcc_lo, s23, v26
	s_delay_alu instid0(VALU_DEP_2) | instskip(SKIP_1) | instid1(VALU_DEP_2)
	v_dual_cndmask_b32 v9, 0, v9 :: v_dual_add_nc_u32 v10, s16, v24
	v_cmp_gt_u32_e32 vcc_lo, s23, v24
	v_cndmask_b32_e32 v10, 0, v10, vcc_lo
	v_cmp_gt_u32_e32 vcc_lo, s23, v22
	v_cndmask_b32_e32 v11, 0, v11, vcc_lo
	v_cmp_gt_u32_e32 vcc_lo, s23, v20
	v_dual_cndmask_b32 v12, 0, v12 :: v_dual_add_nc_u32 v13, s16, v18
	v_cmp_gt_u32_e32 vcc_lo, s23, v18
	s_delay_alu instid0(VALU_DEP_2)
	v_cndmask_b32_e32 v13, 0, v13, vcc_lo
	ds_store_2addr_stride64_b32 v19, v1, v2 offset1:4
	ds_store_2addr_stride64_b32 v19, v3, v4 offset0:8 offset1:12
	ds_store_2addr_stride64_b32 v19, v5, v6 offset0:16 offset1:20
	;; [unrolled: 1-line block ×5, first 2 shown]
	ds_store_b32 v19, v13 offset:12288
	s_wait_dscnt 0x0
	s_barrier_signal -1
	s_barrier_wait -1
.LBB1080_4:
	v_mul_u32_u24_e32 v23, 13, v0
	v_cndmask_b32_e64 v21, 0, 1, s11
	s_and_not1_b32 vcc_lo, exec_lo, s11
	s_delay_alu instid0(VALU_DEP_2)
	v_lshlrev_b32_e32 v2, 2, v23
	ds_load_2addr_b32 v[50:51], v2 offset0:2 offset1:3
	ds_load_2addr_b32 v[46:47], v2 offset0:6 offset1:7
	;; [unrolled: 1-line block ×3, first 2 shown]
	ds_load_2addr_b32 v[52:53], v2 offset1:1
	ds_load_2addr_b32 v[42:43], v2 offset0:10 offset1:11
	ds_load_b32 v1, v2 offset:48
	ds_load_2addr_b32 v[44:45], v2 offset0:8 offset1:9
	s_wait_dscnt 0x0
	s_barrier_signal -1
	s_barrier_wait -1
	s_cbranch_vccnz .LBB1080_6
; %bb.5:
	v_dual_add_nc_u32 v2, s5, v51 :: v_dual_add_nc_u32 v3, s5, v53
	v_dual_add_nc_u32 v4, s5, v52 :: v_dual_add_nc_u32 v5, s5, v50
	;; [unrolled: 1-line block ×4, first 2 shown]
	s_delay_alu instid0(VALU_DEP_3) | instskip(NEXT) | instid1(VALU_DEP_4)
	v_mul_lo_u32 v5, v5, s4
	v_mul_lo_u32 v4, v4, s4
	;; [unrolled: 1-line block ×8, first 2 shown]
	v_dual_add_nc_u32 v10, s5, v48 :: v_dual_add_nc_u32 v11, s7, v48
	v_dual_add_nc_u32 v14, s7, v43 :: v_dual_add_nc_u32 v15, s5, v42
	;; [unrolled: 1-line block ×3, first 2 shown]
	s_delay_alu instid0(VALU_DEP_3)
	v_mul_lo_u32 v10, v10, s4
	v_dual_sub_nc_u32 v2, v2, v6 :: v_dual_sub_nc_u32 v3, v3, v7
	v_dual_sub_nc_u32 v4, v4, v8 :: v_dual_sub_nc_u32 v5, v5, v9
	v_dual_add_nc_u32 v6, s5, v49 :: v_dual_add_nc_u32 v7, s7, v49
	v_dual_add_nc_u32 v8, s5, v47 :: v_dual_add_nc_u32 v9, s7, v47
	v_mul_lo_u32 v11, v11, s6
	s_delay_alu instid0(VALU_DEP_3) | instskip(NEXT) | instid1(VALU_DEP_4)
	v_mul_lo_u32 v6, v6, s4
	v_mul_lo_u32 v7, v7, s6
	s_delay_alu instid0(VALU_DEP_4)
	v_mul_lo_u32 v8, v8, s4
	v_mul_lo_u32 v9, v9, s6
	v_cmp_lt_u32_e32 vcc_lo, s3, v2
	v_dual_add_nc_u32 v12, s5, v46 :: v_dual_add_nc_u32 v13, s5, v44
	v_mul_lo_u32 v14, v14, s6
	v_mul_lo_u32 v16, v16, s6
	v_cndmask_b32_e64 v2, 0, 1, vcc_lo
	v_cmp_lt_u32_e32 vcc_lo, s3, v3
	v_mul_lo_u32 v13, v13, s4
	v_dual_sub_nc_u32 v6, v6, v7 :: v_dual_add_nc_u32 v7, s7, v46
	v_dual_sub_nc_u32 v8, v8, v9 :: v_dual_sub_nc_u32 v9, v10, v11
	v_dual_add_nc_u32 v11, s5, v45 :: v_dual_add_nc_u32 v10, s5, v43
	v_cndmask_b32_e64 v3, 0, 1, vcc_lo
	s_delay_alu instid0(VALU_DEP_4)
	v_cmp_lt_u32_e32 vcc_lo, s3, v6
	v_mul_lo_u32 v12, v12, s4
	v_mul_lo_u32 v7, v7, s6
	;; [unrolled: 1-line block ×4, first 2 shown]
	v_cndmask_b32_e64 v6, 0, 1, vcc_lo
	v_cmp_lt_u32_e32 vcc_lo, s3, v8
	v_lshlrev_b16 v3, 8, v3
	v_add_nc_u32_e32 v25, s7, v42
	v_mul_lo_u32 v17, v17, s6
	v_lshlrev_b16 v6, 8, v6
	v_cndmask_b32_e64 v8, 0, 1, vcc_lo
	v_cmp_lt_u32_e32 vcc_lo, s3, v4
	v_dual_sub_nc_u32 v7, v12, v7 :: v_dual_sub_nc_u32 v10, v10, v14
	v_mul_lo_u32 v12, v15, s4
	v_mul_lo_u32 v15, v25, s6
	v_dual_add_nc_u32 v25, s7, v1 :: v_dual_lshrrev_b32 v3, 8, v3
	v_sub_nc_u32_e32 v11, v11, v16
	v_cndmask_b32_e64 v4, 0, 1, vcc_lo
	v_cmp_lt_u32_e32 vcc_lo, s3, v10
	v_dual_lshrrev_b32 v6, 8, v6 :: v_dual_add_nc_u32 v14, s5, v1
	v_mul_lo_u32 v16, v25, s6
	v_lshlrev_b16 v2, 8, v2
	v_cndmask_b32_e64 v10, 0, 1, vcc_lo
	v_cmp_lt_u32_e32 vcc_lo, s3, v11
	v_mul_lo_u32 v14, v14, s4
	v_dual_sub_nc_u32 v13, v13, v17 :: v_dual_sub_nc_u32 v12, v12, v15
	v_lshlrev_b16 v3, 8, v3
	v_cndmask_b32_e64 v11, 0, 1, vcc_lo
	v_cmp_lt_u32_e32 vcc_lo, s3, v5
	v_lshrrev_b32_e32 v2, 8, v2
	v_lshlrev_b16 v8, 8, v8
	v_or_b32_e32 v3, v4, v3
	v_lshlrev_b16 v4, 8, v10
	v_cndmask_b32_e64 v5, 0, 1, vcc_lo
	v_cmp_lt_u32_e32 vcc_lo, s3, v9
	v_lshlrev_b16 v10, 8, v11
	v_sub_nc_u32_e32 v11, v14, v16
	v_lshlrev_b16 v2, 8, v2
	v_lshrrev_b32_e32 v4, 8, v4
	v_cndmask_b32_e64 v9, 0, 1, vcc_lo
	v_cmp_lt_u32_e32 vcc_lo, s3, v7
	v_lshrrev_b32_e32 v10, 8, v10
	v_lshlrev_b16 v6, 8, v6
	v_or_b32_e32 v2, v5, v2
	v_lshlrev_b16 v4, 8, v4
	v_cndmask_b32_e64 v7, 0, 1, vcc_lo
	v_cmp_lt_u32_e32 vcc_lo, s3, v13
	v_lshlrev_b16 v10, 8, v10
	v_or_b32_e32 v5, v9, v6
	v_and_b32_e32 v3, 0xffff, v3
	v_dual_lshlrev_b32 v2, 16, v2 :: v_dual_bitop2_b32 v6, v7, v8 bitop3:0x54
	v_cndmask_b32_e64 v13, 0, 1, vcc_lo
	v_cmp_lt_u32_e32 vcc_lo, s3, v12
	s_delay_alu instid0(VALU_DEP_3) | instskip(SKIP_4) | instid1(VALU_DEP_4)
	v_lshlrev_b32_e32 v6, 16, v6
	v_and_b32_e32 v5, 0xffff, v5
	v_or_b32_e32 v35, v3, v2
	v_cndmask_b32_e64 v12, 0, 1, vcc_lo
	v_cmp_lt_u32_e32 vcc_lo, s3, v11
	v_or_b32_e32 v31, v5, v6
	s_delay_alu instid0(VALU_DEP_3) | instskip(SKIP_2) | instid1(VALU_DEP_3)
	v_or_b32_e32 v4, v12, v4
	v_or_b32_e32 v7, v13, v10
	v_cndmask_b32_e64 v25, 0, 1, vcc_lo
	v_lshlrev_b32_e32 v4, 16, v4
	s_delay_alu instid0(VALU_DEP_3) | instskip(NEXT) | instid1(VALU_DEP_1)
	v_and_b32_e32 v7, 0xffff, v7
	v_or_b32_e32 v27, v7, v4
	s_load_b64 s[20:21], s[0:1], 0x68
	s_cbranch_execz .LBB1080_7
	s_branch .LBB1080_34
.LBB1080_6:
                                        ; implicit-def: $vgpr25
                                        ; implicit-def: $vgpr27
                                        ; implicit-def: $vgpr31
                                        ; implicit-def: $vgpr35
	s_load_b64 s[20:21], s[0:1], 0x68
.LBB1080_7:
	v_dual_mov_b32 v3, 0 :: v_dual_mov_b32 v2, 0
	s_mov_b32 s2, exec_lo
	v_cmpx_gt_u32_e64 s23, v23
	s_cbranch_execz .LBB1080_9
; %bb.8:
	v_dual_add_nc_u32 v2, s5, v52 :: v_dual_add_nc_u32 v4, s7, v52
	s_delay_alu instid0(VALU_DEP_1) | instskip(NEXT) | instid1(VALU_DEP_2)
	v_mul_lo_u32 v2, v2, s4
	v_mul_lo_u32 v4, v4, s6
	s_delay_alu instid0(VALU_DEP_1) | instskip(NEXT) | instid1(VALU_DEP_1)
	v_sub_nc_u32_e32 v2, v2, v4
	v_cmp_lt_u32_e32 vcc_lo, s3, v2
	v_cndmask_b32_e64 v2, 0, 1, vcc_lo
.LBB1080_9:
	s_or_b32 exec_lo, exec_lo, s2
	v_add_nc_u32_e32 v4, 1, v23
	s_mov_b32 s2, exec_lo
	s_delay_alu instid0(VALU_DEP_1)
	v_cmpx_gt_u32_e64 s23, v4
	s_cbranch_execz .LBB1080_11
; %bb.10:
	v_dual_add_nc_u32 v3, s5, v53 :: v_dual_add_nc_u32 v4, s7, v53
	s_delay_alu instid0(VALU_DEP_1) | instskip(NEXT) | instid1(VALU_DEP_2)
	v_mul_lo_u32 v3, v3, s4
	v_mul_lo_u32 v4, v4, s6
	s_delay_alu instid0(VALU_DEP_1) | instskip(NEXT) | instid1(VALU_DEP_1)
	v_sub_nc_u32_e32 v3, v3, v4
	v_cmp_lt_u32_e32 vcc_lo, s3, v3
	v_cndmask_b32_e64 v3, 0, 1, vcc_lo
.LBB1080_11:
	s_or_b32 exec_lo, exec_lo, s2
	v_dual_mov_b32 v5, 0 :: v_dual_add_nc_u32 v4, 2, v23
	s_delay_alu instid0(VALU_DEP_1)
	v_cmp_gt_u32_e32 vcc_lo, s23, v4
	v_mov_b32_e32 v4, 0
	s_and_saveexec_b32 s2, vcc_lo
	s_cbranch_execz .LBB1080_13
; %bb.12:
	v_dual_add_nc_u32 v4, s5, v50 :: v_dual_add_nc_u32 v6, s7, v50
	s_delay_alu instid0(VALU_DEP_1) | instskip(NEXT) | instid1(VALU_DEP_2)
	v_mul_lo_u32 v4, v4, s4
	v_mul_lo_u32 v6, v6, s6
	s_delay_alu instid0(VALU_DEP_1) | instskip(NEXT) | instid1(VALU_DEP_1)
	v_sub_nc_u32_e32 v4, v4, v6
	v_cmp_lt_u32_e32 vcc_lo, s3, v4
	v_cndmask_b32_e64 v4, 0, 1, vcc_lo
.LBB1080_13:
	s_or_b32 exec_lo, exec_lo, s2
	v_add_nc_u32_e32 v6, 3, v23
	s_mov_b32 s2, exec_lo
	s_delay_alu instid0(VALU_DEP_1)
	v_cmpx_gt_u32_e64 s23, v6
	s_cbranch_execz .LBB1080_15
; %bb.14:
	v_dual_add_nc_u32 v5, s5, v51 :: v_dual_add_nc_u32 v6, s7, v51
	s_delay_alu instid0(VALU_DEP_1) | instskip(NEXT) | instid1(VALU_DEP_2)
	v_mul_lo_u32 v5, v5, s4
	v_mul_lo_u32 v6, v6, s6
	s_delay_alu instid0(VALU_DEP_1) | instskip(NEXT) | instid1(VALU_DEP_1)
	v_sub_nc_u32_e32 v5, v5, v6
	v_cmp_lt_u32_e32 vcc_lo, s3, v5
	v_cndmask_b32_e64 v5, 0, 1, vcc_lo
.LBB1080_15:
	s_or_b32 exec_lo, exec_lo, s2
	v_dual_mov_b32 v7, 0 :: v_dual_add_nc_u32 v6, 4, v23
	s_delay_alu instid0(VALU_DEP_1)
	v_cmp_gt_u32_e32 vcc_lo, s23, v6
	v_mov_b32_e32 v6, 0
	s_and_saveexec_b32 s2, vcc_lo
	;; [unrolled: 33-line block ×5, first 2 shown]
	s_cbranch_execz .LBB1080_29
; %bb.28:
	v_dual_add_nc_u32 v12, s5, v42 :: v_dual_add_nc_u32 v14, s7, v42
	s_delay_alu instid0(VALU_DEP_1) | instskip(NEXT) | instid1(VALU_DEP_2)
	v_mul_lo_u32 v12, v12, s4
	v_mul_lo_u32 v14, v14, s6
	s_delay_alu instid0(VALU_DEP_1) | instskip(NEXT) | instid1(VALU_DEP_1)
	v_sub_nc_u32_e32 v12, v12, v14
	v_cmp_lt_u32_e32 vcc_lo, s3, v12
	v_cndmask_b32_e64 v12, 0, 1, vcc_lo
.LBB1080_29:
	s_or_b32 exec_lo, exec_lo, s2
	v_add_nc_u32_e32 v14, 11, v23
	s_mov_b32 s2, exec_lo
	s_delay_alu instid0(VALU_DEP_1)
	v_cmpx_gt_u32_e64 s23, v14
	s_cbranch_execz .LBB1080_31
; %bb.30:
	v_dual_add_nc_u32 v13, s5, v43 :: v_dual_add_nc_u32 v14, s7, v43
	s_delay_alu instid0(VALU_DEP_1) | instskip(NEXT) | instid1(VALU_DEP_2)
	v_mul_lo_u32 v13, v13, s4
	v_mul_lo_u32 v14, v14, s6
	s_delay_alu instid0(VALU_DEP_1) | instskip(NEXT) | instid1(VALU_DEP_1)
	v_sub_nc_u32_e32 v13, v13, v14
	v_cmp_lt_u32_e32 vcc_lo, s3, v13
	v_cndmask_b32_e64 v13, 0, 1, vcc_lo
.LBB1080_31:
	s_or_b32 exec_lo, exec_lo, s2
	v_dual_mov_b32 v25, 0 :: v_dual_add_nc_u32 v14, 12, v23
	s_mov_b32 s2, exec_lo
	s_delay_alu instid0(VALU_DEP_1)
	v_cmpx_gt_u32_e64 s23, v14
	s_cbranch_execz .LBB1080_33
; %bb.32:
	v_dual_add_nc_u32 v14, s7, v1 :: v_dual_add_nc_u32 v15, s5, v1
	s_delay_alu instid0(VALU_DEP_1) | instskip(NEXT) | instid1(VALU_DEP_2)
	v_mul_lo_u32 v14, v14, s6
	v_mul_lo_u32 v15, v15, s4
	s_delay_alu instid0(VALU_DEP_1) | instskip(NEXT) | instid1(VALU_DEP_1)
	v_sub_nc_u32_e32 v14, v15, v14
	v_cmp_lt_u32_e32 vcc_lo, s3, v14
	v_cndmask_b32_e64 v25, 0, 1, vcc_lo
.LBB1080_33:
	s_or_b32 exec_lo, exec_lo, s2
	v_lshlrev_b16 v5, 8, v5
	v_lshlrev_b16 v7, 8, v7
	;; [unrolled: 1-line block ×5, first 2 shown]
	v_or_b32_e32 v4, v4, v5
	v_or_b32_e32 v5, v6, v7
	;; [unrolled: 1-line block ×3, first 2 shown]
	s_delay_alu instid0(VALU_DEP_4) | instskip(NEXT) | instid1(VALU_DEP_3)
	v_or_b32_e32 v7, v10, v11
	v_and_b32_e32 v5, 0xffff, v5
	s_delay_alu instid0(VALU_DEP_3) | instskip(SKIP_3) | instid1(VALU_DEP_4)
	v_dual_lshlrev_b32 v6, 16, v6 :: v_dual_bitop2_b32 v2, v2, v3 bitop3:0x54
	v_lshlrev_b32_e32 v4, 16, v4
	v_lshlrev_b16 v3, 8, v13
	v_and_b32_e32 v7, 0xffff, v7
	v_or_b32_e32 v31, v5, v6
	v_and_b32_e32 v2, 0xffff, v2
	s_delay_alu instid0(VALU_DEP_4) | instskip(NEXT) | instid1(VALU_DEP_1)
	v_or_b32_e32 v3, v12, v3
	v_dual_lshlrev_b32 v3, 16, v3 :: v_dual_bitop2_b32 v35, v2, v4 bitop3:0x54
	s_delay_alu instid0(VALU_DEP_1)
	v_or_b32_e32 v27, v7, v3
.LBB1080_34:
	s_delay_alu instid0(VALU_DEP_2)
	v_bfe_u32 v39, v35, 16, 8
	v_bfe_u32 v41, v35, 8, 8
	v_and_b32_e32 v55, 0xff, v35
	v_and_b32_e32 v56, 0xff, v31
	v_mbcnt_lo_u32_b32 v62, -1, 0
	v_lshrrev_b32_e32 v37, 24, v35
	v_bfe_u32 v57, v31, 16, 8
	v_add3_u32 v2, v41, v55, v39
	v_bfe_u32 v58, v31, 8, 8
	v_and_b32_e32 v4, 15, v62
	s_load_b64 s[16:17], s[0:1], 0x28
	v_dual_lshrrev_b32 v33, 24, v31 :: v_dual_lshrrev_b32 v63, 5, v0
	v_add3_u32 v2, v2, v37, v56
	v_and_b32_e32 v59, 0xff, v27
	v_bfe_u32 v60, v27, 16, 8
	v_bfe_u32 v61, v27, 8, 8
	v_dual_lshrrev_b32 v29, 24, v27 :: v_dual_bitop2_b32 v5, 31, v0 bitop3:0x54
	v_add3_u32 v2, v2, v58, v57
	v_and_b32_e32 v3, 0xff, v25
	v_and_b32_e32 v6, 16, v62
	v_cmp_eq_u32_e64 s5, 0, v4
	v_cmp_lt_u32_e64 s4, 1, v4
	v_add3_u32 v2, v2, v33, v59
	v_cmp_lt_u32_e64 s3, 3, v4
	v_cmp_lt_u32_e64 s2, 7, v4
	s_wait_xcnt 0x0
	v_cmp_eq_u32_e64 s1, 0, v6
	v_cmp_eq_u32_e64 s0, v0, v5
	v_add3_u32 v2, v2, v61, v60
	s_cmp_lg_u32 s24, 0
	s_mov_b32 s6, -1
	s_delay_alu instid0(VALU_DEP_1)
	v_add3_u32 v64, v2, v29, v3
	s_cbranch_scc0 .LBB1080_56
; %bb.35:
	s_delay_alu instid0(VALU_DEP_1) | instskip(NEXT) | instid1(VALU_DEP_1)
	v_mov_b32_dpp v2, v64 row_shr:1 row_mask:0xf bank_mask:0xf
	v_cndmask_b32_e64 v2, v2, 0, s5
	s_delay_alu instid0(VALU_DEP_1) | instskip(NEXT) | instid1(VALU_DEP_1)
	v_add_nc_u32_e32 v2, v2, v64
	v_mov_b32_dpp v3, v2 row_shr:2 row_mask:0xf bank_mask:0xf
	s_delay_alu instid0(VALU_DEP_1) | instskip(NEXT) | instid1(VALU_DEP_1)
	v_cndmask_b32_e64 v3, 0, v3, s4
	v_add_nc_u32_e32 v2, v2, v3
	s_delay_alu instid0(VALU_DEP_1) | instskip(NEXT) | instid1(VALU_DEP_1)
	v_mov_b32_dpp v3, v2 row_shr:4 row_mask:0xf bank_mask:0xf
	v_cndmask_b32_e64 v3, 0, v3, s3
	s_delay_alu instid0(VALU_DEP_1) | instskip(NEXT) | instid1(VALU_DEP_1)
	v_add_nc_u32_e32 v2, v2, v3
	v_mov_b32_dpp v3, v2 row_shr:8 row_mask:0xf bank_mask:0xf
	s_delay_alu instid0(VALU_DEP_1) | instskip(NEXT) | instid1(VALU_DEP_1)
	v_cndmask_b32_e64 v3, 0, v3, s2
	v_add_nc_u32_e32 v2, v2, v3
	ds_swizzle_b32 v3, v2 offset:swizzle(BROADCAST,32,15)
	s_wait_dscnt 0x0
	v_cndmask_b32_e64 v3, v3, 0, s1
	s_delay_alu instid0(VALU_DEP_1)
	v_add_nc_u32_e32 v2, v2, v3
	s_and_saveexec_b32 s6, s0
; %bb.36:
	v_lshlrev_b32_e32 v3, 2, v63
	ds_store_b32 v3, v2
; %bb.37:
	s_or_b32 exec_lo, exec_lo, s6
	s_delay_alu instid0(SALU_CYCLE_1)
	s_mov_b32 s6, exec_lo
	s_wait_dscnt 0x0
	s_barrier_signal -1
	s_barrier_wait -1
	v_cmpx_gt_u32_e32 8, v0
	s_cbranch_execz .LBB1080_39
; %bb.38:
	ds_load_b32 v3, v19
	s_wait_dscnt 0x0
	v_mov_b32_dpp v5, v3 row_shr:1 row_mask:0xf bank_mask:0xf
	v_and_b32_e32 v4, 7, v62
	s_delay_alu instid0(VALU_DEP_1) | instskip(NEXT) | instid1(VALU_DEP_3)
	v_cmp_ne_u32_e32 vcc_lo, 0, v4
	v_cndmask_b32_e32 v5, 0, v5, vcc_lo
	v_cmp_lt_u32_e32 vcc_lo, 1, v4
	s_delay_alu instid0(VALU_DEP_2) | instskip(NEXT) | instid1(VALU_DEP_1)
	v_add_nc_u32_e32 v3, v5, v3
	v_mov_b32_dpp v5, v3 row_shr:2 row_mask:0xf bank_mask:0xf
	s_delay_alu instid0(VALU_DEP_1) | instskip(SKIP_1) | instid1(VALU_DEP_2)
	v_cndmask_b32_e32 v5, 0, v5, vcc_lo
	v_cmp_lt_u32_e32 vcc_lo, 3, v4
	v_add_nc_u32_e32 v3, v3, v5
	s_delay_alu instid0(VALU_DEP_1) | instskip(NEXT) | instid1(VALU_DEP_1)
	v_mov_b32_dpp v5, v3 row_shr:4 row_mask:0xf bank_mask:0xf
	v_cndmask_b32_e32 v4, 0, v5, vcc_lo
	s_delay_alu instid0(VALU_DEP_1)
	v_add_nc_u32_e32 v3, v3, v4
	ds_store_b32 v19, v3
.LBB1080_39:
	s_or_b32 exec_lo, exec_lo, s6
	s_delay_alu instid0(SALU_CYCLE_1)
	s_mov_b32 s7, exec_lo
	v_cmp_gt_u32_e32 vcc_lo, 32, v0
	s_wait_dscnt 0x0
	s_barrier_signal -1
	s_barrier_wait -1
                                        ; implicit-def: $vgpr10
	v_cmpx_lt_u32_e32 31, v0
	s_cbranch_execz .LBB1080_41
; %bb.40:
	v_lshl_add_u32 v3, v63, 2, -4
	ds_load_b32 v10, v3
	s_wait_dscnt 0x0
	v_add_nc_u32_e32 v2, v10, v2
.LBB1080_41:
	s_or_b32 exec_lo, exec_lo, s7
	v_sub_co_u32 v3, s6, v62, 1
	s_delay_alu instid0(VALU_DEP_1) | instskip(NEXT) | instid1(VALU_DEP_1)
	v_cmp_gt_i32_e64 s7, 0, v3
	v_cndmask_b32_e64 v3, v3, v62, s7
	s_delay_alu instid0(VALU_DEP_1)
	v_lshlrev_b32_e32 v3, 2, v3
	ds_bpermute_b32 v11, v3, v2
	s_and_saveexec_b32 s7, vcc_lo
	s_cbranch_execz .LBB1080_61
; %bb.42:
	v_mov_b32_e32 v9, 0
	ds_load_b32 v2, v9 offset:28
	s_and_saveexec_b32 s11, s6
	s_cbranch_execz .LBB1080_44
; %bb.43:
	s_add_co_i32 s25, s24, 32
	s_delay_alu instid0(SALU_CYCLE_1)
	v_dual_mov_b32 v3, 1 :: v_dual_mov_b32 v4, s25
	s_wait_dscnt 0x0
	s_wait_kmcnt 0x0
	global_store_b64 v4, v[2:3], s[20:21] scale_offset scope:SCOPE_DEV
.LBB1080_44:
	s_wait_xcnt 0x0
	s_or_b32 exec_lo, exec_lo, s11
	v_xad_u32 v4, v62, -1, s24
	s_mov_b32 s25, 0
	s_mov_b32 s11, exec_lo
	s_delay_alu instid0(VALU_DEP_1)
	v_add_nc_u32_e32 v8, 32, v4
	s_wait_kmcnt 0x0
	global_load_b64 v[6:7], v8, s[20:21] scale_offset scope:SCOPE_DEV
	s_wait_loadcnt 0x0
	v_and_b32_e32 v3, 0xff, v7
	s_wait_xcnt 0x0
	s_delay_alu instid0(VALU_DEP_1)
	v_cmpx_eq_u16_e32 0, v3
	s_cbranch_execz .LBB1080_48
; %bb.45:
	v_lshl_add_u64 v[8:9], v[8:9], 3, s[20:21]
.LBB1080_46:                            ; =>This Inner Loop Header: Depth=1
	global_load_b64 v[6:7], v[8:9], off scope:SCOPE_DEV
	s_wait_loadcnt 0x0
	v_and_b32_e32 v3, 0xff, v7
	s_delay_alu instid0(VALU_DEP_1)
	v_cmp_ne_u16_e32 vcc_lo, 0, v3
	s_or_b32 s25, vcc_lo, s25
	s_wait_xcnt 0x0
	s_and_not1_b32 exec_lo, exec_lo, s25
	s_cbranch_execnz .LBB1080_46
; %bb.47:
	s_or_b32 exec_lo, exec_lo, s25
.LBB1080_48:
	s_delay_alu instid0(SALU_CYCLE_1)
	s_or_b32 exec_lo, exec_lo, s11
	v_cmp_ne_u32_e32 vcc_lo, 31, v62
	v_lshlrev_b32_e64 v13, v62, -1
	v_dual_add_nc_u32 v15, 2, v62 :: v_dual_add_nc_u32 v17, 4, v62
	v_dual_add_nc_u32 v65, 8, v62 :: v_dual_add_nc_u32 v67, 16, v62
	v_add_co_ci_u32_e64 v3, null, 0, v62, vcc_lo
	v_lshl_or_b32 v66, v62, 2, 64
	s_delay_alu instid0(VALU_DEP_2)
	v_lshlrev_b32_e32 v12, 2, v3
	v_and_b32_e32 v3, 0xff, v7
	ds_bpermute_b32 v5, v12, v6
	v_cmp_eq_u16_e32 vcc_lo, 2, v3
	v_and_or_b32 v3, vcc_lo, v13, 0x80000000
	v_cmp_gt_u32_e32 vcc_lo, 30, v62
	s_delay_alu instid0(VALU_DEP_2) | instskip(SKIP_1) | instid1(VALU_DEP_2)
	v_ctz_i32_b32_e32 v3, v3
	v_cndmask_b32_e64 v8, 0, 2, vcc_lo
	v_cmp_lt_u32_e32 vcc_lo, v62, v3
	s_delay_alu instid0(VALU_DEP_2)
	v_add_lshl_u32 v14, v8, v62, 2
	s_wait_dscnt 0x0
	v_cndmask_b32_e32 v5, 0, v5, vcc_lo
	v_cmp_gt_u32_e32 vcc_lo, 28, v62
	v_cndmask_b32_e64 v8, 0, 4, vcc_lo
	v_cmp_le_u32_e32 vcc_lo, v15, v3
	s_delay_alu instid0(VALU_DEP_4) | instskip(NEXT) | instid1(VALU_DEP_3)
	v_add_nc_u32_e32 v5, v5, v6
	v_add_lshl_u32 v16, v8, v62, 2
	ds_bpermute_b32 v6, v14, v5
	s_wait_dscnt 0x0
	v_cndmask_b32_e32 v6, 0, v6, vcc_lo
	v_cmp_gt_u32_e32 vcc_lo, 24, v62
	v_cndmask_b32_e64 v8, 0, 8, vcc_lo
	v_cmp_le_u32_e32 vcc_lo, v17, v3
	s_delay_alu instid0(VALU_DEP_4) | instskip(NEXT) | instid1(VALU_DEP_3)
	v_add_nc_u32_e32 v5, v5, v6
	v_add_lshl_u32 v54, v8, v62, 2
	ds_bpermute_b32 v6, v16, v5
	s_wait_dscnt 0x0
	v_cndmask_b32_e32 v6, 0, v6, vcc_lo
	v_cmp_le_u32_e32 vcc_lo, v65, v3
	s_delay_alu instid0(VALU_DEP_2) | instskip(SKIP_4) | instid1(VALU_DEP_2)
	v_add_nc_u32_e32 v5, v5, v6
	ds_bpermute_b32 v6, v54, v5
	s_wait_dscnt 0x0
	v_cndmask_b32_e32 v6, 0, v6, vcc_lo
	v_cmp_le_u32_e32 vcc_lo, v67, v3
	v_add_nc_u32_e32 v5, v5, v6
	ds_bpermute_b32 v6, v66, v5
	s_wait_dscnt 0x0
	v_cndmask_b32_e32 v3, 0, v6, vcc_lo
	s_delay_alu instid0(VALU_DEP_1)
	v_dual_mov_b32 v5, 0 :: v_dual_add_nc_u32 v6, v5, v3
	s_branch .LBB1080_52
.LBB1080_49:                            ;   in Loop: Header=BB1080_52 Depth=1
	s_or_b32 exec_lo, exec_lo, s25
.LBB1080_50:                            ;   in Loop: Header=BB1080_52 Depth=1
	s_delay_alu instid0(SALU_CYCLE_1)
	s_or_b32 exec_lo, exec_lo, s11
	v_and_b32_e32 v8, 0xff, v7
	ds_bpermute_b32 v9, v12, v6
	v_subrev_nc_u32_e32 v4, 32, v4
	s_mov_b32 s11, 0
	v_cmp_eq_u16_e32 vcc_lo, 2, v8
	v_and_or_b32 v8, vcc_lo, v13, 0x80000000
	s_delay_alu instid0(VALU_DEP_1) | instskip(NEXT) | instid1(VALU_DEP_1)
	v_ctz_i32_b32_e32 v8, v8
	v_cmp_lt_u32_e32 vcc_lo, v62, v8
	s_wait_dscnt 0x0
	v_cndmask_b32_e32 v9, 0, v9, vcc_lo
	v_cmp_le_u32_e32 vcc_lo, v15, v8
	s_delay_alu instid0(VALU_DEP_2) | instskip(SKIP_4) | instid1(VALU_DEP_2)
	v_add_nc_u32_e32 v6, v9, v6
	ds_bpermute_b32 v9, v14, v6
	s_wait_dscnt 0x0
	v_cndmask_b32_e32 v9, 0, v9, vcc_lo
	v_cmp_le_u32_e32 vcc_lo, v17, v8
	v_add_nc_u32_e32 v6, v6, v9
	ds_bpermute_b32 v9, v16, v6
	s_wait_dscnt 0x0
	v_cndmask_b32_e32 v9, 0, v9, vcc_lo
	v_cmp_le_u32_e32 vcc_lo, v65, v8
	s_delay_alu instid0(VALU_DEP_2) | instskip(SKIP_4) | instid1(VALU_DEP_2)
	v_add_nc_u32_e32 v6, v6, v9
	ds_bpermute_b32 v9, v54, v6
	s_wait_dscnt 0x0
	v_cndmask_b32_e32 v9, 0, v9, vcc_lo
	v_cmp_le_u32_e32 vcc_lo, v67, v8
	v_add_nc_u32_e32 v6, v6, v9
	ds_bpermute_b32 v9, v66, v6
	s_wait_dscnt 0x0
	v_cndmask_b32_e32 v8, 0, v9, vcc_lo
	s_delay_alu instid0(VALU_DEP_1)
	v_add3_u32 v6, v8, v3, v6
.LBB1080_51:                            ;   in Loop: Header=BB1080_52 Depth=1
	s_and_b32 vcc_lo, exec_lo, s11
	s_cbranch_vccnz .LBB1080_57
.LBB1080_52:                            ; =>This Loop Header: Depth=1
                                        ;     Child Loop BB1080_55 Depth 2
	v_and_b32_e32 v3, 0xff, v7
	s_mov_b32 s11, -1
                                        ; implicit-def: $vgpr7
	s_delay_alu instid0(VALU_DEP_1)
	v_cmp_ne_u16_e32 vcc_lo, 2, v3
	v_mov_b32_e32 v3, v6
                                        ; implicit-def: $vgpr6
	s_cmp_lg_u32 vcc_lo, exec_lo
	s_cbranch_scc1 .LBB1080_51
; %bb.53:                               ;   in Loop: Header=BB1080_52 Depth=1
	global_load_b64 v[6:7], v4, s[20:21] scale_offset scope:SCOPE_DEV
	s_mov_b32 s11, exec_lo
	s_wait_loadcnt 0x0
	v_and_b32_e32 v8, 0xff, v7
	s_wait_xcnt 0x0
	s_delay_alu instid0(VALU_DEP_1)
	v_cmpx_eq_u16_e32 0, v8
	s_cbranch_execz .LBB1080_50
; %bb.54:                               ;   in Loop: Header=BB1080_52 Depth=1
	v_lshl_add_u64 v[8:9], v[4:5], 3, s[20:21]
	s_mov_b32 s25, 0
.LBB1080_55:                            ;   Parent Loop BB1080_52 Depth=1
                                        ; =>  This Inner Loop Header: Depth=2
	global_load_b64 v[6:7], v[8:9], off scope:SCOPE_DEV
	s_wait_loadcnt 0x0
	v_and_b32_e32 v68, 0xff, v7
	s_delay_alu instid0(VALU_DEP_1)
	v_cmp_ne_u16_e32 vcc_lo, 0, v68
	s_or_b32 s25, vcc_lo, s25
	s_wait_xcnt 0x0
	s_and_not1_b32 exec_lo, exec_lo, s25
	s_cbranch_execnz .LBB1080_55
	s_branch .LBB1080_49
.LBB1080_56:
                                        ; implicit-def: $vgpr2_vgpr3_vgpr4_vgpr5_vgpr6_vgpr7_vgpr8_vgpr9_vgpr10_vgpr11_vgpr12_vgpr13_vgpr14_vgpr15_vgpr16_vgpr17
                                        ; implicit-def: $vgpr54
                                        ; implicit-def: $vgpr16
	s_and_b32 vcc_lo, exec_lo, s6
	s_cbranch_vccnz .LBB1080_62
	s_branch .LBB1080_71
.LBB1080_57:
	s_and_saveexec_b32 s11, s6
	s_cbranch_execz .LBB1080_59
; %bb.58:
	s_add_co_i32 s24, s24, 32
	v_dual_mov_b32 v5, 2 :: v_dual_add_nc_u32 v4, v3, v2
	v_dual_mov_b32 v6, s24 :: v_dual_mov_b32 v7, 0
	global_store_b64 v6, v[4:5], s[20:21] scale_offset scope:SCOPE_DEV
	ds_store_b64 v7, v[2:3] offset:13312
.LBB1080_59:
	s_wait_xcnt 0x0
	s_or_b32 exec_lo, exec_lo, s11
	v_cmp_eq_u32_e32 vcc_lo, 0, v0
	s_and_b32 exec_lo, exec_lo, vcc_lo
; %bb.60:
	v_mov_b32_e32 v2, 0
	ds_store_b32 v2, v3 offset:28
.LBB1080_61:
	s_or_b32 exec_lo, exec_lo, s7
	s_wait_dscnt 0x0
	v_dual_mov_b32 v12, 0 :: v_dual_cndmask_b32 v3, v11, v10, s6
	s_wait_storecnt 0x0
	s_barrier_signal -1
	s_barrier_wait -1
	ds_load_b32 v2, v12 offset:28
	v_cmp_ne_u32_e32 vcc_lo, 0, v0
	s_wait_dscnt 0x0
	s_barrier_signal -1
	s_barrier_wait -1
	v_cndmask_b32_e32 v3, 0, v3, vcc_lo
	ds_load_b64 v[16:17], v12 offset:13312
	v_add_nc_u32_e32 v2, v2, v3
	s_wait_dscnt 0x0
	s_delay_alu instid0(VALU_DEP_1) | instskip(NEXT) | instid1(VALU_DEP_1)
	v_dual_mov_b32 v54, v17 :: v_dual_add_nc_u32 v3, v2, v55
	v_add_nc_u32_e32 v4, v3, v41
	s_delay_alu instid0(VALU_DEP_1) | instskip(NEXT) | instid1(VALU_DEP_1)
	v_add_nc_u32_e32 v5, v4, v39
	v_add_nc_u32_e32 v6, v5, v37
	s_delay_alu instid0(VALU_DEP_1) | instskip(NEXT) | instid1(VALU_DEP_1)
	v_add_nc_u32_e32 v7, v6, v56
	;; [unrolled: 3-line block ×5, first 2 shown]
	v_add_nc_u32_e32 v14, v13, v29
	s_branch .LBB1080_71
.LBB1080_62:
	v_mov_b32_dpp v2, v64 row_shr:1 row_mask:0xf bank_mask:0xf
	s_delay_alu instid0(VALU_DEP_1) | instskip(NEXT) | instid1(VALU_DEP_1)
	v_cndmask_b32_e64 v2, v2, 0, s5
	v_add_nc_u32_e32 v2, v2, v64
	s_delay_alu instid0(VALU_DEP_1) | instskip(NEXT) | instid1(VALU_DEP_1)
	v_mov_b32_dpp v3, v2 row_shr:2 row_mask:0xf bank_mask:0xf
	v_cndmask_b32_e64 v3, 0, v3, s4
	s_delay_alu instid0(VALU_DEP_1) | instskip(NEXT) | instid1(VALU_DEP_1)
	v_add_nc_u32_e32 v2, v2, v3
	v_mov_b32_dpp v3, v2 row_shr:4 row_mask:0xf bank_mask:0xf
	s_delay_alu instid0(VALU_DEP_1) | instskip(NEXT) | instid1(VALU_DEP_1)
	v_cndmask_b32_e64 v3, 0, v3, s3
	v_add_nc_u32_e32 v2, v2, v3
	s_delay_alu instid0(VALU_DEP_1) | instskip(NEXT) | instid1(VALU_DEP_1)
	v_mov_b32_dpp v3, v2 row_shr:8 row_mask:0xf bank_mask:0xf
	v_cndmask_b32_e64 v3, 0, v3, s2
	s_delay_alu instid0(VALU_DEP_1) | instskip(SKIP_3) | instid1(VALU_DEP_1)
	v_add_nc_u32_e32 v2, v2, v3
	ds_swizzle_b32 v3, v2 offset:swizzle(BROADCAST,32,15)
	s_wait_dscnt 0x0
	v_cndmask_b32_e64 v3, v3, 0, s1
	v_add_nc_u32_e32 v2, v2, v3
	s_and_saveexec_b32 s1, s0
; %bb.63:
	v_lshlrev_b32_e32 v3, 2, v63
	ds_store_b32 v3, v2
; %bb.64:
	s_or_b32 exec_lo, exec_lo, s1
	s_delay_alu instid0(SALU_CYCLE_1)
	s_mov_b32 s0, exec_lo
	s_wait_dscnt 0x0
	s_barrier_signal -1
	s_barrier_wait -1
	v_cmpx_gt_u32_e32 8, v0
	s_cbranch_execz .LBB1080_66
; %bb.65:
	ds_load_b32 v3, v19
	s_wait_dscnt 0x0
	v_mov_b32_dpp v5, v3 row_shr:1 row_mask:0xf bank_mask:0xf
	v_and_b32_e32 v4, 7, v62
	s_delay_alu instid0(VALU_DEP_1) | instskip(NEXT) | instid1(VALU_DEP_3)
	v_cmp_ne_u32_e32 vcc_lo, 0, v4
	v_cndmask_b32_e32 v5, 0, v5, vcc_lo
	v_cmp_lt_u32_e32 vcc_lo, 1, v4
	s_delay_alu instid0(VALU_DEP_2) | instskip(NEXT) | instid1(VALU_DEP_1)
	v_add_nc_u32_e32 v3, v5, v3
	v_mov_b32_dpp v5, v3 row_shr:2 row_mask:0xf bank_mask:0xf
	s_delay_alu instid0(VALU_DEP_1) | instskip(SKIP_1) | instid1(VALU_DEP_2)
	v_cndmask_b32_e32 v5, 0, v5, vcc_lo
	v_cmp_lt_u32_e32 vcc_lo, 3, v4
	v_add_nc_u32_e32 v3, v3, v5
	s_delay_alu instid0(VALU_DEP_1) | instskip(NEXT) | instid1(VALU_DEP_1)
	v_mov_b32_dpp v5, v3 row_shr:4 row_mask:0xf bank_mask:0xf
	v_cndmask_b32_e32 v4, 0, v5, vcc_lo
	s_delay_alu instid0(VALU_DEP_1)
	v_add_nc_u32_e32 v3, v3, v4
	ds_store_b32 v19, v3
.LBB1080_66:
	s_or_b32 exec_lo, exec_lo, s0
	v_dual_mov_b32 v4, 0 :: v_dual_mov_b32 v3, 0
	s_mov_b32 s0, exec_lo
	s_wait_dscnt 0x0
	s_barrier_signal -1
	s_barrier_wait -1
	v_cmpx_lt_u32_e32 31, v0
; %bb.67:
	v_lshl_add_u32 v3, v63, 2, -4
	ds_load_b32 v3, v3
; %bb.68:
	s_or_b32 exec_lo, exec_lo, s0
	v_sub_co_u32 v5, vcc_lo, v62, 1
	ds_load_b32 v16, v4 offset:28
	v_cmp_gt_i32_e64 s0, 0, v5
	s_delay_alu instid0(VALU_DEP_1) | instskip(SKIP_3) | instid1(VALU_DEP_3)
	v_cndmask_b32_e64 v5, v5, v62, s0
	s_wait_dscnt 0x1
	v_add_nc_u32_e32 v2, v3, v2
	v_cmp_eq_u32_e64 s0, 0, v0
	v_lshlrev_b32_e32 v5, 2, v5
	ds_bpermute_b32 v2, v5, v2
	s_and_saveexec_b32 s1, s0
	s_cbranch_execz .LBB1080_70
; %bb.69:
	v_dual_mov_b32 v4, 0 :: v_dual_mov_b32 v17, 2
	s_wait_dscnt 0x1
	s_wait_kmcnt 0x0
	global_store_b64 v4, v[16:17], s[20:21] offset:256 scope:SCOPE_DEV
.LBB1080_70:
	s_wait_xcnt 0x0
	s_or_b32 exec_lo, exec_lo, s1
	s_wait_dscnt 0x0
	v_cndmask_b32_e32 v2, v2, v3, vcc_lo
	s_wait_storecnt 0x0
	s_barrier_signal -1
	s_barrier_wait -1
	s_delay_alu instid0(VALU_DEP_1) | instskip(NEXT) | instid1(VALU_DEP_1)
	v_cndmask_b32_e64 v2, v2, 0, s0
	v_dual_mov_b32 v54, 0 :: v_dual_add_nc_u32 v3, v2, v55
	s_delay_alu instid0(VALU_DEP_1) | instskip(NEXT) | instid1(VALU_DEP_1)
	v_add_nc_u32_e32 v4, v3, v41
	v_add_nc_u32_e32 v5, v4, v39
	s_delay_alu instid0(VALU_DEP_1) | instskip(NEXT) | instid1(VALU_DEP_1)
	v_add_nc_u32_e32 v6, v5, v37
	v_add_nc_u32_e32 v7, v6, v56
	;; [unrolled: 3-line block ×5, first 2 shown]
	s_delay_alu instid0(VALU_DEP_1)
	v_add_nc_u32_e32 v14, v13, v29
.LBB1080_71:
	v_dual_lshrrev_b32 v55, 16, v35 :: v_dual_lshrrev_b32 v56, 8, v35
	v_dual_add_nc_u32 v23, v16, v23 :: v_dual_sub_nc_u32 v3, v3, v54
	v_dual_sub_nc_u32 v2, v2, v54 :: v_dual_bitop2_b32 v35, 1, v35 bitop3:0x40
	s_delay_alu instid0(VALU_DEP_3) | instskip(NEXT) | instid1(VALU_DEP_4)
	v_dual_sub_nc_u32 v4, v4, v54 :: v_dual_bitop2_b32 v56, 1, v56 bitop3:0x40
	v_and_b32_e32 v55, 1, v55
	s_delay_alu instid0(VALU_DEP_3) | instskip(NEXT) | instid1(VALU_DEP_4)
	v_dual_sub_nc_u32 v57, v23, v3 :: v_dual_sub_nc_u32 v58, v23, v2
	v_cmp_eq_u32_e32 vcc_lo, 1, v35
	s_delay_alu instid0(VALU_DEP_4) | instskip(NEXT) | instid1(VALU_DEP_3)
	v_dual_sub_nc_u32 v5, v5, v54 :: v_dual_sub_nc_u32 v59, v23, v4
	v_dual_add_nc_u32 v57, 1, v57 :: v_dual_sub_nc_u32 v6, v6, v54
	s_delay_alu instid0(VALU_DEP_4) | instskip(SKIP_1) | instid1(VALU_DEP_4)
	v_cndmask_b32_e32 v2, v58, v2, vcc_lo
	v_cmp_eq_u32_e32 vcc_lo, 1, v56
	v_dual_sub_nc_u32 v35, v23, v5 :: v_dual_add_nc_u32 v56, 2, v59
	v_dual_lshrrev_b32 v41, 8, v31 :: v_dual_lshrrev_b32 v39, 16, v31
	v_dual_cndmask_b32 v3, v57, v3, vcc_lo :: v_dual_bitop2_b32 v37, 1, v37 bitop3:0x40
	v_lshlrev_b32_e32 v2, 2, v2
	v_cmp_eq_u32_e32 vcc_lo, 1, v55
	v_add_nc_u32_e32 v35, 3, v35
	s_delay_alu instid0(VALU_DEP_4)
	v_lshlrev_b32_e32 v3, 2, v3
	v_dual_lshrrev_b32 v15, 16, v27 :: v_dual_lshrrev_b32 v17, 8, v27
	v_cndmask_b32_e32 v4, v56, v4, vcc_lo
	v_cmp_eq_u32_e32 vcc_lo, 1, v37
	ds_store_b32 v2, v52
	ds_store_b32 v3, v53
	v_dual_lshlrev_b32 v3, 2, v4 :: v_dual_cndmask_b32 v5, v35, v5, vcc_lo
	s_delay_alu instid0(VALU_DEP_1) | instskip(SKIP_1) | instid1(VALU_DEP_2)
	v_dual_sub_nc_u32 v2, v23, v6 :: v_dual_lshlrev_b32 v4, 2, v5
	v_dual_sub_nc_u32 v5, v7, v54 :: v_dual_bitop2_b32 v7, 1, v31 bitop3:0x40
	v_add_nc_u32_e32 v2, 4, v2
	ds_store_b32 v3, v50
	ds_store_b32 v4, v51
	v_sub_nc_u32_e32 v3, v23, v5
	v_cmp_eq_u32_e32 vcc_lo, 1, v7
	s_delay_alu instid0(VALU_DEP_2) | instskip(SKIP_1) | instid1(VALU_DEP_2)
	v_dual_sub_nc_u32 v4, v8, v54 :: v_dual_add_nc_u32 v3, 5, v3
	v_dual_cndmask_b32 v2, v2, v6, vcc_lo :: v_dual_bitop2_b32 v6, 1, v41 bitop3:0x40
	v_dual_sub_nc_u32 v7, v9, v54 :: v_dual_sub_nc_u32 v8, v23, v4
	s_delay_alu instid0(VALU_DEP_2) | instskip(NEXT) | instid1(VALU_DEP_2)
	v_cmp_eq_u32_e32 vcc_lo, 1, v6
	v_dual_lshlrev_b32 v2, 2, v2 :: v_dual_add_nc_u32 v8, 6, v8
	v_cndmask_b32_e32 v3, v3, v5, vcc_lo
	s_delay_alu instid0(VALU_DEP_4)
	v_sub_nc_u32_e32 v5, v23, v7
	v_and_b32_e32 v6, 1, v39
	ds_store_b32 v2, v48
	v_dual_lshlrev_b32 v3, 2, v3 :: v_dual_add_nc_u32 v5, 7, v5
	v_cmp_eq_u32_e32 vcc_lo, 1, v6
	v_dual_sub_nc_u32 v6, v11, v54 :: v_dual_bitop2_b32 v2, 1, v33 bitop3:0x40
	ds_store_b32 v3, v49
	v_cndmask_b32_e32 v4, v8, v4, vcc_lo
	v_cmp_eq_u32_e32 vcc_lo, 1, v2
	s_delay_alu instid0(VALU_DEP_2)
	v_dual_lshlrev_b32 v4, 2, v4 :: v_dual_cndmask_b32 v2, v5, v7, vcc_lo
	v_dual_sub_nc_u32 v5, v10, v54 :: v_dual_bitop2_b32 v7, 1, v17 bitop3:0x40
	v_sub_nc_u32_e32 v3, v23, v6
	ds_store_b32 v4, v46
	v_dual_sub_nc_u32 v4, v23, v5 :: v_dual_lshlrev_b32 v2, 2, v2
	v_add_nc_u32_e32 v3, 9, v3
	v_cmp_eq_u32_e32 vcc_lo, 1, v7
	s_delay_alu instid0(VALU_DEP_3) | instskip(SKIP_3) | instid1(VALU_DEP_2)
	v_dual_sub_nc_u32 v7, v12, v54 :: v_dual_add_nc_u32 v4, 8, v4
	ds_store_b32 v2, v47
	v_dual_cndmask_b32 v3, v3, v6, vcc_lo :: v_dual_bitop2_b32 v2, 1, v27 bitop3:0x40
	v_dual_sub_nc_u32 v6, v13, v54 :: v_dual_sub_nc_u32 v8, v14, v54
	v_cmp_eq_u32_e32 vcc_lo, 1, v2
	v_dual_cndmask_b32 v2, v4, v5 :: v_dual_sub_nc_u32 v5, v23, v7
	s_delay_alu instid0(VALU_DEP_3) | instskip(SKIP_1) | instid1(VALU_DEP_3)
	v_dual_sub_nc_u32 v4, v23, v6 :: v_dual_sub_nc_u32 v9, v23, v8
	v_and_b32_e32 v10, 1, v15
	v_dual_lshlrev_b32 v2, 2, v2 :: v_dual_bitop2_b32 v12, 1, v25 bitop3:0x40
	s_delay_alu instid0(VALU_DEP_3) | instskip(NEXT) | instid1(VALU_DEP_1)
	v_dual_add_nc_u32 v4, 11, v4 :: v_dual_bitop2_b32 v11, 1, v29 bitop3:0x40
	v_cmp_eq_u32_e32 vcc_lo, 1, v11
	s_delay_alu instid0(VALU_DEP_2) | instskip(SKIP_3) | instid1(VALU_DEP_1)
	v_cndmask_b32_e32 v4, v4, v6, vcc_lo
	v_cmp_eq_u32_e32 vcc_lo, 1, v10
	v_add_nc_u32_e32 v9, 12, v9
	v_add_nc_u32_e32 v5, 10, v5
	v_cndmask_b32_e32 v5, v5, v7, vcc_lo
	v_cmp_eq_u32_e32 vcc_lo, 1, v12
	s_delay_alu instid0(VALU_DEP_2) | instskip(SKIP_3) | instid1(VALU_DEP_3)
	v_dual_lshlrev_b32 v3, 2, v3 :: v_dual_lshlrev_b32 v5, 2, v5
	v_cndmask_b32_e32 v6, v9, v8, vcc_lo
	v_lshlrev_b32_e32 v4, 2, v4
	v_cmp_ne_u32_e32 vcc_lo, 1, v21
	v_lshlrev_b32_e32 v6, 2, v6
	ds_store_b32 v2, v44
	ds_store_b32 v3, v45
	;; [unrolled: 1-line block ×5, first 2 shown]
	s_wait_dscnt 0x0
	s_barrier_signal -1
	s_barrier_wait -1
	ds_load_2addr_stride64_b32 v[14:15], v19 offset1:4
	ds_load_2addr_stride64_b32 v[12:13], v19 offset0:8 offset1:12
	ds_load_2addr_stride64_b32 v[10:11], v19 offset0:16 offset1:20
	;; [unrolled: 1-line block ×5, first 2 shown]
	ds_load_b32 v46, v19 offset:12288
	v_mov_b32_e32 v1, 0
	s_and_b32 vcc_lo, exec_lo, vcc_lo
	s_delay_alu instid0(VALU_DEP_1) | instskip(SKIP_3) | instid1(VALU_DEP_3)
	v_dual_mov_b32 v29, v1 :: v_dual_mov_b32 v55, v1
	v_dual_mov_b32 v41, v1 :: v_dual_mov_b32 v39, v1
	;; [unrolled: 1-line block ×3, first 2 shown]
	s_wait_kmcnt 0x0
	v_add_nc_u64_e32 v[2:3], s[18:19], v[54:55]
	v_dual_mov_b32 v33, v1 :: v_dual_mov_b32 v31, v1
	v_dual_mov_b32 v27, v1 :: v_dual_mov_b32 v25, v1
	;; [unrolled: 1-line block ×3, first 2 shown]
	v_mov_b32_e32 v19, v1
	s_cbranch_vccnz .LBB1080_125
; %bb.72:
	v_mov_b32_e32 v17, v1
	s_mov_b32 s11, 0
	v_sub_nc_u64_e64 v[42:43], v[2:3], s[12:13]
	s_sub_nc_u64 s[0:1], s[14:15], s[10:11]
	s_delay_alu instid0(VALU_DEP_2) | instid1(SALU_CYCLE_1)
	v_add_nc_u64_e32 v[44:45], s[0:1], v[16:17]
	s_mov_b32 s0, exec_lo
	s_delay_alu instid0(VALU_DEP_1)
	v_add_nc_u64_e32 v[42:43], v[44:45], v[42:43]
                                        ; implicit-def: $vgpr44_vgpr45
	v_cmpx_ge_u32_e64 v0, v16
	s_xor_b32 s0, exec_lo, s0
; %bb.73:
	v_not_b32_e32 v44, v0
	s_delay_alu instid0(VALU_DEP_1) | instskip(NEXT) | instid1(VALU_DEP_1)
	v_ashrrev_i32_e32 v45, 31, v44
	v_add_nc_u64_e32 v[44:45], v[42:43], v[44:45]
; %bb.74:
	s_and_not1_saveexec_b32 s0, s0
; %bb.75:
	v_add_nc_u64_e32 v[44:45], v[2:3], v[0:1]
; %bb.76:
	s_or_b32 exec_lo, exec_lo, s0
	s_delay_alu instid0(VALU_DEP_1)
	v_lshl_add_u64 v[44:45], v[44:45], 2, s[16:17]
	s_mov_b32 s0, exec_lo
	s_wait_dscnt 0x6
	global_store_b32 v[44:45], v14, off
                                        ; implicit-def: $vgpr44_vgpr45
	s_wait_xcnt 0x0
	v_cmpx_ge_u32_e64 v40, v16
	s_xor_b32 s0, exec_lo, s0
; %bb.77:
	v_xor_b32_e32 v44, 0xfffffeff, v0
	s_delay_alu instid0(VALU_DEP_1) | instskip(NEXT) | instid1(VALU_DEP_1)
	v_ashrrev_i32_e32 v45, 31, v44
	v_add_nc_u64_e32 v[44:45], v[42:43], v[44:45]
; %bb.78:
	s_and_not1_saveexec_b32 s0, s0
; %bb.79:
	v_add_nc_u64_e32 v[44:45], v[2:3], v[40:41]
; %bb.80:
	s_or_b32 exec_lo, exec_lo, s0
	s_delay_alu instid0(VALU_DEP_1)
	v_lshl_add_u64 v[44:45], v[44:45], 2, s[16:17]
	s_mov_b32 s0, exec_lo
	global_store_b32 v[44:45], v15, off
                                        ; implicit-def: $vgpr44_vgpr45
	s_wait_xcnt 0x0
	v_cmpx_ge_u32_e64 v38, v16
	s_xor_b32 s0, exec_lo, s0
; %bb.81:
	v_xor_b32_e32 v44, 0xfffffdff, v0
	s_delay_alu instid0(VALU_DEP_1) | instskip(NEXT) | instid1(VALU_DEP_1)
	v_ashrrev_i32_e32 v45, 31, v44
	v_add_nc_u64_e32 v[44:45], v[42:43], v[44:45]
; %bb.82:
	s_and_not1_saveexec_b32 s0, s0
; %bb.83:
	v_add_nc_u64_e32 v[44:45], v[2:3], v[38:39]
; %bb.84:
	s_or_b32 exec_lo, exec_lo, s0
	s_delay_alu instid0(VALU_DEP_1)
	v_lshl_add_u64 v[44:45], v[44:45], 2, s[16:17]
	s_mov_b32 s0, exec_lo
	s_wait_dscnt 0x5
	global_store_b32 v[44:45], v12, off
                                        ; implicit-def: $vgpr44_vgpr45
	s_wait_xcnt 0x0
	v_cmpx_ge_u32_e64 v36, v16
	s_xor_b32 s0, exec_lo, s0
; %bb.85:
	v_xor_b32_e32 v44, 0xfffffcff, v0
	s_delay_alu instid0(VALU_DEP_1) | instskip(NEXT) | instid1(VALU_DEP_1)
	v_ashrrev_i32_e32 v45, 31, v44
	v_add_nc_u64_e32 v[44:45], v[42:43], v[44:45]
; %bb.86:
	s_and_not1_saveexec_b32 s0, s0
; %bb.87:
	v_add_nc_u64_e32 v[44:45], v[2:3], v[36:37]
; %bb.88:
	s_or_b32 exec_lo, exec_lo, s0
	s_delay_alu instid0(VALU_DEP_1)
	v_lshl_add_u64 v[44:45], v[44:45], 2, s[16:17]
	s_mov_b32 s0, exec_lo
	global_store_b32 v[44:45], v13, off
                                        ; implicit-def: $vgpr44_vgpr45
	s_wait_xcnt 0x0
	v_cmpx_ge_u32_e64 v34, v16
	s_xor_b32 s0, exec_lo, s0
; %bb.89:
	v_xor_b32_e32 v44, 0xfffffbff, v0
	;; [unrolled: 39-line block ×6, first 2 shown]
	s_delay_alu instid0(VALU_DEP_1) | instskip(NEXT) | instid1(VALU_DEP_1)
	v_ashrrev_i32_e32 v45, 31, v44
	v_add_nc_u64_e32 v[44:45], v[42:43], v[44:45]
; %bb.122:
	s_and_not1_saveexec_b32 s0, s0
; %bb.123:
	v_add_nc_u64_e32 v[44:45], v[2:3], v[18:19]
; %bb.124:
	s_or_b32 exec_lo, exec_lo, s0
	s_mov_b32 s0, -1
	s_branch .LBB1080_205
.LBB1080_125:
	s_mov_b32 s0, 0
                                        ; implicit-def: $vgpr44_vgpr45
	s_cbranch_execz .LBB1080_205
; %bb.126:
	s_mov_b32 s11, 0
	v_mov_b32_e32 v17, 0
	s_add_nc_u64 s[2:3], s[12:13], s[10:11]
	s_mov_b32 s1, exec_lo
	s_sub_nc_u64 s[2:3], s[14:15], s[2:3]
	s_delay_alu instid0(VALU_DEP_1) | instid1(SALU_CYCLE_1)
	v_add_nc_u64_e32 v[42:43], s[2:3], v[16:17]
	s_delay_alu instid0(VALU_DEP_1)
	v_add_nc_u64_e32 v[42:43], v[42:43], v[2:3]
	v_cmpx_gt_u32_e64 s23, v0
	s_cbranch_execz .LBB1080_162
; %bb.127:
	s_mov_b32 s2, exec_lo
                                        ; implicit-def: $vgpr44_vgpr45
	v_cmpx_ge_u32_e64 v0, v16
	s_xor_b32 s2, exec_lo, s2
; %bb.128:
	v_not_b32_e32 v44, v0
	s_delay_alu instid0(VALU_DEP_1) | instskip(NEXT) | instid1(VALU_DEP_1)
	v_ashrrev_i32_e32 v45, 31, v44
	v_add_nc_u64_e32 v[44:45], v[42:43], v[44:45]
; %bb.129:
	s_and_not1_saveexec_b32 s2, s2
; %bb.130:
	v_add_nc_u64_e32 v[44:45], v[2:3], v[0:1]
; %bb.131:
	s_or_b32 exec_lo, exec_lo, s2
	s_delay_alu instid0(VALU_DEP_1) | instskip(SKIP_4) | instid1(SALU_CYCLE_1)
	v_lshl_add_u64 v[44:45], v[44:45], 2, s[16:17]
	s_wait_dscnt 0x6
	global_store_b32 v[44:45], v14, off
	s_wait_xcnt 0x0
	s_or_b32 exec_lo, exec_lo, s1
	s_mov_b32 s1, exec_lo
	v_cmpx_gt_u32_e64 s23, v40
	s_cbranch_execnz .LBB1080_163
.LBB1080_132:
	s_or_b32 exec_lo, exec_lo, s1
	s_delay_alu instid0(SALU_CYCLE_1)
	s_mov_b32 s1, exec_lo
	v_cmpx_gt_u32_e64 s23, v38
	s_cbranch_execz .LBB1080_168
.LBB1080_133:
	s_mov_b32 s2, exec_lo
                                        ; implicit-def: $vgpr14_vgpr15
	v_cmpx_ge_u32_e64 v38, v16
	s_xor_b32 s2, exec_lo, s2
	s_cbranch_execz .LBB1080_135
; %bb.134:
	s_wait_dscnt 0x6
	v_xor_b32_e32 v14, 0xfffffdff, v0
                                        ; implicit-def: $vgpr38_vgpr39
	s_delay_alu instid0(VALU_DEP_1) | instskip(NEXT) | instid1(VALU_DEP_1)
	v_ashrrev_i32_e32 v15, 31, v14
	v_add_nc_u64_e32 v[14:15], v[42:43], v[14:15]
.LBB1080_135:
	s_and_not1_saveexec_b32 s2, s2
	s_cbranch_execz .LBB1080_137
; %bb.136:
	s_wait_dscnt 0x6
	v_add_nc_u64_e32 v[14:15], v[2:3], v[38:39]
.LBB1080_137:
	s_or_b32 exec_lo, exec_lo, s2
	s_wait_dscnt 0x6
	s_delay_alu instid0(VALU_DEP_1) | instskip(SKIP_4) | instid1(SALU_CYCLE_1)
	v_lshl_add_u64 v[14:15], v[14:15], 2, s[16:17]
	s_wait_dscnt 0x5
	global_store_b32 v[14:15], v12, off
	s_wait_xcnt 0x0
	s_or_b32 exec_lo, exec_lo, s1
	s_mov_b32 s1, exec_lo
	v_cmpx_gt_u32_e64 s23, v36
	s_cbranch_execnz .LBB1080_169
.LBB1080_138:
	s_or_b32 exec_lo, exec_lo, s1
	s_delay_alu instid0(SALU_CYCLE_1)
	s_mov_b32 s1, exec_lo
	v_cmpx_gt_u32_e64 s23, v34
	s_cbranch_execz .LBB1080_174
.LBB1080_139:
	s_mov_b32 s2, exec_lo
                                        ; implicit-def: $vgpr12_vgpr13
	v_cmpx_ge_u32_e64 v34, v16
	s_xor_b32 s2, exec_lo, s2
	s_cbranch_execz .LBB1080_141
; %bb.140:
	s_wait_dscnt 0x5
	v_xor_b32_e32 v12, 0xfffffbff, v0
                                        ; implicit-def: $vgpr34_vgpr35
	s_delay_alu instid0(VALU_DEP_1) | instskip(NEXT) | instid1(VALU_DEP_1)
	v_ashrrev_i32_e32 v13, 31, v12
	v_add_nc_u64_e32 v[12:13], v[42:43], v[12:13]
.LBB1080_141:
	s_and_not1_saveexec_b32 s2, s2
	s_cbranch_execz .LBB1080_143
; %bb.142:
	s_wait_dscnt 0x5
	v_add_nc_u64_e32 v[12:13], v[2:3], v[34:35]
.LBB1080_143:
	s_or_b32 exec_lo, exec_lo, s2
	s_wait_dscnt 0x5
	s_delay_alu instid0(VALU_DEP_1) | instskip(SKIP_4) | instid1(SALU_CYCLE_1)
	v_lshl_add_u64 v[12:13], v[12:13], 2, s[16:17]
	s_wait_dscnt 0x4
	global_store_b32 v[12:13], v10, off
	s_wait_xcnt 0x0
	s_or_b32 exec_lo, exec_lo, s1
	s_mov_b32 s1, exec_lo
	v_cmpx_gt_u32_e64 s23, v32
	s_cbranch_execnz .LBB1080_175
.LBB1080_144:
	s_or_b32 exec_lo, exec_lo, s1
	s_delay_alu instid0(SALU_CYCLE_1)
	s_mov_b32 s1, exec_lo
	v_cmpx_gt_u32_e64 s23, v30
	s_cbranch_execz .LBB1080_180
.LBB1080_145:
	s_mov_b32 s2, exec_lo
                                        ; implicit-def: $vgpr10_vgpr11
	v_cmpx_ge_u32_e64 v30, v16
	s_xor_b32 s2, exec_lo, s2
	s_cbranch_execz .LBB1080_147
; %bb.146:
	s_wait_dscnt 0x4
	v_xor_b32_e32 v10, 0xfffff9ff, v0
                                        ; implicit-def: $vgpr30_vgpr31
	s_delay_alu instid0(VALU_DEP_1) | instskip(NEXT) | instid1(VALU_DEP_1)
	v_ashrrev_i32_e32 v11, 31, v10
	v_add_nc_u64_e32 v[10:11], v[42:43], v[10:11]
.LBB1080_147:
	s_and_not1_saveexec_b32 s2, s2
	s_cbranch_execz .LBB1080_149
; %bb.148:
	s_wait_dscnt 0x4
	v_add_nc_u64_e32 v[10:11], v[2:3], v[30:31]
.LBB1080_149:
	s_or_b32 exec_lo, exec_lo, s2
	s_wait_dscnt 0x4
	s_delay_alu instid0(VALU_DEP_1) | instskip(SKIP_4) | instid1(SALU_CYCLE_1)
	v_lshl_add_u64 v[10:11], v[10:11], 2, s[16:17]
	s_wait_dscnt 0x3
	global_store_b32 v[10:11], v8, off
	s_wait_xcnt 0x0
	s_or_b32 exec_lo, exec_lo, s1
	s_mov_b32 s1, exec_lo
	v_cmpx_gt_u32_e64 s23, v28
	s_cbranch_execnz .LBB1080_181
.LBB1080_150:
	s_or_b32 exec_lo, exec_lo, s1
	s_delay_alu instid0(SALU_CYCLE_1)
	s_mov_b32 s1, exec_lo
	v_cmpx_gt_u32_e64 s23, v26
	s_cbranch_execz .LBB1080_186
.LBB1080_151:
	s_mov_b32 s2, exec_lo
                                        ; implicit-def: $vgpr8_vgpr9
	v_cmpx_ge_u32_e64 v26, v16
	s_xor_b32 s2, exec_lo, s2
	s_cbranch_execz .LBB1080_153
; %bb.152:
	s_wait_dscnt 0x3
	v_xor_b32_e32 v8, 0xfffff7ff, v0
                                        ; implicit-def: $vgpr26_vgpr27
	s_delay_alu instid0(VALU_DEP_1) | instskip(NEXT) | instid1(VALU_DEP_1)
	v_ashrrev_i32_e32 v9, 31, v8
	v_add_nc_u64_e32 v[8:9], v[42:43], v[8:9]
.LBB1080_153:
	s_and_not1_saveexec_b32 s2, s2
	s_cbranch_execz .LBB1080_155
; %bb.154:
	s_wait_dscnt 0x3
	v_add_nc_u64_e32 v[8:9], v[2:3], v[26:27]
.LBB1080_155:
	s_or_b32 exec_lo, exec_lo, s2
	s_wait_dscnt 0x3
	s_delay_alu instid0(VALU_DEP_1) | instskip(SKIP_4) | instid1(SALU_CYCLE_1)
	v_lshl_add_u64 v[8:9], v[8:9], 2, s[16:17]
	s_wait_dscnt 0x2
	global_store_b32 v[8:9], v6, off
	s_wait_xcnt 0x0
	s_or_b32 exec_lo, exec_lo, s1
	s_mov_b32 s1, exec_lo
	v_cmpx_gt_u32_e64 s23, v24
	s_cbranch_execnz .LBB1080_187
.LBB1080_156:
	s_or_b32 exec_lo, exec_lo, s1
	s_delay_alu instid0(SALU_CYCLE_1)
	s_mov_b32 s1, exec_lo
	v_cmpx_gt_u32_e64 s23, v22
	s_cbranch_execz .LBB1080_192
.LBB1080_157:
	s_mov_b32 s2, exec_lo
                                        ; implicit-def: $vgpr6_vgpr7
	v_cmpx_ge_u32_e64 v22, v16
	s_xor_b32 s2, exec_lo, s2
	s_cbranch_execz .LBB1080_159
; %bb.158:
	s_wait_dscnt 0x2
	v_xor_b32_e32 v6, 0xfffff5ff, v0
                                        ; implicit-def: $vgpr22_vgpr23
	s_delay_alu instid0(VALU_DEP_1) | instskip(NEXT) | instid1(VALU_DEP_1)
	v_ashrrev_i32_e32 v7, 31, v6
	v_add_nc_u64_e32 v[6:7], v[42:43], v[6:7]
.LBB1080_159:
	s_and_not1_saveexec_b32 s2, s2
	s_cbranch_execz .LBB1080_161
; %bb.160:
	s_wait_dscnt 0x2
	v_add_nc_u64_e32 v[6:7], v[2:3], v[22:23]
.LBB1080_161:
	s_or_b32 exec_lo, exec_lo, s2
	s_wait_dscnt 0x2
	s_delay_alu instid0(VALU_DEP_1) | instskip(SKIP_4) | instid1(SALU_CYCLE_1)
	v_lshl_add_u64 v[6:7], v[6:7], 2, s[16:17]
	s_wait_dscnt 0x1
	global_store_b32 v[6:7], v4, off
	s_wait_xcnt 0x0
	s_or_b32 exec_lo, exec_lo, s1
	s_mov_b32 s1, exec_lo
	v_cmpx_gt_u32_e64 s23, v20
	s_cbranch_execz .LBB1080_198
	s_branch .LBB1080_193
.LBB1080_162:
	s_or_b32 exec_lo, exec_lo, s1
	s_delay_alu instid0(SALU_CYCLE_1)
	s_mov_b32 s1, exec_lo
	v_cmpx_gt_u32_e64 s23, v40
	s_cbranch_execz .LBB1080_132
.LBB1080_163:
	s_mov_b32 s2, exec_lo
                                        ; implicit-def: $vgpr44_vgpr45
	v_cmpx_ge_u32_e64 v40, v16
	s_xor_b32 s2, exec_lo, s2
; %bb.164:
	v_xor_b32_e32 v40, 0xfffffeff, v0
	s_delay_alu instid0(VALU_DEP_1) | instskip(NEXT) | instid1(VALU_DEP_1)
	v_ashrrev_i32_e32 v41, 31, v40
	v_add_nc_u64_e32 v[44:45], v[42:43], v[40:41]
                                        ; implicit-def: $vgpr40_vgpr41
; %bb.165:
	s_and_not1_saveexec_b32 s2, s2
; %bb.166:
	v_add_nc_u64_e32 v[44:45], v[2:3], v[40:41]
; %bb.167:
	s_or_b32 exec_lo, exec_lo, s2
	s_delay_alu instid0(VALU_DEP_1) | instskip(SKIP_4) | instid1(SALU_CYCLE_1)
	v_lshl_add_u64 v[40:41], v[44:45], 2, s[16:17]
	s_wait_dscnt 0x6
	global_store_b32 v[40:41], v15, off
	s_wait_xcnt 0x0
	s_or_b32 exec_lo, exec_lo, s1
	s_mov_b32 s1, exec_lo
	v_cmpx_gt_u32_e64 s23, v38
	s_cbranch_execnz .LBB1080_133
.LBB1080_168:
	s_or_b32 exec_lo, exec_lo, s1
	s_delay_alu instid0(SALU_CYCLE_1)
	s_mov_b32 s1, exec_lo
	v_cmpx_gt_u32_e64 s23, v36
	s_cbranch_execz .LBB1080_138
.LBB1080_169:
	s_mov_b32 s2, exec_lo
                                        ; implicit-def: $vgpr14_vgpr15
	v_cmpx_ge_u32_e64 v36, v16
	s_xor_b32 s2, exec_lo, s2
	s_cbranch_execz .LBB1080_171
; %bb.170:
	s_wait_dscnt 0x6
	v_xor_b32_e32 v14, 0xfffffcff, v0
                                        ; implicit-def: $vgpr36_vgpr37
	s_delay_alu instid0(VALU_DEP_1) | instskip(NEXT) | instid1(VALU_DEP_1)
	v_ashrrev_i32_e32 v15, 31, v14
	v_add_nc_u64_e32 v[14:15], v[42:43], v[14:15]
.LBB1080_171:
	s_and_not1_saveexec_b32 s2, s2
	s_cbranch_execz .LBB1080_173
; %bb.172:
	s_wait_dscnt 0x6
	v_add_nc_u64_e32 v[14:15], v[2:3], v[36:37]
.LBB1080_173:
	s_or_b32 exec_lo, exec_lo, s2
	s_wait_dscnt 0x6
	s_delay_alu instid0(VALU_DEP_1) | instskip(SKIP_4) | instid1(SALU_CYCLE_1)
	v_lshl_add_u64 v[14:15], v[14:15], 2, s[16:17]
	s_wait_dscnt 0x5
	global_store_b32 v[14:15], v13, off
	s_wait_xcnt 0x0
	s_or_b32 exec_lo, exec_lo, s1
	s_mov_b32 s1, exec_lo
	v_cmpx_gt_u32_e64 s23, v34
	s_cbranch_execnz .LBB1080_139
.LBB1080_174:
	s_or_b32 exec_lo, exec_lo, s1
	s_delay_alu instid0(SALU_CYCLE_1)
	s_mov_b32 s1, exec_lo
	v_cmpx_gt_u32_e64 s23, v32
	s_cbranch_execz .LBB1080_144
.LBB1080_175:
	s_mov_b32 s2, exec_lo
                                        ; implicit-def: $vgpr12_vgpr13
	v_cmpx_ge_u32_e64 v32, v16
	s_xor_b32 s2, exec_lo, s2
	s_cbranch_execz .LBB1080_177
; %bb.176:
	s_wait_dscnt 0x5
	v_xor_b32_e32 v12, 0xfffffaff, v0
                                        ; implicit-def: $vgpr32_vgpr33
	s_delay_alu instid0(VALU_DEP_1) | instskip(NEXT) | instid1(VALU_DEP_1)
	v_ashrrev_i32_e32 v13, 31, v12
	v_add_nc_u64_e32 v[12:13], v[42:43], v[12:13]
.LBB1080_177:
	s_and_not1_saveexec_b32 s2, s2
	s_cbranch_execz .LBB1080_179
; %bb.178:
	s_wait_dscnt 0x5
	v_add_nc_u64_e32 v[12:13], v[2:3], v[32:33]
.LBB1080_179:
	s_or_b32 exec_lo, exec_lo, s2
	s_wait_dscnt 0x5
	s_delay_alu instid0(VALU_DEP_1) | instskip(SKIP_4) | instid1(SALU_CYCLE_1)
	v_lshl_add_u64 v[12:13], v[12:13], 2, s[16:17]
	s_wait_dscnt 0x4
	global_store_b32 v[12:13], v11, off
	s_wait_xcnt 0x0
	s_or_b32 exec_lo, exec_lo, s1
	s_mov_b32 s1, exec_lo
	v_cmpx_gt_u32_e64 s23, v30
	s_cbranch_execnz .LBB1080_145
.LBB1080_180:
	s_or_b32 exec_lo, exec_lo, s1
	s_delay_alu instid0(SALU_CYCLE_1)
	s_mov_b32 s1, exec_lo
	v_cmpx_gt_u32_e64 s23, v28
	s_cbranch_execz .LBB1080_150
.LBB1080_181:
	s_mov_b32 s2, exec_lo
                                        ; implicit-def: $vgpr10_vgpr11
	v_cmpx_ge_u32_e64 v28, v16
	s_xor_b32 s2, exec_lo, s2
	s_cbranch_execz .LBB1080_183
; %bb.182:
	s_wait_dscnt 0x4
	v_xor_b32_e32 v10, 0xfffff8ff, v0
                                        ; implicit-def: $vgpr28_vgpr29
	s_delay_alu instid0(VALU_DEP_1) | instskip(NEXT) | instid1(VALU_DEP_1)
	v_ashrrev_i32_e32 v11, 31, v10
	v_add_nc_u64_e32 v[10:11], v[42:43], v[10:11]
.LBB1080_183:
	s_and_not1_saveexec_b32 s2, s2
	s_cbranch_execz .LBB1080_185
; %bb.184:
	s_wait_dscnt 0x4
	v_add_nc_u64_e32 v[10:11], v[2:3], v[28:29]
.LBB1080_185:
	s_or_b32 exec_lo, exec_lo, s2
	s_wait_dscnt 0x4
	s_delay_alu instid0(VALU_DEP_1) | instskip(SKIP_4) | instid1(SALU_CYCLE_1)
	v_lshl_add_u64 v[10:11], v[10:11], 2, s[16:17]
	s_wait_dscnt 0x3
	global_store_b32 v[10:11], v9, off
	s_wait_xcnt 0x0
	s_or_b32 exec_lo, exec_lo, s1
	s_mov_b32 s1, exec_lo
	v_cmpx_gt_u32_e64 s23, v26
	s_cbranch_execnz .LBB1080_151
.LBB1080_186:
	s_or_b32 exec_lo, exec_lo, s1
	s_delay_alu instid0(SALU_CYCLE_1)
	s_mov_b32 s1, exec_lo
	v_cmpx_gt_u32_e64 s23, v24
	s_cbranch_execz .LBB1080_156
.LBB1080_187:
	s_mov_b32 s2, exec_lo
                                        ; implicit-def: $vgpr8_vgpr9
	v_cmpx_ge_u32_e64 v24, v16
	s_xor_b32 s2, exec_lo, s2
	s_cbranch_execz .LBB1080_189
; %bb.188:
	s_wait_dscnt 0x3
	v_xor_b32_e32 v8, 0xfffff6ff, v0
                                        ; implicit-def: $vgpr24_vgpr25
	s_delay_alu instid0(VALU_DEP_1) | instskip(NEXT) | instid1(VALU_DEP_1)
	v_ashrrev_i32_e32 v9, 31, v8
	v_add_nc_u64_e32 v[8:9], v[42:43], v[8:9]
.LBB1080_189:
	s_and_not1_saveexec_b32 s2, s2
	s_cbranch_execz .LBB1080_191
; %bb.190:
	s_wait_dscnt 0x3
	v_add_nc_u64_e32 v[8:9], v[2:3], v[24:25]
.LBB1080_191:
	s_or_b32 exec_lo, exec_lo, s2
	s_wait_dscnt 0x3
	s_delay_alu instid0(VALU_DEP_1) | instskip(SKIP_4) | instid1(SALU_CYCLE_1)
	v_lshl_add_u64 v[8:9], v[8:9], 2, s[16:17]
	s_wait_dscnt 0x2
	global_store_b32 v[8:9], v7, off
	s_wait_xcnt 0x0
	s_or_b32 exec_lo, exec_lo, s1
	s_mov_b32 s1, exec_lo
	v_cmpx_gt_u32_e64 s23, v22
	s_cbranch_execnz .LBB1080_157
.LBB1080_192:
	s_or_b32 exec_lo, exec_lo, s1
	s_delay_alu instid0(SALU_CYCLE_1)
	s_mov_b32 s1, exec_lo
	v_cmpx_gt_u32_e64 s23, v20
	s_cbranch_execz .LBB1080_198
.LBB1080_193:
	s_mov_b32 s2, exec_lo
                                        ; implicit-def: $vgpr6_vgpr7
	v_cmpx_ge_u32_e64 v20, v16
	s_xor_b32 s2, exec_lo, s2
	s_cbranch_execz .LBB1080_195
; %bb.194:
	s_wait_dscnt 0x2
	v_xor_b32_e32 v6, 0xfffff4ff, v0
                                        ; implicit-def: $vgpr20_vgpr21
	s_delay_alu instid0(VALU_DEP_1) | instskip(NEXT) | instid1(VALU_DEP_1)
	v_ashrrev_i32_e32 v7, 31, v6
	v_add_nc_u64_e32 v[6:7], v[42:43], v[6:7]
.LBB1080_195:
	s_and_not1_saveexec_b32 s2, s2
	s_cbranch_execz .LBB1080_197
; %bb.196:
	s_wait_dscnt 0x2
	v_add_nc_u64_e32 v[6:7], v[2:3], v[20:21]
.LBB1080_197:
	s_or_b32 exec_lo, exec_lo, s2
	s_wait_dscnt 0x2
	s_delay_alu instid0(VALU_DEP_1)
	v_lshl_add_u64 v[6:7], v[6:7], 2, s[16:17]
	s_wait_dscnt 0x1
	global_store_b32 v[6:7], v5, off
.LBB1080_198:
	s_wait_xcnt 0x0
	s_or_b32 exec_lo, exec_lo, s1
	s_delay_alu instid0(SALU_CYCLE_1)
	s_mov_b32 s1, exec_lo
                                        ; implicit-def: $vgpr44_vgpr45
	v_cmpx_gt_u32_e64 s23, v18
	s_cbranch_execz .LBB1080_204
; %bb.199:
	s_mov_b32 s2, exec_lo
                                        ; implicit-def: $vgpr44_vgpr45
	v_cmpx_ge_u32_e64 v18, v16
	s_xor_b32 s2, exec_lo, s2
	s_cbranch_execz .LBB1080_201
; %bb.200:
	s_wait_dscnt 0x1
	v_xor_b32_e32 v4, 0xfffff3ff, v0
                                        ; implicit-def: $vgpr18_vgpr19
	s_delay_alu instid0(VALU_DEP_1) | instskip(NEXT) | instid1(VALU_DEP_1)
	v_ashrrev_i32_e32 v5, 31, v4
	v_add_nc_u64_e32 v[44:45], v[42:43], v[4:5]
.LBB1080_201:
	s_and_not1_saveexec_b32 s2, s2
; %bb.202:
	v_add_nc_u64_e32 v[44:45], v[2:3], v[18:19]
; %bb.203:
	s_or_b32 exec_lo, exec_lo, s2
	s_delay_alu instid0(SALU_CYCLE_1)
	s_or_b32 s0, s0, exec_lo
.LBB1080_204:
	s_or_b32 exec_lo, exec_lo, s1
.LBB1080_205:
	s_and_saveexec_b32 s1, s0
	s_cbranch_execz .LBB1080_207
; %bb.206:
	s_wait_dscnt 0x1
	v_lshl_add_u64 v[4:5], v[44:45], 2, s[16:17]
	s_wait_dscnt 0x0
	global_store_b32 v[4:5], v46, off
.LBB1080_207:
	s_wait_xcnt 0x0
	s_or_b32 exec_lo, exec_lo, s1
	v_cmp_eq_u32_e32 vcc_lo, 0, v0
	s_and_b32 s0, vcc_lo, s22
	s_delay_alu instid0(SALU_CYCLE_1)
	s_and_saveexec_b32 s1, s0
	s_cbranch_execz .LBB1080_209
; %bb.208:
	v_mov_b32_e32 v17, 0
	s_delay_alu instid0(VALU_DEP_1)
	v_add_nc_u64_e32 v[0:1], v[2:3], v[16:17]
	global_store_b64 v17, v[0:1], s[8:9]
.LBB1080_209:
	s_sendmsg sendmsg(MSG_DEALLOC_VGPRS)
	s_endpgm
	.section	.rodata,"a",@progbits
	.p2align	6, 0x0
	.amdhsa_kernel _ZN7rocprim17ROCPRIM_400000_NS6detail17trampoline_kernelINS0_13select_configILj256ELj13ELNS0_17block_load_methodE3ELS4_3ELS4_3ELNS0_20block_scan_algorithmE0ELj4294967295EEENS1_25partition_config_selectorILNS1_17partition_subalgoE3EjNS0_10empty_typeEbEEZZNS1_14partition_implILS8_3ELb0ES6_jNS0_17counting_iteratorIjlEEPS9_SE_NS0_5tupleIJPjSE_EEENSF_IJSE_SE_EEES9_SG_JZNS1_25segmented_radix_sort_implINS0_14default_configELb1EPKdPdPKlPlN2at6native12_GLOBAL__N_18offset_tEEE10hipError_tPvRmT1_PNSt15iterator_traitsISY_E10value_typeET2_T3_PNSZ_IS14_E10value_typeET4_jRbjT5_S1A_jjP12ihipStream_tbEUljE_EEESV_SW_SX_S14_S18_S1A_T6_T7_T9_mT8_S1C_bDpT10_ENKUlT_T0_E_clISt17integral_constantIbLb0EES1P_EEDaS1K_S1L_EUlS1K_E_NS1_11comp_targetILNS1_3genE0ELNS1_11target_archE4294967295ELNS1_3gpuE0ELNS1_3repE0EEENS1_30default_config_static_selectorELNS0_4arch9wavefront6targetE0EEEvSY_
		.amdhsa_group_segment_fixed_size 13320
		.amdhsa_private_segment_fixed_size 0
		.amdhsa_kernarg_size 144
		.amdhsa_user_sgpr_count 2
		.amdhsa_user_sgpr_dispatch_ptr 0
		.amdhsa_user_sgpr_queue_ptr 0
		.amdhsa_user_sgpr_kernarg_segment_ptr 1
		.amdhsa_user_sgpr_dispatch_id 0
		.amdhsa_user_sgpr_kernarg_preload_length 0
		.amdhsa_user_sgpr_kernarg_preload_offset 0
		.amdhsa_user_sgpr_private_segment_size 0
		.amdhsa_wavefront_size32 1
		.amdhsa_uses_dynamic_stack 0
		.amdhsa_enable_private_segment 0
		.amdhsa_system_sgpr_workgroup_id_x 1
		.amdhsa_system_sgpr_workgroup_id_y 0
		.amdhsa_system_sgpr_workgroup_id_z 0
		.amdhsa_system_sgpr_workgroup_info 0
		.amdhsa_system_vgpr_workitem_id 0
		.amdhsa_next_free_vgpr 69
		.amdhsa_next_free_sgpr 26
		.amdhsa_named_barrier_count 0
		.amdhsa_reserve_vcc 1
		.amdhsa_float_round_mode_32 0
		.amdhsa_float_round_mode_16_64 0
		.amdhsa_float_denorm_mode_32 3
		.amdhsa_float_denorm_mode_16_64 3
		.amdhsa_fp16_overflow 0
		.amdhsa_memory_ordered 1
		.amdhsa_forward_progress 1
		.amdhsa_inst_pref_size 70
		.amdhsa_round_robin_scheduling 0
		.amdhsa_exception_fp_ieee_invalid_op 0
		.amdhsa_exception_fp_denorm_src 0
		.amdhsa_exception_fp_ieee_div_zero 0
		.amdhsa_exception_fp_ieee_overflow 0
		.amdhsa_exception_fp_ieee_underflow 0
		.amdhsa_exception_fp_ieee_inexact 0
		.amdhsa_exception_int_div_zero 0
	.end_amdhsa_kernel
	.section	.text._ZN7rocprim17ROCPRIM_400000_NS6detail17trampoline_kernelINS0_13select_configILj256ELj13ELNS0_17block_load_methodE3ELS4_3ELS4_3ELNS0_20block_scan_algorithmE0ELj4294967295EEENS1_25partition_config_selectorILNS1_17partition_subalgoE3EjNS0_10empty_typeEbEEZZNS1_14partition_implILS8_3ELb0ES6_jNS0_17counting_iteratorIjlEEPS9_SE_NS0_5tupleIJPjSE_EEENSF_IJSE_SE_EEES9_SG_JZNS1_25segmented_radix_sort_implINS0_14default_configELb1EPKdPdPKlPlN2at6native12_GLOBAL__N_18offset_tEEE10hipError_tPvRmT1_PNSt15iterator_traitsISY_E10value_typeET2_T3_PNSZ_IS14_E10value_typeET4_jRbjT5_S1A_jjP12ihipStream_tbEUljE_EEESV_SW_SX_S14_S18_S1A_T6_T7_T9_mT8_S1C_bDpT10_ENKUlT_T0_E_clISt17integral_constantIbLb0EES1P_EEDaS1K_S1L_EUlS1K_E_NS1_11comp_targetILNS1_3genE0ELNS1_11target_archE4294967295ELNS1_3gpuE0ELNS1_3repE0EEENS1_30default_config_static_selectorELNS0_4arch9wavefront6targetE0EEEvSY_,"axG",@progbits,_ZN7rocprim17ROCPRIM_400000_NS6detail17trampoline_kernelINS0_13select_configILj256ELj13ELNS0_17block_load_methodE3ELS4_3ELS4_3ELNS0_20block_scan_algorithmE0ELj4294967295EEENS1_25partition_config_selectorILNS1_17partition_subalgoE3EjNS0_10empty_typeEbEEZZNS1_14partition_implILS8_3ELb0ES6_jNS0_17counting_iteratorIjlEEPS9_SE_NS0_5tupleIJPjSE_EEENSF_IJSE_SE_EEES9_SG_JZNS1_25segmented_radix_sort_implINS0_14default_configELb1EPKdPdPKlPlN2at6native12_GLOBAL__N_18offset_tEEE10hipError_tPvRmT1_PNSt15iterator_traitsISY_E10value_typeET2_T3_PNSZ_IS14_E10value_typeET4_jRbjT5_S1A_jjP12ihipStream_tbEUljE_EEESV_SW_SX_S14_S18_S1A_T6_T7_T9_mT8_S1C_bDpT10_ENKUlT_T0_E_clISt17integral_constantIbLb0EES1P_EEDaS1K_S1L_EUlS1K_E_NS1_11comp_targetILNS1_3genE0ELNS1_11target_archE4294967295ELNS1_3gpuE0ELNS1_3repE0EEENS1_30default_config_static_selectorELNS0_4arch9wavefront6targetE0EEEvSY_,comdat
.Lfunc_end1080:
	.size	_ZN7rocprim17ROCPRIM_400000_NS6detail17trampoline_kernelINS0_13select_configILj256ELj13ELNS0_17block_load_methodE3ELS4_3ELS4_3ELNS0_20block_scan_algorithmE0ELj4294967295EEENS1_25partition_config_selectorILNS1_17partition_subalgoE3EjNS0_10empty_typeEbEEZZNS1_14partition_implILS8_3ELb0ES6_jNS0_17counting_iteratorIjlEEPS9_SE_NS0_5tupleIJPjSE_EEENSF_IJSE_SE_EEES9_SG_JZNS1_25segmented_radix_sort_implINS0_14default_configELb1EPKdPdPKlPlN2at6native12_GLOBAL__N_18offset_tEEE10hipError_tPvRmT1_PNSt15iterator_traitsISY_E10value_typeET2_T3_PNSZ_IS14_E10value_typeET4_jRbjT5_S1A_jjP12ihipStream_tbEUljE_EEESV_SW_SX_S14_S18_S1A_T6_T7_T9_mT8_S1C_bDpT10_ENKUlT_T0_E_clISt17integral_constantIbLb0EES1P_EEDaS1K_S1L_EUlS1K_E_NS1_11comp_targetILNS1_3genE0ELNS1_11target_archE4294967295ELNS1_3gpuE0ELNS1_3repE0EEENS1_30default_config_static_selectorELNS0_4arch9wavefront6targetE0EEEvSY_, .Lfunc_end1080-_ZN7rocprim17ROCPRIM_400000_NS6detail17trampoline_kernelINS0_13select_configILj256ELj13ELNS0_17block_load_methodE3ELS4_3ELS4_3ELNS0_20block_scan_algorithmE0ELj4294967295EEENS1_25partition_config_selectorILNS1_17partition_subalgoE3EjNS0_10empty_typeEbEEZZNS1_14partition_implILS8_3ELb0ES6_jNS0_17counting_iteratorIjlEEPS9_SE_NS0_5tupleIJPjSE_EEENSF_IJSE_SE_EEES9_SG_JZNS1_25segmented_radix_sort_implINS0_14default_configELb1EPKdPdPKlPlN2at6native12_GLOBAL__N_18offset_tEEE10hipError_tPvRmT1_PNSt15iterator_traitsISY_E10value_typeET2_T3_PNSZ_IS14_E10value_typeET4_jRbjT5_S1A_jjP12ihipStream_tbEUljE_EEESV_SW_SX_S14_S18_S1A_T6_T7_T9_mT8_S1C_bDpT10_ENKUlT_T0_E_clISt17integral_constantIbLb0EES1P_EEDaS1K_S1L_EUlS1K_E_NS1_11comp_targetILNS1_3genE0ELNS1_11target_archE4294967295ELNS1_3gpuE0ELNS1_3repE0EEENS1_30default_config_static_selectorELNS0_4arch9wavefront6targetE0EEEvSY_
                                        ; -- End function
	.set _ZN7rocprim17ROCPRIM_400000_NS6detail17trampoline_kernelINS0_13select_configILj256ELj13ELNS0_17block_load_methodE3ELS4_3ELS4_3ELNS0_20block_scan_algorithmE0ELj4294967295EEENS1_25partition_config_selectorILNS1_17partition_subalgoE3EjNS0_10empty_typeEbEEZZNS1_14partition_implILS8_3ELb0ES6_jNS0_17counting_iteratorIjlEEPS9_SE_NS0_5tupleIJPjSE_EEENSF_IJSE_SE_EEES9_SG_JZNS1_25segmented_radix_sort_implINS0_14default_configELb1EPKdPdPKlPlN2at6native12_GLOBAL__N_18offset_tEEE10hipError_tPvRmT1_PNSt15iterator_traitsISY_E10value_typeET2_T3_PNSZ_IS14_E10value_typeET4_jRbjT5_S1A_jjP12ihipStream_tbEUljE_EEESV_SW_SX_S14_S18_S1A_T6_T7_T9_mT8_S1C_bDpT10_ENKUlT_T0_E_clISt17integral_constantIbLb0EES1P_EEDaS1K_S1L_EUlS1K_E_NS1_11comp_targetILNS1_3genE0ELNS1_11target_archE4294967295ELNS1_3gpuE0ELNS1_3repE0EEENS1_30default_config_static_selectorELNS0_4arch9wavefront6targetE0EEEvSY_.num_vgpr, 69
	.set _ZN7rocprim17ROCPRIM_400000_NS6detail17trampoline_kernelINS0_13select_configILj256ELj13ELNS0_17block_load_methodE3ELS4_3ELS4_3ELNS0_20block_scan_algorithmE0ELj4294967295EEENS1_25partition_config_selectorILNS1_17partition_subalgoE3EjNS0_10empty_typeEbEEZZNS1_14partition_implILS8_3ELb0ES6_jNS0_17counting_iteratorIjlEEPS9_SE_NS0_5tupleIJPjSE_EEENSF_IJSE_SE_EEES9_SG_JZNS1_25segmented_radix_sort_implINS0_14default_configELb1EPKdPdPKlPlN2at6native12_GLOBAL__N_18offset_tEEE10hipError_tPvRmT1_PNSt15iterator_traitsISY_E10value_typeET2_T3_PNSZ_IS14_E10value_typeET4_jRbjT5_S1A_jjP12ihipStream_tbEUljE_EEESV_SW_SX_S14_S18_S1A_T6_T7_T9_mT8_S1C_bDpT10_ENKUlT_T0_E_clISt17integral_constantIbLb0EES1P_EEDaS1K_S1L_EUlS1K_E_NS1_11comp_targetILNS1_3genE0ELNS1_11target_archE4294967295ELNS1_3gpuE0ELNS1_3repE0EEENS1_30default_config_static_selectorELNS0_4arch9wavefront6targetE0EEEvSY_.num_agpr, 0
	.set _ZN7rocprim17ROCPRIM_400000_NS6detail17trampoline_kernelINS0_13select_configILj256ELj13ELNS0_17block_load_methodE3ELS4_3ELS4_3ELNS0_20block_scan_algorithmE0ELj4294967295EEENS1_25partition_config_selectorILNS1_17partition_subalgoE3EjNS0_10empty_typeEbEEZZNS1_14partition_implILS8_3ELb0ES6_jNS0_17counting_iteratorIjlEEPS9_SE_NS0_5tupleIJPjSE_EEENSF_IJSE_SE_EEES9_SG_JZNS1_25segmented_radix_sort_implINS0_14default_configELb1EPKdPdPKlPlN2at6native12_GLOBAL__N_18offset_tEEE10hipError_tPvRmT1_PNSt15iterator_traitsISY_E10value_typeET2_T3_PNSZ_IS14_E10value_typeET4_jRbjT5_S1A_jjP12ihipStream_tbEUljE_EEESV_SW_SX_S14_S18_S1A_T6_T7_T9_mT8_S1C_bDpT10_ENKUlT_T0_E_clISt17integral_constantIbLb0EES1P_EEDaS1K_S1L_EUlS1K_E_NS1_11comp_targetILNS1_3genE0ELNS1_11target_archE4294967295ELNS1_3gpuE0ELNS1_3repE0EEENS1_30default_config_static_selectorELNS0_4arch9wavefront6targetE0EEEvSY_.numbered_sgpr, 26
	.set _ZN7rocprim17ROCPRIM_400000_NS6detail17trampoline_kernelINS0_13select_configILj256ELj13ELNS0_17block_load_methodE3ELS4_3ELS4_3ELNS0_20block_scan_algorithmE0ELj4294967295EEENS1_25partition_config_selectorILNS1_17partition_subalgoE3EjNS0_10empty_typeEbEEZZNS1_14partition_implILS8_3ELb0ES6_jNS0_17counting_iteratorIjlEEPS9_SE_NS0_5tupleIJPjSE_EEENSF_IJSE_SE_EEES9_SG_JZNS1_25segmented_radix_sort_implINS0_14default_configELb1EPKdPdPKlPlN2at6native12_GLOBAL__N_18offset_tEEE10hipError_tPvRmT1_PNSt15iterator_traitsISY_E10value_typeET2_T3_PNSZ_IS14_E10value_typeET4_jRbjT5_S1A_jjP12ihipStream_tbEUljE_EEESV_SW_SX_S14_S18_S1A_T6_T7_T9_mT8_S1C_bDpT10_ENKUlT_T0_E_clISt17integral_constantIbLb0EES1P_EEDaS1K_S1L_EUlS1K_E_NS1_11comp_targetILNS1_3genE0ELNS1_11target_archE4294967295ELNS1_3gpuE0ELNS1_3repE0EEENS1_30default_config_static_selectorELNS0_4arch9wavefront6targetE0EEEvSY_.num_named_barrier, 0
	.set _ZN7rocprim17ROCPRIM_400000_NS6detail17trampoline_kernelINS0_13select_configILj256ELj13ELNS0_17block_load_methodE3ELS4_3ELS4_3ELNS0_20block_scan_algorithmE0ELj4294967295EEENS1_25partition_config_selectorILNS1_17partition_subalgoE3EjNS0_10empty_typeEbEEZZNS1_14partition_implILS8_3ELb0ES6_jNS0_17counting_iteratorIjlEEPS9_SE_NS0_5tupleIJPjSE_EEENSF_IJSE_SE_EEES9_SG_JZNS1_25segmented_radix_sort_implINS0_14default_configELb1EPKdPdPKlPlN2at6native12_GLOBAL__N_18offset_tEEE10hipError_tPvRmT1_PNSt15iterator_traitsISY_E10value_typeET2_T3_PNSZ_IS14_E10value_typeET4_jRbjT5_S1A_jjP12ihipStream_tbEUljE_EEESV_SW_SX_S14_S18_S1A_T6_T7_T9_mT8_S1C_bDpT10_ENKUlT_T0_E_clISt17integral_constantIbLb0EES1P_EEDaS1K_S1L_EUlS1K_E_NS1_11comp_targetILNS1_3genE0ELNS1_11target_archE4294967295ELNS1_3gpuE0ELNS1_3repE0EEENS1_30default_config_static_selectorELNS0_4arch9wavefront6targetE0EEEvSY_.private_seg_size, 0
	.set _ZN7rocprim17ROCPRIM_400000_NS6detail17trampoline_kernelINS0_13select_configILj256ELj13ELNS0_17block_load_methodE3ELS4_3ELS4_3ELNS0_20block_scan_algorithmE0ELj4294967295EEENS1_25partition_config_selectorILNS1_17partition_subalgoE3EjNS0_10empty_typeEbEEZZNS1_14partition_implILS8_3ELb0ES6_jNS0_17counting_iteratorIjlEEPS9_SE_NS0_5tupleIJPjSE_EEENSF_IJSE_SE_EEES9_SG_JZNS1_25segmented_radix_sort_implINS0_14default_configELb1EPKdPdPKlPlN2at6native12_GLOBAL__N_18offset_tEEE10hipError_tPvRmT1_PNSt15iterator_traitsISY_E10value_typeET2_T3_PNSZ_IS14_E10value_typeET4_jRbjT5_S1A_jjP12ihipStream_tbEUljE_EEESV_SW_SX_S14_S18_S1A_T6_T7_T9_mT8_S1C_bDpT10_ENKUlT_T0_E_clISt17integral_constantIbLb0EES1P_EEDaS1K_S1L_EUlS1K_E_NS1_11comp_targetILNS1_3genE0ELNS1_11target_archE4294967295ELNS1_3gpuE0ELNS1_3repE0EEENS1_30default_config_static_selectorELNS0_4arch9wavefront6targetE0EEEvSY_.uses_vcc, 1
	.set _ZN7rocprim17ROCPRIM_400000_NS6detail17trampoline_kernelINS0_13select_configILj256ELj13ELNS0_17block_load_methodE3ELS4_3ELS4_3ELNS0_20block_scan_algorithmE0ELj4294967295EEENS1_25partition_config_selectorILNS1_17partition_subalgoE3EjNS0_10empty_typeEbEEZZNS1_14partition_implILS8_3ELb0ES6_jNS0_17counting_iteratorIjlEEPS9_SE_NS0_5tupleIJPjSE_EEENSF_IJSE_SE_EEES9_SG_JZNS1_25segmented_radix_sort_implINS0_14default_configELb1EPKdPdPKlPlN2at6native12_GLOBAL__N_18offset_tEEE10hipError_tPvRmT1_PNSt15iterator_traitsISY_E10value_typeET2_T3_PNSZ_IS14_E10value_typeET4_jRbjT5_S1A_jjP12ihipStream_tbEUljE_EEESV_SW_SX_S14_S18_S1A_T6_T7_T9_mT8_S1C_bDpT10_ENKUlT_T0_E_clISt17integral_constantIbLb0EES1P_EEDaS1K_S1L_EUlS1K_E_NS1_11comp_targetILNS1_3genE0ELNS1_11target_archE4294967295ELNS1_3gpuE0ELNS1_3repE0EEENS1_30default_config_static_selectorELNS0_4arch9wavefront6targetE0EEEvSY_.uses_flat_scratch, 0
	.set _ZN7rocprim17ROCPRIM_400000_NS6detail17trampoline_kernelINS0_13select_configILj256ELj13ELNS0_17block_load_methodE3ELS4_3ELS4_3ELNS0_20block_scan_algorithmE0ELj4294967295EEENS1_25partition_config_selectorILNS1_17partition_subalgoE3EjNS0_10empty_typeEbEEZZNS1_14partition_implILS8_3ELb0ES6_jNS0_17counting_iteratorIjlEEPS9_SE_NS0_5tupleIJPjSE_EEENSF_IJSE_SE_EEES9_SG_JZNS1_25segmented_radix_sort_implINS0_14default_configELb1EPKdPdPKlPlN2at6native12_GLOBAL__N_18offset_tEEE10hipError_tPvRmT1_PNSt15iterator_traitsISY_E10value_typeET2_T3_PNSZ_IS14_E10value_typeET4_jRbjT5_S1A_jjP12ihipStream_tbEUljE_EEESV_SW_SX_S14_S18_S1A_T6_T7_T9_mT8_S1C_bDpT10_ENKUlT_T0_E_clISt17integral_constantIbLb0EES1P_EEDaS1K_S1L_EUlS1K_E_NS1_11comp_targetILNS1_3genE0ELNS1_11target_archE4294967295ELNS1_3gpuE0ELNS1_3repE0EEENS1_30default_config_static_selectorELNS0_4arch9wavefront6targetE0EEEvSY_.has_dyn_sized_stack, 0
	.set _ZN7rocprim17ROCPRIM_400000_NS6detail17trampoline_kernelINS0_13select_configILj256ELj13ELNS0_17block_load_methodE3ELS4_3ELS4_3ELNS0_20block_scan_algorithmE0ELj4294967295EEENS1_25partition_config_selectorILNS1_17partition_subalgoE3EjNS0_10empty_typeEbEEZZNS1_14partition_implILS8_3ELb0ES6_jNS0_17counting_iteratorIjlEEPS9_SE_NS0_5tupleIJPjSE_EEENSF_IJSE_SE_EEES9_SG_JZNS1_25segmented_radix_sort_implINS0_14default_configELb1EPKdPdPKlPlN2at6native12_GLOBAL__N_18offset_tEEE10hipError_tPvRmT1_PNSt15iterator_traitsISY_E10value_typeET2_T3_PNSZ_IS14_E10value_typeET4_jRbjT5_S1A_jjP12ihipStream_tbEUljE_EEESV_SW_SX_S14_S18_S1A_T6_T7_T9_mT8_S1C_bDpT10_ENKUlT_T0_E_clISt17integral_constantIbLb0EES1P_EEDaS1K_S1L_EUlS1K_E_NS1_11comp_targetILNS1_3genE0ELNS1_11target_archE4294967295ELNS1_3gpuE0ELNS1_3repE0EEENS1_30default_config_static_selectorELNS0_4arch9wavefront6targetE0EEEvSY_.has_recursion, 0
	.set _ZN7rocprim17ROCPRIM_400000_NS6detail17trampoline_kernelINS0_13select_configILj256ELj13ELNS0_17block_load_methodE3ELS4_3ELS4_3ELNS0_20block_scan_algorithmE0ELj4294967295EEENS1_25partition_config_selectorILNS1_17partition_subalgoE3EjNS0_10empty_typeEbEEZZNS1_14partition_implILS8_3ELb0ES6_jNS0_17counting_iteratorIjlEEPS9_SE_NS0_5tupleIJPjSE_EEENSF_IJSE_SE_EEES9_SG_JZNS1_25segmented_radix_sort_implINS0_14default_configELb1EPKdPdPKlPlN2at6native12_GLOBAL__N_18offset_tEEE10hipError_tPvRmT1_PNSt15iterator_traitsISY_E10value_typeET2_T3_PNSZ_IS14_E10value_typeET4_jRbjT5_S1A_jjP12ihipStream_tbEUljE_EEESV_SW_SX_S14_S18_S1A_T6_T7_T9_mT8_S1C_bDpT10_ENKUlT_T0_E_clISt17integral_constantIbLb0EES1P_EEDaS1K_S1L_EUlS1K_E_NS1_11comp_targetILNS1_3genE0ELNS1_11target_archE4294967295ELNS1_3gpuE0ELNS1_3repE0EEENS1_30default_config_static_selectorELNS0_4arch9wavefront6targetE0EEEvSY_.has_indirect_call, 0
	.section	.AMDGPU.csdata,"",@progbits
; Kernel info:
; codeLenInByte = 8920
; TotalNumSgprs: 28
; NumVgprs: 69
; ScratchSize: 0
; MemoryBound: 0
; FloatMode: 240
; IeeeMode: 1
; LDSByteSize: 13320 bytes/workgroup (compile time only)
; SGPRBlocks: 0
; VGPRBlocks: 4
; NumSGPRsForWavesPerEU: 28
; NumVGPRsForWavesPerEU: 69
; NamedBarCnt: 0
; Occupancy: 12
; WaveLimiterHint : 0
; COMPUTE_PGM_RSRC2:SCRATCH_EN: 0
; COMPUTE_PGM_RSRC2:USER_SGPR: 2
; COMPUTE_PGM_RSRC2:TRAP_HANDLER: 0
; COMPUTE_PGM_RSRC2:TGID_X_EN: 1
; COMPUTE_PGM_RSRC2:TGID_Y_EN: 0
; COMPUTE_PGM_RSRC2:TGID_Z_EN: 0
; COMPUTE_PGM_RSRC2:TIDIG_COMP_CNT: 0
	.section	.text._ZN7rocprim17ROCPRIM_400000_NS6detail17trampoline_kernelINS0_13select_configILj256ELj13ELNS0_17block_load_methodE3ELS4_3ELS4_3ELNS0_20block_scan_algorithmE0ELj4294967295EEENS1_25partition_config_selectorILNS1_17partition_subalgoE3EjNS0_10empty_typeEbEEZZNS1_14partition_implILS8_3ELb0ES6_jNS0_17counting_iteratorIjlEEPS9_SE_NS0_5tupleIJPjSE_EEENSF_IJSE_SE_EEES9_SG_JZNS1_25segmented_radix_sort_implINS0_14default_configELb1EPKdPdPKlPlN2at6native12_GLOBAL__N_18offset_tEEE10hipError_tPvRmT1_PNSt15iterator_traitsISY_E10value_typeET2_T3_PNSZ_IS14_E10value_typeET4_jRbjT5_S1A_jjP12ihipStream_tbEUljE_EEESV_SW_SX_S14_S18_S1A_T6_T7_T9_mT8_S1C_bDpT10_ENKUlT_T0_E_clISt17integral_constantIbLb0EES1P_EEDaS1K_S1L_EUlS1K_E_NS1_11comp_targetILNS1_3genE5ELNS1_11target_archE942ELNS1_3gpuE9ELNS1_3repE0EEENS1_30default_config_static_selectorELNS0_4arch9wavefront6targetE0EEEvSY_,"axG",@progbits,_ZN7rocprim17ROCPRIM_400000_NS6detail17trampoline_kernelINS0_13select_configILj256ELj13ELNS0_17block_load_methodE3ELS4_3ELS4_3ELNS0_20block_scan_algorithmE0ELj4294967295EEENS1_25partition_config_selectorILNS1_17partition_subalgoE3EjNS0_10empty_typeEbEEZZNS1_14partition_implILS8_3ELb0ES6_jNS0_17counting_iteratorIjlEEPS9_SE_NS0_5tupleIJPjSE_EEENSF_IJSE_SE_EEES9_SG_JZNS1_25segmented_radix_sort_implINS0_14default_configELb1EPKdPdPKlPlN2at6native12_GLOBAL__N_18offset_tEEE10hipError_tPvRmT1_PNSt15iterator_traitsISY_E10value_typeET2_T3_PNSZ_IS14_E10value_typeET4_jRbjT5_S1A_jjP12ihipStream_tbEUljE_EEESV_SW_SX_S14_S18_S1A_T6_T7_T9_mT8_S1C_bDpT10_ENKUlT_T0_E_clISt17integral_constantIbLb0EES1P_EEDaS1K_S1L_EUlS1K_E_NS1_11comp_targetILNS1_3genE5ELNS1_11target_archE942ELNS1_3gpuE9ELNS1_3repE0EEENS1_30default_config_static_selectorELNS0_4arch9wavefront6targetE0EEEvSY_,comdat
	.globl	_ZN7rocprim17ROCPRIM_400000_NS6detail17trampoline_kernelINS0_13select_configILj256ELj13ELNS0_17block_load_methodE3ELS4_3ELS4_3ELNS0_20block_scan_algorithmE0ELj4294967295EEENS1_25partition_config_selectorILNS1_17partition_subalgoE3EjNS0_10empty_typeEbEEZZNS1_14partition_implILS8_3ELb0ES6_jNS0_17counting_iteratorIjlEEPS9_SE_NS0_5tupleIJPjSE_EEENSF_IJSE_SE_EEES9_SG_JZNS1_25segmented_radix_sort_implINS0_14default_configELb1EPKdPdPKlPlN2at6native12_GLOBAL__N_18offset_tEEE10hipError_tPvRmT1_PNSt15iterator_traitsISY_E10value_typeET2_T3_PNSZ_IS14_E10value_typeET4_jRbjT5_S1A_jjP12ihipStream_tbEUljE_EEESV_SW_SX_S14_S18_S1A_T6_T7_T9_mT8_S1C_bDpT10_ENKUlT_T0_E_clISt17integral_constantIbLb0EES1P_EEDaS1K_S1L_EUlS1K_E_NS1_11comp_targetILNS1_3genE5ELNS1_11target_archE942ELNS1_3gpuE9ELNS1_3repE0EEENS1_30default_config_static_selectorELNS0_4arch9wavefront6targetE0EEEvSY_ ; -- Begin function _ZN7rocprim17ROCPRIM_400000_NS6detail17trampoline_kernelINS0_13select_configILj256ELj13ELNS0_17block_load_methodE3ELS4_3ELS4_3ELNS0_20block_scan_algorithmE0ELj4294967295EEENS1_25partition_config_selectorILNS1_17partition_subalgoE3EjNS0_10empty_typeEbEEZZNS1_14partition_implILS8_3ELb0ES6_jNS0_17counting_iteratorIjlEEPS9_SE_NS0_5tupleIJPjSE_EEENSF_IJSE_SE_EEES9_SG_JZNS1_25segmented_radix_sort_implINS0_14default_configELb1EPKdPdPKlPlN2at6native12_GLOBAL__N_18offset_tEEE10hipError_tPvRmT1_PNSt15iterator_traitsISY_E10value_typeET2_T3_PNSZ_IS14_E10value_typeET4_jRbjT5_S1A_jjP12ihipStream_tbEUljE_EEESV_SW_SX_S14_S18_S1A_T6_T7_T9_mT8_S1C_bDpT10_ENKUlT_T0_E_clISt17integral_constantIbLb0EES1P_EEDaS1K_S1L_EUlS1K_E_NS1_11comp_targetILNS1_3genE5ELNS1_11target_archE942ELNS1_3gpuE9ELNS1_3repE0EEENS1_30default_config_static_selectorELNS0_4arch9wavefront6targetE0EEEvSY_
	.p2align	8
	.type	_ZN7rocprim17ROCPRIM_400000_NS6detail17trampoline_kernelINS0_13select_configILj256ELj13ELNS0_17block_load_methodE3ELS4_3ELS4_3ELNS0_20block_scan_algorithmE0ELj4294967295EEENS1_25partition_config_selectorILNS1_17partition_subalgoE3EjNS0_10empty_typeEbEEZZNS1_14partition_implILS8_3ELb0ES6_jNS0_17counting_iteratorIjlEEPS9_SE_NS0_5tupleIJPjSE_EEENSF_IJSE_SE_EEES9_SG_JZNS1_25segmented_radix_sort_implINS0_14default_configELb1EPKdPdPKlPlN2at6native12_GLOBAL__N_18offset_tEEE10hipError_tPvRmT1_PNSt15iterator_traitsISY_E10value_typeET2_T3_PNSZ_IS14_E10value_typeET4_jRbjT5_S1A_jjP12ihipStream_tbEUljE_EEESV_SW_SX_S14_S18_S1A_T6_T7_T9_mT8_S1C_bDpT10_ENKUlT_T0_E_clISt17integral_constantIbLb0EES1P_EEDaS1K_S1L_EUlS1K_E_NS1_11comp_targetILNS1_3genE5ELNS1_11target_archE942ELNS1_3gpuE9ELNS1_3repE0EEENS1_30default_config_static_selectorELNS0_4arch9wavefront6targetE0EEEvSY_,@function
_ZN7rocprim17ROCPRIM_400000_NS6detail17trampoline_kernelINS0_13select_configILj256ELj13ELNS0_17block_load_methodE3ELS4_3ELS4_3ELNS0_20block_scan_algorithmE0ELj4294967295EEENS1_25partition_config_selectorILNS1_17partition_subalgoE3EjNS0_10empty_typeEbEEZZNS1_14partition_implILS8_3ELb0ES6_jNS0_17counting_iteratorIjlEEPS9_SE_NS0_5tupleIJPjSE_EEENSF_IJSE_SE_EEES9_SG_JZNS1_25segmented_radix_sort_implINS0_14default_configELb1EPKdPdPKlPlN2at6native12_GLOBAL__N_18offset_tEEE10hipError_tPvRmT1_PNSt15iterator_traitsISY_E10value_typeET2_T3_PNSZ_IS14_E10value_typeET4_jRbjT5_S1A_jjP12ihipStream_tbEUljE_EEESV_SW_SX_S14_S18_S1A_T6_T7_T9_mT8_S1C_bDpT10_ENKUlT_T0_E_clISt17integral_constantIbLb0EES1P_EEDaS1K_S1L_EUlS1K_E_NS1_11comp_targetILNS1_3genE5ELNS1_11target_archE942ELNS1_3gpuE9ELNS1_3repE0EEENS1_30default_config_static_selectorELNS0_4arch9wavefront6targetE0EEEvSY_: ; @_ZN7rocprim17ROCPRIM_400000_NS6detail17trampoline_kernelINS0_13select_configILj256ELj13ELNS0_17block_load_methodE3ELS4_3ELS4_3ELNS0_20block_scan_algorithmE0ELj4294967295EEENS1_25partition_config_selectorILNS1_17partition_subalgoE3EjNS0_10empty_typeEbEEZZNS1_14partition_implILS8_3ELb0ES6_jNS0_17counting_iteratorIjlEEPS9_SE_NS0_5tupleIJPjSE_EEENSF_IJSE_SE_EEES9_SG_JZNS1_25segmented_radix_sort_implINS0_14default_configELb1EPKdPdPKlPlN2at6native12_GLOBAL__N_18offset_tEEE10hipError_tPvRmT1_PNSt15iterator_traitsISY_E10value_typeET2_T3_PNSZ_IS14_E10value_typeET4_jRbjT5_S1A_jjP12ihipStream_tbEUljE_EEESV_SW_SX_S14_S18_S1A_T6_T7_T9_mT8_S1C_bDpT10_ENKUlT_T0_E_clISt17integral_constantIbLb0EES1P_EEDaS1K_S1L_EUlS1K_E_NS1_11comp_targetILNS1_3genE5ELNS1_11target_archE942ELNS1_3gpuE9ELNS1_3repE0EEENS1_30default_config_static_selectorELNS0_4arch9wavefront6targetE0EEEvSY_
; %bb.0:
	.section	.rodata,"a",@progbits
	.p2align	6, 0x0
	.amdhsa_kernel _ZN7rocprim17ROCPRIM_400000_NS6detail17trampoline_kernelINS0_13select_configILj256ELj13ELNS0_17block_load_methodE3ELS4_3ELS4_3ELNS0_20block_scan_algorithmE0ELj4294967295EEENS1_25partition_config_selectorILNS1_17partition_subalgoE3EjNS0_10empty_typeEbEEZZNS1_14partition_implILS8_3ELb0ES6_jNS0_17counting_iteratorIjlEEPS9_SE_NS0_5tupleIJPjSE_EEENSF_IJSE_SE_EEES9_SG_JZNS1_25segmented_radix_sort_implINS0_14default_configELb1EPKdPdPKlPlN2at6native12_GLOBAL__N_18offset_tEEE10hipError_tPvRmT1_PNSt15iterator_traitsISY_E10value_typeET2_T3_PNSZ_IS14_E10value_typeET4_jRbjT5_S1A_jjP12ihipStream_tbEUljE_EEESV_SW_SX_S14_S18_S1A_T6_T7_T9_mT8_S1C_bDpT10_ENKUlT_T0_E_clISt17integral_constantIbLb0EES1P_EEDaS1K_S1L_EUlS1K_E_NS1_11comp_targetILNS1_3genE5ELNS1_11target_archE942ELNS1_3gpuE9ELNS1_3repE0EEENS1_30default_config_static_selectorELNS0_4arch9wavefront6targetE0EEEvSY_
		.amdhsa_group_segment_fixed_size 0
		.amdhsa_private_segment_fixed_size 0
		.amdhsa_kernarg_size 144
		.amdhsa_user_sgpr_count 2
		.amdhsa_user_sgpr_dispatch_ptr 0
		.amdhsa_user_sgpr_queue_ptr 0
		.amdhsa_user_sgpr_kernarg_segment_ptr 1
		.amdhsa_user_sgpr_dispatch_id 0
		.amdhsa_user_sgpr_kernarg_preload_length 0
		.amdhsa_user_sgpr_kernarg_preload_offset 0
		.amdhsa_user_sgpr_private_segment_size 0
		.amdhsa_wavefront_size32 1
		.amdhsa_uses_dynamic_stack 0
		.amdhsa_enable_private_segment 0
		.amdhsa_system_sgpr_workgroup_id_x 1
		.amdhsa_system_sgpr_workgroup_id_y 0
		.amdhsa_system_sgpr_workgroup_id_z 0
		.amdhsa_system_sgpr_workgroup_info 0
		.amdhsa_system_vgpr_workitem_id 0
		.amdhsa_next_free_vgpr 1
		.amdhsa_next_free_sgpr 1
		.amdhsa_named_barrier_count 0
		.amdhsa_reserve_vcc 0
		.amdhsa_float_round_mode_32 0
		.amdhsa_float_round_mode_16_64 0
		.amdhsa_float_denorm_mode_32 3
		.amdhsa_float_denorm_mode_16_64 3
		.amdhsa_fp16_overflow 0
		.amdhsa_memory_ordered 1
		.amdhsa_forward_progress 1
		.amdhsa_inst_pref_size 0
		.amdhsa_round_robin_scheduling 0
		.amdhsa_exception_fp_ieee_invalid_op 0
		.amdhsa_exception_fp_denorm_src 0
		.amdhsa_exception_fp_ieee_div_zero 0
		.amdhsa_exception_fp_ieee_overflow 0
		.amdhsa_exception_fp_ieee_underflow 0
		.amdhsa_exception_fp_ieee_inexact 0
		.amdhsa_exception_int_div_zero 0
	.end_amdhsa_kernel
	.section	.text._ZN7rocprim17ROCPRIM_400000_NS6detail17trampoline_kernelINS0_13select_configILj256ELj13ELNS0_17block_load_methodE3ELS4_3ELS4_3ELNS0_20block_scan_algorithmE0ELj4294967295EEENS1_25partition_config_selectorILNS1_17partition_subalgoE3EjNS0_10empty_typeEbEEZZNS1_14partition_implILS8_3ELb0ES6_jNS0_17counting_iteratorIjlEEPS9_SE_NS0_5tupleIJPjSE_EEENSF_IJSE_SE_EEES9_SG_JZNS1_25segmented_radix_sort_implINS0_14default_configELb1EPKdPdPKlPlN2at6native12_GLOBAL__N_18offset_tEEE10hipError_tPvRmT1_PNSt15iterator_traitsISY_E10value_typeET2_T3_PNSZ_IS14_E10value_typeET4_jRbjT5_S1A_jjP12ihipStream_tbEUljE_EEESV_SW_SX_S14_S18_S1A_T6_T7_T9_mT8_S1C_bDpT10_ENKUlT_T0_E_clISt17integral_constantIbLb0EES1P_EEDaS1K_S1L_EUlS1K_E_NS1_11comp_targetILNS1_3genE5ELNS1_11target_archE942ELNS1_3gpuE9ELNS1_3repE0EEENS1_30default_config_static_selectorELNS0_4arch9wavefront6targetE0EEEvSY_,"axG",@progbits,_ZN7rocprim17ROCPRIM_400000_NS6detail17trampoline_kernelINS0_13select_configILj256ELj13ELNS0_17block_load_methodE3ELS4_3ELS4_3ELNS0_20block_scan_algorithmE0ELj4294967295EEENS1_25partition_config_selectorILNS1_17partition_subalgoE3EjNS0_10empty_typeEbEEZZNS1_14partition_implILS8_3ELb0ES6_jNS0_17counting_iteratorIjlEEPS9_SE_NS0_5tupleIJPjSE_EEENSF_IJSE_SE_EEES9_SG_JZNS1_25segmented_radix_sort_implINS0_14default_configELb1EPKdPdPKlPlN2at6native12_GLOBAL__N_18offset_tEEE10hipError_tPvRmT1_PNSt15iterator_traitsISY_E10value_typeET2_T3_PNSZ_IS14_E10value_typeET4_jRbjT5_S1A_jjP12ihipStream_tbEUljE_EEESV_SW_SX_S14_S18_S1A_T6_T7_T9_mT8_S1C_bDpT10_ENKUlT_T0_E_clISt17integral_constantIbLb0EES1P_EEDaS1K_S1L_EUlS1K_E_NS1_11comp_targetILNS1_3genE5ELNS1_11target_archE942ELNS1_3gpuE9ELNS1_3repE0EEENS1_30default_config_static_selectorELNS0_4arch9wavefront6targetE0EEEvSY_,comdat
.Lfunc_end1081:
	.size	_ZN7rocprim17ROCPRIM_400000_NS6detail17trampoline_kernelINS0_13select_configILj256ELj13ELNS0_17block_load_methodE3ELS4_3ELS4_3ELNS0_20block_scan_algorithmE0ELj4294967295EEENS1_25partition_config_selectorILNS1_17partition_subalgoE3EjNS0_10empty_typeEbEEZZNS1_14partition_implILS8_3ELb0ES6_jNS0_17counting_iteratorIjlEEPS9_SE_NS0_5tupleIJPjSE_EEENSF_IJSE_SE_EEES9_SG_JZNS1_25segmented_radix_sort_implINS0_14default_configELb1EPKdPdPKlPlN2at6native12_GLOBAL__N_18offset_tEEE10hipError_tPvRmT1_PNSt15iterator_traitsISY_E10value_typeET2_T3_PNSZ_IS14_E10value_typeET4_jRbjT5_S1A_jjP12ihipStream_tbEUljE_EEESV_SW_SX_S14_S18_S1A_T6_T7_T9_mT8_S1C_bDpT10_ENKUlT_T0_E_clISt17integral_constantIbLb0EES1P_EEDaS1K_S1L_EUlS1K_E_NS1_11comp_targetILNS1_3genE5ELNS1_11target_archE942ELNS1_3gpuE9ELNS1_3repE0EEENS1_30default_config_static_selectorELNS0_4arch9wavefront6targetE0EEEvSY_, .Lfunc_end1081-_ZN7rocprim17ROCPRIM_400000_NS6detail17trampoline_kernelINS0_13select_configILj256ELj13ELNS0_17block_load_methodE3ELS4_3ELS4_3ELNS0_20block_scan_algorithmE0ELj4294967295EEENS1_25partition_config_selectorILNS1_17partition_subalgoE3EjNS0_10empty_typeEbEEZZNS1_14partition_implILS8_3ELb0ES6_jNS0_17counting_iteratorIjlEEPS9_SE_NS0_5tupleIJPjSE_EEENSF_IJSE_SE_EEES9_SG_JZNS1_25segmented_radix_sort_implINS0_14default_configELb1EPKdPdPKlPlN2at6native12_GLOBAL__N_18offset_tEEE10hipError_tPvRmT1_PNSt15iterator_traitsISY_E10value_typeET2_T3_PNSZ_IS14_E10value_typeET4_jRbjT5_S1A_jjP12ihipStream_tbEUljE_EEESV_SW_SX_S14_S18_S1A_T6_T7_T9_mT8_S1C_bDpT10_ENKUlT_T0_E_clISt17integral_constantIbLb0EES1P_EEDaS1K_S1L_EUlS1K_E_NS1_11comp_targetILNS1_3genE5ELNS1_11target_archE942ELNS1_3gpuE9ELNS1_3repE0EEENS1_30default_config_static_selectorELNS0_4arch9wavefront6targetE0EEEvSY_
                                        ; -- End function
	.set _ZN7rocprim17ROCPRIM_400000_NS6detail17trampoline_kernelINS0_13select_configILj256ELj13ELNS0_17block_load_methodE3ELS4_3ELS4_3ELNS0_20block_scan_algorithmE0ELj4294967295EEENS1_25partition_config_selectorILNS1_17partition_subalgoE3EjNS0_10empty_typeEbEEZZNS1_14partition_implILS8_3ELb0ES6_jNS0_17counting_iteratorIjlEEPS9_SE_NS0_5tupleIJPjSE_EEENSF_IJSE_SE_EEES9_SG_JZNS1_25segmented_radix_sort_implINS0_14default_configELb1EPKdPdPKlPlN2at6native12_GLOBAL__N_18offset_tEEE10hipError_tPvRmT1_PNSt15iterator_traitsISY_E10value_typeET2_T3_PNSZ_IS14_E10value_typeET4_jRbjT5_S1A_jjP12ihipStream_tbEUljE_EEESV_SW_SX_S14_S18_S1A_T6_T7_T9_mT8_S1C_bDpT10_ENKUlT_T0_E_clISt17integral_constantIbLb0EES1P_EEDaS1K_S1L_EUlS1K_E_NS1_11comp_targetILNS1_3genE5ELNS1_11target_archE942ELNS1_3gpuE9ELNS1_3repE0EEENS1_30default_config_static_selectorELNS0_4arch9wavefront6targetE0EEEvSY_.num_vgpr, 0
	.set _ZN7rocprim17ROCPRIM_400000_NS6detail17trampoline_kernelINS0_13select_configILj256ELj13ELNS0_17block_load_methodE3ELS4_3ELS4_3ELNS0_20block_scan_algorithmE0ELj4294967295EEENS1_25partition_config_selectorILNS1_17partition_subalgoE3EjNS0_10empty_typeEbEEZZNS1_14partition_implILS8_3ELb0ES6_jNS0_17counting_iteratorIjlEEPS9_SE_NS0_5tupleIJPjSE_EEENSF_IJSE_SE_EEES9_SG_JZNS1_25segmented_radix_sort_implINS0_14default_configELb1EPKdPdPKlPlN2at6native12_GLOBAL__N_18offset_tEEE10hipError_tPvRmT1_PNSt15iterator_traitsISY_E10value_typeET2_T3_PNSZ_IS14_E10value_typeET4_jRbjT5_S1A_jjP12ihipStream_tbEUljE_EEESV_SW_SX_S14_S18_S1A_T6_T7_T9_mT8_S1C_bDpT10_ENKUlT_T0_E_clISt17integral_constantIbLb0EES1P_EEDaS1K_S1L_EUlS1K_E_NS1_11comp_targetILNS1_3genE5ELNS1_11target_archE942ELNS1_3gpuE9ELNS1_3repE0EEENS1_30default_config_static_selectorELNS0_4arch9wavefront6targetE0EEEvSY_.num_agpr, 0
	.set _ZN7rocprim17ROCPRIM_400000_NS6detail17trampoline_kernelINS0_13select_configILj256ELj13ELNS0_17block_load_methodE3ELS4_3ELS4_3ELNS0_20block_scan_algorithmE0ELj4294967295EEENS1_25partition_config_selectorILNS1_17partition_subalgoE3EjNS0_10empty_typeEbEEZZNS1_14partition_implILS8_3ELb0ES6_jNS0_17counting_iteratorIjlEEPS9_SE_NS0_5tupleIJPjSE_EEENSF_IJSE_SE_EEES9_SG_JZNS1_25segmented_radix_sort_implINS0_14default_configELb1EPKdPdPKlPlN2at6native12_GLOBAL__N_18offset_tEEE10hipError_tPvRmT1_PNSt15iterator_traitsISY_E10value_typeET2_T3_PNSZ_IS14_E10value_typeET4_jRbjT5_S1A_jjP12ihipStream_tbEUljE_EEESV_SW_SX_S14_S18_S1A_T6_T7_T9_mT8_S1C_bDpT10_ENKUlT_T0_E_clISt17integral_constantIbLb0EES1P_EEDaS1K_S1L_EUlS1K_E_NS1_11comp_targetILNS1_3genE5ELNS1_11target_archE942ELNS1_3gpuE9ELNS1_3repE0EEENS1_30default_config_static_selectorELNS0_4arch9wavefront6targetE0EEEvSY_.numbered_sgpr, 0
	.set _ZN7rocprim17ROCPRIM_400000_NS6detail17trampoline_kernelINS0_13select_configILj256ELj13ELNS0_17block_load_methodE3ELS4_3ELS4_3ELNS0_20block_scan_algorithmE0ELj4294967295EEENS1_25partition_config_selectorILNS1_17partition_subalgoE3EjNS0_10empty_typeEbEEZZNS1_14partition_implILS8_3ELb0ES6_jNS0_17counting_iteratorIjlEEPS9_SE_NS0_5tupleIJPjSE_EEENSF_IJSE_SE_EEES9_SG_JZNS1_25segmented_radix_sort_implINS0_14default_configELb1EPKdPdPKlPlN2at6native12_GLOBAL__N_18offset_tEEE10hipError_tPvRmT1_PNSt15iterator_traitsISY_E10value_typeET2_T3_PNSZ_IS14_E10value_typeET4_jRbjT5_S1A_jjP12ihipStream_tbEUljE_EEESV_SW_SX_S14_S18_S1A_T6_T7_T9_mT8_S1C_bDpT10_ENKUlT_T0_E_clISt17integral_constantIbLb0EES1P_EEDaS1K_S1L_EUlS1K_E_NS1_11comp_targetILNS1_3genE5ELNS1_11target_archE942ELNS1_3gpuE9ELNS1_3repE0EEENS1_30default_config_static_selectorELNS0_4arch9wavefront6targetE0EEEvSY_.num_named_barrier, 0
	.set _ZN7rocprim17ROCPRIM_400000_NS6detail17trampoline_kernelINS0_13select_configILj256ELj13ELNS0_17block_load_methodE3ELS4_3ELS4_3ELNS0_20block_scan_algorithmE0ELj4294967295EEENS1_25partition_config_selectorILNS1_17partition_subalgoE3EjNS0_10empty_typeEbEEZZNS1_14partition_implILS8_3ELb0ES6_jNS0_17counting_iteratorIjlEEPS9_SE_NS0_5tupleIJPjSE_EEENSF_IJSE_SE_EEES9_SG_JZNS1_25segmented_radix_sort_implINS0_14default_configELb1EPKdPdPKlPlN2at6native12_GLOBAL__N_18offset_tEEE10hipError_tPvRmT1_PNSt15iterator_traitsISY_E10value_typeET2_T3_PNSZ_IS14_E10value_typeET4_jRbjT5_S1A_jjP12ihipStream_tbEUljE_EEESV_SW_SX_S14_S18_S1A_T6_T7_T9_mT8_S1C_bDpT10_ENKUlT_T0_E_clISt17integral_constantIbLb0EES1P_EEDaS1K_S1L_EUlS1K_E_NS1_11comp_targetILNS1_3genE5ELNS1_11target_archE942ELNS1_3gpuE9ELNS1_3repE0EEENS1_30default_config_static_selectorELNS0_4arch9wavefront6targetE0EEEvSY_.private_seg_size, 0
	.set _ZN7rocprim17ROCPRIM_400000_NS6detail17trampoline_kernelINS0_13select_configILj256ELj13ELNS0_17block_load_methodE3ELS4_3ELS4_3ELNS0_20block_scan_algorithmE0ELj4294967295EEENS1_25partition_config_selectorILNS1_17partition_subalgoE3EjNS0_10empty_typeEbEEZZNS1_14partition_implILS8_3ELb0ES6_jNS0_17counting_iteratorIjlEEPS9_SE_NS0_5tupleIJPjSE_EEENSF_IJSE_SE_EEES9_SG_JZNS1_25segmented_radix_sort_implINS0_14default_configELb1EPKdPdPKlPlN2at6native12_GLOBAL__N_18offset_tEEE10hipError_tPvRmT1_PNSt15iterator_traitsISY_E10value_typeET2_T3_PNSZ_IS14_E10value_typeET4_jRbjT5_S1A_jjP12ihipStream_tbEUljE_EEESV_SW_SX_S14_S18_S1A_T6_T7_T9_mT8_S1C_bDpT10_ENKUlT_T0_E_clISt17integral_constantIbLb0EES1P_EEDaS1K_S1L_EUlS1K_E_NS1_11comp_targetILNS1_3genE5ELNS1_11target_archE942ELNS1_3gpuE9ELNS1_3repE0EEENS1_30default_config_static_selectorELNS0_4arch9wavefront6targetE0EEEvSY_.uses_vcc, 0
	.set _ZN7rocprim17ROCPRIM_400000_NS6detail17trampoline_kernelINS0_13select_configILj256ELj13ELNS0_17block_load_methodE3ELS4_3ELS4_3ELNS0_20block_scan_algorithmE0ELj4294967295EEENS1_25partition_config_selectorILNS1_17partition_subalgoE3EjNS0_10empty_typeEbEEZZNS1_14partition_implILS8_3ELb0ES6_jNS0_17counting_iteratorIjlEEPS9_SE_NS0_5tupleIJPjSE_EEENSF_IJSE_SE_EEES9_SG_JZNS1_25segmented_radix_sort_implINS0_14default_configELb1EPKdPdPKlPlN2at6native12_GLOBAL__N_18offset_tEEE10hipError_tPvRmT1_PNSt15iterator_traitsISY_E10value_typeET2_T3_PNSZ_IS14_E10value_typeET4_jRbjT5_S1A_jjP12ihipStream_tbEUljE_EEESV_SW_SX_S14_S18_S1A_T6_T7_T9_mT8_S1C_bDpT10_ENKUlT_T0_E_clISt17integral_constantIbLb0EES1P_EEDaS1K_S1L_EUlS1K_E_NS1_11comp_targetILNS1_3genE5ELNS1_11target_archE942ELNS1_3gpuE9ELNS1_3repE0EEENS1_30default_config_static_selectorELNS0_4arch9wavefront6targetE0EEEvSY_.uses_flat_scratch, 0
	.set _ZN7rocprim17ROCPRIM_400000_NS6detail17trampoline_kernelINS0_13select_configILj256ELj13ELNS0_17block_load_methodE3ELS4_3ELS4_3ELNS0_20block_scan_algorithmE0ELj4294967295EEENS1_25partition_config_selectorILNS1_17partition_subalgoE3EjNS0_10empty_typeEbEEZZNS1_14partition_implILS8_3ELb0ES6_jNS0_17counting_iteratorIjlEEPS9_SE_NS0_5tupleIJPjSE_EEENSF_IJSE_SE_EEES9_SG_JZNS1_25segmented_radix_sort_implINS0_14default_configELb1EPKdPdPKlPlN2at6native12_GLOBAL__N_18offset_tEEE10hipError_tPvRmT1_PNSt15iterator_traitsISY_E10value_typeET2_T3_PNSZ_IS14_E10value_typeET4_jRbjT5_S1A_jjP12ihipStream_tbEUljE_EEESV_SW_SX_S14_S18_S1A_T6_T7_T9_mT8_S1C_bDpT10_ENKUlT_T0_E_clISt17integral_constantIbLb0EES1P_EEDaS1K_S1L_EUlS1K_E_NS1_11comp_targetILNS1_3genE5ELNS1_11target_archE942ELNS1_3gpuE9ELNS1_3repE0EEENS1_30default_config_static_selectorELNS0_4arch9wavefront6targetE0EEEvSY_.has_dyn_sized_stack, 0
	.set _ZN7rocprim17ROCPRIM_400000_NS6detail17trampoline_kernelINS0_13select_configILj256ELj13ELNS0_17block_load_methodE3ELS4_3ELS4_3ELNS0_20block_scan_algorithmE0ELj4294967295EEENS1_25partition_config_selectorILNS1_17partition_subalgoE3EjNS0_10empty_typeEbEEZZNS1_14partition_implILS8_3ELb0ES6_jNS0_17counting_iteratorIjlEEPS9_SE_NS0_5tupleIJPjSE_EEENSF_IJSE_SE_EEES9_SG_JZNS1_25segmented_radix_sort_implINS0_14default_configELb1EPKdPdPKlPlN2at6native12_GLOBAL__N_18offset_tEEE10hipError_tPvRmT1_PNSt15iterator_traitsISY_E10value_typeET2_T3_PNSZ_IS14_E10value_typeET4_jRbjT5_S1A_jjP12ihipStream_tbEUljE_EEESV_SW_SX_S14_S18_S1A_T6_T7_T9_mT8_S1C_bDpT10_ENKUlT_T0_E_clISt17integral_constantIbLb0EES1P_EEDaS1K_S1L_EUlS1K_E_NS1_11comp_targetILNS1_3genE5ELNS1_11target_archE942ELNS1_3gpuE9ELNS1_3repE0EEENS1_30default_config_static_selectorELNS0_4arch9wavefront6targetE0EEEvSY_.has_recursion, 0
	.set _ZN7rocprim17ROCPRIM_400000_NS6detail17trampoline_kernelINS0_13select_configILj256ELj13ELNS0_17block_load_methodE3ELS4_3ELS4_3ELNS0_20block_scan_algorithmE0ELj4294967295EEENS1_25partition_config_selectorILNS1_17partition_subalgoE3EjNS0_10empty_typeEbEEZZNS1_14partition_implILS8_3ELb0ES6_jNS0_17counting_iteratorIjlEEPS9_SE_NS0_5tupleIJPjSE_EEENSF_IJSE_SE_EEES9_SG_JZNS1_25segmented_radix_sort_implINS0_14default_configELb1EPKdPdPKlPlN2at6native12_GLOBAL__N_18offset_tEEE10hipError_tPvRmT1_PNSt15iterator_traitsISY_E10value_typeET2_T3_PNSZ_IS14_E10value_typeET4_jRbjT5_S1A_jjP12ihipStream_tbEUljE_EEESV_SW_SX_S14_S18_S1A_T6_T7_T9_mT8_S1C_bDpT10_ENKUlT_T0_E_clISt17integral_constantIbLb0EES1P_EEDaS1K_S1L_EUlS1K_E_NS1_11comp_targetILNS1_3genE5ELNS1_11target_archE942ELNS1_3gpuE9ELNS1_3repE0EEENS1_30default_config_static_selectorELNS0_4arch9wavefront6targetE0EEEvSY_.has_indirect_call, 0
	.section	.AMDGPU.csdata,"",@progbits
; Kernel info:
; codeLenInByte = 0
; TotalNumSgprs: 0
; NumVgprs: 0
; ScratchSize: 0
; MemoryBound: 0
; FloatMode: 240
; IeeeMode: 1
; LDSByteSize: 0 bytes/workgroup (compile time only)
; SGPRBlocks: 0
; VGPRBlocks: 0
; NumSGPRsForWavesPerEU: 1
; NumVGPRsForWavesPerEU: 1
; NamedBarCnt: 0
; Occupancy: 16
; WaveLimiterHint : 0
; COMPUTE_PGM_RSRC2:SCRATCH_EN: 0
; COMPUTE_PGM_RSRC2:USER_SGPR: 2
; COMPUTE_PGM_RSRC2:TRAP_HANDLER: 0
; COMPUTE_PGM_RSRC2:TGID_X_EN: 1
; COMPUTE_PGM_RSRC2:TGID_Y_EN: 0
; COMPUTE_PGM_RSRC2:TGID_Z_EN: 0
; COMPUTE_PGM_RSRC2:TIDIG_COMP_CNT: 0
	.section	.text._ZN7rocprim17ROCPRIM_400000_NS6detail17trampoline_kernelINS0_13select_configILj256ELj13ELNS0_17block_load_methodE3ELS4_3ELS4_3ELNS0_20block_scan_algorithmE0ELj4294967295EEENS1_25partition_config_selectorILNS1_17partition_subalgoE3EjNS0_10empty_typeEbEEZZNS1_14partition_implILS8_3ELb0ES6_jNS0_17counting_iteratorIjlEEPS9_SE_NS0_5tupleIJPjSE_EEENSF_IJSE_SE_EEES9_SG_JZNS1_25segmented_radix_sort_implINS0_14default_configELb1EPKdPdPKlPlN2at6native12_GLOBAL__N_18offset_tEEE10hipError_tPvRmT1_PNSt15iterator_traitsISY_E10value_typeET2_T3_PNSZ_IS14_E10value_typeET4_jRbjT5_S1A_jjP12ihipStream_tbEUljE_EEESV_SW_SX_S14_S18_S1A_T6_T7_T9_mT8_S1C_bDpT10_ENKUlT_T0_E_clISt17integral_constantIbLb0EES1P_EEDaS1K_S1L_EUlS1K_E_NS1_11comp_targetILNS1_3genE4ELNS1_11target_archE910ELNS1_3gpuE8ELNS1_3repE0EEENS1_30default_config_static_selectorELNS0_4arch9wavefront6targetE0EEEvSY_,"axG",@progbits,_ZN7rocprim17ROCPRIM_400000_NS6detail17trampoline_kernelINS0_13select_configILj256ELj13ELNS0_17block_load_methodE3ELS4_3ELS4_3ELNS0_20block_scan_algorithmE0ELj4294967295EEENS1_25partition_config_selectorILNS1_17partition_subalgoE3EjNS0_10empty_typeEbEEZZNS1_14partition_implILS8_3ELb0ES6_jNS0_17counting_iteratorIjlEEPS9_SE_NS0_5tupleIJPjSE_EEENSF_IJSE_SE_EEES9_SG_JZNS1_25segmented_radix_sort_implINS0_14default_configELb1EPKdPdPKlPlN2at6native12_GLOBAL__N_18offset_tEEE10hipError_tPvRmT1_PNSt15iterator_traitsISY_E10value_typeET2_T3_PNSZ_IS14_E10value_typeET4_jRbjT5_S1A_jjP12ihipStream_tbEUljE_EEESV_SW_SX_S14_S18_S1A_T6_T7_T9_mT8_S1C_bDpT10_ENKUlT_T0_E_clISt17integral_constantIbLb0EES1P_EEDaS1K_S1L_EUlS1K_E_NS1_11comp_targetILNS1_3genE4ELNS1_11target_archE910ELNS1_3gpuE8ELNS1_3repE0EEENS1_30default_config_static_selectorELNS0_4arch9wavefront6targetE0EEEvSY_,comdat
	.globl	_ZN7rocprim17ROCPRIM_400000_NS6detail17trampoline_kernelINS0_13select_configILj256ELj13ELNS0_17block_load_methodE3ELS4_3ELS4_3ELNS0_20block_scan_algorithmE0ELj4294967295EEENS1_25partition_config_selectorILNS1_17partition_subalgoE3EjNS0_10empty_typeEbEEZZNS1_14partition_implILS8_3ELb0ES6_jNS0_17counting_iteratorIjlEEPS9_SE_NS0_5tupleIJPjSE_EEENSF_IJSE_SE_EEES9_SG_JZNS1_25segmented_radix_sort_implINS0_14default_configELb1EPKdPdPKlPlN2at6native12_GLOBAL__N_18offset_tEEE10hipError_tPvRmT1_PNSt15iterator_traitsISY_E10value_typeET2_T3_PNSZ_IS14_E10value_typeET4_jRbjT5_S1A_jjP12ihipStream_tbEUljE_EEESV_SW_SX_S14_S18_S1A_T6_T7_T9_mT8_S1C_bDpT10_ENKUlT_T0_E_clISt17integral_constantIbLb0EES1P_EEDaS1K_S1L_EUlS1K_E_NS1_11comp_targetILNS1_3genE4ELNS1_11target_archE910ELNS1_3gpuE8ELNS1_3repE0EEENS1_30default_config_static_selectorELNS0_4arch9wavefront6targetE0EEEvSY_ ; -- Begin function _ZN7rocprim17ROCPRIM_400000_NS6detail17trampoline_kernelINS0_13select_configILj256ELj13ELNS0_17block_load_methodE3ELS4_3ELS4_3ELNS0_20block_scan_algorithmE0ELj4294967295EEENS1_25partition_config_selectorILNS1_17partition_subalgoE3EjNS0_10empty_typeEbEEZZNS1_14partition_implILS8_3ELb0ES6_jNS0_17counting_iteratorIjlEEPS9_SE_NS0_5tupleIJPjSE_EEENSF_IJSE_SE_EEES9_SG_JZNS1_25segmented_radix_sort_implINS0_14default_configELb1EPKdPdPKlPlN2at6native12_GLOBAL__N_18offset_tEEE10hipError_tPvRmT1_PNSt15iterator_traitsISY_E10value_typeET2_T3_PNSZ_IS14_E10value_typeET4_jRbjT5_S1A_jjP12ihipStream_tbEUljE_EEESV_SW_SX_S14_S18_S1A_T6_T7_T9_mT8_S1C_bDpT10_ENKUlT_T0_E_clISt17integral_constantIbLb0EES1P_EEDaS1K_S1L_EUlS1K_E_NS1_11comp_targetILNS1_3genE4ELNS1_11target_archE910ELNS1_3gpuE8ELNS1_3repE0EEENS1_30default_config_static_selectorELNS0_4arch9wavefront6targetE0EEEvSY_
	.p2align	8
	.type	_ZN7rocprim17ROCPRIM_400000_NS6detail17trampoline_kernelINS0_13select_configILj256ELj13ELNS0_17block_load_methodE3ELS4_3ELS4_3ELNS0_20block_scan_algorithmE0ELj4294967295EEENS1_25partition_config_selectorILNS1_17partition_subalgoE3EjNS0_10empty_typeEbEEZZNS1_14partition_implILS8_3ELb0ES6_jNS0_17counting_iteratorIjlEEPS9_SE_NS0_5tupleIJPjSE_EEENSF_IJSE_SE_EEES9_SG_JZNS1_25segmented_radix_sort_implINS0_14default_configELb1EPKdPdPKlPlN2at6native12_GLOBAL__N_18offset_tEEE10hipError_tPvRmT1_PNSt15iterator_traitsISY_E10value_typeET2_T3_PNSZ_IS14_E10value_typeET4_jRbjT5_S1A_jjP12ihipStream_tbEUljE_EEESV_SW_SX_S14_S18_S1A_T6_T7_T9_mT8_S1C_bDpT10_ENKUlT_T0_E_clISt17integral_constantIbLb0EES1P_EEDaS1K_S1L_EUlS1K_E_NS1_11comp_targetILNS1_3genE4ELNS1_11target_archE910ELNS1_3gpuE8ELNS1_3repE0EEENS1_30default_config_static_selectorELNS0_4arch9wavefront6targetE0EEEvSY_,@function
_ZN7rocprim17ROCPRIM_400000_NS6detail17trampoline_kernelINS0_13select_configILj256ELj13ELNS0_17block_load_methodE3ELS4_3ELS4_3ELNS0_20block_scan_algorithmE0ELj4294967295EEENS1_25partition_config_selectorILNS1_17partition_subalgoE3EjNS0_10empty_typeEbEEZZNS1_14partition_implILS8_3ELb0ES6_jNS0_17counting_iteratorIjlEEPS9_SE_NS0_5tupleIJPjSE_EEENSF_IJSE_SE_EEES9_SG_JZNS1_25segmented_radix_sort_implINS0_14default_configELb1EPKdPdPKlPlN2at6native12_GLOBAL__N_18offset_tEEE10hipError_tPvRmT1_PNSt15iterator_traitsISY_E10value_typeET2_T3_PNSZ_IS14_E10value_typeET4_jRbjT5_S1A_jjP12ihipStream_tbEUljE_EEESV_SW_SX_S14_S18_S1A_T6_T7_T9_mT8_S1C_bDpT10_ENKUlT_T0_E_clISt17integral_constantIbLb0EES1P_EEDaS1K_S1L_EUlS1K_E_NS1_11comp_targetILNS1_3genE4ELNS1_11target_archE910ELNS1_3gpuE8ELNS1_3repE0EEENS1_30default_config_static_selectorELNS0_4arch9wavefront6targetE0EEEvSY_: ; @_ZN7rocprim17ROCPRIM_400000_NS6detail17trampoline_kernelINS0_13select_configILj256ELj13ELNS0_17block_load_methodE3ELS4_3ELS4_3ELNS0_20block_scan_algorithmE0ELj4294967295EEENS1_25partition_config_selectorILNS1_17partition_subalgoE3EjNS0_10empty_typeEbEEZZNS1_14partition_implILS8_3ELb0ES6_jNS0_17counting_iteratorIjlEEPS9_SE_NS0_5tupleIJPjSE_EEENSF_IJSE_SE_EEES9_SG_JZNS1_25segmented_radix_sort_implINS0_14default_configELb1EPKdPdPKlPlN2at6native12_GLOBAL__N_18offset_tEEE10hipError_tPvRmT1_PNSt15iterator_traitsISY_E10value_typeET2_T3_PNSZ_IS14_E10value_typeET4_jRbjT5_S1A_jjP12ihipStream_tbEUljE_EEESV_SW_SX_S14_S18_S1A_T6_T7_T9_mT8_S1C_bDpT10_ENKUlT_T0_E_clISt17integral_constantIbLb0EES1P_EEDaS1K_S1L_EUlS1K_E_NS1_11comp_targetILNS1_3genE4ELNS1_11target_archE910ELNS1_3gpuE8ELNS1_3repE0EEENS1_30default_config_static_selectorELNS0_4arch9wavefront6targetE0EEEvSY_
; %bb.0:
	.section	.rodata,"a",@progbits
	.p2align	6, 0x0
	.amdhsa_kernel _ZN7rocprim17ROCPRIM_400000_NS6detail17trampoline_kernelINS0_13select_configILj256ELj13ELNS0_17block_load_methodE3ELS4_3ELS4_3ELNS0_20block_scan_algorithmE0ELj4294967295EEENS1_25partition_config_selectorILNS1_17partition_subalgoE3EjNS0_10empty_typeEbEEZZNS1_14partition_implILS8_3ELb0ES6_jNS0_17counting_iteratorIjlEEPS9_SE_NS0_5tupleIJPjSE_EEENSF_IJSE_SE_EEES9_SG_JZNS1_25segmented_radix_sort_implINS0_14default_configELb1EPKdPdPKlPlN2at6native12_GLOBAL__N_18offset_tEEE10hipError_tPvRmT1_PNSt15iterator_traitsISY_E10value_typeET2_T3_PNSZ_IS14_E10value_typeET4_jRbjT5_S1A_jjP12ihipStream_tbEUljE_EEESV_SW_SX_S14_S18_S1A_T6_T7_T9_mT8_S1C_bDpT10_ENKUlT_T0_E_clISt17integral_constantIbLb0EES1P_EEDaS1K_S1L_EUlS1K_E_NS1_11comp_targetILNS1_3genE4ELNS1_11target_archE910ELNS1_3gpuE8ELNS1_3repE0EEENS1_30default_config_static_selectorELNS0_4arch9wavefront6targetE0EEEvSY_
		.amdhsa_group_segment_fixed_size 0
		.amdhsa_private_segment_fixed_size 0
		.amdhsa_kernarg_size 144
		.amdhsa_user_sgpr_count 2
		.amdhsa_user_sgpr_dispatch_ptr 0
		.amdhsa_user_sgpr_queue_ptr 0
		.amdhsa_user_sgpr_kernarg_segment_ptr 1
		.amdhsa_user_sgpr_dispatch_id 0
		.amdhsa_user_sgpr_kernarg_preload_length 0
		.amdhsa_user_sgpr_kernarg_preload_offset 0
		.amdhsa_user_sgpr_private_segment_size 0
		.amdhsa_wavefront_size32 1
		.amdhsa_uses_dynamic_stack 0
		.amdhsa_enable_private_segment 0
		.amdhsa_system_sgpr_workgroup_id_x 1
		.amdhsa_system_sgpr_workgroup_id_y 0
		.amdhsa_system_sgpr_workgroup_id_z 0
		.amdhsa_system_sgpr_workgroup_info 0
		.amdhsa_system_vgpr_workitem_id 0
		.amdhsa_next_free_vgpr 1
		.amdhsa_next_free_sgpr 1
		.amdhsa_named_barrier_count 0
		.amdhsa_reserve_vcc 0
		.amdhsa_float_round_mode_32 0
		.amdhsa_float_round_mode_16_64 0
		.amdhsa_float_denorm_mode_32 3
		.amdhsa_float_denorm_mode_16_64 3
		.amdhsa_fp16_overflow 0
		.amdhsa_memory_ordered 1
		.amdhsa_forward_progress 1
		.amdhsa_inst_pref_size 0
		.amdhsa_round_robin_scheduling 0
		.amdhsa_exception_fp_ieee_invalid_op 0
		.amdhsa_exception_fp_denorm_src 0
		.amdhsa_exception_fp_ieee_div_zero 0
		.amdhsa_exception_fp_ieee_overflow 0
		.amdhsa_exception_fp_ieee_underflow 0
		.amdhsa_exception_fp_ieee_inexact 0
		.amdhsa_exception_int_div_zero 0
	.end_amdhsa_kernel
	.section	.text._ZN7rocprim17ROCPRIM_400000_NS6detail17trampoline_kernelINS0_13select_configILj256ELj13ELNS0_17block_load_methodE3ELS4_3ELS4_3ELNS0_20block_scan_algorithmE0ELj4294967295EEENS1_25partition_config_selectorILNS1_17partition_subalgoE3EjNS0_10empty_typeEbEEZZNS1_14partition_implILS8_3ELb0ES6_jNS0_17counting_iteratorIjlEEPS9_SE_NS0_5tupleIJPjSE_EEENSF_IJSE_SE_EEES9_SG_JZNS1_25segmented_radix_sort_implINS0_14default_configELb1EPKdPdPKlPlN2at6native12_GLOBAL__N_18offset_tEEE10hipError_tPvRmT1_PNSt15iterator_traitsISY_E10value_typeET2_T3_PNSZ_IS14_E10value_typeET4_jRbjT5_S1A_jjP12ihipStream_tbEUljE_EEESV_SW_SX_S14_S18_S1A_T6_T7_T9_mT8_S1C_bDpT10_ENKUlT_T0_E_clISt17integral_constantIbLb0EES1P_EEDaS1K_S1L_EUlS1K_E_NS1_11comp_targetILNS1_3genE4ELNS1_11target_archE910ELNS1_3gpuE8ELNS1_3repE0EEENS1_30default_config_static_selectorELNS0_4arch9wavefront6targetE0EEEvSY_,"axG",@progbits,_ZN7rocprim17ROCPRIM_400000_NS6detail17trampoline_kernelINS0_13select_configILj256ELj13ELNS0_17block_load_methodE3ELS4_3ELS4_3ELNS0_20block_scan_algorithmE0ELj4294967295EEENS1_25partition_config_selectorILNS1_17partition_subalgoE3EjNS0_10empty_typeEbEEZZNS1_14partition_implILS8_3ELb0ES6_jNS0_17counting_iteratorIjlEEPS9_SE_NS0_5tupleIJPjSE_EEENSF_IJSE_SE_EEES9_SG_JZNS1_25segmented_radix_sort_implINS0_14default_configELb1EPKdPdPKlPlN2at6native12_GLOBAL__N_18offset_tEEE10hipError_tPvRmT1_PNSt15iterator_traitsISY_E10value_typeET2_T3_PNSZ_IS14_E10value_typeET4_jRbjT5_S1A_jjP12ihipStream_tbEUljE_EEESV_SW_SX_S14_S18_S1A_T6_T7_T9_mT8_S1C_bDpT10_ENKUlT_T0_E_clISt17integral_constantIbLb0EES1P_EEDaS1K_S1L_EUlS1K_E_NS1_11comp_targetILNS1_3genE4ELNS1_11target_archE910ELNS1_3gpuE8ELNS1_3repE0EEENS1_30default_config_static_selectorELNS0_4arch9wavefront6targetE0EEEvSY_,comdat
.Lfunc_end1082:
	.size	_ZN7rocprim17ROCPRIM_400000_NS6detail17trampoline_kernelINS0_13select_configILj256ELj13ELNS0_17block_load_methodE3ELS4_3ELS4_3ELNS0_20block_scan_algorithmE0ELj4294967295EEENS1_25partition_config_selectorILNS1_17partition_subalgoE3EjNS0_10empty_typeEbEEZZNS1_14partition_implILS8_3ELb0ES6_jNS0_17counting_iteratorIjlEEPS9_SE_NS0_5tupleIJPjSE_EEENSF_IJSE_SE_EEES9_SG_JZNS1_25segmented_radix_sort_implINS0_14default_configELb1EPKdPdPKlPlN2at6native12_GLOBAL__N_18offset_tEEE10hipError_tPvRmT1_PNSt15iterator_traitsISY_E10value_typeET2_T3_PNSZ_IS14_E10value_typeET4_jRbjT5_S1A_jjP12ihipStream_tbEUljE_EEESV_SW_SX_S14_S18_S1A_T6_T7_T9_mT8_S1C_bDpT10_ENKUlT_T0_E_clISt17integral_constantIbLb0EES1P_EEDaS1K_S1L_EUlS1K_E_NS1_11comp_targetILNS1_3genE4ELNS1_11target_archE910ELNS1_3gpuE8ELNS1_3repE0EEENS1_30default_config_static_selectorELNS0_4arch9wavefront6targetE0EEEvSY_, .Lfunc_end1082-_ZN7rocprim17ROCPRIM_400000_NS6detail17trampoline_kernelINS0_13select_configILj256ELj13ELNS0_17block_load_methodE3ELS4_3ELS4_3ELNS0_20block_scan_algorithmE0ELj4294967295EEENS1_25partition_config_selectorILNS1_17partition_subalgoE3EjNS0_10empty_typeEbEEZZNS1_14partition_implILS8_3ELb0ES6_jNS0_17counting_iteratorIjlEEPS9_SE_NS0_5tupleIJPjSE_EEENSF_IJSE_SE_EEES9_SG_JZNS1_25segmented_radix_sort_implINS0_14default_configELb1EPKdPdPKlPlN2at6native12_GLOBAL__N_18offset_tEEE10hipError_tPvRmT1_PNSt15iterator_traitsISY_E10value_typeET2_T3_PNSZ_IS14_E10value_typeET4_jRbjT5_S1A_jjP12ihipStream_tbEUljE_EEESV_SW_SX_S14_S18_S1A_T6_T7_T9_mT8_S1C_bDpT10_ENKUlT_T0_E_clISt17integral_constantIbLb0EES1P_EEDaS1K_S1L_EUlS1K_E_NS1_11comp_targetILNS1_3genE4ELNS1_11target_archE910ELNS1_3gpuE8ELNS1_3repE0EEENS1_30default_config_static_selectorELNS0_4arch9wavefront6targetE0EEEvSY_
                                        ; -- End function
	.set _ZN7rocprim17ROCPRIM_400000_NS6detail17trampoline_kernelINS0_13select_configILj256ELj13ELNS0_17block_load_methodE3ELS4_3ELS4_3ELNS0_20block_scan_algorithmE0ELj4294967295EEENS1_25partition_config_selectorILNS1_17partition_subalgoE3EjNS0_10empty_typeEbEEZZNS1_14partition_implILS8_3ELb0ES6_jNS0_17counting_iteratorIjlEEPS9_SE_NS0_5tupleIJPjSE_EEENSF_IJSE_SE_EEES9_SG_JZNS1_25segmented_radix_sort_implINS0_14default_configELb1EPKdPdPKlPlN2at6native12_GLOBAL__N_18offset_tEEE10hipError_tPvRmT1_PNSt15iterator_traitsISY_E10value_typeET2_T3_PNSZ_IS14_E10value_typeET4_jRbjT5_S1A_jjP12ihipStream_tbEUljE_EEESV_SW_SX_S14_S18_S1A_T6_T7_T9_mT8_S1C_bDpT10_ENKUlT_T0_E_clISt17integral_constantIbLb0EES1P_EEDaS1K_S1L_EUlS1K_E_NS1_11comp_targetILNS1_3genE4ELNS1_11target_archE910ELNS1_3gpuE8ELNS1_3repE0EEENS1_30default_config_static_selectorELNS0_4arch9wavefront6targetE0EEEvSY_.num_vgpr, 0
	.set _ZN7rocprim17ROCPRIM_400000_NS6detail17trampoline_kernelINS0_13select_configILj256ELj13ELNS0_17block_load_methodE3ELS4_3ELS4_3ELNS0_20block_scan_algorithmE0ELj4294967295EEENS1_25partition_config_selectorILNS1_17partition_subalgoE3EjNS0_10empty_typeEbEEZZNS1_14partition_implILS8_3ELb0ES6_jNS0_17counting_iteratorIjlEEPS9_SE_NS0_5tupleIJPjSE_EEENSF_IJSE_SE_EEES9_SG_JZNS1_25segmented_radix_sort_implINS0_14default_configELb1EPKdPdPKlPlN2at6native12_GLOBAL__N_18offset_tEEE10hipError_tPvRmT1_PNSt15iterator_traitsISY_E10value_typeET2_T3_PNSZ_IS14_E10value_typeET4_jRbjT5_S1A_jjP12ihipStream_tbEUljE_EEESV_SW_SX_S14_S18_S1A_T6_T7_T9_mT8_S1C_bDpT10_ENKUlT_T0_E_clISt17integral_constantIbLb0EES1P_EEDaS1K_S1L_EUlS1K_E_NS1_11comp_targetILNS1_3genE4ELNS1_11target_archE910ELNS1_3gpuE8ELNS1_3repE0EEENS1_30default_config_static_selectorELNS0_4arch9wavefront6targetE0EEEvSY_.num_agpr, 0
	.set _ZN7rocprim17ROCPRIM_400000_NS6detail17trampoline_kernelINS0_13select_configILj256ELj13ELNS0_17block_load_methodE3ELS4_3ELS4_3ELNS0_20block_scan_algorithmE0ELj4294967295EEENS1_25partition_config_selectorILNS1_17partition_subalgoE3EjNS0_10empty_typeEbEEZZNS1_14partition_implILS8_3ELb0ES6_jNS0_17counting_iteratorIjlEEPS9_SE_NS0_5tupleIJPjSE_EEENSF_IJSE_SE_EEES9_SG_JZNS1_25segmented_radix_sort_implINS0_14default_configELb1EPKdPdPKlPlN2at6native12_GLOBAL__N_18offset_tEEE10hipError_tPvRmT1_PNSt15iterator_traitsISY_E10value_typeET2_T3_PNSZ_IS14_E10value_typeET4_jRbjT5_S1A_jjP12ihipStream_tbEUljE_EEESV_SW_SX_S14_S18_S1A_T6_T7_T9_mT8_S1C_bDpT10_ENKUlT_T0_E_clISt17integral_constantIbLb0EES1P_EEDaS1K_S1L_EUlS1K_E_NS1_11comp_targetILNS1_3genE4ELNS1_11target_archE910ELNS1_3gpuE8ELNS1_3repE0EEENS1_30default_config_static_selectorELNS0_4arch9wavefront6targetE0EEEvSY_.numbered_sgpr, 0
	.set _ZN7rocprim17ROCPRIM_400000_NS6detail17trampoline_kernelINS0_13select_configILj256ELj13ELNS0_17block_load_methodE3ELS4_3ELS4_3ELNS0_20block_scan_algorithmE0ELj4294967295EEENS1_25partition_config_selectorILNS1_17partition_subalgoE3EjNS0_10empty_typeEbEEZZNS1_14partition_implILS8_3ELb0ES6_jNS0_17counting_iteratorIjlEEPS9_SE_NS0_5tupleIJPjSE_EEENSF_IJSE_SE_EEES9_SG_JZNS1_25segmented_radix_sort_implINS0_14default_configELb1EPKdPdPKlPlN2at6native12_GLOBAL__N_18offset_tEEE10hipError_tPvRmT1_PNSt15iterator_traitsISY_E10value_typeET2_T3_PNSZ_IS14_E10value_typeET4_jRbjT5_S1A_jjP12ihipStream_tbEUljE_EEESV_SW_SX_S14_S18_S1A_T6_T7_T9_mT8_S1C_bDpT10_ENKUlT_T0_E_clISt17integral_constantIbLb0EES1P_EEDaS1K_S1L_EUlS1K_E_NS1_11comp_targetILNS1_3genE4ELNS1_11target_archE910ELNS1_3gpuE8ELNS1_3repE0EEENS1_30default_config_static_selectorELNS0_4arch9wavefront6targetE0EEEvSY_.num_named_barrier, 0
	.set _ZN7rocprim17ROCPRIM_400000_NS6detail17trampoline_kernelINS0_13select_configILj256ELj13ELNS0_17block_load_methodE3ELS4_3ELS4_3ELNS0_20block_scan_algorithmE0ELj4294967295EEENS1_25partition_config_selectorILNS1_17partition_subalgoE3EjNS0_10empty_typeEbEEZZNS1_14partition_implILS8_3ELb0ES6_jNS0_17counting_iteratorIjlEEPS9_SE_NS0_5tupleIJPjSE_EEENSF_IJSE_SE_EEES9_SG_JZNS1_25segmented_radix_sort_implINS0_14default_configELb1EPKdPdPKlPlN2at6native12_GLOBAL__N_18offset_tEEE10hipError_tPvRmT1_PNSt15iterator_traitsISY_E10value_typeET2_T3_PNSZ_IS14_E10value_typeET4_jRbjT5_S1A_jjP12ihipStream_tbEUljE_EEESV_SW_SX_S14_S18_S1A_T6_T7_T9_mT8_S1C_bDpT10_ENKUlT_T0_E_clISt17integral_constantIbLb0EES1P_EEDaS1K_S1L_EUlS1K_E_NS1_11comp_targetILNS1_3genE4ELNS1_11target_archE910ELNS1_3gpuE8ELNS1_3repE0EEENS1_30default_config_static_selectorELNS0_4arch9wavefront6targetE0EEEvSY_.private_seg_size, 0
	.set _ZN7rocprim17ROCPRIM_400000_NS6detail17trampoline_kernelINS0_13select_configILj256ELj13ELNS0_17block_load_methodE3ELS4_3ELS4_3ELNS0_20block_scan_algorithmE0ELj4294967295EEENS1_25partition_config_selectorILNS1_17partition_subalgoE3EjNS0_10empty_typeEbEEZZNS1_14partition_implILS8_3ELb0ES6_jNS0_17counting_iteratorIjlEEPS9_SE_NS0_5tupleIJPjSE_EEENSF_IJSE_SE_EEES9_SG_JZNS1_25segmented_radix_sort_implINS0_14default_configELb1EPKdPdPKlPlN2at6native12_GLOBAL__N_18offset_tEEE10hipError_tPvRmT1_PNSt15iterator_traitsISY_E10value_typeET2_T3_PNSZ_IS14_E10value_typeET4_jRbjT5_S1A_jjP12ihipStream_tbEUljE_EEESV_SW_SX_S14_S18_S1A_T6_T7_T9_mT8_S1C_bDpT10_ENKUlT_T0_E_clISt17integral_constantIbLb0EES1P_EEDaS1K_S1L_EUlS1K_E_NS1_11comp_targetILNS1_3genE4ELNS1_11target_archE910ELNS1_3gpuE8ELNS1_3repE0EEENS1_30default_config_static_selectorELNS0_4arch9wavefront6targetE0EEEvSY_.uses_vcc, 0
	.set _ZN7rocprim17ROCPRIM_400000_NS6detail17trampoline_kernelINS0_13select_configILj256ELj13ELNS0_17block_load_methodE3ELS4_3ELS4_3ELNS0_20block_scan_algorithmE0ELj4294967295EEENS1_25partition_config_selectorILNS1_17partition_subalgoE3EjNS0_10empty_typeEbEEZZNS1_14partition_implILS8_3ELb0ES6_jNS0_17counting_iteratorIjlEEPS9_SE_NS0_5tupleIJPjSE_EEENSF_IJSE_SE_EEES9_SG_JZNS1_25segmented_radix_sort_implINS0_14default_configELb1EPKdPdPKlPlN2at6native12_GLOBAL__N_18offset_tEEE10hipError_tPvRmT1_PNSt15iterator_traitsISY_E10value_typeET2_T3_PNSZ_IS14_E10value_typeET4_jRbjT5_S1A_jjP12ihipStream_tbEUljE_EEESV_SW_SX_S14_S18_S1A_T6_T7_T9_mT8_S1C_bDpT10_ENKUlT_T0_E_clISt17integral_constantIbLb0EES1P_EEDaS1K_S1L_EUlS1K_E_NS1_11comp_targetILNS1_3genE4ELNS1_11target_archE910ELNS1_3gpuE8ELNS1_3repE0EEENS1_30default_config_static_selectorELNS0_4arch9wavefront6targetE0EEEvSY_.uses_flat_scratch, 0
	.set _ZN7rocprim17ROCPRIM_400000_NS6detail17trampoline_kernelINS0_13select_configILj256ELj13ELNS0_17block_load_methodE3ELS4_3ELS4_3ELNS0_20block_scan_algorithmE0ELj4294967295EEENS1_25partition_config_selectorILNS1_17partition_subalgoE3EjNS0_10empty_typeEbEEZZNS1_14partition_implILS8_3ELb0ES6_jNS0_17counting_iteratorIjlEEPS9_SE_NS0_5tupleIJPjSE_EEENSF_IJSE_SE_EEES9_SG_JZNS1_25segmented_radix_sort_implINS0_14default_configELb1EPKdPdPKlPlN2at6native12_GLOBAL__N_18offset_tEEE10hipError_tPvRmT1_PNSt15iterator_traitsISY_E10value_typeET2_T3_PNSZ_IS14_E10value_typeET4_jRbjT5_S1A_jjP12ihipStream_tbEUljE_EEESV_SW_SX_S14_S18_S1A_T6_T7_T9_mT8_S1C_bDpT10_ENKUlT_T0_E_clISt17integral_constantIbLb0EES1P_EEDaS1K_S1L_EUlS1K_E_NS1_11comp_targetILNS1_3genE4ELNS1_11target_archE910ELNS1_3gpuE8ELNS1_3repE0EEENS1_30default_config_static_selectorELNS0_4arch9wavefront6targetE0EEEvSY_.has_dyn_sized_stack, 0
	.set _ZN7rocprim17ROCPRIM_400000_NS6detail17trampoline_kernelINS0_13select_configILj256ELj13ELNS0_17block_load_methodE3ELS4_3ELS4_3ELNS0_20block_scan_algorithmE0ELj4294967295EEENS1_25partition_config_selectorILNS1_17partition_subalgoE3EjNS0_10empty_typeEbEEZZNS1_14partition_implILS8_3ELb0ES6_jNS0_17counting_iteratorIjlEEPS9_SE_NS0_5tupleIJPjSE_EEENSF_IJSE_SE_EEES9_SG_JZNS1_25segmented_radix_sort_implINS0_14default_configELb1EPKdPdPKlPlN2at6native12_GLOBAL__N_18offset_tEEE10hipError_tPvRmT1_PNSt15iterator_traitsISY_E10value_typeET2_T3_PNSZ_IS14_E10value_typeET4_jRbjT5_S1A_jjP12ihipStream_tbEUljE_EEESV_SW_SX_S14_S18_S1A_T6_T7_T9_mT8_S1C_bDpT10_ENKUlT_T0_E_clISt17integral_constantIbLb0EES1P_EEDaS1K_S1L_EUlS1K_E_NS1_11comp_targetILNS1_3genE4ELNS1_11target_archE910ELNS1_3gpuE8ELNS1_3repE0EEENS1_30default_config_static_selectorELNS0_4arch9wavefront6targetE0EEEvSY_.has_recursion, 0
	.set _ZN7rocprim17ROCPRIM_400000_NS6detail17trampoline_kernelINS0_13select_configILj256ELj13ELNS0_17block_load_methodE3ELS4_3ELS4_3ELNS0_20block_scan_algorithmE0ELj4294967295EEENS1_25partition_config_selectorILNS1_17partition_subalgoE3EjNS0_10empty_typeEbEEZZNS1_14partition_implILS8_3ELb0ES6_jNS0_17counting_iteratorIjlEEPS9_SE_NS0_5tupleIJPjSE_EEENSF_IJSE_SE_EEES9_SG_JZNS1_25segmented_radix_sort_implINS0_14default_configELb1EPKdPdPKlPlN2at6native12_GLOBAL__N_18offset_tEEE10hipError_tPvRmT1_PNSt15iterator_traitsISY_E10value_typeET2_T3_PNSZ_IS14_E10value_typeET4_jRbjT5_S1A_jjP12ihipStream_tbEUljE_EEESV_SW_SX_S14_S18_S1A_T6_T7_T9_mT8_S1C_bDpT10_ENKUlT_T0_E_clISt17integral_constantIbLb0EES1P_EEDaS1K_S1L_EUlS1K_E_NS1_11comp_targetILNS1_3genE4ELNS1_11target_archE910ELNS1_3gpuE8ELNS1_3repE0EEENS1_30default_config_static_selectorELNS0_4arch9wavefront6targetE0EEEvSY_.has_indirect_call, 0
	.section	.AMDGPU.csdata,"",@progbits
; Kernel info:
; codeLenInByte = 0
; TotalNumSgprs: 0
; NumVgprs: 0
; ScratchSize: 0
; MemoryBound: 0
; FloatMode: 240
; IeeeMode: 1
; LDSByteSize: 0 bytes/workgroup (compile time only)
; SGPRBlocks: 0
; VGPRBlocks: 0
; NumSGPRsForWavesPerEU: 1
; NumVGPRsForWavesPerEU: 1
; NamedBarCnt: 0
; Occupancy: 16
; WaveLimiterHint : 0
; COMPUTE_PGM_RSRC2:SCRATCH_EN: 0
; COMPUTE_PGM_RSRC2:USER_SGPR: 2
; COMPUTE_PGM_RSRC2:TRAP_HANDLER: 0
; COMPUTE_PGM_RSRC2:TGID_X_EN: 1
; COMPUTE_PGM_RSRC2:TGID_Y_EN: 0
; COMPUTE_PGM_RSRC2:TGID_Z_EN: 0
; COMPUTE_PGM_RSRC2:TIDIG_COMP_CNT: 0
	.section	.text._ZN7rocprim17ROCPRIM_400000_NS6detail17trampoline_kernelINS0_13select_configILj256ELj13ELNS0_17block_load_methodE3ELS4_3ELS4_3ELNS0_20block_scan_algorithmE0ELj4294967295EEENS1_25partition_config_selectorILNS1_17partition_subalgoE3EjNS0_10empty_typeEbEEZZNS1_14partition_implILS8_3ELb0ES6_jNS0_17counting_iteratorIjlEEPS9_SE_NS0_5tupleIJPjSE_EEENSF_IJSE_SE_EEES9_SG_JZNS1_25segmented_radix_sort_implINS0_14default_configELb1EPKdPdPKlPlN2at6native12_GLOBAL__N_18offset_tEEE10hipError_tPvRmT1_PNSt15iterator_traitsISY_E10value_typeET2_T3_PNSZ_IS14_E10value_typeET4_jRbjT5_S1A_jjP12ihipStream_tbEUljE_EEESV_SW_SX_S14_S18_S1A_T6_T7_T9_mT8_S1C_bDpT10_ENKUlT_T0_E_clISt17integral_constantIbLb0EES1P_EEDaS1K_S1L_EUlS1K_E_NS1_11comp_targetILNS1_3genE3ELNS1_11target_archE908ELNS1_3gpuE7ELNS1_3repE0EEENS1_30default_config_static_selectorELNS0_4arch9wavefront6targetE0EEEvSY_,"axG",@progbits,_ZN7rocprim17ROCPRIM_400000_NS6detail17trampoline_kernelINS0_13select_configILj256ELj13ELNS0_17block_load_methodE3ELS4_3ELS4_3ELNS0_20block_scan_algorithmE0ELj4294967295EEENS1_25partition_config_selectorILNS1_17partition_subalgoE3EjNS0_10empty_typeEbEEZZNS1_14partition_implILS8_3ELb0ES6_jNS0_17counting_iteratorIjlEEPS9_SE_NS0_5tupleIJPjSE_EEENSF_IJSE_SE_EEES9_SG_JZNS1_25segmented_radix_sort_implINS0_14default_configELb1EPKdPdPKlPlN2at6native12_GLOBAL__N_18offset_tEEE10hipError_tPvRmT1_PNSt15iterator_traitsISY_E10value_typeET2_T3_PNSZ_IS14_E10value_typeET4_jRbjT5_S1A_jjP12ihipStream_tbEUljE_EEESV_SW_SX_S14_S18_S1A_T6_T7_T9_mT8_S1C_bDpT10_ENKUlT_T0_E_clISt17integral_constantIbLb0EES1P_EEDaS1K_S1L_EUlS1K_E_NS1_11comp_targetILNS1_3genE3ELNS1_11target_archE908ELNS1_3gpuE7ELNS1_3repE0EEENS1_30default_config_static_selectorELNS0_4arch9wavefront6targetE0EEEvSY_,comdat
	.globl	_ZN7rocprim17ROCPRIM_400000_NS6detail17trampoline_kernelINS0_13select_configILj256ELj13ELNS0_17block_load_methodE3ELS4_3ELS4_3ELNS0_20block_scan_algorithmE0ELj4294967295EEENS1_25partition_config_selectorILNS1_17partition_subalgoE3EjNS0_10empty_typeEbEEZZNS1_14partition_implILS8_3ELb0ES6_jNS0_17counting_iteratorIjlEEPS9_SE_NS0_5tupleIJPjSE_EEENSF_IJSE_SE_EEES9_SG_JZNS1_25segmented_radix_sort_implINS0_14default_configELb1EPKdPdPKlPlN2at6native12_GLOBAL__N_18offset_tEEE10hipError_tPvRmT1_PNSt15iterator_traitsISY_E10value_typeET2_T3_PNSZ_IS14_E10value_typeET4_jRbjT5_S1A_jjP12ihipStream_tbEUljE_EEESV_SW_SX_S14_S18_S1A_T6_T7_T9_mT8_S1C_bDpT10_ENKUlT_T0_E_clISt17integral_constantIbLb0EES1P_EEDaS1K_S1L_EUlS1K_E_NS1_11comp_targetILNS1_3genE3ELNS1_11target_archE908ELNS1_3gpuE7ELNS1_3repE0EEENS1_30default_config_static_selectorELNS0_4arch9wavefront6targetE0EEEvSY_ ; -- Begin function _ZN7rocprim17ROCPRIM_400000_NS6detail17trampoline_kernelINS0_13select_configILj256ELj13ELNS0_17block_load_methodE3ELS4_3ELS4_3ELNS0_20block_scan_algorithmE0ELj4294967295EEENS1_25partition_config_selectorILNS1_17partition_subalgoE3EjNS0_10empty_typeEbEEZZNS1_14partition_implILS8_3ELb0ES6_jNS0_17counting_iteratorIjlEEPS9_SE_NS0_5tupleIJPjSE_EEENSF_IJSE_SE_EEES9_SG_JZNS1_25segmented_radix_sort_implINS0_14default_configELb1EPKdPdPKlPlN2at6native12_GLOBAL__N_18offset_tEEE10hipError_tPvRmT1_PNSt15iterator_traitsISY_E10value_typeET2_T3_PNSZ_IS14_E10value_typeET4_jRbjT5_S1A_jjP12ihipStream_tbEUljE_EEESV_SW_SX_S14_S18_S1A_T6_T7_T9_mT8_S1C_bDpT10_ENKUlT_T0_E_clISt17integral_constantIbLb0EES1P_EEDaS1K_S1L_EUlS1K_E_NS1_11comp_targetILNS1_3genE3ELNS1_11target_archE908ELNS1_3gpuE7ELNS1_3repE0EEENS1_30default_config_static_selectorELNS0_4arch9wavefront6targetE0EEEvSY_
	.p2align	8
	.type	_ZN7rocprim17ROCPRIM_400000_NS6detail17trampoline_kernelINS0_13select_configILj256ELj13ELNS0_17block_load_methodE3ELS4_3ELS4_3ELNS0_20block_scan_algorithmE0ELj4294967295EEENS1_25partition_config_selectorILNS1_17partition_subalgoE3EjNS0_10empty_typeEbEEZZNS1_14partition_implILS8_3ELb0ES6_jNS0_17counting_iteratorIjlEEPS9_SE_NS0_5tupleIJPjSE_EEENSF_IJSE_SE_EEES9_SG_JZNS1_25segmented_radix_sort_implINS0_14default_configELb1EPKdPdPKlPlN2at6native12_GLOBAL__N_18offset_tEEE10hipError_tPvRmT1_PNSt15iterator_traitsISY_E10value_typeET2_T3_PNSZ_IS14_E10value_typeET4_jRbjT5_S1A_jjP12ihipStream_tbEUljE_EEESV_SW_SX_S14_S18_S1A_T6_T7_T9_mT8_S1C_bDpT10_ENKUlT_T0_E_clISt17integral_constantIbLb0EES1P_EEDaS1K_S1L_EUlS1K_E_NS1_11comp_targetILNS1_3genE3ELNS1_11target_archE908ELNS1_3gpuE7ELNS1_3repE0EEENS1_30default_config_static_selectorELNS0_4arch9wavefront6targetE0EEEvSY_,@function
_ZN7rocprim17ROCPRIM_400000_NS6detail17trampoline_kernelINS0_13select_configILj256ELj13ELNS0_17block_load_methodE3ELS4_3ELS4_3ELNS0_20block_scan_algorithmE0ELj4294967295EEENS1_25partition_config_selectorILNS1_17partition_subalgoE3EjNS0_10empty_typeEbEEZZNS1_14partition_implILS8_3ELb0ES6_jNS0_17counting_iteratorIjlEEPS9_SE_NS0_5tupleIJPjSE_EEENSF_IJSE_SE_EEES9_SG_JZNS1_25segmented_radix_sort_implINS0_14default_configELb1EPKdPdPKlPlN2at6native12_GLOBAL__N_18offset_tEEE10hipError_tPvRmT1_PNSt15iterator_traitsISY_E10value_typeET2_T3_PNSZ_IS14_E10value_typeET4_jRbjT5_S1A_jjP12ihipStream_tbEUljE_EEESV_SW_SX_S14_S18_S1A_T6_T7_T9_mT8_S1C_bDpT10_ENKUlT_T0_E_clISt17integral_constantIbLb0EES1P_EEDaS1K_S1L_EUlS1K_E_NS1_11comp_targetILNS1_3genE3ELNS1_11target_archE908ELNS1_3gpuE7ELNS1_3repE0EEENS1_30default_config_static_selectorELNS0_4arch9wavefront6targetE0EEEvSY_: ; @_ZN7rocprim17ROCPRIM_400000_NS6detail17trampoline_kernelINS0_13select_configILj256ELj13ELNS0_17block_load_methodE3ELS4_3ELS4_3ELNS0_20block_scan_algorithmE0ELj4294967295EEENS1_25partition_config_selectorILNS1_17partition_subalgoE3EjNS0_10empty_typeEbEEZZNS1_14partition_implILS8_3ELb0ES6_jNS0_17counting_iteratorIjlEEPS9_SE_NS0_5tupleIJPjSE_EEENSF_IJSE_SE_EEES9_SG_JZNS1_25segmented_radix_sort_implINS0_14default_configELb1EPKdPdPKlPlN2at6native12_GLOBAL__N_18offset_tEEE10hipError_tPvRmT1_PNSt15iterator_traitsISY_E10value_typeET2_T3_PNSZ_IS14_E10value_typeET4_jRbjT5_S1A_jjP12ihipStream_tbEUljE_EEESV_SW_SX_S14_S18_S1A_T6_T7_T9_mT8_S1C_bDpT10_ENKUlT_T0_E_clISt17integral_constantIbLb0EES1P_EEDaS1K_S1L_EUlS1K_E_NS1_11comp_targetILNS1_3genE3ELNS1_11target_archE908ELNS1_3gpuE7ELNS1_3repE0EEENS1_30default_config_static_selectorELNS0_4arch9wavefront6targetE0EEEvSY_
; %bb.0:
	.section	.rodata,"a",@progbits
	.p2align	6, 0x0
	.amdhsa_kernel _ZN7rocprim17ROCPRIM_400000_NS6detail17trampoline_kernelINS0_13select_configILj256ELj13ELNS0_17block_load_methodE3ELS4_3ELS4_3ELNS0_20block_scan_algorithmE0ELj4294967295EEENS1_25partition_config_selectorILNS1_17partition_subalgoE3EjNS0_10empty_typeEbEEZZNS1_14partition_implILS8_3ELb0ES6_jNS0_17counting_iteratorIjlEEPS9_SE_NS0_5tupleIJPjSE_EEENSF_IJSE_SE_EEES9_SG_JZNS1_25segmented_radix_sort_implINS0_14default_configELb1EPKdPdPKlPlN2at6native12_GLOBAL__N_18offset_tEEE10hipError_tPvRmT1_PNSt15iterator_traitsISY_E10value_typeET2_T3_PNSZ_IS14_E10value_typeET4_jRbjT5_S1A_jjP12ihipStream_tbEUljE_EEESV_SW_SX_S14_S18_S1A_T6_T7_T9_mT8_S1C_bDpT10_ENKUlT_T0_E_clISt17integral_constantIbLb0EES1P_EEDaS1K_S1L_EUlS1K_E_NS1_11comp_targetILNS1_3genE3ELNS1_11target_archE908ELNS1_3gpuE7ELNS1_3repE0EEENS1_30default_config_static_selectorELNS0_4arch9wavefront6targetE0EEEvSY_
		.amdhsa_group_segment_fixed_size 0
		.amdhsa_private_segment_fixed_size 0
		.amdhsa_kernarg_size 144
		.amdhsa_user_sgpr_count 2
		.amdhsa_user_sgpr_dispatch_ptr 0
		.amdhsa_user_sgpr_queue_ptr 0
		.amdhsa_user_sgpr_kernarg_segment_ptr 1
		.amdhsa_user_sgpr_dispatch_id 0
		.amdhsa_user_sgpr_kernarg_preload_length 0
		.amdhsa_user_sgpr_kernarg_preload_offset 0
		.amdhsa_user_sgpr_private_segment_size 0
		.amdhsa_wavefront_size32 1
		.amdhsa_uses_dynamic_stack 0
		.amdhsa_enable_private_segment 0
		.amdhsa_system_sgpr_workgroup_id_x 1
		.amdhsa_system_sgpr_workgroup_id_y 0
		.amdhsa_system_sgpr_workgroup_id_z 0
		.amdhsa_system_sgpr_workgroup_info 0
		.amdhsa_system_vgpr_workitem_id 0
		.amdhsa_next_free_vgpr 1
		.amdhsa_next_free_sgpr 1
		.amdhsa_named_barrier_count 0
		.amdhsa_reserve_vcc 0
		.amdhsa_float_round_mode_32 0
		.amdhsa_float_round_mode_16_64 0
		.amdhsa_float_denorm_mode_32 3
		.amdhsa_float_denorm_mode_16_64 3
		.amdhsa_fp16_overflow 0
		.amdhsa_memory_ordered 1
		.amdhsa_forward_progress 1
		.amdhsa_inst_pref_size 0
		.amdhsa_round_robin_scheduling 0
		.amdhsa_exception_fp_ieee_invalid_op 0
		.amdhsa_exception_fp_denorm_src 0
		.amdhsa_exception_fp_ieee_div_zero 0
		.amdhsa_exception_fp_ieee_overflow 0
		.amdhsa_exception_fp_ieee_underflow 0
		.amdhsa_exception_fp_ieee_inexact 0
		.amdhsa_exception_int_div_zero 0
	.end_amdhsa_kernel
	.section	.text._ZN7rocprim17ROCPRIM_400000_NS6detail17trampoline_kernelINS0_13select_configILj256ELj13ELNS0_17block_load_methodE3ELS4_3ELS4_3ELNS0_20block_scan_algorithmE0ELj4294967295EEENS1_25partition_config_selectorILNS1_17partition_subalgoE3EjNS0_10empty_typeEbEEZZNS1_14partition_implILS8_3ELb0ES6_jNS0_17counting_iteratorIjlEEPS9_SE_NS0_5tupleIJPjSE_EEENSF_IJSE_SE_EEES9_SG_JZNS1_25segmented_radix_sort_implINS0_14default_configELb1EPKdPdPKlPlN2at6native12_GLOBAL__N_18offset_tEEE10hipError_tPvRmT1_PNSt15iterator_traitsISY_E10value_typeET2_T3_PNSZ_IS14_E10value_typeET4_jRbjT5_S1A_jjP12ihipStream_tbEUljE_EEESV_SW_SX_S14_S18_S1A_T6_T7_T9_mT8_S1C_bDpT10_ENKUlT_T0_E_clISt17integral_constantIbLb0EES1P_EEDaS1K_S1L_EUlS1K_E_NS1_11comp_targetILNS1_3genE3ELNS1_11target_archE908ELNS1_3gpuE7ELNS1_3repE0EEENS1_30default_config_static_selectorELNS0_4arch9wavefront6targetE0EEEvSY_,"axG",@progbits,_ZN7rocprim17ROCPRIM_400000_NS6detail17trampoline_kernelINS0_13select_configILj256ELj13ELNS0_17block_load_methodE3ELS4_3ELS4_3ELNS0_20block_scan_algorithmE0ELj4294967295EEENS1_25partition_config_selectorILNS1_17partition_subalgoE3EjNS0_10empty_typeEbEEZZNS1_14partition_implILS8_3ELb0ES6_jNS0_17counting_iteratorIjlEEPS9_SE_NS0_5tupleIJPjSE_EEENSF_IJSE_SE_EEES9_SG_JZNS1_25segmented_radix_sort_implINS0_14default_configELb1EPKdPdPKlPlN2at6native12_GLOBAL__N_18offset_tEEE10hipError_tPvRmT1_PNSt15iterator_traitsISY_E10value_typeET2_T3_PNSZ_IS14_E10value_typeET4_jRbjT5_S1A_jjP12ihipStream_tbEUljE_EEESV_SW_SX_S14_S18_S1A_T6_T7_T9_mT8_S1C_bDpT10_ENKUlT_T0_E_clISt17integral_constantIbLb0EES1P_EEDaS1K_S1L_EUlS1K_E_NS1_11comp_targetILNS1_3genE3ELNS1_11target_archE908ELNS1_3gpuE7ELNS1_3repE0EEENS1_30default_config_static_selectorELNS0_4arch9wavefront6targetE0EEEvSY_,comdat
.Lfunc_end1083:
	.size	_ZN7rocprim17ROCPRIM_400000_NS6detail17trampoline_kernelINS0_13select_configILj256ELj13ELNS0_17block_load_methodE3ELS4_3ELS4_3ELNS0_20block_scan_algorithmE0ELj4294967295EEENS1_25partition_config_selectorILNS1_17partition_subalgoE3EjNS0_10empty_typeEbEEZZNS1_14partition_implILS8_3ELb0ES6_jNS0_17counting_iteratorIjlEEPS9_SE_NS0_5tupleIJPjSE_EEENSF_IJSE_SE_EEES9_SG_JZNS1_25segmented_radix_sort_implINS0_14default_configELb1EPKdPdPKlPlN2at6native12_GLOBAL__N_18offset_tEEE10hipError_tPvRmT1_PNSt15iterator_traitsISY_E10value_typeET2_T3_PNSZ_IS14_E10value_typeET4_jRbjT5_S1A_jjP12ihipStream_tbEUljE_EEESV_SW_SX_S14_S18_S1A_T6_T7_T9_mT8_S1C_bDpT10_ENKUlT_T0_E_clISt17integral_constantIbLb0EES1P_EEDaS1K_S1L_EUlS1K_E_NS1_11comp_targetILNS1_3genE3ELNS1_11target_archE908ELNS1_3gpuE7ELNS1_3repE0EEENS1_30default_config_static_selectorELNS0_4arch9wavefront6targetE0EEEvSY_, .Lfunc_end1083-_ZN7rocprim17ROCPRIM_400000_NS6detail17trampoline_kernelINS0_13select_configILj256ELj13ELNS0_17block_load_methodE3ELS4_3ELS4_3ELNS0_20block_scan_algorithmE0ELj4294967295EEENS1_25partition_config_selectorILNS1_17partition_subalgoE3EjNS0_10empty_typeEbEEZZNS1_14partition_implILS8_3ELb0ES6_jNS0_17counting_iteratorIjlEEPS9_SE_NS0_5tupleIJPjSE_EEENSF_IJSE_SE_EEES9_SG_JZNS1_25segmented_radix_sort_implINS0_14default_configELb1EPKdPdPKlPlN2at6native12_GLOBAL__N_18offset_tEEE10hipError_tPvRmT1_PNSt15iterator_traitsISY_E10value_typeET2_T3_PNSZ_IS14_E10value_typeET4_jRbjT5_S1A_jjP12ihipStream_tbEUljE_EEESV_SW_SX_S14_S18_S1A_T6_T7_T9_mT8_S1C_bDpT10_ENKUlT_T0_E_clISt17integral_constantIbLb0EES1P_EEDaS1K_S1L_EUlS1K_E_NS1_11comp_targetILNS1_3genE3ELNS1_11target_archE908ELNS1_3gpuE7ELNS1_3repE0EEENS1_30default_config_static_selectorELNS0_4arch9wavefront6targetE0EEEvSY_
                                        ; -- End function
	.set _ZN7rocprim17ROCPRIM_400000_NS6detail17trampoline_kernelINS0_13select_configILj256ELj13ELNS0_17block_load_methodE3ELS4_3ELS4_3ELNS0_20block_scan_algorithmE0ELj4294967295EEENS1_25partition_config_selectorILNS1_17partition_subalgoE3EjNS0_10empty_typeEbEEZZNS1_14partition_implILS8_3ELb0ES6_jNS0_17counting_iteratorIjlEEPS9_SE_NS0_5tupleIJPjSE_EEENSF_IJSE_SE_EEES9_SG_JZNS1_25segmented_radix_sort_implINS0_14default_configELb1EPKdPdPKlPlN2at6native12_GLOBAL__N_18offset_tEEE10hipError_tPvRmT1_PNSt15iterator_traitsISY_E10value_typeET2_T3_PNSZ_IS14_E10value_typeET4_jRbjT5_S1A_jjP12ihipStream_tbEUljE_EEESV_SW_SX_S14_S18_S1A_T6_T7_T9_mT8_S1C_bDpT10_ENKUlT_T0_E_clISt17integral_constantIbLb0EES1P_EEDaS1K_S1L_EUlS1K_E_NS1_11comp_targetILNS1_3genE3ELNS1_11target_archE908ELNS1_3gpuE7ELNS1_3repE0EEENS1_30default_config_static_selectorELNS0_4arch9wavefront6targetE0EEEvSY_.num_vgpr, 0
	.set _ZN7rocprim17ROCPRIM_400000_NS6detail17trampoline_kernelINS0_13select_configILj256ELj13ELNS0_17block_load_methodE3ELS4_3ELS4_3ELNS0_20block_scan_algorithmE0ELj4294967295EEENS1_25partition_config_selectorILNS1_17partition_subalgoE3EjNS0_10empty_typeEbEEZZNS1_14partition_implILS8_3ELb0ES6_jNS0_17counting_iteratorIjlEEPS9_SE_NS0_5tupleIJPjSE_EEENSF_IJSE_SE_EEES9_SG_JZNS1_25segmented_radix_sort_implINS0_14default_configELb1EPKdPdPKlPlN2at6native12_GLOBAL__N_18offset_tEEE10hipError_tPvRmT1_PNSt15iterator_traitsISY_E10value_typeET2_T3_PNSZ_IS14_E10value_typeET4_jRbjT5_S1A_jjP12ihipStream_tbEUljE_EEESV_SW_SX_S14_S18_S1A_T6_T7_T9_mT8_S1C_bDpT10_ENKUlT_T0_E_clISt17integral_constantIbLb0EES1P_EEDaS1K_S1L_EUlS1K_E_NS1_11comp_targetILNS1_3genE3ELNS1_11target_archE908ELNS1_3gpuE7ELNS1_3repE0EEENS1_30default_config_static_selectorELNS0_4arch9wavefront6targetE0EEEvSY_.num_agpr, 0
	.set _ZN7rocprim17ROCPRIM_400000_NS6detail17trampoline_kernelINS0_13select_configILj256ELj13ELNS0_17block_load_methodE3ELS4_3ELS4_3ELNS0_20block_scan_algorithmE0ELj4294967295EEENS1_25partition_config_selectorILNS1_17partition_subalgoE3EjNS0_10empty_typeEbEEZZNS1_14partition_implILS8_3ELb0ES6_jNS0_17counting_iteratorIjlEEPS9_SE_NS0_5tupleIJPjSE_EEENSF_IJSE_SE_EEES9_SG_JZNS1_25segmented_radix_sort_implINS0_14default_configELb1EPKdPdPKlPlN2at6native12_GLOBAL__N_18offset_tEEE10hipError_tPvRmT1_PNSt15iterator_traitsISY_E10value_typeET2_T3_PNSZ_IS14_E10value_typeET4_jRbjT5_S1A_jjP12ihipStream_tbEUljE_EEESV_SW_SX_S14_S18_S1A_T6_T7_T9_mT8_S1C_bDpT10_ENKUlT_T0_E_clISt17integral_constantIbLb0EES1P_EEDaS1K_S1L_EUlS1K_E_NS1_11comp_targetILNS1_3genE3ELNS1_11target_archE908ELNS1_3gpuE7ELNS1_3repE0EEENS1_30default_config_static_selectorELNS0_4arch9wavefront6targetE0EEEvSY_.numbered_sgpr, 0
	.set _ZN7rocprim17ROCPRIM_400000_NS6detail17trampoline_kernelINS0_13select_configILj256ELj13ELNS0_17block_load_methodE3ELS4_3ELS4_3ELNS0_20block_scan_algorithmE0ELj4294967295EEENS1_25partition_config_selectorILNS1_17partition_subalgoE3EjNS0_10empty_typeEbEEZZNS1_14partition_implILS8_3ELb0ES6_jNS0_17counting_iteratorIjlEEPS9_SE_NS0_5tupleIJPjSE_EEENSF_IJSE_SE_EEES9_SG_JZNS1_25segmented_radix_sort_implINS0_14default_configELb1EPKdPdPKlPlN2at6native12_GLOBAL__N_18offset_tEEE10hipError_tPvRmT1_PNSt15iterator_traitsISY_E10value_typeET2_T3_PNSZ_IS14_E10value_typeET4_jRbjT5_S1A_jjP12ihipStream_tbEUljE_EEESV_SW_SX_S14_S18_S1A_T6_T7_T9_mT8_S1C_bDpT10_ENKUlT_T0_E_clISt17integral_constantIbLb0EES1P_EEDaS1K_S1L_EUlS1K_E_NS1_11comp_targetILNS1_3genE3ELNS1_11target_archE908ELNS1_3gpuE7ELNS1_3repE0EEENS1_30default_config_static_selectorELNS0_4arch9wavefront6targetE0EEEvSY_.num_named_barrier, 0
	.set _ZN7rocprim17ROCPRIM_400000_NS6detail17trampoline_kernelINS0_13select_configILj256ELj13ELNS0_17block_load_methodE3ELS4_3ELS4_3ELNS0_20block_scan_algorithmE0ELj4294967295EEENS1_25partition_config_selectorILNS1_17partition_subalgoE3EjNS0_10empty_typeEbEEZZNS1_14partition_implILS8_3ELb0ES6_jNS0_17counting_iteratorIjlEEPS9_SE_NS0_5tupleIJPjSE_EEENSF_IJSE_SE_EEES9_SG_JZNS1_25segmented_radix_sort_implINS0_14default_configELb1EPKdPdPKlPlN2at6native12_GLOBAL__N_18offset_tEEE10hipError_tPvRmT1_PNSt15iterator_traitsISY_E10value_typeET2_T3_PNSZ_IS14_E10value_typeET4_jRbjT5_S1A_jjP12ihipStream_tbEUljE_EEESV_SW_SX_S14_S18_S1A_T6_T7_T9_mT8_S1C_bDpT10_ENKUlT_T0_E_clISt17integral_constantIbLb0EES1P_EEDaS1K_S1L_EUlS1K_E_NS1_11comp_targetILNS1_3genE3ELNS1_11target_archE908ELNS1_3gpuE7ELNS1_3repE0EEENS1_30default_config_static_selectorELNS0_4arch9wavefront6targetE0EEEvSY_.private_seg_size, 0
	.set _ZN7rocprim17ROCPRIM_400000_NS6detail17trampoline_kernelINS0_13select_configILj256ELj13ELNS0_17block_load_methodE3ELS4_3ELS4_3ELNS0_20block_scan_algorithmE0ELj4294967295EEENS1_25partition_config_selectorILNS1_17partition_subalgoE3EjNS0_10empty_typeEbEEZZNS1_14partition_implILS8_3ELb0ES6_jNS0_17counting_iteratorIjlEEPS9_SE_NS0_5tupleIJPjSE_EEENSF_IJSE_SE_EEES9_SG_JZNS1_25segmented_radix_sort_implINS0_14default_configELb1EPKdPdPKlPlN2at6native12_GLOBAL__N_18offset_tEEE10hipError_tPvRmT1_PNSt15iterator_traitsISY_E10value_typeET2_T3_PNSZ_IS14_E10value_typeET4_jRbjT5_S1A_jjP12ihipStream_tbEUljE_EEESV_SW_SX_S14_S18_S1A_T6_T7_T9_mT8_S1C_bDpT10_ENKUlT_T0_E_clISt17integral_constantIbLb0EES1P_EEDaS1K_S1L_EUlS1K_E_NS1_11comp_targetILNS1_3genE3ELNS1_11target_archE908ELNS1_3gpuE7ELNS1_3repE0EEENS1_30default_config_static_selectorELNS0_4arch9wavefront6targetE0EEEvSY_.uses_vcc, 0
	.set _ZN7rocprim17ROCPRIM_400000_NS6detail17trampoline_kernelINS0_13select_configILj256ELj13ELNS0_17block_load_methodE3ELS4_3ELS4_3ELNS0_20block_scan_algorithmE0ELj4294967295EEENS1_25partition_config_selectorILNS1_17partition_subalgoE3EjNS0_10empty_typeEbEEZZNS1_14partition_implILS8_3ELb0ES6_jNS0_17counting_iteratorIjlEEPS9_SE_NS0_5tupleIJPjSE_EEENSF_IJSE_SE_EEES9_SG_JZNS1_25segmented_radix_sort_implINS0_14default_configELb1EPKdPdPKlPlN2at6native12_GLOBAL__N_18offset_tEEE10hipError_tPvRmT1_PNSt15iterator_traitsISY_E10value_typeET2_T3_PNSZ_IS14_E10value_typeET4_jRbjT5_S1A_jjP12ihipStream_tbEUljE_EEESV_SW_SX_S14_S18_S1A_T6_T7_T9_mT8_S1C_bDpT10_ENKUlT_T0_E_clISt17integral_constantIbLb0EES1P_EEDaS1K_S1L_EUlS1K_E_NS1_11comp_targetILNS1_3genE3ELNS1_11target_archE908ELNS1_3gpuE7ELNS1_3repE0EEENS1_30default_config_static_selectorELNS0_4arch9wavefront6targetE0EEEvSY_.uses_flat_scratch, 0
	.set _ZN7rocprim17ROCPRIM_400000_NS6detail17trampoline_kernelINS0_13select_configILj256ELj13ELNS0_17block_load_methodE3ELS4_3ELS4_3ELNS0_20block_scan_algorithmE0ELj4294967295EEENS1_25partition_config_selectorILNS1_17partition_subalgoE3EjNS0_10empty_typeEbEEZZNS1_14partition_implILS8_3ELb0ES6_jNS0_17counting_iteratorIjlEEPS9_SE_NS0_5tupleIJPjSE_EEENSF_IJSE_SE_EEES9_SG_JZNS1_25segmented_radix_sort_implINS0_14default_configELb1EPKdPdPKlPlN2at6native12_GLOBAL__N_18offset_tEEE10hipError_tPvRmT1_PNSt15iterator_traitsISY_E10value_typeET2_T3_PNSZ_IS14_E10value_typeET4_jRbjT5_S1A_jjP12ihipStream_tbEUljE_EEESV_SW_SX_S14_S18_S1A_T6_T7_T9_mT8_S1C_bDpT10_ENKUlT_T0_E_clISt17integral_constantIbLb0EES1P_EEDaS1K_S1L_EUlS1K_E_NS1_11comp_targetILNS1_3genE3ELNS1_11target_archE908ELNS1_3gpuE7ELNS1_3repE0EEENS1_30default_config_static_selectorELNS0_4arch9wavefront6targetE0EEEvSY_.has_dyn_sized_stack, 0
	.set _ZN7rocprim17ROCPRIM_400000_NS6detail17trampoline_kernelINS0_13select_configILj256ELj13ELNS0_17block_load_methodE3ELS4_3ELS4_3ELNS0_20block_scan_algorithmE0ELj4294967295EEENS1_25partition_config_selectorILNS1_17partition_subalgoE3EjNS0_10empty_typeEbEEZZNS1_14partition_implILS8_3ELb0ES6_jNS0_17counting_iteratorIjlEEPS9_SE_NS0_5tupleIJPjSE_EEENSF_IJSE_SE_EEES9_SG_JZNS1_25segmented_radix_sort_implINS0_14default_configELb1EPKdPdPKlPlN2at6native12_GLOBAL__N_18offset_tEEE10hipError_tPvRmT1_PNSt15iterator_traitsISY_E10value_typeET2_T3_PNSZ_IS14_E10value_typeET4_jRbjT5_S1A_jjP12ihipStream_tbEUljE_EEESV_SW_SX_S14_S18_S1A_T6_T7_T9_mT8_S1C_bDpT10_ENKUlT_T0_E_clISt17integral_constantIbLb0EES1P_EEDaS1K_S1L_EUlS1K_E_NS1_11comp_targetILNS1_3genE3ELNS1_11target_archE908ELNS1_3gpuE7ELNS1_3repE0EEENS1_30default_config_static_selectorELNS0_4arch9wavefront6targetE0EEEvSY_.has_recursion, 0
	.set _ZN7rocprim17ROCPRIM_400000_NS6detail17trampoline_kernelINS0_13select_configILj256ELj13ELNS0_17block_load_methodE3ELS4_3ELS4_3ELNS0_20block_scan_algorithmE0ELj4294967295EEENS1_25partition_config_selectorILNS1_17partition_subalgoE3EjNS0_10empty_typeEbEEZZNS1_14partition_implILS8_3ELb0ES6_jNS0_17counting_iteratorIjlEEPS9_SE_NS0_5tupleIJPjSE_EEENSF_IJSE_SE_EEES9_SG_JZNS1_25segmented_radix_sort_implINS0_14default_configELb1EPKdPdPKlPlN2at6native12_GLOBAL__N_18offset_tEEE10hipError_tPvRmT1_PNSt15iterator_traitsISY_E10value_typeET2_T3_PNSZ_IS14_E10value_typeET4_jRbjT5_S1A_jjP12ihipStream_tbEUljE_EEESV_SW_SX_S14_S18_S1A_T6_T7_T9_mT8_S1C_bDpT10_ENKUlT_T0_E_clISt17integral_constantIbLb0EES1P_EEDaS1K_S1L_EUlS1K_E_NS1_11comp_targetILNS1_3genE3ELNS1_11target_archE908ELNS1_3gpuE7ELNS1_3repE0EEENS1_30default_config_static_selectorELNS0_4arch9wavefront6targetE0EEEvSY_.has_indirect_call, 0
	.section	.AMDGPU.csdata,"",@progbits
; Kernel info:
; codeLenInByte = 0
; TotalNumSgprs: 0
; NumVgprs: 0
; ScratchSize: 0
; MemoryBound: 0
; FloatMode: 240
; IeeeMode: 1
; LDSByteSize: 0 bytes/workgroup (compile time only)
; SGPRBlocks: 0
; VGPRBlocks: 0
; NumSGPRsForWavesPerEU: 1
; NumVGPRsForWavesPerEU: 1
; NamedBarCnt: 0
; Occupancy: 16
; WaveLimiterHint : 0
; COMPUTE_PGM_RSRC2:SCRATCH_EN: 0
; COMPUTE_PGM_RSRC2:USER_SGPR: 2
; COMPUTE_PGM_RSRC2:TRAP_HANDLER: 0
; COMPUTE_PGM_RSRC2:TGID_X_EN: 1
; COMPUTE_PGM_RSRC2:TGID_Y_EN: 0
; COMPUTE_PGM_RSRC2:TGID_Z_EN: 0
; COMPUTE_PGM_RSRC2:TIDIG_COMP_CNT: 0
	.section	.text._ZN7rocprim17ROCPRIM_400000_NS6detail17trampoline_kernelINS0_13select_configILj256ELj13ELNS0_17block_load_methodE3ELS4_3ELS4_3ELNS0_20block_scan_algorithmE0ELj4294967295EEENS1_25partition_config_selectorILNS1_17partition_subalgoE3EjNS0_10empty_typeEbEEZZNS1_14partition_implILS8_3ELb0ES6_jNS0_17counting_iteratorIjlEEPS9_SE_NS0_5tupleIJPjSE_EEENSF_IJSE_SE_EEES9_SG_JZNS1_25segmented_radix_sort_implINS0_14default_configELb1EPKdPdPKlPlN2at6native12_GLOBAL__N_18offset_tEEE10hipError_tPvRmT1_PNSt15iterator_traitsISY_E10value_typeET2_T3_PNSZ_IS14_E10value_typeET4_jRbjT5_S1A_jjP12ihipStream_tbEUljE_EEESV_SW_SX_S14_S18_S1A_T6_T7_T9_mT8_S1C_bDpT10_ENKUlT_T0_E_clISt17integral_constantIbLb0EES1P_EEDaS1K_S1L_EUlS1K_E_NS1_11comp_targetILNS1_3genE2ELNS1_11target_archE906ELNS1_3gpuE6ELNS1_3repE0EEENS1_30default_config_static_selectorELNS0_4arch9wavefront6targetE0EEEvSY_,"axG",@progbits,_ZN7rocprim17ROCPRIM_400000_NS6detail17trampoline_kernelINS0_13select_configILj256ELj13ELNS0_17block_load_methodE3ELS4_3ELS4_3ELNS0_20block_scan_algorithmE0ELj4294967295EEENS1_25partition_config_selectorILNS1_17partition_subalgoE3EjNS0_10empty_typeEbEEZZNS1_14partition_implILS8_3ELb0ES6_jNS0_17counting_iteratorIjlEEPS9_SE_NS0_5tupleIJPjSE_EEENSF_IJSE_SE_EEES9_SG_JZNS1_25segmented_radix_sort_implINS0_14default_configELb1EPKdPdPKlPlN2at6native12_GLOBAL__N_18offset_tEEE10hipError_tPvRmT1_PNSt15iterator_traitsISY_E10value_typeET2_T3_PNSZ_IS14_E10value_typeET4_jRbjT5_S1A_jjP12ihipStream_tbEUljE_EEESV_SW_SX_S14_S18_S1A_T6_T7_T9_mT8_S1C_bDpT10_ENKUlT_T0_E_clISt17integral_constantIbLb0EES1P_EEDaS1K_S1L_EUlS1K_E_NS1_11comp_targetILNS1_3genE2ELNS1_11target_archE906ELNS1_3gpuE6ELNS1_3repE0EEENS1_30default_config_static_selectorELNS0_4arch9wavefront6targetE0EEEvSY_,comdat
	.globl	_ZN7rocprim17ROCPRIM_400000_NS6detail17trampoline_kernelINS0_13select_configILj256ELj13ELNS0_17block_load_methodE3ELS4_3ELS4_3ELNS0_20block_scan_algorithmE0ELj4294967295EEENS1_25partition_config_selectorILNS1_17partition_subalgoE3EjNS0_10empty_typeEbEEZZNS1_14partition_implILS8_3ELb0ES6_jNS0_17counting_iteratorIjlEEPS9_SE_NS0_5tupleIJPjSE_EEENSF_IJSE_SE_EEES9_SG_JZNS1_25segmented_radix_sort_implINS0_14default_configELb1EPKdPdPKlPlN2at6native12_GLOBAL__N_18offset_tEEE10hipError_tPvRmT1_PNSt15iterator_traitsISY_E10value_typeET2_T3_PNSZ_IS14_E10value_typeET4_jRbjT5_S1A_jjP12ihipStream_tbEUljE_EEESV_SW_SX_S14_S18_S1A_T6_T7_T9_mT8_S1C_bDpT10_ENKUlT_T0_E_clISt17integral_constantIbLb0EES1P_EEDaS1K_S1L_EUlS1K_E_NS1_11comp_targetILNS1_3genE2ELNS1_11target_archE906ELNS1_3gpuE6ELNS1_3repE0EEENS1_30default_config_static_selectorELNS0_4arch9wavefront6targetE0EEEvSY_ ; -- Begin function _ZN7rocprim17ROCPRIM_400000_NS6detail17trampoline_kernelINS0_13select_configILj256ELj13ELNS0_17block_load_methodE3ELS4_3ELS4_3ELNS0_20block_scan_algorithmE0ELj4294967295EEENS1_25partition_config_selectorILNS1_17partition_subalgoE3EjNS0_10empty_typeEbEEZZNS1_14partition_implILS8_3ELb0ES6_jNS0_17counting_iteratorIjlEEPS9_SE_NS0_5tupleIJPjSE_EEENSF_IJSE_SE_EEES9_SG_JZNS1_25segmented_radix_sort_implINS0_14default_configELb1EPKdPdPKlPlN2at6native12_GLOBAL__N_18offset_tEEE10hipError_tPvRmT1_PNSt15iterator_traitsISY_E10value_typeET2_T3_PNSZ_IS14_E10value_typeET4_jRbjT5_S1A_jjP12ihipStream_tbEUljE_EEESV_SW_SX_S14_S18_S1A_T6_T7_T9_mT8_S1C_bDpT10_ENKUlT_T0_E_clISt17integral_constantIbLb0EES1P_EEDaS1K_S1L_EUlS1K_E_NS1_11comp_targetILNS1_3genE2ELNS1_11target_archE906ELNS1_3gpuE6ELNS1_3repE0EEENS1_30default_config_static_selectorELNS0_4arch9wavefront6targetE0EEEvSY_
	.p2align	8
	.type	_ZN7rocprim17ROCPRIM_400000_NS6detail17trampoline_kernelINS0_13select_configILj256ELj13ELNS0_17block_load_methodE3ELS4_3ELS4_3ELNS0_20block_scan_algorithmE0ELj4294967295EEENS1_25partition_config_selectorILNS1_17partition_subalgoE3EjNS0_10empty_typeEbEEZZNS1_14partition_implILS8_3ELb0ES6_jNS0_17counting_iteratorIjlEEPS9_SE_NS0_5tupleIJPjSE_EEENSF_IJSE_SE_EEES9_SG_JZNS1_25segmented_radix_sort_implINS0_14default_configELb1EPKdPdPKlPlN2at6native12_GLOBAL__N_18offset_tEEE10hipError_tPvRmT1_PNSt15iterator_traitsISY_E10value_typeET2_T3_PNSZ_IS14_E10value_typeET4_jRbjT5_S1A_jjP12ihipStream_tbEUljE_EEESV_SW_SX_S14_S18_S1A_T6_T7_T9_mT8_S1C_bDpT10_ENKUlT_T0_E_clISt17integral_constantIbLb0EES1P_EEDaS1K_S1L_EUlS1K_E_NS1_11comp_targetILNS1_3genE2ELNS1_11target_archE906ELNS1_3gpuE6ELNS1_3repE0EEENS1_30default_config_static_selectorELNS0_4arch9wavefront6targetE0EEEvSY_,@function
_ZN7rocprim17ROCPRIM_400000_NS6detail17trampoline_kernelINS0_13select_configILj256ELj13ELNS0_17block_load_methodE3ELS4_3ELS4_3ELNS0_20block_scan_algorithmE0ELj4294967295EEENS1_25partition_config_selectorILNS1_17partition_subalgoE3EjNS0_10empty_typeEbEEZZNS1_14partition_implILS8_3ELb0ES6_jNS0_17counting_iteratorIjlEEPS9_SE_NS0_5tupleIJPjSE_EEENSF_IJSE_SE_EEES9_SG_JZNS1_25segmented_radix_sort_implINS0_14default_configELb1EPKdPdPKlPlN2at6native12_GLOBAL__N_18offset_tEEE10hipError_tPvRmT1_PNSt15iterator_traitsISY_E10value_typeET2_T3_PNSZ_IS14_E10value_typeET4_jRbjT5_S1A_jjP12ihipStream_tbEUljE_EEESV_SW_SX_S14_S18_S1A_T6_T7_T9_mT8_S1C_bDpT10_ENKUlT_T0_E_clISt17integral_constantIbLb0EES1P_EEDaS1K_S1L_EUlS1K_E_NS1_11comp_targetILNS1_3genE2ELNS1_11target_archE906ELNS1_3gpuE6ELNS1_3repE0EEENS1_30default_config_static_selectorELNS0_4arch9wavefront6targetE0EEEvSY_: ; @_ZN7rocprim17ROCPRIM_400000_NS6detail17trampoline_kernelINS0_13select_configILj256ELj13ELNS0_17block_load_methodE3ELS4_3ELS4_3ELNS0_20block_scan_algorithmE0ELj4294967295EEENS1_25partition_config_selectorILNS1_17partition_subalgoE3EjNS0_10empty_typeEbEEZZNS1_14partition_implILS8_3ELb0ES6_jNS0_17counting_iteratorIjlEEPS9_SE_NS0_5tupleIJPjSE_EEENSF_IJSE_SE_EEES9_SG_JZNS1_25segmented_radix_sort_implINS0_14default_configELb1EPKdPdPKlPlN2at6native12_GLOBAL__N_18offset_tEEE10hipError_tPvRmT1_PNSt15iterator_traitsISY_E10value_typeET2_T3_PNSZ_IS14_E10value_typeET4_jRbjT5_S1A_jjP12ihipStream_tbEUljE_EEESV_SW_SX_S14_S18_S1A_T6_T7_T9_mT8_S1C_bDpT10_ENKUlT_T0_E_clISt17integral_constantIbLb0EES1P_EEDaS1K_S1L_EUlS1K_E_NS1_11comp_targetILNS1_3genE2ELNS1_11target_archE906ELNS1_3gpuE6ELNS1_3repE0EEENS1_30default_config_static_selectorELNS0_4arch9wavefront6targetE0EEEvSY_
; %bb.0:
	.section	.rodata,"a",@progbits
	.p2align	6, 0x0
	.amdhsa_kernel _ZN7rocprim17ROCPRIM_400000_NS6detail17trampoline_kernelINS0_13select_configILj256ELj13ELNS0_17block_load_methodE3ELS4_3ELS4_3ELNS0_20block_scan_algorithmE0ELj4294967295EEENS1_25partition_config_selectorILNS1_17partition_subalgoE3EjNS0_10empty_typeEbEEZZNS1_14partition_implILS8_3ELb0ES6_jNS0_17counting_iteratorIjlEEPS9_SE_NS0_5tupleIJPjSE_EEENSF_IJSE_SE_EEES9_SG_JZNS1_25segmented_radix_sort_implINS0_14default_configELb1EPKdPdPKlPlN2at6native12_GLOBAL__N_18offset_tEEE10hipError_tPvRmT1_PNSt15iterator_traitsISY_E10value_typeET2_T3_PNSZ_IS14_E10value_typeET4_jRbjT5_S1A_jjP12ihipStream_tbEUljE_EEESV_SW_SX_S14_S18_S1A_T6_T7_T9_mT8_S1C_bDpT10_ENKUlT_T0_E_clISt17integral_constantIbLb0EES1P_EEDaS1K_S1L_EUlS1K_E_NS1_11comp_targetILNS1_3genE2ELNS1_11target_archE906ELNS1_3gpuE6ELNS1_3repE0EEENS1_30default_config_static_selectorELNS0_4arch9wavefront6targetE0EEEvSY_
		.amdhsa_group_segment_fixed_size 0
		.amdhsa_private_segment_fixed_size 0
		.amdhsa_kernarg_size 144
		.amdhsa_user_sgpr_count 2
		.amdhsa_user_sgpr_dispatch_ptr 0
		.amdhsa_user_sgpr_queue_ptr 0
		.amdhsa_user_sgpr_kernarg_segment_ptr 1
		.amdhsa_user_sgpr_dispatch_id 0
		.amdhsa_user_sgpr_kernarg_preload_length 0
		.amdhsa_user_sgpr_kernarg_preload_offset 0
		.amdhsa_user_sgpr_private_segment_size 0
		.amdhsa_wavefront_size32 1
		.amdhsa_uses_dynamic_stack 0
		.amdhsa_enable_private_segment 0
		.amdhsa_system_sgpr_workgroup_id_x 1
		.amdhsa_system_sgpr_workgroup_id_y 0
		.amdhsa_system_sgpr_workgroup_id_z 0
		.amdhsa_system_sgpr_workgroup_info 0
		.amdhsa_system_vgpr_workitem_id 0
		.amdhsa_next_free_vgpr 1
		.amdhsa_next_free_sgpr 1
		.amdhsa_named_barrier_count 0
		.amdhsa_reserve_vcc 0
		.amdhsa_float_round_mode_32 0
		.amdhsa_float_round_mode_16_64 0
		.amdhsa_float_denorm_mode_32 3
		.amdhsa_float_denorm_mode_16_64 3
		.amdhsa_fp16_overflow 0
		.amdhsa_memory_ordered 1
		.amdhsa_forward_progress 1
		.amdhsa_inst_pref_size 0
		.amdhsa_round_robin_scheduling 0
		.amdhsa_exception_fp_ieee_invalid_op 0
		.amdhsa_exception_fp_denorm_src 0
		.amdhsa_exception_fp_ieee_div_zero 0
		.amdhsa_exception_fp_ieee_overflow 0
		.amdhsa_exception_fp_ieee_underflow 0
		.amdhsa_exception_fp_ieee_inexact 0
		.amdhsa_exception_int_div_zero 0
	.end_amdhsa_kernel
	.section	.text._ZN7rocprim17ROCPRIM_400000_NS6detail17trampoline_kernelINS0_13select_configILj256ELj13ELNS0_17block_load_methodE3ELS4_3ELS4_3ELNS0_20block_scan_algorithmE0ELj4294967295EEENS1_25partition_config_selectorILNS1_17partition_subalgoE3EjNS0_10empty_typeEbEEZZNS1_14partition_implILS8_3ELb0ES6_jNS0_17counting_iteratorIjlEEPS9_SE_NS0_5tupleIJPjSE_EEENSF_IJSE_SE_EEES9_SG_JZNS1_25segmented_radix_sort_implINS0_14default_configELb1EPKdPdPKlPlN2at6native12_GLOBAL__N_18offset_tEEE10hipError_tPvRmT1_PNSt15iterator_traitsISY_E10value_typeET2_T3_PNSZ_IS14_E10value_typeET4_jRbjT5_S1A_jjP12ihipStream_tbEUljE_EEESV_SW_SX_S14_S18_S1A_T6_T7_T9_mT8_S1C_bDpT10_ENKUlT_T0_E_clISt17integral_constantIbLb0EES1P_EEDaS1K_S1L_EUlS1K_E_NS1_11comp_targetILNS1_3genE2ELNS1_11target_archE906ELNS1_3gpuE6ELNS1_3repE0EEENS1_30default_config_static_selectorELNS0_4arch9wavefront6targetE0EEEvSY_,"axG",@progbits,_ZN7rocprim17ROCPRIM_400000_NS6detail17trampoline_kernelINS0_13select_configILj256ELj13ELNS0_17block_load_methodE3ELS4_3ELS4_3ELNS0_20block_scan_algorithmE0ELj4294967295EEENS1_25partition_config_selectorILNS1_17partition_subalgoE3EjNS0_10empty_typeEbEEZZNS1_14partition_implILS8_3ELb0ES6_jNS0_17counting_iteratorIjlEEPS9_SE_NS0_5tupleIJPjSE_EEENSF_IJSE_SE_EEES9_SG_JZNS1_25segmented_radix_sort_implINS0_14default_configELb1EPKdPdPKlPlN2at6native12_GLOBAL__N_18offset_tEEE10hipError_tPvRmT1_PNSt15iterator_traitsISY_E10value_typeET2_T3_PNSZ_IS14_E10value_typeET4_jRbjT5_S1A_jjP12ihipStream_tbEUljE_EEESV_SW_SX_S14_S18_S1A_T6_T7_T9_mT8_S1C_bDpT10_ENKUlT_T0_E_clISt17integral_constantIbLb0EES1P_EEDaS1K_S1L_EUlS1K_E_NS1_11comp_targetILNS1_3genE2ELNS1_11target_archE906ELNS1_3gpuE6ELNS1_3repE0EEENS1_30default_config_static_selectorELNS0_4arch9wavefront6targetE0EEEvSY_,comdat
.Lfunc_end1084:
	.size	_ZN7rocprim17ROCPRIM_400000_NS6detail17trampoline_kernelINS0_13select_configILj256ELj13ELNS0_17block_load_methodE3ELS4_3ELS4_3ELNS0_20block_scan_algorithmE0ELj4294967295EEENS1_25partition_config_selectorILNS1_17partition_subalgoE3EjNS0_10empty_typeEbEEZZNS1_14partition_implILS8_3ELb0ES6_jNS0_17counting_iteratorIjlEEPS9_SE_NS0_5tupleIJPjSE_EEENSF_IJSE_SE_EEES9_SG_JZNS1_25segmented_radix_sort_implINS0_14default_configELb1EPKdPdPKlPlN2at6native12_GLOBAL__N_18offset_tEEE10hipError_tPvRmT1_PNSt15iterator_traitsISY_E10value_typeET2_T3_PNSZ_IS14_E10value_typeET4_jRbjT5_S1A_jjP12ihipStream_tbEUljE_EEESV_SW_SX_S14_S18_S1A_T6_T7_T9_mT8_S1C_bDpT10_ENKUlT_T0_E_clISt17integral_constantIbLb0EES1P_EEDaS1K_S1L_EUlS1K_E_NS1_11comp_targetILNS1_3genE2ELNS1_11target_archE906ELNS1_3gpuE6ELNS1_3repE0EEENS1_30default_config_static_selectorELNS0_4arch9wavefront6targetE0EEEvSY_, .Lfunc_end1084-_ZN7rocprim17ROCPRIM_400000_NS6detail17trampoline_kernelINS0_13select_configILj256ELj13ELNS0_17block_load_methodE3ELS4_3ELS4_3ELNS0_20block_scan_algorithmE0ELj4294967295EEENS1_25partition_config_selectorILNS1_17partition_subalgoE3EjNS0_10empty_typeEbEEZZNS1_14partition_implILS8_3ELb0ES6_jNS0_17counting_iteratorIjlEEPS9_SE_NS0_5tupleIJPjSE_EEENSF_IJSE_SE_EEES9_SG_JZNS1_25segmented_radix_sort_implINS0_14default_configELb1EPKdPdPKlPlN2at6native12_GLOBAL__N_18offset_tEEE10hipError_tPvRmT1_PNSt15iterator_traitsISY_E10value_typeET2_T3_PNSZ_IS14_E10value_typeET4_jRbjT5_S1A_jjP12ihipStream_tbEUljE_EEESV_SW_SX_S14_S18_S1A_T6_T7_T9_mT8_S1C_bDpT10_ENKUlT_T0_E_clISt17integral_constantIbLb0EES1P_EEDaS1K_S1L_EUlS1K_E_NS1_11comp_targetILNS1_3genE2ELNS1_11target_archE906ELNS1_3gpuE6ELNS1_3repE0EEENS1_30default_config_static_selectorELNS0_4arch9wavefront6targetE0EEEvSY_
                                        ; -- End function
	.set _ZN7rocprim17ROCPRIM_400000_NS6detail17trampoline_kernelINS0_13select_configILj256ELj13ELNS0_17block_load_methodE3ELS4_3ELS4_3ELNS0_20block_scan_algorithmE0ELj4294967295EEENS1_25partition_config_selectorILNS1_17partition_subalgoE3EjNS0_10empty_typeEbEEZZNS1_14partition_implILS8_3ELb0ES6_jNS0_17counting_iteratorIjlEEPS9_SE_NS0_5tupleIJPjSE_EEENSF_IJSE_SE_EEES9_SG_JZNS1_25segmented_radix_sort_implINS0_14default_configELb1EPKdPdPKlPlN2at6native12_GLOBAL__N_18offset_tEEE10hipError_tPvRmT1_PNSt15iterator_traitsISY_E10value_typeET2_T3_PNSZ_IS14_E10value_typeET4_jRbjT5_S1A_jjP12ihipStream_tbEUljE_EEESV_SW_SX_S14_S18_S1A_T6_T7_T9_mT8_S1C_bDpT10_ENKUlT_T0_E_clISt17integral_constantIbLb0EES1P_EEDaS1K_S1L_EUlS1K_E_NS1_11comp_targetILNS1_3genE2ELNS1_11target_archE906ELNS1_3gpuE6ELNS1_3repE0EEENS1_30default_config_static_selectorELNS0_4arch9wavefront6targetE0EEEvSY_.num_vgpr, 0
	.set _ZN7rocprim17ROCPRIM_400000_NS6detail17trampoline_kernelINS0_13select_configILj256ELj13ELNS0_17block_load_methodE3ELS4_3ELS4_3ELNS0_20block_scan_algorithmE0ELj4294967295EEENS1_25partition_config_selectorILNS1_17partition_subalgoE3EjNS0_10empty_typeEbEEZZNS1_14partition_implILS8_3ELb0ES6_jNS0_17counting_iteratorIjlEEPS9_SE_NS0_5tupleIJPjSE_EEENSF_IJSE_SE_EEES9_SG_JZNS1_25segmented_radix_sort_implINS0_14default_configELb1EPKdPdPKlPlN2at6native12_GLOBAL__N_18offset_tEEE10hipError_tPvRmT1_PNSt15iterator_traitsISY_E10value_typeET2_T3_PNSZ_IS14_E10value_typeET4_jRbjT5_S1A_jjP12ihipStream_tbEUljE_EEESV_SW_SX_S14_S18_S1A_T6_T7_T9_mT8_S1C_bDpT10_ENKUlT_T0_E_clISt17integral_constantIbLb0EES1P_EEDaS1K_S1L_EUlS1K_E_NS1_11comp_targetILNS1_3genE2ELNS1_11target_archE906ELNS1_3gpuE6ELNS1_3repE0EEENS1_30default_config_static_selectorELNS0_4arch9wavefront6targetE0EEEvSY_.num_agpr, 0
	.set _ZN7rocprim17ROCPRIM_400000_NS6detail17trampoline_kernelINS0_13select_configILj256ELj13ELNS0_17block_load_methodE3ELS4_3ELS4_3ELNS0_20block_scan_algorithmE0ELj4294967295EEENS1_25partition_config_selectorILNS1_17partition_subalgoE3EjNS0_10empty_typeEbEEZZNS1_14partition_implILS8_3ELb0ES6_jNS0_17counting_iteratorIjlEEPS9_SE_NS0_5tupleIJPjSE_EEENSF_IJSE_SE_EEES9_SG_JZNS1_25segmented_radix_sort_implINS0_14default_configELb1EPKdPdPKlPlN2at6native12_GLOBAL__N_18offset_tEEE10hipError_tPvRmT1_PNSt15iterator_traitsISY_E10value_typeET2_T3_PNSZ_IS14_E10value_typeET4_jRbjT5_S1A_jjP12ihipStream_tbEUljE_EEESV_SW_SX_S14_S18_S1A_T6_T7_T9_mT8_S1C_bDpT10_ENKUlT_T0_E_clISt17integral_constantIbLb0EES1P_EEDaS1K_S1L_EUlS1K_E_NS1_11comp_targetILNS1_3genE2ELNS1_11target_archE906ELNS1_3gpuE6ELNS1_3repE0EEENS1_30default_config_static_selectorELNS0_4arch9wavefront6targetE0EEEvSY_.numbered_sgpr, 0
	.set _ZN7rocprim17ROCPRIM_400000_NS6detail17trampoline_kernelINS0_13select_configILj256ELj13ELNS0_17block_load_methodE3ELS4_3ELS4_3ELNS0_20block_scan_algorithmE0ELj4294967295EEENS1_25partition_config_selectorILNS1_17partition_subalgoE3EjNS0_10empty_typeEbEEZZNS1_14partition_implILS8_3ELb0ES6_jNS0_17counting_iteratorIjlEEPS9_SE_NS0_5tupleIJPjSE_EEENSF_IJSE_SE_EEES9_SG_JZNS1_25segmented_radix_sort_implINS0_14default_configELb1EPKdPdPKlPlN2at6native12_GLOBAL__N_18offset_tEEE10hipError_tPvRmT1_PNSt15iterator_traitsISY_E10value_typeET2_T3_PNSZ_IS14_E10value_typeET4_jRbjT5_S1A_jjP12ihipStream_tbEUljE_EEESV_SW_SX_S14_S18_S1A_T6_T7_T9_mT8_S1C_bDpT10_ENKUlT_T0_E_clISt17integral_constantIbLb0EES1P_EEDaS1K_S1L_EUlS1K_E_NS1_11comp_targetILNS1_3genE2ELNS1_11target_archE906ELNS1_3gpuE6ELNS1_3repE0EEENS1_30default_config_static_selectorELNS0_4arch9wavefront6targetE0EEEvSY_.num_named_barrier, 0
	.set _ZN7rocprim17ROCPRIM_400000_NS6detail17trampoline_kernelINS0_13select_configILj256ELj13ELNS0_17block_load_methodE3ELS4_3ELS4_3ELNS0_20block_scan_algorithmE0ELj4294967295EEENS1_25partition_config_selectorILNS1_17partition_subalgoE3EjNS0_10empty_typeEbEEZZNS1_14partition_implILS8_3ELb0ES6_jNS0_17counting_iteratorIjlEEPS9_SE_NS0_5tupleIJPjSE_EEENSF_IJSE_SE_EEES9_SG_JZNS1_25segmented_radix_sort_implINS0_14default_configELb1EPKdPdPKlPlN2at6native12_GLOBAL__N_18offset_tEEE10hipError_tPvRmT1_PNSt15iterator_traitsISY_E10value_typeET2_T3_PNSZ_IS14_E10value_typeET4_jRbjT5_S1A_jjP12ihipStream_tbEUljE_EEESV_SW_SX_S14_S18_S1A_T6_T7_T9_mT8_S1C_bDpT10_ENKUlT_T0_E_clISt17integral_constantIbLb0EES1P_EEDaS1K_S1L_EUlS1K_E_NS1_11comp_targetILNS1_3genE2ELNS1_11target_archE906ELNS1_3gpuE6ELNS1_3repE0EEENS1_30default_config_static_selectorELNS0_4arch9wavefront6targetE0EEEvSY_.private_seg_size, 0
	.set _ZN7rocprim17ROCPRIM_400000_NS6detail17trampoline_kernelINS0_13select_configILj256ELj13ELNS0_17block_load_methodE3ELS4_3ELS4_3ELNS0_20block_scan_algorithmE0ELj4294967295EEENS1_25partition_config_selectorILNS1_17partition_subalgoE3EjNS0_10empty_typeEbEEZZNS1_14partition_implILS8_3ELb0ES6_jNS0_17counting_iteratorIjlEEPS9_SE_NS0_5tupleIJPjSE_EEENSF_IJSE_SE_EEES9_SG_JZNS1_25segmented_radix_sort_implINS0_14default_configELb1EPKdPdPKlPlN2at6native12_GLOBAL__N_18offset_tEEE10hipError_tPvRmT1_PNSt15iterator_traitsISY_E10value_typeET2_T3_PNSZ_IS14_E10value_typeET4_jRbjT5_S1A_jjP12ihipStream_tbEUljE_EEESV_SW_SX_S14_S18_S1A_T6_T7_T9_mT8_S1C_bDpT10_ENKUlT_T0_E_clISt17integral_constantIbLb0EES1P_EEDaS1K_S1L_EUlS1K_E_NS1_11comp_targetILNS1_3genE2ELNS1_11target_archE906ELNS1_3gpuE6ELNS1_3repE0EEENS1_30default_config_static_selectorELNS0_4arch9wavefront6targetE0EEEvSY_.uses_vcc, 0
	.set _ZN7rocprim17ROCPRIM_400000_NS6detail17trampoline_kernelINS0_13select_configILj256ELj13ELNS0_17block_load_methodE3ELS4_3ELS4_3ELNS0_20block_scan_algorithmE0ELj4294967295EEENS1_25partition_config_selectorILNS1_17partition_subalgoE3EjNS0_10empty_typeEbEEZZNS1_14partition_implILS8_3ELb0ES6_jNS0_17counting_iteratorIjlEEPS9_SE_NS0_5tupleIJPjSE_EEENSF_IJSE_SE_EEES9_SG_JZNS1_25segmented_radix_sort_implINS0_14default_configELb1EPKdPdPKlPlN2at6native12_GLOBAL__N_18offset_tEEE10hipError_tPvRmT1_PNSt15iterator_traitsISY_E10value_typeET2_T3_PNSZ_IS14_E10value_typeET4_jRbjT5_S1A_jjP12ihipStream_tbEUljE_EEESV_SW_SX_S14_S18_S1A_T6_T7_T9_mT8_S1C_bDpT10_ENKUlT_T0_E_clISt17integral_constantIbLb0EES1P_EEDaS1K_S1L_EUlS1K_E_NS1_11comp_targetILNS1_3genE2ELNS1_11target_archE906ELNS1_3gpuE6ELNS1_3repE0EEENS1_30default_config_static_selectorELNS0_4arch9wavefront6targetE0EEEvSY_.uses_flat_scratch, 0
	.set _ZN7rocprim17ROCPRIM_400000_NS6detail17trampoline_kernelINS0_13select_configILj256ELj13ELNS0_17block_load_methodE3ELS4_3ELS4_3ELNS0_20block_scan_algorithmE0ELj4294967295EEENS1_25partition_config_selectorILNS1_17partition_subalgoE3EjNS0_10empty_typeEbEEZZNS1_14partition_implILS8_3ELb0ES6_jNS0_17counting_iteratorIjlEEPS9_SE_NS0_5tupleIJPjSE_EEENSF_IJSE_SE_EEES9_SG_JZNS1_25segmented_radix_sort_implINS0_14default_configELb1EPKdPdPKlPlN2at6native12_GLOBAL__N_18offset_tEEE10hipError_tPvRmT1_PNSt15iterator_traitsISY_E10value_typeET2_T3_PNSZ_IS14_E10value_typeET4_jRbjT5_S1A_jjP12ihipStream_tbEUljE_EEESV_SW_SX_S14_S18_S1A_T6_T7_T9_mT8_S1C_bDpT10_ENKUlT_T0_E_clISt17integral_constantIbLb0EES1P_EEDaS1K_S1L_EUlS1K_E_NS1_11comp_targetILNS1_3genE2ELNS1_11target_archE906ELNS1_3gpuE6ELNS1_3repE0EEENS1_30default_config_static_selectorELNS0_4arch9wavefront6targetE0EEEvSY_.has_dyn_sized_stack, 0
	.set _ZN7rocprim17ROCPRIM_400000_NS6detail17trampoline_kernelINS0_13select_configILj256ELj13ELNS0_17block_load_methodE3ELS4_3ELS4_3ELNS0_20block_scan_algorithmE0ELj4294967295EEENS1_25partition_config_selectorILNS1_17partition_subalgoE3EjNS0_10empty_typeEbEEZZNS1_14partition_implILS8_3ELb0ES6_jNS0_17counting_iteratorIjlEEPS9_SE_NS0_5tupleIJPjSE_EEENSF_IJSE_SE_EEES9_SG_JZNS1_25segmented_radix_sort_implINS0_14default_configELb1EPKdPdPKlPlN2at6native12_GLOBAL__N_18offset_tEEE10hipError_tPvRmT1_PNSt15iterator_traitsISY_E10value_typeET2_T3_PNSZ_IS14_E10value_typeET4_jRbjT5_S1A_jjP12ihipStream_tbEUljE_EEESV_SW_SX_S14_S18_S1A_T6_T7_T9_mT8_S1C_bDpT10_ENKUlT_T0_E_clISt17integral_constantIbLb0EES1P_EEDaS1K_S1L_EUlS1K_E_NS1_11comp_targetILNS1_3genE2ELNS1_11target_archE906ELNS1_3gpuE6ELNS1_3repE0EEENS1_30default_config_static_selectorELNS0_4arch9wavefront6targetE0EEEvSY_.has_recursion, 0
	.set _ZN7rocprim17ROCPRIM_400000_NS6detail17trampoline_kernelINS0_13select_configILj256ELj13ELNS0_17block_load_methodE3ELS4_3ELS4_3ELNS0_20block_scan_algorithmE0ELj4294967295EEENS1_25partition_config_selectorILNS1_17partition_subalgoE3EjNS0_10empty_typeEbEEZZNS1_14partition_implILS8_3ELb0ES6_jNS0_17counting_iteratorIjlEEPS9_SE_NS0_5tupleIJPjSE_EEENSF_IJSE_SE_EEES9_SG_JZNS1_25segmented_radix_sort_implINS0_14default_configELb1EPKdPdPKlPlN2at6native12_GLOBAL__N_18offset_tEEE10hipError_tPvRmT1_PNSt15iterator_traitsISY_E10value_typeET2_T3_PNSZ_IS14_E10value_typeET4_jRbjT5_S1A_jjP12ihipStream_tbEUljE_EEESV_SW_SX_S14_S18_S1A_T6_T7_T9_mT8_S1C_bDpT10_ENKUlT_T0_E_clISt17integral_constantIbLb0EES1P_EEDaS1K_S1L_EUlS1K_E_NS1_11comp_targetILNS1_3genE2ELNS1_11target_archE906ELNS1_3gpuE6ELNS1_3repE0EEENS1_30default_config_static_selectorELNS0_4arch9wavefront6targetE0EEEvSY_.has_indirect_call, 0
	.section	.AMDGPU.csdata,"",@progbits
; Kernel info:
; codeLenInByte = 0
; TotalNumSgprs: 0
; NumVgprs: 0
; ScratchSize: 0
; MemoryBound: 0
; FloatMode: 240
; IeeeMode: 1
; LDSByteSize: 0 bytes/workgroup (compile time only)
; SGPRBlocks: 0
; VGPRBlocks: 0
; NumSGPRsForWavesPerEU: 1
; NumVGPRsForWavesPerEU: 1
; NamedBarCnt: 0
; Occupancy: 16
; WaveLimiterHint : 0
; COMPUTE_PGM_RSRC2:SCRATCH_EN: 0
; COMPUTE_PGM_RSRC2:USER_SGPR: 2
; COMPUTE_PGM_RSRC2:TRAP_HANDLER: 0
; COMPUTE_PGM_RSRC2:TGID_X_EN: 1
; COMPUTE_PGM_RSRC2:TGID_Y_EN: 0
; COMPUTE_PGM_RSRC2:TGID_Z_EN: 0
; COMPUTE_PGM_RSRC2:TIDIG_COMP_CNT: 0
	.section	.text._ZN7rocprim17ROCPRIM_400000_NS6detail17trampoline_kernelINS0_13select_configILj256ELj13ELNS0_17block_load_methodE3ELS4_3ELS4_3ELNS0_20block_scan_algorithmE0ELj4294967295EEENS1_25partition_config_selectorILNS1_17partition_subalgoE3EjNS0_10empty_typeEbEEZZNS1_14partition_implILS8_3ELb0ES6_jNS0_17counting_iteratorIjlEEPS9_SE_NS0_5tupleIJPjSE_EEENSF_IJSE_SE_EEES9_SG_JZNS1_25segmented_radix_sort_implINS0_14default_configELb1EPKdPdPKlPlN2at6native12_GLOBAL__N_18offset_tEEE10hipError_tPvRmT1_PNSt15iterator_traitsISY_E10value_typeET2_T3_PNSZ_IS14_E10value_typeET4_jRbjT5_S1A_jjP12ihipStream_tbEUljE_EEESV_SW_SX_S14_S18_S1A_T6_T7_T9_mT8_S1C_bDpT10_ENKUlT_T0_E_clISt17integral_constantIbLb0EES1P_EEDaS1K_S1L_EUlS1K_E_NS1_11comp_targetILNS1_3genE10ELNS1_11target_archE1200ELNS1_3gpuE4ELNS1_3repE0EEENS1_30default_config_static_selectorELNS0_4arch9wavefront6targetE0EEEvSY_,"axG",@progbits,_ZN7rocprim17ROCPRIM_400000_NS6detail17trampoline_kernelINS0_13select_configILj256ELj13ELNS0_17block_load_methodE3ELS4_3ELS4_3ELNS0_20block_scan_algorithmE0ELj4294967295EEENS1_25partition_config_selectorILNS1_17partition_subalgoE3EjNS0_10empty_typeEbEEZZNS1_14partition_implILS8_3ELb0ES6_jNS0_17counting_iteratorIjlEEPS9_SE_NS0_5tupleIJPjSE_EEENSF_IJSE_SE_EEES9_SG_JZNS1_25segmented_radix_sort_implINS0_14default_configELb1EPKdPdPKlPlN2at6native12_GLOBAL__N_18offset_tEEE10hipError_tPvRmT1_PNSt15iterator_traitsISY_E10value_typeET2_T3_PNSZ_IS14_E10value_typeET4_jRbjT5_S1A_jjP12ihipStream_tbEUljE_EEESV_SW_SX_S14_S18_S1A_T6_T7_T9_mT8_S1C_bDpT10_ENKUlT_T0_E_clISt17integral_constantIbLb0EES1P_EEDaS1K_S1L_EUlS1K_E_NS1_11comp_targetILNS1_3genE10ELNS1_11target_archE1200ELNS1_3gpuE4ELNS1_3repE0EEENS1_30default_config_static_selectorELNS0_4arch9wavefront6targetE0EEEvSY_,comdat
	.globl	_ZN7rocprim17ROCPRIM_400000_NS6detail17trampoline_kernelINS0_13select_configILj256ELj13ELNS0_17block_load_methodE3ELS4_3ELS4_3ELNS0_20block_scan_algorithmE0ELj4294967295EEENS1_25partition_config_selectorILNS1_17partition_subalgoE3EjNS0_10empty_typeEbEEZZNS1_14partition_implILS8_3ELb0ES6_jNS0_17counting_iteratorIjlEEPS9_SE_NS0_5tupleIJPjSE_EEENSF_IJSE_SE_EEES9_SG_JZNS1_25segmented_radix_sort_implINS0_14default_configELb1EPKdPdPKlPlN2at6native12_GLOBAL__N_18offset_tEEE10hipError_tPvRmT1_PNSt15iterator_traitsISY_E10value_typeET2_T3_PNSZ_IS14_E10value_typeET4_jRbjT5_S1A_jjP12ihipStream_tbEUljE_EEESV_SW_SX_S14_S18_S1A_T6_T7_T9_mT8_S1C_bDpT10_ENKUlT_T0_E_clISt17integral_constantIbLb0EES1P_EEDaS1K_S1L_EUlS1K_E_NS1_11comp_targetILNS1_3genE10ELNS1_11target_archE1200ELNS1_3gpuE4ELNS1_3repE0EEENS1_30default_config_static_selectorELNS0_4arch9wavefront6targetE0EEEvSY_ ; -- Begin function _ZN7rocprim17ROCPRIM_400000_NS6detail17trampoline_kernelINS0_13select_configILj256ELj13ELNS0_17block_load_methodE3ELS4_3ELS4_3ELNS0_20block_scan_algorithmE0ELj4294967295EEENS1_25partition_config_selectorILNS1_17partition_subalgoE3EjNS0_10empty_typeEbEEZZNS1_14partition_implILS8_3ELb0ES6_jNS0_17counting_iteratorIjlEEPS9_SE_NS0_5tupleIJPjSE_EEENSF_IJSE_SE_EEES9_SG_JZNS1_25segmented_radix_sort_implINS0_14default_configELb1EPKdPdPKlPlN2at6native12_GLOBAL__N_18offset_tEEE10hipError_tPvRmT1_PNSt15iterator_traitsISY_E10value_typeET2_T3_PNSZ_IS14_E10value_typeET4_jRbjT5_S1A_jjP12ihipStream_tbEUljE_EEESV_SW_SX_S14_S18_S1A_T6_T7_T9_mT8_S1C_bDpT10_ENKUlT_T0_E_clISt17integral_constantIbLb0EES1P_EEDaS1K_S1L_EUlS1K_E_NS1_11comp_targetILNS1_3genE10ELNS1_11target_archE1200ELNS1_3gpuE4ELNS1_3repE0EEENS1_30default_config_static_selectorELNS0_4arch9wavefront6targetE0EEEvSY_
	.p2align	8
	.type	_ZN7rocprim17ROCPRIM_400000_NS6detail17trampoline_kernelINS0_13select_configILj256ELj13ELNS0_17block_load_methodE3ELS4_3ELS4_3ELNS0_20block_scan_algorithmE0ELj4294967295EEENS1_25partition_config_selectorILNS1_17partition_subalgoE3EjNS0_10empty_typeEbEEZZNS1_14partition_implILS8_3ELb0ES6_jNS0_17counting_iteratorIjlEEPS9_SE_NS0_5tupleIJPjSE_EEENSF_IJSE_SE_EEES9_SG_JZNS1_25segmented_radix_sort_implINS0_14default_configELb1EPKdPdPKlPlN2at6native12_GLOBAL__N_18offset_tEEE10hipError_tPvRmT1_PNSt15iterator_traitsISY_E10value_typeET2_T3_PNSZ_IS14_E10value_typeET4_jRbjT5_S1A_jjP12ihipStream_tbEUljE_EEESV_SW_SX_S14_S18_S1A_T6_T7_T9_mT8_S1C_bDpT10_ENKUlT_T0_E_clISt17integral_constantIbLb0EES1P_EEDaS1K_S1L_EUlS1K_E_NS1_11comp_targetILNS1_3genE10ELNS1_11target_archE1200ELNS1_3gpuE4ELNS1_3repE0EEENS1_30default_config_static_selectorELNS0_4arch9wavefront6targetE0EEEvSY_,@function
_ZN7rocprim17ROCPRIM_400000_NS6detail17trampoline_kernelINS0_13select_configILj256ELj13ELNS0_17block_load_methodE3ELS4_3ELS4_3ELNS0_20block_scan_algorithmE0ELj4294967295EEENS1_25partition_config_selectorILNS1_17partition_subalgoE3EjNS0_10empty_typeEbEEZZNS1_14partition_implILS8_3ELb0ES6_jNS0_17counting_iteratorIjlEEPS9_SE_NS0_5tupleIJPjSE_EEENSF_IJSE_SE_EEES9_SG_JZNS1_25segmented_radix_sort_implINS0_14default_configELb1EPKdPdPKlPlN2at6native12_GLOBAL__N_18offset_tEEE10hipError_tPvRmT1_PNSt15iterator_traitsISY_E10value_typeET2_T3_PNSZ_IS14_E10value_typeET4_jRbjT5_S1A_jjP12ihipStream_tbEUljE_EEESV_SW_SX_S14_S18_S1A_T6_T7_T9_mT8_S1C_bDpT10_ENKUlT_T0_E_clISt17integral_constantIbLb0EES1P_EEDaS1K_S1L_EUlS1K_E_NS1_11comp_targetILNS1_3genE10ELNS1_11target_archE1200ELNS1_3gpuE4ELNS1_3repE0EEENS1_30default_config_static_selectorELNS0_4arch9wavefront6targetE0EEEvSY_: ; @_ZN7rocprim17ROCPRIM_400000_NS6detail17trampoline_kernelINS0_13select_configILj256ELj13ELNS0_17block_load_methodE3ELS4_3ELS4_3ELNS0_20block_scan_algorithmE0ELj4294967295EEENS1_25partition_config_selectorILNS1_17partition_subalgoE3EjNS0_10empty_typeEbEEZZNS1_14partition_implILS8_3ELb0ES6_jNS0_17counting_iteratorIjlEEPS9_SE_NS0_5tupleIJPjSE_EEENSF_IJSE_SE_EEES9_SG_JZNS1_25segmented_radix_sort_implINS0_14default_configELb1EPKdPdPKlPlN2at6native12_GLOBAL__N_18offset_tEEE10hipError_tPvRmT1_PNSt15iterator_traitsISY_E10value_typeET2_T3_PNSZ_IS14_E10value_typeET4_jRbjT5_S1A_jjP12ihipStream_tbEUljE_EEESV_SW_SX_S14_S18_S1A_T6_T7_T9_mT8_S1C_bDpT10_ENKUlT_T0_E_clISt17integral_constantIbLb0EES1P_EEDaS1K_S1L_EUlS1K_E_NS1_11comp_targetILNS1_3genE10ELNS1_11target_archE1200ELNS1_3gpuE4ELNS1_3repE0EEENS1_30default_config_static_selectorELNS0_4arch9wavefront6targetE0EEEvSY_
; %bb.0:
	.section	.rodata,"a",@progbits
	.p2align	6, 0x0
	.amdhsa_kernel _ZN7rocprim17ROCPRIM_400000_NS6detail17trampoline_kernelINS0_13select_configILj256ELj13ELNS0_17block_load_methodE3ELS4_3ELS4_3ELNS0_20block_scan_algorithmE0ELj4294967295EEENS1_25partition_config_selectorILNS1_17partition_subalgoE3EjNS0_10empty_typeEbEEZZNS1_14partition_implILS8_3ELb0ES6_jNS0_17counting_iteratorIjlEEPS9_SE_NS0_5tupleIJPjSE_EEENSF_IJSE_SE_EEES9_SG_JZNS1_25segmented_radix_sort_implINS0_14default_configELb1EPKdPdPKlPlN2at6native12_GLOBAL__N_18offset_tEEE10hipError_tPvRmT1_PNSt15iterator_traitsISY_E10value_typeET2_T3_PNSZ_IS14_E10value_typeET4_jRbjT5_S1A_jjP12ihipStream_tbEUljE_EEESV_SW_SX_S14_S18_S1A_T6_T7_T9_mT8_S1C_bDpT10_ENKUlT_T0_E_clISt17integral_constantIbLb0EES1P_EEDaS1K_S1L_EUlS1K_E_NS1_11comp_targetILNS1_3genE10ELNS1_11target_archE1200ELNS1_3gpuE4ELNS1_3repE0EEENS1_30default_config_static_selectorELNS0_4arch9wavefront6targetE0EEEvSY_
		.amdhsa_group_segment_fixed_size 0
		.amdhsa_private_segment_fixed_size 0
		.amdhsa_kernarg_size 144
		.amdhsa_user_sgpr_count 2
		.amdhsa_user_sgpr_dispatch_ptr 0
		.amdhsa_user_sgpr_queue_ptr 0
		.amdhsa_user_sgpr_kernarg_segment_ptr 1
		.amdhsa_user_sgpr_dispatch_id 0
		.amdhsa_user_sgpr_kernarg_preload_length 0
		.amdhsa_user_sgpr_kernarg_preload_offset 0
		.amdhsa_user_sgpr_private_segment_size 0
		.amdhsa_wavefront_size32 1
		.amdhsa_uses_dynamic_stack 0
		.amdhsa_enable_private_segment 0
		.amdhsa_system_sgpr_workgroup_id_x 1
		.amdhsa_system_sgpr_workgroup_id_y 0
		.amdhsa_system_sgpr_workgroup_id_z 0
		.amdhsa_system_sgpr_workgroup_info 0
		.amdhsa_system_vgpr_workitem_id 0
		.amdhsa_next_free_vgpr 1
		.amdhsa_next_free_sgpr 1
		.amdhsa_named_barrier_count 0
		.amdhsa_reserve_vcc 0
		.amdhsa_float_round_mode_32 0
		.amdhsa_float_round_mode_16_64 0
		.amdhsa_float_denorm_mode_32 3
		.amdhsa_float_denorm_mode_16_64 3
		.amdhsa_fp16_overflow 0
		.amdhsa_memory_ordered 1
		.amdhsa_forward_progress 1
		.amdhsa_inst_pref_size 0
		.amdhsa_round_robin_scheduling 0
		.amdhsa_exception_fp_ieee_invalid_op 0
		.amdhsa_exception_fp_denorm_src 0
		.amdhsa_exception_fp_ieee_div_zero 0
		.amdhsa_exception_fp_ieee_overflow 0
		.amdhsa_exception_fp_ieee_underflow 0
		.amdhsa_exception_fp_ieee_inexact 0
		.amdhsa_exception_int_div_zero 0
	.end_amdhsa_kernel
	.section	.text._ZN7rocprim17ROCPRIM_400000_NS6detail17trampoline_kernelINS0_13select_configILj256ELj13ELNS0_17block_load_methodE3ELS4_3ELS4_3ELNS0_20block_scan_algorithmE0ELj4294967295EEENS1_25partition_config_selectorILNS1_17partition_subalgoE3EjNS0_10empty_typeEbEEZZNS1_14partition_implILS8_3ELb0ES6_jNS0_17counting_iteratorIjlEEPS9_SE_NS0_5tupleIJPjSE_EEENSF_IJSE_SE_EEES9_SG_JZNS1_25segmented_radix_sort_implINS0_14default_configELb1EPKdPdPKlPlN2at6native12_GLOBAL__N_18offset_tEEE10hipError_tPvRmT1_PNSt15iterator_traitsISY_E10value_typeET2_T3_PNSZ_IS14_E10value_typeET4_jRbjT5_S1A_jjP12ihipStream_tbEUljE_EEESV_SW_SX_S14_S18_S1A_T6_T7_T9_mT8_S1C_bDpT10_ENKUlT_T0_E_clISt17integral_constantIbLb0EES1P_EEDaS1K_S1L_EUlS1K_E_NS1_11comp_targetILNS1_3genE10ELNS1_11target_archE1200ELNS1_3gpuE4ELNS1_3repE0EEENS1_30default_config_static_selectorELNS0_4arch9wavefront6targetE0EEEvSY_,"axG",@progbits,_ZN7rocprim17ROCPRIM_400000_NS6detail17trampoline_kernelINS0_13select_configILj256ELj13ELNS0_17block_load_methodE3ELS4_3ELS4_3ELNS0_20block_scan_algorithmE0ELj4294967295EEENS1_25partition_config_selectorILNS1_17partition_subalgoE3EjNS0_10empty_typeEbEEZZNS1_14partition_implILS8_3ELb0ES6_jNS0_17counting_iteratorIjlEEPS9_SE_NS0_5tupleIJPjSE_EEENSF_IJSE_SE_EEES9_SG_JZNS1_25segmented_radix_sort_implINS0_14default_configELb1EPKdPdPKlPlN2at6native12_GLOBAL__N_18offset_tEEE10hipError_tPvRmT1_PNSt15iterator_traitsISY_E10value_typeET2_T3_PNSZ_IS14_E10value_typeET4_jRbjT5_S1A_jjP12ihipStream_tbEUljE_EEESV_SW_SX_S14_S18_S1A_T6_T7_T9_mT8_S1C_bDpT10_ENKUlT_T0_E_clISt17integral_constantIbLb0EES1P_EEDaS1K_S1L_EUlS1K_E_NS1_11comp_targetILNS1_3genE10ELNS1_11target_archE1200ELNS1_3gpuE4ELNS1_3repE0EEENS1_30default_config_static_selectorELNS0_4arch9wavefront6targetE0EEEvSY_,comdat
.Lfunc_end1085:
	.size	_ZN7rocprim17ROCPRIM_400000_NS6detail17trampoline_kernelINS0_13select_configILj256ELj13ELNS0_17block_load_methodE3ELS4_3ELS4_3ELNS0_20block_scan_algorithmE0ELj4294967295EEENS1_25partition_config_selectorILNS1_17partition_subalgoE3EjNS0_10empty_typeEbEEZZNS1_14partition_implILS8_3ELb0ES6_jNS0_17counting_iteratorIjlEEPS9_SE_NS0_5tupleIJPjSE_EEENSF_IJSE_SE_EEES9_SG_JZNS1_25segmented_radix_sort_implINS0_14default_configELb1EPKdPdPKlPlN2at6native12_GLOBAL__N_18offset_tEEE10hipError_tPvRmT1_PNSt15iterator_traitsISY_E10value_typeET2_T3_PNSZ_IS14_E10value_typeET4_jRbjT5_S1A_jjP12ihipStream_tbEUljE_EEESV_SW_SX_S14_S18_S1A_T6_T7_T9_mT8_S1C_bDpT10_ENKUlT_T0_E_clISt17integral_constantIbLb0EES1P_EEDaS1K_S1L_EUlS1K_E_NS1_11comp_targetILNS1_3genE10ELNS1_11target_archE1200ELNS1_3gpuE4ELNS1_3repE0EEENS1_30default_config_static_selectorELNS0_4arch9wavefront6targetE0EEEvSY_, .Lfunc_end1085-_ZN7rocprim17ROCPRIM_400000_NS6detail17trampoline_kernelINS0_13select_configILj256ELj13ELNS0_17block_load_methodE3ELS4_3ELS4_3ELNS0_20block_scan_algorithmE0ELj4294967295EEENS1_25partition_config_selectorILNS1_17partition_subalgoE3EjNS0_10empty_typeEbEEZZNS1_14partition_implILS8_3ELb0ES6_jNS0_17counting_iteratorIjlEEPS9_SE_NS0_5tupleIJPjSE_EEENSF_IJSE_SE_EEES9_SG_JZNS1_25segmented_radix_sort_implINS0_14default_configELb1EPKdPdPKlPlN2at6native12_GLOBAL__N_18offset_tEEE10hipError_tPvRmT1_PNSt15iterator_traitsISY_E10value_typeET2_T3_PNSZ_IS14_E10value_typeET4_jRbjT5_S1A_jjP12ihipStream_tbEUljE_EEESV_SW_SX_S14_S18_S1A_T6_T7_T9_mT8_S1C_bDpT10_ENKUlT_T0_E_clISt17integral_constantIbLb0EES1P_EEDaS1K_S1L_EUlS1K_E_NS1_11comp_targetILNS1_3genE10ELNS1_11target_archE1200ELNS1_3gpuE4ELNS1_3repE0EEENS1_30default_config_static_selectorELNS0_4arch9wavefront6targetE0EEEvSY_
                                        ; -- End function
	.set _ZN7rocprim17ROCPRIM_400000_NS6detail17trampoline_kernelINS0_13select_configILj256ELj13ELNS0_17block_load_methodE3ELS4_3ELS4_3ELNS0_20block_scan_algorithmE0ELj4294967295EEENS1_25partition_config_selectorILNS1_17partition_subalgoE3EjNS0_10empty_typeEbEEZZNS1_14partition_implILS8_3ELb0ES6_jNS0_17counting_iteratorIjlEEPS9_SE_NS0_5tupleIJPjSE_EEENSF_IJSE_SE_EEES9_SG_JZNS1_25segmented_radix_sort_implINS0_14default_configELb1EPKdPdPKlPlN2at6native12_GLOBAL__N_18offset_tEEE10hipError_tPvRmT1_PNSt15iterator_traitsISY_E10value_typeET2_T3_PNSZ_IS14_E10value_typeET4_jRbjT5_S1A_jjP12ihipStream_tbEUljE_EEESV_SW_SX_S14_S18_S1A_T6_T7_T9_mT8_S1C_bDpT10_ENKUlT_T0_E_clISt17integral_constantIbLb0EES1P_EEDaS1K_S1L_EUlS1K_E_NS1_11comp_targetILNS1_3genE10ELNS1_11target_archE1200ELNS1_3gpuE4ELNS1_3repE0EEENS1_30default_config_static_selectorELNS0_4arch9wavefront6targetE0EEEvSY_.num_vgpr, 0
	.set _ZN7rocprim17ROCPRIM_400000_NS6detail17trampoline_kernelINS0_13select_configILj256ELj13ELNS0_17block_load_methodE3ELS4_3ELS4_3ELNS0_20block_scan_algorithmE0ELj4294967295EEENS1_25partition_config_selectorILNS1_17partition_subalgoE3EjNS0_10empty_typeEbEEZZNS1_14partition_implILS8_3ELb0ES6_jNS0_17counting_iteratorIjlEEPS9_SE_NS0_5tupleIJPjSE_EEENSF_IJSE_SE_EEES9_SG_JZNS1_25segmented_radix_sort_implINS0_14default_configELb1EPKdPdPKlPlN2at6native12_GLOBAL__N_18offset_tEEE10hipError_tPvRmT1_PNSt15iterator_traitsISY_E10value_typeET2_T3_PNSZ_IS14_E10value_typeET4_jRbjT5_S1A_jjP12ihipStream_tbEUljE_EEESV_SW_SX_S14_S18_S1A_T6_T7_T9_mT8_S1C_bDpT10_ENKUlT_T0_E_clISt17integral_constantIbLb0EES1P_EEDaS1K_S1L_EUlS1K_E_NS1_11comp_targetILNS1_3genE10ELNS1_11target_archE1200ELNS1_3gpuE4ELNS1_3repE0EEENS1_30default_config_static_selectorELNS0_4arch9wavefront6targetE0EEEvSY_.num_agpr, 0
	.set _ZN7rocprim17ROCPRIM_400000_NS6detail17trampoline_kernelINS0_13select_configILj256ELj13ELNS0_17block_load_methodE3ELS4_3ELS4_3ELNS0_20block_scan_algorithmE0ELj4294967295EEENS1_25partition_config_selectorILNS1_17partition_subalgoE3EjNS0_10empty_typeEbEEZZNS1_14partition_implILS8_3ELb0ES6_jNS0_17counting_iteratorIjlEEPS9_SE_NS0_5tupleIJPjSE_EEENSF_IJSE_SE_EEES9_SG_JZNS1_25segmented_radix_sort_implINS0_14default_configELb1EPKdPdPKlPlN2at6native12_GLOBAL__N_18offset_tEEE10hipError_tPvRmT1_PNSt15iterator_traitsISY_E10value_typeET2_T3_PNSZ_IS14_E10value_typeET4_jRbjT5_S1A_jjP12ihipStream_tbEUljE_EEESV_SW_SX_S14_S18_S1A_T6_T7_T9_mT8_S1C_bDpT10_ENKUlT_T0_E_clISt17integral_constantIbLb0EES1P_EEDaS1K_S1L_EUlS1K_E_NS1_11comp_targetILNS1_3genE10ELNS1_11target_archE1200ELNS1_3gpuE4ELNS1_3repE0EEENS1_30default_config_static_selectorELNS0_4arch9wavefront6targetE0EEEvSY_.numbered_sgpr, 0
	.set _ZN7rocprim17ROCPRIM_400000_NS6detail17trampoline_kernelINS0_13select_configILj256ELj13ELNS0_17block_load_methodE3ELS4_3ELS4_3ELNS0_20block_scan_algorithmE0ELj4294967295EEENS1_25partition_config_selectorILNS1_17partition_subalgoE3EjNS0_10empty_typeEbEEZZNS1_14partition_implILS8_3ELb0ES6_jNS0_17counting_iteratorIjlEEPS9_SE_NS0_5tupleIJPjSE_EEENSF_IJSE_SE_EEES9_SG_JZNS1_25segmented_radix_sort_implINS0_14default_configELb1EPKdPdPKlPlN2at6native12_GLOBAL__N_18offset_tEEE10hipError_tPvRmT1_PNSt15iterator_traitsISY_E10value_typeET2_T3_PNSZ_IS14_E10value_typeET4_jRbjT5_S1A_jjP12ihipStream_tbEUljE_EEESV_SW_SX_S14_S18_S1A_T6_T7_T9_mT8_S1C_bDpT10_ENKUlT_T0_E_clISt17integral_constantIbLb0EES1P_EEDaS1K_S1L_EUlS1K_E_NS1_11comp_targetILNS1_3genE10ELNS1_11target_archE1200ELNS1_3gpuE4ELNS1_3repE0EEENS1_30default_config_static_selectorELNS0_4arch9wavefront6targetE0EEEvSY_.num_named_barrier, 0
	.set _ZN7rocprim17ROCPRIM_400000_NS6detail17trampoline_kernelINS0_13select_configILj256ELj13ELNS0_17block_load_methodE3ELS4_3ELS4_3ELNS0_20block_scan_algorithmE0ELj4294967295EEENS1_25partition_config_selectorILNS1_17partition_subalgoE3EjNS0_10empty_typeEbEEZZNS1_14partition_implILS8_3ELb0ES6_jNS0_17counting_iteratorIjlEEPS9_SE_NS0_5tupleIJPjSE_EEENSF_IJSE_SE_EEES9_SG_JZNS1_25segmented_radix_sort_implINS0_14default_configELb1EPKdPdPKlPlN2at6native12_GLOBAL__N_18offset_tEEE10hipError_tPvRmT1_PNSt15iterator_traitsISY_E10value_typeET2_T3_PNSZ_IS14_E10value_typeET4_jRbjT5_S1A_jjP12ihipStream_tbEUljE_EEESV_SW_SX_S14_S18_S1A_T6_T7_T9_mT8_S1C_bDpT10_ENKUlT_T0_E_clISt17integral_constantIbLb0EES1P_EEDaS1K_S1L_EUlS1K_E_NS1_11comp_targetILNS1_3genE10ELNS1_11target_archE1200ELNS1_3gpuE4ELNS1_3repE0EEENS1_30default_config_static_selectorELNS0_4arch9wavefront6targetE0EEEvSY_.private_seg_size, 0
	.set _ZN7rocprim17ROCPRIM_400000_NS6detail17trampoline_kernelINS0_13select_configILj256ELj13ELNS0_17block_load_methodE3ELS4_3ELS4_3ELNS0_20block_scan_algorithmE0ELj4294967295EEENS1_25partition_config_selectorILNS1_17partition_subalgoE3EjNS0_10empty_typeEbEEZZNS1_14partition_implILS8_3ELb0ES6_jNS0_17counting_iteratorIjlEEPS9_SE_NS0_5tupleIJPjSE_EEENSF_IJSE_SE_EEES9_SG_JZNS1_25segmented_radix_sort_implINS0_14default_configELb1EPKdPdPKlPlN2at6native12_GLOBAL__N_18offset_tEEE10hipError_tPvRmT1_PNSt15iterator_traitsISY_E10value_typeET2_T3_PNSZ_IS14_E10value_typeET4_jRbjT5_S1A_jjP12ihipStream_tbEUljE_EEESV_SW_SX_S14_S18_S1A_T6_T7_T9_mT8_S1C_bDpT10_ENKUlT_T0_E_clISt17integral_constantIbLb0EES1P_EEDaS1K_S1L_EUlS1K_E_NS1_11comp_targetILNS1_3genE10ELNS1_11target_archE1200ELNS1_3gpuE4ELNS1_3repE0EEENS1_30default_config_static_selectorELNS0_4arch9wavefront6targetE0EEEvSY_.uses_vcc, 0
	.set _ZN7rocprim17ROCPRIM_400000_NS6detail17trampoline_kernelINS0_13select_configILj256ELj13ELNS0_17block_load_methodE3ELS4_3ELS4_3ELNS0_20block_scan_algorithmE0ELj4294967295EEENS1_25partition_config_selectorILNS1_17partition_subalgoE3EjNS0_10empty_typeEbEEZZNS1_14partition_implILS8_3ELb0ES6_jNS0_17counting_iteratorIjlEEPS9_SE_NS0_5tupleIJPjSE_EEENSF_IJSE_SE_EEES9_SG_JZNS1_25segmented_radix_sort_implINS0_14default_configELb1EPKdPdPKlPlN2at6native12_GLOBAL__N_18offset_tEEE10hipError_tPvRmT1_PNSt15iterator_traitsISY_E10value_typeET2_T3_PNSZ_IS14_E10value_typeET4_jRbjT5_S1A_jjP12ihipStream_tbEUljE_EEESV_SW_SX_S14_S18_S1A_T6_T7_T9_mT8_S1C_bDpT10_ENKUlT_T0_E_clISt17integral_constantIbLb0EES1P_EEDaS1K_S1L_EUlS1K_E_NS1_11comp_targetILNS1_3genE10ELNS1_11target_archE1200ELNS1_3gpuE4ELNS1_3repE0EEENS1_30default_config_static_selectorELNS0_4arch9wavefront6targetE0EEEvSY_.uses_flat_scratch, 0
	.set _ZN7rocprim17ROCPRIM_400000_NS6detail17trampoline_kernelINS0_13select_configILj256ELj13ELNS0_17block_load_methodE3ELS4_3ELS4_3ELNS0_20block_scan_algorithmE0ELj4294967295EEENS1_25partition_config_selectorILNS1_17partition_subalgoE3EjNS0_10empty_typeEbEEZZNS1_14partition_implILS8_3ELb0ES6_jNS0_17counting_iteratorIjlEEPS9_SE_NS0_5tupleIJPjSE_EEENSF_IJSE_SE_EEES9_SG_JZNS1_25segmented_radix_sort_implINS0_14default_configELb1EPKdPdPKlPlN2at6native12_GLOBAL__N_18offset_tEEE10hipError_tPvRmT1_PNSt15iterator_traitsISY_E10value_typeET2_T3_PNSZ_IS14_E10value_typeET4_jRbjT5_S1A_jjP12ihipStream_tbEUljE_EEESV_SW_SX_S14_S18_S1A_T6_T7_T9_mT8_S1C_bDpT10_ENKUlT_T0_E_clISt17integral_constantIbLb0EES1P_EEDaS1K_S1L_EUlS1K_E_NS1_11comp_targetILNS1_3genE10ELNS1_11target_archE1200ELNS1_3gpuE4ELNS1_3repE0EEENS1_30default_config_static_selectorELNS0_4arch9wavefront6targetE0EEEvSY_.has_dyn_sized_stack, 0
	.set _ZN7rocprim17ROCPRIM_400000_NS6detail17trampoline_kernelINS0_13select_configILj256ELj13ELNS0_17block_load_methodE3ELS4_3ELS4_3ELNS0_20block_scan_algorithmE0ELj4294967295EEENS1_25partition_config_selectorILNS1_17partition_subalgoE3EjNS0_10empty_typeEbEEZZNS1_14partition_implILS8_3ELb0ES6_jNS0_17counting_iteratorIjlEEPS9_SE_NS0_5tupleIJPjSE_EEENSF_IJSE_SE_EEES9_SG_JZNS1_25segmented_radix_sort_implINS0_14default_configELb1EPKdPdPKlPlN2at6native12_GLOBAL__N_18offset_tEEE10hipError_tPvRmT1_PNSt15iterator_traitsISY_E10value_typeET2_T3_PNSZ_IS14_E10value_typeET4_jRbjT5_S1A_jjP12ihipStream_tbEUljE_EEESV_SW_SX_S14_S18_S1A_T6_T7_T9_mT8_S1C_bDpT10_ENKUlT_T0_E_clISt17integral_constantIbLb0EES1P_EEDaS1K_S1L_EUlS1K_E_NS1_11comp_targetILNS1_3genE10ELNS1_11target_archE1200ELNS1_3gpuE4ELNS1_3repE0EEENS1_30default_config_static_selectorELNS0_4arch9wavefront6targetE0EEEvSY_.has_recursion, 0
	.set _ZN7rocprim17ROCPRIM_400000_NS6detail17trampoline_kernelINS0_13select_configILj256ELj13ELNS0_17block_load_methodE3ELS4_3ELS4_3ELNS0_20block_scan_algorithmE0ELj4294967295EEENS1_25partition_config_selectorILNS1_17partition_subalgoE3EjNS0_10empty_typeEbEEZZNS1_14partition_implILS8_3ELb0ES6_jNS0_17counting_iteratorIjlEEPS9_SE_NS0_5tupleIJPjSE_EEENSF_IJSE_SE_EEES9_SG_JZNS1_25segmented_radix_sort_implINS0_14default_configELb1EPKdPdPKlPlN2at6native12_GLOBAL__N_18offset_tEEE10hipError_tPvRmT1_PNSt15iterator_traitsISY_E10value_typeET2_T3_PNSZ_IS14_E10value_typeET4_jRbjT5_S1A_jjP12ihipStream_tbEUljE_EEESV_SW_SX_S14_S18_S1A_T6_T7_T9_mT8_S1C_bDpT10_ENKUlT_T0_E_clISt17integral_constantIbLb0EES1P_EEDaS1K_S1L_EUlS1K_E_NS1_11comp_targetILNS1_3genE10ELNS1_11target_archE1200ELNS1_3gpuE4ELNS1_3repE0EEENS1_30default_config_static_selectorELNS0_4arch9wavefront6targetE0EEEvSY_.has_indirect_call, 0
	.section	.AMDGPU.csdata,"",@progbits
; Kernel info:
; codeLenInByte = 0
; TotalNumSgprs: 0
; NumVgprs: 0
; ScratchSize: 0
; MemoryBound: 0
; FloatMode: 240
; IeeeMode: 1
; LDSByteSize: 0 bytes/workgroup (compile time only)
; SGPRBlocks: 0
; VGPRBlocks: 0
; NumSGPRsForWavesPerEU: 1
; NumVGPRsForWavesPerEU: 1
; NamedBarCnt: 0
; Occupancy: 16
; WaveLimiterHint : 0
; COMPUTE_PGM_RSRC2:SCRATCH_EN: 0
; COMPUTE_PGM_RSRC2:USER_SGPR: 2
; COMPUTE_PGM_RSRC2:TRAP_HANDLER: 0
; COMPUTE_PGM_RSRC2:TGID_X_EN: 1
; COMPUTE_PGM_RSRC2:TGID_Y_EN: 0
; COMPUTE_PGM_RSRC2:TGID_Z_EN: 0
; COMPUTE_PGM_RSRC2:TIDIG_COMP_CNT: 0
	.section	.text._ZN7rocprim17ROCPRIM_400000_NS6detail17trampoline_kernelINS0_13select_configILj256ELj13ELNS0_17block_load_methodE3ELS4_3ELS4_3ELNS0_20block_scan_algorithmE0ELj4294967295EEENS1_25partition_config_selectorILNS1_17partition_subalgoE3EjNS0_10empty_typeEbEEZZNS1_14partition_implILS8_3ELb0ES6_jNS0_17counting_iteratorIjlEEPS9_SE_NS0_5tupleIJPjSE_EEENSF_IJSE_SE_EEES9_SG_JZNS1_25segmented_radix_sort_implINS0_14default_configELb1EPKdPdPKlPlN2at6native12_GLOBAL__N_18offset_tEEE10hipError_tPvRmT1_PNSt15iterator_traitsISY_E10value_typeET2_T3_PNSZ_IS14_E10value_typeET4_jRbjT5_S1A_jjP12ihipStream_tbEUljE_EEESV_SW_SX_S14_S18_S1A_T6_T7_T9_mT8_S1C_bDpT10_ENKUlT_T0_E_clISt17integral_constantIbLb0EES1P_EEDaS1K_S1L_EUlS1K_E_NS1_11comp_targetILNS1_3genE9ELNS1_11target_archE1100ELNS1_3gpuE3ELNS1_3repE0EEENS1_30default_config_static_selectorELNS0_4arch9wavefront6targetE0EEEvSY_,"axG",@progbits,_ZN7rocprim17ROCPRIM_400000_NS6detail17trampoline_kernelINS0_13select_configILj256ELj13ELNS0_17block_load_methodE3ELS4_3ELS4_3ELNS0_20block_scan_algorithmE0ELj4294967295EEENS1_25partition_config_selectorILNS1_17partition_subalgoE3EjNS0_10empty_typeEbEEZZNS1_14partition_implILS8_3ELb0ES6_jNS0_17counting_iteratorIjlEEPS9_SE_NS0_5tupleIJPjSE_EEENSF_IJSE_SE_EEES9_SG_JZNS1_25segmented_radix_sort_implINS0_14default_configELb1EPKdPdPKlPlN2at6native12_GLOBAL__N_18offset_tEEE10hipError_tPvRmT1_PNSt15iterator_traitsISY_E10value_typeET2_T3_PNSZ_IS14_E10value_typeET4_jRbjT5_S1A_jjP12ihipStream_tbEUljE_EEESV_SW_SX_S14_S18_S1A_T6_T7_T9_mT8_S1C_bDpT10_ENKUlT_T0_E_clISt17integral_constantIbLb0EES1P_EEDaS1K_S1L_EUlS1K_E_NS1_11comp_targetILNS1_3genE9ELNS1_11target_archE1100ELNS1_3gpuE3ELNS1_3repE0EEENS1_30default_config_static_selectorELNS0_4arch9wavefront6targetE0EEEvSY_,comdat
	.globl	_ZN7rocprim17ROCPRIM_400000_NS6detail17trampoline_kernelINS0_13select_configILj256ELj13ELNS0_17block_load_methodE3ELS4_3ELS4_3ELNS0_20block_scan_algorithmE0ELj4294967295EEENS1_25partition_config_selectorILNS1_17partition_subalgoE3EjNS0_10empty_typeEbEEZZNS1_14partition_implILS8_3ELb0ES6_jNS0_17counting_iteratorIjlEEPS9_SE_NS0_5tupleIJPjSE_EEENSF_IJSE_SE_EEES9_SG_JZNS1_25segmented_radix_sort_implINS0_14default_configELb1EPKdPdPKlPlN2at6native12_GLOBAL__N_18offset_tEEE10hipError_tPvRmT1_PNSt15iterator_traitsISY_E10value_typeET2_T3_PNSZ_IS14_E10value_typeET4_jRbjT5_S1A_jjP12ihipStream_tbEUljE_EEESV_SW_SX_S14_S18_S1A_T6_T7_T9_mT8_S1C_bDpT10_ENKUlT_T0_E_clISt17integral_constantIbLb0EES1P_EEDaS1K_S1L_EUlS1K_E_NS1_11comp_targetILNS1_3genE9ELNS1_11target_archE1100ELNS1_3gpuE3ELNS1_3repE0EEENS1_30default_config_static_selectorELNS0_4arch9wavefront6targetE0EEEvSY_ ; -- Begin function _ZN7rocprim17ROCPRIM_400000_NS6detail17trampoline_kernelINS0_13select_configILj256ELj13ELNS0_17block_load_methodE3ELS4_3ELS4_3ELNS0_20block_scan_algorithmE0ELj4294967295EEENS1_25partition_config_selectorILNS1_17partition_subalgoE3EjNS0_10empty_typeEbEEZZNS1_14partition_implILS8_3ELb0ES6_jNS0_17counting_iteratorIjlEEPS9_SE_NS0_5tupleIJPjSE_EEENSF_IJSE_SE_EEES9_SG_JZNS1_25segmented_radix_sort_implINS0_14default_configELb1EPKdPdPKlPlN2at6native12_GLOBAL__N_18offset_tEEE10hipError_tPvRmT1_PNSt15iterator_traitsISY_E10value_typeET2_T3_PNSZ_IS14_E10value_typeET4_jRbjT5_S1A_jjP12ihipStream_tbEUljE_EEESV_SW_SX_S14_S18_S1A_T6_T7_T9_mT8_S1C_bDpT10_ENKUlT_T0_E_clISt17integral_constantIbLb0EES1P_EEDaS1K_S1L_EUlS1K_E_NS1_11comp_targetILNS1_3genE9ELNS1_11target_archE1100ELNS1_3gpuE3ELNS1_3repE0EEENS1_30default_config_static_selectorELNS0_4arch9wavefront6targetE0EEEvSY_
	.p2align	8
	.type	_ZN7rocprim17ROCPRIM_400000_NS6detail17trampoline_kernelINS0_13select_configILj256ELj13ELNS0_17block_load_methodE3ELS4_3ELS4_3ELNS0_20block_scan_algorithmE0ELj4294967295EEENS1_25partition_config_selectorILNS1_17partition_subalgoE3EjNS0_10empty_typeEbEEZZNS1_14partition_implILS8_3ELb0ES6_jNS0_17counting_iteratorIjlEEPS9_SE_NS0_5tupleIJPjSE_EEENSF_IJSE_SE_EEES9_SG_JZNS1_25segmented_radix_sort_implINS0_14default_configELb1EPKdPdPKlPlN2at6native12_GLOBAL__N_18offset_tEEE10hipError_tPvRmT1_PNSt15iterator_traitsISY_E10value_typeET2_T3_PNSZ_IS14_E10value_typeET4_jRbjT5_S1A_jjP12ihipStream_tbEUljE_EEESV_SW_SX_S14_S18_S1A_T6_T7_T9_mT8_S1C_bDpT10_ENKUlT_T0_E_clISt17integral_constantIbLb0EES1P_EEDaS1K_S1L_EUlS1K_E_NS1_11comp_targetILNS1_3genE9ELNS1_11target_archE1100ELNS1_3gpuE3ELNS1_3repE0EEENS1_30default_config_static_selectorELNS0_4arch9wavefront6targetE0EEEvSY_,@function
_ZN7rocprim17ROCPRIM_400000_NS6detail17trampoline_kernelINS0_13select_configILj256ELj13ELNS0_17block_load_methodE3ELS4_3ELS4_3ELNS0_20block_scan_algorithmE0ELj4294967295EEENS1_25partition_config_selectorILNS1_17partition_subalgoE3EjNS0_10empty_typeEbEEZZNS1_14partition_implILS8_3ELb0ES6_jNS0_17counting_iteratorIjlEEPS9_SE_NS0_5tupleIJPjSE_EEENSF_IJSE_SE_EEES9_SG_JZNS1_25segmented_radix_sort_implINS0_14default_configELb1EPKdPdPKlPlN2at6native12_GLOBAL__N_18offset_tEEE10hipError_tPvRmT1_PNSt15iterator_traitsISY_E10value_typeET2_T3_PNSZ_IS14_E10value_typeET4_jRbjT5_S1A_jjP12ihipStream_tbEUljE_EEESV_SW_SX_S14_S18_S1A_T6_T7_T9_mT8_S1C_bDpT10_ENKUlT_T0_E_clISt17integral_constantIbLb0EES1P_EEDaS1K_S1L_EUlS1K_E_NS1_11comp_targetILNS1_3genE9ELNS1_11target_archE1100ELNS1_3gpuE3ELNS1_3repE0EEENS1_30default_config_static_selectorELNS0_4arch9wavefront6targetE0EEEvSY_: ; @_ZN7rocprim17ROCPRIM_400000_NS6detail17trampoline_kernelINS0_13select_configILj256ELj13ELNS0_17block_load_methodE3ELS4_3ELS4_3ELNS0_20block_scan_algorithmE0ELj4294967295EEENS1_25partition_config_selectorILNS1_17partition_subalgoE3EjNS0_10empty_typeEbEEZZNS1_14partition_implILS8_3ELb0ES6_jNS0_17counting_iteratorIjlEEPS9_SE_NS0_5tupleIJPjSE_EEENSF_IJSE_SE_EEES9_SG_JZNS1_25segmented_radix_sort_implINS0_14default_configELb1EPKdPdPKlPlN2at6native12_GLOBAL__N_18offset_tEEE10hipError_tPvRmT1_PNSt15iterator_traitsISY_E10value_typeET2_T3_PNSZ_IS14_E10value_typeET4_jRbjT5_S1A_jjP12ihipStream_tbEUljE_EEESV_SW_SX_S14_S18_S1A_T6_T7_T9_mT8_S1C_bDpT10_ENKUlT_T0_E_clISt17integral_constantIbLb0EES1P_EEDaS1K_S1L_EUlS1K_E_NS1_11comp_targetILNS1_3genE9ELNS1_11target_archE1100ELNS1_3gpuE3ELNS1_3repE0EEENS1_30default_config_static_selectorELNS0_4arch9wavefront6targetE0EEEvSY_
; %bb.0:
	.section	.rodata,"a",@progbits
	.p2align	6, 0x0
	.amdhsa_kernel _ZN7rocprim17ROCPRIM_400000_NS6detail17trampoline_kernelINS0_13select_configILj256ELj13ELNS0_17block_load_methodE3ELS4_3ELS4_3ELNS0_20block_scan_algorithmE0ELj4294967295EEENS1_25partition_config_selectorILNS1_17partition_subalgoE3EjNS0_10empty_typeEbEEZZNS1_14partition_implILS8_3ELb0ES6_jNS0_17counting_iteratorIjlEEPS9_SE_NS0_5tupleIJPjSE_EEENSF_IJSE_SE_EEES9_SG_JZNS1_25segmented_radix_sort_implINS0_14default_configELb1EPKdPdPKlPlN2at6native12_GLOBAL__N_18offset_tEEE10hipError_tPvRmT1_PNSt15iterator_traitsISY_E10value_typeET2_T3_PNSZ_IS14_E10value_typeET4_jRbjT5_S1A_jjP12ihipStream_tbEUljE_EEESV_SW_SX_S14_S18_S1A_T6_T7_T9_mT8_S1C_bDpT10_ENKUlT_T0_E_clISt17integral_constantIbLb0EES1P_EEDaS1K_S1L_EUlS1K_E_NS1_11comp_targetILNS1_3genE9ELNS1_11target_archE1100ELNS1_3gpuE3ELNS1_3repE0EEENS1_30default_config_static_selectorELNS0_4arch9wavefront6targetE0EEEvSY_
		.amdhsa_group_segment_fixed_size 0
		.amdhsa_private_segment_fixed_size 0
		.amdhsa_kernarg_size 144
		.amdhsa_user_sgpr_count 2
		.amdhsa_user_sgpr_dispatch_ptr 0
		.amdhsa_user_sgpr_queue_ptr 0
		.amdhsa_user_sgpr_kernarg_segment_ptr 1
		.amdhsa_user_sgpr_dispatch_id 0
		.amdhsa_user_sgpr_kernarg_preload_length 0
		.amdhsa_user_sgpr_kernarg_preload_offset 0
		.amdhsa_user_sgpr_private_segment_size 0
		.amdhsa_wavefront_size32 1
		.amdhsa_uses_dynamic_stack 0
		.amdhsa_enable_private_segment 0
		.amdhsa_system_sgpr_workgroup_id_x 1
		.amdhsa_system_sgpr_workgroup_id_y 0
		.amdhsa_system_sgpr_workgroup_id_z 0
		.amdhsa_system_sgpr_workgroup_info 0
		.amdhsa_system_vgpr_workitem_id 0
		.amdhsa_next_free_vgpr 1
		.amdhsa_next_free_sgpr 1
		.amdhsa_named_barrier_count 0
		.amdhsa_reserve_vcc 0
		.amdhsa_float_round_mode_32 0
		.amdhsa_float_round_mode_16_64 0
		.amdhsa_float_denorm_mode_32 3
		.amdhsa_float_denorm_mode_16_64 3
		.amdhsa_fp16_overflow 0
		.amdhsa_memory_ordered 1
		.amdhsa_forward_progress 1
		.amdhsa_inst_pref_size 0
		.amdhsa_round_robin_scheduling 0
		.amdhsa_exception_fp_ieee_invalid_op 0
		.amdhsa_exception_fp_denorm_src 0
		.amdhsa_exception_fp_ieee_div_zero 0
		.amdhsa_exception_fp_ieee_overflow 0
		.amdhsa_exception_fp_ieee_underflow 0
		.amdhsa_exception_fp_ieee_inexact 0
		.amdhsa_exception_int_div_zero 0
	.end_amdhsa_kernel
	.section	.text._ZN7rocprim17ROCPRIM_400000_NS6detail17trampoline_kernelINS0_13select_configILj256ELj13ELNS0_17block_load_methodE3ELS4_3ELS4_3ELNS0_20block_scan_algorithmE0ELj4294967295EEENS1_25partition_config_selectorILNS1_17partition_subalgoE3EjNS0_10empty_typeEbEEZZNS1_14partition_implILS8_3ELb0ES6_jNS0_17counting_iteratorIjlEEPS9_SE_NS0_5tupleIJPjSE_EEENSF_IJSE_SE_EEES9_SG_JZNS1_25segmented_radix_sort_implINS0_14default_configELb1EPKdPdPKlPlN2at6native12_GLOBAL__N_18offset_tEEE10hipError_tPvRmT1_PNSt15iterator_traitsISY_E10value_typeET2_T3_PNSZ_IS14_E10value_typeET4_jRbjT5_S1A_jjP12ihipStream_tbEUljE_EEESV_SW_SX_S14_S18_S1A_T6_T7_T9_mT8_S1C_bDpT10_ENKUlT_T0_E_clISt17integral_constantIbLb0EES1P_EEDaS1K_S1L_EUlS1K_E_NS1_11comp_targetILNS1_3genE9ELNS1_11target_archE1100ELNS1_3gpuE3ELNS1_3repE0EEENS1_30default_config_static_selectorELNS0_4arch9wavefront6targetE0EEEvSY_,"axG",@progbits,_ZN7rocprim17ROCPRIM_400000_NS6detail17trampoline_kernelINS0_13select_configILj256ELj13ELNS0_17block_load_methodE3ELS4_3ELS4_3ELNS0_20block_scan_algorithmE0ELj4294967295EEENS1_25partition_config_selectorILNS1_17partition_subalgoE3EjNS0_10empty_typeEbEEZZNS1_14partition_implILS8_3ELb0ES6_jNS0_17counting_iteratorIjlEEPS9_SE_NS0_5tupleIJPjSE_EEENSF_IJSE_SE_EEES9_SG_JZNS1_25segmented_radix_sort_implINS0_14default_configELb1EPKdPdPKlPlN2at6native12_GLOBAL__N_18offset_tEEE10hipError_tPvRmT1_PNSt15iterator_traitsISY_E10value_typeET2_T3_PNSZ_IS14_E10value_typeET4_jRbjT5_S1A_jjP12ihipStream_tbEUljE_EEESV_SW_SX_S14_S18_S1A_T6_T7_T9_mT8_S1C_bDpT10_ENKUlT_T0_E_clISt17integral_constantIbLb0EES1P_EEDaS1K_S1L_EUlS1K_E_NS1_11comp_targetILNS1_3genE9ELNS1_11target_archE1100ELNS1_3gpuE3ELNS1_3repE0EEENS1_30default_config_static_selectorELNS0_4arch9wavefront6targetE0EEEvSY_,comdat
.Lfunc_end1086:
	.size	_ZN7rocprim17ROCPRIM_400000_NS6detail17trampoline_kernelINS0_13select_configILj256ELj13ELNS0_17block_load_methodE3ELS4_3ELS4_3ELNS0_20block_scan_algorithmE0ELj4294967295EEENS1_25partition_config_selectorILNS1_17partition_subalgoE3EjNS0_10empty_typeEbEEZZNS1_14partition_implILS8_3ELb0ES6_jNS0_17counting_iteratorIjlEEPS9_SE_NS0_5tupleIJPjSE_EEENSF_IJSE_SE_EEES9_SG_JZNS1_25segmented_radix_sort_implINS0_14default_configELb1EPKdPdPKlPlN2at6native12_GLOBAL__N_18offset_tEEE10hipError_tPvRmT1_PNSt15iterator_traitsISY_E10value_typeET2_T3_PNSZ_IS14_E10value_typeET4_jRbjT5_S1A_jjP12ihipStream_tbEUljE_EEESV_SW_SX_S14_S18_S1A_T6_T7_T9_mT8_S1C_bDpT10_ENKUlT_T0_E_clISt17integral_constantIbLb0EES1P_EEDaS1K_S1L_EUlS1K_E_NS1_11comp_targetILNS1_3genE9ELNS1_11target_archE1100ELNS1_3gpuE3ELNS1_3repE0EEENS1_30default_config_static_selectorELNS0_4arch9wavefront6targetE0EEEvSY_, .Lfunc_end1086-_ZN7rocprim17ROCPRIM_400000_NS6detail17trampoline_kernelINS0_13select_configILj256ELj13ELNS0_17block_load_methodE3ELS4_3ELS4_3ELNS0_20block_scan_algorithmE0ELj4294967295EEENS1_25partition_config_selectorILNS1_17partition_subalgoE3EjNS0_10empty_typeEbEEZZNS1_14partition_implILS8_3ELb0ES6_jNS0_17counting_iteratorIjlEEPS9_SE_NS0_5tupleIJPjSE_EEENSF_IJSE_SE_EEES9_SG_JZNS1_25segmented_radix_sort_implINS0_14default_configELb1EPKdPdPKlPlN2at6native12_GLOBAL__N_18offset_tEEE10hipError_tPvRmT1_PNSt15iterator_traitsISY_E10value_typeET2_T3_PNSZ_IS14_E10value_typeET4_jRbjT5_S1A_jjP12ihipStream_tbEUljE_EEESV_SW_SX_S14_S18_S1A_T6_T7_T9_mT8_S1C_bDpT10_ENKUlT_T0_E_clISt17integral_constantIbLb0EES1P_EEDaS1K_S1L_EUlS1K_E_NS1_11comp_targetILNS1_3genE9ELNS1_11target_archE1100ELNS1_3gpuE3ELNS1_3repE0EEENS1_30default_config_static_selectorELNS0_4arch9wavefront6targetE0EEEvSY_
                                        ; -- End function
	.set _ZN7rocprim17ROCPRIM_400000_NS6detail17trampoline_kernelINS0_13select_configILj256ELj13ELNS0_17block_load_methodE3ELS4_3ELS4_3ELNS0_20block_scan_algorithmE0ELj4294967295EEENS1_25partition_config_selectorILNS1_17partition_subalgoE3EjNS0_10empty_typeEbEEZZNS1_14partition_implILS8_3ELb0ES6_jNS0_17counting_iteratorIjlEEPS9_SE_NS0_5tupleIJPjSE_EEENSF_IJSE_SE_EEES9_SG_JZNS1_25segmented_radix_sort_implINS0_14default_configELb1EPKdPdPKlPlN2at6native12_GLOBAL__N_18offset_tEEE10hipError_tPvRmT1_PNSt15iterator_traitsISY_E10value_typeET2_T3_PNSZ_IS14_E10value_typeET4_jRbjT5_S1A_jjP12ihipStream_tbEUljE_EEESV_SW_SX_S14_S18_S1A_T6_T7_T9_mT8_S1C_bDpT10_ENKUlT_T0_E_clISt17integral_constantIbLb0EES1P_EEDaS1K_S1L_EUlS1K_E_NS1_11comp_targetILNS1_3genE9ELNS1_11target_archE1100ELNS1_3gpuE3ELNS1_3repE0EEENS1_30default_config_static_selectorELNS0_4arch9wavefront6targetE0EEEvSY_.num_vgpr, 0
	.set _ZN7rocprim17ROCPRIM_400000_NS6detail17trampoline_kernelINS0_13select_configILj256ELj13ELNS0_17block_load_methodE3ELS4_3ELS4_3ELNS0_20block_scan_algorithmE0ELj4294967295EEENS1_25partition_config_selectorILNS1_17partition_subalgoE3EjNS0_10empty_typeEbEEZZNS1_14partition_implILS8_3ELb0ES6_jNS0_17counting_iteratorIjlEEPS9_SE_NS0_5tupleIJPjSE_EEENSF_IJSE_SE_EEES9_SG_JZNS1_25segmented_radix_sort_implINS0_14default_configELb1EPKdPdPKlPlN2at6native12_GLOBAL__N_18offset_tEEE10hipError_tPvRmT1_PNSt15iterator_traitsISY_E10value_typeET2_T3_PNSZ_IS14_E10value_typeET4_jRbjT5_S1A_jjP12ihipStream_tbEUljE_EEESV_SW_SX_S14_S18_S1A_T6_T7_T9_mT8_S1C_bDpT10_ENKUlT_T0_E_clISt17integral_constantIbLb0EES1P_EEDaS1K_S1L_EUlS1K_E_NS1_11comp_targetILNS1_3genE9ELNS1_11target_archE1100ELNS1_3gpuE3ELNS1_3repE0EEENS1_30default_config_static_selectorELNS0_4arch9wavefront6targetE0EEEvSY_.num_agpr, 0
	.set _ZN7rocprim17ROCPRIM_400000_NS6detail17trampoline_kernelINS0_13select_configILj256ELj13ELNS0_17block_load_methodE3ELS4_3ELS4_3ELNS0_20block_scan_algorithmE0ELj4294967295EEENS1_25partition_config_selectorILNS1_17partition_subalgoE3EjNS0_10empty_typeEbEEZZNS1_14partition_implILS8_3ELb0ES6_jNS0_17counting_iteratorIjlEEPS9_SE_NS0_5tupleIJPjSE_EEENSF_IJSE_SE_EEES9_SG_JZNS1_25segmented_radix_sort_implINS0_14default_configELb1EPKdPdPKlPlN2at6native12_GLOBAL__N_18offset_tEEE10hipError_tPvRmT1_PNSt15iterator_traitsISY_E10value_typeET2_T3_PNSZ_IS14_E10value_typeET4_jRbjT5_S1A_jjP12ihipStream_tbEUljE_EEESV_SW_SX_S14_S18_S1A_T6_T7_T9_mT8_S1C_bDpT10_ENKUlT_T0_E_clISt17integral_constantIbLb0EES1P_EEDaS1K_S1L_EUlS1K_E_NS1_11comp_targetILNS1_3genE9ELNS1_11target_archE1100ELNS1_3gpuE3ELNS1_3repE0EEENS1_30default_config_static_selectorELNS0_4arch9wavefront6targetE0EEEvSY_.numbered_sgpr, 0
	.set _ZN7rocprim17ROCPRIM_400000_NS6detail17trampoline_kernelINS0_13select_configILj256ELj13ELNS0_17block_load_methodE3ELS4_3ELS4_3ELNS0_20block_scan_algorithmE0ELj4294967295EEENS1_25partition_config_selectorILNS1_17partition_subalgoE3EjNS0_10empty_typeEbEEZZNS1_14partition_implILS8_3ELb0ES6_jNS0_17counting_iteratorIjlEEPS9_SE_NS0_5tupleIJPjSE_EEENSF_IJSE_SE_EEES9_SG_JZNS1_25segmented_radix_sort_implINS0_14default_configELb1EPKdPdPKlPlN2at6native12_GLOBAL__N_18offset_tEEE10hipError_tPvRmT1_PNSt15iterator_traitsISY_E10value_typeET2_T3_PNSZ_IS14_E10value_typeET4_jRbjT5_S1A_jjP12ihipStream_tbEUljE_EEESV_SW_SX_S14_S18_S1A_T6_T7_T9_mT8_S1C_bDpT10_ENKUlT_T0_E_clISt17integral_constantIbLb0EES1P_EEDaS1K_S1L_EUlS1K_E_NS1_11comp_targetILNS1_3genE9ELNS1_11target_archE1100ELNS1_3gpuE3ELNS1_3repE0EEENS1_30default_config_static_selectorELNS0_4arch9wavefront6targetE0EEEvSY_.num_named_barrier, 0
	.set _ZN7rocprim17ROCPRIM_400000_NS6detail17trampoline_kernelINS0_13select_configILj256ELj13ELNS0_17block_load_methodE3ELS4_3ELS4_3ELNS0_20block_scan_algorithmE0ELj4294967295EEENS1_25partition_config_selectorILNS1_17partition_subalgoE3EjNS0_10empty_typeEbEEZZNS1_14partition_implILS8_3ELb0ES6_jNS0_17counting_iteratorIjlEEPS9_SE_NS0_5tupleIJPjSE_EEENSF_IJSE_SE_EEES9_SG_JZNS1_25segmented_radix_sort_implINS0_14default_configELb1EPKdPdPKlPlN2at6native12_GLOBAL__N_18offset_tEEE10hipError_tPvRmT1_PNSt15iterator_traitsISY_E10value_typeET2_T3_PNSZ_IS14_E10value_typeET4_jRbjT5_S1A_jjP12ihipStream_tbEUljE_EEESV_SW_SX_S14_S18_S1A_T6_T7_T9_mT8_S1C_bDpT10_ENKUlT_T0_E_clISt17integral_constantIbLb0EES1P_EEDaS1K_S1L_EUlS1K_E_NS1_11comp_targetILNS1_3genE9ELNS1_11target_archE1100ELNS1_3gpuE3ELNS1_3repE0EEENS1_30default_config_static_selectorELNS0_4arch9wavefront6targetE0EEEvSY_.private_seg_size, 0
	.set _ZN7rocprim17ROCPRIM_400000_NS6detail17trampoline_kernelINS0_13select_configILj256ELj13ELNS0_17block_load_methodE3ELS4_3ELS4_3ELNS0_20block_scan_algorithmE0ELj4294967295EEENS1_25partition_config_selectorILNS1_17partition_subalgoE3EjNS0_10empty_typeEbEEZZNS1_14partition_implILS8_3ELb0ES6_jNS0_17counting_iteratorIjlEEPS9_SE_NS0_5tupleIJPjSE_EEENSF_IJSE_SE_EEES9_SG_JZNS1_25segmented_radix_sort_implINS0_14default_configELb1EPKdPdPKlPlN2at6native12_GLOBAL__N_18offset_tEEE10hipError_tPvRmT1_PNSt15iterator_traitsISY_E10value_typeET2_T3_PNSZ_IS14_E10value_typeET4_jRbjT5_S1A_jjP12ihipStream_tbEUljE_EEESV_SW_SX_S14_S18_S1A_T6_T7_T9_mT8_S1C_bDpT10_ENKUlT_T0_E_clISt17integral_constantIbLb0EES1P_EEDaS1K_S1L_EUlS1K_E_NS1_11comp_targetILNS1_3genE9ELNS1_11target_archE1100ELNS1_3gpuE3ELNS1_3repE0EEENS1_30default_config_static_selectorELNS0_4arch9wavefront6targetE0EEEvSY_.uses_vcc, 0
	.set _ZN7rocprim17ROCPRIM_400000_NS6detail17trampoline_kernelINS0_13select_configILj256ELj13ELNS0_17block_load_methodE3ELS4_3ELS4_3ELNS0_20block_scan_algorithmE0ELj4294967295EEENS1_25partition_config_selectorILNS1_17partition_subalgoE3EjNS0_10empty_typeEbEEZZNS1_14partition_implILS8_3ELb0ES6_jNS0_17counting_iteratorIjlEEPS9_SE_NS0_5tupleIJPjSE_EEENSF_IJSE_SE_EEES9_SG_JZNS1_25segmented_radix_sort_implINS0_14default_configELb1EPKdPdPKlPlN2at6native12_GLOBAL__N_18offset_tEEE10hipError_tPvRmT1_PNSt15iterator_traitsISY_E10value_typeET2_T3_PNSZ_IS14_E10value_typeET4_jRbjT5_S1A_jjP12ihipStream_tbEUljE_EEESV_SW_SX_S14_S18_S1A_T6_T7_T9_mT8_S1C_bDpT10_ENKUlT_T0_E_clISt17integral_constantIbLb0EES1P_EEDaS1K_S1L_EUlS1K_E_NS1_11comp_targetILNS1_3genE9ELNS1_11target_archE1100ELNS1_3gpuE3ELNS1_3repE0EEENS1_30default_config_static_selectorELNS0_4arch9wavefront6targetE0EEEvSY_.uses_flat_scratch, 0
	.set _ZN7rocprim17ROCPRIM_400000_NS6detail17trampoline_kernelINS0_13select_configILj256ELj13ELNS0_17block_load_methodE3ELS4_3ELS4_3ELNS0_20block_scan_algorithmE0ELj4294967295EEENS1_25partition_config_selectorILNS1_17partition_subalgoE3EjNS0_10empty_typeEbEEZZNS1_14partition_implILS8_3ELb0ES6_jNS0_17counting_iteratorIjlEEPS9_SE_NS0_5tupleIJPjSE_EEENSF_IJSE_SE_EEES9_SG_JZNS1_25segmented_radix_sort_implINS0_14default_configELb1EPKdPdPKlPlN2at6native12_GLOBAL__N_18offset_tEEE10hipError_tPvRmT1_PNSt15iterator_traitsISY_E10value_typeET2_T3_PNSZ_IS14_E10value_typeET4_jRbjT5_S1A_jjP12ihipStream_tbEUljE_EEESV_SW_SX_S14_S18_S1A_T6_T7_T9_mT8_S1C_bDpT10_ENKUlT_T0_E_clISt17integral_constantIbLb0EES1P_EEDaS1K_S1L_EUlS1K_E_NS1_11comp_targetILNS1_3genE9ELNS1_11target_archE1100ELNS1_3gpuE3ELNS1_3repE0EEENS1_30default_config_static_selectorELNS0_4arch9wavefront6targetE0EEEvSY_.has_dyn_sized_stack, 0
	.set _ZN7rocprim17ROCPRIM_400000_NS6detail17trampoline_kernelINS0_13select_configILj256ELj13ELNS0_17block_load_methodE3ELS4_3ELS4_3ELNS0_20block_scan_algorithmE0ELj4294967295EEENS1_25partition_config_selectorILNS1_17partition_subalgoE3EjNS0_10empty_typeEbEEZZNS1_14partition_implILS8_3ELb0ES6_jNS0_17counting_iteratorIjlEEPS9_SE_NS0_5tupleIJPjSE_EEENSF_IJSE_SE_EEES9_SG_JZNS1_25segmented_radix_sort_implINS0_14default_configELb1EPKdPdPKlPlN2at6native12_GLOBAL__N_18offset_tEEE10hipError_tPvRmT1_PNSt15iterator_traitsISY_E10value_typeET2_T3_PNSZ_IS14_E10value_typeET4_jRbjT5_S1A_jjP12ihipStream_tbEUljE_EEESV_SW_SX_S14_S18_S1A_T6_T7_T9_mT8_S1C_bDpT10_ENKUlT_T0_E_clISt17integral_constantIbLb0EES1P_EEDaS1K_S1L_EUlS1K_E_NS1_11comp_targetILNS1_3genE9ELNS1_11target_archE1100ELNS1_3gpuE3ELNS1_3repE0EEENS1_30default_config_static_selectorELNS0_4arch9wavefront6targetE0EEEvSY_.has_recursion, 0
	.set _ZN7rocprim17ROCPRIM_400000_NS6detail17trampoline_kernelINS0_13select_configILj256ELj13ELNS0_17block_load_methodE3ELS4_3ELS4_3ELNS0_20block_scan_algorithmE0ELj4294967295EEENS1_25partition_config_selectorILNS1_17partition_subalgoE3EjNS0_10empty_typeEbEEZZNS1_14partition_implILS8_3ELb0ES6_jNS0_17counting_iteratorIjlEEPS9_SE_NS0_5tupleIJPjSE_EEENSF_IJSE_SE_EEES9_SG_JZNS1_25segmented_radix_sort_implINS0_14default_configELb1EPKdPdPKlPlN2at6native12_GLOBAL__N_18offset_tEEE10hipError_tPvRmT1_PNSt15iterator_traitsISY_E10value_typeET2_T3_PNSZ_IS14_E10value_typeET4_jRbjT5_S1A_jjP12ihipStream_tbEUljE_EEESV_SW_SX_S14_S18_S1A_T6_T7_T9_mT8_S1C_bDpT10_ENKUlT_T0_E_clISt17integral_constantIbLb0EES1P_EEDaS1K_S1L_EUlS1K_E_NS1_11comp_targetILNS1_3genE9ELNS1_11target_archE1100ELNS1_3gpuE3ELNS1_3repE0EEENS1_30default_config_static_selectorELNS0_4arch9wavefront6targetE0EEEvSY_.has_indirect_call, 0
	.section	.AMDGPU.csdata,"",@progbits
; Kernel info:
; codeLenInByte = 0
; TotalNumSgprs: 0
; NumVgprs: 0
; ScratchSize: 0
; MemoryBound: 0
; FloatMode: 240
; IeeeMode: 1
; LDSByteSize: 0 bytes/workgroup (compile time only)
; SGPRBlocks: 0
; VGPRBlocks: 0
; NumSGPRsForWavesPerEU: 1
; NumVGPRsForWavesPerEU: 1
; NamedBarCnt: 0
; Occupancy: 16
; WaveLimiterHint : 0
; COMPUTE_PGM_RSRC2:SCRATCH_EN: 0
; COMPUTE_PGM_RSRC2:USER_SGPR: 2
; COMPUTE_PGM_RSRC2:TRAP_HANDLER: 0
; COMPUTE_PGM_RSRC2:TGID_X_EN: 1
; COMPUTE_PGM_RSRC2:TGID_Y_EN: 0
; COMPUTE_PGM_RSRC2:TGID_Z_EN: 0
; COMPUTE_PGM_RSRC2:TIDIG_COMP_CNT: 0
	.section	.text._ZN7rocprim17ROCPRIM_400000_NS6detail17trampoline_kernelINS0_13select_configILj256ELj13ELNS0_17block_load_methodE3ELS4_3ELS4_3ELNS0_20block_scan_algorithmE0ELj4294967295EEENS1_25partition_config_selectorILNS1_17partition_subalgoE3EjNS0_10empty_typeEbEEZZNS1_14partition_implILS8_3ELb0ES6_jNS0_17counting_iteratorIjlEEPS9_SE_NS0_5tupleIJPjSE_EEENSF_IJSE_SE_EEES9_SG_JZNS1_25segmented_radix_sort_implINS0_14default_configELb1EPKdPdPKlPlN2at6native12_GLOBAL__N_18offset_tEEE10hipError_tPvRmT1_PNSt15iterator_traitsISY_E10value_typeET2_T3_PNSZ_IS14_E10value_typeET4_jRbjT5_S1A_jjP12ihipStream_tbEUljE_EEESV_SW_SX_S14_S18_S1A_T6_T7_T9_mT8_S1C_bDpT10_ENKUlT_T0_E_clISt17integral_constantIbLb0EES1P_EEDaS1K_S1L_EUlS1K_E_NS1_11comp_targetILNS1_3genE8ELNS1_11target_archE1030ELNS1_3gpuE2ELNS1_3repE0EEENS1_30default_config_static_selectorELNS0_4arch9wavefront6targetE0EEEvSY_,"axG",@progbits,_ZN7rocprim17ROCPRIM_400000_NS6detail17trampoline_kernelINS0_13select_configILj256ELj13ELNS0_17block_load_methodE3ELS4_3ELS4_3ELNS0_20block_scan_algorithmE0ELj4294967295EEENS1_25partition_config_selectorILNS1_17partition_subalgoE3EjNS0_10empty_typeEbEEZZNS1_14partition_implILS8_3ELb0ES6_jNS0_17counting_iteratorIjlEEPS9_SE_NS0_5tupleIJPjSE_EEENSF_IJSE_SE_EEES9_SG_JZNS1_25segmented_radix_sort_implINS0_14default_configELb1EPKdPdPKlPlN2at6native12_GLOBAL__N_18offset_tEEE10hipError_tPvRmT1_PNSt15iterator_traitsISY_E10value_typeET2_T3_PNSZ_IS14_E10value_typeET4_jRbjT5_S1A_jjP12ihipStream_tbEUljE_EEESV_SW_SX_S14_S18_S1A_T6_T7_T9_mT8_S1C_bDpT10_ENKUlT_T0_E_clISt17integral_constantIbLb0EES1P_EEDaS1K_S1L_EUlS1K_E_NS1_11comp_targetILNS1_3genE8ELNS1_11target_archE1030ELNS1_3gpuE2ELNS1_3repE0EEENS1_30default_config_static_selectorELNS0_4arch9wavefront6targetE0EEEvSY_,comdat
	.globl	_ZN7rocprim17ROCPRIM_400000_NS6detail17trampoline_kernelINS0_13select_configILj256ELj13ELNS0_17block_load_methodE3ELS4_3ELS4_3ELNS0_20block_scan_algorithmE0ELj4294967295EEENS1_25partition_config_selectorILNS1_17partition_subalgoE3EjNS0_10empty_typeEbEEZZNS1_14partition_implILS8_3ELb0ES6_jNS0_17counting_iteratorIjlEEPS9_SE_NS0_5tupleIJPjSE_EEENSF_IJSE_SE_EEES9_SG_JZNS1_25segmented_radix_sort_implINS0_14default_configELb1EPKdPdPKlPlN2at6native12_GLOBAL__N_18offset_tEEE10hipError_tPvRmT1_PNSt15iterator_traitsISY_E10value_typeET2_T3_PNSZ_IS14_E10value_typeET4_jRbjT5_S1A_jjP12ihipStream_tbEUljE_EEESV_SW_SX_S14_S18_S1A_T6_T7_T9_mT8_S1C_bDpT10_ENKUlT_T0_E_clISt17integral_constantIbLb0EES1P_EEDaS1K_S1L_EUlS1K_E_NS1_11comp_targetILNS1_3genE8ELNS1_11target_archE1030ELNS1_3gpuE2ELNS1_3repE0EEENS1_30default_config_static_selectorELNS0_4arch9wavefront6targetE0EEEvSY_ ; -- Begin function _ZN7rocprim17ROCPRIM_400000_NS6detail17trampoline_kernelINS0_13select_configILj256ELj13ELNS0_17block_load_methodE3ELS4_3ELS4_3ELNS0_20block_scan_algorithmE0ELj4294967295EEENS1_25partition_config_selectorILNS1_17partition_subalgoE3EjNS0_10empty_typeEbEEZZNS1_14partition_implILS8_3ELb0ES6_jNS0_17counting_iteratorIjlEEPS9_SE_NS0_5tupleIJPjSE_EEENSF_IJSE_SE_EEES9_SG_JZNS1_25segmented_radix_sort_implINS0_14default_configELb1EPKdPdPKlPlN2at6native12_GLOBAL__N_18offset_tEEE10hipError_tPvRmT1_PNSt15iterator_traitsISY_E10value_typeET2_T3_PNSZ_IS14_E10value_typeET4_jRbjT5_S1A_jjP12ihipStream_tbEUljE_EEESV_SW_SX_S14_S18_S1A_T6_T7_T9_mT8_S1C_bDpT10_ENKUlT_T0_E_clISt17integral_constantIbLb0EES1P_EEDaS1K_S1L_EUlS1K_E_NS1_11comp_targetILNS1_3genE8ELNS1_11target_archE1030ELNS1_3gpuE2ELNS1_3repE0EEENS1_30default_config_static_selectorELNS0_4arch9wavefront6targetE0EEEvSY_
	.p2align	8
	.type	_ZN7rocprim17ROCPRIM_400000_NS6detail17trampoline_kernelINS0_13select_configILj256ELj13ELNS0_17block_load_methodE3ELS4_3ELS4_3ELNS0_20block_scan_algorithmE0ELj4294967295EEENS1_25partition_config_selectorILNS1_17partition_subalgoE3EjNS0_10empty_typeEbEEZZNS1_14partition_implILS8_3ELb0ES6_jNS0_17counting_iteratorIjlEEPS9_SE_NS0_5tupleIJPjSE_EEENSF_IJSE_SE_EEES9_SG_JZNS1_25segmented_radix_sort_implINS0_14default_configELb1EPKdPdPKlPlN2at6native12_GLOBAL__N_18offset_tEEE10hipError_tPvRmT1_PNSt15iterator_traitsISY_E10value_typeET2_T3_PNSZ_IS14_E10value_typeET4_jRbjT5_S1A_jjP12ihipStream_tbEUljE_EEESV_SW_SX_S14_S18_S1A_T6_T7_T9_mT8_S1C_bDpT10_ENKUlT_T0_E_clISt17integral_constantIbLb0EES1P_EEDaS1K_S1L_EUlS1K_E_NS1_11comp_targetILNS1_3genE8ELNS1_11target_archE1030ELNS1_3gpuE2ELNS1_3repE0EEENS1_30default_config_static_selectorELNS0_4arch9wavefront6targetE0EEEvSY_,@function
_ZN7rocprim17ROCPRIM_400000_NS6detail17trampoline_kernelINS0_13select_configILj256ELj13ELNS0_17block_load_methodE3ELS4_3ELS4_3ELNS0_20block_scan_algorithmE0ELj4294967295EEENS1_25partition_config_selectorILNS1_17partition_subalgoE3EjNS0_10empty_typeEbEEZZNS1_14partition_implILS8_3ELb0ES6_jNS0_17counting_iteratorIjlEEPS9_SE_NS0_5tupleIJPjSE_EEENSF_IJSE_SE_EEES9_SG_JZNS1_25segmented_radix_sort_implINS0_14default_configELb1EPKdPdPKlPlN2at6native12_GLOBAL__N_18offset_tEEE10hipError_tPvRmT1_PNSt15iterator_traitsISY_E10value_typeET2_T3_PNSZ_IS14_E10value_typeET4_jRbjT5_S1A_jjP12ihipStream_tbEUljE_EEESV_SW_SX_S14_S18_S1A_T6_T7_T9_mT8_S1C_bDpT10_ENKUlT_T0_E_clISt17integral_constantIbLb0EES1P_EEDaS1K_S1L_EUlS1K_E_NS1_11comp_targetILNS1_3genE8ELNS1_11target_archE1030ELNS1_3gpuE2ELNS1_3repE0EEENS1_30default_config_static_selectorELNS0_4arch9wavefront6targetE0EEEvSY_: ; @_ZN7rocprim17ROCPRIM_400000_NS6detail17trampoline_kernelINS0_13select_configILj256ELj13ELNS0_17block_load_methodE3ELS4_3ELS4_3ELNS0_20block_scan_algorithmE0ELj4294967295EEENS1_25partition_config_selectorILNS1_17partition_subalgoE3EjNS0_10empty_typeEbEEZZNS1_14partition_implILS8_3ELb0ES6_jNS0_17counting_iteratorIjlEEPS9_SE_NS0_5tupleIJPjSE_EEENSF_IJSE_SE_EEES9_SG_JZNS1_25segmented_radix_sort_implINS0_14default_configELb1EPKdPdPKlPlN2at6native12_GLOBAL__N_18offset_tEEE10hipError_tPvRmT1_PNSt15iterator_traitsISY_E10value_typeET2_T3_PNSZ_IS14_E10value_typeET4_jRbjT5_S1A_jjP12ihipStream_tbEUljE_EEESV_SW_SX_S14_S18_S1A_T6_T7_T9_mT8_S1C_bDpT10_ENKUlT_T0_E_clISt17integral_constantIbLb0EES1P_EEDaS1K_S1L_EUlS1K_E_NS1_11comp_targetILNS1_3genE8ELNS1_11target_archE1030ELNS1_3gpuE2ELNS1_3repE0EEENS1_30default_config_static_selectorELNS0_4arch9wavefront6targetE0EEEvSY_
; %bb.0:
	.section	.rodata,"a",@progbits
	.p2align	6, 0x0
	.amdhsa_kernel _ZN7rocprim17ROCPRIM_400000_NS6detail17trampoline_kernelINS0_13select_configILj256ELj13ELNS0_17block_load_methodE3ELS4_3ELS4_3ELNS0_20block_scan_algorithmE0ELj4294967295EEENS1_25partition_config_selectorILNS1_17partition_subalgoE3EjNS0_10empty_typeEbEEZZNS1_14partition_implILS8_3ELb0ES6_jNS0_17counting_iteratorIjlEEPS9_SE_NS0_5tupleIJPjSE_EEENSF_IJSE_SE_EEES9_SG_JZNS1_25segmented_radix_sort_implINS0_14default_configELb1EPKdPdPKlPlN2at6native12_GLOBAL__N_18offset_tEEE10hipError_tPvRmT1_PNSt15iterator_traitsISY_E10value_typeET2_T3_PNSZ_IS14_E10value_typeET4_jRbjT5_S1A_jjP12ihipStream_tbEUljE_EEESV_SW_SX_S14_S18_S1A_T6_T7_T9_mT8_S1C_bDpT10_ENKUlT_T0_E_clISt17integral_constantIbLb0EES1P_EEDaS1K_S1L_EUlS1K_E_NS1_11comp_targetILNS1_3genE8ELNS1_11target_archE1030ELNS1_3gpuE2ELNS1_3repE0EEENS1_30default_config_static_selectorELNS0_4arch9wavefront6targetE0EEEvSY_
		.amdhsa_group_segment_fixed_size 0
		.amdhsa_private_segment_fixed_size 0
		.amdhsa_kernarg_size 144
		.amdhsa_user_sgpr_count 2
		.amdhsa_user_sgpr_dispatch_ptr 0
		.amdhsa_user_sgpr_queue_ptr 0
		.amdhsa_user_sgpr_kernarg_segment_ptr 1
		.amdhsa_user_sgpr_dispatch_id 0
		.amdhsa_user_sgpr_kernarg_preload_length 0
		.amdhsa_user_sgpr_kernarg_preload_offset 0
		.amdhsa_user_sgpr_private_segment_size 0
		.amdhsa_wavefront_size32 1
		.amdhsa_uses_dynamic_stack 0
		.amdhsa_enable_private_segment 0
		.amdhsa_system_sgpr_workgroup_id_x 1
		.amdhsa_system_sgpr_workgroup_id_y 0
		.amdhsa_system_sgpr_workgroup_id_z 0
		.amdhsa_system_sgpr_workgroup_info 0
		.amdhsa_system_vgpr_workitem_id 0
		.amdhsa_next_free_vgpr 1
		.amdhsa_next_free_sgpr 1
		.amdhsa_named_barrier_count 0
		.amdhsa_reserve_vcc 0
		.amdhsa_float_round_mode_32 0
		.amdhsa_float_round_mode_16_64 0
		.amdhsa_float_denorm_mode_32 3
		.amdhsa_float_denorm_mode_16_64 3
		.amdhsa_fp16_overflow 0
		.amdhsa_memory_ordered 1
		.amdhsa_forward_progress 1
		.amdhsa_inst_pref_size 0
		.amdhsa_round_robin_scheduling 0
		.amdhsa_exception_fp_ieee_invalid_op 0
		.amdhsa_exception_fp_denorm_src 0
		.amdhsa_exception_fp_ieee_div_zero 0
		.amdhsa_exception_fp_ieee_overflow 0
		.amdhsa_exception_fp_ieee_underflow 0
		.amdhsa_exception_fp_ieee_inexact 0
		.amdhsa_exception_int_div_zero 0
	.end_amdhsa_kernel
	.section	.text._ZN7rocprim17ROCPRIM_400000_NS6detail17trampoline_kernelINS0_13select_configILj256ELj13ELNS0_17block_load_methodE3ELS4_3ELS4_3ELNS0_20block_scan_algorithmE0ELj4294967295EEENS1_25partition_config_selectorILNS1_17partition_subalgoE3EjNS0_10empty_typeEbEEZZNS1_14partition_implILS8_3ELb0ES6_jNS0_17counting_iteratorIjlEEPS9_SE_NS0_5tupleIJPjSE_EEENSF_IJSE_SE_EEES9_SG_JZNS1_25segmented_radix_sort_implINS0_14default_configELb1EPKdPdPKlPlN2at6native12_GLOBAL__N_18offset_tEEE10hipError_tPvRmT1_PNSt15iterator_traitsISY_E10value_typeET2_T3_PNSZ_IS14_E10value_typeET4_jRbjT5_S1A_jjP12ihipStream_tbEUljE_EEESV_SW_SX_S14_S18_S1A_T6_T7_T9_mT8_S1C_bDpT10_ENKUlT_T0_E_clISt17integral_constantIbLb0EES1P_EEDaS1K_S1L_EUlS1K_E_NS1_11comp_targetILNS1_3genE8ELNS1_11target_archE1030ELNS1_3gpuE2ELNS1_3repE0EEENS1_30default_config_static_selectorELNS0_4arch9wavefront6targetE0EEEvSY_,"axG",@progbits,_ZN7rocprim17ROCPRIM_400000_NS6detail17trampoline_kernelINS0_13select_configILj256ELj13ELNS0_17block_load_methodE3ELS4_3ELS4_3ELNS0_20block_scan_algorithmE0ELj4294967295EEENS1_25partition_config_selectorILNS1_17partition_subalgoE3EjNS0_10empty_typeEbEEZZNS1_14partition_implILS8_3ELb0ES6_jNS0_17counting_iteratorIjlEEPS9_SE_NS0_5tupleIJPjSE_EEENSF_IJSE_SE_EEES9_SG_JZNS1_25segmented_radix_sort_implINS0_14default_configELb1EPKdPdPKlPlN2at6native12_GLOBAL__N_18offset_tEEE10hipError_tPvRmT1_PNSt15iterator_traitsISY_E10value_typeET2_T3_PNSZ_IS14_E10value_typeET4_jRbjT5_S1A_jjP12ihipStream_tbEUljE_EEESV_SW_SX_S14_S18_S1A_T6_T7_T9_mT8_S1C_bDpT10_ENKUlT_T0_E_clISt17integral_constantIbLb0EES1P_EEDaS1K_S1L_EUlS1K_E_NS1_11comp_targetILNS1_3genE8ELNS1_11target_archE1030ELNS1_3gpuE2ELNS1_3repE0EEENS1_30default_config_static_selectorELNS0_4arch9wavefront6targetE0EEEvSY_,comdat
.Lfunc_end1087:
	.size	_ZN7rocprim17ROCPRIM_400000_NS6detail17trampoline_kernelINS0_13select_configILj256ELj13ELNS0_17block_load_methodE3ELS4_3ELS4_3ELNS0_20block_scan_algorithmE0ELj4294967295EEENS1_25partition_config_selectorILNS1_17partition_subalgoE3EjNS0_10empty_typeEbEEZZNS1_14partition_implILS8_3ELb0ES6_jNS0_17counting_iteratorIjlEEPS9_SE_NS0_5tupleIJPjSE_EEENSF_IJSE_SE_EEES9_SG_JZNS1_25segmented_radix_sort_implINS0_14default_configELb1EPKdPdPKlPlN2at6native12_GLOBAL__N_18offset_tEEE10hipError_tPvRmT1_PNSt15iterator_traitsISY_E10value_typeET2_T3_PNSZ_IS14_E10value_typeET4_jRbjT5_S1A_jjP12ihipStream_tbEUljE_EEESV_SW_SX_S14_S18_S1A_T6_T7_T9_mT8_S1C_bDpT10_ENKUlT_T0_E_clISt17integral_constantIbLb0EES1P_EEDaS1K_S1L_EUlS1K_E_NS1_11comp_targetILNS1_3genE8ELNS1_11target_archE1030ELNS1_3gpuE2ELNS1_3repE0EEENS1_30default_config_static_selectorELNS0_4arch9wavefront6targetE0EEEvSY_, .Lfunc_end1087-_ZN7rocprim17ROCPRIM_400000_NS6detail17trampoline_kernelINS0_13select_configILj256ELj13ELNS0_17block_load_methodE3ELS4_3ELS4_3ELNS0_20block_scan_algorithmE0ELj4294967295EEENS1_25partition_config_selectorILNS1_17partition_subalgoE3EjNS0_10empty_typeEbEEZZNS1_14partition_implILS8_3ELb0ES6_jNS0_17counting_iteratorIjlEEPS9_SE_NS0_5tupleIJPjSE_EEENSF_IJSE_SE_EEES9_SG_JZNS1_25segmented_radix_sort_implINS0_14default_configELb1EPKdPdPKlPlN2at6native12_GLOBAL__N_18offset_tEEE10hipError_tPvRmT1_PNSt15iterator_traitsISY_E10value_typeET2_T3_PNSZ_IS14_E10value_typeET4_jRbjT5_S1A_jjP12ihipStream_tbEUljE_EEESV_SW_SX_S14_S18_S1A_T6_T7_T9_mT8_S1C_bDpT10_ENKUlT_T0_E_clISt17integral_constantIbLb0EES1P_EEDaS1K_S1L_EUlS1K_E_NS1_11comp_targetILNS1_3genE8ELNS1_11target_archE1030ELNS1_3gpuE2ELNS1_3repE0EEENS1_30default_config_static_selectorELNS0_4arch9wavefront6targetE0EEEvSY_
                                        ; -- End function
	.set _ZN7rocprim17ROCPRIM_400000_NS6detail17trampoline_kernelINS0_13select_configILj256ELj13ELNS0_17block_load_methodE3ELS4_3ELS4_3ELNS0_20block_scan_algorithmE0ELj4294967295EEENS1_25partition_config_selectorILNS1_17partition_subalgoE3EjNS0_10empty_typeEbEEZZNS1_14partition_implILS8_3ELb0ES6_jNS0_17counting_iteratorIjlEEPS9_SE_NS0_5tupleIJPjSE_EEENSF_IJSE_SE_EEES9_SG_JZNS1_25segmented_radix_sort_implINS0_14default_configELb1EPKdPdPKlPlN2at6native12_GLOBAL__N_18offset_tEEE10hipError_tPvRmT1_PNSt15iterator_traitsISY_E10value_typeET2_T3_PNSZ_IS14_E10value_typeET4_jRbjT5_S1A_jjP12ihipStream_tbEUljE_EEESV_SW_SX_S14_S18_S1A_T6_T7_T9_mT8_S1C_bDpT10_ENKUlT_T0_E_clISt17integral_constantIbLb0EES1P_EEDaS1K_S1L_EUlS1K_E_NS1_11comp_targetILNS1_3genE8ELNS1_11target_archE1030ELNS1_3gpuE2ELNS1_3repE0EEENS1_30default_config_static_selectorELNS0_4arch9wavefront6targetE0EEEvSY_.num_vgpr, 0
	.set _ZN7rocprim17ROCPRIM_400000_NS6detail17trampoline_kernelINS0_13select_configILj256ELj13ELNS0_17block_load_methodE3ELS4_3ELS4_3ELNS0_20block_scan_algorithmE0ELj4294967295EEENS1_25partition_config_selectorILNS1_17partition_subalgoE3EjNS0_10empty_typeEbEEZZNS1_14partition_implILS8_3ELb0ES6_jNS0_17counting_iteratorIjlEEPS9_SE_NS0_5tupleIJPjSE_EEENSF_IJSE_SE_EEES9_SG_JZNS1_25segmented_radix_sort_implINS0_14default_configELb1EPKdPdPKlPlN2at6native12_GLOBAL__N_18offset_tEEE10hipError_tPvRmT1_PNSt15iterator_traitsISY_E10value_typeET2_T3_PNSZ_IS14_E10value_typeET4_jRbjT5_S1A_jjP12ihipStream_tbEUljE_EEESV_SW_SX_S14_S18_S1A_T6_T7_T9_mT8_S1C_bDpT10_ENKUlT_T0_E_clISt17integral_constantIbLb0EES1P_EEDaS1K_S1L_EUlS1K_E_NS1_11comp_targetILNS1_3genE8ELNS1_11target_archE1030ELNS1_3gpuE2ELNS1_3repE0EEENS1_30default_config_static_selectorELNS0_4arch9wavefront6targetE0EEEvSY_.num_agpr, 0
	.set _ZN7rocprim17ROCPRIM_400000_NS6detail17trampoline_kernelINS0_13select_configILj256ELj13ELNS0_17block_load_methodE3ELS4_3ELS4_3ELNS0_20block_scan_algorithmE0ELj4294967295EEENS1_25partition_config_selectorILNS1_17partition_subalgoE3EjNS0_10empty_typeEbEEZZNS1_14partition_implILS8_3ELb0ES6_jNS0_17counting_iteratorIjlEEPS9_SE_NS0_5tupleIJPjSE_EEENSF_IJSE_SE_EEES9_SG_JZNS1_25segmented_radix_sort_implINS0_14default_configELb1EPKdPdPKlPlN2at6native12_GLOBAL__N_18offset_tEEE10hipError_tPvRmT1_PNSt15iterator_traitsISY_E10value_typeET2_T3_PNSZ_IS14_E10value_typeET4_jRbjT5_S1A_jjP12ihipStream_tbEUljE_EEESV_SW_SX_S14_S18_S1A_T6_T7_T9_mT8_S1C_bDpT10_ENKUlT_T0_E_clISt17integral_constantIbLb0EES1P_EEDaS1K_S1L_EUlS1K_E_NS1_11comp_targetILNS1_3genE8ELNS1_11target_archE1030ELNS1_3gpuE2ELNS1_3repE0EEENS1_30default_config_static_selectorELNS0_4arch9wavefront6targetE0EEEvSY_.numbered_sgpr, 0
	.set _ZN7rocprim17ROCPRIM_400000_NS6detail17trampoline_kernelINS0_13select_configILj256ELj13ELNS0_17block_load_methodE3ELS4_3ELS4_3ELNS0_20block_scan_algorithmE0ELj4294967295EEENS1_25partition_config_selectorILNS1_17partition_subalgoE3EjNS0_10empty_typeEbEEZZNS1_14partition_implILS8_3ELb0ES6_jNS0_17counting_iteratorIjlEEPS9_SE_NS0_5tupleIJPjSE_EEENSF_IJSE_SE_EEES9_SG_JZNS1_25segmented_radix_sort_implINS0_14default_configELb1EPKdPdPKlPlN2at6native12_GLOBAL__N_18offset_tEEE10hipError_tPvRmT1_PNSt15iterator_traitsISY_E10value_typeET2_T3_PNSZ_IS14_E10value_typeET4_jRbjT5_S1A_jjP12ihipStream_tbEUljE_EEESV_SW_SX_S14_S18_S1A_T6_T7_T9_mT8_S1C_bDpT10_ENKUlT_T0_E_clISt17integral_constantIbLb0EES1P_EEDaS1K_S1L_EUlS1K_E_NS1_11comp_targetILNS1_3genE8ELNS1_11target_archE1030ELNS1_3gpuE2ELNS1_3repE0EEENS1_30default_config_static_selectorELNS0_4arch9wavefront6targetE0EEEvSY_.num_named_barrier, 0
	.set _ZN7rocprim17ROCPRIM_400000_NS6detail17trampoline_kernelINS0_13select_configILj256ELj13ELNS0_17block_load_methodE3ELS4_3ELS4_3ELNS0_20block_scan_algorithmE0ELj4294967295EEENS1_25partition_config_selectorILNS1_17partition_subalgoE3EjNS0_10empty_typeEbEEZZNS1_14partition_implILS8_3ELb0ES6_jNS0_17counting_iteratorIjlEEPS9_SE_NS0_5tupleIJPjSE_EEENSF_IJSE_SE_EEES9_SG_JZNS1_25segmented_radix_sort_implINS0_14default_configELb1EPKdPdPKlPlN2at6native12_GLOBAL__N_18offset_tEEE10hipError_tPvRmT1_PNSt15iterator_traitsISY_E10value_typeET2_T3_PNSZ_IS14_E10value_typeET4_jRbjT5_S1A_jjP12ihipStream_tbEUljE_EEESV_SW_SX_S14_S18_S1A_T6_T7_T9_mT8_S1C_bDpT10_ENKUlT_T0_E_clISt17integral_constantIbLb0EES1P_EEDaS1K_S1L_EUlS1K_E_NS1_11comp_targetILNS1_3genE8ELNS1_11target_archE1030ELNS1_3gpuE2ELNS1_3repE0EEENS1_30default_config_static_selectorELNS0_4arch9wavefront6targetE0EEEvSY_.private_seg_size, 0
	.set _ZN7rocprim17ROCPRIM_400000_NS6detail17trampoline_kernelINS0_13select_configILj256ELj13ELNS0_17block_load_methodE3ELS4_3ELS4_3ELNS0_20block_scan_algorithmE0ELj4294967295EEENS1_25partition_config_selectorILNS1_17partition_subalgoE3EjNS0_10empty_typeEbEEZZNS1_14partition_implILS8_3ELb0ES6_jNS0_17counting_iteratorIjlEEPS9_SE_NS0_5tupleIJPjSE_EEENSF_IJSE_SE_EEES9_SG_JZNS1_25segmented_radix_sort_implINS0_14default_configELb1EPKdPdPKlPlN2at6native12_GLOBAL__N_18offset_tEEE10hipError_tPvRmT1_PNSt15iterator_traitsISY_E10value_typeET2_T3_PNSZ_IS14_E10value_typeET4_jRbjT5_S1A_jjP12ihipStream_tbEUljE_EEESV_SW_SX_S14_S18_S1A_T6_T7_T9_mT8_S1C_bDpT10_ENKUlT_T0_E_clISt17integral_constantIbLb0EES1P_EEDaS1K_S1L_EUlS1K_E_NS1_11comp_targetILNS1_3genE8ELNS1_11target_archE1030ELNS1_3gpuE2ELNS1_3repE0EEENS1_30default_config_static_selectorELNS0_4arch9wavefront6targetE0EEEvSY_.uses_vcc, 0
	.set _ZN7rocprim17ROCPRIM_400000_NS6detail17trampoline_kernelINS0_13select_configILj256ELj13ELNS0_17block_load_methodE3ELS4_3ELS4_3ELNS0_20block_scan_algorithmE0ELj4294967295EEENS1_25partition_config_selectorILNS1_17partition_subalgoE3EjNS0_10empty_typeEbEEZZNS1_14partition_implILS8_3ELb0ES6_jNS0_17counting_iteratorIjlEEPS9_SE_NS0_5tupleIJPjSE_EEENSF_IJSE_SE_EEES9_SG_JZNS1_25segmented_radix_sort_implINS0_14default_configELb1EPKdPdPKlPlN2at6native12_GLOBAL__N_18offset_tEEE10hipError_tPvRmT1_PNSt15iterator_traitsISY_E10value_typeET2_T3_PNSZ_IS14_E10value_typeET4_jRbjT5_S1A_jjP12ihipStream_tbEUljE_EEESV_SW_SX_S14_S18_S1A_T6_T7_T9_mT8_S1C_bDpT10_ENKUlT_T0_E_clISt17integral_constantIbLb0EES1P_EEDaS1K_S1L_EUlS1K_E_NS1_11comp_targetILNS1_3genE8ELNS1_11target_archE1030ELNS1_3gpuE2ELNS1_3repE0EEENS1_30default_config_static_selectorELNS0_4arch9wavefront6targetE0EEEvSY_.uses_flat_scratch, 0
	.set _ZN7rocprim17ROCPRIM_400000_NS6detail17trampoline_kernelINS0_13select_configILj256ELj13ELNS0_17block_load_methodE3ELS4_3ELS4_3ELNS0_20block_scan_algorithmE0ELj4294967295EEENS1_25partition_config_selectorILNS1_17partition_subalgoE3EjNS0_10empty_typeEbEEZZNS1_14partition_implILS8_3ELb0ES6_jNS0_17counting_iteratorIjlEEPS9_SE_NS0_5tupleIJPjSE_EEENSF_IJSE_SE_EEES9_SG_JZNS1_25segmented_radix_sort_implINS0_14default_configELb1EPKdPdPKlPlN2at6native12_GLOBAL__N_18offset_tEEE10hipError_tPvRmT1_PNSt15iterator_traitsISY_E10value_typeET2_T3_PNSZ_IS14_E10value_typeET4_jRbjT5_S1A_jjP12ihipStream_tbEUljE_EEESV_SW_SX_S14_S18_S1A_T6_T7_T9_mT8_S1C_bDpT10_ENKUlT_T0_E_clISt17integral_constantIbLb0EES1P_EEDaS1K_S1L_EUlS1K_E_NS1_11comp_targetILNS1_3genE8ELNS1_11target_archE1030ELNS1_3gpuE2ELNS1_3repE0EEENS1_30default_config_static_selectorELNS0_4arch9wavefront6targetE0EEEvSY_.has_dyn_sized_stack, 0
	.set _ZN7rocprim17ROCPRIM_400000_NS6detail17trampoline_kernelINS0_13select_configILj256ELj13ELNS0_17block_load_methodE3ELS4_3ELS4_3ELNS0_20block_scan_algorithmE0ELj4294967295EEENS1_25partition_config_selectorILNS1_17partition_subalgoE3EjNS0_10empty_typeEbEEZZNS1_14partition_implILS8_3ELb0ES6_jNS0_17counting_iteratorIjlEEPS9_SE_NS0_5tupleIJPjSE_EEENSF_IJSE_SE_EEES9_SG_JZNS1_25segmented_radix_sort_implINS0_14default_configELb1EPKdPdPKlPlN2at6native12_GLOBAL__N_18offset_tEEE10hipError_tPvRmT1_PNSt15iterator_traitsISY_E10value_typeET2_T3_PNSZ_IS14_E10value_typeET4_jRbjT5_S1A_jjP12ihipStream_tbEUljE_EEESV_SW_SX_S14_S18_S1A_T6_T7_T9_mT8_S1C_bDpT10_ENKUlT_T0_E_clISt17integral_constantIbLb0EES1P_EEDaS1K_S1L_EUlS1K_E_NS1_11comp_targetILNS1_3genE8ELNS1_11target_archE1030ELNS1_3gpuE2ELNS1_3repE0EEENS1_30default_config_static_selectorELNS0_4arch9wavefront6targetE0EEEvSY_.has_recursion, 0
	.set _ZN7rocprim17ROCPRIM_400000_NS6detail17trampoline_kernelINS0_13select_configILj256ELj13ELNS0_17block_load_methodE3ELS4_3ELS4_3ELNS0_20block_scan_algorithmE0ELj4294967295EEENS1_25partition_config_selectorILNS1_17partition_subalgoE3EjNS0_10empty_typeEbEEZZNS1_14partition_implILS8_3ELb0ES6_jNS0_17counting_iteratorIjlEEPS9_SE_NS0_5tupleIJPjSE_EEENSF_IJSE_SE_EEES9_SG_JZNS1_25segmented_radix_sort_implINS0_14default_configELb1EPKdPdPKlPlN2at6native12_GLOBAL__N_18offset_tEEE10hipError_tPvRmT1_PNSt15iterator_traitsISY_E10value_typeET2_T3_PNSZ_IS14_E10value_typeET4_jRbjT5_S1A_jjP12ihipStream_tbEUljE_EEESV_SW_SX_S14_S18_S1A_T6_T7_T9_mT8_S1C_bDpT10_ENKUlT_T0_E_clISt17integral_constantIbLb0EES1P_EEDaS1K_S1L_EUlS1K_E_NS1_11comp_targetILNS1_3genE8ELNS1_11target_archE1030ELNS1_3gpuE2ELNS1_3repE0EEENS1_30default_config_static_selectorELNS0_4arch9wavefront6targetE0EEEvSY_.has_indirect_call, 0
	.section	.AMDGPU.csdata,"",@progbits
; Kernel info:
; codeLenInByte = 0
; TotalNumSgprs: 0
; NumVgprs: 0
; ScratchSize: 0
; MemoryBound: 0
; FloatMode: 240
; IeeeMode: 1
; LDSByteSize: 0 bytes/workgroup (compile time only)
; SGPRBlocks: 0
; VGPRBlocks: 0
; NumSGPRsForWavesPerEU: 1
; NumVGPRsForWavesPerEU: 1
; NamedBarCnt: 0
; Occupancy: 16
; WaveLimiterHint : 0
; COMPUTE_PGM_RSRC2:SCRATCH_EN: 0
; COMPUTE_PGM_RSRC2:USER_SGPR: 2
; COMPUTE_PGM_RSRC2:TRAP_HANDLER: 0
; COMPUTE_PGM_RSRC2:TGID_X_EN: 1
; COMPUTE_PGM_RSRC2:TGID_Y_EN: 0
; COMPUTE_PGM_RSRC2:TGID_Z_EN: 0
; COMPUTE_PGM_RSRC2:TIDIG_COMP_CNT: 0
	.section	.text._ZN7rocprim17ROCPRIM_400000_NS6detail17trampoline_kernelINS0_13select_configILj256ELj13ELNS0_17block_load_methodE3ELS4_3ELS4_3ELNS0_20block_scan_algorithmE0ELj4294967295EEENS1_25partition_config_selectorILNS1_17partition_subalgoE3EjNS0_10empty_typeEbEEZZNS1_14partition_implILS8_3ELb0ES6_jNS0_17counting_iteratorIjlEEPS9_SE_NS0_5tupleIJPjSE_EEENSF_IJSE_SE_EEES9_SG_JZNS1_25segmented_radix_sort_implINS0_14default_configELb1EPKdPdPKlPlN2at6native12_GLOBAL__N_18offset_tEEE10hipError_tPvRmT1_PNSt15iterator_traitsISY_E10value_typeET2_T3_PNSZ_IS14_E10value_typeET4_jRbjT5_S1A_jjP12ihipStream_tbEUljE_EEESV_SW_SX_S14_S18_S1A_T6_T7_T9_mT8_S1C_bDpT10_ENKUlT_T0_E_clISt17integral_constantIbLb1EES1P_EEDaS1K_S1L_EUlS1K_E_NS1_11comp_targetILNS1_3genE0ELNS1_11target_archE4294967295ELNS1_3gpuE0ELNS1_3repE0EEENS1_30default_config_static_selectorELNS0_4arch9wavefront6targetE0EEEvSY_,"axG",@progbits,_ZN7rocprim17ROCPRIM_400000_NS6detail17trampoline_kernelINS0_13select_configILj256ELj13ELNS0_17block_load_methodE3ELS4_3ELS4_3ELNS0_20block_scan_algorithmE0ELj4294967295EEENS1_25partition_config_selectorILNS1_17partition_subalgoE3EjNS0_10empty_typeEbEEZZNS1_14partition_implILS8_3ELb0ES6_jNS0_17counting_iteratorIjlEEPS9_SE_NS0_5tupleIJPjSE_EEENSF_IJSE_SE_EEES9_SG_JZNS1_25segmented_radix_sort_implINS0_14default_configELb1EPKdPdPKlPlN2at6native12_GLOBAL__N_18offset_tEEE10hipError_tPvRmT1_PNSt15iterator_traitsISY_E10value_typeET2_T3_PNSZ_IS14_E10value_typeET4_jRbjT5_S1A_jjP12ihipStream_tbEUljE_EEESV_SW_SX_S14_S18_S1A_T6_T7_T9_mT8_S1C_bDpT10_ENKUlT_T0_E_clISt17integral_constantIbLb1EES1P_EEDaS1K_S1L_EUlS1K_E_NS1_11comp_targetILNS1_3genE0ELNS1_11target_archE4294967295ELNS1_3gpuE0ELNS1_3repE0EEENS1_30default_config_static_selectorELNS0_4arch9wavefront6targetE0EEEvSY_,comdat
	.globl	_ZN7rocprim17ROCPRIM_400000_NS6detail17trampoline_kernelINS0_13select_configILj256ELj13ELNS0_17block_load_methodE3ELS4_3ELS4_3ELNS0_20block_scan_algorithmE0ELj4294967295EEENS1_25partition_config_selectorILNS1_17partition_subalgoE3EjNS0_10empty_typeEbEEZZNS1_14partition_implILS8_3ELb0ES6_jNS0_17counting_iteratorIjlEEPS9_SE_NS0_5tupleIJPjSE_EEENSF_IJSE_SE_EEES9_SG_JZNS1_25segmented_radix_sort_implINS0_14default_configELb1EPKdPdPKlPlN2at6native12_GLOBAL__N_18offset_tEEE10hipError_tPvRmT1_PNSt15iterator_traitsISY_E10value_typeET2_T3_PNSZ_IS14_E10value_typeET4_jRbjT5_S1A_jjP12ihipStream_tbEUljE_EEESV_SW_SX_S14_S18_S1A_T6_T7_T9_mT8_S1C_bDpT10_ENKUlT_T0_E_clISt17integral_constantIbLb1EES1P_EEDaS1K_S1L_EUlS1K_E_NS1_11comp_targetILNS1_3genE0ELNS1_11target_archE4294967295ELNS1_3gpuE0ELNS1_3repE0EEENS1_30default_config_static_selectorELNS0_4arch9wavefront6targetE0EEEvSY_ ; -- Begin function _ZN7rocprim17ROCPRIM_400000_NS6detail17trampoline_kernelINS0_13select_configILj256ELj13ELNS0_17block_load_methodE3ELS4_3ELS4_3ELNS0_20block_scan_algorithmE0ELj4294967295EEENS1_25partition_config_selectorILNS1_17partition_subalgoE3EjNS0_10empty_typeEbEEZZNS1_14partition_implILS8_3ELb0ES6_jNS0_17counting_iteratorIjlEEPS9_SE_NS0_5tupleIJPjSE_EEENSF_IJSE_SE_EEES9_SG_JZNS1_25segmented_radix_sort_implINS0_14default_configELb1EPKdPdPKlPlN2at6native12_GLOBAL__N_18offset_tEEE10hipError_tPvRmT1_PNSt15iterator_traitsISY_E10value_typeET2_T3_PNSZ_IS14_E10value_typeET4_jRbjT5_S1A_jjP12ihipStream_tbEUljE_EEESV_SW_SX_S14_S18_S1A_T6_T7_T9_mT8_S1C_bDpT10_ENKUlT_T0_E_clISt17integral_constantIbLb1EES1P_EEDaS1K_S1L_EUlS1K_E_NS1_11comp_targetILNS1_3genE0ELNS1_11target_archE4294967295ELNS1_3gpuE0ELNS1_3repE0EEENS1_30default_config_static_selectorELNS0_4arch9wavefront6targetE0EEEvSY_
	.p2align	8
	.type	_ZN7rocprim17ROCPRIM_400000_NS6detail17trampoline_kernelINS0_13select_configILj256ELj13ELNS0_17block_load_methodE3ELS4_3ELS4_3ELNS0_20block_scan_algorithmE0ELj4294967295EEENS1_25partition_config_selectorILNS1_17partition_subalgoE3EjNS0_10empty_typeEbEEZZNS1_14partition_implILS8_3ELb0ES6_jNS0_17counting_iteratorIjlEEPS9_SE_NS0_5tupleIJPjSE_EEENSF_IJSE_SE_EEES9_SG_JZNS1_25segmented_radix_sort_implINS0_14default_configELb1EPKdPdPKlPlN2at6native12_GLOBAL__N_18offset_tEEE10hipError_tPvRmT1_PNSt15iterator_traitsISY_E10value_typeET2_T3_PNSZ_IS14_E10value_typeET4_jRbjT5_S1A_jjP12ihipStream_tbEUljE_EEESV_SW_SX_S14_S18_S1A_T6_T7_T9_mT8_S1C_bDpT10_ENKUlT_T0_E_clISt17integral_constantIbLb1EES1P_EEDaS1K_S1L_EUlS1K_E_NS1_11comp_targetILNS1_3genE0ELNS1_11target_archE4294967295ELNS1_3gpuE0ELNS1_3repE0EEENS1_30default_config_static_selectorELNS0_4arch9wavefront6targetE0EEEvSY_,@function
_ZN7rocprim17ROCPRIM_400000_NS6detail17trampoline_kernelINS0_13select_configILj256ELj13ELNS0_17block_load_methodE3ELS4_3ELS4_3ELNS0_20block_scan_algorithmE0ELj4294967295EEENS1_25partition_config_selectorILNS1_17partition_subalgoE3EjNS0_10empty_typeEbEEZZNS1_14partition_implILS8_3ELb0ES6_jNS0_17counting_iteratorIjlEEPS9_SE_NS0_5tupleIJPjSE_EEENSF_IJSE_SE_EEES9_SG_JZNS1_25segmented_radix_sort_implINS0_14default_configELb1EPKdPdPKlPlN2at6native12_GLOBAL__N_18offset_tEEE10hipError_tPvRmT1_PNSt15iterator_traitsISY_E10value_typeET2_T3_PNSZ_IS14_E10value_typeET4_jRbjT5_S1A_jjP12ihipStream_tbEUljE_EEESV_SW_SX_S14_S18_S1A_T6_T7_T9_mT8_S1C_bDpT10_ENKUlT_T0_E_clISt17integral_constantIbLb1EES1P_EEDaS1K_S1L_EUlS1K_E_NS1_11comp_targetILNS1_3genE0ELNS1_11target_archE4294967295ELNS1_3gpuE0ELNS1_3repE0EEENS1_30default_config_static_selectorELNS0_4arch9wavefront6targetE0EEEvSY_: ; @_ZN7rocprim17ROCPRIM_400000_NS6detail17trampoline_kernelINS0_13select_configILj256ELj13ELNS0_17block_load_methodE3ELS4_3ELS4_3ELNS0_20block_scan_algorithmE0ELj4294967295EEENS1_25partition_config_selectorILNS1_17partition_subalgoE3EjNS0_10empty_typeEbEEZZNS1_14partition_implILS8_3ELb0ES6_jNS0_17counting_iteratorIjlEEPS9_SE_NS0_5tupleIJPjSE_EEENSF_IJSE_SE_EEES9_SG_JZNS1_25segmented_radix_sort_implINS0_14default_configELb1EPKdPdPKlPlN2at6native12_GLOBAL__N_18offset_tEEE10hipError_tPvRmT1_PNSt15iterator_traitsISY_E10value_typeET2_T3_PNSZ_IS14_E10value_typeET4_jRbjT5_S1A_jjP12ihipStream_tbEUljE_EEESV_SW_SX_S14_S18_S1A_T6_T7_T9_mT8_S1C_bDpT10_ENKUlT_T0_E_clISt17integral_constantIbLb1EES1P_EEDaS1K_S1L_EUlS1K_E_NS1_11comp_targetILNS1_3genE0ELNS1_11target_archE4294967295ELNS1_3gpuE0ELNS1_3repE0EEENS1_30default_config_static_selectorELNS0_4arch9wavefront6targetE0EEEvSY_
; %bb.0:
	s_endpgm
	.section	.rodata,"a",@progbits
	.p2align	6, 0x0
	.amdhsa_kernel _ZN7rocprim17ROCPRIM_400000_NS6detail17trampoline_kernelINS0_13select_configILj256ELj13ELNS0_17block_load_methodE3ELS4_3ELS4_3ELNS0_20block_scan_algorithmE0ELj4294967295EEENS1_25partition_config_selectorILNS1_17partition_subalgoE3EjNS0_10empty_typeEbEEZZNS1_14partition_implILS8_3ELb0ES6_jNS0_17counting_iteratorIjlEEPS9_SE_NS0_5tupleIJPjSE_EEENSF_IJSE_SE_EEES9_SG_JZNS1_25segmented_radix_sort_implINS0_14default_configELb1EPKdPdPKlPlN2at6native12_GLOBAL__N_18offset_tEEE10hipError_tPvRmT1_PNSt15iterator_traitsISY_E10value_typeET2_T3_PNSZ_IS14_E10value_typeET4_jRbjT5_S1A_jjP12ihipStream_tbEUljE_EEESV_SW_SX_S14_S18_S1A_T6_T7_T9_mT8_S1C_bDpT10_ENKUlT_T0_E_clISt17integral_constantIbLb1EES1P_EEDaS1K_S1L_EUlS1K_E_NS1_11comp_targetILNS1_3genE0ELNS1_11target_archE4294967295ELNS1_3gpuE0ELNS1_3repE0EEENS1_30default_config_static_selectorELNS0_4arch9wavefront6targetE0EEEvSY_
		.amdhsa_group_segment_fixed_size 0
		.amdhsa_private_segment_fixed_size 0
		.amdhsa_kernarg_size 152
		.amdhsa_user_sgpr_count 2
		.amdhsa_user_sgpr_dispatch_ptr 0
		.amdhsa_user_sgpr_queue_ptr 0
		.amdhsa_user_sgpr_kernarg_segment_ptr 1
		.amdhsa_user_sgpr_dispatch_id 0
		.amdhsa_user_sgpr_kernarg_preload_length 0
		.amdhsa_user_sgpr_kernarg_preload_offset 0
		.amdhsa_user_sgpr_private_segment_size 0
		.amdhsa_wavefront_size32 1
		.amdhsa_uses_dynamic_stack 0
		.amdhsa_enable_private_segment 0
		.amdhsa_system_sgpr_workgroup_id_x 1
		.amdhsa_system_sgpr_workgroup_id_y 0
		.amdhsa_system_sgpr_workgroup_id_z 0
		.amdhsa_system_sgpr_workgroup_info 0
		.amdhsa_system_vgpr_workitem_id 0
		.amdhsa_next_free_vgpr 1
		.amdhsa_next_free_sgpr 1
		.amdhsa_named_barrier_count 0
		.amdhsa_reserve_vcc 0
		.amdhsa_float_round_mode_32 0
		.amdhsa_float_round_mode_16_64 0
		.amdhsa_float_denorm_mode_32 3
		.amdhsa_float_denorm_mode_16_64 3
		.amdhsa_fp16_overflow 0
		.amdhsa_memory_ordered 1
		.amdhsa_forward_progress 1
		.amdhsa_inst_pref_size 1
		.amdhsa_round_robin_scheduling 0
		.amdhsa_exception_fp_ieee_invalid_op 0
		.amdhsa_exception_fp_denorm_src 0
		.amdhsa_exception_fp_ieee_div_zero 0
		.amdhsa_exception_fp_ieee_overflow 0
		.amdhsa_exception_fp_ieee_underflow 0
		.amdhsa_exception_fp_ieee_inexact 0
		.amdhsa_exception_int_div_zero 0
	.end_amdhsa_kernel
	.section	.text._ZN7rocprim17ROCPRIM_400000_NS6detail17trampoline_kernelINS0_13select_configILj256ELj13ELNS0_17block_load_methodE3ELS4_3ELS4_3ELNS0_20block_scan_algorithmE0ELj4294967295EEENS1_25partition_config_selectorILNS1_17partition_subalgoE3EjNS0_10empty_typeEbEEZZNS1_14partition_implILS8_3ELb0ES6_jNS0_17counting_iteratorIjlEEPS9_SE_NS0_5tupleIJPjSE_EEENSF_IJSE_SE_EEES9_SG_JZNS1_25segmented_radix_sort_implINS0_14default_configELb1EPKdPdPKlPlN2at6native12_GLOBAL__N_18offset_tEEE10hipError_tPvRmT1_PNSt15iterator_traitsISY_E10value_typeET2_T3_PNSZ_IS14_E10value_typeET4_jRbjT5_S1A_jjP12ihipStream_tbEUljE_EEESV_SW_SX_S14_S18_S1A_T6_T7_T9_mT8_S1C_bDpT10_ENKUlT_T0_E_clISt17integral_constantIbLb1EES1P_EEDaS1K_S1L_EUlS1K_E_NS1_11comp_targetILNS1_3genE0ELNS1_11target_archE4294967295ELNS1_3gpuE0ELNS1_3repE0EEENS1_30default_config_static_selectorELNS0_4arch9wavefront6targetE0EEEvSY_,"axG",@progbits,_ZN7rocprim17ROCPRIM_400000_NS6detail17trampoline_kernelINS0_13select_configILj256ELj13ELNS0_17block_load_methodE3ELS4_3ELS4_3ELNS0_20block_scan_algorithmE0ELj4294967295EEENS1_25partition_config_selectorILNS1_17partition_subalgoE3EjNS0_10empty_typeEbEEZZNS1_14partition_implILS8_3ELb0ES6_jNS0_17counting_iteratorIjlEEPS9_SE_NS0_5tupleIJPjSE_EEENSF_IJSE_SE_EEES9_SG_JZNS1_25segmented_radix_sort_implINS0_14default_configELb1EPKdPdPKlPlN2at6native12_GLOBAL__N_18offset_tEEE10hipError_tPvRmT1_PNSt15iterator_traitsISY_E10value_typeET2_T3_PNSZ_IS14_E10value_typeET4_jRbjT5_S1A_jjP12ihipStream_tbEUljE_EEESV_SW_SX_S14_S18_S1A_T6_T7_T9_mT8_S1C_bDpT10_ENKUlT_T0_E_clISt17integral_constantIbLb1EES1P_EEDaS1K_S1L_EUlS1K_E_NS1_11comp_targetILNS1_3genE0ELNS1_11target_archE4294967295ELNS1_3gpuE0ELNS1_3repE0EEENS1_30default_config_static_selectorELNS0_4arch9wavefront6targetE0EEEvSY_,comdat
.Lfunc_end1088:
	.size	_ZN7rocprim17ROCPRIM_400000_NS6detail17trampoline_kernelINS0_13select_configILj256ELj13ELNS0_17block_load_methodE3ELS4_3ELS4_3ELNS0_20block_scan_algorithmE0ELj4294967295EEENS1_25partition_config_selectorILNS1_17partition_subalgoE3EjNS0_10empty_typeEbEEZZNS1_14partition_implILS8_3ELb0ES6_jNS0_17counting_iteratorIjlEEPS9_SE_NS0_5tupleIJPjSE_EEENSF_IJSE_SE_EEES9_SG_JZNS1_25segmented_radix_sort_implINS0_14default_configELb1EPKdPdPKlPlN2at6native12_GLOBAL__N_18offset_tEEE10hipError_tPvRmT1_PNSt15iterator_traitsISY_E10value_typeET2_T3_PNSZ_IS14_E10value_typeET4_jRbjT5_S1A_jjP12ihipStream_tbEUljE_EEESV_SW_SX_S14_S18_S1A_T6_T7_T9_mT8_S1C_bDpT10_ENKUlT_T0_E_clISt17integral_constantIbLb1EES1P_EEDaS1K_S1L_EUlS1K_E_NS1_11comp_targetILNS1_3genE0ELNS1_11target_archE4294967295ELNS1_3gpuE0ELNS1_3repE0EEENS1_30default_config_static_selectorELNS0_4arch9wavefront6targetE0EEEvSY_, .Lfunc_end1088-_ZN7rocprim17ROCPRIM_400000_NS6detail17trampoline_kernelINS0_13select_configILj256ELj13ELNS0_17block_load_methodE3ELS4_3ELS4_3ELNS0_20block_scan_algorithmE0ELj4294967295EEENS1_25partition_config_selectorILNS1_17partition_subalgoE3EjNS0_10empty_typeEbEEZZNS1_14partition_implILS8_3ELb0ES6_jNS0_17counting_iteratorIjlEEPS9_SE_NS0_5tupleIJPjSE_EEENSF_IJSE_SE_EEES9_SG_JZNS1_25segmented_radix_sort_implINS0_14default_configELb1EPKdPdPKlPlN2at6native12_GLOBAL__N_18offset_tEEE10hipError_tPvRmT1_PNSt15iterator_traitsISY_E10value_typeET2_T3_PNSZ_IS14_E10value_typeET4_jRbjT5_S1A_jjP12ihipStream_tbEUljE_EEESV_SW_SX_S14_S18_S1A_T6_T7_T9_mT8_S1C_bDpT10_ENKUlT_T0_E_clISt17integral_constantIbLb1EES1P_EEDaS1K_S1L_EUlS1K_E_NS1_11comp_targetILNS1_3genE0ELNS1_11target_archE4294967295ELNS1_3gpuE0ELNS1_3repE0EEENS1_30default_config_static_selectorELNS0_4arch9wavefront6targetE0EEEvSY_
                                        ; -- End function
	.set _ZN7rocprim17ROCPRIM_400000_NS6detail17trampoline_kernelINS0_13select_configILj256ELj13ELNS0_17block_load_methodE3ELS4_3ELS4_3ELNS0_20block_scan_algorithmE0ELj4294967295EEENS1_25partition_config_selectorILNS1_17partition_subalgoE3EjNS0_10empty_typeEbEEZZNS1_14partition_implILS8_3ELb0ES6_jNS0_17counting_iteratorIjlEEPS9_SE_NS0_5tupleIJPjSE_EEENSF_IJSE_SE_EEES9_SG_JZNS1_25segmented_radix_sort_implINS0_14default_configELb1EPKdPdPKlPlN2at6native12_GLOBAL__N_18offset_tEEE10hipError_tPvRmT1_PNSt15iterator_traitsISY_E10value_typeET2_T3_PNSZ_IS14_E10value_typeET4_jRbjT5_S1A_jjP12ihipStream_tbEUljE_EEESV_SW_SX_S14_S18_S1A_T6_T7_T9_mT8_S1C_bDpT10_ENKUlT_T0_E_clISt17integral_constantIbLb1EES1P_EEDaS1K_S1L_EUlS1K_E_NS1_11comp_targetILNS1_3genE0ELNS1_11target_archE4294967295ELNS1_3gpuE0ELNS1_3repE0EEENS1_30default_config_static_selectorELNS0_4arch9wavefront6targetE0EEEvSY_.num_vgpr, 0
	.set _ZN7rocprim17ROCPRIM_400000_NS6detail17trampoline_kernelINS0_13select_configILj256ELj13ELNS0_17block_load_methodE3ELS4_3ELS4_3ELNS0_20block_scan_algorithmE0ELj4294967295EEENS1_25partition_config_selectorILNS1_17partition_subalgoE3EjNS0_10empty_typeEbEEZZNS1_14partition_implILS8_3ELb0ES6_jNS0_17counting_iteratorIjlEEPS9_SE_NS0_5tupleIJPjSE_EEENSF_IJSE_SE_EEES9_SG_JZNS1_25segmented_radix_sort_implINS0_14default_configELb1EPKdPdPKlPlN2at6native12_GLOBAL__N_18offset_tEEE10hipError_tPvRmT1_PNSt15iterator_traitsISY_E10value_typeET2_T3_PNSZ_IS14_E10value_typeET4_jRbjT5_S1A_jjP12ihipStream_tbEUljE_EEESV_SW_SX_S14_S18_S1A_T6_T7_T9_mT8_S1C_bDpT10_ENKUlT_T0_E_clISt17integral_constantIbLb1EES1P_EEDaS1K_S1L_EUlS1K_E_NS1_11comp_targetILNS1_3genE0ELNS1_11target_archE4294967295ELNS1_3gpuE0ELNS1_3repE0EEENS1_30default_config_static_selectorELNS0_4arch9wavefront6targetE0EEEvSY_.num_agpr, 0
	.set _ZN7rocprim17ROCPRIM_400000_NS6detail17trampoline_kernelINS0_13select_configILj256ELj13ELNS0_17block_load_methodE3ELS4_3ELS4_3ELNS0_20block_scan_algorithmE0ELj4294967295EEENS1_25partition_config_selectorILNS1_17partition_subalgoE3EjNS0_10empty_typeEbEEZZNS1_14partition_implILS8_3ELb0ES6_jNS0_17counting_iteratorIjlEEPS9_SE_NS0_5tupleIJPjSE_EEENSF_IJSE_SE_EEES9_SG_JZNS1_25segmented_radix_sort_implINS0_14default_configELb1EPKdPdPKlPlN2at6native12_GLOBAL__N_18offset_tEEE10hipError_tPvRmT1_PNSt15iterator_traitsISY_E10value_typeET2_T3_PNSZ_IS14_E10value_typeET4_jRbjT5_S1A_jjP12ihipStream_tbEUljE_EEESV_SW_SX_S14_S18_S1A_T6_T7_T9_mT8_S1C_bDpT10_ENKUlT_T0_E_clISt17integral_constantIbLb1EES1P_EEDaS1K_S1L_EUlS1K_E_NS1_11comp_targetILNS1_3genE0ELNS1_11target_archE4294967295ELNS1_3gpuE0ELNS1_3repE0EEENS1_30default_config_static_selectorELNS0_4arch9wavefront6targetE0EEEvSY_.numbered_sgpr, 0
	.set _ZN7rocprim17ROCPRIM_400000_NS6detail17trampoline_kernelINS0_13select_configILj256ELj13ELNS0_17block_load_methodE3ELS4_3ELS4_3ELNS0_20block_scan_algorithmE0ELj4294967295EEENS1_25partition_config_selectorILNS1_17partition_subalgoE3EjNS0_10empty_typeEbEEZZNS1_14partition_implILS8_3ELb0ES6_jNS0_17counting_iteratorIjlEEPS9_SE_NS0_5tupleIJPjSE_EEENSF_IJSE_SE_EEES9_SG_JZNS1_25segmented_radix_sort_implINS0_14default_configELb1EPKdPdPKlPlN2at6native12_GLOBAL__N_18offset_tEEE10hipError_tPvRmT1_PNSt15iterator_traitsISY_E10value_typeET2_T3_PNSZ_IS14_E10value_typeET4_jRbjT5_S1A_jjP12ihipStream_tbEUljE_EEESV_SW_SX_S14_S18_S1A_T6_T7_T9_mT8_S1C_bDpT10_ENKUlT_T0_E_clISt17integral_constantIbLb1EES1P_EEDaS1K_S1L_EUlS1K_E_NS1_11comp_targetILNS1_3genE0ELNS1_11target_archE4294967295ELNS1_3gpuE0ELNS1_3repE0EEENS1_30default_config_static_selectorELNS0_4arch9wavefront6targetE0EEEvSY_.num_named_barrier, 0
	.set _ZN7rocprim17ROCPRIM_400000_NS6detail17trampoline_kernelINS0_13select_configILj256ELj13ELNS0_17block_load_methodE3ELS4_3ELS4_3ELNS0_20block_scan_algorithmE0ELj4294967295EEENS1_25partition_config_selectorILNS1_17partition_subalgoE3EjNS0_10empty_typeEbEEZZNS1_14partition_implILS8_3ELb0ES6_jNS0_17counting_iteratorIjlEEPS9_SE_NS0_5tupleIJPjSE_EEENSF_IJSE_SE_EEES9_SG_JZNS1_25segmented_radix_sort_implINS0_14default_configELb1EPKdPdPKlPlN2at6native12_GLOBAL__N_18offset_tEEE10hipError_tPvRmT1_PNSt15iterator_traitsISY_E10value_typeET2_T3_PNSZ_IS14_E10value_typeET4_jRbjT5_S1A_jjP12ihipStream_tbEUljE_EEESV_SW_SX_S14_S18_S1A_T6_T7_T9_mT8_S1C_bDpT10_ENKUlT_T0_E_clISt17integral_constantIbLb1EES1P_EEDaS1K_S1L_EUlS1K_E_NS1_11comp_targetILNS1_3genE0ELNS1_11target_archE4294967295ELNS1_3gpuE0ELNS1_3repE0EEENS1_30default_config_static_selectorELNS0_4arch9wavefront6targetE0EEEvSY_.private_seg_size, 0
	.set _ZN7rocprim17ROCPRIM_400000_NS6detail17trampoline_kernelINS0_13select_configILj256ELj13ELNS0_17block_load_methodE3ELS4_3ELS4_3ELNS0_20block_scan_algorithmE0ELj4294967295EEENS1_25partition_config_selectorILNS1_17partition_subalgoE3EjNS0_10empty_typeEbEEZZNS1_14partition_implILS8_3ELb0ES6_jNS0_17counting_iteratorIjlEEPS9_SE_NS0_5tupleIJPjSE_EEENSF_IJSE_SE_EEES9_SG_JZNS1_25segmented_radix_sort_implINS0_14default_configELb1EPKdPdPKlPlN2at6native12_GLOBAL__N_18offset_tEEE10hipError_tPvRmT1_PNSt15iterator_traitsISY_E10value_typeET2_T3_PNSZ_IS14_E10value_typeET4_jRbjT5_S1A_jjP12ihipStream_tbEUljE_EEESV_SW_SX_S14_S18_S1A_T6_T7_T9_mT8_S1C_bDpT10_ENKUlT_T0_E_clISt17integral_constantIbLb1EES1P_EEDaS1K_S1L_EUlS1K_E_NS1_11comp_targetILNS1_3genE0ELNS1_11target_archE4294967295ELNS1_3gpuE0ELNS1_3repE0EEENS1_30default_config_static_selectorELNS0_4arch9wavefront6targetE0EEEvSY_.uses_vcc, 0
	.set _ZN7rocprim17ROCPRIM_400000_NS6detail17trampoline_kernelINS0_13select_configILj256ELj13ELNS0_17block_load_methodE3ELS4_3ELS4_3ELNS0_20block_scan_algorithmE0ELj4294967295EEENS1_25partition_config_selectorILNS1_17partition_subalgoE3EjNS0_10empty_typeEbEEZZNS1_14partition_implILS8_3ELb0ES6_jNS0_17counting_iteratorIjlEEPS9_SE_NS0_5tupleIJPjSE_EEENSF_IJSE_SE_EEES9_SG_JZNS1_25segmented_radix_sort_implINS0_14default_configELb1EPKdPdPKlPlN2at6native12_GLOBAL__N_18offset_tEEE10hipError_tPvRmT1_PNSt15iterator_traitsISY_E10value_typeET2_T3_PNSZ_IS14_E10value_typeET4_jRbjT5_S1A_jjP12ihipStream_tbEUljE_EEESV_SW_SX_S14_S18_S1A_T6_T7_T9_mT8_S1C_bDpT10_ENKUlT_T0_E_clISt17integral_constantIbLb1EES1P_EEDaS1K_S1L_EUlS1K_E_NS1_11comp_targetILNS1_3genE0ELNS1_11target_archE4294967295ELNS1_3gpuE0ELNS1_3repE0EEENS1_30default_config_static_selectorELNS0_4arch9wavefront6targetE0EEEvSY_.uses_flat_scratch, 0
	.set _ZN7rocprim17ROCPRIM_400000_NS6detail17trampoline_kernelINS0_13select_configILj256ELj13ELNS0_17block_load_methodE3ELS4_3ELS4_3ELNS0_20block_scan_algorithmE0ELj4294967295EEENS1_25partition_config_selectorILNS1_17partition_subalgoE3EjNS0_10empty_typeEbEEZZNS1_14partition_implILS8_3ELb0ES6_jNS0_17counting_iteratorIjlEEPS9_SE_NS0_5tupleIJPjSE_EEENSF_IJSE_SE_EEES9_SG_JZNS1_25segmented_radix_sort_implINS0_14default_configELb1EPKdPdPKlPlN2at6native12_GLOBAL__N_18offset_tEEE10hipError_tPvRmT1_PNSt15iterator_traitsISY_E10value_typeET2_T3_PNSZ_IS14_E10value_typeET4_jRbjT5_S1A_jjP12ihipStream_tbEUljE_EEESV_SW_SX_S14_S18_S1A_T6_T7_T9_mT8_S1C_bDpT10_ENKUlT_T0_E_clISt17integral_constantIbLb1EES1P_EEDaS1K_S1L_EUlS1K_E_NS1_11comp_targetILNS1_3genE0ELNS1_11target_archE4294967295ELNS1_3gpuE0ELNS1_3repE0EEENS1_30default_config_static_selectorELNS0_4arch9wavefront6targetE0EEEvSY_.has_dyn_sized_stack, 0
	.set _ZN7rocprim17ROCPRIM_400000_NS6detail17trampoline_kernelINS0_13select_configILj256ELj13ELNS0_17block_load_methodE3ELS4_3ELS4_3ELNS0_20block_scan_algorithmE0ELj4294967295EEENS1_25partition_config_selectorILNS1_17partition_subalgoE3EjNS0_10empty_typeEbEEZZNS1_14partition_implILS8_3ELb0ES6_jNS0_17counting_iteratorIjlEEPS9_SE_NS0_5tupleIJPjSE_EEENSF_IJSE_SE_EEES9_SG_JZNS1_25segmented_radix_sort_implINS0_14default_configELb1EPKdPdPKlPlN2at6native12_GLOBAL__N_18offset_tEEE10hipError_tPvRmT1_PNSt15iterator_traitsISY_E10value_typeET2_T3_PNSZ_IS14_E10value_typeET4_jRbjT5_S1A_jjP12ihipStream_tbEUljE_EEESV_SW_SX_S14_S18_S1A_T6_T7_T9_mT8_S1C_bDpT10_ENKUlT_T0_E_clISt17integral_constantIbLb1EES1P_EEDaS1K_S1L_EUlS1K_E_NS1_11comp_targetILNS1_3genE0ELNS1_11target_archE4294967295ELNS1_3gpuE0ELNS1_3repE0EEENS1_30default_config_static_selectorELNS0_4arch9wavefront6targetE0EEEvSY_.has_recursion, 0
	.set _ZN7rocprim17ROCPRIM_400000_NS6detail17trampoline_kernelINS0_13select_configILj256ELj13ELNS0_17block_load_methodE3ELS4_3ELS4_3ELNS0_20block_scan_algorithmE0ELj4294967295EEENS1_25partition_config_selectorILNS1_17partition_subalgoE3EjNS0_10empty_typeEbEEZZNS1_14partition_implILS8_3ELb0ES6_jNS0_17counting_iteratorIjlEEPS9_SE_NS0_5tupleIJPjSE_EEENSF_IJSE_SE_EEES9_SG_JZNS1_25segmented_radix_sort_implINS0_14default_configELb1EPKdPdPKlPlN2at6native12_GLOBAL__N_18offset_tEEE10hipError_tPvRmT1_PNSt15iterator_traitsISY_E10value_typeET2_T3_PNSZ_IS14_E10value_typeET4_jRbjT5_S1A_jjP12ihipStream_tbEUljE_EEESV_SW_SX_S14_S18_S1A_T6_T7_T9_mT8_S1C_bDpT10_ENKUlT_T0_E_clISt17integral_constantIbLb1EES1P_EEDaS1K_S1L_EUlS1K_E_NS1_11comp_targetILNS1_3genE0ELNS1_11target_archE4294967295ELNS1_3gpuE0ELNS1_3repE0EEENS1_30default_config_static_selectorELNS0_4arch9wavefront6targetE0EEEvSY_.has_indirect_call, 0
	.section	.AMDGPU.csdata,"",@progbits
; Kernel info:
; codeLenInByte = 4
; TotalNumSgprs: 0
; NumVgprs: 0
; ScratchSize: 0
; MemoryBound: 0
; FloatMode: 240
; IeeeMode: 1
; LDSByteSize: 0 bytes/workgroup (compile time only)
; SGPRBlocks: 0
; VGPRBlocks: 0
; NumSGPRsForWavesPerEU: 1
; NumVGPRsForWavesPerEU: 1
; NamedBarCnt: 0
; Occupancy: 16
; WaveLimiterHint : 0
; COMPUTE_PGM_RSRC2:SCRATCH_EN: 0
; COMPUTE_PGM_RSRC2:USER_SGPR: 2
; COMPUTE_PGM_RSRC2:TRAP_HANDLER: 0
; COMPUTE_PGM_RSRC2:TGID_X_EN: 1
; COMPUTE_PGM_RSRC2:TGID_Y_EN: 0
; COMPUTE_PGM_RSRC2:TGID_Z_EN: 0
; COMPUTE_PGM_RSRC2:TIDIG_COMP_CNT: 0
	.section	.text._ZN7rocprim17ROCPRIM_400000_NS6detail17trampoline_kernelINS0_13select_configILj256ELj13ELNS0_17block_load_methodE3ELS4_3ELS4_3ELNS0_20block_scan_algorithmE0ELj4294967295EEENS1_25partition_config_selectorILNS1_17partition_subalgoE3EjNS0_10empty_typeEbEEZZNS1_14partition_implILS8_3ELb0ES6_jNS0_17counting_iteratorIjlEEPS9_SE_NS0_5tupleIJPjSE_EEENSF_IJSE_SE_EEES9_SG_JZNS1_25segmented_radix_sort_implINS0_14default_configELb1EPKdPdPKlPlN2at6native12_GLOBAL__N_18offset_tEEE10hipError_tPvRmT1_PNSt15iterator_traitsISY_E10value_typeET2_T3_PNSZ_IS14_E10value_typeET4_jRbjT5_S1A_jjP12ihipStream_tbEUljE_EEESV_SW_SX_S14_S18_S1A_T6_T7_T9_mT8_S1C_bDpT10_ENKUlT_T0_E_clISt17integral_constantIbLb1EES1P_EEDaS1K_S1L_EUlS1K_E_NS1_11comp_targetILNS1_3genE5ELNS1_11target_archE942ELNS1_3gpuE9ELNS1_3repE0EEENS1_30default_config_static_selectorELNS0_4arch9wavefront6targetE0EEEvSY_,"axG",@progbits,_ZN7rocprim17ROCPRIM_400000_NS6detail17trampoline_kernelINS0_13select_configILj256ELj13ELNS0_17block_load_methodE3ELS4_3ELS4_3ELNS0_20block_scan_algorithmE0ELj4294967295EEENS1_25partition_config_selectorILNS1_17partition_subalgoE3EjNS0_10empty_typeEbEEZZNS1_14partition_implILS8_3ELb0ES6_jNS0_17counting_iteratorIjlEEPS9_SE_NS0_5tupleIJPjSE_EEENSF_IJSE_SE_EEES9_SG_JZNS1_25segmented_radix_sort_implINS0_14default_configELb1EPKdPdPKlPlN2at6native12_GLOBAL__N_18offset_tEEE10hipError_tPvRmT1_PNSt15iterator_traitsISY_E10value_typeET2_T3_PNSZ_IS14_E10value_typeET4_jRbjT5_S1A_jjP12ihipStream_tbEUljE_EEESV_SW_SX_S14_S18_S1A_T6_T7_T9_mT8_S1C_bDpT10_ENKUlT_T0_E_clISt17integral_constantIbLb1EES1P_EEDaS1K_S1L_EUlS1K_E_NS1_11comp_targetILNS1_3genE5ELNS1_11target_archE942ELNS1_3gpuE9ELNS1_3repE0EEENS1_30default_config_static_selectorELNS0_4arch9wavefront6targetE0EEEvSY_,comdat
	.globl	_ZN7rocprim17ROCPRIM_400000_NS6detail17trampoline_kernelINS0_13select_configILj256ELj13ELNS0_17block_load_methodE3ELS4_3ELS4_3ELNS0_20block_scan_algorithmE0ELj4294967295EEENS1_25partition_config_selectorILNS1_17partition_subalgoE3EjNS0_10empty_typeEbEEZZNS1_14partition_implILS8_3ELb0ES6_jNS0_17counting_iteratorIjlEEPS9_SE_NS0_5tupleIJPjSE_EEENSF_IJSE_SE_EEES9_SG_JZNS1_25segmented_radix_sort_implINS0_14default_configELb1EPKdPdPKlPlN2at6native12_GLOBAL__N_18offset_tEEE10hipError_tPvRmT1_PNSt15iterator_traitsISY_E10value_typeET2_T3_PNSZ_IS14_E10value_typeET4_jRbjT5_S1A_jjP12ihipStream_tbEUljE_EEESV_SW_SX_S14_S18_S1A_T6_T7_T9_mT8_S1C_bDpT10_ENKUlT_T0_E_clISt17integral_constantIbLb1EES1P_EEDaS1K_S1L_EUlS1K_E_NS1_11comp_targetILNS1_3genE5ELNS1_11target_archE942ELNS1_3gpuE9ELNS1_3repE0EEENS1_30default_config_static_selectorELNS0_4arch9wavefront6targetE0EEEvSY_ ; -- Begin function _ZN7rocprim17ROCPRIM_400000_NS6detail17trampoline_kernelINS0_13select_configILj256ELj13ELNS0_17block_load_methodE3ELS4_3ELS4_3ELNS0_20block_scan_algorithmE0ELj4294967295EEENS1_25partition_config_selectorILNS1_17partition_subalgoE3EjNS0_10empty_typeEbEEZZNS1_14partition_implILS8_3ELb0ES6_jNS0_17counting_iteratorIjlEEPS9_SE_NS0_5tupleIJPjSE_EEENSF_IJSE_SE_EEES9_SG_JZNS1_25segmented_radix_sort_implINS0_14default_configELb1EPKdPdPKlPlN2at6native12_GLOBAL__N_18offset_tEEE10hipError_tPvRmT1_PNSt15iterator_traitsISY_E10value_typeET2_T3_PNSZ_IS14_E10value_typeET4_jRbjT5_S1A_jjP12ihipStream_tbEUljE_EEESV_SW_SX_S14_S18_S1A_T6_T7_T9_mT8_S1C_bDpT10_ENKUlT_T0_E_clISt17integral_constantIbLb1EES1P_EEDaS1K_S1L_EUlS1K_E_NS1_11comp_targetILNS1_3genE5ELNS1_11target_archE942ELNS1_3gpuE9ELNS1_3repE0EEENS1_30default_config_static_selectorELNS0_4arch9wavefront6targetE0EEEvSY_
	.p2align	8
	.type	_ZN7rocprim17ROCPRIM_400000_NS6detail17trampoline_kernelINS0_13select_configILj256ELj13ELNS0_17block_load_methodE3ELS4_3ELS4_3ELNS0_20block_scan_algorithmE0ELj4294967295EEENS1_25partition_config_selectorILNS1_17partition_subalgoE3EjNS0_10empty_typeEbEEZZNS1_14partition_implILS8_3ELb0ES6_jNS0_17counting_iteratorIjlEEPS9_SE_NS0_5tupleIJPjSE_EEENSF_IJSE_SE_EEES9_SG_JZNS1_25segmented_radix_sort_implINS0_14default_configELb1EPKdPdPKlPlN2at6native12_GLOBAL__N_18offset_tEEE10hipError_tPvRmT1_PNSt15iterator_traitsISY_E10value_typeET2_T3_PNSZ_IS14_E10value_typeET4_jRbjT5_S1A_jjP12ihipStream_tbEUljE_EEESV_SW_SX_S14_S18_S1A_T6_T7_T9_mT8_S1C_bDpT10_ENKUlT_T0_E_clISt17integral_constantIbLb1EES1P_EEDaS1K_S1L_EUlS1K_E_NS1_11comp_targetILNS1_3genE5ELNS1_11target_archE942ELNS1_3gpuE9ELNS1_3repE0EEENS1_30default_config_static_selectorELNS0_4arch9wavefront6targetE0EEEvSY_,@function
_ZN7rocprim17ROCPRIM_400000_NS6detail17trampoline_kernelINS0_13select_configILj256ELj13ELNS0_17block_load_methodE3ELS4_3ELS4_3ELNS0_20block_scan_algorithmE0ELj4294967295EEENS1_25partition_config_selectorILNS1_17partition_subalgoE3EjNS0_10empty_typeEbEEZZNS1_14partition_implILS8_3ELb0ES6_jNS0_17counting_iteratorIjlEEPS9_SE_NS0_5tupleIJPjSE_EEENSF_IJSE_SE_EEES9_SG_JZNS1_25segmented_radix_sort_implINS0_14default_configELb1EPKdPdPKlPlN2at6native12_GLOBAL__N_18offset_tEEE10hipError_tPvRmT1_PNSt15iterator_traitsISY_E10value_typeET2_T3_PNSZ_IS14_E10value_typeET4_jRbjT5_S1A_jjP12ihipStream_tbEUljE_EEESV_SW_SX_S14_S18_S1A_T6_T7_T9_mT8_S1C_bDpT10_ENKUlT_T0_E_clISt17integral_constantIbLb1EES1P_EEDaS1K_S1L_EUlS1K_E_NS1_11comp_targetILNS1_3genE5ELNS1_11target_archE942ELNS1_3gpuE9ELNS1_3repE0EEENS1_30default_config_static_selectorELNS0_4arch9wavefront6targetE0EEEvSY_: ; @_ZN7rocprim17ROCPRIM_400000_NS6detail17trampoline_kernelINS0_13select_configILj256ELj13ELNS0_17block_load_methodE3ELS4_3ELS4_3ELNS0_20block_scan_algorithmE0ELj4294967295EEENS1_25partition_config_selectorILNS1_17partition_subalgoE3EjNS0_10empty_typeEbEEZZNS1_14partition_implILS8_3ELb0ES6_jNS0_17counting_iteratorIjlEEPS9_SE_NS0_5tupleIJPjSE_EEENSF_IJSE_SE_EEES9_SG_JZNS1_25segmented_radix_sort_implINS0_14default_configELb1EPKdPdPKlPlN2at6native12_GLOBAL__N_18offset_tEEE10hipError_tPvRmT1_PNSt15iterator_traitsISY_E10value_typeET2_T3_PNSZ_IS14_E10value_typeET4_jRbjT5_S1A_jjP12ihipStream_tbEUljE_EEESV_SW_SX_S14_S18_S1A_T6_T7_T9_mT8_S1C_bDpT10_ENKUlT_T0_E_clISt17integral_constantIbLb1EES1P_EEDaS1K_S1L_EUlS1K_E_NS1_11comp_targetILNS1_3genE5ELNS1_11target_archE942ELNS1_3gpuE9ELNS1_3repE0EEENS1_30default_config_static_selectorELNS0_4arch9wavefront6targetE0EEEvSY_
; %bb.0:
	.section	.rodata,"a",@progbits
	.p2align	6, 0x0
	.amdhsa_kernel _ZN7rocprim17ROCPRIM_400000_NS6detail17trampoline_kernelINS0_13select_configILj256ELj13ELNS0_17block_load_methodE3ELS4_3ELS4_3ELNS0_20block_scan_algorithmE0ELj4294967295EEENS1_25partition_config_selectorILNS1_17partition_subalgoE3EjNS0_10empty_typeEbEEZZNS1_14partition_implILS8_3ELb0ES6_jNS0_17counting_iteratorIjlEEPS9_SE_NS0_5tupleIJPjSE_EEENSF_IJSE_SE_EEES9_SG_JZNS1_25segmented_radix_sort_implINS0_14default_configELb1EPKdPdPKlPlN2at6native12_GLOBAL__N_18offset_tEEE10hipError_tPvRmT1_PNSt15iterator_traitsISY_E10value_typeET2_T3_PNSZ_IS14_E10value_typeET4_jRbjT5_S1A_jjP12ihipStream_tbEUljE_EEESV_SW_SX_S14_S18_S1A_T6_T7_T9_mT8_S1C_bDpT10_ENKUlT_T0_E_clISt17integral_constantIbLb1EES1P_EEDaS1K_S1L_EUlS1K_E_NS1_11comp_targetILNS1_3genE5ELNS1_11target_archE942ELNS1_3gpuE9ELNS1_3repE0EEENS1_30default_config_static_selectorELNS0_4arch9wavefront6targetE0EEEvSY_
		.amdhsa_group_segment_fixed_size 0
		.amdhsa_private_segment_fixed_size 0
		.amdhsa_kernarg_size 152
		.amdhsa_user_sgpr_count 2
		.amdhsa_user_sgpr_dispatch_ptr 0
		.amdhsa_user_sgpr_queue_ptr 0
		.amdhsa_user_sgpr_kernarg_segment_ptr 1
		.amdhsa_user_sgpr_dispatch_id 0
		.amdhsa_user_sgpr_kernarg_preload_length 0
		.amdhsa_user_sgpr_kernarg_preload_offset 0
		.amdhsa_user_sgpr_private_segment_size 0
		.amdhsa_wavefront_size32 1
		.amdhsa_uses_dynamic_stack 0
		.amdhsa_enable_private_segment 0
		.amdhsa_system_sgpr_workgroup_id_x 1
		.amdhsa_system_sgpr_workgroup_id_y 0
		.amdhsa_system_sgpr_workgroup_id_z 0
		.amdhsa_system_sgpr_workgroup_info 0
		.amdhsa_system_vgpr_workitem_id 0
		.amdhsa_next_free_vgpr 1
		.amdhsa_next_free_sgpr 1
		.amdhsa_named_barrier_count 0
		.amdhsa_reserve_vcc 0
		.amdhsa_float_round_mode_32 0
		.amdhsa_float_round_mode_16_64 0
		.amdhsa_float_denorm_mode_32 3
		.amdhsa_float_denorm_mode_16_64 3
		.amdhsa_fp16_overflow 0
		.amdhsa_memory_ordered 1
		.amdhsa_forward_progress 1
		.amdhsa_inst_pref_size 0
		.amdhsa_round_robin_scheduling 0
		.amdhsa_exception_fp_ieee_invalid_op 0
		.amdhsa_exception_fp_denorm_src 0
		.amdhsa_exception_fp_ieee_div_zero 0
		.amdhsa_exception_fp_ieee_overflow 0
		.amdhsa_exception_fp_ieee_underflow 0
		.amdhsa_exception_fp_ieee_inexact 0
		.amdhsa_exception_int_div_zero 0
	.end_amdhsa_kernel
	.section	.text._ZN7rocprim17ROCPRIM_400000_NS6detail17trampoline_kernelINS0_13select_configILj256ELj13ELNS0_17block_load_methodE3ELS4_3ELS4_3ELNS0_20block_scan_algorithmE0ELj4294967295EEENS1_25partition_config_selectorILNS1_17partition_subalgoE3EjNS0_10empty_typeEbEEZZNS1_14partition_implILS8_3ELb0ES6_jNS0_17counting_iteratorIjlEEPS9_SE_NS0_5tupleIJPjSE_EEENSF_IJSE_SE_EEES9_SG_JZNS1_25segmented_radix_sort_implINS0_14default_configELb1EPKdPdPKlPlN2at6native12_GLOBAL__N_18offset_tEEE10hipError_tPvRmT1_PNSt15iterator_traitsISY_E10value_typeET2_T3_PNSZ_IS14_E10value_typeET4_jRbjT5_S1A_jjP12ihipStream_tbEUljE_EEESV_SW_SX_S14_S18_S1A_T6_T7_T9_mT8_S1C_bDpT10_ENKUlT_T0_E_clISt17integral_constantIbLb1EES1P_EEDaS1K_S1L_EUlS1K_E_NS1_11comp_targetILNS1_3genE5ELNS1_11target_archE942ELNS1_3gpuE9ELNS1_3repE0EEENS1_30default_config_static_selectorELNS0_4arch9wavefront6targetE0EEEvSY_,"axG",@progbits,_ZN7rocprim17ROCPRIM_400000_NS6detail17trampoline_kernelINS0_13select_configILj256ELj13ELNS0_17block_load_methodE3ELS4_3ELS4_3ELNS0_20block_scan_algorithmE0ELj4294967295EEENS1_25partition_config_selectorILNS1_17partition_subalgoE3EjNS0_10empty_typeEbEEZZNS1_14partition_implILS8_3ELb0ES6_jNS0_17counting_iteratorIjlEEPS9_SE_NS0_5tupleIJPjSE_EEENSF_IJSE_SE_EEES9_SG_JZNS1_25segmented_radix_sort_implINS0_14default_configELb1EPKdPdPKlPlN2at6native12_GLOBAL__N_18offset_tEEE10hipError_tPvRmT1_PNSt15iterator_traitsISY_E10value_typeET2_T3_PNSZ_IS14_E10value_typeET4_jRbjT5_S1A_jjP12ihipStream_tbEUljE_EEESV_SW_SX_S14_S18_S1A_T6_T7_T9_mT8_S1C_bDpT10_ENKUlT_T0_E_clISt17integral_constantIbLb1EES1P_EEDaS1K_S1L_EUlS1K_E_NS1_11comp_targetILNS1_3genE5ELNS1_11target_archE942ELNS1_3gpuE9ELNS1_3repE0EEENS1_30default_config_static_selectorELNS0_4arch9wavefront6targetE0EEEvSY_,comdat
.Lfunc_end1089:
	.size	_ZN7rocprim17ROCPRIM_400000_NS6detail17trampoline_kernelINS0_13select_configILj256ELj13ELNS0_17block_load_methodE3ELS4_3ELS4_3ELNS0_20block_scan_algorithmE0ELj4294967295EEENS1_25partition_config_selectorILNS1_17partition_subalgoE3EjNS0_10empty_typeEbEEZZNS1_14partition_implILS8_3ELb0ES6_jNS0_17counting_iteratorIjlEEPS9_SE_NS0_5tupleIJPjSE_EEENSF_IJSE_SE_EEES9_SG_JZNS1_25segmented_radix_sort_implINS0_14default_configELb1EPKdPdPKlPlN2at6native12_GLOBAL__N_18offset_tEEE10hipError_tPvRmT1_PNSt15iterator_traitsISY_E10value_typeET2_T3_PNSZ_IS14_E10value_typeET4_jRbjT5_S1A_jjP12ihipStream_tbEUljE_EEESV_SW_SX_S14_S18_S1A_T6_T7_T9_mT8_S1C_bDpT10_ENKUlT_T0_E_clISt17integral_constantIbLb1EES1P_EEDaS1K_S1L_EUlS1K_E_NS1_11comp_targetILNS1_3genE5ELNS1_11target_archE942ELNS1_3gpuE9ELNS1_3repE0EEENS1_30default_config_static_selectorELNS0_4arch9wavefront6targetE0EEEvSY_, .Lfunc_end1089-_ZN7rocprim17ROCPRIM_400000_NS6detail17trampoline_kernelINS0_13select_configILj256ELj13ELNS0_17block_load_methodE3ELS4_3ELS4_3ELNS0_20block_scan_algorithmE0ELj4294967295EEENS1_25partition_config_selectorILNS1_17partition_subalgoE3EjNS0_10empty_typeEbEEZZNS1_14partition_implILS8_3ELb0ES6_jNS0_17counting_iteratorIjlEEPS9_SE_NS0_5tupleIJPjSE_EEENSF_IJSE_SE_EEES9_SG_JZNS1_25segmented_radix_sort_implINS0_14default_configELb1EPKdPdPKlPlN2at6native12_GLOBAL__N_18offset_tEEE10hipError_tPvRmT1_PNSt15iterator_traitsISY_E10value_typeET2_T3_PNSZ_IS14_E10value_typeET4_jRbjT5_S1A_jjP12ihipStream_tbEUljE_EEESV_SW_SX_S14_S18_S1A_T6_T7_T9_mT8_S1C_bDpT10_ENKUlT_T0_E_clISt17integral_constantIbLb1EES1P_EEDaS1K_S1L_EUlS1K_E_NS1_11comp_targetILNS1_3genE5ELNS1_11target_archE942ELNS1_3gpuE9ELNS1_3repE0EEENS1_30default_config_static_selectorELNS0_4arch9wavefront6targetE0EEEvSY_
                                        ; -- End function
	.set _ZN7rocprim17ROCPRIM_400000_NS6detail17trampoline_kernelINS0_13select_configILj256ELj13ELNS0_17block_load_methodE3ELS4_3ELS4_3ELNS0_20block_scan_algorithmE0ELj4294967295EEENS1_25partition_config_selectorILNS1_17partition_subalgoE3EjNS0_10empty_typeEbEEZZNS1_14partition_implILS8_3ELb0ES6_jNS0_17counting_iteratorIjlEEPS9_SE_NS0_5tupleIJPjSE_EEENSF_IJSE_SE_EEES9_SG_JZNS1_25segmented_radix_sort_implINS0_14default_configELb1EPKdPdPKlPlN2at6native12_GLOBAL__N_18offset_tEEE10hipError_tPvRmT1_PNSt15iterator_traitsISY_E10value_typeET2_T3_PNSZ_IS14_E10value_typeET4_jRbjT5_S1A_jjP12ihipStream_tbEUljE_EEESV_SW_SX_S14_S18_S1A_T6_T7_T9_mT8_S1C_bDpT10_ENKUlT_T0_E_clISt17integral_constantIbLb1EES1P_EEDaS1K_S1L_EUlS1K_E_NS1_11comp_targetILNS1_3genE5ELNS1_11target_archE942ELNS1_3gpuE9ELNS1_3repE0EEENS1_30default_config_static_selectorELNS0_4arch9wavefront6targetE0EEEvSY_.num_vgpr, 0
	.set _ZN7rocprim17ROCPRIM_400000_NS6detail17trampoline_kernelINS0_13select_configILj256ELj13ELNS0_17block_load_methodE3ELS4_3ELS4_3ELNS0_20block_scan_algorithmE0ELj4294967295EEENS1_25partition_config_selectorILNS1_17partition_subalgoE3EjNS0_10empty_typeEbEEZZNS1_14partition_implILS8_3ELb0ES6_jNS0_17counting_iteratorIjlEEPS9_SE_NS0_5tupleIJPjSE_EEENSF_IJSE_SE_EEES9_SG_JZNS1_25segmented_radix_sort_implINS0_14default_configELb1EPKdPdPKlPlN2at6native12_GLOBAL__N_18offset_tEEE10hipError_tPvRmT1_PNSt15iterator_traitsISY_E10value_typeET2_T3_PNSZ_IS14_E10value_typeET4_jRbjT5_S1A_jjP12ihipStream_tbEUljE_EEESV_SW_SX_S14_S18_S1A_T6_T7_T9_mT8_S1C_bDpT10_ENKUlT_T0_E_clISt17integral_constantIbLb1EES1P_EEDaS1K_S1L_EUlS1K_E_NS1_11comp_targetILNS1_3genE5ELNS1_11target_archE942ELNS1_3gpuE9ELNS1_3repE0EEENS1_30default_config_static_selectorELNS0_4arch9wavefront6targetE0EEEvSY_.num_agpr, 0
	.set _ZN7rocprim17ROCPRIM_400000_NS6detail17trampoline_kernelINS0_13select_configILj256ELj13ELNS0_17block_load_methodE3ELS4_3ELS4_3ELNS0_20block_scan_algorithmE0ELj4294967295EEENS1_25partition_config_selectorILNS1_17partition_subalgoE3EjNS0_10empty_typeEbEEZZNS1_14partition_implILS8_3ELb0ES6_jNS0_17counting_iteratorIjlEEPS9_SE_NS0_5tupleIJPjSE_EEENSF_IJSE_SE_EEES9_SG_JZNS1_25segmented_radix_sort_implINS0_14default_configELb1EPKdPdPKlPlN2at6native12_GLOBAL__N_18offset_tEEE10hipError_tPvRmT1_PNSt15iterator_traitsISY_E10value_typeET2_T3_PNSZ_IS14_E10value_typeET4_jRbjT5_S1A_jjP12ihipStream_tbEUljE_EEESV_SW_SX_S14_S18_S1A_T6_T7_T9_mT8_S1C_bDpT10_ENKUlT_T0_E_clISt17integral_constantIbLb1EES1P_EEDaS1K_S1L_EUlS1K_E_NS1_11comp_targetILNS1_3genE5ELNS1_11target_archE942ELNS1_3gpuE9ELNS1_3repE0EEENS1_30default_config_static_selectorELNS0_4arch9wavefront6targetE0EEEvSY_.numbered_sgpr, 0
	.set _ZN7rocprim17ROCPRIM_400000_NS6detail17trampoline_kernelINS0_13select_configILj256ELj13ELNS0_17block_load_methodE3ELS4_3ELS4_3ELNS0_20block_scan_algorithmE0ELj4294967295EEENS1_25partition_config_selectorILNS1_17partition_subalgoE3EjNS0_10empty_typeEbEEZZNS1_14partition_implILS8_3ELb0ES6_jNS0_17counting_iteratorIjlEEPS9_SE_NS0_5tupleIJPjSE_EEENSF_IJSE_SE_EEES9_SG_JZNS1_25segmented_radix_sort_implINS0_14default_configELb1EPKdPdPKlPlN2at6native12_GLOBAL__N_18offset_tEEE10hipError_tPvRmT1_PNSt15iterator_traitsISY_E10value_typeET2_T3_PNSZ_IS14_E10value_typeET4_jRbjT5_S1A_jjP12ihipStream_tbEUljE_EEESV_SW_SX_S14_S18_S1A_T6_T7_T9_mT8_S1C_bDpT10_ENKUlT_T0_E_clISt17integral_constantIbLb1EES1P_EEDaS1K_S1L_EUlS1K_E_NS1_11comp_targetILNS1_3genE5ELNS1_11target_archE942ELNS1_3gpuE9ELNS1_3repE0EEENS1_30default_config_static_selectorELNS0_4arch9wavefront6targetE0EEEvSY_.num_named_barrier, 0
	.set _ZN7rocprim17ROCPRIM_400000_NS6detail17trampoline_kernelINS0_13select_configILj256ELj13ELNS0_17block_load_methodE3ELS4_3ELS4_3ELNS0_20block_scan_algorithmE0ELj4294967295EEENS1_25partition_config_selectorILNS1_17partition_subalgoE3EjNS0_10empty_typeEbEEZZNS1_14partition_implILS8_3ELb0ES6_jNS0_17counting_iteratorIjlEEPS9_SE_NS0_5tupleIJPjSE_EEENSF_IJSE_SE_EEES9_SG_JZNS1_25segmented_radix_sort_implINS0_14default_configELb1EPKdPdPKlPlN2at6native12_GLOBAL__N_18offset_tEEE10hipError_tPvRmT1_PNSt15iterator_traitsISY_E10value_typeET2_T3_PNSZ_IS14_E10value_typeET4_jRbjT5_S1A_jjP12ihipStream_tbEUljE_EEESV_SW_SX_S14_S18_S1A_T6_T7_T9_mT8_S1C_bDpT10_ENKUlT_T0_E_clISt17integral_constantIbLb1EES1P_EEDaS1K_S1L_EUlS1K_E_NS1_11comp_targetILNS1_3genE5ELNS1_11target_archE942ELNS1_3gpuE9ELNS1_3repE0EEENS1_30default_config_static_selectorELNS0_4arch9wavefront6targetE0EEEvSY_.private_seg_size, 0
	.set _ZN7rocprim17ROCPRIM_400000_NS6detail17trampoline_kernelINS0_13select_configILj256ELj13ELNS0_17block_load_methodE3ELS4_3ELS4_3ELNS0_20block_scan_algorithmE0ELj4294967295EEENS1_25partition_config_selectorILNS1_17partition_subalgoE3EjNS0_10empty_typeEbEEZZNS1_14partition_implILS8_3ELb0ES6_jNS0_17counting_iteratorIjlEEPS9_SE_NS0_5tupleIJPjSE_EEENSF_IJSE_SE_EEES9_SG_JZNS1_25segmented_radix_sort_implINS0_14default_configELb1EPKdPdPKlPlN2at6native12_GLOBAL__N_18offset_tEEE10hipError_tPvRmT1_PNSt15iterator_traitsISY_E10value_typeET2_T3_PNSZ_IS14_E10value_typeET4_jRbjT5_S1A_jjP12ihipStream_tbEUljE_EEESV_SW_SX_S14_S18_S1A_T6_T7_T9_mT8_S1C_bDpT10_ENKUlT_T0_E_clISt17integral_constantIbLb1EES1P_EEDaS1K_S1L_EUlS1K_E_NS1_11comp_targetILNS1_3genE5ELNS1_11target_archE942ELNS1_3gpuE9ELNS1_3repE0EEENS1_30default_config_static_selectorELNS0_4arch9wavefront6targetE0EEEvSY_.uses_vcc, 0
	.set _ZN7rocprim17ROCPRIM_400000_NS6detail17trampoline_kernelINS0_13select_configILj256ELj13ELNS0_17block_load_methodE3ELS4_3ELS4_3ELNS0_20block_scan_algorithmE0ELj4294967295EEENS1_25partition_config_selectorILNS1_17partition_subalgoE3EjNS0_10empty_typeEbEEZZNS1_14partition_implILS8_3ELb0ES6_jNS0_17counting_iteratorIjlEEPS9_SE_NS0_5tupleIJPjSE_EEENSF_IJSE_SE_EEES9_SG_JZNS1_25segmented_radix_sort_implINS0_14default_configELb1EPKdPdPKlPlN2at6native12_GLOBAL__N_18offset_tEEE10hipError_tPvRmT1_PNSt15iterator_traitsISY_E10value_typeET2_T3_PNSZ_IS14_E10value_typeET4_jRbjT5_S1A_jjP12ihipStream_tbEUljE_EEESV_SW_SX_S14_S18_S1A_T6_T7_T9_mT8_S1C_bDpT10_ENKUlT_T0_E_clISt17integral_constantIbLb1EES1P_EEDaS1K_S1L_EUlS1K_E_NS1_11comp_targetILNS1_3genE5ELNS1_11target_archE942ELNS1_3gpuE9ELNS1_3repE0EEENS1_30default_config_static_selectorELNS0_4arch9wavefront6targetE0EEEvSY_.uses_flat_scratch, 0
	.set _ZN7rocprim17ROCPRIM_400000_NS6detail17trampoline_kernelINS0_13select_configILj256ELj13ELNS0_17block_load_methodE3ELS4_3ELS4_3ELNS0_20block_scan_algorithmE0ELj4294967295EEENS1_25partition_config_selectorILNS1_17partition_subalgoE3EjNS0_10empty_typeEbEEZZNS1_14partition_implILS8_3ELb0ES6_jNS0_17counting_iteratorIjlEEPS9_SE_NS0_5tupleIJPjSE_EEENSF_IJSE_SE_EEES9_SG_JZNS1_25segmented_radix_sort_implINS0_14default_configELb1EPKdPdPKlPlN2at6native12_GLOBAL__N_18offset_tEEE10hipError_tPvRmT1_PNSt15iterator_traitsISY_E10value_typeET2_T3_PNSZ_IS14_E10value_typeET4_jRbjT5_S1A_jjP12ihipStream_tbEUljE_EEESV_SW_SX_S14_S18_S1A_T6_T7_T9_mT8_S1C_bDpT10_ENKUlT_T0_E_clISt17integral_constantIbLb1EES1P_EEDaS1K_S1L_EUlS1K_E_NS1_11comp_targetILNS1_3genE5ELNS1_11target_archE942ELNS1_3gpuE9ELNS1_3repE0EEENS1_30default_config_static_selectorELNS0_4arch9wavefront6targetE0EEEvSY_.has_dyn_sized_stack, 0
	.set _ZN7rocprim17ROCPRIM_400000_NS6detail17trampoline_kernelINS0_13select_configILj256ELj13ELNS0_17block_load_methodE3ELS4_3ELS4_3ELNS0_20block_scan_algorithmE0ELj4294967295EEENS1_25partition_config_selectorILNS1_17partition_subalgoE3EjNS0_10empty_typeEbEEZZNS1_14partition_implILS8_3ELb0ES6_jNS0_17counting_iteratorIjlEEPS9_SE_NS0_5tupleIJPjSE_EEENSF_IJSE_SE_EEES9_SG_JZNS1_25segmented_radix_sort_implINS0_14default_configELb1EPKdPdPKlPlN2at6native12_GLOBAL__N_18offset_tEEE10hipError_tPvRmT1_PNSt15iterator_traitsISY_E10value_typeET2_T3_PNSZ_IS14_E10value_typeET4_jRbjT5_S1A_jjP12ihipStream_tbEUljE_EEESV_SW_SX_S14_S18_S1A_T6_T7_T9_mT8_S1C_bDpT10_ENKUlT_T0_E_clISt17integral_constantIbLb1EES1P_EEDaS1K_S1L_EUlS1K_E_NS1_11comp_targetILNS1_3genE5ELNS1_11target_archE942ELNS1_3gpuE9ELNS1_3repE0EEENS1_30default_config_static_selectorELNS0_4arch9wavefront6targetE0EEEvSY_.has_recursion, 0
	.set _ZN7rocprim17ROCPRIM_400000_NS6detail17trampoline_kernelINS0_13select_configILj256ELj13ELNS0_17block_load_methodE3ELS4_3ELS4_3ELNS0_20block_scan_algorithmE0ELj4294967295EEENS1_25partition_config_selectorILNS1_17partition_subalgoE3EjNS0_10empty_typeEbEEZZNS1_14partition_implILS8_3ELb0ES6_jNS0_17counting_iteratorIjlEEPS9_SE_NS0_5tupleIJPjSE_EEENSF_IJSE_SE_EEES9_SG_JZNS1_25segmented_radix_sort_implINS0_14default_configELb1EPKdPdPKlPlN2at6native12_GLOBAL__N_18offset_tEEE10hipError_tPvRmT1_PNSt15iterator_traitsISY_E10value_typeET2_T3_PNSZ_IS14_E10value_typeET4_jRbjT5_S1A_jjP12ihipStream_tbEUljE_EEESV_SW_SX_S14_S18_S1A_T6_T7_T9_mT8_S1C_bDpT10_ENKUlT_T0_E_clISt17integral_constantIbLb1EES1P_EEDaS1K_S1L_EUlS1K_E_NS1_11comp_targetILNS1_3genE5ELNS1_11target_archE942ELNS1_3gpuE9ELNS1_3repE0EEENS1_30default_config_static_selectorELNS0_4arch9wavefront6targetE0EEEvSY_.has_indirect_call, 0
	.section	.AMDGPU.csdata,"",@progbits
; Kernel info:
; codeLenInByte = 0
; TotalNumSgprs: 0
; NumVgprs: 0
; ScratchSize: 0
; MemoryBound: 0
; FloatMode: 240
; IeeeMode: 1
; LDSByteSize: 0 bytes/workgroup (compile time only)
; SGPRBlocks: 0
; VGPRBlocks: 0
; NumSGPRsForWavesPerEU: 1
; NumVGPRsForWavesPerEU: 1
; NamedBarCnt: 0
; Occupancy: 16
; WaveLimiterHint : 0
; COMPUTE_PGM_RSRC2:SCRATCH_EN: 0
; COMPUTE_PGM_RSRC2:USER_SGPR: 2
; COMPUTE_PGM_RSRC2:TRAP_HANDLER: 0
; COMPUTE_PGM_RSRC2:TGID_X_EN: 1
; COMPUTE_PGM_RSRC2:TGID_Y_EN: 0
; COMPUTE_PGM_RSRC2:TGID_Z_EN: 0
; COMPUTE_PGM_RSRC2:TIDIG_COMP_CNT: 0
	.section	.text._ZN7rocprim17ROCPRIM_400000_NS6detail17trampoline_kernelINS0_13select_configILj256ELj13ELNS0_17block_load_methodE3ELS4_3ELS4_3ELNS0_20block_scan_algorithmE0ELj4294967295EEENS1_25partition_config_selectorILNS1_17partition_subalgoE3EjNS0_10empty_typeEbEEZZNS1_14partition_implILS8_3ELb0ES6_jNS0_17counting_iteratorIjlEEPS9_SE_NS0_5tupleIJPjSE_EEENSF_IJSE_SE_EEES9_SG_JZNS1_25segmented_radix_sort_implINS0_14default_configELb1EPKdPdPKlPlN2at6native12_GLOBAL__N_18offset_tEEE10hipError_tPvRmT1_PNSt15iterator_traitsISY_E10value_typeET2_T3_PNSZ_IS14_E10value_typeET4_jRbjT5_S1A_jjP12ihipStream_tbEUljE_EEESV_SW_SX_S14_S18_S1A_T6_T7_T9_mT8_S1C_bDpT10_ENKUlT_T0_E_clISt17integral_constantIbLb1EES1P_EEDaS1K_S1L_EUlS1K_E_NS1_11comp_targetILNS1_3genE4ELNS1_11target_archE910ELNS1_3gpuE8ELNS1_3repE0EEENS1_30default_config_static_selectorELNS0_4arch9wavefront6targetE0EEEvSY_,"axG",@progbits,_ZN7rocprim17ROCPRIM_400000_NS6detail17trampoline_kernelINS0_13select_configILj256ELj13ELNS0_17block_load_methodE3ELS4_3ELS4_3ELNS0_20block_scan_algorithmE0ELj4294967295EEENS1_25partition_config_selectorILNS1_17partition_subalgoE3EjNS0_10empty_typeEbEEZZNS1_14partition_implILS8_3ELb0ES6_jNS0_17counting_iteratorIjlEEPS9_SE_NS0_5tupleIJPjSE_EEENSF_IJSE_SE_EEES9_SG_JZNS1_25segmented_radix_sort_implINS0_14default_configELb1EPKdPdPKlPlN2at6native12_GLOBAL__N_18offset_tEEE10hipError_tPvRmT1_PNSt15iterator_traitsISY_E10value_typeET2_T3_PNSZ_IS14_E10value_typeET4_jRbjT5_S1A_jjP12ihipStream_tbEUljE_EEESV_SW_SX_S14_S18_S1A_T6_T7_T9_mT8_S1C_bDpT10_ENKUlT_T0_E_clISt17integral_constantIbLb1EES1P_EEDaS1K_S1L_EUlS1K_E_NS1_11comp_targetILNS1_3genE4ELNS1_11target_archE910ELNS1_3gpuE8ELNS1_3repE0EEENS1_30default_config_static_selectorELNS0_4arch9wavefront6targetE0EEEvSY_,comdat
	.globl	_ZN7rocprim17ROCPRIM_400000_NS6detail17trampoline_kernelINS0_13select_configILj256ELj13ELNS0_17block_load_methodE3ELS4_3ELS4_3ELNS0_20block_scan_algorithmE0ELj4294967295EEENS1_25partition_config_selectorILNS1_17partition_subalgoE3EjNS0_10empty_typeEbEEZZNS1_14partition_implILS8_3ELb0ES6_jNS0_17counting_iteratorIjlEEPS9_SE_NS0_5tupleIJPjSE_EEENSF_IJSE_SE_EEES9_SG_JZNS1_25segmented_radix_sort_implINS0_14default_configELb1EPKdPdPKlPlN2at6native12_GLOBAL__N_18offset_tEEE10hipError_tPvRmT1_PNSt15iterator_traitsISY_E10value_typeET2_T3_PNSZ_IS14_E10value_typeET4_jRbjT5_S1A_jjP12ihipStream_tbEUljE_EEESV_SW_SX_S14_S18_S1A_T6_T7_T9_mT8_S1C_bDpT10_ENKUlT_T0_E_clISt17integral_constantIbLb1EES1P_EEDaS1K_S1L_EUlS1K_E_NS1_11comp_targetILNS1_3genE4ELNS1_11target_archE910ELNS1_3gpuE8ELNS1_3repE0EEENS1_30default_config_static_selectorELNS0_4arch9wavefront6targetE0EEEvSY_ ; -- Begin function _ZN7rocprim17ROCPRIM_400000_NS6detail17trampoline_kernelINS0_13select_configILj256ELj13ELNS0_17block_load_methodE3ELS4_3ELS4_3ELNS0_20block_scan_algorithmE0ELj4294967295EEENS1_25partition_config_selectorILNS1_17partition_subalgoE3EjNS0_10empty_typeEbEEZZNS1_14partition_implILS8_3ELb0ES6_jNS0_17counting_iteratorIjlEEPS9_SE_NS0_5tupleIJPjSE_EEENSF_IJSE_SE_EEES9_SG_JZNS1_25segmented_radix_sort_implINS0_14default_configELb1EPKdPdPKlPlN2at6native12_GLOBAL__N_18offset_tEEE10hipError_tPvRmT1_PNSt15iterator_traitsISY_E10value_typeET2_T3_PNSZ_IS14_E10value_typeET4_jRbjT5_S1A_jjP12ihipStream_tbEUljE_EEESV_SW_SX_S14_S18_S1A_T6_T7_T9_mT8_S1C_bDpT10_ENKUlT_T0_E_clISt17integral_constantIbLb1EES1P_EEDaS1K_S1L_EUlS1K_E_NS1_11comp_targetILNS1_3genE4ELNS1_11target_archE910ELNS1_3gpuE8ELNS1_3repE0EEENS1_30default_config_static_selectorELNS0_4arch9wavefront6targetE0EEEvSY_
	.p2align	8
	.type	_ZN7rocprim17ROCPRIM_400000_NS6detail17trampoline_kernelINS0_13select_configILj256ELj13ELNS0_17block_load_methodE3ELS4_3ELS4_3ELNS0_20block_scan_algorithmE0ELj4294967295EEENS1_25partition_config_selectorILNS1_17partition_subalgoE3EjNS0_10empty_typeEbEEZZNS1_14partition_implILS8_3ELb0ES6_jNS0_17counting_iteratorIjlEEPS9_SE_NS0_5tupleIJPjSE_EEENSF_IJSE_SE_EEES9_SG_JZNS1_25segmented_radix_sort_implINS0_14default_configELb1EPKdPdPKlPlN2at6native12_GLOBAL__N_18offset_tEEE10hipError_tPvRmT1_PNSt15iterator_traitsISY_E10value_typeET2_T3_PNSZ_IS14_E10value_typeET4_jRbjT5_S1A_jjP12ihipStream_tbEUljE_EEESV_SW_SX_S14_S18_S1A_T6_T7_T9_mT8_S1C_bDpT10_ENKUlT_T0_E_clISt17integral_constantIbLb1EES1P_EEDaS1K_S1L_EUlS1K_E_NS1_11comp_targetILNS1_3genE4ELNS1_11target_archE910ELNS1_3gpuE8ELNS1_3repE0EEENS1_30default_config_static_selectorELNS0_4arch9wavefront6targetE0EEEvSY_,@function
_ZN7rocprim17ROCPRIM_400000_NS6detail17trampoline_kernelINS0_13select_configILj256ELj13ELNS0_17block_load_methodE3ELS4_3ELS4_3ELNS0_20block_scan_algorithmE0ELj4294967295EEENS1_25partition_config_selectorILNS1_17partition_subalgoE3EjNS0_10empty_typeEbEEZZNS1_14partition_implILS8_3ELb0ES6_jNS0_17counting_iteratorIjlEEPS9_SE_NS0_5tupleIJPjSE_EEENSF_IJSE_SE_EEES9_SG_JZNS1_25segmented_radix_sort_implINS0_14default_configELb1EPKdPdPKlPlN2at6native12_GLOBAL__N_18offset_tEEE10hipError_tPvRmT1_PNSt15iterator_traitsISY_E10value_typeET2_T3_PNSZ_IS14_E10value_typeET4_jRbjT5_S1A_jjP12ihipStream_tbEUljE_EEESV_SW_SX_S14_S18_S1A_T6_T7_T9_mT8_S1C_bDpT10_ENKUlT_T0_E_clISt17integral_constantIbLb1EES1P_EEDaS1K_S1L_EUlS1K_E_NS1_11comp_targetILNS1_3genE4ELNS1_11target_archE910ELNS1_3gpuE8ELNS1_3repE0EEENS1_30default_config_static_selectorELNS0_4arch9wavefront6targetE0EEEvSY_: ; @_ZN7rocprim17ROCPRIM_400000_NS6detail17trampoline_kernelINS0_13select_configILj256ELj13ELNS0_17block_load_methodE3ELS4_3ELS4_3ELNS0_20block_scan_algorithmE0ELj4294967295EEENS1_25partition_config_selectorILNS1_17partition_subalgoE3EjNS0_10empty_typeEbEEZZNS1_14partition_implILS8_3ELb0ES6_jNS0_17counting_iteratorIjlEEPS9_SE_NS0_5tupleIJPjSE_EEENSF_IJSE_SE_EEES9_SG_JZNS1_25segmented_radix_sort_implINS0_14default_configELb1EPKdPdPKlPlN2at6native12_GLOBAL__N_18offset_tEEE10hipError_tPvRmT1_PNSt15iterator_traitsISY_E10value_typeET2_T3_PNSZ_IS14_E10value_typeET4_jRbjT5_S1A_jjP12ihipStream_tbEUljE_EEESV_SW_SX_S14_S18_S1A_T6_T7_T9_mT8_S1C_bDpT10_ENKUlT_T0_E_clISt17integral_constantIbLb1EES1P_EEDaS1K_S1L_EUlS1K_E_NS1_11comp_targetILNS1_3genE4ELNS1_11target_archE910ELNS1_3gpuE8ELNS1_3repE0EEENS1_30default_config_static_selectorELNS0_4arch9wavefront6targetE0EEEvSY_
; %bb.0:
	.section	.rodata,"a",@progbits
	.p2align	6, 0x0
	.amdhsa_kernel _ZN7rocprim17ROCPRIM_400000_NS6detail17trampoline_kernelINS0_13select_configILj256ELj13ELNS0_17block_load_methodE3ELS4_3ELS4_3ELNS0_20block_scan_algorithmE0ELj4294967295EEENS1_25partition_config_selectorILNS1_17partition_subalgoE3EjNS0_10empty_typeEbEEZZNS1_14partition_implILS8_3ELb0ES6_jNS0_17counting_iteratorIjlEEPS9_SE_NS0_5tupleIJPjSE_EEENSF_IJSE_SE_EEES9_SG_JZNS1_25segmented_radix_sort_implINS0_14default_configELb1EPKdPdPKlPlN2at6native12_GLOBAL__N_18offset_tEEE10hipError_tPvRmT1_PNSt15iterator_traitsISY_E10value_typeET2_T3_PNSZ_IS14_E10value_typeET4_jRbjT5_S1A_jjP12ihipStream_tbEUljE_EEESV_SW_SX_S14_S18_S1A_T6_T7_T9_mT8_S1C_bDpT10_ENKUlT_T0_E_clISt17integral_constantIbLb1EES1P_EEDaS1K_S1L_EUlS1K_E_NS1_11comp_targetILNS1_3genE4ELNS1_11target_archE910ELNS1_3gpuE8ELNS1_3repE0EEENS1_30default_config_static_selectorELNS0_4arch9wavefront6targetE0EEEvSY_
		.amdhsa_group_segment_fixed_size 0
		.amdhsa_private_segment_fixed_size 0
		.amdhsa_kernarg_size 152
		.amdhsa_user_sgpr_count 2
		.amdhsa_user_sgpr_dispatch_ptr 0
		.amdhsa_user_sgpr_queue_ptr 0
		.amdhsa_user_sgpr_kernarg_segment_ptr 1
		.amdhsa_user_sgpr_dispatch_id 0
		.amdhsa_user_sgpr_kernarg_preload_length 0
		.amdhsa_user_sgpr_kernarg_preload_offset 0
		.amdhsa_user_sgpr_private_segment_size 0
		.amdhsa_wavefront_size32 1
		.amdhsa_uses_dynamic_stack 0
		.amdhsa_enable_private_segment 0
		.amdhsa_system_sgpr_workgroup_id_x 1
		.amdhsa_system_sgpr_workgroup_id_y 0
		.amdhsa_system_sgpr_workgroup_id_z 0
		.amdhsa_system_sgpr_workgroup_info 0
		.amdhsa_system_vgpr_workitem_id 0
		.amdhsa_next_free_vgpr 1
		.amdhsa_next_free_sgpr 1
		.amdhsa_named_barrier_count 0
		.amdhsa_reserve_vcc 0
		.amdhsa_float_round_mode_32 0
		.amdhsa_float_round_mode_16_64 0
		.amdhsa_float_denorm_mode_32 3
		.amdhsa_float_denorm_mode_16_64 3
		.amdhsa_fp16_overflow 0
		.amdhsa_memory_ordered 1
		.amdhsa_forward_progress 1
		.amdhsa_inst_pref_size 0
		.amdhsa_round_robin_scheduling 0
		.amdhsa_exception_fp_ieee_invalid_op 0
		.amdhsa_exception_fp_denorm_src 0
		.amdhsa_exception_fp_ieee_div_zero 0
		.amdhsa_exception_fp_ieee_overflow 0
		.amdhsa_exception_fp_ieee_underflow 0
		.amdhsa_exception_fp_ieee_inexact 0
		.amdhsa_exception_int_div_zero 0
	.end_amdhsa_kernel
	.section	.text._ZN7rocprim17ROCPRIM_400000_NS6detail17trampoline_kernelINS0_13select_configILj256ELj13ELNS0_17block_load_methodE3ELS4_3ELS4_3ELNS0_20block_scan_algorithmE0ELj4294967295EEENS1_25partition_config_selectorILNS1_17partition_subalgoE3EjNS0_10empty_typeEbEEZZNS1_14partition_implILS8_3ELb0ES6_jNS0_17counting_iteratorIjlEEPS9_SE_NS0_5tupleIJPjSE_EEENSF_IJSE_SE_EEES9_SG_JZNS1_25segmented_radix_sort_implINS0_14default_configELb1EPKdPdPKlPlN2at6native12_GLOBAL__N_18offset_tEEE10hipError_tPvRmT1_PNSt15iterator_traitsISY_E10value_typeET2_T3_PNSZ_IS14_E10value_typeET4_jRbjT5_S1A_jjP12ihipStream_tbEUljE_EEESV_SW_SX_S14_S18_S1A_T6_T7_T9_mT8_S1C_bDpT10_ENKUlT_T0_E_clISt17integral_constantIbLb1EES1P_EEDaS1K_S1L_EUlS1K_E_NS1_11comp_targetILNS1_3genE4ELNS1_11target_archE910ELNS1_3gpuE8ELNS1_3repE0EEENS1_30default_config_static_selectorELNS0_4arch9wavefront6targetE0EEEvSY_,"axG",@progbits,_ZN7rocprim17ROCPRIM_400000_NS6detail17trampoline_kernelINS0_13select_configILj256ELj13ELNS0_17block_load_methodE3ELS4_3ELS4_3ELNS0_20block_scan_algorithmE0ELj4294967295EEENS1_25partition_config_selectorILNS1_17partition_subalgoE3EjNS0_10empty_typeEbEEZZNS1_14partition_implILS8_3ELb0ES6_jNS0_17counting_iteratorIjlEEPS9_SE_NS0_5tupleIJPjSE_EEENSF_IJSE_SE_EEES9_SG_JZNS1_25segmented_radix_sort_implINS0_14default_configELb1EPKdPdPKlPlN2at6native12_GLOBAL__N_18offset_tEEE10hipError_tPvRmT1_PNSt15iterator_traitsISY_E10value_typeET2_T3_PNSZ_IS14_E10value_typeET4_jRbjT5_S1A_jjP12ihipStream_tbEUljE_EEESV_SW_SX_S14_S18_S1A_T6_T7_T9_mT8_S1C_bDpT10_ENKUlT_T0_E_clISt17integral_constantIbLb1EES1P_EEDaS1K_S1L_EUlS1K_E_NS1_11comp_targetILNS1_3genE4ELNS1_11target_archE910ELNS1_3gpuE8ELNS1_3repE0EEENS1_30default_config_static_selectorELNS0_4arch9wavefront6targetE0EEEvSY_,comdat
.Lfunc_end1090:
	.size	_ZN7rocprim17ROCPRIM_400000_NS6detail17trampoline_kernelINS0_13select_configILj256ELj13ELNS0_17block_load_methodE3ELS4_3ELS4_3ELNS0_20block_scan_algorithmE0ELj4294967295EEENS1_25partition_config_selectorILNS1_17partition_subalgoE3EjNS0_10empty_typeEbEEZZNS1_14partition_implILS8_3ELb0ES6_jNS0_17counting_iteratorIjlEEPS9_SE_NS0_5tupleIJPjSE_EEENSF_IJSE_SE_EEES9_SG_JZNS1_25segmented_radix_sort_implINS0_14default_configELb1EPKdPdPKlPlN2at6native12_GLOBAL__N_18offset_tEEE10hipError_tPvRmT1_PNSt15iterator_traitsISY_E10value_typeET2_T3_PNSZ_IS14_E10value_typeET4_jRbjT5_S1A_jjP12ihipStream_tbEUljE_EEESV_SW_SX_S14_S18_S1A_T6_T7_T9_mT8_S1C_bDpT10_ENKUlT_T0_E_clISt17integral_constantIbLb1EES1P_EEDaS1K_S1L_EUlS1K_E_NS1_11comp_targetILNS1_3genE4ELNS1_11target_archE910ELNS1_3gpuE8ELNS1_3repE0EEENS1_30default_config_static_selectorELNS0_4arch9wavefront6targetE0EEEvSY_, .Lfunc_end1090-_ZN7rocprim17ROCPRIM_400000_NS6detail17trampoline_kernelINS0_13select_configILj256ELj13ELNS0_17block_load_methodE3ELS4_3ELS4_3ELNS0_20block_scan_algorithmE0ELj4294967295EEENS1_25partition_config_selectorILNS1_17partition_subalgoE3EjNS0_10empty_typeEbEEZZNS1_14partition_implILS8_3ELb0ES6_jNS0_17counting_iteratorIjlEEPS9_SE_NS0_5tupleIJPjSE_EEENSF_IJSE_SE_EEES9_SG_JZNS1_25segmented_radix_sort_implINS0_14default_configELb1EPKdPdPKlPlN2at6native12_GLOBAL__N_18offset_tEEE10hipError_tPvRmT1_PNSt15iterator_traitsISY_E10value_typeET2_T3_PNSZ_IS14_E10value_typeET4_jRbjT5_S1A_jjP12ihipStream_tbEUljE_EEESV_SW_SX_S14_S18_S1A_T6_T7_T9_mT8_S1C_bDpT10_ENKUlT_T0_E_clISt17integral_constantIbLb1EES1P_EEDaS1K_S1L_EUlS1K_E_NS1_11comp_targetILNS1_3genE4ELNS1_11target_archE910ELNS1_3gpuE8ELNS1_3repE0EEENS1_30default_config_static_selectorELNS0_4arch9wavefront6targetE0EEEvSY_
                                        ; -- End function
	.set _ZN7rocprim17ROCPRIM_400000_NS6detail17trampoline_kernelINS0_13select_configILj256ELj13ELNS0_17block_load_methodE3ELS4_3ELS4_3ELNS0_20block_scan_algorithmE0ELj4294967295EEENS1_25partition_config_selectorILNS1_17partition_subalgoE3EjNS0_10empty_typeEbEEZZNS1_14partition_implILS8_3ELb0ES6_jNS0_17counting_iteratorIjlEEPS9_SE_NS0_5tupleIJPjSE_EEENSF_IJSE_SE_EEES9_SG_JZNS1_25segmented_radix_sort_implINS0_14default_configELb1EPKdPdPKlPlN2at6native12_GLOBAL__N_18offset_tEEE10hipError_tPvRmT1_PNSt15iterator_traitsISY_E10value_typeET2_T3_PNSZ_IS14_E10value_typeET4_jRbjT5_S1A_jjP12ihipStream_tbEUljE_EEESV_SW_SX_S14_S18_S1A_T6_T7_T9_mT8_S1C_bDpT10_ENKUlT_T0_E_clISt17integral_constantIbLb1EES1P_EEDaS1K_S1L_EUlS1K_E_NS1_11comp_targetILNS1_3genE4ELNS1_11target_archE910ELNS1_3gpuE8ELNS1_3repE0EEENS1_30default_config_static_selectorELNS0_4arch9wavefront6targetE0EEEvSY_.num_vgpr, 0
	.set _ZN7rocprim17ROCPRIM_400000_NS6detail17trampoline_kernelINS0_13select_configILj256ELj13ELNS0_17block_load_methodE3ELS4_3ELS4_3ELNS0_20block_scan_algorithmE0ELj4294967295EEENS1_25partition_config_selectorILNS1_17partition_subalgoE3EjNS0_10empty_typeEbEEZZNS1_14partition_implILS8_3ELb0ES6_jNS0_17counting_iteratorIjlEEPS9_SE_NS0_5tupleIJPjSE_EEENSF_IJSE_SE_EEES9_SG_JZNS1_25segmented_radix_sort_implINS0_14default_configELb1EPKdPdPKlPlN2at6native12_GLOBAL__N_18offset_tEEE10hipError_tPvRmT1_PNSt15iterator_traitsISY_E10value_typeET2_T3_PNSZ_IS14_E10value_typeET4_jRbjT5_S1A_jjP12ihipStream_tbEUljE_EEESV_SW_SX_S14_S18_S1A_T6_T7_T9_mT8_S1C_bDpT10_ENKUlT_T0_E_clISt17integral_constantIbLb1EES1P_EEDaS1K_S1L_EUlS1K_E_NS1_11comp_targetILNS1_3genE4ELNS1_11target_archE910ELNS1_3gpuE8ELNS1_3repE0EEENS1_30default_config_static_selectorELNS0_4arch9wavefront6targetE0EEEvSY_.num_agpr, 0
	.set _ZN7rocprim17ROCPRIM_400000_NS6detail17trampoline_kernelINS0_13select_configILj256ELj13ELNS0_17block_load_methodE3ELS4_3ELS4_3ELNS0_20block_scan_algorithmE0ELj4294967295EEENS1_25partition_config_selectorILNS1_17partition_subalgoE3EjNS0_10empty_typeEbEEZZNS1_14partition_implILS8_3ELb0ES6_jNS0_17counting_iteratorIjlEEPS9_SE_NS0_5tupleIJPjSE_EEENSF_IJSE_SE_EEES9_SG_JZNS1_25segmented_radix_sort_implINS0_14default_configELb1EPKdPdPKlPlN2at6native12_GLOBAL__N_18offset_tEEE10hipError_tPvRmT1_PNSt15iterator_traitsISY_E10value_typeET2_T3_PNSZ_IS14_E10value_typeET4_jRbjT5_S1A_jjP12ihipStream_tbEUljE_EEESV_SW_SX_S14_S18_S1A_T6_T7_T9_mT8_S1C_bDpT10_ENKUlT_T0_E_clISt17integral_constantIbLb1EES1P_EEDaS1K_S1L_EUlS1K_E_NS1_11comp_targetILNS1_3genE4ELNS1_11target_archE910ELNS1_3gpuE8ELNS1_3repE0EEENS1_30default_config_static_selectorELNS0_4arch9wavefront6targetE0EEEvSY_.numbered_sgpr, 0
	.set _ZN7rocprim17ROCPRIM_400000_NS6detail17trampoline_kernelINS0_13select_configILj256ELj13ELNS0_17block_load_methodE3ELS4_3ELS4_3ELNS0_20block_scan_algorithmE0ELj4294967295EEENS1_25partition_config_selectorILNS1_17partition_subalgoE3EjNS0_10empty_typeEbEEZZNS1_14partition_implILS8_3ELb0ES6_jNS0_17counting_iteratorIjlEEPS9_SE_NS0_5tupleIJPjSE_EEENSF_IJSE_SE_EEES9_SG_JZNS1_25segmented_radix_sort_implINS0_14default_configELb1EPKdPdPKlPlN2at6native12_GLOBAL__N_18offset_tEEE10hipError_tPvRmT1_PNSt15iterator_traitsISY_E10value_typeET2_T3_PNSZ_IS14_E10value_typeET4_jRbjT5_S1A_jjP12ihipStream_tbEUljE_EEESV_SW_SX_S14_S18_S1A_T6_T7_T9_mT8_S1C_bDpT10_ENKUlT_T0_E_clISt17integral_constantIbLb1EES1P_EEDaS1K_S1L_EUlS1K_E_NS1_11comp_targetILNS1_3genE4ELNS1_11target_archE910ELNS1_3gpuE8ELNS1_3repE0EEENS1_30default_config_static_selectorELNS0_4arch9wavefront6targetE0EEEvSY_.num_named_barrier, 0
	.set _ZN7rocprim17ROCPRIM_400000_NS6detail17trampoline_kernelINS0_13select_configILj256ELj13ELNS0_17block_load_methodE3ELS4_3ELS4_3ELNS0_20block_scan_algorithmE0ELj4294967295EEENS1_25partition_config_selectorILNS1_17partition_subalgoE3EjNS0_10empty_typeEbEEZZNS1_14partition_implILS8_3ELb0ES6_jNS0_17counting_iteratorIjlEEPS9_SE_NS0_5tupleIJPjSE_EEENSF_IJSE_SE_EEES9_SG_JZNS1_25segmented_radix_sort_implINS0_14default_configELb1EPKdPdPKlPlN2at6native12_GLOBAL__N_18offset_tEEE10hipError_tPvRmT1_PNSt15iterator_traitsISY_E10value_typeET2_T3_PNSZ_IS14_E10value_typeET4_jRbjT5_S1A_jjP12ihipStream_tbEUljE_EEESV_SW_SX_S14_S18_S1A_T6_T7_T9_mT8_S1C_bDpT10_ENKUlT_T0_E_clISt17integral_constantIbLb1EES1P_EEDaS1K_S1L_EUlS1K_E_NS1_11comp_targetILNS1_3genE4ELNS1_11target_archE910ELNS1_3gpuE8ELNS1_3repE0EEENS1_30default_config_static_selectorELNS0_4arch9wavefront6targetE0EEEvSY_.private_seg_size, 0
	.set _ZN7rocprim17ROCPRIM_400000_NS6detail17trampoline_kernelINS0_13select_configILj256ELj13ELNS0_17block_load_methodE3ELS4_3ELS4_3ELNS0_20block_scan_algorithmE0ELj4294967295EEENS1_25partition_config_selectorILNS1_17partition_subalgoE3EjNS0_10empty_typeEbEEZZNS1_14partition_implILS8_3ELb0ES6_jNS0_17counting_iteratorIjlEEPS9_SE_NS0_5tupleIJPjSE_EEENSF_IJSE_SE_EEES9_SG_JZNS1_25segmented_radix_sort_implINS0_14default_configELb1EPKdPdPKlPlN2at6native12_GLOBAL__N_18offset_tEEE10hipError_tPvRmT1_PNSt15iterator_traitsISY_E10value_typeET2_T3_PNSZ_IS14_E10value_typeET4_jRbjT5_S1A_jjP12ihipStream_tbEUljE_EEESV_SW_SX_S14_S18_S1A_T6_T7_T9_mT8_S1C_bDpT10_ENKUlT_T0_E_clISt17integral_constantIbLb1EES1P_EEDaS1K_S1L_EUlS1K_E_NS1_11comp_targetILNS1_3genE4ELNS1_11target_archE910ELNS1_3gpuE8ELNS1_3repE0EEENS1_30default_config_static_selectorELNS0_4arch9wavefront6targetE0EEEvSY_.uses_vcc, 0
	.set _ZN7rocprim17ROCPRIM_400000_NS6detail17trampoline_kernelINS0_13select_configILj256ELj13ELNS0_17block_load_methodE3ELS4_3ELS4_3ELNS0_20block_scan_algorithmE0ELj4294967295EEENS1_25partition_config_selectorILNS1_17partition_subalgoE3EjNS0_10empty_typeEbEEZZNS1_14partition_implILS8_3ELb0ES6_jNS0_17counting_iteratorIjlEEPS9_SE_NS0_5tupleIJPjSE_EEENSF_IJSE_SE_EEES9_SG_JZNS1_25segmented_radix_sort_implINS0_14default_configELb1EPKdPdPKlPlN2at6native12_GLOBAL__N_18offset_tEEE10hipError_tPvRmT1_PNSt15iterator_traitsISY_E10value_typeET2_T3_PNSZ_IS14_E10value_typeET4_jRbjT5_S1A_jjP12ihipStream_tbEUljE_EEESV_SW_SX_S14_S18_S1A_T6_T7_T9_mT8_S1C_bDpT10_ENKUlT_T0_E_clISt17integral_constantIbLb1EES1P_EEDaS1K_S1L_EUlS1K_E_NS1_11comp_targetILNS1_3genE4ELNS1_11target_archE910ELNS1_3gpuE8ELNS1_3repE0EEENS1_30default_config_static_selectorELNS0_4arch9wavefront6targetE0EEEvSY_.uses_flat_scratch, 0
	.set _ZN7rocprim17ROCPRIM_400000_NS6detail17trampoline_kernelINS0_13select_configILj256ELj13ELNS0_17block_load_methodE3ELS4_3ELS4_3ELNS0_20block_scan_algorithmE0ELj4294967295EEENS1_25partition_config_selectorILNS1_17partition_subalgoE3EjNS0_10empty_typeEbEEZZNS1_14partition_implILS8_3ELb0ES6_jNS0_17counting_iteratorIjlEEPS9_SE_NS0_5tupleIJPjSE_EEENSF_IJSE_SE_EEES9_SG_JZNS1_25segmented_radix_sort_implINS0_14default_configELb1EPKdPdPKlPlN2at6native12_GLOBAL__N_18offset_tEEE10hipError_tPvRmT1_PNSt15iterator_traitsISY_E10value_typeET2_T3_PNSZ_IS14_E10value_typeET4_jRbjT5_S1A_jjP12ihipStream_tbEUljE_EEESV_SW_SX_S14_S18_S1A_T6_T7_T9_mT8_S1C_bDpT10_ENKUlT_T0_E_clISt17integral_constantIbLb1EES1P_EEDaS1K_S1L_EUlS1K_E_NS1_11comp_targetILNS1_3genE4ELNS1_11target_archE910ELNS1_3gpuE8ELNS1_3repE0EEENS1_30default_config_static_selectorELNS0_4arch9wavefront6targetE0EEEvSY_.has_dyn_sized_stack, 0
	.set _ZN7rocprim17ROCPRIM_400000_NS6detail17trampoline_kernelINS0_13select_configILj256ELj13ELNS0_17block_load_methodE3ELS4_3ELS4_3ELNS0_20block_scan_algorithmE0ELj4294967295EEENS1_25partition_config_selectorILNS1_17partition_subalgoE3EjNS0_10empty_typeEbEEZZNS1_14partition_implILS8_3ELb0ES6_jNS0_17counting_iteratorIjlEEPS9_SE_NS0_5tupleIJPjSE_EEENSF_IJSE_SE_EEES9_SG_JZNS1_25segmented_radix_sort_implINS0_14default_configELb1EPKdPdPKlPlN2at6native12_GLOBAL__N_18offset_tEEE10hipError_tPvRmT1_PNSt15iterator_traitsISY_E10value_typeET2_T3_PNSZ_IS14_E10value_typeET4_jRbjT5_S1A_jjP12ihipStream_tbEUljE_EEESV_SW_SX_S14_S18_S1A_T6_T7_T9_mT8_S1C_bDpT10_ENKUlT_T0_E_clISt17integral_constantIbLb1EES1P_EEDaS1K_S1L_EUlS1K_E_NS1_11comp_targetILNS1_3genE4ELNS1_11target_archE910ELNS1_3gpuE8ELNS1_3repE0EEENS1_30default_config_static_selectorELNS0_4arch9wavefront6targetE0EEEvSY_.has_recursion, 0
	.set _ZN7rocprim17ROCPRIM_400000_NS6detail17trampoline_kernelINS0_13select_configILj256ELj13ELNS0_17block_load_methodE3ELS4_3ELS4_3ELNS0_20block_scan_algorithmE0ELj4294967295EEENS1_25partition_config_selectorILNS1_17partition_subalgoE3EjNS0_10empty_typeEbEEZZNS1_14partition_implILS8_3ELb0ES6_jNS0_17counting_iteratorIjlEEPS9_SE_NS0_5tupleIJPjSE_EEENSF_IJSE_SE_EEES9_SG_JZNS1_25segmented_radix_sort_implINS0_14default_configELb1EPKdPdPKlPlN2at6native12_GLOBAL__N_18offset_tEEE10hipError_tPvRmT1_PNSt15iterator_traitsISY_E10value_typeET2_T3_PNSZ_IS14_E10value_typeET4_jRbjT5_S1A_jjP12ihipStream_tbEUljE_EEESV_SW_SX_S14_S18_S1A_T6_T7_T9_mT8_S1C_bDpT10_ENKUlT_T0_E_clISt17integral_constantIbLb1EES1P_EEDaS1K_S1L_EUlS1K_E_NS1_11comp_targetILNS1_3genE4ELNS1_11target_archE910ELNS1_3gpuE8ELNS1_3repE0EEENS1_30default_config_static_selectorELNS0_4arch9wavefront6targetE0EEEvSY_.has_indirect_call, 0
	.section	.AMDGPU.csdata,"",@progbits
; Kernel info:
; codeLenInByte = 0
; TotalNumSgprs: 0
; NumVgprs: 0
; ScratchSize: 0
; MemoryBound: 0
; FloatMode: 240
; IeeeMode: 1
; LDSByteSize: 0 bytes/workgroup (compile time only)
; SGPRBlocks: 0
; VGPRBlocks: 0
; NumSGPRsForWavesPerEU: 1
; NumVGPRsForWavesPerEU: 1
; NamedBarCnt: 0
; Occupancy: 16
; WaveLimiterHint : 0
; COMPUTE_PGM_RSRC2:SCRATCH_EN: 0
; COMPUTE_PGM_RSRC2:USER_SGPR: 2
; COMPUTE_PGM_RSRC2:TRAP_HANDLER: 0
; COMPUTE_PGM_RSRC2:TGID_X_EN: 1
; COMPUTE_PGM_RSRC2:TGID_Y_EN: 0
; COMPUTE_PGM_RSRC2:TGID_Z_EN: 0
; COMPUTE_PGM_RSRC2:TIDIG_COMP_CNT: 0
	.section	.text._ZN7rocprim17ROCPRIM_400000_NS6detail17trampoline_kernelINS0_13select_configILj256ELj13ELNS0_17block_load_methodE3ELS4_3ELS4_3ELNS0_20block_scan_algorithmE0ELj4294967295EEENS1_25partition_config_selectorILNS1_17partition_subalgoE3EjNS0_10empty_typeEbEEZZNS1_14partition_implILS8_3ELb0ES6_jNS0_17counting_iteratorIjlEEPS9_SE_NS0_5tupleIJPjSE_EEENSF_IJSE_SE_EEES9_SG_JZNS1_25segmented_radix_sort_implINS0_14default_configELb1EPKdPdPKlPlN2at6native12_GLOBAL__N_18offset_tEEE10hipError_tPvRmT1_PNSt15iterator_traitsISY_E10value_typeET2_T3_PNSZ_IS14_E10value_typeET4_jRbjT5_S1A_jjP12ihipStream_tbEUljE_EEESV_SW_SX_S14_S18_S1A_T6_T7_T9_mT8_S1C_bDpT10_ENKUlT_T0_E_clISt17integral_constantIbLb1EES1P_EEDaS1K_S1L_EUlS1K_E_NS1_11comp_targetILNS1_3genE3ELNS1_11target_archE908ELNS1_3gpuE7ELNS1_3repE0EEENS1_30default_config_static_selectorELNS0_4arch9wavefront6targetE0EEEvSY_,"axG",@progbits,_ZN7rocprim17ROCPRIM_400000_NS6detail17trampoline_kernelINS0_13select_configILj256ELj13ELNS0_17block_load_methodE3ELS4_3ELS4_3ELNS0_20block_scan_algorithmE0ELj4294967295EEENS1_25partition_config_selectorILNS1_17partition_subalgoE3EjNS0_10empty_typeEbEEZZNS1_14partition_implILS8_3ELb0ES6_jNS0_17counting_iteratorIjlEEPS9_SE_NS0_5tupleIJPjSE_EEENSF_IJSE_SE_EEES9_SG_JZNS1_25segmented_radix_sort_implINS0_14default_configELb1EPKdPdPKlPlN2at6native12_GLOBAL__N_18offset_tEEE10hipError_tPvRmT1_PNSt15iterator_traitsISY_E10value_typeET2_T3_PNSZ_IS14_E10value_typeET4_jRbjT5_S1A_jjP12ihipStream_tbEUljE_EEESV_SW_SX_S14_S18_S1A_T6_T7_T9_mT8_S1C_bDpT10_ENKUlT_T0_E_clISt17integral_constantIbLb1EES1P_EEDaS1K_S1L_EUlS1K_E_NS1_11comp_targetILNS1_3genE3ELNS1_11target_archE908ELNS1_3gpuE7ELNS1_3repE0EEENS1_30default_config_static_selectorELNS0_4arch9wavefront6targetE0EEEvSY_,comdat
	.globl	_ZN7rocprim17ROCPRIM_400000_NS6detail17trampoline_kernelINS0_13select_configILj256ELj13ELNS0_17block_load_methodE3ELS4_3ELS4_3ELNS0_20block_scan_algorithmE0ELj4294967295EEENS1_25partition_config_selectorILNS1_17partition_subalgoE3EjNS0_10empty_typeEbEEZZNS1_14partition_implILS8_3ELb0ES6_jNS0_17counting_iteratorIjlEEPS9_SE_NS0_5tupleIJPjSE_EEENSF_IJSE_SE_EEES9_SG_JZNS1_25segmented_radix_sort_implINS0_14default_configELb1EPKdPdPKlPlN2at6native12_GLOBAL__N_18offset_tEEE10hipError_tPvRmT1_PNSt15iterator_traitsISY_E10value_typeET2_T3_PNSZ_IS14_E10value_typeET4_jRbjT5_S1A_jjP12ihipStream_tbEUljE_EEESV_SW_SX_S14_S18_S1A_T6_T7_T9_mT8_S1C_bDpT10_ENKUlT_T0_E_clISt17integral_constantIbLb1EES1P_EEDaS1K_S1L_EUlS1K_E_NS1_11comp_targetILNS1_3genE3ELNS1_11target_archE908ELNS1_3gpuE7ELNS1_3repE0EEENS1_30default_config_static_selectorELNS0_4arch9wavefront6targetE0EEEvSY_ ; -- Begin function _ZN7rocprim17ROCPRIM_400000_NS6detail17trampoline_kernelINS0_13select_configILj256ELj13ELNS0_17block_load_methodE3ELS4_3ELS4_3ELNS0_20block_scan_algorithmE0ELj4294967295EEENS1_25partition_config_selectorILNS1_17partition_subalgoE3EjNS0_10empty_typeEbEEZZNS1_14partition_implILS8_3ELb0ES6_jNS0_17counting_iteratorIjlEEPS9_SE_NS0_5tupleIJPjSE_EEENSF_IJSE_SE_EEES9_SG_JZNS1_25segmented_radix_sort_implINS0_14default_configELb1EPKdPdPKlPlN2at6native12_GLOBAL__N_18offset_tEEE10hipError_tPvRmT1_PNSt15iterator_traitsISY_E10value_typeET2_T3_PNSZ_IS14_E10value_typeET4_jRbjT5_S1A_jjP12ihipStream_tbEUljE_EEESV_SW_SX_S14_S18_S1A_T6_T7_T9_mT8_S1C_bDpT10_ENKUlT_T0_E_clISt17integral_constantIbLb1EES1P_EEDaS1K_S1L_EUlS1K_E_NS1_11comp_targetILNS1_3genE3ELNS1_11target_archE908ELNS1_3gpuE7ELNS1_3repE0EEENS1_30default_config_static_selectorELNS0_4arch9wavefront6targetE0EEEvSY_
	.p2align	8
	.type	_ZN7rocprim17ROCPRIM_400000_NS6detail17trampoline_kernelINS0_13select_configILj256ELj13ELNS0_17block_load_methodE3ELS4_3ELS4_3ELNS0_20block_scan_algorithmE0ELj4294967295EEENS1_25partition_config_selectorILNS1_17partition_subalgoE3EjNS0_10empty_typeEbEEZZNS1_14partition_implILS8_3ELb0ES6_jNS0_17counting_iteratorIjlEEPS9_SE_NS0_5tupleIJPjSE_EEENSF_IJSE_SE_EEES9_SG_JZNS1_25segmented_radix_sort_implINS0_14default_configELb1EPKdPdPKlPlN2at6native12_GLOBAL__N_18offset_tEEE10hipError_tPvRmT1_PNSt15iterator_traitsISY_E10value_typeET2_T3_PNSZ_IS14_E10value_typeET4_jRbjT5_S1A_jjP12ihipStream_tbEUljE_EEESV_SW_SX_S14_S18_S1A_T6_T7_T9_mT8_S1C_bDpT10_ENKUlT_T0_E_clISt17integral_constantIbLb1EES1P_EEDaS1K_S1L_EUlS1K_E_NS1_11comp_targetILNS1_3genE3ELNS1_11target_archE908ELNS1_3gpuE7ELNS1_3repE0EEENS1_30default_config_static_selectorELNS0_4arch9wavefront6targetE0EEEvSY_,@function
_ZN7rocprim17ROCPRIM_400000_NS6detail17trampoline_kernelINS0_13select_configILj256ELj13ELNS0_17block_load_methodE3ELS4_3ELS4_3ELNS0_20block_scan_algorithmE0ELj4294967295EEENS1_25partition_config_selectorILNS1_17partition_subalgoE3EjNS0_10empty_typeEbEEZZNS1_14partition_implILS8_3ELb0ES6_jNS0_17counting_iteratorIjlEEPS9_SE_NS0_5tupleIJPjSE_EEENSF_IJSE_SE_EEES9_SG_JZNS1_25segmented_radix_sort_implINS0_14default_configELb1EPKdPdPKlPlN2at6native12_GLOBAL__N_18offset_tEEE10hipError_tPvRmT1_PNSt15iterator_traitsISY_E10value_typeET2_T3_PNSZ_IS14_E10value_typeET4_jRbjT5_S1A_jjP12ihipStream_tbEUljE_EEESV_SW_SX_S14_S18_S1A_T6_T7_T9_mT8_S1C_bDpT10_ENKUlT_T0_E_clISt17integral_constantIbLb1EES1P_EEDaS1K_S1L_EUlS1K_E_NS1_11comp_targetILNS1_3genE3ELNS1_11target_archE908ELNS1_3gpuE7ELNS1_3repE0EEENS1_30default_config_static_selectorELNS0_4arch9wavefront6targetE0EEEvSY_: ; @_ZN7rocprim17ROCPRIM_400000_NS6detail17trampoline_kernelINS0_13select_configILj256ELj13ELNS0_17block_load_methodE3ELS4_3ELS4_3ELNS0_20block_scan_algorithmE0ELj4294967295EEENS1_25partition_config_selectorILNS1_17partition_subalgoE3EjNS0_10empty_typeEbEEZZNS1_14partition_implILS8_3ELb0ES6_jNS0_17counting_iteratorIjlEEPS9_SE_NS0_5tupleIJPjSE_EEENSF_IJSE_SE_EEES9_SG_JZNS1_25segmented_radix_sort_implINS0_14default_configELb1EPKdPdPKlPlN2at6native12_GLOBAL__N_18offset_tEEE10hipError_tPvRmT1_PNSt15iterator_traitsISY_E10value_typeET2_T3_PNSZ_IS14_E10value_typeET4_jRbjT5_S1A_jjP12ihipStream_tbEUljE_EEESV_SW_SX_S14_S18_S1A_T6_T7_T9_mT8_S1C_bDpT10_ENKUlT_T0_E_clISt17integral_constantIbLb1EES1P_EEDaS1K_S1L_EUlS1K_E_NS1_11comp_targetILNS1_3genE3ELNS1_11target_archE908ELNS1_3gpuE7ELNS1_3repE0EEENS1_30default_config_static_selectorELNS0_4arch9wavefront6targetE0EEEvSY_
; %bb.0:
	.section	.rodata,"a",@progbits
	.p2align	6, 0x0
	.amdhsa_kernel _ZN7rocprim17ROCPRIM_400000_NS6detail17trampoline_kernelINS0_13select_configILj256ELj13ELNS0_17block_load_methodE3ELS4_3ELS4_3ELNS0_20block_scan_algorithmE0ELj4294967295EEENS1_25partition_config_selectorILNS1_17partition_subalgoE3EjNS0_10empty_typeEbEEZZNS1_14partition_implILS8_3ELb0ES6_jNS0_17counting_iteratorIjlEEPS9_SE_NS0_5tupleIJPjSE_EEENSF_IJSE_SE_EEES9_SG_JZNS1_25segmented_radix_sort_implINS0_14default_configELb1EPKdPdPKlPlN2at6native12_GLOBAL__N_18offset_tEEE10hipError_tPvRmT1_PNSt15iterator_traitsISY_E10value_typeET2_T3_PNSZ_IS14_E10value_typeET4_jRbjT5_S1A_jjP12ihipStream_tbEUljE_EEESV_SW_SX_S14_S18_S1A_T6_T7_T9_mT8_S1C_bDpT10_ENKUlT_T0_E_clISt17integral_constantIbLb1EES1P_EEDaS1K_S1L_EUlS1K_E_NS1_11comp_targetILNS1_3genE3ELNS1_11target_archE908ELNS1_3gpuE7ELNS1_3repE0EEENS1_30default_config_static_selectorELNS0_4arch9wavefront6targetE0EEEvSY_
		.amdhsa_group_segment_fixed_size 0
		.amdhsa_private_segment_fixed_size 0
		.amdhsa_kernarg_size 152
		.amdhsa_user_sgpr_count 2
		.amdhsa_user_sgpr_dispatch_ptr 0
		.amdhsa_user_sgpr_queue_ptr 0
		.amdhsa_user_sgpr_kernarg_segment_ptr 1
		.amdhsa_user_sgpr_dispatch_id 0
		.amdhsa_user_sgpr_kernarg_preload_length 0
		.amdhsa_user_sgpr_kernarg_preload_offset 0
		.amdhsa_user_sgpr_private_segment_size 0
		.amdhsa_wavefront_size32 1
		.amdhsa_uses_dynamic_stack 0
		.amdhsa_enable_private_segment 0
		.amdhsa_system_sgpr_workgroup_id_x 1
		.amdhsa_system_sgpr_workgroup_id_y 0
		.amdhsa_system_sgpr_workgroup_id_z 0
		.amdhsa_system_sgpr_workgroup_info 0
		.amdhsa_system_vgpr_workitem_id 0
		.amdhsa_next_free_vgpr 1
		.amdhsa_next_free_sgpr 1
		.amdhsa_named_barrier_count 0
		.amdhsa_reserve_vcc 0
		.amdhsa_float_round_mode_32 0
		.amdhsa_float_round_mode_16_64 0
		.amdhsa_float_denorm_mode_32 3
		.amdhsa_float_denorm_mode_16_64 3
		.amdhsa_fp16_overflow 0
		.amdhsa_memory_ordered 1
		.amdhsa_forward_progress 1
		.amdhsa_inst_pref_size 0
		.amdhsa_round_robin_scheduling 0
		.amdhsa_exception_fp_ieee_invalid_op 0
		.amdhsa_exception_fp_denorm_src 0
		.amdhsa_exception_fp_ieee_div_zero 0
		.amdhsa_exception_fp_ieee_overflow 0
		.amdhsa_exception_fp_ieee_underflow 0
		.amdhsa_exception_fp_ieee_inexact 0
		.amdhsa_exception_int_div_zero 0
	.end_amdhsa_kernel
	.section	.text._ZN7rocprim17ROCPRIM_400000_NS6detail17trampoline_kernelINS0_13select_configILj256ELj13ELNS0_17block_load_methodE3ELS4_3ELS4_3ELNS0_20block_scan_algorithmE0ELj4294967295EEENS1_25partition_config_selectorILNS1_17partition_subalgoE3EjNS0_10empty_typeEbEEZZNS1_14partition_implILS8_3ELb0ES6_jNS0_17counting_iteratorIjlEEPS9_SE_NS0_5tupleIJPjSE_EEENSF_IJSE_SE_EEES9_SG_JZNS1_25segmented_radix_sort_implINS0_14default_configELb1EPKdPdPKlPlN2at6native12_GLOBAL__N_18offset_tEEE10hipError_tPvRmT1_PNSt15iterator_traitsISY_E10value_typeET2_T3_PNSZ_IS14_E10value_typeET4_jRbjT5_S1A_jjP12ihipStream_tbEUljE_EEESV_SW_SX_S14_S18_S1A_T6_T7_T9_mT8_S1C_bDpT10_ENKUlT_T0_E_clISt17integral_constantIbLb1EES1P_EEDaS1K_S1L_EUlS1K_E_NS1_11comp_targetILNS1_3genE3ELNS1_11target_archE908ELNS1_3gpuE7ELNS1_3repE0EEENS1_30default_config_static_selectorELNS0_4arch9wavefront6targetE0EEEvSY_,"axG",@progbits,_ZN7rocprim17ROCPRIM_400000_NS6detail17trampoline_kernelINS0_13select_configILj256ELj13ELNS0_17block_load_methodE3ELS4_3ELS4_3ELNS0_20block_scan_algorithmE0ELj4294967295EEENS1_25partition_config_selectorILNS1_17partition_subalgoE3EjNS0_10empty_typeEbEEZZNS1_14partition_implILS8_3ELb0ES6_jNS0_17counting_iteratorIjlEEPS9_SE_NS0_5tupleIJPjSE_EEENSF_IJSE_SE_EEES9_SG_JZNS1_25segmented_radix_sort_implINS0_14default_configELb1EPKdPdPKlPlN2at6native12_GLOBAL__N_18offset_tEEE10hipError_tPvRmT1_PNSt15iterator_traitsISY_E10value_typeET2_T3_PNSZ_IS14_E10value_typeET4_jRbjT5_S1A_jjP12ihipStream_tbEUljE_EEESV_SW_SX_S14_S18_S1A_T6_T7_T9_mT8_S1C_bDpT10_ENKUlT_T0_E_clISt17integral_constantIbLb1EES1P_EEDaS1K_S1L_EUlS1K_E_NS1_11comp_targetILNS1_3genE3ELNS1_11target_archE908ELNS1_3gpuE7ELNS1_3repE0EEENS1_30default_config_static_selectorELNS0_4arch9wavefront6targetE0EEEvSY_,comdat
.Lfunc_end1091:
	.size	_ZN7rocprim17ROCPRIM_400000_NS6detail17trampoline_kernelINS0_13select_configILj256ELj13ELNS0_17block_load_methodE3ELS4_3ELS4_3ELNS0_20block_scan_algorithmE0ELj4294967295EEENS1_25partition_config_selectorILNS1_17partition_subalgoE3EjNS0_10empty_typeEbEEZZNS1_14partition_implILS8_3ELb0ES6_jNS0_17counting_iteratorIjlEEPS9_SE_NS0_5tupleIJPjSE_EEENSF_IJSE_SE_EEES9_SG_JZNS1_25segmented_radix_sort_implINS0_14default_configELb1EPKdPdPKlPlN2at6native12_GLOBAL__N_18offset_tEEE10hipError_tPvRmT1_PNSt15iterator_traitsISY_E10value_typeET2_T3_PNSZ_IS14_E10value_typeET4_jRbjT5_S1A_jjP12ihipStream_tbEUljE_EEESV_SW_SX_S14_S18_S1A_T6_T7_T9_mT8_S1C_bDpT10_ENKUlT_T0_E_clISt17integral_constantIbLb1EES1P_EEDaS1K_S1L_EUlS1K_E_NS1_11comp_targetILNS1_3genE3ELNS1_11target_archE908ELNS1_3gpuE7ELNS1_3repE0EEENS1_30default_config_static_selectorELNS0_4arch9wavefront6targetE0EEEvSY_, .Lfunc_end1091-_ZN7rocprim17ROCPRIM_400000_NS6detail17trampoline_kernelINS0_13select_configILj256ELj13ELNS0_17block_load_methodE3ELS4_3ELS4_3ELNS0_20block_scan_algorithmE0ELj4294967295EEENS1_25partition_config_selectorILNS1_17partition_subalgoE3EjNS0_10empty_typeEbEEZZNS1_14partition_implILS8_3ELb0ES6_jNS0_17counting_iteratorIjlEEPS9_SE_NS0_5tupleIJPjSE_EEENSF_IJSE_SE_EEES9_SG_JZNS1_25segmented_radix_sort_implINS0_14default_configELb1EPKdPdPKlPlN2at6native12_GLOBAL__N_18offset_tEEE10hipError_tPvRmT1_PNSt15iterator_traitsISY_E10value_typeET2_T3_PNSZ_IS14_E10value_typeET4_jRbjT5_S1A_jjP12ihipStream_tbEUljE_EEESV_SW_SX_S14_S18_S1A_T6_T7_T9_mT8_S1C_bDpT10_ENKUlT_T0_E_clISt17integral_constantIbLb1EES1P_EEDaS1K_S1L_EUlS1K_E_NS1_11comp_targetILNS1_3genE3ELNS1_11target_archE908ELNS1_3gpuE7ELNS1_3repE0EEENS1_30default_config_static_selectorELNS0_4arch9wavefront6targetE0EEEvSY_
                                        ; -- End function
	.set _ZN7rocprim17ROCPRIM_400000_NS6detail17trampoline_kernelINS0_13select_configILj256ELj13ELNS0_17block_load_methodE3ELS4_3ELS4_3ELNS0_20block_scan_algorithmE0ELj4294967295EEENS1_25partition_config_selectorILNS1_17partition_subalgoE3EjNS0_10empty_typeEbEEZZNS1_14partition_implILS8_3ELb0ES6_jNS0_17counting_iteratorIjlEEPS9_SE_NS0_5tupleIJPjSE_EEENSF_IJSE_SE_EEES9_SG_JZNS1_25segmented_radix_sort_implINS0_14default_configELb1EPKdPdPKlPlN2at6native12_GLOBAL__N_18offset_tEEE10hipError_tPvRmT1_PNSt15iterator_traitsISY_E10value_typeET2_T3_PNSZ_IS14_E10value_typeET4_jRbjT5_S1A_jjP12ihipStream_tbEUljE_EEESV_SW_SX_S14_S18_S1A_T6_T7_T9_mT8_S1C_bDpT10_ENKUlT_T0_E_clISt17integral_constantIbLb1EES1P_EEDaS1K_S1L_EUlS1K_E_NS1_11comp_targetILNS1_3genE3ELNS1_11target_archE908ELNS1_3gpuE7ELNS1_3repE0EEENS1_30default_config_static_selectorELNS0_4arch9wavefront6targetE0EEEvSY_.num_vgpr, 0
	.set _ZN7rocprim17ROCPRIM_400000_NS6detail17trampoline_kernelINS0_13select_configILj256ELj13ELNS0_17block_load_methodE3ELS4_3ELS4_3ELNS0_20block_scan_algorithmE0ELj4294967295EEENS1_25partition_config_selectorILNS1_17partition_subalgoE3EjNS0_10empty_typeEbEEZZNS1_14partition_implILS8_3ELb0ES6_jNS0_17counting_iteratorIjlEEPS9_SE_NS0_5tupleIJPjSE_EEENSF_IJSE_SE_EEES9_SG_JZNS1_25segmented_radix_sort_implINS0_14default_configELb1EPKdPdPKlPlN2at6native12_GLOBAL__N_18offset_tEEE10hipError_tPvRmT1_PNSt15iterator_traitsISY_E10value_typeET2_T3_PNSZ_IS14_E10value_typeET4_jRbjT5_S1A_jjP12ihipStream_tbEUljE_EEESV_SW_SX_S14_S18_S1A_T6_T7_T9_mT8_S1C_bDpT10_ENKUlT_T0_E_clISt17integral_constantIbLb1EES1P_EEDaS1K_S1L_EUlS1K_E_NS1_11comp_targetILNS1_3genE3ELNS1_11target_archE908ELNS1_3gpuE7ELNS1_3repE0EEENS1_30default_config_static_selectorELNS0_4arch9wavefront6targetE0EEEvSY_.num_agpr, 0
	.set _ZN7rocprim17ROCPRIM_400000_NS6detail17trampoline_kernelINS0_13select_configILj256ELj13ELNS0_17block_load_methodE3ELS4_3ELS4_3ELNS0_20block_scan_algorithmE0ELj4294967295EEENS1_25partition_config_selectorILNS1_17partition_subalgoE3EjNS0_10empty_typeEbEEZZNS1_14partition_implILS8_3ELb0ES6_jNS0_17counting_iteratorIjlEEPS9_SE_NS0_5tupleIJPjSE_EEENSF_IJSE_SE_EEES9_SG_JZNS1_25segmented_radix_sort_implINS0_14default_configELb1EPKdPdPKlPlN2at6native12_GLOBAL__N_18offset_tEEE10hipError_tPvRmT1_PNSt15iterator_traitsISY_E10value_typeET2_T3_PNSZ_IS14_E10value_typeET4_jRbjT5_S1A_jjP12ihipStream_tbEUljE_EEESV_SW_SX_S14_S18_S1A_T6_T7_T9_mT8_S1C_bDpT10_ENKUlT_T0_E_clISt17integral_constantIbLb1EES1P_EEDaS1K_S1L_EUlS1K_E_NS1_11comp_targetILNS1_3genE3ELNS1_11target_archE908ELNS1_3gpuE7ELNS1_3repE0EEENS1_30default_config_static_selectorELNS0_4arch9wavefront6targetE0EEEvSY_.numbered_sgpr, 0
	.set _ZN7rocprim17ROCPRIM_400000_NS6detail17trampoline_kernelINS0_13select_configILj256ELj13ELNS0_17block_load_methodE3ELS4_3ELS4_3ELNS0_20block_scan_algorithmE0ELj4294967295EEENS1_25partition_config_selectorILNS1_17partition_subalgoE3EjNS0_10empty_typeEbEEZZNS1_14partition_implILS8_3ELb0ES6_jNS0_17counting_iteratorIjlEEPS9_SE_NS0_5tupleIJPjSE_EEENSF_IJSE_SE_EEES9_SG_JZNS1_25segmented_radix_sort_implINS0_14default_configELb1EPKdPdPKlPlN2at6native12_GLOBAL__N_18offset_tEEE10hipError_tPvRmT1_PNSt15iterator_traitsISY_E10value_typeET2_T3_PNSZ_IS14_E10value_typeET4_jRbjT5_S1A_jjP12ihipStream_tbEUljE_EEESV_SW_SX_S14_S18_S1A_T6_T7_T9_mT8_S1C_bDpT10_ENKUlT_T0_E_clISt17integral_constantIbLb1EES1P_EEDaS1K_S1L_EUlS1K_E_NS1_11comp_targetILNS1_3genE3ELNS1_11target_archE908ELNS1_3gpuE7ELNS1_3repE0EEENS1_30default_config_static_selectorELNS0_4arch9wavefront6targetE0EEEvSY_.num_named_barrier, 0
	.set _ZN7rocprim17ROCPRIM_400000_NS6detail17trampoline_kernelINS0_13select_configILj256ELj13ELNS0_17block_load_methodE3ELS4_3ELS4_3ELNS0_20block_scan_algorithmE0ELj4294967295EEENS1_25partition_config_selectorILNS1_17partition_subalgoE3EjNS0_10empty_typeEbEEZZNS1_14partition_implILS8_3ELb0ES6_jNS0_17counting_iteratorIjlEEPS9_SE_NS0_5tupleIJPjSE_EEENSF_IJSE_SE_EEES9_SG_JZNS1_25segmented_radix_sort_implINS0_14default_configELb1EPKdPdPKlPlN2at6native12_GLOBAL__N_18offset_tEEE10hipError_tPvRmT1_PNSt15iterator_traitsISY_E10value_typeET2_T3_PNSZ_IS14_E10value_typeET4_jRbjT5_S1A_jjP12ihipStream_tbEUljE_EEESV_SW_SX_S14_S18_S1A_T6_T7_T9_mT8_S1C_bDpT10_ENKUlT_T0_E_clISt17integral_constantIbLb1EES1P_EEDaS1K_S1L_EUlS1K_E_NS1_11comp_targetILNS1_3genE3ELNS1_11target_archE908ELNS1_3gpuE7ELNS1_3repE0EEENS1_30default_config_static_selectorELNS0_4arch9wavefront6targetE0EEEvSY_.private_seg_size, 0
	.set _ZN7rocprim17ROCPRIM_400000_NS6detail17trampoline_kernelINS0_13select_configILj256ELj13ELNS0_17block_load_methodE3ELS4_3ELS4_3ELNS0_20block_scan_algorithmE0ELj4294967295EEENS1_25partition_config_selectorILNS1_17partition_subalgoE3EjNS0_10empty_typeEbEEZZNS1_14partition_implILS8_3ELb0ES6_jNS0_17counting_iteratorIjlEEPS9_SE_NS0_5tupleIJPjSE_EEENSF_IJSE_SE_EEES9_SG_JZNS1_25segmented_radix_sort_implINS0_14default_configELb1EPKdPdPKlPlN2at6native12_GLOBAL__N_18offset_tEEE10hipError_tPvRmT1_PNSt15iterator_traitsISY_E10value_typeET2_T3_PNSZ_IS14_E10value_typeET4_jRbjT5_S1A_jjP12ihipStream_tbEUljE_EEESV_SW_SX_S14_S18_S1A_T6_T7_T9_mT8_S1C_bDpT10_ENKUlT_T0_E_clISt17integral_constantIbLb1EES1P_EEDaS1K_S1L_EUlS1K_E_NS1_11comp_targetILNS1_3genE3ELNS1_11target_archE908ELNS1_3gpuE7ELNS1_3repE0EEENS1_30default_config_static_selectorELNS0_4arch9wavefront6targetE0EEEvSY_.uses_vcc, 0
	.set _ZN7rocprim17ROCPRIM_400000_NS6detail17trampoline_kernelINS0_13select_configILj256ELj13ELNS0_17block_load_methodE3ELS4_3ELS4_3ELNS0_20block_scan_algorithmE0ELj4294967295EEENS1_25partition_config_selectorILNS1_17partition_subalgoE3EjNS0_10empty_typeEbEEZZNS1_14partition_implILS8_3ELb0ES6_jNS0_17counting_iteratorIjlEEPS9_SE_NS0_5tupleIJPjSE_EEENSF_IJSE_SE_EEES9_SG_JZNS1_25segmented_radix_sort_implINS0_14default_configELb1EPKdPdPKlPlN2at6native12_GLOBAL__N_18offset_tEEE10hipError_tPvRmT1_PNSt15iterator_traitsISY_E10value_typeET2_T3_PNSZ_IS14_E10value_typeET4_jRbjT5_S1A_jjP12ihipStream_tbEUljE_EEESV_SW_SX_S14_S18_S1A_T6_T7_T9_mT8_S1C_bDpT10_ENKUlT_T0_E_clISt17integral_constantIbLb1EES1P_EEDaS1K_S1L_EUlS1K_E_NS1_11comp_targetILNS1_3genE3ELNS1_11target_archE908ELNS1_3gpuE7ELNS1_3repE0EEENS1_30default_config_static_selectorELNS0_4arch9wavefront6targetE0EEEvSY_.uses_flat_scratch, 0
	.set _ZN7rocprim17ROCPRIM_400000_NS6detail17trampoline_kernelINS0_13select_configILj256ELj13ELNS0_17block_load_methodE3ELS4_3ELS4_3ELNS0_20block_scan_algorithmE0ELj4294967295EEENS1_25partition_config_selectorILNS1_17partition_subalgoE3EjNS0_10empty_typeEbEEZZNS1_14partition_implILS8_3ELb0ES6_jNS0_17counting_iteratorIjlEEPS9_SE_NS0_5tupleIJPjSE_EEENSF_IJSE_SE_EEES9_SG_JZNS1_25segmented_radix_sort_implINS0_14default_configELb1EPKdPdPKlPlN2at6native12_GLOBAL__N_18offset_tEEE10hipError_tPvRmT1_PNSt15iterator_traitsISY_E10value_typeET2_T3_PNSZ_IS14_E10value_typeET4_jRbjT5_S1A_jjP12ihipStream_tbEUljE_EEESV_SW_SX_S14_S18_S1A_T6_T7_T9_mT8_S1C_bDpT10_ENKUlT_T0_E_clISt17integral_constantIbLb1EES1P_EEDaS1K_S1L_EUlS1K_E_NS1_11comp_targetILNS1_3genE3ELNS1_11target_archE908ELNS1_3gpuE7ELNS1_3repE0EEENS1_30default_config_static_selectorELNS0_4arch9wavefront6targetE0EEEvSY_.has_dyn_sized_stack, 0
	.set _ZN7rocprim17ROCPRIM_400000_NS6detail17trampoline_kernelINS0_13select_configILj256ELj13ELNS0_17block_load_methodE3ELS4_3ELS4_3ELNS0_20block_scan_algorithmE0ELj4294967295EEENS1_25partition_config_selectorILNS1_17partition_subalgoE3EjNS0_10empty_typeEbEEZZNS1_14partition_implILS8_3ELb0ES6_jNS0_17counting_iteratorIjlEEPS9_SE_NS0_5tupleIJPjSE_EEENSF_IJSE_SE_EEES9_SG_JZNS1_25segmented_radix_sort_implINS0_14default_configELb1EPKdPdPKlPlN2at6native12_GLOBAL__N_18offset_tEEE10hipError_tPvRmT1_PNSt15iterator_traitsISY_E10value_typeET2_T3_PNSZ_IS14_E10value_typeET4_jRbjT5_S1A_jjP12ihipStream_tbEUljE_EEESV_SW_SX_S14_S18_S1A_T6_T7_T9_mT8_S1C_bDpT10_ENKUlT_T0_E_clISt17integral_constantIbLb1EES1P_EEDaS1K_S1L_EUlS1K_E_NS1_11comp_targetILNS1_3genE3ELNS1_11target_archE908ELNS1_3gpuE7ELNS1_3repE0EEENS1_30default_config_static_selectorELNS0_4arch9wavefront6targetE0EEEvSY_.has_recursion, 0
	.set _ZN7rocprim17ROCPRIM_400000_NS6detail17trampoline_kernelINS0_13select_configILj256ELj13ELNS0_17block_load_methodE3ELS4_3ELS4_3ELNS0_20block_scan_algorithmE0ELj4294967295EEENS1_25partition_config_selectorILNS1_17partition_subalgoE3EjNS0_10empty_typeEbEEZZNS1_14partition_implILS8_3ELb0ES6_jNS0_17counting_iteratorIjlEEPS9_SE_NS0_5tupleIJPjSE_EEENSF_IJSE_SE_EEES9_SG_JZNS1_25segmented_radix_sort_implINS0_14default_configELb1EPKdPdPKlPlN2at6native12_GLOBAL__N_18offset_tEEE10hipError_tPvRmT1_PNSt15iterator_traitsISY_E10value_typeET2_T3_PNSZ_IS14_E10value_typeET4_jRbjT5_S1A_jjP12ihipStream_tbEUljE_EEESV_SW_SX_S14_S18_S1A_T6_T7_T9_mT8_S1C_bDpT10_ENKUlT_T0_E_clISt17integral_constantIbLb1EES1P_EEDaS1K_S1L_EUlS1K_E_NS1_11comp_targetILNS1_3genE3ELNS1_11target_archE908ELNS1_3gpuE7ELNS1_3repE0EEENS1_30default_config_static_selectorELNS0_4arch9wavefront6targetE0EEEvSY_.has_indirect_call, 0
	.section	.AMDGPU.csdata,"",@progbits
; Kernel info:
; codeLenInByte = 0
; TotalNumSgprs: 0
; NumVgprs: 0
; ScratchSize: 0
; MemoryBound: 0
; FloatMode: 240
; IeeeMode: 1
; LDSByteSize: 0 bytes/workgroup (compile time only)
; SGPRBlocks: 0
; VGPRBlocks: 0
; NumSGPRsForWavesPerEU: 1
; NumVGPRsForWavesPerEU: 1
; NamedBarCnt: 0
; Occupancy: 16
; WaveLimiterHint : 0
; COMPUTE_PGM_RSRC2:SCRATCH_EN: 0
; COMPUTE_PGM_RSRC2:USER_SGPR: 2
; COMPUTE_PGM_RSRC2:TRAP_HANDLER: 0
; COMPUTE_PGM_RSRC2:TGID_X_EN: 1
; COMPUTE_PGM_RSRC2:TGID_Y_EN: 0
; COMPUTE_PGM_RSRC2:TGID_Z_EN: 0
; COMPUTE_PGM_RSRC2:TIDIG_COMP_CNT: 0
	.section	.text._ZN7rocprim17ROCPRIM_400000_NS6detail17trampoline_kernelINS0_13select_configILj256ELj13ELNS0_17block_load_methodE3ELS4_3ELS4_3ELNS0_20block_scan_algorithmE0ELj4294967295EEENS1_25partition_config_selectorILNS1_17partition_subalgoE3EjNS0_10empty_typeEbEEZZNS1_14partition_implILS8_3ELb0ES6_jNS0_17counting_iteratorIjlEEPS9_SE_NS0_5tupleIJPjSE_EEENSF_IJSE_SE_EEES9_SG_JZNS1_25segmented_radix_sort_implINS0_14default_configELb1EPKdPdPKlPlN2at6native12_GLOBAL__N_18offset_tEEE10hipError_tPvRmT1_PNSt15iterator_traitsISY_E10value_typeET2_T3_PNSZ_IS14_E10value_typeET4_jRbjT5_S1A_jjP12ihipStream_tbEUljE_EEESV_SW_SX_S14_S18_S1A_T6_T7_T9_mT8_S1C_bDpT10_ENKUlT_T0_E_clISt17integral_constantIbLb1EES1P_EEDaS1K_S1L_EUlS1K_E_NS1_11comp_targetILNS1_3genE2ELNS1_11target_archE906ELNS1_3gpuE6ELNS1_3repE0EEENS1_30default_config_static_selectorELNS0_4arch9wavefront6targetE0EEEvSY_,"axG",@progbits,_ZN7rocprim17ROCPRIM_400000_NS6detail17trampoline_kernelINS0_13select_configILj256ELj13ELNS0_17block_load_methodE3ELS4_3ELS4_3ELNS0_20block_scan_algorithmE0ELj4294967295EEENS1_25partition_config_selectorILNS1_17partition_subalgoE3EjNS0_10empty_typeEbEEZZNS1_14partition_implILS8_3ELb0ES6_jNS0_17counting_iteratorIjlEEPS9_SE_NS0_5tupleIJPjSE_EEENSF_IJSE_SE_EEES9_SG_JZNS1_25segmented_radix_sort_implINS0_14default_configELb1EPKdPdPKlPlN2at6native12_GLOBAL__N_18offset_tEEE10hipError_tPvRmT1_PNSt15iterator_traitsISY_E10value_typeET2_T3_PNSZ_IS14_E10value_typeET4_jRbjT5_S1A_jjP12ihipStream_tbEUljE_EEESV_SW_SX_S14_S18_S1A_T6_T7_T9_mT8_S1C_bDpT10_ENKUlT_T0_E_clISt17integral_constantIbLb1EES1P_EEDaS1K_S1L_EUlS1K_E_NS1_11comp_targetILNS1_3genE2ELNS1_11target_archE906ELNS1_3gpuE6ELNS1_3repE0EEENS1_30default_config_static_selectorELNS0_4arch9wavefront6targetE0EEEvSY_,comdat
	.globl	_ZN7rocprim17ROCPRIM_400000_NS6detail17trampoline_kernelINS0_13select_configILj256ELj13ELNS0_17block_load_methodE3ELS4_3ELS4_3ELNS0_20block_scan_algorithmE0ELj4294967295EEENS1_25partition_config_selectorILNS1_17partition_subalgoE3EjNS0_10empty_typeEbEEZZNS1_14partition_implILS8_3ELb0ES6_jNS0_17counting_iteratorIjlEEPS9_SE_NS0_5tupleIJPjSE_EEENSF_IJSE_SE_EEES9_SG_JZNS1_25segmented_radix_sort_implINS0_14default_configELb1EPKdPdPKlPlN2at6native12_GLOBAL__N_18offset_tEEE10hipError_tPvRmT1_PNSt15iterator_traitsISY_E10value_typeET2_T3_PNSZ_IS14_E10value_typeET4_jRbjT5_S1A_jjP12ihipStream_tbEUljE_EEESV_SW_SX_S14_S18_S1A_T6_T7_T9_mT8_S1C_bDpT10_ENKUlT_T0_E_clISt17integral_constantIbLb1EES1P_EEDaS1K_S1L_EUlS1K_E_NS1_11comp_targetILNS1_3genE2ELNS1_11target_archE906ELNS1_3gpuE6ELNS1_3repE0EEENS1_30default_config_static_selectorELNS0_4arch9wavefront6targetE0EEEvSY_ ; -- Begin function _ZN7rocprim17ROCPRIM_400000_NS6detail17trampoline_kernelINS0_13select_configILj256ELj13ELNS0_17block_load_methodE3ELS4_3ELS4_3ELNS0_20block_scan_algorithmE0ELj4294967295EEENS1_25partition_config_selectorILNS1_17partition_subalgoE3EjNS0_10empty_typeEbEEZZNS1_14partition_implILS8_3ELb0ES6_jNS0_17counting_iteratorIjlEEPS9_SE_NS0_5tupleIJPjSE_EEENSF_IJSE_SE_EEES9_SG_JZNS1_25segmented_radix_sort_implINS0_14default_configELb1EPKdPdPKlPlN2at6native12_GLOBAL__N_18offset_tEEE10hipError_tPvRmT1_PNSt15iterator_traitsISY_E10value_typeET2_T3_PNSZ_IS14_E10value_typeET4_jRbjT5_S1A_jjP12ihipStream_tbEUljE_EEESV_SW_SX_S14_S18_S1A_T6_T7_T9_mT8_S1C_bDpT10_ENKUlT_T0_E_clISt17integral_constantIbLb1EES1P_EEDaS1K_S1L_EUlS1K_E_NS1_11comp_targetILNS1_3genE2ELNS1_11target_archE906ELNS1_3gpuE6ELNS1_3repE0EEENS1_30default_config_static_selectorELNS0_4arch9wavefront6targetE0EEEvSY_
	.p2align	8
	.type	_ZN7rocprim17ROCPRIM_400000_NS6detail17trampoline_kernelINS0_13select_configILj256ELj13ELNS0_17block_load_methodE3ELS4_3ELS4_3ELNS0_20block_scan_algorithmE0ELj4294967295EEENS1_25partition_config_selectorILNS1_17partition_subalgoE3EjNS0_10empty_typeEbEEZZNS1_14partition_implILS8_3ELb0ES6_jNS0_17counting_iteratorIjlEEPS9_SE_NS0_5tupleIJPjSE_EEENSF_IJSE_SE_EEES9_SG_JZNS1_25segmented_radix_sort_implINS0_14default_configELb1EPKdPdPKlPlN2at6native12_GLOBAL__N_18offset_tEEE10hipError_tPvRmT1_PNSt15iterator_traitsISY_E10value_typeET2_T3_PNSZ_IS14_E10value_typeET4_jRbjT5_S1A_jjP12ihipStream_tbEUljE_EEESV_SW_SX_S14_S18_S1A_T6_T7_T9_mT8_S1C_bDpT10_ENKUlT_T0_E_clISt17integral_constantIbLb1EES1P_EEDaS1K_S1L_EUlS1K_E_NS1_11comp_targetILNS1_3genE2ELNS1_11target_archE906ELNS1_3gpuE6ELNS1_3repE0EEENS1_30default_config_static_selectorELNS0_4arch9wavefront6targetE0EEEvSY_,@function
_ZN7rocprim17ROCPRIM_400000_NS6detail17trampoline_kernelINS0_13select_configILj256ELj13ELNS0_17block_load_methodE3ELS4_3ELS4_3ELNS0_20block_scan_algorithmE0ELj4294967295EEENS1_25partition_config_selectorILNS1_17partition_subalgoE3EjNS0_10empty_typeEbEEZZNS1_14partition_implILS8_3ELb0ES6_jNS0_17counting_iteratorIjlEEPS9_SE_NS0_5tupleIJPjSE_EEENSF_IJSE_SE_EEES9_SG_JZNS1_25segmented_radix_sort_implINS0_14default_configELb1EPKdPdPKlPlN2at6native12_GLOBAL__N_18offset_tEEE10hipError_tPvRmT1_PNSt15iterator_traitsISY_E10value_typeET2_T3_PNSZ_IS14_E10value_typeET4_jRbjT5_S1A_jjP12ihipStream_tbEUljE_EEESV_SW_SX_S14_S18_S1A_T6_T7_T9_mT8_S1C_bDpT10_ENKUlT_T0_E_clISt17integral_constantIbLb1EES1P_EEDaS1K_S1L_EUlS1K_E_NS1_11comp_targetILNS1_3genE2ELNS1_11target_archE906ELNS1_3gpuE6ELNS1_3repE0EEENS1_30default_config_static_selectorELNS0_4arch9wavefront6targetE0EEEvSY_: ; @_ZN7rocprim17ROCPRIM_400000_NS6detail17trampoline_kernelINS0_13select_configILj256ELj13ELNS0_17block_load_methodE3ELS4_3ELS4_3ELNS0_20block_scan_algorithmE0ELj4294967295EEENS1_25partition_config_selectorILNS1_17partition_subalgoE3EjNS0_10empty_typeEbEEZZNS1_14partition_implILS8_3ELb0ES6_jNS0_17counting_iteratorIjlEEPS9_SE_NS0_5tupleIJPjSE_EEENSF_IJSE_SE_EEES9_SG_JZNS1_25segmented_radix_sort_implINS0_14default_configELb1EPKdPdPKlPlN2at6native12_GLOBAL__N_18offset_tEEE10hipError_tPvRmT1_PNSt15iterator_traitsISY_E10value_typeET2_T3_PNSZ_IS14_E10value_typeET4_jRbjT5_S1A_jjP12ihipStream_tbEUljE_EEESV_SW_SX_S14_S18_S1A_T6_T7_T9_mT8_S1C_bDpT10_ENKUlT_T0_E_clISt17integral_constantIbLb1EES1P_EEDaS1K_S1L_EUlS1K_E_NS1_11comp_targetILNS1_3genE2ELNS1_11target_archE906ELNS1_3gpuE6ELNS1_3repE0EEENS1_30default_config_static_selectorELNS0_4arch9wavefront6targetE0EEEvSY_
; %bb.0:
	.section	.rodata,"a",@progbits
	.p2align	6, 0x0
	.amdhsa_kernel _ZN7rocprim17ROCPRIM_400000_NS6detail17trampoline_kernelINS0_13select_configILj256ELj13ELNS0_17block_load_methodE3ELS4_3ELS4_3ELNS0_20block_scan_algorithmE0ELj4294967295EEENS1_25partition_config_selectorILNS1_17partition_subalgoE3EjNS0_10empty_typeEbEEZZNS1_14partition_implILS8_3ELb0ES6_jNS0_17counting_iteratorIjlEEPS9_SE_NS0_5tupleIJPjSE_EEENSF_IJSE_SE_EEES9_SG_JZNS1_25segmented_radix_sort_implINS0_14default_configELb1EPKdPdPKlPlN2at6native12_GLOBAL__N_18offset_tEEE10hipError_tPvRmT1_PNSt15iterator_traitsISY_E10value_typeET2_T3_PNSZ_IS14_E10value_typeET4_jRbjT5_S1A_jjP12ihipStream_tbEUljE_EEESV_SW_SX_S14_S18_S1A_T6_T7_T9_mT8_S1C_bDpT10_ENKUlT_T0_E_clISt17integral_constantIbLb1EES1P_EEDaS1K_S1L_EUlS1K_E_NS1_11comp_targetILNS1_3genE2ELNS1_11target_archE906ELNS1_3gpuE6ELNS1_3repE0EEENS1_30default_config_static_selectorELNS0_4arch9wavefront6targetE0EEEvSY_
		.amdhsa_group_segment_fixed_size 0
		.amdhsa_private_segment_fixed_size 0
		.amdhsa_kernarg_size 152
		.amdhsa_user_sgpr_count 2
		.amdhsa_user_sgpr_dispatch_ptr 0
		.amdhsa_user_sgpr_queue_ptr 0
		.amdhsa_user_sgpr_kernarg_segment_ptr 1
		.amdhsa_user_sgpr_dispatch_id 0
		.amdhsa_user_sgpr_kernarg_preload_length 0
		.amdhsa_user_sgpr_kernarg_preload_offset 0
		.amdhsa_user_sgpr_private_segment_size 0
		.amdhsa_wavefront_size32 1
		.amdhsa_uses_dynamic_stack 0
		.amdhsa_enable_private_segment 0
		.amdhsa_system_sgpr_workgroup_id_x 1
		.amdhsa_system_sgpr_workgroup_id_y 0
		.amdhsa_system_sgpr_workgroup_id_z 0
		.amdhsa_system_sgpr_workgroup_info 0
		.amdhsa_system_vgpr_workitem_id 0
		.amdhsa_next_free_vgpr 1
		.amdhsa_next_free_sgpr 1
		.amdhsa_named_barrier_count 0
		.amdhsa_reserve_vcc 0
		.amdhsa_float_round_mode_32 0
		.amdhsa_float_round_mode_16_64 0
		.amdhsa_float_denorm_mode_32 3
		.amdhsa_float_denorm_mode_16_64 3
		.amdhsa_fp16_overflow 0
		.amdhsa_memory_ordered 1
		.amdhsa_forward_progress 1
		.amdhsa_inst_pref_size 0
		.amdhsa_round_robin_scheduling 0
		.amdhsa_exception_fp_ieee_invalid_op 0
		.amdhsa_exception_fp_denorm_src 0
		.amdhsa_exception_fp_ieee_div_zero 0
		.amdhsa_exception_fp_ieee_overflow 0
		.amdhsa_exception_fp_ieee_underflow 0
		.amdhsa_exception_fp_ieee_inexact 0
		.amdhsa_exception_int_div_zero 0
	.end_amdhsa_kernel
	.section	.text._ZN7rocprim17ROCPRIM_400000_NS6detail17trampoline_kernelINS0_13select_configILj256ELj13ELNS0_17block_load_methodE3ELS4_3ELS4_3ELNS0_20block_scan_algorithmE0ELj4294967295EEENS1_25partition_config_selectorILNS1_17partition_subalgoE3EjNS0_10empty_typeEbEEZZNS1_14partition_implILS8_3ELb0ES6_jNS0_17counting_iteratorIjlEEPS9_SE_NS0_5tupleIJPjSE_EEENSF_IJSE_SE_EEES9_SG_JZNS1_25segmented_radix_sort_implINS0_14default_configELb1EPKdPdPKlPlN2at6native12_GLOBAL__N_18offset_tEEE10hipError_tPvRmT1_PNSt15iterator_traitsISY_E10value_typeET2_T3_PNSZ_IS14_E10value_typeET4_jRbjT5_S1A_jjP12ihipStream_tbEUljE_EEESV_SW_SX_S14_S18_S1A_T6_T7_T9_mT8_S1C_bDpT10_ENKUlT_T0_E_clISt17integral_constantIbLb1EES1P_EEDaS1K_S1L_EUlS1K_E_NS1_11comp_targetILNS1_3genE2ELNS1_11target_archE906ELNS1_3gpuE6ELNS1_3repE0EEENS1_30default_config_static_selectorELNS0_4arch9wavefront6targetE0EEEvSY_,"axG",@progbits,_ZN7rocprim17ROCPRIM_400000_NS6detail17trampoline_kernelINS0_13select_configILj256ELj13ELNS0_17block_load_methodE3ELS4_3ELS4_3ELNS0_20block_scan_algorithmE0ELj4294967295EEENS1_25partition_config_selectorILNS1_17partition_subalgoE3EjNS0_10empty_typeEbEEZZNS1_14partition_implILS8_3ELb0ES6_jNS0_17counting_iteratorIjlEEPS9_SE_NS0_5tupleIJPjSE_EEENSF_IJSE_SE_EEES9_SG_JZNS1_25segmented_radix_sort_implINS0_14default_configELb1EPKdPdPKlPlN2at6native12_GLOBAL__N_18offset_tEEE10hipError_tPvRmT1_PNSt15iterator_traitsISY_E10value_typeET2_T3_PNSZ_IS14_E10value_typeET4_jRbjT5_S1A_jjP12ihipStream_tbEUljE_EEESV_SW_SX_S14_S18_S1A_T6_T7_T9_mT8_S1C_bDpT10_ENKUlT_T0_E_clISt17integral_constantIbLb1EES1P_EEDaS1K_S1L_EUlS1K_E_NS1_11comp_targetILNS1_3genE2ELNS1_11target_archE906ELNS1_3gpuE6ELNS1_3repE0EEENS1_30default_config_static_selectorELNS0_4arch9wavefront6targetE0EEEvSY_,comdat
.Lfunc_end1092:
	.size	_ZN7rocprim17ROCPRIM_400000_NS6detail17trampoline_kernelINS0_13select_configILj256ELj13ELNS0_17block_load_methodE3ELS4_3ELS4_3ELNS0_20block_scan_algorithmE0ELj4294967295EEENS1_25partition_config_selectorILNS1_17partition_subalgoE3EjNS0_10empty_typeEbEEZZNS1_14partition_implILS8_3ELb0ES6_jNS0_17counting_iteratorIjlEEPS9_SE_NS0_5tupleIJPjSE_EEENSF_IJSE_SE_EEES9_SG_JZNS1_25segmented_radix_sort_implINS0_14default_configELb1EPKdPdPKlPlN2at6native12_GLOBAL__N_18offset_tEEE10hipError_tPvRmT1_PNSt15iterator_traitsISY_E10value_typeET2_T3_PNSZ_IS14_E10value_typeET4_jRbjT5_S1A_jjP12ihipStream_tbEUljE_EEESV_SW_SX_S14_S18_S1A_T6_T7_T9_mT8_S1C_bDpT10_ENKUlT_T0_E_clISt17integral_constantIbLb1EES1P_EEDaS1K_S1L_EUlS1K_E_NS1_11comp_targetILNS1_3genE2ELNS1_11target_archE906ELNS1_3gpuE6ELNS1_3repE0EEENS1_30default_config_static_selectorELNS0_4arch9wavefront6targetE0EEEvSY_, .Lfunc_end1092-_ZN7rocprim17ROCPRIM_400000_NS6detail17trampoline_kernelINS0_13select_configILj256ELj13ELNS0_17block_load_methodE3ELS4_3ELS4_3ELNS0_20block_scan_algorithmE0ELj4294967295EEENS1_25partition_config_selectorILNS1_17partition_subalgoE3EjNS0_10empty_typeEbEEZZNS1_14partition_implILS8_3ELb0ES6_jNS0_17counting_iteratorIjlEEPS9_SE_NS0_5tupleIJPjSE_EEENSF_IJSE_SE_EEES9_SG_JZNS1_25segmented_radix_sort_implINS0_14default_configELb1EPKdPdPKlPlN2at6native12_GLOBAL__N_18offset_tEEE10hipError_tPvRmT1_PNSt15iterator_traitsISY_E10value_typeET2_T3_PNSZ_IS14_E10value_typeET4_jRbjT5_S1A_jjP12ihipStream_tbEUljE_EEESV_SW_SX_S14_S18_S1A_T6_T7_T9_mT8_S1C_bDpT10_ENKUlT_T0_E_clISt17integral_constantIbLb1EES1P_EEDaS1K_S1L_EUlS1K_E_NS1_11comp_targetILNS1_3genE2ELNS1_11target_archE906ELNS1_3gpuE6ELNS1_3repE0EEENS1_30default_config_static_selectorELNS0_4arch9wavefront6targetE0EEEvSY_
                                        ; -- End function
	.set _ZN7rocprim17ROCPRIM_400000_NS6detail17trampoline_kernelINS0_13select_configILj256ELj13ELNS0_17block_load_methodE3ELS4_3ELS4_3ELNS0_20block_scan_algorithmE0ELj4294967295EEENS1_25partition_config_selectorILNS1_17partition_subalgoE3EjNS0_10empty_typeEbEEZZNS1_14partition_implILS8_3ELb0ES6_jNS0_17counting_iteratorIjlEEPS9_SE_NS0_5tupleIJPjSE_EEENSF_IJSE_SE_EEES9_SG_JZNS1_25segmented_radix_sort_implINS0_14default_configELb1EPKdPdPKlPlN2at6native12_GLOBAL__N_18offset_tEEE10hipError_tPvRmT1_PNSt15iterator_traitsISY_E10value_typeET2_T3_PNSZ_IS14_E10value_typeET4_jRbjT5_S1A_jjP12ihipStream_tbEUljE_EEESV_SW_SX_S14_S18_S1A_T6_T7_T9_mT8_S1C_bDpT10_ENKUlT_T0_E_clISt17integral_constantIbLb1EES1P_EEDaS1K_S1L_EUlS1K_E_NS1_11comp_targetILNS1_3genE2ELNS1_11target_archE906ELNS1_3gpuE6ELNS1_3repE0EEENS1_30default_config_static_selectorELNS0_4arch9wavefront6targetE0EEEvSY_.num_vgpr, 0
	.set _ZN7rocprim17ROCPRIM_400000_NS6detail17trampoline_kernelINS0_13select_configILj256ELj13ELNS0_17block_load_methodE3ELS4_3ELS4_3ELNS0_20block_scan_algorithmE0ELj4294967295EEENS1_25partition_config_selectorILNS1_17partition_subalgoE3EjNS0_10empty_typeEbEEZZNS1_14partition_implILS8_3ELb0ES6_jNS0_17counting_iteratorIjlEEPS9_SE_NS0_5tupleIJPjSE_EEENSF_IJSE_SE_EEES9_SG_JZNS1_25segmented_radix_sort_implINS0_14default_configELb1EPKdPdPKlPlN2at6native12_GLOBAL__N_18offset_tEEE10hipError_tPvRmT1_PNSt15iterator_traitsISY_E10value_typeET2_T3_PNSZ_IS14_E10value_typeET4_jRbjT5_S1A_jjP12ihipStream_tbEUljE_EEESV_SW_SX_S14_S18_S1A_T6_T7_T9_mT8_S1C_bDpT10_ENKUlT_T0_E_clISt17integral_constantIbLb1EES1P_EEDaS1K_S1L_EUlS1K_E_NS1_11comp_targetILNS1_3genE2ELNS1_11target_archE906ELNS1_3gpuE6ELNS1_3repE0EEENS1_30default_config_static_selectorELNS0_4arch9wavefront6targetE0EEEvSY_.num_agpr, 0
	.set _ZN7rocprim17ROCPRIM_400000_NS6detail17trampoline_kernelINS0_13select_configILj256ELj13ELNS0_17block_load_methodE3ELS4_3ELS4_3ELNS0_20block_scan_algorithmE0ELj4294967295EEENS1_25partition_config_selectorILNS1_17partition_subalgoE3EjNS0_10empty_typeEbEEZZNS1_14partition_implILS8_3ELb0ES6_jNS0_17counting_iteratorIjlEEPS9_SE_NS0_5tupleIJPjSE_EEENSF_IJSE_SE_EEES9_SG_JZNS1_25segmented_radix_sort_implINS0_14default_configELb1EPKdPdPKlPlN2at6native12_GLOBAL__N_18offset_tEEE10hipError_tPvRmT1_PNSt15iterator_traitsISY_E10value_typeET2_T3_PNSZ_IS14_E10value_typeET4_jRbjT5_S1A_jjP12ihipStream_tbEUljE_EEESV_SW_SX_S14_S18_S1A_T6_T7_T9_mT8_S1C_bDpT10_ENKUlT_T0_E_clISt17integral_constantIbLb1EES1P_EEDaS1K_S1L_EUlS1K_E_NS1_11comp_targetILNS1_3genE2ELNS1_11target_archE906ELNS1_3gpuE6ELNS1_3repE0EEENS1_30default_config_static_selectorELNS0_4arch9wavefront6targetE0EEEvSY_.numbered_sgpr, 0
	.set _ZN7rocprim17ROCPRIM_400000_NS6detail17trampoline_kernelINS0_13select_configILj256ELj13ELNS0_17block_load_methodE3ELS4_3ELS4_3ELNS0_20block_scan_algorithmE0ELj4294967295EEENS1_25partition_config_selectorILNS1_17partition_subalgoE3EjNS0_10empty_typeEbEEZZNS1_14partition_implILS8_3ELb0ES6_jNS0_17counting_iteratorIjlEEPS9_SE_NS0_5tupleIJPjSE_EEENSF_IJSE_SE_EEES9_SG_JZNS1_25segmented_radix_sort_implINS0_14default_configELb1EPKdPdPKlPlN2at6native12_GLOBAL__N_18offset_tEEE10hipError_tPvRmT1_PNSt15iterator_traitsISY_E10value_typeET2_T3_PNSZ_IS14_E10value_typeET4_jRbjT5_S1A_jjP12ihipStream_tbEUljE_EEESV_SW_SX_S14_S18_S1A_T6_T7_T9_mT8_S1C_bDpT10_ENKUlT_T0_E_clISt17integral_constantIbLb1EES1P_EEDaS1K_S1L_EUlS1K_E_NS1_11comp_targetILNS1_3genE2ELNS1_11target_archE906ELNS1_3gpuE6ELNS1_3repE0EEENS1_30default_config_static_selectorELNS0_4arch9wavefront6targetE0EEEvSY_.num_named_barrier, 0
	.set _ZN7rocprim17ROCPRIM_400000_NS6detail17trampoline_kernelINS0_13select_configILj256ELj13ELNS0_17block_load_methodE3ELS4_3ELS4_3ELNS0_20block_scan_algorithmE0ELj4294967295EEENS1_25partition_config_selectorILNS1_17partition_subalgoE3EjNS0_10empty_typeEbEEZZNS1_14partition_implILS8_3ELb0ES6_jNS0_17counting_iteratorIjlEEPS9_SE_NS0_5tupleIJPjSE_EEENSF_IJSE_SE_EEES9_SG_JZNS1_25segmented_radix_sort_implINS0_14default_configELb1EPKdPdPKlPlN2at6native12_GLOBAL__N_18offset_tEEE10hipError_tPvRmT1_PNSt15iterator_traitsISY_E10value_typeET2_T3_PNSZ_IS14_E10value_typeET4_jRbjT5_S1A_jjP12ihipStream_tbEUljE_EEESV_SW_SX_S14_S18_S1A_T6_T7_T9_mT8_S1C_bDpT10_ENKUlT_T0_E_clISt17integral_constantIbLb1EES1P_EEDaS1K_S1L_EUlS1K_E_NS1_11comp_targetILNS1_3genE2ELNS1_11target_archE906ELNS1_3gpuE6ELNS1_3repE0EEENS1_30default_config_static_selectorELNS0_4arch9wavefront6targetE0EEEvSY_.private_seg_size, 0
	.set _ZN7rocprim17ROCPRIM_400000_NS6detail17trampoline_kernelINS0_13select_configILj256ELj13ELNS0_17block_load_methodE3ELS4_3ELS4_3ELNS0_20block_scan_algorithmE0ELj4294967295EEENS1_25partition_config_selectorILNS1_17partition_subalgoE3EjNS0_10empty_typeEbEEZZNS1_14partition_implILS8_3ELb0ES6_jNS0_17counting_iteratorIjlEEPS9_SE_NS0_5tupleIJPjSE_EEENSF_IJSE_SE_EEES9_SG_JZNS1_25segmented_radix_sort_implINS0_14default_configELb1EPKdPdPKlPlN2at6native12_GLOBAL__N_18offset_tEEE10hipError_tPvRmT1_PNSt15iterator_traitsISY_E10value_typeET2_T3_PNSZ_IS14_E10value_typeET4_jRbjT5_S1A_jjP12ihipStream_tbEUljE_EEESV_SW_SX_S14_S18_S1A_T6_T7_T9_mT8_S1C_bDpT10_ENKUlT_T0_E_clISt17integral_constantIbLb1EES1P_EEDaS1K_S1L_EUlS1K_E_NS1_11comp_targetILNS1_3genE2ELNS1_11target_archE906ELNS1_3gpuE6ELNS1_3repE0EEENS1_30default_config_static_selectorELNS0_4arch9wavefront6targetE0EEEvSY_.uses_vcc, 0
	.set _ZN7rocprim17ROCPRIM_400000_NS6detail17trampoline_kernelINS0_13select_configILj256ELj13ELNS0_17block_load_methodE3ELS4_3ELS4_3ELNS0_20block_scan_algorithmE0ELj4294967295EEENS1_25partition_config_selectorILNS1_17partition_subalgoE3EjNS0_10empty_typeEbEEZZNS1_14partition_implILS8_3ELb0ES6_jNS0_17counting_iteratorIjlEEPS9_SE_NS0_5tupleIJPjSE_EEENSF_IJSE_SE_EEES9_SG_JZNS1_25segmented_radix_sort_implINS0_14default_configELb1EPKdPdPKlPlN2at6native12_GLOBAL__N_18offset_tEEE10hipError_tPvRmT1_PNSt15iterator_traitsISY_E10value_typeET2_T3_PNSZ_IS14_E10value_typeET4_jRbjT5_S1A_jjP12ihipStream_tbEUljE_EEESV_SW_SX_S14_S18_S1A_T6_T7_T9_mT8_S1C_bDpT10_ENKUlT_T0_E_clISt17integral_constantIbLb1EES1P_EEDaS1K_S1L_EUlS1K_E_NS1_11comp_targetILNS1_3genE2ELNS1_11target_archE906ELNS1_3gpuE6ELNS1_3repE0EEENS1_30default_config_static_selectorELNS0_4arch9wavefront6targetE0EEEvSY_.uses_flat_scratch, 0
	.set _ZN7rocprim17ROCPRIM_400000_NS6detail17trampoline_kernelINS0_13select_configILj256ELj13ELNS0_17block_load_methodE3ELS4_3ELS4_3ELNS0_20block_scan_algorithmE0ELj4294967295EEENS1_25partition_config_selectorILNS1_17partition_subalgoE3EjNS0_10empty_typeEbEEZZNS1_14partition_implILS8_3ELb0ES6_jNS0_17counting_iteratorIjlEEPS9_SE_NS0_5tupleIJPjSE_EEENSF_IJSE_SE_EEES9_SG_JZNS1_25segmented_radix_sort_implINS0_14default_configELb1EPKdPdPKlPlN2at6native12_GLOBAL__N_18offset_tEEE10hipError_tPvRmT1_PNSt15iterator_traitsISY_E10value_typeET2_T3_PNSZ_IS14_E10value_typeET4_jRbjT5_S1A_jjP12ihipStream_tbEUljE_EEESV_SW_SX_S14_S18_S1A_T6_T7_T9_mT8_S1C_bDpT10_ENKUlT_T0_E_clISt17integral_constantIbLb1EES1P_EEDaS1K_S1L_EUlS1K_E_NS1_11comp_targetILNS1_3genE2ELNS1_11target_archE906ELNS1_3gpuE6ELNS1_3repE0EEENS1_30default_config_static_selectorELNS0_4arch9wavefront6targetE0EEEvSY_.has_dyn_sized_stack, 0
	.set _ZN7rocprim17ROCPRIM_400000_NS6detail17trampoline_kernelINS0_13select_configILj256ELj13ELNS0_17block_load_methodE3ELS4_3ELS4_3ELNS0_20block_scan_algorithmE0ELj4294967295EEENS1_25partition_config_selectorILNS1_17partition_subalgoE3EjNS0_10empty_typeEbEEZZNS1_14partition_implILS8_3ELb0ES6_jNS0_17counting_iteratorIjlEEPS9_SE_NS0_5tupleIJPjSE_EEENSF_IJSE_SE_EEES9_SG_JZNS1_25segmented_radix_sort_implINS0_14default_configELb1EPKdPdPKlPlN2at6native12_GLOBAL__N_18offset_tEEE10hipError_tPvRmT1_PNSt15iterator_traitsISY_E10value_typeET2_T3_PNSZ_IS14_E10value_typeET4_jRbjT5_S1A_jjP12ihipStream_tbEUljE_EEESV_SW_SX_S14_S18_S1A_T6_T7_T9_mT8_S1C_bDpT10_ENKUlT_T0_E_clISt17integral_constantIbLb1EES1P_EEDaS1K_S1L_EUlS1K_E_NS1_11comp_targetILNS1_3genE2ELNS1_11target_archE906ELNS1_3gpuE6ELNS1_3repE0EEENS1_30default_config_static_selectorELNS0_4arch9wavefront6targetE0EEEvSY_.has_recursion, 0
	.set _ZN7rocprim17ROCPRIM_400000_NS6detail17trampoline_kernelINS0_13select_configILj256ELj13ELNS0_17block_load_methodE3ELS4_3ELS4_3ELNS0_20block_scan_algorithmE0ELj4294967295EEENS1_25partition_config_selectorILNS1_17partition_subalgoE3EjNS0_10empty_typeEbEEZZNS1_14partition_implILS8_3ELb0ES6_jNS0_17counting_iteratorIjlEEPS9_SE_NS0_5tupleIJPjSE_EEENSF_IJSE_SE_EEES9_SG_JZNS1_25segmented_radix_sort_implINS0_14default_configELb1EPKdPdPKlPlN2at6native12_GLOBAL__N_18offset_tEEE10hipError_tPvRmT1_PNSt15iterator_traitsISY_E10value_typeET2_T3_PNSZ_IS14_E10value_typeET4_jRbjT5_S1A_jjP12ihipStream_tbEUljE_EEESV_SW_SX_S14_S18_S1A_T6_T7_T9_mT8_S1C_bDpT10_ENKUlT_T0_E_clISt17integral_constantIbLb1EES1P_EEDaS1K_S1L_EUlS1K_E_NS1_11comp_targetILNS1_3genE2ELNS1_11target_archE906ELNS1_3gpuE6ELNS1_3repE0EEENS1_30default_config_static_selectorELNS0_4arch9wavefront6targetE0EEEvSY_.has_indirect_call, 0
	.section	.AMDGPU.csdata,"",@progbits
; Kernel info:
; codeLenInByte = 0
; TotalNumSgprs: 0
; NumVgprs: 0
; ScratchSize: 0
; MemoryBound: 0
; FloatMode: 240
; IeeeMode: 1
; LDSByteSize: 0 bytes/workgroup (compile time only)
; SGPRBlocks: 0
; VGPRBlocks: 0
; NumSGPRsForWavesPerEU: 1
; NumVGPRsForWavesPerEU: 1
; NamedBarCnt: 0
; Occupancy: 16
; WaveLimiterHint : 0
; COMPUTE_PGM_RSRC2:SCRATCH_EN: 0
; COMPUTE_PGM_RSRC2:USER_SGPR: 2
; COMPUTE_PGM_RSRC2:TRAP_HANDLER: 0
; COMPUTE_PGM_RSRC2:TGID_X_EN: 1
; COMPUTE_PGM_RSRC2:TGID_Y_EN: 0
; COMPUTE_PGM_RSRC2:TGID_Z_EN: 0
; COMPUTE_PGM_RSRC2:TIDIG_COMP_CNT: 0
	.section	.text._ZN7rocprim17ROCPRIM_400000_NS6detail17trampoline_kernelINS0_13select_configILj256ELj13ELNS0_17block_load_methodE3ELS4_3ELS4_3ELNS0_20block_scan_algorithmE0ELj4294967295EEENS1_25partition_config_selectorILNS1_17partition_subalgoE3EjNS0_10empty_typeEbEEZZNS1_14partition_implILS8_3ELb0ES6_jNS0_17counting_iteratorIjlEEPS9_SE_NS0_5tupleIJPjSE_EEENSF_IJSE_SE_EEES9_SG_JZNS1_25segmented_radix_sort_implINS0_14default_configELb1EPKdPdPKlPlN2at6native12_GLOBAL__N_18offset_tEEE10hipError_tPvRmT1_PNSt15iterator_traitsISY_E10value_typeET2_T3_PNSZ_IS14_E10value_typeET4_jRbjT5_S1A_jjP12ihipStream_tbEUljE_EEESV_SW_SX_S14_S18_S1A_T6_T7_T9_mT8_S1C_bDpT10_ENKUlT_T0_E_clISt17integral_constantIbLb1EES1P_EEDaS1K_S1L_EUlS1K_E_NS1_11comp_targetILNS1_3genE10ELNS1_11target_archE1200ELNS1_3gpuE4ELNS1_3repE0EEENS1_30default_config_static_selectorELNS0_4arch9wavefront6targetE0EEEvSY_,"axG",@progbits,_ZN7rocprim17ROCPRIM_400000_NS6detail17trampoline_kernelINS0_13select_configILj256ELj13ELNS0_17block_load_methodE3ELS4_3ELS4_3ELNS0_20block_scan_algorithmE0ELj4294967295EEENS1_25partition_config_selectorILNS1_17partition_subalgoE3EjNS0_10empty_typeEbEEZZNS1_14partition_implILS8_3ELb0ES6_jNS0_17counting_iteratorIjlEEPS9_SE_NS0_5tupleIJPjSE_EEENSF_IJSE_SE_EEES9_SG_JZNS1_25segmented_radix_sort_implINS0_14default_configELb1EPKdPdPKlPlN2at6native12_GLOBAL__N_18offset_tEEE10hipError_tPvRmT1_PNSt15iterator_traitsISY_E10value_typeET2_T3_PNSZ_IS14_E10value_typeET4_jRbjT5_S1A_jjP12ihipStream_tbEUljE_EEESV_SW_SX_S14_S18_S1A_T6_T7_T9_mT8_S1C_bDpT10_ENKUlT_T0_E_clISt17integral_constantIbLb1EES1P_EEDaS1K_S1L_EUlS1K_E_NS1_11comp_targetILNS1_3genE10ELNS1_11target_archE1200ELNS1_3gpuE4ELNS1_3repE0EEENS1_30default_config_static_selectorELNS0_4arch9wavefront6targetE0EEEvSY_,comdat
	.globl	_ZN7rocprim17ROCPRIM_400000_NS6detail17trampoline_kernelINS0_13select_configILj256ELj13ELNS0_17block_load_methodE3ELS4_3ELS4_3ELNS0_20block_scan_algorithmE0ELj4294967295EEENS1_25partition_config_selectorILNS1_17partition_subalgoE3EjNS0_10empty_typeEbEEZZNS1_14partition_implILS8_3ELb0ES6_jNS0_17counting_iteratorIjlEEPS9_SE_NS0_5tupleIJPjSE_EEENSF_IJSE_SE_EEES9_SG_JZNS1_25segmented_radix_sort_implINS0_14default_configELb1EPKdPdPKlPlN2at6native12_GLOBAL__N_18offset_tEEE10hipError_tPvRmT1_PNSt15iterator_traitsISY_E10value_typeET2_T3_PNSZ_IS14_E10value_typeET4_jRbjT5_S1A_jjP12ihipStream_tbEUljE_EEESV_SW_SX_S14_S18_S1A_T6_T7_T9_mT8_S1C_bDpT10_ENKUlT_T0_E_clISt17integral_constantIbLb1EES1P_EEDaS1K_S1L_EUlS1K_E_NS1_11comp_targetILNS1_3genE10ELNS1_11target_archE1200ELNS1_3gpuE4ELNS1_3repE0EEENS1_30default_config_static_selectorELNS0_4arch9wavefront6targetE0EEEvSY_ ; -- Begin function _ZN7rocprim17ROCPRIM_400000_NS6detail17trampoline_kernelINS0_13select_configILj256ELj13ELNS0_17block_load_methodE3ELS4_3ELS4_3ELNS0_20block_scan_algorithmE0ELj4294967295EEENS1_25partition_config_selectorILNS1_17partition_subalgoE3EjNS0_10empty_typeEbEEZZNS1_14partition_implILS8_3ELb0ES6_jNS0_17counting_iteratorIjlEEPS9_SE_NS0_5tupleIJPjSE_EEENSF_IJSE_SE_EEES9_SG_JZNS1_25segmented_radix_sort_implINS0_14default_configELb1EPKdPdPKlPlN2at6native12_GLOBAL__N_18offset_tEEE10hipError_tPvRmT1_PNSt15iterator_traitsISY_E10value_typeET2_T3_PNSZ_IS14_E10value_typeET4_jRbjT5_S1A_jjP12ihipStream_tbEUljE_EEESV_SW_SX_S14_S18_S1A_T6_T7_T9_mT8_S1C_bDpT10_ENKUlT_T0_E_clISt17integral_constantIbLb1EES1P_EEDaS1K_S1L_EUlS1K_E_NS1_11comp_targetILNS1_3genE10ELNS1_11target_archE1200ELNS1_3gpuE4ELNS1_3repE0EEENS1_30default_config_static_selectorELNS0_4arch9wavefront6targetE0EEEvSY_
	.p2align	8
	.type	_ZN7rocprim17ROCPRIM_400000_NS6detail17trampoline_kernelINS0_13select_configILj256ELj13ELNS0_17block_load_methodE3ELS4_3ELS4_3ELNS0_20block_scan_algorithmE0ELj4294967295EEENS1_25partition_config_selectorILNS1_17partition_subalgoE3EjNS0_10empty_typeEbEEZZNS1_14partition_implILS8_3ELb0ES6_jNS0_17counting_iteratorIjlEEPS9_SE_NS0_5tupleIJPjSE_EEENSF_IJSE_SE_EEES9_SG_JZNS1_25segmented_radix_sort_implINS0_14default_configELb1EPKdPdPKlPlN2at6native12_GLOBAL__N_18offset_tEEE10hipError_tPvRmT1_PNSt15iterator_traitsISY_E10value_typeET2_T3_PNSZ_IS14_E10value_typeET4_jRbjT5_S1A_jjP12ihipStream_tbEUljE_EEESV_SW_SX_S14_S18_S1A_T6_T7_T9_mT8_S1C_bDpT10_ENKUlT_T0_E_clISt17integral_constantIbLb1EES1P_EEDaS1K_S1L_EUlS1K_E_NS1_11comp_targetILNS1_3genE10ELNS1_11target_archE1200ELNS1_3gpuE4ELNS1_3repE0EEENS1_30default_config_static_selectorELNS0_4arch9wavefront6targetE0EEEvSY_,@function
_ZN7rocprim17ROCPRIM_400000_NS6detail17trampoline_kernelINS0_13select_configILj256ELj13ELNS0_17block_load_methodE3ELS4_3ELS4_3ELNS0_20block_scan_algorithmE0ELj4294967295EEENS1_25partition_config_selectorILNS1_17partition_subalgoE3EjNS0_10empty_typeEbEEZZNS1_14partition_implILS8_3ELb0ES6_jNS0_17counting_iteratorIjlEEPS9_SE_NS0_5tupleIJPjSE_EEENSF_IJSE_SE_EEES9_SG_JZNS1_25segmented_radix_sort_implINS0_14default_configELb1EPKdPdPKlPlN2at6native12_GLOBAL__N_18offset_tEEE10hipError_tPvRmT1_PNSt15iterator_traitsISY_E10value_typeET2_T3_PNSZ_IS14_E10value_typeET4_jRbjT5_S1A_jjP12ihipStream_tbEUljE_EEESV_SW_SX_S14_S18_S1A_T6_T7_T9_mT8_S1C_bDpT10_ENKUlT_T0_E_clISt17integral_constantIbLb1EES1P_EEDaS1K_S1L_EUlS1K_E_NS1_11comp_targetILNS1_3genE10ELNS1_11target_archE1200ELNS1_3gpuE4ELNS1_3repE0EEENS1_30default_config_static_selectorELNS0_4arch9wavefront6targetE0EEEvSY_: ; @_ZN7rocprim17ROCPRIM_400000_NS6detail17trampoline_kernelINS0_13select_configILj256ELj13ELNS0_17block_load_methodE3ELS4_3ELS4_3ELNS0_20block_scan_algorithmE0ELj4294967295EEENS1_25partition_config_selectorILNS1_17partition_subalgoE3EjNS0_10empty_typeEbEEZZNS1_14partition_implILS8_3ELb0ES6_jNS0_17counting_iteratorIjlEEPS9_SE_NS0_5tupleIJPjSE_EEENSF_IJSE_SE_EEES9_SG_JZNS1_25segmented_radix_sort_implINS0_14default_configELb1EPKdPdPKlPlN2at6native12_GLOBAL__N_18offset_tEEE10hipError_tPvRmT1_PNSt15iterator_traitsISY_E10value_typeET2_T3_PNSZ_IS14_E10value_typeET4_jRbjT5_S1A_jjP12ihipStream_tbEUljE_EEESV_SW_SX_S14_S18_S1A_T6_T7_T9_mT8_S1C_bDpT10_ENKUlT_T0_E_clISt17integral_constantIbLb1EES1P_EEDaS1K_S1L_EUlS1K_E_NS1_11comp_targetILNS1_3genE10ELNS1_11target_archE1200ELNS1_3gpuE4ELNS1_3repE0EEENS1_30default_config_static_selectorELNS0_4arch9wavefront6targetE0EEEvSY_
; %bb.0:
	.section	.rodata,"a",@progbits
	.p2align	6, 0x0
	.amdhsa_kernel _ZN7rocprim17ROCPRIM_400000_NS6detail17trampoline_kernelINS0_13select_configILj256ELj13ELNS0_17block_load_methodE3ELS4_3ELS4_3ELNS0_20block_scan_algorithmE0ELj4294967295EEENS1_25partition_config_selectorILNS1_17partition_subalgoE3EjNS0_10empty_typeEbEEZZNS1_14partition_implILS8_3ELb0ES6_jNS0_17counting_iteratorIjlEEPS9_SE_NS0_5tupleIJPjSE_EEENSF_IJSE_SE_EEES9_SG_JZNS1_25segmented_radix_sort_implINS0_14default_configELb1EPKdPdPKlPlN2at6native12_GLOBAL__N_18offset_tEEE10hipError_tPvRmT1_PNSt15iterator_traitsISY_E10value_typeET2_T3_PNSZ_IS14_E10value_typeET4_jRbjT5_S1A_jjP12ihipStream_tbEUljE_EEESV_SW_SX_S14_S18_S1A_T6_T7_T9_mT8_S1C_bDpT10_ENKUlT_T0_E_clISt17integral_constantIbLb1EES1P_EEDaS1K_S1L_EUlS1K_E_NS1_11comp_targetILNS1_3genE10ELNS1_11target_archE1200ELNS1_3gpuE4ELNS1_3repE0EEENS1_30default_config_static_selectorELNS0_4arch9wavefront6targetE0EEEvSY_
		.amdhsa_group_segment_fixed_size 0
		.amdhsa_private_segment_fixed_size 0
		.amdhsa_kernarg_size 152
		.amdhsa_user_sgpr_count 2
		.amdhsa_user_sgpr_dispatch_ptr 0
		.amdhsa_user_sgpr_queue_ptr 0
		.amdhsa_user_sgpr_kernarg_segment_ptr 1
		.amdhsa_user_sgpr_dispatch_id 0
		.amdhsa_user_sgpr_kernarg_preload_length 0
		.amdhsa_user_sgpr_kernarg_preload_offset 0
		.amdhsa_user_sgpr_private_segment_size 0
		.amdhsa_wavefront_size32 1
		.amdhsa_uses_dynamic_stack 0
		.amdhsa_enable_private_segment 0
		.amdhsa_system_sgpr_workgroup_id_x 1
		.amdhsa_system_sgpr_workgroup_id_y 0
		.amdhsa_system_sgpr_workgroup_id_z 0
		.amdhsa_system_sgpr_workgroup_info 0
		.amdhsa_system_vgpr_workitem_id 0
		.amdhsa_next_free_vgpr 1
		.amdhsa_next_free_sgpr 1
		.amdhsa_named_barrier_count 0
		.amdhsa_reserve_vcc 0
		.amdhsa_float_round_mode_32 0
		.amdhsa_float_round_mode_16_64 0
		.amdhsa_float_denorm_mode_32 3
		.amdhsa_float_denorm_mode_16_64 3
		.amdhsa_fp16_overflow 0
		.amdhsa_memory_ordered 1
		.amdhsa_forward_progress 1
		.amdhsa_inst_pref_size 0
		.amdhsa_round_robin_scheduling 0
		.amdhsa_exception_fp_ieee_invalid_op 0
		.amdhsa_exception_fp_denorm_src 0
		.amdhsa_exception_fp_ieee_div_zero 0
		.amdhsa_exception_fp_ieee_overflow 0
		.amdhsa_exception_fp_ieee_underflow 0
		.amdhsa_exception_fp_ieee_inexact 0
		.amdhsa_exception_int_div_zero 0
	.end_amdhsa_kernel
	.section	.text._ZN7rocprim17ROCPRIM_400000_NS6detail17trampoline_kernelINS0_13select_configILj256ELj13ELNS0_17block_load_methodE3ELS4_3ELS4_3ELNS0_20block_scan_algorithmE0ELj4294967295EEENS1_25partition_config_selectorILNS1_17partition_subalgoE3EjNS0_10empty_typeEbEEZZNS1_14partition_implILS8_3ELb0ES6_jNS0_17counting_iteratorIjlEEPS9_SE_NS0_5tupleIJPjSE_EEENSF_IJSE_SE_EEES9_SG_JZNS1_25segmented_radix_sort_implINS0_14default_configELb1EPKdPdPKlPlN2at6native12_GLOBAL__N_18offset_tEEE10hipError_tPvRmT1_PNSt15iterator_traitsISY_E10value_typeET2_T3_PNSZ_IS14_E10value_typeET4_jRbjT5_S1A_jjP12ihipStream_tbEUljE_EEESV_SW_SX_S14_S18_S1A_T6_T7_T9_mT8_S1C_bDpT10_ENKUlT_T0_E_clISt17integral_constantIbLb1EES1P_EEDaS1K_S1L_EUlS1K_E_NS1_11comp_targetILNS1_3genE10ELNS1_11target_archE1200ELNS1_3gpuE4ELNS1_3repE0EEENS1_30default_config_static_selectorELNS0_4arch9wavefront6targetE0EEEvSY_,"axG",@progbits,_ZN7rocprim17ROCPRIM_400000_NS6detail17trampoline_kernelINS0_13select_configILj256ELj13ELNS0_17block_load_methodE3ELS4_3ELS4_3ELNS0_20block_scan_algorithmE0ELj4294967295EEENS1_25partition_config_selectorILNS1_17partition_subalgoE3EjNS0_10empty_typeEbEEZZNS1_14partition_implILS8_3ELb0ES6_jNS0_17counting_iteratorIjlEEPS9_SE_NS0_5tupleIJPjSE_EEENSF_IJSE_SE_EEES9_SG_JZNS1_25segmented_radix_sort_implINS0_14default_configELb1EPKdPdPKlPlN2at6native12_GLOBAL__N_18offset_tEEE10hipError_tPvRmT1_PNSt15iterator_traitsISY_E10value_typeET2_T3_PNSZ_IS14_E10value_typeET4_jRbjT5_S1A_jjP12ihipStream_tbEUljE_EEESV_SW_SX_S14_S18_S1A_T6_T7_T9_mT8_S1C_bDpT10_ENKUlT_T0_E_clISt17integral_constantIbLb1EES1P_EEDaS1K_S1L_EUlS1K_E_NS1_11comp_targetILNS1_3genE10ELNS1_11target_archE1200ELNS1_3gpuE4ELNS1_3repE0EEENS1_30default_config_static_selectorELNS0_4arch9wavefront6targetE0EEEvSY_,comdat
.Lfunc_end1093:
	.size	_ZN7rocprim17ROCPRIM_400000_NS6detail17trampoline_kernelINS0_13select_configILj256ELj13ELNS0_17block_load_methodE3ELS4_3ELS4_3ELNS0_20block_scan_algorithmE0ELj4294967295EEENS1_25partition_config_selectorILNS1_17partition_subalgoE3EjNS0_10empty_typeEbEEZZNS1_14partition_implILS8_3ELb0ES6_jNS0_17counting_iteratorIjlEEPS9_SE_NS0_5tupleIJPjSE_EEENSF_IJSE_SE_EEES9_SG_JZNS1_25segmented_radix_sort_implINS0_14default_configELb1EPKdPdPKlPlN2at6native12_GLOBAL__N_18offset_tEEE10hipError_tPvRmT1_PNSt15iterator_traitsISY_E10value_typeET2_T3_PNSZ_IS14_E10value_typeET4_jRbjT5_S1A_jjP12ihipStream_tbEUljE_EEESV_SW_SX_S14_S18_S1A_T6_T7_T9_mT8_S1C_bDpT10_ENKUlT_T0_E_clISt17integral_constantIbLb1EES1P_EEDaS1K_S1L_EUlS1K_E_NS1_11comp_targetILNS1_3genE10ELNS1_11target_archE1200ELNS1_3gpuE4ELNS1_3repE0EEENS1_30default_config_static_selectorELNS0_4arch9wavefront6targetE0EEEvSY_, .Lfunc_end1093-_ZN7rocprim17ROCPRIM_400000_NS6detail17trampoline_kernelINS0_13select_configILj256ELj13ELNS0_17block_load_methodE3ELS4_3ELS4_3ELNS0_20block_scan_algorithmE0ELj4294967295EEENS1_25partition_config_selectorILNS1_17partition_subalgoE3EjNS0_10empty_typeEbEEZZNS1_14partition_implILS8_3ELb0ES6_jNS0_17counting_iteratorIjlEEPS9_SE_NS0_5tupleIJPjSE_EEENSF_IJSE_SE_EEES9_SG_JZNS1_25segmented_radix_sort_implINS0_14default_configELb1EPKdPdPKlPlN2at6native12_GLOBAL__N_18offset_tEEE10hipError_tPvRmT1_PNSt15iterator_traitsISY_E10value_typeET2_T3_PNSZ_IS14_E10value_typeET4_jRbjT5_S1A_jjP12ihipStream_tbEUljE_EEESV_SW_SX_S14_S18_S1A_T6_T7_T9_mT8_S1C_bDpT10_ENKUlT_T0_E_clISt17integral_constantIbLb1EES1P_EEDaS1K_S1L_EUlS1K_E_NS1_11comp_targetILNS1_3genE10ELNS1_11target_archE1200ELNS1_3gpuE4ELNS1_3repE0EEENS1_30default_config_static_selectorELNS0_4arch9wavefront6targetE0EEEvSY_
                                        ; -- End function
	.set _ZN7rocprim17ROCPRIM_400000_NS6detail17trampoline_kernelINS0_13select_configILj256ELj13ELNS0_17block_load_methodE3ELS4_3ELS4_3ELNS0_20block_scan_algorithmE0ELj4294967295EEENS1_25partition_config_selectorILNS1_17partition_subalgoE3EjNS0_10empty_typeEbEEZZNS1_14partition_implILS8_3ELb0ES6_jNS0_17counting_iteratorIjlEEPS9_SE_NS0_5tupleIJPjSE_EEENSF_IJSE_SE_EEES9_SG_JZNS1_25segmented_radix_sort_implINS0_14default_configELb1EPKdPdPKlPlN2at6native12_GLOBAL__N_18offset_tEEE10hipError_tPvRmT1_PNSt15iterator_traitsISY_E10value_typeET2_T3_PNSZ_IS14_E10value_typeET4_jRbjT5_S1A_jjP12ihipStream_tbEUljE_EEESV_SW_SX_S14_S18_S1A_T6_T7_T9_mT8_S1C_bDpT10_ENKUlT_T0_E_clISt17integral_constantIbLb1EES1P_EEDaS1K_S1L_EUlS1K_E_NS1_11comp_targetILNS1_3genE10ELNS1_11target_archE1200ELNS1_3gpuE4ELNS1_3repE0EEENS1_30default_config_static_selectorELNS0_4arch9wavefront6targetE0EEEvSY_.num_vgpr, 0
	.set _ZN7rocprim17ROCPRIM_400000_NS6detail17trampoline_kernelINS0_13select_configILj256ELj13ELNS0_17block_load_methodE3ELS4_3ELS4_3ELNS0_20block_scan_algorithmE0ELj4294967295EEENS1_25partition_config_selectorILNS1_17partition_subalgoE3EjNS0_10empty_typeEbEEZZNS1_14partition_implILS8_3ELb0ES6_jNS0_17counting_iteratorIjlEEPS9_SE_NS0_5tupleIJPjSE_EEENSF_IJSE_SE_EEES9_SG_JZNS1_25segmented_radix_sort_implINS0_14default_configELb1EPKdPdPKlPlN2at6native12_GLOBAL__N_18offset_tEEE10hipError_tPvRmT1_PNSt15iterator_traitsISY_E10value_typeET2_T3_PNSZ_IS14_E10value_typeET4_jRbjT5_S1A_jjP12ihipStream_tbEUljE_EEESV_SW_SX_S14_S18_S1A_T6_T7_T9_mT8_S1C_bDpT10_ENKUlT_T0_E_clISt17integral_constantIbLb1EES1P_EEDaS1K_S1L_EUlS1K_E_NS1_11comp_targetILNS1_3genE10ELNS1_11target_archE1200ELNS1_3gpuE4ELNS1_3repE0EEENS1_30default_config_static_selectorELNS0_4arch9wavefront6targetE0EEEvSY_.num_agpr, 0
	.set _ZN7rocprim17ROCPRIM_400000_NS6detail17trampoline_kernelINS0_13select_configILj256ELj13ELNS0_17block_load_methodE3ELS4_3ELS4_3ELNS0_20block_scan_algorithmE0ELj4294967295EEENS1_25partition_config_selectorILNS1_17partition_subalgoE3EjNS0_10empty_typeEbEEZZNS1_14partition_implILS8_3ELb0ES6_jNS0_17counting_iteratorIjlEEPS9_SE_NS0_5tupleIJPjSE_EEENSF_IJSE_SE_EEES9_SG_JZNS1_25segmented_radix_sort_implINS0_14default_configELb1EPKdPdPKlPlN2at6native12_GLOBAL__N_18offset_tEEE10hipError_tPvRmT1_PNSt15iterator_traitsISY_E10value_typeET2_T3_PNSZ_IS14_E10value_typeET4_jRbjT5_S1A_jjP12ihipStream_tbEUljE_EEESV_SW_SX_S14_S18_S1A_T6_T7_T9_mT8_S1C_bDpT10_ENKUlT_T0_E_clISt17integral_constantIbLb1EES1P_EEDaS1K_S1L_EUlS1K_E_NS1_11comp_targetILNS1_3genE10ELNS1_11target_archE1200ELNS1_3gpuE4ELNS1_3repE0EEENS1_30default_config_static_selectorELNS0_4arch9wavefront6targetE0EEEvSY_.numbered_sgpr, 0
	.set _ZN7rocprim17ROCPRIM_400000_NS6detail17trampoline_kernelINS0_13select_configILj256ELj13ELNS0_17block_load_methodE3ELS4_3ELS4_3ELNS0_20block_scan_algorithmE0ELj4294967295EEENS1_25partition_config_selectorILNS1_17partition_subalgoE3EjNS0_10empty_typeEbEEZZNS1_14partition_implILS8_3ELb0ES6_jNS0_17counting_iteratorIjlEEPS9_SE_NS0_5tupleIJPjSE_EEENSF_IJSE_SE_EEES9_SG_JZNS1_25segmented_radix_sort_implINS0_14default_configELb1EPKdPdPKlPlN2at6native12_GLOBAL__N_18offset_tEEE10hipError_tPvRmT1_PNSt15iterator_traitsISY_E10value_typeET2_T3_PNSZ_IS14_E10value_typeET4_jRbjT5_S1A_jjP12ihipStream_tbEUljE_EEESV_SW_SX_S14_S18_S1A_T6_T7_T9_mT8_S1C_bDpT10_ENKUlT_T0_E_clISt17integral_constantIbLb1EES1P_EEDaS1K_S1L_EUlS1K_E_NS1_11comp_targetILNS1_3genE10ELNS1_11target_archE1200ELNS1_3gpuE4ELNS1_3repE0EEENS1_30default_config_static_selectorELNS0_4arch9wavefront6targetE0EEEvSY_.num_named_barrier, 0
	.set _ZN7rocprim17ROCPRIM_400000_NS6detail17trampoline_kernelINS0_13select_configILj256ELj13ELNS0_17block_load_methodE3ELS4_3ELS4_3ELNS0_20block_scan_algorithmE0ELj4294967295EEENS1_25partition_config_selectorILNS1_17partition_subalgoE3EjNS0_10empty_typeEbEEZZNS1_14partition_implILS8_3ELb0ES6_jNS0_17counting_iteratorIjlEEPS9_SE_NS0_5tupleIJPjSE_EEENSF_IJSE_SE_EEES9_SG_JZNS1_25segmented_radix_sort_implINS0_14default_configELb1EPKdPdPKlPlN2at6native12_GLOBAL__N_18offset_tEEE10hipError_tPvRmT1_PNSt15iterator_traitsISY_E10value_typeET2_T3_PNSZ_IS14_E10value_typeET4_jRbjT5_S1A_jjP12ihipStream_tbEUljE_EEESV_SW_SX_S14_S18_S1A_T6_T7_T9_mT8_S1C_bDpT10_ENKUlT_T0_E_clISt17integral_constantIbLb1EES1P_EEDaS1K_S1L_EUlS1K_E_NS1_11comp_targetILNS1_3genE10ELNS1_11target_archE1200ELNS1_3gpuE4ELNS1_3repE0EEENS1_30default_config_static_selectorELNS0_4arch9wavefront6targetE0EEEvSY_.private_seg_size, 0
	.set _ZN7rocprim17ROCPRIM_400000_NS6detail17trampoline_kernelINS0_13select_configILj256ELj13ELNS0_17block_load_methodE3ELS4_3ELS4_3ELNS0_20block_scan_algorithmE0ELj4294967295EEENS1_25partition_config_selectorILNS1_17partition_subalgoE3EjNS0_10empty_typeEbEEZZNS1_14partition_implILS8_3ELb0ES6_jNS0_17counting_iteratorIjlEEPS9_SE_NS0_5tupleIJPjSE_EEENSF_IJSE_SE_EEES9_SG_JZNS1_25segmented_radix_sort_implINS0_14default_configELb1EPKdPdPKlPlN2at6native12_GLOBAL__N_18offset_tEEE10hipError_tPvRmT1_PNSt15iterator_traitsISY_E10value_typeET2_T3_PNSZ_IS14_E10value_typeET4_jRbjT5_S1A_jjP12ihipStream_tbEUljE_EEESV_SW_SX_S14_S18_S1A_T6_T7_T9_mT8_S1C_bDpT10_ENKUlT_T0_E_clISt17integral_constantIbLb1EES1P_EEDaS1K_S1L_EUlS1K_E_NS1_11comp_targetILNS1_3genE10ELNS1_11target_archE1200ELNS1_3gpuE4ELNS1_3repE0EEENS1_30default_config_static_selectorELNS0_4arch9wavefront6targetE0EEEvSY_.uses_vcc, 0
	.set _ZN7rocprim17ROCPRIM_400000_NS6detail17trampoline_kernelINS0_13select_configILj256ELj13ELNS0_17block_load_methodE3ELS4_3ELS4_3ELNS0_20block_scan_algorithmE0ELj4294967295EEENS1_25partition_config_selectorILNS1_17partition_subalgoE3EjNS0_10empty_typeEbEEZZNS1_14partition_implILS8_3ELb0ES6_jNS0_17counting_iteratorIjlEEPS9_SE_NS0_5tupleIJPjSE_EEENSF_IJSE_SE_EEES9_SG_JZNS1_25segmented_radix_sort_implINS0_14default_configELb1EPKdPdPKlPlN2at6native12_GLOBAL__N_18offset_tEEE10hipError_tPvRmT1_PNSt15iterator_traitsISY_E10value_typeET2_T3_PNSZ_IS14_E10value_typeET4_jRbjT5_S1A_jjP12ihipStream_tbEUljE_EEESV_SW_SX_S14_S18_S1A_T6_T7_T9_mT8_S1C_bDpT10_ENKUlT_T0_E_clISt17integral_constantIbLb1EES1P_EEDaS1K_S1L_EUlS1K_E_NS1_11comp_targetILNS1_3genE10ELNS1_11target_archE1200ELNS1_3gpuE4ELNS1_3repE0EEENS1_30default_config_static_selectorELNS0_4arch9wavefront6targetE0EEEvSY_.uses_flat_scratch, 0
	.set _ZN7rocprim17ROCPRIM_400000_NS6detail17trampoline_kernelINS0_13select_configILj256ELj13ELNS0_17block_load_methodE3ELS4_3ELS4_3ELNS0_20block_scan_algorithmE0ELj4294967295EEENS1_25partition_config_selectorILNS1_17partition_subalgoE3EjNS0_10empty_typeEbEEZZNS1_14partition_implILS8_3ELb0ES6_jNS0_17counting_iteratorIjlEEPS9_SE_NS0_5tupleIJPjSE_EEENSF_IJSE_SE_EEES9_SG_JZNS1_25segmented_radix_sort_implINS0_14default_configELb1EPKdPdPKlPlN2at6native12_GLOBAL__N_18offset_tEEE10hipError_tPvRmT1_PNSt15iterator_traitsISY_E10value_typeET2_T3_PNSZ_IS14_E10value_typeET4_jRbjT5_S1A_jjP12ihipStream_tbEUljE_EEESV_SW_SX_S14_S18_S1A_T6_T7_T9_mT8_S1C_bDpT10_ENKUlT_T0_E_clISt17integral_constantIbLb1EES1P_EEDaS1K_S1L_EUlS1K_E_NS1_11comp_targetILNS1_3genE10ELNS1_11target_archE1200ELNS1_3gpuE4ELNS1_3repE0EEENS1_30default_config_static_selectorELNS0_4arch9wavefront6targetE0EEEvSY_.has_dyn_sized_stack, 0
	.set _ZN7rocprim17ROCPRIM_400000_NS6detail17trampoline_kernelINS0_13select_configILj256ELj13ELNS0_17block_load_methodE3ELS4_3ELS4_3ELNS0_20block_scan_algorithmE0ELj4294967295EEENS1_25partition_config_selectorILNS1_17partition_subalgoE3EjNS0_10empty_typeEbEEZZNS1_14partition_implILS8_3ELb0ES6_jNS0_17counting_iteratorIjlEEPS9_SE_NS0_5tupleIJPjSE_EEENSF_IJSE_SE_EEES9_SG_JZNS1_25segmented_radix_sort_implINS0_14default_configELb1EPKdPdPKlPlN2at6native12_GLOBAL__N_18offset_tEEE10hipError_tPvRmT1_PNSt15iterator_traitsISY_E10value_typeET2_T3_PNSZ_IS14_E10value_typeET4_jRbjT5_S1A_jjP12ihipStream_tbEUljE_EEESV_SW_SX_S14_S18_S1A_T6_T7_T9_mT8_S1C_bDpT10_ENKUlT_T0_E_clISt17integral_constantIbLb1EES1P_EEDaS1K_S1L_EUlS1K_E_NS1_11comp_targetILNS1_3genE10ELNS1_11target_archE1200ELNS1_3gpuE4ELNS1_3repE0EEENS1_30default_config_static_selectorELNS0_4arch9wavefront6targetE0EEEvSY_.has_recursion, 0
	.set _ZN7rocprim17ROCPRIM_400000_NS6detail17trampoline_kernelINS0_13select_configILj256ELj13ELNS0_17block_load_methodE3ELS4_3ELS4_3ELNS0_20block_scan_algorithmE0ELj4294967295EEENS1_25partition_config_selectorILNS1_17partition_subalgoE3EjNS0_10empty_typeEbEEZZNS1_14partition_implILS8_3ELb0ES6_jNS0_17counting_iteratorIjlEEPS9_SE_NS0_5tupleIJPjSE_EEENSF_IJSE_SE_EEES9_SG_JZNS1_25segmented_radix_sort_implINS0_14default_configELb1EPKdPdPKlPlN2at6native12_GLOBAL__N_18offset_tEEE10hipError_tPvRmT1_PNSt15iterator_traitsISY_E10value_typeET2_T3_PNSZ_IS14_E10value_typeET4_jRbjT5_S1A_jjP12ihipStream_tbEUljE_EEESV_SW_SX_S14_S18_S1A_T6_T7_T9_mT8_S1C_bDpT10_ENKUlT_T0_E_clISt17integral_constantIbLb1EES1P_EEDaS1K_S1L_EUlS1K_E_NS1_11comp_targetILNS1_3genE10ELNS1_11target_archE1200ELNS1_3gpuE4ELNS1_3repE0EEENS1_30default_config_static_selectorELNS0_4arch9wavefront6targetE0EEEvSY_.has_indirect_call, 0
	.section	.AMDGPU.csdata,"",@progbits
; Kernel info:
; codeLenInByte = 0
; TotalNumSgprs: 0
; NumVgprs: 0
; ScratchSize: 0
; MemoryBound: 0
; FloatMode: 240
; IeeeMode: 1
; LDSByteSize: 0 bytes/workgroup (compile time only)
; SGPRBlocks: 0
; VGPRBlocks: 0
; NumSGPRsForWavesPerEU: 1
; NumVGPRsForWavesPerEU: 1
; NamedBarCnt: 0
; Occupancy: 16
; WaveLimiterHint : 0
; COMPUTE_PGM_RSRC2:SCRATCH_EN: 0
; COMPUTE_PGM_RSRC2:USER_SGPR: 2
; COMPUTE_PGM_RSRC2:TRAP_HANDLER: 0
; COMPUTE_PGM_RSRC2:TGID_X_EN: 1
; COMPUTE_PGM_RSRC2:TGID_Y_EN: 0
; COMPUTE_PGM_RSRC2:TGID_Z_EN: 0
; COMPUTE_PGM_RSRC2:TIDIG_COMP_CNT: 0
	.section	.text._ZN7rocprim17ROCPRIM_400000_NS6detail17trampoline_kernelINS0_13select_configILj256ELj13ELNS0_17block_load_methodE3ELS4_3ELS4_3ELNS0_20block_scan_algorithmE0ELj4294967295EEENS1_25partition_config_selectorILNS1_17partition_subalgoE3EjNS0_10empty_typeEbEEZZNS1_14partition_implILS8_3ELb0ES6_jNS0_17counting_iteratorIjlEEPS9_SE_NS0_5tupleIJPjSE_EEENSF_IJSE_SE_EEES9_SG_JZNS1_25segmented_radix_sort_implINS0_14default_configELb1EPKdPdPKlPlN2at6native12_GLOBAL__N_18offset_tEEE10hipError_tPvRmT1_PNSt15iterator_traitsISY_E10value_typeET2_T3_PNSZ_IS14_E10value_typeET4_jRbjT5_S1A_jjP12ihipStream_tbEUljE_EEESV_SW_SX_S14_S18_S1A_T6_T7_T9_mT8_S1C_bDpT10_ENKUlT_T0_E_clISt17integral_constantIbLb1EES1P_EEDaS1K_S1L_EUlS1K_E_NS1_11comp_targetILNS1_3genE9ELNS1_11target_archE1100ELNS1_3gpuE3ELNS1_3repE0EEENS1_30default_config_static_selectorELNS0_4arch9wavefront6targetE0EEEvSY_,"axG",@progbits,_ZN7rocprim17ROCPRIM_400000_NS6detail17trampoline_kernelINS0_13select_configILj256ELj13ELNS0_17block_load_methodE3ELS4_3ELS4_3ELNS0_20block_scan_algorithmE0ELj4294967295EEENS1_25partition_config_selectorILNS1_17partition_subalgoE3EjNS0_10empty_typeEbEEZZNS1_14partition_implILS8_3ELb0ES6_jNS0_17counting_iteratorIjlEEPS9_SE_NS0_5tupleIJPjSE_EEENSF_IJSE_SE_EEES9_SG_JZNS1_25segmented_radix_sort_implINS0_14default_configELb1EPKdPdPKlPlN2at6native12_GLOBAL__N_18offset_tEEE10hipError_tPvRmT1_PNSt15iterator_traitsISY_E10value_typeET2_T3_PNSZ_IS14_E10value_typeET4_jRbjT5_S1A_jjP12ihipStream_tbEUljE_EEESV_SW_SX_S14_S18_S1A_T6_T7_T9_mT8_S1C_bDpT10_ENKUlT_T0_E_clISt17integral_constantIbLb1EES1P_EEDaS1K_S1L_EUlS1K_E_NS1_11comp_targetILNS1_3genE9ELNS1_11target_archE1100ELNS1_3gpuE3ELNS1_3repE0EEENS1_30default_config_static_selectorELNS0_4arch9wavefront6targetE0EEEvSY_,comdat
	.globl	_ZN7rocprim17ROCPRIM_400000_NS6detail17trampoline_kernelINS0_13select_configILj256ELj13ELNS0_17block_load_methodE3ELS4_3ELS4_3ELNS0_20block_scan_algorithmE0ELj4294967295EEENS1_25partition_config_selectorILNS1_17partition_subalgoE3EjNS0_10empty_typeEbEEZZNS1_14partition_implILS8_3ELb0ES6_jNS0_17counting_iteratorIjlEEPS9_SE_NS0_5tupleIJPjSE_EEENSF_IJSE_SE_EEES9_SG_JZNS1_25segmented_radix_sort_implINS0_14default_configELb1EPKdPdPKlPlN2at6native12_GLOBAL__N_18offset_tEEE10hipError_tPvRmT1_PNSt15iterator_traitsISY_E10value_typeET2_T3_PNSZ_IS14_E10value_typeET4_jRbjT5_S1A_jjP12ihipStream_tbEUljE_EEESV_SW_SX_S14_S18_S1A_T6_T7_T9_mT8_S1C_bDpT10_ENKUlT_T0_E_clISt17integral_constantIbLb1EES1P_EEDaS1K_S1L_EUlS1K_E_NS1_11comp_targetILNS1_3genE9ELNS1_11target_archE1100ELNS1_3gpuE3ELNS1_3repE0EEENS1_30default_config_static_selectorELNS0_4arch9wavefront6targetE0EEEvSY_ ; -- Begin function _ZN7rocprim17ROCPRIM_400000_NS6detail17trampoline_kernelINS0_13select_configILj256ELj13ELNS0_17block_load_methodE3ELS4_3ELS4_3ELNS0_20block_scan_algorithmE0ELj4294967295EEENS1_25partition_config_selectorILNS1_17partition_subalgoE3EjNS0_10empty_typeEbEEZZNS1_14partition_implILS8_3ELb0ES6_jNS0_17counting_iteratorIjlEEPS9_SE_NS0_5tupleIJPjSE_EEENSF_IJSE_SE_EEES9_SG_JZNS1_25segmented_radix_sort_implINS0_14default_configELb1EPKdPdPKlPlN2at6native12_GLOBAL__N_18offset_tEEE10hipError_tPvRmT1_PNSt15iterator_traitsISY_E10value_typeET2_T3_PNSZ_IS14_E10value_typeET4_jRbjT5_S1A_jjP12ihipStream_tbEUljE_EEESV_SW_SX_S14_S18_S1A_T6_T7_T9_mT8_S1C_bDpT10_ENKUlT_T0_E_clISt17integral_constantIbLb1EES1P_EEDaS1K_S1L_EUlS1K_E_NS1_11comp_targetILNS1_3genE9ELNS1_11target_archE1100ELNS1_3gpuE3ELNS1_3repE0EEENS1_30default_config_static_selectorELNS0_4arch9wavefront6targetE0EEEvSY_
	.p2align	8
	.type	_ZN7rocprim17ROCPRIM_400000_NS6detail17trampoline_kernelINS0_13select_configILj256ELj13ELNS0_17block_load_methodE3ELS4_3ELS4_3ELNS0_20block_scan_algorithmE0ELj4294967295EEENS1_25partition_config_selectorILNS1_17partition_subalgoE3EjNS0_10empty_typeEbEEZZNS1_14partition_implILS8_3ELb0ES6_jNS0_17counting_iteratorIjlEEPS9_SE_NS0_5tupleIJPjSE_EEENSF_IJSE_SE_EEES9_SG_JZNS1_25segmented_radix_sort_implINS0_14default_configELb1EPKdPdPKlPlN2at6native12_GLOBAL__N_18offset_tEEE10hipError_tPvRmT1_PNSt15iterator_traitsISY_E10value_typeET2_T3_PNSZ_IS14_E10value_typeET4_jRbjT5_S1A_jjP12ihipStream_tbEUljE_EEESV_SW_SX_S14_S18_S1A_T6_T7_T9_mT8_S1C_bDpT10_ENKUlT_T0_E_clISt17integral_constantIbLb1EES1P_EEDaS1K_S1L_EUlS1K_E_NS1_11comp_targetILNS1_3genE9ELNS1_11target_archE1100ELNS1_3gpuE3ELNS1_3repE0EEENS1_30default_config_static_selectorELNS0_4arch9wavefront6targetE0EEEvSY_,@function
_ZN7rocprim17ROCPRIM_400000_NS6detail17trampoline_kernelINS0_13select_configILj256ELj13ELNS0_17block_load_methodE3ELS4_3ELS4_3ELNS0_20block_scan_algorithmE0ELj4294967295EEENS1_25partition_config_selectorILNS1_17partition_subalgoE3EjNS0_10empty_typeEbEEZZNS1_14partition_implILS8_3ELb0ES6_jNS0_17counting_iteratorIjlEEPS9_SE_NS0_5tupleIJPjSE_EEENSF_IJSE_SE_EEES9_SG_JZNS1_25segmented_radix_sort_implINS0_14default_configELb1EPKdPdPKlPlN2at6native12_GLOBAL__N_18offset_tEEE10hipError_tPvRmT1_PNSt15iterator_traitsISY_E10value_typeET2_T3_PNSZ_IS14_E10value_typeET4_jRbjT5_S1A_jjP12ihipStream_tbEUljE_EEESV_SW_SX_S14_S18_S1A_T6_T7_T9_mT8_S1C_bDpT10_ENKUlT_T0_E_clISt17integral_constantIbLb1EES1P_EEDaS1K_S1L_EUlS1K_E_NS1_11comp_targetILNS1_3genE9ELNS1_11target_archE1100ELNS1_3gpuE3ELNS1_3repE0EEENS1_30default_config_static_selectorELNS0_4arch9wavefront6targetE0EEEvSY_: ; @_ZN7rocprim17ROCPRIM_400000_NS6detail17trampoline_kernelINS0_13select_configILj256ELj13ELNS0_17block_load_methodE3ELS4_3ELS4_3ELNS0_20block_scan_algorithmE0ELj4294967295EEENS1_25partition_config_selectorILNS1_17partition_subalgoE3EjNS0_10empty_typeEbEEZZNS1_14partition_implILS8_3ELb0ES6_jNS0_17counting_iteratorIjlEEPS9_SE_NS0_5tupleIJPjSE_EEENSF_IJSE_SE_EEES9_SG_JZNS1_25segmented_radix_sort_implINS0_14default_configELb1EPKdPdPKlPlN2at6native12_GLOBAL__N_18offset_tEEE10hipError_tPvRmT1_PNSt15iterator_traitsISY_E10value_typeET2_T3_PNSZ_IS14_E10value_typeET4_jRbjT5_S1A_jjP12ihipStream_tbEUljE_EEESV_SW_SX_S14_S18_S1A_T6_T7_T9_mT8_S1C_bDpT10_ENKUlT_T0_E_clISt17integral_constantIbLb1EES1P_EEDaS1K_S1L_EUlS1K_E_NS1_11comp_targetILNS1_3genE9ELNS1_11target_archE1100ELNS1_3gpuE3ELNS1_3repE0EEENS1_30default_config_static_selectorELNS0_4arch9wavefront6targetE0EEEvSY_
; %bb.0:
	.section	.rodata,"a",@progbits
	.p2align	6, 0x0
	.amdhsa_kernel _ZN7rocprim17ROCPRIM_400000_NS6detail17trampoline_kernelINS0_13select_configILj256ELj13ELNS0_17block_load_methodE3ELS4_3ELS4_3ELNS0_20block_scan_algorithmE0ELj4294967295EEENS1_25partition_config_selectorILNS1_17partition_subalgoE3EjNS0_10empty_typeEbEEZZNS1_14partition_implILS8_3ELb0ES6_jNS0_17counting_iteratorIjlEEPS9_SE_NS0_5tupleIJPjSE_EEENSF_IJSE_SE_EEES9_SG_JZNS1_25segmented_radix_sort_implINS0_14default_configELb1EPKdPdPKlPlN2at6native12_GLOBAL__N_18offset_tEEE10hipError_tPvRmT1_PNSt15iterator_traitsISY_E10value_typeET2_T3_PNSZ_IS14_E10value_typeET4_jRbjT5_S1A_jjP12ihipStream_tbEUljE_EEESV_SW_SX_S14_S18_S1A_T6_T7_T9_mT8_S1C_bDpT10_ENKUlT_T0_E_clISt17integral_constantIbLb1EES1P_EEDaS1K_S1L_EUlS1K_E_NS1_11comp_targetILNS1_3genE9ELNS1_11target_archE1100ELNS1_3gpuE3ELNS1_3repE0EEENS1_30default_config_static_selectorELNS0_4arch9wavefront6targetE0EEEvSY_
		.amdhsa_group_segment_fixed_size 0
		.amdhsa_private_segment_fixed_size 0
		.amdhsa_kernarg_size 152
		.amdhsa_user_sgpr_count 2
		.amdhsa_user_sgpr_dispatch_ptr 0
		.amdhsa_user_sgpr_queue_ptr 0
		.amdhsa_user_sgpr_kernarg_segment_ptr 1
		.amdhsa_user_sgpr_dispatch_id 0
		.amdhsa_user_sgpr_kernarg_preload_length 0
		.amdhsa_user_sgpr_kernarg_preload_offset 0
		.amdhsa_user_sgpr_private_segment_size 0
		.amdhsa_wavefront_size32 1
		.amdhsa_uses_dynamic_stack 0
		.amdhsa_enable_private_segment 0
		.amdhsa_system_sgpr_workgroup_id_x 1
		.amdhsa_system_sgpr_workgroup_id_y 0
		.amdhsa_system_sgpr_workgroup_id_z 0
		.amdhsa_system_sgpr_workgroup_info 0
		.amdhsa_system_vgpr_workitem_id 0
		.amdhsa_next_free_vgpr 1
		.amdhsa_next_free_sgpr 1
		.amdhsa_named_barrier_count 0
		.amdhsa_reserve_vcc 0
		.amdhsa_float_round_mode_32 0
		.amdhsa_float_round_mode_16_64 0
		.amdhsa_float_denorm_mode_32 3
		.amdhsa_float_denorm_mode_16_64 3
		.amdhsa_fp16_overflow 0
		.amdhsa_memory_ordered 1
		.amdhsa_forward_progress 1
		.amdhsa_inst_pref_size 0
		.amdhsa_round_robin_scheduling 0
		.amdhsa_exception_fp_ieee_invalid_op 0
		.amdhsa_exception_fp_denorm_src 0
		.amdhsa_exception_fp_ieee_div_zero 0
		.amdhsa_exception_fp_ieee_overflow 0
		.amdhsa_exception_fp_ieee_underflow 0
		.amdhsa_exception_fp_ieee_inexact 0
		.amdhsa_exception_int_div_zero 0
	.end_amdhsa_kernel
	.section	.text._ZN7rocprim17ROCPRIM_400000_NS6detail17trampoline_kernelINS0_13select_configILj256ELj13ELNS0_17block_load_methodE3ELS4_3ELS4_3ELNS0_20block_scan_algorithmE0ELj4294967295EEENS1_25partition_config_selectorILNS1_17partition_subalgoE3EjNS0_10empty_typeEbEEZZNS1_14partition_implILS8_3ELb0ES6_jNS0_17counting_iteratorIjlEEPS9_SE_NS0_5tupleIJPjSE_EEENSF_IJSE_SE_EEES9_SG_JZNS1_25segmented_radix_sort_implINS0_14default_configELb1EPKdPdPKlPlN2at6native12_GLOBAL__N_18offset_tEEE10hipError_tPvRmT1_PNSt15iterator_traitsISY_E10value_typeET2_T3_PNSZ_IS14_E10value_typeET4_jRbjT5_S1A_jjP12ihipStream_tbEUljE_EEESV_SW_SX_S14_S18_S1A_T6_T7_T9_mT8_S1C_bDpT10_ENKUlT_T0_E_clISt17integral_constantIbLb1EES1P_EEDaS1K_S1L_EUlS1K_E_NS1_11comp_targetILNS1_3genE9ELNS1_11target_archE1100ELNS1_3gpuE3ELNS1_3repE0EEENS1_30default_config_static_selectorELNS0_4arch9wavefront6targetE0EEEvSY_,"axG",@progbits,_ZN7rocprim17ROCPRIM_400000_NS6detail17trampoline_kernelINS0_13select_configILj256ELj13ELNS0_17block_load_methodE3ELS4_3ELS4_3ELNS0_20block_scan_algorithmE0ELj4294967295EEENS1_25partition_config_selectorILNS1_17partition_subalgoE3EjNS0_10empty_typeEbEEZZNS1_14partition_implILS8_3ELb0ES6_jNS0_17counting_iteratorIjlEEPS9_SE_NS0_5tupleIJPjSE_EEENSF_IJSE_SE_EEES9_SG_JZNS1_25segmented_radix_sort_implINS0_14default_configELb1EPKdPdPKlPlN2at6native12_GLOBAL__N_18offset_tEEE10hipError_tPvRmT1_PNSt15iterator_traitsISY_E10value_typeET2_T3_PNSZ_IS14_E10value_typeET4_jRbjT5_S1A_jjP12ihipStream_tbEUljE_EEESV_SW_SX_S14_S18_S1A_T6_T7_T9_mT8_S1C_bDpT10_ENKUlT_T0_E_clISt17integral_constantIbLb1EES1P_EEDaS1K_S1L_EUlS1K_E_NS1_11comp_targetILNS1_3genE9ELNS1_11target_archE1100ELNS1_3gpuE3ELNS1_3repE0EEENS1_30default_config_static_selectorELNS0_4arch9wavefront6targetE0EEEvSY_,comdat
.Lfunc_end1094:
	.size	_ZN7rocprim17ROCPRIM_400000_NS6detail17trampoline_kernelINS0_13select_configILj256ELj13ELNS0_17block_load_methodE3ELS4_3ELS4_3ELNS0_20block_scan_algorithmE0ELj4294967295EEENS1_25partition_config_selectorILNS1_17partition_subalgoE3EjNS0_10empty_typeEbEEZZNS1_14partition_implILS8_3ELb0ES6_jNS0_17counting_iteratorIjlEEPS9_SE_NS0_5tupleIJPjSE_EEENSF_IJSE_SE_EEES9_SG_JZNS1_25segmented_radix_sort_implINS0_14default_configELb1EPKdPdPKlPlN2at6native12_GLOBAL__N_18offset_tEEE10hipError_tPvRmT1_PNSt15iterator_traitsISY_E10value_typeET2_T3_PNSZ_IS14_E10value_typeET4_jRbjT5_S1A_jjP12ihipStream_tbEUljE_EEESV_SW_SX_S14_S18_S1A_T6_T7_T9_mT8_S1C_bDpT10_ENKUlT_T0_E_clISt17integral_constantIbLb1EES1P_EEDaS1K_S1L_EUlS1K_E_NS1_11comp_targetILNS1_3genE9ELNS1_11target_archE1100ELNS1_3gpuE3ELNS1_3repE0EEENS1_30default_config_static_selectorELNS0_4arch9wavefront6targetE0EEEvSY_, .Lfunc_end1094-_ZN7rocprim17ROCPRIM_400000_NS6detail17trampoline_kernelINS0_13select_configILj256ELj13ELNS0_17block_load_methodE3ELS4_3ELS4_3ELNS0_20block_scan_algorithmE0ELj4294967295EEENS1_25partition_config_selectorILNS1_17partition_subalgoE3EjNS0_10empty_typeEbEEZZNS1_14partition_implILS8_3ELb0ES6_jNS0_17counting_iteratorIjlEEPS9_SE_NS0_5tupleIJPjSE_EEENSF_IJSE_SE_EEES9_SG_JZNS1_25segmented_radix_sort_implINS0_14default_configELb1EPKdPdPKlPlN2at6native12_GLOBAL__N_18offset_tEEE10hipError_tPvRmT1_PNSt15iterator_traitsISY_E10value_typeET2_T3_PNSZ_IS14_E10value_typeET4_jRbjT5_S1A_jjP12ihipStream_tbEUljE_EEESV_SW_SX_S14_S18_S1A_T6_T7_T9_mT8_S1C_bDpT10_ENKUlT_T0_E_clISt17integral_constantIbLb1EES1P_EEDaS1K_S1L_EUlS1K_E_NS1_11comp_targetILNS1_3genE9ELNS1_11target_archE1100ELNS1_3gpuE3ELNS1_3repE0EEENS1_30default_config_static_selectorELNS0_4arch9wavefront6targetE0EEEvSY_
                                        ; -- End function
	.set _ZN7rocprim17ROCPRIM_400000_NS6detail17trampoline_kernelINS0_13select_configILj256ELj13ELNS0_17block_load_methodE3ELS4_3ELS4_3ELNS0_20block_scan_algorithmE0ELj4294967295EEENS1_25partition_config_selectorILNS1_17partition_subalgoE3EjNS0_10empty_typeEbEEZZNS1_14partition_implILS8_3ELb0ES6_jNS0_17counting_iteratorIjlEEPS9_SE_NS0_5tupleIJPjSE_EEENSF_IJSE_SE_EEES9_SG_JZNS1_25segmented_radix_sort_implINS0_14default_configELb1EPKdPdPKlPlN2at6native12_GLOBAL__N_18offset_tEEE10hipError_tPvRmT1_PNSt15iterator_traitsISY_E10value_typeET2_T3_PNSZ_IS14_E10value_typeET4_jRbjT5_S1A_jjP12ihipStream_tbEUljE_EEESV_SW_SX_S14_S18_S1A_T6_T7_T9_mT8_S1C_bDpT10_ENKUlT_T0_E_clISt17integral_constantIbLb1EES1P_EEDaS1K_S1L_EUlS1K_E_NS1_11comp_targetILNS1_3genE9ELNS1_11target_archE1100ELNS1_3gpuE3ELNS1_3repE0EEENS1_30default_config_static_selectorELNS0_4arch9wavefront6targetE0EEEvSY_.num_vgpr, 0
	.set _ZN7rocprim17ROCPRIM_400000_NS6detail17trampoline_kernelINS0_13select_configILj256ELj13ELNS0_17block_load_methodE3ELS4_3ELS4_3ELNS0_20block_scan_algorithmE0ELj4294967295EEENS1_25partition_config_selectorILNS1_17partition_subalgoE3EjNS0_10empty_typeEbEEZZNS1_14partition_implILS8_3ELb0ES6_jNS0_17counting_iteratorIjlEEPS9_SE_NS0_5tupleIJPjSE_EEENSF_IJSE_SE_EEES9_SG_JZNS1_25segmented_radix_sort_implINS0_14default_configELb1EPKdPdPKlPlN2at6native12_GLOBAL__N_18offset_tEEE10hipError_tPvRmT1_PNSt15iterator_traitsISY_E10value_typeET2_T3_PNSZ_IS14_E10value_typeET4_jRbjT5_S1A_jjP12ihipStream_tbEUljE_EEESV_SW_SX_S14_S18_S1A_T6_T7_T9_mT8_S1C_bDpT10_ENKUlT_T0_E_clISt17integral_constantIbLb1EES1P_EEDaS1K_S1L_EUlS1K_E_NS1_11comp_targetILNS1_3genE9ELNS1_11target_archE1100ELNS1_3gpuE3ELNS1_3repE0EEENS1_30default_config_static_selectorELNS0_4arch9wavefront6targetE0EEEvSY_.num_agpr, 0
	.set _ZN7rocprim17ROCPRIM_400000_NS6detail17trampoline_kernelINS0_13select_configILj256ELj13ELNS0_17block_load_methodE3ELS4_3ELS4_3ELNS0_20block_scan_algorithmE0ELj4294967295EEENS1_25partition_config_selectorILNS1_17partition_subalgoE3EjNS0_10empty_typeEbEEZZNS1_14partition_implILS8_3ELb0ES6_jNS0_17counting_iteratorIjlEEPS9_SE_NS0_5tupleIJPjSE_EEENSF_IJSE_SE_EEES9_SG_JZNS1_25segmented_radix_sort_implINS0_14default_configELb1EPKdPdPKlPlN2at6native12_GLOBAL__N_18offset_tEEE10hipError_tPvRmT1_PNSt15iterator_traitsISY_E10value_typeET2_T3_PNSZ_IS14_E10value_typeET4_jRbjT5_S1A_jjP12ihipStream_tbEUljE_EEESV_SW_SX_S14_S18_S1A_T6_T7_T9_mT8_S1C_bDpT10_ENKUlT_T0_E_clISt17integral_constantIbLb1EES1P_EEDaS1K_S1L_EUlS1K_E_NS1_11comp_targetILNS1_3genE9ELNS1_11target_archE1100ELNS1_3gpuE3ELNS1_3repE0EEENS1_30default_config_static_selectorELNS0_4arch9wavefront6targetE0EEEvSY_.numbered_sgpr, 0
	.set _ZN7rocprim17ROCPRIM_400000_NS6detail17trampoline_kernelINS0_13select_configILj256ELj13ELNS0_17block_load_methodE3ELS4_3ELS4_3ELNS0_20block_scan_algorithmE0ELj4294967295EEENS1_25partition_config_selectorILNS1_17partition_subalgoE3EjNS0_10empty_typeEbEEZZNS1_14partition_implILS8_3ELb0ES6_jNS0_17counting_iteratorIjlEEPS9_SE_NS0_5tupleIJPjSE_EEENSF_IJSE_SE_EEES9_SG_JZNS1_25segmented_radix_sort_implINS0_14default_configELb1EPKdPdPKlPlN2at6native12_GLOBAL__N_18offset_tEEE10hipError_tPvRmT1_PNSt15iterator_traitsISY_E10value_typeET2_T3_PNSZ_IS14_E10value_typeET4_jRbjT5_S1A_jjP12ihipStream_tbEUljE_EEESV_SW_SX_S14_S18_S1A_T6_T7_T9_mT8_S1C_bDpT10_ENKUlT_T0_E_clISt17integral_constantIbLb1EES1P_EEDaS1K_S1L_EUlS1K_E_NS1_11comp_targetILNS1_3genE9ELNS1_11target_archE1100ELNS1_3gpuE3ELNS1_3repE0EEENS1_30default_config_static_selectorELNS0_4arch9wavefront6targetE0EEEvSY_.num_named_barrier, 0
	.set _ZN7rocprim17ROCPRIM_400000_NS6detail17trampoline_kernelINS0_13select_configILj256ELj13ELNS0_17block_load_methodE3ELS4_3ELS4_3ELNS0_20block_scan_algorithmE0ELj4294967295EEENS1_25partition_config_selectorILNS1_17partition_subalgoE3EjNS0_10empty_typeEbEEZZNS1_14partition_implILS8_3ELb0ES6_jNS0_17counting_iteratorIjlEEPS9_SE_NS0_5tupleIJPjSE_EEENSF_IJSE_SE_EEES9_SG_JZNS1_25segmented_radix_sort_implINS0_14default_configELb1EPKdPdPKlPlN2at6native12_GLOBAL__N_18offset_tEEE10hipError_tPvRmT1_PNSt15iterator_traitsISY_E10value_typeET2_T3_PNSZ_IS14_E10value_typeET4_jRbjT5_S1A_jjP12ihipStream_tbEUljE_EEESV_SW_SX_S14_S18_S1A_T6_T7_T9_mT8_S1C_bDpT10_ENKUlT_T0_E_clISt17integral_constantIbLb1EES1P_EEDaS1K_S1L_EUlS1K_E_NS1_11comp_targetILNS1_3genE9ELNS1_11target_archE1100ELNS1_3gpuE3ELNS1_3repE0EEENS1_30default_config_static_selectorELNS0_4arch9wavefront6targetE0EEEvSY_.private_seg_size, 0
	.set _ZN7rocprim17ROCPRIM_400000_NS6detail17trampoline_kernelINS0_13select_configILj256ELj13ELNS0_17block_load_methodE3ELS4_3ELS4_3ELNS0_20block_scan_algorithmE0ELj4294967295EEENS1_25partition_config_selectorILNS1_17partition_subalgoE3EjNS0_10empty_typeEbEEZZNS1_14partition_implILS8_3ELb0ES6_jNS0_17counting_iteratorIjlEEPS9_SE_NS0_5tupleIJPjSE_EEENSF_IJSE_SE_EEES9_SG_JZNS1_25segmented_radix_sort_implINS0_14default_configELb1EPKdPdPKlPlN2at6native12_GLOBAL__N_18offset_tEEE10hipError_tPvRmT1_PNSt15iterator_traitsISY_E10value_typeET2_T3_PNSZ_IS14_E10value_typeET4_jRbjT5_S1A_jjP12ihipStream_tbEUljE_EEESV_SW_SX_S14_S18_S1A_T6_T7_T9_mT8_S1C_bDpT10_ENKUlT_T0_E_clISt17integral_constantIbLb1EES1P_EEDaS1K_S1L_EUlS1K_E_NS1_11comp_targetILNS1_3genE9ELNS1_11target_archE1100ELNS1_3gpuE3ELNS1_3repE0EEENS1_30default_config_static_selectorELNS0_4arch9wavefront6targetE0EEEvSY_.uses_vcc, 0
	.set _ZN7rocprim17ROCPRIM_400000_NS6detail17trampoline_kernelINS0_13select_configILj256ELj13ELNS0_17block_load_methodE3ELS4_3ELS4_3ELNS0_20block_scan_algorithmE0ELj4294967295EEENS1_25partition_config_selectorILNS1_17partition_subalgoE3EjNS0_10empty_typeEbEEZZNS1_14partition_implILS8_3ELb0ES6_jNS0_17counting_iteratorIjlEEPS9_SE_NS0_5tupleIJPjSE_EEENSF_IJSE_SE_EEES9_SG_JZNS1_25segmented_radix_sort_implINS0_14default_configELb1EPKdPdPKlPlN2at6native12_GLOBAL__N_18offset_tEEE10hipError_tPvRmT1_PNSt15iterator_traitsISY_E10value_typeET2_T3_PNSZ_IS14_E10value_typeET4_jRbjT5_S1A_jjP12ihipStream_tbEUljE_EEESV_SW_SX_S14_S18_S1A_T6_T7_T9_mT8_S1C_bDpT10_ENKUlT_T0_E_clISt17integral_constantIbLb1EES1P_EEDaS1K_S1L_EUlS1K_E_NS1_11comp_targetILNS1_3genE9ELNS1_11target_archE1100ELNS1_3gpuE3ELNS1_3repE0EEENS1_30default_config_static_selectorELNS0_4arch9wavefront6targetE0EEEvSY_.uses_flat_scratch, 0
	.set _ZN7rocprim17ROCPRIM_400000_NS6detail17trampoline_kernelINS0_13select_configILj256ELj13ELNS0_17block_load_methodE3ELS4_3ELS4_3ELNS0_20block_scan_algorithmE0ELj4294967295EEENS1_25partition_config_selectorILNS1_17partition_subalgoE3EjNS0_10empty_typeEbEEZZNS1_14partition_implILS8_3ELb0ES6_jNS0_17counting_iteratorIjlEEPS9_SE_NS0_5tupleIJPjSE_EEENSF_IJSE_SE_EEES9_SG_JZNS1_25segmented_radix_sort_implINS0_14default_configELb1EPKdPdPKlPlN2at6native12_GLOBAL__N_18offset_tEEE10hipError_tPvRmT1_PNSt15iterator_traitsISY_E10value_typeET2_T3_PNSZ_IS14_E10value_typeET4_jRbjT5_S1A_jjP12ihipStream_tbEUljE_EEESV_SW_SX_S14_S18_S1A_T6_T7_T9_mT8_S1C_bDpT10_ENKUlT_T0_E_clISt17integral_constantIbLb1EES1P_EEDaS1K_S1L_EUlS1K_E_NS1_11comp_targetILNS1_3genE9ELNS1_11target_archE1100ELNS1_3gpuE3ELNS1_3repE0EEENS1_30default_config_static_selectorELNS0_4arch9wavefront6targetE0EEEvSY_.has_dyn_sized_stack, 0
	.set _ZN7rocprim17ROCPRIM_400000_NS6detail17trampoline_kernelINS0_13select_configILj256ELj13ELNS0_17block_load_methodE3ELS4_3ELS4_3ELNS0_20block_scan_algorithmE0ELj4294967295EEENS1_25partition_config_selectorILNS1_17partition_subalgoE3EjNS0_10empty_typeEbEEZZNS1_14partition_implILS8_3ELb0ES6_jNS0_17counting_iteratorIjlEEPS9_SE_NS0_5tupleIJPjSE_EEENSF_IJSE_SE_EEES9_SG_JZNS1_25segmented_radix_sort_implINS0_14default_configELb1EPKdPdPKlPlN2at6native12_GLOBAL__N_18offset_tEEE10hipError_tPvRmT1_PNSt15iterator_traitsISY_E10value_typeET2_T3_PNSZ_IS14_E10value_typeET4_jRbjT5_S1A_jjP12ihipStream_tbEUljE_EEESV_SW_SX_S14_S18_S1A_T6_T7_T9_mT8_S1C_bDpT10_ENKUlT_T0_E_clISt17integral_constantIbLb1EES1P_EEDaS1K_S1L_EUlS1K_E_NS1_11comp_targetILNS1_3genE9ELNS1_11target_archE1100ELNS1_3gpuE3ELNS1_3repE0EEENS1_30default_config_static_selectorELNS0_4arch9wavefront6targetE0EEEvSY_.has_recursion, 0
	.set _ZN7rocprim17ROCPRIM_400000_NS6detail17trampoline_kernelINS0_13select_configILj256ELj13ELNS0_17block_load_methodE3ELS4_3ELS4_3ELNS0_20block_scan_algorithmE0ELj4294967295EEENS1_25partition_config_selectorILNS1_17partition_subalgoE3EjNS0_10empty_typeEbEEZZNS1_14partition_implILS8_3ELb0ES6_jNS0_17counting_iteratorIjlEEPS9_SE_NS0_5tupleIJPjSE_EEENSF_IJSE_SE_EEES9_SG_JZNS1_25segmented_radix_sort_implINS0_14default_configELb1EPKdPdPKlPlN2at6native12_GLOBAL__N_18offset_tEEE10hipError_tPvRmT1_PNSt15iterator_traitsISY_E10value_typeET2_T3_PNSZ_IS14_E10value_typeET4_jRbjT5_S1A_jjP12ihipStream_tbEUljE_EEESV_SW_SX_S14_S18_S1A_T6_T7_T9_mT8_S1C_bDpT10_ENKUlT_T0_E_clISt17integral_constantIbLb1EES1P_EEDaS1K_S1L_EUlS1K_E_NS1_11comp_targetILNS1_3genE9ELNS1_11target_archE1100ELNS1_3gpuE3ELNS1_3repE0EEENS1_30default_config_static_selectorELNS0_4arch9wavefront6targetE0EEEvSY_.has_indirect_call, 0
	.section	.AMDGPU.csdata,"",@progbits
; Kernel info:
; codeLenInByte = 0
; TotalNumSgprs: 0
; NumVgprs: 0
; ScratchSize: 0
; MemoryBound: 0
; FloatMode: 240
; IeeeMode: 1
; LDSByteSize: 0 bytes/workgroup (compile time only)
; SGPRBlocks: 0
; VGPRBlocks: 0
; NumSGPRsForWavesPerEU: 1
; NumVGPRsForWavesPerEU: 1
; NamedBarCnt: 0
; Occupancy: 16
; WaveLimiterHint : 0
; COMPUTE_PGM_RSRC2:SCRATCH_EN: 0
; COMPUTE_PGM_RSRC2:USER_SGPR: 2
; COMPUTE_PGM_RSRC2:TRAP_HANDLER: 0
; COMPUTE_PGM_RSRC2:TGID_X_EN: 1
; COMPUTE_PGM_RSRC2:TGID_Y_EN: 0
; COMPUTE_PGM_RSRC2:TGID_Z_EN: 0
; COMPUTE_PGM_RSRC2:TIDIG_COMP_CNT: 0
	.section	.text._ZN7rocprim17ROCPRIM_400000_NS6detail17trampoline_kernelINS0_13select_configILj256ELj13ELNS0_17block_load_methodE3ELS4_3ELS4_3ELNS0_20block_scan_algorithmE0ELj4294967295EEENS1_25partition_config_selectorILNS1_17partition_subalgoE3EjNS0_10empty_typeEbEEZZNS1_14partition_implILS8_3ELb0ES6_jNS0_17counting_iteratorIjlEEPS9_SE_NS0_5tupleIJPjSE_EEENSF_IJSE_SE_EEES9_SG_JZNS1_25segmented_radix_sort_implINS0_14default_configELb1EPKdPdPKlPlN2at6native12_GLOBAL__N_18offset_tEEE10hipError_tPvRmT1_PNSt15iterator_traitsISY_E10value_typeET2_T3_PNSZ_IS14_E10value_typeET4_jRbjT5_S1A_jjP12ihipStream_tbEUljE_EEESV_SW_SX_S14_S18_S1A_T6_T7_T9_mT8_S1C_bDpT10_ENKUlT_T0_E_clISt17integral_constantIbLb1EES1P_EEDaS1K_S1L_EUlS1K_E_NS1_11comp_targetILNS1_3genE8ELNS1_11target_archE1030ELNS1_3gpuE2ELNS1_3repE0EEENS1_30default_config_static_selectorELNS0_4arch9wavefront6targetE0EEEvSY_,"axG",@progbits,_ZN7rocprim17ROCPRIM_400000_NS6detail17trampoline_kernelINS0_13select_configILj256ELj13ELNS0_17block_load_methodE3ELS4_3ELS4_3ELNS0_20block_scan_algorithmE0ELj4294967295EEENS1_25partition_config_selectorILNS1_17partition_subalgoE3EjNS0_10empty_typeEbEEZZNS1_14partition_implILS8_3ELb0ES6_jNS0_17counting_iteratorIjlEEPS9_SE_NS0_5tupleIJPjSE_EEENSF_IJSE_SE_EEES9_SG_JZNS1_25segmented_radix_sort_implINS0_14default_configELb1EPKdPdPKlPlN2at6native12_GLOBAL__N_18offset_tEEE10hipError_tPvRmT1_PNSt15iterator_traitsISY_E10value_typeET2_T3_PNSZ_IS14_E10value_typeET4_jRbjT5_S1A_jjP12ihipStream_tbEUljE_EEESV_SW_SX_S14_S18_S1A_T6_T7_T9_mT8_S1C_bDpT10_ENKUlT_T0_E_clISt17integral_constantIbLb1EES1P_EEDaS1K_S1L_EUlS1K_E_NS1_11comp_targetILNS1_3genE8ELNS1_11target_archE1030ELNS1_3gpuE2ELNS1_3repE0EEENS1_30default_config_static_selectorELNS0_4arch9wavefront6targetE0EEEvSY_,comdat
	.globl	_ZN7rocprim17ROCPRIM_400000_NS6detail17trampoline_kernelINS0_13select_configILj256ELj13ELNS0_17block_load_methodE3ELS4_3ELS4_3ELNS0_20block_scan_algorithmE0ELj4294967295EEENS1_25partition_config_selectorILNS1_17partition_subalgoE3EjNS0_10empty_typeEbEEZZNS1_14partition_implILS8_3ELb0ES6_jNS0_17counting_iteratorIjlEEPS9_SE_NS0_5tupleIJPjSE_EEENSF_IJSE_SE_EEES9_SG_JZNS1_25segmented_radix_sort_implINS0_14default_configELb1EPKdPdPKlPlN2at6native12_GLOBAL__N_18offset_tEEE10hipError_tPvRmT1_PNSt15iterator_traitsISY_E10value_typeET2_T3_PNSZ_IS14_E10value_typeET4_jRbjT5_S1A_jjP12ihipStream_tbEUljE_EEESV_SW_SX_S14_S18_S1A_T6_T7_T9_mT8_S1C_bDpT10_ENKUlT_T0_E_clISt17integral_constantIbLb1EES1P_EEDaS1K_S1L_EUlS1K_E_NS1_11comp_targetILNS1_3genE8ELNS1_11target_archE1030ELNS1_3gpuE2ELNS1_3repE0EEENS1_30default_config_static_selectorELNS0_4arch9wavefront6targetE0EEEvSY_ ; -- Begin function _ZN7rocprim17ROCPRIM_400000_NS6detail17trampoline_kernelINS0_13select_configILj256ELj13ELNS0_17block_load_methodE3ELS4_3ELS4_3ELNS0_20block_scan_algorithmE0ELj4294967295EEENS1_25partition_config_selectorILNS1_17partition_subalgoE3EjNS0_10empty_typeEbEEZZNS1_14partition_implILS8_3ELb0ES6_jNS0_17counting_iteratorIjlEEPS9_SE_NS0_5tupleIJPjSE_EEENSF_IJSE_SE_EEES9_SG_JZNS1_25segmented_radix_sort_implINS0_14default_configELb1EPKdPdPKlPlN2at6native12_GLOBAL__N_18offset_tEEE10hipError_tPvRmT1_PNSt15iterator_traitsISY_E10value_typeET2_T3_PNSZ_IS14_E10value_typeET4_jRbjT5_S1A_jjP12ihipStream_tbEUljE_EEESV_SW_SX_S14_S18_S1A_T6_T7_T9_mT8_S1C_bDpT10_ENKUlT_T0_E_clISt17integral_constantIbLb1EES1P_EEDaS1K_S1L_EUlS1K_E_NS1_11comp_targetILNS1_3genE8ELNS1_11target_archE1030ELNS1_3gpuE2ELNS1_3repE0EEENS1_30default_config_static_selectorELNS0_4arch9wavefront6targetE0EEEvSY_
	.p2align	8
	.type	_ZN7rocprim17ROCPRIM_400000_NS6detail17trampoline_kernelINS0_13select_configILj256ELj13ELNS0_17block_load_methodE3ELS4_3ELS4_3ELNS0_20block_scan_algorithmE0ELj4294967295EEENS1_25partition_config_selectorILNS1_17partition_subalgoE3EjNS0_10empty_typeEbEEZZNS1_14partition_implILS8_3ELb0ES6_jNS0_17counting_iteratorIjlEEPS9_SE_NS0_5tupleIJPjSE_EEENSF_IJSE_SE_EEES9_SG_JZNS1_25segmented_radix_sort_implINS0_14default_configELb1EPKdPdPKlPlN2at6native12_GLOBAL__N_18offset_tEEE10hipError_tPvRmT1_PNSt15iterator_traitsISY_E10value_typeET2_T3_PNSZ_IS14_E10value_typeET4_jRbjT5_S1A_jjP12ihipStream_tbEUljE_EEESV_SW_SX_S14_S18_S1A_T6_T7_T9_mT8_S1C_bDpT10_ENKUlT_T0_E_clISt17integral_constantIbLb1EES1P_EEDaS1K_S1L_EUlS1K_E_NS1_11comp_targetILNS1_3genE8ELNS1_11target_archE1030ELNS1_3gpuE2ELNS1_3repE0EEENS1_30default_config_static_selectorELNS0_4arch9wavefront6targetE0EEEvSY_,@function
_ZN7rocprim17ROCPRIM_400000_NS6detail17trampoline_kernelINS0_13select_configILj256ELj13ELNS0_17block_load_methodE3ELS4_3ELS4_3ELNS0_20block_scan_algorithmE0ELj4294967295EEENS1_25partition_config_selectorILNS1_17partition_subalgoE3EjNS0_10empty_typeEbEEZZNS1_14partition_implILS8_3ELb0ES6_jNS0_17counting_iteratorIjlEEPS9_SE_NS0_5tupleIJPjSE_EEENSF_IJSE_SE_EEES9_SG_JZNS1_25segmented_radix_sort_implINS0_14default_configELb1EPKdPdPKlPlN2at6native12_GLOBAL__N_18offset_tEEE10hipError_tPvRmT1_PNSt15iterator_traitsISY_E10value_typeET2_T3_PNSZ_IS14_E10value_typeET4_jRbjT5_S1A_jjP12ihipStream_tbEUljE_EEESV_SW_SX_S14_S18_S1A_T6_T7_T9_mT8_S1C_bDpT10_ENKUlT_T0_E_clISt17integral_constantIbLb1EES1P_EEDaS1K_S1L_EUlS1K_E_NS1_11comp_targetILNS1_3genE8ELNS1_11target_archE1030ELNS1_3gpuE2ELNS1_3repE0EEENS1_30default_config_static_selectorELNS0_4arch9wavefront6targetE0EEEvSY_: ; @_ZN7rocprim17ROCPRIM_400000_NS6detail17trampoline_kernelINS0_13select_configILj256ELj13ELNS0_17block_load_methodE3ELS4_3ELS4_3ELNS0_20block_scan_algorithmE0ELj4294967295EEENS1_25partition_config_selectorILNS1_17partition_subalgoE3EjNS0_10empty_typeEbEEZZNS1_14partition_implILS8_3ELb0ES6_jNS0_17counting_iteratorIjlEEPS9_SE_NS0_5tupleIJPjSE_EEENSF_IJSE_SE_EEES9_SG_JZNS1_25segmented_radix_sort_implINS0_14default_configELb1EPKdPdPKlPlN2at6native12_GLOBAL__N_18offset_tEEE10hipError_tPvRmT1_PNSt15iterator_traitsISY_E10value_typeET2_T3_PNSZ_IS14_E10value_typeET4_jRbjT5_S1A_jjP12ihipStream_tbEUljE_EEESV_SW_SX_S14_S18_S1A_T6_T7_T9_mT8_S1C_bDpT10_ENKUlT_T0_E_clISt17integral_constantIbLb1EES1P_EEDaS1K_S1L_EUlS1K_E_NS1_11comp_targetILNS1_3genE8ELNS1_11target_archE1030ELNS1_3gpuE2ELNS1_3repE0EEENS1_30default_config_static_selectorELNS0_4arch9wavefront6targetE0EEEvSY_
; %bb.0:
	.section	.rodata,"a",@progbits
	.p2align	6, 0x0
	.amdhsa_kernel _ZN7rocprim17ROCPRIM_400000_NS6detail17trampoline_kernelINS0_13select_configILj256ELj13ELNS0_17block_load_methodE3ELS4_3ELS4_3ELNS0_20block_scan_algorithmE0ELj4294967295EEENS1_25partition_config_selectorILNS1_17partition_subalgoE3EjNS0_10empty_typeEbEEZZNS1_14partition_implILS8_3ELb0ES6_jNS0_17counting_iteratorIjlEEPS9_SE_NS0_5tupleIJPjSE_EEENSF_IJSE_SE_EEES9_SG_JZNS1_25segmented_radix_sort_implINS0_14default_configELb1EPKdPdPKlPlN2at6native12_GLOBAL__N_18offset_tEEE10hipError_tPvRmT1_PNSt15iterator_traitsISY_E10value_typeET2_T3_PNSZ_IS14_E10value_typeET4_jRbjT5_S1A_jjP12ihipStream_tbEUljE_EEESV_SW_SX_S14_S18_S1A_T6_T7_T9_mT8_S1C_bDpT10_ENKUlT_T0_E_clISt17integral_constantIbLb1EES1P_EEDaS1K_S1L_EUlS1K_E_NS1_11comp_targetILNS1_3genE8ELNS1_11target_archE1030ELNS1_3gpuE2ELNS1_3repE0EEENS1_30default_config_static_selectorELNS0_4arch9wavefront6targetE0EEEvSY_
		.amdhsa_group_segment_fixed_size 0
		.amdhsa_private_segment_fixed_size 0
		.amdhsa_kernarg_size 152
		.amdhsa_user_sgpr_count 2
		.amdhsa_user_sgpr_dispatch_ptr 0
		.amdhsa_user_sgpr_queue_ptr 0
		.amdhsa_user_sgpr_kernarg_segment_ptr 1
		.amdhsa_user_sgpr_dispatch_id 0
		.amdhsa_user_sgpr_kernarg_preload_length 0
		.amdhsa_user_sgpr_kernarg_preload_offset 0
		.amdhsa_user_sgpr_private_segment_size 0
		.amdhsa_wavefront_size32 1
		.amdhsa_uses_dynamic_stack 0
		.amdhsa_enable_private_segment 0
		.amdhsa_system_sgpr_workgroup_id_x 1
		.amdhsa_system_sgpr_workgroup_id_y 0
		.amdhsa_system_sgpr_workgroup_id_z 0
		.amdhsa_system_sgpr_workgroup_info 0
		.amdhsa_system_vgpr_workitem_id 0
		.amdhsa_next_free_vgpr 1
		.amdhsa_next_free_sgpr 1
		.amdhsa_named_barrier_count 0
		.amdhsa_reserve_vcc 0
		.amdhsa_float_round_mode_32 0
		.amdhsa_float_round_mode_16_64 0
		.amdhsa_float_denorm_mode_32 3
		.amdhsa_float_denorm_mode_16_64 3
		.amdhsa_fp16_overflow 0
		.amdhsa_memory_ordered 1
		.amdhsa_forward_progress 1
		.amdhsa_inst_pref_size 0
		.amdhsa_round_robin_scheduling 0
		.amdhsa_exception_fp_ieee_invalid_op 0
		.amdhsa_exception_fp_denorm_src 0
		.amdhsa_exception_fp_ieee_div_zero 0
		.amdhsa_exception_fp_ieee_overflow 0
		.amdhsa_exception_fp_ieee_underflow 0
		.amdhsa_exception_fp_ieee_inexact 0
		.amdhsa_exception_int_div_zero 0
	.end_amdhsa_kernel
	.section	.text._ZN7rocprim17ROCPRIM_400000_NS6detail17trampoline_kernelINS0_13select_configILj256ELj13ELNS0_17block_load_methodE3ELS4_3ELS4_3ELNS0_20block_scan_algorithmE0ELj4294967295EEENS1_25partition_config_selectorILNS1_17partition_subalgoE3EjNS0_10empty_typeEbEEZZNS1_14partition_implILS8_3ELb0ES6_jNS0_17counting_iteratorIjlEEPS9_SE_NS0_5tupleIJPjSE_EEENSF_IJSE_SE_EEES9_SG_JZNS1_25segmented_radix_sort_implINS0_14default_configELb1EPKdPdPKlPlN2at6native12_GLOBAL__N_18offset_tEEE10hipError_tPvRmT1_PNSt15iterator_traitsISY_E10value_typeET2_T3_PNSZ_IS14_E10value_typeET4_jRbjT5_S1A_jjP12ihipStream_tbEUljE_EEESV_SW_SX_S14_S18_S1A_T6_T7_T9_mT8_S1C_bDpT10_ENKUlT_T0_E_clISt17integral_constantIbLb1EES1P_EEDaS1K_S1L_EUlS1K_E_NS1_11comp_targetILNS1_3genE8ELNS1_11target_archE1030ELNS1_3gpuE2ELNS1_3repE0EEENS1_30default_config_static_selectorELNS0_4arch9wavefront6targetE0EEEvSY_,"axG",@progbits,_ZN7rocprim17ROCPRIM_400000_NS6detail17trampoline_kernelINS0_13select_configILj256ELj13ELNS0_17block_load_methodE3ELS4_3ELS4_3ELNS0_20block_scan_algorithmE0ELj4294967295EEENS1_25partition_config_selectorILNS1_17partition_subalgoE3EjNS0_10empty_typeEbEEZZNS1_14partition_implILS8_3ELb0ES6_jNS0_17counting_iteratorIjlEEPS9_SE_NS0_5tupleIJPjSE_EEENSF_IJSE_SE_EEES9_SG_JZNS1_25segmented_radix_sort_implINS0_14default_configELb1EPKdPdPKlPlN2at6native12_GLOBAL__N_18offset_tEEE10hipError_tPvRmT1_PNSt15iterator_traitsISY_E10value_typeET2_T3_PNSZ_IS14_E10value_typeET4_jRbjT5_S1A_jjP12ihipStream_tbEUljE_EEESV_SW_SX_S14_S18_S1A_T6_T7_T9_mT8_S1C_bDpT10_ENKUlT_T0_E_clISt17integral_constantIbLb1EES1P_EEDaS1K_S1L_EUlS1K_E_NS1_11comp_targetILNS1_3genE8ELNS1_11target_archE1030ELNS1_3gpuE2ELNS1_3repE0EEENS1_30default_config_static_selectorELNS0_4arch9wavefront6targetE0EEEvSY_,comdat
.Lfunc_end1095:
	.size	_ZN7rocprim17ROCPRIM_400000_NS6detail17trampoline_kernelINS0_13select_configILj256ELj13ELNS0_17block_load_methodE3ELS4_3ELS4_3ELNS0_20block_scan_algorithmE0ELj4294967295EEENS1_25partition_config_selectorILNS1_17partition_subalgoE3EjNS0_10empty_typeEbEEZZNS1_14partition_implILS8_3ELb0ES6_jNS0_17counting_iteratorIjlEEPS9_SE_NS0_5tupleIJPjSE_EEENSF_IJSE_SE_EEES9_SG_JZNS1_25segmented_radix_sort_implINS0_14default_configELb1EPKdPdPKlPlN2at6native12_GLOBAL__N_18offset_tEEE10hipError_tPvRmT1_PNSt15iterator_traitsISY_E10value_typeET2_T3_PNSZ_IS14_E10value_typeET4_jRbjT5_S1A_jjP12ihipStream_tbEUljE_EEESV_SW_SX_S14_S18_S1A_T6_T7_T9_mT8_S1C_bDpT10_ENKUlT_T0_E_clISt17integral_constantIbLb1EES1P_EEDaS1K_S1L_EUlS1K_E_NS1_11comp_targetILNS1_3genE8ELNS1_11target_archE1030ELNS1_3gpuE2ELNS1_3repE0EEENS1_30default_config_static_selectorELNS0_4arch9wavefront6targetE0EEEvSY_, .Lfunc_end1095-_ZN7rocprim17ROCPRIM_400000_NS6detail17trampoline_kernelINS0_13select_configILj256ELj13ELNS0_17block_load_methodE3ELS4_3ELS4_3ELNS0_20block_scan_algorithmE0ELj4294967295EEENS1_25partition_config_selectorILNS1_17partition_subalgoE3EjNS0_10empty_typeEbEEZZNS1_14partition_implILS8_3ELb0ES6_jNS0_17counting_iteratorIjlEEPS9_SE_NS0_5tupleIJPjSE_EEENSF_IJSE_SE_EEES9_SG_JZNS1_25segmented_radix_sort_implINS0_14default_configELb1EPKdPdPKlPlN2at6native12_GLOBAL__N_18offset_tEEE10hipError_tPvRmT1_PNSt15iterator_traitsISY_E10value_typeET2_T3_PNSZ_IS14_E10value_typeET4_jRbjT5_S1A_jjP12ihipStream_tbEUljE_EEESV_SW_SX_S14_S18_S1A_T6_T7_T9_mT8_S1C_bDpT10_ENKUlT_T0_E_clISt17integral_constantIbLb1EES1P_EEDaS1K_S1L_EUlS1K_E_NS1_11comp_targetILNS1_3genE8ELNS1_11target_archE1030ELNS1_3gpuE2ELNS1_3repE0EEENS1_30default_config_static_selectorELNS0_4arch9wavefront6targetE0EEEvSY_
                                        ; -- End function
	.set _ZN7rocprim17ROCPRIM_400000_NS6detail17trampoline_kernelINS0_13select_configILj256ELj13ELNS0_17block_load_methodE3ELS4_3ELS4_3ELNS0_20block_scan_algorithmE0ELj4294967295EEENS1_25partition_config_selectorILNS1_17partition_subalgoE3EjNS0_10empty_typeEbEEZZNS1_14partition_implILS8_3ELb0ES6_jNS0_17counting_iteratorIjlEEPS9_SE_NS0_5tupleIJPjSE_EEENSF_IJSE_SE_EEES9_SG_JZNS1_25segmented_radix_sort_implINS0_14default_configELb1EPKdPdPKlPlN2at6native12_GLOBAL__N_18offset_tEEE10hipError_tPvRmT1_PNSt15iterator_traitsISY_E10value_typeET2_T3_PNSZ_IS14_E10value_typeET4_jRbjT5_S1A_jjP12ihipStream_tbEUljE_EEESV_SW_SX_S14_S18_S1A_T6_T7_T9_mT8_S1C_bDpT10_ENKUlT_T0_E_clISt17integral_constantIbLb1EES1P_EEDaS1K_S1L_EUlS1K_E_NS1_11comp_targetILNS1_3genE8ELNS1_11target_archE1030ELNS1_3gpuE2ELNS1_3repE0EEENS1_30default_config_static_selectorELNS0_4arch9wavefront6targetE0EEEvSY_.num_vgpr, 0
	.set _ZN7rocprim17ROCPRIM_400000_NS6detail17trampoline_kernelINS0_13select_configILj256ELj13ELNS0_17block_load_methodE3ELS4_3ELS4_3ELNS0_20block_scan_algorithmE0ELj4294967295EEENS1_25partition_config_selectorILNS1_17partition_subalgoE3EjNS0_10empty_typeEbEEZZNS1_14partition_implILS8_3ELb0ES6_jNS0_17counting_iteratorIjlEEPS9_SE_NS0_5tupleIJPjSE_EEENSF_IJSE_SE_EEES9_SG_JZNS1_25segmented_radix_sort_implINS0_14default_configELb1EPKdPdPKlPlN2at6native12_GLOBAL__N_18offset_tEEE10hipError_tPvRmT1_PNSt15iterator_traitsISY_E10value_typeET2_T3_PNSZ_IS14_E10value_typeET4_jRbjT5_S1A_jjP12ihipStream_tbEUljE_EEESV_SW_SX_S14_S18_S1A_T6_T7_T9_mT8_S1C_bDpT10_ENKUlT_T0_E_clISt17integral_constantIbLb1EES1P_EEDaS1K_S1L_EUlS1K_E_NS1_11comp_targetILNS1_3genE8ELNS1_11target_archE1030ELNS1_3gpuE2ELNS1_3repE0EEENS1_30default_config_static_selectorELNS0_4arch9wavefront6targetE0EEEvSY_.num_agpr, 0
	.set _ZN7rocprim17ROCPRIM_400000_NS6detail17trampoline_kernelINS0_13select_configILj256ELj13ELNS0_17block_load_methodE3ELS4_3ELS4_3ELNS0_20block_scan_algorithmE0ELj4294967295EEENS1_25partition_config_selectorILNS1_17partition_subalgoE3EjNS0_10empty_typeEbEEZZNS1_14partition_implILS8_3ELb0ES6_jNS0_17counting_iteratorIjlEEPS9_SE_NS0_5tupleIJPjSE_EEENSF_IJSE_SE_EEES9_SG_JZNS1_25segmented_radix_sort_implINS0_14default_configELb1EPKdPdPKlPlN2at6native12_GLOBAL__N_18offset_tEEE10hipError_tPvRmT1_PNSt15iterator_traitsISY_E10value_typeET2_T3_PNSZ_IS14_E10value_typeET4_jRbjT5_S1A_jjP12ihipStream_tbEUljE_EEESV_SW_SX_S14_S18_S1A_T6_T7_T9_mT8_S1C_bDpT10_ENKUlT_T0_E_clISt17integral_constantIbLb1EES1P_EEDaS1K_S1L_EUlS1K_E_NS1_11comp_targetILNS1_3genE8ELNS1_11target_archE1030ELNS1_3gpuE2ELNS1_3repE0EEENS1_30default_config_static_selectorELNS0_4arch9wavefront6targetE0EEEvSY_.numbered_sgpr, 0
	.set _ZN7rocprim17ROCPRIM_400000_NS6detail17trampoline_kernelINS0_13select_configILj256ELj13ELNS0_17block_load_methodE3ELS4_3ELS4_3ELNS0_20block_scan_algorithmE0ELj4294967295EEENS1_25partition_config_selectorILNS1_17partition_subalgoE3EjNS0_10empty_typeEbEEZZNS1_14partition_implILS8_3ELb0ES6_jNS0_17counting_iteratorIjlEEPS9_SE_NS0_5tupleIJPjSE_EEENSF_IJSE_SE_EEES9_SG_JZNS1_25segmented_radix_sort_implINS0_14default_configELb1EPKdPdPKlPlN2at6native12_GLOBAL__N_18offset_tEEE10hipError_tPvRmT1_PNSt15iterator_traitsISY_E10value_typeET2_T3_PNSZ_IS14_E10value_typeET4_jRbjT5_S1A_jjP12ihipStream_tbEUljE_EEESV_SW_SX_S14_S18_S1A_T6_T7_T9_mT8_S1C_bDpT10_ENKUlT_T0_E_clISt17integral_constantIbLb1EES1P_EEDaS1K_S1L_EUlS1K_E_NS1_11comp_targetILNS1_3genE8ELNS1_11target_archE1030ELNS1_3gpuE2ELNS1_3repE0EEENS1_30default_config_static_selectorELNS0_4arch9wavefront6targetE0EEEvSY_.num_named_barrier, 0
	.set _ZN7rocprim17ROCPRIM_400000_NS6detail17trampoline_kernelINS0_13select_configILj256ELj13ELNS0_17block_load_methodE3ELS4_3ELS4_3ELNS0_20block_scan_algorithmE0ELj4294967295EEENS1_25partition_config_selectorILNS1_17partition_subalgoE3EjNS0_10empty_typeEbEEZZNS1_14partition_implILS8_3ELb0ES6_jNS0_17counting_iteratorIjlEEPS9_SE_NS0_5tupleIJPjSE_EEENSF_IJSE_SE_EEES9_SG_JZNS1_25segmented_radix_sort_implINS0_14default_configELb1EPKdPdPKlPlN2at6native12_GLOBAL__N_18offset_tEEE10hipError_tPvRmT1_PNSt15iterator_traitsISY_E10value_typeET2_T3_PNSZ_IS14_E10value_typeET4_jRbjT5_S1A_jjP12ihipStream_tbEUljE_EEESV_SW_SX_S14_S18_S1A_T6_T7_T9_mT8_S1C_bDpT10_ENKUlT_T0_E_clISt17integral_constantIbLb1EES1P_EEDaS1K_S1L_EUlS1K_E_NS1_11comp_targetILNS1_3genE8ELNS1_11target_archE1030ELNS1_3gpuE2ELNS1_3repE0EEENS1_30default_config_static_selectorELNS0_4arch9wavefront6targetE0EEEvSY_.private_seg_size, 0
	.set _ZN7rocprim17ROCPRIM_400000_NS6detail17trampoline_kernelINS0_13select_configILj256ELj13ELNS0_17block_load_methodE3ELS4_3ELS4_3ELNS0_20block_scan_algorithmE0ELj4294967295EEENS1_25partition_config_selectorILNS1_17partition_subalgoE3EjNS0_10empty_typeEbEEZZNS1_14partition_implILS8_3ELb0ES6_jNS0_17counting_iteratorIjlEEPS9_SE_NS0_5tupleIJPjSE_EEENSF_IJSE_SE_EEES9_SG_JZNS1_25segmented_radix_sort_implINS0_14default_configELb1EPKdPdPKlPlN2at6native12_GLOBAL__N_18offset_tEEE10hipError_tPvRmT1_PNSt15iterator_traitsISY_E10value_typeET2_T3_PNSZ_IS14_E10value_typeET4_jRbjT5_S1A_jjP12ihipStream_tbEUljE_EEESV_SW_SX_S14_S18_S1A_T6_T7_T9_mT8_S1C_bDpT10_ENKUlT_T0_E_clISt17integral_constantIbLb1EES1P_EEDaS1K_S1L_EUlS1K_E_NS1_11comp_targetILNS1_3genE8ELNS1_11target_archE1030ELNS1_3gpuE2ELNS1_3repE0EEENS1_30default_config_static_selectorELNS0_4arch9wavefront6targetE0EEEvSY_.uses_vcc, 0
	.set _ZN7rocprim17ROCPRIM_400000_NS6detail17trampoline_kernelINS0_13select_configILj256ELj13ELNS0_17block_load_methodE3ELS4_3ELS4_3ELNS0_20block_scan_algorithmE0ELj4294967295EEENS1_25partition_config_selectorILNS1_17partition_subalgoE3EjNS0_10empty_typeEbEEZZNS1_14partition_implILS8_3ELb0ES6_jNS0_17counting_iteratorIjlEEPS9_SE_NS0_5tupleIJPjSE_EEENSF_IJSE_SE_EEES9_SG_JZNS1_25segmented_radix_sort_implINS0_14default_configELb1EPKdPdPKlPlN2at6native12_GLOBAL__N_18offset_tEEE10hipError_tPvRmT1_PNSt15iterator_traitsISY_E10value_typeET2_T3_PNSZ_IS14_E10value_typeET4_jRbjT5_S1A_jjP12ihipStream_tbEUljE_EEESV_SW_SX_S14_S18_S1A_T6_T7_T9_mT8_S1C_bDpT10_ENKUlT_T0_E_clISt17integral_constantIbLb1EES1P_EEDaS1K_S1L_EUlS1K_E_NS1_11comp_targetILNS1_3genE8ELNS1_11target_archE1030ELNS1_3gpuE2ELNS1_3repE0EEENS1_30default_config_static_selectorELNS0_4arch9wavefront6targetE0EEEvSY_.uses_flat_scratch, 0
	.set _ZN7rocprim17ROCPRIM_400000_NS6detail17trampoline_kernelINS0_13select_configILj256ELj13ELNS0_17block_load_methodE3ELS4_3ELS4_3ELNS0_20block_scan_algorithmE0ELj4294967295EEENS1_25partition_config_selectorILNS1_17partition_subalgoE3EjNS0_10empty_typeEbEEZZNS1_14partition_implILS8_3ELb0ES6_jNS0_17counting_iteratorIjlEEPS9_SE_NS0_5tupleIJPjSE_EEENSF_IJSE_SE_EEES9_SG_JZNS1_25segmented_radix_sort_implINS0_14default_configELb1EPKdPdPKlPlN2at6native12_GLOBAL__N_18offset_tEEE10hipError_tPvRmT1_PNSt15iterator_traitsISY_E10value_typeET2_T3_PNSZ_IS14_E10value_typeET4_jRbjT5_S1A_jjP12ihipStream_tbEUljE_EEESV_SW_SX_S14_S18_S1A_T6_T7_T9_mT8_S1C_bDpT10_ENKUlT_T0_E_clISt17integral_constantIbLb1EES1P_EEDaS1K_S1L_EUlS1K_E_NS1_11comp_targetILNS1_3genE8ELNS1_11target_archE1030ELNS1_3gpuE2ELNS1_3repE0EEENS1_30default_config_static_selectorELNS0_4arch9wavefront6targetE0EEEvSY_.has_dyn_sized_stack, 0
	.set _ZN7rocprim17ROCPRIM_400000_NS6detail17trampoline_kernelINS0_13select_configILj256ELj13ELNS0_17block_load_methodE3ELS4_3ELS4_3ELNS0_20block_scan_algorithmE0ELj4294967295EEENS1_25partition_config_selectorILNS1_17partition_subalgoE3EjNS0_10empty_typeEbEEZZNS1_14partition_implILS8_3ELb0ES6_jNS0_17counting_iteratorIjlEEPS9_SE_NS0_5tupleIJPjSE_EEENSF_IJSE_SE_EEES9_SG_JZNS1_25segmented_radix_sort_implINS0_14default_configELb1EPKdPdPKlPlN2at6native12_GLOBAL__N_18offset_tEEE10hipError_tPvRmT1_PNSt15iterator_traitsISY_E10value_typeET2_T3_PNSZ_IS14_E10value_typeET4_jRbjT5_S1A_jjP12ihipStream_tbEUljE_EEESV_SW_SX_S14_S18_S1A_T6_T7_T9_mT8_S1C_bDpT10_ENKUlT_T0_E_clISt17integral_constantIbLb1EES1P_EEDaS1K_S1L_EUlS1K_E_NS1_11comp_targetILNS1_3genE8ELNS1_11target_archE1030ELNS1_3gpuE2ELNS1_3repE0EEENS1_30default_config_static_selectorELNS0_4arch9wavefront6targetE0EEEvSY_.has_recursion, 0
	.set _ZN7rocprim17ROCPRIM_400000_NS6detail17trampoline_kernelINS0_13select_configILj256ELj13ELNS0_17block_load_methodE3ELS4_3ELS4_3ELNS0_20block_scan_algorithmE0ELj4294967295EEENS1_25partition_config_selectorILNS1_17partition_subalgoE3EjNS0_10empty_typeEbEEZZNS1_14partition_implILS8_3ELb0ES6_jNS0_17counting_iteratorIjlEEPS9_SE_NS0_5tupleIJPjSE_EEENSF_IJSE_SE_EEES9_SG_JZNS1_25segmented_radix_sort_implINS0_14default_configELb1EPKdPdPKlPlN2at6native12_GLOBAL__N_18offset_tEEE10hipError_tPvRmT1_PNSt15iterator_traitsISY_E10value_typeET2_T3_PNSZ_IS14_E10value_typeET4_jRbjT5_S1A_jjP12ihipStream_tbEUljE_EEESV_SW_SX_S14_S18_S1A_T6_T7_T9_mT8_S1C_bDpT10_ENKUlT_T0_E_clISt17integral_constantIbLb1EES1P_EEDaS1K_S1L_EUlS1K_E_NS1_11comp_targetILNS1_3genE8ELNS1_11target_archE1030ELNS1_3gpuE2ELNS1_3repE0EEENS1_30default_config_static_selectorELNS0_4arch9wavefront6targetE0EEEvSY_.has_indirect_call, 0
	.section	.AMDGPU.csdata,"",@progbits
; Kernel info:
; codeLenInByte = 0
; TotalNumSgprs: 0
; NumVgprs: 0
; ScratchSize: 0
; MemoryBound: 0
; FloatMode: 240
; IeeeMode: 1
; LDSByteSize: 0 bytes/workgroup (compile time only)
; SGPRBlocks: 0
; VGPRBlocks: 0
; NumSGPRsForWavesPerEU: 1
; NumVGPRsForWavesPerEU: 1
; NamedBarCnt: 0
; Occupancy: 16
; WaveLimiterHint : 0
; COMPUTE_PGM_RSRC2:SCRATCH_EN: 0
; COMPUTE_PGM_RSRC2:USER_SGPR: 2
; COMPUTE_PGM_RSRC2:TRAP_HANDLER: 0
; COMPUTE_PGM_RSRC2:TGID_X_EN: 1
; COMPUTE_PGM_RSRC2:TGID_Y_EN: 0
; COMPUTE_PGM_RSRC2:TGID_Z_EN: 0
; COMPUTE_PGM_RSRC2:TIDIG_COMP_CNT: 0
	.section	.text._ZN7rocprim17ROCPRIM_400000_NS6detail17trampoline_kernelINS0_13select_configILj256ELj13ELNS0_17block_load_methodE3ELS4_3ELS4_3ELNS0_20block_scan_algorithmE0ELj4294967295EEENS1_25partition_config_selectorILNS1_17partition_subalgoE3EjNS0_10empty_typeEbEEZZNS1_14partition_implILS8_3ELb0ES6_jNS0_17counting_iteratorIjlEEPS9_SE_NS0_5tupleIJPjSE_EEENSF_IJSE_SE_EEES9_SG_JZNS1_25segmented_radix_sort_implINS0_14default_configELb1EPKdPdPKlPlN2at6native12_GLOBAL__N_18offset_tEEE10hipError_tPvRmT1_PNSt15iterator_traitsISY_E10value_typeET2_T3_PNSZ_IS14_E10value_typeET4_jRbjT5_S1A_jjP12ihipStream_tbEUljE_EEESV_SW_SX_S14_S18_S1A_T6_T7_T9_mT8_S1C_bDpT10_ENKUlT_T0_E_clISt17integral_constantIbLb1EES1O_IbLb0EEEEDaS1K_S1L_EUlS1K_E_NS1_11comp_targetILNS1_3genE0ELNS1_11target_archE4294967295ELNS1_3gpuE0ELNS1_3repE0EEENS1_30default_config_static_selectorELNS0_4arch9wavefront6targetE0EEEvSY_,"axG",@progbits,_ZN7rocprim17ROCPRIM_400000_NS6detail17trampoline_kernelINS0_13select_configILj256ELj13ELNS0_17block_load_methodE3ELS4_3ELS4_3ELNS0_20block_scan_algorithmE0ELj4294967295EEENS1_25partition_config_selectorILNS1_17partition_subalgoE3EjNS0_10empty_typeEbEEZZNS1_14partition_implILS8_3ELb0ES6_jNS0_17counting_iteratorIjlEEPS9_SE_NS0_5tupleIJPjSE_EEENSF_IJSE_SE_EEES9_SG_JZNS1_25segmented_radix_sort_implINS0_14default_configELb1EPKdPdPKlPlN2at6native12_GLOBAL__N_18offset_tEEE10hipError_tPvRmT1_PNSt15iterator_traitsISY_E10value_typeET2_T3_PNSZ_IS14_E10value_typeET4_jRbjT5_S1A_jjP12ihipStream_tbEUljE_EEESV_SW_SX_S14_S18_S1A_T6_T7_T9_mT8_S1C_bDpT10_ENKUlT_T0_E_clISt17integral_constantIbLb1EES1O_IbLb0EEEEDaS1K_S1L_EUlS1K_E_NS1_11comp_targetILNS1_3genE0ELNS1_11target_archE4294967295ELNS1_3gpuE0ELNS1_3repE0EEENS1_30default_config_static_selectorELNS0_4arch9wavefront6targetE0EEEvSY_,comdat
	.globl	_ZN7rocprim17ROCPRIM_400000_NS6detail17trampoline_kernelINS0_13select_configILj256ELj13ELNS0_17block_load_methodE3ELS4_3ELS4_3ELNS0_20block_scan_algorithmE0ELj4294967295EEENS1_25partition_config_selectorILNS1_17partition_subalgoE3EjNS0_10empty_typeEbEEZZNS1_14partition_implILS8_3ELb0ES6_jNS0_17counting_iteratorIjlEEPS9_SE_NS0_5tupleIJPjSE_EEENSF_IJSE_SE_EEES9_SG_JZNS1_25segmented_radix_sort_implINS0_14default_configELb1EPKdPdPKlPlN2at6native12_GLOBAL__N_18offset_tEEE10hipError_tPvRmT1_PNSt15iterator_traitsISY_E10value_typeET2_T3_PNSZ_IS14_E10value_typeET4_jRbjT5_S1A_jjP12ihipStream_tbEUljE_EEESV_SW_SX_S14_S18_S1A_T6_T7_T9_mT8_S1C_bDpT10_ENKUlT_T0_E_clISt17integral_constantIbLb1EES1O_IbLb0EEEEDaS1K_S1L_EUlS1K_E_NS1_11comp_targetILNS1_3genE0ELNS1_11target_archE4294967295ELNS1_3gpuE0ELNS1_3repE0EEENS1_30default_config_static_selectorELNS0_4arch9wavefront6targetE0EEEvSY_ ; -- Begin function _ZN7rocprim17ROCPRIM_400000_NS6detail17trampoline_kernelINS0_13select_configILj256ELj13ELNS0_17block_load_methodE3ELS4_3ELS4_3ELNS0_20block_scan_algorithmE0ELj4294967295EEENS1_25partition_config_selectorILNS1_17partition_subalgoE3EjNS0_10empty_typeEbEEZZNS1_14partition_implILS8_3ELb0ES6_jNS0_17counting_iteratorIjlEEPS9_SE_NS0_5tupleIJPjSE_EEENSF_IJSE_SE_EEES9_SG_JZNS1_25segmented_radix_sort_implINS0_14default_configELb1EPKdPdPKlPlN2at6native12_GLOBAL__N_18offset_tEEE10hipError_tPvRmT1_PNSt15iterator_traitsISY_E10value_typeET2_T3_PNSZ_IS14_E10value_typeET4_jRbjT5_S1A_jjP12ihipStream_tbEUljE_EEESV_SW_SX_S14_S18_S1A_T6_T7_T9_mT8_S1C_bDpT10_ENKUlT_T0_E_clISt17integral_constantIbLb1EES1O_IbLb0EEEEDaS1K_S1L_EUlS1K_E_NS1_11comp_targetILNS1_3genE0ELNS1_11target_archE4294967295ELNS1_3gpuE0ELNS1_3repE0EEENS1_30default_config_static_selectorELNS0_4arch9wavefront6targetE0EEEvSY_
	.p2align	8
	.type	_ZN7rocprim17ROCPRIM_400000_NS6detail17trampoline_kernelINS0_13select_configILj256ELj13ELNS0_17block_load_methodE3ELS4_3ELS4_3ELNS0_20block_scan_algorithmE0ELj4294967295EEENS1_25partition_config_selectorILNS1_17partition_subalgoE3EjNS0_10empty_typeEbEEZZNS1_14partition_implILS8_3ELb0ES6_jNS0_17counting_iteratorIjlEEPS9_SE_NS0_5tupleIJPjSE_EEENSF_IJSE_SE_EEES9_SG_JZNS1_25segmented_radix_sort_implINS0_14default_configELb1EPKdPdPKlPlN2at6native12_GLOBAL__N_18offset_tEEE10hipError_tPvRmT1_PNSt15iterator_traitsISY_E10value_typeET2_T3_PNSZ_IS14_E10value_typeET4_jRbjT5_S1A_jjP12ihipStream_tbEUljE_EEESV_SW_SX_S14_S18_S1A_T6_T7_T9_mT8_S1C_bDpT10_ENKUlT_T0_E_clISt17integral_constantIbLb1EES1O_IbLb0EEEEDaS1K_S1L_EUlS1K_E_NS1_11comp_targetILNS1_3genE0ELNS1_11target_archE4294967295ELNS1_3gpuE0ELNS1_3repE0EEENS1_30default_config_static_selectorELNS0_4arch9wavefront6targetE0EEEvSY_,@function
_ZN7rocprim17ROCPRIM_400000_NS6detail17trampoline_kernelINS0_13select_configILj256ELj13ELNS0_17block_load_methodE3ELS4_3ELS4_3ELNS0_20block_scan_algorithmE0ELj4294967295EEENS1_25partition_config_selectorILNS1_17partition_subalgoE3EjNS0_10empty_typeEbEEZZNS1_14partition_implILS8_3ELb0ES6_jNS0_17counting_iteratorIjlEEPS9_SE_NS0_5tupleIJPjSE_EEENSF_IJSE_SE_EEES9_SG_JZNS1_25segmented_radix_sort_implINS0_14default_configELb1EPKdPdPKlPlN2at6native12_GLOBAL__N_18offset_tEEE10hipError_tPvRmT1_PNSt15iterator_traitsISY_E10value_typeET2_T3_PNSZ_IS14_E10value_typeET4_jRbjT5_S1A_jjP12ihipStream_tbEUljE_EEESV_SW_SX_S14_S18_S1A_T6_T7_T9_mT8_S1C_bDpT10_ENKUlT_T0_E_clISt17integral_constantIbLb1EES1O_IbLb0EEEEDaS1K_S1L_EUlS1K_E_NS1_11comp_targetILNS1_3genE0ELNS1_11target_archE4294967295ELNS1_3gpuE0ELNS1_3repE0EEENS1_30default_config_static_selectorELNS0_4arch9wavefront6targetE0EEEvSY_: ; @_ZN7rocprim17ROCPRIM_400000_NS6detail17trampoline_kernelINS0_13select_configILj256ELj13ELNS0_17block_load_methodE3ELS4_3ELS4_3ELNS0_20block_scan_algorithmE0ELj4294967295EEENS1_25partition_config_selectorILNS1_17partition_subalgoE3EjNS0_10empty_typeEbEEZZNS1_14partition_implILS8_3ELb0ES6_jNS0_17counting_iteratorIjlEEPS9_SE_NS0_5tupleIJPjSE_EEENSF_IJSE_SE_EEES9_SG_JZNS1_25segmented_radix_sort_implINS0_14default_configELb1EPKdPdPKlPlN2at6native12_GLOBAL__N_18offset_tEEE10hipError_tPvRmT1_PNSt15iterator_traitsISY_E10value_typeET2_T3_PNSZ_IS14_E10value_typeET4_jRbjT5_S1A_jjP12ihipStream_tbEUljE_EEESV_SW_SX_S14_S18_S1A_T6_T7_T9_mT8_S1C_bDpT10_ENKUlT_T0_E_clISt17integral_constantIbLb1EES1O_IbLb0EEEEDaS1K_S1L_EUlS1K_E_NS1_11comp_targetILNS1_3genE0ELNS1_11target_archE4294967295ELNS1_3gpuE0ELNS1_3repE0EEENS1_30default_config_static_selectorELNS0_4arch9wavefront6targetE0EEEvSY_
; %bb.0:
	s_endpgm
	.section	.rodata,"a",@progbits
	.p2align	6, 0x0
	.amdhsa_kernel _ZN7rocprim17ROCPRIM_400000_NS6detail17trampoline_kernelINS0_13select_configILj256ELj13ELNS0_17block_load_methodE3ELS4_3ELS4_3ELNS0_20block_scan_algorithmE0ELj4294967295EEENS1_25partition_config_selectorILNS1_17partition_subalgoE3EjNS0_10empty_typeEbEEZZNS1_14partition_implILS8_3ELb0ES6_jNS0_17counting_iteratorIjlEEPS9_SE_NS0_5tupleIJPjSE_EEENSF_IJSE_SE_EEES9_SG_JZNS1_25segmented_radix_sort_implINS0_14default_configELb1EPKdPdPKlPlN2at6native12_GLOBAL__N_18offset_tEEE10hipError_tPvRmT1_PNSt15iterator_traitsISY_E10value_typeET2_T3_PNSZ_IS14_E10value_typeET4_jRbjT5_S1A_jjP12ihipStream_tbEUljE_EEESV_SW_SX_S14_S18_S1A_T6_T7_T9_mT8_S1C_bDpT10_ENKUlT_T0_E_clISt17integral_constantIbLb1EES1O_IbLb0EEEEDaS1K_S1L_EUlS1K_E_NS1_11comp_targetILNS1_3genE0ELNS1_11target_archE4294967295ELNS1_3gpuE0ELNS1_3repE0EEENS1_30default_config_static_selectorELNS0_4arch9wavefront6targetE0EEEvSY_
		.amdhsa_group_segment_fixed_size 0
		.amdhsa_private_segment_fixed_size 0
		.amdhsa_kernarg_size 144
		.amdhsa_user_sgpr_count 2
		.amdhsa_user_sgpr_dispatch_ptr 0
		.amdhsa_user_sgpr_queue_ptr 0
		.amdhsa_user_sgpr_kernarg_segment_ptr 1
		.amdhsa_user_sgpr_dispatch_id 0
		.amdhsa_user_sgpr_kernarg_preload_length 0
		.amdhsa_user_sgpr_kernarg_preload_offset 0
		.amdhsa_user_sgpr_private_segment_size 0
		.amdhsa_wavefront_size32 1
		.amdhsa_uses_dynamic_stack 0
		.amdhsa_enable_private_segment 0
		.amdhsa_system_sgpr_workgroup_id_x 1
		.amdhsa_system_sgpr_workgroup_id_y 0
		.amdhsa_system_sgpr_workgroup_id_z 0
		.amdhsa_system_sgpr_workgroup_info 0
		.amdhsa_system_vgpr_workitem_id 0
		.amdhsa_next_free_vgpr 1
		.amdhsa_next_free_sgpr 1
		.amdhsa_named_barrier_count 0
		.amdhsa_reserve_vcc 0
		.amdhsa_float_round_mode_32 0
		.amdhsa_float_round_mode_16_64 0
		.amdhsa_float_denorm_mode_32 3
		.amdhsa_float_denorm_mode_16_64 3
		.amdhsa_fp16_overflow 0
		.amdhsa_memory_ordered 1
		.amdhsa_forward_progress 1
		.amdhsa_inst_pref_size 1
		.amdhsa_round_robin_scheduling 0
		.amdhsa_exception_fp_ieee_invalid_op 0
		.amdhsa_exception_fp_denorm_src 0
		.amdhsa_exception_fp_ieee_div_zero 0
		.amdhsa_exception_fp_ieee_overflow 0
		.amdhsa_exception_fp_ieee_underflow 0
		.amdhsa_exception_fp_ieee_inexact 0
		.amdhsa_exception_int_div_zero 0
	.end_amdhsa_kernel
	.section	.text._ZN7rocprim17ROCPRIM_400000_NS6detail17trampoline_kernelINS0_13select_configILj256ELj13ELNS0_17block_load_methodE3ELS4_3ELS4_3ELNS0_20block_scan_algorithmE0ELj4294967295EEENS1_25partition_config_selectorILNS1_17partition_subalgoE3EjNS0_10empty_typeEbEEZZNS1_14partition_implILS8_3ELb0ES6_jNS0_17counting_iteratorIjlEEPS9_SE_NS0_5tupleIJPjSE_EEENSF_IJSE_SE_EEES9_SG_JZNS1_25segmented_radix_sort_implINS0_14default_configELb1EPKdPdPKlPlN2at6native12_GLOBAL__N_18offset_tEEE10hipError_tPvRmT1_PNSt15iterator_traitsISY_E10value_typeET2_T3_PNSZ_IS14_E10value_typeET4_jRbjT5_S1A_jjP12ihipStream_tbEUljE_EEESV_SW_SX_S14_S18_S1A_T6_T7_T9_mT8_S1C_bDpT10_ENKUlT_T0_E_clISt17integral_constantIbLb1EES1O_IbLb0EEEEDaS1K_S1L_EUlS1K_E_NS1_11comp_targetILNS1_3genE0ELNS1_11target_archE4294967295ELNS1_3gpuE0ELNS1_3repE0EEENS1_30default_config_static_selectorELNS0_4arch9wavefront6targetE0EEEvSY_,"axG",@progbits,_ZN7rocprim17ROCPRIM_400000_NS6detail17trampoline_kernelINS0_13select_configILj256ELj13ELNS0_17block_load_methodE3ELS4_3ELS4_3ELNS0_20block_scan_algorithmE0ELj4294967295EEENS1_25partition_config_selectorILNS1_17partition_subalgoE3EjNS0_10empty_typeEbEEZZNS1_14partition_implILS8_3ELb0ES6_jNS0_17counting_iteratorIjlEEPS9_SE_NS0_5tupleIJPjSE_EEENSF_IJSE_SE_EEES9_SG_JZNS1_25segmented_radix_sort_implINS0_14default_configELb1EPKdPdPKlPlN2at6native12_GLOBAL__N_18offset_tEEE10hipError_tPvRmT1_PNSt15iterator_traitsISY_E10value_typeET2_T3_PNSZ_IS14_E10value_typeET4_jRbjT5_S1A_jjP12ihipStream_tbEUljE_EEESV_SW_SX_S14_S18_S1A_T6_T7_T9_mT8_S1C_bDpT10_ENKUlT_T0_E_clISt17integral_constantIbLb1EES1O_IbLb0EEEEDaS1K_S1L_EUlS1K_E_NS1_11comp_targetILNS1_3genE0ELNS1_11target_archE4294967295ELNS1_3gpuE0ELNS1_3repE0EEENS1_30default_config_static_selectorELNS0_4arch9wavefront6targetE0EEEvSY_,comdat
.Lfunc_end1096:
	.size	_ZN7rocprim17ROCPRIM_400000_NS6detail17trampoline_kernelINS0_13select_configILj256ELj13ELNS0_17block_load_methodE3ELS4_3ELS4_3ELNS0_20block_scan_algorithmE0ELj4294967295EEENS1_25partition_config_selectorILNS1_17partition_subalgoE3EjNS0_10empty_typeEbEEZZNS1_14partition_implILS8_3ELb0ES6_jNS0_17counting_iteratorIjlEEPS9_SE_NS0_5tupleIJPjSE_EEENSF_IJSE_SE_EEES9_SG_JZNS1_25segmented_radix_sort_implINS0_14default_configELb1EPKdPdPKlPlN2at6native12_GLOBAL__N_18offset_tEEE10hipError_tPvRmT1_PNSt15iterator_traitsISY_E10value_typeET2_T3_PNSZ_IS14_E10value_typeET4_jRbjT5_S1A_jjP12ihipStream_tbEUljE_EEESV_SW_SX_S14_S18_S1A_T6_T7_T9_mT8_S1C_bDpT10_ENKUlT_T0_E_clISt17integral_constantIbLb1EES1O_IbLb0EEEEDaS1K_S1L_EUlS1K_E_NS1_11comp_targetILNS1_3genE0ELNS1_11target_archE4294967295ELNS1_3gpuE0ELNS1_3repE0EEENS1_30default_config_static_selectorELNS0_4arch9wavefront6targetE0EEEvSY_, .Lfunc_end1096-_ZN7rocprim17ROCPRIM_400000_NS6detail17trampoline_kernelINS0_13select_configILj256ELj13ELNS0_17block_load_methodE3ELS4_3ELS4_3ELNS0_20block_scan_algorithmE0ELj4294967295EEENS1_25partition_config_selectorILNS1_17partition_subalgoE3EjNS0_10empty_typeEbEEZZNS1_14partition_implILS8_3ELb0ES6_jNS0_17counting_iteratorIjlEEPS9_SE_NS0_5tupleIJPjSE_EEENSF_IJSE_SE_EEES9_SG_JZNS1_25segmented_radix_sort_implINS0_14default_configELb1EPKdPdPKlPlN2at6native12_GLOBAL__N_18offset_tEEE10hipError_tPvRmT1_PNSt15iterator_traitsISY_E10value_typeET2_T3_PNSZ_IS14_E10value_typeET4_jRbjT5_S1A_jjP12ihipStream_tbEUljE_EEESV_SW_SX_S14_S18_S1A_T6_T7_T9_mT8_S1C_bDpT10_ENKUlT_T0_E_clISt17integral_constantIbLb1EES1O_IbLb0EEEEDaS1K_S1L_EUlS1K_E_NS1_11comp_targetILNS1_3genE0ELNS1_11target_archE4294967295ELNS1_3gpuE0ELNS1_3repE0EEENS1_30default_config_static_selectorELNS0_4arch9wavefront6targetE0EEEvSY_
                                        ; -- End function
	.set _ZN7rocprim17ROCPRIM_400000_NS6detail17trampoline_kernelINS0_13select_configILj256ELj13ELNS0_17block_load_methodE3ELS4_3ELS4_3ELNS0_20block_scan_algorithmE0ELj4294967295EEENS1_25partition_config_selectorILNS1_17partition_subalgoE3EjNS0_10empty_typeEbEEZZNS1_14partition_implILS8_3ELb0ES6_jNS0_17counting_iteratorIjlEEPS9_SE_NS0_5tupleIJPjSE_EEENSF_IJSE_SE_EEES9_SG_JZNS1_25segmented_radix_sort_implINS0_14default_configELb1EPKdPdPKlPlN2at6native12_GLOBAL__N_18offset_tEEE10hipError_tPvRmT1_PNSt15iterator_traitsISY_E10value_typeET2_T3_PNSZ_IS14_E10value_typeET4_jRbjT5_S1A_jjP12ihipStream_tbEUljE_EEESV_SW_SX_S14_S18_S1A_T6_T7_T9_mT8_S1C_bDpT10_ENKUlT_T0_E_clISt17integral_constantIbLb1EES1O_IbLb0EEEEDaS1K_S1L_EUlS1K_E_NS1_11comp_targetILNS1_3genE0ELNS1_11target_archE4294967295ELNS1_3gpuE0ELNS1_3repE0EEENS1_30default_config_static_selectorELNS0_4arch9wavefront6targetE0EEEvSY_.num_vgpr, 0
	.set _ZN7rocprim17ROCPRIM_400000_NS6detail17trampoline_kernelINS0_13select_configILj256ELj13ELNS0_17block_load_methodE3ELS4_3ELS4_3ELNS0_20block_scan_algorithmE0ELj4294967295EEENS1_25partition_config_selectorILNS1_17partition_subalgoE3EjNS0_10empty_typeEbEEZZNS1_14partition_implILS8_3ELb0ES6_jNS0_17counting_iteratorIjlEEPS9_SE_NS0_5tupleIJPjSE_EEENSF_IJSE_SE_EEES9_SG_JZNS1_25segmented_radix_sort_implINS0_14default_configELb1EPKdPdPKlPlN2at6native12_GLOBAL__N_18offset_tEEE10hipError_tPvRmT1_PNSt15iterator_traitsISY_E10value_typeET2_T3_PNSZ_IS14_E10value_typeET4_jRbjT5_S1A_jjP12ihipStream_tbEUljE_EEESV_SW_SX_S14_S18_S1A_T6_T7_T9_mT8_S1C_bDpT10_ENKUlT_T0_E_clISt17integral_constantIbLb1EES1O_IbLb0EEEEDaS1K_S1L_EUlS1K_E_NS1_11comp_targetILNS1_3genE0ELNS1_11target_archE4294967295ELNS1_3gpuE0ELNS1_3repE0EEENS1_30default_config_static_selectorELNS0_4arch9wavefront6targetE0EEEvSY_.num_agpr, 0
	.set _ZN7rocprim17ROCPRIM_400000_NS6detail17trampoline_kernelINS0_13select_configILj256ELj13ELNS0_17block_load_methodE3ELS4_3ELS4_3ELNS0_20block_scan_algorithmE0ELj4294967295EEENS1_25partition_config_selectorILNS1_17partition_subalgoE3EjNS0_10empty_typeEbEEZZNS1_14partition_implILS8_3ELb0ES6_jNS0_17counting_iteratorIjlEEPS9_SE_NS0_5tupleIJPjSE_EEENSF_IJSE_SE_EEES9_SG_JZNS1_25segmented_radix_sort_implINS0_14default_configELb1EPKdPdPKlPlN2at6native12_GLOBAL__N_18offset_tEEE10hipError_tPvRmT1_PNSt15iterator_traitsISY_E10value_typeET2_T3_PNSZ_IS14_E10value_typeET4_jRbjT5_S1A_jjP12ihipStream_tbEUljE_EEESV_SW_SX_S14_S18_S1A_T6_T7_T9_mT8_S1C_bDpT10_ENKUlT_T0_E_clISt17integral_constantIbLb1EES1O_IbLb0EEEEDaS1K_S1L_EUlS1K_E_NS1_11comp_targetILNS1_3genE0ELNS1_11target_archE4294967295ELNS1_3gpuE0ELNS1_3repE0EEENS1_30default_config_static_selectorELNS0_4arch9wavefront6targetE0EEEvSY_.numbered_sgpr, 0
	.set _ZN7rocprim17ROCPRIM_400000_NS6detail17trampoline_kernelINS0_13select_configILj256ELj13ELNS0_17block_load_methodE3ELS4_3ELS4_3ELNS0_20block_scan_algorithmE0ELj4294967295EEENS1_25partition_config_selectorILNS1_17partition_subalgoE3EjNS0_10empty_typeEbEEZZNS1_14partition_implILS8_3ELb0ES6_jNS0_17counting_iteratorIjlEEPS9_SE_NS0_5tupleIJPjSE_EEENSF_IJSE_SE_EEES9_SG_JZNS1_25segmented_radix_sort_implINS0_14default_configELb1EPKdPdPKlPlN2at6native12_GLOBAL__N_18offset_tEEE10hipError_tPvRmT1_PNSt15iterator_traitsISY_E10value_typeET2_T3_PNSZ_IS14_E10value_typeET4_jRbjT5_S1A_jjP12ihipStream_tbEUljE_EEESV_SW_SX_S14_S18_S1A_T6_T7_T9_mT8_S1C_bDpT10_ENKUlT_T0_E_clISt17integral_constantIbLb1EES1O_IbLb0EEEEDaS1K_S1L_EUlS1K_E_NS1_11comp_targetILNS1_3genE0ELNS1_11target_archE4294967295ELNS1_3gpuE0ELNS1_3repE0EEENS1_30default_config_static_selectorELNS0_4arch9wavefront6targetE0EEEvSY_.num_named_barrier, 0
	.set _ZN7rocprim17ROCPRIM_400000_NS6detail17trampoline_kernelINS0_13select_configILj256ELj13ELNS0_17block_load_methodE3ELS4_3ELS4_3ELNS0_20block_scan_algorithmE0ELj4294967295EEENS1_25partition_config_selectorILNS1_17partition_subalgoE3EjNS0_10empty_typeEbEEZZNS1_14partition_implILS8_3ELb0ES6_jNS0_17counting_iteratorIjlEEPS9_SE_NS0_5tupleIJPjSE_EEENSF_IJSE_SE_EEES9_SG_JZNS1_25segmented_radix_sort_implINS0_14default_configELb1EPKdPdPKlPlN2at6native12_GLOBAL__N_18offset_tEEE10hipError_tPvRmT1_PNSt15iterator_traitsISY_E10value_typeET2_T3_PNSZ_IS14_E10value_typeET4_jRbjT5_S1A_jjP12ihipStream_tbEUljE_EEESV_SW_SX_S14_S18_S1A_T6_T7_T9_mT8_S1C_bDpT10_ENKUlT_T0_E_clISt17integral_constantIbLb1EES1O_IbLb0EEEEDaS1K_S1L_EUlS1K_E_NS1_11comp_targetILNS1_3genE0ELNS1_11target_archE4294967295ELNS1_3gpuE0ELNS1_3repE0EEENS1_30default_config_static_selectorELNS0_4arch9wavefront6targetE0EEEvSY_.private_seg_size, 0
	.set _ZN7rocprim17ROCPRIM_400000_NS6detail17trampoline_kernelINS0_13select_configILj256ELj13ELNS0_17block_load_methodE3ELS4_3ELS4_3ELNS0_20block_scan_algorithmE0ELj4294967295EEENS1_25partition_config_selectorILNS1_17partition_subalgoE3EjNS0_10empty_typeEbEEZZNS1_14partition_implILS8_3ELb0ES6_jNS0_17counting_iteratorIjlEEPS9_SE_NS0_5tupleIJPjSE_EEENSF_IJSE_SE_EEES9_SG_JZNS1_25segmented_radix_sort_implINS0_14default_configELb1EPKdPdPKlPlN2at6native12_GLOBAL__N_18offset_tEEE10hipError_tPvRmT1_PNSt15iterator_traitsISY_E10value_typeET2_T3_PNSZ_IS14_E10value_typeET4_jRbjT5_S1A_jjP12ihipStream_tbEUljE_EEESV_SW_SX_S14_S18_S1A_T6_T7_T9_mT8_S1C_bDpT10_ENKUlT_T0_E_clISt17integral_constantIbLb1EES1O_IbLb0EEEEDaS1K_S1L_EUlS1K_E_NS1_11comp_targetILNS1_3genE0ELNS1_11target_archE4294967295ELNS1_3gpuE0ELNS1_3repE0EEENS1_30default_config_static_selectorELNS0_4arch9wavefront6targetE0EEEvSY_.uses_vcc, 0
	.set _ZN7rocprim17ROCPRIM_400000_NS6detail17trampoline_kernelINS0_13select_configILj256ELj13ELNS0_17block_load_methodE3ELS4_3ELS4_3ELNS0_20block_scan_algorithmE0ELj4294967295EEENS1_25partition_config_selectorILNS1_17partition_subalgoE3EjNS0_10empty_typeEbEEZZNS1_14partition_implILS8_3ELb0ES6_jNS0_17counting_iteratorIjlEEPS9_SE_NS0_5tupleIJPjSE_EEENSF_IJSE_SE_EEES9_SG_JZNS1_25segmented_radix_sort_implINS0_14default_configELb1EPKdPdPKlPlN2at6native12_GLOBAL__N_18offset_tEEE10hipError_tPvRmT1_PNSt15iterator_traitsISY_E10value_typeET2_T3_PNSZ_IS14_E10value_typeET4_jRbjT5_S1A_jjP12ihipStream_tbEUljE_EEESV_SW_SX_S14_S18_S1A_T6_T7_T9_mT8_S1C_bDpT10_ENKUlT_T0_E_clISt17integral_constantIbLb1EES1O_IbLb0EEEEDaS1K_S1L_EUlS1K_E_NS1_11comp_targetILNS1_3genE0ELNS1_11target_archE4294967295ELNS1_3gpuE0ELNS1_3repE0EEENS1_30default_config_static_selectorELNS0_4arch9wavefront6targetE0EEEvSY_.uses_flat_scratch, 0
	.set _ZN7rocprim17ROCPRIM_400000_NS6detail17trampoline_kernelINS0_13select_configILj256ELj13ELNS0_17block_load_methodE3ELS4_3ELS4_3ELNS0_20block_scan_algorithmE0ELj4294967295EEENS1_25partition_config_selectorILNS1_17partition_subalgoE3EjNS0_10empty_typeEbEEZZNS1_14partition_implILS8_3ELb0ES6_jNS0_17counting_iteratorIjlEEPS9_SE_NS0_5tupleIJPjSE_EEENSF_IJSE_SE_EEES9_SG_JZNS1_25segmented_radix_sort_implINS0_14default_configELb1EPKdPdPKlPlN2at6native12_GLOBAL__N_18offset_tEEE10hipError_tPvRmT1_PNSt15iterator_traitsISY_E10value_typeET2_T3_PNSZ_IS14_E10value_typeET4_jRbjT5_S1A_jjP12ihipStream_tbEUljE_EEESV_SW_SX_S14_S18_S1A_T6_T7_T9_mT8_S1C_bDpT10_ENKUlT_T0_E_clISt17integral_constantIbLb1EES1O_IbLb0EEEEDaS1K_S1L_EUlS1K_E_NS1_11comp_targetILNS1_3genE0ELNS1_11target_archE4294967295ELNS1_3gpuE0ELNS1_3repE0EEENS1_30default_config_static_selectorELNS0_4arch9wavefront6targetE0EEEvSY_.has_dyn_sized_stack, 0
	.set _ZN7rocprim17ROCPRIM_400000_NS6detail17trampoline_kernelINS0_13select_configILj256ELj13ELNS0_17block_load_methodE3ELS4_3ELS4_3ELNS0_20block_scan_algorithmE0ELj4294967295EEENS1_25partition_config_selectorILNS1_17partition_subalgoE3EjNS0_10empty_typeEbEEZZNS1_14partition_implILS8_3ELb0ES6_jNS0_17counting_iteratorIjlEEPS9_SE_NS0_5tupleIJPjSE_EEENSF_IJSE_SE_EEES9_SG_JZNS1_25segmented_radix_sort_implINS0_14default_configELb1EPKdPdPKlPlN2at6native12_GLOBAL__N_18offset_tEEE10hipError_tPvRmT1_PNSt15iterator_traitsISY_E10value_typeET2_T3_PNSZ_IS14_E10value_typeET4_jRbjT5_S1A_jjP12ihipStream_tbEUljE_EEESV_SW_SX_S14_S18_S1A_T6_T7_T9_mT8_S1C_bDpT10_ENKUlT_T0_E_clISt17integral_constantIbLb1EES1O_IbLb0EEEEDaS1K_S1L_EUlS1K_E_NS1_11comp_targetILNS1_3genE0ELNS1_11target_archE4294967295ELNS1_3gpuE0ELNS1_3repE0EEENS1_30default_config_static_selectorELNS0_4arch9wavefront6targetE0EEEvSY_.has_recursion, 0
	.set _ZN7rocprim17ROCPRIM_400000_NS6detail17trampoline_kernelINS0_13select_configILj256ELj13ELNS0_17block_load_methodE3ELS4_3ELS4_3ELNS0_20block_scan_algorithmE0ELj4294967295EEENS1_25partition_config_selectorILNS1_17partition_subalgoE3EjNS0_10empty_typeEbEEZZNS1_14partition_implILS8_3ELb0ES6_jNS0_17counting_iteratorIjlEEPS9_SE_NS0_5tupleIJPjSE_EEENSF_IJSE_SE_EEES9_SG_JZNS1_25segmented_radix_sort_implINS0_14default_configELb1EPKdPdPKlPlN2at6native12_GLOBAL__N_18offset_tEEE10hipError_tPvRmT1_PNSt15iterator_traitsISY_E10value_typeET2_T3_PNSZ_IS14_E10value_typeET4_jRbjT5_S1A_jjP12ihipStream_tbEUljE_EEESV_SW_SX_S14_S18_S1A_T6_T7_T9_mT8_S1C_bDpT10_ENKUlT_T0_E_clISt17integral_constantIbLb1EES1O_IbLb0EEEEDaS1K_S1L_EUlS1K_E_NS1_11comp_targetILNS1_3genE0ELNS1_11target_archE4294967295ELNS1_3gpuE0ELNS1_3repE0EEENS1_30default_config_static_selectorELNS0_4arch9wavefront6targetE0EEEvSY_.has_indirect_call, 0
	.section	.AMDGPU.csdata,"",@progbits
; Kernel info:
; codeLenInByte = 4
; TotalNumSgprs: 0
; NumVgprs: 0
; ScratchSize: 0
; MemoryBound: 0
; FloatMode: 240
; IeeeMode: 1
; LDSByteSize: 0 bytes/workgroup (compile time only)
; SGPRBlocks: 0
; VGPRBlocks: 0
; NumSGPRsForWavesPerEU: 1
; NumVGPRsForWavesPerEU: 1
; NamedBarCnt: 0
; Occupancy: 16
; WaveLimiterHint : 0
; COMPUTE_PGM_RSRC2:SCRATCH_EN: 0
; COMPUTE_PGM_RSRC2:USER_SGPR: 2
; COMPUTE_PGM_RSRC2:TRAP_HANDLER: 0
; COMPUTE_PGM_RSRC2:TGID_X_EN: 1
; COMPUTE_PGM_RSRC2:TGID_Y_EN: 0
; COMPUTE_PGM_RSRC2:TGID_Z_EN: 0
; COMPUTE_PGM_RSRC2:TIDIG_COMP_CNT: 0
	.section	.text._ZN7rocprim17ROCPRIM_400000_NS6detail17trampoline_kernelINS0_13select_configILj256ELj13ELNS0_17block_load_methodE3ELS4_3ELS4_3ELNS0_20block_scan_algorithmE0ELj4294967295EEENS1_25partition_config_selectorILNS1_17partition_subalgoE3EjNS0_10empty_typeEbEEZZNS1_14partition_implILS8_3ELb0ES6_jNS0_17counting_iteratorIjlEEPS9_SE_NS0_5tupleIJPjSE_EEENSF_IJSE_SE_EEES9_SG_JZNS1_25segmented_radix_sort_implINS0_14default_configELb1EPKdPdPKlPlN2at6native12_GLOBAL__N_18offset_tEEE10hipError_tPvRmT1_PNSt15iterator_traitsISY_E10value_typeET2_T3_PNSZ_IS14_E10value_typeET4_jRbjT5_S1A_jjP12ihipStream_tbEUljE_EEESV_SW_SX_S14_S18_S1A_T6_T7_T9_mT8_S1C_bDpT10_ENKUlT_T0_E_clISt17integral_constantIbLb1EES1O_IbLb0EEEEDaS1K_S1L_EUlS1K_E_NS1_11comp_targetILNS1_3genE5ELNS1_11target_archE942ELNS1_3gpuE9ELNS1_3repE0EEENS1_30default_config_static_selectorELNS0_4arch9wavefront6targetE0EEEvSY_,"axG",@progbits,_ZN7rocprim17ROCPRIM_400000_NS6detail17trampoline_kernelINS0_13select_configILj256ELj13ELNS0_17block_load_methodE3ELS4_3ELS4_3ELNS0_20block_scan_algorithmE0ELj4294967295EEENS1_25partition_config_selectorILNS1_17partition_subalgoE3EjNS0_10empty_typeEbEEZZNS1_14partition_implILS8_3ELb0ES6_jNS0_17counting_iteratorIjlEEPS9_SE_NS0_5tupleIJPjSE_EEENSF_IJSE_SE_EEES9_SG_JZNS1_25segmented_radix_sort_implINS0_14default_configELb1EPKdPdPKlPlN2at6native12_GLOBAL__N_18offset_tEEE10hipError_tPvRmT1_PNSt15iterator_traitsISY_E10value_typeET2_T3_PNSZ_IS14_E10value_typeET4_jRbjT5_S1A_jjP12ihipStream_tbEUljE_EEESV_SW_SX_S14_S18_S1A_T6_T7_T9_mT8_S1C_bDpT10_ENKUlT_T0_E_clISt17integral_constantIbLb1EES1O_IbLb0EEEEDaS1K_S1L_EUlS1K_E_NS1_11comp_targetILNS1_3genE5ELNS1_11target_archE942ELNS1_3gpuE9ELNS1_3repE0EEENS1_30default_config_static_selectorELNS0_4arch9wavefront6targetE0EEEvSY_,comdat
	.globl	_ZN7rocprim17ROCPRIM_400000_NS6detail17trampoline_kernelINS0_13select_configILj256ELj13ELNS0_17block_load_methodE3ELS4_3ELS4_3ELNS0_20block_scan_algorithmE0ELj4294967295EEENS1_25partition_config_selectorILNS1_17partition_subalgoE3EjNS0_10empty_typeEbEEZZNS1_14partition_implILS8_3ELb0ES6_jNS0_17counting_iteratorIjlEEPS9_SE_NS0_5tupleIJPjSE_EEENSF_IJSE_SE_EEES9_SG_JZNS1_25segmented_radix_sort_implINS0_14default_configELb1EPKdPdPKlPlN2at6native12_GLOBAL__N_18offset_tEEE10hipError_tPvRmT1_PNSt15iterator_traitsISY_E10value_typeET2_T3_PNSZ_IS14_E10value_typeET4_jRbjT5_S1A_jjP12ihipStream_tbEUljE_EEESV_SW_SX_S14_S18_S1A_T6_T7_T9_mT8_S1C_bDpT10_ENKUlT_T0_E_clISt17integral_constantIbLb1EES1O_IbLb0EEEEDaS1K_S1L_EUlS1K_E_NS1_11comp_targetILNS1_3genE5ELNS1_11target_archE942ELNS1_3gpuE9ELNS1_3repE0EEENS1_30default_config_static_selectorELNS0_4arch9wavefront6targetE0EEEvSY_ ; -- Begin function _ZN7rocprim17ROCPRIM_400000_NS6detail17trampoline_kernelINS0_13select_configILj256ELj13ELNS0_17block_load_methodE3ELS4_3ELS4_3ELNS0_20block_scan_algorithmE0ELj4294967295EEENS1_25partition_config_selectorILNS1_17partition_subalgoE3EjNS0_10empty_typeEbEEZZNS1_14partition_implILS8_3ELb0ES6_jNS0_17counting_iteratorIjlEEPS9_SE_NS0_5tupleIJPjSE_EEENSF_IJSE_SE_EEES9_SG_JZNS1_25segmented_radix_sort_implINS0_14default_configELb1EPKdPdPKlPlN2at6native12_GLOBAL__N_18offset_tEEE10hipError_tPvRmT1_PNSt15iterator_traitsISY_E10value_typeET2_T3_PNSZ_IS14_E10value_typeET4_jRbjT5_S1A_jjP12ihipStream_tbEUljE_EEESV_SW_SX_S14_S18_S1A_T6_T7_T9_mT8_S1C_bDpT10_ENKUlT_T0_E_clISt17integral_constantIbLb1EES1O_IbLb0EEEEDaS1K_S1L_EUlS1K_E_NS1_11comp_targetILNS1_3genE5ELNS1_11target_archE942ELNS1_3gpuE9ELNS1_3repE0EEENS1_30default_config_static_selectorELNS0_4arch9wavefront6targetE0EEEvSY_
	.p2align	8
	.type	_ZN7rocprim17ROCPRIM_400000_NS6detail17trampoline_kernelINS0_13select_configILj256ELj13ELNS0_17block_load_methodE3ELS4_3ELS4_3ELNS0_20block_scan_algorithmE0ELj4294967295EEENS1_25partition_config_selectorILNS1_17partition_subalgoE3EjNS0_10empty_typeEbEEZZNS1_14partition_implILS8_3ELb0ES6_jNS0_17counting_iteratorIjlEEPS9_SE_NS0_5tupleIJPjSE_EEENSF_IJSE_SE_EEES9_SG_JZNS1_25segmented_radix_sort_implINS0_14default_configELb1EPKdPdPKlPlN2at6native12_GLOBAL__N_18offset_tEEE10hipError_tPvRmT1_PNSt15iterator_traitsISY_E10value_typeET2_T3_PNSZ_IS14_E10value_typeET4_jRbjT5_S1A_jjP12ihipStream_tbEUljE_EEESV_SW_SX_S14_S18_S1A_T6_T7_T9_mT8_S1C_bDpT10_ENKUlT_T0_E_clISt17integral_constantIbLb1EES1O_IbLb0EEEEDaS1K_S1L_EUlS1K_E_NS1_11comp_targetILNS1_3genE5ELNS1_11target_archE942ELNS1_3gpuE9ELNS1_3repE0EEENS1_30default_config_static_selectorELNS0_4arch9wavefront6targetE0EEEvSY_,@function
_ZN7rocprim17ROCPRIM_400000_NS6detail17trampoline_kernelINS0_13select_configILj256ELj13ELNS0_17block_load_methodE3ELS4_3ELS4_3ELNS0_20block_scan_algorithmE0ELj4294967295EEENS1_25partition_config_selectorILNS1_17partition_subalgoE3EjNS0_10empty_typeEbEEZZNS1_14partition_implILS8_3ELb0ES6_jNS0_17counting_iteratorIjlEEPS9_SE_NS0_5tupleIJPjSE_EEENSF_IJSE_SE_EEES9_SG_JZNS1_25segmented_radix_sort_implINS0_14default_configELb1EPKdPdPKlPlN2at6native12_GLOBAL__N_18offset_tEEE10hipError_tPvRmT1_PNSt15iterator_traitsISY_E10value_typeET2_T3_PNSZ_IS14_E10value_typeET4_jRbjT5_S1A_jjP12ihipStream_tbEUljE_EEESV_SW_SX_S14_S18_S1A_T6_T7_T9_mT8_S1C_bDpT10_ENKUlT_T0_E_clISt17integral_constantIbLb1EES1O_IbLb0EEEEDaS1K_S1L_EUlS1K_E_NS1_11comp_targetILNS1_3genE5ELNS1_11target_archE942ELNS1_3gpuE9ELNS1_3repE0EEENS1_30default_config_static_selectorELNS0_4arch9wavefront6targetE0EEEvSY_: ; @_ZN7rocprim17ROCPRIM_400000_NS6detail17trampoline_kernelINS0_13select_configILj256ELj13ELNS0_17block_load_methodE3ELS4_3ELS4_3ELNS0_20block_scan_algorithmE0ELj4294967295EEENS1_25partition_config_selectorILNS1_17partition_subalgoE3EjNS0_10empty_typeEbEEZZNS1_14partition_implILS8_3ELb0ES6_jNS0_17counting_iteratorIjlEEPS9_SE_NS0_5tupleIJPjSE_EEENSF_IJSE_SE_EEES9_SG_JZNS1_25segmented_radix_sort_implINS0_14default_configELb1EPKdPdPKlPlN2at6native12_GLOBAL__N_18offset_tEEE10hipError_tPvRmT1_PNSt15iterator_traitsISY_E10value_typeET2_T3_PNSZ_IS14_E10value_typeET4_jRbjT5_S1A_jjP12ihipStream_tbEUljE_EEESV_SW_SX_S14_S18_S1A_T6_T7_T9_mT8_S1C_bDpT10_ENKUlT_T0_E_clISt17integral_constantIbLb1EES1O_IbLb0EEEEDaS1K_S1L_EUlS1K_E_NS1_11comp_targetILNS1_3genE5ELNS1_11target_archE942ELNS1_3gpuE9ELNS1_3repE0EEENS1_30default_config_static_selectorELNS0_4arch9wavefront6targetE0EEEvSY_
; %bb.0:
	.section	.rodata,"a",@progbits
	.p2align	6, 0x0
	.amdhsa_kernel _ZN7rocprim17ROCPRIM_400000_NS6detail17trampoline_kernelINS0_13select_configILj256ELj13ELNS0_17block_load_methodE3ELS4_3ELS4_3ELNS0_20block_scan_algorithmE0ELj4294967295EEENS1_25partition_config_selectorILNS1_17partition_subalgoE3EjNS0_10empty_typeEbEEZZNS1_14partition_implILS8_3ELb0ES6_jNS0_17counting_iteratorIjlEEPS9_SE_NS0_5tupleIJPjSE_EEENSF_IJSE_SE_EEES9_SG_JZNS1_25segmented_radix_sort_implINS0_14default_configELb1EPKdPdPKlPlN2at6native12_GLOBAL__N_18offset_tEEE10hipError_tPvRmT1_PNSt15iterator_traitsISY_E10value_typeET2_T3_PNSZ_IS14_E10value_typeET4_jRbjT5_S1A_jjP12ihipStream_tbEUljE_EEESV_SW_SX_S14_S18_S1A_T6_T7_T9_mT8_S1C_bDpT10_ENKUlT_T0_E_clISt17integral_constantIbLb1EES1O_IbLb0EEEEDaS1K_S1L_EUlS1K_E_NS1_11comp_targetILNS1_3genE5ELNS1_11target_archE942ELNS1_3gpuE9ELNS1_3repE0EEENS1_30default_config_static_selectorELNS0_4arch9wavefront6targetE0EEEvSY_
		.amdhsa_group_segment_fixed_size 0
		.amdhsa_private_segment_fixed_size 0
		.amdhsa_kernarg_size 144
		.amdhsa_user_sgpr_count 2
		.amdhsa_user_sgpr_dispatch_ptr 0
		.amdhsa_user_sgpr_queue_ptr 0
		.amdhsa_user_sgpr_kernarg_segment_ptr 1
		.amdhsa_user_sgpr_dispatch_id 0
		.amdhsa_user_sgpr_kernarg_preload_length 0
		.amdhsa_user_sgpr_kernarg_preload_offset 0
		.amdhsa_user_sgpr_private_segment_size 0
		.amdhsa_wavefront_size32 1
		.amdhsa_uses_dynamic_stack 0
		.amdhsa_enable_private_segment 0
		.amdhsa_system_sgpr_workgroup_id_x 1
		.amdhsa_system_sgpr_workgroup_id_y 0
		.amdhsa_system_sgpr_workgroup_id_z 0
		.amdhsa_system_sgpr_workgroup_info 0
		.amdhsa_system_vgpr_workitem_id 0
		.amdhsa_next_free_vgpr 1
		.amdhsa_next_free_sgpr 1
		.amdhsa_named_barrier_count 0
		.amdhsa_reserve_vcc 0
		.amdhsa_float_round_mode_32 0
		.amdhsa_float_round_mode_16_64 0
		.amdhsa_float_denorm_mode_32 3
		.amdhsa_float_denorm_mode_16_64 3
		.amdhsa_fp16_overflow 0
		.amdhsa_memory_ordered 1
		.amdhsa_forward_progress 1
		.amdhsa_inst_pref_size 0
		.amdhsa_round_robin_scheduling 0
		.amdhsa_exception_fp_ieee_invalid_op 0
		.amdhsa_exception_fp_denorm_src 0
		.amdhsa_exception_fp_ieee_div_zero 0
		.amdhsa_exception_fp_ieee_overflow 0
		.amdhsa_exception_fp_ieee_underflow 0
		.amdhsa_exception_fp_ieee_inexact 0
		.amdhsa_exception_int_div_zero 0
	.end_amdhsa_kernel
	.section	.text._ZN7rocprim17ROCPRIM_400000_NS6detail17trampoline_kernelINS0_13select_configILj256ELj13ELNS0_17block_load_methodE3ELS4_3ELS4_3ELNS0_20block_scan_algorithmE0ELj4294967295EEENS1_25partition_config_selectorILNS1_17partition_subalgoE3EjNS0_10empty_typeEbEEZZNS1_14partition_implILS8_3ELb0ES6_jNS0_17counting_iteratorIjlEEPS9_SE_NS0_5tupleIJPjSE_EEENSF_IJSE_SE_EEES9_SG_JZNS1_25segmented_radix_sort_implINS0_14default_configELb1EPKdPdPKlPlN2at6native12_GLOBAL__N_18offset_tEEE10hipError_tPvRmT1_PNSt15iterator_traitsISY_E10value_typeET2_T3_PNSZ_IS14_E10value_typeET4_jRbjT5_S1A_jjP12ihipStream_tbEUljE_EEESV_SW_SX_S14_S18_S1A_T6_T7_T9_mT8_S1C_bDpT10_ENKUlT_T0_E_clISt17integral_constantIbLb1EES1O_IbLb0EEEEDaS1K_S1L_EUlS1K_E_NS1_11comp_targetILNS1_3genE5ELNS1_11target_archE942ELNS1_3gpuE9ELNS1_3repE0EEENS1_30default_config_static_selectorELNS0_4arch9wavefront6targetE0EEEvSY_,"axG",@progbits,_ZN7rocprim17ROCPRIM_400000_NS6detail17trampoline_kernelINS0_13select_configILj256ELj13ELNS0_17block_load_methodE3ELS4_3ELS4_3ELNS0_20block_scan_algorithmE0ELj4294967295EEENS1_25partition_config_selectorILNS1_17partition_subalgoE3EjNS0_10empty_typeEbEEZZNS1_14partition_implILS8_3ELb0ES6_jNS0_17counting_iteratorIjlEEPS9_SE_NS0_5tupleIJPjSE_EEENSF_IJSE_SE_EEES9_SG_JZNS1_25segmented_radix_sort_implINS0_14default_configELb1EPKdPdPKlPlN2at6native12_GLOBAL__N_18offset_tEEE10hipError_tPvRmT1_PNSt15iterator_traitsISY_E10value_typeET2_T3_PNSZ_IS14_E10value_typeET4_jRbjT5_S1A_jjP12ihipStream_tbEUljE_EEESV_SW_SX_S14_S18_S1A_T6_T7_T9_mT8_S1C_bDpT10_ENKUlT_T0_E_clISt17integral_constantIbLb1EES1O_IbLb0EEEEDaS1K_S1L_EUlS1K_E_NS1_11comp_targetILNS1_3genE5ELNS1_11target_archE942ELNS1_3gpuE9ELNS1_3repE0EEENS1_30default_config_static_selectorELNS0_4arch9wavefront6targetE0EEEvSY_,comdat
.Lfunc_end1097:
	.size	_ZN7rocprim17ROCPRIM_400000_NS6detail17trampoline_kernelINS0_13select_configILj256ELj13ELNS0_17block_load_methodE3ELS4_3ELS4_3ELNS0_20block_scan_algorithmE0ELj4294967295EEENS1_25partition_config_selectorILNS1_17partition_subalgoE3EjNS0_10empty_typeEbEEZZNS1_14partition_implILS8_3ELb0ES6_jNS0_17counting_iteratorIjlEEPS9_SE_NS0_5tupleIJPjSE_EEENSF_IJSE_SE_EEES9_SG_JZNS1_25segmented_radix_sort_implINS0_14default_configELb1EPKdPdPKlPlN2at6native12_GLOBAL__N_18offset_tEEE10hipError_tPvRmT1_PNSt15iterator_traitsISY_E10value_typeET2_T3_PNSZ_IS14_E10value_typeET4_jRbjT5_S1A_jjP12ihipStream_tbEUljE_EEESV_SW_SX_S14_S18_S1A_T6_T7_T9_mT8_S1C_bDpT10_ENKUlT_T0_E_clISt17integral_constantIbLb1EES1O_IbLb0EEEEDaS1K_S1L_EUlS1K_E_NS1_11comp_targetILNS1_3genE5ELNS1_11target_archE942ELNS1_3gpuE9ELNS1_3repE0EEENS1_30default_config_static_selectorELNS0_4arch9wavefront6targetE0EEEvSY_, .Lfunc_end1097-_ZN7rocprim17ROCPRIM_400000_NS6detail17trampoline_kernelINS0_13select_configILj256ELj13ELNS0_17block_load_methodE3ELS4_3ELS4_3ELNS0_20block_scan_algorithmE0ELj4294967295EEENS1_25partition_config_selectorILNS1_17partition_subalgoE3EjNS0_10empty_typeEbEEZZNS1_14partition_implILS8_3ELb0ES6_jNS0_17counting_iteratorIjlEEPS9_SE_NS0_5tupleIJPjSE_EEENSF_IJSE_SE_EEES9_SG_JZNS1_25segmented_radix_sort_implINS0_14default_configELb1EPKdPdPKlPlN2at6native12_GLOBAL__N_18offset_tEEE10hipError_tPvRmT1_PNSt15iterator_traitsISY_E10value_typeET2_T3_PNSZ_IS14_E10value_typeET4_jRbjT5_S1A_jjP12ihipStream_tbEUljE_EEESV_SW_SX_S14_S18_S1A_T6_T7_T9_mT8_S1C_bDpT10_ENKUlT_T0_E_clISt17integral_constantIbLb1EES1O_IbLb0EEEEDaS1K_S1L_EUlS1K_E_NS1_11comp_targetILNS1_3genE5ELNS1_11target_archE942ELNS1_3gpuE9ELNS1_3repE0EEENS1_30default_config_static_selectorELNS0_4arch9wavefront6targetE0EEEvSY_
                                        ; -- End function
	.set _ZN7rocprim17ROCPRIM_400000_NS6detail17trampoline_kernelINS0_13select_configILj256ELj13ELNS0_17block_load_methodE3ELS4_3ELS4_3ELNS0_20block_scan_algorithmE0ELj4294967295EEENS1_25partition_config_selectorILNS1_17partition_subalgoE3EjNS0_10empty_typeEbEEZZNS1_14partition_implILS8_3ELb0ES6_jNS0_17counting_iteratorIjlEEPS9_SE_NS0_5tupleIJPjSE_EEENSF_IJSE_SE_EEES9_SG_JZNS1_25segmented_radix_sort_implINS0_14default_configELb1EPKdPdPKlPlN2at6native12_GLOBAL__N_18offset_tEEE10hipError_tPvRmT1_PNSt15iterator_traitsISY_E10value_typeET2_T3_PNSZ_IS14_E10value_typeET4_jRbjT5_S1A_jjP12ihipStream_tbEUljE_EEESV_SW_SX_S14_S18_S1A_T6_T7_T9_mT8_S1C_bDpT10_ENKUlT_T0_E_clISt17integral_constantIbLb1EES1O_IbLb0EEEEDaS1K_S1L_EUlS1K_E_NS1_11comp_targetILNS1_3genE5ELNS1_11target_archE942ELNS1_3gpuE9ELNS1_3repE0EEENS1_30default_config_static_selectorELNS0_4arch9wavefront6targetE0EEEvSY_.num_vgpr, 0
	.set _ZN7rocprim17ROCPRIM_400000_NS6detail17trampoline_kernelINS0_13select_configILj256ELj13ELNS0_17block_load_methodE3ELS4_3ELS4_3ELNS0_20block_scan_algorithmE0ELj4294967295EEENS1_25partition_config_selectorILNS1_17partition_subalgoE3EjNS0_10empty_typeEbEEZZNS1_14partition_implILS8_3ELb0ES6_jNS0_17counting_iteratorIjlEEPS9_SE_NS0_5tupleIJPjSE_EEENSF_IJSE_SE_EEES9_SG_JZNS1_25segmented_radix_sort_implINS0_14default_configELb1EPKdPdPKlPlN2at6native12_GLOBAL__N_18offset_tEEE10hipError_tPvRmT1_PNSt15iterator_traitsISY_E10value_typeET2_T3_PNSZ_IS14_E10value_typeET4_jRbjT5_S1A_jjP12ihipStream_tbEUljE_EEESV_SW_SX_S14_S18_S1A_T6_T7_T9_mT8_S1C_bDpT10_ENKUlT_T0_E_clISt17integral_constantIbLb1EES1O_IbLb0EEEEDaS1K_S1L_EUlS1K_E_NS1_11comp_targetILNS1_3genE5ELNS1_11target_archE942ELNS1_3gpuE9ELNS1_3repE0EEENS1_30default_config_static_selectorELNS0_4arch9wavefront6targetE0EEEvSY_.num_agpr, 0
	.set _ZN7rocprim17ROCPRIM_400000_NS6detail17trampoline_kernelINS0_13select_configILj256ELj13ELNS0_17block_load_methodE3ELS4_3ELS4_3ELNS0_20block_scan_algorithmE0ELj4294967295EEENS1_25partition_config_selectorILNS1_17partition_subalgoE3EjNS0_10empty_typeEbEEZZNS1_14partition_implILS8_3ELb0ES6_jNS0_17counting_iteratorIjlEEPS9_SE_NS0_5tupleIJPjSE_EEENSF_IJSE_SE_EEES9_SG_JZNS1_25segmented_radix_sort_implINS0_14default_configELb1EPKdPdPKlPlN2at6native12_GLOBAL__N_18offset_tEEE10hipError_tPvRmT1_PNSt15iterator_traitsISY_E10value_typeET2_T3_PNSZ_IS14_E10value_typeET4_jRbjT5_S1A_jjP12ihipStream_tbEUljE_EEESV_SW_SX_S14_S18_S1A_T6_T7_T9_mT8_S1C_bDpT10_ENKUlT_T0_E_clISt17integral_constantIbLb1EES1O_IbLb0EEEEDaS1K_S1L_EUlS1K_E_NS1_11comp_targetILNS1_3genE5ELNS1_11target_archE942ELNS1_3gpuE9ELNS1_3repE0EEENS1_30default_config_static_selectorELNS0_4arch9wavefront6targetE0EEEvSY_.numbered_sgpr, 0
	.set _ZN7rocprim17ROCPRIM_400000_NS6detail17trampoline_kernelINS0_13select_configILj256ELj13ELNS0_17block_load_methodE3ELS4_3ELS4_3ELNS0_20block_scan_algorithmE0ELj4294967295EEENS1_25partition_config_selectorILNS1_17partition_subalgoE3EjNS0_10empty_typeEbEEZZNS1_14partition_implILS8_3ELb0ES6_jNS0_17counting_iteratorIjlEEPS9_SE_NS0_5tupleIJPjSE_EEENSF_IJSE_SE_EEES9_SG_JZNS1_25segmented_radix_sort_implINS0_14default_configELb1EPKdPdPKlPlN2at6native12_GLOBAL__N_18offset_tEEE10hipError_tPvRmT1_PNSt15iterator_traitsISY_E10value_typeET2_T3_PNSZ_IS14_E10value_typeET4_jRbjT5_S1A_jjP12ihipStream_tbEUljE_EEESV_SW_SX_S14_S18_S1A_T6_T7_T9_mT8_S1C_bDpT10_ENKUlT_T0_E_clISt17integral_constantIbLb1EES1O_IbLb0EEEEDaS1K_S1L_EUlS1K_E_NS1_11comp_targetILNS1_3genE5ELNS1_11target_archE942ELNS1_3gpuE9ELNS1_3repE0EEENS1_30default_config_static_selectorELNS0_4arch9wavefront6targetE0EEEvSY_.num_named_barrier, 0
	.set _ZN7rocprim17ROCPRIM_400000_NS6detail17trampoline_kernelINS0_13select_configILj256ELj13ELNS0_17block_load_methodE3ELS4_3ELS4_3ELNS0_20block_scan_algorithmE0ELj4294967295EEENS1_25partition_config_selectorILNS1_17partition_subalgoE3EjNS0_10empty_typeEbEEZZNS1_14partition_implILS8_3ELb0ES6_jNS0_17counting_iteratorIjlEEPS9_SE_NS0_5tupleIJPjSE_EEENSF_IJSE_SE_EEES9_SG_JZNS1_25segmented_radix_sort_implINS0_14default_configELb1EPKdPdPKlPlN2at6native12_GLOBAL__N_18offset_tEEE10hipError_tPvRmT1_PNSt15iterator_traitsISY_E10value_typeET2_T3_PNSZ_IS14_E10value_typeET4_jRbjT5_S1A_jjP12ihipStream_tbEUljE_EEESV_SW_SX_S14_S18_S1A_T6_T7_T9_mT8_S1C_bDpT10_ENKUlT_T0_E_clISt17integral_constantIbLb1EES1O_IbLb0EEEEDaS1K_S1L_EUlS1K_E_NS1_11comp_targetILNS1_3genE5ELNS1_11target_archE942ELNS1_3gpuE9ELNS1_3repE0EEENS1_30default_config_static_selectorELNS0_4arch9wavefront6targetE0EEEvSY_.private_seg_size, 0
	.set _ZN7rocprim17ROCPRIM_400000_NS6detail17trampoline_kernelINS0_13select_configILj256ELj13ELNS0_17block_load_methodE3ELS4_3ELS4_3ELNS0_20block_scan_algorithmE0ELj4294967295EEENS1_25partition_config_selectorILNS1_17partition_subalgoE3EjNS0_10empty_typeEbEEZZNS1_14partition_implILS8_3ELb0ES6_jNS0_17counting_iteratorIjlEEPS9_SE_NS0_5tupleIJPjSE_EEENSF_IJSE_SE_EEES9_SG_JZNS1_25segmented_radix_sort_implINS0_14default_configELb1EPKdPdPKlPlN2at6native12_GLOBAL__N_18offset_tEEE10hipError_tPvRmT1_PNSt15iterator_traitsISY_E10value_typeET2_T3_PNSZ_IS14_E10value_typeET4_jRbjT5_S1A_jjP12ihipStream_tbEUljE_EEESV_SW_SX_S14_S18_S1A_T6_T7_T9_mT8_S1C_bDpT10_ENKUlT_T0_E_clISt17integral_constantIbLb1EES1O_IbLb0EEEEDaS1K_S1L_EUlS1K_E_NS1_11comp_targetILNS1_3genE5ELNS1_11target_archE942ELNS1_3gpuE9ELNS1_3repE0EEENS1_30default_config_static_selectorELNS0_4arch9wavefront6targetE0EEEvSY_.uses_vcc, 0
	.set _ZN7rocprim17ROCPRIM_400000_NS6detail17trampoline_kernelINS0_13select_configILj256ELj13ELNS0_17block_load_methodE3ELS4_3ELS4_3ELNS0_20block_scan_algorithmE0ELj4294967295EEENS1_25partition_config_selectorILNS1_17partition_subalgoE3EjNS0_10empty_typeEbEEZZNS1_14partition_implILS8_3ELb0ES6_jNS0_17counting_iteratorIjlEEPS9_SE_NS0_5tupleIJPjSE_EEENSF_IJSE_SE_EEES9_SG_JZNS1_25segmented_radix_sort_implINS0_14default_configELb1EPKdPdPKlPlN2at6native12_GLOBAL__N_18offset_tEEE10hipError_tPvRmT1_PNSt15iterator_traitsISY_E10value_typeET2_T3_PNSZ_IS14_E10value_typeET4_jRbjT5_S1A_jjP12ihipStream_tbEUljE_EEESV_SW_SX_S14_S18_S1A_T6_T7_T9_mT8_S1C_bDpT10_ENKUlT_T0_E_clISt17integral_constantIbLb1EES1O_IbLb0EEEEDaS1K_S1L_EUlS1K_E_NS1_11comp_targetILNS1_3genE5ELNS1_11target_archE942ELNS1_3gpuE9ELNS1_3repE0EEENS1_30default_config_static_selectorELNS0_4arch9wavefront6targetE0EEEvSY_.uses_flat_scratch, 0
	.set _ZN7rocprim17ROCPRIM_400000_NS6detail17trampoline_kernelINS0_13select_configILj256ELj13ELNS0_17block_load_methodE3ELS4_3ELS4_3ELNS0_20block_scan_algorithmE0ELj4294967295EEENS1_25partition_config_selectorILNS1_17partition_subalgoE3EjNS0_10empty_typeEbEEZZNS1_14partition_implILS8_3ELb0ES6_jNS0_17counting_iteratorIjlEEPS9_SE_NS0_5tupleIJPjSE_EEENSF_IJSE_SE_EEES9_SG_JZNS1_25segmented_radix_sort_implINS0_14default_configELb1EPKdPdPKlPlN2at6native12_GLOBAL__N_18offset_tEEE10hipError_tPvRmT1_PNSt15iterator_traitsISY_E10value_typeET2_T3_PNSZ_IS14_E10value_typeET4_jRbjT5_S1A_jjP12ihipStream_tbEUljE_EEESV_SW_SX_S14_S18_S1A_T6_T7_T9_mT8_S1C_bDpT10_ENKUlT_T0_E_clISt17integral_constantIbLb1EES1O_IbLb0EEEEDaS1K_S1L_EUlS1K_E_NS1_11comp_targetILNS1_3genE5ELNS1_11target_archE942ELNS1_3gpuE9ELNS1_3repE0EEENS1_30default_config_static_selectorELNS0_4arch9wavefront6targetE0EEEvSY_.has_dyn_sized_stack, 0
	.set _ZN7rocprim17ROCPRIM_400000_NS6detail17trampoline_kernelINS0_13select_configILj256ELj13ELNS0_17block_load_methodE3ELS4_3ELS4_3ELNS0_20block_scan_algorithmE0ELj4294967295EEENS1_25partition_config_selectorILNS1_17partition_subalgoE3EjNS0_10empty_typeEbEEZZNS1_14partition_implILS8_3ELb0ES6_jNS0_17counting_iteratorIjlEEPS9_SE_NS0_5tupleIJPjSE_EEENSF_IJSE_SE_EEES9_SG_JZNS1_25segmented_radix_sort_implINS0_14default_configELb1EPKdPdPKlPlN2at6native12_GLOBAL__N_18offset_tEEE10hipError_tPvRmT1_PNSt15iterator_traitsISY_E10value_typeET2_T3_PNSZ_IS14_E10value_typeET4_jRbjT5_S1A_jjP12ihipStream_tbEUljE_EEESV_SW_SX_S14_S18_S1A_T6_T7_T9_mT8_S1C_bDpT10_ENKUlT_T0_E_clISt17integral_constantIbLb1EES1O_IbLb0EEEEDaS1K_S1L_EUlS1K_E_NS1_11comp_targetILNS1_3genE5ELNS1_11target_archE942ELNS1_3gpuE9ELNS1_3repE0EEENS1_30default_config_static_selectorELNS0_4arch9wavefront6targetE0EEEvSY_.has_recursion, 0
	.set _ZN7rocprim17ROCPRIM_400000_NS6detail17trampoline_kernelINS0_13select_configILj256ELj13ELNS0_17block_load_methodE3ELS4_3ELS4_3ELNS0_20block_scan_algorithmE0ELj4294967295EEENS1_25partition_config_selectorILNS1_17partition_subalgoE3EjNS0_10empty_typeEbEEZZNS1_14partition_implILS8_3ELb0ES6_jNS0_17counting_iteratorIjlEEPS9_SE_NS0_5tupleIJPjSE_EEENSF_IJSE_SE_EEES9_SG_JZNS1_25segmented_radix_sort_implINS0_14default_configELb1EPKdPdPKlPlN2at6native12_GLOBAL__N_18offset_tEEE10hipError_tPvRmT1_PNSt15iterator_traitsISY_E10value_typeET2_T3_PNSZ_IS14_E10value_typeET4_jRbjT5_S1A_jjP12ihipStream_tbEUljE_EEESV_SW_SX_S14_S18_S1A_T6_T7_T9_mT8_S1C_bDpT10_ENKUlT_T0_E_clISt17integral_constantIbLb1EES1O_IbLb0EEEEDaS1K_S1L_EUlS1K_E_NS1_11comp_targetILNS1_3genE5ELNS1_11target_archE942ELNS1_3gpuE9ELNS1_3repE0EEENS1_30default_config_static_selectorELNS0_4arch9wavefront6targetE0EEEvSY_.has_indirect_call, 0
	.section	.AMDGPU.csdata,"",@progbits
; Kernel info:
; codeLenInByte = 0
; TotalNumSgprs: 0
; NumVgprs: 0
; ScratchSize: 0
; MemoryBound: 0
; FloatMode: 240
; IeeeMode: 1
; LDSByteSize: 0 bytes/workgroup (compile time only)
; SGPRBlocks: 0
; VGPRBlocks: 0
; NumSGPRsForWavesPerEU: 1
; NumVGPRsForWavesPerEU: 1
; NamedBarCnt: 0
; Occupancy: 16
; WaveLimiterHint : 0
; COMPUTE_PGM_RSRC2:SCRATCH_EN: 0
; COMPUTE_PGM_RSRC2:USER_SGPR: 2
; COMPUTE_PGM_RSRC2:TRAP_HANDLER: 0
; COMPUTE_PGM_RSRC2:TGID_X_EN: 1
; COMPUTE_PGM_RSRC2:TGID_Y_EN: 0
; COMPUTE_PGM_RSRC2:TGID_Z_EN: 0
; COMPUTE_PGM_RSRC2:TIDIG_COMP_CNT: 0
	.section	.text._ZN7rocprim17ROCPRIM_400000_NS6detail17trampoline_kernelINS0_13select_configILj256ELj13ELNS0_17block_load_methodE3ELS4_3ELS4_3ELNS0_20block_scan_algorithmE0ELj4294967295EEENS1_25partition_config_selectorILNS1_17partition_subalgoE3EjNS0_10empty_typeEbEEZZNS1_14partition_implILS8_3ELb0ES6_jNS0_17counting_iteratorIjlEEPS9_SE_NS0_5tupleIJPjSE_EEENSF_IJSE_SE_EEES9_SG_JZNS1_25segmented_radix_sort_implINS0_14default_configELb1EPKdPdPKlPlN2at6native12_GLOBAL__N_18offset_tEEE10hipError_tPvRmT1_PNSt15iterator_traitsISY_E10value_typeET2_T3_PNSZ_IS14_E10value_typeET4_jRbjT5_S1A_jjP12ihipStream_tbEUljE_EEESV_SW_SX_S14_S18_S1A_T6_T7_T9_mT8_S1C_bDpT10_ENKUlT_T0_E_clISt17integral_constantIbLb1EES1O_IbLb0EEEEDaS1K_S1L_EUlS1K_E_NS1_11comp_targetILNS1_3genE4ELNS1_11target_archE910ELNS1_3gpuE8ELNS1_3repE0EEENS1_30default_config_static_selectorELNS0_4arch9wavefront6targetE0EEEvSY_,"axG",@progbits,_ZN7rocprim17ROCPRIM_400000_NS6detail17trampoline_kernelINS0_13select_configILj256ELj13ELNS0_17block_load_methodE3ELS4_3ELS4_3ELNS0_20block_scan_algorithmE0ELj4294967295EEENS1_25partition_config_selectorILNS1_17partition_subalgoE3EjNS0_10empty_typeEbEEZZNS1_14partition_implILS8_3ELb0ES6_jNS0_17counting_iteratorIjlEEPS9_SE_NS0_5tupleIJPjSE_EEENSF_IJSE_SE_EEES9_SG_JZNS1_25segmented_radix_sort_implINS0_14default_configELb1EPKdPdPKlPlN2at6native12_GLOBAL__N_18offset_tEEE10hipError_tPvRmT1_PNSt15iterator_traitsISY_E10value_typeET2_T3_PNSZ_IS14_E10value_typeET4_jRbjT5_S1A_jjP12ihipStream_tbEUljE_EEESV_SW_SX_S14_S18_S1A_T6_T7_T9_mT8_S1C_bDpT10_ENKUlT_T0_E_clISt17integral_constantIbLb1EES1O_IbLb0EEEEDaS1K_S1L_EUlS1K_E_NS1_11comp_targetILNS1_3genE4ELNS1_11target_archE910ELNS1_3gpuE8ELNS1_3repE0EEENS1_30default_config_static_selectorELNS0_4arch9wavefront6targetE0EEEvSY_,comdat
	.globl	_ZN7rocprim17ROCPRIM_400000_NS6detail17trampoline_kernelINS0_13select_configILj256ELj13ELNS0_17block_load_methodE3ELS4_3ELS4_3ELNS0_20block_scan_algorithmE0ELj4294967295EEENS1_25partition_config_selectorILNS1_17partition_subalgoE3EjNS0_10empty_typeEbEEZZNS1_14partition_implILS8_3ELb0ES6_jNS0_17counting_iteratorIjlEEPS9_SE_NS0_5tupleIJPjSE_EEENSF_IJSE_SE_EEES9_SG_JZNS1_25segmented_radix_sort_implINS0_14default_configELb1EPKdPdPKlPlN2at6native12_GLOBAL__N_18offset_tEEE10hipError_tPvRmT1_PNSt15iterator_traitsISY_E10value_typeET2_T3_PNSZ_IS14_E10value_typeET4_jRbjT5_S1A_jjP12ihipStream_tbEUljE_EEESV_SW_SX_S14_S18_S1A_T6_T7_T9_mT8_S1C_bDpT10_ENKUlT_T0_E_clISt17integral_constantIbLb1EES1O_IbLb0EEEEDaS1K_S1L_EUlS1K_E_NS1_11comp_targetILNS1_3genE4ELNS1_11target_archE910ELNS1_3gpuE8ELNS1_3repE0EEENS1_30default_config_static_selectorELNS0_4arch9wavefront6targetE0EEEvSY_ ; -- Begin function _ZN7rocprim17ROCPRIM_400000_NS6detail17trampoline_kernelINS0_13select_configILj256ELj13ELNS0_17block_load_methodE3ELS4_3ELS4_3ELNS0_20block_scan_algorithmE0ELj4294967295EEENS1_25partition_config_selectorILNS1_17partition_subalgoE3EjNS0_10empty_typeEbEEZZNS1_14partition_implILS8_3ELb0ES6_jNS0_17counting_iteratorIjlEEPS9_SE_NS0_5tupleIJPjSE_EEENSF_IJSE_SE_EEES9_SG_JZNS1_25segmented_radix_sort_implINS0_14default_configELb1EPKdPdPKlPlN2at6native12_GLOBAL__N_18offset_tEEE10hipError_tPvRmT1_PNSt15iterator_traitsISY_E10value_typeET2_T3_PNSZ_IS14_E10value_typeET4_jRbjT5_S1A_jjP12ihipStream_tbEUljE_EEESV_SW_SX_S14_S18_S1A_T6_T7_T9_mT8_S1C_bDpT10_ENKUlT_T0_E_clISt17integral_constantIbLb1EES1O_IbLb0EEEEDaS1K_S1L_EUlS1K_E_NS1_11comp_targetILNS1_3genE4ELNS1_11target_archE910ELNS1_3gpuE8ELNS1_3repE0EEENS1_30default_config_static_selectorELNS0_4arch9wavefront6targetE0EEEvSY_
	.p2align	8
	.type	_ZN7rocprim17ROCPRIM_400000_NS6detail17trampoline_kernelINS0_13select_configILj256ELj13ELNS0_17block_load_methodE3ELS4_3ELS4_3ELNS0_20block_scan_algorithmE0ELj4294967295EEENS1_25partition_config_selectorILNS1_17partition_subalgoE3EjNS0_10empty_typeEbEEZZNS1_14partition_implILS8_3ELb0ES6_jNS0_17counting_iteratorIjlEEPS9_SE_NS0_5tupleIJPjSE_EEENSF_IJSE_SE_EEES9_SG_JZNS1_25segmented_radix_sort_implINS0_14default_configELb1EPKdPdPKlPlN2at6native12_GLOBAL__N_18offset_tEEE10hipError_tPvRmT1_PNSt15iterator_traitsISY_E10value_typeET2_T3_PNSZ_IS14_E10value_typeET4_jRbjT5_S1A_jjP12ihipStream_tbEUljE_EEESV_SW_SX_S14_S18_S1A_T6_T7_T9_mT8_S1C_bDpT10_ENKUlT_T0_E_clISt17integral_constantIbLb1EES1O_IbLb0EEEEDaS1K_S1L_EUlS1K_E_NS1_11comp_targetILNS1_3genE4ELNS1_11target_archE910ELNS1_3gpuE8ELNS1_3repE0EEENS1_30default_config_static_selectorELNS0_4arch9wavefront6targetE0EEEvSY_,@function
_ZN7rocprim17ROCPRIM_400000_NS6detail17trampoline_kernelINS0_13select_configILj256ELj13ELNS0_17block_load_methodE3ELS4_3ELS4_3ELNS0_20block_scan_algorithmE0ELj4294967295EEENS1_25partition_config_selectorILNS1_17partition_subalgoE3EjNS0_10empty_typeEbEEZZNS1_14partition_implILS8_3ELb0ES6_jNS0_17counting_iteratorIjlEEPS9_SE_NS0_5tupleIJPjSE_EEENSF_IJSE_SE_EEES9_SG_JZNS1_25segmented_radix_sort_implINS0_14default_configELb1EPKdPdPKlPlN2at6native12_GLOBAL__N_18offset_tEEE10hipError_tPvRmT1_PNSt15iterator_traitsISY_E10value_typeET2_T3_PNSZ_IS14_E10value_typeET4_jRbjT5_S1A_jjP12ihipStream_tbEUljE_EEESV_SW_SX_S14_S18_S1A_T6_T7_T9_mT8_S1C_bDpT10_ENKUlT_T0_E_clISt17integral_constantIbLb1EES1O_IbLb0EEEEDaS1K_S1L_EUlS1K_E_NS1_11comp_targetILNS1_3genE4ELNS1_11target_archE910ELNS1_3gpuE8ELNS1_3repE0EEENS1_30default_config_static_selectorELNS0_4arch9wavefront6targetE0EEEvSY_: ; @_ZN7rocprim17ROCPRIM_400000_NS6detail17trampoline_kernelINS0_13select_configILj256ELj13ELNS0_17block_load_methodE3ELS4_3ELS4_3ELNS0_20block_scan_algorithmE0ELj4294967295EEENS1_25partition_config_selectorILNS1_17partition_subalgoE3EjNS0_10empty_typeEbEEZZNS1_14partition_implILS8_3ELb0ES6_jNS0_17counting_iteratorIjlEEPS9_SE_NS0_5tupleIJPjSE_EEENSF_IJSE_SE_EEES9_SG_JZNS1_25segmented_radix_sort_implINS0_14default_configELb1EPKdPdPKlPlN2at6native12_GLOBAL__N_18offset_tEEE10hipError_tPvRmT1_PNSt15iterator_traitsISY_E10value_typeET2_T3_PNSZ_IS14_E10value_typeET4_jRbjT5_S1A_jjP12ihipStream_tbEUljE_EEESV_SW_SX_S14_S18_S1A_T6_T7_T9_mT8_S1C_bDpT10_ENKUlT_T0_E_clISt17integral_constantIbLb1EES1O_IbLb0EEEEDaS1K_S1L_EUlS1K_E_NS1_11comp_targetILNS1_3genE4ELNS1_11target_archE910ELNS1_3gpuE8ELNS1_3repE0EEENS1_30default_config_static_selectorELNS0_4arch9wavefront6targetE0EEEvSY_
; %bb.0:
	.section	.rodata,"a",@progbits
	.p2align	6, 0x0
	.amdhsa_kernel _ZN7rocprim17ROCPRIM_400000_NS6detail17trampoline_kernelINS0_13select_configILj256ELj13ELNS0_17block_load_methodE3ELS4_3ELS4_3ELNS0_20block_scan_algorithmE0ELj4294967295EEENS1_25partition_config_selectorILNS1_17partition_subalgoE3EjNS0_10empty_typeEbEEZZNS1_14partition_implILS8_3ELb0ES6_jNS0_17counting_iteratorIjlEEPS9_SE_NS0_5tupleIJPjSE_EEENSF_IJSE_SE_EEES9_SG_JZNS1_25segmented_radix_sort_implINS0_14default_configELb1EPKdPdPKlPlN2at6native12_GLOBAL__N_18offset_tEEE10hipError_tPvRmT1_PNSt15iterator_traitsISY_E10value_typeET2_T3_PNSZ_IS14_E10value_typeET4_jRbjT5_S1A_jjP12ihipStream_tbEUljE_EEESV_SW_SX_S14_S18_S1A_T6_T7_T9_mT8_S1C_bDpT10_ENKUlT_T0_E_clISt17integral_constantIbLb1EES1O_IbLb0EEEEDaS1K_S1L_EUlS1K_E_NS1_11comp_targetILNS1_3genE4ELNS1_11target_archE910ELNS1_3gpuE8ELNS1_3repE0EEENS1_30default_config_static_selectorELNS0_4arch9wavefront6targetE0EEEvSY_
		.amdhsa_group_segment_fixed_size 0
		.amdhsa_private_segment_fixed_size 0
		.amdhsa_kernarg_size 144
		.amdhsa_user_sgpr_count 2
		.amdhsa_user_sgpr_dispatch_ptr 0
		.amdhsa_user_sgpr_queue_ptr 0
		.amdhsa_user_sgpr_kernarg_segment_ptr 1
		.amdhsa_user_sgpr_dispatch_id 0
		.amdhsa_user_sgpr_kernarg_preload_length 0
		.amdhsa_user_sgpr_kernarg_preload_offset 0
		.amdhsa_user_sgpr_private_segment_size 0
		.amdhsa_wavefront_size32 1
		.amdhsa_uses_dynamic_stack 0
		.amdhsa_enable_private_segment 0
		.amdhsa_system_sgpr_workgroup_id_x 1
		.amdhsa_system_sgpr_workgroup_id_y 0
		.amdhsa_system_sgpr_workgroup_id_z 0
		.amdhsa_system_sgpr_workgroup_info 0
		.amdhsa_system_vgpr_workitem_id 0
		.amdhsa_next_free_vgpr 1
		.amdhsa_next_free_sgpr 1
		.amdhsa_named_barrier_count 0
		.amdhsa_reserve_vcc 0
		.amdhsa_float_round_mode_32 0
		.amdhsa_float_round_mode_16_64 0
		.amdhsa_float_denorm_mode_32 3
		.amdhsa_float_denorm_mode_16_64 3
		.amdhsa_fp16_overflow 0
		.amdhsa_memory_ordered 1
		.amdhsa_forward_progress 1
		.amdhsa_inst_pref_size 0
		.amdhsa_round_robin_scheduling 0
		.amdhsa_exception_fp_ieee_invalid_op 0
		.amdhsa_exception_fp_denorm_src 0
		.amdhsa_exception_fp_ieee_div_zero 0
		.amdhsa_exception_fp_ieee_overflow 0
		.amdhsa_exception_fp_ieee_underflow 0
		.amdhsa_exception_fp_ieee_inexact 0
		.amdhsa_exception_int_div_zero 0
	.end_amdhsa_kernel
	.section	.text._ZN7rocprim17ROCPRIM_400000_NS6detail17trampoline_kernelINS0_13select_configILj256ELj13ELNS0_17block_load_methodE3ELS4_3ELS4_3ELNS0_20block_scan_algorithmE0ELj4294967295EEENS1_25partition_config_selectorILNS1_17partition_subalgoE3EjNS0_10empty_typeEbEEZZNS1_14partition_implILS8_3ELb0ES6_jNS0_17counting_iteratorIjlEEPS9_SE_NS0_5tupleIJPjSE_EEENSF_IJSE_SE_EEES9_SG_JZNS1_25segmented_radix_sort_implINS0_14default_configELb1EPKdPdPKlPlN2at6native12_GLOBAL__N_18offset_tEEE10hipError_tPvRmT1_PNSt15iterator_traitsISY_E10value_typeET2_T3_PNSZ_IS14_E10value_typeET4_jRbjT5_S1A_jjP12ihipStream_tbEUljE_EEESV_SW_SX_S14_S18_S1A_T6_T7_T9_mT8_S1C_bDpT10_ENKUlT_T0_E_clISt17integral_constantIbLb1EES1O_IbLb0EEEEDaS1K_S1L_EUlS1K_E_NS1_11comp_targetILNS1_3genE4ELNS1_11target_archE910ELNS1_3gpuE8ELNS1_3repE0EEENS1_30default_config_static_selectorELNS0_4arch9wavefront6targetE0EEEvSY_,"axG",@progbits,_ZN7rocprim17ROCPRIM_400000_NS6detail17trampoline_kernelINS0_13select_configILj256ELj13ELNS0_17block_load_methodE3ELS4_3ELS4_3ELNS0_20block_scan_algorithmE0ELj4294967295EEENS1_25partition_config_selectorILNS1_17partition_subalgoE3EjNS0_10empty_typeEbEEZZNS1_14partition_implILS8_3ELb0ES6_jNS0_17counting_iteratorIjlEEPS9_SE_NS0_5tupleIJPjSE_EEENSF_IJSE_SE_EEES9_SG_JZNS1_25segmented_radix_sort_implINS0_14default_configELb1EPKdPdPKlPlN2at6native12_GLOBAL__N_18offset_tEEE10hipError_tPvRmT1_PNSt15iterator_traitsISY_E10value_typeET2_T3_PNSZ_IS14_E10value_typeET4_jRbjT5_S1A_jjP12ihipStream_tbEUljE_EEESV_SW_SX_S14_S18_S1A_T6_T7_T9_mT8_S1C_bDpT10_ENKUlT_T0_E_clISt17integral_constantIbLb1EES1O_IbLb0EEEEDaS1K_S1L_EUlS1K_E_NS1_11comp_targetILNS1_3genE4ELNS1_11target_archE910ELNS1_3gpuE8ELNS1_3repE0EEENS1_30default_config_static_selectorELNS0_4arch9wavefront6targetE0EEEvSY_,comdat
.Lfunc_end1098:
	.size	_ZN7rocprim17ROCPRIM_400000_NS6detail17trampoline_kernelINS0_13select_configILj256ELj13ELNS0_17block_load_methodE3ELS4_3ELS4_3ELNS0_20block_scan_algorithmE0ELj4294967295EEENS1_25partition_config_selectorILNS1_17partition_subalgoE3EjNS0_10empty_typeEbEEZZNS1_14partition_implILS8_3ELb0ES6_jNS0_17counting_iteratorIjlEEPS9_SE_NS0_5tupleIJPjSE_EEENSF_IJSE_SE_EEES9_SG_JZNS1_25segmented_radix_sort_implINS0_14default_configELb1EPKdPdPKlPlN2at6native12_GLOBAL__N_18offset_tEEE10hipError_tPvRmT1_PNSt15iterator_traitsISY_E10value_typeET2_T3_PNSZ_IS14_E10value_typeET4_jRbjT5_S1A_jjP12ihipStream_tbEUljE_EEESV_SW_SX_S14_S18_S1A_T6_T7_T9_mT8_S1C_bDpT10_ENKUlT_T0_E_clISt17integral_constantIbLb1EES1O_IbLb0EEEEDaS1K_S1L_EUlS1K_E_NS1_11comp_targetILNS1_3genE4ELNS1_11target_archE910ELNS1_3gpuE8ELNS1_3repE0EEENS1_30default_config_static_selectorELNS0_4arch9wavefront6targetE0EEEvSY_, .Lfunc_end1098-_ZN7rocprim17ROCPRIM_400000_NS6detail17trampoline_kernelINS0_13select_configILj256ELj13ELNS0_17block_load_methodE3ELS4_3ELS4_3ELNS0_20block_scan_algorithmE0ELj4294967295EEENS1_25partition_config_selectorILNS1_17partition_subalgoE3EjNS0_10empty_typeEbEEZZNS1_14partition_implILS8_3ELb0ES6_jNS0_17counting_iteratorIjlEEPS9_SE_NS0_5tupleIJPjSE_EEENSF_IJSE_SE_EEES9_SG_JZNS1_25segmented_radix_sort_implINS0_14default_configELb1EPKdPdPKlPlN2at6native12_GLOBAL__N_18offset_tEEE10hipError_tPvRmT1_PNSt15iterator_traitsISY_E10value_typeET2_T3_PNSZ_IS14_E10value_typeET4_jRbjT5_S1A_jjP12ihipStream_tbEUljE_EEESV_SW_SX_S14_S18_S1A_T6_T7_T9_mT8_S1C_bDpT10_ENKUlT_T0_E_clISt17integral_constantIbLb1EES1O_IbLb0EEEEDaS1K_S1L_EUlS1K_E_NS1_11comp_targetILNS1_3genE4ELNS1_11target_archE910ELNS1_3gpuE8ELNS1_3repE0EEENS1_30default_config_static_selectorELNS0_4arch9wavefront6targetE0EEEvSY_
                                        ; -- End function
	.set _ZN7rocprim17ROCPRIM_400000_NS6detail17trampoline_kernelINS0_13select_configILj256ELj13ELNS0_17block_load_methodE3ELS4_3ELS4_3ELNS0_20block_scan_algorithmE0ELj4294967295EEENS1_25partition_config_selectorILNS1_17partition_subalgoE3EjNS0_10empty_typeEbEEZZNS1_14partition_implILS8_3ELb0ES6_jNS0_17counting_iteratorIjlEEPS9_SE_NS0_5tupleIJPjSE_EEENSF_IJSE_SE_EEES9_SG_JZNS1_25segmented_radix_sort_implINS0_14default_configELb1EPKdPdPKlPlN2at6native12_GLOBAL__N_18offset_tEEE10hipError_tPvRmT1_PNSt15iterator_traitsISY_E10value_typeET2_T3_PNSZ_IS14_E10value_typeET4_jRbjT5_S1A_jjP12ihipStream_tbEUljE_EEESV_SW_SX_S14_S18_S1A_T6_T7_T9_mT8_S1C_bDpT10_ENKUlT_T0_E_clISt17integral_constantIbLb1EES1O_IbLb0EEEEDaS1K_S1L_EUlS1K_E_NS1_11comp_targetILNS1_3genE4ELNS1_11target_archE910ELNS1_3gpuE8ELNS1_3repE0EEENS1_30default_config_static_selectorELNS0_4arch9wavefront6targetE0EEEvSY_.num_vgpr, 0
	.set _ZN7rocprim17ROCPRIM_400000_NS6detail17trampoline_kernelINS0_13select_configILj256ELj13ELNS0_17block_load_methodE3ELS4_3ELS4_3ELNS0_20block_scan_algorithmE0ELj4294967295EEENS1_25partition_config_selectorILNS1_17partition_subalgoE3EjNS0_10empty_typeEbEEZZNS1_14partition_implILS8_3ELb0ES6_jNS0_17counting_iteratorIjlEEPS9_SE_NS0_5tupleIJPjSE_EEENSF_IJSE_SE_EEES9_SG_JZNS1_25segmented_radix_sort_implINS0_14default_configELb1EPKdPdPKlPlN2at6native12_GLOBAL__N_18offset_tEEE10hipError_tPvRmT1_PNSt15iterator_traitsISY_E10value_typeET2_T3_PNSZ_IS14_E10value_typeET4_jRbjT5_S1A_jjP12ihipStream_tbEUljE_EEESV_SW_SX_S14_S18_S1A_T6_T7_T9_mT8_S1C_bDpT10_ENKUlT_T0_E_clISt17integral_constantIbLb1EES1O_IbLb0EEEEDaS1K_S1L_EUlS1K_E_NS1_11comp_targetILNS1_3genE4ELNS1_11target_archE910ELNS1_3gpuE8ELNS1_3repE0EEENS1_30default_config_static_selectorELNS0_4arch9wavefront6targetE0EEEvSY_.num_agpr, 0
	.set _ZN7rocprim17ROCPRIM_400000_NS6detail17trampoline_kernelINS0_13select_configILj256ELj13ELNS0_17block_load_methodE3ELS4_3ELS4_3ELNS0_20block_scan_algorithmE0ELj4294967295EEENS1_25partition_config_selectorILNS1_17partition_subalgoE3EjNS0_10empty_typeEbEEZZNS1_14partition_implILS8_3ELb0ES6_jNS0_17counting_iteratorIjlEEPS9_SE_NS0_5tupleIJPjSE_EEENSF_IJSE_SE_EEES9_SG_JZNS1_25segmented_radix_sort_implINS0_14default_configELb1EPKdPdPKlPlN2at6native12_GLOBAL__N_18offset_tEEE10hipError_tPvRmT1_PNSt15iterator_traitsISY_E10value_typeET2_T3_PNSZ_IS14_E10value_typeET4_jRbjT5_S1A_jjP12ihipStream_tbEUljE_EEESV_SW_SX_S14_S18_S1A_T6_T7_T9_mT8_S1C_bDpT10_ENKUlT_T0_E_clISt17integral_constantIbLb1EES1O_IbLb0EEEEDaS1K_S1L_EUlS1K_E_NS1_11comp_targetILNS1_3genE4ELNS1_11target_archE910ELNS1_3gpuE8ELNS1_3repE0EEENS1_30default_config_static_selectorELNS0_4arch9wavefront6targetE0EEEvSY_.numbered_sgpr, 0
	.set _ZN7rocprim17ROCPRIM_400000_NS6detail17trampoline_kernelINS0_13select_configILj256ELj13ELNS0_17block_load_methodE3ELS4_3ELS4_3ELNS0_20block_scan_algorithmE0ELj4294967295EEENS1_25partition_config_selectorILNS1_17partition_subalgoE3EjNS0_10empty_typeEbEEZZNS1_14partition_implILS8_3ELb0ES6_jNS0_17counting_iteratorIjlEEPS9_SE_NS0_5tupleIJPjSE_EEENSF_IJSE_SE_EEES9_SG_JZNS1_25segmented_radix_sort_implINS0_14default_configELb1EPKdPdPKlPlN2at6native12_GLOBAL__N_18offset_tEEE10hipError_tPvRmT1_PNSt15iterator_traitsISY_E10value_typeET2_T3_PNSZ_IS14_E10value_typeET4_jRbjT5_S1A_jjP12ihipStream_tbEUljE_EEESV_SW_SX_S14_S18_S1A_T6_T7_T9_mT8_S1C_bDpT10_ENKUlT_T0_E_clISt17integral_constantIbLb1EES1O_IbLb0EEEEDaS1K_S1L_EUlS1K_E_NS1_11comp_targetILNS1_3genE4ELNS1_11target_archE910ELNS1_3gpuE8ELNS1_3repE0EEENS1_30default_config_static_selectorELNS0_4arch9wavefront6targetE0EEEvSY_.num_named_barrier, 0
	.set _ZN7rocprim17ROCPRIM_400000_NS6detail17trampoline_kernelINS0_13select_configILj256ELj13ELNS0_17block_load_methodE3ELS4_3ELS4_3ELNS0_20block_scan_algorithmE0ELj4294967295EEENS1_25partition_config_selectorILNS1_17partition_subalgoE3EjNS0_10empty_typeEbEEZZNS1_14partition_implILS8_3ELb0ES6_jNS0_17counting_iteratorIjlEEPS9_SE_NS0_5tupleIJPjSE_EEENSF_IJSE_SE_EEES9_SG_JZNS1_25segmented_radix_sort_implINS0_14default_configELb1EPKdPdPKlPlN2at6native12_GLOBAL__N_18offset_tEEE10hipError_tPvRmT1_PNSt15iterator_traitsISY_E10value_typeET2_T3_PNSZ_IS14_E10value_typeET4_jRbjT5_S1A_jjP12ihipStream_tbEUljE_EEESV_SW_SX_S14_S18_S1A_T6_T7_T9_mT8_S1C_bDpT10_ENKUlT_T0_E_clISt17integral_constantIbLb1EES1O_IbLb0EEEEDaS1K_S1L_EUlS1K_E_NS1_11comp_targetILNS1_3genE4ELNS1_11target_archE910ELNS1_3gpuE8ELNS1_3repE0EEENS1_30default_config_static_selectorELNS0_4arch9wavefront6targetE0EEEvSY_.private_seg_size, 0
	.set _ZN7rocprim17ROCPRIM_400000_NS6detail17trampoline_kernelINS0_13select_configILj256ELj13ELNS0_17block_load_methodE3ELS4_3ELS4_3ELNS0_20block_scan_algorithmE0ELj4294967295EEENS1_25partition_config_selectorILNS1_17partition_subalgoE3EjNS0_10empty_typeEbEEZZNS1_14partition_implILS8_3ELb0ES6_jNS0_17counting_iteratorIjlEEPS9_SE_NS0_5tupleIJPjSE_EEENSF_IJSE_SE_EEES9_SG_JZNS1_25segmented_radix_sort_implINS0_14default_configELb1EPKdPdPKlPlN2at6native12_GLOBAL__N_18offset_tEEE10hipError_tPvRmT1_PNSt15iterator_traitsISY_E10value_typeET2_T3_PNSZ_IS14_E10value_typeET4_jRbjT5_S1A_jjP12ihipStream_tbEUljE_EEESV_SW_SX_S14_S18_S1A_T6_T7_T9_mT8_S1C_bDpT10_ENKUlT_T0_E_clISt17integral_constantIbLb1EES1O_IbLb0EEEEDaS1K_S1L_EUlS1K_E_NS1_11comp_targetILNS1_3genE4ELNS1_11target_archE910ELNS1_3gpuE8ELNS1_3repE0EEENS1_30default_config_static_selectorELNS0_4arch9wavefront6targetE0EEEvSY_.uses_vcc, 0
	.set _ZN7rocprim17ROCPRIM_400000_NS6detail17trampoline_kernelINS0_13select_configILj256ELj13ELNS0_17block_load_methodE3ELS4_3ELS4_3ELNS0_20block_scan_algorithmE0ELj4294967295EEENS1_25partition_config_selectorILNS1_17partition_subalgoE3EjNS0_10empty_typeEbEEZZNS1_14partition_implILS8_3ELb0ES6_jNS0_17counting_iteratorIjlEEPS9_SE_NS0_5tupleIJPjSE_EEENSF_IJSE_SE_EEES9_SG_JZNS1_25segmented_radix_sort_implINS0_14default_configELb1EPKdPdPKlPlN2at6native12_GLOBAL__N_18offset_tEEE10hipError_tPvRmT1_PNSt15iterator_traitsISY_E10value_typeET2_T3_PNSZ_IS14_E10value_typeET4_jRbjT5_S1A_jjP12ihipStream_tbEUljE_EEESV_SW_SX_S14_S18_S1A_T6_T7_T9_mT8_S1C_bDpT10_ENKUlT_T0_E_clISt17integral_constantIbLb1EES1O_IbLb0EEEEDaS1K_S1L_EUlS1K_E_NS1_11comp_targetILNS1_3genE4ELNS1_11target_archE910ELNS1_3gpuE8ELNS1_3repE0EEENS1_30default_config_static_selectorELNS0_4arch9wavefront6targetE0EEEvSY_.uses_flat_scratch, 0
	.set _ZN7rocprim17ROCPRIM_400000_NS6detail17trampoline_kernelINS0_13select_configILj256ELj13ELNS0_17block_load_methodE3ELS4_3ELS4_3ELNS0_20block_scan_algorithmE0ELj4294967295EEENS1_25partition_config_selectorILNS1_17partition_subalgoE3EjNS0_10empty_typeEbEEZZNS1_14partition_implILS8_3ELb0ES6_jNS0_17counting_iteratorIjlEEPS9_SE_NS0_5tupleIJPjSE_EEENSF_IJSE_SE_EEES9_SG_JZNS1_25segmented_radix_sort_implINS0_14default_configELb1EPKdPdPKlPlN2at6native12_GLOBAL__N_18offset_tEEE10hipError_tPvRmT1_PNSt15iterator_traitsISY_E10value_typeET2_T3_PNSZ_IS14_E10value_typeET4_jRbjT5_S1A_jjP12ihipStream_tbEUljE_EEESV_SW_SX_S14_S18_S1A_T6_T7_T9_mT8_S1C_bDpT10_ENKUlT_T0_E_clISt17integral_constantIbLb1EES1O_IbLb0EEEEDaS1K_S1L_EUlS1K_E_NS1_11comp_targetILNS1_3genE4ELNS1_11target_archE910ELNS1_3gpuE8ELNS1_3repE0EEENS1_30default_config_static_selectorELNS0_4arch9wavefront6targetE0EEEvSY_.has_dyn_sized_stack, 0
	.set _ZN7rocprim17ROCPRIM_400000_NS6detail17trampoline_kernelINS0_13select_configILj256ELj13ELNS0_17block_load_methodE3ELS4_3ELS4_3ELNS0_20block_scan_algorithmE0ELj4294967295EEENS1_25partition_config_selectorILNS1_17partition_subalgoE3EjNS0_10empty_typeEbEEZZNS1_14partition_implILS8_3ELb0ES6_jNS0_17counting_iteratorIjlEEPS9_SE_NS0_5tupleIJPjSE_EEENSF_IJSE_SE_EEES9_SG_JZNS1_25segmented_radix_sort_implINS0_14default_configELb1EPKdPdPKlPlN2at6native12_GLOBAL__N_18offset_tEEE10hipError_tPvRmT1_PNSt15iterator_traitsISY_E10value_typeET2_T3_PNSZ_IS14_E10value_typeET4_jRbjT5_S1A_jjP12ihipStream_tbEUljE_EEESV_SW_SX_S14_S18_S1A_T6_T7_T9_mT8_S1C_bDpT10_ENKUlT_T0_E_clISt17integral_constantIbLb1EES1O_IbLb0EEEEDaS1K_S1L_EUlS1K_E_NS1_11comp_targetILNS1_3genE4ELNS1_11target_archE910ELNS1_3gpuE8ELNS1_3repE0EEENS1_30default_config_static_selectorELNS0_4arch9wavefront6targetE0EEEvSY_.has_recursion, 0
	.set _ZN7rocprim17ROCPRIM_400000_NS6detail17trampoline_kernelINS0_13select_configILj256ELj13ELNS0_17block_load_methodE3ELS4_3ELS4_3ELNS0_20block_scan_algorithmE0ELj4294967295EEENS1_25partition_config_selectorILNS1_17partition_subalgoE3EjNS0_10empty_typeEbEEZZNS1_14partition_implILS8_3ELb0ES6_jNS0_17counting_iteratorIjlEEPS9_SE_NS0_5tupleIJPjSE_EEENSF_IJSE_SE_EEES9_SG_JZNS1_25segmented_radix_sort_implINS0_14default_configELb1EPKdPdPKlPlN2at6native12_GLOBAL__N_18offset_tEEE10hipError_tPvRmT1_PNSt15iterator_traitsISY_E10value_typeET2_T3_PNSZ_IS14_E10value_typeET4_jRbjT5_S1A_jjP12ihipStream_tbEUljE_EEESV_SW_SX_S14_S18_S1A_T6_T7_T9_mT8_S1C_bDpT10_ENKUlT_T0_E_clISt17integral_constantIbLb1EES1O_IbLb0EEEEDaS1K_S1L_EUlS1K_E_NS1_11comp_targetILNS1_3genE4ELNS1_11target_archE910ELNS1_3gpuE8ELNS1_3repE0EEENS1_30default_config_static_selectorELNS0_4arch9wavefront6targetE0EEEvSY_.has_indirect_call, 0
	.section	.AMDGPU.csdata,"",@progbits
; Kernel info:
; codeLenInByte = 0
; TotalNumSgprs: 0
; NumVgprs: 0
; ScratchSize: 0
; MemoryBound: 0
; FloatMode: 240
; IeeeMode: 1
; LDSByteSize: 0 bytes/workgroup (compile time only)
; SGPRBlocks: 0
; VGPRBlocks: 0
; NumSGPRsForWavesPerEU: 1
; NumVGPRsForWavesPerEU: 1
; NamedBarCnt: 0
; Occupancy: 16
; WaveLimiterHint : 0
; COMPUTE_PGM_RSRC2:SCRATCH_EN: 0
; COMPUTE_PGM_RSRC2:USER_SGPR: 2
; COMPUTE_PGM_RSRC2:TRAP_HANDLER: 0
; COMPUTE_PGM_RSRC2:TGID_X_EN: 1
; COMPUTE_PGM_RSRC2:TGID_Y_EN: 0
; COMPUTE_PGM_RSRC2:TGID_Z_EN: 0
; COMPUTE_PGM_RSRC2:TIDIG_COMP_CNT: 0
	.section	.text._ZN7rocprim17ROCPRIM_400000_NS6detail17trampoline_kernelINS0_13select_configILj256ELj13ELNS0_17block_load_methodE3ELS4_3ELS4_3ELNS0_20block_scan_algorithmE0ELj4294967295EEENS1_25partition_config_selectorILNS1_17partition_subalgoE3EjNS0_10empty_typeEbEEZZNS1_14partition_implILS8_3ELb0ES6_jNS0_17counting_iteratorIjlEEPS9_SE_NS0_5tupleIJPjSE_EEENSF_IJSE_SE_EEES9_SG_JZNS1_25segmented_radix_sort_implINS0_14default_configELb1EPKdPdPKlPlN2at6native12_GLOBAL__N_18offset_tEEE10hipError_tPvRmT1_PNSt15iterator_traitsISY_E10value_typeET2_T3_PNSZ_IS14_E10value_typeET4_jRbjT5_S1A_jjP12ihipStream_tbEUljE_EEESV_SW_SX_S14_S18_S1A_T6_T7_T9_mT8_S1C_bDpT10_ENKUlT_T0_E_clISt17integral_constantIbLb1EES1O_IbLb0EEEEDaS1K_S1L_EUlS1K_E_NS1_11comp_targetILNS1_3genE3ELNS1_11target_archE908ELNS1_3gpuE7ELNS1_3repE0EEENS1_30default_config_static_selectorELNS0_4arch9wavefront6targetE0EEEvSY_,"axG",@progbits,_ZN7rocprim17ROCPRIM_400000_NS6detail17trampoline_kernelINS0_13select_configILj256ELj13ELNS0_17block_load_methodE3ELS4_3ELS4_3ELNS0_20block_scan_algorithmE0ELj4294967295EEENS1_25partition_config_selectorILNS1_17partition_subalgoE3EjNS0_10empty_typeEbEEZZNS1_14partition_implILS8_3ELb0ES6_jNS0_17counting_iteratorIjlEEPS9_SE_NS0_5tupleIJPjSE_EEENSF_IJSE_SE_EEES9_SG_JZNS1_25segmented_radix_sort_implINS0_14default_configELb1EPKdPdPKlPlN2at6native12_GLOBAL__N_18offset_tEEE10hipError_tPvRmT1_PNSt15iterator_traitsISY_E10value_typeET2_T3_PNSZ_IS14_E10value_typeET4_jRbjT5_S1A_jjP12ihipStream_tbEUljE_EEESV_SW_SX_S14_S18_S1A_T6_T7_T9_mT8_S1C_bDpT10_ENKUlT_T0_E_clISt17integral_constantIbLb1EES1O_IbLb0EEEEDaS1K_S1L_EUlS1K_E_NS1_11comp_targetILNS1_3genE3ELNS1_11target_archE908ELNS1_3gpuE7ELNS1_3repE0EEENS1_30default_config_static_selectorELNS0_4arch9wavefront6targetE0EEEvSY_,comdat
	.globl	_ZN7rocprim17ROCPRIM_400000_NS6detail17trampoline_kernelINS0_13select_configILj256ELj13ELNS0_17block_load_methodE3ELS4_3ELS4_3ELNS0_20block_scan_algorithmE0ELj4294967295EEENS1_25partition_config_selectorILNS1_17partition_subalgoE3EjNS0_10empty_typeEbEEZZNS1_14partition_implILS8_3ELb0ES6_jNS0_17counting_iteratorIjlEEPS9_SE_NS0_5tupleIJPjSE_EEENSF_IJSE_SE_EEES9_SG_JZNS1_25segmented_radix_sort_implINS0_14default_configELb1EPKdPdPKlPlN2at6native12_GLOBAL__N_18offset_tEEE10hipError_tPvRmT1_PNSt15iterator_traitsISY_E10value_typeET2_T3_PNSZ_IS14_E10value_typeET4_jRbjT5_S1A_jjP12ihipStream_tbEUljE_EEESV_SW_SX_S14_S18_S1A_T6_T7_T9_mT8_S1C_bDpT10_ENKUlT_T0_E_clISt17integral_constantIbLb1EES1O_IbLb0EEEEDaS1K_S1L_EUlS1K_E_NS1_11comp_targetILNS1_3genE3ELNS1_11target_archE908ELNS1_3gpuE7ELNS1_3repE0EEENS1_30default_config_static_selectorELNS0_4arch9wavefront6targetE0EEEvSY_ ; -- Begin function _ZN7rocprim17ROCPRIM_400000_NS6detail17trampoline_kernelINS0_13select_configILj256ELj13ELNS0_17block_load_methodE3ELS4_3ELS4_3ELNS0_20block_scan_algorithmE0ELj4294967295EEENS1_25partition_config_selectorILNS1_17partition_subalgoE3EjNS0_10empty_typeEbEEZZNS1_14partition_implILS8_3ELb0ES6_jNS0_17counting_iteratorIjlEEPS9_SE_NS0_5tupleIJPjSE_EEENSF_IJSE_SE_EEES9_SG_JZNS1_25segmented_radix_sort_implINS0_14default_configELb1EPKdPdPKlPlN2at6native12_GLOBAL__N_18offset_tEEE10hipError_tPvRmT1_PNSt15iterator_traitsISY_E10value_typeET2_T3_PNSZ_IS14_E10value_typeET4_jRbjT5_S1A_jjP12ihipStream_tbEUljE_EEESV_SW_SX_S14_S18_S1A_T6_T7_T9_mT8_S1C_bDpT10_ENKUlT_T0_E_clISt17integral_constantIbLb1EES1O_IbLb0EEEEDaS1K_S1L_EUlS1K_E_NS1_11comp_targetILNS1_3genE3ELNS1_11target_archE908ELNS1_3gpuE7ELNS1_3repE0EEENS1_30default_config_static_selectorELNS0_4arch9wavefront6targetE0EEEvSY_
	.p2align	8
	.type	_ZN7rocprim17ROCPRIM_400000_NS6detail17trampoline_kernelINS0_13select_configILj256ELj13ELNS0_17block_load_methodE3ELS4_3ELS4_3ELNS0_20block_scan_algorithmE0ELj4294967295EEENS1_25partition_config_selectorILNS1_17partition_subalgoE3EjNS0_10empty_typeEbEEZZNS1_14partition_implILS8_3ELb0ES6_jNS0_17counting_iteratorIjlEEPS9_SE_NS0_5tupleIJPjSE_EEENSF_IJSE_SE_EEES9_SG_JZNS1_25segmented_radix_sort_implINS0_14default_configELb1EPKdPdPKlPlN2at6native12_GLOBAL__N_18offset_tEEE10hipError_tPvRmT1_PNSt15iterator_traitsISY_E10value_typeET2_T3_PNSZ_IS14_E10value_typeET4_jRbjT5_S1A_jjP12ihipStream_tbEUljE_EEESV_SW_SX_S14_S18_S1A_T6_T7_T9_mT8_S1C_bDpT10_ENKUlT_T0_E_clISt17integral_constantIbLb1EES1O_IbLb0EEEEDaS1K_S1L_EUlS1K_E_NS1_11comp_targetILNS1_3genE3ELNS1_11target_archE908ELNS1_3gpuE7ELNS1_3repE0EEENS1_30default_config_static_selectorELNS0_4arch9wavefront6targetE0EEEvSY_,@function
_ZN7rocprim17ROCPRIM_400000_NS6detail17trampoline_kernelINS0_13select_configILj256ELj13ELNS0_17block_load_methodE3ELS4_3ELS4_3ELNS0_20block_scan_algorithmE0ELj4294967295EEENS1_25partition_config_selectorILNS1_17partition_subalgoE3EjNS0_10empty_typeEbEEZZNS1_14partition_implILS8_3ELb0ES6_jNS0_17counting_iteratorIjlEEPS9_SE_NS0_5tupleIJPjSE_EEENSF_IJSE_SE_EEES9_SG_JZNS1_25segmented_radix_sort_implINS0_14default_configELb1EPKdPdPKlPlN2at6native12_GLOBAL__N_18offset_tEEE10hipError_tPvRmT1_PNSt15iterator_traitsISY_E10value_typeET2_T3_PNSZ_IS14_E10value_typeET4_jRbjT5_S1A_jjP12ihipStream_tbEUljE_EEESV_SW_SX_S14_S18_S1A_T6_T7_T9_mT8_S1C_bDpT10_ENKUlT_T0_E_clISt17integral_constantIbLb1EES1O_IbLb0EEEEDaS1K_S1L_EUlS1K_E_NS1_11comp_targetILNS1_3genE3ELNS1_11target_archE908ELNS1_3gpuE7ELNS1_3repE0EEENS1_30default_config_static_selectorELNS0_4arch9wavefront6targetE0EEEvSY_: ; @_ZN7rocprim17ROCPRIM_400000_NS6detail17trampoline_kernelINS0_13select_configILj256ELj13ELNS0_17block_load_methodE3ELS4_3ELS4_3ELNS0_20block_scan_algorithmE0ELj4294967295EEENS1_25partition_config_selectorILNS1_17partition_subalgoE3EjNS0_10empty_typeEbEEZZNS1_14partition_implILS8_3ELb0ES6_jNS0_17counting_iteratorIjlEEPS9_SE_NS0_5tupleIJPjSE_EEENSF_IJSE_SE_EEES9_SG_JZNS1_25segmented_radix_sort_implINS0_14default_configELb1EPKdPdPKlPlN2at6native12_GLOBAL__N_18offset_tEEE10hipError_tPvRmT1_PNSt15iterator_traitsISY_E10value_typeET2_T3_PNSZ_IS14_E10value_typeET4_jRbjT5_S1A_jjP12ihipStream_tbEUljE_EEESV_SW_SX_S14_S18_S1A_T6_T7_T9_mT8_S1C_bDpT10_ENKUlT_T0_E_clISt17integral_constantIbLb1EES1O_IbLb0EEEEDaS1K_S1L_EUlS1K_E_NS1_11comp_targetILNS1_3genE3ELNS1_11target_archE908ELNS1_3gpuE7ELNS1_3repE0EEENS1_30default_config_static_selectorELNS0_4arch9wavefront6targetE0EEEvSY_
; %bb.0:
	.section	.rodata,"a",@progbits
	.p2align	6, 0x0
	.amdhsa_kernel _ZN7rocprim17ROCPRIM_400000_NS6detail17trampoline_kernelINS0_13select_configILj256ELj13ELNS0_17block_load_methodE3ELS4_3ELS4_3ELNS0_20block_scan_algorithmE0ELj4294967295EEENS1_25partition_config_selectorILNS1_17partition_subalgoE3EjNS0_10empty_typeEbEEZZNS1_14partition_implILS8_3ELb0ES6_jNS0_17counting_iteratorIjlEEPS9_SE_NS0_5tupleIJPjSE_EEENSF_IJSE_SE_EEES9_SG_JZNS1_25segmented_radix_sort_implINS0_14default_configELb1EPKdPdPKlPlN2at6native12_GLOBAL__N_18offset_tEEE10hipError_tPvRmT1_PNSt15iterator_traitsISY_E10value_typeET2_T3_PNSZ_IS14_E10value_typeET4_jRbjT5_S1A_jjP12ihipStream_tbEUljE_EEESV_SW_SX_S14_S18_S1A_T6_T7_T9_mT8_S1C_bDpT10_ENKUlT_T0_E_clISt17integral_constantIbLb1EES1O_IbLb0EEEEDaS1K_S1L_EUlS1K_E_NS1_11comp_targetILNS1_3genE3ELNS1_11target_archE908ELNS1_3gpuE7ELNS1_3repE0EEENS1_30default_config_static_selectorELNS0_4arch9wavefront6targetE0EEEvSY_
		.amdhsa_group_segment_fixed_size 0
		.amdhsa_private_segment_fixed_size 0
		.amdhsa_kernarg_size 144
		.amdhsa_user_sgpr_count 2
		.amdhsa_user_sgpr_dispatch_ptr 0
		.amdhsa_user_sgpr_queue_ptr 0
		.amdhsa_user_sgpr_kernarg_segment_ptr 1
		.amdhsa_user_sgpr_dispatch_id 0
		.amdhsa_user_sgpr_kernarg_preload_length 0
		.amdhsa_user_sgpr_kernarg_preload_offset 0
		.amdhsa_user_sgpr_private_segment_size 0
		.amdhsa_wavefront_size32 1
		.amdhsa_uses_dynamic_stack 0
		.amdhsa_enable_private_segment 0
		.amdhsa_system_sgpr_workgroup_id_x 1
		.amdhsa_system_sgpr_workgroup_id_y 0
		.amdhsa_system_sgpr_workgroup_id_z 0
		.amdhsa_system_sgpr_workgroup_info 0
		.amdhsa_system_vgpr_workitem_id 0
		.amdhsa_next_free_vgpr 1
		.amdhsa_next_free_sgpr 1
		.amdhsa_named_barrier_count 0
		.amdhsa_reserve_vcc 0
		.amdhsa_float_round_mode_32 0
		.amdhsa_float_round_mode_16_64 0
		.amdhsa_float_denorm_mode_32 3
		.amdhsa_float_denorm_mode_16_64 3
		.amdhsa_fp16_overflow 0
		.amdhsa_memory_ordered 1
		.amdhsa_forward_progress 1
		.amdhsa_inst_pref_size 0
		.amdhsa_round_robin_scheduling 0
		.amdhsa_exception_fp_ieee_invalid_op 0
		.amdhsa_exception_fp_denorm_src 0
		.amdhsa_exception_fp_ieee_div_zero 0
		.amdhsa_exception_fp_ieee_overflow 0
		.amdhsa_exception_fp_ieee_underflow 0
		.amdhsa_exception_fp_ieee_inexact 0
		.amdhsa_exception_int_div_zero 0
	.end_amdhsa_kernel
	.section	.text._ZN7rocprim17ROCPRIM_400000_NS6detail17trampoline_kernelINS0_13select_configILj256ELj13ELNS0_17block_load_methodE3ELS4_3ELS4_3ELNS0_20block_scan_algorithmE0ELj4294967295EEENS1_25partition_config_selectorILNS1_17partition_subalgoE3EjNS0_10empty_typeEbEEZZNS1_14partition_implILS8_3ELb0ES6_jNS0_17counting_iteratorIjlEEPS9_SE_NS0_5tupleIJPjSE_EEENSF_IJSE_SE_EEES9_SG_JZNS1_25segmented_radix_sort_implINS0_14default_configELb1EPKdPdPKlPlN2at6native12_GLOBAL__N_18offset_tEEE10hipError_tPvRmT1_PNSt15iterator_traitsISY_E10value_typeET2_T3_PNSZ_IS14_E10value_typeET4_jRbjT5_S1A_jjP12ihipStream_tbEUljE_EEESV_SW_SX_S14_S18_S1A_T6_T7_T9_mT8_S1C_bDpT10_ENKUlT_T0_E_clISt17integral_constantIbLb1EES1O_IbLb0EEEEDaS1K_S1L_EUlS1K_E_NS1_11comp_targetILNS1_3genE3ELNS1_11target_archE908ELNS1_3gpuE7ELNS1_3repE0EEENS1_30default_config_static_selectorELNS0_4arch9wavefront6targetE0EEEvSY_,"axG",@progbits,_ZN7rocprim17ROCPRIM_400000_NS6detail17trampoline_kernelINS0_13select_configILj256ELj13ELNS0_17block_load_methodE3ELS4_3ELS4_3ELNS0_20block_scan_algorithmE0ELj4294967295EEENS1_25partition_config_selectorILNS1_17partition_subalgoE3EjNS0_10empty_typeEbEEZZNS1_14partition_implILS8_3ELb0ES6_jNS0_17counting_iteratorIjlEEPS9_SE_NS0_5tupleIJPjSE_EEENSF_IJSE_SE_EEES9_SG_JZNS1_25segmented_radix_sort_implINS0_14default_configELb1EPKdPdPKlPlN2at6native12_GLOBAL__N_18offset_tEEE10hipError_tPvRmT1_PNSt15iterator_traitsISY_E10value_typeET2_T3_PNSZ_IS14_E10value_typeET4_jRbjT5_S1A_jjP12ihipStream_tbEUljE_EEESV_SW_SX_S14_S18_S1A_T6_T7_T9_mT8_S1C_bDpT10_ENKUlT_T0_E_clISt17integral_constantIbLb1EES1O_IbLb0EEEEDaS1K_S1L_EUlS1K_E_NS1_11comp_targetILNS1_3genE3ELNS1_11target_archE908ELNS1_3gpuE7ELNS1_3repE0EEENS1_30default_config_static_selectorELNS0_4arch9wavefront6targetE0EEEvSY_,comdat
.Lfunc_end1099:
	.size	_ZN7rocprim17ROCPRIM_400000_NS6detail17trampoline_kernelINS0_13select_configILj256ELj13ELNS0_17block_load_methodE3ELS4_3ELS4_3ELNS0_20block_scan_algorithmE0ELj4294967295EEENS1_25partition_config_selectorILNS1_17partition_subalgoE3EjNS0_10empty_typeEbEEZZNS1_14partition_implILS8_3ELb0ES6_jNS0_17counting_iteratorIjlEEPS9_SE_NS0_5tupleIJPjSE_EEENSF_IJSE_SE_EEES9_SG_JZNS1_25segmented_radix_sort_implINS0_14default_configELb1EPKdPdPKlPlN2at6native12_GLOBAL__N_18offset_tEEE10hipError_tPvRmT1_PNSt15iterator_traitsISY_E10value_typeET2_T3_PNSZ_IS14_E10value_typeET4_jRbjT5_S1A_jjP12ihipStream_tbEUljE_EEESV_SW_SX_S14_S18_S1A_T6_T7_T9_mT8_S1C_bDpT10_ENKUlT_T0_E_clISt17integral_constantIbLb1EES1O_IbLb0EEEEDaS1K_S1L_EUlS1K_E_NS1_11comp_targetILNS1_3genE3ELNS1_11target_archE908ELNS1_3gpuE7ELNS1_3repE0EEENS1_30default_config_static_selectorELNS0_4arch9wavefront6targetE0EEEvSY_, .Lfunc_end1099-_ZN7rocprim17ROCPRIM_400000_NS6detail17trampoline_kernelINS0_13select_configILj256ELj13ELNS0_17block_load_methodE3ELS4_3ELS4_3ELNS0_20block_scan_algorithmE0ELj4294967295EEENS1_25partition_config_selectorILNS1_17partition_subalgoE3EjNS0_10empty_typeEbEEZZNS1_14partition_implILS8_3ELb0ES6_jNS0_17counting_iteratorIjlEEPS9_SE_NS0_5tupleIJPjSE_EEENSF_IJSE_SE_EEES9_SG_JZNS1_25segmented_radix_sort_implINS0_14default_configELb1EPKdPdPKlPlN2at6native12_GLOBAL__N_18offset_tEEE10hipError_tPvRmT1_PNSt15iterator_traitsISY_E10value_typeET2_T3_PNSZ_IS14_E10value_typeET4_jRbjT5_S1A_jjP12ihipStream_tbEUljE_EEESV_SW_SX_S14_S18_S1A_T6_T7_T9_mT8_S1C_bDpT10_ENKUlT_T0_E_clISt17integral_constantIbLb1EES1O_IbLb0EEEEDaS1K_S1L_EUlS1K_E_NS1_11comp_targetILNS1_3genE3ELNS1_11target_archE908ELNS1_3gpuE7ELNS1_3repE0EEENS1_30default_config_static_selectorELNS0_4arch9wavefront6targetE0EEEvSY_
                                        ; -- End function
	.set _ZN7rocprim17ROCPRIM_400000_NS6detail17trampoline_kernelINS0_13select_configILj256ELj13ELNS0_17block_load_methodE3ELS4_3ELS4_3ELNS0_20block_scan_algorithmE0ELj4294967295EEENS1_25partition_config_selectorILNS1_17partition_subalgoE3EjNS0_10empty_typeEbEEZZNS1_14partition_implILS8_3ELb0ES6_jNS0_17counting_iteratorIjlEEPS9_SE_NS0_5tupleIJPjSE_EEENSF_IJSE_SE_EEES9_SG_JZNS1_25segmented_radix_sort_implINS0_14default_configELb1EPKdPdPKlPlN2at6native12_GLOBAL__N_18offset_tEEE10hipError_tPvRmT1_PNSt15iterator_traitsISY_E10value_typeET2_T3_PNSZ_IS14_E10value_typeET4_jRbjT5_S1A_jjP12ihipStream_tbEUljE_EEESV_SW_SX_S14_S18_S1A_T6_T7_T9_mT8_S1C_bDpT10_ENKUlT_T0_E_clISt17integral_constantIbLb1EES1O_IbLb0EEEEDaS1K_S1L_EUlS1K_E_NS1_11comp_targetILNS1_3genE3ELNS1_11target_archE908ELNS1_3gpuE7ELNS1_3repE0EEENS1_30default_config_static_selectorELNS0_4arch9wavefront6targetE0EEEvSY_.num_vgpr, 0
	.set _ZN7rocprim17ROCPRIM_400000_NS6detail17trampoline_kernelINS0_13select_configILj256ELj13ELNS0_17block_load_methodE3ELS4_3ELS4_3ELNS0_20block_scan_algorithmE0ELj4294967295EEENS1_25partition_config_selectorILNS1_17partition_subalgoE3EjNS0_10empty_typeEbEEZZNS1_14partition_implILS8_3ELb0ES6_jNS0_17counting_iteratorIjlEEPS9_SE_NS0_5tupleIJPjSE_EEENSF_IJSE_SE_EEES9_SG_JZNS1_25segmented_radix_sort_implINS0_14default_configELb1EPKdPdPKlPlN2at6native12_GLOBAL__N_18offset_tEEE10hipError_tPvRmT1_PNSt15iterator_traitsISY_E10value_typeET2_T3_PNSZ_IS14_E10value_typeET4_jRbjT5_S1A_jjP12ihipStream_tbEUljE_EEESV_SW_SX_S14_S18_S1A_T6_T7_T9_mT8_S1C_bDpT10_ENKUlT_T0_E_clISt17integral_constantIbLb1EES1O_IbLb0EEEEDaS1K_S1L_EUlS1K_E_NS1_11comp_targetILNS1_3genE3ELNS1_11target_archE908ELNS1_3gpuE7ELNS1_3repE0EEENS1_30default_config_static_selectorELNS0_4arch9wavefront6targetE0EEEvSY_.num_agpr, 0
	.set _ZN7rocprim17ROCPRIM_400000_NS6detail17trampoline_kernelINS0_13select_configILj256ELj13ELNS0_17block_load_methodE3ELS4_3ELS4_3ELNS0_20block_scan_algorithmE0ELj4294967295EEENS1_25partition_config_selectorILNS1_17partition_subalgoE3EjNS0_10empty_typeEbEEZZNS1_14partition_implILS8_3ELb0ES6_jNS0_17counting_iteratorIjlEEPS9_SE_NS0_5tupleIJPjSE_EEENSF_IJSE_SE_EEES9_SG_JZNS1_25segmented_radix_sort_implINS0_14default_configELb1EPKdPdPKlPlN2at6native12_GLOBAL__N_18offset_tEEE10hipError_tPvRmT1_PNSt15iterator_traitsISY_E10value_typeET2_T3_PNSZ_IS14_E10value_typeET4_jRbjT5_S1A_jjP12ihipStream_tbEUljE_EEESV_SW_SX_S14_S18_S1A_T6_T7_T9_mT8_S1C_bDpT10_ENKUlT_T0_E_clISt17integral_constantIbLb1EES1O_IbLb0EEEEDaS1K_S1L_EUlS1K_E_NS1_11comp_targetILNS1_3genE3ELNS1_11target_archE908ELNS1_3gpuE7ELNS1_3repE0EEENS1_30default_config_static_selectorELNS0_4arch9wavefront6targetE0EEEvSY_.numbered_sgpr, 0
	.set _ZN7rocprim17ROCPRIM_400000_NS6detail17trampoline_kernelINS0_13select_configILj256ELj13ELNS0_17block_load_methodE3ELS4_3ELS4_3ELNS0_20block_scan_algorithmE0ELj4294967295EEENS1_25partition_config_selectorILNS1_17partition_subalgoE3EjNS0_10empty_typeEbEEZZNS1_14partition_implILS8_3ELb0ES6_jNS0_17counting_iteratorIjlEEPS9_SE_NS0_5tupleIJPjSE_EEENSF_IJSE_SE_EEES9_SG_JZNS1_25segmented_radix_sort_implINS0_14default_configELb1EPKdPdPKlPlN2at6native12_GLOBAL__N_18offset_tEEE10hipError_tPvRmT1_PNSt15iterator_traitsISY_E10value_typeET2_T3_PNSZ_IS14_E10value_typeET4_jRbjT5_S1A_jjP12ihipStream_tbEUljE_EEESV_SW_SX_S14_S18_S1A_T6_T7_T9_mT8_S1C_bDpT10_ENKUlT_T0_E_clISt17integral_constantIbLb1EES1O_IbLb0EEEEDaS1K_S1L_EUlS1K_E_NS1_11comp_targetILNS1_3genE3ELNS1_11target_archE908ELNS1_3gpuE7ELNS1_3repE0EEENS1_30default_config_static_selectorELNS0_4arch9wavefront6targetE0EEEvSY_.num_named_barrier, 0
	.set _ZN7rocprim17ROCPRIM_400000_NS6detail17trampoline_kernelINS0_13select_configILj256ELj13ELNS0_17block_load_methodE3ELS4_3ELS4_3ELNS0_20block_scan_algorithmE0ELj4294967295EEENS1_25partition_config_selectorILNS1_17partition_subalgoE3EjNS0_10empty_typeEbEEZZNS1_14partition_implILS8_3ELb0ES6_jNS0_17counting_iteratorIjlEEPS9_SE_NS0_5tupleIJPjSE_EEENSF_IJSE_SE_EEES9_SG_JZNS1_25segmented_radix_sort_implINS0_14default_configELb1EPKdPdPKlPlN2at6native12_GLOBAL__N_18offset_tEEE10hipError_tPvRmT1_PNSt15iterator_traitsISY_E10value_typeET2_T3_PNSZ_IS14_E10value_typeET4_jRbjT5_S1A_jjP12ihipStream_tbEUljE_EEESV_SW_SX_S14_S18_S1A_T6_T7_T9_mT8_S1C_bDpT10_ENKUlT_T0_E_clISt17integral_constantIbLb1EES1O_IbLb0EEEEDaS1K_S1L_EUlS1K_E_NS1_11comp_targetILNS1_3genE3ELNS1_11target_archE908ELNS1_3gpuE7ELNS1_3repE0EEENS1_30default_config_static_selectorELNS0_4arch9wavefront6targetE0EEEvSY_.private_seg_size, 0
	.set _ZN7rocprim17ROCPRIM_400000_NS6detail17trampoline_kernelINS0_13select_configILj256ELj13ELNS0_17block_load_methodE3ELS4_3ELS4_3ELNS0_20block_scan_algorithmE0ELj4294967295EEENS1_25partition_config_selectorILNS1_17partition_subalgoE3EjNS0_10empty_typeEbEEZZNS1_14partition_implILS8_3ELb0ES6_jNS0_17counting_iteratorIjlEEPS9_SE_NS0_5tupleIJPjSE_EEENSF_IJSE_SE_EEES9_SG_JZNS1_25segmented_radix_sort_implINS0_14default_configELb1EPKdPdPKlPlN2at6native12_GLOBAL__N_18offset_tEEE10hipError_tPvRmT1_PNSt15iterator_traitsISY_E10value_typeET2_T3_PNSZ_IS14_E10value_typeET4_jRbjT5_S1A_jjP12ihipStream_tbEUljE_EEESV_SW_SX_S14_S18_S1A_T6_T7_T9_mT8_S1C_bDpT10_ENKUlT_T0_E_clISt17integral_constantIbLb1EES1O_IbLb0EEEEDaS1K_S1L_EUlS1K_E_NS1_11comp_targetILNS1_3genE3ELNS1_11target_archE908ELNS1_3gpuE7ELNS1_3repE0EEENS1_30default_config_static_selectorELNS0_4arch9wavefront6targetE0EEEvSY_.uses_vcc, 0
	.set _ZN7rocprim17ROCPRIM_400000_NS6detail17trampoline_kernelINS0_13select_configILj256ELj13ELNS0_17block_load_methodE3ELS4_3ELS4_3ELNS0_20block_scan_algorithmE0ELj4294967295EEENS1_25partition_config_selectorILNS1_17partition_subalgoE3EjNS0_10empty_typeEbEEZZNS1_14partition_implILS8_3ELb0ES6_jNS0_17counting_iteratorIjlEEPS9_SE_NS0_5tupleIJPjSE_EEENSF_IJSE_SE_EEES9_SG_JZNS1_25segmented_radix_sort_implINS0_14default_configELb1EPKdPdPKlPlN2at6native12_GLOBAL__N_18offset_tEEE10hipError_tPvRmT1_PNSt15iterator_traitsISY_E10value_typeET2_T3_PNSZ_IS14_E10value_typeET4_jRbjT5_S1A_jjP12ihipStream_tbEUljE_EEESV_SW_SX_S14_S18_S1A_T6_T7_T9_mT8_S1C_bDpT10_ENKUlT_T0_E_clISt17integral_constantIbLb1EES1O_IbLb0EEEEDaS1K_S1L_EUlS1K_E_NS1_11comp_targetILNS1_3genE3ELNS1_11target_archE908ELNS1_3gpuE7ELNS1_3repE0EEENS1_30default_config_static_selectorELNS0_4arch9wavefront6targetE0EEEvSY_.uses_flat_scratch, 0
	.set _ZN7rocprim17ROCPRIM_400000_NS6detail17trampoline_kernelINS0_13select_configILj256ELj13ELNS0_17block_load_methodE3ELS4_3ELS4_3ELNS0_20block_scan_algorithmE0ELj4294967295EEENS1_25partition_config_selectorILNS1_17partition_subalgoE3EjNS0_10empty_typeEbEEZZNS1_14partition_implILS8_3ELb0ES6_jNS0_17counting_iteratorIjlEEPS9_SE_NS0_5tupleIJPjSE_EEENSF_IJSE_SE_EEES9_SG_JZNS1_25segmented_radix_sort_implINS0_14default_configELb1EPKdPdPKlPlN2at6native12_GLOBAL__N_18offset_tEEE10hipError_tPvRmT1_PNSt15iterator_traitsISY_E10value_typeET2_T3_PNSZ_IS14_E10value_typeET4_jRbjT5_S1A_jjP12ihipStream_tbEUljE_EEESV_SW_SX_S14_S18_S1A_T6_T7_T9_mT8_S1C_bDpT10_ENKUlT_T0_E_clISt17integral_constantIbLb1EES1O_IbLb0EEEEDaS1K_S1L_EUlS1K_E_NS1_11comp_targetILNS1_3genE3ELNS1_11target_archE908ELNS1_3gpuE7ELNS1_3repE0EEENS1_30default_config_static_selectorELNS0_4arch9wavefront6targetE0EEEvSY_.has_dyn_sized_stack, 0
	.set _ZN7rocprim17ROCPRIM_400000_NS6detail17trampoline_kernelINS0_13select_configILj256ELj13ELNS0_17block_load_methodE3ELS4_3ELS4_3ELNS0_20block_scan_algorithmE0ELj4294967295EEENS1_25partition_config_selectorILNS1_17partition_subalgoE3EjNS0_10empty_typeEbEEZZNS1_14partition_implILS8_3ELb0ES6_jNS0_17counting_iteratorIjlEEPS9_SE_NS0_5tupleIJPjSE_EEENSF_IJSE_SE_EEES9_SG_JZNS1_25segmented_radix_sort_implINS0_14default_configELb1EPKdPdPKlPlN2at6native12_GLOBAL__N_18offset_tEEE10hipError_tPvRmT1_PNSt15iterator_traitsISY_E10value_typeET2_T3_PNSZ_IS14_E10value_typeET4_jRbjT5_S1A_jjP12ihipStream_tbEUljE_EEESV_SW_SX_S14_S18_S1A_T6_T7_T9_mT8_S1C_bDpT10_ENKUlT_T0_E_clISt17integral_constantIbLb1EES1O_IbLb0EEEEDaS1K_S1L_EUlS1K_E_NS1_11comp_targetILNS1_3genE3ELNS1_11target_archE908ELNS1_3gpuE7ELNS1_3repE0EEENS1_30default_config_static_selectorELNS0_4arch9wavefront6targetE0EEEvSY_.has_recursion, 0
	.set _ZN7rocprim17ROCPRIM_400000_NS6detail17trampoline_kernelINS0_13select_configILj256ELj13ELNS0_17block_load_methodE3ELS4_3ELS4_3ELNS0_20block_scan_algorithmE0ELj4294967295EEENS1_25partition_config_selectorILNS1_17partition_subalgoE3EjNS0_10empty_typeEbEEZZNS1_14partition_implILS8_3ELb0ES6_jNS0_17counting_iteratorIjlEEPS9_SE_NS0_5tupleIJPjSE_EEENSF_IJSE_SE_EEES9_SG_JZNS1_25segmented_radix_sort_implINS0_14default_configELb1EPKdPdPKlPlN2at6native12_GLOBAL__N_18offset_tEEE10hipError_tPvRmT1_PNSt15iterator_traitsISY_E10value_typeET2_T3_PNSZ_IS14_E10value_typeET4_jRbjT5_S1A_jjP12ihipStream_tbEUljE_EEESV_SW_SX_S14_S18_S1A_T6_T7_T9_mT8_S1C_bDpT10_ENKUlT_T0_E_clISt17integral_constantIbLb1EES1O_IbLb0EEEEDaS1K_S1L_EUlS1K_E_NS1_11comp_targetILNS1_3genE3ELNS1_11target_archE908ELNS1_3gpuE7ELNS1_3repE0EEENS1_30default_config_static_selectorELNS0_4arch9wavefront6targetE0EEEvSY_.has_indirect_call, 0
	.section	.AMDGPU.csdata,"",@progbits
; Kernel info:
; codeLenInByte = 0
; TotalNumSgprs: 0
; NumVgprs: 0
; ScratchSize: 0
; MemoryBound: 0
; FloatMode: 240
; IeeeMode: 1
; LDSByteSize: 0 bytes/workgroup (compile time only)
; SGPRBlocks: 0
; VGPRBlocks: 0
; NumSGPRsForWavesPerEU: 1
; NumVGPRsForWavesPerEU: 1
; NamedBarCnt: 0
; Occupancy: 16
; WaveLimiterHint : 0
; COMPUTE_PGM_RSRC2:SCRATCH_EN: 0
; COMPUTE_PGM_RSRC2:USER_SGPR: 2
; COMPUTE_PGM_RSRC2:TRAP_HANDLER: 0
; COMPUTE_PGM_RSRC2:TGID_X_EN: 1
; COMPUTE_PGM_RSRC2:TGID_Y_EN: 0
; COMPUTE_PGM_RSRC2:TGID_Z_EN: 0
; COMPUTE_PGM_RSRC2:TIDIG_COMP_CNT: 0
	.section	.text._ZN7rocprim17ROCPRIM_400000_NS6detail17trampoline_kernelINS0_13select_configILj256ELj13ELNS0_17block_load_methodE3ELS4_3ELS4_3ELNS0_20block_scan_algorithmE0ELj4294967295EEENS1_25partition_config_selectorILNS1_17partition_subalgoE3EjNS0_10empty_typeEbEEZZNS1_14partition_implILS8_3ELb0ES6_jNS0_17counting_iteratorIjlEEPS9_SE_NS0_5tupleIJPjSE_EEENSF_IJSE_SE_EEES9_SG_JZNS1_25segmented_radix_sort_implINS0_14default_configELb1EPKdPdPKlPlN2at6native12_GLOBAL__N_18offset_tEEE10hipError_tPvRmT1_PNSt15iterator_traitsISY_E10value_typeET2_T3_PNSZ_IS14_E10value_typeET4_jRbjT5_S1A_jjP12ihipStream_tbEUljE_EEESV_SW_SX_S14_S18_S1A_T6_T7_T9_mT8_S1C_bDpT10_ENKUlT_T0_E_clISt17integral_constantIbLb1EES1O_IbLb0EEEEDaS1K_S1L_EUlS1K_E_NS1_11comp_targetILNS1_3genE2ELNS1_11target_archE906ELNS1_3gpuE6ELNS1_3repE0EEENS1_30default_config_static_selectorELNS0_4arch9wavefront6targetE0EEEvSY_,"axG",@progbits,_ZN7rocprim17ROCPRIM_400000_NS6detail17trampoline_kernelINS0_13select_configILj256ELj13ELNS0_17block_load_methodE3ELS4_3ELS4_3ELNS0_20block_scan_algorithmE0ELj4294967295EEENS1_25partition_config_selectorILNS1_17partition_subalgoE3EjNS0_10empty_typeEbEEZZNS1_14partition_implILS8_3ELb0ES6_jNS0_17counting_iteratorIjlEEPS9_SE_NS0_5tupleIJPjSE_EEENSF_IJSE_SE_EEES9_SG_JZNS1_25segmented_radix_sort_implINS0_14default_configELb1EPKdPdPKlPlN2at6native12_GLOBAL__N_18offset_tEEE10hipError_tPvRmT1_PNSt15iterator_traitsISY_E10value_typeET2_T3_PNSZ_IS14_E10value_typeET4_jRbjT5_S1A_jjP12ihipStream_tbEUljE_EEESV_SW_SX_S14_S18_S1A_T6_T7_T9_mT8_S1C_bDpT10_ENKUlT_T0_E_clISt17integral_constantIbLb1EES1O_IbLb0EEEEDaS1K_S1L_EUlS1K_E_NS1_11comp_targetILNS1_3genE2ELNS1_11target_archE906ELNS1_3gpuE6ELNS1_3repE0EEENS1_30default_config_static_selectorELNS0_4arch9wavefront6targetE0EEEvSY_,comdat
	.globl	_ZN7rocprim17ROCPRIM_400000_NS6detail17trampoline_kernelINS0_13select_configILj256ELj13ELNS0_17block_load_methodE3ELS4_3ELS4_3ELNS0_20block_scan_algorithmE0ELj4294967295EEENS1_25partition_config_selectorILNS1_17partition_subalgoE3EjNS0_10empty_typeEbEEZZNS1_14partition_implILS8_3ELb0ES6_jNS0_17counting_iteratorIjlEEPS9_SE_NS0_5tupleIJPjSE_EEENSF_IJSE_SE_EEES9_SG_JZNS1_25segmented_radix_sort_implINS0_14default_configELb1EPKdPdPKlPlN2at6native12_GLOBAL__N_18offset_tEEE10hipError_tPvRmT1_PNSt15iterator_traitsISY_E10value_typeET2_T3_PNSZ_IS14_E10value_typeET4_jRbjT5_S1A_jjP12ihipStream_tbEUljE_EEESV_SW_SX_S14_S18_S1A_T6_T7_T9_mT8_S1C_bDpT10_ENKUlT_T0_E_clISt17integral_constantIbLb1EES1O_IbLb0EEEEDaS1K_S1L_EUlS1K_E_NS1_11comp_targetILNS1_3genE2ELNS1_11target_archE906ELNS1_3gpuE6ELNS1_3repE0EEENS1_30default_config_static_selectorELNS0_4arch9wavefront6targetE0EEEvSY_ ; -- Begin function _ZN7rocprim17ROCPRIM_400000_NS6detail17trampoline_kernelINS0_13select_configILj256ELj13ELNS0_17block_load_methodE3ELS4_3ELS4_3ELNS0_20block_scan_algorithmE0ELj4294967295EEENS1_25partition_config_selectorILNS1_17partition_subalgoE3EjNS0_10empty_typeEbEEZZNS1_14partition_implILS8_3ELb0ES6_jNS0_17counting_iteratorIjlEEPS9_SE_NS0_5tupleIJPjSE_EEENSF_IJSE_SE_EEES9_SG_JZNS1_25segmented_radix_sort_implINS0_14default_configELb1EPKdPdPKlPlN2at6native12_GLOBAL__N_18offset_tEEE10hipError_tPvRmT1_PNSt15iterator_traitsISY_E10value_typeET2_T3_PNSZ_IS14_E10value_typeET4_jRbjT5_S1A_jjP12ihipStream_tbEUljE_EEESV_SW_SX_S14_S18_S1A_T6_T7_T9_mT8_S1C_bDpT10_ENKUlT_T0_E_clISt17integral_constantIbLb1EES1O_IbLb0EEEEDaS1K_S1L_EUlS1K_E_NS1_11comp_targetILNS1_3genE2ELNS1_11target_archE906ELNS1_3gpuE6ELNS1_3repE0EEENS1_30default_config_static_selectorELNS0_4arch9wavefront6targetE0EEEvSY_
	.p2align	8
	.type	_ZN7rocprim17ROCPRIM_400000_NS6detail17trampoline_kernelINS0_13select_configILj256ELj13ELNS0_17block_load_methodE3ELS4_3ELS4_3ELNS0_20block_scan_algorithmE0ELj4294967295EEENS1_25partition_config_selectorILNS1_17partition_subalgoE3EjNS0_10empty_typeEbEEZZNS1_14partition_implILS8_3ELb0ES6_jNS0_17counting_iteratorIjlEEPS9_SE_NS0_5tupleIJPjSE_EEENSF_IJSE_SE_EEES9_SG_JZNS1_25segmented_radix_sort_implINS0_14default_configELb1EPKdPdPKlPlN2at6native12_GLOBAL__N_18offset_tEEE10hipError_tPvRmT1_PNSt15iterator_traitsISY_E10value_typeET2_T3_PNSZ_IS14_E10value_typeET4_jRbjT5_S1A_jjP12ihipStream_tbEUljE_EEESV_SW_SX_S14_S18_S1A_T6_T7_T9_mT8_S1C_bDpT10_ENKUlT_T0_E_clISt17integral_constantIbLb1EES1O_IbLb0EEEEDaS1K_S1L_EUlS1K_E_NS1_11comp_targetILNS1_3genE2ELNS1_11target_archE906ELNS1_3gpuE6ELNS1_3repE0EEENS1_30default_config_static_selectorELNS0_4arch9wavefront6targetE0EEEvSY_,@function
_ZN7rocprim17ROCPRIM_400000_NS6detail17trampoline_kernelINS0_13select_configILj256ELj13ELNS0_17block_load_methodE3ELS4_3ELS4_3ELNS0_20block_scan_algorithmE0ELj4294967295EEENS1_25partition_config_selectorILNS1_17partition_subalgoE3EjNS0_10empty_typeEbEEZZNS1_14partition_implILS8_3ELb0ES6_jNS0_17counting_iteratorIjlEEPS9_SE_NS0_5tupleIJPjSE_EEENSF_IJSE_SE_EEES9_SG_JZNS1_25segmented_radix_sort_implINS0_14default_configELb1EPKdPdPKlPlN2at6native12_GLOBAL__N_18offset_tEEE10hipError_tPvRmT1_PNSt15iterator_traitsISY_E10value_typeET2_T3_PNSZ_IS14_E10value_typeET4_jRbjT5_S1A_jjP12ihipStream_tbEUljE_EEESV_SW_SX_S14_S18_S1A_T6_T7_T9_mT8_S1C_bDpT10_ENKUlT_T0_E_clISt17integral_constantIbLb1EES1O_IbLb0EEEEDaS1K_S1L_EUlS1K_E_NS1_11comp_targetILNS1_3genE2ELNS1_11target_archE906ELNS1_3gpuE6ELNS1_3repE0EEENS1_30default_config_static_selectorELNS0_4arch9wavefront6targetE0EEEvSY_: ; @_ZN7rocprim17ROCPRIM_400000_NS6detail17trampoline_kernelINS0_13select_configILj256ELj13ELNS0_17block_load_methodE3ELS4_3ELS4_3ELNS0_20block_scan_algorithmE0ELj4294967295EEENS1_25partition_config_selectorILNS1_17partition_subalgoE3EjNS0_10empty_typeEbEEZZNS1_14partition_implILS8_3ELb0ES6_jNS0_17counting_iteratorIjlEEPS9_SE_NS0_5tupleIJPjSE_EEENSF_IJSE_SE_EEES9_SG_JZNS1_25segmented_radix_sort_implINS0_14default_configELb1EPKdPdPKlPlN2at6native12_GLOBAL__N_18offset_tEEE10hipError_tPvRmT1_PNSt15iterator_traitsISY_E10value_typeET2_T3_PNSZ_IS14_E10value_typeET4_jRbjT5_S1A_jjP12ihipStream_tbEUljE_EEESV_SW_SX_S14_S18_S1A_T6_T7_T9_mT8_S1C_bDpT10_ENKUlT_T0_E_clISt17integral_constantIbLb1EES1O_IbLb0EEEEDaS1K_S1L_EUlS1K_E_NS1_11comp_targetILNS1_3genE2ELNS1_11target_archE906ELNS1_3gpuE6ELNS1_3repE0EEENS1_30default_config_static_selectorELNS0_4arch9wavefront6targetE0EEEvSY_
; %bb.0:
	.section	.rodata,"a",@progbits
	.p2align	6, 0x0
	.amdhsa_kernel _ZN7rocprim17ROCPRIM_400000_NS6detail17trampoline_kernelINS0_13select_configILj256ELj13ELNS0_17block_load_methodE3ELS4_3ELS4_3ELNS0_20block_scan_algorithmE0ELj4294967295EEENS1_25partition_config_selectorILNS1_17partition_subalgoE3EjNS0_10empty_typeEbEEZZNS1_14partition_implILS8_3ELb0ES6_jNS0_17counting_iteratorIjlEEPS9_SE_NS0_5tupleIJPjSE_EEENSF_IJSE_SE_EEES9_SG_JZNS1_25segmented_radix_sort_implINS0_14default_configELb1EPKdPdPKlPlN2at6native12_GLOBAL__N_18offset_tEEE10hipError_tPvRmT1_PNSt15iterator_traitsISY_E10value_typeET2_T3_PNSZ_IS14_E10value_typeET4_jRbjT5_S1A_jjP12ihipStream_tbEUljE_EEESV_SW_SX_S14_S18_S1A_T6_T7_T9_mT8_S1C_bDpT10_ENKUlT_T0_E_clISt17integral_constantIbLb1EES1O_IbLb0EEEEDaS1K_S1L_EUlS1K_E_NS1_11comp_targetILNS1_3genE2ELNS1_11target_archE906ELNS1_3gpuE6ELNS1_3repE0EEENS1_30default_config_static_selectorELNS0_4arch9wavefront6targetE0EEEvSY_
		.amdhsa_group_segment_fixed_size 0
		.amdhsa_private_segment_fixed_size 0
		.amdhsa_kernarg_size 144
		.amdhsa_user_sgpr_count 2
		.amdhsa_user_sgpr_dispatch_ptr 0
		.amdhsa_user_sgpr_queue_ptr 0
		.amdhsa_user_sgpr_kernarg_segment_ptr 1
		.amdhsa_user_sgpr_dispatch_id 0
		.amdhsa_user_sgpr_kernarg_preload_length 0
		.amdhsa_user_sgpr_kernarg_preload_offset 0
		.amdhsa_user_sgpr_private_segment_size 0
		.amdhsa_wavefront_size32 1
		.amdhsa_uses_dynamic_stack 0
		.amdhsa_enable_private_segment 0
		.amdhsa_system_sgpr_workgroup_id_x 1
		.amdhsa_system_sgpr_workgroup_id_y 0
		.amdhsa_system_sgpr_workgroup_id_z 0
		.amdhsa_system_sgpr_workgroup_info 0
		.amdhsa_system_vgpr_workitem_id 0
		.amdhsa_next_free_vgpr 1
		.amdhsa_next_free_sgpr 1
		.amdhsa_named_barrier_count 0
		.amdhsa_reserve_vcc 0
		.amdhsa_float_round_mode_32 0
		.amdhsa_float_round_mode_16_64 0
		.amdhsa_float_denorm_mode_32 3
		.amdhsa_float_denorm_mode_16_64 3
		.amdhsa_fp16_overflow 0
		.amdhsa_memory_ordered 1
		.amdhsa_forward_progress 1
		.amdhsa_inst_pref_size 0
		.amdhsa_round_robin_scheduling 0
		.amdhsa_exception_fp_ieee_invalid_op 0
		.amdhsa_exception_fp_denorm_src 0
		.amdhsa_exception_fp_ieee_div_zero 0
		.amdhsa_exception_fp_ieee_overflow 0
		.amdhsa_exception_fp_ieee_underflow 0
		.amdhsa_exception_fp_ieee_inexact 0
		.amdhsa_exception_int_div_zero 0
	.end_amdhsa_kernel
	.section	.text._ZN7rocprim17ROCPRIM_400000_NS6detail17trampoline_kernelINS0_13select_configILj256ELj13ELNS0_17block_load_methodE3ELS4_3ELS4_3ELNS0_20block_scan_algorithmE0ELj4294967295EEENS1_25partition_config_selectorILNS1_17partition_subalgoE3EjNS0_10empty_typeEbEEZZNS1_14partition_implILS8_3ELb0ES6_jNS0_17counting_iteratorIjlEEPS9_SE_NS0_5tupleIJPjSE_EEENSF_IJSE_SE_EEES9_SG_JZNS1_25segmented_radix_sort_implINS0_14default_configELb1EPKdPdPKlPlN2at6native12_GLOBAL__N_18offset_tEEE10hipError_tPvRmT1_PNSt15iterator_traitsISY_E10value_typeET2_T3_PNSZ_IS14_E10value_typeET4_jRbjT5_S1A_jjP12ihipStream_tbEUljE_EEESV_SW_SX_S14_S18_S1A_T6_T7_T9_mT8_S1C_bDpT10_ENKUlT_T0_E_clISt17integral_constantIbLb1EES1O_IbLb0EEEEDaS1K_S1L_EUlS1K_E_NS1_11comp_targetILNS1_3genE2ELNS1_11target_archE906ELNS1_3gpuE6ELNS1_3repE0EEENS1_30default_config_static_selectorELNS0_4arch9wavefront6targetE0EEEvSY_,"axG",@progbits,_ZN7rocprim17ROCPRIM_400000_NS6detail17trampoline_kernelINS0_13select_configILj256ELj13ELNS0_17block_load_methodE3ELS4_3ELS4_3ELNS0_20block_scan_algorithmE0ELj4294967295EEENS1_25partition_config_selectorILNS1_17partition_subalgoE3EjNS0_10empty_typeEbEEZZNS1_14partition_implILS8_3ELb0ES6_jNS0_17counting_iteratorIjlEEPS9_SE_NS0_5tupleIJPjSE_EEENSF_IJSE_SE_EEES9_SG_JZNS1_25segmented_radix_sort_implINS0_14default_configELb1EPKdPdPKlPlN2at6native12_GLOBAL__N_18offset_tEEE10hipError_tPvRmT1_PNSt15iterator_traitsISY_E10value_typeET2_T3_PNSZ_IS14_E10value_typeET4_jRbjT5_S1A_jjP12ihipStream_tbEUljE_EEESV_SW_SX_S14_S18_S1A_T6_T7_T9_mT8_S1C_bDpT10_ENKUlT_T0_E_clISt17integral_constantIbLb1EES1O_IbLb0EEEEDaS1K_S1L_EUlS1K_E_NS1_11comp_targetILNS1_3genE2ELNS1_11target_archE906ELNS1_3gpuE6ELNS1_3repE0EEENS1_30default_config_static_selectorELNS0_4arch9wavefront6targetE0EEEvSY_,comdat
.Lfunc_end1100:
	.size	_ZN7rocprim17ROCPRIM_400000_NS6detail17trampoline_kernelINS0_13select_configILj256ELj13ELNS0_17block_load_methodE3ELS4_3ELS4_3ELNS0_20block_scan_algorithmE0ELj4294967295EEENS1_25partition_config_selectorILNS1_17partition_subalgoE3EjNS0_10empty_typeEbEEZZNS1_14partition_implILS8_3ELb0ES6_jNS0_17counting_iteratorIjlEEPS9_SE_NS0_5tupleIJPjSE_EEENSF_IJSE_SE_EEES9_SG_JZNS1_25segmented_radix_sort_implINS0_14default_configELb1EPKdPdPKlPlN2at6native12_GLOBAL__N_18offset_tEEE10hipError_tPvRmT1_PNSt15iterator_traitsISY_E10value_typeET2_T3_PNSZ_IS14_E10value_typeET4_jRbjT5_S1A_jjP12ihipStream_tbEUljE_EEESV_SW_SX_S14_S18_S1A_T6_T7_T9_mT8_S1C_bDpT10_ENKUlT_T0_E_clISt17integral_constantIbLb1EES1O_IbLb0EEEEDaS1K_S1L_EUlS1K_E_NS1_11comp_targetILNS1_3genE2ELNS1_11target_archE906ELNS1_3gpuE6ELNS1_3repE0EEENS1_30default_config_static_selectorELNS0_4arch9wavefront6targetE0EEEvSY_, .Lfunc_end1100-_ZN7rocprim17ROCPRIM_400000_NS6detail17trampoline_kernelINS0_13select_configILj256ELj13ELNS0_17block_load_methodE3ELS4_3ELS4_3ELNS0_20block_scan_algorithmE0ELj4294967295EEENS1_25partition_config_selectorILNS1_17partition_subalgoE3EjNS0_10empty_typeEbEEZZNS1_14partition_implILS8_3ELb0ES6_jNS0_17counting_iteratorIjlEEPS9_SE_NS0_5tupleIJPjSE_EEENSF_IJSE_SE_EEES9_SG_JZNS1_25segmented_radix_sort_implINS0_14default_configELb1EPKdPdPKlPlN2at6native12_GLOBAL__N_18offset_tEEE10hipError_tPvRmT1_PNSt15iterator_traitsISY_E10value_typeET2_T3_PNSZ_IS14_E10value_typeET4_jRbjT5_S1A_jjP12ihipStream_tbEUljE_EEESV_SW_SX_S14_S18_S1A_T6_T7_T9_mT8_S1C_bDpT10_ENKUlT_T0_E_clISt17integral_constantIbLb1EES1O_IbLb0EEEEDaS1K_S1L_EUlS1K_E_NS1_11comp_targetILNS1_3genE2ELNS1_11target_archE906ELNS1_3gpuE6ELNS1_3repE0EEENS1_30default_config_static_selectorELNS0_4arch9wavefront6targetE0EEEvSY_
                                        ; -- End function
	.set _ZN7rocprim17ROCPRIM_400000_NS6detail17trampoline_kernelINS0_13select_configILj256ELj13ELNS0_17block_load_methodE3ELS4_3ELS4_3ELNS0_20block_scan_algorithmE0ELj4294967295EEENS1_25partition_config_selectorILNS1_17partition_subalgoE3EjNS0_10empty_typeEbEEZZNS1_14partition_implILS8_3ELb0ES6_jNS0_17counting_iteratorIjlEEPS9_SE_NS0_5tupleIJPjSE_EEENSF_IJSE_SE_EEES9_SG_JZNS1_25segmented_radix_sort_implINS0_14default_configELb1EPKdPdPKlPlN2at6native12_GLOBAL__N_18offset_tEEE10hipError_tPvRmT1_PNSt15iterator_traitsISY_E10value_typeET2_T3_PNSZ_IS14_E10value_typeET4_jRbjT5_S1A_jjP12ihipStream_tbEUljE_EEESV_SW_SX_S14_S18_S1A_T6_T7_T9_mT8_S1C_bDpT10_ENKUlT_T0_E_clISt17integral_constantIbLb1EES1O_IbLb0EEEEDaS1K_S1L_EUlS1K_E_NS1_11comp_targetILNS1_3genE2ELNS1_11target_archE906ELNS1_3gpuE6ELNS1_3repE0EEENS1_30default_config_static_selectorELNS0_4arch9wavefront6targetE0EEEvSY_.num_vgpr, 0
	.set _ZN7rocprim17ROCPRIM_400000_NS6detail17trampoline_kernelINS0_13select_configILj256ELj13ELNS0_17block_load_methodE3ELS4_3ELS4_3ELNS0_20block_scan_algorithmE0ELj4294967295EEENS1_25partition_config_selectorILNS1_17partition_subalgoE3EjNS0_10empty_typeEbEEZZNS1_14partition_implILS8_3ELb0ES6_jNS0_17counting_iteratorIjlEEPS9_SE_NS0_5tupleIJPjSE_EEENSF_IJSE_SE_EEES9_SG_JZNS1_25segmented_radix_sort_implINS0_14default_configELb1EPKdPdPKlPlN2at6native12_GLOBAL__N_18offset_tEEE10hipError_tPvRmT1_PNSt15iterator_traitsISY_E10value_typeET2_T3_PNSZ_IS14_E10value_typeET4_jRbjT5_S1A_jjP12ihipStream_tbEUljE_EEESV_SW_SX_S14_S18_S1A_T6_T7_T9_mT8_S1C_bDpT10_ENKUlT_T0_E_clISt17integral_constantIbLb1EES1O_IbLb0EEEEDaS1K_S1L_EUlS1K_E_NS1_11comp_targetILNS1_3genE2ELNS1_11target_archE906ELNS1_3gpuE6ELNS1_3repE0EEENS1_30default_config_static_selectorELNS0_4arch9wavefront6targetE0EEEvSY_.num_agpr, 0
	.set _ZN7rocprim17ROCPRIM_400000_NS6detail17trampoline_kernelINS0_13select_configILj256ELj13ELNS0_17block_load_methodE3ELS4_3ELS4_3ELNS0_20block_scan_algorithmE0ELj4294967295EEENS1_25partition_config_selectorILNS1_17partition_subalgoE3EjNS0_10empty_typeEbEEZZNS1_14partition_implILS8_3ELb0ES6_jNS0_17counting_iteratorIjlEEPS9_SE_NS0_5tupleIJPjSE_EEENSF_IJSE_SE_EEES9_SG_JZNS1_25segmented_radix_sort_implINS0_14default_configELb1EPKdPdPKlPlN2at6native12_GLOBAL__N_18offset_tEEE10hipError_tPvRmT1_PNSt15iterator_traitsISY_E10value_typeET2_T3_PNSZ_IS14_E10value_typeET4_jRbjT5_S1A_jjP12ihipStream_tbEUljE_EEESV_SW_SX_S14_S18_S1A_T6_T7_T9_mT8_S1C_bDpT10_ENKUlT_T0_E_clISt17integral_constantIbLb1EES1O_IbLb0EEEEDaS1K_S1L_EUlS1K_E_NS1_11comp_targetILNS1_3genE2ELNS1_11target_archE906ELNS1_3gpuE6ELNS1_3repE0EEENS1_30default_config_static_selectorELNS0_4arch9wavefront6targetE0EEEvSY_.numbered_sgpr, 0
	.set _ZN7rocprim17ROCPRIM_400000_NS6detail17trampoline_kernelINS0_13select_configILj256ELj13ELNS0_17block_load_methodE3ELS4_3ELS4_3ELNS0_20block_scan_algorithmE0ELj4294967295EEENS1_25partition_config_selectorILNS1_17partition_subalgoE3EjNS0_10empty_typeEbEEZZNS1_14partition_implILS8_3ELb0ES6_jNS0_17counting_iteratorIjlEEPS9_SE_NS0_5tupleIJPjSE_EEENSF_IJSE_SE_EEES9_SG_JZNS1_25segmented_radix_sort_implINS0_14default_configELb1EPKdPdPKlPlN2at6native12_GLOBAL__N_18offset_tEEE10hipError_tPvRmT1_PNSt15iterator_traitsISY_E10value_typeET2_T3_PNSZ_IS14_E10value_typeET4_jRbjT5_S1A_jjP12ihipStream_tbEUljE_EEESV_SW_SX_S14_S18_S1A_T6_T7_T9_mT8_S1C_bDpT10_ENKUlT_T0_E_clISt17integral_constantIbLb1EES1O_IbLb0EEEEDaS1K_S1L_EUlS1K_E_NS1_11comp_targetILNS1_3genE2ELNS1_11target_archE906ELNS1_3gpuE6ELNS1_3repE0EEENS1_30default_config_static_selectorELNS0_4arch9wavefront6targetE0EEEvSY_.num_named_barrier, 0
	.set _ZN7rocprim17ROCPRIM_400000_NS6detail17trampoline_kernelINS0_13select_configILj256ELj13ELNS0_17block_load_methodE3ELS4_3ELS4_3ELNS0_20block_scan_algorithmE0ELj4294967295EEENS1_25partition_config_selectorILNS1_17partition_subalgoE3EjNS0_10empty_typeEbEEZZNS1_14partition_implILS8_3ELb0ES6_jNS0_17counting_iteratorIjlEEPS9_SE_NS0_5tupleIJPjSE_EEENSF_IJSE_SE_EEES9_SG_JZNS1_25segmented_radix_sort_implINS0_14default_configELb1EPKdPdPKlPlN2at6native12_GLOBAL__N_18offset_tEEE10hipError_tPvRmT1_PNSt15iterator_traitsISY_E10value_typeET2_T3_PNSZ_IS14_E10value_typeET4_jRbjT5_S1A_jjP12ihipStream_tbEUljE_EEESV_SW_SX_S14_S18_S1A_T6_T7_T9_mT8_S1C_bDpT10_ENKUlT_T0_E_clISt17integral_constantIbLb1EES1O_IbLb0EEEEDaS1K_S1L_EUlS1K_E_NS1_11comp_targetILNS1_3genE2ELNS1_11target_archE906ELNS1_3gpuE6ELNS1_3repE0EEENS1_30default_config_static_selectorELNS0_4arch9wavefront6targetE0EEEvSY_.private_seg_size, 0
	.set _ZN7rocprim17ROCPRIM_400000_NS6detail17trampoline_kernelINS0_13select_configILj256ELj13ELNS0_17block_load_methodE3ELS4_3ELS4_3ELNS0_20block_scan_algorithmE0ELj4294967295EEENS1_25partition_config_selectorILNS1_17partition_subalgoE3EjNS0_10empty_typeEbEEZZNS1_14partition_implILS8_3ELb0ES6_jNS0_17counting_iteratorIjlEEPS9_SE_NS0_5tupleIJPjSE_EEENSF_IJSE_SE_EEES9_SG_JZNS1_25segmented_radix_sort_implINS0_14default_configELb1EPKdPdPKlPlN2at6native12_GLOBAL__N_18offset_tEEE10hipError_tPvRmT1_PNSt15iterator_traitsISY_E10value_typeET2_T3_PNSZ_IS14_E10value_typeET4_jRbjT5_S1A_jjP12ihipStream_tbEUljE_EEESV_SW_SX_S14_S18_S1A_T6_T7_T9_mT8_S1C_bDpT10_ENKUlT_T0_E_clISt17integral_constantIbLb1EES1O_IbLb0EEEEDaS1K_S1L_EUlS1K_E_NS1_11comp_targetILNS1_3genE2ELNS1_11target_archE906ELNS1_3gpuE6ELNS1_3repE0EEENS1_30default_config_static_selectorELNS0_4arch9wavefront6targetE0EEEvSY_.uses_vcc, 0
	.set _ZN7rocprim17ROCPRIM_400000_NS6detail17trampoline_kernelINS0_13select_configILj256ELj13ELNS0_17block_load_methodE3ELS4_3ELS4_3ELNS0_20block_scan_algorithmE0ELj4294967295EEENS1_25partition_config_selectorILNS1_17partition_subalgoE3EjNS0_10empty_typeEbEEZZNS1_14partition_implILS8_3ELb0ES6_jNS0_17counting_iteratorIjlEEPS9_SE_NS0_5tupleIJPjSE_EEENSF_IJSE_SE_EEES9_SG_JZNS1_25segmented_radix_sort_implINS0_14default_configELb1EPKdPdPKlPlN2at6native12_GLOBAL__N_18offset_tEEE10hipError_tPvRmT1_PNSt15iterator_traitsISY_E10value_typeET2_T3_PNSZ_IS14_E10value_typeET4_jRbjT5_S1A_jjP12ihipStream_tbEUljE_EEESV_SW_SX_S14_S18_S1A_T6_T7_T9_mT8_S1C_bDpT10_ENKUlT_T0_E_clISt17integral_constantIbLb1EES1O_IbLb0EEEEDaS1K_S1L_EUlS1K_E_NS1_11comp_targetILNS1_3genE2ELNS1_11target_archE906ELNS1_3gpuE6ELNS1_3repE0EEENS1_30default_config_static_selectorELNS0_4arch9wavefront6targetE0EEEvSY_.uses_flat_scratch, 0
	.set _ZN7rocprim17ROCPRIM_400000_NS6detail17trampoline_kernelINS0_13select_configILj256ELj13ELNS0_17block_load_methodE3ELS4_3ELS4_3ELNS0_20block_scan_algorithmE0ELj4294967295EEENS1_25partition_config_selectorILNS1_17partition_subalgoE3EjNS0_10empty_typeEbEEZZNS1_14partition_implILS8_3ELb0ES6_jNS0_17counting_iteratorIjlEEPS9_SE_NS0_5tupleIJPjSE_EEENSF_IJSE_SE_EEES9_SG_JZNS1_25segmented_radix_sort_implINS0_14default_configELb1EPKdPdPKlPlN2at6native12_GLOBAL__N_18offset_tEEE10hipError_tPvRmT1_PNSt15iterator_traitsISY_E10value_typeET2_T3_PNSZ_IS14_E10value_typeET4_jRbjT5_S1A_jjP12ihipStream_tbEUljE_EEESV_SW_SX_S14_S18_S1A_T6_T7_T9_mT8_S1C_bDpT10_ENKUlT_T0_E_clISt17integral_constantIbLb1EES1O_IbLb0EEEEDaS1K_S1L_EUlS1K_E_NS1_11comp_targetILNS1_3genE2ELNS1_11target_archE906ELNS1_3gpuE6ELNS1_3repE0EEENS1_30default_config_static_selectorELNS0_4arch9wavefront6targetE0EEEvSY_.has_dyn_sized_stack, 0
	.set _ZN7rocprim17ROCPRIM_400000_NS6detail17trampoline_kernelINS0_13select_configILj256ELj13ELNS0_17block_load_methodE3ELS4_3ELS4_3ELNS0_20block_scan_algorithmE0ELj4294967295EEENS1_25partition_config_selectorILNS1_17partition_subalgoE3EjNS0_10empty_typeEbEEZZNS1_14partition_implILS8_3ELb0ES6_jNS0_17counting_iteratorIjlEEPS9_SE_NS0_5tupleIJPjSE_EEENSF_IJSE_SE_EEES9_SG_JZNS1_25segmented_radix_sort_implINS0_14default_configELb1EPKdPdPKlPlN2at6native12_GLOBAL__N_18offset_tEEE10hipError_tPvRmT1_PNSt15iterator_traitsISY_E10value_typeET2_T3_PNSZ_IS14_E10value_typeET4_jRbjT5_S1A_jjP12ihipStream_tbEUljE_EEESV_SW_SX_S14_S18_S1A_T6_T7_T9_mT8_S1C_bDpT10_ENKUlT_T0_E_clISt17integral_constantIbLb1EES1O_IbLb0EEEEDaS1K_S1L_EUlS1K_E_NS1_11comp_targetILNS1_3genE2ELNS1_11target_archE906ELNS1_3gpuE6ELNS1_3repE0EEENS1_30default_config_static_selectorELNS0_4arch9wavefront6targetE0EEEvSY_.has_recursion, 0
	.set _ZN7rocprim17ROCPRIM_400000_NS6detail17trampoline_kernelINS0_13select_configILj256ELj13ELNS0_17block_load_methodE3ELS4_3ELS4_3ELNS0_20block_scan_algorithmE0ELj4294967295EEENS1_25partition_config_selectorILNS1_17partition_subalgoE3EjNS0_10empty_typeEbEEZZNS1_14partition_implILS8_3ELb0ES6_jNS0_17counting_iteratorIjlEEPS9_SE_NS0_5tupleIJPjSE_EEENSF_IJSE_SE_EEES9_SG_JZNS1_25segmented_radix_sort_implINS0_14default_configELb1EPKdPdPKlPlN2at6native12_GLOBAL__N_18offset_tEEE10hipError_tPvRmT1_PNSt15iterator_traitsISY_E10value_typeET2_T3_PNSZ_IS14_E10value_typeET4_jRbjT5_S1A_jjP12ihipStream_tbEUljE_EEESV_SW_SX_S14_S18_S1A_T6_T7_T9_mT8_S1C_bDpT10_ENKUlT_T0_E_clISt17integral_constantIbLb1EES1O_IbLb0EEEEDaS1K_S1L_EUlS1K_E_NS1_11comp_targetILNS1_3genE2ELNS1_11target_archE906ELNS1_3gpuE6ELNS1_3repE0EEENS1_30default_config_static_selectorELNS0_4arch9wavefront6targetE0EEEvSY_.has_indirect_call, 0
	.section	.AMDGPU.csdata,"",@progbits
; Kernel info:
; codeLenInByte = 0
; TotalNumSgprs: 0
; NumVgprs: 0
; ScratchSize: 0
; MemoryBound: 0
; FloatMode: 240
; IeeeMode: 1
; LDSByteSize: 0 bytes/workgroup (compile time only)
; SGPRBlocks: 0
; VGPRBlocks: 0
; NumSGPRsForWavesPerEU: 1
; NumVGPRsForWavesPerEU: 1
; NamedBarCnt: 0
; Occupancy: 16
; WaveLimiterHint : 0
; COMPUTE_PGM_RSRC2:SCRATCH_EN: 0
; COMPUTE_PGM_RSRC2:USER_SGPR: 2
; COMPUTE_PGM_RSRC2:TRAP_HANDLER: 0
; COMPUTE_PGM_RSRC2:TGID_X_EN: 1
; COMPUTE_PGM_RSRC2:TGID_Y_EN: 0
; COMPUTE_PGM_RSRC2:TGID_Z_EN: 0
; COMPUTE_PGM_RSRC2:TIDIG_COMP_CNT: 0
	.section	.text._ZN7rocprim17ROCPRIM_400000_NS6detail17trampoline_kernelINS0_13select_configILj256ELj13ELNS0_17block_load_methodE3ELS4_3ELS4_3ELNS0_20block_scan_algorithmE0ELj4294967295EEENS1_25partition_config_selectorILNS1_17partition_subalgoE3EjNS0_10empty_typeEbEEZZNS1_14partition_implILS8_3ELb0ES6_jNS0_17counting_iteratorIjlEEPS9_SE_NS0_5tupleIJPjSE_EEENSF_IJSE_SE_EEES9_SG_JZNS1_25segmented_radix_sort_implINS0_14default_configELb1EPKdPdPKlPlN2at6native12_GLOBAL__N_18offset_tEEE10hipError_tPvRmT1_PNSt15iterator_traitsISY_E10value_typeET2_T3_PNSZ_IS14_E10value_typeET4_jRbjT5_S1A_jjP12ihipStream_tbEUljE_EEESV_SW_SX_S14_S18_S1A_T6_T7_T9_mT8_S1C_bDpT10_ENKUlT_T0_E_clISt17integral_constantIbLb1EES1O_IbLb0EEEEDaS1K_S1L_EUlS1K_E_NS1_11comp_targetILNS1_3genE10ELNS1_11target_archE1200ELNS1_3gpuE4ELNS1_3repE0EEENS1_30default_config_static_selectorELNS0_4arch9wavefront6targetE0EEEvSY_,"axG",@progbits,_ZN7rocprim17ROCPRIM_400000_NS6detail17trampoline_kernelINS0_13select_configILj256ELj13ELNS0_17block_load_methodE3ELS4_3ELS4_3ELNS0_20block_scan_algorithmE0ELj4294967295EEENS1_25partition_config_selectorILNS1_17partition_subalgoE3EjNS0_10empty_typeEbEEZZNS1_14partition_implILS8_3ELb0ES6_jNS0_17counting_iteratorIjlEEPS9_SE_NS0_5tupleIJPjSE_EEENSF_IJSE_SE_EEES9_SG_JZNS1_25segmented_radix_sort_implINS0_14default_configELb1EPKdPdPKlPlN2at6native12_GLOBAL__N_18offset_tEEE10hipError_tPvRmT1_PNSt15iterator_traitsISY_E10value_typeET2_T3_PNSZ_IS14_E10value_typeET4_jRbjT5_S1A_jjP12ihipStream_tbEUljE_EEESV_SW_SX_S14_S18_S1A_T6_T7_T9_mT8_S1C_bDpT10_ENKUlT_T0_E_clISt17integral_constantIbLb1EES1O_IbLb0EEEEDaS1K_S1L_EUlS1K_E_NS1_11comp_targetILNS1_3genE10ELNS1_11target_archE1200ELNS1_3gpuE4ELNS1_3repE0EEENS1_30default_config_static_selectorELNS0_4arch9wavefront6targetE0EEEvSY_,comdat
	.globl	_ZN7rocprim17ROCPRIM_400000_NS6detail17trampoline_kernelINS0_13select_configILj256ELj13ELNS0_17block_load_methodE3ELS4_3ELS4_3ELNS0_20block_scan_algorithmE0ELj4294967295EEENS1_25partition_config_selectorILNS1_17partition_subalgoE3EjNS0_10empty_typeEbEEZZNS1_14partition_implILS8_3ELb0ES6_jNS0_17counting_iteratorIjlEEPS9_SE_NS0_5tupleIJPjSE_EEENSF_IJSE_SE_EEES9_SG_JZNS1_25segmented_radix_sort_implINS0_14default_configELb1EPKdPdPKlPlN2at6native12_GLOBAL__N_18offset_tEEE10hipError_tPvRmT1_PNSt15iterator_traitsISY_E10value_typeET2_T3_PNSZ_IS14_E10value_typeET4_jRbjT5_S1A_jjP12ihipStream_tbEUljE_EEESV_SW_SX_S14_S18_S1A_T6_T7_T9_mT8_S1C_bDpT10_ENKUlT_T0_E_clISt17integral_constantIbLb1EES1O_IbLb0EEEEDaS1K_S1L_EUlS1K_E_NS1_11comp_targetILNS1_3genE10ELNS1_11target_archE1200ELNS1_3gpuE4ELNS1_3repE0EEENS1_30default_config_static_selectorELNS0_4arch9wavefront6targetE0EEEvSY_ ; -- Begin function _ZN7rocprim17ROCPRIM_400000_NS6detail17trampoline_kernelINS0_13select_configILj256ELj13ELNS0_17block_load_methodE3ELS4_3ELS4_3ELNS0_20block_scan_algorithmE0ELj4294967295EEENS1_25partition_config_selectorILNS1_17partition_subalgoE3EjNS0_10empty_typeEbEEZZNS1_14partition_implILS8_3ELb0ES6_jNS0_17counting_iteratorIjlEEPS9_SE_NS0_5tupleIJPjSE_EEENSF_IJSE_SE_EEES9_SG_JZNS1_25segmented_radix_sort_implINS0_14default_configELb1EPKdPdPKlPlN2at6native12_GLOBAL__N_18offset_tEEE10hipError_tPvRmT1_PNSt15iterator_traitsISY_E10value_typeET2_T3_PNSZ_IS14_E10value_typeET4_jRbjT5_S1A_jjP12ihipStream_tbEUljE_EEESV_SW_SX_S14_S18_S1A_T6_T7_T9_mT8_S1C_bDpT10_ENKUlT_T0_E_clISt17integral_constantIbLb1EES1O_IbLb0EEEEDaS1K_S1L_EUlS1K_E_NS1_11comp_targetILNS1_3genE10ELNS1_11target_archE1200ELNS1_3gpuE4ELNS1_3repE0EEENS1_30default_config_static_selectorELNS0_4arch9wavefront6targetE0EEEvSY_
	.p2align	8
	.type	_ZN7rocprim17ROCPRIM_400000_NS6detail17trampoline_kernelINS0_13select_configILj256ELj13ELNS0_17block_load_methodE3ELS4_3ELS4_3ELNS0_20block_scan_algorithmE0ELj4294967295EEENS1_25partition_config_selectorILNS1_17partition_subalgoE3EjNS0_10empty_typeEbEEZZNS1_14partition_implILS8_3ELb0ES6_jNS0_17counting_iteratorIjlEEPS9_SE_NS0_5tupleIJPjSE_EEENSF_IJSE_SE_EEES9_SG_JZNS1_25segmented_radix_sort_implINS0_14default_configELb1EPKdPdPKlPlN2at6native12_GLOBAL__N_18offset_tEEE10hipError_tPvRmT1_PNSt15iterator_traitsISY_E10value_typeET2_T3_PNSZ_IS14_E10value_typeET4_jRbjT5_S1A_jjP12ihipStream_tbEUljE_EEESV_SW_SX_S14_S18_S1A_T6_T7_T9_mT8_S1C_bDpT10_ENKUlT_T0_E_clISt17integral_constantIbLb1EES1O_IbLb0EEEEDaS1K_S1L_EUlS1K_E_NS1_11comp_targetILNS1_3genE10ELNS1_11target_archE1200ELNS1_3gpuE4ELNS1_3repE0EEENS1_30default_config_static_selectorELNS0_4arch9wavefront6targetE0EEEvSY_,@function
_ZN7rocprim17ROCPRIM_400000_NS6detail17trampoline_kernelINS0_13select_configILj256ELj13ELNS0_17block_load_methodE3ELS4_3ELS4_3ELNS0_20block_scan_algorithmE0ELj4294967295EEENS1_25partition_config_selectorILNS1_17partition_subalgoE3EjNS0_10empty_typeEbEEZZNS1_14partition_implILS8_3ELb0ES6_jNS0_17counting_iteratorIjlEEPS9_SE_NS0_5tupleIJPjSE_EEENSF_IJSE_SE_EEES9_SG_JZNS1_25segmented_radix_sort_implINS0_14default_configELb1EPKdPdPKlPlN2at6native12_GLOBAL__N_18offset_tEEE10hipError_tPvRmT1_PNSt15iterator_traitsISY_E10value_typeET2_T3_PNSZ_IS14_E10value_typeET4_jRbjT5_S1A_jjP12ihipStream_tbEUljE_EEESV_SW_SX_S14_S18_S1A_T6_T7_T9_mT8_S1C_bDpT10_ENKUlT_T0_E_clISt17integral_constantIbLb1EES1O_IbLb0EEEEDaS1K_S1L_EUlS1K_E_NS1_11comp_targetILNS1_3genE10ELNS1_11target_archE1200ELNS1_3gpuE4ELNS1_3repE0EEENS1_30default_config_static_selectorELNS0_4arch9wavefront6targetE0EEEvSY_: ; @_ZN7rocprim17ROCPRIM_400000_NS6detail17trampoline_kernelINS0_13select_configILj256ELj13ELNS0_17block_load_methodE3ELS4_3ELS4_3ELNS0_20block_scan_algorithmE0ELj4294967295EEENS1_25partition_config_selectorILNS1_17partition_subalgoE3EjNS0_10empty_typeEbEEZZNS1_14partition_implILS8_3ELb0ES6_jNS0_17counting_iteratorIjlEEPS9_SE_NS0_5tupleIJPjSE_EEENSF_IJSE_SE_EEES9_SG_JZNS1_25segmented_radix_sort_implINS0_14default_configELb1EPKdPdPKlPlN2at6native12_GLOBAL__N_18offset_tEEE10hipError_tPvRmT1_PNSt15iterator_traitsISY_E10value_typeET2_T3_PNSZ_IS14_E10value_typeET4_jRbjT5_S1A_jjP12ihipStream_tbEUljE_EEESV_SW_SX_S14_S18_S1A_T6_T7_T9_mT8_S1C_bDpT10_ENKUlT_T0_E_clISt17integral_constantIbLb1EES1O_IbLb0EEEEDaS1K_S1L_EUlS1K_E_NS1_11comp_targetILNS1_3genE10ELNS1_11target_archE1200ELNS1_3gpuE4ELNS1_3repE0EEENS1_30default_config_static_selectorELNS0_4arch9wavefront6targetE0EEEvSY_
; %bb.0:
	.section	.rodata,"a",@progbits
	.p2align	6, 0x0
	.amdhsa_kernel _ZN7rocprim17ROCPRIM_400000_NS6detail17trampoline_kernelINS0_13select_configILj256ELj13ELNS0_17block_load_methodE3ELS4_3ELS4_3ELNS0_20block_scan_algorithmE0ELj4294967295EEENS1_25partition_config_selectorILNS1_17partition_subalgoE3EjNS0_10empty_typeEbEEZZNS1_14partition_implILS8_3ELb0ES6_jNS0_17counting_iteratorIjlEEPS9_SE_NS0_5tupleIJPjSE_EEENSF_IJSE_SE_EEES9_SG_JZNS1_25segmented_radix_sort_implINS0_14default_configELb1EPKdPdPKlPlN2at6native12_GLOBAL__N_18offset_tEEE10hipError_tPvRmT1_PNSt15iterator_traitsISY_E10value_typeET2_T3_PNSZ_IS14_E10value_typeET4_jRbjT5_S1A_jjP12ihipStream_tbEUljE_EEESV_SW_SX_S14_S18_S1A_T6_T7_T9_mT8_S1C_bDpT10_ENKUlT_T0_E_clISt17integral_constantIbLb1EES1O_IbLb0EEEEDaS1K_S1L_EUlS1K_E_NS1_11comp_targetILNS1_3genE10ELNS1_11target_archE1200ELNS1_3gpuE4ELNS1_3repE0EEENS1_30default_config_static_selectorELNS0_4arch9wavefront6targetE0EEEvSY_
		.amdhsa_group_segment_fixed_size 0
		.amdhsa_private_segment_fixed_size 0
		.amdhsa_kernarg_size 144
		.amdhsa_user_sgpr_count 2
		.amdhsa_user_sgpr_dispatch_ptr 0
		.amdhsa_user_sgpr_queue_ptr 0
		.amdhsa_user_sgpr_kernarg_segment_ptr 1
		.amdhsa_user_sgpr_dispatch_id 0
		.amdhsa_user_sgpr_kernarg_preload_length 0
		.amdhsa_user_sgpr_kernarg_preload_offset 0
		.amdhsa_user_sgpr_private_segment_size 0
		.amdhsa_wavefront_size32 1
		.amdhsa_uses_dynamic_stack 0
		.amdhsa_enable_private_segment 0
		.amdhsa_system_sgpr_workgroup_id_x 1
		.amdhsa_system_sgpr_workgroup_id_y 0
		.amdhsa_system_sgpr_workgroup_id_z 0
		.amdhsa_system_sgpr_workgroup_info 0
		.amdhsa_system_vgpr_workitem_id 0
		.amdhsa_next_free_vgpr 1
		.amdhsa_next_free_sgpr 1
		.amdhsa_named_barrier_count 0
		.amdhsa_reserve_vcc 0
		.amdhsa_float_round_mode_32 0
		.amdhsa_float_round_mode_16_64 0
		.amdhsa_float_denorm_mode_32 3
		.amdhsa_float_denorm_mode_16_64 3
		.amdhsa_fp16_overflow 0
		.amdhsa_memory_ordered 1
		.amdhsa_forward_progress 1
		.amdhsa_inst_pref_size 0
		.amdhsa_round_robin_scheduling 0
		.amdhsa_exception_fp_ieee_invalid_op 0
		.amdhsa_exception_fp_denorm_src 0
		.amdhsa_exception_fp_ieee_div_zero 0
		.amdhsa_exception_fp_ieee_overflow 0
		.amdhsa_exception_fp_ieee_underflow 0
		.amdhsa_exception_fp_ieee_inexact 0
		.amdhsa_exception_int_div_zero 0
	.end_amdhsa_kernel
	.section	.text._ZN7rocprim17ROCPRIM_400000_NS6detail17trampoline_kernelINS0_13select_configILj256ELj13ELNS0_17block_load_methodE3ELS4_3ELS4_3ELNS0_20block_scan_algorithmE0ELj4294967295EEENS1_25partition_config_selectorILNS1_17partition_subalgoE3EjNS0_10empty_typeEbEEZZNS1_14partition_implILS8_3ELb0ES6_jNS0_17counting_iteratorIjlEEPS9_SE_NS0_5tupleIJPjSE_EEENSF_IJSE_SE_EEES9_SG_JZNS1_25segmented_radix_sort_implINS0_14default_configELb1EPKdPdPKlPlN2at6native12_GLOBAL__N_18offset_tEEE10hipError_tPvRmT1_PNSt15iterator_traitsISY_E10value_typeET2_T3_PNSZ_IS14_E10value_typeET4_jRbjT5_S1A_jjP12ihipStream_tbEUljE_EEESV_SW_SX_S14_S18_S1A_T6_T7_T9_mT8_S1C_bDpT10_ENKUlT_T0_E_clISt17integral_constantIbLb1EES1O_IbLb0EEEEDaS1K_S1L_EUlS1K_E_NS1_11comp_targetILNS1_3genE10ELNS1_11target_archE1200ELNS1_3gpuE4ELNS1_3repE0EEENS1_30default_config_static_selectorELNS0_4arch9wavefront6targetE0EEEvSY_,"axG",@progbits,_ZN7rocprim17ROCPRIM_400000_NS6detail17trampoline_kernelINS0_13select_configILj256ELj13ELNS0_17block_load_methodE3ELS4_3ELS4_3ELNS0_20block_scan_algorithmE0ELj4294967295EEENS1_25partition_config_selectorILNS1_17partition_subalgoE3EjNS0_10empty_typeEbEEZZNS1_14partition_implILS8_3ELb0ES6_jNS0_17counting_iteratorIjlEEPS9_SE_NS0_5tupleIJPjSE_EEENSF_IJSE_SE_EEES9_SG_JZNS1_25segmented_radix_sort_implINS0_14default_configELb1EPKdPdPKlPlN2at6native12_GLOBAL__N_18offset_tEEE10hipError_tPvRmT1_PNSt15iterator_traitsISY_E10value_typeET2_T3_PNSZ_IS14_E10value_typeET4_jRbjT5_S1A_jjP12ihipStream_tbEUljE_EEESV_SW_SX_S14_S18_S1A_T6_T7_T9_mT8_S1C_bDpT10_ENKUlT_T0_E_clISt17integral_constantIbLb1EES1O_IbLb0EEEEDaS1K_S1L_EUlS1K_E_NS1_11comp_targetILNS1_3genE10ELNS1_11target_archE1200ELNS1_3gpuE4ELNS1_3repE0EEENS1_30default_config_static_selectorELNS0_4arch9wavefront6targetE0EEEvSY_,comdat
.Lfunc_end1101:
	.size	_ZN7rocprim17ROCPRIM_400000_NS6detail17trampoline_kernelINS0_13select_configILj256ELj13ELNS0_17block_load_methodE3ELS4_3ELS4_3ELNS0_20block_scan_algorithmE0ELj4294967295EEENS1_25partition_config_selectorILNS1_17partition_subalgoE3EjNS0_10empty_typeEbEEZZNS1_14partition_implILS8_3ELb0ES6_jNS0_17counting_iteratorIjlEEPS9_SE_NS0_5tupleIJPjSE_EEENSF_IJSE_SE_EEES9_SG_JZNS1_25segmented_radix_sort_implINS0_14default_configELb1EPKdPdPKlPlN2at6native12_GLOBAL__N_18offset_tEEE10hipError_tPvRmT1_PNSt15iterator_traitsISY_E10value_typeET2_T3_PNSZ_IS14_E10value_typeET4_jRbjT5_S1A_jjP12ihipStream_tbEUljE_EEESV_SW_SX_S14_S18_S1A_T6_T7_T9_mT8_S1C_bDpT10_ENKUlT_T0_E_clISt17integral_constantIbLb1EES1O_IbLb0EEEEDaS1K_S1L_EUlS1K_E_NS1_11comp_targetILNS1_3genE10ELNS1_11target_archE1200ELNS1_3gpuE4ELNS1_3repE0EEENS1_30default_config_static_selectorELNS0_4arch9wavefront6targetE0EEEvSY_, .Lfunc_end1101-_ZN7rocprim17ROCPRIM_400000_NS6detail17trampoline_kernelINS0_13select_configILj256ELj13ELNS0_17block_load_methodE3ELS4_3ELS4_3ELNS0_20block_scan_algorithmE0ELj4294967295EEENS1_25partition_config_selectorILNS1_17partition_subalgoE3EjNS0_10empty_typeEbEEZZNS1_14partition_implILS8_3ELb0ES6_jNS0_17counting_iteratorIjlEEPS9_SE_NS0_5tupleIJPjSE_EEENSF_IJSE_SE_EEES9_SG_JZNS1_25segmented_radix_sort_implINS0_14default_configELb1EPKdPdPKlPlN2at6native12_GLOBAL__N_18offset_tEEE10hipError_tPvRmT1_PNSt15iterator_traitsISY_E10value_typeET2_T3_PNSZ_IS14_E10value_typeET4_jRbjT5_S1A_jjP12ihipStream_tbEUljE_EEESV_SW_SX_S14_S18_S1A_T6_T7_T9_mT8_S1C_bDpT10_ENKUlT_T0_E_clISt17integral_constantIbLb1EES1O_IbLb0EEEEDaS1K_S1L_EUlS1K_E_NS1_11comp_targetILNS1_3genE10ELNS1_11target_archE1200ELNS1_3gpuE4ELNS1_3repE0EEENS1_30default_config_static_selectorELNS0_4arch9wavefront6targetE0EEEvSY_
                                        ; -- End function
	.set _ZN7rocprim17ROCPRIM_400000_NS6detail17trampoline_kernelINS0_13select_configILj256ELj13ELNS0_17block_load_methodE3ELS4_3ELS4_3ELNS0_20block_scan_algorithmE0ELj4294967295EEENS1_25partition_config_selectorILNS1_17partition_subalgoE3EjNS0_10empty_typeEbEEZZNS1_14partition_implILS8_3ELb0ES6_jNS0_17counting_iteratorIjlEEPS9_SE_NS0_5tupleIJPjSE_EEENSF_IJSE_SE_EEES9_SG_JZNS1_25segmented_radix_sort_implINS0_14default_configELb1EPKdPdPKlPlN2at6native12_GLOBAL__N_18offset_tEEE10hipError_tPvRmT1_PNSt15iterator_traitsISY_E10value_typeET2_T3_PNSZ_IS14_E10value_typeET4_jRbjT5_S1A_jjP12ihipStream_tbEUljE_EEESV_SW_SX_S14_S18_S1A_T6_T7_T9_mT8_S1C_bDpT10_ENKUlT_T0_E_clISt17integral_constantIbLb1EES1O_IbLb0EEEEDaS1K_S1L_EUlS1K_E_NS1_11comp_targetILNS1_3genE10ELNS1_11target_archE1200ELNS1_3gpuE4ELNS1_3repE0EEENS1_30default_config_static_selectorELNS0_4arch9wavefront6targetE0EEEvSY_.num_vgpr, 0
	.set _ZN7rocprim17ROCPRIM_400000_NS6detail17trampoline_kernelINS0_13select_configILj256ELj13ELNS0_17block_load_methodE3ELS4_3ELS4_3ELNS0_20block_scan_algorithmE0ELj4294967295EEENS1_25partition_config_selectorILNS1_17partition_subalgoE3EjNS0_10empty_typeEbEEZZNS1_14partition_implILS8_3ELb0ES6_jNS0_17counting_iteratorIjlEEPS9_SE_NS0_5tupleIJPjSE_EEENSF_IJSE_SE_EEES9_SG_JZNS1_25segmented_radix_sort_implINS0_14default_configELb1EPKdPdPKlPlN2at6native12_GLOBAL__N_18offset_tEEE10hipError_tPvRmT1_PNSt15iterator_traitsISY_E10value_typeET2_T3_PNSZ_IS14_E10value_typeET4_jRbjT5_S1A_jjP12ihipStream_tbEUljE_EEESV_SW_SX_S14_S18_S1A_T6_T7_T9_mT8_S1C_bDpT10_ENKUlT_T0_E_clISt17integral_constantIbLb1EES1O_IbLb0EEEEDaS1K_S1L_EUlS1K_E_NS1_11comp_targetILNS1_3genE10ELNS1_11target_archE1200ELNS1_3gpuE4ELNS1_3repE0EEENS1_30default_config_static_selectorELNS0_4arch9wavefront6targetE0EEEvSY_.num_agpr, 0
	.set _ZN7rocprim17ROCPRIM_400000_NS6detail17trampoline_kernelINS0_13select_configILj256ELj13ELNS0_17block_load_methodE3ELS4_3ELS4_3ELNS0_20block_scan_algorithmE0ELj4294967295EEENS1_25partition_config_selectorILNS1_17partition_subalgoE3EjNS0_10empty_typeEbEEZZNS1_14partition_implILS8_3ELb0ES6_jNS0_17counting_iteratorIjlEEPS9_SE_NS0_5tupleIJPjSE_EEENSF_IJSE_SE_EEES9_SG_JZNS1_25segmented_radix_sort_implINS0_14default_configELb1EPKdPdPKlPlN2at6native12_GLOBAL__N_18offset_tEEE10hipError_tPvRmT1_PNSt15iterator_traitsISY_E10value_typeET2_T3_PNSZ_IS14_E10value_typeET4_jRbjT5_S1A_jjP12ihipStream_tbEUljE_EEESV_SW_SX_S14_S18_S1A_T6_T7_T9_mT8_S1C_bDpT10_ENKUlT_T0_E_clISt17integral_constantIbLb1EES1O_IbLb0EEEEDaS1K_S1L_EUlS1K_E_NS1_11comp_targetILNS1_3genE10ELNS1_11target_archE1200ELNS1_3gpuE4ELNS1_3repE0EEENS1_30default_config_static_selectorELNS0_4arch9wavefront6targetE0EEEvSY_.numbered_sgpr, 0
	.set _ZN7rocprim17ROCPRIM_400000_NS6detail17trampoline_kernelINS0_13select_configILj256ELj13ELNS0_17block_load_methodE3ELS4_3ELS4_3ELNS0_20block_scan_algorithmE0ELj4294967295EEENS1_25partition_config_selectorILNS1_17partition_subalgoE3EjNS0_10empty_typeEbEEZZNS1_14partition_implILS8_3ELb0ES6_jNS0_17counting_iteratorIjlEEPS9_SE_NS0_5tupleIJPjSE_EEENSF_IJSE_SE_EEES9_SG_JZNS1_25segmented_radix_sort_implINS0_14default_configELb1EPKdPdPKlPlN2at6native12_GLOBAL__N_18offset_tEEE10hipError_tPvRmT1_PNSt15iterator_traitsISY_E10value_typeET2_T3_PNSZ_IS14_E10value_typeET4_jRbjT5_S1A_jjP12ihipStream_tbEUljE_EEESV_SW_SX_S14_S18_S1A_T6_T7_T9_mT8_S1C_bDpT10_ENKUlT_T0_E_clISt17integral_constantIbLb1EES1O_IbLb0EEEEDaS1K_S1L_EUlS1K_E_NS1_11comp_targetILNS1_3genE10ELNS1_11target_archE1200ELNS1_3gpuE4ELNS1_3repE0EEENS1_30default_config_static_selectorELNS0_4arch9wavefront6targetE0EEEvSY_.num_named_barrier, 0
	.set _ZN7rocprim17ROCPRIM_400000_NS6detail17trampoline_kernelINS0_13select_configILj256ELj13ELNS0_17block_load_methodE3ELS4_3ELS4_3ELNS0_20block_scan_algorithmE0ELj4294967295EEENS1_25partition_config_selectorILNS1_17partition_subalgoE3EjNS0_10empty_typeEbEEZZNS1_14partition_implILS8_3ELb0ES6_jNS0_17counting_iteratorIjlEEPS9_SE_NS0_5tupleIJPjSE_EEENSF_IJSE_SE_EEES9_SG_JZNS1_25segmented_radix_sort_implINS0_14default_configELb1EPKdPdPKlPlN2at6native12_GLOBAL__N_18offset_tEEE10hipError_tPvRmT1_PNSt15iterator_traitsISY_E10value_typeET2_T3_PNSZ_IS14_E10value_typeET4_jRbjT5_S1A_jjP12ihipStream_tbEUljE_EEESV_SW_SX_S14_S18_S1A_T6_T7_T9_mT8_S1C_bDpT10_ENKUlT_T0_E_clISt17integral_constantIbLb1EES1O_IbLb0EEEEDaS1K_S1L_EUlS1K_E_NS1_11comp_targetILNS1_3genE10ELNS1_11target_archE1200ELNS1_3gpuE4ELNS1_3repE0EEENS1_30default_config_static_selectorELNS0_4arch9wavefront6targetE0EEEvSY_.private_seg_size, 0
	.set _ZN7rocprim17ROCPRIM_400000_NS6detail17trampoline_kernelINS0_13select_configILj256ELj13ELNS0_17block_load_methodE3ELS4_3ELS4_3ELNS0_20block_scan_algorithmE0ELj4294967295EEENS1_25partition_config_selectorILNS1_17partition_subalgoE3EjNS0_10empty_typeEbEEZZNS1_14partition_implILS8_3ELb0ES6_jNS0_17counting_iteratorIjlEEPS9_SE_NS0_5tupleIJPjSE_EEENSF_IJSE_SE_EEES9_SG_JZNS1_25segmented_radix_sort_implINS0_14default_configELb1EPKdPdPKlPlN2at6native12_GLOBAL__N_18offset_tEEE10hipError_tPvRmT1_PNSt15iterator_traitsISY_E10value_typeET2_T3_PNSZ_IS14_E10value_typeET4_jRbjT5_S1A_jjP12ihipStream_tbEUljE_EEESV_SW_SX_S14_S18_S1A_T6_T7_T9_mT8_S1C_bDpT10_ENKUlT_T0_E_clISt17integral_constantIbLb1EES1O_IbLb0EEEEDaS1K_S1L_EUlS1K_E_NS1_11comp_targetILNS1_3genE10ELNS1_11target_archE1200ELNS1_3gpuE4ELNS1_3repE0EEENS1_30default_config_static_selectorELNS0_4arch9wavefront6targetE0EEEvSY_.uses_vcc, 0
	.set _ZN7rocprim17ROCPRIM_400000_NS6detail17trampoline_kernelINS0_13select_configILj256ELj13ELNS0_17block_load_methodE3ELS4_3ELS4_3ELNS0_20block_scan_algorithmE0ELj4294967295EEENS1_25partition_config_selectorILNS1_17partition_subalgoE3EjNS0_10empty_typeEbEEZZNS1_14partition_implILS8_3ELb0ES6_jNS0_17counting_iteratorIjlEEPS9_SE_NS0_5tupleIJPjSE_EEENSF_IJSE_SE_EEES9_SG_JZNS1_25segmented_radix_sort_implINS0_14default_configELb1EPKdPdPKlPlN2at6native12_GLOBAL__N_18offset_tEEE10hipError_tPvRmT1_PNSt15iterator_traitsISY_E10value_typeET2_T3_PNSZ_IS14_E10value_typeET4_jRbjT5_S1A_jjP12ihipStream_tbEUljE_EEESV_SW_SX_S14_S18_S1A_T6_T7_T9_mT8_S1C_bDpT10_ENKUlT_T0_E_clISt17integral_constantIbLb1EES1O_IbLb0EEEEDaS1K_S1L_EUlS1K_E_NS1_11comp_targetILNS1_3genE10ELNS1_11target_archE1200ELNS1_3gpuE4ELNS1_3repE0EEENS1_30default_config_static_selectorELNS0_4arch9wavefront6targetE0EEEvSY_.uses_flat_scratch, 0
	.set _ZN7rocprim17ROCPRIM_400000_NS6detail17trampoline_kernelINS0_13select_configILj256ELj13ELNS0_17block_load_methodE3ELS4_3ELS4_3ELNS0_20block_scan_algorithmE0ELj4294967295EEENS1_25partition_config_selectorILNS1_17partition_subalgoE3EjNS0_10empty_typeEbEEZZNS1_14partition_implILS8_3ELb0ES6_jNS0_17counting_iteratorIjlEEPS9_SE_NS0_5tupleIJPjSE_EEENSF_IJSE_SE_EEES9_SG_JZNS1_25segmented_radix_sort_implINS0_14default_configELb1EPKdPdPKlPlN2at6native12_GLOBAL__N_18offset_tEEE10hipError_tPvRmT1_PNSt15iterator_traitsISY_E10value_typeET2_T3_PNSZ_IS14_E10value_typeET4_jRbjT5_S1A_jjP12ihipStream_tbEUljE_EEESV_SW_SX_S14_S18_S1A_T6_T7_T9_mT8_S1C_bDpT10_ENKUlT_T0_E_clISt17integral_constantIbLb1EES1O_IbLb0EEEEDaS1K_S1L_EUlS1K_E_NS1_11comp_targetILNS1_3genE10ELNS1_11target_archE1200ELNS1_3gpuE4ELNS1_3repE0EEENS1_30default_config_static_selectorELNS0_4arch9wavefront6targetE0EEEvSY_.has_dyn_sized_stack, 0
	.set _ZN7rocprim17ROCPRIM_400000_NS6detail17trampoline_kernelINS0_13select_configILj256ELj13ELNS0_17block_load_methodE3ELS4_3ELS4_3ELNS0_20block_scan_algorithmE0ELj4294967295EEENS1_25partition_config_selectorILNS1_17partition_subalgoE3EjNS0_10empty_typeEbEEZZNS1_14partition_implILS8_3ELb0ES6_jNS0_17counting_iteratorIjlEEPS9_SE_NS0_5tupleIJPjSE_EEENSF_IJSE_SE_EEES9_SG_JZNS1_25segmented_radix_sort_implINS0_14default_configELb1EPKdPdPKlPlN2at6native12_GLOBAL__N_18offset_tEEE10hipError_tPvRmT1_PNSt15iterator_traitsISY_E10value_typeET2_T3_PNSZ_IS14_E10value_typeET4_jRbjT5_S1A_jjP12ihipStream_tbEUljE_EEESV_SW_SX_S14_S18_S1A_T6_T7_T9_mT8_S1C_bDpT10_ENKUlT_T0_E_clISt17integral_constantIbLb1EES1O_IbLb0EEEEDaS1K_S1L_EUlS1K_E_NS1_11comp_targetILNS1_3genE10ELNS1_11target_archE1200ELNS1_3gpuE4ELNS1_3repE0EEENS1_30default_config_static_selectorELNS0_4arch9wavefront6targetE0EEEvSY_.has_recursion, 0
	.set _ZN7rocprim17ROCPRIM_400000_NS6detail17trampoline_kernelINS0_13select_configILj256ELj13ELNS0_17block_load_methodE3ELS4_3ELS4_3ELNS0_20block_scan_algorithmE0ELj4294967295EEENS1_25partition_config_selectorILNS1_17partition_subalgoE3EjNS0_10empty_typeEbEEZZNS1_14partition_implILS8_3ELb0ES6_jNS0_17counting_iteratorIjlEEPS9_SE_NS0_5tupleIJPjSE_EEENSF_IJSE_SE_EEES9_SG_JZNS1_25segmented_radix_sort_implINS0_14default_configELb1EPKdPdPKlPlN2at6native12_GLOBAL__N_18offset_tEEE10hipError_tPvRmT1_PNSt15iterator_traitsISY_E10value_typeET2_T3_PNSZ_IS14_E10value_typeET4_jRbjT5_S1A_jjP12ihipStream_tbEUljE_EEESV_SW_SX_S14_S18_S1A_T6_T7_T9_mT8_S1C_bDpT10_ENKUlT_T0_E_clISt17integral_constantIbLb1EES1O_IbLb0EEEEDaS1K_S1L_EUlS1K_E_NS1_11comp_targetILNS1_3genE10ELNS1_11target_archE1200ELNS1_3gpuE4ELNS1_3repE0EEENS1_30default_config_static_selectorELNS0_4arch9wavefront6targetE0EEEvSY_.has_indirect_call, 0
	.section	.AMDGPU.csdata,"",@progbits
; Kernel info:
; codeLenInByte = 0
; TotalNumSgprs: 0
; NumVgprs: 0
; ScratchSize: 0
; MemoryBound: 0
; FloatMode: 240
; IeeeMode: 1
; LDSByteSize: 0 bytes/workgroup (compile time only)
; SGPRBlocks: 0
; VGPRBlocks: 0
; NumSGPRsForWavesPerEU: 1
; NumVGPRsForWavesPerEU: 1
; NamedBarCnt: 0
; Occupancy: 16
; WaveLimiterHint : 0
; COMPUTE_PGM_RSRC2:SCRATCH_EN: 0
; COMPUTE_PGM_RSRC2:USER_SGPR: 2
; COMPUTE_PGM_RSRC2:TRAP_HANDLER: 0
; COMPUTE_PGM_RSRC2:TGID_X_EN: 1
; COMPUTE_PGM_RSRC2:TGID_Y_EN: 0
; COMPUTE_PGM_RSRC2:TGID_Z_EN: 0
; COMPUTE_PGM_RSRC2:TIDIG_COMP_CNT: 0
	.section	.text._ZN7rocprim17ROCPRIM_400000_NS6detail17trampoline_kernelINS0_13select_configILj256ELj13ELNS0_17block_load_methodE3ELS4_3ELS4_3ELNS0_20block_scan_algorithmE0ELj4294967295EEENS1_25partition_config_selectorILNS1_17partition_subalgoE3EjNS0_10empty_typeEbEEZZNS1_14partition_implILS8_3ELb0ES6_jNS0_17counting_iteratorIjlEEPS9_SE_NS0_5tupleIJPjSE_EEENSF_IJSE_SE_EEES9_SG_JZNS1_25segmented_radix_sort_implINS0_14default_configELb1EPKdPdPKlPlN2at6native12_GLOBAL__N_18offset_tEEE10hipError_tPvRmT1_PNSt15iterator_traitsISY_E10value_typeET2_T3_PNSZ_IS14_E10value_typeET4_jRbjT5_S1A_jjP12ihipStream_tbEUljE_EEESV_SW_SX_S14_S18_S1A_T6_T7_T9_mT8_S1C_bDpT10_ENKUlT_T0_E_clISt17integral_constantIbLb1EES1O_IbLb0EEEEDaS1K_S1L_EUlS1K_E_NS1_11comp_targetILNS1_3genE9ELNS1_11target_archE1100ELNS1_3gpuE3ELNS1_3repE0EEENS1_30default_config_static_selectorELNS0_4arch9wavefront6targetE0EEEvSY_,"axG",@progbits,_ZN7rocprim17ROCPRIM_400000_NS6detail17trampoline_kernelINS0_13select_configILj256ELj13ELNS0_17block_load_methodE3ELS4_3ELS4_3ELNS0_20block_scan_algorithmE0ELj4294967295EEENS1_25partition_config_selectorILNS1_17partition_subalgoE3EjNS0_10empty_typeEbEEZZNS1_14partition_implILS8_3ELb0ES6_jNS0_17counting_iteratorIjlEEPS9_SE_NS0_5tupleIJPjSE_EEENSF_IJSE_SE_EEES9_SG_JZNS1_25segmented_radix_sort_implINS0_14default_configELb1EPKdPdPKlPlN2at6native12_GLOBAL__N_18offset_tEEE10hipError_tPvRmT1_PNSt15iterator_traitsISY_E10value_typeET2_T3_PNSZ_IS14_E10value_typeET4_jRbjT5_S1A_jjP12ihipStream_tbEUljE_EEESV_SW_SX_S14_S18_S1A_T6_T7_T9_mT8_S1C_bDpT10_ENKUlT_T0_E_clISt17integral_constantIbLb1EES1O_IbLb0EEEEDaS1K_S1L_EUlS1K_E_NS1_11comp_targetILNS1_3genE9ELNS1_11target_archE1100ELNS1_3gpuE3ELNS1_3repE0EEENS1_30default_config_static_selectorELNS0_4arch9wavefront6targetE0EEEvSY_,comdat
	.globl	_ZN7rocprim17ROCPRIM_400000_NS6detail17trampoline_kernelINS0_13select_configILj256ELj13ELNS0_17block_load_methodE3ELS4_3ELS4_3ELNS0_20block_scan_algorithmE0ELj4294967295EEENS1_25partition_config_selectorILNS1_17partition_subalgoE3EjNS0_10empty_typeEbEEZZNS1_14partition_implILS8_3ELb0ES6_jNS0_17counting_iteratorIjlEEPS9_SE_NS0_5tupleIJPjSE_EEENSF_IJSE_SE_EEES9_SG_JZNS1_25segmented_radix_sort_implINS0_14default_configELb1EPKdPdPKlPlN2at6native12_GLOBAL__N_18offset_tEEE10hipError_tPvRmT1_PNSt15iterator_traitsISY_E10value_typeET2_T3_PNSZ_IS14_E10value_typeET4_jRbjT5_S1A_jjP12ihipStream_tbEUljE_EEESV_SW_SX_S14_S18_S1A_T6_T7_T9_mT8_S1C_bDpT10_ENKUlT_T0_E_clISt17integral_constantIbLb1EES1O_IbLb0EEEEDaS1K_S1L_EUlS1K_E_NS1_11comp_targetILNS1_3genE9ELNS1_11target_archE1100ELNS1_3gpuE3ELNS1_3repE0EEENS1_30default_config_static_selectorELNS0_4arch9wavefront6targetE0EEEvSY_ ; -- Begin function _ZN7rocprim17ROCPRIM_400000_NS6detail17trampoline_kernelINS0_13select_configILj256ELj13ELNS0_17block_load_methodE3ELS4_3ELS4_3ELNS0_20block_scan_algorithmE0ELj4294967295EEENS1_25partition_config_selectorILNS1_17partition_subalgoE3EjNS0_10empty_typeEbEEZZNS1_14partition_implILS8_3ELb0ES6_jNS0_17counting_iteratorIjlEEPS9_SE_NS0_5tupleIJPjSE_EEENSF_IJSE_SE_EEES9_SG_JZNS1_25segmented_radix_sort_implINS0_14default_configELb1EPKdPdPKlPlN2at6native12_GLOBAL__N_18offset_tEEE10hipError_tPvRmT1_PNSt15iterator_traitsISY_E10value_typeET2_T3_PNSZ_IS14_E10value_typeET4_jRbjT5_S1A_jjP12ihipStream_tbEUljE_EEESV_SW_SX_S14_S18_S1A_T6_T7_T9_mT8_S1C_bDpT10_ENKUlT_T0_E_clISt17integral_constantIbLb1EES1O_IbLb0EEEEDaS1K_S1L_EUlS1K_E_NS1_11comp_targetILNS1_3genE9ELNS1_11target_archE1100ELNS1_3gpuE3ELNS1_3repE0EEENS1_30default_config_static_selectorELNS0_4arch9wavefront6targetE0EEEvSY_
	.p2align	8
	.type	_ZN7rocprim17ROCPRIM_400000_NS6detail17trampoline_kernelINS0_13select_configILj256ELj13ELNS0_17block_load_methodE3ELS4_3ELS4_3ELNS0_20block_scan_algorithmE0ELj4294967295EEENS1_25partition_config_selectorILNS1_17partition_subalgoE3EjNS0_10empty_typeEbEEZZNS1_14partition_implILS8_3ELb0ES6_jNS0_17counting_iteratorIjlEEPS9_SE_NS0_5tupleIJPjSE_EEENSF_IJSE_SE_EEES9_SG_JZNS1_25segmented_radix_sort_implINS0_14default_configELb1EPKdPdPKlPlN2at6native12_GLOBAL__N_18offset_tEEE10hipError_tPvRmT1_PNSt15iterator_traitsISY_E10value_typeET2_T3_PNSZ_IS14_E10value_typeET4_jRbjT5_S1A_jjP12ihipStream_tbEUljE_EEESV_SW_SX_S14_S18_S1A_T6_T7_T9_mT8_S1C_bDpT10_ENKUlT_T0_E_clISt17integral_constantIbLb1EES1O_IbLb0EEEEDaS1K_S1L_EUlS1K_E_NS1_11comp_targetILNS1_3genE9ELNS1_11target_archE1100ELNS1_3gpuE3ELNS1_3repE0EEENS1_30default_config_static_selectorELNS0_4arch9wavefront6targetE0EEEvSY_,@function
_ZN7rocprim17ROCPRIM_400000_NS6detail17trampoline_kernelINS0_13select_configILj256ELj13ELNS0_17block_load_methodE3ELS4_3ELS4_3ELNS0_20block_scan_algorithmE0ELj4294967295EEENS1_25partition_config_selectorILNS1_17partition_subalgoE3EjNS0_10empty_typeEbEEZZNS1_14partition_implILS8_3ELb0ES6_jNS0_17counting_iteratorIjlEEPS9_SE_NS0_5tupleIJPjSE_EEENSF_IJSE_SE_EEES9_SG_JZNS1_25segmented_radix_sort_implINS0_14default_configELb1EPKdPdPKlPlN2at6native12_GLOBAL__N_18offset_tEEE10hipError_tPvRmT1_PNSt15iterator_traitsISY_E10value_typeET2_T3_PNSZ_IS14_E10value_typeET4_jRbjT5_S1A_jjP12ihipStream_tbEUljE_EEESV_SW_SX_S14_S18_S1A_T6_T7_T9_mT8_S1C_bDpT10_ENKUlT_T0_E_clISt17integral_constantIbLb1EES1O_IbLb0EEEEDaS1K_S1L_EUlS1K_E_NS1_11comp_targetILNS1_3genE9ELNS1_11target_archE1100ELNS1_3gpuE3ELNS1_3repE0EEENS1_30default_config_static_selectorELNS0_4arch9wavefront6targetE0EEEvSY_: ; @_ZN7rocprim17ROCPRIM_400000_NS6detail17trampoline_kernelINS0_13select_configILj256ELj13ELNS0_17block_load_methodE3ELS4_3ELS4_3ELNS0_20block_scan_algorithmE0ELj4294967295EEENS1_25partition_config_selectorILNS1_17partition_subalgoE3EjNS0_10empty_typeEbEEZZNS1_14partition_implILS8_3ELb0ES6_jNS0_17counting_iteratorIjlEEPS9_SE_NS0_5tupleIJPjSE_EEENSF_IJSE_SE_EEES9_SG_JZNS1_25segmented_radix_sort_implINS0_14default_configELb1EPKdPdPKlPlN2at6native12_GLOBAL__N_18offset_tEEE10hipError_tPvRmT1_PNSt15iterator_traitsISY_E10value_typeET2_T3_PNSZ_IS14_E10value_typeET4_jRbjT5_S1A_jjP12ihipStream_tbEUljE_EEESV_SW_SX_S14_S18_S1A_T6_T7_T9_mT8_S1C_bDpT10_ENKUlT_T0_E_clISt17integral_constantIbLb1EES1O_IbLb0EEEEDaS1K_S1L_EUlS1K_E_NS1_11comp_targetILNS1_3genE9ELNS1_11target_archE1100ELNS1_3gpuE3ELNS1_3repE0EEENS1_30default_config_static_selectorELNS0_4arch9wavefront6targetE0EEEvSY_
; %bb.0:
	.section	.rodata,"a",@progbits
	.p2align	6, 0x0
	.amdhsa_kernel _ZN7rocprim17ROCPRIM_400000_NS6detail17trampoline_kernelINS0_13select_configILj256ELj13ELNS0_17block_load_methodE3ELS4_3ELS4_3ELNS0_20block_scan_algorithmE0ELj4294967295EEENS1_25partition_config_selectorILNS1_17partition_subalgoE3EjNS0_10empty_typeEbEEZZNS1_14partition_implILS8_3ELb0ES6_jNS0_17counting_iteratorIjlEEPS9_SE_NS0_5tupleIJPjSE_EEENSF_IJSE_SE_EEES9_SG_JZNS1_25segmented_radix_sort_implINS0_14default_configELb1EPKdPdPKlPlN2at6native12_GLOBAL__N_18offset_tEEE10hipError_tPvRmT1_PNSt15iterator_traitsISY_E10value_typeET2_T3_PNSZ_IS14_E10value_typeET4_jRbjT5_S1A_jjP12ihipStream_tbEUljE_EEESV_SW_SX_S14_S18_S1A_T6_T7_T9_mT8_S1C_bDpT10_ENKUlT_T0_E_clISt17integral_constantIbLb1EES1O_IbLb0EEEEDaS1K_S1L_EUlS1K_E_NS1_11comp_targetILNS1_3genE9ELNS1_11target_archE1100ELNS1_3gpuE3ELNS1_3repE0EEENS1_30default_config_static_selectorELNS0_4arch9wavefront6targetE0EEEvSY_
		.amdhsa_group_segment_fixed_size 0
		.amdhsa_private_segment_fixed_size 0
		.amdhsa_kernarg_size 144
		.amdhsa_user_sgpr_count 2
		.amdhsa_user_sgpr_dispatch_ptr 0
		.amdhsa_user_sgpr_queue_ptr 0
		.amdhsa_user_sgpr_kernarg_segment_ptr 1
		.amdhsa_user_sgpr_dispatch_id 0
		.amdhsa_user_sgpr_kernarg_preload_length 0
		.amdhsa_user_sgpr_kernarg_preload_offset 0
		.amdhsa_user_sgpr_private_segment_size 0
		.amdhsa_wavefront_size32 1
		.amdhsa_uses_dynamic_stack 0
		.amdhsa_enable_private_segment 0
		.amdhsa_system_sgpr_workgroup_id_x 1
		.amdhsa_system_sgpr_workgroup_id_y 0
		.amdhsa_system_sgpr_workgroup_id_z 0
		.amdhsa_system_sgpr_workgroup_info 0
		.amdhsa_system_vgpr_workitem_id 0
		.amdhsa_next_free_vgpr 1
		.amdhsa_next_free_sgpr 1
		.amdhsa_named_barrier_count 0
		.amdhsa_reserve_vcc 0
		.amdhsa_float_round_mode_32 0
		.amdhsa_float_round_mode_16_64 0
		.amdhsa_float_denorm_mode_32 3
		.amdhsa_float_denorm_mode_16_64 3
		.amdhsa_fp16_overflow 0
		.amdhsa_memory_ordered 1
		.amdhsa_forward_progress 1
		.amdhsa_inst_pref_size 0
		.amdhsa_round_robin_scheduling 0
		.amdhsa_exception_fp_ieee_invalid_op 0
		.amdhsa_exception_fp_denorm_src 0
		.amdhsa_exception_fp_ieee_div_zero 0
		.amdhsa_exception_fp_ieee_overflow 0
		.amdhsa_exception_fp_ieee_underflow 0
		.amdhsa_exception_fp_ieee_inexact 0
		.amdhsa_exception_int_div_zero 0
	.end_amdhsa_kernel
	.section	.text._ZN7rocprim17ROCPRIM_400000_NS6detail17trampoline_kernelINS0_13select_configILj256ELj13ELNS0_17block_load_methodE3ELS4_3ELS4_3ELNS0_20block_scan_algorithmE0ELj4294967295EEENS1_25partition_config_selectorILNS1_17partition_subalgoE3EjNS0_10empty_typeEbEEZZNS1_14partition_implILS8_3ELb0ES6_jNS0_17counting_iteratorIjlEEPS9_SE_NS0_5tupleIJPjSE_EEENSF_IJSE_SE_EEES9_SG_JZNS1_25segmented_radix_sort_implINS0_14default_configELb1EPKdPdPKlPlN2at6native12_GLOBAL__N_18offset_tEEE10hipError_tPvRmT1_PNSt15iterator_traitsISY_E10value_typeET2_T3_PNSZ_IS14_E10value_typeET4_jRbjT5_S1A_jjP12ihipStream_tbEUljE_EEESV_SW_SX_S14_S18_S1A_T6_T7_T9_mT8_S1C_bDpT10_ENKUlT_T0_E_clISt17integral_constantIbLb1EES1O_IbLb0EEEEDaS1K_S1L_EUlS1K_E_NS1_11comp_targetILNS1_3genE9ELNS1_11target_archE1100ELNS1_3gpuE3ELNS1_3repE0EEENS1_30default_config_static_selectorELNS0_4arch9wavefront6targetE0EEEvSY_,"axG",@progbits,_ZN7rocprim17ROCPRIM_400000_NS6detail17trampoline_kernelINS0_13select_configILj256ELj13ELNS0_17block_load_methodE3ELS4_3ELS4_3ELNS0_20block_scan_algorithmE0ELj4294967295EEENS1_25partition_config_selectorILNS1_17partition_subalgoE3EjNS0_10empty_typeEbEEZZNS1_14partition_implILS8_3ELb0ES6_jNS0_17counting_iteratorIjlEEPS9_SE_NS0_5tupleIJPjSE_EEENSF_IJSE_SE_EEES9_SG_JZNS1_25segmented_radix_sort_implINS0_14default_configELb1EPKdPdPKlPlN2at6native12_GLOBAL__N_18offset_tEEE10hipError_tPvRmT1_PNSt15iterator_traitsISY_E10value_typeET2_T3_PNSZ_IS14_E10value_typeET4_jRbjT5_S1A_jjP12ihipStream_tbEUljE_EEESV_SW_SX_S14_S18_S1A_T6_T7_T9_mT8_S1C_bDpT10_ENKUlT_T0_E_clISt17integral_constantIbLb1EES1O_IbLb0EEEEDaS1K_S1L_EUlS1K_E_NS1_11comp_targetILNS1_3genE9ELNS1_11target_archE1100ELNS1_3gpuE3ELNS1_3repE0EEENS1_30default_config_static_selectorELNS0_4arch9wavefront6targetE0EEEvSY_,comdat
.Lfunc_end1102:
	.size	_ZN7rocprim17ROCPRIM_400000_NS6detail17trampoline_kernelINS0_13select_configILj256ELj13ELNS0_17block_load_methodE3ELS4_3ELS4_3ELNS0_20block_scan_algorithmE0ELj4294967295EEENS1_25partition_config_selectorILNS1_17partition_subalgoE3EjNS0_10empty_typeEbEEZZNS1_14partition_implILS8_3ELb0ES6_jNS0_17counting_iteratorIjlEEPS9_SE_NS0_5tupleIJPjSE_EEENSF_IJSE_SE_EEES9_SG_JZNS1_25segmented_radix_sort_implINS0_14default_configELb1EPKdPdPKlPlN2at6native12_GLOBAL__N_18offset_tEEE10hipError_tPvRmT1_PNSt15iterator_traitsISY_E10value_typeET2_T3_PNSZ_IS14_E10value_typeET4_jRbjT5_S1A_jjP12ihipStream_tbEUljE_EEESV_SW_SX_S14_S18_S1A_T6_T7_T9_mT8_S1C_bDpT10_ENKUlT_T0_E_clISt17integral_constantIbLb1EES1O_IbLb0EEEEDaS1K_S1L_EUlS1K_E_NS1_11comp_targetILNS1_3genE9ELNS1_11target_archE1100ELNS1_3gpuE3ELNS1_3repE0EEENS1_30default_config_static_selectorELNS0_4arch9wavefront6targetE0EEEvSY_, .Lfunc_end1102-_ZN7rocprim17ROCPRIM_400000_NS6detail17trampoline_kernelINS0_13select_configILj256ELj13ELNS0_17block_load_methodE3ELS4_3ELS4_3ELNS0_20block_scan_algorithmE0ELj4294967295EEENS1_25partition_config_selectorILNS1_17partition_subalgoE3EjNS0_10empty_typeEbEEZZNS1_14partition_implILS8_3ELb0ES6_jNS0_17counting_iteratorIjlEEPS9_SE_NS0_5tupleIJPjSE_EEENSF_IJSE_SE_EEES9_SG_JZNS1_25segmented_radix_sort_implINS0_14default_configELb1EPKdPdPKlPlN2at6native12_GLOBAL__N_18offset_tEEE10hipError_tPvRmT1_PNSt15iterator_traitsISY_E10value_typeET2_T3_PNSZ_IS14_E10value_typeET4_jRbjT5_S1A_jjP12ihipStream_tbEUljE_EEESV_SW_SX_S14_S18_S1A_T6_T7_T9_mT8_S1C_bDpT10_ENKUlT_T0_E_clISt17integral_constantIbLb1EES1O_IbLb0EEEEDaS1K_S1L_EUlS1K_E_NS1_11comp_targetILNS1_3genE9ELNS1_11target_archE1100ELNS1_3gpuE3ELNS1_3repE0EEENS1_30default_config_static_selectorELNS0_4arch9wavefront6targetE0EEEvSY_
                                        ; -- End function
	.set _ZN7rocprim17ROCPRIM_400000_NS6detail17trampoline_kernelINS0_13select_configILj256ELj13ELNS0_17block_load_methodE3ELS4_3ELS4_3ELNS0_20block_scan_algorithmE0ELj4294967295EEENS1_25partition_config_selectorILNS1_17partition_subalgoE3EjNS0_10empty_typeEbEEZZNS1_14partition_implILS8_3ELb0ES6_jNS0_17counting_iteratorIjlEEPS9_SE_NS0_5tupleIJPjSE_EEENSF_IJSE_SE_EEES9_SG_JZNS1_25segmented_radix_sort_implINS0_14default_configELb1EPKdPdPKlPlN2at6native12_GLOBAL__N_18offset_tEEE10hipError_tPvRmT1_PNSt15iterator_traitsISY_E10value_typeET2_T3_PNSZ_IS14_E10value_typeET4_jRbjT5_S1A_jjP12ihipStream_tbEUljE_EEESV_SW_SX_S14_S18_S1A_T6_T7_T9_mT8_S1C_bDpT10_ENKUlT_T0_E_clISt17integral_constantIbLb1EES1O_IbLb0EEEEDaS1K_S1L_EUlS1K_E_NS1_11comp_targetILNS1_3genE9ELNS1_11target_archE1100ELNS1_3gpuE3ELNS1_3repE0EEENS1_30default_config_static_selectorELNS0_4arch9wavefront6targetE0EEEvSY_.num_vgpr, 0
	.set _ZN7rocprim17ROCPRIM_400000_NS6detail17trampoline_kernelINS0_13select_configILj256ELj13ELNS0_17block_load_methodE3ELS4_3ELS4_3ELNS0_20block_scan_algorithmE0ELj4294967295EEENS1_25partition_config_selectorILNS1_17partition_subalgoE3EjNS0_10empty_typeEbEEZZNS1_14partition_implILS8_3ELb0ES6_jNS0_17counting_iteratorIjlEEPS9_SE_NS0_5tupleIJPjSE_EEENSF_IJSE_SE_EEES9_SG_JZNS1_25segmented_radix_sort_implINS0_14default_configELb1EPKdPdPKlPlN2at6native12_GLOBAL__N_18offset_tEEE10hipError_tPvRmT1_PNSt15iterator_traitsISY_E10value_typeET2_T3_PNSZ_IS14_E10value_typeET4_jRbjT5_S1A_jjP12ihipStream_tbEUljE_EEESV_SW_SX_S14_S18_S1A_T6_T7_T9_mT8_S1C_bDpT10_ENKUlT_T0_E_clISt17integral_constantIbLb1EES1O_IbLb0EEEEDaS1K_S1L_EUlS1K_E_NS1_11comp_targetILNS1_3genE9ELNS1_11target_archE1100ELNS1_3gpuE3ELNS1_3repE0EEENS1_30default_config_static_selectorELNS0_4arch9wavefront6targetE0EEEvSY_.num_agpr, 0
	.set _ZN7rocprim17ROCPRIM_400000_NS6detail17trampoline_kernelINS0_13select_configILj256ELj13ELNS0_17block_load_methodE3ELS4_3ELS4_3ELNS0_20block_scan_algorithmE0ELj4294967295EEENS1_25partition_config_selectorILNS1_17partition_subalgoE3EjNS0_10empty_typeEbEEZZNS1_14partition_implILS8_3ELb0ES6_jNS0_17counting_iteratorIjlEEPS9_SE_NS0_5tupleIJPjSE_EEENSF_IJSE_SE_EEES9_SG_JZNS1_25segmented_radix_sort_implINS0_14default_configELb1EPKdPdPKlPlN2at6native12_GLOBAL__N_18offset_tEEE10hipError_tPvRmT1_PNSt15iterator_traitsISY_E10value_typeET2_T3_PNSZ_IS14_E10value_typeET4_jRbjT5_S1A_jjP12ihipStream_tbEUljE_EEESV_SW_SX_S14_S18_S1A_T6_T7_T9_mT8_S1C_bDpT10_ENKUlT_T0_E_clISt17integral_constantIbLb1EES1O_IbLb0EEEEDaS1K_S1L_EUlS1K_E_NS1_11comp_targetILNS1_3genE9ELNS1_11target_archE1100ELNS1_3gpuE3ELNS1_3repE0EEENS1_30default_config_static_selectorELNS0_4arch9wavefront6targetE0EEEvSY_.numbered_sgpr, 0
	.set _ZN7rocprim17ROCPRIM_400000_NS6detail17trampoline_kernelINS0_13select_configILj256ELj13ELNS0_17block_load_methodE3ELS4_3ELS4_3ELNS0_20block_scan_algorithmE0ELj4294967295EEENS1_25partition_config_selectorILNS1_17partition_subalgoE3EjNS0_10empty_typeEbEEZZNS1_14partition_implILS8_3ELb0ES6_jNS0_17counting_iteratorIjlEEPS9_SE_NS0_5tupleIJPjSE_EEENSF_IJSE_SE_EEES9_SG_JZNS1_25segmented_radix_sort_implINS0_14default_configELb1EPKdPdPKlPlN2at6native12_GLOBAL__N_18offset_tEEE10hipError_tPvRmT1_PNSt15iterator_traitsISY_E10value_typeET2_T3_PNSZ_IS14_E10value_typeET4_jRbjT5_S1A_jjP12ihipStream_tbEUljE_EEESV_SW_SX_S14_S18_S1A_T6_T7_T9_mT8_S1C_bDpT10_ENKUlT_T0_E_clISt17integral_constantIbLb1EES1O_IbLb0EEEEDaS1K_S1L_EUlS1K_E_NS1_11comp_targetILNS1_3genE9ELNS1_11target_archE1100ELNS1_3gpuE3ELNS1_3repE0EEENS1_30default_config_static_selectorELNS0_4arch9wavefront6targetE0EEEvSY_.num_named_barrier, 0
	.set _ZN7rocprim17ROCPRIM_400000_NS6detail17trampoline_kernelINS0_13select_configILj256ELj13ELNS0_17block_load_methodE3ELS4_3ELS4_3ELNS0_20block_scan_algorithmE0ELj4294967295EEENS1_25partition_config_selectorILNS1_17partition_subalgoE3EjNS0_10empty_typeEbEEZZNS1_14partition_implILS8_3ELb0ES6_jNS0_17counting_iteratorIjlEEPS9_SE_NS0_5tupleIJPjSE_EEENSF_IJSE_SE_EEES9_SG_JZNS1_25segmented_radix_sort_implINS0_14default_configELb1EPKdPdPKlPlN2at6native12_GLOBAL__N_18offset_tEEE10hipError_tPvRmT1_PNSt15iterator_traitsISY_E10value_typeET2_T3_PNSZ_IS14_E10value_typeET4_jRbjT5_S1A_jjP12ihipStream_tbEUljE_EEESV_SW_SX_S14_S18_S1A_T6_T7_T9_mT8_S1C_bDpT10_ENKUlT_T0_E_clISt17integral_constantIbLb1EES1O_IbLb0EEEEDaS1K_S1L_EUlS1K_E_NS1_11comp_targetILNS1_3genE9ELNS1_11target_archE1100ELNS1_3gpuE3ELNS1_3repE0EEENS1_30default_config_static_selectorELNS0_4arch9wavefront6targetE0EEEvSY_.private_seg_size, 0
	.set _ZN7rocprim17ROCPRIM_400000_NS6detail17trampoline_kernelINS0_13select_configILj256ELj13ELNS0_17block_load_methodE3ELS4_3ELS4_3ELNS0_20block_scan_algorithmE0ELj4294967295EEENS1_25partition_config_selectorILNS1_17partition_subalgoE3EjNS0_10empty_typeEbEEZZNS1_14partition_implILS8_3ELb0ES6_jNS0_17counting_iteratorIjlEEPS9_SE_NS0_5tupleIJPjSE_EEENSF_IJSE_SE_EEES9_SG_JZNS1_25segmented_radix_sort_implINS0_14default_configELb1EPKdPdPKlPlN2at6native12_GLOBAL__N_18offset_tEEE10hipError_tPvRmT1_PNSt15iterator_traitsISY_E10value_typeET2_T3_PNSZ_IS14_E10value_typeET4_jRbjT5_S1A_jjP12ihipStream_tbEUljE_EEESV_SW_SX_S14_S18_S1A_T6_T7_T9_mT8_S1C_bDpT10_ENKUlT_T0_E_clISt17integral_constantIbLb1EES1O_IbLb0EEEEDaS1K_S1L_EUlS1K_E_NS1_11comp_targetILNS1_3genE9ELNS1_11target_archE1100ELNS1_3gpuE3ELNS1_3repE0EEENS1_30default_config_static_selectorELNS0_4arch9wavefront6targetE0EEEvSY_.uses_vcc, 0
	.set _ZN7rocprim17ROCPRIM_400000_NS6detail17trampoline_kernelINS0_13select_configILj256ELj13ELNS0_17block_load_methodE3ELS4_3ELS4_3ELNS0_20block_scan_algorithmE0ELj4294967295EEENS1_25partition_config_selectorILNS1_17partition_subalgoE3EjNS0_10empty_typeEbEEZZNS1_14partition_implILS8_3ELb0ES6_jNS0_17counting_iteratorIjlEEPS9_SE_NS0_5tupleIJPjSE_EEENSF_IJSE_SE_EEES9_SG_JZNS1_25segmented_radix_sort_implINS0_14default_configELb1EPKdPdPKlPlN2at6native12_GLOBAL__N_18offset_tEEE10hipError_tPvRmT1_PNSt15iterator_traitsISY_E10value_typeET2_T3_PNSZ_IS14_E10value_typeET4_jRbjT5_S1A_jjP12ihipStream_tbEUljE_EEESV_SW_SX_S14_S18_S1A_T6_T7_T9_mT8_S1C_bDpT10_ENKUlT_T0_E_clISt17integral_constantIbLb1EES1O_IbLb0EEEEDaS1K_S1L_EUlS1K_E_NS1_11comp_targetILNS1_3genE9ELNS1_11target_archE1100ELNS1_3gpuE3ELNS1_3repE0EEENS1_30default_config_static_selectorELNS0_4arch9wavefront6targetE0EEEvSY_.uses_flat_scratch, 0
	.set _ZN7rocprim17ROCPRIM_400000_NS6detail17trampoline_kernelINS0_13select_configILj256ELj13ELNS0_17block_load_methodE3ELS4_3ELS4_3ELNS0_20block_scan_algorithmE0ELj4294967295EEENS1_25partition_config_selectorILNS1_17partition_subalgoE3EjNS0_10empty_typeEbEEZZNS1_14partition_implILS8_3ELb0ES6_jNS0_17counting_iteratorIjlEEPS9_SE_NS0_5tupleIJPjSE_EEENSF_IJSE_SE_EEES9_SG_JZNS1_25segmented_radix_sort_implINS0_14default_configELb1EPKdPdPKlPlN2at6native12_GLOBAL__N_18offset_tEEE10hipError_tPvRmT1_PNSt15iterator_traitsISY_E10value_typeET2_T3_PNSZ_IS14_E10value_typeET4_jRbjT5_S1A_jjP12ihipStream_tbEUljE_EEESV_SW_SX_S14_S18_S1A_T6_T7_T9_mT8_S1C_bDpT10_ENKUlT_T0_E_clISt17integral_constantIbLb1EES1O_IbLb0EEEEDaS1K_S1L_EUlS1K_E_NS1_11comp_targetILNS1_3genE9ELNS1_11target_archE1100ELNS1_3gpuE3ELNS1_3repE0EEENS1_30default_config_static_selectorELNS0_4arch9wavefront6targetE0EEEvSY_.has_dyn_sized_stack, 0
	.set _ZN7rocprim17ROCPRIM_400000_NS6detail17trampoline_kernelINS0_13select_configILj256ELj13ELNS0_17block_load_methodE3ELS4_3ELS4_3ELNS0_20block_scan_algorithmE0ELj4294967295EEENS1_25partition_config_selectorILNS1_17partition_subalgoE3EjNS0_10empty_typeEbEEZZNS1_14partition_implILS8_3ELb0ES6_jNS0_17counting_iteratorIjlEEPS9_SE_NS0_5tupleIJPjSE_EEENSF_IJSE_SE_EEES9_SG_JZNS1_25segmented_radix_sort_implINS0_14default_configELb1EPKdPdPKlPlN2at6native12_GLOBAL__N_18offset_tEEE10hipError_tPvRmT1_PNSt15iterator_traitsISY_E10value_typeET2_T3_PNSZ_IS14_E10value_typeET4_jRbjT5_S1A_jjP12ihipStream_tbEUljE_EEESV_SW_SX_S14_S18_S1A_T6_T7_T9_mT8_S1C_bDpT10_ENKUlT_T0_E_clISt17integral_constantIbLb1EES1O_IbLb0EEEEDaS1K_S1L_EUlS1K_E_NS1_11comp_targetILNS1_3genE9ELNS1_11target_archE1100ELNS1_3gpuE3ELNS1_3repE0EEENS1_30default_config_static_selectorELNS0_4arch9wavefront6targetE0EEEvSY_.has_recursion, 0
	.set _ZN7rocprim17ROCPRIM_400000_NS6detail17trampoline_kernelINS0_13select_configILj256ELj13ELNS0_17block_load_methodE3ELS4_3ELS4_3ELNS0_20block_scan_algorithmE0ELj4294967295EEENS1_25partition_config_selectorILNS1_17partition_subalgoE3EjNS0_10empty_typeEbEEZZNS1_14partition_implILS8_3ELb0ES6_jNS0_17counting_iteratorIjlEEPS9_SE_NS0_5tupleIJPjSE_EEENSF_IJSE_SE_EEES9_SG_JZNS1_25segmented_radix_sort_implINS0_14default_configELb1EPKdPdPKlPlN2at6native12_GLOBAL__N_18offset_tEEE10hipError_tPvRmT1_PNSt15iterator_traitsISY_E10value_typeET2_T3_PNSZ_IS14_E10value_typeET4_jRbjT5_S1A_jjP12ihipStream_tbEUljE_EEESV_SW_SX_S14_S18_S1A_T6_T7_T9_mT8_S1C_bDpT10_ENKUlT_T0_E_clISt17integral_constantIbLb1EES1O_IbLb0EEEEDaS1K_S1L_EUlS1K_E_NS1_11comp_targetILNS1_3genE9ELNS1_11target_archE1100ELNS1_3gpuE3ELNS1_3repE0EEENS1_30default_config_static_selectorELNS0_4arch9wavefront6targetE0EEEvSY_.has_indirect_call, 0
	.section	.AMDGPU.csdata,"",@progbits
; Kernel info:
; codeLenInByte = 0
; TotalNumSgprs: 0
; NumVgprs: 0
; ScratchSize: 0
; MemoryBound: 0
; FloatMode: 240
; IeeeMode: 1
; LDSByteSize: 0 bytes/workgroup (compile time only)
; SGPRBlocks: 0
; VGPRBlocks: 0
; NumSGPRsForWavesPerEU: 1
; NumVGPRsForWavesPerEU: 1
; NamedBarCnt: 0
; Occupancy: 16
; WaveLimiterHint : 0
; COMPUTE_PGM_RSRC2:SCRATCH_EN: 0
; COMPUTE_PGM_RSRC2:USER_SGPR: 2
; COMPUTE_PGM_RSRC2:TRAP_HANDLER: 0
; COMPUTE_PGM_RSRC2:TGID_X_EN: 1
; COMPUTE_PGM_RSRC2:TGID_Y_EN: 0
; COMPUTE_PGM_RSRC2:TGID_Z_EN: 0
; COMPUTE_PGM_RSRC2:TIDIG_COMP_CNT: 0
	.section	.text._ZN7rocprim17ROCPRIM_400000_NS6detail17trampoline_kernelINS0_13select_configILj256ELj13ELNS0_17block_load_methodE3ELS4_3ELS4_3ELNS0_20block_scan_algorithmE0ELj4294967295EEENS1_25partition_config_selectorILNS1_17partition_subalgoE3EjNS0_10empty_typeEbEEZZNS1_14partition_implILS8_3ELb0ES6_jNS0_17counting_iteratorIjlEEPS9_SE_NS0_5tupleIJPjSE_EEENSF_IJSE_SE_EEES9_SG_JZNS1_25segmented_radix_sort_implINS0_14default_configELb1EPKdPdPKlPlN2at6native12_GLOBAL__N_18offset_tEEE10hipError_tPvRmT1_PNSt15iterator_traitsISY_E10value_typeET2_T3_PNSZ_IS14_E10value_typeET4_jRbjT5_S1A_jjP12ihipStream_tbEUljE_EEESV_SW_SX_S14_S18_S1A_T6_T7_T9_mT8_S1C_bDpT10_ENKUlT_T0_E_clISt17integral_constantIbLb1EES1O_IbLb0EEEEDaS1K_S1L_EUlS1K_E_NS1_11comp_targetILNS1_3genE8ELNS1_11target_archE1030ELNS1_3gpuE2ELNS1_3repE0EEENS1_30default_config_static_selectorELNS0_4arch9wavefront6targetE0EEEvSY_,"axG",@progbits,_ZN7rocprim17ROCPRIM_400000_NS6detail17trampoline_kernelINS0_13select_configILj256ELj13ELNS0_17block_load_methodE3ELS4_3ELS4_3ELNS0_20block_scan_algorithmE0ELj4294967295EEENS1_25partition_config_selectorILNS1_17partition_subalgoE3EjNS0_10empty_typeEbEEZZNS1_14partition_implILS8_3ELb0ES6_jNS0_17counting_iteratorIjlEEPS9_SE_NS0_5tupleIJPjSE_EEENSF_IJSE_SE_EEES9_SG_JZNS1_25segmented_radix_sort_implINS0_14default_configELb1EPKdPdPKlPlN2at6native12_GLOBAL__N_18offset_tEEE10hipError_tPvRmT1_PNSt15iterator_traitsISY_E10value_typeET2_T3_PNSZ_IS14_E10value_typeET4_jRbjT5_S1A_jjP12ihipStream_tbEUljE_EEESV_SW_SX_S14_S18_S1A_T6_T7_T9_mT8_S1C_bDpT10_ENKUlT_T0_E_clISt17integral_constantIbLb1EES1O_IbLb0EEEEDaS1K_S1L_EUlS1K_E_NS1_11comp_targetILNS1_3genE8ELNS1_11target_archE1030ELNS1_3gpuE2ELNS1_3repE0EEENS1_30default_config_static_selectorELNS0_4arch9wavefront6targetE0EEEvSY_,comdat
	.globl	_ZN7rocprim17ROCPRIM_400000_NS6detail17trampoline_kernelINS0_13select_configILj256ELj13ELNS0_17block_load_methodE3ELS4_3ELS4_3ELNS0_20block_scan_algorithmE0ELj4294967295EEENS1_25partition_config_selectorILNS1_17partition_subalgoE3EjNS0_10empty_typeEbEEZZNS1_14partition_implILS8_3ELb0ES6_jNS0_17counting_iteratorIjlEEPS9_SE_NS0_5tupleIJPjSE_EEENSF_IJSE_SE_EEES9_SG_JZNS1_25segmented_radix_sort_implINS0_14default_configELb1EPKdPdPKlPlN2at6native12_GLOBAL__N_18offset_tEEE10hipError_tPvRmT1_PNSt15iterator_traitsISY_E10value_typeET2_T3_PNSZ_IS14_E10value_typeET4_jRbjT5_S1A_jjP12ihipStream_tbEUljE_EEESV_SW_SX_S14_S18_S1A_T6_T7_T9_mT8_S1C_bDpT10_ENKUlT_T0_E_clISt17integral_constantIbLb1EES1O_IbLb0EEEEDaS1K_S1L_EUlS1K_E_NS1_11comp_targetILNS1_3genE8ELNS1_11target_archE1030ELNS1_3gpuE2ELNS1_3repE0EEENS1_30default_config_static_selectorELNS0_4arch9wavefront6targetE0EEEvSY_ ; -- Begin function _ZN7rocprim17ROCPRIM_400000_NS6detail17trampoline_kernelINS0_13select_configILj256ELj13ELNS0_17block_load_methodE3ELS4_3ELS4_3ELNS0_20block_scan_algorithmE0ELj4294967295EEENS1_25partition_config_selectorILNS1_17partition_subalgoE3EjNS0_10empty_typeEbEEZZNS1_14partition_implILS8_3ELb0ES6_jNS0_17counting_iteratorIjlEEPS9_SE_NS0_5tupleIJPjSE_EEENSF_IJSE_SE_EEES9_SG_JZNS1_25segmented_radix_sort_implINS0_14default_configELb1EPKdPdPKlPlN2at6native12_GLOBAL__N_18offset_tEEE10hipError_tPvRmT1_PNSt15iterator_traitsISY_E10value_typeET2_T3_PNSZ_IS14_E10value_typeET4_jRbjT5_S1A_jjP12ihipStream_tbEUljE_EEESV_SW_SX_S14_S18_S1A_T6_T7_T9_mT8_S1C_bDpT10_ENKUlT_T0_E_clISt17integral_constantIbLb1EES1O_IbLb0EEEEDaS1K_S1L_EUlS1K_E_NS1_11comp_targetILNS1_3genE8ELNS1_11target_archE1030ELNS1_3gpuE2ELNS1_3repE0EEENS1_30default_config_static_selectorELNS0_4arch9wavefront6targetE0EEEvSY_
	.p2align	8
	.type	_ZN7rocprim17ROCPRIM_400000_NS6detail17trampoline_kernelINS0_13select_configILj256ELj13ELNS0_17block_load_methodE3ELS4_3ELS4_3ELNS0_20block_scan_algorithmE0ELj4294967295EEENS1_25partition_config_selectorILNS1_17partition_subalgoE3EjNS0_10empty_typeEbEEZZNS1_14partition_implILS8_3ELb0ES6_jNS0_17counting_iteratorIjlEEPS9_SE_NS0_5tupleIJPjSE_EEENSF_IJSE_SE_EEES9_SG_JZNS1_25segmented_radix_sort_implINS0_14default_configELb1EPKdPdPKlPlN2at6native12_GLOBAL__N_18offset_tEEE10hipError_tPvRmT1_PNSt15iterator_traitsISY_E10value_typeET2_T3_PNSZ_IS14_E10value_typeET4_jRbjT5_S1A_jjP12ihipStream_tbEUljE_EEESV_SW_SX_S14_S18_S1A_T6_T7_T9_mT8_S1C_bDpT10_ENKUlT_T0_E_clISt17integral_constantIbLb1EES1O_IbLb0EEEEDaS1K_S1L_EUlS1K_E_NS1_11comp_targetILNS1_3genE8ELNS1_11target_archE1030ELNS1_3gpuE2ELNS1_3repE0EEENS1_30default_config_static_selectorELNS0_4arch9wavefront6targetE0EEEvSY_,@function
_ZN7rocprim17ROCPRIM_400000_NS6detail17trampoline_kernelINS0_13select_configILj256ELj13ELNS0_17block_load_methodE3ELS4_3ELS4_3ELNS0_20block_scan_algorithmE0ELj4294967295EEENS1_25partition_config_selectorILNS1_17partition_subalgoE3EjNS0_10empty_typeEbEEZZNS1_14partition_implILS8_3ELb0ES6_jNS0_17counting_iteratorIjlEEPS9_SE_NS0_5tupleIJPjSE_EEENSF_IJSE_SE_EEES9_SG_JZNS1_25segmented_radix_sort_implINS0_14default_configELb1EPKdPdPKlPlN2at6native12_GLOBAL__N_18offset_tEEE10hipError_tPvRmT1_PNSt15iterator_traitsISY_E10value_typeET2_T3_PNSZ_IS14_E10value_typeET4_jRbjT5_S1A_jjP12ihipStream_tbEUljE_EEESV_SW_SX_S14_S18_S1A_T6_T7_T9_mT8_S1C_bDpT10_ENKUlT_T0_E_clISt17integral_constantIbLb1EES1O_IbLb0EEEEDaS1K_S1L_EUlS1K_E_NS1_11comp_targetILNS1_3genE8ELNS1_11target_archE1030ELNS1_3gpuE2ELNS1_3repE0EEENS1_30default_config_static_selectorELNS0_4arch9wavefront6targetE0EEEvSY_: ; @_ZN7rocprim17ROCPRIM_400000_NS6detail17trampoline_kernelINS0_13select_configILj256ELj13ELNS0_17block_load_methodE3ELS4_3ELS4_3ELNS0_20block_scan_algorithmE0ELj4294967295EEENS1_25partition_config_selectorILNS1_17partition_subalgoE3EjNS0_10empty_typeEbEEZZNS1_14partition_implILS8_3ELb0ES6_jNS0_17counting_iteratorIjlEEPS9_SE_NS0_5tupleIJPjSE_EEENSF_IJSE_SE_EEES9_SG_JZNS1_25segmented_radix_sort_implINS0_14default_configELb1EPKdPdPKlPlN2at6native12_GLOBAL__N_18offset_tEEE10hipError_tPvRmT1_PNSt15iterator_traitsISY_E10value_typeET2_T3_PNSZ_IS14_E10value_typeET4_jRbjT5_S1A_jjP12ihipStream_tbEUljE_EEESV_SW_SX_S14_S18_S1A_T6_T7_T9_mT8_S1C_bDpT10_ENKUlT_T0_E_clISt17integral_constantIbLb1EES1O_IbLb0EEEEDaS1K_S1L_EUlS1K_E_NS1_11comp_targetILNS1_3genE8ELNS1_11target_archE1030ELNS1_3gpuE2ELNS1_3repE0EEENS1_30default_config_static_selectorELNS0_4arch9wavefront6targetE0EEEvSY_
; %bb.0:
	.section	.rodata,"a",@progbits
	.p2align	6, 0x0
	.amdhsa_kernel _ZN7rocprim17ROCPRIM_400000_NS6detail17trampoline_kernelINS0_13select_configILj256ELj13ELNS0_17block_load_methodE3ELS4_3ELS4_3ELNS0_20block_scan_algorithmE0ELj4294967295EEENS1_25partition_config_selectorILNS1_17partition_subalgoE3EjNS0_10empty_typeEbEEZZNS1_14partition_implILS8_3ELb0ES6_jNS0_17counting_iteratorIjlEEPS9_SE_NS0_5tupleIJPjSE_EEENSF_IJSE_SE_EEES9_SG_JZNS1_25segmented_radix_sort_implINS0_14default_configELb1EPKdPdPKlPlN2at6native12_GLOBAL__N_18offset_tEEE10hipError_tPvRmT1_PNSt15iterator_traitsISY_E10value_typeET2_T3_PNSZ_IS14_E10value_typeET4_jRbjT5_S1A_jjP12ihipStream_tbEUljE_EEESV_SW_SX_S14_S18_S1A_T6_T7_T9_mT8_S1C_bDpT10_ENKUlT_T0_E_clISt17integral_constantIbLb1EES1O_IbLb0EEEEDaS1K_S1L_EUlS1K_E_NS1_11comp_targetILNS1_3genE8ELNS1_11target_archE1030ELNS1_3gpuE2ELNS1_3repE0EEENS1_30default_config_static_selectorELNS0_4arch9wavefront6targetE0EEEvSY_
		.amdhsa_group_segment_fixed_size 0
		.amdhsa_private_segment_fixed_size 0
		.amdhsa_kernarg_size 144
		.amdhsa_user_sgpr_count 2
		.amdhsa_user_sgpr_dispatch_ptr 0
		.amdhsa_user_sgpr_queue_ptr 0
		.amdhsa_user_sgpr_kernarg_segment_ptr 1
		.amdhsa_user_sgpr_dispatch_id 0
		.amdhsa_user_sgpr_kernarg_preload_length 0
		.amdhsa_user_sgpr_kernarg_preload_offset 0
		.amdhsa_user_sgpr_private_segment_size 0
		.amdhsa_wavefront_size32 1
		.amdhsa_uses_dynamic_stack 0
		.amdhsa_enable_private_segment 0
		.amdhsa_system_sgpr_workgroup_id_x 1
		.amdhsa_system_sgpr_workgroup_id_y 0
		.amdhsa_system_sgpr_workgroup_id_z 0
		.amdhsa_system_sgpr_workgroup_info 0
		.amdhsa_system_vgpr_workitem_id 0
		.amdhsa_next_free_vgpr 1
		.amdhsa_next_free_sgpr 1
		.amdhsa_named_barrier_count 0
		.amdhsa_reserve_vcc 0
		.amdhsa_float_round_mode_32 0
		.amdhsa_float_round_mode_16_64 0
		.amdhsa_float_denorm_mode_32 3
		.amdhsa_float_denorm_mode_16_64 3
		.amdhsa_fp16_overflow 0
		.amdhsa_memory_ordered 1
		.amdhsa_forward_progress 1
		.amdhsa_inst_pref_size 0
		.amdhsa_round_robin_scheduling 0
		.amdhsa_exception_fp_ieee_invalid_op 0
		.amdhsa_exception_fp_denorm_src 0
		.amdhsa_exception_fp_ieee_div_zero 0
		.amdhsa_exception_fp_ieee_overflow 0
		.amdhsa_exception_fp_ieee_underflow 0
		.amdhsa_exception_fp_ieee_inexact 0
		.amdhsa_exception_int_div_zero 0
	.end_amdhsa_kernel
	.section	.text._ZN7rocprim17ROCPRIM_400000_NS6detail17trampoline_kernelINS0_13select_configILj256ELj13ELNS0_17block_load_methodE3ELS4_3ELS4_3ELNS0_20block_scan_algorithmE0ELj4294967295EEENS1_25partition_config_selectorILNS1_17partition_subalgoE3EjNS0_10empty_typeEbEEZZNS1_14partition_implILS8_3ELb0ES6_jNS0_17counting_iteratorIjlEEPS9_SE_NS0_5tupleIJPjSE_EEENSF_IJSE_SE_EEES9_SG_JZNS1_25segmented_radix_sort_implINS0_14default_configELb1EPKdPdPKlPlN2at6native12_GLOBAL__N_18offset_tEEE10hipError_tPvRmT1_PNSt15iterator_traitsISY_E10value_typeET2_T3_PNSZ_IS14_E10value_typeET4_jRbjT5_S1A_jjP12ihipStream_tbEUljE_EEESV_SW_SX_S14_S18_S1A_T6_T7_T9_mT8_S1C_bDpT10_ENKUlT_T0_E_clISt17integral_constantIbLb1EES1O_IbLb0EEEEDaS1K_S1L_EUlS1K_E_NS1_11comp_targetILNS1_3genE8ELNS1_11target_archE1030ELNS1_3gpuE2ELNS1_3repE0EEENS1_30default_config_static_selectorELNS0_4arch9wavefront6targetE0EEEvSY_,"axG",@progbits,_ZN7rocprim17ROCPRIM_400000_NS6detail17trampoline_kernelINS0_13select_configILj256ELj13ELNS0_17block_load_methodE3ELS4_3ELS4_3ELNS0_20block_scan_algorithmE0ELj4294967295EEENS1_25partition_config_selectorILNS1_17partition_subalgoE3EjNS0_10empty_typeEbEEZZNS1_14partition_implILS8_3ELb0ES6_jNS0_17counting_iteratorIjlEEPS9_SE_NS0_5tupleIJPjSE_EEENSF_IJSE_SE_EEES9_SG_JZNS1_25segmented_radix_sort_implINS0_14default_configELb1EPKdPdPKlPlN2at6native12_GLOBAL__N_18offset_tEEE10hipError_tPvRmT1_PNSt15iterator_traitsISY_E10value_typeET2_T3_PNSZ_IS14_E10value_typeET4_jRbjT5_S1A_jjP12ihipStream_tbEUljE_EEESV_SW_SX_S14_S18_S1A_T6_T7_T9_mT8_S1C_bDpT10_ENKUlT_T0_E_clISt17integral_constantIbLb1EES1O_IbLb0EEEEDaS1K_S1L_EUlS1K_E_NS1_11comp_targetILNS1_3genE8ELNS1_11target_archE1030ELNS1_3gpuE2ELNS1_3repE0EEENS1_30default_config_static_selectorELNS0_4arch9wavefront6targetE0EEEvSY_,comdat
.Lfunc_end1103:
	.size	_ZN7rocprim17ROCPRIM_400000_NS6detail17trampoline_kernelINS0_13select_configILj256ELj13ELNS0_17block_load_methodE3ELS4_3ELS4_3ELNS0_20block_scan_algorithmE0ELj4294967295EEENS1_25partition_config_selectorILNS1_17partition_subalgoE3EjNS0_10empty_typeEbEEZZNS1_14partition_implILS8_3ELb0ES6_jNS0_17counting_iteratorIjlEEPS9_SE_NS0_5tupleIJPjSE_EEENSF_IJSE_SE_EEES9_SG_JZNS1_25segmented_radix_sort_implINS0_14default_configELb1EPKdPdPKlPlN2at6native12_GLOBAL__N_18offset_tEEE10hipError_tPvRmT1_PNSt15iterator_traitsISY_E10value_typeET2_T3_PNSZ_IS14_E10value_typeET4_jRbjT5_S1A_jjP12ihipStream_tbEUljE_EEESV_SW_SX_S14_S18_S1A_T6_T7_T9_mT8_S1C_bDpT10_ENKUlT_T0_E_clISt17integral_constantIbLb1EES1O_IbLb0EEEEDaS1K_S1L_EUlS1K_E_NS1_11comp_targetILNS1_3genE8ELNS1_11target_archE1030ELNS1_3gpuE2ELNS1_3repE0EEENS1_30default_config_static_selectorELNS0_4arch9wavefront6targetE0EEEvSY_, .Lfunc_end1103-_ZN7rocprim17ROCPRIM_400000_NS6detail17trampoline_kernelINS0_13select_configILj256ELj13ELNS0_17block_load_methodE3ELS4_3ELS4_3ELNS0_20block_scan_algorithmE0ELj4294967295EEENS1_25partition_config_selectorILNS1_17partition_subalgoE3EjNS0_10empty_typeEbEEZZNS1_14partition_implILS8_3ELb0ES6_jNS0_17counting_iteratorIjlEEPS9_SE_NS0_5tupleIJPjSE_EEENSF_IJSE_SE_EEES9_SG_JZNS1_25segmented_radix_sort_implINS0_14default_configELb1EPKdPdPKlPlN2at6native12_GLOBAL__N_18offset_tEEE10hipError_tPvRmT1_PNSt15iterator_traitsISY_E10value_typeET2_T3_PNSZ_IS14_E10value_typeET4_jRbjT5_S1A_jjP12ihipStream_tbEUljE_EEESV_SW_SX_S14_S18_S1A_T6_T7_T9_mT8_S1C_bDpT10_ENKUlT_T0_E_clISt17integral_constantIbLb1EES1O_IbLb0EEEEDaS1K_S1L_EUlS1K_E_NS1_11comp_targetILNS1_3genE8ELNS1_11target_archE1030ELNS1_3gpuE2ELNS1_3repE0EEENS1_30default_config_static_selectorELNS0_4arch9wavefront6targetE0EEEvSY_
                                        ; -- End function
	.set _ZN7rocprim17ROCPRIM_400000_NS6detail17trampoline_kernelINS0_13select_configILj256ELj13ELNS0_17block_load_methodE3ELS4_3ELS4_3ELNS0_20block_scan_algorithmE0ELj4294967295EEENS1_25partition_config_selectorILNS1_17partition_subalgoE3EjNS0_10empty_typeEbEEZZNS1_14partition_implILS8_3ELb0ES6_jNS0_17counting_iteratorIjlEEPS9_SE_NS0_5tupleIJPjSE_EEENSF_IJSE_SE_EEES9_SG_JZNS1_25segmented_radix_sort_implINS0_14default_configELb1EPKdPdPKlPlN2at6native12_GLOBAL__N_18offset_tEEE10hipError_tPvRmT1_PNSt15iterator_traitsISY_E10value_typeET2_T3_PNSZ_IS14_E10value_typeET4_jRbjT5_S1A_jjP12ihipStream_tbEUljE_EEESV_SW_SX_S14_S18_S1A_T6_T7_T9_mT8_S1C_bDpT10_ENKUlT_T0_E_clISt17integral_constantIbLb1EES1O_IbLb0EEEEDaS1K_S1L_EUlS1K_E_NS1_11comp_targetILNS1_3genE8ELNS1_11target_archE1030ELNS1_3gpuE2ELNS1_3repE0EEENS1_30default_config_static_selectorELNS0_4arch9wavefront6targetE0EEEvSY_.num_vgpr, 0
	.set _ZN7rocprim17ROCPRIM_400000_NS6detail17trampoline_kernelINS0_13select_configILj256ELj13ELNS0_17block_load_methodE3ELS4_3ELS4_3ELNS0_20block_scan_algorithmE0ELj4294967295EEENS1_25partition_config_selectorILNS1_17partition_subalgoE3EjNS0_10empty_typeEbEEZZNS1_14partition_implILS8_3ELb0ES6_jNS0_17counting_iteratorIjlEEPS9_SE_NS0_5tupleIJPjSE_EEENSF_IJSE_SE_EEES9_SG_JZNS1_25segmented_radix_sort_implINS0_14default_configELb1EPKdPdPKlPlN2at6native12_GLOBAL__N_18offset_tEEE10hipError_tPvRmT1_PNSt15iterator_traitsISY_E10value_typeET2_T3_PNSZ_IS14_E10value_typeET4_jRbjT5_S1A_jjP12ihipStream_tbEUljE_EEESV_SW_SX_S14_S18_S1A_T6_T7_T9_mT8_S1C_bDpT10_ENKUlT_T0_E_clISt17integral_constantIbLb1EES1O_IbLb0EEEEDaS1K_S1L_EUlS1K_E_NS1_11comp_targetILNS1_3genE8ELNS1_11target_archE1030ELNS1_3gpuE2ELNS1_3repE0EEENS1_30default_config_static_selectorELNS0_4arch9wavefront6targetE0EEEvSY_.num_agpr, 0
	.set _ZN7rocprim17ROCPRIM_400000_NS6detail17trampoline_kernelINS0_13select_configILj256ELj13ELNS0_17block_load_methodE3ELS4_3ELS4_3ELNS0_20block_scan_algorithmE0ELj4294967295EEENS1_25partition_config_selectorILNS1_17partition_subalgoE3EjNS0_10empty_typeEbEEZZNS1_14partition_implILS8_3ELb0ES6_jNS0_17counting_iteratorIjlEEPS9_SE_NS0_5tupleIJPjSE_EEENSF_IJSE_SE_EEES9_SG_JZNS1_25segmented_radix_sort_implINS0_14default_configELb1EPKdPdPKlPlN2at6native12_GLOBAL__N_18offset_tEEE10hipError_tPvRmT1_PNSt15iterator_traitsISY_E10value_typeET2_T3_PNSZ_IS14_E10value_typeET4_jRbjT5_S1A_jjP12ihipStream_tbEUljE_EEESV_SW_SX_S14_S18_S1A_T6_T7_T9_mT8_S1C_bDpT10_ENKUlT_T0_E_clISt17integral_constantIbLb1EES1O_IbLb0EEEEDaS1K_S1L_EUlS1K_E_NS1_11comp_targetILNS1_3genE8ELNS1_11target_archE1030ELNS1_3gpuE2ELNS1_3repE0EEENS1_30default_config_static_selectorELNS0_4arch9wavefront6targetE0EEEvSY_.numbered_sgpr, 0
	.set _ZN7rocprim17ROCPRIM_400000_NS6detail17trampoline_kernelINS0_13select_configILj256ELj13ELNS0_17block_load_methodE3ELS4_3ELS4_3ELNS0_20block_scan_algorithmE0ELj4294967295EEENS1_25partition_config_selectorILNS1_17partition_subalgoE3EjNS0_10empty_typeEbEEZZNS1_14partition_implILS8_3ELb0ES6_jNS0_17counting_iteratorIjlEEPS9_SE_NS0_5tupleIJPjSE_EEENSF_IJSE_SE_EEES9_SG_JZNS1_25segmented_radix_sort_implINS0_14default_configELb1EPKdPdPKlPlN2at6native12_GLOBAL__N_18offset_tEEE10hipError_tPvRmT1_PNSt15iterator_traitsISY_E10value_typeET2_T3_PNSZ_IS14_E10value_typeET4_jRbjT5_S1A_jjP12ihipStream_tbEUljE_EEESV_SW_SX_S14_S18_S1A_T6_T7_T9_mT8_S1C_bDpT10_ENKUlT_T0_E_clISt17integral_constantIbLb1EES1O_IbLb0EEEEDaS1K_S1L_EUlS1K_E_NS1_11comp_targetILNS1_3genE8ELNS1_11target_archE1030ELNS1_3gpuE2ELNS1_3repE0EEENS1_30default_config_static_selectorELNS0_4arch9wavefront6targetE0EEEvSY_.num_named_barrier, 0
	.set _ZN7rocprim17ROCPRIM_400000_NS6detail17trampoline_kernelINS0_13select_configILj256ELj13ELNS0_17block_load_methodE3ELS4_3ELS4_3ELNS0_20block_scan_algorithmE0ELj4294967295EEENS1_25partition_config_selectorILNS1_17partition_subalgoE3EjNS0_10empty_typeEbEEZZNS1_14partition_implILS8_3ELb0ES6_jNS0_17counting_iteratorIjlEEPS9_SE_NS0_5tupleIJPjSE_EEENSF_IJSE_SE_EEES9_SG_JZNS1_25segmented_radix_sort_implINS0_14default_configELb1EPKdPdPKlPlN2at6native12_GLOBAL__N_18offset_tEEE10hipError_tPvRmT1_PNSt15iterator_traitsISY_E10value_typeET2_T3_PNSZ_IS14_E10value_typeET4_jRbjT5_S1A_jjP12ihipStream_tbEUljE_EEESV_SW_SX_S14_S18_S1A_T6_T7_T9_mT8_S1C_bDpT10_ENKUlT_T0_E_clISt17integral_constantIbLb1EES1O_IbLb0EEEEDaS1K_S1L_EUlS1K_E_NS1_11comp_targetILNS1_3genE8ELNS1_11target_archE1030ELNS1_3gpuE2ELNS1_3repE0EEENS1_30default_config_static_selectorELNS0_4arch9wavefront6targetE0EEEvSY_.private_seg_size, 0
	.set _ZN7rocprim17ROCPRIM_400000_NS6detail17trampoline_kernelINS0_13select_configILj256ELj13ELNS0_17block_load_methodE3ELS4_3ELS4_3ELNS0_20block_scan_algorithmE0ELj4294967295EEENS1_25partition_config_selectorILNS1_17partition_subalgoE3EjNS0_10empty_typeEbEEZZNS1_14partition_implILS8_3ELb0ES6_jNS0_17counting_iteratorIjlEEPS9_SE_NS0_5tupleIJPjSE_EEENSF_IJSE_SE_EEES9_SG_JZNS1_25segmented_radix_sort_implINS0_14default_configELb1EPKdPdPKlPlN2at6native12_GLOBAL__N_18offset_tEEE10hipError_tPvRmT1_PNSt15iterator_traitsISY_E10value_typeET2_T3_PNSZ_IS14_E10value_typeET4_jRbjT5_S1A_jjP12ihipStream_tbEUljE_EEESV_SW_SX_S14_S18_S1A_T6_T7_T9_mT8_S1C_bDpT10_ENKUlT_T0_E_clISt17integral_constantIbLb1EES1O_IbLb0EEEEDaS1K_S1L_EUlS1K_E_NS1_11comp_targetILNS1_3genE8ELNS1_11target_archE1030ELNS1_3gpuE2ELNS1_3repE0EEENS1_30default_config_static_selectorELNS0_4arch9wavefront6targetE0EEEvSY_.uses_vcc, 0
	.set _ZN7rocprim17ROCPRIM_400000_NS6detail17trampoline_kernelINS0_13select_configILj256ELj13ELNS0_17block_load_methodE3ELS4_3ELS4_3ELNS0_20block_scan_algorithmE0ELj4294967295EEENS1_25partition_config_selectorILNS1_17partition_subalgoE3EjNS0_10empty_typeEbEEZZNS1_14partition_implILS8_3ELb0ES6_jNS0_17counting_iteratorIjlEEPS9_SE_NS0_5tupleIJPjSE_EEENSF_IJSE_SE_EEES9_SG_JZNS1_25segmented_radix_sort_implINS0_14default_configELb1EPKdPdPKlPlN2at6native12_GLOBAL__N_18offset_tEEE10hipError_tPvRmT1_PNSt15iterator_traitsISY_E10value_typeET2_T3_PNSZ_IS14_E10value_typeET4_jRbjT5_S1A_jjP12ihipStream_tbEUljE_EEESV_SW_SX_S14_S18_S1A_T6_T7_T9_mT8_S1C_bDpT10_ENKUlT_T0_E_clISt17integral_constantIbLb1EES1O_IbLb0EEEEDaS1K_S1L_EUlS1K_E_NS1_11comp_targetILNS1_3genE8ELNS1_11target_archE1030ELNS1_3gpuE2ELNS1_3repE0EEENS1_30default_config_static_selectorELNS0_4arch9wavefront6targetE0EEEvSY_.uses_flat_scratch, 0
	.set _ZN7rocprim17ROCPRIM_400000_NS6detail17trampoline_kernelINS0_13select_configILj256ELj13ELNS0_17block_load_methodE3ELS4_3ELS4_3ELNS0_20block_scan_algorithmE0ELj4294967295EEENS1_25partition_config_selectorILNS1_17partition_subalgoE3EjNS0_10empty_typeEbEEZZNS1_14partition_implILS8_3ELb0ES6_jNS0_17counting_iteratorIjlEEPS9_SE_NS0_5tupleIJPjSE_EEENSF_IJSE_SE_EEES9_SG_JZNS1_25segmented_radix_sort_implINS0_14default_configELb1EPKdPdPKlPlN2at6native12_GLOBAL__N_18offset_tEEE10hipError_tPvRmT1_PNSt15iterator_traitsISY_E10value_typeET2_T3_PNSZ_IS14_E10value_typeET4_jRbjT5_S1A_jjP12ihipStream_tbEUljE_EEESV_SW_SX_S14_S18_S1A_T6_T7_T9_mT8_S1C_bDpT10_ENKUlT_T0_E_clISt17integral_constantIbLb1EES1O_IbLb0EEEEDaS1K_S1L_EUlS1K_E_NS1_11comp_targetILNS1_3genE8ELNS1_11target_archE1030ELNS1_3gpuE2ELNS1_3repE0EEENS1_30default_config_static_selectorELNS0_4arch9wavefront6targetE0EEEvSY_.has_dyn_sized_stack, 0
	.set _ZN7rocprim17ROCPRIM_400000_NS6detail17trampoline_kernelINS0_13select_configILj256ELj13ELNS0_17block_load_methodE3ELS4_3ELS4_3ELNS0_20block_scan_algorithmE0ELj4294967295EEENS1_25partition_config_selectorILNS1_17partition_subalgoE3EjNS0_10empty_typeEbEEZZNS1_14partition_implILS8_3ELb0ES6_jNS0_17counting_iteratorIjlEEPS9_SE_NS0_5tupleIJPjSE_EEENSF_IJSE_SE_EEES9_SG_JZNS1_25segmented_radix_sort_implINS0_14default_configELb1EPKdPdPKlPlN2at6native12_GLOBAL__N_18offset_tEEE10hipError_tPvRmT1_PNSt15iterator_traitsISY_E10value_typeET2_T3_PNSZ_IS14_E10value_typeET4_jRbjT5_S1A_jjP12ihipStream_tbEUljE_EEESV_SW_SX_S14_S18_S1A_T6_T7_T9_mT8_S1C_bDpT10_ENKUlT_T0_E_clISt17integral_constantIbLb1EES1O_IbLb0EEEEDaS1K_S1L_EUlS1K_E_NS1_11comp_targetILNS1_3genE8ELNS1_11target_archE1030ELNS1_3gpuE2ELNS1_3repE0EEENS1_30default_config_static_selectorELNS0_4arch9wavefront6targetE0EEEvSY_.has_recursion, 0
	.set _ZN7rocprim17ROCPRIM_400000_NS6detail17trampoline_kernelINS0_13select_configILj256ELj13ELNS0_17block_load_methodE3ELS4_3ELS4_3ELNS0_20block_scan_algorithmE0ELj4294967295EEENS1_25partition_config_selectorILNS1_17partition_subalgoE3EjNS0_10empty_typeEbEEZZNS1_14partition_implILS8_3ELb0ES6_jNS0_17counting_iteratorIjlEEPS9_SE_NS0_5tupleIJPjSE_EEENSF_IJSE_SE_EEES9_SG_JZNS1_25segmented_radix_sort_implINS0_14default_configELb1EPKdPdPKlPlN2at6native12_GLOBAL__N_18offset_tEEE10hipError_tPvRmT1_PNSt15iterator_traitsISY_E10value_typeET2_T3_PNSZ_IS14_E10value_typeET4_jRbjT5_S1A_jjP12ihipStream_tbEUljE_EEESV_SW_SX_S14_S18_S1A_T6_T7_T9_mT8_S1C_bDpT10_ENKUlT_T0_E_clISt17integral_constantIbLb1EES1O_IbLb0EEEEDaS1K_S1L_EUlS1K_E_NS1_11comp_targetILNS1_3genE8ELNS1_11target_archE1030ELNS1_3gpuE2ELNS1_3repE0EEENS1_30default_config_static_selectorELNS0_4arch9wavefront6targetE0EEEvSY_.has_indirect_call, 0
	.section	.AMDGPU.csdata,"",@progbits
; Kernel info:
; codeLenInByte = 0
; TotalNumSgprs: 0
; NumVgprs: 0
; ScratchSize: 0
; MemoryBound: 0
; FloatMode: 240
; IeeeMode: 1
; LDSByteSize: 0 bytes/workgroup (compile time only)
; SGPRBlocks: 0
; VGPRBlocks: 0
; NumSGPRsForWavesPerEU: 1
; NumVGPRsForWavesPerEU: 1
; NamedBarCnt: 0
; Occupancy: 16
; WaveLimiterHint : 0
; COMPUTE_PGM_RSRC2:SCRATCH_EN: 0
; COMPUTE_PGM_RSRC2:USER_SGPR: 2
; COMPUTE_PGM_RSRC2:TRAP_HANDLER: 0
; COMPUTE_PGM_RSRC2:TGID_X_EN: 1
; COMPUTE_PGM_RSRC2:TGID_Y_EN: 0
; COMPUTE_PGM_RSRC2:TGID_Z_EN: 0
; COMPUTE_PGM_RSRC2:TIDIG_COMP_CNT: 0
	.section	.text._ZN7rocprim17ROCPRIM_400000_NS6detail17trampoline_kernelINS0_13select_configILj256ELj13ELNS0_17block_load_methodE3ELS4_3ELS4_3ELNS0_20block_scan_algorithmE0ELj4294967295EEENS1_25partition_config_selectorILNS1_17partition_subalgoE3EjNS0_10empty_typeEbEEZZNS1_14partition_implILS8_3ELb0ES6_jNS0_17counting_iteratorIjlEEPS9_SE_NS0_5tupleIJPjSE_EEENSF_IJSE_SE_EEES9_SG_JZNS1_25segmented_radix_sort_implINS0_14default_configELb1EPKdPdPKlPlN2at6native12_GLOBAL__N_18offset_tEEE10hipError_tPvRmT1_PNSt15iterator_traitsISY_E10value_typeET2_T3_PNSZ_IS14_E10value_typeET4_jRbjT5_S1A_jjP12ihipStream_tbEUljE_EEESV_SW_SX_S14_S18_S1A_T6_T7_T9_mT8_S1C_bDpT10_ENKUlT_T0_E_clISt17integral_constantIbLb0EES1O_IbLb1EEEEDaS1K_S1L_EUlS1K_E_NS1_11comp_targetILNS1_3genE0ELNS1_11target_archE4294967295ELNS1_3gpuE0ELNS1_3repE0EEENS1_30default_config_static_selectorELNS0_4arch9wavefront6targetE0EEEvSY_,"axG",@progbits,_ZN7rocprim17ROCPRIM_400000_NS6detail17trampoline_kernelINS0_13select_configILj256ELj13ELNS0_17block_load_methodE3ELS4_3ELS4_3ELNS0_20block_scan_algorithmE0ELj4294967295EEENS1_25partition_config_selectorILNS1_17partition_subalgoE3EjNS0_10empty_typeEbEEZZNS1_14partition_implILS8_3ELb0ES6_jNS0_17counting_iteratorIjlEEPS9_SE_NS0_5tupleIJPjSE_EEENSF_IJSE_SE_EEES9_SG_JZNS1_25segmented_radix_sort_implINS0_14default_configELb1EPKdPdPKlPlN2at6native12_GLOBAL__N_18offset_tEEE10hipError_tPvRmT1_PNSt15iterator_traitsISY_E10value_typeET2_T3_PNSZ_IS14_E10value_typeET4_jRbjT5_S1A_jjP12ihipStream_tbEUljE_EEESV_SW_SX_S14_S18_S1A_T6_T7_T9_mT8_S1C_bDpT10_ENKUlT_T0_E_clISt17integral_constantIbLb0EES1O_IbLb1EEEEDaS1K_S1L_EUlS1K_E_NS1_11comp_targetILNS1_3genE0ELNS1_11target_archE4294967295ELNS1_3gpuE0ELNS1_3repE0EEENS1_30default_config_static_selectorELNS0_4arch9wavefront6targetE0EEEvSY_,comdat
	.globl	_ZN7rocprim17ROCPRIM_400000_NS6detail17trampoline_kernelINS0_13select_configILj256ELj13ELNS0_17block_load_methodE3ELS4_3ELS4_3ELNS0_20block_scan_algorithmE0ELj4294967295EEENS1_25partition_config_selectorILNS1_17partition_subalgoE3EjNS0_10empty_typeEbEEZZNS1_14partition_implILS8_3ELb0ES6_jNS0_17counting_iteratorIjlEEPS9_SE_NS0_5tupleIJPjSE_EEENSF_IJSE_SE_EEES9_SG_JZNS1_25segmented_radix_sort_implINS0_14default_configELb1EPKdPdPKlPlN2at6native12_GLOBAL__N_18offset_tEEE10hipError_tPvRmT1_PNSt15iterator_traitsISY_E10value_typeET2_T3_PNSZ_IS14_E10value_typeET4_jRbjT5_S1A_jjP12ihipStream_tbEUljE_EEESV_SW_SX_S14_S18_S1A_T6_T7_T9_mT8_S1C_bDpT10_ENKUlT_T0_E_clISt17integral_constantIbLb0EES1O_IbLb1EEEEDaS1K_S1L_EUlS1K_E_NS1_11comp_targetILNS1_3genE0ELNS1_11target_archE4294967295ELNS1_3gpuE0ELNS1_3repE0EEENS1_30default_config_static_selectorELNS0_4arch9wavefront6targetE0EEEvSY_ ; -- Begin function _ZN7rocprim17ROCPRIM_400000_NS6detail17trampoline_kernelINS0_13select_configILj256ELj13ELNS0_17block_load_methodE3ELS4_3ELS4_3ELNS0_20block_scan_algorithmE0ELj4294967295EEENS1_25partition_config_selectorILNS1_17partition_subalgoE3EjNS0_10empty_typeEbEEZZNS1_14partition_implILS8_3ELb0ES6_jNS0_17counting_iteratorIjlEEPS9_SE_NS0_5tupleIJPjSE_EEENSF_IJSE_SE_EEES9_SG_JZNS1_25segmented_radix_sort_implINS0_14default_configELb1EPKdPdPKlPlN2at6native12_GLOBAL__N_18offset_tEEE10hipError_tPvRmT1_PNSt15iterator_traitsISY_E10value_typeET2_T3_PNSZ_IS14_E10value_typeET4_jRbjT5_S1A_jjP12ihipStream_tbEUljE_EEESV_SW_SX_S14_S18_S1A_T6_T7_T9_mT8_S1C_bDpT10_ENKUlT_T0_E_clISt17integral_constantIbLb0EES1O_IbLb1EEEEDaS1K_S1L_EUlS1K_E_NS1_11comp_targetILNS1_3genE0ELNS1_11target_archE4294967295ELNS1_3gpuE0ELNS1_3repE0EEENS1_30default_config_static_selectorELNS0_4arch9wavefront6targetE0EEEvSY_
	.p2align	8
	.type	_ZN7rocprim17ROCPRIM_400000_NS6detail17trampoline_kernelINS0_13select_configILj256ELj13ELNS0_17block_load_methodE3ELS4_3ELS4_3ELNS0_20block_scan_algorithmE0ELj4294967295EEENS1_25partition_config_selectorILNS1_17partition_subalgoE3EjNS0_10empty_typeEbEEZZNS1_14partition_implILS8_3ELb0ES6_jNS0_17counting_iteratorIjlEEPS9_SE_NS0_5tupleIJPjSE_EEENSF_IJSE_SE_EEES9_SG_JZNS1_25segmented_radix_sort_implINS0_14default_configELb1EPKdPdPKlPlN2at6native12_GLOBAL__N_18offset_tEEE10hipError_tPvRmT1_PNSt15iterator_traitsISY_E10value_typeET2_T3_PNSZ_IS14_E10value_typeET4_jRbjT5_S1A_jjP12ihipStream_tbEUljE_EEESV_SW_SX_S14_S18_S1A_T6_T7_T9_mT8_S1C_bDpT10_ENKUlT_T0_E_clISt17integral_constantIbLb0EES1O_IbLb1EEEEDaS1K_S1L_EUlS1K_E_NS1_11comp_targetILNS1_3genE0ELNS1_11target_archE4294967295ELNS1_3gpuE0ELNS1_3repE0EEENS1_30default_config_static_selectorELNS0_4arch9wavefront6targetE0EEEvSY_,@function
_ZN7rocprim17ROCPRIM_400000_NS6detail17trampoline_kernelINS0_13select_configILj256ELj13ELNS0_17block_load_methodE3ELS4_3ELS4_3ELNS0_20block_scan_algorithmE0ELj4294967295EEENS1_25partition_config_selectorILNS1_17partition_subalgoE3EjNS0_10empty_typeEbEEZZNS1_14partition_implILS8_3ELb0ES6_jNS0_17counting_iteratorIjlEEPS9_SE_NS0_5tupleIJPjSE_EEENSF_IJSE_SE_EEES9_SG_JZNS1_25segmented_radix_sort_implINS0_14default_configELb1EPKdPdPKlPlN2at6native12_GLOBAL__N_18offset_tEEE10hipError_tPvRmT1_PNSt15iterator_traitsISY_E10value_typeET2_T3_PNSZ_IS14_E10value_typeET4_jRbjT5_S1A_jjP12ihipStream_tbEUljE_EEESV_SW_SX_S14_S18_S1A_T6_T7_T9_mT8_S1C_bDpT10_ENKUlT_T0_E_clISt17integral_constantIbLb0EES1O_IbLb1EEEEDaS1K_S1L_EUlS1K_E_NS1_11comp_targetILNS1_3genE0ELNS1_11target_archE4294967295ELNS1_3gpuE0ELNS1_3repE0EEENS1_30default_config_static_selectorELNS0_4arch9wavefront6targetE0EEEvSY_: ; @_ZN7rocprim17ROCPRIM_400000_NS6detail17trampoline_kernelINS0_13select_configILj256ELj13ELNS0_17block_load_methodE3ELS4_3ELS4_3ELNS0_20block_scan_algorithmE0ELj4294967295EEENS1_25partition_config_selectorILNS1_17partition_subalgoE3EjNS0_10empty_typeEbEEZZNS1_14partition_implILS8_3ELb0ES6_jNS0_17counting_iteratorIjlEEPS9_SE_NS0_5tupleIJPjSE_EEENSF_IJSE_SE_EEES9_SG_JZNS1_25segmented_radix_sort_implINS0_14default_configELb1EPKdPdPKlPlN2at6native12_GLOBAL__N_18offset_tEEE10hipError_tPvRmT1_PNSt15iterator_traitsISY_E10value_typeET2_T3_PNSZ_IS14_E10value_typeET4_jRbjT5_S1A_jjP12ihipStream_tbEUljE_EEESV_SW_SX_S14_S18_S1A_T6_T7_T9_mT8_S1C_bDpT10_ENKUlT_T0_E_clISt17integral_constantIbLb0EES1O_IbLb1EEEEDaS1K_S1L_EUlS1K_E_NS1_11comp_targetILNS1_3genE0ELNS1_11target_archE4294967295ELNS1_3gpuE0ELNS1_3repE0EEENS1_30default_config_static_selectorELNS0_4arch9wavefront6targetE0EEEvSY_
; %bb.0:
	s_clause 0x5
	s_load_b64 s[16:17], s[0:1], 0x10
	s_load_b128 s[12:15], s[0:1], 0x48
	s_load_b64 s[18:19], s[0:1], 0x58
	s_load_b64 s[20:21], s[0:1], 0x68
	s_load_b32 s3, s[0:1], 0x90
	s_load_b128 s[4:7], s[0:1], 0x80
	v_cmp_eq_u32_e64 s2, 0, v0
	s_and_saveexec_b32 s8, s2
	s_cbranch_execz .LBB1104_4
; %bb.1:
	s_mov_b32 s10, exec_lo
	s_mov_b32 s9, exec_lo
	v_mbcnt_lo_u32_b32 v1, s10, 0
                                        ; implicit-def: $vgpr2
	s_delay_alu instid0(VALU_DEP_1)
	v_cmpx_eq_u32_e32 0, v1
	s_cbranch_execz .LBB1104_3
; %bb.2:
	s_load_b64 s[22:23], s[0:1], 0x78
	s_bcnt1_i32_b32 s10, s10
	s_delay_alu instid0(SALU_CYCLE_1)
	v_dual_mov_b32 v2, 0 :: v_dual_mov_b32 v3, s10
	s_wait_xcnt 0x0
	s_wait_kmcnt 0x0
	global_atomic_add_u32 v2, v2, v3, s[22:23] th:TH_ATOMIC_RETURN scope:SCOPE_DEV
.LBB1104_3:
	s_wait_xcnt 0x0
	s_or_b32 exec_lo, exec_lo, s9
	s_wait_loadcnt 0x0
	v_readfirstlane_b32 s9, v2
	s_delay_alu instid0(VALU_DEP_1)
	v_dual_mov_b32 v2, 0 :: v_dual_add_nc_u32 v1, s9, v1
	ds_store_b32 v2, v1
.LBB1104_4:
	s_or_b32 exec_lo, exec_lo, s8
	v_dual_mov_b32 v1, 0 :: v_dual_lshlrev_b32 v19, 2, v0
	s_clause 0x2
	s_load_b32 s8, s[0:1], 0x8
	s_load_b64 s[10:11], s[0:1], 0x28
	s_load_b32 s9, s[0:1], 0x70
	s_wait_dscnt 0x0
	s_barrier_signal -1
	s_barrier_wait -1
	ds_load_b32 v4, v1
	s_wait_dscnt 0x0
	s_barrier_signal -1
	s_barrier_wait -1
	s_wait_kmcnt 0x0
	global_load_b64 v[42:43], v1, s[14:15]
	s_mov_b32 s1, 0
	s_add_co_i32 s8, s8, s16
	s_mul_i32 s0, s9, 0xd00
	s_add_co_i32 s9, s9, -1
	s_wait_xcnt 0x0
	s_add_nc_u64 s[14:15], s[16:17], s[0:1]
	s_add_co_i32 s0, s0, s16
	v_cmp_gt_u64_e64 s1, s[18:19], s[14:15]
	v_readfirstlane_b32 s23, v4
	s_sub_co_i32 s22, s18, s0
	v_cmp_ne_u32_e32 vcc_lo, s9, v4
	s_addk_co_i32 s22, 0xd00
	s_mov_b32 s15, -1
	s_cmp_eq_u32 s23, s9
	s_mul_i32 s14, s23, 0xd00
	s_cselect_b32 s9, -1, 0
	s_or_b32 s1, s1, vcc_lo
	s_delay_alu instid0(SALU_CYCLE_1)
	s_and_b32 vcc_lo, exec_lo, s1
	s_cbranch_vccz .LBB1104_6
; %bb.5:
	v_add3_u32 v1, s14, s8, v0
	s_mov_b32 s15, 0
	s_delay_alu instid0(VALU_DEP_1)
	v_add_nc_u32_e32 v2, 0x100, v1
	v_add_nc_u32_e32 v3, 0x200, v1
	v_add_nc_u32_e32 v5, 0x300, v1
	v_add_nc_u32_e32 v6, 0x400, v1
	v_add_nc_u32_e32 v7, 0x500, v1
	v_add_nc_u32_e32 v8, 0x600, v1
	v_add_nc_u32_e32 v9, 0x700, v1
	v_add_nc_u32_e32 v10, 0x800, v1
	v_add_nc_u32_e32 v11, 0x900, v1
	v_add_nc_u32_e32 v12, 0xa00, v1
	v_add_nc_u32_e32 v13, 0xb00, v1
	v_add_nc_u32_e32 v14, 0xc00, v1
	ds_store_2addr_stride64_b32 v19, v1, v2 offset1:4
	ds_store_2addr_stride64_b32 v19, v3, v5 offset0:8 offset1:12
	ds_store_2addr_stride64_b32 v19, v6, v7 offset0:16 offset1:20
	;; [unrolled: 1-line block ×5, first 2 shown]
	ds_store_b32 v19, v14 offset:12288
	s_wait_loadcnt_dscnt 0x0
	s_barrier_signal -1
	s_barrier_wait -1
.LBB1104_6:
	v_cmp_gt_u32_e64 s0, s22, v0
	v_or_b32_e32 v40, 0x100, v0
	v_or_b32_e32 v38, 0x200, v0
	v_or_b32_e32 v36, 0x300, v0
	v_or_b32_e32 v34, 0x400, v0
	v_or_b32_e32 v32, 0x500, v0
	v_or_b32_e32 v30, 0x600, v0
	v_or_b32_e32 v28, 0x700, v0
	v_or_b32_e32 v26, 0x800, v0
	v_or_b32_e32 v24, 0x900, v0
	v_or_b32_e32 v22, 0xa00, v0
	v_or_b32_e32 v20, 0xb00, v0
	v_or_b32_e32 v18, 0xc00, v0
	s_and_not1_b32 vcc_lo, exec_lo, s15
	s_cbranch_vccnz .LBB1104_8
; %bb.7:
	s_add_co_i32 s8, s14, s8
	v_cmp_gt_u32_e32 vcc_lo, s22, v40
	v_dual_add_nc_u32 v1, s8, v0 :: v_dual_add_nc_u32 v3, s8, v38
	v_dual_add_nc_u32 v2, s8, v40 :: v_dual_add_nc_u32 v8, s8, v30
	s_delay_alu instid0(VALU_DEP_2) | instskip(NEXT) | instid1(VALU_DEP_2)
	v_dual_add_nc_u32 v9, s8, v28 :: v_dual_cndmask_b32 v1, 0, v1, s0
	v_dual_cndmask_b32 v2, 0, v2 :: v_dual_add_nc_u32 v5, s8, v36
	v_cmp_gt_u32_e32 vcc_lo, s22, v38
	v_dual_add_nc_u32 v12, s8, v22 :: v_dual_add_nc_u32 v13, s8, v20
	v_dual_add_nc_u32 v6, s8, v34 :: v_dual_add_nc_u32 v7, s8, v32
	v_cndmask_b32_e32 v3, 0, v3, vcc_lo
	v_cmp_gt_u32_e32 vcc_lo, s22, v36
	v_dual_add_nc_u32 v10, s8, v26 :: v_dual_add_nc_u32 v11, s8, v24
	v_cndmask_b32_e32 v5, 0, v5, vcc_lo
	v_cmp_gt_u32_e32 vcc_lo, s22, v34
	v_cndmask_b32_e32 v6, 0, v6, vcc_lo
	v_cmp_gt_u32_e32 vcc_lo, s22, v32
	;; [unrolled: 2-line block ×7, first 2 shown]
	v_dual_add_nc_u32 v14, s8, v18 :: v_dual_cndmask_b32 v12, 0, v12, vcc_lo
	v_cmp_gt_u32_e32 vcc_lo, s22, v20
	v_cndmask_b32_e32 v13, 0, v13, vcc_lo
	v_cmp_gt_u32_e32 vcc_lo, s22, v18
	s_delay_alu instid0(VALU_DEP_4)
	v_cndmask_b32_e32 v14, 0, v14, vcc_lo
	ds_store_2addr_stride64_b32 v19, v1, v2 offset1:4
	ds_store_2addr_stride64_b32 v19, v3, v5 offset0:8 offset1:12
	ds_store_2addr_stride64_b32 v19, v6, v7 offset0:16 offset1:20
	;; [unrolled: 1-line block ×5, first 2 shown]
	ds_store_b32 v19, v14 offset:12288
	s_wait_loadcnt_dscnt 0x0
	s_barrier_signal -1
	s_barrier_wait -1
.LBB1104_8:
	v_mul_u32_u24_e32 v23, 13, v0
	s_wait_loadcnt 0x0
	v_cndmask_b32_e64 v21, 0, 1, s1
	s_and_not1_b32 vcc_lo, exec_lo, s1
	s_delay_alu instid0(VALU_DEP_2)
	v_lshlrev_b32_e32 v2, 2, v23
	ds_load_2addr_b32 v[52:53], v2 offset0:2 offset1:3
	ds_load_2addr_b32 v[48:49], v2 offset0:6 offset1:7
	;; [unrolled: 1-line block ×3, first 2 shown]
	ds_load_2addr_b32 v[54:55], v2 offset1:1
	ds_load_2addr_b32 v[44:45], v2 offset0:10 offset1:11
	ds_load_b32 v1, v2 offset:48
	ds_load_2addr_b32 v[46:47], v2 offset0:8 offset1:9
	s_wait_dscnt 0x0
	s_barrier_signal -1
	s_barrier_wait -1
	s_cbranch_vccnz .LBB1104_10
; %bb.9:
	v_dual_add_nc_u32 v2, s5, v53 :: v_dual_add_nc_u32 v3, s5, v55
	v_dual_add_nc_u32 v5, s5, v54 :: v_dual_add_nc_u32 v6, s5, v52
	;; [unrolled: 1-line block ×4, first 2 shown]
	s_delay_alu instid0(VALU_DEP_3) | instskip(NEXT) | instid1(VALU_DEP_4)
	v_mul_lo_u32 v6, v6, s4
	v_mul_lo_u32 v5, v5, s4
	;; [unrolled: 1-line block ×8, first 2 shown]
	v_dual_add_nc_u32 v11, s5, v50 :: v_dual_add_nc_u32 v12, s7, v50
	v_dual_add_nc_u32 v13, s5, v48 :: v_dual_add_nc_u32 v15, s7, v45
	v_add_nc_u32_e32 v16, s5, v44
	s_delay_alu instid0(VALU_DEP_3) | instskip(NEXT) | instid1(VALU_DEP_4)
	v_mul_lo_u32 v11, v11, s4
	v_mul_lo_u32 v12, v12, s6
	v_dual_sub_nc_u32 v2, v2, v7 :: v_dual_sub_nc_u32 v3, v3, v8
	v_dual_sub_nc_u32 v5, v5, v9 :: v_dual_sub_nc_u32 v6, v6, v10
	v_dual_add_nc_u32 v7, s5, v51 :: v_dual_add_nc_u32 v8, s7, v51
	v_dual_add_nc_u32 v9, s5, v49 :: v_dual_add_nc_u32 v10, s7, v49
	s_delay_alu instid0(VALU_DEP_4) | instskip(NEXT) | instid1(VALU_DEP_3)
	v_cmp_lt_u32_e32 vcc_lo, s3, v2
	v_mul_lo_u32 v7, v7, s4
	s_delay_alu instid0(VALU_DEP_4) | instskip(NEXT) | instid1(VALU_DEP_4)
	v_mul_lo_u32 v8, v8, s6
	v_mul_lo_u32 v9, v9, s4
	v_mul_lo_u32 v10, v10, s6
	v_cndmask_b32_e64 v2, 0, 1, vcc_lo
	v_cmp_lt_u32_e32 vcc_lo, s3, v3
	v_dual_add_nc_u32 v17, s7, v47 :: v_dual_add_nc_u32 v25, s7, v46
	v_mul_lo_u32 v15, v15, s6
	v_add_nc_u32_e32 v14, s5, v46
	v_cndmask_b32_e64 v3, 0, 1, vcc_lo
	s_delay_alu instid0(VALU_DEP_4) | instskip(SKIP_4) | instid1(VALU_DEP_3)
	v_mul_lo_u32 v17, v17, s6
	v_sub_nc_u32_e32 v7, v7, v8
	v_dual_add_nc_u32 v8, s7, v48 :: v_dual_sub_nc_u32 v9, v9, v10
	v_dual_sub_nc_u32 v10, v11, v12 :: v_dual_add_nc_u32 v11, s5, v45
	v_mul_lo_u32 v13, v13, s4
	v_mul_lo_u32 v8, v8, s6
	v_add_nc_u32_e32 v12, s5, v47
	v_cmp_lt_u32_e32 vcc_lo, s3, v7
	v_mul_lo_u32 v11, v11, s4
	v_lshlrev_b16 v3, 8, v3
	v_mul_lo_u32 v14, v14, s4
	v_mul_lo_u32 v12, v12, s4
	v_cndmask_b32_e64 v7, 0, 1, vcc_lo
	v_cmp_lt_u32_e32 vcc_lo, s3, v9
	v_lshrrev_b32_e32 v3, 8, v3
	v_mul_lo_u32 v25, v25, s6
	v_sub_nc_u32_e32 v8, v13, v8
	v_lshlrev_b16 v7, 8, v7
	v_cndmask_b32_e64 v9, 0, 1, vcc_lo
	v_sub_nc_u32_e32 v11, v11, v15
	v_cmp_lt_u32_e32 vcc_lo, s3, v5
	s_delay_alu instid0(VALU_DEP_4)
	v_dual_add_nc_u32 v27, s7, v44 :: v_dual_lshrrev_b32 v7, 8, v7
	v_sub_nc_u32_e32 v12, v12, v17
	v_mul_lo_u32 v13, v16, s4
	v_cndmask_b32_e64 v5, 0, 1, vcc_lo
	v_cmp_lt_u32_e32 vcc_lo, s3, v11
	v_mul_lo_u32 v16, v27, s6
	v_dual_add_nc_u32 v15, s5, v1 :: v_dual_add_nc_u32 v27, s7, v1
	v_lshlrev_b16 v2, 8, v2
	v_cndmask_b32_e64 v11, 0, 1, vcc_lo
	v_cmp_lt_u32_e32 vcc_lo, s3, v12
	s_delay_alu instid0(VALU_DEP_4)
	v_mul_lo_u32 v15, v15, s4
	v_mul_lo_u32 v17, v27, s6
	v_sub_nc_u32_e32 v14, v14, v25
	v_lshlrev_b16 v3, 8, v3
	v_cndmask_b32_e64 v12, 0, 1, vcc_lo
	v_cmp_lt_u32_e32 vcc_lo, s3, v6
	v_dual_sub_nc_u32 v13, v13, v16 :: v_dual_lshrrev_b32 v2, 8, v2
	s_delay_alu instid0(VALU_DEP_4)
	v_or_b32_e32 v3, v5, v3
	v_lshlrev_b16 v5, 8, v11
	v_cndmask_b32_e64 v6, 0, 1, vcc_lo
	v_cmp_lt_u32_e32 vcc_lo, s3, v10
	v_lshlrev_b16 v11, 8, v12
	v_lshlrev_b16 v9, 8, v9
	v_sub_nc_u32_e32 v12, v15, v17
	v_lshlrev_b16 v2, 8, v2
	v_cndmask_b32_e64 v10, 0, 1, vcc_lo
	v_cmp_lt_u32_e32 vcc_lo, s3, v8
	v_lshlrev_b16 v7, 8, v7
	v_dual_lshrrev_b32 v11, 8, v11 :: v_dual_lshrrev_b32 v5, 8, v5
	v_or_b32_e32 v2, v6, v2
	v_cndmask_b32_e64 v8, 0, 1, vcc_lo
	v_cmp_lt_u32_e32 vcc_lo, s3, v14
	s_delay_alu instid0(VALU_DEP_4)
	v_lshlrev_b16 v11, 8, v11
	v_lshlrev_b16 v5, 8, v5
	v_dual_lshlrev_b32 v2, 16, v2 :: v_dual_bitop2_b32 v6, v10, v7 bitop3:0x54
	v_cndmask_b32_e64 v14, 0, 1, vcc_lo
	v_cmp_lt_u32_e32 vcc_lo, s3, v13
	v_or_b32_e32 v7, v8, v9
	v_and_b32_e32 v3, 0xffff, v3
	v_and_b32_e32 v6, 0xffff, v6
	v_cndmask_b32_e64 v13, 0, 1, vcc_lo
	s_delay_alu instid0(VALU_DEP_4) | instskip(SKIP_2) | instid1(VALU_DEP_4)
	v_lshlrev_b32_e32 v7, 16, v7
	v_cmp_lt_u32_e32 vcc_lo, s3, v12
	v_or_b32_e32 v35, v3, v2
	v_or_b32_e32 v5, v13, v5
	;; [unrolled: 1-line block ×3, first 2 shown]
	v_cndmask_b32_e64 v25, 0, 1, vcc_lo
	s_delay_alu instid0(VALU_DEP_3) | instskip(NEXT) | instid1(VALU_DEP_3)
	v_dual_lshlrev_b32 v5, 16, v5 :: v_dual_bitop2_b32 v31, v6, v7 bitop3:0x54
	v_and_b32_e32 v8, 0xffff, v8
	s_delay_alu instid0(VALU_DEP_1)
	v_or_b32_e32 v27, v8, v5
	s_cbranch_execz .LBB1104_11
	s_branch .LBB1104_38
.LBB1104_10:
                                        ; implicit-def: $vgpr25
                                        ; implicit-def: $vgpr27
                                        ; implicit-def: $vgpr31
                                        ; implicit-def: $vgpr35
.LBB1104_11:
	v_dual_mov_b32 v3, 0 :: v_dual_mov_b32 v2, 0
	s_mov_b32 s0, exec_lo
	v_cmpx_gt_u32_e64 s22, v23
	s_cbranch_execz .LBB1104_13
; %bb.12:
	v_dual_add_nc_u32 v2, s5, v54 :: v_dual_add_nc_u32 v5, s7, v54
	s_delay_alu instid0(VALU_DEP_1) | instskip(NEXT) | instid1(VALU_DEP_2)
	v_mul_lo_u32 v2, v2, s4
	v_mul_lo_u32 v5, v5, s6
	s_delay_alu instid0(VALU_DEP_1) | instskip(NEXT) | instid1(VALU_DEP_1)
	v_sub_nc_u32_e32 v2, v2, v5
	v_cmp_lt_u32_e32 vcc_lo, s3, v2
	v_cndmask_b32_e64 v2, 0, 1, vcc_lo
.LBB1104_13:
	s_or_b32 exec_lo, exec_lo, s0
	v_add_nc_u32_e32 v5, 1, v23
	s_mov_b32 s0, exec_lo
	s_delay_alu instid0(VALU_DEP_1)
	v_cmpx_gt_u32_e64 s22, v5
	s_cbranch_execz .LBB1104_15
; %bb.14:
	v_dual_add_nc_u32 v3, s5, v55 :: v_dual_add_nc_u32 v5, s7, v55
	s_delay_alu instid0(VALU_DEP_1) | instskip(NEXT) | instid1(VALU_DEP_2)
	v_mul_lo_u32 v3, v3, s4
	v_mul_lo_u32 v5, v5, s6
	s_delay_alu instid0(VALU_DEP_1) | instskip(NEXT) | instid1(VALU_DEP_1)
	v_sub_nc_u32_e32 v3, v3, v5
	v_cmp_lt_u32_e32 vcc_lo, s3, v3
	v_cndmask_b32_e64 v3, 0, 1, vcc_lo
.LBB1104_15:
	s_or_b32 exec_lo, exec_lo, s0
	v_dual_mov_b32 v6, 0 :: v_dual_add_nc_u32 v5, 2, v23
	s_delay_alu instid0(VALU_DEP_1)
	v_cmp_gt_u32_e32 vcc_lo, s22, v5
	v_mov_b32_e32 v5, 0
	s_and_saveexec_b32 s0, vcc_lo
	s_cbranch_execz .LBB1104_17
; %bb.16:
	v_dual_add_nc_u32 v5, s5, v52 :: v_dual_add_nc_u32 v7, s7, v52
	s_delay_alu instid0(VALU_DEP_1) | instskip(NEXT) | instid1(VALU_DEP_2)
	v_mul_lo_u32 v5, v5, s4
	v_mul_lo_u32 v7, v7, s6
	s_delay_alu instid0(VALU_DEP_1) | instskip(NEXT) | instid1(VALU_DEP_1)
	v_sub_nc_u32_e32 v5, v5, v7
	v_cmp_lt_u32_e32 vcc_lo, s3, v5
	v_cndmask_b32_e64 v5, 0, 1, vcc_lo
.LBB1104_17:
	s_or_b32 exec_lo, exec_lo, s0
	v_add_nc_u32_e32 v7, 3, v23
	s_mov_b32 s0, exec_lo
	s_delay_alu instid0(VALU_DEP_1)
	v_cmpx_gt_u32_e64 s22, v7
	s_cbranch_execz .LBB1104_19
; %bb.18:
	v_dual_add_nc_u32 v6, s5, v53 :: v_dual_add_nc_u32 v7, s7, v53
	s_delay_alu instid0(VALU_DEP_1) | instskip(NEXT) | instid1(VALU_DEP_2)
	v_mul_lo_u32 v6, v6, s4
	v_mul_lo_u32 v7, v7, s6
	s_delay_alu instid0(VALU_DEP_1) | instskip(NEXT) | instid1(VALU_DEP_1)
	v_sub_nc_u32_e32 v6, v6, v7
	v_cmp_lt_u32_e32 vcc_lo, s3, v6
	v_cndmask_b32_e64 v6, 0, 1, vcc_lo
.LBB1104_19:
	s_or_b32 exec_lo, exec_lo, s0
	v_dual_mov_b32 v8, 0 :: v_dual_add_nc_u32 v7, 4, v23
	s_delay_alu instid0(VALU_DEP_1)
	v_cmp_gt_u32_e32 vcc_lo, s22, v7
	v_mov_b32_e32 v7, 0
	s_and_saveexec_b32 s0, vcc_lo
	;; [unrolled: 33-line block ×5, first 2 shown]
	s_cbranch_execz .LBB1104_33
; %bb.32:
	v_dual_add_nc_u32 v13, s5, v44 :: v_dual_add_nc_u32 v15, s7, v44
	s_delay_alu instid0(VALU_DEP_1) | instskip(NEXT) | instid1(VALU_DEP_2)
	v_mul_lo_u32 v13, v13, s4
	v_mul_lo_u32 v15, v15, s6
	s_delay_alu instid0(VALU_DEP_1) | instskip(NEXT) | instid1(VALU_DEP_1)
	v_sub_nc_u32_e32 v13, v13, v15
	v_cmp_lt_u32_e32 vcc_lo, s3, v13
	v_cndmask_b32_e64 v13, 0, 1, vcc_lo
.LBB1104_33:
	s_or_b32 exec_lo, exec_lo, s0
	v_add_nc_u32_e32 v15, 11, v23
	s_mov_b32 s0, exec_lo
	s_delay_alu instid0(VALU_DEP_1)
	v_cmpx_gt_u32_e64 s22, v15
	s_cbranch_execz .LBB1104_35
; %bb.34:
	v_dual_add_nc_u32 v14, s5, v45 :: v_dual_add_nc_u32 v15, s7, v45
	s_delay_alu instid0(VALU_DEP_1) | instskip(NEXT) | instid1(VALU_DEP_2)
	v_mul_lo_u32 v14, v14, s4
	v_mul_lo_u32 v15, v15, s6
	s_delay_alu instid0(VALU_DEP_1) | instskip(NEXT) | instid1(VALU_DEP_1)
	v_sub_nc_u32_e32 v14, v14, v15
	v_cmp_lt_u32_e32 vcc_lo, s3, v14
	v_cndmask_b32_e64 v14, 0, 1, vcc_lo
.LBB1104_35:
	s_or_b32 exec_lo, exec_lo, s0
	v_dual_add_nc_u32 v15, 12, v23 :: v_dual_mov_b32 v25, 0
	s_mov_b32 s0, exec_lo
	s_delay_alu instid0(VALU_DEP_1)
	v_cmpx_gt_u32_e64 s22, v15
	s_cbranch_execz .LBB1104_37
; %bb.36:
	v_dual_add_nc_u32 v15, s7, v1 :: v_dual_add_nc_u32 v16, s5, v1
	s_delay_alu instid0(VALU_DEP_1) | instskip(NEXT) | instid1(VALU_DEP_2)
	v_mul_lo_u32 v15, v15, s6
	v_mul_lo_u32 v16, v16, s4
	s_delay_alu instid0(VALU_DEP_1) | instskip(NEXT) | instid1(VALU_DEP_1)
	v_sub_nc_u32_e32 v15, v16, v15
	v_cmp_lt_u32_e32 vcc_lo, s3, v15
	v_cndmask_b32_e64 v25, 0, 1, vcc_lo
.LBB1104_37:
	s_or_b32 exec_lo, exec_lo, s0
	v_lshlrev_b16 v6, 8, v6
	v_lshlrev_b16 v8, 8, v8
	;; [unrolled: 1-line block ×5, first 2 shown]
	v_or_b32_e32 v5, v5, v6
	v_or_b32_e32 v6, v7, v8
	;; [unrolled: 1-line block ×3, first 2 shown]
	s_delay_alu instid0(VALU_DEP_1) | instskip(NEXT) | instid1(VALU_DEP_4)
	v_dual_lshlrev_b32 v7, 16, v7 :: v_dual_bitop2_b32 v8, v11, v12 bitop3:0x54
	v_dual_lshlrev_b32 v5, 16, v5 :: v_dual_bitop2_b32 v2, v2, v3 bitop3:0x54
	v_lshlrev_b16 v3, 8, v14
	s_delay_alu instid0(VALU_DEP_3) | instskip(NEXT) | instid1(VALU_DEP_3)
	v_and_b32_e32 v8, 0xffff, v8
	v_and_b32_e32 v2, 0xffff, v2
	s_delay_alu instid0(VALU_DEP_3) | instskip(NEXT) | instid1(VALU_DEP_1)
	v_or_b32_e32 v3, v13, v3
	v_dual_lshlrev_b32 v3, 16, v3 :: v_dual_bitop2_b32 v35, v2, v5 bitop3:0x54
	v_and_b32_e32 v6, 0xffff, v6
	s_delay_alu instid0(VALU_DEP_2) | instskip(NEXT) | instid1(VALU_DEP_2)
	v_or_b32_e32 v27, v8, v3
	v_or_b32_e32 v31, v6, v7
.LBB1104_38:
	s_delay_alu instid0(VALU_DEP_4) | instskip(SKIP_2) | instid1(VALU_DEP_4)
	v_bfe_u32 v39, v35, 16, 8
	v_bfe_u32 v41, v35, 8, 8
	v_and_b32_e32 v57, 0xff, v35
	v_and_b32_e32 v58, 0xff, v31
	v_mbcnt_lo_u32_b32 v64, -1, 0
	v_lshrrev_b32_e32 v37, 24, v35
	v_bfe_u32 v59, v31, 16, 8
	v_add3_u32 v2, v41, v57, v39
	v_bfe_u32 v60, v31, 8, 8
	v_dual_lshrrev_b32 v33, 24, v31 :: v_dual_bitop2_b32 v5, 15, v64 bitop3:0x40
	v_lshrrev_b32_e32 v65, 5, v0
	s_delay_alu instid0(VALU_DEP_4)
	v_add3_u32 v2, v2, v37, v58
	v_and_b32_e32 v61, 0xff, v27
	v_bfe_u32 v62, v27, 16, 8
	v_bfe_u32 v63, v27, 8, 8
	v_dual_lshrrev_b32 v29, 24, v27 :: v_dual_bitop2_b32 v6, 31, v0 bitop3:0x54
	v_add3_u32 v2, v2, v60, v59
	v_and_b32_e32 v3, 0xff, v25
	v_and_b32_e32 v7, 16, v64
	v_cmp_ne_u32_e32 vcc_lo, 0, v4
	v_cmp_eq_u32_e64 s6, 0, v5
	v_add3_u32 v2, v2, v33, v61
	v_cmp_lt_u32_e64 s5, 1, v5
	v_cmp_lt_u32_e64 s4, 3, v5
	;; [unrolled: 1-line block ×3, first 2 shown]
	v_cmp_eq_u32_e64 s1, 0, v7
	v_add3_u32 v2, v2, v63, v62
	v_cmp_eq_u32_e64 s0, v0, v6
	s_mov_b32 s7, -1
	v_add3_u32 v66, v2, v29, v3
	s_cbranch_vccz .LBB1104_60
; %bb.39:
	s_delay_alu instid0(VALU_DEP_1) | instskip(NEXT) | instid1(VALU_DEP_1)
	v_mov_b32_dpp v2, v66 row_shr:1 row_mask:0xf bank_mask:0xf
	v_cndmask_b32_e64 v2, v2, 0, s6
	s_delay_alu instid0(VALU_DEP_1) | instskip(NEXT) | instid1(VALU_DEP_1)
	v_add_nc_u32_e32 v2, v2, v66
	v_mov_b32_dpp v3, v2 row_shr:2 row_mask:0xf bank_mask:0xf
	s_delay_alu instid0(VALU_DEP_1) | instskip(NEXT) | instid1(VALU_DEP_1)
	v_cndmask_b32_e64 v3, 0, v3, s5
	v_add_nc_u32_e32 v2, v2, v3
	s_delay_alu instid0(VALU_DEP_1) | instskip(NEXT) | instid1(VALU_DEP_1)
	v_mov_b32_dpp v3, v2 row_shr:4 row_mask:0xf bank_mask:0xf
	v_cndmask_b32_e64 v3, 0, v3, s4
	s_delay_alu instid0(VALU_DEP_1) | instskip(NEXT) | instid1(VALU_DEP_1)
	v_add_nc_u32_e32 v2, v2, v3
	v_mov_b32_dpp v3, v2 row_shr:8 row_mask:0xf bank_mask:0xf
	s_delay_alu instid0(VALU_DEP_1) | instskip(NEXT) | instid1(VALU_DEP_1)
	v_cndmask_b32_e64 v3, 0, v3, s3
	v_add_nc_u32_e32 v2, v2, v3
	ds_swizzle_b32 v3, v2 offset:swizzle(BROADCAST,32,15)
	s_wait_dscnt 0x0
	v_cndmask_b32_e64 v3, v3, 0, s1
	s_delay_alu instid0(VALU_DEP_1)
	v_add_nc_u32_e32 v2, v2, v3
	s_and_saveexec_b32 s7, s0
; %bb.40:
	v_lshlrev_b32_e32 v3, 2, v65
	ds_store_b32 v3, v2
; %bb.41:
	s_or_b32 exec_lo, exec_lo, s7
	s_delay_alu instid0(SALU_CYCLE_1)
	s_mov_b32 s7, exec_lo
	s_wait_dscnt 0x0
	s_barrier_signal -1
	s_barrier_wait -1
	v_cmpx_gt_u32_e32 8, v0
	s_cbranch_execz .LBB1104_43
; %bb.42:
	ds_load_b32 v3, v19
	s_wait_dscnt 0x0
	v_mov_b32_dpp v6, v3 row_shr:1 row_mask:0xf bank_mask:0xf
	v_and_b32_e32 v5, 7, v64
	s_delay_alu instid0(VALU_DEP_1) | instskip(NEXT) | instid1(VALU_DEP_3)
	v_cmp_ne_u32_e32 vcc_lo, 0, v5
	v_cndmask_b32_e32 v6, 0, v6, vcc_lo
	v_cmp_lt_u32_e32 vcc_lo, 1, v5
	s_delay_alu instid0(VALU_DEP_2) | instskip(NEXT) | instid1(VALU_DEP_1)
	v_add_nc_u32_e32 v3, v6, v3
	v_mov_b32_dpp v6, v3 row_shr:2 row_mask:0xf bank_mask:0xf
	s_delay_alu instid0(VALU_DEP_1) | instskip(SKIP_1) | instid1(VALU_DEP_2)
	v_cndmask_b32_e32 v6, 0, v6, vcc_lo
	v_cmp_lt_u32_e32 vcc_lo, 3, v5
	v_add_nc_u32_e32 v3, v3, v6
	s_delay_alu instid0(VALU_DEP_1) | instskip(NEXT) | instid1(VALU_DEP_1)
	v_mov_b32_dpp v6, v3 row_shr:4 row_mask:0xf bank_mask:0xf
	v_cndmask_b32_e32 v5, 0, v6, vcc_lo
	s_delay_alu instid0(VALU_DEP_1)
	v_add_nc_u32_e32 v3, v3, v5
	ds_store_b32 v19, v3
.LBB1104_43:
	s_or_b32 exec_lo, exec_lo, s7
	s_delay_alu instid0(SALU_CYCLE_1)
	s_mov_b32 s8, exec_lo
	v_cmp_gt_u32_e32 vcc_lo, 32, v0
	s_wait_dscnt 0x0
	s_barrier_signal -1
	s_barrier_wait -1
                                        ; implicit-def: $vgpr10
	v_cmpx_lt_u32_e32 31, v0
	s_cbranch_execz .LBB1104_45
; %bb.44:
	v_lshl_add_u32 v3, v65, 2, -4
	ds_load_b32 v10, v3
	s_wait_dscnt 0x0
	v_add_nc_u32_e32 v2, v10, v2
.LBB1104_45:
	s_or_b32 exec_lo, exec_lo, s8
	v_sub_co_u32 v3, s7, v64, 1
	s_delay_alu instid0(VALU_DEP_1) | instskip(NEXT) | instid1(VALU_DEP_1)
	v_cmp_gt_i32_e64 s8, 0, v3
	v_cndmask_b32_e64 v3, v3, v64, s8
	s_delay_alu instid0(VALU_DEP_1)
	v_lshlrev_b32_e32 v3, 2, v3
	ds_bpermute_b32 v11, v3, v2
	s_and_saveexec_b32 s8, vcc_lo
	s_cbranch_execz .LBB1104_65
; %bb.46:
	v_dual_mov_b32 v9, 0 :: v_dual_add_nc_u32 v12, 32, v4
	ds_load_b32 v2, v9 offset:28
	s_and_saveexec_b32 s15, s7
	s_cbranch_execz .LBB1104_48
; %bb.47:
	v_mov_b32_e32 v3, 1
	s_wait_dscnt 0x0
	global_store_b64 v12, v[2:3], s[20:21] scale_offset scope:SCOPE_DEV
.LBB1104_48:
	s_wait_xcnt 0x0
	s_or_b32 exec_lo, exec_lo, s15
	v_xad_u32 v4, v64, -1, v4
	s_mov_b32 s23, 0
	s_mov_b32 s15, exec_lo
	s_delay_alu instid0(VALU_DEP_1) | instskip(SKIP_4) | instid1(VALU_DEP_1)
	v_add_nc_u32_e32 v8, 32, v4
	global_load_b64 v[6:7], v8, s[20:21] scale_offset scope:SCOPE_DEV
	s_wait_loadcnt 0x0
	v_and_b32_e32 v3, 0xff, v7
	s_wait_xcnt 0x0
	v_cmpx_eq_u16_e32 0, v3
	s_cbranch_execz .LBB1104_52
; %bb.49:
	v_lshl_add_u64 v[8:9], v[8:9], 3, s[20:21]
.LBB1104_50:                            ; =>This Inner Loop Header: Depth=1
	global_load_b64 v[6:7], v[8:9], off scope:SCOPE_DEV
	s_wait_loadcnt 0x0
	v_and_b32_e32 v3, 0xff, v7
	s_delay_alu instid0(VALU_DEP_1)
	v_cmp_ne_u16_e32 vcc_lo, 0, v3
	s_or_b32 s23, vcc_lo, s23
	s_wait_xcnt 0x0
	s_and_not1_b32 exec_lo, exec_lo, s23
	s_cbranch_execnz .LBB1104_50
; %bb.51:
	s_or_b32 exec_lo, exec_lo, s23
.LBB1104_52:
	s_delay_alu instid0(SALU_CYCLE_1)
	s_or_b32 exec_lo, exec_lo, s15
	v_cmp_ne_u32_e32 vcc_lo, 31, v64
	v_lshlrev_b32_e64 v14, v64, -1
	v_lshl_or_b32 v69, v64, 2, 64
	v_dual_add_nc_u32 v16, 2, v64 :: v_dual_add_nc_u32 v56, 4, v64
	v_add_co_ci_u32_e64 v3, null, 0, v64, vcc_lo
	v_dual_add_nc_u32 v68, 8, v64 :: v_dual_add_nc_u32 v70, 16, v64
	s_delay_alu instid0(VALU_DEP_2)
	v_lshlrev_b32_e32 v13, 2, v3
	v_and_b32_e32 v3, 0xff, v7
	ds_bpermute_b32 v5, v13, v6
	v_cmp_eq_u16_e32 vcc_lo, 2, v3
	v_and_or_b32 v3, vcc_lo, v14, 0x80000000
	v_cmp_gt_u32_e32 vcc_lo, 30, v64
	s_delay_alu instid0(VALU_DEP_2) | instskip(SKIP_1) | instid1(VALU_DEP_2)
	v_ctz_i32_b32_e32 v3, v3
	v_cndmask_b32_e64 v8, 0, 2, vcc_lo
	v_cmp_lt_u32_e32 vcc_lo, v64, v3
	s_delay_alu instid0(VALU_DEP_2) | instskip(SKIP_3) | instid1(VALU_DEP_2)
	v_add_lshl_u32 v15, v8, v64, 2
	s_wait_dscnt 0x0
	v_cndmask_b32_e32 v5, 0, v5, vcc_lo
	v_cmp_gt_u32_e32 vcc_lo, 28, v64
	v_add_nc_u32_e32 v5, v5, v6
	v_cndmask_b32_e64 v8, 0, 4, vcc_lo
	v_cmp_le_u32_e32 vcc_lo, v16, v3
	ds_bpermute_b32 v6, v15, v5
	v_add_lshl_u32 v17, v8, v64, 2
	s_wait_dscnt 0x0
	v_cndmask_b32_e32 v6, 0, v6, vcc_lo
	v_cmp_gt_u32_e32 vcc_lo, 24, v64
	v_cndmask_b32_e64 v8, 0, 8, vcc_lo
	v_cmp_le_u32_e32 vcc_lo, v56, v3
	s_delay_alu instid0(VALU_DEP_4) | instskip(NEXT) | instid1(VALU_DEP_3)
	v_add_nc_u32_e32 v5, v5, v6
	v_add_lshl_u32 v67, v8, v64, 2
	ds_bpermute_b32 v6, v17, v5
	s_wait_dscnt 0x0
	v_cndmask_b32_e32 v6, 0, v6, vcc_lo
	v_cmp_le_u32_e32 vcc_lo, v68, v3
	s_delay_alu instid0(VALU_DEP_2) | instskip(SKIP_4) | instid1(VALU_DEP_2)
	v_add_nc_u32_e32 v5, v5, v6
	ds_bpermute_b32 v6, v67, v5
	s_wait_dscnt 0x0
	v_cndmask_b32_e32 v6, 0, v6, vcc_lo
	v_cmp_le_u32_e32 vcc_lo, v70, v3
	v_add_nc_u32_e32 v5, v5, v6
	ds_bpermute_b32 v6, v69, v5
	s_wait_dscnt 0x0
	v_cndmask_b32_e32 v3, 0, v6, vcc_lo
	s_delay_alu instid0(VALU_DEP_1)
	v_dual_mov_b32 v5, 0 :: v_dual_add_nc_u32 v6, v5, v3
	s_branch .LBB1104_56
.LBB1104_53:                            ;   in Loop: Header=BB1104_56 Depth=1
	s_or_b32 exec_lo, exec_lo, s23
.LBB1104_54:                            ;   in Loop: Header=BB1104_56 Depth=1
	s_delay_alu instid0(SALU_CYCLE_1)
	s_or_b32 exec_lo, exec_lo, s15
	v_and_b32_e32 v8, 0xff, v7
	ds_bpermute_b32 v9, v13, v6
	v_subrev_nc_u32_e32 v4, 32, v4
	s_mov_b32 s15, 0
	v_cmp_eq_u16_e32 vcc_lo, 2, v8
	v_and_or_b32 v8, vcc_lo, v14, 0x80000000
	s_delay_alu instid0(VALU_DEP_1) | instskip(NEXT) | instid1(VALU_DEP_1)
	v_ctz_i32_b32_e32 v8, v8
	v_cmp_lt_u32_e32 vcc_lo, v64, v8
	s_wait_dscnt 0x0
	v_cndmask_b32_e32 v9, 0, v9, vcc_lo
	v_cmp_le_u32_e32 vcc_lo, v16, v8
	s_delay_alu instid0(VALU_DEP_2) | instskip(SKIP_4) | instid1(VALU_DEP_2)
	v_add_nc_u32_e32 v6, v9, v6
	ds_bpermute_b32 v9, v15, v6
	s_wait_dscnt 0x0
	v_cndmask_b32_e32 v9, 0, v9, vcc_lo
	v_cmp_le_u32_e32 vcc_lo, v56, v8
	v_add_nc_u32_e32 v6, v6, v9
	ds_bpermute_b32 v9, v17, v6
	s_wait_dscnt 0x0
	v_cndmask_b32_e32 v9, 0, v9, vcc_lo
	v_cmp_le_u32_e32 vcc_lo, v68, v8
	s_delay_alu instid0(VALU_DEP_2) | instskip(SKIP_4) | instid1(VALU_DEP_2)
	v_add_nc_u32_e32 v6, v6, v9
	ds_bpermute_b32 v9, v67, v6
	s_wait_dscnt 0x0
	v_cndmask_b32_e32 v9, 0, v9, vcc_lo
	v_cmp_le_u32_e32 vcc_lo, v70, v8
	v_add_nc_u32_e32 v6, v6, v9
	ds_bpermute_b32 v9, v69, v6
	s_wait_dscnt 0x0
	v_cndmask_b32_e32 v8, 0, v9, vcc_lo
	s_delay_alu instid0(VALU_DEP_1)
	v_add3_u32 v6, v8, v3, v6
.LBB1104_55:                            ;   in Loop: Header=BB1104_56 Depth=1
	s_and_b32 vcc_lo, exec_lo, s15
	s_cbranch_vccnz .LBB1104_61
.LBB1104_56:                            ; =>This Loop Header: Depth=1
                                        ;     Child Loop BB1104_59 Depth 2
	v_and_b32_e32 v3, 0xff, v7
	s_mov_b32 s15, -1
                                        ; implicit-def: $vgpr7
	s_delay_alu instid0(VALU_DEP_1)
	v_cmp_ne_u16_e32 vcc_lo, 2, v3
	v_mov_b32_e32 v3, v6
                                        ; implicit-def: $vgpr6
	s_cmp_lg_u32 vcc_lo, exec_lo
	s_cbranch_scc1 .LBB1104_55
; %bb.57:                               ;   in Loop: Header=BB1104_56 Depth=1
	global_load_b64 v[6:7], v4, s[20:21] scale_offset scope:SCOPE_DEV
	s_mov_b32 s15, exec_lo
	s_wait_loadcnt 0x0
	v_and_b32_e32 v8, 0xff, v7
	s_wait_xcnt 0x0
	s_delay_alu instid0(VALU_DEP_1)
	v_cmpx_eq_u16_e32 0, v8
	s_cbranch_execz .LBB1104_54
; %bb.58:                               ;   in Loop: Header=BB1104_56 Depth=1
	v_lshl_add_u64 v[8:9], v[4:5], 3, s[20:21]
	s_mov_b32 s23, 0
.LBB1104_59:                            ;   Parent Loop BB1104_56 Depth=1
                                        ; =>  This Inner Loop Header: Depth=2
	global_load_b64 v[6:7], v[8:9], off scope:SCOPE_DEV
	s_wait_loadcnt 0x0
	v_and_b32_e32 v71, 0xff, v7
	s_delay_alu instid0(VALU_DEP_1)
	v_cmp_ne_u16_e32 vcc_lo, 0, v71
	s_or_b32 s23, vcc_lo, s23
	s_wait_xcnt 0x0
	s_and_not1_b32 exec_lo, exec_lo, s23
	s_cbranch_execnz .LBB1104_59
	s_branch .LBB1104_53
.LBB1104_60:
                                        ; implicit-def: $vgpr2_vgpr3_vgpr4_vgpr5_vgpr6_vgpr7_vgpr8_vgpr9_vgpr10_vgpr11_vgpr12_vgpr13_vgpr14_vgpr15_vgpr16_vgpr17
                                        ; implicit-def: $vgpr56
                                        ; implicit-def: $vgpr16
	s_and_b32 vcc_lo, exec_lo, s7
	s_cbranch_vccnz .LBB1104_66
	s_branch .LBB1104_75
.LBB1104_61:
	s_and_saveexec_b32 s15, s7
	s_cbranch_execz .LBB1104_63
; %bb.62:
	v_dual_mov_b32 v5, 2 :: v_dual_add_nc_u32 v4, v3, v2
	v_mov_b32_e32 v6, 0
	global_store_b64 v12, v[4:5], s[20:21] scale_offset scope:SCOPE_DEV
	ds_store_b64 v6, v[2:3] offset:13312
.LBB1104_63:
	s_wait_xcnt 0x0
	s_or_b32 exec_lo, exec_lo, s15
	s_delay_alu instid0(SALU_CYCLE_1)
	s_and_b32 exec_lo, exec_lo, s2
; %bb.64:
	v_mov_b32_e32 v2, 0
	ds_store_b32 v2, v3 offset:28
.LBB1104_65:
	s_or_b32 exec_lo, exec_lo, s8
	s_wait_dscnt 0x0
	v_dual_mov_b32 v12, 0 :: v_dual_cndmask_b32 v3, v11, v10, s7
	s_wait_storecnt 0x0
	s_barrier_signal -1
	s_barrier_wait -1
	ds_load_b32 v2, v12 offset:28
	v_cndmask_b32_e64 v3, v3, 0, s2
	s_wait_dscnt 0x0
	s_barrier_signal -1
	s_barrier_wait -1
	ds_load_b64 v[16:17], v12 offset:13312
	v_add_nc_u32_e32 v2, v2, v3
	s_wait_dscnt 0x0
	s_delay_alu instid0(VALU_DEP_1) | instskip(NEXT) | instid1(VALU_DEP_1)
	v_dual_mov_b32 v56, v17 :: v_dual_add_nc_u32 v3, v2, v57
	v_add_nc_u32_e32 v4, v3, v41
	s_delay_alu instid0(VALU_DEP_1) | instskip(NEXT) | instid1(VALU_DEP_1)
	v_add_nc_u32_e32 v5, v4, v39
	v_add_nc_u32_e32 v6, v5, v37
	s_delay_alu instid0(VALU_DEP_1) | instskip(NEXT) | instid1(VALU_DEP_1)
	v_add_nc_u32_e32 v7, v6, v58
	;; [unrolled: 3-line block ×5, first 2 shown]
	v_add_nc_u32_e32 v14, v13, v29
	s_branch .LBB1104_75
.LBB1104_66:
	v_mov_b32_dpp v2, v66 row_shr:1 row_mask:0xf bank_mask:0xf
	s_delay_alu instid0(VALU_DEP_1) | instskip(NEXT) | instid1(VALU_DEP_1)
	v_cndmask_b32_e64 v2, v2, 0, s6
	v_add_nc_u32_e32 v2, v2, v66
	s_delay_alu instid0(VALU_DEP_1) | instskip(NEXT) | instid1(VALU_DEP_1)
	v_mov_b32_dpp v3, v2 row_shr:2 row_mask:0xf bank_mask:0xf
	v_cndmask_b32_e64 v3, 0, v3, s5
	s_delay_alu instid0(VALU_DEP_1) | instskip(NEXT) | instid1(VALU_DEP_1)
	v_add_nc_u32_e32 v2, v2, v3
	v_mov_b32_dpp v3, v2 row_shr:4 row_mask:0xf bank_mask:0xf
	s_delay_alu instid0(VALU_DEP_1) | instskip(NEXT) | instid1(VALU_DEP_1)
	v_cndmask_b32_e64 v3, 0, v3, s4
	v_add_nc_u32_e32 v2, v2, v3
	s_delay_alu instid0(VALU_DEP_1) | instskip(NEXT) | instid1(VALU_DEP_1)
	v_mov_b32_dpp v3, v2 row_shr:8 row_mask:0xf bank_mask:0xf
	v_cndmask_b32_e64 v3, 0, v3, s3
	s_delay_alu instid0(VALU_DEP_1) | instskip(SKIP_3) | instid1(VALU_DEP_1)
	v_add_nc_u32_e32 v2, v2, v3
	ds_swizzle_b32 v3, v2 offset:swizzle(BROADCAST,32,15)
	s_wait_dscnt 0x0
	v_cndmask_b32_e64 v3, v3, 0, s1
	v_add_nc_u32_e32 v2, v2, v3
	s_and_saveexec_b32 s1, s0
; %bb.67:
	v_lshlrev_b32_e32 v3, 2, v65
	ds_store_b32 v3, v2
; %bb.68:
	s_or_b32 exec_lo, exec_lo, s1
	s_delay_alu instid0(SALU_CYCLE_1)
	s_mov_b32 s0, exec_lo
	s_wait_dscnt 0x0
	s_barrier_signal -1
	s_barrier_wait -1
	v_cmpx_gt_u32_e32 8, v0
	s_cbranch_execz .LBB1104_70
; %bb.69:
	ds_load_b32 v3, v19
	s_wait_dscnt 0x0
	v_mov_b32_dpp v5, v3 row_shr:1 row_mask:0xf bank_mask:0xf
	v_and_b32_e32 v4, 7, v64
	s_delay_alu instid0(VALU_DEP_1) | instskip(NEXT) | instid1(VALU_DEP_3)
	v_cmp_ne_u32_e32 vcc_lo, 0, v4
	v_cndmask_b32_e32 v5, 0, v5, vcc_lo
	v_cmp_lt_u32_e32 vcc_lo, 1, v4
	s_delay_alu instid0(VALU_DEP_2) | instskip(NEXT) | instid1(VALU_DEP_1)
	v_add_nc_u32_e32 v3, v5, v3
	v_mov_b32_dpp v5, v3 row_shr:2 row_mask:0xf bank_mask:0xf
	s_delay_alu instid0(VALU_DEP_1) | instskip(SKIP_1) | instid1(VALU_DEP_2)
	v_cndmask_b32_e32 v5, 0, v5, vcc_lo
	v_cmp_lt_u32_e32 vcc_lo, 3, v4
	v_add_nc_u32_e32 v3, v3, v5
	s_delay_alu instid0(VALU_DEP_1) | instskip(NEXT) | instid1(VALU_DEP_1)
	v_mov_b32_dpp v5, v3 row_shr:4 row_mask:0xf bank_mask:0xf
	v_cndmask_b32_e32 v4, 0, v5, vcc_lo
	s_delay_alu instid0(VALU_DEP_1)
	v_add_nc_u32_e32 v3, v3, v4
	ds_store_b32 v19, v3
.LBB1104_70:
	s_or_b32 exec_lo, exec_lo, s0
	v_dual_mov_b32 v4, 0 :: v_dual_mov_b32 v3, 0
	s_mov_b32 s0, exec_lo
	s_wait_dscnt 0x0
	s_barrier_signal -1
	s_barrier_wait -1
	v_cmpx_lt_u32_e32 31, v0
; %bb.71:
	v_lshl_add_u32 v3, v65, 2, -4
	ds_load_b32 v3, v3
; %bb.72:
	s_or_b32 exec_lo, exec_lo, s0
	v_sub_co_u32 v5, vcc_lo, v64, 1
	ds_load_b32 v16, v4 offset:28
	s_wait_dscnt 0x1
	v_add_nc_u32_e32 v2, v3, v2
	v_cmp_gt_i32_e64 s0, 0, v5
	s_delay_alu instid0(VALU_DEP_1) | instskip(NEXT) | instid1(VALU_DEP_1)
	v_cndmask_b32_e64 v5, v5, v64, s0
	v_lshlrev_b32_e32 v5, 2, v5
	ds_bpermute_b32 v2, v5, v2
	s_and_saveexec_b32 s0, s2
	s_cbranch_execz .LBB1104_74
; %bb.73:
	v_dual_mov_b32 v4, 0 :: v_dual_mov_b32 v17, 2
	s_wait_dscnt 0x1
	global_store_b64 v4, v[16:17], s[20:21] offset:256 scope:SCOPE_DEV
.LBB1104_74:
	s_wait_xcnt 0x0
	s_or_b32 exec_lo, exec_lo, s0
	s_wait_dscnt 0x0
	v_cndmask_b32_e32 v2, v2, v3, vcc_lo
	s_wait_storecnt 0x0
	s_barrier_signal -1
	s_barrier_wait -1
	s_delay_alu instid0(VALU_DEP_1) | instskip(NEXT) | instid1(VALU_DEP_1)
	v_cndmask_b32_e64 v2, v2, 0, s2
	v_dual_mov_b32 v56, 0 :: v_dual_add_nc_u32 v3, v2, v57
	s_delay_alu instid0(VALU_DEP_1) | instskip(NEXT) | instid1(VALU_DEP_1)
	v_add_nc_u32_e32 v4, v3, v41
	v_add_nc_u32_e32 v5, v4, v39
	s_delay_alu instid0(VALU_DEP_1) | instskip(NEXT) | instid1(VALU_DEP_1)
	v_add_nc_u32_e32 v6, v5, v37
	v_add_nc_u32_e32 v7, v6, v58
	;; [unrolled: 3-line block ×5, first 2 shown]
	s_delay_alu instid0(VALU_DEP_1)
	v_add_nc_u32_e32 v14, v13, v29
.LBB1104_75:
	v_dual_lshrrev_b32 v57, 16, v35 :: v_dual_lshrrev_b32 v58, 8, v35
	v_dual_add_nc_u32 v23, v16, v23 :: v_dual_sub_nc_u32 v3, v3, v56
	v_dual_sub_nc_u32 v2, v2, v56 :: v_dual_bitop2_b32 v35, 1, v35 bitop3:0x40
	s_delay_alu instid0(VALU_DEP_3) | instskip(NEXT) | instid1(VALU_DEP_3)
	v_dual_sub_nc_u32 v4, v4, v56 :: v_dual_bitop2_b32 v58, 1, v58 bitop3:0x40
	v_dual_sub_nc_u32 v59, v23, v3 :: v_dual_bitop2_b32 v57, 1, v57 bitop3:0x40
	s_delay_alu instid0(VALU_DEP_3) | instskip(NEXT) | instid1(VALU_DEP_4)
	v_dual_sub_nc_u32 v60, v23, v2 :: v_dual_sub_nc_u32 v5, v5, v56
	v_cmp_eq_u32_e32 vcc_lo, 1, v35
	s_delay_alu instid0(VALU_DEP_3) | instskip(SKIP_1) | instid1(VALU_DEP_4)
	v_dual_sub_nc_u32 v61, v23, v4 :: v_dual_add_nc_u32 v59, 1, v59
	v_dual_lshrrev_b32 v41, 8, v31 :: v_dual_lshrrev_b32 v39, 16, v31
	v_cndmask_b32_e32 v2, v60, v2, vcc_lo
	v_cmp_eq_u32_e32 vcc_lo, 1, v58
	v_dual_lshrrev_b32 v15, 16, v27 :: v_dual_lshrrev_b32 v17, 8, v27
	v_cndmask_b32_e32 v3, v59, v3, vcc_lo
	s_delay_alu instid0(VALU_DEP_4)
	v_dual_sub_nc_u32 v35, v23, v5 :: v_dual_lshlrev_b32 v2, 2, v2
	v_and_b32_e32 v37, 1, v37
	v_add_nc_u32_e32 v58, 2, v61
	v_cmp_eq_u32_e32 vcc_lo, 1, v57
	v_lshlrev_b32_e32 v3, 2, v3
	v_add_nc_u32_e32 v35, 3, v35
	ds_store_b32 v2, v54
	ds_store_b32 v3, v55
	v_cndmask_b32_e32 v4, v58, v4, vcc_lo
	v_cmp_eq_u32_e32 vcc_lo, 1, v37
	v_dual_cndmask_b32 v5, v35, v5 :: v_dual_sub_nc_u32 v6, v6, v56
	s_delay_alu instid0(VALU_DEP_1) | instskip(NEXT) | instid1(VALU_DEP_2)
	v_dual_lshlrev_b32 v3, 2, v4 :: v_dual_lshlrev_b32 v4, 2, v5
	v_sub_nc_u32_e32 v2, v23, v6
	v_dual_sub_nc_u32 v5, v7, v56 :: v_dual_bitop2_b32 v7, 1, v31 bitop3:0x40
	s_delay_alu instid0(VALU_DEP_2)
	v_add_nc_u32_e32 v2, 4, v2
	ds_store_b32 v3, v52
	ds_store_b32 v4, v53
	v_cmp_eq_u32_e32 vcc_lo, 1, v7
	v_dual_sub_nc_u32 v4, v8, v56 :: v_dual_cndmask_b32 v2, v2, v6, vcc_lo
	v_sub_nc_u32_e32 v3, v23, v5
	v_dual_sub_nc_u32 v7, v9, v56 :: v_dual_bitop2_b32 v6, 1, v41 bitop3:0x40
	s_delay_alu instid0(VALU_DEP_2) | instskip(NEXT) | instid1(VALU_DEP_2)
	v_dual_lshlrev_b32 v2, 2, v2 :: v_dual_add_nc_u32 v3, 5, v3
	v_cmp_eq_u32_e32 vcc_lo, 1, v6
	v_dual_sub_nc_u32 v8, v23, v4 :: v_dual_bitop2_b32 v6, 1, v39 bitop3:0x40
	ds_store_b32 v2, v50
	v_and_b32_e32 v2, 1, v33
	v_cndmask_b32_e32 v3, v3, v5, vcc_lo
	v_dual_sub_nc_u32 v5, v23, v7 :: v_dual_add_nc_u32 v8, 6, v8
	v_cmp_eq_u32_e32 vcc_lo, 1, v6
	s_delay_alu instid0(VALU_DEP_3) | instskip(NEXT) | instid1(VALU_DEP_3)
	v_dual_sub_nc_u32 v6, v11, v56 :: v_dual_lshlrev_b32 v3, 2, v3
	v_dual_cndmask_b32 v4, v8, v4 :: v_dual_add_nc_u32 v5, 7, v5
	v_cmp_eq_u32_e32 vcc_lo, 1, v2
	ds_store_b32 v3, v51
	v_dual_sub_nc_u32 v3, v23, v6 :: v_dual_sub_nc_u32 v8, v14, v56
	v_dual_lshlrev_b32 v4, 2, v4 :: v_dual_cndmask_b32 v2, v5, v7, vcc_lo
	v_dual_sub_nc_u32 v5, v10, v56 :: v_dual_bitop2_b32 v7, 1, v17 bitop3:0x40
	s_delay_alu instid0(VALU_DEP_3)
	v_add_nc_u32_e32 v3, 9, v3
	ds_store_b32 v4, v48
	v_dual_lshlrev_b32 v2, 2, v2 :: v_dual_sub_nc_u32 v4, v23, v5
	v_cmp_eq_u32_e32 vcc_lo, 1, v7
	v_sub_nc_u32_e32 v7, v12, v56
	v_sub_nc_u32_e32 v9, v23, v8
	ds_store_b32 v2, v49
	v_dual_add_nc_u32 v4, 8, v4 :: v_dual_bitop2_b32 v2, 1, v27 bitop3:0x40
	v_dual_cndmask_b32 v3, v3, v6 :: v_dual_sub_nc_u32 v6, v13, v56
	s_delay_alu instid0(VALU_DEP_2) | instskip(NEXT) | instid1(VALU_DEP_2)
	v_cmp_eq_u32_e32 vcc_lo, 1, v2
	v_dual_cndmask_b32 v2, v4, v5, vcc_lo :: v_dual_sub_nc_u32 v4, v23, v6
	v_and_b32_e32 v10, 1, v15
	v_dual_sub_nc_u32 v5, v23, v7 :: v_dual_bitop2_b32 v12, 1, v25 bitop3:0x40
	s_delay_alu instid0(VALU_DEP_3) | instskip(SKIP_1) | instid1(VALU_DEP_1)
	v_dual_lshlrev_b32 v2, 2, v2 :: v_dual_add_nc_u32 v4, 11, v4
	v_and_b32_e32 v11, 1, v29
	v_cmp_eq_u32_e32 vcc_lo, 1, v11
	s_delay_alu instid0(VALU_DEP_3) | instskip(SKIP_3) | instid1(VALU_DEP_1)
	v_cndmask_b32_e32 v4, v4, v6, vcc_lo
	v_cmp_eq_u32_e32 vcc_lo, 1, v10
	v_add_nc_u32_e32 v9, 12, v9
	v_add_nc_u32_e32 v5, 10, v5
	v_cndmask_b32_e32 v5, v5, v7, vcc_lo
	v_cmp_eq_u32_e32 vcc_lo, 1, v12
	s_delay_alu instid0(VALU_DEP_2) | instskip(SKIP_3) | instid1(VALU_DEP_3)
	v_dual_lshlrev_b32 v3, 2, v3 :: v_dual_lshlrev_b32 v5, 2, v5
	v_cndmask_b32_e32 v6, v9, v8, vcc_lo
	v_lshlrev_b32_e32 v4, 2, v4
	v_cmp_ne_u32_e32 vcc_lo, 1, v21
	v_lshlrev_b32_e32 v6, 2, v6
	ds_store_b32 v2, v46
	ds_store_b32 v3, v47
	;; [unrolled: 1-line block ×5, first 2 shown]
	s_wait_dscnt 0x0
	s_barrier_signal -1
	s_barrier_wait -1
	ds_load_2addr_stride64_b32 v[14:15], v19 offset1:4
	ds_load_2addr_stride64_b32 v[12:13], v19 offset0:8 offset1:12
	ds_load_2addr_stride64_b32 v[10:11], v19 offset0:16 offset1:20
	;; [unrolled: 1-line block ×5, first 2 shown]
	ds_load_b32 v46, v19 offset:12288
	v_mov_b32_e32 v1, 0
	s_and_b32 vcc_lo, exec_lo, vcc_lo
	s_delay_alu instid0(VALU_DEP_1) | instskip(SKIP_2) | instid1(VALU_DEP_3)
	v_dual_mov_b32 v29, v1 :: v_dual_mov_b32 v57, v1
	v_dual_mov_b32 v41, v1 :: v_dual_mov_b32 v39, v1
	;; [unrolled: 1-line block ×3, first 2 shown]
	v_add_nc_u64_e32 v[2:3], v[42:43], v[56:57]
	v_dual_mov_b32 v33, v1 :: v_dual_mov_b32 v31, v1
	v_dual_mov_b32 v27, v1 :: v_dual_mov_b32 v25, v1
	;; [unrolled: 1-line block ×3, first 2 shown]
	v_mov_b32_e32 v19, v1
	s_cbranch_vccnz .LBB1104_132
; %bb.76:
	v_mov_b32_e32 v17, v1
	s_mov_b32 s15, 0
	v_sub_nc_u64_e64 v[42:43], v[2:3], s[16:17]
	s_sub_nc_u64 s[0:1], s[18:19], s[14:15]
	s_delay_alu instid0(VALU_DEP_2) | instid1(SALU_CYCLE_1)
	v_add_nc_u64_e32 v[44:45], s[0:1], v[16:17]
	s_mov_b32 s0, exec_lo
	s_delay_alu instid0(VALU_DEP_1)
	v_add_nc_u64_e32 v[42:43], v[44:45], v[42:43]
                                        ; implicit-def: $vgpr44_vgpr45
	v_cmpx_ge_u32_e64 v0, v16
	s_xor_b32 s0, exec_lo, s0
; %bb.77:
	v_not_b32_e32 v44, v0
	s_delay_alu instid0(VALU_DEP_1) | instskip(NEXT) | instid1(VALU_DEP_1)
	v_ashrrev_i32_e32 v45, 31, v44
	v_add_nc_u64_e32 v[44:45], v[42:43], v[44:45]
; %bb.78:
	s_and_not1_saveexec_b32 s0, s0
; %bb.79:
	v_add_nc_u64_e32 v[44:45], v[2:3], v[0:1]
; %bb.80:
	s_or_b32 exec_lo, exec_lo, s0
	s_delay_alu instid0(VALU_DEP_1)
	v_lshl_add_u64 v[44:45], v[44:45], 2, s[10:11]
	s_mov_b32 s0, exec_lo
	s_wait_dscnt 0x6
	global_store_b32 v[44:45], v14, off
                                        ; implicit-def: $vgpr44_vgpr45
	s_wait_xcnt 0x0
	v_cmpx_ge_u32_e64 v40, v16
	s_xor_b32 s0, exec_lo, s0
; %bb.81:
	v_xor_b32_e32 v44, 0xfffffeff, v0
	s_delay_alu instid0(VALU_DEP_1) | instskip(NEXT) | instid1(VALU_DEP_1)
	v_ashrrev_i32_e32 v45, 31, v44
	v_add_nc_u64_e32 v[44:45], v[42:43], v[44:45]
; %bb.82:
	s_and_not1_saveexec_b32 s0, s0
; %bb.83:
	v_add_nc_u64_e32 v[44:45], v[2:3], v[40:41]
; %bb.84:
	s_or_b32 exec_lo, exec_lo, s0
	s_delay_alu instid0(VALU_DEP_1)
	v_lshl_add_u64 v[44:45], v[44:45], 2, s[10:11]
	s_mov_b32 s0, exec_lo
	global_store_b32 v[44:45], v15, off
                                        ; implicit-def: $vgpr44_vgpr45
	s_wait_xcnt 0x0
	v_cmpx_ge_u32_e64 v38, v16
	s_xor_b32 s0, exec_lo, s0
; %bb.85:
	v_xor_b32_e32 v44, 0xfffffdff, v0
	s_delay_alu instid0(VALU_DEP_1) | instskip(NEXT) | instid1(VALU_DEP_1)
	v_ashrrev_i32_e32 v45, 31, v44
	v_add_nc_u64_e32 v[44:45], v[42:43], v[44:45]
; %bb.86:
	s_and_not1_saveexec_b32 s0, s0
; %bb.87:
	v_add_nc_u64_e32 v[44:45], v[2:3], v[38:39]
; %bb.88:
	s_or_b32 exec_lo, exec_lo, s0
	s_delay_alu instid0(VALU_DEP_1)
	v_lshl_add_u64 v[44:45], v[44:45], 2, s[10:11]
	s_mov_b32 s0, exec_lo
	s_wait_dscnt 0x5
	global_store_b32 v[44:45], v12, off
                                        ; implicit-def: $vgpr44_vgpr45
	s_wait_xcnt 0x0
	v_cmpx_ge_u32_e64 v36, v16
	s_xor_b32 s0, exec_lo, s0
; %bb.89:
	v_xor_b32_e32 v44, 0xfffffcff, v0
	s_delay_alu instid0(VALU_DEP_1) | instskip(NEXT) | instid1(VALU_DEP_1)
	v_ashrrev_i32_e32 v45, 31, v44
	v_add_nc_u64_e32 v[44:45], v[42:43], v[44:45]
; %bb.90:
	s_and_not1_saveexec_b32 s0, s0
; %bb.91:
	v_add_nc_u64_e32 v[44:45], v[2:3], v[36:37]
; %bb.92:
	s_or_b32 exec_lo, exec_lo, s0
	s_delay_alu instid0(VALU_DEP_1)
	v_lshl_add_u64 v[44:45], v[44:45], 2, s[10:11]
	s_mov_b32 s0, exec_lo
	global_store_b32 v[44:45], v13, off
                                        ; implicit-def: $vgpr44_vgpr45
	s_wait_xcnt 0x0
	v_cmpx_ge_u32_e64 v34, v16
	s_xor_b32 s0, exec_lo, s0
; %bb.93:
	v_xor_b32_e32 v44, 0xfffffbff, v0
	;; [unrolled: 39-line block ×6, first 2 shown]
	s_delay_alu instid0(VALU_DEP_1) | instskip(NEXT) | instid1(VALU_DEP_1)
	v_ashrrev_i32_e32 v45, 31, v44
	v_add_nc_u64_e32 v[44:45], v[42:43], v[44:45]
; %bb.126:
	s_and_not1_saveexec_b32 s0, s0
; %bb.127:
	v_add_nc_u64_e32 v[44:45], v[2:3], v[18:19]
; %bb.128:
	s_or_b32 exec_lo, exec_lo, s0
	s_mov_b32 s0, -1
.LBB1104_129:
	s_delay_alu instid0(SALU_CYCLE_1)
	s_and_saveexec_b32 s1, s0
	s_cbranch_execz .LBB1104_212
.LBB1104_130:
	s_delay_alu instid0(VALU_DEP_1)
	v_lshl_add_u64 v[0:1], v[44:45], 2, s[10:11]
	s_wait_dscnt 0x0
	global_store_b32 v[0:1], v46, off
	s_wait_xcnt 0x0
	s_or_b32 exec_lo, exec_lo, s1
	s_and_b32 s0, s2, s9
	s_delay_alu instid0(SALU_CYCLE_1)
	s_and_saveexec_b32 s1, s0
	s_cbranch_execnz .LBB1104_213
.LBB1104_131:
	s_sendmsg sendmsg(MSG_DEALLOC_VGPRS)
	s_endpgm
.LBB1104_132:
	s_mov_b32 s0, 0
                                        ; implicit-def: $vgpr44_vgpr45
	s_cbranch_execz .LBB1104_129
; %bb.133:
	s_mov_b32 s15, 0
	v_mov_b32_e32 v17, 0
	s_add_nc_u64 s[4:5], s[16:17], s[14:15]
	s_mov_b32 s1, exec_lo
	s_sub_nc_u64 s[4:5], s[18:19], s[4:5]
	s_delay_alu instid0(VALU_DEP_1) | instid1(SALU_CYCLE_1)
	v_add_nc_u64_e32 v[42:43], s[4:5], v[16:17]
	s_delay_alu instid0(VALU_DEP_1)
	v_add_nc_u64_e32 v[42:43], v[42:43], v[2:3]
	v_cmpx_gt_u32_e64 s22, v0
	s_cbranch_execz .LBB1104_169
; %bb.134:
	s_mov_b32 s3, exec_lo
                                        ; implicit-def: $vgpr44_vgpr45
	v_cmpx_ge_u32_e64 v0, v16
	s_xor_b32 s3, exec_lo, s3
; %bb.135:
	v_not_b32_e32 v44, v0
	s_delay_alu instid0(VALU_DEP_1) | instskip(NEXT) | instid1(VALU_DEP_1)
	v_ashrrev_i32_e32 v45, 31, v44
	v_add_nc_u64_e32 v[44:45], v[42:43], v[44:45]
; %bb.136:
	s_and_not1_saveexec_b32 s3, s3
; %bb.137:
	v_add_nc_u64_e32 v[44:45], v[2:3], v[0:1]
; %bb.138:
	s_or_b32 exec_lo, exec_lo, s3
	s_delay_alu instid0(VALU_DEP_1) | instskip(SKIP_4) | instid1(SALU_CYCLE_1)
	v_lshl_add_u64 v[44:45], v[44:45], 2, s[10:11]
	s_wait_dscnt 0x6
	global_store_b32 v[44:45], v14, off
	s_wait_xcnt 0x0
	s_or_b32 exec_lo, exec_lo, s1
	s_mov_b32 s1, exec_lo
	v_cmpx_gt_u32_e64 s22, v40
	s_cbranch_execnz .LBB1104_170
.LBB1104_139:
	s_or_b32 exec_lo, exec_lo, s1
	s_delay_alu instid0(SALU_CYCLE_1)
	s_mov_b32 s1, exec_lo
	v_cmpx_gt_u32_e64 s22, v38
	s_cbranch_execz .LBB1104_175
.LBB1104_140:
	s_mov_b32 s3, exec_lo
                                        ; implicit-def: $vgpr14_vgpr15
	v_cmpx_ge_u32_e64 v38, v16
	s_xor_b32 s3, exec_lo, s3
	s_cbranch_execz .LBB1104_142
; %bb.141:
	s_wait_dscnt 0x6
	v_xor_b32_e32 v14, 0xfffffdff, v0
                                        ; implicit-def: $vgpr38_vgpr39
	s_delay_alu instid0(VALU_DEP_1) | instskip(NEXT) | instid1(VALU_DEP_1)
	v_ashrrev_i32_e32 v15, 31, v14
	v_add_nc_u64_e32 v[14:15], v[42:43], v[14:15]
.LBB1104_142:
	s_and_not1_saveexec_b32 s3, s3
	s_cbranch_execz .LBB1104_144
; %bb.143:
	s_wait_dscnt 0x6
	v_add_nc_u64_e32 v[14:15], v[2:3], v[38:39]
.LBB1104_144:
	s_or_b32 exec_lo, exec_lo, s3
	s_wait_dscnt 0x6
	s_delay_alu instid0(VALU_DEP_1) | instskip(SKIP_4) | instid1(SALU_CYCLE_1)
	v_lshl_add_u64 v[14:15], v[14:15], 2, s[10:11]
	s_wait_dscnt 0x5
	global_store_b32 v[14:15], v12, off
	s_wait_xcnt 0x0
	s_or_b32 exec_lo, exec_lo, s1
	s_mov_b32 s1, exec_lo
	v_cmpx_gt_u32_e64 s22, v36
	s_cbranch_execnz .LBB1104_176
.LBB1104_145:
	s_or_b32 exec_lo, exec_lo, s1
	s_delay_alu instid0(SALU_CYCLE_1)
	s_mov_b32 s1, exec_lo
	v_cmpx_gt_u32_e64 s22, v34
	s_cbranch_execz .LBB1104_181
.LBB1104_146:
	s_mov_b32 s3, exec_lo
                                        ; implicit-def: $vgpr12_vgpr13
	v_cmpx_ge_u32_e64 v34, v16
	s_xor_b32 s3, exec_lo, s3
	s_cbranch_execz .LBB1104_148
; %bb.147:
	s_wait_dscnt 0x5
	v_xor_b32_e32 v12, 0xfffffbff, v0
                                        ; implicit-def: $vgpr34_vgpr35
	s_delay_alu instid0(VALU_DEP_1) | instskip(NEXT) | instid1(VALU_DEP_1)
	v_ashrrev_i32_e32 v13, 31, v12
	v_add_nc_u64_e32 v[12:13], v[42:43], v[12:13]
.LBB1104_148:
	s_and_not1_saveexec_b32 s3, s3
	s_cbranch_execz .LBB1104_150
; %bb.149:
	s_wait_dscnt 0x5
	v_add_nc_u64_e32 v[12:13], v[2:3], v[34:35]
.LBB1104_150:
	s_or_b32 exec_lo, exec_lo, s3
	s_wait_dscnt 0x5
	s_delay_alu instid0(VALU_DEP_1) | instskip(SKIP_4) | instid1(SALU_CYCLE_1)
	v_lshl_add_u64 v[12:13], v[12:13], 2, s[10:11]
	s_wait_dscnt 0x4
	global_store_b32 v[12:13], v10, off
	s_wait_xcnt 0x0
	s_or_b32 exec_lo, exec_lo, s1
	s_mov_b32 s1, exec_lo
	v_cmpx_gt_u32_e64 s22, v32
	s_cbranch_execnz .LBB1104_182
.LBB1104_151:
	s_or_b32 exec_lo, exec_lo, s1
	s_delay_alu instid0(SALU_CYCLE_1)
	s_mov_b32 s1, exec_lo
	v_cmpx_gt_u32_e64 s22, v30
	s_cbranch_execz .LBB1104_187
.LBB1104_152:
	s_mov_b32 s3, exec_lo
                                        ; implicit-def: $vgpr10_vgpr11
	v_cmpx_ge_u32_e64 v30, v16
	s_xor_b32 s3, exec_lo, s3
	s_cbranch_execz .LBB1104_154
; %bb.153:
	s_wait_dscnt 0x4
	v_xor_b32_e32 v10, 0xfffff9ff, v0
                                        ; implicit-def: $vgpr30_vgpr31
	s_delay_alu instid0(VALU_DEP_1) | instskip(NEXT) | instid1(VALU_DEP_1)
	v_ashrrev_i32_e32 v11, 31, v10
	v_add_nc_u64_e32 v[10:11], v[42:43], v[10:11]
.LBB1104_154:
	s_and_not1_saveexec_b32 s3, s3
	s_cbranch_execz .LBB1104_156
; %bb.155:
	s_wait_dscnt 0x4
	v_add_nc_u64_e32 v[10:11], v[2:3], v[30:31]
.LBB1104_156:
	s_or_b32 exec_lo, exec_lo, s3
	s_wait_dscnt 0x4
	s_delay_alu instid0(VALU_DEP_1) | instskip(SKIP_4) | instid1(SALU_CYCLE_1)
	v_lshl_add_u64 v[10:11], v[10:11], 2, s[10:11]
	s_wait_dscnt 0x3
	global_store_b32 v[10:11], v8, off
	s_wait_xcnt 0x0
	s_or_b32 exec_lo, exec_lo, s1
	s_mov_b32 s1, exec_lo
	v_cmpx_gt_u32_e64 s22, v28
	s_cbranch_execnz .LBB1104_188
.LBB1104_157:
	s_or_b32 exec_lo, exec_lo, s1
	s_delay_alu instid0(SALU_CYCLE_1)
	s_mov_b32 s1, exec_lo
	v_cmpx_gt_u32_e64 s22, v26
	s_cbranch_execz .LBB1104_193
.LBB1104_158:
	s_mov_b32 s3, exec_lo
                                        ; implicit-def: $vgpr8_vgpr9
	v_cmpx_ge_u32_e64 v26, v16
	s_xor_b32 s3, exec_lo, s3
	s_cbranch_execz .LBB1104_160
; %bb.159:
	s_wait_dscnt 0x3
	v_xor_b32_e32 v8, 0xfffff7ff, v0
                                        ; implicit-def: $vgpr26_vgpr27
	s_delay_alu instid0(VALU_DEP_1) | instskip(NEXT) | instid1(VALU_DEP_1)
	v_ashrrev_i32_e32 v9, 31, v8
	v_add_nc_u64_e32 v[8:9], v[42:43], v[8:9]
.LBB1104_160:
	s_and_not1_saveexec_b32 s3, s3
	s_cbranch_execz .LBB1104_162
; %bb.161:
	s_wait_dscnt 0x3
	v_add_nc_u64_e32 v[8:9], v[2:3], v[26:27]
.LBB1104_162:
	s_or_b32 exec_lo, exec_lo, s3
	s_wait_dscnt 0x3
	s_delay_alu instid0(VALU_DEP_1) | instskip(SKIP_4) | instid1(SALU_CYCLE_1)
	v_lshl_add_u64 v[8:9], v[8:9], 2, s[10:11]
	s_wait_dscnt 0x2
	global_store_b32 v[8:9], v6, off
	s_wait_xcnt 0x0
	s_or_b32 exec_lo, exec_lo, s1
	s_mov_b32 s1, exec_lo
	v_cmpx_gt_u32_e64 s22, v24
	s_cbranch_execnz .LBB1104_194
.LBB1104_163:
	s_or_b32 exec_lo, exec_lo, s1
	s_delay_alu instid0(SALU_CYCLE_1)
	s_mov_b32 s1, exec_lo
	v_cmpx_gt_u32_e64 s22, v22
	s_cbranch_execz .LBB1104_199
.LBB1104_164:
	s_mov_b32 s3, exec_lo
                                        ; implicit-def: $vgpr6_vgpr7
	v_cmpx_ge_u32_e64 v22, v16
	s_xor_b32 s3, exec_lo, s3
	s_cbranch_execz .LBB1104_166
; %bb.165:
	s_wait_dscnt 0x2
	v_xor_b32_e32 v6, 0xfffff5ff, v0
                                        ; implicit-def: $vgpr22_vgpr23
	s_delay_alu instid0(VALU_DEP_1) | instskip(NEXT) | instid1(VALU_DEP_1)
	v_ashrrev_i32_e32 v7, 31, v6
	v_add_nc_u64_e32 v[6:7], v[42:43], v[6:7]
.LBB1104_166:
	s_and_not1_saveexec_b32 s3, s3
	s_cbranch_execz .LBB1104_168
; %bb.167:
	s_wait_dscnt 0x2
	v_add_nc_u64_e32 v[6:7], v[2:3], v[22:23]
.LBB1104_168:
	s_or_b32 exec_lo, exec_lo, s3
	s_wait_dscnt 0x2
	s_delay_alu instid0(VALU_DEP_1) | instskip(SKIP_4) | instid1(SALU_CYCLE_1)
	v_lshl_add_u64 v[6:7], v[6:7], 2, s[10:11]
	s_wait_dscnt 0x1
	global_store_b32 v[6:7], v4, off
	s_wait_xcnt 0x0
	s_or_b32 exec_lo, exec_lo, s1
	s_mov_b32 s1, exec_lo
	v_cmpx_gt_u32_e64 s22, v20
	s_cbranch_execz .LBB1104_205
	s_branch .LBB1104_200
.LBB1104_169:
	s_or_b32 exec_lo, exec_lo, s1
	s_delay_alu instid0(SALU_CYCLE_1)
	s_mov_b32 s1, exec_lo
	v_cmpx_gt_u32_e64 s22, v40
	s_cbranch_execz .LBB1104_139
.LBB1104_170:
	s_mov_b32 s3, exec_lo
                                        ; implicit-def: $vgpr44_vgpr45
	v_cmpx_ge_u32_e64 v40, v16
	s_xor_b32 s3, exec_lo, s3
; %bb.171:
	v_xor_b32_e32 v40, 0xfffffeff, v0
	s_delay_alu instid0(VALU_DEP_1) | instskip(NEXT) | instid1(VALU_DEP_1)
	v_ashrrev_i32_e32 v41, 31, v40
	v_add_nc_u64_e32 v[44:45], v[42:43], v[40:41]
                                        ; implicit-def: $vgpr40_vgpr41
; %bb.172:
	s_and_not1_saveexec_b32 s3, s3
; %bb.173:
	v_add_nc_u64_e32 v[44:45], v[2:3], v[40:41]
; %bb.174:
	s_or_b32 exec_lo, exec_lo, s3
	s_delay_alu instid0(VALU_DEP_1) | instskip(SKIP_4) | instid1(SALU_CYCLE_1)
	v_lshl_add_u64 v[40:41], v[44:45], 2, s[10:11]
	s_wait_dscnt 0x6
	global_store_b32 v[40:41], v15, off
	s_wait_xcnt 0x0
	s_or_b32 exec_lo, exec_lo, s1
	s_mov_b32 s1, exec_lo
	v_cmpx_gt_u32_e64 s22, v38
	s_cbranch_execnz .LBB1104_140
.LBB1104_175:
	s_or_b32 exec_lo, exec_lo, s1
	s_delay_alu instid0(SALU_CYCLE_1)
	s_mov_b32 s1, exec_lo
	v_cmpx_gt_u32_e64 s22, v36
	s_cbranch_execz .LBB1104_145
.LBB1104_176:
	s_mov_b32 s3, exec_lo
                                        ; implicit-def: $vgpr14_vgpr15
	v_cmpx_ge_u32_e64 v36, v16
	s_xor_b32 s3, exec_lo, s3
	s_cbranch_execz .LBB1104_178
; %bb.177:
	s_wait_dscnt 0x6
	v_xor_b32_e32 v14, 0xfffffcff, v0
                                        ; implicit-def: $vgpr36_vgpr37
	s_delay_alu instid0(VALU_DEP_1) | instskip(NEXT) | instid1(VALU_DEP_1)
	v_ashrrev_i32_e32 v15, 31, v14
	v_add_nc_u64_e32 v[14:15], v[42:43], v[14:15]
.LBB1104_178:
	s_and_not1_saveexec_b32 s3, s3
	s_cbranch_execz .LBB1104_180
; %bb.179:
	s_wait_dscnt 0x6
	v_add_nc_u64_e32 v[14:15], v[2:3], v[36:37]
.LBB1104_180:
	s_or_b32 exec_lo, exec_lo, s3
	s_wait_dscnt 0x6
	s_delay_alu instid0(VALU_DEP_1) | instskip(SKIP_4) | instid1(SALU_CYCLE_1)
	v_lshl_add_u64 v[14:15], v[14:15], 2, s[10:11]
	s_wait_dscnt 0x5
	global_store_b32 v[14:15], v13, off
	s_wait_xcnt 0x0
	s_or_b32 exec_lo, exec_lo, s1
	s_mov_b32 s1, exec_lo
	v_cmpx_gt_u32_e64 s22, v34
	s_cbranch_execnz .LBB1104_146
.LBB1104_181:
	s_or_b32 exec_lo, exec_lo, s1
	s_delay_alu instid0(SALU_CYCLE_1)
	s_mov_b32 s1, exec_lo
	v_cmpx_gt_u32_e64 s22, v32
	s_cbranch_execz .LBB1104_151
.LBB1104_182:
	s_mov_b32 s3, exec_lo
                                        ; implicit-def: $vgpr12_vgpr13
	v_cmpx_ge_u32_e64 v32, v16
	s_xor_b32 s3, exec_lo, s3
	s_cbranch_execz .LBB1104_184
; %bb.183:
	s_wait_dscnt 0x5
	v_xor_b32_e32 v12, 0xfffffaff, v0
                                        ; implicit-def: $vgpr32_vgpr33
	s_delay_alu instid0(VALU_DEP_1) | instskip(NEXT) | instid1(VALU_DEP_1)
	v_ashrrev_i32_e32 v13, 31, v12
	v_add_nc_u64_e32 v[12:13], v[42:43], v[12:13]
.LBB1104_184:
	s_and_not1_saveexec_b32 s3, s3
	s_cbranch_execz .LBB1104_186
; %bb.185:
	s_wait_dscnt 0x5
	v_add_nc_u64_e32 v[12:13], v[2:3], v[32:33]
.LBB1104_186:
	s_or_b32 exec_lo, exec_lo, s3
	s_wait_dscnt 0x5
	s_delay_alu instid0(VALU_DEP_1) | instskip(SKIP_4) | instid1(SALU_CYCLE_1)
	v_lshl_add_u64 v[12:13], v[12:13], 2, s[10:11]
	s_wait_dscnt 0x4
	global_store_b32 v[12:13], v11, off
	s_wait_xcnt 0x0
	s_or_b32 exec_lo, exec_lo, s1
	s_mov_b32 s1, exec_lo
	v_cmpx_gt_u32_e64 s22, v30
	s_cbranch_execnz .LBB1104_152
.LBB1104_187:
	s_or_b32 exec_lo, exec_lo, s1
	s_delay_alu instid0(SALU_CYCLE_1)
	s_mov_b32 s1, exec_lo
	v_cmpx_gt_u32_e64 s22, v28
	s_cbranch_execz .LBB1104_157
.LBB1104_188:
	s_mov_b32 s3, exec_lo
                                        ; implicit-def: $vgpr10_vgpr11
	v_cmpx_ge_u32_e64 v28, v16
	s_xor_b32 s3, exec_lo, s3
	s_cbranch_execz .LBB1104_190
; %bb.189:
	s_wait_dscnt 0x4
	v_xor_b32_e32 v10, 0xfffff8ff, v0
                                        ; implicit-def: $vgpr28_vgpr29
	s_delay_alu instid0(VALU_DEP_1) | instskip(NEXT) | instid1(VALU_DEP_1)
	v_ashrrev_i32_e32 v11, 31, v10
	v_add_nc_u64_e32 v[10:11], v[42:43], v[10:11]
.LBB1104_190:
	s_and_not1_saveexec_b32 s3, s3
	s_cbranch_execz .LBB1104_192
; %bb.191:
	s_wait_dscnt 0x4
	v_add_nc_u64_e32 v[10:11], v[2:3], v[28:29]
.LBB1104_192:
	s_or_b32 exec_lo, exec_lo, s3
	s_wait_dscnt 0x4
	s_delay_alu instid0(VALU_DEP_1) | instskip(SKIP_4) | instid1(SALU_CYCLE_1)
	v_lshl_add_u64 v[10:11], v[10:11], 2, s[10:11]
	s_wait_dscnt 0x3
	global_store_b32 v[10:11], v9, off
	s_wait_xcnt 0x0
	s_or_b32 exec_lo, exec_lo, s1
	s_mov_b32 s1, exec_lo
	v_cmpx_gt_u32_e64 s22, v26
	s_cbranch_execnz .LBB1104_158
.LBB1104_193:
	s_or_b32 exec_lo, exec_lo, s1
	s_delay_alu instid0(SALU_CYCLE_1)
	s_mov_b32 s1, exec_lo
	v_cmpx_gt_u32_e64 s22, v24
	s_cbranch_execz .LBB1104_163
.LBB1104_194:
	s_mov_b32 s3, exec_lo
                                        ; implicit-def: $vgpr8_vgpr9
	v_cmpx_ge_u32_e64 v24, v16
	s_xor_b32 s3, exec_lo, s3
	s_cbranch_execz .LBB1104_196
; %bb.195:
	s_wait_dscnt 0x3
	v_xor_b32_e32 v8, 0xfffff6ff, v0
                                        ; implicit-def: $vgpr24_vgpr25
	s_delay_alu instid0(VALU_DEP_1) | instskip(NEXT) | instid1(VALU_DEP_1)
	v_ashrrev_i32_e32 v9, 31, v8
	v_add_nc_u64_e32 v[8:9], v[42:43], v[8:9]
.LBB1104_196:
	s_and_not1_saveexec_b32 s3, s3
	s_cbranch_execz .LBB1104_198
; %bb.197:
	s_wait_dscnt 0x3
	v_add_nc_u64_e32 v[8:9], v[2:3], v[24:25]
.LBB1104_198:
	s_or_b32 exec_lo, exec_lo, s3
	s_wait_dscnt 0x3
	s_delay_alu instid0(VALU_DEP_1) | instskip(SKIP_4) | instid1(SALU_CYCLE_1)
	v_lshl_add_u64 v[8:9], v[8:9], 2, s[10:11]
	s_wait_dscnt 0x2
	global_store_b32 v[8:9], v7, off
	s_wait_xcnt 0x0
	s_or_b32 exec_lo, exec_lo, s1
	s_mov_b32 s1, exec_lo
	v_cmpx_gt_u32_e64 s22, v22
	s_cbranch_execnz .LBB1104_164
.LBB1104_199:
	s_or_b32 exec_lo, exec_lo, s1
	s_delay_alu instid0(SALU_CYCLE_1)
	s_mov_b32 s1, exec_lo
	v_cmpx_gt_u32_e64 s22, v20
	s_cbranch_execz .LBB1104_205
.LBB1104_200:
	s_mov_b32 s3, exec_lo
                                        ; implicit-def: $vgpr6_vgpr7
	v_cmpx_ge_u32_e64 v20, v16
	s_xor_b32 s3, exec_lo, s3
	s_cbranch_execz .LBB1104_202
; %bb.201:
	s_wait_dscnt 0x2
	v_xor_b32_e32 v6, 0xfffff4ff, v0
                                        ; implicit-def: $vgpr20_vgpr21
	s_delay_alu instid0(VALU_DEP_1) | instskip(NEXT) | instid1(VALU_DEP_1)
	v_ashrrev_i32_e32 v7, 31, v6
	v_add_nc_u64_e32 v[6:7], v[42:43], v[6:7]
.LBB1104_202:
	s_and_not1_saveexec_b32 s3, s3
	s_cbranch_execz .LBB1104_204
; %bb.203:
	s_wait_dscnt 0x2
	v_add_nc_u64_e32 v[6:7], v[2:3], v[20:21]
.LBB1104_204:
	s_or_b32 exec_lo, exec_lo, s3
	s_wait_dscnt 0x2
	s_delay_alu instid0(VALU_DEP_1)
	v_lshl_add_u64 v[6:7], v[6:7], 2, s[10:11]
	s_wait_dscnt 0x1
	global_store_b32 v[6:7], v5, off
.LBB1104_205:
	s_wait_xcnt 0x0
	s_or_b32 exec_lo, exec_lo, s1
	s_delay_alu instid0(SALU_CYCLE_1)
	s_mov_b32 s1, exec_lo
                                        ; implicit-def: $vgpr44_vgpr45
	v_cmpx_gt_u32_e64 s22, v18
	s_cbranch_execz .LBB1104_211
; %bb.206:
	s_mov_b32 s3, exec_lo
                                        ; implicit-def: $vgpr44_vgpr45
	v_cmpx_ge_u32_e64 v18, v16
	s_xor_b32 s3, exec_lo, s3
; %bb.207:
	v_xor_b32_e32 v0, 0xfffff3ff, v0
                                        ; implicit-def: $vgpr18_vgpr19
	s_delay_alu instid0(VALU_DEP_1) | instskip(NEXT) | instid1(VALU_DEP_1)
	v_ashrrev_i32_e32 v1, 31, v0
	v_add_nc_u64_e32 v[44:45], v[42:43], v[0:1]
; %bb.208:
	s_and_not1_saveexec_b32 s3, s3
; %bb.209:
	v_add_nc_u64_e32 v[44:45], v[2:3], v[18:19]
; %bb.210:
	s_or_b32 exec_lo, exec_lo, s3
	s_delay_alu instid0(SALU_CYCLE_1)
	s_or_b32 s0, s0, exec_lo
.LBB1104_211:
	s_or_b32 exec_lo, exec_lo, s1
	s_and_saveexec_b32 s1, s0
	s_cbranch_execnz .LBB1104_130
.LBB1104_212:
	s_or_b32 exec_lo, exec_lo, s1
	s_and_b32 s0, s2, s9
	s_delay_alu instid0(SALU_CYCLE_1)
	s_and_saveexec_b32 s1, s0
	s_cbranch_execz .LBB1104_131
.LBB1104_213:
	v_mov_b32_e32 v17, 0
	s_delay_alu instid0(VALU_DEP_1)
	v_add_nc_u64_e32 v[0:1], v[2:3], v[16:17]
	global_store_b64 v17, v[0:1], s[12:13]
	s_sendmsg sendmsg(MSG_DEALLOC_VGPRS)
	s_endpgm
	.section	.rodata,"a",@progbits
	.p2align	6, 0x0
	.amdhsa_kernel _ZN7rocprim17ROCPRIM_400000_NS6detail17trampoline_kernelINS0_13select_configILj256ELj13ELNS0_17block_load_methodE3ELS4_3ELS4_3ELNS0_20block_scan_algorithmE0ELj4294967295EEENS1_25partition_config_selectorILNS1_17partition_subalgoE3EjNS0_10empty_typeEbEEZZNS1_14partition_implILS8_3ELb0ES6_jNS0_17counting_iteratorIjlEEPS9_SE_NS0_5tupleIJPjSE_EEENSF_IJSE_SE_EEES9_SG_JZNS1_25segmented_radix_sort_implINS0_14default_configELb1EPKdPdPKlPlN2at6native12_GLOBAL__N_18offset_tEEE10hipError_tPvRmT1_PNSt15iterator_traitsISY_E10value_typeET2_T3_PNSZ_IS14_E10value_typeET4_jRbjT5_S1A_jjP12ihipStream_tbEUljE_EEESV_SW_SX_S14_S18_S1A_T6_T7_T9_mT8_S1C_bDpT10_ENKUlT_T0_E_clISt17integral_constantIbLb0EES1O_IbLb1EEEEDaS1K_S1L_EUlS1K_E_NS1_11comp_targetILNS1_3genE0ELNS1_11target_archE4294967295ELNS1_3gpuE0ELNS1_3repE0EEENS1_30default_config_static_selectorELNS0_4arch9wavefront6targetE0EEEvSY_
		.amdhsa_group_segment_fixed_size 13320
		.amdhsa_private_segment_fixed_size 0
		.amdhsa_kernarg_size 152
		.amdhsa_user_sgpr_count 2
		.amdhsa_user_sgpr_dispatch_ptr 0
		.amdhsa_user_sgpr_queue_ptr 0
		.amdhsa_user_sgpr_kernarg_segment_ptr 1
		.amdhsa_user_sgpr_dispatch_id 0
		.amdhsa_user_sgpr_kernarg_preload_length 0
		.amdhsa_user_sgpr_kernarg_preload_offset 0
		.amdhsa_user_sgpr_private_segment_size 0
		.amdhsa_wavefront_size32 1
		.amdhsa_uses_dynamic_stack 0
		.amdhsa_enable_private_segment 0
		.amdhsa_system_sgpr_workgroup_id_x 1
		.amdhsa_system_sgpr_workgroup_id_y 0
		.amdhsa_system_sgpr_workgroup_id_z 0
		.amdhsa_system_sgpr_workgroup_info 0
		.amdhsa_system_vgpr_workitem_id 0
		.amdhsa_next_free_vgpr 72
		.amdhsa_next_free_sgpr 24
		.amdhsa_named_barrier_count 0
		.amdhsa_reserve_vcc 1
		.amdhsa_float_round_mode_32 0
		.amdhsa_float_round_mode_16_64 0
		.amdhsa_float_denorm_mode_32 3
		.amdhsa_float_denorm_mode_16_64 3
		.amdhsa_fp16_overflow 0
		.amdhsa_memory_ordered 1
		.amdhsa_forward_progress 1
		.amdhsa_inst_pref_size 71
		.amdhsa_round_robin_scheduling 0
		.amdhsa_exception_fp_ieee_invalid_op 0
		.amdhsa_exception_fp_denorm_src 0
		.amdhsa_exception_fp_ieee_div_zero 0
		.amdhsa_exception_fp_ieee_overflow 0
		.amdhsa_exception_fp_ieee_underflow 0
		.amdhsa_exception_fp_ieee_inexact 0
		.amdhsa_exception_int_div_zero 0
	.end_amdhsa_kernel
	.section	.text._ZN7rocprim17ROCPRIM_400000_NS6detail17trampoline_kernelINS0_13select_configILj256ELj13ELNS0_17block_load_methodE3ELS4_3ELS4_3ELNS0_20block_scan_algorithmE0ELj4294967295EEENS1_25partition_config_selectorILNS1_17partition_subalgoE3EjNS0_10empty_typeEbEEZZNS1_14partition_implILS8_3ELb0ES6_jNS0_17counting_iteratorIjlEEPS9_SE_NS0_5tupleIJPjSE_EEENSF_IJSE_SE_EEES9_SG_JZNS1_25segmented_radix_sort_implINS0_14default_configELb1EPKdPdPKlPlN2at6native12_GLOBAL__N_18offset_tEEE10hipError_tPvRmT1_PNSt15iterator_traitsISY_E10value_typeET2_T3_PNSZ_IS14_E10value_typeET4_jRbjT5_S1A_jjP12ihipStream_tbEUljE_EEESV_SW_SX_S14_S18_S1A_T6_T7_T9_mT8_S1C_bDpT10_ENKUlT_T0_E_clISt17integral_constantIbLb0EES1O_IbLb1EEEEDaS1K_S1L_EUlS1K_E_NS1_11comp_targetILNS1_3genE0ELNS1_11target_archE4294967295ELNS1_3gpuE0ELNS1_3repE0EEENS1_30default_config_static_selectorELNS0_4arch9wavefront6targetE0EEEvSY_,"axG",@progbits,_ZN7rocprim17ROCPRIM_400000_NS6detail17trampoline_kernelINS0_13select_configILj256ELj13ELNS0_17block_load_methodE3ELS4_3ELS4_3ELNS0_20block_scan_algorithmE0ELj4294967295EEENS1_25partition_config_selectorILNS1_17partition_subalgoE3EjNS0_10empty_typeEbEEZZNS1_14partition_implILS8_3ELb0ES6_jNS0_17counting_iteratorIjlEEPS9_SE_NS0_5tupleIJPjSE_EEENSF_IJSE_SE_EEES9_SG_JZNS1_25segmented_radix_sort_implINS0_14default_configELb1EPKdPdPKlPlN2at6native12_GLOBAL__N_18offset_tEEE10hipError_tPvRmT1_PNSt15iterator_traitsISY_E10value_typeET2_T3_PNSZ_IS14_E10value_typeET4_jRbjT5_S1A_jjP12ihipStream_tbEUljE_EEESV_SW_SX_S14_S18_S1A_T6_T7_T9_mT8_S1C_bDpT10_ENKUlT_T0_E_clISt17integral_constantIbLb0EES1O_IbLb1EEEEDaS1K_S1L_EUlS1K_E_NS1_11comp_targetILNS1_3genE0ELNS1_11target_archE4294967295ELNS1_3gpuE0ELNS1_3repE0EEENS1_30default_config_static_selectorELNS0_4arch9wavefront6targetE0EEEvSY_,comdat
.Lfunc_end1104:
	.size	_ZN7rocprim17ROCPRIM_400000_NS6detail17trampoline_kernelINS0_13select_configILj256ELj13ELNS0_17block_load_methodE3ELS4_3ELS4_3ELNS0_20block_scan_algorithmE0ELj4294967295EEENS1_25partition_config_selectorILNS1_17partition_subalgoE3EjNS0_10empty_typeEbEEZZNS1_14partition_implILS8_3ELb0ES6_jNS0_17counting_iteratorIjlEEPS9_SE_NS0_5tupleIJPjSE_EEENSF_IJSE_SE_EEES9_SG_JZNS1_25segmented_radix_sort_implINS0_14default_configELb1EPKdPdPKlPlN2at6native12_GLOBAL__N_18offset_tEEE10hipError_tPvRmT1_PNSt15iterator_traitsISY_E10value_typeET2_T3_PNSZ_IS14_E10value_typeET4_jRbjT5_S1A_jjP12ihipStream_tbEUljE_EEESV_SW_SX_S14_S18_S1A_T6_T7_T9_mT8_S1C_bDpT10_ENKUlT_T0_E_clISt17integral_constantIbLb0EES1O_IbLb1EEEEDaS1K_S1L_EUlS1K_E_NS1_11comp_targetILNS1_3genE0ELNS1_11target_archE4294967295ELNS1_3gpuE0ELNS1_3repE0EEENS1_30default_config_static_selectorELNS0_4arch9wavefront6targetE0EEEvSY_, .Lfunc_end1104-_ZN7rocprim17ROCPRIM_400000_NS6detail17trampoline_kernelINS0_13select_configILj256ELj13ELNS0_17block_load_methodE3ELS4_3ELS4_3ELNS0_20block_scan_algorithmE0ELj4294967295EEENS1_25partition_config_selectorILNS1_17partition_subalgoE3EjNS0_10empty_typeEbEEZZNS1_14partition_implILS8_3ELb0ES6_jNS0_17counting_iteratorIjlEEPS9_SE_NS0_5tupleIJPjSE_EEENSF_IJSE_SE_EEES9_SG_JZNS1_25segmented_radix_sort_implINS0_14default_configELb1EPKdPdPKlPlN2at6native12_GLOBAL__N_18offset_tEEE10hipError_tPvRmT1_PNSt15iterator_traitsISY_E10value_typeET2_T3_PNSZ_IS14_E10value_typeET4_jRbjT5_S1A_jjP12ihipStream_tbEUljE_EEESV_SW_SX_S14_S18_S1A_T6_T7_T9_mT8_S1C_bDpT10_ENKUlT_T0_E_clISt17integral_constantIbLb0EES1O_IbLb1EEEEDaS1K_S1L_EUlS1K_E_NS1_11comp_targetILNS1_3genE0ELNS1_11target_archE4294967295ELNS1_3gpuE0ELNS1_3repE0EEENS1_30default_config_static_selectorELNS0_4arch9wavefront6targetE0EEEvSY_
                                        ; -- End function
	.set _ZN7rocprim17ROCPRIM_400000_NS6detail17trampoline_kernelINS0_13select_configILj256ELj13ELNS0_17block_load_methodE3ELS4_3ELS4_3ELNS0_20block_scan_algorithmE0ELj4294967295EEENS1_25partition_config_selectorILNS1_17partition_subalgoE3EjNS0_10empty_typeEbEEZZNS1_14partition_implILS8_3ELb0ES6_jNS0_17counting_iteratorIjlEEPS9_SE_NS0_5tupleIJPjSE_EEENSF_IJSE_SE_EEES9_SG_JZNS1_25segmented_radix_sort_implINS0_14default_configELb1EPKdPdPKlPlN2at6native12_GLOBAL__N_18offset_tEEE10hipError_tPvRmT1_PNSt15iterator_traitsISY_E10value_typeET2_T3_PNSZ_IS14_E10value_typeET4_jRbjT5_S1A_jjP12ihipStream_tbEUljE_EEESV_SW_SX_S14_S18_S1A_T6_T7_T9_mT8_S1C_bDpT10_ENKUlT_T0_E_clISt17integral_constantIbLb0EES1O_IbLb1EEEEDaS1K_S1L_EUlS1K_E_NS1_11comp_targetILNS1_3genE0ELNS1_11target_archE4294967295ELNS1_3gpuE0ELNS1_3repE0EEENS1_30default_config_static_selectorELNS0_4arch9wavefront6targetE0EEEvSY_.num_vgpr, 72
	.set _ZN7rocprim17ROCPRIM_400000_NS6detail17trampoline_kernelINS0_13select_configILj256ELj13ELNS0_17block_load_methodE3ELS4_3ELS4_3ELNS0_20block_scan_algorithmE0ELj4294967295EEENS1_25partition_config_selectorILNS1_17partition_subalgoE3EjNS0_10empty_typeEbEEZZNS1_14partition_implILS8_3ELb0ES6_jNS0_17counting_iteratorIjlEEPS9_SE_NS0_5tupleIJPjSE_EEENSF_IJSE_SE_EEES9_SG_JZNS1_25segmented_radix_sort_implINS0_14default_configELb1EPKdPdPKlPlN2at6native12_GLOBAL__N_18offset_tEEE10hipError_tPvRmT1_PNSt15iterator_traitsISY_E10value_typeET2_T3_PNSZ_IS14_E10value_typeET4_jRbjT5_S1A_jjP12ihipStream_tbEUljE_EEESV_SW_SX_S14_S18_S1A_T6_T7_T9_mT8_S1C_bDpT10_ENKUlT_T0_E_clISt17integral_constantIbLb0EES1O_IbLb1EEEEDaS1K_S1L_EUlS1K_E_NS1_11comp_targetILNS1_3genE0ELNS1_11target_archE4294967295ELNS1_3gpuE0ELNS1_3repE0EEENS1_30default_config_static_selectorELNS0_4arch9wavefront6targetE0EEEvSY_.num_agpr, 0
	.set _ZN7rocprim17ROCPRIM_400000_NS6detail17trampoline_kernelINS0_13select_configILj256ELj13ELNS0_17block_load_methodE3ELS4_3ELS4_3ELNS0_20block_scan_algorithmE0ELj4294967295EEENS1_25partition_config_selectorILNS1_17partition_subalgoE3EjNS0_10empty_typeEbEEZZNS1_14partition_implILS8_3ELb0ES6_jNS0_17counting_iteratorIjlEEPS9_SE_NS0_5tupleIJPjSE_EEENSF_IJSE_SE_EEES9_SG_JZNS1_25segmented_radix_sort_implINS0_14default_configELb1EPKdPdPKlPlN2at6native12_GLOBAL__N_18offset_tEEE10hipError_tPvRmT1_PNSt15iterator_traitsISY_E10value_typeET2_T3_PNSZ_IS14_E10value_typeET4_jRbjT5_S1A_jjP12ihipStream_tbEUljE_EEESV_SW_SX_S14_S18_S1A_T6_T7_T9_mT8_S1C_bDpT10_ENKUlT_T0_E_clISt17integral_constantIbLb0EES1O_IbLb1EEEEDaS1K_S1L_EUlS1K_E_NS1_11comp_targetILNS1_3genE0ELNS1_11target_archE4294967295ELNS1_3gpuE0ELNS1_3repE0EEENS1_30default_config_static_selectorELNS0_4arch9wavefront6targetE0EEEvSY_.numbered_sgpr, 24
	.set _ZN7rocprim17ROCPRIM_400000_NS6detail17trampoline_kernelINS0_13select_configILj256ELj13ELNS0_17block_load_methodE3ELS4_3ELS4_3ELNS0_20block_scan_algorithmE0ELj4294967295EEENS1_25partition_config_selectorILNS1_17partition_subalgoE3EjNS0_10empty_typeEbEEZZNS1_14partition_implILS8_3ELb0ES6_jNS0_17counting_iteratorIjlEEPS9_SE_NS0_5tupleIJPjSE_EEENSF_IJSE_SE_EEES9_SG_JZNS1_25segmented_radix_sort_implINS0_14default_configELb1EPKdPdPKlPlN2at6native12_GLOBAL__N_18offset_tEEE10hipError_tPvRmT1_PNSt15iterator_traitsISY_E10value_typeET2_T3_PNSZ_IS14_E10value_typeET4_jRbjT5_S1A_jjP12ihipStream_tbEUljE_EEESV_SW_SX_S14_S18_S1A_T6_T7_T9_mT8_S1C_bDpT10_ENKUlT_T0_E_clISt17integral_constantIbLb0EES1O_IbLb1EEEEDaS1K_S1L_EUlS1K_E_NS1_11comp_targetILNS1_3genE0ELNS1_11target_archE4294967295ELNS1_3gpuE0ELNS1_3repE0EEENS1_30default_config_static_selectorELNS0_4arch9wavefront6targetE0EEEvSY_.num_named_barrier, 0
	.set _ZN7rocprim17ROCPRIM_400000_NS6detail17trampoline_kernelINS0_13select_configILj256ELj13ELNS0_17block_load_methodE3ELS4_3ELS4_3ELNS0_20block_scan_algorithmE0ELj4294967295EEENS1_25partition_config_selectorILNS1_17partition_subalgoE3EjNS0_10empty_typeEbEEZZNS1_14partition_implILS8_3ELb0ES6_jNS0_17counting_iteratorIjlEEPS9_SE_NS0_5tupleIJPjSE_EEENSF_IJSE_SE_EEES9_SG_JZNS1_25segmented_radix_sort_implINS0_14default_configELb1EPKdPdPKlPlN2at6native12_GLOBAL__N_18offset_tEEE10hipError_tPvRmT1_PNSt15iterator_traitsISY_E10value_typeET2_T3_PNSZ_IS14_E10value_typeET4_jRbjT5_S1A_jjP12ihipStream_tbEUljE_EEESV_SW_SX_S14_S18_S1A_T6_T7_T9_mT8_S1C_bDpT10_ENKUlT_T0_E_clISt17integral_constantIbLb0EES1O_IbLb1EEEEDaS1K_S1L_EUlS1K_E_NS1_11comp_targetILNS1_3genE0ELNS1_11target_archE4294967295ELNS1_3gpuE0ELNS1_3repE0EEENS1_30default_config_static_selectorELNS0_4arch9wavefront6targetE0EEEvSY_.private_seg_size, 0
	.set _ZN7rocprim17ROCPRIM_400000_NS6detail17trampoline_kernelINS0_13select_configILj256ELj13ELNS0_17block_load_methodE3ELS4_3ELS4_3ELNS0_20block_scan_algorithmE0ELj4294967295EEENS1_25partition_config_selectorILNS1_17partition_subalgoE3EjNS0_10empty_typeEbEEZZNS1_14partition_implILS8_3ELb0ES6_jNS0_17counting_iteratorIjlEEPS9_SE_NS0_5tupleIJPjSE_EEENSF_IJSE_SE_EEES9_SG_JZNS1_25segmented_radix_sort_implINS0_14default_configELb1EPKdPdPKlPlN2at6native12_GLOBAL__N_18offset_tEEE10hipError_tPvRmT1_PNSt15iterator_traitsISY_E10value_typeET2_T3_PNSZ_IS14_E10value_typeET4_jRbjT5_S1A_jjP12ihipStream_tbEUljE_EEESV_SW_SX_S14_S18_S1A_T6_T7_T9_mT8_S1C_bDpT10_ENKUlT_T0_E_clISt17integral_constantIbLb0EES1O_IbLb1EEEEDaS1K_S1L_EUlS1K_E_NS1_11comp_targetILNS1_3genE0ELNS1_11target_archE4294967295ELNS1_3gpuE0ELNS1_3repE0EEENS1_30default_config_static_selectorELNS0_4arch9wavefront6targetE0EEEvSY_.uses_vcc, 1
	.set _ZN7rocprim17ROCPRIM_400000_NS6detail17trampoline_kernelINS0_13select_configILj256ELj13ELNS0_17block_load_methodE3ELS4_3ELS4_3ELNS0_20block_scan_algorithmE0ELj4294967295EEENS1_25partition_config_selectorILNS1_17partition_subalgoE3EjNS0_10empty_typeEbEEZZNS1_14partition_implILS8_3ELb0ES6_jNS0_17counting_iteratorIjlEEPS9_SE_NS0_5tupleIJPjSE_EEENSF_IJSE_SE_EEES9_SG_JZNS1_25segmented_radix_sort_implINS0_14default_configELb1EPKdPdPKlPlN2at6native12_GLOBAL__N_18offset_tEEE10hipError_tPvRmT1_PNSt15iterator_traitsISY_E10value_typeET2_T3_PNSZ_IS14_E10value_typeET4_jRbjT5_S1A_jjP12ihipStream_tbEUljE_EEESV_SW_SX_S14_S18_S1A_T6_T7_T9_mT8_S1C_bDpT10_ENKUlT_T0_E_clISt17integral_constantIbLb0EES1O_IbLb1EEEEDaS1K_S1L_EUlS1K_E_NS1_11comp_targetILNS1_3genE0ELNS1_11target_archE4294967295ELNS1_3gpuE0ELNS1_3repE0EEENS1_30default_config_static_selectorELNS0_4arch9wavefront6targetE0EEEvSY_.uses_flat_scratch, 0
	.set _ZN7rocprim17ROCPRIM_400000_NS6detail17trampoline_kernelINS0_13select_configILj256ELj13ELNS0_17block_load_methodE3ELS4_3ELS4_3ELNS0_20block_scan_algorithmE0ELj4294967295EEENS1_25partition_config_selectorILNS1_17partition_subalgoE3EjNS0_10empty_typeEbEEZZNS1_14partition_implILS8_3ELb0ES6_jNS0_17counting_iteratorIjlEEPS9_SE_NS0_5tupleIJPjSE_EEENSF_IJSE_SE_EEES9_SG_JZNS1_25segmented_radix_sort_implINS0_14default_configELb1EPKdPdPKlPlN2at6native12_GLOBAL__N_18offset_tEEE10hipError_tPvRmT1_PNSt15iterator_traitsISY_E10value_typeET2_T3_PNSZ_IS14_E10value_typeET4_jRbjT5_S1A_jjP12ihipStream_tbEUljE_EEESV_SW_SX_S14_S18_S1A_T6_T7_T9_mT8_S1C_bDpT10_ENKUlT_T0_E_clISt17integral_constantIbLb0EES1O_IbLb1EEEEDaS1K_S1L_EUlS1K_E_NS1_11comp_targetILNS1_3genE0ELNS1_11target_archE4294967295ELNS1_3gpuE0ELNS1_3repE0EEENS1_30default_config_static_selectorELNS0_4arch9wavefront6targetE0EEEvSY_.has_dyn_sized_stack, 0
	.set _ZN7rocprim17ROCPRIM_400000_NS6detail17trampoline_kernelINS0_13select_configILj256ELj13ELNS0_17block_load_methodE3ELS4_3ELS4_3ELNS0_20block_scan_algorithmE0ELj4294967295EEENS1_25partition_config_selectorILNS1_17partition_subalgoE3EjNS0_10empty_typeEbEEZZNS1_14partition_implILS8_3ELb0ES6_jNS0_17counting_iteratorIjlEEPS9_SE_NS0_5tupleIJPjSE_EEENSF_IJSE_SE_EEES9_SG_JZNS1_25segmented_radix_sort_implINS0_14default_configELb1EPKdPdPKlPlN2at6native12_GLOBAL__N_18offset_tEEE10hipError_tPvRmT1_PNSt15iterator_traitsISY_E10value_typeET2_T3_PNSZ_IS14_E10value_typeET4_jRbjT5_S1A_jjP12ihipStream_tbEUljE_EEESV_SW_SX_S14_S18_S1A_T6_T7_T9_mT8_S1C_bDpT10_ENKUlT_T0_E_clISt17integral_constantIbLb0EES1O_IbLb1EEEEDaS1K_S1L_EUlS1K_E_NS1_11comp_targetILNS1_3genE0ELNS1_11target_archE4294967295ELNS1_3gpuE0ELNS1_3repE0EEENS1_30default_config_static_selectorELNS0_4arch9wavefront6targetE0EEEvSY_.has_recursion, 0
	.set _ZN7rocprim17ROCPRIM_400000_NS6detail17trampoline_kernelINS0_13select_configILj256ELj13ELNS0_17block_load_methodE3ELS4_3ELS4_3ELNS0_20block_scan_algorithmE0ELj4294967295EEENS1_25partition_config_selectorILNS1_17partition_subalgoE3EjNS0_10empty_typeEbEEZZNS1_14partition_implILS8_3ELb0ES6_jNS0_17counting_iteratorIjlEEPS9_SE_NS0_5tupleIJPjSE_EEENSF_IJSE_SE_EEES9_SG_JZNS1_25segmented_radix_sort_implINS0_14default_configELb1EPKdPdPKlPlN2at6native12_GLOBAL__N_18offset_tEEE10hipError_tPvRmT1_PNSt15iterator_traitsISY_E10value_typeET2_T3_PNSZ_IS14_E10value_typeET4_jRbjT5_S1A_jjP12ihipStream_tbEUljE_EEESV_SW_SX_S14_S18_S1A_T6_T7_T9_mT8_S1C_bDpT10_ENKUlT_T0_E_clISt17integral_constantIbLb0EES1O_IbLb1EEEEDaS1K_S1L_EUlS1K_E_NS1_11comp_targetILNS1_3genE0ELNS1_11target_archE4294967295ELNS1_3gpuE0ELNS1_3repE0EEENS1_30default_config_static_selectorELNS0_4arch9wavefront6targetE0EEEvSY_.has_indirect_call, 0
	.section	.AMDGPU.csdata,"",@progbits
; Kernel info:
; codeLenInByte = 9040
; TotalNumSgprs: 26
; NumVgprs: 72
; ScratchSize: 0
; MemoryBound: 0
; FloatMode: 240
; IeeeMode: 1
; LDSByteSize: 13320 bytes/workgroup (compile time only)
; SGPRBlocks: 0
; VGPRBlocks: 4
; NumSGPRsForWavesPerEU: 26
; NumVGPRsForWavesPerEU: 72
; NamedBarCnt: 0
; Occupancy: 12
; WaveLimiterHint : 0
; COMPUTE_PGM_RSRC2:SCRATCH_EN: 0
; COMPUTE_PGM_RSRC2:USER_SGPR: 2
; COMPUTE_PGM_RSRC2:TRAP_HANDLER: 0
; COMPUTE_PGM_RSRC2:TGID_X_EN: 1
; COMPUTE_PGM_RSRC2:TGID_Y_EN: 0
; COMPUTE_PGM_RSRC2:TGID_Z_EN: 0
; COMPUTE_PGM_RSRC2:TIDIG_COMP_CNT: 0
	.section	.text._ZN7rocprim17ROCPRIM_400000_NS6detail17trampoline_kernelINS0_13select_configILj256ELj13ELNS0_17block_load_methodE3ELS4_3ELS4_3ELNS0_20block_scan_algorithmE0ELj4294967295EEENS1_25partition_config_selectorILNS1_17partition_subalgoE3EjNS0_10empty_typeEbEEZZNS1_14partition_implILS8_3ELb0ES6_jNS0_17counting_iteratorIjlEEPS9_SE_NS0_5tupleIJPjSE_EEENSF_IJSE_SE_EEES9_SG_JZNS1_25segmented_radix_sort_implINS0_14default_configELb1EPKdPdPKlPlN2at6native12_GLOBAL__N_18offset_tEEE10hipError_tPvRmT1_PNSt15iterator_traitsISY_E10value_typeET2_T3_PNSZ_IS14_E10value_typeET4_jRbjT5_S1A_jjP12ihipStream_tbEUljE_EEESV_SW_SX_S14_S18_S1A_T6_T7_T9_mT8_S1C_bDpT10_ENKUlT_T0_E_clISt17integral_constantIbLb0EES1O_IbLb1EEEEDaS1K_S1L_EUlS1K_E_NS1_11comp_targetILNS1_3genE5ELNS1_11target_archE942ELNS1_3gpuE9ELNS1_3repE0EEENS1_30default_config_static_selectorELNS0_4arch9wavefront6targetE0EEEvSY_,"axG",@progbits,_ZN7rocprim17ROCPRIM_400000_NS6detail17trampoline_kernelINS0_13select_configILj256ELj13ELNS0_17block_load_methodE3ELS4_3ELS4_3ELNS0_20block_scan_algorithmE0ELj4294967295EEENS1_25partition_config_selectorILNS1_17partition_subalgoE3EjNS0_10empty_typeEbEEZZNS1_14partition_implILS8_3ELb0ES6_jNS0_17counting_iteratorIjlEEPS9_SE_NS0_5tupleIJPjSE_EEENSF_IJSE_SE_EEES9_SG_JZNS1_25segmented_radix_sort_implINS0_14default_configELb1EPKdPdPKlPlN2at6native12_GLOBAL__N_18offset_tEEE10hipError_tPvRmT1_PNSt15iterator_traitsISY_E10value_typeET2_T3_PNSZ_IS14_E10value_typeET4_jRbjT5_S1A_jjP12ihipStream_tbEUljE_EEESV_SW_SX_S14_S18_S1A_T6_T7_T9_mT8_S1C_bDpT10_ENKUlT_T0_E_clISt17integral_constantIbLb0EES1O_IbLb1EEEEDaS1K_S1L_EUlS1K_E_NS1_11comp_targetILNS1_3genE5ELNS1_11target_archE942ELNS1_3gpuE9ELNS1_3repE0EEENS1_30default_config_static_selectorELNS0_4arch9wavefront6targetE0EEEvSY_,comdat
	.globl	_ZN7rocprim17ROCPRIM_400000_NS6detail17trampoline_kernelINS0_13select_configILj256ELj13ELNS0_17block_load_methodE3ELS4_3ELS4_3ELNS0_20block_scan_algorithmE0ELj4294967295EEENS1_25partition_config_selectorILNS1_17partition_subalgoE3EjNS0_10empty_typeEbEEZZNS1_14partition_implILS8_3ELb0ES6_jNS0_17counting_iteratorIjlEEPS9_SE_NS0_5tupleIJPjSE_EEENSF_IJSE_SE_EEES9_SG_JZNS1_25segmented_radix_sort_implINS0_14default_configELb1EPKdPdPKlPlN2at6native12_GLOBAL__N_18offset_tEEE10hipError_tPvRmT1_PNSt15iterator_traitsISY_E10value_typeET2_T3_PNSZ_IS14_E10value_typeET4_jRbjT5_S1A_jjP12ihipStream_tbEUljE_EEESV_SW_SX_S14_S18_S1A_T6_T7_T9_mT8_S1C_bDpT10_ENKUlT_T0_E_clISt17integral_constantIbLb0EES1O_IbLb1EEEEDaS1K_S1L_EUlS1K_E_NS1_11comp_targetILNS1_3genE5ELNS1_11target_archE942ELNS1_3gpuE9ELNS1_3repE0EEENS1_30default_config_static_selectorELNS0_4arch9wavefront6targetE0EEEvSY_ ; -- Begin function _ZN7rocprim17ROCPRIM_400000_NS6detail17trampoline_kernelINS0_13select_configILj256ELj13ELNS0_17block_load_methodE3ELS4_3ELS4_3ELNS0_20block_scan_algorithmE0ELj4294967295EEENS1_25partition_config_selectorILNS1_17partition_subalgoE3EjNS0_10empty_typeEbEEZZNS1_14partition_implILS8_3ELb0ES6_jNS0_17counting_iteratorIjlEEPS9_SE_NS0_5tupleIJPjSE_EEENSF_IJSE_SE_EEES9_SG_JZNS1_25segmented_radix_sort_implINS0_14default_configELb1EPKdPdPKlPlN2at6native12_GLOBAL__N_18offset_tEEE10hipError_tPvRmT1_PNSt15iterator_traitsISY_E10value_typeET2_T3_PNSZ_IS14_E10value_typeET4_jRbjT5_S1A_jjP12ihipStream_tbEUljE_EEESV_SW_SX_S14_S18_S1A_T6_T7_T9_mT8_S1C_bDpT10_ENKUlT_T0_E_clISt17integral_constantIbLb0EES1O_IbLb1EEEEDaS1K_S1L_EUlS1K_E_NS1_11comp_targetILNS1_3genE5ELNS1_11target_archE942ELNS1_3gpuE9ELNS1_3repE0EEENS1_30default_config_static_selectorELNS0_4arch9wavefront6targetE0EEEvSY_
	.p2align	8
	.type	_ZN7rocprim17ROCPRIM_400000_NS6detail17trampoline_kernelINS0_13select_configILj256ELj13ELNS0_17block_load_methodE3ELS4_3ELS4_3ELNS0_20block_scan_algorithmE0ELj4294967295EEENS1_25partition_config_selectorILNS1_17partition_subalgoE3EjNS0_10empty_typeEbEEZZNS1_14partition_implILS8_3ELb0ES6_jNS0_17counting_iteratorIjlEEPS9_SE_NS0_5tupleIJPjSE_EEENSF_IJSE_SE_EEES9_SG_JZNS1_25segmented_radix_sort_implINS0_14default_configELb1EPKdPdPKlPlN2at6native12_GLOBAL__N_18offset_tEEE10hipError_tPvRmT1_PNSt15iterator_traitsISY_E10value_typeET2_T3_PNSZ_IS14_E10value_typeET4_jRbjT5_S1A_jjP12ihipStream_tbEUljE_EEESV_SW_SX_S14_S18_S1A_T6_T7_T9_mT8_S1C_bDpT10_ENKUlT_T0_E_clISt17integral_constantIbLb0EES1O_IbLb1EEEEDaS1K_S1L_EUlS1K_E_NS1_11comp_targetILNS1_3genE5ELNS1_11target_archE942ELNS1_3gpuE9ELNS1_3repE0EEENS1_30default_config_static_selectorELNS0_4arch9wavefront6targetE0EEEvSY_,@function
_ZN7rocprim17ROCPRIM_400000_NS6detail17trampoline_kernelINS0_13select_configILj256ELj13ELNS0_17block_load_methodE3ELS4_3ELS4_3ELNS0_20block_scan_algorithmE0ELj4294967295EEENS1_25partition_config_selectorILNS1_17partition_subalgoE3EjNS0_10empty_typeEbEEZZNS1_14partition_implILS8_3ELb0ES6_jNS0_17counting_iteratorIjlEEPS9_SE_NS0_5tupleIJPjSE_EEENSF_IJSE_SE_EEES9_SG_JZNS1_25segmented_radix_sort_implINS0_14default_configELb1EPKdPdPKlPlN2at6native12_GLOBAL__N_18offset_tEEE10hipError_tPvRmT1_PNSt15iterator_traitsISY_E10value_typeET2_T3_PNSZ_IS14_E10value_typeET4_jRbjT5_S1A_jjP12ihipStream_tbEUljE_EEESV_SW_SX_S14_S18_S1A_T6_T7_T9_mT8_S1C_bDpT10_ENKUlT_T0_E_clISt17integral_constantIbLb0EES1O_IbLb1EEEEDaS1K_S1L_EUlS1K_E_NS1_11comp_targetILNS1_3genE5ELNS1_11target_archE942ELNS1_3gpuE9ELNS1_3repE0EEENS1_30default_config_static_selectorELNS0_4arch9wavefront6targetE0EEEvSY_: ; @_ZN7rocprim17ROCPRIM_400000_NS6detail17trampoline_kernelINS0_13select_configILj256ELj13ELNS0_17block_load_methodE3ELS4_3ELS4_3ELNS0_20block_scan_algorithmE0ELj4294967295EEENS1_25partition_config_selectorILNS1_17partition_subalgoE3EjNS0_10empty_typeEbEEZZNS1_14partition_implILS8_3ELb0ES6_jNS0_17counting_iteratorIjlEEPS9_SE_NS0_5tupleIJPjSE_EEENSF_IJSE_SE_EEES9_SG_JZNS1_25segmented_radix_sort_implINS0_14default_configELb1EPKdPdPKlPlN2at6native12_GLOBAL__N_18offset_tEEE10hipError_tPvRmT1_PNSt15iterator_traitsISY_E10value_typeET2_T3_PNSZ_IS14_E10value_typeET4_jRbjT5_S1A_jjP12ihipStream_tbEUljE_EEESV_SW_SX_S14_S18_S1A_T6_T7_T9_mT8_S1C_bDpT10_ENKUlT_T0_E_clISt17integral_constantIbLb0EES1O_IbLb1EEEEDaS1K_S1L_EUlS1K_E_NS1_11comp_targetILNS1_3genE5ELNS1_11target_archE942ELNS1_3gpuE9ELNS1_3repE0EEENS1_30default_config_static_selectorELNS0_4arch9wavefront6targetE0EEEvSY_
; %bb.0:
	.section	.rodata,"a",@progbits
	.p2align	6, 0x0
	.amdhsa_kernel _ZN7rocprim17ROCPRIM_400000_NS6detail17trampoline_kernelINS0_13select_configILj256ELj13ELNS0_17block_load_methodE3ELS4_3ELS4_3ELNS0_20block_scan_algorithmE0ELj4294967295EEENS1_25partition_config_selectorILNS1_17partition_subalgoE3EjNS0_10empty_typeEbEEZZNS1_14partition_implILS8_3ELb0ES6_jNS0_17counting_iteratorIjlEEPS9_SE_NS0_5tupleIJPjSE_EEENSF_IJSE_SE_EEES9_SG_JZNS1_25segmented_radix_sort_implINS0_14default_configELb1EPKdPdPKlPlN2at6native12_GLOBAL__N_18offset_tEEE10hipError_tPvRmT1_PNSt15iterator_traitsISY_E10value_typeET2_T3_PNSZ_IS14_E10value_typeET4_jRbjT5_S1A_jjP12ihipStream_tbEUljE_EEESV_SW_SX_S14_S18_S1A_T6_T7_T9_mT8_S1C_bDpT10_ENKUlT_T0_E_clISt17integral_constantIbLb0EES1O_IbLb1EEEEDaS1K_S1L_EUlS1K_E_NS1_11comp_targetILNS1_3genE5ELNS1_11target_archE942ELNS1_3gpuE9ELNS1_3repE0EEENS1_30default_config_static_selectorELNS0_4arch9wavefront6targetE0EEEvSY_
		.amdhsa_group_segment_fixed_size 0
		.amdhsa_private_segment_fixed_size 0
		.amdhsa_kernarg_size 152
		.amdhsa_user_sgpr_count 2
		.amdhsa_user_sgpr_dispatch_ptr 0
		.amdhsa_user_sgpr_queue_ptr 0
		.amdhsa_user_sgpr_kernarg_segment_ptr 1
		.amdhsa_user_sgpr_dispatch_id 0
		.amdhsa_user_sgpr_kernarg_preload_length 0
		.amdhsa_user_sgpr_kernarg_preload_offset 0
		.amdhsa_user_sgpr_private_segment_size 0
		.amdhsa_wavefront_size32 1
		.amdhsa_uses_dynamic_stack 0
		.amdhsa_enable_private_segment 0
		.amdhsa_system_sgpr_workgroup_id_x 1
		.amdhsa_system_sgpr_workgroup_id_y 0
		.amdhsa_system_sgpr_workgroup_id_z 0
		.amdhsa_system_sgpr_workgroup_info 0
		.amdhsa_system_vgpr_workitem_id 0
		.amdhsa_next_free_vgpr 1
		.amdhsa_next_free_sgpr 1
		.amdhsa_named_barrier_count 0
		.amdhsa_reserve_vcc 0
		.amdhsa_float_round_mode_32 0
		.amdhsa_float_round_mode_16_64 0
		.amdhsa_float_denorm_mode_32 3
		.amdhsa_float_denorm_mode_16_64 3
		.amdhsa_fp16_overflow 0
		.amdhsa_memory_ordered 1
		.amdhsa_forward_progress 1
		.amdhsa_inst_pref_size 0
		.amdhsa_round_robin_scheduling 0
		.amdhsa_exception_fp_ieee_invalid_op 0
		.amdhsa_exception_fp_denorm_src 0
		.amdhsa_exception_fp_ieee_div_zero 0
		.amdhsa_exception_fp_ieee_overflow 0
		.amdhsa_exception_fp_ieee_underflow 0
		.amdhsa_exception_fp_ieee_inexact 0
		.amdhsa_exception_int_div_zero 0
	.end_amdhsa_kernel
	.section	.text._ZN7rocprim17ROCPRIM_400000_NS6detail17trampoline_kernelINS0_13select_configILj256ELj13ELNS0_17block_load_methodE3ELS4_3ELS4_3ELNS0_20block_scan_algorithmE0ELj4294967295EEENS1_25partition_config_selectorILNS1_17partition_subalgoE3EjNS0_10empty_typeEbEEZZNS1_14partition_implILS8_3ELb0ES6_jNS0_17counting_iteratorIjlEEPS9_SE_NS0_5tupleIJPjSE_EEENSF_IJSE_SE_EEES9_SG_JZNS1_25segmented_radix_sort_implINS0_14default_configELb1EPKdPdPKlPlN2at6native12_GLOBAL__N_18offset_tEEE10hipError_tPvRmT1_PNSt15iterator_traitsISY_E10value_typeET2_T3_PNSZ_IS14_E10value_typeET4_jRbjT5_S1A_jjP12ihipStream_tbEUljE_EEESV_SW_SX_S14_S18_S1A_T6_T7_T9_mT8_S1C_bDpT10_ENKUlT_T0_E_clISt17integral_constantIbLb0EES1O_IbLb1EEEEDaS1K_S1L_EUlS1K_E_NS1_11comp_targetILNS1_3genE5ELNS1_11target_archE942ELNS1_3gpuE9ELNS1_3repE0EEENS1_30default_config_static_selectorELNS0_4arch9wavefront6targetE0EEEvSY_,"axG",@progbits,_ZN7rocprim17ROCPRIM_400000_NS6detail17trampoline_kernelINS0_13select_configILj256ELj13ELNS0_17block_load_methodE3ELS4_3ELS4_3ELNS0_20block_scan_algorithmE0ELj4294967295EEENS1_25partition_config_selectorILNS1_17partition_subalgoE3EjNS0_10empty_typeEbEEZZNS1_14partition_implILS8_3ELb0ES6_jNS0_17counting_iteratorIjlEEPS9_SE_NS0_5tupleIJPjSE_EEENSF_IJSE_SE_EEES9_SG_JZNS1_25segmented_radix_sort_implINS0_14default_configELb1EPKdPdPKlPlN2at6native12_GLOBAL__N_18offset_tEEE10hipError_tPvRmT1_PNSt15iterator_traitsISY_E10value_typeET2_T3_PNSZ_IS14_E10value_typeET4_jRbjT5_S1A_jjP12ihipStream_tbEUljE_EEESV_SW_SX_S14_S18_S1A_T6_T7_T9_mT8_S1C_bDpT10_ENKUlT_T0_E_clISt17integral_constantIbLb0EES1O_IbLb1EEEEDaS1K_S1L_EUlS1K_E_NS1_11comp_targetILNS1_3genE5ELNS1_11target_archE942ELNS1_3gpuE9ELNS1_3repE0EEENS1_30default_config_static_selectorELNS0_4arch9wavefront6targetE0EEEvSY_,comdat
.Lfunc_end1105:
	.size	_ZN7rocprim17ROCPRIM_400000_NS6detail17trampoline_kernelINS0_13select_configILj256ELj13ELNS0_17block_load_methodE3ELS4_3ELS4_3ELNS0_20block_scan_algorithmE0ELj4294967295EEENS1_25partition_config_selectorILNS1_17partition_subalgoE3EjNS0_10empty_typeEbEEZZNS1_14partition_implILS8_3ELb0ES6_jNS0_17counting_iteratorIjlEEPS9_SE_NS0_5tupleIJPjSE_EEENSF_IJSE_SE_EEES9_SG_JZNS1_25segmented_radix_sort_implINS0_14default_configELb1EPKdPdPKlPlN2at6native12_GLOBAL__N_18offset_tEEE10hipError_tPvRmT1_PNSt15iterator_traitsISY_E10value_typeET2_T3_PNSZ_IS14_E10value_typeET4_jRbjT5_S1A_jjP12ihipStream_tbEUljE_EEESV_SW_SX_S14_S18_S1A_T6_T7_T9_mT8_S1C_bDpT10_ENKUlT_T0_E_clISt17integral_constantIbLb0EES1O_IbLb1EEEEDaS1K_S1L_EUlS1K_E_NS1_11comp_targetILNS1_3genE5ELNS1_11target_archE942ELNS1_3gpuE9ELNS1_3repE0EEENS1_30default_config_static_selectorELNS0_4arch9wavefront6targetE0EEEvSY_, .Lfunc_end1105-_ZN7rocprim17ROCPRIM_400000_NS6detail17trampoline_kernelINS0_13select_configILj256ELj13ELNS0_17block_load_methodE3ELS4_3ELS4_3ELNS0_20block_scan_algorithmE0ELj4294967295EEENS1_25partition_config_selectorILNS1_17partition_subalgoE3EjNS0_10empty_typeEbEEZZNS1_14partition_implILS8_3ELb0ES6_jNS0_17counting_iteratorIjlEEPS9_SE_NS0_5tupleIJPjSE_EEENSF_IJSE_SE_EEES9_SG_JZNS1_25segmented_radix_sort_implINS0_14default_configELb1EPKdPdPKlPlN2at6native12_GLOBAL__N_18offset_tEEE10hipError_tPvRmT1_PNSt15iterator_traitsISY_E10value_typeET2_T3_PNSZ_IS14_E10value_typeET4_jRbjT5_S1A_jjP12ihipStream_tbEUljE_EEESV_SW_SX_S14_S18_S1A_T6_T7_T9_mT8_S1C_bDpT10_ENKUlT_T0_E_clISt17integral_constantIbLb0EES1O_IbLb1EEEEDaS1K_S1L_EUlS1K_E_NS1_11comp_targetILNS1_3genE5ELNS1_11target_archE942ELNS1_3gpuE9ELNS1_3repE0EEENS1_30default_config_static_selectorELNS0_4arch9wavefront6targetE0EEEvSY_
                                        ; -- End function
	.set _ZN7rocprim17ROCPRIM_400000_NS6detail17trampoline_kernelINS0_13select_configILj256ELj13ELNS0_17block_load_methodE3ELS4_3ELS4_3ELNS0_20block_scan_algorithmE0ELj4294967295EEENS1_25partition_config_selectorILNS1_17partition_subalgoE3EjNS0_10empty_typeEbEEZZNS1_14partition_implILS8_3ELb0ES6_jNS0_17counting_iteratorIjlEEPS9_SE_NS0_5tupleIJPjSE_EEENSF_IJSE_SE_EEES9_SG_JZNS1_25segmented_radix_sort_implINS0_14default_configELb1EPKdPdPKlPlN2at6native12_GLOBAL__N_18offset_tEEE10hipError_tPvRmT1_PNSt15iterator_traitsISY_E10value_typeET2_T3_PNSZ_IS14_E10value_typeET4_jRbjT5_S1A_jjP12ihipStream_tbEUljE_EEESV_SW_SX_S14_S18_S1A_T6_T7_T9_mT8_S1C_bDpT10_ENKUlT_T0_E_clISt17integral_constantIbLb0EES1O_IbLb1EEEEDaS1K_S1L_EUlS1K_E_NS1_11comp_targetILNS1_3genE5ELNS1_11target_archE942ELNS1_3gpuE9ELNS1_3repE0EEENS1_30default_config_static_selectorELNS0_4arch9wavefront6targetE0EEEvSY_.num_vgpr, 0
	.set _ZN7rocprim17ROCPRIM_400000_NS6detail17trampoline_kernelINS0_13select_configILj256ELj13ELNS0_17block_load_methodE3ELS4_3ELS4_3ELNS0_20block_scan_algorithmE0ELj4294967295EEENS1_25partition_config_selectorILNS1_17partition_subalgoE3EjNS0_10empty_typeEbEEZZNS1_14partition_implILS8_3ELb0ES6_jNS0_17counting_iteratorIjlEEPS9_SE_NS0_5tupleIJPjSE_EEENSF_IJSE_SE_EEES9_SG_JZNS1_25segmented_radix_sort_implINS0_14default_configELb1EPKdPdPKlPlN2at6native12_GLOBAL__N_18offset_tEEE10hipError_tPvRmT1_PNSt15iterator_traitsISY_E10value_typeET2_T3_PNSZ_IS14_E10value_typeET4_jRbjT5_S1A_jjP12ihipStream_tbEUljE_EEESV_SW_SX_S14_S18_S1A_T6_T7_T9_mT8_S1C_bDpT10_ENKUlT_T0_E_clISt17integral_constantIbLb0EES1O_IbLb1EEEEDaS1K_S1L_EUlS1K_E_NS1_11comp_targetILNS1_3genE5ELNS1_11target_archE942ELNS1_3gpuE9ELNS1_3repE0EEENS1_30default_config_static_selectorELNS0_4arch9wavefront6targetE0EEEvSY_.num_agpr, 0
	.set _ZN7rocprim17ROCPRIM_400000_NS6detail17trampoline_kernelINS0_13select_configILj256ELj13ELNS0_17block_load_methodE3ELS4_3ELS4_3ELNS0_20block_scan_algorithmE0ELj4294967295EEENS1_25partition_config_selectorILNS1_17partition_subalgoE3EjNS0_10empty_typeEbEEZZNS1_14partition_implILS8_3ELb0ES6_jNS0_17counting_iteratorIjlEEPS9_SE_NS0_5tupleIJPjSE_EEENSF_IJSE_SE_EEES9_SG_JZNS1_25segmented_radix_sort_implINS0_14default_configELb1EPKdPdPKlPlN2at6native12_GLOBAL__N_18offset_tEEE10hipError_tPvRmT1_PNSt15iterator_traitsISY_E10value_typeET2_T3_PNSZ_IS14_E10value_typeET4_jRbjT5_S1A_jjP12ihipStream_tbEUljE_EEESV_SW_SX_S14_S18_S1A_T6_T7_T9_mT8_S1C_bDpT10_ENKUlT_T0_E_clISt17integral_constantIbLb0EES1O_IbLb1EEEEDaS1K_S1L_EUlS1K_E_NS1_11comp_targetILNS1_3genE5ELNS1_11target_archE942ELNS1_3gpuE9ELNS1_3repE0EEENS1_30default_config_static_selectorELNS0_4arch9wavefront6targetE0EEEvSY_.numbered_sgpr, 0
	.set _ZN7rocprim17ROCPRIM_400000_NS6detail17trampoline_kernelINS0_13select_configILj256ELj13ELNS0_17block_load_methodE3ELS4_3ELS4_3ELNS0_20block_scan_algorithmE0ELj4294967295EEENS1_25partition_config_selectorILNS1_17partition_subalgoE3EjNS0_10empty_typeEbEEZZNS1_14partition_implILS8_3ELb0ES6_jNS0_17counting_iteratorIjlEEPS9_SE_NS0_5tupleIJPjSE_EEENSF_IJSE_SE_EEES9_SG_JZNS1_25segmented_radix_sort_implINS0_14default_configELb1EPKdPdPKlPlN2at6native12_GLOBAL__N_18offset_tEEE10hipError_tPvRmT1_PNSt15iterator_traitsISY_E10value_typeET2_T3_PNSZ_IS14_E10value_typeET4_jRbjT5_S1A_jjP12ihipStream_tbEUljE_EEESV_SW_SX_S14_S18_S1A_T6_T7_T9_mT8_S1C_bDpT10_ENKUlT_T0_E_clISt17integral_constantIbLb0EES1O_IbLb1EEEEDaS1K_S1L_EUlS1K_E_NS1_11comp_targetILNS1_3genE5ELNS1_11target_archE942ELNS1_3gpuE9ELNS1_3repE0EEENS1_30default_config_static_selectorELNS0_4arch9wavefront6targetE0EEEvSY_.num_named_barrier, 0
	.set _ZN7rocprim17ROCPRIM_400000_NS6detail17trampoline_kernelINS0_13select_configILj256ELj13ELNS0_17block_load_methodE3ELS4_3ELS4_3ELNS0_20block_scan_algorithmE0ELj4294967295EEENS1_25partition_config_selectorILNS1_17partition_subalgoE3EjNS0_10empty_typeEbEEZZNS1_14partition_implILS8_3ELb0ES6_jNS0_17counting_iteratorIjlEEPS9_SE_NS0_5tupleIJPjSE_EEENSF_IJSE_SE_EEES9_SG_JZNS1_25segmented_radix_sort_implINS0_14default_configELb1EPKdPdPKlPlN2at6native12_GLOBAL__N_18offset_tEEE10hipError_tPvRmT1_PNSt15iterator_traitsISY_E10value_typeET2_T3_PNSZ_IS14_E10value_typeET4_jRbjT5_S1A_jjP12ihipStream_tbEUljE_EEESV_SW_SX_S14_S18_S1A_T6_T7_T9_mT8_S1C_bDpT10_ENKUlT_T0_E_clISt17integral_constantIbLb0EES1O_IbLb1EEEEDaS1K_S1L_EUlS1K_E_NS1_11comp_targetILNS1_3genE5ELNS1_11target_archE942ELNS1_3gpuE9ELNS1_3repE0EEENS1_30default_config_static_selectorELNS0_4arch9wavefront6targetE0EEEvSY_.private_seg_size, 0
	.set _ZN7rocprim17ROCPRIM_400000_NS6detail17trampoline_kernelINS0_13select_configILj256ELj13ELNS0_17block_load_methodE3ELS4_3ELS4_3ELNS0_20block_scan_algorithmE0ELj4294967295EEENS1_25partition_config_selectorILNS1_17partition_subalgoE3EjNS0_10empty_typeEbEEZZNS1_14partition_implILS8_3ELb0ES6_jNS0_17counting_iteratorIjlEEPS9_SE_NS0_5tupleIJPjSE_EEENSF_IJSE_SE_EEES9_SG_JZNS1_25segmented_radix_sort_implINS0_14default_configELb1EPKdPdPKlPlN2at6native12_GLOBAL__N_18offset_tEEE10hipError_tPvRmT1_PNSt15iterator_traitsISY_E10value_typeET2_T3_PNSZ_IS14_E10value_typeET4_jRbjT5_S1A_jjP12ihipStream_tbEUljE_EEESV_SW_SX_S14_S18_S1A_T6_T7_T9_mT8_S1C_bDpT10_ENKUlT_T0_E_clISt17integral_constantIbLb0EES1O_IbLb1EEEEDaS1K_S1L_EUlS1K_E_NS1_11comp_targetILNS1_3genE5ELNS1_11target_archE942ELNS1_3gpuE9ELNS1_3repE0EEENS1_30default_config_static_selectorELNS0_4arch9wavefront6targetE0EEEvSY_.uses_vcc, 0
	.set _ZN7rocprim17ROCPRIM_400000_NS6detail17trampoline_kernelINS0_13select_configILj256ELj13ELNS0_17block_load_methodE3ELS4_3ELS4_3ELNS0_20block_scan_algorithmE0ELj4294967295EEENS1_25partition_config_selectorILNS1_17partition_subalgoE3EjNS0_10empty_typeEbEEZZNS1_14partition_implILS8_3ELb0ES6_jNS0_17counting_iteratorIjlEEPS9_SE_NS0_5tupleIJPjSE_EEENSF_IJSE_SE_EEES9_SG_JZNS1_25segmented_radix_sort_implINS0_14default_configELb1EPKdPdPKlPlN2at6native12_GLOBAL__N_18offset_tEEE10hipError_tPvRmT1_PNSt15iterator_traitsISY_E10value_typeET2_T3_PNSZ_IS14_E10value_typeET4_jRbjT5_S1A_jjP12ihipStream_tbEUljE_EEESV_SW_SX_S14_S18_S1A_T6_T7_T9_mT8_S1C_bDpT10_ENKUlT_T0_E_clISt17integral_constantIbLb0EES1O_IbLb1EEEEDaS1K_S1L_EUlS1K_E_NS1_11comp_targetILNS1_3genE5ELNS1_11target_archE942ELNS1_3gpuE9ELNS1_3repE0EEENS1_30default_config_static_selectorELNS0_4arch9wavefront6targetE0EEEvSY_.uses_flat_scratch, 0
	.set _ZN7rocprim17ROCPRIM_400000_NS6detail17trampoline_kernelINS0_13select_configILj256ELj13ELNS0_17block_load_methodE3ELS4_3ELS4_3ELNS0_20block_scan_algorithmE0ELj4294967295EEENS1_25partition_config_selectorILNS1_17partition_subalgoE3EjNS0_10empty_typeEbEEZZNS1_14partition_implILS8_3ELb0ES6_jNS0_17counting_iteratorIjlEEPS9_SE_NS0_5tupleIJPjSE_EEENSF_IJSE_SE_EEES9_SG_JZNS1_25segmented_radix_sort_implINS0_14default_configELb1EPKdPdPKlPlN2at6native12_GLOBAL__N_18offset_tEEE10hipError_tPvRmT1_PNSt15iterator_traitsISY_E10value_typeET2_T3_PNSZ_IS14_E10value_typeET4_jRbjT5_S1A_jjP12ihipStream_tbEUljE_EEESV_SW_SX_S14_S18_S1A_T6_T7_T9_mT8_S1C_bDpT10_ENKUlT_T0_E_clISt17integral_constantIbLb0EES1O_IbLb1EEEEDaS1K_S1L_EUlS1K_E_NS1_11comp_targetILNS1_3genE5ELNS1_11target_archE942ELNS1_3gpuE9ELNS1_3repE0EEENS1_30default_config_static_selectorELNS0_4arch9wavefront6targetE0EEEvSY_.has_dyn_sized_stack, 0
	.set _ZN7rocprim17ROCPRIM_400000_NS6detail17trampoline_kernelINS0_13select_configILj256ELj13ELNS0_17block_load_methodE3ELS4_3ELS4_3ELNS0_20block_scan_algorithmE0ELj4294967295EEENS1_25partition_config_selectorILNS1_17partition_subalgoE3EjNS0_10empty_typeEbEEZZNS1_14partition_implILS8_3ELb0ES6_jNS0_17counting_iteratorIjlEEPS9_SE_NS0_5tupleIJPjSE_EEENSF_IJSE_SE_EEES9_SG_JZNS1_25segmented_radix_sort_implINS0_14default_configELb1EPKdPdPKlPlN2at6native12_GLOBAL__N_18offset_tEEE10hipError_tPvRmT1_PNSt15iterator_traitsISY_E10value_typeET2_T3_PNSZ_IS14_E10value_typeET4_jRbjT5_S1A_jjP12ihipStream_tbEUljE_EEESV_SW_SX_S14_S18_S1A_T6_T7_T9_mT8_S1C_bDpT10_ENKUlT_T0_E_clISt17integral_constantIbLb0EES1O_IbLb1EEEEDaS1K_S1L_EUlS1K_E_NS1_11comp_targetILNS1_3genE5ELNS1_11target_archE942ELNS1_3gpuE9ELNS1_3repE0EEENS1_30default_config_static_selectorELNS0_4arch9wavefront6targetE0EEEvSY_.has_recursion, 0
	.set _ZN7rocprim17ROCPRIM_400000_NS6detail17trampoline_kernelINS0_13select_configILj256ELj13ELNS0_17block_load_methodE3ELS4_3ELS4_3ELNS0_20block_scan_algorithmE0ELj4294967295EEENS1_25partition_config_selectorILNS1_17partition_subalgoE3EjNS0_10empty_typeEbEEZZNS1_14partition_implILS8_3ELb0ES6_jNS0_17counting_iteratorIjlEEPS9_SE_NS0_5tupleIJPjSE_EEENSF_IJSE_SE_EEES9_SG_JZNS1_25segmented_radix_sort_implINS0_14default_configELb1EPKdPdPKlPlN2at6native12_GLOBAL__N_18offset_tEEE10hipError_tPvRmT1_PNSt15iterator_traitsISY_E10value_typeET2_T3_PNSZ_IS14_E10value_typeET4_jRbjT5_S1A_jjP12ihipStream_tbEUljE_EEESV_SW_SX_S14_S18_S1A_T6_T7_T9_mT8_S1C_bDpT10_ENKUlT_T0_E_clISt17integral_constantIbLb0EES1O_IbLb1EEEEDaS1K_S1L_EUlS1K_E_NS1_11comp_targetILNS1_3genE5ELNS1_11target_archE942ELNS1_3gpuE9ELNS1_3repE0EEENS1_30default_config_static_selectorELNS0_4arch9wavefront6targetE0EEEvSY_.has_indirect_call, 0
	.section	.AMDGPU.csdata,"",@progbits
; Kernel info:
; codeLenInByte = 0
; TotalNumSgprs: 0
; NumVgprs: 0
; ScratchSize: 0
; MemoryBound: 0
; FloatMode: 240
; IeeeMode: 1
; LDSByteSize: 0 bytes/workgroup (compile time only)
; SGPRBlocks: 0
; VGPRBlocks: 0
; NumSGPRsForWavesPerEU: 1
; NumVGPRsForWavesPerEU: 1
; NamedBarCnt: 0
; Occupancy: 16
; WaveLimiterHint : 0
; COMPUTE_PGM_RSRC2:SCRATCH_EN: 0
; COMPUTE_PGM_RSRC2:USER_SGPR: 2
; COMPUTE_PGM_RSRC2:TRAP_HANDLER: 0
; COMPUTE_PGM_RSRC2:TGID_X_EN: 1
; COMPUTE_PGM_RSRC2:TGID_Y_EN: 0
; COMPUTE_PGM_RSRC2:TGID_Z_EN: 0
; COMPUTE_PGM_RSRC2:TIDIG_COMP_CNT: 0
	.section	.text._ZN7rocprim17ROCPRIM_400000_NS6detail17trampoline_kernelINS0_13select_configILj256ELj13ELNS0_17block_load_methodE3ELS4_3ELS4_3ELNS0_20block_scan_algorithmE0ELj4294967295EEENS1_25partition_config_selectorILNS1_17partition_subalgoE3EjNS0_10empty_typeEbEEZZNS1_14partition_implILS8_3ELb0ES6_jNS0_17counting_iteratorIjlEEPS9_SE_NS0_5tupleIJPjSE_EEENSF_IJSE_SE_EEES9_SG_JZNS1_25segmented_radix_sort_implINS0_14default_configELb1EPKdPdPKlPlN2at6native12_GLOBAL__N_18offset_tEEE10hipError_tPvRmT1_PNSt15iterator_traitsISY_E10value_typeET2_T3_PNSZ_IS14_E10value_typeET4_jRbjT5_S1A_jjP12ihipStream_tbEUljE_EEESV_SW_SX_S14_S18_S1A_T6_T7_T9_mT8_S1C_bDpT10_ENKUlT_T0_E_clISt17integral_constantIbLb0EES1O_IbLb1EEEEDaS1K_S1L_EUlS1K_E_NS1_11comp_targetILNS1_3genE4ELNS1_11target_archE910ELNS1_3gpuE8ELNS1_3repE0EEENS1_30default_config_static_selectorELNS0_4arch9wavefront6targetE0EEEvSY_,"axG",@progbits,_ZN7rocprim17ROCPRIM_400000_NS6detail17trampoline_kernelINS0_13select_configILj256ELj13ELNS0_17block_load_methodE3ELS4_3ELS4_3ELNS0_20block_scan_algorithmE0ELj4294967295EEENS1_25partition_config_selectorILNS1_17partition_subalgoE3EjNS0_10empty_typeEbEEZZNS1_14partition_implILS8_3ELb0ES6_jNS0_17counting_iteratorIjlEEPS9_SE_NS0_5tupleIJPjSE_EEENSF_IJSE_SE_EEES9_SG_JZNS1_25segmented_radix_sort_implINS0_14default_configELb1EPKdPdPKlPlN2at6native12_GLOBAL__N_18offset_tEEE10hipError_tPvRmT1_PNSt15iterator_traitsISY_E10value_typeET2_T3_PNSZ_IS14_E10value_typeET4_jRbjT5_S1A_jjP12ihipStream_tbEUljE_EEESV_SW_SX_S14_S18_S1A_T6_T7_T9_mT8_S1C_bDpT10_ENKUlT_T0_E_clISt17integral_constantIbLb0EES1O_IbLb1EEEEDaS1K_S1L_EUlS1K_E_NS1_11comp_targetILNS1_3genE4ELNS1_11target_archE910ELNS1_3gpuE8ELNS1_3repE0EEENS1_30default_config_static_selectorELNS0_4arch9wavefront6targetE0EEEvSY_,comdat
	.globl	_ZN7rocprim17ROCPRIM_400000_NS6detail17trampoline_kernelINS0_13select_configILj256ELj13ELNS0_17block_load_methodE3ELS4_3ELS4_3ELNS0_20block_scan_algorithmE0ELj4294967295EEENS1_25partition_config_selectorILNS1_17partition_subalgoE3EjNS0_10empty_typeEbEEZZNS1_14partition_implILS8_3ELb0ES6_jNS0_17counting_iteratorIjlEEPS9_SE_NS0_5tupleIJPjSE_EEENSF_IJSE_SE_EEES9_SG_JZNS1_25segmented_radix_sort_implINS0_14default_configELb1EPKdPdPKlPlN2at6native12_GLOBAL__N_18offset_tEEE10hipError_tPvRmT1_PNSt15iterator_traitsISY_E10value_typeET2_T3_PNSZ_IS14_E10value_typeET4_jRbjT5_S1A_jjP12ihipStream_tbEUljE_EEESV_SW_SX_S14_S18_S1A_T6_T7_T9_mT8_S1C_bDpT10_ENKUlT_T0_E_clISt17integral_constantIbLb0EES1O_IbLb1EEEEDaS1K_S1L_EUlS1K_E_NS1_11comp_targetILNS1_3genE4ELNS1_11target_archE910ELNS1_3gpuE8ELNS1_3repE0EEENS1_30default_config_static_selectorELNS0_4arch9wavefront6targetE0EEEvSY_ ; -- Begin function _ZN7rocprim17ROCPRIM_400000_NS6detail17trampoline_kernelINS0_13select_configILj256ELj13ELNS0_17block_load_methodE3ELS4_3ELS4_3ELNS0_20block_scan_algorithmE0ELj4294967295EEENS1_25partition_config_selectorILNS1_17partition_subalgoE3EjNS0_10empty_typeEbEEZZNS1_14partition_implILS8_3ELb0ES6_jNS0_17counting_iteratorIjlEEPS9_SE_NS0_5tupleIJPjSE_EEENSF_IJSE_SE_EEES9_SG_JZNS1_25segmented_radix_sort_implINS0_14default_configELb1EPKdPdPKlPlN2at6native12_GLOBAL__N_18offset_tEEE10hipError_tPvRmT1_PNSt15iterator_traitsISY_E10value_typeET2_T3_PNSZ_IS14_E10value_typeET4_jRbjT5_S1A_jjP12ihipStream_tbEUljE_EEESV_SW_SX_S14_S18_S1A_T6_T7_T9_mT8_S1C_bDpT10_ENKUlT_T0_E_clISt17integral_constantIbLb0EES1O_IbLb1EEEEDaS1K_S1L_EUlS1K_E_NS1_11comp_targetILNS1_3genE4ELNS1_11target_archE910ELNS1_3gpuE8ELNS1_3repE0EEENS1_30default_config_static_selectorELNS0_4arch9wavefront6targetE0EEEvSY_
	.p2align	8
	.type	_ZN7rocprim17ROCPRIM_400000_NS6detail17trampoline_kernelINS0_13select_configILj256ELj13ELNS0_17block_load_methodE3ELS4_3ELS4_3ELNS0_20block_scan_algorithmE0ELj4294967295EEENS1_25partition_config_selectorILNS1_17partition_subalgoE3EjNS0_10empty_typeEbEEZZNS1_14partition_implILS8_3ELb0ES6_jNS0_17counting_iteratorIjlEEPS9_SE_NS0_5tupleIJPjSE_EEENSF_IJSE_SE_EEES9_SG_JZNS1_25segmented_radix_sort_implINS0_14default_configELb1EPKdPdPKlPlN2at6native12_GLOBAL__N_18offset_tEEE10hipError_tPvRmT1_PNSt15iterator_traitsISY_E10value_typeET2_T3_PNSZ_IS14_E10value_typeET4_jRbjT5_S1A_jjP12ihipStream_tbEUljE_EEESV_SW_SX_S14_S18_S1A_T6_T7_T9_mT8_S1C_bDpT10_ENKUlT_T0_E_clISt17integral_constantIbLb0EES1O_IbLb1EEEEDaS1K_S1L_EUlS1K_E_NS1_11comp_targetILNS1_3genE4ELNS1_11target_archE910ELNS1_3gpuE8ELNS1_3repE0EEENS1_30default_config_static_selectorELNS0_4arch9wavefront6targetE0EEEvSY_,@function
_ZN7rocprim17ROCPRIM_400000_NS6detail17trampoline_kernelINS0_13select_configILj256ELj13ELNS0_17block_load_methodE3ELS4_3ELS4_3ELNS0_20block_scan_algorithmE0ELj4294967295EEENS1_25partition_config_selectorILNS1_17partition_subalgoE3EjNS0_10empty_typeEbEEZZNS1_14partition_implILS8_3ELb0ES6_jNS0_17counting_iteratorIjlEEPS9_SE_NS0_5tupleIJPjSE_EEENSF_IJSE_SE_EEES9_SG_JZNS1_25segmented_radix_sort_implINS0_14default_configELb1EPKdPdPKlPlN2at6native12_GLOBAL__N_18offset_tEEE10hipError_tPvRmT1_PNSt15iterator_traitsISY_E10value_typeET2_T3_PNSZ_IS14_E10value_typeET4_jRbjT5_S1A_jjP12ihipStream_tbEUljE_EEESV_SW_SX_S14_S18_S1A_T6_T7_T9_mT8_S1C_bDpT10_ENKUlT_T0_E_clISt17integral_constantIbLb0EES1O_IbLb1EEEEDaS1K_S1L_EUlS1K_E_NS1_11comp_targetILNS1_3genE4ELNS1_11target_archE910ELNS1_3gpuE8ELNS1_3repE0EEENS1_30default_config_static_selectorELNS0_4arch9wavefront6targetE0EEEvSY_: ; @_ZN7rocprim17ROCPRIM_400000_NS6detail17trampoline_kernelINS0_13select_configILj256ELj13ELNS0_17block_load_methodE3ELS4_3ELS4_3ELNS0_20block_scan_algorithmE0ELj4294967295EEENS1_25partition_config_selectorILNS1_17partition_subalgoE3EjNS0_10empty_typeEbEEZZNS1_14partition_implILS8_3ELb0ES6_jNS0_17counting_iteratorIjlEEPS9_SE_NS0_5tupleIJPjSE_EEENSF_IJSE_SE_EEES9_SG_JZNS1_25segmented_radix_sort_implINS0_14default_configELb1EPKdPdPKlPlN2at6native12_GLOBAL__N_18offset_tEEE10hipError_tPvRmT1_PNSt15iterator_traitsISY_E10value_typeET2_T3_PNSZ_IS14_E10value_typeET4_jRbjT5_S1A_jjP12ihipStream_tbEUljE_EEESV_SW_SX_S14_S18_S1A_T6_T7_T9_mT8_S1C_bDpT10_ENKUlT_T0_E_clISt17integral_constantIbLb0EES1O_IbLb1EEEEDaS1K_S1L_EUlS1K_E_NS1_11comp_targetILNS1_3genE4ELNS1_11target_archE910ELNS1_3gpuE8ELNS1_3repE0EEENS1_30default_config_static_selectorELNS0_4arch9wavefront6targetE0EEEvSY_
; %bb.0:
	.section	.rodata,"a",@progbits
	.p2align	6, 0x0
	.amdhsa_kernel _ZN7rocprim17ROCPRIM_400000_NS6detail17trampoline_kernelINS0_13select_configILj256ELj13ELNS0_17block_load_methodE3ELS4_3ELS4_3ELNS0_20block_scan_algorithmE0ELj4294967295EEENS1_25partition_config_selectorILNS1_17partition_subalgoE3EjNS0_10empty_typeEbEEZZNS1_14partition_implILS8_3ELb0ES6_jNS0_17counting_iteratorIjlEEPS9_SE_NS0_5tupleIJPjSE_EEENSF_IJSE_SE_EEES9_SG_JZNS1_25segmented_radix_sort_implINS0_14default_configELb1EPKdPdPKlPlN2at6native12_GLOBAL__N_18offset_tEEE10hipError_tPvRmT1_PNSt15iterator_traitsISY_E10value_typeET2_T3_PNSZ_IS14_E10value_typeET4_jRbjT5_S1A_jjP12ihipStream_tbEUljE_EEESV_SW_SX_S14_S18_S1A_T6_T7_T9_mT8_S1C_bDpT10_ENKUlT_T0_E_clISt17integral_constantIbLb0EES1O_IbLb1EEEEDaS1K_S1L_EUlS1K_E_NS1_11comp_targetILNS1_3genE4ELNS1_11target_archE910ELNS1_3gpuE8ELNS1_3repE0EEENS1_30default_config_static_selectorELNS0_4arch9wavefront6targetE0EEEvSY_
		.amdhsa_group_segment_fixed_size 0
		.amdhsa_private_segment_fixed_size 0
		.amdhsa_kernarg_size 152
		.amdhsa_user_sgpr_count 2
		.amdhsa_user_sgpr_dispatch_ptr 0
		.amdhsa_user_sgpr_queue_ptr 0
		.amdhsa_user_sgpr_kernarg_segment_ptr 1
		.amdhsa_user_sgpr_dispatch_id 0
		.amdhsa_user_sgpr_kernarg_preload_length 0
		.amdhsa_user_sgpr_kernarg_preload_offset 0
		.amdhsa_user_sgpr_private_segment_size 0
		.amdhsa_wavefront_size32 1
		.amdhsa_uses_dynamic_stack 0
		.amdhsa_enable_private_segment 0
		.amdhsa_system_sgpr_workgroup_id_x 1
		.amdhsa_system_sgpr_workgroup_id_y 0
		.amdhsa_system_sgpr_workgroup_id_z 0
		.amdhsa_system_sgpr_workgroup_info 0
		.amdhsa_system_vgpr_workitem_id 0
		.amdhsa_next_free_vgpr 1
		.amdhsa_next_free_sgpr 1
		.amdhsa_named_barrier_count 0
		.amdhsa_reserve_vcc 0
		.amdhsa_float_round_mode_32 0
		.amdhsa_float_round_mode_16_64 0
		.amdhsa_float_denorm_mode_32 3
		.amdhsa_float_denorm_mode_16_64 3
		.amdhsa_fp16_overflow 0
		.amdhsa_memory_ordered 1
		.amdhsa_forward_progress 1
		.amdhsa_inst_pref_size 0
		.amdhsa_round_robin_scheduling 0
		.amdhsa_exception_fp_ieee_invalid_op 0
		.amdhsa_exception_fp_denorm_src 0
		.amdhsa_exception_fp_ieee_div_zero 0
		.amdhsa_exception_fp_ieee_overflow 0
		.amdhsa_exception_fp_ieee_underflow 0
		.amdhsa_exception_fp_ieee_inexact 0
		.amdhsa_exception_int_div_zero 0
	.end_amdhsa_kernel
	.section	.text._ZN7rocprim17ROCPRIM_400000_NS6detail17trampoline_kernelINS0_13select_configILj256ELj13ELNS0_17block_load_methodE3ELS4_3ELS4_3ELNS0_20block_scan_algorithmE0ELj4294967295EEENS1_25partition_config_selectorILNS1_17partition_subalgoE3EjNS0_10empty_typeEbEEZZNS1_14partition_implILS8_3ELb0ES6_jNS0_17counting_iteratorIjlEEPS9_SE_NS0_5tupleIJPjSE_EEENSF_IJSE_SE_EEES9_SG_JZNS1_25segmented_radix_sort_implINS0_14default_configELb1EPKdPdPKlPlN2at6native12_GLOBAL__N_18offset_tEEE10hipError_tPvRmT1_PNSt15iterator_traitsISY_E10value_typeET2_T3_PNSZ_IS14_E10value_typeET4_jRbjT5_S1A_jjP12ihipStream_tbEUljE_EEESV_SW_SX_S14_S18_S1A_T6_T7_T9_mT8_S1C_bDpT10_ENKUlT_T0_E_clISt17integral_constantIbLb0EES1O_IbLb1EEEEDaS1K_S1L_EUlS1K_E_NS1_11comp_targetILNS1_3genE4ELNS1_11target_archE910ELNS1_3gpuE8ELNS1_3repE0EEENS1_30default_config_static_selectorELNS0_4arch9wavefront6targetE0EEEvSY_,"axG",@progbits,_ZN7rocprim17ROCPRIM_400000_NS6detail17trampoline_kernelINS0_13select_configILj256ELj13ELNS0_17block_load_methodE3ELS4_3ELS4_3ELNS0_20block_scan_algorithmE0ELj4294967295EEENS1_25partition_config_selectorILNS1_17partition_subalgoE3EjNS0_10empty_typeEbEEZZNS1_14partition_implILS8_3ELb0ES6_jNS0_17counting_iteratorIjlEEPS9_SE_NS0_5tupleIJPjSE_EEENSF_IJSE_SE_EEES9_SG_JZNS1_25segmented_radix_sort_implINS0_14default_configELb1EPKdPdPKlPlN2at6native12_GLOBAL__N_18offset_tEEE10hipError_tPvRmT1_PNSt15iterator_traitsISY_E10value_typeET2_T3_PNSZ_IS14_E10value_typeET4_jRbjT5_S1A_jjP12ihipStream_tbEUljE_EEESV_SW_SX_S14_S18_S1A_T6_T7_T9_mT8_S1C_bDpT10_ENKUlT_T0_E_clISt17integral_constantIbLb0EES1O_IbLb1EEEEDaS1K_S1L_EUlS1K_E_NS1_11comp_targetILNS1_3genE4ELNS1_11target_archE910ELNS1_3gpuE8ELNS1_3repE0EEENS1_30default_config_static_selectorELNS0_4arch9wavefront6targetE0EEEvSY_,comdat
.Lfunc_end1106:
	.size	_ZN7rocprim17ROCPRIM_400000_NS6detail17trampoline_kernelINS0_13select_configILj256ELj13ELNS0_17block_load_methodE3ELS4_3ELS4_3ELNS0_20block_scan_algorithmE0ELj4294967295EEENS1_25partition_config_selectorILNS1_17partition_subalgoE3EjNS0_10empty_typeEbEEZZNS1_14partition_implILS8_3ELb0ES6_jNS0_17counting_iteratorIjlEEPS9_SE_NS0_5tupleIJPjSE_EEENSF_IJSE_SE_EEES9_SG_JZNS1_25segmented_radix_sort_implINS0_14default_configELb1EPKdPdPKlPlN2at6native12_GLOBAL__N_18offset_tEEE10hipError_tPvRmT1_PNSt15iterator_traitsISY_E10value_typeET2_T3_PNSZ_IS14_E10value_typeET4_jRbjT5_S1A_jjP12ihipStream_tbEUljE_EEESV_SW_SX_S14_S18_S1A_T6_T7_T9_mT8_S1C_bDpT10_ENKUlT_T0_E_clISt17integral_constantIbLb0EES1O_IbLb1EEEEDaS1K_S1L_EUlS1K_E_NS1_11comp_targetILNS1_3genE4ELNS1_11target_archE910ELNS1_3gpuE8ELNS1_3repE0EEENS1_30default_config_static_selectorELNS0_4arch9wavefront6targetE0EEEvSY_, .Lfunc_end1106-_ZN7rocprim17ROCPRIM_400000_NS6detail17trampoline_kernelINS0_13select_configILj256ELj13ELNS0_17block_load_methodE3ELS4_3ELS4_3ELNS0_20block_scan_algorithmE0ELj4294967295EEENS1_25partition_config_selectorILNS1_17partition_subalgoE3EjNS0_10empty_typeEbEEZZNS1_14partition_implILS8_3ELb0ES6_jNS0_17counting_iteratorIjlEEPS9_SE_NS0_5tupleIJPjSE_EEENSF_IJSE_SE_EEES9_SG_JZNS1_25segmented_radix_sort_implINS0_14default_configELb1EPKdPdPKlPlN2at6native12_GLOBAL__N_18offset_tEEE10hipError_tPvRmT1_PNSt15iterator_traitsISY_E10value_typeET2_T3_PNSZ_IS14_E10value_typeET4_jRbjT5_S1A_jjP12ihipStream_tbEUljE_EEESV_SW_SX_S14_S18_S1A_T6_T7_T9_mT8_S1C_bDpT10_ENKUlT_T0_E_clISt17integral_constantIbLb0EES1O_IbLb1EEEEDaS1K_S1L_EUlS1K_E_NS1_11comp_targetILNS1_3genE4ELNS1_11target_archE910ELNS1_3gpuE8ELNS1_3repE0EEENS1_30default_config_static_selectorELNS0_4arch9wavefront6targetE0EEEvSY_
                                        ; -- End function
	.set _ZN7rocprim17ROCPRIM_400000_NS6detail17trampoline_kernelINS0_13select_configILj256ELj13ELNS0_17block_load_methodE3ELS4_3ELS4_3ELNS0_20block_scan_algorithmE0ELj4294967295EEENS1_25partition_config_selectorILNS1_17partition_subalgoE3EjNS0_10empty_typeEbEEZZNS1_14partition_implILS8_3ELb0ES6_jNS0_17counting_iteratorIjlEEPS9_SE_NS0_5tupleIJPjSE_EEENSF_IJSE_SE_EEES9_SG_JZNS1_25segmented_radix_sort_implINS0_14default_configELb1EPKdPdPKlPlN2at6native12_GLOBAL__N_18offset_tEEE10hipError_tPvRmT1_PNSt15iterator_traitsISY_E10value_typeET2_T3_PNSZ_IS14_E10value_typeET4_jRbjT5_S1A_jjP12ihipStream_tbEUljE_EEESV_SW_SX_S14_S18_S1A_T6_T7_T9_mT8_S1C_bDpT10_ENKUlT_T0_E_clISt17integral_constantIbLb0EES1O_IbLb1EEEEDaS1K_S1L_EUlS1K_E_NS1_11comp_targetILNS1_3genE4ELNS1_11target_archE910ELNS1_3gpuE8ELNS1_3repE0EEENS1_30default_config_static_selectorELNS0_4arch9wavefront6targetE0EEEvSY_.num_vgpr, 0
	.set _ZN7rocprim17ROCPRIM_400000_NS6detail17trampoline_kernelINS0_13select_configILj256ELj13ELNS0_17block_load_methodE3ELS4_3ELS4_3ELNS0_20block_scan_algorithmE0ELj4294967295EEENS1_25partition_config_selectorILNS1_17partition_subalgoE3EjNS0_10empty_typeEbEEZZNS1_14partition_implILS8_3ELb0ES6_jNS0_17counting_iteratorIjlEEPS9_SE_NS0_5tupleIJPjSE_EEENSF_IJSE_SE_EEES9_SG_JZNS1_25segmented_radix_sort_implINS0_14default_configELb1EPKdPdPKlPlN2at6native12_GLOBAL__N_18offset_tEEE10hipError_tPvRmT1_PNSt15iterator_traitsISY_E10value_typeET2_T3_PNSZ_IS14_E10value_typeET4_jRbjT5_S1A_jjP12ihipStream_tbEUljE_EEESV_SW_SX_S14_S18_S1A_T6_T7_T9_mT8_S1C_bDpT10_ENKUlT_T0_E_clISt17integral_constantIbLb0EES1O_IbLb1EEEEDaS1K_S1L_EUlS1K_E_NS1_11comp_targetILNS1_3genE4ELNS1_11target_archE910ELNS1_3gpuE8ELNS1_3repE0EEENS1_30default_config_static_selectorELNS0_4arch9wavefront6targetE0EEEvSY_.num_agpr, 0
	.set _ZN7rocprim17ROCPRIM_400000_NS6detail17trampoline_kernelINS0_13select_configILj256ELj13ELNS0_17block_load_methodE3ELS4_3ELS4_3ELNS0_20block_scan_algorithmE0ELj4294967295EEENS1_25partition_config_selectorILNS1_17partition_subalgoE3EjNS0_10empty_typeEbEEZZNS1_14partition_implILS8_3ELb0ES6_jNS0_17counting_iteratorIjlEEPS9_SE_NS0_5tupleIJPjSE_EEENSF_IJSE_SE_EEES9_SG_JZNS1_25segmented_radix_sort_implINS0_14default_configELb1EPKdPdPKlPlN2at6native12_GLOBAL__N_18offset_tEEE10hipError_tPvRmT1_PNSt15iterator_traitsISY_E10value_typeET2_T3_PNSZ_IS14_E10value_typeET4_jRbjT5_S1A_jjP12ihipStream_tbEUljE_EEESV_SW_SX_S14_S18_S1A_T6_T7_T9_mT8_S1C_bDpT10_ENKUlT_T0_E_clISt17integral_constantIbLb0EES1O_IbLb1EEEEDaS1K_S1L_EUlS1K_E_NS1_11comp_targetILNS1_3genE4ELNS1_11target_archE910ELNS1_3gpuE8ELNS1_3repE0EEENS1_30default_config_static_selectorELNS0_4arch9wavefront6targetE0EEEvSY_.numbered_sgpr, 0
	.set _ZN7rocprim17ROCPRIM_400000_NS6detail17trampoline_kernelINS0_13select_configILj256ELj13ELNS0_17block_load_methodE3ELS4_3ELS4_3ELNS0_20block_scan_algorithmE0ELj4294967295EEENS1_25partition_config_selectorILNS1_17partition_subalgoE3EjNS0_10empty_typeEbEEZZNS1_14partition_implILS8_3ELb0ES6_jNS0_17counting_iteratorIjlEEPS9_SE_NS0_5tupleIJPjSE_EEENSF_IJSE_SE_EEES9_SG_JZNS1_25segmented_radix_sort_implINS0_14default_configELb1EPKdPdPKlPlN2at6native12_GLOBAL__N_18offset_tEEE10hipError_tPvRmT1_PNSt15iterator_traitsISY_E10value_typeET2_T3_PNSZ_IS14_E10value_typeET4_jRbjT5_S1A_jjP12ihipStream_tbEUljE_EEESV_SW_SX_S14_S18_S1A_T6_T7_T9_mT8_S1C_bDpT10_ENKUlT_T0_E_clISt17integral_constantIbLb0EES1O_IbLb1EEEEDaS1K_S1L_EUlS1K_E_NS1_11comp_targetILNS1_3genE4ELNS1_11target_archE910ELNS1_3gpuE8ELNS1_3repE0EEENS1_30default_config_static_selectorELNS0_4arch9wavefront6targetE0EEEvSY_.num_named_barrier, 0
	.set _ZN7rocprim17ROCPRIM_400000_NS6detail17trampoline_kernelINS0_13select_configILj256ELj13ELNS0_17block_load_methodE3ELS4_3ELS4_3ELNS0_20block_scan_algorithmE0ELj4294967295EEENS1_25partition_config_selectorILNS1_17partition_subalgoE3EjNS0_10empty_typeEbEEZZNS1_14partition_implILS8_3ELb0ES6_jNS0_17counting_iteratorIjlEEPS9_SE_NS0_5tupleIJPjSE_EEENSF_IJSE_SE_EEES9_SG_JZNS1_25segmented_radix_sort_implINS0_14default_configELb1EPKdPdPKlPlN2at6native12_GLOBAL__N_18offset_tEEE10hipError_tPvRmT1_PNSt15iterator_traitsISY_E10value_typeET2_T3_PNSZ_IS14_E10value_typeET4_jRbjT5_S1A_jjP12ihipStream_tbEUljE_EEESV_SW_SX_S14_S18_S1A_T6_T7_T9_mT8_S1C_bDpT10_ENKUlT_T0_E_clISt17integral_constantIbLb0EES1O_IbLb1EEEEDaS1K_S1L_EUlS1K_E_NS1_11comp_targetILNS1_3genE4ELNS1_11target_archE910ELNS1_3gpuE8ELNS1_3repE0EEENS1_30default_config_static_selectorELNS0_4arch9wavefront6targetE0EEEvSY_.private_seg_size, 0
	.set _ZN7rocprim17ROCPRIM_400000_NS6detail17trampoline_kernelINS0_13select_configILj256ELj13ELNS0_17block_load_methodE3ELS4_3ELS4_3ELNS0_20block_scan_algorithmE0ELj4294967295EEENS1_25partition_config_selectorILNS1_17partition_subalgoE3EjNS0_10empty_typeEbEEZZNS1_14partition_implILS8_3ELb0ES6_jNS0_17counting_iteratorIjlEEPS9_SE_NS0_5tupleIJPjSE_EEENSF_IJSE_SE_EEES9_SG_JZNS1_25segmented_radix_sort_implINS0_14default_configELb1EPKdPdPKlPlN2at6native12_GLOBAL__N_18offset_tEEE10hipError_tPvRmT1_PNSt15iterator_traitsISY_E10value_typeET2_T3_PNSZ_IS14_E10value_typeET4_jRbjT5_S1A_jjP12ihipStream_tbEUljE_EEESV_SW_SX_S14_S18_S1A_T6_T7_T9_mT8_S1C_bDpT10_ENKUlT_T0_E_clISt17integral_constantIbLb0EES1O_IbLb1EEEEDaS1K_S1L_EUlS1K_E_NS1_11comp_targetILNS1_3genE4ELNS1_11target_archE910ELNS1_3gpuE8ELNS1_3repE0EEENS1_30default_config_static_selectorELNS0_4arch9wavefront6targetE0EEEvSY_.uses_vcc, 0
	.set _ZN7rocprim17ROCPRIM_400000_NS6detail17trampoline_kernelINS0_13select_configILj256ELj13ELNS0_17block_load_methodE3ELS4_3ELS4_3ELNS0_20block_scan_algorithmE0ELj4294967295EEENS1_25partition_config_selectorILNS1_17partition_subalgoE3EjNS0_10empty_typeEbEEZZNS1_14partition_implILS8_3ELb0ES6_jNS0_17counting_iteratorIjlEEPS9_SE_NS0_5tupleIJPjSE_EEENSF_IJSE_SE_EEES9_SG_JZNS1_25segmented_radix_sort_implINS0_14default_configELb1EPKdPdPKlPlN2at6native12_GLOBAL__N_18offset_tEEE10hipError_tPvRmT1_PNSt15iterator_traitsISY_E10value_typeET2_T3_PNSZ_IS14_E10value_typeET4_jRbjT5_S1A_jjP12ihipStream_tbEUljE_EEESV_SW_SX_S14_S18_S1A_T6_T7_T9_mT8_S1C_bDpT10_ENKUlT_T0_E_clISt17integral_constantIbLb0EES1O_IbLb1EEEEDaS1K_S1L_EUlS1K_E_NS1_11comp_targetILNS1_3genE4ELNS1_11target_archE910ELNS1_3gpuE8ELNS1_3repE0EEENS1_30default_config_static_selectorELNS0_4arch9wavefront6targetE0EEEvSY_.uses_flat_scratch, 0
	.set _ZN7rocprim17ROCPRIM_400000_NS6detail17trampoline_kernelINS0_13select_configILj256ELj13ELNS0_17block_load_methodE3ELS4_3ELS4_3ELNS0_20block_scan_algorithmE0ELj4294967295EEENS1_25partition_config_selectorILNS1_17partition_subalgoE3EjNS0_10empty_typeEbEEZZNS1_14partition_implILS8_3ELb0ES6_jNS0_17counting_iteratorIjlEEPS9_SE_NS0_5tupleIJPjSE_EEENSF_IJSE_SE_EEES9_SG_JZNS1_25segmented_radix_sort_implINS0_14default_configELb1EPKdPdPKlPlN2at6native12_GLOBAL__N_18offset_tEEE10hipError_tPvRmT1_PNSt15iterator_traitsISY_E10value_typeET2_T3_PNSZ_IS14_E10value_typeET4_jRbjT5_S1A_jjP12ihipStream_tbEUljE_EEESV_SW_SX_S14_S18_S1A_T6_T7_T9_mT8_S1C_bDpT10_ENKUlT_T0_E_clISt17integral_constantIbLb0EES1O_IbLb1EEEEDaS1K_S1L_EUlS1K_E_NS1_11comp_targetILNS1_3genE4ELNS1_11target_archE910ELNS1_3gpuE8ELNS1_3repE0EEENS1_30default_config_static_selectorELNS0_4arch9wavefront6targetE0EEEvSY_.has_dyn_sized_stack, 0
	.set _ZN7rocprim17ROCPRIM_400000_NS6detail17trampoline_kernelINS0_13select_configILj256ELj13ELNS0_17block_load_methodE3ELS4_3ELS4_3ELNS0_20block_scan_algorithmE0ELj4294967295EEENS1_25partition_config_selectorILNS1_17partition_subalgoE3EjNS0_10empty_typeEbEEZZNS1_14partition_implILS8_3ELb0ES6_jNS0_17counting_iteratorIjlEEPS9_SE_NS0_5tupleIJPjSE_EEENSF_IJSE_SE_EEES9_SG_JZNS1_25segmented_radix_sort_implINS0_14default_configELb1EPKdPdPKlPlN2at6native12_GLOBAL__N_18offset_tEEE10hipError_tPvRmT1_PNSt15iterator_traitsISY_E10value_typeET2_T3_PNSZ_IS14_E10value_typeET4_jRbjT5_S1A_jjP12ihipStream_tbEUljE_EEESV_SW_SX_S14_S18_S1A_T6_T7_T9_mT8_S1C_bDpT10_ENKUlT_T0_E_clISt17integral_constantIbLb0EES1O_IbLb1EEEEDaS1K_S1L_EUlS1K_E_NS1_11comp_targetILNS1_3genE4ELNS1_11target_archE910ELNS1_3gpuE8ELNS1_3repE0EEENS1_30default_config_static_selectorELNS0_4arch9wavefront6targetE0EEEvSY_.has_recursion, 0
	.set _ZN7rocprim17ROCPRIM_400000_NS6detail17trampoline_kernelINS0_13select_configILj256ELj13ELNS0_17block_load_methodE3ELS4_3ELS4_3ELNS0_20block_scan_algorithmE0ELj4294967295EEENS1_25partition_config_selectorILNS1_17partition_subalgoE3EjNS0_10empty_typeEbEEZZNS1_14partition_implILS8_3ELb0ES6_jNS0_17counting_iteratorIjlEEPS9_SE_NS0_5tupleIJPjSE_EEENSF_IJSE_SE_EEES9_SG_JZNS1_25segmented_radix_sort_implINS0_14default_configELb1EPKdPdPKlPlN2at6native12_GLOBAL__N_18offset_tEEE10hipError_tPvRmT1_PNSt15iterator_traitsISY_E10value_typeET2_T3_PNSZ_IS14_E10value_typeET4_jRbjT5_S1A_jjP12ihipStream_tbEUljE_EEESV_SW_SX_S14_S18_S1A_T6_T7_T9_mT8_S1C_bDpT10_ENKUlT_T0_E_clISt17integral_constantIbLb0EES1O_IbLb1EEEEDaS1K_S1L_EUlS1K_E_NS1_11comp_targetILNS1_3genE4ELNS1_11target_archE910ELNS1_3gpuE8ELNS1_3repE0EEENS1_30default_config_static_selectorELNS0_4arch9wavefront6targetE0EEEvSY_.has_indirect_call, 0
	.section	.AMDGPU.csdata,"",@progbits
; Kernel info:
; codeLenInByte = 0
; TotalNumSgprs: 0
; NumVgprs: 0
; ScratchSize: 0
; MemoryBound: 0
; FloatMode: 240
; IeeeMode: 1
; LDSByteSize: 0 bytes/workgroup (compile time only)
; SGPRBlocks: 0
; VGPRBlocks: 0
; NumSGPRsForWavesPerEU: 1
; NumVGPRsForWavesPerEU: 1
; NamedBarCnt: 0
; Occupancy: 16
; WaveLimiterHint : 0
; COMPUTE_PGM_RSRC2:SCRATCH_EN: 0
; COMPUTE_PGM_RSRC2:USER_SGPR: 2
; COMPUTE_PGM_RSRC2:TRAP_HANDLER: 0
; COMPUTE_PGM_RSRC2:TGID_X_EN: 1
; COMPUTE_PGM_RSRC2:TGID_Y_EN: 0
; COMPUTE_PGM_RSRC2:TGID_Z_EN: 0
; COMPUTE_PGM_RSRC2:TIDIG_COMP_CNT: 0
	.section	.text._ZN7rocprim17ROCPRIM_400000_NS6detail17trampoline_kernelINS0_13select_configILj256ELj13ELNS0_17block_load_methodE3ELS4_3ELS4_3ELNS0_20block_scan_algorithmE0ELj4294967295EEENS1_25partition_config_selectorILNS1_17partition_subalgoE3EjNS0_10empty_typeEbEEZZNS1_14partition_implILS8_3ELb0ES6_jNS0_17counting_iteratorIjlEEPS9_SE_NS0_5tupleIJPjSE_EEENSF_IJSE_SE_EEES9_SG_JZNS1_25segmented_radix_sort_implINS0_14default_configELb1EPKdPdPKlPlN2at6native12_GLOBAL__N_18offset_tEEE10hipError_tPvRmT1_PNSt15iterator_traitsISY_E10value_typeET2_T3_PNSZ_IS14_E10value_typeET4_jRbjT5_S1A_jjP12ihipStream_tbEUljE_EEESV_SW_SX_S14_S18_S1A_T6_T7_T9_mT8_S1C_bDpT10_ENKUlT_T0_E_clISt17integral_constantIbLb0EES1O_IbLb1EEEEDaS1K_S1L_EUlS1K_E_NS1_11comp_targetILNS1_3genE3ELNS1_11target_archE908ELNS1_3gpuE7ELNS1_3repE0EEENS1_30default_config_static_selectorELNS0_4arch9wavefront6targetE0EEEvSY_,"axG",@progbits,_ZN7rocprim17ROCPRIM_400000_NS6detail17trampoline_kernelINS0_13select_configILj256ELj13ELNS0_17block_load_methodE3ELS4_3ELS4_3ELNS0_20block_scan_algorithmE0ELj4294967295EEENS1_25partition_config_selectorILNS1_17partition_subalgoE3EjNS0_10empty_typeEbEEZZNS1_14partition_implILS8_3ELb0ES6_jNS0_17counting_iteratorIjlEEPS9_SE_NS0_5tupleIJPjSE_EEENSF_IJSE_SE_EEES9_SG_JZNS1_25segmented_radix_sort_implINS0_14default_configELb1EPKdPdPKlPlN2at6native12_GLOBAL__N_18offset_tEEE10hipError_tPvRmT1_PNSt15iterator_traitsISY_E10value_typeET2_T3_PNSZ_IS14_E10value_typeET4_jRbjT5_S1A_jjP12ihipStream_tbEUljE_EEESV_SW_SX_S14_S18_S1A_T6_T7_T9_mT8_S1C_bDpT10_ENKUlT_T0_E_clISt17integral_constantIbLb0EES1O_IbLb1EEEEDaS1K_S1L_EUlS1K_E_NS1_11comp_targetILNS1_3genE3ELNS1_11target_archE908ELNS1_3gpuE7ELNS1_3repE0EEENS1_30default_config_static_selectorELNS0_4arch9wavefront6targetE0EEEvSY_,comdat
	.globl	_ZN7rocprim17ROCPRIM_400000_NS6detail17trampoline_kernelINS0_13select_configILj256ELj13ELNS0_17block_load_methodE3ELS4_3ELS4_3ELNS0_20block_scan_algorithmE0ELj4294967295EEENS1_25partition_config_selectorILNS1_17partition_subalgoE3EjNS0_10empty_typeEbEEZZNS1_14partition_implILS8_3ELb0ES6_jNS0_17counting_iteratorIjlEEPS9_SE_NS0_5tupleIJPjSE_EEENSF_IJSE_SE_EEES9_SG_JZNS1_25segmented_radix_sort_implINS0_14default_configELb1EPKdPdPKlPlN2at6native12_GLOBAL__N_18offset_tEEE10hipError_tPvRmT1_PNSt15iterator_traitsISY_E10value_typeET2_T3_PNSZ_IS14_E10value_typeET4_jRbjT5_S1A_jjP12ihipStream_tbEUljE_EEESV_SW_SX_S14_S18_S1A_T6_T7_T9_mT8_S1C_bDpT10_ENKUlT_T0_E_clISt17integral_constantIbLb0EES1O_IbLb1EEEEDaS1K_S1L_EUlS1K_E_NS1_11comp_targetILNS1_3genE3ELNS1_11target_archE908ELNS1_3gpuE7ELNS1_3repE0EEENS1_30default_config_static_selectorELNS0_4arch9wavefront6targetE0EEEvSY_ ; -- Begin function _ZN7rocprim17ROCPRIM_400000_NS6detail17trampoline_kernelINS0_13select_configILj256ELj13ELNS0_17block_load_methodE3ELS4_3ELS4_3ELNS0_20block_scan_algorithmE0ELj4294967295EEENS1_25partition_config_selectorILNS1_17partition_subalgoE3EjNS0_10empty_typeEbEEZZNS1_14partition_implILS8_3ELb0ES6_jNS0_17counting_iteratorIjlEEPS9_SE_NS0_5tupleIJPjSE_EEENSF_IJSE_SE_EEES9_SG_JZNS1_25segmented_radix_sort_implINS0_14default_configELb1EPKdPdPKlPlN2at6native12_GLOBAL__N_18offset_tEEE10hipError_tPvRmT1_PNSt15iterator_traitsISY_E10value_typeET2_T3_PNSZ_IS14_E10value_typeET4_jRbjT5_S1A_jjP12ihipStream_tbEUljE_EEESV_SW_SX_S14_S18_S1A_T6_T7_T9_mT8_S1C_bDpT10_ENKUlT_T0_E_clISt17integral_constantIbLb0EES1O_IbLb1EEEEDaS1K_S1L_EUlS1K_E_NS1_11comp_targetILNS1_3genE3ELNS1_11target_archE908ELNS1_3gpuE7ELNS1_3repE0EEENS1_30default_config_static_selectorELNS0_4arch9wavefront6targetE0EEEvSY_
	.p2align	8
	.type	_ZN7rocprim17ROCPRIM_400000_NS6detail17trampoline_kernelINS0_13select_configILj256ELj13ELNS0_17block_load_methodE3ELS4_3ELS4_3ELNS0_20block_scan_algorithmE0ELj4294967295EEENS1_25partition_config_selectorILNS1_17partition_subalgoE3EjNS0_10empty_typeEbEEZZNS1_14partition_implILS8_3ELb0ES6_jNS0_17counting_iteratorIjlEEPS9_SE_NS0_5tupleIJPjSE_EEENSF_IJSE_SE_EEES9_SG_JZNS1_25segmented_radix_sort_implINS0_14default_configELb1EPKdPdPKlPlN2at6native12_GLOBAL__N_18offset_tEEE10hipError_tPvRmT1_PNSt15iterator_traitsISY_E10value_typeET2_T3_PNSZ_IS14_E10value_typeET4_jRbjT5_S1A_jjP12ihipStream_tbEUljE_EEESV_SW_SX_S14_S18_S1A_T6_T7_T9_mT8_S1C_bDpT10_ENKUlT_T0_E_clISt17integral_constantIbLb0EES1O_IbLb1EEEEDaS1K_S1L_EUlS1K_E_NS1_11comp_targetILNS1_3genE3ELNS1_11target_archE908ELNS1_3gpuE7ELNS1_3repE0EEENS1_30default_config_static_selectorELNS0_4arch9wavefront6targetE0EEEvSY_,@function
_ZN7rocprim17ROCPRIM_400000_NS6detail17trampoline_kernelINS0_13select_configILj256ELj13ELNS0_17block_load_methodE3ELS4_3ELS4_3ELNS0_20block_scan_algorithmE0ELj4294967295EEENS1_25partition_config_selectorILNS1_17partition_subalgoE3EjNS0_10empty_typeEbEEZZNS1_14partition_implILS8_3ELb0ES6_jNS0_17counting_iteratorIjlEEPS9_SE_NS0_5tupleIJPjSE_EEENSF_IJSE_SE_EEES9_SG_JZNS1_25segmented_radix_sort_implINS0_14default_configELb1EPKdPdPKlPlN2at6native12_GLOBAL__N_18offset_tEEE10hipError_tPvRmT1_PNSt15iterator_traitsISY_E10value_typeET2_T3_PNSZ_IS14_E10value_typeET4_jRbjT5_S1A_jjP12ihipStream_tbEUljE_EEESV_SW_SX_S14_S18_S1A_T6_T7_T9_mT8_S1C_bDpT10_ENKUlT_T0_E_clISt17integral_constantIbLb0EES1O_IbLb1EEEEDaS1K_S1L_EUlS1K_E_NS1_11comp_targetILNS1_3genE3ELNS1_11target_archE908ELNS1_3gpuE7ELNS1_3repE0EEENS1_30default_config_static_selectorELNS0_4arch9wavefront6targetE0EEEvSY_: ; @_ZN7rocprim17ROCPRIM_400000_NS6detail17trampoline_kernelINS0_13select_configILj256ELj13ELNS0_17block_load_methodE3ELS4_3ELS4_3ELNS0_20block_scan_algorithmE0ELj4294967295EEENS1_25partition_config_selectorILNS1_17partition_subalgoE3EjNS0_10empty_typeEbEEZZNS1_14partition_implILS8_3ELb0ES6_jNS0_17counting_iteratorIjlEEPS9_SE_NS0_5tupleIJPjSE_EEENSF_IJSE_SE_EEES9_SG_JZNS1_25segmented_radix_sort_implINS0_14default_configELb1EPKdPdPKlPlN2at6native12_GLOBAL__N_18offset_tEEE10hipError_tPvRmT1_PNSt15iterator_traitsISY_E10value_typeET2_T3_PNSZ_IS14_E10value_typeET4_jRbjT5_S1A_jjP12ihipStream_tbEUljE_EEESV_SW_SX_S14_S18_S1A_T6_T7_T9_mT8_S1C_bDpT10_ENKUlT_T0_E_clISt17integral_constantIbLb0EES1O_IbLb1EEEEDaS1K_S1L_EUlS1K_E_NS1_11comp_targetILNS1_3genE3ELNS1_11target_archE908ELNS1_3gpuE7ELNS1_3repE0EEENS1_30default_config_static_selectorELNS0_4arch9wavefront6targetE0EEEvSY_
; %bb.0:
	.section	.rodata,"a",@progbits
	.p2align	6, 0x0
	.amdhsa_kernel _ZN7rocprim17ROCPRIM_400000_NS6detail17trampoline_kernelINS0_13select_configILj256ELj13ELNS0_17block_load_methodE3ELS4_3ELS4_3ELNS0_20block_scan_algorithmE0ELj4294967295EEENS1_25partition_config_selectorILNS1_17partition_subalgoE3EjNS0_10empty_typeEbEEZZNS1_14partition_implILS8_3ELb0ES6_jNS0_17counting_iteratorIjlEEPS9_SE_NS0_5tupleIJPjSE_EEENSF_IJSE_SE_EEES9_SG_JZNS1_25segmented_radix_sort_implINS0_14default_configELb1EPKdPdPKlPlN2at6native12_GLOBAL__N_18offset_tEEE10hipError_tPvRmT1_PNSt15iterator_traitsISY_E10value_typeET2_T3_PNSZ_IS14_E10value_typeET4_jRbjT5_S1A_jjP12ihipStream_tbEUljE_EEESV_SW_SX_S14_S18_S1A_T6_T7_T9_mT8_S1C_bDpT10_ENKUlT_T0_E_clISt17integral_constantIbLb0EES1O_IbLb1EEEEDaS1K_S1L_EUlS1K_E_NS1_11comp_targetILNS1_3genE3ELNS1_11target_archE908ELNS1_3gpuE7ELNS1_3repE0EEENS1_30default_config_static_selectorELNS0_4arch9wavefront6targetE0EEEvSY_
		.amdhsa_group_segment_fixed_size 0
		.amdhsa_private_segment_fixed_size 0
		.amdhsa_kernarg_size 152
		.amdhsa_user_sgpr_count 2
		.amdhsa_user_sgpr_dispatch_ptr 0
		.amdhsa_user_sgpr_queue_ptr 0
		.amdhsa_user_sgpr_kernarg_segment_ptr 1
		.amdhsa_user_sgpr_dispatch_id 0
		.amdhsa_user_sgpr_kernarg_preload_length 0
		.amdhsa_user_sgpr_kernarg_preload_offset 0
		.amdhsa_user_sgpr_private_segment_size 0
		.amdhsa_wavefront_size32 1
		.amdhsa_uses_dynamic_stack 0
		.amdhsa_enable_private_segment 0
		.amdhsa_system_sgpr_workgroup_id_x 1
		.amdhsa_system_sgpr_workgroup_id_y 0
		.amdhsa_system_sgpr_workgroup_id_z 0
		.amdhsa_system_sgpr_workgroup_info 0
		.amdhsa_system_vgpr_workitem_id 0
		.amdhsa_next_free_vgpr 1
		.amdhsa_next_free_sgpr 1
		.amdhsa_named_barrier_count 0
		.amdhsa_reserve_vcc 0
		.amdhsa_float_round_mode_32 0
		.amdhsa_float_round_mode_16_64 0
		.amdhsa_float_denorm_mode_32 3
		.amdhsa_float_denorm_mode_16_64 3
		.amdhsa_fp16_overflow 0
		.amdhsa_memory_ordered 1
		.amdhsa_forward_progress 1
		.amdhsa_inst_pref_size 0
		.amdhsa_round_robin_scheduling 0
		.amdhsa_exception_fp_ieee_invalid_op 0
		.amdhsa_exception_fp_denorm_src 0
		.amdhsa_exception_fp_ieee_div_zero 0
		.amdhsa_exception_fp_ieee_overflow 0
		.amdhsa_exception_fp_ieee_underflow 0
		.amdhsa_exception_fp_ieee_inexact 0
		.amdhsa_exception_int_div_zero 0
	.end_amdhsa_kernel
	.section	.text._ZN7rocprim17ROCPRIM_400000_NS6detail17trampoline_kernelINS0_13select_configILj256ELj13ELNS0_17block_load_methodE3ELS4_3ELS4_3ELNS0_20block_scan_algorithmE0ELj4294967295EEENS1_25partition_config_selectorILNS1_17partition_subalgoE3EjNS0_10empty_typeEbEEZZNS1_14partition_implILS8_3ELb0ES6_jNS0_17counting_iteratorIjlEEPS9_SE_NS0_5tupleIJPjSE_EEENSF_IJSE_SE_EEES9_SG_JZNS1_25segmented_radix_sort_implINS0_14default_configELb1EPKdPdPKlPlN2at6native12_GLOBAL__N_18offset_tEEE10hipError_tPvRmT1_PNSt15iterator_traitsISY_E10value_typeET2_T3_PNSZ_IS14_E10value_typeET4_jRbjT5_S1A_jjP12ihipStream_tbEUljE_EEESV_SW_SX_S14_S18_S1A_T6_T7_T9_mT8_S1C_bDpT10_ENKUlT_T0_E_clISt17integral_constantIbLb0EES1O_IbLb1EEEEDaS1K_S1L_EUlS1K_E_NS1_11comp_targetILNS1_3genE3ELNS1_11target_archE908ELNS1_3gpuE7ELNS1_3repE0EEENS1_30default_config_static_selectorELNS0_4arch9wavefront6targetE0EEEvSY_,"axG",@progbits,_ZN7rocprim17ROCPRIM_400000_NS6detail17trampoline_kernelINS0_13select_configILj256ELj13ELNS0_17block_load_methodE3ELS4_3ELS4_3ELNS0_20block_scan_algorithmE0ELj4294967295EEENS1_25partition_config_selectorILNS1_17partition_subalgoE3EjNS0_10empty_typeEbEEZZNS1_14partition_implILS8_3ELb0ES6_jNS0_17counting_iteratorIjlEEPS9_SE_NS0_5tupleIJPjSE_EEENSF_IJSE_SE_EEES9_SG_JZNS1_25segmented_radix_sort_implINS0_14default_configELb1EPKdPdPKlPlN2at6native12_GLOBAL__N_18offset_tEEE10hipError_tPvRmT1_PNSt15iterator_traitsISY_E10value_typeET2_T3_PNSZ_IS14_E10value_typeET4_jRbjT5_S1A_jjP12ihipStream_tbEUljE_EEESV_SW_SX_S14_S18_S1A_T6_T7_T9_mT8_S1C_bDpT10_ENKUlT_T0_E_clISt17integral_constantIbLb0EES1O_IbLb1EEEEDaS1K_S1L_EUlS1K_E_NS1_11comp_targetILNS1_3genE3ELNS1_11target_archE908ELNS1_3gpuE7ELNS1_3repE0EEENS1_30default_config_static_selectorELNS0_4arch9wavefront6targetE0EEEvSY_,comdat
.Lfunc_end1107:
	.size	_ZN7rocprim17ROCPRIM_400000_NS6detail17trampoline_kernelINS0_13select_configILj256ELj13ELNS0_17block_load_methodE3ELS4_3ELS4_3ELNS0_20block_scan_algorithmE0ELj4294967295EEENS1_25partition_config_selectorILNS1_17partition_subalgoE3EjNS0_10empty_typeEbEEZZNS1_14partition_implILS8_3ELb0ES6_jNS0_17counting_iteratorIjlEEPS9_SE_NS0_5tupleIJPjSE_EEENSF_IJSE_SE_EEES9_SG_JZNS1_25segmented_radix_sort_implINS0_14default_configELb1EPKdPdPKlPlN2at6native12_GLOBAL__N_18offset_tEEE10hipError_tPvRmT1_PNSt15iterator_traitsISY_E10value_typeET2_T3_PNSZ_IS14_E10value_typeET4_jRbjT5_S1A_jjP12ihipStream_tbEUljE_EEESV_SW_SX_S14_S18_S1A_T6_T7_T9_mT8_S1C_bDpT10_ENKUlT_T0_E_clISt17integral_constantIbLb0EES1O_IbLb1EEEEDaS1K_S1L_EUlS1K_E_NS1_11comp_targetILNS1_3genE3ELNS1_11target_archE908ELNS1_3gpuE7ELNS1_3repE0EEENS1_30default_config_static_selectorELNS0_4arch9wavefront6targetE0EEEvSY_, .Lfunc_end1107-_ZN7rocprim17ROCPRIM_400000_NS6detail17trampoline_kernelINS0_13select_configILj256ELj13ELNS0_17block_load_methodE3ELS4_3ELS4_3ELNS0_20block_scan_algorithmE0ELj4294967295EEENS1_25partition_config_selectorILNS1_17partition_subalgoE3EjNS0_10empty_typeEbEEZZNS1_14partition_implILS8_3ELb0ES6_jNS0_17counting_iteratorIjlEEPS9_SE_NS0_5tupleIJPjSE_EEENSF_IJSE_SE_EEES9_SG_JZNS1_25segmented_radix_sort_implINS0_14default_configELb1EPKdPdPKlPlN2at6native12_GLOBAL__N_18offset_tEEE10hipError_tPvRmT1_PNSt15iterator_traitsISY_E10value_typeET2_T3_PNSZ_IS14_E10value_typeET4_jRbjT5_S1A_jjP12ihipStream_tbEUljE_EEESV_SW_SX_S14_S18_S1A_T6_T7_T9_mT8_S1C_bDpT10_ENKUlT_T0_E_clISt17integral_constantIbLb0EES1O_IbLb1EEEEDaS1K_S1L_EUlS1K_E_NS1_11comp_targetILNS1_3genE3ELNS1_11target_archE908ELNS1_3gpuE7ELNS1_3repE0EEENS1_30default_config_static_selectorELNS0_4arch9wavefront6targetE0EEEvSY_
                                        ; -- End function
	.set _ZN7rocprim17ROCPRIM_400000_NS6detail17trampoline_kernelINS0_13select_configILj256ELj13ELNS0_17block_load_methodE3ELS4_3ELS4_3ELNS0_20block_scan_algorithmE0ELj4294967295EEENS1_25partition_config_selectorILNS1_17partition_subalgoE3EjNS0_10empty_typeEbEEZZNS1_14partition_implILS8_3ELb0ES6_jNS0_17counting_iteratorIjlEEPS9_SE_NS0_5tupleIJPjSE_EEENSF_IJSE_SE_EEES9_SG_JZNS1_25segmented_radix_sort_implINS0_14default_configELb1EPKdPdPKlPlN2at6native12_GLOBAL__N_18offset_tEEE10hipError_tPvRmT1_PNSt15iterator_traitsISY_E10value_typeET2_T3_PNSZ_IS14_E10value_typeET4_jRbjT5_S1A_jjP12ihipStream_tbEUljE_EEESV_SW_SX_S14_S18_S1A_T6_T7_T9_mT8_S1C_bDpT10_ENKUlT_T0_E_clISt17integral_constantIbLb0EES1O_IbLb1EEEEDaS1K_S1L_EUlS1K_E_NS1_11comp_targetILNS1_3genE3ELNS1_11target_archE908ELNS1_3gpuE7ELNS1_3repE0EEENS1_30default_config_static_selectorELNS0_4arch9wavefront6targetE0EEEvSY_.num_vgpr, 0
	.set _ZN7rocprim17ROCPRIM_400000_NS6detail17trampoline_kernelINS0_13select_configILj256ELj13ELNS0_17block_load_methodE3ELS4_3ELS4_3ELNS0_20block_scan_algorithmE0ELj4294967295EEENS1_25partition_config_selectorILNS1_17partition_subalgoE3EjNS0_10empty_typeEbEEZZNS1_14partition_implILS8_3ELb0ES6_jNS0_17counting_iteratorIjlEEPS9_SE_NS0_5tupleIJPjSE_EEENSF_IJSE_SE_EEES9_SG_JZNS1_25segmented_radix_sort_implINS0_14default_configELb1EPKdPdPKlPlN2at6native12_GLOBAL__N_18offset_tEEE10hipError_tPvRmT1_PNSt15iterator_traitsISY_E10value_typeET2_T3_PNSZ_IS14_E10value_typeET4_jRbjT5_S1A_jjP12ihipStream_tbEUljE_EEESV_SW_SX_S14_S18_S1A_T6_T7_T9_mT8_S1C_bDpT10_ENKUlT_T0_E_clISt17integral_constantIbLb0EES1O_IbLb1EEEEDaS1K_S1L_EUlS1K_E_NS1_11comp_targetILNS1_3genE3ELNS1_11target_archE908ELNS1_3gpuE7ELNS1_3repE0EEENS1_30default_config_static_selectorELNS0_4arch9wavefront6targetE0EEEvSY_.num_agpr, 0
	.set _ZN7rocprim17ROCPRIM_400000_NS6detail17trampoline_kernelINS0_13select_configILj256ELj13ELNS0_17block_load_methodE3ELS4_3ELS4_3ELNS0_20block_scan_algorithmE0ELj4294967295EEENS1_25partition_config_selectorILNS1_17partition_subalgoE3EjNS0_10empty_typeEbEEZZNS1_14partition_implILS8_3ELb0ES6_jNS0_17counting_iteratorIjlEEPS9_SE_NS0_5tupleIJPjSE_EEENSF_IJSE_SE_EEES9_SG_JZNS1_25segmented_radix_sort_implINS0_14default_configELb1EPKdPdPKlPlN2at6native12_GLOBAL__N_18offset_tEEE10hipError_tPvRmT1_PNSt15iterator_traitsISY_E10value_typeET2_T3_PNSZ_IS14_E10value_typeET4_jRbjT5_S1A_jjP12ihipStream_tbEUljE_EEESV_SW_SX_S14_S18_S1A_T6_T7_T9_mT8_S1C_bDpT10_ENKUlT_T0_E_clISt17integral_constantIbLb0EES1O_IbLb1EEEEDaS1K_S1L_EUlS1K_E_NS1_11comp_targetILNS1_3genE3ELNS1_11target_archE908ELNS1_3gpuE7ELNS1_3repE0EEENS1_30default_config_static_selectorELNS0_4arch9wavefront6targetE0EEEvSY_.numbered_sgpr, 0
	.set _ZN7rocprim17ROCPRIM_400000_NS6detail17trampoline_kernelINS0_13select_configILj256ELj13ELNS0_17block_load_methodE3ELS4_3ELS4_3ELNS0_20block_scan_algorithmE0ELj4294967295EEENS1_25partition_config_selectorILNS1_17partition_subalgoE3EjNS0_10empty_typeEbEEZZNS1_14partition_implILS8_3ELb0ES6_jNS0_17counting_iteratorIjlEEPS9_SE_NS0_5tupleIJPjSE_EEENSF_IJSE_SE_EEES9_SG_JZNS1_25segmented_radix_sort_implINS0_14default_configELb1EPKdPdPKlPlN2at6native12_GLOBAL__N_18offset_tEEE10hipError_tPvRmT1_PNSt15iterator_traitsISY_E10value_typeET2_T3_PNSZ_IS14_E10value_typeET4_jRbjT5_S1A_jjP12ihipStream_tbEUljE_EEESV_SW_SX_S14_S18_S1A_T6_T7_T9_mT8_S1C_bDpT10_ENKUlT_T0_E_clISt17integral_constantIbLb0EES1O_IbLb1EEEEDaS1K_S1L_EUlS1K_E_NS1_11comp_targetILNS1_3genE3ELNS1_11target_archE908ELNS1_3gpuE7ELNS1_3repE0EEENS1_30default_config_static_selectorELNS0_4arch9wavefront6targetE0EEEvSY_.num_named_barrier, 0
	.set _ZN7rocprim17ROCPRIM_400000_NS6detail17trampoline_kernelINS0_13select_configILj256ELj13ELNS0_17block_load_methodE3ELS4_3ELS4_3ELNS0_20block_scan_algorithmE0ELj4294967295EEENS1_25partition_config_selectorILNS1_17partition_subalgoE3EjNS0_10empty_typeEbEEZZNS1_14partition_implILS8_3ELb0ES6_jNS0_17counting_iteratorIjlEEPS9_SE_NS0_5tupleIJPjSE_EEENSF_IJSE_SE_EEES9_SG_JZNS1_25segmented_radix_sort_implINS0_14default_configELb1EPKdPdPKlPlN2at6native12_GLOBAL__N_18offset_tEEE10hipError_tPvRmT1_PNSt15iterator_traitsISY_E10value_typeET2_T3_PNSZ_IS14_E10value_typeET4_jRbjT5_S1A_jjP12ihipStream_tbEUljE_EEESV_SW_SX_S14_S18_S1A_T6_T7_T9_mT8_S1C_bDpT10_ENKUlT_T0_E_clISt17integral_constantIbLb0EES1O_IbLb1EEEEDaS1K_S1L_EUlS1K_E_NS1_11comp_targetILNS1_3genE3ELNS1_11target_archE908ELNS1_3gpuE7ELNS1_3repE0EEENS1_30default_config_static_selectorELNS0_4arch9wavefront6targetE0EEEvSY_.private_seg_size, 0
	.set _ZN7rocprim17ROCPRIM_400000_NS6detail17trampoline_kernelINS0_13select_configILj256ELj13ELNS0_17block_load_methodE3ELS4_3ELS4_3ELNS0_20block_scan_algorithmE0ELj4294967295EEENS1_25partition_config_selectorILNS1_17partition_subalgoE3EjNS0_10empty_typeEbEEZZNS1_14partition_implILS8_3ELb0ES6_jNS0_17counting_iteratorIjlEEPS9_SE_NS0_5tupleIJPjSE_EEENSF_IJSE_SE_EEES9_SG_JZNS1_25segmented_radix_sort_implINS0_14default_configELb1EPKdPdPKlPlN2at6native12_GLOBAL__N_18offset_tEEE10hipError_tPvRmT1_PNSt15iterator_traitsISY_E10value_typeET2_T3_PNSZ_IS14_E10value_typeET4_jRbjT5_S1A_jjP12ihipStream_tbEUljE_EEESV_SW_SX_S14_S18_S1A_T6_T7_T9_mT8_S1C_bDpT10_ENKUlT_T0_E_clISt17integral_constantIbLb0EES1O_IbLb1EEEEDaS1K_S1L_EUlS1K_E_NS1_11comp_targetILNS1_3genE3ELNS1_11target_archE908ELNS1_3gpuE7ELNS1_3repE0EEENS1_30default_config_static_selectorELNS0_4arch9wavefront6targetE0EEEvSY_.uses_vcc, 0
	.set _ZN7rocprim17ROCPRIM_400000_NS6detail17trampoline_kernelINS0_13select_configILj256ELj13ELNS0_17block_load_methodE3ELS4_3ELS4_3ELNS0_20block_scan_algorithmE0ELj4294967295EEENS1_25partition_config_selectorILNS1_17partition_subalgoE3EjNS0_10empty_typeEbEEZZNS1_14partition_implILS8_3ELb0ES6_jNS0_17counting_iteratorIjlEEPS9_SE_NS0_5tupleIJPjSE_EEENSF_IJSE_SE_EEES9_SG_JZNS1_25segmented_radix_sort_implINS0_14default_configELb1EPKdPdPKlPlN2at6native12_GLOBAL__N_18offset_tEEE10hipError_tPvRmT1_PNSt15iterator_traitsISY_E10value_typeET2_T3_PNSZ_IS14_E10value_typeET4_jRbjT5_S1A_jjP12ihipStream_tbEUljE_EEESV_SW_SX_S14_S18_S1A_T6_T7_T9_mT8_S1C_bDpT10_ENKUlT_T0_E_clISt17integral_constantIbLb0EES1O_IbLb1EEEEDaS1K_S1L_EUlS1K_E_NS1_11comp_targetILNS1_3genE3ELNS1_11target_archE908ELNS1_3gpuE7ELNS1_3repE0EEENS1_30default_config_static_selectorELNS0_4arch9wavefront6targetE0EEEvSY_.uses_flat_scratch, 0
	.set _ZN7rocprim17ROCPRIM_400000_NS6detail17trampoline_kernelINS0_13select_configILj256ELj13ELNS0_17block_load_methodE3ELS4_3ELS4_3ELNS0_20block_scan_algorithmE0ELj4294967295EEENS1_25partition_config_selectorILNS1_17partition_subalgoE3EjNS0_10empty_typeEbEEZZNS1_14partition_implILS8_3ELb0ES6_jNS0_17counting_iteratorIjlEEPS9_SE_NS0_5tupleIJPjSE_EEENSF_IJSE_SE_EEES9_SG_JZNS1_25segmented_radix_sort_implINS0_14default_configELb1EPKdPdPKlPlN2at6native12_GLOBAL__N_18offset_tEEE10hipError_tPvRmT1_PNSt15iterator_traitsISY_E10value_typeET2_T3_PNSZ_IS14_E10value_typeET4_jRbjT5_S1A_jjP12ihipStream_tbEUljE_EEESV_SW_SX_S14_S18_S1A_T6_T7_T9_mT8_S1C_bDpT10_ENKUlT_T0_E_clISt17integral_constantIbLb0EES1O_IbLb1EEEEDaS1K_S1L_EUlS1K_E_NS1_11comp_targetILNS1_3genE3ELNS1_11target_archE908ELNS1_3gpuE7ELNS1_3repE0EEENS1_30default_config_static_selectorELNS0_4arch9wavefront6targetE0EEEvSY_.has_dyn_sized_stack, 0
	.set _ZN7rocprim17ROCPRIM_400000_NS6detail17trampoline_kernelINS0_13select_configILj256ELj13ELNS0_17block_load_methodE3ELS4_3ELS4_3ELNS0_20block_scan_algorithmE0ELj4294967295EEENS1_25partition_config_selectorILNS1_17partition_subalgoE3EjNS0_10empty_typeEbEEZZNS1_14partition_implILS8_3ELb0ES6_jNS0_17counting_iteratorIjlEEPS9_SE_NS0_5tupleIJPjSE_EEENSF_IJSE_SE_EEES9_SG_JZNS1_25segmented_radix_sort_implINS0_14default_configELb1EPKdPdPKlPlN2at6native12_GLOBAL__N_18offset_tEEE10hipError_tPvRmT1_PNSt15iterator_traitsISY_E10value_typeET2_T3_PNSZ_IS14_E10value_typeET4_jRbjT5_S1A_jjP12ihipStream_tbEUljE_EEESV_SW_SX_S14_S18_S1A_T6_T7_T9_mT8_S1C_bDpT10_ENKUlT_T0_E_clISt17integral_constantIbLb0EES1O_IbLb1EEEEDaS1K_S1L_EUlS1K_E_NS1_11comp_targetILNS1_3genE3ELNS1_11target_archE908ELNS1_3gpuE7ELNS1_3repE0EEENS1_30default_config_static_selectorELNS0_4arch9wavefront6targetE0EEEvSY_.has_recursion, 0
	.set _ZN7rocprim17ROCPRIM_400000_NS6detail17trampoline_kernelINS0_13select_configILj256ELj13ELNS0_17block_load_methodE3ELS4_3ELS4_3ELNS0_20block_scan_algorithmE0ELj4294967295EEENS1_25partition_config_selectorILNS1_17partition_subalgoE3EjNS0_10empty_typeEbEEZZNS1_14partition_implILS8_3ELb0ES6_jNS0_17counting_iteratorIjlEEPS9_SE_NS0_5tupleIJPjSE_EEENSF_IJSE_SE_EEES9_SG_JZNS1_25segmented_radix_sort_implINS0_14default_configELb1EPKdPdPKlPlN2at6native12_GLOBAL__N_18offset_tEEE10hipError_tPvRmT1_PNSt15iterator_traitsISY_E10value_typeET2_T3_PNSZ_IS14_E10value_typeET4_jRbjT5_S1A_jjP12ihipStream_tbEUljE_EEESV_SW_SX_S14_S18_S1A_T6_T7_T9_mT8_S1C_bDpT10_ENKUlT_T0_E_clISt17integral_constantIbLb0EES1O_IbLb1EEEEDaS1K_S1L_EUlS1K_E_NS1_11comp_targetILNS1_3genE3ELNS1_11target_archE908ELNS1_3gpuE7ELNS1_3repE0EEENS1_30default_config_static_selectorELNS0_4arch9wavefront6targetE0EEEvSY_.has_indirect_call, 0
	.section	.AMDGPU.csdata,"",@progbits
; Kernel info:
; codeLenInByte = 0
; TotalNumSgprs: 0
; NumVgprs: 0
; ScratchSize: 0
; MemoryBound: 0
; FloatMode: 240
; IeeeMode: 1
; LDSByteSize: 0 bytes/workgroup (compile time only)
; SGPRBlocks: 0
; VGPRBlocks: 0
; NumSGPRsForWavesPerEU: 1
; NumVGPRsForWavesPerEU: 1
; NamedBarCnt: 0
; Occupancy: 16
; WaveLimiterHint : 0
; COMPUTE_PGM_RSRC2:SCRATCH_EN: 0
; COMPUTE_PGM_RSRC2:USER_SGPR: 2
; COMPUTE_PGM_RSRC2:TRAP_HANDLER: 0
; COMPUTE_PGM_RSRC2:TGID_X_EN: 1
; COMPUTE_PGM_RSRC2:TGID_Y_EN: 0
; COMPUTE_PGM_RSRC2:TGID_Z_EN: 0
; COMPUTE_PGM_RSRC2:TIDIG_COMP_CNT: 0
	.section	.text._ZN7rocprim17ROCPRIM_400000_NS6detail17trampoline_kernelINS0_13select_configILj256ELj13ELNS0_17block_load_methodE3ELS4_3ELS4_3ELNS0_20block_scan_algorithmE0ELj4294967295EEENS1_25partition_config_selectorILNS1_17partition_subalgoE3EjNS0_10empty_typeEbEEZZNS1_14partition_implILS8_3ELb0ES6_jNS0_17counting_iteratorIjlEEPS9_SE_NS0_5tupleIJPjSE_EEENSF_IJSE_SE_EEES9_SG_JZNS1_25segmented_radix_sort_implINS0_14default_configELb1EPKdPdPKlPlN2at6native12_GLOBAL__N_18offset_tEEE10hipError_tPvRmT1_PNSt15iterator_traitsISY_E10value_typeET2_T3_PNSZ_IS14_E10value_typeET4_jRbjT5_S1A_jjP12ihipStream_tbEUljE_EEESV_SW_SX_S14_S18_S1A_T6_T7_T9_mT8_S1C_bDpT10_ENKUlT_T0_E_clISt17integral_constantIbLb0EES1O_IbLb1EEEEDaS1K_S1L_EUlS1K_E_NS1_11comp_targetILNS1_3genE2ELNS1_11target_archE906ELNS1_3gpuE6ELNS1_3repE0EEENS1_30default_config_static_selectorELNS0_4arch9wavefront6targetE0EEEvSY_,"axG",@progbits,_ZN7rocprim17ROCPRIM_400000_NS6detail17trampoline_kernelINS0_13select_configILj256ELj13ELNS0_17block_load_methodE3ELS4_3ELS4_3ELNS0_20block_scan_algorithmE0ELj4294967295EEENS1_25partition_config_selectorILNS1_17partition_subalgoE3EjNS0_10empty_typeEbEEZZNS1_14partition_implILS8_3ELb0ES6_jNS0_17counting_iteratorIjlEEPS9_SE_NS0_5tupleIJPjSE_EEENSF_IJSE_SE_EEES9_SG_JZNS1_25segmented_radix_sort_implINS0_14default_configELb1EPKdPdPKlPlN2at6native12_GLOBAL__N_18offset_tEEE10hipError_tPvRmT1_PNSt15iterator_traitsISY_E10value_typeET2_T3_PNSZ_IS14_E10value_typeET4_jRbjT5_S1A_jjP12ihipStream_tbEUljE_EEESV_SW_SX_S14_S18_S1A_T6_T7_T9_mT8_S1C_bDpT10_ENKUlT_T0_E_clISt17integral_constantIbLb0EES1O_IbLb1EEEEDaS1K_S1L_EUlS1K_E_NS1_11comp_targetILNS1_3genE2ELNS1_11target_archE906ELNS1_3gpuE6ELNS1_3repE0EEENS1_30default_config_static_selectorELNS0_4arch9wavefront6targetE0EEEvSY_,comdat
	.globl	_ZN7rocprim17ROCPRIM_400000_NS6detail17trampoline_kernelINS0_13select_configILj256ELj13ELNS0_17block_load_methodE3ELS4_3ELS4_3ELNS0_20block_scan_algorithmE0ELj4294967295EEENS1_25partition_config_selectorILNS1_17partition_subalgoE3EjNS0_10empty_typeEbEEZZNS1_14partition_implILS8_3ELb0ES6_jNS0_17counting_iteratorIjlEEPS9_SE_NS0_5tupleIJPjSE_EEENSF_IJSE_SE_EEES9_SG_JZNS1_25segmented_radix_sort_implINS0_14default_configELb1EPKdPdPKlPlN2at6native12_GLOBAL__N_18offset_tEEE10hipError_tPvRmT1_PNSt15iterator_traitsISY_E10value_typeET2_T3_PNSZ_IS14_E10value_typeET4_jRbjT5_S1A_jjP12ihipStream_tbEUljE_EEESV_SW_SX_S14_S18_S1A_T6_T7_T9_mT8_S1C_bDpT10_ENKUlT_T0_E_clISt17integral_constantIbLb0EES1O_IbLb1EEEEDaS1K_S1L_EUlS1K_E_NS1_11comp_targetILNS1_3genE2ELNS1_11target_archE906ELNS1_3gpuE6ELNS1_3repE0EEENS1_30default_config_static_selectorELNS0_4arch9wavefront6targetE0EEEvSY_ ; -- Begin function _ZN7rocprim17ROCPRIM_400000_NS6detail17trampoline_kernelINS0_13select_configILj256ELj13ELNS0_17block_load_methodE3ELS4_3ELS4_3ELNS0_20block_scan_algorithmE0ELj4294967295EEENS1_25partition_config_selectorILNS1_17partition_subalgoE3EjNS0_10empty_typeEbEEZZNS1_14partition_implILS8_3ELb0ES6_jNS0_17counting_iteratorIjlEEPS9_SE_NS0_5tupleIJPjSE_EEENSF_IJSE_SE_EEES9_SG_JZNS1_25segmented_radix_sort_implINS0_14default_configELb1EPKdPdPKlPlN2at6native12_GLOBAL__N_18offset_tEEE10hipError_tPvRmT1_PNSt15iterator_traitsISY_E10value_typeET2_T3_PNSZ_IS14_E10value_typeET4_jRbjT5_S1A_jjP12ihipStream_tbEUljE_EEESV_SW_SX_S14_S18_S1A_T6_T7_T9_mT8_S1C_bDpT10_ENKUlT_T0_E_clISt17integral_constantIbLb0EES1O_IbLb1EEEEDaS1K_S1L_EUlS1K_E_NS1_11comp_targetILNS1_3genE2ELNS1_11target_archE906ELNS1_3gpuE6ELNS1_3repE0EEENS1_30default_config_static_selectorELNS0_4arch9wavefront6targetE0EEEvSY_
	.p2align	8
	.type	_ZN7rocprim17ROCPRIM_400000_NS6detail17trampoline_kernelINS0_13select_configILj256ELj13ELNS0_17block_load_methodE3ELS4_3ELS4_3ELNS0_20block_scan_algorithmE0ELj4294967295EEENS1_25partition_config_selectorILNS1_17partition_subalgoE3EjNS0_10empty_typeEbEEZZNS1_14partition_implILS8_3ELb0ES6_jNS0_17counting_iteratorIjlEEPS9_SE_NS0_5tupleIJPjSE_EEENSF_IJSE_SE_EEES9_SG_JZNS1_25segmented_radix_sort_implINS0_14default_configELb1EPKdPdPKlPlN2at6native12_GLOBAL__N_18offset_tEEE10hipError_tPvRmT1_PNSt15iterator_traitsISY_E10value_typeET2_T3_PNSZ_IS14_E10value_typeET4_jRbjT5_S1A_jjP12ihipStream_tbEUljE_EEESV_SW_SX_S14_S18_S1A_T6_T7_T9_mT8_S1C_bDpT10_ENKUlT_T0_E_clISt17integral_constantIbLb0EES1O_IbLb1EEEEDaS1K_S1L_EUlS1K_E_NS1_11comp_targetILNS1_3genE2ELNS1_11target_archE906ELNS1_3gpuE6ELNS1_3repE0EEENS1_30default_config_static_selectorELNS0_4arch9wavefront6targetE0EEEvSY_,@function
_ZN7rocprim17ROCPRIM_400000_NS6detail17trampoline_kernelINS0_13select_configILj256ELj13ELNS0_17block_load_methodE3ELS4_3ELS4_3ELNS0_20block_scan_algorithmE0ELj4294967295EEENS1_25partition_config_selectorILNS1_17partition_subalgoE3EjNS0_10empty_typeEbEEZZNS1_14partition_implILS8_3ELb0ES6_jNS0_17counting_iteratorIjlEEPS9_SE_NS0_5tupleIJPjSE_EEENSF_IJSE_SE_EEES9_SG_JZNS1_25segmented_radix_sort_implINS0_14default_configELb1EPKdPdPKlPlN2at6native12_GLOBAL__N_18offset_tEEE10hipError_tPvRmT1_PNSt15iterator_traitsISY_E10value_typeET2_T3_PNSZ_IS14_E10value_typeET4_jRbjT5_S1A_jjP12ihipStream_tbEUljE_EEESV_SW_SX_S14_S18_S1A_T6_T7_T9_mT8_S1C_bDpT10_ENKUlT_T0_E_clISt17integral_constantIbLb0EES1O_IbLb1EEEEDaS1K_S1L_EUlS1K_E_NS1_11comp_targetILNS1_3genE2ELNS1_11target_archE906ELNS1_3gpuE6ELNS1_3repE0EEENS1_30default_config_static_selectorELNS0_4arch9wavefront6targetE0EEEvSY_: ; @_ZN7rocprim17ROCPRIM_400000_NS6detail17trampoline_kernelINS0_13select_configILj256ELj13ELNS0_17block_load_methodE3ELS4_3ELS4_3ELNS0_20block_scan_algorithmE0ELj4294967295EEENS1_25partition_config_selectorILNS1_17partition_subalgoE3EjNS0_10empty_typeEbEEZZNS1_14partition_implILS8_3ELb0ES6_jNS0_17counting_iteratorIjlEEPS9_SE_NS0_5tupleIJPjSE_EEENSF_IJSE_SE_EEES9_SG_JZNS1_25segmented_radix_sort_implINS0_14default_configELb1EPKdPdPKlPlN2at6native12_GLOBAL__N_18offset_tEEE10hipError_tPvRmT1_PNSt15iterator_traitsISY_E10value_typeET2_T3_PNSZ_IS14_E10value_typeET4_jRbjT5_S1A_jjP12ihipStream_tbEUljE_EEESV_SW_SX_S14_S18_S1A_T6_T7_T9_mT8_S1C_bDpT10_ENKUlT_T0_E_clISt17integral_constantIbLb0EES1O_IbLb1EEEEDaS1K_S1L_EUlS1K_E_NS1_11comp_targetILNS1_3genE2ELNS1_11target_archE906ELNS1_3gpuE6ELNS1_3repE0EEENS1_30default_config_static_selectorELNS0_4arch9wavefront6targetE0EEEvSY_
; %bb.0:
	.section	.rodata,"a",@progbits
	.p2align	6, 0x0
	.amdhsa_kernel _ZN7rocprim17ROCPRIM_400000_NS6detail17trampoline_kernelINS0_13select_configILj256ELj13ELNS0_17block_load_methodE3ELS4_3ELS4_3ELNS0_20block_scan_algorithmE0ELj4294967295EEENS1_25partition_config_selectorILNS1_17partition_subalgoE3EjNS0_10empty_typeEbEEZZNS1_14partition_implILS8_3ELb0ES6_jNS0_17counting_iteratorIjlEEPS9_SE_NS0_5tupleIJPjSE_EEENSF_IJSE_SE_EEES9_SG_JZNS1_25segmented_radix_sort_implINS0_14default_configELb1EPKdPdPKlPlN2at6native12_GLOBAL__N_18offset_tEEE10hipError_tPvRmT1_PNSt15iterator_traitsISY_E10value_typeET2_T3_PNSZ_IS14_E10value_typeET4_jRbjT5_S1A_jjP12ihipStream_tbEUljE_EEESV_SW_SX_S14_S18_S1A_T6_T7_T9_mT8_S1C_bDpT10_ENKUlT_T0_E_clISt17integral_constantIbLb0EES1O_IbLb1EEEEDaS1K_S1L_EUlS1K_E_NS1_11comp_targetILNS1_3genE2ELNS1_11target_archE906ELNS1_3gpuE6ELNS1_3repE0EEENS1_30default_config_static_selectorELNS0_4arch9wavefront6targetE0EEEvSY_
		.amdhsa_group_segment_fixed_size 0
		.amdhsa_private_segment_fixed_size 0
		.amdhsa_kernarg_size 152
		.amdhsa_user_sgpr_count 2
		.amdhsa_user_sgpr_dispatch_ptr 0
		.amdhsa_user_sgpr_queue_ptr 0
		.amdhsa_user_sgpr_kernarg_segment_ptr 1
		.amdhsa_user_sgpr_dispatch_id 0
		.amdhsa_user_sgpr_kernarg_preload_length 0
		.amdhsa_user_sgpr_kernarg_preload_offset 0
		.amdhsa_user_sgpr_private_segment_size 0
		.amdhsa_wavefront_size32 1
		.amdhsa_uses_dynamic_stack 0
		.amdhsa_enable_private_segment 0
		.amdhsa_system_sgpr_workgroup_id_x 1
		.amdhsa_system_sgpr_workgroup_id_y 0
		.amdhsa_system_sgpr_workgroup_id_z 0
		.amdhsa_system_sgpr_workgroup_info 0
		.amdhsa_system_vgpr_workitem_id 0
		.amdhsa_next_free_vgpr 1
		.amdhsa_next_free_sgpr 1
		.amdhsa_named_barrier_count 0
		.amdhsa_reserve_vcc 0
		.amdhsa_float_round_mode_32 0
		.amdhsa_float_round_mode_16_64 0
		.amdhsa_float_denorm_mode_32 3
		.amdhsa_float_denorm_mode_16_64 3
		.amdhsa_fp16_overflow 0
		.amdhsa_memory_ordered 1
		.amdhsa_forward_progress 1
		.amdhsa_inst_pref_size 0
		.amdhsa_round_robin_scheduling 0
		.amdhsa_exception_fp_ieee_invalid_op 0
		.amdhsa_exception_fp_denorm_src 0
		.amdhsa_exception_fp_ieee_div_zero 0
		.amdhsa_exception_fp_ieee_overflow 0
		.amdhsa_exception_fp_ieee_underflow 0
		.amdhsa_exception_fp_ieee_inexact 0
		.amdhsa_exception_int_div_zero 0
	.end_amdhsa_kernel
	.section	.text._ZN7rocprim17ROCPRIM_400000_NS6detail17trampoline_kernelINS0_13select_configILj256ELj13ELNS0_17block_load_methodE3ELS4_3ELS4_3ELNS0_20block_scan_algorithmE0ELj4294967295EEENS1_25partition_config_selectorILNS1_17partition_subalgoE3EjNS0_10empty_typeEbEEZZNS1_14partition_implILS8_3ELb0ES6_jNS0_17counting_iteratorIjlEEPS9_SE_NS0_5tupleIJPjSE_EEENSF_IJSE_SE_EEES9_SG_JZNS1_25segmented_radix_sort_implINS0_14default_configELb1EPKdPdPKlPlN2at6native12_GLOBAL__N_18offset_tEEE10hipError_tPvRmT1_PNSt15iterator_traitsISY_E10value_typeET2_T3_PNSZ_IS14_E10value_typeET4_jRbjT5_S1A_jjP12ihipStream_tbEUljE_EEESV_SW_SX_S14_S18_S1A_T6_T7_T9_mT8_S1C_bDpT10_ENKUlT_T0_E_clISt17integral_constantIbLb0EES1O_IbLb1EEEEDaS1K_S1L_EUlS1K_E_NS1_11comp_targetILNS1_3genE2ELNS1_11target_archE906ELNS1_3gpuE6ELNS1_3repE0EEENS1_30default_config_static_selectorELNS0_4arch9wavefront6targetE0EEEvSY_,"axG",@progbits,_ZN7rocprim17ROCPRIM_400000_NS6detail17trampoline_kernelINS0_13select_configILj256ELj13ELNS0_17block_load_methodE3ELS4_3ELS4_3ELNS0_20block_scan_algorithmE0ELj4294967295EEENS1_25partition_config_selectorILNS1_17partition_subalgoE3EjNS0_10empty_typeEbEEZZNS1_14partition_implILS8_3ELb0ES6_jNS0_17counting_iteratorIjlEEPS9_SE_NS0_5tupleIJPjSE_EEENSF_IJSE_SE_EEES9_SG_JZNS1_25segmented_radix_sort_implINS0_14default_configELb1EPKdPdPKlPlN2at6native12_GLOBAL__N_18offset_tEEE10hipError_tPvRmT1_PNSt15iterator_traitsISY_E10value_typeET2_T3_PNSZ_IS14_E10value_typeET4_jRbjT5_S1A_jjP12ihipStream_tbEUljE_EEESV_SW_SX_S14_S18_S1A_T6_T7_T9_mT8_S1C_bDpT10_ENKUlT_T0_E_clISt17integral_constantIbLb0EES1O_IbLb1EEEEDaS1K_S1L_EUlS1K_E_NS1_11comp_targetILNS1_3genE2ELNS1_11target_archE906ELNS1_3gpuE6ELNS1_3repE0EEENS1_30default_config_static_selectorELNS0_4arch9wavefront6targetE0EEEvSY_,comdat
.Lfunc_end1108:
	.size	_ZN7rocprim17ROCPRIM_400000_NS6detail17trampoline_kernelINS0_13select_configILj256ELj13ELNS0_17block_load_methodE3ELS4_3ELS4_3ELNS0_20block_scan_algorithmE0ELj4294967295EEENS1_25partition_config_selectorILNS1_17partition_subalgoE3EjNS0_10empty_typeEbEEZZNS1_14partition_implILS8_3ELb0ES6_jNS0_17counting_iteratorIjlEEPS9_SE_NS0_5tupleIJPjSE_EEENSF_IJSE_SE_EEES9_SG_JZNS1_25segmented_radix_sort_implINS0_14default_configELb1EPKdPdPKlPlN2at6native12_GLOBAL__N_18offset_tEEE10hipError_tPvRmT1_PNSt15iterator_traitsISY_E10value_typeET2_T3_PNSZ_IS14_E10value_typeET4_jRbjT5_S1A_jjP12ihipStream_tbEUljE_EEESV_SW_SX_S14_S18_S1A_T6_T7_T9_mT8_S1C_bDpT10_ENKUlT_T0_E_clISt17integral_constantIbLb0EES1O_IbLb1EEEEDaS1K_S1L_EUlS1K_E_NS1_11comp_targetILNS1_3genE2ELNS1_11target_archE906ELNS1_3gpuE6ELNS1_3repE0EEENS1_30default_config_static_selectorELNS0_4arch9wavefront6targetE0EEEvSY_, .Lfunc_end1108-_ZN7rocprim17ROCPRIM_400000_NS6detail17trampoline_kernelINS0_13select_configILj256ELj13ELNS0_17block_load_methodE3ELS4_3ELS4_3ELNS0_20block_scan_algorithmE0ELj4294967295EEENS1_25partition_config_selectorILNS1_17partition_subalgoE3EjNS0_10empty_typeEbEEZZNS1_14partition_implILS8_3ELb0ES6_jNS0_17counting_iteratorIjlEEPS9_SE_NS0_5tupleIJPjSE_EEENSF_IJSE_SE_EEES9_SG_JZNS1_25segmented_radix_sort_implINS0_14default_configELb1EPKdPdPKlPlN2at6native12_GLOBAL__N_18offset_tEEE10hipError_tPvRmT1_PNSt15iterator_traitsISY_E10value_typeET2_T3_PNSZ_IS14_E10value_typeET4_jRbjT5_S1A_jjP12ihipStream_tbEUljE_EEESV_SW_SX_S14_S18_S1A_T6_T7_T9_mT8_S1C_bDpT10_ENKUlT_T0_E_clISt17integral_constantIbLb0EES1O_IbLb1EEEEDaS1K_S1L_EUlS1K_E_NS1_11comp_targetILNS1_3genE2ELNS1_11target_archE906ELNS1_3gpuE6ELNS1_3repE0EEENS1_30default_config_static_selectorELNS0_4arch9wavefront6targetE0EEEvSY_
                                        ; -- End function
	.set _ZN7rocprim17ROCPRIM_400000_NS6detail17trampoline_kernelINS0_13select_configILj256ELj13ELNS0_17block_load_methodE3ELS4_3ELS4_3ELNS0_20block_scan_algorithmE0ELj4294967295EEENS1_25partition_config_selectorILNS1_17partition_subalgoE3EjNS0_10empty_typeEbEEZZNS1_14partition_implILS8_3ELb0ES6_jNS0_17counting_iteratorIjlEEPS9_SE_NS0_5tupleIJPjSE_EEENSF_IJSE_SE_EEES9_SG_JZNS1_25segmented_radix_sort_implINS0_14default_configELb1EPKdPdPKlPlN2at6native12_GLOBAL__N_18offset_tEEE10hipError_tPvRmT1_PNSt15iterator_traitsISY_E10value_typeET2_T3_PNSZ_IS14_E10value_typeET4_jRbjT5_S1A_jjP12ihipStream_tbEUljE_EEESV_SW_SX_S14_S18_S1A_T6_T7_T9_mT8_S1C_bDpT10_ENKUlT_T0_E_clISt17integral_constantIbLb0EES1O_IbLb1EEEEDaS1K_S1L_EUlS1K_E_NS1_11comp_targetILNS1_3genE2ELNS1_11target_archE906ELNS1_3gpuE6ELNS1_3repE0EEENS1_30default_config_static_selectorELNS0_4arch9wavefront6targetE0EEEvSY_.num_vgpr, 0
	.set _ZN7rocprim17ROCPRIM_400000_NS6detail17trampoline_kernelINS0_13select_configILj256ELj13ELNS0_17block_load_methodE3ELS4_3ELS4_3ELNS0_20block_scan_algorithmE0ELj4294967295EEENS1_25partition_config_selectorILNS1_17partition_subalgoE3EjNS0_10empty_typeEbEEZZNS1_14partition_implILS8_3ELb0ES6_jNS0_17counting_iteratorIjlEEPS9_SE_NS0_5tupleIJPjSE_EEENSF_IJSE_SE_EEES9_SG_JZNS1_25segmented_radix_sort_implINS0_14default_configELb1EPKdPdPKlPlN2at6native12_GLOBAL__N_18offset_tEEE10hipError_tPvRmT1_PNSt15iterator_traitsISY_E10value_typeET2_T3_PNSZ_IS14_E10value_typeET4_jRbjT5_S1A_jjP12ihipStream_tbEUljE_EEESV_SW_SX_S14_S18_S1A_T6_T7_T9_mT8_S1C_bDpT10_ENKUlT_T0_E_clISt17integral_constantIbLb0EES1O_IbLb1EEEEDaS1K_S1L_EUlS1K_E_NS1_11comp_targetILNS1_3genE2ELNS1_11target_archE906ELNS1_3gpuE6ELNS1_3repE0EEENS1_30default_config_static_selectorELNS0_4arch9wavefront6targetE0EEEvSY_.num_agpr, 0
	.set _ZN7rocprim17ROCPRIM_400000_NS6detail17trampoline_kernelINS0_13select_configILj256ELj13ELNS0_17block_load_methodE3ELS4_3ELS4_3ELNS0_20block_scan_algorithmE0ELj4294967295EEENS1_25partition_config_selectorILNS1_17partition_subalgoE3EjNS0_10empty_typeEbEEZZNS1_14partition_implILS8_3ELb0ES6_jNS0_17counting_iteratorIjlEEPS9_SE_NS0_5tupleIJPjSE_EEENSF_IJSE_SE_EEES9_SG_JZNS1_25segmented_radix_sort_implINS0_14default_configELb1EPKdPdPKlPlN2at6native12_GLOBAL__N_18offset_tEEE10hipError_tPvRmT1_PNSt15iterator_traitsISY_E10value_typeET2_T3_PNSZ_IS14_E10value_typeET4_jRbjT5_S1A_jjP12ihipStream_tbEUljE_EEESV_SW_SX_S14_S18_S1A_T6_T7_T9_mT8_S1C_bDpT10_ENKUlT_T0_E_clISt17integral_constantIbLb0EES1O_IbLb1EEEEDaS1K_S1L_EUlS1K_E_NS1_11comp_targetILNS1_3genE2ELNS1_11target_archE906ELNS1_3gpuE6ELNS1_3repE0EEENS1_30default_config_static_selectorELNS0_4arch9wavefront6targetE0EEEvSY_.numbered_sgpr, 0
	.set _ZN7rocprim17ROCPRIM_400000_NS6detail17trampoline_kernelINS0_13select_configILj256ELj13ELNS0_17block_load_methodE3ELS4_3ELS4_3ELNS0_20block_scan_algorithmE0ELj4294967295EEENS1_25partition_config_selectorILNS1_17partition_subalgoE3EjNS0_10empty_typeEbEEZZNS1_14partition_implILS8_3ELb0ES6_jNS0_17counting_iteratorIjlEEPS9_SE_NS0_5tupleIJPjSE_EEENSF_IJSE_SE_EEES9_SG_JZNS1_25segmented_radix_sort_implINS0_14default_configELb1EPKdPdPKlPlN2at6native12_GLOBAL__N_18offset_tEEE10hipError_tPvRmT1_PNSt15iterator_traitsISY_E10value_typeET2_T3_PNSZ_IS14_E10value_typeET4_jRbjT5_S1A_jjP12ihipStream_tbEUljE_EEESV_SW_SX_S14_S18_S1A_T6_T7_T9_mT8_S1C_bDpT10_ENKUlT_T0_E_clISt17integral_constantIbLb0EES1O_IbLb1EEEEDaS1K_S1L_EUlS1K_E_NS1_11comp_targetILNS1_3genE2ELNS1_11target_archE906ELNS1_3gpuE6ELNS1_3repE0EEENS1_30default_config_static_selectorELNS0_4arch9wavefront6targetE0EEEvSY_.num_named_barrier, 0
	.set _ZN7rocprim17ROCPRIM_400000_NS6detail17trampoline_kernelINS0_13select_configILj256ELj13ELNS0_17block_load_methodE3ELS4_3ELS4_3ELNS0_20block_scan_algorithmE0ELj4294967295EEENS1_25partition_config_selectorILNS1_17partition_subalgoE3EjNS0_10empty_typeEbEEZZNS1_14partition_implILS8_3ELb0ES6_jNS0_17counting_iteratorIjlEEPS9_SE_NS0_5tupleIJPjSE_EEENSF_IJSE_SE_EEES9_SG_JZNS1_25segmented_radix_sort_implINS0_14default_configELb1EPKdPdPKlPlN2at6native12_GLOBAL__N_18offset_tEEE10hipError_tPvRmT1_PNSt15iterator_traitsISY_E10value_typeET2_T3_PNSZ_IS14_E10value_typeET4_jRbjT5_S1A_jjP12ihipStream_tbEUljE_EEESV_SW_SX_S14_S18_S1A_T6_T7_T9_mT8_S1C_bDpT10_ENKUlT_T0_E_clISt17integral_constantIbLb0EES1O_IbLb1EEEEDaS1K_S1L_EUlS1K_E_NS1_11comp_targetILNS1_3genE2ELNS1_11target_archE906ELNS1_3gpuE6ELNS1_3repE0EEENS1_30default_config_static_selectorELNS0_4arch9wavefront6targetE0EEEvSY_.private_seg_size, 0
	.set _ZN7rocprim17ROCPRIM_400000_NS6detail17trampoline_kernelINS0_13select_configILj256ELj13ELNS0_17block_load_methodE3ELS4_3ELS4_3ELNS0_20block_scan_algorithmE0ELj4294967295EEENS1_25partition_config_selectorILNS1_17partition_subalgoE3EjNS0_10empty_typeEbEEZZNS1_14partition_implILS8_3ELb0ES6_jNS0_17counting_iteratorIjlEEPS9_SE_NS0_5tupleIJPjSE_EEENSF_IJSE_SE_EEES9_SG_JZNS1_25segmented_radix_sort_implINS0_14default_configELb1EPKdPdPKlPlN2at6native12_GLOBAL__N_18offset_tEEE10hipError_tPvRmT1_PNSt15iterator_traitsISY_E10value_typeET2_T3_PNSZ_IS14_E10value_typeET4_jRbjT5_S1A_jjP12ihipStream_tbEUljE_EEESV_SW_SX_S14_S18_S1A_T6_T7_T9_mT8_S1C_bDpT10_ENKUlT_T0_E_clISt17integral_constantIbLb0EES1O_IbLb1EEEEDaS1K_S1L_EUlS1K_E_NS1_11comp_targetILNS1_3genE2ELNS1_11target_archE906ELNS1_3gpuE6ELNS1_3repE0EEENS1_30default_config_static_selectorELNS0_4arch9wavefront6targetE0EEEvSY_.uses_vcc, 0
	.set _ZN7rocprim17ROCPRIM_400000_NS6detail17trampoline_kernelINS0_13select_configILj256ELj13ELNS0_17block_load_methodE3ELS4_3ELS4_3ELNS0_20block_scan_algorithmE0ELj4294967295EEENS1_25partition_config_selectorILNS1_17partition_subalgoE3EjNS0_10empty_typeEbEEZZNS1_14partition_implILS8_3ELb0ES6_jNS0_17counting_iteratorIjlEEPS9_SE_NS0_5tupleIJPjSE_EEENSF_IJSE_SE_EEES9_SG_JZNS1_25segmented_radix_sort_implINS0_14default_configELb1EPKdPdPKlPlN2at6native12_GLOBAL__N_18offset_tEEE10hipError_tPvRmT1_PNSt15iterator_traitsISY_E10value_typeET2_T3_PNSZ_IS14_E10value_typeET4_jRbjT5_S1A_jjP12ihipStream_tbEUljE_EEESV_SW_SX_S14_S18_S1A_T6_T7_T9_mT8_S1C_bDpT10_ENKUlT_T0_E_clISt17integral_constantIbLb0EES1O_IbLb1EEEEDaS1K_S1L_EUlS1K_E_NS1_11comp_targetILNS1_3genE2ELNS1_11target_archE906ELNS1_3gpuE6ELNS1_3repE0EEENS1_30default_config_static_selectorELNS0_4arch9wavefront6targetE0EEEvSY_.uses_flat_scratch, 0
	.set _ZN7rocprim17ROCPRIM_400000_NS6detail17trampoline_kernelINS0_13select_configILj256ELj13ELNS0_17block_load_methodE3ELS4_3ELS4_3ELNS0_20block_scan_algorithmE0ELj4294967295EEENS1_25partition_config_selectorILNS1_17partition_subalgoE3EjNS0_10empty_typeEbEEZZNS1_14partition_implILS8_3ELb0ES6_jNS0_17counting_iteratorIjlEEPS9_SE_NS0_5tupleIJPjSE_EEENSF_IJSE_SE_EEES9_SG_JZNS1_25segmented_radix_sort_implINS0_14default_configELb1EPKdPdPKlPlN2at6native12_GLOBAL__N_18offset_tEEE10hipError_tPvRmT1_PNSt15iterator_traitsISY_E10value_typeET2_T3_PNSZ_IS14_E10value_typeET4_jRbjT5_S1A_jjP12ihipStream_tbEUljE_EEESV_SW_SX_S14_S18_S1A_T6_T7_T9_mT8_S1C_bDpT10_ENKUlT_T0_E_clISt17integral_constantIbLb0EES1O_IbLb1EEEEDaS1K_S1L_EUlS1K_E_NS1_11comp_targetILNS1_3genE2ELNS1_11target_archE906ELNS1_3gpuE6ELNS1_3repE0EEENS1_30default_config_static_selectorELNS0_4arch9wavefront6targetE0EEEvSY_.has_dyn_sized_stack, 0
	.set _ZN7rocprim17ROCPRIM_400000_NS6detail17trampoline_kernelINS0_13select_configILj256ELj13ELNS0_17block_load_methodE3ELS4_3ELS4_3ELNS0_20block_scan_algorithmE0ELj4294967295EEENS1_25partition_config_selectorILNS1_17partition_subalgoE3EjNS0_10empty_typeEbEEZZNS1_14partition_implILS8_3ELb0ES6_jNS0_17counting_iteratorIjlEEPS9_SE_NS0_5tupleIJPjSE_EEENSF_IJSE_SE_EEES9_SG_JZNS1_25segmented_radix_sort_implINS0_14default_configELb1EPKdPdPKlPlN2at6native12_GLOBAL__N_18offset_tEEE10hipError_tPvRmT1_PNSt15iterator_traitsISY_E10value_typeET2_T3_PNSZ_IS14_E10value_typeET4_jRbjT5_S1A_jjP12ihipStream_tbEUljE_EEESV_SW_SX_S14_S18_S1A_T6_T7_T9_mT8_S1C_bDpT10_ENKUlT_T0_E_clISt17integral_constantIbLb0EES1O_IbLb1EEEEDaS1K_S1L_EUlS1K_E_NS1_11comp_targetILNS1_3genE2ELNS1_11target_archE906ELNS1_3gpuE6ELNS1_3repE0EEENS1_30default_config_static_selectorELNS0_4arch9wavefront6targetE0EEEvSY_.has_recursion, 0
	.set _ZN7rocprim17ROCPRIM_400000_NS6detail17trampoline_kernelINS0_13select_configILj256ELj13ELNS0_17block_load_methodE3ELS4_3ELS4_3ELNS0_20block_scan_algorithmE0ELj4294967295EEENS1_25partition_config_selectorILNS1_17partition_subalgoE3EjNS0_10empty_typeEbEEZZNS1_14partition_implILS8_3ELb0ES6_jNS0_17counting_iteratorIjlEEPS9_SE_NS0_5tupleIJPjSE_EEENSF_IJSE_SE_EEES9_SG_JZNS1_25segmented_radix_sort_implINS0_14default_configELb1EPKdPdPKlPlN2at6native12_GLOBAL__N_18offset_tEEE10hipError_tPvRmT1_PNSt15iterator_traitsISY_E10value_typeET2_T3_PNSZ_IS14_E10value_typeET4_jRbjT5_S1A_jjP12ihipStream_tbEUljE_EEESV_SW_SX_S14_S18_S1A_T6_T7_T9_mT8_S1C_bDpT10_ENKUlT_T0_E_clISt17integral_constantIbLb0EES1O_IbLb1EEEEDaS1K_S1L_EUlS1K_E_NS1_11comp_targetILNS1_3genE2ELNS1_11target_archE906ELNS1_3gpuE6ELNS1_3repE0EEENS1_30default_config_static_selectorELNS0_4arch9wavefront6targetE0EEEvSY_.has_indirect_call, 0
	.section	.AMDGPU.csdata,"",@progbits
; Kernel info:
; codeLenInByte = 0
; TotalNumSgprs: 0
; NumVgprs: 0
; ScratchSize: 0
; MemoryBound: 0
; FloatMode: 240
; IeeeMode: 1
; LDSByteSize: 0 bytes/workgroup (compile time only)
; SGPRBlocks: 0
; VGPRBlocks: 0
; NumSGPRsForWavesPerEU: 1
; NumVGPRsForWavesPerEU: 1
; NamedBarCnt: 0
; Occupancy: 16
; WaveLimiterHint : 0
; COMPUTE_PGM_RSRC2:SCRATCH_EN: 0
; COMPUTE_PGM_RSRC2:USER_SGPR: 2
; COMPUTE_PGM_RSRC2:TRAP_HANDLER: 0
; COMPUTE_PGM_RSRC2:TGID_X_EN: 1
; COMPUTE_PGM_RSRC2:TGID_Y_EN: 0
; COMPUTE_PGM_RSRC2:TGID_Z_EN: 0
; COMPUTE_PGM_RSRC2:TIDIG_COMP_CNT: 0
	.section	.text._ZN7rocprim17ROCPRIM_400000_NS6detail17trampoline_kernelINS0_13select_configILj256ELj13ELNS0_17block_load_methodE3ELS4_3ELS4_3ELNS0_20block_scan_algorithmE0ELj4294967295EEENS1_25partition_config_selectorILNS1_17partition_subalgoE3EjNS0_10empty_typeEbEEZZNS1_14partition_implILS8_3ELb0ES6_jNS0_17counting_iteratorIjlEEPS9_SE_NS0_5tupleIJPjSE_EEENSF_IJSE_SE_EEES9_SG_JZNS1_25segmented_radix_sort_implINS0_14default_configELb1EPKdPdPKlPlN2at6native12_GLOBAL__N_18offset_tEEE10hipError_tPvRmT1_PNSt15iterator_traitsISY_E10value_typeET2_T3_PNSZ_IS14_E10value_typeET4_jRbjT5_S1A_jjP12ihipStream_tbEUljE_EEESV_SW_SX_S14_S18_S1A_T6_T7_T9_mT8_S1C_bDpT10_ENKUlT_T0_E_clISt17integral_constantIbLb0EES1O_IbLb1EEEEDaS1K_S1L_EUlS1K_E_NS1_11comp_targetILNS1_3genE10ELNS1_11target_archE1200ELNS1_3gpuE4ELNS1_3repE0EEENS1_30default_config_static_selectorELNS0_4arch9wavefront6targetE0EEEvSY_,"axG",@progbits,_ZN7rocprim17ROCPRIM_400000_NS6detail17trampoline_kernelINS0_13select_configILj256ELj13ELNS0_17block_load_methodE3ELS4_3ELS4_3ELNS0_20block_scan_algorithmE0ELj4294967295EEENS1_25partition_config_selectorILNS1_17partition_subalgoE3EjNS0_10empty_typeEbEEZZNS1_14partition_implILS8_3ELb0ES6_jNS0_17counting_iteratorIjlEEPS9_SE_NS0_5tupleIJPjSE_EEENSF_IJSE_SE_EEES9_SG_JZNS1_25segmented_radix_sort_implINS0_14default_configELb1EPKdPdPKlPlN2at6native12_GLOBAL__N_18offset_tEEE10hipError_tPvRmT1_PNSt15iterator_traitsISY_E10value_typeET2_T3_PNSZ_IS14_E10value_typeET4_jRbjT5_S1A_jjP12ihipStream_tbEUljE_EEESV_SW_SX_S14_S18_S1A_T6_T7_T9_mT8_S1C_bDpT10_ENKUlT_T0_E_clISt17integral_constantIbLb0EES1O_IbLb1EEEEDaS1K_S1L_EUlS1K_E_NS1_11comp_targetILNS1_3genE10ELNS1_11target_archE1200ELNS1_3gpuE4ELNS1_3repE0EEENS1_30default_config_static_selectorELNS0_4arch9wavefront6targetE0EEEvSY_,comdat
	.globl	_ZN7rocprim17ROCPRIM_400000_NS6detail17trampoline_kernelINS0_13select_configILj256ELj13ELNS0_17block_load_methodE3ELS4_3ELS4_3ELNS0_20block_scan_algorithmE0ELj4294967295EEENS1_25partition_config_selectorILNS1_17partition_subalgoE3EjNS0_10empty_typeEbEEZZNS1_14partition_implILS8_3ELb0ES6_jNS0_17counting_iteratorIjlEEPS9_SE_NS0_5tupleIJPjSE_EEENSF_IJSE_SE_EEES9_SG_JZNS1_25segmented_radix_sort_implINS0_14default_configELb1EPKdPdPKlPlN2at6native12_GLOBAL__N_18offset_tEEE10hipError_tPvRmT1_PNSt15iterator_traitsISY_E10value_typeET2_T3_PNSZ_IS14_E10value_typeET4_jRbjT5_S1A_jjP12ihipStream_tbEUljE_EEESV_SW_SX_S14_S18_S1A_T6_T7_T9_mT8_S1C_bDpT10_ENKUlT_T0_E_clISt17integral_constantIbLb0EES1O_IbLb1EEEEDaS1K_S1L_EUlS1K_E_NS1_11comp_targetILNS1_3genE10ELNS1_11target_archE1200ELNS1_3gpuE4ELNS1_3repE0EEENS1_30default_config_static_selectorELNS0_4arch9wavefront6targetE0EEEvSY_ ; -- Begin function _ZN7rocprim17ROCPRIM_400000_NS6detail17trampoline_kernelINS0_13select_configILj256ELj13ELNS0_17block_load_methodE3ELS4_3ELS4_3ELNS0_20block_scan_algorithmE0ELj4294967295EEENS1_25partition_config_selectorILNS1_17partition_subalgoE3EjNS0_10empty_typeEbEEZZNS1_14partition_implILS8_3ELb0ES6_jNS0_17counting_iteratorIjlEEPS9_SE_NS0_5tupleIJPjSE_EEENSF_IJSE_SE_EEES9_SG_JZNS1_25segmented_radix_sort_implINS0_14default_configELb1EPKdPdPKlPlN2at6native12_GLOBAL__N_18offset_tEEE10hipError_tPvRmT1_PNSt15iterator_traitsISY_E10value_typeET2_T3_PNSZ_IS14_E10value_typeET4_jRbjT5_S1A_jjP12ihipStream_tbEUljE_EEESV_SW_SX_S14_S18_S1A_T6_T7_T9_mT8_S1C_bDpT10_ENKUlT_T0_E_clISt17integral_constantIbLb0EES1O_IbLb1EEEEDaS1K_S1L_EUlS1K_E_NS1_11comp_targetILNS1_3genE10ELNS1_11target_archE1200ELNS1_3gpuE4ELNS1_3repE0EEENS1_30default_config_static_selectorELNS0_4arch9wavefront6targetE0EEEvSY_
	.p2align	8
	.type	_ZN7rocprim17ROCPRIM_400000_NS6detail17trampoline_kernelINS0_13select_configILj256ELj13ELNS0_17block_load_methodE3ELS4_3ELS4_3ELNS0_20block_scan_algorithmE0ELj4294967295EEENS1_25partition_config_selectorILNS1_17partition_subalgoE3EjNS0_10empty_typeEbEEZZNS1_14partition_implILS8_3ELb0ES6_jNS0_17counting_iteratorIjlEEPS9_SE_NS0_5tupleIJPjSE_EEENSF_IJSE_SE_EEES9_SG_JZNS1_25segmented_radix_sort_implINS0_14default_configELb1EPKdPdPKlPlN2at6native12_GLOBAL__N_18offset_tEEE10hipError_tPvRmT1_PNSt15iterator_traitsISY_E10value_typeET2_T3_PNSZ_IS14_E10value_typeET4_jRbjT5_S1A_jjP12ihipStream_tbEUljE_EEESV_SW_SX_S14_S18_S1A_T6_T7_T9_mT8_S1C_bDpT10_ENKUlT_T0_E_clISt17integral_constantIbLb0EES1O_IbLb1EEEEDaS1K_S1L_EUlS1K_E_NS1_11comp_targetILNS1_3genE10ELNS1_11target_archE1200ELNS1_3gpuE4ELNS1_3repE0EEENS1_30default_config_static_selectorELNS0_4arch9wavefront6targetE0EEEvSY_,@function
_ZN7rocprim17ROCPRIM_400000_NS6detail17trampoline_kernelINS0_13select_configILj256ELj13ELNS0_17block_load_methodE3ELS4_3ELS4_3ELNS0_20block_scan_algorithmE0ELj4294967295EEENS1_25partition_config_selectorILNS1_17partition_subalgoE3EjNS0_10empty_typeEbEEZZNS1_14partition_implILS8_3ELb0ES6_jNS0_17counting_iteratorIjlEEPS9_SE_NS0_5tupleIJPjSE_EEENSF_IJSE_SE_EEES9_SG_JZNS1_25segmented_radix_sort_implINS0_14default_configELb1EPKdPdPKlPlN2at6native12_GLOBAL__N_18offset_tEEE10hipError_tPvRmT1_PNSt15iterator_traitsISY_E10value_typeET2_T3_PNSZ_IS14_E10value_typeET4_jRbjT5_S1A_jjP12ihipStream_tbEUljE_EEESV_SW_SX_S14_S18_S1A_T6_T7_T9_mT8_S1C_bDpT10_ENKUlT_T0_E_clISt17integral_constantIbLb0EES1O_IbLb1EEEEDaS1K_S1L_EUlS1K_E_NS1_11comp_targetILNS1_3genE10ELNS1_11target_archE1200ELNS1_3gpuE4ELNS1_3repE0EEENS1_30default_config_static_selectorELNS0_4arch9wavefront6targetE0EEEvSY_: ; @_ZN7rocprim17ROCPRIM_400000_NS6detail17trampoline_kernelINS0_13select_configILj256ELj13ELNS0_17block_load_methodE3ELS4_3ELS4_3ELNS0_20block_scan_algorithmE0ELj4294967295EEENS1_25partition_config_selectorILNS1_17partition_subalgoE3EjNS0_10empty_typeEbEEZZNS1_14partition_implILS8_3ELb0ES6_jNS0_17counting_iteratorIjlEEPS9_SE_NS0_5tupleIJPjSE_EEENSF_IJSE_SE_EEES9_SG_JZNS1_25segmented_radix_sort_implINS0_14default_configELb1EPKdPdPKlPlN2at6native12_GLOBAL__N_18offset_tEEE10hipError_tPvRmT1_PNSt15iterator_traitsISY_E10value_typeET2_T3_PNSZ_IS14_E10value_typeET4_jRbjT5_S1A_jjP12ihipStream_tbEUljE_EEESV_SW_SX_S14_S18_S1A_T6_T7_T9_mT8_S1C_bDpT10_ENKUlT_T0_E_clISt17integral_constantIbLb0EES1O_IbLb1EEEEDaS1K_S1L_EUlS1K_E_NS1_11comp_targetILNS1_3genE10ELNS1_11target_archE1200ELNS1_3gpuE4ELNS1_3repE0EEENS1_30default_config_static_selectorELNS0_4arch9wavefront6targetE0EEEvSY_
; %bb.0:
	.section	.rodata,"a",@progbits
	.p2align	6, 0x0
	.amdhsa_kernel _ZN7rocprim17ROCPRIM_400000_NS6detail17trampoline_kernelINS0_13select_configILj256ELj13ELNS0_17block_load_methodE3ELS4_3ELS4_3ELNS0_20block_scan_algorithmE0ELj4294967295EEENS1_25partition_config_selectorILNS1_17partition_subalgoE3EjNS0_10empty_typeEbEEZZNS1_14partition_implILS8_3ELb0ES6_jNS0_17counting_iteratorIjlEEPS9_SE_NS0_5tupleIJPjSE_EEENSF_IJSE_SE_EEES9_SG_JZNS1_25segmented_radix_sort_implINS0_14default_configELb1EPKdPdPKlPlN2at6native12_GLOBAL__N_18offset_tEEE10hipError_tPvRmT1_PNSt15iterator_traitsISY_E10value_typeET2_T3_PNSZ_IS14_E10value_typeET4_jRbjT5_S1A_jjP12ihipStream_tbEUljE_EEESV_SW_SX_S14_S18_S1A_T6_T7_T9_mT8_S1C_bDpT10_ENKUlT_T0_E_clISt17integral_constantIbLb0EES1O_IbLb1EEEEDaS1K_S1L_EUlS1K_E_NS1_11comp_targetILNS1_3genE10ELNS1_11target_archE1200ELNS1_3gpuE4ELNS1_3repE0EEENS1_30default_config_static_selectorELNS0_4arch9wavefront6targetE0EEEvSY_
		.amdhsa_group_segment_fixed_size 0
		.amdhsa_private_segment_fixed_size 0
		.amdhsa_kernarg_size 152
		.amdhsa_user_sgpr_count 2
		.amdhsa_user_sgpr_dispatch_ptr 0
		.amdhsa_user_sgpr_queue_ptr 0
		.amdhsa_user_sgpr_kernarg_segment_ptr 1
		.amdhsa_user_sgpr_dispatch_id 0
		.amdhsa_user_sgpr_kernarg_preload_length 0
		.amdhsa_user_sgpr_kernarg_preload_offset 0
		.amdhsa_user_sgpr_private_segment_size 0
		.amdhsa_wavefront_size32 1
		.amdhsa_uses_dynamic_stack 0
		.amdhsa_enable_private_segment 0
		.amdhsa_system_sgpr_workgroup_id_x 1
		.amdhsa_system_sgpr_workgroup_id_y 0
		.amdhsa_system_sgpr_workgroup_id_z 0
		.amdhsa_system_sgpr_workgroup_info 0
		.amdhsa_system_vgpr_workitem_id 0
		.amdhsa_next_free_vgpr 1
		.amdhsa_next_free_sgpr 1
		.amdhsa_named_barrier_count 0
		.amdhsa_reserve_vcc 0
		.amdhsa_float_round_mode_32 0
		.amdhsa_float_round_mode_16_64 0
		.amdhsa_float_denorm_mode_32 3
		.amdhsa_float_denorm_mode_16_64 3
		.amdhsa_fp16_overflow 0
		.amdhsa_memory_ordered 1
		.amdhsa_forward_progress 1
		.amdhsa_inst_pref_size 0
		.amdhsa_round_robin_scheduling 0
		.amdhsa_exception_fp_ieee_invalid_op 0
		.amdhsa_exception_fp_denorm_src 0
		.amdhsa_exception_fp_ieee_div_zero 0
		.amdhsa_exception_fp_ieee_overflow 0
		.amdhsa_exception_fp_ieee_underflow 0
		.amdhsa_exception_fp_ieee_inexact 0
		.amdhsa_exception_int_div_zero 0
	.end_amdhsa_kernel
	.section	.text._ZN7rocprim17ROCPRIM_400000_NS6detail17trampoline_kernelINS0_13select_configILj256ELj13ELNS0_17block_load_methodE3ELS4_3ELS4_3ELNS0_20block_scan_algorithmE0ELj4294967295EEENS1_25partition_config_selectorILNS1_17partition_subalgoE3EjNS0_10empty_typeEbEEZZNS1_14partition_implILS8_3ELb0ES6_jNS0_17counting_iteratorIjlEEPS9_SE_NS0_5tupleIJPjSE_EEENSF_IJSE_SE_EEES9_SG_JZNS1_25segmented_radix_sort_implINS0_14default_configELb1EPKdPdPKlPlN2at6native12_GLOBAL__N_18offset_tEEE10hipError_tPvRmT1_PNSt15iterator_traitsISY_E10value_typeET2_T3_PNSZ_IS14_E10value_typeET4_jRbjT5_S1A_jjP12ihipStream_tbEUljE_EEESV_SW_SX_S14_S18_S1A_T6_T7_T9_mT8_S1C_bDpT10_ENKUlT_T0_E_clISt17integral_constantIbLb0EES1O_IbLb1EEEEDaS1K_S1L_EUlS1K_E_NS1_11comp_targetILNS1_3genE10ELNS1_11target_archE1200ELNS1_3gpuE4ELNS1_3repE0EEENS1_30default_config_static_selectorELNS0_4arch9wavefront6targetE0EEEvSY_,"axG",@progbits,_ZN7rocprim17ROCPRIM_400000_NS6detail17trampoline_kernelINS0_13select_configILj256ELj13ELNS0_17block_load_methodE3ELS4_3ELS4_3ELNS0_20block_scan_algorithmE0ELj4294967295EEENS1_25partition_config_selectorILNS1_17partition_subalgoE3EjNS0_10empty_typeEbEEZZNS1_14partition_implILS8_3ELb0ES6_jNS0_17counting_iteratorIjlEEPS9_SE_NS0_5tupleIJPjSE_EEENSF_IJSE_SE_EEES9_SG_JZNS1_25segmented_radix_sort_implINS0_14default_configELb1EPKdPdPKlPlN2at6native12_GLOBAL__N_18offset_tEEE10hipError_tPvRmT1_PNSt15iterator_traitsISY_E10value_typeET2_T3_PNSZ_IS14_E10value_typeET4_jRbjT5_S1A_jjP12ihipStream_tbEUljE_EEESV_SW_SX_S14_S18_S1A_T6_T7_T9_mT8_S1C_bDpT10_ENKUlT_T0_E_clISt17integral_constantIbLb0EES1O_IbLb1EEEEDaS1K_S1L_EUlS1K_E_NS1_11comp_targetILNS1_3genE10ELNS1_11target_archE1200ELNS1_3gpuE4ELNS1_3repE0EEENS1_30default_config_static_selectorELNS0_4arch9wavefront6targetE0EEEvSY_,comdat
.Lfunc_end1109:
	.size	_ZN7rocprim17ROCPRIM_400000_NS6detail17trampoline_kernelINS0_13select_configILj256ELj13ELNS0_17block_load_methodE3ELS4_3ELS4_3ELNS0_20block_scan_algorithmE0ELj4294967295EEENS1_25partition_config_selectorILNS1_17partition_subalgoE3EjNS0_10empty_typeEbEEZZNS1_14partition_implILS8_3ELb0ES6_jNS0_17counting_iteratorIjlEEPS9_SE_NS0_5tupleIJPjSE_EEENSF_IJSE_SE_EEES9_SG_JZNS1_25segmented_radix_sort_implINS0_14default_configELb1EPKdPdPKlPlN2at6native12_GLOBAL__N_18offset_tEEE10hipError_tPvRmT1_PNSt15iterator_traitsISY_E10value_typeET2_T3_PNSZ_IS14_E10value_typeET4_jRbjT5_S1A_jjP12ihipStream_tbEUljE_EEESV_SW_SX_S14_S18_S1A_T6_T7_T9_mT8_S1C_bDpT10_ENKUlT_T0_E_clISt17integral_constantIbLb0EES1O_IbLb1EEEEDaS1K_S1L_EUlS1K_E_NS1_11comp_targetILNS1_3genE10ELNS1_11target_archE1200ELNS1_3gpuE4ELNS1_3repE0EEENS1_30default_config_static_selectorELNS0_4arch9wavefront6targetE0EEEvSY_, .Lfunc_end1109-_ZN7rocprim17ROCPRIM_400000_NS6detail17trampoline_kernelINS0_13select_configILj256ELj13ELNS0_17block_load_methodE3ELS4_3ELS4_3ELNS0_20block_scan_algorithmE0ELj4294967295EEENS1_25partition_config_selectorILNS1_17partition_subalgoE3EjNS0_10empty_typeEbEEZZNS1_14partition_implILS8_3ELb0ES6_jNS0_17counting_iteratorIjlEEPS9_SE_NS0_5tupleIJPjSE_EEENSF_IJSE_SE_EEES9_SG_JZNS1_25segmented_radix_sort_implINS0_14default_configELb1EPKdPdPKlPlN2at6native12_GLOBAL__N_18offset_tEEE10hipError_tPvRmT1_PNSt15iterator_traitsISY_E10value_typeET2_T3_PNSZ_IS14_E10value_typeET4_jRbjT5_S1A_jjP12ihipStream_tbEUljE_EEESV_SW_SX_S14_S18_S1A_T6_T7_T9_mT8_S1C_bDpT10_ENKUlT_T0_E_clISt17integral_constantIbLb0EES1O_IbLb1EEEEDaS1K_S1L_EUlS1K_E_NS1_11comp_targetILNS1_3genE10ELNS1_11target_archE1200ELNS1_3gpuE4ELNS1_3repE0EEENS1_30default_config_static_selectorELNS0_4arch9wavefront6targetE0EEEvSY_
                                        ; -- End function
	.set _ZN7rocprim17ROCPRIM_400000_NS6detail17trampoline_kernelINS0_13select_configILj256ELj13ELNS0_17block_load_methodE3ELS4_3ELS4_3ELNS0_20block_scan_algorithmE0ELj4294967295EEENS1_25partition_config_selectorILNS1_17partition_subalgoE3EjNS0_10empty_typeEbEEZZNS1_14partition_implILS8_3ELb0ES6_jNS0_17counting_iteratorIjlEEPS9_SE_NS0_5tupleIJPjSE_EEENSF_IJSE_SE_EEES9_SG_JZNS1_25segmented_radix_sort_implINS0_14default_configELb1EPKdPdPKlPlN2at6native12_GLOBAL__N_18offset_tEEE10hipError_tPvRmT1_PNSt15iterator_traitsISY_E10value_typeET2_T3_PNSZ_IS14_E10value_typeET4_jRbjT5_S1A_jjP12ihipStream_tbEUljE_EEESV_SW_SX_S14_S18_S1A_T6_T7_T9_mT8_S1C_bDpT10_ENKUlT_T0_E_clISt17integral_constantIbLb0EES1O_IbLb1EEEEDaS1K_S1L_EUlS1K_E_NS1_11comp_targetILNS1_3genE10ELNS1_11target_archE1200ELNS1_3gpuE4ELNS1_3repE0EEENS1_30default_config_static_selectorELNS0_4arch9wavefront6targetE0EEEvSY_.num_vgpr, 0
	.set _ZN7rocprim17ROCPRIM_400000_NS6detail17trampoline_kernelINS0_13select_configILj256ELj13ELNS0_17block_load_methodE3ELS4_3ELS4_3ELNS0_20block_scan_algorithmE0ELj4294967295EEENS1_25partition_config_selectorILNS1_17partition_subalgoE3EjNS0_10empty_typeEbEEZZNS1_14partition_implILS8_3ELb0ES6_jNS0_17counting_iteratorIjlEEPS9_SE_NS0_5tupleIJPjSE_EEENSF_IJSE_SE_EEES9_SG_JZNS1_25segmented_radix_sort_implINS0_14default_configELb1EPKdPdPKlPlN2at6native12_GLOBAL__N_18offset_tEEE10hipError_tPvRmT1_PNSt15iterator_traitsISY_E10value_typeET2_T3_PNSZ_IS14_E10value_typeET4_jRbjT5_S1A_jjP12ihipStream_tbEUljE_EEESV_SW_SX_S14_S18_S1A_T6_T7_T9_mT8_S1C_bDpT10_ENKUlT_T0_E_clISt17integral_constantIbLb0EES1O_IbLb1EEEEDaS1K_S1L_EUlS1K_E_NS1_11comp_targetILNS1_3genE10ELNS1_11target_archE1200ELNS1_3gpuE4ELNS1_3repE0EEENS1_30default_config_static_selectorELNS0_4arch9wavefront6targetE0EEEvSY_.num_agpr, 0
	.set _ZN7rocprim17ROCPRIM_400000_NS6detail17trampoline_kernelINS0_13select_configILj256ELj13ELNS0_17block_load_methodE3ELS4_3ELS4_3ELNS0_20block_scan_algorithmE0ELj4294967295EEENS1_25partition_config_selectorILNS1_17partition_subalgoE3EjNS0_10empty_typeEbEEZZNS1_14partition_implILS8_3ELb0ES6_jNS0_17counting_iteratorIjlEEPS9_SE_NS0_5tupleIJPjSE_EEENSF_IJSE_SE_EEES9_SG_JZNS1_25segmented_radix_sort_implINS0_14default_configELb1EPKdPdPKlPlN2at6native12_GLOBAL__N_18offset_tEEE10hipError_tPvRmT1_PNSt15iterator_traitsISY_E10value_typeET2_T3_PNSZ_IS14_E10value_typeET4_jRbjT5_S1A_jjP12ihipStream_tbEUljE_EEESV_SW_SX_S14_S18_S1A_T6_T7_T9_mT8_S1C_bDpT10_ENKUlT_T0_E_clISt17integral_constantIbLb0EES1O_IbLb1EEEEDaS1K_S1L_EUlS1K_E_NS1_11comp_targetILNS1_3genE10ELNS1_11target_archE1200ELNS1_3gpuE4ELNS1_3repE0EEENS1_30default_config_static_selectorELNS0_4arch9wavefront6targetE0EEEvSY_.numbered_sgpr, 0
	.set _ZN7rocprim17ROCPRIM_400000_NS6detail17trampoline_kernelINS0_13select_configILj256ELj13ELNS0_17block_load_methodE3ELS4_3ELS4_3ELNS0_20block_scan_algorithmE0ELj4294967295EEENS1_25partition_config_selectorILNS1_17partition_subalgoE3EjNS0_10empty_typeEbEEZZNS1_14partition_implILS8_3ELb0ES6_jNS0_17counting_iteratorIjlEEPS9_SE_NS0_5tupleIJPjSE_EEENSF_IJSE_SE_EEES9_SG_JZNS1_25segmented_radix_sort_implINS0_14default_configELb1EPKdPdPKlPlN2at6native12_GLOBAL__N_18offset_tEEE10hipError_tPvRmT1_PNSt15iterator_traitsISY_E10value_typeET2_T3_PNSZ_IS14_E10value_typeET4_jRbjT5_S1A_jjP12ihipStream_tbEUljE_EEESV_SW_SX_S14_S18_S1A_T6_T7_T9_mT8_S1C_bDpT10_ENKUlT_T0_E_clISt17integral_constantIbLb0EES1O_IbLb1EEEEDaS1K_S1L_EUlS1K_E_NS1_11comp_targetILNS1_3genE10ELNS1_11target_archE1200ELNS1_3gpuE4ELNS1_3repE0EEENS1_30default_config_static_selectorELNS0_4arch9wavefront6targetE0EEEvSY_.num_named_barrier, 0
	.set _ZN7rocprim17ROCPRIM_400000_NS6detail17trampoline_kernelINS0_13select_configILj256ELj13ELNS0_17block_load_methodE3ELS4_3ELS4_3ELNS0_20block_scan_algorithmE0ELj4294967295EEENS1_25partition_config_selectorILNS1_17partition_subalgoE3EjNS0_10empty_typeEbEEZZNS1_14partition_implILS8_3ELb0ES6_jNS0_17counting_iteratorIjlEEPS9_SE_NS0_5tupleIJPjSE_EEENSF_IJSE_SE_EEES9_SG_JZNS1_25segmented_radix_sort_implINS0_14default_configELb1EPKdPdPKlPlN2at6native12_GLOBAL__N_18offset_tEEE10hipError_tPvRmT1_PNSt15iterator_traitsISY_E10value_typeET2_T3_PNSZ_IS14_E10value_typeET4_jRbjT5_S1A_jjP12ihipStream_tbEUljE_EEESV_SW_SX_S14_S18_S1A_T6_T7_T9_mT8_S1C_bDpT10_ENKUlT_T0_E_clISt17integral_constantIbLb0EES1O_IbLb1EEEEDaS1K_S1L_EUlS1K_E_NS1_11comp_targetILNS1_3genE10ELNS1_11target_archE1200ELNS1_3gpuE4ELNS1_3repE0EEENS1_30default_config_static_selectorELNS0_4arch9wavefront6targetE0EEEvSY_.private_seg_size, 0
	.set _ZN7rocprim17ROCPRIM_400000_NS6detail17trampoline_kernelINS0_13select_configILj256ELj13ELNS0_17block_load_methodE3ELS4_3ELS4_3ELNS0_20block_scan_algorithmE0ELj4294967295EEENS1_25partition_config_selectorILNS1_17partition_subalgoE3EjNS0_10empty_typeEbEEZZNS1_14partition_implILS8_3ELb0ES6_jNS0_17counting_iteratorIjlEEPS9_SE_NS0_5tupleIJPjSE_EEENSF_IJSE_SE_EEES9_SG_JZNS1_25segmented_radix_sort_implINS0_14default_configELb1EPKdPdPKlPlN2at6native12_GLOBAL__N_18offset_tEEE10hipError_tPvRmT1_PNSt15iterator_traitsISY_E10value_typeET2_T3_PNSZ_IS14_E10value_typeET4_jRbjT5_S1A_jjP12ihipStream_tbEUljE_EEESV_SW_SX_S14_S18_S1A_T6_T7_T9_mT8_S1C_bDpT10_ENKUlT_T0_E_clISt17integral_constantIbLb0EES1O_IbLb1EEEEDaS1K_S1L_EUlS1K_E_NS1_11comp_targetILNS1_3genE10ELNS1_11target_archE1200ELNS1_3gpuE4ELNS1_3repE0EEENS1_30default_config_static_selectorELNS0_4arch9wavefront6targetE0EEEvSY_.uses_vcc, 0
	.set _ZN7rocprim17ROCPRIM_400000_NS6detail17trampoline_kernelINS0_13select_configILj256ELj13ELNS0_17block_load_methodE3ELS4_3ELS4_3ELNS0_20block_scan_algorithmE0ELj4294967295EEENS1_25partition_config_selectorILNS1_17partition_subalgoE3EjNS0_10empty_typeEbEEZZNS1_14partition_implILS8_3ELb0ES6_jNS0_17counting_iteratorIjlEEPS9_SE_NS0_5tupleIJPjSE_EEENSF_IJSE_SE_EEES9_SG_JZNS1_25segmented_radix_sort_implINS0_14default_configELb1EPKdPdPKlPlN2at6native12_GLOBAL__N_18offset_tEEE10hipError_tPvRmT1_PNSt15iterator_traitsISY_E10value_typeET2_T3_PNSZ_IS14_E10value_typeET4_jRbjT5_S1A_jjP12ihipStream_tbEUljE_EEESV_SW_SX_S14_S18_S1A_T6_T7_T9_mT8_S1C_bDpT10_ENKUlT_T0_E_clISt17integral_constantIbLb0EES1O_IbLb1EEEEDaS1K_S1L_EUlS1K_E_NS1_11comp_targetILNS1_3genE10ELNS1_11target_archE1200ELNS1_3gpuE4ELNS1_3repE0EEENS1_30default_config_static_selectorELNS0_4arch9wavefront6targetE0EEEvSY_.uses_flat_scratch, 0
	.set _ZN7rocprim17ROCPRIM_400000_NS6detail17trampoline_kernelINS0_13select_configILj256ELj13ELNS0_17block_load_methodE3ELS4_3ELS4_3ELNS0_20block_scan_algorithmE0ELj4294967295EEENS1_25partition_config_selectorILNS1_17partition_subalgoE3EjNS0_10empty_typeEbEEZZNS1_14partition_implILS8_3ELb0ES6_jNS0_17counting_iteratorIjlEEPS9_SE_NS0_5tupleIJPjSE_EEENSF_IJSE_SE_EEES9_SG_JZNS1_25segmented_radix_sort_implINS0_14default_configELb1EPKdPdPKlPlN2at6native12_GLOBAL__N_18offset_tEEE10hipError_tPvRmT1_PNSt15iterator_traitsISY_E10value_typeET2_T3_PNSZ_IS14_E10value_typeET4_jRbjT5_S1A_jjP12ihipStream_tbEUljE_EEESV_SW_SX_S14_S18_S1A_T6_T7_T9_mT8_S1C_bDpT10_ENKUlT_T0_E_clISt17integral_constantIbLb0EES1O_IbLb1EEEEDaS1K_S1L_EUlS1K_E_NS1_11comp_targetILNS1_3genE10ELNS1_11target_archE1200ELNS1_3gpuE4ELNS1_3repE0EEENS1_30default_config_static_selectorELNS0_4arch9wavefront6targetE0EEEvSY_.has_dyn_sized_stack, 0
	.set _ZN7rocprim17ROCPRIM_400000_NS6detail17trampoline_kernelINS0_13select_configILj256ELj13ELNS0_17block_load_methodE3ELS4_3ELS4_3ELNS0_20block_scan_algorithmE0ELj4294967295EEENS1_25partition_config_selectorILNS1_17partition_subalgoE3EjNS0_10empty_typeEbEEZZNS1_14partition_implILS8_3ELb0ES6_jNS0_17counting_iteratorIjlEEPS9_SE_NS0_5tupleIJPjSE_EEENSF_IJSE_SE_EEES9_SG_JZNS1_25segmented_radix_sort_implINS0_14default_configELb1EPKdPdPKlPlN2at6native12_GLOBAL__N_18offset_tEEE10hipError_tPvRmT1_PNSt15iterator_traitsISY_E10value_typeET2_T3_PNSZ_IS14_E10value_typeET4_jRbjT5_S1A_jjP12ihipStream_tbEUljE_EEESV_SW_SX_S14_S18_S1A_T6_T7_T9_mT8_S1C_bDpT10_ENKUlT_T0_E_clISt17integral_constantIbLb0EES1O_IbLb1EEEEDaS1K_S1L_EUlS1K_E_NS1_11comp_targetILNS1_3genE10ELNS1_11target_archE1200ELNS1_3gpuE4ELNS1_3repE0EEENS1_30default_config_static_selectorELNS0_4arch9wavefront6targetE0EEEvSY_.has_recursion, 0
	.set _ZN7rocprim17ROCPRIM_400000_NS6detail17trampoline_kernelINS0_13select_configILj256ELj13ELNS0_17block_load_methodE3ELS4_3ELS4_3ELNS0_20block_scan_algorithmE0ELj4294967295EEENS1_25partition_config_selectorILNS1_17partition_subalgoE3EjNS0_10empty_typeEbEEZZNS1_14partition_implILS8_3ELb0ES6_jNS0_17counting_iteratorIjlEEPS9_SE_NS0_5tupleIJPjSE_EEENSF_IJSE_SE_EEES9_SG_JZNS1_25segmented_radix_sort_implINS0_14default_configELb1EPKdPdPKlPlN2at6native12_GLOBAL__N_18offset_tEEE10hipError_tPvRmT1_PNSt15iterator_traitsISY_E10value_typeET2_T3_PNSZ_IS14_E10value_typeET4_jRbjT5_S1A_jjP12ihipStream_tbEUljE_EEESV_SW_SX_S14_S18_S1A_T6_T7_T9_mT8_S1C_bDpT10_ENKUlT_T0_E_clISt17integral_constantIbLb0EES1O_IbLb1EEEEDaS1K_S1L_EUlS1K_E_NS1_11comp_targetILNS1_3genE10ELNS1_11target_archE1200ELNS1_3gpuE4ELNS1_3repE0EEENS1_30default_config_static_selectorELNS0_4arch9wavefront6targetE0EEEvSY_.has_indirect_call, 0
	.section	.AMDGPU.csdata,"",@progbits
; Kernel info:
; codeLenInByte = 0
; TotalNumSgprs: 0
; NumVgprs: 0
; ScratchSize: 0
; MemoryBound: 0
; FloatMode: 240
; IeeeMode: 1
; LDSByteSize: 0 bytes/workgroup (compile time only)
; SGPRBlocks: 0
; VGPRBlocks: 0
; NumSGPRsForWavesPerEU: 1
; NumVGPRsForWavesPerEU: 1
; NamedBarCnt: 0
; Occupancy: 16
; WaveLimiterHint : 0
; COMPUTE_PGM_RSRC2:SCRATCH_EN: 0
; COMPUTE_PGM_RSRC2:USER_SGPR: 2
; COMPUTE_PGM_RSRC2:TRAP_HANDLER: 0
; COMPUTE_PGM_RSRC2:TGID_X_EN: 1
; COMPUTE_PGM_RSRC2:TGID_Y_EN: 0
; COMPUTE_PGM_RSRC2:TGID_Z_EN: 0
; COMPUTE_PGM_RSRC2:TIDIG_COMP_CNT: 0
	.section	.text._ZN7rocprim17ROCPRIM_400000_NS6detail17trampoline_kernelINS0_13select_configILj256ELj13ELNS0_17block_load_methodE3ELS4_3ELS4_3ELNS0_20block_scan_algorithmE0ELj4294967295EEENS1_25partition_config_selectorILNS1_17partition_subalgoE3EjNS0_10empty_typeEbEEZZNS1_14partition_implILS8_3ELb0ES6_jNS0_17counting_iteratorIjlEEPS9_SE_NS0_5tupleIJPjSE_EEENSF_IJSE_SE_EEES9_SG_JZNS1_25segmented_radix_sort_implINS0_14default_configELb1EPKdPdPKlPlN2at6native12_GLOBAL__N_18offset_tEEE10hipError_tPvRmT1_PNSt15iterator_traitsISY_E10value_typeET2_T3_PNSZ_IS14_E10value_typeET4_jRbjT5_S1A_jjP12ihipStream_tbEUljE_EEESV_SW_SX_S14_S18_S1A_T6_T7_T9_mT8_S1C_bDpT10_ENKUlT_T0_E_clISt17integral_constantIbLb0EES1O_IbLb1EEEEDaS1K_S1L_EUlS1K_E_NS1_11comp_targetILNS1_3genE9ELNS1_11target_archE1100ELNS1_3gpuE3ELNS1_3repE0EEENS1_30default_config_static_selectorELNS0_4arch9wavefront6targetE0EEEvSY_,"axG",@progbits,_ZN7rocprim17ROCPRIM_400000_NS6detail17trampoline_kernelINS0_13select_configILj256ELj13ELNS0_17block_load_methodE3ELS4_3ELS4_3ELNS0_20block_scan_algorithmE0ELj4294967295EEENS1_25partition_config_selectorILNS1_17partition_subalgoE3EjNS0_10empty_typeEbEEZZNS1_14partition_implILS8_3ELb0ES6_jNS0_17counting_iteratorIjlEEPS9_SE_NS0_5tupleIJPjSE_EEENSF_IJSE_SE_EEES9_SG_JZNS1_25segmented_radix_sort_implINS0_14default_configELb1EPKdPdPKlPlN2at6native12_GLOBAL__N_18offset_tEEE10hipError_tPvRmT1_PNSt15iterator_traitsISY_E10value_typeET2_T3_PNSZ_IS14_E10value_typeET4_jRbjT5_S1A_jjP12ihipStream_tbEUljE_EEESV_SW_SX_S14_S18_S1A_T6_T7_T9_mT8_S1C_bDpT10_ENKUlT_T0_E_clISt17integral_constantIbLb0EES1O_IbLb1EEEEDaS1K_S1L_EUlS1K_E_NS1_11comp_targetILNS1_3genE9ELNS1_11target_archE1100ELNS1_3gpuE3ELNS1_3repE0EEENS1_30default_config_static_selectorELNS0_4arch9wavefront6targetE0EEEvSY_,comdat
	.globl	_ZN7rocprim17ROCPRIM_400000_NS6detail17trampoline_kernelINS0_13select_configILj256ELj13ELNS0_17block_load_methodE3ELS4_3ELS4_3ELNS0_20block_scan_algorithmE0ELj4294967295EEENS1_25partition_config_selectorILNS1_17partition_subalgoE3EjNS0_10empty_typeEbEEZZNS1_14partition_implILS8_3ELb0ES6_jNS0_17counting_iteratorIjlEEPS9_SE_NS0_5tupleIJPjSE_EEENSF_IJSE_SE_EEES9_SG_JZNS1_25segmented_radix_sort_implINS0_14default_configELb1EPKdPdPKlPlN2at6native12_GLOBAL__N_18offset_tEEE10hipError_tPvRmT1_PNSt15iterator_traitsISY_E10value_typeET2_T3_PNSZ_IS14_E10value_typeET4_jRbjT5_S1A_jjP12ihipStream_tbEUljE_EEESV_SW_SX_S14_S18_S1A_T6_T7_T9_mT8_S1C_bDpT10_ENKUlT_T0_E_clISt17integral_constantIbLb0EES1O_IbLb1EEEEDaS1K_S1L_EUlS1K_E_NS1_11comp_targetILNS1_3genE9ELNS1_11target_archE1100ELNS1_3gpuE3ELNS1_3repE0EEENS1_30default_config_static_selectorELNS0_4arch9wavefront6targetE0EEEvSY_ ; -- Begin function _ZN7rocprim17ROCPRIM_400000_NS6detail17trampoline_kernelINS0_13select_configILj256ELj13ELNS0_17block_load_methodE3ELS4_3ELS4_3ELNS0_20block_scan_algorithmE0ELj4294967295EEENS1_25partition_config_selectorILNS1_17partition_subalgoE3EjNS0_10empty_typeEbEEZZNS1_14partition_implILS8_3ELb0ES6_jNS0_17counting_iteratorIjlEEPS9_SE_NS0_5tupleIJPjSE_EEENSF_IJSE_SE_EEES9_SG_JZNS1_25segmented_radix_sort_implINS0_14default_configELb1EPKdPdPKlPlN2at6native12_GLOBAL__N_18offset_tEEE10hipError_tPvRmT1_PNSt15iterator_traitsISY_E10value_typeET2_T3_PNSZ_IS14_E10value_typeET4_jRbjT5_S1A_jjP12ihipStream_tbEUljE_EEESV_SW_SX_S14_S18_S1A_T6_T7_T9_mT8_S1C_bDpT10_ENKUlT_T0_E_clISt17integral_constantIbLb0EES1O_IbLb1EEEEDaS1K_S1L_EUlS1K_E_NS1_11comp_targetILNS1_3genE9ELNS1_11target_archE1100ELNS1_3gpuE3ELNS1_3repE0EEENS1_30default_config_static_selectorELNS0_4arch9wavefront6targetE0EEEvSY_
	.p2align	8
	.type	_ZN7rocprim17ROCPRIM_400000_NS6detail17trampoline_kernelINS0_13select_configILj256ELj13ELNS0_17block_load_methodE3ELS4_3ELS4_3ELNS0_20block_scan_algorithmE0ELj4294967295EEENS1_25partition_config_selectorILNS1_17partition_subalgoE3EjNS0_10empty_typeEbEEZZNS1_14partition_implILS8_3ELb0ES6_jNS0_17counting_iteratorIjlEEPS9_SE_NS0_5tupleIJPjSE_EEENSF_IJSE_SE_EEES9_SG_JZNS1_25segmented_radix_sort_implINS0_14default_configELb1EPKdPdPKlPlN2at6native12_GLOBAL__N_18offset_tEEE10hipError_tPvRmT1_PNSt15iterator_traitsISY_E10value_typeET2_T3_PNSZ_IS14_E10value_typeET4_jRbjT5_S1A_jjP12ihipStream_tbEUljE_EEESV_SW_SX_S14_S18_S1A_T6_T7_T9_mT8_S1C_bDpT10_ENKUlT_T0_E_clISt17integral_constantIbLb0EES1O_IbLb1EEEEDaS1K_S1L_EUlS1K_E_NS1_11comp_targetILNS1_3genE9ELNS1_11target_archE1100ELNS1_3gpuE3ELNS1_3repE0EEENS1_30default_config_static_selectorELNS0_4arch9wavefront6targetE0EEEvSY_,@function
_ZN7rocprim17ROCPRIM_400000_NS6detail17trampoline_kernelINS0_13select_configILj256ELj13ELNS0_17block_load_methodE3ELS4_3ELS4_3ELNS0_20block_scan_algorithmE0ELj4294967295EEENS1_25partition_config_selectorILNS1_17partition_subalgoE3EjNS0_10empty_typeEbEEZZNS1_14partition_implILS8_3ELb0ES6_jNS0_17counting_iteratorIjlEEPS9_SE_NS0_5tupleIJPjSE_EEENSF_IJSE_SE_EEES9_SG_JZNS1_25segmented_radix_sort_implINS0_14default_configELb1EPKdPdPKlPlN2at6native12_GLOBAL__N_18offset_tEEE10hipError_tPvRmT1_PNSt15iterator_traitsISY_E10value_typeET2_T3_PNSZ_IS14_E10value_typeET4_jRbjT5_S1A_jjP12ihipStream_tbEUljE_EEESV_SW_SX_S14_S18_S1A_T6_T7_T9_mT8_S1C_bDpT10_ENKUlT_T0_E_clISt17integral_constantIbLb0EES1O_IbLb1EEEEDaS1K_S1L_EUlS1K_E_NS1_11comp_targetILNS1_3genE9ELNS1_11target_archE1100ELNS1_3gpuE3ELNS1_3repE0EEENS1_30default_config_static_selectorELNS0_4arch9wavefront6targetE0EEEvSY_: ; @_ZN7rocprim17ROCPRIM_400000_NS6detail17trampoline_kernelINS0_13select_configILj256ELj13ELNS0_17block_load_methodE3ELS4_3ELS4_3ELNS0_20block_scan_algorithmE0ELj4294967295EEENS1_25partition_config_selectorILNS1_17partition_subalgoE3EjNS0_10empty_typeEbEEZZNS1_14partition_implILS8_3ELb0ES6_jNS0_17counting_iteratorIjlEEPS9_SE_NS0_5tupleIJPjSE_EEENSF_IJSE_SE_EEES9_SG_JZNS1_25segmented_radix_sort_implINS0_14default_configELb1EPKdPdPKlPlN2at6native12_GLOBAL__N_18offset_tEEE10hipError_tPvRmT1_PNSt15iterator_traitsISY_E10value_typeET2_T3_PNSZ_IS14_E10value_typeET4_jRbjT5_S1A_jjP12ihipStream_tbEUljE_EEESV_SW_SX_S14_S18_S1A_T6_T7_T9_mT8_S1C_bDpT10_ENKUlT_T0_E_clISt17integral_constantIbLb0EES1O_IbLb1EEEEDaS1K_S1L_EUlS1K_E_NS1_11comp_targetILNS1_3genE9ELNS1_11target_archE1100ELNS1_3gpuE3ELNS1_3repE0EEENS1_30default_config_static_selectorELNS0_4arch9wavefront6targetE0EEEvSY_
; %bb.0:
	.section	.rodata,"a",@progbits
	.p2align	6, 0x0
	.amdhsa_kernel _ZN7rocprim17ROCPRIM_400000_NS6detail17trampoline_kernelINS0_13select_configILj256ELj13ELNS0_17block_load_methodE3ELS4_3ELS4_3ELNS0_20block_scan_algorithmE0ELj4294967295EEENS1_25partition_config_selectorILNS1_17partition_subalgoE3EjNS0_10empty_typeEbEEZZNS1_14partition_implILS8_3ELb0ES6_jNS0_17counting_iteratorIjlEEPS9_SE_NS0_5tupleIJPjSE_EEENSF_IJSE_SE_EEES9_SG_JZNS1_25segmented_radix_sort_implINS0_14default_configELb1EPKdPdPKlPlN2at6native12_GLOBAL__N_18offset_tEEE10hipError_tPvRmT1_PNSt15iterator_traitsISY_E10value_typeET2_T3_PNSZ_IS14_E10value_typeET4_jRbjT5_S1A_jjP12ihipStream_tbEUljE_EEESV_SW_SX_S14_S18_S1A_T6_T7_T9_mT8_S1C_bDpT10_ENKUlT_T0_E_clISt17integral_constantIbLb0EES1O_IbLb1EEEEDaS1K_S1L_EUlS1K_E_NS1_11comp_targetILNS1_3genE9ELNS1_11target_archE1100ELNS1_3gpuE3ELNS1_3repE0EEENS1_30default_config_static_selectorELNS0_4arch9wavefront6targetE0EEEvSY_
		.amdhsa_group_segment_fixed_size 0
		.amdhsa_private_segment_fixed_size 0
		.amdhsa_kernarg_size 152
		.amdhsa_user_sgpr_count 2
		.amdhsa_user_sgpr_dispatch_ptr 0
		.amdhsa_user_sgpr_queue_ptr 0
		.amdhsa_user_sgpr_kernarg_segment_ptr 1
		.amdhsa_user_sgpr_dispatch_id 0
		.amdhsa_user_sgpr_kernarg_preload_length 0
		.amdhsa_user_sgpr_kernarg_preload_offset 0
		.amdhsa_user_sgpr_private_segment_size 0
		.amdhsa_wavefront_size32 1
		.amdhsa_uses_dynamic_stack 0
		.amdhsa_enable_private_segment 0
		.amdhsa_system_sgpr_workgroup_id_x 1
		.amdhsa_system_sgpr_workgroup_id_y 0
		.amdhsa_system_sgpr_workgroup_id_z 0
		.amdhsa_system_sgpr_workgroup_info 0
		.amdhsa_system_vgpr_workitem_id 0
		.amdhsa_next_free_vgpr 1
		.amdhsa_next_free_sgpr 1
		.amdhsa_named_barrier_count 0
		.amdhsa_reserve_vcc 0
		.amdhsa_float_round_mode_32 0
		.amdhsa_float_round_mode_16_64 0
		.amdhsa_float_denorm_mode_32 3
		.amdhsa_float_denorm_mode_16_64 3
		.amdhsa_fp16_overflow 0
		.amdhsa_memory_ordered 1
		.amdhsa_forward_progress 1
		.amdhsa_inst_pref_size 0
		.amdhsa_round_robin_scheduling 0
		.amdhsa_exception_fp_ieee_invalid_op 0
		.amdhsa_exception_fp_denorm_src 0
		.amdhsa_exception_fp_ieee_div_zero 0
		.amdhsa_exception_fp_ieee_overflow 0
		.amdhsa_exception_fp_ieee_underflow 0
		.amdhsa_exception_fp_ieee_inexact 0
		.amdhsa_exception_int_div_zero 0
	.end_amdhsa_kernel
	.section	.text._ZN7rocprim17ROCPRIM_400000_NS6detail17trampoline_kernelINS0_13select_configILj256ELj13ELNS0_17block_load_methodE3ELS4_3ELS4_3ELNS0_20block_scan_algorithmE0ELj4294967295EEENS1_25partition_config_selectorILNS1_17partition_subalgoE3EjNS0_10empty_typeEbEEZZNS1_14partition_implILS8_3ELb0ES6_jNS0_17counting_iteratorIjlEEPS9_SE_NS0_5tupleIJPjSE_EEENSF_IJSE_SE_EEES9_SG_JZNS1_25segmented_radix_sort_implINS0_14default_configELb1EPKdPdPKlPlN2at6native12_GLOBAL__N_18offset_tEEE10hipError_tPvRmT1_PNSt15iterator_traitsISY_E10value_typeET2_T3_PNSZ_IS14_E10value_typeET4_jRbjT5_S1A_jjP12ihipStream_tbEUljE_EEESV_SW_SX_S14_S18_S1A_T6_T7_T9_mT8_S1C_bDpT10_ENKUlT_T0_E_clISt17integral_constantIbLb0EES1O_IbLb1EEEEDaS1K_S1L_EUlS1K_E_NS1_11comp_targetILNS1_3genE9ELNS1_11target_archE1100ELNS1_3gpuE3ELNS1_3repE0EEENS1_30default_config_static_selectorELNS0_4arch9wavefront6targetE0EEEvSY_,"axG",@progbits,_ZN7rocprim17ROCPRIM_400000_NS6detail17trampoline_kernelINS0_13select_configILj256ELj13ELNS0_17block_load_methodE3ELS4_3ELS4_3ELNS0_20block_scan_algorithmE0ELj4294967295EEENS1_25partition_config_selectorILNS1_17partition_subalgoE3EjNS0_10empty_typeEbEEZZNS1_14partition_implILS8_3ELb0ES6_jNS0_17counting_iteratorIjlEEPS9_SE_NS0_5tupleIJPjSE_EEENSF_IJSE_SE_EEES9_SG_JZNS1_25segmented_radix_sort_implINS0_14default_configELb1EPKdPdPKlPlN2at6native12_GLOBAL__N_18offset_tEEE10hipError_tPvRmT1_PNSt15iterator_traitsISY_E10value_typeET2_T3_PNSZ_IS14_E10value_typeET4_jRbjT5_S1A_jjP12ihipStream_tbEUljE_EEESV_SW_SX_S14_S18_S1A_T6_T7_T9_mT8_S1C_bDpT10_ENKUlT_T0_E_clISt17integral_constantIbLb0EES1O_IbLb1EEEEDaS1K_S1L_EUlS1K_E_NS1_11comp_targetILNS1_3genE9ELNS1_11target_archE1100ELNS1_3gpuE3ELNS1_3repE0EEENS1_30default_config_static_selectorELNS0_4arch9wavefront6targetE0EEEvSY_,comdat
.Lfunc_end1110:
	.size	_ZN7rocprim17ROCPRIM_400000_NS6detail17trampoline_kernelINS0_13select_configILj256ELj13ELNS0_17block_load_methodE3ELS4_3ELS4_3ELNS0_20block_scan_algorithmE0ELj4294967295EEENS1_25partition_config_selectorILNS1_17partition_subalgoE3EjNS0_10empty_typeEbEEZZNS1_14partition_implILS8_3ELb0ES6_jNS0_17counting_iteratorIjlEEPS9_SE_NS0_5tupleIJPjSE_EEENSF_IJSE_SE_EEES9_SG_JZNS1_25segmented_radix_sort_implINS0_14default_configELb1EPKdPdPKlPlN2at6native12_GLOBAL__N_18offset_tEEE10hipError_tPvRmT1_PNSt15iterator_traitsISY_E10value_typeET2_T3_PNSZ_IS14_E10value_typeET4_jRbjT5_S1A_jjP12ihipStream_tbEUljE_EEESV_SW_SX_S14_S18_S1A_T6_T7_T9_mT8_S1C_bDpT10_ENKUlT_T0_E_clISt17integral_constantIbLb0EES1O_IbLb1EEEEDaS1K_S1L_EUlS1K_E_NS1_11comp_targetILNS1_3genE9ELNS1_11target_archE1100ELNS1_3gpuE3ELNS1_3repE0EEENS1_30default_config_static_selectorELNS0_4arch9wavefront6targetE0EEEvSY_, .Lfunc_end1110-_ZN7rocprim17ROCPRIM_400000_NS6detail17trampoline_kernelINS0_13select_configILj256ELj13ELNS0_17block_load_methodE3ELS4_3ELS4_3ELNS0_20block_scan_algorithmE0ELj4294967295EEENS1_25partition_config_selectorILNS1_17partition_subalgoE3EjNS0_10empty_typeEbEEZZNS1_14partition_implILS8_3ELb0ES6_jNS0_17counting_iteratorIjlEEPS9_SE_NS0_5tupleIJPjSE_EEENSF_IJSE_SE_EEES9_SG_JZNS1_25segmented_radix_sort_implINS0_14default_configELb1EPKdPdPKlPlN2at6native12_GLOBAL__N_18offset_tEEE10hipError_tPvRmT1_PNSt15iterator_traitsISY_E10value_typeET2_T3_PNSZ_IS14_E10value_typeET4_jRbjT5_S1A_jjP12ihipStream_tbEUljE_EEESV_SW_SX_S14_S18_S1A_T6_T7_T9_mT8_S1C_bDpT10_ENKUlT_T0_E_clISt17integral_constantIbLb0EES1O_IbLb1EEEEDaS1K_S1L_EUlS1K_E_NS1_11comp_targetILNS1_3genE9ELNS1_11target_archE1100ELNS1_3gpuE3ELNS1_3repE0EEENS1_30default_config_static_selectorELNS0_4arch9wavefront6targetE0EEEvSY_
                                        ; -- End function
	.set _ZN7rocprim17ROCPRIM_400000_NS6detail17trampoline_kernelINS0_13select_configILj256ELj13ELNS0_17block_load_methodE3ELS4_3ELS4_3ELNS0_20block_scan_algorithmE0ELj4294967295EEENS1_25partition_config_selectorILNS1_17partition_subalgoE3EjNS0_10empty_typeEbEEZZNS1_14partition_implILS8_3ELb0ES6_jNS0_17counting_iteratorIjlEEPS9_SE_NS0_5tupleIJPjSE_EEENSF_IJSE_SE_EEES9_SG_JZNS1_25segmented_radix_sort_implINS0_14default_configELb1EPKdPdPKlPlN2at6native12_GLOBAL__N_18offset_tEEE10hipError_tPvRmT1_PNSt15iterator_traitsISY_E10value_typeET2_T3_PNSZ_IS14_E10value_typeET4_jRbjT5_S1A_jjP12ihipStream_tbEUljE_EEESV_SW_SX_S14_S18_S1A_T6_T7_T9_mT8_S1C_bDpT10_ENKUlT_T0_E_clISt17integral_constantIbLb0EES1O_IbLb1EEEEDaS1K_S1L_EUlS1K_E_NS1_11comp_targetILNS1_3genE9ELNS1_11target_archE1100ELNS1_3gpuE3ELNS1_3repE0EEENS1_30default_config_static_selectorELNS0_4arch9wavefront6targetE0EEEvSY_.num_vgpr, 0
	.set _ZN7rocprim17ROCPRIM_400000_NS6detail17trampoline_kernelINS0_13select_configILj256ELj13ELNS0_17block_load_methodE3ELS4_3ELS4_3ELNS0_20block_scan_algorithmE0ELj4294967295EEENS1_25partition_config_selectorILNS1_17partition_subalgoE3EjNS0_10empty_typeEbEEZZNS1_14partition_implILS8_3ELb0ES6_jNS0_17counting_iteratorIjlEEPS9_SE_NS0_5tupleIJPjSE_EEENSF_IJSE_SE_EEES9_SG_JZNS1_25segmented_radix_sort_implINS0_14default_configELb1EPKdPdPKlPlN2at6native12_GLOBAL__N_18offset_tEEE10hipError_tPvRmT1_PNSt15iterator_traitsISY_E10value_typeET2_T3_PNSZ_IS14_E10value_typeET4_jRbjT5_S1A_jjP12ihipStream_tbEUljE_EEESV_SW_SX_S14_S18_S1A_T6_T7_T9_mT8_S1C_bDpT10_ENKUlT_T0_E_clISt17integral_constantIbLb0EES1O_IbLb1EEEEDaS1K_S1L_EUlS1K_E_NS1_11comp_targetILNS1_3genE9ELNS1_11target_archE1100ELNS1_3gpuE3ELNS1_3repE0EEENS1_30default_config_static_selectorELNS0_4arch9wavefront6targetE0EEEvSY_.num_agpr, 0
	.set _ZN7rocprim17ROCPRIM_400000_NS6detail17trampoline_kernelINS0_13select_configILj256ELj13ELNS0_17block_load_methodE3ELS4_3ELS4_3ELNS0_20block_scan_algorithmE0ELj4294967295EEENS1_25partition_config_selectorILNS1_17partition_subalgoE3EjNS0_10empty_typeEbEEZZNS1_14partition_implILS8_3ELb0ES6_jNS0_17counting_iteratorIjlEEPS9_SE_NS0_5tupleIJPjSE_EEENSF_IJSE_SE_EEES9_SG_JZNS1_25segmented_radix_sort_implINS0_14default_configELb1EPKdPdPKlPlN2at6native12_GLOBAL__N_18offset_tEEE10hipError_tPvRmT1_PNSt15iterator_traitsISY_E10value_typeET2_T3_PNSZ_IS14_E10value_typeET4_jRbjT5_S1A_jjP12ihipStream_tbEUljE_EEESV_SW_SX_S14_S18_S1A_T6_T7_T9_mT8_S1C_bDpT10_ENKUlT_T0_E_clISt17integral_constantIbLb0EES1O_IbLb1EEEEDaS1K_S1L_EUlS1K_E_NS1_11comp_targetILNS1_3genE9ELNS1_11target_archE1100ELNS1_3gpuE3ELNS1_3repE0EEENS1_30default_config_static_selectorELNS0_4arch9wavefront6targetE0EEEvSY_.numbered_sgpr, 0
	.set _ZN7rocprim17ROCPRIM_400000_NS6detail17trampoline_kernelINS0_13select_configILj256ELj13ELNS0_17block_load_methodE3ELS4_3ELS4_3ELNS0_20block_scan_algorithmE0ELj4294967295EEENS1_25partition_config_selectorILNS1_17partition_subalgoE3EjNS0_10empty_typeEbEEZZNS1_14partition_implILS8_3ELb0ES6_jNS0_17counting_iteratorIjlEEPS9_SE_NS0_5tupleIJPjSE_EEENSF_IJSE_SE_EEES9_SG_JZNS1_25segmented_radix_sort_implINS0_14default_configELb1EPKdPdPKlPlN2at6native12_GLOBAL__N_18offset_tEEE10hipError_tPvRmT1_PNSt15iterator_traitsISY_E10value_typeET2_T3_PNSZ_IS14_E10value_typeET4_jRbjT5_S1A_jjP12ihipStream_tbEUljE_EEESV_SW_SX_S14_S18_S1A_T6_T7_T9_mT8_S1C_bDpT10_ENKUlT_T0_E_clISt17integral_constantIbLb0EES1O_IbLb1EEEEDaS1K_S1L_EUlS1K_E_NS1_11comp_targetILNS1_3genE9ELNS1_11target_archE1100ELNS1_3gpuE3ELNS1_3repE0EEENS1_30default_config_static_selectorELNS0_4arch9wavefront6targetE0EEEvSY_.num_named_barrier, 0
	.set _ZN7rocprim17ROCPRIM_400000_NS6detail17trampoline_kernelINS0_13select_configILj256ELj13ELNS0_17block_load_methodE3ELS4_3ELS4_3ELNS0_20block_scan_algorithmE0ELj4294967295EEENS1_25partition_config_selectorILNS1_17partition_subalgoE3EjNS0_10empty_typeEbEEZZNS1_14partition_implILS8_3ELb0ES6_jNS0_17counting_iteratorIjlEEPS9_SE_NS0_5tupleIJPjSE_EEENSF_IJSE_SE_EEES9_SG_JZNS1_25segmented_radix_sort_implINS0_14default_configELb1EPKdPdPKlPlN2at6native12_GLOBAL__N_18offset_tEEE10hipError_tPvRmT1_PNSt15iterator_traitsISY_E10value_typeET2_T3_PNSZ_IS14_E10value_typeET4_jRbjT5_S1A_jjP12ihipStream_tbEUljE_EEESV_SW_SX_S14_S18_S1A_T6_T7_T9_mT8_S1C_bDpT10_ENKUlT_T0_E_clISt17integral_constantIbLb0EES1O_IbLb1EEEEDaS1K_S1L_EUlS1K_E_NS1_11comp_targetILNS1_3genE9ELNS1_11target_archE1100ELNS1_3gpuE3ELNS1_3repE0EEENS1_30default_config_static_selectorELNS0_4arch9wavefront6targetE0EEEvSY_.private_seg_size, 0
	.set _ZN7rocprim17ROCPRIM_400000_NS6detail17trampoline_kernelINS0_13select_configILj256ELj13ELNS0_17block_load_methodE3ELS4_3ELS4_3ELNS0_20block_scan_algorithmE0ELj4294967295EEENS1_25partition_config_selectorILNS1_17partition_subalgoE3EjNS0_10empty_typeEbEEZZNS1_14partition_implILS8_3ELb0ES6_jNS0_17counting_iteratorIjlEEPS9_SE_NS0_5tupleIJPjSE_EEENSF_IJSE_SE_EEES9_SG_JZNS1_25segmented_radix_sort_implINS0_14default_configELb1EPKdPdPKlPlN2at6native12_GLOBAL__N_18offset_tEEE10hipError_tPvRmT1_PNSt15iterator_traitsISY_E10value_typeET2_T3_PNSZ_IS14_E10value_typeET4_jRbjT5_S1A_jjP12ihipStream_tbEUljE_EEESV_SW_SX_S14_S18_S1A_T6_T7_T9_mT8_S1C_bDpT10_ENKUlT_T0_E_clISt17integral_constantIbLb0EES1O_IbLb1EEEEDaS1K_S1L_EUlS1K_E_NS1_11comp_targetILNS1_3genE9ELNS1_11target_archE1100ELNS1_3gpuE3ELNS1_3repE0EEENS1_30default_config_static_selectorELNS0_4arch9wavefront6targetE0EEEvSY_.uses_vcc, 0
	.set _ZN7rocprim17ROCPRIM_400000_NS6detail17trampoline_kernelINS0_13select_configILj256ELj13ELNS0_17block_load_methodE3ELS4_3ELS4_3ELNS0_20block_scan_algorithmE0ELj4294967295EEENS1_25partition_config_selectorILNS1_17partition_subalgoE3EjNS0_10empty_typeEbEEZZNS1_14partition_implILS8_3ELb0ES6_jNS0_17counting_iteratorIjlEEPS9_SE_NS0_5tupleIJPjSE_EEENSF_IJSE_SE_EEES9_SG_JZNS1_25segmented_radix_sort_implINS0_14default_configELb1EPKdPdPKlPlN2at6native12_GLOBAL__N_18offset_tEEE10hipError_tPvRmT1_PNSt15iterator_traitsISY_E10value_typeET2_T3_PNSZ_IS14_E10value_typeET4_jRbjT5_S1A_jjP12ihipStream_tbEUljE_EEESV_SW_SX_S14_S18_S1A_T6_T7_T9_mT8_S1C_bDpT10_ENKUlT_T0_E_clISt17integral_constantIbLb0EES1O_IbLb1EEEEDaS1K_S1L_EUlS1K_E_NS1_11comp_targetILNS1_3genE9ELNS1_11target_archE1100ELNS1_3gpuE3ELNS1_3repE0EEENS1_30default_config_static_selectorELNS0_4arch9wavefront6targetE0EEEvSY_.uses_flat_scratch, 0
	.set _ZN7rocprim17ROCPRIM_400000_NS6detail17trampoline_kernelINS0_13select_configILj256ELj13ELNS0_17block_load_methodE3ELS4_3ELS4_3ELNS0_20block_scan_algorithmE0ELj4294967295EEENS1_25partition_config_selectorILNS1_17partition_subalgoE3EjNS0_10empty_typeEbEEZZNS1_14partition_implILS8_3ELb0ES6_jNS0_17counting_iteratorIjlEEPS9_SE_NS0_5tupleIJPjSE_EEENSF_IJSE_SE_EEES9_SG_JZNS1_25segmented_radix_sort_implINS0_14default_configELb1EPKdPdPKlPlN2at6native12_GLOBAL__N_18offset_tEEE10hipError_tPvRmT1_PNSt15iterator_traitsISY_E10value_typeET2_T3_PNSZ_IS14_E10value_typeET4_jRbjT5_S1A_jjP12ihipStream_tbEUljE_EEESV_SW_SX_S14_S18_S1A_T6_T7_T9_mT8_S1C_bDpT10_ENKUlT_T0_E_clISt17integral_constantIbLb0EES1O_IbLb1EEEEDaS1K_S1L_EUlS1K_E_NS1_11comp_targetILNS1_3genE9ELNS1_11target_archE1100ELNS1_3gpuE3ELNS1_3repE0EEENS1_30default_config_static_selectorELNS0_4arch9wavefront6targetE0EEEvSY_.has_dyn_sized_stack, 0
	.set _ZN7rocprim17ROCPRIM_400000_NS6detail17trampoline_kernelINS0_13select_configILj256ELj13ELNS0_17block_load_methodE3ELS4_3ELS4_3ELNS0_20block_scan_algorithmE0ELj4294967295EEENS1_25partition_config_selectorILNS1_17partition_subalgoE3EjNS0_10empty_typeEbEEZZNS1_14partition_implILS8_3ELb0ES6_jNS0_17counting_iteratorIjlEEPS9_SE_NS0_5tupleIJPjSE_EEENSF_IJSE_SE_EEES9_SG_JZNS1_25segmented_radix_sort_implINS0_14default_configELb1EPKdPdPKlPlN2at6native12_GLOBAL__N_18offset_tEEE10hipError_tPvRmT1_PNSt15iterator_traitsISY_E10value_typeET2_T3_PNSZ_IS14_E10value_typeET4_jRbjT5_S1A_jjP12ihipStream_tbEUljE_EEESV_SW_SX_S14_S18_S1A_T6_T7_T9_mT8_S1C_bDpT10_ENKUlT_T0_E_clISt17integral_constantIbLb0EES1O_IbLb1EEEEDaS1K_S1L_EUlS1K_E_NS1_11comp_targetILNS1_3genE9ELNS1_11target_archE1100ELNS1_3gpuE3ELNS1_3repE0EEENS1_30default_config_static_selectorELNS0_4arch9wavefront6targetE0EEEvSY_.has_recursion, 0
	.set _ZN7rocprim17ROCPRIM_400000_NS6detail17trampoline_kernelINS0_13select_configILj256ELj13ELNS0_17block_load_methodE3ELS4_3ELS4_3ELNS0_20block_scan_algorithmE0ELj4294967295EEENS1_25partition_config_selectorILNS1_17partition_subalgoE3EjNS0_10empty_typeEbEEZZNS1_14partition_implILS8_3ELb0ES6_jNS0_17counting_iteratorIjlEEPS9_SE_NS0_5tupleIJPjSE_EEENSF_IJSE_SE_EEES9_SG_JZNS1_25segmented_radix_sort_implINS0_14default_configELb1EPKdPdPKlPlN2at6native12_GLOBAL__N_18offset_tEEE10hipError_tPvRmT1_PNSt15iterator_traitsISY_E10value_typeET2_T3_PNSZ_IS14_E10value_typeET4_jRbjT5_S1A_jjP12ihipStream_tbEUljE_EEESV_SW_SX_S14_S18_S1A_T6_T7_T9_mT8_S1C_bDpT10_ENKUlT_T0_E_clISt17integral_constantIbLb0EES1O_IbLb1EEEEDaS1K_S1L_EUlS1K_E_NS1_11comp_targetILNS1_3genE9ELNS1_11target_archE1100ELNS1_3gpuE3ELNS1_3repE0EEENS1_30default_config_static_selectorELNS0_4arch9wavefront6targetE0EEEvSY_.has_indirect_call, 0
	.section	.AMDGPU.csdata,"",@progbits
; Kernel info:
; codeLenInByte = 0
; TotalNumSgprs: 0
; NumVgprs: 0
; ScratchSize: 0
; MemoryBound: 0
; FloatMode: 240
; IeeeMode: 1
; LDSByteSize: 0 bytes/workgroup (compile time only)
; SGPRBlocks: 0
; VGPRBlocks: 0
; NumSGPRsForWavesPerEU: 1
; NumVGPRsForWavesPerEU: 1
; NamedBarCnt: 0
; Occupancy: 16
; WaveLimiterHint : 0
; COMPUTE_PGM_RSRC2:SCRATCH_EN: 0
; COMPUTE_PGM_RSRC2:USER_SGPR: 2
; COMPUTE_PGM_RSRC2:TRAP_HANDLER: 0
; COMPUTE_PGM_RSRC2:TGID_X_EN: 1
; COMPUTE_PGM_RSRC2:TGID_Y_EN: 0
; COMPUTE_PGM_RSRC2:TGID_Z_EN: 0
; COMPUTE_PGM_RSRC2:TIDIG_COMP_CNT: 0
	.section	.text._ZN7rocprim17ROCPRIM_400000_NS6detail17trampoline_kernelINS0_13select_configILj256ELj13ELNS0_17block_load_methodE3ELS4_3ELS4_3ELNS0_20block_scan_algorithmE0ELj4294967295EEENS1_25partition_config_selectorILNS1_17partition_subalgoE3EjNS0_10empty_typeEbEEZZNS1_14partition_implILS8_3ELb0ES6_jNS0_17counting_iteratorIjlEEPS9_SE_NS0_5tupleIJPjSE_EEENSF_IJSE_SE_EEES9_SG_JZNS1_25segmented_radix_sort_implINS0_14default_configELb1EPKdPdPKlPlN2at6native12_GLOBAL__N_18offset_tEEE10hipError_tPvRmT1_PNSt15iterator_traitsISY_E10value_typeET2_T3_PNSZ_IS14_E10value_typeET4_jRbjT5_S1A_jjP12ihipStream_tbEUljE_EEESV_SW_SX_S14_S18_S1A_T6_T7_T9_mT8_S1C_bDpT10_ENKUlT_T0_E_clISt17integral_constantIbLb0EES1O_IbLb1EEEEDaS1K_S1L_EUlS1K_E_NS1_11comp_targetILNS1_3genE8ELNS1_11target_archE1030ELNS1_3gpuE2ELNS1_3repE0EEENS1_30default_config_static_selectorELNS0_4arch9wavefront6targetE0EEEvSY_,"axG",@progbits,_ZN7rocprim17ROCPRIM_400000_NS6detail17trampoline_kernelINS0_13select_configILj256ELj13ELNS0_17block_load_methodE3ELS4_3ELS4_3ELNS0_20block_scan_algorithmE0ELj4294967295EEENS1_25partition_config_selectorILNS1_17partition_subalgoE3EjNS0_10empty_typeEbEEZZNS1_14partition_implILS8_3ELb0ES6_jNS0_17counting_iteratorIjlEEPS9_SE_NS0_5tupleIJPjSE_EEENSF_IJSE_SE_EEES9_SG_JZNS1_25segmented_radix_sort_implINS0_14default_configELb1EPKdPdPKlPlN2at6native12_GLOBAL__N_18offset_tEEE10hipError_tPvRmT1_PNSt15iterator_traitsISY_E10value_typeET2_T3_PNSZ_IS14_E10value_typeET4_jRbjT5_S1A_jjP12ihipStream_tbEUljE_EEESV_SW_SX_S14_S18_S1A_T6_T7_T9_mT8_S1C_bDpT10_ENKUlT_T0_E_clISt17integral_constantIbLb0EES1O_IbLb1EEEEDaS1K_S1L_EUlS1K_E_NS1_11comp_targetILNS1_3genE8ELNS1_11target_archE1030ELNS1_3gpuE2ELNS1_3repE0EEENS1_30default_config_static_selectorELNS0_4arch9wavefront6targetE0EEEvSY_,comdat
	.globl	_ZN7rocprim17ROCPRIM_400000_NS6detail17trampoline_kernelINS0_13select_configILj256ELj13ELNS0_17block_load_methodE3ELS4_3ELS4_3ELNS0_20block_scan_algorithmE0ELj4294967295EEENS1_25partition_config_selectorILNS1_17partition_subalgoE3EjNS0_10empty_typeEbEEZZNS1_14partition_implILS8_3ELb0ES6_jNS0_17counting_iteratorIjlEEPS9_SE_NS0_5tupleIJPjSE_EEENSF_IJSE_SE_EEES9_SG_JZNS1_25segmented_radix_sort_implINS0_14default_configELb1EPKdPdPKlPlN2at6native12_GLOBAL__N_18offset_tEEE10hipError_tPvRmT1_PNSt15iterator_traitsISY_E10value_typeET2_T3_PNSZ_IS14_E10value_typeET4_jRbjT5_S1A_jjP12ihipStream_tbEUljE_EEESV_SW_SX_S14_S18_S1A_T6_T7_T9_mT8_S1C_bDpT10_ENKUlT_T0_E_clISt17integral_constantIbLb0EES1O_IbLb1EEEEDaS1K_S1L_EUlS1K_E_NS1_11comp_targetILNS1_3genE8ELNS1_11target_archE1030ELNS1_3gpuE2ELNS1_3repE0EEENS1_30default_config_static_selectorELNS0_4arch9wavefront6targetE0EEEvSY_ ; -- Begin function _ZN7rocprim17ROCPRIM_400000_NS6detail17trampoline_kernelINS0_13select_configILj256ELj13ELNS0_17block_load_methodE3ELS4_3ELS4_3ELNS0_20block_scan_algorithmE0ELj4294967295EEENS1_25partition_config_selectorILNS1_17partition_subalgoE3EjNS0_10empty_typeEbEEZZNS1_14partition_implILS8_3ELb0ES6_jNS0_17counting_iteratorIjlEEPS9_SE_NS0_5tupleIJPjSE_EEENSF_IJSE_SE_EEES9_SG_JZNS1_25segmented_radix_sort_implINS0_14default_configELb1EPKdPdPKlPlN2at6native12_GLOBAL__N_18offset_tEEE10hipError_tPvRmT1_PNSt15iterator_traitsISY_E10value_typeET2_T3_PNSZ_IS14_E10value_typeET4_jRbjT5_S1A_jjP12ihipStream_tbEUljE_EEESV_SW_SX_S14_S18_S1A_T6_T7_T9_mT8_S1C_bDpT10_ENKUlT_T0_E_clISt17integral_constantIbLb0EES1O_IbLb1EEEEDaS1K_S1L_EUlS1K_E_NS1_11comp_targetILNS1_3genE8ELNS1_11target_archE1030ELNS1_3gpuE2ELNS1_3repE0EEENS1_30default_config_static_selectorELNS0_4arch9wavefront6targetE0EEEvSY_
	.p2align	8
	.type	_ZN7rocprim17ROCPRIM_400000_NS6detail17trampoline_kernelINS0_13select_configILj256ELj13ELNS0_17block_load_methodE3ELS4_3ELS4_3ELNS0_20block_scan_algorithmE0ELj4294967295EEENS1_25partition_config_selectorILNS1_17partition_subalgoE3EjNS0_10empty_typeEbEEZZNS1_14partition_implILS8_3ELb0ES6_jNS0_17counting_iteratorIjlEEPS9_SE_NS0_5tupleIJPjSE_EEENSF_IJSE_SE_EEES9_SG_JZNS1_25segmented_radix_sort_implINS0_14default_configELb1EPKdPdPKlPlN2at6native12_GLOBAL__N_18offset_tEEE10hipError_tPvRmT1_PNSt15iterator_traitsISY_E10value_typeET2_T3_PNSZ_IS14_E10value_typeET4_jRbjT5_S1A_jjP12ihipStream_tbEUljE_EEESV_SW_SX_S14_S18_S1A_T6_T7_T9_mT8_S1C_bDpT10_ENKUlT_T0_E_clISt17integral_constantIbLb0EES1O_IbLb1EEEEDaS1K_S1L_EUlS1K_E_NS1_11comp_targetILNS1_3genE8ELNS1_11target_archE1030ELNS1_3gpuE2ELNS1_3repE0EEENS1_30default_config_static_selectorELNS0_4arch9wavefront6targetE0EEEvSY_,@function
_ZN7rocprim17ROCPRIM_400000_NS6detail17trampoline_kernelINS0_13select_configILj256ELj13ELNS0_17block_load_methodE3ELS4_3ELS4_3ELNS0_20block_scan_algorithmE0ELj4294967295EEENS1_25partition_config_selectorILNS1_17partition_subalgoE3EjNS0_10empty_typeEbEEZZNS1_14partition_implILS8_3ELb0ES6_jNS0_17counting_iteratorIjlEEPS9_SE_NS0_5tupleIJPjSE_EEENSF_IJSE_SE_EEES9_SG_JZNS1_25segmented_radix_sort_implINS0_14default_configELb1EPKdPdPKlPlN2at6native12_GLOBAL__N_18offset_tEEE10hipError_tPvRmT1_PNSt15iterator_traitsISY_E10value_typeET2_T3_PNSZ_IS14_E10value_typeET4_jRbjT5_S1A_jjP12ihipStream_tbEUljE_EEESV_SW_SX_S14_S18_S1A_T6_T7_T9_mT8_S1C_bDpT10_ENKUlT_T0_E_clISt17integral_constantIbLb0EES1O_IbLb1EEEEDaS1K_S1L_EUlS1K_E_NS1_11comp_targetILNS1_3genE8ELNS1_11target_archE1030ELNS1_3gpuE2ELNS1_3repE0EEENS1_30default_config_static_selectorELNS0_4arch9wavefront6targetE0EEEvSY_: ; @_ZN7rocprim17ROCPRIM_400000_NS6detail17trampoline_kernelINS0_13select_configILj256ELj13ELNS0_17block_load_methodE3ELS4_3ELS4_3ELNS0_20block_scan_algorithmE0ELj4294967295EEENS1_25partition_config_selectorILNS1_17partition_subalgoE3EjNS0_10empty_typeEbEEZZNS1_14partition_implILS8_3ELb0ES6_jNS0_17counting_iteratorIjlEEPS9_SE_NS0_5tupleIJPjSE_EEENSF_IJSE_SE_EEES9_SG_JZNS1_25segmented_radix_sort_implINS0_14default_configELb1EPKdPdPKlPlN2at6native12_GLOBAL__N_18offset_tEEE10hipError_tPvRmT1_PNSt15iterator_traitsISY_E10value_typeET2_T3_PNSZ_IS14_E10value_typeET4_jRbjT5_S1A_jjP12ihipStream_tbEUljE_EEESV_SW_SX_S14_S18_S1A_T6_T7_T9_mT8_S1C_bDpT10_ENKUlT_T0_E_clISt17integral_constantIbLb0EES1O_IbLb1EEEEDaS1K_S1L_EUlS1K_E_NS1_11comp_targetILNS1_3genE8ELNS1_11target_archE1030ELNS1_3gpuE2ELNS1_3repE0EEENS1_30default_config_static_selectorELNS0_4arch9wavefront6targetE0EEEvSY_
; %bb.0:
	.section	.rodata,"a",@progbits
	.p2align	6, 0x0
	.amdhsa_kernel _ZN7rocprim17ROCPRIM_400000_NS6detail17trampoline_kernelINS0_13select_configILj256ELj13ELNS0_17block_load_methodE3ELS4_3ELS4_3ELNS0_20block_scan_algorithmE0ELj4294967295EEENS1_25partition_config_selectorILNS1_17partition_subalgoE3EjNS0_10empty_typeEbEEZZNS1_14partition_implILS8_3ELb0ES6_jNS0_17counting_iteratorIjlEEPS9_SE_NS0_5tupleIJPjSE_EEENSF_IJSE_SE_EEES9_SG_JZNS1_25segmented_radix_sort_implINS0_14default_configELb1EPKdPdPKlPlN2at6native12_GLOBAL__N_18offset_tEEE10hipError_tPvRmT1_PNSt15iterator_traitsISY_E10value_typeET2_T3_PNSZ_IS14_E10value_typeET4_jRbjT5_S1A_jjP12ihipStream_tbEUljE_EEESV_SW_SX_S14_S18_S1A_T6_T7_T9_mT8_S1C_bDpT10_ENKUlT_T0_E_clISt17integral_constantIbLb0EES1O_IbLb1EEEEDaS1K_S1L_EUlS1K_E_NS1_11comp_targetILNS1_3genE8ELNS1_11target_archE1030ELNS1_3gpuE2ELNS1_3repE0EEENS1_30default_config_static_selectorELNS0_4arch9wavefront6targetE0EEEvSY_
		.amdhsa_group_segment_fixed_size 0
		.amdhsa_private_segment_fixed_size 0
		.amdhsa_kernarg_size 152
		.amdhsa_user_sgpr_count 2
		.amdhsa_user_sgpr_dispatch_ptr 0
		.amdhsa_user_sgpr_queue_ptr 0
		.amdhsa_user_sgpr_kernarg_segment_ptr 1
		.amdhsa_user_sgpr_dispatch_id 0
		.amdhsa_user_sgpr_kernarg_preload_length 0
		.amdhsa_user_sgpr_kernarg_preload_offset 0
		.amdhsa_user_sgpr_private_segment_size 0
		.amdhsa_wavefront_size32 1
		.amdhsa_uses_dynamic_stack 0
		.amdhsa_enable_private_segment 0
		.amdhsa_system_sgpr_workgroup_id_x 1
		.amdhsa_system_sgpr_workgroup_id_y 0
		.amdhsa_system_sgpr_workgroup_id_z 0
		.amdhsa_system_sgpr_workgroup_info 0
		.amdhsa_system_vgpr_workitem_id 0
		.amdhsa_next_free_vgpr 1
		.amdhsa_next_free_sgpr 1
		.amdhsa_named_barrier_count 0
		.amdhsa_reserve_vcc 0
		.amdhsa_float_round_mode_32 0
		.amdhsa_float_round_mode_16_64 0
		.amdhsa_float_denorm_mode_32 3
		.amdhsa_float_denorm_mode_16_64 3
		.amdhsa_fp16_overflow 0
		.amdhsa_memory_ordered 1
		.amdhsa_forward_progress 1
		.amdhsa_inst_pref_size 0
		.amdhsa_round_robin_scheduling 0
		.amdhsa_exception_fp_ieee_invalid_op 0
		.amdhsa_exception_fp_denorm_src 0
		.amdhsa_exception_fp_ieee_div_zero 0
		.amdhsa_exception_fp_ieee_overflow 0
		.amdhsa_exception_fp_ieee_underflow 0
		.amdhsa_exception_fp_ieee_inexact 0
		.amdhsa_exception_int_div_zero 0
	.end_amdhsa_kernel
	.section	.text._ZN7rocprim17ROCPRIM_400000_NS6detail17trampoline_kernelINS0_13select_configILj256ELj13ELNS0_17block_load_methodE3ELS4_3ELS4_3ELNS0_20block_scan_algorithmE0ELj4294967295EEENS1_25partition_config_selectorILNS1_17partition_subalgoE3EjNS0_10empty_typeEbEEZZNS1_14partition_implILS8_3ELb0ES6_jNS0_17counting_iteratorIjlEEPS9_SE_NS0_5tupleIJPjSE_EEENSF_IJSE_SE_EEES9_SG_JZNS1_25segmented_radix_sort_implINS0_14default_configELb1EPKdPdPKlPlN2at6native12_GLOBAL__N_18offset_tEEE10hipError_tPvRmT1_PNSt15iterator_traitsISY_E10value_typeET2_T3_PNSZ_IS14_E10value_typeET4_jRbjT5_S1A_jjP12ihipStream_tbEUljE_EEESV_SW_SX_S14_S18_S1A_T6_T7_T9_mT8_S1C_bDpT10_ENKUlT_T0_E_clISt17integral_constantIbLb0EES1O_IbLb1EEEEDaS1K_S1L_EUlS1K_E_NS1_11comp_targetILNS1_3genE8ELNS1_11target_archE1030ELNS1_3gpuE2ELNS1_3repE0EEENS1_30default_config_static_selectorELNS0_4arch9wavefront6targetE0EEEvSY_,"axG",@progbits,_ZN7rocprim17ROCPRIM_400000_NS6detail17trampoline_kernelINS0_13select_configILj256ELj13ELNS0_17block_load_methodE3ELS4_3ELS4_3ELNS0_20block_scan_algorithmE0ELj4294967295EEENS1_25partition_config_selectorILNS1_17partition_subalgoE3EjNS0_10empty_typeEbEEZZNS1_14partition_implILS8_3ELb0ES6_jNS0_17counting_iteratorIjlEEPS9_SE_NS0_5tupleIJPjSE_EEENSF_IJSE_SE_EEES9_SG_JZNS1_25segmented_radix_sort_implINS0_14default_configELb1EPKdPdPKlPlN2at6native12_GLOBAL__N_18offset_tEEE10hipError_tPvRmT1_PNSt15iterator_traitsISY_E10value_typeET2_T3_PNSZ_IS14_E10value_typeET4_jRbjT5_S1A_jjP12ihipStream_tbEUljE_EEESV_SW_SX_S14_S18_S1A_T6_T7_T9_mT8_S1C_bDpT10_ENKUlT_T0_E_clISt17integral_constantIbLb0EES1O_IbLb1EEEEDaS1K_S1L_EUlS1K_E_NS1_11comp_targetILNS1_3genE8ELNS1_11target_archE1030ELNS1_3gpuE2ELNS1_3repE0EEENS1_30default_config_static_selectorELNS0_4arch9wavefront6targetE0EEEvSY_,comdat
.Lfunc_end1111:
	.size	_ZN7rocprim17ROCPRIM_400000_NS6detail17trampoline_kernelINS0_13select_configILj256ELj13ELNS0_17block_load_methodE3ELS4_3ELS4_3ELNS0_20block_scan_algorithmE0ELj4294967295EEENS1_25partition_config_selectorILNS1_17partition_subalgoE3EjNS0_10empty_typeEbEEZZNS1_14partition_implILS8_3ELb0ES6_jNS0_17counting_iteratorIjlEEPS9_SE_NS0_5tupleIJPjSE_EEENSF_IJSE_SE_EEES9_SG_JZNS1_25segmented_radix_sort_implINS0_14default_configELb1EPKdPdPKlPlN2at6native12_GLOBAL__N_18offset_tEEE10hipError_tPvRmT1_PNSt15iterator_traitsISY_E10value_typeET2_T3_PNSZ_IS14_E10value_typeET4_jRbjT5_S1A_jjP12ihipStream_tbEUljE_EEESV_SW_SX_S14_S18_S1A_T6_T7_T9_mT8_S1C_bDpT10_ENKUlT_T0_E_clISt17integral_constantIbLb0EES1O_IbLb1EEEEDaS1K_S1L_EUlS1K_E_NS1_11comp_targetILNS1_3genE8ELNS1_11target_archE1030ELNS1_3gpuE2ELNS1_3repE0EEENS1_30default_config_static_selectorELNS0_4arch9wavefront6targetE0EEEvSY_, .Lfunc_end1111-_ZN7rocprim17ROCPRIM_400000_NS6detail17trampoline_kernelINS0_13select_configILj256ELj13ELNS0_17block_load_methodE3ELS4_3ELS4_3ELNS0_20block_scan_algorithmE0ELj4294967295EEENS1_25partition_config_selectorILNS1_17partition_subalgoE3EjNS0_10empty_typeEbEEZZNS1_14partition_implILS8_3ELb0ES6_jNS0_17counting_iteratorIjlEEPS9_SE_NS0_5tupleIJPjSE_EEENSF_IJSE_SE_EEES9_SG_JZNS1_25segmented_radix_sort_implINS0_14default_configELb1EPKdPdPKlPlN2at6native12_GLOBAL__N_18offset_tEEE10hipError_tPvRmT1_PNSt15iterator_traitsISY_E10value_typeET2_T3_PNSZ_IS14_E10value_typeET4_jRbjT5_S1A_jjP12ihipStream_tbEUljE_EEESV_SW_SX_S14_S18_S1A_T6_T7_T9_mT8_S1C_bDpT10_ENKUlT_T0_E_clISt17integral_constantIbLb0EES1O_IbLb1EEEEDaS1K_S1L_EUlS1K_E_NS1_11comp_targetILNS1_3genE8ELNS1_11target_archE1030ELNS1_3gpuE2ELNS1_3repE0EEENS1_30default_config_static_selectorELNS0_4arch9wavefront6targetE0EEEvSY_
                                        ; -- End function
	.set _ZN7rocprim17ROCPRIM_400000_NS6detail17trampoline_kernelINS0_13select_configILj256ELj13ELNS0_17block_load_methodE3ELS4_3ELS4_3ELNS0_20block_scan_algorithmE0ELj4294967295EEENS1_25partition_config_selectorILNS1_17partition_subalgoE3EjNS0_10empty_typeEbEEZZNS1_14partition_implILS8_3ELb0ES6_jNS0_17counting_iteratorIjlEEPS9_SE_NS0_5tupleIJPjSE_EEENSF_IJSE_SE_EEES9_SG_JZNS1_25segmented_radix_sort_implINS0_14default_configELb1EPKdPdPKlPlN2at6native12_GLOBAL__N_18offset_tEEE10hipError_tPvRmT1_PNSt15iterator_traitsISY_E10value_typeET2_T3_PNSZ_IS14_E10value_typeET4_jRbjT5_S1A_jjP12ihipStream_tbEUljE_EEESV_SW_SX_S14_S18_S1A_T6_T7_T9_mT8_S1C_bDpT10_ENKUlT_T0_E_clISt17integral_constantIbLb0EES1O_IbLb1EEEEDaS1K_S1L_EUlS1K_E_NS1_11comp_targetILNS1_3genE8ELNS1_11target_archE1030ELNS1_3gpuE2ELNS1_3repE0EEENS1_30default_config_static_selectorELNS0_4arch9wavefront6targetE0EEEvSY_.num_vgpr, 0
	.set _ZN7rocprim17ROCPRIM_400000_NS6detail17trampoline_kernelINS0_13select_configILj256ELj13ELNS0_17block_load_methodE3ELS4_3ELS4_3ELNS0_20block_scan_algorithmE0ELj4294967295EEENS1_25partition_config_selectorILNS1_17partition_subalgoE3EjNS0_10empty_typeEbEEZZNS1_14partition_implILS8_3ELb0ES6_jNS0_17counting_iteratorIjlEEPS9_SE_NS0_5tupleIJPjSE_EEENSF_IJSE_SE_EEES9_SG_JZNS1_25segmented_radix_sort_implINS0_14default_configELb1EPKdPdPKlPlN2at6native12_GLOBAL__N_18offset_tEEE10hipError_tPvRmT1_PNSt15iterator_traitsISY_E10value_typeET2_T3_PNSZ_IS14_E10value_typeET4_jRbjT5_S1A_jjP12ihipStream_tbEUljE_EEESV_SW_SX_S14_S18_S1A_T6_T7_T9_mT8_S1C_bDpT10_ENKUlT_T0_E_clISt17integral_constantIbLb0EES1O_IbLb1EEEEDaS1K_S1L_EUlS1K_E_NS1_11comp_targetILNS1_3genE8ELNS1_11target_archE1030ELNS1_3gpuE2ELNS1_3repE0EEENS1_30default_config_static_selectorELNS0_4arch9wavefront6targetE0EEEvSY_.num_agpr, 0
	.set _ZN7rocprim17ROCPRIM_400000_NS6detail17trampoline_kernelINS0_13select_configILj256ELj13ELNS0_17block_load_methodE3ELS4_3ELS4_3ELNS0_20block_scan_algorithmE0ELj4294967295EEENS1_25partition_config_selectorILNS1_17partition_subalgoE3EjNS0_10empty_typeEbEEZZNS1_14partition_implILS8_3ELb0ES6_jNS0_17counting_iteratorIjlEEPS9_SE_NS0_5tupleIJPjSE_EEENSF_IJSE_SE_EEES9_SG_JZNS1_25segmented_radix_sort_implINS0_14default_configELb1EPKdPdPKlPlN2at6native12_GLOBAL__N_18offset_tEEE10hipError_tPvRmT1_PNSt15iterator_traitsISY_E10value_typeET2_T3_PNSZ_IS14_E10value_typeET4_jRbjT5_S1A_jjP12ihipStream_tbEUljE_EEESV_SW_SX_S14_S18_S1A_T6_T7_T9_mT8_S1C_bDpT10_ENKUlT_T0_E_clISt17integral_constantIbLb0EES1O_IbLb1EEEEDaS1K_S1L_EUlS1K_E_NS1_11comp_targetILNS1_3genE8ELNS1_11target_archE1030ELNS1_3gpuE2ELNS1_3repE0EEENS1_30default_config_static_selectorELNS0_4arch9wavefront6targetE0EEEvSY_.numbered_sgpr, 0
	.set _ZN7rocprim17ROCPRIM_400000_NS6detail17trampoline_kernelINS0_13select_configILj256ELj13ELNS0_17block_load_methodE3ELS4_3ELS4_3ELNS0_20block_scan_algorithmE0ELj4294967295EEENS1_25partition_config_selectorILNS1_17partition_subalgoE3EjNS0_10empty_typeEbEEZZNS1_14partition_implILS8_3ELb0ES6_jNS0_17counting_iteratorIjlEEPS9_SE_NS0_5tupleIJPjSE_EEENSF_IJSE_SE_EEES9_SG_JZNS1_25segmented_radix_sort_implINS0_14default_configELb1EPKdPdPKlPlN2at6native12_GLOBAL__N_18offset_tEEE10hipError_tPvRmT1_PNSt15iterator_traitsISY_E10value_typeET2_T3_PNSZ_IS14_E10value_typeET4_jRbjT5_S1A_jjP12ihipStream_tbEUljE_EEESV_SW_SX_S14_S18_S1A_T6_T7_T9_mT8_S1C_bDpT10_ENKUlT_T0_E_clISt17integral_constantIbLb0EES1O_IbLb1EEEEDaS1K_S1L_EUlS1K_E_NS1_11comp_targetILNS1_3genE8ELNS1_11target_archE1030ELNS1_3gpuE2ELNS1_3repE0EEENS1_30default_config_static_selectorELNS0_4arch9wavefront6targetE0EEEvSY_.num_named_barrier, 0
	.set _ZN7rocprim17ROCPRIM_400000_NS6detail17trampoline_kernelINS0_13select_configILj256ELj13ELNS0_17block_load_methodE3ELS4_3ELS4_3ELNS0_20block_scan_algorithmE0ELj4294967295EEENS1_25partition_config_selectorILNS1_17partition_subalgoE3EjNS0_10empty_typeEbEEZZNS1_14partition_implILS8_3ELb0ES6_jNS0_17counting_iteratorIjlEEPS9_SE_NS0_5tupleIJPjSE_EEENSF_IJSE_SE_EEES9_SG_JZNS1_25segmented_radix_sort_implINS0_14default_configELb1EPKdPdPKlPlN2at6native12_GLOBAL__N_18offset_tEEE10hipError_tPvRmT1_PNSt15iterator_traitsISY_E10value_typeET2_T3_PNSZ_IS14_E10value_typeET4_jRbjT5_S1A_jjP12ihipStream_tbEUljE_EEESV_SW_SX_S14_S18_S1A_T6_T7_T9_mT8_S1C_bDpT10_ENKUlT_T0_E_clISt17integral_constantIbLb0EES1O_IbLb1EEEEDaS1K_S1L_EUlS1K_E_NS1_11comp_targetILNS1_3genE8ELNS1_11target_archE1030ELNS1_3gpuE2ELNS1_3repE0EEENS1_30default_config_static_selectorELNS0_4arch9wavefront6targetE0EEEvSY_.private_seg_size, 0
	.set _ZN7rocprim17ROCPRIM_400000_NS6detail17trampoline_kernelINS0_13select_configILj256ELj13ELNS0_17block_load_methodE3ELS4_3ELS4_3ELNS0_20block_scan_algorithmE0ELj4294967295EEENS1_25partition_config_selectorILNS1_17partition_subalgoE3EjNS0_10empty_typeEbEEZZNS1_14partition_implILS8_3ELb0ES6_jNS0_17counting_iteratorIjlEEPS9_SE_NS0_5tupleIJPjSE_EEENSF_IJSE_SE_EEES9_SG_JZNS1_25segmented_radix_sort_implINS0_14default_configELb1EPKdPdPKlPlN2at6native12_GLOBAL__N_18offset_tEEE10hipError_tPvRmT1_PNSt15iterator_traitsISY_E10value_typeET2_T3_PNSZ_IS14_E10value_typeET4_jRbjT5_S1A_jjP12ihipStream_tbEUljE_EEESV_SW_SX_S14_S18_S1A_T6_T7_T9_mT8_S1C_bDpT10_ENKUlT_T0_E_clISt17integral_constantIbLb0EES1O_IbLb1EEEEDaS1K_S1L_EUlS1K_E_NS1_11comp_targetILNS1_3genE8ELNS1_11target_archE1030ELNS1_3gpuE2ELNS1_3repE0EEENS1_30default_config_static_selectorELNS0_4arch9wavefront6targetE0EEEvSY_.uses_vcc, 0
	.set _ZN7rocprim17ROCPRIM_400000_NS6detail17trampoline_kernelINS0_13select_configILj256ELj13ELNS0_17block_load_methodE3ELS4_3ELS4_3ELNS0_20block_scan_algorithmE0ELj4294967295EEENS1_25partition_config_selectorILNS1_17partition_subalgoE3EjNS0_10empty_typeEbEEZZNS1_14partition_implILS8_3ELb0ES6_jNS0_17counting_iteratorIjlEEPS9_SE_NS0_5tupleIJPjSE_EEENSF_IJSE_SE_EEES9_SG_JZNS1_25segmented_radix_sort_implINS0_14default_configELb1EPKdPdPKlPlN2at6native12_GLOBAL__N_18offset_tEEE10hipError_tPvRmT1_PNSt15iterator_traitsISY_E10value_typeET2_T3_PNSZ_IS14_E10value_typeET4_jRbjT5_S1A_jjP12ihipStream_tbEUljE_EEESV_SW_SX_S14_S18_S1A_T6_T7_T9_mT8_S1C_bDpT10_ENKUlT_T0_E_clISt17integral_constantIbLb0EES1O_IbLb1EEEEDaS1K_S1L_EUlS1K_E_NS1_11comp_targetILNS1_3genE8ELNS1_11target_archE1030ELNS1_3gpuE2ELNS1_3repE0EEENS1_30default_config_static_selectorELNS0_4arch9wavefront6targetE0EEEvSY_.uses_flat_scratch, 0
	.set _ZN7rocprim17ROCPRIM_400000_NS6detail17trampoline_kernelINS0_13select_configILj256ELj13ELNS0_17block_load_methodE3ELS4_3ELS4_3ELNS0_20block_scan_algorithmE0ELj4294967295EEENS1_25partition_config_selectorILNS1_17partition_subalgoE3EjNS0_10empty_typeEbEEZZNS1_14partition_implILS8_3ELb0ES6_jNS0_17counting_iteratorIjlEEPS9_SE_NS0_5tupleIJPjSE_EEENSF_IJSE_SE_EEES9_SG_JZNS1_25segmented_radix_sort_implINS0_14default_configELb1EPKdPdPKlPlN2at6native12_GLOBAL__N_18offset_tEEE10hipError_tPvRmT1_PNSt15iterator_traitsISY_E10value_typeET2_T3_PNSZ_IS14_E10value_typeET4_jRbjT5_S1A_jjP12ihipStream_tbEUljE_EEESV_SW_SX_S14_S18_S1A_T6_T7_T9_mT8_S1C_bDpT10_ENKUlT_T0_E_clISt17integral_constantIbLb0EES1O_IbLb1EEEEDaS1K_S1L_EUlS1K_E_NS1_11comp_targetILNS1_3genE8ELNS1_11target_archE1030ELNS1_3gpuE2ELNS1_3repE0EEENS1_30default_config_static_selectorELNS0_4arch9wavefront6targetE0EEEvSY_.has_dyn_sized_stack, 0
	.set _ZN7rocprim17ROCPRIM_400000_NS6detail17trampoline_kernelINS0_13select_configILj256ELj13ELNS0_17block_load_methodE3ELS4_3ELS4_3ELNS0_20block_scan_algorithmE0ELj4294967295EEENS1_25partition_config_selectorILNS1_17partition_subalgoE3EjNS0_10empty_typeEbEEZZNS1_14partition_implILS8_3ELb0ES6_jNS0_17counting_iteratorIjlEEPS9_SE_NS0_5tupleIJPjSE_EEENSF_IJSE_SE_EEES9_SG_JZNS1_25segmented_radix_sort_implINS0_14default_configELb1EPKdPdPKlPlN2at6native12_GLOBAL__N_18offset_tEEE10hipError_tPvRmT1_PNSt15iterator_traitsISY_E10value_typeET2_T3_PNSZ_IS14_E10value_typeET4_jRbjT5_S1A_jjP12ihipStream_tbEUljE_EEESV_SW_SX_S14_S18_S1A_T6_T7_T9_mT8_S1C_bDpT10_ENKUlT_T0_E_clISt17integral_constantIbLb0EES1O_IbLb1EEEEDaS1K_S1L_EUlS1K_E_NS1_11comp_targetILNS1_3genE8ELNS1_11target_archE1030ELNS1_3gpuE2ELNS1_3repE0EEENS1_30default_config_static_selectorELNS0_4arch9wavefront6targetE0EEEvSY_.has_recursion, 0
	.set _ZN7rocprim17ROCPRIM_400000_NS6detail17trampoline_kernelINS0_13select_configILj256ELj13ELNS0_17block_load_methodE3ELS4_3ELS4_3ELNS0_20block_scan_algorithmE0ELj4294967295EEENS1_25partition_config_selectorILNS1_17partition_subalgoE3EjNS0_10empty_typeEbEEZZNS1_14partition_implILS8_3ELb0ES6_jNS0_17counting_iteratorIjlEEPS9_SE_NS0_5tupleIJPjSE_EEENSF_IJSE_SE_EEES9_SG_JZNS1_25segmented_radix_sort_implINS0_14default_configELb1EPKdPdPKlPlN2at6native12_GLOBAL__N_18offset_tEEE10hipError_tPvRmT1_PNSt15iterator_traitsISY_E10value_typeET2_T3_PNSZ_IS14_E10value_typeET4_jRbjT5_S1A_jjP12ihipStream_tbEUljE_EEESV_SW_SX_S14_S18_S1A_T6_T7_T9_mT8_S1C_bDpT10_ENKUlT_T0_E_clISt17integral_constantIbLb0EES1O_IbLb1EEEEDaS1K_S1L_EUlS1K_E_NS1_11comp_targetILNS1_3genE8ELNS1_11target_archE1030ELNS1_3gpuE2ELNS1_3repE0EEENS1_30default_config_static_selectorELNS0_4arch9wavefront6targetE0EEEvSY_.has_indirect_call, 0
	.section	.AMDGPU.csdata,"",@progbits
; Kernel info:
; codeLenInByte = 0
; TotalNumSgprs: 0
; NumVgprs: 0
; ScratchSize: 0
; MemoryBound: 0
; FloatMode: 240
; IeeeMode: 1
; LDSByteSize: 0 bytes/workgroup (compile time only)
; SGPRBlocks: 0
; VGPRBlocks: 0
; NumSGPRsForWavesPerEU: 1
; NumVGPRsForWavesPerEU: 1
; NamedBarCnt: 0
; Occupancy: 16
; WaveLimiterHint : 0
; COMPUTE_PGM_RSRC2:SCRATCH_EN: 0
; COMPUTE_PGM_RSRC2:USER_SGPR: 2
; COMPUTE_PGM_RSRC2:TRAP_HANDLER: 0
; COMPUTE_PGM_RSRC2:TGID_X_EN: 1
; COMPUTE_PGM_RSRC2:TGID_Y_EN: 0
; COMPUTE_PGM_RSRC2:TGID_Z_EN: 0
; COMPUTE_PGM_RSRC2:TIDIG_COMP_CNT: 0
	.text
	.p2align	2                               ; -- Begin function _ZN7rocprim17ROCPRIM_400000_NS6detail40segmented_radix_sort_single_block_helperIdlLj256ELj16ELb1EE4sortIPKdPdPKlPlEEbT_T0_T1_T2_jjjjRNS3_12storage_typeE
	.type	_ZN7rocprim17ROCPRIM_400000_NS6detail40segmented_radix_sort_single_block_helperIdlLj256ELj16ELb1EE4sortIPKdPdPKlPlEEbT_T0_T1_T2_jjjjRNS3_12storage_typeE,@function
_ZN7rocprim17ROCPRIM_400000_NS6detail40segmented_radix_sort_single_block_helperIdlLj256ELj16ELb1EE4sortIPKdPdPKlPlEEbT_T0_T1_T2_jjjjRNS3_12storage_typeE: ; @_ZN7rocprim17ROCPRIM_400000_NS6detail40segmented_radix_sort_single_block_helperIdlLj256ELj16ELb1EE4sortIPKdPdPKlPlEEbT_T0_T1_T2_jjjjRNS3_12storage_typeE
; %bb.0:
	s_wait_loadcnt_dscnt 0x0
	s_wait_kmcnt 0x0
	s_set_vgpr_msb 64                       ;  msbs: dst=1 src0=0 src1=0 src2=0
	v_sub_nc_u32_e32 v34 /*v290*/, v9, v8
	s_mov_b32 s24, exec_lo
	s_set_vgpr_msb 4                        ;  msbs: dst=0 src0=0 src1=1 src2=0
	s_delay_alu instid0(VALU_DEP_1)
	v_cmpx_gt_u32_e32 0x1001, v34 /*v290*/
	s_set_vgpr_msb 0                        ;  msbs: dst=0 src0=0 src1=0 src2=0
	s_cbranch_execz .LBB1112_372
; %bb.1:
	v_bfe_u32 v9, v31, 10, 10
	v_bfe_u32 v14, v31, 20, 10
	v_and_b32_e32 v22, 0x3ff, v31
	s_set_vgpr_msb 64                       ;  msbs: dst=1 src0=0 src1=0 src2=0
	v_mbcnt_lo_u32_b32 v2 /*v258*/, -1, 0
	s_getreg_b32 s25, hwreg(HW_REG_IB_STS2, 6, 4)
	s_mov_b32 s0, exec_lo
	s_set_vgpr_msb 4                        ;  msbs: dst=0 src0=0 src1=1 src2=0
	v_cmpx_lt_u32_e32 0x800, v34 /*v290*/
	s_xor_b32 s26, exec_lo, s0
	s_set_vgpr_msb 0                        ;  msbs: dst=0 src0=0 src1=0 src2=0
	s_cbranch_execz .LBB1112_143
; %bb.2:
	s_load_b64 s[0:1], s[8:9], 0x0
	s_bfe_u32 s3, ttmp6, 0x4000c
	s_bfe_u32 s5, ttmp6, 0x40010
	s_and_b32 s4, ttmp7, 0xffff
	s_add_co_i32 s3, s3, 1
	s_add_co_i32 s5, s5, 1
	s_and_b32 s2, ttmp6, 15
	s_bfe_u32 s6, ttmp6, 0x40004
	s_mul_i32 s3, ttmp9, s3
	s_mul_i32 s5, s4, s5
	s_add_co_i32 s2, s2, s3
	s_add_co_i32 s6, s6, s5
	s_cmp_eq_u32 s25, 0
	v_mov_b64_e32 v[20:21], -1
	s_cselect_b32 s2, ttmp9, s2
	s_cselect_b32 s3, s4, s6
	s_wait_kmcnt 0x0
	s_cmp_lt_u32 s2, s0
	s_cselect_b32 s0, 12, 18
	s_cmp_lt_u32 s3, s1
	s_mov_b32 s1, 0
	s_cselect_b32 s2, 14, 20
	s_mov_b32 s3, s1
	s_add_nc_u64 s[0:1], s[8:9], s[0:1]
	s_add_nc_u64 s[2:3], s[8:9], s[2:3]
	s_clause 0x1
	s_load_u16 s0, s[0:1], 0x0
	s_nop 0
	s_load_u16 s2, s[2:3], 0x0
	s_wait_kmcnt 0x0
	v_mad_u32_u24 v9, v14, s2, v9
	s_delay_alu instid0(VALU_DEP_1) | instskip(NEXT) | instid1(VALU_DEP_1)
	v_mad_u32 v38, v9, s0, v22
	v_dual_mov_b32 v9, 0 :: v_dual_lshlrev_b32 v14, 4, v38
	s_delay_alu instid0(VALU_DEP_1)
	v_lshl_add_u64 v[0:1], v[8:9], 3, v[0:1]
	s_set_vgpr_msb 4                        ;  msbs: dst=0 src0=0 src1=1 src2=0
	v_dual_mov_b32 v65, v9 :: v_dual_lshlrev_b32 v64, 3, v2 /*v258*/
	s_set_vgpr_msb 0                        ;  msbs: dst=0 src0=0 src1=0 src2=0
	v_and_b32_e32 v66, 0xfffffe00, v14
	v_mov_b32_e32 v67, v9
	s_delay_alu instid0(VALU_DEP_3) | instskip(SKIP_3) | instid1(VALU_DEP_3)
	v_add_nc_u64_e32 v[14:15], v[0:1], v[64:65]
	v_mov_b64_e32 v[0:1], -1
	s_set_vgpr_msb 4                        ;  msbs: dst=0 src0=0 src1=1 src2=0
	v_or_b32_e32 v23, v66, v2 /*v258*/
	v_lshl_add_u64 v[68:69], v[66:67], 3, v[14:15]
	s_delay_alu instid0(VALU_DEP_2)
	v_cmp_lt_u32_e32 vcc_lo, v23, v34 /*v290*/
	s_and_saveexec_b32 s0, vcc_lo
	s_set_vgpr_msb 0                        ;  msbs: dst=0 src0=0 src1=0 src2=0
	s_cbranch_execz .LBB1112_4
; %bb.3:
	flat_load_b64 v[20:21], v[68:69]
.LBB1112_4:
	s_wait_xcnt 0x0
	s_or_b32 exec_lo, exec_lo, s0
	v_or_b32_e32 v14, 32, v23
	s_set_vgpr_msb 4                        ;  msbs: dst=0 src0=0 src1=1 src2=0
	s_delay_alu instid0(VALU_DEP_1)
	v_cmp_lt_u32_e64 s0, v14, v34 /*v290*/
	s_and_saveexec_b32 s1, s0
	s_set_vgpr_msb 0                        ;  msbs: dst=0 src0=0 src1=0 src2=0
	s_cbranch_execz .LBB1112_6
; %bb.5:
	flat_load_b64 v[0:1], v[68:69] offset:256
.LBB1112_6:
	s_wait_xcnt 0x0
	s_or_b32 exec_lo, exec_lo, s1
	v_or_b32_e32 v18, 64, v23
	v_mov_b64_e32 v[14:15], -1
	v_mov_b64_e32 v[16:17], -1
	s_set_vgpr_msb 4                        ;  msbs: dst=0 src0=0 src1=1 src2=0
	s_delay_alu instid0(VALU_DEP_3)
	v_cmp_lt_u32_e64 s1, v18, v34 /*v290*/
	s_and_saveexec_b32 s2, s1
	s_set_vgpr_msb 0                        ;  msbs: dst=0 src0=0 src1=0 src2=0
	s_cbranch_execz .LBB1112_8
; %bb.7:
	flat_load_b64 v[16:17], v[68:69] offset:512
.LBB1112_8:
	s_wait_xcnt 0x0
	s_or_b32 exec_lo, exec_lo, s2
	v_or_b32_e32 v18, 0x60, v23
	s_set_vgpr_msb 4                        ;  msbs: dst=0 src0=0 src1=1 src2=0
	s_delay_alu instid0(VALU_DEP_1)
	v_cmp_lt_u32_e64 s2, v18, v34 /*v290*/
	s_and_saveexec_b32 s3, s2
	s_set_vgpr_msb 0                        ;  msbs: dst=0 src0=0 src1=0 src2=0
	s_cbranch_execz .LBB1112_10
; %bb.9:
	flat_load_b64 v[14:15], v[68:69] offset:768
.LBB1112_10:
	s_wait_xcnt 0x0
	s_or_b32 exec_lo, exec_lo, s3
	v_or_b32_e32 v24, 0x80, v23
	v_mov_b64_e32 v[18:19], -1
	v_mov_b64_e32 v[34:35], -1
	s_set_vgpr_msb 4                        ;  msbs: dst=0 src0=0 src1=1 src2=0
	s_delay_alu instid0(VALU_DEP_3)
	v_cmp_lt_u32_e64 s3, v24, v34 /*v290*/
	s_and_saveexec_b32 s4, s3
	s_set_vgpr_msb 0                        ;  msbs: dst=0 src0=0 src1=0 src2=0
	s_cbranch_execz .LBB1112_12
; %bb.11:
	flat_load_b64 v[34:35], v[68:69] offset:1024
.LBB1112_12:
	;; [unrolled: 26-line block ×7, first 2 shown]
	s_wait_xcnt 0x0
	s_or_b32 exec_lo, exec_lo, s16
	v_or_b32_e32 v23, 0x1e0, v23
	s_set_vgpr_msb 4                        ;  msbs: dst=0 src0=0 src1=1 src2=0
	s_delay_alu instid0(VALU_DEP_1)
	v_cmp_lt_u32_e64 s16, v23, v34 /*v290*/
	s_and_saveexec_b32 s17, s16
	s_set_vgpr_msb 0                        ;  msbs: dst=0 src0=0 src1=0 src2=0
	s_cbranch_execz .LBB1112_34
; %bb.33:
	flat_load_b64 v[48:49], v[68:69] offset:3840
.LBB1112_34:
	s_wait_xcnt 0x0
	s_or_b32 exec_lo, exec_lo, s17
	v_lshl_add_u64 v[4:5], v[8:9], 3, v[4:5]
	v_mov_b32_e32 v65, 0
                                        ; implicit-def: $vgpr132_vgpr133
	s_delay_alu instid0(VALU_DEP_1) | instskip(NEXT) | instid1(VALU_DEP_1)
	v_add_nc_u64_e32 v[4:5], v[4:5], v[64:65]
	v_lshl_add_u64 v[4:5], v[66:67], 3, v[4:5]
	s_and_saveexec_b32 s17, vcc_lo
	s_cbranch_execnz .LBB1112_196
; %bb.35:
	s_or_b32 exec_lo, exec_lo, s17
                                        ; implicit-def: $vgpr130_vgpr131
	s_and_saveexec_b32 s17, s0
	s_cbranch_execnz .LBB1112_197
.LBB1112_36:
	s_or_b32 exec_lo, exec_lo, s17
                                        ; implicit-def: $vgpr134_vgpr135
	s_and_saveexec_b32 s0, s1
	s_cbranch_execnz .LBB1112_198
.LBB1112_37:
	s_or_b32 exec_lo, exec_lo, s0
                                        ; implicit-def: $vgpr146_vgpr147
	s_and_saveexec_b32 s0, s2
	s_cbranch_execnz .LBB1112_199
.LBB1112_38:
	s_or_b32 exec_lo, exec_lo, s0
                                        ; implicit-def: $vgpr150_vgpr151
	s_and_saveexec_b32 s0, s3
	s_cbranch_execnz .LBB1112_200
.LBB1112_39:
	s_or_b32 exec_lo, exec_lo, s0
                                        ; implicit-def: $vgpr144_vgpr145
	s_and_saveexec_b32 s0, s4
	s_cbranch_execnz .LBB1112_201
.LBB1112_40:
	s_or_b32 exec_lo, exec_lo, s0
                                        ; implicit-def: $vgpr148_vgpr149
	s_and_saveexec_b32 s0, s5
	s_cbranch_execnz .LBB1112_202
.LBB1112_41:
	s_or_b32 exec_lo, exec_lo, s0
                                        ; implicit-def: $vgpr160_vgpr161
	s_and_saveexec_b32 s0, s6
	s_cbranch_execnz .LBB1112_203
.LBB1112_42:
	s_or_b32 exec_lo, exec_lo, s0
                                        ; implicit-def: $vgpr162_vgpr163
	s_and_saveexec_b32 s0, s7
	s_cbranch_execnz .LBB1112_204
.LBB1112_43:
	s_or_b32 exec_lo, exec_lo, s0
                                        ; implicit-def: $vgpr164_vgpr165
	s_and_saveexec_b32 s0, s10
	s_cbranch_execnz .LBB1112_205
.LBB1112_44:
	s_or_b32 exec_lo, exec_lo, s0
                                        ; implicit-def: $vgpr166_vgpr167
	s_and_saveexec_b32 s0, s11
	s_cbranch_execnz .LBB1112_206
.LBB1112_45:
	s_or_b32 exec_lo, exec_lo, s0
                                        ; implicit-def: $vgpr176_vgpr177
	s_and_saveexec_b32 s0, s12
	s_cbranch_execnz .LBB1112_207
.LBB1112_46:
	s_or_b32 exec_lo, exec_lo, s0
                                        ; implicit-def: $vgpr178_vgpr179
	s_and_saveexec_b32 s0, s13
	s_cbranch_execnz .LBB1112_208
.LBB1112_47:
	s_or_b32 exec_lo, exec_lo, s0
                                        ; implicit-def: $vgpr180_vgpr181
	s_and_saveexec_b32 s0, s14
	s_cbranch_execnz .LBB1112_209
.LBB1112_48:
	s_or_b32 exec_lo, exec_lo, s0
                                        ; implicit-def: $vgpr182_vgpr183
	s_and_saveexec_b32 s0, s15
	s_cbranch_execnz .LBB1112_210
.LBB1112_49:
	s_or_b32 exec_lo, exec_lo, s0
                                        ; implicit-def: $vgpr194_vgpr195
	s_and_saveexec_b32 s0, s16
	s_cbranch_execz .LBB1112_51
.LBB1112_50:
	flat_load_b64 v[194:195], v[4:5] offset:3840
.LBB1112_51:
	s_wait_xcnt 0x0
	s_or_b32 exec_lo, exec_lo, s0
	s_wait_loadcnt_dscnt 0x0
	v_cmp_gt_i64_e32 vcc_lo, 0, v[20:21]
	s_get_pc_i64 s[0:1]
	s_add_nc_u64 s[0:1], s[0:1], _ZN7rocprim17ROCPRIM_400000_NS16block_radix_sortIdLj256ELj16ElLj1ELj1ELj8ELNS0_26block_radix_rank_algorithmE2ELNS0_18block_padding_hintE2ELNS0_4arch9wavefront6targetE0EE19radix_bits_per_passE@rel64+4
	v_cmp_lt_u32_e64 s7, 31, v22
	s_load_b32 s27, s[0:1], 0x0
	v_cmp_eq_u32_e64 s10, 0, v22
	s_set_vgpr_msb 64                       ;  msbs: dst=1 src0=0 src1=0 src2=0
	v_lshl_add_u32 v44 /*v300*/, v22, 2, v12
	s_mov_b64 s[22:23], 0x8000000000000000
	s_set_vgpr_msb 0                        ;  msbs: dst=0 src0=0 src1=0 src2=0
	v_cndmask_b32_e64 v5, 0x7fffffff, 0, vcc_lo
	v_cmp_gt_i64_e32 vcc_lo, 0, v[0:1]
	v_ashrrev_i32_e32 v4, 31, v21
	s_mov_b32 s28, 0
	s_wait_storecnt 0x0
	v_xor_b32_e32 v211, v5, v21
	s_barrier_signal -1
	v_not_b32_e32 v4, v4
	v_cndmask_b32_e64 v39, 0x7fffffff, 0, vcc_lo
	v_cmp_gt_i64_e32 vcc_lo, 0, v[16:17]
	v_ashrrev_i32_e32 v23, 31, v1
	s_barrier_wait -1
	v_xor_b32_e32 v210, v4, v20
	v_dual_ashrrev_i32 v1, 31, v15 :: v_dual_bitop2_b32 v193, v39, v1 bitop3:0x14
	s_delay_alu instid0(VALU_DEP_3)
	v_not_b32_e32 v5, v23
	v_cndmask_b32_e64 v20, 0x7fffffff, 0, vcc_lo
	v_cmp_gt_i64_e32 vcc_lo, 0, v[14:15]
	v_ashrrev_i32_e32 v4, 31, v17
	v_not_b32_e32 v1, v1
	v_xor_b32_e32 v192, v5, v0
	v_dual_ashrrev_i32 v5, 31, v35 :: v_dual_bitop2_b32 v197, v20, v17 bitop3:0x14
	s_delay_alu instid0(VALU_DEP_4) | instskip(SKIP_3) | instid1(VALU_DEP_4)
	v_not_b32_e32 v0, v4
	v_cndmask_b32_e64 v4, 0x7fffffff, 0, vcc_lo
	v_cmp_gt_i64_e32 vcc_lo, 0, v[34:35]
	v_dual_ashrrev_i32 v1, 31, v19 :: v_dual_bitop2_b32 v208, v1, v14 bitop3:0x14
	v_xor_b32_e32 v196, v0, v16
	v_not_b32_e32 v0, v5
	v_xor_b32_e32 v209, v4, v15
	v_cndmask_b32_e64 v17, 0x7fffffff, 0, vcc_lo
	v_cmp_gt_i64_e32 vcc_lo, 0, v[18:19]
	s_delay_alu instid0(VALU_DEP_4) | instskip(SKIP_1) | instid1(VALU_DEP_4)
	v_dual_ashrrev_i32 v0, 31, v37 :: v_dual_bitop2_b32 v198, v0, v34 bitop3:0x14
	v_not_b32_e32 v1, v1
	v_xor_b32_e32 v199, v17, v35
	s_set_vgpr_msb 64                       ;  msbs: dst=1 src0=0 src1=0 src2=0
	v_lshrrev_b32_e32 v41 /*v297*/, 5, v38
	v_sub_nc_u32_e32 v62 /*v318*/, v11, v10
	s_set_vgpr_msb 0                        ;  msbs: dst=0 src0=0 src1=0 src2=0
	v_cndmask_b32_e64 v4, 0x7fffffff, 0, vcc_lo
	v_cmp_gt_i64_e32 vcc_lo, 0, v[36:37]
	v_not_b32_e32 v0, v0
	v_dual_ashrrev_i32 v1, 31, v25 :: v_dual_bitop2_b32 v214, v1, v18 bitop3:0x14
	s_delay_alu instid0(VALU_DEP_4) | instskip(NEXT) | instid1(VALU_DEP_3)
	v_dual_ashrrev_i32 v4, 31, v29 :: v_dual_bitop2_b32 v215, v4, v19 bitop3:0x14
	v_xor_b32_e32 v224, v0, v36
	v_cndmask_b32_e64 v5, 0x7fffffff, 0, vcc_lo
	v_cmp_gt_i64_e32 vcc_lo, 0, v[24:25]
	v_not_b32_e32 v1, v1
	s_delay_alu instid0(VALU_DEP_3) | instskip(NEXT) | instid1(VALU_DEP_2)
	v_xor_b32_e32 v225, v5, v37
	v_xor_b32_e32 v228, v1, v24
	v_cndmask_b32_e64 v0, 0x7fffffff, 0, vcc_lo
	v_cmp_gt_i64_e32 vcc_lo, 0, v[28:29]
	s_delay_alu instid0(VALU_DEP_2) | instskip(SKIP_1) | instid1(VALU_DEP_2)
	v_dual_ashrrev_i32 v1, 31, v27 :: v_dual_bitop2_b32 v229, v0, v25 bitop3:0x14
	v_not_b32_e32 v0, v4
	v_not_b32_e32 v1, v1
	v_cndmask_b32_e64 v5, 0x7fffffff, 0, vcc_lo
	v_cmp_gt_i64_e32 vcc_lo, 0, v[26:27]
	s_delay_alu instid0(VALU_DEP_4) | instskip(NEXT) | instid1(VALU_DEP_4)
	v_xor_b32_e32 v240, v0, v28
	v_xor_b32_e32 v242, v1, v26
	s_delay_alu instid0(VALU_DEP_4) | instskip(SKIP_3) | instid1(VALU_DEP_3)
	v_xor_b32_e32 v241, v5, v29
	v_dual_ashrrev_i32 v5, 31, v53 :: v_dual_ashrrev_i32 v1, 31, v31
	v_cndmask_b32_e64 v4, 0x7fffffff, 0, vcc_lo
	v_cmp_gt_i64_e32 vcc_lo, 0, v[52:53]
	v_not_b32_e32 v0, v5
	s_delay_alu instid0(VALU_DEP_4) | instskip(NEXT) | instid1(VALU_DEP_4)
	v_not_b32_e32 v1, v1
	v_xor_b32_e32 v243, v4, v27
	v_cndmask_b32_e64 v14, 0x7fffffff, 0, vcc_lo
	v_cmp_gt_i64_e32 vcc_lo, 0, v[30:31]
	v_dual_ashrrev_i32 v0, 31, v55 :: v_dual_bitop2_b32 v212, v0, v52 bitop3:0x14
	v_dual_ashrrev_i32 v1, 31, v33 :: v_dual_bitop2_b32 v226, v1, v30 bitop3:0x14
	s_delay_alu instid0(VALU_DEP_4)
	v_xor_b32_e32 v213, v14, v53
	v_mov_b64_e32 v[14:15], 0
	v_cndmask_b32_e64 v4, 0x7fffffff, 0, vcc_lo
	v_cmp_gt_i64_e32 vcc_lo, 0, v[54:55]
	v_not_b32_e32 v0, v0
	v_not_b32_e32 v1, v1
	s_delay_alu instid0(VALU_DEP_4) | instskip(NEXT) | instid1(VALU_DEP_3)
	v_xor_b32_e32 v227, v4, v31
	v_dual_ashrrev_i32 v4, 31, v51 :: v_dual_bitop2_b32 v230, v0, v54 bitop3:0x14
	v_cndmask_b32_e64 v5, 0x7fffffff, 0, vcc_lo
	v_cmp_gt_i64_e32 vcc_lo, 0, v[32:33]
	v_xor_b32_e32 v244, v1, v32
	s_delay_alu instid0(VALU_DEP_4) | instskip(NEXT) | instid1(VALU_DEP_4)
	v_not_b32_e32 v1, v4
	v_xor_b32_e32 v231, v5, v55
	v_cndmask_b32_e64 v0, 0x7fffffff, 0, vcc_lo
	v_cmp_gt_i64_e32 vcc_lo, 0, v[50:51]
	s_delay_alu instid0(VALU_DEP_4)
	v_xor_b32_e32 v246, v1, v50
	s_set_vgpr_msb 4                        ;  msbs: dst=0 src0=0 src1=1 src2=0
	v_and_b32_e32 v1, 15, v2 /*v258*/
	s_set_vgpr_msb 0                        ;  msbs: dst=0 src0=0 src1=0 src2=0
	v_xor_b32_e32 v245, v0, v33
	v_ashrrev_i32_e32 v0, 31, v49
	v_cndmask_b32_e64 v5, 0x7fffffff, 0, vcc_lo
	v_cmp_gt_i64_e32 vcc_lo, 0, v[48:49]
	s_wait_xcnt 0x0
	v_cmp_lt_u32_e64 s0, 1, v1
	v_not_b32_e32 v0, v0
	v_cmp_lt_u32_e64 s1, 3, v1
	v_xor_b32_e32 v247, v5, v51
	v_lshl_add_u32 v5, v22, 5, v12
	v_cmp_lt_u32_e64 s3, 7, v1
	s_set_vgpr_msb 64                       ;  msbs: dst=1 src0=0 src1=0 src2=0
	v_xor_b32_e32 v0 /*v256*/, v0, v48
	s_set_vgpr_msb 0                        ;  msbs: dst=0 src0=0 src1=0 src2=0
	v_and_b32_e32 v0, 0x3e0, v22
	v_cndmask_b32_e64 v4, 0x7fffffff, 0, vcc_lo
	v_dual_add_nc_u32 v23, 32, v5 :: v_dual_add_nc_u32 v39, 36, v5
	s_set_vgpr_msb 64                       ;  msbs: dst=1 src0=0 src1=0 src2=0
	v_add_nc_u32_e32 v35 /*v291*/, 40, v5
	s_set_vgpr_msb 0                        ;  msbs: dst=0 src0=0 src1=0 src2=0
	v_min_u32_e32 v0, 0xe0, v0
	s_set_vgpr_msb 64                       ;  msbs: dst=1 src0=0 src1=0 src2=0
	v_dual_add_nc_u32 v36 /*v292*/, 44, v5 :: v_dual_add_nc_u32 v37 /*v293*/, 48, v5
	v_dual_add_nc_u32 v38 /*v294*/, 52, v5 :: v_dual_add_nc_u32 v39 /*v295*/, 56, v5
	s_set_vgpr_msb 0                        ;  msbs: dst=0 src0=0 src1=0 src2=0
	v_or_b32_e32 v0, 31, v0
	s_set_vgpr_msb 64                       ;  msbs: dst=1 src0=0 src1=0 src2=0
	v_xor_b32_e32 v1 /*v257*/, v4, v49
	v_cmp_eq_u32_e32 vcc_lo, 0, v1
	s_delay_alu instid0(VALU_DEP_3) | instskip(SKIP_2) | instid1(VALU_DEP_1)
	v_cmp_eq_u32_e64 s5, v22, v0
	s_set_vgpr_msb 0                        ;  msbs: dst=0 src0=0 src1=0 src2=0
	v_lshrrev_b32_e32 v0, 3, v22
	v_and_b32_e32 v0, 0x7c, v0
	s_set_vgpr_msb 64                       ;  msbs: dst=1 src0=0 src1=0 src2=0
	v_add_nc_u32_e32 v40 /*v296*/, 60, v5
	s_set_vgpr_msb 1                        ;  msbs: dst=0 src0=1 src1=0 src2=0
	v_sub_co_u32 v5, s2, v2 /*v258*/, 1
	s_set_vgpr_msb 64                       ;  msbs: dst=1 src0=0 src1=0 src2=0
	v_add_nc_u32_e32 v43 /*v299*/, v12, v0
	v_cmp_gt_i32_e64 s6, 0, v5
	s_set_vgpr_msb 4                        ;  msbs: dst=0 src0=0 src1=1 src2=0
	v_and_b32_e32 v4, 16, v2 /*v258*/
	s_set_vgpr_msb 0x44                     ;  msbs: dst=1 src0=0 src1=1 src2=0
	v_add_nc_u32_e32 v46 /*v302*/, -4, v43 /*v299*/
	s_set_vgpr_msb 4                        ;  msbs: dst=0 src0=0 src1=1 src2=0
	v_cndmask_b32_e64 v1, v5, v2 /*v258*/, s6
	s_set_vgpr_msb 0                        ;  msbs: dst=0 src0=0 src1=0 src2=0
	v_cmp_eq_u32_e64 s4, 0, v4
	v_lshlrev_b32_e32 v4, 4, v22
	s_set_vgpr_msb 4                        ;  msbs: dst=0 src0=0 src1=1 src2=0
	v_and_b32_e32 v5, 7, v2 /*v258*/
	s_set_vgpr_msb 64                       ;  msbs: dst=1 src0=0 src1=0 src2=0
	v_cmp_gt_u32_e64 s6, 8, v22
	v_lshlrev_b32_e32 v42 /*v298*/, 2, v1
	s_set_vgpr_msb 16                       ;  msbs: dst=0 src0=0 src1=0 src2=1
	v_mov_b32_e32 v1, 0
	v_and_or_b32 v4, 0x3e00, v4, v2 /*v258*/
	v_cmp_eq_u32_e64 s11, 0, v5
	v_cmp_lt_u32_e64 s12, 1, v5
	v_cmp_lt_u32_e64 s13, 3, v5
	s_set_vgpr_msb 0x44                     ;  msbs: dst=1 src0=0 src1=1 src2=0
	v_lshl_add_u32 v45 /*v301*/, v4, 3, v12
	s_delay_alu instid0(VALU_DEP_1)
	v_add_nc_u32_e32 v47 /*v303*/, 0x100, v45 /*v301*/
	v_add_nc_u32_e32 v48 /*v304*/, 0x200, v45 /*v301*/
	;; [unrolled: 1-line block ×15, first 2 shown]
	s_set_vgpr_msb 0                        ;  msbs: dst=0 src0=0 src1=0 src2=0
	s_branch .LBB1112_53
.LBB1112_52:                            ;   in Loop: Header=BB1112_53 Depth=1
	s_or_b32 exec_lo, exec_lo, s15
	s_delay_alu instid0(SALU_CYCLE_1) | instskip(NEXT) | instid1(SALU_CYCLE_1)
	s_and_b32 s14, exec_lo, s16
	s_or_b32 s28, s14, s28
	s_delay_alu instid0(SALU_CYCLE_1)
	s_and_not1_b32 exec_lo, exec_lo, s28
	s_cbranch_execz .LBB1112_93
.LBB1112_53:                            ; =>This Inner Loop Header: Depth=1
	v_mov_b64_e32 v[48:49], v[210:211]
	s_wait_kmcnt 0x0
	s_set_vgpr_msb 4                        ;  msbs: dst=0 src0=0 src1=1 src2=0
	v_min_u32_e32 v0, s27, v62 /*v318*/
	v_mov_b64_e32 v[4:5], v[132:133]
	v_mov_b64_e32 v[24:25], v[130:131]
	;; [unrolled: 1-line block ×4, first 2 shown]
	v_lshlrev_b32_e64 v132, v0, -1
	s_set_vgpr_msb 0                        ;  msbs: dst=0 src0=0 src1=0 src2=0
	v_cmp_ne_u64_e64 s14, s[22:23], v[48:49]
	v_mov_b64_e32 v[16:17], v[150:151]
	v_mov_b64_e32 v[34:35], v[144:145]
	;; [unrolled: 1-line block ×6, first 2 shown]
	v_cndmask_b32_e64 v51, 0x7fffffff, v49, s14
	v_cndmask_b32_e64 v50, -1, v48, s14
	v_mov_b64_e32 v[36:37], v[166:167]
	v_mov_b64_e32 v[54:55], v[176:177]
	;; [unrolled: 1-line block ×4, first 2 shown]
	v_lshrrev_b64 v[68:69], v10, v[50:51]
	v_mov_b64_e32 v[128:129], v[182:183]
	v_mov_b64_e32 v[118:119], v[194:195]
	;; [unrolled: 1-line block ×6, first 2 shown]
	v_bitop3_b32 v0, v68, v132, v68 bitop3:0x30
	v_bitop3_b32 v80, v68, 1, v132 bitop3:0x40
	v_mov_b64_e32 v[68:69], v[214:215]
	v_mov_b64_e32 v[82:83], v[224:225]
	;; [unrolled: 1-line block ×3, first 2 shown]
	v_dual_lshlrev_b32 v86, 30, v0 :: v_dual_lshlrev_b32 v98, 29, v0
	v_add_co_u32 v96, s14, v80, -1
	s_delay_alu instid0(VALU_DEP_1) | instskip(NEXT) | instid1(VALU_DEP_3)
	v_cndmask_b32_e64 v87, 0, 1, s14
	v_not_b32_e32 v97, v86
	v_cmp_gt_i32_e64 s15, 0, v86
	v_not_b32_e32 v100, v98
	v_lshlrev_b32_e32 v102, 25, v0
	v_cmp_ne_u32_e64 s14, 0, v87
	v_dual_ashrrev_i32 v97, 31, v97 :: v_dual_lshlrev_b32 v99, 28, v0
	v_mov_b64_e32 v[80:81], v[228:229]
	v_mov_b64_e32 v[86:87], v[242:243]
	ds_store_b64 v23, v[14:15]
	s_set_vgpr_msb 1                        ;  msbs: dst=0 src0=1 src1=0 src2=0
	ds_store_b64 v35 /*v291*/, v[14:15]
	v_xor_b32_e32 v97, s15, v97
	s_set_vgpr_msb 0                        ;  msbs: dst=0 src0=0 src1=0 src2=0
	v_not_b32_e32 v101, v99
	v_xor_b32_e32 v96, s14, v96
	v_cmp_gt_i32_e64 s14, 0, v98
	v_cmp_gt_i32_e64 s15, 0, v99
	s_set_vgpr_msb 1                        ;  msbs: dst=0 src0=1 src1=0 src2=0
	ds_store_b64 v37 /*v293*/, v[14:15]
	ds_store_b64 v39 /*v295*/, v[14:15]
	v_dual_ashrrev_i32 v99, 31, v101 :: v_dual_ashrrev_i32 v98, 31, v100
	v_lshlrev_b32_e32 v100, 27, v0
	s_set_vgpr_msb 0                        ;  msbs: dst=0 src0=0 src1=0 src2=0
	v_bitop3_b32 v96, v96, v97, exec_lo bitop3:0x80
	s_delay_alu instid0(VALU_DEP_3)
	v_dual_lshlrev_b32 v97, 26, v0 :: v_dual_bitop2_b32 v99, s15, v99 bitop3:0x14
	s_wait_dscnt 0x0
	v_not_b32_e32 v101, v100
	v_xor_b32_e32 v98, s14, v98
	v_cmp_gt_i32_e64 s14, 0, v100
	v_not_b32_e32 v100, v97
	v_cmp_gt_i32_e64 s15, 0, v97
	v_dual_lshlrev_b32 v97, 24, v0 :: v_dual_ashrrev_i32 v101, 31, v101
	v_bitop3_b32 v103, v96, v99, v98 bitop3:0x80
	s_delay_alu instid0(VALU_DEP_4) | instskip(SKIP_1) | instid1(VALU_DEP_4)
	v_ashrrev_i32_e32 v100, 31, v100
	v_not_b32_e32 v96, v102
	v_not_b32_e32 v98, v97
	v_xor_b32_e32 v101, s14, v101
	v_cmp_gt_i32_e64 s14, 0, v102
	v_xor_b32_e32 v100, s15, v100
	v_ashrrev_i32_e32 v102, 31, v96
	v_cmp_gt_i32_e64 s15, 0, v97
	v_ashrrev_i32_e32 v112, 31, v98
	s_set_vgpr_msb 16                       ;  msbs: dst=0 src0=0 src1=0 src2=1
	v_lshl_add_u32 v0, v0, 3, v41 /*v297*/
	s_set_vgpr_msb 0                        ;  msbs: dst=0 src0=0 src1=0 src2=0
	v_bitop3_b32 v114, v103, v100, v101 bitop3:0x80
	v_xor_b32_e32 v115, s14, v102
	v_mov_b64_e32 v[98:99], v[212:213]
	v_xor_b32_e32 v130, s15, v112
	v_mov_b64_e32 v[96:97], v[226:227]
	v_mov_b64_e32 v[112:113], v[230:231]
	;; [unrolled: 1-line block ×4, first 2 shown]
	v_bitop3_b32 v133, v114, v130, v115 bitop3:0x80
	v_lshl_add_u64 v[130:131], v[0:1], 2, v[12:13]
	s_set_vgpr_msb 1                        ;  msbs: dst=0 src0=1 src1=0 src2=0
	v_mov_b64_e32 v[114:115], v[0:1] /*v[256:257]*/
	s_barrier_signal -1
	s_barrier_wait -1
	s_set_vgpr_msb 0                        ;  msbs: dst=0 src0=0 src1=0 src2=0
	v_mbcnt_lo_u32_b32 v0, v133, 0
	v_add_nc_u64_e32 v[130:131], 32, v[130:131]
	v_cmp_ne_u32_e64 s15, 0, v133
	s_delay_alu instid0(VALU_DEP_3) | instskip(SKIP_1) | instid1(SALU_CYCLE_1)
	v_cmp_eq_u32_e64 s14, 0, v0
	; wave barrier
	s_and_b32 s15, s15, s14
	s_and_saveexec_b32 s14, s15
; %bb.54:                               ;   in Loop: Header=BB1112_53 Depth=1
	v_bcnt_u32_b32 v131, v133, 0
	ds_store_b32 v130, v131
; %bb.55:                               ;   in Loop: Header=BB1112_53 Depth=1
	s_or_b32 exec_lo, exec_lo, s14
	v_cmp_ne_u64_e64 s14, s[22:23], v[64:65]
	v_not_b32_e32 v147, v132
	; wave barrier
	s_delay_alu instid0(VALU_DEP_2) | instskip(SKIP_1) | instid1(VALU_DEP_1)
	v_cndmask_b32_e64 v135, 0x7fffffff, v65, s14
	v_cndmask_b32_e64 v134, -1, v64, s14
	v_lshrrev_b64 v[134:135], v10, v[134:135]
	s_delay_alu instid0(VALU_DEP_1) | instskip(SKIP_1) | instid1(VALU_DEP_2)
	v_bitop3_b32 v132, v134, 1, v147 bitop3:0x80
	v_and_b32_e32 v131, v134, v147
	v_add_co_u32 v132, s14, v132, -1
	s_delay_alu instid0(VALU_DEP_1) | instskip(NEXT) | instid1(VALU_DEP_3)
	v_cndmask_b32_e64 v134, 0, 1, s14
	v_lshlrev_b32_e32 v135, 30, v131
	s_delay_alu instid0(VALU_DEP_2) | instskip(NEXT) | instid1(VALU_DEP_2)
	v_cmp_ne_u32_e64 s14, 0, v134
	v_not_b32_e32 v134, v135
	v_cmp_gt_i32_e64 s15, 0, v135
	s_delay_alu instid0(VALU_DEP_2)
	v_dual_ashrrev_i32 v134, 31, v134 :: v_dual_lshlrev_b32 v144, 29, v131
	v_dual_lshlrev_b32 v145, 28, v131 :: v_dual_lshlrev_b32 v146, 27, v131
	v_lshlrev_b32_e32 v148, 26, v131
	s_set_vgpr_msb 16                       ;  msbs: dst=0 src0=0 src1=0 src2=1
	v_lshl_add_u32 v133, v131, 3, v41 /*v297*/
	v_cmp_gt_i32_e64 s16, 0, v144
	v_not_b32_e32 v135, v144
	v_not_b32_e32 v144, v145
	v_dual_lshlrev_b32 v149, 25, v131 :: v_dual_lshlrev_b32 v131, 24, v131
	v_cmp_gt_i32_e64 s17, 0, v145
	v_cmp_gt_i32_e64 s18, 0, v146
	v_not_b32_e32 v145, v146
	v_not_b32_e32 v146, v148
	v_dual_ashrrev_i32 v135, 31, v135 :: v_dual_bitop2_b32 v132, s14, v132 bitop3:0x14
	v_dual_ashrrev_i32 v144, 31, v144 :: v_dual_bitop2_b32 v134, s15, v134 bitop3:0x14
	v_cmp_gt_i32_e64 s19, 0, v148
	v_not_b32_e32 v148, v149
	v_cmp_gt_i32_e64 s21, 0, v131
	v_not_b32_e32 v131, v131
	v_dual_ashrrev_i32 v145, 31, v145 :: v_dual_ashrrev_i32 v146, 31, v146
	v_xor_b32_e32 v135, s16, v135
	s_delay_alu instid0(VALU_DEP_3)
	v_dual_ashrrev_i32 v131, 31, v131 :: v_dual_bitop2_b32 v144, s17, v144 bitop3:0x14
	v_bitop3_b32 v132, v132, v134, exec_lo bitop3:0x80
	v_cmp_gt_i32_e64 s20, 0, v149
	v_dual_ashrrev_i32 v134, 31, v148 :: v_dual_bitop2_b32 v145, s18, v145 bitop3:0x14
	s_set_vgpr_msb 0                        ;  msbs: dst=0 src0=0 src1=0 src2=0
	v_lshl_add_u32 v133, v133, 2, v12
	v_xor_b32_e32 v146, s19, v146
	v_bitop3_b32 v132, v132, v144, v135 bitop3:0x80
	v_xor_b32_e32 v134, s20, v134
	v_xor_b32_e32 v135, s21, v131
	ds_load_b32 v131, v133 offset:32
	v_add_nc_u32_e32 v133, 32, v133
	v_bitop3_b32 v132, v132, v146, v145 bitop3:0x80
	; wave barrier
	s_delay_alu instid0(VALU_DEP_1) | instskip(NEXT) | instid1(VALU_DEP_1)
	v_bitop3_b32 v134, v132, v135, v134 bitop3:0x80
	v_mbcnt_lo_u32_b32 v132, v134, 0
	v_cmp_ne_u32_e64 s15, 0, v134
	s_delay_alu instid0(VALU_DEP_2) | instskip(SKIP_1) | instid1(SALU_CYCLE_1)
	v_cmp_eq_u32_e64 s14, 0, v132
	s_and_b32 s15, s15, s14
	s_and_saveexec_b32 s14, s15
	s_cbranch_execz .LBB1112_57
; %bb.56:                               ;   in Loop: Header=BB1112_53 Depth=1
	s_wait_dscnt 0x0
	v_bcnt_u32_b32 v134, v134, v131
	ds_store_b32 v133, v134
.LBB1112_57:                            ;   in Loop: Header=BB1112_53 Depth=1
	s_or_b32 exec_lo, exec_lo, s14
	v_cmp_ne_u64_e64 s14, s[22:23], v[50:51]
	; wave barrier
	s_delay_alu instid0(VALU_DEP_1) | instskip(SKIP_1) | instid1(VALU_DEP_1)
	v_cndmask_b32_e64 v135, 0x7fffffff, v51, s14
	v_cndmask_b32_e64 v134, -1, v50, s14
	v_lshrrev_b64 v[134:135], v10, v[134:135]
	s_delay_alu instid0(VALU_DEP_1) | instskip(SKIP_1) | instid1(VALU_DEP_2)
	v_and_b32_e32 v135, v134, v147
	v_bitop3_b32 v134, v134, 1, v147 bitop3:0x80
	v_lshlrev_b32_e32 v146, 30, v135
	s_delay_alu instid0(VALU_DEP_2) | instskip(NEXT) | instid1(VALU_DEP_1)
	v_add_co_u32 v134, s14, v134, -1
	v_cndmask_b32_e64 v145, 0, 1, s14
	s_delay_alu instid0(VALU_DEP_3) | instskip(NEXT) | instid1(VALU_DEP_2)
	v_cmp_gt_i32_e64 s15, 0, v146
	v_cmp_ne_u32_e64 s14, 0, v145
	v_not_b32_e32 v145, v146
	s_delay_alu instid0(VALU_DEP_1)
	v_dual_ashrrev_i32 v145, 31, v145 :: v_dual_lshlrev_b32 v148, 29, v135
	v_dual_lshlrev_b32 v149, 28, v135 :: v_dual_lshlrev_b32 v150, 27, v135
	v_lshlrev_b32_e32 v151, 26, v135
	s_set_vgpr_msb 16                       ;  msbs: dst=0 src0=0 src1=0 src2=1
	v_lshl_add_u32 v144, v135, 3, v41 /*v297*/
	v_cmp_gt_i32_e64 s16, 0, v148
	v_not_b32_e32 v146, v148
	v_not_b32_e32 v148, v149
	v_dual_lshlrev_b32 v160, 25, v135 :: v_dual_lshlrev_b32 v135, 24, v135
	v_cmp_gt_i32_e64 s17, 0, v149
	v_cmp_gt_i32_e64 s18, 0, v150
	v_not_b32_e32 v149, v150
	v_not_b32_e32 v150, v151
	v_dual_ashrrev_i32 v148, 31, v148 :: v_dual_bitop2_b32 v134, s14, v134 bitop3:0x14
	v_dual_ashrrev_i32 v146, 31, v146 :: v_dual_bitop2_b32 v145, s15, v145 bitop3:0x14
	v_cmp_gt_i32_e64 s19, 0, v151
	v_not_b32_e32 v151, v160
	v_cmp_gt_i32_e64 s21, 0, v135
	v_not_b32_e32 v135, v135
	v_dual_ashrrev_i32 v149, 31, v149 :: v_dual_ashrrev_i32 v150, 31, v150
	v_xor_b32_e32 v146, s16, v146
	s_delay_alu instid0(VALU_DEP_3)
	v_dual_ashrrev_i32 v135, 31, v135 :: v_dual_bitop2_b32 v148, s17, v148 bitop3:0x14
	v_bitop3_b32 v134, v134, v145, exec_lo bitop3:0x80
	v_cmp_gt_i32_e64 s20, 0, v160
	v_dual_ashrrev_i32 v145, 31, v151 :: v_dual_bitop2_b32 v150, s19, v150 bitop3:0x14
	s_set_vgpr_msb 0                        ;  msbs: dst=0 src0=0 src1=0 src2=0
	v_lshl_add_u32 v144, v144, 2, v12
	v_xor_b32_e32 v149, s18, v149
	v_bitop3_b32 v134, v134, v148, v146 bitop3:0x80
	v_xor_b32_e32 v145, s20, v145
	v_xor_b32_e32 v135, s21, v135
	s_delay_alu instid0(VALU_DEP_3) | instskip(SKIP_3) | instid1(VALU_DEP_1)
	v_bitop3_b32 v146, v134, v150, v149 bitop3:0x80
	ds_load_b32 v134, v144 offset:32
	v_add_nc_u32_e32 v144, 32, v144
	; wave barrier
	v_bitop3_b32 v145, v146, v135, v145 bitop3:0x80
	v_mbcnt_lo_u32_b32 v135, v145, 0
	v_cmp_ne_u32_e64 s15, 0, v145
	s_delay_alu instid0(VALU_DEP_2) | instskip(SKIP_1) | instid1(SALU_CYCLE_1)
	v_cmp_eq_u32_e64 s14, 0, v135
	s_and_b32 s15, s15, s14
	s_and_saveexec_b32 s14, s15
	s_cbranch_execz .LBB1112_59
; %bb.58:                               ;   in Loop: Header=BB1112_53 Depth=1
	s_wait_dscnt 0x0
	v_bcnt_u32_b32 v145, v145, v134
	ds_store_b32 v144, v145
.LBB1112_59:                            ;   in Loop: Header=BB1112_53 Depth=1
	s_or_b32 exec_lo, exec_lo, s14
	v_cmp_ne_u64_e64 s14, s[22:23], v[66:67]
	; wave barrier
	s_delay_alu instid0(VALU_DEP_1) | instskip(SKIP_1) | instid1(VALU_DEP_1)
	v_cndmask_b32_e64 v149, 0x7fffffff, v67, s14
	v_cndmask_b32_e64 v148, -1, v66, s14
	v_lshrrev_b64 v[148:149], v10, v[148:149]
	s_delay_alu instid0(VALU_DEP_1) | instskip(SKIP_1) | instid1(VALU_DEP_2)
	v_bitop3_b32 v146, v148, 1, v147 bitop3:0x80
	v_and_b32_e32 v145, v148, v147
	v_add_co_u32 v146, s14, v146, -1
	s_delay_alu instid0(VALU_DEP_1) | instskip(NEXT) | instid1(VALU_DEP_3)
	v_cndmask_b32_e64 v149, 0, 1, s14
	v_lshlrev_b32_e32 v150, 30, v145
	s_delay_alu instid0(VALU_DEP_2) | instskip(NEXT) | instid1(VALU_DEP_2)
	v_cmp_ne_u32_e64 s14, 0, v149
	v_not_b32_e32 v149, v150
	v_cmp_gt_i32_e64 s15, 0, v150
	s_delay_alu instid0(VALU_DEP_2) | instskip(SKIP_4) | instid1(VALU_DEP_3)
	v_ashrrev_i32_e32 v149, 31, v149
	v_dual_lshlrev_b32 v151, 29, v145 :: v_dual_lshlrev_b32 v160, 28, v145
	v_dual_lshlrev_b32 v161, 27, v145 :: v_dual_lshlrev_b32 v162, 26, v145
	s_set_vgpr_msb 16                       ;  msbs: dst=0 src0=0 src1=0 src2=1
	v_lshl_add_u32 v148, v145, 3, v41 /*v297*/
	v_cmp_gt_i32_e64 s16, 0, v151
	v_not_b32_e32 v150, v151
	v_not_b32_e32 v151, v160
	v_dual_lshlrev_b32 v163, 25, v145 :: v_dual_lshlrev_b32 v145, 24, v145
	v_cmp_gt_i32_e64 s17, 0, v160
	v_cmp_gt_i32_e64 s18, 0, v161
	v_not_b32_e32 v160, v161
	v_not_b32_e32 v161, v162
	v_dual_ashrrev_i32 v151, 31, v151 :: v_dual_bitop2_b32 v146, s14, v146 bitop3:0x14
	v_dual_ashrrev_i32 v150, 31, v150 :: v_dual_bitop2_b32 v149, s15, v149 bitop3:0x14
	v_cmp_gt_i32_e64 s19, 0, v162
	v_not_b32_e32 v162, v163
	v_cmp_gt_i32_e64 s21, 0, v145
	v_not_b32_e32 v145, v145
	v_dual_ashrrev_i32 v160, 31, v160 :: v_dual_ashrrev_i32 v161, 31, v161
	v_xor_b32_e32 v150, s16, v150
	v_xor_b32_e32 v151, s17, v151
	v_bitop3_b32 v146, v146, v149, exec_lo bitop3:0x80
	v_cmp_gt_i32_e64 s20, 0, v163
	v_dual_ashrrev_i32 v149, 31, v162 :: v_dual_ashrrev_i32 v145, 31, v145
	v_xor_b32_e32 v160, s18, v160
	s_set_vgpr_msb 0                        ;  msbs: dst=0 src0=0 src1=0 src2=0
	v_bitop3_b32 v146, v146, v151, v150 bitop3:0x80
	v_lshl_add_u32 v148, v148, 2, v12
	v_xor_b32_e32 v161, s19, v161
	v_xor_b32_e32 v149, s20, v149
	;; [unrolled: 1-line block ×3, first 2 shown]
	ds_load_b32 v145, v148 offset:32
	v_add_nc_u32_e32 v148, 32, v148
	v_bitop3_b32 v146, v146, v161, v160 bitop3:0x80
	; wave barrier
	s_delay_alu instid0(VALU_DEP_1) | instskip(NEXT) | instid1(VALU_DEP_1)
	v_bitop3_b32 v149, v146, v150, v149 bitop3:0x80
	v_mbcnt_lo_u32_b32 v146, v149, 0
	v_cmp_ne_u32_e64 s15, 0, v149
	s_delay_alu instid0(VALU_DEP_2) | instskip(SKIP_1) | instid1(SALU_CYCLE_1)
	v_cmp_eq_u32_e64 s14, 0, v146
	s_and_b32 s15, s15, s14
	s_and_saveexec_b32 s14, s15
	s_cbranch_execz .LBB1112_61
; %bb.60:                               ;   in Loop: Header=BB1112_53 Depth=1
	s_wait_dscnt 0x0
	v_bcnt_u32_b32 v149, v149, v145
	ds_store_b32 v148, v149
.LBB1112_61:                            ;   in Loop: Header=BB1112_53 Depth=1
	s_or_b32 exec_lo, exec_lo, s14
	v_cmp_ne_u64_e64 s14, s[22:23], v[70:71]
	; wave barrier
	s_delay_alu instid0(VALU_DEP_1) | instskip(SKIP_1) | instid1(VALU_DEP_1)
	v_cndmask_b32_e64 v151, 0x7fffffff, v71, s14
	v_cndmask_b32_e64 v150, -1, v70, s14
	v_lshrrev_b64 v[150:151], v10, v[150:151]
	s_delay_alu instid0(VALU_DEP_1) | instskip(SKIP_1) | instid1(VALU_DEP_2)
	v_and_b32_e32 v149, v150, v147
	v_bitop3_b32 v150, v150, 1, v147 bitop3:0x80
	v_lshlrev_b32_e32 v161, 30, v149
	s_delay_alu instid0(VALU_DEP_2) | instskip(NEXT) | instid1(VALU_DEP_1)
	v_add_co_u32 v150, s14, v150, -1
	v_cndmask_b32_e64 v160, 0, 1, s14
	s_delay_alu instid0(VALU_DEP_3) | instskip(NEXT) | instid1(VALU_DEP_2)
	v_cmp_gt_i32_e64 s15, 0, v161
	v_cmp_ne_u32_e64 s14, 0, v160
	v_not_b32_e32 v160, v161
	s_delay_alu instid0(VALU_DEP_1)
	v_dual_ashrrev_i32 v160, 31, v160 :: v_dual_lshlrev_b32 v162, 29, v149
	v_dual_lshlrev_b32 v163, 28, v149 :: v_dual_lshlrev_b32 v164, 27, v149
	v_lshlrev_b32_e32 v165, 26, v149
	s_set_vgpr_msb 16                       ;  msbs: dst=0 src0=0 src1=0 src2=1
	v_lshl_add_u32 v151, v149, 3, v41 /*v297*/
	v_cmp_gt_i32_e64 s16, 0, v162
	v_not_b32_e32 v161, v162
	v_not_b32_e32 v162, v163
	v_dual_lshlrev_b32 v166, 25, v149 :: v_dual_lshlrev_b32 v149, 24, v149
	v_cmp_gt_i32_e64 s17, 0, v163
	v_cmp_gt_i32_e64 s18, 0, v164
	v_not_b32_e32 v163, v164
	v_not_b32_e32 v164, v165
	v_dual_ashrrev_i32 v161, 31, v161 :: v_dual_bitop2_b32 v150, s14, v150 bitop3:0x14
	v_dual_ashrrev_i32 v162, 31, v162 :: v_dual_bitop2_b32 v160, s15, v160 bitop3:0x14
	v_cmp_gt_i32_e64 s19, 0, v165
	v_not_b32_e32 v165, v166
	v_cmp_gt_i32_e64 s21, 0, v149
	v_not_b32_e32 v149, v149
	v_dual_ashrrev_i32 v163, 31, v163 :: v_dual_ashrrev_i32 v164, 31, v164
	v_xor_b32_e32 v162, s17, v162
	v_bitop3_b32 v150, v150, v160, exec_lo bitop3:0x80
	s_set_vgpr_msb 0                        ;  msbs: dst=0 src0=0 src1=0 src2=0
	v_lshl_add_u32 v151, v151, 2, v12
	v_xor_b32_e32 v161, s16, v161
	v_cmp_gt_i32_e64 s20, 0, v166
	v_ashrrev_i32_e32 v160, 31, v165
	v_dual_ashrrev_i32 v149, 31, v149 :: v_dual_bitop2_b32 v163, s18, v163 bitop3:0x14
	v_xor_b32_e32 v164, s19, v164
	v_bitop3_b32 v150, v150, v162, v161 bitop3:0x80
	s_delay_alu instid0(VALU_DEP_4) | instskip(NEXT) | instid1(VALU_DEP_4)
	v_xor_b32_e32 v160, s20, v160
	v_xor_b32_e32 v161, s21, v149
	ds_load_b32 v149, v151 offset:32
	v_add_nc_u32_e32 v151, 32, v151
	v_bitop3_b32 v150, v150, v164, v163 bitop3:0x80
	; wave barrier
	s_delay_alu instid0(VALU_DEP_1) | instskip(NEXT) | instid1(VALU_DEP_1)
	v_bitop3_b32 v160, v150, v161, v160 bitop3:0x80
	v_mbcnt_lo_u32_b32 v150, v160, 0
	v_cmp_ne_u32_e64 s15, 0, v160
	s_delay_alu instid0(VALU_DEP_2) | instskip(SKIP_1) | instid1(SALU_CYCLE_1)
	v_cmp_eq_u32_e64 s14, 0, v150
	s_and_b32 s15, s15, s14
	s_and_saveexec_b32 s14, s15
	s_cbranch_execz .LBB1112_63
; %bb.62:                               ;   in Loop: Header=BB1112_53 Depth=1
	s_wait_dscnt 0x0
	v_bcnt_u32_b32 v160, v160, v149
	ds_store_b32 v151, v160
.LBB1112_63:                            ;   in Loop: Header=BB1112_53 Depth=1
	s_or_b32 exec_lo, exec_lo, s14
	v_cmp_ne_u64_e64 s14, s[22:23], v[68:69]
	; wave barrier
	s_delay_alu instid0(VALU_DEP_1) | instskip(SKIP_1) | instid1(VALU_DEP_1)
	v_cndmask_b32_e64 v161, 0x7fffffff, v69, s14
	v_cndmask_b32_e64 v160, -1, v68, s14
	v_lshrrev_b64 v[160:161], v10, v[160:161]
	s_delay_alu instid0(VALU_DEP_1) | instskip(SKIP_1) | instid1(VALU_DEP_2)
	v_and_b32_e32 v161, v160, v147
	v_bitop3_b32 v160, v160, 1, v147 bitop3:0x80
	v_lshlrev_b32_e32 v164, 30, v161
	s_delay_alu instid0(VALU_DEP_2) | instskip(NEXT) | instid1(VALU_DEP_1)
	v_add_co_u32 v160, s14, v160, -1
	v_cndmask_b32_e64 v163, 0, 1, s14
	v_lshlrev_b32_e32 v165, 29, v161
	s_delay_alu instid0(VALU_DEP_4) | instskip(NEXT) | instid1(VALU_DEP_3)
	v_cmp_gt_i32_e64 s15, 0, v164
	v_cmp_ne_u32_e64 s14, 0, v163
	v_not_b32_e32 v163, v164
	s_delay_alu instid0(VALU_DEP_4) | instskip(NEXT) | instid1(VALU_DEP_2)
	v_not_b32_e32 v164, v165
	v_dual_ashrrev_i32 v163, 31, v163 :: v_dual_bitop2_b32 v160, s14, v160 bitop3:0x14
	s_delay_alu instid0(VALU_DEP_2)
	v_dual_ashrrev_i32 v164, 31, v164 :: v_dual_lshlrev_b32 v166, 28, v161
	v_dual_lshlrev_b32 v167, 27, v161 :: v_dual_lshlrev_b32 v176, 26, v161
	v_cmp_gt_i32_e64 s16, 0, v165
	s_set_vgpr_msb 16                       ;  msbs: dst=0 src0=0 src1=0 src2=1
	v_lshl_add_u32 v162, v161, 3, v41 /*v297*/
	v_not_b32_e32 v165, v166
	v_dual_lshlrev_b32 v177, 25, v161 :: v_dual_lshlrev_b32 v161, 24, v161
	v_cmp_gt_i32_e64 s17, 0, v166
	v_cmp_gt_i32_e64 s18, 0, v167
	v_not_b32_e32 v166, v167
	v_not_b32_e32 v167, v176
	v_dual_ashrrev_i32 v165, 31, v165 :: v_dual_bitop2_b32 v163, s15, v163 bitop3:0x14
	v_cmp_gt_i32_e64 s19, 0, v176
	v_not_b32_e32 v176, v177
	v_cmp_gt_i32_e64 s21, 0, v161
	v_not_b32_e32 v161, v161
	v_dual_ashrrev_i32 v166, 31, v166 :: v_dual_ashrrev_i32 v167, 31, v167
	v_xor_b32_e32 v164, s16, v164
	v_xor_b32_e32 v165, s17, v165
	v_bitop3_b32 v160, v160, v163, exec_lo bitop3:0x80
	v_cmp_gt_i32_e64 s20, 0, v177
	v_dual_ashrrev_i32 v163, 31, v176 :: v_dual_ashrrev_i32 v161, 31, v161
	v_xor_b32_e32 v166, s18, v166
	s_set_vgpr_msb 0                        ;  msbs: dst=0 src0=0 src1=0 src2=0
	v_bitop3_b32 v160, v160, v165, v164 bitop3:0x80
	v_lshl_add_u32 v162, v162, 2, v12
	v_xor_b32_e32 v167, s19, v167
	v_xor_b32_e32 v163, s20, v163
	;; [unrolled: 1-line block ×3, first 2 shown]
	s_delay_alu instid0(VALU_DEP_3) | instskip(SKIP_3) | instid1(VALU_DEP_1)
	v_bitop3_b32 v164, v160, v167, v166 bitop3:0x80
	ds_load_b32 v160, v162 offset:32
	v_add_nc_u32_e32 v162, 32, v162
	; wave barrier
	v_bitop3_b32 v163, v164, v161, v163 bitop3:0x80
	v_mbcnt_lo_u32_b32 v161, v163, 0
	v_cmp_ne_u32_e64 s15, 0, v163
	s_delay_alu instid0(VALU_DEP_2) | instskip(SKIP_1) | instid1(SALU_CYCLE_1)
	v_cmp_eq_u32_e64 s14, 0, v161
	s_and_b32 s15, s15, s14
	s_and_saveexec_b32 s14, s15
	s_cbranch_execz .LBB1112_65
; %bb.64:                               ;   in Loop: Header=BB1112_53 Depth=1
	s_wait_dscnt 0x0
	v_bcnt_u32_b32 v163, v163, v160
	ds_store_b32 v162, v163
.LBB1112_65:                            ;   in Loop: Header=BB1112_53 Depth=1
	s_or_b32 exec_lo, exec_lo, s14
	v_cmp_ne_u64_e64 s14, s[22:23], v[82:83]
	; wave barrier
	s_delay_alu instid0(VALU_DEP_1) | instskip(SKIP_1) | instid1(VALU_DEP_1)
	v_cndmask_b32_e64 v165, 0x7fffffff, v83, s14
	v_cndmask_b32_e64 v164, -1, v82, s14
	v_lshrrev_b64 v[164:165], v10, v[164:165]
	s_delay_alu instid0(VALU_DEP_1) | instskip(SKIP_1) | instid1(VALU_DEP_2)
	v_and_b32_e32 v163, v164, v147
	v_bitop3_b32 v164, v164, 1, v147 bitop3:0x80
	v_lshlrev_b32_e32 v167, 30, v163
	s_delay_alu instid0(VALU_DEP_2) | instskip(NEXT) | instid1(VALU_DEP_1)
	v_add_co_u32 v164, s14, v164, -1
	v_cndmask_b32_e64 v166, 0, 1, s14
	s_delay_alu instid0(VALU_DEP_3) | instskip(NEXT) | instid1(VALU_DEP_2)
	v_cmp_gt_i32_e64 s15, 0, v167
	v_cmp_ne_u32_e64 s14, 0, v166
	v_not_b32_e32 v166, v167
	s_delay_alu instid0(VALU_DEP_1)
	v_dual_ashrrev_i32 v166, 31, v166 :: v_dual_lshlrev_b32 v176, 29, v163
	v_dual_lshlrev_b32 v177, 28, v163 :: v_dual_lshlrev_b32 v178, 27, v163
	v_lshlrev_b32_e32 v179, 26, v163
	s_set_vgpr_msb 16                       ;  msbs: dst=0 src0=0 src1=0 src2=1
	v_lshl_add_u32 v165, v163, 3, v41 /*v297*/
	v_cmp_gt_i32_e64 s16, 0, v176
	v_not_b32_e32 v167, v176
	v_not_b32_e32 v176, v177
	v_dual_lshlrev_b32 v180, 25, v163 :: v_dual_lshlrev_b32 v163, 24, v163
	v_cmp_gt_i32_e64 s17, 0, v177
	v_cmp_gt_i32_e64 s18, 0, v178
	v_not_b32_e32 v177, v178
	v_not_b32_e32 v178, v179
	v_dual_ashrrev_i32 v167, 31, v167 :: v_dual_bitop2_b32 v164, s14, v164 bitop3:0x14
	v_dual_ashrrev_i32 v176, 31, v176 :: v_dual_bitop2_b32 v166, s15, v166 bitop3:0x14
	v_cmp_gt_i32_e64 s19, 0, v179
	v_not_b32_e32 v179, v180
	v_cmp_gt_i32_e64 s21, 0, v163
	v_not_b32_e32 v163, v163
	v_dual_ashrrev_i32 v177, 31, v177 :: v_dual_ashrrev_i32 v178, 31, v178
	v_xor_b32_e32 v176, s17, v176
	v_bitop3_b32 v164, v164, v166, exec_lo bitop3:0x80
	s_set_vgpr_msb 0                        ;  msbs: dst=0 src0=0 src1=0 src2=0
	v_lshl_add_u32 v165, v165, 2, v12
	v_xor_b32_e32 v167, s16, v167
	v_cmp_gt_i32_e64 s20, 0, v180
	v_ashrrev_i32_e32 v166, 31, v179
	v_dual_ashrrev_i32 v163, 31, v163 :: v_dual_bitop2_b32 v177, s18, v177 bitop3:0x14
	v_xor_b32_e32 v178, s19, v178
	v_bitop3_b32 v164, v164, v176, v167 bitop3:0x80
	s_delay_alu instid0(VALU_DEP_4) | instskip(NEXT) | instid1(VALU_DEP_4)
	v_xor_b32_e32 v166, s20, v166
	v_xor_b32_e32 v167, s21, v163
	ds_load_b32 v163, v165 offset:32
	v_add_nc_u32_e32 v165, 32, v165
	v_bitop3_b32 v164, v164, v178, v177 bitop3:0x80
	; wave barrier
	s_delay_alu instid0(VALU_DEP_1) | instskip(NEXT) | instid1(VALU_DEP_1)
	v_bitop3_b32 v166, v164, v167, v166 bitop3:0x80
	v_mbcnt_lo_u32_b32 v164, v166, 0
	v_cmp_ne_u32_e64 s15, 0, v166
	s_delay_alu instid0(VALU_DEP_2) | instskip(SKIP_1) | instid1(SALU_CYCLE_1)
	v_cmp_eq_u32_e64 s14, 0, v164
	s_and_b32 s15, s15, s14
	s_and_saveexec_b32 s14, s15
	s_cbranch_execz .LBB1112_67
; %bb.66:                               ;   in Loop: Header=BB1112_53 Depth=1
	s_wait_dscnt 0x0
	v_bcnt_u32_b32 v166, v166, v163
	ds_store_b32 v165, v166
.LBB1112_67:                            ;   in Loop: Header=BB1112_53 Depth=1
	s_or_b32 exec_lo, exec_lo, s14
	v_cmp_ne_u64_e64 s14, s[22:23], v[80:81]
	; wave barrier
	s_delay_alu instid0(VALU_DEP_1) | instskip(SKIP_1) | instid1(VALU_DEP_1)
	v_cndmask_b32_e64 v167, 0x7fffffff, v81, s14
	v_cndmask_b32_e64 v166, -1, v80, s14
	v_lshrrev_b64 v[166:167], v10, v[166:167]
	s_delay_alu instid0(VALU_DEP_1) | instskip(SKIP_1) | instid1(VALU_DEP_2)
	v_and_b32_e32 v167, v166, v147
	v_bitop3_b32 v166, v166, 1, v147 bitop3:0x80
	v_lshlrev_b32_e32 v178, 30, v167
	s_delay_alu instid0(VALU_DEP_2) | instskip(NEXT) | instid1(VALU_DEP_1)
	v_add_co_u32 v166, s14, v166, -1
	v_cndmask_b32_e64 v177, 0, 1, s14
	s_delay_alu instid0(VALU_DEP_3) | instskip(NEXT) | instid1(VALU_DEP_2)
	v_cmp_gt_i32_e64 s15, 0, v178
	v_cmp_ne_u32_e64 s14, 0, v177
	v_not_b32_e32 v177, v178
	s_delay_alu instid0(VALU_DEP_1)
	v_dual_ashrrev_i32 v177, 31, v177 :: v_dual_lshlrev_b32 v179, 29, v167
	v_dual_lshlrev_b32 v180, 28, v167 :: v_dual_lshlrev_b32 v181, 27, v167
	v_lshlrev_b32_e32 v182, 26, v167
	s_set_vgpr_msb 16                       ;  msbs: dst=0 src0=0 src1=0 src2=1
	v_lshl_add_u32 v176, v167, 3, v41 /*v297*/
	v_cmp_gt_i32_e64 s16, 0, v179
	v_not_b32_e32 v178, v179
	v_not_b32_e32 v179, v180
	v_dual_lshlrev_b32 v183, 25, v167 :: v_dual_lshlrev_b32 v167, 24, v167
	v_cmp_gt_i32_e64 s17, 0, v180
	v_cmp_gt_i32_e64 s18, 0, v181
	v_not_b32_e32 v180, v181
	v_not_b32_e32 v181, v182
	v_dual_ashrrev_i32 v179, 31, v179 :: v_dual_bitop2_b32 v166, s14, v166 bitop3:0x14
	v_dual_ashrrev_i32 v178, 31, v178 :: v_dual_bitop2_b32 v177, s15, v177 bitop3:0x14
	v_cmp_gt_i32_e64 s19, 0, v182
	v_not_b32_e32 v182, v183
	v_cmp_gt_i32_e64 s21, 0, v167
	v_not_b32_e32 v167, v167
	v_dual_ashrrev_i32 v180, 31, v180 :: v_dual_ashrrev_i32 v181, 31, v181
	v_xor_b32_e32 v178, s16, v178
	v_xor_b32_e32 v179, s17, v179
	v_bitop3_b32 v166, v166, v177, exec_lo bitop3:0x80
	v_cmp_gt_i32_e64 s20, 0, v183
	v_dual_ashrrev_i32 v177, 31, v182 :: v_dual_ashrrev_i32 v167, 31, v167
	v_xor_b32_e32 v180, s18, v180
	s_set_vgpr_msb 0                        ;  msbs: dst=0 src0=0 src1=0 src2=0
	v_bitop3_b32 v166, v166, v179, v178 bitop3:0x80
	v_lshl_add_u32 v176, v176, 2, v12
	v_xor_b32_e32 v181, s19, v181
	v_xor_b32_e32 v177, s20, v177
	;; [unrolled: 1-line block ×3, first 2 shown]
	s_delay_alu instid0(VALU_DEP_3) | instskip(SKIP_3) | instid1(VALU_DEP_1)
	v_bitop3_b32 v178, v166, v181, v180 bitop3:0x80
	ds_load_b32 v166, v176 offset:32
	v_add_nc_u32_e32 v176, 32, v176
	; wave barrier
	v_bitop3_b32 v177, v178, v167, v177 bitop3:0x80
	v_mbcnt_lo_u32_b32 v167, v177, 0
	v_cmp_ne_u32_e64 s15, 0, v177
	s_delay_alu instid0(VALU_DEP_2) | instskip(SKIP_1) | instid1(SALU_CYCLE_1)
	v_cmp_eq_u32_e64 s14, 0, v167
	s_and_b32 s15, s15, s14
	s_and_saveexec_b32 s14, s15
	s_cbranch_execz .LBB1112_69
; %bb.68:                               ;   in Loop: Header=BB1112_53 Depth=1
	s_wait_dscnt 0x0
	v_bcnt_u32_b32 v177, v177, v166
	ds_store_b32 v176, v177
.LBB1112_69:                            ;   in Loop: Header=BB1112_53 Depth=1
	s_or_b32 exec_lo, exec_lo, s14
	v_cmp_ne_u64_e64 s14, s[22:23], v[84:85]
	; wave barrier
	s_delay_alu instid0(VALU_DEP_1) | instskip(SKIP_1) | instid1(VALU_DEP_1)
	v_cndmask_b32_e64 v179, 0x7fffffff, v85, s14
	v_cndmask_b32_e64 v178, -1, v84, s14
	v_lshrrev_b64 v[178:179], v10, v[178:179]
	s_delay_alu instid0(VALU_DEP_1) | instskip(SKIP_1) | instid1(VALU_DEP_2)
	v_and_b32_e32 v177, v178, v147
	v_bitop3_b32 v178, v178, 1, v147 bitop3:0x80
	v_lshlrev_b32_e32 v181, 30, v177
	s_delay_alu instid0(VALU_DEP_2) | instskip(NEXT) | instid1(VALU_DEP_1)
	v_add_co_u32 v178, s14, v178, -1
	v_cndmask_b32_e64 v180, 0, 1, s14
	s_delay_alu instid0(VALU_DEP_3) | instskip(NEXT) | instid1(VALU_DEP_2)
	v_cmp_gt_i32_e64 s15, 0, v181
	v_cmp_ne_u32_e64 s14, 0, v180
	v_not_b32_e32 v180, v181
	s_delay_alu instid0(VALU_DEP_1)
	v_dual_ashrrev_i32 v180, 31, v180 :: v_dual_lshlrev_b32 v182, 29, v177
	v_dual_lshlrev_b32 v183, 28, v177 :: v_dual_lshlrev_b32 v192, 27, v177
	v_lshlrev_b32_e32 v193, 26, v177
	s_set_vgpr_msb 16                       ;  msbs: dst=0 src0=0 src1=0 src2=1
	v_lshl_add_u32 v179, v177, 3, v41 /*v297*/
	v_cmp_gt_i32_e64 s16, 0, v182
	v_not_b32_e32 v181, v182
	v_not_b32_e32 v182, v183
	v_dual_lshlrev_b32 v194, 25, v177 :: v_dual_lshlrev_b32 v177, 24, v177
	v_cmp_gt_i32_e64 s17, 0, v183
	v_cmp_gt_i32_e64 s18, 0, v192
	v_not_b32_e32 v183, v192
	v_not_b32_e32 v192, v193
	v_dual_ashrrev_i32 v181, 31, v181 :: v_dual_bitop2_b32 v178, s14, v178 bitop3:0x14
	v_dual_ashrrev_i32 v182, 31, v182 :: v_dual_bitop2_b32 v180, s15, v180 bitop3:0x14
	v_cmp_gt_i32_e64 s19, 0, v193
	v_not_b32_e32 v193, v194
	v_cmp_gt_i32_e64 s21, 0, v177
	v_not_b32_e32 v177, v177
	v_dual_ashrrev_i32 v183, 31, v183 :: v_dual_ashrrev_i32 v192, 31, v192
	v_xor_b32_e32 v182, s17, v182
	v_bitop3_b32 v178, v178, v180, exec_lo bitop3:0x80
	s_set_vgpr_msb 0                        ;  msbs: dst=0 src0=0 src1=0 src2=0
	v_lshl_add_u32 v179, v179, 2, v12
	v_xor_b32_e32 v181, s16, v181
	v_cmp_gt_i32_e64 s20, 0, v194
	v_ashrrev_i32_e32 v180, 31, v193
	v_dual_ashrrev_i32 v177, 31, v177 :: v_dual_bitop2_b32 v183, s18, v183 bitop3:0x14
	v_xor_b32_e32 v192, s19, v192
	v_bitop3_b32 v178, v178, v182, v181 bitop3:0x80
	s_delay_alu instid0(VALU_DEP_4) | instskip(NEXT) | instid1(VALU_DEP_4)
	v_xor_b32_e32 v180, s20, v180
	v_xor_b32_e32 v181, s21, v177
	ds_load_b32 v177, v179 offset:32
	v_add_nc_u32_e32 v179, 32, v179
	v_bitop3_b32 v178, v178, v192, v183 bitop3:0x80
	; wave barrier
	s_delay_alu instid0(VALU_DEP_1) | instskip(NEXT) | instid1(VALU_DEP_1)
	v_bitop3_b32 v180, v178, v181, v180 bitop3:0x80
	v_mbcnt_lo_u32_b32 v178, v180, 0
	v_cmp_ne_u32_e64 s15, 0, v180
	s_delay_alu instid0(VALU_DEP_2) | instskip(SKIP_1) | instid1(SALU_CYCLE_1)
	v_cmp_eq_u32_e64 s14, 0, v178
	s_and_b32 s15, s15, s14
	s_and_saveexec_b32 s14, s15
	s_cbranch_execz .LBB1112_71
; %bb.70:                               ;   in Loop: Header=BB1112_53 Depth=1
	s_wait_dscnt 0x0
	v_bcnt_u32_b32 v180, v180, v177
	ds_store_b32 v179, v180
.LBB1112_71:                            ;   in Loop: Header=BB1112_53 Depth=1
	s_or_b32 exec_lo, exec_lo, s14
	v_cmp_ne_u64_e64 s14, s[22:23], v[86:87]
	; wave barrier
	s_delay_alu instid0(VALU_DEP_1) | instskip(SKIP_1) | instid1(VALU_DEP_1)
	v_cndmask_b32_e64 v181, 0x7fffffff, v87, s14
	v_cndmask_b32_e64 v180, -1, v86, s14
	v_lshrrev_b64 v[180:181], v10, v[180:181]
	s_delay_alu instid0(VALU_DEP_1) | instskip(SKIP_1) | instid1(VALU_DEP_2)
	v_and_b32_e32 v181, v180, v147
	v_bitop3_b32 v180, v180, 1, v147 bitop3:0x80
	v_lshlrev_b32_e32 v192, 30, v181
	s_delay_alu instid0(VALU_DEP_2) | instskip(NEXT) | instid1(VALU_DEP_1)
	v_add_co_u32 v180, s14, v180, -1
	v_cndmask_b32_e64 v183, 0, 1, s14
	v_lshlrev_b32_e32 v193, 29, v181
	s_delay_alu instid0(VALU_DEP_4) | instskip(NEXT) | instid1(VALU_DEP_3)
	v_cmp_gt_i32_e64 s15, 0, v192
	v_cmp_ne_u32_e64 s14, 0, v183
	v_not_b32_e32 v183, v192
	s_delay_alu instid0(VALU_DEP_4) | instskip(NEXT) | instid1(VALU_DEP_2)
	v_not_b32_e32 v192, v193
	v_dual_ashrrev_i32 v183, 31, v183 :: v_dual_bitop2_b32 v180, s14, v180 bitop3:0x14
	s_delay_alu instid0(VALU_DEP_2)
	v_dual_ashrrev_i32 v192, 31, v192 :: v_dual_lshlrev_b32 v194, 28, v181
	v_dual_lshlrev_b32 v195, 27, v181 :: v_dual_lshlrev_b32 v196, 26, v181
	v_cmp_gt_i32_e64 s16, 0, v193
	s_set_vgpr_msb 16                       ;  msbs: dst=0 src0=0 src1=0 src2=1
	v_lshl_add_u32 v182, v181, 3, v41 /*v297*/
	v_not_b32_e32 v193, v194
	v_dual_lshlrev_b32 v197, 25, v181 :: v_dual_lshlrev_b32 v181, 24, v181
	v_cmp_gt_i32_e64 s17, 0, v194
	v_cmp_gt_i32_e64 s18, 0, v195
	v_not_b32_e32 v194, v195
	v_not_b32_e32 v195, v196
	v_dual_ashrrev_i32 v193, 31, v193 :: v_dual_bitop2_b32 v183, s15, v183 bitop3:0x14
	v_cmp_gt_i32_e64 s19, 0, v196
	v_not_b32_e32 v196, v197
	v_cmp_gt_i32_e64 s21, 0, v181
	v_not_b32_e32 v181, v181
	v_dual_ashrrev_i32 v194, 31, v194 :: v_dual_ashrrev_i32 v195, 31, v195
	v_xor_b32_e32 v192, s16, v192
	v_xor_b32_e32 v193, s17, v193
	v_bitop3_b32 v180, v180, v183, exec_lo bitop3:0x80
	v_cmp_gt_i32_e64 s20, 0, v197
	v_dual_ashrrev_i32 v183, 31, v196 :: v_dual_ashrrev_i32 v181, 31, v181
	v_xor_b32_e32 v194, s18, v194
	s_set_vgpr_msb 0                        ;  msbs: dst=0 src0=0 src1=0 src2=0
	v_bitop3_b32 v180, v180, v193, v192 bitop3:0x80
	v_lshl_add_u32 v182, v182, 2, v12
	v_xor_b32_e32 v195, s19, v195
	v_xor_b32_e32 v183, s20, v183
	;; [unrolled: 1-line block ×3, first 2 shown]
	s_delay_alu instid0(VALU_DEP_3) | instskip(SKIP_3) | instid1(VALU_DEP_1)
	v_bitop3_b32 v192, v180, v195, v194 bitop3:0x80
	ds_load_b32 v180, v182 offset:32
	v_add_nc_u32_e32 v182, 32, v182
	; wave barrier
	v_bitop3_b32 v183, v192, v181, v183 bitop3:0x80
	v_mbcnt_lo_u32_b32 v181, v183, 0
	v_cmp_ne_u32_e64 s15, 0, v183
	s_delay_alu instid0(VALU_DEP_2) | instskip(SKIP_1) | instid1(SALU_CYCLE_1)
	v_cmp_eq_u32_e64 s14, 0, v181
	s_and_b32 s15, s15, s14
	s_and_saveexec_b32 s14, s15
	s_cbranch_execz .LBB1112_73
; %bb.72:                               ;   in Loop: Header=BB1112_53 Depth=1
	s_wait_dscnt 0x0
	v_bcnt_u32_b32 v183, v183, v180
	ds_store_b32 v182, v183
.LBB1112_73:                            ;   in Loop: Header=BB1112_53 Depth=1
	s_or_b32 exec_lo, exec_lo, s14
	v_cmp_ne_u64_e64 s14, s[22:23], v[98:99]
	; wave barrier
	s_delay_alu instid0(VALU_DEP_1) | instskip(SKIP_1) | instid1(VALU_DEP_1)
	v_cndmask_b32_e64 v193, 0x7fffffff, v99, s14
	v_cndmask_b32_e64 v192, -1, v98, s14
	v_lshrrev_b64 v[192:193], v10, v[192:193]
	s_delay_alu instid0(VALU_DEP_1) | instskip(SKIP_1) | instid1(VALU_DEP_2)
	v_and_b32_e32 v183, v192, v147
	v_bitop3_b32 v192, v192, 1, v147 bitop3:0x80
	v_lshlrev_b32_e32 v195, 30, v183
	s_delay_alu instid0(VALU_DEP_2) | instskip(NEXT) | instid1(VALU_DEP_1)
	v_add_co_u32 v192, s14, v192, -1
	v_cndmask_b32_e64 v194, 0, 1, s14
	s_delay_alu instid0(VALU_DEP_3) | instskip(NEXT) | instid1(VALU_DEP_2)
	v_cmp_gt_i32_e64 s15, 0, v195
	v_cmp_ne_u32_e64 s14, 0, v194
	v_not_b32_e32 v194, v195
	s_delay_alu instid0(VALU_DEP_1)
	v_dual_ashrrev_i32 v194, 31, v194 :: v_dual_lshlrev_b32 v196, 29, v183
	v_dual_lshlrev_b32 v197, 28, v183 :: v_dual_lshlrev_b32 v198, 27, v183
	v_lshlrev_b32_e32 v199, 26, v183
	s_set_vgpr_msb 16                       ;  msbs: dst=0 src0=0 src1=0 src2=1
	v_lshl_add_u32 v193, v183, 3, v41 /*v297*/
	v_cmp_gt_i32_e64 s16, 0, v196
	v_not_b32_e32 v195, v196
	v_not_b32_e32 v196, v197
	v_dual_lshlrev_b32 v208, 25, v183 :: v_dual_lshlrev_b32 v183, 24, v183
	v_cmp_gt_i32_e64 s17, 0, v197
	v_cmp_gt_i32_e64 s18, 0, v198
	v_not_b32_e32 v197, v198
	v_not_b32_e32 v198, v199
	v_dual_ashrrev_i32 v195, 31, v195 :: v_dual_bitop2_b32 v192, s14, v192 bitop3:0x14
	v_dual_ashrrev_i32 v196, 31, v196 :: v_dual_bitop2_b32 v194, s15, v194 bitop3:0x14
	v_cmp_gt_i32_e64 s19, 0, v199
	v_not_b32_e32 v199, v208
	v_cmp_gt_i32_e64 s21, 0, v183
	v_not_b32_e32 v183, v183
	v_dual_ashrrev_i32 v197, 31, v197 :: v_dual_ashrrev_i32 v198, 31, v198
	v_xor_b32_e32 v196, s17, v196
	v_bitop3_b32 v192, v192, v194, exec_lo bitop3:0x80
	s_set_vgpr_msb 0                        ;  msbs: dst=0 src0=0 src1=0 src2=0
	v_lshl_add_u32 v193, v193, 2, v12
	v_xor_b32_e32 v195, s16, v195
	v_cmp_gt_i32_e64 s20, 0, v208
	v_ashrrev_i32_e32 v194, 31, v199
	v_dual_ashrrev_i32 v183, 31, v183 :: v_dual_bitop2_b32 v197, s18, v197 bitop3:0x14
	v_xor_b32_e32 v198, s19, v198
	v_bitop3_b32 v192, v192, v196, v195 bitop3:0x80
	s_delay_alu instid0(VALU_DEP_4) | instskip(NEXT) | instid1(VALU_DEP_4)
	v_xor_b32_e32 v194, s20, v194
	v_xor_b32_e32 v195, s21, v183
	ds_load_b32 v183, v193 offset:32
	v_add_nc_u32_e32 v193, 32, v193
	v_bitop3_b32 v192, v192, v198, v197 bitop3:0x80
	; wave barrier
	s_delay_alu instid0(VALU_DEP_1) | instskip(NEXT) | instid1(VALU_DEP_1)
	v_bitop3_b32 v194, v192, v195, v194 bitop3:0x80
	v_mbcnt_lo_u32_b32 v192, v194, 0
	v_cmp_ne_u32_e64 s15, 0, v194
	s_delay_alu instid0(VALU_DEP_2) | instskip(SKIP_1) | instid1(SALU_CYCLE_1)
	v_cmp_eq_u32_e64 s14, 0, v192
	s_and_b32 s15, s15, s14
	s_and_saveexec_b32 s14, s15
	s_cbranch_execz .LBB1112_75
; %bb.74:                               ;   in Loop: Header=BB1112_53 Depth=1
	s_wait_dscnt 0x0
	v_bcnt_u32_b32 v194, v194, v183
	ds_store_b32 v193, v194
.LBB1112_75:                            ;   in Loop: Header=BB1112_53 Depth=1
	s_or_b32 exec_lo, exec_lo, s14
	v_cmp_ne_u64_e64 s14, s[22:23], v[96:97]
	; wave barrier
	s_delay_alu instid0(VALU_DEP_1) | instskip(SKIP_1) | instid1(VALU_DEP_1)
	v_cndmask_b32_e64 v195, 0x7fffffff, v97, s14
	v_cndmask_b32_e64 v194, -1, v96, s14
	v_lshrrev_b64 v[194:195], v10, v[194:195]
	s_delay_alu instid0(VALU_DEP_1) | instskip(SKIP_1) | instid1(VALU_DEP_2)
	v_and_b32_e32 v195, v194, v147
	v_bitop3_b32 v194, v194, 1, v147 bitop3:0x80
	v_lshlrev_b32_e32 v198, 30, v195
	s_delay_alu instid0(VALU_DEP_2) | instskip(NEXT) | instid1(VALU_DEP_1)
	v_add_co_u32 v194, s14, v194, -1
	v_cndmask_b32_e64 v197, 0, 1, s14
	s_delay_alu instid0(VALU_DEP_3) | instskip(NEXT) | instid1(VALU_DEP_2)
	v_cmp_gt_i32_e64 s15, 0, v198
	v_cmp_ne_u32_e64 s14, 0, v197
	v_not_b32_e32 v197, v198
	s_delay_alu instid0(VALU_DEP_1)
	v_dual_ashrrev_i32 v197, 31, v197 :: v_dual_lshlrev_b32 v199, 29, v195
	v_dual_lshlrev_b32 v208, 28, v195 :: v_dual_lshlrev_b32 v209, 27, v195
	v_lshlrev_b32_e32 v210, 26, v195
	s_set_vgpr_msb 16                       ;  msbs: dst=0 src0=0 src1=0 src2=1
	v_lshl_add_u32 v196, v195, 3, v41 /*v297*/
	v_cmp_gt_i32_e64 s16, 0, v199
	v_not_b32_e32 v198, v199
	v_not_b32_e32 v199, v208
	v_dual_lshlrev_b32 v211, 25, v195 :: v_dual_lshlrev_b32 v195, 24, v195
	v_cmp_gt_i32_e64 s17, 0, v208
	v_cmp_gt_i32_e64 s18, 0, v209
	v_not_b32_e32 v208, v209
	v_not_b32_e32 v209, v210
	v_dual_ashrrev_i32 v199, 31, v199 :: v_dual_bitop2_b32 v194, s14, v194 bitop3:0x14
	v_dual_ashrrev_i32 v198, 31, v198 :: v_dual_bitop2_b32 v197, s15, v197 bitop3:0x14
	v_cmp_gt_i32_e64 s19, 0, v210
	v_not_b32_e32 v210, v211
	v_cmp_gt_i32_e64 s21, 0, v195
	v_not_b32_e32 v195, v195
	v_dual_ashrrev_i32 v208, 31, v208 :: v_dual_ashrrev_i32 v209, 31, v209
	v_xor_b32_e32 v198, s16, v198
	v_xor_b32_e32 v199, s17, v199
	v_bitop3_b32 v194, v194, v197, exec_lo bitop3:0x80
	v_cmp_gt_i32_e64 s20, 0, v211
	v_dual_ashrrev_i32 v197, 31, v210 :: v_dual_ashrrev_i32 v195, 31, v195
	v_xor_b32_e32 v208, s18, v208
	s_set_vgpr_msb 0                        ;  msbs: dst=0 src0=0 src1=0 src2=0
	v_bitop3_b32 v194, v194, v199, v198 bitop3:0x80
	v_lshl_add_u32 v196, v196, 2, v12
	v_xor_b32_e32 v209, s19, v209
	v_xor_b32_e32 v197, s20, v197
	;; [unrolled: 1-line block ×3, first 2 shown]
	s_delay_alu instid0(VALU_DEP_3) | instskip(SKIP_3) | instid1(VALU_DEP_1)
	v_bitop3_b32 v198, v194, v209, v208 bitop3:0x80
	ds_load_b32 v194, v196 offset:32
	v_add_nc_u32_e32 v196, 32, v196
	; wave barrier
	v_bitop3_b32 v197, v198, v195, v197 bitop3:0x80
	v_mbcnt_lo_u32_b32 v195, v197, 0
	v_cmp_ne_u32_e64 s15, 0, v197
	s_delay_alu instid0(VALU_DEP_2) | instskip(SKIP_1) | instid1(SALU_CYCLE_1)
	v_cmp_eq_u32_e64 s14, 0, v195
	s_and_b32 s15, s15, s14
	s_and_saveexec_b32 s14, s15
	s_cbranch_execz .LBB1112_77
; %bb.76:                               ;   in Loop: Header=BB1112_53 Depth=1
	s_wait_dscnt 0x0
	v_bcnt_u32_b32 v197, v197, v194
	ds_store_b32 v196, v197
.LBB1112_77:                            ;   in Loop: Header=BB1112_53 Depth=1
	s_or_b32 exec_lo, exec_lo, s14
	v_cmp_ne_u64_e64 s14, s[22:23], v[112:113]
	; wave barrier
	s_delay_alu instid0(VALU_DEP_1) | instskip(SKIP_1) | instid1(VALU_DEP_1)
	v_cndmask_b32_e64 v199, 0x7fffffff, v113, s14
	v_cndmask_b32_e64 v198, -1, v112, s14
	v_lshrrev_b64 v[198:199], v10, v[198:199]
	s_delay_alu instid0(VALU_DEP_1) | instskip(SKIP_1) | instid1(VALU_DEP_2)
	v_and_b32_e32 v197, v198, v147
	v_bitop3_b32 v198, v198, 1, v147 bitop3:0x80
	v_lshlrev_b32_e32 v209, 30, v197
	s_delay_alu instid0(VALU_DEP_2) | instskip(NEXT) | instid1(VALU_DEP_1)
	v_add_co_u32 v198, s14, v198, -1
	v_cndmask_b32_e64 v208, 0, 1, s14
	s_delay_alu instid0(VALU_DEP_3) | instskip(NEXT) | instid1(VALU_DEP_2)
	v_cmp_gt_i32_e64 s15, 0, v209
	v_cmp_ne_u32_e64 s14, 0, v208
	v_not_b32_e32 v208, v209
	s_delay_alu instid0(VALU_DEP_1)
	v_dual_ashrrev_i32 v208, 31, v208 :: v_dual_lshlrev_b32 v210, 29, v197
	v_dual_lshlrev_b32 v211, 28, v197 :: v_dual_lshlrev_b32 v212, 27, v197
	v_lshlrev_b32_e32 v213, 26, v197
	s_set_vgpr_msb 16                       ;  msbs: dst=0 src0=0 src1=0 src2=1
	v_lshl_add_u32 v199, v197, 3, v41 /*v297*/
	v_cmp_gt_i32_e64 s16, 0, v210
	v_not_b32_e32 v209, v210
	v_not_b32_e32 v210, v211
	v_dual_lshlrev_b32 v214, 25, v197 :: v_dual_lshlrev_b32 v197, 24, v197
	v_cmp_gt_i32_e64 s17, 0, v211
	v_cmp_gt_i32_e64 s18, 0, v212
	v_not_b32_e32 v211, v212
	v_not_b32_e32 v212, v213
	v_dual_ashrrev_i32 v209, 31, v209 :: v_dual_bitop2_b32 v198, s14, v198 bitop3:0x14
	v_dual_ashrrev_i32 v210, 31, v210 :: v_dual_bitop2_b32 v208, s15, v208 bitop3:0x14
	v_cmp_gt_i32_e64 s19, 0, v213
	v_not_b32_e32 v213, v214
	v_cmp_gt_i32_e64 s21, 0, v197
	v_not_b32_e32 v197, v197
	v_dual_ashrrev_i32 v211, 31, v211 :: v_dual_ashrrev_i32 v212, 31, v212
	v_xor_b32_e32 v210, s17, v210
	v_bitop3_b32 v198, v198, v208, exec_lo bitop3:0x80
	s_set_vgpr_msb 0                        ;  msbs: dst=0 src0=0 src1=0 src2=0
	v_lshl_add_u32 v199, v199, 2, v12
	v_xor_b32_e32 v209, s16, v209
	v_cmp_gt_i32_e64 s20, 0, v214
	v_ashrrev_i32_e32 v208, 31, v213
	v_dual_ashrrev_i32 v197, 31, v197 :: v_dual_bitop2_b32 v211, s18, v211 bitop3:0x14
	v_xor_b32_e32 v212, s19, v212
	v_bitop3_b32 v198, v198, v210, v209 bitop3:0x80
	s_delay_alu instid0(VALU_DEP_4) | instskip(NEXT) | instid1(VALU_DEP_4)
	v_xor_b32_e32 v208, s20, v208
	v_xor_b32_e32 v209, s21, v197
	ds_load_b32 v197, v199 offset:32
	v_add_nc_u32_e32 v199, 32, v199
	v_bitop3_b32 v198, v198, v212, v211 bitop3:0x80
	; wave barrier
	s_delay_alu instid0(VALU_DEP_1) | instskip(NEXT) | instid1(VALU_DEP_1)
	v_bitop3_b32 v208, v198, v209, v208 bitop3:0x80
	v_mbcnt_lo_u32_b32 v198, v208, 0
	v_cmp_ne_u32_e64 s15, 0, v208
	s_delay_alu instid0(VALU_DEP_2) | instskip(SKIP_1) | instid1(SALU_CYCLE_1)
	v_cmp_eq_u32_e64 s14, 0, v198
	s_and_b32 s15, s15, s14
	s_and_saveexec_b32 s14, s15
	s_cbranch_execz .LBB1112_79
; %bb.78:                               ;   in Loop: Header=BB1112_53 Depth=1
	s_wait_dscnt 0x0
	v_bcnt_u32_b32 v208, v208, v197
	ds_store_b32 v199, v208
.LBB1112_79:                            ;   in Loop: Header=BB1112_53 Depth=1
	s_or_b32 exec_lo, exec_lo, s14
	v_cmp_ne_u64_e64 s14, s[22:23], v[102:103]
	; wave barrier
	s_delay_alu instid0(VALU_DEP_1) | instskip(SKIP_1) | instid1(VALU_DEP_1)
	v_cndmask_b32_e64 v209, 0x7fffffff, v103, s14
	v_cndmask_b32_e64 v208, -1, v102, s14
	v_lshrrev_b64 v[208:209], v10, v[208:209]
	s_delay_alu instid0(VALU_DEP_1) | instskip(SKIP_1) | instid1(VALU_DEP_2)
	v_and_b32_e32 v209, v208, v147
	v_bitop3_b32 v208, v208, 1, v147 bitop3:0x80
	v_lshlrev_b32_e32 v212, 30, v209
	s_delay_alu instid0(VALU_DEP_2) | instskip(NEXT) | instid1(VALU_DEP_1)
	v_add_co_u32 v208, s14, v208, -1
	v_cndmask_b32_e64 v211, 0, 1, s14
	v_lshlrev_b32_e32 v213, 29, v209
	s_delay_alu instid0(VALU_DEP_4) | instskip(NEXT) | instid1(VALU_DEP_3)
	v_cmp_gt_i32_e64 s15, 0, v212
	v_cmp_ne_u32_e64 s14, 0, v211
	v_not_b32_e32 v211, v212
	s_delay_alu instid0(VALU_DEP_4) | instskip(NEXT) | instid1(VALU_DEP_2)
	v_not_b32_e32 v212, v213
	v_dual_ashrrev_i32 v211, 31, v211 :: v_dual_bitop2_b32 v208, s14, v208 bitop3:0x14
	s_delay_alu instid0(VALU_DEP_2)
	v_dual_ashrrev_i32 v212, 31, v212 :: v_dual_lshlrev_b32 v214, 28, v209
	v_dual_lshlrev_b32 v215, 27, v209 :: v_dual_lshlrev_b32 v224, 26, v209
	v_cmp_gt_i32_e64 s16, 0, v213
	s_set_vgpr_msb 16                       ;  msbs: dst=0 src0=0 src1=0 src2=1
	v_lshl_add_u32 v210, v209, 3, v41 /*v297*/
	v_not_b32_e32 v213, v214
	v_dual_lshlrev_b32 v225, 25, v209 :: v_dual_lshlrev_b32 v209, 24, v209
	v_cmp_gt_i32_e64 s17, 0, v214
	v_cmp_gt_i32_e64 s18, 0, v215
	v_not_b32_e32 v214, v215
	v_not_b32_e32 v215, v224
	v_dual_ashrrev_i32 v213, 31, v213 :: v_dual_bitop2_b32 v211, s15, v211 bitop3:0x14
	v_cmp_gt_i32_e64 s19, 0, v224
	v_not_b32_e32 v224, v225
	v_cmp_gt_i32_e64 s21, 0, v209
	v_not_b32_e32 v209, v209
	v_dual_ashrrev_i32 v214, 31, v214 :: v_dual_ashrrev_i32 v215, 31, v215
	v_xor_b32_e32 v212, s16, v212
	v_xor_b32_e32 v213, s17, v213
	v_bitop3_b32 v208, v208, v211, exec_lo bitop3:0x80
	v_cmp_gt_i32_e64 s20, 0, v225
	v_dual_ashrrev_i32 v211, 31, v224 :: v_dual_ashrrev_i32 v209, 31, v209
	v_xor_b32_e32 v214, s18, v214
	s_set_vgpr_msb 0                        ;  msbs: dst=0 src0=0 src1=0 src2=0
	v_bitop3_b32 v208, v208, v213, v212 bitop3:0x80
	v_lshl_add_u32 v210, v210, 2, v12
	v_xor_b32_e32 v215, s19, v215
	v_xor_b32_e32 v211, s20, v211
	;; [unrolled: 1-line block ×3, first 2 shown]
	s_delay_alu instid0(VALU_DEP_3) | instskip(SKIP_3) | instid1(VALU_DEP_1)
	v_bitop3_b32 v212, v208, v215, v214 bitop3:0x80
	ds_load_b32 v208, v210 offset:32
	v_add_nc_u32_e32 v210, 32, v210
	; wave barrier
	v_bitop3_b32 v211, v212, v209, v211 bitop3:0x80
	v_mbcnt_lo_u32_b32 v209, v211, 0
	v_cmp_ne_u32_e64 s15, 0, v211
	s_delay_alu instid0(VALU_DEP_2) | instskip(SKIP_1) | instid1(SALU_CYCLE_1)
	v_cmp_eq_u32_e64 s14, 0, v209
	s_and_b32 s15, s15, s14
	s_and_saveexec_b32 s14, s15
	s_cbranch_execz .LBB1112_81
; %bb.80:                               ;   in Loop: Header=BB1112_53 Depth=1
	s_wait_dscnt 0x0
	v_bcnt_u32_b32 v211, v211, v208
	ds_store_b32 v210, v211
.LBB1112_81:                            ;   in Loop: Header=BB1112_53 Depth=1
	s_or_b32 exec_lo, exec_lo, s14
	v_cmp_ne_u64_e64 s14, s[22:23], v[100:101]
	; wave barrier
	s_delay_alu instid0(VALU_DEP_1) | instskip(SKIP_1) | instid1(VALU_DEP_1)
	v_cndmask_b32_e64 v213, 0x7fffffff, v101, s14
	v_cndmask_b32_e64 v212, -1, v100, s14
	v_lshrrev_b64 v[212:213], v10, v[212:213]
	s_delay_alu instid0(VALU_DEP_1) | instskip(SKIP_1) | instid1(VALU_DEP_2)
	v_and_b32_e32 v211, v212, v147
	v_bitop3_b32 v212, v212, 1, v147 bitop3:0x80
	v_lshlrev_b32_e32 v215, 30, v211
	s_delay_alu instid0(VALU_DEP_2) | instskip(NEXT) | instid1(VALU_DEP_1)
	v_add_co_u32 v212, s14, v212, -1
	v_cndmask_b32_e64 v214, 0, 1, s14
	s_delay_alu instid0(VALU_DEP_3) | instskip(NEXT) | instid1(VALU_DEP_2)
	v_cmp_gt_i32_e64 s15, 0, v215
	v_cmp_ne_u32_e64 s14, 0, v214
	v_not_b32_e32 v214, v215
	s_delay_alu instid0(VALU_DEP_1)
	v_dual_ashrrev_i32 v214, 31, v214 :: v_dual_lshlrev_b32 v224, 29, v211
	v_dual_lshlrev_b32 v225, 28, v211 :: v_dual_lshlrev_b32 v226, 27, v211
	v_lshlrev_b32_e32 v227, 26, v211
	s_set_vgpr_msb 16                       ;  msbs: dst=0 src0=0 src1=0 src2=1
	v_lshl_add_u32 v213, v211, 3, v41 /*v297*/
	v_cmp_gt_i32_e64 s16, 0, v224
	v_not_b32_e32 v215, v224
	v_not_b32_e32 v224, v225
	v_dual_lshlrev_b32 v228, 25, v211 :: v_dual_lshlrev_b32 v211, 24, v211
	v_cmp_gt_i32_e64 s17, 0, v225
	v_cmp_gt_i32_e64 s18, 0, v226
	v_not_b32_e32 v225, v226
	v_not_b32_e32 v226, v227
	v_dual_ashrrev_i32 v215, 31, v215 :: v_dual_bitop2_b32 v212, s14, v212 bitop3:0x14
	v_dual_ashrrev_i32 v224, 31, v224 :: v_dual_bitop2_b32 v214, s15, v214 bitop3:0x14
	v_cmp_gt_i32_e64 s19, 0, v227
	v_not_b32_e32 v227, v228
	v_cmp_gt_i32_e64 s21, 0, v211
	v_not_b32_e32 v211, v211
	v_dual_ashrrev_i32 v225, 31, v225 :: v_dual_ashrrev_i32 v226, 31, v226
	v_xor_b32_e32 v224, s17, v224
	v_bitop3_b32 v212, v212, v214, exec_lo bitop3:0x80
	s_set_vgpr_msb 0                        ;  msbs: dst=0 src0=0 src1=0 src2=0
	v_lshl_add_u32 v213, v213, 2, v12
	v_xor_b32_e32 v215, s16, v215
	v_cmp_gt_i32_e64 s20, 0, v228
	v_ashrrev_i32_e32 v214, 31, v227
	v_dual_ashrrev_i32 v211, 31, v211 :: v_dual_bitop2_b32 v225, s18, v225 bitop3:0x14
	v_xor_b32_e32 v226, s19, v226
	v_bitop3_b32 v212, v212, v224, v215 bitop3:0x80
	s_delay_alu instid0(VALU_DEP_4) | instskip(NEXT) | instid1(VALU_DEP_4)
	v_xor_b32_e32 v214, s20, v214
	v_xor_b32_e32 v215, s21, v211
	ds_load_b32 v211, v213 offset:32
	v_add_nc_u32_e32 v213, 32, v213
	v_bitop3_b32 v212, v212, v226, v225 bitop3:0x80
	; wave barrier
	s_delay_alu instid0(VALU_DEP_1) | instskip(NEXT) | instid1(VALU_DEP_1)
	v_bitop3_b32 v214, v212, v215, v214 bitop3:0x80
	v_mbcnt_lo_u32_b32 v212, v214, 0
	v_cmp_ne_u32_e64 s15, 0, v214
	s_delay_alu instid0(VALU_DEP_2) | instskip(SKIP_1) | instid1(SALU_CYCLE_1)
	v_cmp_eq_u32_e64 s14, 0, v212
	s_and_b32 s15, s15, s14
	s_and_saveexec_b32 s14, s15
	s_cbranch_execz .LBB1112_83
; %bb.82:                               ;   in Loop: Header=BB1112_53 Depth=1
	s_wait_dscnt 0x0
	v_bcnt_u32_b32 v214, v214, v211
	ds_store_b32 v213, v214
.LBB1112_83:                            ;   in Loop: Header=BB1112_53 Depth=1
	s_or_b32 exec_lo, exec_lo, s14
	v_cmp_ne_u64_e64 s14, s[22:23], v[114:115]
	; wave barrier
	s_delay_alu instid0(VALU_DEP_1) | instskip(SKIP_1) | instid1(VALU_DEP_1)
	v_cndmask_b32_e64 v215, 0x7fffffff, v115, s14
	v_cndmask_b32_e64 v214, -1, v114, s14
	v_lshrrev_b64 v[214:215], v10, v[214:215]
	s_delay_alu instid0(VALU_DEP_1) | instskip(SKIP_1) | instid1(VALU_DEP_2)
	v_and_b32_e32 v215, v214, v147
	v_bitop3_b32 v147, v214, 1, v147 bitop3:0x80
	v_lshlrev_b32_e32 v225, 30, v215
	s_delay_alu instid0(VALU_DEP_2) | instskip(NEXT) | instid1(VALU_DEP_1)
	v_add_co_u32 v147, s14, v147, -1
	v_cndmask_b32_e64 v224, 0, 1, s14
	s_delay_alu instid0(VALU_DEP_3) | instskip(NEXT) | instid1(VALU_DEP_2)
	v_cmp_gt_i32_e64 s15, 0, v225
	v_cmp_ne_u32_e64 s14, 0, v224
	v_not_b32_e32 v224, v225
	s_delay_alu instid0(VALU_DEP_1)
	v_dual_ashrrev_i32 v224, 31, v224 :: v_dual_lshlrev_b32 v226, 29, v215
	v_dual_lshlrev_b32 v227, 28, v215 :: v_dual_lshlrev_b32 v228, 27, v215
	v_lshlrev_b32_e32 v229, 26, v215
	s_set_vgpr_msb 16                       ;  msbs: dst=0 src0=0 src1=0 src2=1
	v_lshl_add_u32 v214, v215, 3, v41 /*v297*/
	v_cmp_gt_i32_e64 s16, 0, v226
	v_not_b32_e32 v225, v226
	v_not_b32_e32 v226, v227
	v_dual_lshlrev_b32 v230, 25, v215 :: v_dual_lshlrev_b32 v215, 24, v215
	v_cmp_gt_i32_e64 s17, 0, v227
	v_cmp_gt_i32_e64 s18, 0, v228
	v_not_b32_e32 v227, v228
	v_not_b32_e32 v228, v229
	v_dual_ashrrev_i32 v225, 31, v225 :: v_dual_bitop2_b32 v147, s14, v147 bitop3:0x14
	v_dual_ashrrev_i32 v226, 31, v226 :: v_dual_bitop2_b32 v224, s15, v224 bitop3:0x14
	v_cmp_gt_i32_e64 s19, 0, v229
	v_not_b32_e32 v229, v230
	v_cmp_gt_i32_e64 s21, 0, v215
	v_not_b32_e32 v215, v215
	v_dual_ashrrev_i32 v227, 31, v227 :: v_dual_ashrrev_i32 v228, 31, v228
	v_xor_b32_e32 v225, s16, v225
	v_xor_b32_e32 v226, s17, v226
	v_bitop3_b32 v147, v147, v224, exec_lo bitop3:0x80
	v_cmp_gt_i32_e64 s20, 0, v230
	v_dual_ashrrev_i32 v224, 31, v229 :: v_dual_ashrrev_i32 v215, 31, v215
	v_xor_b32_e32 v228, s19, v228
	s_set_vgpr_msb 0                        ;  msbs: dst=0 src0=0 src1=0 src2=0
	v_bitop3_b32 v147, v147, v226, v225 bitop3:0x80
	v_lshl_add_u32 v225, v214, 2, v12
	v_xor_b32_e32 v227, s18, v227
	v_xor_b32_e32 v214, s20, v224
	;; [unrolled: 1-line block ×3, first 2 shown]
	s_delay_alu instid0(VALU_DEP_3) | instskip(SKIP_3) | instid1(VALU_DEP_2)
	v_bitop3_b32 v224, v147, v228, v227 bitop3:0x80
	ds_load_b32 v147, v225 offset:32
	; wave barrier
	v_bitop3_b32 v224, v224, v215, v214 bitop3:0x80
	v_add_nc_u32_e32 v215, 32, v225
	v_mbcnt_lo_u32_b32 v214, v224, 0
	v_cmp_ne_u32_e64 s15, 0, v224
	s_delay_alu instid0(VALU_DEP_2) | instskip(SKIP_1) | instid1(SALU_CYCLE_1)
	v_cmp_eq_u32_e64 s14, 0, v214
	s_and_b32 s15, s15, s14
	s_and_saveexec_b32 s14, s15
	s_cbranch_execz .LBB1112_85
; %bb.84:                               ;   in Loop: Header=BB1112_53 Depth=1
	s_wait_dscnt 0x0
	v_bcnt_u32_b32 v224, v224, v147
	ds_store_b32 v215, v224
.LBB1112_85:                            ;   in Loop: Header=BB1112_53 Depth=1
	s_or_b32 exec_lo, exec_lo, s14
	; wave barrier
	s_wait_dscnt 0x0
	s_barrier_signal -1
	s_barrier_wait -1
	ds_load_b32 v228, v23
	ds_load_b32 v229, v39
	s_set_vgpr_msb 1                        ;  msbs: dst=0 src0=1 src1=0 src2=0
	ds_load_b32 v230, v35 /*v291*/
	ds_load_b32 v227, v36 /*v292*/
	;; [unrolled: 1-line block ×6, first 2 shown]
	s_wait_dscnt 0x6
	s_set_vgpr_msb 0                        ;  msbs: dst=0 src0=0 src1=0 src2=0
	v_add_nc_u32_e32 v240, v229, v228
	s_wait_dscnt 0x4
	s_delay_alu instid0(VALU_DEP_1) | instskip(SKIP_1) | instid1(VALU_DEP_1)
	v_add3_u32 v240, v240, v230, v227
	s_wait_dscnt 0x2
	v_add3_u32 v240, v240, v226, v225
	s_wait_dscnt 0x0
	s_delay_alu instid0(VALU_DEP_1) | instskip(NEXT) | instid1(VALU_DEP_1)
	v_add3_u32 v231, v240, v224, v231
	v_mov_b32_dpp v240, v231 row_shr:1 row_mask:0xf bank_mask:0xf
	s_delay_alu instid0(VALU_DEP_1) | instskip(NEXT) | instid1(VALU_DEP_1)
	v_cndmask_b32_e64 v240, v240, 0, vcc_lo
	v_add_nc_u32_e32 v231, v240, v231
	s_delay_alu instid0(VALU_DEP_1) | instskip(NEXT) | instid1(VALU_DEP_1)
	v_mov_b32_dpp v240, v231 row_shr:2 row_mask:0xf bank_mask:0xf
	v_cndmask_b32_e64 v240, 0, v240, s0
	s_delay_alu instid0(VALU_DEP_1) | instskip(NEXT) | instid1(VALU_DEP_1)
	v_add_nc_u32_e32 v231, v231, v240
	v_mov_b32_dpp v240, v231 row_shr:4 row_mask:0xf bank_mask:0xf
	s_delay_alu instid0(VALU_DEP_1) | instskip(NEXT) | instid1(VALU_DEP_1)
	v_cndmask_b32_e64 v240, 0, v240, s1
	v_add_nc_u32_e32 v231, v231, v240
	s_delay_alu instid0(VALU_DEP_1) | instskip(NEXT) | instid1(VALU_DEP_1)
	v_mov_b32_dpp v240, v231 row_shr:8 row_mask:0xf bank_mask:0xf
	v_cndmask_b32_e64 v240, 0, v240, s3
	s_delay_alu instid0(VALU_DEP_1) | instskip(SKIP_3) | instid1(VALU_DEP_1)
	v_add_nc_u32_e32 v231, v231, v240
	ds_swizzle_b32 v240, v231 offset:swizzle(BROADCAST,32,15)
	s_wait_dscnt 0x0
	v_cndmask_b32_e64 v240, v240, 0, s4
	v_add_nc_u32_e32 v231, v231, v240
	s_and_saveexec_b32 s14, s5
; %bb.86:                               ;   in Loop: Header=BB1112_53 Depth=1
	s_set_vgpr_msb 1                        ;  msbs: dst=0 src0=1 src1=0 src2=0
	ds_store_b32 v43 /*v299*/, v231
; %bb.87:                               ;   in Loop: Header=BB1112_53 Depth=1
	s_or_b32 exec_lo, exec_lo, s14
	s_wait_dscnt 0x0
	s_barrier_signal -1
	s_barrier_wait -1
	s_and_saveexec_b32 s14, s6
	s_set_vgpr_msb 0                        ;  msbs: dst=0 src0=0 src1=0 src2=0
	s_cbranch_execz .LBB1112_89
; %bb.88:                               ;   in Loop: Header=BB1112_53 Depth=1
	s_set_vgpr_msb 1                        ;  msbs: dst=0 src0=1 src1=0 src2=0
	ds_load_b32 v240, v44 /*v300*/
	s_wait_dscnt 0x0
	s_set_vgpr_msb 0                        ;  msbs: dst=0 src0=0 src1=0 src2=0
	v_mov_b32_dpp v241, v240 row_shr:1 row_mask:0xf bank_mask:0xf
	s_delay_alu instid0(VALU_DEP_1) | instskip(NEXT) | instid1(VALU_DEP_1)
	v_cndmask_b32_e64 v241, v241, 0, s11
	v_add_nc_u32_e32 v240, v241, v240
	s_delay_alu instid0(VALU_DEP_1) | instskip(NEXT) | instid1(VALU_DEP_1)
	v_mov_b32_dpp v241, v240 row_shr:2 row_mask:0xf bank_mask:0xf
	v_cndmask_b32_e64 v241, 0, v241, s12
	s_delay_alu instid0(VALU_DEP_1) | instskip(NEXT) | instid1(VALU_DEP_1)
	v_add_nc_u32_e32 v240, v240, v241
	v_mov_b32_dpp v241, v240 row_shr:4 row_mask:0xf bank_mask:0xf
	s_delay_alu instid0(VALU_DEP_1) | instskip(NEXT) | instid1(VALU_DEP_1)
	v_cndmask_b32_e64 v241, 0, v241, s13
	v_add_nc_u32_e32 v240, v240, v241
	s_set_vgpr_msb 1                        ;  msbs: dst=0 src0=1 src1=0 src2=0
	ds_store_b32 v44 /*v300*/, v240
.LBB1112_89:                            ;   in Loop: Header=BB1112_53 Depth=1
	s_or_b32 exec_lo, exec_lo, s14
	s_set_vgpr_msb 0                        ;  msbs: dst=0 src0=0 src1=0 src2=0
	v_mov_b32_e32 v240, 0
	s_wait_dscnt 0x0
	s_barrier_signal -1
	s_barrier_wait -1
	s_and_saveexec_b32 s14, s7
; %bb.90:                               ;   in Loop: Header=BB1112_53 Depth=1
	s_set_vgpr_msb 1                        ;  msbs: dst=0 src0=1 src1=0 src2=0
	ds_load_b32 v240, v46 /*v302*/
; %bb.91:                               ;   in Loop: Header=BB1112_53 Depth=1
	s_or_b32 exec_lo, exec_lo, s14
	s_wait_dscnt 0x0
	s_set_vgpr_msb 0                        ;  msbs: dst=0 src0=0 src1=0 src2=0
	v_dual_add_nc_u32 v231, v240, v231 :: v_dual_add_nc_u32 v10, 8, v10
	v_dual_mov_b32 v245, v1 :: v_dual_mov_b32 v247, v1
	s_set_vgpr_msb 64                       ;  msbs: dst=1 src0=0 src1=0 src2=0
	v_dual_mov_b32 v1 /*v257*/, v1 :: v_dual_mov_b32 v21 /*v277*/, v1
	s_set_vgpr_msb 1                        ;  msbs: dst=0 src0=1 src1=0 src2=0
	ds_bpermute_b32 v231, v42 /*v298*/, v231
	s_set_vgpr_msb 64                       ;  msbs: dst=1 src0=0 src1=0 src2=0
	v_dual_mov_b32 v23 /*v279*/, v1 :: v_dual_mov_b32 v25 /*v281*/, v1
	s_mov_b32 s16, -1
	s_wait_dscnt 0x0
	s_set_vgpr_msb 0                        ;  msbs: dst=0 src0=0 src1=0 src2=0
	v_dual_mov_b32 v243, v1 :: v_dual_cndmask_b32 v231, v231, v240, s2
	s_delay_alu instid0(VALU_DEP_1) | instskip(SKIP_2) | instid1(VALU_DEP_3)
	v_cndmask_b32_e64 v240, v231, 0, s10
	v_mov_b32_e32 v231, v1
	v_cmp_lt_u32_e64 s14, v10, v11
	v_add_nc_u32_e32 v228, v240, v228
	s_delay_alu instid0(VALU_DEP_1)
	v_dual_mov_b32 v229, v1 :: v_dual_add_nc_u32 v242, v228, v229
	ds_store_b32 v23, v240
	ds_store_b32 v39, v228
	s_set_vgpr_msb 1                        ;  msbs: dst=0 src0=1 src1=0 src2=0
	ds_store_b32 v35 /*v291*/, v242
	s_set_vgpr_msb 0                        ;  msbs: dst=0 src0=0 src1=0 src2=0
	v_dual_mov_b32 v241, v1 :: v_dual_add_nc_u32 v230, v242, v230
	s_delay_alu instid0(VALU_DEP_1) | instskip(NEXT) | instid1(VALU_DEP_1)
	v_dual_mov_b32 v227, v1 :: v_dual_add_nc_u32 v244, v230, v227
	v_add_nc_u32_e32 v226, v244, v226
	s_delay_alu instid0(VALU_DEP_1) | instskip(NEXT) | instid1(VALU_DEP_1)
	v_dual_mov_b32 v225, v1 :: v_dual_add_nc_u32 v246, v226, v225
	v_add_nc_u32_e32 v224, v246, v224
	s_set_vgpr_msb 1                        ;  msbs: dst=0 src0=1 src1=0 src2=0
	ds_store_b32 v36 /*v292*/, v230
	ds_store_b32 v37 /*v293*/, v244
	;; [unrolled: 1-line block ×5, first 2 shown]
	s_wait_dscnt 0x0
	s_barrier_signal -1
	s_barrier_wait -1
	s_set_vgpr_msb 0                        ;  msbs: dst=0 src0=0 src1=0 src2=0
	ds_load_b32 v130, v130
	ds_load_b32 v224, v133
	;; [unrolled: 1-line block ×16, first 2 shown]
	v_dual_mov_b32 v133, v1 :: v_dual_mov_b32 v151, v1
	v_mov_b32_e32 v165, v1
	s_wait_dscnt 0x0
	v_add_nc_u32_e32 v0, v130, v0
	v_add3_u32 v228, v132, v131, v224
	v_add3_u32 v230, v135, v134, v144
	;; [unrolled: 1-line block ×7, first 2 shown]
	s_set_vgpr_msb 64                       ;  msbs: dst=1 src0=0 src1=0 src2=0
	v_add3_u32 v0 /*v256*/, v178, v177, v179
	v_add3_u32 v20 /*v276*/, v181, v180, v182
	v_add3_u32 v22 /*v278*/, v192, v183, v193
	v_add3_u32 v24 /*v280*/, v195, v194, v196
	s_set_vgpr_msb 0                        ;  msbs: dst=0 src0=0 src1=0 src2=0
	v_add3_u32 v224, v198, v197, v199
	v_add3_u32 v132, v209, v208, v210
	;; [unrolled: 1-line block ×4, first 2 shown]
	s_set_vgpr_msb 64                       ;  msbs: dst=1 src0=0 src1=0 src2=0
	v_lshl_add_u64 v[2:3] /*v[258:259]*/, v[0:1], 3, v[12:13]
	v_lshl_add_u64 v[4:5] /*v[260:261]*/, v[228:229], 3, v[12:13]
	;; [unrolled: 1-line block ×8, first 2 shown]
	s_set_vgpr_msb 0x41                     ;  msbs: dst=1 src0=1 src1=0 src2=0
	v_lshl_add_u64 v[18:19] /*v[274:275]*/, v[0:1] /*v[256:257]*/, 3, v[12:13]
	v_lshl_add_u64 v[20:21] /*v[276:277]*/, v[20:21] /*v[276:277]*/, 3, v[12:13]
	;; [unrolled: 1-line block ×4, first 2 shown]
	s_set_vgpr_msb 64                       ;  msbs: dst=1 src0=0 src1=0 src2=0
	v_lshl_add_u64 v[26:27] /*v[282:283]*/, v[224:225], 3, v[12:13]
	v_lshl_add_u64 v[28:29] /*v[284:285]*/, v[132:133], 3, v[12:13]
	;; [unrolled: 1-line block ×4, first 2 shown]
                                        ; implicit-def: $vgpr132_vgpr133
                                        ; implicit-def: $vgpr130_vgpr131
                                        ; implicit-def: $vgpr134_vgpr135
                                        ; implicit-def: $vgpr146_vgpr147
                                        ; implicit-def: $vgpr150_vgpr151
                                        ; implicit-def: $vgpr144_vgpr145
                                        ; implicit-def: $vgpr148_vgpr149
                                        ; implicit-def: $vgpr160_vgpr161
                                        ; implicit-def: $vgpr162_vgpr163
                                        ; implicit-def: $vgpr164_vgpr165
                                        ; implicit-def: $vgpr166_vgpr167
                                        ; implicit-def: $vgpr176_vgpr177
                                        ; implicit-def: $vgpr178_vgpr179
                                        ; implicit-def: $vgpr180_vgpr181
                                        ; implicit-def: $vgpr182_vgpr183
                                        ; implicit-def: $vgpr194_vgpr195
                                        ; implicit-def: $vgpr210_vgpr211
                                        ; implicit-def: $vgpr192_vgpr193
                                        ; implicit-def: $vgpr196_vgpr197
                                        ; implicit-def: $vgpr208_vgpr209
                                        ; implicit-def: $vgpr198_vgpr199
                                        ; implicit-def: $vgpr214_vgpr215
                                        ; implicit-def: $vgpr224_vgpr225
                                        ; implicit-def: $vgpr228_vgpr229
                                        ; implicit-def: $vgpr240_vgpr241
                                        ; implicit-def: $vgpr242_vgpr243
                                        ; implicit-def: $vgpr212_vgpr213
                                        ; implicit-def: $vgpr226_vgpr227
                                        ; implicit-def: $vgpr230_vgpr231
                                        ; implicit-def: $vgpr244_vgpr245
                                        ; implicit-def: $vgpr246_vgpr247
                                        ; implicit-def: $vgpr256_vgpr257
	s_and_saveexec_b32 s15, s14
	s_set_vgpr_msb 0                        ;  msbs: dst=0 src0=0 src1=0 src2=0
	s_cbranch_execz .LBB1112_52
; %bb.92:                               ;   in Loop: Header=BB1112_53 Depth=1
	s_barrier_signal -1
	s_barrier_wait -1
	s_set_vgpr_msb 1                        ;  msbs: dst=0 src0=1 src1=0 src2=0
	ds_store_b64 v2 /*v258*/, v[48:49]
	ds_store_b64 v4 /*v260*/, v[64:65]
	;; [unrolled: 1-line block ×16, first 2 shown]
	s_wait_dscnt 0x0
	s_barrier_signal -1
	s_barrier_wait -1
	ds_load_b64 v[210:211], v45 /*v301*/
	ds_load_b64 v[192:193], v47 /*v303*/
	;; [unrolled: 1-line block ×15, first 2 shown]
	s_set_vgpr_msb 0x41                     ;  msbs: dst=1 src0=1 src1=0 src2=0
	ds_load_b64 v[0:1] /*v[256:257]*/, v61 /*v317*/
	s_wait_dscnt 0x0
	s_barrier_signal -1
	s_barrier_wait -1
	ds_store_b64 v2 /*v258*/, v[4:5]
	ds_store_b64 v4 /*v260*/, v[24:25]
	ds_store_b64 v6 /*v262*/, v[20:21]
	ds_store_b64 v8 /*v264*/, v[18:19]
	ds_store_b64 v10 /*v266*/, v[16:17]
	ds_store_b64 v12 /*v268*/, v[34:35]
	ds_store_b64 v14 /*v270*/, v[32:33]
	ds_store_b64 v16 /*v272*/, v[30:31]
	ds_store_b64 v18 /*v274*/, v[28:29]
	ds_store_b64 v20 /*v276*/, v[26:27]
	ds_store_b64 v22 /*v278*/, v[36:37]
	ds_store_b64 v24 /*v280*/, v[54:55]
	ds_store_b64 v26 /*v282*/, v[52:53]
	ds_store_b64 v28 /*v284*/, v[116:117]
	ds_store_b64 v30 /*v286*/, v[128:129]
	ds_store_b64 v32 /*v288*/, v[118:119]
	s_wait_dscnt 0x0
	s_barrier_signal -1
	s_barrier_wait -1
	s_set_vgpr_msb 1                        ;  msbs: dst=0 src0=1 src1=0 src2=0
	ds_load_b64 v[132:133], v45 /*v301*/
	ds_load_b64 v[130:131], v47 /*v303*/
	;; [unrolled: 1-line block ×16, first 2 shown]
	s_set_vgpr_msb 0x44                     ;  msbs: dst=1 src0=0 src1=1 src2=0
	v_add_nc_u32_e32 v62 /*v318*/, -8, v62 /*v318*/
	s_xor_b32 s16, exec_lo, -1
	s_wait_dscnt 0x0
	s_barrier_signal -1
	s_barrier_wait -1
	s_set_vgpr_msb 0                        ;  msbs: dst=0 src0=0 src1=0 src2=0
	s_branch .LBB1112_52
.LBB1112_93:
	s_or_b32 exec_lo, exec_lo, s28
	v_lshl_add_u32 v0, v22, 3, v12
	s_barrier_signal -1
	s_barrier_wait -1
	s_set_vgpr_msb 1                        ;  msbs: dst=0 src0=1 src1=0 src2=0
	ds_store_b64 v2 /*v258*/, v[48:49]
	ds_store_b64 v4 /*v260*/, v[64:65]
	;; [unrolled: 1-line block ×16, first 2 shown]
	s_wait_dscnt 0x0
	s_barrier_signal -1
	s_barrier_wait -1
	s_set_vgpr_msb 0                        ;  msbs: dst=0 src0=0 src1=0 src2=0
	ds_load_2addr_stride64_b64 v[112:115], v0 offset1:4
	ds_load_2addr_stride64_b64 v[100:103], v0 offset0:8 offset1:12
	ds_load_2addr_stride64_b64 v[96:99], v0 offset0:16 offset1:20
	;; [unrolled: 1-line block ×7, first 2 shown]
	s_wait_dscnt 0x0
	s_barrier_signal -1
	s_barrier_wait -1
	s_set_vgpr_msb 1                        ;  msbs: dst=0 src0=1 src1=0 src2=0
	ds_store_b64 v2 /*v258*/, v[4:5]
	ds_store_b64 v4 /*v260*/, v[24:25]
	;; [unrolled: 1-line block ×16, first 2 shown]
	s_wait_dscnt 0x0
	s_barrier_signal -1
	s_barrier_wait -1
	s_set_vgpr_msb 4                        ;  msbs: dst=0 src0=0 src1=1 src2=0
	ds_load_2addr_stride64_b64 v[52:55], v0 offset1:4
	ds_load_2addr_stride64_b64 v[34:37], v0 offset0:8 offset1:12
	ds_load_2addr_stride64_b64 v[30:33], v0 offset0:16 offset1:20
	;; [unrolled: 1-line block ×7, first 2 shown]
	v_lshl_add_u64 v[0:1], v[8:9], 3, v[2:3]
	v_mov_b32_e32 v39, 0
	v_cmp_lt_u32_e32 vcc_lo, v38, v34 /*v290*/
	s_wait_dscnt 0x0
	s_barrier_signal -1
	s_barrier_wait -1
	v_lshl_add_u64 v[0:1], v[38:39], 3, v[0:1]
	s_and_saveexec_b32 s1, vcc_lo
	s_set_vgpr_msb 0                        ;  msbs: dst=0 src0=0 src1=0 src2=0
	s_cbranch_execz .LBB1112_95
; %bb.94:
	v_cmp_gt_i64_e64 s0, 0, v[112:113]
	s_delay_alu instid0(VALU_DEP_1) | instskip(NEXT) | instid1(VALU_DEP_1)
	v_cndmask_b32_e64 v3, 0x7fffffff, 0, s0
	v_dual_ashrrev_i32 v2, 31, v113 :: v_dual_bitop2_b32 v3, v3, v113 bitop3:0x14
	s_delay_alu instid0(VALU_DEP_1) | instskip(NEXT) | instid1(VALU_DEP_1)
	v_not_b32_e32 v2, v2
	v_xor_b32_e32 v2, v2, v112
	flat_store_b64 v[0:1], v[2:3]
.LBB1112_95:
	s_wait_xcnt 0x0
	s_or_b32 exec_lo, exec_lo, s1
	v_add_nc_u32_e32 v2, 0x100, v38
	s_set_vgpr_msb 4                        ;  msbs: dst=0 src0=0 src1=1 src2=0
	s_delay_alu instid0(VALU_DEP_1)
	v_cmp_lt_u32_e64 s0, v2, v34 /*v290*/
	s_and_saveexec_b32 s2, s0
	s_set_vgpr_msb 0                        ;  msbs: dst=0 src0=0 src1=0 src2=0
	s_cbranch_execz .LBB1112_97
; %bb.96:
	v_cmp_gt_i64_e64 s1, 0, v[114:115]
	s_delay_alu instid0(VALU_DEP_1) | instskip(NEXT) | instid1(VALU_DEP_1)
	v_cndmask_b32_e64 v3, 0x7fffffff, 0, s1
	v_dual_ashrrev_i32 v2, 31, v115 :: v_dual_bitop2_b32 v3, v3, v115 bitop3:0x14
	s_delay_alu instid0(VALU_DEP_1) | instskip(NEXT) | instid1(VALU_DEP_1)
	v_not_b32_e32 v2, v2
	v_xor_b32_e32 v2, v2, v114
	flat_store_b64 v[0:1], v[2:3] offset:2048
.LBB1112_97:
	s_wait_xcnt 0x0
	s_or_b32 exec_lo, exec_lo, s2
	v_add_nc_u32_e32 v2, 0x200, v38
	s_set_vgpr_msb 4                        ;  msbs: dst=0 src0=0 src1=1 src2=0
	s_delay_alu instid0(VALU_DEP_1)
	v_cmp_lt_u32_e64 s1, v2, v34 /*v290*/
	s_and_saveexec_b32 s3, s1
	s_set_vgpr_msb 0                        ;  msbs: dst=0 src0=0 src1=0 src2=0
	s_cbranch_execz .LBB1112_99
; %bb.98:
	v_cmp_gt_i64_e64 s2, 0, v[100:101]
	s_delay_alu instid0(VALU_DEP_1) | instskip(NEXT) | instid1(VALU_DEP_1)
	v_cndmask_b32_e64 v3, 0x7fffffff, 0, s2
	v_dual_ashrrev_i32 v2, 31, v101 :: v_dual_bitop2_b32 v3, v3, v101 bitop3:0x14
	s_delay_alu instid0(VALU_DEP_1) | instskip(NEXT) | instid1(VALU_DEP_1)
	v_not_b32_e32 v2, v2
	v_xor_b32_e32 v2, v2, v100
	flat_store_b64 v[0:1], v[2:3] offset:4096
.LBB1112_99:
	;; [unrolled: 19-line block ×15, first 2 shown]
	s_wait_xcnt 0x0
	s_or_b32 exec_lo, exec_lo, s18
	v_lshl_add_u64 v[0:1], v[8:9], 3, v[6:7]
	s_delay_alu instid0(VALU_DEP_1)
	v_lshl_add_u64 v[0:1], v[38:39], 3, v[0:1]
	s_and_saveexec_b32 s17, vcc_lo
	s_cbranch_execnz .LBB1112_211
; %bb.126:
	s_or_b32 exec_lo, exec_lo, s17
	s_and_saveexec_b32 s17, s0
	s_cbranch_execnz .LBB1112_212
.LBB1112_127:
	s_or_b32 exec_lo, exec_lo, s17
	s_and_saveexec_b32 s0, s1
	s_cbranch_execnz .LBB1112_213
.LBB1112_128:
	s_or_b32 exec_lo, exec_lo, s0
	s_and_saveexec_b32 s0, s2
	s_cbranch_execnz .LBB1112_214
.LBB1112_129:
	s_or_b32 exec_lo, exec_lo, s0
	s_and_saveexec_b32 s0, s3
	s_cbranch_execnz .LBB1112_215
.LBB1112_130:
	s_or_b32 exec_lo, exec_lo, s0
	s_and_saveexec_b32 s0, s4
	s_cbranch_execnz .LBB1112_216
.LBB1112_131:
	s_or_b32 exec_lo, exec_lo, s0
	s_and_saveexec_b32 s0, s5
	s_cbranch_execnz .LBB1112_217
.LBB1112_132:
	s_or_b32 exec_lo, exec_lo, s0
	s_and_saveexec_b32 s0, s6
	s_cbranch_execnz .LBB1112_218
.LBB1112_133:
	s_or_b32 exec_lo, exec_lo, s0
	s_and_saveexec_b32 s0, s7
	s_cbranch_execnz .LBB1112_219
.LBB1112_134:
	s_or_b32 exec_lo, exec_lo, s0
	s_and_saveexec_b32 s0, s10
	s_cbranch_execnz .LBB1112_220
.LBB1112_135:
	s_or_b32 exec_lo, exec_lo, s0
	s_and_saveexec_b32 s0, s11
	s_cbranch_execnz .LBB1112_221
.LBB1112_136:
	s_or_b32 exec_lo, exec_lo, s0
	s_and_saveexec_b32 s0, s12
	s_cbranch_execnz .LBB1112_222
.LBB1112_137:
	s_or_b32 exec_lo, exec_lo, s0
	s_and_saveexec_b32 s0, s13
	s_cbranch_execnz .LBB1112_223
.LBB1112_138:
	s_or_b32 exec_lo, exec_lo, s0
	s_and_saveexec_b32 s0, s14
	s_cbranch_execnz .LBB1112_224
.LBB1112_139:
	s_or_b32 exec_lo, exec_lo, s0
	s_and_saveexec_b32 s0, s15
	s_cbranch_execnz .LBB1112_225
.LBB1112_140:
	s_or_b32 exec_lo, exec_lo, s0
	s_and_saveexec_b32 s0, s16
	s_cbranch_execz .LBB1112_142
.LBB1112_141:
	flat_store_b64 v[0:1], v[12:13] offset:30720
.LBB1112_142:
	s_wait_xcnt 0x0
	s_or_b32 exec_lo, exec_lo, s0
                                        ; implicit-def: $vgpr290
                                        ; implicit-def: $vgpr8
                                        ; implicit-def: $vgpr10
                                        ; implicit-def: $vgpr11
                                        ; implicit-def: $vgpr0_vgpr1
                                        ; implicit-def: $vgpr2_vgpr3
                                        ; implicit-def: $vgpr4_vgpr5
                                        ; implicit-def: $vgpr6_vgpr7
                                        ; implicit-def: $vgpr12_vgpr13
                                        ; implicit-def: $vgpr9
                                        ; implicit-def: $vgpr14
                                        ; implicit-def: $vgpr22
                                        ; implicit-def: $vgpr258
.LBB1112_143:
	s_and_not1_saveexec_b32 s0, s26
	s_cbranch_execz .LBB1112_372
; %bb.144:
	s_mov_b32 s0, exec_lo
	s_set_vgpr_msb 4                        ;  msbs: dst=0 src0=0 src1=1 src2=0
	v_cmpx_lt_u32_e32 0x400, v34 /*v290*/
	s_xor_b32 s26, exec_lo, s0
	s_set_vgpr_msb 0                        ;  msbs: dst=0 src0=0 src1=0 src2=0
	s_cbranch_execz .LBB1112_252
; %bb.145:
	s_load_b64 s[0:1], s[8:9], 0x0
	s_bfe_u32 s3, ttmp6, 0x4000c
	s_bfe_u32 s5, ttmp6, 0x40010
	s_and_b32 s4, ttmp7, 0xffff
	s_add_co_i32 s3, s3, 1
	s_add_co_i32 s5, s5, 1
	s_and_b32 s2, ttmp6, 15
	s_bfe_u32 s6, ttmp6, 0x40004
	s_mul_i32 s3, ttmp9, s3
	s_mul_i32 s5, s4, s5
	s_add_co_i32 s2, s2, s3
	s_add_co_i32 s6, s6, s5
	s_cmp_eq_u32 s25, 0
	s_cselect_b32 s2, ttmp9, s2
	s_cselect_b32 s3, s4, s6
	s_wait_kmcnt 0x0
	s_cmp_lt_u32 s2, s0
	s_cselect_b32 s0, 12, 18
	s_cmp_lt_u32 s3, s1
	s_mov_b32 s1, 0
	s_cselect_b32 s2, 14, 20
	s_mov_b32 s3, s1
	s_add_nc_u64 s[0:1], s[8:9], s[0:1]
	s_add_nc_u64 s[2:3], s[8:9], s[2:3]
	s_clause 0x1
	s_load_u16 s0, s[0:1], 0x0
	s_nop 0
	s_load_u16 s2, s[2:3], 0x0
	s_wait_kmcnt 0x0
	v_mad_u32_u24 v9, v14, s2, v9
	s_delay_alu instid0(VALU_DEP_1) | instskip(NEXT) | instid1(VALU_DEP_1)
	v_mad_u32 v38, v9, s0, v22
	v_dual_mov_b32 v9, 0 :: v_dual_lshlrev_b32 v14, 3, v38
	s_delay_alu instid0(VALU_DEP_1)
	v_lshl_add_u64 v[0:1], v[8:9], 3, v[0:1]
	s_set_vgpr_msb 4                        ;  msbs: dst=0 src0=0 src1=1 src2=0
	v_dual_mov_b32 v31, v9 :: v_dual_lshlrev_b32 v30, 3, v2 /*v258*/
	s_set_vgpr_msb 0                        ;  msbs: dst=0 src0=0 src1=0 src2=0
	v_and_b32_e32 v32, 0xffffff00, v14
	v_mov_b32_e32 v33, v9
	v_mov_b64_e32 v[14:15], -1
	v_add_nc_u64_e32 v[16:17], v[0:1], v[30:31]
	v_mov_b64_e32 v[0:1], -1
	s_set_vgpr_msb 4                        ;  msbs: dst=0 src0=0 src1=1 src2=0
	v_or_b32_e32 v23, v32, v2 /*v258*/
	s_delay_alu instid0(VALU_DEP_3) | instskip(NEXT) | instid1(VALU_DEP_2)
	v_lshl_add_u64 v[34:35], v[32:33], 3, v[16:17]
	v_cmp_lt_u32_e32 vcc_lo, v23, v34 /*v290*/
	s_and_saveexec_b32 s0, vcc_lo
	s_set_vgpr_msb 0                        ;  msbs: dst=0 src0=0 src1=0 src2=0
	s_cbranch_execz .LBB1112_147
; %bb.146:
	flat_load_b64 v[14:15], v[34:35]
.LBB1112_147:
	s_wait_xcnt 0x0
	s_or_b32 exec_lo, exec_lo, s0
	v_or_b32_e32 v16, 32, v23
	s_set_vgpr_msb 4                        ;  msbs: dst=0 src0=0 src1=1 src2=0
	s_delay_alu instid0(VALU_DEP_1)
	v_cmp_lt_u32_e64 s0, v16, v34 /*v290*/
	s_and_saveexec_b32 s1, s0
	s_set_vgpr_msb 0                        ;  msbs: dst=0 src0=0 src1=0 src2=0
	s_cbranch_execz .LBB1112_149
; %bb.148:
	flat_load_b64 v[0:1], v[34:35] offset:256
.LBB1112_149:
	s_wait_xcnt 0x0
	s_or_b32 exec_lo, exec_lo, s1
	v_or_b32_e32 v18, 64, v23
	v_mov_b64_e32 v[16:17], -1
	v_mov_b64_e32 v[26:27], -1
	s_set_vgpr_msb 4                        ;  msbs: dst=0 src0=0 src1=1 src2=0
	s_delay_alu instid0(VALU_DEP_3)
	v_cmp_lt_u32_e64 s1, v18, v34 /*v290*/
	s_and_saveexec_b32 s2, s1
	s_set_vgpr_msb 0                        ;  msbs: dst=0 src0=0 src1=0 src2=0
	s_cbranch_execz .LBB1112_151
; %bb.150:
	flat_load_b64 v[26:27], v[34:35] offset:512
.LBB1112_151:
	s_wait_xcnt 0x0
	s_or_b32 exec_lo, exec_lo, s2
	v_or_b32_e32 v18, 0x60, v23
	s_set_vgpr_msb 4                        ;  msbs: dst=0 src0=0 src1=1 src2=0
	s_delay_alu instid0(VALU_DEP_1)
	v_cmp_lt_u32_e64 s2, v18, v34 /*v290*/
	s_and_saveexec_b32 s3, s2
	s_set_vgpr_msb 0                        ;  msbs: dst=0 src0=0 src1=0 src2=0
	s_cbranch_execz .LBB1112_153
; %bb.152:
	flat_load_b64 v[16:17], v[34:35] offset:768
.LBB1112_153:
	s_wait_xcnt 0x0
	s_or_b32 exec_lo, exec_lo, s3
	v_or_b32_e32 v20, 0x80, v23
	v_mov_b64_e32 v[18:19], -1
	v_mov_b64_e32 v[28:29], -1
	s_set_vgpr_msb 4                        ;  msbs: dst=0 src0=0 src1=1 src2=0
	s_delay_alu instid0(VALU_DEP_3)
	v_cmp_lt_u32_e64 s3, v20, v34 /*v290*/
	s_and_saveexec_b32 s4, s3
	s_set_vgpr_msb 0                        ;  msbs: dst=0 src0=0 src1=0 src2=0
	s_cbranch_execz .LBB1112_155
; %bb.154:
	flat_load_b64 v[28:29], v[34:35] offset:1024
.LBB1112_155:
	;; [unrolled: 26-line block ×3, first 2 shown]
	s_wait_xcnt 0x0
	s_or_b32 exec_lo, exec_lo, s6
	v_or_b32_e32 v23, 0xe0, v23
	s_set_vgpr_msb 4                        ;  msbs: dst=0 src0=0 src1=1 src2=0
	s_delay_alu instid0(VALU_DEP_1)
	v_cmp_lt_u32_e64 s6, v23, v34 /*v290*/
	s_and_saveexec_b32 s7, s6
	s_set_vgpr_msb 0                        ;  msbs: dst=0 src0=0 src1=0 src2=0
	s_cbranch_execz .LBB1112_161
; %bb.160:
	flat_load_b64 v[20:21], v[34:35] offset:1792
.LBB1112_161:
	s_wait_xcnt 0x0
	s_or_b32 exec_lo, exec_lo, s7
	v_lshl_add_u64 v[4:5], v[8:9], 3, v[4:5]
	v_mov_b32_e32 v31, 0
                                        ; implicit-def: $vgpr66_vgpr67
	s_delay_alu instid0(VALU_DEP_1) | instskip(NEXT) | instid1(VALU_DEP_1)
	v_add_nc_u64_e32 v[4:5], v[4:5], v[30:31]
	v_lshl_add_u64 v[4:5], v[32:33], 3, v[4:5]
	s_and_saveexec_b32 s7, vcc_lo
	s_cbranch_execnz .LBB1112_285
; %bb.162:
	s_or_b32 exec_lo, exec_lo, s7
                                        ; implicit-def: $vgpr68_vgpr69
	s_and_saveexec_b32 s7, s0
	s_cbranch_execnz .LBB1112_286
.LBB1112_163:
	s_or_b32 exec_lo, exec_lo, s7
                                        ; implicit-def: $vgpr70_vgpr71
	s_and_saveexec_b32 s0, s1
	s_cbranch_execnz .LBB1112_287
.LBB1112_164:
	s_or_b32 exec_lo, exec_lo, s0
                                        ; implicit-def: $vgpr82_vgpr83
	s_and_saveexec_b32 s0, s2
	s_cbranch_execnz .LBB1112_288
.LBB1112_165:
	s_or_b32 exec_lo, exec_lo, s0
                                        ; implicit-def: $vgpr84_vgpr85
	s_and_saveexec_b32 s0, s3
	s_cbranch_execnz .LBB1112_289
.LBB1112_166:
	s_or_b32 exec_lo, exec_lo, s0
                                        ; implicit-def: $vgpr96_vgpr97
	s_and_saveexec_b32 s0, s4
	s_cbranch_execnz .LBB1112_290
.LBB1112_167:
	s_or_b32 exec_lo, exec_lo, s0
                                        ; implicit-def: $vgpr100_vgpr101
	s_and_saveexec_b32 s0, s5
	s_cbranch_execnz .LBB1112_291
.LBB1112_168:
	s_or_b32 exec_lo, exec_lo, s0
                                        ; implicit-def: $vgpr102_vgpr103
	s_and_saveexec_b32 s0, s6
	s_cbranch_execz .LBB1112_170
.LBB1112_169:
	flat_load_b64 v[102:103], v[4:5] offset:1792
.LBB1112_170:
	s_wait_xcnt 0x0
	s_or_b32 exec_lo, exec_lo, s0
	s_wait_loadcnt_dscnt 0x0
	v_cmp_gt_i64_e32 vcc_lo, 0, v[14:15]
	v_dual_ashrrev_i32 v4, 31, v15 :: v_dual_ashrrev_i32 v23, 31, v1
	s_get_pc_i64 s[0:1]
	s_add_nc_u64 s[0:1], s[0:1], _ZN7rocprim17ROCPRIM_400000_NS16block_radix_sortIdLj256ELj8ElLj1ELj1ELj8ELNS0_26block_radix_rank_algorithmE2ELNS0_18block_padding_hintE2ELNS0_4arch9wavefront6targetE0EE19radix_bits_per_passE@rel64+4
	v_cmp_gt_u32_e64 s6, 8, v22
	s_load_b32 s27, s[0:1], 0x0
	v_not_b32_e32 v4, v4
	v_cndmask_b32_e64 v5, 0x7fffffff, 0, vcc_lo
	v_cmp_gt_i64_e32 vcc_lo, 0, v[0:1]
	v_not_b32_e32 v23, v23
	v_cmp_lt_u32_e64 s7, 31, v22
	v_cmp_eq_u32_e64 s10, 0, v22
	v_xor_b32_e32 v129, v5, v15
	v_dual_ashrrev_i32 v15, 31, v27 :: v_dual_bitop2_b32 v128, v4, v14 bitop3:0x14
	v_cndmask_b32_e64 v5, 0x7fffffff, 0, vcc_lo
	v_cmp_gt_i64_e32 vcc_lo, 0, v[26:27]
	v_xor_b32_e32 v116, v23, v0
	s_delay_alu instid0(VALU_DEP_4)
	v_not_b32_e32 v4, v15
	v_ashrrev_i32_e32 v0, 31, v17
	v_xor_b32_e32 v117, v5, v1
	v_ashrrev_i32_e32 v1, 31, v29
	s_set_vgpr_msb 1                        ;  msbs: dst=0 src0=1 src1=0 src2=0
	v_sub_co_u32 v14, s2, v2 /*v258*/, 1
	v_cndmask_b32_e64 v30, 0x7fffffff, 0, vcc_lo
	v_cmp_gt_i64_e32 vcc_lo, 0, v[16:17]
	s_set_vgpr_msb 0                        ;  msbs: dst=0 src0=0 src1=0 src2=0
	v_xor_b32_e32 v80, v4, v26
	v_not_b32_e32 v1, v1
	v_not_b32_e32 v0, v0
	v_xor_b32_e32 v81, v30, v27
	v_cmp_gt_i32_e64 s5, 0, v14
	v_lshl_add_u32 v179, v22, 2, v12
	v_cndmask_b32_e64 v4, 0x7fffffff, 0, vcc_lo
	v_cmp_gt_i64_e32 vcc_lo, 0, v[28:29]
	v_xor_b32_e32 v98, v1, v28
	s_mov_b64 s[22:23], 0x8000000000000000
	s_mov_b32 s28, 0
	v_xor_b32_e32 v87, v4, v17
	v_ashrrev_i32_e32 v4, 31, v25
	s_wait_storecnt 0x0
	v_cndmask_b32_e64 v5, 0x7fffffff, 0, vcc_lo
	v_cmp_gt_i64_e32 vcc_lo, 0, v[18:19]
	v_lshrrev_b32_e32 v176, 5, v38
	s_barrier_signal -1
	s_barrier_wait -1
	v_xor_b32_e32 v99, v5, v29
	v_sub_nc_u32_e32 v197, v11, v10
	v_cndmask_b32_e64 v1, 0x7fffffff, 0, vcc_lo
	v_cmp_gt_i64_e32 vcc_lo, 0, v[24:25]
	s_delay_alu instid0(VALU_DEP_2) | instskip(SKIP_3) | instid1(VALU_DEP_3)
	v_xor_b32_e32 v113, v1, v19
	v_not_b32_e32 v1, v4
	v_cndmask_b32_e64 v5, 0x7fffffff, 0, vcc_lo
	v_cmp_gt_i64_e32 vcc_lo, 0, v[20:21]
	v_xor_b32_e32 v114, v1, v24
	v_lshl_add_u32 v1, v22, 5, v12
	v_dual_ashrrev_i32 v0, 31, v19 :: v_dual_bitop2_b32 v86, v0, v16 bitop3:0x14
	v_xor_b32_e32 v115, v5, v25
	v_cndmask_b32_e64 v4, 0x7fffffff, 0, vcc_lo
	s_delay_alu instid0(VALU_DEP_4) | instskip(NEXT) | instid1(VALU_DEP_4)
	v_dual_add_nc_u32 v23, 32, v1 :: v_dual_add_nc_u32 v39, 36, v1
	v_not_b32_e32 v0, v0
	v_dual_add_nc_u32 v162, 40, v1 :: v_dual_add_nc_u32 v163, 44, v1
	v_dual_add_nc_u32 v164, 48, v1 :: v_dual_add_nc_u32 v166, 56, v1
	s_delay_alu instid0(VALU_DEP_3)
	v_dual_add_nc_u32 v167, 60, v1 :: v_dual_bitop2_b32 v112, v0, v18 bitop3:0x14
	v_ashrrev_i32_e32 v0, 31, v21
	v_add_nc_u32_e32 v165, 52, v1
	v_and_b32_e32 v1, 0x3e0, v22
	v_xor_b32_e32 v119, v4, v21
	s_set_vgpr_msb 4                        ;  msbs: dst=0 src0=0 src1=1 src2=0
	v_and_b32_e32 v4, 15, v2 /*v258*/
	v_not_b32_e32 v0, v0
	v_and_b32_e32 v5, 16, v2 /*v258*/
	s_set_vgpr_msb 0                        ;  msbs: dst=0 src0=0 src1=0 src2=0
	v_min_u32_e32 v1, 0xe0, v1
	s_delay_alu instid0(VALU_DEP_3) | instskip(NEXT) | instid1(VALU_DEP_2)
	v_dual_lshlrev_b32 v0, 3, v22 :: v_dual_bitop2_b32 v118, v0, v20 bitop3:0x14
	v_or_b32_e32 v1, 31, v1
	v_cmp_eq_u32_e64 s4, 0, v5
	s_set_vgpr_msb 4                        ;  msbs: dst=0 src0=0 src1=1 src2=0
	v_cndmask_b32_e64 v5, v14, v2 /*v258*/, s5
	s_set_vgpr_msb 16                       ;  msbs: dst=0 src0=0 src1=0 src2=1
	v_cmp_eq_u32_e32 vcc_lo, 0, v4
	s_wait_xcnt 0x0
	v_cmp_lt_u32_e64 s0, 1, v4
	v_cmp_lt_u32_e64 s1, 3, v4
	;; [unrolled: 1-line block ×3, first 2 shown]
	v_lshrrev_b32_e32 v4, 3, v22
	v_cmp_eq_u32_e64 s5, v22, v1
	v_and_or_b32 v0, 0x1f00, v0, v2 /*v258*/
	v_lshlrev_b32_e32 v177, 2, v5
	s_delay_alu instid0(VALU_DEP_4)
	v_and_b32_e32 v1, 0x7c, v4
	s_set_vgpr_msb 4                        ;  msbs: dst=0 src0=0 src1=1 src2=0
	v_and_b32_e32 v4, 7, v2 /*v258*/
	v_lshl_add_u32 v180, v0, 3, v12
	s_set_vgpr_msb 0                        ;  msbs: dst=0 src0=0 src1=0 src2=0
	v_add_nc_u32_e32 v178, v12, v1
	s_delay_alu instid0(VALU_DEP_3)
	v_cmp_eq_u32_e64 s11, 0, v4
	v_cmp_lt_u32_e64 s12, 1, v4
	v_cmp_lt_u32_e64 s13, 3, v4
	v_mov_b64_e32 v[4:5], 0
	v_dual_mov_b32 v1, 0 :: v_dual_add_nc_u32 v181, -4, v178
	v_add_nc_u32_e32 v182, 0x100, v180
	v_add_nc_u32_e32 v183, 0x200, v180
	;; [unrolled: 1-line block ×7, first 2 shown]
	s_branch .LBB1112_172
.LBB1112_171:                           ;   in Loop: Header=BB1112_172 Depth=1
	s_or_b32 exec_lo, exec_lo, s15
	s_delay_alu instid0(SALU_CYCLE_1) | instskip(NEXT) | instid1(SALU_CYCLE_1)
	s_and_b32 s14, exec_lo, s16
	s_or_b32 s28, s14, s28
	s_delay_alu instid0(SALU_CYCLE_1)
	s_and_not1_b32 exec_lo, exec_lo, s28
	s_cbranch_execz .LBB1112_226
.LBB1112_172:                           ; =>This Inner Loop Header: Depth=1
	v_mov_b64_e32 v[26:27], v[128:129]
	s_wait_kmcnt 0x0
	v_min_u32_e32 v0, s27, v197
	v_mov_b64_e32 v[14:15], v[68:69]
	v_mov_b64_e32 v[16:17], v[66:67]
	;; [unrolled: 1-line block ×4, first 2 shown]
	v_lshlrev_b32_e64 v68, v0, -1
	v_cmp_ne_u64_e64 s14, s[22:23], v[26:27]
	v_mov_b64_e32 v[24:25], v[96:97]
	v_mov_b64_e32 v[20:21], v[100:101]
	;; [unrolled: 1-line block ×3, first 2 shown]
	ds_store_b64 v23, v[4:5]
	ds_store_b64 v162, v[4:5]
	;; [unrolled: 1-line block ×4, first 2 shown]
	s_wait_dscnt 0x0
	v_cndmask_b32_e64 v19, 0x7fffffff, v27, s14
	v_cndmask_b32_e64 v18, -1, v26, s14
	s_barrier_signal -1
	s_barrier_wait -1
	s_delay_alu instid0(VALU_DEP_1) | instskip(SKIP_1) | instid1(VALU_DEP_2)
	v_lshrrev_b64 v[28:29], v10, v[18:19]
	v_mov_b64_e32 v[18:19], v[70:71]
	; wave barrier
	v_bitop3_b32 v0, v28, 1, v68 bitop3:0x40
	v_bitop3_b32 v50, v28, v68, v28 bitop3:0x30
	v_mov_b64_e32 v[28:29], v[116:117]
	s_delay_alu instid0(VALU_DEP_3) | instskip(NEXT) | instid1(VALU_DEP_1)
	v_add_co_u32 v0, s14, v0, -1
	v_cndmask_b32_e64 v30, 0, 1, s14
	s_delay_alu instid0(VALU_DEP_4) | instskip(SKIP_1) | instid1(VALU_DEP_3)
	v_dual_lshlrev_b32 v31, 30, v50 :: v_dual_lshlrev_b32 v32, 29, v50
	v_dual_lshlrev_b32 v33, 28, v50 :: v_dual_lshlrev_b32 v34, 27, v50
	v_cmp_ne_u32_e64 s14, 0, v30
	s_delay_alu instid0(VALU_DEP_3)
	v_not_b32_e32 v30, v31
	v_dual_lshlrev_b32 v35, 26, v50 :: v_dual_lshlrev_b32 v36, 25, v50
	v_cmp_gt_i32_e64 s15, 0, v31
	v_cmp_gt_i32_e64 s16, 0, v32
	v_not_b32_e32 v31, v32
	v_not_b32_e32 v32, v33
	v_ashrrev_i32_e32 v30, 31, v30
	v_lshlrev_b32_e32 v37, 24, v50
	v_cmp_gt_i32_e64 s17, 0, v33
	v_cmp_gt_i32_e64 s18, 0, v34
	v_not_b32_e32 v33, v34
	v_not_b32_e32 v34, v35
	v_dual_ashrrev_i32 v31, 31, v31 :: v_dual_bitop2_b32 v0, s14, v0 bitop3:0x14
	v_dual_ashrrev_i32 v32, 31, v32 :: v_dual_bitop2_b32 v30, s15, v30 bitop3:0x14
	s_delay_alu instid0(VALU_DEP_4) | instskip(SKIP_1) | instid1(VALU_DEP_4)
	v_ashrrev_i32_e32 v33, 31, v33
	v_cmp_gt_i32_e64 s19, 0, v35
	v_dual_ashrrev_i32 v34, 31, v34 :: v_dual_bitop2_b32 v31, s16, v31 bitop3:0x14
	s_delay_alu instid0(VALU_DEP_4)
	v_bitop3_b32 v0, v0, v30, exec_lo bitop3:0x80
	v_not_b32_e32 v30, v36
	v_xor_b32_e32 v32, s17, v32
	v_not_b32_e32 v35, v37
	v_cmp_gt_i32_e64 s20, 0, v36
	v_xor_b32_e32 v36, s18, v33
	v_xor_b32_e32 v34, s19, v34
	v_ashrrev_i32_e32 v48, 31, v30
	v_bitop3_b32 v0, v0, v32, v31 bitop3:0x80
	v_cmp_gt_i32_e64 s14, 0, v37
	v_ashrrev_i32_e32 v35, 31, v35
	v_mov_b64_e32 v[32:33], v[80:81]
	v_xor_b32_e32 v66, s20, v48
	v_bitop3_b32 v51, v0, v34, v36 bitop3:0x80
	v_lshl_add_u32 v0, v50, 3, v176
	v_xor_b32_e32 v67, s14, v35
	v_mov_b64_e32 v[30:31], v[86:87]
	v_mov_b64_e32 v[48:49], v[98:99]
	;; [unrolled: 1-line block ×4, first 2 shown]
	v_bitop3_b32 v69, v51, v67, v66 bitop3:0x80
	v_lshl_add_u64 v[66:67], v[0:1], 2, v[12:13]
	v_mov_b64_e32 v[50:51], v[118:119]
	s_delay_alu instid0(VALU_DEP_3) | instskip(NEXT) | instid1(VALU_DEP_3)
	v_mbcnt_lo_u32_b32 v0, v69, 0
	v_add_nc_u64_e32 v[66:67], 32, v[66:67]
	v_cmp_ne_u32_e64 s15, 0, v69
	s_delay_alu instid0(VALU_DEP_3) | instskip(SKIP_1) | instid1(SALU_CYCLE_1)
	v_cmp_eq_u32_e64 s14, 0, v0
	s_and_b32 s15, s15, s14
	s_and_saveexec_b32 s14, s15
; %bb.173:                              ;   in Loop: Header=BB1112_172 Depth=1
	v_bcnt_u32_b32 v67, v69, 0
	ds_store_b32 v66, v67
; %bb.174:                              ;   in Loop: Header=BB1112_172 Depth=1
	s_or_b32 exec_lo, exec_lo, s14
	v_cmp_ne_u64_e64 s14, s[22:23], v[28:29]
	v_not_b32_e32 v81, v68
	; wave barrier
	s_delay_alu instid0(VALU_DEP_2) | instskip(SKIP_1) | instid1(VALU_DEP_1)
	v_cndmask_b32_e64 v71, 0x7fffffff, v29, s14
	v_cndmask_b32_e64 v70, -1, v28, s14
	v_lshrrev_b64 v[70:71], v10, v[70:71]
	s_delay_alu instid0(VALU_DEP_1) | instskip(SKIP_1) | instid1(VALU_DEP_2)
	v_bitop3_b32 v68, v70, 1, v81 bitop3:0x80
	v_and_b32_e32 v67, v70, v81
	v_add_co_u32 v68, s14, v68, -1
	s_delay_alu instid0(VALU_DEP_1) | instskip(NEXT) | instid1(VALU_DEP_3)
	v_cndmask_b32_e64 v70, 0, 1, s14
	v_lshlrev_b32_e32 v71, 30, v67
	s_delay_alu instid0(VALU_DEP_2) | instskip(NEXT) | instid1(VALU_DEP_2)
	v_cmp_ne_u32_e64 s14, 0, v70
	v_not_b32_e32 v70, v71
	v_cmp_gt_i32_e64 s15, 0, v71
	s_delay_alu instid0(VALU_DEP_2) | instskip(SKIP_3) | instid1(VALU_DEP_4)
	v_dual_ashrrev_i32 v70, 31, v70 :: v_dual_lshlrev_b32 v80, 29, v67
	v_dual_lshlrev_b32 v82, 28, v67 :: v_dual_lshlrev_b32 v83, 27, v67
	v_lshlrev_b32_e32 v84, 26, v67
	v_lshl_add_u32 v69, v67, 3, v176
	v_cmp_gt_i32_e64 s16, 0, v80
	v_not_b32_e32 v71, v80
	v_not_b32_e32 v80, v82
	v_dual_lshlrev_b32 v85, 25, v67 :: v_dual_lshlrev_b32 v67, 24, v67
	v_cmp_gt_i32_e64 s17, 0, v82
	v_cmp_gt_i32_e64 s18, 0, v83
	v_not_b32_e32 v82, v83
	v_not_b32_e32 v83, v84
	v_dual_ashrrev_i32 v71, 31, v71 :: v_dual_bitop2_b32 v68, s14, v68 bitop3:0x14
	v_dual_ashrrev_i32 v80, 31, v80 :: v_dual_bitop2_b32 v70, s15, v70 bitop3:0x14
	v_cmp_gt_i32_e64 s19, 0, v84
	v_not_b32_e32 v84, v85
	v_cmp_gt_i32_e64 s21, 0, v67
	v_not_b32_e32 v67, v67
	v_dual_ashrrev_i32 v82, 31, v82 :: v_dual_ashrrev_i32 v83, 31, v83
	v_xor_b32_e32 v71, s16, v71
	s_delay_alu instid0(VALU_DEP_3)
	v_dual_ashrrev_i32 v67, 31, v67 :: v_dual_bitop2_b32 v80, s17, v80 bitop3:0x14
	v_bitop3_b32 v68, v68, v70, exec_lo bitop3:0x80
	v_cmp_gt_i32_e64 s20, 0, v85
	v_dual_ashrrev_i32 v70, 31, v84 :: v_dual_bitop2_b32 v83, s19, v83 bitop3:0x14
	v_lshl_add_u32 v69, v69, 2, v12
	v_xor_b32_e32 v82, s18, v82
	v_bitop3_b32 v68, v68, v80, v71 bitop3:0x80
	s_delay_alu instid0(VALU_DEP_4) | instskip(SKIP_4) | instid1(VALU_DEP_1)
	v_xor_b32_e32 v70, s20, v70
	v_xor_b32_e32 v71, s21, v67
	ds_load_b32 v67, v69 offset:32
	v_add_nc_u32_e32 v69, 32, v69
	v_bitop3_b32 v68, v68, v83, v82 bitop3:0x80
	; wave barrier
	v_bitop3_b32 v70, v68, v71, v70 bitop3:0x80
	s_delay_alu instid0(VALU_DEP_1) | instskip(SKIP_1) | instid1(VALU_DEP_2)
	v_mbcnt_lo_u32_b32 v68, v70, 0
	v_cmp_ne_u32_e64 s15, 0, v70
	v_cmp_eq_u32_e64 s14, 0, v68
	s_and_b32 s15, s15, s14
	s_delay_alu instid0(SALU_CYCLE_1)
	s_and_saveexec_b32 s14, s15
	s_cbranch_execz .LBB1112_176
; %bb.175:                              ;   in Loop: Header=BB1112_172 Depth=1
	s_wait_dscnt 0x0
	v_bcnt_u32_b32 v70, v70, v67
	ds_store_b32 v69, v70
.LBB1112_176:                           ;   in Loop: Header=BB1112_172 Depth=1
	s_or_b32 exec_lo, exec_lo, s14
	v_cmp_ne_u64_e64 s14, s[22:23], v[32:33]
	; wave barrier
	s_delay_alu instid0(VALU_DEP_1) | instskip(SKIP_1) | instid1(VALU_DEP_1)
	v_cndmask_b32_e64 v71, 0x7fffffff, v33, s14
	v_cndmask_b32_e64 v70, -1, v32, s14
	v_lshrrev_b64 v[70:71], v10, v[70:71]
	s_delay_alu instid0(VALU_DEP_1) | instskip(SKIP_1) | instid1(VALU_DEP_2)
	v_and_b32_e32 v71, v70, v81
	v_bitop3_b32 v70, v70, 1, v81 bitop3:0x80
	v_lshlrev_b32_e32 v83, 30, v71
	s_delay_alu instid0(VALU_DEP_2) | instskip(NEXT) | instid1(VALU_DEP_1)
	v_add_co_u32 v70, s14, v70, -1
	v_cndmask_b32_e64 v82, 0, 1, s14
	s_delay_alu instid0(VALU_DEP_3) | instskip(NEXT) | instid1(VALU_DEP_2)
	v_cmp_gt_i32_e64 s15, 0, v83
	v_cmp_ne_u32_e64 s14, 0, v82
	v_not_b32_e32 v82, v83
	s_delay_alu instid0(VALU_DEP_1) | instskip(SKIP_3) | instid1(VALU_DEP_4)
	v_dual_ashrrev_i32 v82, 31, v82 :: v_dual_lshlrev_b32 v84, 29, v71
	v_dual_lshlrev_b32 v85, 28, v71 :: v_dual_lshlrev_b32 v86, 27, v71
	v_lshlrev_b32_e32 v87, 26, v71
	v_lshl_add_u32 v80, v71, 3, v176
	v_cmp_gt_i32_e64 s16, 0, v84
	v_not_b32_e32 v83, v84
	v_not_b32_e32 v84, v85
	v_dual_lshlrev_b32 v96, 25, v71 :: v_dual_lshlrev_b32 v71, 24, v71
	v_cmp_gt_i32_e64 s17, 0, v85
	v_cmp_gt_i32_e64 s18, 0, v86
	v_not_b32_e32 v85, v86
	v_not_b32_e32 v86, v87
	v_dual_ashrrev_i32 v83, 31, v83 :: v_dual_bitop2_b32 v70, s14, v70 bitop3:0x14
	v_dual_ashrrev_i32 v84, 31, v84 :: v_dual_bitop2_b32 v82, s15, v82 bitop3:0x14
	v_cmp_gt_i32_e64 s19, 0, v87
	v_not_b32_e32 v87, v96
	v_cmp_gt_i32_e64 s21, 0, v71
	v_not_b32_e32 v71, v71
	v_dual_ashrrev_i32 v85, 31, v85 :: v_dual_ashrrev_i32 v86, 31, v86
	v_xor_b32_e32 v84, s17, v84
	v_bitop3_b32 v70, v70, v82, exec_lo bitop3:0x80
	v_lshl_add_u32 v80, v80, 2, v12
	v_xor_b32_e32 v83, s16, v83
	v_cmp_gt_i32_e64 s20, 0, v96
	v_ashrrev_i32_e32 v82, 31, v87
	v_dual_ashrrev_i32 v71, 31, v71 :: v_dual_bitop2_b32 v85, s18, v85 bitop3:0x14
	v_xor_b32_e32 v86, s19, v86
	v_bitop3_b32 v70, v70, v84, v83 bitop3:0x80
	s_delay_alu instid0(VALU_DEP_4) | instskip(NEXT) | instid1(VALU_DEP_4)
	v_xor_b32_e32 v82, s20, v82
	v_xor_b32_e32 v71, s21, v71
	s_delay_alu instid0(VALU_DEP_3) | instskip(SKIP_3) | instid1(VALU_DEP_1)
	v_bitop3_b32 v83, v70, v86, v85 bitop3:0x80
	ds_load_b32 v70, v80 offset:32
	v_add_nc_u32_e32 v80, 32, v80
	; wave barrier
	v_bitop3_b32 v82, v83, v71, v82 bitop3:0x80
	v_mbcnt_lo_u32_b32 v71, v82, 0
	v_cmp_ne_u32_e64 s15, 0, v82
	s_delay_alu instid0(VALU_DEP_2) | instskip(SKIP_1) | instid1(SALU_CYCLE_1)
	v_cmp_eq_u32_e64 s14, 0, v71
	s_and_b32 s15, s15, s14
	s_and_saveexec_b32 s14, s15
	s_cbranch_execz .LBB1112_178
; %bb.177:                              ;   in Loop: Header=BB1112_172 Depth=1
	s_wait_dscnt 0x0
	v_bcnt_u32_b32 v82, v82, v70
	ds_store_b32 v80, v82
.LBB1112_178:                           ;   in Loop: Header=BB1112_172 Depth=1
	s_or_b32 exec_lo, exec_lo, s14
	v_cmp_ne_u64_e64 s14, s[22:23], v[30:31]
	; wave barrier
	s_delay_alu instid0(VALU_DEP_1) | instskip(SKIP_1) | instid1(VALU_DEP_1)
	v_cndmask_b32_e64 v83, 0x7fffffff, v31, s14
	v_cndmask_b32_e64 v82, -1, v30, s14
	v_lshrrev_b64 v[82:83], v10, v[82:83]
	s_delay_alu instid0(VALU_DEP_1) | instskip(SKIP_1) | instid1(VALU_DEP_2)
	v_and_b32_e32 v83, v82, v81
	v_bitop3_b32 v82, v82, 1, v81 bitop3:0x80
	v_lshlrev_b32_e32 v86, 30, v83
	s_delay_alu instid0(VALU_DEP_2) | instskip(NEXT) | instid1(VALU_DEP_1)
	v_add_co_u32 v82, s14, v82, -1
	v_cndmask_b32_e64 v85, 0, 1, s14
	v_lshlrev_b32_e32 v87, 29, v83
	s_delay_alu instid0(VALU_DEP_4) | instskip(NEXT) | instid1(VALU_DEP_3)
	v_cmp_gt_i32_e64 s15, 0, v86
	v_cmp_ne_u32_e64 s14, 0, v85
	v_not_b32_e32 v85, v86
	s_delay_alu instid0(VALU_DEP_4) | instskip(NEXT) | instid1(VALU_DEP_2)
	v_not_b32_e32 v86, v87
	v_dual_ashrrev_i32 v85, 31, v85 :: v_dual_bitop2_b32 v82, s14, v82 bitop3:0x14
	s_delay_alu instid0(VALU_DEP_2) | instskip(SKIP_3) | instid1(VALU_DEP_4)
	v_dual_ashrrev_i32 v86, 31, v86 :: v_dual_lshlrev_b32 v96, 28, v83
	v_dual_lshlrev_b32 v97, 27, v83 :: v_dual_lshlrev_b32 v98, 26, v83
	v_cmp_gt_i32_e64 s16, 0, v87
	v_lshl_add_u32 v84, v83, 3, v176
	v_not_b32_e32 v87, v96
	v_dual_lshlrev_b32 v99, 25, v83 :: v_dual_lshlrev_b32 v83, 24, v83
	v_cmp_gt_i32_e64 s17, 0, v96
	v_cmp_gt_i32_e64 s18, 0, v97
	v_not_b32_e32 v96, v97
	v_not_b32_e32 v97, v98
	v_dual_ashrrev_i32 v87, 31, v87 :: v_dual_bitop2_b32 v85, s15, v85 bitop3:0x14
	v_cmp_gt_i32_e64 s19, 0, v98
	v_not_b32_e32 v98, v99
	v_cmp_gt_i32_e64 s21, 0, v83
	v_not_b32_e32 v83, v83
	v_dual_ashrrev_i32 v96, 31, v96 :: v_dual_ashrrev_i32 v97, 31, v97
	v_xor_b32_e32 v86, s16, v86
	v_xor_b32_e32 v87, s17, v87
	v_bitop3_b32 v82, v82, v85, exec_lo bitop3:0x80
	v_cmp_gt_i32_e64 s20, 0, v99
	v_dual_ashrrev_i32 v85, 31, v98 :: v_dual_ashrrev_i32 v83, 31, v83
	v_xor_b32_e32 v96, s18, v96
	s_delay_alu instid0(VALU_DEP_4) | instskip(SKIP_4) | instid1(VALU_DEP_3)
	v_bitop3_b32 v82, v82, v87, v86 bitop3:0x80
	v_lshl_add_u32 v84, v84, 2, v12
	v_xor_b32_e32 v97, s19, v97
	v_xor_b32_e32 v85, s20, v85
	;; [unrolled: 1-line block ×3, first 2 shown]
	v_bitop3_b32 v86, v82, v97, v96 bitop3:0x80
	ds_load_b32 v82, v84 offset:32
	v_add_nc_u32_e32 v84, 32, v84
	; wave barrier
	v_bitop3_b32 v85, v86, v83, v85 bitop3:0x80
	s_delay_alu instid0(VALU_DEP_1) | instskip(SKIP_1) | instid1(VALU_DEP_2)
	v_mbcnt_lo_u32_b32 v83, v85, 0
	v_cmp_ne_u32_e64 s15, 0, v85
	v_cmp_eq_u32_e64 s14, 0, v83
	s_and_b32 s15, s15, s14
	s_delay_alu instid0(SALU_CYCLE_1)
	s_and_saveexec_b32 s14, s15
	s_cbranch_execz .LBB1112_180
; %bb.179:                              ;   in Loop: Header=BB1112_172 Depth=1
	s_wait_dscnt 0x0
	v_bcnt_u32_b32 v85, v85, v82
	ds_store_b32 v84, v85
.LBB1112_180:                           ;   in Loop: Header=BB1112_172 Depth=1
	s_or_b32 exec_lo, exec_lo, s14
	v_cmp_ne_u64_e64 s14, s[22:23], v[48:49]
	; wave barrier
	s_delay_alu instid0(VALU_DEP_1) | instskip(SKIP_1) | instid1(VALU_DEP_1)
	v_cndmask_b32_e64 v87, 0x7fffffff, v49, s14
	v_cndmask_b32_e64 v86, -1, v48, s14
	v_lshrrev_b64 v[86:87], v10, v[86:87]
	s_delay_alu instid0(VALU_DEP_1) | instskip(SKIP_1) | instid1(VALU_DEP_2)
	v_and_b32_e32 v85, v86, v81
	v_bitop3_b32 v86, v86, 1, v81 bitop3:0x80
	v_lshlrev_b32_e32 v97, 30, v85
	s_delay_alu instid0(VALU_DEP_2) | instskip(NEXT) | instid1(VALU_DEP_1)
	v_add_co_u32 v86, s14, v86, -1
	v_cndmask_b32_e64 v96, 0, 1, s14
	s_delay_alu instid0(VALU_DEP_3) | instskip(NEXT) | instid1(VALU_DEP_2)
	v_cmp_gt_i32_e64 s15, 0, v97
	v_cmp_ne_u32_e64 s14, 0, v96
	v_not_b32_e32 v96, v97
	s_delay_alu instid0(VALU_DEP_1) | instskip(SKIP_3) | instid1(VALU_DEP_4)
	v_dual_ashrrev_i32 v96, 31, v96 :: v_dual_lshlrev_b32 v98, 29, v85
	v_dual_lshlrev_b32 v99, 28, v85 :: v_dual_lshlrev_b32 v100, 27, v85
	v_lshlrev_b32_e32 v101, 26, v85
	v_lshl_add_u32 v87, v85, 3, v176
	v_cmp_gt_i32_e64 s16, 0, v98
	v_not_b32_e32 v97, v98
	v_not_b32_e32 v98, v99
	v_dual_lshlrev_b32 v102, 25, v85 :: v_dual_lshlrev_b32 v85, 24, v85
	v_cmp_gt_i32_e64 s17, 0, v99
	v_cmp_gt_i32_e64 s18, 0, v100
	v_not_b32_e32 v99, v100
	v_not_b32_e32 v100, v101
	v_dual_ashrrev_i32 v97, 31, v97 :: v_dual_bitop2_b32 v86, s14, v86 bitop3:0x14
	v_dual_ashrrev_i32 v98, 31, v98 :: v_dual_bitop2_b32 v96, s15, v96 bitop3:0x14
	v_cmp_gt_i32_e64 s19, 0, v101
	v_not_b32_e32 v101, v102
	v_cmp_gt_i32_e64 s21, 0, v85
	v_not_b32_e32 v85, v85
	v_dual_ashrrev_i32 v99, 31, v99 :: v_dual_ashrrev_i32 v100, 31, v100
	v_xor_b32_e32 v98, s17, v98
	v_bitop3_b32 v86, v86, v96, exec_lo bitop3:0x80
	v_lshl_add_u32 v87, v87, 2, v12
	v_xor_b32_e32 v97, s16, v97
	v_cmp_gt_i32_e64 s20, 0, v102
	v_ashrrev_i32_e32 v96, 31, v101
	v_dual_ashrrev_i32 v85, 31, v85 :: v_dual_bitop2_b32 v99, s18, v99 bitop3:0x14
	v_xor_b32_e32 v100, s19, v100
	v_bitop3_b32 v86, v86, v98, v97 bitop3:0x80
	s_delay_alu instid0(VALU_DEP_4) | instskip(NEXT) | instid1(VALU_DEP_4)
	v_xor_b32_e32 v96, s20, v96
	v_xor_b32_e32 v97, s21, v85
	ds_load_b32 v85, v87 offset:32
	v_add_nc_u32_e32 v87, 32, v87
	v_bitop3_b32 v86, v86, v100, v99 bitop3:0x80
	; wave barrier
	s_delay_alu instid0(VALU_DEP_1) | instskip(NEXT) | instid1(VALU_DEP_1)
	v_bitop3_b32 v96, v86, v97, v96 bitop3:0x80
	v_mbcnt_lo_u32_b32 v86, v96, 0
	v_cmp_ne_u32_e64 s15, 0, v96
	s_delay_alu instid0(VALU_DEP_2) | instskip(SKIP_1) | instid1(SALU_CYCLE_1)
	v_cmp_eq_u32_e64 s14, 0, v86
	s_and_b32 s15, s15, s14
	s_and_saveexec_b32 s14, s15
	s_cbranch_execz .LBB1112_182
; %bb.181:                              ;   in Loop: Header=BB1112_172 Depth=1
	s_wait_dscnt 0x0
	v_bcnt_u32_b32 v96, v96, v85
	ds_store_b32 v87, v96
.LBB1112_182:                           ;   in Loop: Header=BB1112_172 Depth=1
	s_or_b32 exec_lo, exec_lo, s14
	v_cmp_ne_u64_e64 s14, s[22:23], v[36:37]
	; wave barrier
	s_delay_alu instid0(VALU_DEP_1) | instskip(SKIP_1) | instid1(VALU_DEP_1)
	v_cndmask_b32_e64 v97, 0x7fffffff, v37, s14
	v_cndmask_b32_e64 v96, -1, v36, s14
	v_lshrrev_b64 v[96:97], v10, v[96:97]
	s_delay_alu instid0(VALU_DEP_1) | instskip(SKIP_1) | instid1(VALU_DEP_2)
	v_and_b32_e32 v97, v96, v81
	v_bitop3_b32 v96, v96, 1, v81 bitop3:0x80
	v_lshlrev_b32_e32 v100, 30, v97
	s_delay_alu instid0(VALU_DEP_2) | instskip(NEXT) | instid1(VALU_DEP_1)
	v_add_co_u32 v96, s14, v96, -1
	v_cndmask_b32_e64 v99, 0, 1, s14
	s_delay_alu instid0(VALU_DEP_3) | instskip(NEXT) | instid1(VALU_DEP_2)
	v_cmp_gt_i32_e64 s15, 0, v100
	v_cmp_ne_u32_e64 s14, 0, v99
	v_not_b32_e32 v99, v100
	s_delay_alu instid0(VALU_DEP_1) | instskip(SKIP_3) | instid1(VALU_DEP_4)
	v_dual_ashrrev_i32 v99, 31, v99 :: v_dual_lshlrev_b32 v101, 29, v97
	v_dual_lshlrev_b32 v102, 28, v97 :: v_dual_lshlrev_b32 v103, 27, v97
	v_lshlrev_b32_e32 v112, 26, v97
	v_lshl_add_u32 v98, v97, 3, v176
	v_cmp_gt_i32_e64 s16, 0, v101
	v_not_b32_e32 v100, v101
	v_not_b32_e32 v101, v102
	v_dual_lshlrev_b32 v113, 25, v97 :: v_dual_lshlrev_b32 v97, 24, v97
	v_cmp_gt_i32_e64 s17, 0, v102
	v_cmp_gt_i32_e64 s18, 0, v103
	v_not_b32_e32 v102, v103
	v_not_b32_e32 v103, v112
	v_dual_ashrrev_i32 v101, 31, v101 :: v_dual_bitop2_b32 v96, s14, v96 bitop3:0x14
	v_dual_ashrrev_i32 v100, 31, v100 :: v_dual_bitop2_b32 v99, s15, v99 bitop3:0x14
	v_cmp_gt_i32_e64 s19, 0, v112
	v_not_b32_e32 v112, v113
	v_cmp_gt_i32_e64 s21, 0, v97
	v_not_b32_e32 v97, v97
	v_dual_ashrrev_i32 v102, 31, v102 :: v_dual_ashrrev_i32 v103, 31, v103
	v_xor_b32_e32 v100, s16, v100
	v_xor_b32_e32 v101, s17, v101
	v_bitop3_b32 v96, v96, v99, exec_lo bitop3:0x80
	v_cmp_gt_i32_e64 s20, 0, v113
	v_dual_ashrrev_i32 v99, 31, v112 :: v_dual_ashrrev_i32 v97, 31, v97
	v_xor_b32_e32 v102, s18, v102
	s_delay_alu instid0(VALU_DEP_4) | instskip(SKIP_4) | instid1(VALU_DEP_3)
	v_bitop3_b32 v96, v96, v101, v100 bitop3:0x80
	v_lshl_add_u32 v98, v98, 2, v12
	v_xor_b32_e32 v103, s19, v103
	v_xor_b32_e32 v99, s20, v99
	;; [unrolled: 1-line block ×3, first 2 shown]
	v_bitop3_b32 v100, v96, v103, v102 bitop3:0x80
	ds_load_b32 v96, v98 offset:32
	v_add_nc_u32_e32 v98, 32, v98
	; wave barrier
	v_bitop3_b32 v99, v100, v97, v99 bitop3:0x80
	s_delay_alu instid0(VALU_DEP_1) | instskip(SKIP_1) | instid1(VALU_DEP_2)
	v_mbcnt_lo_u32_b32 v97, v99, 0
	v_cmp_ne_u32_e64 s15, 0, v99
	v_cmp_eq_u32_e64 s14, 0, v97
	s_and_b32 s15, s15, s14
	s_delay_alu instid0(SALU_CYCLE_1)
	s_and_saveexec_b32 s14, s15
	s_cbranch_execz .LBB1112_184
; %bb.183:                              ;   in Loop: Header=BB1112_172 Depth=1
	s_wait_dscnt 0x0
	v_bcnt_u32_b32 v99, v99, v96
	ds_store_b32 v98, v99
.LBB1112_184:                           ;   in Loop: Header=BB1112_172 Depth=1
	s_or_b32 exec_lo, exec_lo, s14
	v_cmp_ne_u64_e64 s14, s[22:23], v[34:35]
	; wave barrier
	s_delay_alu instid0(VALU_DEP_1) | instskip(SKIP_1) | instid1(VALU_DEP_1)
	v_cndmask_b32_e64 v101, 0x7fffffff, v35, s14
	v_cndmask_b32_e64 v100, -1, v34, s14
	v_lshrrev_b64 v[100:101], v10, v[100:101]
	s_delay_alu instid0(VALU_DEP_1) | instskip(SKIP_1) | instid1(VALU_DEP_2)
	v_and_b32_e32 v99, v100, v81
	v_bitop3_b32 v100, v100, 1, v81 bitop3:0x80
	v_lshlrev_b32_e32 v103, 30, v99
	s_delay_alu instid0(VALU_DEP_2) | instskip(NEXT) | instid1(VALU_DEP_1)
	v_add_co_u32 v100, s14, v100, -1
	v_cndmask_b32_e64 v102, 0, 1, s14
	s_delay_alu instid0(VALU_DEP_3) | instskip(NEXT) | instid1(VALU_DEP_2)
	v_cmp_gt_i32_e64 s15, 0, v103
	v_cmp_ne_u32_e64 s14, 0, v102
	v_not_b32_e32 v102, v103
	s_delay_alu instid0(VALU_DEP_1) | instskip(SKIP_3) | instid1(VALU_DEP_4)
	v_dual_ashrrev_i32 v102, 31, v102 :: v_dual_lshlrev_b32 v112, 29, v99
	v_dual_lshlrev_b32 v113, 28, v99 :: v_dual_lshlrev_b32 v114, 27, v99
	v_lshlrev_b32_e32 v115, 26, v99
	v_lshl_add_u32 v101, v99, 3, v176
	v_cmp_gt_i32_e64 s16, 0, v112
	v_not_b32_e32 v103, v112
	v_not_b32_e32 v112, v113
	v_dual_lshlrev_b32 v116, 25, v99 :: v_dual_lshlrev_b32 v99, 24, v99
	v_cmp_gt_i32_e64 s17, 0, v113
	v_cmp_gt_i32_e64 s18, 0, v114
	v_not_b32_e32 v113, v114
	v_not_b32_e32 v114, v115
	v_dual_ashrrev_i32 v103, 31, v103 :: v_dual_bitop2_b32 v100, s14, v100 bitop3:0x14
	v_dual_ashrrev_i32 v112, 31, v112 :: v_dual_bitop2_b32 v102, s15, v102 bitop3:0x14
	v_cmp_gt_i32_e64 s19, 0, v115
	v_not_b32_e32 v115, v116
	v_cmp_gt_i32_e64 s21, 0, v99
	v_not_b32_e32 v99, v99
	v_dual_ashrrev_i32 v113, 31, v113 :: v_dual_ashrrev_i32 v114, 31, v114
	v_xor_b32_e32 v112, s17, v112
	v_bitop3_b32 v100, v100, v102, exec_lo bitop3:0x80
	v_lshl_add_u32 v101, v101, 2, v12
	v_xor_b32_e32 v103, s16, v103
	v_cmp_gt_i32_e64 s20, 0, v116
	v_ashrrev_i32_e32 v102, 31, v115
	v_dual_ashrrev_i32 v99, 31, v99 :: v_dual_bitop2_b32 v113, s18, v113 bitop3:0x14
	v_xor_b32_e32 v114, s19, v114
	v_bitop3_b32 v100, v100, v112, v103 bitop3:0x80
	s_delay_alu instid0(VALU_DEP_4) | instskip(NEXT) | instid1(VALU_DEP_4)
	v_xor_b32_e32 v102, s20, v102
	v_xor_b32_e32 v103, s21, v99
	ds_load_b32 v99, v101 offset:32
	v_add_nc_u32_e32 v101, 32, v101
	v_bitop3_b32 v100, v100, v114, v113 bitop3:0x80
	; wave barrier
	s_delay_alu instid0(VALU_DEP_1) | instskip(NEXT) | instid1(VALU_DEP_1)
	v_bitop3_b32 v102, v100, v103, v102 bitop3:0x80
	v_mbcnt_lo_u32_b32 v100, v102, 0
	v_cmp_ne_u32_e64 s15, 0, v102
	s_delay_alu instid0(VALU_DEP_2) | instskip(SKIP_1) | instid1(SALU_CYCLE_1)
	v_cmp_eq_u32_e64 s14, 0, v100
	s_and_b32 s15, s15, s14
	s_and_saveexec_b32 s14, s15
	s_cbranch_execz .LBB1112_186
; %bb.185:                              ;   in Loop: Header=BB1112_172 Depth=1
	s_wait_dscnt 0x0
	v_bcnt_u32_b32 v102, v102, v99
	ds_store_b32 v101, v102
.LBB1112_186:                           ;   in Loop: Header=BB1112_172 Depth=1
	s_or_b32 exec_lo, exec_lo, s14
	v_cmp_ne_u64_e64 s14, s[22:23], v[50:51]
	; wave barrier
	s_delay_alu instid0(VALU_DEP_1) | instskip(SKIP_1) | instid1(VALU_DEP_1)
	v_cndmask_b32_e64 v103, 0x7fffffff, v51, s14
	v_cndmask_b32_e64 v102, -1, v50, s14
	v_lshrrev_b64 v[102:103], v10, v[102:103]
	s_delay_alu instid0(VALU_DEP_1) | instskip(SKIP_1) | instid1(VALU_DEP_2)
	v_and_b32_e32 v103, v102, v81
	v_bitop3_b32 v81, v102, 1, v81 bitop3:0x80
	v_lshlrev_b32_e32 v113, 30, v103
	s_delay_alu instid0(VALU_DEP_2) | instskip(NEXT) | instid1(VALU_DEP_1)
	v_add_co_u32 v81, s14, v81, -1
	v_cndmask_b32_e64 v112, 0, 1, s14
	s_delay_alu instid0(VALU_DEP_3) | instskip(NEXT) | instid1(VALU_DEP_2)
	v_cmp_gt_i32_e64 s15, 0, v113
	v_cmp_ne_u32_e64 s14, 0, v112
	v_not_b32_e32 v112, v113
	s_delay_alu instid0(VALU_DEP_1) | instskip(SKIP_3) | instid1(VALU_DEP_4)
	v_dual_ashrrev_i32 v112, 31, v112 :: v_dual_lshlrev_b32 v114, 29, v103
	v_dual_lshlrev_b32 v115, 28, v103 :: v_dual_lshlrev_b32 v116, 27, v103
	v_lshlrev_b32_e32 v117, 26, v103
	v_lshl_add_u32 v102, v103, 3, v176
	v_cmp_gt_i32_e64 s16, 0, v114
	v_not_b32_e32 v113, v114
	v_not_b32_e32 v114, v115
	v_dual_lshlrev_b32 v118, 25, v103 :: v_dual_lshlrev_b32 v103, 24, v103
	v_cmp_gt_i32_e64 s17, 0, v115
	v_cmp_gt_i32_e64 s18, 0, v116
	v_not_b32_e32 v115, v116
	v_not_b32_e32 v116, v117
	v_dual_ashrrev_i32 v114, 31, v114 :: v_dual_bitop2_b32 v81, s14, v81 bitop3:0x14
	v_dual_ashrrev_i32 v113, 31, v113 :: v_dual_bitop2_b32 v112, s15, v112 bitop3:0x14
	v_cmp_gt_i32_e64 s19, 0, v117
	v_not_b32_e32 v117, v118
	v_cmp_gt_i32_e64 s21, 0, v103
	v_not_b32_e32 v103, v103
	v_dual_ashrrev_i32 v115, 31, v115 :: v_dual_ashrrev_i32 v116, 31, v116
	v_xor_b32_e32 v113, s16, v113
	v_xor_b32_e32 v114, s17, v114
	v_bitop3_b32 v81, v81, v112, exec_lo bitop3:0x80
	v_cmp_gt_i32_e64 s20, 0, v118
	v_dual_ashrrev_i32 v112, 31, v117 :: v_dual_ashrrev_i32 v103, 31, v103
	v_xor_b32_e32 v116, s19, v116
	s_delay_alu instid0(VALU_DEP_4) | instskip(SKIP_4) | instid1(VALU_DEP_3)
	v_bitop3_b32 v81, v81, v114, v113 bitop3:0x80
	v_lshl_add_u32 v113, v102, 2, v12
	v_xor_b32_e32 v115, s18, v115
	v_xor_b32_e32 v102, s20, v112
	;; [unrolled: 1-line block ×3, first 2 shown]
	v_bitop3_b32 v112, v81, v116, v115 bitop3:0x80
	ds_load_b32 v81, v113 offset:32
	; wave barrier
	v_bitop3_b32 v112, v112, v103, v102 bitop3:0x80
	v_add_nc_u32_e32 v103, 32, v113
	s_delay_alu instid0(VALU_DEP_2) | instskip(SKIP_1) | instid1(VALU_DEP_2)
	v_mbcnt_lo_u32_b32 v102, v112, 0
	v_cmp_ne_u32_e64 s15, 0, v112
	v_cmp_eq_u32_e64 s14, 0, v102
	s_and_b32 s15, s15, s14
	s_delay_alu instid0(SALU_CYCLE_1)
	s_and_saveexec_b32 s14, s15
	s_cbranch_execz .LBB1112_188
; %bb.187:                              ;   in Loop: Header=BB1112_172 Depth=1
	s_wait_dscnt 0x0
	v_bcnt_u32_b32 v112, v112, v81
	ds_store_b32 v103, v112
.LBB1112_188:                           ;   in Loop: Header=BB1112_172 Depth=1
	s_or_b32 exec_lo, exec_lo, s14
	; wave barrier
	s_wait_dscnt 0x0
	s_barrier_signal -1
	s_barrier_wait -1
	ds_load_b32 v113, v23
	ds_load_b32 v114, v39
	;; [unrolled: 1-line block ×8, first 2 shown]
	s_wait_dscnt 0x6
	v_add_nc_u32_e32 v128, v114, v113
	s_wait_dscnt 0x4
	s_delay_alu instid0(VALU_DEP_1) | instskip(SKIP_1) | instid1(VALU_DEP_1)
	v_add3_u32 v128, v128, v115, v116
	s_wait_dscnt 0x2
	v_add3_u32 v128, v128, v117, v118
	s_wait_dscnt 0x0
	s_delay_alu instid0(VALU_DEP_1) | instskip(NEXT) | instid1(VALU_DEP_1)
	v_add3_u32 v119, v128, v112, v119
	v_mov_b32_dpp v128, v119 row_shr:1 row_mask:0xf bank_mask:0xf
	s_delay_alu instid0(VALU_DEP_1) | instskip(NEXT) | instid1(VALU_DEP_1)
	v_cndmask_b32_e64 v128, v128, 0, vcc_lo
	v_add_nc_u32_e32 v119, v128, v119
	s_delay_alu instid0(VALU_DEP_1) | instskip(NEXT) | instid1(VALU_DEP_1)
	v_mov_b32_dpp v128, v119 row_shr:2 row_mask:0xf bank_mask:0xf
	v_cndmask_b32_e64 v128, 0, v128, s0
	s_delay_alu instid0(VALU_DEP_1) | instskip(NEXT) | instid1(VALU_DEP_1)
	v_add_nc_u32_e32 v119, v119, v128
	v_mov_b32_dpp v128, v119 row_shr:4 row_mask:0xf bank_mask:0xf
	s_delay_alu instid0(VALU_DEP_1) | instskip(NEXT) | instid1(VALU_DEP_1)
	v_cndmask_b32_e64 v128, 0, v128, s1
	v_add_nc_u32_e32 v119, v119, v128
	s_delay_alu instid0(VALU_DEP_1) | instskip(NEXT) | instid1(VALU_DEP_1)
	v_mov_b32_dpp v128, v119 row_shr:8 row_mask:0xf bank_mask:0xf
	v_cndmask_b32_e64 v128, 0, v128, s3
	s_delay_alu instid0(VALU_DEP_1) | instskip(SKIP_3) | instid1(VALU_DEP_1)
	v_add_nc_u32_e32 v119, v119, v128
	ds_swizzle_b32 v128, v119 offset:swizzle(BROADCAST,32,15)
	s_wait_dscnt 0x0
	v_cndmask_b32_e64 v128, v128, 0, s4
	v_add_nc_u32_e32 v119, v119, v128
	s_and_saveexec_b32 s14, s5
; %bb.189:                              ;   in Loop: Header=BB1112_172 Depth=1
	ds_store_b32 v178, v119
; %bb.190:                              ;   in Loop: Header=BB1112_172 Depth=1
	s_or_b32 exec_lo, exec_lo, s14
	s_wait_dscnt 0x0
	s_barrier_signal -1
	s_barrier_wait -1
	s_and_saveexec_b32 s14, s6
	s_cbranch_execz .LBB1112_192
; %bb.191:                              ;   in Loop: Header=BB1112_172 Depth=1
	ds_load_b32 v128, v179
	s_wait_dscnt 0x0
	v_mov_b32_dpp v129, v128 row_shr:1 row_mask:0xf bank_mask:0xf
	s_delay_alu instid0(VALU_DEP_1) | instskip(NEXT) | instid1(VALU_DEP_1)
	v_cndmask_b32_e64 v129, v129, 0, s11
	v_add_nc_u32_e32 v128, v129, v128
	s_delay_alu instid0(VALU_DEP_1) | instskip(NEXT) | instid1(VALU_DEP_1)
	v_mov_b32_dpp v129, v128 row_shr:2 row_mask:0xf bank_mask:0xf
	v_cndmask_b32_e64 v129, 0, v129, s12
	s_delay_alu instid0(VALU_DEP_1) | instskip(NEXT) | instid1(VALU_DEP_1)
	v_add_nc_u32_e32 v128, v128, v129
	v_mov_b32_dpp v129, v128 row_shr:4 row_mask:0xf bank_mask:0xf
	s_delay_alu instid0(VALU_DEP_1) | instskip(NEXT) | instid1(VALU_DEP_1)
	v_cndmask_b32_e64 v129, 0, v129, s13
	v_add_nc_u32_e32 v128, v128, v129
	ds_store_b32 v179, v128
.LBB1112_192:                           ;   in Loop: Header=BB1112_172 Depth=1
	s_or_b32 exec_lo, exec_lo, s14
	v_mov_b32_e32 v128, 0
	s_wait_dscnt 0x0
	s_barrier_signal -1
	s_barrier_wait -1
	s_and_saveexec_b32 s14, s7
; %bb.193:                              ;   in Loop: Header=BB1112_172 Depth=1
	ds_load_b32 v128, v181
; %bb.194:                              ;   in Loop: Header=BB1112_172 Depth=1
	s_or_b32 exec_lo, exec_lo, s14
	s_wait_dscnt 0x0
	v_add_nc_u32_e32 v119, v128, v119
	s_mov_b32 s16, -1
	v_add_nc_u32_e32 v10, 8, v10
	ds_bpermute_b32 v119, v177, v119
	v_cmp_lt_u32_e64 s14, v10, v11
	s_wait_dscnt 0x0
	v_cndmask_b32_e64 v119, v119, v128, s2
                                        ; implicit-def: $vgpr128_vgpr129
	s_delay_alu instid0(VALU_DEP_1) | instskip(NEXT) | instid1(VALU_DEP_1)
	v_cndmask_b32_e64 v119, v119, 0, s10
	v_add_nc_u32_e32 v113, v119, v113
	s_delay_alu instid0(VALU_DEP_1) | instskip(NEXT) | instid1(VALU_DEP_1)
	v_add_nc_u32_e32 v114, v113, v114
	v_add_nc_u32_e32 v115, v114, v115
	s_delay_alu instid0(VALU_DEP_1) | instskip(NEXT) | instid1(VALU_DEP_1)
	v_add_nc_u32_e32 v116, v115, v116
	v_add_nc_u32_e32 v117, v116, v117
	s_delay_alu instid0(VALU_DEP_1)
	v_add_nc_u32_e32 v118, v117, v118
	ds_store_b32 v23, v119
	ds_store_b32 v39, v113
	;; [unrolled: 1-line block ×3, first 2 shown]
	v_dual_mov_b32 v113, v1 :: v_dual_add_nc_u32 v112, v118, v112
	ds_store_b32 v163, v115
	ds_store_b32 v164, v116
	;; [unrolled: 1-line block ×5, first 2 shown]
	s_wait_dscnt 0x0
	s_barrier_signal -1
	s_barrier_wait -1
	ds_load_b32 v66, v66
	ds_load_b32 v112, v69
	ds_load_b32 v80, v80
	ds_load_b32 v84, v84
	ds_load_b32 v116, v87
	ds_load_b32 v98, v98
	ds_load_b32 v118, v101
	ds_load_b32 v119, v103
	v_dual_mov_b32 v69, v1 :: v_dual_mov_b32 v115, v1
	v_dual_mov_b32 v87, v1 :: v_dual_mov_b32 v117, v1
	;; [unrolled: 1-line block ×3, first 2 shown]
	s_wait_dscnt 0x0
	v_add_nc_u32_e32 v0, v66, v0
	v_add3_u32 v68, v68, v67, v112
	v_add3_u32 v112, v71, v70, v80
	v_add3_u32 v114, v83, v82, v84
	v_add3_u32 v86, v86, v85, v116
	v_add3_u32 v116, v97, v96, v98
	v_add3_u32 v100, v100, v99, v118
	v_add3_u32 v102, v102, v81, v119
	v_lshl_add_u64 v[130:131], v[0:1], 3, v[12:13]
	v_lshl_add_u64 v[132:133], v[68:69], 3, v[12:13]
	;; [unrolled: 1-line block ×8, first 2 shown]
                                        ; implicit-def: $vgpr66_vgpr67
                                        ; implicit-def: $vgpr68_vgpr69
                                        ; implicit-def: $vgpr70_vgpr71
                                        ; implicit-def: $vgpr82_vgpr83
                                        ; implicit-def: $vgpr84_vgpr85
                                        ; implicit-def: $vgpr96_vgpr97
                                        ; implicit-def: $vgpr100_vgpr101
                                        ; implicit-def: $vgpr102_vgpr103
                                        ; implicit-def: $vgpr116_vgpr117
                                        ; implicit-def: $vgpr80_vgpr81
                                        ; implicit-def: $vgpr86_vgpr87
                                        ; implicit-def: $vgpr98_vgpr99
                                        ; implicit-def: $vgpr112_vgpr113
                                        ; implicit-def: $vgpr114_vgpr115
                                        ; implicit-def: $vgpr118_vgpr119
	s_and_saveexec_b32 s15, s14
	s_cbranch_execz .LBB1112_171
; %bb.195:                              ;   in Loop: Header=BB1112_172 Depth=1
	s_barrier_signal -1
	s_barrier_wait -1
	ds_store_b64 v130, v[26:27]
	ds_store_b64 v132, v[28:29]
	ds_store_b64 v134, v[32:33]
	ds_store_b64 v144, v[30:31]
	ds_store_b64 v146, v[48:49]
	ds_store_b64 v148, v[36:37]
	ds_store_b64 v150, v[34:35]
	ds_store_b64 v160, v[50:51]
	s_wait_dscnt 0x0
	s_barrier_signal -1
	s_barrier_wait -1
	ds_load_b64 v[128:129], v180
	ds_load_b64 v[116:117], v182
	;; [unrolled: 1-line block ×8, first 2 shown]
	s_wait_dscnt 0x0
	s_barrier_signal -1
	s_barrier_wait -1
	ds_store_b64 v130, v[16:17]
	ds_store_b64 v132, v[14:15]
	;; [unrolled: 1-line block ×8, first 2 shown]
	s_wait_dscnt 0x0
	s_barrier_signal -1
	s_barrier_wait -1
	ds_load_b64 v[66:67], v180
	ds_load_b64 v[68:69], v182
	;; [unrolled: 1-line block ×8, first 2 shown]
	v_add_nc_u32_e32 v197, -8, v197
	s_xor_b32 s16, exec_lo, -1
	s_wait_dscnt 0x0
	s_barrier_signal -1
	s_barrier_wait -1
	s_branch .LBB1112_171
.LBB1112_196:
	flat_load_b64 v[132:133], v[4:5]
	s_wait_xcnt 0x0
	s_or_b32 exec_lo, exec_lo, s17
                                        ; implicit-def: $vgpr130_vgpr131
	s_and_saveexec_b32 s17, s0
	s_cbranch_execz .LBB1112_36
.LBB1112_197:
	flat_load_b64 v[130:131], v[4:5] offset:256
	s_wait_xcnt 0x0
	s_or_b32 exec_lo, exec_lo, s17
                                        ; implicit-def: $vgpr134_vgpr135
	s_and_saveexec_b32 s0, s1
	s_cbranch_execz .LBB1112_37
.LBB1112_198:
	flat_load_b64 v[134:135], v[4:5] offset:512
	s_wait_xcnt 0x0
	s_or_b32 exec_lo, exec_lo, s0
                                        ; implicit-def: $vgpr146_vgpr147
	s_and_saveexec_b32 s0, s2
	s_cbranch_execz .LBB1112_38
.LBB1112_199:
	flat_load_b64 v[146:147], v[4:5] offset:768
	s_wait_xcnt 0x0
	s_or_b32 exec_lo, exec_lo, s0
                                        ; implicit-def: $vgpr150_vgpr151
	s_and_saveexec_b32 s0, s3
	s_cbranch_execz .LBB1112_39
.LBB1112_200:
	flat_load_b64 v[150:151], v[4:5] offset:1024
	s_wait_xcnt 0x0
	s_or_b32 exec_lo, exec_lo, s0
                                        ; implicit-def: $vgpr144_vgpr145
	s_and_saveexec_b32 s0, s4
	s_cbranch_execz .LBB1112_40
.LBB1112_201:
	flat_load_b64 v[144:145], v[4:5] offset:1280
	s_wait_xcnt 0x0
	s_or_b32 exec_lo, exec_lo, s0
                                        ; implicit-def: $vgpr148_vgpr149
	s_and_saveexec_b32 s0, s5
	s_cbranch_execz .LBB1112_41
.LBB1112_202:
	flat_load_b64 v[148:149], v[4:5] offset:1536
	s_wait_xcnt 0x0
	s_or_b32 exec_lo, exec_lo, s0
                                        ; implicit-def: $vgpr160_vgpr161
	s_and_saveexec_b32 s0, s6
	s_cbranch_execz .LBB1112_42
.LBB1112_203:
	flat_load_b64 v[160:161], v[4:5] offset:1792
	s_wait_xcnt 0x0
	s_or_b32 exec_lo, exec_lo, s0
                                        ; implicit-def: $vgpr162_vgpr163
	s_and_saveexec_b32 s0, s7
	s_cbranch_execz .LBB1112_43
.LBB1112_204:
	flat_load_b64 v[162:163], v[4:5] offset:2048
	s_wait_xcnt 0x0
	s_or_b32 exec_lo, exec_lo, s0
                                        ; implicit-def: $vgpr164_vgpr165
	s_and_saveexec_b32 s0, s10
	s_cbranch_execz .LBB1112_44
.LBB1112_205:
	flat_load_b64 v[164:165], v[4:5] offset:2304
	s_wait_xcnt 0x0
	s_or_b32 exec_lo, exec_lo, s0
                                        ; implicit-def: $vgpr166_vgpr167
	s_and_saveexec_b32 s0, s11
	s_cbranch_execz .LBB1112_45
.LBB1112_206:
	flat_load_b64 v[166:167], v[4:5] offset:2560
	s_wait_xcnt 0x0
	s_or_b32 exec_lo, exec_lo, s0
                                        ; implicit-def: $vgpr176_vgpr177
	s_and_saveexec_b32 s0, s12
	s_cbranch_execz .LBB1112_46
.LBB1112_207:
	flat_load_b64 v[176:177], v[4:5] offset:2816
	s_wait_xcnt 0x0
	s_or_b32 exec_lo, exec_lo, s0
                                        ; implicit-def: $vgpr178_vgpr179
	s_and_saveexec_b32 s0, s13
	s_cbranch_execz .LBB1112_47
.LBB1112_208:
	flat_load_b64 v[178:179], v[4:5] offset:3072
	s_wait_xcnt 0x0
	s_or_b32 exec_lo, exec_lo, s0
                                        ; implicit-def: $vgpr180_vgpr181
	s_and_saveexec_b32 s0, s14
	s_cbranch_execz .LBB1112_48
.LBB1112_209:
	flat_load_b64 v[180:181], v[4:5] offset:3328
	s_wait_xcnt 0x0
	s_or_b32 exec_lo, exec_lo, s0
                                        ; implicit-def: $vgpr182_vgpr183
	s_and_saveexec_b32 s0, s15
	s_cbranch_execz .LBB1112_49
.LBB1112_210:
	flat_load_b64 v[182:183], v[4:5] offset:3584
	s_wait_xcnt 0x0
	s_or_b32 exec_lo, exec_lo, s0
                                        ; implicit-def: $vgpr194_vgpr195
	s_and_saveexec_b32 s0, s16
	s_cbranch_execnz .LBB1112_50
	s_branch .LBB1112_51
.LBB1112_211:
	flat_store_b64 v[0:1], v[52:53]
	s_wait_xcnt 0x0
	s_or_b32 exec_lo, exec_lo, s17
	s_and_saveexec_b32 s17, s0
	s_cbranch_execz .LBB1112_127
.LBB1112_212:
	flat_store_b64 v[0:1], v[54:55] offset:2048
	s_wait_xcnt 0x0
	s_or_b32 exec_lo, exec_lo, s17
	s_and_saveexec_b32 s0, s1
	s_cbranch_execz .LBB1112_128
.LBB1112_213:
	flat_store_b64 v[0:1], v[34:35] offset:4096
	s_wait_xcnt 0x0
	s_or_b32 exec_lo, exec_lo, s0
	s_and_saveexec_b32 s0, s2
	s_cbranch_execz .LBB1112_129
.LBB1112_214:
	flat_store_b64 v[0:1], v[36:37] offset:6144
	s_wait_xcnt 0x0
	s_or_b32 exec_lo, exec_lo, s0
	s_and_saveexec_b32 s0, s3
	s_cbranch_execz .LBB1112_130
.LBB1112_215:
	flat_store_b64 v[0:1], v[30:31] offset:8192
	s_wait_xcnt 0x0
	s_or_b32 exec_lo, exec_lo, s0
	s_and_saveexec_b32 s0, s4
	s_cbranch_execz .LBB1112_131
.LBB1112_216:
	flat_store_b64 v[0:1], v[32:33] offset:10240
	s_wait_xcnt 0x0
	s_or_b32 exec_lo, exec_lo, s0
	s_and_saveexec_b32 s0, s5
	s_cbranch_execz .LBB1112_132
.LBB1112_217:
	flat_store_b64 v[0:1], v[26:27] offset:12288
	s_wait_xcnt 0x0
	s_or_b32 exec_lo, exec_lo, s0
	s_and_saveexec_b32 s0, s6
	s_cbranch_execz .LBB1112_133
.LBB1112_218:
	flat_store_b64 v[0:1], v[28:29] offset:14336
	s_wait_xcnt 0x0
	s_or_b32 exec_lo, exec_lo, s0
	s_and_saveexec_b32 s0, s7
	s_cbranch_execz .LBB1112_134
.LBB1112_219:
	flat_store_b64 v[0:1], v[22:23] offset:16384
	s_wait_xcnt 0x0
	s_or_b32 exec_lo, exec_lo, s0
	s_and_saveexec_b32 s0, s10
	s_cbranch_execz .LBB1112_135
.LBB1112_220:
	flat_store_b64 v[0:1], v[24:25] offset:18432
	s_wait_xcnt 0x0
	s_or_b32 exec_lo, exec_lo, s0
	s_and_saveexec_b32 s0, s11
	s_cbranch_execz .LBB1112_136
.LBB1112_221:
	flat_store_b64 v[0:1], v[18:19] offset:20480
	s_wait_xcnt 0x0
	s_or_b32 exec_lo, exec_lo, s0
	s_and_saveexec_b32 s0, s12
	s_cbranch_execz .LBB1112_137
.LBB1112_222:
	flat_store_b64 v[0:1], v[20:21] offset:22528
	s_wait_xcnt 0x0
	s_or_b32 exec_lo, exec_lo, s0
	s_and_saveexec_b32 s0, s13
	s_cbranch_execz .LBB1112_138
.LBB1112_223:
	flat_store_b64 v[0:1], v[14:15] offset:24576
	s_wait_xcnt 0x0
	s_or_b32 exec_lo, exec_lo, s0
	s_and_saveexec_b32 s0, s14
	s_cbranch_execz .LBB1112_139
.LBB1112_224:
	flat_store_b64 v[0:1], v[16:17] offset:26624
	s_wait_xcnt 0x0
	s_or_b32 exec_lo, exec_lo, s0
	s_and_saveexec_b32 s0, s15
	s_cbranch_execz .LBB1112_140
.LBB1112_225:
	flat_store_b64 v[0:1], v[10:11] offset:28672
	s_wait_xcnt 0x0
	s_or_b32 exec_lo, exec_lo, s0
	s_and_saveexec_b32 s0, s16
	s_cbranch_execnz .LBB1112_141
	s_branch .LBB1112_142
.LBB1112_226:
	s_or_b32 exec_lo, exec_lo, s28
	v_lshl_add_u32 v0, v22, 3, v12
	s_barrier_signal -1
	s_barrier_wait -1
	ds_store_b64 v130, v[26:27]
	ds_store_b64 v132, v[28:29]
	;; [unrolled: 1-line block ×8, first 2 shown]
	s_wait_dscnt 0x0
	s_barrier_signal -1
	s_barrier_wait -1
	ds_load_2addr_stride64_b64 v[48:51], v0 offset1:4
	ds_load_2addr_stride64_b64 v[34:37], v0 offset0:8 offset1:12
	ds_load_2addr_stride64_b64 v[30:33], v0 offset0:16 offset1:20
	;; [unrolled: 1-line block ×3, first 2 shown]
	s_wait_dscnt 0x0
	s_barrier_signal -1
	s_barrier_wait -1
	ds_store_b64 v130, v[16:17]
	ds_store_b64 v132, v[14:15]
	;; [unrolled: 1-line block ×8, first 2 shown]
	s_wait_dscnt 0x0
	s_barrier_signal -1
	s_barrier_wait -1
	ds_load_2addr_stride64_b64 v[22:25], v0 offset1:4
	ds_load_2addr_stride64_b64 v[18:21], v0 offset0:8 offset1:12
	ds_load_2addr_stride64_b64 v[14:17], v0 offset0:16 offset1:20
	;; [unrolled: 1-line block ×3, first 2 shown]
	v_lshl_add_u64 v[0:1], v[8:9], 3, v[2:3]
	v_mov_b32_e32 v39, 0
	s_set_vgpr_msb 4                        ;  msbs: dst=0 src0=0 src1=1 src2=0
	v_cmp_lt_u32_e32 vcc_lo, v38, v34 /*v290*/
	s_wait_dscnt 0x0
	s_barrier_signal -1
	s_barrier_wait -1
	v_lshl_add_u64 v[0:1], v[38:39], 3, v[0:1]
	s_and_saveexec_b32 s1, vcc_lo
	s_set_vgpr_msb 0                        ;  msbs: dst=0 src0=0 src1=0 src2=0
	s_cbranch_execz .LBB1112_228
; %bb.227:
	v_cmp_gt_i64_e64 s0, 0, v[48:49]
	s_delay_alu instid0(VALU_DEP_1) | instskip(NEXT) | instid1(VALU_DEP_1)
	v_cndmask_b32_e64 v3, 0x7fffffff, 0, s0
	v_dual_ashrrev_i32 v2, 31, v49 :: v_dual_bitop2_b32 v3, v3, v49 bitop3:0x14
	s_delay_alu instid0(VALU_DEP_1) | instskip(NEXT) | instid1(VALU_DEP_1)
	v_not_b32_e32 v2, v2
	v_xor_b32_e32 v2, v2, v48
	flat_store_b64 v[0:1], v[2:3]
.LBB1112_228:
	s_wait_xcnt 0x0
	s_or_b32 exec_lo, exec_lo, s1
	v_add_nc_u32_e32 v2, 0x100, v38
	s_set_vgpr_msb 4                        ;  msbs: dst=0 src0=0 src1=1 src2=0
	s_delay_alu instid0(VALU_DEP_1)
	v_cmp_lt_u32_e64 s0, v2, v34 /*v290*/
	s_and_saveexec_b32 s2, s0
	s_set_vgpr_msb 0                        ;  msbs: dst=0 src0=0 src1=0 src2=0
	s_cbranch_execz .LBB1112_230
; %bb.229:
	v_cmp_gt_i64_e64 s1, 0, v[50:51]
	s_delay_alu instid0(VALU_DEP_1) | instskip(NEXT) | instid1(VALU_DEP_1)
	v_cndmask_b32_e64 v3, 0x7fffffff, 0, s1
	v_dual_ashrrev_i32 v2, 31, v51 :: v_dual_bitop2_b32 v3, v3, v51 bitop3:0x14
	s_delay_alu instid0(VALU_DEP_1) | instskip(NEXT) | instid1(VALU_DEP_1)
	v_not_b32_e32 v2, v2
	v_xor_b32_e32 v2, v2, v50
	flat_store_b64 v[0:1], v[2:3] offset:2048
.LBB1112_230:
	s_wait_xcnt 0x0
	s_or_b32 exec_lo, exec_lo, s2
	v_add_nc_u32_e32 v2, 0x200, v38
	s_set_vgpr_msb 4                        ;  msbs: dst=0 src0=0 src1=1 src2=0
	s_delay_alu instid0(VALU_DEP_1)
	v_cmp_lt_u32_e64 s1, v2, v34 /*v290*/
	s_and_saveexec_b32 s3, s1
	s_set_vgpr_msb 0                        ;  msbs: dst=0 src0=0 src1=0 src2=0
	s_cbranch_execz .LBB1112_232
; %bb.231:
	v_cmp_gt_i64_e64 s2, 0, v[34:35]
	s_delay_alu instid0(VALU_DEP_1) | instskip(NEXT) | instid1(VALU_DEP_1)
	v_cndmask_b32_e64 v3, 0x7fffffff, 0, s2
	v_dual_ashrrev_i32 v2, 31, v35 :: v_dual_bitop2_b32 v3, v3, v35 bitop3:0x14
	s_delay_alu instid0(VALU_DEP_1) | instskip(NEXT) | instid1(VALU_DEP_1)
	v_not_b32_e32 v2, v2
	v_xor_b32_e32 v2, v2, v34
	flat_store_b64 v[0:1], v[2:3] offset:4096
.LBB1112_232:
	;; [unrolled: 19-line block ×7, first 2 shown]
	s_wait_xcnt 0x0
	s_or_b32 exec_lo, exec_lo, s10
	v_lshl_add_u64 v[0:1], v[8:9], 3, v[6:7]
	s_delay_alu instid0(VALU_DEP_1)
	v_lshl_add_u64 v[0:1], v[38:39], 3, v[0:1]
	s_and_saveexec_b32 s7, vcc_lo
	s_cbranch_execnz .LBB1112_292
; %bb.243:
	s_or_b32 exec_lo, exec_lo, s7
	s_and_saveexec_b32 s7, s0
	s_cbranch_execnz .LBB1112_293
.LBB1112_244:
	s_or_b32 exec_lo, exec_lo, s7
	s_and_saveexec_b32 s0, s1
	s_cbranch_execnz .LBB1112_294
.LBB1112_245:
	s_or_b32 exec_lo, exec_lo, s0
	s_and_saveexec_b32 s0, s2
	s_cbranch_execnz .LBB1112_295
.LBB1112_246:
	s_or_b32 exec_lo, exec_lo, s0
	s_and_saveexec_b32 s0, s3
	s_cbranch_execnz .LBB1112_296
.LBB1112_247:
	s_or_b32 exec_lo, exec_lo, s0
	s_and_saveexec_b32 s0, s4
	s_cbranch_execnz .LBB1112_297
.LBB1112_248:
	s_or_b32 exec_lo, exec_lo, s0
	s_and_saveexec_b32 s0, s5
	s_cbranch_execnz .LBB1112_298
.LBB1112_249:
	s_or_b32 exec_lo, exec_lo, s0
	s_and_saveexec_b32 s0, s6
	s_cbranch_execz .LBB1112_251
.LBB1112_250:
	flat_store_b64 v[0:1], v[12:13] offset:14336
.LBB1112_251:
	s_wait_xcnt 0x0
	s_or_b32 exec_lo, exec_lo, s0
                                        ; implicit-def: $vgpr290
                                        ; implicit-def: $vgpr8
                                        ; implicit-def: $vgpr10
                                        ; implicit-def: $vgpr11
                                        ; implicit-def: $vgpr0_vgpr1
                                        ; implicit-def: $vgpr2_vgpr3
                                        ; implicit-def: $vgpr4_vgpr5
                                        ; implicit-def: $vgpr6_vgpr7
                                        ; implicit-def: $vgpr12_vgpr13
                                        ; implicit-def: $vgpr9
                                        ; implicit-def: $vgpr14
                                        ; implicit-def: $vgpr22
                                        ; implicit-def: $vgpr258
.LBB1112_252:
	s_and_not1_saveexec_b32 s0, s26
	s_cbranch_execz .LBB1112_372
; %bb.253:
	s_mov_b32 s0, exec_lo
	s_set_vgpr_msb 4                        ;  msbs: dst=0 src0=0 src1=1 src2=0
	v_cmpx_lt_u32_e32 0x200, v34 /*v290*/
	s_xor_b32 s26, exec_lo, s0
	s_set_vgpr_msb 0                        ;  msbs: dst=0 src0=0 src1=0 src2=0
	s_cbranch_execz .LBB1112_313
; %bb.254:
	s_load_b64 s[0:1], s[8:9], 0x0
	s_bfe_u32 s3, ttmp6, 0x4000c
	s_bfe_u32 s5, ttmp6, 0x40010
	s_and_b32 s4, ttmp7, 0xffff
	s_add_co_i32 s3, s3, 1
	s_add_co_i32 s5, s5, 1
	s_and_b32 s2, ttmp6, 15
	s_bfe_u32 s6, ttmp6, 0x40004
	s_mul_i32 s3, ttmp9, s3
	s_mul_i32 s5, s4, s5
	s_add_co_i32 s2, s2, s3
	s_add_co_i32 s6, s6, s5
	s_cmp_eq_u32 s25, 0
	s_mov_b32 s3, 0
	s_cselect_b32 s2, ttmp9, s2
	s_cselect_b32 s4, s4, s6
	s_set_vgpr_msb 4                        ;  msbs: dst=0 src0=0 src1=1 src2=0
	v_lshlrev_b32_e32 v24, 3, v2 /*v258*/
	s_wait_kmcnt 0x0
	s_cmp_lt_u32 s2, s0
	s_cselect_b32 s2, 12, 18
	s_cmp_lt_u32 s4, s1
	s_mov_b32 s1, s3
	s_cselect_b32 s0, 14, 20
	s_delay_alu instid0(SALU_CYCLE_1)
	s_add_nc_u64 s[0:1], s[8:9], s[0:1]
	s_load_u16 s4, s[0:1], 0x0
	s_wait_xcnt 0x0
	s_add_nc_u64 s[0:1], s[8:9], s[2:3]
	s_load_u16 s0, s[0:1], 0x0
	s_wait_kmcnt 0x0
	v_mad_u32_u24 v9, v14, s4, v9
	s_delay_alu instid0(VALU_DEP_1) | instskip(SKIP_1) | instid1(VALU_DEP_1)
	v_mad_u32 v26, v9, s0, v22
	v_dual_mov_b32 v9, 0 :: v_dual_mov_b32 v14, -1
	v_lshl_add_u64 v[16:17], v[8:9], 3, v[0:1]
	v_dual_mov_b32 v25, v9 :: v_dual_mov_b32 v1, v9
	s_set_vgpr_msb 0                        ;  msbs: dst=0 src0=0 src1=0 src2=0
	s_delay_alu instid0(VALU_DEP_4) | instskip(NEXT) | instid1(VALU_DEP_2)
	v_lshlrev_b32_e32 v15, 2, v26
	v_add_nc_u64_e32 v[28:29], v[16:17], v[24:25]
	v_dual_mov_b32 v18, v14 :: v_dual_mov_b32 v19, v14
	v_mov_b32_e32 v16, v14
	s_delay_alu instid0(VALU_DEP_4) | instskip(SKIP_3) | instid1(VALU_DEP_3)
	v_and_b32_e32 v0, 0xffffff80, v15
	v_dual_mov_b32 v17, v14 :: v_dual_mov_b32 v15, v14
	v_dual_mov_b32 v20, v14 :: v_dual_mov_b32 v21, v14
	s_set_vgpr_msb 4                        ;  msbs: dst=0 src0=0 src1=1 src2=0
	v_or_b32_e32 v23, v0, v2 /*v258*/
	v_lshl_add_u64 v[28:29], v[0:1], 3, v[28:29]
	s_delay_alu instid0(VALU_DEP_2)
	v_cmp_lt_u32_e32 vcc_lo, v23, v34 /*v290*/
	s_and_saveexec_b32 s0, vcc_lo
	s_set_vgpr_msb 0                        ;  msbs: dst=0 src0=0 src1=0 src2=0
	s_cbranch_execz .LBB1112_256
; %bb.255:
	flat_load_b64 v[30:31], v[28:29]
	v_dual_mov_b32 v32, v14 :: v_dual_mov_b32 v33, v14
	v_dual_mov_b32 v34, v14 :: v_dual_mov_b32 v35, v14
	v_dual_mov_b32 v36, v14 :: v_dual_mov_b32 v37, v14
	s_wait_loadcnt_dscnt 0x0
	v_mov_b64_e32 v[14:15], v[30:31]
	v_mov_b64_e32 v[16:17], v[32:33]
	;; [unrolled: 1-line block ×4, first 2 shown]
.LBB1112_256:
	s_wait_xcnt 0x0
	s_or_b32 exec_lo, exec_lo, s0
	v_or_b32_e32 v25, 32, v23
	s_set_vgpr_msb 4                        ;  msbs: dst=0 src0=0 src1=1 src2=0
	s_delay_alu instid0(VALU_DEP_1)
	v_cmp_lt_u32_e64 s0, v25, v34 /*v290*/
	s_and_saveexec_b32 s1, s0
	s_set_vgpr_msb 0                        ;  msbs: dst=0 src0=0 src1=0 src2=0
	s_cbranch_execz .LBB1112_258
; %bb.257:
	flat_load_b64 v[16:17], v[28:29] offset:256
.LBB1112_258:
	s_wait_xcnt 0x0
	s_or_b32 exec_lo, exec_lo, s1
	v_or_b32_e32 v25, 64, v23
	s_set_vgpr_msb 4                        ;  msbs: dst=0 src0=0 src1=1 src2=0
	s_delay_alu instid0(VALU_DEP_1)
	v_cmp_lt_u32_e64 s1, v25, v34 /*v290*/
	s_and_saveexec_b32 s2, s1
	s_set_vgpr_msb 0                        ;  msbs: dst=0 src0=0 src1=0 src2=0
	s_cbranch_execz .LBB1112_260
; %bb.259:
	flat_load_b64 v[18:19], v[28:29] offset:512
.LBB1112_260:
	;; [unrolled: 12-line block ×3, first 2 shown]
	s_wait_xcnt 0x0
	s_or_b32 exec_lo, exec_lo, s3
	v_lshl_add_u64 v[4:5], v[8:9], 3, v[4:5]
	v_mov_b32_e32 v25, 0
	s_delay_alu instid0(VALU_DEP_1) | instskip(NEXT) | instid1(VALU_DEP_1)
	v_add_nc_u64_e32 v[4:5], v[4:5], v[24:25]
                                        ; implicit-def: $vgpr24_vgpr25
	v_lshl_add_u64 v[0:1], v[0:1], 3, v[4:5]
	s_and_saveexec_b32 s3, vcc_lo
	s_cbranch_execnz .LBB1112_337
; %bb.263:
	s_or_b32 exec_lo, exec_lo, s3
                                        ; implicit-def: $vgpr36_vgpr37
	s_and_saveexec_b32 s3, s0
	s_cbranch_execnz .LBB1112_338
.LBB1112_264:
	s_or_b32 exec_lo, exec_lo, s3
                                        ; implicit-def: $vgpr38_vgpr39
	s_and_saveexec_b32 s0, s1
	s_cbranch_execnz .LBB1112_339
.LBB1112_265:
	s_or_b32 exec_lo, exec_lo, s0
                                        ; implicit-def: $vgpr48_vgpr49
	s_and_saveexec_b32 s0, s2
	s_cbranch_execz .LBB1112_267
.LBB1112_266:
	flat_load_b64 v[48:49], v[0:1] offset:768
.LBB1112_267:
	s_wait_xcnt 0x0
	s_or_b32 exec_lo, exec_lo, s0
	v_cmp_gt_i64_e32 vcc_lo, 0, v[14:15]
	s_wait_loadcnt_dscnt 0x0
	v_dual_ashrrev_i32 v0, 31, v15 :: v_dual_ashrrev_i32 v4, 31, v17
	s_get_pc_i64 s[0:1]
	s_add_nc_u64 s[0:1], s[0:1], _ZN7rocprim17ROCPRIM_400000_NS16block_radix_sortIdLj256ELj4ElLj1ELj1ELj8ELNS0_26block_radix_rank_algorithmE2ELNS0_18block_padding_hintE2ELNS0_4arch9wavefront6targetE0EE19radix_bits_per_passE@rel64+4
	v_cmp_lt_u32_e64 s7, 31, v22
	s_load_b32 s27, s[0:1], 0x0
	v_not_b32_e32 v0, v0
	v_cndmask_b32_e64 v1, 0x7fffffff, 0, vcc_lo
	v_cmp_gt_i64_e32 vcc_lo, 0, v[16:17]
	v_cmp_eq_u32_e64 s10, 0, v22
	v_sub_nc_u32_e32 v113, v11, v10
	v_dual_ashrrev_i32 v0, 31, v19 :: v_dual_bitop2_b32 v54, v0, v14 bitop3:0x14
	v_xor_b32_e32 v55, v1, v15
	v_not_b32_e32 v1, v4
	v_cndmask_b32_e64 v5, 0x7fffffff, 0, vcc_lo
	v_cmp_gt_i64_e32 vcc_lo, 0, v[18:19]
	v_not_b32_e32 v0, v0
	s_set_vgpr_msb 4                        ;  msbs: dst=0 src0=0 src1=1 src2=0
	v_and_b32_e32 v14, 7, v2 /*v258*/
	s_set_vgpr_msb 0                        ;  msbs: dst=0 src0=0 src1=0 src2=0
	v_dual_lshrrev_b32 v96, 5, v26 :: v_dual_bitop2_b32 v51, v5, v17 bitop3:0x14
	v_lshl_add_u32 v5, v22, 5, v12
	v_dual_ashrrev_i32 v1, 31, v21 :: v_dual_bitop2_b32 v50, v1, v16 bitop3:0x14
	v_cndmask_b32_e64 v4, 0x7fffffff, 0, vcc_lo
	v_cmp_gt_i64_e32 vcc_lo, 0, v[20:21]
	s_delay_alu instid0(VALU_DEP_4) | instskip(NEXT) | instid1(VALU_DEP_4)
	v_dual_add_nc_u32 v82, 40, v5 :: v_dual_bitop2_b32 v52, v0, v18 bitop3:0x14
	v_not_b32_e32 v1, v1
	v_and_b32_e32 v0, 0x3e0, v22
	v_dual_add_nc_u32 v27, 36, v5 :: v_dual_bitop2_b32 v53, v4, v19 bitop3:0x14
	v_cndmask_b32_e64 v4, 0x7fffffff, 0, vcc_lo
	s_delay_alu instid0(VALU_DEP_4)
	v_dual_add_nc_u32 v83, 44, v5 :: v_dual_bitop2_b32 v64, v1, v20 bitop3:0x14
	v_dual_add_nc_u32 v23, 32, v5 :: v_dual_add_nc_u32 v84, 48, v5
	v_dual_add_nc_u32 v85, 52, v5 :: v_dual_add_nc_u32 v86, 56, v5
	v_add_nc_u32_e32 v87, 60, v5
	v_min_u32_e32 v0, 0xe0, v0
	s_set_vgpr_msb 1                        ;  msbs: dst=0 src0=1 src1=0 src2=0
	v_sub_co_u32 v5, s2, v2 /*v258*/, 1
	s_set_vgpr_msb 0                        ;  msbs: dst=0 src0=0 src1=0 src2=0
	v_xor_b32_e32 v65, v4, v21
	s_set_vgpr_msb 4                        ;  msbs: dst=0 src0=0 src1=1 src2=0
	v_and_b32_e32 v1, 15, v2 /*v258*/
	s_set_vgpr_msb 0                        ;  msbs: dst=0 src0=0 src1=0 src2=0
	v_or_b32_e32 v0, 31, v0
	v_cmp_gt_i32_e64 s6, 0, v5
	s_set_vgpr_msb 4                        ;  msbs: dst=0 src0=0 src1=1 src2=0
	v_and_b32_e32 v4, 16, v2 /*v258*/
	s_mov_b64 s[22:23], 0x8000000000000000
	s_set_vgpr_msb 0                        ;  msbs: dst=0 src0=0 src1=0 src2=0
	v_cmp_eq_u32_e32 vcc_lo, 0, v1
	s_wait_xcnt 0x0
	v_cmp_lt_u32_e64 s0, 1, v1
	v_cmp_lt_u32_e64 s1, 3, v1
	v_cmp_lt_u32_e64 s3, 7, v1
	s_set_vgpr_msb 4                        ;  msbs: dst=0 src0=0 src1=1 src2=0
	v_cndmask_b32_e64 v1, v5, v2 /*v258*/, s6
	s_set_vgpr_msb 16                       ;  msbs: dst=0 src0=0 src1=0 src2=1
	v_cmp_eq_u32_e64 s4, 0, v4
	v_lshlrev_b32_e32 v4, 2, v22
	v_cmp_eq_u32_e64 s5, v22, v0
	v_lshrrev_b32_e32 v0, 3, v22
	v_cmp_gt_u32_e64 s6, 8, v22
	s_mov_b32 s28, 0
	v_and_or_b32 v5, 0xf80, v4, v2 /*v258*/
	s_wait_storecnt 0x0
	v_and_b32_e32 v0, 0x7c, v0
	v_dual_lshlrev_b32 v97, 2, v1 :: v_dual_mov_b32 v1, 0
	s_set_vgpr_msb 0                        ;  msbs: dst=0 src0=0 src1=0 src2=0
	v_lshl_add_u32 v100, v5, 3, v12
	v_cmp_eq_u32_e64 s11, 0, v14
	v_add_nc_u32_e32 v98, v12, v0
	v_add_nc_u32_e32 v99, v12, v4
	v_mov_b64_e32 v[4:5], 0
	v_cmp_lt_u32_e64 s12, 1, v14
	v_cmp_lt_u32_e64 s13, 3, v14
	v_add_nc_u32_e32 v101, -4, v98
	v_add_nc_u32_e32 v102, 0x100, v100
	v_add_nc_u32_e32 v103, 0x200, v100
	;; [unrolled: 1-line block ×3, first 2 shown]
	s_barrier_signal -1
	s_barrier_wait -1
	s_branch .LBB1112_269
.LBB1112_268:                           ;   in Loop: Header=BB1112_269 Depth=1
	s_or_b32 exec_lo, exec_lo, s15
	s_delay_alu instid0(SALU_CYCLE_1) | instskip(NEXT) | instid1(SALU_CYCLE_1)
	s_and_b32 s14, exec_lo, s16
	s_or_b32 s28, s14, s28
	s_delay_alu instid0(SALU_CYCLE_1)
	s_and_not1_b32 exec_lo, exec_lo, s28
	s_cbranch_execz .LBB1112_299
.LBB1112_269:                           ; =>This Inner Loop Header: Depth=1
	v_mov_b64_e32 v[14:15], v[54:55]
	s_wait_kmcnt 0x0
	v_min_u32_e32 v0, s27, v113
	v_mov_b64_e32 v[32:33], v[24:25]
	ds_store_b64 v23, v[4:5]
	ds_store_b64 v82, v[4:5]
	;; [unrolled: 1-line block ×4, first 2 shown]
	s_wait_dscnt 0x0
	v_lshlrev_b32_e64 v54, v0, -1
	v_cmp_ne_u64_e64 s14, s[22:23], v[14:15]
	s_barrier_signal -1
	s_barrier_wait -1
	; wave barrier
	s_delay_alu instid0(VALU_DEP_1) | instskip(SKIP_1) | instid1(VALU_DEP_1)
	v_cndmask_b32_e64 v17, 0x7fffffff, v15, s14
	v_cndmask_b32_e64 v16, -1, v14, s14
	v_lshrrev_b64 v[16:17], v10, v[16:17]
	s_delay_alu instid0(VALU_DEP_1) | instskip(SKIP_2) | instid1(VALU_DEP_3)
	v_bitop3_b32 v0, v16, 1, v54 bitop3:0x40
	v_bitop3_b32 v34, v16, v54, v16 bitop3:0x30
	v_mov_b64_e32 v[16:17], v[64:65]
	v_add_co_u32 v0, s14, v0, -1
	s_delay_alu instid0(VALU_DEP_1) | instskip(NEXT) | instid1(VALU_DEP_4)
	v_cndmask_b32_e64 v18, 0, 1, s14
	v_dual_lshlrev_b32 v19, 30, v34 :: v_dual_lshlrev_b32 v20, 29, v34
	v_dual_lshlrev_b32 v21, 28, v34 :: v_dual_lshlrev_b32 v28, 27, v34
	s_delay_alu instid0(VALU_DEP_3) | instskip(NEXT) | instid1(VALU_DEP_3)
	v_cmp_ne_u32_e64 s14, 0, v18
	v_not_b32_e32 v18, v19
	v_dual_lshlrev_b32 v29, 26, v34 :: v_dual_lshlrev_b32 v30, 25, v34
	v_cmp_gt_i32_e64 s15, 0, v19
	v_cmp_gt_i32_e64 s16, 0, v20
	v_not_b32_e32 v19, v20
	v_not_b32_e32 v20, v21
	v_ashrrev_i32_e32 v18, 31, v18
	v_lshlrev_b32_e32 v31, 24, v34
	v_cmp_gt_i32_e64 s17, 0, v21
	v_cmp_gt_i32_e64 s18, 0, v28
	v_not_b32_e32 v21, v28
	v_not_b32_e32 v28, v29
	v_dual_ashrrev_i32 v19, 31, v19 :: v_dual_bitop2_b32 v0, s14, v0 bitop3:0x14
	v_dual_ashrrev_i32 v20, 31, v20 :: v_dual_bitop2_b32 v18, s15, v18 bitop3:0x14
	s_delay_alu instid0(VALU_DEP_4)
	v_ashrrev_i32_e32 v21, 31, v21
	v_cmp_gt_i32_e64 s19, 0, v29
	v_cmp_gt_i32_e64 s20, 0, v30
	v_not_b32_e32 v29, v30
	v_not_b32_e32 v30, v31
	v_dual_ashrrev_i32 v28, 31, v28 :: v_dual_bitop2_b32 v19, s16, v19 bitop3:0x14
	s_delay_alu instid0(VALU_DEP_3) | instskip(SKIP_4) | instid1(VALU_DEP_4)
	v_dual_ashrrev_i32 v29, 31, v29 :: v_dual_bitop2_b32 v20, s17, v20 bitop3:0x14
	v_bitop3_b32 v0, v0, v18, exec_lo bitop3:0x80
	v_cmp_gt_i32_e64 s21, 0, v31
	v_dual_ashrrev_i32 v30, 31, v30 :: v_dual_bitop2_b32 v31, s18, v21 bitop3:0x14
	v_xor_b32_e32 v28, s19, v28
	v_bitop3_b32 v0, v0, v20, v19 bitop3:0x80
	v_mov_b64_e32 v[20:21], v[50:51]
	v_xor_b32_e32 v35, s20, v29
	v_xor_b32_e32 v50, s21, v30
	v_mov_b64_e32 v[18:19], v[52:53]
	v_bitop3_b32 v51, v0, v28, v31 bitop3:0x80
	v_mov_b64_e32 v[30:31], v[36:37]
	v_lshl_add_u32 v0, v34, 3, v96
	v_mov_b64_e32 v[28:29], v[38:39]
	s_delay_alu instid0(VALU_DEP_4) | instskip(SKIP_1) | instid1(VALU_DEP_4)
	v_bitop3_b32 v36, v51, v50, v35 bitop3:0x80
	v_mov_b64_e32 v[34:35], v[48:49]
	v_lshl_add_u64 v[24:25], v[0:1], 2, v[12:13]
	s_delay_alu instid0(VALU_DEP_3) | instskip(SKIP_1) | instid1(VALU_DEP_3)
	v_mbcnt_lo_u32_b32 v0, v36, 0
	v_cmp_ne_u32_e64 s15, 0, v36
	v_add_nc_u64_e32 v[24:25], 32, v[24:25]
	s_delay_alu instid0(VALU_DEP_3) | instskip(SKIP_1) | instid1(SALU_CYCLE_1)
	v_cmp_eq_u32_e64 s14, 0, v0
	s_and_b32 s15, s15, s14
	s_and_saveexec_b32 s14, s15
; %bb.270:                              ;   in Loop: Header=BB1112_269 Depth=1
	v_bcnt_u32_b32 v25, v36, 0
	ds_store_b32 v24, v25
; %bb.271:                              ;   in Loop: Header=BB1112_269 Depth=1
	s_or_b32 exec_lo, exec_lo, s14
	v_cmp_ne_u64_e64 s14, s[22:23], v[20:21]
	v_not_b32_e32 v49, v54
	; wave barrier
	s_delay_alu instid0(VALU_DEP_2) | instskip(SKIP_1) | instid1(VALU_DEP_1)
	v_cndmask_b32_e64 v37, 0x7fffffff, v21, s14
	v_cndmask_b32_e64 v36, -1, v20, s14
	v_lshrrev_b64 v[36:37], v10, v[36:37]
	s_delay_alu instid0(VALU_DEP_1) | instskip(SKIP_1) | instid1(VALU_DEP_2)
	v_and_b32_e32 v25, v36, v49
	v_bitop3_b32 v36, v36, 1, v49 bitop3:0x80
	v_lshlrev_b32_e32 v39, 30, v25
	s_delay_alu instid0(VALU_DEP_2) | instskip(NEXT) | instid1(VALU_DEP_1)
	v_add_co_u32 v36, s14, v36, -1
	v_cndmask_b32_e64 v38, 0, 1, s14
	s_delay_alu instid0(VALU_DEP_3) | instskip(NEXT) | instid1(VALU_DEP_2)
	v_cmp_gt_i32_e64 s15, 0, v39
	v_cmp_ne_u32_e64 s14, 0, v38
	v_not_b32_e32 v38, v39
	s_delay_alu instid0(VALU_DEP_1) | instskip(SKIP_3) | instid1(VALU_DEP_4)
	v_dual_ashrrev_i32 v38, 31, v38 :: v_dual_lshlrev_b32 v48, 29, v25
	v_dual_lshlrev_b32 v50, 28, v25 :: v_dual_lshlrev_b32 v51, 27, v25
	v_lshlrev_b32_e32 v52, 26, v25
	v_lshl_add_u32 v37, v25, 3, v96
	v_cmp_gt_i32_e64 s16, 0, v48
	v_not_b32_e32 v39, v48
	v_not_b32_e32 v48, v50
	v_dual_lshlrev_b32 v53, 25, v25 :: v_dual_lshlrev_b32 v25, 24, v25
	v_cmp_gt_i32_e64 s17, 0, v50
	v_cmp_gt_i32_e64 s18, 0, v51
	v_not_b32_e32 v50, v51
	v_not_b32_e32 v51, v52
	v_dual_ashrrev_i32 v39, 31, v39 :: v_dual_bitop2_b32 v36, s14, v36 bitop3:0x14
	v_dual_ashrrev_i32 v48, 31, v48 :: v_dual_bitop2_b32 v38, s15, v38 bitop3:0x14
	v_cmp_gt_i32_e64 s19, 0, v52
	v_not_b32_e32 v52, v53
	v_cmp_gt_i32_e64 s21, 0, v25
	v_not_b32_e32 v25, v25
	v_dual_ashrrev_i32 v50, 31, v50 :: v_dual_ashrrev_i32 v51, 31, v51
	v_xor_b32_e32 v39, s16, v39
	s_delay_alu instid0(VALU_DEP_3)
	v_dual_ashrrev_i32 v25, 31, v25 :: v_dual_bitop2_b32 v48, s17, v48 bitop3:0x14
	v_bitop3_b32 v36, v36, v38, exec_lo bitop3:0x80
	v_cmp_gt_i32_e64 s20, 0, v53
	v_dual_ashrrev_i32 v38, 31, v52 :: v_dual_bitop2_b32 v51, s19, v51 bitop3:0x14
	v_lshl_add_u32 v37, v37, 2, v12
	v_xor_b32_e32 v50, s18, v50
	v_bitop3_b32 v36, v36, v48, v39 bitop3:0x80
	s_delay_alu instid0(VALU_DEP_4) | instskip(SKIP_4) | instid1(VALU_DEP_1)
	v_xor_b32_e32 v38, s20, v38
	v_xor_b32_e32 v39, s21, v25
	ds_load_b32 v25, v37 offset:32
	v_add_nc_u32_e32 v37, 32, v37
	v_bitop3_b32 v36, v36, v51, v50 bitop3:0x80
	; wave barrier
	v_bitop3_b32 v38, v36, v39, v38 bitop3:0x80
	s_delay_alu instid0(VALU_DEP_1) | instskip(SKIP_1) | instid1(VALU_DEP_2)
	v_mbcnt_lo_u32_b32 v36, v38, 0
	v_cmp_ne_u32_e64 s15, 0, v38
	v_cmp_eq_u32_e64 s14, 0, v36
	s_and_b32 s15, s15, s14
	s_delay_alu instid0(SALU_CYCLE_1)
	s_and_saveexec_b32 s14, s15
	s_cbranch_execz .LBB1112_273
; %bb.272:                              ;   in Loop: Header=BB1112_269 Depth=1
	s_wait_dscnt 0x0
	v_bcnt_u32_b32 v38, v38, v25
	ds_store_b32 v37, v38
.LBB1112_273:                           ;   in Loop: Header=BB1112_269 Depth=1
	s_or_b32 exec_lo, exec_lo, s14
	v_cmp_ne_u64_e64 s14, s[22:23], v[18:19]
	; wave barrier
	s_delay_alu instid0(VALU_DEP_1) | instskip(SKIP_1) | instid1(VALU_DEP_1)
	v_cndmask_b32_e64 v39, 0x7fffffff, v19, s14
	v_cndmask_b32_e64 v38, -1, v18, s14
	v_lshrrev_b64 v[38:39], v10, v[38:39]
	s_delay_alu instid0(VALU_DEP_1) | instskip(SKIP_1) | instid1(VALU_DEP_2)
	v_and_b32_e32 v39, v38, v49
	v_bitop3_b32 v38, v38, 1, v49 bitop3:0x80
	v_lshlrev_b32_e32 v51, 30, v39
	s_delay_alu instid0(VALU_DEP_2) | instskip(NEXT) | instid1(VALU_DEP_1)
	v_add_co_u32 v38, s14, v38, -1
	v_cndmask_b32_e64 v50, 0, 1, s14
	s_delay_alu instid0(VALU_DEP_3) | instskip(NEXT) | instid1(VALU_DEP_2)
	v_cmp_gt_i32_e64 s15, 0, v51
	v_cmp_ne_u32_e64 s14, 0, v50
	v_not_b32_e32 v50, v51
	s_delay_alu instid0(VALU_DEP_1) | instskip(SKIP_3) | instid1(VALU_DEP_4)
	v_dual_ashrrev_i32 v50, 31, v50 :: v_dual_lshlrev_b32 v52, 29, v39
	v_dual_lshlrev_b32 v53, 28, v39 :: v_dual_lshlrev_b32 v54, 27, v39
	v_lshlrev_b32_e32 v55, 26, v39
	v_lshl_add_u32 v48, v39, 3, v96
	v_cmp_gt_i32_e64 s16, 0, v52
	v_not_b32_e32 v51, v52
	v_not_b32_e32 v52, v53
	v_dual_lshlrev_b32 v64, 25, v39 :: v_dual_lshlrev_b32 v39, 24, v39
	v_cmp_gt_i32_e64 s17, 0, v53
	v_cmp_gt_i32_e64 s18, 0, v54
	v_not_b32_e32 v53, v54
	v_not_b32_e32 v54, v55
	v_dual_ashrrev_i32 v51, 31, v51 :: v_dual_bitop2_b32 v38, s14, v38 bitop3:0x14
	v_dual_ashrrev_i32 v52, 31, v52 :: v_dual_bitop2_b32 v50, s15, v50 bitop3:0x14
	v_cmp_gt_i32_e64 s19, 0, v55
	v_not_b32_e32 v55, v64
	v_cmp_gt_i32_e64 s21, 0, v39
	v_not_b32_e32 v39, v39
	v_dual_ashrrev_i32 v53, 31, v53 :: v_dual_ashrrev_i32 v54, 31, v54
	v_xor_b32_e32 v52, s17, v52
	v_bitop3_b32 v38, v38, v50, exec_lo bitop3:0x80
	v_lshl_add_u32 v48, v48, 2, v12
	v_xor_b32_e32 v51, s16, v51
	v_cmp_gt_i32_e64 s20, 0, v64
	v_ashrrev_i32_e32 v50, 31, v55
	v_dual_ashrrev_i32 v39, 31, v39 :: v_dual_bitop2_b32 v53, s18, v53 bitop3:0x14
	v_xor_b32_e32 v54, s19, v54
	v_bitop3_b32 v38, v38, v52, v51 bitop3:0x80
	s_delay_alu instid0(VALU_DEP_4) | instskip(NEXT) | instid1(VALU_DEP_4)
	v_xor_b32_e32 v50, s20, v50
	v_xor_b32_e32 v39, s21, v39
	s_delay_alu instid0(VALU_DEP_3) | instskip(SKIP_3) | instid1(VALU_DEP_1)
	v_bitop3_b32 v51, v38, v54, v53 bitop3:0x80
	ds_load_b32 v38, v48 offset:32
	v_add_nc_u32_e32 v48, 32, v48
	; wave barrier
	v_bitop3_b32 v50, v51, v39, v50 bitop3:0x80
	v_mbcnt_lo_u32_b32 v39, v50, 0
	v_cmp_ne_u32_e64 s15, 0, v50
	s_delay_alu instid0(VALU_DEP_2) | instskip(SKIP_1) | instid1(SALU_CYCLE_1)
	v_cmp_eq_u32_e64 s14, 0, v39
	s_and_b32 s15, s15, s14
	s_and_saveexec_b32 s14, s15
	s_cbranch_execz .LBB1112_275
; %bb.274:                              ;   in Loop: Header=BB1112_269 Depth=1
	s_wait_dscnt 0x0
	v_bcnt_u32_b32 v50, v50, v38
	ds_store_b32 v48, v50
.LBB1112_275:                           ;   in Loop: Header=BB1112_269 Depth=1
	s_or_b32 exec_lo, exec_lo, s14
	v_cmp_ne_u64_e64 s14, s[22:23], v[16:17]
	; wave barrier
	s_delay_alu instid0(VALU_DEP_1) | instskip(SKIP_1) | instid1(VALU_DEP_1)
	v_cndmask_b32_e64 v51, 0x7fffffff, v17, s14
	v_cndmask_b32_e64 v50, -1, v16, s14
	v_lshrrev_b64 v[50:51], v10, v[50:51]
	s_delay_alu instid0(VALU_DEP_1) | instskip(SKIP_1) | instid1(VALU_DEP_2)
	v_and_b32_e32 v51, v50, v49
	v_bitop3_b32 v49, v50, 1, v49 bitop3:0x80
	v_lshlrev_b32_e32 v53, 30, v51
	s_delay_alu instid0(VALU_DEP_2) | instskip(NEXT) | instid1(VALU_DEP_1)
	v_add_co_u32 v49, s14, v49, -1
	v_cndmask_b32_e64 v52, 0, 1, s14
	s_delay_alu instid0(VALU_DEP_3) | instskip(NEXT) | instid1(VALU_DEP_2)
	v_cmp_gt_i32_e64 s15, 0, v53
	v_cmp_ne_u32_e64 s14, 0, v52
	v_not_b32_e32 v52, v53
	s_delay_alu instid0(VALU_DEP_1) | instskip(SKIP_3) | instid1(VALU_DEP_4)
	v_dual_ashrrev_i32 v52, 31, v52 :: v_dual_lshlrev_b32 v54, 29, v51
	v_dual_lshlrev_b32 v55, 28, v51 :: v_dual_lshlrev_b32 v64, 27, v51
	v_lshlrev_b32_e32 v65, 26, v51
	v_lshl_add_u32 v50, v51, 3, v96
	v_cmp_gt_i32_e64 s16, 0, v54
	v_not_b32_e32 v53, v54
	v_not_b32_e32 v54, v55
	v_dual_lshlrev_b32 v66, 25, v51 :: v_dual_lshlrev_b32 v51, 24, v51
	v_cmp_gt_i32_e64 s17, 0, v55
	v_cmp_gt_i32_e64 s18, 0, v64
	v_not_b32_e32 v55, v64
	v_not_b32_e32 v64, v65
	v_dual_ashrrev_i32 v54, 31, v54 :: v_dual_bitop2_b32 v49, s14, v49 bitop3:0x14
	v_dual_ashrrev_i32 v53, 31, v53 :: v_dual_bitop2_b32 v52, s15, v52 bitop3:0x14
	v_cmp_gt_i32_e64 s19, 0, v65
	v_not_b32_e32 v65, v66
	v_cmp_gt_i32_e64 s21, 0, v51
	v_not_b32_e32 v51, v51
	v_dual_ashrrev_i32 v55, 31, v55 :: v_dual_ashrrev_i32 v64, 31, v64
	v_xor_b32_e32 v53, s16, v53
	v_xor_b32_e32 v54, s17, v54
	v_bitop3_b32 v49, v49, v52, exec_lo bitop3:0x80
	v_cmp_gt_i32_e64 s20, 0, v66
	v_dual_ashrrev_i32 v52, 31, v65 :: v_dual_ashrrev_i32 v51, 31, v51
	v_xor_b32_e32 v64, s19, v64
	s_delay_alu instid0(VALU_DEP_4) | instskip(SKIP_4) | instid1(VALU_DEP_3)
	v_bitop3_b32 v49, v49, v54, v53 bitop3:0x80
	v_lshl_add_u32 v53, v50, 2, v12
	v_xor_b32_e32 v55, s18, v55
	v_xor_b32_e32 v50, s20, v52
	v_xor_b32_e32 v51, s21, v51
	v_bitop3_b32 v52, v49, v64, v55 bitop3:0x80
	ds_load_b32 v49, v53 offset:32
	; wave barrier
	v_bitop3_b32 v52, v52, v51, v50 bitop3:0x80
	v_add_nc_u32_e32 v51, 32, v53
	s_delay_alu instid0(VALU_DEP_2) | instskip(SKIP_1) | instid1(VALU_DEP_2)
	v_mbcnt_lo_u32_b32 v50, v52, 0
	v_cmp_ne_u32_e64 s15, 0, v52
	v_cmp_eq_u32_e64 s14, 0, v50
	s_and_b32 s15, s15, s14
	s_delay_alu instid0(SALU_CYCLE_1)
	s_and_saveexec_b32 s14, s15
	s_cbranch_execz .LBB1112_277
; %bb.276:                              ;   in Loop: Header=BB1112_269 Depth=1
	s_wait_dscnt 0x0
	v_bcnt_u32_b32 v52, v52, v49
	ds_store_b32 v51, v52
.LBB1112_277:                           ;   in Loop: Header=BB1112_269 Depth=1
	s_or_b32 exec_lo, exec_lo, s14
	; wave barrier
	s_wait_dscnt 0x0
	s_barrier_signal -1
	s_barrier_wait -1
	ds_load_b32 v53, v23
	ds_load_b32 v54, v27
	;; [unrolled: 1-line block ×8, first 2 shown]
	s_wait_dscnt 0x6
	v_add_nc_u32_e32 v68, v54, v53
	s_wait_dscnt 0x4
	s_delay_alu instid0(VALU_DEP_1) | instskip(SKIP_1) | instid1(VALU_DEP_1)
	v_add3_u32 v68, v68, v55, v64
	s_wait_dscnt 0x2
	v_add3_u32 v68, v68, v65, v66
	s_wait_dscnt 0x0
	s_delay_alu instid0(VALU_DEP_1) | instskip(NEXT) | instid1(VALU_DEP_1)
	v_add3_u32 v67, v68, v52, v67
	v_mov_b32_dpp v68, v67 row_shr:1 row_mask:0xf bank_mask:0xf
	s_delay_alu instid0(VALU_DEP_1) | instskip(NEXT) | instid1(VALU_DEP_1)
	v_cndmask_b32_e64 v68, v68, 0, vcc_lo
	v_add_nc_u32_e32 v67, v68, v67
	s_delay_alu instid0(VALU_DEP_1) | instskip(NEXT) | instid1(VALU_DEP_1)
	v_mov_b32_dpp v68, v67 row_shr:2 row_mask:0xf bank_mask:0xf
	v_cndmask_b32_e64 v68, 0, v68, s0
	s_delay_alu instid0(VALU_DEP_1) | instskip(NEXT) | instid1(VALU_DEP_1)
	v_add_nc_u32_e32 v67, v67, v68
	v_mov_b32_dpp v68, v67 row_shr:4 row_mask:0xf bank_mask:0xf
	s_delay_alu instid0(VALU_DEP_1) | instskip(NEXT) | instid1(VALU_DEP_1)
	v_cndmask_b32_e64 v68, 0, v68, s1
	v_add_nc_u32_e32 v67, v67, v68
	s_delay_alu instid0(VALU_DEP_1) | instskip(NEXT) | instid1(VALU_DEP_1)
	v_mov_b32_dpp v68, v67 row_shr:8 row_mask:0xf bank_mask:0xf
	v_cndmask_b32_e64 v68, 0, v68, s3
	s_delay_alu instid0(VALU_DEP_1) | instskip(SKIP_3) | instid1(VALU_DEP_1)
	v_add_nc_u32_e32 v67, v67, v68
	ds_swizzle_b32 v68, v67 offset:swizzle(BROADCAST,32,15)
	s_wait_dscnt 0x0
	v_cndmask_b32_e64 v68, v68, 0, s4
	v_add_nc_u32_e32 v67, v67, v68
	s_and_saveexec_b32 s14, s5
; %bb.278:                              ;   in Loop: Header=BB1112_269 Depth=1
	ds_store_b32 v98, v67
; %bb.279:                              ;   in Loop: Header=BB1112_269 Depth=1
	s_or_b32 exec_lo, exec_lo, s14
	s_wait_dscnt 0x0
	s_barrier_signal -1
	s_barrier_wait -1
	s_and_saveexec_b32 s14, s6
	s_cbranch_execz .LBB1112_281
; %bb.280:                              ;   in Loop: Header=BB1112_269 Depth=1
	ds_load_b32 v68, v99
	s_wait_dscnt 0x0
	v_mov_b32_dpp v69, v68 row_shr:1 row_mask:0xf bank_mask:0xf
	s_delay_alu instid0(VALU_DEP_1) | instskip(NEXT) | instid1(VALU_DEP_1)
	v_cndmask_b32_e64 v69, v69, 0, s11
	v_add_nc_u32_e32 v68, v69, v68
	s_delay_alu instid0(VALU_DEP_1) | instskip(NEXT) | instid1(VALU_DEP_1)
	v_mov_b32_dpp v69, v68 row_shr:2 row_mask:0xf bank_mask:0xf
	v_cndmask_b32_e64 v69, 0, v69, s12
	s_delay_alu instid0(VALU_DEP_1) | instskip(NEXT) | instid1(VALU_DEP_1)
	v_add_nc_u32_e32 v68, v68, v69
	v_mov_b32_dpp v69, v68 row_shr:4 row_mask:0xf bank_mask:0xf
	s_delay_alu instid0(VALU_DEP_1) | instskip(NEXT) | instid1(VALU_DEP_1)
	v_cndmask_b32_e64 v69, 0, v69, s13
	v_add_nc_u32_e32 v68, v68, v69
	ds_store_b32 v99, v68
.LBB1112_281:                           ;   in Loop: Header=BB1112_269 Depth=1
	s_or_b32 exec_lo, exec_lo, s14
	v_mov_b32_e32 v68, 0
	s_wait_dscnt 0x0
	s_barrier_signal -1
	s_barrier_wait -1
	s_and_saveexec_b32 s14, s7
; %bb.282:                              ;   in Loop: Header=BB1112_269 Depth=1
	ds_load_b32 v68, v101
; %bb.283:                              ;   in Loop: Header=BB1112_269 Depth=1
	s_or_b32 exec_lo, exec_lo, s14
	s_wait_dscnt 0x0
	v_add_nc_u32_e32 v67, v68, v67
	s_mov_b32 s16, -1
	s_mov_b32 s15, exec_lo
	v_add_nc_u32_e32 v10, 8, v10
	ds_bpermute_b32 v67, v97, v67
	s_wait_dscnt 0x0
	v_cndmask_b32_e64 v67, v67, v68, s2
	s_delay_alu instid0(VALU_DEP_1) | instskip(NEXT) | instid1(VALU_DEP_1)
	v_cndmask_b32_e64 v67, v67, 0, s10
	v_add_nc_u32_e32 v53, v67, v53
	s_delay_alu instid0(VALU_DEP_1) | instskip(NEXT) | instid1(VALU_DEP_1)
	v_add_nc_u32_e32 v54, v53, v54
	v_add_nc_u32_e32 v55, v54, v55
	s_delay_alu instid0(VALU_DEP_1) | instskip(NEXT) | instid1(VALU_DEP_1)
	v_add_nc_u32_e32 v64, v55, v64
	v_add_nc_u32_e32 v65, v64, v65
	s_delay_alu instid0(VALU_DEP_1)
	v_add_nc_u32_e32 v66, v65, v66
	ds_store_b32 v23, v67
	ds_store_b32 v27, v53
	;; [unrolled: 1-line block ×3, first 2 shown]
	v_dual_mov_b32 v53, v1 :: v_dual_add_nc_u32 v52, v66, v52
	ds_store_b32 v83, v55
	ds_store_b32 v84, v64
	;; [unrolled: 1-line block ×5, first 2 shown]
	s_wait_dscnt 0x0
	s_barrier_signal -1
	s_barrier_wait -1
	ds_load_b32 v24, v24
	ds_load_b32 v52, v37
	;; [unrolled: 1-line block ×4, first 2 shown]
	v_dual_mov_b32 v37, v1 :: v_dual_mov_b32 v51, v1
	s_wait_dscnt 0x0
                                        ; implicit-def: $vgpr64_vgpr65
	v_add_nc_u32_e32 v0, v24, v0
	v_add3_u32 v36, v36, v25, v52
	v_add3_u32 v52, v39, v38, v48
	v_add3_u32 v50, v50, v49, v54
                                        ; implicit-def: $vgpr54_vgpr55
                                        ; implicit-def: $vgpr24_vgpr25
                                        ; implicit-def: $vgpr38_vgpr39
                                        ; implicit-def: $vgpr48_vgpr49
	s_delay_alu instid0(VALU_DEP_4) | instskip(NEXT) | instid1(VALU_DEP_4)
	v_lshl_add_u64 v[66:67], v[0:1], 3, v[12:13]
	v_lshl_add_u64 v[68:69], v[36:37], 3, v[12:13]
	s_delay_alu instid0(VALU_DEP_4) | instskip(NEXT) | instid1(VALU_DEP_4)
	v_lshl_add_u64 v[70:71], v[52:53], 3, v[12:13]
	v_lshl_add_u64 v[80:81], v[50:51], 3, v[12:13]
                                        ; implicit-def: $vgpr52_vgpr53
                                        ; implicit-def: $vgpr50_vgpr51
                                        ; implicit-def: $vgpr36_vgpr37
	v_cmpx_lt_u32_e64 v10, v11
	s_cbranch_execz .LBB1112_268
; %bb.284:                              ;   in Loop: Header=BB1112_269 Depth=1
	s_barrier_signal -1
	s_barrier_wait -1
	ds_store_b64 v66, v[14:15]
	ds_store_b64 v68, v[20:21]
	;; [unrolled: 1-line block ×4, first 2 shown]
	s_wait_dscnt 0x0
	s_barrier_signal -1
	s_barrier_wait -1
	ds_load_b64 v[54:55], v100
	ds_load_b64 v[50:51], v102
	;; [unrolled: 1-line block ×4, first 2 shown]
	s_wait_dscnt 0x0
	s_barrier_signal -1
	s_barrier_wait -1
	ds_store_b64 v66, v[32:33]
	ds_store_b64 v68, v[30:31]
	;; [unrolled: 1-line block ×4, first 2 shown]
	s_wait_dscnt 0x0
	s_barrier_signal -1
	s_barrier_wait -1
	ds_load_b64 v[24:25], v100
	ds_load_b64 v[36:37], v102
	;; [unrolled: 1-line block ×4, first 2 shown]
	v_add_nc_u32_e32 v113, -8, v113
	s_xor_b32 s16, exec_lo, -1
	s_wait_dscnt 0x0
	s_barrier_signal -1
	s_barrier_wait -1
	s_branch .LBB1112_268
.LBB1112_285:
	flat_load_b64 v[66:67], v[4:5]
	s_wait_xcnt 0x0
	s_or_b32 exec_lo, exec_lo, s7
                                        ; implicit-def: $vgpr68_vgpr69
	s_and_saveexec_b32 s7, s0
	s_cbranch_execz .LBB1112_163
.LBB1112_286:
	flat_load_b64 v[68:69], v[4:5] offset:256
	s_wait_xcnt 0x0
	s_or_b32 exec_lo, exec_lo, s7
                                        ; implicit-def: $vgpr70_vgpr71
	s_and_saveexec_b32 s0, s1
	s_cbranch_execz .LBB1112_164
.LBB1112_287:
	flat_load_b64 v[70:71], v[4:5] offset:512
	s_wait_xcnt 0x0
	s_or_b32 exec_lo, exec_lo, s0
                                        ; implicit-def: $vgpr82_vgpr83
	s_and_saveexec_b32 s0, s2
	s_cbranch_execz .LBB1112_165
.LBB1112_288:
	flat_load_b64 v[82:83], v[4:5] offset:768
	s_wait_xcnt 0x0
	s_or_b32 exec_lo, exec_lo, s0
                                        ; implicit-def: $vgpr84_vgpr85
	s_and_saveexec_b32 s0, s3
	s_cbranch_execz .LBB1112_166
.LBB1112_289:
	flat_load_b64 v[84:85], v[4:5] offset:1024
	s_wait_xcnt 0x0
	s_or_b32 exec_lo, exec_lo, s0
                                        ; implicit-def: $vgpr96_vgpr97
	s_and_saveexec_b32 s0, s4
	s_cbranch_execz .LBB1112_167
.LBB1112_290:
	flat_load_b64 v[96:97], v[4:5] offset:1280
	s_wait_xcnt 0x0
	s_or_b32 exec_lo, exec_lo, s0
                                        ; implicit-def: $vgpr100_vgpr101
	s_and_saveexec_b32 s0, s5
	s_cbranch_execz .LBB1112_168
.LBB1112_291:
	flat_load_b64 v[100:101], v[4:5] offset:1536
	s_wait_xcnt 0x0
	s_or_b32 exec_lo, exec_lo, s0
                                        ; implicit-def: $vgpr102_vgpr103
	s_and_saveexec_b32 s0, s6
	s_cbranch_execnz .LBB1112_169
	s_branch .LBB1112_170
.LBB1112_292:
	flat_store_b64 v[0:1], v[22:23]
	s_wait_xcnt 0x0
	s_or_b32 exec_lo, exec_lo, s7
	s_and_saveexec_b32 s7, s0
	s_cbranch_execz .LBB1112_244
.LBB1112_293:
	flat_store_b64 v[0:1], v[24:25] offset:2048
	s_wait_xcnt 0x0
	s_or_b32 exec_lo, exec_lo, s7
	s_and_saveexec_b32 s0, s1
	s_cbranch_execz .LBB1112_245
.LBB1112_294:
	flat_store_b64 v[0:1], v[18:19] offset:4096
	s_wait_xcnt 0x0
	s_or_b32 exec_lo, exec_lo, s0
	s_and_saveexec_b32 s0, s2
	s_cbranch_execz .LBB1112_246
.LBB1112_295:
	flat_store_b64 v[0:1], v[20:21] offset:6144
	s_wait_xcnt 0x0
	s_or_b32 exec_lo, exec_lo, s0
	s_and_saveexec_b32 s0, s3
	s_cbranch_execz .LBB1112_247
.LBB1112_296:
	flat_store_b64 v[0:1], v[14:15] offset:8192
	s_wait_xcnt 0x0
	s_or_b32 exec_lo, exec_lo, s0
	s_and_saveexec_b32 s0, s4
	s_cbranch_execz .LBB1112_248
.LBB1112_297:
	flat_store_b64 v[0:1], v[16:17] offset:10240
	s_wait_xcnt 0x0
	s_or_b32 exec_lo, exec_lo, s0
	s_and_saveexec_b32 s0, s5
	s_cbranch_execz .LBB1112_249
.LBB1112_298:
	flat_store_b64 v[0:1], v[10:11] offset:12288
	s_wait_xcnt 0x0
	s_or_b32 exec_lo, exec_lo, s0
	s_and_saveexec_b32 s0, s6
	s_cbranch_execnz .LBB1112_250
	s_branch .LBB1112_251
.LBB1112_299:
	s_or_b32 exec_lo, exec_lo, s28
	v_lshl_add_u32 v0, v22, 3, v12
	s_barrier_signal -1
	s_barrier_wait -1
	ds_store_b64 v66, v[14:15]
	ds_store_b64 v68, v[20:21]
	;; [unrolled: 1-line block ×4, first 2 shown]
	s_wait_dscnt 0x0
	s_barrier_signal -1
	s_barrier_wait -1
	ds_load_2addr_stride64_b64 v[22:25], v0 offset1:4
	ds_load_2addr_stride64_b64 v[18:21], v0 offset0:8 offset1:12
	s_wait_dscnt 0x0
	s_barrier_signal -1
	s_barrier_wait -1
	ds_store_b64 v66, v[32:33]
	ds_store_b64 v68, v[30:31]
	;; [unrolled: 1-line block ×4, first 2 shown]
	s_wait_dscnt 0x0
	s_barrier_signal -1
	s_barrier_wait -1
	ds_load_2addr_stride64_b64 v[14:17], v0 offset1:4
	ds_load_2addr_stride64_b64 v[10:13], v0 offset0:8 offset1:12
	v_lshl_add_u64 v[0:1], v[8:9], 3, v[2:3]
	v_mov_b32_e32 v27, 0
	s_set_vgpr_msb 4                        ;  msbs: dst=0 src0=0 src1=1 src2=0
	v_cmp_lt_u32_e32 vcc_lo, v26, v34 /*v290*/
	s_wait_dscnt 0x0
	s_barrier_signal -1
	s_barrier_wait -1
	v_lshl_add_u64 v[0:1], v[26:27], 3, v[0:1]
	s_and_saveexec_b32 s1, vcc_lo
	s_set_vgpr_msb 0                        ;  msbs: dst=0 src0=0 src1=0 src2=0
	s_cbranch_execz .LBB1112_301
; %bb.300:
	v_cmp_gt_i64_e64 s0, 0, v[22:23]
	s_delay_alu instid0(VALU_DEP_1) | instskip(NEXT) | instid1(VALU_DEP_1)
	v_cndmask_b32_e64 v3, 0x7fffffff, 0, s0
	v_dual_ashrrev_i32 v2, 31, v23 :: v_dual_bitop2_b32 v3, v3, v23 bitop3:0x14
	s_delay_alu instid0(VALU_DEP_1) | instskip(NEXT) | instid1(VALU_DEP_1)
	v_not_b32_e32 v2, v2
	v_xor_b32_e32 v2, v2, v22
	flat_store_b64 v[0:1], v[2:3]
.LBB1112_301:
	s_wait_xcnt 0x0
	s_or_b32 exec_lo, exec_lo, s1
	v_add_nc_u32_e32 v2, 0x100, v26
	s_set_vgpr_msb 4                        ;  msbs: dst=0 src0=0 src1=1 src2=0
	s_delay_alu instid0(VALU_DEP_1)
	v_cmp_lt_u32_e64 s0, v2, v34 /*v290*/
	s_and_saveexec_b32 s2, s0
	s_set_vgpr_msb 0                        ;  msbs: dst=0 src0=0 src1=0 src2=0
	s_cbranch_execz .LBB1112_303
; %bb.302:
	v_cmp_gt_i64_e64 s1, 0, v[24:25]
	s_delay_alu instid0(VALU_DEP_1) | instskip(NEXT) | instid1(VALU_DEP_1)
	v_cndmask_b32_e64 v3, 0x7fffffff, 0, s1
	v_dual_ashrrev_i32 v2, 31, v25 :: v_dual_bitop2_b32 v3, v3, v25 bitop3:0x14
	s_delay_alu instid0(VALU_DEP_1) | instskip(NEXT) | instid1(VALU_DEP_1)
	v_not_b32_e32 v2, v2
	v_xor_b32_e32 v2, v2, v24
	flat_store_b64 v[0:1], v[2:3] offset:2048
.LBB1112_303:
	s_wait_xcnt 0x0
	s_or_b32 exec_lo, exec_lo, s2
	v_add_nc_u32_e32 v2, 0x200, v26
	s_set_vgpr_msb 4                        ;  msbs: dst=0 src0=0 src1=1 src2=0
	s_delay_alu instid0(VALU_DEP_1)
	v_cmp_lt_u32_e64 s1, v2, v34 /*v290*/
	s_and_saveexec_b32 s3, s1
	s_set_vgpr_msb 0                        ;  msbs: dst=0 src0=0 src1=0 src2=0
	s_cbranch_execz .LBB1112_305
; %bb.304:
	v_cmp_gt_i64_e64 s2, 0, v[18:19]
	s_delay_alu instid0(VALU_DEP_1) | instskip(NEXT) | instid1(VALU_DEP_1)
	v_cndmask_b32_e64 v3, 0x7fffffff, 0, s2
	v_dual_ashrrev_i32 v2, 31, v19 :: v_dual_bitop2_b32 v3, v3, v19 bitop3:0x14
	s_delay_alu instid0(VALU_DEP_1) | instskip(NEXT) | instid1(VALU_DEP_1)
	v_not_b32_e32 v2, v2
	v_xor_b32_e32 v2, v2, v18
	flat_store_b64 v[0:1], v[2:3] offset:4096
.LBB1112_305:
	;; [unrolled: 19-line block ×3, first 2 shown]
	s_wait_xcnt 0x0
	s_or_b32 exec_lo, exec_lo, s4
	v_lshl_add_u64 v[0:1], v[8:9], 3, v[6:7]
	s_delay_alu instid0(VALU_DEP_1)
	v_lshl_add_u64 v[0:1], v[26:27], 3, v[0:1]
	s_and_saveexec_b32 s3, vcc_lo
	s_cbranch_execnz .LBB1112_340
; %bb.308:
	s_or_b32 exec_lo, exec_lo, s3
	s_and_saveexec_b32 s3, s0
	s_cbranch_execnz .LBB1112_341
.LBB1112_309:
	s_or_b32 exec_lo, exec_lo, s3
	s_and_saveexec_b32 s0, s1
	s_cbranch_execnz .LBB1112_342
.LBB1112_310:
	s_or_b32 exec_lo, exec_lo, s0
	s_and_saveexec_b32 s0, s2
	s_cbranch_execz .LBB1112_312
.LBB1112_311:
	flat_store_b64 v[0:1], v[12:13] offset:6144
.LBB1112_312:
	s_wait_xcnt 0x0
	s_or_b32 exec_lo, exec_lo, s0
                                        ; implicit-def: $vgpr290
                                        ; implicit-def: $vgpr8
                                        ; implicit-def: $vgpr10
                                        ; implicit-def: $vgpr11
                                        ; implicit-def: $vgpr0_vgpr1
                                        ; implicit-def: $vgpr2_vgpr3
                                        ; implicit-def: $vgpr4_vgpr5
                                        ; implicit-def: $vgpr6_vgpr7
                                        ; implicit-def: $vgpr12_vgpr13
                                        ; implicit-def: $vgpr9
                                        ; implicit-def: $vgpr14
                                        ; implicit-def: $vgpr22
                                        ; implicit-def: $vgpr258
.LBB1112_313:
	s_and_not1_saveexec_b32 s0, s26
	s_cbranch_execz .LBB1112_372
; %bb.314:
	s_load_b64 s[0:1], s[8:9], 0x0
	s_bfe_u32 s3, ttmp6, 0x4000c
	s_bfe_u32 s5, ttmp6, 0x40010
	s_and_b32 s4, ttmp7, 0xffff
	s_add_co_i32 s3, s3, 1
	s_add_co_i32 s5, s5, 1
	s_and_b32 s2, ttmp6, 15
	s_bfe_u32 s6, ttmp6, 0x40004
	s_mul_i32 s3, ttmp9, s3
	s_mul_i32 s5, s4, s5
	s_add_co_i32 s2, s2, s3
	s_add_co_i32 s6, s6, s5
	s_cmp_eq_u32 s25, 0
	s_cselect_b32 s2, ttmp9, s2
	s_cselect_b32 s3, s4, s6
	s_wait_kmcnt 0x0
	s_cmp_lt_u32 s2, s0
	s_cselect_b32 s0, 12, 18
	s_cmp_lt_u32 s3, s1
	s_mov_b32 s1, 0
	s_cselect_b32 s2, 14, 20
	s_mov_b32 s3, s1
	s_add_nc_u64 s[0:1], s[8:9], s[0:1]
	s_add_nc_u64 s[2:3], s[8:9], s[2:3]
	s_clause 0x1
	s_load_u16 s0, s[0:1], 0x0
	s_nop 0
	s_load_u16 s2, s[2:3], 0x0
	s_wait_kmcnt 0x0
	v_mad_u32_u24 v9, v14, s2, v9
	s_delay_alu instid0(VALU_DEP_1)
	v_mad_u32 v18, v9, s0, v22
	v_mov_b32_e32 v9, 0
	s_mov_b32 s0, exec_lo
	s_set_vgpr_msb 4                        ;  msbs: dst=0 src0=0 src1=1 src2=0
	v_cmpx_lt_u32_e32 0x100, v34 /*v290*/
	s_xor_b32 s22, exec_lo, s0
	s_set_vgpr_msb 0                        ;  msbs: dst=0 src0=0 src1=0 src2=0
	s_cbranch_execz .LBB1112_352
; %bb.315:
	v_lshl_add_u64 v[16:17], v[8:9], 3, v[0:1]
	s_delay_alu instid0(VALU_DEP_4)
	v_dual_mov_b32 v21, v9 :: v_dual_lshlrev_b32 v0, 1, v18
	s_set_vgpr_msb 4                        ;  msbs: dst=0 src0=0 src1=1 src2=0
	v_dual_lshlrev_b32 v20, 3, v2 /*v258*/ :: v_dual_mov_b32 v14, -1
	v_mov_b32_e32 v1, v9
	s_set_vgpr_msb 0                        ;  msbs: dst=0 src0=0 src1=0 src2=0
	v_and_b32_e32 v0, 0xffffffc0, v0
	s_delay_alu instid0(VALU_DEP_3)
	v_add_nc_u64_e32 v[24:25], v[16:17], v[20:21]
	v_dual_mov_b32 v15, v14 :: v_dual_mov_b32 v16, v14
	v_mov_b32_e32 v17, v14
	s_set_vgpr_msb 1                        ;  msbs: dst=0 src0=1 src1=0 src2=0
	v_or_b32_e32 v19, v2 /*v258*/, v0
	s_set_vgpr_msb 4                        ;  msbs: dst=0 src0=0 src1=1 src2=0
	s_delay_alu instid0(VALU_DEP_4) | instskip(NEXT) | instid1(VALU_DEP_2)
	v_lshl_add_u64 v[24:25], v[0:1], 3, v[24:25]
	v_cmp_lt_u32_e32 vcc_lo, v19, v34 /*v290*/
	s_and_saveexec_b32 s0, vcc_lo
	s_set_vgpr_msb 0                        ;  msbs: dst=0 src0=0 src1=0 src2=0
	s_cbranch_execz .LBB1112_317
; %bb.316:
	flat_load_b64 v[26:27], v[24:25]
	v_dual_mov_b32 v28, v14 :: v_dual_mov_b32 v29, v14
	s_wait_loadcnt_dscnt 0x0
	v_mov_b64_e32 v[14:15], v[26:27]
	s_delay_alu instid0(VALU_DEP_2)
	v_mov_b64_e32 v[16:17], v[28:29]
.LBB1112_317:
	s_wait_xcnt 0x0
	s_or_b32 exec_lo, exec_lo, s0
	v_or_b32_e32 v19, 32, v19
	s_set_vgpr_msb 4                        ;  msbs: dst=0 src0=0 src1=1 src2=0
	s_delay_alu instid0(VALU_DEP_1)
	v_cmp_lt_u32_e64 s0, v19, v34 /*v290*/
	s_and_saveexec_b32 s1, s0
	s_set_vgpr_msb 0                        ;  msbs: dst=0 src0=0 src1=0 src2=0
	s_cbranch_execz .LBB1112_319
; %bb.318:
	flat_load_b64 v[16:17], v[24:25] offset:256
.LBB1112_319:
	s_wait_xcnt 0x0
	s_or_b32 exec_lo, exec_lo, s1
	v_lshl_add_u64 v[4:5], v[8:9], 3, v[4:5]
	v_mov_b32_e32 v21, 0
	v_mov_b64_e32 v[28:29], 0
	v_mov_b64_e32 v[26:27], 0
	s_delay_alu instid0(VALU_DEP_3) | instskip(NEXT) | instid1(VALU_DEP_1)
	v_add_nc_u64_e32 v[4:5], v[4:5], v[20:21]
	v_lshl_add_u64 v[0:1], v[0:1], 3, v[4:5]
	s_and_saveexec_b32 s1, vcc_lo
	s_cbranch_execz .LBB1112_321
; %bb.320:
	flat_load_b64 v[26:27], v[0:1]
.LBB1112_321:
	s_wait_xcnt 0x0
	s_or_b32 exec_lo, exec_lo, s1
	s_and_saveexec_b32 s1, s0
	s_cbranch_execz .LBB1112_323
; %bb.322:
	flat_load_b64 v[28:29], v[0:1] offset:256
.LBB1112_323:
	s_wait_xcnt 0x0
	s_or_b32 exec_lo, exec_lo, s1
	v_cmp_gt_i64_e32 vcc_lo, 0, v[14:15]
	s_wait_loadcnt_dscnt 0x0
	v_dual_ashrrev_i32 v0, 31, v15 :: v_dual_ashrrev_i32 v4, 31, v17
	v_lshl_add_u32 v5, v22, 5, v12
	s_get_pc_i64 s[0:1]
	s_add_nc_u64 s[0:1], s[0:1], _ZN7rocprim17ROCPRIM_400000_NS16block_radix_sortIdLj256ELj2ElLj1ELj1ELj8ELNS0_26block_radix_rank_algorithmE2ELNS0_18block_padding_hintE2ELNS0_4arch9wavefront6targetE0EE19radix_bits_per_passE@rel64+4
	v_cmp_gt_u32_e64 s6, 8, v22
	v_not_b32_e32 v0, v0
	v_cndmask_b32_e64 v1, 0x7fffffff, 0, vcc_lo
	v_cmp_gt_i64_e32 vcc_lo, 0, v[16:17]
	v_not_b32_e32 v4, v4
	s_delay_alu instid0(VALU_DEP_4) | instskip(NEXT) | instid1(VALU_DEP_4)
	v_dual_add_nc_u32 v23, 36, v5 :: v_dual_bitop2_b32 v32, v0, v14 bitop3:0x14
	v_dual_add_nc_u32 v19, 32, v5 :: v_dual_bitop2_b32 v33, v1, v15 bitop3:0x14
	s_delay_alu instid0(VALU_DEP_3) | instskip(SKIP_3) | instid1(VALU_DEP_3)
	v_dual_add_nc_u32 v38, 40, v5 :: v_dual_bitop2_b32 v30, v4, v16 bitop3:0x14
	v_cndmask_b32_e64 v1, 0x7fffffff, 0, vcc_lo
	v_dual_add_nc_u32 v39, 44, v5 :: v_dual_add_nc_u32 v48, 48, v5
	v_dual_add_nc_u32 v49, 52, v5 :: v_dual_add_nc_u32 v50, 56, v5
	v_dual_lshrrev_b32 v52, 5, v18 :: v_dual_bitop2_b32 v31, v1, v17 bitop3:0x14
	v_add_nc_u32_e32 v51, 60, v5
	v_and_b32_e32 v1, 0x3e0, v22
	s_set_vgpr_msb 1                        ;  msbs: dst=0 src0=1 src1=0 src2=0
	v_sub_co_u32 v5, s2, v2 /*v258*/, 1
	s_set_vgpr_msb 4                        ;  msbs: dst=0 src0=0 src1=1 src2=0
	v_and_b32_e32 v4, 16, v2 /*v258*/
	s_load_b32 s23, s[0:1], 0x0
	s_set_vgpr_msb 0                        ;  msbs: dst=0 src0=0 src1=0 src2=0
	v_min_u32_e32 v1, 0xe0, v1
	v_cmp_gt_i32_e64 s5, 0, v5
	s_set_vgpr_msb 4                        ;  msbs: dst=0 src0=0 src1=1 src2=0
	v_and_b32_e32 v0, 15, v2 /*v258*/
	s_set_vgpr_msb 0                        ;  msbs: dst=0 src0=0 src1=0 src2=0
	v_cmp_eq_u32_e64 s4, 0, v4
	v_cmp_lt_u32_e64 s7, 31, v22
	v_cmp_eq_u32_e64 s8, 0, v22
	s_set_vgpr_msb 4                        ;  msbs: dst=0 src0=0 src1=1 src2=0
	v_cndmask_b32_e64 v4, v5, v2 /*v258*/, s5
	s_set_vgpr_msb 0                        ;  msbs: dst=0 src0=0 src1=0 src2=0
	v_cmp_eq_u32_e32 vcc_lo, 0, v0
	s_wait_xcnt 0x0
	v_cmp_lt_u32_e64 s0, 1, v0
	v_cmp_lt_u32_e64 s1, 3, v0
	;; [unrolled: 1-line block ×3, first 2 shown]
	v_dual_lshlrev_b32 v53, 2, v4 :: v_dual_bitop2_b32 v0, 31, v1 bitop3:0x54
	v_lshrrev_b32_e32 v1, 3, v22
	s_set_vgpr_msb 4                        ;  msbs: dst=0 src0=0 src1=1 src2=0
	v_and_b32_e32 v5, 7, v2 /*v258*/
	v_lshl_add_u32 v55, v22, 2, v12
	s_set_vgpr_msb 16                       ;  msbs: dst=0 src0=0 src1=0 src2=1
	v_cmp_eq_u32_e64 s5, v22, v0
	v_sub_nc_u32_e32 v67, v11, v10
	v_and_b32_e32 v0, 0x7c, v1
	v_lshlrev_b32_e32 v4, 1, v22
	v_cmp_eq_u32_e64 s9, 0, v5
	v_cmp_lt_u32_e64 s10, 1, v5
	v_cmp_lt_u32_e64 s11, 3, v5
	v_add_nc_u32_e32 v54, v12, v0
	v_and_or_b32 v0, 0x7c0, v4, v2 /*v258*/
	v_mov_b64_e32 v[4:5], 0
	v_mov_b32_e32 v1, 0
	s_mov_b64 s[20:21], 0x8000000000000000
	v_add_nc_u32_e32 v65, -4, v54
	s_set_vgpr_msb 0                        ;  msbs: dst=0 src0=0 src1=0 src2=0
	v_lshl_add_u32 v64, v0, 3, v12
	s_mov_b32 s25, 0
	s_wait_storecnt 0x0
	s_barrier_signal -1
	s_barrier_wait -1
	v_add_nc_u32_e32 v66, 0x100, v64
	s_branch .LBB1112_325
.LBB1112_324:                           ;   in Loop: Header=BB1112_325 Depth=1
	s_or_b32 exec_lo, exec_lo, s13
	s_delay_alu instid0(SALU_CYCLE_1) | instskip(NEXT) | instid1(SALU_CYCLE_1)
	s_and_b32 s12, exec_lo, s14
	s_or_b32 s25, s12, s25
	s_delay_alu instid0(SALU_CYCLE_1)
	s_and_not1_b32 exec_lo, exec_lo, s25
	s_cbranch_execz .LBB1112_343
.LBB1112_325:                           ; =>This Inner Loop Header: Depth=1
	v_mov_b64_e32 v[14:15], v[32:33]
	s_wait_kmcnt 0x0
	v_min_u32_e32 v0, s23, v67
	ds_store_b64 v19, v[4:5]
	ds_store_b64 v38, v[4:5]
	;; [unrolled: 1-line block ×4, first 2 shown]
	s_wait_dscnt 0x0
	s_barrier_signal -1
	v_lshlrev_b32_e64 v32, v0, -1
	v_cmp_ne_u64_e64 s12, s[20:21], v[14:15]
	s_barrier_wait -1
	; wave barrier
	s_delay_alu instid0(VALU_DEP_1) | instskip(SKIP_1) | instid1(VALU_DEP_1)
	v_cndmask_b32_e64 v17, 0x7fffffff, v15, s12
	v_cndmask_b32_e64 v16, -1, v14, s12
	v_lshrrev_b64 v[16:17], v10, v[16:17]
	s_delay_alu instid0(VALU_DEP_1) | instskip(SKIP_1) | instid1(VALU_DEP_2)
	v_bitop3_b32 v0, v16, 1, v32 bitop3:0x40
	v_bitop3_b32 v24, v16, v32, v16 bitop3:0x30
	v_add_co_u32 v0, s12, v0, -1
	s_delay_alu instid0(VALU_DEP_1) | instskip(NEXT) | instid1(VALU_DEP_3)
	v_cndmask_b32_e64 v16, 0, 1, s12
	v_dual_lshlrev_b32 v17, 30, v24 :: v_dual_lshlrev_b32 v20, 29, v24
	v_dual_lshlrev_b32 v21, 28, v24 :: v_dual_lshlrev_b32 v25, 27, v24
	v_lshlrev_b32_e32 v33, 26, v24
	s_delay_alu instid0(VALU_DEP_4) | instskip(NEXT) | instid1(VALU_DEP_4)
	v_cmp_ne_u32_e64 s12, 0, v16
	v_not_b32_e32 v16, v17
	v_dual_lshlrev_b32 v34, 25, v24 :: v_dual_lshlrev_b32 v35, 24, v24
	v_cmp_gt_i32_e64 s13, 0, v17
	v_cmp_gt_i32_e64 s14, 0, v20
	v_not_b32_e32 v17, v20
	v_not_b32_e32 v20, v21
	v_ashrrev_i32_e32 v16, 31, v16
	v_cmp_gt_i32_e64 s15, 0, v21
	v_cmp_gt_i32_e64 s16, 0, v25
	v_not_b32_e32 v21, v25
	v_cmp_gt_i32_e64 s17, 0, v33
	v_not_b32_e32 v25, v33
	;; [unrolled: 2-line block ×3, first 2 shown]
	v_not_b32_e32 v34, v35
	v_dual_ashrrev_i32 v21, 31, v21 :: v_dual_bitop2_b32 v0, s12, v0 bitop3:0x14
	v_dual_ashrrev_i32 v17, 31, v17 :: v_dual_ashrrev_i32 v20, 31, v20
	v_dual_ashrrev_i32 v25, 31, v25 :: v_dual_bitop2_b32 v16, s13, v16 bitop3:0x14
	v_cmp_gt_i32_e64 s19, 0, v35
	s_delay_alu instid0(VALU_DEP_3) | instskip(NEXT) | instid1(VALU_DEP_4)
	v_xor_b32_e32 v17, s14, v17
	v_xor_b32_e32 v20, s15, v20
	;; [unrolled: 1-line block ×3, first 2 shown]
	v_bitop3_b32 v0, v0, v16, exec_lo bitop3:0x80
	v_dual_ashrrev_i32 v16, 31, v33 :: v_dual_ashrrev_i32 v33, 31, v34
	v_xor_b32_e32 v25, s17, v25
	s_delay_alu instid0(VALU_DEP_3) | instskip(NEXT) | instid1(VALU_DEP_3)
	v_bitop3_b32 v0, v0, v20, v17 bitop3:0x80
	v_xor_b32_e32 v34, s18, v16
	s_delay_alu instid0(VALU_DEP_4) | instskip(SKIP_1) | instid1(VALU_DEP_4)
	v_xor_b32_e32 v33, s19, v33
	v_mov_b64_e32 v[16:17], v[30:31]
	v_bitop3_b32 v25, v0, v25, v21 bitop3:0x80
	v_mov_b64_e32 v[20:21], v[28:29]
	v_lshl_add_u32 v0, v24, 3, v52
	s_delay_alu instid0(VALU_DEP_3) | instskip(SKIP_1) | instid1(VALU_DEP_3)
	v_bitop3_b32 v28, v25, v33, v34 bitop3:0x80
	v_mov_b64_e32 v[24:25], v[26:27]
	v_lshl_add_u64 v[26:27], v[0:1], 2, v[12:13]
	s_delay_alu instid0(VALU_DEP_3) | instskip(SKIP_1) | instid1(VALU_DEP_3)
	v_mbcnt_lo_u32_b32 v0, v28, 0
	v_cmp_ne_u32_e64 s13, 0, v28
	v_add_nc_u64_e32 v[26:27], 32, v[26:27]
	s_delay_alu instid0(VALU_DEP_3) | instskip(SKIP_1) | instid1(SALU_CYCLE_1)
	v_cmp_eq_u32_e64 s12, 0, v0
	s_and_b32 s13, s13, s12
	s_and_saveexec_b32 s12, s13
; %bb.326:                              ;   in Loop: Header=BB1112_325 Depth=1
	v_bcnt_u32_b32 v27, v28, 0
	ds_store_b32 v26, v27
; %bb.327:                              ;   in Loop: Header=BB1112_325 Depth=1
	s_or_b32 exec_lo, exec_lo, s12
	v_cmp_ne_u64_e64 s12, s[20:21], v[16:17]
	v_not_b32_e32 v27, v32
	; wave barrier
	s_delay_alu instid0(VALU_DEP_2) | instskip(SKIP_1) | instid1(VALU_DEP_1)
	v_cndmask_b32_e64 v29, 0x7fffffff, v17, s12
	v_cndmask_b32_e64 v28, -1, v16, s12
	v_lshrrev_b64 v[28:29], v10, v[28:29]
	s_delay_alu instid0(VALU_DEP_1) | instskip(SKIP_1) | instid1(VALU_DEP_2)
	v_and_b32_e32 v29, v28, v27
	v_bitop3_b32 v27, v28, 1, v27 bitop3:0x80
	v_lshlrev_b32_e32 v31, 30, v29
	s_delay_alu instid0(VALU_DEP_2) | instskip(NEXT) | instid1(VALU_DEP_1)
	v_add_co_u32 v27, s12, v27, -1
	v_cndmask_b32_e64 v30, 0, 1, s12
	s_delay_alu instid0(VALU_DEP_3) | instskip(NEXT) | instid1(VALU_DEP_2)
	v_cmp_gt_i32_e64 s13, 0, v31
	v_cmp_ne_u32_e64 s12, 0, v30
	v_not_b32_e32 v30, v31
	s_delay_alu instid0(VALU_DEP_1) | instskip(SKIP_3) | instid1(VALU_DEP_4)
	v_dual_ashrrev_i32 v30, 31, v30 :: v_dual_lshlrev_b32 v32, 29, v29
	v_dual_lshlrev_b32 v33, 28, v29 :: v_dual_lshlrev_b32 v34, 27, v29
	v_lshlrev_b32_e32 v35, 26, v29
	v_lshl_add_u32 v28, v29, 3, v52
	v_cmp_gt_i32_e64 s14, 0, v32
	v_not_b32_e32 v31, v32
	v_not_b32_e32 v32, v33
	v_dual_lshlrev_b32 v36, 25, v29 :: v_dual_lshlrev_b32 v29, 24, v29
	v_cmp_gt_i32_e64 s15, 0, v33
	v_cmp_gt_i32_e64 s16, 0, v34
	v_not_b32_e32 v33, v34
	v_not_b32_e32 v34, v35
	v_dual_ashrrev_i32 v32, 31, v32 :: v_dual_bitop2_b32 v27, s12, v27 bitop3:0x14
	v_dual_ashrrev_i32 v31, 31, v31 :: v_dual_bitop2_b32 v30, s13, v30 bitop3:0x14
	v_cmp_gt_i32_e64 s17, 0, v35
	v_not_b32_e32 v35, v36
	v_cmp_gt_i32_e64 s19, 0, v29
	v_not_b32_e32 v29, v29
	v_dual_ashrrev_i32 v33, 31, v33 :: v_dual_ashrrev_i32 v34, 31, v34
	v_xor_b32_e32 v31, s14, v31
	v_xor_b32_e32 v32, s15, v32
	v_bitop3_b32 v27, v27, v30, exec_lo bitop3:0x80
	v_cmp_gt_i32_e64 s18, 0, v36
	v_dual_ashrrev_i32 v30, 31, v35 :: v_dual_ashrrev_i32 v29, 31, v29
	v_xor_b32_e32 v34, s17, v34
	s_delay_alu instid0(VALU_DEP_4) | instskip(SKIP_4) | instid1(VALU_DEP_3)
	v_bitop3_b32 v27, v27, v32, v31 bitop3:0x80
	v_lshl_add_u32 v31, v28, 2, v12
	v_xor_b32_e32 v33, s16, v33
	v_xor_b32_e32 v28, s18, v30
	;; [unrolled: 1-line block ×3, first 2 shown]
	v_bitop3_b32 v30, v27, v34, v33 bitop3:0x80
	ds_load_b32 v27, v31 offset:32
	; wave barrier
	v_bitop3_b32 v30, v30, v29, v28 bitop3:0x80
	v_add_nc_u32_e32 v29, 32, v31
	s_delay_alu instid0(VALU_DEP_2) | instskip(SKIP_1) | instid1(VALU_DEP_2)
	v_mbcnt_lo_u32_b32 v28, v30, 0
	v_cmp_ne_u32_e64 s13, 0, v30
	v_cmp_eq_u32_e64 s12, 0, v28
	s_and_b32 s13, s13, s12
	s_delay_alu instid0(SALU_CYCLE_1)
	s_and_saveexec_b32 s12, s13
	s_cbranch_execz .LBB1112_329
; %bb.328:                              ;   in Loop: Header=BB1112_325 Depth=1
	s_wait_dscnt 0x0
	v_bcnt_u32_b32 v30, v30, v27
	ds_store_b32 v29, v30
.LBB1112_329:                           ;   in Loop: Header=BB1112_325 Depth=1
	s_or_b32 exec_lo, exec_lo, s12
	; wave barrier
	s_wait_dscnt 0x0
	s_barrier_signal -1
	s_barrier_wait -1
	ds_load_b32 v31, v19
	ds_load_b32 v32, v23
	;; [unrolled: 1-line block ×8, first 2 shown]
	s_wait_dscnt 0x6
	v_add_nc_u32_e32 v68, v32, v31
	s_wait_dscnt 0x4
	s_delay_alu instid0(VALU_DEP_1) | instskip(SKIP_1) | instid1(VALU_DEP_1)
	v_add3_u32 v68, v68, v33, v34
	s_wait_dscnt 0x2
	v_add3_u32 v68, v68, v35, v36
	s_wait_dscnt 0x0
	s_delay_alu instid0(VALU_DEP_1) | instskip(NEXT) | instid1(VALU_DEP_1)
	v_add3_u32 v37, v68, v30, v37
	v_mov_b32_dpp v68, v37 row_shr:1 row_mask:0xf bank_mask:0xf
	s_delay_alu instid0(VALU_DEP_1) | instskip(NEXT) | instid1(VALU_DEP_1)
	v_cndmask_b32_e64 v68, v68, 0, vcc_lo
	v_add_nc_u32_e32 v37, v68, v37
	s_delay_alu instid0(VALU_DEP_1) | instskip(NEXT) | instid1(VALU_DEP_1)
	v_mov_b32_dpp v68, v37 row_shr:2 row_mask:0xf bank_mask:0xf
	v_cndmask_b32_e64 v68, 0, v68, s0
	s_delay_alu instid0(VALU_DEP_1) | instskip(NEXT) | instid1(VALU_DEP_1)
	v_add_nc_u32_e32 v37, v37, v68
	v_mov_b32_dpp v68, v37 row_shr:4 row_mask:0xf bank_mask:0xf
	s_delay_alu instid0(VALU_DEP_1) | instskip(NEXT) | instid1(VALU_DEP_1)
	v_cndmask_b32_e64 v68, 0, v68, s1
	v_add_nc_u32_e32 v37, v37, v68
	s_delay_alu instid0(VALU_DEP_1) | instskip(NEXT) | instid1(VALU_DEP_1)
	v_mov_b32_dpp v68, v37 row_shr:8 row_mask:0xf bank_mask:0xf
	v_cndmask_b32_e64 v68, 0, v68, s3
	s_delay_alu instid0(VALU_DEP_1) | instskip(SKIP_3) | instid1(VALU_DEP_1)
	v_add_nc_u32_e32 v37, v37, v68
	ds_swizzle_b32 v68, v37 offset:swizzle(BROADCAST,32,15)
	s_wait_dscnt 0x0
	v_cndmask_b32_e64 v68, v68, 0, s4
	v_add_nc_u32_e32 v37, v37, v68
	s_and_saveexec_b32 s12, s5
; %bb.330:                              ;   in Loop: Header=BB1112_325 Depth=1
	ds_store_b32 v54, v37
; %bb.331:                              ;   in Loop: Header=BB1112_325 Depth=1
	s_or_b32 exec_lo, exec_lo, s12
	s_wait_dscnt 0x0
	s_barrier_signal -1
	s_barrier_wait -1
	s_and_saveexec_b32 s12, s6
	s_cbranch_execz .LBB1112_333
; %bb.332:                              ;   in Loop: Header=BB1112_325 Depth=1
	ds_load_b32 v68, v55
	s_wait_dscnt 0x0
	v_mov_b32_dpp v69, v68 row_shr:1 row_mask:0xf bank_mask:0xf
	s_delay_alu instid0(VALU_DEP_1) | instskip(NEXT) | instid1(VALU_DEP_1)
	v_cndmask_b32_e64 v69, v69, 0, s9
	v_add_nc_u32_e32 v68, v69, v68
	s_delay_alu instid0(VALU_DEP_1) | instskip(NEXT) | instid1(VALU_DEP_1)
	v_mov_b32_dpp v69, v68 row_shr:2 row_mask:0xf bank_mask:0xf
	v_cndmask_b32_e64 v69, 0, v69, s10
	s_delay_alu instid0(VALU_DEP_1) | instskip(NEXT) | instid1(VALU_DEP_1)
	v_add_nc_u32_e32 v68, v68, v69
	v_mov_b32_dpp v69, v68 row_shr:4 row_mask:0xf bank_mask:0xf
	s_delay_alu instid0(VALU_DEP_1) | instskip(NEXT) | instid1(VALU_DEP_1)
	v_cndmask_b32_e64 v69, 0, v69, s11
	v_add_nc_u32_e32 v68, v68, v69
	ds_store_b32 v55, v68
.LBB1112_333:                           ;   in Loop: Header=BB1112_325 Depth=1
	s_or_b32 exec_lo, exec_lo, s12
	v_mov_b32_e32 v68, 0
	s_wait_dscnt 0x0
	s_barrier_signal -1
	s_barrier_wait -1
	s_and_saveexec_b32 s12, s7
; %bb.334:                              ;   in Loop: Header=BB1112_325 Depth=1
	ds_load_b32 v68, v65
; %bb.335:                              ;   in Loop: Header=BB1112_325 Depth=1
	s_or_b32 exec_lo, exec_lo, s12
	s_wait_dscnt 0x0
	v_dual_add_nc_u32 v37, v68, v37 :: v_dual_add_nc_u32 v10, 8, v10
	s_mov_b32 s14, -1
	s_mov_b32 s13, exec_lo
	ds_bpermute_b32 v37, v53, v37
	s_wait_dscnt 0x0
	v_cndmask_b32_e64 v37, v37, v68, s2
	s_delay_alu instid0(VALU_DEP_1) | instskip(NEXT) | instid1(VALU_DEP_1)
	v_cndmask_b32_e64 v37, v37, 0, s8
	v_add_nc_u32_e32 v31, v37, v31
	s_delay_alu instid0(VALU_DEP_1) | instskip(NEXT) | instid1(VALU_DEP_1)
	v_add_nc_u32_e32 v32, v31, v32
	v_add_nc_u32_e32 v33, v32, v33
	s_delay_alu instid0(VALU_DEP_1) | instskip(NEXT) | instid1(VALU_DEP_1)
	v_add_nc_u32_e32 v34, v33, v34
	v_add_nc_u32_e32 v35, v34, v35
	s_delay_alu instid0(VALU_DEP_1)
	v_add_nc_u32_e32 v36, v35, v36
	ds_store_b32 v19, v37
	ds_store_b32 v23, v31
	;; [unrolled: 1-line block ×3, first 2 shown]
	v_add_nc_u32_e32 v30, v36, v30
	ds_store_b32 v39, v33
	ds_store_b32 v48, v34
	;; [unrolled: 1-line block ×5, first 2 shown]
	s_wait_dscnt 0x0
	s_barrier_signal -1
	s_barrier_wait -1
	ds_load_b32 v26, v26
	ds_load_b32 v30, v29
	v_mov_b32_e32 v29, v1
	s_wait_dscnt 0x0
                                        ; implicit-def: $vgpr32_vgpr33
	v_add_nc_u32_e32 v0, v26, v0
	v_add3_u32 v28, v28, v27, v30
                                        ; implicit-def: $vgpr30_vgpr31
                                        ; implicit-def: $vgpr26_vgpr27
	s_delay_alu instid0(VALU_DEP_2) | instskip(NEXT) | instid1(VALU_DEP_2)
	v_lshl_add_u64 v[34:35], v[0:1], 3, v[12:13]
	v_lshl_add_u64 v[36:37], v[28:29], 3, v[12:13]
                                        ; implicit-def: $vgpr28_vgpr29
	v_cmpx_lt_u32_e64 v10, v11
	s_cbranch_execz .LBB1112_324
; %bb.336:                              ;   in Loop: Header=BB1112_325 Depth=1
	s_barrier_signal -1
	s_barrier_wait -1
	ds_store_b64 v34, v[14:15]
	ds_store_b64 v36, v[16:17]
	s_wait_dscnt 0x0
	s_barrier_signal -1
	s_barrier_wait -1
	ds_load_b64 v[32:33], v64
	ds_load_b64 v[30:31], v66
	s_wait_dscnt 0x0
	s_barrier_signal -1
	s_barrier_wait -1
	ds_store_b64 v34, v[24:25]
	ds_store_b64 v36, v[20:21]
	s_wait_dscnt 0x0
	s_barrier_signal -1
	s_barrier_wait -1
	ds_load_b64 v[26:27], v64
	ds_load_b64 v[28:29], v66
	v_add_nc_u32_e32 v67, -8, v67
	s_xor_b32 s14, exec_lo, -1
	s_wait_dscnt 0x0
	s_barrier_signal -1
	s_barrier_wait -1
	s_branch .LBB1112_324
.LBB1112_337:
	flat_load_b64 v[24:25], v[0:1]
	s_wait_xcnt 0x0
	s_or_b32 exec_lo, exec_lo, s3
                                        ; implicit-def: $vgpr36_vgpr37
	s_and_saveexec_b32 s3, s0
	s_cbranch_execz .LBB1112_264
.LBB1112_338:
	flat_load_b64 v[36:37], v[0:1] offset:256
	s_wait_xcnt 0x0
	s_or_b32 exec_lo, exec_lo, s3
                                        ; implicit-def: $vgpr38_vgpr39
	s_and_saveexec_b32 s0, s1
	s_cbranch_execz .LBB1112_265
.LBB1112_339:
	flat_load_b64 v[38:39], v[0:1] offset:512
	s_wait_xcnt 0x0
	s_or_b32 exec_lo, exec_lo, s0
                                        ; implicit-def: $vgpr48_vgpr49
	s_and_saveexec_b32 s0, s2
	s_cbranch_execnz .LBB1112_266
	s_branch .LBB1112_267
.LBB1112_340:
	flat_store_b64 v[0:1], v[14:15]
	s_wait_xcnt 0x0
	s_or_b32 exec_lo, exec_lo, s3
	s_and_saveexec_b32 s3, s0
	s_cbranch_execz .LBB1112_309
.LBB1112_341:
	flat_store_b64 v[0:1], v[16:17] offset:2048
	s_wait_xcnt 0x0
	s_or_b32 exec_lo, exec_lo, s3
	s_and_saveexec_b32 s0, s1
	s_cbranch_execz .LBB1112_310
.LBB1112_342:
	flat_store_b64 v[0:1], v[10:11] offset:4096
	s_wait_xcnt 0x0
	s_or_b32 exec_lo, exec_lo, s0
	s_and_saveexec_b32 s0, s2
	s_cbranch_execnz .LBB1112_311
	s_branch .LBB1112_312
.LBB1112_343:
	s_or_b32 exec_lo, exec_lo, s25
	v_lshl_add_u32 v0, v22, 3, v12
	s_barrier_signal -1
	s_barrier_wait -1
	ds_store_b64 v34, v[14:15]
	ds_store_b64 v36, v[16:17]
	s_wait_dscnt 0x0
	s_barrier_signal -1
	s_barrier_wait -1
	ds_load_2addr_stride64_b64 v[14:17], v0 offset1:4
	s_wait_dscnt 0x0
	s_barrier_signal -1
	s_barrier_wait -1
	ds_store_b64 v34, v[24:25]
	ds_store_b64 v36, v[20:21]
	s_wait_dscnt 0x0
	s_barrier_signal -1
	s_barrier_wait -1
	ds_load_2addr_stride64_b64 v[10:13], v0 offset1:4
	v_lshl_add_u64 v[0:1], v[8:9], 3, v[2:3]
	v_mov_b32_e32 v19, 0
	s_set_vgpr_msb 4                        ;  msbs: dst=0 src0=0 src1=1 src2=0
	v_cmp_lt_u32_e32 vcc_lo, v18, v34 /*v290*/
	s_wait_dscnt 0x0
	s_barrier_signal -1
	s_barrier_wait -1
	v_lshl_add_u64 v[0:1], v[18:19], 3, v[0:1]
	s_and_saveexec_b32 s1, vcc_lo
	s_set_vgpr_msb 0                        ;  msbs: dst=0 src0=0 src1=0 src2=0
	s_cbranch_execz .LBB1112_345
; %bb.344:
	v_cmp_gt_i64_e64 s0, 0, v[14:15]
	s_delay_alu instid0(VALU_DEP_1) | instskip(NEXT) | instid1(VALU_DEP_1)
	v_cndmask_b32_e64 v3, 0x7fffffff, 0, s0
	v_dual_ashrrev_i32 v2, 31, v15 :: v_dual_bitop2_b32 v3, v3, v15 bitop3:0x14
	s_delay_alu instid0(VALU_DEP_1) | instskip(NEXT) | instid1(VALU_DEP_1)
	v_not_b32_e32 v2, v2
	v_xor_b32_e32 v2, v2, v14
	flat_store_b64 v[0:1], v[2:3]
.LBB1112_345:
	s_wait_xcnt 0x0
	s_or_b32 exec_lo, exec_lo, s1
	v_add_nc_u32_e32 v2, 0x100, v18
	s_set_vgpr_msb 4                        ;  msbs: dst=0 src0=0 src1=1 src2=0
	s_delay_alu instid0(VALU_DEP_1)
	v_cmp_lt_u32_e64 s0, v2, v34 /*v290*/
	s_and_saveexec_b32 s2, s0
	s_set_vgpr_msb 0                        ;  msbs: dst=0 src0=0 src1=0 src2=0
	s_cbranch_execz .LBB1112_347
; %bb.346:
	v_cmp_gt_i64_e64 s1, 0, v[16:17]
	s_delay_alu instid0(VALU_DEP_1) | instskip(NEXT) | instid1(VALU_DEP_1)
	v_cndmask_b32_e64 v3, 0x7fffffff, 0, s1
	v_dual_ashrrev_i32 v2, 31, v17 :: v_dual_bitop2_b32 v3, v3, v17 bitop3:0x14
	s_delay_alu instid0(VALU_DEP_1) | instskip(NEXT) | instid1(VALU_DEP_1)
	v_not_b32_e32 v2, v2
	v_xor_b32_e32 v2, v2, v16
	flat_store_b64 v[0:1], v[2:3] offset:2048
.LBB1112_347:
	s_wait_xcnt 0x0
	s_or_b32 exec_lo, exec_lo, s2
	v_lshl_add_u64 v[0:1], v[8:9], 3, v[6:7]
	s_delay_alu instid0(VALU_DEP_1)
	v_lshl_add_u64 v[0:1], v[18:19], 3, v[0:1]
	s_and_saveexec_b32 s1, vcc_lo
	s_cbranch_execz .LBB1112_349
; %bb.348:
	flat_store_b64 v[0:1], v[10:11]
.LBB1112_349:
	s_wait_xcnt 0x0
	s_or_b32 exec_lo, exec_lo, s1
	s_and_saveexec_b32 s1, s0
	s_cbranch_execz .LBB1112_351
; %bb.350:
	flat_store_b64 v[0:1], v[12:13] offset:2048
.LBB1112_351:
	s_wait_xcnt 0x0
	s_or_b32 exec_lo, exec_lo, s1
                                        ; implicit-def: $vgpr18
                                        ; implicit-def: $vgpr8_vgpr9
                                        ; implicit-def: $vgpr290
                                        ; implicit-def: $vgpr10
                                        ; implicit-def: $vgpr11
                                        ; implicit-def: $vgpr0_vgpr1
                                        ; implicit-def: $vgpr2_vgpr3
                                        ; implicit-def: $vgpr4_vgpr5
                                        ; implicit-def: $vgpr6_vgpr7
                                        ; implicit-def: $vgpr12_vgpr13
                                        ; implicit-def: $vgpr22
                                        ; implicit-def: $vgpr258
.LBB1112_352:
	s_and_not1_saveexec_b32 s0, s22
	s_cbranch_execz .LBB1112_372
; %bb.353:
	s_delay_alu instid0(VALU_DEP_3)
	v_and_b32_e32 v20, 0xffffffe0, v18
	v_mov_b64_e32 v[14:15], -1
	s_set_vgpr_msb 4                        ;  msbs: dst=0 src0=0 src1=1 src2=0
	v_lshlrev_b32_e32 v24, 3, v2 /*v258*/
	s_set_vgpr_msb 1                        ;  msbs: dst=0 src0=1 src1=0 src2=0
	v_or_b32_e32 v16, v2 /*v258*/, v20
	s_set_vgpr_msb 4                        ;  msbs: dst=0 src0=0 src1=1 src2=0
	s_delay_alu instid0(VALU_DEP_1)
	v_cmp_lt_u32_e32 vcc_lo, v16, v34 /*v290*/
	s_and_saveexec_b32 s0, vcc_lo
	s_set_vgpr_msb 0                        ;  msbs: dst=0 src0=0 src1=0 src2=0
	s_cbranch_execz .LBB1112_355
; %bb.354:
	v_lshl_add_u64 v[0:1], v[8:9], 3, v[0:1]
	v_mov_b32_e32 v25, 0
	s_delay_alu instid0(VALU_DEP_1) | instskip(SKIP_1) | instid1(VALU_DEP_1)
	v_add_nc_u64_e32 v[0:1], v[0:1], v[24:25]
	v_mov_b32_e32 v21, v25
	v_lshl_add_u64 v[0:1], v[20:21], 3, v[0:1]
	flat_load_b64 v[14:15], v[0:1]
.LBB1112_355:
	s_wait_xcnt 0x0
	s_or_b32 exec_lo, exec_lo, s0
                                        ; implicit-def: $vgpr16_vgpr17
	s_and_saveexec_b32 s0, vcc_lo
	s_cbranch_execz .LBB1112_357
; %bb.356:
	v_lshl_add_u64 v[0:1], v[8:9], 3, v[4:5]
	v_mov_b32_e32 v25, 0
	s_delay_alu instid0(VALU_DEP_1) | instskip(SKIP_1) | instid1(VALU_DEP_1)
	v_add_nc_u64_e32 v[0:1], v[0:1], v[24:25]
	v_mov_b32_e32 v21, v25
	v_lshl_add_u64 v[0:1], v[20:21], 3, v[0:1]
	flat_load_b64 v[16:17], v[0:1]
.LBB1112_357:
	s_wait_xcnt 0x0
	s_or_b32 exec_lo, exec_lo, s0
	s_wait_loadcnt_dscnt 0x0
	v_cmp_gt_i64_e32 vcc_lo, 0, v[14:15]
	v_lshl_add_u32 v4, v22, 5, v12
	s_set_vgpr_msb 4                        ;  msbs: dst=0 src0=0 src1=1 src2=0
	v_and_b32_e32 v5, 16, v2 /*v258*/
	s_get_pc_i64 s[0:1]
	s_add_nc_u64 s[0:1], s[0:1], _ZN7rocprim17ROCPRIM_400000_NS16block_radix_sortIdLj256ELj1ElLj1ELj1ELj8ELNS0_26block_radix_rank_algorithmE2ELNS0_18block_padding_hintE2ELNS0_4arch9wavefront6targetE0EE19radix_bits_per_passE@rel64+4
	s_set_vgpr_msb 0                        ;  msbs: dst=0 src0=0 src1=0 src2=0
	v_cmp_gt_u32_e64 s6, 8, v22
	s_load_b32 s22, s[0:1], 0x0
	v_dual_add_nc_u32 v23, 36, v4 :: v_dual_add_nc_u32 v28, 40, v4
	v_cndmask_b32_e64 v1, 0x7fffffff, 0, vcc_lo
	v_dual_ashrrev_i32 v0, 31, v15 :: v_dual_add_nc_u32 v29, 44, v4
	v_dual_add_nc_u32 v30, 48, v4 :: v_dual_add_nc_u32 v31, 52, v4
	s_delay_alu instid0(VALU_DEP_3) | instskip(NEXT) | instid1(VALU_DEP_3)
	v_dual_add_nc_u32 v32, 56, v4 :: v_dual_bitop2_b32 v25, v1, v15 bitop3:0x14
	v_not_b32_e32 v0, v0
	v_dual_add_nc_u32 v19, 32, v4 :: v_dual_add_nc_u32 v33, 60, v4
	v_lshrrev_b32_e32 v34, 5, v18
	v_and_b32_e32 v4, 0x3e0, v22
	s_delay_alu instid0(VALU_DEP_4)
	v_xor_b32_e32 v24, v0, v14
	s_set_vgpr_msb 1                        ;  msbs: dst=0 src0=1 src1=0 src2=0
	v_sub_co_u32 v14, s2, v2 /*v258*/, 1
	v_cmp_eq_u32_e64 s4, 0, v5
	v_min_u32_e32 v1, 0xe0, v4
	v_cmp_lt_u32_e64 s7, 31, v22
	s_delay_alu instid0(VALU_DEP_4)
	v_cmp_gt_i32_e64 s5, 0, v14
	s_set_vgpr_msb 4                        ;  msbs: dst=0 src0=0 src1=1 src2=0
	v_and_b32_e32 v0, 15, v2 /*v258*/
	s_set_vgpr_msb 0                        ;  msbs: dst=0 src0=0 src1=0 src2=0
	v_cmp_eq_u32_e64 s8, 0, v22
	v_lshl_add_u32 v37, v22, 2, v12
	s_mov_b64 s[20:21], 0x8000000000000000
	s_set_vgpr_msb 4                        ;  msbs: dst=0 src0=0 src1=1 src2=0
	v_cndmask_b32_e64 v5, v14, v2 /*v258*/, s5
	s_set_vgpr_msb 0                        ;  msbs: dst=0 src0=0 src1=0 src2=0
	v_cmp_eq_u32_e32 vcc_lo, 0, v0
	s_wait_xcnt 0x0
	v_cmp_lt_u32_e64 s0, 1, v0
	v_cmp_lt_u32_e64 s1, 3, v0
	;; [unrolled: 1-line block ×3, first 2 shown]
	v_dual_lshrrev_b32 v1, 3, v22 :: v_dual_bitop2_b32 v0, 31, v1 bitop3:0x54
	s_mov_b32 s23, 0
	s_wait_storecnt 0x0
	s_barrier_signal -1
	s_delay_alu instid0(VALU_DEP_1)
	v_cmp_eq_u32_e64 s5, v22, v0
	v_and_b32_e32 v0, 0x7c, v1
	v_lshlrev_b32_e32 v35, 2, v5
	s_set_vgpr_msb 4                        ;  msbs: dst=0 src0=0 src1=1 src2=0
	v_dual_mov_b32 v1, 0 :: v_dual_bitop2_b32 v5, 7, v2 /*v258*/ bitop3:0x40
	s_set_vgpr_msb 0                        ;  msbs: dst=0 src0=0 src1=0 src2=0
	v_dual_sub_nc_u32 v48, v11, v10 :: v_dual_add_nc_u32 v36, v12, v0
	s_set_vgpr_msb 1                        ;  msbs: dst=0 src0=1 src1=0 src2=0
	v_or_b32_e32 v0, v2 /*v258*/, v4
	v_cmp_eq_u32_e64 s9, 0, v5
	v_cmp_lt_u32_e64 s10, 1, v5
	v_cmp_lt_u32_e64 s11, 3, v5
	v_mov_b64_e32 v[4:5], 0
	v_add_nc_u32_e32 v38, -4, v36
	s_set_vgpr_msb 0                        ;  msbs: dst=0 src0=0 src1=0 src2=0
	v_lshl_add_u32 v39, v0, 3, v12
	s_barrier_wait -1
	s_branch .LBB1112_359
.LBB1112_358:                           ;   in Loop: Header=BB1112_359 Depth=1
	s_or_b32 exec_lo, exec_lo, s13
	s_delay_alu instid0(SALU_CYCLE_1) | instskip(NEXT) | instid1(SALU_CYCLE_1)
	s_and_b32 s12, exec_lo, s14
	s_or_b32 s23, s12, s23
	s_delay_alu instid0(SALU_CYCLE_1)
	s_and_not1_b32 exec_lo, exec_lo, s23
	s_cbranch_execz .LBB1112_369
.LBB1112_359:                           ; =>This Inner Loop Header: Depth=1
	v_mov_b64_e32 v[14:15], v[24:25]
	s_wait_kmcnt 0x0
	v_min_u32_e32 v0, s22, v48
	ds_store_b64 v19, v[4:5]
	ds_store_b64 v28, v[4:5]
	;; [unrolled: 1-line block ×4, first 2 shown]
	s_wait_dscnt 0x0
	s_barrier_signal -1
	v_lshlrev_b32_e64 v0, v0, -1
	v_cmp_ne_u64_e64 s12, s[20:21], v[14:15]
	s_barrier_wait -1
	; wave barrier
	s_delay_alu instid0(VALU_DEP_1) | instskip(SKIP_1) | instid1(VALU_DEP_1)
	v_cndmask_b32_e64 v21, 0x7fffffff, v15, s12
	v_cndmask_b32_e64 v20, -1, v14, s12
	v_lshrrev_b64 v[20:21], v10, v[20:21]
	s_delay_alu instid0(VALU_DEP_1) | instskip(SKIP_1) | instid1(VALU_DEP_2)
	v_bitop3_b32 v21, v20, 1, v0 bitop3:0x40
	v_bitop3_b32 v0, v20, v0, v20 bitop3:0x30
	v_add_co_u32 v20, s12, v21, -1
	s_delay_alu instid0(VALU_DEP_1) | instskip(NEXT) | instid1(VALU_DEP_3)
	v_cndmask_b32_e64 v21, 0, 1, s12
	v_dual_lshlrev_b32 v24, 30, v0 :: v_dual_lshlrev_b32 v25, 29, v0
	v_dual_lshlrev_b32 v26, 28, v0 :: v_dual_lshlrev_b32 v27, 27, v0
	v_lshlrev_b32_e32 v49, 26, v0
	s_delay_alu instid0(VALU_DEP_4) | instskip(NEXT) | instid1(VALU_DEP_4)
	v_cmp_ne_u32_e64 s12, 0, v21
	v_not_b32_e32 v21, v24
	v_cmp_gt_i32_e64 s13, 0, v24
	v_cmp_gt_i32_e64 s14, 0, v25
	v_not_b32_e32 v24, v25
	v_not_b32_e32 v25, v26
	v_dual_ashrrev_i32 v21, 31, v21 :: v_dual_bitop2_b32 v20, s12, v20 bitop3:0x14
	v_dual_lshlrev_b32 v50, 25, v0 :: v_dual_lshlrev_b32 v51, 24, v0
	v_cmp_gt_i32_e64 s15, 0, v26
	v_cmp_gt_i32_e64 s16, 0, v27
	v_not_b32_e32 v26, v27
	v_not_b32_e32 v27, v49
	v_dual_ashrrev_i32 v24, 31, v24 :: v_dual_ashrrev_i32 v25, 31, v25
	s_delay_alu instid0(VALU_DEP_3)
	v_dual_ashrrev_i32 v26, 31, v26 :: v_dual_bitop2_b32 v21, s13, v21 bitop3:0x14
	v_cmp_gt_i32_e64 s17, 0, v49
	v_cmp_gt_i32_e64 s18, 0, v50
	v_not_b32_e32 v49, v50
	v_not_b32_e32 v50, v51
	v_dual_ashrrev_i32 v27, 31, v27 :: v_dual_bitop2_b32 v24, s14, v24 bitop3:0x14
	v_xor_b32_e32 v25, s15, v25
	v_bitop3_b32 v20, v20, v21, exec_lo bitop3:0x80
	v_cmp_gt_i32_e64 s19, 0, v51
	v_dual_ashrrev_i32 v21, 31, v49 :: v_dual_bitop2_b32 v26, s16, v26 bitop3:0x14
	v_dual_ashrrev_i32 v49, 31, v50 :: v_dual_bitop2_b32 v27, s17, v27 bitop3:0x14
	s_delay_alu instid0(VALU_DEP_4) | instskip(NEXT) | instid1(VALU_DEP_3)
	v_bitop3_b32 v20, v20, v25, v24 bitop3:0x80
	v_xor_b32_e32 v21, s18, v21
	v_lshl_add_u32 v0, v0, 3, v34
	s_delay_alu instid0(VALU_DEP_4) | instskip(NEXT) | instid1(VALU_DEP_4)
	v_xor_b32_e32 v24, s19, v49
	v_bitop3_b32 v20, v20, v27, v26 bitop3:0x80
	s_delay_alu instid0(VALU_DEP_1) | instskip(SKIP_2) | instid1(VALU_DEP_3)
	v_bitop3_b32 v24, v20, v24, v21 bitop3:0x80
	v_mov_b64_e32 v[20:21], v[16:17]
	v_lshl_add_u64 v[16:17], v[0:1], 2, v[12:13]
	v_mbcnt_lo_u32_b32 v0, v24, 0
	v_cmp_ne_u32_e64 s13, 0, v24
	s_delay_alu instid0(VALU_DEP_3) | instskip(NEXT) | instid1(VALU_DEP_3)
	v_add_nc_u64_e32 v[16:17], 32, v[16:17]
	v_cmp_eq_u32_e64 s12, 0, v0
	s_and_b32 s13, s13, s12
	s_delay_alu instid0(SALU_CYCLE_1)
	s_and_saveexec_b32 s12, s13
; %bb.360:                              ;   in Loop: Header=BB1112_359 Depth=1
	v_bcnt_u32_b32 v17, v24, 0
	ds_store_b32 v16, v17
; %bb.361:                              ;   in Loop: Header=BB1112_359 Depth=1
	s_or_b32 exec_lo, exec_lo, s12
	; wave barrier
	s_wait_dscnt 0x0
	s_barrier_signal -1
	s_barrier_wait -1
	ds_load_b32 v24, v19
	ds_load_b32 v25, v23
	ds_load_b32 v26, v28
	ds_load_b32 v27, v29
	ds_load_b32 v49, v30
	ds_load_b32 v50, v31
	ds_load_b32 v17, v32
	ds_load_b32 v51, v33
	s_wait_dscnt 0x6
	v_add_nc_u32_e32 v52, v25, v24
	s_wait_dscnt 0x4
	s_delay_alu instid0(VALU_DEP_1) | instskip(SKIP_1) | instid1(VALU_DEP_1)
	v_add3_u32 v52, v52, v26, v27
	s_wait_dscnt 0x2
	v_add3_u32 v52, v52, v49, v50
	s_wait_dscnt 0x0
	s_delay_alu instid0(VALU_DEP_1) | instskip(NEXT) | instid1(VALU_DEP_1)
	v_add3_u32 v51, v52, v17, v51
	v_mov_b32_dpp v52, v51 row_shr:1 row_mask:0xf bank_mask:0xf
	s_delay_alu instid0(VALU_DEP_1) | instskip(NEXT) | instid1(VALU_DEP_1)
	v_cndmask_b32_e64 v52, v52, 0, vcc_lo
	v_add_nc_u32_e32 v51, v52, v51
	s_delay_alu instid0(VALU_DEP_1) | instskip(NEXT) | instid1(VALU_DEP_1)
	v_mov_b32_dpp v52, v51 row_shr:2 row_mask:0xf bank_mask:0xf
	v_cndmask_b32_e64 v52, 0, v52, s0
	s_delay_alu instid0(VALU_DEP_1) | instskip(NEXT) | instid1(VALU_DEP_1)
	v_add_nc_u32_e32 v51, v51, v52
	v_mov_b32_dpp v52, v51 row_shr:4 row_mask:0xf bank_mask:0xf
	s_delay_alu instid0(VALU_DEP_1) | instskip(NEXT) | instid1(VALU_DEP_1)
	v_cndmask_b32_e64 v52, 0, v52, s1
	v_add_nc_u32_e32 v51, v51, v52
	s_delay_alu instid0(VALU_DEP_1) | instskip(NEXT) | instid1(VALU_DEP_1)
	v_mov_b32_dpp v52, v51 row_shr:8 row_mask:0xf bank_mask:0xf
	v_cndmask_b32_e64 v52, 0, v52, s3
	s_delay_alu instid0(VALU_DEP_1) | instskip(SKIP_3) | instid1(VALU_DEP_1)
	v_add_nc_u32_e32 v51, v51, v52
	ds_swizzle_b32 v52, v51 offset:swizzle(BROADCAST,32,15)
	s_wait_dscnt 0x0
	v_cndmask_b32_e64 v52, v52, 0, s4
	v_add_nc_u32_e32 v51, v51, v52
	s_and_saveexec_b32 s12, s5
; %bb.362:                              ;   in Loop: Header=BB1112_359 Depth=1
	ds_store_b32 v36, v51
; %bb.363:                              ;   in Loop: Header=BB1112_359 Depth=1
	s_or_b32 exec_lo, exec_lo, s12
	s_wait_dscnt 0x0
	s_barrier_signal -1
	s_barrier_wait -1
	s_and_saveexec_b32 s12, s6
	s_cbranch_execz .LBB1112_365
; %bb.364:                              ;   in Loop: Header=BB1112_359 Depth=1
	ds_load_b32 v52, v37
	s_wait_dscnt 0x0
	v_mov_b32_dpp v53, v52 row_shr:1 row_mask:0xf bank_mask:0xf
	s_delay_alu instid0(VALU_DEP_1) | instskip(NEXT) | instid1(VALU_DEP_1)
	v_cndmask_b32_e64 v53, v53, 0, s9
	v_add_nc_u32_e32 v52, v53, v52
	s_delay_alu instid0(VALU_DEP_1) | instskip(NEXT) | instid1(VALU_DEP_1)
	v_mov_b32_dpp v53, v52 row_shr:2 row_mask:0xf bank_mask:0xf
	v_cndmask_b32_e64 v53, 0, v53, s10
	s_delay_alu instid0(VALU_DEP_1) | instskip(NEXT) | instid1(VALU_DEP_1)
	v_add_nc_u32_e32 v52, v52, v53
	v_mov_b32_dpp v53, v52 row_shr:4 row_mask:0xf bank_mask:0xf
	s_delay_alu instid0(VALU_DEP_1) | instskip(NEXT) | instid1(VALU_DEP_1)
	v_cndmask_b32_e64 v53, 0, v53, s11
	v_add_nc_u32_e32 v52, v52, v53
	ds_store_b32 v37, v52
.LBB1112_365:                           ;   in Loop: Header=BB1112_359 Depth=1
	s_or_b32 exec_lo, exec_lo, s12
	v_mov_b32_e32 v52, 0
	s_wait_dscnt 0x0
	s_barrier_signal -1
	s_barrier_wait -1
	s_and_saveexec_b32 s12, s7
; %bb.366:                              ;   in Loop: Header=BB1112_359 Depth=1
	ds_load_b32 v52, v38
; %bb.367:                              ;   in Loop: Header=BB1112_359 Depth=1
	s_or_b32 exec_lo, exec_lo, s12
	s_wait_dscnt 0x0
	v_add_nc_u32_e32 v51, v52, v51
	s_mov_b32 s14, -1
	s_mov_b32 s13, exec_lo
	v_add_nc_u32_e32 v10, 8, v10
	ds_bpermute_b32 v51, v35, v51
	s_wait_dscnt 0x0
	v_cndmask_b32_e64 v51, v51, v52, s2
	s_delay_alu instid0(VALU_DEP_1) | instskip(NEXT) | instid1(VALU_DEP_1)
	v_cndmask_b32_e64 v51, v51, 0, s8
	v_add_nc_u32_e32 v24, v51, v24
	s_delay_alu instid0(VALU_DEP_1) | instskip(NEXT) | instid1(VALU_DEP_1)
	v_add_nc_u32_e32 v25, v24, v25
	v_add_nc_u32_e32 v26, v25, v26
	s_delay_alu instid0(VALU_DEP_1) | instskip(SKIP_4) | instid1(VALU_DEP_1)
	v_add_nc_u32_e32 v27, v26, v27
	ds_store_b32 v19, v51
	ds_store_b32 v23, v24
	;; [unrolled: 1-line block ×3, first 2 shown]
                                        ; implicit-def: $vgpr24_vgpr25
	v_add_nc_u32_e32 v49, v27, v49
	v_add_nc_u32_e32 v50, v49, v50
	s_delay_alu instid0(VALU_DEP_1)
	v_add_nc_u32_e32 v17, v50, v17
	ds_store_b32 v29, v26
	ds_store_b32 v30, v27
	;; [unrolled: 1-line block ×5, first 2 shown]
	s_wait_dscnt 0x0
	s_barrier_signal -1
	s_barrier_wait -1
	ds_load_b32 v16, v16
	s_wait_dscnt 0x0
	v_add_nc_u32_e32 v0, v16, v0
                                        ; implicit-def: $vgpr16_vgpr17
	s_delay_alu instid0(VALU_DEP_1)
	v_lshl_add_u64 v[26:27], v[0:1], 3, v[12:13]
	v_cmpx_lt_u32_e64 v10, v11
	s_cbranch_execz .LBB1112_358
; %bb.368:                              ;   in Loop: Header=BB1112_359 Depth=1
	s_barrier_signal -1
	s_barrier_wait -1
	ds_store_b64 v26, v[14:15]
	s_wait_dscnt 0x0
	s_barrier_signal -1
	s_barrier_wait -1
	ds_load_b64 v[24:25], v39
	s_wait_dscnt 0x0
	s_barrier_signal -1
	s_barrier_wait -1
	ds_store_b64 v26, v[20:21]
	s_wait_dscnt 0x0
	s_barrier_signal -1
	s_barrier_wait -1
	ds_load_b64 v[16:17], v39
	v_add_nc_u32_e32 v48, -8, v48
	s_xor_b32 s14, exec_lo, -1
	s_wait_dscnt 0x0
	s_barrier_signal -1
	s_barrier_wait -1
	s_branch .LBB1112_358
.LBB1112_369:
	s_or_b32 exec_lo, exec_lo, s23
	v_lshl_add_u32 v4, v22, 3, v12
	s_barrier_signal -1
	s_barrier_wait -1
	ds_store_b64 v26, v[14:15]
	s_wait_dscnt 0x0
	s_barrier_signal -1
	s_barrier_wait -1
	ds_load_b64 v[0:1], v4
	s_wait_dscnt 0x0
	s_barrier_signal -1
	s_barrier_wait -1
	ds_store_b64 v26, v[20:21]
	s_wait_dscnt 0x0
	s_barrier_signal -1
	s_barrier_wait -1
	ds_load_b64 v[4:5], v4
	s_mov_b32 s0, exec_lo
	s_wait_dscnt 0x0
	s_barrier_signal -1
	s_barrier_wait -1
	s_set_vgpr_msb 4                        ;  msbs: dst=0 src0=0 src1=1 src2=0
	v_cmpx_lt_u32_e64 v18, v34 /*v290*/
	s_set_vgpr_msb 0                        ;  msbs: dst=0 src0=0 src1=0 src2=0
	s_cbranch_execz .LBB1112_371
; %bb.370:
	v_lshlrev_b64_e32 v[8:9], 3, v[8:9]
	v_dual_mov_b32 v19, 0 :: v_dual_ashrrev_i32 v12, 31, v1
	v_cmp_gt_i64_e32 vcc_lo, 0, v[0:1]
	s_delay_alu instid0(VALU_DEP_2) | instskip(NEXT) | instid1(VALU_DEP_4)
	v_lshlrev_b64_e32 v[10:11], 3, v[18:19]
	v_add_nc_u64_e32 v[2:3], v[2:3], v[8:9]
	v_add_nc_u64_e32 v[6:7], v[6:7], v[8:9]
	v_not_b32_e32 v9, v12
	v_cndmask_b32_e64 v8, 0x7fffffff, 0, vcc_lo
	s_delay_alu instid0(VALU_DEP_2) | instskip(SKIP_2) | instid1(VALU_DEP_4)
	v_xor_b32_e32 v0, v9, v0
	v_add_nc_u64_e32 v[2:3], v[2:3], v[10:11]
	v_add_nc_u64_e32 v[6:7], v[6:7], v[10:11]
	v_xor_b32_e32 v1, v8, v1
	flat_store_b64 v[2:3], v[0:1]
	flat_store_b64 v[6:7], v[4:5]
.LBB1112_371:
	s_wait_xcnt 0x0
	s_or_b32 exec_lo, exec_lo, s0
.LBB1112_372:
	s_delay_alu instid0(SALU_CYCLE_1)
	s_or_b32 exec_lo, exec_lo, s24
	s_wait_dscnt 0x0
	s_set_pc_i64 s[30:31]
.Lfunc_end1112:
	.size	_ZN7rocprim17ROCPRIM_400000_NS6detail40segmented_radix_sort_single_block_helperIdlLj256ELj16ELb1EE4sortIPKdPdPKlPlEEbT_T0_T1_T2_jjjjRNS3_12storage_typeE, .Lfunc_end1112-_ZN7rocprim17ROCPRIM_400000_NS6detail40segmented_radix_sort_single_block_helperIdlLj256ELj16ELb1EE4sortIPKdPdPKlPlEEbT_T0_T1_T2_jjjjRNS3_12storage_typeE
                                        ; -- End function
	.set .L_ZN7rocprim17ROCPRIM_400000_NS6detail40segmented_radix_sort_single_block_helperIdlLj256ELj16ELb1EE4sortIPKdPdPKlPlEEbT_T0_T1_T2_jjjjRNS3_12storage_typeE.num_vgpr, 319
	.set .L_ZN7rocprim17ROCPRIM_400000_NS6detail40segmented_radix_sort_single_block_helperIdlLj256ELj16ELb1EE4sortIPKdPdPKlPlEEbT_T0_T1_T2_jjjjRNS3_12storage_typeE.num_agpr, 0
	.set .L_ZN7rocprim17ROCPRIM_400000_NS6detail40segmented_radix_sort_single_block_helperIdlLj256ELj16ELb1EE4sortIPKdPdPKlPlEEbT_T0_T1_T2_jjjjRNS3_12storage_typeE.numbered_sgpr, 32
	.set .L_ZN7rocprim17ROCPRIM_400000_NS6detail40segmented_radix_sort_single_block_helperIdlLj256ELj16ELb1EE4sortIPKdPdPKlPlEEbT_T0_T1_T2_jjjjRNS3_12storage_typeE.num_named_barrier, 0
	.set .L_ZN7rocprim17ROCPRIM_400000_NS6detail40segmented_radix_sort_single_block_helperIdlLj256ELj16ELb1EE4sortIPKdPdPKlPlEEbT_T0_T1_T2_jjjjRNS3_12storage_typeE.private_seg_size, 0
	.set .L_ZN7rocprim17ROCPRIM_400000_NS6detail40segmented_radix_sort_single_block_helperIdlLj256ELj16ELb1EE4sortIPKdPdPKlPlEEbT_T0_T1_T2_jjjjRNS3_12storage_typeE.uses_vcc, 1
	.set .L_ZN7rocprim17ROCPRIM_400000_NS6detail40segmented_radix_sort_single_block_helperIdlLj256ELj16ELb1EE4sortIPKdPdPKlPlEEbT_T0_T1_T2_jjjjRNS3_12storage_typeE.uses_flat_scratch, 0
	.set .L_ZN7rocprim17ROCPRIM_400000_NS6detail40segmented_radix_sort_single_block_helperIdlLj256ELj16ELb1EE4sortIPKdPdPKlPlEEbT_T0_T1_T2_jjjjRNS3_12storage_typeE.has_dyn_sized_stack, 0
	.set .L_ZN7rocprim17ROCPRIM_400000_NS6detail40segmented_radix_sort_single_block_helperIdlLj256ELj16ELb1EE4sortIPKdPdPKlPlEEbT_T0_T1_T2_jjjjRNS3_12storage_typeE.has_recursion, 0
	.set .L_ZN7rocprim17ROCPRIM_400000_NS6detail40segmented_radix_sort_single_block_helperIdlLj256ELj16ELb1EE4sortIPKdPdPKlPlEEbT_T0_T1_T2_jjjjRNS3_12storage_typeE.has_indirect_call, 0
	.section	.AMDGPU.csdata,"",@progbits
; Function info:
; codeLenInByte = 32756
; TotalNumSgprs: 34
; NumVgprs: 319
; ScratchSize: 0
; MemoryBound: 1
	.section	.text._ZN7rocprim17ROCPRIM_400000_NS6detail17trampoline_kernelINS0_14default_configENS1_36segmented_radix_sort_config_selectorIdlEEZNS1_25segmented_radix_sort_implIS3_Lb1EPKdPdPKlPlN2at6native12_GLOBAL__N_18offset_tEEE10hipError_tPvRmT1_PNSt15iterator_traitsISK_E10value_typeET2_T3_PNSL_ISQ_E10value_typeET4_jRbjT5_SW_jjP12ihipStream_tbEUlT_E_NS1_11comp_targetILNS1_3genE0ELNS1_11target_archE4294967295ELNS1_3gpuE0ELNS1_3repE0EEENS1_30default_config_static_selectorELNS0_4arch9wavefront6targetE0EEEvSK_,"axG",@progbits,_ZN7rocprim17ROCPRIM_400000_NS6detail17trampoline_kernelINS0_14default_configENS1_36segmented_radix_sort_config_selectorIdlEEZNS1_25segmented_radix_sort_implIS3_Lb1EPKdPdPKlPlN2at6native12_GLOBAL__N_18offset_tEEE10hipError_tPvRmT1_PNSt15iterator_traitsISK_E10value_typeET2_T3_PNSL_ISQ_E10value_typeET4_jRbjT5_SW_jjP12ihipStream_tbEUlT_E_NS1_11comp_targetILNS1_3genE0ELNS1_11target_archE4294967295ELNS1_3gpuE0ELNS1_3repE0EEENS1_30default_config_static_selectorELNS0_4arch9wavefront6targetE0EEEvSK_,comdat
	.globl	_ZN7rocprim17ROCPRIM_400000_NS6detail17trampoline_kernelINS0_14default_configENS1_36segmented_radix_sort_config_selectorIdlEEZNS1_25segmented_radix_sort_implIS3_Lb1EPKdPdPKlPlN2at6native12_GLOBAL__N_18offset_tEEE10hipError_tPvRmT1_PNSt15iterator_traitsISK_E10value_typeET2_T3_PNSL_ISQ_E10value_typeET4_jRbjT5_SW_jjP12ihipStream_tbEUlT_E_NS1_11comp_targetILNS1_3genE0ELNS1_11target_archE4294967295ELNS1_3gpuE0ELNS1_3repE0EEENS1_30default_config_static_selectorELNS0_4arch9wavefront6targetE0EEEvSK_ ; -- Begin function _ZN7rocprim17ROCPRIM_400000_NS6detail17trampoline_kernelINS0_14default_configENS1_36segmented_radix_sort_config_selectorIdlEEZNS1_25segmented_radix_sort_implIS3_Lb1EPKdPdPKlPlN2at6native12_GLOBAL__N_18offset_tEEE10hipError_tPvRmT1_PNSt15iterator_traitsISK_E10value_typeET2_T3_PNSL_ISQ_E10value_typeET4_jRbjT5_SW_jjP12ihipStream_tbEUlT_E_NS1_11comp_targetILNS1_3genE0ELNS1_11target_archE4294967295ELNS1_3gpuE0ELNS1_3repE0EEENS1_30default_config_static_selectorELNS0_4arch9wavefront6targetE0EEEvSK_
	.p2align	8
	.type	_ZN7rocprim17ROCPRIM_400000_NS6detail17trampoline_kernelINS0_14default_configENS1_36segmented_radix_sort_config_selectorIdlEEZNS1_25segmented_radix_sort_implIS3_Lb1EPKdPdPKlPlN2at6native12_GLOBAL__N_18offset_tEEE10hipError_tPvRmT1_PNSt15iterator_traitsISK_E10value_typeET2_T3_PNSL_ISQ_E10value_typeET4_jRbjT5_SW_jjP12ihipStream_tbEUlT_E_NS1_11comp_targetILNS1_3genE0ELNS1_11target_archE4294967295ELNS1_3gpuE0ELNS1_3repE0EEENS1_30default_config_static_selectorELNS0_4arch9wavefront6targetE0EEEvSK_,@function
_ZN7rocprim17ROCPRIM_400000_NS6detail17trampoline_kernelINS0_14default_configENS1_36segmented_radix_sort_config_selectorIdlEEZNS1_25segmented_radix_sort_implIS3_Lb1EPKdPdPKlPlN2at6native12_GLOBAL__N_18offset_tEEE10hipError_tPvRmT1_PNSt15iterator_traitsISK_E10value_typeET2_T3_PNSL_ISQ_E10value_typeET4_jRbjT5_SW_jjP12ihipStream_tbEUlT_E_NS1_11comp_targetILNS1_3genE0ELNS1_11target_archE4294967295ELNS1_3gpuE0ELNS1_3repE0EEENS1_30default_config_static_selectorELNS0_4arch9wavefront6targetE0EEEvSK_: ; @_ZN7rocprim17ROCPRIM_400000_NS6detail17trampoline_kernelINS0_14default_configENS1_36segmented_radix_sort_config_selectorIdlEEZNS1_25segmented_radix_sort_implIS3_Lb1EPKdPdPKlPlN2at6native12_GLOBAL__N_18offset_tEEE10hipError_tPvRmT1_PNSt15iterator_traitsISK_E10value_typeET2_T3_PNSL_ISQ_E10value_typeET4_jRbjT5_SW_jjP12ihipStream_tbEUlT_E_NS1_11comp_targetILNS1_3genE0ELNS1_11target_archE4294967295ELNS1_3gpuE0ELNS1_3repE0EEENS1_30default_config_static_selectorELNS0_4arch9wavefront6targetE0EEEvSK_
; %bb.0:
	s_load_b64 s[8:9], s[2:3], 0x38
	s_bfe_u32 s4, ttmp6, 0x4000c
	s_and_b32 s5, ttmp6, 15
	s_add_co_i32 s4, s4, 1
	s_getreg_b32 s29, hwreg(HW_REG_IB_STS2, 6, 4)
	s_mul_i32 s4, ttmp9, s4
	s_mov_b32 s32, 0
	s_add_co_i32 s5, s5, s4
	s_cmp_eq_u32 s29, 0
	s_cselect_b32 s33, ttmp9, s5
	s_load_b128 s[4:7], s[2:3], 0x40
	s_wait_kmcnt 0x0
	s_load_b32 s10, s[8:9], s33 offset:0x0 scale_offset
	s_wait_kmcnt 0x0
	s_add_co_i32 s51, s10, s7
	s_add_co_i32 s56, s10, s5
	s_mul_i32 s51, s51, s6
	s_mul_i32 s56, s56, s4
	s_delay_alu instid0(SALU_CYCLE_1)
	s_cmp_le_u32 s51, s56
	s_cbranch_scc1 .LBB1113_1182
; %bb.1:
	s_clause 0x3
	s_load_b32 s4, s[2:3], 0x30
	s_load_b128 s[44:47], s[2:3], 0x20
	s_load_b96 s[48:50], s[2:3], 0x50
	s_load_b256 s[36:43], s[2:3], 0x0
	s_wait_kmcnt 0x0
	s_bitcmp1_b32 s4, 0
	s_mov_b32 s4, -1
	s_cselect_b32 s57, -1, 0
	s_sub_co_i32 s58, s51, s56
	s_delay_alu instid0(SALU_CYCLE_1)
	s_cmp_lt_u32 s58, 0x1001
	s_cbranch_scc0 .LBB1113_7
; %bb.2:
	v_cndmask_b32_e64 v1, 0, 1, s57
	s_and_b32 s4, s48, 1
	s_get_pc_i64 s[34:35]
	s_add_nc_u64 s[34:35], s[34:35], _ZN7rocprim17ROCPRIM_400000_NS6detail40segmented_radix_sort_single_block_helperIdlLj256ELj16ELb1EE4sortIPKdPdPKlPlEEbT_T0_T1_T2_jjjjRNS3_12storage_typeE@rel64+4
	s_delay_alu instid0(VALU_DEP_1)
	v_cmp_ne_u32_e32 vcc_lo, s4, v1
	s_mov_b32 s4, -1
	s_cbranch_vccnz .LBB1113_4
; %bb.3:
	s_mov_b64 s[4:5], src_shared_base
	v_dual_mov_b32 v31, v0 :: v_dual_mov_b32 v40, v0
	v_dual_mov_b32 v0, s36 :: v_dual_mov_b32 v1, s37
	;; [unrolled: 1-line block ×8, first 2 shown]
	s_add_nc_u64 s[8:9], s[2:3], 0x60
	s_mov_b64 s[6:7], s[0:1]
	s_mov_b64 s[52:53], s[2:3]
	;; [unrolled: 1-line block ×3, first 2 shown]
	s_swap_pc_i64 s[30:31], s[34:35]
	v_mov_b32_e32 v0, v40
	s_mov_b64 s[0:1], s[54:55]
	s_mov_b64 s[2:3], s[52:53]
	s_mov_b32 s4, 0
.LBB1113_4:
	s_delay_alu instid0(SALU_CYCLE_1)
	s_and_not1_b32 vcc_lo, exec_lo, s4
	s_cbranch_vccnz .LBB1113_6
; %bb.5:
	s_mov_b64 s[4:5], src_shared_base
	v_dual_mov_b32 v31, v0 :: v_dual_mov_b32 v40, v0
	v_dual_mov_b32 v0, s36 :: v_dual_mov_b32 v1, s37
	;; [unrolled: 1-line block ×8, first 2 shown]
	s_add_nc_u64 s[8:9], s[2:3], 0x60
	s_mov_b64 s[6:7], s[0:1]
	s_mov_b64 s[52:53], s[2:3]
	s_swap_pc_i64 s[30:31], s[34:35]
	v_mov_b32_e32 v0, v40
	s_mov_b64 s[2:3], s[52:53]
.LBB1113_6:
	s_mov_b32 s4, 0
.LBB1113_7:
	s_delay_alu instid0(SALU_CYCLE_1)
	s_and_not1_b32 vcc_lo, exec_lo, s4
	s_cbranch_vccnz .LBB1113_1182
; %bb.8:
	s_cmp_ge_u32 s49, s50
	s_cbranch_scc1 .LBB1113_1182
; %bb.9:
	v_and_b32_e32 v2, 0x3ff, v0
	v_dual_mov_b32 v5, 0 :: v_dual_bitop2_b32 v1, 3, v0 bitop3:0x40
	v_lshrrev_b32_e32 v8, 3, v0
	v_mbcnt_lo_u32_b32 v124, -1, 0
	s_delay_alu instid0(VALU_DEP_4) | instskip(NEXT) | instid1(VALU_DEP_4)
	v_dual_lshlrev_b32 v3, 2, v2 :: v_dual_lshlrev_b32 v4, 3, v2
	v_dual_lshlrev_b32 v113, 2, v1 :: v_dual_bitop2_b32 v1, 31, v2 bitop3:0x54
	s_delay_alu instid0(VALU_DEP_4) | instskip(NEXT) | instid1(VALU_DEP_3)
	v_dual_lshlrev_b32 v8, 4, v2 :: v_dual_bitop2_b32 v114, 28, v8 bitop3:0x40
	v_mad_u32_u24 v115, v2, 12, v3
	v_mov_b32_e32 v21, v5
	s_delay_alu instid0(VALU_DEP_4)
	v_cmp_eq_u32_e64 s1, v2, v1
	v_lshlrev_b32_e32 v1, 5, v2
	v_and_b32_e32 v22, 0xe00, v8
	v_mad_u32_u24 v120, v2, 20, v115
	v_add_nc_u32_e32 v118, 0x83fc, v114
	s_bfe_u32 s6, ttmp6, 0x40010
	v_add_nc_u64_e32 v[6:7], s[40:41], v[4:5]
	s_delay_alu instid0(VALU_DEP_3)
	v_dual_lshlrev_b32 v20, 3, v22 :: v_dual_sub_nc_u32 v122, v120, v1
	v_or_b32_e32 v129, v124, v22
	s_add_co_i32 s6, s6, 1
	v_bfe_u32 v119, v0, 20, 10
	s_mul_i32 s6, ttmp7, s6
	s_bfe_u32 s7, ttmp6, 0x40004
	v_bfe_u32 v121, v0, 10, 10
	v_add_nc_u64_e32 v[0:1], s[46:47], v[20:21]
	v_add_nc_u64_e32 v[8:9], s[40:41], v[20:21]
	;; [unrolled: 1-line block ×8, first 2 shown]
	v_or_b32_e32 v98, 0x100, v2
	v_or_b32_e32 v99, 0x200, v2
	;; [unrolled: 1-line block ×15, first 2 shown]
	v_cmp_gt_u32_e64 s0, 0x100, v2
	v_or_b32_e32 v116, 0x8400, v114
	v_cmp_gt_u32_e64 s4, 8, v2
	v_add_nc_u32_e32 v117, 0x8400, v3
	v_cmp_lt_u32_e64 s5, 31, v2
	s_add_nc_u64 s[52:53], s[2:3], 0x60
	s_add_co_i32 s7, s7, s6
	v_cmp_eq_u32_e64 s2, 0, v2
	v_cmp_ne_u32_e64 s3, 0xff, v2
	v_dual_add_nc_u32 v123, v122, v3 :: v_dual_mov_b32 v125, 1
	v_dual_lshlrev_b32 v4, 3, v124 :: v_dual_bitop2_b32 v126, 15, v124 bitop3:0x40
	v_bfe_i32 v127, v124, 4, 1
	v_and_b32_e32 v128, 16, v124
	v_and_b32_e32 v130, 7, v124
	v_sub_co_u32 v131, s6, v124, 1
	v_or_b32_e32 v132, 32, v129
	v_or_b32_e32 v133, 64, v129
	v_or_b32_e32 v134, 0x60, v129
	v_or_b32_e32 v135, 0x80, v129
	v_or_b32_e32 v136, 0xa0, v129
	v_or_b32_e32 v137, 0xc0, v129
	v_or_b32_e32 v138, 0xe0, v129
	v_or_b32_e32 v139, 0x100, v129
	v_or_b32_e32 v140, 0x120, v129
	v_or_b32_e32 v141, 0x140, v129
	v_or_b32_e32 v142, 0x160, v129
	v_or_b32_e32 v143, 0x180, v129
	v_or_b32_e32 v144, 0x1a0, v129
	v_or_b32_e32 v145, 0x1c0, v129
	v_or_b32_e32 v146, 0x1e0, v129
	s_cmp_eq_u32 s29, 0
	s_mov_b32 s35, 0
	s_mov_b64 s[42:43], 0x8000000000000000
	s_cselect_b32 s31, ttmp7, s7
	s_mov_b32 s48, s49
	s_mov_b32 s54, s49
	s_branch .LBB1113_12
.LBB1113_10:                            ;   in Loop: Header=BB1113_12 Depth=1
	s_wait_dscnt 0x0
	s_barrier_signal -1
	s_barrier_wait -1
.LBB1113_11:                            ;   in Loop: Header=BB1113_12 Depth=1
	s_add_co_i32 s54, s54, 8
	s_delay_alu instid0(SALU_CYCLE_1)
	s_cmp_ge_u32 s54, s50
	s_cbranch_scc1 .LBB1113_1182
.LBB1113_12:                            ; =>This Loop Header: Depth=1
                                        ;     Child Loop BB1113_16 Depth 2
                                        ;     Child Loop BB1113_96 Depth 2
	;; [unrolled: 1-line block ×8, first 2 shown]
	s_sub_co_i32 s7, s50, s54
	s_xor_b32 s57, s57, -1
	s_min_u32 s55, s7, 8
	s_cmp_lg_u32 s54, s49
	s_mov_b32 s7, -1
	ds_store_2addr_stride64_b32 v3, v5, v5 offset1:4
	ds_store_2addr_stride64_b32 v3, v5, v5 offset0:8 offset1:12
	s_wait_storecnt_dscnt 0x0
	s_cbranch_scc0 .LBB1113_598
; %bb.13:                               ;   in Loop: Header=BB1113_12 Depth=1
	s_lshl_b32 s7, -1, s55
	s_and_b32 vcc_lo, exec_lo, s57
	s_not_b32 s59, s7
	s_mov_b32 s7, -1
	s_cbranch_vccz .LBB1113_305
; %bb.14:                               ;   in Loop: Header=BB1113_12 Depth=1
	s_mov_b32 s7, s58
	s_mov_b32 s34, s56
	s_barrier_signal -1
	s_barrier_wait -1
                                        ; implicit-def: $vgpr22_vgpr23
                                        ; implicit-def: $vgpr24_vgpr25
                                        ; implicit-def: $vgpr26_vgpr27
                                        ; implicit-def: $vgpr28_vgpr29
                                        ; implicit-def: $vgpr30_vgpr31
                                        ; implicit-def: $vgpr32_vgpr33
                                        ; implicit-def: $vgpr34_vgpr35
                                        ; implicit-def: $vgpr36_vgpr37
                                        ; implicit-def: $vgpr38_vgpr39
                                        ; implicit-def: $vgpr40_vgpr41
                                        ; implicit-def: $vgpr42_vgpr43
                                        ; implicit-def: $vgpr44_vgpr45
                                        ; implicit-def: $vgpr46_vgpr47
                                        ; implicit-def: $vgpr48_vgpr49
                                        ; implicit-def: $vgpr50_vgpr51
                                        ; implicit-def: $vgpr52_vgpr53
	s_branch .LBB1113_16
.LBB1113_15:                            ;   in Loop: Header=BB1113_16 Depth=2
	s_or_b32 exec_lo, exec_lo, s8
	s_addk_co_i32 s7, 0xf000
	s_cmp_ge_u32 s10, s51
	s_mov_b32 s34, s10
	s_cbranch_scc1 .LBB1113_84
.LBB1113_16:                            ;   Parent Loop BB1113_12 Depth=1
                                        ; =>  This Inner Loop Header: Depth=2
	s_add_co_i32 s10, s34, 0x1000
	s_mov_b32 s8, -1
	s_cmp_gt_u32 s10, s51
                                        ; implicit-def: $vgpr54_vgpr55
                                        ; implicit-def: $vgpr56_vgpr57
                                        ; implicit-def: $vgpr58_vgpr59
                                        ; implicit-def: $vgpr60_vgpr61
                                        ; implicit-def: $vgpr62_vgpr63
                                        ; implicit-def: $vgpr64_vgpr65
                                        ; implicit-def: $vgpr66_vgpr67
                                        ; implicit-def: $vgpr68_vgpr69
                                        ; implicit-def: $vgpr70_vgpr71
                                        ; implicit-def: $vgpr72_vgpr73
                                        ; implicit-def: $vgpr74_vgpr75
                                        ; implicit-def: $vgpr76_vgpr77
                                        ; implicit-def: $vgpr78_vgpr79
                                        ; implicit-def: $vgpr80_vgpr81
                                        ; implicit-def: $vgpr82_vgpr83
                                        ; implicit-def: $vgpr84_vgpr85
	s_cbranch_scc1 .LBB1113_18
; %bb.17:                               ;   in Loop: Header=BB1113_16 Depth=2
	v_lshl_add_u64 v[84:85], s[34:35], 3, v[6:7]
	s_mov_b32 s8, 0
	s_clause 0xf
	global_load_b64 v[54:55], v[84:85], off
	global_load_b64 v[56:57], v[84:85], off offset:2048
	global_load_b64 v[58:59], v[84:85], off offset:4096
	global_load_b64 v[60:61], v[84:85], off offset:6144
	global_load_b64 v[62:63], v[84:85], off offset:8192
	global_load_b64 v[64:65], v[84:85], off offset:10240
	global_load_b64 v[66:67], v[84:85], off offset:12288
	global_load_b64 v[68:69], v[84:85], off offset:14336
	global_load_b64 v[70:71], v[84:85], off offset:16384
	global_load_b64 v[72:73], v[84:85], off offset:18432
	global_load_b64 v[74:75], v[84:85], off offset:20480
	global_load_b64 v[76:77], v[84:85], off offset:22528
	global_load_b64 v[78:79], v[84:85], off offset:24576
	global_load_b64 v[80:81], v[84:85], off offset:26624
	global_load_b64 v[82:83], v[84:85], off offset:28672
	global_load_b64 v[84:85], v[84:85], off offset:30720
.LBB1113_18:                            ;   in Loop: Header=BB1113_16 Depth=2
	s_and_not1_b32 vcc_lo, exec_lo, s8
	s_movk_i32 s8, 0x1000
	s_cbranch_vccnz .LBB1113_37
; %bb.19:                               ;   in Loop: Header=BB1113_16 Depth=2
	s_lshl_b64 s[8:9], s[34:35], 3
	s_mov_b32 s11, exec_lo
	s_add_nc_u64 s[8:9], s[40:41], s[8:9]
	s_wait_xcnt 0x0
	v_cmpx_gt_u32_e64 s7, v2
	s_cbranch_execnz .LBB1113_69
; %bb.20:                               ;   in Loop: Header=BB1113_16 Depth=2
	s_or_b32 exec_lo, exec_lo, s11
	s_delay_alu instid0(SALU_CYCLE_1)
	s_mov_b32 s11, exec_lo
	v_cmpx_gt_u32_e64 s7, v98
	s_cbranch_execnz .LBB1113_70
.LBB1113_21:                            ;   in Loop: Header=BB1113_16 Depth=2
	s_or_b32 exec_lo, exec_lo, s11
	s_delay_alu instid0(SALU_CYCLE_1)
	s_mov_b32 s11, exec_lo
	v_cmpx_gt_u32_e64 s7, v99
	s_cbranch_execnz .LBB1113_71
.LBB1113_22:                            ;   in Loop: Header=BB1113_16 Depth=2
	s_or_b32 exec_lo, exec_lo, s11
	s_delay_alu instid0(SALU_CYCLE_1)
	s_mov_b32 s11, exec_lo
	v_cmpx_gt_u32_e64 s7, v100
	s_cbranch_execnz .LBB1113_72
.LBB1113_23:                            ;   in Loop: Header=BB1113_16 Depth=2
	s_or_b32 exec_lo, exec_lo, s11
	s_delay_alu instid0(SALU_CYCLE_1)
	s_mov_b32 s11, exec_lo
	v_cmpx_gt_u32_e64 s7, v101
	s_cbranch_execnz .LBB1113_73
.LBB1113_24:                            ;   in Loop: Header=BB1113_16 Depth=2
	s_or_b32 exec_lo, exec_lo, s11
	s_delay_alu instid0(SALU_CYCLE_1)
	s_mov_b32 s11, exec_lo
	v_cmpx_gt_u32_e64 s7, v102
	s_cbranch_execnz .LBB1113_74
.LBB1113_25:                            ;   in Loop: Header=BB1113_16 Depth=2
	s_or_b32 exec_lo, exec_lo, s11
	s_delay_alu instid0(SALU_CYCLE_1)
	s_mov_b32 s11, exec_lo
	v_cmpx_gt_u32_e64 s7, v103
	s_cbranch_execnz .LBB1113_75
.LBB1113_26:                            ;   in Loop: Header=BB1113_16 Depth=2
	s_or_b32 exec_lo, exec_lo, s11
	s_delay_alu instid0(SALU_CYCLE_1)
	s_mov_b32 s11, exec_lo
	v_cmpx_gt_u32_e64 s7, v104
	s_cbranch_execnz .LBB1113_76
.LBB1113_27:                            ;   in Loop: Header=BB1113_16 Depth=2
	s_or_b32 exec_lo, exec_lo, s11
	s_delay_alu instid0(SALU_CYCLE_1)
	s_mov_b32 s11, exec_lo
	v_cmpx_gt_u32_e64 s7, v105
	s_cbranch_execnz .LBB1113_77
.LBB1113_28:                            ;   in Loop: Header=BB1113_16 Depth=2
	s_or_b32 exec_lo, exec_lo, s11
	s_delay_alu instid0(SALU_CYCLE_1)
	s_mov_b32 s11, exec_lo
	v_cmpx_gt_u32_e64 s7, v106
	s_cbranch_execnz .LBB1113_78
.LBB1113_29:                            ;   in Loop: Header=BB1113_16 Depth=2
	s_or_b32 exec_lo, exec_lo, s11
	s_delay_alu instid0(SALU_CYCLE_1)
	s_mov_b32 s11, exec_lo
	v_cmpx_gt_u32_e64 s7, v107
	s_cbranch_execnz .LBB1113_79
.LBB1113_30:                            ;   in Loop: Header=BB1113_16 Depth=2
	s_or_b32 exec_lo, exec_lo, s11
	s_delay_alu instid0(SALU_CYCLE_1)
	s_mov_b32 s11, exec_lo
	v_cmpx_gt_u32_e64 s7, v108
	s_cbranch_execnz .LBB1113_80
.LBB1113_31:                            ;   in Loop: Header=BB1113_16 Depth=2
	s_or_b32 exec_lo, exec_lo, s11
	s_delay_alu instid0(SALU_CYCLE_1)
	s_mov_b32 s11, exec_lo
	v_cmpx_gt_u32_e64 s7, v109
	s_cbranch_execnz .LBB1113_81
.LBB1113_32:                            ;   in Loop: Header=BB1113_16 Depth=2
	s_or_b32 exec_lo, exec_lo, s11
	s_delay_alu instid0(SALU_CYCLE_1)
	s_mov_b32 s11, exec_lo
	v_cmpx_gt_u32_e64 s7, v110
	s_cbranch_execnz .LBB1113_82
.LBB1113_33:                            ;   in Loop: Header=BB1113_16 Depth=2
	s_or_b32 exec_lo, exec_lo, s11
	s_delay_alu instid0(SALU_CYCLE_1)
	s_mov_b32 s11, exec_lo
	v_cmpx_gt_u32_e64 s7, v111
	s_cbranch_execnz .LBB1113_83
.LBB1113_34:                            ;   in Loop: Header=BB1113_16 Depth=2
	s_or_b32 exec_lo, exec_lo, s11
	s_delay_alu instid0(SALU_CYCLE_1)
	s_mov_b32 s11, exec_lo
	v_cmpx_gt_u32_e64 s7, v112
	s_cbranch_execz .LBB1113_36
.LBB1113_35:                            ;   in Loop: Header=BB1113_16 Depth=2
	global_load_b64 v[22:23], v2, s[8:9] offset:30720 scale_offset
.LBB1113_36:                            ;   in Loop: Header=BB1113_16 Depth=2
	s_wait_xcnt 0x0
	s_or_b32 exec_lo, exec_lo, s11
	s_wait_loadcnt 0x0
	v_mov_b64_e32 v[54:55], v[52:53]
	v_mov_b64_e32 v[56:57], v[50:51]
	;; [unrolled: 1-line block ×16, first 2 shown]
	s_mov_b32 s8, s7
.LBB1113_37:                            ;   in Loop: Header=BB1113_16 Depth=2
	s_wait_loadcnt 0x0
	s_delay_alu instid0(VALU_DEP_1) | instskip(NEXT) | instid1(VALU_DEP_3)
	v_mov_b64_e32 v[22:23], v[84:85]
	v_mov_b64_e32 v[24:25], v[82:83]
	;; [unrolled: 1-line block ×16, first 2 shown]
	s_mov_b32 s9, exec_lo
	s_wait_xcnt 0x0
	v_cmpx_gt_u32_e64 s8, v2
	s_cbranch_execnz .LBB1113_53
; %bb.38:                               ;   in Loop: Header=BB1113_16 Depth=2
	s_or_b32 exec_lo, exec_lo, s9
	s_delay_alu instid0(SALU_CYCLE_1)
	s_mov_b32 s9, exec_lo
	v_cmpx_gt_u32_e64 s8, v98
	s_cbranch_execnz .LBB1113_54
.LBB1113_39:                            ;   in Loop: Header=BB1113_16 Depth=2
	s_or_b32 exec_lo, exec_lo, s9
	s_delay_alu instid0(SALU_CYCLE_1)
	s_mov_b32 s9, exec_lo
	v_cmpx_gt_u32_e64 s8, v99
	s_cbranch_execnz .LBB1113_55
.LBB1113_40:                            ;   in Loop: Header=BB1113_16 Depth=2
	s_or_b32 exec_lo, exec_lo, s9
	s_delay_alu instid0(SALU_CYCLE_1)
	s_mov_b32 s9, exec_lo
	v_cmpx_gt_u32_e64 s8, v100
	s_cbranch_execnz .LBB1113_56
.LBB1113_41:                            ;   in Loop: Header=BB1113_16 Depth=2
	s_or_b32 exec_lo, exec_lo, s9
	s_delay_alu instid0(SALU_CYCLE_1)
	s_mov_b32 s9, exec_lo
	v_cmpx_gt_u32_e64 s8, v101
	s_cbranch_execnz .LBB1113_57
.LBB1113_42:                            ;   in Loop: Header=BB1113_16 Depth=2
	s_or_b32 exec_lo, exec_lo, s9
	s_delay_alu instid0(SALU_CYCLE_1)
	s_mov_b32 s9, exec_lo
	v_cmpx_gt_u32_e64 s8, v102
	s_cbranch_execnz .LBB1113_58
.LBB1113_43:                            ;   in Loop: Header=BB1113_16 Depth=2
	s_or_b32 exec_lo, exec_lo, s9
	s_delay_alu instid0(SALU_CYCLE_1)
	s_mov_b32 s9, exec_lo
	v_cmpx_gt_u32_e64 s8, v103
	s_cbranch_execnz .LBB1113_59
.LBB1113_44:                            ;   in Loop: Header=BB1113_16 Depth=2
	s_or_b32 exec_lo, exec_lo, s9
	s_delay_alu instid0(SALU_CYCLE_1)
	s_mov_b32 s9, exec_lo
	v_cmpx_gt_u32_e64 s8, v104
	s_cbranch_execnz .LBB1113_60
.LBB1113_45:                            ;   in Loop: Header=BB1113_16 Depth=2
	s_or_b32 exec_lo, exec_lo, s9
	s_delay_alu instid0(SALU_CYCLE_1)
	s_mov_b32 s9, exec_lo
	v_cmpx_gt_u32_e64 s8, v105
	s_cbranch_execnz .LBB1113_61
.LBB1113_46:                            ;   in Loop: Header=BB1113_16 Depth=2
	s_or_b32 exec_lo, exec_lo, s9
	s_delay_alu instid0(SALU_CYCLE_1)
	s_mov_b32 s9, exec_lo
	v_cmpx_gt_u32_e64 s8, v106
	s_cbranch_execnz .LBB1113_62
.LBB1113_47:                            ;   in Loop: Header=BB1113_16 Depth=2
	s_or_b32 exec_lo, exec_lo, s9
	s_delay_alu instid0(SALU_CYCLE_1)
	s_mov_b32 s9, exec_lo
	v_cmpx_gt_u32_e64 s8, v107
	s_cbranch_execnz .LBB1113_63
.LBB1113_48:                            ;   in Loop: Header=BB1113_16 Depth=2
	s_or_b32 exec_lo, exec_lo, s9
	s_delay_alu instid0(SALU_CYCLE_1)
	s_mov_b32 s9, exec_lo
	v_cmpx_gt_u32_e64 s8, v108
	s_cbranch_execnz .LBB1113_64
.LBB1113_49:                            ;   in Loop: Header=BB1113_16 Depth=2
	s_or_b32 exec_lo, exec_lo, s9
	s_delay_alu instid0(SALU_CYCLE_1)
	s_mov_b32 s9, exec_lo
	v_cmpx_gt_u32_e64 s8, v109
	s_cbranch_execnz .LBB1113_65
.LBB1113_50:                            ;   in Loop: Header=BB1113_16 Depth=2
	s_or_b32 exec_lo, exec_lo, s9
	s_delay_alu instid0(SALU_CYCLE_1)
	s_mov_b32 s9, exec_lo
	v_cmpx_gt_u32_e64 s8, v110
	s_cbranch_execnz .LBB1113_66
.LBB1113_51:                            ;   in Loop: Header=BB1113_16 Depth=2
	s_or_b32 exec_lo, exec_lo, s9
	s_delay_alu instid0(SALU_CYCLE_1)
	s_mov_b32 s9, exec_lo
	v_cmpx_gt_u32_e64 s8, v111
	s_cbranch_execnz .LBB1113_67
.LBB1113_52:                            ;   in Loop: Header=BB1113_16 Depth=2
	s_or_b32 exec_lo, exec_lo, s9
	v_cmp_gt_u32_e32 vcc_lo, s8, v112
	s_and_saveexec_b32 s8, vcc_lo
	s_cbranch_execz .LBB1113_15
	s_branch .LBB1113_68
.LBB1113_53:                            ;   in Loop: Header=BB1113_16 Depth=2
	s_delay_alu instid0(VALU_DEP_2) | instskip(SKIP_1) | instid1(VALU_DEP_1)
	v_cmp_gt_i64_e32 vcc_lo, 0, v[52:53]
	v_cndmask_b32_e64 v55, 0x7fffffff, 0, vcc_lo
	v_dual_ashrrev_i32 v54, 31, v53 :: v_dual_bitop2_b32 v55, v55, v53 bitop3:0x14
	s_delay_alu instid0(VALU_DEP_1) | instskip(NEXT) | instid1(VALU_DEP_1)
	v_not_b32_e32 v54, v54
	v_xor_b32_e32 v54, v54, v52
	s_delay_alu instid0(VALU_DEP_1) | instskip(SKIP_2) | instid1(VALU_DEP_1)
	v_cmp_ne_u64_e32 vcc_lo, s[42:43], v[54:55]
	v_cndmask_b32_e32 v55, 0x7fffffff, v55, vcc_lo
	v_cndmask_b32_e32 v54, -1, v54, vcc_lo
	v_lshrrev_b64 v[54:55], s54, v[54:55]
	s_delay_alu instid0(VALU_DEP_1) | instskip(NEXT) | instid1(VALU_DEP_1)
	v_and_b32_e32 v54, s59, v54
	v_lshl_or_b32 v54, v54, 4, v113
	ds_add_u32 v54, v125
	s_or_b32 exec_lo, exec_lo, s9
	s_delay_alu instid0(SALU_CYCLE_1)
	s_mov_b32 s9, exec_lo
	v_cmpx_gt_u32_e64 s8, v98
	s_cbranch_execz .LBB1113_39
.LBB1113_54:                            ;   in Loop: Header=BB1113_16 Depth=2
	v_cmp_gt_i64_e32 vcc_lo, 0, v[50:51]
	v_cndmask_b32_e64 v55, 0x7fffffff, 0, vcc_lo
	s_delay_alu instid0(VALU_DEP_1) | instskip(NEXT) | instid1(VALU_DEP_1)
	v_dual_ashrrev_i32 v54, 31, v51 :: v_dual_bitop2_b32 v55, v55, v51 bitop3:0x14
	v_not_b32_e32 v54, v54
	s_delay_alu instid0(VALU_DEP_1) | instskip(NEXT) | instid1(VALU_DEP_1)
	v_xor_b32_e32 v54, v54, v50
	v_cmp_ne_u64_e32 vcc_lo, s[42:43], v[54:55]
	v_cndmask_b32_e32 v55, 0x7fffffff, v55, vcc_lo
	v_cndmask_b32_e32 v54, -1, v54, vcc_lo
	s_delay_alu instid0(VALU_DEP_1) | instskip(NEXT) | instid1(VALU_DEP_1)
	v_lshrrev_b64 v[54:55], s54, v[54:55]
	v_and_b32_e32 v54, s59, v54
	s_delay_alu instid0(VALU_DEP_1) | instskip(SKIP_2) | instid1(SALU_CYCLE_1)
	v_lshl_or_b32 v54, v54, 4, v113
	ds_add_u32 v54, v125
	s_or_b32 exec_lo, exec_lo, s9
	s_mov_b32 s9, exec_lo
	v_cmpx_gt_u32_e64 s8, v99
	s_cbranch_execz .LBB1113_40
.LBB1113_55:                            ;   in Loop: Header=BB1113_16 Depth=2
	v_cmp_gt_i64_e32 vcc_lo, 0, v[48:49]
	v_cndmask_b32_e64 v55, 0x7fffffff, 0, vcc_lo
	s_delay_alu instid0(VALU_DEP_1) | instskip(NEXT) | instid1(VALU_DEP_1)
	v_dual_ashrrev_i32 v54, 31, v49 :: v_dual_bitop2_b32 v55, v55, v49 bitop3:0x14
	v_not_b32_e32 v54, v54
	s_delay_alu instid0(VALU_DEP_1) | instskip(NEXT) | instid1(VALU_DEP_1)
	v_xor_b32_e32 v54, v54, v48
	v_cmp_ne_u64_e32 vcc_lo, s[42:43], v[54:55]
	v_cndmask_b32_e32 v55, 0x7fffffff, v55, vcc_lo
	v_cndmask_b32_e32 v54, -1, v54, vcc_lo
	s_delay_alu instid0(VALU_DEP_1) | instskip(NEXT) | instid1(VALU_DEP_1)
	v_lshrrev_b64 v[54:55], s54, v[54:55]
	v_and_b32_e32 v54, s59, v54
	s_delay_alu instid0(VALU_DEP_1) | instskip(SKIP_2) | instid1(SALU_CYCLE_1)
	v_lshl_or_b32 v54, v54, 4, v113
	ds_add_u32 v54, v125
	s_or_b32 exec_lo, exec_lo, s9
	s_mov_b32 s9, exec_lo
	v_cmpx_gt_u32_e64 s8, v100
	s_cbranch_execz .LBB1113_41
.LBB1113_56:                            ;   in Loop: Header=BB1113_16 Depth=2
	v_cmp_gt_i64_e32 vcc_lo, 0, v[46:47]
	v_cndmask_b32_e64 v55, 0x7fffffff, 0, vcc_lo
	s_delay_alu instid0(VALU_DEP_1) | instskip(NEXT) | instid1(VALU_DEP_1)
	v_dual_ashrrev_i32 v54, 31, v47 :: v_dual_bitop2_b32 v55, v55, v47 bitop3:0x14
	v_not_b32_e32 v54, v54
	s_delay_alu instid0(VALU_DEP_1) | instskip(NEXT) | instid1(VALU_DEP_1)
	v_xor_b32_e32 v54, v54, v46
	v_cmp_ne_u64_e32 vcc_lo, s[42:43], v[54:55]
	v_cndmask_b32_e32 v55, 0x7fffffff, v55, vcc_lo
	v_cndmask_b32_e32 v54, -1, v54, vcc_lo
	s_delay_alu instid0(VALU_DEP_1) | instskip(NEXT) | instid1(VALU_DEP_1)
	v_lshrrev_b64 v[54:55], s54, v[54:55]
	v_and_b32_e32 v54, s59, v54
	s_delay_alu instid0(VALU_DEP_1) | instskip(SKIP_2) | instid1(SALU_CYCLE_1)
	v_lshl_or_b32 v54, v54, 4, v113
	ds_add_u32 v54, v125
	s_or_b32 exec_lo, exec_lo, s9
	s_mov_b32 s9, exec_lo
	v_cmpx_gt_u32_e64 s8, v101
	s_cbranch_execz .LBB1113_42
.LBB1113_57:                            ;   in Loop: Header=BB1113_16 Depth=2
	v_cmp_gt_i64_e32 vcc_lo, 0, v[44:45]
	v_cndmask_b32_e64 v55, 0x7fffffff, 0, vcc_lo
	s_delay_alu instid0(VALU_DEP_1) | instskip(NEXT) | instid1(VALU_DEP_1)
	v_dual_ashrrev_i32 v54, 31, v45 :: v_dual_bitop2_b32 v55, v55, v45 bitop3:0x14
	v_not_b32_e32 v54, v54
	s_delay_alu instid0(VALU_DEP_1) | instskip(NEXT) | instid1(VALU_DEP_1)
	v_xor_b32_e32 v54, v54, v44
	v_cmp_ne_u64_e32 vcc_lo, s[42:43], v[54:55]
	v_cndmask_b32_e32 v55, 0x7fffffff, v55, vcc_lo
	v_cndmask_b32_e32 v54, -1, v54, vcc_lo
	s_delay_alu instid0(VALU_DEP_1) | instskip(NEXT) | instid1(VALU_DEP_1)
	v_lshrrev_b64 v[54:55], s54, v[54:55]
	v_and_b32_e32 v54, s59, v54
	s_delay_alu instid0(VALU_DEP_1) | instskip(SKIP_2) | instid1(SALU_CYCLE_1)
	v_lshl_or_b32 v54, v54, 4, v113
	ds_add_u32 v54, v125
	s_or_b32 exec_lo, exec_lo, s9
	s_mov_b32 s9, exec_lo
	v_cmpx_gt_u32_e64 s8, v102
	s_cbranch_execz .LBB1113_43
.LBB1113_58:                            ;   in Loop: Header=BB1113_16 Depth=2
	v_cmp_gt_i64_e32 vcc_lo, 0, v[42:43]
	v_cndmask_b32_e64 v55, 0x7fffffff, 0, vcc_lo
	s_delay_alu instid0(VALU_DEP_1) | instskip(NEXT) | instid1(VALU_DEP_1)
	v_dual_ashrrev_i32 v54, 31, v43 :: v_dual_bitop2_b32 v55, v55, v43 bitop3:0x14
	v_not_b32_e32 v54, v54
	s_delay_alu instid0(VALU_DEP_1) | instskip(NEXT) | instid1(VALU_DEP_1)
	v_xor_b32_e32 v54, v54, v42
	v_cmp_ne_u64_e32 vcc_lo, s[42:43], v[54:55]
	v_cndmask_b32_e32 v55, 0x7fffffff, v55, vcc_lo
	v_cndmask_b32_e32 v54, -1, v54, vcc_lo
	s_delay_alu instid0(VALU_DEP_1) | instskip(NEXT) | instid1(VALU_DEP_1)
	v_lshrrev_b64 v[54:55], s54, v[54:55]
	v_and_b32_e32 v54, s59, v54
	s_delay_alu instid0(VALU_DEP_1) | instskip(SKIP_2) | instid1(SALU_CYCLE_1)
	v_lshl_or_b32 v54, v54, 4, v113
	ds_add_u32 v54, v125
	s_or_b32 exec_lo, exec_lo, s9
	s_mov_b32 s9, exec_lo
	v_cmpx_gt_u32_e64 s8, v103
	s_cbranch_execz .LBB1113_44
.LBB1113_59:                            ;   in Loop: Header=BB1113_16 Depth=2
	v_cmp_gt_i64_e32 vcc_lo, 0, v[40:41]
	v_cndmask_b32_e64 v55, 0x7fffffff, 0, vcc_lo
	s_delay_alu instid0(VALU_DEP_1) | instskip(NEXT) | instid1(VALU_DEP_1)
	v_dual_ashrrev_i32 v54, 31, v41 :: v_dual_bitop2_b32 v55, v55, v41 bitop3:0x14
	v_not_b32_e32 v54, v54
	s_delay_alu instid0(VALU_DEP_1) | instskip(NEXT) | instid1(VALU_DEP_1)
	v_xor_b32_e32 v54, v54, v40
	v_cmp_ne_u64_e32 vcc_lo, s[42:43], v[54:55]
	v_cndmask_b32_e32 v55, 0x7fffffff, v55, vcc_lo
	v_cndmask_b32_e32 v54, -1, v54, vcc_lo
	s_delay_alu instid0(VALU_DEP_1) | instskip(NEXT) | instid1(VALU_DEP_1)
	v_lshrrev_b64 v[54:55], s54, v[54:55]
	v_and_b32_e32 v54, s59, v54
	s_delay_alu instid0(VALU_DEP_1) | instskip(SKIP_2) | instid1(SALU_CYCLE_1)
	v_lshl_or_b32 v54, v54, 4, v113
	ds_add_u32 v54, v125
	s_or_b32 exec_lo, exec_lo, s9
	s_mov_b32 s9, exec_lo
	v_cmpx_gt_u32_e64 s8, v104
	s_cbranch_execz .LBB1113_45
.LBB1113_60:                            ;   in Loop: Header=BB1113_16 Depth=2
	v_cmp_gt_i64_e32 vcc_lo, 0, v[38:39]
	v_cndmask_b32_e64 v55, 0x7fffffff, 0, vcc_lo
	s_delay_alu instid0(VALU_DEP_1) | instskip(NEXT) | instid1(VALU_DEP_1)
	v_dual_ashrrev_i32 v54, 31, v39 :: v_dual_bitop2_b32 v55, v55, v39 bitop3:0x14
	v_not_b32_e32 v54, v54
	s_delay_alu instid0(VALU_DEP_1) | instskip(NEXT) | instid1(VALU_DEP_1)
	v_xor_b32_e32 v54, v54, v38
	v_cmp_ne_u64_e32 vcc_lo, s[42:43], v[54:55]
	v_cndmask_b32_e32 v55, 0x7fffffff, v55, vcc_lo
	v_cndmask_b32_e32 v54, -1, v54, vcc_lo
	s_delay_alu instid0(VALU_DEP_1) | instskip(NEXT) | instid1(VALU_DEP_1)
	v_lshrrev_b64 v[54:55], s54, v[54:55]
	v_and_b32_e32 v54, s59, v54
	s_delay_alu instid0(VALU_DEP_1) | instskip(SKIP_2) | instid1(SALU_CYCLE_1)
	v_lshl_or_b32 v54, v54, 4, v113
	ds_add_u32 v54, v125
	s_or_b32 exec_lo, exec_lo, s9
	s_mov_b32 s9, exec_lo
	v_cmpx_gt_u32_e64 s8, v105
	s_cbranch_execz .LBB1113_46
.LBB1113_61:                            ;   in Loop: Header=BB1113_16 Depth=2
	v_cmp_gt_i64_e32 vcc_lo, 0, v[36:37]
	v_cndmask_b32_e64 v55, 0x7fffffff, 0, vcc_lo
	s_delay_alu instid0(VALU_DEP_1) | instskip(NEXT) | instid1(VALU_DEP_1)
	v_dual_ashrrev_i32 v54, 31, v37 :: v_dual_bitop2_b32 v55, v55, v37 bitop3:0x14
	v_not_b32_e32 v54, v54
	s_delay_alu instid0(VALU_DEP_1) | instskip(NEXT) | instid1(VALU_DEP_1)
	v_xor_b32_e32 v54, v54, v36
	v_cmp_ne_u64_e32 vcc_lo, s[42:43], v[54:55]
	v_cndmask_b32_e32 v55, 0x7fffffff, v55, vcc_lo
	v_cndmask_b32_e32 v54, -1, v54, vcc_lo
	s_delay_alu instid0(VALU_DEP_1) | instskip(NEXT) | instid1(VALU_DEP_1)
	v_lshrrev_b64 v[54:55], s54, v[54:55]
	v_and_b32_e32 v54, s59, v54
	s_delay_alu instid0(VALU_DEP_1) | instskip(SKIP_2) | instid1(SALU_CYCLE_1)
	v_lshl_or_b32 v54, v54, 4, v113
	ds_add_u32 v54, v125
	s_or_b32 exec_lo, exec_lo, s9
	s_mov_b32 s9, exec_lo
	v_cmpx_gt_u32_e64 s8, v106
	s_cbranch_execz .LBB1113_47
.LBB1113_62:                            ;   in Loop: Header=BB1113_16 Depth=2
	v_cmp_gt_i64_e32 vcc_lo, 0, v[34:35]
	v_cndmask_b32_e64 v55, 0x7fffffff, 0, vcc_lo
	s_delay_alu instid0(VALU_DEP_1) | instskip(NEXT) | instid1(VALU_DEP_1)
	v_dual_ashrrev_i32 v54, 31, v35 :: v_dual_bitop2_b32 v55, v55, v35 bitop3:0x14
	v_not_b32_e32 v54, v54
	s_delay_alu instid0(VALU_DEP_1) | instskip(NEXT) | instid1(VALU_DEP_1)
	v_xor_b32_e32 v54, v54, v34
	v_cmp_ne_u64_e32 vcc_lo, s[42:43], v[54:55]
	v_cndmask_b32_e32 v55, 0x7fffffff, v55, vcc_lo
	v_cndmask_b32_e32 v54, -1, v54, vcc_lo
	s_delay_alu instid0(VALU_DEP_1) | instskip(NEXT) | instid1(VALU_DEP_1)
	v_lshrrev_b64 v[54:55], s54, v[54:55]
	v_and_b32_e32 v54, s59, v54
	s_delay_alu instid0(VALU_DEP_1) | instskip(SKIP_2) | instid1(SALU_CYCLE_1)
	v_lshl_or_b32 v54, v54, 4, v113
	ds_add_u32 v54, v125
	s_or_b32 exec_lo, exec_lo, s9
	s_mov_b32 s9, exec_lo
	v_cmpx_gt_u32_e64 s8, v107
	s_cbranch_execz .LBB1113_48
.LBB1113_63:                            ;   in Loop: Header=BB1113_16 Depth=2
	v_cmp_gt_i64_e32 vcc_lo, 0, v[32:33]
	v_cndmask_b32_e64 v55, 0x7fffffff, 0, vcc_lo
	s_delay_alu instid0(VALU_DEP_1) | instskip(NEXT) | instid1(VALU_DEP_1)
	v_dual_ashrrev_i32 v54, 31, v33 :: v_dual_bitop2_b32 v55, v55, v33 bitop3:0x14
	v_not_b32_e32 v54, v54
	s_delay_alu instid0(VALU_DEP_1) | instskip(NEXT) | instid1(VALU_DEP_1)
	v_xor_b32_e32 v54, v54, v32
	v_cmp_ne_u64_e32 vcc_lo, s[42:43], v[54:55]
	v_cndmask_b32_e32 v55, 0x7fffffff, v55, vcc_lo
	v_cndmask_b32_e32 v54, -1, v54, vcc_lo
	s_delay_alu instid0(VALU_DEP_1) | instskip(NEXT) | instid1(VALU_DEP_1)
	v_lshrrev_b64 v[54:55], s54, v[54:55]
	v_and_b32_e32 v54, s59, v54
	s_delay_alu instid0(VALU_DEP_1) | instskip(SKIP_2) | instid1(SALU_CYCLE_1)
	v_lshl_or_b32 v54, v54, 4, v113
	ds_add_u32 v54, v125
	s_or_b32 exec_lo, exec_lo, s9
	s_mov_b32 s9, exec_lo
	v_cmpx_gt_u32_e64 s8, v108
	s_cbranch_execz .LBB1113_49
.LBB1113_64:                            ;   in Loop: Header=BB1113_16 Depth=2
	v_cmp_gt_i64_e32 vcc_lo, 0, v[30:31]
	v_cndmask_b32_e64 v55, 0x7fffffff, 0, vcc_lo
	s_delay_alu instid0(VALU_DEP_1) | instskip(NEXT) | instid1(VALU_DEP_1)
	v_dual_ashrrev_i32 v54, 31, v31 :: v_dual_bitop2_b32 v55, v55, v31 bitop3:0x14
	v_not_b32_e32 v54, v54
	s_delay_alu instid0(VALU_DEP_1) | instskip(NEXT) | instid1(VALU_DEP_1)
	v_xor_b32_e32 v54, v54, v30
	v_cmp_ne_u64_e32 vcc_lo, s[42:43], v[54:55]
	v_cndmask_b32_e32 v55, 0x7fffffff, v55, vcc_lo
	v_cndmask_b32_e32 v54, -1, v54, vcc_lo
	s_delay_alu instid0(VALU_DEP_1) | instskip(NEXT) | instid1(VALU_DEP_1)
	v_lshrrev_b64 v[54:55], s54, v[54:55]
	v_and_b32_e32 v54, s59, v54
	s_delay_alu instid0(VALU_DEP_1) | instskip(SKIP_2) | instid1(SALU_CYCLE_1)
	v_lshl_or_b32 v54, v54, 4, v113
	ds_add_u32 v54, v125
	s_or_b32 exec_lo, exec_lo, s9
	s_mov_b32 s9, exec_lo
	v_cmpx_gt_u32_e64 s8, v109
	s_cbranch_execz .LBB1113_50
.LBB1113_65:                            ;   in Loop: Header=BB1113_16 Depth=2
	v_cmp_gt_i64_e32 vcc_lo, 0, v[28:29]
	v_cndmask_b32_e64 v55, 0x7fffffff, 0, vcc_lo
	s_delay_alu instid0(VALU_DEP_1) | instskip(NEXT) | instid1(VALU_DEP_1)
	v_dual_ashrrev_i32 v54, 31, v29 :: v_dual_bitop2_b32 v55, v55, v29 bitop3:0x14
	v_not_b32_e32 v54, v54
	s_delay_alu instid0(VALU_DEP_1) | instskip(NEXT) | instid1(VALU_DEP_1)
	v_xor_b32_e32 v54, v54, v28
	v_cmp_ne_u64_e32 vcc_lo, s[42:43], v[54:55]
	v_cndmask_b32_e32 v55, 0x7fffffff, v55, vcc_lo
	v_cndmask_b32_e32 v54, -1, v54, vcc_lo
	s_delay_alu instid0(VALU_DEP_1) | instskip(NEXT) | instid1(VALU_DEP_1)
	v_lshrrev_b64 v[54:55], s54, v[54:55]
	v_and_b32_e32 v54, s59, v54
	s_delay_alu instid0(VALU_DEP_1) | instskip(SKIP_2) | instid1(SALU_CYCLE_1)
	v_lshl_or_b32 v54, v54, 4, v113
	ds_add_u32 v54, v125
	s_or_b32 exec_lo, exec_lo, s9
	s_mov_b32 s9, exec_lo
	v_cmpx_gt_u32_e64 s8, v110
	s_cbranch_execz .LBB1113_51
.LBB1113_66:                            ;   in Loop: Header=BB1113_16 Depth=2
	v_cmp_gt_i64_e32 vcc_lo, 0, v[26:27]
	v_cndmask_b32_e64 v55, 0x7fffffff, 0, vcc_lo
	s_delay_alu instid0(VALU_DEP_1) | instskip(NEXT) | instid1(VALU_DEP_1)
	v_dual_ashrrev_i32 v54, 31, v27 :: v_dual_bitop2_b32 v55, v55, v27 bitop3:0x14
	v_not_b32_e32 v54, v54
	s_delay_alu instid0(VALU_DEP_1) | instskip(NEXT) | instid1(VALU_DEP_1)
	v_xor_b32_e32 v54, v54, v26
	v_cmp_ne_u64_e32 vcc_lo, s[42:43], v[54:55]
	v_cndmask_b32_e32 v55, 0x7fffffff, v55, vcc_lo
	v_cndmask_b32_e32 v54, -1, v54, vcc_lo
	s_delay_alu instid0(VALU_DEP_1) | instskip(NEXT) | instid1(VALU_DEP_1)
	v_lshrrev_b64 v[54:55], s54, v[54:55]
	v_and_b32_e32 v54, s59, v54
	s_delay_alu instid0(VALU_DEP_1) | instskip(SKIP_2) | instid1(SALU_CYCLE_1)
	v_lshl_or_b32 v54, v54, 4, v113
	ds_add_u32 v54, v125
	s_or_b32 exec_lo, exec_lo, s9
	s_mov_b32 s9, exec_lo
	v_cmpx_gt_u32_e64 s8, v111
	s_cbranch_execz .LBB1113_52
.LBB1113_67:                            ;   in Loop: Header=BB1113_16 Depth=2
	v_cmp_gt_i64_e32 vcc_lo, 0, v[24:25]
	v_cndmask_b32_e64 v55, 0x7fffffff, 0, vcc_lo
	s_delay_alu instid0(VALU_DEP_1) | instskip(NEXT) | instid1(VALU_DEP_1)
	v_dual_ashrrev_i32 v54, 31, v25 :: v_dual_bitop2_b32 v55, v55, v25 bitop3:0x14
	v_not_b32_e32 v54, v54
	s_delay_alu instid0(VALU_DEP_1) | instskip(NEXT) | instid1(VALU_DEP_1)
	v_xor_b32_e32 v54, v54, v24
	v_cmp_ne_u64_e32 vcc_lo, s[42:43], v[54:55]
	v_cndmask_b32_e32 v55, 0x7fffffff, v55, vcc_lo
	v_cndmask_b32_e32 v54, -1, v54, vcc_lo
	s_delay_alu instid0(VALU_DEP_1) | instskip(NEXT) | instid1(VALU_DEP_1)
	v_lshrrev_b64 v[54:55], s54, v[54:55]
	v_and_b32_e32 v54, s59, v54
	s_delay_alu instid0(VALU_DEP_1)
	v_lshl_or_b32 v54, v54, 4, v113
	ds_add_u32 v54, v125
	s_or_b32 exec_lo, exec_lo, s9
	v_cmp_gt_u32_e32 vcc_lo, s8, v112
	s_and_saveexec_b32 s8, vcc_lo
	s_cbranch_execz .LBB1113_15
.LBB1113_68:                            ;   in Loop: Header=BB1113_16 Depth=2
	v_cmp_gt_i64_e32 vcc_lo, 0, v[22:23]
	v_cndmask_b32_e64 v55, 0x7fffffff, 0, vcc_lo
	s_delay_alu instid0(VALU_DEP_1) | instskip(NEXT) | instid1(VALU_DEP_1)
	v_dual_ashrrev_i32 v54, 31, v23 :: v_dual_bitop2_b32 v55, v55, v23 bitop3:0x14
	v_not_b32_e32 v54, v54
	s_delay_alu instid0(VALU_DEP_1) | instskip(NEXT) | instid1(VALU_DEP_1)
	v_xor_b32_e32 v54, v54, v22
	v_cmp_ne_u64_e32 vcc_lo, s[42:43], v[54:55]
	v_cndmask_b32_e32 v55, 0x7fffffff, v55, vcc_lo
	v_cndmask_b32_e32 v54, -1, v54, vcc_lo
	s_delay_alu instid0(VALU_DEP_1) | instskip(NEXT) | instid1(VALU_DEP_1)
	v_lshrrev_b64 v[54:55], s54, v[54:55]
	v_and_b32_e32 v54, s59, v54
	s_delay_alu instid0(VALU_DEP_1)
	v_lshl_or_b32 v54, v54, 4, v113
	ds_add_u32 v54, v125
	s_branch .LBB1113_15
.LBB1113_69:                            ;   in Loop: Header=BB1113_16 Depth=2
	global_load_b64 v[52:53], v2, s[8:9] scale_offset
	s_wait_xcnt 0x0
	s_or_b32 exec_lo, exec_lo, s11
	s_delay_alu instid0(SALU_CYCLE_1)
	s_mov_b32 s11, exec_lo
	v_cmpx_gt_u32_e64 s7, v98
	s_cbranch_execz .LBB1113_21
.LBB1113_70:                            ;   in Loop: Header=BB1113_16 Depth=2
	global_load_b64 v[50:51], v2, s[8:9] offset:2048 scale_offset
	s_wait_xcnt 0x0
	s_or_b32 exec_lo, exec_lo, s11
	s_delay_alu instid0(SALU_CYCLE_1)
	s_mov_b32 s11, exec_lo
	v_cmpx_gt_u32_e64 s7, v99
	s_cbranch_execz .LBB1113_22
.LBB1113_71:                            ;   in Loop: Header=BB1113_16 Depth=2
	global_load_b64 v[48:49], v2, s[8:9] offset:4096 scale_offset
	s_wait_xcnt 0x0
	s_or_b32 exec_lo, exec_lo, s11
	s_delay_alu instid0(SALU_CYCLE_1)
	s_mov_b32 s11, exec_lo
	v_cmpx_gt_u32_e64 s7, v100
	s_cbranch_execz .LBB1113_23
.LBB1113_72:                            ;   in Loop: Header=BB1113_16 Depth=2
	global_load_b64 v[46:47], v2, s[8:9] offset:6144 scale_offset
	s_wait_xcnt 0x0
	s_or_b32 exec_lo, exec_lo, s11
	s_delay_alu instid0(SALU_CYCLE_1)
	s_mov_b32 s11, exec_lo
	v_cmpx_gt_u32_e64 s7, v101
	s_cbranch_execz .LBB1113_24
.LBB1113_73:                            ;   in Loop: Header=BB1113_16 Depth=2
	global_load_b64 v[44:45], v2, s[8:9] offset:8192 scale_offset
	s_wait_xcnt 0x0
	s_or_b32 exec_lo, exec_lo, s11
	s_delay_alu instid0(SALU_CYCLE_1)
	s_mov_b32 s11, exec_lo
	v_cmpx_gt_u32_e64 s7, v102
	s_cbranch_execz .LBB1113_25
.LBB1113_74:                            ;   in Loop: Header=BB1113_16 Depth=2
	global_load_b64 v[42:43], v2, s[8:9] offset:10240 scale_offset
	s_wait_xcnt 0x0
	s_or_b32 exec_lo, exec_lo, s11
	s_delay_alu instid0(SALU_CYCLE_1)
	s_mov_b32 s11, exec_lo
	v_cmpx_gt_u32_e64 s7, v103
	s_cbranch_execz .LBB1113_26
.LBB1113_75:                            ;   in Loop: Header=BB1113_16 Depth=2
	global_load_b64 v[40:41], v2, s[8:9] offset:12288 scale_offset
	s_wait_xcnt 0x0
	s_or_b32 exec_lo, exec_lo, s11
	s_delay_alu instid0(SALU_CYCLE_1)
	s_mov_b32 s11, exec_lo
	v_cmpx_gt_u32_e64 s7, v104
	s_cbranch_execz .LBB1113_27
.LBB1113_76:                            ;   in Loop: Header=BB1113_16 Depth=2
	global_load_b64 v[38:39], v2, s[8:9] offset:14336 scale_offset
	s_wait_xcnt 0x0
	s_or_b32 exec_lo, exec_lo, s11
	s_delay_alu instid0(SALU_CYCLE_1)
	s_mov_b32 s11, exec_lo
	v_cmpx_gt_u32_e64 s7, v105
	s_cbranch_execz .LBB1113_28
.LBB1113_77:                            ;   in Loop: Header=BB1113_16 Depth=2
	global_load_b64 v[36:37], v2, s[8:9] offset:16384 scale_offset
	s_wait_xcnt 0x0
	s_or_b32 exec_lo, exec_lo, s11
	s_delay_alu instid0(SALU_CYCLE_1)
	s_mov_b32 s11, exec_lo
	v_cmpx_gt_u32_e64 s7, v106
	s_cbranch_execz .LBB1113_29
.LBB1113_78:                            ;   in Loop: Header=BB1113_16 Depth=2
	global_load_b64 v[34:35], v2, s[8:9] offset:18432 scale_offset
	s_wait_xcnt 0x0
	s_or_b32 exec_lo, exec_lo, s11
	s_delay_alu instid0(SALU_CYCLE_1)
	s_mov_b32 s11, exec_lo
	v_cmpx_gt_u32_e64 s7, v107
	s_cbranch_execz .LBB1113_30
.LBB1113_79:                            ;   in Loop: Header=BB1113_16 Depth=2
	global_load_b64 v[32:33], v2, s[8:9] offset:20480 scale_offset
	s_wait_xcnt 0x0
	s_or_b32 exec_lo, exec_lo, s11
	s_delay_alu instid0(SALU_CYCLE_1)
	s_mov_b32 s11, exec_lo
	v_cmpx_gt_u32_e64 s7, v108
	s_cbranch_execz .LBB1113_31
.LBB1113_80:                            ;   in Loop: Header=BB1113_16 Depth=2
	global_load_b64 v[30:31], v2, s[8:9] offset:22528 scale_offset
	s_wait_xcnt 0x0
	s_or_b32 exec_lo, exec_lo, s11
	s_delay_alu instid0(SALU_CYCLE_1)
	s_mov_b32 s11, exec_lo
	v_cmpx_gt_u32_e64 s7, v109
	s_cbranch_execz .LBB1113_32
.LBB1113_81:                            ;   in Loop: Header=BB1113_16 Depth=2
	global_load_b64 v[28:29], v2, s[8:9] offset:24576 scale_offset
	s_wait_xcnt 0x0
	s_or_b32 exec_lo, exec_lo, s11
	s_delay_alu instid0(SALU_CYCLE_1)
	s_mov_b32 s11, exec_lo
	v_cmpx_gt_u32_e64 s7, v110
	s_cbranch_execz .LBB1113_33
.LBB1113_82:                            ;   in Loop: Header=BB1113_16 Depth=2
	global_load_b64 v[26:27], v2, s[8:9] offset:26624 scale_offset
	s_wait_xcnt 0x0
	s_or_b32 exec_lo, exec_lo, s11
	s_delay_alu instid0(SALU_CYCLE_1)
	s_mov_b32 s11, exec_lo
	v_cmpx_gt_u32_e64 s7, v111
	s_cbranch_execz .LBB1113_34
.LBB1113_83:                            ;   in Loop: Header=BB1113_16 Depth=2
	global_load_b64 v[24:25], v2, s[8:9] offset:28672 scale_offset
	s_wait_xcnt 0x0
	s_or_b32 exec_lo, exec_lo, s11
	s_delay_alu instid0(SALU_CYCLE_1)
	s_mov_b32 s11, exec_lo
	v_cmpx_gt_u32_e64 s7, v112
	s_cbranch_execnz .LBB1113_35
	s_branch .LBB1113_36
.LBB1113_84:                            ;   in Loop: Header=BB1113_12 Depth=1
	v_mov_b32_e32 v22, 0
	s_wait_dscnt 0x0
	s_barrier_signal -1
	s_barrier_wait -1
	s_and_saveexec_b32 s7, s0
	s_cbranch_execz .LBB1113_86
; %bb.85:                               ;   in Loop: Header=BB1113_12 Depth=1
	ds_load_2addr_b64 v[22:25], v115 offset1:1
	s_wait_dscnt 0x0
	v_add_nc_u32_e32 v22, v23, v22
	s_delay_alu instid0(VALU_DEP_1)
	v_add3_u32 v22, v22, v24, v25
.LBB1113_86:                            ;   in Loop: Header=BB1113_12 Depth=1
	s_or_b32 exec_lo, exec_lo, s7
	s_delay_alu instid0(VALU_DEP_1)
	v_mov_b32_dpp v23, v22 row_shr:1 row_mask:0xf bank_mask:0xf
	v_cmp_eq_u32_e64 s7, 0, v126
	v_cmp_lt_u32_e64 s8, 1, v126
	v_cmp_lt_u32_e64 s9, 3, v126
	;; [unrolled: 1-line block ×3, first 2 shown]
	v_cmp_eq_u32_e64 s11, 0, v128
	v_cndmask_b32_e64 v23, v23, 0, s7
	s_delay_alu instid0(VALU_DEP_1) | instskip(NEXT) | instid1(VALU_DEP_1)
	v_add_nc_u32_e32 v22, v23, v22
	v_mov_b32_dpp v23, v22 row_shr:2 row_mask:0xf bank_mask:0xf
	s_delay_alu instid0(VALU_DEP_1) | instskip(NEXT) | instid1(VALU_DEP_1)
	v_cndmask_b32_e64 v23, 0, v23, s8
	v_add_nc_u32_e32 v22, v22, v23
	s_delay_alu instid0(VALU_DEP_1) | instskip(NEXT) | instid1(VALU_DEP_1)
	v_mov_b32_dpp v23, v22 row_shr:4 row_mask:0xf bank_mask:0xf
	v_cndmask_b32_e64 v23, 0, v23, s9
	s_delay_alu instid0(VALU_DEP_1) | instskip(NEXT) | instid1(VALU_DEP_1)
	v_add_nc_u32_e32 v22, v22, v23
	v_mov_b32_dpp v23, v22 row_shr:8 row_mask:0xf bank_mask:0xf
	s_delay_alu instid0(VALU_DEP_1) | instskip(NEXT) | instid1(VALU_DEP_1)
	v_cndmask_b32_e64 v23, 0, v23, s10
	v_add_nc_u32_e32 v22, v22, v23
	ds_swizzle_b32 v23, v22 offset:swizzle(BROADCAST,32,15)
	s_wait_dscnt 0x0
	v_and_b32_e32 v23, v127, v23
	s_delay_alu instid0(VALU_DEP_1)
	v_add_nc_u32_e32 v22, v22, v23
	s_and_saveexec_b32 s12, s1
; %bb.87:                               ;   in Loop: Header=BB1113_12 Depth=1
	ds_store_b32 v116, v22
; %bb.88:                               ;   in Loop: Header=BB1113_12 Depth=1
	s_or_b32 exec_lo, exec_lo, s12
	s_wait_dscnt 0x0
	s_barrier_signal -1
	s_barrier_wait -1
	s_and_saveexec_b32 s12, s4
	s_cbranch_execz .LBB1113_90
; %bb.89:                               ;   in Loop: Header=BB1113_12 Depth=1
	ds_load_b32 v23, v117
	v_cmp_ne_u32_e32 vcc_lo, 0, v130
	s_wait_dscnt 0x0
	v_mov_b32_dpp v24, v23 row_shr:1 row_mask:0xf bank_mask:0xf
	s_delay_alu instid0(VALU_DEP_1) | instskip(SKIP_1) | instid1(VALU_DEP_2)
	v_cndmask_b32_e32 v24, 0, v24, vcc_lo
	v_cmp_lt_u32_e32 vcc_lo, 1, v130
	v_add_nc_u32_e32 v23, v24, v23
	s_delay_alu instid0(VALU_DEP_1) | instskip(NEXT) | instid1(VALU_DEP_1)
	v_mov_b32_dpp v24, v23 row_shr:2 row_mask:0xf bank_mask:0xf
	v_cndmask_b32_e32 v24, 0, v24, vcc_lo
	v_cmp_lt_u32_e32 vcc_lo, 3, v130
	s_delay_alu instid0(VALU_DEP_2) | instskip(NEXT) | instid1(VALU_DEP_1)
	v_add_nc_u32_e32 v23, v23, v24
	v_mov_b32_dpp v24, v23 row_shr:4 row_mask:0xf bank_mask:0xf
	s_delay_alu instid0(VALU_DEP_1) | instskip(NEXT) | instid1(VALU_DEP_1)
	v_cndmask_b32_e32 v24, 0, v24, vcc_lo
	v_add_nc_u32_e32 v23, v23, v24
	ds_store_b32 v117, v23
.LBB1113_90:                            ;   in Loop: Header=BB1113_12 Depth=1
	s_or_b32 exec_lo, exec_lo, s12
	v_mov_b32_e32 v23, 0
	s_wait_dscnt 0x0
	s_barrier_signal -1
	s_barrier_wait -1
	s_and_saveexec_b32 s12, s5
; %bb.91:                               ;   in Loop: Header=BB1113_12 Depth=1
	ds_load_b32 v23, v118
; %bb.92:                               ;   in Loop: Header=BB1113_12 Depth=1
	s_or_b32 exec_lo, exec_lo, s12
	v_cmp_gt_i32_e32 vcc_lo, 0, v131
	s_wait_dscnt 0x0
	s_barrier_signal -1
	s_barrier_wait -1
	v_cndmask_b32_e32 v24, v131, v124, vcc_lo
	s_delay_alu instid0(VALU_DEP_1)
	v_dual_add_nc_u32 v22, v23, v22 :: v_dual_lshlrev_b32 v147, 2, v24
	ds_bpermute_b32 v22, v147, v22
	s_and_saveexec_b32 s12, s0
	s_cbranch_execz .LBB1113_94
; %bb.93:                               ;   in Loop: Header=BB1113_12 Depth=1
	s_wait_dscnt 0x0
	v_cndmask_b32_e64 v22, v22, v23, s6
	s_delay_alu instid0(VALU_DEP_1)
	v_add_nc_u32_e32 v22, s56, v22
	ds_store_b32 v3, v22
.LBB1113_94:                            ;   in Loop: Header=BB1113_12 Depth=1
	s_or_b32 exec_lo, exec_lo, s12
	s_clause 0x1
	s_load_b32 s12, s[52:53], 0x4
	s_load_b32 s14, s[52:53], 0xc
	v_add_nc_u64_e32 v[24:25], v[8:9], v[4:5]
	s_mov_b32 s60, s58
                                        ; implicit-def: $vgpr28_vgpr29
                                        ; implicit-def: $vgpr30_vgpr31
                                        ; implicit-def: $vgpr32_vgpr33
                                        ; implicit-def: $vgpr34_vgpr35
                                        ; implicit-def: $vgpr36_vgpr37
                                        ; implicit-def: $vgpr38_vgpr39
                                        ; implicit-def: $vgpr40_vgpr41
                                        ; implicit-def: $vgpr42_vgpr43
                                        ; implicit-def: $vgpr44_vgpr45
                                        ; implicit-def: $vgpr46_vgpr47
                                        ; implicit-def: $vgpr48_vgpr49
                                        ; implicit-def: $vgpr50_vgpr51
                                        ; implicit-def: $vgpr52_vgpr53
                                        ; implicit-def: $vgpr54_vgpr55
                                        ; implicit-def: $vgpr56_vgpr57
                                        ; implicit-def: $vgpr149
                                        ; implicit-def: $vgpr150
                                        ; implicit-def: $vgpr151
                                        ; implicit-def: $vgpr152
                                        ; implicit-def: $vgpr153
                                        ; implicit-def: $vgpr154
                                        ; implicit-def: $vgpr155
                                        ; implicit-def: $vgpr156
                                        ; implicit-def: $vgpr157
                                        ; implicit-def: $vgpr158
                                        ; implicit-def: $vgpr159
                                        ; implicit-def: $vgpr160
                                        ; implicit-def: $vgpr161
                                        ; implicit-def: $vgpr162
                                        ; implicit-def: $vgpr163
                                        ; implicit-def: $vgpr164
	s_wait_kmcnt 0x0
	s_cmp_lt_u32 s31, s12
	s_cselect_b32 s34, 14, 20
	s_delay_alu instid0(SALU_CYCLE_1)
	s_add_nc_u64 s[12:13], s[52:53], s[34:35]
	s_mov_b32 s34, s56
	s_load_u16 s12, s[12:13], 0x0
	s_wait_xcnt 0x0
	v_cmp_lt_u32_e64 s13, 1, v130
	s_wait_dscnt 0x0
	s_wait_kmcnt 0x0
	v_mad_u32_u24 v22, v119, s12, v121
	s_and_b32 s12, s14, 0xffff
	v_cmp_lt_u32_e64 s14, 3, v130
	s_delay_alu instid0(VALU_DEP_2) | instskip(SKIP_1) | instid1(VALU_DEP_2)
	v_mad_u32 v22, v22, s12, v2
	v_cmp_eq_u32_e64 s12, 0, v130
	v_lshrrev_b32_e32 v26, 3, v22
	v_add_nc_u64_e32 v[22:23], v[0:1], v[4:5]
	s_delay_alu instid0(VALU_DEP_2)
	v_and_b32_e32 v148, 0x1ffffffc, v26
                                        ; implicit-def: $vgpr26_vgpr27
	s_branch .LBB1113_96
.LBB1113_95:                            ;   in Loop: Header=BB1113_96 Depth=2
	s_or_b32 exec_lo, exec_lo, s15
	s_addk_co_i32 s60, 0xf000
	s_cmp_lt_u32 s61, s51
	s_mov_b32 s34, s61
	s_cbranch_scc0 .LBB1113_304
.LBB1113_96:                            ;   Parent Loop BB1113_12 Depth=1
                                        ; =>  This Inner Loop Header: Depth=2
	s_add_co_i32 s61, s34, 0x1000
	s_delay_alu instid0(SALU_CYCLE_1)
	s_cmp_gt_u32 s61, s51
	s_cbranch_scc1 .LBB1113_98
; %bb.97:                               ;   in Loop: Header=BB1113_96 Depth=2
	v_lshl_add_u64 v[66:67], s[34:35], 3, v[24:25]
	s_mov_b32 s15, -1
	s_clause 0xe
	global_load_b64 v[58:59], v[66:67], off
	global_load_b64 v[60:61], v[66:67], off offset:256
	global_load_b64 v[62:63], v[66:67], off offset:512
	;; [unrolled: 1-line block ×14, first 2 shown]
	s_movk_i32 s16, 0x1000
	s_cbranch_execz .LBB1113_99
	s_branch .LBB1113_130
.LBB1113_98:                            ;   in Loop: Header=BB1113_96 Depth=2
	s_mov_b32 s15, 0
                                        ; implicit-def: $vgpr58_vgpr59
                                        ; implicit-def: $vgpr60_vgpr61
                                        ; implicit-def: $vgpr62_vgpr63
                                        ; implicit-def: $vgpr70_vgpr71
                                        ; implicit-def: $vgpr74_vgpr75
                                        ; implicit-def: $vgpr78_vgpr79
                                        ; implicit-def: $vgpr82_vgpr83
                                        ; implicit-def: $vgpr86_vgpr87
                                        ; implicit-def: $vgpr88_vgpr89
                                        ; implicit-def: $vgpr84_vgpr85
                                        ; implicit-def: $vgpr80_vgpr81
                                        ; implicit-def: $vgpr76_vgpr77
                                        ; implicit-def: $vgpr72_vgpr73
                                        ; implicit-def: $vgpr68_vgpr69
                                        ; implicit-def: $vgpr64_vgpr65
	s_movk_i32 s16, 0x1000
.LBB1113_99:                            ;   in Loop: Header=BB1113_96 Depth=2
	s_wait_loadcnt 0xd
	v_mov_b64_e32 v[60:61], -1
	v_mov_b64_e32 v[58:59], -1
	s_wait_xcnt 0x0
	v_lshl_add_u64 v[66:67], s[34:35], 3, v[24:25]
	s_mov_b32 s15, exec_lo
	v_cmpx_gt_u32_e64 s60, v129
	s_cbranch_execz .LBB1113_101
; %bb.100:                              ;   in Loop: Header=BB1113_96 Depth=2
	global_load_b64 v[58:59], v[66:67], off
.LBB1113_101:                           ;   in Loop: Header=BB1113_96 Depth=2
	s_wait_xcnt 0x0
	s_or_b32 exec_lo, exec_lo, s15
	s_delay_alu instid0(SALU_CYCLE_1)
	s_mov_b32 s15, exec_lo
	v_cmpx_gt_u32_e64 s60, v132
	s_cbranch_execz .LBB1113_103
; %bb.102:                              ;   in Loop: Header=BB1113_96 Depth=2
	global_load_b64 v[60:61], v[66:67], off offset:256
.LBB1113_103:                           ;   in Loop: Header=BB1113_96 Depth=2
	s_wait_xcnt 0x0
	s_or_b32 exec_lo, exec_lo, s15
	s_wait_loadcnt 0xb
	v_mov_b64_e32 v[70:71], -1
	v_mov_b64_e32 v[62:63], -1
	s_mov_b32 s15, exec_lo
	v_cmpx_gt_u32_e64 s60, v133
	s_cbranch_execz .LBB1113_105
; %bb.104:                              ;   in Loop: Header=BB1113_96 Depth=2
	global_load_b64 v[62:63], v[66:67], off offset:512
.LBB1113_105:                           ;   in Loop: Header=BB1113_96 Depth=2
	s_wait_xcnt 0x0
	s_or_b32 exec_lo, exec_lo, s15
	s_delay_alu instid0(SALU_CYCLE_1)
	s_mov_b32 s15, exec_lo
	v_cmpx_gt_u32_e64 s60, v134
	s_cbranch_execz .LBB1113_107
; %bb.106:                              ;   in Loop: Header=BB1113_96 Depth=2
	global_load_b64 v[70:71], v[66:67], off offset:768
.LBB1113_107:                           ;   in Loop: Header=BB1113_96 Depth=2
	s_wait_xcnt 0x0
	s_or_b32 exec_lo, exec_lo, s15
	s_wait_loadcnt 0x9
	v_mov_b64_e32 v[78:79], -1
	v_mov_b64_e32 v[74:75], -1
	s_mov_b32 s15, exec_lo
	v_cmpx_gt_u32_e64 s60, v135
	s_cbranch_execz .LBB1113_109
; %bb.108:                              ;   in Loop: Header=BB1113_96 Depth=2
	global_load_b64 v[74:75], v[66:67], off offset:1024
.LBB1113_109:                           ;   in Loop: Header=BB1113_96 Depth=2
	;; [unrolled: 20-line block ×6, first 2 shown]
	s_wait_xcnt 0x0
	s_or_b32 exec_lo, exec_lo, s15
	s_delay_alu instid0(SALU_CYCLE_1)
	s_mov_b32 s15, exec_lo
	v_cmpx_gt_u32_e64 s60, v144
	s_cbranch_execz .LBB1113_127
; %bb.126:                              ;   in Loop: Header=BB1113_96 Depth=2
	global_load_b64 v[68:69], v[66:67], off offset:3328
.LBB1113_127:                           ;   in Loop: Header=BB1113_96 Depth=2
	s_wait_xcnt 0x0
	s_or_b32 exec_lo, exec_lo, s15
	s_wait_loadcnt 0x0
	v_mov_b64_e32 v[64:65], -1
	s_mov_b32 s15, exec_lo
	v_cmpx_gt_u32_e64 s60, v145
	s_cbranch_execz .LBB1113_129
; %bb.128:                              ;   in Loop: Header=BB1113_96 Depth=2
	global_load_b64 v[64:65], v[66:67], off offset:3584
.LBB1113_129:                           ;   in Loop: Header=BB1113_96 Depth=2
	s_wait_xcnt 0x0
	s_or_b32 exec_lo, exec_lo, s15
	v_cmp_gt_u32_e64 s15, s60, v146
	s_sub_co_i32 s16, s51, s34
.LBB1113_130:                           ;   in Loop: Header=BB1113_96 Depth=2
	s_wait_xcnt 0x0
	v_mov_b64_e32 v[66:67], -1
	v_mov_b32_e32 v165, s60
	s_and_saveexec_b32 s17, s15
	s_cbranch_execz .LBB1113_132
; %bb.131:                              ;   in Loop: Header=BB1113_96 Depth=2
	v_lshl_add_u64 v[66:67], s[34:35], 3, v[24:25]
	v_mov_b32_e32 v165, s16
	global_load_b64 v[66:67], v[66:67], off offset:3840
.LBB1113_132:                           ;   in Loop: Header=BB1113_96 Depth=2
	s_wait_xcnt 0x0
	s_or_b32 exec_lo, exec_lo, s17
	s_wait_loadcnt 0xe
	v_cmp_gt_i64_e32 vcc_lo, 0, v[58:59]
	v_add_nc_u32_e32 v168, 0x420, v120
	v_add_nc_u32_e32 v169, 0x428, v120
	;; [unrolled: 1-line block ×3, first 2 shown]
	v_cndmask_b32_e64 v91, 0x7fffffff, 0, vcc_lo
	s_delay_alu instid0(VALU_DEP_1) | instskip(NEXT) | instid1(VALU_DEP_1)
	v_dual_ashrrev_i32 v90, 31, v59 :: v_dual_bitop2_b32 v59, v91, v59 bitop3:0x14
	v_not_b32_e32 v90, v90
	s_delay_alu instid0(VALU_DEP_1) | instskip(NEXT) | instid1(VALU_DEP_1)
	v_xor_b32_e32 v58, v90, v58
	v_cmp_ne_u64_e32 vcc_lo, s[42:43], v[58:59]
	v_cndmask_b32_e32 v91, 0x7fffffff, v59, vcc_lo
	v_cndmask_b32_e32 v90, -1, v58, vcc_lo
	s_delay_alu instid0(VALU_DEP_1) | instskip(NEXT) | instid1(VALU_DEP_1)
	v_lshrrev_b64 v[90:91], s54, v[90:91]
	v_bitop3_b32 v91, v90, 1, s59 bitop3:0x80
	v_and_b32_e32 v92, s59, v90
	s_delay_alu instid0(VALU_DEP_2) | instskip(NEXT) | instid1(VALU_DEP_1)
	v_add_co_u32 v90, s15, v91, -1
	v_cndmask_b32_e64 v91, 0, 1, s15
	s_delay_alu instid0(VALU_DEP_3) | instskip(NEXT) | instid1(VALU_DEP_2)
	v_lshlrev_b32_e32 v93, 30, v92
	v_cmp_ne_u32_e32 vcc_lo, 0, v91
	s_delay_alu instid0(VALU_DEP_2) | instskip(SKIP_1) | instid1(VALU_DEP_2)
	v_not_b32_e32 v91, v93
	v_cmp_gt_i32_e64 s15, 0, v93
	v_dual_ashrrev_i32 v91, 31, v91 :: v_dual_lshlrev_b32 v94, 29, v92
	v_dual_lshlrev_b32 v95, 28, v92 :: v_dual_lshlrev_b32 v96, 27, v92
	v_dual_lshlrev_b32 v97, 26, v92 :: v_dual_lshlrev_b32 v166, 25, v92
	v_lshlrev_b32_e32 v167, 24, v92
	s_delay_alu instid0(VALU_DEP_4)
	v_cmp_gt_i32_e64 s16, 0, v94
	v_not_b32_e32 v93, v94
	v_not_b32_e32 v94, v95
	v_cmp_gt_i32_e64 s17, 0, v95
	v_cmp_gt_i32_e64 s18, 0, v96
	v_not_b32_e32 v95, v96
	v_not_b32_e32 v96, v97
	v_dual_ashrrev_i32 v93, 31, v93 :: v_dual_bitop2_b32 v90, vcc_lo, v90 bitop3:0x14
	v_dual_ashrrev_i32 v94, 31, v94 :: v_dual_bitop2_b32 v91, s15, v91 bitop3:0x14
	v_cmp_gt_i32_e64 s19, 0, v97
	v_cmp_gt_i32_e64 s20, 0, v166
	v_not_b32_e32 v97, v166
	v_not_b32_e32 v166, v167
	v_dual_ashrrev_i32 v95, 31, v95 :: v_dual_ashrrev_i32 v96, 31, v96
	v_xor_b32_e32 v93, s16, v93
	v_xor_b32_e32 v94, s17, v94
	v_bitop3_b32 v90, v90, v91, exec_lo bitop3:0x80
	v_cmp_gt_i32_e64 s21, 0, v167
	v_dual_ashrrev_i32 v91, 31, v97 :: v_dual_ashrrev_i32 v97, 31, v166
	v_xor_b32_e32 v95, s18, v95
	v_xor_b32_e32 v96, s19, v96
	v_bitop3_b32 v90, v90, v94, v93 bitop3:0x80
	s_delay_alu instid0(VALU_DEP_4) | instskip(SKIP_2) | instid1(VALU_DEP_4)
	v_xor_b32_e32 v91, s20, v91
	v_xor_b32_e32 v93, s21, v97
	v_add_nc_u32_e32 v167, 0x438, v120
	v_bitop3_b32 v90, v90, v96, v95 bitop3:0x80
	ds_store_2addr_b32 v167, v5, v5 offset1:1
	ds_store_2addr_b32 v168, v5, v5 offset1:1
	;; [unrolled: 1-line block ×4, first 2 shown]
	ds_store_b32 v120, v5 offset:1088
	v_bitop3_b32 v90, v90, v93, v91 bitop3:0x80
	v_mul_u32_u24_e32 v91, 36, v92
	s_wait_loadcnt_dscnt 0x0
	s_barrier_signal -1
	s_barrier_wait -1
	v_mbcnt_lo_u32_b32 v166, v90, 0
	v_cmp_ne_u32_e64 s15, 0, v90
	v_add_nc_u32_e32 v171, v148, v91
	s_delay_alu instid0(VALU_DEP_3) | instskip(SKIP_1) | instid1(SALU_CYCLE_1)
	v_cmp_eq_u32_e32 vcc_lo, 0, v166
	; wave barrier
	s_and_b32 s16, s15, vcc_lo
	s_and_saveexec_b32 s15, s16
; %bb.133:                              ;   in Loop: Header=BB1113_96 Depth=2
	v_bcnt_u32_b32 v90, v90, 0
	ds_store_b32 v171, v90 offset:1056
; %bb.134:                              ;   in Loop: Header=BB1113_96 Depth=2
	s_or_b32 exec_lo, exec_lo, s15
	v_cmp_gt_i64_e32 vcc_lo, 0, v[60:61]
	; wave barrier
	v_cndmask_b32_e64 v91, 0x7fffffff, 0, vcc_lo
	s_delay_alu instid0(VALU_DEP_1) | instskip(NEXT) | instid1(VALU_DEP_1)
	v_dual_ashrrev_i32 v90, 31, v61 :: v_dual_bitop2_b32 v61, v91, v61 bitop3:0x14
	v_not_b32_e32 v90, v90
	s_delay_alu instid0(VALU_DEP_1) | instskip(NEXT) | instid1(VALU_DEP_1)
	v_xor_b32_e32 v60, v90, v60
	v_cmp_ne_u64_e32 vcc_lo, s[42:43], v[60:61]
	v_cndmask_b32_e32 v91, 0x7fffffff, v61, vcc_lo
	v_cndmask_b32_e32 v90, -1, v60, vcc_lo
	s_delay_alu instid0(VALU_DEP_1) | instskip(NEXT) | instid1(VALU_DEP_1)
	v_lshrrev_b64 v[90:91], s54, v[90:91]
	v_bitop3_b32 v91, v90, 1, s59 bitop3:0x80
	v_and_b32_e32 v92, s59, v90
	s_delay_alu instid0(VALU_DEP_2) | instskip(NEXT) | instid1(VALU_DEP_1)
	v_add_co_u32 v90, s15, v91, -1
	v_cndmask_b32_e64 v91, 0, 1, s15
	s_delay_alu instid0(VALU_DEP_3) | instskip(SKIP_1) | instid1(VALU_DEP_3)
	v_dual_lshlrev_b32 v93, 30, v92 :: v_dual_lshlrev_b32 v95, 28, v92
	v_dual_lshlrev_b32 v94, 29, v92 :: v_dual_lshlrev_b32 v96, 27, v92
	v_cmp_ne_u32_e32 vcc_lo, 0, v91
	s_delay_alu instid0(VALU_DEP_3) | instskip(SKIP_1) | instid1(VALU_DEP_4)
	v_cmp_gt_i32_e64 s15, 0, v93
	v_not_b32_e32 v91, v93
	v_cmp_gt_i32_e64 s16, 0, v94
	v_not_b32_e32 v93, v94
	;; [unrolled: 2-line block ×3, first 2 shown]
	v_not_b32_e32 v95, v96
	s_delay_alu instid0(VALU_DEP_4) | instskip(NEXT) | instid1(VALU_DEP_2)
	v_dual_ashrrev_i32 v91, 31, v91 :: v_dual_ashrrev_i32 v93, 31, v93
	v_dual_ashrrev_i32 v94, 31, v94 :: v_dual_ashrrev_i32 v95, 31, v95
	v_dual_lshlrev_b32 v97, 26, v92 :: v_dual_lshlrev_b32 v172, 25, v92
	v_lshlrev_b32_e32 v173, 24, v92
	v_cmp_gt_i32_e64 s18, 0, v96
	v_xor_b32_e32 v91, s15, v91
	s_delay_alu instid0(VALU_DEP_4)
	v_not_b32_e32 v96, v97
	v_xor_b32_e32 v90, vcc_lo, v90
	v_cmp_gt_i32_e64 s19, 0, v97
	v_cmp_gt_i32_e64 s20, 0, v172
	v_not_b32_e32 v97, v172
	v_not_b32_e32 v172, v173
	v_dual_ashrrev_i32 v96, 31, v96 :: v_dual_bitop2_b32 v93, s16, v93 bitop3:0x14
	v_xor_b32_e32 v94, s17, v94
	v_bitop3_b32 v90, v90, v91, exec_lo bitop3:0x80
	v_cmp_gt_i32_e64 s21, 0, v173
	v_dual_ashrrev_i32 v91, 31, v97 :: v_dual_ashrrev_i32 v97, 31, v172
	v_xor_b32_e32 v95, s18, v95
	v_xor_b32_e32 v96, s19, v96
	v_bitop3_b32 v90, v90, v94, v93 bitop3:0x80
	v_mad_u32_u24 v93, v92, 36, v148
	v_xor_b32_e32 v91, s20, v91
	v_xor_b32_e32 v94, s21, v97
	s_delay_alu instid0(VALU_DEP_4) | instskip(SKIP_3) | instid1(VALU_DEP_2)
	v_bitop3_b32 v90, v90, v96, v95 bitop3:0x80
	ds_load_b32 v172, v93 offset:1056
	; wave barrier
	v_bitop3_b32 v90, v90, v94, v91 bitop3:0x80
	v_mul_u32_u24_e32 v91, 36, v92
	v_mbcnt_lo_u32_b32 v173, v90, 0
	v_cmp_ne_u32_e64 s15, 0, v90
	s_delay_alu instid0(VALU_DEP_3) | instskip(NEXT) | instid1(VALU_DEP_3)
	v_add_nc_u32_e32 v174, v148, v91
	v_cmp_eq_u32_e32 vcc_lo, 0, v173
	s_and_b32 s16, s15, vcc_lo
	s_delay_alu instid0(SALU_CYCLE_1)
	s_and_saveexec_b32 s15, s16
	s_cbranch_execz .LBB1113_136
; %bb.135:                              ;   in Loop: Header=BB1113_96 Depth=2
	s_wait_dscnt 0x0
	v_bcnt_u32_b32 v90, v90, v172
	ds_store_b32 v174, v90 offset:1056
.LBB1113_136:                           ;   in Loop: Header=BB1113_96 Depth=2
	s_or_b32 exec_lo, exec_lo, s15
	v_cmp_gt_i64_e32 vcc_lo, 0, v[62:63]
	; wave barrier
	v_cndmask_b32_e64 v91, 0x7fffffff, 0, vcc_lo
	s_delay_alu instid0(VALU_DEP_1) | instskip(NEXT) | instid1(VALU_DEP_1)
	v_dual_ashrrev_i32 v90, 31, v63 :: v_dual_bitop2_b32 v63, v91, v63 bitop3:0x14
	v_not_b32_e32 v90, v90
	s_delay_alu instid0(VALU_DEP_1) | instskip(NEXT) | instid1(VALU_DEP_1)
	v_xor_b32_e32 v62, v90, v62
	v_cmp_ne_u64_e32 vcc_lo, s[42:43], v[62:63]
	v_cndmask_b32_e32 v91, 0x7fffffff, v63, vcc_lo
	v_cndmask_b32_e32 v90, -1, v62, vcc_lo
	s_delay_alu instid0(VALU_DEP_1) | instskip(NEXT) | instid1(VALU_DEP_1)
	v_lshrrev_b64 v[90:91], s54, v[90:91]
	v_bitop3_b32 v91, v90, 1, s59 bitop3:0x80
	v_and_b32_e32 v92, s59, v90
	s_delay_alu instid0(VALU_DEP_2) | instskip(NEXT) | instid1(VALU_DEP_1)
	v_add_co_u32 v90, s15, v91, -1
	v_cndmask_b32_e64 v91, 0, 1, s15
	s_delay_alu instid0(VALU_DEP_3) | instskip(NEXT) | instid1(VALU_DEP_2)
	v_lshlrev_b32_e32 v93, 30, v92
	v_cmp_ne_u32_e32 vcc_lo, 0, v91
	s_delay_alu instid0(VALU_DEP_2) | instskip(SKIP_1) | instid1(VALU_DEP_2)
	v_not_b32_e32 v91, v93
	v_cmp_gt_i32_e64 s15, 0, v93
	v_dual_ashrrev_i32 v91, 31, v91 :: v_dual_lshlrev_b32 v94, 29, v92
	v_dual_lshlrev_b32 v95, 28, v92 :: v_dual_lshlrev_b32 v96, 27, v92
	v_dual_lshlrev_b32 v97, 26, v92 :: v_dual_lshlrev_b32 v175, 25, v92
	v_lshlrev_b32_e32 v176, 24, v92
	s_delay_alu instid0(VALU_DEP_4)
	v_cmp_gt_i32_e64 s16, 0, v94
	v_not_b32_e32 v93, v94
	v_not_b32_e32 v94, v95
	v_cmp_gt_i32_e64 s17, 0, v95
	v_cmp_gt_i32_e64 s18, 0, v96
	v_not_b32_e32 v95, v96
	v_not_b32_e32 v96, v97
	v_dual_ashrrev_i32 v93, 31, v93 :: v_dual_bitop2_b32 v90, vcc_lo, v90 bitop3:0x14
	v_dual_ashrrev_i32 v94, 31, v94 :: v_dual_bitop2_b32 v91, s15, v91 bitop3:0x14
	v_cmp_gt_i32_e64 s19, 0, v97
	v_cmp_gt_i32_e64 s20, 0, v175
	v_not_b32_e32 v97, v175
	v_not_b32_e32 v175, v176
	v_dual_ashrrev_i32 v95, 31, v95 :: v_dual_ashrrev_i32 v96, 31, v96
	v_xor_b32_e32 v93, s16, v93
	v_xor_b32_e32 v94, s17, v94
	v_bitop3_b32 v90, v90, v91, exec_lo bitop3:0x80
	v_cmp_gt_i32_e64 s21, 0, v176
	v_dual_ashrrev_i32 v91, 31, v97 :: v_dual_ashrrev_i32 v97, 31, v175
	v_xor_b32_e32 v95, s18, v95
	v_xor_b32_e32 v96, s19, v96
	v_bitop3_b32 v90, v90, v94, v93 bitop3:0x80
	v_mad_u32_u24 v93, v92, 36, v148
	v_xor_b32_e32 v91, s20, v91
	v_xor_b32_e32 v94, s21, v97
	s_delay_alu instid0(VALU_DEP_4) | instskip(SKIP_3) | instid1(VALU_DEP_2)
	v_bitop3_b32 v90, v90, v96, v95 bitop3:0x80
	ds_load_b32 v175, v93 offset:1056
	; wave barrier
	v_bitop3_b32 v90, v90, v94, v91 bitop3:0x80
	v_mul_u32_u24_e32 v91, 36, v92
	v_mbcnt_lo_u32_b32 v176, v90, 0
	v_cmp_ne_u32_e64 s15, 0, v90
	s_delay_alu instid0(VALU_DEP_3) | instskip(NEXT) | instid1(VALU_DEP_3)
	v_add_nc_u32_e32 v177, v148, v91
	v_cmp_eq_u32_e32 vcc_lo, 0, v176
	s_and_b32 s16, s15, vcc_lo
	s_delay_alu instid0(SALU_CYCLE_1)
	s_and_saveexec_b32 s15, s16
	s_cbranch_execz .LBB1113_138
; %bb.137:                              ;   in Loop: Header=BB1113_96 Depth=2
	s_wait_dscnt 0x0
	v_bcnt_u32_b32 v90, v90, v175
	ds_store_b32 v177, v90 offset:1056
.LBB1113_138:                           ;   in Loop: Header=BB1113_96 Depth=2
	s_or_b32 exec_lo, exec_lo, s15
	v_cmp_gt_i64_e32 vcc_lo, 0, v[70:71]
	; wave barrier
	v_cndmask_b32_e64 v91, 0x7fffffff, 0, vcc_lo
	s_delay_alu instid0(VALU_DEP_1) | instskip(NEXT) | instid1(VALU_DEP_1)
	v_dual_ashrrev_i32 v90, 31, v71 :: v_dual_bitop2_b32 v71, v91, v71 bitop3:0x14
	v_not_b32_e32 v90, v90
	s_delay_alu instid0(VALU_DEP_1) | instskip(NEXT) | instid1(VALU_DEP_1)
	v_xor_b32_e32 v70, v90, v70
	v_cmp_ne_u64_e32 vcc_lo, s[42:43], v[70:71]
	v_cndmask_b32_e32 v91, 0x7fffffff, v71, vcc_lo
	v_cndmask_b32_e32 v90, -1, v70, vcc_lo
	s_delay_alu instid0(VALU_DEP_1) | instskip(NEXT) | instid1(VALU_DEP_1)
	v_lshrrev_b64 v[90:91], s54, v[90:91]
	v_bitop3_b32 v91, v90, 1, s59 bitop3:0x80
	v_and_b32_e32 v92, s59, v90
	s_delay_alu instid0(VALU_DEP_2) | instskip(NEXT) | instid1(VALU_DEP_1)
	v_add_co_u32 v90, s15, v91, -1
	v_cndmask_b32_e64 v91, 0, 1, s15
	s_delay_alu instid0(VALU_DEP_3) | instskip(NEXT) | instid1(VALU_DEP_2)
	v_lshlrev_b32_e32 v93, 30, v92
	v_cmp_ne_u32_e32 vcc_lo, 0, v91
	s_delay_alu instid0(VALU_DEP_2) | instskip(SKIP_1) | instid1(VALU_DEP_2)
	v_not_b32_e32 v91, v93
	v_cmp_gt_i32_e64 s15, 0, v93
	v_dual_ashrrev_i32 v91, 31, v91 :: v_dual_lshlrev_b32 v94, 29, v92
	v_dual_lshlrev_b32 v95, 28, v92 :: v_dual_lshlrev_b32 v96, 27, v92
	v_dual_lshlrev_b32 v97, 26, v92 :: v_dual_lshlrev_b32 v178, 25, v92
	v_lshlrev_b32_e32 v179, 24, v92
	s_delay_alu instid0(VALU_DEP_4)
	v_cmp_gt_i32_e64 s16, 0, v94
	v_not_b32_e32 v93, v94
	v_not_b32_e32 v94, v95
	v_cmp_gt_i32_e64 s17, 0, v95
	v_cmp_gt_i32_e64 s18, 0, v96
	v_not_b32_e32 v95, v96
	v_not_b32_e32 v96, v97
	v_dual_ashrrev_i32 v93, 31, v93 :: v_dual_bitop2_b32 v90, vcc_lo, v90 bitop3:0x14
	v_dual_ashrrev_i32 v94, 31, v94 :: v_dual_bitop2_b32 v91, s15, v91 bitop3:0x14
	v_cmp_gt_i32_e64 s19, 0, v97
	v_cmp_gt_i32_e64 s20, 0, v178
	v_not_b32_e32 v97, v178
	v_not_b32_e32 v178, v179
	v_dual_ashrrev_i32 v95, 31, v95 :: v_dual_ashrrev_i32 v96, 31, v96
	v_xor_b32_e32 v93, s16, v93
	v_xor_b32_e32 v94, s17, v94
	v_bitop3_b32 v90, v90, v91, exec_lo bitop3:0x80
	v_cmp_gt_i32_e64 s21, 0, v179
	v_dual_ashrrev_i32 v91, 31, v97 :: v_dual_ashrrev_i32 v97, 31, v178
	v_xor_b32_e32 v95, s18, v95
	v_xor_b32_e32 v96, s19, v96
	v_bitop3_b32 v90, v90, v94, v93 bitop3:0x80
	v_mad_u32_u24 v93, v92, 36, v148
	v_xor_b32_e32 v91, s20, v91
	v_xor_b32_e32 v94, s21, v97
	s_delay_alu instid0(VALU_DEP_4) | instskip(SKIP_3) | instid1(VALU_DEP_2)
	v_bitop3_b32 v90, v90, v96, v95 bitop3:0x80
	ds_load_b32 v178, v93 offset:1056
	; wave barrier
	v_bitop3_b32 v90, v90, v94, v91 bitop3:0x80
	v_mul_u32_u24_e32 v91, 36, v92
	v_mbcnt_lo_u32_b32 v179, v90, 0
	v_cmp_ne_u32_e64 s15, 0, v90
	s_delay_alu instid0(VALU_DEP_3) | instskip(NEXT) | instid1(VALU_DEP_3)
	v_add_nc_u32_e32 v180, v148, v91
	v_cmp_eq_u32_e32 vcc_lo, 0, v179
	s_and_b32 s16, s15, vcc_lo
	s_delay_alu instid0(SALU_CYCLE_1)
	s_and_saveexec_b32 s15, s16
	s_cbranch_execz .LBB1113_140
; %bb.139:                              ;   in Loop: Header=BB1113_96 Depth=2
	s_wait_dscnt 0x0
	v_bcnt_u32_b32 v90, v90, v178
	ds_store_b32 v180, v90 offset:1056
.LBB1113_140:                           ;   in Loop: Header=BB1113_96 Depth=2
	s_or_b32 exec_lo, exec_lo, s15
	v_cmp_gt_i64_e32 vcc_lo, 0, v[74:75]
	; wave barrier
	v_cndmask_b32_e64 v91, 0x7fffffff, 0, vcc_lo
	s_delay_alu instid0(VALU_DEP_1) | instskip(NEXT) | instid1(VALU_DEP_1)
	v_dual_ashrrev_i32 v90, 31, v75 :: v_dual_bitop2_b32 v75, v91, v75 bitop3:0x14
	v_not_b32_e32 v90, v90
	s_delay_alu instid0(VALU_DEP_1) | instskip(NEXT) | instid1(VALU_DEP_1)
	v_xor_b32_e32 v74, v90, v74
	v_cmp_ne_u64_e32 vcc_lo, s[42:43], v[74:75]
	v_cndmask_b32_e32 v91, 0x7fffffff, v75, vcc_lo
	v_cndmask_b32_e32 v90, -1, v74, vcc_lo
	s_delay_alu instid0(VALU_DEP_1) | instskip(NEXT) | instid1(VALU_DEP_1)
	v_lshrrev_b64 v[90:91], s54, v[90:91]
	v_bitop3_b32 v91, v90, 1, s59 bitop3:0x80
	v_and_b32_e32 v92, s59, v90
	s_delay_alu instid0(VALU_DEP_2) | instskip(NEXT) | instid1(VALU_DEP_1)
	v_add_co_u32 v90, s15, v91, -1
	v_cndmask_b32_e64 v91, 0, 1, s15
	s_delay_alu instid0(VALU_DEP_3) | instskip(NEXT) | instid1(VALU_DEP_2)
	v_lshlrev_b32_e32 v93, 30, v92
	v_cmp_ne_u32_e32 vcc_lo, 0, v91
	s_delay_alu instid0(VALU_DEP_2) | instskip(SKIP_1) | instid1(VALU_DEP_2)
	v_not_b32_e32 v91, v93
	v_cmp_gt_i32_e64 s15, 0, v93
	v_dual_ashrrev_i32 v91, 31, v91 :: v_dual_lshlrev_b32 v94, 29, v92
	v_dual_lshlrev_b32 v95, 28, v92 :: v_dual_lshlrev_b32 v96, 27, v92
	v_dual_lshlrev_b32 v97, 26, v92 :: v_dual_lshlrev_b32 v181, 25, v92
	v_lshlrev_b32_e32 v182, 24, v92
	s_delay_alu instid0(VALU_DEP_4)
	v_cmp_gt_i32_e64 s16, 0, v94
	v_not_b32_e32 v93, v94
	v_not_b32_e32 v94, v95
	v_cmp_gt_i32_e64 s17, 0, v95
	v_cmp_gt_i32_e64 s18, 0, v96
	v_not_b32_e32 v95, v96
	v_not_b32_e32 v96, v97
	v_dual_ashrrev_i32 v93, 31, v93 :: v_dual_bitop2_b32 v90, vcc_lo, v90 bitop3:0x14
	v_dual_ashrrev_i32 v94, 31, v94 :: v_dual_bitop2_b32 v91, s15, v91 bitop3:0x14
	v_cmp_gt_i32_e64 s19, 0, v97
	v_cmp_gt_i32_e64 s20, 0, v181
	v_not_b32_e32 v97, v181
	v_not_b32_e32 v181, v182
	v_dual_ashrrev_i32 v95, 31, v95 :: v_dual_ashrrev_i32 v96, 31, v96
	v_xor_b32_e32 v93, s16, v93
	v_xor_b32_e32 v94, s17, v94
	v_bitop3_b32 v90, v90, v91, exec_lo bitop3:0x80
	v_cmp_gt_i32_e64 s21, 0, v182
	v_ashrrev_i32_e32 v91, 31, v97
	v_dual_ashrrev_i32 v97, 31, v181 :: v_dual_bitop2_b32 v95, s18, v95 bitop3:0x14
	v_xor_b32_e32 v96, s19, v96
	v_bitop3_b32 v90, v90, v94, v93 bitop3:0x80
	v_mad_u32_u24 v93, v92, 36, v148
	v_xor_b32_e32 v91, s20, v91
	v_xor_b32_e32 v94, s21, v97
	s_delay_alu instid0(VALU_DEP_4) | instskip(SKIP_3) | instid1(VALU_DEP_2)
	v_bitop3_b32 v90, v90, v96, v95 bitop3:0x80
	ds_load_b32 v181, v93 offset:1056
	; wave barrier
	v_bitop3_b32 v90, v90, v94, v91 bitop3:0x80
	v_mul_u32_u24_e32 v91, 36, v92
	v_mbcnt_lo_u32_b32 v182, v90, 0
	v_cmp_ne_u32_e64 s15, 0, v90
	s_delay_alu instid0(VALU_DEP_3) | instskip(NEXT) | instid1(VALU_DEP_3)
	v_add_nc_u32_e32 v183, v148, v91
	v_cmp_eq_u32_e32 vcc_lo, 0, v182
	s_and_b32 s16, s15, vcc_lo
	s_delay_alu instid0(SALU_CYCLE_1)
	s_and_saveexec_b32 s15, s16
	s_cbranch_execz .LBB1113_142
; %bb.141:                              ;   in Loop: Header=BB1113_96 Depth=2
	s_wait_dscnt 0x0
	v_bcnt_u32_b32 v90, v90, v181
	ds_store_b32 v183, v90 offset:1056
.LBB1113_142:                           ;   in Loop: Header=BB1113_96 Depth=2
	s_or_b32 exec_lo, exec_lo, s15
	v_cmp_gt_i64_e32 vcc_lo, 0, v[78:79]
	; wave barrier
	v_cndmask_b32_e64 v91, 0x7fffffff, 0, vcc_lo
	s_delay_alu instid0(VALU_DEP_1) | instskip(NEXT) | instid1(VALU_DEP_1)
	v_dual_ashrrev_i32 v90, 31, v79 :: v_dual_bitop2_b32 v79, v91, v79 bitop3:0x14
	v_not_b32_e32 v90, v90
	s_delay_alu instid0(VALU_DEP_1) | instskip(NEXT) | instid1(VALU_DEP_1)
	v_xor_b32_e32 v78, v90, v78
	v_cmp_ne_u64_e32 vcc_lo, s[42:43], v[78:79]
	v_cndmask_b32_e32 v91, 0x7fffffff, v79, vcc_lo
	v_cndmask_b32_e32 v90, -1, v78, vcc_lo
	s_delay_alu instid0(VALU_DEP_1) | instskip(NEXT) | instid1(VALU_DEP_1)
	v_lshrrev_b64 v[90:91], s54, v[90:91]
	v_bitop3_b32 v91, v90, 1, s59 bitop3:0x80
	v_and_b32_e32 v92, s59, v90
	s_delay_alu instid0(VALU_DEP_2) | instskip(NEXT) | instid1(VALU_DEP_1)
	v_add_co_u32 v90, s15, v91, -1
	v_cndmask_b32_e64 v91, 0, 1, s15
	s_delay_alu instid0(VALU_DEP_3) | instskip(NEXT) | instid1(VALU_DEP_2)
	v_lshlrev_b32_e32 v93, 30, v92
	v_cmp_ne_u32_e32 vcc_lo, 0, v91
	s_delay_alu instid0(VALU_DEP_2) | instskip(SKIP_1) | instid1(VALU_DEP_2)
	v_not_b32_e32 v91, v93
	v_cmp_gt_i32_e64 s15, 0, v93
	v_dual_ashrrev_i32 v91, 31, v91 :: v_dual_lshlrev_b32 v94, 29, v92
	v_dual_lshlrev_b32 v95, 28, v92 :: v_dual_lshlrev_b32 v96, 27, v92
	v_dual_lshlrev_b32 v97, 26, v92 :: v_dual_lshlrev_b32 v184, 25, v92
	v_lshlrev_b32_e32 v185, 24, v92
	s_delay_alu instid0(VALU_DEP_4)
	v_cmp_gt_i32_e64 s16, 0, v94
	v_not_b32_e32 v93, v94
	v_not_b32_e32 v94, v95
	v_cmp_gt_i32_e64 s17, 0, v95
	v_cmp_gt_i32_e64 s18, 0, v96
	v_not_b32_e32 v95, v96
	v_not_b32_e32 v96, v97
	v_dual_ashrrev_i32 v93, 31, v93 :: v_dual_bitop2_b32 v90, vcc_lo, v90 bitop3:0x14
	v_dual_ashrrev_i32 v94, 31, v94 :: v_dual_bitop2_b32 v91, s15, v91 bitop3:0x14
	v_cmp_gt_i32_e64 s19, 0, v97
	v_cmp_gt_i32_e64 s20, 0, v184
	v_not_b32_e32 v97, v184
	v_not_b32_e32 v184, v185
	v_dual_ashrrev_i32 v95, 31, v95 :: v_dual_ashrrev_i32 v96, 31, v96
	v_xor_b32_e32 v93, s16, v93
	v_xor_b32_e32 v94, s17, v94
	v_bitop3_b32 v90, v90, v91, exec_lo bitop3:0x80
	v_cmp_gt_i32_e64 s21, 0, v185
	v_dual_ashrrev_i32 v91, 31, v97 :: v_dual_ashrrev_i32 v97, 31, v184
	v_xor_b32_e32 v95, s18, v95
	v_xor_b32_e32 v96, s19, v96
	v_bitop3_b32 v90, v90, v94, v93 bitop3:0x80
	v_mad_u32_u24 v93, v92, 36, v148
	v_xor_b32_e32 v91, s20, v91
	v_xor_b32_e32 v94, s21, v97
	s_delay_alu instid0(VALU_DEP_4) | instskip(SKIP_3) | instid1(VALU_DEP_2)
	v_bitop3_b32 v90, v90, v96, v95 bitop3:0x80
	ds_load_b32 v184, v93 offset:1056
	; wave barrier
	v_bitop3_b32 v90, v90, v94, v91 bitop3:0x80
	v_mul_u32_u24_e32 v91, 36, v92
	v_mbcnt_lo_u32_b32 v185, v90, 0
	v_cmp_ne_u32_e64 s15, 0, v90
	s_delay_alu instid0(VALU_DEP_3) | instskip(NEXT) | instid1(VALU_DEP_3)
	v_add_nc_u32_e32 v186, v148, v91
	v_cmp_eq_u32_e32 vcc_lo, 0, v185
	s_and_b32 s16, s15, vcc_lo
	s_delay_alu instid0(SALU_CYCLE_1)
	s_and_saveexec_b32 s15, s16
	s_cbranch_execz .LBB1113_144
; %bb.143:                              ;   in Loop: Header=BB1113_96 Depth=2
	s_wait_dscnt 0x0
	v_bcnt_u32_b32 v90, v90, v184
	ds_store_b32 v186, v90 offset:1056
.LBB1113_144:                           ;   in Loop: Header=BB1113_96 Depth=2
	s_or_b32 exec_lo, exec_lo, s15
	v_cmp_gt_i64_e32 vcc_lo, 0, v[82:83]
	; wave barrier
	v_cndmask_b32_e64 v91, 0x7fffffff, 0, vcc_lo
	s_delay_alu instid0(VALU_DEP_1) | instskip(NEXT) | instid1(VALU_DEP_1)
	v_dual_ashrrev_i32 v90, 31, v83 :: v_dual_bitop2_b32 v83, v91, v83 bitop3:0x14
	v_not_b32_e32 v90, v90
	s_delay_alu instid0(VALU_DEP_1) | instskip(NEXT) | instid1(VALU_DEP_1)
	v_xor_b32_e32 v82, v90, v82
	v_cmp_ne_u64_e32 vcc_lo, s[42:43], v[82:83]
	v_cndmask_b32_e32 v91, 0x7fffffff, v83, vcc_lo
	v_cndmask_b32_e32 v90, -1, v82, vcc_lo
	s_delay_alu instid0(VALU_DEP_1) | instskip(NEXT) | instid1(VALU_DEP_1)
	v_lshrrev_b64 v[90:91], s54, v[90:91]
	v_bitop3_b32 v91, v90, 1, s59 bitop3:0x80
	v_and_b32_e32 v92, s59, v90
	s_delay_alu instid0(VALU_DEP_2) | instskip(NEXT) | instid1(VALU_DEP_1)
	v_add_co_u32 v90, s15, v91, -1
	v_cndmask_b32_e64 v91, 0, 1, s15
	s_delay_alu instid0(VALU_DEP_3) | instskip(NEXT) | instid1(VALU_DEP_2)
	v_lshlrev_b32_e32 v93, 30, v92
	v_cmp_ne_u32_e32 vcc_lo, 0, v91
	s_delay_alu instid0(VALU_DEP_2) | instskip(SKIP_1) | instid1(VALU_DEP_2)
	v_not_b32_e32 v91, v93
	v_cmp_gt_i32_e64 s15, 0, v93
	v_dual_ashrrev_i32 v91, 31, v91 :: v_dual_lshlrev_b32 v94, 29, v92
	v_dual_lshlrev_b32 v95, 28, v92 :: v_dual_lshlrev_b32 v96, 27, v92
	v_dual_lshlrev_b32 v97, 26, v92 :: v_dual_lshlrev_b32 v187, 25, v92
	v_lshlrev_b32_e32 v188, 24, v92
	s_delay_alu instid0(VALU_DEP_4)
	v_cmp_gt_i32_e64 s16, 0, v94
	v_not_b32_e32 v93, v94
	v_not_b32_e32 v94, v95
	v_cmp_gt_i32_e64 s17, 0, v95
	v_cmp_gt_i32_e64 s18, 0, v96
	v_not_b32_e32 v95, v96
	v_not_b32_e32 v96, v97
	v_dual_ashrrev_i32 v93, 31, v93 :: v_dual_bitop2_b32 v90, vcc_lo, v90 bitop3:0x14
	v_dual_ashrrev_i32 v94, 31, v94 :: v_dual_bitop2_b32 v91, s15, v91 bitop3:0x14
	v_cmp_gt_i32_e64 s19, 0, v97
	v_cmp_gt_i32_e64 s20, 0, v187
	v_not_b32_e32 v97, v187
	v_not_b32_e32 v187, v188
	v_dual_ashrrev_i32 v95, 31, v95 :: v_dual_ashrrev_i32 v96, 31, v96
	v_xor_b32_e32 v93, s16, v93
	v_xor_b32_e32 v94, s17, v94
	v_bitop3_b32 v90, v90, v91, exec_lo bitop3:0x80
	v_cmp_gt_i32_e64 s21, 0, v188
	v_dual_ashrrev_i32 v91, 31, v97 :: v_dual_ashrrev_i32 v97, 31, v187
	v_xor_b32_e32 v95, s18, v95
	v_xor_b32_e32 v96, s19, v96
	v_bitop3_b32 v90, v90, v94, v93 bitop3:0x80
	v_mad_u32_u24 v93, v92, 36, v148
	v_xor_b32_e32 v91, s20, v91
	v_xor_b32_e32 v94, s21, v97
	s_delay_alu instid0(VALU_DEP_4) | instskip(SKIP_3) | instid1(VALU_DEP_2)
	v_bitop3_b32 v90, v90, v96, v95 bitop3:0x80
	ds_load_b32 v187, v93 offset:1056
	; wave barrier
	v_bitop3_b32 v90, v90, v94, v91 bitop3:0x80
	v_mul_u32_u24_e32 v91, 36, v92
	v_mbcnt_lo_u32_b32 v188, v90, 0
	v_cmp_ne_u32_e64 s15, 0, v90
	s_delay_alu instid0(VALU_DEP_3) | instskip(NEXT) | instid1(VALU_DEP_3)
	v_add_nc_u32_e32 v189, v148, v91
	v_cmp_eq_u32_e32 vcc_lo, 0, v188
	s_and_b32 s16, s15, vcc_lo
	s_delay_alu instid0(SALU_CYCLE_1)
	s_and_saveexec_b32 s15, s16
	s_cbranch_execz .LBB1113_146
; %bb.145:                              ;   in Loop: Header=BB1113_96 Depth=2
	s_wait_dscnt 0x0
	v_bcnt_u32_b32 v90, v90, v187
	ds_store_b32 v189, v90 offset:1056
.LBB1113_146:                           ;   in Loop: Header=BB1113_96 Depth=2
	s_or_b32 exec_lo, exec_lo, s15
	v_cmp_gt_i64_e32 vcc_lo, 0, v[86:87]
	; wave barrier
	v_cndmask_b32_e64 v91, 0x7fffffff, 0, vcc_lo
	s_delay_alu instid0(VALU_DEP_1) | instskip(NEXT) | instid1(VALU_DEP_1)
	v_dual_ashrrev_i32 v90, 31, v87 :: v_dual_bitop2_b32 v87, v91, v87 bitop3:0x14
	v_not_b32_e32 v90, v90
	s_delay_alu instid0(VALU_DEP_1) | instskip(NEXT) | instid1(VALU_DEP_1)
	v_xor_b32_e32 v86, v90, v86
	v_cmp_ne_u64_e32 vcc_lo, s[42:43], v[86:87]
	v_cndmask_b32_e32 v91, 0x7fffffff, v87, vcc_lo
	v_cndmask_b32_e32 v90, -1, v86, vcc_lo
	s_delay_alu instid0(VALU_DEP_1) | instskip(NEXT) | instid1(VALU_DEP_1)
	v_lshrrev_b64 v[90:91], s54, v[90:91]
	v_bitop3_b32 v91, v90, 1, s59 bitop3:0x80
	v_and_b32_e32 v92, s59, v90
	s_delay_alu instid0(VALU_DEP_2) | instskip(NEXT) | instid1(VALU_DEP_1)
	v_add_co_u32 v90, s15, v91, -1
	v_cndmask_b32_e64 v91, 0, 1, s15
	s_delay_alu instid0(VALU_DEP_3) | instskip(NEXT) | instid1(VALU_DEP_2)
	v_lshlrev_b32_e32 v93, 30, v92
	v_cmp_ne_u32_e32 vcc_lo, 0, v91
	s_delay_alu instid0(VALU_DEP_2) | instskip(SKIP_1) | instid1(VALU_DEP_2)
	v_not_b32_e32 v91, v93
	v_cmp_gt_i32_e64 s15, 0, v93
	v_dual_ashrrev_i32 v91, 31, v91 :: v_dual_lshlrev_b32 v94, 29, v92
	v_dual_lshlrev_b32 v95, 28, v92 :: v_dual_lshlrev_b32 v96, 27, v92
	v_dual_lshlrev_b32 v97, 26, v92 :: v_dual_lshlrev_b32 v190, 25, v92
	v_lshlrev_b32_e32 v191, 24, v92
	s_delay_alu instid0(VALU_DEP_4)
	v_cmp_gt_i32_e64 s16, 0, v94
	v_not_b32_e32 v93, v94
	v_not_b32_e32 v94, v95
	v_cmp_gt_i32_e64 s17, 0, v95
	v_cmp_gt_i32_e64 s18, 0, v96
	v_not_b32_e32 v95, v96
	v_not_b32_e32 v96, v97
	v_dual_ashrrev_i32 v93, 31, v93 :: v_dual_bitop2_b32 v90, vcc_lo, v90 bitop3:0x14
	v_dual_ashrrev_i32 v94, 31, v94 :: v_dual_bitop2_b32 v91, s15, v91 bitop3:0x14
	v_cmp_gt_i32_e64 s19, 0, v97
	v_cmp_gt_i32_e64 s20, 0, v190
	v_not_b32_e32 v97, v190
	v_not_b32_e32 v190, v191
	v_dual_ashrrev_i32 v95, 31, v95 :: v_dual_ashrrev_i32 v96, 31, v96
	v_xor_b32_e32 v93, s16, v93
	v_xor_b32_e32 v94, s17, v94
	v_bitop3_b32 v90, v90, v91, exec_lo bitop3:0x80
	v_cmp_gt_i32_e64 s21, 0, v191
	v_dual_ashrrev_i32 v91, 31, v97 :: v_dual_ashrrev_i32 v97, 31, v190
	v_xor_b32_e32 v95, s18, v95
	v_xor_b32_e32 v96, s19, v96
	v_bitop3_b32 v90, v90, v94, v93 bitop3:0x80
	v_mad_u32_u24 v93, v92, 36, v148
	v_xor_b32_e32 v91, s20, v91
	v_xor_b32_e32 v94, s21, v97
	s_delay_alu instid0(VALU_DEP_4) | instskip(SKIP_3) | instid1(VALU_DEP_2)
	v_bitop3_b32 v90, v90, v96, v95 bitop3:0x80
	ds_load_b32 v190, v93 offset:1056
	; wave barrier
	v_bitop3_b32 v90, v90, v94, v91 bitop3:0x80
	v_mul_u32_u24_e32 v91, 36, v92
	v_mbcnt_lo_u32_b32 v191, v90, 0
	v_cmp_ne_u32_e64 s15, 0, v90
	s_delay_alu instid0(VALU_DEP_3) | instskip(NEXT) | instid1(VALU_DEP_3)
	v_add_nc_u32_e32 v192, v148, v91
	v_cmp_eq_u32_e32 vcc_lo, 0, v191
	s_and_b32 s16, s15, vcc_lo
	s_delay_alu instid0(SALU_CYCLE_1)
	s_and_saveexec_b32 s15, s16
	s_cbranch_execz .LBB1113_148
; %bb.147:                              ;   in Loop: Header=BB1113_96 Depth=2
	s_wait_dscnt 0x0
	v_bcnt_u32_b32 v90, v90, v190
	ds_store_b32 v192, v90 offset:1056
.LBB1113_148:                           ;   in Loop: Header=BB1113_96 Depth=2
	s_or_b32 exec_lo, exec_lo, s15
	v_cmp_gt_i64_e32 vcc_lo, 0, v[88:89]
	; wave barrier
	v_cndmask_b32_e64 v91, 0x7fffffff, 0, vcc_lo
	s_delay_alu instid0(VALU_DEP_1) | instskip(NEXT) | instid1(VALU_DEP_1)
	v_dual_ashrrev_i32 v90, 31, v89 :: v_dual_bitop2_b32 v89, v91, v89 bitop3:0x14
	v_not_b32_e32 v90, v90
	s_delay_alu instid0(VALU_DEP_1) | instskip(NEXT) | instid1(VALU_DEP_1)
	v_xor_b32_e32 v88, v90, v88
	v_cmp_ne_u64_e32 vcc_lo, s[42:43], v[88:89]
	v_cndmask_b32_e32 v91, 0x7fffffff, v89, vcc_lo
	v_cndmask_b32_e32 v90, -1, v88, vcc_lo
	s_delay_alu instid0(VALU_DEP_1) | instskip(NEXT) | instid1(VALU_DEP_1)
	v_lshrrev_b64 v[90:91], s54, v[90:91]
	v_bitop3_b32 v91, v90, 1, s59 bitop3:0x80
	v_and_b32_e32 v92, s59, v90
	s_delay_alu instid0(VALU_DEP_2) | instskip(NEXT) | instid1(VALU_DEP_1)
	v_add_co_u32 v90, s15, v91, -1
	v_cndmask_b32_e64 v91, 0, 1, s15
	s_delay_alu instid0(VALU_DEP_3) | instskip(SKIP_1) | instid1(VALU_DEP_3)
	v_dual_lshlrev_b32 v93, 30, v92 :: v_dual_lshlrev_b32 v95, 28, v92
	v_dual_lshlrev_b32 v94, 29, v92 :: v_dual_lshlrev_b32 v96, 27, v92
	v_cmp_ne_u32_e32 vcc_lo, 0, v91
	s_delay_alu instid0(VALU_DEP_3) | instskip(SKIP_1) | instid1(VALU_DEP_4)
	v_cmp_gt_i32_e64 s15, 0, v93
	v_not_b32_e32 v91, v93
	v_cmp_gt_i32_e64 s16, 0, v94
	v_not_b32_e32 v93, v94
	;; [unrolled: 2-line block ×3, first 2 shown]
	v_not_b32_e32 v95, v96
	s_delay_alu instid0(VALU_DEP_4) | instskip(NEXT) | instid1(VALU_DEP_2)
	v_dual_ashrrev_i32 v91, 31, v91 :: v_dual_ashrrev_i32 v93, 31, v93
	v_dual_ashrrev_i32 v94, 31, v94 :: v_dual_ashrrev_i32 v95, 31, v95
	v_dual_lshlrev_b32 v97, 26, v92 :: v_dual_lshlrev_b32 v193, 25, v92
	v_lshlrev_b32_e32 v194, 24, v92
	v_cmp_gt_i32_e64 s18, 0, v96
	v_xor_b32_e32 v91, s15, v91
	s_delay_alu instid0(VALU_DEP_4)
	v_not_b32_e32 v96, v97
	v_xor_b32_e32 v90, vcc_lo, v90
	v_cmp_gt_i32_e64 s19, 0, v97
	v_cmp_gt_i32_e64 s20, 0, v193
	v_not_b32_e32 v97, v193
	v_not_b32_e32 v193, v194
	v_dual_ashrrev_i32 v96, 31, v96 :: v_dual_bitop2_b32 v93, s16, v93 bitop3:0x14
	v_xor_b32_e32 v94, s17, v94
	v_bitop3_b32 v90, v90, v91, exec_lo bitop3:0x80
	v_cmp_gt_i32_e64 s21, 0, v194
	v_ashrrev_i32_e32 v91, 31, v97
	v_dual_ashrrev_i32 v97, 31, v193 :: v_dual_bitop2_b32 v95, s18, v95 bitop3:0x14
	v_xor_b32_e32 v96, s19, v96
	v_bitop3_b32 v90, v90, v94, v93 bitop3:0x80
	v_mad_u32_u24 v93, v92, 36, v148
	v_xor_b32_e32 v91, s20, v91
	v_xor_b32_e32 v94, s21, v97
	s_delay_alu instid0(VALU_DEP_4) | instskip(SKIP_3) | instid1(VALU_DEP_2)
	v_bitop3_b32 v90, v90, v96, v95 bitop3:0x80
	ds_load_b32 v193, v93 offset:1056
	; wave barrier
	v_bitop3_b32 v90, v90, v94, v91 bitop3:0x80
	v_mul_u32_u24_e32 v91, 36, v92
	v_mbcnt_lo_u32_b32 v194, v90, 0
	v_cmp_ne_u32_e64 s15, 0, v90
	s_delay_alu instid0(VALU_DEP_3) | instskip(NEXT) | instid1(VALU_DEP_3)
	v_add_nc_u32_e32 v195, v148, v91
	v_cmp_eq_u32_e32 vcc_lo, 0, v194
	s_and_b32 s16, s15, vcc_lo
	s_delay_alu instid0(SALU_CYCLE_1)
	s_and_saveexec_b32 s15, s16
	s_cbranch_execz .LBB1113_150
; %bb.149:                              ;   in Loop: Header=BB1113_96 Depth=2
	s_wait_dscnt 0x0
	v_bcnt_u32_b32 v90, v90, v193
	ds_store_b32 v195, v90 offset:1056
.LBB1113_150:                           ;   in Loop: Header=BB1113_96 Depth=2
	s_or_b32 exec_lo, exec_lo, s15
	v_cmp_gt_i64_e32 vcc_lo, 0, v[84:85]
	; wave barrier
	v_cndmask_b32_e64 v91, 0x7fffffff, 0, vcc_lo
	s_delay_alu instid0(VALU_DEP_1) | instskip(NEXT) | instid1(VALU_DEP_1)
	v_dual_ashrrev_i32 v90, 31, v85 :: v_dual_bitop2_b32 v85, v91, v85 bitop3:0x14
	v_not_b32_e32 v90, v90
	s_delay_alu instid0(VALU_DEP_1) | instskip(NEXT) | instid1(VALU_DEP_1)
	v_xor_b32_e32 v84, v90, v84
	v_cmp_ne_u64_e32 vcc_lo, s[42:43], v[84:85]
	v_cndmask_b32_e32 v91, 0x7fffffff, v85, vcc_lo
	v_cndmask_b32_e32 v90, -1, v84, vcc_lo
	s_delay_alu instid0(VALU_DEP_1) | instskip(NEXT) | instid1(VALU_DEP_1)
	v_lshrrev_b64 v[90:91], s54, v[90:91]
	v_bitop3_b32 v91, v90, 1, s59 bitop3:0x80
	v_and_b32_e32 v92, s59, v90
	s_delay_alu instid0(VALU_DEP_2) | instskip(NEXT) | instid1(VALU_DEP_1)
	v_add_co_u32 v90, s15, v91, -1
	v_cndmask_b32_e64 v91, 0, 1, s15
	s_delay_alu instid0(VALU_DEP_3) | instskip(SKIP_1) | instid1(VALU_DEP_3)
	v_dual_lshlrev_b32 v93, 30, v92 :: v_dual_lshlrev_b32 v95, 28, v92
	v_dual_lshlrev_b32 v94, 29, v92 :: v_dual_lshlrev_b32 v96, 27, v92
	v_cmp_ne_u32_e32 vcc_lo, 0, v91
	s_delay_alu instid0(VALU_DEP_3) | instskip(SKIP_1) | instid1(VALU_DEP_4)
	v_cmp_gt_i32_e64 s15, 0, v93
	v_not_b32_e32 v91, v93
	v_cmp_gt_i32_e64 s16, 0, v94
	v_not_b32_e32 v93, v94
	;; [unrolled: 2-line block ×3, first 2 shown]
	v_not_b32_e32 v95, v96
	s_delay_alu instid0(VALU_DEP_4) | instskip(NEXT) | instid1(VALU_DEP_2)
	v_dual_ashrrev_i32 v91, 31, v91 :: v_dual_ashrrev_i32 v93, 31, v93
	v_dual_ashrrev_i32 v94, 31, v94 :: v_dual_ashrrev_i32 v95, 31, v95
	v_dual_lshlrev_b32 v97, 26, v92 :: v_dual_lshlrev_b32 v196, 25, v92
	v_lshlrev_b32_e32 v197, 24, v92
	v_cmp_gt_i32_e64 s18, 0, v96
	v_xor_b32_e32 v91, s15, v91
	s_delay_alu instid0(VALU_DEP_4)
	v_not_b32_e32 v96, v97
	v_xor_b32_e32 v90, vcc_lo, v90
	v_cmp_gt_i32_e64 s19, 0, v97
	v_cmp_gt_i32_e64 s20, 0, v196
	v_not_b32_e32 v97, v196
	v_not_b32_e32 v196, v197
	v_dual_ashrrev_i32 v96, 31, v96 :: v_dual_bitop2_b32 v93, s16, v93 bitop3:0x14
	v_xor_b32_e32 v94, s17, v94
	v_bitop3_b32 v90, v90, v91, exec_lo bitop3:0x80
	v_cmp_gt_i32_e64 s21, 0, v197
	v_dual_ashrrev_i32 v91, 31, v97 :: v_dual_ashrrev_i32 v97, 31, v196
	v_xor_b32_e32 v95, s18, v95
	v_xor_b32_e32 v96, s19, v96
	v_bitop3_b32 v90, v90, v94, v93 bitop3:0x80
	v_mad_u32_u24 v93, v92, 36, v148
	v_xor_b32_e32 v91, s20, v91
	v_xor_b32_e32 v94, s21, v97
	s_delay_alu instid0(VALU_DEP_4) | instskip(SKIP_3) | instid1(VALU_DEP_2)
	v_bitop3_b32 v90, v90, v96, v95 bitop3:0x80
	ds_load_b32 v196, v93 offset:1056
	; wave barrier
	v_bitop3_b32 v90, v90, v94, v91 bitop3:0x80
	v_mul_u32_u24_e32 v91, 36, v92
	v_mbcnt_lo_u32_b32 v197, v90, 0
	v_cmp_ne_u32_e64 s15, 0, v90
	s_delay_alu instid0(VALU_DEP_3) | instskip(NEXT) | instid1(VALU_DEP_3)
	v_add_nc_u32_e32 v198, v148, v91
	v_cmp_eq_u32_e32 vcc_lo, 0, v197
	s_and_b32 s16, s15, vcc_lo
	s_delay_alu instid0(SALU_CYCLE_1)
	s_and_saveexec_b32 s15, s16
	s_cbranch_execz .LBB1113_152
; %bb.151:                              ;   in Loop: Header=BB1113_96 Depth=2
	s_wait_dscnt 0x0
	v_bcnt_u32_b32 v90, v90, v196
	ds_store_b32 v198, v90 offset:1056
.LBB1113_152:                           ;   in Loop: Header=BB1113_96 Depth=2
	s_or_b32 exec_lo, exec_lo, s15
	v_cmp_gt_i64_e32 vcc_lo, 0, v[80:81]
	; wave barrier
	v_cndmask_b32_e64 v91, 0x7fffffff, 0, vcc_lo
	s_delay_alu instid0(VALU_DEP_1) | instskip(NEXT) | instid1(VALU_DEP_1)
	v_dual_ashrrev_i32 v90, 31, v81 :: v_dual_bitop2_b32 v81, v91, v81 bitop3:0x14
	v_not_b32_e32 v90, v90
	s_delay_alu instid0(VALU_DEP_1) | instskip(NEXT) | instid1(VALU_DEP_1)
	v_xor_b32_e32 v80, v90, v80
	v_cmp_ne_u64_e32 vcc_lo, s[42:43], v[80:81]
	v_cndmask_b32_e32 v91, 0x7fffffff, v81, vcc_lo
	v_cndmask_b32_e32 v90, -1, v80, vcc_lo
	s_delay_alu instid0(VALU_DEP_1) | instskip(NEXT) | instid1(VALU_DEP_1)
	v_lshrrev_b64 v[90:91], s54, v[90:91]
	v_bitop3_b32 v91, v90, 1, s59 bitop3:0x80
	v_and_b32_e32 v92, s59, v90
	s_delay_alu instid0(VALU_DEP_2) | instskip(NEXT) | instid1(VALU_DEP_1)
	v_add_co_u32 v90, s15, v91, -1
	v_cndmask_b32_e64 v91, 0, 1, s15
	s_delay_alu instid0(VALU_DEP_3) | instskip(SKIP_1) | instid1(VALU_DEP_3)
	v_dual_lshlrev_b32 v93, 30, v92 :: v_dual_lshlrev_b32 v95, 28, v92
	v_dual_lshlrev_b32 v94, 29, v92 :: v_dual_lshlrev_b32 v96, 27, v92
	v_cmp_ne_u32_e32 vcc_lo, 0, v91
	s_delay_alu instid0(VALU_DEP_3) | instskip(SKIP_1) | instid1(VALU_DEP_4)
	v_cmp_gt_i32_e64 s15, 0, v93
	v_not_b32_e32 v91, v93
	v_cmp_gt_i32_e64 s16, 0, v94
	v_not_b32_e32 v93, v94
	;; [unrolled: 2-line block ×3, first 2 shown]
	v_not_b32_e32 v95, v96
	s_delay_alu instid0(VALU_DEP_4) | instskip(NEXT) | instid1(VALU_DEP_2)
	v_dual_ashrrev_i32 v91, 31, v91 :: v_dual_ashrrev_i32 v93, 31, v93
	v_dual_ashrrev_i32 v94, 31, v94 :: v_dual_ashrrev_i32 v95, 31, v95
	v_dual_lshlrev_b32 v97, 26, v92 :: v_dual_lshlrev_b32 v199, 25, v92
	v_lshlrev_b32_e32 v200, 24, v92
	v_cmp_gt_i32_e64 s18, 0, v96
	v_xor_b32_e32 v91, s15, v91
	s_delay_alu instid0(VALU_DEP_4)
	v_not_b32_e32 v96, v97
	v_xor_b32_e32 v90, vcc_lo, v90
	v_cmp_gt_i32_e64 s19, 0, v97
	v_cmp_gt_i32_e64 s20, 0, v199
	v_not_b32_e32 v97, v199
	v_not_b32_e32 v199, v200
	v_dual_ashrrev_i32 v96, 31, v96 :: v_dual_bitop2_b32 v93, s16, v93 bitop3:0x14
	v_xor_b32_e32 v94, s17, v94
	v_bitop3_b32 v90, v90, v91, exec_lo bitop3:0x80
	v_cmp_gt_i32_e64 s21, 0, v200
	v_dual_ashrrev_i32 v91, 31, v97 :: v_dual_ashrrev_i32 v97, 31, v199
	v_xor_b32_e32 v95, s18, v95
	v_xor_b32_e32 v96, s19, v96
	v_bitop3_b32 v90, v90, v94, v93 bitop3:0x80
	v_mad_u32_u24 v93, v92, 36, v148
	v_xor_b32_e32 v91, s20, v91
	v_xor_b32_e32 v94, s21, v97
	s_delay_alu instid0(VALU_DEP_4) | instskip(SKIP_3) | instid1(VALU_DEP_2)
	v_bitop3_b32 v90, v90, v96, v95 bitop3:0x80
	ds_load_b32 v199, v93 offset:1056
	; wave barrier
	v_bitop3_b32 v90, v90, v94, v91 bitop3:0x80
	v_mul_u32_u24_e32 v91, 36, v92
	v_mbcnt_lo_u32_b32 v200, v90, 0
	v_cmp_ne_u32_e64 s15, 0, v90
	s_delay_alu instid0(VALU_DEP_3) | instskip(NEXT) | instid1(VALU_DEP_3)
	v_add_nc_u32_e32 v201, v148, v91
	v_cmp_eq_u32_e32 vcc_lo, 0, v200
	s_and_b32 s16, s15, vcc_lo
	s_delay_alu instid0(SALU_CYCLE_1)
	s_and_saveexec_b32 s15, s16
	s_cbranch_execz .LBB1113_154
; %bb.153:                              ;   in Loop: Header=BB1113_96 Depth=2
	s_wait_dscnt 0x0
	v_bcnt_u32_b32 v90, v90, v199
	ds_store_b32 v201, v90 offset:1056
.LBB1113_154:                           ;   in Loop: Header=BB1113_96 Depth=2
	s_or_b32 exec_lo, exec_lo, s15
	v_cmp_gt_i64_e32 vcc_lo, 0, v[76:77]
	; wave barrier
	v_cndmask_b32_e64 v91, 0x7fffffff, 0, vcc_lo
	s_delay_alu instid0(VALU_DEP_1) | instskip(NEXT) | instid1(VALU_DEP_1)
	v_dual_ashrrev_i32 v90, 31, v77 :: v_dual_bitop2_b32 v77, v91, v77 bitop3:0x14
	v_not_b32_e32 v90, v90
	s_delay_alu instid0(VALU_DEP_1) | instskip(NEXT) | instid1(VALU_DEP_1)
	v_xor_b32_e32 v76, v90, v76
	v_cmp_ne_u64_e32 vcc_lo, s[42:43], v[76:77]
	v_cndmask_b32_e32 v91, 0x7fffffff, v77, vcc_lo
	v_cndmask_b32_e32 v90, -1, v76, vcc_lo
	s_delay_alu instid0(VALU_DEP_1) | instskip(NEXT) | instid1(VALU_DEP_1)
	v_lshrrev_b64 v[90:91], s54, v[90:91]
	v_bitop3_b32 v91, v90, 1, s59 bitop3:0x80
	v_and_b32_e32 v92, s59, v90
	s_delay_alu instid0(VALU_DEP_2) | instskip(NEXT) | instid1(VALU_DEP_1)
	v_add_co_u32 v90, s15, v91, -1
	v_cndmask_b32_e64 v91, 0, 1, s15
	s_delay_alu instid0(VALU_DEP_3) | instskip(SKIP_1) | instid1(VALU_DEP_3)
	v_dual_lshlrev_b32 v93, 30, v92 :: v_dual_lshlrev_b32 v95, 28, v92
	v_dual_lshlrev_b32 v94, 29, v92 :: v_dual_lshlrev_b32 v96, 27, v92
	v_cmp_ne_u32_e32 vcc_lo, 0, v91
	s_delay_alu instid0(VALU_DEP_3) | instskip(SKIP_1) | instid1(VALU_DEP_4)
	v_cmp_gt_i32_e64 s15, 0, v93
	v_not_b32_e32 v91, v93
	v_cmp_gt_i32_e64 s16, 0, v94
	v_not_b32_e32 v93, v94
	;; [unrolled: 2-line block ×3, first 2 shown]
	v_not_b32_e32 v95, v96
	s_delay_alu instid0(VALU_DEP_4) | instskip(NEXT) | instid1(VALU_DEP_2)
	v_dual_ashrrev_i32 v91, 31, v91 :: v_dual_ashrrev_i32 v93, 31, v93
	v_dual_ashrrev_i32 v94, 31, v94 :: v_dual_ashrrev_i32 v95, 31, v95
	v_dual_lshlrev_b32 v97, 26, v92 :: v_dual_lshlrev_b32 v202, 25, v92
	v_lshlrev_b32_e32 v203, 24, v92
	v_cmp_gt_i32_e64 s18, 0, v96
	v_xor_b32_e32 v91, s15, v91
	s_delay_alu instid0(VALU_DEP_4)
	v_not_b32_e32 v96, v97
	v_xor_b32_e32 v90, vcc_lo, v90
	v_cmp_gt_i32_e64 s19, 0, v97
	v_cmp_gt_i32_e64 s20, 0, v202
	v_not_b32_e32 v97, v202
	v_not_b32_e32 v202, v203
	v_dual_ashrrev_i32 v96, 31, v96 :: v_dual_bitop2_b32 v93, s16, v93 bitop3:0x14
	v_xor_b32_e32 v94, s17, v94
	v_bitop3_b32 v90, v90, v91, exec_lo bitop3:0x80
	v_cmp_gt_i32_e64 s21, 0, v203
	v_dual_ashrrev_i32 v91, 31, v97 :: v_dual_ashrrev_i32 v97, 31, v202
	v_xor_b32_e32 v95, s18, v95
	v_xor_b32_e32 v96, s19, v96
	v_bitop3_b32 v90, v90, v94, v93 bitop3:0x80
	v_mad_u32_u24 v93, v92, 36, v148
	v_xor_b32_e32 v91, s20, v91
	v_xor_b32_e32 v94, s21, v97
	s_delay_alu instid0(VALU_DEP_4) | instskip(SKIP_3) | instid1(VALU_DEP_2)
	v_bitop3_b32 v90, v90, v96, v95 bitop3:0x80
	ds_load_b32 v202, v93 offset:1056
	; wave barrier
	v_bitop3_b32 v90, v90, v94, v91 bitop3:0x80
	v_mul_u32_u24_e32 v91, 36, v92
	v_mbcnt_lo_u32_b32 v203, v90, 0
	v_cmp_ne_u32_e64 s15, 0, v90
	s_delay_alu instid0(VALU_DEP_3) | instskip(NEXT) | instid1(VALU_DEP_3)
	v_add_nc_u32_e32 v204, v148, v91
	v_cmp_eq_u32_e32 vcc_lo, 0, v203
	s_and_b32 s16, s15, vcc_lo
	s_delay_alu instid0(SALU_CYCLE_1)
	s_and_saveexec_b32 s15, s16
	s_cbranch_execz .LBB1113_156
; %bb.155:                              ;   in Loop: Header=BB1113_96 Depth=2
	s_wait_dscnt 0x0
	v_bcnt_u32_b32 v90, v90, v202
	ds_store_b32 v204, v90 offset:1056
.LBB1113_156:                           ;   in Loop: Header=BB1113_96 Depth=2
	s_or_b32 exec_lo, exec_lo, s15
	v_cmp_gt_i64_e32 vcc_lo, 0, v[72:73]
	; wave barrier
	v_cndmask_b32_e64 v91, 0x7fffffff, 0, vcc_lo
	s_delay_alu instid0(VALU_DEP_1) | instskip(NEXT) | instid1(VALU_DEP_1)
	v_dual_ashrrev_i32 v90, 31, v73 :: v_dual_bitop2_b32 v73, v91, v73 bitop3:0x14
	v_not_b32_e32 v90, v90
	s_delay_alu instid0(VALU_DEP_1) | instskip(NEXT) | instid1(VALU_DEP_1)
	v_xor_b32_e32 v72, v90, v72
	v_cmp_ne_u64_e32 vcc_lo, s[42:43], v[72:73]
	v_cndmask_b32_e32 v91, 0x7fffffff, v73, vcc_lo
	v_cndmask_b32_e32 v90, -1, v72, vcc_lo
	s_delay_alu instid0(VALU_DEP_1) | instskip(NEXT) | instid1(VALU_DEP_1)
	v_lshrrev_b64 v[90:91], s54, v[90:91]
	v_bitop3_b32 v91, v90, 1, s59 bitop3:0x80
	v_and_b32_e32 v92, s59, v90
	s_delay_alu instid0(VALU_DEP_2) | instskip(NEXT) | instid1(VALU_DEP_1)
	v_add_co_u32 v90, s15, v91, -1
	v_cndmask_b32_e64 v91, 0, 1, s15
	s_delay_alu instid0(VALU_DEP_3) | instskip(SKIP_1) | instid1(VALU_DEP_3)
	v_dual_lshlrev_b32 v93, 30, v92 :: v_dual_lshlrev_b32 v95, 28, v92
	v_dual_lshlrev_b32 v94, 29, v92 :: v_dual_lshlrev_b32 v96, 27, v92
	v_cmp_ne_u32_e32 vcc_lo, 0, v91
	s_delay_alu instid0(VALU_DEP_3) | instskip(SKIP_1) | instid1(VALU_DEP_4)
	v_cmp_gt_i32_e64 s15, 0, v93
	v_not_b32_e32 v91, v93
	v_cmp_gt_i32_e64 s16, 0, v94
	v_not_b32_e32 v93, v94
	;; [unrolled: 2-line block ×3, first 2 shown]
	v_not_b32_e32 v95, v96
	s_delay_alu instid0(VALU_DEP_4) | instskip(NEXT) | instid1(VALU_DEP_2)
	v_dual_ashrrev_i32 v91, 31, v91 :: v_dual_ashrrev_i32 v93, 31, v93
	v_dual_ashrrev_i32 v94, 31, v94 :: v_dual_ashrrev_i32 v95, 31, v95
	v_dual_lshlrev_b32 v97, 26, v92 :: v_dual_lshlrev_b32 v205, 25, v92
	v_lshlrev_b32_e32 v206, 24, v92
	v_cmp_gt_i32_e64 s18, 0, v96
	v_xor_b32_e32 v91, s15, v91
	s_delay_alu instid0(VALU_DEP_4)
	v_not_b32_e32 v96, v97
	v_xor_b32_e32 v90, vcc_lo, v90
	v_cmp_gt_i32_e64 s19, 0, v97
	v_cmp_gt_i32_e64 s20, 0, v205
	v_not_b32_e32 v97, v205
	v_not_b32_e32 v205, v206
	v_dual_ashrrev_i32 v96, 31, v96 :: v_dual_bitop2_b32 v93, s16, v93 bitop3:0x14
	v_xor_b32_e32 v94, s17, v94
	v_bitop3_b32 v90, v90, v91, exec_lo bitop3:0x80
	v_cmp_gt_i32_e64 s21, 0, v206
	v_ashrrev_i32_e32 v91, 31, v97
	v_dual_ashrrev_i32 v97, 31, v205 :: v_dual_bitop2_b32 v95, s18, v95 bitop3:0x14
	v_xor_b32_e32 v96, s19, v96
	v_bitop3_b32 v90, v90, v94, v93 bitop3:0x80
	v_mad_u32_u24 v93, v92, 36, v148
	v_xor_b32_e32 v91, s20, v91
	v_xor_b32_e32 v94, s21, v97
	s_delay_alu instid0(VALU_DEP_4) | instskip(SKIP_3) | instid1(VALU_DEP_2)
	v_bitop3_b32 v90, v90, v96, v95 bitop3:0x80
	ds_load_b32 v205, v93 offset:1056
	; wave barrier
	v_bitop3_b32 v90, v90, v94, v91 bitop3:0x80
	v_mul_u32_u24_e32 v91, 36, v92
	v_mbcnt_lo_u32_b32 v206, v90, 0
	v_cmp_ne_u32_e64 s15, 0, v90
	s_delay_alu instid0(VALU_DEP_3) | instskip(NEXT) | instid1(VALU_DEP_3)
	v_add_nc_u32_e32 v207, v148, v91
	v_cmp_eq_u32_e32 vcc_lo, 0, v206
	s_and_b32 s16, s15, vcc_lo
	s_delay_alu instid0(SALU_CYCLE_1)
	s_and_saveexec_b32 s15, s16
	s_cbranch_execz .LBB1113_158
; %bb.157:                              ;   in Loop: Header=BB1113_96 Depth=2
	s_wait_dscnt 0x0
	v_bcnt_u32_b32 v90, v90, v205
	ds_store_b32 v207, v90 offset:1056
.LBB1113_158:                           ;   in Loop: Header=BB1113_96 Depth=2
	s_or_b32 exec_lo, exec_lo, s15
	v_cmp_gt_i64_e32 vcc_lo, 0, v[68:69]
	; wave barrier
	v_cndmask_b32_e64 v91, 0x7fffffff, 0, vcc_lo
	s_delay_alu instid0(VALU_DEP_1) | instskip(NEXT) | instid1(VALU_DEP_1)
	v_dual_ashrrev_i32 v90, 31, v69 :: v_dual_bitop2_b32 v69, v91, v69 bitop3:0x14
	v_not_b32_e32 v90, v90
	s_delay_alu instid0(VALU_DEP_1) | instskip(NEXT) | instid1(VALU_DEP_1)
	v_xor_b32_e32 v68, v90, v68
	v_cmp_ne_u64_e32 vcc_lo, s[42:43], v[68:69]
	v_cndmask_b32_e32 v91, 0x7fffffff, v69, vcc_lo
	v_cndmask_b32_e32 v90, -1, v68, vcc_lo
	s_delay_alu instid0(VALU_DEP_1) | instskip(NEXT) | instid1(VALU_DEP_1)
	v_lshrrev_b64 v[90:91], s54, v[90:91]
	v_bitop3_b32 v91, v90, 1, s59 bitop3:0x80
	v_and_b32_e32 v92, s59, v90
	s_delay_alu instid0(VALU_DEP_2) | instskip(NEXT) | instid1(VALU_DEP_1)
	v_add_co_u32 v90, s15, v91, -1
	v_cndmask_b32_e64 v91, 0, 1, s15
	s_delay_alu instid0(VALU_DEP_3) | instskip(SKIP_1) | instid1(VALU_DEP_3)
	v_dual_lshlrev_b32 v93, 30, v92 :: v_dual_lshlrev_b32 v95, 28, v92
	v_dual_lshlrev_b32 v94, 29, v92 :: v_dual_lshlrev_b32 v96, 27, v92
	v_cmp_ne_u32_e32 vcc_lo, 0, v91
	s_delay_alu instid0(VALU_DEP_3) | instskip(SKIP_1) | instid1(VALU_DEP_4)
	v_cmp_gt_i32_e64 s15, 0, v93
	v_not_b32_e32 v91, v93
	v_cmp_gt_i32_e64 s16, 0, v94
	v_not_b32_e32 v93, v94
	;; [unrolled: 2-line block ×3, first 2 shown]
	v_not_b32_e32 v95, v96
	s_delay_alu instid0(VALU_DEP_4) | instskip(NEXT) | instid1(VALU_DEP_2)
	v_dual_ashrrev_i32 v91, 31, v91 :: v_dual_ashrrev_i32 v93, 31, v93
	v_dual_ashrrev_i32 v94, 31, v94 :: v_dual_ashrrev_i32 v95, 31, v95
	v_dual_lshlrev_b32 v97, 26, v92 :: v_dual_lshlrev_b32 v208, 25, v92
	v_lshlrev_b32_e32 v209, 24, v92
	v_cmp_gt_i32_e64 s18, 0, v96
	v_xor_b32_e32 v91, s15, v91
	s_delay_alu instid0(VALU_DEP_4)
	v_not_b32_e32 v96, v97
	v_xor_b32_e32 v90, vcc_lo, v90
	v_cmp_gt_i32_e64 s19, 0, v97
	v_cmp_gt_i32_e64 s20, 0, v208
	v_not_b32_e32 v97, v208
	v_not_b32_e32 v208, v209
	v_dual_ashrrev_i32 v96, 31, v96 :: v_dual_bitop2_b32 v93, s16, v93 bitop3:0x14
	v_xor_b32_e32 v94, s17, v94
	v_bitop3_b32 v90, v90, v91, exec_lo bitop3:0x80
	v_cmp_gt_i32_e64 s21, 0, v209
	v_dual_ashrrev_i32 v91, 31, v97 :: v_dual_ashrrev_i32 v97, 31, v208
	v_xor_b32_e32 v95, s18, v95
	v_xor_b32_e32 v96, s19, v96
	v_bitop3_b32 v90, v90, v94, v93 bitop3:0x80
	v_mad_u32_u24 v93, v92, 36, v148
	v_xor_b32_e32 v91, s20, v91
	v_xor_b32_e32 v94, s21, v97
	s_delay_alu instid0(VALU_DEP_4) | instskip(SKIP_3) | instid1(VALU_DEP_2)
	v_bitop3_b32 v90, v90, v96, v95 bitop3:0x80
	ds_load_b32 v208, v93 offset:1056
	; wave barrier
	v_bitop3_b32 v90, v90, v94, v91 bitop3:0x80
	v_mul_u32_u24_e32 v91, 36, v92
	v_mbcnt_lo_u32_b32 v209, v90, 0
	v_cmp_ne_u32_e64 s15, 0, v90
	s_delay_alu instid0(VALU_DEP_3) | instskip(NEXT) | instid1(VALU_DEP_3)
	v_add_nc_u32_e32 v211, v148, v91
	v_cmp_eq_u32_e32 vcc_lo, 0, v209
	s_and_b32 s16, s15, vcc_lo
	s_delay_alu instid0(SALU_CYCLE_1)
	s_and_saveexec_b32 s15, s16
	s_cbranch_execz .LBB1113_160
; %bb.159:                              ;   in Loop: Header=BB1113_96 Depth=2
	s_wait_dscnt 0x0
	v_bcnt_u32_b32 v90, v90, v208
	ds_store_b32 v211, v90 offset:1056
.LBB1113_160:                           ;   in Loop: Header=BB1113_96 Depth=2
	s_or_b32 exec_lo, exec_lo, s15
	v_cmp_gt_i64_e32 vcc_lo, 0, v[64:65]
	; wave barrier
	v_cndmask_b32_e64 v91, 0x7fffffff, 0, vcc_lo
	s_delay_alu instid0(VALU_DEP_1) | instskip(NEXT) | instid1(VALU_DEP_1)
	v_dual_ashrrev_i32 v90, 31, v65 :: v_dual_bitop2_b32 v65, v91, v65 bitop3:0x14
	v_not_b32_e32 v90, v90
	s_delay_alu instid0(VALU_DEP_1) | instskip(NEXT) | instid1(VALU_DEP_1)
	v_xor_b32_e32 v64, v90, v64
	v_cmp_ne_u64_e32 vcc_lo, s[42:43], v[64:65]
	v_cndmask_b32_e32 v91, 0x7fffffff, v65, vcc_lo
	v_cndmask_b32_e32 v90, -1, v64, vcc_lo
	s_delay_alu instid0(VALU_DEP_1) | instskip(NEXT) | instid1(VALU_DEP_1)
	v_lshrrev_b64 v[90:91], s54, v[90:91]
	v_bitop3_b32 v91, v90, 1, s59 bitop3:0x80
	v_and_b32_e32 v92, s59, v90
	s_delay_alu instid0(VALU_DEP_2) | instskip(NEXT) | instid1(VALU_DEP_1)
	v_add_co_u32 v90, s15, v91, -1
	v_cndmask_b32_e64 v91, 0, 1, s15
	s_delay_alu instid0(VALU_DEP_3) | instskip(SKIP_1) | instid1(VALU_DEP_3)
	v_dual_lshlrev_b32 v93, 30, v92 :: v_dual_lshlrev_b32 v95, 28, v92
	v_dual_lshlrev_b32 v94, 29, v92 :: v_dual_lshlrev_b32 v96, 27, v92
	v_cmp_ne_u32_e32 vcc_lo, 0, v91
	s_delay_alu instid0(VALU_DEP_3) | instskip(SKIP_1) | instid1(VALU_DEP_4)
	v_cmp_gt_i32_e64 s15, 0, v93
	v_not_b32_e32 v91, v93
	v_cmp_gt_i32_e64 s16, 0, v94
	v_not_b32_e32 v93, v94
	;; [unrolled: 2-line block ×3, first 2 shown]
	v_not_b32_e32 v95, v96
	s_delay_alu instid0(VALU_DEP_4) | instskip(NEXT) | instid1(VALU_DEP_2)
	v_dual_ashrrev_i32 v91, 31, v91 :: v_dual_ashrrev_i32 v93, 31, v93
	v_dual_ashrrev_i32 v94, 31, v94 :: v_dual_ashrrev_i32 v95, 31, v95
	v_dual_lshlrev_b32 v97, 26, v92 :: v_dual_lshlrev_b32 v210, 25, v92
	v_lshlrev_b32_e32 v212, 24, v92
	v_cmp_gt_i32_e64 s18, 0, v96
	v_xor_b32_e32 v91, s15, v91
	s_delay_alu instid0(VALU_DEP_4)
	v_not_b32_e32 v96, v97
	v_xor_b32_e32 v90, vcc_lo, v90
	v_cmp_gt_i32_e64 s19, 0, v97
	v_cmp_gt_i32_e64 s20, 0, v210
	v_not_b32_e32 v97, v210
	v_not_b32_e32 v210, v212
	v_dual_ashrrev_i32 v96, 31, v96 :: v_dual_bitop2_b32 v93, s16, v93 bitop3:0x14
	v_xor_b32_e32 v94, s17, v94
	v_bitop3_b32 v90, v90, v91, exec_lo bitop3:0x80
	v_cmp_gt_i32_e64 s21, 0, v212
	v_dual_ashrrev_i32 v91, 31, v97 :: v_dual_ashrrev_i32 v97, 31, v210
	v_xor_b32_e32 v95, s18, v95
	v_xor_b32_e32 v96, s19, v96
	v_bitop3_b32 v90, v90, v94, v93 bitop3:0x80
	v_mad_u32_u24 v93, v92, 36, v148
	v_xor_b32_e32 v91, s20, v91
	v_xor_b32_e32 v94, s21, v97
	s_delay_alu instid0(VALU_DEP_4) | instskip(SKIP_3) | instid1(VALU_DEP_2)
	v_bitop3_b32 v90, v90, v96, v95 bitop3:0x80
	ds_load_b32 v210, v93 offset:1056
	; wave barrier
	v_bitop3_b32 v90, v90, v94, v91 bitop3:0x80
	v_mul_u32_u24_e32 v91, 36, v92
	v_mbcnt_lo_u32_b32 v212, v90, 0
	v_cmp_ne_u32_e64 s15, 0, v90
	s_delay_alu instid0(VALU_DEP_3) | instskip(NEXT) | instid1(VALU_DEP_3)
	v_add_nc_u32_e32 v215, v148, v91
	v_cmp_eq_u32_e32 vcc_lo, 0, v212
	s_and_b32 s16, s15, vcc_lo
	s_delay_alu instid0(SALU_CYCLE_1)
	s_and_saveexec_b32 s15, s16
	s_cbranch_execz .LBB1113_162
; %bb.161:                              ;   in Loop: Header=BB1113_96 Depth=2
	s_wait_dscnt 0x0
	v_bcnt_u32_b32 v90, v90, v210
	ds_store_b32 v215, v90 offset:1056
.LBB1113_162:                           ;   in Loop: Header=BB1113_96 Depth=2
	s_or_b32 exec_lo, exec_lo, s15
	v_cmp_gt_i64_e32 vcc_lo, 0, v[66:67]
	; wave barrier
	v_cndmask_b32_e64 v91, 0x7fffffff, 0, vcc_lo
	s_delay_alu instid0(VALU_DEP_1) | instskip(NEXT) | instid1(VALU_DEP_1)
	v_dual_ashrrev_i32 v90, 31, v67 :: v_dual_bitop2_b32 v67, v91, v67 bitop3:0x14
	v_not_b32_e32 v90, v90
	s_delay_alu instid0(VALU_DEP_1) | instskip(NEXT) | instid1(VALU_DEP_1)
	v_xor_b32_e32 v66, v90, v66
	v_cmp_ne_u64_e32 vcc_lo, s[42:43], v[66:67]
	v_cndmask_b32_e32 v91, 0x7fffffff, v67, vcc_lo
	v_cndmask_b32_e32 v90, -1, v66, vcc_lo
	s_delay_alu instid0(VALU_DEP_1) | instskip(NEXT) | instid1(VALU_DEP_1)
	v_lshrrev_b64 v[90:91], s54, v[90:91]
	v_bitop3_b32 v91, v90, 1, s59 bitop3:0x80
	v_and_b32_e32 v92, s59, v90
	s_delay_alu instid0(VALU_DEP_2) | instskip(NEXT) | instid1(VALU_DEP_1)
	v_add_co_u32 v90, s15, v91, -1
	v_cndmask_b32_e64 v91, 0, 1, s15
	s_delay_alu instid0(VALU_DEP_3) | instskip(NEXT) | instid1(VALU_DEP_2)
	v_lshlrev_b32_e32 v93, 30, v92
	v_cmp_ne_u32_e32 vcc_lo, 0, v91
	s_delay_alu instid0(VALU_DEP_2) | instskip(SKIP_1) | instid1(VALU_DEP_2)
	v_not_b32_e32 v91, v93
	v_cmp_gt_i32_e64 s15, 0, v93
	v_dual_ashrrev_i32 v91, 31, v91 :: v_dual_lshlrev_b32 v94, 29, v92
	v_dual_lshlrev_b32 v95, 28, v92 :: v_dual_lshlrev_b32 v96, 27, v92
	v_dual_lshlrev_b32 v97, 26, v92 :: v_dual_lshlrev_b32 v213, 25, v92
	v_lshlrev_b32_e32 v214, 24, v92
	s_delay_alu instid0(VALU_DEP_4)
	v_cmp_gt_i32_e64 s16, 0, v94
	v_not_b32_e32 v93, v94
	v_not_b32_e32 v94, v95
	v_cmp_gt_i32_e64 s17, 0, v95
	v_cmp_gt_i32_e64 s18, 0, v96
	v_not_b32_e32 v95, v96
	v_not_b32_e32 v96, v97
	v_dual_ashrrev_i32 v93, 31, v93 :: v_dual_bitop2_b32 v90, vcc_lo, v90 bitop3:0x14
	v_dual_ashrrev_i32 v94, 31, v94 :: v_dual_bitop2_b32 v91, s15, v91 bitop3:0x14
	v_cmp_gt_i32_e64 s19, 0, v97
	v_cmp_gt_i32_e64 s20, 0, v213
	v_not_b32_e32 v97, v213
	v_not_b32_e32 v213, v214
	v_dual_ashrrev_i32 v95, 31, v95 :: v_dual_ashrrev_i32 v96, 31, v96
	v_xor_b32_e32 v93, s16, v93
	v_xor_b32_e32 v94, s17, v94
	v_bitop3_b32 v90, v90, v91, exec_lo bitop3:0x80
	v_cmp_gt_i32_e64 s21, 0, v214
	v_ashrrev_i32_e32 v91, 31, v97
	v_dual_ashrrev_i32 v97, 31, v213 :: v_dual_bitop2_b32 v95, s18, v95 bitop3:0x14
	v_xor_b32_e32 v96, s19, v96
	v_bitop3_b32 v90, v90, v94, v93 bitop3:0x80
	v_mad_u32_u24 v93, v92, 36, v148
	v_xor_b32_e32 v91, s20, v91
	v_xor_b32_e32 v94, s21, v97
	s_delay_alu instid0(VALU_DEP_4) | instskip(SKIP_3) | instid1(VALU_DEP_2)
	v_bitop3_b32 v90, v90, v96, v95 bitop3:0x80
	ds_load_b32 v213, v93 offset:1056
	; wave barrier
	v_bitop3_b32 v90, v90, v94, v91 bitop3:0x80
	v_mul_u32_u24_e32 v91, 36, v92
	v_mbcnt_lo_u32_b32 v214, v90, 0
	v_cmp_ne_u32_e64 s15, 0, v90
	s_delay_alu instid0(VALU_DEP_3) | instskip(NEXT) | instid1(VALU_DEP_3)
	v_add_nc_u32_e32 v216, v148, v91
	v_cmp_eq_u32_e32 vcc_lo, 0, v214
	s_and_b32 s16, s15, vcc_lo
	s_delay_alu instid0(SALU_CYCLE_1)
	s_and_saveexec_b32 s15, s16
	s_cbranch_execz .LBB1113_164
; %bb.163:                              ;   in Loop: Header=BB1113_96 Depth=2
	s_wait_dscnt 0x0
	v_bcnt_u32_b32 v90, v90, v213
	ds_store_b32 v216, v90 offset:1056
.LBB1113_164:                           ;   in Loop: Header=BB1113_96 Depth=2
	s_or_b32 exec_lo, exec_lo, s15
	; wave barrier
	s_wait_dscnt 0x0
	s_barrier_signal -1
	s_barrier_wait -1
	ds_load_2addr_b32 v[96:97], v168 offset1:1
	ds_load_2addr_b32 v[94:95], v169 offset1:1
	;; [unrolled: 1-line block ×4, first 2 shown]
	ds_load_b32 v217, v120 offset:1088
	s_wait_dscnt 0x3
	v_add3_u32 v218, v97, v96, v94
	s_wait_dscnt 0x2
	s_delay_alu instid0(VALU_DEP_1) | instskip(SKIP_1) | instid1(VALU_DEP_1)
	v_add3_u32 v218, v218, v95, v92
	s_wait_dscnt 0x1
	v_add3_u32 v218, v218, v93, v90
	s_wait_dscnt 0x0
	s_delay_alu instid0(VALU_DEP_1) | instskip(NEXT) | instid1(VALU_DEP_1)
	v_add3_u32 v217, v218, v91, v217
	v_mov_b32_dpp v218, v217 row_shr:1 row_mask:0xf bank_mask:0xf
	s_delay_alu instid0(VALU_DEP_1) | instskip(NEXT) | instid1(VALU_DEP_1)
	v_cndmask_b32_e64 v218, v218, 0, s7
	v_add_nc_u32_e32 v217, v218, v217
	s_delay_alu instid0(VALU_DEP_1) | instskip(NEXT) | instid1(VALU_DEP_1)
	v_mov_b32_dpp v218, v217 row_shr:2 row_mask:0xf bank_mask:0xf
	v_cndmask_b32_e64 v218, 0, v218, s8
	s_delay_alu instid0(VALU_DEP_1) | instskip(NEXT) | instid1(VALU_DEP_1)
	v_add_nc_u32_e32 v217, v217, v218
	v_mov_b32_dpp v218, v217 row_shr:4 row_mask:0xf bank_mask:0xf
	s_delay_alu instid0(VALU_DEP_1) | instskip(NEXT) | instid1(VALU_DEP_1)
	v_cndmask_b32_e64 v218, 0, v218, s9
	v_add_nc_u32_e32 v217, v217, v218
	s_delay_alu instid0(VALU_DEP_1) | instskip(NEXT) | instid1(VALU_DEP_1)
	v_mov_b32_dpp v218, v217 row_shr:8 row_mask:0xf bank_mask:0xf
	v_cndmask_b32_e64 v218, 0, v218, s10
	s_delay_alu instid0(VALU_DEP_1) | instskip(SKIP_3) | instid1(VALU_DEP_1)
	v_add_nc_u32_e32 v217, v217, v218
	ds_swizzle_b32 v218, v217 offset:swizzle(BROADCAST,32,15)
	s_wait_dscnt 0x0
	v_cndmask_b32_e64 v218, v218, 0, s11
	v_add_nc_u32_e32 v217, v217, v218
	s_and_saveexec_b32 s15, s1
; %bb.165:                              ;   in Loop: Header=BB1113_96 Depth=2
	ds_store_b32 v114, v217 offset:1024
; %bb.166:                              ;   in Loop: Header=BB1113_96 Depth=2
	s_or_b32 exec_lo, exec_lo, s15
	s_wait_dscnt 0x0
	s_barrier_signal -1
	s_barrier_wait -1
	s_and_saveexec_b32 s15, s4
	s_cbranch_execz .LBB1113_168
; %bb.167:                              ;   in Loop: Header=BB1113_96 Depth=2
	ds_load_b32 v218, v122 offset:1024
	s_wait_dscnt 0x0
	v_mov_b32_dpp v219, v218 row_shr:1 row_mask:0xf bank_mask:0xf
	s_delay_alu instid0(VALU_DEP_1) | instskip(NEXT) | instid1(VALU_DEP_1)
	v_cndmask_b32_e64 v219, v219, 0, s12
	v_add_nc_u32_e32 v218, v219, v218
	s_delay_alu instid0(VALU_DEP_1) | instskip(NEXT) | instid1(VALU_DEP_1)
	v_mov_b32_dpp v219, v218 row_shr:2 row_mask:0xf bank_mask:0xf
	v_cndmask_b32_e64 v219, 0, v219, s13
	s_delay_alu instid0(VALU_DEP_1) | instskip(NEXT) | instid1(VALU_DEP_1)
	v_add_nc_u32_e32 v218, v218, v219
	v_mov_b32_dpp v219, v218 row_shr:4 row_mask:0xf bank_mask:0xf
	s_delay_alu instid0(VALU_DEP_1) | instskip(NEXT) | instid1(VALU_DEP_1)
	v_cndmask_b32_e64 v219, 0, v219, s14
	v_add_nc_u32_e32 v218, v218, v219
	ds_store_b32 v122, v218 offset:1024
.LBB1113_168:                           ;   in Loop: Header=BB1113_96 Depth=2
	s_or_b32 exec_lo, exec_lo, s15
	v_mov_b32_e32 v218, 0
	s_wait_dscnt 0x0
	s_barrier_signal -1
	s_barrier_wait -1
	s_and_saveexec_b32 s15, s5
; %bb.169:                              ;   in Loop: Header=BB1113_96 Depth=2
	ds_load_b32 v218, v114 offset:1020
; %bb.170:                              ;   in Loop: Header=BB1113_96 Depth=2
	s_or_b32 exec_lo, exec_lo, s15
	s_wait_dscnt 0x0
	v_add_nc_u32_e32 v217, v218, v217
	ds_bpermute_b32 v217, v147, v217
	s_wait_dscnt 0x0
	v_cndmask_b32_e64 v217, v217, v218, s6
	s_delay_alu instid0(VALU_DEP_1) | instskip(NEXT) | instid1(VALU_DEP_1)
	v_cndmask_b32_e64 v217, v217, 0, s2
	v_add_nc_u32_e32 v96, v217, v96
	s_delay_alu instid0(VALU_DEP_1) | instskip(NEXT) | instid1(VALU_DEP_1)
	v_add_nc_u32_e32 v97, v96, v97
	v_add_nc_u32_e32 v94, v97, v94
	s_delay_alu instid0(VALU_DEP_1) | instskip(NEXT) | instid1(VALU_DEP_1)
	v_add_nc_u32_e32 v95, v94, v95
	;; [unrolled: 3-line block ×3, first 2 shown]
	v_add_nc_u32_e32 v90, v93, v90
	s_delay_alu instid0(VALU_DEP_1)
	v_add_nc_u32_e32 v91, v90, v91
	ds_store_2addr_b32 v167, v93, v90 offset1:1
	ds_store_2addr_b32 v168, v217, v96 offset1:1
	;; [unrolled: 1-line block ×4, first 2 shown]
	ds_store_b32 v120, v91 offset:1088
	s_wait_dscnt 0x0
	s_barrier_signal -1
	s_barrier_wait -1
	ds_load_b32 v91, v171 offset:1056
	ds_load_b32 v96, v174 offset:1056
	;; [unrolled: 1-line block ×17, first 2 shown]
	v_mov_b32_e32 v90, 0x1000
	s_and_saveexec_b32 s15, s3
; %bb.171:                              ;   in Loop: Header=BB1113_96 Depth=2
	ds_load_b32 v90, v120 offset:1092
; %bb.172:                              ;   in Loop: Header=BB1113_96 Depth=2
	s_or_b32 exec_lo, exec_lo, s15
	s_wait_dscnt 0x0
	s_barrier_signal -1
	s_barrier_wait -1
	s_and_saveexec_b32 s15, s0
	s_cbranch_execz .LBB1113_174
; %bb.173:                              ;   in Loop: Header=BB1113_96 Depth=2
	ds_load_b32 v189, v3
	s_wait_dscnt 0x0
	v_sub_nc_u32_e32 v186, v189, v186
	ds_store_b32 v3, v186
.LBB1113_174:                           ;   in Loop: Header=BB1113_96 Depth=2
	s_or_b32 exec_lo, exec_lo, s15
	v_dual_lshlrev_b32 v166, 3, v166 :: v_dual_lshlrev_b32 v173, 3, v173
	v_lshlrev_b32_e32 v172, 3, v172
	v_dual_lshlrev_b32 v96, 3, v96 :: v_dual_lshlrev_b32 v95, 3, v95
	s_delay_alu instid0(VALU_DEP_3)
	v_lshl_add_u32 v91, v91, 3, v166
	v_dual_lshlrev_b32 v176, 3, v176 :: v_dual_lshlrev_b32 v166, 3, v175
	v_dual_lshlrev_b32 v175, 3, v179 :: v_dual_lshlrev_b32 v178, 3, v178
	v_lshlrev_b32_e32 v179, 3, v181
	ds_store_b64 v91, v[58:59] offset:1024
	v_dual_lshlrev_b32 v58, 3, v94 :: v_dual_lshlrev_b32 v181, 3, v93
	v_dual_lshlrev_b32 v59, 3, v182 :: v_dual_lshlrev_b32 v182, 3, v185
	v_lshlrev_b32_e32 v184, 3, v184
	v_lshlrev_b32_e32 v185, 3, v92
	v_add3_u32 v92, v173, v172, v96
	v_add3_u32 v93, v176, v166, v95
	v_add3_u32 v94, v175, v178, v58
	v_add3_u32 v95, v59, v179, v181
	v_lshlrev_b32_e32 v59, 3, v187
	v_add3_u32 v96, v182, v184, v185
	ds_store_b64 v92, v[60:61] offset:1024
	ds_store_b64 v93, v[62:63] offset:1024
	ds_store_b64 v94, v[70:71] offset:1024
	ds_store_b64 v95, v[74:75] offset:1024
	ds_store_b64 v96, v[78:79] offset:1024
	v_dual_lshlrev_b32 v58, 3, v188 :: v_dual_lshlrev_b32 v61, 3, v191
	v_dual_lshlrev_b32 v60, 3, v183 :: v_dual_lshlrev_b32 v62, 3, v190
	;; [unrolled: 1-line block ×3, first 2 shown]
	v_lshlrev_b32_e32 v71, 3, v193
	v_dual_lshlrev_b32 v74, 3, v177 :: v_dual_lshlrev_b32 v78, 3, v196
	v_dual_lshlrev_b32 v75, 3, v197 :: v_dual_lshlrev_b32 v79, 3, v174
	;; [unrolled: 1-line block ×3, first 2 shown]
	v_lshlrev_b32_e32 v171, 3, v171
	v_add3_u32 v60, v58, v59, v60
	v_add3_u32 v61, v61, v62, v63
	v_add3_u32 v62, v70, v71, v74
	v_add3_u32 v63, v75, v78, v79
	v_lshlrev_b32_e32 v59, 3, v202
	v_add3_u32 v70, v166, v172, v171
	ds_store_b64 v60, v[82:83] offset:1024
	ds_store_b64 v61, v[86:87] offset:1024
	;; [unrolled: 1-line block ×5, first 2 shown]
	v_dual_lshlrev_b32 v58, 3, v203 :: v_dual_lshlrev_b32 v71, 3, v170
	v_dual_lshlrev_b32 v74, 3, v206 :: v_dual_lshlrev_b32 v75, 3, v205
	;; [unrolled: 1-line block ×6, first 2 shown]
	v_lshlrev_b32_e32 v86, 3, v213
	v_lshlrev_b32_e32 v87, 3, v97
	v_add3_u32 v71, v58, v59, v71
	v_add3_u32 v74, v74, v75, v78
	;; [unrolled: 1-line block ×5, first 2 shown]
	v_cmp_lt_u32_e32 vcc_lo, v2, v165
	ds_store_b64 v71, v[76:77] offset:1024
	ds_store_b64 v74, v[72:73] offset:1024
	;; [unrolled: 1-line block ×5, first 2 shown]
	s_wait_dscnt 0x0
	s_barrier_signal -1
	s_barrier_wait -1
	s_and_saveexec_b32 s16, vcc_lo
	s_cbranch_execnz .LBB1113_243
; %bb.175:                              ;   in Loop: Header=BB1113_96 Depth=2
	s_or_b32 exec_lo, exec_lo, s16
	v_cmp_lt_u32_e64 s15, v98, v165
	s_and_saveexec_b32 s17, s15
	s_cbranch_execnz .LBB1113_244
.LBB1113_176:                           ;   in Loop: Header=BB1113_96 Depth=2
	s_or_b32 exec_lo, exec_lo, s17
	v_cmp_lt_u32_e64 s16, v99, v165
	s_and_saveexec_b32 s18, s16
	s_cbranch_execnz .LBB1113_245
.LBB1113_177:                           ;   in Loop: Header=BB1113_96 Depth=2
	s_or_b32 exec_lo, exec_lo, s18
	v_cmp_lt_u32_e64 s17, v100, v165
	s_and_saveexec_b32 s19, s17
	s_cbranch_execnz .LBB1113_246
.LBB1113_178:                           ;   in Loop: Header=BB1113_96 Depth=2
	s_or_b32 exec_lo, exec_lo, s19
	v_cmp_lt_u32_e64 s18, v101, v165
	s_and_saveexec_b32 s20, s18
	s_cbranch_execnz .LBB1113_247
.LBB1113_179:                           ;   in Loop: Header=BB1113_96 Depth=2
	s_or_b32 exec_lo, exec_lo, s20
	v_cmp_lt_u32_e64 s19, v102, v165
	s_and_saveexec_b32 s21, s19
	s_cbranch_execnz .LBB1113_248
.LBB1113_180:                           ;   in Loop: Header=BB1113_96 Depth=2
	s_or_b32 exec_lo, exec_lo, s21
	v_cmp_lt_u32_e64 s20, v103, v165
	s_and_saveexec_b32 s22, s20
	s_cbranch_execnz .LBB1113_249
.LBB1113_181:                           ;   in Loop: Header=BB1113_96 Depth=2
	s_or_b32 exec_lo, exec_lo, s22
	v_cmp_lt_u32_e64 s21, v104, v165
	s_and_saveexec_b32 s23, s21
	s_cbranch_execnz .LBB1113_250
.LBB1113_182:                           ;   in Loop: Header=BB1113_96 Depth=2
	s_or_b32 exec_lo, exec_lo, s23
	v_cmp_lt_u32_e64 s22, v105, v165
	s_and_saveexec_b32 s24, s22
	s_cbranch_execnz .LBB1113_251
.LBB1113_183:                           ;   in Loop: Header=BB1113_96 Depth=2
	s_or_b32 exec_lo, exec_lo, s24
	v_cmp_lt_u32_e64 s23, v106, v165
	s_and_saveexec_b32 s25, s23
	s_cbranch_execnz .LBB1113_252
.LBB1113_184:                           ;   in Loop: Header=BB1113_96 Depth=2
	s_or_b32 exec_lo, exec_lo, s25
	v_cmp_lt_u32_e64 s24, v107, v165
	s_and_saveexec_b32 s26, s24
	s_cbranch_execnz .LBB1113_253
.LBB1113_185:                           ;   in Loop: Header=BB1113_96 Depth=2
	s_or_b32 exec_lo, exec_lo, s26
	v_cmp_lt_u32_e64 s25, v108, v165
	s_and_saveexec_b32 s27, s25
	s_cbranch_execnz .LBB1113_254
.LBB1113_186:                           ;   in Loop: Header=BB1113_96 Depth=2
	s_or_b32 exec_lo, exec_lo, s27
	v_cmp_lt_u32_e64 s26, v109, v165
	s_and_saveexec_b32 s28, s26
	s_cbranch_execnz .LBB1113_255
.LBB1113_187:                           ;   in Loop: Header=BB1113_96 Depth=2
	s_or_b32 exec_lo, exec_lo, s28
	v_cmp_lt_u32_e64 s27, v110, v165
	s_and_saveexec_b32 s29, s27
	s_cbranch_execnz .LBB1113_256
.LBB1113_188:                           ;   in Loop: Header=BB1113_96 Depth=2
	s_or_b32 exec_lo, exec_lo, s29
	v_cmp_lt_u32_e64 s28, v111, v165
	s_and_saveexec_b32 s30, s28
	s_cbranch_execnz .LBB1113_257
.LBB1113_189:                           ;   in Loop: Header=BB1113_96 Depth=2
	s_or_b32 exec_lo, exec_lo, s30
	v_cmp_lt_u32_e64 s29, v112, v165
	s_and_saveexec_b32 s62, s29
	s_cbranch_execz .LBB1113_191
.LBB1113_190:                           ;   in Loop: Header=BB1113_96 Depth=2
	ds_load_b64 v[58:59], v123 offset:31744
	s_wait_dscnt 0x0
	v_cmp_ne_u64_e64 s30, s[42:43], v[58:59]
	s_delay_alu instid0(VALU_DEP_1) | instskip(SKIP_2) | instid1(VALU_DEP_2)
	v_cndmask_b32_e64 v65, 0x7fffffff, v59, s30
	v_cndmask_b32_e64 v64, -1, v58, s30
	v_cmp_gt_i64_e64 s30, 0, v[58:59]
	v_lshrrev_b64 v[64:65], s54, v[64:65]
	v_ashrrev_i32_e32 v65, 31, v59
	s_delay_alu instid0(VALU_DEP_3) | instskip(NEXT) | instid1(VALU_DEP_2)
	v_cndmask_b32_e64 v66, 0x7fffffff, 0, s30
	v_not_b32_e32 v65, v65
	s_delay_alu instid0(VALU_DEP_4) | instskip(NEXT) | instid1(VALU_DEP_1)
	v_and_b32_e32 v64, s59, v64
	v_dual_lshlrev_b32 v64, 2, v64 :: v_dual_bitop2_b32 v59, v66, v59 bitop3:0x14
	ds_load_b32 v64, v64
	s_wait_dscnt 0x0
	v_dual_add_nc_u32 v64, v64, v112 :: v_dual_bitop2_b32 v58, v65, v58 bitop3:0x14
	global_store_b64 v64, v[58:59], s[38:39] scale_offset
.LBB1113_191:                           ;   in Loop: Header=BB1113_96 Depth=2
	s_wait_xcnt 0x0
	s_or_b32 exec_lo, exec_lo, s62
	v_lshl_add_u64 v[58:59], s[34:35], 3, v[22:23]
	v_cmp_lt_u32_e64 s30, v129, v165
	s_and_saveexec_b32 s34, s30
	s_delay_alu instid0(SALU_CYCLE_1)
	s_xor_b32 s30, exec_lo, s34
	s_cbranch_execnz .LBB1113_258
; %bb.192:                              ;   in Loop: Header=BB1113_96 Depth=2
	s_or_b32 exec_lo, exec_lo, s30
	s_delay_alu instid0(SALU_CYCLE_1)
	s_mov_b32 s34, exec_lo
	v_cmpx_lt_u32_e64 v132, v165
	s_cbranch_execnz .LBB1113_259
.LBB1113_193:                           ;   in Loop: Header=BB1113_96 Depth=2
	s_or_b32 exec_lo, exec_lo, s34
	s_delay_alu instid0(SALU_CYCLE_1)
	s_mov_b32 s34, exec_lo
	v_cmpx_lt_u32_e64 v133, v165
	s_cbranch_execnz .LBB1113_260
.LBB1113_194:                           ;   in Loop: Header=BB1113_96 Depth=2
	s_or_b32 exec_lo, exec_lo, s34
	s_delay_alu instid0(SALU_CYCLE_1)
	s_mov_b32 s34, exec_lo
	v_cmpx_lt_u32_e64 v134, v165
	s_cbranch_execnz .LBB1113_261
.LBB1113_195:                           ;   in Loop: Header=BB1113_96 Depth=2
	s_or_b32 exec_lo, exec_lo, s34
	s_delay_alu instid0(SALU_CYCLE_1)
	s_mov_b32 s34, exec_lo
	v_cmpx_lt_u32_e64 v135, v165
	s_cbranch_execnz .LBB1113_262
.LBB1113_196:                           ;   in Loop: Header=BB1113_96 Depth=2
	s_or_b32 exec_lo, exec_lo, s34
	s_delay_alu instid0(SALU_CYCLE_1)
	s_mov_b32 s34, exec_lo
	v_cmpx_lt_u32_e64 v136, v165
	s_cbranch_execnz .LBB1113_263
.LBB1113_197:                           ;   in Loop: Header=BB1113_96 Depth=2
	s_or_b32 exec_lo, exec_lo, s34
	s_delay_alu instid0(SALU_CYCLE_1)
	s_mov_b32 s34, exec_lo
	v_cmpx_lt_u32_e64 v137, v165
	s_cbranch_execnz .LBB1113_264
.LBB1113_198:                           ;   in Loop: Header=BB1113_96 Depth=2
	s_or_b32 exec_lo, exec_lo, s34
	s_delay_alu instid0(SALU_CYCLE_1)
	s_mov_b32 s34, exec_lo
	v_cmpx_lt_u32_e64 v138, v165
	s_cbranch_execnz .LBB1113_265
.LBB1113_199:                           ;   in Loop: Header=BB1113_96 Depth=2
	s_or_b32 exec_lo, exec_lo, s34
	s_delay_alu instid0(SALU_CYCLE_1)
	s_mov_b32 s34, exec_lo
	v_cmpx_lt_u32_e64 v139, v165
	s_cbranch_execnz .LBB1113_266
.LBB1113_200:                           ;   in Loop: Header=BB1113_96 Depth=2
	s_or_b32 exec_lo, exec_lo, s34
	s_delay_alu instid0(SALU_CYCLE_1)
	s_mov_b32 s34, exec_lo
	v_cmpx_lt_u32_e64 v140, v165
	s_cbranch_execnz .LBB1113_267
.LBB1113_201:                           ;   in Loop: Header=BB1113_96 Depth=2
	s_or_b32 exec_lo, exec_lo, s34
	s_delay_alu instid0(SALU_CYCLE_1)
	s_mov_b32 s34, exec_lo
	v_cmpx_lt_u32_e64 v141, v165
	s_cbranch_execnz .LBB1113_268
.LBB1113_202:                           ;   in Loop: Header=BB1113_96 Depth=2
	s_or_b32 exec_lo, exec_lo, s34
	s_delay_alu instid0(SALU_CYCLE_1)
	s_mov_b32 s34, exec_lo
	v_cmpx_lt_u32_e64 v142, v165
	s_cbranch_execnz .LBB1113_269
.LBB1113_203:                           ;   in Loop: Header=BB1113_96 Depth=2
	s_or_b32 exec_lo, exec_lo, s34
	s_delay_alu instid0(SALU_CYCLE_1)
	s_mov_b32 s34, exec_lo
	v_cmpx_lt_u32_e64 v143, v165
	s_cbranch_execnz .LBB1113_270
.LBB1113_204:                           ;   in Loop: Header=BB1113_96 Depth=2
	s_or_b32 exec_lo, exec_lo, s34
	s_delay_alu instid0(SALU_CYCLE_1)
	s_mov_b32 s34, exec_lo
	v_cmpx_lt_u32_e64 v144, v165
	s_cbranch_execnz .LBB1113_271
.LBB1113_205:                           ;   in Loop: Header=BB1113_96 Depth=2
	s_or_b32 exec_lo, exec_lo, s34
	s_delay_alu instid0(SALU_CYCLE_1)
	s_mov_b32 s34, exec_lo
	v_cmpx_lt_u32_e64 v145, v165
	s_cbranch_execnz .LBB1113_272
.LBB1113_206:                           ;   in Loop: Header=BB1113_96 Depth=2
	s_or_b32 exec_lo, exec_lo, s34
	s_delay_alu instid0(SALU_CYCLE_1)
	s_mov_b32 s34, exec_lo
	v_cmpx_lt_u32_e64 v146, v165
	s_cbranch_execnz .LBB1113_273
.LBB1113_207:                           ;   in Loop: Header=BB1113_96 Depth=2
	s_or_b32 exec_lo, exec_lo, s34
	s_and_saveexec_b32 s34, vcc_lo
	s_cbranch_execnz .LBB1113_274
.LBB1113_208:                           ;   in Loop: Header=BB1113_96 Depth=2
	s_or_b32 exec_lo, exec_lo, s34
	s_and_saveexec_b32 s34, s15
	s_cbranch_execnz .LBB1113_275
.LBB1113_209:                           ;   in Loop: Header=BB1113_96 Depth=2
	s_or_b32 exec_lo, exec_lo, s34
	s_and_saveexec_b32 s34, s16
	s_cbranch_execnz .LBB1113_276
.LBB1113_210:                           ;   in Loop: Header=BB1113_96 Depth=2
	s_or_b32 exec_lo, exec_lo, s34
	s_and_saveexec_b32 s34, s17
	s_cbranch_execnz .LBB1113_277
.LBB1113_211:                           ;   in Loop: Header=BB1113_96 Depth=2
	s_or_b32 exec_lo, exec_lo, s34
	s_and_saveexec_b32 s34, s18
	s_cbranch_execnz .LBB1113_278
.LBB1113_212:                           ;   in Loop: Header=BB1113_96 Depth=2
	s_or_b32 exec_lo, exec_lo, s34
	s_and_saveexec_b32 s34, s19
	s_cbranch_execnz .LBB1113_279
.LBB1113_213:                           ;   in Loop: Header=BB1113_96 Depth=2
	s_or_b32 exec_lo, exec_lo, s34
	s_and_saveexec_b32 s34, s20
	s_cbranch_execnz .LBB1113_280
.LBB1113_214:                           ;   in Loop: Header=BB1113_96 Depth=2
	s_or_b32 exec_lo, exec_lo, s34
	s_and_saveexec_b32 s34, s21
	s_cbranch_execnz .LBB1113_281
.LBB1113_215:                           ;   in Loop: Header=BB1113_96 Depth=2
	s_or_b32 exec_lo, exec_lo, s34
	s_and_saveexec_b32 s34, s22
	s_cbranch_execnz .LBB1113_282
.LBB1113_216:                           ;   in Loop: Header=BB1113_96 Depth=2
	s_or_b32 exec_lo, exec_lo, s34
	s_and_saveexec_b32 s34, s23
	s_cbranch_execnz .LBB1113_283
.LBB1113_217:                           ;   in Loop: Header=BB1113_96 Depth=2
	s_or_b32 exec_lo, exec_lo, s34
	s_and_saveexec_b32 s34, s24
	s_cbranch_execnz .LBB1113_284
.LBB1113_218:                           ;   in Loop: Header=BB1113_96 Depth=2
	s_or_b32 exec_lo, exec_lo, s34
	s_and_saveexec_b32 s34, s25
	s_cbranch_execnz .LBB1113_285
.LBB1113_219:                           ;   in Loop: Header=BB1113_96 Depth=2
	s_or_b32 exec_lo, exec_lo, s34
	s_and_saveexec_b32 s34, s26
	s_cbranch_execnz .LBB1113_286
.LBB1113_220:                           ;   in Loop: Header=BB1113_96 Depth=2
	s_or_b32 exec_lo, exec_lo, s34
	s_and_saveexec_b32 s34, s27
	s_cbranch_execnz .LBB1113_287
.LBB1113_221:                           ;   in Loop: Header=BB1113_96 Depth=2
	s_or_b32 exec_lo, exec_lo, s34
	s_and_saveexec_b32 s34, s28
	s_cbranch_execnz .LBB1113_288
.LBB1113_222:                           ;   in Loop: Header=BB1113_96 Depth=2
	s_or_b32 exec_lo, exec_lo, s34
	s_and_saveexec_b32 s34, s29
	s_cbranch_execz .LBB1113_224
.LBB1113_223:                           ;   in Loop: Header=BB1113_96 Depth=2
	ds_load_b64 v[58:59], v123 offset:31744
	s_wait_dscnt 0x0
	v_cmp_ne_u64_e64 s30, s[42:43], v[58:59]
	s_delay_alu instid0(VALU_DEP_1) | instskip(SKIP_1) | instid1(VALU_DEP_1)
	v_cndmask_b32_e64 v59, 0x7fffffff, v59, s30
	v_cndmask_b32_e64 v58, -1, v58, s30
	v_lshrrev_b64 v[58:59], s54, v[58:59]
	s_delay_alu instid0(VALU_DEP_1)
	v_and_b32_e32 v149, s59, v58
.LBB1113_224:                           ;   in Loop: Header=BB1113_96 Depth=2
	s_or_b32 exec_lo, exec_lo, s34
	s_wait_loadcnt 0x0
	s_wait_storecnt 0x0
	s_barrier_signal -1
	s_barrier_wait -1
	ds_store_b64 v91, v[56:57] offset:1024
	ds_store_b64 v92, v[54:55] offset:1024
	;; [unrolled: 1-line block ×16, first 2 shown]
	s_wait_dscnt 0x0
	s_barrier_signal -1
	s_barrier_wait -1
	s_and_saveexec_b32 s30, vcc_lo
	s_cbranch_execnz .LBB1113_289
; %bb.225:                              ;   in Loop: Header=BB1113_96 Depth=2
	s_or_b32 exec_lo, exec_lo, s30
	s_and_saveexec_b32 s30, s15
	s_cbranch_execnz .LBB1113_290
.LBB1113_226:                           ;   in Loop: Header=BB1113_96 Depth=2
	s_or_b32 exec_lo, exec_lo, s30
	s_and_saveexec_b32 s15, s16
	s_cbranch_execnz .LBB1113_291
.LBB1113_227:                           ;   in Loop: Header=BB1113_96 Depth=2
	s_or_b32 exec_lo, exec_lo, s15
	s_and_saveexec_b32 s15, s17
	s_cbranch_execnz .LBB1113_292
.LBB1113_228:                           ;   in Loop: Header=BB1113_96 Depth=2
	s_or_b32 exec_lo, exec_lo, s15
	s_and_saveexec_b32 s15, s18
	s_cbranch_execnz .LBB1113_293
.LBB1113_229:                           ;   in Loop: Header=BB1113_96 Depth=2
	s_or_b32 exec_lo, exec_lo, s15
	s_and_saveexec_b32 s15, s19
	s_cbranch_execnz .LBB1113_294
.LBB1113_230:                           ;   in Loop: Header=BB1113_96 Depth=2
	s_or_b32 exec_lo, exec_lo, s15
	s_and_saveexec_b32 s15, s20
	s_cbranch_execnz .LBB1113_295
.LBB1113_231:                           ;   in Loop: Header=BB1113_96 Depth=2
	s_or_b32 exec_lo, exec_lo, s15
	s_and_saveexec_b32 s15, s21
	s_cbranch_execnz .LBB1113_296
.LBB1113_232:                           ;   in Loop: Header=BB1113_96 Depth=2
	s_or_b32 exec_lo, exec_lo, s15
	s_and_saveexec_b32 s15, s22
	s_cbranch_execnz .LBB1113_297
.LBB1113_233:                           ;   in Loop: Header=BB1113_96 Depth=2
	s_or_b32 exec_lo, exec_lo, s15
	s_and_saveexec_b32 s15, s23
	s_cbranch_execnz .LBB1113_298
.LBB1113_234:                           ;   in Loop: Header=BB1113_96 Depth=2
	s_or_b32 exec_lo, exec_lo, s15
	s_and_saveexec_b32 s15, s24
	s_cbranch_execnz .LBB1113_299
.LBB1113_235:                           ;   in Loop: Header=BB1113_96 Depth=2
	s_or_b32 exec_lo, exec_lo, s15
	s_and_saveexec_b32 s15, s25
	s_cbranch_execnz .LBB1113_300
.LBB1113_236:                           ;   in Loop: Header=BB1113_96 Depth=2
	s_or_b32 exec_lo, exec_lo, s15
	s_and_saveexec_b32 s15, s26
	s_cbranch_execnz .LBB1113_301
.LBB1113_237:                           ;   in Loop: Header=BB1113_96 Depth=2
	s_or_b32 exec_lo, exec_lo, s15
	s_and_saveexec_b32 s15, s27
	s_cbranch_execnz .LBB1113_302
.LBB1113_238:                           ;   in Loop: Header=BB1113_96 Depth=2
	s_or_b32 exec_lo, exec_lo, s15
	s_and_saveexec_b32 s15, s28
	s_cbranch_execnz .LBB1113_303
.LBB1113_239:                           ;   in Loop: Header=BB1113_96 Depth=2
	s_or_b32 exec_lo, exec_lo, s15
	s_and_saveexec_b32 s15, s29
	s_cbranch_execz .LBB1113_241
.LBB1113_240:                           ;   in Loop: Header=BB1113_96 Depth=2
	v_lshlrev_b32_e32 v58, 2, v149
	ds_load_b32 v60, v58
	ds_load_b64 v[58:59], v123 offset:31744
	s_wait_dscnt 0x1
	v_add_nc_u32_e32 v60, v60, v112
	s_wait_dscnt 0x0
	global_store_b64 v60, v[58:59], s[44:45] scale_offset
.LBB1113_241:                           ;   in Loop: Header=BB1113_96 Depth=2
	s_wait_xcnt 0x0
	s_or_b32 exec_lo, exec_lo, s15
	s_wait_storecnt 0x0
	s_barrier_signal -1
	s_barrier_wait -1
	s_and_saveexec_b32 s15, s0
	s_cbranch_execz .LBB1113_95
; %bb.242:                              ;   in Loop: Header=BB1113_96 Depth=2
	ds_load_b32 v58, v3
	s_wait_dscnt 0x0
	v_add_nc_u32_e32 v58, v58, v90
	ds_store_b32 v3, v58
	s_branch .LBB1113_95
.LBB1113_243:                           ;   in Loop: Header=BB1113_96 Depth=2
	ds_load_b64 v[58:59], v123 offset:1024
	s_wait_dscnt 0x0
	v_cmp_ne_u64_e64 s15, s[42:43], v[58:59]
	s_delay_alu instid0(VALU_DEP_1) | instskip(SKIP_2) | instid1(VALU_DEP_2)
	v_cndmask_b32_e64 v65, 0x7fffffff, v59, s15
	v_cndmask_b32_e64 v64, -1, v58, s15
	v_cmp_gt_i64_e64 s15, 0, v[58:59]
	v_lshrrev_b64 v[64:65], s54, v[64:65]
	v_ashrrev_i32_e32 v65, 31, v59
	s_delay_alu instid0(VALU_DEP_3) | instskip(NEXT) | instid1(VALU_DEP_2)
	v_cndmask_b32_e64 v66, 0x7fffffff, 0, s15
	v_not_b32_e32 v65, v65
	s_delay_alu instid0(VALU_DEP_4) | instskip(NEXT) | instid1(VALU_DEP_3)
	v_and_b32_e32 v64, s59, v64
	v_xor_b32_e32 v59, v66, v59
	s_delay_alu instid0(VALU_DEP_2)
	v_dual_lshlrev_b32 v64, 2, v64 :: v_dual_bitop2_b32 v58, v65, v58 bitop3:0x14
	ds_load_b32 v64, v64
	s_wait_dscnt 0x0
	v_add_nc_u32_e32 v64, v64, v2
	global_store_b64 v64, v[58:59], s[38:39] scale_offset
	s_wait_xcnt 0x0
	s_or_b32 exec_lo, exec_lo, s16
	v_cmp_lt_u32_e64 s15, v98, v165
	s_and_saveexec_b32 s17, s15
	s_cbranch_execz .LBB1113_176
.LBB1113_244:                           ;   in Loop: Header=BB1113_96 Depth=2
	ds_load_b64 v[58:59], v123 offset:3072
	s_wait_dscnt 0x0
	v_cmp_ne_u64_e64 s16, s[42:43], v[58:59]
	s_delay_alu instid0(VALU_DEP_1) | instskip(SKIP_2) | instid1(VALU_DEP_2)
	v_cndmask_b32_e64 v65, 0x7fffffff, v59, s16
	v_cndmask_b32_e64 v64, -1, v58, s16
	v_cmp_gt_i64_e64 s16, 0, v[58:59]
	v_lshrrev_b64 v[64:65], s54, v[64:65]
	v_ashrrev_i32_e32 v65, 31, v59
	s_delay_alu instid0(VALU_DEP_3) | instskip(NEXT) | instid1(VALU_DEP_2)
	v_cndmask_b32_e64 v66, 0x7fffffff, 0, s16
	v_not_b32_e32 v65, v65
	s_delay_alu instid0(VALU_DEP_4) | instskip(NEXT) | instid1(VALU_DEP_3)
	v_and_b32_e32 v64, s59, v64
	v_xor_b32_e32 v59, v66, v59
	s_delay_alu instid0(VALU_DEP_2)
	v_dual_lshlrev_b32 v64, 2, v64 :: v_dual_bitop2_b32 v58, v65, v58 bitop3:0x14
	ds_load_b32 v64, v64
	s_wait_dscnt 0x0
	v_add_nc_u32_e32 v64, v64, v98
	global_store_b64 v64, v[58:59], s[38:39] scale_offset
	s_wait_xcnt 0x0
	s_or_b32 exec_lo, exec_lo, s17
	v_cmp_lt_u32_e64 s16, v99, v165
	s_and_saveexec_b32 s18, s16
	s_cbranch_execz .LBB1113_177
.LBB1113_245:                           ;   in Loop: Header=BB1113_96 Depth=2
	ds_load_b64 v[58:59], v123 offset:5120
	s_wait_dscnt 0x0
	v_cmp_ne_u64_e64 s17, s[42:43], v[58:59]
	s_delay_alu instid0(VALU_DEP_1) | instskip(SKIP_2) | instid1(VALU_DEP_2)
	v_cndmask_b32_e64 v65, 0x7fffffff, v59, s17
	v_cndmask_b32_e64 v64, -1, v58, s17
	v_cmp_gt_i64_e64 s17, 0, v[58:59]
	v_lshrrev_b64 v[64:65], s54, v[64:65]
	v_ashrrev_i32_e32 v65, 31, v59
	s_delay_alu instid0(VALU_DEP_3) | instskip(NEXT) | instid1(VALU_DEP_2)
	v_cndmask_b32_e64 v66, 0x7fffffff, 0, s17
	v_not_b32_e32 v65, v65
	s_delay_alu instid0(VALU_DEP_4) | instskip(NEXT) | instid1(VALU_DEP_1)
	v_and_b32_e32 v64, s59, v64
	v_dual_lshlrev_b32 v64, 2, v64 :: v_dual_bitop2_b32 v59, v66, v59 bitop3:0x14
	ds_load_b32 v64, v64
	s_wait_dscnt 0x0
	v_dual_add_nc_u32 v64, v64, v99 :: v_dual_bitop2_b32 v58, v65, v58 bitop3:0x14
	global_store_b64 v64, v[58:59], s[38:39] scale_offset
	s_wait_xcnt 0x0
	s_or_b32 exec_lo, exec_lo, s18
	v_cmp_lt_u32_e64 s17, v100, v165
	s_and_saveexec_b32 s19, s17
	s_cbranch_execz .LBB1113_178
.LBB1113_246:                           ;   in Loop: Header=BB1113_96 Depth=2
	ds_load_b64 v[58:59], v123 offset:7168
	s_wait_dscnt 0x0
	v_cmp_ne_u64_e64 s18, s[42:43], v[58:59]
	s_delay_alu instid0(VALU_DEP_1) | instskip(SKIP_2) | instid1(VALU_DEP_2)
	v_cndmask_b32_e64 v65, 0x7fffffff, v59, s18
	v_cndmask_b32_e64 v64, -1, v58, s18
	v_cmp_gt_i64_e64 s18, 0, v[58:59]
	v_lshrrev_b64 v[64:65], s54, v[64:65]
	v_ashrrev_i32_e32 v65, 31, v59
	s_delay_alu instid0(VALU_DEP_3) | instskip(NEXT) | instid1(VALU_DEP_2)
	v_cndmask_b32_e64 v66, 0x7fffffff, 0, s18
	v_not_b32_e32 v65, v65
	s_delay_alu instid0(VALU_DEP_4) | instskip(NEXT) | instid1(VALU_DEP_1)
	v_and_b32_e32 v64, s59, v64
	v_dual_lshlrev_b32 v64, 2, v64 :: v_dual_bitop2_b32 v59, v66, v59 bitop3:0x14
	ds_load_b32 v64, v64
	s_wait_dscnt 0x0
	v_dual_add_nc_u32 v64, v64, v100 :: v_dual_bitop2_b32 v58, v65, v58 bitop3:0x14
	global_store_b64 v64, v[58:59], s[38:39] scale_offset
	s_wait_xcnt 0x0
	s_or_b32 exec_lo, exec_lo, s19
	v_cmp_lt_u32_e64 s18, v101, v165
	s_and_saveexec_b32 s20, s18
	s_cbranch_execz .LBB1113_179
.LBB1113_247:                           ;   in Loop: Header=BB1113_96 Depth=2
	ds_load_b64 v[58:59], v123 offset:9216
	s_wait_dscnt 0x0
	v_cmp_ne_u64_e64 s19, s[42:43], v[58:59]
	s_delay_alu instid0(VALU_DEP_1) | instskip(SKIP_2) | instid1(VALU_DEP_2)
	v_cndmask_b32_e64 v65, 0x7fffffff, v59, s19
	v_cndmask_b32_e64 v64, -1, v58, s19
	v_cmp_gt_i64_e64 s19, 0, v[58:59]
	v_lshrrev_b64 v[64:65], s54, v[64:65]
	v_ashrrev_i32_e32 v65, 31, v59
	s_delay_alu instid0(VALU_DEP_3) | instskip(NEXT) | instid1(VALU_DEP_2)
	v_cndmask_b32_e64 v66, 0x7fffffff, 0, s19
	v_not_b32_e32 v65, v65
	s_delay_alu instid0(VALU_DEP_4) | instskip(NEXT) | instid1(VALU_DEP_1)
	v_and_b32_e32 v64, s59, v64
	v_dual_lshlrev_b32 v64, 2, v64 :: v_dual_bitop2_b32 v59, v66, v59 bitop3:0x14
	ds_load_b32 v64, v64
	s_wait_dscnt 0x0
	v_dual_add_nc_u32 v64, v64, v101 :: v_dual_bitop2_b32 v58, v65, v58 bitop3:0x14
	global_store_b64 v64, v[58:59], s[38:39] scale_offset
	s_wait_xcnt 0x0
	s_or_b32 exec_lo, exec_lo, s20
	v_cmp_lt_u32_e64 s19, v102, v165
	s_and_saveexec_b32 s21, s19
	s_cbranch_execz .LBB1113_180
.LBB1113_248:                           ;   in Loop: Header=BB1113_96 Depth=2
	ds_load_b64 v[58:59], v123 offset:11264
	s_wait_dscnt 0x0
	v_cmp_ne_u64_e64 s20, s[42:43], v[58:59]
	s_delay_alu instid0(VALU_DEP_1) | instskip(SKIP_2) | instid1(VALU_DEP_2)
	v_cndmask_b32_e64 v65, 0x7fffffff, v59, s20
	v_cndmask_b32_e64 v64, -1, v58, s20
	v_cmp_gt_i64_e64 s20, 0, v[58:59]
	v_lshrrev_b64 v[64:65], s54, v[64:65]
	v_ashrrev_i32_e32 v65, 31, v59
	s_delay_alu instid0(VALU_DEP_3) | instskip(NEXT) | instid1(VALU_DEP_2)
	v_cndmask_b32_e64 v66, 0x7fffffff, 0, s20
	v_not_b32_e32 v65, v65
	s_delay_alu instid0(VALU_DEP_4) | instskip(NEXT) | instid1(VALU_DEP_3)
	v_and_b32_e32 v64, s59, v64
	v_xor_b32_e32 v59, v66, v59
	s_delay_alu instid0(VALU_DEP_2)
	v_dual_lshlrev_b32 v64, 2, v64 :: v_dual_bitop2_b32 v58, v65, v58 bitop3:0x14
	ds_load_b32 v64, v64
	s_wait_dscnt 0x0
	v_add_nc_u32_e32 v64, v64, v102
	global_store_b64 v64, v[58:59], s[38:39] scale_offset
	s_wait_xcnt 0x0
	s_or_b32 exec_lo, exec_lo, s21
	v_cmp_lt_u32_e64 s20, v103, v165
	s_and_saveexec_b32 s22, s20
	s_cbranch_execz .LBB1113_181
.LBB1113_249:                           ;   in Loop: Header=BB1113_96 Depth=2
	ds_load_b64 v[58:59], v123 offset:13312
	s_wait_dscnt 0x0
	v_cmp_ne_u64_e64 s21, s[42:43], v[58:59]
	s_delay_alu instid0(VALU_DEP_1) | instskip(SKIP_2) | instid1(VALU_DEP_2)
	v_cndmask_b32_e64 v65, 0x7fffffff, v59, s21
	v_cndmask_b32_e64 v64, -1, v58, s21
	v_cmp_gt_i64_e64 s21, 0, v[58:59]
	v_lshrrev_b64 v[64:65], s54, v[64:65]
	v_ashrrev_i32_e32 v65, 31, v59
	s_delay_alu instid0(VALU_DEP_3) | instskip(NEXT) | instid1(VALU_DEP_2)
	v_cndmask_b32_e64 v66, 0x7fffffff, 0, s21
	v_not_b32_e32 v65, v65
	s_delay_alu instid0(VALU_DEP_4) | instskip(NEXT) | instid1(VALU_DEP_1)
	v_and_b32_e32 v64, s59, v64
	v_dual_lshlrev_b32 v64, 2, v64 :: v_dual_bitop2_b32 v59, v66, v59 bitop3:0x14
	ds_load_b32 v64, v64
	s_wait_dscnt 0x0
	v_dual_add_nc_u32 v64, v64, v103 :: v_dual_bitop2_b32 v58, v65, v58 bitop3:0x14
	global_store_b64 v64, v[58:59], s[38:39] scale_offset
	s_wait_xcnt 0x0
	s_or_b32 exec_lo, exec_lo, s22
	v_cmp_lt_u32_e64 s21, v104, v165
	s_and_saveexec_b32 s23, s21
	s_cbranch_execz .LBB1113_182
.LBB1113_250:                           ;   in Loop: Header=BB1113_96 Depth=2
	ds_load_b64 v[58:59], v123 offset:15360
	s_wait_dscnt 0x0
	v_cmp_ne_u64_e64 s22, s[42:43], v[58:59]
	s_delay_alu instid0(VALU_DEP_1) | instskip(SKIP_2) | instid1(VALU_DEP_2)
	v_cndmask_b32_e64 v65, 0x7fffffff, v59, s22
	v_cndmask_b32_e64 v64, -1, v58, s22
	v_cmp_gt_i64_e64 s22, 0, v[58:59]
	v_lshrrev_b64 v[64:65], s54, v[64:65]
	v_ashrrev_i32_e32 v65, 31, v59
	s_delay_alu instid0(VALU_DEP_3) | instskip(NEXT) | instid1(VALU_DEP_2)
	v_cndmask_b32_e64 v66, 0x7fffffff, 0, s22
	v_not_b32_e32 v65, v65
	s_delay_alu instid0(VALU_DEP_4) | instskip(NEXT) | instid1(VALU_DEP_1)
	v_and_b32_e32 v64, s59, v64
	v_dual_lshlrev_b32 v64, 2, v64 :: v_dual_bitop2_b32 v59, v66, v59 bitop3:0x14
	ds_load_b32 v64, v64
	s_wait_dscnt 0x0
	v_dual_add_nc_u32 v64, v64, v104 :: v_dual_bitop2_b32 v58, v65, v58 bitop3:0x14
	global_store_b64 v64, v[58:59], s[38:39] scale_offset
	s_wait_xcnt 0x0
	s_or_b32 exec_lo, exec_lo, s23
	v_cmp_lt_u32_e64 s22, v105, v165
	s_and_saveexec_b32 s24, s22
	s_cbranch_execz .LBB1113_183
.LBB1113_251:                           ;   in Loop: Header=BB1113_96 Depth=2
	ds_load_b64 v[58:59], v123 offset:17408
	s_wait_dscnt 0x0
	v_cmp_ne_u64_e64 s23, s[42:43], v[58:59]
	s_delay_alu instid0(VALU_DEP_1) | instskip(SKIP_2) | instid1(VALU_DEP_2)
	v_cndmask_b32_e64 v65, 0x7fffffff, v59, s23
	v_cndmask_b32_e64 v64, -1, v58, s23
	v_cmp_gt_i64_e64 s23, 0, v[58:59]
	v_lshrrev_b64 v[64:65], s54, v[64:65]
	v_ashrrev_i32_e32 v65, 31, v59
	s_delay_alu instid0(VALU_DEP_3) | instskip(NEXT) | instid1(VALU_DEP_2)
	v_cndmask_b32_e64 v66, 0x7fffffff, 0, s23
	v_not_b32_e32 v65, v65
	s_delay_alu instid0(VALU_DEP_4) | instskip(NEXT) | instid1(VALU_DEP_1)
	v_and_b32_e32 v64, s59, v64
	v_dual_lshlrev_b32 v64, 2, v64 :: v_dual_bitop2_b32 v59, v66, v59 bitop3:0x14
	ds_load_b32 v64, v64
	s_wait_dscnt 0x0
	v_dual_add_nc_u32 v64, v64, v105 :: v_dual_bitop2_b32 v58, v65, v58 bitop3:0x14
	global_store_b64 v64, v[58:59], s[38:39] scale_offset
	s_wait_xcnt 0x0
	s_or_b32 exec_lo, exec_lo, s24
	v_cmp_lt_u32_e64 s23, v106, v165
	s_and_saveexec_b32 s25, s23
	s_cbranch_execz .LBB1113_184
.LBB1113_252:                           ;   in Loop: Header=BB1113_96 Depth=2
	ds_load_b64 v[58:59], v123 offset:19456
	s_wait_dscnt 0x0
	v_cmp_ne_u64_e64 s24, s[42:43], v[58:59]
	s_delay_alu instid0(VALU_DEP_1) | instskip(SKIP_2) | instid1(VALU_DEP_2)
	v_cndmask_b32_e64 v65, 0x7fffffff, v59, s24
	v_cndmask_b32_e64 v64, -1, v58, s24
	v_cmp_gt_i64_e64 s24, 0, v[58:59]
	v_lshrrev_b64 v[64:65], s54, v[64:65]
	v_ashrrev_i32_e32 v65, 31, v59
	s_delay_alu instid0(VALU_DEP_3) | instskip(NEXT) | instid1(VALU_DEP_2)
	v_cndmask_b32_e64 v66, 0x7fffffff, 0, s24
	v_not_b32_e32 v65, v65
	s_delay_alu instid0(VALU_DEP_4) | instskip(NEXT) | instid1(VALU_DEP_3)
	v_and_b32_e32 v64, s59, v64
	v_xor_b32_e32 v59, v66, v59
	s_delay_alu instid0(VALU_DEP_2)
	v_dual_lshlrev_b32 v64, 2, v64 :: v_dual_bitop2_b32 v58, v65, v58 bitop3:0x14
	ds_load_b32 v64, v64
	s_wait_dscnt 0x0
	v_add_nc_u32_e32 v64, v64, v106
	global_store_b64 v64, v[58:59], s[38:39] scale_offset
	s_wait_xcnt 0x0
	s_or_b32 exec_lo, exec_lo, s25
	v_cmp_lt_u32_e64 s24, v107, v165
	s_and_saveexec_b32 s26, s24
	s_cbranch_execz .LBB1113_185
.LBB1113_253:                           ;   in Loop: Header=BB1113_96 Depth=2
	ds_load_b64 v[58:59], v123 offset:21504
	s_wait_dscnt 0x0
	v_cmp_ne_u64_e64 s25, s[42:43], v[58:59]
	s_delay_alu instid0(VALU_DEP_1) | instskip(SKIP_2) | instid1(VALU_DEP_2)
	v_cndmask_b32_e64 v65, 0x7fffffff, v59, s25
	v_cndmask_b32_e64 v64, -1, v58, s25
	v_cmp_gt_i64_e64 s25, 0, v[58:59]
	v_lshrrev_b64 v[64:65], s54, v[64:65]
	v_ashrrev_i32_e32 v65, 31, v59
	s_delay_alu instid0(VALU_DEP_3) | instskip(NEXT) | instid1(VALU_DEP_2)
	v_cndmask_b32_e64 v66, 0x7fffffff, 0, s25
	v_not_b32_e32 v65, v65
	s_delay_alu instid0(VALU_DEP_4) | instskip(NEXT) | instid1(VALU_DEP_1)
	v_and_b32_e32 v64, s59, v64
	v_dual_lshlrev_b32 v64, 2, v64 :: v_dual_bitop2_b32 v59, v66, v59 bitop3:0x14
	ds_load_b32 v64, v64
	s_wait_dscnt 0x0
	v_dual_add_nc_u32 v64, v64, v107 :: v_dual_bitop2_b32 v58, v65, v58 bitop3:0x14
	global_store_b64 v64, v[58:59], s[38:39] scale_offset
	s_wait_xcnt 0x0
	s_or_b32 exec_lo, exec_lo, s26
	v_cmp_lt_u32_e64 s25, v108, v165
	s_and_saveexec_b32 s27, s25
	s_cbranch_execz .LBB1113_186
.LBB1113_254:                           ;   in Loop: Header=BB1113_96 Depth=2
	ds_load_b64 v[58:59], v123 offset:23552
	s_wait_dscnt 0x0
	v_cmp_ne_u64_e64 s26, s[42:43], v[58:59]
	s_delay_alu instid0(VALU_DEP_1) | instskip(SKIP_2) | instid1(VALU_DEP_2)
	v_cndmask_b32_e64 v65, 0x7fffffff, v59, s26
	v_cndmask_b32_e64 v64, -1, v58, s26
	v_cmp_gt_i64_e64 s26, 0, v[58:59]
	v_lshrrev_b64 v[64:65], s54, v[64:65]
	v_ashrrev_i32_e32 v65, 31, v59
	s_delay_alu instid0(VALU_DEP_3) | instskip(NEXT) | instid1(VALU_DEP_2)
	v_cndmask_b32_e64 v66, 0x7fffffff, 0, s26
	v_not_b32_e32 v65, v65
	s_delay_alu instid0(VALU_DEP_4) | instskip(NEXT) | instid1(VALU_DEP_1)
	v_and_b32_e32 v64, s59, v64
	v_dual_lshlrev_b32 v64, 2, v64 :: v_dual_bitop2_b32 v59, v66, v59 bitop3:0x14
	ds_load_b32 v64, v64
	s_wait_dscnt 0x0
	v_dual_add_nc_u32 v64, v64, v108 :: v_dual_bitop2_b32 v58, v65, v58 bitop3:0x14
	global_store_b64 v64, v[58:59], s[38:39] scale_offset
	s_wait_xcnt 0x0
	s_or_b32 exec_lo, exec_lo, s27
	v_cmp_lt_u32_e64 s26, v109, v165
	s_and_saveexec_b32 s28, s26
	s_cbranch_execz .LBB1113_187
.LBB1113_255:                           ;   in Loop: Header=BB1113_96 Depth=2
	ds_load_b64 v[58:59], v123 offset:25600
	s_wait_dscnt 0x0
	v_cmp_ne_u64_e64 s27, s[42:43], v[58:59]
	s_delay_alu instid0(VALU_DEP_1) | instskip(SKIP_2) | instid1(VALU_DEP_2)
	v_cndmask_b32_e64 v65, 0x7fffffff, v59, s27
	v_cndmask_b32_e64 v64, -1, v58, s27
	v_cmp_gt_i64_e64 s27, 0, v[58:59]
	v_lshrrev_b64 v[64:65], s54, v[64:65]
	v_ashrrev_i32_e32 v65, 31, v59
	s_delay_alu instid0(VALU_DEP_3) | instskip(NEXT) | instid1(VALU_DEP_2)
	v_cndmask_b32_e64 v66, 0x7fffffff, 0, s27
	v_not_b32_e32 v65, v65
	s_delay_alu instid0(VALU_DEP_4) | instskip(NEXT) | instid1(VALU_DEP_1)
	v_and_b32_e32 v64, s59, v64
	v_dual_lshlrev_b32 v64, 2, v64 :: v_dual_bitop2_b32 v59, v66, v59 bitop3:0x14
	ds_load_b32 v64, v64
	s_wait_dscnt 0x0
	v_dual_add_nc_u32 v64, v64, v109 :: v_dual_bitop2_b32 v58, v65, v58 bitop3:0x14
	global_store_b64 v64, v[58:59], s[38:39] scale_offset
	s_wait_xcnt 0x0
	s_or_b32 exec_lo, exec_lo, s28
	v_cmp_lt_u32_e64 s27, v110, v165
	s_and_saveexec_b32 s29, s27
	s_cbranch_execz .LBB1113_188
.LBB1113_256:                           ;   in Loop: Header=BB1113_96 Depth=2
	ds_load_b64 v[58:59], v123 offset:27648
	s_wait_dscnt 0x0
	v_cmp_ne_u64_e64 s28, s[42:43], v[58:59]
	s_delay_alu instid0(VALU_DEP_1) | instskip(SKIP_2) | instid1(VALU_DEP_2)
	v_cndmask_b32_e64 v65, 0x7fffffff, v59, s28
	v_cndmask_b32_e64 v64, -1, v58, s28
	v_cmp_gt_i64_e64 s28, 0, v[58:59]
	v_lshrrev_b64 v[64:65], s54, v[64:65]
	v_ashrrev_i32_e32 v65, 31, v59
	s_delay_alu instid0(VALU_DEP_3) | instskip(NEXT) | instid1(VALU_DEP_2)
	v_cndmask_b32_e64 v66, 0x7fffffff, 0, s28
	v_not_b32_e32 v65, v65
	s_delay_alu instid0(VALU_DEP_4) | instskip(NEXT) | instid1(VALU_DEP_3)
	v_and_b32_e32 v64, s59, v64
	v_xor_b32_e32 v59, v66, v59
	s_delay_alu instid0(VALU_DEP_2)
	v_dual_lshlrev_b32 v64, 2, v64 :: v_dual_bitop2_b32 v58, v65, v58 bitop3:0x14
	ds_load_b32 v64, v64
	s_wait_dscnt 0x0
	v_add_nc_u32_e32 v64, v64, v110
	global_store_b64 v64, v[58:59], s[38:39] scale_offset
	s_wait_xcnt 0x0
	s_or_b32 exec_lo, exec_lo, s29
	v_cmp_lt_u32_e64 s28, v111, v165
	s_and_saveexec_b32 s30, s28
	s_cbranch_execz .LBB1113_189
.LBB1113_257:                           ;   in Loop: Header=BB1113_96 Depth=2
	ds_load_b64 v[58:59], v123 offset:29696
	s_wait_dscnt 0x0
	v_cmp_ne_u64_e64 s29, s[42:43], v[58:59]
	s_delay_alu instid0(VALU_DEP_1) | instskip(SKIP_2) | instid1(VALU_DEP_2)
	v_cndmask_b32_e64 v65, 0x7fffffff, v59, s29
	v_cndmask_b32_e64 v64, -1, v58, s29
	v_cmp_gt_i64_e64 s29, 0, v[58:59]
	v_lshrrev_b64 v[64:65], s54, v[64:65]
	v_ashrrev_i32_e32 v65, 31, v59
	s_delay_alu instid0(VALU_DEP_3) | instskip(NEXT) | instid1(VALU_DEP_2)
	v_cndmask_b32_e64 v66, 0x7fffffff, 0, s29
	v_not_b32_e32 v65, v65
	s_delay_alu instid0(VALU_DEP_4) | instskip(NEXT) | instid1(VALU_DEP_1)
	v_and_b32_e32 v64, s59, v64
	v_dual_lshlrev_b32 v64, 2, v64 :: v_dual_bitop2_b32 v59, v66, v59 bitop3:0x14
	ds_load_b32 v64, v64
	s_wait_dscnt 0x0
	v_dual_add_nc_u32 v64, v64, v111 :: v_dual_bitop2_b32 v58, v65, v58 bitop3:0x14
	global_store_b64 v64, v[58:59], s[38:39] scale_offset
	s_wait_xcnt 0x0
	s_or_b32 exec_lo, exec_lo, s30
	v_cmp_lt_u32_e64 s29, v112, v165
	s_and_saveexec_b32 s62, s29
	s_cbranch_execnz .LBB1113_190
	s_branch .LBB1113_191
.LBB1113_258:                           ;   in Loop: Header=BB1113_96 Depth=2
	global_load_b64 v[56:57], v[58:59], off
	s_wait_xcnt 0x0
	s_or_b32 exec_lo, exec_lo, s30
	s_delay_alu instid0(SALU_CYCLE_1)
	s_mov_b32 s34, exec_lo
	v_cmpx_lt_u32_e64 v132, v165
	s_cbranch_execz .LBB1113_193
.LBB1113_259:                           ;   in Loop: Header=BB1113_96 Depth=2
	global_load_b64 v[54:55], v[58:59], off offset:256
	s_wait_xcnt 0x0
	s_or_b32 exec_lo, exec_lo, s34
	s_delay_alu instid0(SALU_CYCLE_1)
	s_mov_b32 s34, exec_lo
	v_cmpx_lt_u32_e64 v133, v165
	s_cbranch_execz .LBB1113_194
.LBB1113_260:                           ;   in Loop: Header=BB1113_96 Depth=2
	global_load_b64 v[52:53], v[58:59], off offset:512
	s_wait_xcnt 0x0
	s_or_b32 exec_lo, exec_lo, s34
	s_delay_alu instid0(SALU_CYCLE_1)
	s_mov_b32 s34, exec_lo
	v_cmpx_lt_u32_e64 v134, v165
	s_cbranch_execz .LBB1113_195
.LBB1113_261:                           ;   in Loop: Header=BB1113_96 Depth=2
	global_load_b64 v[50:51], v[58:59], off offset:768
	s_wait_xcnt 0x0
	s_or_b32 exec_lo, exec_lo, s34
	s_delay_alu instid0(SALU_CYCLE_1)
	s_mov_b32 s34, exec_lo
	v_cmpx_lt_u32_e64 v135, v165
	s_cbranch_execz .LBB1113_196
.LBB1113_262:                           ;   in Loop: Header=BB1113_96 Depth=2
	global_load_b64 v[48:49], v[58:59], off offset:1024
	s_wait_xcnt 0x0
	s_or_b32 exec_lo, exec_lo, s34
	s_delay_alu instid0(SALU_CYCLE_1)
	s_mov_b32 s34, exec_lo
	v_cmpx_lt_u32_e64 v136, v165
	s_cbranch_execz .LBB1113_197
.LBB1113_263:                           ;   in Loop: Header=BB1113_96 Depth=2
	global_load_b64 v[46:47], v[58:59], off offset:1280
	s_wait_xcnt 0x0
	s_or_b32 exec_lo, exec_lo, s34
	s_delay_alu instid0(SALU_CYCLE_1)
	s_mov_b32 s34, exec_lo
	v_cmpx_lt_u32_e64 v137, v165
	s_cbranch_execz .LBB1113_198
.LBB1113_264:                           ;   in Loop: Header=BB1113_96 Depth=2
	global_load_b64 v[44:45], v[58:59], off offset:1536
	s_wait_xcnt 0x0
	s_or_b32 exec_lo, exec_lo, s34
	s_delay_alu instid0(SALU_CYCLE_1)
	s_mov_b32 s34, exec_lo
	v_cmpx_lt_u32_e64 v138, v165
	s_cbranch_execz .LBB1113_199
.LBB1113_265:                           ;   in Loop: Header=BB1113_96 Depth=2
	global_load_b64 v[42:43], v[58:59], off offset:1792
	s_wait_xcnt 0x0
	s_or_b32 exec_lo, exec_lo, s34
	s_delay_alu instid0(SALU_CYCLE_1)
	s_mov_b32 s34, exec_lo
	v_cmpx_lt_u32_e64 v139, v165
	s_cbranch_execz .LBB1113_200
.LBB1113_266:                           ;   in Loop: Header=BB1113_96 Depth=2
	global_load_b64 v[40:41], v[58:59], off offset:2048
	s_wait_xcnt 0x0
	s_or_b32 exec_lo, exec_lo, s34
	s_delay_alu instid0(SALU_CYCLE_1)
	s_mov_b32 s34, exec_lo
	v_cmpx_lt_u32_e64 v140, v165
	s_cbranch_execz .LBB1113_201
.LBB1113_267:                           ;   in Loop: Header=BB1113_96 Depth=2
	global_load_b64 v[38:39], v[58:59], off offset:2304
	s_wait_xcnt 0x0
	s_or_b32 exec_lo, exec_lo, s34
	s_delay_alu instid0(SALU_CYCLE_1)
	s_mov_b32 s34, exec_lo
	v_cmpx_lt_u32_e64 v141, v165
	s_cbranch_execz .LBB1113_202
.LBB1113_268:                           ;   in Loop: Header=BB1113_96 Depth=2
	global_load_b64 v[36:37], v[58:59], off offset:2560
	s_wait_xcnt 0x0
	s_or_b32 exec_lo, exec_lo, s34
	s_delay_alu instid0(SALU_CYCLE_1)
	s_mov_b32 s34, exec_lo
	v_cmpx_lt_u32_e64 v142, v165
	s_cbranch_execz .LBB1113_203
.LBB1113_269:                           ;   in Loop: Header=BB1113_96 Depth=2
	global_load_b64 v[34:35], v[58:59], off offset:2816
	s_wait_xcnt 0x0
	s_or_b32 exec_lo, exec_lo, s34
	s_delay_alu instid0(SALU_CYCLE_1)
	s_mov_b32 s34, exec_lo
	v_cmpx_lt_u32_e64 v143, v165
	s_cbranch_execz .LBB1113_204
.LBB1113_270:                           ;   in Loop: Header=BB1113_96 Depth=2
	global_load_b64 v[32:33], v[58:59], off offset:3072
	s_wait_xcnt 0x0
	s_or_b32 exec_lo, exec_lo, s34
	s_delay_alu instid0(SALU_CYCLE_1)
	s_mov_b32 s34, exec_lo
	v_cmpx_lt_u32_e64 v144, v165
	s_cbranch_execz .LBB1113_205
.LBB1113_271:                           ;   in Loop: Header=BB1113_96 Depth=2
	global_load_b64 v[30:31], v[58:59], off offset:3328
	s_wait_xcnt 0x0
	s_or_b32 exec_lo, exec_lo, s34
	s_delay_alu instid0(SALU_CYCLE_1)
	s_mov_b32 s34, exec_lo
	v_cmpx_lt_u32_e64 v145, v165
	s_cbranch_execz .LBB1113_206
.LBB1113_272:                           ;   in Loop: Header=BB1113_96 Depth=2
	global_load_b64 v[28:29], v[58:59], off offset:3584
	s_wait_xcnt 0x0
	s_or_b32 exec_lo, exec_lo, s34
	s_delay_alu instid0(SALU_CYCLE_1)
	s_mov_b32 s34, exec_lo
	v_cmpx_lt_u32_e64 v146, v165
	s_cbranch_execz .LBB1113_207
.LBB1113_273:                           ;   in Loop: Header=BB1113_96 Depth=2
	global_load_b64 v[26:27], v[58:59], off offset:3840
	s_wait_xcnt 0x0
	s_or_b32 exec_lo, exec_lo, s34
	s_and_saveexec_b32 s34, vcc_lo
	s_cbranch_execz .LBB1113_208
.LBB1113_274:                           ;   in Loop: Header=BB1113_96 Depth=2
	ds_load_b64 v[58:59], v123 offset:1024
	s_wait_dscnt 0x0
	v_cmp_ne_u64_e64 s30, s[42:43], v[58:59]
	s_delay_alu instid0(VALU_DEP_1) | instskip(SKIP_1) | instid1(VALU_DEP_1)
	v_cndmask_b32_e64 v59, 0x7fffffff, v59, s30
	v_cndmask_b32_e64 v58, -1, v58, s30
	v_lshrrev_b64 v[58:59], s54, v[58:59]
	s_delay_alu instid0(VALU_DEP_1)
	v_and_b32_e32 v164, s59, v58
	s_or_b32 exec_lo, exec_lo, s34
	s_and_saveexec_b32 s34, s15
	s_cbranch_execz .LBB1113_209
.LBB1113_275:                           ;   in Loop: Header=BB1113_96 Depth=2
	ds_load_b64 v[58:59], v123 offset:3072
	s_wait_dscnt 0x0
	v_cmp_ne_u64_e64 s30, s[42:43], v[58:59]
	s_delay_alu instid0(VALU_DEP_1) | instskip(SKIP_1) | instid1(VALU_DEP_1)
	v_cndmask_b32_e64 v59, 0x7fffffff, v59, s30
	v_cndmask_b32_e64 v58, -1, v58, s30
	v_lshrrev_b64 v[58:59], s54, v[58:59]
	s_delay_alu instid0(VALU_DEP_1)
	v_and_b32_e32 v163, s59, v58
	s_or_b32 exec_lo, exec_lo, s34
	s_and_saveexec_b32 s34, s16
	s_cbranch_execz .LBB1113_210
.LBB1113_276:                           ;   in Loop: Header=BB1113_96 Depth=2
	ds_load_b64 v[58:59], v123 offset:5120
	s_wait_dscnt 0x0
	v_cmp_ne_u64_e64 s30, s[42:43], v[58:59]
	s_delay_alu instid0(VALU_DEP_1) | instskip(SKIP_1) | instid1(VALU_DEP_1)
	v_cndmask_b32_e64 v59, 0x7fffffff, v59, s30
	v_cndmask_b32_e64 v58, -1, v58, s30
	v_lshrrev_b64 v[58:59], s54, v[58:59]
	s_delay_alu instid0(VALU_DEP_1)
	v_and_b32_e32 v162, s59, v58
	s_or_b32 exec_lo, exec_lo, s34
	s_and_saveexec_b32 s34, s17
	s_cbranch_execz .LBB1113_211
.LBB1113_277:                           ;   in Loop: Header=BB1113_96 Depth=2
	ds_load_b64 v[58:59], v123 offset:7168
	s_wait_dscnt 0x0
	v_cmp_ne_u64_e64 s30, s[42:43], v[58:59]
	s_delay_alu instid0(VALU_DEP_1) | instskip(SKIP_1) | instid1(VALU_DEP_1)
	v_cndmask_b32_e64 v59, 0x7fffffff, v59, s30
	v_cndmask_b32_e64 v58, -1, v58, s30
	v_lshrrev_b64 v[58:59], s54, v[58:59]
	s_delay_alu instid0(VALU_DEP_1)
	v_and_b32_e32 v161, s59, v58
	s_or_b32 exec_lo, exec_lo, s34
	s_and_saveexec_b32 s34, s18
	s_cbranch_execz .LBB1113_212
.LBB1113_278:                           ;   in Loop: Header=BB1113_96 Depth=2
	ds_load_b64 v[58:59], v123 offset:9216
	s_wait_dscnt 0x0
	v_cmp_ne_u64_e64 s30, s[42:43], v[58:59]
	s_delay_alu instid0(VALU_DEP_1) | instskip(SKIP_1) | instid1(VALU_DEP_1)
	v_cndmask_b32_e64 v59, 0x7fffffff, v59, s30
	v_cndmask_b32_e64 v58, -1, v58, s30
	v_lshrrev_b64 v[58:59], s54, v[58:59]
	s_delay_alu instid0(VALU_DEP_1)
	v_and_b32_e32 v160, s59, v58
	s_or_b32 exec_lo, exec_lo, s34
	s_and_saveexec_b32 s34, s19
	s_cbranch_execz .LBB1113_213
.LBB1113_279:                           ;   in Loop: Header=BB1113_96 Depth=2
	ds_load_b64 v[58:59], v123 offset:11264
	s_wait_dscnt 0x0
	v_cmp_ne_u64_e64 s30, s[42:43], v[58:59]
	s_delay_alu instid0(VALU_DEP_1) | instskip(SKIP_1) | instid1(VALU_DEP_1)
	v_cndmask_b32_e64 v59, 0x7fffffff, v59, s30
	v_cndmask_b32_e64 v58, -1, v58, s30
	v_lshrrev_b64 v[58:59], s54, v[58:59]
	s_delay_alu instid0(VALU_DEP_1)
	v_and_b32_e32 v159, s59, v58
	s_or_b32 exec_lo, exec_lo, s34
	s_and_saveexec_b32 s34, s20
	s_cbranch_execz .LBB1113_214
.LBB1113_280:                           ;   in Loop: Header=BB1113_96 Depth=2
	ds_load_b64 v[58:59], v123 offset:13312
	s_wait_dscnt 0x0
	v_cmp_ne_u64_e64 s30, s[42:43], v[58:59]
	s_delay_alu instid0(VALU_DEP_1) | instskip(SKIP_1) | instid1(VALU_DEP_1)
	v_cndmask_b32_e64 v59, 0x7fffffff, v59, s30
	v_cndmask_b32_e64 v58, -1, v58, s30
	v_lshrrev_b64 v[58:59], s54, v[58:59]
	s_delay_alu instid0(VALU_DEP_1)
	v_and_b32_e32 v158, s59, v58
	s_or_b32 exec_lo, exec_lo, s34
	s_and_saveexec_b32 s34, s21
	s_cbranch_execz .LBB1113_215
.LBB1113_281:                           ;   in Loop: Header=BB1113_96 Depth=2
	ds_load_b64 v[58:59], v123 offset:15360
	s_wait_dscnt 0x0
	v_cmp_ne_u64_e64 s30, s[42:43], v[58:59]
	s_delay_alu instid0(VALU_DEP_1) | instskip(SKIP_1) | instid1(VALU_DEP_1)
	v_cndmask_b32_e64 v59, 0x7fffffff, v59, s30
	v_cndmask_b32_e64 v58, -1, v58, s30
	v_lshrrev_b64 v[58:59], s54, v[58:59]
	s_delay_alu instid0(VALU_DEP_1)
	v_and_b32_e32 v157, s59, v58
	s_or_b32 exec_lo, exec_lo, s34
	s_and_saveexec_b32 s34, s22
	s_cbranch_execz .LBB1113_216
.LBB1113_282:                           ;   in Loop: Header=BB1113_96 Depth=2
	ds_load_b64 v[58:59], v123 offset:17408
	s_wait_dscnt 0x0
	v_cmp_ne_u64_e64 s30, s[42:43], v[58:59]
	s_delay_alu instid0(VALU_DEP_1) | instskip(SKIP_1) | instid1(VALU_DEP_1)
	v_cndmask_b32_e64 v59, 0x7fffffff, v59, s30
	v_cndmask_b32_e64 v58, -1, v58, s30
	v_lshrrev_b64 v[58:59], s54, v[58:59]
	s_delay_alu instid0(VALU_DEP_1)
	v_and_b32_e32 v156, s59, v58
	s_or_b32 exec_lo, exec_lo, s34
	s_and_saveexec_b32 s34, s23
	s_cbranch_execz .LBB1113_217
.LBB1113_283:                           ;   in Loop: Header=BB1113_96 Depth=2
	ds_load_b64 v[58:59], v123 offset:19456
	s_wait_dscnt 0x0
	v_cmp_ne_u64_e64 s30, s[42:43], v[58:59]
	s_delay_alu instid0(VALU_DEP_1) | instskip(SKIP_1) | instid1(VALU_DEP_1)
	v_cndmask_b32_e64 v59, 0x7fffffff, v59, s30
	v_cndmask_b32_e64 v58, -1, v58, s30
	v_lshrrev_b64 v[58:59], s54, v[58:59]
	s_delay_alu instid0(VALU_DEP_1)
	v_and_b32_e32 v155, s59, v58
	s_or_b32 exec_lo, exec_lo, s34
	s_and_saveexec_b32 s34, s24
	s_cbranch_execz .LBB1113_218
.LBB1113_284:                           ;   in Loop: Header=BB1113_96 Depth=2
	ds_load_b64 v[58:59], v123 offset:21504
	s_wait_dscnt 0x0
	v_cmp_ne_u64_e64 s30, s[42:43], v[58:59]
	s_delay_alu instid0(VALU_DEP_1) | instskip(SKIP_1) | instid1(VALU_DEP_1)
	v_cndmask_b32_e64 v59, 0x7fffffff, v59, s30
	v_cndmask_b32_e64 v58, -1, v58, s30
	v_lshrrev_b64 v[58:59], s54, v[58:59]
	s_delay_alu instid0(VALU_DEP_1)
	v_and_b32_e32 v154, s59, v58
	s_or_b32 exec_lo, exec_lo, s34
	s_and_saveexec_b32 s34, s25
	s_cbranch_execz .LBB1113_219
.LBB1113_285:                           ;   in Loop: Header=BB1113_96 Depth=2
	ds_load_b64 v[58:59], v123 offset:23552
	s_wait_dscnt 0x0
	v_cmp_ne_u64_e64 s30, s[42:43], v[58:59]
	s_delay_alu instid0(VALU_DEP_1) | instskip(SKIP_1) | instid1(VALU_DEP_1)
	v_cndmask_b32_e64 v59, 0x7fffffff, v59, s30
	v_cndmask_b32_e64 v58, -1, v58, s30
	v_lshrrev_b64 v[58:59], s54, v[58:59]
	s_delay_alu instid0(VALU_DEP_1)
	v_and_b32_e32 v153, s59, v58
	s_or_b32 exec_lo, exec_lo, s34
	s_and_saveexec_b32 s34, s26
	s_cbranch_execz .LBB1113_220
.LBB1113_286:                           ;   in Loop: Header=BB1113_96 Depth=2
	ds_load_b64 v[58:59], v123 offset:25600
	s_wait_dscnt 0x0
	v_cmp_ne_u64_e64 s30, s[42:43], v[58:59]
	s_delay_alu instid0(VALU_DEP_1) | instskip(SKIP_1) | instid1(VALU_DEP_1)
	v_cndmask_b32_e64 v59, 0x7fffffff, v59, s30
	v_cndmask_b32_e64 v58, -1, v58, s30
	v_lshrrev_b64 v[58:59], s54, v[58:59]
	s_delay_alu instid0(VALU_DEP_1)
	v_and_b32_e32 v152, s59, v58
	s_or_b32 exec_lo, exec_lo, s34
	s_and_saveexec_b32 s34, s27
	s_cbranch_execz .LBB1113_221
.LBB1113_287:                           ;   in Loop: Header=BB1113_96 Depth=2
	ds_load_b64 v[58:59], v123 offset:27648
	s_wait_dscnt 0x0
	v_cmp_ne_u64_e64 s30, s[42:43], v[58:59]
	s_delay_alu instid0(VALU_DEP_1) | instskip(SKIP_1) | instid1(VALU_DEP_1)
	v_cndmask_b32_e64 v59, 0x7fffffff, v59, s30
	v_cndmask_b32_e64 v58, -1, v58, s30
	v_lshrrev_b64 v[58:59], s54, v[58:59]
	s_delay_alu instid0(VALU_DEP_1)
	v_and_b32_e32 v151, s59, v58
	s_or_b32 exec_lo, exec_lo, s34
	s_and_saveexec_b32 s34, s28
	s_cbranch_execz .LBB1113_222
.LBB1113_288:                           ;   in Loop: Header=BB1113_96 Depth=2
	ds_load_b64 v[58:59], v123 offset:29696
	s_wait_dscnt 0x0
	v_cmp_ne_u64_e64 s30, s[42:43], v[58:59]
	s_delay_alu instid0(VALU_DEP_1) | instskip(SKIP_1) | instid1(VALU_DEP_1)
	v_cndmask_b32_e64 v59, 0x7fffffff, v59, s30
	v_cndmask_b32_e64 v58, -1, v58, s30
	v_lshrrev_b64 v[58:59], s54, v[58:59]
	s_delay_alu instid0(VALU_DEP_1)
	v_and_b32_e32 v150, s59, v58
	s_or_b32 exec_lo, exec_lo, s34
	s_and_saveexec_b32 s34, s29
	s_cbranch_execnz .LBB1113_223
	s_branch .LBB1113_224
.LBB1113_289:                           ;   in Loop: Header=BB1113_96 Depth=2
	v_lshlrev_b32_e32 v58, 2, v164
	ds_load_b32 v60, v58
	ds_load_b64 v[58:59], v123 offset:1024
	s_wait_dscnt 0x1
	v_add_nc_u32_e32 v60, v60, v2
	s_wait_dscnt 0x0
	global_store_b64 v60, v[58:59], s[44:45] scale_offset
	s_wait_xcnt 0x0
	s_or_b32 exec_lo, exec_lo, s30
	s_and_saveexec_b32 s30, s15
	s_cbranch_execz .LBB1113_226
.LBB1113_290:                           ;   in Loop: Header=BB1113_96 Depth=2
	v_lshlrev_b32_e32 v58, 2, v163
	ds_load_b32 v60, v58
	ds_load_b64 v[58:59], v123 offset:3072
	s_wait_dscnt 0x1
	v_add_nc_u32_e32 v60, v60, v98
	s_wait_dscnt 0x0
	global_store_b64 v60, v[58:59], s[44:45] scale_offset
	s_wait_xcnt 0x0
	s_or_b32 exec_lo, exec_lo, s30
	s_and_saveexec_b32 s15, s16
	s_cbranch_execz .LBB1113_227
.LBB1113_291:                           ;   in Loop: Header=BB1113_96 Depth=2
	v_lshlrev_b32_e32 v58, 2, v162
	ds_load_b32 v60, v58
	ds_load_b64 v[58:59], v123 offset:5120
	s_wait_dscnt 0x1
	v_add_nc_u32_e32 v60, v60, v99
	s_wait_dscnt 0x0
	global_store_b64 v60, v[58:59], s[44:45] scale_offset
	s_wait_xcnt 0x0
	s_or_b32 exec_lo, exec_lo, s15
	s_and_saveexec_b32 s15, s17
	s_cbranch_execz .LBB1113_228
.LBB1113_292:                           ;   in Loop: Header=BB1113_96 Depth=2
	v_lshlrev_b32_e32 v58, 2, v161
	ds_load_b32 v60, v58
	ds_load_b64 v[58:59], v123 offset:7168
	s_wait_dscnt 0x1
	v_add_nc_u32_e32 v60, v60, v100
	s_wait_dscnt 0x0
	global_store_b64 v60, v[58:59], s[44:45] scale_offset
	s_wait_xcnt 0x0
	s_or_b32 exec_lo, exec_lo, s15
	s_and_saveexec_b32 s15, s18
	s_cbranch_execz .LBB1113_229
.LBB1113_293:                           ;   in Loop: Header=BB1113_96 Depth=2
	v_lshlrev_b32_e32 v58, 2, v160
	ds_load_b32 v60, v58
	ds_load_b64 v[58:59], v123 offset:9216
	s_wait_dscnt 0x1
	v_add_nc_u32_e32 v60, v60, v101
	s_wait_dscnt 0x0
	global_store_b64 v60, v[58:59], s[44:45] scale_offset
	s_wait_xcnt 0x0
	s_or_b32 exec_lo, exec_lo, s15
	s_and_saveexec_b32 s15, s19
	s_cbranch_execz .LBB1113_230
.LBB1113_294:                           ;   in Loop: Header=BB1113_96 Depth=2
	v_lshlrev_b32_e32 v58, 2, v159
	ds_load_b32 v60, v58
	ds_load_b64 v[58:59], v123 offset:11264
	s_wait_dscnt 0x1
	v_add_nc_u32_e32 v60, v60, v102
	s_wait_dscnt 0x0
	global_store_b64 v60, v[58:59], s[44:45] scale_offset
	s_wait_xcnt 0x0
	s_or_b32 exec_lo, exec_lo, s15
	s_and_saveexec_b32 s15, s20
	s_cbranch_execz .LBB1113_231
.LBB1113_295:                           ;   in Loop: Header=BB1113_96 Depth=2
	v_lshlrev_b32_e32 v58, 2, v158
	ds_load_b32 v60, v58
	ds_load_b64 v[58:59], v123 offset:13312
	s_wait_dscnt 0x1
	v_add_nc_u32_e32 v60, v60, v103
	s_wait_dscnt 0x0
	global_store_b64 v60, v[58:59], s[44:45] scale_offset
	s_wait_xcnt 0x0
	s_or_b32 exec_lo, exec_lo, s15
	s_and_saveexec_b32 s15, s21
	s_cbranch_execz .LBB1113_232
.LBB1113_296:                           ;   in Loop: Header=BB1113_96 Depth=2
	v_lshlrev_b32_e32 v58, 2, v157
	ds_load_b32 v60, v58
	ds_load_b64 v[58:59], v123 offset:15360
	s_wait_dscnt 0x1
	v_add_nc_u32_e32 v60, v60, v104
	s_wait_dscnt 0x0
	global_store_b64 v60, v[58:59], s[44:45] scale_offset
	s_wait_xcnt 0x0
	s_or_b32 exec_lo, exec_lo, s15
	s_and_saveexec_b32 s15, s22
	s_cbranch_execz .LBB1113_233
.LBB1113_297:                           ;   in Loop: Header=BB1113_96 Depth=2
	v_lshlrev_b32_e32 v58, 2, v156
	ds_load_b32 v60, v58
	ds_load_b64 v[58:59], v123 offset:17408
	s_wait_dscnt 0x1
	v_add_nc_u32_e32 v60, v60, v105
	s_wait_dscnt 0x0
	global_store_b64 v60, v[58:59], s[44:45] scale_offset
	s_wait_xcnt 0x0
	s_or_b32 exec_lo, exec_lo, s15
	s_and_saveexec_b32 s15, s23
	s_cbranch_execz .LBB1113_234
.LBB1113_298:                           ;   in Loop: Header=BB1113_96 Depth=2
	v_lshlrev_b32_e32 v58, 2, v155
	ds_load_b32 v60, v58
	ds_load_b64 v[58:59], v123 offset:19456
	s_wait_dscnt 0x1
	v_add_nc_u32_e32 v60, v60, v106
	s_wait_dscnt 0x0
	global_store_b64 v60, v[58:59], s[44:45] scale_offset
	s_wait_xcnt 0x0
	s_or_b32 exec_lo, exec_lo, s15
	s_and_saveexec_b32 s15, s24
	s_cbranch_execz .LBB1113_235
.LBB1113_299:                           ;   in Loop: Header=BB1113_96 Depth=2
	v_lshlrev_b32_e32 v58, 2, v154
	ds_load_b32 v60, v58
	ds_load_b64 v[58:59], v123 offset:21504
	s_wait_dscnt 0x1
	v_add_nc_u32_e32 v60, v60, v107
	s_wait_dscnt 0x0
	global_store_b64 v60, v[58:59], s[44:45] scale_offset
	s_wait_xcnt 0x0
	s_or_b32 exec_lo, exec_lo, s15
	s_and_saveexec_b32 s15, s25
	s_cbranch_execz .LBB1113_236
.LBB1113_300:                           ;   in Loop: Header=BB1113_96 Depth=2
	v_lshlrev_b32_e32 v58, 2, v153
	ds_load_b32 v60, v58
	ds_load_b64 v[58:59], v123 offset:23552
	s_wait_dscnt 0x1
	v_add_nc_u32_e32 v60, v60, v108
	s_wait_dscnt 0x0
	global_store_b64 v60, v[58:59], s[44:45] scale_offset
	s_wait_xcnt 0x0
	s_or_b32 exec_lo, exec_lo, s15
	s_and_saveexec_b32 s15, s26
	s_cbranch_execz .LBB1113_237
.LBB1113_301:                           ;   in Loop: Header=BB1113_96 Depth=2
	v_lshlrev_b32_e32 v58, 2, v152
	ds_load_b32 v60, v58
	ds_load_b64 v[58:59], v123 offset:25600
	s_wait_dscnt 0x1
	v_add_nc_u32_e32 v60, v60, v109
	s_wait_dscnt 0x0
	global_store_b64 v60, v[58:59], s[44:45] scale_offset
	s_wait_xcnt 0x0
	s_or_b32 exec_lo, exec_lo, s15
	s_and_saveexec_b32 s15, s27
	s_cbranch_execz .LBB1113_238
.LBB1113_302:                           ;   in Loop: Header=BB1113_96 Depth=2
	v_lshlrev_b32_e32 v58, 2, v151
	ds_load_b32 v60, v58
	ds_load_b64 v[58:59], v123 offset:27648
	s_wait_dscnt 0x1
	v_add_nc_u32_e32 v60, v60, v110
	s_wait_dscnt 0x0
	global_store_b64 v60, v[58:59], s[44:45] scale_offset
	s_wait_xcnt 0x0
	s_or_b32 exec_lo, exec_lo, s15
	s_and_saveexec_b32 s15, s28
	s_cbranch_execz .LBB1113_239
.LBB1113_303:                           ;   in Loop: Header=BB1113_96 Depth=2
	v_lshlrev_b32_e32 v58, 2, v150
	ds_load_b32 v60, v58
	ds_load_b64 v[58:59], v123 offset:29696
	s_wait_dscnt 0x1
	v_add_nc_u32_e32 v60, v60, v111
	s_wait_dscnt 0x0
	global_store_b64 v60, v[58:59], s[44:45] scale_offset
	s_wait_xcnt 0x0
	s_or_b32 exec_lo, exec_lo, s15
	s_and_saveexec_b32 s15, s29
	s_cbranch_execnz .LBB1113_240
	s_branch .LBB1113_241
.LBB1113_304:                           ;   in Loop: Header=BB1113_12 Depth=1
	s_wait_dscnt 0x0
	s_barrier_signal -1
	s_mov_b32 s7, 0
	s_barrier_wait -1
.LBB1113_305:                           ;   in Loop: Header=BB1113_12 Depth=1
	s_and_b32 vcc_lo, exec_lo, s7
	s_cbranch_vccz .LBB1113_597
; %bb.306:                              ;   in Loop: Header=BB1113_12 Depth=1
	s_mov_b32 s7, s58
	s_mov_b32 s34, s56
	s_barrier_signal -1
	s_barrier_wait -1
                                        ; implicit-def: $vgpr22_vgpr23
                                        ; implicit-def: $vgpr24_vgpr25
                                        ; implicit-def: $vgpr26_vgpr27
                                        ; implicit-def: $vgpr28_vgpr29
                                        ; implicit-def: $vgpr30_vgpr31
                                        ; implicit-def: $vgpr32_vgpr33
                                        ; implicit-def: $vgpr34_vgpr35
                                        ; implicit-def: $vgpr36_vgpr37
                                        ; implicit-def: $vgpr38_vgpr39
                                        ; implicit-def: $vgpr40_vgpr41
                                        ; implicit-def: $vgpr42_vgpr43
                                        ; implicit-def: $vgpr44_vgpr45
                                        ; implicit-def: $vgpr46_vgpr47
                                        ; implicit-def: $vgpr48_vgpr49
                                        ; implicit-def: $vgpr50_vgpr51
                                        ; implicit-def: $vgpr52_vgpr53
	s_branch .LBB1113_308
.LBB1113_307:                           ;   in Loop: Header=BB1113_308 Depth=2
	s_or_b32 exec_lo, exec_lo, s8
	s_addk_co_i32 s7, 0xf000
	s_cmp_ge_u32 s10, s51
	s_mov_b32 s34, s10
	s_cbranch_scc1 .LBB1113_376
.LBB1113_308:                           ;   Parent Loop BB1113_12 Depth=1
                                        ; =>  This Inner Loop Header: Depth=2
	s_add_co_i32 s10, s34, 0x1000
	s_mov_b32 s8, -1
	s_cmp_gt_u32 s10, s51
                                        ; implicit-def: $vgpr54_vgpr55
                                        ; implicit-def: $vgpr56_vgpr57
                                        ; implicit-def: $vgpr58_vgpr59
                                        ; implicit-def: $vgpr60_vgpr61
                                        ; implicit-def: $vgpr62_vgpr63
                                        ; implicit-def: $vgpr64_vgpr65
                                        ; implicit-def: $vgpr66_vgpr67
                                        ; implicit-def: $vgpr68_vgpr69
                                        ; implicit-def: $vgpr70_vgpr71
                                        ; implicit-def: $vgpr72_vgpr73
                                        ; implicit-def: $vgpr74_vgpr75
                                        ; implicit-def: $vgpr76_vgpr77
                                        ; implicit-def: $vgpr78_vgpr79
                                        ; implicit-def: $vgpr80_vgpr81
                                        ; implicit-def: $vgpr82_vgpr83
                                        ; implicit-def: $vgpr84_vgpr85
	s_cbranch_scc1 .LBB1113_310
; %bb.309:                              ;   in Loop: Header=BB1113_308 Depth=2
	v_lshl_add_u64 v[84:85], s[34:35], 3, v[10:11]
	s_mov_b32 s8, 0
	s_clause 0xf
	global_load_b64 v[54:55], v[84:85], off
	global_load_b64 v[56:57], v[84:85], off offset:2048
	global_load_b64 v[58:59], v[84:85], off offset:4096
	;; [unrolled: 1-line block ×15, first 2 shown]
.LBB1113_310:                           ;   in Loop: Header=BB1113_308 Depth=2
	s_and_not1_b32 vcc_lo, exec_lo, s8
	s_movk_i32 s8, 0x1000
	s_cbranch_vccnz .LBB1113_329
; %bb.311:                              ;   in Loop: Header=BB1113_308 Depth=2
	s_lshl_b64 s[8:9], s[34:35], 3
	s_mov_b32 s11, exec_lo
	s_add_nc_u64 s[8:9], s[38:39], s[8:9]
	s_wait_xcnt 0x0
	v_cmpx_gt_u32_e64 s7, v2
	s_cbranch_execnz .LBB1113_361
; %bb.312:                              ;   in Loop: Header=BB1113_308 Depth=2
	s_or_b32 exec_lo, exec_lo, s11
	s_delay_alu instid0(SALU_CYCLE_1)
	s_mov_b32 s11, exec_lo
	v_cmpx_gt_u32_e64 s7, v98
	s_cbranch_execnz .LBB1113_362
.LBB1113_313:                           ;   in Loop: Header=BB1113_308 Depth=2
	s_or_b32 exec_lo, exec_lo, s11
	s_delay_alu instid0(SALU_CYCLE_1)
	s_mov_b32 s11, exec_lo
	v_cmpx_gt_u32_e64 s7, v99
	s_cbranch_execnz .LBB1113_363
.LBB1113_314:                           ;   in Loop: Header=BB1113_308 Depth=2
	s_or_b32 exec_lo, exec_lo, s11
	s_delay_alu instid0(SALU_CYCLE_1)
	s_mov_b32 s11, exec_lo
	v_cmpx_gt_u32_e64 s7, v100
	s_cbranch_execnz .LBB1113_364
.LBB1113_315:                           ;   in Loop: Header=BB1113_308 Depth=2
	s_or_b32 exec_lo, exec_lo, s11
	s_delay_alu instid0(SALU_CYCLE_1)
	s_mov_b32 s11, exec_lo
	v_cmpx_gt_u32_e64 s7, v101
	s_cbranch_execnz .LBB1113_365
.LBB1113_316:                           ;   in Loop: Header=BB1113_308 Depth=2
	s_or_b32 exec_lo, exec_lo, s11
	s_delay_alu instid0(SALU_CYCLE_1)
	s_mov_b32 s11, exec_lo
	v_cmpx_gt_u32_e64 s7, v102
	s_cbranch_execnz .LBB1113_366
.LBB1113_317:                           ;   in Loop: Header=BB1113_308 Depth=2
	s_or_b32 exec_lo, exec_lo, s11
	s_delay_alu instid0(SALU_CYCLE_1)
	s_mov_b32 s11, exec_lo
	v_cmpx_gt_u32_e64 s7, v103
	s_cbranch_execnz .LBB1113_367
.LBB1113_318:                           ;   in Loop: Header=BB1113_308 Depth=2
	s_or_b32 exec_lo, exec_lo, s11
	s_delay_alu instid0(SALU_CYCLE_1)
	s_mov_b32 s11, exec_lo
	v_cmpx_gt_u32_e64 s7, v104
	s_cbranch_execnz .LBB1113_368
.LBB1113_319:                           ;   in Loop: Header=BB1113_308 Depth=2
	s_or_b32 exec_lo, exec_lo, s11
	s_delay_alu instid0(SALU_CYCLE_1)
	s_mov_b32 s11, exec_lo
	v_cmpx_gt_u32_e64 s7, v105
	s_cbranch_execnz .LBB1113_369
.LBB1113_320:                           ;   in Loop: Header=BB1113_308 Depth=2
	s_or_b32 exec_lo, exec_lo, s11
	s_delay_alu instid0(SALU_CYCLE_1)
	s_mov_b32 s11, exec_lo
	v_cmpx_gt_u32_e64 s7, v106
	s_cbranch_execnz .LBB1113_370
.LBB1113_321:                           ;   in Loop: Header=BB1113_308 Depth=2
	s_or_b32 exec_lo, exec_lo, s11
	s_delay_alu instid0(SALU_CYCLE_1)
	s_mov_b32 s11, exec_lo
	v_cmpx_gt_u32_e64 s7, v107
	s_cbranch_execnz .LBB1113_371
.LBB1113_322:                           ;   in Loop: Header=BB1113_308 Depth=2
	s_or_b32 exec_lo, exec_lo, s11
	s_delay_alu instid0(SALU_CYCLE_1)
	s_mov_b32 s11, exec_lo
	v_cmpx_gt_u32_e64 s7, v108
	s_cbranch_execnz .LBB1113_372
.LBB1113_323:                           ;   in Loop: Header=BB1113_308 Depth=2
	s_or_b32 exec_lo, exec_lo, s11
	s_delay_alu instid0(SALU_CYCLE_1)
	s_mov_b32 s11, exec_lo
	v_cmpx_gt_u32_e64 s7, v109
	s_cbranch_execnz .LBB1113_373
.LBB1113_324:                           ;   in Loop: Header=BB1113_308 Depth=2
	s_or_b32 exec_lo, exec_lo, s11
	s_delay_alu instid0(SALU_CYCLE_1)
	s_mov_b32 s11, exec_lo
	v_cmpx_gt_u32_e64 s7, v110
	s_cbranch_execnz .LBB1113_374
.LBB1113_325:                           ;   in Loop: Header=BB1113_308 Depth=2
	s_or_b32 exec_lo, exec_lo, s11
	s_delay_alu instid0(SALU_CYCLE_1)
	s_mov_b32 s11, exec_lo
	v_cmpx_gt_u32_e64 s7, v111
	s_cbranch_execnz .LBB1113_375
.LBB1113_326:                           ;   in Loop: Header=BB1113_308 Depth=2
	s_or_b32 exec_lo, exec_lo, s11
	s_delay_alu instid0(SALU_CYCLE_1)
	s_mov_b32 s11, exec_lo
	v_cmpx_gt_u32_e64 s7, v112
	s_cbranch_execz .LBB1113_328
.LBB1113_327:                           ;   in Loop: Header=BB1113_308 Depth=2
	global_load_b64 v[22:23], v2, s[8:9] offset:30720 scale_offset
.LBB1113_328:                           ;   in Loop: Header=BB1113_308 Depth=2
	s_wait_xcnt 0x0
	s_or_b32 exec_lo, exec_lo, s11
	s_wait_loadcnt 0x0
	v_mov_b64_e32 v[54:55], v[52:53]
	v_mov_b64_e32 v[56:57], v[50:51]
	;; [unrolled: 1-line block ×16, first 2 shown]
	s_mov_b32 s8, s7
.LBB1113_329:                           ;   in Loop: Header=BB1113_308 Depth=2
	s_wait_loadcnt 0x0
	s_delay_alu instid0(VALU_DEP_1) | instskip(NEXT) | instid1(VALU_DEP_3)
	v_mov_b64_e32 v[22:23], v[84:85]
	v_mov_b64_e32 v[24:25], v[82:83]
	v_mov_b64_e32 v[26:27], v[80:81]
	v_mov_b64_e32 v[28:29], v[78:79]
	v_mov_b64_e32 v[30:31], v[76:77]
	v_mov_b64_e32 v[32:33], v[74:75]
	v_mov_b64_e32 v[34:35], v[72:73]
	v_mov_b64_e32 v[36:37], v[70:71]
	v_mov_b64_e32 v[38:39], v[68:69]
	v_mov_b64_e32 v[40:41], v[66:67]
	v_mov_b64_e32 v[42:43], v[64:65]
	v_mov_b64_e32 v[44:45], v[62:63]
	v_mov_b64_e32 v[46:47], v[60:61]
	v_mov_b64_e32 v[48:49], v[58:59]
	v_mov_b64_e32 v[50:51], v[56:57]
	v_mov_b64_e32 v[52:53], v[54:55]
	s_mov_b32 s9, exec_lo
	s_wait_xcnt 0x0
	v_cmpx_gt_u32_e64 s8, v2
	s_cbranch_execnz .LBB1113_345
; %bb.330:                              ;   in Loop: Header=BB1113_308 Depth=2
	s_or_b32 exec_lo, exec_lo, s9
	s_delay_alu instid0(SALU_CYCLE_1)
	s_mov_b32 s9, exec_lo
	v_cmpx_gt_u32_e64 s8, v98
	s_cbranch_execnz .LBB1113_346
.LBB1113_331:                           ;   in Loop: Header=BB1113_308 Depth=2
	s_or_b32 exec_lo, exec_lo, s9
	s_delay_alu instid0(SALU_CYCLE_1)
	s_mov_b32 s9, exec_lo
	v_cmpx_gt_u32_e64 s8, v99
	s_cbranch_execnz .LBB1113_347
.LBB1113_332:                           ;   in Loop: Header=BB1113_308 Depth=2
	s_or_b32 exec_lo, exec_lo, s9
	s_delay_alu instid0(SALU_CYCLE_1)
	s_mov_b32 s9, exec_lo
	v_cmpx_gt_u32_e64 s8, v100
	s_cbranch_execnz .LBB1113_348
.LBB1113_333:                           ;   in Loop: Header=BB1113_308 Depth=2
	s_or_b32 exec_lo, exec_lo, s9
	s_delay_alu instid0(SALU_CYCLE_1)
	s_mov_b32 s9, exec_lo
	v_cmpx_gt_u32_e64 s8, v101
	s_cbranch_execnz .LBB1113_349
.LBB1113_334:                           ;   in Loop: Header=BB1113_308 Depth=2
	s_or_b32 exec_lo, exec_lo, s9
	s_delay_alu instid0(SALU_CYCLE_1)
	s_mov_b32 s9, exec_lo
	v_cmpx_gt_u32_e64 s8, v102
	s_cbranch_execnz .LBB1113_350
.LBB1113_335:                           ;   in Loop: Header=BB1113_308 Depth=2
	s_or_b32 exec_lo, exec_lo, s9
	s_delay_alu instid0(SALU_CYCLE_1)
	s_mov_b32 s9, exec_lo
	v_cmpx_gt_u32_e64 s8, v103
	s_cbranch_execnz .LBB1113_351
.LBB1113_336:                           ;   in Loop: Header=BB1113_308 Depth=2
	s_or_b32 exec_lo, exec_lo, s9
	s_delay_alu instid0(SALU_CYCLE_1)
	s_mov_b32 s9, exec_lo
	v_cmpx_gt_u32_e64 s8, v104
	s_cbranch_execnz .LBB1113_352
.LBB1113_337:                           ;   in Loop: Header=BB1113_308 Depth=2
	s_or_b32 exec_lo, exec_lo, s9
	s_delay_alu instid0(SALU_CYCLE_1)
	s_mov_b32 s9, exec_lo
	v_cmpx_gt_u32_e64 s8, v105
	s_cbranch_execnz .LBB1113_353
.LBB1113_338:                           ;   in Loop: Header=BB1113_308 Depth=2
	s_or_b32 exec_lo, exec_lo, s9
	s_delay_alu instid0(SALU_CYCLE_1)
	s_mov_b32 s9, exec_lo
	v_cmpx_gt_u32_e64 s8, v106
	s_cbranch_execnz .LBB1113_354
.LBB1113_339:                           ;   in Loop: Header=BB1113_308 Depth=2
	s_or_b32 exec_lo, exec_lo, s9
	s_delay_alu instid0(SALU_CYCLE_1)
	s_mov_b32 s9, exec_lo
	v_cmpx_gt_u32_e64 s8, v107
	s_cbranch_execnz .LBB1113_355
.LBB1113_340:                           ;   in Loop: Header=BB1113_308 Depth=2
	s_or_b32 exec_lo, exec_lo, s9
	s_delay_alu instid0(SALU_CYCLE_1)
	s_mov_b32 s9, exec_lo
	v_cmpx_gt_u32_e64 s8, v108
	s_cbranch_execnz .LBB1113_356
.LBB1113_341:                           ;   in Loop: Header=BB1113_308 Depth=2
	s_or_b32 exec_lo, exec_lo, s9
	s_delay_alu instid0(SALU_CYCLE_1)
	s_mov_b32 s9, exec_lo
	v_cmpx_gt_u32_e64 s8, v109
	s_cbranch_execnz .LBB1113_357
.LBB1113_342:                           ;   in Loop: Header=BB1113_308 Depth=2
	s_or_b32 exec_lo, exec_lo, s9
	s_delay_alu instid0(SALU_CYCLE_1)
	s_mov_b32 s9, exec_lo
	v_cmpx_gt_u32_e64 s8, v110
	s_cbranch_execnz .LBB1113_358
.LBB1113_343:                           ;   in Loop: Header=BB1113_308 Depth=2
	s_or_b32 exec_lo, exec_lo, s9
	s_delay_alu instid0(SALU_CYCLE_1)
	s_mov_b32 s9, exec_lo
	v_cmpx_gt_u32_e64 s8, v111
	s_cbranch_execnz .LBB1113_359
.LBB1113_344:                           ;   in Loop: Header=BB1113_308 Depth=2
	s_or_b32 exec_lo, exec_lo, s9
	v_cmp_gt_u32_e32 vcc_lo, s8, v112
	s_and_saveexec_b32 s8, vcc_lo
	s_cbranch_execz .LBB1113_307
	s_branch .LBB1113_360
.LBB1113_345:                           ;   in Loop: Header=BB1113_308 Depth=2
	s_delay_alu instid0(VALU_DEP_2) | instskip(SKIP_1) | instid1(VALU_DEP_1)
	v_cmp_gt_i64_e32 vcc_lo, 0, v[52:53]
	v_cndmask_b32_e64 v55, 0x7fffffff, 0, vcc_lo
	v_dual_ashrrev_i32 v54, 31, v53 :: v_dual_bitop2_b32 v55, v55, v53 bitop3:0x14
	s_delay_alu instid0(VALU_DEP_1) | instskip(NEXT) | instid1(VALU_DEP_1)
	v_not_b32_e32 v54, v54
	v_xor_b32_e32 v54, v54, v52
	s_delay_alu instid0(VALU_DEP_1) | instskip(SKIP_2) | instid1(VALU_DEP_1)
	v_cmp_ne_u64_e32 vcc_lo, s[42:43], v[54:55]
	v_cndmask_b32_e32 v55, 0x7fffffff, v55, vcc_lo
	v_cndmask_b32_e32 v54, -1, v54, vcc_lo
	v_lshrrev_b64 v[54:55], s54, v[54:55]
	s_delay_alu instid0(VALU_DEP_1) | instskip(NEXT) | instid1(VALU_DEP_1)
	v_and_b32_e32 v54, s59, v54
	v_lshl_or_b32 v54, v54, 4, v113
	ds_add_u32 v54, v125
	s_or_b32 exec_lo, exec_lo, s9
	s_delay_alu instid0(SALU_CYCLE_1)
	s_mov_b32 s9, exec_lo
	v_cmpx_gt_u32_e64 s8, v98
	s_cbranch_execz .LBB1113_331
.LBB1113_346:                           ;   in Loop: Header=BB1113_308 Depth=2
	v_cmp_gt_i64_e32 vcc_lo, 0, v[50:51]
	v_cndmask_b32_e64 v55, 0x7fffffff, 0, vcc_lo
	s_delay_alu instid0(VALU_DEP_1) | instskip(NEXT) | instid1(VALU_DEP_1)
	v_dual_ashrrev_i32 v54, 31, v51 :: v_dual_bitop2_b32 v55, v55, v51 bitop3:0x14
	v_not_b32_e32 v54, v54
	s_delay_alu instid0(VALU_DEP_1) | instskip(NEXT) | instid1(VALU_DEP_1)
	v_xor_b32_e32 v54, v54, v50
	v_cmp_ne_u64_e32 vcc_lo, s[42:43], v[54:55]
	v_cndmask_b32_e32 v55, 0x7fffffff, v55, vcc_lo
	v_cndmask_b32_e32 v54, -1, v54, vcc_lo
	s_delay_alu instid0(VALU_DEP_1) | instskip(NEXT) | instid1(VALU_DEP_1)
	v_lshrrev_b64 v[54:55], s54, v[54:55]
	v_and_b32_e32 v54, s59, v54
	s_delay_alu instid0(VALU_DEP_1) | instskip(SKIP_2) | instid1(SALU_CYCLE_1)
	v_lshl_or_b32 v54, v54, 4, v113
	ds_add_u32 v54, v125
	s_or_b32 exec_lo, exec_lo, s9
	s_mov_b32 s9, exec_lo
	v_cmpx_gt_u32_e64 s8, v99
	s_cbranch_execz .LBB1113_332
.LBB1113_347:                           ;   in Loop: Header=BB1113_308 Depth=2
	v_cmp_gt_i64_e32 vcc_lo, 0, v[48:49]
	v_cndmask_b32_e64 v55, 0x7fffffff, 0, vcc_lo
	s_delay_alu instid0(VALU_DEP_1) | instskip(NEXT) | instid1(VALU_DEP_1)
	v_dual_ashrrev_i32 v54, 31, v49 :: v_dual_bitop2_b32 v55, v55, v49 bitop3:0x14
	v_not_b32_e32 v54, v54
	s_delay_alu instid0(VALU_DEP_1) | instskip(NEXT) | instid1(VALU_DEP_1)
	v_xor_b32_e32 v54, v54, v48
	v_cmp_ne_u64_e32 vcc_lo, s[42:43], v[54:55]
	v_cndmask_b32_e32 v55, 0x7fffffff, v55, vcc_lo
	v_cndmask_b32_e32 v54, -1, v54, vcc_lo
	s_delay_alu instid0(VALU_DEP_1) | instskip(NEXT) | instid1(VALU_DEP_1)
	v_lshrrev_b64 v[54:55], s54, v[54:55]
	v_and_b32_e32 v54, s59, v54
	s_delay_alu instid0(VALU_DEP_1) | instskip(SKIP_2) | instid1(SALU_CYCLE_1)
	v_lshl_or_b32 v54, v54, 4, v113
	ds_add_u32 v54, v125
	s_or_b32 exec_lo, exec_lo, s9
	s_mov_b32 s9, exec_lo
	v_cmpx_gt_u32_e64 s8, v100
	s_cbranch_execz .LBB1113_333
.LBB1113_348:                           ;   in Loop: Header=BB1113_308 Depth=2
	v_cmp_gt_i64_e32 vcc_lo, 0, v[46:47]
	v_cndmask_b32_e64 v55, 0x7fffffff, 0, vcc_lo
	s_delay_alu instid0(VALU_DEP_1) | instskip(NEXT) | instid1(VALU_DEP_1)
	v_dual_ashrrev_i32 v54, 31, v47 :: v_dual_bitop2_b32 v55, v55, v47 bitop3:0x14
	v_not_b32_e32 v54, v54
	s_delay_alu instid0(VALU_DEP_1) | instskip(NEXT) | instid1(VALU_DEP_1)
	v_xor_b32_e32 v54, v54, v46
	v_cmp_ne_u64_e32 vcc_lo, s[42:43], v[54:55]
	v_cndmask_b32_e32 v55, 0x7fffffff, v55, vcc_lo
	v_cndmask_b32_e32 v54, -1, v54, vcc_lo
	s_delay_alu instid0(VALU_DEP_1) | instskip(NEXT) | instid1(VALU_DEP_1)
	v_lshrrev_b64 v[54:55], s54, v[54:55]
	v_and_b32_e32 v54, s59, v54
	s_delay_alu instid0(VALU_DEP_1) | instskip(SKIP_2) | instid1(SALU_CYCLE_1)
	v_lshl_or_b32 v54, v54, 4, v113
	ds_add_u32 v54, v125
	s_or_b32 exec_lo, exec_lo, s9
	s_mov_b32 s9, exec_lo
	v_cmpx_gt_u32_e64 s8, v101
	s_cbranch_execz .LBB1113_334
.LBB1113_349:                           ;   in Loop: Header=BB1113_308 Depth=2
	v_cmp_gt_i64_e32 vcc_lo, 0, v[44:45]
	v_cndmask_b32_e64 v55, 0x7fffffff, 0, vcc_lo
	s_delay_alu instid0(VALU_DEP_1) | instskip(NEXT) | instid1(VALU_DEP_1)
	v_dual_ashrrev_i32 v54, 31, v45 :: v_dual_bitop2_b32 v55, v55, v45 bitop3:0x14
	v_not_b32_e32 v54, v54
	s_delay_alu instid0(VALU_DEP_1) | instskip(NEXT) | instid1(VALU_DEP_1)
	v_xor_b32_e32 v54, v54, v44
	v_cmp_ne_u64_e32 vcc_lo, s[42:43], v[54:55]
	v_cndmask_b32_e32 v55, 0x7fffffff, v55, vcc_lo
	v_cndmask_b32_e32 v54, -1, v54, vcc_lo
	s_delay_alu instid0(VALU_DEP_1) | instskip(NEXT) | instid1(VALU_DEP_1)
	v_lshrrev_b64 v[54:55], s54, v[54:55]
	v_and_b32_e32 v54, s59, v54
	s_delay_alu instid0(VALU_DEP_1) | instskip(SKIP_2) | instid1(SALU_CYCLE_1)
	v_lshl_or_b32 v54, v54, 4, v113
	ds_add_u32 v54, v125
	s_or_b32 exec_lo, exec_lo, s9
	s_mov_b32 s9, exec_lo
	v_cmpx_gt_u32_e64 s8, v102
	s_cbranch_execz .LBB1113_335
.LBB1113_350:                           ;   in Loop: Header=BB1113_308 Depth=2
	v_cmp_gt_i64_e32 vcc_lo, 0, v[42:43]
	v_cndmask_b32_e64 v55, 0x7fffffff, 0, vcc_lo
	s_delay_alu instid0(VALU_DEP_1) | instskip(NEXT) | instid1(VALU_DEP_1)
	v_dual_ashrrev_i32 v54, 31, v43 :: v_dual_bitop2_b32 v55, v55, v43 bitop3:0x14
	v_not_b32_e32 v54, v54
	s_delay_alu instid0(VALU_DEP_1) | instskip(NEXT) | instid1(VALU_DEP_1)
	v_xor_b32_e32 v54, v54, v42
	v_cmp_ne_u64_e32 vcc_lo, s[42:43], v[54:55]
	v_cndmask_b32_e32 v55, 0x7fffffff, v55, vcc_lo
	v_cndmask_b32_e32 v54, -1, v54, vcc_lo
	s_delay_alu instid0(VALU_DEP_1) | instskip(NEXT) | instid1(VALU_DEP_1)
	v_lshrrev_b64 v[54:55], s54, v[54:55]
	v_and_b32_e32 v54, s59, v54
	s_delay_alu instid0(VALU_DEP_1) | instskip(SKIP_2) | instid1(SALU_CYCLE_1)
	v_lshl_or_b32 v54, v54, 4, v113
	ds_add_u32 v54, v125
	s_or_b32 exec_lo, exec_lo, s9
	s_mov_b32 s9, exec_lo
	v_cmpx_gt_u32_e64 s8, v103
	s_cbranch_execz .LBB1113_336
.LBB1113_351:                           ;   in Loop: Header=BB1113_308 Depth=2
	v_cmp_gt_i64_e32 vcc_lo, 0, v[40:41]
	v_cndmask_b32_e64 v55, 0x7fffffff, 0, vcc_lo
	s_delay_alu instid0(VALU_DEP_1) | instskip(NEXT) | instid1(VALU_DEP_1)
	v_dual_ashrrev_i32 v54, 31, v41 :: v_dual_bitop2_b32 v55, v55, v41 bitop3:0x14
	v_not_b32_e32 v54, v54
	s_delay_alu instid0(VALU_DEP_1) | instskip(NEXT) | instid1(VALU_DEP_1)
	v_xor_b32_e32 v54, v54, v40
	v_cmp_ne_u64_e32 vcc_lo, s[42:43], v[54:55]
	v_cndmask_b32_e32 v55, 0x7fffffff, v55, vcc_lo
	v_cndmask_b32_e32 v54, -1, v54, vcc_lo
	s_delay_alu instid0(VALU_DEP_1) | instskip(NEXT) | instid1(VALU_DEP_1)
	v_lshrrev_b64 v[54:55], s54, v[54:55]
	v_and_b32_e32 v54, s59, v54
	s_delay_alu instid0(VALU_DEP_1) | instskip(SKIP_2) | instid1(SALU_CYCLE_1)
	v_lshl_or_b32 v54, v54, 4, v113
	ds_add_u32 v54, v125
	s_or_b32 exec_lo, exec_lo, s9
	s_mov_b32 s9, exec_lo
	v_cmpx_gt_u32_e64 s8, v104
	s_cbranch_execz .LBB1113_337
.LBB1113_352:                           ;   in Loop: Header=BB1113_308 Depth=2
	v_cmp_gt_i64_e32 vcc_lo, 0, v[38:39]
	v_cndmask_b32_e64 v55, 0x7fffffff, 0, vcc_lo
	s_delay_alu instid0(VALU_DEP_1) | instskip(NEXT) | instid1(VALU_DEP_1)
	v_dual_ashrrev_i32 v54, 31, v39 :: v_dual_bitop2_b32 v55, v55, v39 bitop3:0x14
	v_not_b32_e32 v54, v54
	s_delay_alu instid0(VALU_DEP_1) | instskip(NEXT) | instid1(VALU_DEP_1)
	v_xor_b32_e32 v54, v54, v38
	v_cmp_ne_u64_e32 vcc_lo, s[42:43], v[54:55]
	v_cndmask_b32_e32 v55, 0x7fffffff, v55, vcc_lo
	v_cndmask_b32_e32 v54, -1, v54, vcc_lo
	s_delay_alu instid0(VALU_DEP_1) | instskip(NEXT) | instid1(VALU_DEP_1)
	v_lshrrev_b64 v[54:55], s54, v[54:55]
	v_and_b32_e32 v54, s59, v54
	s_delay_alu instid0(VALU_DEP_1) | instskip(SKIP_2) | instid1(SALU_CYCLE_1)
	v_lshl_or_b32 v54, v54, 4, v113
	ds_add_u32 v54, v125
	s_or_b32 exec_lo, exec_lo, s9
	s_mov_b32 s9, exec_lo
	v_cmpx_gt_u32_e64 s8, v105
	s_cbranch_execz .LBB1113_338
.LBB1113_353:                           ;   in Loop: Header=BB1113_308 Depth=2
	v_cmp_gt_i64_e32 vcc_lo, 0, v[36:37]
	v_cndmask_b32_e64 v55, 0x7fffffff, 0, vcc_lo
	s_delay_alu instid0(VALU_DEP_1) | instskip(NEXT) | instid1(VALU_DEP_1)
	v_dual_ashrrev_i32 v54, 31, v37 :: v_dual_bitop2_b32 v55, v55, v37 bitop3:0x14
	v_not_b32_e32 v54, v54
	s_delay_alu instid0(VALU_DEP_1) | instskip(NEXT) | instid1(VALU_DEP_1)
	v_xor_b32_e32 v54, v54, v36
	v_cmp_ne_u64_e32 vcc_lo, s[42:43], v[54:55]
	v_cndmask_b32_e32 v55, 0x7fffffff, v55, vcc_lo
	v_cndmask_b32_e32 v54, -1, v54, vcc_lo
	s_delay_alu instid0(VALU_DEP_1) | instskip(NEXT) | instid1(VALU_DEP_1)
	v_lshrrev_b64 v[54:55], s54, v[54:55]
	v_and_b32_e32 v54, s59, v54
	s_delay_alu instid0(VALU_DEP_1) | instskip(SKIP_2) | instid1(SALU_CYCLE_1)
	v_lshl_or_b32 v54, v54, 4, v113
	ds_add_u32 v54, v125
	s_or_b32 exec_lo, exec_lo, s9
	s_mov_b32 s9, exec_lo
	v_cmpx_gt_u32_e64 s8, v106
	s_cbranch_execz .LBB1113_339
.LBB1113_354:                           ;   in Loop: Header=BB1113_308 Depth=2
	v_cmp_gt_i64_e32 vcc_lo, 0, v[34:35]
	v_cndmask_b32_e64 v55, 0x7fffffff, 0, vcc_lo
	s_delay_alu instid0(VALU_DEP_1) | instskip(NEXT) | instid1(VALU_DEP_1)
	v_dual_ashrrev_i32 v54, 31, v35 :: v_dual_bitop2_b32 v55, v55, v35 bitop3:0x14
	v_not_b32_e32 v54, v54
	s_delay_alu instid0(VALU_DEP_1) | instskip(NEXT) | instid1(VALU_DEP_1)
	v_xor_b32_e32 v54, v54, v34
	v_cmp_ne_u64_e32 vcc_lo, s[42:43], v[54:55]
	v_cndmask_b32_e32 v55, 0x7fffffff, v55, vcc_lo
	v_cndmask_b32_e32 v54, -1, v54, vcc_lo
	s_delay_alu instid0(VALU_DEP_1) | instskip(NEXT) | instid1(VALU_DEP_1)
	v_lshrrev_b64 v[54:55], s54, v[54:55]
	v_and_b32_e32 v54, s59, v54
	s_delay_alu instid0(VALU_DEP_1) | instskip(SKIP_2) | instid1(SALU_CYCLE_1)
	v_lshl_or_b32 v54, v54, 4, v113
	ds_add_u32 v54, v125
	s_or_b32 exec_lo, exec_lo, s9
	s_mov_b32 s9, exec_lo
	v_cmpx_gt_u32_e64 s8, v107
	s_cbranch_execz .LBB1113_340
.LBB1113_355:                           ;   in Loop: Header=BB1113_308 Depth=2
	v_cmp_gt_i64_e32 vcc_lo, 0, v[32:33]
	v_cndmask_b32_e64 v55, 0x7fffffff, 0, vcc_lo
	s_delay_alu instid0(VALU_DEP_1) | instskip(NEXT) | instid1(VALU_DEP_1)
	v_dual_ashrrev_i32 v54, 31, v33 :: v_dual_bitop2_b32 v55, v55, v33 bitop3:0x14
	v_not_b32_e32 v54, v54
	s_delay_alu instid0(VALU_DEP_1) | instskip(NEXT) | instid1(VALU_DEP_1)
	v_xor_b32_e32 v54, v54, v32
	v_cmp_ne_u64_e32 vcc_lo, s[42:43], v[54:55]
	v_cndmask_b32_e32 v55, 0x7fffffff, v55, vcc_lo
	v_cndmask_b32_e32 v54, -1, v54, vcc_lo
	s_delay_alu instid0(VALU_DEP_1) | instskip(NEXT) | instid1(VALU_DEP_1)
	v_lshrrev_b64 v[54:55], s54, v[54:55]
	v_and_b32_e32 v54, s59, v54
	s_delay_alu instid0(VALU_DEP_1) | instskip(SKIP_2) | instid1(SALU_CYCLE_1)
	v_lshl_or_b32 v54, v54, 4, v113
	ds_add_u32 v54, v125
	s_or_b32 exec_lo, exec_lo, s9
	s_mov_b32 s9, exec_lo
	v_cmpx_gt_u32_e64 s8, v108
	s_cbranch_execz .LBB1113_341
.LBB1113_356:                           ;   in Loop: Header=BB1113_308 Depth=2
	v_cmp_gt_i64_e32 vcc_lo, 0, v[30:31]
	v_cndmask_b32_e64 v55, 0x7fffffff, 0, vcc_lo
	s_delay_alu instid0(VALU_DEP_1) | instskip(NEXT) | instid1(VALU_DEP_1)
	v_dual_ashrrev_i32 v54, 31, v31 :: v_dual_bitop2_b32 v55, v55, v31 bitop3:0x14
	v_not_b32_e32 v54, v54
	s_delay_alu instid0(VALU_DEP_1) | instskip(NEXT) | instid1(VALU_DEP_1)
	v_xor_b32_e32 v54, v54, v30
	v_cmp_ne_u64_e32 vcc_lo, s[42:43], v[54:55]
	v_cndmask_b32_e32 v55, 0x7fffffff, v55, vcc_lo
	v_cndmask_b32_e32 v54, -1, v54, vcc_lo
	s_delay_alu instid0(VALU_DEP_1) | instskip(NEXT) | instid1(VALU_DEP_1)
	v_lshrrev_b64 v[54:55], s54, v[54:55]
	v_and_b32_e32 v54, s59, v54
	s_delay_alu instid0(VALU_DEP_1) | instskip(SKIP_2) | instid1(SALU_CYCLE_1)
	v_lshl_or_b32 v54, v54, 4, v113
	ds_add_u32 v54, v125
	s_or_b32 exec_lo, exec_lo, s9
	s_mov_b32 s9, exec_lo
	v_cmpx_gt_u32_e64 s8, v109
	s_cbranch_execz .LBB1113_342
.LBB1113_357:                           ;   in Loop: Header=BB1113_308 Depth=2
	v_cmp_gt_i64_e32 vcc_lo, 0, v[28:29]
	v_cndmask_b32_e64 v55, 0x7fffffff, 0, vcc_lo
	s_delay_alu instid0(VALU_DEP_1) | instskip(NEXT) | instid1(VALU_DEP_1)
	v_dual_ashrrev_i32 v54, 31, v29 :: v_dual_bitop2_b32 v55, v55, v29 bitop3:0x14
	v_not_b32_e32 v54, v54
	s_delay_alu instid0(VALU_DEP_1) | instskip(NEXT) | instid1(VALU_DEP_1)
	v_xor_b32_e32 v54, v54, v28
	v_cmp_ne_u64_e32 vcc_lo, s[42:43], v[54:55]
	v_cndmask_b32_e32 v55, 0x7fffffff, v55, vcc_lo
	v_cndmask_b32_e32 v54, -1, v54, vcc_lo
	s_delay_alu instid0(VALU_DEP_1) | instskip(NEXT) | instid1(VALU_DEP_1)
	v_lshrrev_b64 v[54:55], s54, v[54:55]
	v_and_b32_e32 v54, s59, v54
	s_delay_alu instid0(VALU_DEP_1) | instskip(SKIP_2) | instid1(SALU_CYCLE_1)
	v_lshl_or_b32 v54, v54, 4, v113
	ds_add_u32 v54, v125
	s_or_b32 exec_lo, exec_lo, s9
	s_mov_b32 s9, exec_lo
	v_cmpx_gt_u32_e64 s8, v110
	s_cbranch_execz .LBB1113_343
.LBB1113_358:                           ;   in Loop: Header=BB1113_308 Depth=2
	v_cmp_gt_i64_e32 vcc_lo, 0, v[26:27]
	v_cndmask_b32_e64 v55, 0x7fffffff, 0, vcc_lo
	s_delay_alu instid0(VALU_DEP_1) | instskip(NEXT) | instid1(VALU_DEP_1)
	v_dual_ashrrev_i32 v54, 31, v27 :: v_dual_bitop2_b32 v55, v55, v27 bitop3:0x14
	v_not_b32_e32 v54, v54
	s_delay_alu instid0(VALU_DEP_1) | instskip(NEXT) | instid1(VALU_DEP_1)
	v_xor_b32_e32 v54, v54, v26
	v_cmp_ne_u64_e32 vcc_lo, s[42:43], v[54:55]
	v_cndmask_b32_e32 v55, 0x7fffffff, v55, vcc_lo
	v_cndmask_b32_e32 v54, -1, v54, vcc_lo
	s_delay_alu instid0(VALU_DEP_1) | instskip(NEXT) | instid1(VALU_DEP_1)
	v_lshrrev_b64 v[54:55], s54, v[54:55]
	v_and_b32_e32 v54, s59, v54
	s_delay_alu instid0(VALU_DEP_1) | instskip(SKIP_2) | instid1(SALU_CYCLE_1)
	v_lshl_or_b32 v54, v54, 4, v113
	ds_add_u32 v54, v125
	s_or_b32 exec_lo, exec_lo, s9
	s_mov_b32 s9, exec_lo
	v_cmpx_gt_u32_e64 s8, v111
	s_cbranch_execz .LBB1113_344
.LBB1113_359:                           ;   in Loop: Header=BB1113_308 Depth=2
	v_cmp_gt_i64_e32 vcc_lo, 0, v[24:25]
	v_cndmask_b32_e64 v55, 0x7fffffff, 0, vcc_lo
	s_delay_alu instid0(VALU_DEP_1) | instskip(NEXT) | instid1(VALU_DEP_1)
	v_dual_ashrrev_i32 v54, 31, v25 :: v_dual_bitop2_b32 v55, v55, v25 bitop3:0x14
	v_not_b32_e32 v54, v54
	s_delay_alu instid0(VALU_DEP_1) | instskip(NEXT) | instid1(VALU_DEP_1)
	v_xor_b32_e32 v54, v54, v24
	v_cmp_ne_u64_e32 vcc_lo, s[42:43], v[54:55]
	v_cndmask_b32_e32 v55, 0x7fffffff, v55, vcc_lo
	v_cndmask_b32_e32 v54, -1, v54, vcc_lo
	s_delay_alu instid0(VALU_DEP_1) | instskip(NEXT) | instid1(VALU_DEP_1)
	v_lshrrev_b64 v[54:55], s54, v[54:55]
	v_and_b32_e32 v54, s59, v54
	s_delay_alu instid0(VALU_DEP_1)
	v_lshl_or_b32 v54, v54, 4, v113
	ds_add_u32 v54, v125
	s_or_b32 exec_lo, exec_lo, s9
	v_cmp_gt_u32_e32 vcc_lo, s8, v112
	s_and_saveexec_b32 s8, vcc_lo
	s_cbranch_execz .LBB1113_307
.LBB1113_360:                           ;   in Loop: Header=BB1113_308 Depth=2
	v_cmp_gt_i64_e32 vcc_lo, 0, v[22:23]
	v_cndmask_b32_e64 v55, 0x7fffffff, 0, vcc_lo
	s_delay_alu instid0(VALU_DEP_1) | instskip(NEXT) | instid1(VALU_DEP_1)
	v_dual_ashrrev_i32 v54, 31, v23 :: v_dual_bitop2_b32 v55, v55, v23 bitop3:0x14
	v_not_b32_e32 v54, v54
	s_delay_alu instid0(VALU_DEP_1) | instskip(NEXT) | instid1(VALU_DEP_1)
	v_xor_b32_e32 v54, v54, v22
	v_cmp_ne_u64_e32 vcc_lo, s[42:43], v[54:55]
	v_cndmask_b32_e32 v55, 0x7fffffff, v55, vcc_lo
	v_cndmask_b32_e32 v54, -1, v54, vcc_lo
	s_delay_alu instid0(VALU_DEP_1) | instskip(NEXT) | instid1(VALU_DEP_1)
	v_lshrrev_b64 v[54:55], s54, v[54:55]
	v_and_b32_e32 v54, s59, v54
	s_delay_alu instid0(VALU_DEP_1)
	v_lshl_or_b32 v54, v54, 4, v113
	ds_add_u32 v54, v125
	s_branch .LBB1113_307
.LBB1113_361:                           ;   in Loop: Header=BB1113_308 Depth=2
	global_load_b64 v[52:53], v2, s[8:9] scale_offset
	s_wait_xcnt 0x0
	s_or_b32 exec_lo, exec_lo, s11
	s_delay_alu instid0(SALU_CYCLE_1)
	s_mov_b32 s11, exec_lo
	v_cmpx_gt_u32_e64 s7, v98
	s_cbranch_execz .LBB1113_313
.LBB1113_362:                           ;   in Loop: Header=BB1113_308 Depth=2
	global_load_b64 v[50:51], v2, s[8:9] offset:2048 scale_offset
	s_wait_xcnt 0x0
	s_or_b32 exec_lo, exec_lo, s11
	s_delay_alu instid0(SALU_CYCLE_1)
	s_mov_b32 s11, exec_lo
	v_cmpx_gt_u32_e64 s7, v99
	s_cbranch_execz .LBB1113_314
.LBB1113_363:                           ;   in Loop: Header=BB1113_308 Depth=2
	global_load_b64 v[48:49], v2, s[8:9] offset:4096 scale_offset
	s_wait_xcnt 0x0
	s_or_b32 exec_lo, exec_lo, s11
	s_delay_alu instid0(SALU_CYCLE_1)
	s_mov_b32 s11, exec_lo
	v_cmpx_gt_u32_e64 s7, v100
	s_cbranch_execz .LBB1113_315
.LBB1113_364:                           ;   in Loop: Header=BB1113_308 Depth=2
	global_load_b64 v[46:47], v2, s[8:9] offset:6144 scale_offset
	s_wait_xcnt 0x0
	s_or_b32 exec_lo, exec_lo, s11
	s_delay_alu instid0(SALU_CYCLE_1)
	s_mov_b32 s11, exec_lo
	v_cmpx_gt_u32_e64 s7, v101
	s_cbranch_execz .LBB1113_316
.LBB1113_365:                           ;   in Loop: Header=BB1113_308 Depth=2
	global_load_b64 v[44:45], v2, s[8:9] offset:8192 scale_offset
	s_wait_xcnt 0x0
	s_or_b32 exec_lo, exec_lo, s11
	s_delay_alu instid0(SALU_CYCLE_1)
	s_mov_b32 s11, exec_lo
	v_cmpx_gt_u32_e64 s7, v102
	s_cbranch_execz .LBB1113_317
.LBB1113_366:                           ;   in Loop: Header=BB1113_308 Depth=2
	global_load_b64 v[42:43], v2, s[8:9] offset:10240 scale_offset
	s_wait_xcnt 0x0
	s_or_b32 exec_lo, exec_lo, s11
	s_delay_alu instid0(SALU_CYCLE_1)
	s_mov_b32 s11, exec_lo
	v_cmpx_gt_u32_e64 s7, v103
	s_cbranch_execz .LBB1113_318
.LBB1113_367:                           ;   in Loop: Header=BB1113_308 Depth=2
	global_load_b64 v[40:41], v2, s[8:9] offset:12288 scale_offset
	s_wait_xcnt 0x0
	s_or_b32 exec_lo, exec_lo, s11
	s_delay_alu instid0(SALU_CYCLE_1)
	s_mov_b32 s11, exec_lo
	v_cmpx_gt_u32_e64 s7, v104
	s_cbranch_execz .LBB1113_319
.LBB1113_368:                           ;   in Loop: Header=BB1113_308 Depth=2
	global_load_b64 v[38:39], v2, s[8:9] offset:14336 scale_offset
	s_wait_xcnt 0x0
	s_or_b32 exec_lo, exec_lo, s11
	s_delay_alu instid0(SALU_CYCLE_1)
	s_mov_b32 s11, exec_lo
	v_cmpx_gt_u32_e64 s7, v105
	s_cbranch_execz .LBB1113_320
.LBB1113_369:                           ;   in Loop: Header=BB1113_308 Depth=2
	global_load_b64 v[36:37], v2, s[8:9] offset:16384 scale_offset
	s_wait_xcnt 0x0
	s_or_b32 exec_lo, exec_lo, s11
	s_delay_alu instid0(SALU_CYCLE_1)
	s_mov_b32 s11, exec_lo
	v_cmpx_gt_u32_e64 s7, v106
	s_cbranch_execz .LBB1113_321
.LBB1113_370:                           ;   in Loop: Header=BB1113_308 Depth=2
	global_load_b64 v[34:35], v2, s[8:9] offset:18432 scale_offset
	s_wait_xcnt 0x0
	s_or_b32 exec_lo, exec_lo, s11
	s_delay_alu instid0(SALU_CYCLE_1)
	s_mov_b32 s11, exec_lo
	v_cmpx_gt_u32_e64 s7, v107
	s_cbranch_execz .LBB1113_322
.LBB1113_371:                           ;   in Loop: Header=BB1113_308 Depth=2
	global_load_b64 v[32:33], v2, s[8:9] offset:20480 scale_offset
	s_wait_xcnt 0x0
	s_or_b32 exec_lo, exec_lo, s11
	s_delay_alu instid0(SALU_CYCLE_1)
	s_mov_b32 s11, exec_lo
	v_cmpx_gt_u32_e64 s7, v108
	s_cbranch_execz .LBB1113_323
.LBB1113_372:                           ;   in Loop: Header=BB1113_308 Depth=2
	global_load_b64 v[30:31], v2, s[8:9] offset:22528 scale_offset
	s_wait_xcnt 0x0
	s_or_b32 exec_lo, exec_lo, s11
	s_delay_alu instid0(SALU_CYCLE_1)
	s_mov_b32 s11, exec_lo
	v_cmpx_gt_u32_e64 s7, v109
	s_cbranch_execz .LBB1113_324
.LBB1113_373:                           ;   in Loop: Header=BB1113_308 Depth=2
	global_load_b64 v[28:29], v2, s[8:9] offset:24576 scale_offset
	s_wait_xcnt 0x0
	s_or_b32 exec_lo, exec_lo, s11
	s_delay_alu instid0(SALU_CYCLE_1)
	s_mov_b32 s11, exec_lo
	v_cmpx_gt_u32_e64 s7, v110
	s_cbranch_execz .LBB1113_325
.LBB1113_374:                           ;   in Loop: Header=BB1113_308 Depth=2
	global_load_b64 v[26:27], v2, s[8:9] offset:26624 scale_offset
	s_wait_xcnt 0x0
	s_or_b32 exec_lo, exec_lo, s11
	s_delay_alu instid0(SALU_CYCLE_1)
	s_mov_b32 s11, exec_lo
	v_cmpx_gt_u32_e64 s7, v111
	s_cbranch_execz .LBB1113_326
.LBB1113_375:                           ;   in Loop: Header=BB1113_308 Depth=2
	global_load_b64 v[24:25], v2, s[8:9] offset:28672 scale_offset
	s_wait_xcnt 0x0
	s_or_b32 exec_lo, exec_lo, s11
	s_delay_alu instid0(SALU_CYCLE_1)
	s_mov_b32 s11, exec_lo
	v_cmpx_gt_u32_e64 s7, v112
	s_cbranch_execnz .LBB1113_327
	s_branch .LBB1113_328
.LBB1113_376:                           ;   in Loop: Header=BB1113_12 Depth=1
	v_mov_b32_e32 v22, 0
	s_wait_dscnt 0x0
	s_barrier_signal -1
	s_barrier_wait -1
	s_and_saveexec_b32 s7, s0
	s_cbranch_execz .LBB1113_378
; %bb.377:                              ;   in Loop: Header=BB1113_12 Depth=1
	ds_load_2addr_b64 v[22:25], v115 offset1:1
	s_wait_dscnt 0x0
	v_add_nc_u32_e32 v22, v23, v22
	s_delay_alu instid0(VALU_DEP_1)
	v_add3_u32 v22, v22, v24, v25
.LBB1113_378:                           ;   in Loop: Header=BB1113_12 Depth=1
	s_or_b32 exec_lo, exec_lo, s7
	s_delay_alu instid0(VALU_DEP_1)
	v_mov_b32_dpp v23, v22 row_shr:1 row_mask:0xf bank_mask:0xf
	v_cmp_eq_u32_e64 s7, 0, v126
	v_cmp_lt_u32_e64 s8, 1, v126
	v_cmp_lt_u32_e64 s9, 3, v126
	v_cmp_lt_u32_e64 s10, 7, v126
	v_cmp_eq_u32_e64 s11, 0, v128
	v_cndmask_b32_e64 v23, v23, 0, s7
	s_delay_alu instid0(VALU_DEP_1) | instskip(NEXT) | instid1(VALU_DEP_1)
	v_add_nc_u32_e32 v22, v23, v22
	v_mov_b32_dpp v23, v22 row_shr:2 row_mask:0xf bank_mask:0xf
	s_delay_alu instid0(VALU_DEP_1) | instskip(NEXT) | instid1(VALU_DEP_1)
	v_cndmask_b32_e64 v23, 0, v23, s8
	v_add_nc_u32_e32 v22, v22, v23
	s_delay_alu instid0(VALU_DEP_1) | instskip(NEXT) | instid1(VALU_DEP_1)
	v_mov_b32_dpp v23, v22 row_shr:4 row_mask:0xf bank_mask:0xf
	v_cndmask_b32_e64 v23, 0, v23, s9
	s_delay_alu instid0(VALU_DEP_1) | instskip(NEXT) | instid1(VALU_DEP_1)
	v_add_nc_u32_e32 v22, v22, v23
	v_mov_b32_dpp v23, v22 row_shr:8 row_mask:0xf bank_mask:0xf
	s_delay_alu instid0(VALU_DEP_1) | instskip(NEXT) | instid1(VALU_DEP_1)
	v_cndmask_b32_e64 v23, 0, v23, s10
	v_add_nc_u32_e32 v22, v22, v23
	ds_swizzle_b32 v23, v22 offset:swizzle(BROADCAST,32,15)
	s_wait_dscnt 0x0
	v_and_b32_e32 v23, v127, v23
	s_delay_alu instid0(VALU_DEP_1)
	v_add_nc_u32_e32 v22, v22, v23
	s_and_saveexec_b32 s12, s1
; %bb.379:                              ;   in Loop: Header=BB1113_12 Depth=1
	ds_store_b32 v116, v22
; %bb.380:                              ;   in Loop: Header=BB1113_12 Depth=1
	s_or_b32 exec_lo, exec_lo, s12
	s_wait_dscnt 0x0
	s_barrier_signal -1
	s_barrier_wait -1
	s_and_saveexec_b32 s12, s4
	s_cbranch_execz .LBB1113_382
; %bb.381:                              ;   in Loop: Header=BB1113_12 Depth=1
	ds_load_b32 v23, v117
	v_cmp_ne_u32_e32 vcc_lo, 0, v130
	s_wait_dscnt 0x0
	v_mov_b32_dpp v24, v23 row_shr:1 row_mask:0xf bank_mask:0xf
	s_delay_alu instid0(VALU_DEP_1) | instskip(SKIP_1) | instid1(VALU_DEP_2)
	v_cndmask_b32_e32 v24, 0, v24, vcc_lo
	v_cmp_lt_u32_e32 vcc_lo, 1, v130
	v_add_nc_u32_e32 v23, v24, v23
	s_delay_alu instid0(VALU_DEP_1) | instskip(NEXT) | instid1(VALU_DEP_1)
	v_mov_b32_dpp v24, v23 row_shr:2 row_mask:0xf bank_mask:0xf
	v_cndmask_b32_e32 v24, 0, v24, vcc_lo
	v_cmp_lt_u32_e32 vcc_lo, 3, v130
	s_delay_alu instid0(VALU_DEP_2) | instskip(NEXT) | instid1(VALU_DEP_1)
	v_add_nc_u32_e32 v23, v23, v24
	v_mov_b32_dpp v24, v23 row_shr:4 row_mask:0xf bank_mask:0xf
	s_delay_alu instid0(VALU_DEP_1) | instskip(NEXT) | instid1(VALU_DEP_1)
	v_cndmask_b32_e32 v24, 0, v24, vcc_lo
	v_add_nc_u32_e32 v23, v23, v24
	ds_store_b32 v117, v23
.LBB1113_382:                           ;   in Loop: Header=BB1113_12 Depth=1
	s_or_b32 exec_lo, exec_lo, s12
	v_mov_b32_e32 v23, 0
	s_wait_dscnt 0x0
	s_barrier_signal -1
	s_barrier_wait -1
	s_and_saveexec_b32 s12, s5
; %bb.383:                              ;   in Loop: Header=BB1113_12 Depth=1
	ds_load_b32 v23, v118
; %bb.384:                              ;   in Loop: Header=BB1113_12 Depth=1
	s_or_b32 exec_lo, exec_lo, s12
	v_cmp_gt_i32_e32 vcc_lo, 0, v131
	s_wait_dscnt 0x0
	s_barrier_signal -1
	s_barrier_wait -1
	v_cndmask_b32_e32 v24, v131, v124, vcc_lo
	s_delay_alu instid0(VALU_DEP_1)
	v_dual_add_nc_u32 v22, v23, v22 :: v_dual_lshlrev_b32 v147, 2, v24
	ds_bpermute_b32 v22, v147, v22
	s_and_saveexec_b32 s12, s0
	s_cbranch_execz .LBB1113_386
; %bb.385:                              ;   in Loop: Header=BB1113_12 Depth=1
	s_wait_dscnt 0x0
	v_cndmask_b32_e64 v22, v22, v23, s6
	s_delay_alu instid0(VALU_DEP_1)
	v_add_nc_u32_e32 v22, s56, v22
	ds_store_b32 v3, v22
.LBB1113_386:                           ;   in Loop: Header=BB1113_12 Depth=1
	s_or_b32 exec_lo, exec_lo, s12
	s_load_b64 s[12:13], s[52:53], 0x0
	v_add_nc_u64_e32 v[24:25], v[14:15], v[4:5]
	s_mov_b32 s60, s58
                                        ; implicit-def: $vgpr28_vgpr29
                                        ; implicit-def: $vgpr30_vgpr31
                                        ; implicit-def: $vgpr32_vgpr33
                                        ; implicit-def: $vgpr34_vgpr35
                                        ; implicit-def: $vgpr36_vgpr37
                                        ; implicit-def: $vgpr38_vgpr39
                                        ; implicit-def: $vgpr40_vgpr41
                                        ; implicit-def: $vgpr42_vgpr43
                                        ; implicit-def: $vgpr44_vgpr45
                                        ; implicit-def: $vgpr46_vgpr47
                                        ; implicit-def: $vgpr48_vgpr49
                                        ; implicit-def: $vgpr50_vgpr51
                                        ; implicit-def: $vgpr52_vgpr53
                                        ; implicit-def: $vgpr54_vgpr55
                                        ; implicit-def: $vgpr56_vgpr57
                                        ; implicit-def: $vgpr149
                                        ; implicit-def: $vgpr150
                                        ; implicit-def: $vgpr151
                                        ; implicit-def: $vgpr152
                                        ; implicit-def: $vgpr153
                                        ; implicit-def: $vgpr154
                                        ; implicit-def: $vgpr155
                                        ; implicit-def: $vgpr156
                                        ; implicit-def: $vgpr157
                                        ; implicit-def: $vgpr158
                                        ; implicit-def: $vgpr159
                                        ; implicit-def: $vgpr160
                                        ; implicit-def: $vgpr161
                                        ; implicit-def: $vgpr162
                                        ; implicit-def: $vgpr163
                                        ; implicit-def: $vgpr164
	s_wait_kmcnt 0x0
	s_cmp_lt_u32 s33, s12
	s_cselect_b32 s34, 12, 18
	s_cmp_lt_u32 s31, s13
	s_mov_b32 s13, s35
	s_cselect_b32 s12, 14, 20
	s_delay_alu instid0(SALU_CYCLE_1)
	s_add_nc_u64 s[12:13], s[52:53], s[12:13]
	s_load_u16 s14, s[12:13], 0x0
	s_wait_xcnt 0x0
	s_add_nc_u64 s[12:13], s[52:53], s[34:35]
	s_mov_b32 s34, s56
	s_load_u16 s12, s[12:13], 0x0
	s_wait_xcnt 0x0
	v_cmp_lt_u32_e64 s13, 1, v130
	s_wait_dscnt 0x0
	s_wait_kmcnt 0x0
	v_mad_u32_u24 v22, v119, s14, v121
	v_cmp_lt_u32_e64 s14, 3, v130
	s_delay_alu instid0(VALU_DEP_2) | instskip(SKIP_1) | instid1(VALU_DEP_2)
	v_mad_u32 v22, v22, s12, v2
	v_cmp_eq_u32_e64 s12, 0, v130
	v_lshrrev_b32_e32 v26, 3, v22
	v_add_nc_u64_e32 v[22:23], v[12:13], v[4:5]
	s_delay_alu instid0(VALU_DEP_2)
	v_and_b32_e32 v148, 0x1ffffffc, v26
                                        ; implicit-def: $vgpr26_vgpr27
	s_branch .LBB1113_388
.LBB1113_387:                           ;   in Loop: Header=BB1113_388 Depth=2
	s_or_b32 exec_lo, exec_lo, s15
	s_addk_co_i32 s60, 0xf000
	s_cmp_lt_u32 s61, s51
	s_mov_b32 s34, s61
	s_cbranch_scc0 .LBB1113_596
.LBB1113_388:                           ;   Parent Loop BB1113_12 Depth=1
                                        ; =>  This Inner Loop Header: Depth=2
	s_add_co_i32 s61, s34, 0x1000
	s_delay_alu instid0(SALU_CYCLE_1)
	s_cmp_gt_u32 s61, s51
	s_cbranch_scc1 .LBB1113_390
; %bb.389:                              ;   in Loop: Header=BB1113_388 Depth=2
	v_lshl_add_u64 v[66:67], s[34:35], 3, v[24:25]
	s_mov_b32 s15, -1
	s_clause 0xe
	global_load_b64 v[58:59], v[66:67], off
	global_load_b64 v[60:61], v[66:67], off offset:256
	global_load_b64 v[62:63], v[66:67], off offset:512
	;; [unrolled: 1-line block ×14, first 2 shown]
	s_movk_i32 s16, 0x1000
	s_cbranch_execz .LBB1113_391
	s_branch .LBB1113_422
.LBB1113_390:                           ;   in Loop: Header=BB1113_388 Depth=2
	s_mov_b32 s15, 0
                                        ; implicit-def: $vgpr58_vgpr59
                                        ; implicit-def: $vgpr60_vgpr61
                                        ; implicit-def: $vgpr62_vgpr63
                                        ; implicit-def: $vgpr70_vgpr71
                                        ; implicit-def: $vgpr74_vgpr75
                                        ; implicit-def: $vgpr78_vgpr79
                                        ; implicit-def: $vgpr82_vgpr83
                                        ; implicit-def: $vgpr86_vgpr87
                                        ; implicit-def: $vgpr88_vgpr89
                                        ; implicit-def: $vgpr84_vgpr85
                                        ; implicit-def: $vgpr80_vgpr81
                                        ; implicit-def: $vgpr76_vgpr77
                                        ; implicit-def: $vgpr72_vgpr73
                                        ; implicit-def: $vgpr68_vgpr69
                                        ; implicit-def: $vgpr64_vgpr65
	s_movk_i32 s16, 0x1000
.LBB1113_391:                           ;   in Loop: Header=BB1113_388 Depth=2
	s_wait_loadcnt 0xd
	v_mov_b64_e32 v[60:61], -1
	v_mov_b64_e32 v[58:59], -1
	s_wait_xcnt 0x0
	v_lshl_add_u64 v[66:67], s[34:35], 3, v[24:25]
	s_mov_b32 s15, exec_lo
	v_cmpx_gt_u32_e64 s60, v129
	s_cbranch_execz .LBB1113_393
; %bb.392:                              ;   in Loop: Header=BB1113_388 Depth=2
	global_load_b64 v[58:59], v[66:67], off
.LBB1113_393:                           ;   in Loop: Header=BB1113_388 Depth=2
	s_wait_xcnt 0x0
	s_or_b32 exec_lo, exec_lo, s15
	s_delay_alu instid0(SALU_CYCLE_1)
	s_mov_b32 s15, exec_lo
	v_cmpx_gt_u32_e64 s60, v132
	s_cbranch_execz .LBB1113_395
; %bb.394:                              ;   in Loop: Header=BB1113_388 Depth=2
	global_load_b64 v[60:61], v[66:67], off offset:256
.LBB1113_395:                           ;   in Loop: Header=BB1113_388 Depth=2
	s_wait_xcnt 0x0
	s_or_b32 exec_lo, exec_lo, s15
	s_wait_loadcnt 0xb
	v_mov_b64_e32 v[70:71], -1
	v_mov_b64_e32 v[62:63], -1
	s_mov_b32 s15, exec_lo
	v_cmpx_gt_u32_e64 s60, v133
	s_cbranch_execz .LBB1113_397
; %bb.396:                              ;   in Loop: Header=BB1113_388 Depth=2
	global_load_b64 v[62:63], v[66:67], off offset:512
.LBB1113_397:                           ;   in Loop: Header=BB1113_388 Depth=2
	s_wait_xcnt 0x0
	s_or_b32 exec_lo, exec_lo, s15
	s_delay_alu instid0(SALU_CYCLE_1)
	s_mov_b32 s15, exec_lo
	v_cmpx_gt_u32_e64 s60, v134
	s_cbranch_execz .LBB1113_399
; %bb.398:                              ;   in Loop: Header=BB1113_388 Depth=2
	global_load_b64 v[70:71], v[66:67], off offset:768
.LBB1113_399:                           ;   in Loop: Header=BB1113_388 Depth=2
	s_wait_xcnt 0x0
	s_or_b32 exec_lo, exec_lo, s15
	s_wait_loadcnt 0x9
	v_mov_b64_e32 v[78:79], -1
	v_mov_b64_e32 v[74:75], -1
	s_mov_b32 s15, exec_lo
	v_cmpx_gt_u32_e64 s60, v135
	s_cbranch_execz .LBB1113_401
; %bb.400:                              ;   in Loop: Header=BB1113_388 Depth=2
	global_load_b64 v[74:75], v[66:67], off offset:1024
.LBB1113_401:                           ;   in Loop: Header=BB1113_388 Depth=2
	s_wait_xcnt 0x0
	s_or_b32 exec_lo, exec_lo, s15
	s_delay_alu instid0(SALU_CYCLE_1)
	s_mov_b32 s15, exec_lo
	v_cmpx_gt_u32_e64 s60, v136
	s_cbranch_execz .LBB1113_403
; %bb.402:                              ;   in Loop: Header=BB1113_388 Depth=2
	global_load_b64 v[78:79], v[66:67], off offset:1280
.LBB1113_403:                           ;   in Loop: Header=BB1113_388 Depth=2
	s_wait_xcnt 0x0
	s_or_b32 exec_lo, exec_lo, s15
	s_wait_loadcnt 0x7
	v_mov_b64_e32 v[86:87], -1
	v_mov_b64_e32 v[82:83], -1
	s_mov_b32 s15, exec_lo
	v_cmpx_gt_u32_e64 s60, v137
	s_cbranch_execz .LBB1113_405
; %bb.404:                              ;   in Loop: Header=BB1113_388 Depth=2
	global_load_b64 v[82:83], v[66:67], off offset:1536
.LBB1113_405:                           ;   in Loop: Header=BB1113_388 Depth=2
	s_wait_xcnt 0x0
	s_or_b32 exec_lo, exec_lo, s15
	s_delay_alu instid0(SALU_CYCLE_1)
	s_mov_b32 s15, exec_lo
	v_cmpx_gt_u32_e64 s60, v138
	s_cbranch_execz .LBB1113_407
; %bb.406:                              ;   in Loop: Header=BB1113_388 Depth=2
	global_load_b64 v[86:87], v[66:67], off offset:1792
.LBB1113_407:                           ;   in Loop: Header=BB1113_388 Depth=2
	s_wait_xcnt 0x0
	s_or_b32 exec_lo, exec_lo, s15
	s_wait_loadcnt 0x5
	v_mov_b64_e32 v[84:85], -1
	v_mov_b64_e32 v[88:89], -1
	s_mov_b32 s15, exec_lo
	v_cmpx_gt_u32_e64 s60, v139
	s_cbranch_execz .LBB1113_409
; %bb.408:                              ;   in Loop: Header=BB1113_388 Depth=2
	global_load_b64 v[88:89], v[66:67], off offset:2048
.LBB1113_409:                           ;   in Loop: Header=BB1113_388 Depth=2
	s_wait_xcnt 0x0
	s_or_b32 exec_lo, exec_lo, s15
	s_delay_alu instid0(SALU_CYCLE_1)
	s_mov_b32 s15, exec_lo
	v_cmpx_gt_u32_e64 s60, v140
	s_cbranch_execz .LBB1113_411
; %bb.410:                              ;   in Loop: Header=BB1113_388 Depth=2
	global_load_b64 v[84:85], v[66:67], off offset:2304
.LBB1113_411:                           ;   in Loop: Header=BB1113_388 Depth=2
	s_wait_xcnt 0x0
	s_or_b32 exec_lo, exec_lo, s15
	s_wait_loadcnt 0x3
	v_mov_b64_e32 v[76:77], -1
	v_mov_b64_e32 v[80:81], -1
	s_mov_b32 s15, exec_lo
	v_cmpx_gt_u32_e64 s60, v141
	s_cbranch_execz .LBB1113_413
; %bb.412:                              ;   in Loop: Header=BB1113_388 Depth=2
	global_load_b64 v[80:81], v[66:67], off offset:2560
.LBB1113_413:                           ;   in Loop: Header=BB1113_388 Depth=2
	s_wait_xcnt 0x0
	s_or_b32 exec_lo, exec_lo, s15
	s_delay_alu instid0(SALU_CYCLE_1)
	s_mov_b32 s15, exec_lo
	v_cmpx_gt_u32_e64 s60, v142
	s_cbranch_execz .LBB1113_415
; %bb.414:                              ;   in Loop: Header=BB1113_388 Depth=2
	global_load_b64 v[76:77], v[66:67], off offset:2816
.LBB1113_415:                           ;   in Loop: Header=BB1113_388 Depth=2
	s_wait_xcnt 0x0
	s_or_b32 exec_lo, exec_lo, s15
	s_wait_loadcnt 0x1
	v_mov_b64_e32 v[68:69], -1
	v_mov_b64_e32 v[72:73], -1
	s_mov_b32 s15, exec_lo
	v_cmpx_gt_u32_e64 s60, v143
	s_cbranch_execz .LBB1113_417
; %bb.416:                              ;   in Loop: Header=BB1113_388 Depth=2
	global_load_b64 v[72:73], v[66:67], off offset:3072
.LBB1113_417:                           ;   in Loop: Header=BB1113_388 Depth=2
	s_wait_xcnt 0x0
	s_or_b32 exec_lo, exec_lo, s15
	s_delay_alu instid0(SALU_CYCLE_1)
	s_mov_b32 s15, exec_lo
	v_cmpx_gt_u32_e64 s60, v144
	s_cbranch_execz .LBB1113_419
; %bb.418:                              ;   in Loop: Header=BB1113_388 Depth=2
	global_load_b64 v[68:69], v[66:67], off offset:3328
.LBB1113_419:                           ;   in Loop: Header=BB1113_388 Depth=2
	s_wait_xcnt 0x0
	s_or_b32 exec_lo, exec_lo, s15
	s_wait_loadcnt 0x0
	v_mov_b64_e32 v[64:65], -1
	s_mov_b32 s15, exec_lo
	v_cmpx_gt_u32_e64 s60, v145
	s_cbranch_execz .LBB1113_421
; %bb.420:                              ;   in Loop: Header=BB1113_388 Depth=2
	global_load_b64 v[64:65], v[66:67], off offset:3584
.LBB1113_421:                           ;   in Loop: Header=BB1113_388 Depth=2
	s_wait_xcnt 0x0
	s_or_b32 exec_lo, exec_lo, s15
	v_cmp_gt_u32_e64 s15, s60, v146
	s_sub_co_i32 s16, s51, s34
.LBB1113_422:                           ;   in Loop: Header=BB1113_388 Depth=2
	s_wait_xcnt 0x0
	v_mov_b64_e32 v[66:67], -1
	v_mov_b32_e32 v165, s60
	s_and_saveexec_b32 s17, s15
	s_cbranch_execz .LBB1113_424
; %bb.423:                              ;   in Loop: Header=BB1113_388 Depth=2
	v_lshl_add_u64 v[66:67], s[34:35], 3, v[24:25]
	v_mov_b32_e32 v165, s16
	global_load_b64 v[66:67], v[66:67], off offset:3840
.LBB1113_424:                           ;   in Loop: Header=BB1113_388 Depth=2
	s_wait_xcnt 0x0
	s_or_b32 exec_lo, exec_lo, s17
	s_wait_loadcnt 0xe
	v_cmp_gt_i64_e32 vcc_lo, 0, v[58:59]
	v_add_nc_u32_e32 v168, 0x420, v120
	v_add_nc_u32_e32 v169, 0x428, v120
	;; [unrolled: 1-line block ×3, first 2 shown]
	v_cndmask_b32_e64 v91, 0x7fffffff, 0, vcc_lo
	s_delay_alu instid0(VALU_DEP_1) | instskip(NEXT) | instid1(VALU_DEP_1)
	v_dual_ashrrev_i32 v90, 31, v59 :: v_dual_bitop2_b32 v59, v91, v59 bitop3:0x14
	v_not_b32_e32 v90, v90
	s_delay_alu instid0(VALU_DEP_1) | instskip(NEXT) | instid1(VALU_DEP_1)
	v_xor_b32_e32 v58, v90, v58
	v_cmp_ne_u64_e32 vcc_lo, s[42:43], v[58:59]
	v_cndmask_b32_e32 v91, 0x7fffffff, v59, vcc_lo
	v_cndmask_b32_e32 v90, -1, v58, vcc_lo
	s_delay_alu instid0(VALU_DEP_1) | instskip(NEXT) | instid1(VALU_DEP_1)
	v_lshrrev_b64 v[90:91], s54, v[90:91]
	v_bitop3_b32 v91, v90, 1, s59 bitop3:0x80
	v_and_b32_e32 v92, s59, v90
	s_delay_alu instid0(VALU_DEP_2) | instskip(NEXT) | instid1(VALU_DEP_1)
	v_add_co_u32 v90, s15, v91, -1
	v_cndmask_b32_e64 v91, 0, 1, s15
	s_delay_alu instid0(VALU_DEP_3) | instskip(NEXT) | instid1(VALU_DEP_2)
	v_lshlrev_b32_e32 v93, 30, v92
	v_cmp_ne_u32_e32 vcc_lo, 0, v91
	s_delay_alu instid0(VALU_DEP_2) | instskip(SKIP_1) | instid1(VALU_DEP_2)
	v_not_b32_e32 v91, v93
	v_cmp_gt_i32_e64 s15, 0, v93
	v_dual_ashrrev_i32 v91, 31, v91 :: v_dual_lshlrev_b32 v94, 29, v92
	v_dual_lshlrev_b32 v95, 28, v92 :: v_dual_lshlrev_b32 v96, 27, v92
	v_dual_lshlrev_b32 v97, 26, v92 :: v_dual_lshlrev_b32 v166, 25, v92
	v_lshlrev_b32_e32 v167, 24, v92
	s_delay_alu instid0(VALU_DEP_4)
	v_cmp_gt_i32_e64 s16, 0, v94
	v_not_b32_e32 v93, v94
	v_not_b32_e32 v94, v95
	v_cmp_gt_i32_e64 s17, 0, v95
	v_cmp_gt_i32_e64 s18, 0, v96
	v_not_b32_e32 v95, v96
	v_not_b32_e32 v96, v97
	v_dual_ashrrev_i32 v93, 31, v93 :: v_dual_bitop2_b32 v90, vcc_lo, v90 bitop3:0x14
	v_dual_ashrrev_i32 v94, 31, v94 :: v_dual_bitop2_b32 v91, s15, v91 bitop3:0x14
	v_cmp_gt_i32_e64 s19, 0, v97
	v_cmp_gt_i32_e64 s20, 0, v166
	v_not_b32_e32 v97, v166
	v_not_b32_e32 v166, v167
	v_dual_ashrrev_i32 v95, 31, v95 :: v_dual_ashrrev_i32 v96, 31, v96
	v_xor_b32_e32 v93, s16, v93
	v_xor_b32_e32 v94, s17, v94
	v_bitop3_b32 v90, v90, v91, exec_lo bitop3:0x80
	v_cmp_gt_i32_e64 s21, 0, v167
	v_dual_ashrrev_i32 v91, 31, v97 :: v_dual_ashrrev_i32 v97, 31, v166
	v_xor_b32_e32 v95, s18, v95
	v_xor_b32_e32 v96, s19, v96
	v_bitop3_b32 v90, v90, v94, v93 bitop3:0x80
	s_delay_alu instid0(VALU_DEP_4) | instskip(SKIP_2) | instid1(VALU_DEP_4)
	v_xor_b32_e32 v91, s20, v91
	v_xor_b32_e32 v93, s21, v97
	v_add_nc_u32_e32 v167, 0x438, v120
	v_bitop3_b32 v90, v90, v96, v95 bitop3:0x80
	ds_store_2addr_b32 v167, v5, v5 offset1:1
	ds_store_2addr_b32 v168, v5, v5 offset1:1
	;; [unrolled: 1-line block ×4, first 2 shown]
	ds_store_b32 v120, v5 offset:1088
	v_bitop3_b32 v90, v90, v93, v91 bitop3:0x80
	v_mul_u32_u24_e32 v91, 36, v92
	s_wait_loadcnt_dscnt 0x0
	s_barrier_signal -1
	s_barrier_wait -1
	v_mbcnt_lo_u32_b32 v166, v90, 0
	v_cmp_ne_u32_e64 s15, 0, v90
	v_add_nc_u32_e32 v171, v148, v91
	s_delay_alu instid0(VALU_DEP_3) | instskip(SKIP_1) | instid1(SALU_CYCLE_1)
	v_cmp_eq_u32_e32 vcc_lo, 0, v166
	; wave barrier
	s_and_b32 s16, s15, vcc_lo
	s_and_saveexec_b32 s15, s16
; %bb.425:                              ;   in Loop: Header=BB1113_388 Depth=2
	v_bcnt_u32_b32 v90, v90, 0
	ds_store_b32 v171, v90 offset:1056
; %bb.426:                              ;   in Loop: Header=BB1113_388 Depth=2
	s_or_b32 exec_lo, exec_lo, s15
	v_cmp_gt_i64_e32 vcc_lo, 0, v[60:61]
	; wave barrier
	v_cndmask_b32_e64 v91, 0x7fffffff, 0, vcc_lo
	s_delay_alu instid0(VALU_DEP_1) | instskip(NEXT) | instid1(VALU_DEP_1)
	v_dual_ashrrev_i32 v90, 31, v61 :: v_dual_bitop2_b32 v61, v91, v61 bitop3:0x14
	v_not_b32_e32 v90, v90
	s_delay_alu instid0(VALU_DEP_1) | instskip(NEXT) | instid1(VALU_DEP_1)
	v_xor_b32_e32 v60, v90, v60
	v_cmp_ne_u64_e32 vcc_lo, s[42:43], v[60:61]
	v_cndmask_b32_e32 v91, 0x7fffffff, v61, vcc_lo
	v_cndmask_b32_e32 v90, -1, v60, vcc_lo
	s_delay_alu instid0(VALU_DEP_1) | instskip(NEXT) | instid1(VALU_DEP_1)
	v_lshrrev_b64 v[90:91], s54, v[90:91]
	v_bitop3_b32 v91, v90, 1, s59 bitop3:0x80
	v_and_b32_e32 v92, s59, v90
	s_delay_alu instid0(VALU_DEP_2) | instskip(NEXT) | instid1(VALU_DEP_1)
	v_add_co_u32 v90, s15, v91, -1
	v_cndmask_b32_e64 v91, 0, 1, s15
	s_delay_alu instid0(VALU_DEP_3) | instskip(SKIP_1) | instid1(VALU_DEP_3)
	v_dual_lshlrev_b32 v93, 30, v92 :: v_dual_lshlrev_b32 v95, 28, v92
	v_dual_lshlrev_b32 v94, 29, v92 :: v_dual_lshlrev_b32 v96, 27, v92
	v_cmp_ne_u32_e32 vcc_lo, 0, v91
	s_delay_alu instid0(VALU_DEP_3) | instskip(SKIP_1) | instid1(VALU_DEP_4)
	v_cmp_gt_i32_e64 s15, 0, v93
	v_not_b32_e32 v91, v93
	v_cmp_gt_i32_e64 s16, 0, v94
	v_not_b32_e32 v93, v94
	;; [unrolled: 2-line block ×3, first 2 shown]
	v_not_b32_e32 v95, v96
	s_delay_alu instid0(VALU_DEP_4) | instskip(NEXT) | instid1(VALU_DEP_2)
	v_dual_ashrrev_i32 v91, 31, v91 :: v_dual_ashrrev_i32 v93, 31, v93
	v_dual_ashrrev_i32 v94, 31, v94 :: v_dual_ashrrev_i32 v95, 31, v95
	v_dual_lshlrev_b32 v97, 26, v92 :: v_dual_lshlrev_b32 v172, 25, v92
	v_lshlrev_b32_e32 v173, 24, v92
	v_cmp_gt_i32_e64 s18, 0, v96
	v_xor_b32_e32 v91, s15, v91
	s_delay_alu instid0(VALU_DEP_4)
	v_not_b32_e32 v96, v97
	v_xor_b32_e32 v90, vcc_lo, v90
	v_cmp_gt_i32_e64 s19, 0, v97
	v_cmp_gt_i32_e64 s20, 0, v172
	v_not_b32_e32 v97, v172
	v_not_b32_e32 v172, v173
	v_dual_ashrrev_i32 v96, 31, v96 :: v_dual_bitop2_b32 v93, s16, v93 bitop3:0x14
	v_xor_b32_e32 v94, s17, v94
	v_bitop3_b32 v90, v90, v91, exec_lo bitop3:0x80
	v_cmp_gt_i32_e64 s21, 0, v173
	v_dual_ashrrev_i32 v91, 31, v97 :: v_dual_ashrrev_i32 v97, 31, v172
	v_xor_b32_e32 v95, s18, v95
	v_xor_b32_e32 v96, s19, v96
	v_bitop3_b32 v90, v90, v94, v93 bitop3:0x80
	v_mad_u32_u24 v93, v92, 36, v148
	v_xor_b32_e32 v91, s20, v91
	v_xor_b32_e32 v94, s21, v97
	s_delay_alu instid0(VALU_DEP_4) | instskip(SKIP_3) | instid1(VALU_DEP_2)
	v_bitop3_b32 v90, v90, v96, v95 bitop3:0x80
	ds_load_b32 v172, v93 offset:1056
	; wave barrier
	v_bitop3_b32 v90, v90, v94, v91 bitop3:0x80
	v_mul_u32_u24_e32 v91, 36, v92
	v_mbcnt_lo_u32_b32 v173, v90, 0
	v_cmp_ne_u32_e64 s15, 0, v90
	s_delay_alu instid0(VALU_DEP_3) | instskip(NEXT) | instid1(VALU_DEP_3)
	v_add_nc_u32_e32 v174, v148, v91
	v_cmp_eq_u32_e32 vcc_lo, 0, v173
	s_and_b32 s16, s15, vcc_lo
	s_delay_alu instid0(SALU_CYCLE_1)
	s_and_saveexec_b32 s15, s16
	s_cbranch_execz .LBB1113_428
; %bb.427:                              ;   in Loop: Header=BB1113_388 Depth=2
	s_wait_dscnt 0x0
	v_bcnt_u32_b32 v90, v90, v172
	ds_store_b32 v174, v90 offset:1056
.LBB1113_428:                           ;   in Loop: Header=BB1113_388 Depth=2
	s_or_b32 exec_lo, exec_lo, s15
	v_cmp_gt_i64_e32 vcc_lo, 0, v[62:63]
	; wave barrier
	v_cndmask_b32_e64 v91, 0x7fffffff, 0, vcc_lo
	s_delay_alu instid0(VALU_DEP_1) | instskip(NEXT) | instid1(VALU_DEP_1)
	v_dual_ashrrev_i32 v90, 31, v63 :: v_dual_bitop2_b32 v63, v91, v63 bitop3:0x14
	v_not_b32_e32 v90, v90
	s_delay_alu instid0(VALU_DEP_1) | instskip(NEXT) | instid1(VALU_DEP_1)
	v_xor_b32_e32 v62, v90, v62
	v_cmp_ne_u64_e32 vcc_lo, s[42:43], v[62:63]
	v_cndmask_b32_e32 v91, 0x7fffffff, v63, vcc_lo
	v_cndmask_b32_e32 v90, -1, v62, vcc_lo
	s_delay_alu instid0(VALU_DEP_1) | instskip(NEXT) | instid1(VALU_DEP_1)
	v_lshrrev_b64 v[90:91], s54, v[90:91]
	v_bitop3_b32 v91, v90, 1, s59 bitop3:0x80
	v_and_b32_e32 v92, s59, v90
	s_delay_alu instid0(VALU_DEP_2) | instskip(NEXT) | instid1(VALU_DEP_1)
	v_add_co_u32 v90, s15, v91, -1
	v_cndmask_b32_e64 v91, 0, 1, s15
	s_delay_alu instid0(VALU_DEP_3) | instskip(NEXT) | instid1(VALU_DEP_2)
	v_lshlrev_b32_e32 v93, 30, v92
	v_cmp_ne_u32_e32 vcc_lo, 0, v91
	s_delay_alu instid0(VALU_DEP_2) | instskip(SKIP_1) | instid1(VALU_DEP_2)
	v_not_b32_e32 v91, v93
	v_cmp_gt_i32_e64 s15, 0, v93
	v_dual_ashrrev_i32 v91, 31, v91 :: v_dual_lshlrev_b32 v94, 29, v92
	v_dual_lshlrev_b32 v95, 28, v92 :: v_dual_lshlrev_b32 v96, 27, v92
	v_dual_lshlrev_b32 v97, 26, v92 :: v_dual_lshlrev_b32 v175, 25, v92
	v_lshlrev_b32_e32 v176, 24, v92
	s_delay_alu instid0(VALU_DEP_4)
	v_cmp_gt_i32_e64 s16, 0, v94
	v_not_b32_e32 v93, v94
	v_not_b32_e32 v94, v95
	v_cmp_gt_i32_e64 s17, 0, v95
	v_cmp_gt_i32_e64 s18, 0, v96
	v_not_b32_e32 v95, v96
	v_not_b32_e32 v96, v97
	v_dual_ashrrev_i32 v93, 31, v93 :: v_dual_bitop2_b32 v90, vcc_lo, v90 bitop3:0x14
	v_dual_ashrrev_i32 v94, 31, v94 :: v_dual_bitop2_b32 v91, s15, v91 bitop3:0x14
	v_cmp_gt_i32_e64 s19, 0, v97
	v_cmp_gt_i32_e64 s20, 0, v175
	v_not_b32_e32 v97, v175
	v_not_b32_e32 v175, v176
	v_dual_ashrrev_i32 v95, 31, v95 :: v_dual_ashrrev_i32 v96, 31, v96
	v_xor_b32_e32 v93, s16, v93
	v_xor_b32_e32 v94, s17, v94
	v_bitop3_b32 v90, v90, v91, exec_lo bitop3:0x80
	v_cmp_gt_i32_e64 s21, 0, v176
	v_dual_ashrrev_i32 v91, 31, v97 :: v_dual_ashrrev_i32 v97, 31, v175
	v_xor_b32_e32 v95, s18, v95
	v_xor_b32_e32 v96, s19, v96
	v_bitop3_b32 v90, v90, v94, v93 bitop3:0x80
	v_mad_u32_u24 v93, v92, 36, v148
	v_xor_b32_e32 v91, s20, v91
	v_xor_b32_e32 v94, s21, v97
	s_delay_alu instid0(VALU_DEP_4) | instskip(SKIP_3) | instid1(VALU_DEP_2)
	v_bitop3_b32 v90, v90, v96, v95 bitop3:0x80
	ds_load_b32 v175, v93 offset:1056
	; wave barrier
	v_bitop3_b32 v90, v90, v94, v91 bitop3:0x80
	v_mul_u32_u24_e32 v91, 36, v92
	v_mbcnt_lo_u32_b32 v176, v90, 0
	v_cmp_ne_u32_e64 s15, 0, v90
	s_delay_alu instid0(VALU_DEP_3) | instskip(NEXT) | instid1(VALU_DEP_3)
	v_add_nc_u32_e32 v177, v148, v91
	v_cmp_eq_u32_e32 vcc_lo, 0, v176
	s_and_b32 s16, s15, vcc_lo
	s_delay_alu instid0(SALU_CYCLE_1)
	s_and_saveexec_b32 s15, s16
	s_cbranch_execz .LBB1113_430
; %bb.429:                              ;   in Loop: Header=BB1113_388 Depth=2
	s_wait_dscnt 0x0
	v_bcnt_u32_b32 v90, v90, v175
	ds_store_b32 v177, v90 offset:1056
.LBB1113_430:                           ;   in Loop: Header=BB1113_388 Depth=2
	s_or_b32 exec_lo, exec_lo, s15
	v_cmp_gt_i64_e32 vcc_lo, 0, v[70:71]
	; wave barrier
	v_cndmask_b32_e64 v91, 0x7fffffff, 0, vcc_lo
	s_delay_alu instid0(VALU_DEP_1) | instskip(NEXT) | instid1(VALU_DEP_1)
	v_dual_ashrrev_i32 v90, 31, v71 :: v_dual_bitop2_b32 v71, v91, v71 bitop3:0x14
	v_not_b32_e32 v90, v90
	s_delay_alu instid0(VALU_DEP_1) | instskip(NEXT) | instid1(VALU_DEP_1)
	v_xor_b32_e32 v70, v90, v70
	v_cmp_ne_u64_e32 vcc_lo, s[42:43], v[70:71]
	v_cndmask_b32_e32 v91, 0x7fffffff, v71, vcc_lo
	v_cndmask_b32_e32 v90, -1, v70, vcc_lo
	s_delay_alu instid0(VALU_DEP_1) | instskip(NEXT) | instid1(VALU_DEP_1)
	v_lshrrev_b64 v[90:91], s54, v[90:91]
	v_bitop3_b32 v91, v90, 1, s59 bitop3:0x80
	v_and_b32_e32 v92, s59, v90
	s_delay_alu instid0(VALU_DEP_2) | instskip(NEXT) | instid1(VALU_DEP_1)
	v_add_co_u32 v90, s15, v91, -1
	v_cndmask_b32_e64 v91, 0, 1, s15
	s_delay_alu instid0(VALU_DEP_3) | instskip(NEXT) | instid1(VALU_DEP_2)
	v_lshlrev_b32_e32 v93, 30, v92
	v_cmp_ne_u32_e32 vcc_lo, 0, v91
	s_delay_alu instid0(VALU_DEP_2) | instskip(SKIP_1) | instid1(VALU_DEP_2)
	v_not_b32_e32 v91, v93
	v_cmp_gt_i32_e64 s15, 0, v93
	v_dual_ashrrev_i32 v91, 31, v91 :: v_dual_lshlrev_b32 v94, 29, v92
	v_dual_lshlrev_b32 v95, 28, v92 :: v_dual_lshlrev_b32 v96, 27, v92
	v_dual_lshlrev_b32 v97, 26, v92 :: v_dual_lshlrev_b32 v178, 25, v92
	v_lshlrev_b32_e32 v179, 24, v92
	s_delay_alu instid0(VALU_DEP_4)
	v_cmp_gt_i32_e64 s16, 0, v94
	v_not_b32_e32 v93, v94
	v_not_b32_e32 v94, v95
	v_cmp_gt_i32_e64 s17, 0, v95
	v_cmp_gt_i32_e64 s18, 0, v96
	v_not_b32_e32 v95, v96
	v_not_b32_e32 v96, v97
	v_dual_ashrrev_i32 v93, 31, v93 :: v_dual_bitop2_b32 v90, vcc_lo, v90 bitop3:0x14
	v_dual_ashrrev_i32 v94, 31, v94 :: v_dual_bitop2_b32 v91, s15, v91 bitop3:0x14
	v_cmp_gt_i32_e64 s19, 0, v97
	v_cmp_gt_i32_e64 s20, 0, v178
	v_not_b32_e32 v97, v178
	v_not_b32_e32 v178, v179
	v_dual_ashrrev_i32 v95, 31, v95 :: v_dual_ashrrev_i32 v96, 31, v96
	v_xor_b32_e32 v93, s16, v93
	v_xor_b32_e32 v94, s17, v94
	v_bitop3_b32 v90, v90, v91, exec_lo bitop3:0x80
	v_cmp_gt_i32_e64 s21, 0, v179
	v_dual_ashrrev_i32 v91, 31, v97 :: v_dual_ashrrev_i32 v97, 31, v178
	v_xor_b32_e32 v95, s18, v95
	v_xor_b32_e32 v96, s19, v96
	v_bitop3_b32 v90, v90, v94, v93 bitop3:0x80
	v_mad_u32_u24 v93, v92, 36, v148
	v_xor_b32_e32 v91, s20, v91
	v_xor_b32_e32 v94, s21, v97
	s_delay_alu instid0(VALU_DEP_4) | instskip(SKIP_3) | instid1(VALU_DEP_2)
	v_bitop3_b32 v90, v90, v96, v95 bitop3:0x80
	ds_load_b32 v178, v93 offset:1056
	; wave barrier
	v_bitop3_b32 v90, v90, v94, v91 bitop3:0x80
	v_mul_u32_u24_e32 v91, 36, v92
	v_mbcnt_lo_u32_b32 v179, v90, 0
	v_cmp_ne_u32_e64 s15, 0, v90
	s_delay_alu instid0(VALU_DEP_3) | instskip(NEXT) | instid1(VALU_DEP_3)
	v_add_nc_u32_e32 v180, v148, v91
	v_cmp_eq_u32_e32 vcc_lo, 0, v179
	s_and_b32 s16, s15, vcc_lo
	s_delay_alu instid0(SALU_CYCLE_1)
	s_and_saveexec_b32 s15, s16
	s_cbranch_execz .LBB1113_432
; %bb.431:                              ;   in Loop: Header=BB1113_388 Depth=2
	s_wait_dscnt 0x0
	v_bcnt_u32_b32 v90, v90, v178
	ds_store_b32 v180, v90 offset:1056
.LBB1113_432:                           ;   in Loop: Header=BB1113_388 Depth=2
	s_or_b32 exec_lo, exec_lo, s15
	v_cmp_gt_i64_e32 vcc_lo, 0, v[74:75]
	; wave barrier
	v_cndmask_b32_e64 v91, 0x7fffffff, 0, vcc_lo
	s_delay_alu instid0(VALU_DEP_1) | instskip(NEXT) | instid1(VALU_DEP_1)
	v_dual_ashrrev_i32 v90, 31, v75 :: v_dual_bitop2_b32 v75, v91, v75 bitop3:0x14
	v_not_b32_e32 v90, v90
	s_delay_alu instid0(VALU_DEP_1) | instskip(NEXT) | instid1(VALU_DEP_1)
	v_xor_b32_e32 v74, v90, v74
	v_cmp_ne_u64_e32 vcc_lo, s[42:43], v[74:75]
	v_cndmask_b32_e32 v91, 0x7fffffff, v75, vcc_lo
	v_cndmask_b32_e32 v90, -1, v74, vcc_lo
	s_delay_alu instid0(VALU_DEP_1) | instskip(NEXT) | instid1(VALU_DEP_1)
	v_lshrrev_b64 v[90:91], s54, v[90:91]
	v_bitop3_b32 v91, v90, 1, s59 bitop3:0x80
	v_and_b32_e32 v92, s59, v90
	s_delay_alu instid0(VALU_DEP_2) | instskip(NEXT) | instid1(VALU_DEP_1)
	v_add_co_u32 v90, s15, v91, -1
	v_cndmask_b32_e64 v91, 0, 1, s15
	s_delay_alu instid0(VALU_DEP_3) | instskip(NEXT) | instid1(VALU_DEP_2)
	v_lshlrev_b32_e32 v93, 30, v92
	v_cmp_ne_u32_e32 vcc_lo, 0, v91
	s_delay_alu instid0(VALU_DEP_2) | instskip(SKIP_1) | instid1(VALU_DEP_2)
	v_not_b32_e32 v91, v93
	v_cmp_gt_i32_e64 s15, 0, v93
	v_dual_ashrrev_i32 v91, 31, v91 :: v_dual_lshlrev_b32 v94, 29, v92
	v_dual_lshlrev_b32 v95, 28, v92 :: v_dual_lshlrev_b32 v96, 27, v92
	v_dual_lshlrev_b32 v97, 26, v92 :: v_dual_lshlrev_b32 v181, 25, v92
	v_lshlrev_b32_e32 v182, 24, v92
	s_delay_alu instid0(VALU_DEP_4)
	v_cmp_gt_i32_e64 s16, 0, v94
	v_not_b32_e32 v93, v94
	v_not_b32_e32 v94, v95
	v_cmp_gt_i32_e64 s17, 0, v95
	v_cmp_gt_i32_e64 s18, 0, v96
	v_not_b32_e32 v95, v96
	v_not_b32_e32 v96, v97
	v_dual_ashrrev_i32 v93, 31, v93 :: v_dual_bitop2_b32 v90, vcc_lo, v90 bitop3:0x14
	v_dual_ashrrev_i32 v94, 31, v94 :: v_dual_bitop2_b32 v91, s15, v91 bitop3:0x14
	v_cmp_gt_i32_e64 s19, 0, v97
	v_cmp_gt_i32_e64 s20, 0, v181
	v_not_b32_e32 v97, v181
	v_not_b32_e32 v181, v182
	v_dual_ashrrev_i32 v95, 31, v95 :: v_dual_ashrrev_i32 v96, 31, v96
	v_xor_b32_e32 v93, s16, v93
	v_xor_b32_e32 v94, s17, v94
	v_bitop3_b32 v90, v90, v91, exec_lo bitop3:0x80
	v_cmp_gt_i32_e64 s21, 0, v182
	v_ashrrev_i32_e32 v91, 31, v97
	v_dual_ashrrev_i32 v97, 31, v181 :: v_dual_bitop2_b32 v95, s18, v95 bitop3:0x14
	v_xor_b32_e32 v96, s19, v96
	v_bitop3_b32 v90, v90, v94, v93 bitop3:0x80
	v_mad_u32_u24 v93, v92, 36, v148
	v_xor_b32_e32 v91, s20, v91
	v_xor_b32_e32 v94, s21, v97
	s_delay_alu instid0(VALU_DEP_4) | instskip(SKIP_3) | instid1(VALU_DEP_2)
	v_bitop3_b32 v90, v90, v96, v95 bitop3:0x80
	ds_load_b32 v181, v93 offset:1056
	; wave barrier
	v_bitop3_b32 v90, v90, v94, v91 bitop3:0x80
	v_mul_u32_u24_e32 v91, 36, v92
	v_mbcnt_lo_u32_b32 v182, v90, 0
	v_cmp_ne_u32_e64 s15, 0, v90
	s_delay_alu instid0(VALU_DEP_3) | instskip(NEXT) | instid1(VALU_DEP_3)
	v_add_nc_u32_e32 v183, v148, v91
	v_cmp_eq_u32_e32 vcc_lo, 0, v182
	s_and_b32 s16, s15, vcc_lo
	s_delay_alu instid0(SALU_CYCLE_1)
	s_and_saveexec_b32 s15, s16
	s_cbranch_execz .LBB1113_434
; %bb.433:                              ;   in Loop: Header=BB1113_388 Depth=2
	s_wait_dscnt 0x0
	v_bcnt_u32_b32 v90, v90, v181
	ds_store_b32 v183, v90 offset:1056
.LBB1113_434:                           ;   in Loop: Header=BB1113_388 Depth=2
	s_or_b32 exec_lo, exec_lo, s15
	v_cmp_gt_i64_e32 vcc_lo, 0, v[78:79]
	; wave barrier
	v_cndmask_b32_e64 v91, 0x7fffffff, 0, vcc_lo
	s_delay_alu instid0(VALU_DEP_1) | instskip(NEXT) | instid1(VALU_DEP_1)
	v_dual_ashrrev_i32 v90, 31, v79 :: v_dual_bitop2_b32 v79, v91, v79 bitop3:0x14
	v_not_b32_e32 v90, v90
	s_delay_alu instid0(VALU_DEP_1) | instskip(NEXT) | instid1(VALU_DEP_1)
	v_xor_b32_e32 v78, v90, v78
	v_cmp_ne_u64_e32 vcc_lo, s[42:43], v[78:79]
	v_cndmask_b32_e32 v91, 0x7fffffff, v79, vcc_lo
	v_cndmask_b32_e32 v90, -1, v78, vcc_lo
	s_delay_alu instid0(VALU_DEP_1) | instskip(NEXT) | instid1(VALU_DEP_1)
	v_lshrrev_b64 v[90:91], s54, v[90:91]
	v_bitop3_b32 v91, v90, 1, s59 bitop3:0x80
	v_and_b32_e32 v92, s59, v90
	s_delay_alu instid0(VALU_DEP_2) | instskip(NEXT) | instid1(VALU_DEP_1)
	v_add_co_u32 v90, s15, v91, -1
	v_cndmask_b32_e64 v91, 0, 1, s15
	s_delay_alu instid0(VALU_DEP_3) | instskip(NEXT) | instid1(VALU_DEP_2)
	v_lshlrev_b32_e32 v93, 30, v92
	v_cmp_ne_u32_e32 vcc_lo, 0, v91
	s_delay_alu instid0(VALU_DEP_2) | instskip(SKIP_1) | instid1(VALU_DEP_2)
	v_not_b32_e32 v91, v93
	v_cmp_gt_i32_e64 s15, 0, v93
	v_dual_ashrrev_i32 v91, 31, v91 :: v_dual_lshlrev_b32 v94, 29, v92
	v_dual_lshlrev_b32 v95, 28, v92 :: v_dual_lshlrev_b32 v96, 27, v92
	v_dual_lshlrev_b32 v97, 26, v92 :: v_dual_lshlrev_b32 v184, 25, v92
	v_lshlrev_b32_e32 v185, 24, v92
	s_delay_alu instid0(VALU_DEP_4)
	v_cmp_gt_i32_e64 s16, 0, v94
	v_not_b32_e32 v93, v94
	v_not_b32_e32 v94, v95
	v_cmp_gt_i32_e64 s17, 0, v95
	v_cmp_gt_i32_e64 s18, 0, v96
	v_not_b32_e32 v95, v96
	v_not_b32_e32 v96, v97
	v_dual_ashrrev_i32 v93, 31, v93 :: v_dual_bitop2_b32 v90, vcc_lo, v90 bitop3:0x14
	v_dual_ashrrev_i32 v94, 31, v94 :: v_dual_bitop2_b32 v91, s15, v91 bitop3:0x14
	v_cmp_gt_i32_e64 s19, 0, v97
	v_cmp_gt_i32_e64 s20, 0, v184
	v_not_b32_e32 v97, v184
	v_not_b32_e32 v184, v185
	v_dual_ashrrev_i32 v95, 31, v95 :: v_dual_ashrrev_i32 v96, 31, v96
	v_xor_b32_e32 v93, s16, v93
	v_xor_b32_e32 v94, s17, v94
	v_bitop3_b32 v90, v90, v91, exec_lo bitop3:0x80
	v_cmp_gt_i32_e64 s21, 0, v185
	v_dual_ashrrev_i32 v91, 31, v97 :: v_dual_ashrrev_i32 v97, 31, v184
	v_xor_b32_e32 v95, s18, v95
	v_xor_b32_e32 v96, s19, v96
	v_bitop3_b32 v90, v90, v94, v93 bitop3:0x80
	v_mad_u32_u24 v93, v92, 36, v148
	v_xor_b32_e32 v91, s20, v91
	v_xor_b32_e32 v94, s21, v97
	s_delay_alu instid0(VALU_DEP_4) | instskip(SKIP_3) | instid1(VALU_DEP_2)
	v_bitop3_b32 v90, v90, v96, v95 bitop3:0x80
	ds_load_b32 v184, v93 offset:1056
	; wave barrier
	v_bitop3_b32 v90, v90, v94, v91 bitop3:0x80
	v_mul_u32_u24_e32 v91, 36, v92
	v_mbcnt_lo_u32_b32 v185, v90, 0
	v_cmp_ne_u32_e64 s15, 0, v90
	s_delay_alu instid0(VALU_DEP_3) | instskip(NEXT) | instid1(VALU_DEP_3)
	v_add_nc_u32_e32 v186, v148, v91
	v_cmp_eq_u32_e32 vcc_lo, 0, v185
	s_and_b32 s16, s15, vcc_lo
	s_delay_alu instid0(SALU_CYCLE_1)
	s_and_saveexec_b32 s15, s16
	s_cbranch_execz .LBB1113_436
; %bb.435:                              ;   in Loop: Header=BB1113_388 Depth=2
	s_wait_dscnt 0x0
	v_bcnt_u32_b32 v90, v90, v184
	ds_store_b32 v186, v90 offset:1056
.LBB1113_436:                           ;   in Loop: Header=BB1113_388 Depth=2
	s_or_b32 exec_lo, exec_lo, s15
	v_cmp_gt_i64_e32 vcc_lo, 0, v[82:83]
	; wave barrier
	v_cndmask_b32_e64 v91, 0x7fffffff, 0, vcc_lo
	s_delay_alu instid0(VALU_DEP_1) | instskip(NEXT) | instid1(VALU_DEP_1)
	v_dual_ashrrev_i32 v90, 31, v83 :: v_dual_bitop2_b32 v83, v91, v83 bitop3:0x14
	v_not_b32_e32 v90, v90
	s_delay_alu instid0(VALU_DEP_1) | instskip(NEXT) | instid1(VALU_DEP_1)
	v_xor_b32_e32 v82, v90, v82
	v_cmp_ne_u64_e32 vcc_lo, s[42:43], v[82:83]
	v_cndmask_b32_e32 v91, 0x7fffffff, v83, vcc_lo
	v_cndmask_b32_e32 v90, -1, v82, vcc_lo
	s_delay_alu instid0(VALU_DEP_1) | instskip(NEXT) | instid1(VALU_DEP_1)
	v_lshrrev_b64 v[90:91], s54, v[90:91]
	v_bitop3_b32 v91, v90, 1, s59 bitop3:0x80
	v_and_b32_e32 v92, s59, v90
	s_delay_alu instid0(VALU_DEP_2) | instskip(NEXT) | instid1(VALU_DEP_1)
	v_add_co_u32 v90, s15, v91, -1
	v_cndmask_b32_e64 v91, 0, 1, s15
	s_delay_alu instid0(VALU_DEP_3) | instskip(NEXT) | instid1(VALU_DEP_2)
	v_lshlrev_b32_e32 v93, 30, v92
	v_cmp_ne_u32_e32 vcc_lo, 0, v91
	s_delay_alu instid0(VALU_DEP_2) | instskip(SKIP_1) | instid1(VALU_DEP_2)
	v_not_b32_e32 v91, v93
	v_cmp_gt_i32_e64 s15, 0, v93
	v_dual_ashrrev_i32 v91, 31, v91 :: v_dual_lshlrev_b32 v94, 29, v92
	v_dual_lshlrev_b32 v95, 28, v92 :: v_dual_lshlrev_b32 v96, 27, v92
	v_dual_lshlrev_b32 v97, 26, v92 :: v_dual_lshlrev_b32 v187, 25, v92
	v_lshlrev_b32_e32 v188, 24, v92
	s_delay_alu instid0(VALU_DEP_4)
	v_cmp_gt_i32_e64 s16, 0, v94
	v_not_b32_e32 v93, v94
	v_not_b32_e32 v94, v95
	v_cmp_gt_i32_e64 s17, 0, v95
	v_cmp_gt_i32_e64 s18, 0, v96
	v_not_b32_e32 v95, v96
	v_not_b32_e32 v96, v97
	v_dual_ashrrev_i32 v93, 31, v93 :: v_dual_bitop2_b32 v90, vcc_lo, v90 bitop3:0x14
	v_dual_ashrrev_i32 v94, 31, v94 :: v_dual_bitop2_b32 v91, s15, v91 bitop3:0x14
	v_cmp_gt_i32_e64 s19, 0, v97
	v_cmp_gt_i32_e64 s20, 0, v187
	v_not_b32_e32 v97, v187
	v_not_b32_e32 v187, v188
	v_dual_ashrrev_i32 v95, 31, v95 :: v_dual_ashrrev_i32 v96, 31, v96
	v_xor_b32_e32 v93, s16, v93
	v_xor_b32_e32 v94, s17, v94
	v_bitop3_b32 v90, v90, v91, exec_lo bitop3:0x80
	v_cmp_gt_i32_e64 s21, 0, v188
	v_dual_ashrrev_i32 v91, 31, v97 :: v_dual_ashrrev_i32 v97, 31, v187
	v_xor_b32_e32 v95, s18, v95
	v_xor_b32_e32 v96, s19, v96
	v_bitop3_b32 v90, v90, v94, v93 bitop3:0x80
	v_mad_u32_u24 v93, v92, 36, v148
	v_xor_b32_e32 v91, s20, v91
	v_xor_b32_e32 v94, s21, v97
	s_delay_alu instid0(VALU_DEP_4) | instskip(SKIP_3) | instid1(VALU_DEP_2)
	v_bitop3_b32 v90, v90, v96, v95 bitop3:0x80
	ds_load_b32 v187, v93 offset:1056
	; wave barrier
	v_bitop3_b32 v90, v90, v94, v91 bitop3:0x80
	v_mul_u32_u24_e32 v91, 36, v92
	v_mbcnt_lo_u32_b32 v188, v90, 0
	v_cmp_ne_u32_e64 s15, 0, v90
	s_delay_alu instid0(VALU_DEP_3) | instskip(NEXT) | instid1(VALU_DEP_3)
	v_add_nc_u32_e32 v189, v148, v91
	v_cmp_eq_u32_e32 vcc_lo, 0, v188
	s_and_b32 s16, s15, vcc_lo
	s_delay_alu instid0(SALU_CYCLE_1)
	s_and_saveexec_b32 s15, s16
	s_cbranch_execz .LBB1113_438
; %bb.437:                              ;   in Loop: Header=BB1113_388 Depth=2
	s_wait_dscnt 0x0
	v_bcnt_u32_b32 v90, v90, v187
	ds_store_b32 v189, v90 offset:1056
.LBB1113_438:                           ;   in Loop: Header=BB1113_388 Depth=2
	s_or_b32 exec_lo, exec_lo, s15
	v_cmp_gt_i64_e32 vcc_lo, 0, v[86:87]
	; wave barrier
	v_cndmask_b32_e64 v91, 0x7fffffff, 0, vcc_lo
	s_delay_alu instid0(VALU_DEP_1) | instskip(NEXT) | instid1(VALU_DEP_1)
	v_dual_ashrrev_i32 v90, 31, v87 :: v_dual_bitop2_b32 v87, v91, v87 bitop3:0x14
	v_not_b32_e32 v90, v90
	s_delay_alu instid0(VALU_DEP_1) | instskip(NEXT) | instid1(VALU_DEP_1)
	v_xor_b32_e32 v86, v90, v86
	v_cmp_ne_u64_e32 vcc_lo, s[42:43], v[86:87]
	v_cndmask_b32_e32 v91, 0x7fffffff, v87, vcc_lo
	v_cndmask_b32_e32 v90, -1, v86, vcc_lo
	s_delay_alu instid0(VALU_DEP_1) | instskip(NEXT) | instid1(VALU_DEP_1)
	v_lshrrev_b64 v[90:91], s54, v[90:91]
	v_bitop3_b32 v91, v90, 1, s59 bitop3:0x80
	v_and_b32_e32 v92, s59, v90
	s_delay_alu instid0(VALU_DEP_2) | instskip(NEXT) | instid1(VALU_DEP_1)
	v_add_co_u32 v90, s15, v91, -1
	v_cndmask_b32_e64 v91, 0, 1, s15
	s_delay_alu instid0(VALU_DEP_3) | instskip(NEXT) | instid1(VALU_DEP_2)
	v_lshlrev_b32_e32 v93, 30, v92
	v_cmp_ne_u32_e32 vcc_lo, 0, v91
	s_delay_alu instid0(VALU_DEP_2) | instskip(SKIP_1) | instid1(VALU_DEP_2)
	v_not_b32_e32 v91, v93
	v_cmp_gt_i32_e64 s15, 0, v93
	v_dual_ashrrev_i32 v91, 31, v91 :: v_dual_lshlrev_b32 v94, 29, v92
	v_dual_lshlrev_b32 v95, 28, v92 :: v_dual_lshlrev_b32 v96, 27, v92
	v_dual_lshlrev_b32 v97, 26, v92 :: v_dual_lshlrev_b32 v190, 25, v92
	v_lshlrev_b32_e32 v191, 24, v92
	s_delay_alu instid0(VALU_DEP_4)
	v_cmp_gt_i32_e64 s16, 0, v94
	v_not_b32_e32 v93, v94
	v_not_b32_e32 v94, v95
	v_cmp_gt_i32_e64 s17, 0, v95
	v_cmp_gt_i32_e64 s18, 0, v96
	v_not_b32_e32 v95, v96
	v_not_b32_e32 v96, v97
	v_dual_ashrrev_i32 v93, 31, v93 :: v_dual_bitop2_b32 v90, vcc_lo, v90 bitop3:0x14
	v_dual_ashrrev_i32 v94, 31, v94 :: v_dual_bitop2_b32 v91, s15, v91 bitop3:0x14
	v_cmp_gt_i32_e64 s19, 0, v97
	v_cmp_gt_i32_e64 s20, 0, v190
	v_not_b32_e32 v97, v190
	v_not_b32_e32 v190, v191
	v_dual_ashrrev_i32 v95, 31, v95 :: v_dual_ashrrev_i32 v96, 31, v96
	v_xor_b32_e32 v93, s16, v93
	v_xor_b32_e32 v94, s17, v94
	v_bitop3_b32 v90, v90, v91, exec_lo bitop3:0x80
	v_cmp_gt_i32_e64 s21, 0, v191
	v_dual_ashrrev_i32 v91, 31, v97 :: v_dual_ashrrev_i32 v97, 31, v190
	v_xor_b32_e32 v95, s18, v95
	v_xor_b32_e32 v96, s19, v96
	v_bitop3_b32 v90, v90, v94, v93 bitop3:0x80
	v_mad_u32_u24 v93, v92, 36, v148
	v_xor_b32_e32 v91, s20, v91
	v_xor_b32_e32 v94, s21, v97
	s_delay_alu instid0(VALU_DEP_4) | instskip(SKIP_3) | instid1(VALU_DEP_2)
	v_bitop3_b32 v90, v90, v96, v95 bitop3:0x80
	ds_load_b32 v190, v93 offset:1056
	; wave barrier
	v_bitop3_b32 v90, v90, v94, v91 bitop3:0x80
	v_mul_u32_u24_e32 v91, 36, v92
	v_mbcnt_lo_u32_b32 v191, v90, 0
	v_cmp_ne_u32_e64 s15, 0, v90
	s_delay_alu instid0(VALU_DEP_3) | instskip(NEXT) | instid1(VALU_DEP_3)
	v_add_nc_u32_e32 v192, v148, v91
	v_cmp_eq_u32_e32 vcc_lo, 0, v191
	s_and_b32 s16, s15, vcc_lo
	s_delay_alu instid0(SALU_CYCLE_1)
	s_and_saveexec_b32 s15, s16
	s_cbranch_execz .LBB1113_440
; %bb.439:                              ;   in Loop: Header=BB1113_388 Depth=2
	s_wait_dscnt 0x0
	v_bcnt_u32_b32 v90, v90, v190
	ds_store_b32 v192, v90 offset:1056
.LBB1113_440:                           ;   in Loop: Header=BB1113_388 Depth=2
	s_or_b32 exec_lo, exec_lo, s15
	v_cmp_gt_i64_e32 vcc_lo, 0, v[88:89]
	; wave barrier
	v_cndmask_b32_e64 v91, 0x7fffffff, 0, vcc_lo
	s_delay_alu instid0(VALU_DEP_1) | instskip(NEXT) | instid1(VALU_DEP_1)
	v_dual_ashrrev_i32 v90, 31, v89 :: v_dual_bitop2_b32 v89, v91, v89 bitop3:0x14
	v_not_b32_e32 v90, v90
	s_delay_alu instid0(VALU_DEP_1) | instskip(NEXT) | instid1(VALU_DEP_1)
	v_xor_b32_e32 v88, v90, v88
	v_cmp_ne_u64_e32 vcc_lo, s[42:43], v[88:89]
	v_cndmask_b32_e32 v91, 0x7fffffff, v89, vcc_lo
	v_cndmask_b32_e32 v90, -1, v88, vcc_lo
	s_delay_alu instid0(VALU_DEP_1) | instskip(NEXT) | instid1(VALU_DEP_1)
	v_lshrrev_b64 v[90:91], s54, v[90:91]
	v_bitop3_b32 v91, v90, 1, s59 bitop3:0x80
	v_and_b32_e32 v92, s59, v90
	s_delay_alu instid0(VALU_DEP_2) | instskip(NEXT) | instid1(VALU_DEP_1)
	v_add_co_u32 v90, s15, v91, -1
	v_cndmask_b32_e64 v91, 0, 1, s15
	s_delay_alu instid0(VALU_DEP_3) | instskip(SKIP_1) | instid1(VALU_DEP_3)
	v_dual_lshlrev_b32 v93, 30, v92 :: v_dual_lshlrev_b32 v95, 28, v92
	v_dual_lshlrev_b32 v94, 29, v92 :: v_dual_lshlrev_b32 v96, 27, v92
	v_cmp_ne_u32_e32 vcc_lo, 0, v91
	s_delay_alu instid0(VALU_DEP_3) | instskip(SKIP_1) | instid1(VALU_DEP_4)
	v_cmp_gt_i32_e64 s15, 0, v93
	v_not_b32_e32 v91, v93
	v_cmp_gt_i32_e64 s16, 0, v94
	v_not_b32_e32 v93, v94
	;; [unrolled: 2-line block ×3, first 2 shown]
	v_not_b32_e32 v95, v96
	s_delay_alu instid0(VALU_DEP_4) | instskip(NEXT) | instid1(VALU_DEP_2)
	v_dual_ashrrev_i32 v91, 31, v91 :: v_dual_ashrrev_i32 v93, 31, v93
	v_dual_ashrrev_i32 v94, 31, v94 :: v_dual_ashrrev_i32 v95, 31, v95
	v_dual_lshlrev_b32 v97, 26, v92 :: v_dual_lshlrev_b32 v193, 25, v92
	v_lshlrev_b32_e32 v194, 24, v92
	v_cmp_gt_i32_e64 s18, 0, v96
	v_xor_b32_e32 v91, s15, v91
	s_delay_alu instid0(VALU_DEP_4)
	v_not_b32_e32 v96, v97
	v_xor_b32_e32 v90, vcc_lo, v90
	v_cmp_gt_i32_e64 s19, 0, v97
	v_cmp_gt_i32_e64 s20, 0, v193
	v_not_b32_e32 v97, v193
	v_not_b32_e32 v193, v194
	v_dual_ashrrev_i32 v96, 31, v96 :: v_dual_bitop2_b32 v93, s16, v93 bitop3:0x14
	v_xor_b32_e32 v94, s17, v94
	v_bitop3_b32 v90, v90, v91, exec_lo bitop3:0x80
	v_cmp_gt_i32_e64 s21, 0, v194
	v_ashrrev_i32_e32 v91, 31, v97
	v_dual_ashrrev_i32 v97, 31, v193 :: v_dual_bitop2_b32 v95, s18, v95 bitop3:0x14
	v_xor_b32_e32 v96, s19, v96
	v_bitop3_b32 v90, v90, v94, v93 bitop3:0x80
	v_mad_u32_u24 v93, v92, 36, v148
	v_xor_b32_e32 v91, s20, v91
	v_xor_b32_e32 v94, s21, v97
	s_delay_alu instid0(VALU_DEP_4) | instskip(SKIP_3) | instid1(VALU_DEP_2)
	v_bitop3_b32 v90, v90, v96, v95 bitop3:0x80
	ds_load_b32 v193, v93 offset:1056
	; wave barrier
	v_bitop3_b32 v90, v90, v94, v91 bitop3:0x80
	v_mul_u32_u24_e32 v91, 36, v92
	v_mbcnt_lo_u32_b32 v194, v90, 0
	v_cmp_ne_u32_e64 s15, 0, v90
	s_delay_alu instid0(VALU_DEP_3) | instskip(NEXT) | instid1(VALU_DEP_3)
	v_add_nc_u32_e32 v195, v148, v91
	v_cmp_eq_u32_e32 vcc_lo, 0, v194
	s_and_b32 s16, s15, vcc_lo
	s_delay_alu instid0(SALU_CYCLE_1)
	s_and_saveexec_b32 s15, s16
	s_cbranch_execz .LBB1113_442
; %bb.441:                              ;   in Loop: Header=BB1113_388 Depth=2
	s_wait_dscnt 0x0
	v_bcnt_u32_b32 v90, v90, v193
	ds_store_b32 v195, v90 offset:1056
.LBB1113_442:                           ;   in Loop: Header=BB1113_388 Depth=2
	s_or_b32 exec_lo, exec_lo, s15
	v_cmp_gt_i64_e32 vcc_lo, 0, v[84:85]
	; wave barrier
	v_cndmask_b32_e64 v91, 0x7fffffff, 0, vcc_lo
	s_delay_alu instid0(VALU_DEP_1) | instskip(NEXT) | instid1(VALU_DEP_1)
	v_dual_ashrrev_i32 v90, 31, v85 :: v_dual_bitop2_b32 v85, v91, v85 bitop3:0x14
	v_not_b32_e32 v90, v90
	s_delay_alu instid0(VALU_DEP_1) | instskip(NEXT) | instid1(VALU_DEP_1)
	v_xor_b32_e32 v84, v90, v84
	v_cmp_ne_u64_e32 vcc_lo, s[42:43], v[84:85]
	v_cndmask_b32_e32 v91, 0x7fffffff, v85, vcc_lo
	v_cndmask_b32_e32 v90, -1, v84, vcc_lo
	s_delay_alu instid0(VALU_DEP_1) | instskip(NEXT) | instid1(VALU_DEP_1)
	v_lshrrev_b64 v[90:91], s54, v[90:91]
	v_bitop3_b32 v91, v90, 1, s59 bitop3:0x80
	v_and_b32_e32 v92, s59, v90
	s_delay_alu instid0(VALU_DEP_2) | instskip(NEXT) | instid1(VALU_DEP_1)
	v_add_co_u32 v90, s15, v91, -1
	v_cndmask_b32_e64 v91, 0, 1, s15
	s_delay_alu instid0(VALU_DEP_3) | instskip(SKIP_1) | instid1(VALU_DEP_3)
	v_dual_lshlrev_b32 v93, 30, v92 :: v_dual_lshlrev_b32 v95, 28, v92
	v_dual_lshlrev_b32 v94, 29, v92 :: v_dual_lshlrev_b32 v96, 27, v92
	v_cmp_ne_u32_e32 vcc_lo, 0, v91
	s_delay_alu instid0(VALU_DEP_3) | instskip(SKIP_1) | instid1(VALU_DEP_4)
	v_cmp_gt_i32_e64 s15, 0, v93
	v_not_b32_e32 v91, v93
	v_cmp_gt_i32_e64 s16, 0, v94
	v_not_b32_e32 v93, v94
	;; [unrolled: 2-line block ×3, first 2 shown]
	v_not_b32_e32 v95, v96
	s_delay_alu instid0(VALU_DEP_4) | instskip(NEXT) | instid1(VALU_DEP_2)
	v_dual_ashrrev_i32 v91, 31, v91 :: v_dual_ashrrev_i32 v93, 31, v93
	v_dual_ashrrev_i32 v94, 31, v94 :: v_dual_ashrrev_i32 v95, 31, v95
	v_dual_lshlrev_b32 v97, 26, v92 :: v_dual_lshlrev_b32 v196, 25, v92
	v_lshlrev_b32_e32 v197, 24, v92
	v_cmp_gt_i32_e64 s18, 0, v96
	v_xor_b32_e32 v91, s15, v91
	s_delay_alu instid0(VALU_DEP_4)
	v_not_b32_e32 v96, v97
	v_xor_b32_e32 v90, vcc_lo, v90
	v_cmp_gt_i32_e64 s19, 0, v97
	v_cmp_gt_i32_e64 s20, 0, v196
	v_not_b32_e32 v97, v196
	v_not_b32_e32 v196, v197
	v_dual_ashrrev_i32 v96, 31, v96 :: v_dual_bitop2_b32 v93, s16, v93 bitop3:0x14
	v_xor_b32_e32 v94, s17, v94
	v_bitop3_b32 v90, v90, v91, exec_lo bitop3:0x80
	v_cmp_gt_i32_e64 s21, 0, v197
	v_dual_ashrrev_i32 v91, 31, v97 :: v_dual_ashrrev_i32 v97, 31, v196
	v_xor_b32_e32 v95, s18, v95
	v_xor_b32_e32 v96, s19, v96
	v_bitop3_b32 v90, v90, v94, v93 bitop3:0x80
	v_mad_u32_u24 v93, v92, 36, v148
	v_xor_b32_e32 v91, s20, v91
	v_xor_b32_e32 v94, s21, v97
	s_delay_alu instid0(VALU_DEP_4) | instskip(SKIP_3) | instid1(VALU_DEP_2)
	v_bitop3_b32 v90, v90, v96, v95 bitop3:0x80
	ds_load_b32 v196, v93 offset:1056
	; wave barrier
	v_bitop3_b32 v90, v90, v94, v91 bitop3:0x80
	v_mul_u32_u24_e32 v91, 36, v92
	v_mbcnt_lo_u32_b32 v197, v90, 0
	v_cmp_ne_u32_e64 s15, 0, v90
	s_delay_alu instid0(VALU_DEP_3) | instskip(NEXT) | instid1(VALU_DEP_3)
	v_add_nc_u32_e32 v198, v148, v91
	v_cmp_eq_u32_e32 vcc_lo, 0, v197
	s_and_b32 s16, s15, vcc_lo
	s_delay_alu instid0(SALU_CYCLE_1)
	s_and_saveexec_b32 s15, s16
	s_cbranch_execz .LBB1113_444
; %bb.443:                              ;   in Loop: Header=BB1113_388 Depth=2
	s_wait_dscnt 0x0
	v_bcnt_u32_b32 v90, v90, v196
	ds_store_b32 v198, v90 offset:1056
.LBB1113_444:                           ;   in Loop: Header=BB1113_388 Depth=2
	s_or_b32 exec_lo, exec_lo, s15
	v_cmp_gt_i64_e32 vcc_lo, 0, v[80:81]
	; wave barrier
	v_cndmask_b32_e64 v91, 0x7fffffff, 0, vcc_lo
	s_delay_alu instid0(VALU_DEP_1) | instskip(NEXT) | instid1(VALU_DEP_1)
	v_dual_ashrrev_i32 v90, 31, v81 :: v_dual_bitop2_b32 v81, v91, v81 bitop3:0x14
	v_not_b32_e32 v90, v90
	s_delay_alu instid0(VALU_DEP_1) | instskip(NEXT) | instid1(VALU_DEP_1)
	v_xor_b32_e32 v80, v90, v80
	v_cmp_ne_u64_e32 vcc_lo, s[42:43], v[80:81]
	v_cndmask_b32_e32 v91, 0x7fffffff, v81, vcc_lo
	v_cndmask_b32_e32 v90, -1, v80, vcc_lo
	s_delay_alu instid0(VALU_DEP_1) | instskip(NEXT) | instid1(VALU_DEP_1)
	v_lshrrev_b64 v[90:91], s54, v[90:91]
	v_bitop3_b32 v91, v90, 1, s59 bitop3:0x80
	v_and_b32_e32 v92, s59, v90
	s_delay_alu instid0(VALU_DEP_2) | instskip(NEXT) | instid1(VALU_DEP_1)
	v_add_co_u32 v90, s15, v91, -1
	v_cndmask_b32_e64 v91, 0, 1, s15
	s_delay_alu instid0(VALU_DEP_3) | instskip(SKIP_1) | instid1(VALU_DEP_3)
	v_dual_lshlrev_b32 v93, 30, v92 :: v_dual_lshlrev_b32 v95, 28, v92
	v_dual_lshlrev_b32 v94, 29, v92 :: v_dual_lshlrev_b32 v96, 27, v92
	v_cmp_ne_u32_e32 vcc_lo, 0, v91
	s_delay_alu instid0(VALU_DEP_3) | instskip(SKIP_1) | instid1(VALU_DEP_4)
	v_cmp_gt_i32_e64 s15, 0, v93
	v_not_b32_e32 v91, v93
	v_cmp_gt_i32_e64 s16, 0, v94
	v_not_b32_e32 v93, v94
	;; [unrolled: 2-line block ×3, first 2 shown]
	v_not_b32_e32 v95, v96
	s_delay_alu instid0(VALU_DEP_4) | instskip(NEXT) | instid1(VALU_DEP_2)
	v_dual_ashrrev_i32 v91, 31, v91 :: v_dual_ashrrev_i32 v93, 31, v93
	v_dual_ashrrev_i32 v94, 31, v94 :: v_dual_ashrrev_i32 v95, 31, v95
	v_dual_lshlrev_b32 v97, 26, v92 :: v_dual_lshlrev_b32 v199, 25, v92
	v_lshlrev_b32_e32 v200, 24, v92
	v_cmp_gt_i32_e64 s18, 0, v96
	v_xor_b32_e32 v91, s15, v91
	s_delay_alu instid0(VALU_DEP_4)
	v_not_b32_e32 v96, v97
	v_xor_b32_e32 v90, vcc_lo, v90
	v_cmp_gt_i32_e64 s19, 0, v97
	v_cmp_gt_i32_e64 s20, 0, v199
	v_not_b32_e32 v97, v199
	v_not_b32_e32 v199, v200
	v_dual_ashrrev_i32 v96, 31, v96 :: v_dual_bitop2_b32 v93, s16, v93 bitop3:0x14
	v_xor_b32_e32 v94, s17, v94
	v_bitop3_b32 v90, v90, v91, exec_lo bitop3:0x80
	v_cmp_gt_i32_e64 s21, 0, v200
	v_dual_ashrrev_i32 v91, 31, v97 :: v_dual_ashrrev_i32 v97, 31, v199
	v_xor_b32_e32 v95, s18, v95
	v_xor_b32_e32 v96, s19, v96
	v_bitop3_b32 v90, v90, v94, v93 bitop3:0x80
	v_mad_u32_u24 v93, v92, 36, v148
	v_xor_b32_e32 v91, s20, v91
	v_xor_b32_e32 v94, s21, v97
	s_delay_alu instid0(VALU_DEP_4) | instskip(SKIP_3) | instid1(VALU_DEP_2)
	v_bitop3_b32 v90, v90, v96, v95 bitop3:0x80
	ds_load_b32 v199, v93 offset:1056
	; wave barrier
	v_bitop3_b32 v90, v90, v94, v91 bitop3:0x80
	v_mul_u32_u24_e32 v91, 36, v92
	v_mbcnt_lo_u32_b32 v200, v90, 0
	v_cmp_ne_u32_e64 s15, 0, v90
	s_delay_alu instid0(VALU_DEP_3) | instskip(NEXT) | instid1(VALU_DEP_3)
	v_add_nc_u32_e32 v201, v148, v91
	v_cmp_eq_u32_e32 vcc_lo, 0, v200
	s_and_b32 s16, s15, vcc_lo
	s_delay_alu instid0(SALU_CYCLE_1)
	s_and_saveexec_b32 s15, s16
	s_cbranch_execz .LBB1113_446
; %bb.445:                              ;   in Loop: Header=BB1113_388 Depth=2
	s_wait_dscnt 0x0
	v_bcnt_u32_b32 v90, v90, v199
	ds_store_b32 v201, v90 offset:1056
.LBB1113_446:                           ;   in Loop: Header=BB1113_388 Depth=2
	s_or_b32 exec_lo, exec_lo, s15
	v_cmp_gt_i64_e32 vcc_lo, 0, v[76:77]
	; wave barrier
	v_cndmask_b32_e64 v91, 0x7fffffff, 0, vcc_lo
	s_delay_alu instid0(VALU_DEP_1) | instskip(NEXT) | instid1(VALU_DEP_1)
	v_dual_ashrrev_i32 v90, 31, v77 :: v_dual_bitop2_b32 v77, v91, v77 bitop3:0x14
	v_not_b32_e32 v90, v90
	s_delay_alu instid0(VALU_DEP_1) | instskip(NEXT) | instid1(VALU_DEP_1)
	v_xor_b32_e32 v76, v90, v76
	v_cmp_ne_u64_e32 vcc_lo, s[42:43], v[76:77]
	v_cndmask_b32_e32 v91, 0x7fffffff, v77, vcc_lo
	v_cndmask_b32_e32 v90, -1, v76, vcc_lo
	s_delay_alu instid0(VALU_DEP_1) | instskip(NEXT) | instid1(VALU_DEP_1)
	v_lshrrev_b64 v[90:91], s54, v[90:91]
	v_bitop3_b32 v91, v90, 1, s59 bitop3:0x80
	v_and_b32_e32 v92, s59, v90
	s_delay_alu instid0(VALU_DEP_2) | instskip(NEXT) | instid1(VALU_DEP_1)
	v_add_co_u32 v90, s15, v91, -1
	v_cndmask_b32_e64 v91, 0, 1, s15
	s_delay_alu instid0(VALU_DEP_3) | instskip(SKIP_1) | instid1(VALU_DEP_3)
	v_dual_lshlrev_b32 v93, 30, v92 :: v_dual_lshlrev_b32 v95, 28, v92
	v_dual_lshlrev_b32 v94, 29, v92 :: v_dual_lshlrev_b32 v96, 27, v92
	v_cmp_ne_u32_e32 vcc_lo, 0, v91
	s_delay_alu instid0(VALU_DEP_3) | instskip(SKIP_1) | instid1(VALU_DEP_4)
	v_cmp_gt_i32_e64 s15, 0, v93
	v_not_b32_e32 v91, v93
	v_cmp_gt_i32_e64 s16, 0, v94
	v_not_b32_e32 v93, v94
	;; [unrolled: 2-line block ×3, first 2 shown]
	v_not_b32_e32 v95, v96
	s_delay_alu instid0(VALU_DEP_4) | instskip(NEXT) | instid1(VALU_DEP_2)
	v_dual_ashrrev_i32 v91, 31, v91 :: v_dual_ashrrev_i32 v93, 31, v93
	v_dual_ashrrev_i32 v94, 31, v94 :: v_dual_ashrrev_i32 v95, 31, v95
	v_dual_lshlrev_b32 v97, 26, v92 :: v_dual_lshlrev_b32 v202, 25, v92
	v_lshlrev_b32_e32 v203, 24, v92
	v_cmp_gt_i32_e64 s18, 0, v96
	v_xor_b32_e32 v91, s15, v91
	s_delay_alu instid0(VALU_DEP_4)
	v_not_b32_e32 v96, v97
	v_xor_b32_e32 v90, vcc_lo, v90
	v_cmp_gt_i32_e64 s19, 0, v97
	v_cmp_gt_i32_e64 s20, 0, v202
	v_not_b32_e32 v97, v202
	v_not_b32_e32 v202, v203
	v_dual_ashrrev_i32 v96, 31, v96 :: v_dual_bitop2_b32 v93, s16, v93 bitop3:0x14
	v_xor_b32_e32 v94, s17, v94
	v_bitop3_b32 v90, v90, v91, exec_lo bitop3:0x80
	v_cmp_gt_i32_e64 s21, 0, v203
	v_dual_ashrrev_i32 v91, 31, v97 :: v_dual_ashrrev_i32 v97, 31, v202
	v_xor_b32_e32 v95, s18, v95
	v_xor_b32_e32 v96, s19, v96
	v_bitop3_b32 v90, v90, v94, v93 bitop3:0x80
	v_mad_u32_u24 v93, v92, 36, v148
	v_xor_b32_e32 v91, s20, v91
	v_xor_b32_e32 v94, s21, v97
	s_delay_alu instid0(VALU_DEP_4) | instskip(SKIP_3) | instid1(VALU_DEP_2)
	v_bitop3_b32 v90, v90, v96, v95 bitop3:0x80
	ds_load_b32 v202, v93 offset:1056
	; wave barrier
	v_bitop3_b32 v90, v90, v94, v91 bitop3:0x80
	v_mul_u32_u24_e32 v91, 36, v92
	v_mbcnt_lo_u32_b32 v203, v90, 0
	v_cmp_ne_u32_e64 s15, 0, v90
	s_delay_alu instid0(VALU_DEP_3) | instskip(NEXT) | instid1(VALU_DEP_3)
	v_add_nc_u32_e32 v204, v148, v91
	v_cmp_eq_u32_e32 vcc_lo, 0, v203
	s_and_b32 s16, s15, vcc_lo
	s_delay_alu instid0(SALU_CYCLE_1)
	s_and_saveexec_b32 s15, s16
	s_cbranch_execz .LBB1113_448
; %bb.447:                              ;   in Loop: Header=BB1113_388 Depth=2
	s_wait_dscnt 0x0
	v_bcnt_u32_b32 v90, v90, v202
	ds_store_b32 v204, v90 offset:1056
.LBB1113_448:                           ;   in Loop: Header=BB1113_388 Depth=2
	s_or_b32 exec_lo, exec_lo, s15
	v_cmp_gt_i64_e32 vcc_lo, 0, v[72:73]
	; wave barrier
	v_cndmask_b32_e64 v91, 0x7fffffff, 0, vcc_lo
	s_delay_alu instid0(VALU_DEP_1) | instskip(NEXT) | instid1(VALU_DEP_1)
	v_dual_ashrrev_i32 v90, 31, v73 :: v_dual_bitop2_b32 v73, v91, v73 bitop3:0x14
	v_not_b32_e32 v90, v90
	s_delay_alu instid0(VALU_DEP_1) | instskip(NEXT) | instid1(VALU_DEP_1)
	v_xor_b32_e32 v72, v90, v72
	v_cmp_ne_u64_e32 vcc_lo, s[42:43], v[72:73]
	v_cndmask_b32_e32 v91, 0x7fffffff, v73, vcc_lo
	v_cndmask_b32_e32 v90, -1, v72, vcc_lo
	s_delay_alu instid0(VALU_DEP_1) | instskip(NEXT) | instid1(VALU_DEP_1)
	v_lshrrev_b64 v[90:91], s54, v[90:91]
	v_bitop3_b32 v91, v90, 1, s59 bitop3:0x80
	v_and_b32_e32 v92, s59, v90
	s_delay_alu instid0(VALU_DEP_2) | instskip(NEXT) | instid1(VALU_DEP_1)
	v_add_co_u32 v90, s15, v91, -1
	v_cndmask_b32_e64 v91, 0, 1, s15
	s_delay_alu instid0(VALU_DEP_3) | instskip(SKIP_1) | instid1(VALU_DEP_3)
	v_dual_lshlrev_b32 v93, 30, v92 :: v_dual_lshlrev_b32 v95, 28, v92
	v_dual_lshlrev_b32 v94, 29, v92 :: v_dual_lshlrev_b32 v96, 27, v92
	v_cmp_ne_u32_e32 vcc_lo, 0, v91
	s_delay_alu instid0(VALU_DEP_3) | instskip(SKIP_1) | instid1(VALU_DEP_4)
	v_cmp_gt_i32_e64 s15, 0, v93
	v_not_b32_e32 v91, v93
	v_cmp_gt_i32_e64 s16, 0, v94
	v_not_b32_e32 v93, v94
	v_cmp_gt_i32_e64 s17, 0, v95
	v_not_b32_e32 v94, v95
	v_not_b32_e32 v95, v96
	s_delay_alu instid0(VALU_DEP_4) | instskip(NEXT) | instid1(VALU_DEP_2)
	v_dual_ashrrev_i32 v91, 31, v91 :: v_dual_ashrrev_i32 v93, 31, v93
	v_dual_ashrrev_i32 v94, 31, v94 :: v_dual_ashrrev_i32 v95, 31, v95
	v_dual_lshlrev_b32 v97, 26, v92 :: v_dual_lshlrev_b32 v205, 25, v92
	v_lshlrev_b32_e32 v206, 24, v92
	v_cmp_gt_i32_e64 s18, 0, v96
	v_xor_b32_e32 v91, s15, v91
	s_delay_alu instid0(VALU_DEP_4)
	v_not_b32_e32 v96, v97
	v_xor_b32_e32 v90, vcc_lo, v90
	v_cmp_gt_i32_e64 s19, 0, v97
	v_cmp_gt_i32_e64 s20, 0, v205
	v_not_b32_e32 v97, v205
	v_not_b32_e32 v205, v206
	v_dual_ashrrev_i32 v96, 31, v96 :: v_dual_bitop2_b32 v93, s16, v93 bitop3:0x14
	v_xor_b32_e32 v94, s17, v94
	v_bitop3_b32 v90, v90, v91, exec_lo bitop3:0x80
	v_cmp_gt_i32_e64 s21, 0, v206
	v_ashrrev_i32_e32 v91, 31, v97
	v_dual_ashrrev_i32 v97, 31, v205 :: v_dual_bitop2_b32 v95, s18, v95 bitop3:0x14
	v_xor_b32_e32 v96, s19, v96
	v_bitop3_b32 v90, v90, v94, v93 bitop3:0x80
	v_mad_u32_u24 v93, v92, 36, v148
	v_xor_b32_e32 v91, s20, v91
	v_xor_b32_e32 v94, s21, v97
	s_delay_alu instid0(VALU_DEP_4) | instskip(SKIP_3) | instid1(VALU_DEP_2)
	v_bitop3_b32 v90, v90, v96, v95 bitop3:0x80
	ds_load_b32 v205, v93 offset:1056
	; wave barrier
	v_bitop3_b32 v90, v90, v94, v91 bitop3:0x80
	v_mul_u32_u24_e32 v91, 36, v92
	v_mbcnt_lo_u32_b32 v206, v90, 0
	v_cmp_ne_u32_e64 s15, 0, v90
	s_delay_alu instid0(VALU_DEP_3) | instskip(NEXT) | instid1(VALU_DEP_3)
	v_add_nc_u32_e32 v207, v148, v91
	v_cmp_eq_u32_e32 vcc_lo, 0, v206
	s_and_b32 s16, s15, vcc_lo
	s_delay_alu instid0(SALU_CYCLE_1)
	s_and_saveexec_b32 s15, s16
	s_cbranch_execz .LBB1113_450
; %bb.449:                              ;   in Loop: Header=BB1113_388 Depth=2
	s_wait_dscnt 0x0
	v_bcnt_u32_b32 v90, v90, v205
	ds_store_b32 v207, v90 offset:1056
.LBB1113_450:                           ;   in Loop: Header=BB1113_388 Depth=2
	s_or_b32 exec_lo, exec_lo, s15
	v_cmp_gt_i64_e32 vcc_lo, 0, v[68:69]
	; wave barrier
	v_cndmask_b32_e64 v91, 0x7fffffff, 0, vcc_lo
	s_delay_alu instid0(VALU_DEP_1) | instskip(NEXT) | instid1(VALU_DEP_1)
	v_dual_ashrrev_i32 v90, 31, v69 :: v_dual_bitop2_b32 v69, v91, v69 bitop3:0x14
	v_not_b32_e32 v90, v90
	s_delay_alu instid0(VALU_DEP_1) | instskip(NEXT) | instid1(VALU_DEP_1)
	v_xor_b32_e32 v68, v90, v68
	v_cmp_ne_u64_e32 vcc_lo, s[42:43], v[68:69]
	v_cndmask_b32_e32 v91, 0x7fffffff, v69, vcc_lo
	v_cndmask_b32_e32 v90, -1, v68, vcc_lo
	s_delay_alu instid0(VALU_DEP_1) | instskip(NEXT) | instid1(VALU_DEP_1)
	v_lshrrev_b64 v[90:91], s54, v[90:91]
	v_bitop3_b32 v91, v90, 1, s59 bitop3:0x80
	v_and_b32_e32 v92, s59, v90
	s_delay_alu instid0(VALU_DEP_2) | instskip(NEXT) | instid1(VALU_DEP_1)
	v_add_co_u32 v90, s15, v91, -1
	v_cndmask_b32_e64 v91, 0, 1, s15
	s_delay_alu instid0(VALU_DEP_3) | instskip(SKIP_1) | instid1(VALU_DEP_3)
	v_dual_lshlrev_b32 v93, 30, v92 :: v_dual_lshlrev_b32 v95, 28, v92
	v_dual_lshlrev_b32 v94, 29, v92 :: v_dual_lshlrev_b32 v96, 27, v92
	v_cmp_ne_u32_e32 vcc_lo, 0, v91
	s_delay_alu instid0(VALU_DEP_3) | instskip(SKIP_1) | instid1(VALU_DEP_4)
	v_cmp_gt_i32_e64 s15, 0, v93
	v_not_b32_e32 v91, v93
	v_cmp_gt_i32_e64 s16, 0, v94
	v_not_b32_e32 v93, v94
	;; [unrolled: 2-line block ×3, first 2 shown]
	v_not_b32_e32 v95, v96
	s_delay_alu instid0(VALU_DEP_4) | instskip(NEXT) | instid1(VALU_DEP_2)
	v_dual_ashrrev_i32 v91, 31, v91 :: v_dual_ashrrev_i32 v93, 31, v93
	v_dual_ashrrev_i32 v94, 31, v94 :: v_dual_ashrrev_i32 v95, 31, v95
	v_dual_lshlrev_b32 v97, 26, v92 :: v_dual_lshlrev_b32 v208, 25, v92
	v_lshlrev_b32_e32 v209, 24, v92
	v_cmp_gt_i32_e64 s18, 0, v96
	v_xor_b32_e32 v91, s15, v91
	s_delay_alu instid0(VALU_DEP_4)
	v_not_b32_e32 v96, v97
	v_xor_b32_e32 v90, vcc_lo, v90
	v_cmp_gt_i32_e64 s19, 0, v97
	v_cmp_gt_i32_e64 s20, 0, v208
	v_not_b32_e32 v97, v208
	v_not_b32_e32 v208, v209
	v_dual_ashrrev_i32 v96, 31, v96 :: v_dual_bitop2_b32 v93, s16, v93 bitop3:0x14
	v_xor_b32_e32 v94, s17, v94
	v_bitop3_b32 v90, v90, v91, exec_lo bitop3:0x80
	v_cmp_gt_i32_e64 s21, 0, v209
	v_dual_ashrrev_i32 v91, 31, v97 :: v_dual_ashrrev_i32 v97, 31, v208
	v_xor_b32_e32 v95, s18, v95
	v_xor_b32_e32 v96, s19, v96
	v_bitop3_b32 v90, v90, v94, v93 bitop3:0x80
	v_mad_u32_u24 v93, v92, 36, v148
	v_xor_b32_e32 v91, s20, v91
	v_xor_b32_e32 v94, s21, v97
	s_delay_alu instid0(VALU_DEP_4) | instskip(SKIP_3) | instid1(VALU_DEP_2)
	v_bitop3_b32 v90, v90, v96, v95 bitop3:0x80
	ds_load_b32 v208, v93 offset:1056
	; wave barrier
	v_bitop3_b32 v90, v90, v94, v91 bitop3:0x80
	v_mul_u32_u24_e32 v91, 36, v92
	v_mbcnt_lo_u32_b32 v209, v90, 0
	v_cmp_ne_u32_e64 s15, 0, v90
	s_delay_alu instid0(VALU_DEP_3) | instskip(NEXT) | instid1(VALU_DEP_3)
	v_add_nc_u32_e32 v211, v148, v91
	v_cmp_eq_u32_e32 vcc_lo, 0, v209
	s_and_b32 s16, s15, vcc_lo
	s_delay_alu instid0(SALU_CYCLE_1)
	s_and_saveexec_b32 s15, s16
	s_cbranch_execz .LBB1113_452
; %bb.451:                              ;   in Loop: Header=BB1113_388 Depth=2
	s_wait_dscnt 0x0
	v_bcnt_u32_b32 v90, v90, v208
	ds_store_b32 v211, v90 offset:1056
.LBB1113_452:                           ;   in Loop: Header=BB1113_388 Depth=2
	s_or_b32 exec_lo, exec_lo, s15
	v_cmp_gt_i64_e32 vcc_lo, 0, v[64:65]
	; wave barrier
	v_cndmask_b32_e64 v91, 0x7fffffff, 0, vcc_lo
	s_delay_alu instid0(VALU_DEP_1) | instskip(NEXT) | instid1(VALU_DEP_1)
	v_dual_ashrrev_i32 v90, 31, v65 :: v_dual_bitop2_b32 v65, v91, v65 bitop3:0x14
	v_not_b32_e32 v90, v90
	s_delay_alu instid0(VALU_DEP_1) | instskip(NEXT) | instid1(VALU_DEP_1)
	v_xor_b32_e32 v64, v90, v64
	v_cmp_ne_u64_e32 vcc_lo, s[42:43], v[64:65]
	v_cndmask_b32_e32 v91, 0x7fffffff, v65, vcc_lo
	v_cndmask_b32_e32 v90, -1, v64, vcc_lo
	s_delay_alu instid0(VALU_DEP_1) | instskip(NEXT) | instid1(VALU_DEP_1)
	v_lshrrev_b64 v[90:91], s54, v[90:91]
	v_bitop3_b32 v91, v90, 1, s59 bitop3:0x80
	v_and_b32_e32 v92, s59, v90
	s_delay_alu instid0(VALU_DEP_2) | instskip(NEXT) | instid1(VALU_DEP_1)
	v_add_co_u32 v90, s15, v91, -1
	v_cndmask_b32_e64 v91, 0, 1, s15
	s_delay_alu instid0(VALU_DEP_3) | instskip(SKIP_1) | instid1(VALU_DEP_3)
	v_dual_lshlrev_b32 v93, 30, v92 :: v_dual_lshlrev_b32 v95, 28, v92
	v_dual_lshlrev_b32 v94, 29, v92 :: v_dual_lshlrev_b32 v96, 27, v92
	v_cmp_ne_u32_e32 vcc_lo, 0, v91
	s_delay_alu instid0(VALU_DEP_3) | instskip(SKIP_1) | instid1(VALU_DEP_4)
	v_cmp_gt_i32_e64 s15, 0, v93
	v_not_b32_e32 v91, v93
	v_cmp_gt_i32_e64 s16, 0, v94
	v_not_b32_e32 v93, v94
	;; [unrolled: 2-line block ×3, first 2 shown]
	v_not_b32_e32 v95, v96
	s_delay_alu instid0(VALU_DEP_4) | instskip(NEXT) | instid1(VALU_DEP_2)
	v_dual_ashrrev_i32 v91, 31, v91 :: v_dual_ashrrev_i32 v93, 31, v93
	v_dual_ashrrev_i32 v94, 31, v94 :: v_dual_ashrrev_i32 v95, 31, v95
	v_dual_lshlrev_b32 v97, 26, v92 :: v_dual_lshlrev_b32 v210, 25, v92
	v_lshlrev_b32_e32 v212, 24, v92
	v_cmp_gt_i32_e64 s18, 0, v96
	v_xor_b32_e32 v91, s15, v91
	s_delay_alu instid0(VALU_DEP_4)
	v_not_b32_e32 v96, v97
	v_xor_b32_e32 v90, vcc_lo, v90
	v_cmp_gt_i32_e64 s19, 0, v97
	v_cmp_gt_i32_e64 s20, 0, v210
	v_not_b32_e32 v97, v210
	v_not_b32_e32 v210, v212
	v_dual_ashrrev_i32 v96, 31, v96 :: v_dual_bitop2_b32 v93, s16, v93 bitop3:0x14
	v_xor_b32_e32 v94, s17, v94
	v_bitop3_b32 v90, v90, v91, exec_lo bitop3:0x80
	v_cmp_gt_i32_e64 s21, 0, v212
	v_dual_ashrrev_i32 v91, 31, v97 :: v_dual_ashrrev_i32 v97, 31, v210
	v_xor_b32_e32 v95, s18, v95
	v_xor_b32_e32 v96, s19, v96
	v_bitop3_b32 v90, v90, v94, v93 bitop3:0x80
	v_mad_u32_u24 v93, v92, 36, v148
	v_xor_b32_e32 v91, s20, v91
	v_xor_b32_e32 v94, s21, v97
	s_delay_alu instid0(VALU_DEP_4) | instskip(SKIP_3) | instid1(VALU_DEP_2)
	v_bitop3_b32 v90, v90, v96, v95 bitop3:0x80
	ds_load_b32 v210, v93 offset:1056
	; wave barrier
	v_bitop3_b32 v90, v90, v94, v91 bitop3:0x80
	v_mul_u32_u24_e32 v91, 36, v92
	v_mbcnt_lo_u32_b32 v212, v90, 0
	v_cmp_ne_u32_e64 s15, 0, v90
	s_delay_alu instid0(VALU_DEP_3) | instskip(NEXT) | instid1(VALU_DEP_3)
	v_add_nc_u32_e32 v215, v148, v91
	v_cmp_eq_u32_e32 vcc_lo, 0, v212
	s_and_b32 s16, s15, vcc_lo
	s_delay_alu instid0(SALU_CYCLE_1)
	s_and_saveexec_b32 s15, s16
	s_cbranch_execz .LBB1113_454
; %bb.453:                              ;   in Loop: Header=BB1113_388 Depth=2
	s_wait_dscnt 0x0
	v_bcnt_u32_b32 v90, v90, v210
	ds_store_b32 v215, v90 offset:1056
.LBB1113_454:                           ;   in Loop: Header=BB1113_388 Depth=2
	s_or_b32 exec_lo, exec_lo, s15
	v_cmp_gt_i64_e32 vcc_lo, 0, v[66:67]
	; wave barrier
	v_cndmask_b32_e64 v91, 0x7fffffff, 0, vcc_lo
	s_delay_alu instid0(VALU_DEP_1) | instskip(NEXT) | instid1(VALU_DEP_1)
	v_dual_ashrrev_i32 v90, 31, v67 :: v_dual_bitop2_b32 v67, v91, v67 bitop3:0x14
	v_not_b32_e32 v90, v90
	s_delay_alu instid0(VALU_DEP_1) | instskip(NEXT) | instid1(VALU_DEP_1)
	v_xor_b32_e32 v66, v90, v66
	v_cmp_ne_u64_e32 vcc_lo, s[42:43], v[66:67]
	v_cndmask_b32_e32 v91, 0x7fffffff, v67, vcc_lo
	v_cndmask_b32_e32 v90, -1, v66, vcc_lo
	s_delay_alu instid0(VALU_DEP_1) | instskip(NEXT) | instid1(VALU_DEP_1)
	v_lshrrev_b64 v[90:91], s54, v[90:91]
	v_bitop3_b32 v91, v90, 1, s59 bitop3:0x80
	v_and_b32_e32 v92, s59, v90
	s_delay_alu instid0(VALU_DEP_2) | instskip(NEXT) | instid1(VALU_DEP_1)
	v_add_co_u32 v90, s15, v91, -1
	v_cndmask_b32_e64 v91, 0, 1, s15
	s_delay_alu instid0(VALU_DEP_3) | instskip(NEXT) | instid1(VALU_DEP_2)
	v_lshlrev_b32_e32 v93, 30, v92
	v_cmp_ne_u32_e32 vcc_lo, 0, v91
	s_delay_alu instid0(VALU_DEP_2) | instskip(SKIP_1) | instid1(VALU_DEP_2)
	v_not_b32_e32 v91, v93
	v_cmp_gt_i32_e64 s15, 0, v93
	v_dual_ashrrev_i32 v91, 31, v91 :: v_dual_lshlrev_b32 v94, 29, v92
	v_dual_lshlrev_b32 v95, 28, v92 :: v_dual_lshlrev_b32 v96, 27, v92
	v_dual_lshlrev_b32 v97, 26, v92 :: v_dual_lshlrev_b32 v213, 25, v92
	v_lshlrev_b32_e32 v214, 24, v92
	s_delay_alu instid0(VALU_DEP_4)
	v_cmp_gt_i32_e64 s16, 0, v94
	v_not_b32_e32 v93, v94
	v_not_b32_e32 v94, v95
	v_cmp_gt_i32_e64 s17, 0, v95
	v_cmp_gt_i32_e64 s18, 0, v96
	v_not_b32_e32 v95, v96
	v_not_b32_e32 v96, v97
	v_dual_ashrrev_i32 v93, 31, v93 :: v_dual_bitop2_b32 v90, vcc_lo, v90 bitop3:0x14
	v_dual_ashrrev_i32 v94, 31, v94 :: v_dual_bitop2_b32 v91, s15, v91 bitop3:0x14
	v_cmp_gt_i32_e64 s19, 0, v97
	v_cmp_gt_i32_e64 s20, 0, v213
	v_not_b32_e32 v97, v213
	v_not_b32_e32 v213, v214
	v_dual_ashrrev_i32 v95, 31, v95 :: v_dual_ashrrev_i32 v96, 31, v96
	v_xor_b32_e32 v93, s16, v93
	v_xor_b32_e32 v94, s17, v94
	v_bitop3_b32 v90, v90, v91, exec_lo bitop3:0x80
	v_cmp_gt_i32_e64 s21, 0, v214
	v_ashrrev_i32_e32 v91, 31, v97
	v_dual_ashrrev_i32 v97, 31, v213 :: v_dual_bitop2_b32 v95, s18, v95 bitop3:0x14
	v_xor_b32_e32 v96, s19, v96
	v_bitop3_b32 v90, v90, v94, v93 bitop3:0x80
	v_mad_u32_u24 v93, v92, 36, v148
	v_xor_b32_e32 v91, s20, v91
	v_xor_b32_e32 v94, s21, v97
	s_delay_alu instid0(VALU_DEP_4) | instskip(SKIP_3) | instid1(VALU_DEP_2)
	v_bitop3_b32 v90, v90, v96, v95 bitop3:0x80
	ds_load_b32 v213, v93 offset:1056
	; wave barrier
	v_bitop3_b32 v90, v90, v94, v91 bitop3:0x80
	v_mul_u32_u24_e32 v91, 36, v92
	v_mbcnt_lo_u32_b32 v214, v90, 0
	v_cmp_ne_u32_e64 s15, 0, v90
	s_delay_alu instid0(VALU_DEP_3) | instskip(NEXT) | instid1(VALU_DEP_3)
	v_add_nc_u32_e32 v216, v148, v91
	v_cmp_eq_u32_e32 vcc_lo, 0, v214
	s_and_b32 s16, s15, vcc_lo
	s_delay_alu instid0(SALU_CYCLE_1)
	s_and_saveexec_b32 s15, s16
	s_cbranch_execz .LBB1113_456
; %bb.455:                              ;   in Loop: Header=BB1113_388 Depth=2
	s_wait_dscnt 0x0
	v_bcnt_u32_b32 v90, v90, v213
	ds_store_b32 v216, v90 offset:1056
.LBB1113_456:                           ;   in Loop: Header=BB1113_388 Depth=2
	s_or_b32 exec_lo, exec_lo, s15
	; wave barrier
	s_wait_dscnt 0x0
	s_barrier_signal -1
	s_barrier_wait -1
	ds_load_2addr_b32 v[96:97], v168 offset1:1
	ds_load_2addr_b32 v[94:95], v169 offset1:1
	;; [unrolled: 1-line block ×4, first 2 shown]
	ds_load_b32 v217, v120 offset:1088
	s_wait_dscnt 0x3
	v_add3_u32 v218, v97, v96, v94
	s_wait_dscnt 0x2
	s_delay_alu instid0(VALU_DEP_1) | instskip(SKIP_1) | instid1(VALU_DEP_1)
	v_add3_u32 v218, v218, v95, v92
	s_wait_dscnt 0x1
	v_add3_u32 v218, v218, v93, v90
	s_wait_dscnt 0x0
	s_delay_alu instid0(VALU_DEP_1) | instskip(NEXT) | instid1(VALU_DEP_1)
	v_add3_u32 v217, v218, v91, v217
	v_mov_b32_dpp v218, v217 row_shr:1 row_mask:0xf bank_mask:0xf
	s_delay_alu instid0(VALU_DEP_1) | instskip(NEXT) | instid1(VALU_DEP_1)
	v_cndmask_b32_e64 v218, v218, 0, s7
	v_add_nc_u32_e32 v217, v218, v217
	s_delay_alu instid0(VALU_DEP_1) | instskip(NEXT) | instid1(VALU_DEP_1)
	v_mov_b32_dpp v218, v217 row_shr:2 row_mask:0xf bank_mask:0xf
	v_cndmask_b32_e64 v218, 0, v218, s8
	s_delay_alu instid0(VALU_DEP_1) | instskip(NEXT) | instid1(VALU_DEP_1)
	v_add_nc_u32_e32 v217, v217, v218
	v_mov_b32_dpp v218, v217 row_shr:4 row_mask:0xf bank_mask:0xf
	s_delay_alu instid0(VALU_DEP_1) | instskip(NEXT) | instid1(VALU_DEP_1)
	v_cndmask_b32_e64 v218, 0, v218, s9
	v_add_nc_u32_e32 v217, v217, v218
	s_delay_alu instid0(VALU_DEP_1) | instskip(NEXT) | instid1(VALU_DEP_1)
	v_mov_b32_dpp v218, v217 row_shr:8 row_mask:0xf bank_mask:0xf
	v_cndmask_b32_e64 v218, 0, v218, s10
	s_delay_alu instid0(VALU_DEP_1) | instskip(SKIP_3) | instid1(VALU_DEP_1)
	v_add_nc_u32_e32 v217, v217, v218
	ds_swizzle_b32 v218, v217 offset:swizzle(BROADCAST,32,15)
	s_wait_dscnt 0x0
	v_cndmask_b32_e64 v218, v218, 0, s11
	v_add_nc_u32_e32 v217, v217, v218
	s_and_saveexec_b32 s15, s1
; %bb.457:                              ;   in Loop: Header=BB1113_388 Depth=2
	ds_store_b32 v114, v217 offset:1024
; %bb.458:                              ;   in Loop: Header=BB1113_388 Depth=2
	s_or_b32 exec_lo, exec_lo, s15
	s_wait_dscnt 0x0
	s_barrier_signal -1
	s_barrier_wait -1
	s_and_saveexec_b32 s15, s4
	s_cbranch_execz .LBB1113_460
; %bb.459:                              ;   in Loop: Header=BB1113_388 Depth=2
	ds_load_b32 v218, v122 offset:1024
	s_wait_dscnt 0x0
	v_mov_b32_dpp v219, v218 row_shr:1 row_mask:0xf bank_mask:0xf
	s_delay_alu instid0(VALU_DEP_1) | instskip(NEXT) | instid1(VALU_DEP_1)
	v_cndmask_b32_e64 v219, v219, 0, s12
	v_add_nc_u32_e32 v218, v219, v218
	s_delay_alu instid0(VALU_DEP_1) | instskip(NEXT) | instid1(VALU_DEP_1)
	v_mov_b32_dpp v219, v218 row_shr:2 row_mask:0xf bank_mask:0xf
	v_cndmask_b32_e64 v219, 0, v219, s13
	s_delay_alu instid0(VALU_DEP_1) | instskip(NEXT) | instid1(VALU_DEP_1)
	v_add_nc_u32_e32 v218, v218, v219
	v_mov_b32_dpp v219, v218 row_shr:4 row_mask:0xf bank_mask:0xf
	s_delay_alu instid0(VALU_DEP_1) | instskip(NEXT) | instid1(VALU_DEP_1)
	v_cndmask_b32_e64 v219, 0, v219, s14
	v_add_nc_u32_e32 v218, v218, v219
	ds_store_b32 v122, v218 offset:1024
.LBB1113_460:                           ;   in Loop: Header=BB1113_388 Depth=2
	s_or_b32 exec_lo, exec_lo, s15
	v_mov_b32_e32 v218, 0
	s_wait_dscnt 0x0
	s_barrier_signal -1
	s_barrier_wait -1
	s_and_saveexec_b32 s15, s5
; %bb.461:                              ;   in Loop: Header=BB1113_388 Depth=2
	ds_load_b32 v218, v114 offset:1020
; %bb.462:                              ;   in Loop: Header=BB1113_388 Depth=2
	s_or_b32 exec_lo, exec_lo, s15
	s_wait_dscnt 0x0
	v_add_nc_u32_e32 v217, v218, v217
	ds_bpermute_b32 v217, v147, v217
	s_wait_dscnt 0x0
	v_cndmask_b32_e64 v217, v217, v218, s6
	s_delay_alu instid0(VALU_DEP_1) | instskip(NEXT) | instid1(VALU_DEP_1)
	v_cndmask_b32_e64 v217, v217, 0, s2
	v_add_nc_u32_e32 v96, v217, v96
	s_delay_alu instid0(VALU_DEP_1) | instskip(NEXT) | instid1(VALU_DEP_1)
	v_add_nc_u32_e32 v97, v96, v97
	v_add_nc_u32_e32 v94, v97, v94
	s_delay_alu instid0(VALU_DEP_1) | instskip(NEXT) | instid1(VALU_DEP_1)
	v_add_nc_u32_e32 v95, v94, v95
	;; [unrolled: 3-line block ×3, first 2 shown]
	v_add_nc_u32_e32 v90, v93, v90
	s_delay_alu instid0(VALU_DEP_1)
	v_add_nc_u32_e32 v91, v90, v91
	ds_store_2addr_b32 v167, v93, v90 offset1:1
	ds_store_2addr_b32 v168, v217, v96 offset1:1
	;; [unrolled: 1-line block ×4, first 2 shown]
	ds_store_b32 v120, v91 offset:1088
	s_wait_dscnt 0x0
	s_barrier_signal -1
	s_barrier_wait -1
	ds_load_b32 v91, v171 offset:1056
	ds_load_b32 v96, v174 offset:1056
	;; [unrolled: 1-line block ×17, first 2 shown]
	v_mov_b32_e32 v90, 0x1000
	s_and_saveexec_b32 s15, s3
; %bb.463:                              ;   in Loop: Header=BB1113_388 Depth=2
	ds_load_b32 v90, v120 offset:1092
; %bb.464:                              ;   in Loop: Header=BB1113_388 Depth=2
	s_or_b32 exec_lo, exec_lo, s15
	s_wait_dscnt 0x0
	s_barrier_signal -1
	s_barrier_wait -1
	s_and_saveexec_b32 s15, s0
	s_cbranch_execz .LBB1113_466
; %bb.465:                              ;   in Loop: Header=BB1113_388 Depth=2
	ds_load_b32 v189, v3
	s_wait_dscnt 0x0
	v_sub_nc_u32_e32 v186, v189, v186
	ds_store_b32 v3, v186
.LBB1113_466:                           ;   in Loop: Header=BB1113_388 Depth=2
	s_or_b32 exec_lo, exec_lo, s15
	v_dual_lshlrev_b32 v166, 3, v166 :: v_dual_lshlrev_b32 v173, 3, v173
	v_lshlrev_b32_e32 v172, 3, v172
	v_dual_lshlrev_b32 v96, 3, v96 :: v_dual_lshlrev_b32 v95, 3, v95
	s_delay_alu instid0(VALU_DEP_3)
	v_lshl_add_u32 v91, v91, 3, v166
	v_dual_lshlrev_b32 v176, 3, v176 :: v_dual_lshlrev_b32 v166, 3, v175
	v_dual_lshlrev_b32 v175, 3, v179 :: v_dual_lshlrev_b32 v178, 3, v178
	v_lshlrev_b32_e32 v179, 3, v181
	ds_store_b64 v91, v[58:59] offset:1024
	v_dual_lshlrev_b32 v58, 3, v94 :: v_dual_lshlrev_b32 v181, 3, v93
	v_dual_lshlrev_b32 v59, 3, v182 :: v_dual_lshlrev_b32 v182, 3, v185
	v_lshlrev_b32_e32 v184, 3, v184
	v_lshlrev_b32_e32 v185, 3, v92
	v_add3_u32 v92, v173, v172, v96
	v_add3_u32 v93, v176, v166, v95
	;; [unrolled: 1-line block ×4, first 2 shown]
	v_lshlrev_b32_e32 v59, 3, v187
	v_add3_u32 v96, v182, v184, v185
	ds_store_b64 v92, v[60:61] offset:1024
	ds_store_b64 v93, v[62:63] offset:1024
	;; [unrolled: 1-line block ×5, first 2 shown]
	v_dual_lshlrev_b32 v58, 3, v188 :: v_dual_lshlrev_b32 v61, 3, v191
	v_dual_lshlrev_b32 v60, 3, v183 :: v_dual_lshlrev_b32 v62, 3, v190
	;; [unrolled: 1-line block ×3, first 2 shown]
	v_lshlrev_b32_e32 v71, 3, v193
	v_dual_lshlrev_b32 v74, 3, v177 :: v_dual_lshlrev_b32 v78, 3, v196
	v_dual_lshlrev_b32 v75, 3, v197 :: v_dual_lshlrev_b32 v79, 3, v174
	;; [unrolled: 1-line block ×3, first 2 shown]
	v_lshlrev_b32_e32 v171, 3, v171
	v_add3_u32 v60, v58, v59, v60
	v_add3_u32 v61, v61, v62, v63
	;; [unrolled: 1-line block ×4, first 2 shown]
	v_lshlrev_b32_e32 v59, 3, v202
	v_add3_u32 v70, v166, v172, v171
	ds_store_b64 v60, v[82:83] offset:1024
	ds_store_b64 v61, v[86:87] offset:1024
	;; [unrolled: 1-line block ×5, first 2 shown]
	v_dual_lshlrev_b32 v58, 3, v203 :: v_dual_lshlrev_b32 v71, 3, v170
	v_dual_lshlrev_b32 v74, 3, v206 :: v_dual_lshlrev_b32 v75, 3, v205
	;; [unrolled: 1-line block ×6, first 2 shown]
	v_lshlrev_b32_e32 v86, 3, v213
	v_lshlrev_b32_e32 v87, 3, v97
	v_add3_u32 v71, v58, v59, v71
	v_add3_u32 v74, v74, v75, v78
	;; [unrolled: 1-line block ×5, first 2 shown]
	v_cmp_lt_u32_e32 vcc_lo, v2, v165
	ds_store_b64 v71, v[76:77] offset:1024
	ds_store_b64 v74, v[72:73] offset:1024
	;; [unrolled: 1-line block ×5, first 2 shown]
	s_wait_dscnt 0x0
	s_barrier_signal -1
	s_barrier_wait -1
	s_and_saveexec_b32 s16, vcc_lo
	s_cbranch_execnz .LBB1113_535
; %bb.467:                              ;   in Loop: Header=BB1113_388 Depth=2
	s_or_b32 exec_lo, exec_lo, s16
	v_cmp_lt_u32_e64 s15, v98, v165
	s_and_saveexec_b32 s17, s15
	s_cbranch_execnz .LBB1113_536
.LBB1113_468:                           ;   in Loop: Header=BB1113_388 Depth=2
	s_or_b32 exec_lo, exec_lo, s17
	v_cmp_lt_u32_e64 s16, v99, v165
	s_and_saveexec_b32 s18, s16
	s_cbranch_execnz .LBB1113_537
.LBB1113_469:                           ;   in Loop: Header=BB1113_388 Depth=2
	s_or_b32 exec_lo, exec_lo, s18
	v_cmp_lt_u32_e64 s17, v100, v165
	s_and_saveexec_b32 s19, s17
	s_cbranch_execnz .LBB1113_538
.LBB1113_470:                           ;   in Loop: Header=BB1113_388 Depth=2
	s_or_b32 exec_lo, exec_lo, s19
	v_cmp_lt_u32_e64 s18, v101, v165
	s_and_saveexec_b32 s20, s18
	s_cbranch_execnz .LBB1113_539
.LBB1113_471:                           ;   in Loop: Header=BB1113_388 Depth=2
	s_or_b32 exec_lo, exec_lo, s20
	v_cmp_lt_u32_e64 s19, v102, v165
	s_and_saveexec_b32 s21, s19
	s_cbranch_execnz .LBB1113_540
.LBB1113_472:                           ;   in Loop: Header=BB1113_388 Depth=2
	s_or_b32 exec_lo, exec_lo, s21
	v_cmp_lt_u32_e64 s20, v103, v165
	s_and_saveexec_b32 s22, s20
	s_cbranch_execnz .LBB1113_541
.LBB1113_473:                           ;   in Loop: Header=BB1113_388 Depth=2
	s_or_b32 exec_lo, exec_lo, s22
	v_cmp_lt_u32_e64 s21, v104, v165
	s_and_saveexec_b32 s23, s21
	s_cbranch_execnz .LBB1113_542
.LBB1113_474:                           ;   in Loop: Header=BB1113_388 Depth=2
	s_or_b32 exec_lo, exec_lo, s23
	v_cmp_lt_u32_e64 s22, v105, v165
	s_and_saveexec_b32 s24, s22
	s_cbranch_execnz .LBB1113_543
.LBB1113_475:                           ;   in Loop: Header=BB1113_388 Depth=2
	s_or_b32 exec_lo, exec_lo, s24
	v_cmp_lt_u32_e64 s23, v106, v165
	s_and_saveexec_b32 s25, s23
	s_cbranch_execnz .LBB1113_544
.LBB1113_476:                           ;   in Loop: Header=BB1113_388 Depth=2
	s_or_b32 exec_lo, exec_lo, s25
	v_cmp_lt_u32_e64 s24, v107, v165
	s_and_saveexec_b32 s26, s24
	s_cbranch_execnz .LBB1113_545
.LBB1113_477:                           ;   in Loop: Header=BB1113_388 Depth=2
	s_or_b32 exec_lo, exec_lo, s26
	v_cmp_lt_u32_e64 s25, v108, v165
	s_and_saveexec_b32 s27, s25
	s_cbranch_execnz .LBB1113_546
.LBB1113_478:                           ;   in Loop: Header=BB1113_388 Depth=2
	s_or_b32 exec_lo, exec_lo, s27
	v_cmp_lt_u32_e64 s26, v109, v165
	s_and_saveexec_b32 s28, s26
	s_cbranch_execnz .LBB1113_547
.LBB1113_479:                           ;   in Loop: Header=BB1113_388 Depth=2
	s_or_b32 exec_lo, exec_lo, s28
	v_cmp_lt_u32_e64 s27, v110, v165
	s_and_saveexec_b32 s29, s27
	s_cbranch_execnz .LBB1113_548
.LBB1113_480:                           ;   in Loop: Header=BB1113_388 Depth=2
	s_or_b32 exec_lo, exec_lo, s29
	v_cmp_lt_u32_e64 s28, v111, v165
	s_and_saveexec_b32 s30, s28
	s_cbranch_execnz .LBB1113_549
.LBB1113_481:                           ;   in Loop: Header=BB1113_388 Depth=2
	s_or_b32 exec_lo, exec_lo, s30
	v_cmp_lt_u32_e64 s29, v112, v165
	s_and_saveexec_b32 s62, s29
	s_cbranch_execz .LBB1113_483
.LBB1113_482:                           ;   in Loop: Header=BB1113_388 Depth=2
	ds_load_b64 v[58:59], v123 offset:31744
	s_wait_dscnt 0x0
	v_cmp_ne_u64_e64 s30, s[42:43], v[58:59]
	s_delay_alu instid0(VALU_DEP_1) | instskip(SKIP_2) | instid1(VALU_DEP_2)
	v_cndmask_b32_e64 v65, 0x7fffffff, v59, s30
	v_cndmask_b32_e64 v64, -1, v58, s30
	v_cmp_gt_i64_e64 s30, 0, v[58:59]
	v_lshrrev_b64 v[64:65], s54, v[64:65]
	v_ashrrev_i32_e32 v65, 31, v59
	s_delay_alu instid0(VALU_DEP_3) | instskip(NEXT) | instid1(VALU_DEP_2)
	v_cndmask_b32_e64 v66, 0x7fffffff, 0, s30
	v_not_b32_e32 v65, v65
	s_delay_alu instid0(VALU_DEP_4) | instskip(NEXT) | instid1(VALU_DEP_1)
	v_and_b32_e32 v64, s59, v64
	v_dual_lshlrev_b32 v64, 2, v64 :: v_dual_bitop2_b32 v59, v66, v59 bitop3:0x14
	ds_load_b32 v64, v64
	s_wait_dscnt 0x0
	v_dual_add_nc_u32 v64, v64, v112 :: v_dual_bitop2_b32 v58, v65, v58 bitop3:0x14
	global_store_b64 v64, v[58:59], s[40:41] scale_offset
.LBB1113_483:                           ;   in Loop: Header=BB1113_388 Depth=2
	s_wait_xcnt 0x0
	s_or_b32 exec_lo, exec_lo, s62
	v_lshl_add_u64 v[58:59], s[34:35], 3, v[22:23]
	v_cmp_lt_u32_e64 s30, v129, v165
	s_and_saveexec_b32 s34, s30
	s_delay_alu instid0(SALU_CYCLE_1)
	s_xor_b32 s30, exec_lo, s34
	s_cbranch_execnz .LBB1113_550
; %bb.484:                              ;   in Loop: Header=BB1113_388 Depth=2
	s_or_b32 exec_lo, exec_lo, s30
	s_delay_alu instid0(SALU_CYCLE_1)
	s_mov_b32 s34, exec_lo
	v_cmpx_lt_u32_e64 v132, v165
	s_cbranch_execnz .LBB1113_551
.LBB1113_485:                           ;   in Loop: Header=BB1113_388 Depth=2
	s_or_b32 exec_lo, exec_lo, s34
	s_delay_alu instid0(SALU_CYCLE_1)
	s_mov_b32 s34, exec_lo
	v_cmpx_lt_u32_e64 v133, v165
	s_cbranch_execnz .LBB1113_552
.LBB1113_486:                           ;   in Loop: Header=BB1113_388 Depth=2
	s_or_b32 exec_lo, exec_lo, s34
	s_delay_alu instid0(SALU_CYCLE_1)
	s_mov_b32 s34, exec_lo
	v_cmpx_lt_u32_e64 v134, v165
	s_cbranch_execnz .LBB1113_553
.LBB1113_487:                           ;   in Loop: Header=BB1113_388 Depth=2
	s_or_b32 exec_lo, exec_lo, s34
	s_delay_alu instid0(SALU_CYCLE_1)
	s_mov_b32 s34, exec_lo
	v_cmpx_lt_u32_e64 v135, v165
	s_cbranch_execnz .LBB1113_554
.LBB1113_488:                           ;   in Loop: Header=BB1113_388 Depth=2
	s_or_b32 exec_lo, exec_lo, s34
	s_delay_alu instid0(SALU_CYCLE_1)
	s_mov_b32 s34, exec_lo
	v_cmpx_lt_u32_e64 v136, v165
	s_cbranch_execnz .LBB1113_555
.LBB1113_489:                           ;   in Loop: Header=BB1113_388 Depth=2
	s_or_b32 exec_lo, exec_lo, s34
	s_delay_alu instid0(SALU_CYCLE_1)
	s_mov_b32 s34, exec_lo
	v_cmpx_lt_u32_e64 v137, v165
	s_cbranch_execnz .LBB1113_556
.LBB1113_490:                           ;   in Loop: Header=BB1113_388 Depth=2
	s_or_b32 exec_lo, exec_lo, s34
	s_delay_alu instid0(SALU_CYCLE_1)
	s_mov_b32 s34, exec_lo
	v_cmpx_lt_u32_e64 v138, v165
	s_cbranch_execnz .LBB1113_557
.LBB1113_491:                           ;   in Loop: Header=BB1113_388 Depth=2
	s_or_b32 exec_lo, exec_lo, s34
	s_delay_alu instid0(SALU_CYCLE_1)
	s_mov_b32 s34, exec_lo
	v_cmpx_lt_u32_e64 v139, v165
	s_cbranch_execnz .LBB1113_558
.LBB1113_492:                           ;   in Loop: Header=BB1113_388 Depth=2
	s_or_b32 exec_lo, exec_lo, s34
	s_delay_alu instid0(SALU_CYCLE_1)
	s_mov_b32 s34, exec_lo
	v_cmpx_lt_u32_e64 v140, v165
	s_cbranch_execnz .LBB1113_559
.LBB1113_493:                           ;   in Loop: Header=BB1113_388 Depth=2
	s_or_b32 exec_lo, exec_lo, s34
	s_delay_alu instid0(SALU_CYCLE_1)
	s_mov_b32 s34, exec_lo
	v_cmpx_lt_u32_e64 v141, v165
	s_cbranch_execnz .LBB1113_560
.LBB1113_494:                           ;   in Loop: Header=BB1113_388 Depth=2
	s_or_b32 exec_lo, exec_lo, s34
	s_delay_alu instid0(SALU_CYCLE_1)
	s_mov_b32 s34, exec_lo
	v_cmpx_lt_u32_e64 v142, v165
	s_cbranch_execnz .LBB1113_561
.LBB1113_495:                           ;   in Loop: Header=BB1113_388 Depth=2
	s_or_b32 exec_lo, exec_lo, s34
	s_delay_alu instid0(SALU_CYCLE_1)
	s_mov_b32 s34, exec_lo
	v_cmpx_lt_u32_e64 v143, v165
	s_cbranch_execnz .LBB1113_562
.LBB1113_496:                           ;   in Loop: Header=BB1113_388 Depth=2
	s_or_b32 exec_lo, exec_lo, s34
	s_delay_alu instid0(SALU_CYCLE_1)
	s_mov_b32 s34, exec_lo
	v_cmpx_lt_u32_e64 v144, v165
	s_cbranch_execnz .LBB1113_563
.LBB1113_497:                           ;   in Loop: Header=BB1113_388 Depth=2
	s_or_b32 exec_lo, exec_lo, s34
	s_delay_alu instid0(SALU_CYCLE_1)
	s_mov_b32 s34, exec_lo
	v_cmpx_lt_u32_e64 v145, v165
	s_cbranch_execnz .LBB1113_564
.LBB1113_498:                           ;   in Loop: Header=BB1113_388 Depth=2
	s_or_b32 exec_lo, exec_lo, s34
	s_delay_alu instid0(SALU_CYCLE_1)
	s_mov_b32 s34, exec_lo
	v_cmpx_lt_u32_e64 v146, v165
	s_cbranch_execnz .LBB1113_565
.LBB1113_499:                           ;   in Loop: Header=BB1113_388 Depth=2
	s_or_b32 exec_lo, exec_lo, s34
	s_and_saveexec_b32 s34, vcc_lo
	s_cbranch_execnz .LBB1113_566
.LBB1113_500:                           ;   in Loop: Header=BB1113_388 Depth=2
	s_or_b32 exec_lo, exec_lo, s34
	s_and_saveexec_b32 s34, s15
	s_cbranch_execnz .LBB1113_567
.LBB1113_501:                           ;   in Loop: Header=BB1113_388 Depth=2
	s_or_b32 exec_lo, exec_lo, s34
	s_and_saveexec_b32 s34, s16
	s_cbranch_execnz .LBB1113_568
.LBB1113_502:                           ;   in Loop: Header=BB1113_388 Depth=2
	s_or_b32 exec_lo, exec_lo, s34
	s_and_saveexec_b32 s34, s17
	s_cbranch_execnz .LBB1113_569
.LBB1113_503:                           ;   in Loop: Header=BB1113_388 Depth=2
	s_or_b32 exec_lo, exec_lo, s34
	s_and_saveexec_b32 s34, s18
	s_cbranch_execnz .LBB1113_570
.LBB1113_504:                           ;   in Loop: Header=BB1113_388 Depth=2
	s_or_b32 exec_lo, exec_lo, s34
	s_and_saveexec_b32 s34, s19
	s_cbranch_execnz .LBB1113_571
.LBB1113_505:                           ;   in Loop: Header=BB1113_388 Depth=2
	s_or_b32 exec_lo, exec_lo, s34
	s_and_saveexec_b32 s34, s20
	s_cbranch_execnz .LBB1113_572
.LBB1113_506:                           ;   in Loop: Header=BB1113_388 Depth=2
	s_or_b32 exec_lo, exec_lo, s34
	s_and_saveexec_b32 s34, s21
	s_cbranch_execnz .LBB1113_573
.LBB1113_507:                           ;   in Loop: Header=BB1113_388 Depth=2
	s_or_b32 exec_lo, exec_lo, s34
	s_and_saveexec_b32 s34, s22
	s_cbranch_execnz .LBB1113_574
.LBB1113_508:                           ;   in Loop: Header=BB1113_388 Depth=2
	s_or_b32 exec_lo, exec_lo, s34
	s_and_saveexec_b32 s34, s23
	s_cbranch_execnz .LBB1113_575
.LBB1113_509:                           ;   in Loop: Header=BB1113_388 Depth=2
	s_or_b32 exec_lo, exec_lo, s34
	s_and_saveexec_b32 s34, s24
	s_cbranch_execnz .LBB1113_576
.LBB1113_510:                           ;   in Loop: Header=BB1113_388 Depth=2
	s_or_b32 exec_lo, exec_lo, s34
	s_and_saveexec_b32 s34, s25
	s_cbranch_execnz .LBB1113_577
.LBB1113_511:                           ;   in Loop: Header=BB1113_388 Depth=2
	s_or_b32 exec_lo, exec_lo, s34
	s_and_saveexec_b32 s34, s26
	s_cbranch_execnz .LBB1113_578
.LBB1113_512:                           ;   in Loop: Header=BB1113_388 Depth=2
	s_or_b32 exec_lo, exec_lo, s34
	s_and_saveexec_b32 s34, s27
	s_cbranch_execnz .LBB1113_579
.LBB1113_513:                           ;   in Loop: Header=BB1113_388 Depth=2
	s_or_b32 exec_lo, exec_lo, s34
	s_and_saveexec_b32 s34, s28
	s_cbranch_execnz .LBB1113_580
.LBB1113_514:                           ;   in Loop: Header=BB1113_388 Depth=2
	s_or_b32 exec_lo, exec_lo, s34
	s_and_saveexec_b32 s34, s29
	s_cbranch_execz .LBB1113_516
.LBB1113_515:                           ;   in Loop: Header=BB1113_388 Depth=2
	ds_load_b64 v[58:59], v123 offset:31744
	s_wait_dscnt 0x0
	v_cmp_ne_u64_e64 s30, s[42:43], v[58:59]
	s_delay_alu instid0(VALU_DEP_1) | instskip(SKIP_1) | instid1(VALU_DEP_1)
	v_cndmask_b32_e64 v59, 0x7fffffff, v59, s30
	v_cndmask_b32_e64 v58, -1, v58, s30
	v_lshrrev_b64 v[58:59], s54, v[58:59]
	s_delay_alu instid0(VALU_DEP_1)
	v_and_b32_e32 v149, s59, v58
.LBB1113_516:                           ;   in Loop: Header=BB1113_388 Depth=2
	s_or_b32 exec_lo, exec_lo, s34
	s_wait_loadcnt 0x0
	s_wait_storecnt 0x0
	s_barrier_signal -1
	s_barrier_wait -1
	ds_store_b64 v91, v[56:57] offset:1024
	ds_store_b64 v92, v[54:55] offset:1024
	;; [unrolled: 1-line block ×16, first 2 shown]
	s_wait_dscnt 0x0
	s_barrier_signal -1
	s_barrier_wait -1
	s_and_saveexec_b32 s30, vcc_lo
	s_cbranch_execnz .LBB1113_581
; %bb.517:                              ;   in Loop: Header=BB1113_388 Depth=2
	s_or_b32 exec_lo, exec_lo, s30
	s_and_saveexec_b32 s30, s15
	s_cbranch_execnz .LBB1113_582
.LBB1113_518:                           ;   in Loop: Header=BB1113_388 Depth=2
	s_or_b32 exec_lo, exec_lo, s30
	s_and_saveexec_b32 s15, s16
	s_cbranch_execnz .LBB1113_583
.LBB1113_519:                           ;   in Loop: Header=BB1113_388 Depth=2
	s_or_b32 exec_lo, exec_lo, s15
	s_and_saveexec_b32 s15, s17
	s_cbranch_execnz .LBB1113_584
.LBB1113_520:                           ;   in Loop: Header=BB1113_388 Depth=2
	s_or_b32 exec_lo, exec_lo, s15
	s_and_saveexec_b32 s15, s18
	s_cbranch_execnz .LBB1113_585
.LBB1113_521:                           ;   in Loop: Header=BB1113_388 Depth=2
	s_or_b32 exec_lo, exec_lo, s15
	s_and_saveexec_b32 s15, s19
	s_cbranch_execnz .LBB1113_586
.LBB1113_522:                           ;   in Loop: Header=BB1113_388 Depth=2
	s_or_b32 exec_lo, exec_lo, s15
	s_and_saveexec_b32 s15, s20
	s_cbranch_execnz .LBB1113_587
.LBB1113_523:                           ;   in Loop: Header=BB1113_388 Depth=2
	s_or_b32 exec_lo, exec_lo, s15
	s_and_saveexec_b32 s15, s21
	s_cbranch_execnz .LBB1113_588
.LBB1113_524:                           ;   in Loop: Header=BB1113_388 Depth=2
	s_or_b32 exec_lo, exec_lo, s15
	s_and_saveexec_b32 s15, s22
	s_cbranch_execnz .LBB1113_589
.LBB1113_525:                           ;   in Loop: Header=BB1113_388 Depth=2
	s_or_b32 exec_lo, exec_lo, s15
	s_and_saveexec_b32 s15, s23
	s_cbranch_execnz .LBB1113_590
.LBB1113_526:                           ;   in Loop: Header=BB1113_388 Depth=2
	s_or_b32 exec_lo, exec_lo, s15
	s_and_saveexec_b32 s15, s24
	s_cbranch_execnz .LBB1113_591
.LBB1113_527:                           ;   in Loop: Header=BB1113_388 Depth=2
	s_or_b32 exec_lo, exec_lo, s15
	s_and_saveexec_b32 s15, s25
	s_cbranch_execnz .LBB1113_592
.LBB1113_528:                           ;   in Loop: Header=BB1113_388 Depth=2
	s_or_b32 exec_lo, exec_lo, s15
	s_and_saveexec_b32 s15, s26
	s_cbranch_execnz .LBB1113_593
.LBB1113_529:                           ;   in Loop: Header=BB1113_388 Depth=2
	s_or_b32 exec_lo, exec_lo, s15
	s_and_saveexec_b32 s15, s27
	s_cbranch_execnz .LBB1113_594
.LBB1113_530:                           ;   in Loop: Header=BB1113_388 Depth=2
	s_or_b32 exec_lo, exec_lo, s15
	s_and_saveexec_b32 s15, s28
	s_cbranch_execnz .LBB1113_595
.LBB1113_531:                           ;   in Loop: Header=BB1113_388 Depth=2
	s_or_b32 exec_lo, exec_lo, s15
	s_and_saveexec_b32 s15, s29
	s_cbranch_execz .LBB1113_533
.LBB1113_532:                           ;   in Loop: Header=BB1113_388 Depth=2
	v_lshlrev_b32_e32 v58, 2, v149
	ds_load_b32 v60, v58
	ds_load_b64 v[58:59], v123 offset:31744
	s_wait_dscnt 0x1
	v_add_nc_u32_e32 v60, v60, v112
	s_wait_dscnt 0x0
	global_store_b64 v60, v[58:59], s[46:47] scale_offset
.LBB1113_533:                           ;   in Loop: Header=BB1113_388 Depth=2
	s_wait_xcnt 0x0
	s_or_b32 exec_lo, exec_lo, s15
	s_wait_storecnt 0x0
	s_barrier_signal -1
	s_barrier_wait -1
	s_and_saveexec_b32 s15, s0
	s_cbranch_execz .LBB1113_387
; %bb.534:                              ;   in Loop: Header=BB1113_388 Depth=2
	ds_load_b32 v58, v3
	s_wait_dscnt 0x0
	v_add_nc_u32_e32 v58, v58, v90
	ds_store_b32 v3, v58
	s_branch .LBB1113_387
.LBB1113_535:                           ;   in Loop: Header=BB1113_388 Depth=2
	ds_load_b64 v[58:59], v123 offset:1024
	s_wait_dscnt 0x0
	v_cmp_ne_u64_e64 s15, s[42:43], v[58:59]
	s_delay_alu instid0(VALU_DEP_1) | instskip(SKIP_2) | instid1(VALU_DEP_2)
	v_cndmask_b32_e64 v65, 0x7fffffff, v59, s15
	v_cndmask_b32_e64 v64, -1, v58, s15
	v_cmp_gt_i64_e64 s15, 0, v[58:59]
	v_lshrrev_b64 v[64:65], s54, v[64:65]
	v_ashrrev_i32_e32 v65, 31, v59
	s_delay_alu instid0(VALU_DEP_3) | instskip(NEXT) | instid1(VALU_DEP_2)
	v_cndmask_b32_e64 v66, 0x7fffffff, 0, s15
	v_not_b32_e32 v65, v65
	s_delay_alu instid0(VALU_DEP_4) | instskip(NEXT) | instid1(VALU_DEP_3)
	v_and_b32_e32 v64, s59, v64
	v_xor_b32_e32 v59, v66, v59
	s_delay_alu instid0(VALU_DEP_2)
	v_dual_lshlrev_b32 v64, 2, v64 :: v_dual_bitop2_b32 v58, v65, v58 bitop3:0x14
	ds_load_b32 v64, v64
	s_wait_dscnt 0x0
	v_add_nc_u32_e32 v64, v64, v2
	global_store_b64 v64, v[58:59], s[40:41] scale_offset
	s_wait_xcnt 0x0
	s_or_b32 exec_lo, exec_lo, s16
	v_cmp_lt_u32_e64 s15, v98, v165
	s_and_saveexec_b32 s17, s15
	s_cbranch_execz .LBB1113_468
.LBB1113_536:                           ;   in Loop: Header=BB1113_388 Depth=2
	ds_load_b64 v[58:59], v123 offset:3072
	s_wait_dscnt 0x0
	v_cmp_ne_u64_e64 s16, s[42:43], v[58:59]
	s_delay_alu instid0(VALU_DEP_1) | instskip(SKIP_2) | instid1(VALU_DEP_2)
	v_cndmask_b32_e64 v65, 0x7fffffff, v59, s16
	v_cndmask_b32_e64 v64, -1, v58, s16
	v_cmp_gt_i64_e64 s16, 0, v[58:59]
	v_lshrrev_b64 v[64:65], s54, v[64:65]
	v_ashrrev_i32_e32 v65, 31, v59
	s_delay_alu instid0(VALU_DEP_3) | instskip(NEXT) | instid1(VALU_DEP_2)
	v_cndmask_b32_e64 v66, 0x7fffffff, 0, s16
	v_not_b32_e32 v65, v65
	s_delay_alu instid0(VALU_DEP_4) | instskip(NEXT) | instid1(VALU_DEP_3)
	v_and_b32_e32 v64, s59, v64
	v_xor_b32_e32 v59, v66, v59
	s_delay_alu instid0(VALU_DEP_2)
	v_dual_lshlrev_b32 v64, 2, v64 :: v_dual_bitop2_b32 v58, v65, v58 bitop3:0x14
	ds_load_b32 v64, v64
	s_wait_dscnt 0x0
	v_add_nc_u32_e32 v64, v64, v98
	global_store_b64 v64, v[58:59], s[40:41] scale_offset
	s_wait_xcnt 0x0
	s_or_b32 exec_lo, exec_lo, s17
	v_cmp_lt_u32_e64 s16, v99, v165
	s_and_saveexec_b32 s18, s16
	s_cbranch_execz .LBB1113_469
.LBB1113_537:                           ;   in Loop: Header=BB1113_388 Depth=2
	ds_load_b64 v[58:59], v123 offset:5120
	s_wait_dscnt 0x0
	v_cmp_ne_u64_e64 s17, s[42:43], v[58:59]
	s_delay_alu instid0(VALU_DEP_1) | instskip(SKIP_2) | instid1(VALU_DEP_2)
	v_cndmask_b32_e64 v65, 0x7fffffff, v59, s17
	v_cndmask_b32_e64 v64, -1, v58, s17
	v_cmp_gt_i64_e64 s17, 0, v[58:59]
	v_lshrrev_b64 v[64:65], s54, v[64:65]
	v_ashrrev_i32_e32 v65, 31, v59
	s_delay_alu instid0(VALU_DEP_3) | instskip(NEXT) | instid1(VALU_DEP_2)
	v_cndmask_b32_e64 v66, 0x7fffffff, 0, s17
	v_not_b32_e32 v65, v65
	s_delay_alu instid0(VALU_DEP_4) | instskip(NEXT) | instid1(VALU_DEP_1)
	v_and_b32_e32 v64, s59, v64
	v_dual_lshlrev_b32 v64, 2, v64 :: v_dual_bitop2_b32 v59, v66, v59 bitop3:0x14
	ds_load_b32 v64, v64
	s_wait_dscnt 0x0
	v_dual_add_nc_u32 v64, v64, v99 :: v_dual_bitop2_b32 v58, v65, v58 bitop3:0x14
	global_store_b64 v64, v[58:59], s[40:41] scale_offset
	s_wait_xcnt 0x0
	s_or_b32 exec_lo, exec_lo, s18
	v_cmp_lt_u32_e64 s17, v100, v165
	s_and_saveexec_b32 s19, s17
	s_cbranch_execz .LBB1113_470
.LBB1113_538:                           ;   in Loop: Header=BB1113_388 Depth=2
	ds_load_b64 v[58:59], v123 offset:7168
	s_wait_dscnt 0x0
	v_cmp_ne_u64_e64 s18, s[42:43], v[58:59]
	s_delay_alu instid0(VALU_DEP_1) | instskip(SKIP_2) | instid1(VALU_DEP_2)
	v_cndmask_b32_e64 v65, 0x7fffffff, v59, s18
	v_cndmask_b32_e64 v64, -1, v58, s18
	v_cmp_gt_i64_e64 s18, 0, v[58:59]
	v_lshrrev_b64 v[64:65], s54, v[64:65]
	v_ashrrev_i32_e32 v65, 31, v59
	s_delay_alu instid0(VALU_DEP_3) | instskip(NEXT) | instid1(VALU_DEP_2)
	v_cndmask_b32_e64 v66, 0x7fffffff, 0, s18
	v_not_b32_e32 v65, v65
	s_delay_alu instid0(VALU_DEP_4) | instskip(NEXT) | instid1(VALU_DEP_1)
	v_and_b32_e32 v64, s59, v64
	v_dual_lshlrev_b32 v64, 2, v64 :: v_dual_bitop2_b32 v59, v66, v59 bitop3:0x14
	ds_load_b32 v64, v64
	s_wait_dscnt 0x0
	v_dual_add_nc_u32 v64, v64, v100 :: v_dual_bitop2_b32 v58, v65, v58 bitop3:0x14
	global_store_b64 v64, v[58:59], s[40:41] scale_offset
	s_wait_xcnt 0x0
	s_or_b32 exec_lo, exec_lo, s19
	v_cmp_lt_u32_e64 s18, v101, v165
	s_and_saveexec_b32 s20, s18
	s_cbranch_execz .LBB1113_471
.LBB1113_539:                           ;   in Loop: Header=BB1113_388 Depth=2
	ds_load_b64 v[58:59], v123 offset:9216
	s_wait_dscnt 0x0
	v_cmp_ne_u64_e64 s19, s[42:43], v[58:59]
	s_delay_alu instid0(VALU_DEP_1) | instskip(SKIP_2) | instid1(VALU_DEP_2)
	v_cndmask_b32_e64 v65, 0x7fffffff, v59, s19
	v_cndmask_b32_e64 v64, -1, v58, s19
	v_cmp_gt_i64_e64 s19, 0, v[58:59]
	v_lshrrev_b64 v[64:65], s54, v[64:65]
	v_ashrrev_i32_e32 v65, 31, v59
	s_delay_alu instid0(VALU_DEP_3) | instskip(NEXT) | instid1(VALU_DEP_2)
	v_cndmask_b32_e64 v66, 0x7fffffff, 0, s19
	v_not_b32_e32 v65, v65
	s_delay_alu instid0(VALU_DEP_4) | instskip(NEXT) | instid1(VALU_DEP_1)
	v_and_b32_e32 v64, s59, v64
	v_dual_lshlrev_b32 v64, 2, v64 :: v_dual_bitop2_b32 v59, v66, v59 bitop3:0x14
	ds_load_b32 v64, v64
	s_wait_dscnt 0x0
	v_dual_add_nc_u32 v64, v64, v101 :: v_dual_bitop2_b32 v58, v65, v58 bitop3:0x14
	global_store_b64 v64, v[58:59], s[40:41] scale_offset
	s_wait_xcnt 0x0
	s_or_b32 exec_lo, exec_lo, s20
	v_cmp_lt_u32_e64 s19, v102, v165
	s_and_saveexec_b32 s21, s19
	s_cbranch_execz .LBB1113_472
.LBB1113_540:                           ;   in Loop: Header=BB1113_388 Depth=2
	ds_load_b64 v[58:59], v123 offset:11264
	s_wait_dscnt 0x0
	v_cmp_ne_u64_e64 s20, s[42:43], v[58:59]
	s_delay_alu instid0(VALU_DEP_1) | instskip(SKIP_2) | instid1(VALU_DEP_2)
	v_cndmask_b32_e64 v65, 0x7fffffff, v59, s20
	v_cndmask_b32_e64 v64, -1, v58, s20
	v_cmp_gt_i64_e64 s20, 0, v[58:59]
	v_lshrrev_b64 v[64:65], s54, v[64:65]
	v_ashrrev_i32_e32 v65, 31, v59
	s_delay_alu instid0(VALU_DEP_3) | instskip(NEXT) | instid1(VALU_DEP_2)
	v_cndmask_b32_e64 v66, 0x7fffffff, 0, s20
	v_not_b32_e32 v65, v65
	s_delay_alu instid0(VALU_DEP_4) | instskip(NEXT) | instid1(VALU_DEP_3)
	v_and_b32_e32 v64, s59, v64
	v_xor_b32_e32 v59, v66, v59
	s_delay_alu instid0(VALU_DEP_2)
	v_dual_lshlrev_b32 v64, 2, v64 :: v_dual_bitop2_b32 v58, v65, v58 bitop3:0x14
	ds_load_b32 v64, v64
	s_wait_dscnt 0x0
	v_add_nc_u32_e32 v64, v64, v102
	global_store_b64 v64, v[58:59], s[40:41] scale_offset
	s_wait_xcnt 0x0
	s_or_b32 exec_lo, exec_lo, s21
	v_cmp_lt_u32_e64 s20, v103, v165
	s_and_saveexec_b32 s22, s20
	s_cbranch_execz .LBB1113_473
.LBB1113_541:                           ;   in Loop: Header=BB1113_388 Depth=2
	ds_load_b64 v[58:59], v123 offset:13312
	s_wait_dscnt 0x0
	v_cmp_ne_u64_e64 s21, s[42:43], v[58:59]
	s_delay_alu instid0(VALU_DEP_1) | instskip(SKIP_2) | instid1(VALU_DEP_2)
	v_cndmask_b32_e64 v65, 0x7fffffff, v59, s21
	v_cndmask_b32_e64 v64, -1, v58, s21
	v_cmp_gt_i64_e64 s21, 0, v[58:59]
	v_lshrrev_b64 v[64:65], s54, v[64:65]
	v_ashrrev_i32_e32 v65, 31, v59
	s_delay_alu instid0(VALU_DEP_3) | instskip(NEXT) | instid1(VALU_DEP_2)
	v_cndmask_b32_e64 v66, 0x7fffffff, 0, s21
	v_not_b32_e32 v65, v65
	s_delay_alu instid0(VALU_DEP_4) | instskip(NEXT) | instid1(VALU_DEP_1)
	v_and_b32_e32 v64, s59, v64
	v_dual_lshlrev_b32 v64, 2, v64 :: v_dual_bitop2_b32 v59, v66, v59 bitop3:0x14
	ds_load_b32 v64, v64
	s_wait_dscnt 0x0
	v_dual_add_nc_u32 v64, v64, v103 :: v_dual_bitop2_b32 v58, v65, v58 bitop3:0x14
	global_store_b64 v64, v[58:59], s[40:41] scale_offset
	s_wait_xcnt 0x0
	s_or_b32 exec_lo, exec_lo, s22
	v_cmp_lt_u32_e64 s21, v104, v165
	s_and_saveexec_b32 s23, s21
	s_cbranch_execz .LBB1113_474
.LBB1113_542:                           ;   in Loop: Header=BB1113_388 Depth=2
	ds_load_b64 v[58:59], v123 offset:15360
	s_wait_dscnt 0x0
	v_cmp_ne_u64_e64 s22, s[42:43], v[58:59]
	s_delay_alu instid0(VALU_DEP_1) | instskip(SKIP_2) | instid1(VALU_DEP_2)
	v_cndmask_b32_e64 v65, 0x7fffffff, v59, s22
	v_cndmask_b32_e64 v64, -1, v58, s22
	v_cmp_gt_i64_e64 s22, 0, v[58:59]
	v_lshrrev_b64 v[64:65], s54, v[64:65]
	v_ashrrev_i32_e32 v65, 31, v59
	s_delay_alu instid0(VALU_DEP_3) | instskip(NEXT) | instid1(VALU_DEP_2)
	v_cndmask_b32_e64 v66, 0x7fffffff, 0, s22
	v_not_b32_e32 v65, v65
	s_delay_alu instid0(VALU_DEP_4) | instskip(NEXT) | instid1(VALU_DEP_1)
	v_and_b32_e32 v64, s59, v64
	v_dual_lshlrev_b32 v64, 2, v64 :: v_dual_bitop2_b32 v59, v66, v59 bitop3:0x14
	ds_load_b32 v64, v64
	s_wait_dscnt 0x0
	v_dual_add_nc_u32 v64, v64, v104 :: v_dual_bitop2_b32 v58, v65, v58 bitop3:0x14
	global_store_b64 v64, v[58:59], s[40:41] scale_offset
	s_wait_xcnt 0x0
	s_or_b32 exec_lo, exec_lo, s23
	v_cmp_lt_u32_e64 s22, v105, v165
	s_and_saveexec_b32 s24, s22
	s_cbranch_execz .LBB1113_475
.LBB1113_543:                           ;   in Loop: Header=BB1113_388 Depth=2
	ds_load_b64 v[58:59], v123 offset:17408
	s_wait_dscnt 0x0
	v_cmp_ne_u64_e64 s23, s[42:43], v[58:59]
	s_delay_alu instid0(VALU_DEP_1) | instskip(SKIP_2) | instid1(VALU_DEP_2)
	v_cndmask_b32_e64 v65, 0x7fffffff, v59, s23
	v_cndmask_b32_e64 v64, -1, v58, s23
	v_cmp_gt_i64_e64 s23, 0, v[58:59]
	v_lshrrev_b64 v[64:65], s54, v[64:65]
	v_ashrrev_i32_e32 v65, 31, v59
	s_delay_alu instid0(VALU_DEP_3) | instskip(NEXT) | instid1(VALU_DEP_2)
	v_cndmask_b32_e64 v66, 0x7fffffff, 0, s23
	v_not_b32_e32 v65, v65
	s_delay_alu instid0(VALU_DEP_4) | instskip(NEXT) | instid1(VALU_DEP_1)
	v_and_b32_e32 v64, s59, v64
	v_dual_lshlrev_b32 v64, 2, v64 :: v_dual_bitop2_b32 v59, v66, v59 bitop3:0x14
	ds_load_b32 v64, v64
	s_wait_dscnt 0x0
	v_dual_add_nc_u32 v64, v64, v105 :: v_dual_bitop2_b32 v58, v65, v58 bitop3:0x14
	global_store_b64 v64, v[58:59], s[40:41] scale_offset
	s_wait_xcnt 0x0
	s_or_b32 exec_lo, exec_lo, s24
	v_cmp_lt_u32_e64 s23, v106, v165
	s_and_saveexec_b32 s25, s23
	s_cbranch_execz .LBB1113_476
.LBB1113_544:                           ;   in Loop: Header=BB1113_388 Depth=2
	ds_load_b64 v[58:59], v123 offset:19456
	s_wait_dscnt 0x0
	v_cmp_ne_u64_e64 s24, s[42:43], v[58:59]
	s_delay_alu instid0(VALU_DEP_1) | instskip(SKIP_2) | instid1(VALU_DEP_2)
	v_cndmask_b32_e64 v65, 0x7fffffff, v59, s24
	v_cndmask_b32_e64 v64, -1, v58, s24
	v_cmp_gt_i64_e64 s24, 0, v[58:59]
	v_lshrrev_b64 v[64:65], s54, v[64:65]
	v_ashrrev_i32_e32 v65, 31, v59
	s_delay_alu instid0(VALU_DEP_3) | instskip(NEXT) | instid1(VALU_DEP_2)
	v_cndmask_b32_e64 v66, 0x7fffffff, 0, s24
	v_not_b32_e32 v65, v65
	s_delay_alu instid0(VALU_DEP_4) | instskip(NEXT) | instid1(VALU_DEP_3)
	v_and_b32_e32 v64, s59, v64
	v_xor_b32_e32 v59, v66, v59
	s_delay_alu instid0(VALU_DEP_2)
	v_dual_lshlrev_b32 v64, 2, v64 :: v_dual_bitop2_b32 v58, v65, v58 bitop3:0x14
	ds_load_b32 v64, v64
	s_wait_dscnt 0x0
	v_add_nc_u32_e32 v64, v64, v106
	global_store_b64 v64, v[58:59], s[40:41] scale_offset
	s_wait_xcnt 0x0
	s_or_b32 exec_lo, exec_lo, s25
	v_cmp_lt_u32_e64 s24, v107, v165
	s_and_saveexec_b32 s26, s24
	s_cbranch_execz .LBB1113_477
.LBB1113_545:                           ;   in Loop: Header=BB1113_388 Depth=2
	ds_load_b64 v[58:59], v123 offset:21504
	s_wait_dscnt 0x0
	v_cmp_ne_u64_e64 s25, s[42:43], v[58:59]
	s_delay_alu instid0(VALU_DEP_1) | instskip(SKIP_2) | instid1(VALU_DEP_2)
	v_cndmask_b32_e64 v65, 0x7fffffff, v59, s25
	v_cndmask_b32_e64 v64, -1, v58, s25
	v_cmp_gt_i64_e64 s25, 0, v[58:59]
	v_lshrrev_b64 v[64:65], s54, v[64:65]
	v_ashrrev_i32_e32 v65, 31, v59
	s_delay_alu instid0(VALU_DEP_3) | instskip(NEXT) | instid1(VALU_DEP_2)
	v_cndmask_b32_e64 v66, 0x7fffffff, 0, s25
	v_not_b32_e32 v65, v65
	s_delay_alu instid0(VALU_DEP_4) | instskip(NEXT) | instid1(VALU_DEP_1)
	v_and_b32_e32 v64, s59, v64
	v_dual_lshlrev_b32 v64, 2, v64 :: v_dual_bitop2_b32 v59, v66, v59 bitop3:0x14
	ds_load_b32 v64, v64
	s_wait_dscnt 0x0
	v_dual_add_nc_u32 v64, v64, v107 :: v_dual_bitop2_b32 v58, v65, v58 bitop3:0x14
	global_store_b64 v64, v[58:59], s[40:41] scale_offset
	s_wait_xcnt 0x0
	s_or_b32 exec_lo, exec_lo, s26
	v_cmp_lt_u32_e64 s25, v108, v165
	s_and_saveexec_b32 s27, s25
	s_cbranch_execz .LBB1113_478
.LBB1113_546:                           ;   in Loop: Header=BB1113_388 Depth=2
	ds_load_b64 v[58:59], v123 offset:23552
	s_wait_dscnt 0x0
	v_cmp_ne_u64_e64 s26, s[42:43], v[58:59]
	s_delay_alu instid0(VALU_DEP_1) | instskip(SKIP_2) | instid1(VALU_DEP_2)
	v_cndmask_b32_e64 v65, 0x7fffffff, v59, s26
	v_cndmask_b32_e64 v64, -1, v58, s26
	v_cmp_gt_i64_e64 s26, 0, v[58:59]
	v_lshrrev_b64 v[64:65], s54, v[64:65]
	v_ashrrev_i32_e32 v65, 31, v59
	s_delay_alu instid0(VALU_DEP_3) | instskip(NEXT) | instid1(VALU_DEP_2)
	v_cndmask_b32_e64 v66, 0x7fffffff, 0, s26
	v_not_b32_e32 v65, v65
	s_delay_alu instid0(VALU_DEP_4) | instskip(NEXT) | instid1(VALU_DEP_1)
	v_and_b32_e32 v64, s59, v64
	v_dual_lshlrev_b32 v64, 2, v64 :: v_dual_bitop2_b32 v59, v66, v59 bitop3:0x14
	ds_load_b32 v64, v64
	s_wait_dscnt 0x0
	v_dual_add_nc_u32 v64, v64, v108 :: v_dual_bitop2_b32 v58, v65, v58 bitop3:0x14
	global_store_b64 v64, v[58:59], s[40:41] scale_offset
	s_wait_xcnt 0x0
	s_or_b32 exec_lo, exec_lo, s27
	v_cmp_lt_u32_e64 s26, v109, v165
	s_and_saveexec_b32 s28, s26
	s_cbranch_execz .LBB1113_479
.LBB1113_547:                           ;   in Loop: Header=BB1113_388 Depth=2
	ds_load_b64 v[58:59], v123 offset:25600
	s_wait_dscnt 0x0
	v_cmp_ne_u64_e64 s27, s[42:43], v[58:59]
	s_delay_alu instid0(VALU_DEP_1) | instskip(SKIP_2) | instid1(VALU_DEP_2)
	v_cndmask_b32_e64 v65, 0x7fffffff, v59, s27
	v_cndmask_b32_e64 v64, -1, v58, s27
	v_cmp_gt_i64_e64 s27, 0, v[58:59]
	v_lshrrev_b64 v[64:65], s54, v[64:65]
	v_ashrrev_i32_e32 v65, 31, v59
	s_delay_alu instid0(VALU_DEP_3) | instskip(NEXT) | instid1(VALU_DEP_2)
	v_cndmask_b32_e64 v66, 0x7fffffff, 0, s27
	v_not_b32_e32 v65, v65
	s_delay_alu instid0(VALU_DEP_4) | instskip(NEXT) | instid1(VALU_DEP_1)
	v_and_b32_e32 v64, s59, v64
	v_dual_lshlrev_b32 v64, 2, v64 :: v_dual_bitop2_b32 v59, v66, v59 bitop3:0x14
	ds_load_b32 v64, v64
	s_wait_dscnt 0x0
	v_dual_add_nc_u32 v64, v64, v109 :: v_dual_bitop2_b32 v58, v65, v58 bitop3:0x14
	global_store_b64 v64, v[58:59], s[40:41] scale_offset
	s_wait_xcnt 0x0
	s_or_b32 exec_lo, exec_lo, s28
	v_cmp_lt_u32_e64 s27, v110, v165
	s_and_saveexec_b32 s29, s27
	s_cbranch_execz .LBB1113_480
.LBB1113_548:                           ;   in Loop: Header=BB1113_388 Depth=2
	ds_load_b64 v[58:59], v123 offset:27648
	s_wait_dscnt 0x0
	v_cmp_ne_u64_e64 s28, s[42:43], v[58:59]
	s_delay_alu instid0(VALU_DEP_1) | instskip(SKIP_2) | instid1(VALU_DEP_2)
	v_cndmask_b32_e64 v65, 0x7fffffff, v59, s28
	v_cndmask_b32_e64 v64, -1, v58, s28
	v_cmp_gt_i64_e64 s28, 0, v[58:59]
	v_lshrrev_b64 v[64:65], s54, v[64:65]
	v_ashrrev_i32_e32 v65, 31, v59
	s_delay_alu instid0(VALU_DEP_3) | instskip(NEXT) | instid1(VALU_DEP_2)
	v_cndmask_b32_e64 v66, 0x7fffffff, 0, s28
	v_not_b32_e32 v65, v65
	s_delay_alu instid0(VALU_DEP_4) | instskip(NEXT) | instid1(VALU_DEP_3)
	v_and_b32_e32 v64, s59, v64
	v_xor_b32_e32 v59, v66, v59
	s_delay_alu instid0(VALU_DEP_2)
	v_dual_lshlrev_b32 v64, 2, v64 :: v_dual_bitop2_b32 v58, v65, v58 bitop3:0x14
	ds_load_b32 v64, v64
	s_wait_dscnt 0x0
	v_add_nc_u32_e32 v64, v64, v110
	global_store_b64 v64, v[58:59], s[40:41] scale_offset
	s_wait_xcnt 0x0
	s_or_b32 exec_lo, exec_lo, s29
	v_cmp_lt_u32_e64 s28, v111, v165
	s_and_saveexec_b32 s30, s28
	s_cbranch_execz .LBB1113_481
.LBB1113_549:                           ;   in Loop: Header=BB1113_388 Depth=2
	ds_load_b64 v[58:59], v123 offset:29696
	s_wait_dscnt 0x0
	v_cmp_ne_u64_e64 s29, s[42:43], v[58:59]
	s_delay_alu instid0(VALU_DEP_1) | instskip(SKIP_2) | instid1(VALU_DEP_2)
	v_cndmask_b32_e64 v65, 0x7fffffff, v59, s29
	v_cndmask_b32_e64 v64, -1, v58, s29
	v_cmp_gt_i64_e64 s29, 0, v[58:59]
	v_lshrrev_b64 v[64:65], s54, v[64:65]
	v_ashrrev_i32_e32 v65, 31, v59
	s_delay_alu instid0(VALU_DEP_3) | instskip(NEXT) | instid1(VALU_DEP_2)
	v_cndmask_b32_e64 v66, 0x7fffffff, 0, s29
	v_not_b32_e32 v65, v65
	s_delay_alu instid0(VALU_DEP_4) | instskip(NEXT) | instid1(VALU_DEP_1)
	v_and_b32_e32 v64, s59, v64
	v_dual_lshlrev_b32 v64, 2, v64 :: v_dual_bitop2_b32 v59, v66, v59 bitop3:0x14
	ds_load_b32 v64, v64
	s_wait_dscnt 0x0
	v_dual_add_nc_u32 v64, v64, v111 :: v_dual_bitop2_b32 v58, v65, v58 bitop3:0x14
	global_store_b64 v64, v[58:59], s[40:41] scale_offset
	s_wait_xcnt 0x0
	s_or_b32 exec_lo, exec_lo, s30
	v_cmp_lt_u32_e64 s29, v112, v165
	s_and_saveexec_b32 s62, s29
	s_cbranch_execnz .LBB1113_482
	s_branch .LBB1113_483
.LBB1113_550:                           ;   in Loop: Header=BB1113_388 Depth=2
	global_load_b64 v[56:57], v[58:59], off
	s_wait_xcnt 0x0
	s_or_b32 exec_lo, exec_lo, s30
	s_delay_alu instid0(SALU_CYCLE_1)
	s_mov_b32 s34, exec_lo
	v_cmpx_lt_u32_e64 v132, v165
	s_cbranch_execz .LBB1113_485
.LBB1113_551:                           ;   in Loop: Header=BB1113_388 Depth=2
	global_load_b64 v[54:55], v[58:59], off offset:256
	s_wait_xcnt 0x0
	s_or_b32 exec_lo, exec_lo, s34
	s_delay_alu instid0(SALU_CYCLE_1)
	s_mov_b32 s34, exec_lo
	v_cmpx_lt_u32_e64 v133, v165
	s_cbranch_execz .LBB1113_486
.LBB1113_552:                           ;   in Loop: Header=BB1113_388 Depth=2
	global_load_b64 v[52:53], v[58:59], off offset:512
	s_wait_xcnt 0x0
	s_or_b32 exec_lo, exec_lo, s34
	s_delay_alu instid0(SALU_CYCLE_1)
	s_mov_b32 s34, exec_lo
	v_cmpx_lt_u32_e64 v134, v165
	s_cbranch_execz .LBB1113_487
.LBB1113_553:                           ;   in Loop: Header=BB1113_388 Depth=2
	global_load_b64 v[50:51], v[58:59], off offset:768
	s_wait_xcnt 0x0
	s_or_b32 exec_lo, exec_lo, s34
	s_delay_alu instid0(SALU_CYCLE_1)
	s_mov_b32 s34, exec_lo
	v_cmpx_lt_u32_e64 v135, v165
	s_cbranch_execz .LBB1113_488
.LBB1113_554:                           ;   in Loop: Header=BB1113_388 Depth=2
	global_load_b64 v[48:49], v[58:59], off offset:1024
	s_wait_xcnt 0x0
	s_or_b32 exec_lo, exec_lo, s34
	s_delay_alu instid0(SALU_CYCLE_1)
	s_mov_b32 s34, exec_lo
	v_cmpx_lt_u32_e64 v136, v165
	s_cbranch_execz .LBB1113_489
.LBB1113_555:                           ;   in Loop: Header=BB1113_388 Depth=2
	global_load_b64 v[46:47], v[58:59], off offset:1280
	s_wait_xcnt 0x0
	s_or_b32 exec_lo, exec_lo, s34
	s_delay_alu instid0(SALU_CYCLE_1)
	s_mov_b32 s34, exec_lo
	v_cmpx_lt_u32_e64 v137, v165
	s_cbranch_execz .LBB1113_490
.LBB1113_556:                           ;   in Loop: Header=BB1113_388 Depth=2
	global_load_b64 v[44:45], v[58:59], off offset:1536
	s_wait_xcnt 0x0
	s_or_b32 exec_lo, exec_lo, s34
	s_delay_alu instid0(SALU_CYCLE_1)
	s_mov_b32 s34, exec_lo
	v_cmpx_lt_u32_e64 v138, v165
	s_cbranch_execz .LBB1113_491
.LBB1113_557:                           ;   in Loop: Header=BB1113_388 Depth=2
	global_load_b64 v[42:43], v[58:59], off offset:1792
	s_wait_xcnt 0x0
	s_or_b32 exec_lo, exec_lo, s34
	s_delay_alu instid0(SALU_CYCLE_1)
	s_mov_b32 s34, exec_lo
	v_cmpx_lt_u32_e64 v139, v165
	s_cbranch_execz .LBB1113_492
.LBB1113_558:                           ;   in Loop: Header=BB1113_388 Depth=2
	global_load_b64 v[40:41], v[58:59], off offset:2048
	s_wait_xcnt 0x0
	s_or_b32 exec_lo, exec_lo, s34
	s_delay_alu instid0(SALU_CYCLE_1)
	s_mov_b32 s34, exec_lo
	v_cmpx_lt_u32_e64 v140, v165
	s_cbranch_execz .LBB1113_493
.LBB1113_559:                           ;   in Loop: Header=BB1113_388 Depth=2
	global_load_b64 v[38:39], v[58:59], off offset:2304
	s_wait_xcnt 0x0
	s_or_b32 exec_lo, exec_lo, s34
	s_delay_alu instid0(SALU_CYCLE_1)
	s_mov_b32 s34, exec_lo
	v_cmpx_lt_u32_e64 v141, v165
	s_cbranch_execz .LBB1113_494
.LBB1113_560:                           ;   in Loop: Header=BB1113_388 Depth=2
	global_load_b64 v[36:37], v[58:59], off offset:2560
	s_wait_xcnt 0x0
	s_or_b32 exec_lo, exec_lo, s34
	s_delay_alu instid0(SALU_CYCLE_1)
	s_mov_b32 s34, exec_lo
	v_cmpx_lt_u32_e64 v142, v165
	s_cbranch_execz .LBB1113_495
.LBB1113_561:                           ;   in Loop: Header=BB1113_388 Depth=2
	global_load_b64 v[34:35], v[58:59], off offset:2816
	s_wait_xcnt 0x0
	s_or_b32 exec_lo, exec_lo, s34
	s_delay_alu instid0(SALU_CYCLE_1)
	s_mov_b32 s34, exec_lo
	v_cmpx_lt_u32_e64 v143, v165
	s_cbranch_execz .LBB1113_496
.LBB1113_562:                           ;   in Loop: Header=BB1113_388 Depth=2
	global_load_b64 v[32:33], v[58:59], off offset:3072
	s_wait_xcnt 0x0
	s_or_b32 exec_lo, exec_lo, s34
	s_delay_alu instid0(SALU_CYCLE_1)
	s_mov_b32 s34, exec_lo
	v_cmpx_lt_u32_e64 v144, v165
	s_cbranch_execz .LBB1113_497
.LBB1113_563:                           ;   in Loop: Header=BB1113_388 Depth=2
	global_load_b64 v[30:31], v[58:59], off offset:3328
	s_wait_xcnt 0x0
	s_or_b32 exec_lo, exec_lo, s34
	s_delay_alu instid0(SALU_CYCLE_1)
	s_mov_b32 s34, exec_lo
	v_cmpx_lt_u32_e64 v145, v165
	s_cbranch_execz .LBB1113_498
.LBB1113_564:                           ;   in Loop: Header=BB1113_388 Depth=2
	global_load_b64 v[28:29], v[58:59], off offset:3584
	s_wait_xcnt 0x0
	s_or_b32 exec_lo, exec_lo, s34
	s_delay_alu instid0(SALU_CYCLE_1)
	s_mov_b32 s34, exec_lo
	v_cmpx_lt_u32_e64 v146, v165
	s_cbranch_execz .LBB1113_499
.LBB1113_565:                           ;   in Loop: Header=BB1113_388 Depth=2
	global_load_b64 v[26:27], v[58:59], off offset:3840
	s_wait_xcnt 0x0
	s_or_b32 exec_lo, exec_lo, s34
	s_and_saveexec_b32 s34, vcc_lo
	s_cbranch_execz .LBB1113_500
.LBB1113_566:                           ;   in Loop: Header=BB1113_388 Depth=2
	ds_load_b64 v[58:59], v123 offset:1024
	s_wait_dscnt 0x0
	v_cmp_ne_u64_e64 s30, s[42:43], v[58:59]
	s_delay_alu instid0(VALU_DEP_1) | instskip(SKIP_1) | instid1(VALU_DEP_1)
	v_cndmask_b32_e64 v59, 0x7fffffff, v59, s30
	v_cndmask_b32_e64 v58, -1, v58, s30
	v_lshrrev_b64 v[58:59], s54, v[58:59]
	s_delay_alu instid0(VALU_DEP_1)
	v_and_b32_e32 v164, s59, v58
	s_or_b32 exec_lo, exec_lo, s34
	s_and_saveexec_b32 s34, s15
	s_cbranch_execz .LBB1113_501
.LBB1113_567:                           ;   in Loop: Header=BB1113_388 Depth=2
	ds_load_b64 v[58:59], v123 offset:3072
	s_wait_dscnt 0x0
	v_cmp_ne_u64_e64 s30, s[42:43], v[58:59]
	s_delay_alu instid0(VALU_DEP_1) | instskip(SKIP_1) | instid1(VALU_DEP_1)
	v_cndmask_b32_e64 v59, 0x7fffffff, v59, s30
	v_cndmask_b32_e64 v58, -1, v58, s30
	v_lshrrev_b64 v[58:59], s54, v[58:59]
	s_delay_alu instid0(VALU_DEP_1)
	v_and_b32_e32 v163, s59, v58
	s_or_b32 exec_lo, exec_lo, s34
	s_and_saveexec_b32 s34, s16
	s_cbranch_execz .LBB1113_502
.LBB1113_568:                           ;   in Loop: Header=BB1113_388 Depth=2
	ds_load_b64 v[58:59], v123 offset:5120
	s_wait_dscnt 0x0
	v_cmp_ne_u64_e64 s30, s[42:43], v[58:59]
	s_delay_alu instid0(VALU_DEP_1) | instskip(SKIP_1) | instid1(VALU_DEP_1)
	v_cndmask_b32_e64 v59, 0x7fffffff, v59, s30
	v_cndmask_b32_e64 v58, -1, v58, s30
	v_lshrrev_b64 v[58:59], s54, v[58:59]
	s_delay_alu instid0(VALU_DEP_1)
	v_and_b32_e32 v162, s59, v58
	s_or_b32 exec_lo, exec_lo, s34
	s_and_saveexec_b32 s34, s17
	s_cbranch_execz .LBB1113_503
.LBB1113_569:                           ;   in Loop: Header=BB1113_388 Depth=2
	ds_load_b64 v[58:59], v123 offset:7168
	s_wait_dscnt 0x0
	v_cmp_ne_u64_e64 s30, s[42:43], v[58:59]
	s_delay_alu instid0(VALU_DEP_1) | instskip(SKIP_1) | instid1(VALU_DEP_1)
	v_cndmask_b32_e64 v59, 0x7fffffff, v59, s30
	v_cndmask_b32_e64 v58, -1, v58, s30
	v_lshrrev_b64 v[58:59], s54, v[58:59]
	s_delay_alu instid0(VALU_DEP_1)
	v_and_b32_e32 v161, s59, v58
	s_or_b32 exec_lo, exec_lo, s34
	s_and_saveexec_b32 s34, s18
	s_cbranch_execz .LBB1113_504
.LBB1113_570:                           ;   in Loop: Header=BB1113_388 Depth=2
	ds_load_b64 v[58:59], v123 offset:9216
	s_wait_dscnt 0x0
	v_cmp_ne_u64_e64 s30, s[42:43], v[58:59]
	s_delay_alu instid0(VALU_DEP_1) | instskip(SKIP_1) | instid1(VALU_DEP_1)
	v_cndmask_b32_e64 v59, 0x7fffffff, v59, s30
	v_cndmask_b32_e64 v58, -1, v58, s30
	v_lshrrev_b64 v[58:59], s54, v[58:59]
	s_delay_alu instid0(VALU_DEP_1)
	v_and_b32_e32 v160, s59, v58
	s_or_b32 exec_lo, exec_lo, s34
	s_and_saveexec_b32 s34, s19
	s_cbranch_execz .LBB1113_505
.LBB1113_571:                           ;   in Loop: Header=BB1113_388 Depth=2
	ds_load_b64 v[58:59], v123 offset:11264
	s_wait_dscnt 0x0
	v_cmp_ne_u64_e64 s30, s[42:43], v[58:59]
	s_delay_alu instid0(VALU_DEP_1) | instskip(SKIP_1) | instid1(VALU_DEP_1)
	v_cndmask_b32_e64 v59, 0x7fffffff, v59, s30
	v_cndmask_b32_e64 v58, -1, v58, s30
	v_lshrrev_b64 v[58:59], s54, v[58:59]
	s_delay_alu instid0(VALU_DEP_1)
	v_and_b32_e32 v159, s59, v58
	s_or_b32 exec_lo, exec_lo, s34
	s_and_saveexec_b32 s34, s20
	s_cbranch_execz .LBB1113_506
.LBB1113_572:                           ;   in Loop: Header=BB1113_388 Depth=2
	ds_load_b64 v[58:59], v123 offset:13312
	s_wait_dscnt 0x0
	v_cmp_ne_u64_e64 s30, s[42:43], v[58:59]
	s_delay_alu instid0(VALU_DEP_1) | instskip(SKIP_1) | instid1(VALU_DEP_1)
	v_cndmask_b32_e64 v59, 0x7fffffff, v59, s30
	v_cndmask_b32_e64 v58, -1, v58, s30
	v_lshrrev_b64 v[58:59], s54, v[58:59]
	s_delay_alu instid0(VALU_DEP_1)
	v_and_b32_e32 v158, s59, v58
	s_or_b32 exec_lo, exec_lo, s34
	s_and_saveexec_b32 s34, s21
	s_cbranch_execz .LBB1113_507
.LBB1113_573:                           ;   in Loop: Header=BB1113_388 Depth=2
	ds_load_b64 v[58:59], v123 offset:15360
	s_wait_dscnt 0x0
	v_cmp_ne_u64_e64 s30, s[42:43], v[58:59]
	s_delay_alu instid0(VALU_DEP_1) | instskip(SKIP_1) | instid1(VALU_DEP_1)
	v_cndmask_b32_e64 v59, 0x7fffffff, v59, s30
	v_cndmask_b32_e64 v58, -1, v58, s30
	v_lshrrev_b64 v[58:59], s54, v[58:59]
	s_delay_alu instid0(VALU_DEP_1)
	v_and_b32_e32 v157, s59, v58
	s_or_b32 exec_lo, exec_lo, s34
	s_and_saveexec_b32 s34, s22
	s_cbranch_execz .LBB1113_508
.LBB1113_574:                           ;   in Loop: Header=BB1113_388 Depth=2
	ds_load_b64 v[58:59], v123 offset:17408
	s_wait_dscnt 0x0
	v_cmp_ne_u64_e64 s30, s[42:43], v[58:59]
	s_delay_alu instid0(VALU_DEP_1) | instskip(SKIP_1) | instid1(VALU_DEP_1)
	v_cndmask_b32_e64 v59, 0x7fffffff, v59, s30
	v_cndmask_b32_e64 v58, -1, v58, s30
	v_lshrrev_b64 v[58:59], s54, v[58:59]
	s_delay_alu instid0(VALU_DEP_1)
	v_and_b32_e32 v156, s59, v58
	s_or_b32 exec_lo, exec_lo, s34
	s_and_saveexec_b32 s34, s23
	s_cbranch_execz .LBB1113_509
.LBB1113_575:                           ;   in Loop: Header=BB1113_388 Depth=2
	ds_load_b64 v[58:59], v123 offset:19456
	s_wait_dscnt 0x0
	v_cmp_ne_u64_e64 s30, s[42:43], v[58:59]
	s_delay_alu instid0(VALU_DEP_1) | instskip(SKIP_1) | instid1(VALU_DEP_1)
	v_cndmask_b32_e64 v59, 0x7fffffff, v59, s30
	v_cndmask_b32_e64 v58, -1, v58, s30
	v_lshrrev_b64 v[58:59], s54, v[58:59]
	s_delay_alu instid0(VALU_DEP_1)
	v_and_b32_e32 v155, s59, v58
	s_or_b32 exec_lo, exec_lo, s34
	s_and_saveexec_b32 s34, s24
	s_cbranch_execz .LBB1113_510
.LBB1113_576:                           ;   in Loop: Header=BB1113_388 Depth=2
	ds_load_b64 v[58:59], v123 offset:21504
	s_wait_dscnt 0x0
	v_cmp_ne_u64_e64 s30, s[42:43], v[58:59]
	s_delay_alu instid0(VALU_DEP_1) | instskip(SKIP_1) | instid1(VALU_DEP_1)
	v_cndmask_b32_e64 v59, 0x7fffffff, v59, s30
	v_cndmask_b32_e64 v58, -1, v58, s30
	v_lshrrev_b64 v[58:59], s54, v[58:59]
	s_delay_alu instid0(VALU_DEP_1)
	v_and_b32_e32 v154, s59, v58
	s_or_b32 exec_lo, exec_lo, s34
	s_and_saveexec_b32 s34, s25
	s_cbranch_execz .LBB1113_511
.LBB1113_577:                           ;   in Loop: Header=BB1113_388 Depth=2
	ds_load_b64 v[58:59], v123 offset:23552
	s_wait_dscnt 0x0
	v_cmp_ne_u64_e64 s30, s[42:43], v[58:59]
	s_delay_alu instid0(VALU_DEP_1) | instskip(SKIP_1) | instid1(VALU_DEP_1)
	v_cndmask_b32_e64 v59, 0x7fffffff, v59, s30
	v_cndmask_b32_e64 v58, -1, v58, s30
	v_lshrrev_b64 v[58:59], s54, v[58:59]
	s_delay_alu instid0(VALU_DEP_1)
	v_and_b32_e32 v153, s59, v58
	s_or_b32 exec_lo, exec_lo, s34
	s_and_saveexec_b32 s34, s26
	s_cbranch_execz .LBB1113_512
.LBB1113_578:                           ;   in Loop: Header=BB1113_388 Depth=2
	ds_load_b64 v[58:59], v123 offset:25600
	s_wait_dscnt 0x0
	v_cmp_ne_u64_e64 s30, s[42:43], v[58:59]
	s_delay_alu instid0(VALU_DEP_1) | instskip(SKIP_1) | instid1(VALU_DEP_1)
	v_cndmask_b32_e64 v59, 0x7fffffff, v59, s30
	v_cndmask_b32_e64 v58, -1, v58, s30
	v_lshrrev_b64 v[58:59], s54, v[58:59]
	s_delay_alu instid0(VALU_DEP_1)
	v_and_b32_e32 v152, s59, v58
	s_or_b32 exec_lo, exec_lo, s34
	s_and_saveexec_b32 s34, s27
	s_cbranch_execz .LBB1113_513
.LBB1113_579:                           ;   in Loop: Header=BB1113_388 Depth=2
	ds_load_b64 v[58:59], v123 offset:27648
	s_wait_dscnt 0x0
	v_cmp_ne_u64_e64 s30, s[42:43], v[58:59]
	s_delay_alu instid0(VALU_DEP_1) | instskip(SKIP_1) | instid1(VALU_DEP_1)
	v_cndmask_b32_e64 v59, 0x7fffffff, v59, s30
	v_cndmask_b32_e64 v58, -1, v58, s30
	v_lshrrev_b64 v[58:59], s54, v[58:59]
	s_delay_alu instid0(VALU_DEP_1)
	v_and_b32_e32 v151, s59, v58
	s_or_b32 exec_lo, exec_lo, s34
	s_and_saveexec_b32 s34, s28
	s_cbranch_execz .LBB1113_514
.LBB1113_580:                           ;   in Loop: Header=BB1113_388 Depth=2
	ds_load_b64 v[58:59], v123 offset:29696
	s_wait_dscnt 0x0
	v_cmp_ne_u64_e64 s30, s[42:43], v[58:59]
	s_delay_alu instid0(VALU_DEP_1) | instskip(SKIP_1) | instid1(VALU_DEP_1)
	v_cndmask_b32_e64 v59, 0x7fffffff, v59, s30
	v_cndmask_b32_e64 v58, -1, v58, s30
	v_lshrrev_b64 v[58:59], s54, v[58:59]
	s_delay_alu instid0(VALU_DEP_1)
	v_and_b32_e32 v150, s59, v58
	s_or_b32 exec_lo, exec_lo, s34
	s_and_saveexec_b32 s34, s29
	s_cbranch_execnz .LBB1113_515
	s_branch .LBB1113_516
.LBB1113_581:                           ;   in Loop: Header=BB1113_388 Depth=2
	v_lshlrev_b32_e32 v58, 2, v164
	ds_load_b32 v60, v58
	ds_load_b64 v[58:59], v123 offset:1024
	s_wait_dscnt 0x1
	v_add_nc_u32_e32 v60, v60, v2
	s_wait_dscnt 0x0
	global_store_b64 v60, v[58:59], s[46:47] scale_offset
	s_wait_xcnt 0x0
	s_or_b32 exec_lo, exec_lo, s30
	s_and_saveexec_b32 s30, s15
	s_cbranch_execz .LBB1113_518
.LBB1113_582:                           ;   in Loop: Header=BB1113_388 Depth=2
	v_lshlrev_b32_e32 v58, 2, v163
	ds_load_b32 v60, v58
	ds_load_b64 v[58:59], v123 offset:3072
	s_wait_dscnt 0x1
	v_add_nc_u32_e32 v60, v60, v98
	s_wait_dscnt 0x0
	global_store_b64 v60, v[58:59], s[46:47] scale_offset
	s_wait_xcnt 0x0
	s_or_b32 exec_lo, exec_lo, s30
	s_and_saveexec_b32 s15, s16
	s_cbranch_execz .LBB1113_519
.LBB1113_583:                           ;   in Loop: Header=BB1113_388 Depth=2
	v_lshlrev_b32_e32 v58, 2, v162
	ds_load_b32 v60, v58
	ds_load_b64 v[58:59], v123 offset:5120
	s_wait_dscnt 0x1
	v_add_nc_u32_e32 v60, v60, v99
	s_wait_dscnt 0x0
	global_store_b64 v60, v[58:59], s[46:47] scale_offset
	s_wait_xcnt 0x0
	s_or_b32 exec_lo, exec_lo, s15
	s_and_saveexec_b32 s15, s17
	s_cbranch_execz .LBB1113_520
.LBB1113_584:                           ;   in Loop: Header=BB1113_388 Depth=2
	v_lshlrev_b32_e32 v58, 2, v161
	ds_load_b32 v60, v58
	ds_load_b64 v[58:59], v123 offset:7168
	s_wait_dscnt 0x1
	v_add_nc_u32_e32 v60, v60, v100
	s_wait_dscnt 0x0
	global_store_b64 v60, v[58:59], s[46:47] scale_offset
	s_wait_xcnt 0x0
	s_or_b32 exec_lo, exec_lo, s15
	s_and_saveexec_b32 s15, s18
	s_cbranch_execz .LBB1113_521
.LBB1113_585:                           ;   in Loop: Header=BB1113_388 Depth=2
	v_lshlrev_b32_e32 v58, 2, v160
	ds_load_b32 v60, v58
	ds_load_b64 v[58:59], v123 offset:9216
	s_wait_dscnt 0x1
	v_add_nc_u32_e32 v60, v60, v101
	s_wait_dscnt 0x0
	global_store_b64 v60, v[58:59], s[46:47] scale_offset
	s_wait_xcnt 0x0
	s_or_b32 exec_lo, exec_lo, s15
	s_and_saveexec_b32 s15, s19
	s_cbranch_execz .LBB1113_522
.LBB1113_586:                           ;   in Loop: Header=BB1113_388 Depth=2
	v_lshlrev_b32_e32 v58, 2, v159
	ds_load_b32 v60, v58
	ds_load_b64 v[58:59], v123 offset:11264
	s_wait_dscnt 0x1
	v_add_nc_u32_e32 v60, v60, v102
	s_wait_dscnt 0x0
	global_store_b64 v60, v[58:59], s[46:47] scale_offset
	s_wait_xcnt 0x0
	s_or_b32 exec_lo, exec_lo, s15
	s_and_saveexec_b32 s15, s20
	s_cbranch_execz .LBB1113_523
.LBB1113_587:                           ;   in Loop: Header=BB1113_388 Depth=2
	v_lshlrev_b32_e32 v58, 2, v158
	ds_load_b32 v60, v58
	ds_load_b64 v[58:59], v123 offset:13312
	s_wait_dscnt 0x1
	v_add_nc_u32_e32 v60, v60, v103
	s_wait_dscnt 0x0
	global_store_b64 v60, v[58:59], s[46:47] scale_offset
	s_wait_xcnt 0x0
	s_or_b32 exec_lo, exec_lo, s15
	s_and_saveexec_b32 s15, s21
	s_cbranch_execz .LBB1113_524
.LBB1113_588:                           ;   in Loop: Header=BB1113_388 Depth=2
	v_lshlrev_b32_e32 v58, 2, v157
	ds_load_b32 v60, v58
	ds_load_b64 v[58:59], v123 offset:15360
	s_wait_dscnt 0x1
	v_add_nc_u32_e32 v60, v60, v104
	s_wait_dscnt 0x0
	global_store_b64 v60, v[58:59], s[46:47] scale_offset
	s_wait_xcnt 0x0
	s_or_b32 exec_lo, exec_lo, s15
	s_and_saveexec_b32 s15, s22
	s_cbranch_execz .LBB1113_525
.LBB1113_589:                           ;   in Loop: Header=BB1113_388 Depth=2
	v_lshlrev_b32_e32 v58, 2, v156
	ds_load_b32 v60, v58
	ds_load_b64 v[58:59], v123 offset:17408
	s_wait_dscnt 0x1
	v_add_nc_u32_e32 v60, v60, v105
	s_wait_dscnt 0x0
	global_store_b64 v60, v[58:59], s[46:47] scale_offset
	s_wait_xcnt 0x0
	s_or_b32 exec_lo, exec_lo, s15
	s_and_saveexec_b32 s15, s23
	s_cbranch_execz .LBB1113_526
.LBB1113_590:                           ;   in Loop: Header=BB1113_388 Depth=2
	v_lshlrev_b32_e32 v58, 2, v155
	ds_load_b32 v60, v58
	ds_load_b64 v[58:59], v123 offset:19456
	s_wait_dscnt 0x1
	v_add_nc_u32_e32 v60, v60, v106
	s_wait_dscnt 0x0
	global_store_b64 v60, v[58:59], s[46:47] scale_offset
	s_wait_xcnt 0x0
	s_or_b32 exec_lo, exec_lo, s15
	s_and_saveexec_b32 s15, s24
	s_cbranch_execz .LBB1113_527
.LBB1113_591:                           ;   in Loop: Header=BB1113_388 Depth=2
	v_lshlrev_b32_e32 v58, 2, v154
	ds_load_b32 v60, v58
	ds_load_b64 v[58:59], v123 offset:21504
	s_wait_dscnt 0x1
	v_add_nc_u32_e32 v60, v60, v107
	s_wait_dscnt 0x0
	global_store_b64 v60, v[58:59], s[46:47] scale_offset
	s_wait_xcnt 0x0
	s_or_b32 exec_lo, exec_lo, s15
	s_and_saveexec_b32 s15, s25
	s_cbranch_execz .LBB1113_528
.LBB1113_592:                           ;   in Loop: Header=BB1113_388 Depth=2
	v_lshlrev_b32_e32 v58, 2, v153
	ds_load_b32 v60, v58
	ds_load_b64 v[58:59], v123 offset:23552
	s_wait_dscnt 0x1
	v_add_nc_u32_e32 v60, v60, v108
	s_wait_dscnt 0x0
	global_store_b64 v60, v[58:59], s[46:47] scale_offset
	s_wait_xcnt 0x0
	s_or_b32 exec_lo, exec_lo, s15
	s_and_saveexec_b32 s15, s26
	s_cbranch_execz .LBB1113_529
.LBB1113_593:                           ;   in Loop: Header=BB1113_388 Depth=2
	v_lshlrev_b32_e32 v58, 2, v152
	ds_load_b32 v60, v58
	ds_load_b64 v[58:59], v123 offset:25600
	s_wait_dscnt 0x1
	v_add_nc_u32_e32 v60, v60, v109
	s_wait_dscnt 0x0
	global_store_b64 v60, v[58:59], s[46:47] scale_offset
	s_wait_xcnt 0x0
	s_or_b32 exec_lo, exec_lo, s15
	s_and_saveexec_b32 s15, s27
	s_cbranch_execz .LBB1113_530
.LBB1113_594:                           ;   in Loop: Header=BB1113_388 Depth=2
	v_lshlrev_b32_e32 v58, 2, v151
	ds_load_b32 v60, v58
	ds_load_b64 v[58:59], v123 offset:27648
	s_wait_dscnt 0x1
	v_add_nc_u32_e32 v60, v60, v110
	s_wait_dscnt 0x0
	global_store_b64 v60, v[58:59], s[46:47] scale_offset
	s_wait_xcnt 0x0
	s_or_b32 exec_lo, exec_lo, s15
	s_and_saveexec_b32 s15, s28
	s_cbranch_execz .LBB1113_531
.LBB1113_595:                           ;   in Loop: Header=BB1113_388 Depth=2
	v_lshlrev_b32_e32 v58, 2, v150
	ds_load_b32 v60, v58
	ds_load_b64 v[58:59], v123 offset:29696
	s_wait_dscnt 0x1
	v_add_nc_u32_e32 v60, v60, v111
	s_wait_dscnt 0x0
	global_store_b64 v60, v[58:59], s[46:47] scale_offset
	s_wait_xcnt 0x0
	s_or_b32 exec_lo, exec_lo, s15
	s_and_saveexec_b32 s15, s29
	s_cbranch_execnz .LBB1113_532
	s_branch .LBB1113_533
.LBB1113_596:                           ;   in Loop: Header=BB1113_12 Depth=1
	s_wait_dscnt 0x0
	s_barrier_signal -1
	s_barrier_wait -1
.LBB1113_597:                           ;   in Loop: Header=BB1113_12 Depth=1
	s_mov_b32 s7, 0
.LBB1113_598:                           ;   in Loop: Header=BB1113_12 Depth=1
	s_delay_alu instid0(SALU_CYCLE_1)
	s_and_not1_b32 vcc_lo, exec_lo, s7
	s_cbranch_vccnz .LBB1113_11
; %bb.599:                              ;   in Loop: Header=BB1113_12 Depth=1
	s_lshl_b32 s7, -1, s55
	s_and_b32 vcc_lo, exec_lo, s57
	s_not_b32 s55, s7
	s_mov_b32 s7, -1
	s_cbranch_vccz .LBB1113_891
; %bb.600:                              ;   in Loop: Header=BB1113_12 Depth=1
	s_mov_b32 s7, s58
	s_mov_b32 s34, s56
	s_barrier_signal -1
	s_barrier_wait -1
                                        ; implicit-def: $vgpr22_vgpr23
                                        ; implicit-def: $vgpr24_vgpr25
                                        ; implicit-def: $vgpr26_vgpr27
                                        ; implicit-def: $vgpr28_vgpr29
                                        ; implicit-def: $vgpr30_vgpr31
                                        ; implicit-def: $vgpr32_vgpr33
                                        ; implicit-def: $vgpr34_vgpr35
                                        ; implicit-def: $vgpr36_vgpr37
                                        ; implicit-def: $vgpr38_vgpr39
                                        ; implicit-def: $vgpr40_vgpr41
                                        ; implicit-def: $vgpr42_vgpr43
                                        ; implicit-def: $vgpr44_vgpr45
                                        ; implicit-def: $vgpr46_vgpr47
                                        ; implicit-def: $vgpr48_vgpr49
                                        ; implicit-def: $vgpr50_vgpr51
                                        ; implicit-def: $vgpr52_vgpr53
	s_branch .LBB1113_602
.LBB1113_601:                           ;   in Loop: Header=BB1113_602 Depth=2
	s_or_b32 exec_lo, exec_lo, s8
	s_addk_co_i32 s7, 0xf000
	s_cmp_ge_u32 s10, s51
	s_mov_b32 s34, s10
	s_cbranch_scc1 .LBB1113_670
.LBB1113_602:                           ;   Parent Loop BB1113_12 Depth=1
                                        ; =>  This Inner Loop Header: Depth=2
	s_add_co_i32 s10, s34, 0x1000
	s_mov_b32 s8, -1
	s_cmp_gt_u32 s10, s51
                                        ; implicit-def: $vgpr54_vgpr55
                                        ; implicit-def: $vgpr56_vgpr57
                                        ; implicit-def: $vgpr58_vgpr59
                                        ; implicit-def: $vgpr60_vgpr61
                                        ; implicit-def: $vgpr62_vgpr63
                                        ; implicit-def: $vgpr64_vgpr65
                                        ; implicit-def: $vgpr66_vgpr67
                                        ; implicit-def: $vgpr68_vgpr69
                                        ; implicit-def: $vgpr70_vgpr71
                                        ; implicit-def: $vgpr72_vgpr73
                                        ; implicit-def: $vgpr74_vgpr75
                                        ; implicit-def: $vgpr76_vgpr77
                                        ; implicit-def: $vgpr78_vgpr79
                                        ; implicit-def: $vgpr80_vgpr81
                                        ; implicit-def: $vgpr82_vgpr83
                                        ; implicit-def: $vgpr84_vgpr85
	s_cbranch_scc1 .LBB1113_604
; %bb.603:                              ;   in Loop: Header=BB1113_602 Depth=2
	v_lshl_add_u64 v[84:85], s[34:35], 3, v[16:17]
	s_mov_b32 s8, 0
	s_clause 0xf
	global_load_b64 v[54:55], v[84:85], off
	global_load_b64 v[56:57], v[84:85], off offset:2048
	global_load_b64 v[58:59], v[84:85], off offset:4096
	;; [unrolled: 1-line block ×15, first 2 shown]
.LBB1113_604:                           ;   in Loop: Header=BB1113_602 Depth=2
	s_and_not1_b32 vcc_lo, exec_lo, s8
	s_movk_i32 s8, 0x1000
	s_cbranch_vccnz .LBB1113_623
; %bb.605:                              ;   in Loop: Header=BB1113_602 Depth=2
	s_lshl_b64 s[8:9], s[34:35], 3
	s_mov_b32 s11, exec_lo
	s_add_nc_u64 s[8:9], s[36:37], s[8:9]
	s_wait_xcnt 0x0
	v_cmpx_gt_u32_e64 s7, v2
	s_cbranch_execnz .LBB1113_655
; %bb.606:                              ;   in Loop: Header=BB1113_602 Depth=2
	s_or_b32 exec_lo, exec_lo, s11
	s_delay_alu instid0(SALU_CYCLE_1)
	s_mov_b32 s11, exec_lo
	v_cmpx_gt_u32_e64 s7, v98
	s_cbranch_execnz .LBB1113_656
.LBB1113_607:                           ;   in Loop: Header=BB1113_602 Depth=2
	s_or_b32 exec_lo, exec_lo, s11
	s_delay_alu instid0(SALU_CYCLE_1)
	s_mov_b32 s11, exec_lo
	v_cmpx_gt_u32_e64 s7, v99
	s_cbranch_execnz .LBB1113_657
.LBB1113_608:                           ;   in Loop: Header=BB1113_602 Depth=2
	s_or_b32 exec_lo, exec_lo, s11
	s_delay_alu instid0(SALU_CYCLE_1)
	s_mov_b32 s11, exec_lo
	v_cmpx_gt_u32_e64 s7, v100
	s_cbranch_execnz .LBB1113_658
.LBB1113_609:                           ;   in Loop: Header=BB1113_602 Depth=2
	s_or_b32 exec_lo, exec_lo, s11
	s_delay_alu instid0(SALU_CYCLE_1)
	s_mov_b32 s11, exec_lo
	v_cmpx_gt_u32_e64 s7, v101
	s_cbranch_execnz .LBB1113_659
.LBB1113_610:                           ;   in Loop: Header=BB1113_602 Depth=2
	s_or_b32 exec_lo, exec_lo, s11
	s_delay_alu instid0(SALU_CYCLE_1)
	s_mov_b32 s11, exec_lo
	v_cmpx_gt_u32_e64 s7, v102
	s_cbranch_execnz .LBB1113_660
.LBB1113_611:                           ;   in Loop: Header=BB1113_602 Depth=2
	s_or_b32 exec_lo, exec_lo, s11
	s_delay_alu instid0(SALU_CYCLE_1)
	s_mov_b32 s11, exec_lo
	v_cmpx_gt_u32_e64 s7, v103
	s_cbranch_execnz .LBB1113_661
.LBB1113_612:                           ;   in Loop: Header=BB1113_602 Depth=2
	s_or_b32 exec_lo, exec_lo, s11
	s_delay_alu instid0(SALU_CYCLE_1)
	s_mov_b32 s11, exec_lo
	v_cmpx_gt_u32_e64 s7, v104
	s_cbranch_execnz .LBB1113_662
.LBB1113_613:                           ;   in Loop: Header=BB1113_602 Depth=2
	s_or_b32 exec_lo, exec_lo, s11
	s_delay_alu instid0(SALU_CYCLE_1)
	s_mov_b32 s11, exec_lo
	v_cmpx_gt_u32_e64 s7, v105
	s_cbranch_execnz .LBB1113_663
.LBB1113_614:                           ;   in Loop: Header=BB1113_602 Depth=2
	s_or_b32 exec_lo, exec_lo, s11
	s_delay_alu instid0(SALU_CYCLE_1)
	s_mov_b32 s11, exec_lo
	v_cmpx_gt_u32_e64 s7, v106
	s_cbranch_execnz .LBB1113_664
.LBB1113_615:                           ;   in Loop: Header=BB1113_602 Depth=2
	s_or_b32 exec_lo, exec_lo, s11
	s_delay_alu instid0(SALU_CYCLE_1)
	s_mov_b32 s11, exec_lo
	v_cmpx_gt_u32_e64 s7, v107
	s_cbranch_execnz .LBB1113_665
.LBB1113_616:                           ;   in Loop: Header=BB1113_602 Depth=2
	s_or_b32 exec_lo, exec_lo, s11
	s_delay_alu instid0(SALU_CYCLE_1)
	s_mov_b32 s11, exec_lo
	v_cmpx_gt_u32_e64 s7, v108
	s_cbranch_execnz .LBB1113_666
.LBB1113_617:                           ;   in Loop: Header=BB1113_602 Depth=2
	s_or_b32 exec_lo, exec_lo, s11
	s_delay_alu instid0(SALU_CYCLE_1)
	s_mov_b32 s11, exec_lo
	v_cmpx_gt_u32_e64 s7, v109
	s_cbranch_execnz .LBB1113_667
.LBB1113_618:                           ;   in Loop: Header=BB1113_602 Depth=2
	s_or_b32 exec_lo, exec_lo, s11
	s_delay_alu instid0(SALU_CYCLE_1)
	s_mov_b32 s11, exec_lo
	v_cmpx_gt_u32_e64 s7, v110
	s_cbranch_execnz .LBB1113_668
.LBB1113_619:                           ;   in Loop: Header=BB1113_602 Depth=2
	s_or_b32 exec_lo, exec_lo, s11
	s_delay_alu instid0(SALU_CYCLE_1)
	s_mov_b32 s11, exec_lo
	v_cmpx_gt_u32_e64 s7, v111
	s_cbranch_execnz .LBB1113_669
.LBB1113_620:                           ;   in Loop: Header=BB1113_602 Depth=2
	s_or_b32 exec_lo, exec_lo, s11
	s_delay_alu instid0(SALU_CYCLE_1)
	s_mov_b32 s11, exec_lo
	v_cmpx_gt_u32_e64 s7, v112
	s_cbranch_execz .LBB1113_622
.LBB1113_621:                           ;   in Loop: Header=BB1113_602 Depth=2
	global_load_b64 v[22:23], v2, s[8:9] offset:30720 scale_offset
.LBB1113_622:                           ;   in Loop: Header=BB1113_602 Depth=2
	s_wait_xcnt 0x0
	s_or_b32 exec_lo, exec_lo, s11
	s_wait_loadcnt 0x0
	v_mov_b64_e32 v[54:55], v[52:53]
	v_mov_b64_e32 v[56:57], v[50:51]
	;; [unrolled: 1-line block ×16, first 2 shown]
	s_mov_b32 s8, s7
.LBB1113_623:                           ;   in Loop: Header=BB1113_602 Depth=2
	s_wait_loadcnt 0x0
	s_delay_alu instid0(VALU_DEP_1) | instskip(NEXT) | instid1(VALU_DEP_3)
	v_mov_b64_e32 v[22:23], v[84:85]
	v_mov_b64_e32 v[24:25], v[82:83]
	v_mov_b64_e32 v[26:27], v[80:81]
	v_mov_b64_e32 v[28:29], v[78:79]
	v_mov_b64_e32 v[30:31], v[76:77]
	v_mov_b64_e32 v[32:33], v[74:75]
	v_mov_b64_e32 v[34:35], v[72:73]
	v_mov_b64_e32 v[36:37], v[70:71]
	v_mov_b64_e32 v[38:39], v[68:69]
	v_mov_b64_e32 v[40:41], v[66:67]
	v_mov_b64_e32 v[42:43], v[64:65]
	v_mov_b64_e32 v[44:45], v[62:63]
	v_mov_b64_e32 v[46:47], v[60:61]
	v_mov_b64_e32 v[48:49], v[58:59]
	v_mov_b64_e32 v[50:51], v[56:57]
	v_mov_b64_e32 v[52:53], v[54:55]
	s_mov_b32 s9, exec_lo
	s_wait_xcnt 0x0
	v_cmpx_gt_u32_e64 s8, v2
	s_cbranch_execnz .LBB1113_639
; %bb.624:                              ;   in Loop: Header=BB1113_602 Depth=2
	s_or_b32 exec_lo, exec_lo, s9
	s_delay_alu instid0(SALU_CYCLE_1)
	s_mov_b32 s9, exec_lo
	v_cmpx_gt_u32_e64 s8, v98
	s_cbranch_execnz .LBB1113_640
.LBB1113_625:                           ;   in Loop: Header=BB1113_602 Depth=2
	s_or_b32 exec_lo, exec_lo, s9
	s_delay_alu instid0(SALU_CYCLE_1)
	s_mov_b32 s9, exec_lo
	v_cmpx_gt_u32_e64 s8, v99
	s_cbranch_execnz .LBB1113_641
.LBB1113_626:                           ;   in Loop: Header=BB1113_602 Depth=2
	s_or_b32 exec_lo, exec_lo, s9
	s_delay_alu instid0(SALU_CYCLE_1)
	s_mov_b32 s9, exec_lo
	v_cmpx_gt_u32_e64 s8, v100
	s_cbranch_execnz .LBB1113_642
.LBB1113_627:                           ;   in Loop: Header=BB1113_602 Depth=2
	s_or_b32 exec_lo, exec_lo, s9
	s_delay_alu instid0(SALU_CYCLE_1)
	s_mov_b32 s9, exec_lo
	v_cmpx_gt_u32_e64 s8, v101
	s_cbranch_execnz .LBB1113_643
.LBB1113_628:                           ;   in Loop: Header=BB1113_602 Depth=2
	s_or_b32 exec_lo, exec_lo, s9
	s_delay_alu instid0(SALU_CYCLE_1)
	s_mov_b32 s9, exec_lo
	v_cmpx_gt_u32_e64 s8, v102
	s_cbranch_execnz .LBB1113_644
.LBB1113_629:                           ;   in Loop: Header=BB1113_602 Depth=2
	s_or_b32 exec_lo, exec_lo, s9
	s_delay_alu instid0(SALU_CYCLE_1)
	s_mov_b32 s9, exec_lo
	v_cmpx_gt_u32_e64 s8, v103
	s_cbranch_execnz .LBB1113_645
.LBB1113_630:                           ;   in Loop: Header=BB1113_602 Depth=2
	s_or_b32 exec_lo, exec_lo, s9
	s_delay_alu instid0(SALU_CYCLE_1)
	s_mov_b32 s9, exec_lo
	v_cmpx_gt_u32_e64 s8, v104
	s_cbranch_execnz .LBB1113_646
.LBB1113_631:                           ;   in Loop: Header=BB1113_602 Depth=2
	s_or_b32 exec_lo, exec_lo, s9
	s_delay_alu instid0(SALU_CYCLE_1)
	s_mov_b32 s9, exec_lo
	v_cmpx_gt_u32_e64 s8, v105
	s_cbranch_execnz .LBB1113_647
.LBB1113_632:                           ;   in Loop: Header=BB1113_602 Depth=2
	s_or_b32 exec_lo, exec_lo, s9
	s_delay_alu instid0(SALU_CYCLE_1)
	s_mov_b32 s9, exec_lo
	v_cmpx_gt_u32_e64 s8, v106
	s_cbranch_execnz .LBB1113_648
.LBB1113_633:                           ;   in Loop: Header=BB1113_602 Depth=2
	s_or_b32 exec_lo, exec_lo, s9
	s_delay_alu instid0(SALU_CYCLE_1)
	s_mov_b32 s9, exec_lo
	v_cmpx_gt_u32_e64 s8, v107
	s_cbranch_execnz .LBB1113_649
.LBB1113_634:                           ;   in Loop: Header=BB1113_602 Depth=2
	s_or_b32 exec_lo, exec_lo, s9
	s_delay_alu instid0(SALU_CYCLE_1)
	s_mov_b32 s9, exec_lo
	v_cmpx_gt_u32_e64 s8, v108
	s_cbranch_execnz .LBB1113_650
.LBB1113_635:                           ;   in Loop: Header=BB1113_602 Depth=2
	s_or_b32 exec_lo, exec_lo, s9
	s_delay_alu instid0(SALU_CYCLE_1)
	s_mov_b32 s9, exec_lo
	v_cmpx_gt_u32_e64 s8, v109
	s_cbranch_execnz .LBB1113_651
.LBB1113_636:                           ;   in Loop: Header=BB1113_602 Depth=2
	s_or_b32 exec_lo, exec_lo, s9
	s_delay_alu instid0(SALU_CYCLE_1)
	s_mov_b32 s9, exec_lo
	v_cmpx_gt_u32_e64 s8, v110
	s_cbranch_execnz .LBB1113_652
.LBB1113_637:                           ;   in Loop: Header=BB1113_602 Depth=2
	s_or_b32 exec_lo, exec_lo, s9
	s_delay_alu instid0(SALU_CYCLE_1)
	s_mov_b32 s9, exec_lo
	v_cmpx_gt_u32_e64 s8, v111
	s_cbranch_execnz .LBB1113_653
.LBB1113_638:                           ;   in Loop: Header=BB1113_602 Depth=2
	s_or_b32 exec_lo, exec_lo, s9
	v_cmp_gt_u32_e32 vcc_lo, s8, v112
	s_and_saveexec_b32 s8, vcc_lo
	s_cbranch_execz .LBB1113_601
	s_branch .LBB1113_654
.LBB1113_639:                           ;   in Loop: Header=BB1113_602 Depth=2
	s_delay_alu instid0(VALU_DEP_2) | instskip(SKIP_1) | instid1(VALU_DEP_1)
	v_cmp_gt_i64_e32 vcc_lo, 0, v[52:53]
	v_cndmask_b32_e64 v55, 0x7fffffff, 0, vcc_lo
	v_dual_ashrrev_i32 v54, 31, v53 :: v_dual_bitop2_b32 v55, v55, v53 bitop3:0x14
	s_delay_alu instid0(VALU_DEP_1) | instskip(NEXT) | instid1(VALU_DEP_1)
	v_not_b32_e32 v54, v54
	v_xor_b32_e32 v54, v54, v52
	s_delay_alu instid0(VALU_DEP_1) | instskip(SKIP_2) | instid1(VALU_DEP_1)
	v_cmp_ne_u64_e32 vcc_lo, s[42:43], v[54:55]
	v_cndmask_b32_e32 v55, 0x7fffffff, v55, vcc_lo
	v_cndmask_b32_e32 v54, -1, v54, vcc_lo
	v_lshrrev_b64 v[54:55], s48, v[54:55]
	s_delay_alu instid0(VALU_DEP_1) | instskip(NEXT) | instid1(VALU_DEP_1)
	v_and_b32_e32 v54, s55, v54
	v_lshl_or_b32 v54, v54, 4, v113
	ds_add_u32 v54, v125
	s_or_b32 exec_lo, exec_lo, s9
	s_delay_alu instid0(SALU_CYCLE_1)
	s_mov_b32 s9, exec_lo
	v_cmpx_gt_u32_e64 s8, v98
	s_cbranch_execz .LBB1113_625
.LBB1113_640:                           ;   in Loop: Header=BB1113_602 Depth=2
	v_cmp_gt_i64_e32 vcc_lo, 0, v[50:51]
	v_cndmask_b32_e64 v55, 0x7fffffff, 0, vcc_lo
	s_delay_alu instid0(VALU_DEP_1) | instskip(NEXT) | instid1(VALU_DEP_1)
	v_dual_ashrrev_i32 v54, 31, v51 :: v_dual_bitop2_b32 v55, v55, v51 bitop3:0x14
	v_not_b32_e32 v54, v54
	s_delay_alu instid0(VALU_DEP_1) | instskip(NEXT) | instid1(VALU_DEP_1)
	v_xor_b32_e32 v54, v54, v50
	v_cmp_ne_u64_e32 vcc_lo, s[42:43], v[54:55]
	v_cndmask_b32_e32 v55, 0x7fffffff, v55, vcc_lo
	v_cndmask_b32_e32 v54, -1, v54, vcc_lo
	s_delay_alu instid0(VALU_DEP_1) | instskip(NEXT) | instid1(VALU_DEP_1)
	v_lshrrev_b64 v[54:55], s48, v[54:55]
	v_and_b32_e32 v54, s55, v54
	s_delay_alu instid0(VALU_DEP_1) | instskip(SKIP_2) | instid1(SALU_CYCLE_1)
	v_lshl_or_b32 v54, v54, 4, v113
	ds_add_u32 v54, v125
	s_or_b32 exec_lo, exec_lo, s9
	s_mov_b32 s9, exec_lo
	v_cmpx_gt_u32_e64 s8, v99
	s_cbranch_execz .LBB1113_626
.LBB1113_641:                           ;   in Loop: Header=BB1113_602 Depth=2
	v_cmp_gt_i64_e32 vcc_lo, 0, v[48:49]
	v_cndmask_b32_e64 v55, 0x7fffffff, 0, vcc_lo
	s_delay_alu instid0(VALU_DEP_1) | instskip(NEXT) | instid1(VALU_DEP_1)
	v_dual_ashrrev_i32 v54, 31, v49 :: v_dual_bitop2_b32 v55, v55, v49 bitop3:0x14
	v_not_b32_e32 v54, v54
	s_delay_alu instid0(VALU_DEP_1) | instskip(NEXT) | instid1(VALU_DEP_1)
	v_xor_b32_e32 v54, v54, v48
	v_cmp_ne_u64_e32 vcc_lo, s[42:43], v[54:55]
	v_cndmask_b32_e32 v55, 0x7fffffff, v55, vcc_lo
	v_cndmask_b32_e32 v54, -1, v54, vcc_lo
	s_delay_alu instid0(VALU_DEP_1) | instskip(NEXT) | instid1(VALU_DEP_1)
	v_lshrrev_b64 v[54:55], s48, v[54:55]
	v_and_b32_e32 v54, s55, v54
	s_delay_alu instid0(VALU_DEP_1) | instskip(SKIP_2) | instid1(SALU_CYCLE_1)
	v_lshl_or_b32 v54, v54, 4, v113
	ds_add_u32 v54, v125
	s_or_b32 exec_lo, exec_lo, s9
	s_mov_b32 s9, exec_lo
	v_cmpx_gt_u32_e64 s8, v100
	s_cbranch_execz .LBB1113_627
.LBB1113_642:                           ;   in Loop: Header=BB1113_602 Depth=2
	v_cmp_gt_i64_e32 vcc_lo, 0, v[46:47]
	v_cndmask_b32_e64 v55, 0x7fffffff, 0, vcc_lo
	s_delay_alu instid0(VALU_DEP_1) | instskip(NEXT) | instid1(VALU_DEP_1)
	v_dual_ashrrev_i32 v54, 31, v47 :: v_dual_bitop2_b32 v55, v55, v47 bitop3:0x14
	v_not_b32_e32 v54, v54
	s_delay_alu instid0(VALU_DEP_1) | instskip(NEXT) | instid1(VALU_DEP_1)
	v_xor_b32_e32 v54, v54, v46
	v_cmp_ne_u64_e32 vcc_lo, s[42:43], v[54:55]
	v_cndmask_b32_e32 v55, 0x7fffffff, v55, vcc_lo
	v_cndmask_b32_e32 v54, -1, v54, vcc_lo
	s_delay_alu instid0(VALU_DEP_1) | instskip(NEXT) | instid1(VALU_DEP_1)
	v_lshrrev_b64 v[54:55], s48, v[54:55]
	v_and_b32_e32 v54, s55, v54
	s_delay_alu instid0(VALU_DEP_1) | instskip(SKIP_2) | instid1(SALU_CYCLE_1)
	v_lshl_or_b32 v54, v54, 4, v113
	ds_add_u32 v54, v125
	s_or_b32 exec_lo, exec_lo, s9
	s_mov_b32 s9, exec_lo
	v_cmpx_gt_u32_e64 s8, v101
	s_cbranch_execz .LBB1113_628
.LBB1113_643:                           ;   in Loop: Header=BB1113_602 Depth=2
	v_cmp_gt_i64_e32 vcc_lo, 0, v[44:45]
	v_cndmask_b32_e64 v55, 0x7fffffff, 0, vcc_lo
	s_delay_alu instid0(VALU_DEP_1) | instskip(NEXT) | instid1(VALU_DEP_1)
	v_dual_ashrrev_i32 v54, 31, v45 :: v_dual_bitop2_b32 v55, v55, v45 bitop3:0x14
	v_not_b32_e32 v54, v54
	s_delay_alu instid0(VALU_DEP_1) | instskip(NEXT) | instid1(VALU_DEP_1)
	v_xor_b32_e32 v54, v54, v44
	v_cmp_ne_u64_e32 vcc_lo, s[42:43], v[54:55]
	v_cndmask_b32_e32 v55, 0x7fffffff, v55, vcc_lo
	v_cndmask_b32_e32 v54, -1, v54, vcc_lo
	s_delay_alu instid0(VALU_DEP_1) | instskip(NEXT) | instid1(VALU_DEP_1)
	v_lshrrev_b64 v[54:55], s48, v[54:55]
	v_and_b32_e32 v54, s55, v54
	s_delay_alu instid0(VALU_DEP_1) | instskip(SKIP_2) | instid1(SALU_CYCLE_1)
	v_lshl_or_b32 v54, v54, 4, v113
	ds_add_u32 v54, v125
	s_or_b32 exec_lo, exec_lo, s9
	s_mov_b32 s9, exec_lo
	v_cmpx_gt_u32_e64 s8, v102
	s_cbranch_execz .LBB1113_629
.LBB1113_644:                           ;   in Loop: Header=BB1113_602 Depth=2
	v_cmp_gt_i64_e32 vcc_lo, 0, v[42:43]
	v_cndmask_b32_e64 v55, 0x7fffffff, 0, vcc_lo
	s_delay_alu instid0(VALU_DEP_1) | instskip(NEXT) | instid1(VALU_DEP_1)
	v_dual_ashrrev_i32 v54, 31, v43 :: v_dual_bitop2_b32 v55, v55, v43 bitop3:0x14
	v_not_b32_e32 v54, v54
	s_delay_alu instid0(VALU_DEP_1) | instskip(NEXT) | instid1(VALU_DEP_1)
	v_xor_b32_e32 v54, v54, v42
	v_cmp_ne_u64_e32 vcc_lo, s[42:43], v[54:55]
	v_cndmask_b32_e32 v55, 0x7fffffff, v55, vcc_lo
	v_cndmask_b32_e32 v54, -1, v54, vcc_lo
	s_delay_alu instid0(VALU_DEP_1) | instskip(NEXT) | instid1(VALU_DEP_1)
	v_lshrrev_b64 v[54:55], s48, v[54:55]
	v_and_b32_e32 v54, s55, v54
	s_delay_alu instid0(VALU_DEP_1) | instskip(SKIP_2) | instid1(SALU_CYCLE_1)
	v_lshl_or_b32 v54, v54, 4, v113
	ds_add_u32 v54, v125
	s_or_b32 exec_lo, exec_lo, s9
	s_mov_b32 s9, exec_lo
	v_cmpx_gt_u32_e64 s8, v103
	s_cbranch_execz .LBB1113_630
.LBB1113_645:                           ;   in Loop: Header=BB1113_602 Depth=2
	v_cmp_gt_i64_e32 vcc_lo, 0, v[40:41]
	v_cndmask_b32_e64 v55, 0x7fffffff, 0, vcc_lo
	s_delay_alu instid0(VALU_DEP_1) | instskip(NEXT) | instid1(VALU_DEP_1)
	v_dual_ashrrev_i32 v54, 31, v41 :: v_dual_bitop2_b32 v55, v55, v41 bitop3:0x14
	v_not_b32_e32 v54, v54
	s_delay_alu instid0(VALU_DEP_1) | instskip(NEXT) | instid1(VALU_DEP_1)
	v_xor_b32_e32 v54, v54, v40
	v_cmp_ne_u64_e32 vcc_lo, s[42:43], v[54:55]
	v_cndmask_b32_e32 v55, 0x7fffffff, v55, vcc_lo
	v_cndmask_b32_e32 v54, -1, v54, vcc_lo
	s_delay_alu instid0(VALU_DEP_1) | instskip(NEXT) | instid1(VALU_DEP_1)
	v_lshrrev_b64 v[54:55], s48, v[54:55]
	v_and_b32_e32 v54, s55, v54
	s_delay_alu instid0(VALU_DEP_1) | instskip(SKIP_2) | instid1(SALU_CYCLE_1)
	v_lshl_or_b32 v54, v54, 4, v113
	ds_add_u32 v54, v125
	s_or_b32 exec_lo, exec_lo, s9
	s_mov_b32 s9, exec_lo
	v_cmpx_gt_u32_e64 s8, v104
	s_cbranch_execz .LBB1113_631
.LBB1113_646:                           ;   in Loop: Header=BB1113_602 Depth=2
	v_cmp_gt_i64_e32 vcc_lo, 0, v[38:39]
	v_cndmask_b32_e64 v55, 0x7fffffff, 0, vcc_lo
	s_delay_alu instid0(VALU_DEP_1) | instskip(NEXT) | instid1(VALU_DEP_1)
	v_dual_ashrrev_i32 v54, 31, v39 :: v_dual_bitop2_b32 v55, v55, v39 bitop3:0x14
	v_not_b32_e32 v54, v54
	s_delay_alu instid0(VALU_DEP_1) | instskip(NEXT) | instid1(VALU_DEP_1)
	v_xor_b32_e32 v54, v54, v38
	v_cmp_ne_u64_e32 vcc_lo, s[42:43], v[54:55]
	v_cndmask_b32_e32 v55, 0x7fffffff, v55, vcc_lo
	v_cndmask_b32_e32 v54, -1, v54, vcc_lo
	s_delay_alu instid0(VALU_DEP_1) | instskip(NEXT) | instid1(VALU_DEP_1)
	v_lshrrev_b64 v[54:55], s48, v[54:55]
	v_and_b32_e32 v54, s55, v54
	s_delay_alu instid0(VALU_DEP_1) | instskip(SKIP_2) | instid1(SALU_CYCLE_1)
	v_lshl_or_b32 v54, v54, 4, v113
	ds_add_u32 v54, v125
	s_or_b32 exec_lo, exec_lo, s9
	s_mov_b32 s9, exec_lo
	v_cmpx_gt_u32_e64 s8, v105
	s_cbranch_execz .LBB1113_632
.LBB1113_647:                           ;   in Loop: Header=BB1113_602 Depth=2
	v_cmp_gt_i64_e32 vcc_lo, 0, v[36:37]
	v_cndmask_b32_e64 v55, 0x7fffffff, 0, vcc_lo
	s_delay_alu instid0(VALU_DEP_1) | instskip(NEXT) | instid1(VALU_DEP_1)
	v_dual_ashrrev_i32 v54, 31, v37 :: v_dual_bitop2_b32 v55, v55, v37 bitop3:0x14
	v_not_b32_e32 v54, v54
	s_delay_alu instid0(VALU_DEP_1) | instskip(NEXT) | instid1(VALU_DEP_1)
	v_xor_b32_e32 v54, v54, v36
	v_cmp_ne_u64_e32 vcc_lo, s[42:43], v[54:55]
	v_cndmask_b32_e32 v55, 0x7fffffff, v55, vcc_lo
	v_cndmask_b32_e32 v54, -1, v54, vcc_lo
	s_delay_alu instid0(VALU_DEP_1) | instskip(NEXT) | instid1(VALU_DEP_1)
	v_lshrrev_b64 v[54:55], s48, v[54:55]
	v_and_b32_e32 v54, s55, v54
	s_delay_alu instid0(VALU_DEP_1) | instskip(SKIP_2) | instid1(SALU_CYCLE_1)
	v_lshl_or_b32 v54, v54, 4, v113
	ds_add_u32 v54, v125
	s_or_b32 exec_lo, exec_lo, s9
	s_mov_b32 s9, exec_lo
	v_cmpx_gt_u32_e64 s8, v106
	s_cbranch_execz .LBB1113_633
.LBB1113_648:                           ;   in Loop: Header=BB1113_602 Depth=2
	v_cmp_gt_i64_e32 vcc_lo, 0, v[34:35]
	v_cndmask_b32_e64 v55, 0x7fffffff, 0, vcc_lo
	s_delay_alu instid0(VALU_DEP_1) | instskip(NEXT) | instid1(VALU_DEP_1)
	v_dual_ashrrev_i32 v54, 31, v35 :: v_dual_bitop2_b32 v55, v55, v35 bitop3:0x14
	v_not_b32_e32 v54, v54
	s_delay_alu instid0(VALU_DEP_1) | instskip(NEXT) | instid1(VALU_DEP_1)
	v_xor_b32_e32 v54, v54, v34
	v_cmp_ne_u64_e32 vcc_lo, s[42:43], v[54:55]
	v_cndmask_b32_e32 v55, 0x7fffffff, v55, vcc_lo
	v_cndmask_b32_e32 v54, -1, v54, vcc_lo
	s_delay_alu instid0(VALU_DEP_1) | instskip(NEXT) | instid1(VALU_DEP_1)
	v_lshrrev_b64 v[54:55], s48, v[54:55]
	v_and_b32_e32 v54, s55, v54
	s_delay_alu instid0(VALU_DEP_1) | instskip(SKIP_2) | instid1(SALU_CYCLE_1)
	v_lshl_or_b32 v54, v54, 4, v113
	ds_add_u32 v54, v125
	s_or_b32 exec_lo, exec_lo, s9
	s_mov_b32 s9, exec_lo
	v_cmpx_gt_u32_e64 s8, v107
	s_cbranch_execz .LBB1113_634
.LBB1113_649:                           ;   in Loop: Header=BB1113_602 Depth=2
	v_cmp_gt_i64_e32 vcc_lo, 0, v[32:33]
	v_cndmask_b32_e64 v55, 0x7fffffff, 0, vcc_lo
	s_delay_alu instid0(VALU_DEP_1) | instskip(NEXT) | instid1(VALU_DEP_1)
	v_dual_ashrrev_i32 v54, 31, v33 :: v_dual_bitop2_b32 v55, v55, v33 bitop3:0x14
	v_not_b32_e32 v54, v54
	s_delay_alu instid0(VALU_DEP_1) | instskip(NEXT) | instid1(VALU_DEP_1)
	v_xor_b32_e32 v54, v54, v32
	v_cmp_ne_u64_e32 vcc_lo, s[42:43], v[54:55]
	v_cndmask_b32_e32 v55, 0x7fffffff, v55, vcc_lo
	v_cndmask_b32_e32 v54, -1, v54, vcc_lo
	s_delay_alu instid0(VALU_DEP_1) | instskip(NEXT) | instid1(VALU_DEP_1)
	v_lshrrev_b64 v[54:55], s48, v[54:55]
	v_and_b32_e32 v54, s55, v54
	s_delay_alu instid0(VALU_DEP_1) | instskip(SKIP_2) | instid1(SALU_CYCLE_1)
	v_lshl_or_b32 v54, v54, 4, v113
	ds_add_u32 v54, v125
	s_or_b32 exec_lo, exec_lo, s9
	s_mov_b32 s9, exec_lo
	v_cmpx_gt_u32_e64 s8, v108
	s_cbranch_execz .LBB1113_635
.LBB1113_650:                           ;   in Loop: Header=BB1113_602 Depth=2
	v_cmp_gt_i64_e32 vcc_lo, 0, v[30:31]
	v_cndmask_b32_e64 v55, 0x7fffffff, 0, vcc_lo
	s_delay_alu instid0(VALU_DEP_1) | instskip(NEXT) | instid1(VALU_DEP_1)
	v_dual_ashrrev_i32 v54, 31, v31 :: v_dual_bitop2_b32 v55, v55, v31 bitop3:0x14
	v_not_b32_e32 v54, v54
	s_delay_alu instid0(VALU_DEP_1) | instskip(NEXT) | instid1(VALU_DEP_1)
	v_xor_b32_e32 v54, v54, v30
	v_cmp_ne_u64_e32 vcc_lo, s[42:43], v[54:55]
	v_cndmask_b32_e32 v55, 0x7fffffff, v55, vcc_lo
	v_cndmask_b32_e32 v54, -1, v54, vcc_lo
	s_delay_alu instid0(VALU_DEP_1) | instskip(NEXT) | instid1(VALU_DEP_1)
	v_lshrrev_b64 v[54:55], s48, v[54:55]
	v_and_b32_e32 v54, s55, v54
	s_delay_alu instid0(VALU_DEP_1) | instskip(SKIP_2) | instid1(SALU_CYCLE_1)
	v_lshl_or_b32 v54, v54, 4, v113
	ds_add_u32 v54, v125
	s_or_b32 exec_lo, exec_lo, s9
	s_mov_b32 s9, exec_lo
	v_cmpx_gt_u32_e64 s8, v109
	s_cbranch_execz .LBB1113_636
.LBB1113_651:                           ;   in Loop: Header=BB1113_602 Depth=2
	v_cmp_gt_i64_e32 vcc_lo, 0, v[28:29]
	v_cndmask_b32_e64 v55, 0x7fffffff, 0, vcc_lo
	s_delay_alu instid0(VALU_DEP_1) | instskip(NEXT) | instid1(VALU_DEP_1)
	v_dual_ashrrev_i32 v54, 31, v29 :: v_dual_bitop2_b32 v55, v55, v29 bitop3:0x14
	v_not_b32_e32 v54, v54
	s_delay_alu instid0(VALU_DEP_1) | instskip(NEXT) | instid1(VALU_DEP_1)
	v_xor_b32_e32 v54, v54, v28
	v_cmp_ne_u64_e32 vcc_lo, s[42:43], v[54:55]
	v_cndmask_b32_e32 v55, 0x7fffffff, v55, vcc_lo
	v_cndmask_b32_e32 v54, -1, v54, vcc_lo
	s_delay_alu instid0(VALU_DEP_1) | instskip(NEXT) | instid1(VALU_DEP_1)
	v_lshrrev_b64 v[54:55], s48, v[54:55]
	v_and_b32_e32 v54, s55, v54
	s_delay_alu instid0(VALU_DEP_1) | instskip(SKIP_2) | instid1(SALU_CYCLE_1)
	v_lshl_or_b32 v54, v54, 4, v113
	ds_add_u32 v54, v125
	s_or_b32 exec_lo, exec_lo, s9
	s_mov_b32 s9, exec_lo
	v_cmpx_gt_u32_e64 s8, v110
	s_cbranch_execz .LBB1113_637
.LBB1113_652:                           ;   in Loop: Header=BB1113_602 Depth=2
	v_cmp_gt_i64_e32 vcc_lo, 0, v[26:27]
	v_cndmask_b32_e64 v55, 0x7fffffff, 0, vcc_lo
	s_delay_alu instid0(VALU_DEP_1) | instskip(NEXT) | instid1(VALU_DEP_1)
	v_dual_ashrrev_i32 v54, 31, v27 :: v_dual_bitop2_b32 v55, v55, v27 bitop3:0x14
	v_not_b32_e32 v54, v54
	s_delay_alu instid0(VALU_DEP_1) | instskip(NEXT) | instid1(VALU_DEP_1)
	v_xor_b32_e32 v54, v54, v26
	v_cmp_ne_u64_e32 vcc_lo, s[42:43], v[54:55]
	v_cndmask_b32_e32 v55, 0x7fffffff, v55, vcc_lo
	v_cndmask_b32_e32 v54, -1, v54, vcc_lo
	s_delay_alu instid0(VALU_DEP_1) | instskip(NEXT) | instid1(VALU_DEP_1)
	v_lshrrev_b64 v[54:55], s48, v[54:55]
	v_and_b32_e32 v54, s55, v54
	s_delay_alu instid0(VALU_DEP_1) | instskip(SKIP_2) | instid1(SALU_CYCLE_1)
	v_lshl_or_b32 v54, v54, 4, v113
	ds_add_u32 v54, v125
	s_or_b32 exec_lo, exec_lo, s9
	s_mov_b32 s9, exec_lo
	v_cmpx_gt_u32_e64 s8, v111
	s_cbranch_execz .LBB1113_638
.LBB1113_653:                           ;   in Loop: Header=BB1113_602 Depth=2
	v_cmp_gt_i64_e32 vcc_lo, 0, v[24:25]
	v_cndmask_b32_e64 v55, 0x7fffffff, 0, vcc_lo
	s_delay_alu instid0(VALU_DEP_1) | instskip(NEXT) | instid1(VALU_DEP_1)
	v_dual_ashrrev_i32 v54, 31, v25 :: v_dual_bitop2_b32 v55, v55, v25 bitop3:0x14
	v_not_b32_e32 v54, v54
	s_delay_alu instid0(VALU_DEP_1) | instskip(NEXT) | instid1(VALU_DEP_1)
	v_xor_b32_e32 v54, v54, v24
	v_cmp_ne_u64_e32 vcc_lo, s[42:43], v[54:55]
	v_cndmask_b32_e32 v55, 0x7fffffff, v55, vcc_lo
	v_cndmask_b32_e32 v54, -1, v54, vcc_lo
	s_delay_alu instid0(VALU_DEP_1) | instskip(NEXT) | instid1(VALU_DEP_1)
	v_lshrrev_b64 v[54:55], s48, v[54:55]
	v_and_b32_e32 v54, s55, v54
	s_delay_alu instid0(VALU_DEP_1)
	v_lshl_or_b32 v54, v54, 4, v113
	ds_add_u32 v54, v125
	s_or_b32 exec_lo, exec_lo, s9
	v_cmp_gt_u32_e32 vcc_lo, s8, v112
	s_and_saveexec_b32 s8, vcc_lo
	s_cbranch_execz .LBB1113_601
.LBB1113_654:                           ;   in Loop: Header=BB1113_602 Depth=2
	v_cmp_gt_i64_e32 vcc_lo, 0, v[22:23]
	v_cndmask_b32_e64 v55, 0x7fffffff, 0, vcc_lo
	s_delay_alu instid0(VALU_DEP_1) | instskip(NEXT) | instid1(VALU_DEP_1)
	v_dual_ashrrev_i32 v54, 31, v23 :: v_dual_bitop2_b32 v55, v55, v23 bitop3:0x14
	v_not_b32_e32 v54, v54
	s_delay_alu instid0(VALU_DEP_1) | instskip(NEXT) | instid1(VALU_DEP_1)
	v_xor_b32_e32 v54, v54, v22
	v_cmp_ne_u64_e32 vcc_lo, s[42:43], v[54:55]
	v_cndmask_b32_e32 v55, 0x7fffffff, v55, vcc_lo
	v_cndmask_b32_e32 v54, -1, v54, vcc_lo
	s_delay_alu instid0(VALU_DEP_1) | instskip(NEXT) | instid1(VALU_DEP_1)
	v_lshrrev_b64 v[54:55], s48, v[54:55]
	v_and_b32_e32 v54, s55, v54
	s_delay_alu instid0(VALU_DEP_1)
	v_lshl_or_b32 v54, v54, 4, v113
	ds_add_u32 v54, v125
	s_branch .LBB1113_601
.LBB1113_655:                           ;   in Loop: Header=BB1113_602 Depth=2
	global_load_b64 v[52:53], v2, s[8:9] scale_offset
	s_wait_xcnt 0x0
	s_or_b32 exec_lo, exec_lo, s11
	s_delay_alu instid0(SALU_CYCLE_1)
	s_mov_b32 s11, exec_lo
	v_cmpx_gt_u32_e64 s7, v98
	s_cbranch_execz .LBB1113_607
.LBB1113_656:                           ;   in Loop: Header=BB1113_602 Depth=2
	global_load_b64 v[50:51], v2, s[8:9] offset:2048 scale_offset
	s_wait_xcnt 0x0
	s_or_b32 exec_lo, exec_lo, s11
	s_delay_alu instid0(SALU_CYCLE_1)
	s_mov_b32 s11, exec_lo
	v_cmpx_gt_u32_e64 s7, v99
	s_cbranch_execz .LBB1113_608
.LBB1113_657:                           ;   in Loop: Header=BB1113_602 Depth=2
	global_load_b64 v[48:49], v2, s[8:9] offset:4096 scale_offset
	s_wait_xcnt 0x0
	s_or_b32 exec_lo, exec_lo, s11
	s_delay_alu instid0(SALU_CYCLE_1)
	s_mov_b32 s11, exec_lo
	v_cmpx_gt_u32_e64 s7, v100
	s_cbranch_execz .LBB1113_609
.LBB1113_658:                           ;   in Loop: Header=BB1113_602 Depth=2
	global_load_b64 v[46:47], v2, s[8:9] offset:6144 scale_offset
	s_wait_xcnt 0x0
	s_or_b32 exec_lo, exec_lo, s11
	s_delay_alu instid0(SALU_CYCLE_1)
	s_mov_b32 s11, exec_lo
	v_cmpx_gt_u32_e64 s7, v101
	s_cbranch_execz .LBB1113_610
.LBB1113_659:                           ;   in Loop: Header=BB1113_602 Depth=2
	global_load_b64 v[44:45], v2, s[8:9] offset:8192 scale_offset
	s_wait_xcnt 0x0
	s_or_b32 exec_lo, exec_lo, s11
	s_delay_alu instid0(SALU_CYCLE_1)
	s_mov_b32 s11, exec_lo
	v_cmpx_gt_u32_e64 s7, v102
	s_cbranch_execz .LBB1113_611
.LBB1113_660:                           ;   in Loop: Header=BB1113_602 Depth=2
	global_load_b64 v[42:43], v2, s[8:9] offset:10240 scale_offset
	s_wait_xcnt 0x0
	s_or_b32 exec_lo, exec_lo, s11
	s_delay_alu instid0(SALU_CYCLE_1)
	s_mov_b32 s11, exec_lo
	v_cmpx_gt_u32_e64 s7, v103
	s_cbranch_execz .LBB1113_612
.LBB1113_661:                           ;   in Loop: Header=BB1113_602 Depth=2
	global_load_b64 v[40:41], v2, s[8:9] offset:12288 scale_offset
	s_wait_xcnt 0x0
	s_or_b32 exec_lo, exec_lo, s11
	s_delay_alu instid0(SALU_CYCLE_1)
	s_mov_b32 s11, exec_lo
	v_cmpx_gt_u32_e64 s7, v104
	s_cbranch_execz .LBB1113_613
.LBB1113_662:                           ;   in Loop: Header=BB1113_602 Depth=2
	global_load_b64 v[38:39], v2, s[8:9] offset:14336 scale_offset
	s_wait_xcnt 0x0
	s_or_b32 exec_lo, exec_lo, s11
	s_delay_alu instid0(SALU_CYCLE_1)
	s_mov_b32 s11, exec_lo
	v_cmpx_gt_u32_e64 s7, v105
	s_cbranch_execz .LBB1113_614
.LBB1113_663:                           ;   in Loop: Header=BB1113_602 Depth=2
	global_load_b64 v[36:37], v2, s[8:9] offset:16384 scale_offset
	s_wait_xcnt 0x0
	s_or_b32 exec_lo, exec_lo, s11
	s_delay_alu instid0(SALU_CYCLE_1)
	s_mov_b32 s11, exec_lo
	v_cmpx_gt_u32_e64 s7, v106
	s_cbranch_execz .LBB1113_615
.LBB1113_664:                           ;   in Loop: Header=BB1113_602 Depth=2
	global_load_b64 v[34:35], v2, s[8:9] offset:18432 scale_offset
	s_wait_xcnt 0x0
	s_or_b32 exec_lo, exec_lo, s11
	s_delay_alu instid0(SALU_CYCLE_1)
	s_mov_b32 s11, exec_lo
	v_cmpx_gt_u32_e64 s7, v107
	s_cbranch_execz .LBB1113_616
.LBB1113_665:                           ;   in Loop: Header=BB1113_602 Depth=2
	global_load_b64 v[32:33], v2, s[8:9] offset:20480 scale_offset
	s_wait_xcnt 0x0
	s_or_b32 exec_lo, exec_lo, s11
	s_delay_alu instid0(SALU_CYCLE_1)
	s_mov_b32 s11, exec_lo
	v_cmpx_gt_u32_e64 s7, v108
	s_cbranch_execz .LBB1113_617
.LBB1113_666:                           ;   in Loop: Header=BB1113_602 Depth=2
	global_load_b64 v[30:31], v2, s[8:9] offset:22528 scale_offset
	s_wait_xcnt 0x0
	s_or_b32 exec_lo, exec_lo, s11
	s_delay_alu instid0(SALU_CYCLE_1)
	s_mov_b32 s11, exec_lo
	v_cmpx_gt_u32_e64 s7, v109
	s_cbranch_execz .LBB1113_618
.LBB1113_667:                           ;   in Loop: Header=BB1113_602 Depth=2
	global_load_b64 v[28:29], v2, s[8:9] offset:24576 scale_offset
	s_wait_xcnt 0x0
	s_or_b32 exec_lo, exec_lo, s11
	s_delay_alu instid0(SALU_CYCLE_1)
	s_mov_b32 s11, exec_lo
	v_cmpx_gt_u32_e64 s7, v110
	s_cbranch_execz .LBB1113_619
.LBB1113_668:                           ;   in Loop: Header=BB1113_602 Depth=2
	global_load_b64 v[26:27], v2, s[8:9] offset:26624 scale_offset
	s_wait_xcnt 0x0
	s_or_b32 exec_lo, exec_lo, s11
	s_delay_alu instid0(SALU_CYCLE_1)
	s_mov_b32 s11, exec_lo
	v_cmpx_gt_u32_e64 s7, v111
	s_cbranch_execz .LBB1113_620
.LBB1113_669:                           ;   in Loop: Header=BB1113_602 Depth=2
	global_load_b64 v[24:25], v2, s[8:9] offset:28672 scale_offset
	s_wait_xcnt 0x0
	s_or_b32 exec_lo, exec_lo, s11
	s_delay_alu instid0(SALU_CYCLE_1)
	s_mov_b32 s11, exec_lo
	v_cmpx_gt_u32_e64 s7, v112
	s_cbranch_execnz .LBB1113_621
	s_branch .LBB1113_622
.LBB1113_670:                           ;   in Loop: Header=BB1113_12 Depth=1
	v_mov_b32_e32 v22, 0
	s_wait_dscnt 0x0
	s_barrier_signal -1
	s_barrier_wait -1
	s_and_saveexec_b32 s7, s0
	s_cbranch_execz .LBB1113_672
; %bb.671:                              ;   in Loop: Header=BB1113_12 Depth=1
	ds_load_2addr_b64 v[22:25], v115 offset1:1
	s_wait_dscnt 0x0
	v_add_nc_u32_e32 v22, v23, v22
	s_delay_alu instid0(VALU_DEP_1)
	v_add3_u32 v22, v22, v24, v25
.LBB1113_672:                           ;   in Loop: Header=BB1113_12 Depth=1
	s_or_b32 exec_lo, exec_lo, s7
	s_delay_alu instid0(VALU_DEP_1)
	v_mov_b32_dpp v23, v22 row_shr:1 row_mask:0xf bank_mask:0xf
	v_cmp_eq_u32_e64 s7, 0, v126
	v_cmp_lt_u32_e64 s8, 1, v126
	v_cmp_lt_u32_e64 s9, 3, v126
	;; [unrolled: 1-line block ×3, first 2 shown]
	v_cmp_eq_u32_e64 s11, 0, v128
	v_cndmask_b32_e64 v23, v23, 0, s7
	s_delay_alu instid0(VALU_DEP_1) | instskip(NEXT) | instid1(VALU_DEP_1)
	v_add_nc_u32_e32 v22, v23, v22
	v_mov_b32_dpp v23, v22 row_shr:2 row_mask:0xf bank_mask:0xf
	s_delay_alu instid0(VALU_DEP_1) | instskip(NEXT) | instid1(VALU_DEP_1)
	v_cndmask_b32_e64 v23, 0, v23, s8
	v_add_nc_u32_e32 v22, v22, v23
	s_delay_alu instid0(VALU_DEP_1) | instskip(NEXT) | instid1(VALU_DEP_1)
	v_mov_b32_dpp v23, v22 row_shr:4 row_mask:0xf bank_mask:0xf
	v_cndmask_b32_e64 v23, 0, v23, s9
	s_delay_alu instid0(VALU_DEP_1) | instskip(NEXT) | instid1(VALU_DEP_1)
	v_add_nc_u32_e32 v22, v22, v23
	v_mov_b32_dpp v23, v22 row_shr:8 row_mask:0xf bank_mask:0xf
	s_delay_alu instid0(VALU_DEP_1) | instskip(NEXT) | instid1(VALU_DEP_1)
	v_cndmask_b32_e64 v23, 0, v23, s10
	v_add_nc_u32_e32 v22, v22, v23
	ds_swizzle_b32 v23, v22 offset:swizzle(BROADCAST,32,15)
	s_wait_dscnt 0x0
	v_and_b32_e32 v23, v127, v23
	s_delay_alu instid0(VALU_DEP_1)
	v_add_nc_u32_e32 v22, v22, v23
	s_and_saveexec_b32 s12, s1
; %bb.673:                              ;   in Loop: Header=BB1113_12 Depth=1
	ds_store_b32 v116, v22
; %bb.674:                              ;   in Loop: Header=BB1113_12 Depth=1
	s_or_b32 exec_lo, exec_lo, s12
	s_wait_dscnt 0x0
	s_barrier_signal -1
	s_barrier_wait -1
	s_and_saveexec_b32 s12, s4
	s_cbranch_execz .LBB1113_676
; %bb.675:                              ;   in Loop: Header=BB1113_12 Depth=1
	ds_load_b32 v23, v117
	v_cmp_ne_u32_e32 vcc_lo, 0, v130
	s_wait_dscnt 0x0
	v_mov_b32_dpp v24, v23 row_shr:1 row_mask:0xf bank_mask:0xf
	s_delay_alu instid0(VALU_DEP_1) | instskip(SKIP_1) | instid1(VALU_DEP_2)
	v_cndmask_b32_e32 v24, 0, v24, vcc_lo
	v_cmp_lt_u32_e32 vcc_lo, 1, v130
	v_add_nc_u32_e32 v23, v24, v23
	s_delay_alu instid0(VALU_DEP_1) | instskip(NEXT) | instid1(VALU_DEP_1)
	v_mov_b32_dpp v24, v23 row_shr:2 row_mask:0xf bank_mask:0xf
	v_cndmask_b32_e32 v24, 0, v24, vcc_lo
	v_cmp_lt_u32_e32 vcc_lo, 3, v130
	s_delay_alu instid0(VALU_DEP_2) | instskip(NEXT) | instid1(VALU_DEP_1)
	v_add_nc_u32_e32 v23, v23, v24
	v_mov_b32_dpp v24, v23 row_shr:4 row_mask:0xf bank_mask:0xf
	s_delay_alu instid0(VALU_DEP_1) | instskip(NEXT) | instid1(VALU_DEP_1)
	v_cndmask_b32_e32 v24, 0, v24, vcc_lo
	v_add_nc_u32_e32 v23, v23, v24
	ds_store_b32 v117, v23
.LBB1113_676:                           ;   in Loop: Header=BB1113_12 Depth=1
	s_or_b32 exec_lo, exec_lo, s12
	v_mov_b32_e32 v23, 0
	s_wait_dscnt 0x0
	s_barrier_signal -1
	s_barrier_wait -1
	s_and_saveexec_b32 s12, s5
; %bb.677:                              ;   in Loop: Header=BB1113_12 Depth=1
	ds_load_b32 v23, v118
; %bb.678:                              ;   in Loop: Header=BB1113_12 Depth=1
	s_or_b32 exec_lo, exec_lo, s12
	v_cmp_gt_i32_e32 vcc_lo, 0, v131
	s_wait_dscnt 0x0
	s_barrier_signal -1
	s_barrier_wait -1
	v_cndmask_b32_e32 v24, v131, v124, vcc_lo
	s_delay_alu instid0(VALU_DEP_1)
	v_dual_add_nc_u32 v22, v23, v22 :: v_dual_lshlrev_b32 v147, 2, v24
	ds_bpermute_b32 v22, v147, v22
	s_and_saveexec_b32 s12, s0
	s_cbranch_execz .LBB1113_680
; %bb.679:                              ;   in Loop: Header=BB1113_12 Depth=1
	s_wait_dscnt 0x0
	v_cndmask_b32_e64 v22, v22, v23, s6
	s_delay_alu instid0(VALU_DEP_1)
	v_add_nc_u32_e32 v22, s56, v22
	ds_store_b32 v3, v22
.LBB1113_680:                           ;   in Loop: Header=BB1113_12 Depth=1
	s_or_b32 exec_lo, exec_lo, s12
	s_load_b64 s[12:13], s[52:53], 0x0
	v_add_nc_u64_e32 v[24:25], v[20:21], v[4:5]
	s_mov_b32 s59, s58
                                        ; implicit-def: $vgpr28_vgpr29
                                        ; implicit-def: $vgpr30_vgpr31
                                        ; implicit-def: $vgpr32_vgpr33
                                        ; implicit-def: $vgpr34_vgpr35
                                        ; implicit-def: $vgpr36_vgpr37
                                        ; implicit-def: $vgpr38_vgpr39
                                        ; implicit-def: $vgpr40_vgpr41
                                        ; implicit-def: $vgpr42_vgpr43
                                        ; implicit-def: $vgpr44_vgpr45
                                        ; implicit-def: $vgpr46_vgpr47
                                        ; implicit-def: $vgpr48_vgpr49
                                        ; implicit-def: $vgpr50_vgpr51
                                        ; implicit-def: $vgpr52_vgpr53
                                        ; implicit-def: $vgpr54_vgpr55
                                        ; implicit-def: $vgpr56_vgpr57
                                        ; implicit-def: $vgpr149
                                        ; implicit-def: $vgpr150
                                        ; implicit-def: $vgpr151
                                        ; implicit-def: $vgpr152
                                        ; implicit-def: $vgpr153
                                        ; implicit-def: $vgpr154
                                        ; implicit-def: $vgpr155
                                        ; implicit-def: $vgpr156
                                        ; implicit-def: $vgpr157
                                        ; implicit-def: $vgpr158
                                        ; implicit-def: $vgpr159
                                        ; implicit-def: $vgpr160
                                        ; implicit-def: $vgpr161
                                        ; implicit-def: $vgpr162
                                        ; implicit-def: $vgpr163
                                        ; implicit-def: $vgpr164
	s_wait_kmcnt 0x0
	s_cmp_lt_u32 s33, s12
	s_cselect_b32 s34, 12, 18
	s_cmp_lt_u32 s31, s13
	s_mov_b32 s13, s35
	s_cselect_b32 s12, 14, 20
	s_delay_alu instid0(SALU_CYCLE_1)
	s_add_nc_u64 s[12:13], s[52:53], s[12:13]
	s_load_u16 s14, s[12:13], 0x0
	s_wait_xcnt 0x0
	s_add_nc_u64 s[12:13], s[52:53], s[34:35]
	s_mov_b32 s34, s56
	s_load_u16 s12, s[12:13], 0x0
	s_wait_xcnt 0x0
	v_cmp_lt_u32_e64 s13, 1, v130
	s_wait_dscnt 0x0
	s_wait_kmcnt 0x0
	v_mad_u32_u24 v22, v119, s14, v121
	v_cmp_lt_u32_e64 s14, 3, v130
	s_delay_alu instid0(VALU_DEP_2) | instskip(SKIP_1) | instid1(VALU_DEP_2)
	v_mad_u32 v22, v22, s12, v2
	v_cmp_eq_u32_e64 s12, 0, v130
	v_lshrrev_b32_e32 v26, 3, v22
	v_add_nc_u64_e32 v[22:23], v[18:19], v[4:5]
	s_delay_alu instid0(VALU_DEP_2)
	v_and_b32_e32 v148, 0x1ffffffc, v26
                                        ; implicit-def: $vgpr26_vgpr27
	s_branch .LBB1113_682
.LBB1113_681:                           ;   in Loop: Header=BB1113_682 Depth=2
	s_or_b32 exec_lo, exec_lo, s15
	s_addk_co_i32 s59, 0xf000
	s_cmp_lt_u32 s60, s51
	s_mov_b32 s34, s60
	s_cbranch_scc0 .LBB1113_890
.LBB1113_682:                           ;   Parent Loop BB1113_12 Depth=1
                                        ; =>  This Inner Loop Header: Depth=2
	s_add_co_i32 s60, s34, 0x1000
	s_delay_alu instid0(SALU_CYCLE_1)
	s_cmp_gt_u32 s60, s51
	s_cbranch_scc1 .LBB1113_684
; %bb.683:                              ;   in Loop: Header=BB1113_682 Depth=2
	v_lshl_add_u64 v[66:67], s[34:35], 3, v[24:25]
	s_mov_b32 s15, -1
	s_clause 0xe
	global_load_b64 v[58:59], v[66:67], off
	global_load_b64 v[60:61], v[66:67], off offset:256
	global_load_b64 v[62:63], v[66:67], off offset:512
	;; [unrolled: 1-line block ×14, first 2 shown]
	s_movk_i32 s16, 0x1000
	s_cbranch_execz .LBB1113_685
	s_branch .LBB1113_716
.LBB1113_684:                           ;   in Loop: Header=BB1113_682 Depth=2
	s_mov_b32 s15, 0
                                        ; implicit-def: $vgpr58_vgpr59
                                        ; implicit-def: $vgpr60_vgpr61
                                        ; implicit-def: $vgpr62_vgpr63
                                        ; implicit-def: $vgpr70_vgpr71
                                        ; implicit-def: $vgpr74_vgpr75
                                        ; implicit-def: $vgpr78_vgpr79
                                        ; implicit-def: $vgpr82_vgpr83
                                        ; implicit-def: $vgpr86_vgpr87
                                        ; implicit-def: $vgpr88_vgpr89
                                        ; implicit-def: $vgpr84_vgpr85
                                        ; implicit-def: $vgpr80_vgpr81
                                        ; implicit-def: $vgpr76_vgpr77
                                        ; implicit-def: $vgpr72_vgpr73
                                        ; implicit-def: $vgpr68_vgpr69
                                        ; implicit-def: $vgpr64_vgpr65
	s_movk_i32 s16, 0x1000
.LBB1113_685:                           ;   in Loop: Header=BB1113_682 Depth=2
	s_wait_loadcnt 0xd
	v_mov_b64_e32 v[60:61], -1
	v_mov_b64_e32 v[58:59], -1
	s_wait_xcnt 0x0
	v_lshl_add_u64 v[66:67], s[34:35], 3, v[24:25]
	s_mov_b32 s15, exec_lo
	v_cmpx_gt_u32_e64 s59, v129
	s_cbranch_execz .LBB1113_687
; %bb.686:                              ;   in Loop: Header=BB1113_682 Depth=2
	global_load_b64 v[58:59], v[66:67], off
.LBB1113_687:                           ;   in Loop: Header=BB1113_682 Depth=2
	s_wait_xcnt 0x0
	s_or_b32 exec_lo, exec_lo, s15
	s_delay_alu instid0(SALU_CYCLE_1)
	s_mov_b32 s15, exec_lo
	v_cmpx_gt_u32_e64 s59, v132
	s_cbranch_execz .LBB1113_689
; %bb.688:                              ;   in Loop: Header=BB1113_682 Depth=2
	global_load_b64 v[60:61], v[66:67], off offset:256
.LBB1113_689:                           ;   in Loop: Header=BB1113_682 Depth=2
	s_wait_xcnt 0x0
	s_or_b32 exec_lo, exec_lo, s15
	s_wait_loadcnt 0xb
	v_mov_b64_e32 v[70:71], -1
	v_mov_b64_e32 v[62:63], -1
	s_mov_b32 s15, exec_lo
	v_cmpx_gt_u32_e64 s59, v133
	s_cbranch_execz .LBB1113_691
; %bb.690:                              ;   in Loop: Header=BB1113_682 Depth=2
	global_load_b64 v[62:63], v[66:67], off offset:512
.LBB1113_691:                           ;   in Loop: Header=BB1113_682 Depth=2
	s_wait_xcnt 0x0
	s_or_b32 exec_lo, exec_lo, s15
	s_delay_alu instid0(SALU_CYCLE_1)
	s_mov_b32 s15, exec_lo
	v_cmpx_gt_u32_e64 s59, v134
	s_cbranch_execz .LBB1113_693
; %bb.692:                              ;   in Loop: Header=BB1113_682 Depth=2
	global_load_b64 v[70:71], v[66:67], off offset:768
.LBB1113_693:                           ;   in Loop: Header=BB1113_682 Depth=2
	s_wait_xcnt 0x0
	s_or_b32 exec_lo, exec_lo, s15
	s_wait_loadcnt 0x9
	v_mov_b64_e32 v[78:79], -1
	v_mov_b64_e32 v[74:75], -1
	s_mov_b32 s15, exec_lo
	v_cmpx_gt_u32_e64 s59, v135
	s_cbranch_execz .LBB1113_695
; %bb.694:                              ;   in Loop: Header=BB1113_682 Depth=2
	global_load_b64 v[74:75], v[66:67], off offset:1024
.LBB1113_695:                           ;   in Loop: Header=BB1113_682 Depth=2
	;; [unrolled: 20-line block ×6, first 2 shown]
	s_wait_xcnt 0x0
	s_or_b32 exec_lo, exec_lo, s15
	s_delay_alu instid0(SALU_CYCLE_1)
	s_mov_b32 s15, exec_lo
	v_cmpx_gt_u32_e64 s59, v144
	s_cbranch_execz .LBB1113_713
; %bb.712:                              ;   in Loop: Header=BB1113_682 Depth=2
	global_load_b64 v[68:69], v[66:67], off offset:3328
.LBB1113_713:                           ;   in Loop: Header=BB1113_682 Depth=2
	s_wait_xcnt 0x0
	s_or_b32 exec_lo, exec_lo, s15
	s_wait_loadcnt 0x0
	v_mov_b64_e32 v[64:65], -1
	s_mov_b32 s15, exec_lo
	v_cmpx_gt_u32_e64 s59, v145
	s_cbranch_execz .LBB1113_715
; %bb.714:                              ;   in Loop: Header=BB1113_682 Depth=2
	global_load_b64 v[64:65], v[66:67], off offset:3584
.LBB1113_715:                           ;   in Loop: Header=BB1113_682 Depth=2
	s_wait_xcnt 0x0
	s_or_b32 exec_lo, exec_lo, s15
	v_cmp_gt_u32_e64 s15, s59, v146
	s_sub_co_i32 s16, s51, s34
.LBB1113_716:                           ;   in Loop: Header=BB1113_682 Depth=2
	s_wait_xcnt 0x0
	v_mov_b64_e32 v[66:67], -1
	v_mov_b32_e32 v165, s59
	s_and_saveexec_b32 s17, s15
	s_cbranch_execz .LBB1113_718
; %bb.717:                              ;   in Loop: Header=BB1113_682 Depth=2
	v_lshl_add_u64 v[66:67], s[34:35], 3, v[24:25]
	v_mov_b32_e32 v165, s16
	global_load_b64 v[66:67], v[66:67], off offset:3840
.LBB1113_718:                           ;   in Loop: Header=BB1113_682 Depth=2
	s_wait_xcnt 0x0
	s_or_b32 exec_lo, exec_lo, s17
	s_wait_loadcnt 0xe
	v_cmp_gt_i64_e32 vcc_lo, 0, v[58:59]
	v_add_nc_u32_e32 v168, 0x420, v120
	v_add_nc_u32_e32 v169, 0x428, v120
	v_add_nc_u32_e32 v170, 0x430, v120
	v_cndmask_b32_e64 v91, 0x7fffffff, 0, vcc_lo
	s_delay_alu instid0(VALU_DEP_1) | instskip(NEXT) | instid1(VALU_DEP_1)
	v_dual_ashrrev_i32 v90, 31, v59 :: v_dual_bitop2_b32 v59, v91, v59 bitop3:0x14
	v_not_b32_e32 v90, v90
	s_delay_alu instid0(VALU_DEP_1) | instskip(NEXT) | instid1(VALU_DEP_1)
	v_xor_b32_e32 v58, v90, v58
	v_cmp_ne_u64_e32 vcc_lo, s[42:43], v[58:59]
	v_cndmask_b32_e32 v91, 0x7fffffff, v59, vcc_lo
	v_cndmask_b32_e32 v90, -1, v58, vcc_lo
	s_delay_alu instid0(VALU_DEP_1) | instskip(NEXT) | instid1(VALU_DEP_1)
	v_lshrrev_b64 v[90:91], s48, v[90:91]
	v_bitop3_b32 v91, v90, 1, s55 bitop3:0x80
	v_and_b32_e32 v92, s55, v90
	s_delay_alu instid0(VALU_DEP_2) | instskip(NEXT) | instid1(VALU_DEP_1)
	v_add_co_u32 v90, s15, v91, -1
	v_cndmask_b32_e64 v91, 0, 1, s15
	s_delay_alu instid0(VALU_DEP_3) | instskip(NEXT) | instid1(VALU_DEP_2)
	v_lshlrev_b32_e32 v93, 30, v92
	v_cmp_ne_u32_e32 vcc_lo, 0, v91
	s_delay_alu instid0(VALU_DEP_2) | instskip(SKIP_1) | instid1(VALU_DEP_2)
	v_not_b32_e32 v91, v93
	v_cmp_gt_i32_e64 s15, 0, v93
	v_dual_ashrrev_i32 v91, 31, v91 :: v_dual_lshlrev_b32 v94, 29, v92
	v_dual_lshlrev_b32 v95, 28, v92 :: v_dual_lshlrev_b32 v96, 27, v92
	v_dual_lshlrev_b32 v97, 26, v92 :: v_dual_lshlrev_b32 v166, 25, v92
	v_lshlrev_b32_e32 v167, 24, v92
	s_delay_alu instid0(VALU_DEP_4)
	v_cmp_gt_i32_e64 s16, 0, v94
	v_not_b32_e32 v93, v94
	v_not_b32_e32 v94, v95
	v_cmp_gt_i32_e64 s17, 0, v95
	v_cmp_gt_i32_e64 s18, 0, v96
	v_not_b32_e32 v95, v96
	v_not_b32_e32 v96, v97
	v_dual_ashrrev_i32 v93, 31, v93 :: v_dual_bitop2_b32 v90, vcc_lo, v90 bitop3:0x14
	v_dual_ashrrev_i32 v94, 31, v94 :: v_dual_bitop2_b32 v91, s15, v91 bitop3:0x14
	v_cmp_gt_i32_e64 s19, 0, v97
	v_cmp_gt_i32_e64 s20, 0, v166
	v_not_b32_e32 v97, v166
	v_not_b32_e32 v166, v167
	v_dual_ashrrev_i32 v95, 31, v95 :: v_dual_ashrrev_i32 v96, 31, v96
	v_xor_b32_e32 v93, s16, v93
	v_xor_b32_e32 v94, s17, v94
	v_bitop3_b32 v90, v90, v91, exec_lo bitop3:0x80
	v_cmp_gt_i32_e64 s21, 0, v167
	v_dual_ashrrev_i32 v91, 31, v97 :: v_dual_ashrrev_i32 v97, 31, v166
	v_xor_b32_e32 v95, s18, v95
	v_xor_b32_e32 v96, s19, v96
	v_bitop3_b32 v90, v90, v94, v93 bitop3:0x80
	s_delay_alu instid0(VALU_DEP_4) | instskip(SKIP_2) | instid1(VALU_DEP_4)
	v_xor_b32_e32 v91, s20, v91
	v_xor_b32_e32 v93, s21, v97
	v_add_nc_u32_e32 v167, 0x438, v120
	v_bitop3_b32 v90, v90, v96, v95 bitop3:0x80
	ds_store_2addr_b32 v167, v5, v5 offset1:1
	ds_store_2addr_b32 v168, v5, v5 offset1:1
	;; [unrolled: 1-line block ×4, first 2 shown]
	ds_store_b32 v120, v5 offset:1088
	v_bitop3_b32 v90, v90, v93, v91 bitop3:0x80
	v_mul_u32_u24_e32 v91, 36, v92
	s_wait_loadcnt_dscnt 0x0
	s_barrier_signal -1
	s_barrier_wait -1
	v_mbcnt_lo_u32_b32 v166, v90, 0
	v_cmp_ne_u32_e64 s15, 0, v90
	v_add_nc_u32_e32 v171, v148, v91
	s_delay_alu instid0(VALU_DEP_3) | instskip(SKIP_1) | instid1(SALU_CYCLE_1)
	v_cmp_eq_u32_e32 vcc_lo, 0, v166
	; wave barrier
	s_and_b32 s16, s15, vcc_lo
	s_and_saveexec_b32 s15, s16
; %bb.719:                              ;   in Loop: Header=BB1113_682 Depth=2
	v_bcnt_u32_b32 v90, v90, 0
	ds_store_b32 v171, v90 offset:1056
; %bb.720:                              ;   in Loop: Header=BB1113_682 Depth=2
	s_or_b32 exec_lo, exec_lo, s15
	v_cmp_gt_i64_e32 vcc_lo, 0, v[60:61]
	; wave barrier
	v_cndmask_b32_e64 v91, 0x7fffffff, 0, vcc_lo
	s_delay_alu instid0(VALU_DEP_1) | instskip(NEXT) | instid1(VALU_DEP_1)
	v_dual_ashrrev_i32 v90, 31, v61 :: v_dual_bitop2_b32 v61, v91, v61 bitop3:0x14
	v_not_b32_e32 v90, v90
	s_delay_alu instid0(VALU_DEP_1) | instskip(NEXT) | instid1(VALU_DEP_1)
	v_xor_b32_e32 v60, v90, v60
	v_cmp_ne_u64_e32 vcc_lo, s[42:43], v[60:61]
	v_cndmask_b32_e32 v91, 0x7fffffff, v61, vcc_lo
	v_cndmask_b32_e32 v90, -1, v60, vcc_lo
	s_delay_alu instid0(VALU_DEP_1) | instskip(NEXT) | instid1(VALU_DEP_1)
	v_lshrrev_b64 v[90:91], s48, v[90:91]
	v_bitop3_b32 v91, v90, 1, s55 bitop3:0x80
	v_and_b32_e32 v92, s55, v90
	s_delay_alu instid0(VALU_DEP_2) | instskip(NEXT) | instid1(VALU_DEP_1)
	v_add_co_u32 v90, s15, v91, -1
	v_cndmask_b32_e64 v91, 0, 1, s15
	s_delay_alu instid0(VALU_DEP_3) | instskip(SKIP_1) | instid1(VALU_DEP_3)
	v_dual_lshlrev_b32 v93, 30, v92 :: v_dual_lshlrev_b32 v95, 28, v92
	v_dual_lshlrev_b32 v94, 29, v92 :: v_dual_lshlrev_b32 v96, 27, v92
	v_cmp_ne_u32_e32 vcc_lo, 0, v91
	s_delay_alu instid0(VALU_DEP_3) | instskip(SKIP_1) | instid1(VALU_DEP_4)
	v_cmp_gt_i32_e64 s15, 0, v93
	v_not_b32_e32 v91, v93
	v_cmp_gt_i32_e64 s16, 0, v94
	v_not_b32_e32 v93, v94
	;; [unrolled: 2-line block ×3, first 2 shown]
	v_not_b32_e32 v95, v96
	s_delay_alu instid0(VALU_DEP_4) | instskip(NEXT) | instid1(VALU_DEP_2)
	v_dual_ashrrev_i32 v91, 31, v91 :: v_dual_ashrrev_i32 v93, 31, v93
	v_dual_ashrrev_i32 v94, 31, v94 :: v_dual_ashrrev_i32 v95, 31, v95
	v_dual_lshlrev_b32 v97, 26, v92 :: v_dual_lshlrev_b32 v172, 25, v92
	v_lshlrev_b32_e32 v173, 24, v92
	v_cmp_gt_i32_e64 s18, 0, v96
	v_xor_b32_e32 v91, s15, v91
	s_delay_alu instid0(VALU_DEP_4)
	v_not_b32_e32 v96, v97
	v_xor_b32_e32 v90, vcc_lo, v90
	v_cmp_gt_i32_e64 s19, 0, v97
	v_cmp_gt_i32_e64 s20, 0, v172
	v_not_b32_e32 v97, v172
	v_not_b32_e32 v172, v173
	v_dual_ashrrev_i32 v96, 31, v96 :: v_dual_bitop2_b32 v93, s16, v93 bitop3:0x14
	v_xor_b32_e32 v94, s17, v94
	v_bitop3_b32 v90, v90, v91, exec_lo bitop3:0x80
	v_cmp_gt_i32_e64 s21, 0, v173
	v_dual_ashrrev_i32 v91, 31, v97 :: v_dual_ashrrev_i32 v97, 31, v172
	v_xor_b32_e32 v95, s18, v95
	v_xor_b32_e32 v96, s19, v96
	v_bitop3_b32 v90, v90, v94, v93 bitop3:0x80
	v_mad_u32_u24 v93, v92, 36, v148
	v_xor_b32_e32 v91, s20, v91
	v_xor_b32_e32 v94, s21, v97
	s_delay_alu instid0(VALU_DEP_4) | instskip(SKIP_3) | instid1(VALU_DEP_2)
	v_bitop3_b32 v90, v90, v96, v95 bitop3:0x80
	ds_load_b32 v172, v93 offset:1056
	; wave barrier
	v_bitop3_b32 v90, v90, v94, v91 bitop3:0x80
	v_mul_u32_u24_e32 v91, 36, v92
	v_mbcnt_lo_u32_b32 v173, v90, 0
	v_cmp_ne_u32_e64 s15, 0, v90
	s_delay_alu instid0(VALU_DEP_3) | instskip(NEXT) | instid1(VALU_DEP_3)
	v_add_nc_u32_e32 v174, v148, v91
	v_cmp_eq_u32_e32 vcc_lo, 0, v173
	s_and_b32 s16, s15, vcc_lo
	s_delay_alu instid0(SALU_CYCLE_1)
	s_and_saveexec_b32 s15, s16
	s_cbranch_execz .LBB1113_722
; %bb.721:                              ;   in Loop: Header=BB1113_682 Depth=2
	s_wait_dscnt 0x0
	v_bcnt_u32_b32 v90, v90, v172
	ds_store_b32 v174, v90 offset:1056
.LBB1113_722:                           ;   in Loop: Header=BB1113_682 Depth=2
	s_or_b32 exec_lo, exec_lo, s15
	v_cmp_gt_i64_e32 vcc_lo, 0, v[62:63]
	; wave barrier
	v_cndmask_b32_e64 v91, 0x7fffffff, 0, vcc_lo
	s_delay_alu instid0(VALU_DEP_1) | instskip(NEXT) | instid1(VALU_DEP_1)
	v_dual_ashrrev_i32 v90, 31, v63 :: v_dual_bitop2_b32 v63, v91, v63 bitop3:0x14
	v_not_b32_e32 v90, v90
	s_delay_alu instid0(VALU_DEP_1) | instskip(NEXT) | instid1(VALU_DEP_1)
	v_xor_b32_e32 v62, v90, v62
	v_cmp_ne_u64_e32 vcc_lo, s[42:43], v[62:63]
	v_cndmask_b32_e32 v91, 0x7fffffff, v63, vcc_lo
	v_cndmask_b32_e32 v90, -1, v62, vcc_lo
	s_delay_alu instid0(VALU_DEP_1) | instskip(NEXT) | instid1(VALU_DEP_1)
	v_lshrrev_b64 v[90:91], s48, v[90:91]
	v_bitop3_b32 v91, v90, 1, s55 bitop3:0x80
	v_and_b32_e32 v92, s55, v90
	s_delay_alu instid0(VALU_DEP_2) | instskip(NEXT) | instid1(VALU_DEP_1)
	v_add_co_u32 v90, s15, v91, -1
	v_cndmask_b32_e64 v91, 0, 1, s15
	s_delay_alu instid0(VALU_DEP_3) | instskip(NEXT) | instid1(VALU_DEP_2)
	v_lshlrev_b32_e32 v93, 30, v92
	v_cmp_ne_u32_e32 vcc_lo, 0, v91
	s_delay_alu instid0(VALU_DEP_2) | instskip(SKIP_1) | instid1(VALU_DEP_2)
	v_not_b32_e32 v91, v93
	v_cmp_gt_i32_e64 s15, 0, v93
	v_dual_ashrrev_i32 v91, 31, v91 :: v_dual_lshlrev_b32 v94, 29, v92
	v_dual_lshlrev_b32 v95, 28, v92 :: v_dual_lshlrev_b32 v96, 27, v92
	v_dual_lshlrev_b32 v97, 26, v92 :: v_dual_lshlrev_b32 v175, 25, v92
	v_lshlrev_b32_e32 v176, 24, v92
	s_delay_alu instid0(VALU_DEP_4)
	v_cmp_gt_i32_e64 s16, 0, v94
	v_not_b32_e32 v93, v94
	v_not_b32_e32 v94, v95
	v_cmp_gt_i32_e64 s17, 0, v95
	v_cmp_gt_i32_e64 s18, 0, v96
	v_not_b32_e32 v95, v96
	v_not_b32_e32 v96, v97
	v_dual_ashrrev_i32 v93, 31, v93 :: v_dual_bitop2_b32 v90, vcc_lo, v90 bitop3:0x14
	v_dual_ashrrev_i32 v94, 31, v94 :: v_dual_bitop2_b32 v91, s15, v91 bitop3:0x14
	v_cmp_gt_i32_e64 s19, 0, v97
	v_cmp_gt_i32_e64 s20, 0, v175
	v_not_b32_e32 v97, v175
	v_not_b32_e32 v175, v176
	v_dual_ashrrev_i32 v95, 31, v95 :: v_dual_ashrrev_i32 v96, 31, v96
	v_xor_b32_e32 v93, s16, v93
	v_xor_b32_e32 v94, s17, v94
	v_bitop3_b32 v90, v90, v91, exec_lo bitop3:0x80
	v_cmp_gt_i32_e64 s21, 0, v176
	v_dual_ashrrev_i32 v91, 31, v97 :: v_dual_ashrrev_i32 v97, 31, v175
	v_xor_b32_e32 v95, s18, v95
	v_xor_b32_e32 v96, s19, v96
	v_bitop3_b32 v90, v90, v94, v93 bitop3:0x80
	v_mad_u32_u24 v93, v92, 36, v148
	v_xor_b32_e32 v91, s20, v91
	v_xor_b32_e32 v94, s21, v97
	s_delay_alu instid0(VALU_DEP_4) | instskip(SKIP_3) | instid1(VALU_DEP_2)
	v_bitop3_b32 v90, v90, v96, v95 bitop3:0x80
	ds_load_b32 v175, v93 offset:1056
	; wave barrier
	v_bitop3_b32 v90, v90, v94, v91 bitop3:0x80
	v_mul_u32_u24_e32 v91, 36, v92
	v_mbcnt_lo_u32_b32 v176, v90, 0
	v_cmp_ne_u32_e64 s15, 0, v90
	s_delay_alu instid0(VALU_DEP_3) | instskip(NEXT) | instid1(VALU_DEP_3)
	v_add_nc_u32_e32 v177, v148, v91
	v_cmp_eq_u32_e32 vcc_lo, 0, v176
	s_and_b32 s16, s15, vcc_lo
	s_delay_alu instid0(SALU_CYCLE_1)
	s_and_saveexec_b32 s15, s16
	s_cbranch_execz .LBB1113_724
; %bb.723:                              ;   in Loop: Header=BB1113_682 Depth=2
	s_wait_dscnt 0x0
	v_bcnt_u32_b32 v90, v90, v175
	ds_store_b32 v177, v90 offset:1056
.LBB1113_724:                           ;   in Loop: Header=BB1113_682 Depth=2
	s_or_b32 exec_lo, exec_lo, s15
	v_cmp_gt_i64_e32 vcc_lo, 0, v[70:71]
	; wave barrier
	v_cndmask_b32_e64 v91, 0x7fffffff, 0, vcc_lo
	s_delay_alu instid0(VALU_DEP_1) | instskip(NEXT) | instid1(VALU_DEP_1)
	v_dual_ashrrev_i32 v90, 31, v71 :: v_dual_bitop2_b32 v71, v91, v71 bitop3:0x14
	v_not_b32_e32 v90, v90
	s_delay_alu instid0(VALU_DEP_1) | instskip(NEXT) | instid1(VALU_DEP_1)
	v_xor_b32_e32 v70, v90, v70
	v_cmp_ne_u64_e32 vcc_lo, s[42:43], v[70:71]
	v_cndmask_b32_e32 v91, 0x7fffffff, v71, vcc_lo
	v_cndmask_b32_e32 v90, -1, v70, vcc_lo
	s_delay_alu instid0(VALU_DEP_1) | instskip(NEXT) | instid1(VALU_DEP_1)
	v_lshrrev_b64 v[90:91], s48, v[90:91]
	v_bitop3_b32 v91, v90, 1, s55 bitop3:0x80
	v_and_b32_e32 v92, s55, v90
	s_delay_alu instid0(VALU_DEP_2) | instskip(NEXT) | instid1(VALU_DEP_1)
	v_add_co_u32 v90, s15, v91, -1
	v_cndmask_b32_e64 v91, 0, 1, s15
	s_delay_alu instid0(VALU_DEP_3) | instskip(NEXT) | instid1(VALU_DEP_2)
	v_lshlrev_b32_e32 v93, 30, v92
	v_cmp_ne_u32_e32 vcc_lo, 0, v91
	s_delay_alu instid0(VALU_DEP_2) | instskip(SKIP_1) | instid1(VALU_DEP_2)
	v_not_b32_e32 v91, v93
	v_cmp_gt_i32_e64 s15, 0, v93
	v_dual_ashrrev_i32 v91, 31, v91 :: v_dual_lshlrev_b32 v94, 29, v92
	v_dual_lshlrev_b32 v95, 28, v92 :: v_dual_lshlrev_b32 v96, 27, v92
	v_dual_lshlrev_b32 v97, 26, v92 :: v_dual_lshlrev_b32 v178, 25, v92
	v_lshlrev_b32_e32 v179, 24, v92
	s_delay_alu instid0(VALU_DEP_4)
	v_cmp_gt_i32_e64 s16, 0, v94
	v_not_b32_e32 v93, v94
	v_not_b32_e32 v94, v95
	v_cmp_gt_i32_e64 s17, 0, v95
	v_cmp_gt_i32_e64 s18, 0, v96
	v_not_b32_e32 v95, v96
	v_not_b32_e32 v96, v97
	v_dual_ashrrev_i32 v93, 31, v93 :: v_dual_bitop2_b32 v90, vcc_lo, v90 bitop3:0x14
	v_dual_ashrrev_i32 v94, 31, v94 :: v_dual_bitop2_b32 v91, s15, v91 bitop3:0x14
	v_cmp_gt_i32_e64 s19, 0, v97
	v_cmp_gt_i32_e64 s20, 0, v178
	v_not_b32_e32 v97, v178
	v_not_b32_e32 v178, v179
	v_dual_ashrrev_i32 v95, 31, v95 :: v_dual_ashrrev_i32 v96, 31, v96
	v_xor_b32_e32 v93, s16, v93
	v_xor_b32_e32 v94, s17, v94
	v_bitop3_b32 v90, v90, v91, exec_lo bitop3:0x80
	v_cmp_gt_i32_e64 s21, 0, v179
	v_dual_ashrrev_i32 v91, 31, v97 :: v_dual_ashrrev_i32 v97, 31, v178
	v_xor_b32_e32 v95, s18, v95
	v_xor_b32_e32 v96, s19, v96
	v_bitop3_b32 v90, v90, v94, v93 bitop3:0x80
	v_mad_u32_u24 v93, v92, 36, v148
	v_xor_b32_e32 v91, s20, v91
	v_xor_b32_e32 v94, s21, v97
	s_delay_alu instid0(VALU_DEP_4) | instskip(SKIP_3) | instid1(VALU_DEP_2)
	v_bitop3_b32 v90, v90, v96, v95 bitop3:0x80
	ds_load_b32 v178, v93 offset:1056
	; wave barrier
	v_bitop3_b32 v90, v90, v94, v91 bitop3:0x80
	v_mul_u32_u24_e32 v91, 36, v92
	v_mbcnt_lo_u32_b32 v179, v90, 0
	v_cmp_ne_u32_e64 s15, 0, v90
	s_delay_alu instid0(VALU_DEP_3) | instskip(NEXT) | instid1(VALU_DEP_3)
	v_add_nc_u32_e32 v180, v148, v91
	v_cmp_eq_u32_e32 vcc_lo, 0, v179
	s_and_b32 s16, s15, vcc_lo
	s_delay_alu instid0(SALU_CYCLE_1)
	s_and_saveexec_b32 s15, s16
	s_cbranch_execz .LBB1113_726
; %bb.725:                              ;   in Loop: Header=BB1113_682 Depth=2
	s_wait_dscnt 0x0
	v_bcnt_u32_b32 v90, v90, v178
	ds_store_b32 v180, v90 offset:1056
.LBB1113_726:                           ;   in Loop: Header=BB1113_682 Depth=2
	s_or_b32 exec_lo, exec_lo, s15
	v_cmp_gt_i64_e32 vcc_lo, 0, v[74:75]
	; wave barrier
	v_cndmask_b32_e64 v91, 0x7fffffff, 0, vcc_lo
	s_delay_alu instid0(VALU_DEP_1) | instskip(NEXT) | instid1(VALU_DEP_1)
	v_dual_ashrrev_i32 v90, 31, v75 :: v_dual_bitop2_b32 v75, v91, v75 bitop3:0x14
	v_not_b32_e32 v90, v90
	s_delay_alu instid0(VALU_DEP_1) | instskip(NEXT) | instid1(VALU_DEP_1)
	v_xor_b32_e32 v74, v90, v74
	v_cmp_ne_u64_e32 vcc_lo, s[42:43], v[74:75]
	v_cndmask_b32_e32 v91, 0x7fffffff, v75, vcc_lo
	v_cndmask_b32_e32 v90, -1, v74, vcc_lo
	s_delay_alu instid0(VALU_DEP_1) | instskip(NEXT) | instid1(VALU_DEP_1)
	v_lshrrev_b64 v[90:91], s48, v[90:91]
	v_bitop3_b32 v91, v90, 1, s55 bitop3:0x80
	v_and_b32_e32 v92, s55, v90
	s_delay_alu instid0(VALU_DEP_2) | instskip(NEXT) | instid1(VALU_DEP_1)
	v_add_co_u32 v90, s15, v91, -1
	v_cndmask_b32_e64 v91, 0, 1, s15
	s_delay_alu instid0(VALU_DEP_3) | instskip(NEXT) | instid1(VALU_DEP_2)
	v_lshlrev_b32_e32 v93, 30, v92
	v_cmp_ne_u32_e32 vcc_lo, 0, v91
	s_delay_alu instid0(VALU_DEP_2) | instskip(SKIP_1) | instid1(VALU_DEP_2)
	v_not_b32_e32 v91, v93
	v_cmp_gt_i32_e64 s15, 0, v93
	v_dual_ashrrev_i32 v91, 31, v91 :: v_dual_lshlrev_b32 v94, 29, v92
	v_dual_lshlrev_b32 v95, 28, v92 :: v_dual_lshlrev_b32 v96, 27, v92
	v_dual_lshlrev_b32 v97, 26, v92 :: v_dual_lshlrev_b32 v181, 25, v92
	v_lshlrev_b32_e32 v182, 24, v92
	s_delay_alu instid0(VALU_DEP_4)
	v_cmp_gt_i32_e64 s16, 0, v94
	v_not_b32_e32 v93, v94
	v_not_b32_e32 v94, v95
	v_cmp_gt_i32_e64 s17, 0, v95
	v_cmp_gt_i32_e64 s18, 0, v96
	v_not_b32_e32 v95, v96
	v_not_b32_e32 v96, v97
	v_dual_ashrrev_i32 v93, 31, v93 :: v_dual_bitop2_b32 v90, vcc_lo, v90 bitop3:0x14
	v_dual_ashrrev_i32 v94, 31, v94 :: v_dual_bitop2_b32 v91, s15, v91 bitop3:0x14
	v_cmp_gt_i32_e64 s19, 0, v97
	v_cmp_gt_i32_e64 s20, 0, v181
	v_not_b32_e32 v97, v181
	v_not_b32_e32 v181, v182
	v_dual_ashrrev_i32 v95, 31, v95 :: v_dual_ashrrev_i32 v96, 31, v96
	v_xor_b32_e32 v93, s16, v93
	v_xor_b32_e32 v94, s17, v94
	v_bitop3_b32 v90, v90, v91, exec_lo bitop3:0x80
	v_cmp_gt_i32_e64 s21, 0, v182
	v_ashrrev_i32_e32 v91, 31, v97
	v_dual_ashrrev_i32 v97, 31, v181 :: v_dual_bitop2_b32 v95, s18, v95 bitop3:0x14
	v_xor_b32_e32 v96, s19, v96
	v_bitop3_b32 v90, v90, v94, v93 bitop3:0x80
	v_mad_u32_u24 v93, v92, 36, v148
	v_xor_b32_e32 v91, s20, v91
	v_xor_b32_e32 v94, s21, v97
	s_delay_alu instid0(VALU_DEP_4) | instskip(SKIP_3) | instid1(VALU_DEP_2)
	v_bitop3_b32 v90, v90, v96, v95 bitop3:0x80
	ds_load_b32 v181, v93 offset:1056
	; wave barrier
	v_bitop3_b32 v90, v90, v94, v91 bitop3:0x80
	v_mul_u32_u24_e32 v91, 36, v92
	v_mbcnt_lo_u32_b32 v182, v90, 0
	v_cmp_ne_u32_e64 s15, 0, v90
	s_delay_alu instid0(VALU_DEP_3) | instskip(NEXT) | instid1(VALU_DEP_3)
	v_add_nc_u32_e32 v183, v148, v91
	v_cmp_eq_u32_e32 vcc_lo, 0, v182
	s_and_b32 s16, s15, vcc_lo
	s_delay_alu instid0(SALU_CYCLE_1)
	s_and_saveexec_b32 s15, s16
	s_cbranch_execz .LBB1113_728
; %bb.727:                              ;   in Loop: Header=BB1113_682 Depth=2
	s_wait_dscnt 0x0
	v_bcnt_u32_b32 v90, v90, v181
	ds_store_b32 v183, v90 offset:1056
.LBB1113_728:                           ;   in Loop: Header=BB1113_682 Depth=2
	s_or_b32 exec_lo, exec_lo, s15
	v_cmp_gt_i64_e32 vcc_lo, 0, v[78:79]
	; wave barrier
	v_cndmask_b32_e64 v91, 0x7fffffff, 0, vcc_lo
	s_delay_alu instid0(VALU_DEP_1) | instskip(NEXT) | instid1(VALU_DEP_1)
	v_dual_ashrrev_i32 v90, 31, v79 :: v_dual_bitop2_b32 v79, v91, v79 bitop3:0x14
	v_not_b32_e32 v90, v90
	s_delay_alu instid0(VALU_DEP_1) | instskip(NEXT) | instid1(VALU_DEP_1)
	v_xor_b32_e32 v78, v90, v78
	v_cmp_ne_u64_e32 vcc_lo, s[42:43], v[78:79]
	v_cndmask_b32_e32 v91, 0x7fffffff, v79, vcc_lo
	v_cndmask_b32_e32 v90, -1, v78, vcc_lo
	s_delay_alu instid0(VALU_DEP_1) | instskip(NEXT) | instid1(VALU_DEP_1)
	v_lshrrev_b64 v[90:91], s48, v[90:91]
	v_bitop3_b32 v91, v90, 1, s55 bitop3:0x80
	v_and_b32_e32 v92, s55, v90
	s_delay_alu instid0(VALU_DEP_2) | instskip(NEXT) | instid1(VALU_DEP_1)
	v_add_co_u32 v90, s15, v91, -1
	v_cndmask_b32_e64 v91, 0, 1, s15
	s_delay_alu instid0(VALU_DEP_3) | instskip(NEXT) | instid1(VALU_DEP_2)
	v_lshlrev_b32_e32 v93, 30, v92
	v_cmp_ne_u32_e32 vcc_lo, 0, v91
	s_delay_alu instid0(VALU_DEP_2) | instskip(SKIP_1) | instid1(VALU_DEP_2)
	v_not_b32_e32 v91, v93
	v_cmp_gt_i32_e64 s15, 0, v93
	v_dual_ashrrev_i32 v91, 31, v91 :: v_dual_lshlrev_b32 v94, 29, v92
	v_dual_lshlrev_b32 v95, 28, v92 :: v_dual_lshlrev_b32 v96, 27, v92
	v_dual_lshlrev_b32 v97, 26, v92 :: v_dual_lshlrev_b32 v184, 25, v92
	v_lshlrev_b32_e32 v185, 24, v92
	s_delay_alu instid0(VALU_DEP_4)
	v_cmp_gt_i32_e64 s16, 0, v94
	v_not_b32_e32 v93, v94
	v_not_b32_e32 v94, v95
	v_cmp_gt_i32_e64 s17, 0, v95
	v_cmp_gt_i32_e64 s18, 0, v96
	v_not_b32_e32 v95, v96
	v_not_b32_e32 v96, v97
	v_dual_ashrrev_i32 v93, 31, v93 :: v_dual_bitop2_b32 v90, vcc_lo, v90 bitop3:0x14
	v_dual_ashrrev_i32 v94, 31, v94 :: v_dual_bitop2_b32 v91, s15, v91 bitop3:0x14
	v_cmp_gt_i32_e64 s19, 0, v97
	v_cmp_gt_i32_e64 s20, 0, v184
	v_not_b32_e32 v97, v184
	v_not_b32_e32 v184, v185
	v_dual_ashrrev_i32 v95, 31, v95 :: v_dual_ashrrev_i32 v96, 31, v96
	v_xor_b32_e32 v93, s16, v93
	v_xor_b32_e32 v94, s17, v94
	v_bitop3_b32 v90, v90, v91, exec_lo bitop3:0x80
	v_cmp_gt_i32_e64 s21, 0, v185
	v_dual_ashrrev_i32 v91, 31, v97 :: v_dual_ashrrev_i32 v97, 31, v184
	v_xor_b32_e32 v95, s18, v95
	v_xor_b32_e32 v96, s19, v96
	v_bitop3_b32 v90, v90, v94, v93 bitop3:0x80
	v_mad_u32_u24 v93, v92, 36, v148
	v_xor_b32_e32 v91, s20, v91
	v_xor_b32_e32 v94, s21, v97
	s_delay_alu instid0(VALU_DEP_4) | instskip(SKIP_3) | instid1(VALU_DEP_2)
	v_bitop3_b32 v90, v90, v96, v95 bitop3:0x80
	ds_load_b32 v184, v93 offset:1056
	; wave barrier
	v_bitop3_b32 v90, v90, v94, v91 bitop3:0x80
	v_mul_u32_u24_e32 v91, 36, v92
	v_mbcnt_lo_u32_b32 v185, v90, 0
	v_cmp_ne_u32_e64 s15, 0, v90
	s_delay_alu instid0(VALU_DEP_3) | instskip(NEXT) | instid1(VALU_DEP_3)
	v_add_nc_u32_e32 v186, v148, v91
	v_cmp_eq_u32_e32 vcc_lo, 0, v185
	s_and_b32 s16, s15, vcc_lo
	s_delay_alu instid0(SALU_CYCLE_1)
	s_and_saveexec_b32 s15, s16
	s_cbranch_execz .LBB1113_730
; %bb.729:                              ;   in Loop: Header=BB1113_682 Depth=2
	s_wait_dscnt 0x0
	v_bcnt_u32_b32 v90, v90, v184
	ds_store_b32 v186, v90 offset:1056
.LBB1113_730:                           ;   in Loop: Header=BB1113_682 Depth=2
	s_or_b32 exec_lo, exec_lo, s15
	v_cmp_gt_i64_e32 vcc_lo, 0, v[82:83]
	; wave barrier
	v_cndmask_b32_e64 v91, 0x7fffffff, 0, vcc_lo
	s_delay_alu instid0(VALU_DEP_1) | instskip(NEXT) | instid1(VALU_DEP_1)
	v_dual_ashrrev_i32 v90, 31, v83 :: v_dual_bitop2_b32 v83, v91, v83 bitop3:0x14
	v_not_b32_e32 v90, v90
	s_delay_alu instid0(VALU_DEP_1) | instskip(NEXT) | instid1(VALU_DEP_1)
	v_xor_b32_e32 v82, v90, v82
	v_cmp_ne_u64_e32 vcc_lo, s[42:43], v[82:83]
	v_cndmask_b32_e32 v91, 0x7fffffff, v83, vcc_lo
	v_cndmask_b32_e32 v90, -1, v82, vcc_lo
	s_delay_alu instid0(VALU_DEP_1) | instskip(NEXT) | instid1(VALU_DEP_1)
	v_lshrrev_b64 v[90:91], s48, v[90:91]
	v_bitop3_b32 v91, v90, 1, s55 bitop3:0x80
	v_and_b32_e32 v92, s55, v90
	s_delay_alu instid0(VALU_DEP_2) | instskip(NEXT) | instid1(VALU_DEP_1)
	v_add_co_u32 v90, s15, v91, -1
	v_cndmask_b32_e64 v91, 0, 1, s15
	s_delay_alu instid0(VALU_DEP_3) | instskip(NEXT) | instid1(VALU_DEP_2)
	v_lshlrev_b32_e32 v93, 30, v92
	v_cmp_ne_u32_e32 vcc_lo, 0, v91
	s_delay_alu instid0(VALU_DEP_2) | instskip(SKIP_1) | instid1(VALU_DEP_2)
	v_not_b32_e32 v91, v93
	v_cmp_gt_i32_e64 s15, 0, v93
	v_dual_ashrrev_i32 v91, 31, v91 :: v_dual_lshlrev_b32 v94, 29, v92
	v_dual_lshlrev_b32 v95, 28, v92 :: v_dual_lshlrev_b32 v96, 27, v92
	v_dual_lshlrev_b32 v97, 26, v92 :: v_dual_lshlrev_b32 v187, 25, v92
	v_lshlrev_b32_e32 v188, 24, v92
	s_delay_alu instid0(VALU_DEP_4)
	v_cmp_gt_i32_e64 s16, 0, v94
	v_not_b32_e32 v93, v94
	v_not_b32_e32 v94, v95
	v_cmp_gt_i32_e64 s17, 0, v95
	v_cmp_gt_i32_e64 s18, 0, v96
	v_not_b32_e32 v95, v96
	v_not_b32_e32 v96, v97
	v_dual_ashrrev_i32 v93, 31, v93 :: v_dual_bitop2_b32 v90, vcc_lo, v90 bitop3:0x14
	v_dual_ashrrev_i32 v94, 31, v94 :: v_dual_bitop2_b32 v91, s15, v91 bitop3:0x14
	v_cmp_gt_i32_e64 s19, 0, v97
	v_cmp_gt_i32_e64 s20, 0, v187
	v_not_b32_e32 v97, v187
	v_not_b32_e32 v187, v188
	v_dual_ashrrev_i32 v95, 31, v95 :: v_dual_ashrrev_i32 v96, 31, v96
	v_xor_b32_e32 v93, s16, v93
	v_xor_b32_e32 v94, s17, v94
	v_bitop3_b32 v90, v90, v91, exec_lo bitop3:0x80
	v_cmp_gt_i32_e64 s21, 0, v188
	v_dual_ashrrev_i32 v91, 31, v97 :: v_dual_ashrrev_i32 v97, 31, v187
	v_xor_b32_e32 v95, s18, v95
	v_xor_b32_e32 v96, s19, v96
	v_bitop3_b32 v90, v90, v94, v93 bitop3:0x80
	v_mad_u32_u24 v93, v92, 36, v148
	v_xor_b32_e32 v91, s20, v91
	v_xor_b32_e32 v94, s21, v97
	s_delay_alu instid0(VALU_DEP_4) | instskip(SKIP_3) | instid1(VALU_DEP_2)
	v_bitop3_b32 v90, v90, v96, v95 bitop3:0x80
	ds_load_b32 v187, v93 offset:1056
	; wave barrier
	v_bitop3_b32 v90, v90, v94, v91 bitop3:0x80
	v_mul_u32_u24_e32 v91, 36, v92
	v_mbcnt_lo_u32_b32 v188, v90, 0
	v_cmp_ne_u32_e64 s15, 0, v90
	s_delay_alu instid0(VALU_DEP_3) | instskip(NEXT) | instid1(VALU_DEP_3)
	v_add_nc_u32_e32 v189, v148, v91
	v_cmp_eq_u32_e32 vcc_lo, 0, v188
	s_and_b32 s16, s15, vcc_lo
	s_delay_alu instid0(SALU_CYCLE_1)
	s_and_saveexec_b32 s15, s16
	s_cbranch_execz .LBB1113_732
; %bb.731:                              ;   in Loop: Header=BB1113_682 Depth=2
	s_wait_dscnt 0x0
	v_bcnt_u32_b32 v90, v90, v187
	ds_store_b32 v189, v90 offset:1056
.LBB1113_732:                           ;   in Loop: Header=BB1113_682 Depth=2
	s_or_b32 exec_lo, exec_lo, s15
	v_cmp_gt_i64_e32 vcc_lo, 0, v[86:87]
	; wave barrier
	v_cndmask_b32_e64 v91, 0x7fffffff, 0, vcc_lo
	s_delay_alu instid0(VALU_DEP_1) | instskip(NEXT) | instid1(VALU_DEP_1)
	v_dual_ashrrev_i32 v90, 31, v87 :: v_dual_bitop2_b32 v87, v91, v87 bitop3:0x14
	v_not_b32_e32 v90, v90
	s_delay_alu instid0(VALU_DEP_1) | instskip(NEXT) | instid1(VALU_DEP_1)
	v_xor_b32_e32 v86, v90, v86
	v_cmp_ne_u64_e32 vcc_lo, s[42:43], v[86:87]
	v_cndmask_b32_e32 v91, 0x7fffffff, v87, vcc_lo
	v_cndmask_b32_e32 v90, -1, v86, vcc_lo
	s_delay_alu instid0(VALU_DEP_1) | instskip(NEXT) | instid1(VALU_DEP_1)
	v_lshrrev_b64 v[90:91], s48, v[90:91]
	v_bitop3_b32 v91, v90, 1, s55 bitop3:0x80
	v_and_b32_e32 v92, s55, v90
	s_delay_alu instid0(VALU_DEP_2) | instskip(NEXT) | instid1(VALU_DEP_1)
	v_add_co_u32 v90, s15, v91, -1
	v_cndmask_b32_e64 v91, 0, 1, s15
	s_delay_alu instid0(VALU_DEP_3) | instskip(NEXT) | instid1(VALU_DEP_2)
	v_lshlrev_b32_e32 v93, 30, v92
	v_cmp_ne_u32_e32 vcc_lo, 0, v91
	s_delay_alu instid0(VALU_DEP_2) | instskip(SKIP_1) | instid1(VALU_DEP_2)
	v_not_b32_e32 v91, v93
	v_cmp_gt_i32_e64 s15, 0, v93
	v_dual_ashrrev_i32 v91, 31, v91 :: v_dual_lshlrev_b32 v94, 29, v92
	v_dual_lshlrev_b32 v95, 28, v92 :: v_dual_lshlrev_b32 v96, 27, v92
	v_dual_lshlrev_b32 v97, 26, v92 :: v_dual_lshlrev_b32 v190, 25, v92
	v_lshlrev_b32_e32 v191, 24, v92
	s_delay_alu instid0(VALU_DEP_4)
	v_cmp_gt_i32_e64 s16, 0, v94
	v_not_b32_e32 v93, v94
	v_not_b32_e32 v94, v95
	v_cmp_gt_i32_e64 s17, 0, v95
	v_cmp_gt_i32_e64 s18, 0, v96
	v_not_b32_e32 v95, v96
	v_not_b32_e32 v96, v97
	v_dual_ashrrev_i32 v93, 31, v93 :: v_dual_bitop2_b32 v90, vcc_lo, v90 bitop3:0x14
	v_dual_ashrrev_i32 v94, 31, v94 :: v_dual_bitop2_b32 v91, s15, v91 bitop3:0x14
	v_cmp_gt_i32_e64 s19, 0, v97
	v_cmp_gt_i32_e64 s20, 0, v190
	v_not_b32_e32 v97, v190
	v_not_b32_e32 v190, v191
	v_dual_ashrrev_i32 v95, 31, v95 :: v_dual_ashrrev_i32 v96, 31, v96
	v_xor_b32_e32 v93, s16, v93
	v_xor_b32_e32 v94, s17, v94
	v_bitop3_b32 v90, v90, v91, exec_lo bitop3:0x80
	v_cmp_gt_i32_e64 s21, 0, v191
	v_dual_ashrrev_i32 v91, 31, v97 :: v_dual_ashrrev_i32 v97, 31, v190
	v_xor_b32_e32 v95, s18, v95
	v_xor_b32_e32 v96, s19, v96
	v_bitop3_b32 v90, v90, v94, v93 bitop3:0x80
	v_mad_u32_u24 v93, v92, 36, v148
	v_xor_b32_e32 v91, s20, v91
	v_xor_b32_e32 v94, s21, v97
	s_delay_alu instid0(VALU_DEP_4) | instskip(SKIP_3) | instid1(VALU_DEP_2)
	v_bitop3_b32 v90, v90, v96, v95 bitop3:0x80
	ds_load_b32 v190, v93 offset:1056
	; wave barrier
	v_bitop3_b32 v90, v90, v94, v91 bitop3:0x80
	v_mul_u32_u24_e32 v91, 36, v92
	v_mbcnt_lo_u32_b32 v191, v90, 0
	v_cmp_ne_u32_e64 s15, 0, v90
	s_delay_alu instid0(VALU_DEP_3) | instskip(NEXT) | instid1(VALU_DEP_3)
	v_add_nc_u32_e32 v192, v148, v91
	v_cmp_eq_u32_e32 vcc_lo, 0, v191
	s_and_b32 s16, s15, vcc_lo
	s_delay_alu instid0(SALU_CYCLE_1)
	s_and_saveexec_b32 s15, s16
	s_cbranch_execz .LBB1113_734
; %bb.733:                              ;   in Loop: Header=BB1113_682 Depth=2
	s_wait_dscnt 0x0
	v_bcnt_u32_b32 v90, v90, v190
	ds_store_b32 v192, v90 offset:1056
.LBB1113_734:                           ;   in Loop: Header=BB1113_682 Depth=2
	s_or_b32 exec_lo, exec_lo, s15
	v_cmp_gt_i64_e32 vcc_lo, 0, v[88:89]
	; wave barrier
	v_cndmask_b32_e64 v91, 0x7fffffff, 0, vcc_lo
	s_delay_alu instid0(VALU_DEP_1) | instskip(NEXT) | instid1(VALU_DEP_1)
	v_dual_ashrrev_i32 v90, 31, v89 :: v_dual_bitop2_b32 v89, v91, v89 bitop3:0x14
	v_not_b32_e32 v90, v90
	s_delay_alu instid0(VALU_DEP_1) | instskip(NEXT) | instid1(VALU_DEP_1)
	v_xor_b32_e32 v88, v90, v88
	v_cmp_ne_u64_e32 vcc_lo, s[42:43], v[88:89]
	v_cndmask_b32_e32 v91, 0x7fffffff, v89, vcc_lo
	v_cndmask_b32_e32 v90, -1, v88, vcc_lo
	s_delay_alu instid0(VALU_DEP_1) | instskip(NEXT) | instid1(VALU_DEP_1)
	v_lshrrev_b64 v[90:91], s48, v[90:91]
	v_bitop3_b32 v91, v90, 1, s55 bitop3:0x80
	v_and_b32_e32 v92, s55, v90
	s_delay_alu instid0(VALU_DEP_2) | instskip(NEXT) | instid1(VALU_DEP_1)
	v_add_co_u32 v90, s15, v91, -1
	v_cndmask_b32_e64 v91, 0, 1, s15
	s_delay_alu instid0(VALU_DEP_3) | instskip(SKIP_1) | instid1(VALU_DEP_3)
	v_dual_lshlrev_b32 v93, 30, v92 :: v_dual_lshlrev_b32 v95, 28, v92
	v_dual_lshlrev_b32 v94, 29, v92 :: v_dual_lshlrev_b32 v96, 27, v92
	v_cmp_ne_u32_e32 vcc_lo, 0, v91
	s_delay_alu instid0(VALU_DEP_3) | instskip(SKIP_1) | instid1(VALU_DEP_4)
	v_cmp_gt_i32_e64 s15, 0, v93
	v_not_b32_e32 v91, v93
	v_cmp_gt_i32_e64 s16, 0, v94
	v_not_b32_e32 v93, v94
	;; [unrolled: 2-line block ×3, first 2 shown]
	v_not_b32_e32 v95, v96
	s_delay_alu instid0(VALU_DEP_4) | instskip(NEXT) | instid1(VALU_DEP_2)
	v_dual_ashrrev_i32 v91, 31, v91 :: v_dual_ashrrev_i32 v93, 31, v93
	v_dual_ashrrev_i32 v94, 31, v94 :: v_dual_ashrrev_i32 v95, 31, v95
	v_dual_lshlrev_b32 v97, 26, v92 :: v_dual_lshlrev_b32 v193, 25, v92
	v_lshlrev_b32_e32 v194, 24, v92
	v_cmp_gt_i32_e64 s18, 0, v96
	v_xor_b32_e32 v91, s15, v91
	s_delay_alu instid0(VALU_DEP_4)
	v_not_b32_e32 v96, v97
	v_xor_b32_e32 v90, vcc_lo, v90
	v_cmp_gt_i32_e64 s19, 0, v97
	v_cmp_gt_i32_e64 s20, 0, v193
	v_not_b32_e32 v97, v193
	v_not_b32_e32 v193, v194
	v_dual_ashrrev_i32 v96, 31, v96 :: v_dual_bitop2_b32 v93, s16, v93 bitop3:0x14
	v_xor_b32_e32 v94, s17, v94
	v_bitop3_b32 v90, v90, v91, exec_lo bitop3:0x80
	v_cmp_gt_i32_e64 s21, 0, v194
	v_ashrrev_i32_e32 v91, 31, v97
	v_dual_ashrrev_i32 v97, 31, v193 :: v_dual_bitop2_b32 v95, s18, v95 bitop3:0x14
	v_xor_b32_e32 v96, s19, v96
	v_bitop3_b32 v90, v90, v94, v93 bitop3:0x80
	v_mad_u32_u24 v93, v92, 36, v148
	v_xor_b32_e32 v91, s20, v91
	v_xor_b32_e32 v94, s21, v97
	s_delay_alu instid0(VALU_DEP_4) | instskip(SKIP_3) | instid1(VALU_DEP_2)
	v_bitop3_b32 v90, v90, v96, v95 bitop3:0x80
	ds_load_b32 v193, v93 offset:1056
	; wave barrier
	v_bitop3_b32 v90, v90, v94, v91 bitop3:0x80
	v_mul_u32_u24_e32 v91, 36, v92
	v_mbcnt_lo_u32_b32 v194, v90, 0
	v_cmp_ne_u32_e64 s15, 0, v90
	s_delay_alu instid0(VALU_DEP_3) | instskip(NEXT) | instid1(VALU_DEP_3)
	v_add_nc_u32_e32 v195, v148, v91
	v_cmp_eq_u32_e32 vcc_lo, 0, v194
	s_and_b32 s16, s15, vcc_lo
	s_delay_alu instid0(SALU_CYCLE_1)
	s_and_saveexec_b32 s15, s16
	s_cbranch_execz .LBB1113_736
; %bb.735:                              ;   in Loop: Header=BB1113_682 Depth=2
	s_wait_dscnt 0x0
	v_bcnt_u32_b32 v90, v90, v193
	ds_store_b32 v195, v90 offset:1056
.LBB1113_736:                           ;   in Loop: Header=BB1113_682 Depth=2
	s_or_b32 exec_lo, exec_lo, s15
	v_cmp_gt_i64_e32 vcc_lo, 0, v[84:85]
	; wave barrier
	v_cndmask_b32_e64 v91, 0x7fffffff, 0, vcc_lo
	s_delay_alu instid0(VALU_DEP_1) | instskip(NEXT) | instid1(VALU_DEP_1)
	v_dual_ashrrev_i32 v90, 31, v85 :: v_dual_bitop2_b32 v85, v91, v85 bitop3:0x14
	v_not_b32_e32 v90, v90
	s_delay_alu instid0(VALU_DEP_1) | instskip(NEXT) | instid1(VALU_DEP_1)
	v_xor_b32_e32 v84, v90, v84
	v_cmp_ne_u64_e32 vcc_lo, s[42:43], v[84:85]
	v_cndmask_b32_e32 v91, 0x7fffffff, v85, vcc_lo
	v_cndmask_b32_e32 v90, -1, v84, vcc_lo
	s_delay_alu instid0(VALU_DEP_1) | instskip(NEXT) | instid1(VALU_DEP_1)
	v_lshrrev_b64 v[90:91], s48, v[90:91]
	v_bitop3_b32 v91, v90, 1, s55 bitop3:0x80
	v_and_b32_e32 v92, s55, v90
	s_delay_alu instid0(VALU_DEP_2) | instskip(NEXT) | instid1(VALU_DEP_1)
	v_add_co_u32 v90, s15, v91, -1
	v_cndmask_b32_e64 v91, 0, 1, s15
	s_delay_alu instid0(VALU_DEP_3) | instskip(SKIP_1) | instid1(VALU_DEP_3)
	v_dual_lshlrev_b32 v93, 30, v92 :: v_dual_lshlrev_b32 v95, 28, v92
	v_dual_lshlrev_b32 v94, 29, v92 :: v_dual_lshlrev_b32 v96, 27, v92
	v_cmp_ne_u32_e32 vcc_lo, 0, v91
	s_delay_alu instid0(VALU_DEP_3) | instskip(SKIP_1) | instid1(VALU_DEP_4)
	v_cmp_gt_i32_e64 s15, 0, v93
	v_not_b32_e32 v91, v93
	v_cmp_gt_i32_e64 s16, 0, v94
	v_not_b32_e32 v93, v94
	;; [unrolled: 2-line block ×3, first 2 shown]
	v_not_b32_e32 v95, v96
	s_delay_alu instid0(VALU_DEP_4) | instskip(NEXT) | instid1(VALU_DEP_2)
	v_dual_ashrrev_i32 v91, 31, v91 :: v_dual_ashrrev_i32 v93, 31, v93
	v_dual_ashrrev_i32 v94, 31, v94 :: v_dual_ashrrev_i32 v95, 31, v95
	v_dual_lshlrev_b32 v97, 26, v92 :: v_dual_lshlrev_b32 v196, 25, v92
	v_lshlrev_b32_e32 v197, 24, v92
	v_cmp_gt_i32_e64 s18, 0, v96
	v_xor_b32_e32 v91, s15, v91
	s_delay_alu instid0(VALU_DEP_4)
	v_not_b32_e32 v96, v97
	v_xor_b32_e32 v90, vcc_lo, v90
	v_cmp_gt_i32_e64 s19, 0, v97
	v_cmp_gt_i32_e64 s20, 0, v196
	v_not_b32_e32 v97, v196
	v_not_b32_e32 v196, v197
	v_dual_ashrrev_i32 v96, 31, v96 :: v_dual_bitop2_b32 v93, s16, v93 bitop3:0x14
	v_xor_b32_e32 v94, s17, v94
	v_bitop3_b32 v90, v90, v91, exec_lo bitop3:0x80
	v_cmp_gt_i32_e64 s21, 0, v197
	v_dual_ashrrev_i32 v91, 31, v97 :: v_dual_ashrrev_i32 v97, 31, v196
	v_xor_b32_e32 v95, s18, v95
	v_xor_b32_e32 v96, s19, v96
	v_bitop3_b32 v90, v90, v94, v93 bitop3:0x80
	v_mad_u32_u24 v93, v92, 36, v148
	v_xor_b32_e32 v91, s20, v91
	v_xor_b32_e32 v94, s21, v97
	s_delay_alu instid0(VALU_DEP_4) | instskip(SKIP_3) | instid1(VALU_DEP_2)
	v_bitop3_b32 v90, v90, v96, v95 bitop3:0x80
	ds_load_b32 v196, v93 offset:1056
	; wave barrier
	v_bitop3_b32 v90, v90, v94, v91 bitop3:0x80
	v_mul_u32_u24_e32 v91, 36, v92
	v_mbcnt_lo_u32_b32 v197, v90, 0
	v_cmp_ne_u32_e64 s15, 0, v90
	s_delay_alu instid0(VALU_DEP_3) | instskip(NEXT) | instid1(VALU_DEP_3)
	v_add_nc_u32_e32 v198, v148, v91
	v_cmp_eq_u32_e32 vcc_lo, 0, v197
	s_and_b32 s16, s15, vcc_lo
	s_delay_alu instid0(SALU_CYCLE_1)
	s_and_saveexec_b32 s15, s16
	s_cbranch_execz .LBB1113_738
; %bb.737:                              ;   in Loop: Header=BB1113_682 Depth=2
	s_wait_dscnt 0x0
	v_bcnt_u32_b32 v90, v90, v196
	ds_store_b32 v198, v90 offset:1056
.LBB1113_738:                           ;   in Loop: Header=BB1113_682 Depth=2
	s_or_b32 exec_lo, exec_lo, s15
	v_cmp_gt_i64_e32 vcc_lo, 0, v[80:81]
	; wave barrier
	v_cndmask_b32_e64 v91, 0x7fffffff, 0, vcc_lo
	s_delay_alu instid0(VALU_DEP_1) | instskip(NEXT) | instid1(VALU_DEP_1)
	v_dual_ashrrev_i32 v90, 31, v81 :: v_dual_bitop2_b32 v81, v91, v81 bitop3:0x14
	v_not_b32_e32 v90, v90
	s_delay_alu instid0(VALU_DEP_1) | instskip(NEXT) | instid1(VALU_DEP_1)
	v_xor_b32_e32 v80, v90, v80
	v_cmp_ne_u64_e32 vcc_lo, s[42:43], v[80:81]
	v_cndmask_b32_e32 v91, 0x7fffffff, v81, vcc_lo
	v_cndmask_b32_e32 v90, -1, v80, vcc_lo
	s_delay_alu instid0(VALU_DEP_1) | instskip(NEXT) | instid1(VALU_DEP_1)
	v_lshrrev_b64 v[90:91], s48, v[90:91]
	v_bitop3_b32 v91, v90, 1, s55 bitop3:0x80
	v_and_b32_e32 v92, s55, v90
	s_delay_alu instid0(VALU_DEP_2) | instskip(NEXT) | instid1(VALU_DEP_1)
	v_add_co_u32 v90, s15, v91, -1
	v_cndmask_b32_e64 v91, 0, 1, s15
	s_delay_alu instid0(VALU_DEP_3) | instskip(SKIP_1) | instid1(VALU_DEP_3)
	v_dual_lshlrev_b32 v93, 30, v92 :: v_dual_lshlrev_b32 v95, 28, v92
	v_dual_lshlrev_b32 v94, 29, v92 :: v_dual_lshlrev_b32 v96, 27, v92
	v_cmp_ne_u32_e32 vcc_lo, 0, v91
	s_delay_alu instid0(VALU_DEP_3) | instskip(SKIP_1) | instid1(VALU_DEP_4)
	v_cmp_gt_i32_e64 s15, 0, v93
	v_not_b32_e32 v91, v93
	v_cmp_gt_i32_e64 s16, 0, v94
	v_not_b32_e32 v93, v94
	;; [unrolled: 2-line block ×3, first 2 shown]
	v_not_b32_e32 v95, v96
	s_delay_alu instid0(VALU_DEP_4) | instskip(NEXT) | instid1(VALU_DEP_2)
	v_dual_ashrrev_i32 v91, 31, v91 :: v_dual_ashrrev_i32 v93, 31, v93
	v_dual_ashrrev_i32 v94, 31, v94 :: v_dual_ashrrev_i32 v95, 31, v95
	v_dual_lshlrev_b32 v97, 26, v92 :: v_dual_lshlrev_b32 v199, 25, v92
	v_lshlrev_b32_e32 v200, 24, v92
	v_cmp_gt_i32_e64 s18, 0, v96
	v_xor_b32_e32 v91, s15, v91
	s_delay_alu instid0(VALU_DEP_4)
	v_not_b32_e32 v96, v97
	v_xor_b32_e32 v90, vcc_lo, v90
	v_cmp_gt_i32_e64 s19, 0, v97
	v_cmp_gt_i32_e64 s20, 0, v199
	v_not_b32_e32 v97, v199
	v_not_b32_e32 v199, v200
	v_dual_ashrrev_i32 v96, 31, v96 :: v_dual_bitop2_b32 v93, s16, v93 bitop3:0x14
	v_xor_b32_e32 v94, s17, v94
	v_bitop3_b32 v90, v90, v91, exec_lo bitop3:0x80
	v_cmp_gt_i32_e64 s21, 0, v200
	v_dual_ashrrev_i32 v91, 31, v97 :: v_dual_ashrrev_i32 v97, 31, v199
	v_xor_b32_e32 v95, s18, v95
	v_xor_b32_e32 v96, s19, v96
	v_bitop3_b32 v90, v90, v94, v93 bitop3:0x80
	v_mad_u32_u24 v93, v92, 36, v148
	v_xor_b32_e32 v91, s20, v91
	v_xor_b32_e32 v94, s21, v97
	s_delay_alu instid0(VALU_DEP_4) | instskip(SKIP_3) | instid1(VALU_DEP_2)
	v_bitop3_b32 v90, v90, v96, v95 bitop3:0x80
	ds_load_b32 v199, v93 offset:1056
	; wave barrier
	v_bitop3_b32 v90, v90, v94, v91 bitop3:0x80
	v_mul_u32_u24_e32 v91, 36, v92
	v_mbcnt_lo_u32_b32 v200, v90, 0
	v_cmp_ne_u32_e64 s15, 0, v90
	s_delay_alu instid0(VALU_DEP_3) | instskip(NEXT) | instid1(VALU_DEP_3)
	v_add_nc_u32_e32 v201, v148, v91
	v_cmp_eq_u32_e32 vcc_lo, 0, v200
	s_and_b32 s16, s15, vcc_lo
	s_delay_alu instid0(SALU_CYCLE_1)
	s_and_saveexec_b32 s15, s16
	s_cbranch_execz .LBB1113_740
; %bb.739:                              ;   in Loop: Header=BB1113_682 Depth=2
	s_wait_dscnt 0x0
	v_bcnt_u32_b32 v90, v90, v199
	ds_store_b32 v201, v90 offset:1056
.LBB1113_740:                           ;   in Loop: Header=BB1113_682 Depth=2
	s_or_b32 exec_lo, exec_lo, s15
	v_cmp_gt_i64_e32 vcc_lo, 0, v[76:77]
	; wave barrier
	v_cndmask_b32_e64 v91, 0x7fffffff, 0, vcc_lo
	s_delay_alu instid0(VALU_DEP_1) | instskip(NEXT) | instid1(VALU_DEP_1)
	v_dual_ashrrev_i32 v90, 31, v77 :: v_dual_bitop2_b32 v77, v91, v77 bitop3:0x14
	v_not_b32_e32 v90, v90
	s_delay_alu instid0(VALU_DEP_1) | instskip(NEXT) | instid1(VALU_DEP_1)
	v_xor_b32_e32 v76, v90, v76
	v_cmp_ne_u64_e32 vcc_lo, s[42:43], v[76:77]
	v_cndmask_b32_e32 v91, 0x7fffffff, v77, vcc_lo
	v_cndmask_b32_e32 v90, -1, v76, vcc_lo
	s_delay_alu instid0(VALU_DEP_1) | instskip(NEXT) | instid1(VALU_DEP_1)
	v_lshrrev_b64 v[90:91], s48, v[90:91]
	v_bitop3_b32 v91, v90, 1, s55 bitop3:0x80
	v_and_b32_e32 v92, s55, v90
	s_delay_alu instid0(VALU_DEP_2) | instskip(NEXT) | instid1(VALU_DEP_1)
	v_add_co_u32 v90, s15, v91, -1
	v_cndmask_b32_e64 v91, 0, 1, s15
	s_delay_alu instid0(VALU_DEP_3) | instskip(SKIP_1) | instid1(VALU_DEP_3)
	v_dual_lshlrev_b32 v93, 30, v92 :: v_dual_lshlrev_b32 v95, 28, v92
	v_dual_lshlrev_b32 v94, 29, v92 :: v_dual_lshlrev_b32 v96, 27, v92
	v_cmp_ne_u32_e32 vcc_lo, 0, v91
	s_delay_alu instid0(VALU_DEP_3) | instskip(SKIP_1) | instid1(VALU_DEP_4)
	v_cmp_gt_i32_e64 s15, 0, v93
	v_not_b32_e32 v91, v93
	v_cmp_gt_i32_e64 s16, 0, v94
	v_not_b32_e32 v93, v94
	;; [unrolled: 2-line block ×3, first 2 shown]
	v_not_b32_e32 v95, v96
	s_delay_alu instid0(VALU_DEP_4) | instskip(NEXT) | instid1(VALU_DEP_2)
	v_dual_ashrrev_i32 v91, 31, v91 :: v_dual_ashrrev_i32 v93, 31, v93
	v_dual_ashrrev_i32 v94, 31, v94 :: v_dual_ashrrev_i32 v95, 31, v95
	v_dual_lshlrev_b32 v97, 26, v92 :: v_dual_lshlrev_b32 v202, 25, v92
	v_lshlrev_b32_e32 v203, 24, v92
	v_cmp_gt_i32_e64 s18, 0, v96
	v_xor_b32_e32 v91, s15, v91
	s_delay_alu instid0(VALU_DEP_4)
	v_not_b32_e32 v96, v97
	v_xor_b32_e32 v90, vcc_lo, v90
	v_cmp_gt_i32_e64 s19, 0, v97
	v_cmp_gt_i32_e64 s20, 0, v202
	v_not_b32_e32 v97, v202
	v_not_b32_e32 v202, v203
	v_dual_ashrrev_i32 v96, 31, v96 :: v_dual_bitop2_b32 v93, s16, v93 bitop3:0x14
	v_xor_b32_e32 v94, s17, v94
	v_bitop3_b32 v90, v90, v91, exec_lo bitop3:0x80
	v_cmp_gt_i32_e64 s21, 0, v203
	v_dual_ashrrev_i32 v91, 31, v97 :: v_dual_ashrrev_i32 v97, 31, v202
	v_xor_b32_e32 v95, s18, v95
	v_xor_b32_e32 v96, s19, v96
	v_bitop3_b32 v90, v90, v94, v93 bitop3:0x80
	v_mad_u32_u24 v93, v92, 36, v148
	v_xor_b32_e32 v91, s20, v91
	v_xor_b32_e32 v94, s21, v97
	s_delay_alu instid0(VALU_DEP_4) | instskip(SKIP_3) | instid1(VALU_DEP_2)
	v_bitop3_b32 v90, v90, v96, v95 bitop3:0x80
	ds_load_b32 v202, v93 offset:1056
	; wave barrier
	v_bitop3_b32 v90, v90, v94, v91 bitop3:0x80
	v_mul_u32_u24_e32 v91, 36, v92
	v_mbcnt_lo_u32_b32 v203, v90, 0
	v_cmp_ne_u32_e64 s15, 0, v90
	s_delay_alu instid0(VALU_DEP_3) | instskip(NEXT) | instid1(VALU_DEP_3)
	v_add_nc_u32_e32 v204, v148, v91
	v_cmp_eq_u32_e32 vcc_lo, 0, v203
	s_and_b32 s16, s15, vcc_lo
	s_delay_alu instid0(SALU_CYCLE_1)
	s_and_saveexec_b32 s15, s16
	s_cbranch_execz .LBB1113_742
; %bb.741:                              ;   in Loop: Header=BB1113_682 Depth=2
	s_wait_dscnt 0x0
	v_bcnt_u32_b32 v90, v90, v202
	ds_store_b32 v204, v90 offset:1056
.LBB1113_742:                           ;   in Loop: Header=BB1113_682 Depth=2
	s_or_b32 exec_lo, exec_lo, s15
	v_cmp_gt_i64_e32 vcc_lo, 0, v[72:73]
	; wave barrier
	v_cndmask_b32_e64 v91, 0x7fffffff, 0, vcc_lo
	s_delay_alu instid0(VALU_DEP_1) | instskip(NEXT) | instid1(VALU_DEP_1)
	v_dual_ashrrev_i32 v90, 31, v73 :: v_dual_bitop2_b32 v73, v91, v73 bitop3:0x14
	v_not_b32_e32 v90, v90
	s_delay_alu instid0(VALU_DEP_1) | instskip(NEXT) | instid1(VALU_DEP_1)
	v_xor_b32_e32 v72, v90, v72
	v_cmp_ne_u64_e32 vcc_lo, s[42:43], v[72:73]
	v_cndmask_b32_e32 v91, 0x7fffffff, v73, vcc_lo
	v_cndmask_b32_e32 v90, -1, v72, vcc_lo
	s_delay_alu instid0(VALU_DEP_1) | instskip(NEXT) | instid1(VALU_DEP_1)
	v_lshrrev_b64 v[90:91], s48, v[90:91]
	v_bitop3_b32 v91, v90, 1, s55 bitop3:0x80
	v_and_b32_e32 v92, s55, v90
	s_delay_alu instid0(VALU_DEP_2) | instskip(NEXT) | instid1(VALU_DEP_1)
	v_add_co_u32 v90, s15, v91, -1
	v_cndmask_b32_e64 v91, 0, 1, s15
	s_delay_alu instid0(VALU_DEP_3) | instskip(SKIP_1) | instid1(VALU_DEP_3)
	v_dual_lshlrev_b32 v93, 30, v92 :: v_dual_lshlrev_b32 v95, 28, v92
	v_dual_lshlrev_b32 v94, 29, v92 :: v_dual_lshlrev_b32 v96, 27, v92
	v_cmp_ne_u32_e32 vcc_lo, 0, v91
	s_delay_alu instid0(VALU_DEP_3) | instskip(SKIP_1) | instid1(VALU_DEP_4)
	v_cmp_gt_i32_e64 s15, 0, v93
	v_not_b32_e32 v91, v93
	v_cmp_gt_i32_e64 s16, 0, v94
	v_not_b32_e32 v93, v94
	;; [unrolled: 2-line block ×3, first 2 shown]
	v_not_b32_e32 v95, v96
	s_delay_alu instid0(VALU_DEP_4) | instskip(NEXT) | instid1(VALU_DEP_2)
	v_dual_ashrrev_i32 v91, 31, v91 :: v_dual_ashrrev_i32 v93, 31, v93
	v_dual_ashrrev_i32 v94, 31, v94 :: v_dual_ashrrev_i32 v95, 31, v95
	v_dual_lshlrev_b32 v97, 26, v92 :: v_dual_lshlrev_b32 v205, 25, v92
	v_lshlrev_b32_e32 v206, 24, v92
	v_cmp_gt_i32_e64 s18, 0, v96
	v_xor_b32_e32 v91, s15, v91
	s_delay_alu instid0(VALU_DEP_4)
	v_not_b32_e32 v96, v97
	v_xor_b32_e32 v90, vcc_lo, v90
	v_cmp_gt_i32_e64 s19, 0, v97
	v_cmp_gt_i32_e64 s20, 0, v205
	v_not_b32_e32 v97, v205
	v_not_b32_e32 v205, v206
	v_dual_ashrrev_i32 v96, 31, v96 :: v_dual_bitop2_b32 v93, s16, v93 bitop3:0x14
	v_xor_b32_e32 v94, s17, v94
	v_bitop3_b32 v90, v90, v91, exec_lo bitop3:0x80
	v_cmp_gt_i32_e64 s21, 0, v206
	v_ashrrev_i32_e32 v91, 31, v97
	v_dual_ashrrev_i32 v97, 31, v205 :: v_dual_bitop2_b32 v95, s18, v95 bitop3:0x14
	v_xor_b32_e32 v96, s19, v96
	v_bitop3_b32 v90, v90, v94, v93 bitop3:0x80
	v_mad_u32_u24 v93, v92, 36, v148
	v_xor_b32_e32 v91, s20, v91
	v_xor_b32_e32 v94, s21, v97
	s_delay_alu instid0(VALU_DEP_4) | instskip(SKIP_3) | instid1(VALU_DEP_2)
	v_bitop3_b32 v90, v90, v96, v95 bitop3:0x80
	ds_load_b32 v205, v93 offset:1056
	; wave barrier
	v_bitop3_b32 v90, v90, v94, v91 bitop3:0x80
	v_mul_u32_u24_e32 v91, 36, v92
	v_mbcnt_lo_u32_b32 v206, v90, 0
	v_cmp_ne_u32_e64 s15, 0, v90
	s_delay_alu instid0(VALU_DEP_3) | instskip(NEXT) | instid1(VALU_DEP_3)
	v_add_nc_u32_e32 v207, v148, v91
	v_cmp_eq_u32_e32 vcc_lo, 0, v206
	s_and_b32 s16, s15, vcc_lo
	s_delay_alu instid0(SALU_CYCLE_1)
	s_and_saveexec_b32 s15, s16
	s_cbranch_execz .LBB1113_744
; %bb.743:                              ;   in Loop: Header=BB1113_682 Depth=2
	s_wait_dscnt 0x0
	v_bcnt_u32_b32 v90, v90, v205
	ds_store_b32 v207, v90 offset:1056
.LBB1113_744:                           ;   in Loop: Header=BB1113_682 Depth=2
	s_or_b32 exec_lo, exec_lo, s15
	v_cmp_gt_i64_e32 vcc_lo, 0, v[68:69]
	; wave barrier
	v_cndmask_b32_e64 v91, 0x7fffffff, 0, vcc_lo
	s_delay_alu instid0(VALU_DEP_1) | instskip(NEXT) | instid1(VALU_DEP_1)
	v_dual_ashrrev_i32 v90, 31, v69 :: v_dual_bitop2_b32 v69, v91, v69 bitop3:0x14
	v_not_b32_e32 v90, v90
	s_delay_alu instid0(VALU_DEP_1) | instskip(NEXT) | instid1(VALU_DEP_1)
	v_xor_b32_e32 v68, v90, v68
	v_cmp_ne_u64_e32 vcc_lo, s[42:43], v[68:69]
	v_cndmask_b32_e32 v91, 0x7fffffff, v69, vcc_lo
	v_cndmask_b32_e32 v90, -1, v68, vcc_lo
	s_delay_alu instid0(VALU_DEP_1) | instskip(NEXT) | instid1(VALU_DEP_1)
	v_lshrrev_b64 v[90:91], s48, v[90:91]
	v_bitop3_b32 v91, v90, 1, s55 bitop3:0x80
	v_and_b32_e32 v92, s55, v90
	s_delay_alu instid0(VALU_DEP_2) | instskip(NEXT) | instid1(VALU_DEP_1)
	v_add_co_u32 v90, s15, v91, -1
	v_cndmask_b32_e64 v91, 0, 1, s15
	s_delay_alu instid0(VALU_DEP_3) | instskip(SKIP_1) | instid1(VALU_DEP_3)
	v_dual_lshlrev_b32 v93, 30, v92 :: v_dual_lshlrev_b32 v95, 28, v92
	v_dual_lshlrev_b32 v94, 29, v92 :: v_dual_lshlrev_b32 v96, 27, v92
	v_cmp_ne_u32_e32 vcc_lo, 0, v91
	s_delay_alu instid0(VALU_DEP_3) | instskip(SKIP_1) | instid1(VALU_DEP_4)
	v_cmp_gt_i32_e64 s15, 0, v93
	v_not_b32_e32 v91, v93
	v_cmp_gt_i32_e64 s16, 0, v94
	v_not_b32_e32 v93, v94
	;; [unrolled: 2-line block ×3, first 2 shown]
	v_not_b32_e32 v95, v96
	s_delay_alu instid0(VALU_DEP_4) | instskip(NEXT) | instid1(VALU_DEP_2)
	v_dual_ashrrev_i32 v91, 31, v91 :: v_dual_ashrrev_i32 v93, 31, v93
	v_dual_ashrrev_i32 v94, 31, v94 :: v_dual_ashrrev_i32 v95, 31, v95
	v_dual_lshlrev_b32 v97, 26, v92 :: v_dual_lshlrev_b32 v208, 25, v92
	v_lshlrev_b32_e32 v209, 24, v92
	v_cmp_gt_i32_e64 s18, 0, v96
	v_xor_b32_e32 v91, s15, v91
	s_delay_alu instid0(VALU_DEP_4)
	v_not_b32_e32 v96, v97
	v_xor_b32_e32 v90, vcc_lo, v90
	v_cmp_gt_i32_e64 s19, 0, v97
	v_cmp_gt_i32_e64 s20, 0, v208
	v_not_b32_e32 v97, v208
	v_not_b32_e32 v208, v209
	v_dual_ashrrev_i32 v96, 31, v96 :: v_dual_bitop2_b32 v93, s16, v93 bitop3:0x14
	v_xor_b32_e32 v94, s17, v94
	v_bitop3_b32 v90, v90, v91, exec_lo bitop3:0x80
	v_cmp_gt_i32_e64 s21, 0, v209
	v_dual_ashrrev_i32 v91, 31, v97 :: v_dual_ashrrev_i32 v97, 31, v208
	v_xor_b32_e32 v95, s18, v95
	v_xor_b32_e32 v96, s19, v96
	v_bitop3_b32 v90, v90, v94, v93 bitop3:0x80
	v_mad_u32_u24 v93, v92, 36, v148
	v_xor_b32_e32 v91, s20, v91
	v_xor_b32_e32 v94, s21, v97
	s_delay_alu instid0(VALU_DEP_4) | instskip(SKIP_3) | instid1(VALU_DEP_2)
	v_bitop3_b32 v90, v90, v96, v95 bitop3:0x80
	ds_load_b32 v208, v93 offset:1056
	; wave barrier
	v_bitop3_b32 v90, v90, v94, v91 bitop3:0x80
	v_mul_u32_u24_e32 v91, 36, v92
	v_mbcnt_lo_u32_b32 v209, v90, 0
	v_cmp_ne_u32_e64 s15, 0, v90
	s_delay_alu instid0(VALU_DEP_3) | instskip(NEXT) | instid1(VALU_DEP_3)
	v_add_nc_u32_e32 v211, v148, v91
	v_cmp_eq_u32_e32 vcc_lo, 0, v209
	s_and_b32 s16, s15, vcc_lo
	s_delay_alu instid0(SALU_CYCLE_1)
	s_and_saveexec_b32 s15, s16
	s_cbranch_execz .LBB1113_746
; %bb.745:                              ;   in Loop: Header=BB1113_682 Depth=2
	s_wait_dscnt 0x0
	v_bcnt_u32_b32 v90, v90, v208
	ds_store_b32 v211, v90 offset:1056
.LBB1113_746:                           ;   in Loop: Header=BB1113_682 Depth=2
	s_or_b32 exec_lo, exec_lo, s15
	v_cmp_gt_i64_e32 vcc_lo, 0, v[64:65]
	; wave barrier
	v_cndmask_b32_e64 v91, 0x7fffffff, 0, vcc_lo
	s_delay_alu instid0(VALU_DEP_1) | instskip(NEXT) | instid1(VALU_DEP_1)
	v_dual_ashrrev_i32 v90, 31, v65 :: v_dual_bitop2_b32 v65, v91, v65 bitop3:0x14
	v_not_b32_e32 v90, v90
	s_delay_alu instid0(VALU_DEP_1) | instskip(NEXT) | instid1(VALU_DEP_1)
	v_xor_b32_e32 v64, v90, v64
	v_cmp_ne_u64_e32 vcc_lo, s[42:43], v[64:65]
	v_cndmask_b32_e32 v91, 0x7fffffff, v65, vcc_lo
	v_cndmask_b32_e32 v90, -1, v64, vcc_lo
	s_delay_alu instid0(VALU_DEP_1) | instskip(NEXT) | instid1(VALU_DEP_1)
	v_lshrrev_b64 v[90:91], s48, v[90:91]
	v_bitop3_b32 v91, v90, 1, s55 bitop3:0x80
	v_and_b32_e32 v92, s55, v90
	s_delay_alu instid0(VALU_DEP_2) | instskip(NEXT) | instid1(VALU_DEP_1)
	v_add_co_u32 v90, s15, v91, -1
	v_cndmask_b32_e64 v91, 0, 1, s15
	s_delay_alu instid0(VALU_DEP_3) | instskip(SKIP_1) | instid1(VALU_DEP_3)
	v_dual_lshlrev_b32 v93, 30, v92 :: v_dual_lshlrev_b32 v95, 28, v92
	v_dual_lshlrev_b32 v94, 29, v92 :: v_dual_lshlrev_b32 v96, 27, v92
	v_cmp_ne_u32_e32 vcc_lo, 0, v91
	s_delay_alu instid0(VALU_DEP_3) | instskip(SKIP_1) | instid1(VALU_DEP_4)
	v_cmp_gt_i32_e64 s15, 0, v93
	v_not_b32_e32 v91, v93
	v_cmp_gt_i32_e64 s16, 0, v94
	v_not_b32_e32 v93, v94
	;; [unrolled: 2-line block ×3, first 2 shown]
	v_not_b32_e32 v95, v96
	s_delay_alu instid0(VALU_DEP_4) | instskip(NEXT) | instid1(VALU_DEP_2)
	v_dual_ashrrev_i32 v91, 31, v91 :: v_dual_ashrrev_i32 v93, 31, v93
	v_dual_ashrrev_i32 v94, 31, v94 :: v_dual_ashrrev_i32 v95, 31, v95
	v_dual_lshlrev_b32 v97, 26, v92 :: v_dual_lshlrev_b32 v210, 25, v92
	v_lshlrev_b32_e32 v212, 24, v92
	v_cmp_gt_i32_e64 s18, 0, v96
	v_xor_b32_e32 v91, s15, v91
	s_delay_alu instid0(VALU_DEP_4)
	v_not_b32_e32 v96, v97
	v_xor_b32_e32 v90, vcc_lo, v90
	v_cmp_gt_i32_e64 s19, 0, v97
	v_cmp_gt_i32_e64 s20, 0, v210
	v_not_b32_e32 v97, v210
	v_not_b32_e32 v210, v212
	v_dual_ashrrev_i32 v96, 31, v96 :: v_dual_bitop2_b32 v93, s16, v93 bitop3:0x14
	v_xor_b32_e32 v94, s17, v94
	v_bitop3_b32 v90, v90, v91, exec_lo bitop3:0x80
	v_cmp_gt_i32_e64 s21, 0, v212
	v_dual_ashrrev_i32 v91, 31, v97 :: v_dual_ashrrev_i32 v97, 31, v210
	v_xor_b32_e32 v95, s18, v95
	v_xor_b32_e32 v96, s19, v96
	v_bitop3_b32 v90, v90, v94, v93 bitop3:0x80
	v_mad_u32_u24 v93, v92, 36, v148
	v_xor_b32_e32 v91, s20, v91
	v_xor_b32_e32 v94, s21, v97
	s_delay_alu instid0(VALU_DEP_4) | instskip(SKIP_3) | instid1(VALU_DEP_2)
	v_bitop3_b32 v90, v90, v96, v95 bitop3:0x80
	ds_load_b32 v210, v93 offset:1056
	; wave barrier
	v_bitop3_b32 v90, v90, v94, v91 bitop3:0x80
	v_mul_u32_u24_e32 v91, 36, v92
	v_mbcnt_lo_u32_b32 v212, v90, 0
	v_cmp_ne_u32_e64 s15, 0, v90
	s_delay_alu instid0(VALU_DEP_3) | instskip(NEXT) | instid1(VALU_DEP_3)
	v_add_nc_u32_e32 v215, v148, v91
	v_cmp_eq_u32_e32 vcc_lo, 0, v212
	s_and_b32 s16, s15, vcc_lo
	s_delay_alu instid0(SALU_CYCLE_1)
	s_and_saveexec_b32 s15, s16
	s_cbranch_execz .LBB1113_748
; %bb.747:                              ;   in Loop: Header=BB1113_682 Depth=2
	s_wait_dscnt 0x0
	v_bcnt_u32_b32 v90, v90, v210
	ds_store_b32 v215, v90 offset:1056
.LBB1113_748:                           ;   in Loop: Header=BB1113_682 Depth=2
	s_or_b32 exec_lo, exec_lo, s15
	v_cmp_gt_i64_e32 vcc_lo, 0, v[66:67]
	; wave barrier
	v_cndmask_b32_e64 v91, 0x7fffffff, 0, vcc_lo
	s_delay_alu instid0(VALU_DEP_1) | instskip(NEXT) | instid1(VALU_DEP_1)
	v_dual_ashrrev_i32 v90, 31, v67 :: v_dual_bitop2_b32 v67, v91, v67 bitop3:0x14
	v_not_b32_e32 v90, v90
	s_delay_alu instid0(VALU_DEP_1) | instskip(NEXT) | instid1(VALU_DEP_1)
	v_xor_b32_e32 v66, v90, v66
	v_cmp_ne_u64_e32 vcc_lo, s[42:43], v[66:67]
	v_cndmask_b32_e32 v91, 0x7fffffff, v67, vcc_lo
	v_cndmask_b32_e32 v90, -1, v66, vcc_lo
	s_delay_alu instid0(VALU_DEP_1) | instskip(NEXT) | instid1(VALU_DEP_1)
	v_lshrrev_b64 v[90:91], s48, v[90:91]
	v_bitop3_b32 v91, v90, 1, s55 bitop3:0x80
	v_and_b32_e32 v92, s55, v90
	s_delay_alu instid0(VALU_DEP_2) | instskip(NEXT) | instid1(VALU_DEP_1)
	v_add_co_u32 v90, s15, v91, -1
	v_cndmask_b32_e64 v91, 0, 1, s15
	s_delay_alu instid0(VALU_DEP_3) | instskip(NEXT) | instid1(VALU_DEP_2)
	v_lshlrev_b32_e32 v93, 30, v92
	v_cmp_ne_u32_e32 vcc_lo, 0, v91
	s_delay_alu instid0(VALU_DEP_2) | instskip(SKIP_1) | instid1(VALU_DEP_2)
	v_not_b32_e32 v91, v93
	v_cmp_gt_i32_e64 s15, 0, v93
	v_dual_ashrrev_i32 v91, 31, v91 :: v_dual_lshlrev_b32 v94, 29, v92
	v_dual_lshlrev_b32 v95, 28, v92 :: v_dual_lshlrev_b32 v96, 27, v92
	v_dual_lshlrev_b32 v97, 26, v92 :: v_dual_lshlrev_b32 v213, 25, v92
	v_lshlrev_b32_e32 v214, 24, v92
	s_delay_alu instid0(VALU_DEP_4)
	v_cmp_gt_i32_e64 s16, 0, v94
	v_not_b32_e32 v93, v94
	v_not_b32_e32 v94, v95
	v_cmp_gt_i32_e64 s17, 0, v95
	v_cmp_gt_i32_e64 s18, 0, v96
	v_not_b32_e32 v95, v96
	v_not_b32_e32 v96, v97
	v_dual_ashrrev_i32 v93, 31, v93 :: v_dual_bitop2_b32 v90, vcc_lo, v90 bitop3:0x14
	v_dual_ashrrev_i32 v94, 31, v94 :: v_dual_bitop2_b32 v91, s15, v91 bitop3:0x14
	v_cmp_gt_i32_e64 s19, 0, v97
	v_cmp_gt_i32_e64 s20, 0, v213
	v_not_b32_e32 v97, v213
	v_not_b32_e32 v213, v214
	v_dual_ashrrev_i32 v95, 31, v95 :: v_dual_ashrrev_i32 v96, 31, v96
	v_xor_b32_e32 v93, s16, v93
	v_xor_b32_e32 v94, s17, v94
	v_bitop3_b32 v90, v90, v91, exec_lo bitop3:0x80
	v_cmp_gt_i32_e64 s21, 0, v214
	v_ashrrev_i32_e32 v91, 31, v97
	v_dual_ashrrev_i32 v97, 31, v213 :: v_dual_bitop2_b32 v95, s18, v95 bitop3:0x14
	v_xor_b32_e32 v96, s19, v96
	v_bitop3_b32 v90, v90, v94, v93 bitop3:0x80
	v_mad_u32_u24 v93, v92, 36, v148
	v_xor_b32_e32 v91, s20, v91
	v_xor_b32_e32 v94, s21, v97
	s_delay_alu instid0(VALU_DEP_4) | instskip(SKIP_3) | instid1(VALU_DEP_2)
	v_bitop3_b32 v90, v90, v96, v95 bitop3:0x80
	ds_load_b32 v213, v93 offset:1056
	; wave barrier
	v_bitop3_b32 v90, v90, v94, v91 bitop3:0x80
	v_mul_u32_u24_e32 v91, 36, v92
	v_mbcnt_lo_u32_b32 v214, v90, 0
	v_cmp_ne_u32_e64 s15, 0, v90
	s_delay_alu instid0(VALU_DEP_3) | instskip(NEXT) | instid1(VALU_DEP_3)
	v_add_nc_u32_e32 v216, v148, v91
	v_cmp_eq_u32_e32 vcc_lo, 0, v214
	s_and_b32 s16, s15, vcc_lo
	s_delay_alu instid0(SALU_CYCLE_1)
	s_and_saveexec_b32 s15, s16
	s_cbranch_execz .LBB1113_750
; %bb.749:                              ;   in Loop: Header=BB1113_682 Depth=2
	s_wait_dscnt 0x0
	v_bcnt_u32_b32 v90, v90, v213
	ds_store_b32 v216, v90 offset:1056
.LBB1113_750:                           ;   in Loop: Header=BB1113_682 Depth=2
	s_or_b32 exec_lo, exec_lo, s15
	; wave barrier
	s_wait_dscnt 0x0
	s_barrier_signal -1
	s_barrier_wait -1
	ds_load_2addr_b32 v[96:97], v168 offset1:1
	ds_load_2addr_b32 v[94:95], v169 offset1:1
	ds_load_2addr_b32 v[92:93], v170 offset1:1
	ds_load_2addr_b32 v[90:91], v167 offset1:1
	ds_load_b32 v217, v120 offset:1088
	s_wait_dscnt 0x3
	v_add3_u32 v218, v97, v96, v94
	s_wait_dscnt 0x2
	s_delay_alu instid0(VALU_DEP_1) | instskip(SKIP_1) | instid1(VALU_DEP_1)
	v_add3_u32 v218, v218, v95, v92
	s_wait_dscnt 0x1
	v_add3_u32 v218, v218, v93, v90
	s_wait_dscnt 0x0
	s_delay_alu instid0(VALU_DEP_1) | instskip(NEXT) | instid1(VALU_DEP_1)
	v_add3_u32 v217, v218, v91, v217
	v_mov_b32_dpp v218, v217 row_shr:1 row_mask:0xf bank_mask:0xf
	s_delay_alu instid0(VALU_DEP_1) | instskip(NEXT) | instid1(VALU_DEP_1)
	v_cndmask_b32_e64 v218, v218, 0, s7
	v_add_nc_u32_e32 v217, v218, v217
	s_delay_alu instid0(VALU_DEP_1) | instskip(NEXT) | instid1(VALU_DEP_1)
	v_mov_b32_dpp v218, v217 row_shr:2 row_mask:0xf bank_mask:0xf
	v_cndmask_b32_e64 v218, 0, v218, s8
	s_delay_alu instid0(VALU_DEP_1) | instskip(NEXT) | instid1(VALU_DEP_1)
	v_add_nc_u32_e32 v217, v217, v218
	v_mov_b32_dpp v218, v217 row_shr:4 row_mask:0xf bank_mask:0xf
	s_delay_alu instid0(VALU_DEP_1) | instskip(NEXT) | instid1(VALU_DEP_1)
	v_cndmask_b32_e64 v218, 0, v218, s9
	v_add_nc_u32_e32 v217, v217, v218
	s_delay_alu instid0(VALU_DEP_1) | instskip(NEXT) | instid1(VALU_DEP_1)
	v_mov_b32_dpp v218, v217 row_shr:8 row_mask:0xf bank_mask:0xf
	v_cndmask_b32_e64 v218, 0, v218, s10
	s_delay_alu instid0(VALU_DEP_1) | instskip(SKIP_3) | instid1(VALU_DEP_1)
	v_add_nc_u32_e32 v217, v217, v218
	ds_swizzle_b32 v218, v217 offset:swizzle(BROADCAST,32,15)
	s_wait_dscnt 0x0
	v_cndmask_b32_e64 v218, v218, 0, s11
	v_add_nc_u32_e32 v217, v217, v218
	s_and_saveexec_b32 s15, s1
; %bb.751:                              ;   in Loop: Header=BB1113_682 Depth=2
	ds_store_b32 v114, v217 offset:1024
; %bb.752:                              ;   in Loop: Header=BB1113_682 Depth=2
	s_or_b32 exec_lo, exec_lo, s15
	s_wait_dscnt 0x0
	s_barrier_signal -1
	s_barrier_wait -1
	s_and_saveexec_b32 s15, s4
	s_cbranch_execz .LBB1113_754
; %bb.753:                              ;   in Loop: Header=BB1113_682 Depth=2
	ds_load_b32 v218, v122 offset:1024
	s_wait_dscnt 0x0
	v_mov_b32_dpp v219, v218 row_shr:1 row_mask:0xf bank_mask:0xf
	s_delay_alu instid0(VALU_DEP_1) | instskip(NEXT) | instid1(VALU_DEP_1)
	v_cndmask_b32_e64 v219, v219, 0, s12
	v_add_nc_u32_e32 v218, v219, v218
	s_delay_alu instid0(VALU_DEP_1) | instskip(NEXT) | instid1(VALU_DEP_1)
	v_mov_b32_dpp v219, v218 row_shr:2 row_mask:0xf bank_mask:0xf
	v_cndmask_b32_e64 v219, 0, v219, s13
	s_delay_alu instid0(VALU_DEP_1) | instskip(NEXT) | instid1(VALU_DEP_1)
	v_add_nc_u32_e32 v218, v218, v219
	v_mov_b32_dpp v219, v218 row_shr:4 row_mask:0xf bank_mask:0xf
	s_delay_alu instid0(VALU_DEP_1) | instskip(NEXT) | instid1(VALU_DEP_1)
	v_cndmask_b32_e64 v219, 0, v219, s14
	v_add_nc_u32_e32 v218, v218, v219
	ds_store_b32 v122, v218 offset:1024
.LBB1113_754:                           ;   in Loop: Header=BB1113_682 Depth=2
	s_or_b32 exec_lo, exec_lo, s15
	v_mov_b32_e32 v218, 0
	s_wait_dscnt 0x0
	s_barrier_signal -1
	s_barrier_wait -1
	s_and_saveexec_b32 s15, s5
; %bb.755:                              ;   in Loop: Header=BB1113_682 Depth=2
	ds_load_b32 v218, v114 offset:1020
; %bb.756:                              ;   in Loop: Header=BB1113_682 Depth=2
	s_or_b32 exec_lo, exec_lo, s15
	s_wait_dscnt 0x0
	v_add_nc_u32_e32 v217, v218, v217
	ds_bpermute_b32 v217, v147, v217
	s_wait_dscnt 0x0
	v_cndmask_b32_e64 v217, v217, v218, s6
	s_delay_alu instid0(VALU_DEP_1) | instskip(NEXT) | instid1(VALU_DEP_1)
	v_cndmask_b32_e64 v217, v217, 0, s2
	v_add_nc_u32_e32 v96, v217, v96
	s_delay_alu instid0(VALU_DEP_1) | instskip(NEXT) | instid1(VALU_DEP_1)
	v_add_nc_u32_e32 v97, v96, v97
	v_add_nc_u32_e32 v94, v97, v94
	s_delay_alu instid0(VALU_DEP_1) | instskip(NEXT) | instid1(VALU_DEP_1)
	v_add_nc_u32_e32 v95, v94, v95
	;; [unrolled: 3-line block ×3, first 2 shown]
	v_add_nc_u32_e32 v90, v93, v90
	s_delay_alu instid0(VALU_DEP_1)
	v_add_nc_u32_e32 v91, v90, v91
	ds_store_2addr_b32 v167, v93, v90 offset1:1
	ds_store_2addr_b32 v168, v217, v96 offset1:1
	;; [unrolled: 1-line block ×4, first 2 shown]
	ds_store_b32 v120, v91 offset:1088
	s_wait_dscnt 0x0
	s_barrier_signal -1
	s_barrier_wait -1
	ds_load_b32 v91, v171 offset:1056
	ds_load_b32 v96, v174 offset:1056
	;; [unrolled: 1-line block ×17, first 2 shown]
	v_mov_b32_e32 v90, 0x1000
	s_and_saveexec_b32 s15, s3
; %bb.757:                              ;   in Loop: Header=BB1113_682 Depth=2
	ds_load_b32 v90, v120 offset:1092
; %bb.758:                              ;   in Loop: Header=BB1113_682 Depth=2
	s_or_b32 exec_lo, exec_lo, s15
	s_wait_dscnt 0x0
	s_barrier_signal -1
	s_barrier_wait -1
	s_and_saveexec_b32 s15, s0
	s_cbranch_execz .LBB1113_760
; %bb.759:                              ;   in Loop: Header=BB1113_682 Depth=2
	ds_load_b32 v189, v3
	s_wait_dscnt 0x0
	v_sub_nc_u32_e32 v186, v189, v186
	ds_store_b32 v3, v186
.LBB1113_760:                           ;   in Loop: Header=BB1113_682 Depth=2
	s_or_b32 exec_lo, exec_lo, s15
	v_dual_lshlrev_b32 v166, 3, v166 :: v_dual_lshlrev_b32 v173, 3, v173
	v_lshlrev_b32_e32 v172, 3, v172
	v_dual_lshlrev_b32 v96, 3, v96 :: v_dual_lshlrev_b32 v95, 3, v95
	s_delay_alu instid0(VALU_DEP_3)
	v_lshl_add_u32 v91, v91, 3, v166
	v_dual_lshlrev_b32 v176, 3, v176 :: v_dual_lshlrev_b32 v166, 3, v175
	v_dual_lshlrev_b32 v175, 3, v179 :: v_dual_lshlrev_b32 v178, 3, v178
	v_lshlrev_b32_e32 v179, 3, v181
	ds_store_b64 v91, v[58:59] offset:1024
	v_dual_lshlrev_b32 v58, 3, v94 :: v_dual_lshlrev_b32 v181, 3, v93
	v_dual_lshlrev_b32 v59, 3, v182 :: v_dual_lshlrev_b32 v182, 3, v185
	v_lshlrev_b32_e32 v184, 3, v184
	v_lshlrev_b32_e32 v185, 3, v92
	v_add3_u32 v92, v173, v172, v96
	v_add3_u32 v93, v176, v166, v95
	v_add3_u32 v94, v175, v178, v58
	v_add3_u32 v95, v59, v179, v181
	v_lshlrev_b32_e32 v59, 3, v187
	v_add3_u32 v96, v182, v184, v185
	ds_store_b64 v92, v[60:61] offset:1024
	ds_store_b64 v93, v[62:63] offset:1024
	;; [unrolled: 1-line block ×5, first 2 shown]
	v_dual_lshlrev_b32 v58, 3, v188 :: v_dual_lshlrev_b32 v61, 3, v191
	v_dual_lshlrev_b32 v60, 3, v183 :: v_dual_lshlrev_b32 v62, 3, v190
	;; [unrolled: 1-line block ×3, first 2 shown]
	v_lshlrev_b32_e32 v71, 3, v193
	v_dual_lshlrev_b32 v74, 3, v177 :: v_dual_lshlrev_b32 v78, 3, v196
	v_dual_lshlrev_b32 v75, 3, v197 :: v_dual_lshlrev_b32 v79, 3, v174
	;; [unrolled: 1-line block ×3, first 2 shown]
	v_lshlrev_b32_e32 v171, 3, v171
	v_add3_u32 v60, v58, v59, v60
	v_add3_u32 v61, v61, v62, v63
	;; [unrolled: 1-line block ×4, first 2 shown]
	v_lshlrev_b32_e32 v59, 3, v202
	v_add3_u32 v70, v166, v172, v171
	ds_store_b64 v60, v[82:83] offset:1024
	ds_store_b64 v61, v[86:87] offset:1024
	;; [unrolled: 1-line block ×5, first 2 shown]
	v_dual_lshlrev_b32 v58, 3, v203 :: v_dual_lshlrev_b32 v71, 3, v170
	v_dual_lshlrev_b32 v74, 3, v206 :: v_dual_lshlrev_b32 v75, 3, v205
	;; [unrolled: 1-line block ×6, first 2 shown]
	v_lshlrev_b32_e32 v86, 3, v213
	v_lshlrev_b32_e32 v87, 3, v97
	v_add3_u32 v71, v58, v59, v71
	v_add3_u32 v74, v74, v75, v78
	;; [unrolled: 1-line block ×5, first 2 shown]
	v_cmp_lt_u32_e32 vcc_lo, v2, v165
	ds_store_b64 v71, v[76:77] offset:1024
	ds_store_b64 v74, v[72:73] offset:1024
	;; [unrolled: 1-line block ×5, first 2 shown]
	s_wait_dscnt 0x0
	s_barrier_signal -1
	s_barrier_wait -1
	s_and_saveexec_b32 s16, vcc_lo
	s_cbranch_execnz .LBB1113_829
; %bb.761:                              ;   in Loop: Header=BB1113_682 Depth=2
	s_or_b32 exec_lo, exec_lo, s16
	v_cmp_lt_u32_e64 s15, v98, v165
	s_and_saveexec_b32 s17, s15
	s_cbranch_execnz .LBB1113_830
.LBB1113_762:                           ;   in Loop: Header=BB1113_682 Depth=2
	s_or_b32 exec_lo, exec_lo, s17
	v_cmp_lt_u32_e64 s16, v99, v165
	s_and_saveexec_b32 s18, s16
	s_cbranch_execnz .LBB1113_831
.LBB1113_763:                           ;   in Loop: Header=BB1113_682 Depth=2
	s_or_b32 exec_lo, exec_lo, s18
	v_cmp_lt_u32_e64 s17, v100, v165
	s_and_saveexec_b32 s19, s17
	s_cbranch_execnz .LBB1113_832
.LBB1113_764:                           ;   in Loop: Header=BB1113_682 Depth=2
	s_or_b32 exec_lo, exec_lo, s19
	v_cmp_lt_u32_e64 s18, v101, v165
	s_and_saveexec_b32 s20, s18
	s_cbranch_execnz .LBB1113_833
.LBB1113_765:                           ;   in Loop: Header=BB1113_682 Depth=2
	s_or_b32 exec_lo, exec_lo, s20
	v_cmp_lt_u32_e64 s19, v102, v165
	s_and_saveexec_b32 s21, s19
	s_cbranch_execnz .LBB1113_834
.LBB1113_766:                           ;   in Loop: Header=BB1113_682 Depth=2
	s_or_b32 exec_lo, exec_lo, s21
	v_cmp_lt_u32_e64 s20, v103, v165
	s_and_saveexec_b32 s22, s20
	s_cbranch_execnz .LBB1113_835
.LBB1113_767:                           ;   in Loop: Header=BB1113_682 Depth=2
	s_or_b32 exec_lo, exec_lo, s22
	v_cmp_lt_u32_e64 s21, v104, v165
	s_and_saveexec_b32 s23, s21
	s_cbranch_execnz .LBB1113_836
.LBB1113_768:                           ;   in Loop: Header=BB1113_682 Depth=2
	s_or_b32 exec_lo, exec_lo, s23
	v_cmp_lt_u32_e64 s22, v105, v165
	s_and_saveexec_b32 s24, s22
	s_cbranch_execnz .LBB1113_837
.LBB1113_769:                           ;   in Loop: Header=BB1113_682 Depth=2
	s_or_b32 exec_lo, exec_lo, s24
	v_cmp_lt_u32_e64 s23, v106, v165
	s_and_saveexec_b32 s25, s23
	s_cbranch_execnz .LBB1113_838
.LBB1113_770:                           ;   in Loop: Header=BB1113_682 Depth=2
	s_or_b32 exec_lo, exec_lo, s25
	v_cmp_lt_u32_e64 s24, v107, v165
	s_and_saveexec_b32 s26, s24
	s_cbranch_execnz .LBB1113_839
.LBB1113_771:                           ;   in Loop: Header=BB1113_682 Depth=2
	s_or_b32 exec_lo, exec_lo, s26
	v_cmp_lt_u32_e64 s25, v108, v165
	s_and_saveexec_b32 s27, s25
	s_cbranch_execnz .LBB1113_840
.LBB1113_772:                           ;   in Loop: Header=BB1113_682 Depth=2
	s_or_b32 exec_lo, exec_lo, s27
	v_cmp_lt_u32_e64 s26, v109, v165
	s_and_saveexec_b32 s28, s26
	s_cbranch_execnz .LBB1113_841
.LBB1113_773:                           ;   in Loop: Header=BB1113_682 Depth=2
	s_or_b32 exec_lo, exec_lo, s28
	v_cmp_lt_u32_e64 s27, v110, v165
	s_and_saveexec_b32 s29, s27
	s_cbranch_execnz .LBB1113_842
.LBB1113_774:                           ;   in Loop: Header=BB1113_682 Depth=2
	s_or_b32 exec_lo, exec_lo, s29
	v_cmp_lt_u32_e64 s28, v111, v165
	s_and_saveexec_b32 s30, s28
	s_cbranch_execnz .LBB1113_843
.LBB1113_775:                           ;   in Loop: Header=BB1113_682 Depth=2
	s_or_b32 exec_lo, exec_lo, s30
	v_cmp_lt_u32_e64 s29, v112, v165
	s_and_saveexec_b32 s61, s29
	s_cbranch_execz .LBB1113_777
.LBB1113_776:                           ;   in Loop: Header=BB1113_682 Depth=2
	ds_load_b64 v[58:59], v123 offset:31744
	s_wait_dscnt 0x0
	v_cmp_ne_u64_e64 s30, s[42:43], v[58:59]
	s_delay_alu instid0(VALU_DEP_1) | instskip(SKIP_2) | instid1(VALU_DEP_2)
	v_cndmask_b32_e64 v65, 0x7fffffff, v59, s30
	v_cndmask_b32_e64 v64, -1, v58, s30
	v_cmp_gt_i64_e64 s30, 0, v[58:59]
	v_lshrrev_b64 v[64:65], s48, v[64:65]
	v_ashrrev_i32_e32 v65, 31, v59
	s_delay_alu instid0(VALU_DEP_3) | instskip(NEXT) | instid1(VALU_DEP_2)
	v_cndmask_b32_e64 v66, 0x7fffffff, 0, s30
	v_not_b32_e32 v65, v65
	s_delay_alu instid0(VALU_DEP_4) | instskip(NEXT) | instid1(VALU_DEP_1)
	v_and_b32_e32 v64, s55, v64
	v_dual_lshlrev_b32 v64, 2, v64 :: v_dual_bitop2_b32 v59, v66, v59 bitop3:0x14
	ds_load_b32 v64, v64
	s_wait_dscnt 0x0
	v_dual_add_nc_u32 v64, v64, v112 :: v_dual_bitop2_b32 v58, v65, v58 bitop3:0x14
	global_store_b64 v64, v[58:59], s[38:39] scale_offset
.LBB1113_777:                           ;   in Loop: Header=BB1113_682 Depth=2
	s_wait_xcnt 0x0
	s_or_b32 exec_lo, exec_lo, s61
	v_lshl_add_u64 v[58:59], s[34:35], 3, v[22:23]
	v_cmp_lt_u32_e64 s30, v129, v165
	s_and_saveexec_b32 s34, s30
	s_delay_alu instid0(SALU_CYCLE_1)
	s_xor_b32 s30, exec_lo, s34
	s_cbranch_execnz .LBB1113_844
; %bb.778:                              ;   in Loop: Header=BB1113_682 Depth=2
	s_or_b32 exec_lo, exec_lo, s30
	s_delay_alu instid0(SALU_CYCLE_1)
	s_mov_b32 s34, exec_lo
	v_cmpx_lt_u32_e64 v132, v165
	s_cbranch_execnz .LBB1113_845
.LBB1113_779:                           ;   in Loop: Header=BB1113_682 Depth=2
	s_or_b32 exec_lo, exec_lo, s34
	s_delay_alu instid0(SALU_CYCLE_1)
	s_mov_b32 s34, exec_lo
	v_cmpx_lt_u32_e64 v133, v165
	s_cbranch_execnz .LBB1113_846
.LBB1113_780:                           ;   in Loop: Header=BB1113_682 Depth=2
	s_or_b32 exec_lo, exec_lo, s34
	s_delay_alu instid0(SALU_CYCLE_1)
	s_mov_b32 s34, exec_lo
	v_cmpx_lt_u32_e64 v134, v165
	s_cbranch_execnz .LBB1113_847
.LBB1113_781:                           ;   in Loop: Header=BB1113_682 Depth=2
	s_or_b32 exec_lo, exec_lo, s34
	s_delay_alu instid0(SALU_CYCLE_1)
	s_mov_b32 s34, exec_lo
	v_cmpx_lt_u32_e64 v135, v165
	s_cbranch_execnz .LBB1113_848
.LBB1113_782:                           ;   in Loop: Header=BB1113_682 Depth=2
	s_or_b32 exec_lo, exec_lo, s34
	s_delay_alu instid0(SALU_CYCLE_1)
	s_mov_b32 s34, exec_lo
	v_cmpx_lt_u32_e64 v136, v165
	s_cbranch_execnz .LBB1113_849
.LBB1113_783:                           ;   in Loop: Header=BB1113_682 Depth=2
	s_or_b32 exec_lo, exec_lo, s34
	s_delay_alu instid0(SALU_CYCLE_1)
	s_mov_b32 s34, exec_lo
	v_cmpx_lt_u32_e64 v137, v165
	s_cbranch_execnz .LBB1113_850
.LBB1113_784:                           ;   in Loop: Header=BB1113_682 Depth=2
	s_or_b32 exec_lo, exec_lo, s34
	s_delay_alu instid0(SALU_CYCLE_1)
	s_mov_b32 s34, exec_lo
	v_cmpx_lt_u32_e64 v138, v165
	s_cbranch_execnz .LBB1113_851
.LBB1113_785:                           ;   in Loop: Header=BB1113_682 Depth=2
	s_or_b32 exec_lo, exec_lo, s34
	s_delay_alu instid0(SALU_CYCLE_1)
	s_mov_b32 s34, exec_lo
	v_cmpx_lt_u32_e64 v139, v165
	s_cbranch_execnz .LBB1113_852
.LBB1113_786:                           ;   in Loop: Header=BB1113_682 Depth=2
	s_or_b32 exec_lo, exec_lo, s34
	s_delay_alu instid0(SALU_CYCLE_1)
	s_mov_b32 s34, exec_lo
	v_cmpx_lt_u32_e64 v140, v165
	s_cbranch_execnz .LBB1113_853
.LBB1113_787:                           ;   in Loop: Header=BB1113_682 Depth=2
	s_or_b32 exec_lo, exec_lo, s34
	s_delay_alu instid0(SALU_CYCLE_1)
	s_mov_b32 s34, exec_lo
	v_cmpx_lt_u32_e64 v141, v165
	s_cbranch_execnz .LBB1113_854
.LBB1113_788:                           ;   in Loop: Header=BB1113_682 Depth=2
	s_or_b32 exec_lo, exec_lo, s34
	s_delay_alu instid0(SALU_CYCLE_1)
	s_mov_b32 s34, exec_lo
	v_cmpx_lt_u32_e64 v142, v165
	s_cbranch_execnz .LBB1113_855
.LBB1113_789:                           ;   in Loop: Header=BB1113_682 Depth=2
	s_or_b32 exec_lo, exec_lo, s34
	s_delay_alu instid0(SALU_CYCLE_1)
	s_mov_b32 s34, exec_lo
	v_cmpx_lt_u32_e64 v143, v165
	s_cbranch_execnz .LBB1113_856
.LBB1113_790:                           ;   in Loop: Header=BB1113_682 Depth=2
	s_or_b32 exec_lo, exec_lo, s34
	s_delay_alu instid0(SALU_CYCLE_1)
	s_mov_b32 s34, exec_lo
	v_cmpx_lt_u32_e64 v144, v165
	s_cbranch_execnz .LBB1113_857
.LBB1113_791:                           ;   in Loop: Header=BB1113_682 Depth=2
	s_or_b32 exec_lo, exec_lo, s34
	s_delay_alu instid0(SALU_CYCLE_1)
	s_mov_b32 s34, exec_lo
	v_cmpx_lt_u32_e64 v145, v165
	s_cbranch_execnz .LBB1113_858
.LBB1113_792:                           ;   in Loop: Header=BB1113_682 Depth=2
	s_or_b32 exec_lo, exec_lo, s34
	s_delay_alu instid0(SALU_CYCLE_1)
	s_mov_b32 s34, exec_lo
	v_cmpx_lt_u32_e64 v146, v165
	s_cbranch_execnz .LBB1113_859
.LBB1113_793:                           ;   in Loop: Header=BB1113_682 Depth=2
	s_or_b32 exec_lo, exec_lo, s34
	s_and_saveexec_b32 s34, vcc_lo
	s_cbranch_execnz .LBB1113_860
.LBB1113_794:                           ;   in Loop: Header=BB1113_682 Depth=2
	s_or_b32 exec_lo, exec_lo, s34
	s_and_saveexec_b32 s34, s15
	s_cbranch_execnz .LBB1113_861
.LBB1113_795:                           ;   in Loop: Header=BB1113_682 Depth=2
	s_or_b32 exec_lo, exec_lo, s34
	s_and_saveexec_b32 s34, s16
	s_cbranch_execnz .LBB1113_862
.LBB1113_796:                           ;   in Loop: Header=BB1113_682 Depth=2
	s_or_b32 exec_lo, exec_lo, s34
	s_and_saveexec_b32 s34, s17
	s_cbranch_execnz .LBB1113_863
.LBB1113_797:                           ;   in Loop: Header=BB1113_682 Depth=2
	s_or_b32 exec_lo, exec_lo, s34
	s_and_saveexec_b32 s34, s18
	s_cbranch_execnz .LBB1113_864
.LBB1113_798:                           ;   in Loop: Header=BB1113_682 Depth=2
	s_or_b32 exec_lo, exec_lo, s34
	s_and_saveexec_b32 s34, s19
	s_cbranch_execnz .LBB1113_865
.LBB1113_799:                           ;   in Loop: Header=BB1113_682 Depth=2
	s_or_b32 exec_lo, exec_lo, s34
	s_and_saveexec_b32 s34, s20
	s_cbranch_execnz .LBB1113_866
.LBB1113_800:                           ;   in Loop: Header=BB1113_682 Depth=2
	s_or_b32 exec_lo, exec_lo, s34
	s_and_saveexec_b32 s34, s21
	s_cbranch_execnz .LBB1113_867
.LBB1113_801:                           ;   in Loop: Header=BB1113_682 Depth=2
	s_or_b32 exec_lo, exec_lo, s34
	s_and_saveexec_b32 s34, s22
	s_cbranch_execnz .LBB1113_868
.LBB1113_802:                           ;   in Loop: Header=BB1113_682 Depth=2
	s_or_b32 exec_lo, exec_lo, s34
	s_and_saveexec_b32 s34, s23
	s_cbranch_execnz .LBB1113_869
.LBB1113_803:                           ;   in Loop: Header=BB1113_682 Depth=2
	s_or_b32 exec_lo, exec_lo, s34
	s_and_saveexec_b32 s34, s24
	s_cbranch_execnz .LBB1113_870
.LBB1113_804:                           ;   in Loop: Header=BB1113_682 Depth=2
	s_or_b32 exec_lo, exec_lo, s34
	s_and_saveexec_b32 s34, s25
	s_cbranch_execnz .LBB1113_871
.LBB1113_805:                           ;   in Loop: Header=BB1113_682 Depth=2
	s_or_b32 exec_lo, exec_lo, s34
	s_and_saveexec_b32 s34, s26
	s_cbranch_execnz .LBB1113_872
.LBB1113_806:                           ;   in Loop: Header=BB1113_682 Depth=2
	s_or_b32 exec_lo, exec_lo, s34
	s_and_saveexec_b32 s34, s27
	s_cbranch_execnz .LBB1113_873
.LBB1113_807:                           ;   in Loop: Header=BB1113_682 Depth=2
	s_or_b32 exec_lo, exec_lo, s34
	s_and_saveexec_b32 s34, s28
	s_cbranch_execnz .LBB1113_874
.LBB1113_808:                           ;   in Loop: Header=BB1113_682 Depth=2
	s_or_b32 exec_lo, exec_lo, s34
	s_and_saveexec_b32 s34, s29
	s_cbranch_execz .LBB1113_810
.LBB1113_809:                           ;   in Loop: Header=BB1113_682 Depth=2
	ds_load_b64 v[58:59], v123 offset:31744
	s_wait_dscnt 0x0
	v_cmp_ne_u64_e64 s30, s[42:43], v[58:59]
	s_delay_alu instid0(VALU_DEP_1) | instskip(SKIP_1) | instid1(VALU_DEP_1)
	v_cndmask_b32_e64 v59, 0x7fffffff, v59, s30
	v_cndmask_b32_e64 v58, -1, v58, s30
	v_lshrrev_b64 v[58:59], s48, v[58:59]
	s_delay_alu instid0(VALU_DEP_1)
	v_and_b32_e32 v149, s55, v58
.LBB1113_810:                           ;   in Loop: Header=BB1113_682 Depth=2
	s_or_b32 exec_lo, exec_lo, s34
	s_wait_loadcnt 0x0
	s_wait_storecnt 0x0
	s_barrier_signal -1
	s_barrier_wait -1
	ds_store_b64 v91, v[56:57] offset:1024
	ds_store_b64 v92, v[54:55] offset:1024
	ds_store_b64 v93, v[52:53] offset:1024
	ds_store_b64 v94, v[50:51] offset:1024
	ds_store_b64 v95, v[48:49] offset:1024
	ds_store_b64 v96, v[46:47] offset:1024
	ds_store_b64 v60, v[44:45] offset:1024
	ds_store_b64 v61, v[42:43] offset:1024
	ds_store_b64 v62, v[40:41] offset:1024
	ds_store_b64 v63, v[38:39] offset:1024
	ds_store_b64 v70, v[36:37] offset:1024
	ds_store_b64 v71, v[34:35] offset:1024
	ds_store_b64 v74, v[32:33] offset:1024
	ds_store_b64 v75, v[30:31] offset:1024
	ds_store_b64 v78, v[28:29] offset:1024
	ds_store_b64 v79, v[26:27] offset:1024
	s_wait_dscnt 0x0
	s_barrier_signal -1
	s_barrier_wait -1
	s_and_saveexec_b32 s30, vcc_lo
	s_cbranch_execnz .LBB1113_875
; %bb.811:                              ;   in Loop: Header=BB1113_682 Depth=2
	s_or_b32 exec_lo, exec_lo, s30
	s_and_saveexec_b32 s30, s15
	s_cbranch_execnz .LBB1113_876
.LBB1113_812:                           ;   in Loop: Header=BB1113_682 Depth=2
	s_or_b32 exec_lo, exec_lo, s30
	s_and_saveexec_b32 s15, s16
	s_cbranch_execnz .LBB1113_877
.LBB1113_813:                           ;   in Loop: Header=BB1113_682 Depth=2
	s_or_b32 exec_lo, exec_lo, s15
	s_and_saveexec_b32 s15, s17
	s_cbranch_execnz .LBB1113_878
.LBB1113_814:                           ;   in Loop: Header=BB1113_682 Depth=2
	s_or_b32 exec_lo, exec_lo, s15
	s_and_saveexec_b32 s15, s18
	s_cbranch_execnz .LBB1113_879
.LBB1113_815:                           ;   in Loop: Header=BB1113_682 Depth=2
	s_or_b32 exec_lo, exec_lo, s15
	s_and_saveexec_b32 s15, s19
	s_cbranch_execnz .LBB1113_880
.LBB1113_816:                           ;   in Loop: Header=BB1113_682 Depth=2
	s_or_b32 exec_lo, exec_lo, s15
	s_and_saveexec_b32 s15, s20
	s_cbranch_execnz .LBB1113_881
.LBB1113_817:                           ;   in Loop: Header=BB1113_682 Depth=2
	s_or_b32 exec_lo, exec_lo, s15
	s_and_saveexec_b32 s15, s21
	s_cbranch_execnz .LBB1113_882
.LBB1113_818:                           ;   in Loop: Header=BB1113_682 Depth=2
	s_or_b32 exec_lo, exec_lo, s15
	s_and_saveexec_b32 s15, s22
	s_cbranch_execnz .LBB1113_883
.LBB1113_819:                           ;   in Loop: Header=BB1113_682 Depth=2
	s_or_b32 exec_lo, exec_lo, s15
	s_and_saveexec_b32 s15, s23
	s_cbranch_execnz .LBB1113_884
.LBB1113_820:                           ;   in Loop: Header=BB1113_682 Depth=2
	s_or_b32 exec_lo, exec_lo, s15
	s_and_saveexec_b32 s15, s24
	s_cbranch_execnz .LBB1113_885
.LBB1113_821:                           ;   in Loop: Header=BB1113_682 Depth=2
	s_or_b32 exec_lo, exec_lo, s15
	s_and_saveexec_b32 s15, s25
	s_cbranch_execnz .LBB1113_886
.LBB1113_822:                           ;   in Loop: Header=BB1113_682 Depth=2
	s_or_b32 exec_lo, exec_lo, s15
	s_and_saveexec_b32 s15, s26
	s_cbranch_execnz .LBB1113_887
.LBB1113_823:                           ;   in Loop: Header=BB1113_682 Depth=2
	s_or_b32 exec_lo, exec_lo, s15
	s_and_saveexec_b32 s15, s27
	s_cbranch_execnz .LBB1113_888
.LBB1113_824:                           ;   in Loop: Header=BB1113_682 Depth=2
	s_or_b32 exec_lo, exec_lo, s15
	s_and_saveexec_b32 s15, s28
	s_cbranch_execnz .LBB1113_889
.LBB1113_825:                           ;   in Loop: Header=BB1113_682 Depth=2
	s_or_b32 exec_lo, exec_lo, s15
	s_and_saveexec_b32 s15, s29
	s_cbranch_execz .LBB1113_827
.LBB1113_826:                           ;   in Loop: Header=BB1113_682 Depth=2
	v_lshlrev_b32_e32 v58, 2, v149
	ds_load_b32 v60, v58
	ds_load_b64 v[58:59], v123 offset:31744
	s_wait_dscnt 0x1
	v_add_nc_u32_e32 v60, v60, v112
	s_wait_dscnt 0x0
	global_store_b64 v60, v[58:59], s[44:45] scale_offset
.LBB1113_827:                           ;   in Loop: Header=BB1113_682 Depth=2
	s_wait_xcnt 0x0
	s_or_b32 exec_lo, exec_lo, s15
	s_wait_storecnt 0x0
	s_barrier_signal -1
	s_barrier_wait -1
	s_and_saveexec_b32 s15, s0
	s_cbranch_execz .LBB1113_681
; %bb.828:                              ;   in Loop: Header=BB1113_682 Depth=2
	ds_load_b32 v58, v3
	s_wait_dscnt 0x0
	v_add_nc_u32_e32 v58, v58, v90
	ds_store_b32 v3, v58
	s_branch .LBB1113_681
.LBB1113_829:                           ;   in Loop: Header=BB1113_682 Depth=2
	ds_load_b64 v[58:59], v123 offset:1024
	s_wait_dscnt 0x0
	v_cmp_ne_u64_e64 s15, s[42:43], v[58:59]
	s_delay_alu instid0(VALU_DEP_1) | instskip(SKIP_2) | instid1(VALU_DEP_2)
	v_cndmask_b32_e64 v65, 0x7fffffff, v59, s15
	v_cndmask_b32_e64 v64, -1, v58, s15
	v_cmp_gt_i64_e64 s15, 0, v[58:59]
	v_lshrrev_b64 v[64:65], s48, v[64:65]
	v_ashrrev_i32_e32 v65, 31, v59
	s_delay_alu instid0(VALU_DEP_3) | instskip(NEXT) | instid1(VALU_DEP_2)
	v_cndmask_b32_e64 v66, 0x7fffffff, 0, s15
	v_not_b32_e32 v65, v65
	s_delay_alu instid0(VALU_DEP_4) | instskip(NEXT) | instid1(VALU_DEP_3)
	v_and_b32_e32 v64, s55, v64
	v_xor_b32_e32 v59, v66, v59
	s_delay_alu instid0(VALU_DEP_2)
	v_dual_lshlrev_b32 v64, 2, v64 :: v_dual_bitop2_b32 v58, v65, v58 bitop3:0x14
	ds_load_b32 v64, v64
	s_wait_dscnt 0x0
	v_add_nc_u32_e32 v64, v64, v2
	global_store_b64 v64, v[58:59], s[38:39] scale_offset
	s_wait_xcnt 0x0
	s_or_b32 exec_lo, exec_lo, s16
	v_cmp_lt_u32_e64 s15, v98, v165
	s_and_saveexec_b32 s17, s15
	s_cbranch_execz .LBB1113_762
.LBB1113_830:                           ;   in Loop: Header=BB1113_682 Depth=2
	ds_load_b64 v[58:59], v123 offset:3072
	s_wait_dscnt 0x0
	v_cmp_ne_u64_e64 s16, s[42:43], v[58:59]
	s_delay_alu instid0(VALU_DEP_1) | instskip(SKIP_2) | instid1(VALU_DEP_2)
	v_cndmask_b32_e64 v65, 0x7fffffff, v59, s16
	v_cndmask_b32_e64 v64, -1, v58, s16
	v_cmp_gt_i64_e64 s16, 0, v[58:59]
	v_lshrrev_b64 v[64:65], s48, v[64:65]
	v_ashrrev_i32_e32 v65, 31, v59
	s_delay_alu instid0(VALU_DEP_3) | instskip(NEXT) | instid1(VALU_DEP_2)
	v_cndmask_b32_e64 v66, 0x7fffffff, 0, s16
	v_not_b32_e32 v65, v65
	s_delay_alu instid0(VALU_DEP_4) | instskip(NEXT) | instid1(VALU_DEP_3)
	v_and_b32_e32 v64, s55, v64
	v_xor_b32_e32 v59, v66, v59
	s_delay_alu instid0(VALU_DEP_2)
	v_dual_lshlrev_b32 v64, 2, v64 :: v_dual_bitop2_b32 v58, v65, v58 bitop3:0x14
	ds_load_b32 v64, v64
	s_wait_dscnt 0x0
	v_add_nc_u32_e32 v64, v64, v98
	global_store_b64 v64, v[58:59], s[38:39] scale_offset
	s_wait_xcnt 0x0
	s_or_b32 exec_lo, exec_lo, s17
	v_cmp_lt_u32_e64 s16, v99, v165
	s_and_saveexec_b32 s18, s16
	s_cbranch_execz .LBB1113_763
.LBB1113_831:                           ;   in Loop: Header=BB1113_682 Depth=2
	ds_load_b64 v[58:59], v123 offset:5120
	s_wait_dscnt 0x0
	v_cmp_ne_u64_e64 s17, s[42:43], v[58:59]
	s_delay_alu instid0(VALU_DEP_1) | instskip(SKIP_2) | instid1(VALU_DEP_2)
	v_cndmask_b32_e64 v65, 0x7fffffff, v59, s17
	v_cndmask_b32_e64 v64, -1, v58, s17
	v_cmp_gt_i64_e64 s17, 0, v[58:59]
	v_lshrrev_b64 v[64:65], s48, v[64:65]
	v_ashrrev_i32_e32 v65, 31, v59
	s_delay_alu instid0(VALU_DEP_3) | instskip(NEXT) | instid1(VALU_DEP_2)
	v_cndmask_b32_e64 v66, 0x7fffffff, 0, s17
	v_not_b32_e32 v65, v65
	s_delay_alu instid0(VALU_DEP_4) | instskip(NEXT) | instid1(VALU_DEP_1)
	v_and_b32_e32 v64, s55, v64
	v_dual_lshlrev_b32 v64, 2, v64 :: v_dual_bitop2_b32 v59, v66, v59 bitop3:0x14
	ds_load_b32 v64, v64
	s_wait_dscnt 0x0
	v_dual_add_nc_u32 v64, v64, v99 :: v_dual_bitop2_b32 v58, v65, v58 bitop3:0x14
	global_store_b64 v64, v[58:59], s[38:39] scale_offset
	s_wait_xcnt 0x0
	s_or_b32 exec_lo, exec_lo, s18
	v_cmp_lt_u32_e64 s17, v100, v165
	s_and_saveexec_b32 s19, s17
	s_cbranch_execz .LBB1113_764
.LBB1113_832:                           ;   in Loop: Header=BB1113_682 Depth=2
	ds_load_b64 v[58:59], v123 offset:7168
	s_wait_dscnt 0x0
	v_cmp_ne_u64_e64 s18, s[42:43], v[58:59]
	s_delay_alu instid0(VALU_DEP_1) | instskip(SKIP_2) | instid1(VALU_DEP_2)
	v_cndmask_b32_e64 v65, 0x7fffffff, v59, s18
	v_cndmask_b32_e64 v64, -1, v58, s18
	v_cmp_gt_i64_e64 s18, 0, v[58:59]
	v_lshrrev_b64 v[64:65], s48, v[64:65]
	v_ashrrev_i32_e32 v65, 31, v59
	s_delay_alu instid0(VALU_DEP_3) | instskip(NEXT) | instid1(VALU_DEP_2)
	v_cndmask_b32_e64 v66, 0x7fffffff, 0, s18
	v_not_b32_e32 v65, v65
	s_delay_alu instid0(VALU_DEP_4) | instskip(NEXT) | instid1(VALU_DEP_1)
	v_and_b32_e32 v64, s55, v64
	v_dual_lshlrev_b32 v64, 2, v64 :: v_dual_bitop2_b32 v59, v66, v59 bitop3:0x14
	ds_load_b32 v64, v64
	s_wait_dscnt 0x0
	v_dual_add_nc_u32 v64, v64, v100 :: v_dual_bitop2_b32 v58, v65, v58 bitop3:0x14
	global_store_b64 v64, v[58:59], s[38:39] scale_offset
	s_wait_xcnt 0x0
	s_or_b32 exec_lo, exec_lo, s19
	v_cmp_lt_u32_e64 s18, v101, v165
	s_and_saveexec_b32 s20, s18
	s_cbranch_execz .LBB1113_765
.LBB1113_833:                           ;   in Loop: Header=BB1113_682 Depth=2
	ds_load_b64 v[58:59], v123 offset:9216
	s_wait_dscnt 0x0
	v_cmp_ne_u64_e64 s19, s[42:43], v[58:59]
	s_delay_alu instid0(VALU_DEP_1) | instskip(SKIP_2) | instid1(VALU_DEP_2)
	v_cndmask_b32_e64 v65, 0x7fffffff, v59, s19
	v_cndmask_b32_e64 v64, -1, v58, s19
	v_cmp_gt_i64_e64 s19, 0, v[58:59]
	v_lshrrev_b64 v[64:65], s48, v[64:65]
	v_ashrrev_i32_e32 v65, 31, v59
	s_delay_alu instid0(VALU_DEP_3) | instskip(NEXT) | instid1(VALU_DEP_2)
	v_cndmask_b32_e64 v66, 0x7fffffff, 0, s19
	v_not_b32_e32 v65, v65
	s_delay_alu instid0(VALU_DEP_4) | instskip(NEXT) | instid1(VALU_DEP_1)
	v_and_b32_e32 v64, s55, v64
	v_dual_lshlrev_b32 v64, 2, v64 :: v_dual_bitop2_b32 v59, v66, v59 bitop3:0x14
	ds_load_b32 v64, v64
	s_wait_dscnt 0x0
	v_dual_add_nc_u32 v64, v64, v101 :: v_dual_bitop2_b32 v58, v65, v58 bitop3:0x14
	global_store_b64 v64, v[58:59], s[38:39] scale_offset
	s_wait_xcnt 0x0
	s_or_b32 exec_lo, exec_lo, s20
	v_cmp_lt_u32_e64 s19, v102, v165
	s_and_saveexec_b32 s21, s19
	s_cbranch_execz .LBB1113_766
.LBB1113_834:                           ;   in Loop: Header=BB1113_682 Depth=2
	ds_load_b64 v[58:59], v123 offset:11264
	s_wait_dscnt 0x0
	v_cmp_ne_u64_e64 s20, s[42:43], v[58:59]
	s_delay_alu instid0(VALU_DEP_1) | instskip(SKIP_2) | instid1(VALU_DEP_2)
	v_cndmask_b32_e64 v65, 0x7fffffff, v59, s20
	v_cndmask_b32_e64 v64, -1, v58, s20
	v_cmp_gt_i64_e64 s20, 0, v[58:59]
	v_lshrrev_b64 v[64:65], s48, v[64:65]
	v_ashrrev_i32_e32 v65, 31, v59
	s_delay_alu instid0(VALU_DEP_3) | instskip(NEXT) | instid1(VALU_DEP_2)
	v_cndmask_b32_e64 v66, 0x7fffffff, 0, s20
	v_not_b32_e32 v65, v65
	s_delay_alu instid0(VALU_DEP_4) | instskip(NEXT) | instid1(VALU_DEP_3)
	v_and_b32_e32 v64, s55, v64
	v_xor_b32_e32 v59, v66, v59
	s_delay_alu instid0(VALU_DEP_2)
	v_dual_lshlrev_b32 v64, 2, v64 :: v_dual_bitop2_b32 v58, v65, v58 bitop3:0x14
	ds_load_b32 v64, v64
	s_wait_dscnt 0x0
	v_add_nc_u32_e32 v64, v64, v102
	global_store_b64 v64, v[58:59], s[38:39] scale_offset
	s_wait_xcnt 0x0
	s_or_b32 exec_lo, exec_lo, s21
	v_cmp_lt_u32_e64 s20, v103, v165
	s_and_saveexec_b32 s22, s20
	s_cbranch_execz .LBB1113_767
.LBB1113_835:                           ;   in Loop: Header=BB1113_682 Depth=2
	ds_load_b64 v[58:59], v123 offset:13312
	s_wait_dscnt 0x0
	v_cmp_ne_u64_e64 s21, s[42:43], v[58:59]
	s_delay_alu instid0(VALU_DEP_1) | instskip(SKIP_2) | instid1(VALU_DEP_2)
	v_cndmask_b32_e64 v65, 0x7fffffff, v59, s21
	v_cndmask_b32_e64 v64, -1, v58, s21
	v_cmp_gt_i64_e64 s21, 0, v[58:59]
	v_lshrrev_b64 v[64:65], s48, v[64:65]
	v_ashrrev_i32_e32 v65, 31, v59
	s_delay_alu instid0(VALU_DEP_3) | instskip(NEXT) | instid1(VALU_DEP_2)
	v_cndmask_b32_e64 v66, 0x7fffffff, 0, s21
	v_not_b32_e32 v65, v65
	s_delay_alu instid0(VALU_DEP_4) | instskip(NEXT) | instid1(VALU_DEP_1)
	v_and_b32_e32 v64, s55, v64
	v_dual_lshlrev_b32 v64, 2, v64 :: v_dual_bitop2_b32 v59, v66, v59 bitop3:0x14
	ds_load_b32 v64, v64
	s_wait_dscnt 0x0
	v_dual_add_nc_u32 v64, v64, v103 :: v_dual_bitop2_b32 v58, v65, v58 bitop3:0x14
	global_store_b64 v64, v[58:59], s[38:39] scale_offset
	s_wait_xcnt 0x0
	s_or_b32 exec_lo, exec_lo, s22
	v_cmp_lt_u32_e64 s21, v104, v165
	s_and_saveexec_b32 s23, s21
	s_cbranch_execz .LBB1113_768
.LBB1113_836:                           ;   in Loop: Header=BB1113_682 Depth=2
	ds_load_b64 v[58:59], v123 offset:15360
	s_wait_dscnt 0x0
	v_cmp_ne_u64_e64 s22, s[42:43], v[58:59]
	s_delay_alu instid0(VALU_DEP_1) | instskip(SKIP_2) | instid1(VALU_DEP_2)
	v_cndmask_b32_e64 v65, 0x7fffffff, v59, s22
	v_cndmask_b32_e64 v64, -1, v58, s22
	v_cmp_gt_i64_e64 s22, 0, v[58:59]
	v_lshrrev_b64 v[64:65], s48, v[64:65]
	v_ashrrev_i32_e32 v65, 31, v59
	s_delay_alu instid0(VALU_DEP_3) | instskip(NEXT) | instid1(VALU_DEP_2)
	v_cndmask_b32_e64 v66, 0x7fffffff, 0, s22
	v_not_b32_e32 v65, v65
	s_delay_alu instid0(VALU_DEP_4) | instskip(NEXT) | instid1(VALU_DEP_1)
	v_and_b32_e32 v64, s55, v64
	v_dual_lshlrev_b32 v64, 2, v64 :: v_dual_bitop2_b32 v59, v66, v59 bitop3:0x14
	ds_load_b32 v64, v64
	s_wait_dscnt 0x0
	v_dual_add_nc_u32 v64, v64, v104 :: v_dual_bitop2_b32 v58, v65, v58 bitop3:0x14
	global_store_b64 v64, v[58:59], s[38:39] scale_offset
	s_wait_xcnt 0x0
	s_or_b32 exec_lo, exec_lo, s23
	v_cmp_lt_u32_e64 s22, v105, v165
	s_and_saveexec_b32 s24, s22
	s_cbranch_execz .LBB1113_769
.LBB1113_837:                           ;   in Loop: Header=BB1113_682 Depth=2
	ds_load_b64 v[58:59], v123 offset:17408
	s_wait_dscnt 0x0
	v_cmp_ne_u64_e64 s23, s[42:43], v[58:59]
	s_delay_alu instid0(VALU_DEP_1) | instskip(SKIP_2) | instid1(VALU_DEP_2)
	v_cndmask_b32_e64 v65, 0x7fffffff, v59, s23
	v_cndmask_b32_e64 v64, -1, v58, s23
	v_cmp_gt_i64_e64 s23, 0, v[58:59]
	v_lshrrev_b64 v[64:65], s48, v[64:65]
	v_ashrrev_i32_e32 v65, 31, v59
	s_delay_alu instid0(VALU_DEP_3) | instskip(NEXT) | instid1(VALU_DEP_2)
	v_cndmask_b32_e64 v66, 0x7fffffff, 0, s23
	v_not_b32_e32 v65, v65
	s_delay_alu instid0(VALU_DEP_4) | instskip(NEXT) | instid1(VALU_DEP_1)
	v_and_b32_e32 v64, s55, v64
	v_dual_lshlrev_b32 v64, 2, v64 :: v_dual_bitop2_b32 v59, v66, v59 bitop3:0x14
	ds_load_b32 v64, v64
	s_wait_dscnt 0x0
	v_dual_add_nc_u32 v64, v64, v105 :: v_dual_bitop2_b32 v58, v65, v58 bitop3:0x14
	global_store_b64 v64, v[58:59], s[38:39] scale_offset
	s_wait_xcnt 0x0
	s_or_b32 exec_lo, exec_lo, s24
	v_cmp_lt_u32_e64 s23, v106, v165
	s_and_saveexec_b32 s25, s23
	s_cbranch_execz .LBB1113_770
.LBB1113_838:                           ;   in Loop: Header=BB1113_682 Depth=2
	ds_load_b64 v[58:59], v123 offset:19456
	s_wait_dscnt 0x0
	v_cmp_ne_u64_e64 s24, s[42:43], v[58:59]
	s_delay_alu instid0(VALU_DEP_1) | instskip(SKIP_2) | instid1(VALU_DEP_2)
	v_cndmask_b32_e64 v65, 0x7fffffff, v59, s24
	v_cndmask_b32_e64 v64, -1, v58, s24
	v_cmp_gt_i64_e64 s24, 0, v[58:59]
	v_lshrrev_b64 v[64:65], s48, v[64:65]
	v_ashrrev_i32_e32 v65, 31, v59
	s_delay_alu instid0(VALU_DEP_3) | instskip(NEXT) | instid1(VALU_DEP_2)
	v_cndmask_b32_e64 v66, 0x7fffffff, 0, s24
	v_not_b32_e32 v65, v65
	s_delay_alu instid0(VALU_DEP_4) | instskip(NEXT) | instid1(VALU_DEP_3)
	v_and_b32_e32 v64, s55, v64
	v_xor_b32_e32 v59, v66, v59
	s_delay_alu instid0(VALU_DEP_2)
	v_dual_lshlrev_b32 v64, 2, v64 :: v_dual_bitop2_b32 v58, v65, v58 bitop3:0x14
	ds_load_b32 v64, v64
	s_wait_dscnt 0x0
	v_add_nc_u32_e32 v64, v64, v106
	global_store_b64 v64, v[58:59], s[38:39] scale_offset
	s_wait_xcnt 0x0
	s_or_b32 exec_lo, exec_lo, s25
	v_cmp_lt_u32_e64 s24, v107, v165
	s_and_saveexec_b32 s26, s24
	s_cbranch_execz .LBB1113_771
.LBB1113_839:                           ;   in Loop: Header=BB1113_682 Depth=2
	ds_load_b64 v[58:59], v123 offset:21504
	s_wait_dscnt 0x0
	v_cmp_ne_u64_e64 s25, s[42:43], v[58:59]
	s_delay_alu instid0(VALU_DEP_1) | instskip(SKIP_2) | instid1(VALU_DEP_2)
	v_cndmask_b32_e64 v65, 0x7fffffff, v59, s25
	v_cndmask_b32_e64 v64, -1, v58, s25
	v_cmp_gt_i64_e64 s25, 0, v[58:59]
	v_lshrrev_b64 v[64:65], s48, v[64:65]
	v_ashrrev_i32_e32 v65, 31, v59
	s_delay_alu instid0(VALU_DEP_3) | instskip(NEXT) | instid1(VALU_DEP_2)
	v_cndmask_b32_e64 v66, 0x7fffffff, 0, s25
	v_not_b32_e32 v65, v65
	s_delay_alu instid0(VALU_DEP_4) | instskip(NEXT) | instid1(VALU_DEP_1)
	v_and_b32_e32 v64, s55, v64
	v_dual_lshlrev_b32 v64, 2, v64 :: v_dual_bitop2_b32 v59, v66, v59 bitop3:0x14
	ds_load_b32 v64, v64
	s_wait_dscnt 0x0
	v_dual_add_nc_u32 v64, v64, v107 :: v_dual_bitop2_b32 v58, v65, v58 bitop3:0x14
	global_store_b64 v64, v[58:59], s[38:39] scale_offset
	s_wait_xcnt 0x0
	s_or_b32 exec_lo, exec_lo, s26
	v_cmp_lt_u32_e64 s25, v108, v165
	s_and_saveexec_b32 s27, s25
	s_cbranch_execz .LBB1113_772
.LBB1113_840:                           ;   in Loop: Header=BB1113_682 Depth=2
	ds_load_b64 v[58:59], v123 offset:23552
	s_wait_dscnt 0x0
	v_cmp_ne_u64_e64 s26, s[42:43], v[58:59]
	s_delay_alu instid0(VALU_DEP_1) | instskip(SKIP_2) | instid1(VALU_DEP_2)
	v_cndmask_b32_e64 v65, 0x7fffffff, v59, s26
	v_cndmask_b32_e64 v64, -1, v58, s26
	v_cmp_gt_i64_e64 s26, 0, v[58:59]
	v_lshrrev_b64 v[64:65], s48, v[64:65]
	v_ashrrev_i32_e32 v65, 31, v59
	s_delay_alu instid0(VALU_DEP_3) | instskip(NEXT) | instid1(VALU_DEP_2)
	v_cndmask_b32_e64 v66, 0x7fffffff, 0, s26
	v_not_b32_e32 v65, v65
	s_delay_alu instid0(VALU_DEP_4) | instskip(NEXT) | instid1(VALU_DEP_1)
	v_and_b32_e32 v64, s55, v64
	v_dual_lshlrev_b32 v64, 2, v64 :: v_dual_bitop2_b32 v59, v66, v59 bitop3:0x14
	ds_load_b32 v64, v64
	s_wait_dscnt 0x0
	v_dual_add_nc_u32 v64, v64, v108 :: v_dual_bitop2_b32 v58, v65, v58 bitop3:0x14
	global_store_b64 v64, v[58:59], s[38:39] scale_offset
	s_wait_xcnt 0x0
	s_or_b32 exec_lo, exec_lo, s27
	v_cmp_lt_u32_e64 s26, v109, v165
	s_and_saveexec_b32 s28, s26
	s_cbranch_execz .LBB1113_773
.LBB1113_841:                           ;   in Loop: Header=BB1113_682 Depth=2
	ds_load_b64 v[58:59], v123 offset:25600
	s_wait_dscnt 0x0
	v_cmp_ne_u64_e64 s27, s[42:43], v[58:59]
	s_delay_alu instid0(VALU_DEP_1) | instskip(SKIP_2) | instid1(VALU_DEP_2)
	v_cndmask_b32_e64 v65, 0x7fffffff, v59, s27
	v_cndmask_b32_e64 v64, -1, v58, s27
	v_cmp_gt_i64_e64 s27, 0, v[58:59]
	v_lshrrev_b64 v[64:65], s48, v[64:65]
	v_ashrrev_i32_e32 v65, 31, v59
	s_delay_alu instid0(VALU_DEP_3) | instskip(NEXT) | instid1(VALU_DEP_2)
	v_cndmask_b32_e64 v66, 0x7fffffff, 0, s27
	v_not_b32_e32 v65, v65
	s_delay_alu instid0(VALU_DEP_4) | instskip(NEXT) | instid1(VALU_DEP_1)
	v_and_b32_e32 v64, s55, v64
	v_dual_lshlrev_b32 v64, 2, v64 :: v_dual_bitop2_b32 v59, v66, v59 bitop3:0x14
	ds_load_b32 v64, v64
	s_wait_dscnt 0x0
	v_dual_add_nc_u32 v64, v64, v109 :: v_dual_bitop2_b32 v58, v65, v58 bitop3:0x14
	global_store_b64 v64, v[58:59], s[38:39] scale_offset
	s_wait_xcnt 0x0
	s_or_b32 exec_lo, exec_lo, s28
	v_cmp_lt_u32_e64 s27, v110, v165
	s_and_saveexec_b32 s29, s27
	s_cbranch_execz .LBB1113_774
.LBB1113_842:                           ;   in Loop: Header=BB1113_682 Depth=2
	ds_load_b64 v[58:59], v123 offset:27648
	s_wait_dscnt 0x0
	v_cmp_ne_u64_e64 s28, s[42:43], v[58:59]
	s_delay_alu instid0(VALU_DEP_1) | instskip(SKIP_2) | instid1(VALU_DEP_2)
	v_cndmask_b32_e64 v65, 0x7fffffff, v59, s28
	v_cndmask_b32_e64 v64, -1, v58, s28
	v_cmp_gt_i64_e64 s28, 0, v[58:59]
	v_lshrrev_b64 v[64:65], s48, v[64:65]
	v_ashrrev_i32_e32 v65, 31, v59
	s_delay_alu instid0(VALU_DEP_3) | instskip(NEXT) | instid1(VALU_DEP_2)
	v_cndmask_b32_e64 v66, 0x7fffffff, 0, s28
	v_not_b32_e32 v65, v65
	s_delay_alu instid0(VALU_DEP_4) | instskip(NEXT) | instid1(VALU_DEP_3)
	v_and_b32_e32 v64, s55, v64
	v_xor_b32_e32 v59, v66, v59
	s_delay_alu instid0(VALU_DEP_2)
	v_dual_lshlrev_b32 v64, 2, v64 :: v_dual_bitop2_b32 v58, v65, v58 bitop3:0x14
	ds_load_b32 v64, v64
	s_wait_dscnt 0x0
	v_add_nc_u32_e32 v64, v64, v110
	global_store_b64 v64, v[58:59], s[38:39] scale_offset
	s_wait_xcnt 0x0
	s_or_b32 exec_lo, exec_lo, s29
	v_cmp_lt_u32_e64 s28, v111, v165
	s_and_saveexec_b32 s30, s28
	s_cbranch_execz .LBB1113_775
.LBB1113_843:                           ;   in Loop: Header=BB1113_682 Depth=2
	ds_load_b64 v[58:59], v123 offset:29696
	s_wait_dscnt 0x0
	v_cmp_ne_u64_e64 s29, s[42:43], v[58:59]
	s_delay_alu instid0(VALU_DEP_1) | instskip(SKIP_2) | instid1(VALU_DEP_2)
	v_cndmask_b32_e64 v65, 0x7fffffff, v59, s29
	v_cndmask_b32_e64 v64, -1, v58, s29
	v_cmp_gt_i64_e64 s29, 0, v[58:59]
	v_lshrrev_b64 v[64:65], s48, v[64:65]
	v_ashrrev_i32_e32 v65, 31, v59
	s_delay_alu instid0(VALU_DEP_3) | instskip(NEXT) | instid1(VALU_DEP_2)
	v_cndmask_b32_e64 v66, 0x7fffffff, 0, s29
	v_not_b32_e32 v65, v65
	s_delay_alu instid0(VALU_DEP_4) | instskip(NEXT) | instid1(VALU_DEP_1)
	v_and_b32_e32 v64, s55, v64
	v_dual_lshlrev_b32 v64, 2, v64 :: v_dual_bitop2_b32 v59, v66, v59 bitop3:0x14
	ds_load_b32 v64, v64
	s_wait_dscnt 0x0
	v_dual_add_nc_u32 v64, v64, v111 :: v_dual_bitop2_b32 v58, v65, v58 bitop3:0x14
	global_store_b64 v64, v[58:59], s[38:39] scale_offset
	s_wait_xcnt 0x0
	s_or_b32 exec_lo, exec_lo, s30
	v_cmp_lt_u32_e64 s29, v112, v165
	s_and_saveexec_b32 s61, s29
	s_cbranch_execnz .LBB1113_776
	s_branch .LBB1113_777
.LBB1113_844:                           ;   in Loop: Header=BB1113_682 Depth=2
	global_load_b64 v[56:57], v[58:59], off
	s_wait_xcnt 0x0
	s_or_b32 exec_lo, exec_lo, s30
	s_delay_alu instid0(SALU_CYCLE_1)
	s_mov_b32 s34, exec_lo
	v_cmpx_lt_u32_e64 v132, v165
	s_cbranch_execz .LBB1113_779
.LBB1113_845:                           ;   in Loop: Header=BB1113_682 Depth=2
	global_load_b64 v[54:55], v[58:59], off offset:256
	s_wait_xcnt 0x0
	s_or_b32 exec_lo, exec_lo, s34
	s_delay_alu instid0(SALU_CYCLE_1)
	s_mov_b32 s34, exec_lo
	v_cmpx_lt_u32_e64 v133, v165
	s_cbranch_execz .LBB1113_780
.LBB1113_846:                           ;   in Loop: Header=BB1113_682 Depth=2
	global_load_b64 v[52:53], v[58:59], off offset:512
	s_wait_xcnt 0x0
	s_or_b32 exec_lo, exec_lo, s34
	s_delay_alu instid0(SALU_CYCLE_1)
	s_mov_b32 s34, exec_lo
	v_cmpx_lt_u32_e64 v134, v165
	s_cbranch_execz .LBB1113_781
.LBB1113_847:                           ;   in Loop: Header=BB1113_682 Depth=2
	global_load_b64 v[50:51], v[58:59], off offset:768
	s_wait_xcnt 0x0
	s_or_b32 exec_lo, exec_lo, s34
	s_delay_alu instid0(SALU_CYCLE_1)
	s_mov_b32 s34, exec_lo
	v_cmpx_lt_u32_e64 v135, v165
	s_cbranch_execz .LBB1113_782
.LBB1113_848:                           ;   in Loop: Header=BB1113_682 Depth=2
	global_load_b64 v[48:49], v[58:59], off offset:1024
	s_wait_xcnt 0x0
	s_or_b32 exec_lo, exec_lo, s34
	s_delay_alu instid0(SALU_CYCLE_1)
	s_mov_b32 s34, exec_lo
	v_cmpx_lt_u32_e64 v136, v165
	s_cbranch_execz .LBB1113_783
.LBB1113_849:                           ;   in Loop: Header=BB1113_682 Depth=2
	global_load_b64 v[46:47], v[58:59], off offset:1280
	s_wait_xcnt 0x0
	s_or_b32 exec_lo, exec_lo, s34
	s_delay_alu instid0(SALU_CYCLE_1)
	s_mov_b32 s34, exec_lo
	v_cmpx_lt_u32_e64 v137, v165
	s_cbranch_execz .LBB1113_784
.LBB1113_850:                           ;   in Loop: Header=BB1113_682 Depth=2
	global_load_b64 v[44:45], v[58:59], off offset:1536
	s_wait_xcnt 0x0
	s_or_b32 exec_lo, exec_lo, s34
	s_delay_alu instid0(SALU_CYCLE_1)
	s_mov_b32 s34, exec_lo
	v_cmpx_lt_u32_e64 v138, v165
	s_cbranch_execz .LBB1113_785
.LBB1113_851:                           ;   in Loop: Header=BB1113_682 Depth=2
	global_load_b64 v[42:43], v[58:59], off offset:1792
	s_wait_xcnt 0x0
	s_or_b32 exec_lo, exec_lo, s34
	s_delay_alu instid0(SALU_CYCLE_1)
	s_mov_b32 s34, exec_lo
	v_cmpx_lt_u32_e64 v139, v165
	s_cbranch_execz .LBB1113_786
.LBB1113_852:                           ;   in Loop: Header=BB1113_682 Depth=2
	global_load_b64 v[40:41], v[58:59], off offset:2048
	s_wait_xcnt 0x0
	s_or_b32 exec_lo, exec_lo, s34
	s_delay_alu instid0(SALU_CYCLE_1)
	s_mov_b32 s34, exec_lo
	v_cmpx_lt_u32_e64 v140, v165
	s_cbranch_execz .LBB1113_787
.LBB1113_853:                           ;   in Loop: Header=BB1113_682 Depth=2
	global_load_b64 v[38:39], v[58:59], off offset:2304
	s_wait_xcnt 0x0
	s_or_b32 exec_lo, exec_lo, s34
	s_delay_alu instid0(SALU_CYCLE_1)
	s_mov_b32 s34, exec_lo
	v_cmpx_lt_u32_e64 v141, v165
	s_cbranch_execz .LBB1113_788
.LBB1113_854:                           ;   in Loop: Header=BB1113_682 Depth=2
	global_load_b64 v[36:37], v[58:59], off offset:2560
	s_wait_xcnt 0x0
	s_or_b32 exec_lo, exec_lo, s34
	s_delay_alu instid0(SALU_CYCLE_1)
	s_mov_b32 s34, exec_lo
	v_cmpx_lt_u32_e64 v142, v165
	s_cbranch_execz .LBB1113_789
.LBB1113_855:                           ;   in Loop: Header=BB1113_682 Depth=2
	global_load_b64 v[34:35], v[58:59], off offset:2816
	s_wait_xcnt 0x0
	s_or_b32 exec_lo, exec_lo, s34
	s_delay_alu instid0(SALU_CYCLE_1)
	s_mov_b32 s34, exec_lo
	v_cmpx_lt_u32_e64 v143, v165
	s_cbranch_execz .LBB1113_790
.LBB1113_856:                           ;   in Loop: Header=BB1113_682 Depth=2
	global_load_b64 v[32:33], v[58:59], off offset:3072
	s_wait_xcnt 0x0
	s_or_b32 exec_lo, exec_lo, s34
	s_delay_alu instid0(SALU_CYCLE_1)
	s_mov_b32 s34, exec_lo
	v_cmpx_lt_u32_e64 v144, v165
	s_cbranch_execz .LBB1113_791
.LBB1113_857:                           ;   in Loop: Header=BB1113_682 Depth=2
	global_load_b64 v[30:31], v[58:59], off offset:3328
	s_wait_xcnt 0x0
	s_or_b32 exec_lo, exec_lo, s34
	s_delay_alu instid0(SALU_CYCLE_1)
	s_mov_b32 s34, exec_lo
	v_cmpx_lt_u32_e64 v145, v165
	s_cbranch_execz .LBB1113_792
.LBB1113_858:                           ;   in Loop: Header=BB1113_682 Depth=2
	global_load_b64 v[28:29], v[58:59], off offset:3584
	s_wait_xcnt 0x0
	s_or_b32 exec_lo, exec_lo, s34
	s_delay_alu instid0(SALU_CYCLE_1)
	s_mov_b32 s34, exec_lo
	v_cmpx_lt_u32_e64 v146, v165
	s_cbranch_execz .LBB1113_793
.LBB1113_859:                           ;   in Loop: Header=BB1113_682 Depth=2
	global_load_b64 v[26:27], v[58:59], off offset:3840
	s_wait_xcnt 0x0
	s_or_b32 exec_lo, exec_lo, s34
	s_and_saveexec_b32 s34, vcc_lo
	s_cbranch_execz .LBB1113_794
.LBB1113_860:                           ;   in Loop: Header=BB1113_682 Depth=2
	ds_load_b64 v[58:59], v123 offset:1024
	s_wait_dscnt 0x0
	v_cmp_ne_u64_e64 s30, s[42:43], v[58:59]
	s_delay_alu instid0(VALU_DEP_1) | instskip(SKIP_1) | instid1(VALU_DEP_1)
	v_cndmask_b32_e64 v59, 0x7fffffff, v59, s30
	v_cndmask_b32_e64 v58, -1, v58, s30
	v_lshrrev_b64 v[58:59], s48, v[58:59]
	s_delay_alu instid0(VALU_DEP_1)
	v_and_b32_e32 v164, s55, v58
	s_or_b32 exec_lo, exec_lo, s34
	s_and_saveexec_b32 s34, s15
	s_cbranch_execz .LBB1113_795
.LBB1113_861:                           ;   in Loop: Header=BB1113_682 Depth=2
	ds_load_b64 v[58:59], v123 offset:3072
	s_wait_dscnt 0x0
	v_cmp_ne_u64_e64 s30, s[42:43], v[58:59]
	s_delay_alu instid0(VALU_DEP_1) | instskip(SKIP_1) | instid1(VALU_DEP_1)
	v_cndmask_b32_e64 v59, 0x7fffffff, v59, s30
	v_cndmask_b32_e64 v58, -1, v58, s30
	v_lshrrev_b64 v[58:59], s48, v[58:59]
	s_delay_alu instid0(VALU_DEP_1)
	v_and_b32_e32 v163, s55, v58
	s_or_b32 exec_lo, exec_lo, s34
	s_and_saveexec_b32 s34, s16
	s_cbranch_execz .LBB1113_796
.LBB1113_862:                           ;   in Loop: Header=BB1113_682 Depth=2
	ds_load_b64 v[58:59], v123 offset:5120
	s_wait_dscnt 0x0
	v_cmp_ne_u64_e64 s30, s[42:43], v[58:59]
	s_delay_alu instid0(VALU_DEP_1) | instskip(SKIP_1) | instid1(VALU_DEP_1)
	v_cndmask_b32_e64 v59, 0x7fffffff, v59, s30
	v_cndmask_b32_e64 v58, -1, v58, s30
	v_lshrrev_b64 v[58:59], s48, v[58:59]
	s_delay_alu instid0(VALU_DEP_1)
	v_and_b32_e32 v162, s55, v58
	s_or_b32 exec_lo, exec_lo, s34
	s_and_saveexec_b32 s34, s17
	s_cbranch_execz .LBB1113_797
.LBB1113_863:                           ;   in Loop: Header=BB1113_682 Depth=2
	ds_load_b64 v[58:59], v123 offset:7168
	s_wait_dscnt 0x0
	v_cmp_ne_u64_e64 s30, s[42:43], v[58:59]
	s_delay_alu instid0(VALU_DEP_1) | instskip(SKIP_1) | instid1(VALU_DEP_1)
	v_cndmask_b32_e64 v59, 0x7fffffff, v59, s30
	v_cndmask_b32_e64 v58, -1, v58, s30
	v_lshrrev_b64 v[58:59], s48, v[58:59]
	s_delay_alu instid0(VALU_DEP_1)
	v_and_b32_e32 v161, s55, v58
	s_or_b32 exec_lo, exec_lo, s34
	s_and_saveexec_b32 s34, s18
	s_cbranch_execz .LBB1113_798
.LBB1113_864:                           ;   in Loop: Header=BB1113_682 Depth=2
	ds_load_b64 v[58:59], v123 offset:9216
	s_wait_dscnt 0x0
	v_cmp_ne_u64_e64 s30, s[42:43], v[58:59]
	s_delay_alu instid0(VALU_DEP_1) | instskip(SKIP_1) | instid1(VALU_DEP_1)
	v_cndmask_b32_e64 v59, 0x7fffffff, v59, s30
	v_cndmask_b32_e64 v58, -1, v58, s30
	v_lshrrev_b64 v[58:59], s48, v[58:59]
	s_delay_alu instid0(VALU_DEP_1)
	v_and_b32_e32 v160, s55, v58
	s_or_b32 exec_lo, exec_lo, s34
	s_and_saveexec_b32 s34, s19
	s_cbranch_execz .LBB1113_799
.LBB1113_865:                           ;   in Loop: Header=BB1113_682 Depth=2
	ds_load_b64 v[58:59], v123 offset:11264
	s_wait_dscnt 0x0
	v_cmp_ne_u64_e64 s30, s[42:43], v[58:59]
	s_delay_alu instid0(VALU_DEP_1) | instskip(SKIP_1) | instid1(VALU_DEP_1)
	v_cndmask_b32_e64 v59, 0x7fffffff, v59, s30
	v_cndmask_b32_e64 v58, -1, v58, s30
	v_lshrrev_b64 v[58:59], s48, v[58:59]
	s_delay_alu instid0(VALU_DEP_1)
	v_and_b32_e32 v159, s55, v58
	s_or_b32 exec_lo, exec_lo, s34
	s_and_saveexec_b32 s34, s20
	s_cbranch_execz .LBB1113_800
.LBB1113_866:                           ;   in Loop: Header=BB1113_682 Depth=2
	ds_load_b64 v[58:59], v123 offset:13312
	s_wait_dscnt 0x0
	v_cmp_ne_u64_e64 s30, s[42:43], v[58:59]
	s_delay_alu instid0(VALU_DEP_1) | instskip(SKIP_1) | instid1(VALU_DEP_1)
	v_cndmask_b32_e64 v59, 0x7fffffff, v59, s30
	v_cndmask_b32_e64 v58, -1, v58, s30
	v_lshrrev_b64 v[58:59], s48, v[58:59]
	s_delay_alu instid0(VALU_DEP_1)
	v_and_b32_e32 v158, s55, v58
	s_or_b32 exec_lo, exec_lo, s34
	s_and_saveexec_b32 s34, s21
	s_cbranch_execz .LBB1113_801
.LBB1113_867:                           ;   in Loop: Header=BB1113_682 Depth=2
	ds_load_b64 v[58:59], v123 offset:15360
	s_wait_dscnt 0x0
	v_cmp_ne_u64_e64 s30, s[42:43], v[58:59]
	s_delay_alu instid0(VALU_DEP_1) | instskip(SKIP_1) | instid1(VALU_DEP_1)
	v_cndmask_b32_e64 v59, 0x7fffffff, v59, s30
	v_cndmask_b32_e64 v58, -1, v58, s30
	v_lshrrev_b64 v[58:59], s48, v[58:59]
	s_delay_alu instid0(VALU_DEP_1)
	v_and_b32_e32 v157, s55, v58
	s_or_b32 exec_lo, exec_lo, s34
	s_and_saveexec_b32 s34, s22
	s_cbranch_execz .LBB1113_802
.LBB1113_868:                           ;   in Loop: Header=BB1113_682 Depth=2
	ds_load_b64 v[58:59], v123 offset:17408
	s_wait_dscnt 0x0
	v_cmp_ne_u64_e64 s30, s[42:43], v[58:59]
	s_delay_alu instid0(VALU_DEP_1) | instskip(SKIP_1) | instid1(VALU_DEP_1)
	v_cndmask_b32_e64 v59, 0x7fffffff, v59, s30
	v_cndmask_b32_e64 v58, -1, v58, s30
	v_lshrrev_b64 v[58:59], s48, v[58:59]
	s_delay_alu instid0(VALU_DEP_1)
	v_and_b32_e32 v156, s55, v58
	s_or_b32 exec_lo, exec_lo, s34
	s_and_saveexec_b32 s34, s23
	s_cbranch_execz .LBB1113_803
.LBB1113_869:                           ;   in Loop: Header=BB1113_682 Depth=2
	ds_load_b64 v[58:59], v123 offset:19456
	s_wait_dscnt 0x0
	v_cmp_ne_u64_e64 s30, s[42:43], v[58:59]
	s_delay_alu instid0(VALU_DEP_1) | instskip(SKIP_1) | instid1(VALU_DEP_1)
	v_cndmask_b32_e64 v59, 0x7fffffff, v59, s30
	v_cndmask_b32_e64 v58, -1, v58, s30
	v_lshrrev_b64 v[58:59], s48, v[58:59]
	s_delay_alu instid0(VALU_DEP_1)
	v_and_b32_e32 v155, s55, v58
	s_or_b32 exec_lo, exec_lo, s34
	s_and_saveexec_b32 s34, s24
	s_cbranch_execz .LBB1113_804
.LBB1113_870:                           ;   in Loop: Header=BB1113_682 Depth=2
	ds_load_b64 v[58:59], v123 offset:21504
	s_wait_dscnt 0x0
	v_cmp_ne_u64_e64 s30, s[42:43], v[58:59]
	s_delay_alu instid0(VALU_DEP_1) | instskip(SKIP_1) | instid1(VALU_DEP_1)
	v_cndmask_b32_e64 v59, 0x7fffffff, v59, s30
	v_cndmask_b32_e64 v58, -1, v58, s30
	v_lshrrev_b64 v[58:59], s48, v[58:59]
	s_delay_alu instid0(VALU_DEP_1)
	v_and_b32_e32 v154, s55, v58
	s_or_b32 exec_lo, exec_lo, s34
	s_and_saveexec_b32 s34, s25
	s_cbranch_execz .LBB1113_805
.LBB1113_871:                           ;   in Loop: Header=BB1113_682 Depth=2
	ds_load_b64 v[58:59], v123 offset:23552
	s_wait_dscnt 0x0
	v_cmp_ne_u64_e64 s30, s[42:43], v[58:59]
	s_delay_alu instid0(VALU_DEP_1) | instskip(SKIP_1) | instid1(VALU_DEP_1)
	v_cndmask_b32_e64 v59, 0x7fffffff, v59, s30
	v_cndmask_b32_e64 v58, -1, v58, s30
	v_lshrrev_b64 v[58:59], s48, v[58:59]
	s_delay_alu instid0(VALU_DEP_1)
	v_and_b32_e32 v153, s55, v58
	s_or_b32 exec_lo, exec_lo, s34
	s_and_saveexec_b32 s34, s26
	s_cbranch_execz .LBB1113_806
.LBB1113_872:                           ;   in Loop: Header=BB1113_682 Depth=2
	ds_load_b64 v[58:59], v123 offset:25600
	s_wait_dscnt 0x0
	v_cmp_ne_u64_e64 s30, s[42:43], v[58:59]
	s_delay_alu instid0(VALU_DEP_1) | instskip(SKIP_1) | instid1(VALU_DEP_1)
	v_cndmask_b32_e64 v59, 0x7fffffff, v59, s30
	v_cndmask_b32_e64 v58, -1, v58, s30
	v_lshrrev_b64 v[58:59], s48, v[58:59]
	s_delay_alu instid0(VALU_DEP_1)
	v_and_b32_e32 v152, s55, v58
	s_or_b32 exec_lo, exec_lo, s34
	s_and_saveexec_b32 s34, s27
	s_cbranch_execz .LBB1113_807
.LBB1113_873:                           ;   in Loop: Header=BB1113_682 Depth=2
	ds_load_b64 v[58:59], v123 offset:27648
	s_wait_dscnt 0x0
	v_cmp_ne_u64_e64 s30, s[42:43], v[58:59]
	s_delay_alu instid0(VALU_DEP_1) | instskip(SKIP_1) | instid1(VALU_DEP_1)
	v_cndmask_b32_e64 v59, 0x7fffffff, v59, s30
	v_cndmask_b32_e64 v58, -1, v58, s30
	v_lshrrev_b64 v[58:59], s48, v[58:59]
	s_delay_alu instid0(VALU_DEP_1)
	v_and_b32_e32 v151, s55, v58
	s_or_b32 exec_lo, exec_lo, s34
	s_and_saveexec_b32 s34, s28
	s_cbranch_execz .LBB1113_808
.LBB1113_874:                           ;   in Loop: Header=BB1113_682 Depth=2
	ds_load_b64 v[58:59], v123 offset:29696
	s_wait_dscnt 0x0
	v_cmp_ne_u64_e64 s30, s[42:43], v[58:59]
	s_delay_alu instid0(VALU_DEP_1) | instskip(SKIP_1) | instid1(VALU_DEP_1)
	v_cndmask_b32_e64 v59, 0x7fffffff, v59, s30
	v_cndmask_b32_e64 v58, -1, v58, s30
	v_lshrrev_b64 v[58:59], s48, v[58:59]
	s_delay_alu instid0(VALU_DEP_1)
	v_and_b32_e32 v150, s55, v58
	s_or_b32 exec_lo, exec_lo, s34
	s_and_saveexec_b32 s34, s29
	s_cbranch_execnz .LBB1113_809
	s_branch .LBB1113_810
.LBB1113_875:                           ;   in Loop: Header=BB1113_682 Depth=2
	v_lshlrev_b32_e32 v58, 2, v164
	ds_load_b32 v60, v58
	ds_load_b64 v[58:59], v123 offset:1024
	s_wait_dscnt 0x1
	v_add_nc_u32_e32 v60, v60, v2
	s_wait_dscnt 0x0
	global_store_b64 v60, v[58:59], s[44:45] scale_offset
	s_wait_xcnt 0x0
	s_or_b32 exec_lo, exec_lo, s30
	s_and_saveexec_b32 s30, s15
	s_cbranch_execz .LBB1113_812
.LBB1113_876:                           ;   in Loop: Header=BB1113_682 Depth=2
	v_lshlrev_b32_e32 v58, 2, v163
	ds_load_b32 v60, v58
	ds_load_b64 v[58:59], v123 offset:3072
	s_wait_dscnt 0x1
	v_add_nc_u32_e32 v60, v60, v98
	s_wait_dscnt 0x0
	global_store_b64 v60, v[58:59], s[44:45] scale_offset
	s_wait_xcnt 0x0
	s_or_b32 exec_lo, exec_lo, s30
	s_and_saveexec_b32 s15, s16
	s_cbranch_execz .LBB1113_813
.LBB1113_877:                           ;   in Loop: Header=BB1113_682 Depth=2
	v_lshlrev_b32_e32 v58, 2, v162
	ds_load_b32 v60, v58
	ds_load_b64 v[58:59], v123 offset:5120
	s_wait_dscnt 0x1
	v_add_nc_u32_e32 v60, v60, v99
	s_wait_dscnt 0x0
	global_store_b64 v60, v[58:59], s[44:45] scale_offset
	s_wait_xcnt 0x0
	s_or_b32 exec_lo, exec_lo, s15
	s_and_saveexec_b32 s15, s17
	s_cbranch_execz .LBB1113_814
.LBB1113_878:                           ;   in Loop: Header=BB1113_682 Depth=2
	v_lshlrev_b32_e32 v58, 2, v161
	ds_load_b32 v60, v58
	ds_load_b64 v[58:59], v123 offset:7168
	s_wait_dscnt 0x1
	v_add_nc_u32_e32 v60, v60, v100
	s_wait_dscnt 0x0
	global_store_b64 v60, v[58:59], s[44:45] scale_offset
	s_wait_xcnt 0x0
	s_or_b32 exec_lo, exec_lo, s15
	s_and_saveexec_b32 s15, s18
	s_cbranch_execz .LBB1113_815
.LBB1113_879:                           ;   in Loop: Header=BB1113_682 Depth=2
	v_lshlrev_b32_e32 v58, 2, v160
	ds_load_b32 v60, v58
	ds_load_b64 v[58:59], v123 offset:9216
	s_wait_dscnt 0x1
	v_add_nc_u32_e32 v60, v60, v101
	s_wait_dscnt 0x0
	global_store_b64 v60, v[58:59], s[44:45] scale_offset
	s_wait_xcnt 0x0
	s_or_b32 exec_lo, exec_lo, s15
	s_and_saveexec_b32 s15, s19
	s_cbranch_execz .LBB1113_816
.LBB1113_880:                           ;   in Loop: Header=BB1113_682 Depth=2
	v_lshlrev_b32_e32 v58, 2, v159
	ds_load_b32 v60, v58
	ds_load_b64 v[58:59], v123 offset:11264
	s_wait_dscnt 0x1
	v_add_nc_u32_e32 v60, v60, v102
	s_wait_dscnt 0x0
	global_store_b64 v60, v[58:59], s[44:45] scale_offset
	s_wait_xcnt 0x0
	s_or_b32 exec_lo, exec_lo, s15
	s_and_saveexec_b32 s15, s20
	s_cbranch_execz .LBB1113_817
.LBB1113_881:                           ;   in Loop: Header=BB1113_682 Depth=2
	v_lshlrev_b32_e32 v58, 2, v158
	ds_load_b32 v60, v58
	ds_load_b64 v[58:59], v123 offset:13312
	s_wait_dscnt 0x1
	v_add_nc_u32_e32 v60, v60, v103
	s_wait_dscnt 0x0
	global_store_b64 v60, v[58:59], s[44:45] scale_offset
	s_wait_xcnt 0x0
	s_or_b32 exec_lo, exec_lo, s15
	s_and_saveexec_b32 s15, s21
	s_cbranch_execz .LBB1113_818
.LBB1113_882:                           ;   in Loop: Header=BB1113_682 Depth=2
	v_lshlrev_b32_e32 v58, 2, v157
	ds_load_b32 v60, v58
	ds_load_b64 v[58:59], v123 offset:15360
	s_wait_dscnt 0x1
	v_add_nc_u32_e32 v60, v60, v104
	s_wait_dscnt 0x0
	global_store_b64 v60, v[58:59], s[44:45] scale_offset
	s_wait_xcnt 0x0
	s_or_b32 exec_lo, exec_lo, s15
	s_and_saveexec_b32 s15, s22
	s_cbranch_execz .LBB1113_819
.LBB1113_883:                           ;   in Loop: Header=BB1113_682 Depth=2
	v_lshlrev_b32_e32 v58, 2, v156
	ds_load_b32 v60, v58
	ds_load_b64 v[58:59], v123 offset:17408
	s_wait_dscnt 0x1
	v_add_nc_u32_e32 v60, v60, v105
	s_wait_dscnt 0x0
	global_store_b64 v60, v[58:59], s[44:45] scale_offset
	s_wait_xcnt 0x0
	s_or_b32 exec_lo, exec_lo, s15
	s_and_saveexec_b32 s15, s23
	s_cbranch_execz .LBB1113_820
.LBB1113_884:                           ;   in Loop: Header=BB1113_682 Depth=2
	v_lshlrev_b32_e32 v58, 2, v155
	ds_load_b32 v60, v58
	ds_load_b64 v[58:59], v123 offset:19456
	s_wait_dscnt 0x1
	v_add_nc_u32_e32 v60, v60, v106
	s_wait_dscnt 0x0
	global_store_b64 v60, v[58:59], s[44:45] scale_offset
	s_wait_xcnt 0x0
	s_or_b32 exec_lo, exec_lo, s15
	s_and_saveexec_b32 s15, s24
	s_cbranch_execz .LBB1113_821
.LBB1113_885:                           ;   in Loop: Header=BB1113_682 Depth=2
	v_lshlrev_b32_e32 v58, 2, v154
	ds_load_b32 v60, v58
	ds_load_b64 v[58:59], v123 offset:21504
	s_wait_dscnt 0x1
	v_add_nc_u32_e32 v60, v60, v107
	s_wait_dscnt 0x0
	global_store_b64 v60, v[58:59], s[44:45] scale_offset
	s_wait_xcnt 0x0
	s_or_b32 exec_lo, exec_lo, s15
	s_and_saveexec_b32 s15, s25
	s_cbranch_execz .LBB1113_822
.LBB1113_886:                           ;   in Loop: Header=BB1113_682 Depth=2
	v_lshlrev_b32_e32 v58, 2, v153
	ds_load_b32 v60, v58
	ds_load_b64 v[58:59], v123 offset:23552
	s_wait_dscnt 0x1
	v_add_nc_u32_e32 v60, v60, v108
	s_wait_dscnt 0x0
	global_store_b64 v60, v[58:59], s[44:45] scale_offset
	s_wait_xcnt 0x0
	s_or_b32 exec_lo, exec_lo, s15
	s_and_saveexec_b32 s15, s26
	s_cbranch_execz .LBB1113_823
.LBB1113_887:                           ;   in Loop: Header=BB1113_682 Depth=2
	v_lshlrev_b32_e32 v58, 2, v152
	ds_load_b32 v60, v58
	ds_load_b64 v[58:59], v123 offset:25600
	s_wait_dscnt 0x1
	v_add_nc_u32_e32 v60, v60, v109
	s_wait_dscnt 0x0
	global_store_b64 v60, v[58:59], s[44:45] scale_offset
	s_wait_xcnt 0x0
	s_or_b32 exec_lo, exec_lo, s15
	s_and_saveexec_b32 s15, s27
	s_cbranch_execz .LBB1113_824
.LBB1113_888:                           ;   in Loop: Header=BB1113_682 Depth=2
	v_lshlrev_b32_e32 v58, 2, v151
	ds_load_b32 v60, v58
	ds_load_b64 v[58:59], v123 offset:27648
	s_wait_dscnt 0x1
	v_add_nc_u32_e32 v60, v60, v110
	s_wait_dscnt 0x0
	global_store_b64 v60, v[58:59], s[44:45] scale_offset
	s_wait_xcnt 0x0
	s_or_b32 exec_lo, exec_lo, s15
	s_and_saveexec_b32 s15, s28
	s_cbranch_execz .LBB1113_825
.LBB1113_889:                           ;   in Loop: Header=BB1113_682 Depth=2
	v_lshlrev_b32_e32 v58, 2, v150
	ds_load_b32 v60, v58
	ds_load_b64 v[58:59], v123 offset:29696
	s_wait_dscnt 0x1
	v_add_nc_u32_e32 v60, v60, v111
	s_wait_dscnt 0x0
	global_store_b64 v60, v[58:59], s[44:45] scale_offset
	s_wait_xcnt 0x0
	s_or_b32 exec_lo, exec_lo, s15
	s_and_saveexec_b32 s15, s29
	s_cbranch_execnz .LBB1113_826
	s_branch .LBB1113_827
.LBB1113_890:                           ;   in Loop: Header=BB1113_12 Depth=1
	s_wait_dscnt 0x0
	s_barrier_signal -1
	s_mov_b32 s7, 0
	s_barrier_wait -1
.LBB1113_891:                           ;   in Loop: Header=BB1113_12 Depth=1
	s_and_b32 vcc_lo, exec_lo, s7
	s_cbranch_vccz .LBB1113_11
; %bb.892:                              ;   in Loop: Header=BB1113_12 Depth=1
	s_mov_b32 s7, s58
	s_mov_b32 s34, s56
	s_barrier_signal -1
	s_barrier_wait -1
                                        ; implicit-def: $vgpr22_vgpr23
                                        ; implicit-def: $vgpr24_vgpr25
                                        ; implicit-def: $vgpr26_vgpr27
                                        ; implicit-def: $vgpr28_vgpr29
                                        ; implicit-def: $vgpr30_vgpr31
                                        ; implicit-def: $vgpr32_vgpr33
                                        ; implicit-def: $vgpr34_vgpr35
                                        ; implicit-def: $vgpr36_vgpr37
                                        ; implicit-def: $vgpr38_vgpr39
                                        ; implicit-def: $vgpr40_vgpr41
                                        ; implicit-def: $vgpr42_vgpr43
                                        ; implicit-def: $vgpr44_vgpr45
                                        ; implicit-def: $vgpr46_vgpr47
                                        ; implicit-def: $vgpr48_vgpr49
                                        ; implicit-def: $vgpr50_vgpr51
                                        ; implicit-def: $vgpr52_vgpr53
	s_branch .LBB1113_894
.LBB1113_893:                           ;   in Loop: Header=BB1113_894 Depth=2
	s_or_b32 exec_lo, exec_lo, s8
	s_addk_co_i32 s7, 0xf000
	s_cmp_ge_u32 s10, s51
	s_mov_b32 s34, s10
	s_cbranch_scc1 .LBB1113_962
.LBB1113_894:                           ;   Parent Loop BB1113_12 Depth=1
                                        ; =>  This Inner Loop Header: Depth=2
	s_add_co_i32 s10, s34, 0x1000
	s_mov_b32 s8, -1
	s_cmp_gt_u32 s10, s51
                                        ; implicit-def: $vgpr54_vgpr55
                                        ; implicit-def: $vgpr56_vgpr57
                                        ; implicit-def: $vgpr58_vgpr59
                                        ; implicit-def: $vgpr60_vgpr61
                                        ; implicit-def: $vgpr62_vgpr63
                                        ; implicit-def: $vgpr64_vgpr65
                                        ; implicit-def: $vgpr66_vgpr67
                                        ; implicit-def: $vgpr68_vgpr69
                                        ; implicit-def: $vgpr70_vgpr71
                                        ; implicit-def: $vgpr72_vgpr73
                                        ; implicit-def: $vgpr74_vgpr75
                                        ; implicit-def: $vgpr76_vgpr77
                                        ; implicit-def: $vgpr78_vgpr79
                                        ; implicit-def: $vgpr80_vgpr81
                                        ; implicit-def: $vgpr82_vgpr83
                                        ; implicit-def: $vgpr84_vgpr85
	s_cbranch_scc1 .LBB1113_896
; %bb.895:                              ;   in Loop: Header=BB1113_894 Depth=2
	v_lshl_add_u64 v[84:85], s[34:35], 3, v[16:17]
	s_mov_b32 s8, 0
	s_clause 0xf
	global_load_b64 v[54:55], v[84:85], off
	global_load_b64 v[56:57], v[84:85], off offset:2048
	global_load_b64 v[58:59], v[84:85], off offset:4096
	;; [unrolled: 1-line block ×15, first 2 shown]
.LBB1113_896:                           ;   in Loop: Header=BB1113_894 Depth=2
	s_and_not1_b32 vcc_lo, exec_lo, s8
	s_movk_i32 s8, 0x1000
	s_cbranch_vccnz .LBB1113_915
; %bb.897:                              ;   in Loop: Header=BB1113_894 Depth=2
	s_lshl_b64 s[8:9], s[34:35], 3
	s_mov_b32 s11, exec_lo
	s_add_nc_u64 s[8:9], s[36:37], s[8:9]
	s_wait_xcnt 0x0
	v_cmpx_gt_u32_e64 s7, v2
	s_cbranch_execnz .LBB1113_947
; %bb.898:                              ;   in Loop: Header=BB1113_894 Depth=2
	s_or_b32 exec_lo, exec_lo, s11
	s_delay_alu instid0(SALU_CYCLE_1)
	s_mov_b32 s11, exec_lo
	v_cmpx_gt_u32_e64 s7, v98
	s_cbranch_execnz .LBB1113_948
.LBB1113_899:                           ;   in Loop: Header=BB1113_894 Depth=2
	s_or_b32 exec_lo, exec_lo, s11
	s_delay_alu instid0(SALU_CYCLE_1)
	s_mov_b32 s11, exec_lo
	v_cmpx_gt_u32_e64 s7, v99
	s_cbranch_execnz .LBB1113_949
.LBB1113_900:                           ;   in Loop: Header=BB1113_894 Depth=2
	s_or_b32 exec_lo, exec_lo, s11
	s_delay_alu instid0(SALU_CYCLE_1)
	s_mov_b32 s11, exec_lo
	v_cmpx_gt_u32_e64 s7, v100
	s_cbranch_execnz .LBB1113_950
.LBB1113_901:                           ;   in Loop: Header=BB1113_894 Depth=2
	s_or_b32 exec_lo, exec_lo, s11
	s_delay_alu instid0(SALU_CYCLE_1)
	s_mov_b32 s11, exec_lo
	v_cmpx_gt_u32_e64 s7, v101
	s_cbranch_execnz .LBB1113_951
.LBB1113_902:                           ;   in Loop: Header=BB1113_894 Depth=2
	s_or_b32 exec_lo, exec_lo, s11
	s_delay_alu instid0(SALU_CYCLE_1)
	s_mov_b32 s11, exec_lo
	v_cmpx_gt_u32_e64 s7, v102
	s_cbranch_execnz .LBB1113_952
.LBB1113_903:                           ;   in Loop: Header=BB1113_894 Depth=2
	s_or_b32 exec_lo, exec_lo, s11
	s_delay_alu instid0(SALU_CYCLE_1)
	s_mov_b32 s11, exec_lo
	v_cmpx_gt_u32_e64 s7, v103
	s_cbranch_execnz .LBB1113_953
.LBB1113_904:                           ;   in Loop: Header=BB1113_894 Depth=2
	s_or_b32 exec_lo, exec_lo, s11
	s_delay_alu instid0(SALU_CYCLE_1)
	s_mov_b32 s11, exec_lo
	v_cmpx_gt_u32_e64 s7, v104
	s_cbranch_execnz .LBB1113_954
.LBB1113_905:                           ;   in Loop: Header=BB1113_894 Depth=2
	s_or_b32 exec_lo, exec_lo, s11
	s_delay_alu instid0(SALU_CYCLE_1)
	s_mov_b32 s11, exec_lo
	v_cmpx_gt_u32_e64 s7, v105
	s_cbranch_execnz .LBB1113_955
.LBB1113_906:                           ;   in Loop: Header=BB1113_894 Depth=2
	s_or_b32 exec_lo, exec_lo, s11
	s_delay_alu instid0(SALU_CYCLE_1)
	s_mov_b32 s11, exec_lo
	v_cmpx_gt_u32_e64 s7, v106
	s_cbranch_execnz .LBB1113_956
.LBB1113_907:                           ;   in Loop: Header=BB1113_894 Depth=2
	s_or_b32 exec_lo, exec_lo, s11
	s_delay_alu instid0(SALU_CYCLE_1)
	s_mov_b32 s11, exec_lo
	v_cmpx_gt_u32_e64 s7, v107
	s_cbranch_execnz .LBB1113_957
.LBB1113_908:                           ;   in Loop: Header=BB1113_894 Depth=2
	s_or_b32 exec_lo, exec_lo, s11
	s_delay_alu instid0(SALU_CYCLE_1)
	s_mov_b32 s11, exec_lo
	v_cmpx_gt_u32_e64 s7, v108
	s_cbranch_execnz .LBB1113_958
.LBB1113_909:                           ;   in Loop: Header=BB1113_894 Depth=2
	s_or_b32 exec_lo, exec_lo, s11
	s_delay_alu instid0(SALU_CYCLE_1)
	s_mov_b32 s11, exec_lo
	v_cmpx_gt_u32_e64 s7, v109
	s_cbranch_execnz .LBB1113_959
.LBB1113_910:                           ;   in Loop: Header=BB1113_894 Depth=2
	s_or_b32 exec_lo, exec_lo, s11
	s_delay_alu instid0(SALU_CYCLE_1)
	s_mov_b32 s11, exec_lo
	v_cmpx_gt_u32_e64 s7, v110
	s_cbranch_execnz .LBB1113_960
.LBB1113_911:                           ;   in Loop: Header=BB1113_894 Depth=2
	s_or_b32 exec_lo, exec_lo, s11
	s_delay_alu instid0(SALU_CYCLE_1)
	s_mov_b32 s11, exec_lo
	v_cmpx_gt_u32_e64 s7, v111
	s_cbranch_execnz .LBB1113_961
.LBB1113_912:                           ;   in Loop: Header=BB1113_894 Depth=2
	s_or_b32 exec_lo, exec_lo, s11
	s_delay_alu instid0(SALU_CYCLE_1)
	s_mov_b32 s11, exec_lo
	v_cmpx_gt_u32_e64 s7, v112
	s_cbranch_execz .LBB1113_914
.LBB1113_913:                           ;   in Loop: Header=BB1113_894 Depth=2
	global_load_b64 v[22:23], v2, s[8:9] offset:30720 scale_offset
.LBB1113_914:                           ;   in Loop: Header=BB1113_894 Depth=2
	s_wait_xcnt 0x0
	s_or_b32 exec_lo, exec_lo, s11
	s_wait_loadcnt 0x0
	v_mov_b64_e32 v[54:55], v[52:53]
	v_mov_b64_e32 v[56:57], v[50:51]
	;; [unrolled: 1-line block ×16, first 2 shown]
	s_mov_b32 s8, s7
.LBB1113_915:                           ;   in Loop: Header=BB1113_894 Depth=2
	s_wait_loadcnt 0x0
	s_delay_alu instid0(VALU_DEP_1) | instskip(NEXT) | instid1(VALU_DEP_3)
	v_mov_b64_e32 v[22:23], v[84:85]
	v_mov_b64_e32 v[24:25], v[82:83]
	;; [unrolled: 1-line block ×16, first 2 shown]
	s_mov_b32 s9, exec_lo
	s_wait_xcnt 0x0
	v_cmpx_gt_u32_e64 s8, v2
	s_cbranch_execnz .LBB1113_931
; %bb.916:                              ;   in Loop: Header=BB1113_894 Depth=2
	s_or_b32 exec_lo, exec_lo, s9
	s_delay_alu instid0(SALU_CYCLE_1)
	s_mov_b32 s9, exec_lo
	v_cmpx_gt_u32_e64 s8, v98
	s_cbranch_execnz .LBB1113_932
.LBB1113_917:                           ;   in Loop: Header=BB1113_894 Depth=2
	s_or_b32 exec_lo, exec_lo, s9
	s_delay_alu instid0(SALU_CYCLE_1)
	s_mov_b32 s9, exec_lo
	v_cmpx_gt_u32_e64 s8, v99
	s_cbranch_execnz .LBB1113_933
.LBB1113_918:                           ;   in Loop: Header=BB1113_894 Depth=2
	s_or_b32 exec_lo, exec_lo, s9
	s_delay_alu instid0(SALU_CYCLE_1)
	s_mov_b32 s9, exec_lo
	v_cmpx_gt_u32_e64 s8, v100
	s_cbranch_execnz .LBB1113_934
.LBB1113_919:                           ;   in Loop: Header=BB1113_894 Depth=2
	s_or_b32 exec_lo, exec_lo, s9
	s_delay_alu instid0(SALU_CYCLE_1)
	s_mov_b32 s9, exec_lo
	v_cmpx_gt_u32_e64 s8, v101
	s_cbranch_execnz .LBB1113_935
.LBB1113_920:                           ;   in Loop: Header=BB1113_894 Depth=2
	s_or_b32 exec_lo, exec_lo, s9
	s_delay_alu instid0(SALU_CYCLE_1)
	s_mov_b32 s9, exec_lo
	v_cmpx_gt_u32_e64 s8, v102
	s_cbranch_execnz .LBB1113_936
.LBB1113_921:                           ;   in Loop: Header=BB1113_894 Depth=2
	s_or_b32 exec_lo, exec_lo, s9
	s_delay_alu instid0(SALU_CYCLE_1)
	s_mov_b32 s9, exec_lo
	v_cmpx_gt_u32_e64 s8, v103
	s_cbranch_execnz .LBB1113_937
.LBB1113_922:                           ;   in Loop: Header=BB1113_894 Depth=2
	s_or_b32 exec_lo, exec_lo, s9
	s_delay_alu instid0(SALU_CYCLE_1)
	s_mov_b32 s9, exec_lo
	v_cmpx_gt_u32_e64 s8, v104
	s_cbranch_execnz .LBB1113_938
.LBB1113_923:                           ;   in Loop: Header=BB1113_894 Depth=2
	s_or_b32 exec_lo, exec_lo, s9
	s_delay_alu instid0(SALU_CYCLE_1)
	s_mov_b32 s9, exec_lo
	v_cmpx_gt_u32_e64 s8, v105
	s_cbranch_execnz .LBB1113_939
.LBB1113_924:                           ;   in Loop: Header=BB1113_894 Depth=2
	s_or_b32 exec_lo, exec_lo, s9
	s_delay_alu instid0(SALU_CYCLE_1)
	s_mov_b32 s9, exec_lo
	v_cmpx_gt_u32_e64 s8, v106
	s_cbranch_execnz .LBB1113_940
.LBB1113_925:                           ;   in Loop: Header=BB1113_894 Depth=2
	s_or_b32 exec_lo, exec_lo, s9
	s_delay_alu instid0(SALU_CYCLE_1)
	s_mov_b32 s9, exec_lo
	v_cmpx_gt_u32_e64 s8, v107
	s_cbranch_execnz .LBB1113_941
.LBB1113_926:                           ;   in Loop: Header=BB1113_894 Depth=2
	s_or_b32 exec_lo, exec_lo, s9
	s_delay_alu instid0(SALU_CYCLE_1)
	s_mov_b32 s9, exec_lo
	v_cmpx_gt_u32_e64 s8, v108
	s_cbranch_execnz .LBB1113_942
.LBB1113_927:                           ;   in Loop: Header=BB1113_894 Depth=2
	s_or_b32 exec_lo, exec_lo, s9
	s_delay_alu instid0(SALU_CYCLE_1)
	s_mov_b32 s9, exec_lo
	v_cmpx_gt_u32_e64 s8, v109
	s_cbranch_execnz .LBB1113_943
.LBB1113_928:                           ;   in Loop: Header=BB1113_894 Depth=2
	s_or_b32 exec_lo, exec_lo, s9
	s_delay_alu instid0(SALU_CYCLE_1)
	s_mov_b32 s9, exec_lo
	v_cmpx_gt_u32_e64 s8, v110
	s_cbranch_execnz .LBB1113_944
.LBB1113_929:                           ;   in Loop: Header=BB1113_894 Depth=2
	s_or_b32 exec_lo, exec_lo, s9
	s_delay_alu instid0(SALU_CYCLE_1)
	s_mov_b32 s9, exec_lo
	v_cmpx_gt_u32_e64 s8, v111
	s_cbranch_execnz .LBB1113_945
.LBB1113_930:                           ;   in Loop: Header=BB1113_894 Depth=2
	s_or_b32 exec_lo, exec_lo, s9
	v_cmp_gt_u32_e32 vcc_lo, s8, v112
	s_and_saveexec_b32 s8, vcc_lo
	s_cbranch_execz .LBB1113_893
	s_branch .LBB1113_946
.LBB1113_931:                           ;   in Loop: Header=BB1113_894 Depth=2
	s_delay_alu instid0(VALU_DEP_2) | instskip(SKIP_1) | instid1(VALU_DEP_1)
	v_cmp_gt_i64_e32 vcc_lo, 0, v[52:53]
	v_cndmask_b32_e64 v55, 0x7fffffff, 0, vcc_lo
	v_dual_ashrrev_i32 v54, 31, v53 :: v_dual_bitop2_b32 v55, v55, v53 bitop3:0x14
	s_delay_alu instid0(VALU_DEP_1) | instskip(NEXT) | instid1(VALU_DEP_1)
	v_not_b32_e32 v54, v54
	v_xor_b32_e32 v54, v54, v52
	s_delay_alu instid0(VALU_DEP_1) | instskip(SKIP_2) | instid1(VALU_DEP_1)
	v_cmp_ne_u64_e32 vcc_lo, s[42:43], v[54:55]
	v_cndmask_b32_e32 v55, 0x7fffffff, v55, vcc_lo
	v_cndmask_b32_e32 v54, -1, v54, vcc_lo
	v_lshrrev_b64 v[54:55], s48, v[54:55]
	s_delay_alu instid0(VALU_DEP_1) | instskip(NEXT) | instid1(VALU_DEP_1)
	v_and_b32_e32 v54, s55, v54
	v_lshl_or_b32 v54, v54, 4, v113
	ds_add_u32 v54, v125
	s_or_b32 exec_lo, exec_lo, s9
	s_delay_alu instid0(SALU_CYCLE_1)
	s_mov_b32 s9, exec_lo
	v_cmpx_gt_u32_e64 s8, v98
	s_cbranch_execz .LBB1113_917
.LBB1113_932:                           ;   in Loop: Header=BB1113_894 Depth=2
	v_cmp_gt_i64_e32 vcc_lo, 0, v[50:51]
	v_cndmask_b32_e64 v55, 0x7fffffff, 0, vcc_lo
	s_delay_alu instid0(VALU_DEP_1) | instskip(NEXT) | instid1(VALU_DEP_1)
	v_dual_ashrrev_i32 v54, 31, v51 :: v_dual_bitop2_b32 v55, v55, v51 bitop3:0x14
	v_not_b32_e32 v54, v54
	s_delay_alu instid0(VALU_DEP_1) | instskip(NEXT) | instid1(VALU_DEP_1)
	v_xor_b32_e32 v54, v54, v50
	v_cmp_ne_u64_e32 vcc_lo, s[42:43], v[54:55]
	v_cndmask_b32_e32 v55, 0x7fffffff, v55, vcc_lo
	v_cndmask_b32_e32 v54, -1, v54, vcc_lo
	s_delay_alu instid0(VALU_DEP_1) | instskip(NEXT) | instid1(VALU_DEP_1)
	v_lshrrev_b64 v[54:55], s48, v[54:55]
	v_and_b32_e32 v54, s55, v54
	s_delay_alu instid0(VALU_DEP_1) | instskip(SKIP_2) | instid1(SALU_CYCLE_1)
	v_lshl_or_b32 v54, v54, 4, v113
	ds_add_u32 v54, v125
	s_or_b32 exec_lo, exec_lo, s9
	s_mov_b32 s9, exec_lo
	v_cmpx_gt_u32_e64 s8, v99
	s_cbranch_execz .LBB1113_918
.LBB1113_933:                           ;   in Loop: Header=BB1113_894 Depth=2
	v_cmp_gt_i64_e32 vcc_lo, 0, v[48:49]
	v_cndmask_b32_e64 v55, 0x7fffffff, 0, vcc_lo
	s_delay_alu instid0(VALU_DEP_1) | instskip(NEXT) | instid1(VALU_DEP_1)
	v_dual_ashrrev_i32 v54, 31, v49 :: v_dual_bitop2_b32 v55, v55, v49 bitop3:0x14
	v_not_b32_e32 v54, v54
	s_delay_alu instid0(VALU_DEP_1) | instskip(NEXT) | instid1(VALU_DEP_1)
	v_xor_b32_e32 v54, v54, v48
	v_cmp_ne_u64_e32 vcc_lo, s[42:43], v[54:55]
	v_cndmask_b32_e32 v55, 0x7fffffff, v55, vcc_lo
	v_cndmask_b32_e32 v54, -1, v54, vcc_lo
	s_delay_alu instid0(VALU_DEP_1) | instskip(NEXT) | instid1(VALU_DEP_1)
	v_lshrrev_b64 v[54:55], s48, v[54:55]
	v_and_b32_e32 v54, s55, v54
	s_delay_alu instid0(VALU_DEP_1) | instskip(SKIP_2) | instid1(SALU_CYCLE_1)
	v_lshl_or_b32 v54, v54, 4, v113
	ds_add_u32 v54, v125
	s_or_b32 exec_lo, exec_lo, s9
	s_mov_b32 s9, exec_lo
	v_cmpx_gt_u32_e64 s8, v100
	s_cbranch_execz .LBB1113_919
.LBB1113_934:                           ;   in Loop: Header=BB1113_894 Depth=2
	v_cmp_gt_i64_e32 vcc_lo, 0, v[46:47]
	v_cndmask_b32_e64 v55, 0x7fffffff, 0, vcc_lo
	s_delay_alu instid0(VALU_DEP_1) | instskip(NEXT) | instid1(VALU_DEP_1)
	v_dual_ashrrev_i32 v54, 31, v47 :: v_dual_bitop2_b32 v55, v55, v47 bitop3:0x14
	v_not_b32_e32 v54, v54
	s_delay_alu instid0(VALU_DEP_1) | instskip(NEXT) | instid1(VALU_DEP_1)
	v_xor_b32_e32 v54, v54, v46
	v_cmp_ne_u64_e32 vcc_lo, s[42:43], v[54:55]
	v_cndmask_b32_e32 v55, 0x7fffffff, v55, vcc_lo
	v_cndmask_b32_e32 v54, -1, v54, vcc_lo
	s_delay_alu instid0(VALU_DEP_1) | instskip(NEXT) | instid1(VALU_DEP_1)
	v_lshrrev_b64 v[54:55], s48, v[54:55]
	v_and_b32_e32 v54, s55, v54
	s_delay_alu instid0(VALU_DEP_1) | instskip(SKIP_2) | instid1(SALU_CYCLE_1)
	v_lshl_or_b32 v54, v54, 4, v113
	ds_add_u32 v54, v125
	s_or_b32 exec_lo, exec_lo, s9
	s_mov_b32 s9, exec_lo
	v_cmpx_gt_u32_e64 s8, v101
	s_cbranch_execz .LBB1113_920
.LBB1113_935:                           ;   in Loop: Header=BB1113_894 Depth=2
	v_cmp_gt_i64_e32 vcc_lo, 0, v[44:45]
	v_cndmask_b32_e64 v55, 0x7fffffff, 0, vcc_lo
	s_delay_alu instid0(VALU_DEP_1) | instskip(NEXT) | instid1(VALU_DEP_1)
	v_dual_ashrrev_i32 v54, 31, v45 :: v_dual_bitop2_b32 v55, v55, v45 bitop3:0x14
	v_not_b32_e32 v54, v54
	s_delay_alu instid0(VALU_DEP_1) | instskip(NEXT) | instid1(VALU_DEP_1)
	v_xor_b32_e32 v54, v54, v44
	v_cmp_ne_u64_e32 vcc_lo, s[42:43], v[54:55]
	v_cndmask_b32_e32 v55, 0x7fffffff, v55, vcc_lo
	v_cndmask_b32_e32 v54, -1, v54, vcc_lo
	s_delay_alu instid0(VALU_DEP_1) | instskip(NEXT) | instid1(VALU_DEP_1)
	v_lshrrev_b64 v[54:55], s48, v[54:55]
	v_and_b32_e32 v54, s55, v54
	s_delay_alu instid0(VALU_DEP_1) | instskip(SKIP_2) | instid1(SALU_CYCLE_1)
	v_lshl_or_b32 v54, v54, 4, v113
	ds_add_u32 v54, v125
	s_or_b32 exec_lo, exec_lo, s9
	s_mov_b32 s9, exec_lo
	v_cmpx_gt_u32_e64 s8, v102
	s_cbranch_execz .LBB1113_921
.LBB1113_936:                           ;   in Loop: Header=BB1113_894 Depth=2
	v_cmp_gt_i64_e32 vcc_lo, 0, v[42:43]
	v_cndmask_b32_e64 v55, 0x7fffffff, 0, vcc_lo
	s_delay_alu instid0(VALU_DEP_1) | instskip(NEXT) | instid1(VALU_DEP_1)
	v_dual_ashrrev_i32 v54, 31, v43 :: v_dual_bitop2_b32 v55, v55, v43 bitop3:0x14
	v_not_b32_e32 v54, v54
	s_delay_alu instid0(VALU_DEP_1) | instskip(NEXT) | instid1(VALU_DEP_1)
	v_xor_b32_e32 v54, v54, v42
	v_cmp_ne_u64_e32 vcc_lo, s[42:43], v[54:55]
	v_cndmask_b32_e32 v55, 0x7fffffff, v55, vcc_lo
	v_cndmask_b32_e32 v54, -1, v54, vcc_lo
	s_delay_alu instid0(VALU_DEP_1) | instskip(NEXT) | instid1(VALU_DEP_1)
	v_lshrrev_b64 v[54:55], s48, v[54:55]
	v_and_b32_e32 v54, s55, v54
	s_delay_alu instid0(VALU_DEP_1) | instskip(SKIP_2) | instid1(SALU_CYCLE_1)
	v_lshl_or_b32 v54, v54, 4, v113
	ds_add_u32 v54, v125
	s_or_b32 exec_lo, exec_lo, s9
	s_mov_b32 s9, exec_lo
	v_cmpx_gt_u32_e64 s8, v103
	s_cbranch_execz .LBB1113_922
.LBB1113_937:                           ;   in Loop: Header=BB1113_894 Depth=2
	v_cmp_gt_i64_e32 vcc_lo, 0, v[40:41]
	v_cndmask_b32_e64 v55, 0x7fffffff, 0, vcc_lo
	s_delay_alu instid0(VALU_DEP_1) | instskip(NEXT) | instid1(VALU_DEP_1)
	v_dual_ashrrev_i32 v54, 31, v41 :: v_dual_bitop2_b32 v55, v55, v41 bitop3:0x14
	v_not_b32_e32 v54, v54
	s_delay_alu instid0(VALU_DEP_1) | instskip(NEXT) | instid1(VALU_DEP_1)
	v_xor_b32_e32 v54, v54, v40
	v_cmp_ne_u64_e32 vcc_lo, s[42:43], v[54:55]
	v_cndmask_b32_e32 v55, 0x7fffffff, v55, vcc_lo
	v_cndmask_b32_e32 v54, -1, v54, vcc_lo
	s_delay_alu instid0(VALU_DEP_1) | instskip(NEXT) | instid1(VALU_DEP_1)
	v_lshrrev_b64 v[54:55], s48, v[54:55]
	v_and_b32_e32 v54, s55, v54
	s_delay_alu instid0(VALU_DEP_1) | instskip(SKIP_2) | instid1(SALU_CYCLE_1)
	v_lshl_or_b32 v54, v54, 4, v113
	ds_add_u32 v54, v125
	s_or_b32 exec_lo, exec_lo, s9
	s_mov_b32 s9, exec_lo
	v_cmpx_gt_u32_e64 s8, v104
	s_cbranch_execz .LBB1113_923
.LBB1113_938:                           ;   in Loop: Header=BB1113_894 Depth=2
	v_cmp_gt_i64_e32 vcc_lo, 0, v[38:39]
	v_cndmask_b32_e64 v55, 0x7fffffff, 0, vcc_lo
	s_delay_alu instid0(VALU_DEP_1) | instskip(NEXT) | instid1(VALU_DEP_1)
	v_dual_ashrrev_i32 v54, 31, v39 :: v_dual_bitop2_b32 v55, v55, v39 bitop3:0x14
	v_not_b32_e32 v54, v54
	s_delay_alu instid0(VALU_DEP_1) | instskip(NEXT) | instid1(VALU_DEP_1)
	v_xor_b32_e32 v54, v54, v38
	v_cmp_ne_u64_e32 vcc_lo, s[42:43], v[54:55]
	v_cndmask_b32_e32 v55, 0x7fffffff, v55, vcc_lo
	v_cndmask_b32_e32 v54, -1, v54, vcc_lo
	s_delay_alu instid0(VALU_DEP_1) | instskip(NEXT) | instid1(VALU_DEP_1)
	v_lshrrev_b64 v[54:55], s48, v[54:55]
	v_and_b32_e32 v54, s55, v54
	s_delay_alu instid0(VALU_DEP_1) | instskip(SKIP_2) | instid1(SALU_CYCLE_1)
	v_lshl_or_b32 v54, v54, 4, v113
	ds_add_u32 v54, v125
	s_or_b32 exec_lo, exec_lo, s9
	s_mov_b32 s9, exec_lo
	v_cmpx_gt_u32_e64 s8, v105
	s_cbranch_execz .LBB1113_924
.LBB1113_939:                           ;   in Loop: Header=BB1113_894 Depth=2
	v_cmp_gt_i64_e32 vcc_lo, 0, v[36:37]
	v_cndmask_b32_e64 v55, 0x7fffffff, 0, vcc_lo
	s_delay_alu instid0(VALU_DEP_1) | instskip(NEXT) | instid1(VALU_DEP_1)
	v_dual_ashrrev_i32 v54, 31, v37 :: v_dual_bitop2_b32 v55, v55, v37 bitop3:0x14
	v_not_b32_e32 v54, v54
	s_delay_alu instid0(VALU_DEP_1) | instskip(NEXT) | instid1(VALU_DEP_1)
	v_xor_b32_e32 v54, v54, v36
	v_cmp_ne_u64_e32 vcc_lo, s[42:43], v[54:55]
	v_cndmask_b32_e32 v55, 0x7fffffff, v55, vcc_lo
	v_cndmask_b32_e32 v54, -1, v54, vcc_lo
	s_delay_alu instid0(VALU_DEP_1) | instskip(NEXT) | instid1(VALU_DEP_1)
	v_lshrrev_b64 v[54:55], s48, v[54:55]
	v_and_b32_e32 v54, s55, v54
	s_delay_alu instid0(VALU_DEP_1) | instskip(SKIP_2) | instid1(SALU_CYCLE_1)
	v_lshl_or_b32 v54, v54, 4, v113
	ds_add_u32 v54, v125
	s_or_b32 exec_lo, exec_lo, s9
	s_mov_b32 s9, exec_lo
	v_cmpx_gt_u32_e64 s8, v106
	s_cbranch_execz .LBB1113_925
.LBB1113_940:                           ;   in Loop: Header=BB1113_894 Depth=2
	v_cmp_gt_i64_e32 vcc_lo, 0, v[34:35]
	v_cndmask_b32_e64 v55, 0x7fffffff, 0, vcc_lo
	s_delay_alu instid0(VALU_DEP_1) | instskip(NEXT) | instid1(VALU_DEP_1)
	v_dual_ashrrev_i32 v54, 31, v35 :: v_dual_bitop2_b32 v55, v55, v35 bitop3:0x14
	v_not_b32_e32 v54, v54
	s_delay_alu instid0(VALU_DEP_1) | instskip(NEXT) | instid1(VALU_DEP_1)
	v_xor_b32_e32 v54, v54, v34
	v_cmp_ne_u64_e32 vcc_lo, s[42:43], v[54:55]
	v_cndmask_b32_e32 v55, 0x7fffffff, v55, vcc_lo
	v_cndmask_b32_e32 v54, -1, v54, vcc_lo
	s_delay_alu instid0(VALU_DEP_1) | instskip(NEXT) | instid1(VALU_DEP_1)
	v_lshrrev_b64 v[54:55], s48, v[54:55]
	v_and_b32_e32 v54, s55, v54
	s_delay_alu instid0(VALU_DEP_1) | instskip(SKIP_2) | instid1(SALU_CYCLE_1)
	v_lshl_or_b32 v54, v54, 4, v113
	ds_add_u32 v54, v125
	s_or_b32 exec_lo, exec_lo, s9
	s_mov_b32 s9, exec_lo
	v_cmpx_gt_u32_e64 s8, v107
	s_cbranch_execz .LBB1113_926
.LBB1113_941:                           ;   in Loop: Header=BB1113_894 Depth=2
	v_cmp_gt_i64_e32 vcc_lo, 0, v[32:33]
	v_cndmask_b32_e64 v55, 0x7fffffff, 0, vcc_lo
	s_delay_alu instid0(VALU_DEP_1) | instskip(NEXT) | instid1(VALU_DEP_1)
	v_dual_ashrrev_i32 v54, 31, v33 :: v_dual_bitop2_b32 v55, v55, v33 bitop3:0x14
	v_not_b32_e32 v54, v54
	s_delay_alu instid0(VALU_DEP_1) | instskip(NEXT) | instid1(VALU_DEP_1)
	v_xor_b32_e32 v54, v54, v32
	v_cmp_ne_u64_e32 vcc_lo, s[42:43], v[54:55]
	v_cndmask_b32_e32 v55, 0x7fffffff, v55, vcc_lo
	v_cndmask_b32_e32 v54, -1, v54, vcc_lo
	s_delay_alu instid0(VALU_DEP_1) | instskip(NEXT) | instid1(VALU_DEP_1)
	v_lshrrev_b64 v[54:55], s48, v[54:55]
	v_and_b32_e32 v54, s55, v54
	s_delay_alu instid0(VALU_DEP_1) | instskip(SKIP_2) | instid1(SALU_CYCLE_1)
	v_lshl_or_b32 v54, v54, 4, v113
	ds_add_u32 v54, v125
	s_or_b32 exec_lo, exec_lo, s9
	s_mov_b32 s9, exec_lo
	v_cmpx_gt_u32_e64 s8, v108
	s_cbranch_execz .LBB1113_927
.LBB1113_942:                           ;   in Loop: Header=BB1113_894 Depth=2
	v_cmp_gt_i64_e32 vcc_lo, 0, v[30:31]
	v_cndmask_b32_e64 v55, 0x7fffffff, 0, vcc_lo
	s_delay_alu instid0(VALU_DEP_1) | instskip(NEXT) | instid1(VALU_DEP_1)
	v_dual_ashrrev_i32 v54, 31, v31 :: v_dual_bitop2_b32 v55, v55, v31 bitop3:0x14
	v_not_b32_e32 v54, v54
	s_delay_alu instid0(VALU_DEP_1) | instskip(NEXT) | instid1(VALU_DEP_1)
	v_xor_b32_e32 v54, v54, v30
	v_cmp_ne_u64_e32 vcc_lo, s[42:43], v[54:55]
	v_cndmask_b32_e32 v55, 0x7fffffff, v55, vcc_lo
	v_cndmask_b32_e32 v54, -1, v54, vcc_lo
	s_delay_alu instid0(VALU_DEP_1) | instskip(NEXT) | instid1(VALU_DEP_1)
	v_lshrrev_b64 v[54:55], s48, v[54:55]
	v_and_b32_e32 v54, s55, v54
	s_delay_alu instid0(VALU_DEP_1) | instskip(SKIP_2) | instid1(SALU_CYCLE_1)
	v_lshl_or_b32 v54, v54, 4, v113
	ds_add_u32 v54, v125
	s_or_b32 exec_lo, exec_lo, s9
	s_mov_b32 s9, exec_lo
	v_cmpx_gt_u32_e64 s8, v109
	s_cbranch_execz .LBB1113_928
.LBB1113_943:                           ;   in Loop: Header=BB1113_894 Depth=2
	v_cmp_gt_i64_e32 vcc_lo, 0, v[28:29]
	v_cndmask_b32_e64 v55, 0x7fffffff, 0, vcc_lo
	s_delay_alu instid0(VALU_DEP_1) | instskip(NEXT) | instid1(VALU_DEP_1)
	v_dual_ashrrev_i32 v54, 31, v29 :: v_dual_bitop2_b32 v55, v55, v29 bitop3:0x14
	v_not_b32_e32 v54, v54
	s_delay_alu instid0(VALU_DEP_1) | instskip(NEXT) | instid1(VALU_DEP_1)
	v_xor_b32_e32 v54, v54, v28
	v_cmp_ne_u64_e32 vcc_lo, s[42:43], v[54:55]
	v_cndmask_b32_e32 v55, 0x7fffffff, v55, vcc_lo
	v_cndmask_b32_e32 v54, -1, v54, vcc_lo
	s_delay_alu instid0(VALU_DEP_1) | instskip(NEXT) | instid1(VALU_DEP_1)
	v_lshrrev_b64 v[54:55], s48, v[54:55]
	v_and_b32_e32 v54, s55, v54
	s_delay_alu instid0(VALU_DEP_1) | instskip(SKIP_2) | instid1(SALU_CYCLE_1)
	v_lshl_or_b32 v54, v54, 4, v113
	ds_add_u32 v54, v125
	s_or_b32 exec_lo, exec_lo, s9
	s_mov_b32 s9, exec_lo
	v_cmpx_gt_u32_e64 s8, v110
	s_cbranch_execz .LBB1113_929
.LBB1113_944:                           ;   in Loop: Header=BB1113_894 Depth=2
	v_cmp_gt_i64_e32 vcc_lo, 0, v[26:27]
	v_cndmask_b32_e64 v55, 0x7fffffff, 0, vcc_lo
	s_delay_alu instid0(VALU_DEP_1) | instskip(NEXT) | instid1(VALU_DEP_1)
	v_dual_ashrrev_i32 v54, 31, v27 :: v_dual_bitop2_b32 v55, v55, v27 bitop3:0x14
	v_not_b32_e32 v54, v54
	s_delay_alu instid0(VALU_DEP_1) | instskip(NEXT) | instid1(VALU_DEP_1)
	v_xor_b32_e32 v54, v54, v26
	v_cmp_ne_u64_e32 vcc_lo, s[42:43], v[54:55]
	v_cndmask_b32_e32 v55, 0x7fffffff, v55, vcc_lo
	v_cndmask_b32_e32 v54, -1, v54, vcc_lo
	s_delay_alu instid0(VALU_DEP_1) | instskip(NEXT) | instid1(VALU_DEP_1)
	v_lshrrev_b64 v[54:55], s48, v[54:55]
	v_and_b32_e32 v54, s55, v54
	s_delay_alu instid0(VALU_DEP_1) | instskip(SKIP_2) | instid1(SALU_CYCLE_1)
	v_lshl_or_b32 v54, v54, 4, v113
	ds_add_u32 v54, v125
	s_or_b32 exec_lo, exec_lo, s9
	s_mov_b32 s9, exec_lo
	v_cmpx_gt_u32_e64 s8, v111
	s_cbranch_execz .LBB1113_930
.LBB1113_945:                           ;   in Loop: Header=BB1113_894 Depth=2
	v_cmp_gt_i64_e32 vcc_lo, 0, v[24:25]
	v_cndmask_b32_e64 v55, 0x7fffffff, 0, vcc_lo
	s_delay_alu instid0(VALU_DEP_1) | instskip(NEXT) | instid1(VALU_DEP_1)
	v_dual_ashrrev_i32 v54, 31, v25 :: v_dual_bitop2_b32 v55, v55, v25 bitop3:0x14
	v_not_b32_e32 v54, v54
	s_delay_alu instid0(VALU_DEP_1) | instskip(NEXT) | instid1(VALU_DEP_1)
	v_xor_b32_e32 v54, v54, v24
	v_cmp_ne_u64_e32 vcc_lo, s[42:43], v[54:55]
	v_cndmask_b32_e32 v55, 0x7fffffff, v55, vcc_lo
	v_cndmask_b32_e32 v54, -1, v54, vcc_lo
	s_delay_alu instid0(VALU_DEP_1) | instskip(NEXT) | instid1(VALU_DEP_1)
	v_lshrrev_b64 v[54:55], s48, v[54:55]
	v_and_b32_e32 v54, s55, v54
	s_delay_alu instid0(VALU_DEP_1)
	v_lshl_or_b32 v54, v54, 4, v113
	ds_add_u32 v54, v125
	s_or_b32 exec_lo, exec_lo, s9
	v_cmp_gt_u32_e32 vcc_lo, s8, v112
	s_and_saveexec_b32 s8, vcc_lo
	s_cbranch_execz .LBB1113_893
.LBB1113_946:                           ;   in Loop: Header=BB1113_894 Depth=2
	v_cmp_gt_i64_e32 vcc_lo, 0, v[22:23]
	v_cndmask_b32_e64 v55, 0x7fffffff, 0, vcc_lo
	s_delay_alu instid0(VALU_DEP_1) | instskip(NEXT) | instid1(VALU_DEP_1)
	v_dual_ashrrev_i32 v54, 31, v23 :: v_dual_bitop2_b32 v55, v55, v23 bitop3:0x14
	v_not_b32_e32 v54, v54
	s_delay_alu instid0(VALU_DEP_1) | instskip(NEXT) | instid1(VALU_DEP_1)
	v_xor_b32_e32 v54, v54, v22
	v_cmp_ne_u64_e32 vcc_lo, s[42:43], v[54:55]
	v_cndmask_b32_e32 v55, 0x7fffffff, v55, vcc_lo
	v_cndmask_b32_e32 v54, -1, v54, vcc_lo
	s_delay_alu instid0(VALU_DEP_1) | instskip(NEXT) | instid1(VALU_DEP_1)
	v_lshrrev_b64 v[54:55], s48, v[54:55]
	v_and_b32_e32 v54, s55, v54
	s_delay_alu instid0(VALU_DEP_1)
	v_lshl_or_b32 v54, v54, 4, v113
	ds_add_u32 v54, v125
	s_branch .LBB1113_893
.LBB1113_947:                           ;   in Loop: Header=BB1113_894 Depth=2
	global_load_b64 v[52:53], v2, s[8:9] scale_offset
	s_wait_xcnt 0x0
	s_or_b32 exec_lo, exec_lo, s11
	s_delay_alu instid0(SALU_CYCLE_1)
	s_mov_b32 s11, exec_lo
	v_cmpx_gt_u32_e64 s7, v98
	s_cbranch_execz .LBB1113_899
.LBB1113_948:                           ;   in Loop: Header=BB1113_894 Depth=2
	global_load_b64 v[50:51], v2, s[8:9] offset:2048 scale_offset
	s_wait_xcnt 0x0
	s_or_b32 exec_lo, exec_lo, s11
	s_delay_alu instid0(SALU_CYCLE_1)
	s_mov_b32 s11, exec_lo
	v_cmpx_gt_u32_e64 s7, v99
	s_cbranch_execz .LBB1113_900
.LBB1113_949:                           ;   in Loop: Header=BB1113_894 Depth=2
	global_load_b64 v[48:49], v2, s[8:9] offset:4096 scale_offset
	s_wait_xcnt 0x0
	s_or_b32 exec_lo, exec_lo, s11
	s_delay_alu instid0(SALU_CYCLE_1)
	s_mov_b32 s11, exec_lo
	v_cmpx_gt_u32_e64 s7, v100
	s_cbranch_execz .LBB1113_901
.LBB1113_950:                           ;   in Loop: Header=BB1113_894 Depth=2
	global_load_b64 v[46:47], v2, s[8:9] offset:6144 scale_offset
	s_wait_xcnt 0x0
	s_or_b32 exec_lo, exec_lo, s11
	s_delay_alu instid0(SALU_CYCLE_1)
	s_mov_b32 s11, exec_lo
	v_cmpx_gt_u32_e64 s7, v101
	s_cbranch_execz .LBB1113_902
.LBB1113_951:                           ;   in Loop: Header=BB1113_894 Depth=2
	global_load_b64 v[44:45], v2, s[8:9] offset:8192 scale_offset
	s_wait_xcnt 0x0
	s_or_b32 exec_lo, exec_lo, s11
	s_delay_alu instid0(SALU_CYCLE_1)
	s_mov_b32 s11, exec_lo
	v_cmpx_gt_u32_e64 s7, v102
	s_cbranch_execz .LBB1113_903
.LBB1113_952:                           ;   in Loop: Header=BB1113_894 Depth=2
	global_load_b64 v[42:43], v2, s[8:9] offset:10240 scale_offset
	s_wait_xcnt 0x0
	s_or_b32 exec_lo, exec_lo, s11
	s_delay_alu instid0(SALU_CYCLE_1)
	s_mov_b32 s11, exec_lo
	v_cmpx_gt_u32_e64 s7, v103
	s_cbranch_execz .LBB1113_904
.LBB1113_953:                           ;   in Loop: Header=BB1113_894 Depth=2
	global_load_b64 v[40:41], v2, s[8:9] offset:12288 scale_offset
	s_wait_xcnt 0x0
	s_or_b32 exec_lo, exec_lo, s11
	s_delay_alu instid0(SALU_CYCLE_1)
	s_mov_b32 s11, exec_lo
	v_cmpx_gt_u32_e64 s7, v104
	s_cbranch_execz .LBB1113_905
.LBB1113_954:                           ;   in Loop: Header=BB1113_894 Depth=2
	global_load_b64 v[38:39], v2, s[8:9] offset:14336 scale_offset
	s_wait_xcnt 0x0
	s_or_b32 exec_lo, exec_lo, s11
	s_delay_alu instid0(SALU_CYCLE_1)
	s_mov_b32 s11, exec_lo
	v_cmpx_gt_u32_e64 s7, v105
	s_cbranch_execz .LBB1113_906
.LBB1113_955:                           ;   in Loop: Header=BB1113_894 Depth=2
	global_load_b64 v[36:37], v2, s[8:9] offset:16384 scale_offset
	s_wait_xcnt 0x0
	s_or_b32 exec_lo, exec_lo, s11
	s_delay_alu instid0(SALU_CYCLE_1)
	s_mov_b32 s11, exec_lo
	v_cmpx_gt_u32_e64 s7, v106
	s_cbranch_execz .LBB1113_907
.LBB1113_956:                           ;   in Loop: Header=BB1113_894 Depth=2
	global_load_b64 v[34:35], v2, s[8:9] offset:18432 scale_offset
	s_wait_xcnt 0x0
	s_or_b32 exec_lo, exec_lo, s11
	s_delay_alu instid0(SALU_CYCLE_1)
	s_mov_b32 s11, exec_lo
	v_cmpx_gt_u32_e64 s7, v107
	s_cbranch_execz .LBB1113_908
.LBB1113_957:                           ;   in Loop: Header=BB1113_894 Depth=2
	global_load_b64 v[32:33], v2, s[8:9] offset:20480 scale_offset
	s_wait_xcnt 0x0
	s_or_b32 exec_lo, exec_lo, s11
	s_delay_alu instid0(SALU_CYCLE_1)
	s_mov_b32 s11, exec_lo
	v_cmpx_gt_u32_e64 s7, v108
	s_cbranch_execz .LBB1113_909
.LBB1113_958:                           ;   in Loop: Header=BB1113_894 Depth=2
	global_load_b64 v[30:31], v2, s[8:9] offset:22528 scale_offset
	s_wait_xcnt 0x0
	s_or_b32 exec_lo, exec_lo, s11
	s_delay_alu instid0(SALU_CYCLE_1)
	s_mov_b32 s11, exec_lo
	v_cmpx_gt_u32_e64 s7, v109
	s_cbranch_execz .LBB1113_910
.LBB1113_959:                           ;   in Loop: Header=BB1113_894 Depth=2
	global_load_b64 v[28:29], v2, s[8:9] offset:24576 scale_offset
	s_wait_xcnt 0x0
	s_or_b32 exec_lo, exec_lo, s11
	s_delay_alu instid0(SALU_CYCLE_1)
	s_mov_b32 s11, exec_lo
	v_cmpx_gt_u32_e64 s7, v110
	s_cbranch_execz .LBB1113_911
.LBB1113_960:                           ;   in Loop: Header=BB1113_894 Depth=2
	global_load_b64 v[26:27], v2, s[8:9] offset:26624 scale_offset
	s_wait_xcnt 0x0
	s_or_b32 exec_lo, exec_lo, s11
	s_delay_alu instid0(SALU_CYCLE_1)
	s_mov_b32 s11, exec_lo
	v_cmpx_gt_u32_e64 s7, v111
	s_cbranch_execz .LBB1113_912
.LBB1113_961:                           ;   in Loop: Header=BB1113_894 Depth=2
	global_load_b64 v[24:25], v2, s[8:9] offset:28672 scale_offset
	s_wait_xcnt 0x0
	s_or_b32 exec_lo, exec_lo, s11
	s_delay_alu instid0(SALU_CYCLE_1)
	s_mov_b32 s11, exec_lo
	v_cmpx_gt_u32_e64 s7, v112
	s_cbranch_execnz .LBB1113_913
	s_branch .LBB1113_914
.LBB1113_962:                           ;   in Loop: Header=BB1113_12 Depth=1
	v_mov_b32_e32 v22, 0
	s_wait_dscnt 0x0
	s_barrier_signal -1
	s_barrier_wait -1
	s_and_saveexec_b32 s7, s0
	s_cbranch_execz .LBB1113_964
; %bb.963:                              ;   in Loop: Header=BB1113_12 Depth=1
	ds_load_2addr_b64 v[22:25], v115 offset1:1
	s_wait_dscnt 0x0
	v_add_nc_u32_e32 v22, v23, v22
	s_delay_alu instid0(VALU_DEP_1)
	v_add3_u32 v22, v22, v24, v25
.LBB1113_964:                           ;   in Loop: Header=BB1113_12 Depth=1
	s_or_b32 exec_lo, exec_lo, s7
	s_delay_alu instid0(VALU_DEP_1)
	v_mov_b32_dpp v23, v22 row_shr:1 row_mask:0xf bank_mask:0xf
	v_cmp_eq_u32_e64 s7, 0, v126
	v_cmp_lt_u32_e64 s8, 1, v126
	v_cmp_lt_u32_e64 s9, 3, v126
	;; [unrolled: 1-line block ×3, first 2 shown]
	v_cmp_eq_u32_e64 s11, 0, v128
	v_cndmask_b32_e64 v23, v23, 0, s7
	s_delay_alu instid0(VALU_DEP_1) | instskip(NEXT) | instid1(VALU_DEP_1)
	v_add_nc_u32_e32 v22, v23, v22
	v_mov_b32_dpp v23, v22 row_shr:2 row_mask:0xf bank_mask:0xf
	s_delay_alu instid0(VALU_DEP_1) | instskip(NEXT) | instid1(VALU_DEP_1)
	v_cndmask_b32_e64 v23, 0, v23, s8
	v_add_nc_u32_e32 v22, v22, v23
	s_delay_alu instid0(VALU_DEP_1) | instskip(NEXT) | instid1(VALU_DEP_1)
	v_mov_b32_dpp v23, v22 row_shr:4 row_mask:0xf bank_mask:0xf
	v_cndmask_b32_e64 v23, 0, v23, s9
	s_delay_alu instid0(VALU_DEP_1) | instskip(NEXT) | instid1(VALU_DEP_1)
	v_add_nc_u32_e32 v22, v22, v23
	v_mov_b32_dpp v23, v22 row_shr:8 row_mask:0xf bank_mask:0xf
	s_delay_alu instid0(VALU_DEP_1) | instskip(NEXT) | instid1(VALU_DEP_1)
	v_cndmask_b32_e64 v23, 0, v23, s10
	v_add_nc_u32_e32 v22, v22, v23
	ds_swizzle_b32 v23, v22 offset:swizzle(BROADCAST,32,15)
	s_wait_dscnt 0x0
	v_and_b32_e32 v23, v127, v23
	s_delay_alu instid0(VALU_DEP_1)
	v_add_nc_u32_e32 v22, v22, v23
	s_and_saveexec_b32 s12, s1
; %bb.965:                              ;   in Loop: Header=BB1113_12 Depth=1
	ds_store_b32 v116, v22
; %bb.966:                              ;   in Loop: Header=BB1113_12 Depth=1
	s_or_b32 exec_lo, exec_lo, s12
	s_wait_dscnt 0x0
	s_barrier_signal -1
	s_barrier_wait -1
	s_and_saveexec_b32 s12, s4
	s_cbranch_execz .LBB1113_968
; %bb.967:                              ;   in Loop: Header=BB1113_12 Depth=1
	ds_load_b32 v23, v117
	v_cmp_ne_u32_e32 vcc_lo, 0, v130
	s_wait_dscnt 0x0
	v_mov_b32_dpp v24, v23 row_shr:1 row_mask:0xf bank_mask:0xf
	s_delay_alu instid0(VALU_DEP_1) | instskip(SKIP_1) | instid1(VALU_DEP_2)
	v_cndmask_b32_e32 v24, 0, v24, vcc_lo
	v_cmp_lt_u32_e32 vcc_lo, 1, v130
	v_add_nc_u32_e32 v23, v24, v23
	s_delay_alu instid0(VALU_DEP_1) | instskip(NEXT) | instid1(VALU_DEP_1)
	v_mov_b32_dpp v24, v23 row_shr:2 row_mask:0xf bank_mask:0xf
	v_cndmask_b32_e32 v24, 0, v24, vcc_lo
	v_cmp_lt_u32_e32 vcc_lo, 3, v130
	s_delay_alu instid0(VALU_DEP_2) | instskip(NEXT) | instid1(VALU_DEP_1)
	v_add_nc_u32_e32 v23, v23, v24
	v_mov_b32_dpp v24, v23 row_shr:4 row_mask:0xf bank_mask:0xf
	s_delay_alu instid0(VALU_DEP_1) | instskip(NEXT) | instid1(VALU_DEP_1)
	v_cndmask_b32_e32 v24, 0, v24, vcc_lo
	v_add_nc_u32_e32 v23, v23, v24
	ds_store_b32 v117, v23
.LBB1113_968:                           ;   in Loop: Header=BB1113_12 Depth=1
	s_or_b32 exec_lo, exec_lo, s12
	v_mov_b32_e32 v23, 0
	s_wait_dscnt 0x0
	s_barrier_signal -1
	s_barrier_wait -1
	s_and_saveexec_b32 s12, s5
; %bb.969:                              ;   in Loop: Header=BB1113_12 Depth=1
	ds_load_b32 v23, v118
; %bb.970:                              ;   in Loop: Header=BB1113_12 Depth=1
	s_or_b32 exec_lo, exec_lo, s12
	v_cmp_gt_i32_e32 vcc_lo, 0, v131
	s_wait_dscnt 0x0
	s_barrier_signal -1
	s_barrier_wait -1
	v_cndmask_b32_e32 v24, v131, v124, vcc_lo
	s_delay_alu instid0(VALU_DEP_1)
	v_dual_add_nc_u32 v22, v23, v22 :: v_dual_lshlrev_b32 v147, 2, v24
	ds_bpermute_b32 v22, v147, v22
	s_and_saveexec_b32 s12, s0
	s_cbranch_execz .LBB1113_972
; %bb.971:                              ;   in Loop: Header=BB1113_12 Depth=1
	s_wait_dscnt 0x0
	v_cndmask_b32_e64 v22, v22, v23, s6
	s_delay_alu instid0(VALU_DEP_1)
	v_add_nc_u32_e32 v22, s56, v22
	ds_store_b32 v3, v22
.LBB1113_972:                           ;   in Loop: Header=BB1113_12 Depth=1
	s_or_b32 exec_lo, exec_lo, s12
	s_load_b64 s[12:13], s[52:53], 0x0
	v_add_nc_u64_e32 v[24:25], v[20:21], v[4:5]
	s_mov_b32 s59, s58
                                        ; implicit-def: $vgpr28_vgpr29
                                        ; implicit-def: $vgpr30_vgpr31
                                        ; implicit-def: $vgpr32_vgpr33
                                        ; implicit-def: $vgpr34_vgpr35
                                        ; implicit-def: $vgpr36_vgpr37
                                        ; implicit-def: $vgpr38_vgpr39
                                        ; implicit-def: $vgpr40_vgpr41
                                        ; implicit-def: $vgpr42_vgpr43
                                        ; implicit-def: $vgpr44_vgpr45
                                        ; implicit-def: $vgpr46_vgpr47
                                        ; implicit-def: $vgpr48_vgpr49
                                        ; implicit-def: $vgpr50_vgpr51
                                        ; implicit-def: $vgpr52_vgpr53
                                        ; implicit-def: $vgpr54_vgpr55
                                        ; implicit-def: $vgpr56_vgpr57
                                        ; implicit-def: $vgpr149
                                        ; implicit-def: $vgpr150
                                        ; implicit-def: $vgpr151
                                        ; implicit-def: $vgpr152
                                        ; implicit-def: $vgpr153
                                        ; implicit-def: $vgpr154
                                        ; implicit-def: $vgpr155
                                        ; implicit-def: $vgpr156
                                        ; implicit-def: $vgpr157
                                        ; implicit-def: $vgpr158
                                        ; implicit-def: $vgpr159
                                        ; implicit-def: $vgpr160
                                        ; implicit-def: $vgpr161
                                        ; implicit-def: $vgpr162
                                        ; implicit-def: $vgpr163
                                        ; implicit-def: $vgpr164
	s_wait_kmcnt 0x0
	s_cmp_lt_u32 s33, s12
	s_cselect_b32 s34, 12, 18
	s_cmp_lt_u32 s31, s13
	s_mov_b32 s13, s35
	s_cselect_b32 s12, 14, 20
	s_delay_alu instid0(SALU_CYCLE_1)
	s_add_nc_u64 s[12:13], s[52:53], s[12:13]
	s_load_u16 s14, s[12:13], 0x0
	s_wait_xcnt 0x0
	s_add_nc_u64 s[12:13], s[52:53], s[34:35]
	s_mov_b32 s34, s56
	s_load_u16 s12, s[12:13], 0x0
	s_wait_xcnt 0x0
	v_cmp_lt_u32_e64 s13, 1, v130
	s_wait_dscnt 0x0
	s_wait_kmcnt 0x0
	v_mad_u32_u24 v22, v119, s14, v121
	v_cmp_lt_u32_e64 s14, 3, v130
	s_delay_alu instid0(VALU_DEP_2) | instskip(SKIP_1) | instid1(VALU_DEP_2)
	v_mad_u32 v22, v22, s12, v2
	v_cmp_eq_u32_e64 s12, 0, v130
	v_lshrrev_b32_e32 v26, 3, v22
	v_add_nc_u64_e32 v[22:23], v[18:19], v[4:5]
	s_delay_alu instid0(VALU_DEP_2)
	v_and_b32_e32 v148, 0x1ffffffc, v26
                                        ; implicit-def: $vgpr26_vgpr27
	s_branch .LBB1113_974
.LBB1113_973:                           ;   in Loop: Header=BB1113_974 Depth=2
	s_or_b32 exec_lo, exec_lo, s15
	s_addk_co_i32 s59, 0xf000
	s_cmp_lt_u32 s60, s51
	s_mov_b32 s34, s60
	s_cbranch_scc0 .LBB1113_10
.LBB1113_974:                           ;   Parent Loop BB1113_12 Depth=1
                                        ; =>  This Inner Loop Header: Depth=2
	s_add_co_i32 s60, s34, 0x1000
	s_delay_alu instid0(SALU_CYCLE_1)
	s_cmp_gt_u32 s60, s51
	s_cbranch_scc1 .LBB1113_976
; %bb.975:                              ;   in Loop: Header=BB1113_974 Depth=2
	v_lshl_add_u64 v[66:67], s[34:35], 3, v[24:25]
	s_mov_b32 s15, -1
	s_clause 0xe
	global_load_b64 v[58:59], v[66:67], off
	global_load_b64 v[60:61], v[66:67], off offset:256
	global_load_b64 v[62:63], v[66:67], off offset:512
	;; [unrolled: 1-line block ×14, first 2 shown]
	s_movk_i32 s16, 0x1000
	s_cbranch_execz .LBB1113_977
	s_branch .LBB1113_1008
.LBB1113_976:                           ;   in Loop: Header=BB1113_974 Depth=2
	s_mov_b32 s15, 0
                                        ; implicit-def: $vgpr58_vgpr59
                                        ; implicit-def: $vgpr60_vgpr61
                                        ; implicit-def: $vgpr62_vgpr63
                                        ; implicit-def: $vgpr70_vgpr71
                                        ; implicit-def: $vgpr74_vgpr75
                                        ; implicit-def: $vgpr78_vgpr79
                                        ; implicit-def: $vgpr82_vgpr83
                                        ; implicit-def: $vgpr86_vgpr87
                                        ; implicit-def: $vgpr88_vgpr89
                                        ; implicit-def: $vgpr84_vgpr85
                                        ; implicit-def: $vgpr80_vgpr81
                                        ; implicit-def: $vgpr76_vgpr77
                                        ; implicit-def: $vgpr72_vgpr73
                                        ; implicit-def: $vgpr68_vgpr69
                                        ; implicit-def: $vgpr64_vgpr65
	s_movk_i32 s16, 0x1000
.LBB1113_977:                           ;   in Loop: Header=BB1113_974 Depth=2
	s_wait_loadcnt 0xd
	v_mov_b64_e32 v[60:61], -1
	v_mov_b64_e32 v[58:59], -1
	s_wait_xcnt 0x0
	v_lshl_add_u64 v[66:67], s[34:35], 3, v[24:25]
	s_mov_b32 s15, exec_lo
	v_cmpx_gt_u32_e64 s59, v129
	s_cbranch_execz .LBB1113_979
; %bb.978:                              ;   in Loop: Header=BB1113_974 Depth=2
	global_load_b64 v[58:59], v[66:67], off
.LBB1113_979:                           ;   in Loop: Header=BB1113_974 Depth=2
	s_wait_xcnt 0x0
	s_or_b32 exec_lo, exec_lo, s15
	s_delay_alu instid0(SALU_CYCLE_1)
	s_mov_b32 s15, exec_lo
	v_cmpx_gt_u32_e64 s59, v132
	s_cbranch_execz .LBB1113_981
; %bb.980:                              ;   in Loop: Header=BB1113_974 Depth=2
	global_load_b64 v[60:61], v[66:67], off offset:256
.LBB1113_981:                           ;   in Loop: Header=BB1113_974 Depth=2
	s_wait_xcnt 0x0
	s_or_b32 exec_lo, exec_lo, s15
	s_wait_loadcnt 0xb
	v_mov_b64_e32 v[70:71], -1
	v_mov_b64_e32 v[62:63], -1
	s_mov_b32 s15, exec_lo
	v_cmpx_gt_u32_e64 s59, v133
	s_cbranch_execz .LBB1113_983
; %bb.982:                              ;   in Loop: Header=BB1113_974 Depth=2
	global_load_b64 v[62:63], v[66:67], off offset:512
.LBB1113_983:                           ;   in Loop: Header=BB1113_974 Depth=2
	s_wait_xcnt 0x0
	s_or_b32 exec_lo, exec_lo, s15
	s_delay_alu instid0(SALU_CYCLE_1)
	s_mov_b32 s15, exec_lo
	v_cmpx_gt_u32_e64 s59, v134
	s_cbranch_execz .LBB1113_985
; %bb.984:                              ;   in Loop: Header=BB1113_974 Depth=2
	global_load_b64 v[70:71], v[66:67], off offset:768
.LBB1113_985:                           ;   in Loop: Header=BB1113_974 Depth=2
	s_wait_xcnt 0x0
	s_or_b32 exec_lo, exec_lo, s15
	s_wait_loadcnt 0x9
	v_mov_b64_e32 v[78:79], -1
	v_mov_b64_e32 v[74:75], -1
	s_mov_b32 s15, exec_lo
	v_cmpx_gt_u32_e64 s59, v135
	s_cbranch_execz .LBB1113_987
; %bb.986:                              ;   in Loop: Header=BB1113_974 Depth=2
	global_load_b64 v[74:75], v[66:67], off offset:1024
.LBB1113_987:                           ;   in Loop: Header=BB1113_974 Depth=2
	;; [unrolled: 20-line block ×5, first 2 shown]
	s_wait_xcnt 0x0
	s_or_b32 exec_lo, exec_lo, s15
	s_delay_alu instid0(SALU_CYCLE_1)
	s_mov_b32 s15, exec_lo
	v_cmpx_gt_u32_e64 s59, v142
	s_cbranch_execz .LBB1113_1001
; %bb.1000:                             ;   in Loop: Header=BB1113_974 Depth=2
	global_load_b64 v[76:77], v[66:67], off offset:2816
.LBB1113_1001:                          ;   in Loop: Header=BB1113_974 Depth=2
	s_wait_xcnt 0x0
	s_or_b32 exec_lo, exec_lo, s15
	s_wait_loadcnt 0x1
	v_mov_b64_e32 v[68:69], -1
	v_mov_b64_e32 v[72:73], -1
	s_mov_b32 s15, exec_lo
	v_cmpx_gt_u32_e64 s59, v143
	s_cbranch_execz .LBB1113_1003
; %bb.1002:                             ;   in Loop: Header=BB1113_974 Depth=2
	global_load_b64 v[72:73], v[66:67], off offset:3072
.LBB1113_1003:                          ;   in Loop: Header=BB1113_974 Depth=2
	s_wait_xcnt 0x0
	s_or_b32 exec_lo, exec_lo, s15
	s_delay_alu instid0(SALU_CYCLE_1)
	s_mov_b32 s15, exec_lo
	v_cmpx_gt_u32_e64 s59, v144
	s_cbranch_execz .LBB1113_1005
; %bb.1004:                             ;   in Loop: Header=BB1113_974 Depth=2
	global_load_b64 v[68:69], v[66:67], off offset:3328
.LBB1113_1005:                          ;   in Loop: Header=BB1113_974 Depth=2
	s_wait_xcnt 0x0
	s_or_b32 exec_lo, exec_lo, s15
	s_wait_loadcnt 0x0
	v_mov_b64_e32 v[64:65], -1
	s_mov_b32 s15, exec_lo
	v_cmpx_gt_u32_e64 s59, v145
	s_cbranch_execz .LBB1113_1007
; %bb.1006:                             ;   in Loop: Header=BB1113_974 Depth=2
	global_load_b64 v[64:65], v[66:67], off offset:3584
.LBB1113_1007:                          ;   in Loop: Header=BB1113_974 Depth=2
	s_wait_xcnt 0x0
	s_or_b32 exec_lo, exec_lo, s15
	v_cmp_gt_u32_e64 s15, s59, v146
	s_sub_co_i32 s16, s51, s34
.LBB1113_1008:                          ;   in Loop: Header=BB1113_974 Depth=2
	s_wait_xcnt 0x0
	v_mov_b64_e32 v[66:67], -1
	v_mov_b32_e32 v165, s59
	s_and_saveexec_b32 s17, s15
	s_cbranch_execz .LBB1113_1010
; %bb.1009:                             ;   in Loop: Header=BB1113_974 Depth=2
	v_lshl_add_u64 v[66:67], s[34:35], 3, v[24:25]
	v_mov_b32_e32 v165, s16
	global_load_b64 v[66:67], v[66:67], off offset:3840
.LBB1113_1010:                          ;   in Loop: Header=BB1113_974 Depth=2
	s_wait_xcnt 0x0
	s_or_b32 exec_lo, exec_lo, s17
	s_wait_loadcnt 0xe
	v_cmp_gt_i64_e32 vcc_lo, 0, v[58:59]
	v_add_nc_u32_e32 v168, 0x420, v120
	v_add_nc_u32_e32 v169, 0x428, v120
	;; [unrolled: 1-line block ×3, first 2 shown]
	v_cndmask_b32_e64 v91, 0x7fffffff, 0, vcc_lo
	s_delay_alu instid0(VALU_DEP_1) | instskip(NEXT) | instid1(VALU_DEP_1)
	v_dual_ashrrev_i32 v90, 31, v59 :: v_dual_bitop2_b32 v59, v91, v59 bitop3:0x14
	v_not_b32_e32 v90, v90
	s_delay_alu instid0(VALU_DEP_1) | instskip(NEXT) | instid1(VALU_DEP_1)
	v_xor_b32_e32 v58, v90, v58
	v_cmp_ne_u64_e32 vcc_lo, s[42:43], v[58:59]
	v_cndmask_b32_e32 v91, 0x7fffffff, v59, vcc_lo
	v_cndmask_b32_e32 v90, -1, v58, vcc_lo
	s_delay_alu instid0(VALU_DEP_1) | instskip(NEXT) | instid1(VALU_DEP_1)
	v_lshrrev_b64 v[90:91], s48, v[90:91]
	v_bitop3_b32 v91, v90, 1, s55 bitop3:0x80
	v_and_b32_e32 v92, s55, v90
	s_delay_alu instid0(VALU_DEP_2) | instskip(NEXT) | instid1(VALU_DEP_1)
	v_add_co_u32 v90, s15, v91, -1
	v_cndmask_b32_e64 v91, 0, 1, s15
	s_delay_alu instid0(VALU_DEP_3) | instskip(NEXT) | instid1(VALU_DEP_2)
	v_lshlrev_b32_e32 v93, 30, v92
	v_cmp_ne_u32_e32 vcc_lo, 0, v91
	s_delay_alu instid0(VALU_DEP_2) | instskip(SKIP_1) | instid1(VALU_DEP_2)
	v_not_b32_e32 v91, v93
	v_cmp_gt_i32_e64 s15, 0, v93
	v_dual_ashrrev_i32 v91, 31, v91 :: v_dual_lshlrev_b32 v94, 29, v92
	v_dual_lshlrev_b32 v95, 28, v92 :: v_dual_lshlrev_b32 v96, 27, v92
	v_dual_lshlrev_b32 v97, 26, v92 :: v_dual_lshlrev_b32 v166, 25, v92
	v_lshlrev_b32_e32 v167, 24, v92
	s_delay_alu instid0(VALU_DEP_4)
	v_cmp_gt_i32_e64 s16, 0, v94
	v_not_b32_e32 v93, v94
	v_not_b32_e32 v94, v95
	v_cmp_gt_i32_e64 s17, 0, v95
	v_cmp_gt_i32_e64 s18, 0, v96
	v_not_b32_e32 v95, v96
	v_not_b32_e32 v96, v97
	v_dual_ashrrev_i32 v93, 31, v93 :: v_dual_bitop2_b32 v90, vcc_lo, v90 bitop3:0x14
	v_dual_ashrrev_i32 v94, 31, v94 :: v_dual_bitop2_b32 v91, s15, v91 bitop3:0x14
	v_cmp_gt_i32_e64 s19, 0, v97
	v_cmp_gt_i32_e64 s20, 0, v166
	v_not_b32_e32 v97, v166
	v_not_b32_e32 v166, v167
	v_dual_ashrrev_i32 v95, 31, v95 :: v_dual_ashrrev_i32 v96, 31, v96
	v_xor_b32_e32 v93, s16, v93
	v_xor_b32_e32 v94, s17, v94
	v_bitop3_b32 v90, v90, v91, exec_lo bitop3:0x80
	v_cmp_gt_i32_e64 s21, 0, v167
	v_dual_ashrrev_i32 v91, 31, v97 :: v_dual_ashrrev_i32 v97, 31, v166
	v_xor_b32_e32 v95, s18, v95
	v_xor_b32_e32 v96, s19, v96
	v_bitop3_b32 v90, v90, v94, v93 bitop3:0x80
	s_delay_alu instid0(VALU_DEP_4) | instskip(SKIP_2) | instid1(VALU_DEP_4)
	v_xor_b32_e32 v91, s20, v91
	v_xor_b32_e32 v93, s21, v97
	v_add_nc_u32_e32 v167, 0x438, v120
	v_bitop3_b32 v90, v90, v96, v95 bitop3:0x80
	ds_store_2addr_b32 v167, v5, v5 offset1:1
	ds_store_2addr_b32 v168, v5, v5 offset1:1
	;; [unrolled: 1-line block ×4, first 2 shown]
	ds_store_b32 v120, v5 offset:1088
	v_bitop3_b32 v90, v90, v93, v91 bitop3:0x80
	v_mul_u32_u24_e32 v91, 36, v92
	s_wait_loadcnt_dscnt 0x0
	s_barrier_signal -1
	s_barrier_wait -1
	v_mbcnt_lo_u32_b32 v166, v90, 0
	v_cmp_ne_u32_e64 s15, 0, v90
	v_add_nc_u32_e32 v171, v148, v91
	s_delay_alu instid0(VALU_DEP_3) | instskip(SKIP_1) | instid1(SALU_CYCLE_1)
	v_cmp_eq_u32_e32 vcc_lo, 0, v166
	; wave barrier
	s_and_b32 s16, s15, vcc_lo
	s_and_saveexec_b32 s15, s16
; %bb.1011:                             ;   in Loop: Header=BB1113_974 Depth=2
	v_bcnt_u32_b32 v90, v90, 0
	ds_store_b32 v171, v90 offset:1056
; %bb.1012:                             ;   in Loop: Header=BB1113_974 Depth=2
	s_or_b32 exec_lo, exec_lo, s15
	v_cmp_gt_i64_e32 vcc_lo, 0, v[60:61]
	; wave barrier
	v_cndmask_b32_e64 v91, 0x7fffffff, 0, vcc_lo
	s_delay_alu instid0(VALU_DEP_1) | instskip(NEXT) | instid1(VALU_DEP_1)
	v_dual_ashrrev_i32 v90, 31, v61 :: v_dual_bitop2_b32 v61, v91, v61 bitop3:0x14
	v_not_b32_e32 v90, v90
	s_delay_alu instid0(VALU_DEP_1) | instskip(NEXT) | instid1(VALU_DEP_1)
	v_xor_b32_e32 v60, v90, v60
	v_cmp_ne_u64_e32 vcc_lo, s[42:43], v[60:61]
	v_cndmask_b32_e32 v91, 0x7fffffff, v61, vcc_lo
	v_cndmask_b32_e32 v90, -1, v60, vcc_lo
	s_delay_alu instid0(VALU_DEP_1) | instskip(NEXT) | instid1(VALU_DEP_1)
	v_lshrrev_b64 v[90:91], s48, v[90:91]
	v_bitop3_b32 v91, v90, 1, s55 bitop3:0x80
	v_and_b32_e32 v92, s55, v90
	s_delay_alu instid0(VALU_DEP_2) | instskip(NEXT) | instid1(VALU_DEP_1)
	v_add_co_u32 v90, s15, v91, -1
	v_cndmask_b32_e64 v91, 0, 1, s15
	s_delay_alu instid0(VALU_DEP_3) | instskip(SKIP_1) | instid1(VALU_DEP_3)
	v_dual_lshlrev_b32 v93, 30, v92 :: v_dual_lshlrev_b32 v95, 28, v92
	v_dual_lshlrev_b32 v94, 29, v92 :: v_dual_lshlrev_b32 v96, 27, v92
	v_cmp_ne_u32_e32 vcc_lo, 0, v91
	s_delay_alu instid0(VALU_DEP_3) | instskip(SKIP_1) | instid1(VALU_DEP_4)
	v_cmp_gt_i32_e64 s15, 0, v93
	v_not_b32_e32 v91, v93
	v_cmp_gt_i32_e64 s16, 0, v94
	v_not_b32_e32 v93, v94
	;; [unrolled: 2-line block ×3, first 2 shown]
	v_not_b32_e32 v95, v96
	s_delay_alu instid0(VALU_DEP_4) | instskip(NEXT) | instid1(VALU_DEP_2)
	v_dual_ashrrev_i32 v91, 31, v91 :: v_dual_ashrrev_i32 v93, 31, v93
	v_dual_ashrrev_i32 v94, 31, v94 :: v_dual_ashrrev_i32 v95, 31, v95
	v_dual_lshlrev_b32 v97, 26, v92 :: v_dual_lshlrev_b32 v172, 25, v92
	v_lshlrev_b32_e32 v173, 24, v92
	v_cmp_gt_i32_e64 s18, 0, v96
	v_xor_b32_e32 v91, s15, v91
	s_delay_alu instid0(VALU_DEP_4)
	v_not_b32_e32 v96, v97
	v_xor_b32_e32 v90, vcc_lo, v90
	v_cmp_gt_i32_e64 s19, 0, v97
	v_cmp_gt_i32_e64 s20, 0, v172
	v_not_b32_e32 v97, v172
	v_not_b32_e32 v172, v173
	v_dual_ashrrev_i32 v96, 31, v96 :: v_dual_bitop2_b32 v93, s16, v93 bitop3:0x14
	v_xor_b32_e32 v94, s17, v94
	v_bitop3_b32 v90, v90, v91, exec_lo bitop3:0x80
	v_cmp_gt_i32_e64 s21, 0, v173
	v_dual_ashrrev_i32 v91, 31, v97 :: v_dual_ashrrev_i32 v97, 31, v172
	v_xor_b32_e32 v95, s18, v95
	v_xor_b32_e32 v96, s19, v96
	v_bitop3_b32 v90, v90, v94, v93 bitop3:0x80
	v_mad_u32_u24 v93, v92, 36, v148
	v_xor_b32_e32 v91, s20, v91
	v_xor_b32_e32 v94, s21, v97
	s_delay_alu instid0(VALU_DEP_4) | instskip(SKIP_3) | instid1(VALU_DEP_2)
	v_bitop3_b32 v90, v90, v96, v95 bitop3:0x80
	ds_load_b32 v172, v93 offset:1056
	; wave barrier
	v_bitop3_b32 v90, v90, v94, v91 bitop3:0x80
	v_mul_u32_u24_e32 v91, 36, v92
	v_mbcnt_lo_u32_b32 v173, v90, 0
	v_cmp_ne_u32_e64 s15, 0, v90
	s_delay_alu instid0(VALU_DEP_3) | instskip(NEXT) | instid1(VALU_DEP_3)
	v_add_nc_u32_e32 v174, v148, v91
	v_cmp_eq_u32_e32 vcc_lo, 0, v173
	s_and_b32 s16, s15, vcc_lo
	s_delay_alu instid0(SALU_CYCLE_1)
	s_and_saveexec_b32 s15, s16
	s_cbranch_execz .LBB1113_1014
; %bb.1013:                             ;   in Loop: Header=BB1113_974 Depth=2
	s_wait_dscnt 0x0
	v_bcnt_u32_b32 v90, v90, v172
	ds_store_b32 v174, v90 offset:1056
.LBB1113_1014:                          ;   in Loop: Header=BB1113_974 Depth=2
	s_or_b32 exec_lo, exec_lo, s15
	v_cmp_gt_i64_e32 vcc_lo, 0, v[62:63]
	; wave barrier
	v_cndmask_b32_e64 v91, 0x7fffffff, 0, vcc_lo
	s_delay_alu instid0(VALU_DEP_1) | instskip(NEXT) | instid1(VALU_DEP_1)
	v_dual_ashrrev_i32 v90, 31, v63 :: v_dual_bitop2_b32 v63, v91, v63 bitop3:0x14
	v_not_b32_e32 v90, v90
	s_delay_alu instid0(VALU_DEP_1) | instskip(NEXT) | instid1(VALU_DEP_1)
	v_xor_b32_e32 v62, v90, v62
	v_cmp_ne_u64_e32 vcc_lo, s[42:43], v[62:63]
	v_cndmask_b32_e32 v91, 0x7fffffff, v63, vcc_lo
	v_cndmask_b32_e32 v90, -1, v62, vcc_lo
	s_delay_alu instid0(VALU_DEP_1) | instskip(NEXT) | instid1(VALU_DEP_1)
	v_lshrrev_b64 v[90:91], s48, v[90:91]
	v_bitop3_b32 v91, v90, 1, s55 bitop3:0x80
	v_and_b32_e32 v92, s55, v90
	s_delay_alu instid0(VALU_DEP_2) | instskip(NEXT) | instid1(VALU_DEP_1)
	v_add_co_u32 v90, s15, v91, -1
	v_cndmask_b32_e64 v91, 0, 1, s15
	s_delay_alu instid0(VALU_DEP_3) | instskip(NEXT) | instid1(VALU_DEP_2)
	v_lshlrev_b32_e32 v93, 30, v92
	v_cmp_ne_u32_e32 vcc_lo, 0, v91
	s_delay_alu instid0(VALU_DEP_2) | instskip(SKIP_1) | instid1(VALU_DEP_2)
	v_not_b32_e32 v91, v93
	v_cmp_gt_i32_e64 s15, 0, v93
	v_dual_ashrrev_i32 v91, 31, v91 :: v_dual_lshlrev_b32 v94, 29, v92
	v_dual_lshlrev_b32 v95, 28, v92 :: v_dual_lshlrev_b32 v96, 27, v92
	v_dual_lshlrev_b32 v97, 26, v92 :: v_dual_lshlrev_b32 v175, 25, v92
	v_lshlrev_b32_e32 v176, 24, v92
	s_delay_alu instid0(VALU_DEP_4)
	v_cmp_gt_i32_e64 s16, 0, v94
	v_not_b32_e32 v93, v94
	v_not_b32_e32 v94, v95
	v_cmp_gt_i32_e64 s17, 0, v95
	v_cmp_gt_i32_e64 s18, 0, v96
	v_not_b32_e32 v95, v96
	v_not_b32_e32 v96, v97
	v_dual_ashrrev_i32 v93, 31, v93 :: v_dual_bitop2_b32 v90, vcc_lo, v90 bitop3:0x14
	v_dual_ashrrev_i32 v94, 31, v94 :: v_dual_bitop2_b32 v91, s15, v91 bitop3:0x14
	v_cmp_gt_i32_e64 s19, 0, v97
	v_cmp_gt_i32_e64 s20, 0, v175
	v_not_b32_e32 v97, v175
	v_not_b32_e32 v175, v176
	v_dual_ashrrev_i32 v95, 31, v95 :: v_dual_ashrrev_i32 v96, 31, v96
	v_xor_b32_e32 v93, s16, v93
	v_xor_b32_e32 v94, s17, v94
	v_bitop3_b32 v90, v90, v91, exec_lo bitop3:0x80
	v_cmp_gt_i32_e64 s21, 0, v176
	v_dual_ashrrev_i32 v91, 31, v97 :: v_dual_ashrrev_i32 v97, 31, v175
	v_xor_b32_e32 v95, s18, v95
	v_xor_b32_e32 v96, s19, v96
	v_bitop3_b32 v90, v90, v94, v93 bitop3:0x80
	v_mad_u32_u24 v93, v92, 36, v148
	v_xor_b32_e32 v91, s20, v91
	v_xor_b32_e32 v94, s21, v97
	s_delay_alu instid0(VALU_DEP_4) | instskip(SKIP_3) | instid1(VALU_DEP_2)
	v_bitop3_b32 v90, v90, v96, v95 bitop3:0x80
	ds_load_b32 v175, v93 offset:1056
	; wave barrier
	v_bitop3_b32 v90, v90, v94, v91 bitop3:0x80
	v_mul_u32_u24_e32 v91, 36, v92
	v_mbcnt_lo_u32_b32 v176, v90, 0
	v_cmp_ne_u32_e64 s15, 0, v90
	s_delay_alu instid0(VALU_DEP_3) | instskip(NEXT) | instid1(VALU_DEP_3)
	v_add_nc_u32_e32 v177, v148, v91
	v_cmp_eq_u32_e32 vcc_lo, 0, v176
	s_and_b32 s16, s15, vcc_lo
	s_delay_alu instid0(SALU_CYCLE_1)
	s_and_saveexec_b32 s15, s16
	s_cbranch_execz .LBB1113_1016
; %bb.1015:                             ;   in Loop: Header=BB1113_974 Depth=2
	s_wait_dscnt 0x0
	v_bcnt_u32_b32 v90, v90, v175
	ds_store_b32 v177, v90 offset:1056
.LBB1113_1016:                          ;   in Loop: Header=BB1113_974 Depth=2
	s_or_b32 exec_lo, exec_lo, s15
	v_cmp_gt_i64_e32 vcc_lo, 0, v[70:71]
	; wave barrier
	v_cndmask_b32_e64 v91, 0x7fffffff, 0, vcc_lo
	s_delay_alu instid0(VALU_DEP_1) | instskip(NEXT) | instid1(VALU_DEP_1)
	v_dual_ashrrev_i32 v90, 31, v71 :: v_dual_bitop2_b32 v71, v91, v71 bitop3:0x14
	v_not_b32_e32 v90, v90
	s_delay_alu instid0(VALU_DEP_1) | instskip(NEXT) | instid1(VALU_DEP_1)
	v_xor_b32_e32 v70, v90, v70
	v_cmp_ne_u64_e32 vcc_lo, s[42:43], v[70:71]
	v_cndmask_b32_e32 v91, 0x7fffffff, v71, vcc_lo
	v_cndmask_b32_e32 v90, -1, v70, vcc_lo
	s_delay_alu instid0(VALU_DEP_1) | instskip(NEXT) | instid1(VALU_DEP_1)
	v_lshrrev_b64 v[90:91], s48, v[90:91]
	v_bitop3_b32 v91, v90, 1, s55 bitop3:0x80
	v_and_b32_e32 v92, s55, v90
	s_delay_alu instid0(VALU_DEP_2) | instskip(NEXT) | instid1(VALU_DEP_1)
	v_add_co_u32 v90, s15, v91, -1
	v_cndmask_b32_e64 v91, 0, 1, s15
	s_delay_alu instid0(VALU_DEP_3) | instskip(NEXT) | instid1(VALU_DEP_2)
	v_lshlrev_b32_e32 v93, 30, v92
	v_cmp_ne_u32_e32 vcc_lo, 0, v91
	s_delay_alu instid0(VALU_DEP_2) | instskip(SKIP_1) | instid1(VALU_DEP_2)
	v_not_b32_e32 v91, v93
	v_cmp_gt_i32_e64 s15, 0, v93
	v_dual_ashrrev_i32 v91, 31, v91 :: v_dual_lshlrev_b32 v94, 29, v92
	v_dual_lshlrev_b32 v95, 28, v92 :: v_dual_lshlrev_b32 v96, 27, v92
	v_dual_lshlrev_b32 v97, 26, v92 :: v_dual_lshlrev_b32 v178, 25, v92
	v_lshlrev_b32_e32 v179, 24, v92
	s_delay_alu instid0(VALU_DEP_4)
	v_cmp_gt_i32_e64 s16, 0, v94
	v_not_b32_e32 v93, v94
	v_not_b32_e32 v94, v95
	v_cmp_gt_i32_e64 s17, 0, v95
	v_cmp_gt_i32_e64 s18, 0, v96
	v_not_b32_e32 v95, v96
	v_not_b32_e32 v96, v97
	v_dual_ashrrev_i32 v93, 31, v93 :: v_dual_bitop2_b32 v90, vcc_lo, v90 bitop3:0x14
	v_dual_ashrrev_i32 v94, 31, v94 :: v_dual_bitop2_b32 v91, s15, v91 bitop3:0x14
	v_cmp_gt_i32_e64 s19, 0, v97
	v_cmp_gt_i32_e64 s20, 0, v178
	v_not_b32_e32 v97, v178
	v_not_b32_e32 v178, v179
	v_dual_ashrrev_i32 v95, 31, v95 :: v_dual_ashrrev_i32 v96, 31, v96
	v_xor_b32_e32 v93, s16, v93
	v_xor_b32_e32 v94, s17, v94
	v_bitop3_b32 v90, v90, v91, exec_lo bitop3:0x80
	v_cmp_gt_i32_e64 s21, 0, v179
	v_dual_ashrrev_i32 v91, 31, v97 :: v_dual_ashrrev_i32 v97, 31, v178
	v_xor_b32_e32 v95, s18, v95
	v_xor_b32_e32 v96, s19, v96
	v_bitop3_b32 v90, v90, v94, v93 bitop3:0x80
	v_mad_u32_u24 v93, v92, 36, v148
	v_xor_b32_e32 v91, s20, v91
	v_xor_b32_e32 v94, s21, v97
	s_delay_alu instid0(VALU_DEP_4) | instskip(SKIP_3) | instid1(VALU_DEP_2)
	v_bitop3_b32 v90, v90, v96, v95 bitop3:0x80
	ds_load_b32 v178, v93 offset:1056
	; wave barrier
	v_bitop3_b32 v90, v90, v94, v91 bitop3:0x80
	v_mul_u32_u24_e32 v91, 36, v92
	v_mbcnt_lo_u32_b32 v179, v90, 0
	v_cmp_ne_u32_e64 s15, 0, v90
	s_delay_alu instid0(VALU_DEP_3) | instskip(NEXT) | instid1(VALU_DEP_3)
	v_add_nc_u32_e32 v180, v148, v91
	v_cmp_eq_u32_e32 vcc_lo, 0, v179
	s_and_b32 s16, s15, vcc_lo
	s_delay_alu instid0(SALU_CYCLE_1)
	s_and_saveexec_b32 s15, s16
	s_cbranch_execz .LBB1113_1018
; %bb.1017:                             ;   in Loop: Header=BB1113_974 Depth=2
	s_wait_dscnt 0x0
	v_bcnt_u32_b32 v90, v90, v178
	ds_store_b32 v180, v90 offset:1056
.LBB1113_1018:                          ;   in Loop: Header=BB1113_974 Depth=2
	s_or_b32 exec_lo, exec_lo, s15
	v_cmp_gt_i64_e32 vcc_lo, 0, v[74:75]
	; wave barrier
	v_cndmask_b32_e64 v91, 0x7fffffff, 0, vcc_lo
	s_delay_alu instid0(VALU_DEP_1) | instskip(NEXT) | instid1(VALU_DEP_1)
	v_dual_ashrrev_i32 v90, 31, v75 :: v_dual_bitop2_b32 v75, v91, v75 bitop3:0x14
	v_not_b32_e32 v90, v90
	s_delay_alu instid0(VALU_DEP_1) | instskip(NEXT) | instid1(VALU_DEP_1)
	v_xor_b32_e32 v74, v90, v74
	v_cmp_ne_u64_e32 vcc_lo, s[42:43], v[74:75]
	v_cndmask_b32_e32 v91, 0x7fffffff, v75, vcc_lo
	v_cndmask_b32_e32 v90, -1, v74, vcc_lo
	s_delay_alu instid0(VALU_DEP_1) | instskip(NEXT) | instid1(VALU_DEP_1)
	v_lshrrev_b64 v[90:91], s48, v[90:91]
	v_bitop3_b32 v91, v90, 1, s55 bitop3:0x80
	v_and_b32_e32 v92, s55, v90
	s_delay_alu instid0(VALU_DEP_2) | instskip(NEXT) | instid1(VALU_DEP_1)
	v_add_co_u32 v90, s15, v91, -1
	v_cndmask_b32_e64 v91, 0, 1, s15
	s_delay_alu instid0(VALU_DEP_3) | instskip(NEXT) | instid1(VALU_DEP_2)
	v_lshlrev_b32_e32 v93, 30, v92
	v_cmp_ne_u32_e32 vcc_lo, 0, v91
	s_delay_alu instid0(VALU_DEP_2) | instskip(SKIP_1) | instid1(VALU_DEP_2)
	v_not_b32_e32 v91, v93
	v_cmp_gt_i32_e64 s15, 0, v93
	v_dual_ashrrev_i32 v91, 31, v91 :: v_dual_lshlrev_b32 v94, 29, v92
	v_dual_lshlrev_b32 v95, 28, v92 :: v_dual_lshlrev_b32 v96, 27, v92
	v_dual_lshlrev_b32 v97, 26, v92 :: v_dual_lshlrev_b32 v181, 25, v92
	v_lshlrev_b32_e32 v182, 24, v92
	s_delay_alu instid0(VALU_DEP_4)
	v_cmp_gt_i32_e64 s16, 0, v94
	v_not_b32_e32 v93, v94
	v_not_b32_e32 v94, v95
	v_cmp_gt_i32_e64 s17, 0, v95
	v_cmp_gt_i32_e64 s18, 0, v96
	v_not_b32_e32 v95, v96
	v_not_b32_e32 v96, v97
	v_dual_ashrrev_i32 v93, 31, v93 :: v_dual_bitop2_b32 v90, vcc_lo, v90 bitop3:0x14
	v_dual_ashrrev_i32 v94, 31, v94 :: v_dual_bitop2_b32 v91, s15, v91 bitop3:0x14
	v_cmp_gt_i32_e64 s19, 0, v97
	v_cmp_gt_i32_e64 s20, 0, v181
	v_not_b32_e32 v97, v181
	v_not_b32_e32 v181, v182
	v_dual_ashrrev_i32 v95, 31, v95 :: v_dual_ashrrev_i32 v96, 31, v96
	v_xor_b32_e32 v93, s16, v93
	v_xor_b32_e32 v94, s17, v94
	v_bitop3_b32 v90, v90, v91, exec_lo bitop3:0x80
	v_cmp_gt_i32_e64 s21, 0, v182
	v_ashrrev_i32_e32 v91, 31, v97
	v_dual_ashrrev_i32 v97, 31, v181 :: v_dual_bitop2_b32 v95, s18, v95 bitop3:0x14
	v_xor_b32_e32 v96, s19, v96
	v_bitop3_b32 v90, v90, v94, v93 bitop3:0x80
	v_mad_u32_u24 v93, v92, 36, v148
	v_xor_b32_e32 v91, s20, v91
	v_xor_b32_e32 v94, s21, v97
	s_delay_alu instid0(VALU_DEP_4) | instskip(SKIP_3) | instid1(VALU_DEP_2)
	v_bitop3_b32 v90, v90, v96, v95 bitop3:0x80
	ds_load_b32 v181, v93 offset:1056
	; wave barrier
	v_bitop3_b32 v90, v90, v94, v91 bitop3:0x80
	v_mul_u32_u24_e32 v91, 36, v92
	v_mbcnt_lo_u32_b32 v182, v90, 0
	v_cmp_ne_u32_e64 s15, 0, v90
	s_delay_alu instid0(VALU_DEP_3) | instskip(NEXT) | instid1(VALU_DEP_3)
	v_add_nc_u32_e32 v183, v148, v91
	v_cmp_eq_u32_e32 vcc_lo, 0, v182
	s_and_b32 s16, s15, vcc_lo
	s_delay_alu instid0(SALU_CYCLE_1)
	s_and_saveexec_b32 s15, s16
	s_cbranch_execz .LBB1113_1020
; %bb.1019:                             ;   in Loop: Header=BB1113_974 Depth=2
	s_wait_dscnt 0x0
	v_bcnt_u32_b32 v90, v90, v181
	ds_store_b32 v183, v90 offset:1056
.LBB1113_1020:                          ;   in Loop: Header=BB1113_974 Depth=2
	s_or_b32 exec_lo, exec_lo, s15
	v_cmp_gt_i64_e32 vcc_lo, 0, v[78:79]
	; wave barrier
	v_cndmask_b32_e64 v91, 0x7fffffff, 0, vcc_lo
	s_delay_alu instid0(VALU_DEP_1) | instskip(NEXT) | instid1(VALU_DEP_1)
	v_dual_ashrrev_i32 v90, 31, v79 :: v_dual_bitop2_b32 v79, v91, v79 bitop3:0x14
	v_not_b32_e32 v90, v90
	s_delay_alu instid0(VALU_DEP_1) | instskip(NEXT) | instid1(VALU_DEP_1)
	v_xor_b32_e32 v78, v90, v78
	v_cmp_ne_u64_e32 vcc_lo, s[42:43], v[78:79]
	v_cndmask_b32_e32 v91, 0x7fffffff, v79, vcc_lo
	v_cndmask_b32_e32 v90, -1, v78, vcc_lo
	s_delay_alu instid0(VALU_DEP_1) | instskip(NEXT) | instid1(VALU_DEP_1)
	v_lshrrev_b64 v[90:91], s48, v[90:91]
	v_bitop3_b32 v91, v90, 1, s55 bitop3:0x80
	v_and_b32_e32 v92, s55, v90
	s_delay_alu instid0(VALU_DEP_2) | instskip(NEXT) | instid1(VALU_DEP_1)
	v_add_co_u32 v90, s15, v91, -1
	v_cndmask_b32_e64 v91, 0, 1, s15
	s_delay_alu instid0(VALU_DEP_3) | instskip(NEXT) | instid1(VALU_DEP_2)
	v_lshlrev_b32_e32 v93, 30, v92
	v_cmp_ne_u32_e32 vcc_lo, 0, v91
	s_delay_alu instid0(VALU_DEP_2) | instskip(SKIP_1) | instid1(VALU_DEP_2)
	v_not_b32_e32 v91, v93
	v_cmp_gt_i32_e64 s15, 0, v93
	v_dual_ashrrev_i32 v91, 31, v91 :: v_dual_lshlrev_b32 v94, 29, v92
	v_dual_lshlrev_b32 v95, 28, v92 :: v_dual_lshlrev_b32 v96, 27, v92
	v_dual_lshlrev_b32 v97, 26, v92 :: v_dual_lshlrev_b32 v184, 25, v92
	v_lshlrev_b32_e32 v185, 24, v92
	s_delay_alu instid0(VALU_DEP_4)
	v_cmp_gt_i32_e64 s16, 0, v94
	v_not_b32_e32 v93, v94
	v_not_b32_e32 v94, v95
	v_cmp_gt_i32_e64 s17, 0, v95
	v_cmp_gt_i32_e64 s18, 0, v96
	v_not_b32_e32 v95, v96
	v_not_b32_e32 v96, v97
	v_dual_ashrrev_i32 v93, 31, v93 :: v_dual_bitop2_b32 v90, vcc_lo, v90 bitop3:0x14
	v_dual_ashrrev_i32 v94, 31, v94 :: v_dual_bitop2_b32 v91, s15, v91 bitop3:0x14
	v_cmp_gt_i32_e64 s19, 0, v97
	v_cmp_gt_i32_e64 s20, 0, v184
	v_not_b32_e32 v97, v184
	v_not_b32_e32 v184, v185
	v_dual_ashrrev_i32 v95, 31, v95 :: v_dual_ashrrev_i32 v96, 31, v96
	v_xor_b32_e32 v93, s16, v93
	v_xor_b32_e32 v94, s17, v94
	v_bitop3_b32 v90, v90, v91, exec_lo bitop3:0x80
	v_cmp_gt_i32_e64 s21, 0, v185
	v_dual_ashrrev_i32 v91, 31, v97 :: v_dual_ashrrev_i32 v97, 31, v184
	v_xor_b32_e32 v95, s18, v95
	v_xor_b32_e32 v96, s19, v96
	v_bitop3_b32 v90, v90, v94, v93 bitop3:0x80
	v_mad_u32_u24 v93, v92, 36, v148
	v_xor_b32_e32 v91, s20, v91
	v_xor_b32_e32 v94, s21, v97
	s_delay_alu instid0(VALU_DEP_4) | instskip(SKIP_3) | instid1(VALU_DEP_2)
	v_bitop3_b32 v90, v90, v96, v95 bitop3:0x80
	ds_load_b32 v184, v93 offset:1056
	; wave barrier
	v_bitop3_b32 v90, v90, v94, v91 bitop3:0x80
	v_mul_u32_u24_e32 v91, 36, v92
	v_mbcnt_lo_u32_b32 v185, v90, 0
	v_cmp_ne_u32_e64 s15, 0, v90
	s_delay_alu instid0(VALU_DEP_3) | instskip(NEXT) | instid1(VALU_DEP_3)
	v_add_nc_u32_e32 v186, v148, v91
	v_cmp_eq_u32_e32 vcc_lo, 0, v185
	s_and_b32 s16, s15, vcc_lo
	s_delay_alu instid0(SALU_CYCLE_1)
	s_and_saveexec_b32 s15, s16
	s_cbranch_execz .LBB1113_1022
; %bb.1021:                             ;   in Loop: Header=BB1113_974 Depth=2
	s_wait_dscnt 0x0
	v_bcnt_u32_b32 v90, v90, v184
	ds_store_b32 v186, v90 offset:1056
.LBB1113_1022:                          ;   in Loop: Header=BB1113_974 Depth=2
	s_or_b32 exec_lo, exec_lo, s15
	v_cmp_gt_i64_e32 vcc_lo, 0, v[82:83]
	; wave barrier
	v_cndmask_b32_e64 v91, 0x7fffffff, 0, vcc_lo
	s_delay_alu instid0(VALU_DEP_1) | instskip(NEXT) | instid1(VALU_DEP_1)
	v_dual_ashrrev_i32 v90, 31, v83 :: v_dual_bitop2_b32 v83, v91, v83 bitop3:0x14
	v_not_b32_e32 v90, v90
	s_delay_alu instid0(VALU_DEP_1) | instskip(NEXT) | instid1(VALU_DEP_1)
	v_xor_b32_e32 v82, v90, v82
	v_cmp_ne_u64_e32 vcc_lo, s[42:43], v[82:83]
	v_cndmask_b32_e32 v91, 0x7fffffff, v83, vcc_lo
	v_cndmask_b32_e32 v90, -1, v82, vcc_lo
	s_delay_alu instid0(VALU_DEP_1) | instskip(NEXT) | instid1(VALU_DEP_1)
	v_lshrrev_b64 v[90:91], s48, v[90:91]
	v_bitop3_b32 v91, v90, 1, s55 bitop3:0x80
	v_and_b32_e32 v92, s55, v90
	s_delay_alu instid0(VALU_DEP_2) | instskip(NEXT) | instid1(VALU_DEP_1)
	v_add_co_u32 v90, s15, v91, -1
	v_cndmask_b32_e64 v91, 0, 1, s15
	s_delay_alu instid0(VALU_DEP_3) | instskip(NEXT) | instid1(VALU_DEP_2)
	v_lshlrev_b32_e32 v93, 30, v92
	v_cmp_ne_u32_e32 vcc_lo, 0, v91
	s_delay_alu instid0(VALU_DEP_2) | instskip(SKIP_1) | instid1(VALU_DEP_2)
	v_not_b32_e32 v91, v93
	v_cmp_gt_i32_e64 s15, 0, v93
	v_dual_ashrrev_i32 v91, 31, v91 :: v_dual_lshlrev_b32 v94, 29, v92
	v_dual_lshlrev_b32 v95, 28, v92 :: v_dual_lshlrev_b32 v96, 27, v92
	v_dual_lshlrev_b32 v97, 26, v92 :: v_dual_lshlrev_b32 v187, 25, v92
	v_lshlrev_b32_e32 v188, 24, v92
	s_delay_alu instid0(VALU_DEP_4)
	v_cmp_gt_i32_e64 s16, 0, v94
	v_not_b32_e32 v93, v94
	v_not_b32_e32 v94, v95
	v_cmp_gt_i32_e64 s17, 0, v95
	v_cmp_gt_i32_e64 s18, 0, v96
	v_not_b32_e32 v95, v96
	v_not_b32_e32 v96, v97
	v_dual_ashrrev_i32 v93, 31, v93 :: v_dual_bitop2_b32 v90, vcc_lo, v90 bitop3:0x14
	v_dual_ashrrev_i32 v94, 31, v94 :: v_dual_bitop2_b32 v91, s15, v91 bitop3:0x14
	v_cmp_gt_i32_e64 s19, 0, v97
	v_cmp_gt_i32_e64 s20, 0, v187
	v_not_b32_e32 v97, v187
	v_not_b32_e32 v187, v188
	v_dual_ashrrev_i32 v95, 31, v95 :: v_dual_ashrrev_i32 v96, 31, v96
	v_xor_b32_e32 v93, s16, v93
	v_xor_b32_e32 v94, s17, v94
	v_bitop3_b32 v90, v90, v91, exec_lo bitop3:0x80
	v_cmp_gt_i32_e64 s21, 0, v188
	v_dual_ashrrev_i32 v91, 31, v97 :: v_dual_ashrrev_i32 v97, 31, v187
	v_xor_b32_e32 v95, s18, v95
	v_xor_b32_e32 v96, s19, v96
	v_bitop3_b32 v90, v90, v94, v93 bitop3:0x80
	v_mad_u32_u24 v93, v92, 36, v148
	v_xor_b32_e32 v91, s20, v91
	v_xor_b32_e32 v94, s21, v97
	s_delay_alu instid0(VALU_DEP_4) | instskip(SKIP_3) | instid1(VALU_DEP_2)
	v_bitop3_b32 v90, v90, v96, v95 bitop3:0x80
	ds_load_b32 v187, v93 offset:1056
	; wave barrier
	v_bitop3_b32 v90, v90, v94, v91 bitop3:0x80
	v_mul_u32_u24_e32 v91, 36, v92
	v_mbcnt_lo_u32_b32 v188, v90, 0
	v_cmp_ne_u32_e64 s15, 0, v90
	s_delay_alu instid0(VALU_DEP_3) | instskip(NEXT) | instid1(VALU_DEP_3)
	v_add_nc_u32_e32 v189, v148, v91
	v_cmp_eq_u32_e32 vcc_lo, 0, v188
	s_and_b32 s16, s15, vcc_lo
	s_delay_alu instid0(SALU_CYCLE_1)
	s_and_saveexec_b32 s15, s16
	s_cbranch_execz .LBB1113_1024
; %bb.1023:                             ;   in Loop: Header=BB1113_974 Depth=2
	s_wait_dscnt 0x0
	v_bcnt_u32_b32 v90, v90, v187
	ds_store_b32 v189, v90 offset:1056
.LBB1113_1024:                          ;   in Loop: Header=BB1113_974 Depth=2
	s_or_b32 exec_lo, exec_lo, s15
	v_cmp_gt_i64_e32 vcc_lo, 0, v[86:87]
	; wave barrier
	v_cndmask_b32_e64 v91, 0x7fffffff, 0, vcc_lo
	s_delay_alu instid0(VALU_DEP_1) | instskip(NEXT) | instid1(VALU_DEP_1)
	v_dual_ashrrev_i32 v90, 31, v87 :: v_dual_bitop2_b32 v87, v91, v87 bitop3:0x14
	v_not_b32_e32 v90, v90
	s_delay_alu instid0(VALU_DEP_1) | instskip(NEXT) | instid1(VALU_DEP_1)
	v_xor_b32_e32 v86, v90, v86
	v_cmp_ne_u64_e32 vcc_lo, s[42:43], v[86:87]
	v_cndmask_b32_e32 v91, 0x7fffffff, v87, vcc_lo
	v_cndmask_b32_e32 v90, -1, v86, vcc_lo
	s_delay_alu instid0(VALU_DEP_1) | instskip(NEXT) | instid1(VALU_DEP_1)
	v_lshrrev_b64 v[90:91], s48, v[90:91]
	v_bitop3_b32 v91, v90, 1, s55 bitop3:0x80
	v_and_b32_e32 v92, s55, v90
	s_delay_alu instid0(VALU_DEP_2) | instskip(NEXT) | instid1(VALU_DEP_1)
	v_add_co_u32 v90, s15, v91, -1
	v_cndmask_b32_e64 v91, 0, 1, s15
	s_delay_alu instid0(VALU_DEP_3) | instskip(NEXT) | instid1(VALU_DEP_2)
	v_lshlrev_b32_e32 v93, 30, v92
	v_cmp_ne_u32_e32 vcc_lo, 0, v91
	s_delay_alu instid0(VALU_DEP_2) | instskip(SKIP_1) | instid1(VALU_DEP_2)
	v_not_b32_e32 v91, v93
	v_cmp_gt_i32_e64 s15, 0, v93
	v_dual_ashrrev_i32 v91, 31, v91 :: v_dual_lshlrev_b32 v94, 29, v92
	v_dual_lshlrev_b32 v95, 28, v92 :: v_dual_lshlrev_b32 v96, 27, v92
	v_dual_lshlrev_b32 v97, 26, v92 :: v_dual_lshlrev_b32 v190, 25, v92
	v_lshlrev_b32_e32 v191, 24, v92
	s_delay_alu instid0(VALU_DEP_4)
	v_cmp_gt_i32_e64 s16, 0, v94
	v_not_b32_e32 v93, v94
	v_not_b32_e32 v94, v95
	v_cmp_gt_i32_e64 s17, 0, v95
	v_cmp_gt_i32_e64 s18, 0, v96
	v_not_b32_e32 v95, v96
	v_not_b32_e32 v96, v97
	v_dual_ashrrev_i32 v93, 31, v93 :: v_dual_bitop2_b32 v90, vcc_lo, v90 bitop3:0x14
	v_dual_ashrrev_i32 v94, 31, v94 :: v_dual_bitop2_b32 v91, s15, v91 bitop3:0x14
	v_cmp_gt_i32_e64 s19, 0, v97
	v_cmp_gt_i32_e64 s20, 0, v190
	v_not_b32_e32 v97, v190
	v_not_b32_e32 v190, v191
	v_dual_ashrrev_i32 v95, 31, v95 :: v_dual_ashrrev_i32 v96, 31, v96
	v_xor_b32_e32 v93, s16, v93
	v_xor_b32_e32 v94, s17, v94
	v_bitop3_b32 v90, v90, v91, exec_lo bitop3:0x80
	v_cmp_gt_i32_e64 s21, 0, v191
	v_dual_ashrrev_i32 v91, 31, v97 :: v_dual_ashrrev_i32 v97, 31, v190
	v_xor_b32_e32 v95, s18, v95
	v_xor_b32_e32 v96, s19, v96
	v_bitop3_b32 v90, v90, v94, v93 bitop3:0x80
	v_mad_u32_u24 v93, v92, 36, v148
	v_xor_b32_e32 v91, s20, v91
	v_xor_b32_e32 v94, s21, v97
	s_delay_alu instid0(VALU_DEP_4) | instskip(SKIP_3) | instid1(VALU_DEP_2)
	v_bitop3_b32 v90, v90, v96, v95 bitop3:0x80
	ds_load_b32 v190, v93 offset:1056
	; wave barrier
	v_bitop3_b32 v90, v90, v94, v91 bitop3:0x80
	v_mul_u32_u24_e32 v91, 36, v92
	v_mbcnt_lo_u32_b32 v191, v90, 0
	v_cmp_ne_u32_e64 s15, 0, v90
	s_delay_alu instid0(VALU_DEP_3) | instskip(NEXT) | instid1(VALU_DEP_3)
	v_add_nc_u32_e32 v192, v148, v91
	v_cmp_eq_u32_e32 vcc_lo, 0, v191
	s_and_b32 s16, s15, vcc_lo
	s_delay_alu instid0(SALU_CYCLE_1)
	s_and_saveexec_b32 s15, s16
	s_cbranch_execz .LBB1113_1026
; %bb.1025:                             ;   in Loop: Header=BB1113_974 Depth=2
	s_wait_dscnt 0x0
	v_bcnt_u32_b32 v90, v90, v190
	ds_store_b32 v192, v90 offset:1056
.LBB1113_1026:                          ;   in Loop: Header=BB1113_974 Depth=2
	s_or_b32 exec_lo, exec_lo, s15
	v_cmp_gt_i64_e32 vcc_lo, 0, v[88:89]
	; wave barrier
	v_cndmask_b32_e64 v91, 0x7fffffff, 0, vcc_lo
	s_delay_alu instid0(VALU_DEP_1) | instskip(NEXT) | instid1(VALU_DEP_1)
	v_dual_ashrrev_i32 v90, 31, v89 :: v_dual_bitop2_b32 v89, v91, v89 bitop3:0x14
	v_not_b32_e32 v90, v90
	s_delay_alu instid0(VALU_DEP_1) | instskip(NEXT) | instid1(VALU_DEP_1)
	v_xor_b32_e32 v88, v90, v88
	v_cmp_ne_u64_e32 vcc_lo, s[42:43], v[88:89]
	v_cndmask_b32_e32 v91, 0x7fffffff, v89, vcc_lo
	v_cndmask_b32_e32 v90, -1, v88, vcc_lo
	s_delay_alu instid0(VALU_DEP_1) | instskip(NEXT) | instid1(VALU_DEP_1)
	v_lshrrev_b64 v[90:91], s48, v[90:91]
	v_and_b32_e32 v92, s55, v90
	v_bitop3_b32 v91, v90, 1, s55 bitop3:0x80
	s_delay_alu instid0(VALU_DEP_2) | instskip(NEXT) | instid1(VALU_DEP_2)
	v_lshlrev_b32_e32 v95, 27, v92
	v_add_co_u32 v90, s15, v91, -1
	s_delay_alu instid0(VALU_DEP_1) | instskip(NEXT) | instid1(VALU_DEP_3)
	v_cndmask_b32_e64 v194, 0, 1, s15
	v_cmp_gt_i32_e64 s17, 0, v95
	v_not_b32_e32 v95, v95
	s_delay_alu instid0(VALU_DEP_3) | instskip(NEXT) | instid1(VALU_DEP_2)
	v_cmp_ne_u32_e64 s21, 0, v194
	v_dual_ashrrev_i32 v95, 31, v95 :: v_dual_lshlrev_b32 v91, 30, v92
	v_dual_lshlrev_b32 v93, 29, v92 :: v_dual_lshlrev_b32 v94, 28, v92
	v_dual_lshlrev_b32 v96, 26, v92 :: v_dual_lshlrev_b32 v97, 25, v92
	v_lshlrev_b32_e32 v193, 24, v92
	s_delay_alu instid0(VALU_DEP_4)
	v_cmp_gt_i32_e32 vcc_lo, 0, v91
	v_not_b32_e32 v91, v91
	v_cmp_gt_i32_e64 s15, 0, v93
	v_not_b32_e32 v93, v93
	v_cmp_gt_i32_e64 s16, 0, v94
	v_not_b32_e32 v94, v94
	v_ashrrev_i32_e32 v91, 31, v91
	v_cmp_gt_i32_e64 s18, 0, v96
	v_not_b32_e32 v96, v96
	s_delay_alu instid0(VALU_DEP_4) | instskip(NEXT) | instid1(VALU_DEP_4)
	v_dual_ashrrev_i32 v93, 31, v93 :: v_dual_ashrrev_i32 v94, 31, v94
	v_xor_b32_e32 v91, vcc_lo, v91
	s_delay_alu instid0(VALU_DEP_3)
	v_dual_ashrrev_i32 v96, 31, v96 :: v_dual_bitop2_b32 v90, s21, v90 bitop3:0x14
	v_cmp_gt_i32_e64 s19, 0, v97
	v_not_b32_e32 v97, v97
	v_cmp_gt_i32_e64 s20, 0, v193
	v_not_b32_e32 v193, v193
	v_xor_b32_e32 v93, s15, v93
	v_xor_b32_e32 v94, s16, v94
	v_bitop3_b32 v90, v90, v91, exec_lo bitop3:0x80
	v_ashrrev_i32_e32 v91, 31, v97
	v_dual_ashrrev_i32 v97, 31, v193 :: v_dual_bitop2_b32 v95, s17, v95 bitop3:0x14
	v_xor_b32_e32 v96, s18, v96
	s_delay_alu instid0(VALU_DEP_4) | instskip(SKIP_3) | instid1(VALU_DEP_4)
	v_bitop3_b32 v90, v90, v94, v93 bitop3:0x80
	v_mad_u32_u24 v93, v92, 36, v148
	v_xor_b32_e32 v91, s19, v91
	v_xor_b32_e32 v94, s20, v97
	v_bitop3_b32 v90, v90, v96, v95 bitop3:0x80
	ds_load_b32 v193, v93 offset:1056
	; wave barrier
	v_bitop3_b32 v90, v90, v94, v91 bitop3:0x80
	v_mul_u32_u24_e32 v91, 36, v92
	s_delay_alu instid0(VALU_DEP_2) | instskip(SKIP_1) | instid1(VALU_DEP_3)
	v_mbcnt_lo_u32_b32 v194, v90, 0
	v_cmp_ne_u32_e64 s15, 0, v90
	v_add_nc_u32_e32 v195, v148, v91
	s_delay_alu instid0(VALU_DEP_3) | instskip(SKIP_1) | instid1(SALU_CYCLE_1)
	v_cmp_eq_u32_e32 vcc_lo, 0, v194
	s_and_b32 s16, s15, vcc_lo
	s_and_saveexec_b32 s15, s16
	s_cbranch_execz .LBB1113_1028
; %bb.1027:                             ;   in Loop: Header=BB1113_974 Depth=2
	s_wait_dscnt 0x0
	v_bcnt_u32_b32 v90, v90, v193
	ds_store_b32 v195, v90 offset:1056
.LBB1113_1028:                          ;   in Loop: Header=BB1113_974 Depth=2
	s_or_b32 exec_lo, exec_lo, s15
	v_cmp_gt_i64_e32 vcc_lo, 0, v[84:85]
	; wave barrier
	v_cndmask_b32_e64 v91, 0x7fffffff, 0, vcc_lo
	s_delay_alu instid0(VALU_DEP_1) | instskip(NEXT) | instid1(VALU_DEP_1)
	v_dual_ashrrev_i32 v90, 31, v85 :: v_dual_bitop2_b32 v85, v91, v85 bitop3:0x14
	v_not_b32_e32 v90, v90
	s_delay_alu instid0(VALU_DEP_1) | instskip(NEXT) | instid1(VALU_DEP_1)
	v_xor_b32_e32 v84, v90, v84
	v_cmp_ne_u64_e32 vcc_lo, s[42:43], v[84:85]
	v_cndmask_b32_e32 v91, 0x7fffffff, v85, vcc_lo
	v_cndmask_b32_e32 v90, -1, v84, vcc_lo
	s_delay_alu instid0(VALU_DEP_1) | instskip(NEXT) | instid1(VALU_DEP_1)
	v_lshrrev_b64 v[90:91], s48, v[90:91]
	v_bitop3_b32 v91, v90, 1, s55 bitop3:0x80
	v_and_b32_e32 v92, s55, v90
	s_delay_alu instid0(VALU_DEP_2) | instskip(NEXT) | instid1(VALU_DEP_1)
	v_add_co_u32 v90, s15, v91, -1
	v_cndmask_b32_e64 v91, 0, 1, s15
	s_delay_alu instid0(VALU_DEP_3) | instskip(SKIP_1) | instid1(VALU_DEP_3)
	v_dual_lshlrev_b32 v93, 30, v92 :: v_dual_lshlrev_b32 v95, 28, v92
	v_dual_lshlrev_b32 v94, 29, v92 :: v_dual_lshlrev_b32 v96, 27, v92
	v_cmp_ne_u32_e32 vcc_lo, 0, v91
	s_delay_alu instid0(VALU_DEP_3) | instskip(SKIP_1) | instid1(VALU_DEP_4)
	v_cmp_gt_i32_e64 s15, 0, v93
	v_not_b32_e32 v91, v93
	v_cmp_gt_i32_e64 s16, 0, v94
	v_not_b32_e32 v93, v94
	;; [unrolled: 2-line block ×3, first 2 shown]
	v_not_b32_e32 v95, v96
	s_delay_alu instid0(VALU_DEP_4) | instskip(NEXT) | instid1(VALU_DEP_2)
	v_dual_ashrrev_i32 v91, 31, v91 :: v_dual_ashrrev_i32 v93, 31, v93
	v_dual_ashrrev_i32 v94, 31, v94 :: v_dual_ashrrev_i32 v95, 31, v95
	v_dual_lshlrev_b32 v97, 26, v92 :: v_dual_lshlrev_b32 v196, 25, v92
	v_lshlrev_b32_e32 v197, 24, v92
	v_cmp_gt_i32_e64 s18, 0, v96
	v_xor_b32_e32 v91, s15, v91
	s_delay_alu instid0(VALU_DEP_4)
	v_not_b32_e32 v96, v97
	v_xor_b32_e32 v90, vcc_lo, v90
	v_cmp_gt_i32_e64 s19, 0, v97
	v_cmp_gt_i32_e64 s20, 0, v196
	v_not_b32_e32 v97, v196
	v_not_b32_e32 v196, v197
	v_dual_ashrrev_i32 v96, 31, v96 :: v_dual_bitop2_b32 v93, s16, v93 bitop3:0x14
	v_xor_b32_e32 v94, s17, v94
	v_bitop3_b32 v90, v90, v91, exec_lo bitop3:0x80
	v_cmp_gt_i32_e64 s21, 0, v197
	v_dual_ashrrev_i32 v91, 31, v97 :: v_dual_ashrrev_i32 v97, 31, v196
	v_xor_b32_e32 v95, s18, v95
	v_xor_b32_e32 v96, s19, v96
	v_bitop3_b32 v90, v90, v94, v93 bitop3:0x80
	v_mad_u32_u24 v93, v92, 36, v148
	v_xor_b32_e32 v91, s20, v91
	v_xor_b32_e32 v94, s21, v97
	s_delay_alu instid0(VALU_DEP_4) | instskip(SKIP_3) | instid1(VALU_DEP_2)
	v_bitop3_b32 v90, v90, v96, v95 bitop3:0x80
	ds_load_b32 v196, v93 offset:1056
	; wave barrier
	v_bitop3_b32 v90, v90, v94, v91 bitop3:0x80
	v_mul_u32_u24_e32 v91, 36, v92
	v_mbcnt_lo_u32_b32 v197, v90, 0
	v_cmp_ne_u32_e64 s15, 0, v90
	s_delay_alu instid0(VALU_DEP_3) | instskip(NEXT) | instid1(VALU_DEP_3)
	v_add_nc_u32_e32 v198, v148, v91
	v_cmp_eq_u32_e32 vcc_lo, 0, v197
	s_and_b32 s16, s15, vcc_lo
	s_delay_alu instid0(SALU_CYCLE_1)
	s_and_saveexec_b32 s15, s16
	s_cbranch_execz .LBB1113_1030
; %bb.1029:                             ;   in Loop: Header=BB1113_974 Depth=2
	s_wait_dscnt 0x0
	v_bcnt_u32_b32 v90, v90, v196
	ds_store_b32 v198, v90 offset:1056
.LBB1113_1030:                          ;   in Loop: Header=BB1113_974 Depth=2
	s_or_b32 exec_lo, exec_lo, s15
	v_cmp_gt_i64_e32 vcc_lo, 0, v[80:81]
	; wave barrier
	v_cndmask_b32_e64 v91, 0x7fffffff, 0, vcc_lo
	s_delay_alu instid0(VALU_DEP_1) | instskip(NEXT) | instid1(VALU_DEP_1)
	v_dual_ashrrev_i32 v90, 31, v81 :: v_dual_bitop2_b32 v81, v91, v81 bitop3:0x14
	v_not_b32_e32 v90, v90
	s_delay_alu instid0(VALU_DEP_1) | instskip(NEXT) | instid1(VALU_DEP_1)
	v_xor_b32_e32 v80, v90, v80
	v_cmp_ne_u64_e32 vcc_lo, s[42:43], v[80:81]
	v_cndmask_b32_e32 v91, 0x7fffffff, v81, vcc_lo
	v_cndmask_b32_e32 v90, -1, v80, vcc_lo
	s_delay_alu instid0(VALU_DEP_1) | instskip(NEXT) | instid1(VALU_DEP_1)
	v_lshrrev_b64 v[90:91], s48, v[90:91]
	v_bitop3_b32 v91, v90, 1, s55 bitop3:0x80
	v_and_b32_e32 v92, s55, v90
	s_delay_alu instid0(VALU_DEP_2) | instskip(NEXT) | instid1(VALU_DEP_1)
	v_add_co_u32 v90, s15, v91, -1
	v_cndmask_b32_e64 v91, 0, 1, s15
	s_delay_alu instid0(VALU_DEP_3) | instskip(SKIP_1) | instid1(VALU_DEP_3)
	v_dual_lshlrev_b32 v93, 30, v92 :: v_dual_lshlrev_b32 v95, 28, v92
	v_dual_lshlrev_b32 v94, 29, v92 :: v_dual_lshlrev_b32 v96, 27, v92
	v_cmp_ne_u32_e32 vcc_lo, 0, v91
	s_delay_alu instid0(VALU_DEP_3) | instskip(SKIP_1) | instid1(VALU_DEP_4)
	v_cmp_gt_i32_e64 s15, 0, v93
	v_not_b32_e32 v91, v93
	v_cmp_gt_i32_e64 s16, 0, v94
	v_not_b32_e32 v93, v94
	;; [unrolled: 2-line block ×3, first 2 shown]
	v_not_b32_e32 v95, v96
	s_delay_alu instid0(VALU_DEP_4) | instskip(NEXT) | instid1(VALU_DEP_2)
	v_dual_ashrrev_i32 v91, 31, v91 :: v_dual_ashrrev_i32 v93, 31, v93
	v_dual_ashrrev_i32 v94, 31, v94 :: v_dual_ashrrev_i32 v95, 31, v95
	v_dual_lshlrev_b32 v97, 26, v92 :: v_dual_lshlrev_b32 v199, 25, v92
	v_lshlrev_b32_e32 v200, 24, v92
	v_cmp_gt_i32_e64 s18, 0, v96
	v_xor_b32_e32 v91, s15, v91
	s_delay_alu instid0(VALU_DEP_4)
	v_not_b32_e32 v96, v97
	v_xor_b32_e32 v90, vcc_lo, v90
	v_cmp_gt_i32_e64 s19, 0, v97
	v_cmp_gt_i32_e64 s20, 0, v199
	v_not_b32_e32 v97, v199
	v_not_b32_e32 v199, v200
	v_dual_ashrrev_i32 v96, 31, v96 :: v_dual_bitop2_b32 v93, s16, v93 bitop3:0x14
	v_xor_b32_e32 v94, s17, v94
	v_bitop3_b32 v90, v90, v91, exec_lo bitop3:0x80
	v_cmp_gt_i32_e64 s21, 0, v200
	v_dual_ashrrev_i32 v91, 31, v97 :: v_dual_ashrrev_i32 v97, 31, v199
	v_xor_b32_e32 v95, s18, v95
	v_xor_b32_e32 v96, s19, v96
	v_bitop3_b32 v90, v90, v94, v93 bitop3:0x80
	v_mad_u32_u24 v93, v92, 36, v148
	v_xor_b32_e32 v91, s20, v91
	v_xor_b32_e32 v94, s21, v97
	s_delay_alu instid0(VALU_DEP_4) | instskip(SKIP_3) | instid1(VALU_DEP_2)
	v_bitop3_b32 v90, v90, v96, v95 bitop3:0x80
	ds_load_b32 v199, v93 offset:1056
	; wave barrier
	v_bitop3_b32 v90, v90, v94, v91 bitop3:0x80
	v_mul_u32_u24_e32 v91, 36, v92
	v_mbcnt_lo_u32_b32 v200, v90, 0
	v_cmp_ne_u32_e64 s15, 0, v90
	s_delay_alu instid0(VALU_DEP_3) | instskip(NEXT) | instid1(VALU_DEP_3)
	v_add_nc_u32_e32 v201, v148, v91
	v_cmp_eq_u32_e32 vcc_lo, 0, v200
	s_and_b32 s16, s15, vcc_lo
	s_delay_alu instid0(SALU_CYCLE_1)
	s_and_saveexec_b32 s15, s16
	s_cbranch_execz .LBB1113_1032
; %bb.1031:                             ;   in Loop: Header=BB1113_974 Depth=2
	s_wait_dscnt 0x0
	v_bcnt_u32_b32 v90, v90, v199
	ds_store_b32 v201, v90 offset:1056
.LBB1113_1032:                          ;   in Loop: Header=BB1113_974 Depth=2
	s_or_b32 exec_lo, exec_lo, s15
	v_cmp_gt_i64_e32 vcc_lo, 0, v[76:77]
	; wave barrier
	v_cndmask_b32_e64 v91, 0x7fffffff, 0, vcc_lo
	s_delay_alu instid0(VALU_DEP_1) | instskip(NEXT) | instid1(VALU_DEP_1)
	v_dual_ashrrev_i32 v90, 31, v77 :: v_dual_bitop2_b32 v77, v91, v77 bitop3:0x14
	v_not_b32_e32 v90, v90
	s_delay_alu instid0(VALU_DEP_1) | instskip(NEXT) | instid1(VALU_DEP_1)
	v_xor_b32_e32 v76, v90, v76
	v_cmp_ne_u64_e32 vcc_lo, s[42:43], v[76:77]
	v_cndmask_b32_e32 v91, 0x7fffffff, v77, vcc_lo
	v_cndmask_b32_e32 v90, -1, v76, vcc_lo
	s_delay_alu instid0(VALU_DEP_1) | instskip(NEXT) | instid1(VALU_DEP_1)
	v_lshrrev_b64 v[90:91], s48, v[90:91]
	v_bitop3_b32 v91, v90, 1, s55 bitop3:0x80
	v_and_b32_e32 v92, s55, v90
	s_delay_alu instid0(VALU_DEP_2) | instskip(NEXT) | instid1(VALU_DEP_1)
	v_add_co_u32 v90, s15, v91, -1
	v_cndmask_b32_e64 v91, 0, 1, s15
	s_delay_alu instid0(VALU_DEP_3) | instskip(SKIP_1) | instid1(VALU_DEP_3)
	v_dual_lshlrev_b32 v93, 30, v92 :: v_dual_lshlrev_b32 v95, 28, v92
	v_dual_lshlrev_b32 v94, 29, v92 :: v_dual_lshlrev_b32 v96, 27, v92
	v_cmp_ne_u32_e32 vcc_lo, 0, v91
	s_delay_alu instid0(VALU_DEP_3) | instskip(SKIP_1) | instid1(VALU_DEP_4)
	v_cmp_gt_i32_e64 s15, 0, v93
	v_not_b32_e32 v91, v93
	v_cmp_gt_i32_e64 s16, 0, v94
	v_not_b32_e32 v93, v94
	;; [unrolled: 2-line block ×3, first 2 shown]
	v_not_b32_e32 v95, v96
	s_delay_alu instid0(VALU_DEP_4) | instskip(NEXT) | instid1(VALU_DEP_2)
	v_dual_ashrrev_i32 v91, 31, v91 :: v_dual_ashrrev_i32 v93, 31, v93
	v_dual_ashrrev_i32 v94, 31, v94 :: v_dual_ashrrev_i32 v95, 31, v95
	v_dual_lshlrev_b32 v97, 26, v92 :: v_dual_lshlrev_b32 v202, 25, v92
	v_lshlrev_b32_e32 v203, 24, v92
	v_cmp_gt_i32_e64 s18, 0, v96
	v_xor_b32_e32 v91, s15, v91
	s_delay_alu instid0(VALU_DEP_4)
	v_not_b32_e32 v96, v97
	v_xor_b32_e32 v90, vcc_lo, v90
	v_cmp_gt_i32_e64 s19, 0, v97
	v_cmp_gt_i32_e64 s20, 0, v202
	v_not_b32_e32 v97, v202
	v_not_b32_e32 v202, v203
	v_dual_ashrrev_i32 v96, 31, v96 :: v_dual_bitop2_b32 v93, s16, v93 bitop3:0x14
	v_xor_b32_e32 v94, s17, v94
	v_bitop3_b32 v90, v90, v91, exec_lo bitop3:0x80
	v_cmp_gt_i32_e64 s21, 0, v203
	v_dual_ashrrev_i32 v91, 31, v97 :: v_dual_ashrrev_i32 v97, 31, v202
	v_xor_b32_e32 v95, s18, v95
	v_xor_b32_e32 v96, s19, v96
	v_bitop3_b32 v90, v90, v94, v93 bitop3:0x80
	v_mad_u32_u24 v93, v92, 36, v148
	v_xor_b32_e32 v91, s20, v91
	v_xor_b32_e32 v94, s21, v97
	s_delay_alu instid0(VALU_DEP_4) | instskip(SKIP_3) | instid1(VALU_DEP_2)
	v_bitop3_b32 v90, v90, v96, v95 bitop3:0x80
	ds_load_b32 v202, v93 offset:1056
	; wave barrier
	v_bitop3_b32 v90, v90, v94, v91 bitop3:0x80
	v_mul_u32_u24_e32 v91, 36, v92
	v_mbcnt_lo_u32_b32 v203, v90, 0
	v_cmp_ne_u32_e64 s15, 0, v90
	s_delay_alu instid0(VALU_DEP_3) | instskip(NEXT) | instid1(VALU_DEP_3)
	v_add_nc_u32_e32 v204, v148, v91
	v_cmp_eq_u32_e32 vcc_lo, 0, v203
	s_and_b32 s16, s15, vcc_lo
	s_delay_alu instid0(SALU_CYCLE_1)
	s_and_saveexec_b32 s15, s16
	s_cbranch_execz .LBB1113_1034
; %bb.1033:                             ;   in Loop: Header=BB1113_974 Depth=2
	s_wait_dscnt 0x0
	v_bcnt_u32_b32 v90, v90, v202
	ds_store_b32 v204, v90 offset:1056
.LBB1113_1034:                          ;   in Loop: Header=BB1113_974 Depth=2
	s_or_b32 exec_lo, exec_lo, s15
	v_cmp_gt_i64_e32 vcc_lo, 0, v[72:73]
	; wave barrier
	v_cndmask_b32_e64 v91, 0x7fffffff, 0, vcc_lo
	s_delay_alu instid0(VALU_DEP_1) | instskip(NEXT) | instid1(VALU_DEP_1)
	v_dual_ashrrev_i32 v90, 31, v73 :: v_dual_bitop2_b32 v73, v91, v73 bitop3:0x14
	v_not_b32_e32 v90, v90
	s_delay_alu instid0(VALU_DEP_1) | instskip(NEXT) | instid1(VALU_DEP_1)
	v_xor_b32_e32 v72, v90, v72
	v_cmp_ne_u64_e32 vcc_lo, s[42:43], v[72:73]
	v_cndmask_b32_e32 v91, 0x7fffffff, v73, vcc_lo
	v_cndmask_b32_e32 v90, -1, v72, vcc_lo
	s_delay_alu instid0(VALU_DEP_1) | instskip(NEXT) | instid1(VALU_DEP_1)
	v_lshrrev_b64 v[90:91], s48, v[90:91]
	v_bitop3_b32 v91, v90, 1, s55 bitop3:0x80
	v_and_b32_e32 v92, s55, v90
	s_delay_alu instid0(VALU_DEP_2) | instskip(NEXT) | instid1(VALU_DEP_1)
	v_add_co_u32 v90, s15, v91, -1
	v_cndmask_b32_e64 v91, 0, 1, s15
	s_delay_alu instid0(VALU_DEP_3) | instskip(SKIP_1) | instid1(VALU_DEP_3)
	v_dual_lshlrev_b32 v93, 30, v92 :: v_dual_lshlrev_b32 v95, 28, v92
	v_dual_lshlrev_b32 v94, 29, v92 :: v_dual_lshlrev_b32 v96, 27, v92
	v_cmp_ne_u32_e32 vcc_lo, 0, v91
	s_delay_alu instid0(VALU_DEP_3) | instskip(SKIP_1) | instid1(VALU_DEP_4)
	v_cmp_gt_i32_e64 s15, 0, v93
	v_not_b32_e32 v91, v93
	v_cmp_gt_i32_e64 s16, 0, v94
	v_not_b32_e32 v93, v94
	;; [unrolled: 2-line block ×3, first 2 shown]
	v_not_b32_e32 v95, v96
	s_delay_alu instid0(VALU_DEP_4) | instskip(NEXT) | instid1(VALU_DEP_2)
	v_dual_ashrrev_i32 v91, 31, v91 :: v_dual_ashrrev_i32 v93, 31, v93
	v_dual_ashrrev_i32 v94, 31, v94 :: v_dual_ashrrev_i32 v95, 31, v95
	v_dual_lshlrev_b32 v97, 26, v92 :: v_dual_lshlrev_b32 v205, 25, v92
	v_lshlrev_b32_e32 v206, 24, v92
	v_cmp_gt_i32_e64 s18, 0, v96
	v_xor_b32_e32 v91, s15, v91
	s_delay_alu instid0(VALU_DEP_4)
	v_not_b32_e32 v96, v97
	v_xor_b32_e32 v90, vcc_lo, v90
	v_cmp_gt_i32_e64 s19, 0, v97
	v_cmp_gt_i32_e64 s20, 0, v205
	v_not_b32_e32 v97, v205
	v_not_b32_e32 v205, v206
	v_dual_ashrrev_i32 v96, 31, v96 :: v_dual_bitop2_b32 v93, s16, v93 bitop3:0x14
	v_xor_b32_e32 v94, s17, v94
	v_bitop3_b32 v90, v90, v91, exec_lo bitop3:0x80
	v_cmp_gt_i32_e64 s21, 0, v206
	v_ashrrev_i32_e32 v91, 31, v97
	v_dual_ashrrev_i32 v97, 31, v205 :: v_dual_bitop2_b32 v95, s18, v95 bitop3:0x14
	v_xor_b32_e32 v96, s19, v96
	v_bitop3_b32 v90, v90, v94, v93 bitop3:0x80
	v_mad_u32_u24 v93, v92, 36, v148
	v_xor_b32_e32 v91, s20, v91
	v_xor_b32_e32 v94, s21, v97
	s_delay_alu instid0(VALU_DEP_4) | instskip(SKIP_3) | instid1(VALU_DEP_2)
	v_bitop3_b32 v90, v90, v96, v95 bitop3:0x80
	ds_load_b32 v205, v93 offset:1056
	; wave barrier
	v_bitop3_b32 v90, v90, v94, v91 bitop3:0x80
	v_mul_u32_u24_e32 v91, 36, v92
	v_mbcnt_lo_u32_b32 v206, v90, 0
	v_cmp_ne_u32_e64 s15, 0, v90
	s_delay_alu instid0(VALU_DEP_3) | instskip(NEXT) | instid1(VALU_DEP_3)
	v_add_nc_u32_e32 v207, v148, v91
	v_cmp_eq_u32_e32 vcc_lo, 0, v206
	s_and_b32 s16, s15, vcc_lo
	s_delay_alu instid0(SALU_CYCLE_1)
	s_and_saveexec_b32 s15, s16
	s_cbranch_execz .LBB1113_1036
; %bb.1035:                             ;   in Loop: Header=BB1113_974 Depth=2
	s_wait_dscnt 0x0
	v_bcnt_u32_b32 v90, v90, v205
	ds_store_b32 v207, v90 offset:1056
.LBB1113_1036:                          ;   in Loop: Header=BB1113_974 Depth=2
	s_or_b32 exec_lo, exec_lo, s15
	v_cmp_gt_i64_e32 vcc_lo, 0, v[68:69]
	; wave barrier
	v_cndmask_b32_e64 v91, 0x7fffffff, 0, vcc_lo
	s_delay_alu instid0(VALU_DEP_1) | instskip(NEXT) | instid1(VALU_DEP_1)
	v_dual_ashrrev_i32 v90, 31, v69 :: v_dual_bitop2_b32 v69, v91, v69 bitop3:0x14
	v_not_b32_e32 v90, v90
	s_delay_alu instid0(VALU_DEP_1) | instskip(NEXT) | instid1(VALU_DEP_1)
	v_xor_b32_e32 v68, v90, v68
	v_cmp_ne_u64_e32 vcc_lo, s[42:43], v[68:69]
	v_cndmask_b32_e32 v91, 0x7fffffff, v69, vcc_lo
	v_cndmask_b32_e32 v90, -1, v68, vcc_lo
	s_delay_alu instid0(VALU_DEP_1) | instskip(NEXT) | instid1(VALU_DEP_1)
	v_lshrrev_b64 v[90:91], s48, v[90:91]
	v_bitop3_b32 v91, v90, 1, s55 bitop3:0x80
	v_and_b32_e32 v92, s55, v90
	s_delay_alu instid0(VALU_DEP_2) | instskip(NEXT) | instid1(VALU_DEP_1)
	v_add_co_u32 v90, s15, v91, -1
	v_cndmask_b32_e64 v91, 0, 1, s15
	s_delay_alu instid0(VALU_DEP_3) | instskip(SKIP_1) | instid1(VALU_DEP_3)
	v_dual_lshlrev_b32 v93, 30, v92 :: v_dual_lshlrev_b32 v95, 28, v92
	v_dual_lshlrev_b32 v94, 29, v92 :: v_dual_lshlrev_b32 v96, 27, v92
	v_cmp_ne_u32_e32 vcc_lo, 0, v91
	s_delay_alu instid0(VALU_DEP_3) | instskip(SKIP_1) | instid1(VALU_DEP_4)
	v_cmp_gt_i32_e64 s15, 0, v93
	v_not_b32_e32 v91, v93
	v_cmp_gt_i32_e64 s16, 0, v94
	v_not_b32_e32 v93, v94
	;; [unrolled: 2-line block ×3, first 2 shown]
	v_not_b32_e32 v95, v96
	s_delay_alu instid0(VALU_DEP_4) | instskip(NEXT) | instid1(VALU_DEP_2)
	v_dual_ashrrev_i32 v91, 31, v91 :: v_dual_ashrrev_i32 v93, 31, v93
	v_dual_ashrrev_i32 v94, 31, v94 :: v_dual_ashrrev_i32 v95, 31, v95
	v_dual_lshlrev_b32 v97, 26, v92 :: v_dual_lshlrev_b32 v208, 25, v92
	v_lshlrev_b32_e32 v209, 24, v92
	v_cmp_gt_i32_e64 s18, 0, v96
	v_xor_b32_e32 v91, s15, v91
	s_delay_alu instid0(VALU_DEP_4)
	v_not_b32_e32 v96, v97
	v_xor_b32_e32 v90, vcc_lo, v90
	v_cmp_gt_i32_e64 s19, 0, v97
	v_cmp_gt_i32_e64 s20, 0, v208
	v_not_b32_e32 v97, v208
	v_not_b32_e32 v208, v209
	v_dual_ashrrev_i32 v96, 31, v96 :: v_dual_bitop2_b32 v93, s16, v93 bitop3:0x14
	v_xor_b32_e32 v94, s17, v94
	v_bitop3_b32 v90, v90, v91, exec_lo bitop3:0x80
	v_cmp_gt_i32_e64 s21, 0, v209
	v_dual_ashrrev_i32 v91, 31, v97 :: v_dual_ashrrev_i32 v97, 31, v208
	v_xor_b32_e32 v95, s18, v95
	v_xor_b32_e32 v96, s19, v96
	v_bitop3_b32 v90, v90, v94, v93 bitop3:0x80
	v_mad_u32_u24 v93, v92, 36, v148
	v_xor_b32_e32 v91, s20, v91
	v_xor_b32_e32 v94, s21, v97
	s_delay_alu instid0(VALU_DEP_4) | instskip(SKIP_3) | instid1(VALU_DEP_2)
	v_bitop3_b32 v90, v90, v96, v95 bitop3:0x80
	ds_load_b32 v208, v93 offset:1056
	; wave barrier
	v_bitop3_b32 v90, v90, v94, v91 bitop3:0x80
	v_mul_u32_u24_e32 v91, 36, v92
	v_mbcnt_lo_u32_b32 v209, v90, 0
	v_cmp_ne_u32_e64 s15, 0, v90
	s_delay_alu instid0(VALU_DEP_3) | instskip(NEXT) | instid1(VALU_DEP_3)
	v_add_nc_u32_e32 v211, v148, v91
	v_cmp_eq_u32_e32 vcc_lo, 0, v209
	s_and_b32 s16, s15, vcc_lo
	s_delay_alu instid0(SALU_CYCLE_1)
	s_and_saveexec_b32 s15, s16
	s_cbranch_execz .LBB1113_1038
; %bb.1037:                             ;   in Loop: Header=BB1113_974 Depth=2
	s_wait_dscnt 0x0
	v_bcnt_u32_b32 v90, v90, v208
	ds_store_b32 v211, v90 offset:1056
.LBB1113_1038:                          ;   in Loop: Header=BB1113_974 Depth=2
	s_or_b32 exec_lo, exec_lo, s15
	v_cmp_gt_i64_e32 vcc_lo, 0, v[64:65]
	; wave barrier
	v_cndmask_b32_e64 v91, 0x7fffffff, 0, vcc_lo
	s_delay_alu instid0(VALU_DEP_1) | instskip(NEXT) | instid1(VALU_DEP_1)
	v_dual_ashrrev_i32 v90, 31, v65 :: v_dual_bitop2_b32 v65, v91, v65 bitop3:0x14
	v_not_b32_e32 v90, v90
	s_delay_alu instid0(VALU_DEP_1) | instskip(NEXT) | instid1(VALU_DEP_1)
	v_xor_b32_e32 v64, v90, v64
	v_cmp_ne_u64_e32 vcc_lo, s[42:43], v[64:65]
	v_cndmask_b32_e32 v91, 0x7fffffff, v65, vcc_lo
	v_cndmask_b32_e32 v90, -1, v64, vcc_lo
	s_delay_alu instid0(VALU_DEP_1) | instskip(NEXT) | instid1(VALU_DEP_1)
	v_lshrrev_b64 v[90:91], s48, v[90:91]
	v_bitop3_b32 v91, v90, 1, s55 bitop3:0x80
	v_and_b32_e32 v92, s55, v90
	s_delay_alu instid0(VALU_DEP_2) | instskip(NEXT) | instid1(VALU_DEP_1)
	v_add_co_u32 v90, s15, v91, -1
	v_cndmask_b32_e64 v91, 0, 1, s15
	s_delay_alu instid0(VALU_DEP_3) | instskip(SKIP_1) | instid1(VALU_DEP_3)
	v_dual_lshlrev_b32 v93, 30, v92 :: v_dual_lshlrev_b32 v95, 28, v92
	v_dual_lshlrev_b32 v94, 29, v92 :: v_dual_lshlrev_b32 v96, 27, v92
	v_cmp_ne_u32_e32 vcc_lo, 0, v91
	s_delay_alu instid0(VALU_DEP_3) | instskip(SKIP_1) | instid1(VALU_DEP_4)
	v_cmp_gt_i32_e64 s15, 0, v93
	v_not_b32_e32 v91, v93
	v_cmp_gt_i32_e64 s16, 0, v94
	v_not_b32_e32 v93, v94
	;; [unrolled: 2-line block ×3, first 2 shown]
	v_not_b32_e32 v95, v96
	s_delay_alu instid0(VALU_DEP_4) | instskip(NEXT) | instid1(VALU_DEP_2)
	v_dual_ashrrev_i32 v91, 31, v91 :: v_dual_ashrrev_i32 v93, 31, v93
	v_dual_ashrrev_i32 v94, 31, v94 :: v_dual_ashrrev_i32 v95, 31, v95
	v_dual_lshlrev_b32 v97, 26, v92 :: v_dual_lshlrev_b32 v210, 25, v92
	v_lshlrev_b32_e32 v212, 24, v92
	v_cmp_gt_i32_e64 s18, 0, v96
	v_xor_b32_e32 v91, s15, v91
	s_delay_alu instid0(VALU_DEP_4)
	v_not_b32_e32 v96, v97
	v_xor_b32_e32 v90, vcc_lo, v90
	v_cmp_gt_i32_e64 s19, 0, v97
	v_cmp_gt_i32_e64 s20, 0, v210
	v_not_b32_e32 v97, v210
	v_not_b32_e32 v210, v212
	v_dual_ashrrev_i32 v96, 31, v96 :: v_dual_bitop2_b32 v93, s16, v93 bitop3:0x14
	v_xor_b32_e32 v94, s17, v94
	v_bitop3_b32 v90, v90, v91, exec_lo bitop3:0x80
	v_cmp_gt_i32_e64 s21, 0, v212
	v_dual_ashrrev_i32 v91, 31, v97 :: v_dual_ashrrev_i32 v97, 31, v210
	v_xor_b32_e32 v95, s18, v95
	v_xor_b32_e32 v96, s19, v96
	v_bitop3_b32 v90, v90, v94, v93 bitop3:0x80
	v_mad_u32_u24 v93, v92, 36, v148
	v_xor_b32_e32 v91, s20, v91
	v_xor_b32_e32 v94, s21, v97
	s_delay_alu instid0(VALU_DEP_4) | instskip(SKIP_3) | instid1(VALU_DEP_2)
	v_bitop3_b32 v90, v90, v96, v95 bitop3:0x80
	ds_load_b32 v210, v93 offset:1056
	; wave barrier
	v_bitop3_b32 v90, v90, v94, v91 bitop3:0x80
	v_mul_u32_u24_e32 v91, 36, v92
	v_mbcnt_lo_u32_b32 v212, v90, 0
	v_cmp_ne_u32_e64 s15, 0, v90
	s_delay_alu instid0(VALU_DEP_3) | instskip(NEXT) | instid1(VALU_DEP_3)
	v_add_nc_u32_e32 v215, v148, v91
	v_cmp_eq_u32_e32 vcc_lo, 0, v212
	s_and_b32 s16, s15, vcc_lo
	s_delay_alu instid0(SALU_CYCLE_1)
	s_and_saveexec_b32 s15, s16
	s_cbranch_execz .LBB1113_1040
; %bb.1039:                             ;   in Loop: Header=BB1113_974 Depth=2
	s_wait_dscnt 0x0
	v_bcnt_u32_b32 v90, v90, v210
	ds_store_b32 v215, v90 offset:1056
.LBB1113_1040:                          ;   in Loop: Header=BB1113_974 Depth=2
	s_or_b32 exec_lo, exec_lo, s15
	v_cmp_gt_i64_e32 vcc_lo, 0, v[66:67]
	; wave barrier
	v_cndmask_b32_e64 v91, 0x7fffffff, 0, vcc_lo
	s_delay_alu instid0(VALU_DEP_1) | instskip(NEXT) | instid1(VALU_DEP_1)
	v_dual_ashrrev_i32 v90, 31, v67 :: v_dual_bitop2_b32 v67, v91, v67 bitop3:0x14
	v_not_b32_e32 v90, v90
	s_delay_alu instid0(VALU_DEP_1) | instskip(NEXT) | instid1(VALU_DEP_1)
	v_xor_b32_e32 v66, v90, v66
	v_cmp_ne_u64_e32 vcc_lo, s[42:43], v[66:67]
	v_cndmask_b32_e32 v91, 0x7fffffff, v67, vcc_lo
	v_cndmask_b32_e32 v90, -1, v66, vcc_lo
	s_delay_alu instid0(VALU_DEP_1) | instskip(NEXT) | instid1(VALU_DEP_1)
	v_lshrrev_b64 v[90:91], s48, v[90:91]
	v_bitop3_b32 v91, v90, 1, s55 bitop3:0x80
	v_and_b32_e32 v92, s55, v90
	s_delay_alu instid0(VALU_DEP_2) | instskip(NEXT) | instid1(VALU_DEP_1)
	v_add_co_u32 v90, s15, v91, -1
	v_cndmask_b32_e64 v91, 0, 1, s15
	s_delay_alu instid0(VALU_DEP_3) | instskip(NEXT) | instid1(VALU_DEP_2)
	v_lshlrev_b32_e32 v93, 30, v92
	v_cmp_ne_u32_e32 vcc_lo, 0, v91
	s_delay_alu instid0(VALU_DEP_2) | instskip(SKIP_1) | instid1(VALU_DEP_2)
	v_not_b32_e32 v91, v93
	v_cmp_gt_i32_e64 s15, 0, v93
	v_dual_ashrrev_i32 v91, 31, v91 :: v_dual_lshlrev_b32 v94, 29, v92
	v_dual_lshlrev_b32 v95, 28, v92 :: v_dual_lshlrev_b32 v96, 27, v92
	v_dual_lshlrev_b32 v97, 26, v92 :: v_dual_lshlrev_b32 v213, 25, v92
	v_lshlrev_b32_e32 v214, 24, v92
	s_delay_alu instid0(VALU_DEP_4)
	v_cmp_gt_i32_e64 s16, 0, v94
	v_not_b32_e32 v93, v94
	v_not_b32_e32 v94, v95
	v_cmp_gt_i32_e64 s17, 0, v95
	v_cmp_gt_i32_e64 s18, 0, v96
	v_not_b32_e32 v95, v96
	v_not_b32_e32 v96, v97
	v_dual_ashrrev_i32 v93, 31, v93 :: v_dual_bitop2_b32 v90, vcc_lo, v90 bitop3:0x14
	v_dual_ashrrev_i32 v94, 31, v94 :: v_dual_bitop2_b32 v91, s15, v91 bitop3:0x14
	v_cmp_gt_i32_e64 s19, 0, v97
	v_cmp_gt_i32_e64 s20, 0, v213
	v_not_b32_e32 v97, v213
	v_not_b32_e32 v213, v214
	v_dual_ashrrev_i32 v95, 31, v95 :: v_dual_ashrrev_i32 v96, 31, v96
	v_xor_b32_e32 v93, s16, v93
	v_xor_b32_e32 v94, s17, v94
	v_bitop3_b32 v90, v90, v91, exec_lo bitop3:0x80
	v_cmp_gt_i32_e64 s21, 0, v214
	v_ashrrev_i32_e32 v91, 31, v97
	v_dual_ashrrev_i32 v97, 31, v213 :: v_dual_bitop2_b32 v95, s18, v95 bitop3:0x14
	v_xor_b32_e32 v96, s19, v96
	v_bitop3_b32 v90, v90, v94, v93 bitop3:0x80
	v_mad_u32_u24 v93, v92, 36, v148
	v_xor_b32_e32 v91, s20, v91
	v_xor_b32_e32 v94, s21, v97
	s_delay_alu instid0(VALU_DEP_4) | instskip(SKIP_3) | instid1(VALU_DEP_2)
	v_bitop3_b32 v90, v90, v96, v95 bitop3:0x80
	ds_load_b32 v213, v93 offset:1056
	; wave barrier
	v_bitop3_b32 v90, v90, v94, v91 bitop3:0x80
	v_mul_u32_u24_e32 v91, 36, v92
	v_mbcnt_lo_u32_b32 v214, v90, 0
	v_cmp_ne_u32_e64 s15, 0, v90
	s_delay_alu instid0(VALU_DEP_3) | instskip(NEXT) | instid1(VALU_DEP_3)
	v_add_nc_u32_e32 v216, v148, v91
	v_cmp_eq_u32_e32 vcc_lo, 0, v214
	s_and_b32 s16, s15, vcc_lo
	s_delay_alu instid0(SALU_CYCLE_1)
	s_and_saveexec_b32 s15, s16
	s_cbranch_execz .LBB1113_1042
; %bb.1041:                             ;   in Loop: Header=BB1113_974 Depth=2
	s_wait_dscnt 0x0
	v_bcnt_u32_b32 v90, v90, v213
	ds_store_b32 v216, v90 offset:1056
.LBB1113_1042:                          ;   in Loop: Header=BB1113_974 Depth=2
	s_or_b32 exec_lo, exec_lo, s15
	; wave barrier
	s_wait_dscnt 0x0
	s_barrier_signal -1
	s_barrier_wait -1
	ds_load_2addr_b32 v[96:97], v168 offset1:1
	ds_load_2addr_b32 v[94:95], v169 offset1:1
	;; [unrolled: 1-line block ×4, first 2 shown]
	ds_load_b32 v217, v120 offset:1088
	s_wait_dscnt 0x3
	v_add3_u32 v218, v97, v96, v94
	s_wait_dscnt 0x2
	s_delay_alu instid0(VALU_DEP_1) | instskip(SKIP_1) | instid1(VALU_DEP_1)
	v_add3_u32 v218, v218, v95, v92
	s_wait_dscnt 0x1
	v_add3_u32 v218, v218, v93, v90
	s_wait_dscnt 0x0
	s_delay_alu instid0(VALU_DEP_1) | instskip(NEXT) | instid1(VALU_DEP_1)
	v_add3_u32 v217, v218, v91, v217
	v_mov_b32_dpp v218, v217 row_shr:1 row_mask:0xf bank_mask:0xf
	s_delay_alu instid0(VALU_DEP_1) | instskip(NEXT) | instid1(VALU_DEP_1)
	v_cndmask_b32_e64 v218, v218, 0, s7
	v_add_nc_u32_e32 v217, v218, v217
	s_delay_alu instid0(VALU_DEP_1) | instskip(NEXT) | instid1(VALU_DEP_1)
	v_mov_b32_dpp v218, v217 row_shr:2 row_mask:0xf bank_mask:0xf
	v_cndmask_b32_e64 v218, 0, v218, s8
	s_delay_alu instid0(VALU_DEP_1) | instskip(NEXT) | instid1(VALU_DEP_1)
	v_add_nc_u32_e32 v217, v217, v218
	v_mov_b32_dpp v218, v217 row_shr:4 row_mask:0xf bank_mask:0xf
	s_delay_alu instid0(VALU_DEP_1) | instskip(NEXT) | instid1(VALU_DEP_1)
	v_cndmask_b32_e64 v218, 0, v218, s9
	v_add_nc_u32_e32 v217, v217, v218
	s_delay_alu instid0(VALU_DEP_1) | instskip(NEXT) | instid1(VALU_DEP_1)
	v_mov_b32_dpp v218, v217 row_shr:8 row_mask:0xf bank_mask:0xf
	v_cndmask_b32_e64 v218, 0, v218, s10
	s_delay_alu instid0(VALU_DEP_1) | instskip(SKIP_3) | instid1(VALU_DEP_1)
	v_add_nc_u32_e32 v217, v217, v218
	ds_swizzle_b32 v218, v217 offset:swizzle(BROADCAST,32,15)
	s_wait_dscnt 0x0
	v_cndmask_b32_e64 v218, v218, 0, s11
	v_add_nc_u32_e32 v217, v217, v218
	s_and_saveexec_b32 s15, s1
; %bb.1043:                             ;   in Loop: Header=BB1113_974 Depth=2
	ds_store_b32 v114, v217 offset:1024
; %bb.1044:                             ;   in Loop: Header=BB1113_974 Depth=2
	s_or_b32 exec_lo, exec_lo, s15
	s_wait_dscnt 0x0
	s_barrier_signal -1
	s_barrier_wait -1
	s_and_saveexec_b32 s15, s4
	s_cbranch_execz .LBB1113_1046
; %bb.1045:                             ;   in Loop: Header=BB1113_974 Depth=2
	ds_load_b32 v218, v122 offset:1024
	s_wait_dscnt 0x0
	v_mov_b32_dpp v219, v218 row_shr:1 row_mask:0xf bank_mask:0xf
	s_delay_alu instid0(VALU_DEP_1) | instskip(NEXT) | instid1(VALU_DEP_1)
	v_cndmask_b32_e64 v219, v219, 0, s12
	v_add_nc_u32_e32 v218, v219, v218
	s_delay_alu instid0(VALU_DEP_1) | instskip(NEXT) | instid1(VALU_DEP_1)
	v_mov_b32_dpp v219, v218 row_shr:2 row_mask:0xf bank_mask:0xf
	v_cndmask_b32_e64 v219, 0, v219, s13
	s_delay_alu instid0(VALU_DEP_1) | instskip(NEXT) | instid1(VALU_DEP_1)
	v_add_nc_u32_e32 v218, v218, v219
	v_mov_b32_dpp v219, v218 row_shr:4 row_mask:0xf bank_mask:0xf
	s_delay_alu instid0(VALU_DEP_1) | instskip(NEXT) | instid1(VALU_DEP_1)
	v_cndmask_b32_e64 v219, 0, v219, s14
	v_add_nc_u32_e32 v218, v218, v219
	ds_store_b32 v122, v218 offset:1024
.LBB1113_1046:                          ;   in Loop: Header=BB1113_974 Depth=2
	s_or_b32 exec_lo, exec_lo, s15
	v_mov_b32_e32 v218, 0
	s_wait_dscnt 0x0
	s_barrier_signal -1
	s_barrier_wait -1
	s_and_saveexec_b32 s15, s5
; %bb.1047:                             ;   in Loop: Header=BB1113_974 Depth=2
	ds_load_b32 v218, v114 offset:1020
; %bb.1048:                             ;   in Loop: Header=BB1113_974 Depth=2
	s_or_b32 exec_lo, exec_lo, s15
	s_wait_dscnt 0x0
	v_add_nc_u32_e32 v217, v218, v217
	ds_bpermute_b32 v217, v147, v217
	s_wait_dscnt 0x0
	v_cndmask_b32_e64 v217, v217, v218, s6
	s_delay_alu instid0(VALU_DEP_1) | instskip(NEXT) | instid1(VALU_DEP_1)
	v_cndmask_b32_e64 v217, v217, 0, s2
	v_add_nc_u32_e32 v96, v217, v96
	s_delay_alu instid0(VALU_DEP_1) | instskip(NEXT) | instid1(VALU_DEP_1)
	v_add_nc_u32_e32 v97, v96, v97
	v_add_nc_u32_e32 v94, v97, v94
	s_delay_alu instid0(VALU_DEP_1) | instskip(NEXT) | instid1(VALU_DEP_1)
	v_add_nc_u32_e32 v95, v94, v95
	;; [unrolled: 3-line block ×3, first 2 shown]
	v_add_nc_u32_e32 v90, v93, v90
	s_delay_alu instid0(VALU_DEP_1)
	v_add_nc_u32_e32 v91, v90, v91
	ds_store_2addr_b32 v167, v93, v90 offset1:1
	ds_store_2addr_b32 v168, v217, v96 offset1:1
	;; [unrolled: 1-line block ×4, first 2 shown]
	ds_store_b32 v120, v91 offset:1088
	s_wait_dscnt 0x0
	s_barrier_signal -1
	s_barrier_wait -1
	ds_load_b32 v91, v171 offset:1056
	ds_load_b32 v96, v174 offset:1056
	;; [unrolled: 1-line block ×17, first 2 shown]
	v_mov_b32_e32 v90, 0x1000
	s_and_saveexec_b32 s15, s3
; %bb.1049:                             ;   in Loop: Header=BB1113_974 Depth=2
	ds_load_b32 v90, v120 offset:1092
; %bb.1050:                             ;   in Loop: Header=BB1113_974 Depth=2
	s_or_b32 exec_lo, exec_lo, s15
	s_wait_dscnt 0x0
	s_barrier_signal -1
	s_barrier_wait -1
	s_and_saveexec_b32 s15, s0
	s_cbranch_execz .LBB1113_1052
; %bb.1051:                             ;   in Loop: Header=BB1113_974 Depth=2
	ds_load_b32 v189, v3
	s_wait_dscnt 0x0
	v_sub_nc_u32_e32 v186, v189, v186
	ds_store_b32 v3, v186
.LBB1113_1052:                          ;   in Loop: Header=BB1113_974 Depth=2
	s_or_b32 exec_lo, exec_lo, s15
	v_dual_lshlrev_b32 v166, 3, v166 :: v_dual_lshlrev_b32 v173, 3, v173
	v_lshlrev_b32_e32 v172, 3, v172
	v_dual_lshlrev_b32 v96, 3, v96 :: v_dual_lshlrev_b32 v95, 3, v95
	s_delay_alu instid0(VALU_DEP_3)
	v_lshl_add_u32 v91, v91, 3, v166
	v_dual_lshlrev_b32 v176, 3, v176 :: v_dual_lshlrev_b32 v166, 3, v175
	v_dual_lshlrev_b32 v175, 3, v179 :: v_dual_lshlrev_b32 v178, 3, v178
	v_lshlrev_b32_e32 v179, 3, v181
	ds_store_b64 v91, v[58:59] offset:1024
	v_dual_lshlrev_b32 v58, 3, v94 :: v_dual_lshlrev_b32 v181, 3, v93
	v_dual_lshlrev_b32 v59, 3, v182 :: v_dual_lshlrev_b32 v182, 3, v185
	v_lshlrev_b32_e32 v184, 3, v184
	v_lshlrev_b32_e32 v185, 3, v92
	v_add3_u32 v92, v173, v172, v96
	v_add3_u32 v93, v176, v166, v95
	;; [unrolled: 1-line block ×4, first 2 shown]
	v_lshlrev_b32_e32 v59, 3, v187
	v_add3_u32 v96, v182, v184, v185
	ds_store_b64 v92, v[60:61] offset:1024
	ds_store_b64 v93, v[62:63] offset:1024
	;; [unrolled: 1-line block ×5, first 2 shown]
	v_dual_lshlrev_b32 v58, 3, v188 :: v_dual_lshlrev_b32 v61, 3, v191
	v_dual_lshlrev_b32 v60, 3, v183 :: v_dual_lshlrev_b32 v62, 3, v190
	;; [unrolled: 1-line block ×3, first 2 shown]
	v_lshlrev_b32_e32 v71, 3, v193
	v_dual_lshlrev_b32 v74, 3, v177 :: v_dual_lshlrev_b32 v78, 3, v196
	v_dual_lshlrev_b32 v75, 3, v197 :: v_dual_lshlrev_b32 v79, 3, v174
	;; [unrolled: 1-line block ×3, first 2 shown]
	v_lshlrev_b32_e32 v171, 3, v171
	v_add3_u32 v60, v58, v59, v60
	v_add3_u32 v61, v61, v62, v63
	v_add3_u32 v62, v70, v71, v74
	v_add3_u32 v63, v75, v78, v79
	v_lshlrev_b32_e32 v59, 3, v202
	v_add3_u32 v70, v166, v172, v171
	ds_store_b64 v60, v[82:83] offset:1024
	ds_store_b64 v61, v[86:87] offset:1024
	;; [unrolled: 1-line block ×5, first 2 shown]
	v_dual_lshlrev_b32 v58, 3, v203 :: v_dual_lshlrev_b32 v71, 3, v170
	v_dual_lshlrev_b32 v74, 3, v206 :: v_dual_lshlrev_b32 v75, 3, v205
	;; [unrolled: 1-line block ×6, first 2 shown]
	v_lshlrev_b32_e32 v86, 3, v213
	v_lshlrev_b32_e32 v87, 3, v97
	v_add3_u32 v71, v58, v59, v71
	v_add3_u32 v74, v74, v75, v78
	;; [unrolled: 1-line block ×5, first 2 shown]
	v_cmp_lt_u32_e32 vcc_lo, v2, v165
	ds_store_b64 v71, v[76:77] offset:1024
	ds_store_b64 v74, v[72:73] offset:1024
	;; [unrolled: 1-line block ×5, first 2 shown]
	s_wait_dscnt 0x0
	s_barrier_signal -1
	s_barrier_wait -1
	s_and_saveexec_b32 s16, vcc_lo
	s_cbranch_execnz .LBB1113_1121
; %bb.1053:                             ;   in Loop: Header=BB1113_974 Depth=2
	s_or_b32 exec_lo, exec_lo, s16
	v_cmp_lt_u32_e64 s15, v98, v165
	s_and_saveexec_b32 s17, s15
	s_cbranch_execnz .LBB1113_1122
.LBB1113_1054:                          ;   in Loop: Header=BB1113_974 Depth=2
	s_or_b32 exec_lo, exec_lo, s17
	v_cmp_lt_u32_e64 s16, v99, v165
	s_and_saveexec_b32 s18, s16
	s_cbranch_execnz .LBB1113_1123
.LBB1113_1055:                          ;   in Loop: Header=BB1113_974 Depth=2
	s_or_b32 exec_lo, exec_lo, s18
	v_cmp_lt_u32_e64 s17, v100, v165
	s_and_saveexec_b32 s19, s17
	s_cbranch_execnz .LBB1113_1124
.LBB1113_1056:                          ;   in Loop: Header=BB1113_974 Depth=2
	s_or_b32 exec_lo, exec_lo, s19
	v_cmp_lt_u32_e64 s18, v101, v165
	s_and_saveexec_b32 s20, s18
	s_cbranch_execnz .LBB1113_1125
.LBB1113_1057:                          ;   in Loop: Header=BB1113_974 Depth=2
	s_or_b32 exec_lo, exec_lo, s20
	v_cmp_lt_u32_e64 s19, v102, v165
	s_and_saveexec_b32 s21, s19
	s_cbranch_execnz .LBB1113_1126
.LBB1113_1058:                          ;   in Loop: Header=BB1113_974 Depth=2
	s_or_b32 exec_lo, exec_lo, s21
	v_cmp_lt_u32_e64 s20, v103, v165
	s_and_saveexec_b32 s22, s20
	s_cbranch_execnz .LBB1113_1127
.LBB1113_1059:                          ;   in Loop: Header=BB1113_974 Depth=2
	s_or_b32 exec_lo, exec_lo, s22
	v_cmp_lt_u32_e64 s21, v104, v165
	s_and_saveexec_b32 s23, s21
	s_cbranch_execnz .LBB1113_1128
.LBB1113_1060:                          ;   in Loop: Header=BB1113_974 Depth=2
	s_or_b32 exec_lo, exec_lo, s23
	v_cmp_lt_u32_e64 s22, v105, v165
	s_and_saveexec_b32 s24, s22
	s_cbranch_execnz .LBB1113_1129
.LBB1113_1061:                          ;   in Loop: Header=BB1113_974 Depth=2
	s_or_b32 exec_lo, exec_lo, s24
	v_cmp_lt_u32_e64 s23, v106, v165
	s_and_saveexec_b32 s25, s23
	s_cbranch_execnz .LBB1113_1130
.LBB1113_1062:                          ;   in Loop: Header=BB1113_974 Depth=2
	s_or_b32 exec_lo, exec_lo, s25
	v_cmp_lt_u32_e64 s24, v107, v165
	s_and_saveexec_b32 s26, s24
	s_cbranch_execnz .LBB1113_1131
.LBB1113_1063:                          ;   in Loop: Header=BB1113_974 Depth=2
	s_or_b32 exec_lo, exec_lo, s26
	v_cmp_lt_u32_e64 s25, v108, v165
	s_and_saveexec_b32 s27, s25
	s_cbranch_execnz .LBB1113_1132
.LBB1113_1064:                          ;   in Loop: Header=BB1113_974 Depth=2
	s_or_b32 exec_lo, exec_lo, s27
	v_cmp_lt_u32_e64 s26, v109, v165
	s_and_saveexec_b32 s28, s26
	s_cbranch_execnz .LBB1113_1133
.LBB1113_1065:                          ;   in Loop: Header=BB1113_974 Depth=2
	s_or_b32 exec_lo, exec_lo, s28
	v_cmp_lt_u32_e64 s27, v110, v165
	s_and_saveexec_b32 s29, s27
	s_cbranch_execnz .LBB1113_1134
.LBB1113_1066:                          ;   in Loop: Header=BB1113_974 Depth=2
	s_or_b32 exec_lo, exec_lo, s29
	v_cmp_lt_u32_e64 s28, v111, v165
	s_and_saveexec_b32 s30, s28
	s_cbranch_execnz .LBB1113_1135
.LBB1113_1067:                          ;   in Loop: Header=BB1113_974 Depth=2
	s_or_b32 exec_lo, exec_lo, s30
	v_cmp_lt_u32_e64 s29, v112, v165
	s_and_saveexec_b32 s61, s29
	s_cbranch_execz .LBB1113_1069
.LBB1113_1068:                          ;   in Loop: Header=BB1113_974 Depth=2
	ds_load_b64 v[58:59], v123 offset:31744
	s_wait_dscnt 0x0
	v_cmp_ne_u64_e64 s30, s[42:43], v[58:59]
	s_delay_alu instid0(VALU_DEP_1) | instskip(SKIP_2) | instid1(VALU_DEP_2)
	v_cndmask_b32_e64 v65, 0x7fffffff, v59, s30
	v_cndmask_b32_e64 v64, -1, v58, s30
	v_cmp_gt_i64_e64 s30, 0, v[58:59]
	v_lshrrev_b64 v[64:65], s48, v[64:65]
	v_ashrrev_i32_e32 v65, 31, v59
	s_delay_alu instid0(VALU_DEP_3) | instskip(NEXT) | instid1(VALU_DEP_2)
	v_cndmask_b32_e64 v66, 0x7fffffff, 0, s30
	v_not_b32_e32 v65, v65
	s_delay_alu instid0(VALU_DEP_4) | instskip(NEXT) | instid1(VALU_DEP_1)
	v_and_b32_e32 v64, s55, v64
	v_dual_lshlrev_b32 v64, 2, v64 :: v_dual_bitop2_b32 v59, v66, v59 bitop3:0x14
	ds_load_b32 v64, v64
	s_wait_dscnt 0x0
	v_dual_add_nc_u32 v64, v64, v112 :: v_dual_bitop2_b32 v58, v65, v58 bitop3:0x14
	global_store_b64 v64, v[58:59], s[40:41] scale_offset
.LBB1113_1069:                          ;   in Loop: Header=BB1113_974 Depth=2
	s_wait_xcnt 0x0
	s_or_b32 exec_lo, exec_lo, s61
	v_lshl_add_u64 v[58:59], s[34:35], 3, v[22:23]
	v_cmp_lt_u32_e64 s30, v129, v165
	s_and_saveexec_b32 s34, s30
	s_delay_alu instid0(SALU_CYCLE_1)
	s_xor_b32 s30, exec_lo, s34
	s_cbranch_execnz .LBB1113_1136
; %bb.1070:                             ;   in Loop: Header=BB1113_974 Depth=2
	s_or_b32 exec_lo, exec_lo, s30
	s_delay_alu instid0(SALU_CYCLE_1)
	s_mov_b32 s34, exec_lo
	v_cmpx_lt_u32_e64 v132, v165
	s_cbranch_execnz .LBB1113_1137
.LBB1113_1071:                          ;   in Loop: Header=BB1113_974 Depth=2
	s_or_b32 exec_lo, exec_lo, s34
	s_delay_alu instid0(SALU_CYCLE_1)
	s_mov_b32 s34, exec_lo
	v_cmpx_lt_u32_e64 v133, v165
	s_cbranch_execnz .LBB1113_1138
.LBB1113_1072:                          ;   in Loop: Header=BB1113_974 Depth=2
	s_or_b32 exec_lo, exec_lo, s34
	s_delay_alu instid0(SALU_CYCLE_1)
	s_mov_b32 s34, exec_lo
	v_cmpx_lt_u32_e64 v134, v165
	s_cbranch_execnz .LBB1113_1139
.LBB1113_1073:                          ;   in Loop: Header=BB1113_974 Depth=2
	s_or_b32 exec_lo, exec_lo, s34
	s_delay_alu instid0(SALU_CYCLE_1)
	s_mov_b32 s34, exec_lo
	v_cmpx_lt_u32_e64 v135, v165
	s_cbranch_execnz .LBB1113_1140
.LBB1113_1074:                          ;   in Loop: Header=BB1113_974 Depth=2
	s_or_b32 exec_lo, exec_lo, s34
	s_delay_alu instid0(SALU_CYCLE_1)
	s_mov_b32 s34, exec_lo
	v_cmpx_lt_u32_e64 v136, v165
	s_cbranch_execnz .LBB1113_1141
.LBB1113_1075:                          ;   in Loop: Header=BB1113_974 Depth=2
	s_or_b32 exec_lo, exec_lo, s34
	s_delay_alu instid0(SALU_CYCLE_1)
	s_mov_b32 s34, exec_lo
	v_cmpx_lt_u32_e64 v137, v165
	s_cbranch_execnz .LBB1113_1142
.LBB1113_1076:                          ;   in Loop: Header=BB1113_974 Depth=2
	s_or_b32 exec_lo, exec_lo, s34
	s_delay_alu instid0(SALU_CYCLE_1)
	s_mov_b32 s34, exec_lo
	v_cmpx_lt_u32_e64 v138, v165
	s_cbranch_execnz .LBB1113_1143
.LBB1113_1077:                          ;   in Loop: Header=BB1113_974 Depth=2
	s_or_b32 exec_lo, exec_lo, s34
	s_delay_alu instid0(SALU_CYCLE_1)
	s_mov_b32 s34, exec_lo
	v_cmpx_lt_u32_e64 v139, v165
	s_cbranch_execnz .LBB1113_1144
.LBB1113_1078:                          ;   in Loop: Header=BB1113_974 Depth=2
	s_or_b32 exec_lo, exec_lo, s34
	s_delay_alu instid0(SALU_CYCLE_1)
	s_mov_b32 s34, exec_lo
	v_cmpx_lt_u32_e64 v140, v165
	s_cbranch_execnz .LBB1113_1145
.LBB1113_1079:                          ;   in Loop: Header=BB1113_974 Depth=2
	s_or_b32 exec_lo, exec_lo, s34
	s_delay_alu instid0(SALU_CYCLE_1)
	s_mov_b32 s34, exec_lo
	v_cmpx_lt_u32_e64 v141, v165
	s_cbranch_execnz .LBB1113_1146
.LBB1113_1080:                          ;   in Loop: Header=BB1113_974 Depth=2
	s_or_b32 exec_lo, exec_lo, s34
	s_delay_alu instid0(SALU_CYCLE_1)
	s_mov_b32 s34, exec_lo
	v_cmpx_lt_u32_e64 v142, v165
	s_cbranch_execnz .LBB1113_1147
.LBB1113_1081:                          ;   in Loop: Header=BB1113_974 Depth=2
	s_or_b32 exec_lo, exec_lo, s34
	s_delay_alu instid0(SALU_CYCLE_1)
	s_mov_b32 s34, exec_lo
	v_cmpx_lt_u32_e64 v143, v165
	s_cbranch_execnz .LBB1113_1148
.LBB1113_1082:                          ;   in Loop: Header=BB1113_974 Depth=2
	s_or_b32 exec_lo, exec_lo, s34
	s_delay_alu instid0(SALU_CYCLE_1)
	s_mov_b32 s34, exec_lo
	v_cmpx_lt_u32_e64 v144, v165
	s_cbranch_execnz .LBB1113_1149
.LBB1113_1083:                          ;   in Loop: Header=BB1113_974 Depth=2
	s_or_b32 exec_lo, exec_lo, s34
	s_delay_alu instid0(SALU_CYCLE_1)
	s_mov_b32 s34, exec_lo
	v_cmpx_lt_u32_e64 v145, v165
	s_cbranch_execnz .LBB1113_1150
.LBB1113_1084:                          ;   in Loop: Header=BB1113_974 Depth=2
	s_or_b32 exec_lo, exec_lo, s34
	s_delay_alu instid0(SALU_CYCLE_1)
	s_mov_b32 s34, exec_lo
	v_cmpx_lt_u32_e64 v146, v165
	s_cbranch_execnz .LBB1113_1151
.LBB1113_1085:                          ;   in Loop: Header=BB1113_974 Depth=2
	s_or_b32 exec_lo, exec_lo, s34
	s_and_saveexec_b32 s34, vcc_lo
	s_cbranch_execnz .LBB1113_1152
.LBB1113_1086:                          ;   in Loop: Header=BB1113_974 Depth=2
	s_or_b32 exec_lo, exec_lo, s34
	s_and_saveexec_b32 s34, s15
	s_cbranch_execnz .LBB1113_1153
.LBB1113_1087:                          ;   in Loop: Header=BB1113_974 Depth=2
	s_or_b32 exec_lo, exec_lo, s34
	s_and_saveexec_b32 s34, s16
	s_cbranch_execnz .LBB1113_1154
.LBB1113_1088:                          ;   in Loop: Header=BB1113_974 Depth=2
	s_or_b32 exec_lo, exec_lo, s34
	s_and_saveexec_b32 s34, s17
	s_cbranch_execnz .LBB1113_1155
.LBB1113_1089:                          ;   in Loop: Header=BB1113_974 Depth=2
	s_or_b32 exec_lo, exec_lo, s34
	s_and_saveexec_b32 s34, s18
	s_cbranch_execnz .LBB1113_1156
.LBB1113_1090:                          ;   in Loop: Header=BB1113_974 Depth=2
	s_or_b32 exec_lo, exec_lo, s34
	s_and_saveexec_b32 s34, s19
	s_cbranch_execnz .LBB1113_1157
.LBB1113_1091:                          ;   in Loop: Header=BB1113_974 Depth=2
	s_or_b32 exec_lo, exec_lo, s34
	s_and_saveexec_b32 s34, s20
	s_cbranch_execnz .LBB1113_1158
.LBB1113_1092:                          ;   in Loop: Header=BB1113_974 Depth=2
	s_or_b32 exec_lo, exec_lo, s34
	s_and_saveexec_b32 s34, s21
	s_cbranch_execnz .LBB1113_1159
.LBB1113_1093:                          ;   in Loop: Header=BB1113_974 Depth=2
	s_or_b32 exec_lo, exec_lo, s34
	s_and_saveexec_b32 s34, s22
	s_cbranch_execnz .LBB1113_1160
.LBB1113_1094:                          ;   in Loop: Header=BB1113_974 Depth=2
	s_or_b32 exec_lo, exec_lo, s34
	s_and_saveexec_b32 s34, s23
	s_cbranch_execnz .LBB1113_1161
.LBB1113_1095:                          ;   in Loop: Header=BB1113_974 Depth=2
	s_or_b32 exec_lo, exec_lo, s34
	s_and_saveexec_b32 s34, s24
	s_cbranch_execnz .LBB1113_1162
.LBB1113_1096:                          ;   in Loop: Header=BB1113_974 Depth=2
	s_or_b32 exec_lo, exec_lo, s34
	s_and_saveexec_b32 s34, s25
	s_cbranch_execnz .LBB1113_1163
.LBB1113_1097:                          ;   in Loop: Header=BB1113_974 Depth=2
	s_or_b32 exec_lo, exec_lo, s34
	s_and_saveexec_b32 s34, s26
	s_cbranch_execnz .LBB1113_1164
.LBB1113_1098:                          ;   in Loop: Header=BB1113_974 Depth=2
	s_or_b32 exec_lo, exec_lo, s34
	s_and_saveexec_b32 s34, s27
	s_cbranch_execnz .LBB1113_1165
.LBB1113_1099:                          ;   in Loop: Header=BB1113_974 Depth=2
	s_or_b32 exec_lo, exec_lo, s34
	s_and_saveexec_b32 s34, s28
	s_cbranch_execnz .LBB1113_1166
.LBB1113_1100:                          ;   in Loop: Header=BB1113_974 Depth=2
	s_or_b32 exec_lo, exec_lo, s34
	s_and_saveexec_b32 s34, s29
	s_cbranch_execz .LBB1113_1102
.LBB1113_1101:                          ;   in Loop: Header=BB1113_974 Depth=2
	ds_load_b64 v[58:59], v123 offset:31744
	s_wait_dscnt 0x0
	v_cmp_ne_u64_e64 s30, s[42:43], v[58:59]
	s_delay_alu instid0(VALU_DEP_1) | instskip(SKIP_1) | instid1(VALU_DEP_1)
	v_cndmask_b32_e64 v59, 0x7fffffff, v59, s30
	v_cndmask_b32_e64 v58, -1, v58, s30
	v_lshrrev_b64 v[58:59], s48, v[58:59]
	s_delay_alu instid0(VALU_DEP_1)
	v_and_b32_e32 v149, s55, v58
.LBB1113_1102:                          ;   in Loop: Header=BB1113_974 Depth=2
	s_or_b32 exec_lo, exec_lo, s34
	s_wait_loadcnt 0x0
	s_wait_storecnt 0x0
	s_barrier_signal -1
	s_barrier_wait -1
	ds_store_b64 v91, v[56:57] offset:1024
	ds_store_b64 v92, v[54:55] offset:1024
	;; [unrolled: 1-line block ×16, first 2 shown]
	s_wait_dscnt 0x0
	s_barrier_signal -1
	s_barrier_wait -1
	s_and_saveexec_b32 s30, vcc_lo
	s_cbranch_execnz .LBB1113_1167
; %bb.1103:                             ;   in Loop: Header=BB1113_974 Depth=2
	s_or_b32 exec_lo, exec_lo, s30
	s_and_saveexec_b32 s30, s15
	s_cbranch_execnz .LBB1113_1168
.LBB1113_1104:                          ;   in Loop: Header=BB1113_974 Depth=2
	s_or_b32 exec_lo, exec_lo, s30
	s_and_saveexec_b32 s15, s16
	s_cbranch_execnz .LBB1113_1169
.LBB1113_1105:                          ;   in Loop: Header=BB1113_974 Depth=2
	s_or_b32 exec_lo, exec_lo, s15
	s_and_saveexec_b32 s15, s17
	s_cbranch_execnz .LBB1113_1170
.LBB1113_1106:                          ;   in Loop: Header=BB1113_974 Depth=2
	s_or_b32 exec_lo, exec_lo, s15
	s_and_saveexec_b32 s15, s18
	s_cbranch_execnz .LBB1113_1171
.LBB1113_1107:                          ;   in Loop: Header=BB1113_974 Depth=2
	s_or_b32 exec_lo, exec_lo, s15
	s_and_saveexec_b32 s15, s19
	s_cbranch_execnz .LBB1113_1172
.LBB1113_1108:                          ;   in Loop: Header=BB1113_974 Depth=2
	s_or_b32 exec_lo, exec_lo, s15
	s_and_saveexec_b32 s15, s20
	s_cbranch_execnz .LBB1113_1173
.LBB1113_1109:                          ;   in Loop: Header=BB1113_974 Depth=2
	s_or_b32 exec_lo, exec_lo, s15
	s_and_saveexec_b32 s15, s21
	s_cbranch_execnz .LBB1113_1174
.LBB1113_1110:                          ;   in Loop: Header=BB1113_974 Depth=2
	s_or_b32 exec_lo, exec_lo, s15
	s_and_saveexec_b32 s15, s22
	s_cbranch_execnz .LBB1113_1175
.LBB1113_1111:                          ;   in Loop: Header=BB1113_974 Depth=2
	s_or_b32 exec_lo, exec_lo, s15
	s_and_saveexec_b32 s15, s23
	s_cbranch_execnz .LBB1113_1176
.LBB1113_1112:                          ;   in Loop: Header=BB1113_974 Depth=2
	s_or_b32 exec_lo, exec_lo, s15
	s_and_saveexec_b32 s15, s24
	s_cbranch_execnz .LBB1113_1177
.LBB1113_1113:                          ;   in Loop: Header=BB1113_974 Depth=2
	s_or_b32 exec_lo, exec_lo, s15
	s_and_saveexec_b32 s15, s25
	s_cbranch_execnz .LBB1113_1178
.LBB1113_1114:                          ;   in Loop: Header=BB1113_974 Depth=2
	s_or_b32 exec_lo, exec_lo, s15
	s_and_saveexec_b32 s15, s26
	s_cbranch_execnz .LBB1113_1179
.LBB1113_1115:                          ;   in Loop: Header=BB1113_974 Depth=2
	s_or_b32 exec_lo, exec_lo, s15
	s_and_saveexec_b32 s15, s27
	s_cbranch_execnz .LBB1113_1180
.LBB1113_1116:                          ;   in Loop: Header=BB1113_974 Depth=2
	s_or_b32 exec_lo, exec_lo, s15
	s_and_saveexec_b32 s15, s28
	s_cbranch_execnz .LBB1113_1181
.LBB1113_1117:                          ;   in Loop: Header=BB1113_974 Depth=2
	s_or_b32 exec_lo, exec_lo, s15
	s_and_saveexec_b32 s15, s29
	s_cbranch_execz .LBB1113_1119
.LBB1113_1118:                          ;   in Loop: Header=BB1113_974 Depth=2
	v_lshlrev_b32_e32 v58, 2, v149
	ds_load_b32 v60, v58
	ds_load_b64 v[58:59], v123 offset:31744
	s_wait_dscnt 0x1
	v_add_nc_u32_e32 v60, v60, v112
	s_wait_dscnt 0x0
	global_store_b64 v60, v[58:59], s[46:47] scale_offset
.LBB1113_1119:                          ;   in Loop: Header=BB1113_974 Depth=2
	s_wait_xcnt 0x0
	s_or_b32 exec_lo, exec_lo, s15
	s_wait_storecnt 0x0
	s_barrier_signal -1
	s_barrier_wait -1
	s_and_saveexec_b32 s15, s0
	s_cbranch_execz .LBB1113_973
; %bb.1120:                             ;   in Loop: Header=BB1113_974 Depth=2
	ds_load_b32 v58, v3
	s_wait_dscnt 0x0
	v_add_nc_u32_e32 v58, v58, v90
	ds_store_b32 v3, v58
	s_branch .LBB1113_973
.LBB1113_1121:                          ;   in Loop: Header=BB1113_974 Depth=2
	ds_load_b64 v[58:59], v123 offset:1024
	s_wait_dscnt 0x0
	v_cmp_ne_u64_e64 s15, s[42:43], v[58:59]
	s_delay_alu instid0(VALU_DEP_1) | instskip(SKIP_2) | instid1(VALU_DEP_2)
	v_cndmask_b32_e64 v65, 0x7fffffff, v59, s15
	v_cndmask_b32_e64 v64, -1, v58, s15
	v_cmp_gt_i64_e64 s15, 0, v[58:59]
	v_lshrrev_b64 v[64:65], s48, v[64:65]
	v_ashrrev_i32_e32 v65, 31, v59
	s_delay_alu instid0(VALU_DEP_3) | instskip(NEXT) | instid1(VALU_DEP_2)
	v_cndmask_b32_e64 v66, 0x7fffffff, 0, s15
	v_not_b32_e32 v65, v65
	s_delay_alu instid0(VALU_DEP_4) | instskip(NEXT) | instid1(VALU_DEP_3)
	v_and_b32_e32 v64, s55, v64
	v_xor_b32_e32 v59, v66, v59
	s_delay_alu instid0(VALU_DEP_2)
	v_dual_lshlrev_b32 v64, 2, v64 :: v_dual_bitop2_b32 v58, v65, v58 bitop3:0x14
	ds_load_b32 v64, v64
	s_wait_dscnt 0x0
	v_add_nc_u32_e32 v64, v64, v2
	global_store_b64 v64, v[58:59], s[40:41] scale_offset
	s_wait_xcnt 0x0
	s_or_b32 exec_lo, exec_lo, s16
	v_cmp_lt_u32_e64 s15, v98, v165
	s_and_saveexec_b32 s17, s15
	s_cbranch_execz .LBB1113_1054
.LBB1113_1122:                          ;   in Loop: Header=BB1113_974 Depth=2
	ds_load_b64 v[58:59], v123 offset:3072
	s_wait_dscnt 0x0
	v_cmp_ne_u64_e64 s16, s[42:43], v[58:59]
	s_delay_alu instid0(VALU_DEP_1) | instskip(SKIP_2) | instid1(VALU_DEP_2)
	v_cndmask_b32_e64 v65, 0x7fffffff, v59, s16
	v_cndmask_b32_e64 v64, -1, v58, s16
	v_cmp_gt_i64_e64 s16, 0, v[58:59]
	v_lshrrev_b64 v[64:65], s48, v[64:65]
	v_ashrrev_i32_e32 v65, 31, v59
	s_delay_alu instid0(VALU_DEP_3) | instskip(NEXT) | instid1(VALU_DEP_2)
	v_cndmask_b32_e64 v66, 0x7fffffff, 0, s16
	v_not_b32_e32 v65, v65
	s_delay_alu instid0(VALU_DEP_4) | instskip(NEXT) | instid1(VALU_DEP_3)
	v_and_b32_e32 v64, s55, v64
	v_xor_b32_e32 v59, v66, v59
	s_delay_alu instid0(VALU_DEP_2)
	v_dual_lshlrev_b32 v64, 2, v64 :: v_dual_bitop2_b32 v58, v65, v58 bitop3:0x14
	ds_load_b32 v64, v64
	s_wait_dscnt 0x0
	v_add_nc_u32_e32 v64, v64, v98
	global_store_b64 v64, v[58:59], s[40:41] scale_offset
	s_wait_xcnt 0x0
	s_or_b32 exec_lo, exec_lo, s17
	v_cmp_lt_u32_e64 s16, v99, v165
	s_and_saveexec_b32 s18, s16
	s_cbranch_execz .LBB1113_1055
.LBB1113_1123:                          ;   in Loop: Header=BB1113_974 Depth=2
	ds_load_b64 v[58:59], v123 offset:5120
	s_wait_dscnt 0x0
	v_cmp_ne_u64_e64 s17, s[42:43], v[58:59]
	s_delay_alu instid0(VALU_DEP_1) | instskip(SKIP_2) | instid1(VALU_DEP_2)
	v_cndmask_b32_e64 v65, 0x7fffffff, v59, s17
	v_cndmask_b32_e64 v64, -1, v58, s17
	v_cmp_gt_i64_e64 s17, 0, v[58:59]
	v_lshrrev_b64 v[64:65], s48, v[64:65]
	v_ashrrev_i32_e32 v65, 31, v59
	s_delay_alu instid0(VALU_DEP_3) | instskip(NEXT) | instid1(VALU_DEP_2)
	v_cndmask_b32_e64 v66, 0x7fffffff, 0, s17
	v_not_b32_e32 v65, v65
	s_delay_alu instid0(VALU_DEP_4) | instskip(NEXT) | instid1(VALU_DEP_1)
	v_and_b32_e32 v64, s55, v64
	v_dual_lshlrev_b32 v64, 2, v64 :: v_dual_bitop2_b32 v59, v66, v59 bitop3:0x14
	ds_load_b32 v64, v64
	s_wait_dscnt 0x0
	v_dual_add_nc_u32 v64, v64, v99 :: v_dual_bitop2_b32 v58, v65, v58 bitop3:0x14
	global_store_b64 v64, v[58:59], s[40:41] scale_offset
	s_wait_xcnt 0x0
	s_or_b32 exec_lo, exec_lo, s18
	v_cmp_lt_u32_e64 s17, v100, v165
	s_and_saveexec_b32 s19, s17
	s_cbranch_execz .LBB1113_1056
.LBB1113_1124:                          ;   in Loop: Header=BB1113_974 Depth=2
	ds_load_b64 v[58:59], v123 offset:7168
	s_wait_dscnt 0x0
	v_cmp_ne_u64_e64 s18, s[42:43], v[58:59]
	s_delay_alu instid0(VALU_DEP_1) | instskip(SKIP_2) | instid1(VALU_DEP_2)
	v_cndmask_b32_e64 v65, 0x7fffffff, v59, s18
	v_cndmask_b32_e64 v64, -1, v58, s18
	v_cmp_gt_i64_e64 s18, 0, v[58:59]
	v_lshrrev_b64 v[64:65], s48, v[64:65]
	v_ashrrev_i32_e32 v65, 31, v59
	s_delay_alu instid0(VALU_DEP_3) | instskip(NEXT) | instid1(VALU_DEP_2)
	v_cndmask_b32_e64 v66, 0x7fffffff, 0, s18
	v_not_b32_e32 v65, v65
	s_delay_alu instid0(VALU_DEP_4) | instskip(NEXT) | instid1(VALU_DEP_1)
	v_and_b32_e32 v64, s55, v64
	v_dual_lshlrev_b32 v64, 2, v64 :: v_dual_bitop2_b32 v59, v66, v59 bitop3:0x14
	ds_load_b32 v64, v64
	s_wait_dscnt 0x0
	v_dual_add_nc_u32 v64, v64, v100 :: v_dual_bitop2_b32 v58, v65, v58 bitop3:0x14
	global_store_b64 v64, v[58:59], s[40:41] scale_offset
	s_wait_xcnt 0x0
	s_or_b32 exec_lo, exec_lo, s19
	v_cmp_lt_u32_e64 s18, v101, v165
	s_and_saveexec_b32 s20, s18
	s_cbranch_execz .LBB1113_1057
.LBB1113_1125:                          ;   in Loop: Header=BB1113_974 Depth=2
	ds_load_b64 v[58:59], v123 offset:9216
	s_wait_dscnt 0x0
	v_cmp_ne_u64_e64 s19, s[42:43], v[58:59]
	s_delay_alu instid0(VALU_DEP_1) | instskip(SKIP_2) | instid1(VALU_DEP_2)
	v_cndmask_b32_e64 v65, 0x7fffffff, v59, s19
	v_cndmask_b32_e64 v64, -1, v58, s19
	v_cmp_gt_i64_e64 s19, 0, v[58:59]
	v_lshrrev_b64 v[64:65], s48, v[64:65]
	v_ashrrev_i32_e32 v65, 31, v59
	s_delay_alu instid0(VALU_DEP_3) | instskip(NEXT) | instid1(VALU_DEP_2)
	v_cndmask_b32_e64 v66, 0x7fffffff, 0, s19
	v_not_b32_e32 v65, v65
	s_delay_alu instid0(VALU_DEP_4) | instskip(NEXT) | instid1(VALU_DEP_1)
	v_and_b32_e32 v64, s55, v64
	v_dual_lshlrev_b32 v64, 2, v64 :: v_dual_bitop2_b32 v59, v66, v59 bitop3:0x14
	ds_load_b32 v64, v64
	s_wait_dscnt 0x0
	v_dual_add_nc_u32 v64, v64, v101 :: v_dual_bitop2_b32 v58, v65, v58 bitop3:0x14
	global_store_b64 v64, v[58:59], s[40:41] scale_offset
	s_wait_xcnt 0x0
	s_or_b32 exec_lo, exec_lo, s20
	v_cmp_lt_u32_e64 s19, v102, v165
	s_and_saveexec_b32 s21, s19
	s_cbranch_execz .LBB1113_1058
.LBB1113_1126:                          ;   in Loop: Header=BB1113_974 Depth=2
	ds_load_b64 v[58:59], v123 offset:11264
	s_wait_dscnt 0x0
	v_cmp_ne_u64_e64 s20, s[42:43], v[58:59]
	s_delay_alu instid0(VALU_DEP_1) | instskip(SKIP_2) | instid1(VALU_DEP_2)
	v_cndmask_b32_e64 v65, 0x7fffffff, v59, s20
	v_cndmask_b32_e64 v64, -1, v58, s20
	v_cmp_gt_i64_e64 s20, 0, v[58:59]
	v_lshrrev_b64 v[64:65], s48, v[64:65]
	v_ashrrev_i32_e32 v65, 31, v59
	s_delay_alu instid0(VALU_DEP_3) | instskip(NEXT) | instid1(VALU_DEP_2)
	v_cndmask_b32_e64 v66, 0x7fffffff, 0, s20
	v_not_b32_e32 v65, v65
	s_delay_alu instid0(VALU_DEP_4) | instskip(NEXT) | instid1(VALU_DEP_3)
	v_and_b32_e32 v64, s55, v64
	v_xor_b32_e32 v59, v66, v59
	s_delay_alu instid0(VALU_DEP_2)
	v_dual_lshlrev_b32 v64, 2, v64 :: v_dual_bitop2_b32 v58, v65, v58 bitop3:0x14
	ds_load_b32 v64, v64
	s_wait_dscnt 0x0
	v_add_nc_u32_e32 v64, v64, v102
	global_store_b64 v64, v[58:59], s[40:41] scale_offset
	s_wait_xcnt 0x0
	s_or_b32 exec_lo, exec_lo, s21
	v_cmp_lt_u32_e64 s20, v103, v165
	s_and_saveexec_b32 s22, s20
	s_cbranch_execz .LBB1113_1059
.LBB1113_1127:                          ;   in Loop: Header=BB1113_974 Depth=2
	ds_load_b64 v[58:59], v123 offset:13312
	s_wait_dscnt 0x0
	v_cmp_ne_u64_e64 s21, s[42:43], v[58:59]
	s_delay_alu instid0(VALU_DEP_1) | instskip(SKIP_2) | instid1(VALU_DEP_2)
	v_cndmask_b32_e64 v65, 0x7fffffff, v59, s21
	v_cndmask_b32_e64 v64, -1, v58, s21
	v_cmp_gt_i64_e64 s21, 0, v[58:59]
	v_lshrrev_b64 v[64:65], s48, v[64:65]
	v_ashrrev_i32_e32 v65, 31, v59
	s_delay_alu instid0(VALU_DEP_3) | instskip(NEXT) | instid1(VALU_DEP_2)
	v_cndmask_b32_e64 v66, 0x7fffffff, 0, s21
	v_not_b32_e32 v65, v65
	s_delay_alu instid0(VALU_DEP_4) | instskip(NEXT) | instid1(VALU_DEP_1)
	v_and_b32_e32 v64, s55, v64
	v_dual_lshlrev_b32 v64, 2, v64 :: v_dual_bitop2_b32 v59, v66, v59 bitop3:0x14
	ds_load_b32 v64, v64
	s_wait_dscnt 0x0
	v_dual_add_nc_u32 v64, v64, v103 :: v_dual_bitop2_b32 v58, v65, v58 bitop3:0x14
	global_store_b64 v64, v[58:59], s[40:41] scale_offset
	s_wait_xcnt 0x0
	s_or_b32 exec_lo, exec_lo, s22
	v_cmp_lt_u32_e64 s21, v104, v165
	s_and_saveexec_b32 s23, s21
	s_cbranch_execz .LBB1113_1060
.LBB1113_1128:                          ;   in Loop: Header=BB1113_974 Depth=2
	ds_load_b64 v[58:59], v123 offset:15360
	s_wait_dscnt 0x0
	v_cmp_ne_u64_e64 s22, s[42:43], v[58:59]
	s_delay_alu instid0(VALU_DEP_1) | instskip(SKIP_2) | instid1(VALU_DEP_2)
	v_cndmask_b32_e64 v65, 0x7fffffff, v59, s22
	v_cndmask_b32_e64 v64, -1, v58, s22
	v_cmp_gt_i64_e64 s22, 0, v[58:59]
	v_lshrrev_b64 v[64:65], s48, v[64:65]
	v_ashrrev_i32_e32 v65, 31, v59
	s_delay_alu instid0(VALU_DEP_3) | instskip(NEXT) | instid1(VALU_DEP_2)
	v_cndmask_b32_e64 v66, 0x7fffffff, 0, s22
	v_not_b32_e32 v65, v65
	s_delay_alu instid0(VALU_DEP_4) | instskip(NEXT) | instid1(VALU_DEP_1)
	v_and_b32_e32 v64, s55, v64
	v_dual_lshlrev_b32 v64, 2, v64 :: v_dual_bitop2_b32 v59, v66, v59 bitop3:0x14
	ds_load_b32 v64, v64
	s_wait_dscnt 0x0
	v_dual_add_nc_u32 v64, v64, v104 :: v_dual_bitop2_b32 v58, v65, v58 bitop3:0x14
	global_store_b64 v64, v[58:59], s[40:41] scale_offset
	s_wait_xcnt 0x0
	s_or_b32 exec_lo, exec_lo, s23
	v_cmp_lt_u32_e64 s22, v105, v165
	s_and_saveexec_b32 s24, s22
	s_cbranch_execz .LBB1113_1061
.LBB1113_1129:                          ;   in Loop: Header=BB1113_974 Depth=2
	ds_load_b64 v[58:59], v123 offset:17408
	s_wait_dscnt 0x0
	v_cmp_ne_u64_e64 s23, s[42:43], v[58:59]
	s_delay_alu instid0(VALU_DEP_1) | instskip(SKIP_2) | instid1(VALU_DEP_2)
	v_cndmask_b32_e64 v65, 0x7fffffff, v59, s23
	v_cndmask_b32_e64 v64, -1, v58, s23
	v_cmp_gt_i64_e64 s23, 0, v[58:59]
	v_lshrrev_b64 v[64:65], s48, v[64:65]
	v_ashrrev_i32_e32 v65, 31, v59
	s_delay_alu instid0(VALU_DEP_3) | instskip(NEXT) | instid1(VALU_DEP_2)
	v_cndmask_b32_e64 v66, 0x7fffffff, 0, s23
	v_not_b32_e32 v65, v65
	s_delay_alu instid0(VALU_DEP_4) | instskip(NEXT) | instid1(VALU_DEP_1)
	v_and_b32_e32 v64, s55, v64
	v_dual_lshlrev_b32 v64, 2, v64 :: v_dual_bitop2_b32 v59, v66, v59 bitop3:0x14
	ds_load_b32 v64, v64
	s_wait_dscnt 0x0
	v_dual_add_nc_u32 v64, v64, v105 :: v_dual_bitop2_b32 v58, v65, v58 bitop3:0x14
	global_store_b64 v64, v[58:59], s[40:41] scale_offset
	s_wait_xcnt 0x0
	s_or_b32 exec_lo, exec_lo, s24
	v_cmp_lt_u32_e64 s23, v106, v165
	s_and_saveexec_b32 s25, s23
	s_cbranch_execz .LBB1113_1062
.LBB1113_1130:                          ;   in Loop: Header=BB1113_974 Depth=2
	ds_load_b64 v[58:59], v123 offset:19456
	s_wait_dscnt 0x0
	v_cmp_ne_u64_e64 s24, s[42:43], v[58:59]
	s_delay_alu instid0(VALU_DEP_1) | instskip(SKIP_2) | instid1(VALU_DEP_2)
	v_cndmask_b32_e64 v65, 0x7fffffff, v59, s24
	v_cndmask_b32_e64 v64, -1, v58, s24
	v_cmp_gt_i64_e64 s24, 0, v[58:59]
	v_lshrrev_b64 v[64:65], s48, v[64:65]
	v_ashrrev_i32_e32 v65, 31, v59
	s_delay_alu instid0(VALU_DEP_3) | instskip(NEXT) | instid1(VALU_DEP_2)
	v_cndmask_b32_e64 v66, 0x7fffffff, 0, s24
	v_not_b32_e32 v65, v65
	s_delay_alu instid0(VALU_DEP_4) | instskip(NEXT) | instid1(VALU_DEP_3)
	v_and_b32_e32 v64, s55, v64
	v_xor_b32_e32 v59, v66, v59
	s_delay_alu instid0(VALU_DEP_2)
	v_dual_lshlrev_b32 v64, 2, v64 :: v_dual_bitop2_b32 v58, v65, v58 bitop3:0x14
	ds_load_b32 v64, v64
	s_wait_dscnt 0x0
	v_add_nc_u32_e32 v64, v64, v106
	global_store_b64 v64, v[58:59], s[40:41] scale_offset
	s_wait_xcnt 0x0
	s_or_b32 exec_lo, exec_lo, s25
	v_cmp_lt_u32_e64 s24, v107, v165
	s_and_saveexec_b32 s26, s24
	s_cbranch_execz .LBB1113_1063
.LBB1113_1131:                          ;   in Loop: Header=BB1113_974 Depth=2
	ds_load_b64 v[58:59], v123 offset:21504
	s_wait_dscnt 0x0
	v_cmp_ne_u64_e64 s25, s[42:43], v[58:59]
	s_delay_alu instid0(VALU_DEP_1) | instskip(SKIP_2) | instid1(VALU_DEP_2)
	v_cndmask_b32_e64 v65, 0x7fffffff, v59, s25
	v_cndmask_b32_e64 v64, -1, v58, s25
	v_cmp_gt_i64_e64 s25, 0, v[58:59]
	v_lshrrev_b64 v[64:65], s48, v[64:65]
	v_ashrrev_i32_e32 v65, 31, v59
	s_delay_alu instid0(VALU_DEP_3) | instskip(NEXT) | instid1(VALU_DEP_2)
	v_cndmask_b32_e64 v66, 0x7fffffff, 0, s25
	v_not_b32_e32 v65, v65
	s_delay_alu instid0(VALU_DEP_4) | instskip(NEXT) | instid1(VALU_DEP_1)
	v_and_b32_e32 v64, s55, v64
	v_dual_lshlrev_b32 v64, 2, v64 :: v_dual_bitop2_b32 v59, v66, v59 bitop3:0x14
	ds_load_b32 v64, v64
	s_wait_dscnt 0x0
	v_dual_add_nc_u32 v64, v64, v107 :: v_dual_bitop2_b32 v58, v65, v58 bitop3:0x14
	global_store_b64 v64, v[58:59], s[40:41] scale_offset
	s_wait_xcnt 0x0
	s_or_b32 exec_lo, exec_lo, s26
	v_cmp_lt_u32_e64 s25, v108, v165
	s_and_saveexec_b32 s27, s25
	s_cbranch_execz .LBB1113_1064
.LBB1113_1132:                          ;   in Loop: Header=BB1113_974 Depth=2
	ds_load_b64 v[58:59], v123 offset:23552
	s_wait_dscnt 0x0
	v_cmp_ne_u64_e64 s26, s[42:43], v[58:59]
	s_delay_alu instid0(VALU_DEP_1) | instskip(SKIP_2) | instid1(VALU_DEP_2)
	v_cndmask_b32_e64 v65, 0x7fffffff, v59, s26
	v_cndmask_b32_e64 v64, -1, v58, s26
	v_cmp_gt_i64_e64 s26, 0, v[58:59]
	v_lshrrev_b64 v[64:65], s48, v[64:65]
	v_ashrrev_i32_e32 v65, 31, v59
	s_delay_alu instid0(VALU_DEP_3) | instskip(NEXT) | instid1(VALU_DEP_2)
	v_cndmask_b32_e64 v66, 0x7fffffff, 0, s26
	v_not_b32_e32 v65, v65
	s_delay_alu instid0(VALU_DEP_4) | instskip(NEXT) | instid1(VALU_DEP_1)
	v_and_b32_e32 v64, s55, v64
	v_dual_lshlrev_b32 v64, 2, v64 :: v_dual_bitop2_b32 v59, v66, v59 bitop3:0x14
	ds_load_b32 v64, v64
	s_wait_dscnt 0x0
	v_dual_add_nc_u32 v64, v64, v108 :: v_dual_bitop2_b32 v58, v65, v58 bitop3:0x14
	global_store_b64 v64, v[58:59], s[40:41] scale_offset
	s_wait_xcnt 0x0
	s_or_b32 exec_lo, exec_lo, s27
	v_cmp_lt_u32_e64 s26, v109, v165
	s_and_saveexec_b32 s28, s26
	s_cbranch_execz .LBB1113_1065
.LBB1113_1133:                          ;   in Loop: Header=BB1113_974 Depth=2
	ds_load_b64 v[58:59], v123 offset:25600
	s_wait_dscnt 0x0
	v_cmp_ne_u64_e64 s27, s[42:43], v[58:59]
	s_delay_alu instid0(VALU_DEP_1) | instskip(SKIP_2) | instid1(VALU_DEP_2)
	v_cndmask_b32_e64 v65, 0x7fffffff, v59, s27
	v_cndmask_b32_e64 v64, -1, v58, s27
	v_cmp_gt_i64_e64 s27, 0, v[58:59]
	v_lshrrev_b64 v[64:65], s48, v[64:65]
	v_ashrrev_i32_e32 v65, 31, v59
	s_delay_alu instid0(VALU_DEP_3) | instskip(NEXT) | instid1(VALU_DEP_2)
	v_cndmask_b32_e64 v66, 0x7fffffff, 0, s27
	v_not_b32_e32 v65, v65
	s_delay_alu instid0(VALU_DEP_4) | instskip(NEXT) | instid1(VALU_DEP_1)
	v_and_b32_e32 v64, s55, v64
	v_dual_lshlrev_b32 v64, 2, v64 :: v_dual_bitop2_b32 v59, v66, v59 bitop3:0x14
	ds_load_b32 v64, v64
	s_wait_dscnt 0x0
	v_dual_add_nc_u32 v64, v64, v109 :: v_dual_bitop2_b32 v58, v65, v58 bitop3:0x14
	global_store_b64 v64, v[58:59], s[40:41] scale_offset
	s_wait_xcnt 0x0
	s_or_b32 exec_lo, exec_lo, s28
	v_cmp_lt_u32_e64 s27, v110, v165
	s_and_saveexec_b32 s29, s27
	s_cbranch_execz .LBB1113_1066
.LBB1113_1134:                          ;   in Loop: Header=BB1113_974 Depth=2
	ds_load_b64 v[58:59], v123 offset:27648
	s_wait_dscnt 0x0
	v_cmp_ne_u64_e64 s28, s[42:43], v[58:59]
	s_delay_alu instid0(VALU_DEP_1) | instskip(SKIP_2) | instid1(VALU_DEP_2)
	v_cndmask_b32_e64 v65, 0x7fffffff, v59, s28
	v_cndmask_b32_e64 v64, -1, v58, s28
	v_cmp_gt_i64_e64 s28, 0, v[58:59]
	v_lshrrev_b64 v[64:65], s48, v[64:65]
	v_ashrrev_i32_e32 v65, 31, v59
	s_delay_alu instid0(VALU_DEP_3) | instskip(NEXT) | instid1(VALU_DEP_2)
	v_cndmask_b32_e64 v66, 0x7fffffff, 0, s28
	v_not_b32_e32 v65, v65
	s_delay_alu instid0(VALU_DEP_4) | instskip(NEXT) | instid1(VALU_DEP_3)
	v_and_b32_e32 v64, s55, v64
	v_xor_b32_e32 v59, v66, v59
	s_delay_alu instid0(VALU_DEP_2)
	v_dual_lshlrev_b32 v64, 2, v64 :: v_dual_bitop2_b32 v58, v65, v58 bitop3:0x14
	ds_load_b32 v64, v64
	s_wait_dscnt 0x0
	v_add_nc_u32_e32 v64, v64, v110
	global_store_b64 v64, v[58:59], s[40:41] scale_offset
	s_wait_xcnt 0x0
	s_or_b32 exec_lo, exec_lo, s29
	v_cmp_lt_u32_e64 s28, v111, v165
	s_and_saveexec_b32 s30, s28
	s_cbranch_execz .LBB1113_1067
.LBB1113_1135:                          ;   in Loop: Header=BB1113_974 Depth=2
	ds_load_b64 v[58:59], v123 offset:29696
	s_wait_dscnt 0x0
	v_cmp_ne_u64_e64 s29, s[42:43], v[58:59]
	s_delay_alu instid0(VALU_DEP_1) | instskip(SKIP_2) | instid1(VALU_DEP_2)
	v_cndmask_b32_e64 v65, 0x7fffffff, v59, s29
	v_cndmask_b32_e64 v64, -1, v58, s29
	v_cmp_gt_i64_e64 s29, 0, v[58:59]
	v_lshrrev_b64 v[64:65], s48, v[64:65]
	v_ashrrev_i32_e32 v65, 31, v59
	s_delay_alu instid0(VALU_DEP_3) | instskip(NEXT) | instid1(VALU_DEP_2)
	v_cndmask_b32_e64 v66, 0x7fffffff, 0, s29
	v_not_b32_e32 v65, v65
	s_delay_alu instid0(VALU_DEP_4) | instskip(NEXT) | instid1(VALU_DEP_1)
	v_and_b32_e32 v64, s55, v64
	v_dual_lshlrev_b32 v64, 2, v64 :: v_dual_bitop2_b32 v59, v66, v59 bitop3:0x14
	ds_load_b32 v64, v64
	s_wait_dscnt 0x0
	v_dual_add_nc_u32 v64, v64, v111 :: v_dual_bitop2_b32 v58, v65, v58 bitop3:0x14
	global_store_b64 v64, v[58:59], s[40:41] scale_offset
	s_wait_xcnt 0x0
	s_or_b32 exec_lo, exec_lo, s30
	v_cmp_lt_u32_e64 s29, v112, v165
	s_and_saveexec_b32 s61, s29
	s_cbranch_execnz .LBB1113_1068
	s_branch .LBB1113_1069
.LBB1113_1136:                          ;   in Loop: Header=BB1113_974 Depth=2
	global_load_b64 v[56:57], v[58:59], off
	s_wait_xcnt 0x0
	s_or_b32 exec_lo, exec_lo, s30
	s_delay_alu instid0(SALU_CYCLE_1)
	s_mov_b32 s34, exec_lo
	v_cmpx_lt_u32_e64 v132, v165
	s_cbranch_execz .LBB1113_1071
.LBB1113_1137:                          ;   in Loop: Header=BB1113_974 Depth=2
	global_load_b64 v[54:55], v[58:59], off offset:256
	s_wait_xcnt 0x0
	s_or_b32 exec_lo, exec_lo, s34
	s_delay_alu instid0(SALU_CYCLE_1)
	s_mov_b32 s34, exec_lo
	v_cmpx_lt_u32_e64 v133, v165
	s_cbranch_execz .LBB1113_1072
.LBB1113_1138:                          ;   in Loop: Header=BB1113_974 Depth=2
	global_load_b64 v[52:53], v[58:59], off offset:512
	s_wait_xcnt 0x0
	s_or_b32 exec_lo, exec_lo, s34
	s_delay_alu instid0(SALU_CYCLE_1)
	s_mov_b32 s34, exec_lo
	v_cmpx_lt_u32_e64 v134, v165
	s_cbranch_execz .LBB1113_1073
.LBB1113_1139:                          ;   in Loop: Header=BB1113_974 Depth=2
	global_load_b64 v[50:51], v[58:59], off offset:768
	s_wait_xcnt 0x0
	s_or_b32 exec_lo, exec_lo, s34
	s_delay_alu instid0(SALU_CYCLE_1)
	s_mov_b32 s34, exec_lo
	v_cmpx_lt_u32_e64 v135, v165
	s_cbranch_execz .LBB1113_1074
.LBB1113_1140:                          ;   in Loop: Header=BB1113_974 Depth=2
	global_load_b64 v[48:49], v[58:59], off offset:1024
	s_wait_xcnt 0x0
	s_or_b32 exec_lo, exec_lo, s34
	s_delay_alu instid0(SALU_CYCLE_1)
	s_mov_b32 s34, exec_lo
	v_cmpx_lt_u32_e64 v136, v165
	s_cbranch_execz .LBB1113_1075
.LBB1113_1141:                          ;   in Loop: Header=BB1113_974 Depth=2
	global_load_b64 v[46:47], v[58:59], off offset:1280
	s_wait_xcnt 0x0
	s_or_b32 exec_lo, exec_lo, s34
	s_delay_alu instid0(SALU_CYCLE_1)
	s_mov_b32 s34, exec_lo
	v_cmpx_lt_u32_e64 v137, v165
	s_cbranch_execz .LBB1113_1076
.LBB1113_1142:                          ;   in Loop: Header=BB1113_974 Depth=2
	global_load_b64 v[44:45], v[58:59], off offset:1536
	s_wait_xcnt 0x0
	s_or_b32 exec_lo, exec_lo, s34
	s_delay_alu instid0(SALU_CYCLE_1)
	s_mov_b32 s34, exec_lo
	v_cmpx_lt_u32_e64 v138, v165
	s_cbranch_execz .LBB1113_1077
.LBB1113_1143:                          ;   in Loop: Header=BB1113_974 Depth=2
	global_load_b64 v[42:43], v[58:59], off offset:1792
	s_wait_xcnt 0x0
	s_or_b32 exec_lo, exec_lo, s34
	s_delay_alu instid0(SALU_CYCLE_1)
	s_mov_b32 s34, exec_lo
	v_cmpx_lt_u32_e64 v139, v165
	s_cbranch_execz .LBB1113_1078
.LBB1113_1144:                          ;   in Loop: Header=BB1113_974 Depth=2
	global_load_b64 v[40:41], v[58:59], off offset:2048
	s_wait_xcnt 0x0
	s_or_b32 exec_lo, exec_lo, s34
	s_delay_alu instid0(SALU_CYCLE_1)
	s_mov_b32 s34, exec_lo
	v_cmpx_lt_u32_e64 v140, v165
	s_cbranch_execz .LBB1113_1079
.LBB1113_1145:                          ;   in Loop: Header=BB1113_974 Depth=2
	global_load_b64 v[38:39], v[58:59], off offset:2304
	s_wait_xcnt 0x0
	s_or_b32 exec_lo, exec_lo, s34
	s_delay_alu instid0(SALU_CYCLE_1)
	s_mov_b32 s34, exec_lo
	v_cmpx_lt_u32_e64 v141, v165
	s_cbranch_execz .LBB1113_1080
.LBB1113_1146:                          ;   in Loop: Header=BB1113_974 Depth=2
	global_load_b64 v[36:37], v[58:59], off offset:2560
	s_wait_xcnt 0x0
	s_or_b32 exec_lo, exec_lo, s34
	s_delay_alu instid0(SALU_CYCLE_1)
	s_mov_b32 s34, exec_lo
	v_cmpx_lt_u32_e64 v142, v165
	s_cbranch_execz .LBB1113_1081
.LBB1113_1147:                          ;   in Loop: Header=BB1113_974 Depth=2
	global_load_b64 v[34:35], v[58:59], off offset:2816
	s_wait_xcnt 0x0
	s_or_b32 exec_lo, exec_lo, s34
	s_delay_alu instid0(SALU_CYCLE_1)
	s_mov_b32 s34, exec_lo
	v_cmpx_lt_u32_e64 v143, v165
	s_cbranch_execz .LBB1113_1082
.LBB1113_1148:                          ;   in Loop: Header=BB1113_974 Depth=2
	global_load_b64 v[32:33], v[58:59], off offset:3072
	s_wait_xcnt 0x0
	s_or_b32 exec_lo, exec_lo, s34
	s_delay_alu instid0(SALU_CYCLE_1)
	s_mov_b32 s34, exec_lo
	v_cmpx_lt_u32_e64 v144, v165
	s_cbranch_execz .LBB1113_1083
.LBB1113_1149:                          ;   in Loop: Header=BB1113_974 Depth=2
	global_load_b64 v[30:31], v[58:59], off offset:3328
	s_wait_xcnt 0x0
	s_or_b32 exec_lo, exec_lo, s34
	s_delay_alu instid0(SALU_CYCLE_1)
	s_mov_b32 s34, exec_lo
	v_cmpx_lt_u32_e64 v145, v165
	s_cbranch_execz .LBB1113_1084
.LBB1113_1150:                          ;   in Loop: Header=BB1113_974 Depth=2
	global_load_b64 v[28:29], v[58:59], off offset:3584
	s_wait_xcnt 0x0
	s_or_b32 exec_lo, exec_lo, s34
	s_delay_alu instid0(SALU_CYCLE_1)
	s_mov_b32 s34, exec_lo
	v_cmpx_lt_u32_e64 v146, v165
	s_cbranch_execz .LBB1113_1085
.LBB1113_1151:                          ;   in Loop: Header=BB1113_974 Depth=2
	global_load_b64 v[26:27], v[58:59], off offset:3840
	s_wait_xcnt 0x0
	s_or_b32 exec_lo, exec_lo, s34
	s_and_saveexec_b32 s34, vcc_lo
	s_cbranch_execz .LBB1113_1086
.LBB1113_1152:                          ;   in Loop: Header=BB1113_974 Depth=2
	ds_load_b64 v[58:59], v123 offset:1024
	s_wait_dscnt 0x0
	v_cmp_ne_u64_e64 s30, s[42:43], v[58:59]
	s_delay_alu instid0(VALU_DEP_1) | instskip(SKIP_1) | instid1(VALU_DEP_1)
	v_cndmask_b32_e64 v59, 0x7fffffff, v59, s30
	v_cndmask_b32_e64 v58, -1, v58, s30
	v_lshrrev_b64 v[58:59], s48, v[58:59]
	s_delay_alu instid0(VALU_DEP_1)
	v_and_b32_e32 v164, s55, v58
	s_or_b32 exec_lo, exec_lo, s34
	s_and_saveexec_b32 s34, s15
	s_cbranch_execz .LBB1113_1087
.LBB1113_1153:                          ;   in Loop: Header=BB1113_974 Depth=2
	ds_load_b64 v[58:59], v123 offset:3072
	s_wait_dscnt 0x0
	v_cmp_ne_u64_e64 s30, s[42:43], v[58:59]
	s_delay_alu instid0(VALU_DEP_1) | instskip(SKIP_1) | instid1(VALU_DEP_1)
	v_cndmask_b32_e64 v59, 0x7fffffff, v59, s30
	v_cndmask_b32_e64 v58, -1, v58, s30
	v_lshrrev_b64 v[58:59], s48, v[58:59]
	s_delay_alu instid0(VALU_DEP_1)
	v_and_b32_e32 v163, s55, v58
	s_or_b32 exec_lo, exec_lo, s34
	s_and_saveexec_b32 s34, s16
	s_cbranch_execz .LBB1113_1088
.LBB1113_1154:                          ;   in Loop: Header=BB1113_974 Depth=2
	ds_load_b64 v[58:59], v123 offset:5120
	s_wait_dscnt 0x0
	v_cmp_ne_u64_e64 s30, s[42:43], v[58:59]
	s_delay_alu instid0(VALU_DEP_1) | instskip(SKIP_1) | instid1(VALU_DEP_1)
	v_cndmask_b32_e64 v59, 0x7fffffff, v59, s30
	v_cndmask_b32_e64 v58, -1, v58, s30
	v_lshrrev_b64 v[58:59], s48, v[58:59]
	s_delay_alu instid0(VALU_DEP_1)
	v_and_b32_e32 v162, s55, v58
	s_or_b32 exec_lo, exec_lo, s34
	s_and_saveexec_b32 s34, s17
	s_cbranch_execz .LBB1113_1089
.LBB1113_1155:                          ;   in Loop: Header=BB1113_974 Depth=2
	ds_load_b64 v[58:59], v123 offset:7168
	s_wait_dscnt 0x0
	v_cmp_ne_u64_e64 s30, s[42:43], v[58:59]
	s_delay_alu instid0(VALU_DEP_1) | instskip(SKIP_1) | instid1(VALU_DEP_1)
	v_cndmask_b32_e64 v59, 0x7fffffff, v59, s30
	v_cndmask_b32_e64 v58, -1, v58, s30
	v_lshrrev_b64 v[58:59], s48, v[58:59]
	s_delay_alu instid0(VALU_DEP_1)
	v_and_b32_e32 v161, s55, v58
	s_or_b32 exec_lo, exec_lo, s34
	s_and_saveexec_b32 s34, s18
	s_cbranch_execz .LBB1113_1090
.LBB1113_1156:                          ;   in Loop: Header=BB1113_974 Depth=2
	ds_load_b64 v[58:59], v123 offset:9216
	s_wait_dscnt 0x0
	v_cmp_ne_u64_e64 s30, s[42:43], v[58:59]
	s_delay_alu instid0(VALU_DEP_1) | instskip(SKIP_1) | instid1(VALU_DEP_1)
	v_cndmask_b32_e64 v59, 0x7fffffff, v59, s30
	v_cndmask_b32_e64 v58, -1, v58, s30
	v_lshrrev_b64 v[58:59], s48, v[58:59]
	s_delay_alu instid0(VALU_DEP_1)
	v_and_b32_e32 v160, s55, v58
	s_or_b32 exec_lo, exec_lo, s34
	s_and_saveexec_b32 s34, s19
	s_cbranch_execz .LBB1113_1091
.LBB1113_1157:                          ;   in Loop: Header=BB1113_974 Depth=2
	ds_load_b64 v[58:59], v123 offset:11264
	s_wait_dscnt 0x0
	v_cmp_ne_u64_e64 s30, s[42:43], v[58:59]
	s_delay_alu instid0(VALU_DEP_1) | instskip(SKIP_1) | instid1(VALU_DEP_1)
	v_cndmask_b32_e64 v59, 0x7fffffff, v59, s30
	v_cndmask_b32_e64 v58, -1, v58, s30
	v_lshrrev_b64 v[58:59], s48, v[58:59]
	s_delay_alu instid0(VALU_DEP_1)
	v_and_b32_e32 v159, s55, v58
	s_or_b32 exec_lo, exec_lo, s34
	s_and_saveexec_b32 s34, s20
	s_cbranch_execz .LBB1113_1092
.LBB1113_1158:                          ;   in Loop: Header=BB1113_974 Depth=2
	ds_load_b64 v[58:59], v123 offset:13312
	s_wait_dscnt 0x0
	v_cmp_ne_u64_e64 s30, s[42:43], v[58:59]
	s_delay_alu instid0(VALU_DEP_1) | instskip(SKIP_1) | instid1(VALU_DEP_1)
	v_cndmask_b32_e64 v59, 0x7fffffff, v59, s30
	v_cndmask_b32_e64 v58, -1, v58, s30
	v_lshrrev_b64 v[58:59], s48, v[58:59]
	s_delay_alu instid0(VALU_DEP_1)
	v_and_b32_e32 v158, s55, v58
	s_or_b32 exec_lo, exec_lo, s34
	s_and_saveexec_b32 s34, s21
	s_cbranch_execz .LBB1113_1093
.LBB1113_1159:                          ;   in Loop: Header=BB1113_974 Depth=2
	ds_load_b64 v[58:59], v123 offset:15360
	s_wait_dscnt 0x0
	v_cmp_ne_u64_e64 s30, s[42:43], v[58:59]
	s_delay_alu instid0(VALU_DEP_1) | instskip(SKIP_1) | instid1(VALU_DEP_1)
	v_cndmask_b32_e64 v59, 0x7fffffff, v59, s30
	v_cndmask_b32_e64 v58, -1, v58, s30
	v_lshrrev_b64 v[58:59], s48, v[58:59]
	s_delay_alu instid0(VALU_DEP_1)
	v_and_b32_e32 v157, s55, v58
	s_or_b32 exec_lo, exec_lo, s34
	s_and_saveexec_b32 s34, s22
	s_cbranch_execz .LBB1113_1094
.LBB1113_1160:                          ;   in Loop: Header=BB1113_974 Depth=2
	ds_load_b64 v[58:59], v123 offset:17408
	s_wait_dscnt 0x0
	v_cmp_ne_u64_e64 s30, s[42:43], v[58:59]
	s_delay_alu instid0(VALU_DEP_1) | instskip(SKIP_1) | instid1(VALU_DEP_1)
	v_cndmask_b32_e64 v59, 0x7fffffff, v59, s30
	v_cndmask_b32_e64 v58, -1, v58, s30
	v_lshrrev_b64 v[58:59], s48, v[58:59]
	s_delay_alu instid0(VALU_DEP_1)
	v_and_b32_e32 v156, s55, v58
	s_or_b32 exec_lo, exec_lo, s34
	s_and_saveexec_b32 s34, s23
	s_cbranch_execz .LBB1113_1095
.LBB1113_1161:                          ;   in Loop: Header=BB1113_974 Depth=2
	ds_load_b64 v[58:59], v123 offset:19456
	s_wait_dscnt 0x0
	v_cmp_ne_u64_e64 s30, s[42:43], v[58:59]
	s_delay_alu instid0(VALU_DEP_1) | instskip(SKIP_1) | instid1(VALU_DEP_1)
	v_cndmask_b32_e64 v59, 0x7fffffff, v59, s30
	v_cndmask_b32_e64 v58, -1, v58, s30
	v_lshrrev_b64 v[58:59], s48, v[58:59]
	s_delay_alu instid0(VALU_DEP_1)
	v_and_b32_e32 v155, s55, v58
	s_or_b32 exec_lo, exec_lo, s34
	s_and_saveexec_b32 s34, s24
	s_cbranch_execz .LBB1113_1096
.LBB1113_1162:                          ;   in Loop: Header=BB1113_974 Depth=2
	ds_load_b64 v[58:59], v123 offset:21504
	s_wait_dscnt 0x0
	v_cmp_ne_u64_e64 s30, s[42:43], v[58:59]
	s_delay_alu instid0(VALU_DEP_1) | instskip(SKIP_1) | instid1(VALU_DEP_1)
	v_cndmask_b32_e64 v59, 0x7fffffff, v59, s30
	v_cndmask_b32_e64 v58, -1, v58, s30
	v_lshrrev_b64 v[58:59], s48, v[58:59]
	s_delay_alu instid0(VALU_DEP_1)
	v_and_b32_e32 v154, s55, v58
	s_or_b32 exec_lo, exec_lo, s34
	s_and_saveexec_b32 s34, s25
	s_cbranch_execz .LBB1113_1097
.LBB1113_1163:                          ;   in Loop: Header=BB1113_974 Depth=2
	ds_load_b64 v[58:59], v123 offset:23552
	s_wait_dscnt 0x0
	v_cmp_ne_u64_e64 s30, s[42:43], v[58:59]
	s_delay_alu instid0(VALU_DEP_1) | instskip(SKIP_1) | instid1(VALU_DEP_1)
	v_cndmask_b32_e64 v59, 0x7fffffff, v59, s30
	v_cndmask_b32_e64 v58, -1, v58, s30
	v_lshrrev_b64 v[58:59], s48, v[58:59]
	s_delay_alu instid0(VALU_DEP_1)
	v_and_b32_e32 v153, s55, v58
	s_or_b32 exec_lo, exec_lo, s34
	s_and_saveexec_b32 s34, s26
	s_cbranch_execz .LBB1113_1098
.LBB1113_1164:                          ;   in Loop: Header=BB1113_974 Depth=2
	ds_load_b64 v[58:59], v123 offset:25600
	s_wait_dscnt 0x0
	v_cmp_ne_u64_e64 s30, s[42:43], v[58:59]
	s_delay_alu instid0(VALU_DEP_1) | instskip(SKIP_1) | instid1(VALU_DEP_1)
	v_cndmask_b32_e64 v59, 0x7fffffff, v59, s30
	v_cndmask_b32_e64 v58, -1, v58, s30
	v_lshrrev_b64 v[58:59], s48, v[58:59]
	s_delay_alu instid0(VALU_DEP_1)
	v_and_b32_e32 v152, s55, v58
	s_or_b32 exec_lo, exec_lo, s34
	s_and_saveexec_b32 s34, s27
	s_cbranch_execz .LBB1113_1099
.LBB1113_1165:                          ;   in Loop: Header=BB1113_974 Depth=2
	ds_load_b64 v[58:59], v123 offset:27648
	s_wait_dscnt 0x0
	v_cmp_ne_u64_e64 s30, s[42:43], v[58:59]
	s_delay_alu instid0(VALU_DEP_1) | instskip(SKIP_1) | instid1(VALU_DEP_1)
	v_cndmask_b32_e64 v59, 0x7fffffff, v59, s30
	v_cndmask_b32_e64 v58, -1, v58, s30
	v_lshrrev_b64 v[58:59], s48, v[58:59]
	s_delay_alu instid0(VALU_DEP_1)
	v_and_b32_e32 v151, s55, v58
	s_or_b32 exec_lo, exec_lo, s34
	s_and_saveexec_b32 s34, s28
	s_cbranch_execz .LBB1113_1100
.LBB1113_1166:                          ;   in Loop: Header=BB1113_974 Depth=2
	ds_load_b64 v[58:59], v123 offset:29696
	s_wait_dscnt 0x0
	v_cmp_ne_u64_e64 s30, s[42:43], v[58:59]
	s_delay_alu instid0(VALU_DEP_1) | instskip(SKIP_1) | instid1(VALU_DEP_1)
	v_cndmask_b32_e64 v59, 0x7fffffff, v59, s30
	v_cndmask_b32_e64 v58, -1, v58, s30
	v_lshrrev_b64 v[58:59], s48, v[58:59]
	s_delay_alu instid0(VALU_DEP_1)
	v_and_b32_e32 v150, s55, v58
	s_or_b32 exec_lo, exec_lo, s34
	s_and_saveexec_b32 s34, s29
	s_cbranch_execnz .LBB1113_1101
	s_branch .LBB1113_1102
.LBB1113_1167:                          ;   in Loop: Header=BB1113_974 Depth=2
	v_lshlrev_b32_e32 v58, 2, v164
	ds_load_b32 v60, v58
	ds_load_b64 v[58:59], v123 offset:1024
	s_wait_dscnt 0x1
	v_add_nc_u32_e32 v60, v60, v2
	s_wait_dscnt 0x0
	global_store_b64 v60, v[58:59], s[46:47] scale_offset
	s_wait_xcnt 0x0
	s_or_b32 exec_lo, exec_lo, s30
	s_and_saveexec_b32 s30, s15
	s_cbranch_execz .LBB1113_1104
.LBB1113_1168:                          ;   in Loop: Header=BB1113_974 Depth=2
	v_lshlrev_b32_e32 v58, 2, v163
	ds_load_b32 v60, v58
	ds_load_b64 v[58:59], v123 offset:3072
	s_wait_dscnt 0x1
	v_add_nc_u32_e32 v60, v60, v98
	s_wait_dscnt 0x0
	global_store_b64 v60, v[58:59], s[46:47] scale_offset
	s_wait_xcnt 0x0
	s_or_b32 exec_lo, exec_lo, s30
	s_and_saveexec_b32 s15, s16
	s_cbranch_execz .LBB1113_1105
.LBB1113_1169:                          ;   in Loop: Header=BB1113_974 Depth=2
	v_lshlrev_b32_e32 v58, 2, v162
	ds_load_b32 v60, v58
	ds_load_b64 v[58:59], v123 offset:5120
	s_wait_dscnt 0x1
	v_add_nc_u32_e32 v60, v60, v99
	s_wait_dscnt 0x0
	global_store_b64 v60, v[58:59], s[46:47] scale_offset
	s_wait_xcnt 0x0
	s_or_b32 exec_lo, exec_lo, s15
	s_and_saveexec_b32 s15, s17
	s_cbranch_execz .LBB1113_1106
.LBB1113_1170:                          ;   in Loop: Header=BB1113_974 Depth=2
	v_lshlrev_b32_e32 v58, 2, v161
	ds_load_b32 v60, v58
	ds_load_b64 v[58:59], v123 offset:7168
	s_wait_dscnt 0x1
	v_add_nc_u32_e32 v60, v60, v100
	s_wait_dscnt 0x0
	global_store_b64 v60, v[58:59], s[46:47] scale_offset
	s_wait_xcnt 0x0
	s_or_b32 exec_lo, exec_lo, s15
	s_and_saveexec_b32 s15, s18
	s_cbranch_execz .LBB1113_1107
.LBB1113_1171:                          ;   in Loop: Header=BB1113_974 Depth=2
	v_lshlrev_b32_e32 v58, 2, v160
	ds_load_b32 v60, v58
	ds_load_b64 v[58:59], v123 offset:9216
	s_wait_dscnt 0x1
	v_add_nc_u32_e32 v60, v60, v101
	s_wait_dscnt 0x0
	global_store_b64 v60, v[58:59], s[46:47] scale_offset
	s_wait_xcnt 0x0
	s_or_b32 exec_lo, exec_lo, s15
	s_and_saveexec_b32 s15, s19
	s_cbranch_execz .LBB1113_1108
.LBB1113_1172:                          ;   in Loop: Header=BB1113_974 Depth=2
	v_lshlrev_b32_e32 v58, 2, v159
	ds_load_b32 v60, v58
	ds_load_b64 v[58:59], v123 offset:11264
	s_wait_dscnt 0x1
	v_add_nc_u32_e32 v60, v60, v102
	s_wait_dscnt 0x0
	global_store_b64 v60, v[58:59], s[46:47] scale_offset
	s_wait_xcnt 0x0
	s_or_b32 exec_lo, exec_lo, s15
	s_and_saveexec_b32 s15, s20
	s_cbranch_execz .LBB1113_1109
.LBB1113_1173:                          ;   in Loop: Header=BB1113_974 Depth=2
	v_lshlrev_b32_e32 v58, 2, v158
	ds_load_b32 v60, v58
	ds_load_b64 v[58:59], v123 offset:13312
	s_wait_dscnt 0x1
	v_add_nc_u32_e32 v60, v60, v103
	s_wait_dscnt 0x0
	global_store_b64 v60, v[58:59], s[46:47] scale_offset
	s_wait_xcnt 0x0
	s_or_b32 exec_lo, exec_lo, s15
	s_and_saveexec_b32 s15, s21
	s_cbranch_execz .LBB1113_1110
.LBB1113_1174:                          ;   in Loop: Header=BB1113_974 Depth=2
	v_lshlrev_b32_e32 v58, 2, v157
	ds_load_b32 v60, v58
	ds_load_b64 v[58:59], v123 offset:15360
	s_wait_dscnt 0x1
	v_add_nc_u32_e32 v60, v60, v104
	s_wait_dscnt 0x0
	global_store_b64 v60, v[58:59], s[46:47] scale_offset
	s_wait_xcnt 0x0
	s_or_b32 exec_lo, exec_lo, s15
	s_and_saveexec_b32 s15, s22
	s_cbranch_execz .LBB1113_1111
.LBB1113_1175:                          ;   in Loop: Header=BB1113_974 Depth=2
	v_lshlrev_b32_e32 v58, 2, v156
	ds_load_b32 v60, v58
	ds_load_b64 v[58:59], v123 offset:17408
	s_wait_dscnt 0x1
	v_add_nc_u32_e32 v60, v60, v105
	s_wait_dscnt 0x0
	global_store_b64 v60, v[58:59], s[46:47] scale_offset
	s_wait_xcnt 0x0
	s_or_b32 exec_lo, exec_lo, s15
	s_and_saveexec_b32 s15, s23
	s_cbranch_execz .LBB1113_1112
.LBB1113_1176:                          ;   in Loop: Header=BB1113_974 Depth=2
	v_lshlrev_b32_e32 v58, 2, v155
	ds_load_b32 v60, v58
	ds_load_b64 v[58:59], v123 offset:19456
	s_wait_dscnt 0x1
	v_add_nc_u32_e32 v60, v60, v106
	s_wait_dscnt 0x0
	global_store_b64 v60, v[58:59], s[46:47] scale_offset
	s_wait_xcnt 0x0
	s_or_b32 exec_lo, exec_lo, s15
	s_and_saveexec_b32 s15, s24
	s_cbranch_execz .LBB1113_1113
.LBB1113_1177:                          ;   in Loop: Header=BB1113_974 Depth=2
	v_lshlrev_b32_e32 v58, 2, v154
	ds_load_b32 v60, v58
	ds_load_b64 v[58:59], v123 offset:21504
	s_wait_dscnt 0x1
	v_add_nc_u32_e32 v60, v60, v107
	s_wait_dscnt 0x0
	global_store_b64 v60, v[58:59], s[46:47] scale_offset
	s_wait_xcnt 0x0
	s_or_b32 exec_lo, exec_lo, s15
	s_and_saveexec_b32 s15, s25
	s_cbranch_execz .LBB1113_1114
.LBB1113_1178:                          ;   in Loop: Header=BB1113_974 Depth=2
	v_lshlrev_b32_e32 v58, 2, v153
	ds_load_b32 v60, v58
	ds_load_b64 v[58:59], v123 offset:23552
	s_wait_dscnt 0x1
	v_add_nc_u32_e32 v60, v60, v108
	s_wait_dscnt 0x0
	global_store_b64 v60, v[58:59], s[46:47] scale_offset
	s_wait_xcnt 0x0
	s_or_b32 exec_lo, exec_lo, s15
	s_and_saveexec_b32 s15, s26
	s_cbranch_execz .LBB1113_1115
.LBB1113_1179:                          ;   in Loop: Header=BB1113_974 Depth=2
	v_lshlrev_b32_e32 v58, 2, v152
	ds_load_b32 v60, v58
	ds_load_b64 v[58:59], v123 offset:25600
	s_wait_dscnt 0x1
	v_add_nc_u32_e32 v60, v60, v109
	s_wait_dscnt 0x0
	global_store_b64 v60, v[58:59], s[46:47] scale_offset
	s_wait_xcnt 0x0
	s_or_b32 exec_lo, exec_lo, s15
	s_and_saveexec_b32 s15, s27
	s_cbranch_execz .LBB1113_1116
.LBB1113_1180:                          ;   in Loop: Header=BB1113_974 Depth=2
	v_lshlrev_b32_e32 v58, 2, v151
	ds_load_b32 v60, v58
	ds_load_b64 v[58:59], v123 offset:27648
	s_wait_dscnt 0x1
	v_add_nc_u32_e32 v60, v60, v110
	s_wait_dscnt 0x0
	global_store_b64 v60, v[58:59], s[46:47] scale_offset
	s_wait_xcnt 0x0
	s_or_b32 exec_lo, exec_lo, s15
	s_and_saveexec_b32 s15, s28
	s_cbranch_execz .LBB1113_1117
.LBB1113_1181:                          ;   in Loop: Header=BB1113_974 Depth=2
	v_lshlrev_b32_e32 v58, 2, v150
	ds_load_b32 v60, v58
	ds_load_b64 v[58:59], v123 offset:29696
	s_wait_dscnt 0x1
	v_add_nc_u32_e32 v60, v60, v111
	s_wait_dscnt 0x0
	global_store_b64 v60, v[58:59], s[46:47] scale_offset
	s_wait_xcnt 0x0
	s_or_b32 exec_lo, exec_lo, s15
	s_and_saveexec_b32 s15, s29
	s_cbranch_execnz .LBB1113_1118
	s_branch .LBB1113_1119
.LBB1113_1182:
	s_endpgm
	.section	.rodata,"a",@progbits
	.p2align	6, 0x0
	.amdhsa_kernel _ZN7rocprim17ROCPRIM_400000_NS6detail17trampoline_kernelINS0_14default_configENS1_36segmented_radix_sort_config_selectorIdlEEZNS1_25segmented_radix_sort_implIS3_Lb1EPKdPdPKlPlN2at6native12_GLOBAL__N_18offset_tEEE10hipError_tPvRmT1_PNSt15iterator_traitsISK_E10value_typeET2_T3_PNSL_ISQ_E10value_typeET4_jRbjT5_SW_jjP12ihipStream_tbEUlT_E_NS1_11comp_targetILNS1_3genE0ELNS1_11target_archE4294967295ELNS1_3gpuE0ELNS1_3repE0EEENS1_30default_config_static_selectorELNS0_4arch9wavefront6targetE0EEEvSK_
		.amdhsa_group_segment_fixed_size 33824
		.amdhsa_private_segment_fixed_size 0
		.amdhsa_kernarg_size 352
		.amdhsa_user_sgpr_count 4
		.amdhsa_user_sgpr_dispatch_ptr 0
		.amdhsa_user_sgpr_queue_ptr 1
		.amdhsa_user_sgpr_kernarg_segment_ptr 1
		.amdhsa_user_sgpr_dispatch_id 0
		.amdhsa_user_sgpr_kernarg_preload_length 0
		.amdhsa_user_sgpr_kernarg_preload_offset 0
		.amdhsa_user_sgpr_private_segment_size 0
		.amdhsa_wavefront_size32 1
		.amdhsa_uses_dynamic_stack 0
		.amdhsa_enable_private_segment 0
		.amdhsa_system_sgpr_workgroup_id_x 1
		.amdhsa_system_sgpr_workgroup_id_y 1
		.amdhsa_system_sgpr_workgroup_id_z 0
		.amdhsa_system_sgpr_workgroup_info 0
		.amdhsa_system_vgpr_workitem_id 2
		.amdhsa_next_free_vgpr 319
		.amdhsa_next_free_sgpr 63
		.amdhsa_named_barrier_count 0
		.amdhsa_reserve_vcc 1
		.amdhsa_float_round_mode_32 0
		.amdhsa_float_round_mode_16_64 0
		.amdhsa_float_denorm_mode_32 3
		.amdhsa_float_denorm_mode_16_64 3
		.amdhsa_fp16_overflow 0
		.amdhsa_memory_ordered 1
		.amdhsa_forward_progress 1
		.amdhsa_inst_pref_size 255
		.amdhsa_round_robin_scheduling 0
		.amdhsa_exception_fp_ieee_invalid_op 0
		.amdhsa_exception_fp_denorm_src 0
		.amdhsa_exception_fp_ieee_div_zero 0
		.amdhsa_exception_fp_ieee_overflow 0
		.amdhsa_exception_fp_ieee_underflow 0
		.amdhsa_exception_fp_ieee_inexact 0
		.amdhsa_exception_int_div_zero 0
	.end_amdhsa_kernel
	.section	.text._ZN7rocprim17ROCPRIM_400000_NS6detail17trampoline_kernelINS0_14default_configENS1_36segmented_radix_sort_config_selectorIdlEEZNS1_25segmented_radix_sort_implIS3_Lb1EPKdPdPKlPlN2at6native12_GLOBAL__N_18offset_tEEE10hipError_tPvRmT1_PNSt15iterator_traitsISK_E10value_typeET2_T3_PNSL_ISQ_E10value_typeET4_jRbjT5_SW_jjP12ihipStream_tbEUlT_E_NS1_11comp_targetILNS1_3genE0ELNS1_11target_archE4294967295ELNS1_3gpuE0ELNS1_3repE0EEENS1_30default_config_static_selectorELNS0_4arch9wavefront6targetE0EEEvSK_,"axG",@progbits,_ZN7rocprim17ROCPRIM_400000_NS6detail17trampoline_kernelINS0_14default_configENS1_36segmented_radix_sort_config_selectorIdlEEZNS1_25segmented_radix_sort_implIS3_Lb1EPKdPdPKlPlN2at6native12_GLOBAL__N_18offset_tEEE10hipError_tPvRmT1_PNSt15iterator_traitsISK_E10value_typeET2_T3_PNSL_ISQ_E10value_typeET4_jRbjT5_SW_jjP12ihipStream_tbEUlT_E_NS1_11comp_targetILNS1_3genE0ELNS1_11target_archE4294967295ELNS1_3gpuE0ELNS1_3repE0EEENS1_30default_config_static_selectorELNS0_4arch9wavefront6targetE0EEEvSK_,comdat
.Lfunc_end1113:
	.size	_ZN7rocprim17ROCPRIM_400000_NS6detail17trampoline_kernelINS0_14default_configENS1_36segmented_radix_sort_config_selectorIdlEEZNS1_25segmented_radix_sort_implIS3_Lb1EPKdPdPKlPlN2at6native12_GLOBAL__N_18offset_tEEE10hipError_tPvRmT1_PNSt15iterator_traitsISK_E10value_typeET2_T3_PNSL_ISQ_E10value_typeET4_jRbjT5_SW_jjP12ihipStream_tbEUlT_E_NS1_11comp_targetILNS1_3genE0ELNS1_11target_archE4294967295ELNS1_3gpuE0ELNS1_3repE0EEENS1_30default_config_static_selectorELNS0_4arch9wavefront6targetE0EEEvSK_, .Lfunc_end1113-_ZN7rocprim17ROCPRIM_400000_NS6detail17trampoline_kernelINS0_14default_configENS1_36segmented_radix_sort_config_selectorIdlEEZNS1_25segmented_radix_sort_implIS3_Lb1EPKdPdPKlPlN2at6native12_GLOBAL__N_18offset_tEEE10hipError_tPvRmT1_PNSt15iterator_traitsISK_E10value_typeET2_T3_PNSL_ISQ_E10value_typeET4_jRbjT5_SW_jjP12ihipStream_tbEUlT_E_NS1_11comp_targetILNS1_3genE0ELNS1_11target_archE4294967295ELNS1_3gpuE0ELNS1_3repE0EEENS1_30default_config_static_selectorELNS0_4arch9wavefront6targetE0EEEvSK_
                                        ; -- End function
	.set _ZN7rocprim17ROCPRIM_400000_NS6detail17trampoline_kernelINS0_14default_configENS1_36segmented_radix_sort_config_selectorIdlEEZNS1_25segmented_radix_sort_implIS3_Lb1EPKdPdPKlPlN2at6native12_GLOBAL__N_18offset_tEEE10hipError_tPvRmT1_PNSt15iterator_traitsISK_E10value_typeET2_T3_PNSL_ISQ_E10value_typeET4_jRbjT5_SW_jjP12ihipStream_tbEUlT_E_NS1_11comp_targetILNS1_3genE0ELNS1_11target_archE4294967295ELNS1_3gpuE0ELNS1_3repE0EEENS1_30default_config_static_selectorELNS0_4arch9wavefront6targetE0EEEvSK_.num_vgpr, max(220, .L_ZN7rocprim17ROCPRIM_400000_NS6detail40segmented_radix_sort_single_block_helperIdlLj256ELj16ELb1EE4sortIPKdPdPKlPlEEbT_T0_T1_T2_jjjjRNS3_12storage_typeE.num_vgpr)
	.set _ZN7rocprim17ROCPRIM_400000_NS6detail17trampoline_kernelINS0_14default_configENS1_36segmented_radix_sort_config_selectorIdlEEZNS1_25segmented_radix_sort_implIS3_Lb1EPKdPdPKlPlN2at6native12_GLOBAL__N_18offset_tEEE10hipError_tPvRmT1_PNSt15iterator_traitsISK_E10value_typeET2_T3_PNSL_ISQ_E10value_typeET4_jRbjT5_SW_jjP12ihipStream_tbEUlT_E_NS1_11comp_targetILNS1_3genE0ELNS1_11target_archE4294967295ELNS1_3gpuE0ELNS1_3repE0EEENS1_30default_config_static_selectorELNS0_4arch9wavefront6targetE0EEEvSK_.num_agpr, max(0, .L_ZN7rocprim17ROCPRIM_400000_NS6detail40segmented_radix_sort_single_block_helperIdlLj256ELj16ELb1EE4sortIPKdPdPKlPlEEbT_T0_T1_T2_jjjjRNS3_12storage_typeE.num_agpr)
	.set _ZN7rocprim17ROCPRIM_400000_NS6detail17trampoline_kernelINS0_14default_configENS1_36segmented_radix_sort_config_selectorIdlEEZNS1_25segmented_radix_sort_implIS3_Lb1EPKdPdPKlPlN2at6native12_GLOBAL__N_18offset_tEEE10hipError_tPvRmT1_PNSt15iterator_traitsISK_E10value_typeET2_T3_PNSL_ISQ_E10value_typeET4_jRbjT5_SW_jjP12ihipStream_tbEUlT_E_NS1_11comp_targetILNS1_3genE0ELNS1_11target_archE4294967295ELNS1_3gpuE0ELNS1_3repE0EEENS1_30default_config_static_selectorELNS0_4arch9wavefront6targetE0EEEvSK_.numbered_sgpr, max(63, .L_ZN7rocprim17ROCPRIM_400000_NS6detail40segmented_radix_sort_single_block_helperIdlLj256ELj16ELb1EE4sortIPKdPdPKlPlEEbT_T0_T1_T2_jjjjRNS3_12storage_typeE.numbered_sgpr)
	.set _ZN7rocprim17ROCPRIM_400000_NS6detail17trampoline_kernelINS0_14default_configENS1_36segmented_radix_sort_config_selectorIdlEEZNS1_25segmented_radix_sort_implIS3_Lb1EPKdPdPKlPlN2at6native12_GLOBAL__N_18offset_tEEE10hipError_tPvRmT1_PNSt15iterator_traitsISK_E10value_typeET2_T3_PNSL_ISQ_E10value_typeET4_jRbjT5_SW_jjP12ihipStream_tbEUlT_E_NS1_11comp_targetILNS1_3genE0ELNS1_11target_archE4294967295ELNS1_3gpuE0ELNS1_3repE0EEENS1_30default_config_static_selectorELNS0_4arch9wavefront6targetE0EEEvSK_.num_named_barrier, max(0, .L_ZN7rocprim17ROCPRIM_400000_NS6detail40segmented_radix_sort_single_block_helperIdlLj256ELj16ELb1EE4sortIPKdPdPKlPlEEbT_T0_T1_T2_jjjjRNS3_12storage_typeE.num_named_barrier)
	.set _ZN7rocprim17ROCPRIM_400000_NS6detail17trampoline_kernelINS0_14default_configENS1_36segmented_radix_sort_config_selectorIdlEEZNS1_25segmented_radix_sort_implIS3_Lb1EPKdPdPKlPlN2at6native12_GLOBAL__N_18offset_tEEE10hipError_tPvRmT1_PNSt15iterator_traitsISK_E10value_typeET2_T3_PNSL_ISQ_E10value_typeET4_jRbjT5_SW_jjP12ihipStream_tbEUlT_E_NS1_11comp_targetILNS1_3genE0ELNS1_11target_archE4294967295ELNS1_3gpuE0ELNS1_3repE0EEENS1_30default_config_static_selectorELNS0_4arch9wavefront6targetE0EEEvSK_.private_seg_size, 0+max(.L_ZN7rocprim17ROCPRIM_400000_NS6detail40segmented_radix_sort_single_block_helperIdlLj256ELj16ELb1EE4sortIPKdPdPKlPlEEbT_T0_T1_T2_jjjjRNS3_12storage_typeE.private_seg_size)
	.set _ZN7rocprim17ROCPRIM_400000_NS6detail17trampoline_kernelINS0_14default_configENS1_36segmented_radix_sort_config_selectorIdlEEZNS1_25segmented_radix_sort_implIS3_Lb1EPKdPdPKlPlN2at6native12_GLOBAL__N_18offset_tEEE10hipError_tPvRmT1_PNSt15iterator_traitsISK_E10value_typeET2_T3_PNSL_ISQ_E10value_typeET4_jRbjT5_SW_jjP12ihipStream_tbEUlT_E_NS1_11comp_targetILNS1_3genE0ELNS1_11target_archE4294967295ELNS1_3gpuE0ELNS1_3repE0EEENS1_30default_config_static_selectorELNS0_4arch9wavefront6targetE0EEEvSK_.uses_vcc, or(1, .L_ZN7rocprim17ROCPRIM_400000_NS6detail40segmented_radix_sort_single_block_helperIdlLj256ELj16ELb1EE4sortIPKdPdPKlPlEEbT_T0_T1_T2_jjjjRNS3_12storage_typeE.uses_vcc)
	.set _ZN7rocprim17ROCPRIM_400000_NS6detail17trampoline_kernelINS0_14default_configENS1_36segmented_radix_sort_config_selectorIdlEEZNS1_25segmented_radix_sort_implIS3_Lb1EPKdPdPKlPlN2at6native12_GLOBAL__N_18offset_tEEE10hipError_tPvRmT1_PNSt15iterator_traitsISK_E10value_typeET2_T3_PNSL_ISQ_E10value_typeET4_jRbjT5_SW_jjP12ihipStream_tbEUlT_E_NS1_11comp_targetILNS1_3genE0ELNS1_11target_archE4294967295ELNS1_3gpuE0ELNS1_3repE0EEENS1_30default_config_static_selectorELNS0_4arch9wavefront6targetE0EEEvSK_.uses_flat_scratch, or(0, .L_ZN7rocprim17ROCPRIM_400000_NS6detail40segmented_radix_sort_single_block_helperIdlLj256ELj16ELb1EE4sortIPKdPdPKlPlEEbT_T0_T1_T2_jjjjRNS3_12storage_typeE.uses_flat_scratch)
	.set _ZN7rocprim17ROCPRIM_400000_NS6detail17trampoline_kernelINS0_14default_configENS1_36segmented_radix_sort_config_selectorIdlEEZNS1_25segmented_radix_sort_implIS3_Lb1EPKdPdPKlPlN2at6native12_GLOBAL__N_18offset_tEEE10hipError_tPvRmT1_PNSt15iterator_traitsISK_E10value_typeET2_T3_PNSL_ISQ_E10value_typeET4_jRbjT5_SW_jjP12ihipStream_tbEUlT_E_NS1_11comp_targetILNS1_3genE0ELNS1_11target_archE4294967295ELNS1_3gpuE0ELNS1_3repE0EEENS1_30default_config_static_selectorELNS0_4arch9wavefront6targetE0EEEvSK_.has_dyn_sized_stack, or(0, .L_ZN7rocprim17ROCPRIM_400000_NS6detail40segmented_radix_sort_single_block_helperIdlLj256ELj16ELb1EE4sortIPKdPdPKlPlEEbT_T0_T1_T2_jjjjRNS3_12storage_typeE.has_dyn_sized_stack)
	.set _ZN7rocprim17ROCPRIM_400000_NS6detail17trampoline_kernelINS0_14default_configENS1_36segmented_radix_sort_config_selectorIdlEEZNS1_25segmented_radix_sort_implIS3_Lb1EPKdPdPKlPlN2at6native12_GLOBAL__N_18offset_tEEE10hipError_tPvRmT1_PNSt15iterator_traitsISK_E10value_typeET2_T3_PNSL_ISQ_E10value_typeET4_jRbjT5_SW_jjP12ihipStream_tbEUlT_E_NS1_11comp_targetILNS1_3genE0ELNS1_11target_archE4294967295ELNS1_3gpuE0ELNS1_3repE0EEENS1_30default_config_static_selectorELNS0_4arch9wavefront6targetE0EEEvSK_.has_recursion, or(0, .L_ZN7rocprim17ROCPRIM_400000_NS6detail40segmented_radix_sort_single_block_helperIdlLj256ELj16ELb1EE4sortIPKdPdPKlPlEEbT_T0_T1_T2_jjjjRNS3_12storage_typeE.has_recursion)
	.set _ZN7rocprim17ROCPRIM_400000_NS6detail17trampoline_kernelINS0_14default_configENS1_36segmented_radix_sort_config_selectorIdlEEZNS1_25segmented_radix_sort_implIS3_Lb1EPKdPdPKlPlN2at6native12_GLOBAL__N_18offset_tEEE10hipError_tPvRmT1_PNSt15iterator_traitsISK_E10value_typeET2_T3_PNSL_ISQ_E10value_typeET4_jRbjT5_SW_jjP12ihipStream_tbEUlT_E_NS1_11comp_targetILNS1_3genE0ELNS1_11target_archE4294967295ELNS1_3gpuE0ELNS1_3repE0EEENS1_30default_config_static_selectorELNS0_4arch9wavefront6targetE0EEEvSK_.has_indirect_call, or(0, .L_ZN7rocprim17ROCPRIM_400000_NS6detail40segmented_radix_sort_single_block_helperIdlLj256ELj16ELb1EE4sortIPKdPdPKlPlEEbT_T0_T1_T2_jjjjRNS3_12storage_typeE.has_indirect_call)
	.section	.AMDGPU.csdata,"",@progbits
; Kernel info:
; codeLenInByte = 82792
; TotalNumSgprs: 65
; NumVgprs: 319
; ScratchSize: 0
; MemoryBound: 0
; FloatMode: 240
; IeeeMode: 1
; LDSByteSize: 33824 bytes/workgroup (compile time only)
; SGPRBlocks: 0
; VGPRBlocks: 19
; NumSGPRsForWavesPerEU: 65
; NumVGPRsForWavesPerEU: 319
; NamedBarCnt: 0
; Occupancy: 3
; WaveLimiterHint : 1
; COMPUTE_PGM_RSRC2:SCRATCH_EN: 0
; COMPUTE_PGM_RSRC2:USER_SGPR: 4
; COMPUTE_PGM_RSRC2:TRAP_HANDLER: 0
; COMPUTE_PGM_RSRC2:TGID_X_EN: 1
; COMPUTE_PGM_RSRC2:TGID_Y_EN: 1
; COMPUTE_PGM_RSRC2:TGID_Z_EN: 0
; COMPUTE_PGM_RSRC2:TIDIG_COMP_CNT: 2
	.section	.text._ZN7rocprim17ROCPRIM_400000_NS6detail17trampoline_kernelINS0_14default_configENS1_36segmented_radix_sort_config_selectorIdlEEZNS1_25segmented_radix_sort_implIS3_Lb1EPKdPdPKlPlN2at6native12_GLOBAL__N_18offset_tEEE10hipError_tPvRmT1_PNSt15iterator_traitsISK_E10value_typeET2_T3_PNSL_ISQ_E10value_typeET4_jRbjT5_SW_jjP12ihipStream_tbEUlT_E_NS1_11comp_targetILNS1_3genE5ELNS1_11target_archE942ELNS1_3gpuE9ELNS1_3repE0EEENS1_30default_config_static_selectorELNS0_4arch9wavefront6targetE0EEEvSK_,"axG",@progbits,_ZN7rocprim17ROCPRIM_400000_NS6detail17trampoline_kernelINS0_14default_configENS1_36segmented_radix_sort_config_selectorIdlEEZNS1_25segmented_radix_sort_implIS3_Lb1EPKdPdPKlPlN2at6native12_GLOBAL__N_18offset_tEEE10hipError_tPvRmT1_PNSt15iterator_traitsISK_E10value_typeET2_T3_PNSL_ISQ_E10value_typeET4_jRbjT5_SW_jjP12ihipStream_tbEUlT_E_NS1_11comp_targetILNS1_3genE5ELNS1_11target_archE942ELNS1_3gpuE9ELNS1_3repE0EEENS1_30default_config_static_selectorELNS0_4arch9wavefront6targetE0EEEvSK_,comdat
	.globl	_ZN7rocprim17ROCPRIM_400000_NS6detail17trampoline_kernelINS0_14default_configENS1_36segmented_radix_sort_config_selectorIdlEEZNS1_25segmented_radix_sort_implIS3_Lb1EPKdPdPKlPlN2at6native12_GLOBAL__N_18offset_tEEE10hipError_tPvRmT1_PNSt15iterator_traitsISK_E10value_typeET2_T3_PNSL_ISQ_E10value_typeET4_jRbjT5_SW_jjP12ihipStream_tbEUlT_E_NS1_11comp_targetILNS1_3genE5ELNS1_11target_archE942ELNS1_3gpuE9ELNS1_3repE0EEENS1_30default_config_static_selectorELNS0_4arch9wavefront6targetE0EEEvSK_ ; -- Begin function _ZN7rocprim17ROCPRIM_400000_NS6detail17trampoline_kernelINS0_14default_configENS1_36segmented_radix_sort_config_selectorIdlEEZNS1_25segmented_radix_sort_implIS3_Lb1EPKdPdPKlPlN2at6native12_GLOBAL__N_18offset_tEEE10hipError_tPvRmT1_PNSt15iterator_traitsISK_E10value_typeET2_T3_PNSL_ISQ_E10value_typeET4_jRbjT5_SW_jjP12ihipStream_tbEUlT_E_NS1_11comp_targetILNS1_3genE5ELNS1_11target_archE942ELNS1_3gpuE9ELNS1_3repE0EEENS1_30default_config_static_selectorELNS0_4arch9wavefront6targetE0EEEvSK_
	.p2align	8
	.type	_ZN7rocprim17ROCPRIM_400000_NS6detail17trampoline_kernelINS0_14default_configENS1_36segmented_radix_sort_config_selectorIdlEEZNS1_25segmented_radix_sort_implIS3_Lb1EPKdPdPKlPlN2at6native12_GLOBAL__N_18offset_tEEE10hipError_tPvRmT1_PNSt15iterator_traitsISK_E10value_typeET2_T3_PNSL_ISQ_E10value_typeET4_jRbjT5_SW_jjP12ihipStream_tbEUlT_E_NS1_11comp_targetILNS1_3genE5ELNS1_11target_archE942ELNS1_3gpuE9ELNS1_3repE0EEENS1_30default_config_static_selectorELNS0_4arch9wavefront6targetE0EEEvSK_,@function
_ZN7rocprim17ROCPRIM_400000_NS6detail17trampoline_kernelINS0_14default_configENS1_36segmented_radix_sort_config_selectorIdlEEZNS1_25segmented_radix_sort_implIS3_Lb1EPKdPdPKlPlN2at6native12_GLOBAL__N_18offset_tEEE10hipError_tPvRmT1_PNSt15iterator_traitsISK_E10value_typeET2_T3_PNSL_ISQ_E10value_typeET4_jRbjT5_SW_jjP12ihipStream_tbEUlT_E_NS1_11comp_targetILNS1_3genE5ELNS1_11target_archE942ELNS1_3gpuE9ELNS1_3repE0EEENS1_30default_config_static_selectorELNS0_4arch9wavefront6targetE0EEEvSK_: ; @_ZN7rocprim17ROCPRIM_400000_NS6detail17trampoline_kernelINS0_14default_configENS1_36segmented_radix_sort_config_selectorIdlEEZNS1_25segmented_radix_sort_implIS3_Lb1EPKdPdPKlPlN2at6native12_GLOBAL__N_18offset_tEEE10hipError_tPvRmT1_PNSt15iterator_traitsISK_E10value_typeET2_T3_PNSL_ISQ_E10value_typeET4_jRbjT5_SW_jjP12ihipStream_tbEUlT_E_NS1_11comp_targetILNS1_3genE5ELNS1_11target_archE942ELNS1_3gpuE9ELNS1_3repE0EEENS1_30default_config_static_selectorELNS0_4arch9wavefront6targetE0EEEvSK_
; %bb.0:
	.section	.rodata,"a",@progbits
	.p2align	6, 0x0
	.amdhsa_kernel _ZN7rocprim17ROCPRIM_400000_NS6detail17trampoline_kernelINS0_14default_configENS1_36segmented_radix_sort_config_selectorIdlEEZNS1_25segmented_radix_sort_implIS3_Lb1EPKdPdPKlPlN2at6native12_GLOBAL__N_18offset_tEEE10hipError_tPvRmT1_PNSt15iterator_traitsISK_E10value_typeET2_T3_PNSL_ISQ_E10value_typeET4_jRbjT5_SW_jjP12ihipStream_tbEUlT_E_NS1_11comp_targetILNS1_3genE5ELNS1_11target_archE942ELNS1_3gpuE9ELNS1_3repE0EEENS1_30default_config_static_selectorELNS0_4arch9wavefront6targetE0EEEvSK_
		.amdhsa_group_segment_fixed_size 0
		.amdhsa_private_segment_fixed_size 0
		.amdhsa_kernarg_size 96
		.amdhsa_user_sgpr_count 2
		.amdhsa_user_sgpr_dispatch_ptr 0
		.amdhsa_user_sgpr_queue_ptr 0
		.amdhsa_user_sgpr_kernarg_segment_ptr 1
		.amdhsa_user_sgpr_dispatch_id 0
		.amdhsa_user_sgpr_kernarg_preload_length 0
		.amdhsa_user_sgpr_kernarg_preload_offset 0
		.amdhsa_user_sgpr_private_segment_size 0
		.amdhsa_wavefront_size32 1
		.amdhsa_uses_dynamic_stack 0
		.amdhsa_enable_private_segment 0
		.amdhsa_system_sgpr_workgroup_id_x 1
		.amdhsa_system_sgpr_workgroup_id_y 0
		.amdhsa_system_sgpr_workgroup_id_z 0
		.amdhsa_system_sgpr_workgroup_info 0
		.amdhsa_system_vgpr_workitem_id 0
		.amdhsa_next_free_vgpr 1
		.amdhsa_next_free_sgpr 1
		.amdhsa_named_barrier_count 0
		.amdhsa_reserve_vcc 0
		.amdhsa_float_round_mode_32 0
		.amdhsa_float_round_mode_16_64 0
		.amdhsa_float_denorm_mode_32 3
		.amdhsa_float_denorm_mode_16_64 3
		.amdhsa_fp16_overflow 0
		.amdhsa_memory_ordered 1
		.amdhsa_forward_progress 1
		.amdhsa_inst_pref_size 0
		.amdhsa_round_robin_scheduling 0
		.amdhsa_exception_fp_ieee_invalid_op 0
		.amdhsa_exception_fp_denorm_src 0
		.amdhsa_exception_fp_ieee_div_zero 0
		.amdhsa_exception_fp_ieee_overflow 0
		.amdhsa_exception_fp_ieee_underflow 0
		.amdhsa_exception_fp_ieee_inexact 0
		.amdhsa_exception_int_div_zero 0
	.end_amdhsa_kernel
	.section	.text._ZN7rocprim17ROCPRIM_400000_NS6detail17trampoline_kernelINS0_14default_configENS1_36segmented_radix_sort_config_selectorIdlEEZNS1_25segmented_radix_sort_implIS3_Lb1EPKdPdPKlPlN2at6native12_GLOBAL__N_18offset_tEEE10hipError_tPvRmT1_PNSt15iterator_traitsISK_E10value_typeET2_T3_PNSL_ISQ_E10value_typeET4_jRbjT5_SW_jjP12ihipStream_tbEUlT_E_NS1_11comp_targetILNS1_3genE5ELNS1_11target_archE942ELNS1_3gpuE9ELNS1_3repE0EEENS1_30default_config_static_selectorELNS0_4arch9wavefront6targetE0EEEvSK_,"axG",@progbits,_ZN7rocprim17ROCPRIM_400000_NS6detail17trampoline_kernelINS0_14default_configENS1_36segmented_radix_sort_config_selectorIdlEEZNS1_25segmented_radix_sort_implIS3_Lb1EPKdPdPKlPlN2at6native12_GLOBAL__N_18offset_tEEE10hipError_tPvRmT1_PNSt15iterator_traitsISK_E10value_typeET2_T3_PNSL_ISQ_E10value_typeET4_jRbjT5_SW_jjP12ihipStream_tbEUlT_E_NS1_11comp_targetILNS1_3genE5ELNS1_11target_archE942ELNS1_3gpuE9ELNS1_3repE0EEENS1_30default_config_static_selectorELNS0_4arch9wavefront6targetE0EEEvSK_,comdat
.Lfunc_end1114:
	.size	_ZN7rocprim17ROCPRIM_400000_NS6detail17trampoline_kernelINS0_14default_configENS1_36segmented_radix_sort_config_selectorIdlEEZNS1_25segmented_radix_sort_implIS3_Lb1EPKdPdPKlPlN2at6native12_GLOBAL__N_18offset_tEEE10hipError_tPvRmT1_PNSt15iterator_traitsISK_E10value_typeET2_T3_PNSL_ISQ_E10value_typeET4_jRbjT5_SW_jjP12ihipStream_tbEUlT_E_NS1_11comp_targetILNS1_3genE5ELNS1_11target_archE942ELNS1_3gpuE9ELNS1_3repE0EEENS1_30default_config_static_selectorELNS0_4arch9wavefront6targetE0EEEvSK_, .Lfunc_end1114-_ZN7rocprim17ROCPRIM_400000_NS6detail17trampoline_kernelINS0_14default_configENS1_36segmented_radix_sort_config_selectorIdlEEZNS1_25segmented_radix_sort_implIS3_Lb1EPKdPdPKlPlN2at6native12_GLOBAL__N_18offset_tEEE10hipError_tPvRmT1_PNSt15iterator_traitsISK_E10value_typeET2_T3_PNSL_ISQ_E10value_typeET4_jRbjT5_SW_jjP12ihipStream_tbEUlT_E_NS1_11comp_targetILNS1_3genE5ELNS1_11target_archE942ELNS1_3gpuE9ELNS1_3repE0EEENS1_30default_config_static_selectorELNS0_4arch9wavefront6targetE0EEEvSK_
                                        ; -- End function
	.set _ZN7rocprim17ROCPRIM_400000_NS6detail17trampoline_kernelINS0_14default_configENS1_36segmented_radix_sort_config_selectorIdlEEZNS1_25segmented_radix_sort_implIS3_Lb1EPKdPdPKlPlN2at6native12_GLOBAL__N_18offset_tEEE10hipError_tPvRmT1_PNSt15iterator_traitsISK_E10value_typeET2_T3_PNSL_ISQ_E10value_typeET4_jRbjT5_SW_jjP12ihipStream_tbEUlT_E_NS1_11comp_targetILNS1_3genE5ELNS1_11target_archE942ELNS1_3gpuE9ELNS1_3repE0EEENS1_30default_config_static_selectorELNS0_4arch9wavefront6targetE0EEEvSK_.num_vgpr, 0
	.set _ZN7rocprim17ROCPRIM_400000_NS6detail17trampoline_kernelINS0_14default_configENS1_36segmented_radix_sort_config_selectorIdlEEZNS1_25segmented_radix_sort_implIS3_Lb1EPKdPdPKlPlN2at6native12_GLOBAL__N_18offset_tEEE10hipError_tPvRmT1_PNSt15iterator_traitsISK_E10value_typeET2_T3_PNSL_ISQ_E10value_typeET4_jRbjT5_SW_jjP12ihipStream_tbEUlT_E_NS1_11comp_targetILNS1_3genE5ELNS1_11target_archE942ELNS1_3gpuE9ELNS1_3repE0EEENS1_30default_config_static_selectorELNS0_4arch9wavefront6targetE0EEEvSK_.num_agpr, 0
	.set _ZN7rocprim17ROCPRIM_400000_NS6detail17trampoline_kernelINS0_14default_configENS1_36segmented_radix_sort_config_selectorIdlEEZNS1_25segmented_radix_sort_implIS3_Lb1EPKdPdPKlPlN2at6native12_GLOBAL__N_18offset_tEEE10hipError_tPvRmT1_PNSt15iterator_traitsISK_E10value_typeET2_T3_PNSL_ISQ_E10value_typeET4_jRbjT5_SW_jjP12ihipStream_tbEUlT_E_NS1_11comp_targetILNS1_3genE5ELNS1_11target_archE942ELNS1_3gpuE9ELNS1_3repE0EEENS1_30default_config_static_selectorELNS0_4arch9wavefront6targetE0EEEvSK_.numbered_sgpr, 0
	.set _ZN7rocprim17ROCPRIM_400000_NS6detail17trampoline_kernelINS0_14default_configENS1_36segmented_radix_sort_config_selectorIdlEEZNS1_25segmented_radix_sort_implIS3_Lb1EPKdPdPKlPlN2at6native12_GLOBAL__N_18offset_tEEE10hipError_tPvRmT1_PNSt15iterator_traitsISK_E10value_typeET2_T3_PNSL_ISQ_E10value_typeET4_jRbjT5_SW_jjP12ihipStream_tbEUlT_E_NS1_11comp_targetILNS1_3genE5ELNS1_11target_archE942ELNS1_3gpuE9ELNS1_3repE0EEENS1_30default_config_static_selectorELNS0_4arch9wavefront6targetE0EEEvSK_.num_named_barrier, 0
	.set _ZN7rocprim17ROCPRIM_400000_NS6detail17trampoline_kernelINS0_14default_configENS1_36segmented_radix_sort_config_selectorIdlEEZNS1_25segmented_radix_sort_implIS3_Lb1EPKdPdPKlPlN2at6native12_GLOBAL__N_18offset_tEEE10hipError_tPvRmT1_PNSt15iterator_traitsISK_E10value_typeET2_T3_PNSL_ISQ_E10value_typeET4_jRbjT5_SW_jjP12ihipStream_tbEUlT_E_NS1_11comp_targetILNS1_3genE5ELNS1_11target_archE942ELNS1_3gpuE9ELNS1_3repE0EEENS1_30default_config_static_selectorELNS0_4arch9wavefront6targetE0EEEvSK_.private_seg_size, 0
	.set _ZN7rocprim17ROCPRIM_400000_NS6detail17trampoline_kernelINS0_14default_configENS1_36segmented_radix_sort_config_selectorIdlEEZNS1_25segmented_radix_sort_implIS3_Lb1EPKdPdPKlPlN2at6native12_GLOBAL__N_18offset_tEEE10hipError_tPvRmT1_PNSt15iterator_traitsISK_E10value_typeET2_T3_PNSL_ISQ_E10value_typeET4_jRbjT5_SW_jjP12ihipStream_tbEUlT_E_NS1_11comp_targetILNS1_3genE5ELNS1_11target_archE942ELNS1_3gpuE9ELNS1_3repE0EEENS1_30default_config_static_selectorELNS0_4arch9wavefront6targetE0EEEvSK_.uses_vcc, 0
	.set _ZN7rocprim17ROCPRIM_400000_NS6detail17trampoline_kernelINS0_14default_configENS1_36segmented_radix_sort_config_selectorIdlEEZNS1_25segmented_radix_sort_implIS3_Lb1EPKdPdPKlPlN2at6native12_GLOBAL__N_18offset_tEEE10hipError_tPvRmT1_PNSt15iterator_traitsISK_E10value_typeET2_T3_PNSL_ISQ_E10value_typeET4_jRbjT5_SW_jjP12ihipStream_tbEUlT_E_NS1_11comp_targetILNS1_3genE5ELNS1_11target_archE942ELNS1_3gpuE9ELNS1_3repE0EEENS1_30default_config_static_selectorELNS0_4arch9wavefront6targetE0EEEvSK_.uses_flat_scratch, 0
	.set _ZN7rocprim17ROCPRIM_400000_NS6detail17trampoline_kernelINS0_14default_configENS1_36segmented_radix_sort_config_selectorIdlEEZNS1_25segmented_radix_sort_implIS3_Lb1EPKdPdPKlPlN2at6native12_GLOBAL__N_18offset_tEEE10hipError_tPvRmT1_PNSt15iterator_traitsISK_E10value_typeET2_T3_PNSL_ISQ_E10value_typeET4_jRbjT5_SW_jjP12ihipStream_tbEUlT_E_NS1_11comp_targetILNS1_3genE5ELNS1_11target_archE942ELNS1_3gpuE9ELNS1_3repE0EEENS1_30default_config_static_selectorELNS0_4arch9wavefront6targetE0EEEvSK_.has_dyn_sized_stack, 0
	.set _ZN7rocprim17ROCPRIM_400000_NS6detail17trampoline_kernelINS0_14default_configENS1_36segmented_radix_sort_config_selectorIdlEEZNS1_25segmented_radix_sort_implIS3_Lb1EPKdPdPKlPlN2at6native12_GLOBAL__N_18offset_tEEE10hipError_tPvRmT1_PNSt15iterator_traitsISK_E10value_typeET2_T3_PNSL_ISQ_E10value_typeET4_jRbjT5_SW_jjP12ihipStream_tbEUlT_E_NS1_11comp_targetILNS1_3genE5ELNS1_11target_archE942ELNS1_3gpuE9ELNS1_3repE0EEENS1_30default_config_static_selectorELNS0_4arch9wavefront6targetE0EEEvSK_.has_recursion, 0
	.set _ZN7rocprim17ROCPRIM_400000_NS6detail17trampoline_kernelINS0_14default_configENS1_36segmented_radix_sort_config_selectorIdlEEZNS1_25segmented_radix_sort_implIS3_Lb1EPKdPdPKlPlN2at6native12_GLOBAL__N_18offset_tEEE10hipError_tPvRmT1_PNSt15iterator_traitsISK_E10value_typeET2_T3_PNSL_ISQ_E10value_typeET4_jRbjT5_SW_jjP12ihipStream_tbEUlT_E_NS1_11comp_targetILNS1_3genE5ELNS1_11target_archE942ELNS1_3gpuE9ELNS1_3repE0EEENS1_30default_config_static_selectorELNS0_4arch9wavefront6targetE0EEEvSK_.has_indirect_call, 0
	.section	.AMDGPU.csdata,"",@progbits
; Kernel info:
; codeLenInByte = 0
; TotalNumSgprs: 0
; NumVgprs: 0
; ScratchSize: 0
; MemoryBound: 0
; FloatMode: 240
; IeeeMode: 1
; LDSByteSize: 0 bytes/workgroup (compile time only)
; SGPRBlocks: 0
; VGPRBlocks: 0
; NumSGPRsForWavesPerEU: 1
; NumVGPRsForWavesPerEU: 1
; NamedBarCnt: 0
; Occupancy: 16
; WaveLimiterHint : 0
; COMPUTE_PGM_RSRC2:SCRATCH_EN: 0
; COMPUTE_PGM_RSRC2:USER_SGPR: 2
; COMPUTE_PGM_RSRC2:TRAP_HANDLER: 0
; COMPUTE_PGM_RSRC2:TGID_X_EN: 1
; COMPUTE_PGM_RSRC2:TGID_Y_EN: 0
; COMPUTE_PGM_RSRC2:TGID_Z_EN: 0
; COMPUTE_PGM_RSRC2:TIDIG_COMP_CNT: 0
	.section	.text._ZN7rocprim17ROCPRIM_400000_NS6detail17trampoline_kernelINS0_14default_configENS1_36segmented_radix_sort_config_selectorIdlEEZNS1_25segmented_radix_sort_implIS3_Lb1EPKdPdPKlPlN2at6native12_GLOBAL__N_18offset_tEEE10hipError_tPvRmT1_PNSt15iterator_traitsISK_E10value_typeET2_T3_PNSL_ISQ_E10value_typeET4_jRbjT5_SW_jjP12ihipStream_tbEUlT_E_NS1_11comp_targetILNS1_3genE4ELNS1_11target_archE910ELNS1_3gpuE8ELNS1_3repE0EEENS1_30default_config_static_selectorELNS0_4arch9wavefront6targetE0EEEvSK_,"axG",@progbits,_ZN7rocprim17ROCPRIM_400000_NS6detail17trampoline_kernelINS0_14default_configENS1_36segmented_radix_sort_config_selectorIdlEEZNS1_25segmented_radix_sort_implIS3_Lb1EPKdPdPKlPlN2at6native12_GLOBAL__N_18offset_tEEE10hipError_tPvRmT1_PNSt15iterator_traitsISK_E10value_typeET2_T3_PNSL_ISQ_E10value_typeET4_jRbjT5_SW_jjP12ihipStream_tbEUlT_E_NS1_11comp_targetILNS1_3genE4ELNS1_11target_archE910ELNS1_3gpuE8ELNS1_3repE0EEENS1_30default_config_static_selectorELNS0_4arch9wavefront6targetE0EEEvSK_,comdat
	.globl	_ZN7rocprim17ROCPRIM_400000_NS6detail17trampoline_kernelINS0_14default_configENS1_36segmented_radix_sort_config_selectorIdlEEZNS1_25segmented_radix_sort_implIS3_Lb1EPKdPdPKlPlN2at6native12_GLOBAL__N_18offset_tEEE10hipError_tPvRmT1_PNSt15iterator_traitsISK_E10value_typeET2_T3_PNSL_ISQ_E10value_typeET4_jRbjT5_SW_jjP12ihipStream_tbEUlT_E_NS1_11comp_targetILNS1_3genE4ELNS1_11target_archE910ELNS1_3gpuE8ELNS1_3repE0EEENS1_30default_config_static_selectorELNS0_4arch9wavefront6targetE0EEEvSK_ ; -- Begin function _ZN7rocprim17ROCPRIM_400000_NS6detail17trampoline_kernelINS0_14default_configENS1_36segmented_radix_sort_config_selectorIdlEEZNS1_25segmented_radix_sort_implIS3_Lb1EPKdPdPKlPlN2at6native12_GLOBAL__N_18offset_tEEE10hipError_tPvRmT1_PNSt15iterator_traitsISK_E10value_typeET2_T3_PNSL_ISQ_E10value_typeET4_jRbjT5_SW_jjP12ihipStream_tbEUlT_E_NS1_11comp_targetILNS1_3genE4ELNS1_11target_archE910ELNS1_3gpuE8ELNS1_3repE0EEENS1_30default_config_static_selectorELNS0_4arch9wavefront6targetE0EEEvSK_
	.p2align	8
	.type	_ZN7rocprim17ROCPRIM_400000_NS6detail17trampoline_kernelINS0_14default_configENS1_36segmented_radix_sort_config_selectorIdlEEZNS1_25segmented_radix_sort_implIS3_Lb1EPKdPdPKlPlN2at6native12_GLOBAL__N_18offset_tEEE10hipError_tPvRmT1_PNSt15iterator_traitsISK_E10value_typeET2_T3_PNSL_ISQ_E10value_typeET4_jRbjT5_SW_jjP12ihipStream_tbEUlT_E_NS1_11comp_targetILNS1_3genE4ELNS1_11target_archE910ELNS1_3gpuE8ELNS1_3repE0EEENS1_30default_config_static_selectorELNS0_4arch9wavefront6targetE0EEEvSK_,@function
_ZN7rocprim17ROCPRIM_400000_NS6detail17trampoline_kernelINS0_14default_configENS1_36segmented_radix_sort_config_selectorIdlEEZNS1_25segmented_radix_sort_implIS3_Lb1EPKdPdPKlPlN2at6native12_GLOBAL__N_18offset_tEEE10hipError_tPvRmT1_PNSt15iterator_traitsISK_E10value_typeET2_T3_PNSL_ISQ_E10value_typeET4_jRbjT5_SW_jjP12ihipStream_tbEUlT_E_NS1_11comp_targetILNS1_3genE4ELNS1_11target_archE910ELNS1_3gpuE8ELNS1_3repE0EEENS1_30default_config_static_selectorELNS0_4arch9wavefront6targetE0EEEvSK_: ; @_ZN7rocprim17ROCPRIM_400000_NS6detail17trampoline_kernelINS0_14default_configENS1_36segmented_radix_sort_config_selectorIdlEEZNS1_25segmented_radix_sort_implIS3_Lb1EPKdPdPKlPlN2at6native12_GLOBAL__N_18offset_tEEE10hipError_tPvRmT1_PNSt15iterator_traitsISK_E10value_typeET2_T3_PNSL_ISQ_E10value_typeET4_jRbjT5_SW_jjP12ihipStream_tbEUlT_E_NS1_11comp_targetILNS1_3genE4ELNS1_11target_archE910ELNS1_3gpuE8ELNS1_3repE0EEENS1_30default_config_static_selectorELNS0_4arch9wavefront6targetE0EEEvSK_
; %bb.0:
	.section	.rodata,"a",@progbits
	.p2align	6, 0x0
	.amdhsa_kernel _ZN7rocprim17ROCPRIM_400000_NS6detail17trampoline_kernelINS0_14default_configENS1_36segmented_radix_sort_config_selectorIdlEEZNS1_25segmented_radix_sort_implIS3_Lb1EPKdPdPKlPlN2at6native12_GLOBAL__N_18offset_tEEE10hipError_tPvRmT1_PNSt15iterator_traitsISK_E10value_typeET2_T3_PNSL_ISQ_E10value_typeET4_jRbjT5_SW_jjP12ihipStream_tbEUlT_E_NS1_11comp_targetILNS1_3genE4ELNS1_11target_archE910ELNS1_3gpuE8ELNS1_3repE0EEENS1_30default_config_static_selectorELNS0_4arch9wavefront6targetE0EEEvSK_
		.amdhsa_group_segment_fixed_size 0
		.amdhsa_private_segment_fixed_size 0
		.amdhsa_kernarg_size 96
		.amdhsa_user_sgpr_count 2
		.amdhsa_user_sgpr_dispatch_ptr 0
		.amdhsa_user_sgpr_queue_ptr 0
		.amdhsa_user_sgpr_kernarg_segment_ptr 1
		.amdhsa_user_sgpr_dispatch_id 0
		.amdhsa_user_sgpr_kernarg_preload_length 0
		.amdhsa_user_sgpr_kernarg_preload_offset 0
		.amdhsa_user_sgpr_private_segment_size 0
		.amdhsa_wavefront_size32 1
		.amdhsa_uses_dynamic_stack 0
		.amdhsa_enable_private_segment 0
		.amdhsa_system_sgpr_workgroup_id_x 1
		.amdhsa_system_sgpr_workgroup_id_y 0
		.amdhsa_system_sgpr_workgroup_id_z 0
		.amdhsa_system_sgpr_workgroup_info 0
		.amdhsa_system_vgpr_workitem_id 0
		.amdhsa_next_free_vgpr 1
		.amdhsa_next_free_sgpr 1
		.amdhsa_named_barrier_count 0
		.amdhsa_reserve_vcc 0
		.amdhsa_float_round_mode_32 0
		.amdhsa_float_round_mode_16_64 0
		.amdhsa_float_denorm_mode_32 3
		.amdhsa_float_denorm_mode_16_64 3
		.amdhsa_fp16_overflow 0
		.amdhsa_memory_ordered 1
		.amdhsa_forward_progress 1
		.amdhsa_inst_pref_size 0
		.amdhsa_round_robin_scheduling 0
		.amdhsa_exception_fp_ieee_invalid_op 0
		.amdhsa_exception_fp_denorm_src 0
		.amdhsa_exception_fp_ieee_div_zero 0
		.amdhsa_exception_fp_ieee_overflow 0
		.amdhsa_exception_fp_ieee_underflow 0
		.amdhsa_exception_fp_ieee_inexact 0
		.amdhsa_exception_int_div_zero 0
	.end_amdhsa_kernel
	.section	.text._ZN7rocprim17ROCPRIM_400000_NS6detail17trampoline_kernelINS0_14default_configENS1_36segmented_radix_sort_config_selectorIdlEEZNS1_25segmented_radix_sort_implIS3_Lb1EPKdPdPKlPlN2at6native12_GLOBAL__N_18offset_tEEE10hipError_tPvRmT1_PNSt15iterator_traitsISK_E10value_typeET2_T3_PNSL_ISQ_E10value_typeET4_jRbjT5_SW_jjP12ihipStream_tbEUlT_E_NS1_11comp_targetILNS1_3genE4ELNS1_11target_archE910ELNS1_3gpuE8ELNS1_3repE0EEENS1_30default_config_static_selectorELNS0_4arch9wavefront6targetE0EEEvSK_,"axG",@progbits,_ZN7rocprim17ROCPRIM_400000_NS6detail17trampoline_kernelINS0_14default_configENS1_36segmented_radix_sort_config_selectorIdlEEZNS1_25segmented_radix_sort_implIS3_Lb1EPKdPdPKlPlN2at6native12_GLOBAL__N_18offset_tEEE10hipError_tPvRmT1_PNSt15iterator_traitsISK_E10value_typeET2_T3_PNSL_ISQ_E10value_typeET4_jRbjT5_SW_jjP12ihipStream_tbEUlT_E_NS1_11comp_targetILNS1_3genE4ELNS1_11target_archE910ELNS1_3gpuE8ELNS1_3repE0EEENS1_30default_config_static_selectorELNS0_4arch9wavefront6targetE0EEEvSK_,comdat
.Lfunc_end1115:
	.size	_ZN7rocprim17ROCPRIM_400000_NS6detail17trampoline_kernelINS0_14default_configENS1_36segmented_radix_sort_config_selectorIdlEEZNS1_25segmented_radix_sort_implIS3_Lb1EPKdPdPKlPlN2at6native12_GLOBAL__N_18offset_tEEE10hipError_tPvRmT1_PNSt15iterator_traitsISK_E10value_typeET2_T3_PNSL_ISQ_E10value_typeET4_jRbjT5_SW_jjP12ihipStream_tbEUlT_E_NS1_11comp_targetILNS1_3genE4ELNS1_11target_archE910ELNS1_3gpuE8ELNS1_3repE0EEENS1_30default_config_static_selectorELNS0_4arch9wavefront6targetE0EEEvSK_, .Lfunc_end1115-_ZN7rocprim17ROCPRIM_400000_NS6detail17trampoline_kernelINS0_14default_configENS1_36segmented_radix_sort_config_selectorIdlEEZNS1_25segmented_radix_sort_implIS3_Lb1EPKdPdPKlPlN2at6native12_GLOBAL__N_18offset_tEEE10hipError_tPvRmT1_PNSt15iterator_traitsISK_E10value_typeET2_T3_PNSL_ISQ_E10value_typeET4_jRbjT5_SW_jjP12ihipStream_tbEUlT_E_NS1_11comp_targetILNS1_3genE4ELNS1_11target_archE910ELNS1_3gpuE8ELNS1_3repE0EEENS1_30default_config_static_selectorELNS0_4arch9wavefront6targetE0EEEvSK_
                                        ; -- End function
	.set _ZN7rocprim17ROCPRIM_400000_NS6detail17trampoline_kernelINS0_14default_configENS1_36segmented_radix_sort_config_selectorIdlEEZNS1_25segmented_radix_sort_implIS3_Lb1EPKdPdPKlPlN2at6native12_GLOBAL__N_18offset_tEEE10hipError_tPvRmT1_PNSt15iterator_traitsISK_E10value_typeET2_T3_PNSL_ISQ_E10value_typeET4_jRbjT5_SW_jjP12ihipStream_tbEUlT_E_NS1_11comp_targetILNS1_3genE4ELNS1_11target_archE910ELNS1_3gpuE8ELNS1_3repE0EEENS1_30default_config_static_selectorELNS0_4arch9wavefront6targetE0EEEvSK_.num_vgpr, 0
	.set _ZN7rocprim17ROCPRIM_400000_NS6detail17trampoline_kernelINS0_14default_configENS1_36segmented_radix_sort_config_selectorIdlEEZNS1_25segmented_radix_sort_implIS3_Lb1EPKdPdPKlPlN2at6native12_GLOBAL__N_18offset_tEEE10hipError_tPvRmT1_PNSt15iterator_traitsISK_E10value_typeET2_T3_PNSL_ISQ_E10value_typeET4_jRbjT5_SW_jjP12ihipStream_tbEUlT_E_NS1_11comp_targetILNS1_3genE4ELNS1_11target_archE910ELNS1_3gpuE8ELNS1_3repE0EEENS1_30default_config_static_selectorELNS0_4arch9wavefront6targetE0EEEvSK_.num_agpr, 0
	.set _ZN7rocprim17ROCPRIM_400000_NS6detail17trampoline_kernelINS0_14default_configENS1_36segmented_radix_sort_config_selectorIdlEEZNS1_25segmented_radix_sort_implIS3_Lb1EPKdPdPKlPlN2at6native12_GLOBAL__N_18offset_tEEE10hipError_tPvRmT1_PNSt15iterator_traitsISK_E10value_typeET2_T3_PNSL_ISQ_E10value_typeET4_jRbjT5_SW_jjP12ihipStream_tbEUlT_E_NS1_11comp_targetILNS1_3genE4ELNS1_11target_archE910ELNS1_3gpuE8ELNS1_3repE0EEENS1_30default_config_static_selectorELNS0_4arch9wavefront6targetE0EEEvSK_.numbered_sgpr, 0
	.set _ZN7rocprim17ROCPRIM_400000_NS6detail17trampoline_kernelINS0_14default_configENS1_36segmented_radix_sort_config_selectorIdlEEZNS1_25segmented_radix_sort_implIS3_Lb1EPKdPdPKlPlN2at6native12_GLOBAL__N_18offset_tEEE10hipError_tPvRmT1_PNSt15iterator_traitsISK_E10value_typeET2_T3_PNSL_ISQ_E10value_typeET4_jRbjT5_SW_jjP12ihipStream_tbEUlT_E_NS1_11comp_targetILNS1_3genE4ELNS1_11target_archE910ELNS1_3gpuE8ELNS1_3repE0EEENS1_30default_config_static_selectorELNS0_4arch9wavefront6targetE0EEEvSK_.num_named_barrier, 0
	.set _ZN7rocprim17ROCPRIM_400000_NS6detail17trampoline_kernelINS0_14default_configENS1_36segmented_radix_sort_config_selectorIdlEEZNS1_25segmented_radix_sort_implIS3_Lb1EPKdPdPKlPlN2at6native12_GLOBAL__N_18offset_tEEE10hipError_tPvRmT1_PNSt15iterator_traitsISK_E10value_typeET2_T3_PNSL_ISQ_E10value_typeET4_jRbjT5_SW_jjP12ihipStream_tbEUlT_E_NS1_11comp_targetILNS1_3genE4ELNS1_11target_archE910ELNS1_3gpuE8ELNS1_3repE0EEENS1_30default_config_static_selectorELNS0_4arch9wavefront6targetE0EEEvSK_.private_seg_size, 0
	.set _ZN7rocprim17ROCPRIM_400000_NS6detail17trampoline_kernelINS0_14default_configENS1_36segmented_radix_sort_config_selectorIdlEEZNS1_25segmented_radix_sort_implIS3_Lb1EPKdPdPKlPlN2at6native12_GLOBAL__N_18offset_tEEE10hipError_tPvRmT1_PNSt15iterator_traitsISK_E10value_typeET2_T3_PNSL_ISQ_E10value_typeET4_jRbjT5_SW_jjP12ihipStream_tbEUlT_E_NS1_11comp_targetILNS1_3genE4ELNS1_11target_archE910ELNS1_3gpuE8ELNS1_3repE0EEENS1_30default_config_static_selectorELNS0_4arch9wavefront6targetE0EEEvSK_.uses_vcc, 0
	.set _ZN7rocprim17ROCPRIM_400000_NS6detail17trampoline_kernelINS0_14default_configENS1_36segmented_radix_sort_config_selectorIdlEEZNS1_25segmented_radix_sort_implIS3_Lb1EPKdPdPKlPlN2at6native12_GLOBAL__N_18offset_tEEE10hipError_tPvRmT1_PNSt15iterator_traitsISK_E10value_typeET2_T3_PNSL_ISQ_E10value_typeET4_jRbjT5_SW_jjP12ihipStream_tbEUlT_E_NS1_11comp_targetILNS1_3genE4ELNS1_11target_archE910ELNS1_3gpuE8ELNS1_3repE0EEENS1_30default_config_static_selectorELNS0_4arch9wavefront6targetE0EEEvSK_.uses_flat_scratch, 0
	.set _ZN7rocprim17ROCPRIM_400000_NS6detail17trampoline_kernelINS0_14default_configENS1_36segmented_radix_sort_config_selectorIdlEEZNS1_25segmented_radix_sort_implIS3_Lb1EPKdPdPKlPlN2at6native12_GLOBAL__N_18offset_tEEE10hipError_tPvRmT1_PNSt15iterator_traitsISK_E10value_typeET2_T3_PNSL_ISQ_E10value_typeET4_jRbjT5_SW_jjP12ihipStream_tbEUlT_E_NS1_11comp_targetILNS1_3genE4ELNS1_11target_archE910ELNS1_3gpuE8ELNS1_3repE0EEENS1_30default_config_static_selectorELNS0_4arch9wavefront6targetE0EEEvSK_.has_dyn_sized_stack, 0
	.set _ZN7rocprim17ROCPRIM_400000_NS6detail17trampoline_kernelINS0_14default_configENS1_36segmented_radix_sort_config_selectorIdlEEZNS1_25segmented_radix_sort_implIS3_Lb1EPKdPdPKlPlN2at6native12_GLOBAL__N_18offset_tEEE10hipError_tPvRmT1_PNSt15iterator_traitsISK_E10value_typeET2_T3_PNSL_ISQ_E10value_typeET4_jRbjT5_SW_jjP12ihipStream_tbEUlT_E_NS1_11comp_targetILNS1_3genE4ELNS1_11target_archE910ELNS1_3gpuE8ELNS1_3repE0EEENS1_30default_config_static_selectorELNS0_4arch9wavefront6targetE0EEEvSK_.has_recursion, 0
	.set _ZN7rocprim17ROCPRIM_400000_NS6detail17trampoline_kernelINS0_14default_configENS1_36segmented_radix_sort_config_selectorIdlEEZNS1_25segmented_radix_sort_implIS3_Lb1EPKdPdPKlPlN2at6native12_GLOBAL__N_18offset_tEEE10hipError_tPvRmT1_PNSt15iterator_traitsISK_E10value_typeET2_T3_PNSL_ISQ_E10value_typeET4_jRbjT5_SW_jjP12ihipStream_tbEUlT_E_NS1_11comp_targetILNS1_3genE4ELNS1_11target_archE910ELNS1_3gpuE8ELNS1_3repE0EEENS1_30default_config_static_selectorELNS0_4arch9wavefront6targetE0EEEvSK_.has_indirect_call, 0
	.section	.AMDGPU.csdata,"",@progbits
; Kernel info:
; codeLenInByte = 0
; TotalNumSgprs: 0
; NumVgprs: 0
; ScratchSize: 0
; MemoryBound: 0
; FloatMode: 240
; IeeeMode: 1
; LDSByteSize: 0 bytes/workgroup (compile time only)
; SGPRBlocks: 0
; VGPRBlocks: 0
; NumSGPRsForWavesPerEU: 1
; NumVGPRsForWavesPerEU: 1
; NamedBarCnt: 0
; Occupancy: 16
; WaveLimiterHint : 0
; COMPUTE_PGM_RSRC2:SCRATCH_EN: 0
; COMPUTE_PGM_RSRC2:USER_SGPR: 2
; COMPUTE_PGM_RSRC2:TRAP_HANDLER: 0
; COMPUTE_PGM_RSRC2:TGID_X_EN: 1
; COMPUTE_PGM_RSRC2:TGID_Y_EN: 0
; COMPUTE_PGM_RSRC2:TGID_Z_EN: 0
; COMPUTE_PGM_RSRC2:TIDIG_COMP_CNT: 0
	.section	.text._ZN7rocprim17ROCPRIM_400000_NS6detail17trampoline_kernelINS0_14default_configENS1_36segmented_radix_sort_config_selectorIdlEEZNS1_25segmented_radix_sort_implIS3_Lb1EPKdPdPKlPlN2at6native12_GLOBAL__N_18offset_tEEE10hipError_tPvRmT1_PNSt15iterator_traitsISK_E10value_typeET2_T3_PNSL_ISQ_E10value_typeET4_jRbjT5_SW_jjP12ihipStream_tbEUlT_E_NS1_11comp_targetILNS1_3genE3ELNS1_11target_archE908ELNS1_3gpuE7ELNS1_3repE0EEENS1_30default_config_static_selectorELNS0_4arch9wavefront6targetE0EEEvSK_,"axG",@progbits,_ZN7rocprim17ROCPRIM_400000_NS6detail17trampoline_kernelINS0_14default_configENS1_36segmented_radix_sort_config_selectorIdlEEZNS1_25segmented_radix_sort_implIS3_Lb1EPKdPdPKlPlN2at6native12_GLOBAL__N_18offset_tEEE10hipError_tPvRmT1_PNSt15iterator_traitsISK_E10value_typeET2_T3_PNSL_ISQ_E10value_typeET4_jRbjT5_SW_jjP12ihipStream_tbEUlT_E_NS1_11comp_targetILNS1_3genE3ELNS1_11target_archE908ELNS1_3gpuE7ELNS1_3repE0EEENS1_30default_config_static_selectorELNS0_4arch9wavefront6targetE0EEEvSK_,comdat
	.globl	_ZN7rocprim17ROCPRIM_400000_NS6detail17trampoline_kernelINS0_14default_configENS1_36segmented_radix_sort_config_selectorIdlEEZNS1_25segmented_radix_sort_implIS3_Lb1EPKdPdPKlPlN2at6native12_GLOBAL__N_18offset_tEEE10hipError_tPvRmT1_PNSt15iterator_traitsISK_E10value_typeET2_T3_PNSL_ISQ_E10value_typeET4_jRbjT5_SW_jjP12ihipStream_tbEUlT_E_NS1_11comp_targetILNS1_3genE3ELNS1_11target_archE908ELNS1_3gpuE7ELNS1_3repE0EEENS1_30default_config_static_selectorELNS0_4arch9wavefront6targetE0EEEvSK_ ; -- Begin function _ZN7rocprim17ROCPRIM_400000_NS6detail17trampoline_kernelINS0_14default_configENS1_36segmented_radix_sort_config_selectorIdlEEZNS1_25segmented_radix_sort_implIS3_Lb1EPKdPdPKlPlN2at6native12_GLOBAL__N_18offset_tEEE10hipError_tPvRmT1_PNSt15iterator_traitsISK_E10value_typeET2_T3_PNSL_ISQ_E10value_typeET4_jRbjT5_SW_jjP12ihipStream_tbEUlT_E_NS1_11comp_targetILNS1_3genE3ELNS1_11target_archE908ELNS1_3gpuE7ELNS1_3repE0EEENS1_30default_config_static_selectorELNS0_4arch9wavefront6targetE0EEEvSK_
	.p2align	8
	.type	_ZN7rocprim17ROCPRIM_400000_NS6detail17trampoline_kernelINS0_14default_configENS1_36segmented_radix_sort_config_selectorIdlEEZNS1_25segmented_radix_sort_implIS3_Lb1EPKdPdPKlPlN2at6native12_GLOBAL__N_18offset_tEEE10hipError_tPvRmT1_PNSt15iterator_traitsISK_E10value_typeET2_T3_PNSL_ISQ_E10value_typeET4_jRbjT5_SW_jjP12ihipStream_tbEUlT_E_NS1_11comp_targetILNS1_3genE3ELNS1_11target_archE908ELNS1_3gpuE7ELNS1_3repE0EEENS1_30default_config_static_selectorELNS0_4arch9wavefront6targetE0EEEvSK_,@function
_ZN7rocprim17ROCPRIM_400000_NS6detail17trampoline_kernelINS0_14default_configENS1_36segmented_radix_sort_config_selectorIdlEEZNS1_25segmented_radix_sort_implIS3_Lb1EPKdPdPKlPlN2at6native12_GLOBAL__N_18offset_tEEE10hipError_tPvRmT1_PNSt15iterator_traitsISK_E10value_typeET2_T3_PNSL_ISQ_E10value_typeET4_jRbjT5_SW_jjP12ihipStream_tbEUlT_E_NS1_11comp_targetILNS1_3genE3ELNS1_11target_archE908ELNS1_3gpuE7ELNS1_3repE0EEENS1_30default_config_static_selectorELNS0_4arch9wavefront6targetE0EEEvSK_: ; @_ZN7rocprim17ROCPRIM_400000_NS6detail17trampoline_kernelINS0_14default_configENS1_36segmented_radix_sort_config_selectorIdlEEZNS1_25segmented_radix_sort_implIS3_Lb1EPKdPdPKlPlN2at6native12_GLOBAL__N_18offset_tEEE10hipError_tPvRmT1_PNSt15iterator_traitsISK_E10value_typeET2_T3_PNSL_ISQ_E10value_typeET4_jRbjT5_SW_jjP12ihipStream_tbEUlT_E_NS1_11comp_targetILNS1_3genE3ELNS1_11target_archE908ELNS1_3gpuE7ELNS1_3repE0EEENS1_30default_config_static_selectorELNS0_4arch9wavefront6targetE0EEEvSK_
; %bb.0:
	.section	.rodata,"a",@progbits
	.p2align	6, 0x0
	.amdhsa_kernel _ZN7rocprim17ROCPRIM_400000_NS6detail17trampoline_kernelINS0_14default_configENS1_36segmented_radix_sort_config_selectorIdlEEZNS1_25segmented_radix_sort_implIS3_Lb1EPKdPdPKlPlN2at6native12_GLOBAL__N_18offset_tEEE10hipError_tPvRmT1_PNSt15iterator_traitsISK_E10value_typeET2_T3_PNSL_ISQ_E10value_typeET4_jRbjT5_SW_jjP12ihipStream_tbEUlT_E_NS1_11comp_targetILNS1_3genE3ELNS1_11target_archE908ELNS1_3gpuE7ELNS1_3repE0EEENS1_30default_config_static_selectorELNS0_4arch9wavefront6targetE0EEEvSK_
		.amdhsa_group_segment_fixed_size 0
		.amdhsa_private_segment_fixed_size 0
		.amdhsa_kernarg_size 96
		.amdhsa_user_sgpr_count 2
		.amdhsa_user_sgpr_dispatch_ptr 0
		.amdhsa_user_sgpr_queue_ptr 0
		.amdhsa_user_sgpr_kernarg_segment_ptr 1
		.amdhsa_user_sgpr_dispatch_id 0
		.amdhsa_user_sgpr_kernarg_preload_length 0
		.amdhsa_user_sgpr_kernarg_preload_offset 0
		.amdhsa_user_sgpr_private_segment_size 0
		.amdhsa_wavefront_size32 1
		.amdhsa_uses_dynamic_stack 0
		.amdhsa_enable_private_segment 0
		.amdhsa_system_sgpr_workgroup_id_x 1
		.amdhsa_system_sgpr_workgroup_id_y 0
		.amdhsa_system_sgpr_workgroup_id_z 0
		.amdhsa_system_sgpr_workgroup_info 0
		.amdhsa_system_vgpr_workitem_id 0
		.amdhsa_next_free_vgpr 1
		.amdhsa_next_free_sgpr 1
		.amdhsa_named_barrier_count 0
		.amdhsa_reserve_vcc 0
		.amdhsa_float_round_mode_32 0
		.amdhsa_float_round_mode_16_64 0
		.amdhsa_float_denorm_mode_32 3
		.amdhsa_float_denorm_mode_16_64 3
		.amdhsa_fp16_overflow 0
		.amdhsa_memory_ordered 1
		.amdhsa_forward_progress 1
		.amdhsa_inst_pref_size 0
		.amdhsa_round_robin_scheduling 0
		.amdhsa_exception_fp_ieee_invalid_op 0
		.amdhsa_exception_fp_denorm_src 0
		.amdhsa_exception_fp_ieee_div_zero 0
		.amdhsa_exception_fp_ieee_overflow 0
		.amdhsa_exception_fp_ieee_underflow 0
		.amdhsa_exception_fp_ieee_inexact 0
		.amdhsa_exception_int_div_zero 0
	.end_amdhsa_kernel
	.section	.text._ZN7rocprim17ROCPRIM_400000_NS6detail17trampoline_kernelINS0_14default_configENS1_36segmented_radix_sort_config_selectorIdlEEZNS1_25segmented_radix_sort_implIS3_Lb1EPKdPdPKlPlN2at6native12_GLOBAL__N_18offset_tEEE10hipError_tPvRmT1_PNSt15iterator_traitsISK_E10value_typeET2_T3_PNSL_ISQ_E10value_typeET4_jRbjT5_SW_jjP12ihipStream_tbEUlT_E_NS1_11comp_targetILNS1_3genE3ELNS1_11target_archE908ELNS1_3gpuE7ELNS1_3repE0EEENS1_30default_config_static_selectorELNS0_4arch9wavefront6targetE0EEEvSK_,"axG",@progbits,_ZN7rocprim17ROCPRIM_400000_NS6detail17trampoline_kernelINS0_14default_configENS1_36segmented_radix_sort_config_selectorIdlEEZNS1_25segmented_radix_sort_implIS3_Lb1EPKdPdPKlPlN2at6native12_GLOBAL__N_18offset_tEEE10hipError_tPvRmT1_PNSt15iterator_traitsISK_E10value_typeET2_T3_PNSL_ISQ_E10value_typeET4_jRbjT5_SW_jjP12ihipStream_tbEUlT_E_NS1_11comp_targetILNS1_3genE3ELNS1_11target_archE908ELNS1_3gpuE7ELNS1_3repE0EEENS1_30default_config_static_selectorELNS0_4arch9wavefront6targetE0EEEvSK_,comdat
.Lfunc_end1116:
	.size	_ZN7rocprim17ROCPRIM_400000_NS6detail17trampoline_kernelINS0_14default_configENS1_36segmented_radix_sort_config_selectorIdlEEZNS1_25segmented_radix_sort_implIS3_Lb1EPKdPdPKlPlN2at6native12_GLOBAL__N_18offset_tEEE10hipError_tPvRmT1_PNSt15iterator_traitsISK_E10value_typeET2_T3_PNSL_ISQ_E10value_typeET4_jRbjT5_SW_jjP12ihipStream_tbEUlT_E_NS1_11comp_targetILNS1_3genE3ELNS1_11target_archE908ELNS1_3gpuE7ELNS1_3repE0EEENS1_30default_config_static_selectorELNS0_4arch9wavefront6targetE0EEEvSK_, .Lfunc_end1116-_ZN7rocprim17ROCPRIM_400000_NS6detail17trampoline_kernelINS0_14default_configENS1_36segmented_radix_sort_config_selectorIdlEEZNS1_25segmented_radix_sort_implIS3_Lb1EPKdPdPKlPlN2at6native12_GLOBAL__N_18offset_tEEE10hipError_tPvRmT1_PNSt15iterator_traitsISK_E10value_typeET2_T3_PNSL_ISQ_E10value_typeET4_jRbjT5_SW_jjP12ihipStream_tbEUlT_E_NS1_11comp_targetILNS1_3genE3ELNS1_11target_archE908ELNS1_3gpuE7ELNS1_3repE0EEENS1_30default_config_static_selectorELNS0_4arch9wavefront6targetE0EEEvSK_
                                        ; -- End function
	.set _ZN7rocprim17ROCPRIM_400000_NS6detail17trampoline_kernelINS0_14default_configENS1_36segmented_radix_sort_config_selectorIdlEEZNS1_25segmented_radix_sort_implIS3_Lb1EPKdPdPKlPlN2at6native12_GLOBAL__N_18offset_tEEE10hipError_tPvRmT1_PNSt15iterator_traitsISK_E10value_typeET2_T3_PNSL_ISQ_E10value_typeET4_jRbjT5_SW_jjP12ihipStream_tbEUlT_E_NS1_11comp_targetILNS1_3genE3ELNS1_11target_archE908ELNS1_3gpuE7ELNS1_3repE0EEENS1_30default_config_static_selectorELNS0_4arch9wavefront6targetE0EEEvSK_.num_vgpr, 0
	.set _ZN7rocprim17ROCPRIM_400000_NS6detail17trampoline_kernelINS0_14default_configENS1_36segmented_radix_sort_config_selectorIdlEEZNS1_25segmented_radix_sort_implIS3_Lb1EPKdPdPKlPlN2at6native12_GLOBAL__N_18offset_tEEE10hipError_tPvRmT1_PNSt15iterator_traitsISK_E10value_typeET2_T3_PNSL_ISQ_E10value_typeET4_jRbjT5_SW_jjP12ihipStream_tbEUlT_E_NS1_11comp_targetILNS1_3genE3ELNS1_11target_archE908ELNS1_3gpuE7ELNS1_3repE0EEENS1_30default_config_static_selectorELNS0_4arch9wavefront6targetE0EEEvSK_.num_agpr, 0
	.set _ZN7rocprim17ROCPRIM_400000_NS6detail17trampoline_kernelINS0_14default_configENS1_36segmented_radix_sort_config_selectorIdlEEZNS1_25segmented_radix_sort_implIS3_Lb1EPKdPdPKlPlN2at6native12_GLOBAL__N_18offset_tEEE10hipError_tPvRmT1_PNSt15iterator_traitsISK_E10value_typeET2_T3_PNSL_ISQ_E10value_typeET4_jRbjT5_SW_jjP12ihipStream_tbEUlT_E_NS1_11comp_targetILNS1_3genE3ELNS1_11target_archE908ELNS1_3gpuE7ELNS1_3repE0EEENS1_30default_config_static_selectorELNS0_4arch9wavefront6targetE0EEEvSK_.numbered_sgpr, 0
	.set _ZN7rocprim17ROCPRIM_400000_NS6detail17trampoline_kernelINS0_14default_configENS1_36segmented_radix_sort_config_selectorIdlEEZNS1_25segmented_radix_sort_implIS3_Lb1EPKdPdPKlPlN2at6native12_GLOBAL__N_18offset_tEEE10hipError_tPvRmT1_PNSt15iterator_traitsISK_E10value_typeET2_T3_PNSL_ISQ_E10value_typeET4_jRbjT5_SW_jjP12ihipStream_tbEUlT_E_NS1_11comp_targetILNS1_3genE3ELNS1_11target_archE908ELNS1_3gpuE7ELNS1_3repE0EEENS1_30default_config_static_selectorELNS0_4arch9wavefront6targetE0EEEvSK_.num_named_barrier, 0
	.set _ZN7rocprim17ROCPRIM_400000_NS6detail17trampoline_kernelINS0_14default_configENS1_36segmented_radix_sort_config_selectorIdlEEZNS1_25segmented_radix_sort_implIS3_Lb1EPKdPdPKlPlN2at6native12_GLOBAL__N_18offset_tEEE10hipError_tPvRmT1_PNSt15iterator_traitsISK_E10value_typeET2_T3_PNSL_ISQ_E10value_typeET4_jRbjT5_SW_jjP12ihipStream_tbEUlT_E_NS1_11comp_targetILNS1_3genE3ELNS1_11target_archE908ELNS1_3gpuE7ELNS1_3repE0EEENS1_30default_config_static_selectorELNS0_4arch9wavefront6targetE0EEEvSK_.private_seg_size, 0
	.set _ZN7rocprim17ROCPRIM_400000_NS6detail17trampoline_kernelINS0_14default_configENS1_36segmented_radix_sort_config_selectorIdlEEZNS1_25segmented_radix_sort_implIS3_Lb1EPKdPdPKlPlN2at6native12_GLOBAL__N_18offset_tEEE10hipError_tPvRmT1_PNSt15iterator_traitsISK_E10value_typeET2_T3_PNSL_ISQ_E10value_typeET4_jRbjT5_SW_jjP12ihipStream_tbEUlT_E_NS1_11comp_targetILNS1_3genE3ELNS1_11target_archE908ELNS1_3gpuE7ELNS1_3repE0EEENS1_30default_config_static_selectorELNS0_4arch9wavefront6targetE0EEEvSK_.uses_vcc, 0
	.set _ZN7rocprim17ROCPRIM_400000_NS6detail17trampoline_kernelINS0_14default_configENS1_36segmented_radix_sort_config_selectorIdlEEZNS1_25segmented_radix_sort_implIS3_Lb1EPKdPdPKlPlN2at6native12_GLOBAL__N_18offset_tEEE10hipError_tPvRmT1_PNSt15iterator_traitsISK_E10value_typeET2_T3_PNSL_ISQ_E10value_typeET4_jRbjT5_SW_jjP12ihipStream_tbEUlT_E_NS1_11comp_targetILNS1_3genE3ELNS1_11target_archE908ELNS1_3gpuE7ELNS1_3repE0EEENS1_30default_config_static_selectorELNS0_4arch9wavefront6targetE0EEEvSK_.uses_flat_scratch, 0
	.set _ZN7rocprim17ROCPRIM_400000_NS6detail17trampoline_kernelINS0_14default_configENS1_36segmented_radix_sort_config_selectorIdlEEZNS1_25segmented_radix_sort_implIS3_Lb1EPKdPdPKlPlN2at6native12_GLOBAL__N_18offset_tEEE10hipError_tPvRmT1_PNSt15iterator_traitsISK_E10value_typeET2_T3_PNSL_ISQ_E10value_typeET4_jRbjT5_SW_jjP12ihipStream_tbEUlT_E_NS1_11comp_targetILNS1_3genE3ELNS1_11target_archE908ELNS1_3gpuE7ELNS1_3repE0EEENS1_30default_config_static_selectorELNS0_4arch9wavefront6targetE0EEEvSK_.has_dyn_sized_stack, 0
	.set _ZN7rocprim17ROCPRIM_400000_NS6detail17trampoline_kernelINS0_14default_configENS1_36segmented_radix_sort_config_selectorIdlEEZNS1_25segmented_radix_sort_implIS3_Lb1EPKdPdPKlPlN2at6native12_GLOBAL__N_18offset_tEEE10hipError_tPvRmT1_PNSt15iterator_traitsISK_E10value_typeET2_T3_PNSL_ISQ_E10value_typeET4_jRbjT5_SW_jjP12ihipStream_tbEUlT_E_NS1_11comp_targetILNS1_3genE3ELNS1_11target_archE908ELNS1_3gpuE7ELNS1_3repE0EEENS1_30default_config_static_selectorELNS0_4arch9wavefront6targetE0EEEvSK_.has_recursion, 0
	.set _ZN7rocprim17ROCPRIM_400000_NS6detail17trampoline_kernelINS0_14default_configENS1_36segmented_radix_sort_config_selectorIdlEEZNS1_25segmented_radix_sort_implIS3_Lb1EPKdPdPKlPlN2at6native12_GLOBAL__N_18offset_tEEE10hipError_tPvRmT1_PNSt15iterator_traitsISK_E10value_typeET2_T3_PNSL_ISQ_E10value_typeET4_jRbjT5_SW_jjP12ihipStream_tbEUlT_E_NS1_11comp_targetILNS1_3genE3ELNS1_11target_archE908ELNS1_3gpuE7ELNS1_3repE0EEENS1_30default_config_static_selectorELNS0_4arch9wavefront6targetE0EEEvSK_.has_indirect_call, 0
	.section	.AMDGPU.csdata,"",@progbits
; Kernel info:
; codeLenInByte = 0
; TotalNumSgprs: 0
; NumVgprs: 0
; ScratchSize: 0
; MemoryBound: 0
; FloatMode: 240
; IeeeMode: 1
; LDSByteSize: 0 bytes/workgroup (compile time only)
; SGPRBlocks: 0
; VGPRBlocks: 0
; NumSGPRsForWavesPerEU: 1
; NumVGPRsForWavesPerEU: 1
; NamedBarCnt: 0
; Occupancy: 16
; WaveLimiterHint : 0
; COMPUTE_PGM_RSRC2:SCRATCH_EN: 0
; COMPUTE_PGM_RSRC2:USER_SGPR: 2
; COMPUTE_PGM_RSRC2:TRAP_HANDLER: 0
; COMPUTE_PGM_RSRC2:TGID_X_EN: 1
; COMPUTE_PGM_RSRC2:TGID_Y_EN: 0
; COMPUTE_PGM_RSRC2:TGID_Z_EN: 0
; COMPUTE_PGM_RSRC2:TIDIG_COMP_CNT: 0
	.section	.text._ZN7rocprim17ROCPRIM_400000_NS6detail17trampoline_kernelINS0_14default_configENS1_36segmented_radix_sort_config_selectorIdlEEZNS1_25segmented_radix_sort_implIS3_Lb1EPKdPdPKlPlN2at6native12_GLOBAL__N_18offset_tEEE10hipError_tPvRmT1_PNSt15iterator_traitsISK_E10value_typeET2_T3_PNSL_ISQ_E10value_typeET4_jRbjT5_SW_jjP12ihipStream_tbEUlT_E_NS1_11comp_targetILNS1_3genE2ELNS1_11target_archE906ELNS1_3gpuE6ELNS1_3repE0EEENS1_30default_config_static_selectorELNS0_4arch9wavefront6targetE0EEEvSK_,"axG",@progbits,_ZN7rocprim17ROCPRIM_400000_NS6detail17trampoline_kernelINS0_14default_configENS1_36segmented_radix_sort_config_selectorIdlEEZNS1_25segmented_radix_sort_implIS3_Lb1EPKdPdPKlPlN2at6native12_GLOBAL__N_18offset_tEEE10hipError_tPvRmT1_PNSt15iterator_traitsISK_E10value_typeET2_T3_PNSL_ISQ_E10value_typeET4_jRbjT5_SW_jjP12ihipStream_tbEUlT_E_NS1_11comp_targetILNS1_3genE2ELNS1_11target_archE906ELNS1_3gpuE6ELNS1_3repE0EEENS1_30default_config_static_selectorELNS0_4arch9wavefront6targetE0EEEvSK_,comdat
	.globl	_ZN7rocprim17ROCPRIM_400000_NS6detail17trampoline_kernelINS0_14default_configENS1_36segmented_radix_sort_config_selectorIdlEEZNS1_25segmented_radix_sort_implIS3_Lb1EPKdPdPKlPlN2at6native12_GLOBAL__N_18offset_tEEE10hipError_tPvRmT1_PNSt15iterator_traitsISK_E10value_typeET2_T3_PNSL_ISQ_E10value_typeET4_jRbjT5_SW_jjP12ihipStream_tbEUlT_E_NS1_11comp_targetILNS1_3genE2ELNS1_11target_archE906ELNS1_3gpuE6ELNS1_3repE0EEENS1_30default_config_static_selectorELNS0_4arch9wavefront6targetE0EEEvSK_ ; -- Begin function _ZN7rocprim17ROCPRIM_400000_NS6detail17trampoline_kernelINS0_14default_configENS1_36segmented_radix_sort_config_selectorIdlEEZNS1_25segmented_radix_sort_implIS3_Lb1EPKdPdPKlPlN2at6native12_GLOBAL__N_18offset_tEEE10hipError_tPvRmT1_PNSt15iterator_traitsISK_E10value_typeET2_T3_PNSL_ISQ_E10value_typeET4_jRbjT5_SW_jjP12ihipStream_tbEUlT_E_NS1_11comp_targetILNS1_3genE2ELNS1_11target_archE906ELNS1_3gpuE6ELNS1_3repE0EEENS1_30default_config_static_selectorELNS0_4arch9wavefront6targetE0EEEvSK_
	.p2align	8
	.type	_ZN7rocprim17ROCPRIM_400000_NS6detail17trampoline_kernelINS0_14default_configENS1_36segmented_radix_sort_config_selectorIdlEEZNS1_25segmented_radix_sort_implIS3_Lb1EPKdPdPKlPlN2at6native12_GLOBAL__N_18offset_tEEE10hipError_tPvRmT1_PNSt15iterator_traitsISK_E10value_typeET2_T3_PNSL_ISQ_E10value_typeET4_jRbjT5_SW_jjP12ihipStream_tbEUlT_E_NS1_11comp_targetILNS1_3genE2ELNS1_11target_archE906ELNS1_3gpuE6ELNS1_3repE0EEENS1_30default_config_static_selectorELNS0_4arch9wavefront6targetE0EEEvSK_,@function
_ZN7rocprim17ROCPRIM_400000_NS6detail17trampoline_kernelINS0_14default_configENS1_36segmented_radix_sort_config_selectorIdlEEZNS1_25segmented_radix_sort_implIS3_Lb1EPKdPdPKlPlN2at6native12_GLOBAL__N_18offset_tEEE10hipError_tPvRmT1_PNSt15iterator_traitsISK_E10value_typeET2_T3_PNSL_ISQ_E10value_typeET4_jRbjT5_SW_jjP12ihipStream_tbEUlT_E_NS1_11comp_targetILNS1_3genE2ELNS1_11target_archE906ELNS1_3gpuE6ELNS1_3repE0EEENS1_30default_config_static_selectorELNS0_4arch9wavefront6targetE0EEEvSK_: ; @_ZN7rocprim17ROCPRIM_400000_NS6detail17trampoline_kernelINS0_14default_configENS1_36segmented_radix_sort_config_selectorIdlEEZNS1_25segmented_radix_sort_implIS3_Lb1EPKdPdPKlPlN2at6native12_GLOBAL__N_18offset_tEEE10hipError_tPvRmT1_PNSt15iterator_traitsISK_E10value_typeET2_T3_PNSL_ISQ_E10value_typeET4_jRbjT5_SW_jjP12ihipStream_tbEUlT_E_NS1_11comp_targetILNS1_3genE2ELNS1_11target_archE906ELNS1_3gpuE6ELNS1_3repE0EEENS1_30default_config_static_selectorELNS0_4arch9wavefront6targetE0EEEvSK_
; %bb.0:
	.section	.rodata,"a",@progbits
	.p2align	6, 0x0
	.amdhsa_kernel _ZN7rocprim17ROCPRIM_400000_NS6detail17trampoline_kernelINS0_14default_configENS1_36segmented_radix_sort_config_selectorIdlEEZNS1_25segmented_radix_sort_implIS3_Lb1EPKdPdPKlPlN2at6native12_GLOBAL__N_18offset_tEEE10hipError_tPvRmT1_PNSt15iterator_traitsISK_E10value_typeET2_T3_PNSL_ISQ_E10value_typeET4_jRbjT5_SW_jjP12ihipStream_tbEUlT_E_NS1_11comp_targetILNS1_3genE2ELNS1_11target_archE906ELNS1_3gpuE6ELNS1_3repE0EEENS1_30default_config_static_selectorELNS0_4arch9wavefront6targetE0EEEvSK_
		.amdhsa_group_segment_fixed_size 0
		.amdhsa_private_segment_fixed_size 0
		.amdhsa_kernarg_size 96
		.amdhsa_user_sgpr_count 2
		.amdhsa_user_sgpr_dispatch_ptr 0
		.amdhsa_user_sgpr_queue_ptr 0
		.amdhsa_user_sgpr_kernarg_segment_ptr 1
		.amdhsa_user_sgpr_dispatch_id 0
		.amdhsa_user_sgpr_kernarg_preload_length 0
		.amdhsa_user_sgpr_kernarg_preload_offset 0
		.amdhsa_user_sgpr_private_segment_size 0
		.amdhsa_wavefront_size32 1
		.amdhsa_uses_dynamic_stack 0
		.amdhsa_enable_private_segment 0
		.amdhsa_system_sgpr_workgroup_id_x 1
		.amdhsa_system_sgpr_workgroup_id_y 0
		.amdhsa_system_sgpr_workgroup_id_z 0
		.amdhsa_system_sgpr_workgroup_info 0
		.amdhsa_system_vgpr_workitem_id 0
		.amdhsa_next_free_vgpr 1
		.amdhsa_next_free_sgpr 1
		.amdhsa_named_barrier_count 0
		.amdhsa_reserve_vcc 0
		.amdhsa_float_round_mode_32 0
		.amdhsa_float_round_mode_16_64 0
		.amdhsa_float_denorm_mode_32 3
		.amdhsa_float_denorm_mode_16_64 3
		.amdhsa_fp16_overflow 0
		.amdhsa_memory_ordered 1
		.amdhsa_forward_progress 1
		.amdhsa_inst_pref_size 0
		.amdhsa_round_robin_scheduling 0
		.amdhsa_exception_fp_ieee_invalid_op 0
		.amdhsa_exception_fp_denorm_src 0
		.amdhsa_exception_fp_ieee_div_zero 0
		.amdhsa_exception_fp_ieee_overflow 0
		.amdhsa_exception_fp_ieee_underflow 0
		.amdhsa_exception_fp_ieee_inexact 0
		.amdhsa_exception_int_div_zero 0
	.end_amdhsa_kernel
	.section	.text._ZN7rocprim17ROCPRIM_400000_NS6detail17trampoline_kernelINS0_14default_configENS1_36segmented_radix_sort_config_selectorIdlEEZNS1_25segmented_radix_sort_implIS3_Lb1EPKdPdPKlPlN2at6native12_GLOBAL__N_18offset_tEEE10hipError_tPvRmT1_PNSt15iterator_traitsISK_E10value_typeET2_T3_PNSL_ISQ_E10value_typeET4_jRbjT5_SW_jjP12ihipStream_tbEUlT_E_NS1_11comp_targetILNS1_3genE2ELNS1_11target_archE906ELNS1_3gpuE6ELNS1_3repE0EEENS1_30default_config_static_selectorELNS0_4arch9wavefront6targetE0EEEvSK_,"axG",@progbits,_ZN7rocprim17ROCPRIM_400000_NS6detail17trampoline_kernelINS0_14default_configENS1_36segmented_radix_sort_config_selectorIdlEEZNS1_25segmented_radix_sort_implIS3_Lb1EPKdPdPKlPlN2at6native12_GLOBAL__N_18offset_tEEE10hipError_tPvRmT1_PNSt15iterator_traitsISK_E10value_typeET2_T3_PNSL_ISQ_E10value_typeET4_jRbjT5_SW_jjP12ihipStream_tbEUlT_E_NS1_11comp_targetILNS1_3genE2ELNS1_11target_archE906ELNS1_3gpuE6ELNS1_3repE0EEENS1_30default_config_static_selectorELNS0_4arch9wavefront6targetE0EEEvSK_,comdat
.Lfunc_end1117:
	.size	_ZN7rocprim17ROCPRIM_400000_NS6detail17trampoline_kernelINS0_14default_configENS1_36segmented_radix_sort_config_selectorIdlEEZNS1_25segmented_radix_sort_implIS3_Lb1EPKdPdPKlPlN2at6native12_GLOBAL__N_18offset_tEEE10hipError_tPvRmT1_PNSt15iterator_traitsISK_E10value_typeET2_T3_PNSL_ISQ_E10value_typeET4_jRbjT5_SW_jjP12ihipStream_tbEUlT_E_NS1_11comp_targetILNS1_3genE2ELNS1_11target_archE906ELNS1_3gpuE6ELNS1_3repE0EEENS1_30default_config_static_selectorELNS0_4arch9wavefront6targetE0EEEvSK_, .Lfunc_end1117-_ZN7rocprim17ROCPRIM_400000_NS6detail17trampoline_kernelINS0_14default_configENS1_36segmented_radix_sort_config_selectorIdlEEZNS1_25segmented_radix_sort_implIS3_Lb1EPKdPdPKlPlN2at6native12_GLOBAL__N_18offset_tEEE10hipError_tPvRmT1_PNSt15iterator_traitsISK_E10value_typeET2_T3_PNSL_ISQ_E10value_typeET4_jRbjT5_SW_jjP12ihipStream_tbEUlT_E_NS1_11comp_targetILNS1_3genE2ELNS1_11target_archE906ELNS1_3gpuE6ELNS1_3repE0EEENS1_30default_config_static_selectorELNS0_4arch9wavefront6targetE0EEEvSK_
                                        ; -- End function
	.set _ZN7rocprim17ROCPRIM_400000_NS6detail17trampoline_kernelINS0_14default_configENS1_36segmented_radix_sort_config_selectorIdlEEZNS1_25segmented_radix_sort_implIS3_Lb1EPKdPdPKlPlN2at6native12_GLOBAL__N_18offset_tEEE10hipError_tPvRmT1_PNSt15iterator_traitsISK_E10value_typeET2_T3_PNSL_ISQ_E10value_typeET4_jRbjT5_SW_jjP12ihipStream_tbEUlT_E_NS1_11comp_targetILNS1_3genE2ELNS1_11target_archE906ELNS1_3gpuE6ELNS1_3repE0EEENS1_30default_config_static_selectorELNS0_4arch9wavefront6targetE0EEEvSK_.num_vgpr, 0
	.set _ZN7rocprim17ROCPRIM_400000_NS6detail17trampoline_kernelINS0_14default_configENS1_36segmented_radix_sort_config_selectorIdlEEZNS1_25segmented_radix_sort_implIS3_Lb1EPKdPdPKlPlN2at6native12_GLOBAL__N_18offset_tEEE10hipError_tPvRmT1_PNSt15iterator_traitsISK_E10value_typeET2_T3_PNSL_ISQ_E10value_typeET4_jRbjT5_SW_jjP12ihipStream_tbEUlT_E_NS1_11comp_targetILNS1_3genE2ELNS1_11target_archE906ELNS1_3gpuE6ELNS1_3repE0EEENS1_30default_config_static_selectorELNS0_4arch9wavefront6targetE0EEEvSK_.num_agpr, 0
	.set _ZN7rocprim17ROCPRIM_400000_NS6detail17trampoline_kernelINS0_14default_configENS1_36segmented_radix_sort_config_selectorIdlEEZNS1_25segmented_radix_sort_implIS3_Lb1EPKdPdPKlPlN2at6native12_GLOBAL__N_18offset_tEEE10hipError_tPvRmT1_PNSt15iterator_traitsISK_E10value_typeET2_T3_PNSL_ISQ_E10value_typeET4_jRbjT5_SW_jjP12ihipStream_tbEUlT_E_NS1_11comp_targetILNS1_3genE2ELNS1_11target_archE906ELNS1_3gpuE6ELNS1_3repE0EEENS1_30default_config_static_selectorELNS0_4arch9wavefront6targetE0EEEvSK_.numbered_sgpr, 0
	.set _ZN7rocprim17ROCPRIM_400000_NS6detail17trampoline_kernelINS0_14default_configENS1_36segmented_radix_sort_config_selectorIdlEEZNS1_25segmented_radix_sort_implIS3_Lb1EPKdPdPKlPlN2at6native12_GLOBAL__N_18offset_tEEE10hipError_tPvRmT1_PNSt15iterator_traitsISK_E10value_typeET2_T3_PNSL_ISQ_E10value_typeET4_jRbjT5_SW_jjP12ihipStream_tbEUlT_E_NS1_11comp_targetILNS1_3genE2ELNS1_11target_archE906ELNS1_3gpuE6ELNS1_3repE0EEENS1_30default_config_static_selectorELNS0_4arch9wavefront6targetE0EEEvSK_.num_named_barrier, 0
	.set _ZN7rocprim17ROCPRIM_400000_NS6detail17trampoline_kernelINS0_14default_configENS1_36segmented_radix_sort_config_selectorIdlEEZNS1_25segmented_radix_sort_implIS3_Lb1EPKdPdPKlPlN2at6native12_GLOBAL__N_18offset_tEEE10hipError_tPvRmT1_PNSt15iterator_traitsISK_E10value_typeET2_T3_PNSL_ISQ_E10value_typeET4_jRbjT5_SW_jjP12ihipStream_tbEUlT_E_NS1_11comp_targetILNS1_3genE2ELNS1_11target_archE906ELNS1_3gpuE6ELNS1_3repE0EEENS1_30default_config_static_selectorELNS0_4arch9wavefront6targetE0EEEvSK_.private_seg_size, 0
	.set _ZN7rocprim17ROCPRIM_400000_NS6detail17trampoline_kernelINS0_14default_configENS1_36segmented_radix_sort_config_selectorIdlEEZNS1_25segmented_radix_sort_implIS3_Lb1EPKdPdPKlPlN2at6native12_GLOBAL__N_18offset_tEEE10hipError_tPvRmT1_PNSt15iterator_traitsISK_E10value_typeET2_T3_PNSL_ISQ_E10value_typeET4_jRbjT5_SW_jjP12ihipStream_tbEUlT_E_NS1_11comp_targetILNS1_3genE2ELNS1_11target_archE906ELNS1_3gpuE6ELNS1_3repE0EEENS1_30default_config_static_selectorELNS0_4arch9wavefront6targetE0EEEvSK_.uses_vcc, 0
	.set _ZN7rocprim17ROCPRIM_400000_NS6detail17trampoline_kernelINS0_14default_configENS1_36segmented_radix_sort_config_selectorIdlEEZNS1_25segmented_radix_sort_implIS3_Lb1EPKdPdPKlPlN2at6native12_GLOBAL__N_18offset_tEEE10hipError_tPvRmT1_PNSt15iterator_traitsISK_E10value_typeET2_T3_PNSL_ISQ_E10value_typeET4_jRbjT5_SW_jjP12ihipStream_tbEUlT_E_NS1_11comp_targetILNS1_3genE2ELNS1_11target_archE906ELNS1_3gpuE6ELNS1_3repE0EEENS1_30default_config_static_selectorELNS0_4arch9wavefront6targetE0EEEvSK_.uses_flat_scratch, 0
	.set _ZN7rocprim17ROCPRIM_400000_NS6detail17trampoline_kernelINS0_14default_configENS1_36segmented_radix_sort_config_selectorIdlEEZNS1_25segmented_radix_sort_implIS3_Lb1EPKdPdPKlPlN2at6native12_GLOBAL__N_18offset_tEEE10hipError_tPvRmT1_PNSt15iterator_traitsISK_E10value_typeET2_T3_PNSL_ISQ_E10value_typeET4_jRbjT5_SW_jjP12ihipStream_tbEUlT_E_NS1_11comp_targetILNS1_3genE2ELNS1_11target_archE906ELNS1_3gpuE6ELNS1_3repE0EEENS1_30default_config_static_selectorELNS0_4arch9wavefront6targetE0EEEvSK_.has_dyn_sized_stack, 0
	.set _ZN7rocprim17ROCPRIM_400000_NS6detail17trampoline_kernelINS0_14default_configENS1_36segmented_radix_sort_config_selectorIdlEEZNS1_25segmented_radix_sort_implIS3_Lb1EPKdPdPKlPlN2at6native12_GLOBAL__N_18offset_tEEE10hipError_tPvRmT1_PNSt15iterator_traitsISK_E10value_typeET2_T3_PNSL_ISQ_E10value_typeET4_jRbjT5_SW_jjP12ihipStream_tbEUlT_E_NS1_11comp_targetILNS1_3genE2ELNS1_11target_archE906ELNS1_3gpuE6ELNS1_3repE0EEENS1_30default_config_static_selectorELNS0_4arch9wavefront6targetE0EEEvSK_.has_recursion, 0
	.set _ZN7rocprim17ROCPRIM_400000_NS6detail17trampoline_kernelINS0_14default_configENS1_36segmented_radix_sort_config_selectorIdlEEZNS1_25segmented_radix_sort_implIS3_Lb1EPKdPdPKlPlN2at6native12_GLOBAL__N_18offset_tEEE10hipError_tPvRmT1_PNSt15iterator_traitsISK_E10value_typeET2_T3_PNSL_ISQ_E10value_typeET4_jRbjT5_SW_jjP12ihipStream_tbEUlT_E_NS1_11comp_targetILNS1_3genE2ELNS1_11target_archE906ELNS1_3gpuE6ELNS1_3repE0EEENS1_30default_config_static_selectorELNS0_4arch9wavefront6targetE0EEEvSK_.has_indirect_call, 0
	.section	.AMDGPU.csdata,"",@progbits
; Kernel info:
; codeLenInByte = 0
; TotalNumSgprs: 0
; NumVgprs: 0
; ScratchSize: 0
; MemoryBound: 0
; FloatMode: 240
; IeeeMode: 1
; LDSByteSize: 0 bytes/workgroup (compile time only)
; SGPRBlocks: 0
; VGPRBlocks: 0
; NumSGPRsForWavesPerEU: 1
; NumVGPRsForWavesPerEU: 1
; NamedBarCnt: 0
; Occupancy: 16
; WaveLimiterHint : 0
; COMPUTE_PGM_RSRC2:SCRATCH_EN: 0
; COMPUTE_PGM_RSRC2:USER_SGPR: 2
; COMPUTE_PGM_RSRC2:TRAP_HANDLER: 0
; COMPUTE_PGM_RSRC2:TGID_X_EN: 1
; COMPUTE_PGM_RSRC2:TGID_Y_EN: 0
; COMPUTE_PGM_RSRC2:TGID_Z_EN: 0
; COMPUTE_PGM_RSRC2:TIDIG_COMP_CNT: 0
	.section	.text._ZN7rocprim17ROCPRIM_400000_NS6detail17trampoline_kernelINS0_14default_configENS1_36segmented_radix_sort_config_selectorIdlEEZNS1_25segmented_radix_sort_implIS3_Lb1EPKdPdPKlPlN2at6native12_GLOBAL__N_18offset_tEEE10hipError_tPvRmT1_PNSt15iterator_traitsISK_E10value_typeET2_T3_PNSL_ISQ_E10value_typeET4_jRbjT5_SW_jjP12ihipStream_tbEUlT_E_NS1_11comp_targetILNS1_3genE10ELNS1_11target_archE1201ELNS1_3gpuE5ELNS1_3repE0EEENS1_30default_config_static_selectorELNS0_4arch9wavefront6targetE0EEEvSK_,"axG",@progbits,_ZN7rocprim17ROCPRIM_400000_NS6detail17trampoline_kernelINS0_14default_configENS1_36segmented_radix_sort_config_selectorIdlEEZNS1_25segmented_radix_sort_implIS3_Lb1EPKdPdPKlPlN2at6native12_GLOBAL__N_18offset_tEEE10hipError_tPvRmT1_PNSt15iterator_traitsISK_E10value_typeET2_T3_PNSL_ISQ_E10value_typeET4_jRbjT5_SW_jjP12ihipStream_tbEUlT_E_NS1_11comp_targetILNS1_3genE10ELNS1_11target_archE1201ELNS1_3gpuE5ELNS1_3repE0EEENS1_30default_config_static_selectorELNS0_4arch9wavefront6targetE0EEEvSK_,comdat
	.globl	_ZN7rocprim17ROCPRIM_400000_NS6detail17trampoline_kernelINS0_14default_configENS1_36segmented_radix_sort_config_selectorIdlEEZNS1_25segmented_radix_sort_implIS3_Lb1EPKdPdPKlPlN2at6native12_GLOBAL__N_18offset_tEEE10hipError_tPvRmT1_PNSt15iterator_traitsISK_E10value_typeET2_T3_PNSL_ISQ_E10value_typeET4_jRbjT5_SW_jjP12ihipStream_tbEUlT_E_NS1_11comp_targetILNS1_3genE10ELNS1_11target_archE1201ELNS1_3gpuE5ELNS1_3repE0EEENS1_30default_config_static_selectorELNS0_4arch9wavefront6targetE0EEEvSK_ ; -- Begin function _ZN7rocprim17ROCPRIM_400000_NS6detail17trampoline_kernelINS0_14default_configENS1_36segmented_radix_sort_config_selectorIdlEEZNS1_25segmented_radix_sort_implIS3_Lb1EPKdPdPKlPlN2at6native12_GLOBAL__N_18offset_tEEE10hipError_tPvRmT1_PNSt15iterator_traitsISK_E10value_typeET2_T3_PNSL_ISQ_E10value_typeET4_jRbjT5_SW_jjP12ihipStream_tbEUlT_E_NS1_11comp_targetILNS1_3genE10ELNS1_11target_archE1201ELNS1_3gpuE5ELNS1_3repE0EEENS1_30default_config_static_selectorELNS0_4arch9wavefront6targetE0EEEvSK_
	.p2align	8
	.type	_ZN7rocprim17ROCPRIM_400000_NS6detail17trampoline_kernelINS0_14default_configENS1_36segmented_radix_sort_config_selectorIdlEEZNS1_25segmented_radix_sort_implIS3_Lb1EPKdPdPKlPlN2at6native12_GLOBAL__N_18offset_tEEE10hipError_tPvRmT1_PNSt15iterator_traitsISK_E10value_typeET2_T3_PNSL_ISQ_E10value_typeET4_jRbjT5_SW_jjP12ihipStream_tbEUlT_E_NS1_11comp_targetILNS1_3genE10ELNS1_11target_archE1201ELNS1_3gpuE5ELNS1_3repE0EEENS1_30default_config_static_selectorELNS0_4arch9wavefront6targetE0EEEvSK_,@function
_ZN7rocprim17ROCPRIM_400000_NS6detail17trampoline_kernelINS0_14default_configENS1_36segmented_radix_sort_config_selectorIdlEEZNS1_25segmented_radix_sort_implIS3_Lb1EPKdPdPKlPlN2at6native12_GLOBAL__N_18offset_tEEE10hipError_tPvRmT1_PNSt15iterator_traitsISK_E10value_typeET2_T3_PNSL_ISQ_E10value_typeET4_jRbjT5_SW_jjP12ihipStream_tbEUlT_E_NS1_11comp_targetILNS1_3genE10ELNS1_11target_archE1201ELNS1_3gpuE5ELNS1_3repE0EEENS1_30default_config_static_selectorELNS0_4arch9wavefront6targetE0EEEvSK_: ; @_ZN7rocprim17ROCPRIM_400000_NS6detail17trampoline_kernelINS0_14default_configENS1_36segmented_radix_sort_config_selectorIdlEEZNS1_25segmented_radix_sort_implIS3_Lb1EPKdPdPKlPlN2at6native12_GLOBAL__N_18offset_tEEE10hipError_tPvRmT1_PNSt15iterator_traitsISK_E10value_typeET2_T3_PNSL_ISQ_E10value_typeET4_jRbjT5_SW_jjP12ihipStream_tbEUlT_E_NS1_11comp_targetILNS1_3genE10ELNS1_11target_archE1201ELNS1_3gpuE5ELNS1_3repE0EEENS1_30default_config_static_selectorELNS0_4arch9wavefront6targetE0EEEvSK_
; %bb.0:
	.section	.rodata,"a",@progbits
	.p2align	6, 0x0
	.amdhsa_kernel _ZN7rocprim17ROCPRIM_400000_NS6detail17trampoline_kernelINS0_14default_configENS1_36segmented_radix_sort_config_selectorIdlEEZNS1_25segmented_radix_sort_implIS3_Lb1EPKdPdPKlPlN2at6native12_GLOBAL__N_18offset_tEEE10hipError_tPvRmT1_PNSt15iterator_traitsISK_E10value_typeET2_T3_PNSL_ISQ_E10value_typeET4_jRbjT5_SW_jjP12ihipStream_tbEUlT_E_NS1_11comp_targetILNS1_3genE10ELNS1_11target_archE1201ELNS1_3gpuE5ELNS1_3repE0EEENS1_30default_config_static_selectorELNS0_4arch9wavefront6targetE0EEEvSK_
		.amdhsa_group_segment_fixed_size 0
		.amdhsa_private_segment_fixed_size 0
		.amdhsa_kernarg_size 96
		.amdhsa_user_sgpr_count 2
		.amdhsa_user_sgpr_dispatch_ptr 0
		.amdhsa_user_sgpr_queue_ptr 0
		.amdhsa_user_sgpr_kernarg_segment_ptr 1
		.amdhsa_user_sgpr_dispatch_id 0
		.amdhsa_user_sgpr_kernarg_preload_length 0
		.amdhsa_user_sgpr_kernarg_preload_offset 0
		.amdhsa_user_sgpr_private_segment_size 0
		.amdhsa_wavefront_size32 1
		.amdhsa_uses_dynamic_stack 0
		.amdhsa_enable_private_segment 0
		.amdhsa_system_sgpr_workgroup_id_x 1
		.amdhsa_system_sgpr_workgroup_id_y 0
		.amdhsa_system_sgpr_workgroup_id_z 0
		.amdhsa_system_sgpr_workgroup_info 0
		.amdhsa_system_vgpr_workitem_id 0
		.amdhsa_next_free_vgpr 1
		.amdhsa_next_free_sgpr 1
		.amdhsa_named_barrier_count 0
		.amdhsa_reserve_vcc 0
		.amdhsa_float_round_mode_32 0
		.amdhsa_float_round_mode_16_64 0
		.amdhsa_float_denorm_mode_32 3
		.amdhsa_float_denorm_mode_16_64 3
		.amdhsa_fp16_overflow 0
		.amdhsa_memory_ordered 1
		.amdhsa_forward_progress 1
		.amdhsa_inst_pref_size 0
		.amdhsa_round_robin_scheduling 0
		.amdhsa_exception_fp_ieee_invalid_op 0
		.amdhsa_exception_fp_denorm_src 0
		.amdhsa_exception_fp_ieee_div_zero 0
		.amdhsa_exception_fp_ieee_overflow 0
		.amdhsa_exception_fp_ieee_underflow 0
		.amdhsa_exception_fp_ieee_inexact 0
		.amdhsa_exception_int_div_zero 0
	.end_amdhsa_kernel
	.section	.text._ZN7rocprim17ROCPRIM_400000_NS6detail17trampoline_kernelINS0_14default_configENS1_36segmented_radix_sort_config_selectorIdlEEZNS1_25segmented_radix_sort_implIS3_Lb1EPKdPdPKlPlN2at6native12_GLOBAL__N_18offset_tEEE10hipError_tPvRmT1_PNSt15iterator_traitsISK_E10value_typeET2_T3_PNSL_ISQ_E10value_typeET4_jRbjT5_SW_jjP12ihipStream_tbEUlT_E_NS1_11comp_targetILNS1_3genE10ELNS1_11target_archE1201ELNS1_3gpuE5ELNS1_3repE0EEENS1_30default_config_static_selectorELNS0_4arch9wavefront6targetE0EEEvSK_,"axG",@progbits,_ZN7rocprim17ROCPRIM_400000_NS6detail17trampoline_kernelINS0_14default_configENS1_36segmented_radix_sort_config_selectorIdlEEZNS1_25segmented_radix_sort_implIS3_Lb1EPKdPdPKlPlN2at6native12_GLOBAL__N_18offset_tEEE10hipError_tPvRmT1_PNSt15iterator_traitsISK_E10value_typeET2_T3_PNSL_ISQ_E10value_typeET4_jRbjT5_SW_jjP12ihipStream_tbEUlT_E_NS1_11comp_targetILNS1_3genE10ELNS1_11target_archE1201ELNS1_3gpuE5ELNS1_3repE0EEENS1_30default_config_static_selectorELNS0_4arch9wavefront6targetE0EEEvSK_,comdat
.Lfunc_end1118:
	.size	_ZN7rocprim17ROCPRIM_400000_NS6detail17trampoline_kernelINS0_14default_configENS1_36segmented_radix_sort_config_selectorIdlEEZNS1_25segmented_radix_sort_implIS3_Lb1EPKdPdPKlPlN2at6native12_GLOBAL__N_18offset_tEEE10hipError_tPvRmT1_PNSt15iterator_traitsISK_E10value_typeET2_T3_PNSL_ISQ_E10value_typeET4_jRbjT5_SW_jjP12ihipStream_tbEUlT_E_NS1_11comp_targetILNS1_3genE10ELNS1_11target_archE1201ELNS1_3gpuE5ELNS1_3repE0EEENS1_30default_config_static_selectorELNS0_4arch9wavefront6targetE0EEEvSK_, .Lfunc_end1118-_ZN7rocprim17ROCPRIM_400000_NS6detail17trampoline_kernelINS0_14default_configENS1_36segmented_radix_sort_config_selectorIdlEEZNS1_25segmented_radix_sort_implIS3_Lb1EPKdPdPKlPlN2at6native12_GLOBAL__N_18offset_tEEE10hipError_tPvRmT1_PNSt15iterator_traitsISK_E10value_typeET2_T3_PNSL_ISQ_E10value_typeET4_jRbjT5_SW_jjP12ihipStream_tbEUlT_E_NS1_11comp_targetILNS1_3genE10ELNS1_11target_archE1201ELNS1_3gpuE5ELNS1_3repE0EEENS1_30default_config_static_selectorELNS0_4arch9wavefront6targetE0EEEvSK_
                                        ; -- End function
	.set _ZN7rocprim17ROCPRIM_400000_NS6detail17trampoline_kernelINS0_14default_configENS1_36segmented_radix_sort_config_selectorIdlEEZNS1_25segmented_radix_sort_implIS3_Lb1EPKdPdPKlPlN2at6native12_GLOBAL__N_18offset_tEEE10hipError_tPvRmT1_PNSt15iterator_traitsISK_E10value_typeET2_T3_PNSL_ISQ_E10value_typeET4_jRbjT5_SW_jjP12ihipStream_tbEUlT_E_NS1_11comp_targetILNS1_3genE10ELNS1_11target_archE1201ELNS1_3gpuE5ELNS1_3repE0EEENS1_30default_config_static_selectorELNS0_4arch9wavefront6targetE0EEEvSK_.num_vgpr, 0
	.set _ZN7rocprim17ROCPRIM_400000_NS6detail17trampoline_kernelINS0_14default_configENS1_36segmented_radix_sort_config_selectorIdlEEZNS1_25segmented_radix_sort_implIS3_Lb1EPKdPdPKlPlN2at6native12_GLOBAL__N_18offset_tEEE10hipError_tPvRmT1_PNSt15iterator_traitsISK_E10value_typeET2_T3_PNSL_ISQ_E10value_typeET4_jRbjT5_SW_jjP12ihipStream_tbEUlT_E_NS1_11comp_targetILNS1_3genE10ELNS1_11target_archE1201ELNS1_3gpuE5ELNS1_3repE0EEENS1_30default_config_static_selectorELNS0_4arch9wavefront6targetE0EEEvSK_.num_agpr, 0
	.set _ZN7rocprim17ROCPRIM_400000_NS6detail17trampoline_kernelINS0_14default_configENS1_36segmented_radix_sort_config_selectorIdlEEZNS1_25segmented_radix_sort_implIS3_Lb1EPKdPdPKlPlN2at6native12_GLOBAL__N_18offset_tEEE10hipError_tPvRmT1_PNSt15iterator_traitsISK_E10value_typeET2_T3_PNSL_ISQ_E10value_typeET4_jRbjT5_SW_jjP12ihipStream_tbEUlT_E_NS1_11comp_targetILNS1_3genE10ELNS1_11target_archE1201ELNS1_3gpuE5ELNS1_3repE0EEENS1_30default_config_static_selectorELNS0_4arch9wavefront6targetE0EEEvSK_.numbered_sgpr, 0
	.set _ZN7rocprim17ROCPRIM_400000_NS6detail17trampoline_kernelINS0_14default_configENS1_36segmented_radix_sort_config_selectorIdlEEZNS1_25segmented_radix_sort_implIS3_Lb1EPKdPdPKlPlN2at6native12_GLOBAL__N_18offset_tEEE10hipError_tPvRmT1_PNSt15iterator_traitsISK_E10value_typeET2_T3_PNSL_ISQ_E10value_typeET4_jRbjT5_SW_jjP12ihipStream_tbEUlT_E_NS1_11comp_targetILNS1_3genE10ELNS1_11target_archE1201ELNS1_3gpuE5ELNS1_3repE0EEENS1_30default_config_static_selectorELNS0_4arch9wavefront6targetE0EEEvSK_.num_named_barrier, 0
	.set _ZN7rocprim17ROCPRIM_400000_NS6detail17trampoline_kernelINS0_14default_configENS1_36segmented_radix_sort_config_selectorIdlEEZNS1_25segmented_radix_sort_implIS3_Lb1EPKdPdPKlPlN2at6native12_GLOBAL__N_18offset_tEEE10hipError_tPvRmT1_PNSt15iterator_traitsISK_E10value_typeET2_T3_PNSL_ISQ_E10value_typeET4_jRbjT5_SW_jjP12ihipStream_tbEUlT_E_NS1_11comp_targetILNS1_3genE10ELNS1_11target_archE1201ELNS1_3gpuE5ELNS1_3repE0EEENS1_30default_config_static_selectorELNS0_4arch9wavefront6targetE0EEEvSK_.private_seg_size, 0
	.set _ZN7rocprim17ROCPRIM_400000_NS6detail17trampoline_kernelINS0_14default_configENS1_36segmented_radix_sort_config_selectorIdlEEZNS1_25segmented_radix_sort_implIS3_Lb1EPKdPdPKlPlN2at6native12_GLOBAL__N_18offset_tEEE10hipError_tPvRmT1_PNSt15iterator_traitsISK_E10value_typeET2_T3_PNSL_ISQ_E10value_typeET4_jRbjT5_SW_jjP12ihipStream_tbEUlT_E_NS1_11comp_targetILNS1_3genE10ELNS1_11target_archE1201ELNS1_3gpuE5ELNS1_3repE0EEENS1_30default_config_static_selectorELNS0_4arch9wavefront6targetE0EEEvSK_.uses_vcc, 0
	.set _ZN7rocprim17ROCPRIM_400000_NS6detail17trampoline_kernelINS0_14default_configENS1_36segmented_radix_sort_config_selectorIdlEEZNS1_25segmented_radix_sort_implIS3_Lb1EPKdPdPKlPlN2at6native12_GLOBAL__N_18offset_tEEE10hipError_tPvRmT1_PNSt15iterator_traitsISK_E10value_typeET2_T3_PNSL_ISQ_E10value_typeET4_jRbjT5_SW_jjP12ihipStream_tbEUlT_E_NS1_11comp_targetILNS1_3genE10ELNS1_11target_archE1201ELNS1_3gpuE5ELNS1_3repE0EEENS1_30default_config_static_selectorELNS0_4arch9wavefront6targetE0EEEvSK_.uses_flat_scratch, 0
	.set _ZN7rocprim17ROCPRIM_400000_NS6detail17trampoline_kernelINS0_14default_configENS1_36segmented_radix_sort_config_selectorIdlEEZNS1_25segmented_radix_sort_implIS3_Lb1EPKdPdPKlPlN2at6native12_GLOBAL__N_18offset_tEEE10hipError_tPvRmT1_PNSt15iterator_traitsISK_E10value_typeET2_T3_PNSL_ISQ_E10value_typeET4_jRbjT5_SW_jjP12ihipStream_tbEUlT_E_NS1_11comp_targetILNS1_3genE10ELNS1_11target_archE1201ELNS1_3gpuE5ELNS1_3repE0EEENS1_30default_config_static_selectorELNS0_4arch9wavefront6targetE0EEEvSK_.has_dyn_sized_stack, 0
	.set _ZN7rocprim17ROCPRIM_400000_NS6detail17trampoline_kernelINS0_14default_configENS1_36segmented_radix_sort_config_selectorIdlEEZNS1_25segmented_radix_sort_implIS3_Lb1EPKdPdPKlPlN2at6native12_GLOBAL__N_18offset_tEEE10hipError_tPvRmT1_PNSt15iterator_traitsISK_E10value_typeET2_T3_PNSL_ISQ_E10value_typeET4_jRbjT5_SW_jjP12ihipStream_tbEUlT_E_NS1_11comp_targetILNS1_3genE10ELNS1_11target_archE1201ELNS1_3gpuE5ELNS1_3repE0EEENS1_30default_config_static_selectorELNS0_4arch9wavefront6targetE0EEEvSK_.has_recursion, 0
	.set _ZN7rocprim17ROCPRIM_400000_NS6detail17trampoline_kernelINS0_14default_configENS1_36segmented_radix_sort_config_selectorIdlEEZNS1_25segmented_radix_sort_implIS3_Lb1EPKdPdPKlPlN2at6native12_GLOBAL__N_18offset_tEEE10hipError_tPvRmT1_PNSt15iterator_traitsISK_E10value_typeET2_T3_PNSL_ISQ_E10value_typeET4_jRbjT5_SW_jjP12ihipStream_tbEUlT_E_NS1_11comp_targetILNS1_3genE10ELNS1_11target_archE1201ELNS1_3gpuE5ELNS1_3repE0EEENS1_30default_config_static_selectorELNS0_4arch9wavefront6targetE0EEEvSK_.has_indirect_call, 0
	.section	.AMDGPU.csdata,"",@progbits
; Kernel info:
; codeLenInByte = 0
; TotalNumSgprs: 0
; NumVgprs: 0
; ScratchSize: 0
; MemoryBound: 0
; FloatMode: 240
; IeeeMode: 1
; LDSByteSize: 0 bytes/workgroup (compile time only)
; SGPRBlocks: 0
; VGPRBlocks: 0
; NumSGPRsForWavesPerEU: 1
; NumVGPRsForWavesPerEU: 1
; NamedBarCnt: 0
; Occupancy: 16
; WaveLimiterHint : 0
; COMPUTE_PGM_RSRC2:SCRATCH_EN: 0
; COMPUTE_PGM_RSRC2:USER_SGPR: 2
; COMPUTE_PGM_RSRC2:TRAP_HANDLER: 0
; COMPUTE_PGM_RSRC2:TGID_X_EN: 1
; COMPUTE_PGM_RSRC2:TGID_Y_EN: 0
; COMPUTE_PGM_RSRC2:TGID_Z_EN: 0
; COMPUTE_PGM_RSRC2:TIDIG_COMP_CNT: 0
	.section	.text._ZN7rocprim17ROCPRIM_400000_NS6detail17trampoline_kernelINS0_14default_configENS1_36segmented_radix_sort_config_selectorIdlEEZNS1_25segmented_radix_sort_implIS3_Lb1EPKdPdPKlPlN2at6native12_GLOBAL__N_18offset_tEEE10hipError_tPvRmT1_PNSt15iterator_traitsISK_E10value_typeET2_T3_PNSL_ISQ_E10value_typeET4_jRbjT5_SW_jjP12ihipStream_tbEUlT_E_NS1_11comp_targetILNS1_3genE10ELNS1_11target_archE1200ELNS1_3gpuE4ELNS1_3repE0EEENS1_30default_config_static_selectorELNS0_4arch9wavefront6targetE0EEEvSK_,"axG",@progbits,_ZN7rocprim17ROCPRIM_400000_NS6detail17trampoline_kernelINS0_14default_configENS1_36segmented_radix_sort_config_selectorIdlEEZNS1_25segmented_radix_sort_implIS3_Lb1EPKdPdPKlPlN2at6native12_GLOBAL__N_18offset_tEEE10hipError_tPvRmT1_PNSt15iterator_traitsISK_E10value_typeET2_T3_PNSL_ISQ_E10value_typeET4_jRbjT5_SW_jjP12ihipStream_tbEUlT_E_NS1_11comp_targetILNS1_3genE10ELNS1_11target_archE1200ELNS1_3gpuE4ELNS1_3repE0EEENS1_30default_config_static_selectorELNS0_4arch9wavefront6targetE0EEEvSK_,comdat
	.globl	_ZN7rocprim17ROCPRIM_400000_NS6detail17trampoline_kernelINS0_14default_configENS1_36segmented_radix_sort_config_selectorIdlEEZNS1_25segmented_radix_sort_implIS3_Lb1EPKdPdPKlPlN2at6native12_GLOBAL__N_18offset_tEEE10hipError_tPvRmT1_PNSt15iterator_traitsISK_E10value_typeET2_T3_PNSL_ISQ_E10value_typeET4_jRbjT5_SW_jjP12ihipStream_tbEUlT_E_NS1_11comp_targetILNS1_3genE10ELNS1_11target_archE1200ELNS1_3gpuE4ELNS1_3repE0EEENS1_30default_config_static_selectorELNS0_4arch9wavefront6targetE0EEEvSK_ ; -- Begin function _ZN7rocprim17ROCPRIM_400000_NS6detail17trampoline_kernelINS0_14default_configENS1_36segmented_radix_sort_config_selectorIdlEEZNS1_25segmented_radix_sort_implIS3_Lb1EPKdPdPKlPlN2at6native12_GLOBAL__N_18offset_tEEE10hipError_tPvRmT1_PNSt15iterator_traitsISK_E10value_typeET2_T3_PNSL_ISQ_E10value_typeET4_jRbjT5_SW_jjP12ihipStream_tbEUlT_E_NS1_11comp_targetILNS1_3genE10ELNS1_11target_archE1200ELNS1_3gpuE4ELNS1_3repE0EEENS1_30default_config_static_selectorELNS0_4arch9wavefront6targetE0EEEvSK_
	.p2align	8
	.type	_ZN7rocprim17ROCPRIM_400000_NS6detail17trampoline_kernelINS0_14default_configENS1_36segmented_radix_sort_config_selectorIdlEEZNS1_25segmented_radix_sort_implIS3_Lb1EPKdPdPKlPlN2at6native12_GLOBAL__N_18offset_tEEE10hipError_tPvRmT1_PNSt15iterator_traitsISK_E10value_typeET2_T3_PNSL_ISQ_E10value_typeET4_jRbjT5_SW_jjP12ihipStream_tbEUlT_E_NS1_11comp_targetILNS1_3genE10ELNS1_11target_archE1200ELNS1_3gpuE4ELNS1_3repE0EEENS1_30default_config_static_selectorELNS0_4arch9wavefront6targetE0EEEvSK_,@function
_ZN7rocprim17ROCPRIM_400000_NS6detail17trampoline_kernelINS0_14default_configENS1_36segmented_radix_sort_config_selectorIdlEEZNS1_25segmented_radix_sort_implIS3_Lb1EPKdPdPKlPlN2at6native12_GLOBAL__N_18offset_tEEE10hipError_tPvRmT1_PNSt15iterator_traitsISK_E10value_typeET2_T3_PNSL_ISQ_E10value_typeET4_jRbjT5_SW_jjP12ihipStream_tbEUlT_E_NS1_11comp_targetILNS1_3genE10ELNS1_11target_archE1200ELNS1_3gpuE4ELNS1_3repE0EEENS1_30default_config_static_selectorELNS0_4arch9wavefront6targetE0EEEvSK_: ; @_ZN7rocprim17ROCPRIM_400000_NS6detail17trampoline_kernelINS0_14default_configENS1_36segmented_radix_sort_config_selectorIdlEEZNS1_25segmented_radix_sort_implIS3_Lb1EPKdPdPKlPlN2at6native12_GLOBAL__N_18offset_tEEE10hipError_tPvRmT1_PNSt15iterator_traitsISK_E10value_typeET2_T3_PNSL_ISQ_E10value_typeET4_jRbjT5_SW_jjP12ihipStream_tbEUlT_E_NS1_11comp_targetILNS1_3genE10ELNS1_11target_archE1200ELNS1_3gpuE4ELNS1_3repE0EEENS1_30default_config_static_selectorELNS0_4arch9wavefront6targetE0EEEvSK_
; %bb.0:
	.section	.rodata,"a",@progbits
	.p2align	6, 0x0
	.amdhsa_kernel _ZN7rocprim17ROCPRIM_400000_NS6detail17trampoline_kernelINS0_14default_configENS1_36segmented_radix_sort_config_selectorIdlEEZNS1_25segmented_radix_sort_implIS3_Lb1EPKdPdPKlPlN2at6native12_GLOBAL__N_18offset_tEEE10hipError_tPvRmT1_PNSt15iterator_traitsISK_E10value_typeET2_T3_PNSL_ISQ_E10value_typeET4_jRbjT5_SW_jjP12ihipStream_tbEUlT_E_NS1_11comp_targetILNS1_3genE10ELNS1_11target_archE1200ELNS1_3gpuE4ELNS1_3repE0EEENS1_30default_config_static_selectorELNS0_4arch9wavefront6targetE0EEEvSK_
		.amdhsa_group_segment_fixed_size 0
		.amdhsa_private_segment_fixed_size 0
		.amdhsa_kernarg_size 96
		.amdhsa_user_sgpr_count 2
		.amdhsa_user_sgpr_dispatch_ptr 0
		.amdhsa_user_sgpr_queue_ptr 0
		.amdhsa_user_sgpr_kernarg_segment_ptr 1
		.amdhsa_user_sgpr_dispatch_id 0
		.amdhsa_user_sgpr_kernarg_preload_length 0
		.amdhsa_user_sgpr_kernarg_preload_offset 0
		.amdhsa_user_sgpr_private_segment_size 0
		.amdhsa_wavefront_size32 1
		.amdhsa_uses_dynamic_stack 0
		.amdhsa_enable_private_segment 0
		.amdhsa_system_sgpr_workgroup_id_x 1
		.amdhsa_system_sgpr_workgroup_id_y 0
		.amdhsa_system_sgpr_workgroup_id_z 0
		.amdhsa_system_sgpr_workgroup_info 0
		.amdhsa_system_vgpr_workitem_id 0
		.amdhsa_next_free_vgpr 1
		.amdhsa_next_free_sgpr 1
		.amdhsa_named_barrier_count 0
		.amdhsa_reserve_vcc 0
		.amdhsa_float_round_mode_32 0
		.amdhsa_float_round_mode_16_64 0
		.amdhsa_float_denorm_mode_32 3
		.amdhsa_float_denorm_mode_16_64 3
		.amdhsa_fp16_overflow 0
		.amdhsa_memory_ordered 1
		.amdhsa_forward_progress 1
		.amdhsa_inst_pref_size 0
		.amdhsa_round_robin_scheduling 0
		.amdhsa_exception_fp_ieee_invalid_op 0
		.amdhsa_exception_fp_denorm_src 0
		.amdhsa_exception_fp_ieee_div_zero 0
		.amdhsa_exception_fp_ieee_overflow 0
		.amdhsa_exception_fp_ieee_underflow 0
		.amdhsa_exception_fp_ieee_inexact 0
		.amdhsa_exception_int_div_zero 0
	.end_amdhsa_kernel
	.section	.text._ZN7rocprim17ROCPRIM_400000_NS6detail17trampoline_kernelINS0_14default_configENS1_36segmented_radix_sort_config_selectorIdlEEZNS1_25segmented_radix_sort_implIS3_Lb1EPKdPdPKlPlN2at6native12_GLOBAL__N_18offset_tEEE10hipError_tPvRmT1_PNSt15iterator_traitsISK_E10value_typeET2_T3_PNSL_ISQ_E10value_typeET4_jRbjT5_SW_jjP12ihipStream_tbEUlT_E_NS1_11comp_targetILNS1_3genE10ELNS1_11target_archE1200ELNS1_3gpuE4ELNS1_3repE0EEENS1_30default_config_static_selectorELNS0_4arch9wavefront6targetE0EEEvSK_,"axG",@progbits,_ZN7rocprim17ROCPRIM_400000_NS6detail17trampoline_kernelINS0_14default_configENS1_36segmented_radix_sort_config_selectorIdlEEZNS1_25segmented_radix_sort_implIS3_Lb1EPKdPdPKlPlN2at6native12_GLOBAL__N_18offset_tEEE10hipError_tPvRmT1_PNSt15iterator_traitsISK_E10value_typeET2_T3_PNSL_ISQ_E10value_typeET4_jRbjT5_SW_jjP12ihipStream_tbEUlT_E_NS1_11comp_targetILNS1_3genE10ELNS1_11target_archE1200ELNS1_3gpuE4ELNS1_3repE0EEENS1_30default_config_static_selectorELNS0_4arch9wavefront6targetE0EEEvSK_,comdat
.Lfunc_end1119:
	.size	_ZN7rocprim17ROCPRIM_400000_NS6detail17trampoline_kernelINS0_14default_configENS1_36segmented_radix_sort_config_selectorIdlEEZNS1_25segmented_radix_sort_implIS3_Lb1EPKdPdPKlPlN2at6native12_GLOBAL__N_18offset_tEEE10hipError_tPvRmT1_PNSt15iterator_traitsISK_E10value_typeET2_T3_PNSL_ISQ_E10value_typeET4_jRbjT5_SW_jjP12ihipStream_tbEUlT_E_NS1_11comp_targetILNS1_3genE10ELNS1_11target_archE1200ELNS1_3gpuE4ELNS1_3repE0EEENS1_30default_config_static_selectorELNS0_4arch9wavefront6targetE0EEEvSK_, .Lfunc_end1119-_ZN7rocprim17ROCPRIM_400000_NS6detail17trampoline_kernelINS0_14default_configENS1_36segmented_radix_sort_config_selectorIdlEEZNS1_25segmented_radix_sort_implIS3_Lb1EPKdPdPKlPlN2at6native12_GLOBAL__N_18offset_tEEE10hipError_tPvRmT1_PNSt15iterator_traitsISK_E10value_typeET2_T3_PNSL_ISQ_E10value_typeET4_jRbjT5_SW_jjP12ihipStream_tbEUlT_E_NS1_11comp_targetILNS1_3genE10ELNS1_11target_archE1200ELNS1_3gpuE4ELNS1_3repE0EEENS1_30default_config_static_selectorELNS0_4arch9wavefront6targetE0EEEvSK_
                                        ; -- End function
	.set _ZN7rocprim17ROCPRIM_400000_NS6detail17trampoline_kernelINS0_14default_configENS1_36segmented_radix_sort_config_selectorIdlEEZNS1_25segmented_radix_sort_implIS3_Lb1EPKdPdPKlPlN2at6native12_GLOBAL__N_18offset_tEEE10hipError_tPvRmT1_PNSt15iterator_traitsISK_E10value_typeET2_T3_PNSL_ISQ_E10value_typeET4_jRbjT5_SW_jjP12ihipStream_tbEUlT_E_NS1_11comp_targetILNS1_3genE10ELNS1_11target_archE1200ELNS1_3gpuE4ELNS1_3repE0EEENS1_30default_config_static_selectorELNS0_4arch9wavefront6targetE0EEEvSK_.num_vgpr, 0
	.set _ZN7rocprim17ROCPRIM_400000_NS6detail17trampoline_kernelINS0_14default_configENS1_36segmented_radix_sort_config_selectorIdlEEZNS1_25segmented_radix_sort_implIS3_Lb1EPKdPdPKlPlN2at6native12_GLOBAL__N_18offset_tEEE10hipError_tPvRmT1_PNSt15iterator_traitsISK_E10value_typeET2_T3_PNSL_ISQ_E10value_typeET4_jRbjT5_SW_jjP12ihipStream_tbEUlT_E_NS1_11comp_targetILNS1_3genE10ELNS1_11target_archE1200ELNS1_3gpuE4ELNS1_3repE0EEENS1_30default_config_static_selectorELNS0_4arch9wavefront6targetE0EEEvSK_.num_agpr, 0
	.set _ZN7rocprim17ROCPRIM_400000_NS6detail17trampoline_kernelINS0_14default_configENS1_36segmented_radix_sort_config_selectorIdlEEZNS1_25segmented_radix_sort_implIS3_Lb1EPKdPdPKlPlN2at6native12_GLOBAL__N_18offset_tEEE10hipError_tPvRmT1_PNSt15iterator_traitsISK_E10value_typeET2_T3_PNSL_ISQ_E10value_typeET4_jRbjT5_SW_jjP12ihipStream_tbEUlT_E_NS1_11comp_targetILNS1_3genE10ELNS1_11target_archE1200ELNS1_3gpuE4ELNS1_3repE0EEENS1_30default_config_static_selectorELNS0_4arch9wavefront6targetE0EEEvSK_.numbered_sgpr, 0
	.set _ZN7rocprim17ROCPRIM_400000_NS6detail17trampoline_kernelINS0_14default_configENS1_36segmented_radix_sort_config_selectorIdlEEZNS1_25segmented_radix_sort_implIS3_Lb1EPKdPdPKlPlN2at6native12_GLOBAL__N_18offset_tEEE10hipError_tPvRmT1_PNSt15iterator_traitsISK_E10value_typeET2_T3_PNSL_ISQ_E10value_typeET4_jRbjT5_SW_jjP12ihipStream_tbEUlT_E_NS1_11comp_targetILNS1_3genE10ELNS1_11target_archE1200ELNS1_3gpuE4ELNS1_3repE0EEENS1_30default_config_static_selectorELNS0_4arch9wavefront6targetE0EEEvSK_.num_named_barrier, 0
	.set _ZN7rocprim17ROCPRIM_400000_NS6detail17trampoline_kernelINS0_14default_configENS1_36segmented_radix_sort_config_selectorIdlEEZNS1_25segmented_radix_sort_implIS3_Lb1EPKdPdPKlPlN2at6native12_GLOBAL__N_18offset_tEEE10hipError_tPvRmT1_PNSt15iterator_traitsISK_E10value_typeET2_T3_PNSL_ISQ_E10value_typeET4_jRbjT5_SW_jjP12ihipStream_tbEUlT_E_NS1_11comp_targetILNS1_3genE10ELNS1_11target_archE1200ELNS1_3gpuE4ELNS1_3repE0EEENS1_30default_config_static_selectorELNS0_4arch9wavefront6targetE0EEEvSK_.private_seg_size, 0
	.set _ZN7rocprim17ROCPRIM_400000_NS6detail17trampoline_kernelINS0_14default_configENS1_36segmented_radix_sort_config_selectorIdlEEZNS1_25segmented_radix_sort_implIS3_Lb1EPKdPdPKlPlN2at6native12_GLOBAL__N_18offset_tEEE10hipError_tPvRmT1_PNSt15iterator_traitsISK_E10value_typeET2_T3_PNSL_ISQ_E10value_typeET4_jRbjT5_SW_jjP12ihipStream_tbEUlT_E_NS1_11comp_targetILNS1_3genE10ELNS1_11target_archE1200ELNS1_3gpuE4ELNS1_3repE0EEENS1_30default_config_static_selectorELNS0_4arch9wavefront6targetE0EEEvSK_.uses_vcc, 0
	.set _ZN7rocprim17ROCPRIM_400000_NS6detail17trampoline_kernelINS0_14default_configENS1_36segmented_radix_sort_config_selectorIdlEEZNS1_25segmented_radix_sort_implIS3_Lb1EPKdPdPKlPlN2at6native12_GLOBAL__N_18offset_tEEE10hipError_tPvRmT1_PNSt15iterator_traitsISK_E10value_typeET2_T3_PNSL_ISQ_E10value_typeET4_jRbjT5_SW_jjP12ihipStream_tbEUlT_E_NS1_11comp_targetILNS1_3genE10ELNS1_11target_archE1200ELNS1_3gpuE4ELNS1_3repE0EEENS1_30default_config_static_selectorELNS0_4arch9wavefront6targetE0EEEvSK_.uses_flat_scratch, 0
	.set _ZN7rocprim17ROCPRIM_400000_NS6detail17trampoline_kernelINS0_14default_configENS1_36segmented_radix_sort_config_selectorIdlEEZNS1_25segmented_radix_sort_implIS3_Lb1EPKdPdPKlPlN2at6native12_GLOBAL__N_18offset_tEEE10hipError_tPvRmT1_PNSt15iterator_traitsISK_E10value_typeET2_T3_PNSL_ISQ_E10value_typeET4_jRbjT5_SW_jjP12ihipStream_tbEUlT_E_NS1_11comp_targetILNS1_3genE10ELNS1_11target_archE1200ELNS1_3gpuE4ELNS1_3repE0EEENS1_30default_config_static_selectorELNS0_4arch9wavefront6targetE0EEEvSK_.has_dyn_sized_stack, 0
	.set _ZN7rocprim17ROCPRIM_400000_NS6detail17trampoline_kernelINS0_14default_configENS1_36segmented_radix_sort_config_selectorIdlEEZNS1_25segmented_radix_sort_implIS3_Lb1EPKdPdPKlPlN2at6native12_GLOBAL__N_18offset_tEEE10hipError_tPvRmT1_PNSt15iterator_traitsISK_E10value_typeET2_T3_PNSL_ISQ_E10value_typeET4_jRbjT5_SW_jjP12ihipStream_tbEUlT_E_NS1_11comp_targetILNS1_3genE10ELNS1_11target_archE1200ELNS1_3gpuE4ELNS1_3repE0EEENS1_30default_config_static_selectorELNS0_4arch9wavefront6targetE0EEEvSK_.has_recursion, 0
	.set _ZN7rocprim17ROCPRIM_400000_NS6detail17trampoline_kernelINS0_14default_configENS1_36segmented_radix_sort_config_selectorIdlEEZNS1_25segmented_radix_sort_implIS3_Lb1EPKdPdPKlPlN2at6native12_GLOBAL__N_18offset_tEEE10hipError_tPvRmT1_PNSt15iterator_traitsISK_E10value_typeET2_T3_PNSL_ISQ_E10value_typeET4_jRbjT5_SW_jjP12ihipStream_tbEUlT_E_NS1_11comp_targetILNS1_3genE10ELNS1_11target_archE1200ELNS1_3gpuE4ELNS1_3repE0EEENS1_30default_config_static_selectorELNS0_4arch9wavefront6targetE0EEEvSK_.has_indirect_call, 0
	.section	.AMDGPU.csdata,"",@progbits
; Kernel info:
; codeLenInByte = 0
; TotalNumSgprs: 0
; NumVgprs: 0
; ScratchSize: 0
; MemoryBound: 0
; FloatMode: 240
; IeeeMode: 1
; LDSByteSize: 0 bytes/workgroup (compile time only)
; SGPRBlocks: 0
; VGPRBlocks: 0
; NumSGPRsForWavesPerEU: 1
; NumVGPRsForWavesPerEU: 1
; NamedBarCnt: 0
; Occupancy: 16
; WaveLimiterHint : 0
; COMPUTE_PGM_RSRC2:SCRATCH_EN: 0
; COMPUTE_PGM_RSRC2:USER_SGPR: 2
; COMPUTE_PGM_RSRC2:TRAP_HANDLER: 0
; COMPUTE_PGM_RSRC2:TGID_X_EN: 1
; COMPUTE_PGM_RSRC2:TGID_Y_EN: 0
; COMPUTE_PGM_RSRC2:TGID_Z_EN: 0
; COMPUTE_PGM_RSRC2:TIDIG_COMP_CNT: 0
	.section	.text._ZN7rocprim17ROCPRIM_400000_NS6detail17trampoline_kernelINS0_14default_configENS1_36segmented_radix_sort_config_selectorIdlEEZNS1_25segmented_radix_sort_implIS3_Lb1EPKdPdPKlPlN2at6native12_GLOBAL__N_18offset_tEEE10hipError_tPvRmT1_PNSt15iterator_traitsISK_E10value_typeET2_T3_PNSL_ISQ_E10value_typeET4_jRbjT5_SW_jjP12ihipStream_tbEUlT_E_NS1_11comp_targetILNS1_3genE9ELNS1_11target_archE1100ELNS1_3gpuE3ELNS1_3repE0EEENS1_30default_config_static_selectorELNS0_4arch9wavefront6targetE0EEEvSK_,"axG",@progbits,_ZN7rocprim17ROCPRIM_400000_NS6detail17trampoline_kernelINS0_14default_configENS1_36segmented_radix_sort_config_selectorIdlEEZNS1_25segmented_radix_sort_implIS3_Lb1EPKdPdPKlPlN2at6native12_GLOBAL__N_18offset_tEEE10hipError_tPvRmT1_PNSt15iterator_traitsISK_E10value_typeET2_T3_PNSL_ISQ_E10value_typeET4_jRbjT5_SW_jjP12ihipStream_tbEUlT_E_NS1_11comp_targetILNS1_3genE9ELNS1_11target_archE1100ELNS1_3gpuE3ELNS1_3repE0EEENS1_30default_config_static_selectorELNS0_4arch9wavefront6targetE0EEEvSK_,comdat
	.globl	_ZN7rocprim17ROCPRIM_400000_NS6detail17trampoline_kernelINS0_14default_configENS1_36segmented_radix_sort_config_selectorIdlEEZNS1_25segmented_radix_sort_implIS3_Lb1EPKdPdPKlPlN2at6native12_GLOBAL__N_18offset_tEEE10hipError_tPvRmT1_PNSt15iterator_traitsISK_E10value_typeET2_T3_PNSL_ISQ_E10value_typeET4_jRbjT5_SW_jjP12ihipStream_tbEUlT_E_NS1_11comp_targetILNS1_3genE9ELNS1_11target_archE1100ELNS1_3gpuE3ELNS1_3repE0EEENS1_30default_config_static_selectorELNS0_4arch9wavefront6targetE0EEEvSK_ ; -- Begin function _ZN7rocprim17ROCPRIM_400000_NS6detail17trampoline_kernelINS0_14default_configENS1_36segmented_radix_sort_config_selectorIdlEEZNS1_25segmented_radix_sort_implIS3_Lb1EPKdPdPKlPlN2at6native12_GLOBAL__N_18offset_tEEE10hipError_tPvRmT1_PNSt15iterator_traitsISK_E10value_typeET2_T3_PNSL_ISQ_E10value_typeET4_jRbjT5_SW_jjP12ihipStream_tbEUlT_E_NS1_11comp_targetILNS1_3genE9ELNS1_11target_archE1100ELNS1_3gpuE3ELNS1_3repE0EEENS1_30default_config_static_selectorELNS0_4arch9wavefront6targetE0EEEvSK_
	.p2align	8
	.type	_ZN7rocprim17ROCPRIM_400000_NS6detail17trampoline_kernelINS0_14default_configENS1_36segmented_radix_sort_config_selectorIdlEEZNS1_25segmented_radix_sort_implIS3_Lb1EPKdPdPKlPlN2at6native12_GLOBAL__N_18offset_tEEE10hipError_tPvRmT1_PNSt15iterator_traitsISK_E10value_typeET2_T3_PNSL_ISQ_E10value_typeET4_jRbjT5_SW_jjP12ihipStream_tbEUlT_E_NS1_11comp_targetILNS1_3genE9ELNS1_11target_archE1100ELNS1_3gpuE3ELNS1_3repE0EEENS1_30default_config_static_selectorELNS0_4arch9wavefront6targetE0EEEvSK_,@function
_ZN7rocprim17ROCPRIM_400000_NS6detail17trampoline_kernelINS0_14default_configENS1_36segmented_radix_sort_config_selectorIdlEEZNS1_25segmented_radix_sort_implIS3_Lb1EPKdPdPKlPlN2at6native12_GLOBAL__N_18offset_tEEE10hipError_tPvRmT1_PNSt15iterator_traitsISK_E10value_typeET2_T3_PNSL_ISQ_E10value_typeET4_jRbjT5_SW_jjP12ihipStream_tbEUlT_E_NS1_11comp_targetILNS1_3genE9ELNS1_11target_archE1100ELNS1_3gpuE3ELNS1_3repE0EEENS1_30default_config_static_selectorELNS0_4arch9wavefront6targetE0EEEvSK_: ; @_ZN7rocprim17ROCPRIM_400000_NS6detail17trampoline_kernelINS0_14default_configENS1_36segmented_radix_sort_config_selectorIdlEEZNS1_25segmented_radix_sort_implIS3_Lb1EPKdPdPKlPlN2at6native12_GLOBAL__N_18offset_tEEE10hipError_tPvRmT1_PNSt15iterator_traitsISK_E10value_typeET2_T3_PNSL_ISQ_E10value_typeET4_jRbjT5_SW_jjP12ihipStream_tbEUlT_E_NS1_11comp_targetILNS1_3genE9ELNS1_11target_archE1100ELNS1_3gpuE3ELNS1_3repE0EEENS1_30default_config_static_selectorELNS0_4arch9wavefront6targetE0EEEvSK_
; %bb.0:
	.section	.rodata,"a",@progbits
	.p2align	6, 0x0
	.amdhsa_kernel _ZN7rocprim17ROCPRIM_400000_NS6detail17trampoline_kernelINS0_14default_configENS1_36segmented_radix_sort_config_selectorIdlEEZNS1_25segmented_radix_sort_implIS3_Lb1EPKdPdPKlPlN2at6native12_GLOBAL__N_18offset_tEEE10hipError_tPvRmT1_PNSt15iterator_traitsISK_E10value_typeET2_T3_PNSL_ISQ_E10value_typeET4_jRbjT5_SW_jjP12ihipStream_tbEUlT_E_NS1_11comp_targetILNS1_3genE9ELNS1_11target_archE1100ELNS1_3gpuE3ELNS1_3repE0EEENS1_30default_config_static_selectorELNS0_4arch9wavefront6targetE0EEEvSK_
		.amdhsa_group_segment_fixed_size 0
		.amdhsa_private_segment_fixed_size 0
		.amdhsa_kernarg_size 96
		.amdhsa_user_sgpr_count 2
		.amdhsa_user_sgpr_dispatch_ptr 0
		.amdhsa_user_sgpr_queue_ptr 0
		.amdhsa_user_sgpr_kernarg_segment_ptr 1
		.amdhsa_user_sgpr_dispatch_id 0
		.amdhsa_user_sgpr_kernarg_preload_length 0
		.amdhsa_user_sgpr_kernarg_preload_offset 0
		.amdhsa_user_sgpr_private_segment_size 0
		.amdhsa_wavefront_size32 1
		.amdhsa_uses_dynamic_stack 0
		.amdhsa_enable_private_segment 0
		.amdhsa_system_sgpr_workgroup_id_x 1
		.amdhsa_system_sgpr_workgroup_id_y 0
		.amdhsa_system_sgpr_workgroup_id_z 0
		.amdhsa_system_sgpr_workgroup_info 0
		.amdhsa_system_vgpr_workitem_id 0
		.amdhsa_next_free_vgpr 1
		.amdhsa_next_free_sgpr 1
		.amdhsa_named_barrier_count 0
		.amdhsa_reserve_vcc 0
		.amdhsa_float_round_mode_32 0
		.amdhsa_float_round_mode_16_64 0
		.amdhsa_float_denorm_mode_32 3
		.amdhsa_float_denorm_mode_16_64 3
		.amdhsa_fp16_overflow 0
		.amdhsa_memory_ordered 1
		.amdhsa_forward_progress 1
		.amdhsa_inst_pref_size 0
		.amdhsa_round_robin_scheduling 0
		.amdhsa_exception_fp_ieee_invalid_op 0
		.amdhsa_exception_fp_denorm_src 0
		.amdhsa_exception_fp_ieee_div_zero 0
		.amdhsa_exception_fp_ieee_overflow 0
		.amdhsa_exception_fp_ieee_underflow 0
		.amdhsa_exception_fp_ieee_inexact 0
		.amdhsa_exception_int_div_zero 0
	.end_amdhsa_kernel
	.section	.text._ZN7rocprim17ROCPRIM_400000_NS6detail17trampoline_kernelINS0_14default_configENS1_36segmented_radix_sort_config_selectorIdlEEZNS1_25segmented_radix_sort_implIS3_Lb1EPKdPdPKlPlN2at6native12_GLOBAL__N_18offset_tEEE10hipError_tPvRmT1_PNSt15iterator_traitsISK_E10value_typeET2_T3_PNSL_ISQ_E10value_typeET4_jRbjT5_SW_jjP12ihipStream_tbEUlT_E_NS1_11comp_targetILNS1_3genE9ELNS1_11target_archE1100ELNS1_3gpuE3ELNS1_3repE0EEENS1_30default_config_static_selectorELNS0_4arch9wavefront6targetE0EEEvSK_,"axG",@progbits,_ZN7rocprim17ROCPRIM_400000_NS6detail17trampoline_kernelINS0_14default_configENS1_36segmented_radix_sort_config_selectorIdlEEZNS1_25segmented_radix_sort_implIS3_Lb1EPKdPdPKlPlN2at6native12_GLOBAL__N_18offset_tEEE10hipError_tPvRmT1_PNSt15iterator_traitsISK_E10value_typeET2_T3_PNSL_ISQ_E10value_typeET4_jRbjT5_SW_jjP12ihipStream_tbEUlT_E_NS1_11comp_targetILNS1_3genE9ELNS1_11target_archE1100ELNS1_3gpuE3ELNS1_3repE0EEENS1_30default_config_static_selectorELNS0_4arch9wavefront6targetE0EEEvSK_,comdat
.Lfunc_end1120:
	.size	_ZN7rocprim17ROCPRIM_400000_NS6detail17trampoline_kernelINS0_14default_configENS1_36segmented_radix_sort_config_selectorIdlEEZNS1_25segmented_radix_sort_implIS3_Lb1EPKdPdPKlPlN2at6native12_GLOBAL__N_18offset_tEEE10hipError_tPvRmT1_PNSt15iterator_traitsISK_E10value_typeET2_T3_PNSL_ISQ_E10value_typeET4_jRbjT5_SW_jjP12ihipStream_tbEUlT_E_NS1_11comp_targetILNS1_3genE9ELNS1_11target_archE1100ELNS1_3gpuE3ELNS1_3repE0EEENS1_30default_config_static_selectorELNS0_4arch9wavefront6targetE0EEEvSK_, .Lfunc_end1120-_ZN7rocprim17ROCPRIM_400000_NS6detail17trampoline_kernelINS0_14default_configENS1_36segmented_radix_sort_config_selectorIdlEEZNS1_25segmented_radix_sort_implIS3_Lb1EPKdPdPKlPlN2at6native12_GLOBAL__N_18offset_tEEE10hipError_tPvRmT1_PNSt15iterator_traitsISK_E10value_typeET2_T3_PNSL_ISQ_E10value_typeET4_jRbjT5_SW_jjP12ihipStream_tbEUlT_E_NS1_11comp_targetILNS1_3genE9ELNS1_11target_archE1100ELNS1_3gpuE3ELNS1_3repE0EEENS1_30default_config_static_selectorELNS0_4arch9wavefront6targetE0EEEvSK_
                                        ; -- End function
	.set _ZN7rocprim17ROCPRIM_400000_NS6detail17trampoline_kernelINS0_14default_configENS1_36segmented_radix_sort_config_selectorIdlEEZNS1_25segmented_radix_sort_implIS3_Lb1EPKdPdPKlPlN2at6native12_GLOBAL__N_18offset_tEEE10hipError_tPvRmT1_PNSt15iterator_traitsISK_E10value_typeET2_T3_PNSL_ISQ_E10value_typeET4_jRbjT5_SW_jjP12ihipStream_tbEUlT_E_NS1_11comp_targetILNS1_3genE9ELNS1_11target_archE1100ELNS1_3gpuE3ELNS1_3repE0EEENS1_30default_config_static_selectorELNS0_4arch9wavefront6targetE0EEEvSK_.num_vgpr, 0
	.set _ZN7rocprim17ROCPRIM_400000_NS6detail17trampoline_kernelINS0_14default_configENS1_36segmented_radix_sort_config_selectorIdlEEZNS1_25segmented_radix_sort_implIS3_Lb1EPKdPdPKlPlN2at6native12_GLOBAL__N_18offset_tEEE10hipError_tPvRmT1_PNSt15iterator_traitsISK_E10value_typeET2_T3_PNSL_ISQ_E10value_typeET4_jRbjT5_SW_jjP12ihipStream_tbEUlT_E_NS1_11comp_targetILNS1_3genE9ELNS1_11target_archE1100ELNS1_3gpuE3ELNS1_3repE0EEENS1_30default_config_static_selectorELNS0_4arch9wavefront6targetE0EEEvSK_.num_agpr, 0
	.set _ZN7rocprim17ROCPRIM_400000_NS6detail17trampoline_kernelINS0_14default_configENS1_36segmented_radix_sort_config_selectorIdlEEZNS1_25segmented_radix_sort_implIS3_Lb1EPKdPdPKlPlN2at6native12_GLOBAL__N_18offset_tEEE10hipError_tPvRmT1_PNSt15iterator_traitsISK_E10value_typeET2_T3_PNSL_ISQ_E10value_typeET4_jRbjT5_SW_jjP12ihipStream_tbEUlT_E_NS1_11comp_targetILNS1_3genE9ELNS1_11target_archE1100ELNS1_3gpuE3ELNS1_3repE0EEENS1_30default_config_static_selectorELNS0_4arch9wavefront6targetE0EEEvSK_.numbered_sgpr, 0
	.set _ZN7rocprim17ROCPRIM_400000_NS6detail17trampoline_kernelINS0_14default_configENS1_36segmented_radix_sort_config_selectorIdlEEZNS1_25segmented_radix_sort_implIS3_Lb1EPKdPdPKlPlN2at6native12_GLOBAL__N_18offset_tEEE10hipError_tPvRmT1_PNSt15iterator_traitsISK_E10value_typeET2_T3_PNSL_ISQ_E10value_typeET4_jRbjT5_SW_jjP12ihipStream_tbEUlT_E_NS1_11comp_targetILNS1_3genE9ELNS1_11target_archE1100ELNS1_3gpuE3ELNS1_3repE0EEENS1_30default_config_static_selectorELNS0_4arch9wavefront6targetE0EEEvSK_.num_named_barrier, 0
	.set _ZN7rocprim17ROCPRIM_400000_NS6detail17trampoline_kernelINS0_14default_configENS1_36segmented_radix_sort_config_selectorIdlEEZNS1_25segmented_radix_sort_implIS3_Lb1EPKdPdPKlPlN2at6native12_GLOBAL__N_18offset_tEEE10hipError_tPvRmT1_PNSt15iterator_traitsISK_E10value_typeET2_T3_PNSL_ISQ_E10value_typeET4_jRbjT5_SW_jjP12ihipStream_tbEUlT_E_NS1_11comp_targetILNS1_3genE9ELNS1_11target_archE1100ELNS1_3gpuE3ELNS1_3repE0EEENS1_30default_config_static_selectorELNS0_4arch9wavefront6targetE0EEEvSK_.private_seg_size, 0
	.set _ZN7rocprim17ROCPRIM_400000_NS6detail17trampoline_kernelINS0_14default_configENS1_36segmented_radix_sort_config_selectorIdlEEZNS1_25segmented_radix_sort_implIS3_Lb1EPKdPdPKlPlN2at6native12_GLOBAL__N_18offset_tEEE10hipError_tPvRmT1_PNSt15iterator_traitsISK_E10value_typeET2_T3_PNSL_ISQ_E10value_typeET4_jRbjT5_SW_jjP12ihipStream_tbEUlT_E_NS1_11comp_targetILNS1_3genE9ELNS1_11target_archE1100ELNS1_3gpuE3ELNS1_3repE0EEENS1_30default_config_static_selectorELNS0_4arch9wavefront6targetE0EEEvSK_.uses_vcc, 0
	.set _ZN7rocprim17ROCPRIM_400000_NS6detail17trampoline_kernelINS0_14default_configENS1_36segmented_radix_sort_config_selectorIdlEEZNS1_25segmented_radix_sort_implIS3_Lb1EPKdPdPKlPlN2at6native12_GLOBAL__N_18offset_tEEE10hipError_tPvRmT1_PNSt15iterator_traitsISK_E10value_typeET2_T3_PNSL_ISQ_E10value_typeET4_jRbjT5_SW_jjP12ihipStream_tbEUlT_E_NS1_11comp_targetILNS1_3genE9ELNS1_11target_archE1100ELNS1_3gpuE3ELNS1_3repE0EEENS1_30default_config_static_selectorELNS0_4arch9wavefront6targetE0EEEvSK_.uses_flat_scratch, 0
	.set _ZN7rocprim17ROCPRIM_400000_NS6detail17trampoline_kernelINS0_14default_configENS1_36segmented_radix_sort_config_selectorIdlEEZNS1_25segmented_radix_sort_implIS3_Lb1EPKdPdPKlPlN2at6native12_GLOBAL__N_18offset_tEEE10hipError_tPvRmT1_PNSt15iterator_traitsISK_E10value_typeET2_T3_PNSL_ISQ_E10value_typeET4_jRbjT5_SW_jjP12ihipStream_tbEUlT_E_NS1_11comp_targetILNS1_3genE9ELNS1_11target_archE1100ELNS1_3gpuE3ELNS1_3repE0EEENS1_30default_config_static_selectorELNS0_4arch9wavefront6targetE0EEEvSK_.has_dyn_sized_stack, 0
	.set _ZN7rocprim17ROCPRIM_400000_NS6detail17trampoline_kernelINS0_14default_configENS1_36segmented_radix_sort_config_selectorIdlEEZNS1_25segmented_radix_sort_implIS3_Lb1EPKdPdPKlPlN2at6native12_GLOBAL__N_18offset_tEEE10hipError_tPvRmT1_PNSt15iterator_traitsISK_E10value_typeET2_T3_PNSL_ISQ_E10value_typeET4_jRbjT5_SW_jjP12ihipStream_tbEUlT_E_NS1_11comp_targetILNS1_3genE9ELNS1_11target_archE1100ELNS1_3gpuE3ELNS1_3repE0EEENS1_30default_config_static_selectorELNS0_4arch9wavefront6targetE0EEEvSK_.has_recursion, 0
	.set _ZN7rocprim17ROCPRIM_400000_NS6detail17trampoline_kernelINS0_14default_configENS1_36segmented_radix_sort_config_selectorIdlEEZNS1_25segmented_radix_sort_implIS3_Lb1EPKdPdPKlPlN2at6native12_GLOBAL__N_18offset_tEEE10hipError_tPvRmT1_PNSt15iterator_traitsISK_E10value_typeET2_T3_PNSL_ISQ_E10value_typeET4_jRbjT5_SW_jjP12ihipStream_tbEUlT_E_NS1_11comp_targetILNS1_3genE9ELNS1_11target_archE1100ELNS1_3gpuE3ELNS1_3repE0EEENS1_30default_config_static_selectorELNS0_4arch9wavefront6targetE0EEEvSK_.has_indirect_call, 0
	.section	.AMDGPU.csdata,"",@progbits
; Kernel info:
; codeLenInByte = 0
; TotalNumSgprs: 0
; NumVgprs: 0
; ScratchSize: 0
; MemoryBound: 0
; FloatMode: 240
; IeeeMode: 1
; LDSByteSize: 0 bytes/workgroup (compile time only)
; SGPRBlocks: 0
; VGPRBlocks: 0
; NumSGPRsForWavesPerEU: 1
; NumVGPRsForWavesPerEU: 1
; NamedBarCnt: 0
; Occupancy: 16
; WaveLimiterHint : 0
; COMPUTE_PGM_RSRC2:SCRATCH_EN: 0
; COMPUTE_PGM_RSRC2:USER_SGPR: 2
; COMPUTE_PGM_RSRC2:TRAP_HANDLER: 0
; COMPUTE_PGM_RSRC2:TGID_X_EN: 1
; COMPUTE_PGM_RSRC2:TGID_Y_EN: 0
; COMPUTE_PGM_RSRC2:TGID_Z_EN: 0
; COMPUTE_PGM_RSRC2:TIDIG_COMP_CNT: 0
	.section	.text._ZN7rocprim17ROCPRIM_400000_NS6detail17trampoline_kernelINS0_14default_configENS1_36segmented_radix_sort_config_selectorIdlEEZNS1_25segmented_radix_sort_implIS3_Lb1EPKdPdPKlPlN2at6native12_GLOBAL__N_18offset_tEEE10hipError_tPvRmT1_PNSt15iterator_traitsISK_E10value_typeET2_T3_PNSL_ISQ_E10value_typeET4_jRbjT5_SW_jjP12ihipStream_tbEUlT_E_NS1_11comp_targetILNS1_3genE8ELNS1_11target_archE1030ELNS1_3gpuE2ELNS1_3repE0EEENS1_30default_config_static_selectorELNS0_4arch9wavefront6targetE0EEEvSK_,"axG",@progbits,_ZN7rocprim17ROCPRIM_400000_NS6detail17trampoline_kernelINS0_14default_configENS1_36segmented_radix_sort_config_selectorIdlEEZNS1_25segmented_radix_sort_implIS3_Lb1EPKdPdPKlPlN2at6native12_GLOBAL__N_18offset_tEEE10hipError_tPvRmT1_PNSt15iterator_traitsISK_E10value_typeET2_T3_PNSL_ISQ_E10value_typeET4_jRbjT5_SW_jjP12ihipStream_tbEUlT_E_NS1_11comp_targetILNS1_3genE8ELNS1_11target_archE1030ELNS1_3gpuE2ELNS1_3repE0EEENS1_30default_config_static_selectorELNS0_4arch9wavefront6targetE0EEEvSK_,comdat
	.globl	_ZN7rocprim17ROCPRIM_400000_NS6detail17trampoline_kernelINS0_14default_configENS1_36segmented_radix_sort_config_selectorIdlEEZNS1_25segmented_radix_sort_implIS3_Lb1EPKdPdPKlPlN2at6native12_GLOBAL__N_18offset_tEEE10hipError_tPvRmT1_PNSt15iterator_traitsISK_E10value_typeET2_T3_PNSL_ISQ_E10value_typeET4_jRbjT5_SW_jjP12ihipStream_tbEUlT_E_NS1_11comp_targetILNS1_3genE8ELNS1_11target_archE1030ELNS1_3gpuE2ELNS1_3repE0EEENS1_30default_config_static_selectorELNS0_4arch9wavefront6targetE0EEEvSK_ ; -- Begin function _ZN7rocprim17ROCPRIM_400000_NS6detail17trampoline_kernelINS0_14default_configENS1_36segmented_radix_sort_config_selectorIdlEEZNS1_25segmented_radix_sort_implIS3_Lb1EPKdPdPKlPlN2at6native12_GLOBAL__N_18offset_tEEE10hipError_tPvRmT1_PNSt15iterator_traitsISK_E10value_typeET2_T3_PNSL_ISQ_E10value_typeET4_jRbjT5_SW_jjP12ihipStream_tbEUlT_E_NS1_11comp_targetILNS1_3genE8ELNS1_11target_archE1030ELNS1_3gpuE2ELNS1_3repE0EEENS1_30default_config_static_selectorELNS0_4arch9wavefront6targetE0EEEvSK_
	.p2align	8
	.type	_ZN7rocprim17ROCPRIM_400000_NS6detail17trampoline_kernelINS0_14default_configENS1_36segmented_radix_sort_config_selectorIdlEEZNS1_25segmented_radix_sort_implIS3_Lb1EPKdPdPKlPlN2at6native12_GLOBAL__N_18offset_tEEE10hipError_tPvRmT1_PNSt15iterator_traitsISK_E10value_typeET2_T3_PNSL_ISQ_E10value_typeET4_jRbjT5_SW_jjP12ihipStream_tbEUlT_E_NS1_11comp_targetILNS1_3genE8ELNS1_11target_archE1030ELNS1_3gpuE2ELNS1_3repE0EEENS1_30default_config_static_selectorELNS0_4arch9wavefront6targetE0EEEvSK_,@function
_ZN7rocprim17ROCPRIM_400000_NS6detail17trampoline_kernelINS0_14default_configENS1_36segmented_radix_sort_config_selectorIdlEEZNS1_25segmented_radix_sort_implIS3_Lb1EPKdPdPKlPlN2at6native12_GLOBAL__N_18offset_tEEE10hipError_tPvRmT1_PNSt15iterator_traitsISK_E10value_typeET2_T3_PNSL_ISQ_E10value_typeET4_jRbjT5_SW_jjP12ihipStream_tbEUlT_E_NS1_11comp_targetILNS1_3genE8ELNS1_11target_archE1030ELNS1_3gpuE2ELNS1_3repE0EEENS1_30default_config_static_selectorELNS0_4arch9wavefront6targetE0EEEvSK_: ; @_ZN7rocprim17ROCPRIM_400000_NS6detail17trampoline_kernelINS0_14default_configENS1_36segmented_radix_sort_config_selectorIdlEEZNS1_25segmented_radix_sort_implIS3_Lb1EPKdPdPKlPlN2at6native12_GLOBAL__N_18offset_tEEE10hipError_tPvRmT1_PNSt15iterator_traitsISK_E10value_typeET2_T3_PNSL_ISQ_E10value_typeET4_jRbjT5_SW_jjP12ihipStream_tbEUlT_E_NS1_11comp_targetILNS1_3genE8ELNS1_11target_archE1030ELNS1_3gpuE2ELNS1_3repE0EEENS1_30default_config_static_selectorELNS0_4arch9wavefront6targetE0EEEvSK_
; %bb.0:
	.section	.rodata,"a",@progbits
	.p2align	6, 0x0
	.amdhsa_kernel _ZN7rocprim17ROCPRIM_400000_NS6detail17trampoline_kernelINS0_14default_configENS1_36segmented_radix_sort_config_selectorIdlEEZNS1_25segmented_radix_sort_implIS3_Lb1EPKdPdPKlPlN2at6native12_GLOBAL__N_18offset_tEEE10hipError_tPvRmT1_PNSt15iterator_traitsISK_E10value_typeET2_T3_PNSL_ISQ_E10value_typeET4_jRbjT5_SW_jjP12ihipStream_tbEUlT_E_NS1_11comp_targetILNS1_3genE8ELNS1_11target_archE1030ELNS1_3gpuE2ELNS1_3repE0EEENS1_30default_config_static_selectorELNS0_4arch9wavefront6targetE0EEEvSK_
		.amdhsa_group_segment_fixed_size 0
		.amdhsa_private_segment_fixed_size 0
		.amdhsa_kernarg_size 96
		.amdhsa_user_sgpr_count 2
		.amdhsa_user_sgpr_dispatch_ptr 0
		.amdhsa_user_sgpr_queue_ptr 0
		.amdhsa_user_sgpr_kernarg_segment_ptr 1
		.amdhsa_user_sgpr_dispatch_id 0
		.amdhsa_user_sgpr_kernarg_preload_length 0
		.amdhsa_user_sgpr_kernarg_preload_offset 0
		.amdhsa_user_sgpr_private_segment_size 0
		.amdhsa_wavefront_size32 1
		.amdhsa_uses_dynamic_stack 0
		.amdhsa_enable_private_segment 0
		.amdhsa_system_sgpr_workgroup_id_x 1
		.amdhsa_system_sgpr_workgroup_id_y 0
		.amdhsa_system_sgpr_workgroup_id_z 0
		.amdhsa_system_sgpr_workgroup_info 0
		.amdhsa_system_vgpr_workitem_id 0
		.amdhsa_next_free_vgpr 1
		.amdhsa_next_free_sgpr 1
		.amdhsa_named_barrier_count 0
		.amdhsa_reserve_vcc 0
		.amdhsa_float_round_mode_32 0
		.amdhsa_float_round_mode_16_64 0
		.amdhsa_float_denorm_mode_32 3
		.amdhsa_float_denorm_mode_16_64 3
		.amdhsa_fp16_overflow 0
		.amdhsa_memory_ordered 1
		.amdhsa_forward_progress 1
		.amdhsa_inst_pref_size 0
		.amdhsa_round_robin_scheduling 0
		.amdhsa_exception_fp_ieee_invalid_op 0
		.amdhsa_exception_fp_denorm_src 0
		.amdhsa_exception_fp_ieee_div_zero 0
		.amdhsa_exception_fp_ieee_overflow 0
		.amdhsa_exception_fp_ieee_underflow 0
		.amdhsa_exception_fp_ieee_inexact 0
		.amdhsa_exception_int_div_zero 0
	.end_amdhsa_kernel
	.section	.text._ZN7rocprim17ROCPRIM_400000_NS6detail17trampoline_kernelINS0_14default_configENS1_36segmented_radix_sort_config_selectorIdlEEZNS1_25segmented_radix_sort_implIS3_Lb1EPKdPdPKlPlN2at6native12_GLOBAL__N_18offset_tEEE10hipError_tPvRmT1_PNSt15iterator_traitsISK_E10value_typeET2_T3_PNSL_ISQ_E10value_typeET4_jRbjT5_SW_jjP12ihipStream_tbEUlT_E_NS1_11comp_targetILNS1_3genE8ELNS1_11target_archE1030ELNS1_3gpuE2ELNS1_3repE0EEENS1_30default_config_static_selectorELNS0_4arch9wavefront6targetE0EEEvSK_,"axG",@progbits,_ZN7rocprim17ROCPRIM_400000_NS6detail17trampoline_kernelINS0_14default_configENS1_36segmented_radix_sort_config_selectorIdlEEZNS1_25segmented_radix_sort_implIS3_Lb1EPKdPdPKlPlN2at6native12_GLOBAL__N_18offset_tEEE10hipError_tPvRmT1_PNSt15iterator_traitsISK_E10value_typeET2_T3_PNSL_ISQ_E10value_typeET4_jRbjT5_SW_jjP12ihipStream_tbEUlT_E_NS1_11comp_targetILNS1_3genE8ELNS1_11target_archE1030ELNS1_3gpuE2ELNS1_3repE0EEENS1_30default_config_static_selectorELNS0_4arch9wavefront6targetE0EEEvSK_,comdat
.Lfunc_end1121:
	.size	_ZN7rocprim17ROCPRIM_400000_NS6detail17trampoline_kernelINS0_14default_configENS1_36segmented_radix_sort_config_selectorIdlEEZNS1_25segmented_radix_sort_implIS3_Lb1EPKdPdPKlPlN2at6native12_GLOBAL__N_18offset_tEEE10hipError_tPvRmT1_PNSt15iterator_traitsISK_E10value_typeET2_T3_PNSL_ISQ_E10value_typeET4_jRbjT5_SW_jjP12ihipStream_tbEUlT_E_NS1_11comp_targetILNS1_3genE8ELNS1_11target_archE1030ELNS1_3gpuE2ELNS1_3repE0EEENS1_30default_config_static_selectorELNS0_4arch9wavefront6targetE0EEEvSK_, .Lfunc_end1121-_ZN7rocprim17ROCPRIM_400000_NS6detail17trampoline_kernelINS0_14default_configENS1_36segmented_radix_sort_config_selectorIdlEEZNS1_25segmented_radix_sort_implIS3_Lb1EPKdPdPKlPlN2at6native12_GLOBAL__N_18offset_tEEE10hipError_tPvRmT1_PNSt15iterator_traitsISK_E10value_typeET2_T3_PNSL_ISQ_E10value_typeET4_jRbjT5_SW_jjP12ihipStream_tbEUlT_E_NS1_11comp_targetILNS1_3genE8ELNS1_11target_archE1030ELNS1_3gpuE2ELNS1_3repE0EEENS1_30default_config_static_selectorELNS0_4arch9wavefront6targetE0EEEvSK_
                                        ; -- End function
	.set _ZN7rocprim17ROCPRIM_400000_NS6detail17trampoline_kernelINS0_14default_configENS1_36segmented_radix_sort_config_selectorIdlEEZNS1_25segmented_radix_sort_implIS3_Lb1EPKdPdPKlPlN2at6native12_GLOBAL__N_18offset_tEEE10hipError_tPvRmT1_PNSt15iterator_traitsISK_E10value_typeET2_T3_PNSL_ISQ_E10value_typeET4_jRbjT5_SW_jjP12ihipStream_tbEUlT_E_NS1_11comp_targetILNS1_3genE8ELNS1_11target_archE1030ELNS1_3gpuE2ELNS1_3repE0EEENS1_30default_config_static_selectorELNS0_4arch9wavefront6targetE0EEEvSK_.num_vgpr, 0
	.set _ZN7rocprim17ROCPRIM_400000_NS6detail17trampoline_kernelINS0_14default_configENS1_36segmented_radix_sort_config_selectorIdlEEZNS1_25segmented_radix_sort_implIS3_Lb1EPKdPdPKlPlN2at6native12_GLOBAL__N_18offset_tEEE10hipError_tPvRmT1_PNSt15iterator_traitsISK_E10value_typeET2_T3_PNSL_ISQ_E10value_typeET4_jRbjT5_SW_jjP12ihipStream_tbEUlT_E_NS1_11comp_targetILNS1_3genE8ELNS1_11target_archE1030ELNS1_3gpuE2ELNS1_3repE0EEENS1_30default_config_static_selectorELNS0_4arch9wavefront6targetE0EEEvSK_.num_agpr, 0
	.set _ZN7rocprim17ROCPRIM_400000_NS6detail17trampoline_kernelINS0_14default_configENS1_36segmented_radix_sort_config_selectorIdlEEZNS1_25segmented_radix_sort_implIS3_Lb1EPKdPdPKlPlN2at6native12_GLOBAL__N_18offset_tEEE10hipError_tPvRmT1_PNSt15iterator_traitsISK_E10value_typeET2_T3_PNSL_ISQ_E10value_typeET4_jRbjT5_SW_jjP12ihipStream_tbEUlT_E_NS1_11comp_targetILNS1_3genE8ELNS1_11target_archE1030ELNS1_3gpuE2ELNS1_3repE0EEENS1_30default_config_static_selectorELNS0_4arch9wavefront6targetE0EEEvSK_.numbered_sgpr, 0
	.set _ZN7rocprim17ROCPRIM_400000_NS6detail17trampoline_kernelINS0_14default_configENS1_36segmented_radix_sort_config_selectorIdlEEZNS1_25segmented_radix_sort_implIS3_Lb1EPKdPdPKlPlN2at6native12_GLOBAL__N_18offset_tEEE10hipError_tPvRmT1_PNSt15iterator_traitsISK_E10value_typeET2_T3_PNSL_ISQ_E10value_typeET4_jRbjT5_SW_jjP12ihipStream_tbEUlT_E_NS1_11comp_targetILNS1_3genE8ELNS1_11target_archE1030ELNS1_3gpuE2ELNS1_3repE0EEENS1_30default_config_static_selectorELNS0_4arch9wavefront6targetE0EEEvSK_.num_named_barrier, 0
	.set _ZN7rocprim17ROCPRIM_400000_NS6detail17trampoline_kernelINS0_14default_configENS1_36segmented_radix_sort_config_selectorIdlEEZNS1_25segmented_radix_sort_implIS3_Lb1EPKdPdPKlPlN2at6native12_GLOBAL__N_18offset_tEEE10hipError_tPvRmT1_PNSt15iterator_traitsISK_E10value_typeET2_T3_PNSL_ISQ_E10value_typeET4_jRbjT5_SW_jjP12ihipStream_tbEUlT_E_NS1_11comp_targetILNS1_3genE8ELNS1_11target_archE1030ELNS1_3gpuE2ELNS1_3repE0EEENS1_30default_config_static_selectorELNS0_4arch9wavefront6targetE0EEEvSK_.private_seg_size, 0
	.set _ZN7rocprim17ROCPRIM_400000_NS6detail17trampoline_kernelINS0_14default_configENS1_36segmented_radix_sort_config_selectorIdlEEZNS1_25segmented_radix_sort_implIS3_Lb1EPKdPdPKlPlN2at6native12_GLOBAL__N_18offset_tEEE10hipError_tPvRmT1_PNSt15iterator_traitsISK_E10value_typeET2_T3_PNSL_ISQ_E10value_typeET4_jRbjT5_SW_jjP12ihipStream_tbEUlT_E_NS1_11comp_targetILNS1_3genE8ELNS1_11target_archE1030ELNS1_3gpuE2ELNS1_3repE0EEENS1_30default_config_static_selectorELNS0_4arch9wavefront6targetE0EEEvSK_.uses_vcc, 0
	.set _ZN7rocprim17ROCPRIM_400000_NS6detail17trampoline_kernelINS0_14default_configENS1_36segmented_radix_sort_config_selectorIdlEEZNS1_25segmented_radix_sort_implIS3_Lb1EPKdPdPKlPlN2at6native12_GLOBAL__N_18offset_tEEE10hipError_tPvRmT1_PNSt15iterator_traitsISK_E10value_typeET2_T3_PNSL_ISQ_E10value_typeET4_jRbjT5_SW_jjP12ihipStream_tbEUlT_E_NS1_11comp_targetILNS1_3genE8ELNS1_11target_archE1030ELNS1_3gpuE2ELNS1_3repE0EEENS1_30default_config_static_selectorELNS0_4arch9wavefront6targetE0EEEvSK_.uses_flat_scratch, 0
	.set _ZN7rocprim17ROCPRIM_400000_NS6detail17trampoline_kernelINS0_14default_configENS1_36segmented_radix_sort_config_selectorIdlEEZNS1_25segmented_radix_sort_implIS3_Lb1EPKdPdPKlPlN2at6native12_GLOBAL__N_18offset_tEEE10hipError_tPvRmT1_PNSt15iterator_traitsISK_E10value_typeET2_T3_PNSL_ISQ_E10value_typeET4_jRbjT5_SW_jjP12ihipStream_tbEUlT_E_NS1_11comp_targetILNS1_3genE8ELNS1_11target_archE1030ELNS1_3gpuE2ELNS1_3repE0EEENS1_30default_config_static_selectorELNS0_4arch9wavefront6targetE0EEEvSK_.has_dyn_sized_stack, 0
	.set _ZN7rocprim17ROCPRIM_400000_NS6detail17trampoline_kernelINS0_14default_configENS1_36segmented_radix_sort_config_selectorIdlEEZNS1_25segmented_radix_sort_implIS3_Lb1EPKdPdPKlPlN2at6native12_GLOBAL__N_18offset_tEEE10hipError_tPvRmT1_PNSt15iterator_traitsISK_E10value_typeET2_T3_PNSL_ISQ_E10value_typeET4_jRbjT5_SW_jjP12ihipStream_tbEUlT_E_NS1_11comp_targetILNS1_3genE8ELNS1_11target_archE1030ELNS1_3gpuE2ELNS1_3repE0EEENS1_30default_config_static_selectorELNS0_4arch9wavefront6targetE0EEEvSK_.has_recursion, 0
	.set _ZN7rocprim17ROCPRIM_400000_NS6detail17trampoline_kernelINS0_14default_configENS1_36segmented_radix_sort_config_selectorIdlEEZNS1_25segmented_radix_sort_implIS3_Lb1EPKdPdPKlPlN2at6native12_GLOBAL__N_18offset_tEEE10hipError_tPvRmT1_PNSt15iterator_traitsISK_E10value_typeET2_T3_PNSL_ISQ_E10value_typeET4_jRbjT5_SW_jjP12ihipStream_tbEUlT_E_NS1_11comp_targetILNS1_3genE8ELNS1_11target_archE1030ELNS1_3gpuE2ELNS1_3repE0EEENS1_30default_config_static_selectorELNS0_4arch9wavefront6targetE0EEEvSK_.has_indirect_call, 0
	.section	.AMDGPU.csdata,"",@progbits
; Kernel info:
; codeLenInByte = 0
; TotalNumSgprs: 0
; NumVgprs: 0
; ScratchSize: 0
; MemoryBound: 0
; FloatMode: 240
; IeeeMode: 1
; LDSByteSize: 0 bytes/workgroup (compile time only)
; SGPRBlocks: 0
; VGPRBlocks: 0
; NumSGPRsForWavesPerEU: 1
; NumVGPRsForWavesPerEU: 1
; NamedBarCnt: 0
; Occupancy: 16
; WaveLimiterHint : 0
; COMPUTE_PGM_RSRC2:SCRATCH_EN: 0
; COMPUTE_PGM_RSRC2:USER_SGPR: 2
; COMPUTE_PGM_RSRC2:TRAP_HANDLER: 0
; COMPUTE_PGM_RSRC2:TGID_X_EN: 1
; COMPUTE_PGM_RSRC2:TGID_Y_EN: 0
; COMPUTE_PGM_RSRC2:TGID_Z_EN: 0
; COMPUTE_PGM_RSRC2:TIDIG_COMP_CNT: 0
	.text
	.p2align	2                               ; -- Begin function _ZN7rocprim17ROCPRIM_400000_NS6detail26segmented_warp_sort_helperINS1_20WarpSortHelperConfigILj16ELj8ELj256EEEdlLi256ELb1EvE4sortIPKdPdPKlPlEEvT_T0_T1_T2_jjjjRNS5_12storage_typeE
	.type	_ZN7rocprim17ROCPRIM_400000_NS6detail26segmented_warp_sort_helperINS1_20WarpSortHelperConfigILj16ELj8ELj256EEEdlLi256ELb1EvE4sortIPKdPdPKlPlEEvT_T0_T1_T2_jjjjRNS5_12storage_typeE,@function
_ZN7rocprim17ROCPRIM_400000_NS6detail26segmented_warp_sort_helperINS1_20WarpSortHelperConfigILj16ELj8ELj256EEEdlLi256ELb1EvE4sortIPKdPdPKlPlEEvT_T0_T1_T2_jjjjRNS5_12storage_typeE: ; @_ZN7rocprim17ROCPRIM_400000_NS6detail26segmented_warp_sort_helperINS1_20WarpSortHelperConfigILj16ELj8ELj256EEEdlLi256ELb1EvE4sortIPKdPdPKlPlEEvT_T0_T1_T2_jjjjRNS5_12storage_typeE
; %bb.0:
	s_wait_loadcnt_dscnt 0x0
	s_wait_kmcnt 0x0
	v_mov_b32_e32 v10, v9
	v_mbcnt_lo_u32_b32 v9, -1, 0
	v_mov_b64_e32 v[28:29], -1
	v_mov_b64_e32 v[18:19], -1
	s_delay_alu instid0(VALU_DEP_3) | instskip(NEXT) | instid1(VALU_DEP_1)
	v_dual_lshlrev_b32 v81, 3, v9 :: v_dual_sub_nc_u32 v12, v10, v8
	v_and_b32_e32 v80, 0x78, v81
	v_mov_b32_e32 v9, 0
	s_delay_alu instid0(VALU_DEP_2) | instskip(NEXT) | instid1(VALU_DEP_2)
	v_cmp_lt_u32_e32 vcc_lo, v80, v12
	v_lshl_add_u64 v[14:15], v[8:9], 3, v[0:1]
	v_dual_mov_b32 v1, v9 :: v_dual_lshlrev_b32 v0, 3, v80
	s_delay_alu instid0(VALU_DEP_1)
	v_add_nc_u64_e32 v[10:11], v[14:15], v[0:1]
	s_and_saveexec_b32 s0, vcc_lo
	s_cbranch_execz .LBB1122_2
; %bb.1:
	flat_load_b64 v[18:19], v[10:11]
.LBB1122_2:
	s_wait_xcnt 0x0
	s_or_b32 exec_lo, exec_lo, s0
	v_or_b32_e32 v1, 1, v80
	s_delay_alu instid0(VALU_DEP_1)
	v_cmp_lt_u32_e64 s0, v1, v12
	s_and_saveexec_b32 s1, s0
	s_cbranch_execz .LBB1122_4
; %bb.3:
	flat_load_b64 v[28:29], v[10:11] offset:8
.LBB1122_4:
	s_wait_xcnt 0x0
	s_or_b32 exec_lo, exec_lo, s1
	v_or_b32_e32 v1, 2, v80
	v_mov_b64_e32 v[48:49], -1
	v_mov_b64_e32 v[32:33], -1
	s_delay_alu instid0(VALU_DEP_3)
	v_cmp_lt_u32_e64 s1, v1, v12
	s_and_saveexec_b32 s2, s1
	s_cbranch_execz .LBB1122_6
; %bb.5:
	flat_load_b64 v[32:33], v[10:11] offset:16
.LBB1122_6:
	s_wait_xcnt 0x0
	s_or_b32 exec_lo, exec_lo, s2
	v_or_b32_e32 v1, 3, v80
	s_delay_alu instid0(VALU_DEP_1)
	v_cmp_lt_u32_e64 s2, v1, v12
	s_and_saveexec_b32 s3, s2
	s_cbranch_execz .LBB1122_8
; %bb.7:
	flat_load_b64 v[48:49], v[10:11] offset:24
.LBB1122_8:
	s_wait_xcnt 0x0
	s_or_b32 exec_lo, exec_lo, s3
	v_or_b32_e32 v1, 4, v80
	v_mov_b64_e32 v[26:27], -1
	v_mov_b64_e32 v[34:35], -1
	s_delay_alu instid0(VALU_DEP_3)
	v_cmp_lt_u32_e64 s3, v1, v12
	s_and_saveexec_b32 s4, s3
	s_cbranch_execz .LBB1122_10
; %bb.9:
	flat_load_b64 v[34:35], v[10:11] offset:32
.LBB1122_10:
	;; [unrolled: 22-line block ×3, first 2 shown]
	s_wait_xcnt 0x0
	s_or_b32 exec_lo, exec_lo, s6
	v_or_b32_e32 v1, 7, v80
	s_delay_alu instid0(VALU_DEP_1)
	v_cmp_lt_u32_e64 s6, v1, v12
	s_and_saveexec_b32 s7, s6
	s_cbranch_execz .LBB1122_16
; %bb.15:
	flat_load_b64 v[20:21], v[10:11] offset:56
.LBB1122_16:
	s_wait_xcnt 0x0
	s_or_b32 exec_lo, exec_lo, s7
	v_lshl_add_u64 v[4:5], v[8:9], 3, v[4:5]
	v_mov_b32_e32 v1, 0
	; wave barrier
	s_delay_alu instid0(VALU_DEP_1)
	v_add_nc_u64_e32 v[50:51], v[4:5], v[0:1]
                                        ; implicit-def: $vgpr4_vgpr5
	s_and_saveexec_b32 s7, vcc_lo
	s_cbranch_execnz .LBB1122_261
; %bb.17:
	s_or_b32 exec_lo, exec_lo, s7
	s_and_saveexec_b32 s7, s0
                                        ; implicit-def: $vgpr10_vgpr11
	s_cbranch_execnz .LBB1122_262
.LBB1122_18:
	s_or_b32 exec_lo, exec_lo, s7
                                        ; implicit-def: $vgpr12_vgpr13
	s_and_saveexec_b32 s7, s1
	s_cbranch_execnz .LBB1122_263
.LBB1122_19:
	s_or_b32 exec_lo, exec_lo, s7
	s_and_saveexec_b32 s7, s2
                                        ; implicit-def: $vgpr14_vgpr15
	s_cbranch_execnz .LBB1122_264
.LBB1122_20:
	s_or_b32 exec_lo, exec_lo, s7
                                        ; implicit-def: $vgpr16_vgpr17
	s_and_saveexec_b32 s7, s3
	s_cbranch_execnz .LBB1122_265
.LBB1122_21:
	s_or_b32 exec_lo, exec_lo, s7
	s_and_saveexec_b32 s7, s4
                                        ; implicit-def: $vgpr24_vgpr25
	s_cbranch_execnz .LBB1122_266
.LBB1122_22:
	s_or_b32 exec_lo, exec_lo, s7
                                        ; implicit-def: $vgpr22_vgpr23
	s_and_saveexec_b32 s7, s5
	s_cbranch_execnz .LBB1122_267
.LBB1122_23:
	s_or_b32 exec_lo, exec_lo, s7
	s_and_saveexec_b32 s7, s6
                                        ; implicit-def: $vgpr36_vgpr37
	s_cbranch_execz .LBB1122_25
.LBB1122_24:
	flat_load_b64 v[36:37], v[50:51] offset:56
.LBB1122_25:
	s_wait_xcnt 0x0
	s_or_b32 exec_lo, exec_lo, s7
	; wave barrier
	s_load_b64 s[10:11], s[8:9], 0x0
	s_bfe_u32 s12, ttmp6, 0x4000c
	s_bfe_u32 s14, ttmp6, 0x40010
	s_and_b32 s13, ttmp7, 0xffff
	s_add_co_i32 s12, s12, 1
	s_add_co_i32 s14, s14, 1
	s_and_b32 s7, ttmp6, 15
	s_bfe_u32 s15, ttmp6, 0x40004
	s_mul_i32 s12, ttmp9, s12
	s_mul_i32 s14, s13, s14
	s_getreg_b32 s16, hwreg(HW_REG_IB_STS2, 6, 4)
	s_add_co_i32 s7, s7, s12
	s_add_co_i32 s15, s15, s14
	s_cmp_eq_u32 s16, 0
	v_bfe_u32 v1, v31, 10, 10
	s_cselect_b32 s7, ttmp9, s7
	s_cselect_b32 s12, s13, s15
	v_bfe_u32 v30, v31, 20, 10
	s_wait_kmcnt 0x0
	s_cmp_lt_u32 s7, s10
	s_cselect_b32 s10, 12, 18
	s_cmp_lt_u32 s12, s11
	s_mov_b32 s11, 0
	s_cselect_b32 s12, 14, 20
	s_mov_b32 s13, s11
	s_delay_alu instid0(SALU_CYCLE_1)
	s_add_nc_u64 s[12:13], s[8:9], s[12:13]
	s_add_nc_u64 s[8:9], s[8:9], s[10:11]
	s_clause 0x1
	s_load_u16 s7, s[12:13], 0x0
	s_nop 0
	s_load_u16 s8, s[8:9], 0x0
	s_wait_kmcnt 0x0
	v_mad_u32_u24 v1, v30, s7, v1
	v_and_b32_e32 v30, 0x3ff, v31
	s_delay_alu instid0(VALU_DEP_2) | instskip(SKIP_1) | instid1(VALU_DEP_1)
	v_mul_lo_u32 v1, v1, s8
	s_mov_b32 s8, exec_lo
	v_add_lshl_u32 v1, v1, v30, 3
	s_delay_alu instid0(VALU_DEP_1)
	v_cmpx_gt_u32_e32 0x800, v1
	s_cbranch_execz .LBB1122_83
; %bb.26:
	s_wait_loadcnt_dscnt 0x0
	v_add_f64_e32 v[50:51], 0, v[18:19]
	s_delay_alu instid0(VALU_DEP_1) | instskip(NEXT) | instid1(VALU_DEP_1)
	v_dual_add_f64 v[30:31], 0, v[28:29] :: v_dual_ashrrev_i32 v53, 31, v51
	v_ashrrev_i32_e32 v52, 31, v31
	s_delay_alu instid0(VALU_DEP_2) | instskip(NEXT) | instid1(VALU_DEP_2)
	v_or_b32_e32 v55, 0x80000000, v53
	v_or_b32_e32 v54, 0x80000000, v52
	v_xor_b32_e32 v50, v53, v50
	s_delay_alu instid0(VALU_DEP_3) | instskip(NEXT) | instid1(VALU_DEP_3)
	v_xor_b32_e32 v51, v55, v51
	v_xor_b32_e32 v31, v54, v31
	;; [unrolled: 1-line block ×3, first 2 shown]
	s_delay_alu instid0(VALU_DEP_1)
	v_cmp_gt_u64_e64 s7, v[30:31], v[50:51]
	v_mov_b64_e32 v[30:31], v[28:29]
	v_mov_b64_e32 v[50:51], v[10:11]
	s_and_saveexec_b32 s9, s7
; %bb.27:
	v_mov_b64_e32 v[30:31], v[18:19]
	v_mov_b64_e32 v[18:19], v[28:29]
	v_mov_b64_e32 v[50:51], v[4:5]
	v_mov_b64_e32 v[4:5], v[10:11]
; %bb.28:
	s_or_b32 exec_lo, exec_lo, s9
	v_add_f64_e32 v[10:11], 0, v[48:49]
	s_delay_alu instid0(VALU_DEP_1) | instskip(NEXT) | instid1(VALU_DEP_1)
	v_dual_add_f64 v[28:29], 0, v[32:33] :: v_dual_ashrrev_i32 v52, 31, v11
	v_dual_ashrrev_i32 v53, 31, v29 :: v_dual_bitop2_b32 v10, v52, v10 bitop3:0x14
	v_or_b32_e32 v54, 0x80000000, v52
	s_delay_alu instid0(VALU_DEP_2) | instskip(NEXT) | instid1(VALU_DEP_4)
	v_or_b32_e32 v55, 0x80000000, v53
	v_xor_b32_e32 v28, v53, v28
	s_delay_alu instid0(VALU_DEP_3) | instskip(NEXT) | instid1(VALU_DEP_3)
	v_xor_b32_e32 v11, v54, v11
	v_xor_b32_e32 v29, v55, v29
	v_mov_b64_e32 v[54:55], v[48:49]
	s_delay_alu instid0(VALU_DEP_2)
	v_cmp_gt_u64_e64 s7, v[10:11], v[28:29]
	v_mov_b64_e32 v[28:29], v[14:15]
	s_and_saveexec_b32 s9, s7
; %bb.29:
	v_mov_b64_e32 v[54:55], v[32:33]
	v_mov_b64_e32 v[32:33], v[48:49]
	;; [unrolled: 1-line block ×4, first 2 shown]
; %bb.30:
	s_or_b32 exec_lo, exec_lo, s9
	v_add_f64_e32 v[10:11], 0, v[26:27]
	v_add_f64_e32 v[14:15], 0, v[34:35]
	s_delay_alu instid0(VALU_DEP_2) | instskip(NEXT) | instid1(VALU_DEP_1)
	v_ashrrev_i32_e32 v48, 31, v11
	v_or_b32_e32 v52, 0x80000000, v48
	s_delay_alu instid0(VALU_DEP_1) | instskip(NEXT) | instid1(VALU_DEP_4)
	v_xor_b32_e32 v11, v52, v11
	v_dual_ashrrev_i32 v49, 31, v15 :: v_dual_bitop2_b32 v10, v48, v10 bitop3:0x14
	s_delay_alu instid0(VALU_DEP_1) | instskip(SKIP_1) | instid1(VALU_DEP_2)
	v_or_b32_e32 v53, 0x80000000, v49
	v_xor_b32_e32 v14, v49, v14
	v_xor_b32_e32 v15, v53, v15
	v_mov_b64_e32 v[52:53], v[34:35]
	s_delay_alu instid0(VALU_DEP_2)
	v_cmp_gt_u64_e64 s7, v[10:11], v[14:15]
	v_mov_b64_e32 v[14:15], v[24:25]
	s_and_saveexec_b32 s9, s7
; %bb.31:
	v_mov_b64_e32 v[14:15], v[16:17]
	v_mov_b64_e32 v[16:17], v[24:25]
	;; [unrolled: 1-line block ×4, first 2 shown]
; %bb.32:
	s_or_b32 exec_lo, exec_lo, s9
	v_add_f64_e32 v[10:11], 0, v[20:21]
	v_add_f64_e32 v[24:25], 0, v[38:39]
	s_delay_alu instid0(VALU_DEP_1) | instskip(NEXT) | instid1(VALU_DEP_1)
	v_dual_ashrrev_i32 v34, 31, v11 :: v_dual_ashrrev_i32 v35, 31, v25
	v_or_b32_e32 v48, 0x80000000, v34
	s_delay_alu instid0(VALU_DEP_2)
	v_or_b32_e32 v49, 0x80000000, v35
	v_xor_b32_e32 v10, v34, v10
	v_xor_b32_e32 v24, v35, v24
	v_mov_b64_e32 v[34:35], v[38:39]
	v_xor_b32_e32 v11, v48, v11
	v_xor_b32_e32 v25, v49, v25
	s_delay_alu instid0(VALU_DEP_1)
	v_cmp_gt_u64_e64 s7, v[10:11], v[24:25]
	v_mov_b64_e32 v[10:11], v[36:37]
	s_and_saveexec_b32 s9, s7
; %bb.33:
	v_mov_b64_e32 v[10:11], v[22:23]
	v_mov_b64_e32 v[22:23], v[36:37]
	;; [unrolled: 1-line block ×4, first 2 shown]
; %bb.34:
	s_or_b32 exec_lo, exec_lo, s9
	v_add_f64_e32 v[24:25], 0, v[32:33]
	s_delay_alu instid0(VALU_DEP_1) | instskip(NEXT) | instid1(VALU_DEP_1)
	v_dual_add_f64 v[36:37], 0, v[30:31] :: v_dual_ashrrev_i32 v38, 31, v25
	v_dual_ashrrev_i32 v39, 31, v37 :: v_dual_bitop2_b32 v24, v38, v24 bitop3:0x14
	v_or_b32_e32 v48, 0x80000000, v38
	s_delay_alu instid0(VALU_DEP_2) | instskip(NEXT) | instid1(VALU_DEP_4)
	v_or_b32_e32 v49, 0x80000000, v39
	v_xor_b32_e32 v36, v39, v36
	s_delay_alu instid0(VALU_DEP_3) | instskip(NEXT) | instid1(VALU_DEP_3)
	v_xor_b32_e32 v25, v48, v25
	v_xor_b32_e32 v37, v49, v37
	s_delay_alu instid0(VALU_DEP_1) | instskip(SKIP_3) | instid1(SALU_CYCLE_1)
	v_cmp_gt_u64_e64 s7, v[24:25], v[36:37]
	v_mov_b64_e32 v[24:25], v[32:33]
	v_mov_b64_e32 v[36:37], v[12:13]
	s_and_saveexec_b32 s9, s7
	s_xor_b32 s7, exec_lo, s9
; %bb.35:
	v_mov_b64_e32 v[24:25], v[30:31]
	v_mov_b64_e32 v[30:31], v[32:33]
	;; [unrolled: 1-line block ×4, first 2 shown]
; %bb.36:
	s_or_b32 exec_lo, exec_lo, s7
	v_add_f64_e32 v[12:13], 0, v[52:53]
	s_delay_alu instid0(VALU_DEP_1) | instskip(NEXT) | instid1(VALU_DEP_1)
	v_dual_add_f64 v[32:33], 0, v[54:55] :: v_dual_ashrrev_i32 v38, 31, v13
	v_dual_ashrrev_i32 v39, 31, v33 :: v_dual_bitop2_b32 v12, v38, v12 bitop3:0x14
	v_or_b32_e32 v48, 0x80000000, v38
	s_delay_alu instid0(VALU_DEP_2) | instskip(NEXT) | instid1(VALU_DEP_4)
	v_or_b32_e32 v49, 0x80000000, v39
	v_xor_b32_e32 v32, v39, v32
	s_delay_alu instid0(VALU_DEP_3) | instskip(NEXT) | instid1(VALU_DEP_3)
	v_xor_b32_e32 v13, v48, v13
	v_xor_b32_e32 v33, v49, v33
	s_delay_alu instid0(VALU_DEP_1)
	v_cmp_gt_u64_e64 s7, v[12:13], v[32:33]
	v_mov_b64_e32 v[12:13], v[54:55]
	v_mov_b64_e32 v[32:33], v[16:17]
	s_and_saveexec_b32 s9, s7
; %bb.37:
	v_mov_b64_e32 v[12:13], v[52:53]
	v_mov_b64_e32 v[32:33], v[28:29]
	;; [unrolled: 1-line block ×4, first 2 shown]
; %bb.38:
	s_or_b32 exec_lo, exec_lo, s9
	v_add_f64_e32 v[16:17], 0, v[34:35]
	s_delay_alu instid0(VALU_DEP_1) | instskip(NEXT) | instid1(VALU_DEP_1)
	v_dual_add_f64 v[38:39], 0, v[26:27] :: v_dual_ashrrev_i32 v48, 31, v17
	v_dual_ashrrev_i32 v49, 31, v39 :: v_dual_bitop2_b32 v16, v48, v16 bitop3:0x14
	v_or_b32_e32 v54, 0x80000000, v48
	s_delay_alu instid0(VALU_DEP_2) | instskip(NEXT) | instid1(VALU_DEP_4)
	v_or_b32_e32 v55, 0x80000000, v49
	v_xor_b32_e32 v38, v49, v38
	s_delay_alu instid0(VALU_DEP_3) | instskip(NEXT) | instid1(VALU_DEP_3)
	v_xor_b32_e32 v17, v54, v17
	v_xor_b32_e32 v39, v55, v39
	s_delay_alu instid0(VALU_DEP_1)
	v_cmp_gt_u64_e64 s7, v[16:17], v[38:39]
	v_mov_b64_e32 v[16:17], v[22:23]
	v_mov_b64_e32 v[38:39], v[26:27]
	s_and_saveexec_b32 s9, s7
; %bb.39:
	v_mov_b64_e32 v[16:17], v[14:15]
	v_mov_b64_e32 v[14:15], v[22:23]
	v_mov_b64_e32 v[38:39], v[34:35]
	v_mov_b64_e32 v[34:35], v[26:27]
; %bb.40:
	s_or_b32 exec_lo, exec_lo, s9
	v_add_f64_e32 v[22:23], 0, v[30:31]
	v_add_f64_e32 v[26:27], 0, v[18:19]
	s_delay_alu instid0(VALU_DEP_2) | instskip(NEXT) | instid1(VALU_DEP_1)
	v_ashrrev_i32_e32 v48, 31, v23
	v_or_b32_e32 v54, 0x80000000, v48
	s_delay_alu instid0(VALU_DEP_1) | instskip(NEXT) | instid1(VALU_DEP_4)
	v_xor_b32_e32 v23, v54, v23
	v_dual_ashrrev_i32 v49, 31, v27 :: v_dual_bitop2_b32 v22, v48, v22 bitop3:0x14
	s_delay_alu instid0(VALU_DEP_1) | instskip(SKIP_2) | instid1(VALU_DEP_3)
	v_or_b32_e32 v55, 0x80000000, v49
	v_xor_b32_e32 v26, v49, v26
	v_mov_b64_e32 v[48:49], v[50:51]
	v_xor_b32_e32 v27, v55, v27
	s_delay_alu instid0(VALU_DEP_1)
	v_cmp_gt_u64_e64 s7, v[22:23], v[26:27]
	v_mov_b64_e32 v[22:23], v[30:31]
	s_and_saveexec_b32 s9, s7
; %bb.41:
	v_mov_b64_e32 v[22:23], v[18:19]
	v_mov_b64_e32 v[18:19], v[30:31]
	;; [unrolled: 1-line block ×4, first 2 shown]
; %bb.42:
	s_or_b32 exec_lo, exec_lo, s9
	v_add_f64_e32 v[30:31], 0, v[24:25]
	v_add_f64_e32 v[26:27], 0, v[12:13]
	v_mov_b64_e32 v[64:65], v[12:13]
	s_delay_alu instid0(VALU_DEP_3) | instskip(NEXT) | instid1(VALU_DEP_3)
	v_ashrrev_i32_e32 v51, 31, v31
	v_ashrrev_i32_e32 v50, 31, v27
	s_delay_alu instid0(VALU_DEP_2) | instskip(NEXT) | instid1(VALU_DEP_2)
	v_or_b32_e32 v55, 0x80000000, v51
	v_or_b32_e32 v54, 0x80000000, v50
	v_xor_b32_e32 v26, v50, v26
	v_xor_b32_e32 v30, v51, v30
	s_delay_alu instid0(VALU_DEP_4) | instskip(NEXT) | instid1(VALU_DEP_4)
	v_xor_b32_e32 v31, v55, v31
	v_xor_b32_e32 v27, v54, v27
	s_delay_alu instid0(VALU_DEP_1)
	v_cmp_gt_u64_e64 s7, v[26:27], v[30:31]
	v_mov_b64_e32 v[30:31], v[28:29]
	s_and_saveexec_b32 s9, s7
; %bb.43:
	v_mov_b64_e32 v[64:65], v[24:25]
	v_mov_b64_e32 v[24:25], v[12:13]
	v_mov_b64_e32 v[30:31], v[36:37]
	v_mov_b64_e32 v[36:37], v[28:29]
; %bb.44:
	s_or_b32 exec_lo, exec_lo, s9
	v_add_f64_e32 v[12:13], 0, v[38:39]
	v_add_f64_e32 v[26:27], 0, v[52:53]
	v_mov_b64_e32 v[54:55], v[52:53]
	s_delay_alu instid0(VALU_DEP_2) | instskip(NEXT) | instid1(VALU_DEP_1)
	v_dual_ashrrev_i32 v28, 31, v13 :: v_dual_ashrrev_i32 v29, 31, v27
	v_or_b32_e32 v50, 0x80000000, v28
	s_delay_alu instid0(VALU_DEP_2) | instskip(SKIP_2) | instid1(VALU_DEP_4)
	v_or_b32_e32 v51, 0x80000000, v29
	v_xor_b32_e32 v12, v28, v12
	v_xor_b32_e32 v26, v29, v26
	;; [unrolled: 1-line block ×3, first 2 shown]
	s_delay_alu instid0(VALU_DEP_4) | instskip(NEXT) | instid1(VALU_DEP_1)
	v_xor_b32_e32 v27, v51, v27
	v_cmp_gt_u64_e64 s7, v[12:13], v[26:27]
	v_mov_b64_e32 v[26:27], v[14:15]
	s_and_saveexec_b32 s9, s7
; %bb.45:
	v_mov_b64_e32 v[26:27], v[32:33]
	v_mov_b64_e32 v[32:33], v[14:15]
	;; [unrolled: 1-line block ×4, first 2 shown]
; %bb.46:
	s_or_b32 exec_lo, exec_lo, s9
	v_add_f64_e32 v[14:15], 0, v[34:35]
	s_delay_alu instid0(VALU_DEP_1) | instskip(NEXT) | instid1(VALU_DEP_1)
	v_dual_add_f64 v[12:13], 0, v[20:21] :: v_dual_ashrrev_i32 v29, 31, v15
	v_ashrrev_i32_e32 v28, 31, v13
	s_delay_alu instid0(VALU_DEP_2) | instskip(NEXT) | instid1(VALU_DEP_2)
	v_or_b32_e32 v51, 0x80000000, v29
	v_or_b32_e32 v50, 0x80000000, v28
	s_delay_alu instid0(VALU_DEP_4) | instskip(SKIP_1) | instid1(VALU_DEP_4)
	v_xor_b32_e32 v12, v28, v12
	v_xor_b32_e32 v14, v29, v14
	;; [unrolled: 1-line block ×3, first 2 shown]
	s_delay_alu instid0(VALU_DEP_4) | instskip(SKIP_1) | instid1(VALU_DEP_2)
	v_xor_b32_e32 v13, v50, v13
	v_mov_b64_e32 v[50:51], v[34:35]
	v_cmp_gt_u64_e64 s7, v[12:13], v[14:15]
	v_mov_b64_e32 v[12:13], v[10:11]
	s_and_saveexec_b32 s9, s7
; %bb.47:
	v_mov_b64_e32 v[12:13], v[16:17]
	v_mov_b64_e32 v[16:17], v[10:11]
	;; [unrolled: 1-line block ×4, first 2 shown]
; %bb.48:
	s_or_b32 exec_lo, exec_lo, s9
	v_add_f64_e32 v[14:15], 0, v[22:23]
	s_delay_alu instid0(VALU_DEP_1) | instskip(NEXT) | instid1(VALU_DEP_1)
	v_dual_add_f64 v[10:11], 0, v[24:25] :: v_dual_ashrrev_i32 v29, 31, v15
	v_ashrrev_i32_e32 v28, 31, v11
	s_delay_alu instid0(VALU_DEP_2) | instskip(NEXT) | instid1(VALU_DEP_2)
	v_or_b32_e32 v35, 0x80000000, v29
	v_or_b32_e32 v34, 0x80000000, v28
	v_xor_b32_e32 v14, v29, v14
	s_delay_alu instid0(VALU_DEP_3) | instskip(NEXT) | instid1(VALU_DEP_3)
	v_xor_b32_e32 v15, v35, v15
	v_xor_b32_e32 v11, v34, v11
	;; [unrolled: 1-line block ×3, first 2 shown]
	v_mov_b64_e32 v[34:35], v[36:37]
	s_delay_alu instid0(VALU_DEP_2)
	v_cmp_gt_u64_e64 s7, v[10:11], v[14:15]
	v_mov_b64_e32 v[10:11], v[24:25]
	s_and_saveexec_b32 s9, s7
; %bb.49:
	v_mov_b64_e32 v[10:11], v[22:23]
	v_mov_b64_e32 v[22:23], v[24:25]
	;; [unrolled: 1-line block ×4, first 2 shown]
; %bb.50:
	s_or_b32 exec_lo, exec_lo, s9
	v_add_f64_e32 v[24:25], 0, v[64:65]
	v_add_f64_e32 v[14:15], 0, v[54:55]
	v_mov_b64_e32 v[52:53], v[64:65]
	s_mov_b32 s9, exec_lo
	s_delay_alu instid0(VALU_DEP_2) | instskip(NEXT) | instid1(VALU_DEP_1)
	v_dual_ashrrev_i32 v29, 31, v25 :: v_dual_ashrrev_i32 v28, 31, v15
	v_or_b32_e32 v37, 0x80000000, v29
	s_delay_alu instid0(VALU_DEP_2)
	v_or_b32_e32 v36, 0x80000000, v28
	v_xor_b32_e32 v14, v28, v14
	v_xor_b32_e32 v24, v29, v24
	v_mov_b64_e32 v[28:29], v[32:33]
	v_xor_b32_e32 v25, v37, v25
	v_xor_b32_e32 v15, v36, v15
	s_delay_alu instid0(VALU_DEP_1)
	v_cmpx_gt_u64_e64 v[14:15], v[24:25]
; %bb.51:
	v_mov_b64_e32 v[52:53], v[54:55]
	v_mov_b64_e32 v[28:29], v[30:31]
	;; [unrolled: 1-line block ×4, first 2 shown]
; %bb.52:
	s_or_b32 exec_lo, exec_lo, s9
	v_add_f64_e32 v[24:25], 0, v[38:39]
	s_delay_alu instid0(VALU_DEP_1) | instskip(NEXT) | instid1(VALU_DEP_1)
	v_dual_add_f64 v[14:15], 0, v[50:51] :: v_dual_ashrrev_i32 v33, 31, v25
	v_ashrrev_i32_e32 v32, 31, v15
	s_delay_alu instid0(VALU_DEP_2) | instskip(NEXT) | instid1(VALU_DEP_2)
	v_or_b32_e32 v37, 0x80000000, v33
	v_or_b32_e32 v36, 0x80000000, v32
	v_xor_b32_e32 v24, v33, v24
	s_delay_alu instid0(VALU_DEP_3) | instskip(NEXT) | instid1(VALU_DEP_3)
	v_xor_b32_e32 v25, v37, v25
	v_xor_b32_e32 v15, v36, v15
	;; [unrolled: 1-line block ×3, first 2 shown]
	v_mov_b64_e32 v[32:33], v[38:39]
	s_delay_alu instid0(VALU_DEP_2)
	v_cmp_gt_u64_e64 s7, v[14:15], v[24:25]
	v_mov_b64_e32 v[14:15], v[16:17]
	s_and_saveexec_b32 s9, s7
; %bb.53:
	v_mov_b64_e32 v[14:15], v[26:27]
	v_mov_b64_e32 v[26:27], v[16:17]
	;; [unrolled: 1-line block ×4, first 2 shown]
; %bb.54:
	s_or_b32 exec_lo, exec_lo, s9
	v_add_f64_e32 v[24:25], 0, v[18:19]
	s_delay_alu instid0(VALU_DEP_1) | instskip(NEXT) | instid1(VALU_DEP_1)
	v_dual_add_f64 v[16:17], 0, v[22:23] :: v_dual_ashrrev_i32 v37, 31, v25
	v_ashrrev_i32_e32 v36, 31, v17
	s_delay_alu instid0(VALU_DEP_2) | instskip(NEXT) | instid1(VALU_DEP_2)
	v_or_b32_e32 v39, 0x80000000, v37
	v_or_b32_e32 v38, 0x80000000, v36
	s_delay_alu instid0(VALU_DEP_4) | instskip(SKIP_4) | instid1(VALU_DEP_1)
	v_xor_b32_e32 v16, v36, v16
	v_xor_b32_e32 v24, v37, v24
	v_mov_b64_e32 v[36:37], v[48:49]
	v_xor_b32_e32 v25, v39, v25
	v_xor_b32_e32 v17, v38, v17
	v_cmp_gt_u64_e64 s7, v[16:17], v[24:25]
	v_mov_b64_e32 v[24:25], v[22:23]
	s_and_saveexec_b32 s9, s7
; %bb.55:
	v_mov_b64_e32 v[24:25], v[18:19]
	v_mov_b64_e32 v[18:19], v[22:23]
	;; [unrolled: 1-line block ×4, first 2 shown]
; %bb.56:
	s_or_b32 exec_lo, exec_lo, s9
	v_add_f64_e32 v[22:23], 0, v[10:11]
	s_delay_alu instid0(VALU_DEP_1) | instskip(NEXT) | instid1(VALU_DEP_1)
	v_dual_add_f64 v[16:17], 0, v[52:53] :: v_dual_ashrrev_i32 v39, 31, v23
	v_ashrrev_i32_e32 v38, 31, v17
	s_delay_alu instid0(VALU_DEP_2) | instskip(NEXT) | instid1(VALU_DEP_2)
	v_or_b32_e32 v49, 0x80000000, v39
	v_or_b32_e32 v48, 0x80000000, v38
	s_delay_alu instid0(VALU_DEP_4) | instskip(SKIP_1) | instid1(VALU_DEP_4)
	v_xor_b32_e32 v16, v38, v16
	v_xor_b32_e32 v22, v39, v22
	v_xor_b32_e32 v23, v49, v23
	s_delay_alu instid0(VALU_DEP_4) | instskip(SKIP_1) | instid1(VALU_DEP_2)
	v_xor_b32_e32 v17, v48, v17
	v_mov_b64_e32 v[48:49], v[30:31]
	v_cmp_gt_u64_e64 s7, v[16:17], v[22:23]
	v_mov_b64_e32 v[22:23], v[52:53]
	s_and_saveexec_b32 s9, s7
; %bb.57:
	v_mov_b64_e32 v[22:23], v[10:11]
	v_mov_b64_e32 v[10:11], v[52:53]
	;; [unrolled: 1-line block ×4, first 2 shown]
; %bb.58:
	s_or_b32 exec_lo, exec_lo, s9
	v_add_f64_e32 v[30:31], 0, v[54:55]
	v_add_f64_e32 v[16:17], 0, v[32:33]
	v_mov_b64_e32 v[64:65], v[54:55]
	s_delay_alu instid0(VALU_DEP_2) | instskip(NEXT) | instid1(VALU_DEP_1)
	v_dual_ashrrev_i32 v39, 31, v31 :: v_dual_ashrrev_i32 v38, 31, v17
	v_or_b32_e32 v53, 0x80000000, v39
	s_delay_alu instid0(VALU_DEP_2) | instskip(SKIP_2) | instid1(VALU_DEP_4)
	v_or_b32_e32 v52, 0x80000000, v38
	v_xor_b32_e32 v16, v38, v16
	v_xor_b32_e32 v30, v39, v30
	;; [unrolled: 1-line block ×3, first 2 shown]
	s_delay_alu instid0(VALU_DEP_4) | instskip(NEXT) | instid1(VALU_DEP_1)
	v_xor_b32_e32 v17, v52, v17
	v_cmp_gt_u64_e64 s7, v[16:17], v[30:31]
	v_mov_b64_e32 v[30:31], v[26:27]
	s_and_saveexec_b32 s9, s7
; %bb.59:
	v_mov_b64_e32 v[30:31], v[28:29]
	v_mov_b64_e32 v[28:29], v[26:27]
	v_mov_b64_e32 v[64:65], v[32:33]
	v_mov_b64_e32 v[32:33], v[54:55]
; %bb.60:
	s_or_b32 exec_lo, exec_lo, s9
	v_add_f64_e32 v[26:27], 0, v[50:51]
	s_delay_alu instid0(VALU_DEP_1) | instskip(NEXT) | instid1(VALU_DEP_1)
	v_dual_add_f64 v[16:17], 0, v[20:21] :: v_dual_ashrrev_i32 v39, 31, v27
	v_ashrrev_i32_e32 v38, 31, v17
	s_delay_alu instid0(VALU_DEP_2) | instskip(NEXT) | instid1(VALU_DEP_2)
	v_or_b32_e32 v53, 0x80000000, v39
	v_or_b32_e32 v52, 0x80000000, v38
	s_delay_alu instid0(VALU_DEP_4) | instskip(SKIP_1) | instid1(VALU_DEP_4)
	v_xor_b32_e32 v16, v38, v16
	v_xor_b32_e32 v26, v39, v26
	;; [unrolled: 1-line block ×3, first 2 shown]
	s_delay_alu instid0(VALU_DEP_4) | instskip(SKIP_1) | instid1(VALU_DEP_2)
	v_xor_b32_e32 v17, v52, v17
	v_mov_b64_e32 v[52:53], v[50:51]
	v_cmp_gt_u64_e64 s7, v[16:17], v[26:27]
	v_mov_b64_e32 v[16:17], v[12:13]
	s_and_saveexec_b32 s9, s7
; %bb.61:
	v_mov_b64_e32 v[16:17], v[14:15]
	v_mov_b64_e32 v[14:15], v[12:13]
	;; [unrolled: 1-line block ×4, first 2 shown]
; %bb.62:
	s_or_b32 exec_lo, exec_lo, s9
	v_add_f64_e32 v[12:13], 0, v[10:11]
	v_add_f64_e32 v[26:27], 0, v[24:25]
	v_mov_b64_e32 v[54:55], v[34:35]
	s_mov_b32 s9, exec_lo
	s_delay_alu instid0(VALU_DEP_2) | instskip(NEXT) | instid1(VALU_DEP_1)
	v_dual_ashrrev_i32 v38, 31, v13 :: v_dual_ashrrev_i32 v39, 31, v27
	v_or_b32_e32 v50, 0x80000000, v38
	s_delay_alu instid0(VALU_DEP_2)
	v_or_b32_e32 v51, 0x80000000, v39
	v_xor_b32_e32 v12, v38, v12
	v_xor_b32_e32 v26, v39, v26
	v_mov_b64_e32 v[38:39], v[10:11]
	v_xor_b32_e32 v13, v50, v13
	v_xor_b32_e32 v27, v51, v27
	s_delay_alu instid0(VALU_DEP_1)
	v_cmpx_gt_u64_e64 v[12:13], v[26:27]
; %bb.63:
	v_mov_b64_e32 v[38:39], v[24:25]
	v_mov_b64_e32 v[24:25], v[10:11]
	;; [unrolled: 1-line block ×4, first 2 shown]
; %bb.64:
	s_or_b32 exec_lo, exec_lo, s9
	v_add_f64_e32 v[10:11], 0, v[64:65]
	v_add_f64_e32 v[12:13], 0, v[22:23]
	v_mov_b64_e32 v[50:51], v[28:29]
	s_delay_alu instid0(VALU_DEP_2) | instskip(NEXT) | instid1(VALU_DEP_1)
	v_dual_ashrrev_i32 v26, 31, v11 :: v_dual_ashrrev_i32 v27, 31, v13
	v_or_b32_e32 v34, 0x80000000, v26
	s_delay_alu instid0(VALU_DEP_2) | instskip(SKIP_2) | instid1(VALU_DEP_4)
	v_or_b32_e32 v35, 0x80000000, v27
	v_xor_b32_e32 v10, v26, v10
	v_xor_b32_e32 v12, v27, v12
	;; [unrolled: 1-line block ×3, first 2 shown]
	s_delay_alu instid0(VALU_DEP_4) | instskip(NEXT) | instid1(VALU_DEP_1)
	v_xor_b32_e32 v13, v35, v13
	v_cmp_gt_u64_e64 s7, v[10:11], v[12:13]
	v_mov_b64_e32 v[12:13], v[22:23]
	s_and_saveexec_b32 s9, s7
; %bb.65:
	v_mov_b64_e32 v[12:13], v[64:65]
	v_mov_b64_e32 v[50:51], v[48:49]
	;; [unrolled: 1-line block ×4, first 2 shown]
; %bb.66:
	s_or_b32 exec_lo, exec_lo, s9
	v_add_f64_e32 v[22:23], 0, v[32:33]
	s_delay_alu instid0(VALU_DEP_1) | instskip(NEXT) | instid1(VALU_DEP_1)
	v_dual_add_f64 v[10:11], 0, v[52:53] :: v_dual_ashrrev_i32 v27, 31, v23
	v_ashrrev_i32_e32 v26, 31, v11
	s_delay_alu instid0(VALU_DEP_2) | instskip(NEXT) | instid1(VALU_DEP_2)
	v_or_b32_e32 v29, 0x80000000, v27
	v_or_b32_e32 v28, 0x80000000, v26
	s_delay_alu instid0(VALU_DEP_4) | instskip(SKIP_4) | instid1(VALU_DEP_1)
	v_xor_b32_e32 v10, v26, v10
	v_xor_b32_e32 v22, v27, v22
	v_mov_b64_e32 v[26:27], v[32:33]
	v_xor_b32_e32 v23, v29, v23
	v_xor_b32_e32 v11, v28, v11
	v_cmp_gt_u64_e64 s7, v[10:11], v[22:23]
	v_mov_b64_e32 v[22:23], v[14:15]
	s_and_saveexec_b32 s9, s7
; %bb.67:
	v_mov_b64_e32 v[22:23], v[30:31]
	v_mov_b64_e32 v[30:31], v[14:15]
	;; [unrolled: 1-line block ×4, first 2 shown]
; %bb.68:
	s_or_b32 exec_lo, exec_lo, s9
	v_add_f64_e32 v[14:15], 0, v[18:19]
	s_delay_alu instid0(VALU_DEP_1) | instskip(NEXT) | instid1(VALU_DEP_1)
	v_dual_add_f64 v[10:11], 0, v[24:25] :: v_dual_ashrrev_i32 v29, 31, v15
	v_ashrrev_i32_e32 v28, 31, v11
	s_delay_alu instid0(VALU_DEP_2) | instskip(NEXT) | instid1(VALU_DEP_2)
	v_or_b32_e32 v33, 0x80000000, v29
	v_or_b32_e32 v32, 0x80000000, v28
	v_xor_b32_e32 v14, v29, v14
	s_delay_alu instid0(VALU_DEP_3) | instskip(NEXT) | instid1(VALU_DEP_3)
	v_xor_b32_e32 v15, v33, v15
	v_xor_b32_e32 v11, v32, v11
	v_xor_b32_e32 v10, v28, v10
	v_mov_b64_e32 v[28:29], v[24:25]
	s_delay_alu instid0(VALU_DEP_2)
	v_cmp_gt_u64_e64 s7, v[10:11], v[14:15]
	v_mov_b64_e32 v[10:11], v[36:37]
	s_and_saveexec_b32 s9, s7
; %bb.69:
	v_mov_b64_e32 v[28:29], v[18:19]
	v_mov_b64_e32 v[18:19], v[24:25]
	;; [unrolled: 1-line block ×4, first 2 shown]
; %bb.70:
	s_or_b32 exec_lo, exec_lo, s9
	v_add_f64_e32 v[14:15], 0, v[12:13]
	v_add_f64_e32 v[24:25], 0, v[38:39]
	s_delay_alu instid0(VALU_DEP_1) | instskip(NEXT) | instid1(VALU_DEP_1)
	v_dual_ashrrev_i32 v32, 31, v15 :: v_dual_ashrrev_i32 v33, 31, v25
	v_or_b32_e32 v34, 0x80000000, v32
	s_delay_alu instid0(VALU_DEP_2) | instskip(SKIP_2) | instid1(VALU_DEP_4)
	v_or_b32_e32 v35, 0x80000000, v33
	v_xor_b32_e32 v14, v32, v14
	v_xor_b32_e32 v24, v33, v24
	;; [unrolled: 1-line block ×3, first 2 shown]
	s_delay_alu instid0(VALU_DEP_4) | instskip(NEXT) | instid1(VALU_DEP_1)
	v_xor_b32_e32 v25, v35, v25
	v_cmp_gt_u64_e64 s7, v[14:15], v[24:25]
	v_mov_b64_e32 v[24:25], v[12:13]
	v_mov_b64_e32 v[14:15], v[48:49]
	s_and_saveexec_b32 s9, s7
; %bb.71:
	v_mov_b64_e32 v[24:25], v[38:39]
	v_mov_b64_e32 v[38:39], v[12:13]
	;; [unrolled: 1-line block ×4, first 2 shown]
; %bb.72:
	s_or_b32 exec_lo, exec_lo, s9
	v_add_f64_e32 v[32:33], 0, v[64:65]
	v_add_f64_e32 v[12:13], 0, v[26:27]
	v_mov_b64_e32 v[66:67], v[30:31]
	s_mov_b32 s9, exec_lo
	s_delay_alu instid0(VALU_DEP_3) | instskip(NEXT) | instid1(VALU_DEP_3)
	v_ashrrev_i32_e32 v35, 31, v33
	v_ashrrev_i32_e32 v34, 31, v13
	s_delay_alu instid0(VALU_DEP_2) | instskip(NEXT) | instid1(VALU_DEP_2)
	v_or_b32_e32 v37, 0x80000000, v35
	v_or_b32_e32 v36, 0x80000000, v34
	v_xor_b32_e32 v32, v35, v32
	s_delay_alu instid0(VALU_DEP_3) | instskip(NEXT) | instid1(VALU_DEP_3)
	v_xor_b32_e32 v33, v37, v33
	v_xor_b32_e32 v13, v36, v13
	;; [unrolled: 1-line block ×3, first 2 shown]
	v_mov_b64_e32 v[34:35], v[64:65]
	s_delay_alu instid0(VALU_DEP_2)
	v_cmpx_gt_u64_e64 v[12:13], v[32:33]
; %bb.73:
	v_mov_b64_e32 v[66:67], v[50:51]
	v_mov_b64_e32 v[50:51], v[30:31]
	;; [unrolled: 1-line block ×4, first 2 shown]
; %bb.74:
	s_or_b32 exec_lo, exec_lo, s9
	v_add_f64_e32 v[30:31], 0, v[52:53]
	s_delay_alu instid0(VALU_DEP_1) | instskip(NEXT) | instid1(VALU_DEP_1)
	v_dual_add_f64 v[12:13], 0, v[20:21] :: v_dual_ashrrev_i32 v33, 31, v31
	v_ashrrev_i32_e32 v32, 31, v13
	s_delay_alu instid0(VALU_DEP_2) | instskip(NEXT) | instid1(VALU_DEP_2)
	v_or_b32_e32 v37, 0x80000000, v33
	v_or_b32_e32 v36, 0x80000000, v32
	v_xor_b32_e32 v30, v33, v30
	s_delay_alu instid0(VALU_DEP_3) | instskip(NEXT) | instid1(VALU_DEP_3)
	v_xor_b32_e32 v31, v37, v31
	v_xor_b32_e32 v13, v36, v13
	;; [unrolled: 1-line block ×3, first 2 shown]
	v_mov_b64_e32 v[36:37], v[16:17]
	s_delay_alu instid0(VALU_DEP_2)
	v_cmp_gt_u64_e64 s7, v[12:13], v[30:31]
	v_mov_b64_e32 v[30:31], v[52:53]
	s_and_saveexec_b32 s9, s7
; %bb.75:
	v_mov_b64_e32 v[36:37], v[22:23]
	v_mov_b64_e32 v[22:23], v[16:17]
	;; [unrolled: 1-line block ×4, first 2 shown]
; %bb.76:
	s_or_b32 exec_lo, exec_lo, s9
	v_add_f64_e32 v[16:17], 0, v[28:29]
	s_delay_alu instid0(VALU_DEP_1) | instskip(NEXT) | instid1(VALU_DEP_1)
	v_dual_add_f64 v[12:13], 0, v[38:39] :: v_dual_ashrrev_i32 v33, 31, v17
	v_ashrrev_i32_e32 v32, 31, v13
	s_delay_alu instid0(VALU_DEP_2) | instskip(NEXT) | instid1(VALU_DEP_2)
	v_or_b32_e32 v49, 0x80000000, v33
	v_or_b32_e32 v48, 0x80000000, v32
	v_xor_b32_e32 v16, v33, v16
	s_delay_alu instid0(VALU_DEP_3) | instskip(NEXT) | instid1(VALU_DEP_3)
	v_xor_b32_e32 v17, v49, v17
	v_xor_b32_e32 v13, v48, v13
	;; [unrolled: 1-line block ×3, first 2 shown]
	v_mov_b64_e32 v[32:33], v[38:39]
	s_delay_alu instid0(VALU_DEP_2)
	v_cmp_gt_u64_e64 s7, v[12:13], v[16:17]
	v_mov_b64_e32 v[12:13], v[54:55]
	s_and_saveexec_b32 s9, s7
; %bb.77:
	v_mov_b64_e32 v[32:33], v[28:29]
	v_mov_b64_e32 v[28:29], v[38:39]
	;; [unrolled: 1-line block ×4, first 2 shown]
; %bb.78:
	s_or_b32 exec_lo, exec_lo, s9
	v_add_f64_e32 v[16:17], 0, v[34:35]
	v_add_f64_e32 v[38:39], 0, v[24:25]
	s_delay_alu instid0(VALU_DEP_1) | instskip(NEXT) | instid1(VALU_DEP_1)
	v_dual_ashrrev_i32 v48, 31, v17 :: v_dual_ashrrev_i32 v49, 31, v39
	v_or_b32_e32 v52, 0x80000000, v48
	s_delay_alu instid0(VALU_DEP_2)
	v_or_b32_e32 v53, 0x80000000, v49
	v_xor_b32_e32 v16, v48, v16
	v_xor_b32_e32 v38, v49, v38
	v_mov_b64_e32 v[48:49], v[24:25]
	v_xor_b32_e32 v17, v52, v17
	v_xor_b32_e32 v39, v53, v39
	s_delay_alu instid0(VALU_DEP_1)
	v_cmp_gt_u64_e64 s7, v[16:17], v[38:39]
	v_mov_b64_e32 v[16:17], v[50:51]
	s_and_saveexec_b32 s9, s7
; %bb.79:
	v_mov_b64_e32 v[48:49], v[34:35]
	v_mov_b64_e32 v[16:17], v[14:15]
	;; [unrolled: 1-line block ×4, first 2 shown]
; %bb.80:
	s_or_b32 exec_lo, exec_lo, s9
	v_add_f64_e32 v[24:25], 0, v[30:31]
	s_delay_alu instid0(VALU_DEP_1) | instskip(NEXT) | instid1(VALU_DEP_1)
	v_dual_add_f64 v[38:39], 0, v[26:27] :: v_dual_ashrrev_i32 v50, 31, v25
	v_dual_ashrrev_i32 v51, 31, v39 :: v_dual_bitop2_b32 v24, v50, v24 bitop3:0x14
	v_or_b32_e32 v52, 0x80000000, v50
	s_delay_alu instid0(VALU_DEP_2) | instskip(NEXT) | instid1(VALU_DEP_4)
	v_or_b32_e32 v53, 0x80000000, v51
	v_xor_b32_e32 v38, v51, v38
	s_delay_alu instid0(VALU_DEP_3) | instskip(NEXT) | instid1(VALU_DEP_3)
	v_xor_b32_e32 v25, v52, v25
	v_xor_b32_e32 v39, v53, v39
	s_delay_alu instid0(VALU_DEP_1)
	v_cmp_gt_u64_e64 s7, v[24:25], v[38:39]
	v_mov_b64_e32 v[38:39], v[30:31]
	v_mov_b64_e32 v[24:25], v[66:67]
	s_and_saveexec_b32 s9, s7
; %bb.81:
	v_mov_b64_e32 v[38:39], v[26:27]
	v_mov_b64_e32 v[26:27], v[30:31]
	v_mov_b64_e32 v[24:25], v[22:23]
	v_mov_b64_e32 v[22:23], v[66:67]
; %bb.82:
	s_or_b32 exec_lo, exec_lo, s9
.LBB1122_83:
	s_delay_alu instid0(SALU_CYCLE_1)
	s_or_b32 exec_lo, exec_lo, s8
	v_and_b32_e32 v1, 0xffffff00, v1
	v_and_b32_e32 v50, 0xf0, v81
	v_or_b32_e32 v30, 8, v81
	v_and_b32_e32 v31, 8, v81
	s_mov_b32 s8, exec_lo
	v_sub_nc_u32_e64 v83, 0x800, v1 clamp
	s_delay_alu instid0(VALU_DEP_1) | instskip(NEXT) | instid1(VALU_DEP_3)
	v_min_u32_e32 v96, v83, v30
	v_min_u32_e32 v51, v83, v31
	s_delay_alu instid0(VALU_DEP_2) | instskip(SKIP_1) | instid1(VALU_DEP_2)
	v_add_min_u32_e64 v97, v96, 8, v83
	v_dual_lshlrev_b32 v1, 3, v1 :: v_dual_sub_nc_u32 v31, v96, v50
	v_sub_nc_u32_e32 v30, v97, v96
	s_delay_alu instid0(VALU_DEP_2) | instskip(NEXT) | instid1(VALU_DEP_3)
	v_lshl_or_b32 v82, v81, 3, v1
	v_min_u32_e32 v52, v51, v31
	v_lshl_or_b32 v31, v50, 3, v1
	s_wait_loadcnt_dscnt 0x0
	ds_store_2addr_b64 v82, v[18:19], v[28:29] offset1:1
	ds_store_2addr_b64 v82, v[32:33], v[48:49] offset0:2 offset1:3
	v_add_nc_u32_e32 v84, 0x4000, v82
	v_add_nc_u32_e32 v85, 0x4010, v82
	;; [unrolled: 1-line block ×3, first 2 shown]
	v_sub_nc_u32_e64 v30, v51, v30 clamp
	v_add_nc_u32_e32 v87, 0x4030, v82
	ds_store_2addr_b64 v84, v[4:5], v[10:11] offset1:1
	ds_store_2addr_b64 v85, v[12:13], v[14:15] offset1:1
	ds_store_2addr_b64 v82, v[34:35], v[26:27] offset0:4 offset1:5
	ds_store_2addr_b64 v82, v[38:39], v[20:21] offset0:6 offset1:7
	ds_store_2addr_b64 v86, v[16:17], v[24:25] offset1:1
	ds_store_2addr_b64 v87, v[22:23], v[36:37] offset1:1
	; wave barrier
	v_cmpx_lt_u32_e64 v30, v52
	s_cbranch_execz .LBB1122_87
; %bb.84:
	v_dual_lshlrev_b32 v53, 3, v96 :: v_dual_lshlrev_b32 v54, 3, v51
	s_mov_b32 s9, 0
	s_delay_alu instid0(VALU_DEP_1)
	v_add3_u32 v53, v1, v53, v54
.LBB1122_85:                            ; =>This Inner Loop Header: Depth=1
	v_add_nc_u32_e32 v54, v52, v30
	s_delay_alu instid0(VALU_DEP_1) | instskip(NEXT) | instid1(VALU_DEP_1)
	v_lshrrev_b32_e32 v66, 1, v54
	v_not_b32_e32 v64, v66
	v_lshl_add_u32 v54, v66, 3, v31
	s_delay_alu instid0(VALU_DEP_2) | instskip(SKIP_4) | instid1(VALU_DEP_1)
	v_lshl_add_u32 v64, v64, 3, v53
	ds_load_b64 v[54:55], v54
	ds_load_b64 v[64:65], v64
	s_wait_dscnt 0x0
	v_add_f64_e32 v[64:65], 0, v[64:65]
	v_ashrrev_i32_e32 v67, 31, v65
	s_delay_alu instid0(VALU_DEP_1) | instskip(NEXT) | instid1(VALU_DEP_1)
	v_or_b32_e32 v68, 0x80000000, v67
	v_dual_add_f64 v[54:55], 0, v[54:55] :: v_dual_bitop2_b32 v65, v68, v65 bitop3:0x14
	s_delay_alu instid0(VALU_DEP_1) | instskip(NEXT) | instid1(VALU_DEP_1)
	v_dual_ashrrev_i32 v67, 31, v55 :: v_dual_bitop2_b32 v64, v67, v64 bitop3:0x14
	v_or_b32_e32 v68, 0x80000000, v67
	s_delay_alu instid0(VALU_DEP_3) | instskip(NEXT) | instid1(VALU_DEP_2)
	v_xor_b32_e32 v54, v67, v54
	v_xor_b32_e32 v55, v68, v55
	s_delay_alu instid0(VALU_DEP_1) | instskip(NEXT) | instid1(VALU_DEP_1)
	v_cmp_gt_u64_e64 s7, v[64:65], v[54:55]
	v_dual_add_nc_u32 v54, 1, v66 :: v_dual_cndmask_b32 v52, v52, v66, s7
	s_delay_alu instid0(VALU_DEP_1) | instskip(NEXT) | instid1(VALU_DEP_1)
	v_cndmask_b32_e64 v30, v54, v30, s7
	v_cmp_ge_u32_e64 s7, v30, v52
	s_or_b32 s9, s7, s9
	s_delay_alu instid0(SALU_CYCLE_1)
	s_and_not1_b32 exec_lo, exec_lo, s9
	s_cbranch_execnz .LBB1122_85
; %bb.86:
	s_or_b32 exec_lo, exec_lo, s9
.LBB1122_87:
	s_delay_alu instid0(SALU_CYCLE_1) | instskip(SKIP_1) | instid1(VALU_DEP_1)
	s_or_b32 exec_lo, exec_lo, s8
	v_dual_add_nc_u32 v51, v96, v51 :: v_dual_add_nc_u32 v50, v30, v50
	v_sub_nc_u32_e32 v51, v51, v30
	s_delay_alu instid0(VALU_DEP_2) | instskip(NEXT) | instid1(VALU_DEP_2)
	v_cmp_le_u32_e64 s7, v50, v96
	v_cmp_le_u32_e64 s8, v51, v97
	s_or_b32 s7, s7, s8
	s_delay_alu instid0(SALU_CYCLE_1)
	s_and_saveexec_b32 s9, s7
	s_cbranch_execz .LBB1122_123
; %bb.88:
	v_cmp_ge_u32_e64 s7, v50, v96
	s_mov_b32 s10, exec_lo
                                        ; implicit-def: $vgpr18_vgpr19
	v_cmpx_lt_u32_e64 v50, v96
; %bb.89:
	v_lshl_add_u32 v4, v30, 3, v31
	ds_load_b64 v[18:19], v4
; %bb.90:
	s_or_b32 exec_lo, exec_lo, s10
	v_cmp_ge_u32_e64 s10, v51, v97
	s_mov_b32 s11, exec_lo
                                        ; implicit-def: $vgpr20_vgpr21
	v_cmpx_lt_u32_e64 v51, v97
; %bb.91:
	v_lshl_add_u32 v4, v51, 3, v1
	ds_load_b64 v[20:21], v4
; %bb.92:
	s_or_b32 exec_lo, exec_lo, s11
	s_nor_b32 s7, s7, s10
	s_delay_alu instid0(SALU_CYCLE_1)
	s_and_saveexec_b32 s8, s7
	s_cbranch_execz .LBB1122_94
; %bb.93:
	s_wait_dscnt 0x0
	v_add_f64_e32 v[10:11], 0, v[18:19]
	v_add_f64_e32 v[4:5], 0, v[20:21]
	s_and_not1_b32 s10, s10, exec_lo
	s_delay_alu instid0(VALU_DEP_1) | instskip(NEXT) | instid1(VALU_DEP_1)
	v_dual_ashrrev_i32 v13, 31, v11 :: v_dual_ashrrev_i32 v12, 31, v5
	v_or_b32_e32 v15, 0x80000000, v13
	s_delay_alu instid0(VALU_DEP_2) | instskip(NEXT) | instid1(VALU_DEP_4)
	v_or_b32_e32 v14, 0x80000000, v12
	v_xor_b32_e32 v4, v12, v4
	v_xor_b32_e32 v10, v13, v10
	s_delay_alu instid0(VALU_DEP_4) | instskip(NEXT) | instid1(VALU_DEP_4)
	v_xor_b32_e32 v11, v15, v11
	v_xor_b32_e32 v5, v14, v5
	s_delay_alu instid0(VALU_DEP_1) | instskip(SKIP_1) | instid1(SALU_CYCLE_1)
	v_cmp_le_u64_e64 s7, v[4:5], v[10:11]
	s_and_b32 s7, s7, exec_lo
	s_or_b32 s10, s10, s7
.LBB1122_94:
	s_or_b32 exec_lo, exec_lo, s8
	v_dual_cndmask_b32 v4, v51, v50, s10 :: v_dual_cndmask_b32 v5, v97, v96, s10
	s_mov_b32 s11, -1
	s_mov_b32 s8, -1
	s_mov_b32 s12, exec_lo
	s_delay_alu instid0(VALU_DEP_1) | instskip(SKIP_1) | instid1(VALU_DEP_2)
	v_add_nc_u32_e32 v13, 1, v4
	v_lshl_add_u32 v4, v4, 3, v1
	v_add_min_u32_e64 v5, v5, -1, v13
	s_delay_alu instid0(VALU_DEP_1)
	v_lshl_add_u32 v5, v5, 3, v1
	ds_load_b64 v[10:11], v5
	ds_load_b64 v[4:5], v4 offset:16384
	s_wait_dscnt 0x1
	v_dual_cndmask_b32 v29, v11, v21, s10 :: v_dual_cndmask_b32 v12, v13, v51, s10
	v_cndmask_b32_e64 v13, v50, v13, s10
	v_dual_cndmask_b32 v28, v10, v20, s10 :: v_dual_cndmask_b32 v31, v19, v11, s10
	v_cndmask_b32_e64 v30, v18, v10, s10
	s_delay_alu instid0(VALU_DEP_4)
	v_cmpx_lt_u32_e64 v12, v97
	s_cbranch_execz .LBB1122_98
; %bb.95:
	s_mov_b32 s13, 0
	s_mov_b32 s8, exec_lo
	v_cmpx_lt_u32_e64 v13, v96
	s_cbranch_execz .LBB1122_97
; %bb.96:
	v_add_f64_e32 v[14:15], 0, v[30:31]
	s_delay_alu instid0(VALU_DEP_1) | instskip(NEXT) | instid1(VALU_DEP_1)
	v_dual_add_f64 v[10:11], 0, v[28:29] :: v_dual_ashrrev_i32 v17, 31, v15
	v_ashrrev_i32_e32 v16, 31, v11
	s_delay_alu instid0(VALU_DEP_2) | instskip(NEXT) | instid1(VALU_DEP_2)
	v_or_b32_e32 v23, 0x80000000, v17
	v_or_b32_e32 v22, 0x80000000, v16
	v_xor_b32_e32 v14, v17, v14
	s_delay_alu instid0(VALU_DEP_3) | instskip(NEXT) | instid1(VALU_DEP_3)
	v_xor_b32_e32 v15, v23, v15
	v_xor_b32_e32 v11, v22, v11
	;; [unrolled: 1-line block ×3, first 2 shown]
	s_delay_alu instid0(VALU_DEP_1)
	v_cmp_le_u64_e64 s7, v[10:11], v[14:15]
	s_and_b32 s13, s7, exec_lo
.LBB1122_97:
	s_or_b32 exec_lo, exec_lo, s8
	s_delay_alu instid0(SALU_CYCLE_1)
	s_or_not1_b32 s8, s13, exec_lo
.LBB1122_98:
	s_or_b32 exec_lo, exec_lo, s12
	v_dual_cndmask_b32 v10, v12, v13, s8 :: v_dual_cndmask_b32 v11, v97, v96, s8
	s_mov_b32 s12, exec_lo
	s_delay_alu instid0(VALU_DEP_1) | instskip(SKIP_1) | instid1(VALU_DEP_2)
	v_add_nc_u32_e32 v15, 1, v10
	v_lshl_add_u32 v10, v10, 3, v1
	v_add_min_u32_e64 v11, v11, -1, v15
	s_delay_alu instid0(VALU_DEP_1)
	v_lshl_add_u32 v11, v11, 3, v1
	ds_load_b64 v[16:17], v11
	ds_load_b64 v[10:11], v10 offset:16384
	s_wait_dscnt 0x1
	v_dual_cndmask_b32 v33, v17, v29, s8 :: v_dual_cndmask_b32 v14, v15, v12, s8
	v_dual_cndmask_b32 v15, v13, v15, s8 :: v_dual_cndmask_b32 v32, v16, v28, s8
	;; [unrolled: 1-line block ×3, first 2 shown]
	s_delay_alu instid0(VALU_DEP_3)
	v_cmpx_lt_u32_e64 v14, v97
	s_cbranch_execz .LBB1122_102
; %bb.99:
	s_mov_b32 s13, 0
	s_mov_b32 s11, exec_lo
	v_cmpx_lt_u32_e64 v15, v96
	s_cbranch_execz .LBB1122_101
; %bb.100:
	v_add_f64_e32 v[12:13], 0, v[32:33]
	s_delay_alu instid0(VALU_DEP_1) | instskip(NEXT) | instid1(VALU_DEP_1)
	v_dual_add_f64 v[16:17], 0, v[50:51] :: v_dual_ashrrev_i32 v22, 31, v13
	v_dual_ashrrev_i32 v23, 31, v17 :: v_dual_bitop2_b32 v12, v22, v12 bitop3:0x14
	v_or_b32_e32 v24, 0x80000000, v22
	s_delay_alu instid0(VALU_DEP_2) | instskip(NEXT) | instid1(VALU_DEP_4)
	v_or_b32_e32 v25, 0x80000000, v23
	v_xor_b32_e32 v16, v23, v16
	s_delay_alu instid0(VALU_DEP_3) | instskip(NEXT) | instid1(VALU_DEP_3)
	v_xor_b32_e32 v13, v24, v13
	v_xor_b32_e32 v17, v25, v17
	s_delay_alu instid0(VALU_DEP_1)
	v_cmp_le_u64_e64 s7, v[12:13], v[16:17]
	s_and_b32 s13, s7, exec_lo
.LBB1122_101:
	s_or_b32 exec_lo, exec_lo, s11
	s_delay_alu instid0(SALU_CYCLE_1)
	s_or_not1_b32 s11, s13, exec_lo
.LBB1122_102:
	s_or_b32 exec_lo, exec_lo, s12
	v_dual_cndmask_b32 v12, v14, v15, s11 :: v_dual_cndmask_b32 v13, v97, v96, s11
	s_mov_b32 s13, -1
	s_mov_b32 s12, -1
	s_mov_b32 s14, exec_lo
	s_delay_alu instid0(VALU_DEP_1) | instskip(SKIP_1) | instid1(VALU_DEP_2)
	v_add_nc_u32_e32 v17, 1, v12
	v_lshl_add_u32 v12, v12, 3, v1
	v_add_min_u32_e64 v13, v13, -1, v17
	s_delay_alu instid0(VALU_DEP_1)
	v_lshl_add_u32 v13, v13, 3, v1
	ds_load_b64 v[22:23], v13
	ds_load_b64 v[12:13], v12 offset:16384
	s_wait_dscnt 0x1
	v_dual_cndmask_b32 v49, v23, v33, s11 :: v_dual_cndmask_b32 v16, v17, v14, s11
	v_dual_cndmask_b32 v17, v15, v17, s11 :: v_dual_cndmask_b32 v48, v22, v32, s11
	v_dual_cndmask_b32 v53, v51, v23, s11 :: v_dual_cndmask_b32 v52, v50, v22, s11
	s_delay_alu instid0(VALU_DEP_3)
	v_cmpx_lt_u32_e64 v16, v97
	s_cbranch_execz .LBB1122_106
; %bb.103:
	s_mov_b32 s15, 0
	s_mov_b32 s12, exec_lo
	v_cmpx_lt_u32_e64 v17, v96
	s_cbranch_execz .LBB1122_105
; %bb.104:
	v_add_f64_e32 v[22:23], 0, v[52:53]
	s_delay_alu instid0(VALU_DEP_1) | instskip(NEXT) | instid1(VALU_DEP_1)
	v_dual_add_f64 v[14:15], 0, v[48:49] :: v_dual_ashrrev_i32 v25, 31, v23
	v_ashrrev_i32_e32 v24, 31, v15
	s_delay_alu instid0(VALU_DEP_2) | instskip(NEXT) | instid1(VALU_DEP_2)
	v_or_b32_e32 v27, 0x80000000, v25
	v_or_b32_e32 v26, 0x80000000, v24
	s_delay_alu instid0(VALU_DEP_4) | instskip(SKIP_1) | instid1(VALU_DEP_4)
	v_xor_b32_e32 v14, v24, v14
	v_xor_b32_e32 v22, v25, v22
	;; [unrolled: 1-line block ×3, first 2 shown]
	s_delay_alu instid0(VALU_DEP_4) | instskip(NEXT) | instid1(VALU_DEP_1)
	v_xor_b32_e32 v15, v26, v15
	v_cmp_le_u64_e64 s7, v[14:15], v[22:23]
	s_and_b32 s15, s7, exec_lo
.LBB1122_105:
	s_or_b32 exec_lo, exec_lo, s12
	s_delay_alu instid0(SALU_CYCLE_1)
	s_or_not1_b32 s12, s15, exec_lo
.LBB1122_106:
	s_or_b32 exec_lo, exec_lo, s14
	v_dual_cndmask_b32 v14, v16, v17, s12 :: v_dual_cndmask_b32 v15, v97, v96, s12
	s_mov_b32 s14, exec_lo
	s_delay_alu instid0(VALU_DEP_1) | instskip(SKIP_1) | instid1(VALU_DEP_2)
	v_add_nc_u32_e32 v23, 1, v14
	v_lshl_add_u32 v14, v14, 3, v1
	v_add_min_u32_e64 v15, v15, -1, v23
	s_delay_alu instid0(VALU_DEP_1)
	v_lshl_add_u32 v15, v15, 3, v1
	ds_load_b64 v[24:25], v15
	ds_load_b64 v[14:15], v14 offset:16384
	s_wait_dscnt 0x1
	v_dual_cndmask_b32 v35, v25, v49, s12 :: v_dual_cndmask_b32 v22, v23, v16, s12
	v_dual_cndmask_b32 v23, v17, v23, s12 :: v_dual_cndmask_b32 v34, v24, v48, s12
	;; [unrolled: 1-line block ×3, first 2 shown]
	s_delay_alu instid0(VALU_DEP_3)
	v_cmpx_lt_u32_e64 v22, v97
	s_cbranch_execz .LBB1122_110
; %bb.107:
	s_mov_b32 s15, 0
	s_mov_b32 s13, exec_lo
	v_cmpx_lt_u32_e64 v23, v96
	s_cbranch_execz .LBB1122_109
; %bb.108:
	v_add_f64_e32 v[24:25], 0, v[54:55]
	s_delay_alu instid0(VALU_DEP_1) | instskip(NEXT) | instid1(VALU_DEP_1)
	v_dual_add_f64 v[16:17], 0, v[34:35] :: v_dual_ashrrev_i32 v27, 31, v25
	v_ashrrev_i32_e32 v26, 31, v17
	s_delay_alu instid0(VALU_DEP_2) | instskip(NEXT) | instid1(VALU_DEP_2)
	v_or_b32_e32 v37, 0x80000000, v27
	v_or_b32_e32 v36, 0x80000000, v26
	s_delay_alu instid0(VALU_DEP_4) | instskip(SKIP_1) | instid1(VALU_DEP_4)
	v_xor_b32_e32 v16, v26, v16
	v_xor_b32_e32 v24, v27, v24
	;; [unrolled: 1-line block ×3, first 2 shown]
	s_delay_alu instid0(VALU_DEP_4) | instskip(NEXT) | instid1(VALU_DEP_1)
	v_xor_b32_e32 v17, v36, v17
	v_cmp_le_u64_e64 s7, v[16:17], v[24:25]
	s_and_b32 s15, s7, exec_lo
.LBB1122_109:
	s_or_b32 exec_lo, exec_lo, s13
	s_delay_alu instid0(SALU_CYCLE_1)
	s_or_not1_b32 s13, s15, exec_lo
.LBB1122_110:
	s_or_b32 exec_lo, exec_lo, s14
	v_dual_cndmask_b32 v16, v22, v23, s13 :: v_dual_cndmask_b32 v17, v97, v96, s13
	s_mov_b32 s15, -1
	s_mov_b32 s14, -1
	s_mov_b32 s16, exec_lo
	s_delay_alu instid0(VALU_DEP_1) | instskip(SKIP_1) | instid1(VALU_DEP_2)
	v_add_nc_u32_e32 v26, 1, v16
	v_lshl_add_u32 v16, v16, 3, v1
	v_add_min_u32_e64 v17, v17, -1, v26
	s_delay_alu instid0(VALU_DEP_1)
	v_lshl_add_u32 v17, v17, 3, v1
	ds_load_b64 v[24:25], v17
	ds_load_b64 v[16:17], v16 offset:16384
	s_wait_dscnt 0x1
	v_dual_cndmask_b32 v27, v25, v35, s13 :: v_dual_cndmask_b32 v22, v26, v22, s13
	v_cndmask_b32_e64 v65, v55, v25, s13
	v_dual_cndmask_b32 v23, v23, v26, s13 :: v_dual_cndmask_b32 v64, v54, v24, s13
	v_cndmask_b32_e64 v26, v24, v34, s13
	s_delay_alu instid0(VALU_DEP_4)
	v_cmpx_lt_u32_e64 v22, v97
	s_cbranch_execz .LBB1122_114
; %bb.111:
	s_mov_b32 s17, 0
	s_mov_b32 s14, exec_lo
	v_cmpx_lt_u32_e64 v23, v96
	s_cbranch_execz .LBB1122_113
; %bb.112:
	v_add_f64_e32 v[36:37], 0, v[64:65]
	s_delay_alu instid0(VALU_DEP_1) | instskip(NEXT) | instid1(VALU_DEP_1)
	v_dual_add_f64 v[24:25], 0, v[26:27] :: v_dual_ashrrev_i32 v39, 31, v37
	v_ashrrev_i32_e32 v38, 31, v25
	s_delay_alu instid0(VALU_DEP_2) | instskip(NEXT) | instid1(VALU_DEP_2)
	v_or_b32_e32 v67, 0x80000000, v39
	v_or_b32_e32 v66, 0x80000000, v38
	v_xor_b32_e32 v36, v39, v36
	s_delay_alu instid0(VALU_DEP_3) | instskip(NEXT) | instid1(VALU_DEP_3)
	v_xor_b32_e32 v37, v67, v37
	v_xor_b32_e32 v25, v66, v25
	;; [unrolled: 1-line block ×3, first 2 shown]
	s_delay_alu instid0(VALU_DEP_1)
	v_cmp_le_u64_e64 s7, v[24:25], v[36:37]
	s_and_b32 s17, s7, exec_lo
.LBB1122_113:
	s_or_b32 exec_lo, exec_lo, s14
	s_delay_alu instid0(SALU_CYCLE_1)
	s_or_not1_b32 s14, s17, exec_lo
.LBB1122_114:
	s_or_b32 exec_lo, exec_lo, s16
	v_dual_cndmask_b32 v24, v22, v23, s14 :: v_dual_cndmask_b32 v25, v97, v96, s14
	s_mov_b32 s16, exec_lo
	s_delay_alu instid0(VALU_DEP_1) | instskip(SKIP_1) | instid1(VALU_DEP_2)
	v_add_nc_u32_e32 v37, 1, v24
	v_lshl_add_u32 v24, v24, 3, v1
	v_add_min_u32_e64 v25, v25, -1, v37
	s_delay_alu instid0(VALU_DEP_1)
	v_lshl_add_u32 v25, v25, 3, v1
	ds_load_b64 v[66:67], v25
	ds_load_b64 v[24:25], v24 offset:16384
	s_wait_dscnt 0x1
	v_dual_cndmask_b32 v39, v67, v27, s14 :: v_dual_cndmask_b32 v36, v37, v22, s14
	v_dual_cndmask_b32 v37, v23, v37, s14 :: v_dual_cndmask_b32 v38, v66, v26, s14
	;; [unrolled: 1-line block ×3, first 2 shown]
	s_delay_alu instid0(VALU_DEP_3)
	v_cmpx_lt_u32_e64 v36, v97
	s_cbranch_execz .LBB1122_118
; %bb.115:
	s_mov_b32 s17, 0
	s_mov_b32 s15, exec_lo
	v_cmpx_lt_u32_e64 v37, v96
	s_cbranch_execz .LBB1122_117
; %bb.116:
	v_add_f64_e32 v[68:69], 0, v[66:67]
	s_delay_alu instid0(VALU_DEP_1) | instskip(NEXT) | instid1(VALU_DEP_1)
	v_dual_add_f64 v[22:23], 0, v[38:39] :: v_dual_ashrrev_i32 v71, 31, v69
	v_ashrrev_i32_e32 v70, 31, v23
	s_delay_alu instid0(VALU_DEP_2) | instskip(NEXT) | instid1(VALU_DEP_2)
	v_or_b32_e32 v99, 0x80000000, v71
	v_or_b32_e32 v98, 0x80000000, v70
	v_xor_b32_e32 v68, v71, v68
	s_delay_alu instid0(VALU_DEP_3) | instskip(NEXT) | instid1(VALU_DEP_3)
	v_xor_b32_e32 v69, v99, v69
	v_xor_b32_e32 v23, v98, v23
	;; [unrolled: 1-line block ×3, first 2 shown]
	s_delay_alu instid0(VALU_DEP_1)
	v_cmp_le_u64_e64 s7, v[22:23], v[68:69]
	s_and_b32 s17, s7, exec_lo
.LBB1122_117:
	s_or_b32 exec_lo, exec_lo, s15
	s_delay_alu instid0(SALU_CYCLE_1)
	s_or_not1_b32 s15, s17, exec_lo
.LBB1122_118:
	s_or_b32 exec_lo, exec_lo, s16
	v_dual_cndmask_b32 v22, v36, v37, s15 :: v_dual_cndmask_b32 v23, v97, v96, s15
	s_mov_b32 s16, -1
	s_mov_b32 s17, exec_lo
	s_delay_alu instid0(VALU_DEP_1) | instskip(SKIP_1) | instid1(VALU_DEP_2)
	v_add_nc_u32_e32 v68, 1, v22
	v_lshl_add_u32 v22, v22, 3, v1
	v_add_min_u32_e64 v23, v23, -1, v68
	s_delay_alu instid0(VALU_DEP_1)
	v_lshl_add_u32 v23, v23, 3, v1
	ds_load_b64 v[70:71], v23
	ds_load_b64 v[22:23], v22 offset:16384
	s_wait_dscnt 0x1
	v_dual_cndmask_b32 v69, v71, v39, s15 :: v_dual_cndmask_b32 v36, v68, v36, s15
	v_dual_cndmask_b32 v37, v37, v68, s15 :: v_dual_cndmask_b32 v71, v67, v71, s15
	v_cndmask_b32_e64 v68, v70, v38, s15
	v_cndmask_b32_e64 v70, v66, v70, s15
	s_delay_alu instid0(VALU_DEP_4)
	v_cmpx_lt_u32_e64 v36, v97
	s_cbranch_execz .LBB1122_122
; %bb.119:
	s_mov_b32 s18, 0
	s_mov_b32 s16, exec_lo
	v_cmpx_lt_u32_e64 v37, v96
	s_cbranch_execz .LBB1122_121
; %bb.120:
	v_add_f64_e32 v[98:99], 0, v[70:71]
	s_delay_alu instid0(VALU_DEP_1) | instskip(NEXT) | instid1(VALU_DEP_1)
	v_dual_add_f64 v[96:97], 0, v[68:69] :: v_dual_ashrrev_i32 v101, 31, v99
	v_ashrrev_i32_e32 v100, 31, v97
	s_delay_alu instid0(VALU_DEP_2) | instskip(NEXT) | instid1(VALU_DEP_2)
	v_or_b32_e32 v103, 0x80000000, v101
	v_or_b32_e32 v102, 0x80000000, v100
	s_delay_alu instid0(VALU_DEP_4) | instskip(SKIP_1) | instid1(VALU_DEP_4)
	v_xor_b32_e32 v96, v100, v96
	v_xor_b32_e32 v98, v101, v98
	;; [unrolled: 1-line block ×3, first 2 shown]
	s_delay_alu instid0(VALU_DEP_4) | instskip(NEXT) | instid1(VALU_DEP_1)
	v_xor_b32_e32 v97, v102, v97
	v_cmp_le_u64_e64 s7, v[96:97], v[98:99]
	s_and_b32 s18, s7, exec_lo
.LBB1122_121:
	s_or_b32 exec_lo, exec_lo, s16
	s_delay_alu instid0(SALU_CYCLE_1)
	s_or_not1_b32 s16, s18, exec_lo
.LBB1122_122:
	s_or_b32 exec_lo, exec_lo, s17
	v_dual_cndmask_b32 v36, v36, v37, s16 :: v_dual_cndmask_b32 v39, v39, v67, s15
	v_dual_cndmask_b32 v38, v38, v66, s15 :: v_dual_cndmask_b32 v27, v27, v65, s14
	;; [unrolled: 1-line block ×3, first 2 shown]
	s_delay_alu instid0(VALU_DEP_3)
	v_lshl_add_u32 v36, v36, 3, v1
	v_dual_cndmask_b32 v34, v34, v54, s13 :: v_dual_cndmask_b32 v49, v49, v53, s12
	v_dual_cndmask_b32 v48, v48, v52, s12 :: v_dual_cndmask_b32 v33, v33, v51, s11
	ds_load_b64 v[36:37], v36 offset:16384
	v_dual_cndmask_b32 v32, v32, v50, s11 :: v_dual_cndmask_b32 v29, v29, v31, s8
	v_dual_cndmask_b32 v28, v28, v30, s8 :: v_dual_cndmask_b32 v19, v21, v19, s10
	;; [unrolled: 1-line block ×3, first 2 shown]
	v_cndmask_b32_e64 v20, v68, v70, s16
.LBB1122_123:
	s_or_b32 exec_lo, exec_lo, s9
	v_and_b32_e32 v50, 0xe0, v81
	s_mov_b32 s8, exec_lo
	; wave barrier
	ds_store_2addr_b64 v82, v[18:19], v[28:29] offset1:1
	ds_store_2addr_b64 v82, v[32:33], v[48:49] offset0:2 offset1:3
	v_or_b32_e32 v30, 16, v50
	ds_store_2addr_b64 v84, v[4:5], v[10:11] offset1:1
	ds_store_2addr_b64 v85, v[12:13], v[14:15] offset1:1
	ds_store_2addr_b64 v82, v[34:35], v[26:27] offset0:4 offset1:5
	ds_store_2addr_b64 v82, v[38:39], v[20:21] offset0:6 offset1:7
	ds_store_2addr_b64 v86, v[16:17], v[24:25] offset1:1
	s_wait_dscnt 0x7
	ds_store_2addr_b64 v87, v[22:23], v[36:37] offset1:1
	; wave barrier
	v_min_u32_e32 v96, v83, v30
	v_and_b32_e32 v30, 24, v81
	s_delay_alu instid0(VALU_DEP_2) | instskip(NEXT) | instid1(VALU_DEP_2)
	v_add_min_u32_e64 v97, v96, 16, v83
	v_min_u32_e32 v51, v83, v30
	s_delay_alu instid0(VALU_DEP_2) | instskip(NEXT) | instid1(VALU_DEP_1)
	v_dual_sub_nc_u32 v30, v96, v50 :: v_dual_sub_nc_u32 v31, v97, v96
	v_min_u32_e32 v52, v51, v30
	s_delay_alu instid0(VALU_DEP_2) | instskip(SKIP_1) | instid1(VALU_DEP_2)
	v_sub_nc_u32_e64 v30, v51, v31 clamp
	v_lshl_add_u32 v31, v50, 3, v1
	v_cmpx_lt_u32_e64 v30, v52
	s_cbranch_execz .LBB1122_127
; %bb.124:
	v_dual_lshlrev_b32 v53, 3, v96 :: v_dual_lshlrev_b32 v54, 3, v51
	s_mov_b32 s9, 0
	s_delay_alu instid0(VALU_DEP_1)
	v_add3_u32 v53, v1, v53, v54
.LBB1122_125:                           ; =>This Inner Loop Header: Depth=1
	v_add_nc_u32_e32 v54, v52, v30
	s_delay_alu instid0(VALU_DEP_1) | instskip(NEXT) | instid1(VALU_DEP_1)
	v_lshrrev_b32_e32 v66, 1, v54
	v_not_b32_e32 v54, v66
	v_lshl_add_u32 v55, v66, 3, v31
	s_delay_alu instid0(VALU_DEP_2) | instskip(SKIP_4) | instid1(VALU_DEP_1)
	v_lshl_add_u32 v64, v54, 3, v53
	ds_load_b64 v[54:55], v55
	ds_load_b64 v[64:65], v64
	s_wait_dscnt 0x0
	v_add_f64_e32 v[64:65], 0, v[64:65]
	v_dual_add_f64 v[54:55], 0, v[54:55] :: v_dual_ashrrev_i32 v68, 31, v65
	s_delay_alu instid0(VALU_DEP_1) | instskip(NEXT) | instid1(VALU_DEP_2)
	v_ashrrev_i32_e32 v67, 31, v55
	v_or_b32_e32 v70, 0x80000000, v68
	s_delay_alu instid0(VALU_DEP_2) | instskip(NEXT) | instid1(VALU_DEP_4)
	v_or_b32_e32 v69, 0x80000000, v67
	v_xor_b32_e32 v54, v67, v54
	v_xor_b32_e32 v64, v68, v64
	s_delay_alu instid0(VALU_DEP_4) | instskip(NEXT) | instid1(VALU_DEP_4)
	v_xor_b32_e32 v65, v70, v65
	v_xor_b32_e32 v55, v69, v55
	s_delay_alu instid0(VALU_DEP_1) | instskip(NEXT) | instid1(VALU_DEP_1)
	v_cmp_gt_u64_e64 s7, v[64:65], v[54:55]
	v_dual_add_nc_u32 v54, 1, v66 :: v_dual_cndmask_b32 v52, v52, v66, s7
	s_delay_alu instid0(VALU_DEP_1) | instskip(NEXT) | instid1(VALU_DEP_1)
	v_cndmask_b32_e64 v30, v54, v30, s7
	v_cmp_ge_u32_e64 s7, v30, v52
	s_or_b32 s9, s7, s9
	s_delay_alu instid0(SALU_CYCLE_1)
	s_and_not1_b32 exec_lo, exec_lo, s9
	s_cbranch_execnz .LBB1122_125
; %bb.126:
	s_or_b32 exec_lo, exec_lo, s9
.LBB1122_127:
	s_delay_alu instid0(SALU_CYCLE_1) | instskip(SKIP_1) | instid1(VALU_DEP_1)
	s_or_b32 exec_lo, exec_lo, s8
	v_dual_add_nc_u32 v51, v96, v51 :: v_dual_add_nc_u32 v50, v30, v50
	v_sub_nc_u32_e32 v51, v51, v30
	s_delay_alu instid0(VALU_DEP_2) | instskip(NEXT) | instid1(VALU_DEP_2)
	v_cmp_le_u32_e64 s7, v50, v96
	v_cmp_le_u32_e64 s8, v51, v97
	s_or_b32 s7, s7, s8
	s_delay_alu instid0(SALU_CYCLE_1)
	s_and_saveexec_b32 s9, s7
	s_cbranch_execz .LBB1122_163
; %bb.128:
	v_cmp_ge_u32_e64 s7, v50, v96
	s_mov_b32 s10, exec_lo
                                        ; implicit-def: $vgpr18_vgpr19
	v_cmpx_lt_u32_e64 v50, v96
; %bb.129:
	v_lshl_add_u32 v4, v30, 3, v31
	ds_load_b64 v[18:19], v4
; %bb.130:
	s_or_b32 exec_lo, exec_lo, s10
	v_cmp_ge_u32_e64 s10, v51, v97
	s_mov_b32 s11, exec_lo
                                        ; implicit-def: $vgpr20_vgpr21
	v_cmpx_lt_u32_e64 v51, v97
; %bb.131:
	v_lshl_add_u32 v4, v51, 3, v1
	ds_load_b64 v[20:21], v4
; %bb.132:
	s_or_b32 exec_lo, exec_lo, s11
	s_nor_b32 s7, s7, s10
	s_delay_alu instid0(SALU_CYCLE_1)
	s_and_saveexec_b32 s8, s7
	s_cbranch_execz .LBB1122_134
; %bb.133:
	s_wait_dscnt 0x0
	v_add_f64_e32 v[10:11], 0, v[18:19]
	v_add_f64_e32 v[4:5], 0, v[20:21]
	s_and_not1_b32 s10, s10, exec_lo
	s_delay_alu instid0(VALU_DEP_1) | instskip(NEXT) | instid1(VALU_DEP_1)
	v_dual_ashrrev_i32 v13, 31, v11 :: v_dual_ashrrev_i32 v12, 31, v5
	v_or_b32_e32 v15, 0x80000000, v13
	s_delay_alu instid0(VALU_DEP_2) | instskip(NEXT) | instid1(VALU_DEP_4)
	v_or_b32_e32 v14, 0x80000000, v12
	v_xor_b32_e32 v4, v12, v4
	v_xor_b32_e32 v10, v13, v10
	s_delay_alu instid0(VALU_DEP_4) | instskip(NEXT) | instid1(VALU_DEP_4)
	v_xor_b32_e32 v11, v15, v11
	v_xor_b32_e32 v5, v14, v5
	s_delay_alu instid0(VALU_DEP_1) | instskip(SKIP_1) | instid1(SALU_CYCLE_1)
	v_cmp_le_u64_e64 s7, v[4:5], v[10:11]
	s_and_b32 s7, s7, exec_lo
	s_or_b32 s10, s10, s7
.LBB1122_134:
	s_or_b32 exec_lo, exec_lo, s8
	v_dual_cndmask_b32 v4, v51, v50, s10 :: v_dual_cndmask_b32 v5, v97, v96, s10
	s_mov_b32 s11, -1
	s_mov_b32 s8, -1
	s_mov_b32 s12, exec_lo
	s_delay_alu instid0(VALU_DEP_1) | instskip(SKIP_1) | instid1(VALU_DEP_2)
	v_add_nc_u32_e32 v13, 1, v4
	v_lshl_add_u32 v4, v4, 3, v1
	v_add_min_u32_e64 v5, v5, -1, v13
	s_delay_alu instid0(VALU_DEP_1)
	v_lshl_add_u32 v5, v5, 3, v1
	ds_load_b64 v[10:11], v5
	ds_load_b64 v[4:5], v4 offset:16384
	s_wait_dscnt 0x1
	v_dual_cndmask_b32 v29, v11, v21, s10 :: v_dual_cndmask_b32 v12, v13, v51, s10
	v_cndmask_b32_e64 v13, v50, v13, s10
	v_dual_cndmask_b32 v28, v10, v20, s10 :: v_dual_cndmask_b32 v31, v19, v11, s10
	v_cndmask_b32_e64 v30, v18, v10, s10
	s_delay_alu instid0(VALU_DEP_4)
	v_cmpx_lt_u32_e64 v12, v97
	s_cbranch_execz .LBB1122_138
; %bb.135:
	s_mov_b32 s13, 0
	s_mov_b32 s8, exec_lo
	v_cmpx_lt_u32_e64 v13, v96
	s_cbranch_execz .LBB1122_137
; %bb.136:
	v_add_f64_e32 v[14:15], 0, v[30:31]
	s_delay_alu instid0(VALU_DEP_1) | instskip(NEXT) | instid1(VALU_DEP_1)
	v_dual_add_f64 v[10:11], 0, v[28:29] :: v_dual_ashrrev_i32 v17, 31, v15
	v_ashrrev_i32_e32 v16, 31, v11
	s_delay_alu instid0(VALU_DEP_2) | instskip(NEXT) | instid1(VALU_DEP_2)
	v_or_b32_e32 v23, 0x80000000, v17
	v_or_b32_e32 v22, 0x80000000, v16
	v_xor_b32_e32 v14, v17, v14
	s_delay_alu instid0(VALU_DEP_3) | instskip(NEXT) | instid1(VALU_DEP_3)
	v_xor_b32_e32 v15, v23, v15
	v_xor_b32_e32 v11, v22, v11
	;; [unrolled: 1-line block ×3, first 2 shown]
	s_delay_alu instid0(VALU_DEP_1)
	v_cmp_le_u64_e64 s7, v[10:11], v[14:15]
	s_and_b32 s13, s7, exec_lo
.LBB1122_137:
	s_or_b32 exec_lo, exec_lo, s8
	s_delay_alu instid0(SALU_CYCLE_1)
	s_or_not1_b32 s8, s13, exec_lo
.LBB1122_138:
	s_or_b32 exec_lo, exec_lo, s12
	v_dual_cndmask_b32 v10, v12, v13, s8 :: v_dual_cndmask_b32 v11, v97, v96, s8
	s_mov_b32 s12, exec_lo
	s_delay_alu instid0(VALU_DEP_1) | instskip(SKIP_1) | instid1(VALU_DEP_2)
	v_add_nc_u32_e32 v15, 1, v10
	v_lshl_add_u32 v10, v10, 3, v1
	v_add_min_u32_e64 v11, v11, -1, v15
	s_delay_alu instid0(VALU_DEP_1)
	v_lshl_add_u32 v11, v11, 3, v1
	ds_load_b64 v[16:17], v11
	ds_load_b64 v[10:11], v10 offset:16384
	s_wait_dscnt 0x1
	v_dual_cndmask_b32 v33, v17, v29, s8 :: v_dual_cndmask_b32 v14, v15, v12, s8
	v_dual_cndmask_b32 v15, v13, v15, s8 :: v_dual_cndmask_b32 v32, v16, v28, s8
	;; [unrolled: 1-line block ×3, first 2 shown]
	s_delay_alu instid0(VALU_DEP_3)
	v_cmpx_lt_u32_e64 v14, v97
	s_cbranch_execz .LBB1122_142
; %bb.139:
	s_mov_b32 s13, 0
	s_mov_b32 s11, exec_lo
	v_cmpx_lt_u32_e64 v15, v96
	s_cbranch_execz .LBB1122_141
; %bb.140:
	v_add_f64_e32 v[12:13], 0, v[32:33]
	s_delay_alu instid0(VALU_DEP_1) | instskip(NEXT) | instid1(VALU_DEP_1)
	v_dual_add_f64 v[16:17], 0, v[50:51] :: v_dual_ashrrev_i32 v22, 31, v13
	v_dual_ashrrev_i32 v23, 31, v17 :: v_dual_bitop2_b32 v12, v22, v12 bitop3:0x14
	v_or_b32_e32 v24, 0x80000000, v22
	s_delay_alu instid0(VALU_DEP_2) | instskip(NEXT) | instid1(VALU_DEP_4)
	v_or_b32_e32 v25, 0x80000000, v23
	v_xor_b32_e32 v16, v23, v16
	s_delay_alu instid0(VALU_DEP_3) | instskip(NEXT) | instid1(VALU_DEP_3)
	v_xor_b32_e32 v13, v24, v13
	v_xor_b32_e32 v17, v25, v17
	s_delay_alu instid0(VALU_DEP_1)
	v_cmp_le_u64_e64 s7, v[12:13], v[16:17]
	s_and_b32 s13, s7, exec_lo
.LBB1122_141:
	s_or_b32 exec_lo, exec_lo, s11
	s_delay_alu instid0(SALU_CYCLE_1)
	s_or_not1_b32 s11, s13, exec_lo
.LBB1122_142:
	s_or_b32 exec_lo, exec_lo, s12
	v_dual_cndmask_b32 v12, v14, v15, s11 :: v_dual_cndmask_b32 v13, v97, v96, s11
	s_mov_b32 s13, -1
	s_mov_b32 s12, -1
	s_mov_b32 s14, exec_lo
	s_delay_alu instid0(VALU_DEP_1) | instskip(SKIP_1) | instid1(VALU_DEP_2)
	v_add_nc_u32_e32 v17, 1, v12
	v_lshl_add_u32 v12, v12, 3, v1
	v_add_min_u32_e64 v13, v13, -1, v17
	s_delay_alu instid0(VALU_DEP_1)
	v_lshl_add_u32 v13, v13, 3, v1
	ds_load_b64 v[22:23], v13
	ds_load_b64 v[12:13], v12 offset:16384
	s_wait_dscnt 0x1
	v_dual_cndmask_b32 v49, v23, v33, s11 :: v_dual_cndmask_b32 v16, v17, v14, s11
	v_dual_cndmask_b32 v17, v15, v17, s11 :: v_dual_cndmask_b32 v48, v22, v32, s11
	v_dual_cndmask_b32 v53, v51, v23, s11 :: v_dual_cndmask_b32 v52, v50, v22, s11
	s_delay_alu instid0(VALU_DEP_3)
	v_cmpx_lt_u32_e64 v16, v97
	s_cbranch_execz .LBB1122_146
; %bb.143:
	s_mov_b32 s15, 0
	s_mov_b32 s12, exec_lo
	v_cmpx_lt_u32_e64 v17, v96
	s_cbranch_execz .LBB1122_145
; %bb.144:
	v_add_f64_e32 v[22:23], 0, v[52:53]
	s_delay_alu instid0(VALU_DEP_1) | instskip(NEXT) | instid1(VALU_DEP_1)
	v_dual_add_f64 v[14:15], 0, v[48:49] :: v_dual_ashrrev_i32 v25, 31, v23
	v_ashrrev_i32_e32 v24, 31, v15
	s_delay_alu instid0(VALU_DEP_2) | instskip(NEXT) | instid1(VALU_DEP_2)
	v_or_b32_e32 v27, 0x80000000, v25
	v_or_b32_e32 v26, 0x80000000, v24
	s_delay_alu instid0(VALU_DEP_4) | instskip(SKIP_1) | instid1(VALU_DEP_4)
	v_xor_b32_e32 v14, v24, v14
	v_xor_b32_e32 v22, v25, v22
	;; [unrolled: 1-line block ×3, first 2 shown]
	s_delay_alu instid0(VALU_DEP_4) | instskip(NEXT) | instid1(VALU_DEP_1)
	v_xor_b32_e32 v15, v26, v15
	v_cmp_le_u64_e64 s7, v[14:15], v[22:23]
	s_and_b32 s15, s7, exec_lo
.LBB1122_145:
	s_or_b32 exec_lo, exec_lo, s12
	s_delay_alu instid0(SALU_CYCLE_1)
	s_or_not1_b32 s12, s15, exec_lo
.LBB1122_146:
	s_or_b32 exec_lo, exec_lo, s14
	v_dual_cndmask_b32 v14, v16, v17, s12 :: v_dual_cndmask_b32 v15, v97, v96, s12
	s_mov_b32 s14, exec_lo
	s_delay_alu instid0(VALU_DEP_1) | instskip(SKIP_1) | instid1(VALU_DEP_2)
	v_add_nc_u32_e32 v23, 1, v14
	v_lshl_add_u32 v14, v14, 3, v1
	v_add_min_u32_e64 v15, v15, -1, v23
	s_delay_alu instid0(VALU_DEP_1)
	v_lshl_add_u32 v15, v15, 3, v1
	ds_load_b64 v[24:25], v15
	ds_load_b64 v[14:15], v14 offset:16384
	s_wait_dscnt 0x1
	v_dual_cndmask_b32 v35, v25, v49, s12 :: v_dual_cndmask_b32 v22, v23, v16, s12
	v_dual_cndmask_b32 v23, v17, v23, s12 :: v_dual_cndmask_b32 v34, v24, v48, s12
	;; [unrolled: 1-line block ×3, first 2 shown]
	s_delay_alu instid0(VALU_DEP_3)
	v_cmpx_lt_u32_e64 v22, v97
	s_cbranch_execz .LBB1122_150
; %bb.147:
	s_mov_b32 s15, 0
	s_mov_b32 s13, exec_lo
	v_cmpx_lt_u32_e64 v23, v96
	s_cbranch_execz .LBB1122_149
; %bb.148:
	v_add_f64_e32 v[24:25], 0, v[54:55]
	s_delay_alu instid0(VALU_DEP_1) | instskip(NEXT) | instid1(VALU_DEP_1)
	v_dual_add_f64 v[16:17], 0, v[34:35] :: v_dual_ashrrev_i32 v27, 31, v25
	v_ashrrev_i32_e32 v26, 31, v17
	s_delay_alu instid0(VALU_DEP_2) | instskip(NEXT) | instid1(VALU_DEP_2)
	v_or_b32_e32 v37, 0x80000000, v27
	v_or_b32_e32 v36, 0x80000000, v26
	s_delay_alu instid0(VALU_DEP_4) | instskip(SKIP_1) | instid1(VALU_DEP_4)
	v_xor_b32_e32 v16, v26, v16
	v_xor_b32_e32 v24, v27, v24
	;; [unrolled: 1-line block ×3, first 2 shown]
	s_delay_alu instid0(VALU_DEP_4) | instskip(NEXT) | instid1(VALU_DEP_1)
	v_xor_b32_e32 v17, v36, v17
	v_cmp_le_u64_e64 s7, v[16:17], v[24:25]
	s_and_b32 s15, s7, exec_lo
.LBB1122_149:
	s_or_b32 exec_lo, exec_lo, s13
	s_delay_alu instid0(SALU_CYCLE_1)
	s_or_not1_b32 s13, s15, exec_lo
.LBB1122_150:
	s_or_b32 exec_lo, exec_lo, s14
	v_dual_cndmask_b32 v16, v22, v23, s13 :: v_dual_cndmask_b32 v17, v97, v96, s13
	s_mov_b32 s15, -1
	s_mov_b32 s14, -1
	s_mov_b32 s16, exec_lo
	s_delay_alu instid0(VALU_DEP_1) | instskip(SKIP_1) | instid1(VALU_DEP_2)
	v_add_nc_u32_e32 v26, 1, v16
	v_lshl_add_u32 v16, v16, 3, v1
	v_add_min_u32_e64 v17, v17, -1, v26
	s_delay_alu instid0(VALU_DEP_1)
	v_lshl_add_u32 v17, v17, 3, v1
	ds_load_b64 v[24:25], v17
	ds_load_b64 v[16:17], v16 offset:16384
	s_wait_dscnt 0x1
	v_dual_cndmask_b32 v27, v25, v35, s13 :: v_dual_cndmask_b32 v22, v26, v22, s13
	v_cndmask_b32_e64 v65, v55, v25, s13
	v_dual_cndmask_b32 v23, v23, v26, s13 :: v_dual_cndmask_b32 v64, v54, v24, s13
	v_cndmask_b32_e64 v26, v24, v34, s13
	s_delay_alu instid0(VALU_DEP_4)
	v_cmpx_lt_u32_e64 v22, v97
	s_cbranch_execz .LBB1122_154
; %bb.151:
	s_mov_b32 s17, 0
	s_mov_b32 s14, exec_lo
	v_cmpx_lt_u32_e64 v23, v96
	s_cbranch_execz .LBB1122_153
; %bb.152:
	v_add_f64_e32 v[36:37], 0, v[64:65]
	s_delay_alu instid0(VALU_DEP_1) | instskip(NEXT) | instid1(VALU_DEP_1)
	v_dual_add_f64 v[24:25], 0, v[26:27] :: v_dual_ashrrev_i32 v39, 31, v37
	v_ashrrev_i32_e32 v38, 31, v25
	s_delay_alu instid0(VALU_DEP_2) | instskip(NEXT) | instid1(VALU_DEP_2)
	v_or_b32_e32 v67, 0x80000000, v39
	v_or_b32_e32 v66, 0x80000000, v38
	v_xor_b32_e32 v36, v39, v36
	s_delay_alu instid0(VALU_DEP_3) | instskip(NEXT) | instid1(VALU_DEP_3)
	v_xor_b32_e32 v37, v67, v37
	v_xor_b32_e32 v25, v66, v25
	;; [unrolled: 1-line block ×3, first 2 shown]
	s_delay_alu instid0(VALU_DEP_1)
	v_cmp_le_u64_e64 s7, v[24:25], v[36:37]
	s_and_b32 s17, s7, exec_lo
.LBB1122_153:
	s_or_b32 exec_lo, exec_lo, s14
	s_delay_alu instid0(SALU_CYCLE_1)
	s_or_not1_b32 s14, s17, exec_lo
.LBB1122_154:
	s_or_b32 exec_lo, exec_lo, s16
	v_dual_cndmask_b32 v24, v22, v23, s14 :: v_dual_cndmask_b32 v25, v97, v96, s14
	s_mov_b32 s16, exec_lo
	s_delay_alu instid0(VALU_DEP_1) | instskip(SKIP_1) | instid1(VALU_DEP_2)
	v_add_nc_u32_e32 v37, 1, v24
	v_lshl_add_u32 v24, v24, 3, v1
	v_add_min_u32_e64 v25, v25, -1, v37
	s_delay_alu instid0(VALU_DEP_1)
	v_lshl_add_u32 v25, v25, 3, v1
	ds_load_b64 v[66:67], v25
	ds_load_b64 v[24:25], v24 offset:16384
	s_wait_dscnt 0x1
	v_dual_cndmask_b32 v39, v67, v27, s14 :: v_dual_cndmask_b32 v36, v37, v22, s14
	v_dual_cndmask_b32 v37, v23, v37, s14 :: v_dual_cndmask_b32 v38, v66, v26, s14
	;; [unrolled: 1-line block ×3, first 2 shown]
	s_delay_alu instid0(VALU_DEP_3)
	v_cmpx_lt_u32_e64 v36, v97
	s_cbranch_execz .LBB1122_158
; %bb.155:
	s_mov_b32 s17, 0
	s_mov_b32 s15, exec_lo
	v_cmpx_lt_u32_e64 v37, v96
	s_cbranch_execz .LBB1122_157
; %bb.156:
	v_add_f64_e32 v[68:69], 0, v[66:67]
	s_delay_alu instid0(VALU_DEP_1) | instskip(NEXT) | instid1(VALU_DEP_1)
	v_dual_add_f64 v[22:23], 0, v[38:39] :: v_dual_ashrrev_i32 v71, 31, v69
	v_ashrrev_i32_e32 v70, 31, v23
	s_delay_alu instid0(VALU_DEP_2) | instskip(NEXT) | instid1(VALU_DEP_2)
	v_or_b32_e32 v99, 0x80000000, v71
	v_or_b32_e32 v98, 0x80000000, v70
	v_xor_b32_e32 v68, v71, v68
	s_delay_alu instid0(VALU_DEP_3) | instskip(NEXT) | instid1(VALU_DEP_3)
	v_xor_b32_e32 v69, v99, v69
	v_xor_b32_e32 v23, v98, v23
	;; [unrolled: 1-line block ×3, first 2 shown]
	s_delay_alu instid0(VALU_DEP_1)
	v_cmp_le_u64_e64 s7, v[22:23], v[68:69]
	s_and_b32 s17, s7, exec_lo
.LBB1122_157:
	s_or_b32 exec_lo, exec_lo, s15
	s_delay_alu instid0(SALU_CYCLE_1)
	s_or_not1_b32 s15, s17, exec_lo
.LBB1122_158:
	s_or_b32 exec_lo, exec_lo, s16
	v_dual_cndmask_b32 v22, v36, v37, s15 :: v_dual_cndmask_b32 v23, v97, v96, s15
	s_mov_b32 s16, -1
	s_mov_b32 s17, exec_lo
	s_delay_alu instid0(VALU_DEP_1) | instskip(SKIP_1) | instid1(VALU_DEP_2)
	v_add_nc_u32_e32 v68, 1, v22
	v_lshl_add_u32 v22, v22, 3, v1
	v_add_min_u32_e64 v23, v23, -1, v68
	s_delay_alu instid0(VALU_DEP_1)
	v_lshl_add_u32 v23, v23, 3, v1
	ds_load_b64 v[70:71], v23
	ds_load_b64 v[22:23], v22 offset:16384
	s_wait_dscnt 0x1
	v_dual_cndmask_b32 v69, v71, v39, s15 :: v_dual_cndmask_b32 v36, v68, v36, s15
	v_dual_cndmask_b32 v37, v37, v68, s15 :: v_dual_cndmask_b32 v71, v67, v71, s15
	v_cndmask_b32_e64 v68, v70, v38, s15
	v_cndmask_b32_e64 v70, v66, v70, s15
	s_delay_alu instid0(VALU_DEP_4)
	v_cmpx_lt_u32_e64 v36, v97
	s_cbranch_execz .LBB1122_162
; %bb.159:
	s_mov_b32 s18, 0
	s_mov_b32 s16, exec_lo
	v_cmpx_lt_u32_e64 v37, v96
	s_cbranch_execz .LBB1122_161
; %bb.160:
	v_add_f64_e32 v[98:99], 0, v[70:71]
	s_delay_alu instid0(VALU_DEP_1) | instskip(NEXT) | instid1(VALU_DEP_1)
	v_dual_add_f64 v[96:97], 0, v[68:69] :: v_dual_ashrrev_i32 v101, 31, v99
	v_ashrrev_i32_e32 v100, 31, v97
	s_delay_alu instid0(VALU_DEP_2) | instskip(NEXT) | instid1(VALU_DEP_2)
	v_or_b32_e32 v103, 0x80000000, v101
	v_or_b32_e32 v102, 0x80000000, v100
	s_delay_alu instid0(VALU_DEP_4) | instskip(SKIP_1) | instid1(VALU_DEP_4)
	v_xor_b32_e32 v96, v100, v96
	v_xor_b32_e32 v98, v101, v98
	;; [unrolled: 1-line block ×3, first 2 shown]
	s_delay_alu instid0(VALU_DEP_4) | instskip(NEXT) | instid1(VALU_DEP_1)
	v_xor_b32_e32 v97, v102, v97
	v_cmp_le_u64_e64 s7, v[96:97], v[98:99]
	s_and_b32 s18, s7, exec_lo
.LBB1122_161:
	s_or_b32 exec_lo, exec_lo, s16
	s_delay_alu instid0(SALU_CYCLE_1)
	s_or_not1_b32 s16, s18, exec_lo
.LBB1122_162:
	s_or_b32 exec_lo, exec_lo, s17
	v_dual_cndmask_b32 v36, v36, v37, s16 :: v_dual_cndmask_b32 v39, v39, v67, s15
	v_dual_cndmask_b32 v38, v38, v66, s15 :: v_dual_cndmask_b32 v27, v27, v65, s14
	;; [unrolled: 1-line block ×3, first 2 shown]
	s_delay_alu instid0(VALU_DEP_3)
	v_lshl_add_u32 v36, v36, 3, v1
	v_dual_cndmask_b32 v34, v34, v54, s13 :: v_dual_cndmask_b32 v49, v49, v53, s12
	v_dual_cndmask_b32 v48, v48, v52, s12 :: v_dual_cndmask_b32 v33, v33, v51, s11
	ds_load_b64 v[36:37], v36 offset:16384
	v_dual_cndmask_b32 v32, v32, v50, s11 :: v_dual_cndmask_b32 v29, v29, v31, s8
	v_dual_cndmask_b32 v28, v28, v30, s8 :: v_dual_cndmask_b32 v19, v21, v19, s10
	;; [unrolled: 1-line block ×3, first 2 shown]
	v_cndmask_b32_e64 v20, v68, v70, s16
.LBB1122_163:
	s_or_b32 exec_lo, exec_lo, s9
	v_and_b32_e32 v50, 0xc0, v81
	s_mov_b32 s8, exec_lo
	; wave barrier
	ds_store_2addr_b64 v82, v[18:19], v[28:29] offset1:1
	ds_store_2addr_b64 v82, v[32:33], v[48:49] offset0:2 offset1:3
	v_or_b32_e32 v30, 32, v50
	ds_store_2addr_b64 v84, v[4:5], v[10:11] offset1:1
	ds_store_2addr_b64 v85, v[12:13], v[14:15] offset1:1
	ds_store_2addr_b64 v82, v[34:35], v[26:27] offset0:4 offset1:5
	ds_store_2addr_b64 v82, v[38:39], v[20:21] offset0:6 offset1:7
	ds_store_2addr_b64 v86, v[16:17], v[24:25] offset1:1
	s_wait_dscnt 0x7
	ds_store_2addr_b64 v87, v[22:23], v[36:37] offset1:1
	; wave barrier
	v_min_u32_e32 v96, v83, v30
	v_and_b32_e32 v30, 56, v81
	s_delay_alu instid0(VALU_DEP_2) | instskip(NEXT) | instid1(VALU_DEP_2)
	v_add_min_u32_e64 v97, v96, 32, v83
	v_min_u32_e32 v51, v83, v30
	s_delay_alu instid0(VALU_DEP_2) | instskip(NEXT) | instid1(VALU_DEP_1)
	v_dual_sub_nc_u32 v30, v96, v50 :: v_dual_sub_nc_u32 v31, v97, v96
	v_min_u32_e32 v52, v51, v30
	s_delay_alu instid0(VALU_DEP_2) | instskip(SKIP_1) | instid1(VALU_DEP_2)
	v_sub_nc_u32_e64 v30, v51, v31 clamp
	v_lshl_add_u32 v31, v50, 3, v1
	v_cmpx_lt_u32_e64 v30, v52
	s_cbranch_execz .LBB1122_167
; %bb.164:
	v_dual_lshlrev_b32 v53, 3, v96 :: v_dual_lshlrev_b32 v54, 3, v51
	s_mov_b32 s9, 0
	s_delay_alu instid0(VALU_DEP_1)
	v_add3_u32 v53, v1, v53, v54
.LBB1122_165:                           ; =>This Inner Loop Header: Depth=1
	v_add_nc_u32_e32 v54, v52, v30
	s_delay_alu instid0(VALU_DEP_1) | instskip(NEXT) | instid1(VALU_DEP_1)
	v_lshrrev_b32_e32 v66, 1, v54
	v_not_b32_e32 v54, v66
	v_lshl_add_u32 v55, v66, 3, v31
	s_delay_alu instid0(VALU_DEP_2) | instskip(SKIP_4) | instid1(VALU_DEP_1)
	v_lshl_add_u32 v64, v54, 3, v53
	ds_load_b64 v[54:55], v55
	ds_load_b64 v[64:65], v64
	s_wait_dscnt 0x0
	v_add_f64_e32 v[64:65], 0, v[64:65]
	v_dual_add_f64 v[54:55], 0, v[54:55] :: v_dual_ashrrev_i32 v68, 31, v65
	s_delay_alu instid0(VALU_DEP_1) | instskip(NEXT) | instid1(VALU_DEP_2)
	v_ashrrev_i32_e32 v67, 31, v55
	v_or_b32_e32 v70, 0x80000000, v68
	s_delay_alu instid0(VALU_DEP_2) | instskip(NEXT) | instid1(VALU_DEP_4)
	v_or_b32_e32 v69, 0x80000000, v67
	v_xor_b32_e32 v54, v67, v54
	v_xor_b32_e32 v64, v68, v64
	s_delay_alu instid0(VALU_DEP_4) | instskip(NEXT) | instid1(VALU_DEP_4)
	v_xor_b32_e32 v65, v70, v65
	v_xor_b32_e32 v55, v69, v55
	s_delay_alu instid0(VALU_DEP_1) | instskip(NEXT) | instid1(VALU_DEP_1)
	v_cmp_gt_u64_e64 s7, v[64:65], v[54:55]
	v_dual_add_nc_u32 v54, 1, v66 :: v_dual_cndmask_b32 v52, v52, v66, s7
	s_delay_alu instid0(VALU_DEP_1) | instskip(NEXT) | instid1(VALU_DEP_1)
	v_cndmask_b32_e64 v30, v54, v30, s7
	v_cmp_ge_u32_e64 s7, v30, v52
	s_or_b32 s9, s7, s9
	s_delay_alu instid0(SALU_CYCLE_1)
	s_and_not1_b32 exec_lo, exec_lo, s9
	s_cbranch_execnz .LBB1122_165
; %bb.166:
	s_or_b32 exec_lo, exec_lo, s9
.LBB1122_167:
	s_delay_alu instid0(SALU_CYCLE_1) | instskip(SKIP_1) | instid1(VALU_DEP_1)
	s_or_b32 exec_lo, exec_lo, s8
	v_dual_add_nc_u32 v51, v96, v51 :: v_dual_add_nc_u32 v50, v30, v50
	v_sub_nc_u32_e32 v51, v51, v30
	s_delay_alu instid0(VALU_DEP_2) | instskip(NEXT) | instid1(VALU_DEP_2)
	v_cmp_le_u32_e64 s7, v50, v96
	v_cmp_le_u32_e64 s8, v51, v97
	s_or_b32 s7, s7, s8
	s_delay_alu instid0(SALU_CYCLE_1)
	s_and_saveexec_b32 s9, s7
	s_cbranch_execz .LBB1122_203
; %bb.168:
	v_cmp_ge_u32_e64 s7, v50, v96
	s_mov_b32 s10, exec_lo
                                        ; implicit-def: $vgpr18_vgpr19
	v_cmpx_lt_u32_e64 v50, v96
; %bb.169:
	v_lshl_add_u32 v4, v30, 3, v31
	ds_load_b64 v[18:19], v4
; %bb.170:
	s_or_b32 exec_lo, exec_lo, s10
	v_cmp_ge_u32_e64 s10, v51, v97
	s_mov_b32 s11, exec_lo
                                        ; implicit-def: $vgpr20_vgpr21
	v_cmpx_lt_u32_e64 v51, v97
; %bb.171:
	v_lshl_add_u32 v4, v51, 3, v1
	ds_load_b64 v[20:21], v4
; %bb.172:
	s_or_b32 exec_lo, exec_lo, s11
	s_nor_b32 s7, s7, s10
	s_delay_alu instid0(SALU_CYCLE_1)
	s_and_saveexec_b32 s8, s7
	s_cbranch_execz .LBB1122_174
; %bb.173:
	s_wait_dscnt 0x0
	v_add_f64_e32 v[10:11], 0, v[18:19]
	v_add_f64_e32 v[4:5], 0, v[20:21]
	s_and_not1_b32 s10, s10, exec_lo
	s_delay_alu instid0(VALU_DEP_1) | instskip(NEXT) | instid1(VALU_DEP_1)
	v_dual_ashrrev_i32 v13, 31, v11 :: v_dual_ashrrev_i32 v12, 31, v5
	v_or_b32_e32 v15, 0x80000000, v13
	s_delay_alu instid0(VALU_DEP_2) | instskip(NEXT) | instid1(VALU_DEP_4)
	v_or_b32_e32 v14, 0x80000000, v12
	v_xor_b32_e32 v4, v12, v4
	v_xor_b32_e32 v10, v13, v10
	s_delay_alu instid0(VALU_DEP_4) | instskip(NEXT) | instid1(VALU_DEP_4)
	v_xor_b32_e32 v11, v15, v11
	v_xor_b32_e32 v5, v14, v5
	s_delay_alu instid0(VALU_DEP_1) | instskip(SKIP_1) | instid1(SALU_CYCLE_1)
	v_cmp_le_u64_e64 s7, v[4:5], v[10:11]
	s_and_b32 s7, s7, exec_lo
	s_or_b32 s10, s10, s7
.LBB1122_174:
	s_or_b32 exec_lo, exec_lo, s8
	v_dual_cndmask_b32 v4, v51, v50, s10 :: v_dual_cndmask_b32 v5, v97, v96, s10
	s_mov_b32 s11, -1
	s_mov_b32 s8, -1
	s_mov_b32 s12, exec_lo
	s_delay_alu instid0(VALU_DEP_1) | instskip(SKIP_1) | instid1(VALU_DEP_2)
	v_add_nc_u32_e32 v13, 1, v4
	v_lshl_add_u32 v4, v4, 3, v1
	v_add_min_u32_e64 v5, v5, -1, v13
	s_delay_alu instid0(VALU_DEP_1)
	v_lshl_add_u32 v5, v5, 3, v1
	ds_load_b64 v[10:11], v5
	ds_load_b64 v[4:5], v4 offset:16384
	s_wait_dscnt 0x1
	v_dual_cndmask_b32 v29, v11, v21, s10 :: v_dual_cndmask_b32 v12, v13, v51, s10
	v_cndmask_b32_e64 v13, v50, v13, s10
	v_dual_cndmask_b32 v28, v10, v20, s10 :: v_dual_cndmask_b32 v31, v19, v11, s10
	v_cndmask_b32_e64 v30, v18, v10, s10
	s_delay_alu instid0(VALU_DEP_4)
	v_cmpx_lt_u32_e64 v12, v97
	s_cbranch_execz .LBB1122_178
; %bb.175:
	s_mov_b32 s13, 0
	s_mov_b32 s8, exec_lo
	v_cmpx_lt_u32_e64 v13, v96
	s_cbranch_execz .LBB1122_177
; %bb.176:
	v_add_f64_e32 v[14:15], 0, v[30:31]
	s_delay_alu instid0(VALU_DEP_1) | instskip(NEXT) | instid1(VALU_DEP_1)
	v_dual_add_f64 v[10:11], 0, v[28:29] :: v_dual_ashrrev_i32 v17, 31, v15
	v_ashrrev_i32_e32 v16, 31, v11
	s_delay_alu instid0(VALU_DEP_2) | instskip(NEXT) | instid1(VALU_DEP_2)
	v_or_b32_e32 v23, 0x80000000, v17
	v_or_b32_e32 v22, 0x80000000, v16
	v_xor_b32_e32 v14, v17, v14
	s_delay_alu instid0(VALU_DEP_3) | instskip(NEXT) | instid1(VALU_DEP_3)
	v_xor_b32_e32 v15, v23, v15
	v_xor_b32_e32 v11, v22, v11
	;; [unrolled: 1-line block ×3, first 2 shown]
	s_delay_alu instid0(VALU_DEP_1)
	v_cmp_le_u64_e64 s7, v[10:11], v[14:15]
	s_and_b32 s13, s7, exec_lo
.LBB1122_177:
	s_or_b32 exec_lo, exec_lo, s8
	s_delay_alu instid0(SALU_CYCLE_1)
	s_or_not1_b32 s8, s13, exec_lo
.LBB1122_178:
	s_or_b32 exec_lo, exec_lo, s12
	v_dual_cndmask_b32 v10, v12, v13, s8 :: v_dual_cndmask_b32 v11, v97, v96, s8
	s_mov_b32 s12, exec_lo
	s_delay_alu instid0(VALU_DEP_1) | instskip(SKIP_1) | instid1(VALU_DEP_2)
	v_add_nc_u32_e32 v15, 1, v10
	v_lshl_add_u32 v10, v10, 3, v1
	v_add_min_u32_e64 v11, v11, -1, v15
	s_delay_alu instid0(VALU_DEP_1)
	v_lshl_add_u32 v11, v11, 3, v1
	ds_load_b64 v[16:17], v11
	ds_load_b64 v[10:11], v10 offset:16384
	s_wait_dscnt 0x1
	v_dual_cndmask_b32 v33, v17, v29, s8 :: v_dual_cndmask_b32 v14, v15, v12, s8
	v_dual_cndmask_b32 v15, v13, v15, s8 :: v_dual_cndmask_b32 v32, v16, v28, s8
	;; [unrolled: 1-line block ×3, first 2 shown]
	s_delay_alu instid0(VALU_DEP_3)
	v_cmpx_lt_u32_e64 v14, v97
	s_cbranch_execz .LBB1122_182
; %bb.179:
	s_mov_b32 s13, 0
	s_mov_b32 s11, exec_lo
	v_cmpx_lt_u32_e64 v15, v96
	s_cbranch_execz .LBB1122_181
; %bb.180:
	v_add_f64_e32 v[12:13], 0, v[32:33]
	s_delay_alu instid0(VALU_DEP_1) | instskip(NEXT) | instid1(VALU_DEP_1)
	v_dual_add_f64 v[16:17], 0, v[50:51] :: v_dual_ashrrev_i32 v22, 31, v13
	v_dual_ashrrev_i32 v23, 31, v17 :: v_dual_bitop2_b32 v12, v22, v12 bitop3:0x14
	v_or_b32_e32 v24, 0x80000000, v22
	s_delay_alu instid0(VALU_DEP_2) | instskip(NEXT) | instid1(VALU_DEP_4)
	v_or_b32_e32 v25, 0x80000000, v23
	v_xor_b32_e32 v16, v23, v16
	s_delay_alu instid0(VALU_DEP_3) | instskip(NEXT) | instid1(VALU_DEP_3)
	v_xor_b32_e32 v13, v24, v13
	v_xor_b32_e32 v17, v25, v17
	s_delay_alu instid0(VALU_DEP_1)
	v_cmp_le_u64_e64 s7, v[12:13], v[16:17]
	s_and_b32 s13, s7, exec_lo
.LBB1122_181:
	s_or_b32 exec_lo, exec_lo, s11
	s_delay_alu instid0(SALU_CYCLE_1)
	s_or_not1_b32 s11, s13, exec_lo
.LBB1122_182:
	s_or_b32 exec_lo, exec_lo, s12
	v_dual_cndmask_b32 v12, v14, v15, s11 :: v_dual_cndmask_b32 v13, v97, v96, s11
	s_mov_b32 s13, -1
	s_mov_b32 s12, -1
	s_mov_b32 s14, exec_lo
	s_delay_alu instid0(VALU_DEP_1) | instskip(SKIP_1) | instid1(VALU_DEP_2)
	v_add_nc_u32_e32 v17, 1, v12
	v_lshl_add_u32 v12, v12, 3, v1
	v_add_min_u32_e64 v13, v13, -1, v17
	s_delay_alu instid0(VALU_DEP_1)
	v_lshl_add_u32 v13, v13, 3, v1
	ds_load_b64 v[22:23], v13
	ds_load_b64 v[12:13], v12 offset:16384
	s_wait_dscnt 0x1
	v_dual_cndmask_b32 v49, v23, v33, s11 :: v_dual_cndmask_b32 v16, v17, v14, s11
	v_dual_cndmask_b32 v17, v15, v17, s11 :: v_dual_cndmask_b32 v48, v22, v32, s11
	;; [unrolled: 1-line block ×3, first 2 shown]
	s_delay_alu instid0(VALU_DEP_3)
	v_cmpx_lt_u32_e64 v16, v97
	s_cbranch_execz .LBB1122_186
; %bb.183:
	s_mov_b32 s15, 0
	s_mov_b32 s12, exec_lo
	v_cmpx_lt_u32_e64 v17, v96
	s_cbranch_execz .LBB1122_185
; %bb.184:
	v_add_f64_e32 v[22:23], 0, v[52:53]
	s_delay_alu instid0(VALU_DEP_1) | instskip(NEXT) | instid1(VALU_DEP_1)
	v_dual_add_f64 v[14:15], 0, v[48:49] :: v_dual_ashrrev_i32 v25, 31, v23
	v_ashrrev_i32_e32 v24, 31, v15
	s_delay_alu instid0(VALU_DEP_2) | instskip(NEXT) | instid1(VALU_DEP_2)
	v_or_b32_e32 v27, 0x80000000, v25
	v_or_b32_e32 v26, 0x80000000, v24
	s_delay_alu instid0(VALU_DEP_4) | instskip(SKIP_1) | instid1(VALU_DEP_4)
	v_xor_b32_e32 v14, v24, v14
	v_xor_b32_e32 v22, v25, v22
	;; [unrolled: 1-line block ×3, first 2 shown]
	s_delay_alu instid0(VALU_DEP_4) | instskip(NEXT) | instid1(VALU_DEP_1)
	v_xor_b32_e32 v15, v26, v15
	v_cmp_le_u64_e64 s7, v[14:15], v[22:23]
	s_and_b32 s15, s7, exec_lo
.LBB1122_185:
	s_or_b32 exec_lo, exec_lo, s12
	s_delay_alu instid0(SALU_CYCLE_1)
	s_or_not1_b32 s12, s15, exec_lo
.LBB1122_186:
	s_or_b32 exec_lo, exec_lo, s14
	v_dual_cndmask_b32 v14, v16, v17, s12 :: v_dual_cndmask_b32 v15, v97, v96, s12
	s_mov_b32 s14, exec_lo
	s_delay_alu instid0(VALU_DEP_1) | instskip(SKIP_1) | instid1(VALU_DEP_2)
	v_add_nc_u32_e32 v23, 1, v14
	v_lshl_add_u32 v14, v14, 3, v1
	v_add_min_u32_e64 v15, v15, -1, v23
	s_delay_alu instid0(VALU_DEP_1)
	v_lshl_add_u32 v15, v15, 3, v1
	ds_load_b64 v[24:25], v15
	ds_load_b64 v[14:15], v14 offset:16384
	s_wait_dscnt 0x1
	v_dual_cndmask_b32 v35, v25, v49, s12 :: v_dual_cndmask_b32 v22, v23, v16, s12
	v_dual_cndmask_b32 v23, v17, v23, s12 :: v_dual_cndmask_b32 v34, v24, v48, s12
	;; [unrolled: 1-line block ×3, first 2 shown]
	s_delay_alu instid0(VALU_DEP_3)
	v_cmpx_lt_u32_e64 v22, v97
	s_cbranch_execz .LBB1122_190
; %bb.187:
	s_mov_b32 s15, 0
	s_mov_b32 s13, exec_lo
	v_cmpx_lt_u32_e64 v23, v96
	s_cbranch_execz .LBB1122_189
; %bb.188:
	v_add_f64_e32 v[24:25], 0, v[54:55]
	s_delay_alu instid0(VALU_DEP_1) | instskip(NEXT) | instid1(VALU_DEP_1)
	v_dual_add_f64 v[16:17], 0, v[34:35] :: v_dual_ashrrev_i32 v27, 31, v25
	v_ashrrev_i32_e32 v26, 31, v17
	s_delay_alu instid0(VALU_DEP_2) | instskip(NEXT) | instid1(VALU_DEP_2)
	v_or_b32_e32 v37, 0x80000000, v27
	v_or_b32_e32 v36, 0x80000000, v26
	s_delay_alu instid0(VALU_DEP_4) | instskip(SKIP_1) | instid1(VALU_DEP_4)
	v_xor_b32_e32 v16, v26, v16
	v_xor_b32_e32 v24, v27, v24
	;; [unrolled: 1-line block ×3, first 2 shown]
	s_delay_alu instid0(VALU_DEP_4) | instskip(NEXT) | instid1(VALU_DEP_1)
	v_xor_b32_e32 v17, v36, v17
	v_cmp_le_u64_e64 s7, v[16:17], v[24:25]
	s_and_b32 s15, s7, exec_lo
.LBB1122_189:
	s_or_b32 exec_lo, exec_lo, s13
	s_delay_alu instid0(SALU_CYCLE_1)
	s_or_not1_b32 s13, s15, exec_lo
.LBB1122_190:
	s_or_b32 exec_lo, exec_lo, s14
	v_dual_cndmask_b32 v16, v22, v23, s13 :: v_dual_cndmask_b32 v17, v97, v96, s13
	s_mov_b32 s15, -1
	s_mov_b32 s14, -1
	s_mov_b32 s16, exec_lo
	s_delay_alu instid0(VALU_DEP_1) | instskip(SKIP_1) | instid1(VALU_DEP_2)
	v_add_nc_u32_e32 v26, 1, v16
	v_lshl_add_u32 v16, v16, 3, v1
	v_add_min_u32_e64 v17, v17, -1, v26
	s_delay_alu instid0(VALU_DEP_1)
	v_lshl_add_u32 v17, v17, 3, v1
	ds_load_b64 v[24:25], v17
	ds_load_b64 v[16:17], v16 offset:16384
	s_wait_dscnt 0x1
	v_dual_cndmask_b32 v27, v25, v35, s13 :: v_dual_cndmask_b32 v22, v26, v22, s13
	v_cndmask_b32_e64 v65, v55, v25, s13
	v_dual_cndmask_b32 v23, v23, v26, s13 :: v_dual_cndmask_b32 v64, v54, v24, s13
	v_cndmask_b32_e64 v26, v24, v34, s13
	s_delay_alu instid0(VALU_DEP_4)
	v_cmpx_lt_u32_e64 v22, v97
	s_cbranch_execz .LBB1122_194
; %bb.191:
	s_mov_b32 s17, 0
	s_mov_b32 s14, exec_lo
	v_cmpx_lt_u32_e64 v23, v96
	s_cbranch_execz .LBB1122_193
; %bb.192:
	v_add_f64_e32 v[36:37], 0, v[64:65]
	s_delay_alu instid0(VALU_DEP_1) | instskip(NEXT) | instid1(VALU_DEP_1)
	v_dual_add_f64 v[24:25], 0, v[26:27] :: v_dual_ashrrev_i32 v39, 31, v37
	v_ashrrev_i32_e32 v38, 31, v25
	s_delay_alu instid0(VALU_DEP_2) | instskip(NEXT) | instid1(VALU_DEP_2)
	v_or_b32_e32 v67, 0x80000000, v39
	v_or_b32_e32 v66, 0x80000000, v38
	v_xor_b32_e32 v36, v39, v36
	s_delay_alu instid0(VALU_DEP_3) | instskip(NEXT) | instid1(VALU_DEP_3)
	v_xor_b32_e32 v37, v67, v37
	v_xor_b32_e32 v25, v66, v25
	;; [unrolled: 1-line block ×3, first 2 shown]
	s_delay_alu instid0(VALU_DEP_1)
	v_cmp_le_u64_e64 s7, v[24:25], v[36:37]
	s_and_b32 s17, s7, exec_lo
.LBB1122_193:
	s_or_b32 exec_lo, exec_lo, s14
	s_delay_alu instid0(SALU_CYCLE_1)
	s_or_not1_b32 s14, s17, exec_lo
.LBB1122_194:
	s_or_b32 exec_lo, exec_lo, s16
	v_dual_cndmask_b32 v24, v22, v23, s14 :: v_dual_cndmask_b32 v25, v97, v96, s14
	s_mov_b32 s16, exec_lo
	s_delay_alu instid0(VALU_DEP_1) | instskip(SKIP_1) | instid1(VALU_DEP_2)
	v_add_nc_u32_e32 v37, 1, v24
	v_lshl_add_u32 v24, v24, 3, v1
	v_add_min_u32_e64 v25, v25, -1, v37
	s_delay_alu instid0(VALU_DEP_1)
	v_lshl_add_u32 v25, v25, 3, v1
	ds_load_b64 v[66:67], v25
	ds_load_b64 v[24:25], v24 offset:16384
	s_wait_dscnt 0x1
	v_dual_cndmask_b32 v39, v67, v27, s14 :: v_dual_cndmask_b32 v36, v37, v22, s14
	v_dual_cndmask_b32 v37, v23, v37, s14 :: v_dual_cndmask_b32 v38, v66, v26, s14
	v_dual_cndmask_b32 v67, v65, v67, s14 :: v_dual_cndmask_b32 v66, v64, v66, s14
	s_delay_alu instid0(VALU_DEP_3)
	v_cmpx_lt_u32_e64 v36, v97
	s_cbranch_execz .LBB1122_198
; %bb.195:
	s_mov_b32 s17, 0
	s_mov_b32 s15, exec_lo
	v_cmpx_lt_u32_e64 v37, v96
	s_cbranch_execz .LBB1122_197
; %bb.196:
	v_add_f64_e32 v[68:69], 0, v[66:67]
	s_delay_alu instid0(VALU_DEP_1) | instskip(NEXT) | instid1(VALU_DEP_1)
	v_dual_add_f64 v[22:23], 0, v[38:39] :: v_dual_ashrrev_i32 v71, 31, v69
	v_ashrrev_i32_e32 v70, 31, v23
	s_delay_alu instid0(VALU_DEP_2) | instskip(NEXT) | instid1(VALU_DEP_2)
	v_or_b32_e32 v99, 0x80000000, v71
	v_or_b32_e32 v98, 0x80000000, v70
	v_xor_b32_e32 v68, v71, v68
	s_delay_alu instid0(VALU_DEP_3) | instskip(NEXT) | instid1(VALU_DEP_3)
	v_xor_b32_e32 v69, v99, v69
	v_xor_b32_e32 v23, v98, v23
	;; [unrolled: 1-line block ×3, first 2 shown]
	s_delay_alu instid0(VALU_DEP_1)
	v_cmp_le_u64_e64 s7, v[22:23], v[68:69]
	s_and_b32 s17, s7, exec_lo
.LBB1122_197:
	s_or_b32 exec_lo, exec_lo, s15
	s_delay_alu instid0(SALU_CYCLE_1)
	s_or_not1_b32 s15, s17, exec_lo
.LBB1122_198:
	s_or_b32 exec_lo, exec_lo, s16
	v_dual_cndmask_b32 v22, v36, v37, s15 :: v_dual_cndmask_b32 v23, v97, v96, s15
	s_mov_b32 s16, -1
	s_mov_b32 s17, exec_lo
	s_delay_alu instid0(VALU_DEP_1) | instskip(SKIP_1) | instid1(VALU_DEP_2)
	v_add_nc_u32_e32 v68, 1, v22
	v_lshl_add_u32 v22, v22, 3, v1
	v_add_min_u32_e64 v23, v23, -1, v68
	s_delay_alu instid0(VALU_DEP_1)
	v_lshl_add_u32 v23, v23, 3, v1
	ds_load_b64 v[70:71], v23
	ds_load_b64 v[22:23], v22 offset:16384
	s_wait_dscnt 0x1
	v_dual_cndmask_b32 v69, v71, v39, s15 :: v_dual_cndmask_b32 v36, v68, v36, s15
	v_dual_cndmask_b32 v37, v37, v68, s15 :: v_dual_cndmask_b32 v71, v67, v71, s15
	v_cndmask_b32_e64 v68, v70, v38, s15
	v_cndmask_b32_e64 v70, v66, v70, s15
	s_delay_alu instid0(VALU_DEP_4)
	v_cmpx_lt_u32_e64 v36, v97
	s_cbranch_execz .LBB1122_202
; %bb.199:
	s_mov_b32 s18, 0
	s_mov_b32 s16, exec_lo
	v_cmpx_lt_u32_e64 v37, v96
	s_cbranch_execz .LBB1122_201
; %bb.200:
	v_add_f64_e32 v[98:99], 0, v[70:71]
	s_delay_alu instid0(VALU_DEP_1) | instskip(NEXT) | instid1(VALU_DEP_1)
	v_dual_add_f64 v[96:97], 0, v[68:69] :: v_dual_ashrrev_i32 v101, 31, v99
	v_ashrrev_i32_e32 v100, 31, v97
	s_delay_alu instid0(VALU_DEP_2) | instskip(NEXT) | instid1(VALU_DEP_2)
	v_or_b32_e32 v103, 0x80000000, v101
	v_or_b32_e32 v102, 0x80000000, v100
	s_delay_alu instid0(VALU_DEP_4) | instskip(SKIP_1) | instid1(VALU_DEP_4)
	v_xor_b32_e32 v96, v100, v96
	v_xor_b32_e32 v98, v101, v98
	;; [unrolled: 1-line block ×3, first 2 shown]
	s_delay_alu instid0(VALU_DEP_4) | instskip(NEXT) | instid1(VALU_DEP_1)
	v_xor_b32_e32 v97, v102, v97
	v_cmp_le_u64_e64 s7, v[96:97], v[98:99]
	s_and_b32 s18, s7, exec_lo
.LBB1122_201:
	s_or_b32 exec_lo, exec_lo, s16
	s_delay_alu instid0(SALU_CYCLE_1)
	s_or_not1_b32 s16, s18, exec_lo
.LBB1122_202:
	s_or_b32 exec_lo, exec_lo, s17
	v_dual_cndmask_b32 v36, v36, v37, s16 :: v_dual_cndmask_b32 v39, v39, v67, s15
	v_dual_cndmask_b32 v38, v38, v66, s15 :: v_dual_cndmask_b32 v27, v27, v65, s14
	;; [unrolled: 1-line block ×3, first 2 shown]
	s_delay_alu instid0(VALU_DEP_3)
	v_lshl_add_u32 v36, v36, 3, v1
	v_dual_cndmask_b32 v34, v34, v54, s13 :: v_dual_cndmask_b32 v49, v49, v53, s12
	v_dual_cndmask_b32 v48, v48, v52, s12 :: v_dual_cndmask_b32 v33, v33, v51, s11
	ds_load_b64 v[36:37], v36 offset:16384
	v_dual_cndmask_b32 v32, v32, v50, s11 :: v_dual_cndmask_b32 v29, v29, v31, s8
	v_dual_cndmask_b32 v28, v28, v30, s8 :: v_dual_cndmask_b32 v19, v21, v19, s10
	;; [unrolled: 1-line block ×3, first 2 shown]
	v_cndmask_b32_e64 v20, v68, v70, s16
.LBB1122_203:
	s_or_b32 exec_lo, exec_lo, s9
	v_and_b32_e32 v50, 0x80, v81
	v_min_u32_e32 v51, v83, v80
	s_mov_b32 s8, exec_lo
	; wave barrier
	s_delay_alu instid0(VALU_DEP_2)
	v_or_b32_e32 v30, 64, v50
	ds_store_2addr_b64 v82, v[18:19], v[28:29] offset1:1
	ds_store_2addr_b64 v82, v[32:33], v[48:49] offset0:2 offset1:3
	ds_store_2addr_b64 v84, v[4:5], v[10:11] offset1:1
	ds_store_2addr_b64 v85, v[12:13], v[14:15] offset1:1
	ds_store_2addr_b64 v82, v[34:35], v[26:27] offset0:4 offset1:5
	ds_store_2addr_b64 v82, v[38:39], v[20:21] offset0:6 offset1:7
	ds_store_2addr_b64 v86, v[16:17], v[24:25] offset1:1
	s_wait_dscnt 0x7
	ds_store_2addr_b64 v87, v[22:23], v[36:37] offset1:1
	v_min_u32_e32 v81, v83, v30
	; wave barrier
	s_delay_alu instid0(VALU_DEP_1) | instskip(NEXT) | instid1(VALU_DEP_1)
	v_add_min_u32_e64 v96, v81, 64, v83
	v_dual_sub_nc_u32 v30, v81, v50 :: v_dual_sub_nc_u32 v31, v96, v81
	s_delay_alu instid0(VALU_DEP_1) | instskip(NEXT) | instid1(VALU_DEP_2)
	v_min_u32_e32 v52, v51, v30
	v_sub_nc_u32_e64 v30, v51, v31 clamp
	v_lshl_add_u32 v31, v50, 3, v1
	s_delay_alu instid0(VALU_DEP_2)
	v_cmpx_lt_u32_e64 v30, v52
	s_cbranch_execz .LBB1122_207
; %bb.204:
	v_dual_lshlrev_b32 v53, 3, v81 :: v_dual_lshlrev_b32 v54, 3, v51
	s_mov_b32 s9, 0
	s_delay_alu instid0(VALU_DEP_1)
	v_add3_u32 v53, v1, v53, v54
.LBB1122_205:                           ; =>This Inner Loop Header: Depth=1
	v_add_nc_u32_e32 v54, v52, v30
	s_delay_alu instid0(VALU_DEP_1) | instskip(NEXT) | instid1(VALU_DEP_1)
	v_lshrrev_b32_e32 v66, 1, v54
	v_not_b32_e32 v54, v66
	v_lshl_add_u32 v55, v66, 3, v31
	s_delay_alu instid0(VALU_DEP_2) | instskip(SKIP_4) | instid1(VALU_DEP_1)
	v_lshl_add_u32 v64, v54, 3, v53
	ds_load_b64 v[54:55], v55
	ds_load_b64 v[64:65], v64
	s_wait_dscnt 0x0
	v_add_f64_e32 v[64:65], 0, v[64:65]
	v_dual_add_f64 v[54:55], 0, v[54:55] :: v_dual_ashrrev_i32 v68, 31, v65
	s_delay_alu instid0(VALU_DEP_1) | instskip(NEXT) | instid1(VALU_DEP_2)
	v_ashrrev_i32_e32 v67, 31, v55
	v_or_b32_e32 v70, 0x80000000, v68
	s_delay_alu instid0(VALU_DEP_2) | instskip(NEXT) | instid1(VALU_DEP_4)
	v_or_b32_e32 v69, 0x80000000, v67
	v_xor_b32_e32 v54, v67, v54
	v_xor_b32_e32 v64, v68, v64
	s_delay_alu instid0(VALU_DEP_4) | instskip(NEXT) | instid1(VALU_DEP_4)
	v_xor_b32_e32 v65, v70, v65
	v_xor_b32_e32 v55, v69, v55
	s_delay_alu instid0(VALU_DEP_1) | instskip(NEXT) | instid1(VALU_DEP_1)
	v_cmp_gt_u64_e64 s7, v[64:65], v[54:55]
	v_dual_add_nc_u32 v54, 1, v66 :: v_dual_cndmask_b32 v52, v52, v66, s7
	s_delay_alu instid0(VALU_DEP_1) | instskip(NEXT) | instid1(VALU_DEP_1)
	v_cndmask_b32_e64 v30, v54, v30, s7
	v_cmp_ge_u32_e64 s7, v30, v52
	s_or_b32 s9, s7, s9
	s_delay_alu instid0(SALU_CYCLE_1)
	s_and_not1_b32 exec_lo, exec_lo, s9
	s_cbranch_execnz .LBB1122_205
; %bb.206:
	s_or_b32 exec_lo, exec_lo, s9
.LBB1122_207:
	s_delay_alu instid0(SALU_CYCLE_1) | instskip(SKIP_1) | instid1(VALU_DEP_1)
	s_or_b32 exec_lo, exec_lo, s8
	v_dual_add_nc_u32 v51, v81, v51 :: v_dual_add_nc_u32 v50, v30, v50
	v_sub_nc_u32_e32 v51, v51, v30
	s_delay_alu instid0(VALU_DEP_2) | instskip(NEXT) | instid1(VALU_DEP_2)
	v_cmp_le_u32_e64 s7, v50, v81
	v_cmp_le_u32_e64 s8, v51, v96
	s_or_b32 s7, s7, s8
	s_delay_alu instid0(SALU_CYCLE_1)
	s_and_saveexec_b32 s9, s7
	s_cbranch_execz .LBB1122_243
; %bb.208:
	v_cmp_ge_u32_e64 s7, v50, v81
	s_mov_b32 s10, exec_lo
                                        ; implicit-def: $vgpr18_vgpr19
	v_cmpx_lt_u32_e64 v50, v81
; %bb.209:
	v_lshl_add_u32 v4, v30, 3, v31
	ds_load_b64 v[18:19], v4
; %bb.210:
	s_or_b32 exec_lo, exec_lo, s10
	v_cmp_ge_u32_e64 s10, v51, v96
	s_mov_b32 s11, exec_lo
                                        ; implicit-def: $vgpr20_vgpr21
	v_cmpx_lt_u32_e64 v51, v96
; %bb.211:
	v_lshl_add_u32 v4, v51, 3, v1
	ds_load_b64 v[20:21], v4
; %bb.212:
	s_or_b32 exec_lo, exec_lo, s11
	s_nor_b32 s7, s7, s10
	s_delay_alu instid0(SALU_CYCLE_1)
	s_and_saveexec_b32 s8, s7
	s_cbranch_execz .LBB1122_214
; %bb.213:
	s_wait_dscnt 0x0
	v_add_f64_e32 v[10:11], 0, v[18:19]
	v_add_f64_e32 v[4:5], 0, v[20:21]
	s_and_not1_b32 s10, s10, exec_lo
	s_delay_alu instid0(VALU_DEP_1) | instskip(NEXT) | instid1(VALU_DEP_1)
	v_dual_ashrrev_i32 v13, 31, v11 :: v_dual_ashrrev_i32 v12, 31, v5
	v_or_b32_e32 v15, 0x80000000, v13
	s_delay_alu instid0(VALU_DEP_2) | instskip(NEXT) | instid1(VALU_DEP_4)
	v_or_b32_e32 v14, 0x80000000, v12
	v_xor_b32_e32 v4, v12, v4
	v_xor_b32_e32 v10, v13, v10
	s_delay_alu instid0(VALU_DEP_4) | instskip(NEXT) | instid1(VALU_DEP_4)
	v_xor_b32_e32 v11, v15, v11
	v_xor_b32_e32 v5, v14, v5
	s_delay_alu instid0(VALU_DEP_1) | instskip(SKIP_1) | instid1(SALU_CYCLE_1)
	v_cmp_le_u64_e64 s7, v[4:5], v[10:11]
	s_and_b32 s7, s7, exec_lo
	s_or_b32 s10, s10, s7
.LBB1122_214:
	s_or_b32 exec_lo, exec_lo, s8
	v_dual_cndmask_b32 v4, v51, v50, s10 :: v_dual_cndmask_b32 v5, v96, v81, s10
	s_mov_b32 s11, -1
	s_mov_b32 s8, -1
	s_mov_b32 s12, exec_lo
	s_delay_alu instid0(VALU_DEP_1) | instskip(SKIP_1) | instid1(VALU_DEP_2)
	v_add_nc_u32_e32 v13, 1, v4
	v_lshl_add_u32 v4, v4, 3, v1
	v_add_min_u32_e64 v5, v5, -1, v13
	s_delay_alu instid0(VALU_DEP_1)
	v_lshl_add_u32 v5, v5, 3, v1
	ds_load_b64 v[10:11], v5
	ds_load_b64 v[4:5], v4 offset:16384
	s_wait_dscnt 0x1
	v_dual_cndmask_b32 v29, v11, v21, s10 :: v_dual_cndmask_b32 v12, v13, v51, s10
	v_cndmask_b32_e64 v13, v50, v13, s10
	v_dual_cndmask_b32 v28, v10, v20, s10 :: v_dual_cndmask_b32 v31, v19, v11, s10
	v_cndmask_b32_e64 v30, v18, v10, s10
	s_delay_alu instid0(VALU_DEP_4)
	v_cmpx_lt_u32_e64 v12, v96
	s_cbranch_execz .LBB1122_218
; %bb.215:
	s_mov_b32 s13, 0
	s_mov_b32 s8, exec_lo
	v_cmpx_lt_u32_e64 v13, v81
	s_cbranch_execz .LBB1122_217
; %bb.216:
	v_add_f64_e32 v[14:15], 0, v[30:31]
	s_delay_alu instid0(VALU_DEP_1) | instskip(NEXT) | instid1(VALU_DEP_1)
	v_dual_add_f64 v[10:11], 0, v[28:29] :: v_dual_ashrrev_i32 v17, 31, v15
	v_ashrrev_i32_e32 v16, 31, v11
	s_delay_alu instid0(VALU_DEP_2) | instskip(NEXT) | instid1(VALU_DEP_2)
	v_or_b32_e32 v23, 0x80000000, v17
	v_or_b32_e32 v22, 0x80000000, v16
	v_xor_b32_e32 v14, v17, v14
	s_delay_alu instid0(VALU_DEP_3) | instskip(NEXT) | instid1(VALU_DEP_3)
	v_xor_b32_e32 v15, v23, v15
	v_xor_b32_e32 v11, v22, v11
	;; [unrolled: 1-line block ×3, first 2 shown]
	s_delay_alu instid0(VALU_DEP_1)
	v_cmp_le_u64_e64 s7, v[10:11], v[14:15]
	s_and_b32 s13, s7, exec_lo
.LBB1122_217:
	s_or_b32 exec_lo, exec_lo, s8
	s_delay_alu instid0(SALU_CYCLE_1)
	s_or_not1_b32 s8, s13, exec_lo
.LBB1122_218:
	s_or_b32 exec_lo, exec_lo, s12
	v_cndmask_b32_e64 v10, v12, v13, s8
	v_cndmask_b32_e64 v11, v96, v81, s8
	s_mov_b32 s12, exec_lo
	s_delay_alu instid0(VALU_DEP_2) | instskip(NEXT) | instid1(VALU_DEP_1)
	v_add_nc_u32_e32 v15, 1, v10
	v_add_min_u32_e64 v11, v11, -1, v15
	v_cndmask_b32_e64 v14, v15, v12, s8
	v_lshl_add_u32 v10, v10, 3, v1
	s_delay_alu instid0(VALU_DEP_3)
	v_lshl_add_u32 v11, v11, 3, v1
	ds_load_b64 v[16:17], v11
	ds_load_b64 v[10:11], v10 offset:16384
	s_wait_dscnt 0x1
	v_dual_cndmask_b32 v15, v13, v15, s8 :: v_dual_cndmask_b32 v32, v16, v28, s8
	v_dual_cndmask_b32 v33, v17, v29, s8 :: v_dual_cndmask_b32 v50, v30, v16, s8
	v_cndmask_b32_e64 v51, v31, v17, s8
	v_cmpx_lt_u32_e64 v14, v96
	s_cbranch_execz .LBB1122_222
; %bb.219:
	s_mov_b32 s13, 0
	s_mov_b32 s11, exec_lo
	v_cmpx_lt_u32_e64 v15, v81
	s_cbranch_execz .LBB1122_221
; %bb.220:
	v_add_f64_e32 v[12:13], 0, v[32:33]
	s_delay_alu instid0(VALU_DEP_1) | instskip(NEXT) | instid1(VALU_DEP_1)
	v_dual_add_f64 v[16:17], 0, v[50:51] :: v_dual_ashrrev_i32 v22, 31, v13
	v_dual_ashrrev_i32 v23, 31, v17 :: v_dual_bitop2_b32 v12, v22, v12 bitop3:0x14
	v_or_b32_e32 v24, 0x80000000, v22
	s_delay_alu instid0(VALU_DEP_2) | instskip(NEXT) | instid1(VALU_DEP_4)
	v_or_b32_e32 v25, 0x80000000, v23
	v_xor_b32_e32 v16, v23, v16
	s_delay_alu instid0(VALU_DEP_3) | instskip(NEXT) | instid1(VALU_DEP_3)
	v_xor_b32_e32 v13, v24, v13
	v_xor_b32_e32 v17, v25, v17
	s_delay_alu instid0(VALU_DEP_1)
	v_cmp_le_u64_e64 s7, v[12:13], v[16:17]
	s_and_b32 s13, s7, exec_lo
.LBB1122_221:
	s_or_b32 exec_lo, exec_lo, s11
	s_delay_alu instid0(SALU_CYCLE_1)
	s_or_not1_b32 s11, s13, exec_lo
.LBB1122_222:
	s_or_b32 exec_lo, exec_lo, s12
	v_dual_cndmask_b32 v12, v14, v15, s11 :: v_dual_cndmask_b32 v13, v96, v81, s11
	s_mov_b32 s13, -1
	s_mov_b32 s12, -1
	s_mov_b32 s14, exec_lo
	s_delay_alu instid0(VALU_DEP_1) | instskip(SKIP_1) | instid1(VALU_DEP_2)
	v_add_nc_u32_e32 v17, 1, v12
	v_lshl_add_u32 v12, v12, 3, v1
	v_add_min_u32_e64 v13, v13, -1, v17
	s_delay_alu instid0(VALU_DEP_1)
	v_lshl_add_u32 v13, v13, 3, v1
	ds_load_b64 v[22:23], v13
	ds_load_b64 v[12:13], v12 offset:16384
	s_wait_dscnt 0x1
	v_dual_cndmask_b32 v49, v23, v33, s11 :: v_dual_cndmask_b32 v16, v17, v14, s11
	v_dual_cndmask_b32 v17, v15, v17, s11 :: v_dual_cndmask_b32 v48, v22, v32, s11
	;; [unrolled: 1-line block ×3, first 2 shown]
	s_delay_alu instid0(VALU_DEP_3)
	v_cmpx_lt_u32_e64 v16, v96
	s_cbranch_execz .LBB1122_226
; %bb.223:
	s_mov_b32 s15, 0
	s_mov_b32 s12, exec_lo
	v_cmpx_lt_u32_e64 v17, v81
	s_cbranch_execz .LBB1122_225
; %bb.224:
	v_add_f64_e32 v[22:23], 0, v[52:53]
	s_delay_alu instid0(VALU_DEP_1) | instskip(NEXT) | instid1(VALU_DEP_1)
	v_dual_add_f64 v[14:15], 0, v[48:49] :: v_dual_ashrrev_i32 v25, 31, v23
	v_ashrrev_i32_e32 v24, 31, v15
	s_delay_alu instid0(VALU_DEP_2) | instskip(NEXT) | instid1(VALU_DEP_2)
	v_or_b32_e32 v27, 0x80000000, v25
	v_or_b32_e32 v26, 0x80000000, v24
	s_delay_alu instid0(VALU_DEP_4) | instskip(SKIP_1) | instid1(VALU_DEP_4)
	v_xor_b32_e32 v14, v24, v14
	v_xor_b32_e32 v22, v25, v22
	;; [unrolled: 1-line block ×3, first 2 shown]
	s_delay_alu instid0(VALU_DEP_4) | instskip(NEXT) | instid1(VALU_DEP_1)
	v_xor_b32_e32 v15, v26, v15
	v_cmp_le_u64_e64 s7, v[14:15], v[22:23]
	s_and_b32 s15, s7, exec_lo
.LBB1122_225:
	s_or_b32 exec_lo, exec_lo, s12
	s_delay_alu instid0(SALU_CYCLE_1)
	s_or_not1_b32 s12, s15, exec_lo
.LBB1122_226:
	s_or_b32 exec_lo, exec_lo, s14
	v_cndmask_b32_e64 v14, v16, v17, s12
	v_cndmask_b32_e64 v15, v96, v81, s12
	s_mov_b32 s14, exec_lo
	s_delay_alu instid0(VALU_DEP_2) | instskip(NEXT) | instid1(VALU_DEP_1)
	v_add_nc_u32_e32 v23, 1, v14
	v_add_min_u32_e64 v15, v15, -1, v23
	v_cndmask_b32_e64 v22, v23, v16, s12
	v_lshl_add_u32 v14, v14, 3, v1
	s_delay_alu instid0(VALU_DEP_3)
	v_lshl_add_u32 v15, v15, 3, v1
	ds_load_b64 v[24:25], v15
	ds_load_b64 v[14:15], v14 offset:16384
	s_wait_dscnt 0x1
	v_dual_cndmask_b32 v23, v17, v23, s12 :: v_dual_cndmask_b32 v34, v24, v48, s12
	v_dual_cndmask_b32 v35, v25, v49, s12 :: v_dual_cndmask_b32 v54, v52, v24, s12
	v_cndmask_b32_e64 v55, v53, v25, s12
	v_cmpx_lt_u32_e64 v22, v96
	s_cbranch_execz .LBB1122_230
; %bb.227:
	s_mov_b32 s15, 0
	s_mov_b32 s13, exec_lo
	v_cmpx_lt_u32_e64 v23, v81
	s_cbranch_execz .LBB1122_229
; %bb.228:
	v_add_f64_e32 v[24:25], 0, v[54:55]
	s_delay_alu instid0(VALU_DEP_1) | instskip(NEXT) | instid1(VALU_DEP_1)
	v_dual_add_f64 v[16:17], 0, v[34:35] :: v_dual_ashrrev_i32 v27, 31, v25
	v_ashrrev_i32_e32 v26, 31, v17
	s_delay_alu instid0(VALU_DEP_2) | instskip(NEXT) | instid1(VALU_DEP_2)
	v_or_b32_e32 v37, 0x80000000, v27
	v_or_b32_e32 v36, 0x80000000, v26
	s_delay_alu instid0(VALU_DEP_4) | instskip(SKIP_1) | instid1(VALU_DEP_4)
	v_xor_b32_e32 v16, v26, v16
	v_xor_b32_e32 v24, v27, v24
	v_xor_b32_e32 v25, v37, v25
	s_delay_alu instid0(VALU_DEP_4) | instskip(NEXT) | instid1(VALU_DEP_1)
	v_xor_b32_e32 v17, v36, v17
	v_cmp_le_u64_e64 s7, v[16:17], v[24:25]
	s_and_b32 s15, s7, exec_lo
.LBB1122_229:
	s_or_b32 exec_lo, exec_lo, s13
	s_delay_alu instid0(SALU_CYCLE_1)
	s_or_not1_b32 s13, s15, exec_lo
.LBB1122_230:
	s_or_b32 exec_lo, exec_lo, s14
	v_dual_cndmask_b32 v16, v22, v23, s13 :: v_dual_cndmask_b32 v17, v96, v81, s13
	s_mov_b32 s15, -1
	s_mov_b32 s14, -1
	s_mov_b32 s16, exec_lo
	s_delay_alu instid0(VALU_DEP_1) | instskip(SKIP_1) | instid1(VALU_DEP_2)
	v_add_nc_u32_e32 v26, 1, v16
	v_lshl_add_u32 v16, v16, 3, v1
	v_add_min_u32_e64 v17, v17, -1, v26
	s_delay_alu instid0(VALU_DEP_1)
	v_lshl_add_u32 v17, v17, 3, v1
	ds_load_b64 v[24:25], v17
	ds_load_b64 v[16:17], v16 offset:16384
	s_wait_dscnt 0x1
	v_dual_cndmask_b32 v27, v25, v35, s13 :: v_dual_cndmask_b32 v22, v26, v22, s13
	v_cndmask_b32_e64 v65, v55, v25, s13
	v_dual_cndmask_b32 v23, v23, v26, s13 :: v_dual_cndmask_b32 v64, v54, v24, s13
	v_cndmask_b32_e64 v26, v24, v34, s13
	s_delay_alu instid0(VALU_DEP_4)
	v_cmpx_lt_u32_e64 v22, v96
	s_cbranch_execz .LBB1122_234
; %bb.231:
	s_mov_b32 s17, 0
	s_mov_b32 s14, exec_lo
	v_cmpx_lt_u32_e64 v23, v81
	s_cbranch_execz .LBB1122_233
; %bb.232:
	v_add_f64_e32 v[36:37], 0, v[64:65]
	s_delay_alu instid0(VALU_DEP_1) | instskip(NEXT) | instid1(VALU_DEP_1)
	v_dual_add_f64 v[24:25], 0, v[26:27] :: v_dual_ashrrev_i32 v39, 31, v37
	v_ashrrev_i32_e32 v38, 31, v25
	s_delay_alu instid0(VALU_DEP_2) | instskip(NEXT) | instid1(VALU_DEP_2)
	v_or_b32_e32 v67, 0x80000000, v39
	v_or_b32_e32 v66, 0x80000000, v38
	v_xor_b32_e32 v36, v39, v36
	s_delay_alu instid0(VALU_DEP_3) | instskip(NEXT) | instid1(VALU_DEP_3)
	v_xor_b32_e32 v37, v67, v37
	v_xor_b32_e32 v25, v66, v25
	;; [unrolled: 1-line block ×3, first 2 shown]
	s_delay_alu instid0(VALU_DEP_1)
	v_cmp_le_u64_e64 s7, v[24:25], v[36:37]
	s_and_b32 s17, s7, exec_lo
.LBB1122_233:
	s_or_b32 exec_lo, exec_lo, s14
	s_delay_alu instid0(SALU_CYCLE_1)
	s_or_not1_b32 s14, s17, exec_lo
.LBB1122_234:
	s_or_b32 exec_lo, exec_lo, s16
	v_dual_cndmask_b32 v24, v22, v23, s14 :: v_dual_cndmask_b32 v25, v96, v81, s14
	s_mov_b32 s16, exec_lo
	s_delay_alu instid0(VALU_DEP_1) | instskip(SKIP_1) | instid1(VALU_DEP_2)
	v_add_nc_u32_e32 v37, 1, v24
	v_lshl_add_u32 v24, v24, 3, v1
	v_add_min_u32_e64 v25, v25, -1, v37
	s_delay_alu instid0(VALU_DEP_1)
	v_lshl_add_u32 v25, v25, 3, v1
	ds_load_b64 v[66:67], v25
	ds_load_b64 v[24:25], v24 offset:16384
	s_wait_dscnt 0x1
	v_dual_cndmask_b32 v39, v67, v27, s14 :: v_dual_cndmask_b32 v36, v37, v22, s14
	v_dual_cndmask_b32 v37, v23, v37, s14 :: v_dual_cndmask_b32 v38, v66, v26, s14
	;; [unrolled: 1-line block ×3, first 2 shown]
	s_delay_alu instid0(VALU_DEP_3)
	v_cmpx_lt_u32_e64 v36, v96
	s_cbranch_execz .LBB1122_238
; %bb.235:
	s_mov_b32 s17, 0
	s_mov_b32 s15, exec_lo
	v_cmpx_lt_u32_e64 v37, v81
	s_cbranch_execz .LBB1122_237
; %bb.236:
	v_add_f64_e32 v[68:69], 0, v[66:67]
	s_delay_alu instid0(VALU_DEP_1) | instskip(NEXT) | instid1(VALU_DEP_1)
	v_dual_add_f64 v[22:23], 0, v[38:39] :: v_dual_ashrrev_i32 v71, 31, v69
	v_ashrrev_i32_e32 v70, 31, v23
	s_delay_alu instid0(VALU_DEP_2) | instskip(NEXT) | instid1(VALU_DEP_2)
	v_or_b32_e32 v82, 0x80000000, v71
	v_or_b32_e32 v80, 0x80000000, v70
	v_xor_b32_e32 v68, v71, v68
	s_delay_alu instid0(VALU_DEP_3) | instskip(NEXT) | instid1(VALU_DEP_3)
	v_xor_b32_e32 v69, v82, v69
	v_xor_b32_e32 v23, v80, v23
	;; [unrolled: 1-line block ×3, first 2 shown]
	s_delay_alu instid0(VALU_DEP_1)
	v_cmp_le_u64_e64 s7, v[22:23], v[68:69]
	s_and_b32 s17, s7, exec_lo
.LBB1122_237:
	s_or_b32 exec_lo, exec_lo, s15
	s_delay_alu instid0(SALU_CYCLE_1)
	s_or_not1_b32 s15, s17, exec_lo
.LBB1122_238:
	s_or_b32 exec_lo, exec_lo, s16
	v_cndmask_b32_e64 v22, v36, v37, s15
	v_cndmask_b32_e64 v23, v96, v81, s15
	s_mov_b32 s16, -1
	s_mov_b32 s17, exec_lo
	s_delay_alu instid0(VALU_DEP_2) | instskip(NEXT) | instid1(VALU_DEP_1)
	v_add_nc_u32_e32 v68, 1, v22
	v_add_min_u32_e64 v23, v23, -1, v68
	v_cndmask_b32_e64 v37, v37, v68, s15
	v_lshl_add_u32 v22, v22, 3, v1
	s_delay_alu instid0(VALU_DEP_3)
	v_lshl_add_u32 v23, v23, 3, v1
	ds_load_b64 v[70:71], v23
	ds_load_b64 v[22:23], v22 offset:16384
	s_wait_dscnt 0x1
	v_dual_cndmask_b32 v36, v68, v36, s15 :: v_dual_cndmask_b32 v69, v71, v39, s15
	v_dual_cndmask_b32 v68, v70, v38, s15 :: v_dual_cndmask_b32 v71, v67, v71, s15
	v_cndmask_b32_e64 v70, v66, v70, s15
	s_delay_alu instid0(VALU_DEP_3)
	v_cmpx_lt_u32_e64 v36, v96
	s_cbranch_execz .LBB1122_242
; %bb.239:
	s_mov_b32 s18, 0
	s_mov_b32 s16, exec_lo
	v_cmpx_lt_u32_e64 v37, v81
	s_cbranch_execz .LBB1122_241
; %bb.240:
	v_add_f64_e32 v[82:83], 0, v[70:71]
	s_delay_alu instid0(VALU_DEP_1) | instskip(NEXT) | instid1(VALU_DEP_1)
	v_dual_add_f64 v[80:81], 0, v[68:69] :: v_dual_ashrrev_i32 v85, 31, v83
	v_ashrrev_i32_e32 v84, 31, v81
	s_delay_alu instid0(VALU_DEP_2) | instskip(NEXT) | instid1(VALU_DEP_2)
	v_or_b32_e32 v87, 0x80000000, v85
	v_or_b32_e32 v86, 0x80000000, v84
	s_delay_alu instid0(VALU_DEP_4) | instskip(SKIP_1) | instid1(VALU_DEP_4)
	v_xor_b32_e32 v80, v84, v80
	v_xor_b32_e32 v82, v85, v82
	;; [unrolled: 1-line block ×3, first 2 shown]
	s_delay_alu instid0(VALU_DEP_4) | instskip(NEXT) | instid1(VALU_DEP_1)
	v_xor_b32_e32 v81, v86, v81
	v_cmp_le_u64_e64 s7, v[80:81], v[82:83]
	s_and_b32 s18, s7, exec_lo
.LBB1122_241:
	s_or_b32 exec_lo, exec_lo, s16
	s_delay_alu instid0(SALU_CYCLE_1)
	s_or_not1_b32 s16, s18, exec_lo
.LBB1122_242:
	s_or_b32 exec_lo, exec_lo, s17
	v_dual_cndmask_b32 v36, v36, v37, s16 :: v_dual_cndmask_b32 v39, v39, v67, s15
	v_dual_cndmask_b32 v38, v38, v66, s15 :: v_dual_cndmask_b32 v27, v27, v65, s14
	;; [unrolled: 1-line block ×3, first 2 shown]
	s_delay_alu instid0(VALU_DEP_3)
	v_lshl_add_u32 v1, v36, 3, v1
	v_dual_cndmask_b32 v34, v34, v54, s13 :: v_dual_cndmask_b32 v49, v49, v53, s12
	v_dual_cndmask_b32 v48, v48, v52, s12 :: v_dual_cndmask_b32 v33, v33, v51, s11
	ds_load_b64 v[36:37], v1 offset:16384
	v_dual_cndmask_b32 v32, v32, v50, s11 :: v_dual_cndmask_b32 v29, v29, v31, s8
	v_dual_cndmask_b32 v28, v28, v30, s8 :: v_dual_cndmask_b32 v19, v21, v19, s10
	;; [unrolled: 1-line block ×3, first 2 shown]
	v_cndmask_b32_e64 v20, v68, v70, s16
.LBB1122_243:
	s_or_b32 exec_lo, exec_lo, s9
	v_lshl_add_u64 v[2:3], v[8:9], 3, v[2:3]
	v_mov_b32_e32 v1, 0
	; wave barrier
	s_wait_storecnt_dscnt 0x0
	s_barrier_signal -1
	s_delay_alu instid0(VALU_DEP_1)
	v_add_nc_u64_e32 v[2:3], v[2:3], v[0:1]
	s_barrier_wait -1
	; wave barrier
	s_and_saveexec_b32 s7, vcc_lo
	s_cbranch_execnz .LBB1122_268
; %bb.244:
	s_or_b32 exec_lo, exec_lo, s7
	s_and_saveexec_b32 s7, s0
	s_cbranch_execnz .LBB1122_269
.LBB1122_245:
	s_or_b32 exec_lo, exec_lo, s7
	s_and_saveexec_b32 s7, s1
	s_cbranch_execnz .LBB1122_270
.LBB1122_246:
	s_or_b32 exec_lo, exec_lo, s7
	s_and_saveexec_b32 s7, s2
	s_cbranch_execnz .LBB1122_271
.LBB1122_247:
	s_or_b32 exec_lo, exec_lo, s7
	s_and_saveexec_b32 s7, s3
	s_cbranch_execnz .LBB1122_272
.LBB1122_248:
	s_or_b32 exec_lo, exec_lo, s7
	s_and_saveexec_b32 s7, s4
	s_cbranch_execnz .LBB1122_273
.LBB1122_249:
	s_or_b32 exec_lo, exec_lo, s7
	s_and_saveexec_b32 s7, s5
	s_cbranch_execnz .LBB1122_274
.LBB1122_250:
	s_or_b32 exec_lo, exec_lo, s7
	s_and_saveexec_b32 s7, s6
	s_cbranch_execz .LBB1122_252
.LBB1122_251:
	flat_store_b64 v[2:3], v[20:21] offset:56
.LBB1122_252:
	s_wait_xcnt 0x0
	s_or_b32 exec_lo, exec_lo, s7
	v_lshl_add_u64 v[2:3], v[8:9], 3, v[6:7]
	v_mov_b32_e32 v1, 0
	; wave barrier
	s_delay_alu instid0(VALU_DEP_1)
	v_add_nc_u64_e32 v[0:1], v[2:3], v[0:1]
	s_and_saveexec_b32 s7, vcc_lo
	s_cbranch_execnz .LBB1122_275
; %bb.253:
	s_or_b32 exec_lo, exec_lo, s7
	s_and_saveexec_b32 s7, s0
	s_cbranch_execnz .LBB1122_276
.LBB1122_254:
	s_or_b32 exec_lo, exec_lo, s7
	s_and_saveexec_b32 s0, s1
	s_cbranch_execnz .LBB1122_277
.LBB1122_255:
	s_or_b32 exec_lo, exec_lo, s0
	s_and_saveexec_b32 s0, s2
	s_cbranch_execnz .LBB1122_278
.LBB1122_256:
	s_or_b32 exec_lo, exec_lo, s0
	s_and_saveexec_b32 s0, s3
	s_cbranch_execnz .LBB1122_279
.LBB1122_257:
	s_or_b32 exec_lo, exec_lo, s0
	s_and_saveexec_b32 s0, s4
	s_cbranch_execnz .LBB1122_280
.LBB1122_258:
	s_or_b32 exec_lo, exec_lo, s0
	s_and_saveexec_b32 s0, s5
	s_cbranch_execnz .LBB1122_281
.LBB1122_259:
	s_or_b32 exec_lo, exec_lo, s0
	s_and_saveexec_b32 s0, s6
	s_cbranch_execnz .LBB1122_282
.LBB1122_260:
	s_or_b32 exec_lo, exec_lo, s0
	s_wait_dscnt 0x0
	s_set_pc_i64 s[30:31]
.LBB1122_261:
	flat_load_b64 v[4:5], v[50:51]
	s_wait_xcnt 0x0
	s_or_b32 exec_lo, exec_lo, s7
	s_and_saveexec_b32 s7, s0
                                        ; implicit-def: $vgpr10_vgpr11
	s_cbranch_execz .LBB1122_18
.LBB1122_262:
	flat_load_b64 v[10:11], v[50:51] offset:8
	s_wait_xcnt 0x0
	s_or_b32 exec_lo, exec_lo, s7
                                        ; implicit-def: $vgpr12_vgpr13
	s_and_saveexec_b32 s7, s1
	s_cbranch_execz .LBB1122_19
.LBB1122_263:
	flat_load_b64 v[12:13], v[50:51] offset:16
	s_wait_xcnt 0x0
	s_or_b32 exec_lo, exec_lo, s7
	s_and_saveexec_b32 s7, s2
                                        ; implicit-def: $vgpr14_vgpr15
	s_cbranch_execz .LBB1122_20
.LBB1122_264:
	flat_load_b64 v[14:15], v[50:51] offset:24
	s_wait_xcnt 0x0
	s_or_b32 exec_lo, exec_lo, s7
                                        ; implicit-def: $vgpr16_vgpr17
	s_and_saveexec_b32 s7, s3
	s_cbranch_execz .LBB1122_21
.LBB1122_265:
	flat_load_b64 v[16:17], v[50:51] offset:32
	s_wait_xcnt 0x0
	s_or_b32 exec_lo, exec_lo, s7
	s_and_saveexec_b32 s7, s4
                                        ; implicit-def: $vgpr24_vgpr25
	s_cbranch_execz .LBB1122_22
.LBB1122_266:
	flat_load_b64 v[24:25], v[50:51] offset:40
	s_wait_xcnt 0x0
	s_or_b32 exec_lo, exec_lo, s7
                                        ; implicit-def: $vgpr22_vgpr23
	s_and_saveexec_b32 s7, s5
	s_cbranch_execz .LBB1122_23
.LBB1122_267:
	flat_load_b64 v[22:23], v[50:51] offset:48
	s_wait_xcnt 0x0
	s_or_b32 exec_lo, exec_lo, s7
	s_and_saveexec_b32 s7, s6
                                        ; implicit-def: $vgpr36_vgpr37
	s_cbranch_execnz .LBB1122_24
	s_branch .LBB1122_25
.LBB1122_268:
	flat_store_b64 v[2:3], v[18:19]
	s_wait_xcnt 0x0
	s_or_b32 exec_lo, exec_lo, s7
	s_and_saveexec_b32 s7, s0
	s_cbranch_execz .LBB1122_245
.LBB1122_269:
	flat_store_b64 v[2:3], v[28:29] offset:8
	s_wait_xcnt 0x0
	s_or_b32 exec_lo, exec_lo, s7
	s_and_saveexec_b32 s7, s1
	s_cbranch_execz .LBB1122_246
.LBB1122_270:
	flat_store_b64 v[2:3], v[32:33] offset:16
	s_wait_xcnt 0x0
	s_or_b32 exec_lo, exec_lo, s7
	s_and_saveexec_b32 s7, s2
	s_cbranch_execz .LBB1122_247
.LBB1122_271:
	flat_store_b64 v[2:3], v[48:49] offset:24
	s_wait_xcnt 0x0
	s_or_b32 exec_lo, exec_lo, s7
	s_and_saveexec_b32 s7, s3
	s_cbranch_execz .LBB1122_248
.LBB1122_272:
	flat_store_b64 v[2:3], v[34:35] offset:32
	s_wait_xcnt 0x0
	s_or_b32 exec_lo, exec_lo, s7
	s_and_saveexec_b32 s7, s4
	s_cbranch_execz .LBB1122_249
.LBB1122_273:
	flat_store_b64 v[2:3], v[26:27] offset:40
	s_wait_xcnt 0x0
	s_or_b32 exec_lo, exec_lo, s7
	s_and_saveexec_b32 s7, s5
	s_cbranch_execz .LBB1122_250
.LBB1122_274:
	flat_store_b64 v[2:3], v[38:39] offset:48
	s_wait_xcnt 0x0
	s_or_b32 exec_lo, exec_lo, s7
	s_and_saveexec_b32 s7, s6
	s_cbranch_execnz .LBB1122_251
	s_branch .LBB1122_252
.LBB1122_275:
	flat_store_b64 v[0:1], v[4:5]
	s_wait_xcnt 0x0
	s_or_b32 exec_lo, exec_lo, s7
	s_and_saveexec_b32 s7, s0
	s_cbranch_execz .LBB1122_254
.LBB1122_276:
	flat_store_b64 v[0:1], v[10:11] offset:8
	s_wait_xcnt 0x0
	s_or_b32 exec_lo, exec_lo, s7
	s_and_saveexec_b32 s0, s1
	s_cbranch_execz .LBB1122_255
.LBB1122_277:
	flat_store_b64 v[0:1], v[12:13] offset:16
	s_wait_xcnt 0x0
	s_or_b32 exec_lo, exec_lo, s0
	s_and_saveexec_b32 s0, s2
	s_cbranch_execz .LBB1122_256
.LBB1122_278:
	flat_store_b64 v[0:1], v[14:15] offset:24
	s_wait_xcnt 0x0
	s_or_b32 exec_lo, exec_lo, s0
	s_and_saveexec_b32 s0, s3
	s_cbranch_execz .LBB1122_257
.LBB1122_279:
	flat_store_b64 v[0:1], v[16:17] offset:32
	s_wait_xcnt 0x0
	s_or_b32 exec_lo, exec_lo, s0
	s_and_saveexec_b32 s0, s4
	s_cbranch_execz .LBB1122_258
.LBB1122_280:
	flat_store_b64 v[0:1], v[24:25] offset:40
	s_wait_xcnt 0x0
	s_or_b32 exec_lo, exec_lo, s0
	s_and_saveexec_b32 s0, s5
	s_cbranch_execz .LBB1122_259
.LBB1122_281:
	flat_store_b64 v[0:1], v[22:23] offset:48
	s_wait_xcnt 0x0
	s_or_b32 exec_lo, exec_lo, s0
	s_and_saveexec_b32 s0, s6
	s_cbranch_execz .LBB1122_260
.LBB1122_282:
	flat_store_b64 v[0:1], v[36:37] offset:56
	s_wait_xcnt 0x0
	s_or_b32 exec_lo, exec_lo, s0
	s_wait_dscnt 0x0
	s_set_pc_i64 s[30:31]
.Lfunc_end1122:
	.size	_ZN7rocprim17ROCPRIM_400000_NS6detail26segmented_warp_sort_helperINS1_20WarpSortHelperConfigILj16ELj8ELj256EEEdlLi256ELb1EvE4sortIPKdPdPKlPlEEvT_T0_T1_T2_jjjjRNS5_12storage_typeE, .Lfunc_end1122-_ZN7rocprim17ROCPRIM_400000_NS6detail26segmented_warp_sort_helperINS1_20WarpSortHelperConfigILj16ELj8ELj256EEEdlLi256ELb1EvE4sortIPKdPdPKlPlEEvT_T0_T1_T2_jjjjRNS5_12storage_typeE
                                        ; -- End function
	.set .L_ZN7rocprim17ROCPRIM_400000_NS6detail26segmented_warp_sort_helperINS1_20WarpSortHelperConfigILj16ELj8ELj256EEEdlLi256ELb1EvE4sortIPKdPdPKlPlEEvT_T0_T1_T2_jjjjRNS5_12storage_typeE.num_vgpr, 104
	.set .L_ZN7rocprim17ROCPRIM_400000_NS6detail26segmented_warp_sort_helperINS1_20WarpSortHelperConfigILj16ELj8ELj256EEEdlLi256ELb1EvE4sortIPKdPdPKlPlEEvT_T0_T1_T2_jjjjRNS5_12storage_typeE.num_agpr, 0
	.set .L_ZN7rocprim17ROCPRIM_400000_NS6detail26segmented_warp_sort_helperINS1_20WarpSortHelperConfigILj16ELj8ELj256EEEdlLi256ELb1EvE4sortIPKdPdPKlPlEEvT_T0_T1_T2_jjjjRNS5_12storage_typeE.numbered_sgpr, 32
	.set .L_ZN7rocprim17ROCPRIM_400000_NS6detail26segmented_warp_sort_helperINS1_20WarpSortHelperConfigILj16ELj8ELj256EEEdlLi256ELb1EvE4sortIPKdPdPKlPlEEvT_T0_T1_T2_jjjjRNS5_12storage_typeE.num_named_barrier, 0
	.set .L_ZN7rocprim17ROCPRIM_400000_NS6detail26segmented_warp_sort_helperINS1_20WarpSortHelperConfigILj16ELj8ELj256EEEdlLi256ELb1EvE4sortIPKdPdPKlPlEEvT_T0_T1_T2_jjjjRNS5_12storage_typeE.private_seg_size, 0
	.set .L_ZN7rocprim17ROCPRIM_400000_NS6detail26segmented_warp_sort_helperINS1_20WarpSortHelperConfigILj16ELj8ELj256EEEdlLi256ELb1EvE4sortIPKdPdPKlPlEEvT_T0_T1_T2_jjjjRNS5_12storage_typeE.uses_vcc, 1
	.set .L_ZN7rocprim17ROCPRIM_400000_NS6detail26segmented_warp_sort_helperINS1_20WarpSortHelperConfigILj16ELj8ELj256EEEdlLi256ELb1EvE4sortIPKdPdPKlPlEEvT_T0_T1_T2_jjjjRNS5_12storage_typeE.uses_flat_scratch, 0
	.set .L_ZN7rocprim17ROCPRIM_400000_NS6detail26segmented_warp_sort_helperINS1_20WarpSortHelperConfigILj16ELj8ELj256EEEdlLi256ELb1EvE4sortIPKdPdPKlPlEEvT_T0_T1_T2_jjjjRNS5_12storage_typeE.has_dyn_sized_stack, 0
	.set .L_ZN7rocprim17ROCPRIM_400000_NS6detail26segmented_warp_sort_helperINS1_20WarpSortHelperConfigILj16ELj8ELj256EEEdlLi256ELb1EvE4sortIPKdPdPKlPlEEvT_T0_T1_T2_jjjjRNS5_12storage_typeE.has_recursion, 0
	.set .L_ZN7rocprim17ROCPRIM_400000_NS6detail26segmented_warp_sort_helperINS1_20WarpSortHelperConfigILj16ELj8ELj256EEEdlLi256ELb1EvE4sortIPKdPdPKlPlEEvT_T0_T1_T2_jjjjRNS5_12storage_typeE.has_indirect_call, 0
	.section	.AMDGPU.csdata,"",@progbits
; Function info:
; codeLenInByte = 14692
; TotalNumSgprs: 34
; NumVgprs: 104
; ScratchSize: 0
; MemoryBound: 0
	.section	.text._ZN7rocprim17ROCPRIM_400000_NS6detail17trampoline_kernelINS0_14default_configENS1_36segmented_radix_sort_config_selectorIdlEEZNS1_25segmented_radix_sort_implIS3_Lb1EPKdPdPKlPlN2at6native12_GLOBAL__N_18offset_tEEE10hipError_tPvRmT1_PNSt15iterator_traitsISK_E10value_typeET2_T3_PNSL_ISQ_E10value_typeET4_jRbjT5_SW_jjP12ihipStream_tbEUlT_E0_NS1_11comp_targetILNS1_3genE0ELNS1_11target_archE4294967295ELNS1_3gpuE0ELNS1_3repE0EEENS1_60segmented_radix_sort_warp_sort_medium_config_static_selectorELNS0_4arch9wavefront6targetE0EEEvSK_,"axG",@progbits,_ZN7rocprim17ROCPRIM_400000_NS6detail17trampoline_kernelINS0_14default_configENS1_36segmented_radix_sort_config_selectorIdlEEZNS1_25segmented_radix_sort_implIS3_Lb1EPKdPdPKlPlN2at6native12_GLOBAL__N_18offset_tEEE10hipError_tPvRmT1_PNSt15iterator_traitsISK_E10value_typeET2_T3_PNSL_ISQ_E10value_typeET4_jRbjT5_SW_jjP12ihipStream_tbEUlT_E0_NS1_11comp_targetILNS1_3genE0ELNS1_11target_archE4294967295ELNS1_3gpuE0ELNS1_3repE0EEENS1_60segmented_radix_sort_warp_sort_medium_config_static_selectorELNS0_4arch9wavefront6targetE0EEEvSK_,comdat
	.globl	_ZN7rocprim17ROCPRIM_400000_NS6detail17trampoline_kernelINS0_14default_configENS1_36segmented_radix_sort_config_selectorIdlEEZNS1_25segmented_radix_sort_implIS3_Lb1EPKdPdPKlPlN2at6native12_GLOBAL__N_18offset_tEEE10hipError_tPvRmT1_PNSt15iterator_traitsISK_E10value_typeET2_T3_PNSL_ISQ_E10value_typeET4_jRbjT5_SW_jjP12ihipStream_tbEUlT_E0_NS1_11comp_targetILNS1_3genE0ELNS1_11target_archE4294967295ELNS1_3gpuE0ELNS1_3repE0EEENS1_60segmented_radix_sort_warp_sort_medium_config_static_selectorELNS0_4arch9wavefront6targetE0EEEvSK_ ; -- Begin function _ZN7rocprim17ROCPRIM_400000_NS6detail17trampoline_kernelINS0_14default_configENS1_36segmented_radix_sort_config_selectorIdlEEZNS1_25segmented_radix_sort_implIS3_Lb1EPKdPdPKlPlN2at6native12_GLOBAL__N_18offset_tEEE10hipError_tPvRmT1_PNSt15iterator_traitsISK_E10value_typeET2_T3_PNSL_ISQ_E10value_typeET4_jRbjT5_SW_jjP12ihipStream_tbEUlT_E0_NS1_11comp_targetILNS1_3genE0ELNS1_11target_archE4294967295ELNS1_3gpuE0ELNS1_3repE0EEENS1_60segmented_radix_sort_warp_sort_medium_config_static_selectorELNS0_4arch9wavefront6targetE0EEEvSK_
	.p2align	8
	.type	_ZN7rocprim17ROCPRIM_400000_NS6detail17trampoline_kernelINS0_14default_configENS1_36segmented_radix_sort_config_selectorIdlEEZNS1_25segmented_radix_sort_implIS3_Lb1EPKdPdPKlPlN2at6native12_GLOBAL__N_18offset_tEEE10hipError_tPvRmT1_PNSt15iterator_traitsISK_E10value_typeET2_T3_PNSL_ISQ_E10value_typeET4_jRbjT5_SW_jjP12ihipStream_tbEUlT_E0_NS1_11comp_targetILNS1_3genE0ELNS1_11target_archE4294967295ELNS1_3gpuE0ELNS1_3repE0EEENS1_60segmented_radix_sort_warp_sort_medium_config_static_selectorELNS0_4arch9wavefront6targetE0EEEvSK_,@function
_ZN7rocprim17ROCPRIM_400000_NS6detail17trampoline_kernelINS0_14default_configENS1_36segmented_radix_sort_config_selectorIdlEEZNS1_25segmented_radix_sort_implIS3_Lb1EPKdPdPKlPlN2at6native12_GLOBAL__N_18offset_tEEE10hipError_tPvRmT1_PNSt15iterator_traitsISK_E10value_typeET2_T3_PNSL_ISQ_E10value_typeET4_jRbjT5_SW_jjP12ihipStream_tbEUlT_E0_NS1_11comp_targetILNS1_3genE0ELNS1_11target_archE4294967295ELNS1_3gpuE0ELNS1_3repE0EEENS1_60segmented_radix_sort_warp_sort_medium_config_static_selectorELNS0_4arch9wavefront6targetE0EEEvSK_: ; @_ZN7rocprim17ROCPRIM_400000_NS6detail17trampoline_kernelINS0_14default_configENS1_36segmented_radix_sort_config_selectorIdlEEZNS1_25segmented_radix_sort_implIS3_Lb1EPKdPdPKlPlN2at6native12_GLOBAL__N_18offset_tEEE10hipError_tPvRmT1_PNSt15iterator_traitsISK_E10value_typeET2_T3_PNSL_ISQ_E10value_typeET4_jRbjT5_SW_jjP12ihipStream_tbEUlT_E0_NS1_11comp_targetILNS1_3genE0ELNS1_11target_archE4294967295ELNS1_3gpuE0ELNS1_3repE0EEENS1_60segmented_radix_sort_warp_sort_medium_config_static_selectorELNS0_4arch9wavefront6targetE0EEEvSK_
; %bb.0:
	s_load_b32 s4, s[2:3], 0x64
	v_bfe_u32 v1, v0, 10, 10
	v_bfe_u32 v2, v0, 20, 10
	v_and_b32_e32 v3, 0x3ff, v0
	s_and_b32 s6, ttmp6, 15
	s_getreg_b32 s7, hwreg(HW_REG_IB_STS2, 6, 4)
	s_mov_b32 s32, 0
	s_wait_kmcnt 0x0
	s_lshr_b32 s5, s4, 16
	s_and_b32 s4, s4, 0xffff
	v_mad_u32_u24 v1, v2, s5, v1
	s_bfe_u32 s5, ttmp6, 0x4000c
	s_delay_alu instid0(SALU_CYCLE_1) | instskip(NEXT) | instid1(SALU_CYCLE_1)
	s_add_co_i32 s5, s5, 1
	s_mul_i32 s5, ttmp9, s5
	s_delay_alu instid0(VALU_DEP_1) | instskip(SKIP_4) | instid1(VALU_DEP_1)
	v_mad_u32 v1, v1, s4, v3
	s_load_b32 s4, s[2:3], 0x34
	s_add_co_i32 s6, s6, s5
	s_cmp_eq_u32 s7, 0
	s_cselect_b32 s5, ttmp9, s6
	v_lshrrev_b32_e32 v1, 4, v1
	s_delay_alu instid0(VALU_DEP_1) | instskip(SKIP_1) | instid1(VALU_DEP_1)
	v_lshl_add_u32 v1, s5, 4, v1
	s_wait_kmcnt 0x0
	v_cmp_gt_u32_e32 vcc_lo, s4, v1
	s_and_saveexec_b32 s4, vcc_lo
	s_cbranch_execz .LBB1123_6
; %bb.1:
	s_clause 0x1
	s_load_b64 s[8:9], s[2:3], 0x38
	s_load_b128 s[4:7], s[2:3], 0x40
	s_wait_kmcnt 0x0
	global_load_b32 v1, v1, s[8:9] scale_offset
	s_wait_loadcnt 0x0
	v_dual_add_nc_u32 v2, s5, v1 :: v_dual_add_nc_u32 v1, s7, v1
	s_delay_alu instid0(VALU_DEP_1) | instskip(NEXT) | instid1(VALU_DEP_2)
	v_mul_lo_u32 v8, v2, s4
	v_mul_lo_u32 v40, v1, s6
	s_delay_alu instid0(VALU_DEP_1)
	v_cmp_gt_u32_e32 vcc_lo, v40, v8
	s_and_b32 exec_lo, exec_lo, vcc_lo
	s_cbranch_execz .LBB1123_6
; %bb.2:
	s_clause 0x2
	s_load_b32 s4, s[2:3], 0x30
	s_load_b128 s[24:27], s[2:3], 0x20
	s_load_b256 s[36:43], s[2:3], 0x0
	s_add_nc_u64 s[20:21], s[2:3], 0x58
	s_get_pc_i64 s[22:23]
	s_add_nc_u64 s[22:23], s[22:23], _ZN7rocprim17ROCPRIM_400000_NS6detail26segmented_warp_sort_helperINS1_20WarpSortHelperConfigILj16ELj8ELj256EEEdlLi256ELb1EvE4sortIPKdPdPKlPlEEvT_T0_T1_T2_jjjjRNS5_12storage_typeE@rel64+4
	s_wait_kmcnt 0x0
	s_bitcmp0_b32 s4, 0
	s_mov_b32 s4, -1
	s_cbranch_scc0 .LBB1123_4
; %bb.3:
	v_dual_mov_b32 v31, v0 :: v_dual_mov_b32 v41, v0
	v_dual_mov_b32 v0, s36 :: v_dual_mov_b32 v1, s37
	;; [unrolled: 1-line block ×5, first 2 shown]
	v_mov_b32_e32 v9, v40
	s_mov_b64 s[6:7], s[0:1]
	s_mov_b64 s[8:9], s[20:21]
	;; [unrolled: 1-line block ×3, first 2 shown]
	s_swap_pc_i64 s[30:31], s[22:23]
	v_mov_b32_e32 v0, v41
	s_mov_b64 s[0:1], s[24:25]
	s_mov_b32 s4, 0
.LBB1123_4:
	s_delay_alu instid0(SALU_CYCLE_1)
	s_and_not1_b32 vcc_lo, exec_lo, s4
	s_cbranch_vccnz .LBB1123_6
; %bb.5:
	v_dual_mov_b32 v31, v0 :: v_dual_mov_b32 v0, s36
	v_dual_mov_b32 v1, s37 :: v_dual_mov_b32 v2, s40
	;; [unrolled: 1-line block ×5, first 2 shown]
	s_mov_b64 s[6:7], s[0:1]
	s_mov_b64 s[8:9], s[20:21]
	s_swap_pc_i64 s[30:31], s[22:23]
.LBB1123_6:
	s_endpgm
	.section	.rodata,"a",@progbits
	.p2align	6, 0x0
	.amdhsa_kernel _ZN7rocprim17ROCPRIM_400000_NS6detail17trampoline_kernelINS0_14default_configENS1_36segmented_radix_sort_config_selectorIdlEEZNS1_25segmented_radix_sort_implIS3_Lb1EPKdPdPKlPlN2at6native12_GLOBAL__N_18offset_tEEE10hipError_tPvRmT1_PNSt15iterator_traitsISK_E10value_typeET2_T3_PNSL_ISQ_E10value_typeET4_jRbjT5_SW_jjP12ihipStream_tbEUlT_E0_NS1_11comp_targetILNS1_3genE0ELNS1_11target_archE4294967295ELNS1_3gpuE0ELNS1_3repE0EEENS1_60segmented_radix_sort_warp_sort_medium_config_static_selectorELNS0_4arch9wavefront6targetE0EEEvSK_
		.amdhsa_group_segment_fixed_size 32768
		.amdhsa_private_segment_fixed_size 0
		.amdhsa_kernarg_size 344
		.amdhsa_user_sgpr_count 4
		.amdhsa_user_sgpr_dispatch_ptr 0
		.amdhsa_user_sgpr_queue_ptr 1
		.amdhsa_user_sgpr_kernarg_segment_ptr 1
		.amdhsa_user_sgpr_dispatch_id 0
		.amdhsa_user_sgpr_kernarg_preload_length 0
		.amdhsa_user_sgpr_kernarg_preload_offset 0
		.amdhsa_user_sgpr_private_segment_size 0
		.amdhsa_wavefront_size32 1
		.amdhsa_uses_dynamic_stack 0
		.amdhsa_enable_private_segment 0
		.amdhsa_system_sgpr_workgroup_id_x 1
		.amdhsa_system_sgpr_workgroup_id_y 1
		.amdhsa_system_sgpr_workgroup_id_z 0
		.amdhsa_system_sgpr_workgroup_info 0
		.amdhsa_system_vgpr_workitem_id 2
		.amdhsa_next_free_vgpr 104
		.amdhsa_next_free_sgpr 44
		.amdhsa_named_barrier_count 0
		.amdhsa_reserve_vcc 1
		.amdhsa_float_round_mode_32 0
		.amdhsa_float_round_mode_16_64 0
		.amdhsa_float_denorm_mode_32 3
		.amdhsa_float_denorm_mode_16_64 3
		.amdhsa_fp16_overflow 0
		.amdhsa_memory_ordered 1
		.amdhsa_forward_progress 1
		.amdhsa_inst_pref_size 4
		.amdhsa_round_robin_scheduling 0
		.amdhsa_exception_fp_ieee_invalid_op 0
		.amdhsa_exception_fp_denorm_src 0
		.amdhsa_exception_fp_ieee_div_zero 0
		.amdhsa_exception_fp_ieee_overflow 0
		.amdhsa_exception_fp_ieee_underflow 0
		.amdhsa_exception_fp_ieee_inexact 0
		.amdhsa_exception_int_div_zero 0
	.end_amdhsa_kernel
	.section	.text._ZN7rocprim17ROCPRIM_400000_NS6detail17trampoline_kernelINS0_14default_configENS1_36segmented_radix_sort_config_selectorIdlEEZNS1_25segmented_radix_sort_implIS3_Lb1EPKdPdPKlPlN2at6native12_GLOBAL__N_18offset_tEEE10hipError_tPvRmT1_PNSt15iterator_traitsISK_E10value_typeET2_T3_PNSL_ISQ_E10value_typeET4_jRbjT5_SW_jjP12ihipStream_tbEUlT_E0_NS1_11comp_targetILNS1_3genE0ELNS1_11target_archE4294967295ELNS1_3gpuE0ELNS1_3repE0EEENS1_60segmented_radix_sort_warp_sort_medium_config_static_selectorELNS0_4arch9wavefront6targetE0EEEvSK_,"axG",@progbits,_ZN7rocprim17ROCPRIM_400000_NS6detail17trampoline_kernelINS0_14default_configENS1_36segmented_radix_sort_config_selectorIdlEEZNS1_25segmented_radix_sort_implIS3_Lb1EPKdPdPKlPlN2at6native12_GLOBAL__N_18offset_tEEE10hipError_tPvRmT1_PNSt15iterator_traitsISK_E10value_typeET2_T3_PNSL_ISQ_E10value_typeET4_jRbjT5_SW_jjP12ihipStream_tbEUlT_E0_NS1_11comp_targetILNS1_3genE0ELNS1_11target_archE4294967295ELNS1_3gpuE0ELNS1_3repE0EEENS1_60segmented_radix_sort_warp_sort_medium_config_static_selectorELNS0_4arch9wavefront6targetE0EEEvSK_,comdat
.Lfunc_end1123:
	.size	_ZN7rocprim17ROCPRIM_400000_NS6detail17trampoline_kernelINS0_14default_configENS1_36segmented_radix_sort_config_selectorIdlEEZNS1_25segmented_radix_sort_implIS3_Lb1EPKdPdPKlPlN2at6native12_GLOBAL__N_18offset_tEEE10hipError_tPvRmT1_PNSt15iterator_traitsISK_E10value_typeET2_T3_PNSL_ISQ_E10value_typeET4_jRbjT5_SW_jjP12ihipStream_tbEUlT_E0_NS1_11comp_targetILNS1_3genE0ELNS1_11target_archE4294967295ELNS1_3gpuE0ELNS1_3repE0EEENS1_60segmented_radix_sort_warp_sort_medium_config_static_selectorELNS0_4arch9wavefront6targetE0EEEvSK_, .Lfunc_end1123-_ZN7rocprim17ROCPRIM_400000_NS6detail17trampoline_kernelINS0_14default_configENS1_36segmented_radix_sort_config_selectorIdlEEZNS1_25segmented_radix_sort_implIS3_Lb1EPKdPdPKlPlN2at6native12_GLOBAL__N_18offset_tEEE10hipError_tPvRmT1_PNSt15iterator_traitsISK_E10value_typeET2_T3_PNSL_ISQ_E10value_typeET4_jRbjT5_SW_jjP12ihipStream_tbEUlT_E0_NS1_11comp_targetILNS1_3genE0ELNS1_11target_archE4294967295ELNS1_3gpuE0ELNS1_3repE0EEENS1_60segmented_radix_sort_warp_sort_medium_config_static_selectorELNS0_4arch9wavefront6targetE0EEEvSK_
                                        ; -- End function
	.set _ZN7rocprim17ROCPRIM_400000_NS6detail17trampoline_kernelINS0_14default_configENS1_36segmented_radix_sort_config_selectorIdlEEZNS1_25segmented_radix_sort_implIS3_Lb1EPKdPdPKlPlN2at6native12_GLOBAL__N_18offset_tEEE10hipError_tPvRmT1_PNSt15iterator_traitsISK_E10value_typeET2_T3_PNSL_ISQ_E10value_typeET4_jRbjT5_SW_jjP12ihipStream_tbEUlT_E0_NS1_11comp_targetILNS1_3genE0ELNS1_11target_archE4294967295ELNS1_3gpuE0ELNS1_3repE0EEENS1_60segmented_radix_sort_warp_sort_medium_config_static_selectorELNS0_4arch9wavefront6targetE0EEEvSK_.num_vgpr, max(42, .L_ZN7rocprim17ROCPRIM_400000_NS6detail26segmented_warp_sort_helperINS1_20WarpSortHelperConfigILj16ELj8ELj256EEEdlLi256ELb1EvE4sortIPKdPdPKlPlEEvT_T0_T1_T2_jjjjRNS5_12storage_typeE.num_vgpr)
	.set _ZN7rocprim17ROCPRIM_400000_NS6detail17trampoline_kernelINS0_14default_configENS1_36segmented_radix_sort_config_selectorIdlEEZNS1_25segmented_radix_sort_implIS3_Lb1EPKdPdPKlPlN2at6native12_GLOBAL__N_18offset_tEEE10hipError_tPvRmT1_PNSt15iterator_traitsISK_E10value_typeET2_T3_PNSL_ISQ_E10value_typeET4_jRbjT5_SW_jjP12ihipStream_tbEUlT_E0_NS1_11comp_targetILNS1_3genE0ELNS1_11target_archE4294967295ELNS1_3gpuE0ELNS1_3repE0EEENS1_60segmented_radix_sort_warp_sort_medium_config_static_selectorELNS0_4arch9wavefront6targetE0EEEvSK_.num_agpr, max(0, .L_ZN7rocprim17ROCPRIM_400000_NS6detail26segmented_warp_sort_helperINS1_20WarpSortHelperConfigILj16ELj8ELj256EEEdlLi256ELb1EvE4sortIPKdPdPKlPlEEvT_T0_T1_T2_jjjjRNS5_12storage_typeE.num_agpr)
	.set _ZN7rocprim17ROCPRIM_400000_NS6detail17trampoline_kernelINS0_14default_configENS1_36segmented_radix_sort_config_selectorIdlEEZNS1_25segmented_radix_sort_implIS3_Lb1EPKdPdPKlPlN2at6native12_GLOBAL__N_18offset_tEEE10hipError_tPvRmT1_PNSt15iterator_traitsISK_E10value_typeET2_T3_PNSL_ISQ_E10value_typeET4_jRbjT5_SW_jjP12ihipStream_tbEUlT_E0_NS1_11comp_targetILNS1_3genE0ELNS1_11target_archE4294967295ELNS1_3gpuE0ELNS1_3repE0EEENS1_60segmented_radix_sort_warp_sort_medium_config_static_selectorELNS0_4arch9wavefront6targetE0EEEvSK_.numbered_sgpr, max(44, .L_ZN7rocprim17ROCPRIM_400000_NS6detail26segmented_warp_sort_helperINS1_20WarpSortHelperConfigILj16ELj8ELj256EEEdlLi256ELb1EvE4sortIPKdPdPKlPlEEvT_T0_T1_T2_jjjjRNS5_12storage_typeE.numbered_sgpr)
	.set _ZN7rocprim17ROCPRIM_400000_NS6detail17trampoline_kernelINS0_14default_configENS1_36segmented_radix_sort_config_selectorIdlEEZNS1_25segmented_radix_sort_implIS3_Lb1EPKdPdPKlPlN2at6native12_GLOBAL__N_18offset_tEEE10hipError_tPvRmT1_PNSt15iterator_traitsISK_E10value_typeET2_T3_PNSL_ISQ_E10value_typeET4_jRbjT5_SW_jjP12ihipStream_tbEUlT_E0_NS1_11comp_targetILNS1_3genE0ELNS1_11target_archE4294967295ELNS1_3gpuE0ELNS1_3repE0EEENS1_60segmented_radix_sort_warp_sort_medium_config_static_selectorELNS0_4arch9wavefront6targetE0EEEvSK_.num_named_barrier, max(0, .L_ZN7rocprim17ROCPRIM_400000_NS6detail26segmented_warp_sort_helperINS1_20WarpSortHelperConfigILj16ELj8ELj256EEEdlLi256ELb1EvE4sortIPKdPdPKlPlEEvT_T0_T1_T2_jjjjRNS5_12storage_typeE.num_named_barrier)
	.set _ZN7rocprim17ROCPRIM_400000_NS6detail17trampoline_kernelINS0_14default_configENS1_36segmented_radix_sort_config_selectorIdlEEZNS1_25segmented_radix_sort_implIS3_Lb1EPKdPdPKlPlN2at6native12_GLOBAL__N_18offset_tEEE10hipError_tPvRmT1_PNSt15iterator_traitsISK_E10value_typeET2_T3_PNSL_ISQ_E10value_typeET4_jRbjT5_SW_jjP12ihipStream_tbEUlT_E0_NS1_11comp_targetILNS1_3genE0ELNS1_11target_archE4294967295ELNS1_3gpuE0ELNS1_3repE0EEENS1_60segmented_radix_sort_warp_sort_medium_config_static_selectorELNS0_4arch9wavefront6targetE0EEEvSK_.private_seg_size, 0+max(.L_ZN7rocprim17ROCPRIM_400000_NS6detail26segmented_warp_sort_helperINS1_20WarpSortHelperConfigILj16ELj8ELj256EEEdlLi256ELb1EvE4sortIPKdPdPKlPlEEvT_T0_T1_T2_jjjjRNS5_12storage_typeE.private_seg_size)
	.set _ZN7rocprim17ROCPRIM_400000_NS6detail17trampoline_kernelINS0_14default_configENS1_36segmented_radix_sort_config_selectorIdlEEZNS1_25segmented_radix_sort_implIS3_Lb1EPKdPdPKlPlN2at6native12_GLOBAL__N_18offset_tEEE10hipError_tPvRmT1_PNSt15iterator_traitsISK_E10value_typeET2_T3_PNSL_ISQ_E10value_typeET4_jRbjT5_SW_jjP12ihipStream_tbEUlT_E0_NS1_11comp_targetILNS1_3genE0ELNS1_11target_archE4294967295ELNS1_3gpuE0ELNS1_3repE0EEENS1_60segmented_radix_sort_warp_sort_medium_config_static_selectorELNS0_4arch9wavefront6targetE0EEEvSK_.uses_vcc, or(1, .L_ZN7rocprim17ROCPRIM_400000_NS6detail26segmented_warp_sort_helperINS1_20WarpSortHelperConfigILj16ELj8ELj256EEEdlLi256ELb1EvE4sortIPKdPdPKlPlEEvT_T0_T1_T2_jjjjRNS5_12storage_typeE.uses_vcc)
	.set _ZN7rocprim17ROCPRIM_400000_NS6detail17trampoline_kernelINS0_14default_configENS1_36segmented_radix_sort_config_selectorIdlEEZNS1_25segmented_radix_sort_implIS3_Lb1EPKdPdPKlPlN2at6native12_GLOBAL__N_18offset_tEEE10hipError_tPvRmT1_PNSt15iterator_traitsISK_E10value_typeET2_T3_PNSL_ISQ_E10value_typeET4_jRbjT5_SW_jjP12ihipStream_tbEUlT_E0_NS1_11comp_targetILNS1_3genE0ELNS1_11target_archE4294967295ELNS1_3gpuE0ELNS1_3repE0EEENS1_60segmented_radix_sort_warp_sort_medium_config_static_selectorELNS0_4arch9wavefront6targetE0EEEvSK_.uses_flat_scratch, or(0, .L_ZN7rocprim17ROCPRIM_400000_NS6detail26segmented_warp_sort_helperINS1_20WarpSortHelperConfigILj16ELj8ELj256EEEdlLi256ELb1EvE4sortIPKdPdPKlPlEEvT_T0_T1_T2_jjjjRNS5_12storage_typeE.uses_flat_scratch)
	.set _ZN7rocprim17ROCPRIM_400000_NS6detail17trampoline_kernelINS0_14default_configENS1_36segmented_radix_sort_config_selectorIdlEEZNS1_25segmented_radix_sort_implIS3_Lb1EPKdPdPKlPlN2at6native12_GLOBAL__N_18offset_tEEE10hipError_tPvRmT1_PNSt15iterator_traitsISK_E10value_typeET2_T3_PNSL_ISQ_E10value_typeET4_jRbjT5_SW_jjP12ihipStream_tbEUlT_E0_NS1_11comp_targetILNS1_3genE0ELNS1_11target_archE4294967295ELNS1_3gpuE0ELNS1_3repE0EEENS1_60segmented_radix_sort_warp_sort_medium_config_static_selectorELNS0_4arch9wavefront6targetE0EEEvSK_.has_dyn_sized_stack, or(0, .L_ZN7rocprim17ROCPRIM_400000_NS6detail26segmented_warp_sort_helperINS1_20WarpSortHelperConfigILj16ELj8ELj256EEEdlLi256ELb1EvE4sortIPKdPdPKlPlEEvT_T0_T1_T2_jjjjRNS5_12storage_typeE.has_dyn_sized_stack)
	.set _ZN7rocprim17ROCPRIM_400000_NS6detail17trampoline_kernelINS0_14default_configENS1_36segmented_radix_sort_config_selectorIdlEEZNS1_25segmented_radix_sort_implIS3_Lb1EPKdPdPKlPlN2at6native12_GLOBAL__N_18offset_tEEE10hipError_tPvRmT1_PNSt15iterator_traitsISK_E10value_typeET2_T3_PNSL_ISQ_E10value_typeET4_jRbjT5_SW_jjP12ihipStream_tbEUlT_E0_NS1_11comp_targetILNS1_3genE0ELNS1_11target_archE4294967295ELNS1_3gpuE0ELNS1_3repE0EEENS1_60segmented_radix_sort_warp_sort_medium_config_static_selectorELNS0_4arch9wavefront6targetE0EEEvSK_.has_recursion, or(0, .L_ZN7rocprim17ROCPRIM_400000_NS6detail26segmented_warp_sort_helperINS1_20WarpSortHelperConfigILj16ELj8ELj256EEEdlLi256ELb1EvE4sortIPKdPdPKlPlEEvT_T0_T1_T2_jjjjRNS5_12storage_typeE.has_recursion)
	.set _ZN7rocprim17ROCPRIM_400000_NS6detail17trampoline_kernelINS0_14default_configENS1_36segmented_radix_sort_config_selectorIdlEEZNS1_25segmented_radix_sort_implIS3_Lb1EPKdPdPKlPlN2at6native12_GLOBAL__N_18offset_tEEE10hipError_tPvRmT1_PNSt15iterator_traitsISK_E10value_typeET2_T3_PNSL_ISQ_E10value_typeET4_jRbjT5_SW_jjP12ihipStream_tbEUlT_E0_NS1_11comp_targetILNS1_3genE0ELNS1_11target_archE4294967295ELNS1_3gpuE0ELNS1_3repE0EEENS1_60segmented_radix_sort_warp_sort_medium_config_static_selectorELNS0_4arch9wavefront6targetE0EEEvSK_.has_indirect_call, or(0, .L_ZN7rocprim17ROCPRIM_400000_NS6detail26segmented_warp_sort_helperINS1_20WarpSortHelperConfigILj16ELj8ELj256EEEdlLi256ELb1EvE4sortIPKdPdPKlPlEEvT_T0_T1_T2_jjjjRNS5_12storage_typeE.has_indirect_call)
	.section	.AMDGPU.csdata,"",@progbits
; Kernel info:
; codeLenInByte = 456
; TotalNumSgprs: 46
; NumVgprs: 104
; ScratchSize: 0
; MemoryBound: 0
; FloatMode: 240
; IeeeMode: 1
; LDSByteSize: 32768 bytes/workgroup (compile time only)
; SGPRBlocks: 0
; VGPRBlocks: 6
; NumSGPRsForWavesPerEU: 46
; NumVGPRsForWavesPerEU: 104
; NamedBarCnt: 0
; Occupancy: 9
; WaveLimiterHint : 0
; COMPUTE_PGM_RSRC2:SCRATCH_EN: 0
; COMPUTE_PGM_RSRC2:USER_SGPR: 4
; COMPUTE_PGM_RSRC2:TRAP_HANDLER: 0
; COMPUTE_PGM_RSRC2:TGID_X_EN: 1
; COMPUTE_PGM_RSRC2:TGID_Y_EN: 1
; COMPUTE_PGM_RSRC2:TGID_Z_EN: 0
; COMPUTE_PGM_RSRC2:TIDIG_COMP_CNT: 2
	.section	.text._ZN7rocprim17ROCPRIM_400000_NS6detail17trampoline_kernelINS0_14default_configENS1_36segmented_radix_sort_config_selectorIdlEEZNS1_25segmented_radix_sort_implIS3_Lb1EPKdPdPKlPlN2at6native12_GLOBAL__N_18offset_tEEE10hipError_tPvRmT1_PNSt15iterator_traitsISK_E10value_typeET2_T3_PNSL_ISQ_E10value_typeET4_jRbjT5_SW_jjP12ihipStream_tbEUlT_E0_NS1_11comp_targetILNS1_3genE5ELNS1_11target_archE942ELNS1_3gpuE9ELNS1_3repE0EEENS1_60segmented_radix_sort_warp_sort_medium_config_static_selectorELNS0_4arch9wavefront6targetE0EEEvSK_,"axG",@progbits,_ZN7rocprim17ROCPRIM_400000_NS6detail17trampoline_kernelINS0_14default_configENS1_36segmented_radix_sort_config_selectorIdlEEZNS1_25segmented_radix_sort_implIS3_Lb1EPKdPdPKlPlN2at6native12_GLOBAL__N_18offset_tEEE10hipError_tPvRmT1_PNSt15iterator_traitsISK_E10value_typeET2_T3_PNSL_ISQ_E10value_typeET4_jRbjT5_SW_jjP12ihipStream_tbEUlT_E0_NS1_11comp_targetILNS1_3genE5ELNS1_11target_archE942ELNS1_3gpuE9ELNS1_3repE0EEENS1_60segmented_radix_sort_warp_sort_medium_config_static_selectorELNS0_4arch9wavefront6targetE0EEEvSK_,comdat
	.globl	_ZN7rocprim17ROCPRIM_400000_NS6detail17trampoline_kernelINS0_14default_configENS1_36segmented_radix_sort_config_selectorIdlEEZNS1_25segmented_radix_sort_implIS3_Lb1EPKdPdPKlPlN2at6native12_GLOBAL__N_18offset_tEEE10hipError_tPvRmT1_PNSt15iterator_traitsISK_E10value_typeET2_T3_PNSL_ISQ_E10value_typeET4_jRbjT5_SW_jjP12ihipStream_tbEUlT_E0_NS1_11comp_targetILNS1_3genE5ELNS1_11target_archE942ELNS1_3gpuE9ELNS1_3repE0EEENS1_60segmented_radix_sort_warp_sort_medium_config_static_selectorELNS0_4arch9wavefront6targetE0EEEvSK_ ; -- Begin function _ZN7rocprim17ROCPRIM_400000_NS6detail17trampoline_kernelINS0_14default_configENS1_36segmented_radix_sort_config_selectorIdlEEZNS1_25segmented_radix_sort_implIS3_Lb1EPKdPdPKlPlN2at6native12_GLOBAL__N_18offset_tEEE10hipError_tPvRmT1_PNSt15iterator_traitsISK_E10value_typeET2_T3_PNSL_ISQ_E10value_typeET4_jRbjT5_SW_jjP12ihipStream_tbEUlT_E0_NS1_11comp_targetILNS1_3genE5ELNS1_11target_archE942ELNS1_3gpuE9ELNS1_3repE0EEENS1_60segmented_radix_sort_warp_sort_medium_config_static_selectorELNS0_4arch9wavefront6targetE0EEEvSK_
	.p2align	8
	.type	_ZN7rocprim17ROCPRIM_400000_NS6detail17trampoline_kernelINS0_14default_configENS1_36segmented_radix_sort_config_selectorIdlEEZNS1_25segmented_radix_sort_implIS3_Lb1EPKdPdPKlPlN2at6native12_GLOBAL__N_18offset_tEEE10hipError_tPvRmT1_PNSt15iterator_traitsISK_E10value_typeET2_T3_PNSL_ISQ_E10value_typeET4_jRbjT5_SW_jjP12ihipStream_tbEUlT_E0_NS1_11comp_targetILNS1_3genE5ELNS1_11target_archE942ELNS1_3gpuE9ELNS1_3repE0EEENS1_60segmented_radix_sort_warp_sort_medium_config_static_selectorELNS0_4arch9wavefront6targetE0EEEvSK_,@function
_ZN7rocprim17ROCPRIM_400000_NS6detail17trampoline_kernelINS0_14default_configENS1_36segmented_radix_sort_config_selectorIdlEEZNS1_25segmented_radix_sort_implIS3_Lb1EPKdPdPKlPlN2at6native12_GLOBAL__N_18offset_tEEE10hipError_tPvRmT1_PNSt15iterator_traitsISK_E10value_typeET2_T3_PNSL_ISQ_E10value_typeET4_jRbjT5_SW_jjP12ihipStream_tbEUlT_E0_NS1_11comp_targetILNS1_3genE5ELNS1_11target_archE942ELNS1_3gpuE9ELNS1_3repE0EEENS1_60segmented_radix_sort_warp_sort_medium_config_static_selectorELNS0_4arch9wavefront6targetE0EEEvSK_: ; @_ZN7rocprim17ROCPRIM_400000_NS6detail17trampoline_kernelINS0_14default_configENS1_36segmented_radix_sort_config_selectorIdlEEZNS1_25segmented_radix_sort_implIS3_Lb1EPKdPdPKlPlN2at6native12_GLOBAL__N_18offset_tEEE10hipError_tPvRmT1_PNSt15iterator_traitsISK_E10value_typeET2_T3_PNSL_ISQ_E10value_typeET4_jRbjT5_SW_jjP12ihipStream_tbEUlT_E0_NS1_11comp_targetILNS1_3genE5ELNS1_11target_archE942ELNS1_3gpuE9ELNS1_3repE0EEENS1_60segmented_radix_sort_warp_sort_medium_config_static_selectorELNS0_4arch9wavefront6targetE0EEEvSK_
; %bb.0:
	.section	.rodata,"a",@progbits
	.p2align	6, 0x0
	.amdhsa_kernel _ZN7rocprim17ROCPRIM_400000_NS6detail17trampoline_kernelINS0_14default_configENS1_36segmented_radix_sort_config_selectorIdlEEZNS1_25segmented_radix_sort_implIS3_Lb1EPKdPdPKlPlN2at6native12_GLOBAL__N_18offset_tEEE10hipError_tPvRmT1_PNSt15iterator_traitsISK_E10value_typeET2_T3_PNSL_ISQ_E10value_typeET4_jRbjT5_SW_jjP12ihipStream_tbEUlT_E0_NS1_11comp_targetILNS1_3genE5ELNS1_11target_archE942ELNS1_3gpuE9ELNS1_3repE0EEENS1_60segmented_radix_sort_warp_sort_medium_config_static_selectorELNS0_4arch9wavefront6targetE0EEEvSK_
		.amdhsa_group_segment_fixed_size 0
		.amdhsa_private_segment_fixed_size 0
		.amdhsa_kernarg_size 88
		.amdhsa_user_sgpr_count 2
		.amdhsa_user_sgpr_dispatch_ptr 0
		.amdhsa_user_sgpr_queue_ptr 0
		.amdhsa_user_sgpr_kernarg_segment_ptr 1
		.amdhsa_user_sgpr_dispatch_id 0
		.amdhsa_user_sgpr_kernarg_preload_length 0
		.amdhsa_user_sgpr_kernarg_preload_offset 0
		.amdhsa_user_sgpr_private_segment_size 0
		.amdhsa_wavefront_size32 1
		.amdhsa_uses_dynamic_stack 0
		.amdhsa_enable_private_segment 0
		.amdhsa_system_sgpr_workgroup_id_x 1
		.amdhsa_system_sgpr_workgroup_id_y 0
		.amdhsa_system_sgpr_workgroup_id_z 0
		.amdhsa_system_sgpr_workgroup_info 0
		.amdhsa_system_vgpr_workitem_id 0
		.amdhsa_next_free_vgpr 1
		.amdhsa_next_free_sgpr 1
		.amdhsa_named_barrier_count 0
		.amdhsa_reserve_vcc 0
		.amdhsa_float_round_mode_32 0
		.amdhsa_float_round_mode_16_64 0
		.amdhsa_float_denorm_mode_32 3
		.amdhsa_float_denorm_mode_16_64 3
		.amdhsa_fp16_overflow 0
		.amdhsa_memory_ordered 1
		.amdhsa_forward_progress 1
		.amdhsa_inst_pref_size 0
		.amdhsa_round_robin_scheduling 0
		.amdhsa_exception_fp_ieee_invalid_op 0
		.amdhsa_exception_fp_denorm_src 0
		.amdhsa_exception_fp_ieee_div_zero 0
		.amdhsa_exception_fp_ieee_overflow 0
		.amdhsa_exception_fp_ieee_underflow 0
		.amdhsa_exception_fp_ieee_inexact 0
		.amdhsa_exception_int_div_zero 0
	.end_amdhsa_kernel
	.section	.text._ZN7rocprim17ROCPRIM_400000_NS6detail17trampoline_kernelINS0_14default_configENS1_36segmented_radix_sort_config_selectorIdlEEZNS1_25segmented_radix_sort_implIS3_Lb1EPKdPdPKlPlN2at6native12_GLOBAL__N_18offset_tEEE10hipError_tPvRmT1_PNSt15iterator_traitsISK_E10value_typeET2_T3_PNSL_ISQ_E10value_typeET4_jRbjT5_SW_jjP12ihipStream_tbEUlT_E0_NS1_11comp_targetILNS1_3genE5ELNS1_11target_archE942ELNS1_3gpuE9ELNS1_3repE0EEENS1_60segmented_radix_sort_warp_sort_medium_config_static_selectorELNS0_4arch9wavefront6targetE0EEEvSK_,"axG",@progbits,_ZN7rocprim17ROCPRIM_400000_NS6detail17trampoline_kernelINS0_14default_configENS1_36segmented_radix_sort_config_selectorIdlEEZNS1_25segmented_radix_sort_implIS3_Lb1EPKdPdPKlPlN2at6native12_GLOBAL__N_18offset_tEEE10hipError_tPvRmT1_PNSt15iterator_traitsISK_E10value_typeET2_T3_PNSL_ISQ_E10value_typeET4_jRbjT5_SW_jjP12ihipStream_tbEUlT_E0_NS1_11comp_targetILNS1_3genE5ELNS1_11target_archE942ELNS1_3gpuE9ELNS1_3repE0EEENS1_60segmented_radix_sort_warp_sort_medium_config_static_selectorELNS0_4arch9wavefront6targetE0EEEvSK_,comdat
.Lfunc_end1124:
	.size	_ZN7rocprim17ROCPRIM_400000_NS6detail17trampoline_kernelINS0_14default_configENS1_36segmented_radix_sort_config_selectorIdlEEZNS1_25segmented_radix_sort_implIS3_Lb1EPKdPdPKlPlN2at6native12_GLOBAL__N_18offset_tEEE10hipError_tPvRmT1_PNSt15iterator_traitsISK_E10value_typeET2_T3_PNSL_ISQ_E10value_typeET4_jRbjT5_SW_jjP12ihipStream_tbEUlT_E0_NS1_11comp_targetILNS1_3genE5ELNS1_11target_archE942ELNS1_3gpuE9ELNS1_3repE0EEENS1_60segmented_radix_sort_warp_sort_medium_config_static_selectorELNS0_4arch9wavefront6targetE0EEEvSK_, .Lfunc_end1124-_ZN7rocprim17ROCPRIM_400000_NS6detail17trampoline_kernelINS0_14default_configENS1_36segmented_radix_sort_config_selectorIdlEEZNS1_25segmented_radix_sort_implIS3_Lb1EPKdPdPKlPlN2at6native12_GLOBAL__N_18offset_tEEE10hipError_tPvRmT1_PNSt15iterator_traitsISK_E10value_typeET2_T3_PNSL_ISQ_E10value_typeET4_jRbjT5_SW_jjP12ihipStream_tbEUlT_E0_NS1_11comp_targetILNS1_3genE5ELNS1_11target_archE942ELNS1_3gpuE9ELNS1_3repE0EEENS1_60segmented_radix_sort_warp_sort_medium_config_static_selectorELNS0_4arch9wavefront6targetE0EEEvSK_
                                        ; -- End function
	.set _ZN7rocprim17ROCPRIM_400000_NS6detail17trampoline_kernelINS0_14default_configENS1_36segmented_radix_sort_config_selectorIdlEEZNS1_25segmented_radix_sort_implIS3_Lb1EPKdPdPKlPlN2at6native12_GLOBAL__N_18offset_tEEE10hipError_tPvRmT1_PNSt15iterator_traitsISK_E10value_typeET2_T3_PNSL_ISQ_E10value_typeET4_jRbjT5_SW_jjP12ihipStream_tbEUlT_E0_NS1_11comp_targetILNS1_3genE5ELNS1_11target_archE942ELNS1_3gpuE9ELNS1_3repE0EEENS1_60segmented_radix_sort_warp_sort_medium_config_static_selectorELNS0_4arch9wavefront6targetE0EEEvSK_.num_vgpr, 0
	.set _ZN7rocprim17ROCPRIM_400000_NS6detail17trampoline_kernelINS0_14default_configENS1_36segmented_radix_sort_config_selectorIdlEEZNS1_25segmented_radix_sort_implIS3_Lb1EPKdPdPKlPlN2at6native12_GLOBAL__N_18offset_tEEE10hipError_tPvRmT1_PNSt15iterator_traitsISK_E10value_typeET2_T3_PNSL_ISQ_E10value_typeET4_jRbjT5_SW_jjP12ihipStream_tbEUlT_E0_NS1_11comp_targetILNS1_3genE5ELNS1_11target_archE942ELNS1_3gpuE9ELNS1_3repE0EEENS1_60segmented_radix_sort_warp_sort_medium_config_static_selectorELNS0_4arch9wavefront6targetE0EEEvSK_.num_agpr, 0
	.set _ZN7rocprim17ROCPRIM_400000_NS6detail17trampoline_kernelINS0_14default_configENS1_36segmented_radix_sort_config_selectorIdlEEZNS1_25segmented_radix_sort_implIS3_Lb1EPKdPdPKlPlN2at6native12_GLOBAL__N_18offset_tEEE10hipError_tPvRmT1_PNSt15iterator_traitsISK_E10value_typeET2_T3_PNSL_ISQ_E10value_typeET4_jRbjT5_SW_jjP12ihipStream_tbEUlT_E0_NS1_11comp_targetILNS1_3genE5ELNS1_11target_archE942ELNS1_3gpuE9ELNS1_3repE0EEENS1_60segmented_radix_sort_warp_sort_medium_config_static_selectorELNS0_4arch9wavefront6targetE0EEEvSK_.numbered_sgpr, 0
	.set _ZN7rocprim17ROCPRIM_400000_NS6detail17trampoline_kernelINS0_14default_configENS1_36segmented_radix_sort_config_selectorIdlEEZNS1_25segmented_radix_sort_implIS3_Lb1EPKdPdPKlPlN2at6native12_GLOBAL__N_18offset_tEEE10hipError_tPvRmT1_PNSt15iterator_traitsISK_E10value_typeET2_T3_PNSL_ISQ_E10value_typeET4_jRbjT5_SW_jjP12ihipStream_tbEUlT_E0_NS1_11comp_targetILNS1_3genE5ELNS1_11target_archE942ELNS1_3gpuE9ELNS1_3repE0EEENS1_60segmented_radix_sort_warp_sort_medium_config_static_selectorELNS0_4arch9wavefront6targetE0EEEvSK_.num_named_barrier, 0
	.set _ZN7rocprim17ROCPRIM_400000_NS6detail17trampoline_kernelINS0_14default_configENS1_36segmented_radix_sort_config_selectorIdlEEZNS1_25segmented_radix_sort_implIS3_Lb1EPKdPdPKlPlN2at6native12_GLOBAL__N_18offset_tEEE10hipError_tPvRmT1_PNSt15iterator_traitsISK_E10value_typeET2_T3_PNSL_ISQ_E10value_typeET4_jRbjT5_SW_jjP12ihipStream_tbEUlT_E0_NS1_11comp_targetILNS1_3genE5ELNS1_11target_archE942ELNS1_3gpuE9ELNS1_3repE0EEENS1_60segmented_radix_sort_warp_sort_medium_config_static_selectorELNS0_4arch9wavefront6targetE0EEEvSK_.private_seg_size, 0
	.set _ZN7rocprim17ROCPRIM_400000_NS6detail17trampoline_kernelINS0_14default_configENS1_36segmented_radix_sort_config_selectorIdlEEZNS1_25segmented_radix_sort_implIS3_Lb1EPKdPdPKlPlN2at6native12_GLOBAL__N_18offset_tEEE10hipError_tPvRmT1_PNSt15iterator_traitsISK_E10value_typeET2_T3_PNSL_ISQ_E10value_typeET4_jRbjT5_SW_jjP12ihipStream_tbEUlT_E0_NS1_11comp_targetILNS1_3genE5ELNS1_11target_archE942ELNS1_3gpuE9ELNS1_3repE0EEENS1_60segmented_radix_sort_warp_sort_medium_config_static_selectorELNS0_4arch9wavefront6targetE0EEEvSK_.uses_vcc, 0
	.set _ZN7rocprim17ROCPRIM_400000_NS6detail17trampoline_kernelINS0_14default_configENS1_36segmented_radix_sort_config_selectorIdlEEZNS1_25segmented_radix_sort_implIS3_Lb1EPKdPdPKlPlN2at6native12_GLOBAL__N_18offset_tEEE10hipError_tPvRmT1_PNSt15iterator_traitsISK_E10value_typeET2_T3_PNSL_ISQ_E10value_typeET4_jRbjT5_SW_jjP12ihipStream_tbEUlT_E0_NS1_11comp_targetILNS1_3genE5ELNS1_11target_archE942ELNS1_3gpuE9ELNS1_3repE0EEENS1_60segmented_radix_sort_warp_sort_medium_config_static_selectorELNS0_4arch9wavefront6targetE0EEEvSK_.uses_flat_scratch, 0
	.set _ZN7rocprim17ROCPRIM_400000_NS6detail17trampoline_kernelINS0_14default_configENS1_36segmented_radix_sort_config_selectorIdlEEZNS1_25segmented_radix_sort_implIS3_Lb1EPKdPdPKlPlN2at6native12_GLOBAL__N_18offset_tEEE10hipError_tPvRmT1_PNSt15iterator_traitsISK_E10value_typeET2_T3_PNSL_ISQ_E10value_typeET4_jRbjT5_SW_jjP12ihipStream_tbEUlT_E0_NS1_11comp_targetILNS1_3genE5ELNS1_11target_archE942ELNS1_3gpuE9ELNS1_3repE0EEENS1_60segmented_radix_sort_warp_sort_medium_config_static_selectorELNS0_4arch9wavefront6targetE0EEEvSK_.has_dyn_sized_stack, 0
	.set _ZN7rocprim17ROCPRIM_400000_NS6detail17trampoline_kernelINS0_14default_configENS1_36segmented_radix_sort_config_selectorIdlEEZNS1_25segmented_radix_sort_implIS3_Lb1EPKdPdPKlPlN2at6native12_GLOBAL__N_18offset_tEEE10hipError_tPvRmT1_PNSt15iterator_traitsISK_E10value_typeET2_T3_PNSL_ISQ_E10value_typeET4_jRbjT5_SW_jjP12ihipStream_tbEUlT_E0_NS1_11comp_targetILNS1_3genE5ELNS1_11target_archE942ELNS1_3gpuE9ELNS1_3repE0EEENS1_60segmented_radix_sort_warp_sort_medium_config_static_selectorELNS0_4arch9wavefront6targetE0EEEvSK_.has_recursion, 0
	.set _ZN7rocprim17ROCPRIM_400000_NS6detail17trampoline_kernelINS0_14default_configENS1_36segmented_radix_sort_config_selectorIdlEEZNS1_25segmented_radix_sort_implIS3_Lb1EPKdPdPKlPlN2at6native12_GLOBAL__N_18offset_tEEE10hipError_tPvRmT1_PNSt15iterator_traitsISK_E10value_typeET2_T3_PNSL_ISQ_E10value_typeET4_jRbjT5_SW_jjP12ihipStream_tbEUlT_E0_NS1_11comp_targetILNS1_3genE5ELNS1_11target_archE942ELNS1_3gpuE9ELNS1_3repE0EEENS1_60segmented_radix_sort_warp_sort_medium_config_static_selectorELNS0_4arch9wavefront6targetE0EEEvSK_.has_indirect_call, 0
	.section	.AMDGPU.csdata,"",@progbits
; Kernel info:
; codeLenInByte = 0
; TotalNumSgprs: 0
; NumVgprs: 0
; ScratchSize: 0
; MemoryBound: 0
; FloatMode: 240
; IeeeMode: 1
; LDSByteSize: 0 bytes/workgroup (compile time only)
; SGPRBlocks: 0
; VGPRBlocks: 0
; NumSGPRsForWavesPerEU: 1
; NumVGPRsForWavesPerEU: 1
; NamedBarCnt: 0
; Occupancy: 16
; WaveLimiterHint : 0
; COMPUTE_PGM_RSRC2:SCRATCH_EN: 0
; COMPUTE_PGM_RSRC2:USER_SGPR: 2
; COMPUTE_PGM_RSRC2:TRAP_HANDLER: 0
; COMPUTE_PGM_RSRC2:TGID_X_EN: 1
; COMPUTE_PGM_RSRC2:TGID_Y_EN: 0
; COMPUTE_PGM_RSRC2:TGID_Z_EN: 0
; COMPUTE_PGM_RSRC2:TIDIG_COMP_CNT: 0
	.section	.text._ZN7rocprim17ROCPRIM_400000_NS6detail17trampoline_kernelINS0_14default_configENS1_36segmented_radix_sort_config_selectorIdlEEZNS1_25segmented_radix_sort_implIS3_Lb1EPKdPdPKlPlN2at6native12_GLOBAL__N_18offset_tEEE10hipError_tPvRmT1_PNSt15iterator_traitsISK_E10value_typeET2_T3_PNSL_ISQ_E10value_typeET4_jRbjT5_SW_jjP12ihipStream_tbEUlT_E0_NS1_11comp_targetILNS1_3genE4ELNS1_11target_archE910ELNS1_3gpuE8ELNS1_3repE0EEENS1_60segmented_radix_sort_warp_sort_medium_config_static_selectorELNS0_4arch9wavefront6targetE0EEEvSK_,"axG",@progbits,_ZN7rocprim17ROCPRIM_400000_NS6detail17trampoline_kernelINS0_14default_configENS1_36segmented_radix_sort_config_selectorIdlEEZNS1_25segmented_radix_sort_implIS3_Lb1EPKdPdPKlPlN2at6native12_GLOBAL__N_18offset_tEEE10hipError_tPvRmT1_PNSt15iterator_traitsISK_E10value_typeET2_T3_PNSL_ISQ_E10value_typeET4_jRbjT5_SW_jjP12ihipStream_tbEUlT_E0_NS1_11comp_targetILNS1_3genE4ELNS1_11target_archE910ELNS1_3gpuE8ELNS1_3repE0EEENS1_60segmented_radix_sort_warp_sort_medium_config_static_selectorELNS0_4arch9wavefront6targetE0EEEvSK_,comdat
	.globl	_ZN7rocprim17ROCPRIM_400000_NS6detail17trampoline_kernelINS0_14default_configENS1_36segmented_radix_sort_config_selectorIdlEEZNS1_25segmented_radix_sort_implIS3_Lb1EPKdPdPKlPlN2at6native12_GLOBAL__N_18offset_tEEE10hipError_tPvRmT1_PNSt15iterator_traitsISK_E10value_typeET2_T3_PNSL_ISQ_E10value_typeET4_jRbjT5_SW_jjP12ihipStream_tbEUlT_E0_NS1_11comp_targetILNS1_3genE4ELNS1_11target_archE910ELNS1_3gpuE8ELNS1_3repE0EEENS1_60segmented_radix_sort_warp_sort_medium_config_static_selectorELNS0_4arch9wavefront6targetE0EEEvSK_ ; -- Begin function _ZN7rocprim17ROCPRIM_400000_NS6detail17trampoline_kernelINS0_14default_configENS1_36segmented_radix_sort_config_selectorIdlEEZNS1_25segmented_radix_sort_implIS3_Lb1EPKdPdPKlPlN2at6native12_GLOBAL__N_18offset_tEEE10hipError_tPvRmT1_PNSt15iterator_traitsISK_E10value_typeET2_T3_PNSL_ISQ_E10value_typeET4_jRbjT5_SW_jjP12ihipStream_tbEUlT_E0_NS1_11comp_targetILNS1_3genE4ELNS1_11target_archE910ELNS1_3gpuE8ELNS1_3repE0EEENS1_60segmented_radix_sort_warp_sort_medium_config_static_selectorELNS0_4arch9wavefront6targetE0EEEvSK_
	.p2align	8
	.type	_ZN7rocprim17ROCPRIM_400000_NS6detail17trampoline_kernelINS0_14default_configENS1_36segmented_radix_sort_config_selectorIdlEEZNS1_25segmented_radix_sort_implIS3_Lb1EPKdPdPKlPlN2at6native12_GLOBAL__N_18offset_tEEE10hipError_tPvRmT1_PNSt15iterator_traitsISK_E10value_typeET2_T3_PNSL_ISQ_E10value_typeET4_jRbjT5_SW_jjP12ihipStream_tbEUlT_E0_NS1_11comp_targetILNS1_3genE4ELNS1_11target_archE910ELNS1_3gpuE8ELNS1_3repE0EEENS1_60segmented_radix_sort_warp_sort_medium_config_static_selectorELNS0_4arch9wavefront6targetE0EEEvSK_,@function
_ZN7rocprim17ROCPRIM_400000_NS6detail17trampoline_kernelINS0_14default_configENS1_36segmented_radix_sort_config_selectorIdlEEZNS1_25segmented_radix_sort_implIS3_Lb1EPKdPdPKlPlN2at6native12_GLOBAL__N_18offset_tEEE10hipError_tPvRmT1_PNSt15iterator_traitsISK_E10value_typeET2_T3_PNSL_ISQ_E10value_typeET4_jRbjT5_SW_jjP12ihipStream_tbEUlT_E0_NS1_11comp_targetILNS1_3genE4ELNS1_11target_archE910ELNS1_3gpuE8ELNS1_3repE0EEENS1_60segmented_radix_sort_warp_sort_medium_config_static_selectorELNS0_4arch9wavefront6targetE0EEEvSK_: ; @_ZN7rocprim17ROCPRIM_400000_NS6detail17trampoline_kernelINS0_14default_configENS1_36segmented_radix_sort_config_selectorIdlEEZNS1_25segmented_radix_sort_implIS3_Lb1EPKdPdPKlPlN2at6native12_GLOBAL__N_18offset_tEEE10hipError_tPvRmT1_PNSt15iterator_traitsISK_E10value_typeET2_T3_PNSL_ISQ_E10value_typeET4_jRbjT5_SW_jjP12ihipStream_tbEUlT_E0_NS1_11comp_targetILNS1_3genE4ELNS1_11target_archE910ELNS1_3gpuE8ELNS1_3repE0EEENS1_60segmented_radix_sort_warp_sort_medium_config_static_selectorELNS0_4arch9wavefront6targetE0EEEvSK_
; %bb.0:
	.section	.rodata,"a",@progbits
	.p2align	6, 0x0
	.amdhsa_kernel _ZN7rocprim17ROCPRIM_400000_NS6detail17trampoline_kernelINS0_14default_configENS1_36segmented_radix_sort_config_selectorIdlEEZNS1_25segmented_radix_sort_implIS3_Lb1EPKdPdPKlPlN2at6native12_GLOBAL__N_18offset_tEEE10hipError_tPvRmT1_PNSt15iterator_traitsISK_E10value_typeET2_T3_PNSL_ISQ_E10value_typeET4_jRbjT5_SW_jjP12ihipStream_tbEUlT_E0_NS1_11comp_targetILNS1_3genE4ELNS1_11target_archE910ELNS1_3gpuE8ELNS1_3repE0EEENS1_60segmented_radix_sort_warp_sort_medium_config_static_selectorELNS0_4arch9wavefront6targetE0EEEvSK_
		.amdhsa_group_segment_fixed_size 0
		.amdhsa_private_segment_fixed_size 0
		.amdhsa_kernarg_size 88
		.amdhsa_user_sgpr_count 2
		.amdhsa_user_sgpr_dispatch_ptr 0
		.amdhsa_user_sgpr_queue_ptr 0
		.amdhsa_user_sgpr_kernarg_segment_ptr 1
		.amdhsa_user_sgpr_dispatch_id 0
		.amdhsa_user_sgpr_kernarg_preload_length 0
		.amdhsa_user_sgpr_kernarg_preload_offset 0
		.amdhsa_user_sgpr_private_segment_size 0
		.amdhsa_wavefront_size32 1
		.amdhsa_uses_dynamic_stack 0
		.amdhsa_enable_private_segment 0
		.amdhsa_system_sgpr_workgroup_id_x 1
		.amdhsa_system_sgpr_workgroup_id_y 0
		.amdhsa_system_sgpr_workgroup_id_z 0
		.amdhsa_system_sgpr_workgroup_info 0
		.amdhsa_system_vgpr_workitem_id 0
		.amdhsa_next_free_vgpr 1
		.amdhsa_next_free_sgpr 1
		.amdhsa_named_barrier_count 0
		.amdhsa_reserve_vcc 0
		.amdhsa_float_round_mode_32 0
		.amdhsa_float_round_mode_16_64 0
		.amdhsa_float_denorm_mode_32 3
		.amdhsa_float_denorm_mode_16_64 3
		.amdhsa_fp16_overflow 0
		.amdhsa_memory_ordered 1
		.amdhsa_forward_progress 1
		.amdhsa_inst_pref_size 0
		.amdhsa_round_robin_scheduling 0
		.amdhsa_exception_fp_ieee_invalid_op 0
		.amdhsa_exception_fp_denorm_src 0
		.amdhsa_exception_fp_ieee_div_zero 0
		.amdhsa_exception_fp_ieee_overflow 0
		.amdhsa_exception_fp_ieee_underflow 0
		.amdhsa_exception_fp_ieee_inexact 0
		.amdhsa_exception_int_div_zero 0
	.end_amdhsa_kernel
	.section	.text._ZN7rocprim17ROCPRIM_400000_NS6detail17trampoline_kernelINS0_14default_configENS1_36segmented_radix_sort_config_selectorIdlEEZNS1_25segmented_radix_sort_implIS3_Lb1EPKdPdPKlPlN2at6native12_GLOBAL__N_18offset_tEEE10hipError_tPvRmT1_PNSt15iterator_traitsISK_E10value_typeET2_T3_PNSL_ISQ_E10value_typeET4_jRbjT5_SW_jjP12ihipStream_tbEUlT_E0_NS1_11comp_targetILNS1_3genE4ELNS1_11target_archE910ELNS1_3gpuE8ELNS1_3repE0EEENS1_60segmented_radix_sort_warp_sort_medium_config_static_selectorELNS0_4arch9wavefront6targetE0EEEvSK_,"axG",@progbits,_ZN7rocprim17ROCPRIM_400000_NS6detail17trampoline_kernelINS0_14default_configENS1_36segmented_radix_sort_config_selectorIdlEEZNS1_25segmented_radix_sort_implIS3_Lb1EPKdPdPKlPlN2at6native12_GLOBAL__N_18offset_tEEE10hipError_tPvRmT1_PNSt15iterator_traitsISK_E10value_typeET2_T3_PNSL_ISQ_E10value_typeET4_jRbjT5_SW_jjP12ihipStream_tbEUlT_E0_NS1_11comp_targetILNS1_3genE4ELNS1_11target_archE910ELNS1_3gpuE8ELNS1_3repE0EEENS1_60segmented_radix_sort_warp_sort_medium_config_static_selectorELNS0_4arch9wavefront6targetE0EEEvSK_,comdat
.Lfunc_end1125:
	.size	_ZN7rocprim17ROCPRIM_400000_NS6detail17trampoline_kernelINS0_14default_configENS1_36segmented_radix_sort_config_selectorIdlEEZNS1_25segmented_radix_sort_implIS3_Lb1EPKdPdPKlPlN2at6native12_GLOBAL__N_18offset_tEEE10hipError_tPvRmT1_PNSt15iterator_traitsISK_E10value_typeET2_T3_PNSL_ISQ_E10value_typeET4_jRbjT5_SW_jjP12ihipStream_tbEUlT_E0_NS1_11comp_targetILNS1_3genE4ELNS1_11target_archE910ELNS1_3gpuE8ELNS1_3repE0EEENS1_60segmented_radix_sort_warp_sort_medium_config_static_selectorELNS0_4arch9wavefront6targetE0EEEvSK_, .Lfunc_end1125-_ZN7rocprim17ROCPRIM_400000_NS6detail17trampoline_kernelINS0_14default_configENS1_36segmented_radix_sort_config_selectorIdlEEZNS1_25segmented_radix_sort_implIS3_Lb1EPKdPdPKlPlN2at6native12_GLOBAL__N_18offset_tEEE10hipError_tPvRmT1_PNSt15iterator_traitsISK_E10value_typeET2_T3_PNSL_ISQ_E10value_typeET4_jRbjT5_SW_jjP12ihipStream_tbEUlT_E0_NS1_11comp_targetILNS1_3genE4ELNS1_11target_archE910ELNS1_3gpuE8ELNS1_3repE0EEENS1_60segmented_radix_sort_warp_sort_medium_config_static_selectorELNS0_4arch9wavefront6targetE0EEEvSK_
                                        ; -- End function
	.set _ZN7rocprim17ROCPRIM_400000_NS6detail17trampoline_kernelINS0_14default_configENS1_36segmented_radix_sort_config_selectorIdlEEZNS1_25segmented_radix_sort_implIS3_Lb1EPKdPdPKlPlN2at6native12_GLOBAL__N_18offset_tEEE10hipError_tPvRmT1_PNSt15iterator_traitsISK_E10value_typeET2_T3_PNSL_ISQ_E10value_typeET4_jRbjT5_SW_jjP12ihipStream_tbEUlT_E0_NS1_11comp_targetILNS1_3genE4ELNS1_11target_archE910ELNS1_3gpuE8ELNS1_3repE0EEENS1_60segmented_radix_sort_warp_sort_medium_config_static_selectorELNS0_4arch9wavefront6targetE0EEEvSK_.num_vgpr, 0
	.set _ZN7rocprim17ROCPRIM_400000_NS6detail17trampoline_kernelINS0_14default_configENS1_36segmented_radix_sort_config_selectorIdlEEZNS1_25segmented_radix_sort_implIS3_Lb1EPKdPdPKlPlN2at6native12_GLOBAL__N_18offset_tEEE10hipError_tPvRmT1_PNSt15iterator_traitsISK_E10value_typeET2_T3_PNSL_ISQ_E10value_typeET4_jRbjT5_SW_jjP12ihipStream_tbEUlT_E0_NS1_11comp_targetILNS1_3genE4ELNS1_11target_archE910ELNS1_3gpuE8ELNS1_3repE0EEENS1_60segmented_radix_sort_warp_sort_medium_config_static_selectorELNS0_4arch9wavefront6targetE0EEEvSK_.num_agpr, 0
	.set _ZN7rocprim17ROCPRIM_400000_NS6detail17trampoline_kernelINS0_14default_configENS1_36segmented_radix_sort_config_selectorIdlEEZNS1_25segmented_radix_sort_implIS3_Lb1EPKdPdPKlPlN2at6native12_GLOBAL__N_18offset_tEEE10hipError_tPvRmT1_PNSt15iterator_traitsISK_E10value_typeET2_T3_PNSL_ISQ_E10value_typeET4_jRbjT5_SW_jjP12ihipStream_tbEUlT_E0_NS1_11comp_targetILNS1_3genE4ELNS1_11target_archE910ELNS1_3gpuE8ELNS1_3repE0EEENS1_60segmented_radix_sort_warp_sort_medium_config_static_selectorELNS0_4arch9wavefront6targetE0EEEvSK_.numbered_sgpr, 0
	.set _ZN7rocprim17ROCPRIM_400000_NS6detail17trampoline_kernelINS0_14default_configENS1_36segmented_radix_sort_config_selectorIdlEEZNS1_25segmented_radix_sort_implIS3_Lb1EPKdPdPKlPlN2at6native12_GLOBAL__N_18offset_tEEE10hipError_tPvRmT1_PNSt15iterator_traitsISK_E10value_typeET2_T3_PNSL_ISQ_E10value_typeET4_jRbjT5_SW_jjP12ihipStream_tbEUlT_E0_NS1_11comp_targetILNS1_3genE4ELNS1_11target_archE910ELNS1_3gpuE8ELNS1_3repE0EEENS1_60segmented_radix_sort_warp_sort_medium_config_static_selectorELNS0_4arch9wavefront6targetE0EEEvSK_.num_named_barrier, 0
	.set _ZN7rocprim17ROCPRIM_400000_NS6detail17trampoline_kernelINS0_14default_configENS1_36segmented_radix_sort_config_selectorIdlEEZNS1_25segmented_radix_sort_implIS3_Lb1EPKdPdPKlPlN2at6native12_GLOBAL__N_18offset_tEEE10hipError_tPvRmT1_PNSt15iterator_traitsISK_E10value_typeET2_T3_PNSL_ISQ_E10value_typeET4_jRbjT5_SW_jjP12ihipStream_tbEUlT_E0_NS1_11comp_targetILNS1_3genE4ELNS1_11target_archE910ELNS1_3gpuE8ELNS1_3repE0EEENS1_60segmented_radix_sort_warp_sort_medium_config_static_selectorELNS0_4arch9wavefront6targetE0EEEvSK_.private_seg_size, 0
	.set _ZN7rocprim17ROCPRIM_400000_NS6detail17trampoline_kernelINS0_14default_configENS1_36segmented_radix_sort_config_selectorIdlEEZNS1_25segmented_radix_sort_implIS3_Lb1EPKdPdPKlPlN2at6native12_GLOBAL__N_18offset_tEEE10hipError_tPvRmT1_PNSt15iterator_traitsISK_E10value_typeET2_T3_PNSL_ISQ_E10value_typeET4_jRbjT5_SW_jjP12ihipStream_tbEUlT_E0_NS1_11comp_targetILNS1_3genE4ELNS1_11target_archE910ELNS1_3gpuE8ELNS1_3repE0EEENS1_60segmented_radix_sort_warp_sort_medium_config_static_selectorELNS0_4arch9wavefront6targetE0EEEvSK_.uses_vcc, 0
	.set _ZN7rocprim17ROCPRIM_400000_NS6detail17trampoline_kernelINS0_14default_configENS1_36segmented_radix_sort_config_selectorIdlEEZNS1_25segmented_radix_sort_implIS3_Lb1EPKdPdPKlPlN2at6native12_GLOBAL__N_18offset_tEEE10hipError_tPvRmT1_PNSt15iterator_traitsISK_E10value_typeET2_T3_PNSL_ISQ_E10value_typeET4_jRbjT5_SW_jjP12ihipStream_tbEUlT_E0_NS1_11comp_targetILNS1_3genE4ELNS1_11target_archE910ELNS1_3gpuE8ELNS1_3repE0EEENS1_60segmented_radix_sort_warp_sort_medium_config_static_selectorELNS0_4arch9wavefront6targetE0EEEvSK_.uses_flat_scratch, 0
	.set _ZN7rocprim17ROCPRIM_400000_NS6detail17trampoline_kernelINS0_14default_configENS1_36segmented_radix_sort_config_selectorIdlEEZNS1_25segmented_radix_sort_implIS3_Lb1EPKdPdPKlPlN2at6native12_GLOBAL__N_18offset_tEEE10hipError_tPvRmT1_PNSt15iterator_traitsISK_E10value_typeET2_T3_PNSL_ISQ_E10value_typeET4_jRbjT5_SW_jjP12ihipStream_tbEUlT_E0_NS1_11comp_targetILNS1_3genE4ELNS1_11target_archE910ELNS1_3gpuE8ELNS1_3repE0EEENS1_60segmented_radix_sort_warp_sort_medium_config_static_selectorELNS0_4arch9wavefront6targetE0EEEvSK_.has_dyn_sized_stack, 0
	.set _ZN7rocprim17ROCPRIM_400000_NS6detail17trampoline_kernelINS0_14default_configENS1_36segmented_radix_sort_config_selectorIdlEEZNS1_25segmented_radix_sort_implIS3_Lb1EPKdPdPKlPlN2at6native12_GLOBAL__N_18offset_tEEE10hipError_tPvRmT1_PNSt15iterator_traitsISK_E10value_typeET2_T3_PNSL_ISQ_E10value_typeET4_jRbjT5_SW_jjP12ihipStream_tbEUlT_E0_NS1_11comp_targetILNS1_3genE4ELNS1_11target_archE910ELNS1_3gpuE8ELNS1_3repE0EEENS1_60segmented_radix_sort_warp_sort_medium_config_static_selectorELNS0_4arch9wavefront6targetE0EEEvSK_.has_recursion, 0
	.set _ZN7rocprim17ROCPRIM_400000_NS6detail17trampoline_kernelINS0_14default_configENS1_36segmented_radix_sort_config_selectorIdlEEZNS1_25segmented_radix_sort_implIS3_Lb1EPKdPdPKlPlN2at6native12_GLOBAL__N_18offset_tEEE10hipError_tPvRmT1_PNSt15iterator_traitsISK_E10value_typeET2_T3_PNSL_ISQ_E10value_typeET4_jRbjT5_SW_jjP12ihipStream_tbEUlT_E0_NS1_11comp_targetILNS1_3genE4ELNS1_11target_archE910ELNS1_3gpuE8ELNS1_3repE0EEENS1_60segmented_radix_sort_warp_sort_medium_config_static_selectorELNS0_4arch9wavefront6targetE0EEEvSK_.has_indirect_call, 0
	.section	.AMDGPU.csdata,"",@progbits
; Kernel info:
; codeLenInByte = 0
; TotalNumSgprs: 0
; NumVgprs: 0
; ScratchSize: 0
; MemoryBound: 0
; FloatMode: 240
; IeeeMode: 1
; LDSByteSize: 0 bytes/workgroup (compile time only)
; SGPRBlocks: 0
; VGPRBlocks: 0
; NumSGPRsForWavesPerEU: 1
; NumVGPRsForWavesPerEU: 1
; NamedBarCnt: 0
; Occupancy: 16
; WaveLimiterHint : 0
; COMPUTE_PGM_RSRC2:SCRATCH_EN: 0
; COMPUTE_PGM_RSRC2:USER_SGPR: 2
; COMPUTE_PGM_RSRC2:TRAP_HANDLER: 0
; COMPUTE_PGM_RSRC2:TGID_X_EN: 1
; COMPUTE_PGM_RSRC2:TGID_Y_EN: 0
; COMPUTE_PGM_RSRC2:TGID_Z_EN: 0
; COMPUTE_PGM_RSRC2:TIDIG_COMP_CNT: 0
	.section	.text._ZN7rocprim17ROCPRIM_400000_NS6detail17trampoline_kernelINS0_14default_configENS1_36segmented_radix_sort_config_selectorIdlEEZNS1_25segmented_radix_sort_implIS3_Lb1EPKdPdPKlPlN2at6native12_GLOBAL__N_18offset_tEEE10hipError_tPvRmT1_PNSt15iterator_traitsISK_E10value_typeET2_T3_PNSL_ISQ_E10value_typeET4_jRbjT5_SW_jjP12ihipStream_tbEUlT_E0_NS1_11comp_targetILNS1_3genE3ELNS1_11target_archE908ELNS1_3gpuE7ELNS1_3repE0EEENS1_60segmented_radix_sort_warp_sort_medium_config_static_selectorELNS0_4arch9wavefront6targetE0EEEvSK_,"axG",@progbits,_ZN7rocprim17ROCPRIM_400000_NS6detail17trampoline_kernelINS0_14default_configENS1_36segmented_radix_sort_config_selectorIdlEEZNS1_25segmented_radix_sort_implIS3_Lb1EPKdPdPKlPlN2at6native12_GLOBAL__N_18offset_tEEE10hipError_tPvRmT1_PNSt15iterator_traitsISK_E10value_typeET2_T3_PNSL_ISQ_E10value_typeET4_jRbjT5_SW_jjP12ihipStream_tbEUlT_E0_NS1_11comp_targetILNS1_3genE3ELNS1_11target_archE908ELNS1_3gpuE7ELNS1_3repE0EEENS1_60segmented_radix_sort_warp_sort_medium_config_static_selectorELNS0_4arch9wavefront6targetE0EEEvSK_,comdat
	.globl	_ZN7rocprim17ROCPRIM_400000_NS6detail17trampoline_kernelINS0_14default_configENS1_36segmented_radix_sort_config_selectorIdlEEZNS1_25segmented_radix_sort_implIS3_Lb1EPKdPdPKlPlN2at6native12_GLOBAL__N_18offset_tEEE10hipError_tPvRmT1_PNSt15iterator_traitsISK_E10value_typeET2_T3_PNSL_ISQ_E10value_typeET4_jRbjT5_SW_jjP12ihipStream_tbEUlT_E0_NS1_11comp_targetILNS1_3genE3ELNS1_11target_archE908ELNS1_3gpuE7ELNS1_3repE0EEENS1_60segmented_radix_sort_warp_sort_medium_config_static_selectorELNS0_4arch9wavefront6targetE0EEEvSK_ ; -- Begin function _ZN7rocprim17ROCPRIM_400000_NS6detail17trampoline_kernelINS0_14default_configENS1_36segmented_radix_sort_config_selectorIdlEEZNS1_25segmented_radix_sort_implIS3_Lb1EPKdPdPKlPlN2at6native12_GLOBAL__N_18offset_tEEE10hipError_tPvRmT1_PNSt15iterator_traitsISK_E10value_typeET2_T3_PNSL_ISQ_E10value_typeET4_jRbjT5_SW_jjP12ihipStream_tbEUlT_E0_NS1_11comp_targetILNS1_3genE3ELNS1_11target_archE908ELNS1_3gpuE7ELNS1_3repE0EEENS1_60segmented_radix_sort_warp_sort_medium_config_static_selectorELNS0_4arch9wavefront6targetE0EEEvSK_
	.p2align	8
	.type	_ZN7rocprim17ROCPRIM_400000_NS6detail17trampoline_kernelINS0_14default_configENS1_36segmented_radix_sort_config_selectorIdlEEZNS1_25segmented_radix_sort_implIS3_Lb1EPKdPdPKlPlN2at6native12_GLOBAL__N_18offset_tEEE10hipError_tPvRmT1_PNSt15iterator_traitsISK_E10value_typeET2_T3_PNSL_ISQ_E10value_typeET4_jRbjT5_SW_jjP12ihipStream_tbEUlT_E0_NS1_11comp_targetILNS1_3genE3ELNS1_11target_archE908ELNS1_3gpuE7ELNS1_3repE0EEENS1_60segmented_radix_sort_warp_sort_medium_config_static_selectorELNS0_4arch9wavefront6targetE0EEEvSK_,@function
_ZN7rocprim17ROCPRIM_400000_NS6detail17trampoline_kernelINS0_14default_configENS1_36segmented_radix_sort_config_selectorIdlEEZNS1_25segmented_radix_sort_implIS3_Lb1EPKdPdPKlPlN2at6native12_GLOBAL__N_18offset_tEEE10hipError_tPvRmT1_PNSt15iterator_traitsISK_E10value_typeET2_T3_PNSL_ISQ_E10value_typeET4_jRbjT5_SW_jjP12ihipStream_tbEUlT_E0_NS1_11comp_targetILNS1_3genE3ELNS1_11target_archE908ELNS1_3gpuE7ELNS1_3repE0EEENS1_60segmented_radix_sort_warp_sort_medium_config_static_selectorELNS0_4arch9wavefront6targetE0EEEvSK_: ; @_ZN7rocprim17ROCPRIM_400000_NS6detail17trampoline_kernelINS0_14default_configENS1_36segmented_radix_sort_config_selectorIdlEEZNS1_25segmented_radix_sort_implIS3_Lb1EPKdPdPKlPlN2at6native12_GLOBAL__N_18offset_tEEE10hipError_tPvRmT1_PNSt15iterator_traitsISK_E10value_typeET2_T3_PNSL_ISQ_E10value_typeET4_jRbjT5_SW_jjP12ihipStream_tbEUlT_E0_NS1_11comp_targetILNS1_3genE3ELNS1_11target_archE908ELNS1_3gpuE7ELNS1_3repE0EEENS1_60segmented_radix_sort_warp_sort_medium_config_static_selectorELNS0_4arch9wavefront6targetE0EEEvSK_
; %bb.0:
	.section	.rodata,"a",@progbits
	.p2align	6, 0x0
	.amdhsa_kernel _ZN7rocprim17ROCPRIM_400000_NS6detail17trampoline_kernelINS0_14default_configENS1_36segmented_radix_sort_config_selectorIdlEEZNS1_25segmented_radix_sort_implIS3_Lb1EPKdPdPKlPlN2at6native12_GLOBAL__N_18offset_tEEE10hipError_tPvRmT1_PNSt15iterator_traitsISK_E10value_typeET2_T3_PNSL_ISQ_E10value_typeET4_jRbjT5_SW_jjP12ihipStream_tbEUlT_E0_NS1_11comp_targetILNS1_3genE3ELNS1_11target_archE908ELNS1_3gpuE7ELNS1_3repE0EEENS1_60segmented_radix_sort_warp_sort_medium_config_static_selectorELNS0_4arch9wavefront6targetE0EEEvSK_
		.amdhsa_group_segment_fixed_size 0
		.amdhsa_private_segment_fixed_size 0
		.amdhsa_kernarg_size 88
		.amdhsa_user_sgpr_count 2
		.amdhsa_user_sgpr_dispatch_ptr 0
		.amdhsa_user_sgpr_queue_ptr 0
		.amdhsa_user_sgpr_kernarg_segment_ptr 1
		.amdhsa_user_sgpr_dispatch_id 0
		.amdhsa_user_sgpr_kernarg_preload_length 0
		.amdhsa_user_sgpr_kernarg_preload_offset 0
		.amdhsa_user_sgpr_private_segment_size 0
		.amdhsa_wavefront_size32 1
		.amdhsa_uses_dynamic_stack 0
		.amdhsa_enable_private_segment 0
		.amdhsa_system_sgpr_workgroup_id_x 1
		.amdhsa_system_sgpr_workgroup_id_y 0
		.amdhsa_system_sgpr_workgroup_id_z 0
		.amdhsa_system_sgpr_workgroup_info 0
		.amdhsa_system_vgpr_workitem_id 0
		.amdhsa_next_free_vgpr 1
		.amdhsa_next_free_sgpr 1
		.amdhsa_named_barrier_count 0
		.amdhsa_reserve_vcc 0
		.amdhsa_float_round_mode_32 0
		.amdhsa_float_round_mode_16_64 0
		.amdhsa_float_denorm_mode_32 3
		.amdhsa_float_denorm_mode_16_64 3
		.amdhsa_fp16_overflow 0
		.amdhsa_memory_ordered 1
		.amdhsa_forward_progress 1
		.amdhsa_inst_pref_size 0
		.amdhsa_round_robin_scheduling 0
		.amdhsa_exception_fp_ieee_invalid_op 0
		.amdhsa_exception_fp_denorm_src 0
		.amdhsa_exception_fp_ieee_div_zero 0
		.amdhsa_exception_fp_ieee_overflow 0
		.amdhsa_exception_fp_ieee_underflow 0
		.amdhsa_exception_fp_ieee_inexact 0
		.amdhsa_exception_int_div_zero 0
	.end_amdhsa_kernel
	.section	.text._ZN7rocprim17ROCPRIM_400000_NS6detail17trampoline_kernelINS0_14default_configENS1_36segmented_radix_sort_config_selectorIdlEEZNS1_25segmented_radix_sort_implIS3_Lb1EPKdPdPKlPlN2at6native12_GLOBAL__N_18offset_tEEE10hipError_tPvRmT1_PNSt15iterator_traitsISK_E10value_typeET2_T3_PNSL_ISQ_E10value_typeET4_jRbjT5_SW_jjP12ihipStream_tbEUlT_E0_NS1_11comp_targetILNS1_3genE3ELNS1_11target_archE908ELNS1_3gpuE7ELNS1_3repE0EEENS1_60segmented_radix_sort_warp_sort_medium_config_static_selectorELNS0_4arch9wavefront6targetE0EEEvSK_,"axG",@progbits,_ZN7rocprim17ROCPRIM_400000_NS6detail17trampoline_kernelINS0_14default_configENS1_36segmented_radix_sort_config_selectorIdlEEZNS1_25segmented_radix_sort_implIS3_Lb1EPKdPdPKlPlN2at6native12_GLOBAL__N_18offset_tEEE10hipError_tPvRmT1_PNSt15iterator_traitsISK_E10value_typeET2_T3_PNSL_ISQ_E10value_typeET4_jRbjT5_SW_jjP12ihipStream_tbEUlT_E0_NS1_11comp_targetILNS1_3genE3ELNS1_11target_archE908ELNS1_3gpuE7ELNS1_3repE0EEENS1_60segmented_radix_sort_warp_sort_medium_config_static_selectorELNS0_4arch9wavefront6targetE0EEEvSK_,comdat
.Lfunc_end1126:
	.size	_ZN7rocprim17ROCPRIM_400000_NS6detail17trampoline_kernelINS0_14default_configENS1_36segmented_radix_sort_config_selectorIdlEEZNS1_25segmented_radix_sort_implIS3_Lb1EPKdPdPKlPlN2at6native12_GLOBAL__N_18offset_tEEE10hipError_tPvRmT1_PNSt15iterator_traitsISK_E10value_typeET2_T3_PNSL_ISQ_E10value_typeET4_jRbjT5_SW_jjP12ihipStream_tbEUlT_E0_NS1_11comp_targetILNS1_3genE3ELNS1_11target_archE908ELNS1_3gpuE7ELNS1_3repE0EEENS1_60segmented_radix_sort_warp_sort_medium_config_static_selectorELNS0_4arch9wavefront6targetE0EEEvSK_, .Lfunc_end1126-_ZN7rocprim17ROCPRIM_400000_NS6detail17trampoline_kernelINS0_14default_configENS1_36segmented_radix_sort_config_selectorIdlEEZNS1_25segmented_radix_sort_implIS3_Lb1EPKdPdPKlPlN2at6native12_GLOBAL__N_18offset_tEEE10hipError_tPvRmT1_PNSt15iterator_traitsISK_E10value_typeET2_T3_PNSL_ISQ_E10value_typeET4_jRbjT5_SW_jjP12ihipStream_tbEUlT_E0_NS1_11comp_targetILNS1_3genE3ELNS1_11target_archE908ELNS1_3gpuE7ELNS1_3repE0EEENS1_60segmented_radix_sort_warp_sort_medium_config_static_selectorELNS0_4arch9wavefront6targetE0EEEvSK_
                                        ; -- End function
	.set _ZN7rocprim17ROCPRIM_400000_NS6detail17trampoline_kernelINS0_14default_configENS1_36segmented_radix_sort_config_selectorIdlEEZNS1_25segmented_radix_sort_implIS3_Lb1EPKdPdPKlPlN2at6native12_GLOBAL__N_18offset_tEEE10hipError_tPvRmT1_PNSt15iterator_traitsISK_E10value_typeET2_T3_PNSL_ISQ_E10value_typeET4_jRbjT5_SW_jjP12ihipStream_tbEUlT_E0_NS1_11comp_targetILNS1_3genE3ELNS1_11target_archE908ELNS1_3gpuE7ELNS1_3repE0EEENS1_60segmented_radix_sort_warp_sort_medium_config_static_selectorELNS0_4arch9wavefront6targetE0EEEvSK_.num_vgpr, 0
	.set _ZN7rocprim17ROCPRIM_400000_NS6detail17trampoline_kernelINS0_14default_configENS1_36segmented_radix_sort_config_selectorIdlEEZNS1_25segmented_radix_sort_implIS3_Lb1EPKdPdPKlPlN2at6native12_GLOBAL__N_18offset_tEEE10hipError_tPvRmT1_PNSt15iterator_traitsISK_E10value_typeET2_T3_PNSL_ISQ_E10value_typeET4_jRbjT5_SW_jjP12ihipStream_tbEUlT_E0_NS1_11comp_targetILNS1_3genE3ELNS1_11target_archE908ELNS1_3gpuE7ELNS1_3repE0EEENS1_60segmented_radix_sort_warp_sort_medium_config_static_selectorELNS0_4arch9wavefront6targetE0EEEvSK_.num_agpr, 0
	.set _ZN7rocprim17ROCPRIM_400000_NS6detail17trampoline_kernelINS0_14default_configENS1_36segmented_radix_sort_config_selectorIdlEEZNS1_25segmented_radix_sort_implIS3_Lb1EPKdPdPKlPlN2at6native12_GLOBAL__N_18offset_tEEE10hipError_tPvRmT1_PNSt15iterator_traitsISK_E10value_typeET2_T3_PNSL_ISQ_E10value_typeET4_jRbjT5_SW_jjP12ihipStream_tbEUlT_E0_NS1_11comp_targetILNS1_3genE3ELNS1_11target_archE908ELNS1_3gpuE7ELNS1_3repE0EEENS1_60segmented_radix_sort_warp_sort_medium_config_static_selectorELNS0_4arch9wavefront6targetE0EEEvSK_.numbered_sgpr, 0
	.set _ZN7rocprim17ROCPRIM_400000_NS6detail17trampoline_kernelINS0_14default_configENS1_36segmented_radix_sort_config_selectorIdlEEZNS1_25segmented_radix_sort_implIS3_Lb1EPKdPdPKlPlN2at6native12_GLOBAL__N_18offset_tEEE10hipError_tPvRmT1_PNSt15iterator_traitsISK_E10value_typeET2_T3_PNSL_ISQ_E10value_typeET4_jRbjT5_SW_jjP12ihipStream_tbEUlT_E0_NS1_11comp_targetILNS1_3genE3ELNS1_11target_archE908ELNS1_3gpuE7ELNS1_3repE0EEENS1_60segmented_radix_sort_warp_sort_medium_config_static_selectorELNS0_4arch9wavefront6targetE0EEEvSK_.num_named_barrier, 0
	.set _ZN7rocprim17ROCPRIM_400000_NS6detail17trampoline_kernelINS0_14default_configENS1_36segmented_radix_sort_config_selectorIdlEEZNS1_25segmented_radix_sort_implIS3_Lb1EPKdPdPKlPlN2at6native12_GLOBAL__N_18offset_tEEE10hipError_tPvRmT1_PNSt15iterator_traitsISK_E10value_typeET2_T3_PNSL_ISQ_E10value_typeET4_jRbjT5_SW_jjP12ihipStream_tbEUlT_E0_NS1_11comp_targetILNS1_3genE3ELNS1_11target_archE908ELNS1_3gpuE7ELNS1_3repE0EEENS1_60segmented_radix_sort_warp_sort_medium_config_static_selectorELNS0_4arch9wavefront6targetE0EEEvSK_.private_seg_size, 0
	.set _ZN7rocprim17ROCPRIM_400000_NS6detail17trampoline_kernelINS0_14default_configENS1_36segmented_radix_sort_config_selectorIdlEEZNS1_25segmented_radix_sort_implIS3_Lb1EPKdPdPKlPlN2at6native12_GLOBAL__N_18offset_tEEE10hipError_tPvRmT1_PNSt15iterator_traitsISK_E10value_typeET2_T3_PNSL_ISQ_E10value_typeET4_jRbjT5_SW_jjP12ihipStream_tbEUlT_E0_NS1_11comp_targetILNS1_3genE3ELNS1_11target_archE908ELNS1_3gpuE7ELNS1_3repE0EEENS1_60segmented_radix_sort_warp_sort_medium_config_static_selectorELNS0_4arch9wavefront6targetE0EEEvSK_.uses_vcc, 0
	.set _ZN7rocprim17ROCPRIM_400000_NS6detail17trampoline_kernelINS0_14default_configENS1_36segmented_radix_sort_config_selectorIdlEEZNS1_25segmented_radix_sort_implIS3_Lb1EPKdPdPKlPlN2at6native12_GLOBAL__N_18offset_tEEE10hipError_tPvRmT1_PNSt15iterator_traitsISK_E10value_typeET2_T3_PNSL_ISQ_E10value_typeET4_jRbjT5_SW_jjP12ihipStream_tbEUlT_E0_NS1_11comp_targetILNS1_3genE3ELNS1_11target_archE908ELNS1_3gpuE7ELNS1_3repE0EEENS1_60segmented_radix_sort_warp_sort_medium_config_static_selectorELNS0_4arch9wavefront6targetE0EEEvSK_.uses_flat_scratch, 0
	.set _ZN7rocprim17ROCPRIM_400000_NS6detail17trampoline_kernelINS0_14default_configENS1_36segmented_radix_sort_config_selectorIdlEEZNS1_25segmented_radix_sort_implIS3_Lb1EPKdPdPKlPlN2at6native12_GLOBAL__N_18offset_tEEE10hipError_tPvRmT1_PNSt15iterator_traitsISK_E10value_typeET2_T3_PNSL_ISQ_E10value_typeET4_jRbjT5_SW_jjP12ihipStream_tbEUlT_E0_NS1_11comp_targetILNS1_3genE3ELNS1_11target_archE908ELNS1_3gpuE7ELNS1_3repE0EEENS1_60segmented_radix_sort_warp_sort_medium_config_static_selectorELNS0_4arch9wavefront6targetE0EEEvSK_.has_dyn_sized_stack, 0
	.set _ZN7rocprim17ROCPRIM_400000_NS6detail17trampoline_kernelINS0_14default_configENS1_36segmented_radix_sort_config_selectorIdlEEZNS1_25segmented_radix_sort_implIS3_Lb1EPKdPdPKlPlN2at6native12_GLOBAL__N_18offset_tEEE10hipError_tPvRmT1_PNSt15iterator_traitsISK_E10value_typeET2_T3_PNSL_ISQ_E10value_typeET4_jRbjT5_SW_jjP12ihipStream_tbEUlT_E0_NS1_11comp_targetILNS1_3genE3ELNS1_11target_archE908ELNS1_3gpuE7ELNS1_3repE0EEENS1_60segmented_radix_sort_warp_sort_medium_config_static_selectorELNS0_4arch9wavefront6targetE0EEEvSK_.has_recursion, 0
	.set _ZN7rocprim17ROCPRIM_400000_NS6detail17trampoline_kernelINS0_14default_configENS1_36segmented_radix_sort_config_selectorIdlEEZNS1_25segmented_radix_sort_implIS3_Lb1EPKdPdPKlPlN2at6native12_GLOBAL__N_18offset_tEEE10hipError_tPvRmT1_PNSt15iterator_traitsISK_E10value_typeET2_T3_PNSL_ISQ_E10value_typeET4_jRbjT5_SW_jjP12ihipStream_tbEUlT_E0_NS1_11comp_targetILNS1_3genE3ELNS1_11target_archE908ELNS1_3gpuE7ELNS1_3repE0EEENS1_60segmented_radix_sort_warp_sort_medium_config_static_selectorELNS0_4arch9wavefront6targetE0EEEvSK_.has_indirect_call, 0
	.section	.AMDGPU.csdata,"",@progbits
; Kernel info:
; codeLenInByte = 0
; TotalNumSgprs: 0
; NumVgprs: 0
; ScratchSize: 0
; MemoryBound: 0
; FloatMode: 240
; IeeeMode: 1
; LDSByteSize: 0 bytes/workgroup (compile time only)
; SGPRBlocks: 0
; VGPRBlocks: 0
; NumSGPRsForWavesPerEU: 1
; NumVGPRsForWavesPerEU: 1
; NamedBarCnt: 0
; Occupancy: 16
; WaveLimiterHint : 0
; COMPUTE_PGM_RSRC2:SCRATCH_EN: 0
; COMPUTE_PGM_RSRC2:USER_SGPR: 2
; COMPUTE_PGM_RSRC2:TRAP_HANDLER: 0
; COMPUTE_PGM_RSRC2:TGID_X_EN: 1
; COMPUTE_PGM_RSRC2:TGID_Y_EN: 0
; COMPUTE_PGM_RSRC2:TGID_Z_EN: 0
; COMPUTE_PGM_RSRC2:TIDIG_COMP_CNT: 0
	.section	.text._ZN7rocprim17ROCPRIM_400000_NS6detail17trampoline_kernelINS0_14default_configENS1_36segmented_radix_sort_config_selectorIdlEEZNS1_25segmented_radix_sort_implIS3_Lb1EPKdPdPKlPlN2at6native12_GLOBAL__N_18offset_tEEE10hipError_tPvRmT1_PNSt15iterator_traitsISK_E10value_typeET2_T3_PNSL_ISQ_E10value_typeET4_jRbjT5_SW_jjP12ihipStream_tbEUlT_E0_NS1_11comp_targetILNS1_3genE2ELNS1_11target_archE906ELNS1_3gpuE6ELNS1_3repE0EEENS1_60segmented_radix_sort_warp_sort_medium_config_static_selectorELNS0_4arch9wavefront6targetE0EEEvSK_,"axG",@progbits,_ZN7rocprim17ROCPRIM_400000_NS6detail17trampoline_kernelINS0_14default_configENS1_36segmented_radix_sort_config_selectorIdlEEZNS1_25segmented_radix_sort_implIS3_Lb1EPKdPdPKlPlN2at6native12_GLOBAL__N_18offset_tEEE10hipError_tPvRmT1_PNSt15iterator_traitsISK_E10value_typeET2_T3_PNSL_ISQ_E10value_typeET4_jRbjT5_SW_jjP12ihipStream_tbEUlT_E0_NS1_11comp_targetILNS1_3genE2ELNS1_11target_archE906ELNS1_3gpuE6ELNS1_3repE0EEENS1_60segmented_radix_sort_warp_sort_medium_config_static_selectorELNS0_4arch9wavefront6targetE0EEEvSK_,comdat
	.globl	_ZN7rocprim17ROCPRIM_400000_NS6detail17trampoline_kernelINS0_14default_configENS1_36segmented_radix_sort_config_selectorIdlEEZNS1_25segmented_radix_sort_implIS3_Lb1EPKdPdPKlPlN2at6native12_GLOBAL__N_18offset_tEEE10hipError_tPvRmT1_PNSt15iterator_traitsISK_E10value_typeET2_T3_PNSL_ISQ_E10value_typeET4_jRbjT5_SW_jjP12ihipStream_tbEUlT_E0_NS1_11comp_targetILNS1_3genE2ELNS1_11target_archE906ELNS1_3gpuE6ELNS1_3repE0EEENS1_60segmented_radix_sort_warp_sort_medium_config_static_selectorELNS0_4arch9wavefront6targetE0EEEvSK_ ; -- Begin function _ZN7rocprim17ROCPRIM_400000_NS6detail17trampoline_kernelINS0_14default_configENS1_36segmented_radix_sort_config_selectorIdlEEZNS1_25segmented_radix_sort_implIS3_Lb1EPKdPdPKlPlN2at6native12_GLOBAL__N_18offset_tEEE10hipError_tPvRmT1_PNSt15iterator_traitsISK_E10value_typeET2_T3_PNSL_ISQ_E10value_typeET4_jRbjT5_SW_jjP12ihipStream_tbEUlT_E0_NS1_11comp_targetILNS1_3genE2ELNS1_11target_archE906ELNS1_3gpuE6ELNS1_3repE0EEENS1_60segmented_radix_sort_warp_sort_medium_config_static_selectorELNS0_4arch9wavefront6targetE0EEEvSK_
	.p2align	8
	.type	_ZN7rocprim17ROCPRIM_400000_NS6detail17trampoline_kernelINS0_14default_configENS1_36segmented_radix_sort_config_selectorIdlEEZNS1_25segmented_radix_sort_implIS3_Lb1EPKdPdPKlPlN2at6native12_GLOBAL__N_18offset_tEEE10hipError_tPvRmT1_PNSt15iterator_traitsISK_E10value_typeET2_T3_PNSL_ISQ_E10value_typeET4_jRbjT5_SW_jjP12ihipStream_tbEUlT_E0_NS1_11comp_targetILNS1_3genE2ELNS1_11target_archE906ELNS1_3gpuE6ELNS1_3repE0EEENS1_60segmented_radix_sort_warp_sort_medium_config_static_selectorELNS0_4arch9wavefront6targetE0EEEvSK_,@function
_ZN7rocprim17ROCPRIM_400000_NS6detail17trampoline_kernelINS0_14default_configENS1_36segmented_radix_sort_config_selectorIdlEEZNS1_25segmented_radix_sort_implIS3_Lb1EPKdPdPKlPlN2at6native12_GLOBAL__N_18offset_tEEE10hipError_tPvRmT1_PNSt15iterator_traitsISK_E10value_typeET2_T3_PNSL_ISQ_E10value_typeET4_jRbjT5_SW_jjP12ihipStream_tbEUlT_E0_NS1_11comp_targetILNS1_3genE2ELNS1_11target_archE906ELNS1_3gpuE6ELNS1_3repE0EEENS1_60segmented_radix_sort_warp_sort_medium_config_static_selectorELNS0_4arch9wavefront6targetE0EEEvSK_: ; @_ZN7rocprim17ROCPRIM_400000_NS6detail17trampoline_kernelINS0_14default_configENS1_36segmented_radix_sort_config_selectorIdlEEZNS1_25segmented_radix_sort_implIS3_Lb1EPKdPdPKlPlN2at6native12_GLOBAL__N_18offset_tEEE10hipError_tPvRmT1_PNSt15iterator_traitsISK_E10value_typeET2_T3_PNSL_ISQ_E10value_typeET4_jRbjT5_SW_jjP12ihipStream_tbEUlT_E0_NS1_11comp_targetILNS1_3genE2ELNS1_11target_archE906ELNS1_3gpuE6ELNS1_3repE0EEENS1_60segmented_radix_sort_warp_sort_medium_config_static_selectorELNS0_4arch9wavefront6targetE0EEEvSK_
; %bb.0:
	.section	.rodata,"a",@progbits
	.p2align	6, 0x0
	.amdhsa_kernel _ZN7rocprim17ROCPRIM_400000_NS6detail17trampoline_kernelINS0_14default_configENS1_36segmented_radix_sort_config_selectorIdlEEZNS1_25segmented_radix_sort_implIS3_Lb1EPKdPdPKlPlN2at6native12_GLOBAL__N_18offset_tEEE10hipError_tPvRmT1_PNSt15iterator_traitsISK_E10value_typeET2_T3_PNSL_ISQ_E10value_typeET4_jRbjT5_SW_jjP12ihipStream_tbEUlT_E0_NS1_11comp_targetILNS1_3genE2ELNS1_11target_archE906ELNS1_3gpuE6ELNS1_3repE0EEENS1_60segmented_radix_sort_warp_sort_medium_config_static_selectorELNS0_4arch9wavefront6targetE0EEEvSK_
		.amdhsa_group_segment_fixed_size 0
		.amdhsa_private_segment_fixed_size 0
		.amdhsa_kernarg_size 88
		.amdhsa_user_sgpr_count 2
		.amdhsa_user_sgpr_dispatch_ptr 0
		.amdhsa_user_sgpr_queue_ptr 0
		.amdhsa_user_sgpr_kernarg_segment_ptr 1
		.amdhsa_user_sgpr_dispatch_id 0
		.amdhsa_user_sgpr_kernarg_preload_length 0
		.amdhsa_user_sgpr_kernarg_preload_offset 0
		.amdhsa_user_sgpr_private_segment_size 0
		.amdhsa_wavefront_size32 1
		.amdhsa_uses_dynamic_stack 0
		.amdhsa_enable_private_segment 0
		.amdhsa_system_sgpr_workgroup_id_x 1
		.amdhsa_system_sgpr_workgroup_id_y 0
		.amdhsa_system_sgpr_workgroup_id_z 0
		.amdhsa_system_sgpr_workgroup_info 0
		.amdhsa_system_vgpr_workitem_id 0
		.amdhsa_next_free_vgpr 1
		.amdhsa_next_free_sgpr 1
		.amdhsa_named_barrier_count 0
		.amdhsa_reserve_vcc 0
		.amdhsa_float_round_mode_32 0
		.amdhsa_float_round_mode_16_64 0
		.amdhsa_float_denorm_mode_32 3
		.amdhsa_float_denorm_mode_16_64 3
		.amdhsa_fp16_overflow 0
		.amdhsa_memory_ordered 1
		.amdhsa_forward_progress 1
		.amdhsa_inst_pref_size 0
		.amdhsa_round_robin_scheduling 0
		.amdhsa_exception_fp_ieee_invalid_op 0
		.amdhsa_exception_fp_denorm_src 0
		.amdhsa_exception_fp_ieee_div_zero 0
		.amdhsa_exception_fp_ieee_overflow 0
		.amdhsa_exception_fp_ieee_underflow 0
		.amdhsa_exception_fp_ieee_inexact 0
		.amdhsa_exception_int_div_zero 0
	.end_amdhsa_kernel
	.section	.text._ZN7rocprim17ROCPRIM_400000_NS6detail17trampoline_kernelINS0_14default_configENS1_36segmented_radix_sort_config_selectorIdlEEZNS1_25segmented_radix_sort_implIS3_Lb1EPKdPdPKlPlN2at6native12_GLOBAL__N_18offset_tEEE10hipError_tPvRmT1_PNSt15iterator_traitsISK_E10value_typeET2_T3_PNSL_ISQ_E10value_typeET4_jRbjT5_SW_jjP12ihipStream_tbEUlT_E0_NS1_11comp_targetILNS1_3genE2ELNS1_11target_archE906ELNS1_3gpuE6ELNS1_3repE0EEENS1_60segmented_radix_sort_warp_sort_medium_config_static_selectorELNS0_4arch9wavefront6targetE0EEEvSK_,"axG",@progbits,_ZN7rocprim17ROCPRIM_400000_NS6detail17trampoline_kernelINS0_14default_configENS1_36segmented_radix_sort_config_selectorIdlEEZNS1_25segmented_radix_sort_implIS3_Lb1EPKdPdPKlPlN2at6native12_GLOBAL__N_18offset_tEEE10hipError_tPvRmT1_PNSt15iterator_traitsISK_E10value_typeET2_T3_PNSL_ISQ_E10value_typeET4_jRbjT5_SW_jjP12ihipStream_tbEUlT_E0_NS1_11comp_targetILNS1_3genE2ELNS1_11target_archE906ELNS1_3gpuE6ELNS1_3repE0EEENS1_60segmented_radix_sort_warp_sort_medium_config_static_selectorELNS0_4arch9wavefront6targetE0EEEvSK_,comdat
.Lfunc_end1127:
	.size	_ZN7rocprim17ROCPRIM_400000_NS6detail17trampoline_kernelINS0_14default_configENS1_36segmented_radix_sort_config_selectorIdlEEZNS1_25segmented_radix_sort_implIS3_Lb1EPKdPdPKlPlN2at6native12_GLOBAL__N_18offset_tEEE10hipError_tPvRmT1_PNSt15iterator_traitsISK_E10value_typeET2_T3_PNSL_ISQ_E10value_typeET4_jRbjT5_SW_jjP12ihipStream_tbEUlT_E0_NS1_11comp_targetILNS1_3genE2ELNS1_11target_archE906ELNS1_3gpuE6ELNS1_3repE0EEENS1_60segmented_radix_sort_warp_sort_medium_config_static_selectorELNS0_4arch9wavefront6targetE0EEEvSK_, .Lfunc_end1127-_ZN7rocprim17ROCPRIM_400000_NS6detail17trampoline_kernelINS0_14default_configENS1_36segmented_radix_sort_config_selectorIdlEEZNS1_25segmented_radix_sort_implIS3_Lb1EPKdPdPKlPlN2at6native12_GLOBAL__N_18offset_tEEE10hipError_tPvRmT1_PNSt15iterator_traitsISK_E10value_typeET2_T3_PNSL_ISQ_E10value_typeET4_jRbjT5_SW_jjP12ihipStream_tbEUlT_E0_NS1_11comp_targetILNS1_3genE2ELNS1_11target_archE906ELNS1_3gpuE6ELNS1_3repE0EEENS1_60segmented_radix_sort_warp_sort_medium_config_static_selectorELNS0_4arch9wavefront6targetE0EEEvSK_
                                        ; -- End function
	.set _ZN7rocprim17ROCPRIM_400000_NS6detail17trampoline_kernelINS0_14default_configENS1_36segmented_radix_sort_config_selectorIdlEEZNS1_25segmented_radix_sort_implIS3_Lb1EPKdPdPKlPlN2at6native12_GLOBAL__N_18offset_tEEE10hipError_tPvRmT1_PNSt15iterator_traitsISK_E10value_typeET2_T3_PNSL_ISQ_E10value_typeET4_jRbjT5_SW_jjP12ihipStream_tbEUlT_E0_NS1_11comp_targetILNS1_3genE2ELNS1_11target_archE906ELNS1_3gpuE6ELNS1_3repE0EEENS1_60segmented_radix_sort_warp_sort_medium_config_static_selectorELNS0_4arch9wavefront6targetE0EEEvSK_.num_vgpr, 0
	.set _ZN7rocprim17ROCPRIM_400000_NS6detail17trampoline_kernelINS0_14default_configENS1_36segmented_radix_sort_config_selectorIdlEEZNS1_25segmented_radix_sort_implIS3_Lb1EPKdPdPKlPlN2at6native12_GLOBAL__N_18offset_tEEE10hipError_tPvRmT1_PNSt15iterator_traitsISK_E10value_typeET2_T3_PNSL_ISQ_E10value_typeET4_jRbjT5_SW_jjP12ihipStream_tbEUlT_E0_NS1_11comp_targetILNS1_3genE2ELNS1_11target_archE906ELNS1_3gpuE6ELNS1_3repE0EEENS1_60segmented_radix_sort_warp_sort_medium_config_static_selectorELNS0_4arch9wavefront6targetE0EEEvSK_.num_agpr, 0
	.set _ZN7rocprim17ROCPRIM_400000_NS6detail17trampoline_kernelINS0_14default_configENS1_36segmented_radix_sort_config_selectorIdlEEZNS1_25segmented_radix_sort_implIS3_Lb1EPKdPdPKlPlN2at6native12_GLOBAL__N_18offset_tEEE10hipError_tPvRmT1_PNSt15iterator_traitsISK_E10value_typeET2_T3_PNSL_ISQ_E10value_typeET4_jRbjT5_SW_jjP12ihipStream_tbEUlT_E0_NS1_11comp_targetILNS1_3genE2ELNS1_11target_archE906ELNS1_3gpuE6ELNS1_3repE0EEENS1_60segmented_radix_sort_warp_sort_medium_config_static_selectorELNS0_4arch9wavefront6targetE0EEEvSK_.numbered_sgpr, 0
	.set _ZN7rocprim17ROCPRIM_400000_NS6detail17trampoline_kernelINS0_14default_configENS1_36segmented_radix_sort_config_selectorIdlEEZNS1_25segmented_radix_sort_implIS3_Lb1EPKdPdPKlPlN2at6native12_GLOBAL__N_18offset_tEEE10hipError_tPvRmT1_PNSt15iterator_traitsISK_E10value_typeET2_T3_PNSL_ISQ_E10value_typeET4_jRbjT5_SW_jjP12ihipStream_tbEUlT_E0_NS1_11comp_targetILNS1_3genE2ELNS1_11target_archE906ELNS1_3gpuE6ELNS1_3repE0EEENS1_60segmented_radix_sort_warp_sort_medium_config_static_selectorELNS0_4arch9wavefront6targetE0EEEvSK_.num_named_barrier, 0
	.set _ZN7rocprim17ROCPRIM_400000_NS6detail17trampoline_kernelINS0_14default_configENS1_36segmented_radix_sort_config_selectorIdlEEZNS1_25segmented_radix_sort_implIS3_Lb1EPKdPdPKlPlN2at6native12_GLOBAL__N_18offset_tEEE10hipError_tPvRmT1_PNSt15iterator_traitsISK_E10value_typeET2_T3_PNSL_ISQ_E10value_typeET4_jRbjT5_SW_jjP12ihipStream_tbEUlT_E0_NS1_11comp_targetILNS1_3genE2ELNS1_11target_archE906ELNS1_3gpuE6ELNS1_3repE0EEENS1_60segmented_radix_sort_warp_sort_medium_config_static_selectorELNS0_4arch9wavefront6targetE0EEEvSK_.private_seg_size, 0
	.set _ZN7rocprim17ROCPRIM_400000_NS6detail17trampoline_kernelINS0_14default_configENS1_36segmented_radix_sort_config_selectorIdlEEZNS1_25segmented_radix_sort_implIS3_Lb1EPKdPdPKlPlN2at6native12_GLOBAL__N_18offset_tEEE10hipError_tPvRmT1_PNSt15iterator_traitsISK_E10value_typeET2_T3_PNSL_ISQ_E10value_typeET4_jRbjT5_SW_jjP12ihipStream_tbEUlT_E0_NS1_11comp_targetILNS1_3genE2ELNS1_11target_archE906ELNS1_3gpuE6ELNS1_3repE0EEENS1_60segmented_radix_sort_warp_sort_medium_config_static_selectorELNS0_4arch9wavefront6targetE0EEEvSK_.uses_vcc, 0
	.set _ZN7rocprim17ROCPRIM_400000_NS6detail17trampoline_kernelINS0_14default_configENS1_36segmented_radix_sort_config_selectorIdlEEZNS1_25segmented_radix_sort_implIS3_Lb1EPKdPdPKlPlN2at6native12_GLOBAL__N_18offset_tEEE10hipError_tPvRmT1_PNSt15iterator_traitsISK_E10value_typeET2_T3_PNSL_ISQ_E10value_typeET4_jRbjT5_SW_jjP12ihipStream_tbEUlT_E0_NS1_11comp_targetILNS1_3genE2ELNS1_11target_archE906ELNS1_3gpuE6ELNS1_3repE0EEENS1_60segmented_radix_sort_warp_sort_medium_config_static_selectorELNS0_4arch9wavefront6targetE0EEEvSK_.uses_flat_scratch, 0
	.set _ZN7rocprim17ROCPRIM_400000_NS6detail17trampoline_kernelINS0_14default_configENS1_36segmented_radix_sort_config_selectorIdlEEZNS1_25segmented_radix_sort_implIS3_Lb1EPKdPdPKlPlN2at6native12_GLOBAL__N_18offset_tEEE10hipError_tPvRmT1_PNSt15iterator_traitsISK_E10value_typeET2_T3_PNSL_ISQ_E10value_typeET4_jRbjT5_SW_jjP12ihipStream_tbEUlT_E0_NS1_11comp_targetILNS1_3genE2ELNS1_11target_archE906ELNS1_3gpuE6ELNS1_3repE0EEENS1_60segmented_radix_sort_warp_sort_medium_config_static_selectorELNS0_4arch9wavefront6targetE0EEEvSK_.has_dyn_sized_stack, 0
	.set _ZN7rocprim17ROCPRIM_400000_NS6detail17trampoline_kernelINS0_14default_configENS1_36segmented_radix_sort_config_selectorIdlEEZNS1_25segmented_radix_sort_implIS3_Lb1EPKdPdPKlPlN2at6native12_GLOBAL__N_18offset_tEEE10hipError_tPvRmT1_PNSt15iterator_traitsISK_E10value_typeET2_T3_PNSL_ISQ_E10value_typeET4_jRbjT5_SW_jjP12ihipStream_tbEUlT_E0_NS1_11comp_targetILNS1_3genE2ELNS1_11target_archE906ELNS1_3gpuE6ELNS1_3repE0EEENS1_60segmented_radix_sort_warp_sort_medium_config_static_selectorELNS0_4arch9wavefront6targetE0EEEvSK_.has_recursion, 0
	.set _ZN7rocprim17ROCPRIM_400000_NS6detail17trampoline_kernelINS0_14default_configENS1_36segmented_radix_sort_config_selectorIdlEEZNS1_25segmented_radix_sort_implIS3_Lb1EPKdPdPKlPlN2at6native12_GLOBAL__N_18offset_tEEE10hipError_tPvRmT1_PNSt15iterator_traitsISK_E10value_typeET2_T3_PNSL_ISQ_E10value_typeET4_jRbjT5_SW_jjP12ihipStream_tbEUlT_E0_NS1_11comp_targetILNS1_3genE2ELNS1_11target_archE906ELNS1_3gpuE6ELNS1_3repE0EEENS1_60segmented_radix_sort_warp_sort_medium_config_static_selectorELNS0_4arch9wavefront6targetE0EEEvSK_.has_indirect_call, 0
	.section	.AMDGPU.csdata,"",@progbits
; Kernel info:
; codeLenInByte = 0
; TotalNumSgprs: 0
; NumVgprs: 0
; ScratchSize: 0
; MemoryBound: 0
; FloatMode: 240
; IeeeMode: 1
; LDSByteSize: 0 bytes/workgroup (compile time only)
; SGPRBlocks: 0
; VGPRBlocks: 0
; NumSGPRsForWavesPerEU: 1
; NumVGPRsForWavesPerEU: 1
; NamedBarCnt: 0
; Occupancy: 16
; WaveLimiterHint : 0
; COMPUTE_PGM_RSRC2:SCRATCH_EN: 0
; COMPUTE_PGM_RSRC2:USER_SGPR: 2
; COMPUTE_PGM_RSRC2:TRAP_HANDLER: 0
; COMPUTE_PGM_RSRC2:TGID_X_EN: 1
; COMPUTE_PGM_RSRC2:TGID_Y_EN: 0
; COMPUTE_PGM_RSRC2:TGID_Z_EN: 0
; COMPUTE_PGM_RSRC2:TIDIG_COMP_CNT: 0
	.section	.text._ZN7rocprim17ROCPRIM_400000_NS6detail17trampoline_kernelINS0_14default_configENS1_36segmented_radix_sort_config_selectorIdlEEZNS1_25segmented_radix_sort_implIS3_Lb1EPKdPdPKlPlN2at6native12_GLOBAL__N_18offset_tEEE10hipError_tPvRmT1_PNSt15iterator_traitsISK_E10value_typeET2_T3_PNSL_ISQ_E10value_typeET4_jRbjT5_SW_jjP12ihipStream_tbEUlT_E0_NS1_11comp_targetILNS1_3genE10ELNS1_11target_archE1201ELNS1_3gpuE5ELNS1_3repE0EEENS1_60segmented_radix_sort_warp_sort_medium_config_static_selectorELNS0_4arch9wavefront6targetE0EEEvSK_,"axG",@progbits,_ZN7rocprim17ROCPRIM_400000_NS6detail17trampoline_kernelINS0_14default_configENS1_36segmented_radix_sort_config_selectorIdlEEZNS1_25segmented_radix_sort_implIS3_Lb1EPKdPdPKlPlN2at6native12_GLOBAL__N_18offset_tEEE10hipError_tPvRmT1_PNSt15iterator_traitsISK_E10value_typeET2_T3_PNSL_ISQ_E10value_typeET4_jRbjT5_SW_jjP12ihipStream_tbEUlT_E0_NS1_11comp_targetILNS1_3genE10ELNS1_11target_archE1201ELNS1_3gpuE5ELNS1_3repE0EEENS1_60segmented_radix_sort_warp_sort_medium_config_static_selectorELNS0_4arch9wavefront6targetE0EEEvSK_,comdat
	.globl	_ZN7rocprim17ROCPRIM_400000_NS6detail17trampoline_kernelINS0_14default_configENS1_36segmented_radix_sort_config_selectorIdlEEZNS1_25segmented_radix_sort_implIS3_Lb1EPKdPdPKlPlN2at6native12_GLOBAL__N_18offset_tEEE10hipError_tPvRmT1_PNSt15iterator_traitsISK_E10value_typeET2_T3_PNSL_ISQ_E10value_typeET4_jRbjT5_SW_jjP12ihipStream_tbEUlT_E0_NS1_11comp_targetILNS1_3genE10ELNS1_11target_archE1201ELNS1_3gpuE5ELNS1_3repE0EEENS1_60segmented_radix_sort_warp_sort_medium_config_static_selectorELNS0_4arch9wavefront6targetE0EEEvSK_ ; -- Begin function _ZN7rocprim17ROCPRIM_400000_NS6detail17trampoline_kernelINS0_14default_configENS1_36segmented_radix_sort_config_selectorIdlEEZNS1_25segmented_radix_sort_implIS3_Lb1EPKdPdPKlPlN2at6native12_GLOBAL__N_18offset_tEEE10hipError_tPvRmT1_PNSt15iterator_traitsISK_E10value_typeET2_T3_PNSL_ISQ_E10value_typeET4_jRbjT5_SW_jjP12ihipStream_tbEUlT_E0_NS1_11comp_targetILNS1_3genE10ELNS1_11target_archE1201ELNS1_3gpuE5ELNS1_3repE0EEENS1_60segmented_radix_sort_warp_sort_medium_config_static_selectorELNS0_4arch9wavefront6targetE0EEEvSK_
	.p2align	8
	.type	_ZN7rocprim17ROCPRIM_400000_NS6detail17trampoline_kernelINS0_14default_configENS1_36segmented_radix_sort_config_selectorIdlEEZNS1_25segmented_radix_sort_implIS3_Lb1EPKdPdPKlPlN2at6native12_GLOBAL__N_18offset_tEEE10hipError_tPvRmT1_PNSt15iterator_traitsISK_E10value_typeET2_T3_PNSL_ISQ_E10value_typeET4_jRbjT5_SW_jjP12ihipStream_tbEUlT_E0_NS1_11comp_targetILNS1_3genE10ELNS1_11target_archE1201ELNS1_3gpuE5ELNS1_3repE0EEENS1_60segmented_radix_sort_warp_sort_medium_config_static_selectorELNS0_4arch9wavefront6targetE0EEEvSK_,@function
_ZN7rocprim17ROCPRIM_400000_NS6detail17trampoline_kernelINS0_14default_configENS1_36segmented_radix_sort_config_selectorIdlEEZNS1_25segmented_radix_sort_implIS3_Lb1EPKdPdPKlPlN2at6native12_GLOBAL__N_18offset_tEEE10hipError_tPvRmT1_PNSt15iterator_traitsISK_E10value_typeET2_T3_PNSL_ISQ_E10value_typeET4_jRbjT5_SW_jjP12ihipStream_tbEUlT_E0_NS1_11comp_targetILNS1_3genE10ELNS1_11target_archE1201ELNS1_3gpuE5ELNS1_3repE0EEENS1_60segmented_radix_sort_warp_sort_medium_config_static_selectorELNS0_4arch9wavefront6targetE0EEEvSK_: ; @_ZN7rocprim17ROCPRIM_400000_NS6detail17trampoline_kernelINS0_14default_configENS1_36segmented_radix_sort_config_selectorIdlEEZNS1_25segmented_radix_sort_implIS3_Lb1EPKdPdPKlPlN2at6native12_GLOBAL__N_18offset_tEEE10hipError_tPvRmT1_PNSt15iterator_traitsISK_E10value_typeET2_T3_PNSL_ISQ_E10value_typeET4_jRbjT5_SW_jjP12ihipStream_tbEUlT_E0_NS1_11comp_targetILNS1_3genE10ELNS1_11target_archE1201ELNS1_3gpuE5ELNS1_3repE0EEENS1_60segmented_radix_sort_warp_sort_medium_config_static_selectorELNS0_4arch9wavefront6targetE0EEEvSK_
; %bb.0:
	.section	.rodata,"a",@progbits
	.p2align	6, 0x0
	.amdhsa_kernel _ZN7rocprim17ROCPRIM_400000_NS6detail17trampoline_kernelINS0_14default_configENS1_36segmented_radix_sort_config_selectorIdlEEZNS1_25segmented_radix_sort_implIS3_Lb1EPKdPdPKlPlN2at6native12_GLOBAL__N_18offset_tEEE10hipError_tPvRmT1_PNSt15iterator_traitsISK_E10value_typeET2_T3_PNSL_ISQ_E10value_typeET4_jRbjT5_SW_jjP12ihipStream_tbEUlT_E0_NS1_11comp_targetILNS1_3genE10ELNS1_11target_archE1201ELNS1_3gpuE5ELNS1_3repE0EEENS1_60segmented_radix_sort_warp_sort_medium_config_static_selectorELNS0_4arch9wavefront6targetE0EEEvSK_
		.amdhsa_group_segment_fixed_size 0
		.amdhsa_private_segment_fixed_size 0
		.amdhsa_kernarg_size 88
		.amdhsa_user_sgpr_count 2
		.amdhsa_user_sgpr_dispatch_ptr 0
		.amdhsa_user_sgpr_queue_ptr 0
		.amdhsa_user_sgpr_kernarg_segment_ptr 1
		.amdhsa_user_sgpr_dispatch_id 0
		.amdhsa_user_sgpr_kernarg_preload_length 0
		.amdhsa_user_sgpr_kernarg_preload_offset 0
		.amdhsa_user_sgpr_private_segment_size 0
		.amdhsa_wavefront_size32 1
		.amdhsa_uses_dynamic_stack 0
		.amdhsa_enable_private_segment 0
		.amdhsa_system_sgpr_workgroup_id_x 1
		.amdhsa_system_sgpr_workgroup_id_y 0
		.amdhsa_system_sgpr_workgroup_id_z 0
		.amdhsa_system_sgpr_workgroup_info 0
		.amdhsa_system_vgpr_workitem_id 0
		.amdhsa_next_free_vgpr 1
		.amdhsa_next_free_sgpr 1
		.amdhsa_named_barrier_count 0
		.amdhsa_reserve_vcc 0
		.amdhsa_float_round_mode_32 0
		.amdhsa_float_round_mode_16_64 0
		.amdhsa_float_denorm_mode_32 3
		.amdhsa_float_denorm_mode_16_64 3
		.amdhsa_fp16_overflow 0
		.amdhsa_memory_ordered 1
		.amdhsa_forward_progress 1
		.amdhsa_inst_pref_size 0
		.amdhsa_round_robin_scheduling 0
		.amdhsa_exception_fp_ieee_invalid_op 0
		.amdhsa_exception_fp_denorm_src 0
		.amdhsa_exception_fp_ieee_div_zero 0
		.amdhsa_exception_fp_ieee_overflow 0
		.amdhsa_exception_fp_ieee_underflow 0
		.amdhsa_exception_fp_ieee_inexact 0
		.amdhsa_exception_int_div_zero 0
	.end_amdhsa_kernel
	.section	.text._ZN7rocprim17ROCPRIM_400000_NS6detail17trampoline_kernelINS0_14default_configENS1_36segmented_radix_sort_config_selectorIdlEEZNS1_25segmented_radix_sort_implIS3_Lb1EPKdPdPKlPlN2at6native12_GLOBAL__N_18offset_tEEE10hipError_tPvRmT1_PNSt15iterator_traitsISK_E10value_typeET2_T3_PNSL_ISQ_E10value_typeET4_jRbjT5_SW_jjP12ihipStream_tbEUlT_E0_NS1_11comp_targetILNS1_3genE10ELNS1_11target_archE1201ELNS1_3gpuE5ELNS1_3repE0EEENS1_60segmented_radix_sort_warp_sort_medium_config_static_selectorELNS0_4arch9wavefront6targetE0EEEvSK_,"axG",@progbits,_ZN7rocprim17ROCPRIM_400000_NS6detail17trampoline_kernelINS0_14default_configENS1_36segmented_radix_sort_config_selectorIdlEEZNS1_25segmented_radix_sort_implIS3_Lb1EPKdPdPKlPlN2at6native12_GLOBAL__N_18offset_tEEE10hipError_tPvRmT1_PNSt15iterator_traitsISK_E10value_typeET2_T3_PNSL_ISQ_E10value_typeET4_jRbjT5_SW_jjP12ihipStream_tbEUlT_E0_NS1_11comp_targetILNS1_3genE10ELNS1_11target_archE1201ELNS1_3gpuE5ELNS1_3repE0EEENS1_60segmented_radix_sort_warp_sort_medium_config_static_selectorELNS0_4arch9wavefront6targetE0EEEvSK_,comdat
.Lfunc_end1128:
	.size	_ZN7rocprim17ROCPRIM_400000_NS6detail17trampoline_kernelINS0_14default_configENS1_36segmented_radix_sort_config_selectorIdlEEZNS1_25segmented_radix_sort_implIS3_Lb1EPKdPdPKlPlN2at6native12_GLOBAL__N_18offset_tEEE10hipError_tPvRmT1_PNSt15iterator_traitsISK_E10value_typeET2_T3_PNSL_ISQ_E10value_typeET4_jRbjT5_SW_jjP12ihipStream_tbEUlT_E0_NS1_11comp_targetILNS1_3genE10ELNS1_11target_archE1201ELNS1_3gpuE5ELNS1_3repE0EEENS1_60segmented_radix_sort_warp_sort_medium_config_static_selectorELNS0_4arch9wavefront6targetE0EEEvSK_, .Lfunc_end1128-_ZN7rocprim17ROCPRIM_400000_NS6detail17trampoline_kernelINS0_14default_configENS1_36segmented_radix_sort_config_selectorIdlEEZNS1_25segmented_radix_sort_implIS3_Lb1EPKdPdPKlPlN2at6native12_GLOBAL__N_18offset_tEEE10hipError_tPvRmT1_PNSt15iterator_traitsISK_E10value_typeET2_T3_PNSL_ISQ_E10value_typeET4_jRbjT5_SW_jjP12ihipStream_tbEUlT_E0_NS1_11comp_targetILNS1_3genE10ELNS1_11target_archE1201ELNS1_3gpuE5ELNS1_3repE0EEENS1_60segmented_radix_sort_warp_sort_medium_config_static_selectorELNS0_4arch9wavefront6targetE0EEEvSK_
                                        ; -- End function
	.set _ZN7rocprim17ROCPRIM_400000_NS6detail17trampoline_kernelINS0_14default_configENS1_36segmented_radix_sort_config_selectorIdlEEZNS1_25segmented_radix_sort_implIS3_Lb1EPKdPdPKlPlN2at6native12_GLOBAL__N_18offset_tEEE10hipError_tPvRmT1_PNSt15iterator_traitsISK_E10value_typeET2_T3_PNSL_ISQ_E10value_typeET4_jRbjT5_SW_jjP12ihipStream_tbEUlT_E0_NS1_11comp_targetILNS1_3genE10ELNS1_11target_archE1201ELNS1_3gpuE5ELNS1_3repE0EEENS1_60segmented_radix_sort_warp_sort_medium_config_static_selectorELNS0_4arch9wavefront6targetE0EEEvSK_.num_vgpr, 0
	.set _ZN7rocprim17ROCPRIM_400000_NS6detail17trampoline_kernelINS0_14default_configENS1_36segmented_radix_sort_config_selectorIdlEEZNS1_25segmented_radix_sort_implIS3_Lb1EPKdPdPKlPlN2at6native12_GLOBAL__N_18offset_tEEE10hipError_tPvRmT1_PNSt15iterator_traitsISK_E10value_typeET2_T3_PNSL_ISQ_E10value_typeET4_jRbjT5_SW_jjP12ihipStream_tbEUlT_E0_NS1_11comp_targetILNS1_3genE10ELNS1_11target_archE1201ELNS1_3gpuE5ELNS1_3repE0EEENS1_60segmented_radix_sort_warp_sort_medium_config_static_selectorELNS0_4arch9wavefront6targetE0EEEvSK_.num_agpr, 0
	.set _ZN7rocprim17ROCPRIM_400000_NS6detail17trampoline_kernelINS0_14default_configENS1_36segmented_radix_sort_config_selectorIdlEEZNS1_25segmented_radix_sort_implIS3_Lb1EPKdPdPKlPlN2at6native12_GLOBAL__N_18offset_tEEE10hipError_tPvRmT1_PNSt15iterator_traitsISK_E10value_typeET2_T3_PNSL_ISQ_E10value_typeET4_jRbjT5_SW_jjP12ihipStream_tbEUlT_E0_NS1_11comp_targetILNS1_3genE10ELNS1_11target_archE1201ELNS1_3gpuE5ELNS1_3repE0EEENS1_60segmented_radix_sort_warp_sort_medium_config_static_selectorELNS0_4arch9wavefront6targetE0EEEvSK_.numbered_sgpr, 0
	.set _ZN7rocprim17ROCPRIM_400000_NS6detail17trampoline_kernelINS0_14default_configENS1_36segmented_radix_sort_config_selectorIdlEEZNS1_25segmented_radix_sort_implIS3_Lb1EPKdPdPKlPlN2at6native12_GLOBAL__N_18offset_tEEE10hipError_tPvRmT1_PNSt15iterator_traitsISK_E10value_typeET2_T3_PNSL_ISQ_E10value_typeET4_jRbjT5_SW_jjP12ihipStream_tbEUlT_E0_NS1_11comp_targetILNS1_3genE10ELNS1_11target_archE1201ELNS1_3gpuE5ELNS1_3repE0EEENS1_60segmented_radix_sort_warp_sort_medium_config_static_selectorELNS0_4arch9wavefront6targetE0EEEvSK_.num_named_barrier, 0
	.set _ZN7rocprim17ROCPRIM_400000_NS6detail17trampoline_kernelINS0_14default_configENS1_36segmented_radix_sort_config_selectorIdlEEZNS1_25segmented_radix_sort_implIS3_Lb1EPKdPdPKlPlN2at6native12_GLOBAL__N_18offset_tEEE10hipError_tPvRmT1_PNSt15iterator_traitsISK_E10value_typeET2_T3_PNSL_ISQ_E10value_typeET4_jRbjT5_SW_jjP12ihipStream_tbEUlT_E0_NS1_11comp_targetILNS1_3genE10ELNS1_11target_archE1201ELNS1_3gpuE5ELNS1_3repE0EEENS1_60segmented_radix_sort_warp_sort_medium_config_static_selectorELNS0_4arch9wavefront6targetE0EEEvSK_.private_seg_size, 0
	.set _ZN7rocprim17ROCPRIM_400000_NS6detail17trampoline_kernelINS0_14default_configENS1_36segmented_radix_sort_config_selectorIdlEEZNS1_25segmented_radix_sort_implIS3_Lb1EPKdPdPKlPlN2at6native12_GLOBAL__N_18offset_tEEE10hipError_tPvRmT1_PNSt15iterator_traitsISK_E10value_typeET2_T3_PNSL_ISQ_E10value_typeET4_jRbjT5_SW_jjP12ihipStream_tbEUlT_E0_NS1_11comp_targetILNS1_3genE10ELNS1_11target_archE1201ELNS1_3gpuE5ELNS1_3repE0EEENS1_60segmented_radix_sort_warp_sort_medium_config_static_selectorELNS0_4arch9wavefront6targetE0EEEvSK_.uses_vcc, 0
	.set _ZN7rocprim17ROCPRIM_400000_NS6detail17trampoline_kernelINS0_14default_configENS1_36segmented_radix_sort_config_selectorIdlEEZNS1_25segmented_radix_sort_implIS3_Lb1EPKdPdPKlPlN2at6native12_GLOBAL__N_18offset_tEEE10hipError_tPvRmT1_PNSt15iterator_traitsISK_E10value_typeET2_T3_PNSL_ISQ_E10value_typeET4_jRbjT5_SW_jjP12ihipStream_tbEUlT_E0_NS1_11comp_targetILNS1_3genE10ELNS1_11target_archE1201ELNS1_3gpuE5ELNS1_3repE0EEENS1_60segmented_radix_sort_warp_sort_medium_config_static_selectorELNS0_4arch9wavefront6targetE0EEEvSK_.uses_flat_scratch, 0
	.set _ZN7rocprim17ROCPRIM_400000_NS6detail17trampoline_kernelINS0_14default_configENS1_36segmented_radix_sort_config_selectorIdlEEZNS1_25segmented_radix_sort_implIS3_Lb1EPKdPdPKlPlN2at6native12_GLOBAL__N_18offset_tEEE10hipError_tPvRmT1_PNSt15iterator_traitsISK_E10value_typeET2_T3_PNSL_ISQ_E10value_typeET4_jRbjT5_SW_jjP12ihipStream_tbEUlT_E0_NS1_11comp_targetILNS1_3genE10ELNS1_11target_archE1201ELNS1_3gpuE5ELNS1_3repE0EEENS1_60segmented_radix_sort_warp_sort_medium_config_static_selectorELNS0_4arch9wavefront6targetE0EEEvSK_.has_dyn_sized_stack, 0
	.set _ZN7rocprim17ROCPRIM_400000_NS6detail17trampoline_kernelINS0_14default_configENS1_36segmented_radix_sort_config_selectorIdlEEZNS1_25segmented_radix_sort_implIS3_Lb1EPKdPdPKlPlN2at6native12_GLOBAL__N_18offset_tEEE10hipError_tPvRmT1_PNSt15iterator_traitsISK_E10value_typeET2_T3_PNSL_ISQ_E10value_typeET4_jRbjT5_SW_jjP12ihipStream_tbEUlT_E0_NS1_11comp_targetILNS1_3genE10ELNS1_11target_archE1201ELNS1_3gpuE5ELNS1_3repE0EEENS1_60segmented_radix_sort_warp_sort_medium_config_static_selectorELNS0_4arch9wavefront6targetE0EEEvSK_.has_recursion, 0
	.set _ZN7rocprim17ROCPRIM_400000_NS6detail17trampoline_kernelINS0_14default_configENS1_36segmented_radix_sort_config_selectorIdlEEZNS1_25segmented_radix_sort_implIS3_Lb1EPKdPdPKlPlN2at6native12_GLOBAL__N_18offset_tEEE10hipError_tPvRmT1_PNSt15iterator_traitsISK_E10value_typeET2_T3_PNSL_ISQ_E10value_typeET4_jRbjT5_SW_jjP12ihipStream_tbEUlT_E0_NS1_11comp_targetILNS1_3genE10ELNS1_11target_archE1201ELNS1_3gpuE5ELNS1_3repE0EEENS1_60segmented_radix_sort_warp_sort_medium_config_static_selectorELNS0_4arch9wavefront6targetE0EEEvSK_.has_indirect_call, 0
	.section	.AMDGPU.csdata,"",@progbits
; Kernel info:
; codeLenInByte = 0
; TotalNumSgprs: 0
; NumVgprs: 0
; ScratchSize: 0
; MemoryBound: 0
; FloatMode: 240
; IeeeMode: 1
; LDSByteSize: 0 bytes/workgroup (compile time only)
; SGPRBlocks: 0
; VGPRBlocks: 0
; NumSGPRsForWavesPerEU: 1
; NumVGPRsForWavesPerEU: 1
; NamedBarCnt: 0
; Occupancy: 16
; WaveLimiterHint : 0
; COMPUTE_PGM_RSRC2:SCRATCH_EN: 0
; COMPUTE_PGM_RSRC2:USER_SGPR: 2
; COMPUTE_PGM_RSRC2:TRAP_HANDLER: 0
; COMPUTE_PGM_RSRC2:TGID_X_EN: 1
; COMPUTE_PGM_RSRC2:TGID_Y_EN: 0
; COMPUTE_PGM_RSRC2:TGID_Z_EN: 0
; COMPUTE_PGM_RSRC2:TIDIG_COMP_CNT: 0
	.section	.text._ZN7rocprim17ROCPRIM_400000_NS6detail17trampoline_kernelINS0_14default_configENS1_36segmented_radix_sort_config_selectorIdlEEZNS1_25segmented_radix_sort_implIS3_Lb1EPKdPdPKlPlN2at6native12_GLOBAL__N_18offset_tEEE10hipError_tPvRmT1_PNSt15iterator_traitsISK_E10value_typeET2_T3_PNSL_ISQ_E10value_typeET4_jRbjT5_SW_jjP12ihipStream_tbEUlT_E0_NS1_11comp_targetILNS1_3genE10ELNS1_11target_archE1200ELNS1_3gpuE4ELNS1_3repE0EEENS1_60segmented_radix_sort_warp_sort_medium_config_static_selectorELNS0_4arch9wavefront6targetE0EEEvSK_,"axG",@progbits,_ZN7rocprim17ROCPRIM_400000_NS6detail17trampoline_kernelINS0_14default_configENS1_36segmented_radix_sort_config_selectorIdlEEZNS1_25segmented_radix_sort_implIS3_Lb1EPKdPdPKlPlN2at6native12_GLOBAL__N_18offset_tEEE10hipError_tPvRmT1_PNSt15iterator_traitsISK_E10value_typeET2_T3_PNSL_ISQ_E10value_typeET4_jRbjT5_SW_jjP12ihipStream_tbEUlT_E0_NS1_11comp_targetILNS1_3genE10ELNS1_11target_archE1200ELNS1_3gpuE4ELNS1_3repE0EEENS1_60segmented_radix_sort_warp_sort_medium_config_static_selectorELNS0_4arch9wavefront6targetE0EEEvSK_,comdat
	.globl	_ZN7rocprim17ROCPRIM_400000_NS6detail17trampoline_kernelINS0_14default_configENS1_36segmented_radix_sort_config_selectorIdlEEZNS1_25segmented_radix_sort_implIS3_Lb1EPKdPdPKlPlN2at6native12_GLOBAL__N_18offset_tEEE10hipError_tPvRmT1_PNSt15iterator_traitsISK_E10value_typeET2_T3_PNSL_ISQ_E10value_typeET4_jRbjT5_SW_jjP12ihipStream_tbEUlT_E0_NS1_11comp_targetILNS1_3genE10ELNS1_11target_archE1200ELNS1_3gpuE4ELNS1_3repE0EEENS1_60segmented_radix_sort_warp_sort_medium_config_static_selectorELNS0_4arch9wavefront6targetE0EEEvSK_ ; -- Begin function _ZN7rocprim17ROCPRIM_400000_NS6detail17trampoline_kernelINS0_14default_configENS1_36segmented_radix_sort_config_selectorIdlEEZNS1_25segmented_radix_sort_implIS3_Lb1EPKdPdPKlPlN2at6native12_GLOBAL__N_18offset_tEEE10hipError_tPvRmT1_PNSt15iterator_traitsISK_E10value_typeET2_T3_PNSL_ISQ_E10value_typeET4_jRbjT5_SW_jjP12ihipStream_tbEUlT_E0_NS1_11comp_targetILNS1_3genE10ELNS1_11target_archE1200ELNS1_3gpuE4ELNS1_3repE0EEENS1_60segmented_radix_sort_warp_sort_medium_config_static_selectorELNS0_4arch9wavefront6targetE0EEEvSK_
	.p2align	8
	.type	_ZN7rocprim17ROCPRIM_400000_NS6detail17trampoline_kernelINS0_14default_configENS1_36segmented_radix_sort_config_selectorIdlEEZNS1_25segmented_radix_sort_implIS3_Lb1EPKdPdPKlPlN2at6native12_GLOBAL__N_18offset_tEEE10hipError_tPvRmT1_PNSt15iterator_traitsISK_E10value_typeET2_T3_PNSL_ISQ_E10value_typeET4_jRbjT5_SW_jjP12ihipStream_tbEUlT_E0_NS1_11comp_targetILNS1_3genE10ELNS1_11target_archE1200ELNS1_3gpuE4ELNS1_3repE0EEENS1_60segmented_radix_sort_warp_sort_medium_config_static_selectorELNS0_4arch9wavefront6targetE0EEEvSK_,@function
_ZN7rocprim17ROCPRIM_400000_NS6detail17trampoline_kernelINS0_14default_configENS1_36segmented_radix_sort_config_selectorIdlEEZNS1_25segmented_radix_sort_implIS3_Lb1EPKdPdPKlPlN2at6native12_GLOBAL__N_18offset_tEEE10hipError_tPvRmT1_PNSt15iterator_traitsISK_E10value_typeET2_T3_PNSL_ISQ_E10value_typeET4_jRbjT5_SW_jjP12ihipStream_tbEUlT_E0_NS1_11comp_targetILNS1_3genE10ELNS1_11target_archE1200ELNS1_3gpuE4ELNS1_3repE0EEENS1_60segmented_radix_sort_warp_sort_medium_config_static_selectorELNS0_4arch9wavefront6targetE0EEEvSK_: ; @_ZN7rocprim17ROCPRIM_400000_NS6detail17trampoline_kernelINS0_14default_configENS1_36segmented_radix_sort_config_selectorIdlEEZNS1_25segmented_radix_sort_implIS3_Lb1EPKdPdPKlPlN2at6native12_GLOBAL__N_18offset_tEEE10hipError_tPvRmT1_PNSt15iterator_traitsISK_E10value_typeET2_T3_PNSL_ISQ_E10value_typeET4_jRbjT5_SW_jjP12ihipStream_tbEUlT_E0_NS1_11comp_targetILNS1_3genE10ELNS1_11target_archE1200ELNS1_3gpuE4ELNS1_3repE0EEENS1_60segmented_radix_sort_warp_sort_medium_config_static_selectorELNS0_4arch9wavefront6targetE0EEEvSK_
; %bb.0:
	.section	.rodata,"a",@progbits
	.p2align	6, 0x0
	.amdhsa_kernel _ZN7rocprim17ROCPRIM_400000_NS6detail17trampoline_kernelINS0_14default_configENS1_36segmented_radix_sort_config_selectorIdlEEZNS1_25segmented_radix_sort_implIS3_Lb1EPKdPdPKlPlN2at6native12_GLOBAL__N_18offset_tEEE10hipError_tPvRmT1_PNSt15iterator_traitsISK_E10value_typeET2_T3_PNSL_ISQ_E10value_typeET4_jRbjT5_SW_jjP12ihipStream_tbEUlT_E0_NS1_11comp_targetILNS1_3genE10ELNS1_11target_archE1200ELNS1_3gpuE4ELNS1_3repE0EEENS1_60segmented_radix_sort_warp_sort_medium_config_static_selectorELNS0_4arch9wavefront6targetE0EEEvSK_
		.amdhsa_group_segment_fixed_size 0
		.amdhsa_private_segment_fixed_size 0
		.amdhsa_kernarg_size 88
		.amdhsa_user_sgpr_count 2
		.amdhsa_user_sgpr_dispatch_ptr 0
		.amdhsa_user_sgpr_queue_ptr 0
		.amdhsa_user_sgpr_kernarg_segment_ptr 1
		.amdhsa_user_sgpr_dispatch_id 0
		.amdhsa_user_sgpr_kernarg_preload_length 0
		.amdhsa_user_sgpr_kernarg_preload_offset 0
		.amdhsa_user_sgpr_private_segment_size 0
		.amdhsa_wavefront_size32 1
		.amdhsa_uses_dynamic_stack 0
		.amdhsa_enable_private_segment 0
		.amdhsa_system_sgpr_workgroup_id_x 1
		.amdhsa_system_sgpr_workgroup_id_y 0
		.amdhsa_system_sgpr_workgroup_id_z 0
		.amdhsa_system_sgpr_workgroup_info 0
		.amdhsa_system_vgpr_workitem_id 0
		.amdhsa_next_free_vgpr 1
		.amdhsa_next_free_sgpr 1
		.amdhsa_named_barrier_count 0
		.amdhsa_reserve_vcc 0
		.amdhsa_float_round_mode_32 0
		.amdhsa_float_round_mode_16_64 0
		.amdhsa_float_denorm_mode_32 3
		.amdhsa_float_denorm_mode_16_64 3
		.amdhsa_fp16_overflow 0
		.amdhsa_memory_ordered 1
		.amdhsa_forward_progress 1
		.amdhsa_inst_pref_size 0
		.amdhsa_round_robin_scheduling 0
		.amdhsa_exception_fp_ieee_invalid_op 0
		.amdhsa_exception_fp_denorm_src 0
		.amdhsa_exception_fp_ieee_div_zero 0
		.amdhsa_exception_fp_ieee_overflow 0
		.amdhsa_exception_fp_ieee_underflow 0
		.amdhsa_exception_fp_ieee_inexact 0
		.amdhsa_exception_int_div_zero 0
	.end_amdhsa_kernel
	.section	.text._ZN7rocprim17ROCPRIM_400000_NS6detail17trampoline_kernelINS0_14default_configENS1_36segmented_radix_sort_config_selectorIdlEEZNS1_25segmented_radix_sort_implIS3_Lb1EPKdPdPKlPlN2at6native12_GLOBAL__N_18offset_tEEE10hipError_tPvRmT1_PNSt15iterator_traitsISK_E10value_typeET2_T3_PNSL_ISQ_E10value_typeET4_jRbjT5_SW_jjP12ihipStream_tbEUlT_E0_NS1_11comp_targetILNS1_3genE10ELNS1_11target_archE1200ELNS1_3gpuE4ELNS1_3repE0EEENS1_60segmented_radix_sort_warp_sort_medium_config_static_selectorELNS0_4arch9wavefront6targetE0EEEvSK_,"axG",@progbits,_ZN7rocprim17ROCPRIM_400000_NS6detail17trampoline_kernelINS0_14default_configENS1_36segmented_radix_sort_config_selectorIdlEEZNS1_25segmented_radix_sort_implIS3_Lb1EPKdPdPKlPlN2at6native12_GLOBAL__N_18offset_tEEE10hipError_tPvRmT1_PNSt15iterator_traitsISK_E10value_typeET2_T3_PNSL_ISQ_E10value_typeET4_jRbjT5_SW_jjP12ihipStream_tbEUlT_E0_NS1_11comp_targetILNS1_3genE10ELNS1_11target_archE1200ELNS1_3gpuE4ELNS1_3repE0EEENS1_60segmented_radix_sort_warp_sort_medium_config_static_selectorELNS0_4arch9wavefront6targetE0EEEvSK_,comdat
.Lfunc_end1129:
	.size	_ZN7rocprim17ROCPRIM_400000_NS6detail17trampoline_kernelINS0_14default_configENS1_36segmented_radix_sort_config_selectorIdlEEZNS1_25segmented_radix_sort_implIS3_Lb1EPKdPdPKlPlN2at6native12_GLOBAL__N_18offset_tEEE10hipError_tPvRmT1_PNSt15iterator_traitsISK_E10value_typeET2_T3_PNSL_ISQ_E10value_typeET4_jRbjT5_SW_jjP12ihipStream_tbEUlT_E0_NS1_11comp_targetILNS1_3genE10ELNS1_11target_archE1200ELNS1_3gpuE4ELNS1_3repE0EEENS1_60segmented_radix_sort_warp_sort_medium_config_static_selectorELNS0_4arch9wavefront6targetE0EEEvSK_, .Lfunc_end1129-_ZN7rocprim17ROCPRIM_400000_NS6detail17trampoline_kernelINS0_14default_configENS1_36segmented_radix_sort_config_selectorIdlEEZNS1_25segmented_radix_sort_implIS3_Lb1EPKdPdPKlPlN2at6native12_GLOBAL__N_18offset_tEEE10hipError_tPvRmT1_PNSt15iterator_traitsISK_E10value_typeET2_T3_PNSL_ISQ_E10value_typeET4_jRbjT5_SW_jjP12ihipStream_tbEUlT_E0_NS1_11comp_targetILNS1_3genE10ELNS1_11target_archE1200ELNS1_3gpuE4ELNS1_3repE0EEENS1_60segmented_radix_sort_warp_sort_medium_config_static_selectorELNS0_4arch9wavefront6targetE0EEEvSK_
                                        ; -- End function
	.set _ZN7rocprim17ROCPRIM_400000_NS6detail17trampoline_kernelINS0_14default_configENS1_36segmented_radix_sort_config_selectorIdlEEZNS1_25segmented_radix_sort_implIS3_Lb1EPKdPdPKlPlN2at6native12_GLOBAL__N_18offset_tEEE10hipError_tPvRmT1_PNSt15iterator_traitsISK_E10value_typeET2_T3_PNSL_ISQ_E10value_typeET4_jRbjT5_SW_jjP12ihipStream_tbEUlT_E0_NS1_11comp_targetILNS1_3genE10ELNS1_11target_archE1200ELNS1_3gpuE4ELNS1_3repE0EEENS1_60segmented_radix_sort_warp_sort_medium_config_static_selectorELNS0_4arch9wavefront6targetE0EEEvSK_.num_vgpr, 0
	.set _ZN7rocprim17ROCPRIM_400000_NS6detail17trampoline_kernelINS0_14default_configENS1_36segmented_radix_sort_config_selectorIdlEEZNS1_25segmented_radix_sort_implIS3_Lb1EPKdPdPKlPlN2at6native12_GLOBAL__N_18offset_tEEE10hipError_tPvRmT1_PNSt15iterator_traitsISK_E10value_typeET2_T3_PNSL_ISQ_E10value_typeET4_jRbjT5_SW_jjP12ihipStream_tbEUlT_E0_NS1_11comp_targetILNS1_3genE10ELNS1_11target_archE1200ELNS1_3gpuE4ELNS1_3repE0EEENS1_60segmented_radix_sort_warp_sort_medium_config_static_selectorELNS0_4arch9wavefront6targetE0EEEvSK_.num_agpr, 0
	.set _ZN7rocprim17ROCPRIM_400000_NS6detail17trampoline_kernelINS0_14default_configENS1_36segmented_radix_sort_config_selectorIdlEEZNS1_25segmented_radix_sort_implIS3_Lb1EPKdPdPKlPlN2at6native12_GLOBAL__N_18offset_tEEE10hipError_tPvRmT1_PNSt15iterator_traitsISK_E10value_typeET2_T3_PNSL_ISQ_E10value_typeET4_jRbjT5_SW_jjP12ihipStream_tbEUlT_E0_NS1_11comp_targetILNS1_3genE10ELNS1_11target_archE1200ELNS1_3gpuE4ELNS1_3repE0EEENS1_60segmented_radix_sort_warp_sort_medium_config_static_selectorELNS0_4arch9wavefront6targetE0EEEvSK_.numbered_sgpr, 0
	.set _ZN7rocprim17ROCPRIM_400000_NS6detail17trampoline_kernelINS0_14default_configENS1_36segmented_radix_sort_config_selectorIdlEEZNS1_25segmented_radix_sort_implIS3_Lb1EPKdPdPKlPlN2at6native12_GLOBAL__N_18offset_tEEE10hipError_tPvRmT1_PNSt15iterator_traitsISK_E10value_typeET2_T3_PNSL_ISQ_E10value_typeET4_jRbjT5_SW_jjP12ihipStream_tbEUlT_E0_NS1_11comp_targetILNS1_3genE10ELNS1_11target_archE1200ELNS1_3gpuE4ELNS1_3repE0EEENS1_60segmented_radix_sort_warp_sort_medium_config_static_selectorELNS0_4arch9wavefront6targetE0EEEvSK_.num_named_barrier, 0
	.set _ZN7rocprim17ROCPRIM_400000_NS6detail17trampoline_kernelINS0_14default_configENS1_36segmented_radix_sort_config_selectorIdlEEZNS1_25segmented_radix_sort_implIS3_Lb1EPKdPdPKlPlN2at6native12_GLOBAL__N_18offset_tEEE10hipError_tPvRmT1_PNSt15iterator_traitsISK_E10value_typeET2_T3_PNSL_ISQ_E10value_typeET4_jRbjT5_SW_jjP12ihipStream_tbEUlT_E0_NS1_11comp_targetILNS1_3genE10ELNS1_11target_archE1200ELNS1_3gpuE4ELNS1_3repE0EEENS1_60segmented_radix_sort_warp_sort_medium_config_static_selectorELNS0_4arch9wavefront6targetE0EEEvSK_.private_seg_size, 0
	.set _ZN7rocprim17ROCPRIM_400000_NS6detail17trampoline_kernelINS0_14default_configENS1_36segmented_radix_sort_config_selectorIdlEEZNS1_25segmented_radix_sort_implIS3_Lb1EPKdPdPKlPlN2at6native12_GLOBAL__N_18offset_tEEE10hipError_tPvRmT1_PNSt15iterator_traitsISK_E10value_typeET2_T3_PNSL_ISQ_E10value_typeET4_jRbjT5_SW_jjP12ihipStream_tbEUlT_E0_NS1_11comp_targetILNS1_3genE10ELNS1_11target_archE1200ELNS1_3gpuE4ELNS1_3repE0EEENS1_60segmented_radix_sort_warp_sort_medium_config_static_selectorELNS0_4arch9wavefront6targetE0EEEvSK_.uses_vcc, 0
	.set _ZN7rocprim17ROCPRIM_400000_NS6detail17trampoline_kernelINS0_14default_configENS1_36segmented_radix_sort_config_selectorIdlEEZNS1_25segmented_radix_sort_implIS3_Lb1EPKdPdPKlPlN2at6native12_GLOBAL__N_18offset_tEEE10hipError_tPvRmT1_PNSt15iterator_traitsISK_E10value_typeET2_T3_PNSL_ISQ_E10value_typeET4_jRbjT5_SW_jjP12ihipStream_tbEUlT_E0_NS1_11comp_targetILNS1_3genE10ELNS1_11target_archE1200ELNS1_3gpuE4ELNS1_3repE0EEENS1_60segmented_radix_sort_warp_sort_medium_config_static_selectorELNS0_4arch9wavefront6targetE0EEEvSK_.uses_flat_scratch, 0
	.set _ZN7rocprim17ROCPRIM_400000_NS6detail17trampoline_kernelINS0_14default_configENS1_36segmented_radix_sort_config_selectorIdlEEZNS1_25segmented_radix_sort_implIS3_Lb1EPKdPdPKlPlN2at6native12_GLOBAL__N_18offset_tEEE10hipError_tPvRmT1_PNSt15iterator_traitsISK_E10value_typeET2_T3_PNSL_ISQ_E10value_typeET4_jRbjT5_SW_jjP12ihipStream_tbEUlT_E0_NS1_11comp_targetILNS1_3genE10ELNS1_11target_archE1200ELNS1_3gpuE4ELNS1_3repE0EEENS1_60segmented_radix_sort_warp_sort_medium_config_static_selectorELNS0_4arch9wavefront6targetE0EEEvSK_.has_dyn_sized_stack, 0
	.set _ZN7rocprim17ROCPRIM_400000_NS6detail17trampoline_kernelINS0_14default_configENS1_36segmented_radix_sort_config_selectorIdlEEZNS1_25segmented_radix_sort_implIS3_Lb1EPKdPdPKlPlN2at6native12_GLOBAL__N_18offset_tEEE10hipError_tPvRmT1_PNSt15iterator_traitsISK_E10value_typeET2_T3_PNSL_ISQ_E10value_typeET4_jRbjT5_SW_jjP12ihipStream_tbEUlT_E0_NS1_11comp_targetILNS1_3genE10ELNS1_11target_archE1200ELNS1_3gpuE4ELNS1_3repE0EEENS1_60segmented_radix_sort_warp_sort_medium_config_static_selectorELNS0_4arch9wavefront6targetE0EEEvSK_.has_recursion, 0
	.set _ZN7rocprim17ROCPRIM_400000_NS6detail17trampoline_kernelINS0_14default_configENS1_36segmented_radix_sort_config_selectorIdlEEZNS1_25segmented_radix_sort_implIS3_Lb1EPKdPdPKlPlN2at6native12_GLOBAL__N_18offset_tEEE10hipError_tPvRmT1_PNSt15iterator_traitsISK_E10value_typeET2_T3_PNSL_ISQ_E10value_typeET4_jRbjT5_SW_jjP12ihipStream_tbEUlT_E0_NS1_11comp_targetILNS1_3genE10ELNS1_11target_archE1200ELNS1_3gpuE4ELNS1_3repE0EEENS1_60segmented_radix_sort_warp_sort_medium_config_static_selectorELNS0_4arch9wavefront6targetE0EEEvSK_.has_indirect_call, 0
	.section	.AMDGPU.csdata,"",@progbits
; Kernel info:
; codeLenInByte = 0
; TotalNumSgprs: 0
; NumVgprs: 0
; ScratchSize: 0
; MemoryBound: 0
; FloatMode: 240
; IeeeMode: 1
; LDSByteSize: 0 bytes/workgroup (compile time only)
; SGPRBlocks: 0
; VGPRBlocks: 0
; NumSGPRsForWavesPerEU: 1
; NumVGPRsForWavesPerEU: 1
; NamedBarCnt: 0
; Occupancy: 16
; WaveLimiterHint : 0
; COMPUTE_PGM_RSRC2:SCRATCH_EN: 0
; COMPUTE_PGM_RSRC2:USER_SGPR: 2
; COMPUTE_PGM_RSRC2:TRAP_HANDLER: 0
; COMPUTE_PGM_RSRC2:TGID_X_EN: 1
; COMPUTE_PGM_RSRC2:TGID_Y_EN: 0
; COMPUTE_PGM_RSRC2:TGID_Z_EN: 0
; COMPUTE_PGM_RSRC2:TIDIG_COMP_CNT: 0
	.section	.text._ZN7rocprim17ROCPRIM_400000_NS6detail17trampoline_kernelINS0_14default_configENS1_36segmented_radix_sort_config_selectorIdlEEZNS1_25segmented_radix_sort_implIS3_Lb1EPKdPdPKlPlN2at6native12_GLOBAL__N_18offset_tEEE10hipError_tPvRmT1_PNSt15iterator_traitsISK_E10value_typeET2_T3_PNSL_ISQ_E10value_typeET4_jRbjT5_SW_jjP12ihipStream_tbEUlT_E0_NS1_11comp_targetILNS1_3genE9ELNS1_11target_archE1100ELNS1_3gpuE3ELNS1_3repE0EEENS1_60segmented_radix_sort_warp_sort_medium_config_static_selectorELNS0_4arch9wavefront6targetE0EEEvSK_,"axG",@progbits,_ZN7rocprim17ROCPRIM_400000_NS6detail17trampoline_kernelINS0_14default_configENS1_36segmented_radix_sort_config_selectorIdlEEZNS1_25segmented_radix_sort_implIS3_Lb1EPKdPdPKlPlN2at6native12_GLOBAL__N_18offset_tEEE10hipError_tPvRmT1_PNSt15iterator_traitsISK_E10value_typeET2_T3_PNSL_ISQ_E10value_typeET4_jRbjT5_SW_jjP12ihipStream_tbEUlT_E0_NS1_11comp_targetILNS1_3genE9ELNS1_11target_archE1100ELNS1_3gpuE3ELNS1_3repE0EEENS1_60segmented_radix_sort_warp_sort_medium_config_static_selectorELNS0_4arch9wavefront6targetE0EEEvSK_,comdat
	.globl	_ZN7rocprim17ROCPRIM_400000_NS6detail17trampoline_kernelINS0_14default_configENS1_36segmented_radix_sort_config_selectorIdlEEZNS1_25segmented_radix_sort_implIS3_Lb1EPKdPdPKlPlN2at6native12_GLOBAL__N_18offset_tEEE10hipError_tPvRmT1_PNSt15iterator_traitsISK_E10value_typeET2_T3_PNSL_ISQ_E10value_typeET4_jRbjT5_SW_jjP12ihipStream_tbEUlT_E0_NS1_11comp_targetILNS1_3genE9ELNS1_11target_archE1100ELNS1_3gpuE3ELNS1_3repE0EEENS1_60segmented_radix_sort_warp_sort_medium_config_static_selectorELNS0_4arch9wavefront6targetE0EEEvSK_ ; -- Begin function _ZN7rocprim17ROCPRIM_400000_NS6detail17trampoline_kernelINS0_14default_configENS1_36segmented_radix_sort_config_selectorIdlEEZNS1_25segmented_radix_sort_implIS3_Lb1EPKdPdPKlPlN2at6native12_GLOBAL__N_18offset_tEEE10hipError_tPvRmT1_PNSt15iterator_traitsISK_E10value_typeET2_T3_PNSL_ISQ_E10value_typeET4_jRbjT5_SW_jjP12ihipStream_tbEUlT_E0_NS1_11comp_targetILNS1_3genE9ELNS1_11target_archE1100ELNS1_3gpuE3ELNS1_3repE0EEENS1_60segmented_radix_sort_warp_sort_medium_config_static_selectorELNS0_4arch9wavefront6targetE0EEEvSK_
	.p2align	8
	.type	_ZN7rocprim17ROCPRIM_400000_NS6detail17trampoline_kernelINS0_14default_configENS1_36segmented_radix_sort_config_selectorIdlEEZNS1_25segmented_radix_sort_implIS3_Lb1EPKdPdPKlPlN2at6native12_GLOBAL__N_18offset_tEEE10hipError_tPvRmT1_PNSt15iterator_traitsISK_E10value_typeET2_T3_PNSL_ISQ_E10value_typeET4_jRbjT5_SW_jjP12ihipStream_tbEUlT_E0_NS1_11comp_targetILNS1_3genE9ELNS1_11target_archE1100ELNS1_3gpuE3ELNS1_3repE0EEENS1_60segmented_radix_sort_warp_sort_medium_config_static_selectorELNS0_4arch9wavefront6targetE0EEEvSK_,@function
_ZN7rocprim17ROCPRIM_400000_NS6detail17trampoline_kernelINS0_14default_configENS1_36segmented_radix_sort_config_selectorIdlEEZNS1_25segmented_radix_sort_implIS3_Lb1EPKdPdPKlPlN2at6native12_GLOBAL__N_18offset_tEEE10hipError_tPvRmT1_PNSt15iterator_traitsISK_E10value_typeET2_T3_PNSL_ISQ_E10value_typeET4_jRbjT5_SW_jjP12ihipStream_tbEUlT_E0_NS1_11comp_targetILNS1_3genE9ELNS1_11target_archE1100ELNS1_3gpuE3ELNS1_3repE0EEENS1_60segmented_radix_sort_warp_sort_medium_config_static_selectorELNS0_4arch9wavefront6targetE0EEEvSK_: ; @_ZN7rocprim17ROCPRIM_400000_NS6detail17trampoline_kernelINS0_14default_configENS1_36segmented_radix_sort_config_selectorIdlEEZNS1_25segmented_radix_sort_implIS3_Lb1EPKdPdPKlPlN2at6native12_GLOBAL__N_18offset_tEEE10hipError_tPvRmT1_PNSt15iterator_traitsISK_E10value_typeET2_T3_PNSL_ISQ_E10value_typeET4_jRbjT5_SW_jjP12ihipStream_tbEUlT_E0_NS1_11comp_targetILNS1_3genE9ELNS1_11target_archE1100ELNS1_3gpuE3ELNS1_3repE0EEENS1_60segmented_radix_sort_warp_sort_medium_config_static_selectorELNS0_4arch9wavefront6targetE0EEEvSK_
; %bb.0:
	.section	.rodata,"a",@progbits
	.p2align	6, 0x0
	.amdhsa_kernel _ZN7rocprim17ROCPRIM_400000_NS6detail17trampoline_kernelINS0_14default_configENS1_36segmented_radix_sort_config_selectorIdlEEZNS1_25segmented_radix_sort_implIS3_Lb1EPKdPdPKlPlN2at6native12_GLOBAL__N_18offset_tEEE10hipError_tPvRmT1_PNSt15iterator_traitsISK_E10value_typeET2_T3_PNSL_ISQ_E10value_typeET4_jRbjT5_SW_jjP12ihipStream_tbEUlT_E0_NS1_11comp_targetILNS1_3genE9ELNS1_11target_archE1100ELNS1_3gpuE3ELNS1_3repE0EEENS1_60segmented_radix_sort_warp_sort_medium_config_static_selectorELNS0_4arch9wavefront6targetE0EEEvSK_
		.amdhsa_group_segment_fixed_size 0
		.amdhsa_private_segment_fixed_size 0
		.amdhsa_kernarg_size 88
		.amdhsa_user_sgpr_count 2
		.amdhsa_user_sgpr_dispatch_ptr 0
		.amdhsa_user_sgpr_queue_ptr 0
		.amdhsa_user_sgpr_kernarg_segment_ptr 1
		.amdhsa_user_sgpr_dispatch_id 0
		.amdhsa_user_sgpr_kernarg_preload_length 0
		.amdhsa_user_sgpr_kernarg_preload_offset 0
		.amdhsa_user_sgpr_private_segment_size 0
		.amdhsa_wavefront_size32 1
		.amdhsa_uses_dynamic_stack 0
		.amdhsa_enable_private_segment 0
		.amdhsa_system_sgpr_workgroup_id_x 1
		.amdhsa_system_sgpr_workgroup_id_y 0
		.amdhsa_system_sgpr_workgroup_id_z 0
		.amdhsa_system_sgpr_workgroup_info 0
		.amdhsa_system_vgpr_workitem_id 0
		.amdhsa_next_free_vgpr 1
		.amdhsa_next_free_sgpr 1
		.amdhsa_named_barrier_count 0
		.amdhsa_reserve_vcc 0
		.amdhsa_float_round_mode_32 0
		.amdhsa_float_round_mode_16_64 0
		.amdhsa_float_denorm_mode_32 3
		.amdhsa_float_denorm_mode_16_64 3
		.amdhsa_fp16_overflow 0
		.amdhsa_memory_ordered 1
		.amdhsa_forward_progress 1
		.amdhsa_inst_pref_size 0
		.amdhsa_round_robin_scheduling 0
		.amdhsa_exception_fp_ieee_invalid_op 0
		.amdhsa_exception_fp_denorm_src 0
		.amdhsa_exception_fp_ieee_div_zero 0
		.amdhsa_exception_fp_ieee_overflow 0
		.amdhsa_exception_fp_ieee_underflow 0
		.amdhsa_exception_fp_ieee_inexact 0
		.amdhsa_exception_int_div_zero 0
	.end_amdhsa_kernel
	.section	.text._ZN7rocprim17ROCPRIM_400000_NS6detail17trampoline_kernelINS0_14default_configENS1_36segmented_radix_sort_config_selectorIdlEEZNS1_25segmented_radix_sort_implIS3_Lb1EPKdPdPKlPlN2at6native12_GLOBAL__N_18offset_tEEE10hipError_tPvRmT1_PNSt15iterator_traitsISK_E10value_typeET2_T3_PNSL_ISQ_E10value_typeET4_jRbjT5_SW_jjP12ihipStream_tbEUlT_E0_NS1_11comp_targetILNS1_3genE9ELNS1_11target_archE1100ELNS1_3gpuE3ELNS1_3repE0EEENS1_60segmented_radix_sort_warp_sort_medium_config_static_selectorELNS0_4arch9wavefront6targetE0EEEvSK_,"axG",@progbits,_ZN7rocprim17ROCPRIM_400000_NS6detail17trampoline_kernelINS0_14default_configENS1_36segmented_radix_sort_config_selectorIdlEEZNS1_25segmented_radix_sort_implIS3_Lb1EPKdPdPKlPlN2at6native12_GLOBAL__N_18offset_tEEE10hipError_tPvRmT1_PNSt15iterator_traitsISK_E10value_typeET2_T3_PNSL_ISQ_E10value_typeET4_jRbjT5_SW_jjP12ihipStream_tbEUlT_E0_NS1_11comp_targetILNS1_3genE9ELNS1_11target_archE1100ELNS1_3gpuE3ELNS1_3repE0EEENS1_60segmented_radix_sort_warp_sort_medium_config_static_selectorELNS0_4arch9wavefront6targetE0EEEvSK_,comdat
.Lfunc_end1130:
	.size	_ZN7rocprim17ROCPRIM_400000_NS6detail17trampoline_kernelINS0_14default_configENS1_36segmented_radix_sort_config_selectorIdlEEZNS1_25segmented_radix_sort_implIS3_Lb1EPKdPdPKlPlN2at6native12_GLOBAL__N_18offset_tEEE10hipError_tPvRmT1_PNSt15iterator_traitsISK_E10value_typeET2_T3_PNSL_ISQ_E10value_typeET4_jRbjT5_SW_jjP12ihipStream_tbEUlT_E0_NS1_11comp_targetILNS1_3genE9ELNS1_11target_archE1100ELNS1_3gpuE3ELNS1_3repE0EEENS1_60segmented_radix_sort_warp_sort_medium_config_static_selectorELNS0_4arch9wavefront6targetE0EEEvSK_, .Lfunc_end1130-_ZN7rocprim17ROCPRIM_400000_NS6detail17trampoline_kernelINS0_14default_configENS1_36segmented_radix_sort_config_selectorIdlEEZNS1_25segmented_radix_sort_implIS3_Lb1EPKdPdPKlPlN2at6native12_GLOBAL__N_18offset_tEEE10hipError_tPvRmT1_PNSt15iterator_traitsISK_E10value_typeET2_T3_PNSL_ISQ_E10value_typeET4_jRbjT5_SW_jjP12ihipStream_tbEUlT_E0_NS1_11comp_targetILNS1_3genE9ELNS1_11target_archE1100ELNS1_3gpuE3ELNS1_3repE0EEENS1_60segmented_radix_sort_warp_sort_medium_config_static_selectorELNS0_4arch9wavefront6targetE0EEEvSK_
                                        ; -- End function
	.set _ZN7rocprim17ROCPRIM_400000_NS6detail17trampoline_kernelINS0_14default_configENS1_36segmented_radix_sort_config_selectorIdlEEZNS1_25segmented_radix_sort_implIS3_Lb1EPKdPdPKlPlN2at6native12_GLOBAL__N_18offset_tEEE10hipError_tPvRmT1_PNSt15iterator_traitsISK_E10value_typeET2_T3_PNSL_ISQ_E10value_typeET4_jRbjT5_SW_jjP12ihipStream_tbEUlT_E0_NS1_11comp_targetILNS1_3genE9ELNS1_11target_archE1100ELNS1_3gpuE3ELNS1_3repE0EEENS1_60segmented_radix_sort_warp_sort_medium_config_static_selectorELNS0_4arch9wavefront6targetE0EEEvSK_.num_vgpr, 0
	.set _ZN7rocprim17ROCPRIM_400000_NS6detail17trampoline_kernelINS0_14default_configENS1_36segmented_radix_sort_config_selectorIdlEEZNS1_25segmented_radix_sort_implIS3_Lb1EPKdPdPKlPlN2at6native12_GLOBAL__N_18offset_tEEE10hipError_tPvRmT1_PNSt15iterator_traitsISK_E10value_typeET2_T3_PNSL_ISQ_E10value_typeET4_jRbjT5_SW_jjP12ihipStream_tbEUlT_E0_NS1_11comp_targetILNS1_3genE9ELNS1_11target_archE1100ELNS1_3gpuE3ELNS1_3repE0EEENS1_60segmented_radix_sort_warp_sort_medium_config_static_selectorELNS0_4arch9wavefront6targetE0EEEvSK_.num_agpr, 0
	.set _ZN7rocprim17ROCPRIM_400000_NS6detail17trampoline_kernelINS0_14default_configENS1_36segmented_radix_sort_config_selectorIdlEEZNS1_25segmented_radix_sort_implIS3_Lb1EPKdPdPKlPlN2at6native12_GLOBAL__N_18offset_tEEE10hipError_tPvRmT1_PNSt15iterator_traitsISK_E10value_typeET2_T3_PNSL_ISQ_E10value_typeET4_jRbjT5_SW_jjP12ihipStream_tbEUlT_E0_NS1_11comp_targetILNS1_3genE9ELNS1_11target_archE1100ELNS1_3gpuE3ELNS1_3repE0EEENS1_60segmented_radix_sort_warp_sort_medium_config_static_selectorELNS0_4arch9wavefront6targetE0EEEvSK_.numbered_sgpr, 0
	.set _ZN7rocprim17ROCPRIM_400000_NS6detail17trampoline_kernelINS0_14default_configENS1_36segmented_radix_sort_config_selectorIdlEEZNS1_25segmented_radix_sort_implIS3_Lb1EPKdPdPKlPlN2at6native12_GLOBAL__N_18offset_tEEE10hipError_tPvRmT1_PNSt15iterator_traitsISK_E10value_typeET2_T3_PNSL_ISQ_E10value_typeET4_jRbjT5_SW_jjP12ihipStream_tbEUlT_E0_NS1_11comp_targetILNS1_3genE9ELNS1_11target_archE1100ELNS1_3gpuE3ELNS1_3repE0EEENS1_60segmented_radix_sort_warp_sort_medium_config_static_selectorELNS0_4arch9wavefront6targetE0EEEvSK_.num_named_barrier, 0
	.set _ZN7rocprim17ROCPRIM_400000_NS6detail17trampoline_kernelINS0_14default_configENS1_36segmented_radix_sort_config_selectorIdlEEZNS1_25segmented_radix_sort_implIS3_Lb1EPKdPdPKlPlN2at6native12_GLOBAL__N_18offset_tEEE10hipError_tPvRmT1_PNSt15iterator_traitsISK_E10value_typeET2_T3_PNSL_ISQ_E10value_typeET4_jRbjT5_SW_jjP12ihipStream_tbEUlT_E0_NS1_11comp_targetILNS1_3genE9ELNS1_11target_archE1100ELNS1_3gpuE3ELNS1_3repE0EEENS1_60segmented_radix_sort_warp_sort_medium_config_static_selectorELNS0_4arch9wavefront6targetE0EEEvSK_.private_seg_size, 0
	.set _ZN7rocprim17ROCPRIM_400000_NS6detail17trampoline_kernelINS0_14default_configENS1_36segmented_radix_sort_config_selectorIdlEEZNS1_25segmented_radix_sort_implIS3_Lb1EPKdPdPKlPlN2at6native12_GLOBAL__N_18offset_tEEE10hipError_tPvRmT1_PNSt15iterator_traitsISK_E10value_typeET2_T3_PNSL_ISQ_E10value_typeET4_jRbjT5_SW_jjP12ihipStream_tbEUlT_E0_NS1_11comp_targetILNS1_3genE9ELNS1_11target_archE1100ELNS1_3gpuE3ELNS1_3repE0EEENS1_60segmented_radix_sort_warp_sort_medium_config_static_selectorELNS0_4arch9wavefront6targetE0EEEvSK_.uses_vcc, 0
	.set _ZN7rocprim17ROCPRIM_400000_NS6detail17trampoline_kernelINS0_14default_configENS1_36segmented_radix_sort_config_selectorIdlEEZNS1_25segmented_radix_sort_implIS3_Lb1EPKdPdPKlPlN2at6native12_GLOBAL__N_18offset_tEEE10hipError_tPvRmT1_PNSt15iterator_traitsISK_E10value_typeET2_T3_PNSL_ISQ_E10value_typeET4_jRbjT5_SW_jjP12ihipStream_tbEUlT_E0_NS1_11comp_targetILNS1_3genE9ELNS1_11target_archE1100ELNS1_3gpuE3ELNS1_3repE0EEENS1_60segmented_radix_sort_warp_sort_medium_config_static_selectorELNS0_4arch9wavefront6targetE0EEEvSK_.uses_flat_scratch, 0
	.set _ZN7rocprim17ROCPRIM_400000_NS6detail17trampoline_kernelINS0_14default_configENS1_36segmented_radix_sort_config_selectorIdlEEZNS1_25segmented_radix_sort_implIS3_Lb1EPKdPdPKlPlN2at6native12_GLOBAL__N_18offset_tEEE10hipError_tPvRmT1_PNSt15iterator_traitsISK_E10value_typeET2_T3_PNSL_ISQ_E10value_typeET4_jRbjT5_SW_jjP12ihipStream_tbEUlT_E0_NS1_11comp_targetILNS1_3genE9ELNS1_11target_archE1100ELNS1_3gpuE3ELNS1_3repE0EEENS1_60segmented_radix_sort_warp_sort_medium_config_static_selectorELNS0_4arch9wavefront6targetE0EEEvSK_.has_dyn_sized_stack, 0
	.set _ZN7rocprim17ROCPRIM_400000_NS6detail17trampoline_kernelINS0_14default_configENS1_36segmented_radix_sort_config_selectorIdlEEZNS1_25segmented_radix_sort_implIS3_Lb1EPKdPdPKlPlN2at6native12_GLOBAL__N_18offset_tEEE10hipError_tPvRmT1_PNSt15iterator_traitsISK_E10value_typeET2_T3_PNSL_ISQ_E10value_typeET4_jRbjT5_SW_jjP12ihipStream_tbEUlT_E0_NS1_11comp_targetILNS1_3genE9ELNS1_11target_archE1100ELNS1_3gpuE3ELNS1_3repE0EEENS1_60segmented_radix_sort_warp_sort_medium_config_static_selectorELNS0_4arch9wavefront6targetE0EEEvSK_.has_recursion, 0
	.set _ZN7rocprim17ROCPRIM_400000_NS6detail17trampoline_kernelINS0_14default_configENS1_36segmented_radix_sort_config_selectorIdlEEZNS1_25segmented_radix_sort_implIS3_Lb1EPKdPdPKlPlN2at6native12_GLOBAL__N_18offset_tEEE10hipError_tPvRmT1_PNSt15iterator_traitsISK_E10value_typeET2_T3_PNSL_ISQ_E10value_typeET4_jRbjT5_SW_jjP12ihipStream_tbEUlT_E0_NS1_11comp_targetILNS1_3genE9ELNS1_11target_archE1100ELNS1_3gpuE3ELNS1_3repE0EEENS1_60segmented_radix_sort_warp_sort_medium_config_static_selectorELNS0_4arch9wavefront6targetE0EEEvSK_.has_indirect_call, 0
	.section	.AMDGPU.csdata,"",@progbits
; Kernel info:
; codeLenInByte = 0
; TotalNumSgprs: 0
; NumVgprs: 0
; ScratchSize: 0
; MemoryBound: 0
; FloatMode: 240
; IeeeMode: 1
; LDSByteSize: 0 bytes/workgroup (compile time only)
; SGPRBlocks: 0
; VGPRBlocks: 0
; NumSGPRsForWavesPerEU: 1
; NumVGPRsForWavesPerEU: 1
; NamedBarCnt: 0
; Occupancy: 16
; WaveLimiterHint : 0
; COMPUTE_PGM_RSRC2:SCRATCH_EN: 0
; COMPUTE_PGM_RSRC2:USER_SGPR: 2
; COMPUTE_PGM_RSRC2:TRAP_HANDLER: 0
; COMPUTE_PGM_RSRC2:TGID_X_EN: 1
; COMPUTE_PGM_RSRC2:TGID_Y_EN: 0
; COMPUTE_PGM_RSRC2:TGID_Z_EN: 0
; COMPUTE_PGM_RSRC2:TIDIG_COMP_CNT: 0
	.section	.text._ZN7rocprim17ROCPRIM_400000_NS6detail17trampoline_kernelINS0_14default_configENS1_36segmented_radix_sort_config_selectorIdlEEZNS1_25segmented_radix_sort_implIS3_Lb1EPKdPdPKlPlN2at6native12_GLOBAL__N_18offset_tEEE10hipError_tPvRmT1_PNSt15iterator_traitsISK_E10value_typeET2_T3_PNSL_ISQ_E10value_typeET4_jRbjT5_SW_jjP12ihipStream_tbEUlT_E0_NS1_11comp_targetILNS1_3genE8ELNS1_11target_archE1030ELNS1_3gpuE2ELNS1_3repE0EEENS1_60segmented_radix_sort_warp_sort_medium_config_static_selectorELNS0_4arch9wavefront6targetE0EEEvSK_,"axG",@progbits,_ZN7rocprim17ROCPRIM_400000_NS6detail17trampoline_kernelINS0_14default_configENS1_36segmented_radix_sort_config_selectorIdlEEZNS1_25segmented_radix_sort_implIS3_Lb1EPKdPdPKlPlN2at6native12_GLOBAL__N_18offset_tEEE10hipError_tPvRmT1_PNSt15iterator_traitsISK_E10value_typeET2_T3_PNSL_ISQ_E10value_typeET4_jRbjT5_SW_jjP12ihipStream_tbEUlT_E0_NS1_11comp_targetILNS1_3genE8ELNS1_11target_archE1030ELNS1_3gpuE2ELNS1_3repE0EEENS1_60segmented_radix_sort_warp_sort_medium_config_static_selectorELNS0_4arch9wavefront6targetE0EEEvSK_,comdat
	.globl	_ZN7rocprim17ROCPRIM_400000_NS6detail17trampoline_kernelINS0_14default_configENS1_36segmented_radix_sort_config_selectorIdlEEZNS1_25segmented_radix_sort_implIS3_Lb1EPKdPdPKlPlN2at6native12_GLOBAL__N_18offset_tEEE10hipError_tPvRmT1_PNSt15iterator_traitsISK_E10value_typeET2_T3_PNSL_ISQ_E10value_typeET4_jRbjT5_SW_jjP12ihipStream_tbEUlT_E0_NS1_11comp_targetILNS1_3genE8ELNS1_11target_archE1030ELNS1_3gpuE2ELNS1_3repE0EEENS1_60segmented_radix_sort_warp_sort_medium_config_static_selectorELNS0_4arch9wavefront6targetE0EEEvSK_ ; -- Begin function _ZN7rocprim17ROCPRIM_400000_NS6detail17trampoline_kernelINS0_14default_configENS1_36segmented_radix_sort_config_selectorIdlEEZNS1_25segmented_radix_sort_implIS3_Lb1EPKdPdPKlPlN2at6native12_GLOBAL__N_18offset_tEEE10hipError_tPvRmT1_PNSt15iterator_traitsISK_E10value_typeET2_T3_PNSL_ISQ_E10value_typeET4_jRbjT5_SW_jjP12ihipStream_tbEUlT_E0_NS1_11comp_targetILNS1_3genE8ELNS1_11target_archE1030ELNS1_3gpuE2ELNS1_3repE0EEENS1_60segmented_radix_sort_warp_sort_medium_config_static_selectorELNS0_4arch9wavefront6targetE0EEEvSK_
	.p2align	8
	.type	_ZN7rocprim17ROCPRIM_400000_NS6detail17trampoline_kernelINS0_14default_configENS1_36segmented_radix_sort_config_selectorIdlEEZNS1_25segmented_radix_sort_implIS3_Lb1EPKdPdPKlPlN2at6native12_GLOBAL__N_18offset_tEEE10hipError_tPvRmT1_PNSt15iterator_traitsISK_E10value_typeET2_T3_PNSL_ISQ_E10value_typeET4_jRbjT5_SW_jjP12ihipStream_tbEUlT_E0_NS1_11comp_targetILNS1_3genE8ELNS1_11target_archE1030ELNS1_3gpuE2ELNS1_3repE0EEENS1_60segmented_radix_sort_warp_sort_medium_config_static_selectorELNS0_4arch9wavefront6targetE0EEEvSK_,@function
_ZN7rocprim17ROCPRIM_400000_NS6detail17trampoline_kernelINS0_14default_configENS1_36segmented_radix_sort_config_selectorIdlEEZNS1_25segmented_radix_sort_implIS3_Lb1EPKdPdPKlPlN2at6native12_GLOBAL__N_18offset_tEEE10hipError_tPvRmT1_PNSt15iterator_traitsISK_E10value_typeET2_T3_PNSL_ISQ_E10value_typeET4_jRbjT5_SW_jjP12ihipStream_tbEUlT_E0_NS1_11comp_targetILNS1_3genE8ELNS1_11target_archE1030ELNS1_3gpuE2ELNS1_3repE0EEENS1_60segmented_radix_sort_warp_sort_medium_config_static_selectorELNS0_4arch9wavefront6targetE0EEEvSK_: ; @_ZN7rocprim17ROCPRIM_400000_NS6detail17trampoline_kernelINS0_14default_configENS1_36segmented_radix_sort_config_selectorIdlEEZNS1_25segmented_radix_sort_implIS3_Lb1EPKdPdPKlPlN2at6native12_GLOBAL__N_18offset_tEEE10hipError_tPvRmT1_PNSt15iterator_traitsISK_E10value_typeET2_T3_PNSL_ISQ_E10value_typeET4_jRbjT5_SW_jjP12ihipStream_tbEUlT_E0_NS1_11comp_targetILNS1_3genE8ELNS1_11target_archE1030ELNS1_3gpuE2ELNS1_3repE0EEENS1_60segmented_radix_sort_warp_sort_medium_config_static_selectorELNS0_4arch9wavefront6targetE0EEEvSK_
; %bb.0:
	.section	.rodata,"a",@progbits
	.p2align	6, 0x0
	.amdhsa_kernel _ZN7rocprim17ROCPRIM_400000_NS6detail17trampoline_kernelINS0_14default_configENS1_36segmented_radix_sort_config_selectorIdlEEZNS1_25segmented_radix_sort_implIS3_Lb1EPKdPdPKlPlN2at6native12_GLOBAL__N_18offset_tEEE10hipError_tPvRmT1_PNSt15iterator_traitsISK_E10value_typeET2_T3_PNSL_ISQ_E10value_typeET4_jRbjT5_SW_jjP12ihipStream_tbEUlT_E0_NS1_11comp_targetILNS1_3genE8ELNS1_11target_archE1030ELNS1_3gpuE2ELNS1_3repE0EEENS1_60segmented_radix_sort_warp_sort_medium_config_static_selectorELNS0_4arch9wavefront6targetE0EEEvSK_
		.amdhsa_group_segment_fixed_size 0
		.amdhsa_private_segment_fixed_size 0
		.amdhsa_kernarg_size 88
		.amdhsa_user_sgpr_count 2
		.amdhsa_user_sgpr_dispatch_ptr 0
		.amdhsa_user_sgpr_queue_ptr 0
		.amdhsa_user_sgpr_kernarg_segment_ptr 1
		.amdhsa_user_sgpr_dispatch_id 0
		.amdhsa_user_sgpr_kernarg_preload_length 0
		.amdhsa_user_sgpr_kernarg_preload_offset 0
		.amdhsa_user_sgpr_private_segment_size 0
		.amdhsa_wavefront_size32 1
		.amdhsa_uses_dynamic_stack 0
		.amdhsa_enable_private_segment 0
		.amdhsa_system_sgpr_workgroup_id_x 1
		.amdhsa_system_sgpr_workgroup_id_y 0
		.amdhsa_system_sgpr_workgroup_id_z 0
		.amdhsa_system_sgpr_workgroup_info 0
		.amdhsa_system_vgpr_workitem_id 0
		.amdhsa_next_free_vgpr 1
		.amdhsa_next_free_sgpr 1
		.amdhsa_named_barrier_count 0
		.amdhsa_reserve_vcc 0
		.amdhsa_float_round_mode_32 0
		.amdhsa_float_round_mode_16_64 0
		.amdhsa_float_denorm_mode_32 3
		.amdhsa_float_denorm_mode_16_64 3
		.amdhsa_fp16_overflow 0
		.amdhsa_memory_ordered 1
		.amdhsa_forward_progress 1
		.amdhsa_inst_pref_size 0
		.amdhsa_round_robin_scheduling 0
		.amdhsa_exception_fp_ieee_invalid_op 0
		.amdhsa_exception_fp_denorm_src 0
		.amdhsa_exception_fp_ieee_div_zero 0
		.amdhsa_exception_fp_ieee_overflow 0
		.amdhsa_exception_fp_ieee_underflow 0
		.amdhsa_exception_fp_ieee_inexact 0
		.amdhsa_exception_int_div_zero 0
	.end_amdhsa_kernel
	.section	.text._ZN7rocprim17ROCPRIM_400000_NS6detail17trampoline_kernelINS0_14default_configENS1_36segmented_radix_sort_config_selectorIdlEEZNS1_25segmented_radix_sort_implIS3_Lb1EPKdPdPKlPlN2at6native12_GLOBAL__N_18offset_tEEE10hipError_tPvRmT1_PNSt15iterator_traitsISK_E10value_typeET2_T3_PNSL_ISQ_E10value_typeET4_jRbjT5_SW_jjP12ihipStream_tbEUlT_E0_NS1_11comp_targetILNS1_3genE8ELNS1_11target_archE1030ELNS1_3gpuE2ELNS1_3repE0EEENS1_60segmented_radix_sort_warp_sort_medium_config_static_selectorELNS0_4arch9wavefront6targetE0EEEvSK_,"axG",@progbits,_ZN7rocprim17ROCPRIM_400000_NS6detail17trampoline_kernelINS0_14default_configENS1_36segmented_radix_sort_config_selectorIdlEEZNS1_25segmented_radix_sort_implIS3_Lb1EPKdPdPKlPlN2at6native12_GLOBAL__N_18offset_tEEE10hipError_tPvRmT1_PNSt15iterator_traitsISK_E10value_typeET2_T3_PNSL_ISQ_E10value_typeET4_jRbjT5_SW_jjP12ihipStream_tbEUlT_E0_NS1_11comp_targetILNS1_3genE8ELNS1_11target_archE1030ELNS1_3gpuE2ELNS1_3repE0EEENS1_60segmented_radix_sort_warp_sort_medium_config_static_selectorELNS0_4arch9wavefront6targetE0EEEvSK_,comdat
.Lfunc_end1131:
	.size	_ZN7rocprim17ROCPRIM_400000_NS6detail17trampoline_kernelINS0_14default_configENS1_36segmented_radix_sort_config_selectorIdlEEZNS1_25segmented_radix_sort_implIS3_Lb1EPKdPdPKlPlN2at6native12_GLOBAL__N_18offset_tEEE10hipError_tPvRmT1_PNSt15iterator_traitsISK_E10value_typeET2_T3_PNSL_ISQ_E10value_typeET4_jRbjT5_SW_jjP12ihipStream_tbEUlT_E0_NS1_11comp_targetILNS1_3genE8ELNS1_11target_archE1030ELNS1_3gpuE2ELNS1_3repE0EEENS1_60segmented_radix_sort_warp_sort_medium_config_static_selectorELNS0_4arch9wavefront6targetE0EEEvSK_, .Lfunc_end1131-_ZN7rocprim17ROCPRIM_400000_NS6detail17trampoline_kernelINS0_14default_configENS1_36segmented_radix_sort_config_selectorIdlEEZNS1_25segmented_radix_sort_implIS3_Lb1EPKdPdPKlPlN2at6native12_GLOBAL__N_18offset_tEEE10hipError_tPvRmT1_PNSt15iterator_traitsISK_E10value_typeET2_T3_PNSL_ISQ_E10value_typeET4_jRbjT5_SW_jjP12ihipStream_tbEUlT_E0_NS1_11comp_targetILNS1_3genE8ELNS1_11target_archE1030ELNS1_3gpuE2ELNS1_3repE0EEENS1_60segmented_radix_sort_warp_sort_medium_config_static_selectorELNS0_4arch9wavefront6targetE0EEEvSK_
                                        ; -- End function
	.set _ZN7rocprim17ROCPRIM_400000_NS6detail17trampoline_kernelINS0_14default_configENS1_36segmented_radix_sort_config_selectorIdlEEZNS1_25segmented_radix_sort_implIS3_Lb1EPKdPdPKlPlN2at6native12_GLOBAL__N_18offset_tEEE10hipError_tPvRmT1_PNSt15iterator_traitsISK_E10value_typeET2_T3_PNSL_ISQ_E10value_typeET4_jRbjT5_SW_jjP12ihipStream_tbEUlT_E0_NS1_11comp_targetILNS1_3genE8ELNS1_11target_archE1030ELNS1_3gpuE2ELNS1_3repE0EEENS1_60segmented_radix_sort_warp_sort_medium_config_static_selectorELNS0_4arch9wavefront6targetE0EEEvSK_.num_vgpr, 0
	.set _ZN7rocprim17ROCPRIM_400000_NS6detail17trampoline_kernelINS0_14default_configENS1_36segmented_radix_sort_config_selectorIdlEEZNS1_25segmented_radix_sort_implIS3_Lb1EPKdPdPKlPlN2at6native12_GLOBAL__N_18offset_tEEE10hipError_tPvRmT1_PNSt15iterator_traitsISK_E10value_typeET2_T3_PNSL_ISQ_E10value_typeET4_jRbjT5_SW_jjP12ihipStream_tbEUlT_E0_NS1_11comp_targetILNS1_3genE8ELNS1_11target_archE1030ELNS1_3gpuE2ELNS1_3repE0EEENS1_60segmented_radix_sort_warp_sort_medium_config_static_selectorELNS0_4arch9wavefront6targetE0EEEvSK_.num_agpr, 0
	.set _ZN7rocprim17ROCPRIM_400000_NS6detail17trampoline_kernelINS0_14default_configENS1_36segmented_radix_sort_config_selectorIdlEEZNS1_25segmented_radix_sort_implIS3_Lb1EPKdPdPKlPlN2at6native12_GLOBAL__N_18offset_tEEE10hipError_tPvRmT1_PNSt15iterator_traitsISK_E10value_typeET2_T3_PNSL_ISQ_E10value_typeET4_jRbjT5_SW_jjP12ihipStream_tbEUlT_E0_NS1_11comp_targetILNS1_3genE8ELNS1_11target_archE1030ELNS1_3gpuE2ELNS1_3repE0EEENS1_60segmented_radix_sort_warp_sort_medium_config_static_selectorELNS0_4arch9wavefront6targetE0EEEvSK_.numbered_sgpr, 0
	.set _ZN7rocprim17ROCPRIM_400000_NS6detail17trampoline_kernelINS0_14default_configENS1_36segmented_radix_sort_config_selectorIdlEEZNS1_25segmented_radix_sort_implIS3_Lb1EPKdPdPKlPlN2at6native12_GLOBAL__N_18offset_tEEE10hipError_tPvRmT1_PNSt15iterator_traitsISK_E10value_typeET2_T3_PNSL_ISQ_E10value_typeET4_jRbjT5_SW_jjP12ihipStream_tbEUlT_E0_NS1_11comp_targetILNS1_3genE8ELNS1_11target_archE1030ELNS1_3gpuE2ELNS1_3repE0EEENS1_60segmented_radix_sort_warp_sort_medium_config_static_selectorELNS0_4arch9wavefront6targetE0EEEvSK_.num_named_barrier, 0
	.set _ZN7rocprim17ROCPRIM_400000_NS6detail17trampoline_kernelINS0_14default_configENS1_36segmented_radix_sort_config_selectorIdlEEZNS1_25segmented_radix_sort_implIS3_Lb1EPKdPdPKlPlN2at6native12_GLOBAL__N_18offset_tEEE10hipError_tPvRmT1_PNSt15iterator_traitsISK_E10value_typeET2_T3_PNSL_ISQ_E10value_typeET4_jRbjT5_SW_jjP12ihipStream_tbEUlT_E0_NS1_11comp_targetILNS1_3genE8ELNS1_11target_archE1030ELNS1_3gpuE2ELNS1_3repE0EEENS1_60segmented_radix_sort_warp_sort_medium_config_static_selectorELNS0_4arch9wavefront6targetE0EEEvSK_.private_seg_size, 0
	.set _ZN7rocprim17ROCPRIM_400000_NS6detail17trampoline_kernelINS0_14default_configENS1_36segmented_radix_sort_config_selectorIdlEEZNS1_25segmented_radix_sort_implIS3_Lb1EPKdPdPKlPlN2at6native12_GLOBAL__N_18offset_tEEE10hipError_tPvRmT1_PNSt15iterator_traitsISK_E10value_typeET2_T3_PNSL_ISQ_E10value_typeET4_jRbjT5_SW_jjP12ihipStream_tbEUlT_E0_NS1_11comp_targetILNS1_3genE8ELNS1_11target_archE1030ELNS1_3gpuE2ELNS1_3repE0EEENS1_60segmented_radix_sort_warp_sort_medium_config_static_selectorELNS0_4arch9wavefront6targetE0EEEvSK_.uses_vcc, 0
	.set _ZN7rocprim17ROCPRIM_400000_NS6detail17trampoline_kernelINS0_14default_configENS1_36segmented_radix_sort_config_selectorIdlEEZNS1_25segmented_radix_sort_implIS3_Lb1EPKdPdPKlPlN2at6native12_GLOBAL__N_18offset_tEEE10hipError_tPvRmT1_PNSt15iterator_traitsISK_E10value_typeET2_T3_PNSL_ISQ_E10value_typeET4_jRbjT5_SW_jjP12ihipStream_tbEUlT_E0_NS1_11comp_targetILNS1_3genE8ELNS1_11target_archE1030ELNS1_3gpuE2ELNS1_3repE0EEENS1_60segmented_radix_sort_warp_sort_medium_config_static_selectorELNS0_4arch9wavefront6targetE0EEEvSK_.uses_flat_scratch, 0
	.set _ZN7rocprim17ROCPRIM_400000_NS6detail17trampoline_kernelINS0_14default_configENS1_36segmented_radix_sort_config_selectorIdlEEZNS1_25segmented_radix_sort_implIS3_Lb1EPKdPdPKlPlN2at6native12_GLOBAL__N_18offset_tEEE10hipError_tPvRmT1_PNSt15iterator_traitsISK_E10value_typeET2_T3_PNSL_ISQ_E10value_typeET4_jRbjT5_SW_jjP12ihipStream_tbEUlT_E0_NS1_11comp_targetILNS1_3genE8ELNS1_11target_archE1030ELNS1_3gpuE2ELNS1_3repE0EEENS1_60segmented_radix_sort_warp_sort_medium_config_static_selectorELNS0_4arch9wavefront6targetE0EEEvSK_.has_dyn_sized_stack, 0
	.set _ZN7rocprim17ROCPRIM_400000_NS6detail17trampoline_kernelINS0_14default_configENS1_36segmented_radix_sort_config_selectorIdlEEZNS1_25segmented_radix_sort_implIS3_Lb1EPKdPdPKlPlN2at6native12_GLOBAL__N_18offset_tEEE10hipError_tPvRmT1_PNSt15iterator_traitsISK_E10value_typeET2_T3_PNSL_ISQ_E10value_typeET4_jRbjT5_SW_jjP12ihipStream_tbEUlT_E0_NS1_11comp_targetILNS1_3genE8ELNS1_11target_archE1030ELNS1_3gpuE2ELNS1_3repE0EEENS1_60segmented_radix_sort_warp_sort_medium_config_static_selectorELNS0_4arch9wavefront6targetE0EEEvSK_.has_recursion, 0
	.set _ZN7rocprim17ROCPRIM_400000_NS6detail17trampoline_kernelINS0_14default_configENS1_36segmented_radix_sort_config_selectorIdlEEZNS1_25segmented_radix_sort_implIS3_Lb1EPKdPdPKlPlN2at6native12_GLOBAL__N_18offset_tEEE10hipError_tPvRmT1_PNSt15iterator_traitsISK_E10value_typeET2_T3_PNSL_ISQ_E10value_typeET4_jRbjT5_SW_jjP12ihipStream_tbEUlT_E0_NS1_11comp_targetILNS1_3genE8ELNS1_11target_archE1030ELNS1_3gpuE2ELNS1_3repE0EEENS1_60segmented_radix_sort_warp_sort_medium_config_static_selectorELNS0_4arch9wavefront6targetE0EEEvSK_.has_indirect_call, 0
	.section	.AMDGPU.csdata,"",@progbits
; Kernel info:
; codeLenInByte = 0
; TotalNumSgprs: 0
; NumVgprs: 0
; ScratchSize: 0
; MemoryBound: 0
; FloatMode: 240
; IeeeMode: 1
; LDSByteSize: 0 bytes/workgroup (compile time only)
; SGPRBlocks: 0
; VGPRBlocks: 0
; NumSGPRsForWavesPerEU: 1
; NumVGPRsForWavesPerEU: 1
; NamedBarCnt: 0
; Occupancy: 16
; WaveLimiterHint : 0
; COMPUTE_PGM_RSRC2:SCRATCH_EN: 0
; COMPUTE_PGM_RSRC2:USER_SGPR: 2
; COMPUTE_PGM_RSRC2:TRAP_HANDLER: 0
; COMPUTE_PGM_RSRC2:TGID_X_EN: 1
; COMPUTE_PGM_RSRC2:TGID_Y_EN: 0
; COMPUTE_PGM_RSRC2:TGID_Z_EN: 0
; COMPUTE_PGM_RSRC2:TIDIG_COMP_CNT: 0
	.text
	.p2align	2                               ; -- Begin function _ZN7rocprim17ROCPRIM_400000_NS6detail26segmented_warp_sort_helperINS1_20WarpSortHelperConfigILj8ELj4ELj256EEEdlLi256ELb1EvE4sortIPKdPdPKlPlEEvT_S9_T0_T1_SC_T2_bjjjjRNS5_12storage_typeE
	.type	_ZN7rocprim17ROCPRIM_400000_NS6detail26segmented_warp_sort_helperINS1_20WarpSortHelperConfigILj8ELj4ELj256EEEdlLi256ELb1EvE4sortIPKdPdPKlPlEEvT_S9_T0_T1_SC_T2_bjjjjRNS5_12storage_typeE,@function
_ZN7rocprim17ROCPRIM_400000_NS6detail26segmented_warp_sort_helperINS1_20WarpSortHelperConfigILj8ELj4ELj256EEEdlLi256ELb1EvE4sortIPKdPdPKlPlEEvT_S9_T0_T1_SC_T2_bjjjjRNS5_12storage_typeE: ; @_ZN7rocprim17ROCPRIM_400000_NS6detail26segmented_warp_sort_helperINS1_20WarpSortHelperConfigILj8ELj4ELj256EEEdlLi256ELb1EvE4sortIPKdPdPKlPlEEvT_S9_T0_T1_SC_T2_bjjjjRNS5_12storage_typeE
; %bb.0:
	s_wait_loadcnt_dscnt 0x0
	s_wait_kmcnt 0x0
	v_mov_b32_e32 v36, v13
	v_mbcnt_lo_u32_b32 v13, -1, 0
	v_dual_mov_b32 v39, v16 :: v_dual_mov_b32 v38, v15
	v_and_b32_e32 v12, 1, v12
	s_mov_b32 s6, 0
	s_delay_alu instid0(VALU_DEP_3) | instskip(SKIP_1) | instid1(VALU_DEP_3)
	v_dual_lshlrev_b32 v55, 2, v13 :: v_dual_mov_b32 v37, 0
	v_sub_nc_u32_e32 v22, v14, v36
	v_cmp_ne_u32_e64 s0, 1, v12
	s_getreg_b32 s5, hwreg(HW_REG_IB_STS2, 6, 4)
	v_and_b32_e32 v54, 28, v55
	v_lshl_add_u64 v[16:17], v[36:37], 3, v[0:1]
	s_delay_alu instid0(VALU_DEP_2) | instskip(SKIP_1) | instid1(VALU_DEP_2)
	v_dual_mov_b32 v1, v37 :: v_dual_lshlrev_b32 v0, 3, v54
	v_cmp_lt_u32_e32 vcc_lo, v54, v22
	v_add_nc_u64_e32 v[20:21], v[16:17], v[0:1]
                                        ; implicit-def: $vgpr12_vgpr13_vgpr14_vgpr15_vgpr16_vgpr17_vgpr18_vgpr19
	s_and_saveexec_b32 s1, s0
	s_delay_alu instid0(SALU_CYCLE_1)
	s_xor_b32 s7, exec_lo, s1
	s_cbranch_execnz .LBB1132_4
; %bb.1:
	s_and_not1_saveexec_b32 s7, s7
	s_cbranch_execnz .LBB1132_111
.LBB1132_2:
	s_or_b32 exec_lo, exec_lo, s7
	s_and_saveexec_b32 s0, s6
	s_cbranch_execnz .LBB1132_218
.LBB1132_3:
	s_or_b32 exec_lo, exec_lo, s0
	s_wait_dscnt 0x0
	s_set_pc_i64 s[30:31]
.LBB1132_4:
	v_mov_b64_e32 v[32:33], -1
	v_mov_b64_e32 v[34:35], -1
	s_and_saveexec_b32 s0, vcc_lo
	s_cbranch_execz .LBB1132_6
; %bb.5:
	flat_load_b64 v[34:35], v[20:21]
.LBB1132_6:
	s_wait_xcnt 0x0
	s_or_b32 exec_lo, exec_lo, s0
	v_or_b32_e32 v1, 1, v54
	s_delay_alu instid0(VALU_DEP_1)
	v_cmp_lt_u32_e64 s0, v1, v22
	s_and_saveexec_b32 s1, s0
	s_cbranch_execz .LBB1132_8
; %bb.7:
	flat_load_b64 v[32:33], v[20:21] offset:8
.LBB1132_8:
	s_wait_xcnt 0x0
	s_or_b32 exec_lo, exec_lo, s1
	v_or_b32_e32 v1, 2, v54
	v_mov_b64_e32 v[28:29], -1
	v_mov_b64_e32 v[10:11], -1
	s_delay_alu instid0(VALU_DEP_3)
	v_cmp_lt_u32_e64 s1, v1, v22
	s_and_saveexec_b32 s2, s1
	s_cbranch_execz .LBB1132_10
; %bb.9:
	flat_load_b64 v[10:11], v[20:21] offset:16
.LBB1132_10:
	s_wait_xcnt 0x0
	s_or_b32 exec_lo, exec_lo, s2
	v_or_b32_e32 v1, 3, v54
	s_delay_alu instid0(VALU_DEP_1)
	v_cmp_lt_u32_e64 s2, v1, v22
	s_and_saveexec_b32 s3, s2
	s_cbranch_execz .LBB1132_12
; %bb.11:
	flat_load_b64 v[28:29], v[20:21] offset:24
.LBB1132_12:
	s_wait_xcnt 0x0
	s_or_b32 exec_lo, exec_lo, s3
	v_lshl_add_u64 v[4:5], v[36:37], 3, v[6:7]
	v_mov_b32_e32 v1, 0
	; wave barrier
	s_delay_alu instid0(VALU_DEP_1)
	v_add_nc_u64_e32 v[4:5], v[4:5], v[0:1]
	v_dual_mov_b32 v12, v1 :: v_dual_mov_b32 v13, v1
	v_dual_mov_b32 v14, v1 :: v_dual_mov_b32 v15, v1
	;; [unrolled: 1-line block ×4, first 2 shown]
	s_and_saveexec_b32 s3, vcc_lo
	s_cbranch_execnz .LBB1132_219
; %bb.13:
	s_or_b32 exec_lo, exec_lo, s3
	s_and_saveexec_b32 s3, s0
	s_cbranch_execnz .LBB1132_220
.LBB1132_14:
	s_or_b32 exec_lo, exec_lo, s3
	s_and_saveexec_b32 s3, s1
	s_cbranch_execnz .LBB1132_221
.LBB1132_15:
	s_or_b32 exec_lo, exec_lo, s3
	s_and_saveexec_b32 s3, s2
	s_cbranch_execz .LBB1132_17
.LBB1132_16:
	flat_load_b64 v[18:19], v[4:5] offset:24
.LBB1132_17:
	s_wait_xcnt 0x0
	s_or_b32 exec_lo, exec_lo, s3
	; wave barrier
	s_load_b64 s[10:11], s[8:9], 0x0
	s_bfe_u32 s4, ttmp6, 0x4000c
	s_bfe_u32 s12, ttmp6, 0x40010
	s_and_b32 s6, ttmp7, 0xffff
	s_add_co_i32 s4, s4, 1
	s_add_co_i32 s12, s12, 1
	s_and_b32 s3, ttmp6, 15
	s_bfe_u32 s13, ttmp6, 0x40004
	s_mul_i32 s4, ttmp9, s4
	s_mul_i32 s12, s6, s12
	s_add_co_i32 s3, s3, s4
	s_add_co_i32 s13, s13, s12
	s_cmp_eq_u32 s5, 0
	v_bfe_u32 v1, v31, 10, 10
	s_cselect_b32 s3, ttmp9, s3
	s_cselect_b32 s4, s6, s13
	v_bfe_u32 v4, v31, 20, 10
	s_mov_b32 s6, exec_lo
	s_wait_kmcnt 0x0
	s_cmp_lt_u32 s3, s10
	s_cselect_b32 s10, 12, 18
	s_cmp_lt_u32 s4, s11
	s_mov_b32 s11, 0
	s_cselect_b32 s12, 14, 20
	s_mov_b32 s13, s11
	s_add_nc_u64 s[10:11], s[8:9], s[10:11]
	s_add_nc_u64 s[12:13], s[8:9], s[12:13]
	s_clause 0x1
	s_load_u16 s4, s[10:11], 0x0
	s_load_u16 s3, s[12:13], 0x0
	s_wait_kmcnt 0x0
	v_mad_u32_u24 v1, v4, s3, v1
	v_and_b32_e32 v4, 0x3ff, v31
	s_delay_alu instid0(VALU_DEP_2) | instskip(NEXT) | instid1(VALU_DEP_1)
	v_mul_lo_u32 v1, v1, s4
	v_add_lshl_u32 v1, v1, v4, 2
	s_delay_alu instid0(VALU_DEP_1)
	v_cmpx_gt_u32_e32 0x400, v1
	s_cbranch_execz .LBB1132_29
; %bb.18:
	s_wait_loadcnt_dscnt 0x0
	v_add_f64_e32 v[6:7], 0, v[34:35]
	v_add_f64_e32 v[4:5], 0, v[32:33]
	;; [unrolled: 1-line block ×4, first 2 shown]
	s_mov_b32 s10, exec_lo
	s_delay_alu instid0(VALU_DEP_3) | instskip(NEXT) | instid1(VALU_DEP_2)
	v_dual_ashrrev_i32 v25, 31, v7 :: v_dual_ashrrev_i32 v24, 31, v5
	v_dual_ashrrev_i32 v27, 31, v23 :: v_dual_ashrrev_i32 v26, 31, v21
	s_delay_alu instid0(VALU_DEP_2) | instskip(NEXT) | instid1(VALU_DEP_3)
	v_or_b32_e32 v31, 0x80000000, v25
	v_or_b32_e32 v30, 0x80000000, v24
	v_xor_b32_e32 v4, v24, v4
	v_xor_b32_e32 v24, v25, v6
	v_or_b32_e32 v48, 0x80000000, v26
	v_xor_b32_e32 v25, v31, v7
	v_xor_b32_e32 v5, v30, v5
	;; [unrolled: 3-line block ×3, first 2 shown]
	v_xor_b32_e32 v7, v48, v21
	v_cmp_gt_u64_e64 s3, v[4:5], v[24:25]
	v_mov_b64_e32 v[4:5], v[10:11]
	v_mov_b64_e32 v[24:25], v[16:17]
	v_xor_b32_e32 v31, v31, v23
	s_delay_alu instid0(VALU_DEP_4) | instskip(SKIP_1) | instid1(VALU_DEP_3)
	v_dual_cndmask_b32 v23, v15, v13, s3 :: v_dual_cndmask_b32 v22, v14, v12, s3
	v_dual_cndmask_b32 v21, v13, v15, s3 :: v_dual_cndmask_b32 v20, v12, v14, s3
	v_cmpx_gt_u64_e64 v[6:7], v[30:31]
	s_cbranch_execz .LBB1132_20
; %bb.19:
	v_mov_b64_e32 v[4:5], v[28:29]
	v_mov_b64_e32 v[28:29], v[10:11]
	;; [unrolled: 1-line block ×5, first 2 shown]
.LBB1132_20:
	s_or_b32 exec_lo, exec_lo, s10
	v_dual_cndmask_b32 v53, v33, v35, s3 :: v_dual_cndmask_b32 v52, v32, v34, s3
	s_delay_alu instid0(VALU_DEP_1) | instskip(NEXT) | instid1(VALU_DEP_1)
	v_dual_add_f64 v[6:7], 0, v[52:53] :: v_dual_mov_b32 v26, v18
	v_ashrrev_i32_e32 v10, 31, v7
	s_delay_alu instid0(VALU_DEP_1) | instskip(NEXT) | instid1(VALU_DEP_1)
	v_or_b32_e32 v11, 0x80000000, v10
	v_xor_b32_e32 v49, v11, v7
	s_delay_alu instid0(VALU_DEP_4)
	v_xor_b32_e32 v48, v10, v6
	v_mov_b64_e32 v[10:11], v[20:21]
	v_mov_b64_e32 v[12:13], v[22:23]
	;; [unrolled: 1-line block ×4, first 2 shown]
	v_cmp_le_u64_e64 s4, v[30:31], v[48:49]
                                        ; implicit-def: $vgpr6_vgpr7
	s_and_saveexec_b32 s10, s4
	s_delay_alu instid0(SALU_CYCLE_1)
	s_xor_b32 s4, exec_lo, s10
	s_cbranch_execz .LBB1132_22
; %bb.21:
	v_add_f64_e32 v[6:7], 0, v[4:5]
                                        ; implicit-def: $vgpr30_vgpr31
	s_delay_alu instid0(VALU_DEP_1) | instskip(NEXT) | instid1(VALU_DEP_1)
	v_ashrrev_i32_e32 v10, 31, v7
	v_or_b32_e32 v11, 0x80000000, v10
	s_delay_alu instid0(VALU_DEP_1) | instskip(NEXT) | instid1(VALU_DEP_4)
	v_xor_b32_e32 v7, v11, v7
	v_xor_b32_e32 v6, v10, v6
                                        ; implicit-def: $vgpr10_vgpr11_vgpr12_vgpr13_vgpr14_vgpr15_vgpr16_vgpr17
.LBB1132_22:
	s_or_saveexec_b32 s4, s4
	v_mov_b64_e32 v[50:51], v[52:53]
	v_mov_b32_e32 v27, v19
	s_xor_b32 exec_lo, exec_lo, s4
	s_cbranch_execz .LBB1132_24
; %bb.23:
	v_dual_mov_b32 v16, v18 :: v_dual_mov_b32 v17, v19
	v_dual_mov_b32 v12, v24 :: v_dual_mov_b32 v13, v25
	;; [unrolled: 1-line block ×3, first 2 shown]
	s_delay_alu instid0(VALU_DEP_3) | instskip(SKIP_1) | instid1(VALU_DEP_4)
	v_mov_b64_e32 v[26:27], v[16:17]
	v_mov_b64_e32 v[20:21], v[10:11]
	;; [unrolled: 1-line block ×8, first 2 shown]
.LBB1132_24:
	s_or_b32 exec_lo, exec_lo, s4
	v_dual_cndmask_b32 v11, v35, v33, s3 :: v_dual_cndmask_b32 v10, v34, v32, s3
	v_add_f64_e32 v[14:15], 0, v[28:29]
	s_mov_b32 s10, exec_lo
	s_delay_alu instid0(VALU_DEP_2) | instskip(NEXT) | instid1(VALU_DEP_1)
	v_add_f64_e32 v[12:13], 0, v[10:11]
	v_dual_ashrrev_i32 v17, 31, v15 :: v_dual_ashrrev_i32 v16, 31, v13
	s_delay_alu instid0(VALU_DEP_1) | instskip(NEXT) | instid1(VALU_DEP_4)
	v_or_b32_e32 v19, 0x80000000, v17
	v_xor_b32_e32 v30, v17, v14
	v_mov_b32_e32 v17, v25
	s_delay_alu instid0(VALU_DEP_4) | instskip(SKIP_2) | instid1(VALU_DEP_3)
	v_or_b32_e32 v18, 0x80000000, v16
	v_xor_b32_e32 v12, v16, v12
	v_dual_mov_b32 v16, v24 :: v_dual_bitop2_b32 v31, v19, v15 bitop3:0x14
	v_dual_mov_b32 v19, v27 :: v_dual_bitop2_b32 v13, v18, v13 bitop3:0x14
	v_mov_b32_e32 v18, v26
	s_delay_alu instid0(VALU_DEP_2) | instskip(NEXT) | instid1(VALU_DEP_1)
	v_cmp_gt_u64_e64 s3, v[48:49], v[12:13]
	v_dual_cndmask_b32 v15, v23, v21, s3 :: v_dual_cndmask_b32 v14, v22, v20, s3
	v_dual_cndmask_b32 v13, v21, v23, s3 :: v_dual_cndmask_b32 v12, v20, v22, s3
	v_mov_b64_e32 v[20:21], v[4:5]
	v_cmpx_gt_u64_e64 v[30:31], v[6:7]
; %bb.25:
	v_mov_b64_e32 v[20:21], v[28:29]
	v_mov_b64_e32 v[28:29], v[4:5]
	;; [unrolled: 1-line block ×3, first 2 shown]
	v_dual_mov_b32 v16, v26 :: v_dual_mov_b32 v17, v27
	v_dual_mov_b32 v18, v24 :: v_dual_mov_b32 v19, v25
; %bb.26:
	s_or_b32 exec_lo, exec_lo, s10
	v_dual_cndmask_b32 v33, v51, v11, s3 :: v_dual_cndmask_b32 v32, v50, v10, s3
	v_dual_cndmask_b32 v34, v10, v50, s3 :: v_dual_cndmask_b32 v35, v11, v51, s3
	v_mov_b64_e32 v[10:11], v[20:21]
	s_mov_b32 s3, exec_lo
	s_delay_alu instid0(VALU_DEP_3) | instskip(NEXT) | instid1(VALU_DEP_1)
	v_add_f64_e32 v[4:5], 0, v[32:33]
	v_ashrrev_i32_e32 v22, 31, v5
	s_delay_alu instid0(VALU_DEP_1) | instskip(NEXT) | instid1(VALU_DEP_1)
	v_or_b32_e32 v23, 0x80000000, v22
	v_xor_b32_e32 v5, v23, v5
	s_delay_alu instid0(VALU_DEP_4) | instskip(NEXT) | instid1(VALU_DEP_1)
	v_xor_b32_e32 v4, v22, v4
	v_cmpx_gt_u64_e64 v[6:7], v[4:5]
	s_cbranch_execz .LBB1132_28
; %bb.27:
	v_dual_mov_b32 v10, v12 :: v_dual_mov_b32 v11, v13
	v_dual_mov_b32 v12, v16 :: v_dual_mov_b32 v13, v17
	;; [unrolled: 1-line block ×3, first 2 shown]
	s_delay_alu instid0(VALU_DEP_1) | instskip(SKIP_1) | instid1(VALU_DEP_4)
	v_mov_b64_e32 v[18:19], v[16:17]
	v_mov_b64_e32 v[16:17], v[14:15]
	;; [unrolled: 1-line block ×6, first 2 shown]
.LBB1132_28:
	s_or_b32 exec_lo, exec_lo, s3
.LBB1132_29:
	s_delay_alu instid0(SALU_CYCLE_1) | instskip(SKIP_4) | instid1(VALU_DEP_3)
	s_or_b32 exec_lo, exec_lo, s6
	v_and_b32_e32 v6, 0xffffff80, v1
	v_dual_mov_b32 v7, 0 :: v_dual_bitop2_b32 v4, 4, v55 bitop3:0x54
	v_and_b32_e32 v22, 0x78, v55
	s_mov_b32 s4, exec_lo
	v_sub_nc_u32_e64 v1, 0x400, v6 clamp
	s_delay_alu instid0(VALU_DEP_1) | instskip(SKIP_1) | instid1(VALU_DEP_2)
	v_min_u32_e32 v64, v1, v4
	v_lshl_add_u64 v[4:5], v[6:7], 3, v[38:39]
	v_dual_sub_nc_u32 v20, v64, v22 :: v_dual_bitop2_b32 v6, 4, v55 bitop3:0x40
	v_add_min_u32_e64 v65, v64, 4, v1
	s_delay_alu instid0(VALU_DEP_2) | instskip(NEXT) | instid1(VALU_DEP_4)
	v_min_u32_e32 v23, v1, v6
	v_lshl_add_u32 v38, v55, 3, v4
	s_delay_alu instid0(VALU_DEP_3) | instskip(NEXT) | instid1(VALU_DEP_3)
	v_sub_nc_u32_e32 v6, v65, v64
	v_min_u32_e32 v25, v23, v20
	s_delay_alu instid0(VALU_DEP_3)
	v_add_nc_u32_e32 v21, 0x2000, v38
	s_wait_loadcnt_dscnt 0x0
	ds_store_2addr_b64 v38, v[34:35], v[32:33] offset1:1
	ds_store_2addr_b64 v21, v[12:13], v[14:15] offset1:1
	ds_store_2addr_b64 v38, v[10:11], v[28:29] offset0:2 offset1:3
	ds_store_2addr_b64 v21, v[16:17], v[18:19] offset0:2 offset1:3
	v_sub_nc_u32_e64 v24, v23, v6 clamp
	; wave barrier
	s_delay_alu instid0(VALU_DEP_1)
	v_cmpx_lt_u32_e64 v24, v25
	s_cbranch_execz .LBB1132_33
; %bb.30:
	v_lshlrev_b32_e32 v6, 3, v22
	s_mov_b32 s6, 0
	s_delay_alu instid0(VALU_DEP_1) | instskip(SKIP_1) | instid1(VALU_DEP_1)
	v_add_nc_u64_e32 v[20:21], v[4:5], v[6:7]
	v_lshlrev_b32_e32 v6, 3, v64
	v_add_nc_u64_e32 v[6:7], v[4:5], v[6:7]
.LBB1132_31:                            ; =>This Inner Loop Header: Depth=1
	v_add_nc_u32_e32 v7, v25, v24
	s_delay_alu instid0(VALU_DEP_1) | instskip(NEXT) | instid1(VALU_DEP_1)
	v_lshrrev_b32_e32 v7, 1, v7
	v_xad_u32 v21, v7, -1, v23
	v_lshl_add_u32 v26, v7, 3, v20
	s_delay_alu instid0(VALU_DEP_2) | instskip(SKIP_4) | instid1(VALU_DEP_1)
	v_lshl_add_u32 v21, v21, 3, v6
	ds_load_b64 v[26:27], v26
	ds_load_b64 v[30:31], v21
	s_wait_dscnt 0x1
	v_add_f64_e32 v[26:27], 0, v[26:27]
	v_ashrrev_i32_e32 v21, 31, v27
	s_delay_alu instid0(VALU_DEP_1) | instskip(NEXT) | instid1(VALU_DEP_3)
	v_or_b32_e32 v48, 0x80000000, v21
	v_dual_add_nc_u32 v21, 1, v7 :: v_dual_bitop2_b32 v26, v21, v26 bitop3:0x14
	s_wait_dscnt 0x0
	v_add_f64_e32 v[30:31], 0, v[30:31]
	s_delay_alu instid0(VALU_DEP_3) | instskip(NEXT) | instid1(VALU_DEP_2)
	v_xor_b32_e32 v27, v48, v27
	v_ashrrev_i32_e32 v39, 31, v31
	s_delay_alu instid0(VALU_DEP_1) | instskip(NEXT) | instid1(VALU_DEP_1)
	v_or_b32_e32 v49, 0x80000000, v39
	v_xor_b32_e32 v31, v49, v31
	v_xor_b32_e32 v30, v39, v30
	s_delay_alu instid0(VALU_DEP_1) | instskip(NEXT) | instid1(VALU_DEP_1)
	v_cmp_gt_u64_e64 s3, v[30:31], v[26:27]
	v_cndmask_b32_e64 v25, v25, v7, s3
	v_cndmask_b32_e64 v24, v21, v24, s3
	s_delay_alu instid0(VALU_DEP_1) | instskip(SKIP_1) | instid1(SALU_CYCLE_1)
	v_cmp_ge_u32_e64 s3, v24, v25
	s_or_b32 s6, s3, s6
	s_and_not1_b32 exec_lo, exec_lo, s6
	s_cbranch_execnz .LBB1132_31
; %bb.32:
	s_or_b32 exec_lo, exec_lo, s6
.LBB1132_33:
	s_delay_alu instid0(SALU_CYCLE_1) | instskip(SKIP_4) | instid1(VALU_DEP_4)
	s_or_b32 exec_lo, exec_lo, s4
	v_dual_add_nc_u32 v50, 24, v38 :: v_dual_add_nc_u32 v6, v64, v23
	v_add_nc_u32_e32 v22, v24, v22
	v_add_nc_u32_e32 v51, 0x2000, v38
	v_dual_add_nc_u32 v39, 8, v38 :: v_dual_add_nc_u32 v49, 16, v38
	v_sub_nc_u32_e32 v23, v6, v24
	s_delay_alu instid0(VALU_DEP_4)
	v_cmp_le_u32_e64 s3, v22, v64
	v_add_nc_u32_e32 v48, 0x2008, v38
	v_add_nc_u32_e32 v52, 0x2010, v38
	;; [unrolled: 1-line block ×3, first 2 shown]
	v_cmp_le_u32_e64 s4, v23, v65
	s_or_b32 s3, s3, s4
	s_delay_alu instid0(SALU_CYCLE_1)
	s_and_saveexec_b32 s6, s3
	s_cbranch_execz .LBB1132_53
; %bb.34:
	v_cmp_ge_u32_e64 s3, v22, v64
	s_mov_b32 s10, exec_lo
                                        ; implicit-def: $vgpr6_vgpr7
	v_cmpx_lt_u32_e64 v22, v64
; %bb.35:
	v_lshl_add_u32 v6, v22, 3, v4
	ds_load_b64 v[6:7], v6
; %bb.36:
	s_or_b32 exec_lo, exec_lo, s10
	v_cmp_ge_u32_e64 s10, v23, v65
	s_mov_b32 s11, exec_lo
                                        ; implicit-def: $vgpr20_vgpr21
	v_cmpx_lt_u32_e64 v23, v65
; %bb.37:
	v_lshl_add_u32 v10, v23, 3, v4
	ds_load_b64 v[20:21], v10
; %bb.38:
	s_or_b32 exec_lo, exec_lo, s11
	s_nor_b32 s3, s3, s10
	s_delay_alu instid0(SALU_CYCLE_1)
	s_and_saveexec_b32 s4, s3
	s_cbranch_execz .LBB1132_40
; %bb.39:
	s_wait_dscnt 0x0
	v_add_f64_e32 v[10:11], 0, v[20:21]
	v_add_f64_e32 v[12:13], 0, v[6:7]
	s_and_not1_b32 s10, s10, exec_lo
	s_delay_alu instid0(VALU_DEP_1) | instskip(NEXT) | instid1(VALU_DEP_1)
	v_dual_ashrrev_i32 v14, 31, v11 :: v_dual_ashrrev_i32 v15, 31, v13
	v_or_b32_e32 v16, 0x80000000, v14
	s_delay_alu instid0(VALU_DEP_2) | instskip(SKIP_2) | instid1(VALU_DEP_4)
	v_or_b32_e32 v17, 0x80000000, v15
	v_xor_b32_e32 v10, v14, v10
	v_xor_b32_e32 v12, v15, v12
	;; [unrolled: 1-line block ×3, first 2 shown]
	s_delay_alu instid0(VALU_DEP_4) | instskip(NEXT) | instid1(VALU_DEP_1)
	v_xor_b32_e32 v13, v17, v13
	v_cmp_le_u64_e64 s3, v[10:11], v[12:13]
	s_and_b32 s3, s3, exec_lo
	s_delay_alu instid0(SALU_CYCLE_1)
	s_or_b32 s10, s10, s3
.LBB1132_40:
	s_or_b32 exec_lo, exec_lo, s4
	v_dual_cndmask_b32 v10, v23, v22, s10 :: v_dual_cndmask_b32 v11, v65, v64, s10
	s_mov_b32 s11, -1
	s_mov_b32 s4, -1
	s_mov_b32 s12, exec_lo
	s_delay_alu instid0(VALU_DEP_1) | instskip(SKIP_1) | instid1(VALU_DEP_2)
	v_add_nc_u32_e32 v16, 1, v10
	v_lshl_add_u32 v10, v10, 3, v4
	v_add_min_u32_e64 v11, v11, -1, v16
	ds_load_b64 v[12:13], v10 offset:8192
	v_cndmask_b32_e64 v10, v16, v23, s10
	v_lshl_add_u32 v11, v11, 3, v4
	ds_load_b64 v[14:15], v11
	s_wait_dscnt 0x0
	v_dual_cndmask_b32 v23, v15, v21, s10 :: v_dual_cndmask_b32 v11, v22, v16, s10
	v_dual_cndmask_b32 v22, v14, v20, s10 :: v_dual_cndmask_b32 v25, v7, v15, s10
	v_cndmask_b32_e64 v24, v6, v14, s10
	v_cmpx_lt_u32_e64 v10, v65
	s_cbranch_execz .LBB1132_44
; %bb.41:
	s_mov_b32 s13, 0
	s_mov_b32 s4, exec_lo
	v_cmpx_lt_u32_e64 v11, v64
	s_cbranch_execz .LBB1132_43
; %bb.42:
	v_add_f64_e32 v[16:17], 0, v[24:25]
	s_delay_alu instid0(VALU_DEP_1) | instskip(NEXT) | instid1(VALU_DEP_1)
	v_dual_add_f64 v[14:15], 0, v[22:23] :: v_dual_ashrrev_i32 v19, 31, v17
	v_ashrrev_i32_e32 v18, 31, v15
	s_delay_alu instid0(VALU_DEP_2) | instskip(NEXT) | instid1(VALU_DEP_2)
	v_or_b32_e32 v27, 0x80000000, v19
	v_or_b32_e32 v26, 0x80000000, v18
	s_delay_alu instid0(VALU_DEP_4) | instskip(SKIP_1) | instid1(VALU_DEP_4)
	v_xor_b32_e32 v14, v18, v14
	v_xor_b32_e32 v16, v19, v16
	;; [unrolled: 1-line block ×3, first 2 shown]
	s_delay_alu instid0(VALU_DEP_4) | instskip(NEXT) | instid1(VALU_DEP_1)
	v_xor_b32_e32 v15, v26, v15
	v_cmp_le_u64_e64 s3, v[14:15], v[16:17]
	s_and_b32 s13, s3, exec_lo
.LBB1132_43:
	s_or_b32 exec_lo, exec_lo, s4
	s_delay_alu instid0(SALU_CYCLE_1)
	s_or_not1_b32 s4, s13, exec_lo
.LBB1132_44:
	s_or_b32 exec_lo, exec_lo, s12
	v_dual_cndmask_b32 v14, v10, v11, s4 :: v_dual_cndmask_b32 v15, v65, v64, s4
	s_mov_b32 s12, exec_lo
	s_delay_alu instid0(VALU_DEP_1) | instskip(SKIP_1) | instid1(VALU_DEP_2)
	v_add_nc_u32_e32 v19, 1, v14
	v_lshl_add_u32 v14, v14, 3, v4
	v_add_min_u32_e64 v15, v15, -1, v19
	s_delay_alu instid0(VALU_DEP_1)
	v_lshl_add_u32 v15, v15, 3, v4
	ds_load_b64 v[16:17], v15
	ds_load_b64 v[14:15], v14 offset:8192
	v_cndmask_b32_e64 v18, v19, v10, s4
	s_wait_dscnt 0x1
	v_dual_cndmask_b32 v19, v11, v19, s4 :: v_dual_cndmask_b32 v10, v16, v22, s4
	v_cndmask_b32_e64 v11, v17, v23, s4
	v_dual_cndmask_b32 v27, v25, v17, s4 :: v_dual_cndmask_b32 v26, v24, v16, s4
	v_cmpx_lt_u32_e64 v18, v65
	s_cbranch_execz .LBB1132_48
; %bb.45:
	s_mov_b32 s13, 0
	s_mov_b32 s11, exec_lo
	v_cmpx_lt_u32_e64 v19, v64
	s_cbranch_execz .LBB1132_47
; %bb.46:
	v_add_f64_e32 v[28:29], 0, v[26:27]
	s_delay_alu instid0(VALU_DEP_1) | instskip(NEXT) | instid1(VALU_DEP_1)
	v_dual_add_f64 v[16:17], 0, v[10:11] :: v_dual_ashrrev_i32 v31, 31, v29
	v_ashrrev_i32_e32 v30, 31, v17
	s_delay_alu instid0(VALU_DEP_2) | instskip(NEXT) | instid1(VALU_DEP_2)
	v_or_b32_e32 v33, 0x80000000, v31
	v_or_b32_e32 v32, 0x80000000, v30
	s_delay_alu instid0(VALU_DEP_4) | instskip(SKIP_1) | instid1(VALU_DEP_4)
	v_xor_b32_e32 v16, v30, v16
	v_xor_b32_e32 v28, v31, v28
	;; [unrolled: 1-line block ×3, first 2 shown]
	s_delay_alu instid0(VALU_DEP_4) | instskip(NEXT) | instid1(VALU_DEP_1)
	v_xor_b32_e32 v17, v32, v17
	v_cmp_le_u64_e64 s3, v[16:17], v[28:29]
	s_and_b32 s13, s3, exec_lo
.LBB1132_47:
	s_or_b32 exec_lo, exec_lo, s11
	s_delay_alu instid0(SALU_CYCLE_1)
	s_or_not1_b32 s11, s13, exec_lo
.LBB1132_48:
	s_or_b32 exec_lo, exec_lo, s12
	v_dual_cndmask_b32 v16, v18, v19, s11 :: v_dual_cndmask_b32 v17, v65, v64, s11
	s_mov_b32 s13, -1
	s_mov_b32 s12, exec_lo
	s_delay_alu instid0(VALU_DEP_1) | instskip(SKIP_1) | instid1(VALU_DEP_2)
	v_add_nc_u32_e32 v28, 1, v16
	v_lshl_add_u32 v16, v16, 3, v4
	v_add_min_u32_e64 v17, v17, -1, v28
	s_delay_alu instid0(VALU_DEP_1)
	v_lshl_add_u32 v17, v17, 3, v4
	ds_load_b64 v[30:31], v17
	ds_load_b64 v[16:17], v16 offset:8192
	s_wait_dscnt 0x1
	v_dual_cndmask_b32 v29, v31, v11, s11 :: v_dual_cndmask_b32 v18, v28, v18, s11
	v_dual_cndmask_b32 v19, v19, v28, s11 :: v_dual_cndmask_b32 v28, v30, v10, s11
	;; [unrolled: 1-line block ×3, first 2 shown]
	s_delay_alu instid0(VALU_DEP_3)
	v_cmpx_lt_u32_e64 v18, v65
	s_cbranch_execz .LBB1132_52
; %bb.49:
	s_mov_b32 s14, 0
	s_mov_b32 s13, exec_lo
	v_cmpx_lt_u32_e64 v19, v64
	s_cbranch_execz .LBB1132_51
; %bb.50:
	v_add_f64_e32 v[34:35], 0, v[30:31]
	s_delay_alu instid0(VALU_DEP_1) | instskip(NEXT) | instid1(VALU_DEP_1)
	v_dual_add_f64 v[32:33], 0, v[28:29] :: v_dual_ashrrev_i32 v65, 31, v35
	v_ashrrev_i32_e32 v64, 31, v33
	s_delay_alu instid0(VALU_DEP_2) | instskip(NEXT) | instid1(VALU_DEP_2)
	v_or_b32_e32 v67, 0x80000000, v65
	v_or_b32_e32 v66, 0x80000000, v64
	s_delay_alu instid0(VALU_DEP_4) | instskip(SKIP_1) | instid1(VALU_DEP_4)
	v_xor_b32_e32 v32, v64, v32
	v_xor_b32_e32 v34, v65, v34
	;; [unrolled: 1-line block ×3, first 2 shown]
	s_delay_alu instid0(VALU_DEP_4) | instskip(NEXT) | instid1(VALU_DEP_1)
	v_xor_b32_e32 v33, v66, v33
	v_cmp_le_u64_e64 s3, v[32:33], v[34:35]
	s_and_b32 s14, s3, exec_lo
.LBB1132_51:
	s_or_b32 exec_lo, exec_lo, s13
	s_delay_alu instid0(SALU_CYCLE_1)
	s_or_not1_b32 s13, s14, exec_lo
.LBB1132_52:
	s_or_b32 exec_lo, exec_lo, s12
	v_dual_cndmask_b32 v18, v18, v19, s13 :: v_dual_cndmask_b32 v33, v23, v25, s4
	v_dual_cndmask_b32 v11, v11, v27, s11 :: v_dual_cndmask_b32 v10, v10, v26, s11
	;; [unrolled: 1-line block ×3, first 2 shown]
	s_delay_alu instid0(VALU_DEP_3)
	v_lshl_add_u32 v18, v18, 3, v4
	v_dual_cndmask_b32 v34, v20, v6, s10 :: v_dual_cndmask_b32 v29, v29, v31, s13
	v_cndmask_b32_e64 v28, v28, v30, s13
	ds_load_b64 v[18:19], v18 offset:8192
.LBB1132_53:
	s_or_b32 exec_lo, exec_lo, s6
	v_and_b32_e32 v22, 0x70, v55
	s_mov_b32 s4, exec_lo
	; wave barrier
	ds_store_b64 v38, v[34:35]
	ds_store_b64 v51, v[12:13]
	v_or_b32_e32 v6, 8, v22
	ds_store_b64 v39, v[32:33]
	ds_store_b64 v48, v[14:15]
	;; [unrolled: 1-line block ×3, first 2 shown]
	s_wait_dscnt 0x6
	ds_store_b64 v52, v[16:17]
	ds_store_b64 v50, v[28:29]
	s_wait_dscnt 0x7
	ds_store_b64 v53, v[18:19]
	; wave barrier
	v_min_u32_e32 v64, v1, v6
	v_and_b32_e32 v6, 12, v55
	s_delay_alu instid0(VALU_DEP_2) | instskip(NEXT) | instid1(VALU_DEP_2)
	v_add_min_u32_e64 v65, v64, 8, v1
	v_min_u32_e32 v23, v1, v6
	s_delay_alu instid0(VALU_DEP_2) | instskip(NEXT) | instid1(VALU_DEP_1)
	v_dual_sub_nc_u32 v7, v64, v22 :: v_dual_sub_nc_u32 v6, v65, v64
	v_min_u32_e32 v25, v23, v7
	s_delay_alu instid0(VALU_DEP_2) | instskip(NEXT) | instid1(VALU_DEP_1)
	v_sub_nc_u32_e64 v24, v23, v6 clamp
	v_cmpx_lt_u32_e64 v24, v25
	s_cbranch_execz .LBB1132_57
; %bb.54:
	v_dual_mov_b32 v21, 0 :: v_dual_lshlrev_b32 v20, 3, v22
	s_mov_b32 s6, 0
	s_delay_alu instid0(VALU_DEP_1) | instskip(SKIP_1) | instid1(VALU_DEP_1)
	v_add_nc_u64_e32 v[6:7], v[4:5], v[20:21]
	v_lshlrev_b32_e32 v20, 3, v64
	v_add_nc_u64_e32 v[20:21], v[4:5], v[20:21]
.LBB1132_55:                            ; =>This Inner Loop Header: Depth=1
	v_add_nc_u32_e32 v7, v25, v24
	s_delay_alu instid0(VALU_DEP_1) | instskip(NEXT) | instid1(VALU_DEP_1)
	v_lshrrev_b32_e32 v7, 1, v7
	v_xad_u32 v21, v7, -1, v23
	v_lshl_add_u32 v26, v7, 3, v6
	s_delay_alu instid0(VALU_DEP_2) | instskip(SKIP_4) | instid1(VALU_DEP_1)
	v_lshl_add_u32 v21, v21, 3, v20
	ds_load_b64 v[26:27], v26
	ds_load_b64 v[30:31], v21
	s_wait_dscnt 0x1
	v_add_f64_e32 v[26:27], 0, v[26:27]
	v_ashrrev_i32_e32 v21, 31, v27
	s_delay_alu instid0(VALU_DEP_1) | instskip(NEXT) | instid1(VALU_DEP_3)
	v_or_b32_e32 v67, 0x80000000, v21
	v_dual_add_nc_u32 v21, 1, v7 :: v_dual_bitop2_b32 v26, v21, v26 bitop3:0x14
	s_wait_dscnt 0x0
	v_add_f64_e32 v[30:31], 0, v[30:31]
	s_delay_alu instid0(VALU_DEP_3) | instskip(NEXT) | instid1(VALU_DEP_2)
	v_xor_b32_e32 v27, v67, v27
	v_ashrrev_i32_e32 v66, 31, v31
	s_delay_alu instid0(VALU_DEP_1) | instskip(NEXT) | instid1(VALU_DEP_1)
	v_or_b32_e32 v68, 0x80000000, v66
	v_xor_b32_e32 v31, v68, v31
	v_xor_b32_e32 v30, v66, v30
	s_delay_alu instid0(VALU_DEP_1) | instskip(NEXT) | instid1(VALU_DEP_1)
	v_cmp_gt_u64_e64 s3, v[30:31], v[26:27]
	v_cndmask_b32_e64 v25, v25, v7, s3
	v_cndmask_b32_e64 v24, v21, v24, s3
	s_delay_alu instid0(VALU_DEP_1) | instskip(SKIP_1) | instid1(SALU_CYCLE_1)
	v_cmp_ge_u32_e64 s3, v24, v25
	s_or_b32 s6, s3, s6
	s_and_not1_b32 exec_lo, exec_lo, s6
	s_cbranch_execnz .LBB1132_55
; %bb.56:
	s_or_b32 exec_lo, exec_lo, s6
.LBB1132_57:
	s_delay_alu instid0(SALU_CYCLE_1) | instskip(SKIP_1) | instid1(VALU_DEP_1)
	s_or_b32 exec_lo, exec_lo, s4
	v_add_nc_u32_e32 v6, v64, v23
	v_dual_add_nc_u32 v22, v24, v22 :: v_dual_sub_nc_u32 v23, v6, v24
	s_delay_alu instid0(VALU_DEP_1) | instskip(NEXT) | instid1(VALU_DEP_2)
	v_cmp_le_u32_e64 s3, v22, v64
	v_cmp_le_u32_e64 s4, v23, v65
	s_or_b32 s3, s3, s4
	s_delay_alu instid0(SALU_CYCLE_1)
	s_and_saveexec_b32 s6, s3
	s_cbranch_execz .LBB1132_77
; %bb.58:
	v_cmp_ge_u32_e64 s3, v22, v64
	s_mov_b32 s10, exec_lo
                                        ; implicit-def: $vgpr6_vgpr7
	v_cmpx_lt_u32_e64 v22, v64
; %bb.59:
	v_lshl_add_u32 v6, v22, 3, v4
	ds_load_b64 v[6:7], v6
; %bb.60:
	s_or_b32 exec_lo, exec_lo, s10
	v_cmp_ge_u32_e64 s10, v23, v65
	s_mov_b32 s11, exec_lo
                                        ; implicit-def: $vgpr20_vgpr21
	v_cmpx_lt_u32_e64 v23, v65
; %bb.61:
	v_lshl_add_u32 v10, v23, 3, v4
	ds_load_b64 v[20:21], v10
; %bb.62:
	s_or_b32 exec_lo, exec_lo, s11
	s_nor_b32 s3, s3, s10
	s_delay_alu instid0(SALU_CYCLE_1)
	s_and_saveexec_b32 s4, s3
	s_cbranch_execz .LBB1132_64
; %bb.63:
	s_wait_dscnt 0x0
	v_add_f64_e32 v[10:11], 0, v[20:21]
	v_add_f64_e32 v[12:13], 0, v[6:7]
	s_and_not1_b32 s10, s10, exec_lo
	s_delay_alu instid0(VALU_DEP_1) | instskip(NEXT) | instid1(VALU_DEP_1)
	v_dual_ashrrev_i32 v14, 31, v11 :: v_dual_ashrrev_i32 v15, 31, v13
	v_or_b32_e32 v16, 0x80000000, v14
	s_delay_alu instid0(VALU_DEP_2) | instskip(SKIP_2) | instid1(VALU_DEP_4)
	v_or_b32_e32 v17, 0x80000000, v15
	v_xor_b32_e32 v10, v14, v10
	v_xor_b32_e32 v12, v15, v12
	;; [unrolled: 1-line block ×3, first 2 shown]
	s_delay_alu instid0(VALU_DEP_4) | instskip(NEXT) | instid1(VALU_DEP_1)
	v_xor_b32_e32 v13, v17, v13
	v_cmp_le_u64_e64 s3, v[10:11], v[12:13]
	s_and_b32 s3, s3, exec_lo
	s_delay_alu instid0(SALU_CYCLE_1)
	s_or_b32 s10, s10, s3
.LBB1132_64:
	s_or_b32 exec_lo, exec_lo, s4
	v_dual_cndmask_b32 v10, v23, v22, s10 :: v_dual_cndmask_b32 v11, v65, v64, s10
	s_mov_b32 s11, -1
	s_mov_b32 s4, -1
	s_mov_b32 s12, exec_lo
	s_delay_alu instid0(VALU_DEP_1) | instskip(SKIP_1) | instid1(VALU_DEP_2)
	v_add_nc_u32_e32 v16, 1, v10
	v_lshl_add_u32 v10, v10, 3, v4
	v_add_min_u32_e64 v11, v11, -1, v16
	ds_load_b64 v[12:13], v10 offset:8192
	v_cndmask_b32_e64 v10, v16, v23, s10
	v_lshl_add_u32 v11, v11, 3, v4
	ds_load_b64 v[14:15], v11
	s_wait_dscnt 0x0
	v_dual_cndmask_b32 v23, v15, v21, s10 :: v_dual_cndmask_b32 v11, v22, v16, s10
	v_dual_cndmask_b32 v22, v14, v20, s10 :: v_dual_cndmask_b32 v25, v7, v15, s10
	v_cndmask_b32_e64 v24, v6, v14, s10
	v_cmpx_lt_u32_e64 v10, v65
	s_cbranch_execz .LBB1132_68
; %bb.65:
	s_mov_b32 s13, 0
	s_mov_b32 s4, exec_lo
	v_cmpx_lt_u32_e64 v11, v64
	s_cbranch_execz .LBB1132_67
; %bb.66:
	v_add_f64_e32 v[16:17], 0, v[24:25]
	s_delay_alu instid0(VALU_DEP_1) | instskip(NEXT) | instid1(VALU_DEP_1)
	v_dual_add_f64 v[14:15], 0, v[22:23] :: v_dual_ashrrev_i32 v19, 31, v17
	v_ashrrev_i32_e32 v18, 31, v15
	s_delay_alu instid0(VALU_DEP_2) | instskip(NEXT) | instid1(VALU_DEP_2)
	v_or_b32_e32 v27, 0x80000000, v19
	v_or_b32_e32 v26, 0x80000000, v18
	s_delay_alu instid0(VALU_DEP_4) | instskip(SKIP_1) | instid1(VALU_DEP_4)
	v_xor_b32_e32 v14, v18, v14
	v_xor_b32_e32 v16, v19, v16
	v_xor_b32_e32 v17, v27, v17
	s_delay_alu instid0(VALU_DEP_4) | instskip(NEXT) | instid1(VALU_DEP_1)
	v_xor_b32_e32 v15, v26, v15
	v_cmp_le_u64_e64 s3, v[14:15], v[16:17]
	s_and_b32 s13, s3, exec_lo
.LBB1132_67:
	s_or_b32 exec_lo, exec_lo, s4
	s_delay_alu instid0(SALU_CYCLE_1)
	s_or_not1_b32 s4, s13, exec_lo
.LBB1132_68:
	s_or_b32 exec_lo, exec_lo, s12
	v_dual_cndmask_b32 v14, v10, v11, s4 :: v_dual_cndmask_b32 v15, v65, v64, s4
	s_mov_b32 s12, exec_lo
	s_delay_alu instid0(VALU_DEP_1) | instskip(SKIP_1) | instid1(VALU_DEP_2)
	v_add_nc_u32_e32 v19, 1, v14
	v_lshl_add_u32 v14, v14, 3, v4
	v_add_min_u32_e64 v15, v15, -1, v19
	s_delay_alu instid0(VALU_DEP_1)
	v_lshl_add_u32 v15, v15, 3, v4
	ds_load_b64 v[16:17], v15
	ds_load_b64 v[14:15], v14 offset:8192
	v_cndmask_b32_e64 v18, v19, v10, s4
	s_wait_dscnt 0x1
	v_dual_cndmask_b32 v19, v11, v19, s4 :: v_dual_cndmask_b32 v10, v16, v22, s4
	v_cndmask_b32_e64 v11, v17, v23, s4
	v_dual_cndmask_b32 v27, v25, v17, s4 :: v_dual_cndmask_b32 v26, v24, v16, s4
	v_cmpx_lt_u32_e64 v18, v65
	s_cbranch_execz .LBB1132_72
; %bb.69:
	s_mov_b32 s13, 0
	s_mov_b32 s11, exec_lo
	v_cmpx_lt_u32_e64 v19, v64
	s_cbranch_execz .LBB1132_71
; %bb.70:
	v_add_f64_e32 v[28:29], 0, v[26:27]
	s_delay_alu instid0(VALU_DEP_1) | instskip(NEXT) | instid1(VALU_DEP_1)
	v_dual_add_f64 v[16:17], 0, v[10:11] :: v_dual_ashrrev_i32 v31, 31, v29
	v_ashrrev_i32_e32 v30, 31, v17
	s_delay_alu instid0(VALU_DEP_2) | instskip(NEXT) | instid1(VALU_DEP_2)
	v_or_b32_e32 v33, 0x80000000, v31
	v_or_b32_e32 v32, 0x80000000, v30
	s_delay_alu instid0(VALU_DEP_4) | instskip(SKIP_1) | instid1(VALU_DEP_4)
	v_xor_b32_e32 v16, v30, v16
	v_xor_b32_e32 v28, v31, v28
	;; [unrolled: 1-line block ×3, first 2 shown]
	s_delay_alu instid0(VALU_DEP_4) | instskip(NEXT) | instid1(VALU_DEP_1)
	v_xor_b32_e32 v17, v32, v17
	v_cmp_le_u64_e64 s3, v[16:17], v[28:29]
	s_and_b32 s13, s3, exec_lo
.LBB1132_71:
	s_or_b32 exec_lo, exec_lo, s11
	s_delay_alu instid0(SALU_CYCLE_1)
	s_or_not1_b32 s11, s13, exec_lo
.LBB1132_72:
	s_or_b32 exec_lo, exec_lo, s12
	v_dual_cndmask_b32 v16, v18, v19, s11 :: v_dual_cndmask_b32 v17, v65, v64, s11
	s_mov_b32 s13, -1
	s_mov_b32 s12, exec_lo
	s_delay_alu instid0(VALU_DEP_1) | instskip(SKIP_1) | instid1(VALU_DEP_2)
	v_add_nc_u32_e32 v28, 1, v16
	v_lshl_add_u32 v16, v16, 3, v4
	v_add_min_u32_e64 v17, v17, -1, v28
	s_delay_alu instid0(VALU_DEP_1)
	v_lshl_add_u32 v17, v17, 3, v4
	ds_load_b64 v[30:31], v17
	ds_load_b64 v[16:17], v16 offset:8192
	s_wait_dscnt 0x1
	v_dual_cndmask_b32 v29, v31, v11, s11 :: v_dual_cndmask_b32 v18, v28, v18, s11
	v_dual_cndmask_b32 v19, v19, v28, s11 :: v_dual_cndmask_b32 v28, v30, v10, s11
	;; [unrolled: 1-line block ×3, first 2 shown]
	s_delay_alu instid0(VALU_DEP_3)
	v_cmpx_lt_u32_e64 v18, v65
	s_cbranch_execz .LBB1132_76
; %bb.73:
	s_mov_b32 s14, 0
	s_mov_b32 s13, exec_lo
	v_cmpx_lt_u32_e64 v19, v64
	s_cbranch_execz .LBB1132_75
; %bb.74:
	v_add_f64_e32 v[34:35], 0, v[30:31]
	s_delay_alu instid0(VALU_DEP_1) | instskip(NEXT) | instid1(VALU_DEP_1)
	v_dual_add_f64 v[32:33], 0, v[28:29] :: v_dual_ashrrev_i32 v65, 31, v35
	v_ashrrev_i32_e32 v64, 31, v33
	s_delay_alu instid0(VALU_DEP_2) | instskip(NEXT) | instid1(VALU_DEP_2)
	v_or_b32_e32 v67, 0x80000000, v65
	v_or_b32_e32 v66, 0x80000000, v64
	s_delay_alu instid0(VALU_DEP_4) | instskip(SKIP_1) | instid1(VALU_DEP_4)
	v_xor_b32_e32 v32, v64, v32
	v_xor_b32_e32 v34, v65, v34
	;; [unrolled: 1-line block ×3, first 2 shown]
	s_delay_alu instid0(VALU_DEP_4) | instskip(NEXT) | instid1(VALU_DEP_1)
	v_xor_b32_e32 v33, v66, v33
	v_cmp_le_u64_e64 s3, v[32:33], v[34:35]
	s_and_b32 s14, s3, exec_lo
.LBB1132_75:
	s_or_b32 exec_lo, exec_lo, s13
	s_delay_alu instid0(SALU_CYCLE_1)
	s_or_not1_b32 s13, s14, exec_lo
.LBB1132_76:
	s_or_b32 exec_lo, exec_lo, s12
	v_dual_cndmask_b32 v18, v18, v19, s13 :: v_dual_cndmask_b32 v33, v23, v25, s4
	v_dual_cndmask_b32 v11, v11, v27, s11 :: v_dual_cndmask_b32 v10, v10, v26, s11
	;; [unrolled: 1-line block ×3, first 2 shown]
	s_delay_alu instid0(VALU_DEP_3)
	v_lshl_add_u32 v18, v18, 3, v4
	v_dual_cndmask_b32 v34, v20, v6, s10 :: v_dual_cndmask_b32 v29, v29, v31, s13
	v_cndmask_b32_e64 v28, v28, v30, s13
	ds_load_b64 v[18:19], v18 offset:8192
.LBB1132_77:
	s_or_b32 exec_lo, exec_lo, s6
	v_and_b32_e32 v22, 0x60, v55
	s_mov_b32 s4, exec_lo
	; wave barrier
	ds_store_b64 v38, v[34:35]
	ds_store_b64 v51, v[12:13]
	v_or_b32_e32 v6, 16, v22
	ds_store_b64 v39, v[32:33]
	ds_store_b64 v48, v[14:15]
	;; [unrolled: 1-line block ×3, first 2 shown]
	s_wait_dscnt 0x6
	ds_store_b64 v52, v[16:17]
	ds_store_b64 v50, v[28:29]
	s_wait_dscnt 0x7
	ds_store_b64 v53, v[18:19]
	; wave barrier
	v_min_u32_e32 v55, v1, v6
	s_delay_alu instid0(VALU_DEP_1) | instskip(SKIP_1) | instid1(VALU_DEP_2)
	v_add_min_u32_e64 v64, v55, 16, v1
	v_min_u32_e32 v1, v1, v54
	v_dual_sub_nc_u32 v7, v55, v22 :: v_dual_sub_nc_u32 v6, v64, v55
	s_delay_alu instid0(VALU_DEP_1) | instskip(NEXT) | instid1(VALU_DEP_2)
	v_min_u32_e32 v24, v1, v7
	v_sub_nc_u32_e64 v23, v1, v6 clamp
	s_delay_alu instid0(VALU_DEP_1)
	v_cmpx_lt_u32_e64 v23, v24
	s_cbranch_execz .LBB1132_81
; %bb.78:
	v_dual_mov_b32 v21, 0 :: v_dual_lshlrev_b32 v20, 3, v22
	s_mov_b32 s6, 0
	s_delay_alu instid0(VALU_DEP_1) | instskip(SKIP_1) | instid1(VALU_DEP_1)
	v_add_nc_u64_e32 v[6:7], v[4:5], v[20:21]
	v_lshlrev_b32_e32 v20, 3, v55
	v_add_nc_u64_e32 v[20:21], v[4:5], v[20:21]
.LBB1132_79:                            ; =>This Inner Loop Header: Depth=1
	v_add_nc_u32_e32 v5, v24, v23
	s_delay_alu instid0(VALU_DEP_1) | instskip(NEXT) | instid1(VALU_DEP_1)
	v_lshrrev_b32_e32 v5, 1, v5
	v_xad_u32 v7, v5, -1, v1
	v_lshl_add_u32 v21, v5, 3, v6
	s_delay_alu instid0(VALU_DEP_2)
	v_lshl_add_u32 v7, v7, 3, v20
	ds_load_b64 v[26:27], v21
	ds_load_b64 v[30:31], v7
	s_wait_dscnt 0x1
	v_add_f64_e32 v[26:27], 0, v[26:27]
	s_wait_dscnt 0x0
	v_add_f64_e32 v[30:31], 0, v[30:31]
	s_delay_alu instid0(VALU_DEP_2) | instskip(NEXT) | instid1(VALU_DEP_1)
	v_ashrrev_i32_e32 v7, 31, v27
	v_or_b32_e32 v25, 0x80000000, v7
	s_delay_alu instid0(VALU_DEP_4) | instskip(NEXT) | instid1(VALU_DEP_4)
	v_dual_add_nc_u32 v7, 1, v5 :: v_dual_bitop2_b32 v26, v7, v26 bitop3:0x14
	v_ashrrev_i32_e32 v21, 31, v31
	s_delay_alu instid0(VALU_DEP_3) | instskip(NEXT) | instid1(VALU_DEP_2)
	v_xor_b32_e32 v27, v25, v27
	v_or_b32_e32 v38, 0x80000000, v21
	s_delay_alu instid0(VALU_DEP_1) | instskip(SKIP_1) | instid1(VALU_DEP_1)
	v_xor_b32_e32 v31, v38, v31
	v_xor_b32_e32 v30, v21, v30
	v_cmp_gt_u64_e64 s3, v[30:31], v[26:27]
	s_delay_alu instid0(VALU_DEP_1) | instskip(NEXT) | instid1(VALU_DEP_1)
	v_dual_cndmask_b32 v24, v24, v5, s3 :: v_dual_cndmask_b32 v23, v7, v23, s3
	v_cmp_ge_u32_e64 s3, v23, v24
	s_or_b32 s6, s3, s6
	s_delay_alu instid0(SALU_CYCLE_1)
	s_and_not1_b32 exec_lo, exec_lo, s6
	s_cbranch_execnz .LBB1132_79
; %bb.80:
	s_or_b32 exec_lo, exec_lo, s6
.LBB1132_81:
	s_delay_alu instid0(SALU_CYCLE_1) | instskip(SKIP_1) | instid1(VALU_DEP_1)
	s_or_b32 exec_lo, exec_lo, s4
	v_add_nc_u32_e32 v5, v55, v1
	v_dual_add_nc_u32 v1, v23, v22 :: v_dual_sub_nc_u32 v5, v5, v23
	s_delay_alu instid0(VALU_DEP_1) | instskip(NEXT) | instid1(VALU_DEP_2)
	v_cmp_le_u32_e64 s3, v1, v55
	v_cmp_le_u32_e64 s4, v5, v64
	s_or_b32 s3, s3, s4
	s_delay_alu instid0(SALU_CYCLE_1)
	s_and_saveexec_b32 s6, s3
	s_cbranch_execz .LBB1132_101
; %bb.82:
	v_cmp_ge_u32_e64 s3, v1, v55
	s_mov_b32 s10, exec_lo
                                        ; implicit-def: $vgpr6_vgpr7
	v_cmpx_lt_u32_e64 v1, v55
; %bb.83:
	v_lshl_add_u32 v6, v1, 3, v4
	ds_load_b64 v[6:7], v6
; %bb.84:
	s_or_b32 exec_lo, exec_lo, s10
	v_cmp_ge_u32_e64 s10, v5, v64
	s_mov_b32 s11, exec_lo
                                        ; implicit-def: $vgpr20_vgpr21
	v_cmpx_lt_u32_e64 v5, v64
; %bb.85:
	v_lshl_add_u32 v10, v5, 3, v4
	ds_load_b64 v[20:21], v10
; %bb.86:
	s_or_b32 exec_lo, exec_lo, s11
	s_nor_b32 s3, s3, s10
	s_delay_alu instid0(SALU_CYCLE_1)
	s_and_saveexec_b32 s4, s3
	s_cbranch_execz .LBB1132_88
; %bb.87:
	s_wait_dscnt 0x0
	v_add_f64_e32 v[10:11], 0, v[20:21]
	v_add_f64_e32 v[12:13], 0, v[6:7]
	s_and_not1_b32 s10, s10, exec_lo
	s_delay_alu instid0(VALU_DEP_1) | instskip(NEXT) | instid1(VALU_DEP_1)
	v_dual_ashrrev_i32 v14, 31, v11 :: v_dual_ashrrev_i32 v15, 31, v13
	v_or_b32_e32 v16, 0x80000000, v14
	s_delay_alu instid0(VALU_DEP_2) | instskip(SKIP_2) | instid1(VALU_DEP_4)
	v_or_b32_e32 v17, 0x80000000, v15
	v_xor_b32_e32 v10, v14, v10
	v_xor_b32_e32 v12, v15, v12
	v_xor_b32_e32 v11, v16, v11
	s_delay_alu instid0(VALU_DEP_4) | instskip(NEXT) | instid1(VALU_DEP_1)
	v_xor_b32_e32 v13, v17, v13
	v_cmp_le_u64_e64 s3, v[10:11], v[12:13]
	s_and_b32 s3, s3, exec_lo
	s_delay_alu instid0(SALU_CYCLE_1)
	s_or_b32 s10, s10, s3
.LBB1132_88:
	s_or_b32 exec_lo, exec_lo, s4
	v_dual_cndmask_b32 v12, v5, v1, s10 :: v_dual_cndmask_b32 v10, v64, v55, s10
	s_mov_b32 s11, -1
	s_mov_b32 s4, -1
	s_mov_b32 s12, exec_lo
	s_delay_alu instid0(VALU_DEP_1) | instskip(SKIP_1) | instid1(VALU_DEP_2)
	v_add_nc_u32_e32 v14, 1, v12
	v_lshl_add_u32 v12, v12, 3, v4
	v_add_min_u32_e64 v10, v10, -1, v14
	ds_load_b64 v[12:13], v12 offset:8192
	v_lshl_add_u32 v10, v10, 3, v4
	ds_load_b64 v[10:11], v10
	s_wait_dscnt 0x0
	v_cndmask_b32_e64 v23, v11, v21, s10
	v_dual_cndmask_b32 v5, v14, v5, s10 :: v_dual_cndmask_b32 v1, v1, v14, s10
	v_dual_cndmask_b32 v22, v10, v20, s10 :: v_dual_cndmask_b32 v25, v7, v11, s10
	v_cndmask_b32_e64 v24, v6, v10, s10
	s_delay_alu instid0(VALU_DEP_3)
	v_cmpx_lt_u32_e64 v5, v64
	s_cbranch_execz .LBB1132_92
; %bb.89:
	s_mov_b32 s13, 0
	s_mov_b32 s4, exec_lo
	v_cmpx_lt_u32_e64 v1, v55
	s_cbranch_execz .LBB1132_91
; %bb.90:
	v_add_f64_e32 v[10:11], 0, v[22:23]
	s_delay_alu instid0(VALU_DEP_1) | instskip(NEXT) | instid1(VALU_DEP_1)
	v_dual_add_f64 v[14:15], 0, v[24:25] :: v_dual_ashrrev_i32 v16, 31, v11
	v_dual_ashrrev_i32 v17, 31, v15 :: v_dual_bitop2_b32 v10, v16, v10 bitop3:0x14
	v_or_b32_e32 v18, 0x80000000, v16
	s_delay_alu instid0(VALU_DEP_2) | instskip(NEXT) | instid1(VALU_DEP_4)
	v_or_b32_e32 v19, 0x80000000, v17
	v_xor_b32_e32 v14, v17, v14
	s_delay_alu instid0(VALU_DEP_3) | instskip(NEXT) | instid1(VALU_DEP_3)
	v_xor_b32_e32 v11, v18, v11
	v_xor_b32_e32 v15, v19, v15
	s_delay_alu instid0(VALU_DEP_1)
	v_cmp_le_u64_e64 s3, v[10:11], v[14:15]
	s_and_b32 s13, s3, exec_lo
.LBB1132_91:
	s_or_b32 exec_lo, exec_lo, s4
	s_delay_alu instid0(SALU_CYCLE_1)
	s_or_not1_b32 s4, s13, exec_lo
.LBB1132_92:
	s_or_b32 exec_lo, exec_lo, s12
	v_dual_cndmask_b32 v10, v5, v1, s4 :: v_dual_cndmask_b32 v11, v64, v55, s4
	s_mov_b32 s12, exec_lo
	s_delay_alu instid0(VALU_DEP_1) | instskip(SKIP_1) | instid1(VALU_DEP_2)
	v_add_nc_u32_e32 v18, 1, v10
	v_lshl_add_u32 v10, v10, 3, v4
	v_add_min_u32_e64 v11, v11, -1, v18
	ds_load_b64 v[14:15], v10 offset:8192
	v_lshl_add_u32 v11, v11, 3, v4
	ds_load_b64 v[16:17], v11
	s_wait_dscnt 0x0
	v_dual_cndmask_b32 v11, v17, v23, s4 :: v_dual_cndmask_b32 v5, v18, v5, s4
	v_cndmask_b32_e64 v1, v1, v18, s4
	v_dual_cndmask_b32 v10, v16, v22, s4 :: v_dual_cndmask_b32 v27, v25, v17, s4
	v_cndmask_b32_e64 v26, v24, v16, s4
	s_delay_alu instid0(VALU_DEP_4)
	v_cmpx_lt_u32_e64 v5, v64
	s_cbranch_execz .LBB1132_96
; %bb.93:
	s_mov_b32 s13, 0
	s_mov_b32 s11, exec_lo
	v_cmpx_lt_u32_e64 v1, v55
	s_cbranch_execz .LBB1132_95
; %bb.94:
	v_add_f64_e32 v[16:17], 0, v[10:11]
	s_delay_alu instid0(VALU_DEP_1) | instskip(NEXT) | instid1(VALU_DEP_1)
	v_dual_add_f64 v[18:19], 0, v[26:27] :: v_dual_ashrrev_i32 v28, 31, v17
	v_dual_ashrrev_i32 v29, 31, v19 :: v_dual_bitop2_b32 v16, v28, v16 bitop3:0x14
	v_or_b32_e32 v30, 0x80000000, v28
	s_delay_alu instid0(VALU_DEP_2) | instskip(NEXT) | instid1(VALU_DEP_4)
	v_or_b32_e32 v31, 0x80000000, v29
	v_xor_b32_e32 v18, v29, v18
	s_delay_alu instid0(VALU_DEP_3) | instskip(NEXT) | instid1(VALU_DEP_3)
	v_xor_b32_e32 v17, v30, v17
	v_xor_b32_e32 v19, v31, v19
	s_delay_alu instid0(VALU_DEP_1)
	v_cmp_le_u64_e64 s3, v[16:17], v[18:19]
	s_and_b32 s13, s3, exec_lo
.LBB1132_95:
	s_or_b32 exec_lo, exec_lo, s11
	s_delay_alu instid0(SALU_CYCLE_1)
	s_or_not1_b32 s11, s13, exec_lo
.LBB1132_96:
	s_or_b32 exec_lo, exec_lo, s12
	v_dual_cndmask_b32 v16, v5, v1, s11 :: v_dual_cndmask_b32 v17, v64, v55, s11
	s_mov_b32 s13, -1
	s_mov_b32 s12, exec_lo
	s_delay_alu instid0(VALU_DEP_1) | instskip(SKIP_1) | instid1(VALU_DEP_2)
	v_add_nc_u32_e32 v28, 1, v16
	v_lshl_add_u32 v16, v16, 3, v4
	v_add_min_u32_e64 v17, v17, -1, v28
	s_delay_alu instid0(VALU_DEP_1)
	v_lshl_add_u32 v17, v17, 3, v4
	ds_load_b64 v[18:19], v17
	ds_load_b64 v[16:17], v16 offset:8192
	s_wait_dscnt 0x1
	v_dual_cndmask_b32 v29, v19, v11, s11 :: v_dual_cndmask_b32 v5, v28, v5, s11
	v_dual_cndmask_b32 v1, v1, v28, s11 :: v_dual_cndmask_b32 v28, v18, v10, s11
	v_dual_cndmask_b32 v31, v27, v19, s11 :: v_dual_cndmask_b32 v30, v26, v18, s11
	s_delay_alu instid0(VALU_DEP_3)
	v_cmpx_lt_u32_e64 v5, v64
	s_cbranch_execz .LBB1132_100
; %bb.97:
	s_mov_b32 s14, 0
	s_mov_b32 s13, exec_lo
	v_cmpx_lt_u32_e64 v1, v55
	s_cbranch_execz .LBB1132_99
; %bb.98:
	v_add_f64_e32 v[18:19], 0, v[28:29]
	v_add_f64_e32 v[32:33], 0, v[30:31]
	s_delay_alu instid0(VALU_DEP_1) | instskip(NEXT) | instid1(VALU_DEP_1)
	v_dual_ashrrev_i32 v34, 31, v19 :: v_dual_ashrrev_i32 v35, 31, v33
	v_or_b32_e32 v38, 0x80000000, v34
	s_delay_alu instid0(VALU_DEP_2) | instskip(SKIP_2) | instid1(VALU_DEP_4)
	v_or_b32_e32 v39, 0x80000000, v35
	v_xor_b32_e32 v18, v34, v18
	v_xor_b32_e32 v32, v35, v32
	;; [unrolled: 1-line block ×3, first 2 shown]
	s_delay_alu instid0(VALU_DEP_4) | instskip(NEXT) | instid1(VALU_DEP_1)
	v_xor_b32_e32 v33, v39, v33
	v_cmp_le_u64_e64 s3, v[18:19], v[32:33]
	s_and_b32 s14, s3, exec_lo
.LBB1132_99:
	s_or_b32 exec_lo, exec_lo, s13
	s_delay_alu instid0(SALU_CYCLE_1)
	s_or_not1_b32 s13, s14, exec_lo
.LBB1132_100:
	s_or_b32 exec_lo, exec_lo, s12
	v_dual_cndmask_b32 v1, v5, v1, s13 :: v_dual_cndmask_b32 v11, v11, v27, s11
	v_dual_cndmask_b32 v10, v10, v26, s11 :: v_dual_cndmask_b32 v33, v23, v25, s4
	;; [unrolled: 1-line block ×3, first 2 shown]
	s_delay_alu instid0(VALU_DEP_3)
	v_lshl_add_u32 v1, v1, 3, v4
	v_dual_cndmask_b32 v34, v20, v6, s10 :: v_dual_cndmask_b32 v29, v29, v31, s13
	v_cndmask_b32_e64 v28, v28, v30, s13
	ds_load_b64 v[18:19], v1 offset:8192
.LBB1132_101:
	s_or_b32 exec_lo, exec_lo, s6
	v_lshl_add_u64 v[2:3], v[36:37], 3, v[2:3]
	v_mov_b32_e32 v1, 0
	; wave barrier
	s_wait_storecnt_dscnt 0x0
	s_barrier_signal -1
	s_delay_alu instid0(VALU_DEP_1)
	v_add_nc_u64_e32 v[2:3], v[2:3], v[0:1]
	s_barrier_wait -1
	; wave barrier
	s_and_saveexec_b32 s3, vcc_lo
	s_cbranch_execnz .LBB1132_222
; %bb.102:
	s_or_b32 exec_lo, exec_lo, s3
	s_and_saveexec_b32 s3, s0
	s_cbranch_execnz .LBB1132_223
.LBB1132_103:
	s_or_b32 exec_lo, exec_lo, s3
	s_and_saveexec_b32 s3, s1
	s_cbranch_execnz .LBB1132_224
.LBB1132_104:
	s_or_b32 exec_lo, exec_lo, s3
	s_and_saveexec_b32 s3, s2
	s_cbranch_execz .LBB1132_106
.LBB1132_105:
	flat_store_b64 v[2:3], v[28:29] offset:24
.LBB1132_106:
	s_wait_xcnt 0x0
	s_or_b32 exec_lo, exec_lo, s3
	v_lshl_add_u64 v[2:3], v[36:37], 3, v[8:9]
	v_mov_b32_e32 v1, 0
	; wave barrier
	s_delay_alu instid0(VALU_DEP_1)
	v_add_nc_u64_e32 v[2:3], v[2:3], v[0:1]
	s_and_saveexec_b32 s3, vcc_lo
	s_cbranch_execnz .LBB1132_225
; %bb.107:
	s_or_b32 exec_lo, exec_lo, s3
	s_and_saveexec_b32 s3, s0
	s_cbranch_execnz .LBB1132_226
.LBB1132_108:
	s_or_b32 exec_lo, exec_lo, s3
	s_and_saveexec_b32 s0, s1
	s_cbranch_execz .LBB1132_110
.LBB1132_109:
	flat_store_b64 v[2:3], v[16:17] offset:16
.LBB1132_110:
	s_wait_xcnt 0x0
	s_or_b32 exec_lo, exec_lo, s0
	s_delay_alu instid0(SALU_CYCLE_1)
	s_and_b32 s6, s2, exec_lo
                                        ; implicit-def: $vgpr22
                                        ; implicit-def: $vgpr55
                                        ; implicit-def: $vgpr20_vgpr21
                                        ; implicit-def: $vgpr4
                                        ; implicit-def: $vgpr10
                                        ; implicit-def: $vgpr54
                                        ; implicit-def: $vgpr31
                                        ; implicit-def: $vgpr6_vgpr7
                                        ; implicit-def: $vgpr38_vgpr39
	s_and_not1_saveexec_b32 s7, s7
	s_cbranch_execz .LBB1132_2
.LBB1132_111:
	v_mov_b64_e32 v[48:49], -1
	v_mov_b64_e32 v[50:51], -1
	s_and_saveexec_b32 s0, vcc_lo
	s_cbranch_execz .LBB1132_113
; %bb.112:
	flat_load_b64 v[50:51], v[20:21]
.LBB1132_113:
	s_wait_xcnt 0x0
	s_or_b32 exec_lo, exec_lo, s0
	v_or_b32_e32 v1, 1, v54
	s_delay_alu instid0(VALU_DEP_1)
	v_cmp_lt_u32_e64 s0, v1, v22
	s_and_saveexec_b32 s1, s0
	s_cbranch_execz .LBB1132_115
; %bb.114:
	flat_load_b64 v[48:49], v[20:21] offset:8
.LBB1132_115:
	s_wait_xcnt 0x0
	s_or_b32 exec_lo, exec_lo, s1
	v_or_b32_e32 v1, 2, v54
	v_mov_b64_e32 v[8:9], -1
	v_mov_b64_e32 v[26:27], -1
	s_delay_alu instid0(VALU_DEP_3)
	v_cmp_lt_u32_e64 s2, v1, v22
	s_and_saveexec_b32 s1, s2
	s_cbranch_execz .LBB1132_117
; %bb.116:
	flat_load_b64 v[26:27], v[20:21] offset:16
.LBB1132_117:
	s_wait_xcnt 0x0
	s_or_b32 exec_lo, exec_lo, s1
	v_or_b32_e32 v1, 3, v54
	s_delay_alu instid0(VALU_DEP_1)
	v_cmp_lt_u32_e64 s1, v1, v22
	s_and_saveexec_b32 s3, s1
	s_cbranch_execz .LBB1132_119
; %bb.118:
	flat_load_b64 v[8:9], v[20:21] offset:24
.LBB1132_119:
	s_wait_xcnt 0x0
	s_or_b32 exec_lo, exec_lo, s3
	v_lshl_add_u64 v[2:3], v[36:37], 3, v[6:7]
	v_mov_b32_e32 v1, 0
	; wave barrier
	s_delay_alu instid0(VALU_DEP_1)
	v_add_nc_u64_e32 v[2:3], v[2:3], v[0:1]
	v_dual_mov_b32 v12, v1 :: v_dual_mov_b32 v13, v1
	v_dual_mov_b32 v14, v1 :: v_dual_mov_b32 v15, v1
	;; [unrolled: 1-line block ×4, first 2 shown]
	s_and_saveexec_b32 s3, vcc_lo
	s_cbranch_execnz .LBB1132_227
; %bb.120:
	s_or_b32 exec_lo, exec_lo, s3
	s_and_saveexec_b32 s3, s0
	s_cbranch_execnz .LBB1132_228
.LBB1132_121:
	s_or_b32 exec_lo, exec_lo, s3
	s_and_saveexec_b32 s3, s2
	s_cbranch_execnz .LBB1132_229
.LBB1132_122:
	s_or_b32 exec_lo, exec_lo, s3
	s_and_saveexec_b32 s3, s1
	s_cbranch_execz .LBB1132_124
.LBB1132_123:
	flat_load_b64 v[18:19], v[2:3] offset:24
.LBB1132_124:
	s_wait_xcnt 0x0
	s_or_b32 exec_lo, exec_lo, s3
	; wave barrier
	s_load_b64 s[10:11], s[8:9], 0x0
	s_bfe_u32 s4, ttmp6, 0x4000c
	s_bfe_u32 s13, ttmp6, 0x40010
	s_and_b32 s12, ttmp7, 0xffff
	s_add_co_i32 s4, s4, 1
	s_add_co_i32 s13, s13, 1
	s_and_b32 s3, ttmp6, 15
	s_bfe_u32 s14, ttmp6, 0x40004
	s_mul_i32 s4, ttmp9, s4
	s_mul_i32 s13, s12, s13
	s_add_co_i32 s3, s3, s4
	s_add_co_i32 s14, s14, s13
	s_cmp_eq_u32 s5, 0
	v_bfe_u32 v1, v31, 10, 10
	s_cselect_b32 s3, ttmp9, s3
	s_cselect_b32 s5, s12, s14
	v_bfe_u32 v2, v31, 20, 10
	s_wait_kmcnt 0x0
	s_cmp_lt_u32 s3, s10
	s_cselect_b32 s4, 12, 18
	s_cmp_lt_u32 s5, s11
	s_mov_b32 s5, 0
	s_cselect_b32 s10, 14, 20
	s_mov_b32 s11, s5
	s_add_nc_u64 s[4:5], s[8:9], s[4:5]
	s_add_nc_u64 s[10:11], s[8:9], s[10:11]
	s_load_u16 s4, s[4:5], 0x0
	s_wait_xcnt 0x0
	s_mov_b32 s5, exec_lo
	s_load_u16 s3, s[10:11], 0x0
	s_wait_kmcnt 0x0
	v_mad_u32_u24 v1, v2, s3, v1
	v_and_b32_e32 v2, 0x3ff, v31
	s_delay_alu instid0(VALU_DEP_2) | instskip(NEXT) | instid1(VALU_DEP_1)
	v_mul_lo_u32 v1, v1, s4
	v_add_lshl_u32 v1, v1, v2, 2
	s_delay_alu instid0(VALU_DEP_1)
	v_cmpx_gt_u32_e32 0x400, v1
	s_cbranch_execz .LBB1132_136
; %bb.125:
	s_wait_loadcnt_dscnt 0x0
	v_add_f64_e32 v[20:21], 0, v[8:9]
	v_add_f64_e32 v[6:7], 0, v[50:51]
	s_mov_b32 s8, exec_lo
	s_delay_alu instid0(VALU_DEP_2) | instskip(NEXT) | instid1(VALU_DEP_2)
	v_ashrrev_i32_e32 v28, 31, v21
	v_dual_add_f64 v[2:3], 0, v[48:49] :: v_dual_ashrrev_i32 v25, 31, v7
	s_delay_alu instid0(VALU_DEP_2) | instskip(NEXT) | instid1(VALU_DEP_2)
	v_or_b32_e32 v32, 0x80000000, v28
	v_or_b32_e32 v31, 0x80000000, v25
	s_delay_alu instid0(VALU_DEP_3) | instskip(SKIP_1) | instid1(VALU_DEP_2)
	v_ashrrev_i32_e32 v24, 31, v3
	v_add_f64_e32 v[22:23], 0, v[26:27]
	v_or_b32_e32 v30, 0x80000000, v24
	v_xor_b32_e32 v2, v24, v2
	v_xor_b32_e32 v24, v25, v6
	;; [unrolled: 1-line block ×6, first 2 shown]
	s_delay_alu instid0(VALU_DEP_2) | instskip(SKIP_2) | instid1(VALU_DEP_3)
	v_cmp_gt_u64_e64 s3, v[2:3], v[24:25]
	v_mov_b64_e32 v[2:3], v[26:27]
	v_mov_b64_e32 v[24:25], v[16:17]
	v_dual_cndmask_b32 v21, v13, v15, s3 :: v_dual_cndmask_b32 v20, v12, v14, s3
	v_ashrrev_i32_e32 v29, 31, v23
	s_delay_alu instid0(VALU_DEP_1) | instskip(SKIP_1) | instid1(VALU_DEP_2)
	v_or_b32_e32 v30, 0x80000000, v29
	v_dual_cndmask_b32 v22, v14, v12, s3 :: v_dual_bitop2_b32 v52, v29, v22 bitop3:0x14
	v_dual_cndmask_b32 v23, v15, v13, s3 :: v_dual_bitop2_b32 v53, v30, v23 bitop3:0x14
	s_delay_alu instid0(VALU_DEP_1)
	v_cmpx_gt_u64_e64 v[6:7], v[52:53]
	s_cbranch_execz .LBB1132_127
; %bb.126:
	v_mov_b64_e32 v[2:3], v[8:9]
	v_mov_b64_e32 v[8:9], v[26:27]
	v_mov_b64_e32 v[52:53], v[6:7]
	v_mov_b64_e32 v[24:25], v[18:19]
	v_mov_b64_e32 v[18:19], v[16:17]
.LBB1132_127:
	s_or_b32 exec_lo, exec_lo, s8
	v_dual_cndmask_b32 v15, v49, v51, s3 :: v_dual_cndmask_b32 v14, v48, v50, s3
	s_delay_alu instid0(VALU_DEP_1) | instskip(NEXT) | instid1(VALU_DEP_1)
	v_dual_add_f64 v[6:7], 0, v[14:15] :: v_dual_mov_b32 v26, v18
	v_mov_b64_e32 v[34:35], v[26:27]
	v_mov_b64_e32 v[28:29], v[20:21]
	;; [unrolled: 1-line block ×4, first 2 shown]
	v_ashrrev_i32_e32 v12, 31, v7
	s_delay_alu instid0(VALU_DEP_1) | instskip(NEXT) | instid1(VALU_DEP_1)
	v_or_b32_e32 v13, 0x80000000, v12
	v_xor_b32_e32 v13, v13, v7
	v_xor_b32_e32 v12, v12, v6
                                        ; implicit-def: $vgpr6_vgpr7
	s_delay_alu instid0(VALU_DEP_1) | instskip(SKIP_1) | instid1(SALU_CYCLE_1)
	v_cmp_le_u64_e64 s4, v[52:53], v[12:13]
	s_and_saveexec_b32 s8, s4
	s_xor_b32 s4, exec_lo, s8
	s_cbranch_execz .LBB1132_129
; %bb.128:
	v_add_f64_e32 v[6:7], 0, v[2:3]
                                        ; implicit-def: $vgpr28_vgpr29_vgpr30_vgpr31_vgpr32_vgpr33_vgpr34_vgpr35
                                        ; implicit-def: $vgpr52_vgpr53
	s_delay_alu instid0(VALU_DEP_1) | instskip(NEXT) | instid1(VALU_DEP_1)
	v_ashrrev_i32_e32 v16, 31, v7
	v_or_b32_e32 v17, 0x80000000, v16
	s_delay_alu instid0(VALU_DEP_1) | instskip(NEXT) | instid1(VALU_DEP_4)
	v_xor_b32_e32 v7, v17, v7
	v_xor_b32_e32 v6, v16, v6
.LBB1132_129:
	s_or_saveexec_b32 s4, s4
	v_mov_b64_e32 v[30:31], v[14:15]
	v_mov_b32_e32 v27, v19
	s_xor_b32 exec_lo, exec_lo, s4
	s_cbranch_execz .LBB1132_131
; %bb.130:
	v_dual_mov_b32 v30, v24 :: v_dual_mov_b32 v31, v25
	v_dual_mov_b32 v32, v22 :: v_dual_mov_b32 v33, v23
	;; [unrolled: 1-line block ×3, first 2 shown]
	v_mov_b64_e32 v[20:21], v[28:29]
	s_delay_alu instid0(VALU_DEP_4) | instskip(NEXT) | instid1(VALU_DEP_4)
	v_mov_b64_e32 v[22:23], v[30:31]
	v_mov_b64_e32 v[24:25], v[32:33]
	;; [unrolled: 1-line block ×7, first 2 shown]
.LBB1132_131:
	s_or_b32 exec_lo, exec_lo, s4
	v_dual_cndmask_b32 v29, v51, v49, s3 :: v_dual_cndmask_b32 v28, v50, v48, s3
	s_mov_b32 s8, exec_lo
	s_delay_alu instid0(VALU_DEP_1) | instskip(NEXT) | instid1(VALU_DEP_1)
	v_add_f64_e32 v[14:15], 0, v[28:29]
	v_dual_add_f64 v[16:17], 0, v[8:9] :: v_dual_ashrrev_i32 v18, 31, v15
	s_delay_alu instid0(VALU_DEP_1) | instskip(NEXT) | instid1(VALU_DEP_2)
	v_ashrrev_i32_e32 v19, 31, v17
	v_or_b32_e32 v32, 0x80000000, v18
	s_delay_alu instid0(VALU_DEP_1) | instskip(NEXT) | instid1(VALU_DEP_3)
	v_xor_b32_e32 v15, v32, v15
	v_dual_mov_b32 v16, v24 :: v_dual_bitop2_b32 v32, v19, v16 bitop3:0x14
	v_xor_b32_e32 v14, v18, v14
	v_or_b32_e32 v33, 0x80000000, v19
	v_dual_mov_b32 v18, v26 :: v_dual_mov_b32 v19, v27
	s_delay_alu instid0(VALU_DEP_2) | instskip(SKIP_2) | instid1(VALU_DEP_1)
	v_xor_b32_e32 v33, v33, v17
	v_mov_b32_e32 v17, v25
	v_cmp_gt_u64_e64 s3, v[12:13], v[14:15]
	v_dual_cndmask_b32 v15, v23, v21, s3 :: v_dual_cndmask_b32 v14, v22, v20, s3
	v_dual_cndmask_b32 v13, v21, v23, s3 :: v_dual_cndmask_b32 v12, v20, v22, s3
	v_mov_b64_e32 v[20:21], v[2:3]
	v_cmpx_gt_u64_e64 v[32:33], v[6:7]
; %bb.132:
	v_mov_b64_e32 v[20:21], v[8:9]
	v_mov_b64_e32 v[8:9], v[2:3]
	;; [unrolled: 1-line block ×3, first 2 shown]
	v_dual_mov_b32 v16, v26 :: v_dual_mov_b32 v17, v27
	v_dual_mov_b32 v18, v24 :: v_dual_mov_b32 v19, v25
; %bb.133:
	s_or_b32 exec_lo, exec_lo, s8
	v_dual_cndmask_b32 v49, v31, v29, s3 :: v_dual_cndmask_b32 v48, v30, v28, s3
	v_mov_b64_e32 v[26:27], v[20:21]
	v_dual_cndmask_b32 v50, v28, v30, s3 :: v_dual_cndmask_b32 v51, v29, v31, s3
	s_mov_b32 s3, exec_lo
	s_delay_alu instid0(VALU_DEP_3) | instskip(NEXT) | instid1(VALU_DEP_1)
	v_add_f64_e32 v[2:3], 0, v[48:49]
	v_ashrrev_i32_e32 v22, 31, v3
	s_delay_alu instid0(VALU_DEP_1) | instskip(NEXT) | instid1(VALU_DEP_1)
	v_or_b32_e32 v23, 0x80000000, v22
	v_xor_b32_e32 v3, v23, v3
	s_delay_alu instid0(VALU_DEP_4) | instskip(NEXT) | instid1(VALU_DEP_1)
	v_xor_b32_e32 v2, v22, v2
	v_cmpx_gt_u64_e64 v[6:7], v[2:3]
	s_cbranch_execz .LBB1132_135
; %bb.134:
	v_dual_mov_b32 v22, v12 :: v_dual_mov_b32 v23, v13
	v_dual_mov_b32 v24, v16 :: v_dual_mov_b32 v25, v17
	;; [unrolled: 1-line block ×4, first 2 shown]
	s_delay_alu instid0(VALU_DEP_4) | instskip(NEXT) | instid1(VALU_DEP_4)
	v_mov_b64_e32 v[12:13], v[22:23]
	v_mov_b64_e32 v[14:15], v[24:25]
	s_delay_alu instid0(VALU_DEP_4) | instskip(NEXT) | instid1(VALU_DEP_4)
	v_mov_b64_e32 v[16:17], v[26:27]
	v_mov_b64_e32 v[18:19], v[28:29]
	v_mov_b64_e32 v[26:27], v[48:49]
	v_mov_b64_e32 v[48:49], v[20:21]
.LBB1132_135:
	s_or_b32 exec_lo, exec_lo, s3
.LBB1132_136:
	s_delay_alu instid0(SALU_CYCLE_1) | instskip(SKIP_4) | instid1(VALU_DEP_3)
	s_or_b32 exec_lo, exec_lo, s5
	v_and_b32_e32 v6, 0xffffff80, v1
	v_dual_mov_b32 v7, 0 :: v_dual_bitop2_b32 v2, 4, v55 bitop3:0x54
	v_and_b32_e32 v22, 0x78, v55
	s_mov_b32 s4, exec_lo
	v_sub_nc_u32_e64 v1, 0x400, v6 clamp
	s_delay_alu instid0(VALU_DEP_1) | instskip(SKIP_1) | instid1(VALU_DEP_2)
	v_min_u32_e32 v64, v1, v2
	v_lshl_add_u64 v[2:3], v[6:7], 3, v[38:39]
	v_dual_sub_nc_u32 v20, v64, v22 :: v_dual_bitop2_b32 v6, 4, v55 bitop3:0x40
	v_add_min_u32_e64 v65, v64, 4, v1
	s_delay_alu instid0(VALU_DEP_2) | instskip(NEXT) | instid1(VALU_DEP_4)
	v_min_u32_e32 v23, v1, v6
	v_lshl_add_u32 v32, v55, 3, v2
	s_delay_alu instid0(VALU_DEP_3) | instskip(NEXT) | instid1(VALU_DEP_3)
	v_sub_nc_u32_e32 v6, v65, v64
	v_min_u32_e32 v25, v23, v20
	s_delay_alu instid0(VALU_DEP_3)
	v_add_nc_u32_e32 v21, 0x2000, v32
	s_wait_loadcnt_dscnt 0x0
	ds_store_2addr_b64 v32, v[50:51], v[48:49] offset1:1
	ds_store_2addr_b64 v21, v[12:13], v[14:15] offset1:1
	ds_store_2addr_b64 v32, v[26:27], v[8:9] offset0:2 offset1:3
	ds_store_2addr_b64 v21, v[16:17], v[18:19] offset0:2 offset1:3
	v_sub_nc_u32_e64 v24, v23, v6 clamp
	; wave barrier
	s_delay_alu instid0(VALU_DEP_1)
	v_cmpx_lt_u32_e64 v24, v25
	s_cbranch_execz .LBB1132_140
; %bb.137:
	v_lshlrev_b32_e32 v6, 3, v22
	s_mov_b32 s5, 0
	s_delay_alu instid0(VALU_DEP_1) | instskip(SKIP_1) | instid1(VALU_DEP_1)
	v_add_nc_u64_e32 v[20:21], v[2:3], v[6:7]
	v_lshlrev_b32_e32 v6, 3, v64
	v_add_nc_u64_e32 v[6:7], v[2:3], v[6:7]
.LBB1132_138:                           ; =>This Inner Loop Header: Depth=1
	v_add_nc_u32_e32 v7, v25, v24
	s_delay_alu instid0(VALU_DEP_1) | instskip(NEXT) | instid1(VALU_DEP_1)
	v_lshrrev_b32_e32 v7, 1, v7
	v_xad_u32 v21, v7, -1, v23
	v_lshl_add_u32 v28, v7, 3, v20
	s_delay_alu instid0(VALU_DEP_2)
	v_lshl_add_u32 v21, v21, 3, v6
	ds_load_b64 v[28:29], v28
	ds_load_b64 v[30:31], v21
	s_wait_dscnt 0x1
	v_add_f64_e32 v[28:29], 0, v[28:29]
	s_wait_dscnt 0x0
	s_delay_alu instid0(VALU_DEP_1) | instskip(NEXT) | instid1(VALU_DEP_1)
	v_dual_add_f64 v[30:31], 0, v[30:31] :: v_dual_ashrrev_i32 v21, 31, v29
	v_ashrrev_i32_e32 v33, 31, v31
	s_delay_alu instid0(VALU_DEP_2) | instskip(NEXT) | instid1(VALU_DEP_2)
	v_or_b32_e32 v34, 0x80000000, v21
	v_or_b32_e32 v35, 0x80000000, v33
	v_dual_add_nc_u32 v21, 1, v7 :: v_dual_bitop2_b32 v28, v21, v28 bitop3:0x14
	v_xor_b32_e32 v30, v33, v30
	s_delay_alu instid0(VALU_DEP_4) | instskip(NEXT) | instid1(VALU_DEP_4)
	v_xor_b32_e32 v29, v34, v29
	v_xor_b32_e32 v31, v35, v31
	s_delay_alu instid0(VALU_DEP_1) | instskip(NEXT) | instid1(VALU_DEP_1)
	v_cmp_gt_u64_e64 s3, v[30:31], v[28:29]
	v_cndmask_b32_e64 v25, v25, v7, s3
	v_cndmask_b32_e64 v24, v21, v24, s3
	s_delay_alu instid0(VALU_DEP_1) | instskip(SKIP_1) | instid1(SALU_CYCLE_1)
	v_cmp_ge_u32_e64 s3, v24, v25
	s_or_b32 s5, s3, s5
	s_and_not1_b32 exec_lo, exec_lo, s5
	s_cbranch_execnz .LBB1132_138
; %bb.139:
	s_or_b32 exec_lo, exec_lo, s5
.LBB1132_140:
	s_delay_alu instid0(SALU_CYCLE_1) | instskip(SKIP_4) | instid1(VALU_DEP_4)
	s_or_b32 exec_lo, exec_lo, s4
	v_dual_add_nc_u32 v38, 24, v32 :: v_dual_add_nc_u32 v6, v64, v23
	v_add_nc_u32_e32 v20, v24, v22
	v_add_nc_u32_e32 v39, 0x2000, v32
	v_dual_add_nc_u32 v33, 8, v32 :: v_dual_add_nc_u32 v35, 16, v32
	v_sub_nc_u32_e32 v21, v6, v24
	s_delay_alu instid0(VALU_DEP_4)
	v_cmp_le_u32_e64 s3, v20, v64
	v_add_nc_u32_e32 v34, 0x2008, v32
	v_add_nc_u32_e32 v52, 0x2010, v32
	;; [unrolled: 1-line block ×3, first 2 shown]
	v_cmp_le_u32_e64 s4, v21, v65
	s_or_b32 s3, s3, s4
	s_delay_alu instid0(SALU_CYCLE_1)
	s_and_saveexec_b32 s5, s3
	s_cbranch_execz .LBB1132_160
; %bb.141:
	v_cmp_ge_u32_e64 s3, v20, v64
	s_mov_b32 s8, exec_lo
                                        ; implicit-def: $vgpr6_vgpr7
	v_cmpx_lt_u32_e64 v20, v64
; %bb.142:
	v_lshl_add_u32 v6, v20, 3, v2
	ds_load_b64 v[6:7], v6
; %bb.143:
	s_or_b32 exec_lo, exec_lo, s8
	v_cmp_ge_u32_e64 s8, v21, v65
	s_mov_b32 s9, exec_lo
                                        ; implicit-def: $vgpr8_vgpr9
	v_cmpx_lt_u32_e64 v21, v65
; %bb.144:
	v_lshl_add_u32 v8, v21, 3, v2
	ds_load_b64 v[8:9], v8
; %bb.145:
	s_or_b32 exec_lo, exec_lo, s9
	s_nor_b32 s3, s3, s8
	s_delay_alu instid0(SALU_CYCLE_1)
	s_and_saveexec_b32 s4, s3
	s_cbranch_execz .LBB1132_147
; %bb.146:
	s_wait_dscnt 0x0
	v_add_f64_e32 v[14:15], 0, v[6:7]
	v_add_f64_e32 v[12:13], 0, v[8:9]
	s_and_not1_b32 s8, s8, exec_lo
	s_delay_alu instid0(VALU_DEP_1) | instskip(NEXT) | instid1(VALU_DEP_1)
	v_dual_ashrrev_i32 v17, 31, v15 :: v_dual_ashrrev_i32 v16, 31, v13
	v_or_b32_e32 v19, 0x80000000, v17
	s_delay_alu instid0(VALU_DEP_2) | instskip(NEXT) | instid1(VALU_DEP_4)
	v_or_b32_e32 v18, 0x80000000, v16
	v_xor_b32_e32 v12, v16, v12
	v_xor_b32_e32 v14, v17, v14
	s_delay_alu instid0(VALU_DEP_4) | instskip(NEXT) | instid1(VALU_DEP_4)
	v_xor_b32_e32 v15, v19, v15
	v_xor_b32_e32 v13, v18, v13
	s_delay_alu instid0(VALU_DEP_1) | instskip(SKIP_1) | instid1(SALU_CYCLE_1)
	v_cmp_le_u64_e64 s3, v[12:13], v[14:15]
	s_and_b32 s3, s3, exec_lo
	s_or_b32 s8, s8, s3
.LBB1132_147:
	s_or_b32 exec_lo, exec_lo, s4
	v_cndmask_b32_e64 v12, v21, v20, s8
	v_cndmask_b32_e64 v13, v65, v64, s8
	s_mov_b32 s9, -1
	s_mov_b32 s4, -1
	s_mov_b32 s10, exec_lo
	v_add_nc_u32_e32 v17, 1, v12
	s_delay_alu instid0(VALU_DEP_1) | instskip(NEXT) | instid1(VALU_DEP_1)
	v_add_min_u32_e64 v13, v13, -1, v17
	v_lshl_add_u32 v13, v13, 3, v2
	ds_load_b64 v[14:15], v13
	s_wait_dscnt 0x0
	v_dual_cndmask_b32 v23, v7, v15, s8 :: v_dual_cndmask_b32 v16, v17, v21, s8
	v_cndmask_b32_e64 v17, v20, v17, s8
	v_lshl_add_u32 v12, v12, 3, v2
	v_dual_cndmask_b32 v21, v15, v9, s8 :: v_dual_cndmask_b32 v20, v14, v8, s8
	v_cndmask_b32_e64 v22, v6, v14, s8
	ds_load_b64 v[12:13], v12 offset:8192
	v_cmpx_lt_u32_e64 v16, v65
	s_cbranch_execz .LBB1132_151
; %bb.148:
	s_mov_b32 s11, 0
	s_mov_b32 s4, exec_lo
	v_cmpx_lt_u32_e64 v17, v64
	s_cbranch_execz .LBB1132_150
; %bb.149:
	v_add_f64_e32 v[18:19], 0, v[22:23]
	s_delay_alu instid0(VALU_DEP_1) | instskip(NEXT) | instid1(VALU_DEP_1)
	v_dual_add_f64 v[14:15], 0, v[20:21] :: v_dual_ashrrev_i32 v25, 31, v19
	v_ashrrev_i32_e32 v24, 31, v15
	s_delay_alu instid0(VALU_DEP_2) | instskip(NEXT) | instid1(VALU_DEP_2)
	v_or_b32_e32 v27, 0x80000000, v25
	v_or_b32_e32 v26, 0x80000000, v24
	v_xor_b32_e32 v18, v25, v18
	s_delay_alu instid0(VALU_DEP_3) | instskip(NEXT) | instid1(VALU_DEP_3)
	v_xor_b32_e32 v19, v27, v19
	v_xor_b32_e32 v15, v26, v15
	;; [unrolled: 1-line block ×3, first 2 shown]
	s_delay_alu instid0(VALU_DEP_1)
	v_cmp_le_u64_e64 s3, v[14:15], v[18:19]
	s_and_b32 s11, s3, exec_lo
.LBB1132_150:
	s_or_b32 exec_lo, exec_lo, s4
	s_delay_alu instid0(SALU_CYCLE_1)
	s_or_not1_b32 s4, s11, exec_lo
.LBB1132_151:
	s_or_b32 exec_lo, exec_lo, s10
	v_dual_cndmask_b32 v14, v16, v17, s4 :: v_dual_cndmask_b32 v15, v65, v64, s4
	s_mov_b32 s10, exec_lo
	s_delay_alu instid0(VALU_DEP_1) | instskip(SKIP_1) | instid1(VALU_DEP_2)
	v_add_nc_u32_e32 v19, 1, v14
	v_lshl_add_u32 v14, v14, 3, v2
	v_add_min_u32_e64 v15, v15, -1, v19
	s_delay_alu instid0(VALU_DEP_1)
	v_lshl_add_u32 v15, v15, 3, v2
	ds_load_b64 v[26:27], v15
	ds_load_b64 v[14:15], v14 offset:8192
	s_wait_dscnt 0x1
	v_cndmask_b32_e64 v25, v27, v21, s4
	v_dual_cndmask_b32 v18, v19, v16, s4 :: v_dual_cndmask_b32 v19, v17, v19, s4
	v_dual_cndmask_b32 v24, v26, v20, s4 :: v_dual_cndmask_b32 v27, v23, v27, s4
	v_cndmask_b32_e64 v26, v22, v26, s4
	s_delay_alu instid0(VALU_DEP_3)
	v_cmpx_lt_u32_e64 v18, v65
	s_cbranch_execz .LBB1132_155
; %bb.152:
	s_mov_b32 s11, 0
	s_mov_b32 s9, exec_lo
	v_cmpx_lt_u32_e64 v19, v64
	s_cbranch_execz .LBB1132_154
; %bb.153:
	v_add_f64_e32 v[16:17], 0, v[24:25]
	s_delay_alu instid0(VALU_DEP_1) | instskip(NEXT) | instid1(VALU_DEP_1)
	v_dual_add_f64 v[28:29], 0, v[26:27] :: v_dual_ashrrev_i32 v30, 31, v17
	v_dual_ashrrev_i32 v31, 31, v29 :: v_dual_bitop2_b32 v16, v30, v16 bitop3:0x14
	v_or_b32_e32 v48, 0x80000000, v30
	s_delay_alu instid0(VALU_DEP_2) | instskip(NEXT) | instid1(VALU_DEP_4)
	v_or_b32_e32 v49, 0x80000000, v31
	v_xor_b32_e32 v28, v31, v28
	s_delay_alu instid0(VALU_DEP_3) | instskip(NEXT) | instid1(VALU_DEP_3)
	v_xor_b32_e32 v17, v48, v17
	v_xor_b32_e32 v29, v49, v29
	s_delay_alu instid0(VALU_DEP_1)
	v_cmp_le_u64_e64 s3, v[16:17], v[28:29]
	s_and_b32 s11, s3, exec_lo
.LBB1132_154:
	s_or_b32 exec_lo, exec_lo, s9
	s_delay_alu instid0(SALU_CYCLE_1)
	s_or_not1_b32 s9, s11, exec_lo
.LBB1132_155:
	s_or_b32 exec_lo, exec_lo, s10
	v_dual_cndmask_b32 v16, v18, v19, s9 :: v_dual_cndmask_b32 v17, v65, v64, s9
	s_mov_b32 s11, -1
	s_mov_b32 s10, exec_lo
	s_delay_alu instid0(VALU_DEP_1) | instskip(SKIP_1) | instid1(VALU_DEP_2)
	v_add_nc_u32_e32 v28, 1, v16
	v_lshl_add_u32 v16, v16, 3, v2
	v_add_min_u32_e64 v17, v17, -1, v28
	s_delay_alu instid0(VALU_DEP_1)
	v_lshl_add_u32 v17, v17, 3, v2
	ds_load_b64 v[30:31], v17
	ds_load_b64 v[16:17], v16 offset:8192
	s_wait_dscnt 0x1
	v_dual_cndmask_b32 v29, v31, v25, s9 :: v_dual_cndmask_b32 v18, v28, v18, s9
	v_cndmask_b32_e64 v19, v19, v28, s9
	v_dual_cndmask_b32 v28, v30, v24, s9 :: v_dual_cndmask_b32 v31, v27, v31, s9
	v_cndmask_b32_e64 v30, v26, v30, s9
	s_delay_alu instid0(VALU_DEP_4)
	v_cmpx_lt_u32_e64 v18, v65
	s_cbranch_execz .LBB1132_159
; %bb.156:
	s_mov_b32 s12, 0
	s_mov_b32 s11, exec_lo
	v_cmpx_lt_u32_e64 v19, v64
	s_cbranch_execz .LBB1132_158
; %bb.157:
	v_add_f64_e32 v[50:51], 0, v[30:31]
	s_delay_alu instid0(VALU_DEP_1) | instskip(NEXT) | instid1(VALU_DEP_1)
	v_dual_add_f64 v[48:49], 0, v[28:29] :: v_dual_ashrrev_i32 v65, 31, v51
	v_ashrrev_i32_e32 v64, 31, v49
	s_delay_alu instid0(VALU_DEP_2) | instskip(NEXT) | instid1(VALU_DEP_2)
	v_or_b32_e32 v67, 0x80000000, v65
	v_or_b32_e32 v66, 0x80000000, v64
	s_delay_alu instid0(VALU_DEP_4) | instskip(SKIP_1) | instid1(VALU_DEP_4)
	v_xor_b32_e32 v48, v64, v48
	v_xor_b32_e32 v50, v65, v50
	;; [unrolled: 1-line block ×3, first 2 shown]
	s_delay_alu instid0(VALU_DEP_4) | instskip(NEXT) | instid1(VALU_DEP_1)
	v_xor_b32_e32 v49, v66, v49
	v_cmp_le_u64_e64 s3, v[48:49], v[50:51]
	s_and_b32 s12, s3, exec_lo
.LBB1132_158:
	s_or_b32 exec_lo, exec_lo, s11
	s_delay_alu instid0(SALU_CYCLE_1)
	s_or_not1_b32 s11, s12, exec_lo
.LBB1132_159:
	s_or_b32 exec_lo, exec_lo, s10
	v_dual_cndmask_b32 v18, v18, v19, s11 :: v_dual_cndmask_b32 v26, v24, v26, s9
	v_dual_cndmask_b32 v27, v25, v27, s9 :: v_dual_cndmask_b32 v48, v20, v22, s4
	;; [unrolled: 1-line block ×3, first 2 shown]
	s_delay_alu instid0(VALU_DEP_3)
	v_lshl_add_u32 v18, v18, 3, v2
	v_dual_cndmask_b32 v51, v9, v7, s8 :: v_dual_cndmask_b32 v8, v28, v30, s11
	v_cndmask_b32_e64 v9, v29, v31, s11
	ds_load_b64 v[18:19], v18 offset:8192
.LBB1132_160:
	s_or_b32 exec_lo, exec_lo, s5
	v_and_b32_e32 v22, 0x70, v55
	s_mov_b32 s4, exec_lo
	; wave barrier
	ds_store_b64 v32, v[50:51]
	ds_store_b64 v39, v[12:13]
	v_or_b32_e32 v6, 8, v22
	ds_store_b64 v33, v[48:49]
	ds_store_b64 v34, v[14:15]
	;; [unrolled: 1-line block ×3, first 2 shown]
	s_wait_dscnt 0x6
	ds_store_b64 v52, v[16:17]
	ds_store_b64 v38, v[8:9]
	s_wait_dscnt 0x7
	ds_store_b64 v53, v[18:19]
	; wave barrier
	v_min_u32_e32 v64, v1, v6
	v_and_b32_e32 v6, 12, v55
	s_delay_alu instid0(VALU_DEP_2) | instskip(NEXT) | instid1(VALU_DEP_2)
	v_add_min_u32_e64 v65, v64, 8, v1
	v_min_u32_e32 v23, v1, v6
	s_delay_alu instid0(VALU_DEP_2) | instskip(NEXT) | instid1(VALU_DEP_1)
	v_dual_sub_nc_u32 v7, v64, v22 :: v_dual_sub_nc_u32 v6, v65, v64
	v_min_u32_e32 v25, v23, v7
	s_delay_alu instid0(VALU_DEP_2) | instskip(NEXT) | instid1(VALU_DEP_1)
	v_sub_nc_u32_e64 v24, v23, v6 clamp
	v_cmpx_lt_u32_e64 v24, v25
	s_cbranch_execz .LBB1132_164
; %bb.161:
	v_dual_mov_b32 v21, 0 :: v_dual_lshlrev_b32 v20, 3, v22
	s_mov_b32 s5, 0
	s_delay_alu instid0(VALU_DEP_1) | instskip(SKIP_1) | instid1(VALU_DEP_1)
	v_add_nc_u64_e32 v[6:7], v[2:3], v[20:21]
	v_lshlrev_b32_e32 v20, 3, v64
	v_add_nc_u64_e32 v[20:21], v[2:3], v[20:21]
.LBB1132_162:                           ; =>This Inner Loop Header: Depth=1
	v_add_nc_u32_e32 v7, v25, v24
	s_delay_alu instid0(VALU_DEP_1) | instskip(NEXT) | instid1(VALU_DEP_1)
	v_lshrrev_b32_e32 v7, 1, v7
	v_xad_u32 v21, v7, -1, v23
	v_lshl_add_u32 v28, v7, 3, v6
	s_delay_alu instid0(VALU_DEP_2)
	v_lshl_add_u32 v21, v21, 3, v20
	ds_load_b64 v[28:29], v28
	ds_load_b64 v[30:31], v21
	s_wait_dscnt 0x1
	v_add_f64_e32 v[28:29], 0, v[28:29]
	s_wait_dscnt 0x0
	s_delay_alu instid0(VALU_DEP_1) | instskip(NEXT) | instid1(VALU_DEP_1)
	v_dual_add_f64 v[30:31], 0, v[30:31] :: v_dual_ashrrev_i32 v21, 31, v29
	v_ashrrev_i32_e32 v66, 31, v31
	s_delay_alu instid0(VALU_DEP_2) | instskip(NEXT) | instid1(VALU_DEP_2)
	v_or_b32_e32 v67, 0x80000000, v21
	v_or_b32_e32 v68, 0x80000000, v66
	v_dual_add_nc_u32 v21, 1, v7 :: v_dual_bitop2_b32 v28, v21, v28 bitop3:0x14
	v_xor_b32_e32 v30, v66, v30
	s_delay_alu instid0(VALU_DEP_4) | instskip(NEXT) | instid1(VALU_DEP_4)
	v_xor_b32_e32 v29, v67, v29
	v_xor_b32_e32 v31, v68, v31
	s_delay_alu instid0(VALU_DEP_1) | instskip(NEXT) | instid1(VALU_DEP_1)
	v_cmp_gt_u64_e64 s3, v[30:31], v[28:29]
	v_cndmask_b32_e64 v25, v25, v7, s3
	v_cndmask_b32_e64 v24, v21, v24, s3
	s_delay_alu instid0(VALU_DEP_1) | instskip(SKIP_1) | instid1(SALU_CYCLE_1)
	v_cmp_ge_u32_e64 s3, v24, v25
	s_or_b32 s5, s3, s5
	s_and_not1_b32 exec_lo, exec_lo, s5
	s_cbranch_execnz .LBB1132_162
; %bb.163:
	s_or_b32 exec_lo, exec_lo, s5
.LBB1132_164:
	s_delay_alu instid0(SALU_CYCLE_1) | instskip(SKIP_1) | instid1(VALU_DEP_1)
	s_or_b32 exec_lo, exec_lo, s4
	v_add_nc_u32_e32 v6, v64, v23
	v_dual_add_nc_u32 v20, v24, v22 :: v_dual_sub_nc_u32 v21, v6, v24
	s_delay_alu instid0(VALU_DEP_1) | instskip(NEXT) | instid1(VALU_DEP_2)
	v_cmp_le_u32_e64 s3, v20, v64
	v_cmp_le_u32_e64 s4, v21, v65
	s_or_b32 s3, s3, s4
	s_delay_alu instid0(SALU_CYCLE_1)
	s_and_saveexec_b32 s5, s3
	s_cbranch_execz .LBB1132_184
; %bb.165:
	v_cmp_ge_u32_e64 s3, v20, v64
	s_mov_b32 s8, exec_lo
                                        ; implicit-def: $vgpr6_vgpr7
	v_cmpx_lt_u32_e64 v20, v64
; %bb.166:
	v_lshl_add_u32 v6, v20, 3, v2
	ds_load_b64 v[6:7], v6
; %bb.167:
	s_or_b32 exec_lo, exec_lo, s8
	v_cmp_ge_u32_e64 s8, v21, v65
	s_mov_b32 s9, exec_lo
                                        ; implicit-def: $vgpr8_vgpr9
	v_cmpx_lt_u32_e64 v21, v65
; %bb.168:
	v_lshl_add_u32 v8, v21, 3, v2
	ds_load_b64 v[8:9], v8
; %bb.169:
	s_or_b32 exec_lo, exec_lo, s9
	s_nor_b32 s3, s3, s8
	s_delay_alu instid0(SALU_CYCLE_1)
	s_and_saveexec_b32 s4, s3
	s_cbranch_execz .LBB1132_171
; %bb.170:
	s_wait_dscnt 0x0
	v_add_f64_e32 v[14:15], 0, v[6:7]
	v_add_f64_e32 v[12:13], 0, v[8:9]
	s_and_not1_b32 s8, s8, exec_lo
	s_delay_alu instid0(VALU_DEP_1) | instskip(NEXT) | instid1(VALU_DEP_1)
	v_dual_ashrrev_i32 v17, 31, v15 :: v_dual_ashrrev_i32 v16, 31, v13
	v_or_b32_e32 v19, 0x80000000, v17
	s_delay_alu instid0(VALU_DEP_2) | instskip(NEXT) | instid1(VALU_DEP_4)
	v_or_b32_e32 v18, 0x80000000, v16
	v_xor_b32_e32 v12, v16, v12
	v_xor_b32_e32 v14, v17, v14
	s_delay_alu instid0(VALU_DEP_4) | instskip(NEXT) | instid1(VALU_DEP_4)
	v_xor_b32_e32 v15, v19, v15
	v_xor_b32_e32 v13, v18, v13
	s_delay_alu instid0(VALU_DEP_1) | instskip(SKIP_1) | instid1(SALU_CYCLE_1)
	v_cmp_le_u64_e64 s3, v[12:13], v[14:15]
	s_and_b32 s3, s3, exec_lo
	s_or_b32 s8, s8, s3
.LBB1132_171:
	s_or_b32 exec_lo, exec_lo, s4
	v_cndmask_b32_e64 v12, v21, v20, s8
	v_cndmask_b32_e64 v13, v65, v64, s8
	s_mov_b32 s9, -1
	s_mov_b32 s4, -1
	s_mov_b32 s10, exec_lo
	v_add_nc_u32_e32 v17, 1, v12
	s_delay_alu instid0(VALU_DEP_1) | instskip(NEXT) | instid1(VALU_DEP_1)
	v_add_min_u32_e64 v13, v13, -1, v17
	v_lshl_add_u32 v13, v13, 3, v2
	ds_load_b64 v[14:15], v13
	s_wait_dscnt 0x0
	v_dual_cndmask_b32 v23, v7, v15, s8 :: v_dual_cndmask_b32 v16, v17, v21, s8
	v_cndmask_b32_e64 v17, v20, v17, s8
	v_lshl_add_u32 v12, v12, 3, v2
	v_dual_cndmask_b32 v21, v15, v9, s8 :: v_dual_cndmask_b32 v20, v14, v8, s8
	v_cndmask_b32_e64 v22, v6, v14, s8
	ds_load_b64 v[12:13], v12 offset:8192
	v_cmpx_lt_u32_e64 v16, v65
	s_cbranch_execz .LBB1132_175
; %bb.172:
	s_mov_b32 s11, 0
	s_mov_b32 s4, exec_lo
	v_cmpx_lt_u32_e64 v17, v64
	s_cbranch_execz .LBB1132_174
; %bb.173:
	v_add_f64_e32 v[18:19], 0, v[22:23]
	s_delay_alu instid0(VALU_DEP_1) | instskip(NEXT) | instid1(VALU_DEP_1)
	v_dual_add_f64 v[14:15], 0, v[20:21] :: v_dual_ashrrev_i32 v25, 31, v19
	v_ashrrev_i32_e32 v24, 31, v15
	s_delay_alu instid0(VALU_DEP_2) | instskip(NEXT) | instid1(VALU_DEP_2)
	v_or_b32_e32 v27, 0x80000000, v25
	v_or_b32_e32 v26, 0x80000000, v24
	v_xor_b32_e32 v18, v25, v18
	s_delay_alu instid0(VALU_DEP_3) | instskip(NEXT) | instid1(VALU_DEP_3)
	v_xor_b32_e32 v19, v27, v19
	v_xor_b32_e32 v15, v26, v15
	;; [unrolled: 1-line block ×3, first 2 shown]
	s_delay_alu instid0(VALU_DEP_1)
	v_cmp_le_u64_e64 s3, v[14:15], v[18:19]
	s_and_b32 s11, s3, exec_lo
.LBB1132_174:
	s_or_b32 exec_lo, exec_lo, s4
	s_delay_alu instid0(SALU_CYCLE_1)
	s_or_not1_b32 s4, s11, exec_lo
.LBB1132_175:
	s_or_b32 exec_lo, exec_lo, s10
	v_dual_cndmask_b32 v14, v16, v17, s4 :: v_dual_cndmask_b32 v15, v65, v64, s4
	s_mov_b32 s10, exec_lo
	s_delay_alu instid0(VALU_DEP_1) | instskip(SKIP_1) | instid1(VALU_DEP_2)
	v_add_nc_u32_e32 v19, 1, v14
	v_lshl_add_u32 v14, v14, 3, v2
	v_add_min_u32_e64 v15, v15, -1, v19
	s_delay_alu instid0(VALU_DEP_1)
	v_lshl_add_u32 v15, v15, 3, v2
	ds_load_b64 v[26:27], v15
	ds_load_b64 v[14:15], v14 offset:8192
	s_wait_dscnt 0x1
	v_cndmask_b32_e64 v25, v27, v21, s4
	v_dual_cndmask_b32 v18, v19, v16, s4 :: v_dual_cndmask_b32 v19, v17, v19, s4
	v_dual_cndmask_b32 v24, v26, v20, s4 :: v_dual_cndmask_b32 v27, v23, v27, s4
	v_cndmask_b32_e64 v26, v22, v26, s4
	s_delay_alu instid0(VALU_DEP_3)
	v_cmpx_lt_u32_e64 v18, v65
	s_cbranch_execz .LBB1132_179
; %bb.176:
	s_mov_b32 s11, 0
	s_mov_b32 s9, exec_lo
	v_cmpx_lt_u32_e64 v19, v64
	s_cbranch_execz .LBB1132_178
; %bb.177:
	v_add_f64_e32 v[16:17], 0, v[24:25]
	s_delay_alu instid0(VALU_DEP_1) | instskip(NEXT) | instid1(VALU_DEP_1)
	v_dual_add_f64 v[28:29], 0, v[26:27] :: v_dual_ashrrev_i32 v30, 31, v17
	v_dual_ashrrev_i32 v31, 31, v29 :: v_dual_bitop2_b32 v16, v30, v16 bitop3:0x14
	v_or_b32_e32 v48, 0x80000000, v30
	s_delay_alu instid0(VALU_DEP_2) | instskip(NEXT) | instid1(VALU_DEP_4)
	v_or_b32_e32 v49, 0x80000000, v31
	v_xor_b32_e32 v28, v31, v28
	s_delay_alu instid0(VALU_DEP_3) | instskip(NEXT) | instid1(VALU_DEP_3)
	v_xor_b32_e32 v17, v48, v17
	v_xor_b32_e32 v29, v49, v29
	s_delay_alu instid0(VALU_DEP_1)
	v_cmp_le_u64_e64 s3, v[16:17], v[28:29]
	s_and_b32 s11, s3, exec_lo
.LBB1132_178:
	s_or_b32 exec_lo, exec_lo, s9
	s_delay_alu instid0(SALU_CYCLE_1)
	s_or_not1_b32 s9, s11, exec_lo
.LBB1132_179:
	s_or_b32 exec_lo, exec_lo, s10
	v_dual_cndmask_b32 v16, v18, v19, s9 :: v_dual_cndmask_b32 v17, v65, v64, s9
	s_mov_b32 s11, -1
	s_mov_b32 s10, exec_lo
	s_delay_alu instid0(VALU_DEP_1) | instskip(SKIP_1) | instid1(VALU_DEP_2)
	v_add_nc_u32_e32 v28, 1, v16
	v_lshl_add_u32 v16, v16, 3, v2
	v_add_min_u32_e64 v17, v17, -1, v28
	s_delay_alu instid0(VALU_DEP_1)
	v_lshl_add_u32 v17, v17, 3, v2
	ds_load_b64 v[30:31], v17
	ds_load_b64 v[16:17], v16 offset:8192
	s_wait_dscnt 0x1
	v_dual_cndmask_b32 v29, v31, v25, s9 :: v_dual_cndmask_b32 v18, v28, v18, s9
	v_cndmask_b32_e64 v19, v19, v28, s9
	v_dual_cndmask_b32 v28, v30, v24, s9 :: v_dual_cndmask_b32 v31, v27, v31, s9
	v_cndmask_b32_e64 v30, v26, v30, s9
	s_delay_alu instid0(VALU_DEP_4)
	v_cmpx_lt_u32_e64 v18, v65
	s_cbranch_execz .LBB1132_183
; %bb.180:
	s_mov_b32 s12, 0
	s_mov_b32 s11, exec_lo
	v_cmpx_lt_u32_e64 v19, v64
	s_cbranch_execz .LBB1132_182
; %bb.181:
	v_add_f64_e32 v[50:51], 0, v[30:31]
	s_delay_alu instid0(VALU_DEP_1) | instskip(NEXT) | instid1(VALU_DEP_1)
	v_dual_add_f64 v[48:49], 0, v[28:29] :: v_dual_ashrrev_i32 v65, 31, v51
	v_ashrrev_i32_e32 v64, 31, v49
	s_delay_alu instid0(VALU_DEP_2) | instskip(NEXT) | instid1(VALU_DEP_2)
	v_or_b32_e32 v67, 0x80000000, v65
	v_or_b32_e32 v66, 0x80000000, v64
	s_delay_alu instid0(VALU_DEP_4) | instskip(SKIP_1) | instid1(VALU_DEP_4)
	v_xor_b32_e32 v48, v64, v48
	v_xor_b32_e32 v50, v65, v50
	;; [unrolled: 1-line block ×3, first 2 shown]
	s_delay_alu instid0(VALU_DEP_4) | instskip(NEXT) | instid1(VALU_DEP_1)
	v_xor_b32_e32 v49, v66, v49
	v_cmp_le_u64_e64 s3, v[48:49], v[50:51]
	s_and_b32 s12, s3, exec_lo
.LBB1132_182:
	s_or_b32 exec_lo, exec_lo, s11
	s_delay_alu instid0(SALU_CYCLE_1)
	s_or_not1_b32 s11, s12, exec_lo
.LBB1132_183:
	s_or_b32 exec_lo, exec_lo, s10
	v_dual_cndmask_b32 v18, v18, v19, s11 :: v_dual_cndmask_b32 v26, v24, v26, s9
	v_dual_cndmask_b32 v27, v25, v27, s9 :: v_dual_cndmask_b32 v48, v20, v22, s4
	;; [unrolled: 1-line block ×3, first 2 shown]
	s_delay_alu instid0(VALU_DEP_3)
	v_lshl_add_u32 v18, v18, 3, v2
	v_dual_cndmask_b32 v51, v9, v7, s8 :: v_dual_cndmask_b32 v8, v28, v30, s11
	v_cndmask_b32_e64 v9, v29, v31, s11
	ds_load_b64 v[18:19], v18 offset:8192
.LBB1132_184:
	s_or_b32 exec_lo, exec_lo, s5
	v_and_b32_e32 v22, 0x60, v55
	s_mov_b32 s4, exec_lo
	; wave barrier
	ds_store_b64 v32, v[50:51]
	ds_store_b64 v39, v[12:13]
	v_or_b32_e32 v6, 16, v22
	ds_store_b64 v33, v[48:49]
	ds_store_b64 v34, v[14:15]
	;; [unrolled: 1-line block ×3, first 2 shown]
	s_wait_dscnt 0x6
	ds_store_b64 v52, v[16:17]
	ds_store_b64 v38, v[8:9]
	s_wait_dscnt 0x7
	ds_store_b64 v53, v[18:19]
	; wave barrier
	v_min_u32_e32 v55, v1, v6
	s_delay_alu instid0(VALU_DEP_1) | instskip(SKIP_1) | instid1(VALU_DEP_2)
	v_add_min_u32_e64 v64, v55, 16, v1
	v_min_u32_e32 v1, v1, v54
	v_dual_sub_nc_u32 v7, v55, v22 :: v_dual_sub_nc_u32 v6, v64, v55
	s_delay_alu instid0(VALU_DEP_1) | instskip(NEXT) | instid1(VALU_DEP_2)
	v_min_u32_e32 v24, v1, v7
	v_sub_nc_u32_e64 v23, v1, v6 clamp
	s_delay_alu instid0(VALU_DEP_1)
	v_cmpx_lt_u32_e64 v23, v24
	s_cbranch_execz .LBB1132_188
; %bb.185:
	v_dual_mov_b32 v21, 0 :: v_dual_lshlrev_b32 v20, 3, v22
	s_mov_b32 s5, 0
	s_delay_alu instid0(VALU_DEP_1) | instskip(SKIP_1) | instid1(VALU_DEP_1)
	v_add_nc_u64_e32 v[6:7], v[2:3], v[20:21]
	v_lshlrev_b32_e32 v20, 3, v55
	v_add_nc_u64_e32 v[20:21], v[2:3], v[20:21]
.LBB1132_186:                           ; =>This Inner Loop Header: Depth=1
	v_add_nc_u32_e32 v3, v24, v23
	s_delay_alu instid0(VALU_DEP_1) | instskip(NEXT) | instid1(VALU_DEP_1)
	v_lshrrev_b32_e32 v3, 1, v3
	v_xad_u32 v7, v3, -1, v1
	v_lshl_add_u32 v21, v3, 3, v6
	s_delay_alu instid0(VALU_DEP_2)
	v_lshl_add_u32 v7, v7, 3, v20
	ds_load_b64 v[28:29], v21
	ds_load_b64 v[30:31], v7
	s_wait_dscnt 0x1
	v_add_f64_e32 v[28:29], 0, v[28:29]
	s_wait_dscnt 0x0
	s_delay_alu instid0(VALU_DEP_1) | instskip(NEXT) | instid1(VALU_DEP_1)
	v_dual_add_f64 v[30:31], 0, v[30:31] :: v_dual_ashrrev_i32 v7, 31, v29
	v_xor_b32_e32 v28, v7, v28
	v_or_b32_e32 v25, 0x80000000, v7
	s_delay_alu instid0(VALU_DEP_1) | instskip(NEXT) | instid1(VALU_DEP_4)
	v_dual_add_nc_u32 v7, 1, v3 :: v_dual_bitop2_b32 v29, v25, v29 bitop3:0x14
	v_ashrrev_i32_e32 v21, 31, v31
	s_delay_alu instid0(VALU_DEP_1) | instskip(SKIP_1) | instid1(VALU_DEP_2)
	v_or_b32_e32 v32, 0x80000000, v21
	v_xor_b32_e32 v30, v21, v30
	v_xor_b32_e32 v31, v32, v31
	s_delay_alu instid0(VALU_DEP_1) | instskip(NEXT) | instid1(VALU_DEP_1)
	v_cmp_gt_u64_e64 s3, v[30:31], v[28:29]
	v_cndmask_b32_e64 v24, v24, v3, s3
	v_cndmask_b32_e64 v23, v7, v23, s3
	s_delay_alu instid0(VALU_DEP_1) | instskip(SKIP_1) | instid1(SALU_CYCLE_1)
	v_cmp_ge_u32_e64 s3, v23, v24
	s_or_b32 s5, s3, s5
	s_and_not1_b32 exec_lo, exec_lo, s5
	s_cbranch_execnz .LBB1132_186
; %bb.187:
	s_or_b32 exec_lo, exec_lo, s5
.LBB1132_188:
	s_delay_alu instid0(SALU_CYCLE_1) | instskip(SKIP_2) | instid1(VALU_DEP_2)
	s_or_b32 exec_lo, exec_lo, s4
	v_add_nc_u32_e32 v3, v55, v1
	v_add_nc_u32_e32 v1, v23, v22
	v_sub_nc_u32_e32 v3, v3, v23
	s_delay_alu instid0(VALU_DEP_2) | instskip(NEXT) | instid1(VALU_DEP_2)
	v_cmp_le_u32_e64 s3, v1, v55
	v_cmp_le_u32_e64 s4, v3, v64
	s_or_b32 s3, s3, s4
	s_delay_alu instid0(SALU_CYCLE_1)
	s_and_saveexec_b32 s5, s3
	s_cbranch_execz .LBB1132_208
; %bb.189:
	v_cmp_ge_u32_e64 s3, v1, v55
	s_mov_b32 s8, exec_lo
                                        ; implicit-def: $vgpr6_vgpr7
	v_cmpx_lt_u32_e64 v1, v55
; %bb.190:
	v_lshl_add_u32 v6, v1, 3, v2
	ds_load_b64 v[6:7], v6
; %bb.191:
	s_or_b32 exec_lo, exec_lo, s8
	v_cmp_ge_u32_e64 s8, v3, v64
	s_mov_b32 s9, exec_lo
                                        ; implicit-def: $vgpr8_vgpr9
	v_cmpx_lt_u32_e64 v3, v64
; %bb.192:
	v_lshl_add_u32 v8, v3, 3, v2
	ds_load_b64 v[8:9], v8
; %bb.193:
	s_or_b32 exec_lo, exec_lo, s9
	s_nor_b32 s3, s3, s8
	s_delay_alu instid0(SALU_CYCLE_1)
	s_and_saveexec_b32 s4, s3
	s_cbranch_execz .LBB1132_195
; %bb.194:
	s_wait_dscnt 0x0
	v_add_f64_e32 v[14:15], 0, v[6:7]
	v_add_f64_e32 v[12:13], 0, v[8:9]
	s_and_not1_b32 s8, s8, exec_lo
	s_delay_alu instid0(VALU_DEP_1) | instskip(NEXT) | instid1(VALU_DEP_1)
	v_dual_ashrrev_i32 v17, 31, v15 :: v_dual_ashrrev_i32 v16, 31, v13
	v_or_b32_e32 v19, 0x80000000, v17
	s_delay_alu instid0(VALU_DEP_2) | instskip(NEXT) | instid1(VALU_DEP_4)
	v_or_b32_e32 v18, 0x80000000, v16
	v_xor_b32_e32 v12, v16, v12
	v_xor_b32_e32 v14, v17, v14
	s_delay_alu instid0(VALU_DEP_4) | instskip(NEXT) | instid1(VALU_DEP_4)
	v_xor_b32_e32 v15, v19, v15
	v_xor_b32_e32 v13, v18, v13
	s_delay_alu instid0(VALU_DEP_1) | instskip(SKIP_1) | instid1(SALU_CYCLE_1)
	v_cmp_le_u64_e64 s3, v[12:13], v[14:15]
	s_and_b32 s3, s3, exec_lo
	s_or_b32 s8, s8, s3
.LBB1132_195:
	s_or_b32 exec_lo, exec_lo, s4
	v_dual_cndmask_b32 v12, v3, v1, s8 :: v_dual_cndmask_b32 v13, v64, v55, s8
	s_mov_b32 s9, -1
	s_mov_b32 s4, -1
	s_mov_b32 s10, exec_lo
	s_delay_alu instid0(VALU_DEP_1) | instskip(SKIP_1) | instid1(VALU_DEP_2)
	v_add_nc_u32_e32 v16, 1, v12
	v_lshl_add_u32 v12, v12, 3, v2
	v_add_min_u32_e64 v13, v13, -1, v16
	s_delay_alu instid0(VALU_DEP_1)
	v_lshl_add_u32 v13, v13, 3, v2
	ds_load_b64 v[14:15], v13
	ds_load_b64 v[12:13], v12 offset:8192
	s_wait_dscnt 0x1
	v_dual_cndmask_b32 v21, v15, v9, s8 :: v_dual_cndmask_b32 v3, v16, v3, s8
	v_cndmask_b32_e64 v1, v1, v16, s8
	v_dual_cndmask_b32 v20, v14, v8, s8 :: v_dual_cndmask_b32 v23, v7, v15, s8
	v_cndmask_b32_e64 v22, v6, v14, s8
	s_delay_alu instid0(VALU_DEP_4)
	v_cmpx_lt_u32_e64 v3, v64
	s_cbranch_execz .LBB1132_199
; %bb.196:
	s_mov_b32 s11, 0
	s_mov_b32 s4, exec_lo
	v_cmpx_lt_u32_e64 v1, v55
	s_cbranch_execz .LBB1132_198
; %bb.197:
	v_add_f64_e32 v[14:15], 0, v[20:21]
	v_add_f64_e32 v[16:17], 0, v[22:23]
	s_delay_alu instid0(VALU_DEP_1) | instskip(NEXT) | instid1(VALU_DEP_1)
	v_dual_ashrrev_i32 v18, 31, v15 :: v_dual_ashrrev_i32 v19, 31, v17
	v_or_b32_e32 v24, 0x80000000, v18
	s_delay_alu instid0(VALU_DEP_2) | instskip(SKIP_2) | instid1(VALU_DEP_4)
	v_or_b32_e32 v25, 0x80000000, v19
	v_xor_b32_e32 v14, v18, v14
	v_xor_b32_e32 v16, v19, v16
	;; [unrolled: 1-line block ×3, first 2 shown]
	s_delay_alu instid0(VALU_DEP_4) | instskip(NEXT) | instid1(VALU_DEP_1)
	v_xor_b32_e32 v17, v25, v17
	v_cmp_le_u64_e64 s3, v[14:15], v[16:17]
	s_and_b32 s11, s3, exec_lo
.LBB1132_198:
	s_or_b32 exec_lo, exec_lo, s4
	s_delay_alu instid0(SALU_CYCLE_1)
	s_or_not1_b32 s4, s11, exec_lo
.LBB1132_199:
	s_or_b32 exec_lo, exec_lo, s10
	v_dual_cndmask_b32 v14, v3, v1, s4 :: v_dual_cndmask_b32 v15, v64, v55, s4
	s_mov_b32 s10, exec_lo
	s_delay_alu instid0(VALU_DEP_1) | instskip(SKIP_1) | instid1(VALU_DEP_2)
	v_add_nc_u32_e32 v18, 1, v14
	v_lshl_add_u32 v14, v14, 3, v2
	v_add_min_u32_e64 v15, v15, -1, v18
	s_delay_alu instid0(VALU_DEP_1)
	v_lshl_add_u32 v15, v15, 3, v2
	ds_load_b64 v[16:17], v15
	ds_load_b64 v[14:15], v14 offset:8192
	s_wait_dscnt 0x1
	v_dual_cndmask_b32 v25, v17, v21, s4 :: v_dual_cndmask_b32 v3, v18, v3, s4
	v_dual_cndmask_b32 v1, v1, v18, s4 :: v_dual_cndmask_b32 v24, v16, v20, s4
	;; [unrolled: 1-line block ×3, first 2 shown]
	s_delay_alu instid0(VALU_DEP_3)
	v_cmpx_lt_u32_e64 v3, v64
	s_cbranch_execz .LBB1132_203
; %bb.200:
	s_mov_b32 s11, 0
	s_mov_b32 s9, exec_lo
	v_cmpx_lt_u32_e64 v1, v55
	s_cbranch_execz .LBB1132_202
; %bb.201:
	v_add_f64_e32 v[18:19], 0, v[26:27]
	s_delay_alu instid0(VALU_DEP_1) | instskip(NEXT) | instid1(VALU_DEP_1)
	v_dual_add_f64 v[16:17], 0, v[24:25] :: v_dual_ashrrev_i32 v29, 31, v19
	v_ashrrev_i32_e32 v28, 31, v17
	s_delay_alu instid0(VALU_DEP_2) | instskip(NEXT) | instid1(VALU_DEP_2)
	v_or_b32_e32 v31, 0x80000000, v29
	v_or_b32_e32 v30, 0x80000000, v28
	s_delay_alu instid0(VALU_DEP_4) | instskip(SKIP_1) | instid1(VALU_DEP_4)
	v_xor_b32_e32 v16, v28, v16
	v_xor_b32_e32 v18, v29, v18
	v_xor_b32_e32 v19, v31, v19
	s_delay_alu instid0(VALU_DEP_4) | instskip(NEXT) | instid1(VALU_DEP_1)
	v_xor_b32_e32 v17, v30, v17
	v_cmp_le_u64_e64 s3, v[16:17], v[18:19]
	s_and_b32 s11, s3, exec_lo
.LBB1132_202:
	s_or_b32 exec_lo, exec_lo, s9
	s_delay_alu instid0(SALU_CYCLE_1)
	s_or_not1_b32 s9, s11, exec_lo
.LBB1132_203:
	s_or_b32 exec_lo, exec_lo, s10
	v_dual_cndmask_b32 v16, v3, v1, s9 :: v_dual_cndmask_b32 v17, v64, v55, s9
	s_mov_b32 s11, -1
	s_mov_b32 s10, exec_lo
	s_delay_alu instid0(VALU_DEP_1) | instskip(SKIP_1) | instid1(VALU_DEP_2)
	v_add_nc_u32_e32 v28, 1, v16
	v_lshl_add_u32 v16, v16, 3, v2
	v_add_min_u32_e64 v17, v17, -1, v28
	s_delay_alu instid0(VALU_DEP_1)
	v_lshl_add_u32 v17, v17, 3, v2
	ds_load_b64 v[18:19], v17
	ds_load_b64 v[16:17], v16 offset:8192
	s_wait_dscnt 0x1
	v_dual_cndmask_b32 v29, v19, v25, s9 :: v_dual_cndmask_b32 v3, v28, v3, s9
	v_cndmask_b32_e64 v1, v1, v28, s9
	v_dual_cndmask_b32 v28, v18, v24, s9 :: v_dual_cndmask_b32 v31, v27, v19, s9
	v_cndmask_b32_e64 v30, v26, v18, s9
	s_delay_alu instid0(VALU_DEP_4)
	v_cmpx_lt_u32_e64 v3, v64
	s_cbranch_execz .LBB1132_207
; %bb.204:
	s_mov_b32 s12, 0
	s_mov_b32 s11, exec_lo
	v_cmpx_lt_u32_e64 v1, v55
	s_cbranch_execz .LBB1132_206
; %bb.205:
	v_add_f64_e32 v[18:19], 0, v[28:29]
	v_add_f64_e32 v[32:33], 0, v[30:31]
	s_delay_alu instid0(VALU_DEP_1) | instskip(NEXT) | instid1(VALU_DEP_1)
	v_dual_ashrrev_i32 v34, 31, v19 :: v_dual_ashrrev_i32 v35, 31, v33
	v_or_b32_e32 v38, 0x80000000, v34
	s_delay_alu instid0(VALU_DEP_2) | instskip(SKIP_2) | instid1(VALU_DEP_4)
	v_or_b32_e32 v39, 0x80000000, v35
	v_xor_b32_e32 v18, v34, v18
	v_xor_b32_e32 v32, v35, v32
	;; [unrolled: 1-line block ×3, first 2 shown]
	s_delay_alu instid0(VALU_DEP_4) | instskip(NEXT) | instid1(VALU_DEP_1)
	v_xor_b32_e32 v33, v39, v33
	v_cmp_le_u64_e64 s3, v[18:19], v[32:33]
	s_and_b32 s12, s3, exec_lo
.LBB1132_206:
	s_or_b32 exec_lo, exec_lo, s11
	s_delay_alu instid0(SALU_CYCLE_1)
	s_or_not1_b32 s11, s12, exec_lo
.LBB1132_207:
	s_or_b32 exec_lo, exec_lo, s10
	v_dual_cndmask_b32 v1, v3, v1, s11 :: v_dual_cndmask_b32 v27, v25, v27, s9
	v_dual_cndmask_b32 v26, v24, v26, s9 :: v_dual_cndmask_b32 v49, v21, v23, s4
	;; [unrolled: 1-line block ×3, first 2 shown]
	s_delay_alu instid0(VALU_DEP_3)
	v_lshl_add_u32 v1, v1, 3, v2
	v_dual_cndmask_b32 v50, v8, v6, s8 :: v_dual_cndmask_b32 v9, v29, v31, s11
	v_cndmask_b32_e64 v8, v28, v30, s11
	ds_load_b64 v[18:19], v1 offset:8192
.LBB1132_208:
	s_or_b32 exec_lo, exec_lo, s5
	v_lshl_add_u64 v[2:3], v[36:37], 3, v[4:5]
	v_mov_b32_e32 v1, 0
	; wave barrier
	s_wait_storecnt_dscnt 0x0
	s_barrier_signal -1
	s_delay_alu instid0(VALU_DEP_1)
	v_add_nc_u64_e32 v[2:3], v[2:3], v[0:1]
	s_barrier_wait -1
	; wave barrier
	s_and_saveexec_b32 s3, vcc_lo
	s_cbranch_execnz .LBB1132_230
; %bb.209:
	s_or_b32 exec_lo, exec_lo, s3
	s_and_saveexec_b32 s3, s0
	s_cbranch_execnz .LBB1132_231
.LBB1132_210:
	s_or_b32 exec_lo, exec_lo, s3
	s_and_saveexec_b32 s3, s2
	s_cbranch_execnz .LBB1132_232
.LBB1132_211:
	s_or_b32 exec_lo, exec_lo, s3
	s_and_saveexec_b32 s3, s1
	s_cbranch_execz .LBB1132_213
.LBB1132_212:
	flat_store_b64 v[2:3], v[8:9] offset:24
.LBB1132_213:
	s_wait_xcnt 0x0
	s_or_b32 exec_lo, exec_lo, s3
	v_lshl_add_u64 v[2:3], v[36:37], 3, v[10:11]
	v_mov_b32_e32 v1, 0
	; wave barrier
	s_delay_alu instid0(VALU_DEP_1)
	v_add_nc_u64_e32 v[2:3], v[2:3], v[0:1]
	s_and_saveexec_b32 s3, vcc_lo
	s_cbranch_execnz .LBB1132_233
; %bb.214:
	s_or_b32 exec_lo, exec_lo, s3
	s_and_saveexec_b32 s3, s0
	s_cbranch_execnz .LBB1132_234
.LBB1132_215:
	s_or_b32 exec_lo, exec_lo, s3
	s_and_saveexec_b32 s0, s2
	s_cbranch_execz .LBB1132_217
.LBB1132_216:
	flat_store_b64 v[2:3], v[16:17] offset:16
.LBB1132_217:
	s_wait_xcnt 0x0
	s_or_b32 exec_lo, exec_lo, s0
	v_mov_b64_e32 v[8:9], v[10:11]
	s_and_not1_b32 s0, s6, exec_lo
	s_and_b32 s1, s1, exec_lo
	s_delay_alu instid0(SALU_CYCLE_1)
	s_or_b32 s6, s0, s1
	s_or_b32 exec_lo, exec_lo, s7
	s_and_saveexec_b32 s0, s6
	s_cbranch_execz .LBB1132_3
.LBB1132_218:
	v_lshl_add_u64 v[2:3], v[36:37], 3, v[8:9]
	v_mov_b32_e32 v1, 0
	s_delay_alu instid0(VALU_DEP_1)
	v_add_nc_u64_e32 v[0:1], v[2:3], v[0:1]
	flat_store_b64 v[0:1], v[18:19] offset:24
	s_wait_xcnt 0x0
	s_or_b32 exec_lo, exec_lo, s0
	s_wait_dscnt 0x0
	s_set_pc_i64 s[30:31]
.LBB1132_219:
	flat_load_b64 v[12:13], v[4:5]
	v_dual_mov_b32 v14, v1 :: v_dual_mov_b32 v15, v1
	v_dual_mov_b32 v16, v1 :: v_dual_mov_b32 v17, v1
	;; [unrolled: 1-line block ×3, first 2 shown]
	s_wait_xcnt 0x0
	s_or_b32 exec_lo, exec_lo, s3
	s_and_saveexec_b32 s3, s0
	s_cbranch_execz .LBB1132_14
.LBB1132_220:
	flat_load_b64 v[14:15], v[4:5] offset:8
	s_wait_xcnt 0x0
	s_or_b32 exec_lo, exec_lo, s3
	s_and_saveexec_b32 s3, s1
	s_cbranch_execz .LBB1132_15
.LBB1132_221:
	flat_load_b64 v[16:17], v[4:5] offset:16
	s_wait_xcnt 0x0
	s_or_b32 exec_lo, exec_lo, s3
	s_and_saveexec_b32 s3, s2
	s_cbranch_execnz .LBB1132_16
	s_branch .LBB1132_17
.LBB1132_222:
	flat_store_b64 v[2:3], v[34:35]
	s_wait_xcnt 0x0
	s_or_b32 exec_lo, exec_lo, s3
	s_and_saveexec_b32 s3, s0
	s_cbranch_execz .LBB1132_103
.LBB1132_223:
	flat_store_b64 v[2:3], v[32:33] offset:8
	s_wait_xcnt 0x0
	s_or_b32 exec_lo, exec_lo, s3
	s_and_saveexec_b32 s3, s1
	s_cbranch_execz .LBB1132_104
.LBB1132_224:
	flat_store_b64 v[2:3], v[10:11] offset:16
	s_wait_xcnt 0x0
	s_or_b32 exec_lo, exec_lo, s3
	s_and_saveexec_b32 s3, s2
	s_cbranch_execnz .LBB1132_105
	s_branch .LBB1132_106
.LBB1132_225:
	flat_store_b64 v[2:3], v[12:13]
	s_wait_xcnt 0x0
	s_or_b32 exec_lo, exec_lo, s3
	s_and_saveexec_b32 s3, s0
	s_cbranch_execz .LBB1132_108
.LBB1132_226:
	flat_store_b64 v[2:3], v[14:15] offset:8
	s_wait_xcnt 0x0
	s_or_b32 exec_lo, exec_lo, s3
	s_and_saveexec_b32 s0, s1
	s_cbranch_execnz .LBB1132_109
	s_branch .LBB1132_110
.LBB1132_227:
	flat_load_b64 v[12:13], v[2:3]
	v_dual_mov_b32 v14, v1 :: v_dual_mov_b32 v15, v1
	v_dual_mov_b32 v16, v1 :: v_dual_mov_b32 v17, v1
	;; [unrolled: 1-line block ×3, first 2 shown]
	s_wait_xcnt 0x0
	s_or_b32 exec_lo, exec_lo, s3
	s_and_saveexec_b32 s3, s0
	s_cbranch_execz .LBB1132_121
.LBB1132_228:
	flat_load_b64 v[14:15], v[2:3] offset:8
	s_wait_xcnt 0x0
	s_or_b32 exec_lo, exec_lo, s3
	s_and_saveexec_b32 s3, s2
	s_cbranch_execz .LBB1132_122
.LBB1132_229:
	flat_load_b64 v[16:17], v[2:3] offset:16
	s_wait_xcnt 0x0
	s_or_b32 exec_lo, exec_lo, s3
	s_and_saveexec_b32 s3, s1
	s_cbranch_execnz .LBB1132_123
	s_branch .LBB1132_124
.LBB1132_230:
	flat_store_b64 v[2:3], v[50:51]
	s_wait_xcnt 0x0
	s_or_b32 exec_lo, exec_lo, s3
	s_and_saveexec_b32 s3, s0
	s_cbranch_execz .LBB1132_210
.LBB1132_231:
	flat_store_b64 v[2:3], v[48:49] offset:8
	s_wait_xcnt 0x0
	s_or_b32 exec_lo, exec_lo, s3
	s_and_saveexec_b32 s3, s2
	s_cbranch_execz .LBB1132_211
.LBB1132_232:
	flat_store_b64 v[2:3], v[26:27] offset:16
	s_wait_xcnt 0x0
	s_or_b32 exec_lo, exec_lo, s3
	s_and_saveexec_b32 s3, s1
	s_cbranch_execnz .LBB1132_212
	s_branch .LBB1132_213
.LBB1132_233:
	flat_store_b64 v[2:3], v[12:13]
	s_wait_xcnt 0x0
	s_or_b32 exec_lo, exec_lo, s3
	s_and_saveexec_b32 s3, s0
	s_cbranch_execz .LBB1132_215
.LBB1132_234:
	flat_store_b64 v[2:3], v[14:15] offset:8
	s_wait_xcnt 0x0
	s_or_b32 exec_lo, exec_lo, s3
	s_and_saveexec_b32 s0, s2
	s_cbranch_execnz .LBB1132_216
	s_branch .LBB1132_217
.Lfunc_end1132:
	.size	_ZN7rocprim17ROCPRIM_400000_NS6detail26segmented_warp_sort_helperINS1_20WarpSortHelperConfigILj8ELj4ELj256EEEdlLi256ELb1EvE4sortIPKdPdPKlPlEEvT_S9_T0_T1_SC_T2_bjjjjRNS5_12storage_typeE, .Lfunc_end1132-_ZN7rocprim17ROCPRIM_400000_NS6detail26segmented_warp_sort_helperINS1_20WarpSortHelperConfigILj8ELj4ELj256EEEdlLi256ELb1EvE4sortIPKdPdPKlPlEEvT_S9_T0_T1_SC_T2_bjjjjRNS5_12storage_typeE
                                        ; -- End function
	.set .L_ZN7rocprim17ROCPRIM_400000_NS6detail26segmented_warp_sort_helperINS1_20WarpSortHelperConfigILj8ELj4ELj256EEEdlLi256ELb1EvE4sortIPKdPdPKlPlEEvT_S9_T0_T1_SC_T2_bjjjjRNS5_12storage_typeE.num_vgpr, 69
	.set .L_ZN7rocprim17ROCPRIM_400000_NS6detail26segmented_warp_sort_helperINS1_20WarpSortHelperConfigILj8ELj4ELj256EEEdlLi256ELb1EvE4sortIPKdPdPKlPlEEvT_S9_T0_T1_SC_T2_bjjjjRNS5_12storage_typeE.num_agpr, 0
	.set .L_ZN7rocprim17ROCPRIM_400000_NS6detail26segmented_warp_sort_helperINS1_20WarpSortHelperConfigILj8ELj4ELj256EEEdlLi256ELb1EvE4sortIPKdPdPKlPlEEvT_S9_T0_T1_SC_T2_bjjjjRNS5_12storage_typeE.numbered_sgpr, 32
	.set .L_ZN7rocprim17ROCPRIM_400000_NS6detail26segmented_warp_sort_helperINS1_20WarpSortHelperConfigILj8ELj4ELj256EEEdlLi256ELb1EvE4sortIPKdPdPKlPlEEvT_S9_T0_T1_SC_T2_bjjjjRNS5_12storage_typeE.num_named_barrier, 0
	.set .L_ZN7rocprim17ROCPRIM_400000_NS6detail26segmented_warp_sort_helperINS1_20WarpSortHelperConfigILj8ELj4ELj256EEEdlLi256ELb1EvE4sortIPKdPdPKlPlEEvT_S9_T0_T1_SC_T2_bjjjjRNS5_12storage_typeE.private_seg_size, 0
	.set .L_ZN7rocprim17ROCPRIM_400000_NS6detail26segmented_warp_sort_helperINS1_20WarpSortHelperConfigILj8ELj4ELj256EEEdlLi256ELb1EvE4sortIPKdPdPKlPlEEvT_S9_T0_T1_SC_T2_bjjjjRNS5_12storage_typeE.uses_vcc, 1
	.set .L_ZN7rocprim17ROCPRIM_400000_NS6detail26segmented_warp_sort_helperINS1_20WarpSortHelperConfigILj8ELj4ELj256EEEdlLi256ELb1EvE4sortIPKdPdPKlPlEEvT_S9_T0_T1_SC_T2_bjjjjRNS5_12storage_typeE.uses_flat_scratch, 0
	.set .L_ZN7rocprim17ROCPRIM_400000_NS6detail26segmented_warp_sort_helperINS1_20WarpSortHelperConfigILj8ELj4ELj256EEEdlLi256ELb1EvE4sortIPKdPdPKlPlEEvT_S9_T0_T1_SC_T2_bjjjjRNS5_12storage_typeE.has_dyn_sized_stack, 0
	.set .L_ZN7rocprim17ROCPRIM_400000_NS6detail26segmented_warp_sort_helperINS1_20WarpSortHelperConfigILj8ELj4ELj256EEEdlLi256ELb1EvE4sortIPKdPdPKlPlEEvT_S9_T0_T1_SC_T2_bjjjjRNS5_12storage_typeE.has_recursion, 0
	.set .L_ZN7rocprim17ROCPRIM_400000_NS6detail26segmented_warp_sort_helperINS1_20WarpSortHelperConfigILj8ELj4ELj256EEEdlLi256ELb1EvE4sortIPKdPdPKlPlEEvT_S9_T0_T1_SC_T2_bjjjjRNS5_12storage_typeE.has_indirect_call, 0
	.section	.AMDGPU.csdata,"",@progbits
; Function info:
; codeLenInByte = 12376
; TotalNumSgprs: 34
; NumVgprs: 69
; ScratchSize: 0
; MemoryBound: 1
	.section	.text._ZN7rocprim17ROCPRIM_400000_NS6detail17trampoline_kernelINS0_14default_configENS1_36segmented_radix_sort_config_selectorIdlEEZNS1_25segmented_radix_sort_implIS3_Lb1EPKdPdPKlPlN2at6native12_GLOBAL__N_18offset_tEEE10hipError_tPvRmT1_PNSt15iterator_traitsISK_E10value_typeET2_T3_PNSL_ISQ_E10value_typeET4_jRbjT5_SW_jjP12ihipStream_tbEUlT_E1_NS1_11comp_targetILNS1_3genE0ELNS1_11target_archE4294967295ELNS1_3gpuE0ELNS1_3repE0EEENS1_59segmented_radix_sort_warp_sort_small_config_static_selectorELNS0_4arch9wavefront6targetE0EEEvSK_,"axG",@progbits,_ZN7rocprim17ROCPRIM_400000_NS6detail17trampoline_kernelINS0_14default_configENS1_36segmented_radix_sort_config_selectorIdlEEZNS1_25segmented_radix_sort_implIS3_Lb1EPKdPdPKlPlN2at6native12_GLOBAL__N_18offset_tEEE10hipError_tPvRmT1_PNSt15iterator_traitsISK_E10value_typeET2_T3_PNSL_ISQ_E10value_typeET4_jRbjT5_SW_jjP12ihipStream_tbEUlT_E1_NS1_11comp_targetILNS1_3genE0ELNS1_11target_archE4294967295ELNS1_3gpuE0ELNS1_3repE0EEENS1_59segmented_radix_sort_warp_sort_small_config_static_selectorELNS0_4arch9wavefront6targetE0EEEvSK_,comdat
	.globl	_ZN7rocprim17ROCPRIM_400000_NS6detail17trampoline_kernelINS0_14default_configENS1_36segmented_radix_sort_config_selectorIdlEEZNS1_25segmented_radix_sort_implIS3_Lb1EPKdPdPKlPlN2at6native12_GLOBAL__N_18offset_tEEE10hipError_tPvRmT1_PNSt15iterator_traitsISK_E10value_typeET2_T3_PNSL_ISQ_E10value_typeET4_jRbjT5_SW_jjP12ihipStream_tbEUlT_E1_NS1_11comp_targetILNS1_3genE0ELNS1_11target_archE4294967295ELNS1_3gpuE0ELNS1_3repE0EEENS1_59segmented_radix_sort_warp_sort_small_config_static_selectorELNS0_4arch9wavefront6targetE0EEEvSK_ ; -- Begin function _ZN7rocprim17ROCPRIM_400000_NS6detail17trampoline_kernelINS0_14default_configENS1_36segmented_radix_sort_config_selectorIdlEEZNS1_25segmented_radix_sort_implIS3_Lb1EPKdPdPKlPlN2at6native12_GLOBAL__N_18offset_tEEE10hipError_tPvRmT1_PNSt15iterator_traitsISK_E10value_typeET2_T3_PNSL_ISQ_E10value_typeET4_jRbjT5_SW_jjP12ihipStream_tbEUlT_E1_NS1_11comp_targetILNS1_3genE0ELNS1_11target_archE4294967295ELNS1_3gpuE0ELNS1_3repE0EEENS1_59segmented_radix_sort_warp_sort_small_config_static_selectorELNS0_4arch9wavefront6targetE0EEEvSK_
	.p2align	8
	.type	_ZN7rocprim17ROCPRIM_400000_NS6detail17trampoline_kernelINS0_14default_configENS1_36segmented_radix_sort_config_selectorIdlEEZNS1_25segmented_radix_sort_implIS3_Lb1EPKdPdPKlPlN2at6native12_GLOBAL__N_18offset_tEEE10hipError_tPvRmT1_PNSt15iterator_traitsISK_E10value_typeET2_T3_PNSL_ISQ_E10value_typeET4_jRbjT5_SW_jjP12ihipStream_tbEUlT_E1_NS1_11comp_targetILNS1_3genE0ELNS1_11target_archE4294967295ELNS1_3gpuE0ELNS1_3repE0EEENS1_59segmented_radix_sort_warp_sort_small_config_static_selectorELNS0_4arch9wavefront6targetE0EEEvSK_,@function
_ZN7rocprim17ROCPRIM_400000_NS6detail17trampoline_kernelINS0_14default_configENS1_36segmented_radix_sort_config_selectorIdlEEZNS1_25segmented_radix_sort_implIS3_Lb1EPKdPdPKlPlN2at6native12_GLOBAL__N_18offset_tEEE10hipError_tPvRmT1_PNSt15iterator_traitsISK_E10value_typeET2_T3_PNSL_ISQ_E10value_typeET4_jRbjT5_SW_jjP12ihipStream_tbEUlT_E1_NS1_11comp_targetILNS1_3genE0ELNS1_11target_archE4294967295ELNS1_3gpuE0ELNS1_3repE0EEENS1_59segmented_radix_sort_warp_sort_small_config_static_selectorELNS0_4arch9wavefront6targetE0EEEvSK_: ; @_ZN7rocprim17ROCPRIM_400000_NS6detail17trampoline_kernelINS0_14default_configENS1_36segmented_radix_sort_config_selectorIdlEEZNS1_25segmented_radix_sort_implIS3_Lb1EPKdPdPKlPlN2at6native12_GLOBAL__N_18offset_tEEE10hipError_tPvRmT1_PNSt15iterator_traitsISK_E10value_typeET2_T3_PNSL_ISQ_E10value_typeET4_jRbjT5_SW_jjP12ihipStream_tbEUlT_E1_NS1_11comp_targetILNS1_3genE0ELNS1_11target_archE4294967295ELNS1_3gpuE0ELNS1_3repE0EEENS1_59segmented_radix_sort_warp_sort_small_config_static_selectorELNS0_4arch9wavefront6targetE0EEEvSK_
; %bb.0:
	s_load_b32 s4, s[2:3], 0x64
	v_bfe_u32 v1, v0, 10, 10
	v_bfe_u32 v2, v0, 20, 10
	v_and_b32_e32 v3, 0x3ff, v0
	s_and_b32 s6, ttmp6, 15
	s_getreg_b32 s7, hwreg(HW_REG_IB_STS2, 6, 4)
	s_mov_b32 s32, 0
	s_wait_kmcnt 0x0
	s_lshr_b32 s5, s4, 16
	s_and_b32 s4, s4, 0xffff
	v_mad_u32_u24 v1, v2, s5, v1
	s_bfe_u32 s5, ttmp6, 0x4000c
	s_delay_alu instid0(SALU_CYCLE_1) | instskip(NEXT) | instid1(SALU_CYCLE_1)
	s_add_co_i32 s5, s5, 1
	s_mul_i32 s5, ttmp9, s5
	s_delay_alu instid0(VALU_DEP_1) | instskip(SKIP_4) | instid1(VALU_DEP_1)
	v_mad_u32 v1, v1, s4, v3
	s_load_b32 s4, s[2:3], 0x34
	s_add_co_i32 s6, s6, s5
	s_cmp_eq_u32 s7, 0
	s_cselect_b32 s5, ttmp9, s6
	v_lshrrev_b32_e32 v1, 3, v1
	s_delay_alu instid0(VALU_DEP_1) | instskip(SKIP_1) | instid1(VALU_DEP_1)
	v_lshl_add_u32 v2, s5, 5, v1
	s_wait_kmcnt 0x0
	v_cmp_gt_u32_e32 vcc_lo, s4, v2
	s_and_saveexec_b32 s4, vcc_lo
	s_cbranch_execz .LBB1133_3
; %bb.1:
	s_clause 0x1
	s_load_b64 s[8:9], s[2:3], 0x38
	s_load_b128 s[4:7], s[2:3], 0x40
	v_mov_b32_e32 v3, 0
	s_delay_alu instid0(VALU_DEP_1) | instskip(SKIP_1) | instid1(VALU_DEP_1)
	v_lshlrev_b64_e32 v[2:3], 2, v[2:3]
	s_wait_kmcnt 0x0
	v_sub_nc_u64_e32 v[2:3], s[8:9], v[2:3]
	global_load_b32 v1, v[2:3], off offset:-4
	s_wait_loadcnt 0x0
	v_dual_add_nc_u32 v2, s5, v1 :: v_dual_add_nc_u32 v1, s7, v1
	s_delay_alu instid0(VALU_DEP_1) | instskip(NEXT) | instid1(VALU_DEP_2)
	v_mul_lo_u32 v13, v2, s4
	v_mul_lo_u32 v14, v1, s6
	s_delay_alu instid0(VALU_DEP_1)
	v_cmp_gt_u32_e32 vcc_lo, v14, v13
	s_and_b32 exec_lo, exec_lo, vcc_lo
	s_cbranch_execz .LBB1133_3
; %bb.2:
	s_mov_b64 s[10:11], src_shared_base
	s_clause 0x2
	s_load_b32 s10, s[2:3], 0x30
	s_load_b256 s[12:19], s[2:3], 0x0
	s_load_b128 s[4:7], s[2:3], 0x20
	v_dual_mov_b32 v31, v0 :: v_dual_mov_b32 v15, 0
	v_mov_b32_e32 v16, s11
	s_add_nc_u64 s[8:9], s[2:3], 0x58
	s_wait_xcnt 0x0
	s_get_pc_i64 s[2:3]
	s_add_nc_u64 s[2:3], s[2:3], _ZN7rocprim17ROCPRIM_400000_NS6detail26segmented_warp_sort_helperINS1_20WarpSortHelperConfigILj8ELj4ELj256EEEdlLi256ELb1EvE4sortIPKdPdPKlPlEEvT_S9_T0_T1_SC_T2_bjjjjRNS5_12storage_typeE@rel64+4
	s_wait_kmcnt 0x0
	s_and_b32 s10, s10, 0xff
	v_dual_mov_b32 v0, s12 :: v_dual_mov_b32 v1, s13
	v_dual_mov_b32 v2, s14 :: v_dual_mov_b32 v3, s15
	;; [unrolled: 1-line block ×6, first 2 shown]
	v_mov_b32_e32 v12, s10
	s_mov_b64 s[6:7], s[0:1]
	s_swap_pc_i64 s[30:31], s[2:3]
.LBB1133_3:
	s_endpgm
	.section	.rodata,"a",@progbits
	.p2align	6, 0x0
	.amdhsa_kernel _ZN7rocprim17ROCPRIM_400000_NS6detail17trampoline_kernelINS0_14default_configENS1_36segmented_radix_sort_config_selectorIdlEEZNS1_25segmented_radix_sort_implIS3_Lb1EPKdPdPKlPlN2at6native12_GLOBAL__N_18offset_tEEE10hipError_tPvRmT1_PNSt15iterator_traitsISK_E10value_typeET2_T3_PNSL_ISQ_E10value_typeET4_jRbjT5_SW_jjP12ihipStream_tbEUlT_E1_NS1_11comp_targetILNS1_3genE0ELNS1_11target_archE4294967295ELNS1_3gpuE0ELNS1_3repE0EEENS1_59segmented_radix_sort_warp_sort_small_config_static_selectorELNS0_4arch9wavefront6targetE0EEEvSK_
		.amdhsa_group_segment_fixed_size 16384
		.amdhsa_private_segment_fixed_size 0
		.amdhsa_kernarg_size 344
		.amdhsa_user_sgpr_count 4
		.amdhsa_user_sgpr_dispatch_ptr 0
		.amdhsa_user_sgpr_queue_ptr 1
		.amdhsa_user_sgpr_kernarg_segment_ptr 1
		.amdhsa_user_sgpr_dispatch_id 0
		.amdhsa_user_sgpr_kernarg_preload_length 0
		.amdhsa_user_sgpr_kernarg_preload_offset 0
		.amdhsa_user_sgpr_private_segment_size 0
		.amdhsa_wavefront_size32 1
		.amdhsa_uses_dynamic_stack 0
		.amdhsa_enable_private_segment 0
		.amdhsa_system_sgpr_workgroup_id_x 1
		.amdhsa_system_sgpr_workgroup_id_y 1
		.amdhsa_system_sgpr_workgroup_id_z 0
		.amdhsa_system_sgpr_workgroup_info 0
		.amdhsa_system_vgpr_workitem_id 2
		.amdhsa_next_free_vgpr 69
		.amdhsa_next_free_sgpr 33
		.amdhsa_named_barrier_count 0
		.amdhsa_reserve_vcc 1
		.amdhsa_float_round_mode_32 0
		.amdhsa_float_round_mode_16_64 0
		.amdhsa_float_denorm_mode_32 3
		.amdhsa_float_denorm_mode_16_64 3
		.amdhsa_fp16_overflow 0
		.amdhsa_memory_ordered 1
		.amdhsa_forward_progress 1
		.amdhsa_inst_pref_size 4
		.amdhsa_round_robin_scheduling 0
		.amdhsa_exception_fp_ieee_invalid_op 0
		.amdhsa_exception_fp_denorm_src 0
		.amdhsa_exception_fp_ieee_div_zero 0
		.amdhsa_exception_fp_ieee_overflow 0
		.amdhsa_exception_fp_ieee_underflow 0
		.amdhsa_exception_fp_ieee_inexact 0
		.amdhsa_exception_int_div_zero 0
	.end_amdhsa_kernel
	.section	.text._ZN7rocprim17ROCPRIM_400000_NS6detail17trampoline_kernelINS0_14default_configENS1_36segmented_radix_sort_config_selectorIdlEEZNS1_25segmented_radix_sort_implIS3_Lb1EPKdPdPKlPlN2at6native12_GLOBAL__N_18offset_tEEE10hipError_tPvRmT1_PNSt15iterator_traitsISK_E10value_typeET2_T3_PNSL_ISQ_E10value_typeET4_jRbjT5_SW_jjP12ihipStream_tbEUlT_E1_NS1_11comp_targetILNS1_3genE0ELNS1_11target_archE4294967295ELNS1_3gpuE0ELNS1_3repE0EEENS1_59segmented_radix_sort_warp_sort_small_config_static_selectorELNS0_4arch9wavefront6targetE0EEEvSK_,"axG",@progbits,_ZN7rocprim17ROCPRIM_400000_NS6detail17trampoline_kernelINS0_14default_configENS1_36segmented_radix_sort_config_selectorIdlEEZNS1_25segmented_radix_sort_implIS3_Lb1EPKdPdPKlPlN2at6native12_GLOBAL__N_18offset_tEEE10hipError_tPvRmT1_PNSt15iterator_traitsISK_E10value_typeET2_T3_PNSL_ISQ_E10value_typeET4_jRbjT5_SW_jjP12ihipStream_tbEUlT_E1_NS1_11comp_targetILNS1_3genE0ELNS1_11target_archE4294967295ELNS1_3gpuE0ELNS1_3repE0EEENS1_59segmented_radix_sort_warp_sort_small_config_static_selectorELNS0_4arch9wavefront6targetE0EEEvSK_,comdat
.Lfunc_end1133:
	.size	_ZN7rocprim17ROCPRIM_400000_NS6detail17trampoline_kernelINS0_14default_configENS1_36segmented_radix_sort_config_selectorIdlEEZNS1_25segmented_radix_sort_implIS3_Lb1EPKdPdPKlPlN2at6native12_GLOBAL__N_18offset_tEEE10hipError_tPvRmT1_PNSt15iterator_traitsISK_E10value_typeET2_T3_PNSL_ISQ_E10value_typeET4_jRbjT5_SW_jjP12ihipStream_tbEUlT_E1_NS1_11comp_targetILNS1_3genE0ELNS1_11target_archE4294967295ELNS1_3gpuE0ELNS1_3repE0EEENS1_59segmented_radix_sort_warp_sort_small_config_static_selectorELNS0_4arch9wavefront6targetE0EEEvSK_, .Lfunc_end1133-_ZN7rocprim17ROCPRIM_400000_NS6detail17trampoline_kernelINS0_14default_configENS1_36segmented_radix_sort_config_selectorIdlEEZNS1_25segmented_radix_sort_implIS3_Lb1EPKdPdPKlPlN2at6native12_GLOBAL__N_18offset_tEEE10hipError_tPvRmT1_PNSt15iterator_traitsISK_E10value_typeET2_T3_PNSL_ISQ_E10value_typeET4_jRbjT5_SW_jjP12ihipStream_tbEUlT_E1_NS1_11comp_targetILNS1_3genE0ELNS1_11target_archE4294967295ELNS1_3gpuE0ELNS1_3repE0EEENS1_59segmented_radix_sort_warp_sort_small_config_static_selectorELNS0_4arch9wavefront6targetE0EEEvSK_
                                        ; -- End function
	.set _ZN7rocprim17ROCPRIM_400000_NS6detail17trampoline_kernelINS0_14default_configENS1_36segmented_radix_sort_config_selectorIdlEEZNS1_25segmented_radix_sort_implIS3_Lb1EPKdPdPKlPlN2at6native12_GLOBAL__N_18offset_tEEE10hipError_tPvRmT1_PNSt15iterator_traitsISK_E10value_typeET2_T3_PNSL_ISQ_E10value_typeET4_jRbjT5_SW_jjP12ihipStream_tbEUlT_E1_NS1_11comp_targetILNS1_3genE0ELNS1_11target_archE4294967295ELNS1_3gpuE0ELNS1_3repE0EEENS1_59segmented_radix_sort_warp_sort_small_config_static_selectorELNS0_4arch9wavefront6targetE0EEEvSK_.num_vgpr, max(32, .L_ZN7rocprim17ROCPRIM_400000_NS6detail26segmented_warp_sort_helperINS1_20WarpSortHelperConfigILj8ELj4ELj256EEEdlLi256ELb1EvE4sortIPKdPdPKlPlEEvT_S9_T0_T1_SC_T2_bjjjjRNS5_12storage_typeE.num_vgpr)
	.set _ZN7rocprim17ROCPRIM_400000_NS6detail17trampoline_kernelINS0_14default_configENS1_36segmented_radix_sort_config_selectorIdlEEZNS1_25segmented_radix_sort_implIS3_Lb1EPKdPdPKlPlN2at6native12_GLOBAL__N_18offset_tEEE10hipError_tPvRmT1_PNSt15iterator_traitsISK_E10value_typeET2_T3_PNSL_ISQ_E10value_typeET4_jRbjT5_SW_jjP12ihipStream_tbEUlT_E1_NS1_11comp_targetILNS1_3genE0ELNS1_11target_archE4294967295ELNS1_3gpuE0ELNS1_3repE0EEENS1_59segmented_radix_sort_warp_sort_small_config_static_selectorELNS0_4arch9wavefront6targetE0EEEvSK_.num_agpr, max(0, .L_ZN7rocprim17ROCPRIM_400000_NS6detail26segmented_warp_sort_helperINS1_20WarpSortHelperConfigILj8ELj4ELj256EEEdlLi256ELb1EvE4sortIPKdPdPKlPlEEvT_S9_T0_T1_SC_T2_bjjjjRNS5_12storage_typeE.num_agpr)
	.set _ZN7rocprim17ROCPRIM_400000_NS6detail17trampoline_kernelINS0_14default_configENS1_36segmented_radix_sort_config_selectorIdlEEZNS1_25segmented_radix_sort_implIS3_Lb1EPKdPdPKlPlN2at6native12_GLOBAL__N_18offset_tEEE10hipError_tPvRmT1_PNSt15iterator_traitsISK_E10value_typeET2_T3_PNSL_ISQ_E10value_typeET4_jRbjT5_SW_jjP12ihipStream_tbEUlT_E1_NS1_11comp_targetILNS1_3genE0ELNS1_11target_archE4294967295ELNS1_3gpuE0ELNS1_3repE0EEENS1_59segmented_radix_sort_warp_sort_small_config_static_selectorELNS0_4arch9wavefront6targetE0EEEvSK_.numbered_sgpr, max(33, .L_ZN7rocprim17ROCPRIM_400000_NS6detail26segmented_warp_sort_helperINS1_20WarpSortHelperConfigILj8ELj4ELj256EEEdlLi256ELb1EvE4sortIPKdPdPKlPlEEvT_S9_T0_T1_SC_T2_bjjjjRNS5_12storage_typeE.numbered_sgpr)
	.set _ZN7rocprim17ROCPRIM_400000_NS6detail17trampoline_kernelINS0_14default_configENS1_36segmented_radix_sort_config_selectorIdlEEZNS1_25segmented_radix_sort_implIS3_Lb1EPKdPdPKlPlN2at6native12_GLOBAL__N_18offset_tEEE10hipError_tPvRmT1_PNSt15iterator_traitsISK_E10value_typeET2_T3_PNSL_ISQ_E10value_typeET4_jRbjT5_SW_jjP12ihipStream_tbEUlT_E1_NS1_11comp_targetILNS1_3genE0ELNS1_11target_archE4294967295ELNS1_3gpuE0ELNS1_3repE0EEENS1_59segmented_radix_sort_warp_sort_small_config_static_selectorELNS0_4arch9wavefront6targetE0EEEvSK_.num_named_barrier, max(0, .L_ZN7rocprim17ROCPRIM_400000_NS6detail26segmented_warp_sort_helperINS1_20WarpSortHelperConfigILj8ELj4ELj256EEEdlLi256ELb1EvE4sortIPKdPdPKlPlEEvT_S9_T0_T1_SC_T2_bjjjjRNS5_12storage_typeE.num_named_barrier)
	.set _ZN7rocprim17ROCPRIM_400000_NS6detail17trampoline_kernelINS0_14default_configENS1_36segmented_radix_sort_config_selectorIdlEEZNS1_25segmented_radix_sort_implIS3_Lb1EPKdPdPKlPlN2at6native12_GLOBAL__N_18offset_tEEE10hipError_tPvRmT1_PNSt15iterator_traitsISK_E10value_typeET2_T3_PNSL_ISQ_E10value_typeET4_jRbjT5_SW_jjP12ihipStream_tbEUlT_E1_NS1_11comp_targetILNS1_3genE0ELNS1_11target_archE4294967295ELNS1_3gpuE0ELNS1_3repE0EEENS1_59segmented_radix_sort_warp_sort_small_config_static_selectorELNS0_4arch9wavefront6targetE0EEEvSK_.private_seg_size, 0+max(.L_ZN7rocprim17ROCPRIM_400000_NS6detail26segmented_warp_sort_helperINS1_20WarpSortHelperConfigILj8ELj4ELj256EEEdlLi256ELb1EvE4sortIPKdPdPKlPlEEvT_S9_T0_T1_SC_T2_bjjjjRNS5_12storage_typeE.private_seg_size)
	.set _ZN7rocprim17ROCPRIM_400000_NS6detail17trampoline_kernelINS0_14default_configENS1_36segmented_radix_sort_config_selectorIdlEEZNS1_25segmented_radix_sort_implIS3_Lb1EPKdPdPKlPlN2at6native12_GLOBAL__N_18offset_tEEE10hipError_tPvRmT1_PNSt15iterator_traitsISK_E10value_typeET2_T3_PNSL_ISQ_E10value_typeET4_jRbjT5_SW_jjP12ihipStream_tbEUlT_E1_NS1_11comp_targetILNS1_3genE0ELNS1_11target_archE4294967295ELNS1_3gpuE0ELNS1_3repE0EEENS1_59segmented_radix_sort_warp_sort_small_config_static_selectorELNS0_4arch9wavefront6targetE0EEEvSK_.uses_vcc, or(1, .L_ZN7rocprim17ROCPRIM_400000_NS6detail26segmented_warp_sort_helperINS1_20WarpSortHelperConfigILj8ELj4ELj256EEEdlLi256ELb1EvE4sortIPKdPdPKlPlEEvT_S9_T0_T1_SC_T2_bjjjjRNS5_12storage_typeE.uses_vcc)
	.set _ZN7rocprim17ROCPRIM_400000_NS6detail17trampoline_kernelINS0_14default_configENS1_36segmented_radix_sort_config_selectorIdlEEZNS1_25segmented_radix_sort_implIS3_Lb1EPKdPdPKlPlN2at6native12_GLOBAL__N_18offset_tEEE10hipError_tPvRmT1_PNSt15iterator_traitsISK_E10value_typeET2_T3_PNSL_ISQ_E10value_typeET4_jRbjT5_SW_jjP12ihipStream_tbEUlT_E1_NS1_11comp_targetILNS1_3genE0ELNS1_11target_archE4294967295ELNS1_3gpuE0ELNS1_3repE0EEENS1_59segmented_radix_sort_warp_sort_small_config_static_selectorELNS0_4arch9wavefront6targetE0EEEvSK_.uses_flat_scratch, or(0, .L_ZN7rocprim17ROCPRIM_400000_NS6detail26segmented_warp_sort_helperINS1_20WarpSortHelperConfigILj8ELj4ELj256EEEdlLi256ELb1EvE4sortIPKdPdPKlPlEEvT_S9_T0_T1_SC_T2_bjjjjRNS5_12storage_typeE.uses_flat_scratch)
	.set _ZN7rocprim17ROCPRIM_400000_NS6detail17trampoline_kernelINS0_14default_configENS1_36segmented_radix_sort_config_selectorIdlEEZNS1_25segmented_radix_sort_implIS3_Lb1EPKdPdPKlPlN2at6native12_GLOBAL__N_18offset_tEEE10hipError_tPvRmT1_PNSt15iterator_traitsISK_E10value_typeET2_T3_PNSL_ISQ_E10value_typeET4_jRbjT5_SW_jjP12ihipStream_tbEUlT_E1_NS1_11comp_targetILNS1_3genE0ELNS1_11target_archE4294967295ELNS1_3gpuE0ELNS1_3repE0EEENS1_59segmented_radix_sort_warp_sort_small_config_static_selectorELNS0_4arch9wavefront6targetE0EEEvSK_.has_dyn_sized_stack, or(0, .L_ZN7rocprim17ROCPRIM_400000_NS6detail26segmented_warp_sort_helperINS1_20WarpSortHelperConfigILj8ELj4ELj256EEEdlLi256ELb1EvE4sortIPKdPdPKlPlEEvT_S9_T0_T1_SC_T2_bjjjjRNS5_12storage_typeE.has_dyn_sized_stack)
	.set _ZN7rocprim17ROCPRIM_400000_NS6detail17trampoline_kernelINS0_14default_configENS1_36segmented_radix_sort_config_selectorIdlEEZNS1_25segmented_radix_sort_implIS3_Lb1EPKdPdPKlPlN2at6native12_GLOBAL__N_18offset_tEEE10hipError_tPvRmT1_PNSt15iterator_traitsISK_E10value_typeET2_T3_PNSL_ISQ_E10value_typeET4_jRbjT5_SW_jjP12ihipStream_tbEUlT_E1_NS1_11comp_targetILNS1_3genE0ELNS1_11target_archE4294967295ELNS1_3gpuE0ELNS1_3repE0EEENS1_59segmented_radix_sort_warp_sort_small_config_static_selectorELNS0_4arch9wavefront6targetE0EEEvSK_.has_recursion, or(0, .L_ZN7rocprim17ROCPRIM_400000_NS6detail26segmented_warp_sort_helperINS1_20WarpSortHelperConfigILj8ELj4ELj256EEEdlLi256ELb1EvE4sortIPKdPdPKlPlEEvT_S9_T0_T1_SC_T2_bjjjjRNS5_12storage_typeE.has_recursion)
	.set _ZN7rocprim17ROCPRIM_400000_NS6detail17trampoline_kernelINS0_14default_configENS1_36segmented_radix_sort_config_selectorIdlEEZNS1_25segmented_radix_sort_implIS3_Lb1EPKdPdPKlPlN2at6native12_GLOBAL__N_18offset_tEEE10hipError_tPvRmT1_PNSt15iterator_traitsISK_E10value_typeET2_T3_PNSL_ISQ_E10value_typeET4_jRbjT5_SW_jjP12ihipStream_tbEUlT_E1_NS1_11comp_targetILNS1_3genE0ELNS1_11target_archE4294967295ELNS1_3gpuE0ELNS1_3repE0EEENS1_59segmented_radix_sort_warp_sort_small_config_static_selectorELNS0_4arch9wavefront6targetE0EEEvSK_.has_indirect_call, or(0, .L_ZN7rocprim17ROCPRIM_400000_NS6detail26segmented_warp_sort_helperINS1_20WarpSortHelperConfigILj8ELj4ELj256EEEdlLi256ELb1EvE4sortIPKdPdPKlPlEEvT_S9_T0_T1_SC_T2_bjjjjRNS5_12storage_typeE.has_indirect_call)
	.section	.AMDGPU.csdata,"",@progbits
; Kernel info:
; codeLenInByte = 408
; TotalNumSgprs: 35
; NumVgprs: 69
; ScratchSize: 0
; MemoryBound: 0
; FloatMode: 240
; IeeeMode: 1
; LDSByteSize: 16384 bytes/workgroup (compile time only)
; SGPRBlocks: 0
; VGPRBlocks: 4
; NumSGPRsForWavesPerEU: 35
; NumVGPRsForWavesPerEU: 69
; NamedBarCnt: 0
; Occupancy: 12
; WaveLimiterHint : 0
; COMPUTE_PGM_RSRC2:SCRATCH_EN: 0
; COMPUTE_PGM_RSRC2:USER_SGPR: 4
; COMPUTE_PGM_RSRC2:TRAP_HANDLER: 0
; COMPUTE_PGM_RSRC2:TGID_X_EN: 1
; COMPUTE_PGM_RSRC2:TGID_Y_EN: 1
; COMPUTE_PGM_RSRC2:TGID_Z_EN: 0
; COMPUTE_PGM_RSRC2:TIDIG_COMP_CNT: 2
	.section	.text._ZN7rocprim17ROCPRIM_400000_NS6detail17trampoline_kernelINS0_14default_configENS1_36segmented_radix_sort_config_selectorIdlEEZNS1_25segmented_radix_sort_implIS3_Lb1EPKdPdPKlPlN2at6native12_GLOBAL__N_18offset_tEEE10hipError_tPvRmT1_PNSt15iterator_traitsISK_E10value_typeET2_T3_PNSL_ISQ_E10value_typeET4_jRbjT5_SW_jjP12ihipStream_tbEUlT_E1_NS1_11comp_targetILNS1_3genE5ELNS1_11target_archE942ELNS1_3gpuE9ELNS1_3repE0EEENS1_59segmented_radix_sort_warp_sort_small_config_static_selectorELNS0_4arch9wavefront6targetE0EEEvSK_,"axG",@progbits,_ZN7rocprim17ROCPRIM_400000_NS6detail17trampoline_kernelINS0_14default_configENS1_36segmented_radix_sort_config_selectorIdlEEZNS1_25segmented_radix_sort_implIS3_Lb1EPKdPdPKlPlN2at6native12_GLOBAL__N_18offset_tEEE10hipError_tPvRmT1_PNSt15iterator_traitsISK_E10value_typeET2_T3_PNSL_ISQ_E10value_typeET4_jRbjT5_SW_jjP12ihipStream_tbEUlT_E1_NS1_11comp_targetILNS1_3genE5ELNS1_11target_archE942ELNS1_3gpuE9ELNS1_3repE0EEENS1_59segmented_radix_sort_warp_sort_small_config_static_selectorELNS0_4arch9wavefront6targetE0EEEvSK_,comdat
	.globl	_ZN7rocprim17ROCPRIM_400000_NS6detail17trampoline_kernelINS0_14default_configENS1_36segmented_radix_sort_config_selectorIdlEEZNS1_25segmented_radix_sort_implIS3_Lb1EPKdPdPKlPlN2at6native12_GLOBAL__N_18offset_tEEE10hipError_tPvRmT1_PNSt15iterator_traitsISK_E10value_typeET2_T3_PNSL_ISQ_E10value_typeET4_jRbjT5_SW_jjP12ihipStream_tbEUlT_E1_NS1_11comp_targetILNS1_3genE5ELNS1_11target_archE942ELNS1_3gpuE9ELNS1_3repE0EEENS1_59segmented_radix_sort_warp_sort_small_config_static_selectorELNS0_4arch9wavefront6targetE0EEEvSK_ ; -- Begin function _ZN7rocprim17ROCPRIM_400000_NS6detail17trampoline_kernelINS0_14default_configENS1_36segmented_radix_sort_config_selectorIdlEEZNS1_25segmented_radix_sort_implIS3_Lb1EPKdPdPKlPlN2at6native12_GLOBAL__N_18offset_tEEE10hipError_tPvRmT1_PNSt15iterator_traitsISK_E10value_typeET2_T3_PNSL_ISQ_E10value_typeET4_jRbjT5_SW_jjP12ihipStream_tbEUlT_E1_NS1_11comp_targetILNS1_3genE5ELNS1_11target_archE942ELNS1_3gpuE9ELNS1_3repE0EEENS1_59segmented_radix_sort_warp_sort_small_config_static_selectorELNS0_4arch9wavefront6targetE0EEEvSK_
	.p2align	8
	.type	_ZN7rocprim17ROCPRIM_400000_NS6detail17trampoline_kernelINS0_14default_configENS1_36segmented_radix_sort_config_selectorIdlEEZNS1_25segmented_radix_sort_implIS3_Lb1EPKdPdPKlPlN2at6native12_GLOBAL__N_18offset_tEEE10hipError_tPvRmT1_PNSt15iterator_traitsISK_E10value_typeET2_T3_PNSL_ISQ_E10value_typeET4_jRbjT5_SW_jjP12ihipStream_tbEUlT_E1_NS1_11comp_targetILNS1_3genE5ELNS1_11target_archE942ELNS1_3gpuE9ELNS1_3repE0EEENS1_59segmented_radix_sort_warp_sort_small_config_static_selectorELNS0_4arch9wavefront6targetE0EEEvSK_,@function
_ZN7rocprim17ROCPRIM_400000_NS6detail17trampoline_kernelINS0_14default_configENS1_36segmented_radix_sort_config_selectorIdlEEZNS1_25segmented_radix_sort_implIS3_Lb1EPKdPdPKlPlN2at6native12_GLOBAL__N_18offset_tEEE10hipError_tPvRmT1_PNSt15iterator_traitsISK_E10value_typeET2_T3_PNSL_ISQ_E10value_typeET4_jRbjT5_SW_jjP12ihipStream_tbEUlT_E1_NS1_11comp_targetILNS1_3genE5ELNS1_11target_archE942ELNS1_3gpuE9ELNS1_3repE0EEENS1_59segmented_radix_sort_warp_sort_small_config_static_selectorELNS0_4arch9wavefront6targetE0EEEvSK_: ; @_ZN7rocprim17ROCPRIM_400000_NS6detail17trampoline_kernelINS0_14default_configENS1_36segmented_radix_sort_config_selectorIdlEEZNS1_25segmented_radix_sort_implIS3_Lb1EPKdPdPKlPlN2at6native12_GLOBAL__N_18offset_tEEE10hipError_tPvRmT1_PNSt15iterator_traitsISK_E10value_typeET2_T3_PNSL_ISQ_E10value_typeET4_jRbjT5_SW_jjP12ihipStream_tbEUlT_E1_NS1_11comp_targetILNS1_3genE5ELNS1_11target_archE942ELNS1_3gpuE9ELNS1_3repE0EEENS1_59segmented_radix_sort_warp_sort_small_config_static_selectorELNS0_4arch9wavefront6targetE0EEEvSK_
; %bb.0:
	.section	.rodata,"a",@progbits
	.p2align	6, 0x0
	.amdhsa_kernel _ZN7rocprim17ROCPRIM_400000_NS6detail17trampoline_kernelINS0_14default_configENS1_36segmented_radix_sort_config_selectorIdlEEZNS1_25segmented_radix_sort_implIS3_Lb1EPKdPdPKlPlN2at6native12_GLOBAL__N_18offset_tEEE10hipError_tPvRmT1_PNSt15iterator_traitsISK_E10value_typeET2_T3_PNSL_ISQ_E10value_typeET4_jRbjT5_SW_jjP12ihipStream_tbEUlT_E1_NS1_11comp_targetILNS1_3genE5ELNS1_11target_archE942ELNS1_3gpuE9ELNS1_3repE0EEENS1_59segmented_radix_sort_warp_sort_small_config_static_selectorELNS0_4arch9wavefront6targetE0EEEvSK_
		.amdhsa_group_segment_fixed_size 0
		.amdhsa_private_segment_fixed_size 0
		.amdhsa_kernarg_size 88
		.amdhsa_user_sgpr_count 2
		.amdhsa_user_sgpr_dispatch_ptr 0
		.amdhsa_user_sgpr_queue_ptr 0
		.amdhsa_user_sgpr_kernarg_segment_ptr 1
		.amdhsa_user_sgpr_dispatch_id 0
		.amdhsa_user_sgpr_kernarg_preload_length 0
		.amdhsa_user_sgpr_kernarg_preload_offset 0
		.amdhsa_user_sgpr_private_segment_size 0
		.amdhsa_wavefront_size32 1
		.amdhsa_uses_dynamic_stack 0
		.amdhsa_enable_private_segment 0
		.amdhsa_system_sgpr_workgroup_id_x 1
		.amdhsa_system_sgpr_workgroup_id_y 0
		.amdhsa_system_sgpr_workgroup_id_z 0
		.amdhsa_system_sgpr_workgroup_info 0
		.amdhsa_system_vgpr_workitem_id 0
		.amdhsa_next_free_vgpr 1
		.amdhsa_next_free_sgpr 1
		.amdhsa_named_barrier_count 0
		.amdhsa_reserve_vcc 0
		.amdhsa_float_round_mode_32 0
		.amdhsa_float_round_mode_16_64 0
		.amdhsa_float_denorm_mode_32 3
		.amdhsa_float_denorm_mode_16_64 3
		.amdhsa_fp16_overflow 0
		.amdhsa_memory_ordered 1
		.amdhsa_forward_progress 1
		.amdhsa_inst_pref_size 0
		.amdhsa_round_robin_scheduling 0
		.amdhsa_exception_fp_ieee_invalid_op 0
		.amdhsa_exception_fp_denorm_src 0
		.amdhsa_exception_fp_ieee_div_zero 0
		.amdhsa_exception_fp_ieee_overflow 0
		.amdhsa_exception_fp_ieee_underflow 0
		.amdhsa_exception_fp_ieee_inexact 0
		.amdhsa_exception_int_div_zero 0
	.end_amdhsa_kernel
	.section	.text._ZN7rocprim17ROCPRIM_400000_NS6detail17trampoline_kernelINS0_14default_configENS1_36segmented_radix_sort_config_selectorIdlEEZNS1_25segmented_radix_sort_implIS3_Lb1EPKdPdPKlPlN2at6native12_GLOBAL__N_18offset_tEEE10hipError_tPvRmT1_PNSt15iterator_traitsISK_E10value_typeET2_T3_PNSL_ISQ_E10value_typeET4_jRbjT5_SW_jjP12ihipStream_tbEUlT_E1_NS1_11comp_targetILNS1_3genE5ELNS1_11target_archE942ELNS1_3gpuE9ELNS1_3repE0EEENS1_59segmented_radix_sort_warp_sort_small_config_static_selectorELNS0_4arch9wavefront6targetE0EEEvSK_,"axG",@progbits,_ZN7rocprim17ROCPRIM_400000_NS6detail17trampoline_kernelINS0_14default_configENS1_36segmented_radix_sort_config_selectorIdlEEZNS1_25segmented_radix_sort_implIS3_Lb1EPKdPdPKlPlN2at6native12_GLOBAL__N_18offset_tEEE10hipError_tPvRmT1_PNSt15iterator_traitsISK_E10value_typeET2_T3_PNSL_ISQ_E10value_typeET4_jRbjT5_SW_jjP12ihipStream_tbEUlT_E1_NS1_11comp_targetILNS1_3genE5ELNS1_11target_archE942ELNS1_3gpuE9ELNS1_3repE0EEENS1_59segmented_radix_sort_warp_sort_small_config_static_selectorELNS0_4arch9wavefront6targetE0EEEvSK_,comdat
.Lfunc_end1134:
	.size	_ZN7rocprim17ROCPRIM_400000_NS6detail17trampoline_kernelINS0_14default_configENS1_36segmented_radix_sort_config_selectorIdlEEZNS1_25segmented_radix_sort_implIS3_Lb1EPKdPdPKlPlN2at6native12_GLOBAL__N_18offset_tEEE10hipError_tPvRmT1_PNSt15iterator_traitsISK_E10value_typeET2_T3_PNSL_ISQ_E10value_typeET4_jRbjT5_SW_jjP12ihipStream_tbEUlT_E1_NS1_11comp_targetILNS1_3genE5ELNS1_11target_archE942ELNS1_3gpuE9ELNS1_3repE0EEENS1_59segmented_radix_sort_warp_sort_small_config_static_selectorELNS0_4arch9wavefront6targetE0EEEvSK_, .Lfunc_end1134-_ZN7rocprim17ROCPRIM_400000_NS6detail17trampoline_kernelINS0_14default_configENS1_36segmented_radix_sort_config_selectorIdlEEZNS1_25segmented_radix_sort_implIS3_Lb1EPKdPdPKlPlN2at6native12_GLOBAL__N_18offset_tEEE10hipError_tPvRmT1_PNSt15iterator_traitsISK_E10value_typeET2_T3_PNSL_ISQ_E10value_typeET4_jRbjT5_SW_jjP12ihipStream_tbEUlT_E1_NS1_11comp_targetILNS1_3genE5ELNS1_11target_archE942ELNS1_3gpuE9ELNS1_3repE0EEENS1_59segmented_radix_sort_warp_sort_small_config_static_selectorELNS0_4arch9wavefront6targetE0EEEvSK_
                                        ; -- End function
	.set _ZN7rocprim17ROCPRIM_400000_NS6detail17trampoline_kernelINS0_14default_configENS1_36segmented_radix_sort_config_selectorIdlEEZNS1_25segmented_radix_sort_implIS3_Lb1EPKdPdPKlPlN2at6native12_GLOBAL__N_18offset_tEEE10hipError_tPvRmT1_PNSt15iterator_traitsISK_E10value_typeET2_T3_PNSL_ISQ_E10value_typeET4_jRbjT5_SW_jjP12ihipStream_tbEUlT_E1_NS1_11comp_targetILNS1_3genE5ELNS1_11target_archE942ELNS1_3gpuE9ELNS1_3repE0EEENS1_59segmented_radix_sort_warp_sort_small_config_static_selectorELNS0_4arch9wavefront6targetE0EEEvSK_.num_vgpr, 0
	.set _ZN7rocprim17ROCPRIM_400000_NS6detail17trampoline_kernelINS0_14default_configENS1_36segmented_radix_sort_config_selectorIdlEEZNS1_25segmented_radix_sort_implIS3_Lb1EPKdPdPKlPlN2at6native12_GLOBAL__N_18offset_tEEE10hipError_tPvRmT1_PNSt15iterator_traitsISK_E10value_typeET2_T3_PNSL_ISQ_E10value_typeET4_jRbjT5_SW_jjP12ihipStream_tbEUlT_E1_NS1_11comp_targetILNS1_3genE5ELNS1_11target_archE942ELNS1_3gpuE9ELNS1_3repE0EEENS1_59segmented_radix_sort_warp_sort_small_config_static_selectorELNS0_4arch9wavefront6targetE0EEEvSK_.num_agpr, 0
	.set _ZN7rocprim17ROCPRIM_400000_NS6detail17trampoline_kernelINS0_14default_configENS1_36segmented_radix_sort_config_selectorIdlEEZNS1_25segmented_radix_sort_implIS3_Lb1EPKdPdPKlPlN2at6native12_GLOBAL__N_18offset_tEEE10hipError_tPvRmT1_PNSt15iterator_traitsISK_E10value_typeET2_T3_PNSL_ISQ_E10value_typeET4_jRbjT5_SW_jjP12ihipStream_tbEUlT_E1_NS1_11comp_targetILNS1_3genE5ELNS1_11target_archE942ELNS1_3gpuE9ELNS1_3repE0EEENS1_59segmented_radix_sort_warp_sort_small_config_static_selectorELNS0_4arch9wavefront6targetE0EEEvSK_.numbered_sgpr, 0
	.set _ZN7rocprim17ROCPRIM_400000_NS6detail17trampoline_kernelINS0_14default_configENS1_36segmented_radix_sort_config_selectorIdlEEZNS1_25segmented_radix_sort_implIS3_Lb1EPKdPdPKlPlN2at6native12_GLOBAL__N_18offset_tEEE10hipError_tPvRmT1_PNSt15iterator_traitsISK_E10value_typeET2_T3_PNSL_ISQ_E10value_typeET4_jRbjT5_SW_jjP12ihipStream_tbEUlT_E1_NS1_11comp_targetILNS1_3genE5ELNS1_11target_archE942ELNS1_3gpuE9ELNS1_3repE0EEENS1_59segmented_radix_sort_warp_sort_small_config_static_selectorELNS0_4arch9wavefront6targetE0EEEvSK_.num_named_barrier, 0
	.set _ZN7rocprim17ROCPRIM_400000_NS6detail17trampoline_kernelINS0_14default_configENS1_36segmented_radix_sort_config_selectorIdlEEZNS1_25segmented_radix_sort_implIS3_Lb1EPKdPdPKlPlN2at6native12_GLOBAL__N_18offset_tEEE10hipError_tPvRmT1_PNSt15iterator_traitsISK_E10value_typeET2_T3_PNSL_ISQ_E10value_typeET4_jRbjT5_SW_jjP12ihipStream_tbEUlT_E1_NS1_11comp_targetILNS1_3genE5ELNS1_11target_archE942ELNS1_3gpuE9ELNS1_3repE0EEENS1_59segmented_radix_sort_warp_sort_small_config_static_selectorELNS0_4arch9wavefront6targetE0EEEvSK_.private_seg_size, 0
	.set _ZN7rocprim17ROCPRIM_400000_NS6detail17trampoline_kernelINS0_14default_configENS1_36segmented_radix_sort_config_selectorIdlEEZNS1_25segmented_radix_sort_implIS3_Lb1EPKdPdPKlPlN2at6native12_GLOBAL__N_18offset_tEEE10hipError_tPvRmT1_PNSt15iterator_traitsISK_E10value_typeET2_T3_PNSL_ISQ_E10value_typeET4_jRbjT5_SW_jjP12ihipStream_tbEUlT_E1_NS1_11comp_targetILNS1_3genE5ELNS1_11target_archE942ELNS1_3gpuE9ELNS1_3repE0EEENS1_59segmented_radix_sort_warp_sort_small_config_static_selectorELNS0_4arch9wavefront6targetE0EEEvSK_.uses_vcc, 0
	.set _ZN7rocprim17ROCPRIM_400000_NS6detail17trampoline_kernelINS0_14default_configENS1_36segmented_radix_sort_config_selectorIdlEEZNS1_25segmented_radix_sort_implIS3_Lb1EPKdPdPKlPlN2at6native12_GLOBAL__N_18offset_tEEE10hipError_tPvRmT1_PNSt15iterator_traitsISK_E10value_typeET2_T3_PNSL_ISQ_E10value_typeET4_jRbjT5_SW_jjP12ihipStream_tbEUlT_E1_NS1_11comp_targetILNS1_3genE5ELNS1_11target_archE942ELNS1_3gpuE9ELNS1_3repE0EEENS1_59segmented_radix_sort_warp_sort_small_config_static_selectorELNS0_4arch9wavefront6targetE0EEEvSK_.uses_flat_scratch, 0
	.set _ZN7rocprim17ROCPRIM_400000_NS6detail17trampoline_kernelINS0_14default_configENS1_36segmented_radix_sort_config_selectorIdlEEZNS1_25segmented_radix_sort_implIS3_Lb1EPKdPdPKlPlN2at6native12_GLOBAL__N_18offset_tEEE10hipError_tPvRmT1_PNSt15iterator_traitsISK_E10value_typeET2_T3_PNSL_ISQ_E10value_typeET4_jRbjT5_SW_jjP12ihipStream_tbEUlT_E1_NS1_11comp_targetILNS1_3genE5ELNS1_11target_archE942ELNS1_3gpuE9ELNS1_3repE0EEENS1_59segmented_radix_sort_warp_sort_small_config_static_selectorELNS0_4arch9wavefront6targetE0EEEvSK_.has_dyn_sized_stack, 0
	.set _ZN7rocprim17ROCPRIM_400000_NS6detail17trampoline_kernelINS0_14default_configENS1_36segmented_radix_sort_config_selectorIdlEEZNS1_25segmented_radix_sort_implIS3_Lb1EPKdPdPKlPlN2at6native12_GLOBAL__N_18offset_tEEE10hipError_tPvRmT1_PNSt15iterator_traitsISK_E10value_typeET2_T3_PNSL_ISQ_E10value_typeET4_jRbjT5_SW_jjP12ihipStream_tbEUlT_E1_NS1_11comp_targetILNS1_3genE5ELNS1_11target_archE942ELNS1_3gpuE9ELNS1_3repE0EEENS1_59segmented_radix_sort_warp_sort_small_config_static_selectorELNS0_4arch9wavefront6targetE0EEEvSK_.has_recursion, 0
	.set _ZN7rocprim17ROCPRIM_400000_NS6detail17trampoline_kernelINS0_14default_configENS1_36segmented_radix_sort_config_selectorIdlEEZNS1_25segmented_radix_sort_implIS3_Lb1EPKdPdPKlPlN2at6native12_GLOBAL__N_18offset_tEEE10hipError_tPvRmT1_PNSt15iterator_traitsISK_E10value_typeET2_T3_PNSL_ISQ_E10value_typeET4_jRbjT5_SW_jjP12ihipStream_tbEUlT_E1_NS1_11comp_targetILNS1_3genE5ELNS1_11target_archE942ELNS1_3gpuE9ELNS1_3repE0EEENS1_59segmented_radix_sort_warp_sort_small_config_static_selectorELNS0_4arch9wavefront6targetE0EEEvSK_.has_indirect_call, 0
	.section	.AMDGPU.csdata,"",@progbits
; Kernel info:
; codeLenInByte = 0
; TotalNumSgprs: 0
; NumVgprs: 0
; ScratchSize: 0
; MemoryBound: 0
; FloatMode: 240
; IeeeMode: 1
; LDSByteSize: 0 bytes/workgroup (compile time only)
; SGPRBlocks: 0
; VGPRBlocks: 0
; NumSGPRsForWavesPerEU: 1
; NumVGPRsForWavesPerEU: 1
; NamedBarCnt: 0
; Occupancy: 16
; WaveLimiterHint : 0
; COMPUTE_PGM_RSRC2:SCRATCH_EN: 0
; COMPUTE_PGM_RSRC2:USER_SGPR: 2
; COMPUTE_PGM_RSRC2:TRAP_HANDLER: 0
; COMPUTE_PGM_RSRC2:TGID_X_EN: 1
; COMPUTE_PGM_RSRC2:TGID_Y_EN: 0
; COMPUTE_PGM_RSRC2:TGID_Z_EN: 0
; COMPUTE_PGM_RSRC2:TIDIG_COMP_CNT: 0
	.section	.text._ZN7rocprim17ROCPRIM_400000_NS6detail17trampoline_kernelINS0_14default_configENS1_36segmented_radix_sort_config_selectorIdlEEZNS1_25segmented_radix_sort_implIS3_Lb1EPKdPdPKlPlN2at6native12_GLOBAL__N_18offset_tEEE10hipError_tPvRmT1_PNSt15iterator_traitsISK_E10value_typeET2_T3_PNSL_ISQ_E10value_typeET4_jRbjT5_SW_jjP12ihipStream_tbEUlT_E1_NS1_11comp_targetILNS1_3genE4ELNS1_11target_archE910ELNS1_3gpuE8ELNS1_3repE0EEENS1_59segmented_radix_sort_warp_sort_small_config_static_selectorELNS0_4arch9wavefront6targetE0EEEvSK_,"axG",@progbits,_ZN7rocprim17ROCPRIM_400000_NS6detail17trampoline_kernelINS0_14default_configENS1_36segmented_radix_sort_config_selectorIdlEEZNS1_25segmented_radix_sort_implIS3_Lb1EPKdPdPKlPlN2at6native12_GLOBAL__N_18offset_tEEE10hipError_tPvRmT1_PNSt15iterator_traitsISK_E10value_typeET2_T3_PNSL_ISQ_E10value_typeET4_jRbjT5_SW_jjP12ihipStream_tbEUlT_E1_NS1_11comp_targetILNS1_3genE4ELNS1_11target_archE910ELNS1_3gpuE8ELNS1_3repE0EEENS1_59segmented_radix_sort_warp_sort_small_config_static_selectorELNS0_4arch9wavefront6targetE0EEEvSK_,comdat
	.globl	_ZN7rocprim17ROCPRIM_400000_NS6detail17trampoline_kernelINS0_14default_configENS1_36segmented_radix_sort_config_selectorIdlEEZNS1_25segmented_radix_sort_implIS3_Lb1EPKdPdPKlPlN2at6native12_GLOBAL__N_18offset_tEEE10hipError_tPvRmT1_PNSt15iterator_traitsISK_E10value_typeET2_T3_PNSL_ISQ_E10value_typeET4_jRbjT5_SW_jjP12ihipStream_tbEUlT_E1_NS1_11comp_targetILNS1_3genE4ELNS1_11target_archE910ELNS1_3gpuE8ELNS1_3repE0EEENS1_59segmented_radix_sort_warp_sort_small_config_static_selectorELNS0_4arch9wavefront6targetE0EEEvSK_ ; -- Begin function _ZN7rocprim17ROCPRIM_400000_NS6detail17trampoline_kernelINS0_14default_configENS1_36segmented_radix_sort_config_selectorIdlEEZNS1_25segmented_radix_sort_implIS3_Lb1EPKdPdPKlPlN2at6native12_GLOBAL__N_18offset_tEEE10hipError_tPvRmT1_PNSt15iterator_traitsISK_E10value_typeET2_T3_PNSL_ISQ_E10value_typeET4_jRbjT5_SW_jjP12ihipStream_tbEUlT_E1_NS1_11comp_targetILNS1_3genE4ELNS1_11target_archE910ELNS1_3gpuE8ELNS1_3repE0EEENS1_59segmented_radix_sort_warp_sort_small_config_static_selectorELNS0_4arch9wavefront6targetE0EEEvSK_
	.p2align	8
	.type	_ZN7rocprim17ROCPRIM_400000_NS6detail17trampoline_kernelINS0_14default_configENS1_36segmented_radix_sort_config_selectorIdlEEZNS1_25segmented_radix_sort_implIS3_Lb1EPKdPdPKlPlN2at6native12_GLOBAL__N_18offset_tEEE10hipError_tPvRmT1_PNSt15iterator_traitsISK_E10value_typeET2_T3_PNSL_ISQ_E10value_typeET4_jRbjT5_SW_jjP12ihipStream_tbEUlT_E1_NS1_11comp_targetILNS1_3genE4ELNS1_11target_archE910ELNS1_3gpuE8ELNS1_3repE0EEENS1_59segmented_radix_sort_warp_sort_small_config_static_selectorELNS0_4arch9wavefront6targetE0EEEvSK_,@function
_ZN7rocprim17ROCPRIM_400000_NS6detail17trampoline_kernelINS0_14default_configENS1_36segmented_radix_sort_config_selectorIdlEEZNS1_25segmented_radix_sort_implIS3_Lb1EPKdPdPKlPlN2at6native12_GLOBAL__N_18offset_tEEE10hipError_tPvRmT1_PNSt15iterator_traitsISK_E10value_typeET2_T3_PNSL_ISQ_E10value_typeET4_jRbjT5_SW_jjP12ihipStream_tbEUlT_E1_NS1_11comp_targetILNS1_3genE4ELNS1_11target_archE910ELNS1_3gpuE8ELNS1_3repE0EEENS1_59segmented_radix_sort_warp_sort_small_config_static_selectorELNS0_4arch9wavefront6targetE0EEEvSK_: ; @_ZN7rocprim17ROCPRIM_400000_NS6detail17trampoline_kernelINS0_14default_configENS1_36segmented_radix_sort_config_selectorIdlEEZNS1_25segmented_radix_sort_implIS3_Lb1EPKdPdPKlPlN2at6native12_GLOBAL__N_18offset_tEEE10hipError_tPvRmT1_PNSt15iterator_traitsISK_E10value_typeET2_T3_PNSL_ISQ_E10value_typeET4_jRbjT5_SW_jjP12ihipStream_tbEUlT_E1_NS1_11comp_targetILNS1_3genE4ELNS1_11target_archE910ELNS1_3gpuE8ELNS1_3repE0EEENS1_59segmented_radix_sort_warp_sort_small_config_static_selectorELNS0_4arch9wavefront6targetE0EEEvSK_
; %bb.0:
	.section	.rodata,"a",@progbits
	.p2align	6, 0x0
	.amdhsa_kernel _ZN7rocprim17ROCPRIM_400000_NS6detail17trampoline_kernelINS0_14default_configENS1_36segmented_radix_sort_config_selectorIdlEEZNS1_25segmented_radix_sort_implIS3_Lb1EPKdPdPKlPlN2at6native12_GLOBAL__N_18offset_tEEE10hipError_tPvRmT1_PNSt15iterator_traitsISK_E10value_typeET2_T3_PNSL_ISQ_E10value_typeET4_jRbjT5_SW_jjP12ihipStream_tbEUlT_E1_NS1_11comp_targetILNS1_3genE4ELNS1_11target_archE910ELNS1_3gpuE8ELNS1_3repE0EEENS1_59segmented_radix_sort_warp_sort_small_config_static_selectorELNS0_4arch9wavefront6targetE0EEEvSK_
		.amdhsa_group_segment_fixed_size 0
		.amdhsa_private_segment_fixed_size 0
		.amdhsa_kernarg_size 88
		.amdhsa_user_sgpr_count 2
		.amdhsa_user_sgpr_dispatch_ptr 0
		.amdhsa_user_sgpr_queue_ptr 0
		.amdhsa_user_sgpr_kernarg_segment_ptr 1
		.amdhsa_user_sgpr_dispatch_id 0
		.amdhsa_user_sgpr_kernarg_preload_length 0
		.amdhsa_user_sgpr_kernarg_preload_offset 0
		.amdhsa_user_sgpr_private_segment_size 0
		.amdhsa_wavefront_size32 1
		.amdhsa_uses_dynamic_stack 0
		.amdhsa_enable_private_segment 0
		.amdhsa_system_sgpr_workgroup_id_x 1
		.amdhsa_system_sgpr_workgroup_id_y 0
		.amdhsa_system_sgpr_workgroup_id_z 0
		.amdhsa_system_sgpr_workgroup_info 0
		.amdhsa_system_vgpr_workitem_id 0
		.amdhsa_next_free_vgpr 1
		.amdhsa_next_free_sgpr 1
		.amdhsa_named_barrier_count 0
		.amdhsa_reserve_vcc 0
		.amdhsa_float_round_mode_32 0
		.amdhsa_float_round_mode_16_64 0
		.amdhsa_float_denorm_mode_32 3
		.amdhsa_float_denorm_mode_16_64 3
		.amdhsa_fp16_overflow 0
		.amdhsa_memory_ordered 1
		.amdhsa_forward_progress 1
		.amdhsa_inst_pref_size 0
		.amdhsa_round_robin_scheduling 0
		.amdhsa_exception_fp_ieee_invalid_op 0
		.amdhsa_exception_fp_denorm_src 0
		.amdhsa_exception_fp_ieee_div_zero 0
		.amdhsa_exception_fp_ieee_overflow 0
		.amdhsa_exception_fp_ieee_underflow 0
		.amdhsa_exception_fp_ieee_inexact 0
		.amdhsa_exception_int_div_zero 0
	.end_amdhsa_kernel
	.section	.text._ZN7rocprim17ROCPRIM_400000_NS6detail17trampoline_kernelINS0_14default_configENS1_36segmented_radix_sort_config_selectorIdlEEZNS1_25segmented_radix_sort_implIS3_Lb1EPKdPdPKlPlN2at6native12_GLOBAL__N_18offset_tEEE10hipError_tPvRmT1_PNSt15iterator_traitsISK_E10value_typeET2_T3_PNSL_ISQ_E10value_typeET4_jRbjT5_SW_jjP12ihipStream_tbEUlT_E1_NS1_11comp_targetILNS1_3genE4ELNS1_11target_archE910ELNS1_3gpuE8ELNS1_3repE0EEENS1_59segmented_radix_sort_warp_sort_small_config_static_selectorELNS0_4arch9wavefront6targetE0EEEvSK_,"axG",@progbits,_ZN7rocprim17ROCPRIM_400000_NS6detail17trampoline_kernelINS0_14default_configENS1_36segmented_radix_sort_config_selectorIdlEEZNS1_25segmented_radix_sort_implIS3_Lb1EPKdPdPKlPlN2at6native12_GLOBAL__N_18offset_tEEE10hipError_tPvRmT1_PNSt15iterator_traitsISK_E10value_typeET2_T3_PNSL_ISQ_E10value_typeET4_jRbjT5_SW_jjP12ihipStream_tbEUlT_E1_NS1_11comp_targetILNS1_3genE4ELNS1_11target_archE910ELNS1_3gpuE8ELNS1_3repE0EEENS1_59segmented_radix_sort_warp_sort_small_config_static_selectorELNS0_4arch9wavefront6targetE0EEEvSK_,comdat
.Lfunc_end1135:
	.size	_ZN7rocprim17ROCPRIM_400000_NS6detail17trampoline_kernelINS0_14default_configENS1_36segmented_radix_sort_config_selectorIdlEEZNS1_25segmented_radix_sort_implIS3_Lb1EPKdPdPKlPlN2at6native12_GLOBAL__N_18offset_tEEE10hipError_tPvRmT1_PNSt15iterator_traitsISK_E10value_typeET2_T3_PNSL_ISQ_E10value_typeET4_jRbjT5_SW_jjP12ihipStream_tbEUlT_E1_NS1_11comp_targetILNS1_3genE4ELNS1_11target_archE910ELNS1_3gpuE8ELNS1_3repE0EEENS1_59segmented_radix_sort_warp_sort_small_config_static_selectorELNS0_4arch9wavefront6targetE0EEEvSK_, .Lfunc_end1135-_ZN7rocprim17ROCPRIM_400000_NS6detail17trampoline_kernelINS0_14default_configENS1_36segmented_radix_sort_config_selectorIdlEEZNS1_25segmented_radix_sort_implIS3_Lb1EPKdPdPKlPlN2at6native12_GLOBAL__N_18offset_tEEE10hipError_tPvRmT1_PNSt15iterator_traitsISK_E10value_typeET2_T3_PNSL_ISQ_E10value_typeET4_jRbjT5_SW_jjP12ihipStream_tbEUlT_E1_NS1_11comp_targetILNS1_3genE4ELNS1_11target_archE910ELNS1_3gpuE8ELNS1_3repE0EEENS1_59segmented_radix_sort_warp_sort_small_config_static_selectorELNS0_4arch9wavefront6targetE0EEEvSK_
                                        ; -- End function
	.set _ZN7rocprim17ROCPRIM_400000_NS6detail17trampoline_kernelINS0_14default_configENS1_36segmented_radix_sort_config_selectorIdlEEZNS1_25segmented_radix_sort_implIS3_Lb1EPKdPdPKlPlN2at6native12_GLOBAL__N_18offset_tEEE10hipError_tPvRmT1_PNSt15iterator_traitsISK_E10value_typeET2_T3_PNSL_ISQ_E10value_typeET4_jRbjT5_SW_jjP12ihipStream_tbEUlT_E1_NS1_11comp_targetILNS1_3genE4ELNS1_11target_archE910ELNS1_3gpuE8ELNS1_3repE0EEENS1_59segmented_radix_sort_warp_sort_small_config_static_selectorELNS0_4arch9wavefront6targetE0EEEvSK_.num_vgpr, 0
	.set _ZN7rocprim17ROCPRIM_400000_NS6detail17trampoline_kernelINS0_14default_configENS1_36segmented_radix_sort_config_selectorIdlEEZNS1_25segmented_radix_sort_implIS3_Lb1EPKdPdPKlPlN2at6native12_GLOBAL__N_18offset_tEEE10hipError_tPvRmT1_PNSt15iterator_traitsISK_E10value_typeET2_T3_PNSL_ISQ_E10value_typeET4_jRbjT5_SW_jjP12ihipStream_tbEUlT_E1_NS1_11comp_targetILNS1_3genE4ELNS1_11target_archE910ELNS1_3gpuE8ELNS1_3repE0EEENS1_59segmented_radix_sort_warp_sort_small_config_static_selectorELNS0_4arch9wavefront6targetE0EEEvSK_.num_agpr, 0
	.set _ZN7rocprim17ROCPRIM_400000_NS6detail17trampoline_kernelINS0_14default_configENS1_36segmented_radix_sort_config_selectorIdlEEZNS1_25segmented_radix_sort_implIS3_Lb1EPKdPdPKlPlN2at6native12_GLOBAL__N_18offset_tEEE10hipError_tPvRmT1_PNSt15iterator_traitsISK_E10value_typeET2_T3_PNSL_ISQ_E10value_typeET4_jRbjT5_SW_jjP12ihipStream_tbEUlT_E1_NS1_11comp_targetILNS1_3genE4ELNS1_11target_archE910ELNS1_3gpuE8ELNS1_3repE0EEENS1_59segmented_radix_sort_warp_sort_small_config_static_selectorELNS0_4arch9wavefront6targetE0EEEvSK_.numbered_sgpr, 0
	.set _ZN7rocprim17ROCPRIM_400000_NS6detail17trampoline_kernelINS0_14default_configENS1_36segmented_radix_sort_config_selectorIdlEEZNS1_25segmented_radix_sort_implIS3_Lb1EPKdPdPKlPlN2at6native12_GLOBAL__N_18offset_tEEE10hipError_tPvRmT1_PNSt15iterator_traitsISK_E10value_typeET2_T3_PNSL_ISQ_E10value_typeET4_jRbjT5_SW_jjP12ihipStream_tbEUlT_E1_NS1_11comp_targetILNS1_3genE4ELNS1_11target_archE910ELNS1_3gpuE8ELNS1_3repE0EEENS1_59segmented_radix_sort_warp_sort_small_config_static_selectorELNS0_4arch9wavefront6targetE0EEEvSK_.num_named_barrier, 0
	.set _ZN7rocprim17ROCPRIM_400000_NS6detail17trampoline_kernelINS0_14default_configENS1_36segmented_radix_sort_config_selectorIdlEEZNS1_25segmented_radix_sort_implIS3_Lb1EPKdPdPKlPlN2at6native12_GLOBAL__N_18offset_tEEE10hipError_tPvRmT1_PNSt15iterator_traitsISK_E10value_typeET2_T3_PNSL_ISQ_E10value_typeET4_jRbjT5_SW_jjP12ihipStream_tbEUlT_E1_NS1_11comp_targetILNS1_3genE4ELNS1_11target_archE910ELNS1_3gpuE8ELNS1_3repE0EEENS1_59segmented_radix_sort_warp_sort_small_config_static_selectorELNS0_4arch9wavefront6targetE0EEEvSK_.private_seg_size, 0
	.set _ZN7rocprim17ROCPRIM_400000_NS6detail17trampoline_kernelINS0_14default_configENS1_36segmented_radix_sort_config_selectorIdlEEZNS1_25segmented_radix_sort_implIS3_Lb1EPKdPdPKlPlN2at6native12_GLOBAL__N_18offset_tEEE10hipError_tPvRmT1_PNSt15iterator_traitsISK_E10value_typeET2_T3_PNSL_ISQ_E10value_typeET4_jRbjT5_SW_jjP12ihipStream_tbEUlT_E1_NS1_11comp_targetILNS1_3genE4ELNS1_11target_archE910ELNS1_3gpuE8ELNS1_3repE0EEENS1_59segmented_radix_sort_warp_sort_small_config_static_selectorELNS0_4arch9wavefront6targetE0EEEvSK_.uses_vcc, 0
	.set _ZN7rocprim17ROCPRIM_400000_NS6detail17trampoline_kernelINS0_14default_configENS1_36segmented_radix_sort_config_selectorIdlEEZNS1_25segmented_radix_sort_implIS3_Lb1EPKdPdPKlPlN2at6native12_GLOBAL__N_18offset_tEEE10hipError_tPvRmT1_PNSt15iterator_traitsISK_E10value_typeET2_T3_PNSL_ISQ_E10value_typeET4_jRbjT5_SW_jjP12ihipStream_tbEUlT_E1_NS1_11comp_targetILNS1_3genE4ELNS1_11target_archE910ELNS1_3gpuE8ELNS1_3repE0EEENS1_59segmented_radix_sort_warp_sort_small_config_static_selectorELNS0_4arch9wavefront6targetE0EEEvSK_.uses_flat_scratch, 0
	.set _ZN7rocprim17ROCPRIM_400000_NS6detail17trampoline_kernelINS0_14default_configENS1_36segmented_radix_sort_config_selectorIdlEEZNS1_25segmented_radix_sort_implIS3_Lb1EPKdPdPKlPlN2at6native12_GLOBAL__N_18offset_tEEE10hipError_tPvRmT1_PNSt15iterator_traitsISK_E10value_typeET2_T3_PNSL_ISQ_E10value_typeET4_jRbjT5_SW_jjP12ihipStream_tbEUlT_E1_NS1_11comp_targetILNS1_3genE4ELNS1_11target_archE910ELNS1_3gpuE8ELNS1_3repE0EEENS1_59segmented_radix_sort_warp_sort_small_config_static_selectorELNS0_4arch9wavefront6targetE0EEEvSK_.has_dyn_sized_stack, 0
	.set _ZN7rocprim17ROCPRIM_400000_NS6detail17trampoline_kernelINS0_14default_configENS1_36segmented_radix_sort_config_selectorIdlEEZNS1_25segmented_radix_sort_implIS3_Lb1EPKdPdPKlPlN2at6native12_GLOBAL__N_18offset_tEEE10hipError_tPvRmT1_PNSt15iterator_traitsISK_E10value_typeET2_T3_PNSL_ISQ_E10value_typeET4_jRbjT5_SW_jjP12ihipStream_tbEUlT_E1_NS1_11comp_targetILNS1_3genE4ELNS1_11target_archE910ELNS1_3gpuE8ELNS1_3repE0EEENS1_59segmented_radix_sort_warp_sort_small_config_static_selectorELNS0_4arch9wavefront6targetE0EEEvSK_.has_recursion, 0
	.set _ZN7rocprim17ROCPRIM_400000_NS6detail17trampoline_kernelINS0_14default_configENS1_36segmented_radix_sort_config_selectorIdlEEZNS1_25segmented_radix_sort_implIS3_Lb1EPKdPdPKlPlN2at6native12_GLOBAL__N_18offset_tEEE10hipError_tPvRmT1_PNSt15iterator_traitsISK_E10value_typeET2_T3_PNSL_ISQ_E10value_typeET4_jRbjT5_SW_jjP12ihipStream_tbEUlT_E1_NS1_11comp_targetILNS1_3genE4ELNS1_11target_archE910ELNS1_3gpuE8ELNS1_3repE0EEENS1_59segmented_radix_sort_warp_sort_small_config_static_selectorELNS0_4arch9wavefront6targetE0EEEvSK_.has_indirect_call, 0
	.section	.AMDGPU.csdata,"",@progbits
; Kernel info:
; codeLenInByte = 0
; TotalNumSgprs: 0
; NumVgprs: 0
; ScratchSize: 0
; MemoryBound: 0
; FloatMode: 240
; IeeeMode: 1
; LDSByteSize: 0 bytes/workgroup (compile time only)
; SGPRBlocks: 0
; VGPRBlocks: 0
; NumSGPRsForWavesPerEU: 1
; NumVGPRsForWavesPerEU: 1
; NamedBarCnt: 0
; Occupancy: 16
; WaveLimiterHint : 0
; COMPUTE_PGM_RSRC2:SCRATCH_EN: 0
; COMPUTE_PGM_RSRC2:USER_SGPR: 2
; COMPUTE_PGM_RSRC2:TRAP_HANDLER: 0
; COMPUTE_PGM_RSRC2:TGID_X_EN: 1
; COMPUTE_PGM_RSRC2:TGID_Y_EN: 0
; COMPUTE_PGM_RSRC2:TGID_Z_EN: 0
; COMPUTE_PGM_RSRC2:TIDIG_COMP_CNT: 0
	.section	.text._ZN7rocprim17ROCPRIM_400000_NS6detail17trampoline_kernelINS0_14default_configENS1_36segmented_radix_sort_config_selectorIdlEEZNS1_25segmented_radix_sort_implIS3_Lb1EPKdPdPKlPlN2at6native12_GLOBAL__N_18offset_tEEE10hipError_tPvRmT1_PNSt15iterator_traitsISK_E10value_typeET2_T3_PNSL_ISQ_E10value_typeET4_jRbjT5_SW_jjP12ihipStream_tbEUlT_E1_NS1_11comp_targetILNS1_3genE3ELNS1_11target_archE908ELNS1_3gpuE7ELNS1_3repE0EEENS1_59segmented_radix_sort_warp_sort_small_config_static_selectorELNS0_4arch9wavefront6targetE0EEEvSK_,"axG",@progbits,_ZN7rocprim17ROCPRIM_400000_NS6detail17trampoline_kernelINS0_14default_configENS1_36segmented_radix_sort_config_selectorIdlEEZNS1_25segmented_radix_sort_implIS3_Lb1EPKdPdPKlPlN2at6native12_GLOBAL__N_18offset_tEEE10hipError_tPvRmT1_PNSt15iterator_traitsISK_E10value_typeET2_T3_PNSL_ISQ_E10value_typeET4_jRbjT5_SW_jjP12ihipStream_tbEUlT_E1_NS1_11comp_targetILNS1_3genE3ELNS1_11target_archE908ELNS1_3gpuE7ELNS1_3repE0EEENS1_59segmented_radix_sort_warp_sort_small_config_static_selectorELNS0_4arch9wavefront6targetE0EEEvSK_,comdat
	.globl	_ZN7rocprim17ROCPRIM_400000_NS6detail17trampoline_kernelINS0_14default_configENS1_36segmented_radix_sort_config_selectorIdlEEZNS1_25segmented_radix_sort_implIS3_Lb1EPKdPdPKlPlN2at6native12_GLOBAL__N_18offset_tEEE10hipError_tPvRmT1_PNSt15iterator_traitsISK_E10value_typeET2_T3_PNSL_ISQ_E10value_typeET4_jRbjT5_SW_jjP12ihipStream_tbEUlT_E1_NS1_11comp_targetILNS1_3genE3ELNS1_11target_archE908ELNS1_3gpuE7ELNS1_3repE0EEENS1_59segmented_radix_sort_warp_sort_small_config_static_selectorELNS0_4arch9wavefront6targetE0EEEvSK_ ; -- Begin function _ZN7rocprim17ROCPRIM_400000_NS6detail17trampoline_kernelINS0_14default_configENS1_36segmented_radix_sort_config_selectorIdlEEZNS1_25segmented_radix_sort_implIS3_Lb1EPKdPdPKlPlN2at6native12_GLOBAL__N_18offset_tEEE10hipError_tPvRmT1_PNSt15iterator_traitsISK_E10value_typeET2_T3_PNSL_ISQ_E10value_typeET4_jRbjT5_SW_jjP12ihipStream_tbEUlT_E1_NS1_11comp_targetILNS1_3genE3ELNS1_11target_archE908ELNS1_3gpuE7ELNS1_3repE0EEENS1_59segmented_radix_sort_warp_sort_small_config_static_selectorELNS0_4arch9wavefront6targetE0EEEvSK_
	.p2align	8
	.type	_ZN7rocprim17ROCPRIM_400000_NS6detail17trampoline_kernelINS0_14default_configENS1_36segmented_radix_sort_config_selectorIdlEEZNS1_25segmented_radix_sort_implIS3_Lb1EPKdPdPKlPlN2at6native12_GLOBAL__N_18offset_tEEE10hipError_tPvRmT1_PNSt15iterator_traitsISK_E10value_typeET2_T3_PNSL_ISQ_E10value_typeET4_jRbjT5_SW_jjP12ihipStream_tbEUlT_E1_NS1_11comp_targetILNS1_3genE3ELNS1_11target_archE908ELNS1_3gpuE7ELNS1_3repE0EEENS1_59segmented_radix_sort_warp_sort_small_config_static_selectorELNS0_4arch9wavefront6targetE0EEEvSK_,@function
_ZN7rocprim17ROCPRIM_400000_NS6detail17trampoline_kernelINS0_14default_configENS1_36segmented_radix_sort_config_selectorIdlEEZNS1_25segmented_radix_sort_implIS3_Lb1EPKdPdPKlPlN2at6native12_GLOBAL__N_18offset_tEEE10hipError_tPvRmT1_PNSt15iterator_traitsISK_E10value_typeET2_T3_PNSL_ISQ_E10value_typeET4_jRbjT5_SW_jjP12ihipStream_tbEUlT_E1_NS1_11comp_targetILNS1_3genE3ELNS1_11target_archE908ELNS1_3gpuE7ELNS1_3repE0EEENS1_59segmented_radix_sort_warp_sort_small_config_static_selectorELNS0_4arch9wavefront6targetE0EEEvSK_: ; @_ZN7rocprim17ROCPRIM_400000_NS6detail17trampoline_kernelINS0_14default_configENS1_36segmented_radix_sort_config_selectorIdlEEZNS1_25segmented_radix_sort_implIS3_Lb1EPKdPdPKlPlN2at6native12_GLOBAL__N_18offset_tEEE10hipError_tPvRmT1_PNSt15iterator_traitsISK_E10value_typeET2_T3_PNSL_ISQ_E10value_typeET4_jRbjT5_SW_jjP12ihipStream_tbEUlT_E1_NS1_11comp_targetILNS1_3genE3ELNS1_11target_archE908ELNS1_3gpuE7ELNS1_3repE0EEENS1_59segmented_radix_sort_warp_sort_small_config_static_selectorELNS0_4arch9wavefront6targetE0EEEvSK_
; %bb.0:
	.section	.rodata,"a",@progbits
	.p2align	6, 0x0
	.amdhsa_kernel _ZN7rocprim17ROCPRIM_400000_NS6detail17trampoline_kernelINS0_14default_configENS1_36segmented_radix_sort_config_selectorIdlEEZNS1_25segmented_radix_sort_implIS3_Lb1EPKdPdPKlPlN2at6native12_GLOBAL__N_18offset_tEEE10hipError_tPvRmT1_PNSt15iterator_traitsISK_E10value_typeET2_T3_PNSL_ISQ_E10value_typeET4_jRbjT5_SW_jjP12ihipStream_tbEUlT_E1_NS1_11comp_targetILNS1_3genE3ELNS1_11target_archE908ELNS1_3gpuE7ELNS1_3repE0EEENS1_59segmented_radix_sort_warp_sort_small_config_static_selectorELNS0_4arch9wavefront6targetE0EEEvSK_
		.amdhsa_group_segment_fixed_size 0
		.amdhsa_private_segment_fixed_size 0
		.amdhsa_kernarg_size 88
		.amdhsa_user_sgpr_count 2
		.amdhsa_user_sgpr_dispatch_ptr 0
		.amdhsa_user_sgpr_queue_ptr 0
		.amdhsa_user_sgpr_kernarg_segment_ptr 1
		.amdhsa_user_sgpr_dispatch_id 0
		.amdhsa_user_sgpr_kernarg_preload_length 0
		.amdhsa_user_sgpr_kernarg_preload_offset 0
		.amdhsa_user_sgpr_private_segment_size 0
		.amdhsa_wavefront_size32 1
		.amdhsa_uses_dynamic_stack 0
		.amdhsa_enable_private_segment 0
		.amdhsa_system_sgpr_workgroup_id_x 1
		.amdhsa_system_sgpr_workgroup_id_y 0
		.amdhsa_system_sgpr_workgroup_id_z 0
		.amdhsa_system_sgpr_workgroup_info 0
		.amdhsa_system_vgpr_workitem_id 0
		.amdhsa_next_free_vgpr 1
		.amdhsa_next_free_sgpr 1
		.amdhsa_named_barrier_count 0
		.amdhsa_reserve_vcc 0
		.amdhsa_float_round_mode_32 0
		.amdhsa_float_round_mode_16_64 0
		.amdhsa_float_denorm_mode_32 3
		.amdhsa_float_denorm_mode_16_64 3
		.amdhsa_fp16_overflow 0
		.amdhsa_memory_ordered 1
		.amdhsa_forward_progress 1
		.amdhsa_inst_pref_size 0
		.amdhsa_round_robin_scheduling 0
		.amdhsa_exception_fp_ieee_invalid_op 0
		.amdhsa_exception_fp_denorm_src 0
		.amdhsa_exception_fp_ieee_div_zero 0
		.amdhsa_exception_fp_ieee_overflow 0
		.amdhsa_exception_fp_ieee_underflow 0
		.amdhsa_exception_fp_ieee_inexact 0
		.amdhsa_exception_int_div_zero 0
	.end_amdhsa_kernel
	.section	.text._ZN7rocprim17ROCPRIM_400000_NS6detail17trampoline_kernelINS0_14default_configENS1_36segmented_radix_sort_config_selectorIdlEEZNS1_25segmented_radix_sort_implIS3_Lb1EPKdPdPKlPlN2at6native12_GLOBAL__N_18offset_tEEE10hipError_tPvRmT1_PNSt15iterator_traitsISK_E10value_typeET2_T3_PNSL_ISQ_E10value_typeET4_jRbjT5_SW_jjP12ihipStream_tbEUlT_E1_NS1_11comp_targetILNS1_3genE3ELNS1_11target_archE908ELNS1_3gpuE7ELNS1_3repE0EEENS1_59segmented_radix_sort_warp_sort_small_config_static_selectorELNS0_4arch9wavefront6targetE0EEEvSK_,"axG",@progbits,_ZN7rocprim17ROCPRIM_400000_NS6detail17trampoline_kernelINS0_14default_configENS1_36segmented_radix_sort_config_selectorIdlEEZNS1_25segmented_radix_sort_implIS3_Lb1EPKdPdPKlPlN2at6native12_GLOBAL__N_18offset_tEEE10hipError_tPvRmT1_PNSt15iterator_traitsISK_E10value_typeET2_T3_PNSL_ISQ_E10value_typeET4_jRbjT5_SW_jjP12ihipStream_tbEUlT_E1_NS1_11comp_targetILNS1_3genE3ELNS1_11target_archE908ELNS1_3gpuE7ELNS1_3repE0EEENS1_59segmented_radix_sort_warp_sort_small_config_static_selectorELNS0_4arch9wavefront6targetE0EEEvSK_,comdat
.Lfunc_end1136:
	.size	_ZN7rocprim17ROCPRIM_400000_NS6detail17trampoline_kernelINS0_14default_configENS1_36segmented_radix_sort_config_selectorIdlEEZNS1_25segmented_radix_sort_implIS3_Lb1EPKdPdPKlPlN2at6native12_GLOBAL__N_18offset_tEEE10hipError_tPvRmT1_PNSt15iterator_traitsISK_E10value_typeET2_T3_PNSL_ISQ_E10value_typeET4_jRbjT5_SW_jjP12ihipStream_tbEUlT_E1_NS1_11comp_targetILNS1_3genE3ELNS1_11target_archE908ELNS1_3gpuE7ELNS1_3repE0EEENS1_59segmented_radix_sort_warp_sort_small_config_static_selectorELNS0_4arch9wavefront6targetE0EEEvSK_, .Lfunc_end1136-_ZN7rocprim17ROCPRIM_400000_NS6detail17trampoline_kernelINS0_14default_configENS1_36segmented_radix_sort_config_selectorIdlEEZNS1_25segmented_radix_sort_implIS3_Lb1EPKdPdPKlPlN2at6native12_GLOBAL__N_18offset_tEEE10hipError_tPvRmT1_PNSt15iterator_traitsISK_E10value_typeET2_T3_PNSL_ISQ_E10value_typeET4_jRbjT5_SW_jjP12ihipStream_tbEUlT_E1_NS1_11comp_targetILNS1_3genE3ELNS1_11target_archE908ELNS1_3gpuE7ELNS1_3repE0EEENS1_59segmented_radix_sort_warp_sort_small_config_static_selectorELNS0_4arch9wavefront6targetE0EEEvSK_
                                        ; -- End function
	.set _ZN7rocprim17ROCPRIM_400000_NS6detail17trampoline_kernelINS0_14default_configENS1_36segmented_radix_sort_config_selectorIdlEEZNS1_25segmented_radix_sort_implIS3_Lb1EPKdPdPKlPlN2at6native12_GLOBAL__N_18offset_tEEE10hipError_tPvRmT1_PNSt15iterator_traitsISK_E10value_typeET2_T3_PNSL_ISQ_E10value_typeET4_jRbjT5_SW_jjP12ihipStream_tbEUlT_E1_NS1_11comp_targetILNS1_3genE3ELNS1_11target_archE908ELNS1_3gpuE7ELNS1_3repE0EEENS1_59segmented_radix_sort_warp_sort_small_config_static_selectorELNS0_4arch9wavefront6targetE0EEEvSK_.num_vgpr, 0
	.set _ZN7rocprim17ROCPRIM_400000_NS6detail17trampoline_kernelINS0_14default_configENS1_36segmented_radix_sort_config_selectorIdlEEZNS1_25segmented_radix_sort_implIS3_Lb1EPKdPdPKlPlN2at6native12_GLOBAL__N_18offset_tEEE10hipError_tPvRmT1_PNSt15iterator_traitsISK_E10value_typeET2_T3_PNSL_ISQ_E10value_typeET4_jRbjT5_SW_jjP12ihipStream_tbEUlT_E1_NS1_11comp_targetILNS1_3genE3ELNS1_11target_archE908ELNS1_3gpuE7ELNS1_3repE0EEENS1_59segmented_radix_sort_warp_sort_small_config_static_selectorELNS0_4arch9wavefront6targetE0EEEvSK_.num_agpr, 0
	.set _ZN7rocprim17ROCPRIM_400000_NS6detail17trampoline_kernelINS0_14default_configENS1_36segmented_radix_sort_config_selectorIdlEEZNS1_25segmented_radix_sort_implIS3_Lb1EPKdPdPKlPlN2at6native12_GLOBAL__N_18offset_tEEE10hipError_tPvRmT1_PNSt15iterator_traitsISK_E10value_typeET2_T3_PNSL_ISQ_E10value_typeET4_jRbjT5_SW_jjP12ihipStream_tbEUlT_E1_NS1_11comp_targetILNS1_3genE3ELNS1_11target_archE908ELNS1_3gpuE7ELNS1_3repE0EEENS1_59segmented_radix_sort_warp_sort_small_config_static_selectorELNS0_4arch9wavefront6targetE0EEEvSK_.numbered_sgpr, 0
	.set _ZN7rocprim17ROCPRIM_400000_NS6detail17trampoline_kernelINS0_14default_configENS1_36segmented_radix_sort_config_selectorIdlEEZNS1_25segmented_radix_sort_implIS3_Lb1EPKdPdPKlPlN2at6native12_GLOBAL__N_18offset_tEEE10hipError_tPvRmT1_PNSt15iterator_traitsISK_E10value_typeET2_T3_PNSL_ISQ_E10value_typeET4_jRbjT5_SW_jjP12ihipStream_tbEUlT_E1_NS1_11comp_targetILNS1_3genE3ELNS1_11target_archE908ELNS1_3gpuE7ELNS1_3repE0EEENS1_59segmented_radix_sort_warp_sort_small_config_static_selectorELNS0_4arch9wavefront6targetE0EEEvSK_.num_named_barrier, 0
	.set _ZN7rocprim17ROCPRIM_400000_NS6detail17trampoline_kernelINS0_14default_configENS1_36segmented_radix_sort_config_selectorIdlEEZNS1_25segmented_radix_sort_implIS3_Lb1EPKdPdPKlPlN2at6native12_GLOBAL__N_18offset_tEEE10hipError_tPvRmT1_PNSt15iterator_traitsISK_E10value_typeET2_T3_PNSL_ISQ_E10value_typeET4_jRbjT5_SW_jjP12ihipStream_tbEUlT_E1_NS1_11comp_targetILNS1_3genE3ELNS1_11target_archE908ELNS1_3gpuE7ELNS1_3repE0EEENS1_59segmented_radix_sort_warp_sort_small_config_static_selectorELNS0_4arch9wavefront6targetE0EEEvSK_.private_seg_size, 0
	.set _ZN7rocprim17ROCPRIM_400000_NS6detail17trampoline_kernelINS0_14default_configENS1_36segmented_radix_sort_config_selectorIdlEEZNS1_25segmented_radix_sort_implIS3_Lb1EPKdPdPKlPlN2at6native12_GLOBAL__N_18offset_tEEE10hipError_tPvRmT1_PNSt15iterator_traitsISK_E10value_typeET2_T3_PNSL_ISQ_E10value_typeET4_jRbjT5_SW_jjP12ihipStream_tbEUlT_E1_NS1_11comp_targetILNS1_3genE3ELNS1_11target_archE908ELNS1_3gpuE7ELNS1_3repE0EEENS1_59segmented_radix_sort_warp_sort_small_config_static_selectorELNS0_4arch9wavefront6targetE0EEEvSK_.uses_vcc, 0
	.set _ZN7rocprim17ROCPRIM_400000_NS6detail17trampoline_kernelINS0_14default_configENS1_36segmented_radix_sort_config_selectorIdlEEZNS1_25segmented_radix_sort_implIS3_Lb1EPKdPdPKlPlN2at6native12_GLOBAL__N_18offset_tEEE10hipError_tPvRmT1_PNSt15iterator_traitsISK_E10value_typeET2_T3_PNSL_ISQ_E10value_typeET4_jRbjT5_SW_jjP12ihipStream_tbEUlT_E1_NS1_11comp_targetILNS1_3genE3ELNS1_11target_archE908ELNS1_3gpuE7ELNS1_3repE0EEENS1_59segmented_radix_sort_warp_sort_small_config_static_selectorELNS0_4arch9wavefront6targetE0EEEvSK_.uses_flat_scratch, 0
	.set _ZN7rocprim17ROCPRIM_400000_NS6detail17trampoline_kernelINS0_14default_configENS1_36segmented_radix_sort_config_selectorIdlEEZNS1_25segmented_radix_sort_implIS3_Lb1EPKdPdPKlPlN2at6native12_GLOBAL__N_18offset_tEEE10hipError_tPvRmT1_PNSt15iterator_traitsISK_E10value_typeET2_T3_PNSL_ISQ_E10value_typeET4_jRbjT5_SW_jjP12ihipStream_tbEUlT_E1_NS1_11comp_targetILNS1_3genE3ELNS1_11target_archE908ELNS1_3gpuE7ELNS1_3repE0EEENS1_59segmented_radix_sort_warp_sort_small_config_static_selectorELNS0_4arch9wavefront6targetE0EEEvSK_.has_dyn_sized_stack, 0
	.set _ZN7rocprim17ROCPRIM_400000_NS6detail17trampoline_kernelINS0_14default_configENS1_36segmented_radix_sort_config_selectorIdlEEZNS1_25segmented_radix_sort_implIS3_Lb1EPKdPdPKlPlN2at6native12_GLOBAL__N_18offset_tEEE10hipError_tPvRmT1_PNSt15iterator_traitsISK_E10value_typeET2_T3_PNSL_ISQ_E10value_typeET4_jRbjT5_SW_jjP12ihipStream_tbEUlT_E1_NS1_11comp_targetILNS1_3genE3ELNS1_11target_archE908ELNS1_3gpuE7ELNS1_3repE0EEENS1_59segmented_radix_sort_warp_sort_small_config_static_selectorELNS0_4arch9wavefront6targetE0EEEvSK_.has_recursion, 0
	.set _ZN7rocprim17ROCPRIM_400000_NS6detail17trampoline_kernelINS0_14default_configENS1_36segmented_radix_sort_config_selectorIdlEEZNS1_25segmented_radix_sort_implIS3_Lb1EPKdPdPKlPlN2at6native12_GLOBAL__N_18offset_tEEE10hipError_tPvRmT1_PNSt15iterator_traitsISK_E10value_typeET2_T3_PNSL_ISQ_E10value_typeET4_jRbjT5_SW_jjP12ihipStream_tbEUlT_E1_NS1_11comp_targetILNS1_3genE3ELNS1_11target_archE908ELNS1_3gpuE7ELNS1_3repE0EEENS1_59segmented_radix_sort_warp_sort_small_config_static_selectorELNS0_4arch9wavefront6targetE0EEEvSK_.has_indirect_call, 0
	.section	.AMDGPU.csdata,"",@progbits
; Kernel info:
; codeLenInByte = 0
; TotalNumSgprs: 0
; NumVgprs: 0
; ScratchSize: 0
; MemoryBound: 0
; FloatMode: 240
; IeeeMode: 1
; LDSByteSize: 0 bytes/workgroup (compile time only)
; SGPRBlocks: 0
; VGPRBlocks: 0
; NumSGPRsForWavesPerEU: 1
; NumVGPRsForWavesPerEU: 1
; NamedBarCnt: 0
; Occupancy: 16
; WaveLimiterHint : 0
; COMPUTE_PGM_RSRC2:SCRATCH_EN: 0
; COMPUTE_PGM_RSRC2:USER_SGPR: 2
; COMPUTE_PGM_RSRC2:TRAP_HANDLER: 0
; COMPUTE_PGM_RSRC2:TGID_X_EN: 1
; COMPUTE_PGM_RSRC2:TGID_Y_EN: 0
; COMPUTE_PGM_RSRC2:TGID_Z_EN: 0
; COMPUTE_PGM_RSRC2:TIDIG_COMP_CNT: 0
	.section	.text._ZN7rocprim17ROCPRIM_400000_NS6detail17trampoline_kernelINS0_14default_configENS1_36segmented_radix_sort_config_selectorIdlEEZNS1_25segmented_radix_sort_implIS3_Lb1EPKdPdPKlPlN2at6native12_GLOBAL__N_18offset_tEEE10hipError_tPvRmT1_PNSt15iterator_traitsISK_E10value_typeET2_T3_PNSL_ISQ_E10value_typeET4_jRbjT5_SW_jjP12ihipStream_tbEUlT_E1_NS1_11comp_targetILNS1_3genE2ELNS1_11target_archE906ELNS1_3gpuE6ELNS1_3repE0EEENS1_59segmented_radix_sort_warp_sort_small_config_static_selectorELNS0_4arch9wavefront6targetE0EEEvSK_,"axG",@progbits,_ZN7rocprim17ROCPRIM_400000_NS6detail17trampoline_kernelINS0_14default_configENS1_36segmented_radix_sort_config_selectorIdlEEZNS1_25segmented_radix_sort_implIS3_Lb1EPKdPdPKlPlN2at6native12_GLOBAL__N_18offset_tEEE10hipError_tPvRmT1_PNSt15iterator_traitsISK_E10value_typeET2_T3_PNSL_ISQ_E10value_typeET4_jRbjT5_SW_jjP12ihipStream_tbEUlT_E1_NS1_11comp_targetILNS1_3genE2ELNS1_11target_archE906ELNS1_3gpuE6ELNS1_3repE0EEENS1_59segmented_radix_sort_warp_sort_small_config_static_selectorELNS0_4arch9wavefront6targetE0EEEvSK_,comdat
	.globl	_ZN7rocprim17ROCPRIM_400000_NS6detail17trampoline_kernelINS0_14default_configENS1_36segmented_radix_sort_config_selectorIdlEEZNS1_25segmented_radix_sort_implIS3_Lb1EPKdPdPKlPlN2at6native12_GLOBAL__N_18offset_tEEE10hipError_tPvRmT1_PNSt15iterator_traitsISK_E10value_typeET2_T3_PNSL_ISQ_E10value_typeET4_jRbjT5_SW_jjP12ihipStream_tbEUlT_E1_NS1_11comp_targetILNS1_3genE2ELNS1_11target_archE906ELNS1_3gpuE6ELNS1_3repE0EEENS1_59segmented_radix_sort_warp_sort_small_config_static_selectorELNS0_4arch9wavefront6targetE0EEEvSK_ ; -- Begin function _ZN7rocprim17ROCPRIM_400000_NS6detail17trampoline_kernelINS0_14default_configENS1_36segmented_radix_sort_config_selectorIdlEEZNS1_25segmented_radix_sort_implIS3_Lb1EPKdPdPKlPlN2at6native12_GLOBAL__N_18offset_tEEE10hipError_tPvRmT1_PNSt15iterator_traitsISK_E10value_typeET2_T3_PNSL_ISQ_E10value_typeET4_jRbjT5_SW_jjP12ihipStream_tbEUlT_E1_NS1_11comp_targetILNS1_3genE2ELNS1_11target_archE906ELNS1_3gpuE6ELNS1_3repE0EEENS1_59segmented_radix_sort_warp_sort_small_config_static_selectorELNS0_4arch9wavefront6targetE0EEEvSK_
	.p2align	8
	.type	_ZN7rocprim17ROCPRIM_400000_NS6detail17trampoline_kernelINS0_14default_configENS1_36segmented_radix_sort_config_selectorIdlEEZNS1_25segmented_radix_sort_implIS3_Lb1EPKdPdPKlPlN2at6native12_GLOBAL__N_18offset_tEEE10hipError_tPvRmT1_PNSt15iterator_traitsISK_E10value_typeET2_T3_PNSL_ISQ_E10value_typeET4_jRbjT5_SW_jjP12ihipStream_tbEUlT_E1_NS1_11comp_targetILNS1_3genE2ELNS1_11target_archE906ELNS1_3gpuE6ELNS1_3repE0EEENS1_59segmented_radix_sort_warp_sort_small_config_static_selectorELNS0_4arch9wavefront6targetE0EEEvSK_,@function
_ZN7rocprim17ROCPRIM_400000_NS6detail17trampoline_kernelINS0_14default_configENS1_36segmented_radix_sort_config_selectorIdlEEZNS1_25segmented_radix_sort_implIS3_Lb1EPKdPdPKlPlN2at6native12_GLOBAL__N_18offset_tEEE10hipError_tPvRmT1_PNSt15iterator_traitsISK_E10value_typeET2_T3_PNSL_ISQ_E10value_typeET4_jRbjT5_SW_jjP12ihipStream_tbEUlT_E1_NS1_11comp_targetILNS1_3genE2ELNS1_11target_archE906ELNS1_3gpuE6ELNS1_3repE0EEENS1_59segmented_radix_sort_warp_sort_small_config_static_selectorELNS0_4arch9wavefront6targetE0EEEvSK_: ; @_ZN7rocprim17ROCPRIM_400000_NS6detail17trampoline_kernelINS0_14default_configENS1_36segmented_radix_sort_config_selectorIdlEEZNS1_25segmented_radix_sort_implIS3_Lb1EPKdPdPKlPlN2at6native12_GLOBAL__N_18offset_tEEE10hipError_tPvRmT1_PNSt15iterator_traitsISK_E10value_typeET2_T3_PNSL_ISQ_E10value_typeET4_jRbjT5_SW_jjP12ihipStream_tbEUlT_E1_NS1_11comp_targetILNS1_3genE2ELNS1_11target_archE906ELNS1_3gpuE6ELNS1_3repE0EEENS1_59segmented_radix_sort_warp_sort_small_config_static_selectorELNS0_4arch9wavefront6targetE0EEEvSK_
; %bb.0:
	.section	.rodata,"a",@progbits
	.p2align	6, 0x0
	.amdhsa_kernel _ZN7rocprim17ROCPRIM_400000_NS6detail17trampoline_kernelINS0_14default_configENS1_36segmented_radix_sort_config_selectorIdlEEZNS1_25segmented_radix_sort_implIS3_Lb1EPKdPdPKlPlN2at6native12_GLOBAL__N_18offset_tEEE10hipError_tPvRmT1_PNSt15iterator_traitsISK_E10value_typeET2_T3_PNSL_ISQ_E10value_typeET4_jRbjT5_SW_jjP12ihipStream_tbEUlT_E1_NS1_11comp_targetILNS1_3genE2ELNS1_11target_archE906ELNS1_3gpuE6ELNS1_3repE0EEENS1_59segmented_radix_sort_warp_sort_small_config_static_selectorELNS0_4arch9wavefront6targetE0EEEvSK_
		.amdhsa_group_segment_fixed_size 0
		.amdhsa_private_segment_fixed_size 0
		.amdhsa_kernarg_size 88
		.amdhsa_user_sgpr_count 2
		.amdhsa_user_sgpr_dispatch_ptr 0
		.amdhsa_user_sgpr_queue_ptr 0
		.amdhsa_user_sgpr_kernarg_segment_ptr 1
		.amdhsa_user_sgpr_dispatch_id 0
		.amdhsa_user_sgpr_kernarg_preload_length 0
		.amdhsa_user_sgpr_kernarg_preload_offset 0
		.amdhsa_user_sgpr_private_segment_size 0
		.amdhsa_wavefront_size32 1
		.amdhsa_uses_dynamic_stack 0
		.amdhsa_enable_private_segment 0
		.amdhsa_system_sgpr_workgroup_id_x 1
		.amdhsa_system_sgpr_workgroup_id_y 0
		.amdhsa_system_sgpr_workgroup_id_z 0
		.amdhsa_system_sgpr_workgroup_info 0
		.amdhsa_system_vgpr_workitem_id 0
		.amdhsa_next_free_vgpr 1
		.amdhsa_next_free_sgpr 1
		.amdhsa_named_barrier_count 0
		.amdhsa_reserve_vcc 0
		.amdhsa_float_round_mode_32 0
		.amdhsa_float_round_mode_16_64 0
		.amdhsa_float_denorm_mode_32 3
		.amdhsa_float_denorm_mode_16_64 3
		.amdhsa_fp16_overflow 0
		.amdhsa_memory_ordered 1
		.amdhsa_forward_progress 1
		.amdhsa_inst_pref_size 0
		.amdhsa_round_robin_scheduling 0
		.amdhsa_exception_fp_ieee_invalid_op 0
		.amdhsa_exception_fp_denorm_src 0
		.amdhsa_exception_fp_ieee_div_zero 0
		.amdhsa_exception_fp_ieee_overflow 0
		.amdhsa_exception_fp_ieee_underflow 0
		.amdhsa_exception_fp_ieee_inexact 0
		.amdhsa_exception_int_div_zero 0
	.end_amdhsa_kernel
	.section	.text._ZN7rocprim17ROCPRIM_400000_NS6detail17trampoline_kernelINS0_14default_configENS1_36segmented_radix_sort_config_selectorIdlEEZNS1_25segmented_radix_sort_implIS3_Lb1EPKdPdPKlPlN2at6native12_GLOBAL__N_18offset_tEEE10hipError_tPvRmT1_PNSt15iterator_traitsISK_E10value_typeET2_T3_PNSL_ISQ_E10value_typeET4_jRbjT5_SW_jjP12ihipStream_tbEUlT_E1_NS1_11comp_targetILNS1_3genE2ELNS1_11target_archE906ELNS1_3gpuE6ELNS1_3repE0EEENS1_59segmented_radix_sort_warp_sort_small_config_static_selectorELNS0_4arch9wavefront6targetE0EEEvSK_,"axG",@progbits,_ZN7rocprim17ROCPRIM_400000_NS6detail17trampoline_kernelINS0_14default_configENS1_36segmented_radix_sort_config_selectorIdlEEZNS1_25segmented_radix_sort_implIS3_Lb1EPKdPdPKlPlN2at6native12_GLOBAL__N_18offset_tEEE10hipError_tPvRmT1_PNSt15iterator_traitsISK_E10value_typeET2_T3_PNSL_ISQ_E10value_typeET4_jRbjT5_SW_jjP12ihipStream_tbEUlT_E1_NS1_11comp_targetILNS1_3genE2ELNS1_11target_archE906ELNS1_3gpuE6ELNS1_3repE0EEENS1_59segmented_radix_sort_warp_sort_small_config_static_selectorELNS0_4arch9wavefront6targetE0EEEvSK_,comdat
.Lfunc_end1137:
	.size	_ZN7rocprim17ROCPRIM_400000_NS6detail17trampoline_kernelINS0_14default_configENS1_36segmented_radix_sort_config_selectorIdlEEZNS1_25segmented_radix_sort_implIS3_Lb1EPKdPdPKlPlN2at6native12_GLOBAL__N_18offset_tEEE10hipError_tPvRmT1_PNSt15iterator_traitsISK_E10value_typeET2_T3_PNSL_ISQ_E10value_typeET4_jRbjT5_SW_jjP12ihipStream_tbEUlT_E1_NS1_11comp_targetILNS1_3genE2ELNS1_11target_archE906ELNS1_3gpuE6ELNS1_3repE0EEENS1_59segmented_radix_sort_warp_sort_small_config_static_selectorELNS0_4arch9wavefront6targetE0EEEvSK_, .Lfunc_end1137-_ZN7rocprim17ROCPRIM_400000_NS6detail17trampoline_kernelINS0_14default_configENS1_36segmented_radix_sort_config_selectorIdlEEZNS1_25segmented_radix_sort_implIS3_Lb1EPKdPdPKlPlN2at6native12_GLOBAL__N_18offset_tEEE10hipError_tPvRmT1_PNSt15iterator_traitsISK_E10value_typeET2_T3_PNSL_ISQ_E10value_typeET4_jRbjT5_SW_jjP12ihipStream_tbEUlT_E1_NS1_11comp_targetILNS1_3genE2ELNS1_11target_archE906ELNS1_3gpuE6ELNS1_3repE0EEENS1_59segmented_radix_sort_warp_sort_small_config_static_selectorELNS0_4arch9wavefront6targetE0EEEvSK_
                                        ; -- End function
	.set _ZN7rocprim17ROCPRIM_400000_NS6detail17trampoline_kernelINS0_14default_configENS1_36segmented_radix_sort_config_selectorIdlEEZNS1_25segmented_radix_sort_implIS3_Lb1EPKdPdPKlPlN2at6native12_GLOBAL__N_18offset_tEEE10hipError_tPvRmT1_PNSt15iterator_traitsISK_E10value_typeET2_T3_PNSL_ISQ_E10value_typeET4_jRbjT5_SW_jjP12ihipStream_tbEUlT_E1_NS1_11comp_targetILNS1_3genE2ELNS1_11target_archE906ELNS1_3gpuE6ELNS1_3repE0EEENS1_59segmented_radix_sort_warp_sort_small_config_static_selectorELNS0_4arch9wavefront6targetE0EEEvSK_.num_vgpr, 0
	.set _ZN7rocprim17ROCPRIM_400000_NS6detail17trampoline_kernelINS0_14default_configENS1_36segmented_radix_sort_config_selectorIdlEEZNS1_25segmented_radix_sort_implIS3_Lb1EPKdPdPKlPlN2at6native12_GLOBAL__N_18offset_tEEE10hipError_tPvRmT1_PNSt15iterator_traitsISK_E10value_typeET2_T3_PNSL_ISQ_E10value_typeET4_jRbjT5_SW_jjP12ihipStream_tbEUlT_E1_NS1_11comp_targetILNS1_3genE2ELNS1_11target_archE906ELNS1_3gpuE6ELNS1_3repE0EEENS1_59segmented_radix_sort_warp_sort_small_config_static_selectorELNS0_4arch9wavefront6targetE0EEEvSK_.num_agpr, 0
	.set _ZN7rocprim17ROCPRIM_400000_NS6detail17trampoline_kernelINS0_14default_configENS1_36segmented_radix_sort_config_selectorIdlEEZNS1_25segmented_radix_sort_implIS3_Lb1EPKdPdPKlPlN2at6native12_GLOBAL__N_18offset_tEEE10hipError_tPvRmT1_PNSt15iterator_traitsISK_E10value_typeET2_T3_PNSL_ISQ_E10value_typeET4_jRbjT5_SW_jjP12ihipStream_tbEUlT_E1_NS1_11comp_targetILNS1_3genE2ELNS1_11target_archE906ELNS1_3gpuE6ELNS1_3repE0EEENS1_59segmented_radix_sort_warp_sort_small_config_static_selectorELNS0_4arch9wavefront6targetE0EEEvSK_.numbered_sgpr, 0
	.set _ZN7rocprim17ROCPRIM_400000_NS6detail17trampoline_kernelINS0_14default_configENS1_36segmented_radix_sort_config_selectorIdlEEZNS1_25segmented_radix_sort_implIS3_Lb1EPKdPdPKlPlN2at6native12_GLOBAL__N_18offset_tEEE10hipError_tPvRmT1_PNSt15iterator_traitsISK_E10value_typeET2_T3_PNSL_ISQ_E10value_typeET4_jRbjT5_SW_jjP12ihipStream_tbEUlT_E1_NS1_11comp_targetILNS1_3genE2ELNS1_11target_archE906ELNS1_3gpuE6ELNS1_3repE0EEENS1_59segmented_radix_sort_warp_sort_small_config_static_selectorELNS0_4arch9wavefront6targetE0EEEvSK_.num_named_barrier, 0
	.set _ZN7rocprim17ROCPRIM_400000_NS6detail17trampoline_kernelINS0_14default_configENS1_36segmented_radix_sort_config_selectorIdlEEZNS1_25segmented_radix_sort_implIS3_Lb1EPKdPdPKlPlN2at6native12_GLOBAL__N_18offset_tEEE10hipError_tPvRmT1_PNSt15iterator_traitsISK_E10value_typeET2_T3_PNSL_ISQ_E10value_typeET4_jRbjT5_SW_jjP12ihipStream_tbEUlT_E1_NS1_11comp_targetILNS1_3genE2ELNS1_11target_archE906ELNS1_3gpuE6ELNS1_3repE0EEENS1_59segmented_radix_sort_warp_sort_small_config_static_selectorELNS0_4arch9wavefront6targetE0EEEvSK_.private_seg_size, 0
	.set _ZN7rocprim17ROCPRIM_400000_NS6detail17trampoline_kernelINS0_14default_configENS1_36segmented_radix_sort_config_selectorIdlEEZNS1_25segmented_radix_sort_implIS3_Lb1EPKdPdPKlPlN2at6native12_GLOBAL__N_18offset_tEEE10hipError_tPvRmT1_PNSt15iterator_traitsISK_E10value_typeET2_T3_PNSL_ISQ_E10value_typeET4_jRbjT5_SW_jjP12ihipStream_tbEUlT_E1_NS1_11comp_targetILNS1_3genE2ELNS1_11target_archE906ELNS1_3gpuE6ELNS1_3repE0EEENS1_59segmented_radix_sort_warp_sort_small_config_static_selectorELNS0_4arch9wavefront6targetE0EEEvSK_.uses_vcc, 0
	.set _ZN7rocprim17ROCPRIM_400000_NS6detail17trampoline_kernelINS0_14default_configENS1_36segmented_radix_sort_config_selectorIdlEEZNS1_25segmented_radix_sort_implIS3_Lb1EPKdPdPKlPlN2at6native12_GLOBAL__N_18offset_tEEE10hipError_tPvRmT1_PNSt15iterator_traitsISK_E10value_typeET2_T3_PNSL_ISQ_E10value_typeET4_jRbjT5_SW_jjP12ihipStream_tbEUlT_E1_NS1_11comp_targetILNS1_3genE2ELNS1_11target_archE906ELNS1_3gpuE6ELNS1_3repE0EEENS1_59segmented_radix_sort_warp_sort_small_config_static_selectorELNS0_4arch9wavefront6targetE0EEEvSK_.uses_flat_scratch, 0
	.set _ZN7rocprim17ROCPRIM_400000_NS6detail17trampoline_kernelINS0_14default_configENS1_36segmented_radix_sort_config_selectorIdlEEZNS1_25segmented_radix_sort_implIS3_Lb1EPKdPdPKlPlN2at6native12_GLOBAL__N_18offset_tEEE10hipError_tPvRmT1_PNSt15iterator_traitsISK_E10value_typeET2_T3_PNSL_ISQ_E10value_typeET4_jRbjT5_SW_jjP12ihipStream_tbEUlT_E1_NS1_11comp_targetILNS1_3genE2ELNS1_11target_archE906ELNS1_3gpuE6ELNS1_3repE0EEENS1_59segmented_radix_sort_warp_sort_small_config_static_selectorELNS0_4arch9wavefront6targetE0EEEvSK_.has_dyn_sized_stack, 0
	.set _ZN7rocprim17ROCPRIM_400000_NS6detail17trampoline_kernelINS0_14default_configENS1_36segmented_radix_sort_config_selectorIdlEEZNS1_25segmented_radix_sort_implIS3_Lb1EPKdPdPKlPlN2at6native12_GLOBAL__N_18offset_tEEE10hipError_tPvRmT1_PNSt15iterator_traitsISK_E10value_typeET2_T3_PNSL_ISQ_E10value_typeET4_jRbjT5_SW_jjP12ihipStream_tbEUlT_E1_NS1_11comp_targetILNS1_3genE2ELNS1_11target_archE906ELNS1_3gpuE6ELNS1_3repE0EEENS1_59segmented_radix_sort_warp_sort_small_config_static_selectorELNS0_4arch9wavefront6targetE0EEEvSK_.has_recursion, 0
	.set _ZN7rocprim17ROCPRIM_400000_NS6detail17trampoline_kernelINS0_14default_configENS1_36segmented_radix_sort_config_selectorIdlEEZNS1_25segmented_radix_sort_implIS3_Lb1EPKdPdPKlPlN2at6native12_GLOBAL__N_18offset_tEEE10hipError_tPvRmT1_PNSt15iterator_traitsISK_E10value_typeET2_T3_PNSL_ISQ_E10value_typeET4_jRbjT5_SW_jjP12ihipStream_tbEUlT_E1_NS1_11comp_targetILNS1_3genE2ELNS1_11target_archE906ELNS1_3gpuE6ELNS1_3repE0EEENS1_59segmented_radix_sort_warp_sort_small_config_static_selectorELNS0_4arch9wavefront6targetE0EEEvSK_.has_indirect_call, 0
	.section	.AMDGPU.csdata,"",@progbits
; Kernel info:
; codeLenInByte = 0
; TotalNumSgprs: 0
; NumVgprs: 0
; ScratchSize: 0
; MemoryBound: 0
; FloatMode: 240
; IeeeMode: 1
; LDSByteSize: 0 bytes/workgroup (compile time only)
; SGPRBlocks: 0
; VGPRBlocks: 0
; NumSGPRsForWavesPerEU: 1
; NumVGPRsForWavesPerEU: 1
; NamedBarCnt: 0
; Occupancy: 16
; WaveLimiterHint : 0
; COMPUTE_PGM_RSRC2:SCRATCH_EN: 0
; COMPUTE_PGM_RSRC2:USER_SGPR: 2
; COMPUTE_PGM_RSRC2:TRAP_HANDLER: 0
; COMPUTE_PGM_RSRC2:TGID_X_EN: 1
; COMPUTE_PGM_RSRC2:TGID_Y_EN: 0
; COMPUTE_PGM_RSRC2:TGID_Z_EN: 0
; COMPUTE_PGM_RSRC2:TIDIG_COMP_CNT: 0
	.section	.text._ZN7rocprim17ROCPRIM_400000_NS6detail17trampoline_kernelINS0_14default_configENS1_36segmented_radix_sort_config_selectorIdlEEZNS1_25segmented_radix_sort_implIS3_Lb1EPKdPdPKlPlN2at6native12_GLOBAL__N_18offset_tEEE10hipError_tPvRmT1_PNSt15iterator_traitsISK_E10value_typeET2_T3_PNSL_ISQ_E10value_typeET4_jRbjT5_SW_jjP12ihipStream_tbEUlT_E1_NS1_11comp_targetILNS1_3genE10ELNS1_11target_archE1201ELNS1_3gpuE5ELNS1_3repE0EEENS1_59segmented_radix_sort_warp_sort_small_config_static_selectorELNS0_4arch9wavefront6targetE0EEEvSK_,"axG",@progbits,_ZN7rocprim17ROCPRIM_400000_NS6detail17trampoline_kernelINS0_14default_configENS1_36segmented_radix_sort_config_selectorIdlEEZNS1_25segmented_radix_sort_implIS3_Lb1EPKdPdPKlPlN2at6native12_GLOBAL__N_18offset_tEEE10hipError_tPvRmT1_PNSt15iterator_traitsISK_E10value_typeET2_T3_PNSL_ISQ_E10value_typeET4_jRbjT5_SW_jjP12ihipStream_tbEUlT_E1_NS1_11comp_targetILNS1_3genE10ELNS1_11target_archE1201ELNS1_3gpuE5ELNS1_3repE0EEENS1_59segmented_radix_sort_warp_sort_small_config_static_selectorELNS0_4arch9wavefront6targetE0EEEvSK_,comdat
	.globl	_ZN7rocprim17ROCPRIM_400000_NS6detail17trampoline_kernelINS0_14default_configENS1_36segmented_radix_sort_config_selectorIdlEEZNS1_25segmented_radix_sort_implIS3_Lb1EPKdPdPKlPlN2at6native12_GLOBAL__N_18offset_tEEE10hipError_tPvRmT1_PNSt15iterator_traitsISK_E10value_typeET2_T3_PNSL_ISQ_E10value_typeET4_jRbjT5_SW_jjP12ihipStream_tbEUlT_E1_NS1_11comp_targetILNS1_3genE10ELNS1_11target_archE1201ELNS1_3gpuE5ELNS1_3repE0EEENS1_59segmented_radix_sort_warp_sort_small_config_static_selectorELNS0_4arch9wavefront6targetE0EEEvSK_ ; -- Begin function _ZN7rocprim17ROCPRIM_400000_NS6detail17trampoline_kernelINS0_14default_configENS1_36segmented_radix_sort_config_selectorIdlEEZNS1_25segmented_radix_sort_implIS3_Lb1EPKdPdPKlPlN2at6native12_GLOBAL__N_18offset_tEEE10hipError_tPvRmT1_PNSt15iterator_traitsISK_E10value_typeET2_T3_PNSL_ISQ_E10value_typeET4_jRbjT5_SW_jjP12ihipStream_tbEUlT_E1_NS1_11comp_targetILNS1_3genE10ELNS1_11target_archE1201ELNS1_3gpuE5ELNS1_3repE0EEENS1_59segmented_radix_sort_warp_sort_small_config_static_selectorELNS0_4arch9wavefront6targetE0EEEvSK_
	.p2align	8
	.type	_ZN7rocprim17ROCPRIM_400000_NS6detail17trampoline_kernelINS0_14default_configENS1_36segmented_radix_sort_config_selectorIdlEEZNS1_25segmented_radix_sort_implIS3_Lb1EPKdPdPKlPlN2at6native12_GLOBAL__N_18offset_tEEE10hipError_tPvRmT1_PNSt15iterator_traitsISK_E10value_typeET2_T3_PNSL_ISQ_E10value_typeET4_jRbjT5_SW_jjP12ihipStream_tbEUlT_E1_NS1_11comp_targetILNS1_3genE10ELNS1_11target_archE1201ELNS1_3gpuE5ELNS1_3repE0EEENS1_59segmented_radix_sort_warp_sort_small_config_static_selectorELNS0_4arch9wavefront6targetE0EEEvSK_,@function
_ZN7rocprim17ROCPRIM_400000_NS6detail17trampoline_kernelINS0_14default_configENS1_36segmented_radix_sort_config_selectorIdlEEZNS1_25segmented_radix_sort_implIS3_Lb1EPKdPdPKlPlN2at6native12_GLOBAL__N_18offset_tEEE10hipError_tPvRmT1_PNSt15iterator_traitsISK_E10value_typeET2_T3_PNSL_ISQ_E10value_typeET4_jRbjT5_SW_jjP12ihipStream_tbEUlT_E1_NS1_11comp_targetILNS1_3genE10ELNS1_11target_archE1201ELNS1_3gpuE5ELNS1_3repE0EEENS1_59segmented_radix_sort_warp_sort_small_config_static_selectorELNS0_4arch9wavefront6targetE0EEEvSK_: ; @_ZN7rocprim17ROCPRIM_400000_NS6detail17trampoline_kernelINS0_14default_configENS1_36segmented_radix_sort_config_selectorIdlEEZNS1_25segmented_radix_sort_implIS3_Lb1EPKdPdPKlPlN2at6native12_GLOBAL__N_18offset_tEEE10hipError_tPvRmT1_PNSt15iterator_traitsISK_E10value_typeET2_T3_PNSL_ISQ_E10value_typeET4_jRbjT5_SW_jjP12ihipStream_tbEUlT_E1_NS1_11comp_targetILNS1_3genE10ELNS1_11target_archE1201ELNS1_3gpuE5ELNS1_3repE0EEENS1_59segmented_radix_sort_warp_sort_small_config_static_selectorELNS0_4arch9wavefront6targetE0EEEvSK_
; %bb.0:
	.section	.rodata,"a",@progbits
	.p2align	6, 0x0
	.amdhsa_kernel _ZN7rocprim17ROCPRIM_400000_NS6detail17trampoline_kernelINS0_14default_configENS1_36segmented_radix_sort_config_selectorIdlEEZNS1_25segmented_radix_sort_implIS3_Lb1EPKdPdPKlPlN2at6native12_GLOBAL__N_18offset_tEEE10hipError_tPvRmT1_PNSt15iterator_traitsISK_E10value_typeET2_T3_PNSL_ISQ_E10value_typeET4_jRbjT5_SW_jjP12ihipStream_tbEUlT_E1_NS1_11comp_targetILNS1_3genE10ELNS1_11target_archE1201ELNS1_3gpuE5ELNS1_3repE0EEENS1_59segmented_radix_sort_warp_sort_small_config_static_selectorELNS0_4arch9wavefront6targetE0EEEvSK_
		.amdhsa_group_segment_fixed_size 0
		.amdhsa_private_segment_fixed_size 0
		.amdhsa_kernarg_size 88
		.amdhsa_user_sgpr_count 2
		.amdhsa_user_sgpr_dispatch_ptr 0
		.amdhsa_user_sgpr_queue_ptr 0
		.amdhsa_user_sgpr_kernarg_segment_ptr 1
		.amdhsa_user_sgpr_dispatch_id 0
		.amdhsa_user_sgpr_kernarg_preload_length 0
		.amdhsa_user_sgpr_kernarg_preload_offset 0
		.amdhsa_user_sgpr_private_segment_size 0
		.amdhsa_wavefront_size32 1
		.amdhsa_uses_dynamic_stack 0
		.amdhsa_enable_private_segment 0
		.amdhsa_system_sgpr_workgroup_id_x 1
		.amdhsa_system_sgpr_workgroup_id_y 0
		.amdhsa_system_sgpr_workgroup_id_z 0
		.amdhsa_system_sgpr_workgroup_info 0
		.amdhsa_system_vgpr_workitem_id 0
		.amdhsa_next_free_vgpr 1
		.amdhsa_next_free_sgpr 1
		.amdhsa_named_barrier_count 0
		.amdhsa_reserve_vcc 0
		.amdhsa_float_round_mode_32 0
		.amdhsa_float_round_mode_16_64 0
		.amdhsa_float_denorm_mode_32 3
		.amdhsa_float_denorm_mode_16_64 3
		.amdhsa_fp16_overflow 0
		.amdhsa_memory_ordered 1
		.amdhsa_forward_progress 1
		.amdhsa_inst_pref_size 0
		.amdhsa_round_robin_scheduling 0
		.amdhsa_exception_fp_ieee_invalid_op 0
		.amdhsa_exception_fp_denorm_src 0
		.amdhsa_exception_fp_ieee_div_zero 0
		.amdhsa_exception_fp_ieee_overflow 0
		.amdhsa_exception_fp_ieee_underflow 0
		.amdhsa_exception_fp_ieee_inexact 0
		.amdhsa_exception_int_div_zero 0
	.end_amdhsa_kernel
	.section	.text._ZN7rocprim17ROCPRIM_400000_NS6detail17trampoline_kernelINS0_14default_configENS1_36segmented_radix_sort_config_selectorIdlEEZNS1_25segmented_radix_sort_implIS3_Lb1EPKdPdPKlPlN2at6native12_GLOBAL__N_18offset_tEEE10hipError_tPvRmT1_PNSt15iterator_traitsISK_E10value_typeET2_T3_PNSL_ISQ_E10value_typeET4_jRbjT5_SW_jjP12ihipStream_tbEUlT_E1_NS1_11comp_targetILNS1_3genE10ELNS1_11target_archE1201ELNS1_3gpuE5ELNS1_3repE0EEENS1_59segmented_radix_sort_warp_sort_small_config_static_selectorELNS0_4arch9wavefront6targetE0EEEvSK_,"axG",@progbits,_ZN7rocprim17ROCPRIM_400000_NS6detail17trampoline_kernelINS0_14default_configENS1_36segmented_radix_sort_config_selectorIdlEEZNS1_25segmented_radix_sort_implIS3_Lb1EPKdPdPKlPlN2at6native12_GLOBAL__N_18offset_tEEE10hipError_tPvRmT1_PNSt15iterator_traitsISK_E10value_typeET2_T3_PNSL_ISQ_E10value_typeET4_jRbjT5_SW_jjP12ihipStream_tbEUlT_E1_NS1_11comp_targetILNS1_3genE10ELNS1_11target_archE1201ELNS1_3gpuE5ELNS1_3repE0EEENS1_59segmented_radix_sort_warp_sort_small_config_static_selectorELNS0_4arch9wavefront6targetE0EEEvSK_,comdat
.Lfunc_end1138:
	.size	_ZN7rocprim17ROCPRIM_400000_NS6detail17trampoline_kernelINS0_14default_configENS1_36segmented_radix_sort_config_selectorIdlEEZNS1_25segmented_radix_sort_implIS3_Lb1EPKdPdPKlPlN2at6native12_GLOBAL__N_18offset_tEEE10hipError_tPvRmT1_PNSt15iterator_traitsISK_E10value_typeET2_T3_PNSL_ISQ_E10value_typeET4_jRbjT5_SW_jjP12ihipStream_tbEUlT_E1_NS1_11comp_targetILNS1_3genE10ELNS1_11target_archE1201ELNS1_3gpuE5ELNS1_3repE0EEENS1_59segmented_radix_sort_warp_sort_small_config_static_selectorELNS0_4arch9wavefront6targetE0EEEvSK_, .Lfunc_end1138-_ZN7rocprim17ROCPRIM_400000_NS6detail17trampoline_kernelINS0_14default_configENS1_36segmented_radix_sort_config_selectorIdlEEZNS1_25segmented_radix_sort_implIS3_Lb1EPKdPdPKlPlN2at6native12_GLOBAL__N_18offset_tEEE10hipError_tPvRmT1_PNSt15iterator_traitsISK_E10value_typeET2_T3_PNSL_ISQ_E10value_typeET4_jRbjT5_SW_jjP12ihipStream_tbEUlT_E1_NS1_11comp_targetILNS1_3genE10ELNS1_11target_archE1201ELNS1_3gpuE5ELNS1_3repE0EEENS1_59segmented_radix_sort_warp_sort_small_config_static_selectorELNS0_4arch9wavefront6targetE0EEEvSK_
                                        ; -- End function
	.set _ZN7rocprim17ROCPRIM_400000_NS6detail17trampoline_kernelINS0_14default_configENS1_36segmented_radix_sort_config_selectorIdlEEZNS1_25segmented_radix_sort_implIS3_Lb1EPKdPdPKlPlN2at6native12_GLOBAL__N_18offset_tEEE10hipError_tPvRmT1_PNSt15iterator_traitsISK_E10value_typeET2_T3_PNSL_ISQ_E10value_typeET4_jRbjT5_SW_jjP12ihipStream_tbEUlT_E1_NS1_11comp_targetILNS1_3genE10ELNS1_11target_archE1201ELNS1_3gpuE5ELNS1_3repE0EEENS1_59segmented_radix_sort_warp_sort_small_config_static_selectorELNS0_4arch9wavefront6targetE0EEEvSK_.num_vgpr, 0
	.set _ZN7rocprim17ROCPRIM_400000_NS6detail17trampoline_kernelINS0_14default_configENS1_36segmented_radix_sort_config_selectorIdlEEZNS1_25segmented_radix_sort_implIS3_Lb1EPKdPdPKlPlN2at6native12_GLOBAL__N_18offset_tEEE10hipError_tPvRmT1_PNSt15iterator_traitsISK_E10value_typeET2_T3_PNSL_ISQ_E10value_typeET4_jRbjT5_SW_jjP12ihipStream_tbEUlT_E1_NS1_11comp_targetILNS1_3genE10ELNS1_11target_archE1201ELNS1_3gpuE5ELNS1_3repE0EEENS1_59segmented_radix_sort_warp_sort_small_config_static_selectorELNS0_4arch9wavefront6targetE0EEEvSK_.num_agpr, 0
	.set _ZN7rocprim17ROCPRIM_400000_NS6detail17trampoline_kernelINS0_14default_configENS1_36segmented_radix_sort_config_selectorIdlEEZNS1_25segmented_radix_sort_implIS3_Lb1EPKdPdPKlPlN2at6native12_GLOBAL__N_18offset_tEEE10hipError_tPvRmT1_PNSt15iterator_traitsISK_E10value_typeET2_T3_PNSL_ISQ_E10value_typeET4_jRbjT5_SW_jjP12ihipStream_tbEUlT_E1_NS1_11comp_targetILNS1_3genE10ELNS1_11target_archE1201ELNS1_3gpuE5ELNS1_3repE0EEENS1_59segmented_radix_sort_warp_sort_small_config_static_selectorELNS0_4arch9wavefront6targetE0EEEvSK_.numbered_sgpr, 0
	.set _ZN7rocprim17ROCPRIM_400000_NS6detail17trampoline_kernelINS0_14default_configENS1_36segmented_radix_sort_config_selectorIdlEEZNS1_25segmented_radix_sort_implIS3_Lb1EPKdPdPKlPlN2at6native12_GLOBAL__N_18offset_tEEE10hipError_tPvRmT1_PNSt15iterator_traitsISK_E10value_typeET2_T3_PNSL_ISQ_E10value_typeET4_jRbjT5_SW_jjP12ihipStream_tbEUlT_E1_NS1_11comp_targetILNS1_3genE10ELNS1_11target_archE1201ELNS1_3gpuE5ELNS1_3repE0EEENS1_59segmented_radix_sort_warp_sort_small_config_static_selectorELNS0_4arch9wavefront6targetE0EEEvSK_.num_named_barrier, 0
	.set _ZN7rocprim17ROCPRIM_400000_NS6detail17trampoline_kernelINS0_14default_configENS1_36segmented_radix_sort_config_selectorIdlEEZNS1_25segmented_radix_sort_implIS3_Lb1EPKdPdPKlPlN2at6native12_GLOBAL__N_18offset_tEEE10hipError_tPvRmT1_PNSt15iterator_traitsISK_E10value_typeET2_T3_PNSL_ISQ_E10value_typeET4_jRbjT5_SW_jjP12ihipStream_tbEUlT_E1_NS1_11comp_targetILNS1_3genE10ELNS1_11target_archE1201ELNS1_3gpuE5ELNS1_3repE0EEENS1_59segmented_radix_sort_warp_sort_small_config_static_selectorELNS0_4arch9wavefront6targetE0EEEvSK_.private_seg_size, 0
	.set _ZN7rocprim17ROCPRIM_400000_NS6detail17trampoline_kernelINS0_14default_configENS1_36segmented_radix_sort_config_selectorIdlEEZNS1_25segmented_radix_sort_implIS3_Lb1EPKdPdPKlPlN2at6native12_GLOBAL__N_18offset_tEEE10hipError_tPvRmT1_PNSt15iterator_traitsISK_E10value_typeET2_T3_PNSL_ISQ_E10value_typeET4_jRbjT5_SW_jjP12ihipStream_tbEUlT_E1_NS1_11comp_targetILNS1_3genE10ELNS1_11target_archE1201ELNS1_3gpuE5ELNS1_3repE0EEENS1_59segmented_radix_sort_warp_sort_small_config_static_selectorELNS0_4arch9wavefront6targetE0EEEvSK_.uses_vcc, 0
	.set _ZN7rocprim17ROCPRIM_400000_NS6detail17trampoline_kernelINS0_14default_configENS1_36segmented_radix_sort_config_selectorIdlEEZNS1_25segmented_radix_sort_implIS3_Lb1EPKdPdPKlPlN2at6native12_GLOBAL__N_18offset_tEEE10hipError_tPvRmT1_PNSt15iterator_traitsISK_E10value_typeET2_T3_PNSL_ISQ_E10value_typeET4_jRbjT5_SW_jjP12ihipStream_tbEUlT_E1_NS1_11comp_targetILNS1_3genE10ELNS1_11target_archE1201ELNS1_3gpuE5ELNS1_3repE0EEENS1_59segmented_radix_sort_warp_sort_small_config_static_selectorELNS0_4arch9wavefront6targetE0EEEvSK_.uses_flat_scratch, 0
	.set _ZN7rocprim17ROCPRIM_400000_NS6detail17trampoline_kernelINS0_14default_configENS1_36segmented_radix_sort_config_selectorIdlEEZNS1_25segmented_radix_sort_implIS3_Lb1EPKdPdPKlPlN2at6native12_GLOBAL__N_18offset_tEEE10hipError_tPvRmT1_PNSt15iterator_traitsISK_E10value_typeET2_T3_PNSL_ISQ_E10value_typeET4_jRbjT5_SW_jjP12ihipStream_tbEUlT_E1_NS1_11comp_targetILNS1_3genE10ELNS1_11target_archE1201ELNS1_3gpuE5ELNS1_3repE0EEENS1_59segmented_radix_sort_warp_sort_small_config_static_selectorELNS0_4arch9wavefront6targetE0EEEvSK_.has_dyn_sized_stack, 0
	.set _ZN7rocprim17ROCPRIM_400000_NS6detail17trampoline_kernelINS0_14default_configENS1_36segmented_radix_sort_config_selectorIdlEEZNS1_25segmented_radix_sort_implIS3_Lb1EPKdPdPKlPlN2at6native12_GLOBAL__N_18offset_tEEE10hipError_tPvRmT1_PNSt15iterator_traitsISK_E10value_typeET2_T3_PNSL_ISQ_E10value_typeET4_jRbjT5_SW_jjP12ihipStream_tbEUlT_E1_NS1_11comp_targetILNS1_3genE10ELNS1_11target_archE1201ELNS1_3gpuE5ELNS1_3repE0EEENS1_59segmented_radix_sort_warp_sort_small_config_static_selectorELNS0_4arch9wavefront6targetE0EEEvSK_.has_recursion, 0
	.set _ZN7rocprim17ROCPRIM_400000_NS6detail17trampoline_kernelINS0_14default_configENS1_36segmented_radix_sort_config_selectorIdlEEZNS1_25segmented_radix_sort_implIS3_Lb1EPKdPdPKlPlN2at6native12_GLOBAL__N_18offset_tEEE10hipError_tPvRmT1_PNSt15iterator_traitsISK_E10value_typeET2_T3_PNSL_ISQ_E10value_typeET4_jRbjT5_SW_jjP12ihipStream_tbEUlT_E1_NS1_11comp_targetILNS1_3genE10ELNS1_11target_archE1201ELNS1_3gpuE5ELNS1_3repE0EEENS1_59segmented_radix_sort_warp_sort_small_config_static_selectorELNS0_4arch9wavefront6targetE0EEEvSK_.has_indirect_call, 0
	.section	.AMDGPU.csdata,"",@progbits
; Kernel info:
; codeLenInByte = 0
; TotalNumSgprs: 0
; NumVgprs: 0
; ScratchSize: 0
; MemoryBound: 0
; FloatMode: 240
; IeeeMode: 1
; LDSByteSize: 0 bytes/workgroup (compile time only)
; SGPRBlocks: 0
; VGPRBlocks: 0
; NumSGPRsForWavesPerEU: 1
; NumVGPRsForWavesPerEU: 1
; NamedBarCnt: 0
; Occupancy: 16
; WaveLimiterHint : 0
; COMPUTE_PGM_RSRC2:SCRATCH_EN: 0
; COMPUTE_PGM_RSRC2:USER_SGPR: 2
; COMPUTE_PGM_RSRC2:TRAP_HANDLER: 0
; COMPUTE_PGM_RSRC2:TGID_X_EN: 1
; COMPUTE_PGM_RSRC2:TGID_Y_EN: 0
; COMPUTE_PGM_RSRC2:TGID_Z_EN: 0
; COMPUTE_PGM_RSRC2:TIDIG_COMP_CNT: 0
	.section	.text._ZN7rocprim17ROCPRIM_400000_NS6detail17trampoline_kernelINS0_14default_configENS1_36segmented_radix_sort_config_selectorIdlEEZNS1_25segmented_radix_sort_implIS3_Lb1EPKdPdPKlPlN2at6native12_GLOBAL__N_18offset_tEEE10hipError_tPvRmT1_PNSt15iterator_traitsISK_E10value_typeET2_T3_PNSL_ISQ_E10value_typeET4_jRbjT5_SW_jjP12ihipStream_tbEUlT_E1_NS1_11comp_targetILNS1_3genE10ELNS1_11target_archE1200ELNS1_3gpuE4ELNS1_3repE0EEENS1_59segmented_radix_sort_warp_sort_small_config_static_selectorELNS0_4arch9wavefront6targetE0EEEvSK_,"axG",@progbits,_ZN7rocprim17ROCPRIM_400000_NS6detail17trampoline_kernelINS0_14default_configENS1_36segmented_radix_sort_config_selectorIdlEEZNS1_25segmented_radix_sort_implIS3_Lb1EPKdPdPKlPlN2at6native12_GLOBAL__N_18offset_tEEE10hipError_tPvRmT1_PNSt15iterator_traitsISK_E10value_typeET2_T3_PNSL_ISQ_E10value_typeET4_jRbjT5_SW_jjP12ihipStream_tbEUlT_E1_NS1_11comp_targetILNS1_3genE10ELNS1_11target_archE1200ELNS1_3gpuE4ELNS1_3repE0EEENS1_59segmented_radix_sort_warp_sort_small_config_static_selectorELNS0_4arch9wavefront6targetE0EEEvSK_,comdat
	.globl	_ZN7rocprim17ROCPRIM_400000_NS6detail17trampoline_kernelINS0_14default_configENS1_36segmented_radix_sort_config_selectorIdlEEZNS1_25segmented_radix_sort_implIS3_Lb1EPKdPdPKlPlN2at6native12_GLOBAL__N_18offset_tEEE10hipError_tPvRmT1_PNSt15iterator_traitsISK_E10value_typeET2_T3_PNSL_ISQ_E10value_typeET4_jRbjT5_SW_jjP12ihipStream_tbEUlT_E1_NS1_11comp_targetILNS1_3genE10ELNS1_11target_archE1200ELNS1_3gpuE4ELNS1_3repE0EEENS1_59segmented_radix_sort_warp_sort_small_config_static_selectorELNS0_4arch9wavefront6targetE0EEEvSK_ ; -- Begin function _ZN7rocprim17ROCPRIM_400000_NS6detail17trampoline_kernelINS0_14default_configENS1_36segmented_radix_sort_config_selectorIdlEEZNS1_25segmented_radix_sort_implIS3_Lb1EPKdPdPKlPlN2at6native12_GLOBAL__N_18offset_tEEE10hipError_tPvRmT1_PNSt15iterator_traitsISK_E10value_typeET2_T3_PNSL_ISQ_E10value_typeET4_jRbjT5_SW_jjP12ihipStream_tbEUlT_E1_NS1_11comp_targetILNS1_3genE10ELNS1_11target_archE1200ELNS1_3gpuE4ELNS1_3repE0EEENS1_59segmented_radix_sort_warp_sort_small_config_static_selectorELNS0_4arch9wavefront6targetE0EEEvSK_
	.p2align	8
	.type	_ZN7rocprim17ROCPRIM_400000_NS6detail17trampoline_kernelINS0_14default_configENS1_36segmented_radix_sort_config_selectorIdlEEZNS1_25segmented_radix_sort_implIS3_Lb1EPKdPdPKlPlN2at6native12_GLOBAL__N_18offset_tEEE10hipError_tPvRmT1_PNSt15iterator_traitsISK_E10value_typeET2_T3_PNSL_ISQ_E10value_typeET4_jRbjT5_SW_jjP12ihipStream_tbEUlT_E1_NS1_11comp_targetILNS1_3genE10ELNS1_11target_archE1200ELNS1_3gpuE4ELNS1_3repE0EEENS1_59segmented_radix_sort_warp_sort_small_config_static_selectorELNS0_4arch9wavefront6targetE0EEEvSK_,@function
_ZN7rocprim17ROCPRIM_400000_NS6detail17trampoline_kernelINS0_14default_configENS1_36segmented_radix_sort_config_selectorIdlEEZNS1_25segmented_radix_sort_implIS3_Lb1EPKdPdPKlPlN2at6native12_GLOBAL__N_18offset_tEEE10hipError_tPvRmT1_PNSt15iterator_traitsISK_E10value_typeET2_T3_PNSL_ISQ_E10value_typeET4_jRbjT5_SW_jjP12ihipStream_tbEUlT_E1_NS1_11comp_targetILNS1_3genE10ELNS1_11target_archE1200ELNS1_3gpuE4ELNS1_3repE0EEENS1_59segmented_radix_sort_warp_sort_small_config_static_selectorELNS0_4arch9wavefront6targetE0EEEvSK_: ; @_ZN7rocprim17ROCPRIM_400000_NS6detail17trampoline_kernelINS0_14default_configENS1_36segmented_radix_sort_config_selectorIdlEEZNS1_25segmented_radix_sort_implIS3_Lb1EPKdPdPKlPlN2at6native12_GLOBAL__N_18offset_tEEE10hipError_tPvRmT1_PNSt15iterator_traitsISK_E10value_typeET2_T3_PNSL_ISQ_E10value_typeET4_jRbjT5_SW_jjP12ihipStream_tbEUlT_E1_NS1_11comp_targetILNS1_3genE10ELNS1_11target_archE1200ELNS1_3gpuE4ELNS1_3repE0EEENS1_59segmented_radix_sort_warp_sort_small_config_static_selectorELNS0_4arch9wavefront6targetE0EEEvSK_
; %bb.0:
	.section	.rodata,"a",@progbits
	.p2align	6, 0x0
	.amdhsa_kernel _ZN7rocprim17ROCPRIM_400000_NS6detail17trampoline_kernelINS0_14default_configENS1_36segmented_radix_sort_config_selectorIdlEEZNS1_25segmented_radix_sort_implIS3_Lb1EPKdPdPKlPlN2at6native12_GLOBAL__N_18offset_tEEE10hipError_tPvRmT1_PNSt15iterator_traitsISK_E10value_typeET2_T3_PNSL_ISQ_E10value_typeET4_jRbjT5_SW_jjP12ihipStream_tbEUlT_E1_NS1_11comp_targetILNS1_3genE10ELNS1_11target_archE1200ELNS1_3gpuE4ELNS1_3repE0EEENS1_59segmented_radix_sort_warp_sort_small_config_static_selectorELNS0_4arch9wavefront6targetE0EEEvSK_
		.amdhsa_group_segment_fixed_size 0
		.amdhsa_private_segment_fixed_size 0
		.amdhsa_kernarg_size 88
		.amdhsa_user_sgpr_count 2
		.amdhsa_user_sgpr_dispatch_ptr 0
		.amdhsa_user_sgpr_queue_ptr 0
		.amdhsa_user_sgpr_kernarg_segment_ptr 1
		.amdhsa_user_sgpr_dispatch_id 0
		.amdhsa_user_sgpr_kernarg_preload_length 0
		.amdhsa_user_sgpr_kernarg_preload_offset 0
		.amdhsa_user_sgpr_private_segment_size 0
		.amdhsa_wavefront_size32 1
		.amdhsa_uses_dynamic_stack 0
		.amdhsa_enable_private_segment 0
		.amdhsa_system_sgpr_workgroup_id_x 1
		.amdhsa_system_sgpr_workgroup_id_y 0
		.amdhsa_system_sgpr_workgroup_id_z 0
		.amdhsa_system_sgpr_workgroup_info 0
		.amdhsa_system_vgpr_workitem_id 0
		.amdhsa_next_free_vgpr 1
		.amdhsa_next_free_sgpr 1
		.amdhsa_named_barrier_count 0
		.amdhsa_reserve_vcc 0
		.amdhsa_float_round_mode_32 0
		.amdhsa_float_round_mode_16_64 0
		.amdhsa_float_denorm_mode_32 3
		.amdhsa_float_denorm_mode_16_64 3
		.amdhsa_fp16_overflow 0
		.amdhsa_memory_ordered 1
		.amdhsa_forward_progress 1
		.amdhsa_inst_pref_size 0
		.amdhsa_round_robin_scheduling 0
		.amdhsa_exception_fp_ieee_invalid_op 0
		.amdhsa_exception_fp_denorm_src 0
		.amdhsa_exception_fp_ieee_div_zero 0
		.amdhsa_exception_fp_ieee_overflow 0
		.amdhsa_exception_fp_ieee_underflow 0
		.amdhsa_exception_fp_ieee_inexact 0
		.amdhsa_exception_int_div_zero 0
	.end_amdhsa_kernel
	.section	.text._ZN7rocprim17ROCPRIM_400000_NS6detail17trampoline_kernelINS0_14default_configENS1_36segmented_radix_sort_config_selectorIdlEEZNS1_25segmented_radix_sort_implIS3_Lb1EPKdPdPKlPlN2at6native12_GLOBAL__N_18offset_tEEE10hipError_tPvRmT1_PNSt15iterator_traitsISK_E10value_typeET2_T3_PNSL_ISQ_E10value_typeET4_jRbjT5_SW_jjP12ihipStream_tbEUlT_E1_NS1_11comp_targetILNS1_3genE10ELNS1_11target_archE1200ELNS1_3gpuE4ELNS1_3repE0EEENS1_59segmented_radix_sort_warp_sort_small_config_static_selectorELNS0_4arch9wavefront6targetE0EEEvSK_,"axG",@progbits,_ZN7rocprim17ROCPRIM_400000_NS6detail17trampoline_kernelINS0_14default_configENS1_36segmented_radix_sort_config_selectorIdlEEZNS1_25segmented_radix_sort_implIS3_Lb1EPKdPdPKlPlN2at6native12_GLOBAL__N_18offset_tEEE10hipError_tPvRmT1_PNSt15iterator_traitsISK_E10value_typeET2_T3_PNSL_ISQ_E10value_typeET4_jRbjT5_SW_jjP12ihipStream_tbEUlT_E1_NS1_11comp_targetILNS1_3genE10ELNS1_11target_archE1200ELNS1_3gpuE4ELNS1_3repE0EEENS1_59segmented_radix_sort_warp_sort_small_config_static_selectorELNS0_4arch9wavefront6targetE0EEEvSK_,comdat
.Lfunc_end1139:
	.size	_ZN7rocprim17ROCPRIM_400000_NS6detail17trampoline_kernelINS0_14default_configENS1_36segmented_radix_sort_config_selectorIdlEEZNS1_25segmented_radix_sort_implIS3_Lb1EPKdPdPKlPlN2at6native12_GLOBAL__N_18offset_tEEE10hipError_tPvRmT1_PNSt15iterator_traitsISK_E10value_typeET2_T3_PNSL_ISQ_E10value_typeET4_jRbjT5_SW_jjP12ihipStream_tbEUlT_E1_NS1_11comp_targetILNS1_3genE10ELNS1_11target_archE1200ELNS1_3gpuE4ELNS1_3repE0EEENS1_59segmented_radix_sort_warp_sort_small_config_static_selectorELNS0_4arch9wavefront6targetE0EEEvSK_, .Lfunc_end1139-_ZN7rocprim17ROCPRIM_400000_NS6detail17trampoline_kernelINS0_14default_configENS1_36segmented_radix_sort_config_selectorIdlEEZNS1_25segmented_radix_sort_implIS3_Lb1EPKdPdPKlPlN2at6native12_GLOBAL__N_18offset_tEEE10hipError_tPvRmT1_PNSt15iterator_traitsISK_E10value_typeET2_T3_PNSL_ISQ_E10value_typeET4_jRbjT5_SW_jjP12ihipStream_tbEUlT_E1_NS1_11comp_targetILNS1_3genE10ELNS1_11target_archE1200ELNS1_3gpuE4ELNS1_3repE0EEENS1_59segmented_radix_sort_warp_sort_small_config_static_selectorELNS0_4arch9wavefront6targetE0EEEvSK_
                                        ; -- End function
	.set _ZN7rocprim17ROCPRIM_400000_NS6detail17trampoline_kernelINS0_14default_configENS1_36segmented_radix_sort_config_selectorIdlEEZNS1_25segmented_radix_sort_implIS3_Lb1EPKdPdPKlPlN2at6native12_GLOBAL__N_18offset_tEEE10hipError_tPvRmT1_PNSt15iterator_traitsISK_E10value_typeET2_T3_PNSL_ISQ_E10value_typeET4_jRbjT5_SW_jjP12ihipStream_tbEUlT_E1_NS1_11comp_targetILNS1_3genE10ELNS1_11target_archE1200ELNS1_3gpuE4ELNS1_3repE0EEENS1_59segmented_radix_sort_warp_sort_small_config_static_selectorELNS0_4arch9wavefront6targetE0EEEvSK_.num_vgpr, 0
	.set _ZN7rocprim17ROCPRIM_400000_NS6detail17trampoline_kernelINS0_14default_configENS1_36segmented_radix_sort_config_selectorIdlEEZNS1_25segmented_radix_sort_implIS3_Lb1EPKdPdPKlPlN2at6native12_GLOBAL__N_18offset_tEEE10hipError_tPvRmT1_PNSt15iterator_traitsISK_E10value_typeET2_T3_PNSL_ISQ_E10value_typeET4_jRbjT5_SW_jjP12ihipStream_tbEUlT_E1_NS1_11comp_targetILNS1_3genE10ELNS1_11target_archE1200ELNS1_3gpuE4ELNS1_3repE0EEENS1_59segmented_radix_sort_warp_sort_small_config_static_selectorELNS0_4arch9wavefront6targetE0EEEvSK_.num_agpr, 0
	.set _ZN7rocprim17ROCPRIM_400000_NS6detail17trampoline_kernelINS0_14default_configENS1_36segmented_radix_sort_config_selectorIdlEEZNS1_25segmented_radix_sort_implIS3_Lb1EPKdPdPKlPlN2at6native12_GLOBAL__N_18offset_tEEE10hipError_tPvRmT1_PNSt15iterator_traitsISK_E10value_typeET2_T3_PNSL_ISQ_E10value_typeET4_jRbjT5_SW_jjP12ihipStream_tbEUlT_E1_NS1_11comp_targetILNS1_3genE10ELNS1_11target_archE1200ELNS1_3gpuE4ELNS1_3repE0EEENS1_59segmented_radix_sort_warp_sort_small_config_static_selectorELNS0_4arch9wavefront6targetE0EEEvSK_.numbered_sgpr, 0
	.set _ZN7rocprim17ROCPRIM_400000_NS6detail17trampoline_kernelINS0_14default_configENS1_36segmented_radix_sort_config_selectorIdlEEZNS1_25segmented_radix_sort_implIS3_Lb1EPKdPdPKlPlN2at6native12_GLOBAL__N_18offset_tEEE10hipError_tPvRmT1_PNSt15iterator_traitsISK_E10value_typeET2_T3_PNSL_ISQ_E10value_typeET4_jRbjT5_SW_jjP12ihipStream_tbEUlT_E1_NS1_11comp_targetILNS1_3genE10ELNS1_11target_archE1200ELNS1_3gpuE4ELNS1_3repE0EEENS1_59segmented_radix_sort_warp_sort_small_config_static_selectorELNS0_4arch9wavefront6targetE0EEEvSK_.num_named_barrier, 0
	.set _ZN7rocprim17ROCPRIM_400000_NS6detail17trampoline_kernelINS0_14default_configENS1_36segmented_radix_sort_config_selectorIdlEEZNS1_25segmented_radix_sort_implIS3_Lb1EPKdPdPKlPlN2at6native12_GLOBAL__N_18offset_tEEE10hipError_tPvRmT1_PNSt15iterator_traitsISK_E10value_typeET2_T3_PNSL_ISQ_E10value_typeET4_jRbjT5_SW_jjP12ihipStream_tbEUlT_E1_NS1_11comp_targetILNS1_3genE10ELNS1_11target_archE1200ELNS1_3gpuE4ELNS1_3repE0EEENS1_59segmented_radix_sort_warp_sort_small_config_static_selectorELNS0_4arch9wavefront6targetE0EEEvSK_.private_seg_size, 0
	.set _ZN7rocprim17ROCPRIM_400000_NS6detail17trampoline_kernelINS0_14default_configENS1_36segmented_radix_sort_config_selectorIdlEEZNS1_25segmented_radix_sort_implIS3_Lb1EPKdPdPKlPlN2at6native12_GLOBAL__N_18offset_tEEE10hipError_tPvRmT1_PNSt15iterator_traitsISK_E10value_typeET2_T3_PNSL_ISQ_E10value_typeET4_jRbjT5_SW_jjP12ihipStream_tbEUlT_E1_NS1_11comp_targetILNS1_3genE10ELNS1_11target_archE1200ELNS1_3gpuE4ELNS1_3repE0EEENS1_59segmented_radix_sort_warp_sort_small_config_static_selectorELNS0_4arch9wavefront6targetE0EEEvSK_.uses_vcc, 0
	.set _ZN7rocprim17ROCPRIM_400000_NS6detail17trampoline_kernelINS0_14default_configENS1_36segmented_radix_sort_config_selectorIdlEEZNS1_25segmented_radix_sort_implIS3_Lb1EPKdPdPKlPlN2at6native12_GLOBAL__N_18offset_tEEE10hipError_tPvRmT1_PNSt15iterator_traitsISK_E10value_typeET2_T3_PNSL_ISQ_E10value_typeET4_jRbjT5_SW_jjP12ihipStream_tbEUlT_E1_NS1_11comp_targetILNS1_3genE10ELNS1_11target_archE1200ELNS1_3gpuE4ELNS1_3repE0EEENS1_59segmented_radix_sort_warp_sort_small_config_static_selectorELNS0_4arch9wavefront6targetE0EEEvSK_.uses_flat_scratch, 0
	.set _ZN7rocprim17ROCPRIM_400000_NS6detail17trampoline_kernelINS0_14default_configENS1_36segmented_radix_sort_config_selectorIdlEEZNS1_25segmented_radix_sort_implIS3_Lb1EPKdPdPKlPlN2at6native12_GLOBAL__N_18offset_tEEE10hipError_tPvRmT1_PNSt15iterator_traitsISK_E10value_typeET2_T3_PNSL_ISQ_E10value_typeET4_jRbjT5_SW_jjP12ihipStream_tbEUlT_E1_NS1_11comp_targetILNS1_3genE10ELNS1_11target_archE1200ELNS1_3gpuE4ELNS1_3repE0EEENS1_59segmented_radix_sort_warp_sort_small_config_static_selectorELNS0_4arch9wavefront6targetE0EEEvSK_.has_dyn_sized_stack, 0
	.set _ZN7rocprim17ROCPRIM_400000_NS6detail17trampoline_kernelINS0_14default_configENS1_36segmented_radix_sort_config_selectorIdlEEZNS1_25segmented_radix_sort_implIS3_Lb1EPKdPdPKlPlN2at6native12_GLOBAL__N_18offset_tEEE10hipError_tPvRmT1_PNSt15iterator_traitsISK_E10value_typeET2_T3_PNSL_ISQ_E10value_typeET4_jRbjT5_SW_jjP12ihipStream_tbEUlT_E1_NS1_11comp_targetILNS1_3genE10ELNS1_11target_archE1200ELNS1_3gpuE4ELNS1_3repE0EEENS1_59segmented_radix_sort_warp_sort_small_config_static_selectorELNS0_4arch9wavefront6targetE0EEEvSK_.has_recursion, 0
	.set _ZN7rocprim17ROCPRIM_400000_NS6detail17trampoline_kernelINS0_14default_configENS1_36segmented_radix_sort_config_selectorIdlEEZNS1_25segmented_radix_sort_implIS3_Lb1EPKdPdPKlPlN2at6native12_GLOBAL__N_18offset_tEEE10hipError_tPvRmT1_PNSt15iterator_traitsISK_E10value_typeET2_T3_PNSL_ISQ_E10value_typeET4_jRbjT5_SW_jjP12ihipStream_tbEUlT_E1_NS1_11comp_targetILNS1_3genE10ELNS1_11target_archE1200ELNS1_3gpuE4ELNS1_3repE0EEENS1_59segmented_radix_sort_warp_sort_small_config_static_selectorELNS0_4arch9wavefront6targetE0EEEvSK_.has_indirect_call, 0
	.section	.AMDGPU.csdata,"",@progbits
; Kernel info:
; codeLenInByte = 0
; TotalNumSgprs: 0
; NumVgprs: 0
; ScratchSize: 0
; MemoryBound: 0
; FloatMode: 240
; IeeeMode: 1
; LDSByteSize: 0 bytes/workgroup (compile time only)
; SGPRBlocks: 0
; VGPRBlocks: 0
; NumSGPRsForWavesPerEU: 1
; NumVGPRsForWavesPerEU: 1
; NamedBarCnt: 0
; Occupancy: 16
; WaveLimiterHint : 0
; COMPUTE_PGM_RSRC2:SCRATCH_EN: 0
; COMPUTE_PGM_RSRC2:USER_SGPR: 2
; COMPUTE_PGM_RSRC2:TRAP_HANDLER: 0
; COMPUTE_PGM_RSRC2:TGID_X_EN: 1
; COMPUTE_PGM_RSRC2:TGID_Y_EN: 0
; COMPUTE_PGM_RSRC2:TGID_Z_EN: 0
; COMPUTE_PGM_RSRC2:TIDIG_COMP_CNT: 0
	.section	.text._ZN7rocprim17ROCPRIM_400000_NS6detail17trampoline_kernelINS0_14default_configENS1_36segmented_radix_sort_config_selectorIdlEEZNS1_25segmented_radix_sort_implIS3_Lb1EPKdPdPKlPlN2at6native12_GLOBAL__N_18offset_tEEE10hipError_tPvRmT1_PNSt15iterator_traitsISK_E10value_typeET2_T3_PNSL_ISQ_E10value_typeET4_jRbjT5_SW_jjP12ihipStream_tbEUlT_E1_NS1_11comp_targetILNS1_3genE9ELNS1_11target_archE1100ELNS1_3gpuE3ELNS1_3repE0EEENS1_59segmented_radix_sort_warp_sort_small_config_static_selectorELNS0_4arch9wavefront6targetE0EEEvSK_,"axG",@progbits,_ZN7rocprim17ROCPRIM_400000_NS6detail17trampoline_kernelINS0_14default_configENS1_36segmented_radix_sort_config_selectorIdlEEZNS1_25segmented_radix_sort_implIS3_Lb1EPKdPdPKlPlN2at6native12_GLOBAL__N_18offset_tEEE10hipError_tPvRmT1_PNSt15iterator_traitsISK_E10value_typeET2_T3_PNSL_ISQ_E10value_typeET4_jRbjT5_SW_jjP12ihipStream_tbEUlT_E1_NS1_11comp_targetILNS1_3genE9ELNS1_11target_archE1100ELNS1_3gpuE3ELNS1_3repE0EEENS1_59segmented_radix_sort_warp_sort_small_config_static_selectorELNS0_4arch9wavefront6targetE0EEEvSK_,comdat
	.globl	_ZN7rocprim17ROCPRIM_400000_NS6detail17trampoline_kernelINS0_14default_configENS1_36segmented_radix_sort_config_selectorIdlEEZNS1_25segmented_radix_sort_implIS3_Lb1EPKdPdPKlPlN2at6native12_GLOBAL__N_18offset_tEEE10hipError_tPvRmT1_PNSt15iterator_traitsISK_E10value_typeET2_T3_PNSL_ISQ_E10value_typeET4_jRbjT5_SW_jjP12ihipStream_tbEUlT_E1_NS1_11comp_targetILNS1_3genE9ELNS1_11target_archE1100ELNS1_3gpuE3ELNS1_3repE0EEENS1_59segmented_radix_sort_warp_sort_small_config_static_selectorELNS0_4arch9wavefront6targetE0EEEvSK_ ; -- Begin function _ZN7rocprim17ROCPRIM_400000_NS6detail17trampoline_kernelINS0_14default_configENS1_36segmented_radix_sort_config_selectorIdlEEZNS1_25segmented_radix_sort_implIS3_Lb1EPKdPdPKlPlN2at6native12_GLOBAL__N_18offset_tEEE10hipError_tPvRmT1_PNSt15iterator_traitsISK_E10value_typeET2_T3_PNSL_ISQ_E10value_typeET4_jRbjT5_SW_jjP12ihipStream_tbEUlT_E1_NS1_11comp_targetILNS1_3genE9ELNS1_11target_archE1100ELNS1_3gpuE3ELNS1_3repE0EEENS1_59segmented_radix_sort_warp_sort_small_config_static_selectorELNS0_4arch9wavefront6targetE0EEEvSK_
	.p2align	8
	.type	_ZN7rocprim17ROCPRIM_400000_NS6detail17trampoline_kernelINS0_14default_configENS1_36segmented_radix_sort_config_selectorIdlEEZNS1_25segmented_radix_sort_implIS3_Lb1EPKdPdPKlPlN2at6native12_GLOBAL__N_18offset_tEEE10hipError_tPvRmT1_PNSt15iterator_traitsISK_E10value_typeET2_T3_PNSL_ISQ_E10value_typeET4_jRbjT5_SW_jjP12ihipStream_tbEUlT_E1_NS1_11comp_targetILNS1_3genE9ELNS1_11target_archE1100ELNS1_3gpuE3ELNS1_3repE0EEENS1_59segmented_radix_sort_warp_sort_small_config_static_selectorELNS0_4arch9wavefront6targetE0EEEvSK_,@function
_ZN7rocprim17ROCPRIM_400000_NS6detail17trampoline_kernelINS0_14default_configENS1_36segmented_radix_sort_config_selectorIdlEEZNS1_25segmented_radix_sort_implIS3_Lb1EPKdPdPKlPlN2at6native12_GLOBAL__N_18offset_tEEE10hipError_tPvRmT1_PNSt15iterator_traitsISK_E10value_typeET2_T3_PNSL_ISQ_E10value_typeET4_jRbjT5_SW_jjP12ihipStream_tbEUlT_E1_NS1_11comp_targetILNS1_3genE9ELNS1_11target_archE1100ELNS1_3gpuE3ELNS1_3repE0EEENS1_59segmented_radix_sort_warp_sort_small_config_static_selectorELNS0_4arch9wavefront6targetE0EEEvSK_: ; @_ZN7rocprim17ROCPRIM_400000_NS6detail17trampoline_kernelINS0_14default_configENS1_36segmented_radix_sort_config_selectorIdlEEZNS1_25segmented_radix_sort_implIS3_Lb1EPKdPdPKlPlN2at6native12_GLOBAL__N_18offset_tEEE10hipError_tPvRmT1_PNSt15iterator_traitsISK_E10value_typeET2_T3_PNSL_ISQ_E10value_typeET4_jRbjT5_SW_jjP12ihipStream_tbEUlT_E1_NS1_11comp_targetILNS1_3genE9ELNS1_11target_archE1100ELNS1_3gpuE3ELNS1_3repE0EEENS1_59segmented_radix_sort_warp_sort_small_config_static_selectorELNS0_4arch9wavefront6targetE0EEEvSK_
; %bb.0:
	.section	.rodata,"a",@progbits
	.p2align	6, 0x0
	.amdhsa_kernel _ZN7rocprim17ROCPRIM_400000_NS6detail17trampoline_kernelINS0_14default_configENS1_36segmented_radix_sort_config_selectorIdlEEZNS1_25segmented_radix_sort_implIS3_Lb1EPKdPdPKlPlN2at6native12_GLOBAL__N_18offset_tEEE10hipError_tPvRmT1_PNSt15iterator_traitsISK_E10value_typeET2_T3_PNSL_ISQ_E10value_typeET4_jRbjT5_SW_jjP12ihipStream_tbEUlT_E1_NS1_11comp_targetILNS1_3genE9ELNS1_11target_archE1100ELNS1_3gpuE3ELNS1_3repE0EEENS1_59segmented_radix_sort_warp_sort_small_config_static_selectorELNS0_4arch9wavefront6targetE0EEEvSK_
		.amdhsa_group_segment_fixed_size 0
		.amdhsa_private_segment_fixed_size 0
		.amdhsa_kernarg_size 88
		.amdhsa_user_sgpr_count 2
		.amdhsa_user_sgpr_dispatch_ptr 0
		.amdhsa_user_sgpr_queue_ptr 0
		.amdhsa_user_sgpr_kernarg_segment_ptr 1
		.amdhsa_user_sgpr_dispatch_id 0
		.amdhsa_user_sgpr_kernarg_preload_length 0
		.amdhsa_user_sgpr_kernarg_preload_offset 0
		.amdhsa_user_sgpr_private_segment_size 0
		.amdhsa_wavefront_size32 1
		.amdhsa_uses_dynamic_stack 0
		.amdhsa_enable_private_segment 0
		.amdhsa_system_sgpr_workgroup_id_x 1
		.amdhsa_system_sgpr_workgroup_id_y 0
		.amdhsa_system_sgpr_workgroup_id_z 0
		.amdhsa_system_sgpr_workgroup_info 0
		.amdhsa_system_vgpr_workitem_id 0
		.amdhsa_next_free_vgpr 1
		.amdhsa_next_free_sgpr 1
		.amdhsa_named_barrier_count 0
		.amdhsa_reserve_vcc 0
		.amdhsa_float_round_mode_32 0
		.amdhsa_float_round_mode_16_64 0
		.amdhsa_float_denorm_mode_32 3
		.amdhsa_float_denorm_mode_16_64 3
		.amdhsa_fp16_overflow 0
		.amdhsa_memory_ordered 1
		.amdhsa_forward_progress 1
		.amdhsa_inst_pref_size 0
		.amdhsa_round_robin_scheduling 0
		.amdhsa_exception_fp_ieee_invalid_op 0
		.amdhsa_exception_fp_denorm_src 0
		.amdhsa_exception_fp_ieee_div_zero 0
		.amdhsa_exception_fp_ieee_overflow 0
		.amdhsa_exception_fp_ieee_underflow 0
		.amdhsa_exception_fp_ieee_inexact 0
		.amdhsa_exception_int_div_zero 0
	.end_amdhsa_kernel
	.section	.text._ZN7rocprim17ROCPRIM_400000_NS6detail17trampoline_kernelINS0_14default_configENS1_36segmented_radix_sort_config_selectorIdlEEZNS1_25segmented_radix_sort_implIS3_Lb1EPKdPdPKlPlN2at6native12_GLOBAL__N_18offset_tEEE10hipError_tPvRmT1_PNSt15iterator_traitsISK_E10value_typeET2_T3_PNSL_ISQ_E10value_typeET4_jRbjT5_SW_jjP12ihipStream_tbEUlT_E1_NS1_11comp_targetILNS1_3genE9ELNS1_11target_archE1100ELNS1_3gpuE3ELNS1_3repE0EEENS1_59segmented_radix_sort_warp_sort_small_config_static_selectorELNS0_4arch9wavefront6targetE0EEEvSK_,"axG",@progbits,_ZN7rocprim17ROCPRIM_400000_NS6detail17trampoline_kernelINS0_14default_configENS1_36segmented_radix_sort_config_selectorIdlEEZNS1_25segmented_radix_sort_implIS3_Lb1EPKdPdPKlPlN2at6native12_GLOBAL__N_18offset_tEEE10hipError_tPvRmT1_PNSt15iterator_traitsISK_E10value_typeET2_T3_PNSL_ISQ_E10value_typeET4_jRbjT5_SW_jjP12ihipStream_tbEUlT_E1_NS1_11comp_targetILNS1_3genE9ELNS1_11target_archE1100ELNS1_3gpuE3ELNS1_3repE0EEENS1_59segmented_radix_sort_warp_sort_small_config_static_selectorELNS0_4arch9wavefront6targetE0EEEvSK_,comdat
.Lfunc_end1140:
	.size	_ZN7rocprim17ROCPRIM_400000_NS6detail17trampoline_kernelINS0_14default_configENS1_36segmented_radix_sort_config_selectorIdlEEZNS1_25segmented_radix_sort_implIS3_Lb1EPKdPdPKlPlN2at6native12_GLOBAL__N_18offset_tEEE10hipError_tPvRmT1_PNSt15iterator_traitsISK_E10value_typeET2_T3_PNSL_ISQ_E10value_typeET4_jRbjT5_SW_jjP12ihipStream_tbEUlT_E1_NS1_11comp_targetILNS1_3genE9ELNS1_11target_archE1100ELNS1_3gpuE3ELNS1_3repE0EEENS1_59segmented_radix_sort_warp_sort_small_config_static_selectorELNS0_4arch9wavefront6targetE0EEEvSK_, .Lfunc_end1140-_ZN7rocprim17ROCPRIM_400000_NS6detail17trampoline_kernelINS0_14default_configENS1_36segmented_radix_sort_config_selectorIdlEEZNS1_25segmented_radix_sort_implIS3_Lb1EPKdPdPKlPlN2at6native12_GLOBAL__N_18offset_tEEE10hipError_tPvRmT1_PNSt15iterator_traitsISK_E10value_typeET2_T3_PNSL_ISQ_E10value_typeET4_jRbjT5_SW_jjP12ihipStream_tbEUlT_E1_NS1_11comp_targetILNS1_3genE9ELNS1_11target_archE1100ELNS1_3gpuE3ELNS1_3repE0EEENS1_59segmented_radix_sort_warp_sort_small_config_static_selectorELNS0_4arch9wavefront6targetE0EEEvSK_
                                        ; -- End function
	.set _ZN7rocprim17ROCPRIM_400000_NS6detail17trampoline_kernelINS0_14default_configENS1_36segmented_radix_sort_config_selectorIdlEEZNS1_25segmented_radix_sort_implIS3_Lb1EPKdPdPKlPlN2at6native12_GLOBAL__N_18offset_tEEE10hipError_tPvRmT1_PNSt15iterator_traitsISK_E10value_typeET2_T3_PNSL_ISQ_E10value_typeET4_jRbjT5_SW_jjP12ihipStream_tbEUlT_E1_NS1_11comp_targetILNS1_3genE9ELNS1_11target_archE1100ELNS1_3gpuE3ELNS1_3repE0EEENS1_59segmented_radix_sort_warp_sort_small_config_static_selectorELNS0_4arch9wavefront6targetE0EEEvSK_.num_vgpr, 0
	.set _ZN7rocprim17ROCPRIM_400000_NS6detail17trampoline_kernelINS0_14default_configENS1_36segmented_radix_sort_config_selectorIdlEEZNS1_25segmented_radix_sort_implIS3_Lb1EPKdPdPKlPlN2at6native12_GLOBAL__N_18offset_tEEE10hipError_tPvRmT1_PNSt15iterator_traitsISK_E10value_typeET2_T3_PNSL_ISQ_E10value_typeET4_jRbjT5_SW_jjP12ihipStream_tbEUlT_E1_NS1_11comp_targetILNS1_3genE9ELNS1_11target_archE1100ELNS1_3gpuE3ELNS1_3repE0EEENS1_59segmented_radix_sort_warp_sort_small_config_static_selectorELNS0_4arch9wavefront6targetE0EEEvSK_.num_agpr, 0
	.set _ZN7rocprim17ROCPRIM_400000_NS6detail17trampoline_kernelINS0_14default_configENS1_36segmented_radix_sort_config_selectorIdlEEZNS1_25segmented_radix_sort_implIS3_Lb1EPKdPdPKlPlN2at6native12_GLOBAL__N_18offset_tEEE10hipError_tPvRmT1_PNSt15iterator_traitsISK_E10value_typeET2_T3_PNSL_ISQ_E10value_typeET4_jRbjT5_SW_jjP12ihipStream_tbEUlT_E1_NS1_11comp_targetILNS1_3genE9ELNS1_11target_archE1100ELNS1_3gpuE3ELNS1_3repE0EEENS1_59segmented_radix_sort_warp_sort_small_config_static_selectorELNS0_4arch9wavefront6targetE0EEEvSK_.numbered_sgpr, 0
	.set _ZN7rocprim17ROCPRIM_400000_NS6detail17trampoline_kernelINS0_14default_configENS1_36segmented_radix_sort_config_selectorIdlEEZNS1_25segmented_radix_sort_implIS3_Lb1EPKdPdPKlPlN2at6native12_GLOBAL__N_18offset_tEEE10hipError_tPvRmT1_PNSt15iterator_traitsISK_E10value_typeET2_T3_PNSL_ISQ_E10value_typeET4_jRbjT5_SW_jjP12ihipStream_tbEUlT_E1_NS1_11comp_targetILNS1_3genE9ELNS1_11target_archE1100ELNS1_3gpuE3ELNS1_3repE0EEENS1_59segmented_radix_sort_warp_sort_small_config_static_selectorELNS0_4arch9wavefront6targetE0EEEvSK_.num_named_barrier, 0
	.set _ZN7rocprim17ROCPRIM_400000_NS6detail17trampoline_kernelINS0_14default_configENS1_36segmented_radix_sort_config_selectorIdlEEZNS1_25segmented_radix_sort_implIS3_Lb1EPKdPdPKlPlN2at6native12_GLOBAL__N_18offset_tEEE10hipError_tPvRmT1_PNSt15iterator_traitsISK_E10value_typeET2_T3_PNSL_ISQ_E10value_typeET4_jRbjT5_SW_jjP12ihipStream_tbEUlT_E1_NS1_11comp_targetILNS1_3genE9ELNS1_11target_archE1100ELNS1_3gpuE3ELNS1_3repE0EEENS1_59segmented_radix_sort_warp_sort_small_config_static_selectorELNS0_4arch9wavefront6targetE0EEEvSK_.private_seg_size, 0
	.set _ZN7rocprim17ROCPRIM_400000_NS6detail17trampoline_kernelINS0_14default_configENS1_36segmented_radix_sort_config_selectorIdlEEZNS1_25segmented_radix_sort_implIS3_Lb1EPKdPdPKlPlN2at6native12_GLOBAL__N_18offset_tEEE10hipError_tPvRmT1_PNSt15iterator_traitsISK_E10value_typeET2_T3_PNSL_ISQ_E10value_typeET4_jRbjT5_SW_jjP12ihipStream_tbEUlT_E1_NS1_11comp_targetILNS1_3genE9ELNS1_11target_archE1100ELNS1_3gpuE3ELNS1_3repE0EEENS1_59segmented_radix_sort_warp_sort_small_config_static_selectorELNS0_4arch9wavefront6targetE0EEEvSK_.uses_vcc, 0
	.set _ZN7rocprim17ROCPRIM_400000_NS6detail17trampoline_kernelINS0_14default_configENS1_36segmented_radix_sort_config_selectorIdlEEZNS1_25segmented_radix_sort_implIS3_Lb1EPKdPdPKlPlN2at6native12_GLOBAL__N_18offset_tEEE10hipError_tPvRmT1_PNSt15iterator_traitsISK_E10value_typeET2_T3_PNSL_ISQ_E10value_typeET4_jRbjT5_SW_jjP12ihipStream_tbEUlT_E1_NS1_11comp_targetILNS1_3genE9ELNS1_11target_archE1100ELNS1_3gpuE3ELNS1_3repE0EEENS1_59segmented_radix_sort_warp_sort_small_config_static_selectorELNS0_4arch9wavefront6targetE0EEEvSK_.uses_flat_scratch, 0
	.set _ZN7rocprim17ROCPRIM_400000_NS6detail17trampoline_kernelINS0_14default_configENS1_36segmented_radix_sort_config_selectorIdlEEZNS1_25segmented_radix_sort_implIS3_Lb1EPKdPdPKlPlN2at6native12_GLOBAL__N_18offset_tEEE10hipError_tPvRmT1_PNSt15iterator_traitsISK_E10value_typeET2_T3_PNSL_ISQ_E10value_typeET4_jRbjT5_SW_jjP12ihipStream_tbEUlT_E1_NS1_11comp_targetILNS1_3genE9ELNS1_11target_archE1100ELNS1_3gpuE3ELNS1_3repE0EEENS1_59segmented_radix_sort_warp_sort_small_config_static_selectorELNS0_4arch9wavefront6targetE0EEEvSK_.has_dyn_sized_stack, 0
	.set _ZN7rocprim17ROCPRIM_400000_NS6detail17trampoline_kernelINS0_14default_configENS1_36segmented_radix_sort_config_selectorIdlEEZNS1_25segmented_radix_sort_implIS3_Lb1EPKdPdPKlPlN2at6native12_GLOBAL__N_18offset_tEEE10hipError_tPvRmT1_PNSt15iterator_traitsISK_E10value_typeET2_T3_PNSL_ISQ_E10value_typeET4_jRbjT5_SW_jjP12ihipStream_tbEUlT_E1_NS1_11comp_targetILNS1_3genE9ELNS1_11target_archE1100ELNS1_3gpuE3ELNS1_3repE0EEENS1_59segmented_radix_sort_warp_sort_small_config_static_selectorELNS0_4arch9wavefront6targetE0EEEvSK_.has_recursion, 0
	.set _ZN7rocprim17ROCPRIM_400000_NS6detail17trampoline_kernelINS0_14default_configENS1_36segmented_radix_sort_config_selectorIdlEEZNS1_25segmented_radix_sort_implIS3_Lb1EPKdPdPKlPlN2at6native12_GLOBAL__N_18offset_tEEE10hipError_tPvRmT1_PNSt15iterator_traitsISK_E10value_typeET2_T3_PNSL_ISQ_E10value_typeET4_jRbjT5_SW_jjP12ihipStream_tbEUlT_E1_NS1_11comp_targetILNS1_3genE9ELNS1_11target_archE1100ELNS1_3gpuE3ELNS1_3repE0EEENS1_59segmented_radix_sort_warp_sort_small_config_static_selectorELNS0_4arch9wavefront6targetE0EEEvSK_.has_indirect_call, 0
	.section	.AMDGPU.csdata,"",@progbits
; Kernel info:
; codeLenInByte = 0
; TotalNumSgprs: 0
; NumVgprs: 0
; ScratchSize: 0
; MemoryBound: 0
; FloatMode: 240
; IeeeMode: 1
; LDSByteSize: 0 bytes/workgroup (compile time only)
; SGPRBlocks: 0
; VGPRBlocks: 0
; NumSGPRsForWavesPerEU: 1
; NumVGPRsForWavesPerEU: 1
; NamedBarCnt: 0
; Occupancy: 16
; WaveLimiterHint : 0
; COMPUTE_PGM_RSRC2:SCRATCH_EN: 0
; COMPUTE_PGM_RSRC2:USER_SGPR: 2
; COMPUTE_PGM_RSRC2:TRAP_HANDLER: 0
; COMPUTE_PGM_RSRC2:TGID_X_EN: 1
; COMPUTE_PGM_RSRC2:TGID_Y_EN: 0
; COMPUTE_PGM_RSRC2:TGID_Z_EN: 0
; COMPUTE_PGM_RSRC2:TIDIG_COMP_CNT: 0
	.section	.text._ZN7rocprim17ROCPRIM_400000_NS6detail17trampoline_kernelINS0_14default_configENS1_36segmented_radix_sort_config_selectorIdlEEZNS1_25segmented_radix_sort_implIS3_Lb1EPKdPdPKlPlN2at6native12_GLOBAL__N_18offset_tEEE10hipError_tPvRmT1_PNSt15iterator_traitsISK_E10value_typeET2_T3_PNSL_ISQ_E10value_typeET4_jRbjT5_SW_jjP12ihipStream_tbEUlT_E1_NS1_11comp_targetILNS1_3genE8ELNS1_11target_archE1030ELNS1_3gpuE2ELNS1_3repE0EEENS1_59segmented_radix_sort_warp_sort_small_config_static_selectorELNS0_4arch9wavefront6targetE0EEEvSK_,"axG",@progbits,_ZN7rocprim17ROCPRIM_400000_NS6detail17trampoline_kernelINS0_14default_configENS1_36segmented_radix_sort_config_selectorIdlEEZNS1_25segmented_radix_sort_implIS3_Lb1EPKdPdPKlPlN2at6native12_GLOBAL__N_18offset_tEEE10hipError_tPvRmT1_PNSt15iterator_traitsISK_E10value_typeET2_T3_PNSL_ISQ_E10value_typeET4_jRbjT5_SW_jjP12ihipStream_tbEUlT_E1_NS1_11comp_targetILNS1_3genE8ELNS1_11target_archE1030ELNS1_3gpuE2ELNS1_3repE0EEENS1_59segmented_radix_sort_warp_sort_small_config_static_selectorELNS0_4arch9wavefront6targetE0EEEvSK_,comdat
	.globl	_ZN7rocprim17ROCPRIM_400000_NS6detail17trampoline_kernelINS0_14default_configENS1_36segmented_radix_sort_config_selectorIdlEEZNS1_25segmented_radix_sort_implIS3_Lb1EPKdPdPKlPlN2at6native12_GLOBAL__N_18offset_tEEE10hipError_tPvRmT1_PNSt15iterator_traitsISK_E10value_typeET2_T3_PNSL_ISQ_E10value_typeET4_jRbjT5_SW_jjP12ihipStream_tbEUlT_E1_NS1_11comp_targetILNS1_3genE8ELNS1_11target_archE1030ELNS1_3gpuE2ELNS1_3repE0EEENS1_59segmented_radix_sort_warp_sort_small_config_static_selectorELNS0_4arch9wavefront6targetE0EEEvSK_ ; -- Begin function _ZN7rocprim17ROCPRIM_400000_NS6detail17trampoline_kernelINS0_14default_configENS1_36segmented_radix_sort_config_selectorIdlEEZNS1_25segmented_radix_sort_implIS3_Lb1EPKdPdPKlPlN2at6native12_GLOBAL__N_18offset_tEEE10hipError_tPvRmT1_PNSt15iterator_traitsISK_E10value_typeET2_T3_PNSL_ISQ_E10value_typeET4_jRbjT5_SW_jjP12ihipStream_tbEUlT_E1_NS1_11comp_targetILNS1_3genE8ELNS1_11target_archE1030ELNS1_3gpuE2ELNS1_3repE0EEENS1_59segmented_radix_sort_warp_sort_small_config_static_selectorELNS0_4arch9wavefront6targetE0EEEvSK_
	.p2align	8
	.type	_ZN7rocprim17ROCPRIM_400000_NS6detail17trampoline_kernelINS0_14default_configENS1_36segmented_radix_sort_config_selectorIdlEEZNS1_25segmented_radix_sort_implIS3_Lb1EPKdPdPKlPlN2at6native12_GLOBAL__N_18offset_tEEE10hipError_tPvRmT1_PNSt15iterator_traitsISK_E10value_typeET2_T3_PNSL_ISQ_E10value_typeET4_jRbjT5_SW_jjP12ihipStream_tbEUlT_E1_NS1_11comp_targetILNS1_3genE8ELNS1_11target_archE1030ELNS1_3gpuE2ELNS1_3repE0EEENS1_59segmented_radix_sort_warp_sort_small_config_static_selectorELNS0_4arch9wavefront6targetE0EEEvSK_,@function
_ZN7rocprim17ROCPRIM_400000_NS6detail17trampoline_kernelINS0_14default_configENS1_36segmented_radix_sort_config_selectorIdlEEZNS1_25segmented_radix_sort_implIS3_Lb1EPKdPdPKlPlN2at6native12_GLOBAL__N_18offset_tEEE10hipError_tPvRmT1_PNSt15iterator_traitsISK_E10value_typeET2_T3_PNSL_ISQ_E10value_typeET4_jRbjT5_SW_jjP12ihipStream_tbEUlT_E1_NS1_11comp_targetILNS1_3genE8ELNS1_11target_archE1030ELNS1_3gpuE2ELNS1_3repE0EEENS1_59segmented_radix_sort_warp_sort_small_config_static_selectorELNS0_4arch9wavefront6targetE0EEEvSK_: ; @_ZN7rocprim17ROCPRIM_400000_NS6detail17trampoline_kernelINS0_14default_configENS1_36segmented_radix_sort_config_selectorIdlEEZNS1_25segmented_radix_sort_implIS3_Lb1EPKdPdPKlPlN2at6native12_GLOBAL__N_18offset_tEEE10hipError_tPvRmT1_PNSt15iterator_traitsISK_E10value_typeET2_T3_PNSL_ISQ_E10value_typeET4_jRbjT5_SW_jjP12ihipStream_tbEUlT_E1_NS1_11comp_targetILNS1_3genE8ELNS1_11target_archE1030ELNS1_3gpuE2ELNS1_3repE0EEENS1_59segmented_radix_sort_warp_sort_small_config_static_selectorELNS0_4arch9wavefront6targetE0EEEvSK_
; %bb.0:
	.section	.rodata,"a",@progbits
	.p2align	6, 0x0
	.amdhsa_kernel _ZN7rocprim17ROCPRIM_400000_NS6detail17trampoline_kernelINS0_14default_configENS1_36segmented_radix_sort_config_selectorIdlEEZNS1_25segmented_radix_sort_implIS3_Lb1EPKdPdPKlPlN2at6native12_GLOBAL__N_18offset_tEEE10hipError_tPvRmT1_PNSt15iterator_traitsISK_E10value_typeET2_T3_PNSL_ISQ_E10value_typeET4_jRbjT5_SW_jjP12ihipStream_tbEUlT_E1_NS1_11comp_targetILNS1_3genE8ELNS1_11target_archE1030ELNS1_3gpuE2ELNS1_3repE0EEENS1_59segmented_radix_sort_warp_sort_small_config_static_selectorELNS0_4arch9wavefront6targetE0EEEvSK_
		.amdhsa_group_segment_fixed_size 0
		.amdhsa_private_segment_fixed_size 0
		.amdhsa_kernarg_size 88
		.amdhsa_user_sgpr_count 2
		.amdhsa_user_sgpr_dispatch_ptr 0
		.amdhsa_user_sgpr_queue_ptr 0
		.amdhsa_user_sgpr_kernarg_segment_ptr 1
		.amdhsa_user_sgpr_dispatch_id 0
		.amdhsa_user_sgpr_kernarg_preload_length 0
		.amdhsa_user_sgpr_kernarg_preload_offset 0
		.amdhsa_user_sgpr_private_segment_size 0
		.amdhsa_wavefront_size32 1
		.amdhsa_uses_dynamic_stack 0
		.amdhsa_enable_private_segment 0
		.amdhsa_system_sgpr_workgroup_id_x 1
		.amdhsa_system_sgpr_workgroup_id_y 0
		.amdhsa_system_sgpr_workgroup_id_z 0
		.amdhsa_system_sgpr_workgroup_info 0
		.amdhsa_system_vgpr_workitem_id 0
		.amdhsa_next_free_vgpr 1
		.amdhsa_next_free_sgpr 1
		.amdhsa_named_barrier_count 0
		.amdhsa_reserve_vcc 0
		.amdhsa_float_round_mode_32 0
		.amdhsa_float_round_mode_16_64 0
		.amdhsa_float_denorm_mode_32 3
		.amdhsa_float_denorm_mode_16_64 3
		.amdhsa_fp16_overflow 0
		.amdhsa_memory_ordered 1
		.amdhsa_forward_progress 1
		.amdhsa_inst_pref_size 0
		.amdhsa_round_robin_scheduling 0
		.amdhsa_exception_fp_ieee_invalid_op 0
		.amdhsa_exception_fp_denorm_src 0
		.amdhsa_exception_fp_ieee_div_zero 0
		.amdhsa_exception_fp_ieee_overflow 0
		.amdhsa_exception_fp_ieee_underflow 0
		.amdhsa_exception_fp_ieee_inexact 0
		.amdhsa_exception_int_div_zero 0
	.end_amdhsa_kernel
	.section	.text._ZN7rocprim17ROCPRIM_400000_NS6detail17trampoline_kernelINS0_14default_configENS1_36segmented_radix_sort_config_selectorIdlEEZNS1_25segmented_radix_sort_implIS3_Lb1EPKdPdPKlPlN2at6native12_GLOBAL__N_18offset_tEEE10hipError_tPvRmT1_PNSt15iterator_traitsISK_E10value_typeET2_T3_PNSL_ISQ_E10value_typeET4_jRbjT5_SW_jjP12ihipStream_tbEUlT_E1_NS1_11comp_targetILNS1_3genE8ELNS1_11target_archE1030ELNS1_3gpuE2ELNS1_3repE0EEENS1_59segmented_radix_sort_warp_sort_small_config_static_selectorELNS0_4arch9wavefront6targetE0EEEvSK_,"axG",@progbits,_ZN7rocprim17ROCPRIM_400000_NS6detail17trampoline_kernelINS0_14default_configENS1_36segmented_radix_sort_config_selectorIdlEEZNS1_25segmented_radix_sort_implIS3_Lb1EPKdPdPKlPlN2at6native12_GLOBAL__N_18offset_tEEE10hipError_tPvRmT1_PNSt15iterator_traitsISK_E10value_typeET2_T3_PNSL_ISQ_E10value_typeET4_jRbjT5_SW_jjP12ihipStream_tbEUlT_E1_NS1_11comp_targetILNS1_3genE8ELNS1_11target_archE1030ELNS1_3gpuE2ELNS1_3repE0EEENS1_59segmented_radix_sort_warp_sort_small_config_static_selectorELNS0_4arch9wavefront6targetE0EEEvSK_,comdat
.Lfunc_end1141:
	.size	_ZN7rocprim17ROCPRIM_400000_NS6detail17trampoline_kernelINS0_14default_configENS1_36segmented_radix_sort_config_selectorIdlEEZNS1_25segmented_radix_sort_implIS3_Lb1EPKdPdPKlPlN2at6native12_GLOBAL__N_18offset_tEEE10hipError_tPvRmT1_PNSt15iterator_traitsISK_E10value_typeET2_T3_PNSL_ISQ_E10value_typeET4_jRbjT5_SW_jjP12ihipStream_tbEUlT_E1_NS1_11comp_targetILNS1_3genE8ELNS1_11target_archE1030ELNS1_3gpuE2ELNS1_3repE0EEENS1_59segmented_radix_sort_warp_sort_small_config_static_selectorELNS0_4arch9wavefront6targetE0EEEvSK_, .Lfunc_end1141-_ZN7rocprim17ROCPRIM_400000_NS6detail17trampoline_kernelINS0_14default_configENS1_36segmented_radix_sort_config_selectorIdlEEZNS1_25segmented_radix_sort_implIS3_Lb1EPKdPdPKlPlN2at6native12_GLOBAL__N_18offset_tEEE10hipError_tPvRmT1_PNSt15iterator_traitsISK_E10value_typeET2_T3_PNSL_ISQ_E10value_typeET4_jRbjT5_SW_jjP12ihipStream_tbEUlT_E1_NS1_11comp_targetILNS1_3genE8ELNS1_11target_archE1030ELNS1_3gpuE2ELNS1_3repE0EEENS1_59segmented_radix_sort_warp_sort_small_config_static_selectorELNS0_4arch9wavefront6targetE0EEEvSK_
                                        ; -- End function
	.set _ZN7rocprim17ROCPRIM_400000_NS6detail17trampoline_kernelINS0_14default_configENS1_36segmented_radix_sort_config_selectorIdlEEZNS1_25segmented_radix_sort_implIS3_Lb1EPKdPdPKlPlN2at6native12_GLOBAL__N_18offset_tEEE10hipError_tPvRmT1_PNSt15iterator_traitsISK_E10value_typeET2_T3_PNSL_ISQ_E10value_typeET4_jRbjT5_SW_jjP12ihipStream_tbEUlT_E1_NS1_11comp_targetILNS1_3genE8ELNS1_11target_archE1030ELNS1_3gpuE2ELNS1_3repE0EEENS1_59segmented_radix_sort_warp_sort_small_config_static_selectorELNS0_4arch9wavefront6targetE0EEEvSK_.num_vgpr, 0
	.set _ZN7rocprim17ROCPRIM_400000_NS6detail17trampoline_kernelINS0_14default_configENS1_36segmented_radix_sort_config_selectorIdlEEZNS1_25segmented_radix_sort_implIS3_Lb1EPKdPdPKlPlN2at6native12_GLOBAL__N_18offset_tEEE10hipError_tPvRmT1_PNSt15iterator_traitsISK_E10value_typeET2_T3_PNSL_ISQ_E10value_typeET4_jRbjT5_SW_jjP12ihipStream_tbEUlT_E1_NS1_11comp_targetILNS1_3genE8ELNS1_11target_archE1030ELNS1_3gpuE2ELNS1_3repE0EEENS1_59segmented_radix_sort_warp_sort_small_config_static_selectorELNS0_4arch9wavefront6targetE0EEEvSK_.num_agpr, 0
	.set _ZN7rocprim17ROCPRIM_400000_NS6detail17trampoline_kernelINS0_14default_configENS1_36segmented_radix_sort_config_selectorIdlEEZNS1_25segmented_radix_sort_implIS3_Lb1EPKdPdPKlPlN2at6native12_GLOBAL__N_18offset_tEEE10hipError_tPvRmT1_PNSt15iterator_traitsISK_E10value_typeET2_T3_PNSL_ISQ_E10value_typeET4_jRbjT5_SW_jjP12ihipStream_tbEUlT_E1_NS1_11comp_targetILNS1_3genE8ELNS1_11target_archE1030ELNS1_3gpuE2ELNS1_3repE0EEENS1_59segmented_radix_sort_warp_sort_small_config_static_selectorELNS0_4arch9wavefront6targetE0EEEvSK_.numbered_sgpr, 0
	.set _ZN7rocprim17ROCPRIM_400000_NS6detail17trampoline_kernelINS0_14default_configENS1_36segmented_radix_sort_config_selectorIdlEEZNS1_25segmented_radix_sort_implIS3_Lb1EPKdPdPKlPlN2at6native12_GLOBAL__N_18offset_tEEE10hipError_tPvRmT1_PNSt15iterator_traitsISK_E10value_typeET2_T3_PNSL_ISQ_E10value_typeET4_jRbjT5_SW_jjP12ihipStream_tbEUlT_E1_NS1_11comp_targetILNS1_3genE8ELNS1_11target_archE1030ELNS1_3gpuE2ELNS1_3repE0EEENS1_59segmented_radix_sort_warp_sort_small_config_static_selectorELNS0_4arch9wavefront6targetE0EEEvSK_.num_named_barrier, 0
	.set _ZN7rocprim17ROCPRIM_400000_NS6detail17trampoline_kernelINS0_14default_configENS1_36segmented_radix_sort_config_selectorIdlEEZNS1_25segmented_radix_sort_implIS3_Lb1EPKdPdPKlPlN2at6native12_GLOBAL__N_18offset_tEEE10hipError_tPvRmT1_PNSt15iterator_traitsISK_E10value_typeET2_T3_PNSL_ISQ_E10value_typeET4_jRbjT5_SW_jjP12ihipStream_tbEUlT_E1_NS1_11comp_targetILNS1_3genE8ELNS1_11target_archE1030ELNS1_3gpuE2ELNS1_3repE0EEENS1_59segmented_radix_sort_warp_sort_small_config_static_selectorELNS0_4arch9wavefront6targetE0EEEvSK_.private_seg_size, 0
	.set _ZN7rocprim17ROCPRIM_400000_NS6detail17trampoline_kernelINS0_14default_configENS1_36segmented_radix_sort_config_selectorIdlEEZNS1_25segmented_radix_sort_implIS3_Lb1EPKdPdPKlPlN2at6native12_GLOBAL__N_18offset_tEEE10hipError_tPvRmT1_PNSt15iterator_traitsISK_E10value_typeET2_T3_PNSL_ISQ_E10value_typeET4_jRbjT5_SW_jjP12ihipStream_tbEUlT_E1_NS1_11comp_targetILNS1_3genE8ELNS1_11target_archE1030ELNS1_3gpuE2ELNS1_3repE0EEENS1_59segmented_radix_sort_warp_sort_small_config_static_selectorELNS0_4arch9wavefront6targetE0EEEvSK_.uses_vcc, 0
	.set _ZN7rocprim17ROCPRIM_400000_NS6detail17trampoline_kernelINS0_14default_configENS1_36segmented_radix_sort_config_selectorIdlEEZNS1_25segmented_radix_sort_implIS3_Lb1EPKdPdPKlPlN2at6native12_GLOBAL__N_18offset_tEEE10hipError_tPvRmT1_PNSt15iterator_traitsISK_E10value_typeET2_T3_PNSL_ISQ_E10value_typeET4_jRbjT5_SW_jjP12ihipStream_tbEUlT_E1_NS1_11comp_targetILNS1_3genE8ELNS1_11target_archE1030ELNS1_3gpuE2ELNS1_3repE0EEENS1_59segmented_radix_sort_warp_sort_small_config_static_selectorELNS0_4arch9wavefront6targetE0EEEvSK_.uses_flat_scratch, 0
	.set _ZN7rocprim17ROCPRIM_400000_NS6detail17trampoline_kernelINS0_14default_configENS1_36segmented_radix_sort_config_selectorIdlEEZNS1_25segmented_radix_sort_implIS3_Lb1EPKdPdPKlPlN2at6native12_GLOBAL__N_18offset_tEEE10hipError_tPvRmT1_PNSt15iterator_traitsISK_E10value_typeET2_T3_PNSL_ISQ_E10value_typeET4_jRbjT5_SW_jjP12ihipStream_tbEUlT_E1_NS1_11comp_targetILNS1_3genE8ELNS1_11target_archE1030ELNS1_3gpuE2ELNS1_3repE0EEENS1_59segmented_radix_sort_warp_sort_small_config_static_selectorELNS0_4arch9wavefront6targetE0EEEvSK_.has_dyn_sized_stack, 0
	.set _ZN7rocprim17ROCPRIM_400000_NS6detail17trampoline_kernelINS0_14default_configENS1_36segmented_radix_sort_config_selectorIdlEEZNS1_25segmented_radix_sort_implIS3_Lb1EPKdPdPKlPlN2at6native12_GLOBAL__N_18offset_tEEE10hipError_tPvRmT1_PNSt15iterator_traitsISK_E10value_typeET2_T3_PNSL_ISQ_E10value_typeET4_jRbjT5_SW_jjP12ihipStream_tbEUlT_E1_NS1_11comp_targetILNS1_3genE8ELNS1_11target_archE1030ELNS1_3gpuE2ELNS1_3repE0EEENS1_59segmented_radix_sort_warp_sort_small_config_static_selectorELNS0_4arch9wavefront6targetE0EEEvSK_.has_recursion, 0
	.set _ZN7rocprim17ROCPRIM_400000_NS6detail17trampoline_kernelINS0_14default_configENS1_36segmented_radix_sort_config_selectorIdlEEZNS1_25segmented_radix_sort_implIS3_Lb1EPKdPdPKlPlN2at6native12_GLOBAL__N_18offset_tEEE10hipError_tPvRmT1_PNSt15iterator_traitsISK_E10value_typeET2_T3_PNSL_ISQ_E10value_typeET4_jRbjT5_SW_jjP12ihipStream_tbEUlT_E1_NS1_11comp_targetILNS1_3genE8ELNS1_11target_archE1030ELNS1_3gpuE2ELNS1_3repE0EEENS1_59segmented_radix_sort_warp_sort_small_config_static_selectorELNS0_4arch9wavefront6targetE0EEEvSK_.has_indirect_call, 0
	.section	.AMDGPU.csdata,"",@progbits
; Kernel info:
; codeLenInByte = 0
; TotalNumSgprs: 0
; NumVgprs: 0
; ScratchSize: 0
; MemoryBound: 0
; FloatMode: 240
; IeeeMode: 1
; LDSByteSize: 0 bytes/workgroup (compile time only)
; SGPRBlocks: 0
; VGPRBlocks: 0
; NumSGPRsForWavesPerEU: 1
; NumVGPRsForWavesPerEU: 1
; NamedBarCnt: 0
; Occupancy: 16
; WaveLimiterHint : 0
; COMPUTE_PGM_RSRC2:SCRATCH_EN: 0
; COMPUTE_PGM_RSRC2:USER_SGPR: 2
; COMPUTE_PGM_RSRC2:TRAP_HANDLER: 0
; COMPUTE_PGM_RSRC2:TGID_X_EN: 1
; COMPUTE_PGM_RSRC2:TGID_Y_EN: 0
; COMPUTE_PGM_RSRC2:TGID_Z_EN: 0
; COMPUTE_PGM_RSRC2:TIDIG_COMP_CNT: 0
	.section	.text._ZN7rocprim17ROCPRIM_400000_NS6detail17trampoline_kernelINS0_14default_configENS1_36segmented_radix_sort_config_selectorIdlEEZNS1_25segmented_radix_sort_implIS3_Lb1EPKdPdPKlPlN2at6native12_GLOBAL__N_18offset_tEEE10hipError_tPvRmT1_PNSt15iterator_traitsISK_E10value_typeET2_T3_PNSL_ISQ_E10value_typeET4_jRbjT5_SW_jjP12ihipStream_tbEUlT_E2_NS1_11comp_targetILNS1_3genE0ELNS1_11target_archE4294967295ELNS1_3gpuE0ELNS1_3repE0EEENS1_30default_config_static_selectorELNS0_4arch9wavefront6targetE0EEEvSK_,"axG",@progbits,_ZN7rocprim17ROCPRIM_400000_NS6detail17trampoline_kernelINS0_14default_configENS1_36segmented_radix_sort_config_selectorIdlEEZNS1_25segmented_radix_sort_implIS3_Lb1EPKdPdPKlPlN2at6native12_GLOBAL__N_18offset_tEEE10hipError_tPvRmT1_PNSt15iterator_traitsISK_E10value_typeET2_T3_PNSL_ISQ_E10value_typeET4_jRbjT5_SW_jjP12ihipStream_tbEUlT_E2_NS1_11comp_targetILNS1_3genE0ELNS1_11target_archE4294967295ELNS1_3gpuE0ELNS1_3repE0EEENS1_30default_config_static_selectorELNS0_4arch9wavefront6targetE0EEEvSK_,comdat
	.globl	_ZN7rocprim17ROCPRIM_400000_NS6detail17trampoline_kernelINS0_14default_configENS1_36segmented_radix_sort_config_selectorIdlEEZNS1_25segmented_radix_sort_implIS3_Lb1EPKdPdPKlPlN2at6native12_GLOBAL__N_18offset_tEEE10hipError_tPvRmT1_PNSt15iterator_traitsISK_E10value_typeET2_T3_PNSL_ISQ_E10value_typeET4_jRbjT5_SW_jjP12ihipStream_tbEUlT_E2_NS1_11comp_targetILNS1_3genE0ELNS1_11target_archE4294967295ELNS1_3gpuE0ELNS1_3repE0EEENS1_30default_config_static_selectorELNS0_4arch9wavefront6targetE0EEEvSK_ ; -- Begin function _ZN7rocprim17ROCPRIM_400000_NS6detail17trampoline_kernelINS0_14default_configENS1_36segmented_radix_sort_config_selectorIdlEEZNS1_25segmented_radix_sort_implIS3_Lb1EPKdPdPKlPlN2at6native12_GLOBAL__N_18offset_tEEE10hipError_tPvRmT1_PNSt15iterator_traitsISK_E10value_typeET2_T3_PNSL_ISQ_E10value_typeET4_jRbjT5_SW_jjP12ihipStream_tbEUlT_E2_NS1_11comp_targetILNS1_3genE0ELNS1_11target_archE4294967295ELNS1_3gpuE0ELNS1_3repE0EEENS1_30default_config_static_selectorELNS0_4arch9wavefront6targetE0EEEvSK_
	.p2align	8
	.type	_ZN7rocprim17ROCPRIM_400000_NS6detail17trampoline_kernelINS0_14default_configENS1_36segmented_radix_sort_config_selectorIdlEEZNS1_25segmented_radix_sort_implIS3_Lb1EPKdPdPKlPlN2at6native12_GLOBAL__N_18offset_tEEE10hipError_tPvRmT1_PNSt15iterator_traitsISK_E10value_typeET2_T3_PNSL_ISQ_E10value_typeET4_jRbjT5_SW_jjP12ihipStream_tbEUlT_E2_NS1_11comp_targetILNS1_3genE0ELNS1_11target_archE4294967295ELNS1_3gpuE0ELNS1_3repE0EEENS1_30default_config_static_selectorELNS0_4arch9wavefront6targetE0EEEvSK_,@function
_ZN7rocprim17ROCPRIM_400000_NS6detail17trampoline_kernelINS0_14default_configENS1_36segmented_radix_sort_config_selectorIdlEEZNS1_25segmented_radix_sort_implIS3_Lb1EPKdPdPKlPlN2at6native12_GLOBAL__N_18offset_tEEE10hipError_tPvRmT1_PNSt15iterator_traitsISK_E10value_typeET2_T3_PNSL_ISQ_E10value_typeET4_jRbjT5_SW_jjP12ihipStream_tbEUlT_E2_NS1_11comp_targetILNS1_3genE0ELNS1_11target_archE4294967295ELNS1_3gpuE0ELNS1_3repE0EEENS1_30default_config_static_selectorELNS0_4arch9wavefront6targetE0EEEvSK_: ; @_ZN7rocprim17ROCPRIM_400000_NS6detail17trampoline_kernelINS0_14default_configENS1_36segmented_radix_sort_config_selectorIdlEEZNS1_25segmented_radix_sort_implIS3_Lb1EPKdPdPKlPlN2at6native12_GLOBAL__N_18offset_tEEE10hipError_tPvRmT1_PNSt15iterator_traitsISK_E10value_typeET2_T3_PNSL_ISQ_E10value_typeET4_jRbjT5_SW_jjP12ihipStream_tbEUlT_E2_NS1_11comp_targetILNS1_3genE0ELNS1_11target_archE4294967295ELNS1_3gpuE0ELNS1_3repE0EEENS1_30default_config_static_selectorELNS0_4arch9wavefront6targetE0EEEvSK_
; %bb.0:
	s_load_b128 s[4:7], s[2:3], 0x34
	s_bfe_u32 s8, ttmp6, 0x4000c
	s_and_b32 s9, ttmp6, 15
	s_add_co_i32 s8, s8, 1
	s_getreg_b32 s29, hwreg(HW_REG_IB_STS2, 6, 4)
	s_mul_i32 s8, ttmp9, s8
	s_mov_b32 s32, 0
	s_add_co_i32 s9, s9, s8
	s_cmp_eq_u32 s29, 0
	s_cselect_b32 s33, ttmp9, s9
	s_wait_kmcnt 0x0
	s_add_co_i32 s51, s7, s33
	s_add_co_i32 s56, s5, s33
	s_mul_i32 s51, s51, s6
	s_mul_i32 s56, s56, s4
	s_delay_alu instid0(SALU_CYCLE_1)
	s_cmp_le_u32 s51, s56
	s_cbranch_scc1 .LBB1142_1187
; %bb.1:
	s_clause 0x3
	s_load_b32 s4, s[2:3], 0x30
	s_load_b128 s[44:47], s[2:3], 0x20
	s_load_b96 s[48:50], s[2:3], 0x44
	s_load_b256 s[36:43], s[2:3], 0x0
	s_wait_kmcnt 0x0
	s_bitcmp1_b32 s4, 0
	s_mov_b32 s4, -1
	s_cselect_b32 s57, -1, 0
	s_sub_co_i32 s58, s51, s56
	s_delay_alu instid0(SALU_CYCLE_1)
	s_cmp_lt_u32 s58, 0x1001
	s_cbranch_scc0 .LBB1142_12
; %bb.2:
	s_cmp_lt_u32 s58, 33
	s_cbranch_scc0 .LBB1142_6
; %bb.3:
	s_load_b32 s4, s[2:3], 0x5c
	v_bfe_u32 v1, v0, 10, 10
	v_bfe_u32 v2, v0, 20, 10
	s_mov_b32 s15, exec_lo
	s_wait_kmcnt 0x0
	s_lshr_b32 s5, s4, 16
	s_and_b32 s4, s4, 0xffff
	v_mad_u32_u24 v1, v2, s5, v1
	v_and_b32_e32 v2, 0x3ff, v0
	s_delay_alu instid0(VALU_DEP_1) | instskip(NEXT) | instid1(VALU_DEP_1)
	v_mad_u32 v1, v1, s4, v2
	v_cmpx_gt_u32_e32 8, v1
	s_cbranch_execz .LBB1142_5
; %bb.4:
	s_bitcmp1_b32 s48, 0
	s_mov_b64 s[4:5], src_shared_base
	s_cselect_b32 s4, -1, 0
	v_dual_mov_b32 v31, v0 :: v_dual_mov_b32 v40, v0
	s_xor_b32 s4, s57, s4
	v_dual_mov_b32 v0, s36 :: v_dual_mov_b32 v1, s37
	s_xor_b32 s4, s4, -1
	v_dual_mov_b32 v2, s38 :: v_dual_mov_b32 v3, s39
	v_cndmask_b32_e64 v12, 0, 1, s4
	v_dual_mov_b32 v4, s40 :: v_dual_mov_b32 v5, s41
	v_dual_mov_b32 v6, s42 :: v_dual_mov_b32 v7, s43
	;; [unrolled: 1-line block ×6, first 2 shown]
	s_add_nc_u64 s[8:9], s[2:3], 0x50
	s_get_pc_i64 s[10:11]
	s_add_nc_u64 s[10:11], s[10:11], _ZN7rocprim17ROCPRIM_400000_NS6detail26segmented_warp_sort_helperINS1_20WarpSortHelperConfigILj8ELj4ELj256EEEdlLi256ELb1EvE4sortIPKdPdPKlPlEEvT_S9_T0_T1_SC_T2_bjjjjRNS5_12storage_typeE@rel64+4
	s_mov_b64 s[6:7], s[0:1]
	s_mov_b64 s[16:17], s[2:3]
	;; [unrolled: 1-line block ×3, first 2 shown]
	s_swap_pc_i64 s[30:31], s[10:11]
	v_mov_b32_e32 v0, v40
	s_mov_b64 s[0:1], s[18:19]
	s_mov_b64 s[2:3], s[16:17]
.LBB1142_5:
	s_or_b32 exec_lo, exec_lo, s15
	s_mov_b32 s4, 0
.LBB1142_6:
	s_delay_alu instid0(SALU_CYCLE_1)
	s_and_not1_b32 vcc_lo, exec_lo, s4
	s_cbranch_vccnz .LBB1142_11
; %bb.7:
	v_cndmask_b32_e64 v1, 0, 1, s57
	s_and_b32 s4, s48, 1
	s_get_pc_i64 s[34:35]
	s_add_nc_u64 s[34:35], s[34:35], _ZN7rocprim17ROCPRIM_400000_NS6detail40segmented_radix_sort_single_block_helperIdlLj256ELj16ELb1EE4sortIPKdPdPKlPlEEbT_T0_T1_T2_jjjjRNS3_12storage_typeE@rel64+4
	s_delay_alu instid0(VALU_DEP_1)
	v_cmp_ne_u32_e32 vcc_lo, s4, v1
	s_mov_b32 s4, -1
	s_cbranch_vccnz .LBB1142_9
; %bb.8:
	s_mov_b64 s[4:5], src_shared_base
	v_dual_mov_b32 v31, v0 :: v_dual_mov_b32 v40, v0
	v_dual_mov_b32 v0, s36 :: v_dual_mov_b32 v1, s37
	;; [unrolled: 1-line block ×8, first 2 shown]
	s_add_nc_u64 s[8:9], s[2:3], 0x50
	s_mov_b64 s[6:7], s[0:1]
	s_mov_b64 s[52:53], s[2:3]
	;; [unrolled: 1-line block ×3, first 2 shown]
	s_swap_pc_i64 s[30:31], s[34:35]
	v_mov_b32_e32 v0, v40
	s_mov_b64 s[0:1], s[54:55]
	s_mov_b64 s[2:3], s[52:53]
	s_mov_b32 s4, 0
.LBB1142_9:
	s_delay_alu instid0(SALU_CYCLE_1)
	s_and_not1_b32 vcc_lo, exec_lo, s4
	s_cbranch_vccnz .LBB1142_11
; %bb.10:
	s_mov_b64 s[4:5], src_shared_base
	v_dual_mov_b32 v31, v0 :: v_dual_mov_b32 v40, v0
	v_dual_mov_b32 v0, s36 :: v_dual_mov_b32 v1, s37
	;; [unrolled: 1-line block ×8, first 2 shown]
	s_add_nc_u64 s[8:9], s[2:3], 0x50
	s_mov_b64 s[6:7], s[0:1]
	s_mov_b64 s[52:53], s[2:3]
	s_swap_pc_i64 s[30:31], s[34:35]
	v_mov_b32_e32 v0, v40
	s_mov_b64 s[2:3], s[52:53]
.LBB1142_11:
	s_mov_b32 s4, 0
.LBB1142_12:
	s_delay_alu instid0(SALU_CYCLE_1)
	s_and_not1_b32 vcc_lo, exec_lo, s4
	s_cbranch_vccnz .LBB1142_1187
; %bb.13:
	s_cmp_ge_u32 s49, s50
	s_cbranch_scc1 .LBB1142_1187
; %bb.14:
	v_and_b32_e32 v2, 0x3ff, v0
	v_dual_mov_b32 v5, 0 :: v_dual_bitop2_b32 v1, 3, v0 bitop3:0x40
	v_lshrrev_b32_e32 v8, 3, v0
	v_mbcnt_lo_u32_b32 v124, -1, 0
	s_delay_alu instid0(VALU_DEP_4) | instskip(NEXT) | instid1(VALU_DEP_4)
	v_dual_lshlrev_b32 v3, 2, v2 :: v_dual_lshlrev_b32 v4, 3, v2
	v_dual_lshlrev_b32 v113, 2, v1 :: v_dual_bitop2_b32 v1, 31, v2 bitop3:0x54
	s_delay_alu instid0(VALU_DEP_4) | instskip(NEXT) | instid1(VALU_DEP_3)
	v_dual_lshlrev_b32 v8, 4, v2 :: v_dual_bitop2_b32 v114, 28, v8 bitop3:0x40
	v_mad_u32_u24 v115, v2, 12, v3
	v_mov_b32_e32 v21, v5
	s_delay_alu instid0(VALU_DEP_4)
	v_cmp_eq_u32_e64 s1, v2, v1
	v_lshlrev_b32_e32 v1, 5, v2
	v_and_b32_e32 v22, 0xe00, v8
	v_mad_u32_u24 v120, v2, 20, v115
	v_add_nc_u32_e32 v118, 0x83fc, v114
	s_bfe_u32 s6, ttmp6, 0x40010
	v_add_nc_u64_e32 v[6:7], s[40:41], v[4:5]
	s_delay_alu instid0(VALU_DEP_3)
	v_dual_lshlrev_b32 v20, 3, v22 :: v_dual_sub_nc_u32 v122, v120, v1
	v_or_b32_e32 v129, v124, v22
	s_add_co_i32 s6, s6, 1
	v_bfe_u32 v119, v0, 20, 10
	s_mul_i32 s6, ttmp7, s6
	s_bfe_u32 s7, ttmp6, 0x40004
	v_bfe_u32 v121, v0, 10, 10
	v_add_nc_u64_e32 v[0:1], s[46:47], v[20:21]
	v_add_nc_u64_e32 v[8:9], s[40:41], v[20:21]
	;; [unrolled: 1-line block ×8, first 2 shown]
	v_or_b32_e32 v98, 0x100, v2
	v_or_b32_e32 v99, 0x200, v2
	;; [unrolled: 1-line block ×15, first 2 shown]
	v_cmp_gt_u32_e64 s0, 0x100, v2
	v_or_b32_e32 v116, 0x8400, v114
	v_cmp_gt_u32_e64 s4, 8, v2
	v_add_nc_u32_e32 v117, 0x8400, v3
	v_cmp_lt_u32_e64 s5, 31, v2
	s_add_nc_u64 s[52:53], s[2:3], 0x50
	s_add_co_i32 s7, s7, s6
	v_cmp_eq_u32_e64 s2, 0, v2
	v_cmp_ne_u32_e64 s3, 0xff, v2
	v_dual_add_nc_u32 v123, v122, v3 :: v_dual_mov_b32 v125, 1
	v_dual_lshlrev_b32 v4, 3, v124 :: v_dual_bitop2_b32 v126, 15, v124 bitop3:0x40
	v_bfe_i32 v127, v124, 4, 1
	v_and_b32_e32 v128, 16, v124
	v_and_b32_e32 v130, 7, v124
	v_sub_co_u32 v131, s6, v124, 1
	v_or_b32_e32 v132, 32, v129
	v_or_b32_e32 v133, 64, v129
	;; [unrolled: 1-line block ×15, first 2 shown]
	s_cmp_eq_u32 s29, 0
	s_mov_b32 s35, 0
	s_mov_b64 s[42:43], 0x8000000000000000
	s_cselect_b32 s31, ttmp7, s7
	s_mov_b32 s48, s49
	s_mov_b32 s54, s49
	s_branch .LBB1142_17
.LBB1142_15:                            ;   in Loop: Header=BB1142_17 Depth=1
	s_wait_dscnt 0x0
	s_barrier_signal -1
	s_barrier_wait -1
.LBB1142_16:                            ;   in Loop: Header=BB1142_17 Depth=1
	s_add_co_i32 s54, s54, 8
	s_delay_alu instid0(SALU_CYCLE_1)
	s_cmp_ge_u32 s54, s50
	s_cbranch_scc1 .LBB1142_1187
.LBB1142_17:                            ; =>This Loop Header: Depth=1
                                        ;     Child Loop BB1142_21 Depth 2
                                        ;     Child Loop BB1142_101 Depth 2
	;; [unrolled: 1-line block ×8, first 2 shown]
	s_sub_co_i32 s7, s50, s54
	s_xor_b32 s57, s57, -1
	s_min_u32 s55, s7, 8
	s_cmp_lg_u32 s54, s49
	s_mov_b32 s7, -1
	ds_store_2addr_stride64_b32 v3, v5, v5 offset1:4
	ds_store_2addr_stride64_b32 v3, v5, v5 offset0:8 offset1:12
	s_wait_storecnt_dscnt 0x0
	s_cbranch_scc0 .LBB1142_603
; %bb.18:                               ;   in Loop: Header=BB1142_17 Depth=1
	s_lshl_b32 s7, -1, s55
	s_and_b32 vcc_lo, exec_lo, s57
	s_not_b32 s59, s7
	s_mov_b32 s7, -1
	s_cbranch_vccz .LBB1142_310
; %bb.19:                               ;   in Loop: Header=BB1142_17 Depth=1
	s_mov_b32 s7, s58
	s_mov_b32 s34, s56
	s_barrier_signal -1
	s_barrier_wait -1
                                        ; implicit-def: $vgpr22_vgpr23
                                        ; implicit-def: $vgpr24_vgpr25
                                        ; implicit-def: $vgpr26_vgpr27
                                        ; implicit-def: $vgpr28_vgpr29
                                        ; implicit-def: $vgpr30_vgpr31
                                        ; implicit-def: $vgpr32_vgpr33
                                        ; implicit-def: $vgpr34_vgpr35
                                        ; implicit-def: $vgpr36_vgpr37
                                        ; implicit-def: $vgpr38_vgpr39
                                        ; implicit-def: $vgpr40_vgpr41
                                        ; implicit-def: $vgpr42_vgpr43
                                        ; implicit-def: $vgpr44_vgpr45
                                        ; implicit-def: $vgpr46_vgpr47
                                        ; implicit-def: $vgpr48_vgpr49
                                        ; implicit-def: $vgpr50_vgpr51
                                        ; implicit-def: $vgpr52_vgpr53
	s_branch .LBB1142_21
.LBB1142_20:                            ;   in Loop: Header=BB1142_21 Depth=2
	s_or_b32 exec_lo, exec_lo, s8
	s_addk_co_i32 s7, 0xf000
	s_cmp_ge_u32 s10, s51
	s_mov_b32 s34, s10
	s_cbranch_scc1 .LBB1142_89
.LBB1142_21:                            ;   Parent Loop BB1142_17 Depth=1
                                        ; =>  This Inner Loop Header: Depth=2
	s_add_co_i32 s10, s34, 0x1000
	s_mov_b32 s8, -1
	s_cmp_gt_u32 s10, s51
                                        ; implicit-def: $vgpr54_vgpr55
                                        ; implicit-def: $vgpr56_vgpr57
                                        ; implicit-def: $vgpr58_vgpr59
                                        ; implicit-def: $vgpr60_vgpr61
                                        ; implicit-def: $vgpr62_vgpr63
                                        ; implicit-def: $vgpr64_vgpr65
                                        ; implicit-def: $vgpr66_vgpr67
                                        ; implicit-def: $vgpr68_vgpr69
                                        ; implicit-def: $vgpr70_vgpr71
                                        ; implicit-def: $vgpr72_vgpr73
                                        ; implicit-def: $vgpr74_vgpr75
                                        ; implicit-def: $vgpr76_vgpr77
                                        ; implicit-def: $vgpr78_vgpr79
                                        ; implicit-def: $vgpr80_vgpr81
                                        ; implicit-def: $vgpr82_vgpr83
                                        ; implicit-def: $vgpr84_vgpr85
	s_cbranch_scc1 .LBB1142_23
; %bb.22:                               ;   in Loop: Header=BB1142_21 Depth=2
	v_lshl_add_u64 v[84:85], s[34:35], 3, v[6:7]
	s_mov_b32 s8, 0
	s_clause 0xf
	global_load_b64 v[54:55], v[84:85], off
	global_load_b64 v[56:57], v[84:85], off offset:2048
	global_load_b64 v[58:59], v[84:85], off offset:4096
	;; [unrolled: 1-line block ×15, first 2 shown]
.LBB1142_23:                            ;   in Loop: Header=BB1142_21 Depth=2
	s_and_not1_b32 vcc_lo, exec_lo, s8
	s_movk_i32 s8, 0x1000
	s_cbranch_vccnz .LBB1142_42
; %bb.24:                               ;   in Loop: Header=BB1142_21 Depth=2
	s_lshl_b64 s[8:9], s[34:35], 3
	s_mov_b32 s11, exec_lo
	s_add_nc_u64 s[8:9], s[40:41], s[8:9]
	s_wait_xcnt 0x0
	v_cmpx_gt_u32_e64 s7, v2
	s_cbranch_execnz .LBB1142_74
; %bb.25:                               ;   in Loop: Header=BB1142_21 Depth=2
	s_or_b32 exec_lo, exec_lo, s11
	s_delay_alu instid0(SALU_CYCLE_1)
	s_mov_b32 s11, exec_lo
	v_cmpx_gt_u32_e64 s7, v98
	s_cbranch_execnz .LBB1142_75
.LBB1142_26:                            ;   in Loop: Header=BB1142_21 Depth=2
	s_or_b32 exec_lo, exec_lo, s11
	s_delay_alu instid0(SALU_CYCLE_1)
	s_mov_b32 s11, exec_lo
	v_cmpx_gt_u32_e64 s7, v99
	s_cbranch_execnz .LBB1142_76
.LBB1142_27:                            ;   in Loop: Header=BB1142_21 Depth=2
	s_or_b32 exec_lo, exec_lo, s11
	s_delay_alu instid0(SALU_CYCLE_1)
	s_mov_b32 s11, exec_lo
	v_cmpx_gt_u32_e64 s7, v100
	s_cbranch_execnz .LBB1142_77
.LBB1142_28:                            ;   in Loop: Header=BB1142_21 Depth=2
	s_or_b32 exec_lo, exec_lo, s11
	s_delay_alu instid0(SALU_CYCLE_1)
	s_mov_b32 s11, exec_lo
	v_cmpx_gt_u32_e64 s7, v101
	s_cbranch_execnz .LBB1142_78
.LBB1142_29:                            ;   in Loop: Header=BB1142_21 Depth=2
	s_or_b32 exec_lo, exec_lo, s11
	s_delay_alu instid0(SALU_CYCLE_1)
	s_mov_b32 s11, exec_lo
	v_cmpx_gt_u32_e64 s7, v102
	s_cbranch_execnz .LBB1142_79
.LBB1142_30:                            ;   in Loop: Header=BB1142_21 Depth=2
	s_or_b32 exec_lo, exec_lo, s11
	s_delay_alu instid0(SALU_CYCLE_1)
	s_mov_b32 s11, exec_lo
	v_cmpx_gt_u32_e64 s7, v103
	s_cbranch_execnz .LBB1142_80
.LBB1142_31:                            ;   in Loop: Header=BB1142_21 Depth=2
	s_or_b32 exec_lo, exec_lo, s11
	s_delay_alu instid0(SALU_CYCLE_1)
	s_mov_b32 s11, exec_lo
	v_cmpx_gt_u32_e64 s7, v104
	s_cbranch_execnz .LBB1142_81
.LBB1142_32:                            ;   in Loop: Header=BB1142_21 Depth=2
	s_or_b32 exec_lo, exec_lo, s11
	s_delay_alu instid0(SALU_CYCLE_1)
	s_mov_b32 s11, exec_lo
	v_cmpx_gt_u32_e64 s7, v105
	s_cbranch_execnz .LBB1142_82
.LBB1142_33:                            ;   in Loop: Header=BB1142_21 Depth=2
	s_or_b32 exec_lo, exec_lo, s11
	s_delay_alu instid0(SALU_CYCLE_1)
	s_mov_b32 s11, exec_lo
	v_cmpx_gt_u32_e64 s7, v106
	s_cbranch_execnz .LBB1142_83
.LBB1142_34:                            ;   in Loop: Header=BB1142_21 Depth=2
	s_or_b32 exec_lo, exec_lo, s11
	s_delay_alu instid0(SALU_CYCLE_1)
	s_mov_b32 s11, exec_lo
	v_cmpx_gt_u32_e64 s7, v107
	s_cbranch_execnz .LBB1142_84
.LBB1142_35:                            ;   in Loop: Header=BB1142_21 Depth=2
	s_or_b32 exec_lo, exec_lo, s11
	s_delay_alu instid0(SALU_CYCLE_1)
	s_mov_b32 s11, exec_lo
	v_cmpx_gt_u32_e64 s7, v108
	s_cbranch_execnz .LBB1142_85
.LBB1142_36:                            ;   in Loop: Header=BB1142_21 Depth=2
	s_or_b32 exec_lo, exec_lo, s11
	s_delay_alu instid0(SALU_CYCLE_1)
	s_mov_b32 s11, exec_lo
	v_cmpx_gt_u32_e64 s7, v109
	s_cbranch_execnz .LBB1142_86
.LBB1142_37:                            ;   in Loop: Header=BB1142_21 Depth=2
	s_or_b32 exec_lo, exec_lo, s11
	s_delay_alu instid0(SALU_CYCLE_1)
	s_mov_b32 s11, exec_lo
	v_cmpx_gt_u32_e64 s7, v110
	s_cbranch_execnz .LBB1142_87
.LBB1142_38:                            ;   in Loop: Header=BB1142_21 Depth=2
	s_or_b32 exec_lo, exec_lo, s11
	s_delay_alu instid0(SALU_CYCLE_1)
	s_mov_b32 s11, exec_lo
	v_cmpx_gt_u32_e64 s7, v111
	s_cbranch_execnz .LBB1142_88
.LBB1142_39:                            ;   in Loop: Header=BB1142_21 Depth=2
	s_or_b32 exec_lo, exec_lo, s11
	s_delay_alu instid0(SALU_CYCLE_1)
	s_mov_b32 s11, exec_lo
	v_cmpx_gt_u32_e64 s7, v112
	s_cbranch_execz .LBB1142_41
.LBB1142_40:                            ;   in Loop: Header=BB1142_21 Depth=2
	global_load_b64 v[22:23], v2, s[8:9] offset:30720 scale_offset
.LBB1142_41:                            ;   in Loop: Header=BB1142_21 Depth=2
	s_wait_xcnt 0x0
	s_or_b32 exec_lo, exec_lo, s11
	s_wait_loadcnt 0x0
	v_mov_b64_e32 v[54:55], v[52:53]
	v_mov_b64_e32 v[56:57], v[50:51]
	;; [unrolled: 1-line block ×16, first 2 shown]
	s_mov_b32 s8, s7
.LBB1142_42:                            ;   in Loop: Header=BB1142_21 Depth=2
	s_wait_loadcnt 0x0
	s_delay_alu instid0(VALU_DEP_1) | instskip(NEXT) | instid1(VALU_DEP_3)
	v_mov_b64_e32 v[22:23], v[84:85]
	v_mov_b64_e32 v[24:25], v[82:83]
	;; [unrolled: 1-line block ×16, first 2 shown]
	s_mov_b32 s9, exec_lo
	s_wait_xcnt 0x0
	v_cmpx_gt_u32_e64 s8, v2
	s_cbranch_execnz .LBB1142_58
; %bb.43:                               ;   in Loop: Header=BB1142_21 Depth=2
	s_or_b32 exec_lo, exec_lo, s9
	s_delay_alu instid0(SALU_CYCLE_1)
	s_mov_b32 s9, exec_lo
	v_cmpx_gt_u32_e64 s8, v98
	s_cbranch_execnz .LBB1142_59
.LBB1142_44:                            ;   in Loop: Header=BB1142_21 Depth=2
	s_or_b32 exec_lo, exec_lo, s9
	s_delay_alu instid0(SALU_CYCLE_1)
	s_mov_b32 s9, exec_lo
	v_cmpx_gt_u32_e64 s8, v99
	s_cbranch_execnz .LBB1142_60
.LBB1142_45:                            ;   in Loop: Header=BB1142_21 Depth=2
	s_or_b32 exec_lo, exec_lo, s9
	s_delay_alu instid0(SALU_CYCLE_1)
	s_mov_b32 s9, exec_lo
	v_cmpx_gt_u32_e64 s8, v100
	s_cbranch_execnz .LBB1142_61
.LBB1142_46:                            ;   in Loop: Header=BB1142_21 Depth=2
	s_or_b32 exec_lo, exec_lo, s9
	s_delay_alu instid0(SALU_CYCLE_1)
	s_mov_b32 s9, exec_lo
	v_cmpx_gt_u32_e64 s8, v101
	s_cbranch_execnz .LBB1142_62
.LBB1142_47:                            ;   in Loop: Header=BB1142_21 Depth=2
	s_or_b32 exec_lo, exec_lo, s9
	s_delay_alu instid0(SALU_CYCLE_1)
	s_mov_b32 s9, exec_lo
	v_cmpx_gt_u32_e64 s8, v102
	s_cbranch_execnz .LBB1142_63
.LBB1142_48:                            ;   in Loop: Header=BB1142_21 Depth=2
	s_or_b32 exec_lo, exec_lo, s9
	s_delay_alu instid0(SALU_CYCLE_1)
	s_mov_b32 s9, exec_lo
	v_cmpx_gt_u32_e64 s8, v103
	s_cbranch_execnz .LBB1142_64
.LBB1142_49:                            ;   in Loop: Header=BB1142_21 Depth=2
	s_or_b32 exec_lo, exec_lo, s9
	s_delay_alu instid0(SALU_CYCLE_1)
	s_mov_b32 s9, exec_lo
	v_cmpx_gt_u32_e64 s8, v104
	s_cbranch_execnz .LBB1142_65
.LBB1142_50:                            ;   in Loop: Header=BB1142_21 Depth=2
	s_or_b32 exec_lo, exec_lo, s9
	s_delay_alu instid0(SALU_CYCLE_1)
	s_mov_b32 s9, exec_lo
	v_cmpx_gt_u32_e64 s8, v105
	s_cbranch_execnz .LBB1142_66
.LBB1142_51:                            ;   in Loop: Header=BB1142_21 Depth=2
	s_or_b32 exec_lo, exec_lo, s9
	s_delay_alu instid0(SALU_CYCLE_1)
	s_mov_b32 s9, exec_lo
	v_cmpx_gt_u32_e64 s8, v106
	s_cbranch_execnz .LBB1142_67
.LBB1142_52:                            ;   in Loop: Header=BB1142_21 Depth=2
	s_or_b32 exec_lo, exec_lo, s9
	s_delay_alu instid0(SALU_CYCLE_1)
	s_mov_b32 s9, exec_lo
	v_cmpx_gt_u32_e64 s8, v107
	s_cbranch_execnz .LBB1142_68
.LBB1142_53:                            ;   in Loop: Header=BB1142_21 Depth=2
	s_or_b32 exec_lo, exec_lo, s9
	s_delay_alu instid0(SALU_CYCLE_1)
	s_mov_b32 s9, exec_lo
	v_cmpx_gt_u32_e64 s8, v108
	s_cbranch_execnz .LBB1142_69
.LBB1142_54:                            ;   in Loop: Header=BB1142_21 Depth=2
	s_or_b32 exec_lo, exec_lo, s9
	s_delay_alu instid0(SALU_CYCLE_1)
	s_mov_b32 s9, exec_lo
	v_cmpx_gt_u32_e64 s8, v109
	s_cbranch_execnz .LBB1142_70
.LBB1142_55:                            ;   in Loop: Header=BB1142_21 Depth=2
	s_or_b32 exec_lo, exec_lo, s9
	s_delay_alu instid0(SALU_CYCLE_1)
	s_mov_b32 s9, exec_lo
	v_cmpx_gt_u32_e64 s8, v110
	s_cbranch_execnz .LBB1142_71
.LBB1142_56:                            ;   in Loop: Header=BB1142_21 Depth=2
	s_or_b32 exec_lo, exec_lo, s9
	s_delay_alu instid0(SALU_CYCLE_1)
	s_mov_b32 s9, exec_lo
	v_cmpx_gt_u32_e64 s8, v111
	s_cbranch_execnz .LBB1142_72
.LBB1142_57:                            ;   in Loop: Header=BB1142_21 Depth=2
	s_or_b32 exec_lo, exec_lo, s9
	v_cmp_gt_u32_e32 vcc_lo, s8, v112
	s_and_saveexec_b32 s8, vcc_lo
	s_cbranch_execz .LBB1142_20
	s_branch .LBB1142_73
.LBB1142_58:                            ;   in Loop: Header=BB1142_21 Depth=2
	s_delay_alu instid0(VALU_DEP_2) | instskip(SKIP_1) | instid1(VALU_DEP_1)
	v_cmp_gt_i64_e32 vcc_lo, 0, v[52:53]
	v_cndmask_b32_e64 v55, 0x7fffffff, 0, vcc_lo
	v_dual_ashrrev_i32 v54, 31, v53 :: v_dual_bitop2_b32 v55, v55, v53 bitop3:0x14
	s_delay_alu instid0(VALU_DEP_1) | instskip(NEXT) | instid1(VALU_DEP_1)
	v_not_b32_e32 v54, v54
	v_xor_b32_e32 v54, v54, v52
	s_delay_alu instid0(VALU_DEP_1) | instskip(SKIP_2) | instid1(VALU_DEP_1)
	v_cmp_ne_u64_e32 vcc_lo, s[42:43], v[54:55]
	v_cndmask_b32_e32 v55, 0x7fffffff, v55, vcc_lo
	v_cndmask_b32_e32 v54, -1, v54, vcc_lo
	v_lshrrev_b64 v[54:55], s54, v[54:55]
	s_delay_alu instid0(VALU_DEP_1) | instskip(NEXT) | instid1(VALU_DEP_1)
	v_and_b32_e32 v54, s59, v54
	v_lshl_or_b32 v54, v54, 4, v113
	ds_add_u32 v54, v125
	s_or_b32 exec_lo, exec_lo, s9
	s_delay_alu instid0(SALU_CYCLE_1)
	s_mov_b32 s9, exec_lo
	v_cmpx_gt_u32_e64 s8, v98
	s_cbranch_execz .LBB1142_44
.LBB1142_59:                            ;   in Loop: Header=BB1142_21 Depth=2
	v_cmp_gt_i64_e32 vcc_lo, 0, v[50:51]
	v_cndmask_b32_e64 v55, 0x7fffffff, 0, vcc_lo
	s_delay_alu instid0(VALU_DEP_1) | instskip(NEXT) | instid1(VALU_DEP_1)
	v_dual_ashrrev_i32 v54, 31, v51 :: v_dual_bitop2_b32 v55, v55, v51 bitop3:0x14
	v_not_b32_e32 v54, v54
	s_delay_alu instid0(VALU_DEP_1) | instskip(NEXT) | instid1(VALU_DEP_1)
	v_xor_b32_e32 v54, v54, v50
	v_cmp_ne_u64_e32 vcc_lo, s[42:43], v[54:55]
	v_cndmask_b32_e32 v55, 0x7fffffff, v55, vcc_lo
	v_cndmask_b32_e32 v54, -1, v54, vcc_lo
	s_delay_alu instid0(VALU_DEP_1) | instskip(NEXT) | instid1(VALU_DEP_1)
	v_lshrrev_b64 v[54:55], s54, v[54:55]
	v_and_b32_e32 v54, s59, v54
	s_delay_alu instid0(VALU_DEP_1) | instskip(SKIP_2) | instid1(SALU_CYCLE_1)
	v_lshl_or_b32 v54, v54, 4, v113
	ds_add_u32 v54, v125
	s_or_b32 exec_lo, exec_lo, s9
	s_mov_b32 s9, exec_lo
	v_cmpx_gt_u32_e64 s8, v99
	s_cbranch_execz .LBB1142_45
.LBB1142_60:                            ;   in Loop: Header=BB1142_21 Depth=2
	v_cmp_gt_i64_e32 vcc_lo, 0, v[48:49]
	v_cndmask_b32_e64 v55, 0x7fffffff, 0, vcc_lo
	s_delay_alu instid0(VALU_DEP_1) | instskip(NEXT) | instid1(VALU_DEP_1)
	v_dual_ashrrev_i32 v54, 31, v49 :: v_dual_bitop2_b32 v55, v55, v49 bitop3:0x14
	v_not_b32_e32 v54, v54
	s_delay_alu instid0(VALU_DEP_1) | instskip(NEXT) | instid1(VALU_DEP_1)
	v_xor_b32_e32 v54, v54, v48
	v_cmp_ne_u64_e32 vcc_lo, s[42:43], v[54:55]
	v_cndmask_b32_e32 v55, 0x7fffffff, v55, vcc_lo
	v_cndmask_b32_e32 v54, -1, v54, vcc_lo
	s_delay_alu instid0(VALU_DEP_1) | instskip(NEXT) | instid1(VALU_DEP_1)
	v_lshrrev_b64 v[54:55], s54, v[54:55]
	v_and_b32_e32 v54, s59, v54
	s_delay_alu instid0(VALU_DEP_1) | instskip(SKIP_2) | instid1(SALU_CYCLE_1)
	v_lshl_or_b32 v54, v54, 4, v113
	ds_add_u32 v54, v125
	s_or_b32 exec_lo, exec_lo, s9
	s_mov_b32 s9, exec_lo
	v_cmpx_gt_u32_e64 s8, v100
	s_cbranch_execz .LBB1142_46
.LBB1142_61:                            ;   in Loop: Header=BB1142_21 Depth=2
	v_cmp_gt_i64_e32 vcc_lo, 0, v[46:47]
	v_cndmask_b32_e64 v55, 0x7fffffff, 0, vcc_lo
	s_delay_alu instid0(VALU_DEP_1) | instskip(NEXT) | instid1(VALU_DEP_1)
	v_dual_ashrrev_i32 v54, 31, v47 :: v_dual_bitop2_b32 v55, v55, v47 bitop3:0x14
	v_not_b32_e32 v54, v54
	s_delay_alu instid0(VALU_DEP_1) | instskip(NEXT) | instid1(VALU_DEP_1)
	v_xor_b32_e32 v54, v54, v46
	v_cmp_ne_u64_e32 vcc_lo, s[42:43], v[54:55]
	v_cndmask_b32_e32 v55, 0x7fffffff, v55, vcc_lo
	v_cndmask_b32_e32 v54, -1, v54, vcc_lo
	s_delay_alu instid0(VALU_DEP_1) | instskip(NEXT) | instid1(VALU_DEP_1)
	v_lshrrev_b64 v[54:55], s54, v[54:55]
	v_and_b32_e32 v54, s59, v54
	s_delay_alu instid0(VALU_DEP_1) | instskip(SKIP_2) | instid1(SALU_CYCLE_1)
	v_lshl_or_b32 v54, v54, 4, v113
	ds_add_u32 v54, v125
	s_or_b32 exec_lo, exec_lo, s9
	s_mov_b32 s9, exec_lo
	v_cmpx_gt_u32_e64 s8, v101
	s_cbranch_execz .LBB1142_47
.LBB1142_62:                            ;   in Loop: Header=BB1142_21 Depth=2
	v_cmp_gt_i64_e32 vcc_lo, 0, v[44:45]
	v_cndmask_b32_e64 v55, 0x7fffffff, 0, vcc_lo
	s_delay_alu instid0(VALU_DEP_1) | instskip(NEXT) | instid1(VALU_DEP_1)
	v_dual_ashrrev_i32 v54, 31, v45 :: v_dual_bitop2_b32 v55, v55, v45 bitop3:0x14
	v_not_b32_e32 v54, v54
	s_delay_alu instid0(VALU_DEP_1) | instskip(NEXT) | instid1(VALU_DEP_1)
	v_xor_b32_e32 v54, v54, v44
	v_cmp_ne_u64_e32 vcc_lo, s[42:43], v[54:55]
	v_cndmask_b32_e32 v55, 0x7fffffff, v55, vcc_lo
	v_cndmask_b32_e32 v54, -1, v54, vcc_lo
	s_delay_alu instid0(VALU_DEP_1) | instskip(NEXT) | instid1(VALU_DEP_1)
	v_lshrrev_b64 v[54:55], s54, v[54:55]
	v_and_b32_e32 v54, s59, v54
	s_delay_alu instid0(VALU_DEP_1) | instskip(SKIP_2) | instid1(SALU_CYCLE_1)
	v_lshl_or_b32 v54, v54, 4, v113
	ds_add_u32 v54, v125
	s_or_b32 exec_lo, exec_lo, s9
	s_mov_b32 s9, exec_lo
	v_cmpx_gt_u32_e64 s8, v102
	s_cbranch_execz .LBB1142_48
.LBB1142_63:                            ;   in Loop: Header=BB1142_21 Depth=2
	v_cmp_gt_i64_e32 vcc_lo, 0, v[42:43]
	v_cndmask_b32_e64 v55, 0x7fffffff, 0, vcc_lo
	s_delay_alu instid0(VALU_DEP_1) | instskip(NEXT) | instid1(VALU_DEP_1)
	v_dual_ashrrev_i32 v54, 31, v43 :: v_dual_bitop2_b32 v55, v55, v43 bitop3:0x14
	v_not_b32_e32 v54, v54
	s_delay_alu instid0(VALU_DEP_1) | instskip(NEXT) | instid1(VALU_DEP_1)
	v_xor_b32_e32 v54, v54, v42
	v_cmp_ne_u64_e32 vcc_lo, s[42:43], v[54:55]
	v_cndmask_b32_e32 v55, 0x7fffffff, v55, vcc_lo
	v_cndmask_b32_e32 v54, -1, v54, vcc_lo
	s_delay_alu instid0(VALU_DEP_1) | instskip(NEXT) | instid1(VALU_DEP_1)
	v_lshrrev_b64 v[54:55], s54, v[54:55]
	v_and_b32_e32 v54, s59, v54
	s_delay_alu instid0(VALU_DEP_1) | instskip(SKIP_2) | instid1(SALU_CYCLE_1)
	v_lshl_or_b32 v54, v54, 4, v113
	ds_add_u32 v54, v125
	s_or_b32 exec_lo, exec_lo, s9
	s_mov_b32 s9, exec_lo
	v_cmpx_gt_u32_e64 s8, v103
	s_cbranch_execz .LBB1142_49
.LBB1142_64:                            ;   in Loop: Header=BB1142_21 Depth=2
	v_cmp_gt_i64_e32 vcc_lo, 0, v[40:41]
	v_cndmask_b32_e64 v55, 0x7fffffff, 0, vcc_lo
	s_delay_alu instid0(VALU_DEP_1) | instskip(NEXT) | instid1(VALU_DEP_1)
	v_dual_ashrrev_i32 v54, 31, v41 :: v_dual_bitop2_b32 v55, v55, v41 bitop3:0x14
	v_not_b32_e32 v54, v54
	s_delay_alu instid0(VALU_DEP_1) | instskip(NEXT) | instid1(VALU_DEP_1)
	v_xor_b32_e32 v54, v54, v40
	v_cmp_ne_u64_e32 vcc_lo, s[42:43], v[54:55]
	v_cndmask_b32_e32 v55, 0x7fffffff, v55, vcc_lo
	v_cndmask_b32_e32 v54, -1, v54, vcc_lo
	s_delay_alu instid0(VALU_DEP_1) | instskip(NEXT) | instid1(VALU_DEP_1)
	v_lshrrev_b64 v[54:55], s54, v[54:55]
	v_and_b32_e32 v54, s59, v54
	s_delay_alu instid0(VALU_DEP_1) | instskip(SKIP_2) | instid1(SALU_CYCLE_1)
	v_lshl_or_b32 v54, v54, 4, v113
	ds_add_u32 v54, v125
	s_or_b32 exec_lo, exec_lo, s9
	s_mov_b32 s9, exec_lo
	v_cmpx_gt_u32_e64 s8, v104
	s_cbranch_execz .LBB1142_50
.LBB1142_65:                            ;   in Loop: Header=BB1142_21 Depth=2
	v_cmp_gt_i64_e32 vcc_lo, 0, v[38:39]
	v_cndmask_b32_e64 v55, 0x7fffffff, 0, vcc_lo
	s_delay_alu instid0(VALU_DEP_1) | instskip(NEXT) | instid1(VALU_DEP_1)
	v_dual_ashrrev_i32 v54, 31, v39 :: v_dual_bitop2_b32 v55, v55, v39 bitop3:0x14
	v_not_b32_e32 v54, v54
	s_delay_alu instid0(VALU_DEP_1) | instskip(NEXT) | instid1(VALU_DEP_1)
	v_xor_b32_e32 v54, v54, v38
	v_cmp_ne_u64_e32 vcc_lo, s[42:43], v[54:55]
	v_cndmask_b32_e32 v55, 0x7fffffff, v55, vcc_lo
	v_cndmask_b32_e32 v54, -1, v54, vcc_lo
	s_delay_alu instid0(VALU_DEP_1) | instskip(NEXT) | instid1(VALU_DEP_1)
	v_lshrrev_b64 v[54:55], s54, v[54:55]
	v_and_b32_e32 v54, s59, v54
	s_delay_alu instid0(VALU_DEP_1) | instskip(SKIP_2) | instid1(SALU_CYCLE_1)
	v_lshl_or_b32 v54, v54, 4, v113
	ds_add_u32 v54, v125
	s_or_b32 exec_lo, exec_lo, s9
	s_mov_b32 s9, exec_lo
	v_cmpx_gt_u32_e64 s8, v105
	s_cbranch_execz .LBB1142_51
.LBB1142_66:                            ;   in Loop: Header=BB1142_21 Depth=2
	v_cmp_gt_i64_e32 vcc_lo, 0, v[36:37]
	v_cndmask_b32_e64 v55, 0x7fffffff, 0, vcc_lo
	s_delay_alu instid0(VALU_DEP_1) | instskip(NEXT) | instid1(VALU_DEP_1)
	v_dual_ashrrev_i32 v54, 31, v37 :: v_dual_bitop2_b32 v55, v55, v37 bitop3:0x14
	v_not_b32_e32 v54, v54
	s_delay_alu instid0(VALU_DEP_1) | instskip(NEXT) | instid1(VALU_DEP_1)
	v_xor_b32_e32 v54, v54, v36
	v_cmp_ne_u64_e32 vcc_lo, s[42:43], v[54:55]
	v_cndmask_b32_e32 v55, 0x7fffffff, v55, vcc_lo
	v_cndmask_b32_e32 v54, -1, v54, vcc_lo
	s_delay_alu instid0(VALU_DEP_1) | instskip(NEXT) | instid1(VALU_DEP_1)
	v_lshrrev_b64 v[54:55], s54, v[54:55]
	v_and_b32_e32 v54, s59, v54
	s_delay_alu instid0(VALU_DEP_1) | instskip(SKIP_2) | instid1(SALU_CYCLE_1)
	v_lshl_or_b32 v54, v54, 4, v113
	ds_add_u32 v54, v125
	s_or_b32 exec_lo, exec_lo, s9
	s_mov_b32 s9, exec_lo
	v_cmpx_gt_u32_e64 s8, v106
	s_cbranch_execz .LBB1142_52
.LBB1142_67:                            ;   in Loop: Header=BB1142_21 Depth=2
	v_cmp_gt_i64_e32 vcc_lo, 0, v[34:35]
	v_cndmask_b32_e64 v55, 0x7fffffff, 0, vcc_lo
	s_delay_alu instid0(VALU_DEP_1) | instskip(NEXT) | instid1(VALU_DEP_1)
	v_dual_ashrrev_i32 v54, 31, v35 :: v_dual_bitop2_b32 v55, v55, v35 bitop3:0x14
	v_not_b32_e32 v54, v54
	s_delay_alu instid0(VALU_DEP_1) | instskip(NEXT) | instid1(VALU_DEP_1)
	v_xor_b32_e32 v54, v54, v34
	v_cmp_ne_u64_e32 vcc_lo, s[42:43], v[54:55]
	v_cndmask_b32_e32 v55, 0x7fffffff, v55, vcc_lo
	v_cndmask_b32_e32 v54, -1, v54, vcc_lo
	s_delay_alu instid0(VALU_DEP_1) | instskip(NEXT) | instid1(VALU_DEP_1)
	v_lshrrev_b64 v[54:55], s54, v[54:55]
	v_and_b32_e32 v54, s59, v54
	s_delay_alu instid0(VALU_DEP_1) | instskip(SKIP_2) | instid1(SALU_CYCLE_1)
	v_lshl_or_b32 v54, v54, 4, v113
	ds_add_u32 v54, v125
	s_or_b32 exec_lo, exec_lo, s9
	s_mov_b32 s9, exec_lo
	v_cmpx_gt_u32_e64 s8, v107
	s_cbranch_execz .LBB1142_53
.LBB1142_68:                            ;   in Loop: Header=BB1142_21 Depth=2
	v_cmp_gt_i64_e32 vcc_lo, 0, v[32:33]
	v_cndmask_b32_e64 v55, 0x7fffffff, 0, vcc_lo
	s_delay_alu instid0(VALU_DEP_1) | instskip(NEXT) | instid1(VALU_DEP_1)
	v_dual_ashrrev_i32 v54, 31, v33 :: v_dual_bitop2_b32 v55, v55, v33 bitop3:0x14
	v_not_b32_e32 v54, v54
	s_delay_alu instid0(VALU_DEP_1) | instskip(NEXT) | instid1(VALU_DEP_1)
	v_xor_b32_e32 v54, v54, v32
	v_cmp_ne_u64_e32 vcc_lo, s[42:43], v[54:55]
	v_cndmask_b32_e32 v55, 0x7fffffff, v55, vcc_lo
	v_cndmask_b32_e32 v54, -1, v54, vcc_lo
	s_delay_alu instid0(VALU_DEP_1) | instskip(NEXT) | instid1(VALU_DEP_1)
	v_lshrrev_b64 v[54:55], s54, v[54:55]
	v_and_b32_e32 v54, s59, v54
	s_delay_alu instid0(VALU_DEP_1) | instskip(SKIP_2) | instid1(SALU_CYCLE_1)
	v_lshl_or_b32 v54, v54, 4, v113
	ds_add_u32 v54, v125
	s_or_b32 exec_lo, exec_lo, s9
	s_mov_b32 s9, exec_lo
	v_cmpx_gt_u32_e64 s8, v108
	s_cbranch_execz .LBB1142_54
.LBB1142_69:                            ;   in Loop: Header=BB1142_21 Depth=2
	v_cmp_gt_i64_e32 vcc_lo, 0, v[30:31]
	v_cndmask_b32_e64 v55, 0x7fffffff, 0, vcc_lo
	s_delay_alu instid0(VALU_DEP_1) | instskip(NEXT) | instid1(VALU_DEP_1)
	v_dual_ashrrev_i32 v54, 31, v31 :: v_dual_bitop2_b32 v55, v55, v31 bitop3:0x14
	v_not_b32_e32 v54, v54
	s_delay_alu instid0(VALU_DEP_1) | instskip(NEXT) | instid1(VALU_DEP_1)
	v_xor_b32_e32 v54, v54, v30
	v_cmp_ne_u64_e32 vcc_lo, s[42:43], v[54:55]
	v_cndmask_b32_e32 v55, 0x7fffffff, v55, vcc_lo
	v_cndmask_b32_e32 v54, -1, v54, vcc_lo
	s_delay_alu instid0(VALU_DEP_1) | instskip(NEXT) | instid1(VALU_DEP_1)
	v_lshrrev_b64 v[54:55], s54, v[54:55]
	v_and_b32_e32 v54, s59, v54
	s_delay_alu instid0(VALU_DEP_1) | instskip(SKIP_2) | instid1(SALU_CYCLE_1)
	v_lshl_or_b32 v54, v54, 4, v113
	ds_add_u32 v54, v125
	s_or_b32 exec_lo, exec_lo, s9
	s_mov_b32 s9, exec_lo
	v_cmpx_gt_u32_e64 s8, v109
	s_cbranch_execz .LBB1142_55
.LBB1142_70:                            ;   in Loop: Header=BB1142_21 Depth=2
	v_cmp_gt_i64_e32 vcc_lo, 0, v[28:29]
	v_cndmask_b32_e64 v55, 0x7fffffff, 0, vcc_lo
	s_delay_alu instid0(VALU_DEP_1) | instskip(NEXT) | instid1(VALU_DEP_1)
	v_dual_ashrrev_i32 v54, 31, v29 :: v_dual_bitop2_b32 v55, v55, v29 bitop3:0x14
	v_not_b32_e32 v54, v54
	s_delay_alu instid0(VALU_DEP_1) | instskip(NEXT) | instid1(VALU_DEP_1)
	v_xor_b32_e32 v54, v54, v28
	v_cmp_ne_u64_e32 vcc_lo, s[42:43], v[54:55]
	v_cndmask_b32_e32 v55, 0x7fffffff, v55, vcc_lo
	v_cndmask_b32_e32 v54, -1, v54, vcc_lo
	s_delay_alu instid0(VALU_DEP_1) | instskip(NEXT) | instid1(VALU_DEP_1)
	v_lshrrev_b64 v[54:55], s54, v[54:55]
	v_and_b32_e32 v54, s59, v54
	s_delay_alu instid0(VALU_DEP_1) | instskip(SKIP_2) | instid1(SALU_CYCLE_1)
	v_lshl_or_b32 v54, v54, 4, v113
	ds_add_u32 v54, v125
	s_or_b32 exec_lo, exec_lo, s9
	s_mov_b32 s9, exec_lo
	v_cmpx_gt_u32_e64 s8, v110
	s_cbranch_execz .LBB1142_56
.LBB1142_71:                            ;   in Loop: Header=BB1142_21 Depth=2
	v_cmp_gt_i64_e32 vcc_lo, 0, v[26:27]
	v_cndmask_b32_e64 v55, 0x7fffffff, 0, vcc_lo
	s_delay_alu instid0(VALU_DEP_1) | instskip(NEXT) | instid1(VALU_DEP_1)
	v_dual_ashrrev_i32 v54, 31, v27 :: v_dual_bitop2_b32 v55, v55, v27 bitop3:0x14
	v_not_b32_e32 v54, v54
	s_delay_alu instid0(VALU_DEP_1) | instskip(NEXT) | instid1(VALU_DEP_1)
	v_xor_b32_e32 v54, v54, v26
	v_cmp_ne_u64_e32 vcc_lo, s[42:43], v[54:55]
	v_cndmask_b32_e32 v55, 0x7fffffff, v55, vcc_lo
	v_cndmask_b32_e32 v54, -1, v54, vcc_lo
	s_delay_alu instid0(VALU_DEP_1) | instskip(NEXT) | instid1(VALU_DEP_1)
	v_lshrrev_b64 v[54:55], s54, v[54:55]
	v_and_b32_e32 v54, s59, v54
	s_delay_alu instid0(VALU_DEP_1) | instskip(SKIP_2) | instid1(SALU_CYCLE_1)
	v_lshl_or_b32 v54, v54, 4, v113
	ds_add_u32 v54, v125
	s_or_b32 exec_lo, exec_lo, s9
	s_mov_b32 s9, exec_lo
	v_cmpx_gt_u32_e64 s8, v111
	s_cbranch_execz .LBB1142_57
.LBB1142_72:                            ;   in Loop: Header=BB1142_21 Depth=2
	v_cmp_gt_i64_e32 vcc_lo, 0, v[24:25]
	v_cndmask_b32_e64 v55, 0x7fffffff, 0, vcc_lo
	s_delay_alu instid0(VALU_DEP_1) | instskip(NEXT) | instid1(VALU_DEP_1)
	v_dual_ashrrev_i32 v54, 31, v25 :: v_dual_bitop2_b32 v55, v55, v25 bitop3:0x14
	v_not_b32_e32 v54, v54
	s_delay_alu instid0(VALU_DEP_1) | instskip(NEXT) | instid1(VALU_DEP_1)
	v_xor_b32_e32 v54, v54, v24
	v_cmp_ne_u64_e32 vcc_lo, s[42:43], v[54:55]
	v_cndmask_b32_e32 v55, 0x7fffffff, v55, vcc_lo
	v_cndmask_b32_e32 v54, -1, v54, vcc_lo
	s_delay_alu instid0(VALU_DEP_1) | instskip(NEXT) | instid1(VALU_DEP_1)
	v_lshrrev_b64 v[54:55], s54, v[54:55]
	v_and_b32_e32 v54, s59, v54
	s_delay_alu instid0(VALU_DEP_1)
	v_lshl_or_b32 v54, v54, 4, v113
	ds_add_u32 v54, v125
	s_or_b32 exec_lo, exec_lo, s9
	v_cmp_gt_u32_e32 vcc_lo, s8, v112
	s_and_saveexec_b32 s8, vcc_lo
	s_cbranch_execz .LBB1142_20
.LBB1142_73:                            ;   in Loop: Header=BB1142_21 Depth=2
	v_cmp_gt_i64_e32 vcc_lo, 0, v[22:23]
	v_cndmask_b32_e64 v55, 0x7fffffff, 0, vcc_lo
	s_delay_alu instid0(VALU_DEP_1) | instskip(NEXT) | instid1(VALU_DEP_1)
	v_dual_ashrrev_i32 v54, 31, v23 :: v_dual_bitop2_b32 v55, v55, v23 bitop3:0x14
	v_not_b32_e32 v54, v54
	s_delay_alu instid0(VALU_DEP_1) | instskip(NEXT) | instid1(VALU_DEP_1)
	v_xor_b32_e32 v54, v54, v22
	v_cmp_ne_u64_e32 vcc_lo, s[42:43], v[54:55]
	v_cndmask_b32_e32 v55, 0x7fffffff, v55, vcc_lo
	v_cndmask_b32_e32 v54, -1, v54, vcc_lo
	s_delay_alu instid0(VALU_DEP_1) | instskip(NEXT) | instid1(VALU_DEP_1)
	v_lshrrev_b64 v[54:55], s54, v[54:55]
	v_and_b32_e32 v54, s59, v54
	s_delay_alu instid0(VALU_DEP_1)
	v_lshl_or_b32 v54, v54, 4, v113
	ds_add_u32 v54, v125
	s_branch .LBB1142_20
.LBB1142_74:                            ;   in Loop: Header=BB1142_21 Depth=2
	global_load_b64 v[52:53], v2, s[8:9] scale_offset
	s_wait_xcnt 0x0
	s_or_b32 exec_lo, exec_lo, s11
	s_delay_alu instid0(SALU_CYCLE_1)
	s_mov_b32 s11, exec_lo
	v_cmpx_gt_u32_e64 s7, v98
	s_cbranch_execz .LBB1142_26
.LBB1142_75:                            ;   in Loop: Header=BB1142_21 Depth=2
	global_load_b64 v[50:51], v2, s[8:9] offset:2048 scale_offset
	s_wait_xcnt 0x0
	s_or_b32 exec_lo, exec_lo, s11
	s_delay_alu instid0(SALU_CYCLE_1)
	s_mov_b32 s11, exec_lo
	v_cmpx_gt_u32_e64 s7, v99
	s_cbranch_execz .LBB1142_27
.LBB1142_76:                            ;   in Loop: Header=BB1142_21 Depth=2
	global_load_b64 v[48:49], v2, s[8:9] offset:4096 scale_offset
	s_wait_xcnt 0x0
	s_or_b32 exec_lo, exec_lo, s11
	s_delay_alu instid0(SALU_CYCLE_1)
	s_mov_b32 s11, exec_lo
	v_cmpx_gt_u32_e64 s7, v100
	s_cbranch_execz .LBB1142_28
.LBB1142_77:                            ;   in Loop: Header=BB1142_21 Depth=2
	global_load_b64 v[46:47], v2, s[8:9] offset:6144 scale_offset
	s_wait_xcnt 0x0
	s_or_b32 exec_lo, exec_lo, s11
	s_delay_alu instid0(SALU_CYCLE_1)
	s_mov_b32 s11, exec_lo
	v_cmpx_gt_u32_e64 s7, v101
	s_cbranch_execz .LBB1142_29
.LBB1142_78:                            ;   in Loop: Header=BB1142_21 Depth=2
	global_load_b64 v[44:45], v2, s[8:9] offset:8192 scale_offset
	s_wait_xcnt 0x0
	s_or_b32 exec_lo, exec_lo, s11
	s_delay_alu instid0(SALU_CYCLE_1)
	s_mov_b32 s11, exec_lo
	v_cmpx_gt_u32_e64 s7, v102
	s_cbranch_execz .LBB1142_30
.LBB1142_79:                            ;   in Loop: Header=BB1142_21 Depth=2
	global_load_b64 v[42:43], v2, s[8:9] offset:10240 scale_offset
	s_wait_xcnt 0x0
	s_or_b32 exec_lo, exec_lo, s11
	s_delay_alu instid0(SALU_CYCLE_1)
	s_mov_b32 s11, exec_lo
	v_cmpx_gt_u32_e64 s7, v103
	s_cbranch_execz .LBB1142_31
.LBB1142_80:                            ;   in Loop: Header=BB1142_21 Depth=2
	global_load_b64 v[40:41], v2, s[8:9] offset:12288 scale_offset
	s_wait_xcnt 0x0
	s_or_b32 exec_lo, exec_lo, s11
	s_delay_alu instid0(SALU_CYCLE_1)
	s_mov_b32 s11, exec_lo
	v_cmpx_gt_u32_e64 s7, v104
	s_cbranch_execz .LBB1142_32
.LBB1142_81:                            ;   in Loop: Header=BB1142_21 Depth=2
	global_load_b64 v[38:39], v2, s[8:9] offset:14336 scale_offset
	s_wait_xcnt 0x0
	s_or_b32 exec_lo, exec_lo, s11
	s_delay_alu instid0(SALU_CYCLE_1)
	s_mov_b32 s11, exec_lo
	v_cmpx_gt_u32_e64 s7, v105
	s_cbranch_execz .LBB1142_33
.LBB1142_82:                            ;   in Loop: Header=BB1142_21 Depth=2
	global_load_b64 v[36:37], v2, s[8:9] offset:16384 scale_offset
	s_wait_xcnt 0x0
	s_or_b32 exec_lo, exec_lo, s11
	s_delay_alu instid0(SALU_CYCLE_1)
	s_mov_b32 s11, exec_lo
	v_cmpx_gt_u32_e64 s7, v106
	s_cbranch_execz .LBB1142_34
.LBB1142_83:                            ;   in Loop: Header=BB1142_21 Depth=2
	global_load_b64 v[34:35], v2, s[8:9] offset:18432 scale_offset
	s_wait_xcnt 0x0
	s_or_b32 exec_lo, exec_lo, s11
	s_delay_alu instid0(SALU_CYCLE_1)
	s_mov_b32 s11, exec_lo
	v_cmpx_gt_u32_e64 s7, v107
	s_cbranch_execz .LBB1142_35
.LBB1142_84:                            ;   in Loop: Header=BB1142_21 Depth=2
	global_load_b64 v[32:33], v2, s[8:9] offset:20480 scale_offset
	s_wait_xcnt 0x0
	s_or_b32 exec_lo, exec_lo, s11
	s_delay_alu instid0(SALU_CYCLE_1)
	s_mov_b32 s11, exec_lo
	v_cmpx_gt_u32_e64 s7, v108
	s_cbranch_execz .LBB1142_36
.LBB1142_85:                            ;   in Loop: Header=BB1142_21 Depth=2
	global_load_b64 v[30:31], v2, s[8:9] offset:22528 scale_offset
	s_wait_xcnt 0x0
	s_or_b32 exec_lo, exec_lo, s11
	s_delay_alu instid0(SALU_CYCLE_1)
	s_mov_b32 s11, exec_lo
	v_cmpx_gt_u32_e64 s7, v109
	s_cbranch_execz .LBB1142_37
.LBB1142_86:                            ;   in Loop: Header=BB1142_21 Depth=2
	global_load_b64 v[28:29], v2, s[8:9] offset:24576 scale_offset
	s_wait_xcnt 0x0
	s_or_b32 exec_lo, exec_lo, s11
	s_delay_alu instid0(SALU_CYCLE_1)
	s_mov_b32 s11, exec_lo
	v_cmpx_gt_u32_e64 s7, v110
	s_cbranch_execz .LBB1142_38
.LBB1142_87:                            ;   in Loop: Header=BB1142_21 Depth=2
	global_load_b64 v[26:27], v2, s[8:9] offset:26624 scale_offset
	s_wait_xcnt 0x0
	s_or_b32 exec_lo, exec_lo, s11
	s_delay_alu instid0(SALU_CYCLE_1)
	s_mov_b32 s11, exec_lo
	v_cmpx_gt_u32_e64 s7, v111
	s_cbranch_execz .LBB1142_39
.LBB1142_88:                            ;   in Loop: Header=BB1142_21 Depth=2
	global_load_b64 v[24:25], v2, s[8:9] offset:28672 scale_offset
	s_wait_xcnt 0x0
	s_or_b32 exec_lo, exec_lo, s11
	s_delay_alu instid0(SALU_CYCLE_1)
	s_mov_b32 s11, exec_lo
	v_cmpx_gt_u32_e64 s7, v112
	s_cbranch_execnz .LBB1142_40
	s_branch .LBB1142_41
.LBB1142_89:                            ;   in Loop: Header=BB1142_17 Depth=1
	v_mov_b32_e32 v22, 0
	s_wait_dscnt 0x0
	s_barrier_signal -1
	s_barrier_wait -1
	s_and_saveexec_b32 s7, s0
	s_cbranch_execz .LBB1142_91
; %bb.90:                               ;   in Loop: Header=BB1142_17 Depth=1
	ds_load_2addr_b64 v[22:25], v115 offset1:1
	s_wait_dscnt 0x0
	v_add_nc_u32_e32 v22, v23, v22
	s_delay_alu instid0(VALU_DEP_1)
	v_add3_u32 v22, v22, v24, v25
.LBB1142_91:                            ;   in Loop: Header=BB1142_17 Depth=1
	s_or_b32 exec_lo, exec_lo, s7
	s_delay_alu instid0(VALU_DEP_1)
	v_mov_b32_dpp v23, v22 row_shr:1 row_mask:0xf bank_mask:0xf
	v_cmp_eq_u32_e64 s7, 0, v126
	v_cmp_lt_u32_e64 s8, 1, v126
	v_cmp_lt_u32_e64 s9, 3, v126
	;; [unrolled: 1-line block ×3, first 2 shown]
	v_cmp_eq_u32_e64 s11, 0, v128
	v_cndmask_b32_e64 v23, v23, 0, s7
	s_delay_alu instid0(VALU_DEP_1) | instskip(NEXT) | instid1(VALU_DEP_1)
	v_add_nc_u32_e32 v22, v23, v22
	v_mov_b32_dpp v23, v22 row_shr:2 row_mask:0xf bank_mask:0xf
	s_delay_alu instid0(VALU_DEP_1) | instskip(NEXT) | instid1(VALU_DEP_1)
	v_cndmask_b32_e64 v23, 0, v23, s8
	v_add_nc_u32_e32 v22, v22, v23
	s_delay_alu instid0(VALU_DEP_1) | instskip(NEXT) | instid1(VALU_DEP_1)
	v_mov_b32_dpp v23, v22 row_shr:4 row_mask:0xf bank_mask:0xf
	v_cndmask_b32_e64 v23, 0, v23, s9
	s_delay_alu instid0(VALU_DEP_1) | instskip(NEXT) | instid1(VALU_DEP_1)
	v_add_nc_u32_e32 v22, v22, v23
	v_mov_b32_dpp v23, v22 row_shr:8 row_mask:0xf bank_mask:0xf
	s_delay_alu instid0(VALU_DEP_1) | instskip(NEXT) | instid1(VALU_DEP_1)
	v_cndmask_b32_e64 v23, 0, v23, s10
	v_add_nc_u32_e32 v22, v22, v23
	ds_swizzle_b32 v23, v22 offset:swizzle(BROADCAST,32,15)
	s_wait_dscnt 0x0
	v_and_b32_e32 v23, v127, v23
	s_delay_alu instid0(VALU_DEP_1)
	v_add_nc_u32_e32 v22, v22, v23
	s_and_saveexec_b32 s12, s1
; %bb.92:                               ;   in Loop: Header=BB1142_17 Depth=1
	ds_store_b32 v116, v22
; %bb.93:                               ;   in Loop: Header=BB1142_17 Depth=1
	s_or_b32 exec_lo, exec_lo, s12
	s_wait_dscnt 0x0
	s_barrier_signal -1
	s_barrier_wait -1
	s_and_saveexec_b32 s12, s4
	s_cbranch_execz .LBB1142_95
; %bb.94:                               ;   in Loop: Header=BB1142_17 Depth=1
	ds_load_b32 v23, v117
	v_cmp_ne_u32_e32 vcc_lo, 0, v130
	s_wait_dscnt 0x0
	v_mov_b32_dpp v24, v23 row_shr:1 row_mask:0xf bank_mask:0xf
	s_delay_alu instid0(VALU_DEP_1) | instskip(SKIP_1) | instid1(VALU_DEP_2)
	v_cndmask_b32_e32 v24, 0, v24, vcc_lo
	v_cmp_lt_u32_e32 vcc_lo, 1, v130
	v_add_nc_u32_e32 v23, v24, v23
	s_delay_alu instid0(VALU_DEP_1) | instskip(NEXT) | instid1(VALU_DEP_1)
	v_mov_b32_dpp v24, v23 row_shr:2 row_mask:0xf bank_mask:0xf
	v_cndmask_b32_e32 v24, 0, v24, vcc_lo
	v_cmp_lt_u32_e32 vcc_lo, 3, v130
	s_delay_alu instid0(VALU_DEP_2) | instskip(NEXT) | instid1(VALU_DEP_1)
	v_add_nc_u32_e32 v23, v23, v24
	v_mov_b32_dpp v24, v23 row_shr:4 row_mask:0xf bank_mask:0xf
	s_delay_alu instid0(VALU_DEP_1) | instskip(NEXT) | instid1(VALU_DEP_1)
	v_cndmask_b32_e32 v24, 0, v24, vcc_lo
	v_add_nc_u32_e32 v23, v23, v24
	ds_store_b32 v117, v23
.LBB1142_95:                            ;   in Loop: Header=BB1142_17 Depth=1
	s_or_b32 exec_lo, exec_lo, s12
	v_mov_b32_e32 v23, 0
	s_wait_dscnt 0x0
	s_barrier_signal -1
	s_barrier_wait -1
	s_and_saveexec_b32 s12, s5
; %bb.96:                               ;   in Loop: Header=BB1142_17 Depth=1
	ds_load_b32 v23, v118
; %bb.97:                               ;   in Loop: Header=BB1142_17 Depth=1
	s_or_b32 exec_lo, exec_lo, s12
	v_cmp_gt_i32_e32 vcc_lo, 0, v131
	s_wait_dscnt 0x0
	s_barrier_signal -1
	s_barrier_wait -1
	v_cndmask_b32_e32 v24, v131, v124, vcc_lo
	s_delay_alu instid0(VALU_DEP_1)
	v_dual_add_nc_u32 v22, v23, v22 :: v_dual_lshlrev_b32 v147, 2, v24
	ds_bpermute_b32 v22, v147, v22
	s_and_saveexec_b32 s12, s0
	s_cbranch_execz .LBB1142_99
; %bb.98:                               ;   in Loop: Header=BB1142_17 Depth=1
	s_wait_dscnt 0x0
	v_cndmask_b32_e64 v22, v22, v23, s6
	s_delay_alu instid0(VALU_DEP_1)
	v_add_nc_u32_e32 v22, s56, v22
	ds_store_b32 v3, v22
.LBB1142_99:                            ;   in Loop: Header=BB1142_17 Depth=1
	s_or_b32 exec_lo, exec_lo, s12
	s_clause 0x1
	s_load_b32 s12, s[52:53], 0x4
	s_load_b32 s14, s[52:53], 0xc
	v_add_nc_u64_e32 v[24:25], v[8:9], v[4:5]
	s_mov_b32 s60, s58
                                        ; implicit-def: $vgpr28_vgpr29
                                        ; implicit-def: $vgpr30_vgpr31
                                        ; implicit-def: $vgpr32_vgpr33
                                        ; implicit-def: $vgpr34_vgpr35
                                        ; implicit-def: $vgpr36_vgpr37
                                        ; implicit-def: $vgpr38_vgpr39
                                        ; implicit-def: $vgpr40_vgpr41
                                        ; implicit-def: $vgpr42_vgpr43
                                        ; implicit-def: $vgpr44_vgpr45
                                        ; implicit-def: $vgpr46_vgpr47
                                        ; implicit-def: $vgpr48_vgpr49
                                        ; implicit-def: $vgpr50_vgpr51
                                        ; implicit-def: $vgpr52_vgpr53
                                        ; implicit-def: $vgpr54_vgpr55
                                        ; implicit-def: $vgpr56_vgpr57
                                        ; implicit-def: $vgpr149
                                        ; implicit-def: $vgpr150
                                        ; implicit-def: $vgpr151
                                        ; implicit-def: $vgpr152
                                        ; implicit-def: $vgpr153
                                        ; implicit-def: $vgpr154
                                        ; implicit-def: $vgpr155
                                        ; implicit-def: $vgpr156
                                        ; implicit-def: $vgpr157
                                        ; implicit-def: $vgpr158
                                        ; implicit-def: $vgpr159
                                        ; implicit-def: $vgpr160
                                        ; implicit-def: $vgpr161
                                        ; implicit-def: $vgpr162
                                        ; implicit-def: $vgpr163
                                        ; implicit-def: $vgpr164
	s_wait_kmcnt 0x0
	s_cmp_lt_u32 s31, s12
	s_cselect_b32 s34, 14, 20
	s_delay_alu instid0(SALU_CYCLE_1)
	s_add_nc_u64 s[12:13], s[52:53], s[34:35]
	s_mov_b32 s34, s56
	s_load_u16 s12, s[12:13], 0x0
	s_wait_xcnt 0x0
	v_cmp_lt_u32_e64 s13, 1, v130
	s_wait_dscnt 0x0
	s_wait_kmcnt 0x0
	v_mad_u32_u24 v22, v119, s12, v121
	s_and_b32 s12, s14, 0xffff
	v_cmp_lt_u32_e64 s14, 3, v130
	s_delay_alu instid0(VALU_DEP_2) | instskip(SKIP_1) | instid1(VALU_DEP_2)
	v_mad_u32 v22, v22, s12, v2
	v_cmp_eq_u32_e64 s12, 0, v130
	v_lshrrev_b32_e32 v26, 3, v22
	v_add_nc_u64_e32 v[22:23], v[0:1], v[4:5]
	s_delay_alu instid0(VALU_DEP_2)
	v_and_b32_e32 v148, 0x1ffffffc, v26
                                        ; implicit-def: $vgpr26_vgpr27
	s_branch .LBB1142_101
.LBB1142_100:                           ;   in Loop: Header=BB1142_101 Depth=2
	s_or_b32 exec_lo, exec_lo, s15
	s_addk_co_i32 s60, 0xf000
	s_cmp_lt_u32 s61, s51
	s_mov_b32 s34, s61
	s_cbranch_scc0 .LBB1142_309
.LBB1142_101:                           ;   Parent Loop BB1142_17 Depth=1
                                        ; =>  This Inner Loop Header: Depth=2
	s_add_co_i32 s61, s34, 0x1000
	s_delay_alu instid0(SALU_CYCLE_1)
	s_cmp_gt_u32 s61, s51
	s_cbranch_scc1 .LBB1142_103
; %bb.102:                              ;   in Loop: Header=BB1142_101 Depth=2
	v_lshl_add_u64 v[66:67], s[34:35], 3, v[24:25]
	s_mov_b32 s15, -1
	s_clause 0xe
	global_load_b64 v[58:59], v[66:67], off
	global_load_b64 v[60:61], v[66:67], off offset:256
	global_load_b64 v[62:63], v[66:67], off offset:512
	;; [unrolled: 1-line block ×14, first 2 shown]
	s_movk_i32 s16, 0x1000
	s_cbranch_execz .LBB1142_104
	s_branch .LBB1142_135
.LBB1142_103:                           ;   in Loop: Header=BB1142_101 Depth=2
	s_mov_b32 s15, 0
                                        ; implicit-def: $vgpr58_vgpr59
                                        ; implicit-def: $vgpr60_vgpr61
                                        ; implicit-def: $vgpr62_vgpr63
                                        ; implicit-def: $vgpr70_vgpr71
                                        ; implicit-def: $vgpr74_vgpr75
                                        ; implicit-def: $vgpr78_vgpr79
                                        ; implicit-def: $vgpr82_vgpr83
                                        ; implicit-def: $vgpr86_vgpr87
                                        ; implicit-def: $vgpr88_vgpr89
                                        ; implicit-def: $vgpr84_vgpr85
                                        ; implicit-def: $vgpr80_vgpr81
                                        ; implicit-def: $vgpr76_vgpr77
                                        ; implicit-def: $vgpr72_vgpr73
                                        ; implicit-def: $vgpr68_vgpr69
                                        ; implicit-def: $vgpr64_vgpr65
	s_movk_i32 s16, 0x1000
.LBB1142_104:                           ;   in Loop: Header=BB1142_101 Depth=2
	s_wait_loadcnt 0xd
	v_mov_b64_e32 v[60:61], -1
	v_mov_b64_e32 v[58:59], -1
	s_wait_xcnt 0x0
	v_lshl_add_u64 v[66:67], s[34:35], 3, v[24:25]
	s_mov_b32 s15, exec_lo
	v_cmpx_gt_u32_e64 s60, v129
	s_cbranch_execz .LBB1142_106
; %bb.105:                              ;   in Loop: Header=BB1142_101 Depth=2
	global_load_b64 v[58:59], v[66:67], off
.LBB1142_106:                           ;   in Loop: Header=BB1142_101 Depth=2
	s_wait_xcnt 0x0
	s_or_b32 exec_lo, exec_lo, s15
	s_delay_alu instid0(SALU_CYCLE_1)
	s_mov_b32 s15, exec_lo
	v_cmpx_gt_u32_e64 s60, v132
	s_cbranch_execz .LBB1142_108
; %bb.107:                              ;   in Loop: Header=BB1142_101 Depth=2
	global_load_b64 v[60:61], v[66:67], off offset:256
.LBB1142_108:                           ;   in Loop: Header=BB1142_101 Depth=2
	s_wait_xcnt 0x0
	s_or_b32 exec_lo, exec_lo, s15
	s_wait_loadcnt 0xb
	v_mov_b64_e32 v[70:71], -1
	v_mov_b64_e32 v[62:63], -1
	s_mov_b32 s15, exec_lo
	v_cmpx_gt_u32_e64 s60, v133
	s_cbranch_execz .LBB1142_110
; %bb.109:                              ;   in Loop: Header=BB1142_101 Depth=2
	global_load_b64 v[62:63], v[66:67], off offset:512
.LBB1142_110:                           ;   in Loop: Header=BB1142_101 Depth=2
	s_wait_xcnt 0x0
	s_or_b32 exec_lo, exec_lo, s15
	s_delay_alu instid0(SALU_CYCLE_1)
	s_mov_b32 s15, exec_lo
	v_cmpx_gt_u32_e64 s60, v134
	s_cbranch_execz .LBB1142_112
; %bb.111:                              ;   in Loop: Header=BB1142_101 Depth=2
	global_load_b64 v[70:71], v[66:67], off offset:768
.LBB1142_112:                           ;   in Loop: Header=BB1142_101 Depth=2
	s_wait_xcnt 0x0
	s_or_b32 exec_lo, exec_lo, s15
	s_wait_loadcnt 0x9
	v_mov_b64_e32 v[78:79], -1
	v_mov_b64_e32 v[74:75], -1
	s_mov_b32 s15, exec_lo
	v_cmpx_gt_u32_e64 s60, v135
	s_cbranch_execz .LBB1142_114
; %bb.113:                              ;   in Loop: Header=BB1142_101 Depth=2
	global_load_b64 v[74:75], v[66:67], off offset:1024
.LBB1142_114:                           ;   in Loop: Header=BB1142_101 Depth=2
	;; [unrolled: 20-line block ×6, first 2 shown]
	s_wait_xcnt 0x0
	s_or_b32 exec_lo, exec_lo, s15
	s_delay_alu instid0(SALU_CYCLE_1)
	s_mov_b32 s15, exec_lo
	v_cmpx_gt_u32_e64 s60, v144
	s_cbranch_execz .LBB1142_132
; %bb.131:                              ;   in Loop: Header=BB1142_101 Depth=2
	global_load_b64 v[68:69], v[66:67], off offset:3328
.LBB1142_132:                           ;   in Loop: Header=BB1142_101 Depth=2
	s_wait_xcnt 0x0
	s_or_b32 exec_lo, exec_lo, s15
	s_wait_loadcnt 0x0
	v_mov_b64_e32 v[64:65], -1
	s_mov_b32 s15, exec_lo
	v_cmpx_gt_u32_e64 s60, v145
	s_cbranch_execz .LBB1142_134
; %bb.133:                              ;   in Loop: Header=BB1142_101 Depth=2
	global_load_b64 v[64:65], v[66:67], off offset:3584
.LBB1142_134:                           ;   in Loop: Header=BB1142_101 Depth=2
	s_wait_xcnt 0x0
	s_or_b32 exec_lo, exec_lo, s15
	v_cmp_gt_u32_e64 s15, s60, v146
	s_sub_co_i32 s16, s51, s34
.LBB1142_135:                           ;   in Loop: Header=BB1142_101 Depth=2
	s_wait_xcnt 0x0
	v_mov_b64_e32 v[66:67], -1
	v_mov_b32_e32 v165, s60
	s_and_saveexec_b32 s17, s15
	s_cbranch_execz .LBB1142_137
; %bb.136:                              ;   in Loop: Header=BB1142_101 Depth=2
	v_lshl_add_u64 v[66:67], s[34:35], 3, v[24:25]
	v_mov_b32_e32 v165, s16
	global_load_b64 v[66:67], v[66:67], off offset:3840
.LBB1142_137:                           ;   in Loop: Header=BB1142_101 Depth=2
	s_wait_xcnt 0x0
	s_or_b32 exec_lo, exec_lo, s17
	s_wait_loadcnt 0xe
	v_cmp_gt_i64_e32 vcc_lo, 0, v[58:59]
	v_add_nc_u32_e32 v168, 0x420, v120
	v_add_nc_u32_e32 v169, 0x428, v120
	;; [unrolled: 1-line block ×3, first 2 shown]
	v_cndmask_b32_e64 v91, 0x7fffffff, 0, vcc_lo
	s_delay_alu instid0(VALU_DEP_1) | instskip(NEXT) | instid1(VALU_DEP_1)
	v_dual_ashrrev_i32 v90, 31, v59 :: v_dual_bitop2_b32 v59, v91, v59 bitop3:0x14
	v_not_b32_e32 v90, v90
	s_delay_alu instid0(VALU_DEP_1) | instskip(NEXT) | instid1(VALU_DEP_1)
	v_xor_b32_e32 v58, v90, v58
	v_cmp_ne_u64_e32 vcc_lo, s[42:43], v[58:59]
	v_cndmask_b32_e32 v91, 0x7fffffff, v59, vcc_lo
	v_cndmask_b32_e32 v90, -1, v58, vcc_lo
	s_delay_alu instid0(VALU_DEP_1) | instskip(NEXT) | instid1(VALU_DEP_1)
	v_lshrrev_b64 v[90:91], s54, v[90:91]
	v_bitop3_b32 v91, v90, 1, s59 bitop3:0x80
	v_and_b32_e32 v92, s59, v90
	s_delay_alu instid0(VALU_DEP_2) | instskip(NEXT) | instid1(VALU_DEP_1)
	v_add_co_u32 v90, s15, v91, -1
	v_cndmask_b32_e64 v91, 0, 1, s15
	s_delay_alu instid0(VALU_DEP_3) | instskip(NEXT) | instid1(VALU_DEP_2)
	v_lshlrev_b32_e32 v93, 30, v92
	v_cmp_ne_u32_e32 vcc_lo, 0, v91
	s_delay_alu instid0(VALU_DEP_2) | instskip(SKIP_1) | instid1(VALU_DEP_2)
	v_not_b32_e32 v91, v93
	v_cmp_gt_i32_e64 s15, 0, v93
	v_dual_ashrrev_i32 v91, 31, v91 :: v_dual_lshlrev_b32 v94, 29, v92
	v_dual_lshlrev_b32 v95, 28, v92 :: v_dual_lshlrev_b32 v96, 27, v92
	v_dual_lshlrev_b32 v97, 26, v92 :: v_dual_lshlrev_b32 v166, 25, v92
	v_lshlrev_b32_e32 v167, 24, v92
	s_delay_alu instid0(VALU_DEP_4)
	v_cmp_gt_i32_e64 s16, 0, v94
	v_not_b32_e32 v93, v94
	v_not_b32_e32 v94, v95
	v_cmp_gt_i32_e64 s17, 0, v95
	v_cmp_gt_i32_e64 s18, 0, v96
	v_not_b32_e32 v95, v96
	v_not_b32_e32 v96, v97
	v_dual_ashrrev_i32 v93, 31, v93 :: v_dual_bitop2_b32 v90, vcc_lo, v90 bitop3:0x14
	v_dual_ashrrev_i32 v94, 31, v94 :: v_dual_bitop2_b32 v91, s15, v91 bitop3:0x14
	v_cmp_gt_i32_e64 s19, 0, v97
	v_cmp_gt_i32_e64 s20, 0, v166
	v_not_b32_e32 v97, v166
	v_not_b32_e32 v166, v167
	v_dual_ashrrev_i32 v95, 31, v95 :: v_dual_ashrrev_i32 v96, 31, v96
	v_xor_b32_e32 v93, s16, v93
	v_xor_b32_e32 v94, s17, v94
	v_bitop3_b32 v90, v90, v91, exec_lo bitop3:0x80
	v_cmp_gt_i32_e64 s21, 0, v167
	v_dual_ashrrev_i32 v91, 31, v97 :: v_dual_ashrrev_i32 v97, 31, v166
	v_xor_b32_e32 v95, s18, v95
	v_xor_b32_e32 v96, s19, v96
	v_bitop3_b32 v90, v90, v94, v93 bitop3:0x80
	s_delay_alu instid0(VALU_DEP_4) | instskip(SKIP_2) | instid1(VALU_DEP_4)
	v_xor_b32_e32 v91, s20, v91
	v_xor_b32_e32 v93, s21, v97
	v_add_nc_u32_e32 v167, 0x438, v120
	v_bitop3_b32 v90, v90, v96, v95 bitop3:0x80
	ds_store_2addr_b32 v167, v5, v5 offset1:1
	ds_store_2addr_b32 v168, v5, v5 offset1:1
	;; [unrolled: 1-line block ×4, first 2 shown]
	ds_store_b32 v120, v5 offset:1088
	v_bitop3_b32 v90, v90, v93, v91 bitop3:0x80
	v_mul_u32_u24_e32 v91, 36, v92
	s_wait_loadcnt_dscnt 0x0
	s_barrier_signal -1
	s_barrier_wait -1
	v_mbcnt_lo_u32_b32 v166, v90, 0
	v_cmp_ne_u32_e64 s15, 0, v90
	v_add_nc_u32_e32 v171, v148, v91
	s_delay_alu instid0(VALU_DEP_3) | instskip(SKIP_1) | instid1(SALU_CYCLE_1)
	v_cmp_eq_u32_e32 vcc_lo, 0, v166
	; wave barrier
	s_and_b32 s16, s15, vcc_lo
	s_and_saveexec_b32 s15, s16
; %bb.138:                              ;   in Loop: Header=BB1142_101 Depth=2
	v_bcnt_u32_b32 v90, v90, 0
	ds_store_b32 v171, v90 offset:1056
; %bb.139:                              ;   in Loop: Header=BB1142_101 Depth=2
	s_or_b32 exec_lo, exec_lo, s15
	v_cmp_gt_i64_e32 vcc_lo, 0, v[60:61]
	; wave barrier
	v_cndmask_b32_e64 v91, 0x7fffffff, 0, vcc_lo
	s_delay_alu instid0(VALU_DEP_1) | instskip(NEXT) | instid1(VALU_DEP_1)
	v_dual_ashrrev_i32 v90, 31, v61 :: v_dual_bitop2_b32 v61, v91, v61 bitop3:0x14
	v_not_b32_e32 v90, v90
	s_delay_alu instid0(VALU_DEP_1) | instskip(NEXT) | instid1(VALU_DEP_1)
	v_xor_b32_e32 v60, v90, v60
	v_cmp_ne_u64_e32 vcc_lo, s[42:43], v[60:61]
	v_cndmask_b32_e32 v91, 0x7fffffff, v61, vcc_lo
	v_cndmask_b32_e32 v90, -1, v60, vcc_lo
	s_delay_alu instid0(VALU_DEP_1) | instskip(NEXT) | instid1(VALU_DEP_1)
	v_lshrrev_b64 v[90:91], s54, v[90:91]
	v_bitop3_b32 v91, v90, 1, s59 bitop3:0x80
	v_and_b32_e32 v92, s59, v90
	s_delay_alu instid0(VALU_DEP_2) | instskip(NEXT) | instid1(VALU_DEP_1)
	v_add_co_u32 v90, s15, v91, -1
	v_cndmask_b32_e64 v91, 0, 1, s15
	s_delay_alu instid0(VALU_DEP_3) | instskip(SKIP_1) | instid1(VALU_DEP_3)
	v_dual_lshlrev_b32 v93, 30, v92 :: v_dual_lshlrev_b32 v95, 28, v92
	v_dual_lshlrev_b32 v94, 29, v92 :: v_dual_lshlrev_b32 v96, 27, v92
	v_cmp_ne_u32_e32 vcc_lo, 0, v91
	s_delay_alu instid0(VALU_DEP_3) | instskip(SKIP_1) | instid1(VALU_DEP_4)
	v_cmp_gt_i32_e64 s15, 0, v93
	v_not_b32_e32 v91, v93
	v_cmp_gt_i32_e64 s16, 0, v94
	v_not_b32_e32 v93, v94
	v_cmp_gt_i32_e64 s17, 0, v95
	v_not_b32_e32 v94, v95
	v_not_b32_e32 v95, v96
	s_delay_alu instid0(VALU_DEP_4) | instskip(NEXT) | instid1(VALU_DEP_2)
	v_dual_ashrrev_i32 v91, 31, v91 :: v_dual_ashrrev_i32 v93, 31, v93
	v_dual_ashrrev_i32 v94, 31, v94 :: v_dual_ashrrev_i32 v95, 31, v95
	v_dual_lshlrev_b32 v97, 26, v92 :: v_dual_lshlrev_b32 v172, 25, v92
	v_lshlrev_b32_e32 v173, 24, v92
	v_cmp_gt_i32_e64 s18, 0, v96
	v_xor_b32_e32 v91, s15, v91
	s_delay_alu instid0(VALU_DEP_4)
	v_not_b32_e32 v96, v97
	v_xor_b32_e32 v90, vcc_lo, v90
	v_cmp_gt_i32_e64 s19, 0, v97
	v_cmp_gt_i32_e64 s20, 0, v172
	v_not_b32_e32 v97, v172
	v_not_b32_e32 v172, v173
	v_dual_ashrrev_i32 v96, 31, v96 :: v_dual_bitop2_b32 v93, s16, v93 bitop3:0x14
	v_xor_b32_e32 v94, s17, v94
	v_bitop3_b32 v90, v90, v91, exec_lo bitop3:0x80
	v_cmp_gt_i32_e64 s21, 0, v173
	v_dual_ashrrev_i32 v91, 31, v97 :: v_dual_ashrrev_i32 v97, 31, v172
	v_xor_b32_e32 v95, s18, v95
	v_xor_b32_e32 v96, s19, v96
	v_bitop3_b32 v90, v90, v94, v93 bitop3:0x80
	v_mad_u32_u24 v93, v92, 36, v148
	v_xor_b32_e32 v91, s20, v91
	v_xor_b32_e32 v94, s21, v97
	s_delay_alu instid0(VALU_DEP_4) | instskip(SKIP_3) | instid1(VALU_DEP_2)
	v_bitop3_b32 v90, v90, v96, v95 bitop3:0x80
	ds_load_b32 v172, v93 offset:1056
	; wave barrier
	v_bitop3_b32 v90, v90, v94, v91 bitop3:0x80
	v_mul_u32_u24_e32 v91, 36, v92
	v_mbcnt_lo_u32_b32 v173, v90, 0
	v_cmp_ne_u32_e64 s15, 0, v90
	s_delay_alu instid0(VALU_DEP_3) | instskip(NEXT) | instid1(VALU_DEP_3)
	v_add_nc_u32_e32 v174, v148, v91
	v_cmp_eq_u32_e32 vcc_lo, 0, v173
	s_and_b32 s16, s15, vcc_lo
	s_delay_alu instid0(SALU_CYCLE_1)
	s_and_saveexec_b32 s15, s16
	s_cbranch_execz .LBB1142_141
; %bb.140:                              ;   in Loop: Header=BB1142_101 Depth=2
	s_wait_dscnt 0x0
	v_bcnt_u32_b32 v90, v90, v172
	ds_store_b32 v174, v90 offset:1056
.LBB1142_141:                           ;   in Loop: Header=BB1142_101 Depth=2
	s_or_b32 exec_lo, exec_lo, s15
	v_cmp_gt_i64_e32 vcc_lo, 0, v[62:63]
	; wave barrier
	v_cndmask_b32_e64 v91, 0x7fffffff, 0, vcc_lo
	s_delay_alu instid0(VALU_DEP_1) | instskip(NEXT) | instid1(VALU_DEP_1)
	v_dual_ashrrev_i32 v90, 31, v63 :: v_dual_bitop2_b32 v63, v91, v63 bitop3:0x14
	v_not_b32_e32 v90, v90
	s_delay_alu instid0(VALU_DEP_1) | instskip(NEXT) | instid1(VALU_DEP_1)
	v_xor_b32_e32 v62, v90, v62
	v_cmp_ne_u64_e32 vcc_lo, s[42:43], v[62:63]
	v_cndmask_b32_e32 v91, 0x7fffffff, v63, vcc_lo
	v_cndmask_b32_e32 v90, -1, v62, vcc_lo
	s_delay_alu instid0(VALU_DEP_1) | instskip(NEXT) | instid1(VALU_DEP_1)
	v_lshrrev_b64 v[90:91], s54, v[90:91]
	v_bitop3_b32 v91, v90, 1, s59 bitop3:0x80
	v_and_b32_e32 v92, s59, v90
	s_delay_alu instid0(VALU_DEP_2) | instskip(NEXT) | instid1(VALU_DEP_1)
	v_add_co_u32 v90, s15, v91, -1
	v_cndmask_b32_e64 v91, 0, 1, s15
	s_delay_alu instid0(VALU_DEP_3) | instskip(NEXT) | instid1(VALU_DEP_2)
	v_lshlrev_b32_e32 v93, 30, v92
	v_cmp_ne_u32_e32 vcc_lo, 0, v91
	s_delay_alu instid0(VALU_DEP_2) | instskip(SKIP_1) | instid1(VALU_DEP_2)
	v_not_b32_e32 v91, v93
	v_cmp_gt_i32_e64 s15, 0, v93
	v_dual_ashrrev_i32 v91, 31, v91 :: v_dual_lshlrev_b32 v94, 29, v92
	v_dual_lshlrev_b32 v95, 28, v92 :: v_dual_lshlrev_b32 v96, 27, v92
	v_dual_lshlrev_b32 v97, 26, v92 :: v_dual_lshlrev_b32 v175, 25, v92
	v_lshlrev_b32_e32 v176, 24, v92
	s_delay_alu instid0(VALU_DEP_4)
	v_cmp_gt_i32_e64 s16, 0, v94
	v_not_b32_e32 v93, v94
	v_not_b32_e32 v94, v95
	v_cmp_gt_i32_e64 s17, 0, v95
	v_cmp_gt_i32_e64 s18, 0, v96
	v_not_b32_e32 v95, v96
	v_not_b32_e32 v96, v97
	v_dual_ashrrev_i32 v93, 31, v93 :: v_dual_bitop2_b32 v90, vcc_lo, v90 bitop3:0x14
	v_dual_ashrrev_i32 v94, 31, v94 :: v_dual_bitop2_b32 v91, s15, v91 bitop3:0x14
	v_cmp_gt_i32_e64 s19, 0, v97
	v_cmp_gt_i32_e64 s20, 0, v175
	v_not_b32_e32 v97, v175
	v_not_b32_e32 v175, v176
	v_dual_ashrrev_i32 v95, 31, v95 :: v_dual_ashrrev_i32 v96, 31, v96
	v_xor_b32_e32 v93, s16, v93
	v_xor_b32_e32 v94, s17, v94
	v_bitop3_b32 v90, v90, v91, exec_lo bitop3:0x80
	v_cmp_gt_i32_e64 s21, 0, v176
	v_dual_ashrrev_i32 v91, 31, v97 :: v_dual_ashrrev_i32 v97, 31, v175
	v_xor_b32_e32 v95, s18, v95
	v_xor_b32_e32 v96, s19, v96
	v_bitop3_b32 v90, v90, v94, v93 bitop3:0x80
	v_mad_u32_u24 v93, v92, 36, v148
	v_xor_b32_e32 v91, s20, v91
	v_xor_b32_e32 v94, s21, v97
	s_delay_alu instid0(VALU_DEP_4) | instskip(SKIP_3) | instid1(VALU_DEP_2)
	v_bitop3_b32 v90, v90, v96, v95 bitop3:0x80
	ds_load_b32 v175, v93 offset:1056
	; wave barrier
	v_bitop3_b32 v90, v90, v94, v91 bitop3:0x80
	v_mul_u32_u24_e32 v91, 36, v92
	v_mbcnt_lo_u32_b32 v176, v90, 0
	v_cmp_ne_u32_e64 s15, 0, v90
	s_delay_alu instid0(VALU_DEP_3) | instskip(NEXT) | instid1(VALU_DEP_3)
	v_add_nc_u32_e32 v177, v148, v91
	v_cmp_eq_u32_e32 vcc_lo, 0, v176
	s_and_b32 s16, s15, vcc_lo
	s_delay_alu instid0(SALU_CYCLE_1)
	s_and_saveexec_b32 s15, s16
	s_cbranch_execz .LBB1142_143
; %bb.142:                              ;   in Loop: Header=BB1142_101 Depth=2
	s_wait_dscnt 0x0
	v_bcnt_u32_b32 v90, v90, v175
	ds_store_b32 v177, v90 offset:1056
.LBB1142_143:                           ;   in Loop: Header=BB1142_101 Depth=2
	s_or_b32 exec_lo, exec_lo, s15
	v_cmp_gt_i64_e32 vcc_lo, 0, v[70:71]
	; wave barrier
	v_cndmask_b32_e64 v91, 0x7fffffff, 0, vcc_lo
	s_delay_alu instid0(VALU_DEP_1) | instskip(NEXT) | instid1(VALU_DEP_1)
	v_dual_ashrrev_i32 v90, 31, v71 :: v_dual_bitop2_b32 v71, v91, v71 bitop3:0x14
	v_not_b32_e32 v90, v90
	s_delay_alu instid0(VALU_DEP_1) | instskip(NEXT) | instid1(VALU_DEP_1)
	v_xor_b32_e32 v70, v90, v70
	v_cmp_ne_u64_e32 vcc_lo, s[42:43], v[70:71]
	v_cndmask_b32_e32 v91, 0x7fffffff, v71, vcc_lo
	v_cndmask_b32_e32 v90, -1, v70, vcc_lo
	s_delay_alu instid0(VALU_DEP_1) | instskip(NEXT) | instid1(VALU_DEP_1)
	v_lshrrev_b64 v[90:91], s54, v[90:91]
	v_bitop3_b32 v91, v90, 1, s59 bitop3:0x80
	v_and_b32_e32 v92, s59, v90
	s_delay_alu instid0(VALU_DEP_2) | instskip(NEXT) | instid1(VALU_DEP_1)
	v_add_co_u32 v90, s15, v91, -1
	v_cndmask_b32_e64 v91, 0, 1, s15
	s_delay_alu instid0(VALU_DEP_3) | instskip(NEXT) | instid1(VALU_DEP_2)
	v_lshlrev_b32_e32 v93, 30, v92
	v_cmp_ne_u32_e32 vcc_lo, 0, v91
	s_delay_alu instid0(VALU_DEP_2) | instskip(SKIP_1) | instid1(VALU_DEP_2)
	v_not_b32_e32 v91, v93
	v_cmp_gt_i32_e64 s15, 0, v93
	v_dual_ashrrev_i32 v91, 31, v91 :: v_dual_lshlrev_b32 v94, 29, v92
	v_dual_lshlrev_b32 v95, 28, v92 :: v_dual_lshlrev_b32 v96, 27, v92
	v_dual_lshlrev_b32 v97, 26, v92 :: v_dual_lshlrev_b32 v178, 25, v92
	v_lshlrev_b32_e32 v179, 24, v92
	s_delay_alu instid0(VALU_DEP_4)
	v_cmp_gt_i32_e64 s16, 0, v94
	v_not_b32_e32 v93, v94
	v_not_b32_e32 v94, v95
	v_cmp_gt_i32_e64 s17, 0, v95
	v_cmp_gt_i32_e64 s18, 0, v96
	v_not_b32_e32 v95, v96
	v_not_b32_e32 v96, v97
	v_dual_ashrrev_i32 v93, 31, v93 :: v_dual_bitop2_b32 v90, vcc_lo, v90 bitop3:0x14
	v_dual_ashrrev_i32 v94, 31, v94 :: v_dual_bitop2_b32 v91, s15, v91 bitop3:0x14
	v_cmp_gt_i32_e64 s19, 0, v97
	v_cmp_gt_i32_e64 s20, 0, v178
	v_not_b32_e32 v97, v178
	v_not_b32_e32 v178, v179
	v_dual_ashrrev_i32 v95, 31, v95 :: v_dual_ashrrev_i32 v96, 31, v96
	v_xor_b32_e32 v93, s16, v93
	v_xor_b32_e32 v94, s17, v94
	v_bitop3_b32 v90, v90, v91, exec_lo bitop3:0x80
	v_cmp_gt_i32_e64 s21, 0, v179
	v_dual_ashrrev_i32 v91, 31, v97 :: v_dual_ashrrev_i32 v97, 31, v178
	v_xor_b32_e32 v95, s18, v95
	v_xor_b32_e32 v96, s19, v96
	v_bitop3_b32 v90, v90, v94, v93 bitop3:0x80
	v_mad_u32_u24 v93, v92, 36, v148
	v_xor_b32_e32 v91, s20, v91
	v_xor_b32_e32 v94, s21, v97
	s_delay_alu instid0(VALU_DEP_4) | instskip(SKIP_3) | instid1(VALU_DEP_2)
	v_bitop3_b32 v90, v90, v96, v95 bitop3:0x80
	ds_load_b32 v178, v93 offset:1056
	; wave barrier
	v_bitop3_b32 v90, v90, v94, v91 bitop3:0x80
	v_mul_u32_u24_e32 v91, 36, v92
	v_mbcnt_lo_u32_b32 v179, v90, 0
	v_cmp_ne_u32_e64 s15, 0, v90
	s_delay_alu instid0(VALU_DEP_3) | instskip(NEXT) | instid1(VALU_DEP_3)
	v_add_nc_u32_e32 v180, v148, v91
	v_cmp_eq_u32_e32 vcc_lo, 0, v179
	s_and_b32 s16, s15, vcc_lo
	s_delay_alu instid0(SALU_CYCLE_1)
	s_and_saveexec_b32 s15, s16
	s_cbranch_execz .LBB1142_145
; %bb.144:                              ;   in Loop: Header=BB1142_101 Depth=2
	s_wait_dscnt 0x0
	v_bcnt_u32_b32 v90, v90, v178
	ds_store_b32 v180, v90 offset:1056
.LBB1142_145:                           ;   in Loop: Header=BB1142_101 Depth=2
	s_or_b32 exec_lo, exec_lo, s15
	v_cmp_gt_i64_e32 vcc_lo, 0, v[74:75]
	; wave barrier
	v_cndmask_b32_e64 v91, 0x7fffffff, 0, vcc_lo
	s_delay_alu instid0(VALU_DEP_1) | instskip(NEXT) | instid1(VALU_DEP_1)
	v_dual_ashrrev_i32 v90, 31, v75 :: v_dual_bitop2_b32 v75, v91, v75 bitop3:0x14
	v_not_b32_e32 v90, v90
	s_delay_alu instid0(VALU_DEP_1) | instskip(NEXT) | instid1(VALU_DEP_1)
	v_xor_b32_e32 v74, v90, v74
	v_cmp_ne_u64_e32 vcc_lo, s[42:43], v[74:75]
	v_cndmask_b32_e32 v91, 0x7fffffff, v75, vcc_lo
	v_cndmask_b32_e32 v90, -1, v74, vcc_lo
	s_delay_alu instid0(VALU_DEP_1) | instskip(NEXT) | instid1(VALU_DEP_1)
	v_lshrrev_b64 v[90:91], s54, v[90:91]
	v_bitop3_b32 v91, v90, 1, s59 bitop3:0x80
	v_and_b32_e32 v92, s59, v90
	s_delay_alu instid0(VALU_DEP_2) | instskip(NEXT) | instid1(VALU_DEP_1)
	v_add_co_u32 v90, s15, v91, -1
	v_cndmask_b32_e64 v91, 0, 1, s15
	s_delay_alu instid0(VALU_DEP_3) | instskip(NEXT) | instid1(VALU_DEP_2)
	v_lshlrev_b32_e32 v93, 30, v92
	v_cmp_ne_u32_e32 vcc_lo, 0, v91
	s_delay_alu instid0(VALU_DEP_2) | instskip(SKIP_1) | instid1(VALU_DEP_2)
	v_not_b32_e32 v91, v93
	v_cmp_gt_i32_e64 s15, 0, v93
	v_dual_ashrrev_i32 v91, 31, v91 :: v_dual_lshlrev_b32 v94, 29, v92
	v_dual_lshlrev_b32 v95, 28, v92 :: v_dual_lshlrev_b32 v96, 27, v92
	v_dual_lshlrev_b32 v97, 26, v92 :: v_dual_lshlrev_b32 v181, 25, v92
	v_lshlrev_b32_e32 v182, 24, v92
	s_delay_alu instid0(VALU_DEP_4)
	v_cmp_gt_i32_e64 s16, 0, v94
	v_not_b32_e32 v93, v94
	v_not_b32_e32 v94, v95
	v_cmp_gt_i32_e64 s17, 0, v95
	v_cmp_gt_i32_e64 s18, 0, v96
	v_not_b32_e32 v95, v96
	v_not_b32_e32 v96, v97
	v_dual_ashrrev_i32 v93, 31, v93 :: v_dual_bitop2_b32 v90, vcc_lo, v90 bitop3:0x14
	v_dual_ashrrev_i32 v94, 31, v94 :: v_dual_bitop2_b32 v91, s15, v91 bitop3:0x14
	v_cmp_gt_i32_e64 s19, 0, v97
	v_cmp_gt_i32_e64 s20, 0, v181
	v_not_b32_e32 v97, v181
	v_not_b32_e32 v181, v182
	v_dual_ashrrev_i32 v95, 31, v95 :: v_dual_ashrrev_i32 v96, 31, v96
	v_xor_b32_e32 v93, s16, v93
	v_xor_b32_e32 v94, s17, v94
	v_bitop3_b32 v90, v90, v91, exec_lo bitop3:0x80
	v_cmp_gt_i32_e64 s21, 0, v182
	v_ashrrev_i32_e32 v91, 31, v97
	v_dual_ashrrev_i32 v97, 31, v181 :: v_dual_bitop2_b32 v95, s18, v95 bitop3:0x14
	v_xor_b32_e32 v96, s19, v96
	v_bitop3_b32 v90, v90, v94, v93 bitop3:0x80
	v_mad_u32_u24 v93, v92, 36, v148
	v_xor_b32_e32 v91, s20, v91
	v_xor_b32_e32 v94, s21, v97
	s_delay_alu instid0(VALU_DEP_4) | instskip(SKIP_3) | instid1(VALU_DEP_2)
	v_bitop3_b32 v90, v90, v96, v95 bitop3:0x80
	ds_load_b32 v181, v93 offset:1056
	; wave barrier
	v_bitop3_b32 v90, v90, v94, v91 bitop3:0x80
	v_mul_u32_u24_e32 v91, 36, v92
	v_mbcnt_lo_u32_b32 v182, v90, 0
	v_cmp_ne_u32_e64 s15, 0, v90
	s_delay_alu instid0(VALU_DEP_3) | instskip(NEXT) | instid1(VALU_DEP_3)
	v_add_nc_u32_e32 v183, v148, v91
	v_cmp_eq_u32_e32 vcc_lo, 0, v182
	s_and_b32 s16, s15, vcc_lo
	s_delay_alu instid0(SALU_CYCLE_1)
	s_and_saveexec_b32 s15, s16
	s_cbranch_execz .LBB1142_147
; %bb.146:                              ;   in Loop: Header=BB1142_101 Depth=2
	s_wait_dscnt 0x0
	v_bcnt_u32_b32 v90, v90, v181
	ds_store_b32 v183, v90 offset:1056
.LBB1142_147:                           ;   in Loop: Header=BB1142_101 Depth=2
	s_or_b32 exec_lo, exec_lo, s15
	v_cmp_gt_i64_e32 vcc_lo, 0, v[78:79]
	; wave barrier
	v_cndmask_b32_e64 v91, 0x7fffffff, 0, vcc_lo
	s_delay_alu instid0(VALU_DEP_1) | instskip(NEXT) | instid1(VALU_DEP_1)
	v_dual_ashrrev_i32 v90, 31, v79 :: v_dual_bitop2_b32 v79, v91, v79 bitop3:0x14
	v_not_b32_e32 v90, v90
	s_delay_alu instid0(VALU_DEP_1) | instskip(NEXT) | instid1(VALU_DEP_1)
	v_xor_b32_e32 v78, v90, v78
	v_cmp_ne_u64_e32 vcc_lo, s[42:43], v[78:79]
	v_cndmask_b32_e32 v91, 0x7fffffff, v79, vcc_lo
	v_cndmask_b32_e32 v90, -1, v78, vcc_lo
	s_delay_alu instid0(VALU_DEP_1) | instskip(NEXT) | instid1(VALU_DEP_1)
	v_lshrrev_b64 v[90:91], s54, v[90:91]
	v_bitop3_b32 v91, v90, 1, s59 bitop3:0x80
	v_and_b32_e32 v92, s59, v90
	s_delay_alu instid0(VALU_DEP_2) | instskip(NEXT) | instid1(VALU_DEP_1)
	v_add_co_u32 v90, s15, v91, -1
	v_cndmask_b32_e64 v91, 0, 1, s15
	s_delay_alu instid0(VALU_DEP_3) | instskip(NEXT) | instid1(VALU_DEP_2)
	v_lshlrev_b32_e32 v93, 30, v92
	v_cmp_ne_u32_e32 vcc_lo, 0, v91
	s_delay_alu instid0(VALU_DEP_2) | instskip(SKIP_1) | instid1(VALU_DEP_2)
	v_not_b32_e32 v91, v93
	v_cmp_gt_i32_e64 s15, 0, v93
	v_dual_ashrrev_i32 v91, 31, v91 :: v_dual_lshlrev_b32 v94, 29, v92
	v_dual_lshlrev_b32 v95, 28, v92 :: v_dual_lshlrev_b32 v96, 27, v92
	v_dual_lshlrev_b32 v97, 26, v92 :: v_dual_lshlrev_b32 v184, 25, v92
	v_lshlrev_b32_e32 v185, 24, v92
	s_delay_alu instid0(VALU_DEP_4)
	v_cmp_gt_i32_e64 s16, 0, v94
	v_not_b32_e32 v93, v94
	v_not_b32_e32 v94, v95
	v_cmp_gt_i32_e64 s17, 0, v95
	v_cmp_gt_i32_e64 s18, 0, v96
	v_not_b32_e32 v95, v96
	v_not_b32_e32 v96, v97
	v_dual_ashrrev_i32 v93, 31, v93 :: v_dual_bitop2_b32 v90, vcc_lo, v90 bitop3:0x14
	v_dual_ashrrev_i32 v94, 31, v94 :: v_dual_bitop2_b32 v91, s15, v91 bitop3:0x14
	v_cmp_gt_i32_e64 s19, 0, v97
	v_cmp_gt_i32_e64 s20, 0, v184
	v_not_b32_e32 v97, v184
	v_not_b32_e32 v184, v185
	v_dual_ashrrev_i32 v95, 31, v95 :: v_dual_ashrrev_i32 v96, 31, v96
	v_xor_b32_e32 v93, s16, v93
	v_xor_b32_e32 v94, s17, v94
	v_bitop3_b32 v90, v90, v91, exec_lo bitop3:0x80
	v_cmp_gt_i32_e64 s21, 0, v185
	v_dual_ashrrev_i32 v91, 31, v97 :: v_dual_ashrrev_i32 v97, 31, v184
	v_xor_b32_e32 v95, s18, v95
	v_xor_b32_e32 v96, s19, v96
	v_bitop3_b32 v90, v90, v94, v93 bitop3:0x80
	v_mad_u32_u24 v93, v92, 36, v148
	v_xor_b32_e32 v91, s20, v91
	v_xor_b32_e32 v94, s21, v97
	s_delay_alu instid0(VALU_DEP_4) | instskip(SKIP_3) | instid1(VALU_DEP_2)
	v_bitop3_b32 v90, v90, v96, v95 bitop3:0x80
	ds_load_b32 v184, v93 offset:1056
	; wave barrier
	v_bitop3_b32 v90, v90, v94, v91 bitop3:0x80
	v_mul_u32_u24_e32 v91, 36, v92
	v_mbcnt_lo_u32_b32 v185, v90, 0
	v_cmp_ne_u32_e64 s15, 0, v90
	s_delay_alu instid0(VALU_DEP_3) | instskip(NEXT) | instid1(VALU_DEP_3)
	v_add_nc_u32_e32 v186, v148, v91
	v_cmp_eq_u32_e32 vcc_lo, 0, v185
	s_and_b32 s16, s15, vcc_lo
	s_delay_alu instid0(SALU_CYCLE_1)
	s_and_saveexec_b32 s15, s16
	s_cbranch_execz .LBB1142_149
; %bb.148:                              ;   in Loop: Header=BB1142_101 Depth=2
	s_wait_dscnt 0x0
	v_bcnt_u32_b32 v90, v90, v184
	ds_store_b32 v186, v90 offset:1056
.LBB1142_149:                           ;   in Loop: Header=BB1142_101 Depth=2
	s_or_b32 exec_lo, exec_lo, s15
	v_cmp_gt_i64_e32 vcc_lo, 0, v[82:83]
	; wave barrier
	v_cndmask_b32_e64 v91, 0x7fffffff, 0, vcc_lo
	s_delay_alu instid0(VALU_DEP_1) | instskip(NEXT) | instid1(VALU_DEP_1)
	v_dual_ashrrev_i32 v90, 31, v83 :: v_dual_bitop2_b32 v83, v91, v83 bitop3:0x14
	v_not_b32_e32 v90, v90
	s_delay_alu instid0(VALU_DEP_1) | instskip(NEXT) | instid1(VALU_DEP_1)
	v_xor_b32_e32 v82, v90, v82
	v_cmp_ne_u64_e32 vcc_lo, s[42:43], v[82:83]
	v_cndmask_b32_e32 v91, 0x7fffffff, v83, vcc_lo
	v_cndmask_b32_e32 v90, -1, v82, vcc_lo
	s_delay_alu instid0(VALU_DEP_1) | instskip(NEXT) | instid1(VALU_DEP_1)
	v_lshrrev_b64 v[90:91], s54, v[90:91]
	v_bitop3_b32 v91, v90, 1, s59 bitop3:0x80
	v_and_b32_e32 v92, s59, v90
	s_delay_alu instid0(VALU_DEP_2) | instskip(NEXT) | instid1(VALU_DEP_1)
	v_add_co_u32 v90, s15, v91, -1
	v_cndmask_b32_e64 v91, 0, 1, s15
	s_delay_alu instid0(VALU_DEP_3) | instskip(NEXT) | instid1(VALU_DEP_2)
	v_lshlrev_b32_e32 v93, 30, v92
	v_cmp_ne_u32_e32 vcc_lo, 0, v91
	s_delay_alu instid0(VALU_DEP_2) | instskip(SKIP_1) | instid1(VALU_DEP_2)
	v_not_b32_e32 v91, v93
	v_cmp_gt_i32_e64 s15, 0, v93
	v_dual_ashrrev_i32 v91, 31, v91 :: v_dual_lshlrev_b32 v94, 29, v92
	v_dual_lshlrev_b32 v95, 28, v92 :: v_dual_lshlrev_b32 v96, 27, v92
	v_dual_lshlrev_b32 v97, 26, v92 :: v_dual_lshlrev_b32 v187, 25, v92
	v_lshlrev_b32_e32 v188, 24, v92
	s_delay_alu instid0(VALU_DEP_4)
	v_cmp_gt_i32_e64 s16, 0, v94
	v_not_b32_e32 v93, v94
	v_not_b32_e32 v94, v95
	v_cmp_gt_i32_e64 s17, 0, v95
	v_cmp_gt_i32_e64 s18, 0, v96
	v_not_b32_e32 v95, v96
	v_not_b32_e32 v96, v97
	v_dual_ashrrev_i32 v93, 31, v93 :: v_dual_bitop2_b32 v90, vcc_lo, v90 bitop3:0x14
	v_dual_ashrrev_i32 v94, 31, v94 :: v_dual_bitop2_b32 v91, s15, v91 bitop3:0x14
	v_cmp_gt_i32_e64 s19, 0, v97
	v_cmp_gt_i32_e64 s20, 0, v187
	v_not_b32_e32 v97, v187
	v_not_b32_e32 v187, v188
	v_dual_ashrrev_i32 v95, 31, v95 :: v_dual_ashrrev_i32 v96, 31, v96
	v_xor_b32_e32 v93, s16, v93
	v_xor_b32_e32 v94, s17, v94
	v_bitop3_b32 v90, v90, v91, exec_lo bitop3:0x80
	v_cmp_gt_i32_e64 s21, 0, v188
	v_dual_ashrrev_i32 v91, 31, v97 :: v_dual_ashrrev_i32 v97, 31, v187
	v_xor_b32_e32 v95, s18, v95
	v_xor_b32_e32 v96, s19, v96
	v_bitop3_b32 v90, v90, v94, v93 bitop3:0x80
	v_mad_u32_u24 v93, v92, 36, v148
	v_xor_b32_e32 v91, s20, v91
	v_xor_b32_e32 v94, s21, v97
	s_delay_alu instid0(VALU_DEP_4) | instskip(SKIP_3) | instid1(VALU_DEP_2)
	v_bitop3_b32 v90, v90, v96, v95 bitop3:0x80
	ds_load_b32 v187, v93 offset:1056
	; wave barrier
	v_bitop3_b32 v90, v90, v94, v91 bitop3:0x80
	v_mul_u32_u24_e32 v91, 36, v92
	v_mbcnt_lo_u32_b32 v188, v90, 0
	v_cmp_ne_u32_e64 s15, 0, v90
	s_delay_alu instid0(VALU_DEP_3) | instskip(NEXT) | instid1(VALU_DEP_3)
	v_add_nc_u32_e32 v189, v148, v91
	v_cmp_eq_u32_e32 vcc_lo, 0, v188
	s_and_b32 s16, s15, vcc_lo
	s_delay_alu instid0(SALU_CYCLE_1)
	s_and_saveexec_b32 s15, s16
	s_cbranch_execz .LBB1142_151
; %bb.150:                              ;   in Loop: Header=BB1142_101 Depth=2
	s_wait_dscnt 0x0
	v_bcnt_u32_b32 v90, v90, v187
	ds_store_b32 v189, v90 offset:1056
.LBB1142_151:                           ;   in Loop: Header=BB1142_101 Depth=2
	s_or_b32 exec_lo, exec_lo, s15
	v_cmp_gt_i64_e32 vcc_lo, 0, v[86:87]
	; wave barrier
	v_cndmask_b32_e64 v91, 0x7fffffff, 0, vcc_lo
	s_delay_alu instid0(VALU_DEP_1) | instskip(NEXT) | instid1(VALU_DEP_1)
	v_dual_ashrrev_i32 v90, 31, v87 :: v_dual_bitop2_b32 v87, v91, v87 bitop3:0x14
	v_not_b32_e32 v90, v90
	s_delay_alu instid0(VALU_DEP_1) | instskip(NEXT) | instid1(VALU_DEP_1)
	v_xor_b32_e32 v86, v90, v86
	v_cmp_ne_u64_e32 vcc_lo, s[42:43], v[86:87]
	v_cndmask_b32_e32 v91, 0x7fffffff, v87, vcc_lo
	v_cndmask_b32_e32 v90, -1, v86, vcc_lo
	s_delay_alu instid0(VALU_DEP_1) | instskip(NEXT) | instid1(VALU_DEP_1)
	v_lshrrev_b64 v[90:91], s54, v[90:91]
	v_bitop3_b32 v91, v90, 1, s59 bitop3:0x80
	v_and_b32_e32 v92, s59, v90
	s_delay_alu instid0(VALU_DEP_2) | instskip(NEXT) | instid1(VALU_DEP_1)
	v_add_co_u32 v90, s15, v91, -1
	v_cndmask_b32_e64 v91, 0, 1, s15
	s_delay_alu instid0(VALU_DEP_3) | instskip(NEXT) | instid1(VALU_DEP_2)
	v_lshlrev_b32_e32 v93, 30, v92
	v_cmp_ne_u32_e32 vcc_lo, 0, v91
	s_delay_alu instid0(VALU_DEP_2) | instskip(SKIP_1) | instid1(VALU_DEP_2)
	v_not_b32_e32 v91, v93
	v_cmp_gt_i32_e64 s15, 0, v93
	v_dual_ashrrev_i32 v91, 31, v91 :: v_dual_lshlrev_b32 v94, 29, v92
	v_dual_lshlrev_b32 v95, 28, v92 :: v_dual_lshlrev_b32 v96, 27, v92
	v_dual_lshlrev_b32 v97, 26, v92 :: v_dual_lshlrev_b32 v190, 25, v92
	v_lshlrev_b32_e32 v191, 24, v92
	s_delay_alu instid0(VALU_DEP_4)
	v_cmp_gt_i32_e64 s16, 0, v94
	v_not_b32_e32 v93, v94
	v_not_b32_e32 v94, v95
	v_cmp_gt_i32_e64 s17, 0, v95
	v_cmp_gt_i32_e64 s18, 0, v96
	v_not_b32_e32 v95, v96
	v_not_b32_e32 v96, v97
	v_dual_ashrrev_i32 v93, 31, v93 :: v_dual_bitop2_b32 v90, vcc_lo, v90 bitop3:0x14
	v_dual_ashrrev_i32 v94, 31, v94 :: v_dual_bitop2_b32 v91, s15, v91 bitop3:0x14
	v_cmp_gt_i32_e64 s19, 0, v97
	v_cmp_gt_i32_e64 s20, 0, v190
	v_not_b32_e32 v97, v190
	v_not_b32_e32 v190, v191
	v_dual_ashrrev_i32 v95, 31, v95 :: v_dual_ashrrev_i32 v96, 31, v96
	v_xor_b32_e32 v93, s16, v93
	v_xor_b32_e32 v94, s17, v94
	v_bitop3_b32 v90, v90, v91, exec_lo bitop3:0x80
	v_cmp_gt_i32_e64 s21, 0, v191
	v_dual_ashrrev_i32 v91, 31, v97 :: v_dual_ashrrev_i32 v97, 31, v190
	v_xor_b32_e32 v95, s18, v95
	v_xor_b32_e32 v96, s19, v96
	v_bitop3_b32 v90, v90, v94, v93 bitop3:0x80
	v_mad_u32_u24 v93, v92, 36, v148
	v_xor_b32_e32 v91, s20, v91
	v_xor_b32_e32 v94, s21, v97
	s_delay_alu instid0(VALU_DEP_4) | instskip(SKIP_3) | instid1(VALU_DEP_2)
	v_bitop3_b32 v90, v90, v96, v95 bitop3:0x80
	ds_load_b32 v190, v93 offset:1056
	; wave barrier
	v_bitop3_b32 v90, v90, v94, v91 bitop3:0x80
	v_mul_u32_u24_e32 v91, 36, v92
	v_mbcnt_lo_u32_b32 v191, v90, 0
	v_cmp_ne_u32_e64 s15, 0, v90
	s_delay_alu instid0(VALU_DEP_3) | instskip(NEXT) | instid1(VALU_DEP_3)
	v_add_nc_u32_e32 v192, v148, v91
	v_cmp_eq_u32_e32 vcc_lo, 0, v191
	s_and_b32 s16, s15, vcc_lo
	s_delay_alu instid0(SALU_CYCLE_1)
	s_and_saveexec_b32 s15, s16
	s_cbranch_execz .LBB1142_153
; %bb.152:                              ;   in Loop: Header=BB1142_101 Depth=2
	s_wait_dscnt 0x0
	v_bcnt_u32_b32 v90, v90, v190
	ds_store_b32 v192, v90 offset:1056
.LBB1142_153:                           ;   in Loop: Header=BB1142_101 Depth=2
	s_or_b32 exec_lo, exec_lo, s15
	v_cmp_gt_i64_e32 vcc_lo, 0, v[88:89]
	; wave barrier
	v_cndmask_b32_e64 v91, 0x7fffffff, 0, vcc_lo
	s_delay_alu instid0(VALU_DEP_1) | instskip(NEXT) | instid1(VALU_DEP_1)
	v_dual_ashrrev_i32 v90, 31, v89 :: v_dual_bitop2_b32 v89, v91, v89 bitop3:0x14
	v_not_b32_e32 v90, v90
	s_delay_alu instid0(VALU_DEP_1) | instskip(NEXT) | instid1(VALU_DEP_1)
	v_xor_b32_e32 v88, v90, v88
	v_cmp_ne_u64_e32 vcc_lo, s[42:43], v[88:89]
	v_cndmask_b32_e32 v91, 0x7fffffff, v89, vcc_lo
	v_cndmask_b32_e32 v90, -1, v88, vcc_lo
	s_delay_alu instid0(VALU_DEP_1) | instskip(NEXT) | instid1(VALU_DEP_1)
	v_lshrrev_b64 v[90:91], s54, v[90:91]
	v_bitop3_b32 v91, v90, 1, s59 bitop3:0x80
	v_and_b32_e32 v92, s59, v90
	s_delay_alu instid0(VALU_DEP_2) | instskip(NEXT) | instid1(VALU_DEP_1)
	v_add_co_u32 v90, s15, v91, -1
	v_cndmask_b32_e64 v91, 0, 1, s15
	s_delay_alu instid0(VALU_DEP_3) | instskip(SKIP_1) | instid1(VALU_DEP_3)
	v_dual_lshlrev_b32 v93, 30, v92 :: v_dual_lshlrev_b32 v95, 28, v92
	v_dual_lshlrev_b32 v94, 29, v92 :: v_dual_lshlrev_b32 v96, 27, v92
	v_cmp_ne_u32_e32 vcc_lo, 0, v91
	s_delay_alu instid0(VALU_DEP_3) | instskip(SKIP_1) | instid1(VALU_DEP_4)
	v_cmp_gt_i32_e64 s15, 0, v93
	v_not_b32_e32 v91, v93
	v_cmp_gt_i32_e64 s16, 0, v94
	v_not_b32_e32 v93, v94
	;; [unrolled: 2-line block ×3, first 2 shown]
	v_not_b32_e32 v95, v96
	s_delay_alu instid0(VALU_DEP_4) | instskip(NEXT) | instid1(VALU_DEP_2)
	v_dual_ashrrev_i32 v91, 31, v91 :: v_dual_ashrrev_i32 v93, 31, v93
	v_dual_ashrrev_i32 v94, 31, v94 :: v_dual_ashrrev_i32 v95, 31, v95
	v_dual_lshlrev_b32 v97, 26, v92 :: v_dual_lshlrev_b32 v193, 25, v92
	v_lshlrev_b32_e32 v194, 24, v92
	v_cmp_gt_i32_e64 s18, 0, v96
	v_xor_b32_e32 v91, s15, v91
	s_delay_alu instid0(VALU_DEP_4)
	v_not_b32_e32 v96, v97
	v_xor_b32_e32 v90, vcc_lo, v90
	v_cmp_gt_i32_e64 s19, 0, v97
	v_cmp_gt_i32_e64 s20, 0, v193
	v_not_b32_e32 v97, v193
	v_not_b32_e32 v193, v194
	v_dual_ashrrev_i32 v96, 31, v96 :: v_dual_bitop2_b32 v93, s16, v93 bitop3:0x14
	v_xor_b32_e32 v94, s17, v94
	v_bitop3_b32 v90, v90, v91, exec_lo bitop3:0x80
	v_cmp_gt_i32_e64 s21, 0, v194
	v_ashrrev_i32_e32 v91, 31, v97
	v_dual_ashrrev_i32 v97, 31, v193 :: v_dual_bitop2_b32 v95, s18, v95 bitop3:0x14
	v_xor_b32_e32 v96, s19, v96
	v_bitop3_b32 v90, v90, v94, v93 bitop3:0x80
	v_mad_u32_u24 v93, v92, 36, v148
	v_xor_b32_e32 v91, s20, v91
	v_xor_b32_e32 v94, s21, v97
	s_delay_alu instid0(VALU_DEP_4) | instskip(SKIP_3) | instid1(VALU_DEP_2)
	v_bitop3_b32 v90, v90, v96, v95 bitop3:0x80
	ds_load_b32 v193, v93 offset:1056
	; wave barrier
	v_bitop3_b32 v90, v90, v94, v91 bitop3:0x80
	v_mul_u32_u24_e32 v91, 36, v92
	v_mbcnt_lo_u32_b32 v194, v90, 0
	v_cmp_ne_u32_e64 s15, 0, v90
	s_delay_alu instid0(VALU_DEP_3) | instskip(NEXT) | instid1(VALU_DEP_3)
	v_add_nc_u32_e32 v195, v148, v91
	v_cmp_eq_u32_e32 vcc_lo, 0, v194
	s_and_b32 s16, s15, vcc_lo
	s_delay_alu instid0(SALU_CYCLE_1)
	s_and_saveexec_b32 s15, s16
	s_cbranch_execz .LBB1142_155
; %bb.154:                              ;   in Loop: Header=BB1142_101 Depth=2
	s_wait_dscnt 0x0
	v_bcnt_u32_b32 v90, v90, v193
	ds_store_b32 v195, v90 offset:1056
.LBB1142_155:                           ;   in Loop: Header=BB1142_101 Depth=2
	s_or_b32 exec_lo, exec_lo, s15
	v_cmp_gt_i64_e32 vcc_lo, 0, v[84:85]
	; wave barrier
	v_cndmask_b32_e64 v91, 0x7fffffff, 0, vcc_lo
	s_delay_alu instid0(VALU_DEP_1) | instskip(NEXT) | instid1(VALU_DEP_1)
	v_dual_ashrrev_i32 v90, 31, v85 :: v_dual_bitop2_b32 v85, v91, v85 bitop3:0x14
	v_not_b32_e32 v90, v90
	s_delay_alu instid0(VALU_DEP_1) | instskip(NEXT) | instid1(VALU_DEP_1)
	v_xor_b32_e32 v84, v90, v84
	v_cmp_ne_u64_e32 vcc_lo, s[42:43], v[84:85]
	v_cndmask_b32_e32 v91, 0x7fffffff, v85, vcc_lo
	v_cndmask_b32_e32 v90, -1, v84, vcc_lo
	s_delay_alu instid0(VALU_DEP_1) | instskip(NEXT) | instid1(VALU_DEP_1)
	v_lshrrev_b64 v[90:91], s54, v[90:91]
	v_bitop3_b32 v91, v90, 1, s59 bitop3:0x80
	v_and_b32_e32 v92, s59, v90
	s_delay_alu instid0(VALU_DEP_2) | instskip(NEXT) | instid1(VALU_DEP_1)
	v_add_co_u32 v90, s15, v91, -1
	v_cndmask_b32_e64 v91, 0, 1, s15
	s_delay_alu instid0(VALU_DEP_3) | instskip(SKIP_1) | instid1(VALU_DEP_3)
	v_dual_lshlrev_b32 v93, 30, v92 :: v_dual_lshlrev_b32 v95, 28, v92
	v_dual_lshlrev_b32 v94, 29, v92 :: v_dual_lshlrev_b32 v96, 27, v92
	v_cmp_ne_u32_e32 vcc_lo, 0, v91
	s_delay_alu instid0(VALU_DEP_3) | instskip(SKIP_1) | instid1(VALU_DEP_4)
	v_cmp_gt_i32_e64 s15, 0, v93
	v_not_b32_e32 v91, v93
	v_cmp_gt_i32_e64 s16, 0, v94
	v_not_b32_e32 v93, v94
	;; [unrolled: 2-line block ×3, first 2 shown]
	v_not_b32_e32 v95, v96
	s_delay_alu instid0(VALU_DEP_4) | instskip(NEXT) | instid1(VALU_DEP_2)
	v_dual_ashrrev_i32 v91, 31, v91 :: v_dual_ashrrev_i32 v93, 31, v93
	v_dual_ashrrev_i32 v94, 31, v94 :: v_dual_ashrrev_i32 v95, 31, v95
	v_dual_lshlrev_b32 v97, 26, v92 :: v_dual_lshlrev_b32 v196, 25, v92
	v_lshlrev_b32_e32 v197, 24, v92
	v_cmp_gt_i32_e64 s18, 0, v96
	v_xor_b32_e32 v91, s15, v91
	s_delay_alu instid0(VALU_DEP_4)
	v_not_b32_e32 v96, v97
	v_xor_b32_e32 v90, vcc_lo, v90
	v_cmp_gt_i32_e64 s19, 0, v97
	v_cmp_gt_i32_e64 s20, 0, v196
	v_not_b32_e32 v97, v196
	v_not_b32_e32 v196, v197
	v_dual_ashrrev_i32 v96, 31, v96 :: v_dual_bitop2_b32 v93, s16, v93 bitop3:0x14
	v_xor_b32_e32 v94, s17, v94
	v_bitop3_b32 v90, v90, v91, exec_lo bitop3:0x80
	v_cmp_gt_i32_e64 s21, 0, v197
	v_dual_ashrrev_i32 v91, 31, v97 :: v_dual_ashrrev_i32 v97, 31, v196
	v_xor_b32_e32 v95, s18, v95
	v_xor_b32_e32 v96, s19, v96
	v_bitop3_b32 v90, v90, v94, v93 bitop3:0x80
	v_mad_u32_u24 v93, v92, 36, v148
	v_xor_b32_e32 v91, s20, v91
	v_xor_b32_e32 v94, s21, v97
	s_delay_alu instid0(VALU_DEP_4) | instskip(SKIP_3) | instid1(VALU_DEP_2)
	v_bitop3_b32 v90, v90, v96, v95 bitop3:0x80
	ds_load_b32 v196, v93 offset:1056
	; wave barrier
	v_bitop3_b32 v90, v90, v94, v91 bitop3:0x80
	v_mul_u32_u24_e32 v91, 36, v92
	v_mbcnt_lo_u32_b32 v197, v90, 0
	v_cmp_ne_u32_e64 s15, 0, v90
	s_delay_alu instid0(VALU_DEP_3) | instskip(NEXT) | instid1(VALU_DEP_3)
	v_add_nc_u32_e32 v198, v148, v91
	v_cmp_eq_u32_e32 vcc_lo, 0, v197
	s_and_b32 s16, s15, vcc_lo
	s_delay_alu instid0(SALU_CYCLE_1)
	s_and_saveexec_b32 s15, s16
	s_cbranch_execz .LBB1142_157
; %bb.156:                              ;   in Loop: Header=BB1142_101 Depth=2
	s_wait_dscnt 0x0
	v_bcnt_u32_b32 v90, v90, v196
	ds_store_b32 v198, v90 offset:1056
.LBB1142_157:                           ;   in Loop: Header=BB1142_101 Depth=2
	s_or_b32 exec_lo, exec_lo, s15
	v_cmp_gt_i64_e32 vcc_lo, 0, v[80:81]
	; wave barrier
	v_cndmask_b32_e64 v91, 0x7fffffff, 0, vcc_lo
	s_delay_alu instid0(VALU_DEP_1) | instskip(NEXT) | instid1(VALU_DEP_1)
	v_dual_ashrrev_i32 v90, 31, v81 :: v_dual_bitop2_b32 v81, v91, v81 bitop3:0x14
	v_not_b32_e32 v90, v90
	s_delay_alu instid0(VALU_DEP_1) | instskip(NEXT) | instid1(VALU_DEP_1)
	v_xor_b32_e32 v80, v90, v80
	v_cmp_ne_u64_e32 vcc_lo, s[42:43], v[80:81]
	v_cndmask_b32_e32 v91, 0x7fffffff, v81, vcc_lo
	v_cndmask_b32_e32 v90, -1, v80, vcc_lo
	s_delay_alu instid0(VALU_DEP_1) | instskip(NEXT) | instid1(VALU_DEP_1)
	v_lshrrev_b64 v[90:91], s54, v[90:91]
	v_bitop3_b32 v91, v90, 1, s59 bitop3:0x80
	v_and_b32_e32 v92, s59, v90
	s_delay_alu instid0(VALU_DEP_2) | instskip(NEXT) | instid1(VALU_DEP_1)
	v_add_co_u32 v90, s15, v91, -1
	v_cndmask_b32_e64 v91, 0, 1, s15
	s_delay_alu instid0(VALU_DEP_3) | instskip(SKIP_1) | instid1(VALU_DEP_3)
	v_dual_lshlrev_b32 v93, 30, v92 :: v_dual_lshlrev_b32 v95, 28, v92
	v_dual_lshlrev_b32 v94, 29, v92 :: v_dual_lshlrev_b32 v96, 27, v92
	v_cmp_ne_u32_e32 vcc_lo, 0, v91
	s_delay_alu instid0(VALU_DEP_3) | instskip(SKIP_1) | instid1(VALU_DEP_4)
	v_cmp_gt_i32_e64 s15, 0, v93
	v_not_b32_e32 v91, v93
	v_cmp_gt_i32_e64 s16, 0, v94
	v_not_b32_e32 v93, v94
	v_cmp_gt_i32_e64 s17, 0, v95
	v_not_b32_e32 v94, v95
	v_not_b32_e32 v95, v96
	s_delay_alu instid0(VALU_DEP_4) | instskip(NEXT) | instid1(VALU_DEP_2)
	v_dual_ashrrev_i32 v91, 31, v91 :: v_dual_ashrrev_i32 v93, 31, v93
	v_dual_ashrrev_i32 v94, 31, v94 :: v_dual_ashrrev_i32 v95, 31, v95
	v_dual_lshlrev_b32 v97, 26, v92 :: v_dual_lshlrev_b32 v199, 25, v92
	v_lshlrev_b32_e32 v200, 24, v92
	v_cmp_gt_i32_e64 s18, 0, v96
	v_xor_b32_e32 v91, s15, v91
	s_delay_alu instid0(VALU_DEP_4)
	v_not_b32_e32 v96, v97
	v_xor_b32_e32 v90, vcc_lo, v90
	v_cmp_gt_i32_e64 s19, 0, v97
	v_cmp_gt_i32_e64 s20, 0, v199
	v_not_b32_e32 v97, v199
	v_not_b32_e32 v199, v200
	v_dual_ashrrev_i32 v96, 31, v96 :: v_dual_bitop2_b32 v93, s16, v93 bitop3:0x14
	v_xor_b32_e32 v94, s17, v94
	v_bitop3_b32 v90, v90, v91, exec_lo bitop3:0x80
	v_cmp_gt_i32_e64 s21, 0, v200
	v_dual_ashrrev_i32 v91, 31, v97 :: v_dual_ashrrev_i32 v97, 31, v199
	v_xor_b32_e32 v95, s18, v95
	v_xor_b32_e32 v96, s19, v96
	v_bitop3_b32 v90, v90, v94, v93 bitop3:0x80
	v_mad_u32_u24 v93, v92, 36, v148
	v_xor_b32_e32 v91, s20, v91
	v_xor_b32_e32 v94, s21, v97
	s_delay_alu instid0(VALU_DEP_4) | instskip(SKIP_3) | instid1(VALU_DEP_2)
	v_bitop3_b32 v90, v90, v96, v95 bitop3:0x80
	ds_load_b32 v199, v93 offset:1056
	; wave barrier
	v_bitop3_b32 v90, v90, v94, v91 bitop3:0x80
	v_mul_u32_u24_e32 v91, 36, v92
	v_mbcnt_lo_u32_b32 v200, v90, 0
	v_cmp_ne_u32_e64 s15, 0, v90
	s_delay_alu instid0(VALU_DEP_3) | instskip(NEXT) | instid1(VALU_DEP_3)
	v_add_nc_u32_e32 v201, v148, v91
	v_cmp_eq_u32_e32 vcc_lo, 0, v200
	s_and_b32 s16, s15, vcc_lo
	s_delay_alu instid0(SALU_CYCLE_1)
	s_and_saveexec_b32 s15, s16
	s_cbranch_execz .LBB1142_159
; %bb.158:                              ;   in Loop: Header=BB1142_101 Depth=2
	s_wait_dscnt 0x0
	v_bcnt_u32_b32 v90, v90, v199
	ds_store_b32 v201, v90 offset:1056
.LBB1142_159:                           ;   in Loop: Header=BB1142_101 Depth=2
	s_or_b32 exec_lo, exec_lo, s15
	v_cmp_gt_i64_e32 vcc_lo, 0, v[76:77]
	; wave barrier
	v_cndmask_b32_e64 v91, 0x7fffffff, 0, vcc_lo
	s_delay_alu instid0(VALU_DEP_1) | instskip(NEXT) | instid1(VALU_DEP_1)
	v_dual_ashrrev_i32 v90, 31, v77 :: v_dual_bitop2_b32 v77, v91, v77 bitop3:0x14
	v_not_b32_e32 v90, v90
	s_delay_alu instid0(VALU_DEP_1) | instskip(NEXT) | instid1(VALU_DEP_1)
	v_xor_b32_e32 v76, v90, v76
	v_cmp_ne_u64_e32 vcc_lo, s[42:43], v[76:77]
	v_cndmask_b32_e32 v91, 0x7fffffff, v77, vcc_lo
	v_cndmask_b32_e32 v90, -1, v76, vcc_lo
	s_delay_alu instid0(VALU_DEP_1) | instskip(NEXT) | instid1(VALU_DEP_1)
	v_lshrrev_b64 v[90:91], s54, v[90:91]
	v_bitop3_b32 v91, v90, 1, s59 bitop3:0x80
	v_and_b32_e32 v92, s59, v90
	s_delay_alu instid0(VALU_DEP_2) | instskip(NEXT) | instid1(VALU_DEP_1)
	v_add_co_u32 v90, s15, v91, -1
	v_cndmask_b32_e64 v91, 0, 1, s15
	s_delay_alu instid0(VALU_DEP_3) | instskip(SKIP_1) | instid1(VALU_DEP_3)
	v_dual_lshlrev_b32 v93, 30, v92 :: v_dual_lshlrev_b32 v95, 28, v92
	v_dual_lshlrev_b32 v94, 29, v92 :: v_dual_lshlrev_b32 v96, 27, v92
	v_cmp_ne_u32_e32 vcc_lo, 0, v91
	s_delay_alu instid0(VALU_DEP_3) | instskip(SKIP_1) | instid1(VALU_DEP_4)
	v_cmp_gt_i32_e64 s15, 0, v93
	v_not_b32_e32 v91, v93
	v_cmp_gt_i32_e64 s16, 0, v94
	v_not_b32_e32 v93, v94
	;; [unrolled: 2-line block ×3, first 2 shown]
	v_not_b32_e32 v95, v96
	s_delay_alu instid0(VALU_DEP_4) | instskip(NEXT) | instid1(VALU_DEP_2)
	v_dual_ashrrev_i32 v91, 31, v91 :: v_dual_ashrrev_i32 v93, 31, v93
	v_dual_ashrrev_i32 v94, 31, v94 :: v_dual_ashrrev_i32 v95, 31, v95
	v_dual_lshlrev_b32 v97, 26, v92 :: v_dual_lshlrev_b32 v202, 25, v92
	v_lshlrev_b32_e32 v203, 24, v92
	v_cmp_gt_i32_e64 s18, 0, v96
	v_xor_b32_e32 v91, s15, v91
	s_delay_alu instid0(VALU_DEP_4)
	v_not_b32_e32 v96, v97
	v_xor_b32_e32 v90, vcc_lo, v90
	v_cmp_gt_i32_e64 s19, 0, v97
	v_cmp_gt_i32_e64 s20, 0, v202
	v_not_b32_e32 v97, v202
	v_not_b32_e32 v202, v203
	v_dual_ashrrev_i32 v96, 31, v96 :: v_dual_bitop2_b32 v93, s16, v93 bitop3:0x14
	v_xor_b32_e32 v94, s17, v94
	v_bitop3_b32 v90, v90, v91, exec_lo bitop3:0x80
	v_cmp_gt_i32_e64 s21, 0, v203
	v_dual_ashrrev_i32 v91, 31, v97 :: v_dual_ashrrev_i32 v97, 31, v202
	v_xor_b32_e32 v95, s18, v95
	v_xor_b32_e32 v96, s19, v96
	v_bitop3_b32 v90, v90, v94, v93 bitop3:0x80
	v_mad_u32_u24 v93, v92, 36, v148
	v_xor_b32_e32 v91, s20, v91
	v_xor_b32_e32 v94, s21, v97
	s_delay_alu instid0(VALU_DEP_4) | instskip(SKIP_3) | instid1(VALU_DEP_2)
	v_bitop3_b32 v90, v90, v96, v95 bitop3:0x80
	ds_load_b32 v202, v93 offset:1056
	; wave barrier
	v_bitop3_b32 v90, v90, v94, v91 bitop3:0x80
	v_mul_u32_u24_e32 v91, 36, v92
	v_mbcnt_lo_u32_b32 v203, v90, 0
	v_cmp_ne_u32_e64 s15, 0, v90
	s_delay_alu instid0(VALU_DEP_3) | instskip(NEXT) | instid1(VALU_DEP_3)
	v_add_nc_u32_e32 v204, v148, v91
	v_cmp_eq_u32_e32 vcc_lo, 0, v203
	s_and_b32 s16, s15, vcc_lo
	s_delay_alu instid0(SALU_CYCLE_1)
	s_and_saveexec_b32 s15, s16
	s_cbranch_execz .LBB1142_161
; %bb.160:                              ;   in Loop: Header=BB1142_101 Depth=2
	s_wait_dscnt 0x0
	v_bcnt_u32_b32 v90, v90, v202
	ds_store_b32 v204, v90 offset:1056
.LBB1142_161:                           ;   in Loop: Header=BB1142_101 Depth=2
	s_or_b32 exec_lo, exec_lo, s15
	v_cmp_gt_i64_e32 vcc_lo, 0, v[72:73]
	; wave barrier
	v_cndmask_b32_e64 v91, 0x7fffffff, 0, vcc_lo
	s_delay_alu instid0(VALU_DEP_1) | instskip(NEXT) | instid1(VALU_DEP_1)
	v_dual_ashrrev_i32 v90, 31, v73 :: v_dual_bitop2_b32 v73, v91, v73 bitop3:0x14
	v_not_b32_e32 v90, v90
	s_delay_alu instid0(VALU_DEP_1) | instskip(NEXT) | instid1(VALU_DEP_1)
	v_xor_b32_e32 v72, v90, v72
	v_cmp_ne_u64_e32 vcc_lo, s[42:43], v[72:73]
	v_cndmask_b32_e32 v91, 0x7fffffff, v73, vcc_lo
	v_cndmask_b32_e32 v90, -1, v72, vcc_lo
	s_delay_alu instid0(VALU_DEP_1) | instskip(NEXT) | instid1(VALU_DEP_1)
	v_lshrrev_b64 v[90:91], s54, v[90:91]
	v_bitop3_b32 v91, v90, 1, s59 bitop3:0x80
	v_and_b32_e32 v92, s59, v90
	s_delay_alu instid0(VALU_DEP_2) | instskip(NEXT) | instid1(VALU_DEP_1)
	v_add_co_u32 v90, s15, v91, -1
	v_cndmask_b32_e64 v91, 0, 1, s15
	s_delay_alu instid0(VALU_DEP_3) | instskip(SKIP_1) | instid1(VALU_DEP_3)
	v_dual_lshlrev_b32 v93, 30, v92 :: v_dual_lshlrev_b32 v95, 28, v92
	v_dual_lshlrev_b32 v94, 29, v92 :: v_dual_lshlrev_b32 v96, 27, v92
	v_cmp_ne_u32_e32 vcc_lo, 0, v91
	s_delay_alu instid0(VALU_DEP_3) | instskip(SKIP_1) | instid1(VALU_DEP_4)
	v_cmp_gt_i32_e64 s15, 0, v93
	v_not_b32_e32 v91, v93
	v_cmp_gt_i32_e64 s16, 0, v94
	v_not_b32_e32 v93, v94
	;; [unrolled: 2-line block ×3, first 2 shown]
	v_not_b32_e32 v95, v96
	s_delay_alu instid0(VALU_DEP_4) | instskip(NEXT) | instid1(VALU_DEP_2)
	v_dual_ashrrev_i32 v91, 31, v91 :: v_dual_ashrrev_i32 v93, 31, v93
	v_dual_ashrrev_i32 v94, 31, v94 :: v_dual_ashrrev_i32 v95, 31, v95
	v_dual_lshlrev_b32 v97, 26, v92 :: v_dual_lshlrev_b32 v205, 25, v92
	v_lshlrev_b32_e32 v206, 24, v92
	v_cmp_gt_i32_e64 s18, 0, v96
	v_xor_b32_e32 v91, s15, v91
	s_delay_alu instid0(VALU_DEP_4)
	v_not_b32_e32 v96, v97
	v_xor_b32_e32 v90, vcc_lo, v90
	v_cmp_gt_i32_e64 s19, 0, v97
	v_cmp_gt_i32_e64 s20, 0, v205
	v_not_b32_e32 v97, v205
	v_not_b32_e32 v205, v206
	v_dual_ashrrev_i32 v96, 31, v96 :: v_dual_bitop2_b32 v93, s16, v93 bitop3:0x14
	v_xor_b32_e32 v94, s17, v94
	v_bitop3_b32 v90, v90, v91, exec_lo bitop3:0x80
	v_cmp_gt_i32_e64 s21, 0, v206
	v_ashrrev_i32_e32 v91, 31, v97
	v_dual_ashrrev_i32 v97, 31, v205 :: v_dual_bitop2_b32 v95, s18, v95 bitop3:0x14
	v_xor_b32_e32 v96, s19, v96
	v_bitop3_b32 v90, v90, v94, v93 bitop3:0x80
	v_mad_u32_u24 v93, v92, 36, v148
	v_xor_b32_e32 v91, s20, v91
	v_xor_b32_e32 v94, s21, v97
	s_delay_alu instid0(VALU_DEP_4) | instskip(SKIP_3) | instid1(VALU_DEP_2)
	v_bitop3_b32 v90, v90, v96, v95 bitop3:0x80
	ds_load_b32 v205, v93 offset:1056
	; wave barrier
	v_bitop3_b32 v90, v90, v94, v91 bitop3:0x80
	v_mul_u32_u24_e32 v91, 36, v92
	v_mbcnt_lo_u32_b32 v206, v90, 0
	v_cmp_ne_u32_e64 s15, 0, v90
	s_delay_alu instid0(VALU_DEP_3) | instskip(NEXT) | instid1(VALU_DEP_3)
	v_add_nc_u32_e32 v207, v148, v91
	v_cmp_eq_u32_e32 vcc_lo, 0, v206
	s_and_b32 s16, s15, vcc_lo
	s_delay_alu instid0(SALU_CYCLE_1)
	s_and_saveexec_b32 s15, s16
	s_cbranch_execz .LBB1142_163
; %bb.162:                              ;   in Loop: Header=BB1142_101 Depth=2
	s_wait_dscnt 0x0
	v_bcnt_u32_b32 v90, v90, v205
	ds_store_b32 v207, v90 offset:1056
.LBB1142_163:                           ;   in Loop: Header=BB1142_101 Depth=2
	s_or_b32 exec_lo, exec_lo, s15
	v_cmp_gt_i64_e32 vcc_lo, 0, v[68:69]
	; wave barrier
	v_cndmask_b32_e64 v91, 0x7fffffff, 0, vcc_lo
	s_delay_alu instid0(VALU_DEP_1) | instskip(NEXT) | instid1(VALU_DEP_1)
	v_dual_ashrrev_i32 v90, 31, v69 :: v_dual_bitop2_b32 v69, v91, v69 bitop3:0x14
	v_not_b32_e32 v90, v90
	s_delay_alu instid0(VALU_DEP_1) | instskip(NEXT) | instid1(VALU_DEP_1)
	v_xor_b32_e32 v68, v90, v68
	v_cmp_ne_u64_e32 vcc_lo, s[42:43], v[68:69]
	v_cndmask_b32_e32 v91, 0x7fffffff, v69, vcc_lo
	v_cndmask_b32_e32 v90, -1, v68, vcc_lo
	s_delay_alu instid0(VALU_DEP_1) | instskip(NEXT) | instid1(VALU_DEP_1)
	v_lshrrev_b64 v[90:91], s54, v[90:91]
	v_bitop3_b32 v91, v90, 1, s59 bitop3:0x80
	v_and_b32_e32 v92, s59, v90
	s_delay_alu instid0(VALU_DEP_2) | instskip(NEXT) | instid1(VALU_DEP_1)
	v_add_co_u32 v90, s15, v91, -1
	v_cndmask_b32_e64 v91, 0, 1, s15
	s_delay_alu instid0(VALU_DEP_3) | instskip(SKIP_1) | instid1(VALU_DEP_3)
	v_dual_lshlrev_b32 v93, 30, v92 :: v_dual_lshlrev_b32 v95, 28, v92
	v_dual_lshlrev_b32 v94, 29, v92 :: v_dual_lshlrev_b32 v96, 27, v92
	v_cmp_ne_u32_e32 vcc_lo, 0, v91
	s_delay_alu instid0(VALU_DEP_3) | instskip(SKIP_1) | instid1(VALU_DEP_4)
	v_cmp_gt_i32_e64 s15, 0, v93
	v_not_b32_e32 v91, v93
	v_cmp_gt_i32_e64 s16, 0, v94
	v_not_b32_e32 v93, v94
	;; [unrolled: 2-line block ×3, first 2 shown]
	v_not_b32_e32 v95, v96
	s_delay_alu instid0(VALU_DEP_4) | instskip(NEXT) | instid1(VALU_DEP_2)
	v_dual_ashrrev_i32 v91, 31, v91 :: v_dual_ashrrev_i32 v93, 31, v93
	v_dual_ashrrev_i32 v94, 31, v94 :: v_dual_ashrrev_i32 v95, 31, v95
	v_dual_lshlrev_b32 v97, 26, v92 :: v_dual_lshlrev_b32 v208, 25, v92
	v_lshlrev_b32_e32 v209, 24, v92
	v_cmp_gt_i32_e64 s18, 0, v96
	v_xor_b32_e32 v91, s15, v91
	s_delay_alu instid0(VALU_DEP_4)
	v_not_b32_e32 v96, v97
	v_xor_b32_e32 v90, vcc_lo, v90
	v_cmp_gt_i32_e64 s19, 0, v97
	v_cmp_gt_i32_e64 s20, 0, v208
	v_not_b32_e32 v97, v208
	v_not_b32_e32 v208, v209
	v_dual_ashrrev_i32 v96, 31, v96 :: v_dual_bitop2_b32 v93, s16, v93 bitop3:0x14
	v_xor_b32_e32 v94, s17, v94
	v_bitop3_b32 v90, v90, v91, exec_lo bitop3:0x80
	v_cmp_gt_i32_e64 s21, 0, v209
	v_dual_ashrrev_i32 v91, 31, v97 :: v_dual_ashrrev_i32 v97, 31, v208
	v_xor_b32_e32 v95, s18, v95
	v_xor_b32_e32 v96, s19, v96
	v_bitop3_b32 v90, v90, v94, v93 bitop3:0x80
	v_mad_u32_u24 v93, v92, 36, v148
	v_xor_b32_e32 v91, s20, v91
	v_xor_b32_e32 v94, s21, v97
	s_delay_alu instid0(VALU_DEP_4) | instskip(SKIP_3) | instid1(VALU_DEP_2)
	v_bitop3_b32 v90, v90, v96, v95 bitop3:0x80
	ds_load_b32 v208, v93 offset:1056
	; wave barrier
	v_bitop3_b32 v90, v90, v94, v91 bitop3:0x80
	v_mul_u32_u24_e32 v91, 36, v92
	v_mbcnt_lo_u32_b32 v209, v90, 0
	v_cmp_ne_u32_e64 s15, 0, v90
	s_delay_alu instid0(VALU_DEP_3) | instskip(NEXT) | instid1(VALU_DEP_3)
	v_add_nc_u32_e32 v211, v148, v91
	v_cmp_eq_u32_e32 vcc_lo, 0, v209
	s_and_b32 s16, s15, vcc_lo
	s_delay_alu instid0(SALU_CYCLE_1)
	s_and_saveexec_b32 s15, s16
	s_cbranch_execz .LBB1142_165
; %bb.164:                              ;   in Loop: Header=BB1142_101 Depth=2
	s_wait_dscnt 0x0
	v_bcnt_u32_b32 v90, v90, v208
	ds_store_b32 v211, v90 offset:1056
.LBB1142_165:                           ;   in Loop: Header=BB1142_101 Depth=2
	s_or_b32 exec_lo, exec_lo, s15
	v_cmp_gt_i64_e32 vcc_lo, 0, v[64:65]
	; wave barrier
	v_cndmask_b32_e64 v91, 0x7fffffff, 0, vcc_lo
	s_delay_alu instid0(VALU_DEP_1) | instskip(NEXT) | instid1(VALU_DEP_1)
	v_dual_ashrrev_i32 v90, 31, v65 :: v_dual_bitop2_b32 v65, v91, v65 bitop3:0x14
	v_not_b32_e32 v90, v90
	s_delay_alu instid0(VALU_DEP_1) | instskip(NEXT) | instid1(VALU_DEP_1)
	v_xor_b32_e32 v64, v90, v64
	v_cmp_ne_u64_e32 vcc_lo, s[42:43], v[64:65]
	v_cndmask_b32_e32 v91, 0x7fffffff, v65, vcc_lo
	v_cndmask_b32_e32 v90, -1, v64, vcc_lo
	s_delay_alu instid0(VALU_DEP_1) | instskip(NEXT) | instid1(VALU_DEP_1)
	v_lshrrev_b64 v[90:91], s54, v[90:91]
	v_bitop3_b32 v91, v90, 1, s59 bitop3:0x80
	v_and_b32_e32 v92, s59, v90
	s_delay_alu instid0(VALU_DEP_2) | instskip(NEXT) | instid1(VALU_DEP_1)
	v_add_co_u32 v90, s15, v91, -1
	v_cndmask_b32_e64 v91, 0, 1, s15
	s_delay_alu instid0(VALU_DEP_3) | instskip(SKIP_1) | instid1(VALU_DEP_3)
	v_dual_lshlrev_b32 v93, 30, v92 :: v_dual_lshlrev_b32 v95, 28, v92
	v_dual_lshlrev_b32 v94, 29, v92 :: v_dual_lshlrev_b32 v96, 27, v92
	v_cmp_ne_u32_e32 vcc_lo, 0, v91
	s_delay_alu instid0(VALU_DEP_3) | instskip(SKIP_1) | instid1(VALU_DEP_4)
	v_cmp_gt_i32_e64 s15, 0, v93
	v_not_b32_e32 v91, v93
	v_cmp_gt_i32_e64 s16, 0, v94
	v_not_b32_e32 v93, v94
	;; [unrolled: 2-line block ×3, first 2 shown]
	v_not_b32_e32 v95, v96
	s_delay_alu instid0(VALU_DEP_4) | instskip(NEXT) | instid1(VALU_DEP_2)
	v_dual_ashrrev_i32 v91, 31, v91 :: v_dual_ashrrev_i32 v93, 31, v93
	v_dual_ashrrev_i32 v94, 31, v94 :: v_dual_ashrrev_i32 v95, 31, v95
	v_dual_lshlrev_b32 v97, 26, v92 :: v_dual_lshlrev_b32 v210, 25, v92
	v_lshlrev_b32_e32 v212, 24, v92
	v_cmp_gt_i32_e64 s18, 0, v96
	v_xor_b32_e32 v91, s15, v91
	s_delay_alu instid0(VALU_DEP_4)
	v_not_b32_e32 v96, v97
	v_xor_b32_e32 v90, vcc_lo, v90
	v_cmp_gt_i32_e64 s19, 0, v97
	v_cmp_gt_i32_e64 s20, 0, v210
	v_not_b32_e32 v97, v210
	v_not_b32_e32 v210, v212
	v_dual_ashrrev_i32 v96, 31, v96 :: v_dual_bitop2_b32 v93, s16, v93 bitop3:0x14
	v_xor_b32_e32 v94, s17, v94
	v_bitop3_b32 v90, v90, v91, exec_lo bitop3:0x80
	v_cmp_gt_i32_e64 s21, 0, v212
	v_dual_ashrrev_i32 v91, 31, v97 :: v_dual_ashrrev_i32 v97, 31, v210
	v_xor_b32_e32 v95, s18, v95
	v_xor_b32_e32 v96, s19, v96
	v_bitop3_b32 v90, v90, v94, v93 bitop3:0x80
	v_mad_u32_u24 v93, v92, 36, v148
	v_xor_b32_e32 v91, s20, v91
	v_xor_b32_e32 v94, s21, v97
	s_delay_alu instid0(VALU_DEP_4) | instskip(SKIP_3) | instid1(VALU_DEP_2)
	v_bitop3_b32 v90, v90, v96, v95 bitop3:0x80
	ds_load_b32 v210, v93 offset:1056
	; wave barrier
	v_bitop3_b32 v90, v90, v94, v91 bitop3:0x80
	v_mul_u32_u24_e32 v91, 36, v92
	v_mbcnt_lo_u32_b32 v212, v90, 0
	v_cmp_ne_u32_e64 s15, 0, v90
	s_delay_alu instid0(VALU_DEP_3) | instskip(NEXT) | instid1(VALU_DEP_3)
	v_add_nc_u32_e32 v215, v148, v91
	v_cmp_eq_u32_e32 vcc_lo, 0, v212
	s_and_b32 s16, s15, vcc_lo
	s_delay_alu instid0(SALU_CYCLE_1)
	s_and_saveexec_b32 s15, s16
	s_cbranch_execz .LBB1142_167
; %bb.166:                              ;   in Loop: Header=BB1142_101 Depth=2
	s_wait_dscnt 0x0
	v_bcnt_u32_b32 v90, v90, v210
	ds_store_b32 v215, v90 offset:1056
.LBB1142_167:                           ;   in Loop: Header=BB1142_101 Depth=2
	s_or_b32 exec_lo, exec_lo, s15
	v_cmp_gt_i64_e32 vcc_lo, 0, v[66:67]
	; wave barrier
	v_cndmask_b32_e64 v91, 0x7fffffff, 0, vcc_lo
	s_delay_alu instid0(VALU_DEP_1) | instskip(NEXT) | instid1(VALU_DEP_1)
	v_dual_ashrrev_i32 v90, 31, v67 :: v_dual_bitop2_b32 v67, v91, v67 bitop3:0x14
	v_not_b32_e32 v90, v90
	s_delay_alu instid0(VALU_DEP_1) | instskip(NEXT) | instid1(VALU_DEP_1)
	v_xor_b32_e32 v66, v90, v66
	v_cmp_ne_u64_e32 vcc_lo, s[42:43], v[66:67]
	v_cndmask_b32_e32 v91, 0x7fffffff, v67, vcc_lo
	v_cndmask_b32_e32 v90, -1, v66, vcc_lo
	s_delay_alu instid0(VALU_DEP_1) | instskip(NEXT) | instid1(VALU_DEP_1)
	v_lshrrev_b64 v[90:91], s54, v[90:91]
	v_bitop3_b32 v91, v90, 1, s59 bitop3:0x80
	v_and_b32_e32 v92, s59, v90
	s_delay_alu instid0(VALU_DEP_2) | instskip(NEXT) | instid1(VALU_DEP_1)
	v_add_co_u32 v90, s15, v91, -1
	v_cndmask_b32_e64 v91, 0, 1, s15
	s_delay_alu instid0(VALU_DEP_3) | instskip(NEXT) | instid1(VALU_DEP_2)
	v_lshlrev_b32_e32 v93, 30, v92
	v_cmp_ne_u32_e32 vcc_lo, 0, v91
	s_delay_alu instid0(VALU_DEP_2) | instskip(SKIP_1) | instid1(VALU_DEP_2)
	v_not_b32_e32 v91, v93
	v_cmp_gt_i32_e64 s15, 0, v93
	v_dual_ashrrev_i32 v91, 31, v91 :: v_dual_lshlrev_b32 v94, 29, v92
	v_dual_lshlrev_b32 v95, 28, v92 :: v_dual_lshlrev_b32 v96, 27, v92
	v_dual_lshlrev_b32 v97, 26, v92 :: v_dual_lshlrev_b32 v213, 25, v92
	v_lshlrev_b32_e32 v214, 24, v92
	s_delay_alu instid0(VALU_DEP_4)
	v_cmp_gt_i32_e64 s16, 0, v94
	v_not_b32_e32 v93, v94
	v_not_b32_e32 v94, v95
	v_cmp_gt_i32_e64 s17, 0, v95
	v_cmp_gt_i32_e64 s18, 0, v96
	v_not_b32_e32 v95, v96
	v_not_b32_e32 v96, v97
	v_dual_ashrrev_i32 v93, 31, v93 :: v_dual_bitop2_b32 v90, vcc_lo, v90 bitop3:0x14
	v_dual_ashrrev_i32 v94, 31, v94 :: v_dual_bitop2_b32 v91, s15, v91 bitop3:0x14
	v_cmp_gt_i32_e64 s19, 0, v97
	v_cmp_gt_i32_e64 s20, 0, v213
	v_not_b32_e32 v97, v213
	v_not_b32_e32 v213, v214
	v_dual_ashrrev_i32 v95, 31, v95 :: v_dual_ashrrev_i32 v96, 31, v96
	v_xor_b32_e32 v93, s16, v93
	v_xor_b32_e32 v94, s17, v94
	v_bitop3_b32 v90, v90, v91, exec_lo bitop3:0x80
	v_cmp_gt_i32_e64 s21, 0, v214
	v_ashrrev_i32_e32 v91, 31, v97
	v_dual_ashrrev_i32 v97, 31, v213 :: v_dual_bitop2_b32 v95, s18, v95 bitop3:0x14
	v_xor_b32_e32 v96, s19, v96
	v_bitop3_b32 v90, v90, v94, v93 bitop3:0x80
	v_mad_u32_u24 v93, v92, 36, v148
	v_xor_b32_e32 v91, s20, v91
	v_xor_b32_e32 v94, s21, v97
	s_delay_alu instid0(VALU_DEP_4) | instskip(SKIP_3) | instid1(VALU_DEP_2)
	v_bitop3_b32 v90, v90, v96, v95 bitop3:0x80
	ds_load_b32 v213, v93 offset:1056
	; wave barrier
	v_bitop3_b32 v90, v90, v94, v91 bitop3:0x80
	v_mul_u32_u24_e32 v91, 36, v92
	v_mbcnt_lo_u32_b32 v214, v90, 0
	v_cmp_ne_u32_e64 s15, 0, v90
	s_delay_alu instid0(VALU_DEP_3) | instskip(NEXT) | instid1(VALU_DEP_3)
	v_add_nc_u32_e32 v216, v148, v91
	v_cmp_eq_u32_e32 vcc_lo, 0, v214
	s_and_b32 s16, s15, vcc_lo
	s_delay_alu instid0(SALU_CYCLE_1)
	s_and_saveexec_b32 s15, s16
	s_cbranch_execz .LBB1142_169
; %bb.168:                              ;   in Loop: Header=BB1142_101 Depth=2
	s_wait_dscnt 0x0
	v_bcnt_u32_b32 v90, v90, v213
	ds_store_b32 v216, v90 offset:1056
.LBB1142_169:                           ;   in Loop: Header=BB1142_101 Depth=2
	s_or_b32 exec_lo, exec_lo, s15
	; wave barrier
	s_wait_dscnt 0x0
	s_barrier_signal -1
	s_barrier_wait -1
	ds_load_2addr_b32 v[96:97], v168 offset1:1
	ds_load_2addr_b32 v[94:95], v169 offset1:1
	;; [unrolled: 1-line block ×4, first 2 shown]
	ds_load_b32 v217, v120 offset:1088
	s_wait_dscnt 0x3
	v_add3_u32 v218, v97, v96, v94
	s_wait_dscnt 0x2
	s_delay_alu instid0(VALU_DEP_1) | instskip(SKIP_1) | instid1(VALU_DEP_1)
	v_add3_u32 v218, v218, v95, v92
	s_wait_dscnt 0x1
	v_add3_u32 v218, v218, v93, v90
	s_wait_dscnt 0x0
	s_delay_alu instid0(VALU_DEP_1) | instskip(NEXT) | instid1(VALU_DEP_1)
	v_add3_u32 v217, v218, v91, v217
	v_mov_b32_dpp v218, v217 row_shr:1 row_mask:0xf bank_mask:0xf
	s_delay_alu instid0(VALU_DEP_1) | instskip(NEXT) | instid1(VALU_DEP_1)
	v_cndmask_b32_e64 v218, v218, 0, s7
	v_add_nc_u32_e32 v217, v218, v217
	s_delay_alu instid0(VALU_DEP_1) | instskip(NEXT) | instid1(VALU_DEP_1)
	v_mov_b32_dpp v218, v217 row_shr:2 row_mask:0xf bank_mask:0xf
	v_cndmask_b32_e64 v218, 0, v218, s8
	s_delay_alu instid0(VALU_DEP_1) | instskip(NEXT) | instid1(VALU_DEP_1)
	v_add_nc_u32_e32 v217, v217, v218
	v_mov_b32_dpp v218, v217 row_shr:4 row_mask:0xf bank_mask:0xf
	s_delay_alu instid0(VALU_DEP_1) | instskip(NEXT) | instid1(VALU_DEP_1)
	v_cndmask_b32_e64 v218, 0, v218, s9
	v_add_nc_u32_e32 v217, v217, v218
	s_delay_alu instid0(VALU_DEP_1) | instskip(NEXT) | instid1(VALU_DEP_1)
	v_mov_b32_dpp v218, v217 row_shr:8 row_mask:0xf bank_mask:0xf
	v_cndmask_b32_e64 v218, 0, v218, s10
	s_delay_alu instid0(VALU_DEP_1) | instskip(SKIP_3) | instid1(VALU_DEP_1)
	v_add_nc_u32_e32 v217, v217, v218
	ds_swizzle_b32 v218, v217 offset:swizzle(BROADCAST,32,15)
	s_wait_dscnt 0x0
	v_cndmask_b32_e64 v218, v218, 0, s11
	v_add_nc_u32_e32 v217, v217, v218
	s_and_saveexec_b32 s15, s1
; %bb.170:                              ;   in Loop: Header=BB1142_101 Depth=2
	ds_store_b32 v114, v217 offset:1024
; %bb.171:                              ;   in Loop: Header=BB1142_101 Depth=2
	s_or_b32 exec_lo, exec_lo, s15
	s_wait_dscnt 0x0
	s_barrier_signal -1
	s_barrier_wait -1
	s_and_saveexec_b32 s15, s4
	s_cbranch_execz .LBB1142_173
; %bb.172:                              ;   in Loop: Header=BB1142_101 Depth=2
	ds_load_b32 v218, v122 offset:1024
	s_wait_dscnt 0x0
	v_mov_b32_dpp v219, v218 row_shr:1 row_mask:0xf bank_mask:0xf
	s_delay_alu instid0(VALU_DEP_1) | instskip(NEXT) | instid1(VALU_DEP_1)
	v_cndmask_b32_e64 v219, v219, 0, s12
	v_add_nc_u32_e32 v218, v219, v218
	s_delay_alu instid0(VALU_DEP_1) | instskip(NEXT) | instid1(VALU_DEP_1)
	v_mov_b32_dpp v219, v218 row_shr:2 row_mask:0xf bank_mask:0xf
	v_cndmask_b32_e64 v219, 0, v219, s13
	s_delay_alu instid0(VALU_DEP_1) | instskip(NEXT) | instid1(VALU_DEP_1)
	v_add_nc_u32_e32 v218, v218, v219
	v_mov_b32_dpp v219, v218 row_shr:4 row_mask:0xf bank_mask:0xf
	s_delay_alu instid0(VALU_DEP_1) | instskip(NEXT) | instid1(VALU_DEP_1)
	v_cndmask_b32_e64 v219, 0, v219, s14
	v_add_nc_u32_e32 v218, v218, v219
	ds_store_b32 v122, v218 offset:1024
.LBB1142_173:                           ;   in Loop: Header=BB1142_101 Depth=2
	s_or_b32 exec_lo, exec_lo, s15
	v_mov_b32_e32 v218, 0
	s_wait_dscnt 0x0
	s_barrier_signal -1
	s_barrier_wait -1
	s_and_saveexec_b32 s15, s5
; %bb.174:                              ;   in Loop: Header=BB1142_101 Depth=2
	ds_load_b32 v218, v114 offset:1020
; %bb.175:                              ;   in Loop: Header=BB1142_101 Depth=2
	s_or_b32 exec_lo, exec_lo, s15
	s_wait_dscnt 0x0
	v_add_nc_u32_e32 v217, v218, v217
	ds_bpermute_b32 v217, v147, v217
	s_wait_dscnt 0x0
	v_cndmask_b32_e64 v217, v217, v218, s6
	s_delay_alu instid0(VALU_DEP_1) | instskip(NEXT) | instid1(VALU_DEP_1)
	v_cndmask_b32_e64 v217, v217, 0, s2
	v_add_nc_u32_e32 v96, v217, v96
	s_delay_alu instid0(VALU_DEP_1) | instskip(NEXT) | instid1(VALU_DEP_1)
	v_add_nc_u32_e32 v97, v96, v97
	v_add_nc_u32_e32 v94, v97, v94
	s_delay_alu instid0(VALU_DEP_1) | instskip(NEXT) | instid1(VALU_DEP_1)
	v_add_nc_u32_e32 v95, v94, v95
	;; [unrolled: 3-line block ×3, first 2 shown]
	v_add_nc_u32_e32 v90, v93, v90
	s_delay_alu instid0(VALU_DEP_1)
	v_add_nc_u32_e32 v91, v90, v91
	ds_store_2addr_b32 v167, v93, v90 offset1:1
	ds_store_2addr_b32 v168, v217, v96 offset1:1
	;; [unrolled: 1-line block ×4, first 2 shown]
	ds_store_b32 v120, v91 offset:1088
	s_wait_dscnt 0x0
	s_barrier_signal -1
	s_barrier_wait -1
	ds_load_b32 v91, v171 offset:1056
	ds_load_b32 v96, v174 offset:1056
	;; [unrolled: 1-line block ×17, first 2 shown]
	v_mov_b32_e32 v90, 0x1000
	s_and_saveexec_b32 s15, s3
; %bb.176:                              ;   in Loop: Header=BB1142_101 Depth=2
	ds_load_b32 v90, v120 offset:1092
; %bb.177:                              ;   in Loop: Header=BB1142_101 Depth=2
	s_or_b32 exec_lo, exec_lo, s15
	s_wait_dscnt 0x0
	s_barrier_signal -1
	s_barrier_wait -1
	s_and_saveexec_b32 s15, s0
	s_cbranch_execz .LBB1142_179
; %bb.178:                              ;   in Loop: Header=BB1142_101 Depth=2
	ds_load_b32 v189, v3
	s_wait_dscnt 0x0
	v_sub_nc_u32_e32 v186, v189, v186
	ds_store_b32 v3, v186
.LBB1142_179:                           ;   in Loop: Header=BB1142_101 Depth=2
	s_or_b32 exec_lo, exec_lo, s15
	v_dual_lshlrev_b32 v166, 3, v166 :: v_dual_lshlrev_b32 v173, 3, v173
	v_lshlrev_b32_e32 v172, 3, v172
	v_dual_lshlrev_b32 v96, 3, v96 :: v_dual_lshlrev_b32 v95, 3, v95
	s_delay_alu instid0(VALU_DEP_3)
	v_lshl_add_u32 v91, v91, 3, v166
	v_dual_lshlrev_b32 v176, 3, v176 :: v_dual_lshlrev_b32 v166, 3, v175
	v_dual_lshlrev_b32 v175, 3, v179 :: v_dual_lshlrev_b32 v178, 3, v178
	v_lshlrev_b32_e32 v179, 3, v181
	ds_store_b64 v91, v[58:59] offset:1024
	v_dual_lshlrev_b32 v58, 3, v94 :: v_dual_lshlrev_b32 v181, 3, v93
	v_dual_lshlrev_b32 v59, 3, v182 :: v_dual_lshlrev_b32 v182, 3, v185
	v_lshlrev_b32_e32 v184, 3, v184
	v_lshlrev_b32_e32 v185, 3, v92
	v_add3_u32 v92, v173, v172, v96
	v_add3_u32 v93, v176, v166, v95
	;; [unrolled: 1-line block ×4, first 2 shown]
	v_lshlrev_b32_e32 v59, 3, v187
	v_add3_u32 v96, v182, v184, v185
	ds_store_b64 v92, v[60:61] offset:1024
	ds_store_b64 v93, v[62:63] offset:1024
	;; [unrolled: 1-line block ×5, first 2 shown]
	v_dual_lshlrev_b32 v58, 3, v188 :: v_dual_lshlrev_b32 v61, 3, v191
	v_dual_lshlrev_b32 v60, 3, v183 :: v_dual_lshlrev_b32 v62, 3, v190
	;; [unrolled: 1-line block ×3, first 2 shown]
	v_lshlrev_b32_e32 v71, 3, v193
	v_dual_lshlrev_b32 v74, 3, v177 :: v_dual_lshlrev_b32 v78, 3, v196
	v_dual_lshlrev_b32 v75, 3, v197 :: v_dual_lshlrev_b32 v79, 3, v174
	;; [unrolled: 1-line block ×3, first 2 shown]
	v_lshlrev_b32_e32 v171, 3, v171
	v_add3_u32 v60, v58, v59, v60
	v_add3_u32 v61, v61, v62, v63
	;; [unrolled: 1-line block ×4, first 2 shown]
	v_lshlrev_b32_e32 v59, 3, v202
	v_add3_u32 v70, v166, v172, v171
	ds_store_b64 v60, v[82:83] offset:1024
	ds_store_b64 v61, v[86:87] offset:1024
	ds_store_b64 v62, v[88:89] offset:1024
	ds_store_b64 v63, v[84:85] offset:1024
	ds_store_b64 v70, v[80:81] offset:1024
	v_dual_lshlrev_b32 v58, 3, v203 :: v_dual_lshlrev_b32 v71, 3, v170
	v_dual_lshlrev_b32 v74, 3, v206 :: v_dual_lshlrev_b32 v75, 3, v205
	;; [unrolled: 1-line block ×6, first 2 shown]
	v_lshlrev_b32_e32 v86, 3, v213
	v_lshlrev_b32_e32 v87, 3, v97
	v_add3_u32 v71, v58, v59, v71
	v_add3_u32 v74, v74, v75, v78
	;; [unrolled: 1-line block ×5, first 2 shown]
	v_cmp_lt_u32_e32 vcc_lo, v2, v165
	ds_store_b64 v71, v[76:77] offset:1024
	ds_store_b64 v74, v[72:73] offset:1024
	;; [unrolled: 1-line block ×5, first 2 shown]
	s_wait_dscnt 0x0
	s_barrier_signal -1
	s_barrier_wait -1
	s_and_saveexec_b32 s16, vcc_lo
	s_cbranch_execnz .LBB1142_248
; %bb.180:                              ;   in Loop: Header=BB1142_101 Depth=2
	s_or_b32 exec_lo, exec_lo, s16
	v_cmp_lt_u32_e64 s15, v98, v165
	s_and_saveexec_b32 s17, s15
	s_cbranch_execnz .LBB1142_249
.LBB1142_181:                           ;   in Loop: Header=BB1142_101 Depth=2
	s_or_b32 exec_lo, exec_lo, s17
	v_cmp_lt_u32_e64 s16, v99, v165
	s_and_saveexec_b32 s18, s16
	s_cbranch_execnz .LBB1142_250
.LBB1142_182:                           ;   in Loop: Header=BB1142_101 Depth=2
	s_or_b32 exec_lo, exec_lo, s18
	v_cmp_lt_u32_e64 s17, v100, v165
	s_and_saveexec_b32 s19, s17
	s_cbranch_execnz .LBB1142_251
.LBB1142_183:                           ;   in Loop: Header=BB1142_101 Depth=2
	s_or_b32 exec_lo, exec_lo, s19
	v_cmp_lt_u32_e64 s18, v101, v165
	s_and_saveexec_b32 s20, s18
	s_cbranch_execnz .LBB1142_252
.LBB1142_184:                           ;   in Loop: Header=BB1142_101 Depth=2
	s_or_b32 exec_lo, exec_lo, s20
	v_cmp_lt_u32_e64 s19, v102, v165
	s_and_saveexec_b32 s21, s19
	s_cbranch_execnz .LBB1142_253
.LBB1142_185:                           ;   in Loop: Header=BB1142_101 Depth=2
	s_or_b32 exec_lo, exec_lo, s21
	v_cmp_lt_u32_e64 s20, v103, v165
	s_and_saveexec_b32 s22, s20
	s_cbranch_execnz .LBB1142_254
.LBB1142_186:                           ;   in Loop: Header=BB1142_101 Depth=2
	s_or_b32 exec_lo, exec_lo, s22
	v_cmp_lt_u32_e64 s21, v104, v165
	s_and_saveexec_b32 s23, s21
	s_cbranch_execnz .LBB1142_255
.LBB1142_187:                           ;   in Loop: Header=BB1142_101 Depth=2
	s_or_b32 exec_lo, exec_lo, s23
	v_cmp_lt_u32_e64 s22, v105, v165
	s_and_saveexec_b32 s24, s22
	s_cbranch_execnz .LBB1142_256
.LBB1142_188:                           ;   in Loop: Header=BB1142_101 Depth=2
	s_or_b32 exec_lo, exec_lo, s24
	v_cmp_lt_u32_e64 s23, v106, v165
	s_and_saveexec_b32 s25, s23
	s_cbranch_execnz .LBB1142_257
.LBB1142_189:                           ;   in Loop: Header=BB1142_101 Depth=2
	s_or_b32 exec_lo, exec_lo, s25
	v_cmp_lt_u32_e64 s24, v107, v165
	s_and_saveexec_b32 s26, s24
	s_cbranch_execnz .LBB1142_258
.LBB1142_190:                           ;   in Loop: Header=BB1142_101 Depth=2
	s_or_b32 exec_lo, exec_lo, s26
	v_cmp_lt_u32_e64 s25, v108, v165
	s_and_saveexec_b32 s27, s25
	s_cbranch_execnz .LBB1142_259
.LBB1142_191:                           ;   in Loop: Header=BB1142_101 Depth=2
	s_or_b32 exec_lo, exec_lo, s27
	v_cmp_lt_u32_e64 s26, v109, v165
	s_and_saveexec_b32 s28, s26
	s_cbranch_execnz .LBB1142_260
.LBB1142_192:                           ;   in Loop: Header=BB1142_101 Depth=2
	s_or_b32 exec_lo, exec_lo, s28
	v_cmp_lt_u32_e64 s27, v110, v165
	s_and_saveexec_b32 s29, s27
	s_cbranch_execnz .LBB1142_261
.LBB1142_193:                           ;   in Loop: Header=BB1142_101 Depth=2
	s_or_b32 exec_lo, exec_lo, s29
	v_cmp_lt_u32_e64 s28, v111, v165
	s_and_saveexec_b32 s30, s28
	s_cbranch_execnz .LBB1142_262
.LBB1142_194:                           ;   in Loop: Header=BB1142_101 Depth=2
	s_or_b32 exec_lo, exec_lo, s30
	v_cmp_lt_u32_e64 s29, v112, v165
	s_and_saveexec_b32 s62, s29
	s_cbranch_execz .LBB1142_196
.LBB1142_195:                           ;   in Loop: Header=BB1142_101 Depth=2
	ds_load_b64 v[58:59], v123 offset:31744
	s_wait_dscnt 0x0
	v_cmp_ne_u64_e64 s30, s[42:43], v[58:59]
	s_delay_alu instid0(VALU_DEP_1) | instskip(SKIP_2) | instid1(VALU_DEP_2)
	v_cndmask_b32_e64 v65, 0x7fffffff, v59, s30
	v_cndmask_b32_e64 v64, -1, v58, s30
	v_cmp_gt_i64_e64 s30, 0, v[58:59]
	v_lshrrev_b64 v[64:65], s54, v[64:65]
	v_ashrrev_i32_e32 v65, 31, v59
	s_delay_alu instid0(VALU_DEP_3) | instskip(NEXT) | instid1(VALU_DEP_2)
	v_cndmask_b32_e64 v66, 0x7fffffff, 0, s30
	v_not_b32_e32 v65, v65
	s_delay_alu instid0(VALU_DEP_4) | instskip(NEXT) | instid1(VALU_DEP_1)
	v_and_b32_e32 v64, s59, v64
	v_dual_lshlrev_b32 v64, 2, v64 :: v_dual_bitop2_b32 v59, v66, v59 bitop3:0x14
	ds_load_b32 v64, v64
	s_wait_dscnt 0x0
	v_dual_add_nc_u32 v64, v64, v112 :: v_dual_bitop2_b32 v58, v65, v58 bitop3:0x14
	global_store_b64 v64, v[58:59], s[38:39] scale_offset
.LBB1142_196:                           ;   in Loop: Header=BB1142_101 Depth=2
	s_wait_xcnt 0x0
	s_or_b32 exec_lo, exec_lo, s62
	v_lshl_add_u64 v[58:59], s[34:35], 3, v[22:23]
	v_cmp_lt_u32_e64 s30, v129, v165
	s_and_saveexec_b32 s34, s30
	s_delay_alu instid0(SALU_CYCLE_1)
	s_xor_b32 s30, exec_lo, s34
	s_cbranch_execnz .LBB1142_263
; %bb.197:                              ;   in Loop: Header=BB1142_101 Depth=2
	s_or_b32 exec_lo, exec_lo, s30
	s_delay_alu instid0(SALU_CYCLE_1)
	s_mov_b32 s34, exec_lo
	v_cmpx_lt_u32_e64 v132, v165
	s_cbranch_execnz .LBB1142_264
.LBB1142_198:                           ;   in Loop: Header=BB1142_101 Depth=2
	s_or_b32 exec_lo, exec_lo, s34
	s_delay_alu instid0(SALU_CYCLE_1)
	s_mov_b32 s34, exec_lo
	v_cmpx_lt_u32_e64 v133, v165
	s_cbranch_execnz .LBB1142_265
.LBB1142_199:                           ;   in Loop: Header=BB1142_101 Depth=2
	s_or_b32 exec_lo, exec_lo, s34
	s_delay_alu instid0(SALU_CYCLE_1)
	s_mov_b32 s34, exec_lo
	v_cmpx_lt_u32_e64 v134, v165
	s_cbranch_execnz .LBB1142_266
.LBB1142_200:                           ;   in Loop: Header=BB1142_101 Depth=2
	s_or_b32 exec_lo, exec_lo, s34
	s_delay_alu instid0(SALU_CYCLE_1)
	s_mov_b32 s34, exec_lo
	v_cmpx_lt_u32_e64 v135, v165
	s_cbranch_execnz .LBB1142_267
.LBB1142_201:                           ;   in Loop: Header=BB1142_101 Depth=2
	s_or_b32 exec_lo, exec_lo, s34
	s_delay_alu instid0(SALU_CYCLE_1)
	s_mov_b32 s34, exec_lo
	v_cmpx_lt_u32_e64 v136, v165
	s_cbranch_execnz .LBB1142_268
.LBB1142_202:                           ;   in Loop: Header=BB1142_101 Depth=2
	s_or_b32 exec_lo, exec_lo, s34
	s_delay_alu instid0(SALU_CYCLE_1)
	s_mov_b32 s34, exec_lo
	v_cmpx_lt_u32_e64 v137, v165
	s_cbranch_execnz .LBB1142_269
.LBB1142_203:                           ;   in Loop: Header=BB1142_101 Depth=2
	s_or_b32 exec_lo, exec_lo, s34
	s_delay_alu instid0(SALU_CYCLE_1)
	s_mov_b32 s34, exec_lo
	v_cmpx_lt_u32_e64 v138, v165
	s_cbranch_execnz .LBB1142_270
.LBB1142_204:                           ;   in Loop: Header=BB1142_101 Depth=2
	s_or_b32 exec_lo, exec_lo, s34
	s_delay_alu instid0(SALU_CYCLE_1)
	s_mov_b32 s34, exec_lo
	v_cmpx_lt_u32_e64 v139, v165
	s_cbranch_execnz .LBB1142_271
.LBB1142_205:                           ;   in Loop: Header=BB1142_101 Depth=2
	s_or_b32 exec_lo, exec_lo, s34
	s_delay_alu instid0(SALU_CYCLE_1)
	s_mov_b32 s34, exec_lo
	v_cmpx_lt_u32_e64 v140, v165
	s_cbranch_execnz .LBB1142_272
.LBB1142_206:                           ;   in Loop: Header=BB1142_101 Depth=2
	s_or_b32 exec_lo, exec_lo, s34
	s_delay_alu instid0(SALU_CYCLE_1)
	s_mov_b32 s34, exec_lo
	v_cmpx_lt_u32_e64 v141, v165
	s_cbranch_execnz .LBB1142_273
.LBB1142_207:                           ;   in Loop: Header=BB1142_101 Depth=2
	s_or_b32 exec_lo, exec_lo, s34
	s_delay_alu instid0(SALU_CYCLE_1)
	s_mov_b32 s34, exec_lo
	v_cmpx_lt_u32_e64 v142, v165
	s_cbranch_execnz .LBB1142_274
.LBB1142_208:                           ;   in Loop: Header=BB1142_101 Depth=2
	s_or_b32 exec_lo, exec_lo, s34
	s_delay_alu instid0(SALU_CYCLE_1)
	s_mov_b32 s34, exec_lo
	v_cmpx_lt_u32_e64 v143, v165
	s_cbranch_execnz .LBB1142_275
.LBB1142_209:                           ;   in Loop: Header=BB1142_101 Depth=2
	s_or_b32 exec_lo, exec_lo, s34
	s_delay_alu instid0(SALU_CYCLE_1)
	s_mov_b32 s34, exec_lo
	v_cmpx_lt_u32_e64 v144, v165
	s_cbranch_execnz .LBB1142_276
.LBB1142_210:                           ;   in Loop: Header=BB1142_101 Depth=2
	s_or_b32 exec_lo, exec_lo, s34
	s_delay_alu instid0(SALU_CYCLE_1)
	s_mov_b32 s34, exec_lo
	v_cmpx_lt_u32_e64 v145, v165
	s_cbranch_execnz .LBB1142_277
.LBB1142_211:                           ;   in Loop: Header=BB1142_101 Depth=2
	s_or_b32 exec_lo, exec_lo, s34
	s_delay_alu instid0(SALU_CYCLE_1)
	s_mov_b32 s34, exec_lo
	v_cmpx_lt_u32_e64 v146, v165
	s_cbranch_execnz .LBB1142_278
.LBB1142_212:                           ;   in Loop: Header=BB1142_101 Depth=2
	s_or_b32 exec_lo, exec_lo, s34
	s_and_saveexec_b32 s34, vcc_lo
	s_cbranch_execnz .LBB1142_279
.LBB1142_213:                           ;   in Loop: Header=BB1142_101 Depth=2
	s_or_b32 exec_lo, exec_lo, s34
	s_and_saveexec_b32 s34, s15
	s_cbranch_execnz .LBB1142_280
.LBB1142_214:                           ;   in Loop: Header=BB1142_101 Depth=2
	s_or_b32 exec_lo, exec_lo, s34
	s_and_saveexec_b32 s34, s16
	s_cbranch_execnz .LBB1142_281
.LBB1142_215:                           ;   in Loop: Header=BB1142_101 Depth=2
	s_or_b32 exec_lo, exec_lo, s34
	s_and_saveexec_b32 s34, s17
	s_cbranch_execnz .LBB1142_282
.LBB1142_216:                           ;   in Loop: Header=BB1142_101 Depth=2
	s_or_b32 exec_lo, exec_lo, s34
	s_and_saveexec_b32 s34, s18
	s_cbranch_execnz .LBB1142_283
.LBB1142_217:                           ;   in Loop: Header=BB1142_101 Depth=2
	s_or_b32 exec_lo, exec_lo, s34
	s_and_saveexec_b32 s34, s19
	s_cbranch_execnz .LBB1142_284
.LBB1142_218:                           ;   in Loop: Header=BB1142_101 Depth=2
	s_or_b32 exec_lo, exec_lo, s34
	s_and_saveexec_b32 s34, s20
	s_cbranch_execnz .LBB1142_285
.LBB1142_219:                           ;   in Loop: Header=BB1142_101 Depth=2
	s_or_b32 exec_lo, exec_lo, s34
	s_and_saveexec_b32 s34, s21
	s_cbranch_execnz .LBB1142_286
.LBB1142_220:                           ;   in Loop: Header=BB1142_101 Depth=2
	s_or_b32 exec_lo, exec_lo, s34
	s_and_saveexec_b32 s34, s22
	s_cbranch_execnz .LBB1142_287
.LBB1142_221:                           ;   in Loop: Header=BB1142_101 Depth=2
	s_or_b32 exec_lo, exec_lo, s34
	s_and_saveexec_b32 s34, s23
	s_cbranch_execnz .LBB1142_288
.LBB1142_222:                           ;   in Loop: Header=BB1142_101 Depth=2
	s_or_b32 exec_lo, exec_lo, s34
	s_and_saveexec_b32 s34, s24
	s_cbranch_execnz .LBB1142_289
.LBB1142_223:                           ;   in Loop: Header=BB1142_101 Depth=2
	s_or_b32 exec_lo, exec_lo, s34
	s_and_saveexec_b32 s34, s25
	s_cbranch_execnz .LBB1142_290
.LBB1142_224:                           ;   in Loop: Header=BB1142_101 Depth=2
	s_or_b32 exec_lo, exec_lo, s34
	s_and_saveexec_b32 s34, s26
	s_cbranch_execnz .LBB1142_291
.LBB1142_225:                           ;   in Loop: Header=BB1142_101 Depth=2
	s_or_b32 exec_lo, exec_lo, s34
	s_and_saveexec_b32 s34, s27
	s_cbranch_execnz .LBB1142_292
.LBB1142_226:                           ;   in Loop: Header=BB1142_101 Depth=2
	s_or_b32 exec_lo, exec_lo, s34
	s_and_saveexec_b32 s34, s28
	s_cbranch_execnz .LBB1142_293
.LBB1142_227:                           ;   in Loop: Header=BB1142_101 Depth=2
	s_or_b32 exec_lo, exec_lo, s34
	s_and_saveexec_b32 s34, s29
	s_cbranch_execz .LBB1142_229
.LBB1142_228:                           ;   in Loop: Header=BB1142_101 Depth=2
	ds_load_b64 v[58:59], v123 offset:31744
	s_wait_dscnt 0x0
	v_cmp_ne_u64_e64 s30, s[42:43], v[58:59]
	s_delay_alu instid0(VALU_DEP_1) | instskip(SKIP_1) | instid1(VALU_DEP_1)
	v_cndmask_b32_e64 v59, 0x7fffffff, v59, s30
	v_cndmask_b32_e64 v58, -1, v58, s30
	v_lshrrev_b64 v[58:59], s54, v[58:59]
	s_delay_alu instid0(VALU_DEP_1)
	v_and_b32_e32 v149, s59, v58
.LBB1142_229:                           ;   in Loop: Header=BB1142_101 Depth=2
	s_or_b32 exec_lo, exec_lo, s34
	s_wait_loadcnt 0x0
	s_wait_storecnt 0x0
	s_barrier_signal -1
	s_barrier_wait -1
	ds_store_b64 v91, v[56:57] offset:1024
	ds_store_b64 v92, v[54:55] offset:1024
	;; [unrolled: 1-line block ×16, first 2 shown]
	s_wait_dscnt 0x0
	s_barrier_signal -1
	s_barrier_wait -1
	s_and_saveexec_b32 s30, vcc_lo
	s_cbranch_execnz .LBB1142_294
; %bb.230:                              ;   in Loop: Header=BB1142_101 Depth=2
	s_or_b32 exec_lo, exec_lo, s30
	s_and_saveexec_b32 s30, s15
	s_cbranch_execnz .LBB1142_295
.LBB1142_231:                           ;   in Loop: Header=BB1142_101 Depth=2
	s_or_b32 exec_lo, exec_lo, s30
	s_and_saveexec_b32 s15, s16
	s_cbranch_execnz .LBB1142_296
.LBB1142_232:                           ;   in Loop: Header=BB1142_101 Depth=2
	s_or_b32 exec_lo, exec_lo, s15
	s_and_saveexec_b32 s15, s17
	s_cbranch_execnz .LBB1142_297
.LBB1142_233:                           ;   in Loop: Header=BB1142_101 Depth=2
	s_or_b32 exec_lo, exec_lo, s15
	s_and_saveexec_b32 s15, s18
	s_cbranch_execnz .LBB1142_298
.LBB1142_234:                           ;   in Loop: Header=BB1142_101 Depth=2
	s_or_b32 exec_lo, exec_lo, s15
	s_and_saveexec_b32 s15, s19
	s_cbranch_execnz .LBB1142_299
.LBB1142_235:                           ;   in Loop: Header=BB1142_101 Depth=2
	s_or_b32 exec_lo, exec_lo, s15
	s_and_saveexec_b32 s15, s20
	s_cbranch_execnz .LBB1142_300
.LBB1142_236:                           ;   in Loop: Header=BB1142_101 Depth=2
	s_or_b32 exec_lo, exec_lo, s15
	s_and_saveexec_b32 s15, s21
	s_cbranch_execnz .LBB1142_301
.LBB1142_237:                           ;   in Loop: Header=BB1142_101 Depth=2
	s_or_b32 exec_lo, exec_lo, s15
	s_and_saveexec_b32 s15, s22
	s_cbranch_execnz .LBB1142_302
.LBB1142_238:                           ;   in Loop: Header=BB1142_101 Depth=2
	s_or_b32 exec_lo, exec_lo, s15
	s_and_saveexec_b32 s15, s23
	s_cbranch_execnz .LBB1142_303
.LBB1142_239:                           ;   in Loop: Header=BB1142_101 Depth=2
	s_or_b32 exec_lo, exec_lo, s15
	s_and_saveexec_b32 s15, s24
	s_cbranch_execnz .LBB1142_304
.LBB1142_240:                           ;   in Loop: Header=BB1142_101 Depth=2
	s_or_b32 exec_lo, exec_lo, s15
	s_and_saveexec_b32 s15, s25
	s_cbranch_execnz .LBB1142_305
.LBB1142_241:                           ;   in Loop: Header=BB1142_101 Depth=2
	s_or_b32 exec_lo, exec_lo, s15
	s_and_saveexec_b32 s15, s26
	s_cbranch_execnz .LBB1142_306
.LBB1142_242:                           ;   in Loop: Header=BB1142_101 Depth=2
	s_or_b32 exec_lo, exec_lo, s15
	s_and_saveexec_b32 s15, s27
	s_cbranch_execnz .LBB1142_307
.LBB1142_243:                           ;   in Loop: Header=BB1142_101 Depth=2
	s_or_b32 exec_lo, exec_lo, s15
	s_and_saveexec_b32 s15, s28
	s_cbranch_execnz .LBB1142_308
.LBB1142_244:                           ;   in Loop: Header=BB1142_101 Depth=2
	s_or_b32 exec_lo, exec_lo, s15
	s_and_saveexec_b32 s15, s29
	s_cbranch_execz .LBB1142_246
.LBB1142_245:                           ;   in Loop: Header=BB1142_101 Depth=2
	v_lshlrev_b32_e32 v58, 2, v149
	ds_load_b32 v60, v58
	ds_load_b64 v[58:59], v123 offset:31744
	s_wait_dscnt 0x1
	v_add_nc_u32_e32 v60, v60, v112
	s_wait_dscnt 0x0
	global_store_b64 v60, v[58:59], s[44:45] scale_offset
.LBB1142_246:                           ;   in Loop: Header=BB1142_101 Depth=2
	s_wait_xcnt 0x0
	s_or_b32 exec_lo, exec_lo, s15
	s_wait_storecnt 0x0
	s_barrier_signal -1
	s_barrier_wait -1
	s_and_saveexec_b32 s15, s0
	s_cbranch_execz .LBB1142_100
; %bb.247:                              ;   in Loop: Header=BB1142_101 Depth=2
	ds_load_b32 v58, v3
	s_wait_dscnt 0x0
	v_add_nc_u32_e32 v58, v58, v90
	ds_store_b32 v3, v58
	s_branch .LBB1142_100
.LBB1142_248:                           ;   in Loop: Header=BB1142_101 Depth=2
	ds_load_b64 v[58:59], v123 offset:1024
	s_wait_dscnt 0x0
	v_cmp_ne_u64_e64 s15, s[42:43], v[58:59]
	s_delay_alu instid0(VALU_DEP_1) | instskip(SKIP_2) | instid1(VALU_DEP_2)
	v_cndmask_b32_e64 v65, 0x7fffffff, v59, s15
	v_cndmask_b32_e64 v64, -1, v58, s15
	v_cmp_gt_i64_e64 s15, 0, v[58:59]
	v_lshrrev_b64 v[64:65], s54, v[64:65]
	v_ashrrev_i32_e32 v65, 31, v59
	s_delay_alu instid0(VALU_DEP_3) | instskip(NEXT) | instid1(VALU_DEP_2)
	v_cndmask_b32_e64 v66, 0x7fffffff, 0, s15
	v_not_b32_e32 v65, v65
	s_delay_alu instid0(VALU_DEP_4) | instskip(NEXT) | instid1(VALU_DEP_3)
	v_and_b32_e32 v64, s59, v64
	v_xor_b32_e32 v59, v66, v59
	s_delay_alu instid0(VALU_DEP_2)
	v_dual_lshlrev_b32 v64, 2, v64 :: v_dual_bitop2_b32 v58, v65, v58 bitop3:0x14
	ds_load_b32 v64, v64
	s_wait_dscnt 0x0
	v_add_nc_u32_e32 v64, v64, v2
	global_store_b64 v64, v[58:59], s[38:39] scale_offset
	s_wait_xcnt 0x0
	s_or_b32 exec_lo, exec_lo, s16
	v_cmp_lt_u32_e64 s15, v98, v165
	s_and_saveexec_b32 s17, s15
	s_cbranch_execz .LBB1142_181
.LBB1142_249:                           ;   in Loop: Header=BB1142_101 Depth=2
	ds_load_b64 v[58:59], v123 offset:3072
	s_wait_dscnt 0x0
	v_cmp_ne_u64_e64 s16, s[42:43], v[58:59]
	s_delay_alu instid0(VALU_DEP_1) | instskip(SKIP_2) | instid1(VALU_DEP_2)
	v_cndmask_b32_e64 v65, 0x7fffffff, v59, s16
	v_cndmask_b32_e64 v64, -1, v58, s16
	v_cmp_gt_i64_e64 s16, 0, v[58:59]
	v_lshrrev_b64 v[64:65], s54, v[64:65]
	v_ashrrev_i32_e32 v65, 31, v59
	s_delay_alu instid0(VALU_DEP_3) | instskip(NEXT) | instid1(VALU_DEP_2)
	v_cndmask_b32_e64 v66, 0x7fffffff, 0, s16
	v_not_b32_e32 v65, v65
	s_delay_alu instid0(VALU_DEP_4) | instskip(NEXT) | instid1(VALU_DEP_3)
	v_and_b32_e32 v64, s59, v64
	v_xor_b32_e32 v59, v66, v59
	s_delay_alu instid0(VALU_DEP_2)
	v_dual_lshlrev_b32 v64, 2, v64 :: v_dual_bitop2_b32 v58, v65, v58 bitop3:0x14
	ds_load_b32 v64, v64
	s_wait_dscnt 0x0
	v_add_nc_u32_e32 v64, v64, v98
	global_store_b64 v64, v[58:59], s[38:39] scale_offset
	s_wait_xcnt 0x0
	s_or_b32 exec_lo, exec_lo, s17
	v_cmp_lt_u32_e64 s16, v99, v165
	s_and_saveexec_b32 s18, s16
	s_cbranch_execz .LBB1142_182
.LBB1142_250:                           ;   in Loop: Header=BB1142_101 Depth=2
	ds_load_b64 v[58:59], v123 offset:5120
	s_wait_dscnt 0x0
	v_cmp_ne_u64_e64 s17, s[42:43], v[58:59]
	s_delay_alu instid0(VALU_DEP_1) | instskip(SKIP_2) | instid1(VALU_DEP_2)
	v_cndmask_b32_e64 v65, 0x7fffffff, v59, s17
	v_cndmask_b32_e64 v64, -1, v58, s17
	v_cmp_gt_i64_e64 s17, 0, v[58:59]
	v_lshrrev_b64 v[64:65], s54, v[64:65]
	v_ashrrev_i32_e32 v65, 31, v59
	s_delay_alu instid0(VALU_DEP_3) | instskip(NEXT) | instid1(VALU_DEP_2)
	v_cndmask_b32_e64 v66, 0x7fffffff, 0, s17
	v_not_b32_e32 v65, v65
	s_delay_alu instid0(VALU_DEP_4) | instskip(NEXT) | instid1(VALU_DEP_1)
	v_and_b32_e32 v64, s59, v64
	v_dual_lshlrev_b32 v64, 2, v64 :: v_dual_bitop2_b32 v59, v66, v59 bitop3:0x14
	ds_load_b32 v64, v64
	s_wait_dscnt 0x0
	v_dual_add_nc_u32 v64, v64, v99 :: v_dual_bitop2_b32 v58, v65, v58 bitop3:0x14
	global_store_b64 v64, v[58:59], s[38:39] scale_offset
	s_wait_xcnt 0x0
	s_or_b32 exec_lo, exec_lo, s18
	v_cmp_lt_u32_e64 s17, v100, v165
	s_and_saveexec_b32 s19, s17
	s_cbranch_execz .LBB1142_183
.LBB1142_251:                           ;   in Loop: Header=BB1142_101 Depth=2
	ds_load_b64 v[58:59], v123 offset:7168
	s_wait_dscnt 0x0
	v_cmp_ne_u64_e64 s18, s[42:43], v[58:59]
	s_delay_alu instid0(VALU_DEP_1) | instskip(SKIP_2) | instid1(VALU_DEP_2)
	v_cndmask_b32_e64 v65, 0x7fffffff, v59, s18
	v_cndmask_b32_e64 v64, -1, v58, s18
	v_cmp_gt_i64_e64 s18, 0, v[58:59]
	v_lshrrev_b64 v[64:65], s54, v[64:65]
	v_ashrrev_i32_e32 v65, 31, v59
	s_delay_alu instid0(VALU_DEP_3) | instskip(NEXT) | instid1(VALU_DEP_2)
	v_cndmask_b32_e64 v66, 0x7fffffff, 0, s18
	v_not_b32_e32 v65, v65
	s_delay_alu instid0(VALU_DEP_4) | instskip(NEXT) | instid1(VALU_DEP_1)
	v_and_b32_e32 v64, s59, v64
	v_dual_lshlrev_b32 v64, 2, v64 :: v_dual_bitop2_b32 v59, v66, v59 bitop3:0x14
	ds_load_b32 v64, v64
	s_wait_dscnt 0x0
	v_dual_add_nc_u32 v64, v64, v100 :: v_dual_bitop2_b32 v58, v65, v58 bitop3:0x14
	global_store_b64 v64, v[58:59], s[38:39] scale_offset
	s_wait_xcnt 0x0
	s_or_b32 exec_lo, exec_lo, s19
	v_cmp_lt_u32_e64 s18, v101, v165
	s_and_saveexec_b32 s20, s18
	s_cbranch_execz .LBB1142_184
.LBB1142_252:                           ;   in Loop: Header=BB1142_101 Depth=2
	ds_load_b64 v[58:59], v123 offset:9216
	s_wait_dscnt 0x0
	v_cmp_ne_u64_e64 s19, s[42:43], v[58:59]
	s_delay_alu instid0(VALU_DEP_1) | instskip(SKIP_2) | instid1(VALU_DEP_2)
	v_cndmask_b32_e64 v65, 0x7fffffff, v59, s19
	v_cndmask_b32_e64 v64, -1, v58, s19
	v_cmp_gt_i64_e64 s19, 0, v[58:59]
	v_lshrrev_b64 v[64:65], s54, v[64:65]
	v_ashrrev_i32_e32 v65, 31, v59
	s_delay_alu instid0(VALU_DEP_3) | instskip(NEXT) | instid1(VALU_DEP_2)
	v_cndmask_b32_e64 v66, 0x7fffffff, 0, s19
	v_not_b32_e32 v65, v65
	s_delay_alu instid0(VALU_DEP_4) | instskip(NEXT) | instid1(VALU_DEP_1)
	v_and_b32_e32 v64, s59, v64
	v_dual_lshlrev_b32 v64, 2, v64 :: v_dual_bitop2_b32 v59, v66, v59 bitop3:0x14
	ds_load_b32 v64, v64
	s_wait_dscnt 0x0
	v_dual_add_nc_u32 v64, v64, v101 :: v_dual_bitop2_b32 v58, v65, v58 bitop3:0x14
	global_store_b64 v64, v[58:59], s[38:39] scale_offset
	s_wait_xcnt 0x0
	s_or_b32 exec_lo, exec_lo, s20
	v_cmp_lt_u32_e64 s19, v102, v165
	s_and_saveexec_b32 s21, s19
	s_cbranch_execz .LBB1142_185
.LBB1142_253:                           ;   in Loop: Header=BB1142_101 Depth=2
	ds_load_b64 v[58:59], v123 offset:11264
	s_wait_dscnt 0x0
	v_cmp_ne_u64_e64 s20, s[42:43], v[58:59]
	s_delay_alu instid0(VALU_DEP_1) | instskip(SKIP_2) | instid1(VALU_DEP_2)
	v_cndmask_b32_e64 v65, 0x7fffffff, v59, s20
	v_cndmask_b32_e64 v64, -1, v58, s20
	v_cmp_gt_i64_e64 s20, 0, v[58:59]
	v_lshrrev_b64 v[64:65], s54, v[64:65]
	v_ashrrev_i32_e32 v65, 31, v59
	s_delay_alu instid0(VALU_DEP_3) | instskip(NEXT) | instid1(VALU_DEP_2)
	v_cndmask_b32_e64 v66, 0x7fffffff, 0, s20
	v_not_b32_e32 v65, v65
	s_delay_alu instid0(VALU_DEP_4) | instskip(NEXT) | instid1(VALU_DEP_3)
	v_and_b32_e32 v64, s59, v64
	v_xor_b32_e32 v59, v66, v59
	s_delay_alu instid0(VALU_DEP_2)
	v_dual_lshlrev_b32 v64, 2, v64 :: v_dual_bitop2_b32 v58, v65, v58 bitop3:0x14
	ds_load_b32 v64, v64
	s_wait_dscnt 0x0
	v_add_nc_u32_e32 v64, v64, v102
	global_store_b64 v64, v[58:59], s[38:39] scale_offset
	s_wait_xcnt 0x0
	s_or_b32 exec_lo, exec_lo, s21
	v_cmp_lt_u32_e64 s20, v103, v165
	s_and_saveexec_b32 s22, s20
	s_cbranch_execz .LBB1142_186
.LBB1142_254:                           ;   in Loop: Header=BB1142_101 Depth=2
	ds_load_b64 v[58:59], v123 offset:13312
	s_wait_dscnt 0x0
	v_cmp_ne_u64_e64 s21, s[42:43], v[58:59]
	s_delay_alu instid0(VALU_DEP_1) | instskip(SKIP_2) | instid1(VALU_DEP_2)
	v_cndmask_b32_e64 v65, 0x7fffffff, v59, s21
	v_cndmask_b32_e64 v64, -1, v58, s21
	v_cmp_gt_i64_e64 s21, 0, v[58:59]
	v_lshrrev_b64 v[64:65], s54, v[64:65]
	v_ashrrev_i32_e32 v65, 31, v59
	s_delay_alu instid0(VALU_DEP_3) | instskip(NEXT) | instid1(VALU_DEP_2)
	v_cndmask_b32_e64 v66, 0x7fffffff, 0, s21
	v_not_b32_e32 v65, v65
	s_delay_alu instid0(VALU_DEP_4) | instskip(NEXT) | instid1(VALU_DEP_1)
	v_and_b32_e32 v64, s59, v64
	v_dual_lshlrev_b32 v64, 2, v64 :: v_dual_bitop2_b32 v59, v66, v59 bitop3:0x14
	ds_load_b32 v64, v64
	s_wait_dscnt 0x0
	v_dual_add_nc_u32 v64, v64, v103 :: v_dual_bitop2_b32 v58, v65, v58 bitop3:0x14
	global_store_b64 v64, v[58:59], s[38:39] scale_offset
	s_wait_xcnt 0x0
	s_or_b32 exec_lo, exec_lo, s22
	v_cmp_lt_u32_e64 s21, v104, v165
	s_and_saveexec_b32 s23, s21
	s_cbranch_execz .LBB1142_187
.LBB1142_255:                           ;   in Loop: Header=BB1142_101 Depth=2
	ds_load_b64 v[58:59], v123 offset:15360
	s_wait_dscnt 0x0
	v_cmp_ne_u64_e64 s22, s[42:43], v[58:59]
	s_delay_alu instid0(VALU_DEP_1) | instskip(SKIP_2) | instid1(VALU_DEP_2)
	v_cndmask_b32_e64 v65, 0x7fffffff, v59, s22
	v_cndmask_b32_e64 v64, -1, v58, s22
	v_cmp_gt_i64_e64 s22, 0, v[58:59]
	v_lshrrev_b64 v[64:65], s54, v[64:65]
	v_ashrrev_i32_e32 v65, 31, v59
	s_delay_alu instid0(VALU_DEP_3) | instskip(NEXT) | instid1(VALU_DEP_2)
	v_cndmask_b32_e64 v66, 0x7fffffff, 0, s22
	v_not_b32_e32 v65, v65
	s_delay_alu instid0(VALU_DEP_4) | instskip(NEXT) | instid1(VALU_DEP_1)
	v_and_b32_e32 v64, s59, v64
	v_dual_lshlrev_b32 v64, 2, v64 :: v_dual_bitop2_b32 v59, v66, v59 bitop3:0x14
	ds_load_b32 v64, v64
	s_wait_dscnt 0x0
	v_dual_add_nc_u32 v64, v64, v104 :: v_dual_bitop2_b32 v58, v65, v58 bitop3:0x14
	global_store_b64 v64, v[58:59], s[38:39] scale_offset
	s_wait_xcnt 0x0
	s_or_b32 exec_lo, exec_lo, s23
	v_cmp_lt_u32_e64 s22, v105, v165
	s_and_saveexec_b32 s24, s22
	s_cbranch_execz .LBB1142_188
.LBB1142_256:                           ;   in Loop: Header=BB1142_101 Depth=2
	ds_load_b64 v[58:59], v123 offset:17408
	s_wait_dscnt 0x0
	v_cmp_ne_u64_e64 s23, s[42:43], v[58:59]
	s_delay_alu instid0(VALU_DEP_1) | instskip(SKIP_2) | instid1(VALU_DEP_2)
	v_cndmask_b32_e64 v65, 0x7fffffff, v59, s23
	v_cndmask_b32_e64 v64, -1, v58, s23
	v_cmp_gt_i64_e64 s23, 0, v[58:59]
	v_lshrrev_b64 v[64:65], s54, v[64:65]
	v_ashrrev_i32_e32 v65, 31, v59
	s_delay_alu instid0(VALU_DEP_3) | instskip(NEXT) | instid1(VALU_DEP_2)
	v_cndmask_b32_e64 v66, 0x7fffffff, 0, s23
	v_not_b32_e32 v65, v65
	s_delay_alu instid0(VALU_DEP_4) | instskip(NEXT) | instid1(VALU_DEP_1)
	v_and_b32_e32 v64, s59, v64
	v_dual_lshlrev_b32 v64, 2, v64 :: v_dual_bitop2_b32 v59, v66, v59 bitop3:0x14
	ds_load_b32 v64, v64
	s_wait_dscnt 0x0
	v_dual_add_nc_u32 v64, v64, v105 :: v_dual_bitop2_b32 v58, v65, v58 bitop3:0x14
	global_store_b64 v64, v[58:59], s[38:39] scale_offset
	s_wait_xcnt 0x0
	s_or_b32 exec_lo, exec_lo, s24
	v_cmp_lt_u32_e64 s23, v106, v165
	s_and_saveexec_b32 s25, s23
	s_cbranch_execz .LBB1142_189
.LBB1142_257:                           ;   in Loop: Header=BB1142_101 Depth=2
	ds_load_b64 v[58:59], v123 offset:19456
	s_wait_dscnt 0x0
	v_cmp_ne_u64_e64 s24, s[42:43], v[58:59]
	s_delay_alu instid0(VALU_DEP_1) | instskip(SKIP_2) | instid1(VALU_DEP_2)
	v_cndmask_b32_e64 v65, 0x7fffffff, v59, s24
	v_cndmask_b32_e64 v64, -1, v58, s24
	v_cmp_gt_i64_e64 s24, 0, v[58:59]
	v_lshrrev_b64 v[64:65], s54, v[64:65]
	v_ashrrev_i32_e32 v65, 31, v59
	s_delay_alu instid0(VALU_DEP_3) | instskip(NEXT) | instid1(VALU_DEP_2)
	v_cndmask_b32_e64 v66, 0x7fffffff, 0, s24
	v_not_b32_e32 v65, v65
	s_delay_alu instid0(VALU_DEP_4) | instskip(NEXT) | instid1(VALU_DEP_3)
	v_and_b32_e32 v64, s59, v64
	v_xor_b32_e32 v59, v66, v59
	s_delay_alu instid0(VALU_DEP_2)
	v_dual_lshlrev_b32 v64, 2, v64 :: v_dual_bitop2_b32 v58, v65, v58 bitop3:0x14
	ds_load_b32 v64, v64
	s_wait_dscnt 0x0
	v_add_nc_u32_e32 v64, v64, v106
	global_store_b64 v64, v[58:59], s[38:39] scale_offset
	s_wait_xcnt 0x0
	s_or_b32 exec_lo, exec_lo, s25
	v_cmp_lt_u32_e64 s24, v107, v165
	s_and_saveexec_b32 s26, s24
	s_cbranch_execz .LBB1142_190
.LBB1142_258:                           ;   in Loop: Header=BB1142_101 Depth=2
	ds_load_b64 v[58:59], v123 offset:21504
	s_wait_dscnt 0x0
	v_cmp_ne_u64_e64 s25, s[42:43], v[58:59]
	s_delay_alu instid0(VALU_DEP_1) | instskip(SKIP_2) | instid1(VALU_DEP_2)
	v_cndmask_b32_e64 v65, 0x7fffffff, v59, s25
	v_cndmask_b32_e64 v64, -1, v58, s25
	v_cmp_gt_i64_e64 s25, 0, v[58:59]
	v_lshrrev_b64 v[64:65], s54, v[64:65]
	v_ashrrev_i32_e32 v65, 31, v59
	s_delay_alu instid0(VALU_DEP_3) | instskip(NEXT) | instid1(VALU_DEP_2)
	v_cndmask_b32_e64 v66, 0x7fffffff, 0, s25
	v_not_b32_e32 v65, v65
	s_delay_alu instid0(VALU_DEP_4) | instskip(NEXT) | instid1(VALU_DEP_1)
	v_and_b32_e32 v64, s59, v64
	v_dual_lshlrev_b32 v64, 2, v64 :: v_dual_bitop2_b32 v59, v66, v59 bitop3:0x14
	ds_load_b32 v64, v64
	s_wait_dscnt 0x0
	v_dual_add_nc_u32 v64, v64, v107 :: v_dual_bitop2_b32 v58, v65, v58 bitop3:0x14
	global_store_b64 v64, v[58:59], s[38:39] scale_offset
	s_wait_xcnt 0x0
	s_or_b32 exec_lo, exec_lo, s26
	v_cmp_lt_u32_e64 s25, v108, v165
	s_and_saveexec_b32 s27, s25
	s_cbranch_execz .LBB1142_191
.LBB1142_259:                           ;   in Loop: Header=BB1142_101 Depth=2
	ds_load_b64 v[58:59], v123 offset:23552
	s_wait_dscnt 0x0
	v_cmp_ne_u64_e64 s26, s[42:43], v[58:59]
	s_delay_alu instid0(VALU_DEP_1) | instskip(SKIP_2) | instid1(VALU_DEP_2)
	v_cndmask_b32_e64 v65, 0x7fffffff, v59, s26
	v_cndmask_b32_e64 v64, -1, v58, s26
	v_cmp_gt_i64_e64 s26, 0, v[58:59]
	v_lshrrev_b64 v[64:65], s54, v[64:65]
	v_ashrrev_i32_e32 v65, 31, v59
	s_delay_alu instid0(VALU_DEP_3) | instskip(NEXT) | instid1(VALU_DEP_2)
	v_cndmask_b32_e64 v66, 0x7fffffff, 0, s26
	v_not_b32_e32 v65, v65
	s_delay_alu instid0(VALU_DEP_4) | instskip(NEXT) | instid1(VALU_DEP_1)
	v_and_b32_e32 v64, s59, v64
	v_dual_lshlrev_b32 v64, 2, v64 :: v_dual_bitop2_b32 v59, v66, v59 bitop3:0x14
	ds_load_b32 v64, v64
	s_wait_dscnt 0x0
	v_dual_add_nc_u32 v64, v64, v108 :: v_dual_bitop2_b32 v58, v65, v58 bitop3:0x14
	global_store_b64 v64, v[58:59], s[38:39] scale_offset
	s_wait_xcnt 0x0
	s_or_b32 exec_lo, exec_lo, s27
	v_cmp_lt_u32_e64 s26, v109, v165
	s_and_saveexec_b32 s28, s26
	s_cbranch_execz .LBB1142_192
.LBB1142_260:                           ;   in Loop: Header=BB1142_101 Depth=2
	ds_load_b64 v[58:59], v123 offset:25600
	s_wait_dscnt 0x0
	v_cmp_ne_u64_e64 s27, s[42:43], v[58:59]
	s_delay_alu instid0(VALU_DEP_1) | instskip(SKIP_2) | instid1(VALU_DEP_2)
	v_cndmask_b32_e64 v65, 0x7fffffff, v59, s27
	v_cndmask_b32_e64 v64, -1, v58, s27
	v_cmp_gt_i64_e64 s27, 0, v[58:59]
	v_lshrrev_b64 v[64:65], s54, v[64:65]
	v_ashrrev_i32_e32 v65, 31, v59
	s_delay_alu instid0(VALU_DEP_3) | instskip(NEXT) | instid1(VALU_DEP_2)
	v_cndmask_b32_e64 v66, 0x7fffffff, 0, s27
	v_not_b32_e32 v65, v65
	s_delay_alu instid0(VALU_DEP_4) | instskip(NEXT) | instid1(VALU_DEP_1)
	v_and_b32_e32 v64, s59, v64
	v_dual_lshlrev_b32 v64, 2, v64 :: v_dual_bitop2_b32 v59, v66, v59 bitop3:0x14
	ds_load_b32 v64, v64
	s_wait_dscnt 0x0
	v_dual_add_nc_u32 v64, v64, v109 :: v_dual_bitop2_b32 v58, v65, v58 bitop3:0x14
	global_store_b64 v64, v[58:59], s[38:39] scale_offset
	s_wait_xcnt 0x0
	s_or_b32 exec_lo, exec_lo, s28
	v_cmp_lt_u32_e64 s27, v110, v165
	s_and_saveexec_b32 s29, s27
	s_cbranch_execz .LBB1142_193
.LBB1142_261:                           ;   in Loop: Header=BB1142_101 Depth=2
	ds_load_b64 v[58:59], v123 offset:27648
	s_wait_dscnt 0x0
	v_cmp_ne_u64_e64 s28, s[42:43], v[58:59]
	s_delay_alu instid0(VALU_DEP_1) | instskip(SKIP_2) | instid1(VALU_DEP_2)
	v_cndmask_b32_e64 v65, 0x7fffffff, v59, s28
	v_cndmask_b32_e64 v64, -1, v58, s28
	v_cmp_gt_i64_e64 s28, 0, v[58:59]
	v_lshrrev_b64 v[64:65], s54, v[64:65]
	v_ashrrev_i32_e32 v65, 31, v59
	s_delay_alu instid0(VALU_DEP_3) | instskip(NEXT) | instid1(VALU_DEP_2)
	v_cndmask_b32_e64 v66, 0x7fffffff, 0, s28
	v_not_b32_e32 v65, v65
	s_delay_alu instid0(VALU_DEP_4) | instskip(NEXT) | instid1(VALU_DEP_3)
	v_and_b32_e32 v64, s59, v64
	v_xor_b32_e32 v59, v66, v59
	s_delay_alu instid0(VALU_DEP_2)
	v_dual_lshlrev_b32 v64, 2, v64 :: v_dual_bitop2_b32 v58, v65, v58 bitop3:0x14
	ds_load_b32 v64, v64
	s_wait_dscnt 0x0
	v_add_nc_u32_e32 v64, v64, v110
	global_store_b64 v64, v[58:59], s[38:39] scale_offset
	s_wait_xcnt 0x0
	s_or_b32 exec_lo, exec_lo, s29
	v_cmp_lt_u32_e64 s28, v111, v165
	s_and_saveexec_b32 s30, s28
	s_cbranch_execz .LBB1142_194
.LBB1142_262:                           ;   in Loop: Header=BB1142_101 Depth=2
	ds_load_b64 v[58:59], v123 offset:29696
	s_wait_dscnt 0x0
	v_cmp_ne_u64_e64 s29, s[42:43], v[58:59]
	s_delay_alu instid0(VALU_DEP_1) | instskip(SKIP_2) | instid1(VALU_DEP_2)
	v_cndmask_b32_e64 v65, 0x7fffffff, v59, s29
	v_cndmask_b32_e64 v64, -1, v58, s29
	v_cmp_gt_i64_e64 s29, 0, v[58:59]
	v_lshrrev_b64 v[64:65], s54, v[64:65]
	v_ashrrev_i32_e32 v65, 31, v59
	s_delay_alu instid0(VALU_DEP_3) | instskip(NEXT) | instid1(VALU_DEP_2)
	v_cndmask_b32_e64 v66, 0x7fffffff, 0, s29
	v_not_b32_e32 v65, v65
	s_delay_alu instid0(VALU_DEP_4) | instskip(NEXT) | instid1(VALU_DEP_1)
	v_and_b32_e32 v64, s59, v64
	v_dual_lshlrev_b32 v64, 2, v64 :: v_dual_bitop2_b32 v59, v66, v59 bitop3:0x14
	ds_load_b32 v64, v64
	s_wait_dscnt 0x0
	v_dual_add_nc_u32 v64, v64, v111 :: v_dual_bitop2_b32 v58, v65, v58 bitop3:0x14
	global_store_b64 v64, v[58:59], s[38:39] scale_offset
	s_wait_xcnt 0x0
	s_or_b32 exec_lo, exec_lo, s30
	v_cmp_lt_u32_e64 s29, v112, v165
	s_and_saveexec_b32 s62, s29
	s_cbranch_execnz .LBB1142_195
	s_branch .LBB1142_196
.LBB1142_263:                           ;   in Loop: Header=BB1142_101 Depth=2
	global_load_b64 v[56:57], v[58:59], off
	s_wait_xcnt 0x0
	s_or_b32 exec_lo, exec_lo, s30
	s_delay_alu instid0(SALU_CYCLE_1)
	s_mov_b32 s34, exec_lo
	v_cmpx_lt_u32_e64 v132, v165
	s_cbranch_execz .LBB1142_198
.LBB1142_264:                           ;   in Loop: Header=BB1142_101 Depth=2
	global_load_b64 v[54:55], v[58:59], off offset:256
	s_wait_xcnt 0x0
	s_or_b32 exec_lo, exec_lo, s34
	s_delay_alu instid0(SALU_CYCLE_1)
	s_mov_b32 s34, exec_lo
	v_cmpx_lt_u32_e64 v133, v165
	s_cbranch_execz .LBB1142_199
.LBB1142_265:                           ;   in Loop: Header=BB1142_101 Depth=2
	global_load_b64 v[52:53], v[58:59], off offset:512
	s_wait_xcnt 0x0
	s_or_b32 exec_lo, exec_lo, s34
	s_delay_alu instid0(SALU_CYCLE_1)
	s_mov_b32 s34, exec_lo
	v_cmpx_lt_u32_e64 v134, v165
	s_cbranch_execz .LBB1142_200
.LBB1142_266:                           ;   in Loop: Header=BB1142_101 Depth=2
	global_load_b64 v[50:51], v[58:59], off offset:768
	s_wait_xcnt 0x0
	s_or_b32 exec_lo, exec_lo, s34
	s_delay_alu instid0(SALU_CYCLE_1)
	s_mov_b32 s34, exec_lo
	v_cmpx_lt_u32_e64 v135, v165
	s_cbranch_execz .LBB1142_201
.LBB1142_267:                           ;   in Loop: Header=BB1142_101 Depth=2
	global_load_b64 v[48:49], v[58:59], off offset:1024
	s_wait_xcnt 0x0
	s_or_b32 exec_lo, exec_lo, s34
	s_delay_alu instid0(SALU_CYCLE_1)
	s_mov_b32 s34, exec_lo
	v_cmpx_lt_u32_e64 v136, v165
	s_cbranch_execz .LBB1142_202
.LBB1142_268:                           ;   in Loop: Header=BB1142_101 Depth=2
	global_load_b64 v[46:47], v[58:59], off offset:1280
	s_wait_xcnt 0x0
	s_or_b32 exec_lo, exec_lo, s34
	s_delay_alu instid0(SALU_CYCLE_1)
	s_mov_b32 s34, exec_lo
	v_cmpx_lt_u32_e64 v137, v165
	s_cbranch_execz .LBB1142_203
.LBB1142_269:                           ;   in Loop: Header=BB1142_101 Depth=2
	global_load_b64 v[44:45], v[58:59], off offset:1536
	s_wait_xcnt 0x0
	s_or_b32 exec_lo, exec_lo, s34
	s_delay_alu instid0(SALU_CYCLE_1)
	s_mov_b32 s34, exec_lo
	v_cmpx_lt_u32_e64 v138, v165
	s_cbranch_execz .LBB1142_204
.LBB1142_270:                           ;   in Loop: Header=BB1142_101 Depth=2
	global_load_b64 v[42:43], v[58:59], off offset:1792
	s_wait_xcnt 0x0
	s_or_b32 exec_lo, exec_lo, s34
	s_delay_alu instid0(SALU_CYCLE_1)
	s_mov_b32 s34, exec_lo
	v_cmpx_lt_u32_e64 v139, v165
	s_cbranch_execz .LBB1142_205
.LBB1142_271:                           ;   in Loop: Header=BB1142_101 Depth=2
	global_load_b64 v[40:41], v[58:59], off offset:2048
	s_wait_xcnt 0x0
	s_or_b32 exec_lo, exec_lo, s34
	s_delay_alu instid0(SALU_CYCLE_1)
	s_mov_b32 s34, exec_lo
	v_cmpx_lt_u32_e64 v140, v165
	s_cbranch_execz .LBB1142_206
.LBB1142_272:                           ;   in Loop: Header=BB1142_101 Depth=2
	global_load_b64 v[38:39], v[58:59], off offset:2304
	s_wait_xcnt 0x0
	s_or_b32 exec_lo, exec_lo, s34
	s_delay_alu instid0(SALU_CYCLE_1)
	s_mov_b32 s34, exec_lo
	v_cmpx_lt_u32_e64 v141, v165
	s_cbranch_execz .LBB1142_207
.LBB1142_273:                           ;   in Loop: Header=BB1142_101 Depth=2
	global_load_b64 v[36:37], v[58:59], off offset:2560
	s_wait_xcnt 0x0
	s_or_b32 exec_lo, exec_lo, s34
	s_delay_alu instid0(SALU_CYCLE_1)
	s_mov_b32 s34, exec_lo
	v_cmpx_lt_u32_e64 v142, v165
	s_cbranch_execz .LBB1142_208
.LBB1142_274:                           ;   in Loop: Header=BB1142_101 Depth=2
	global_load_b64 v[34:35], v[58:59], off offset:2816
	s_wait_xcnt 0x0
	s_or_b32 exec_lo, exec_lo, s34
	s_delay_alu instid0(SALU_CYCLE_1)
	s_mov_b32 s34, exec_lo
	v_cmpx_lt_u32_e64 v143, v165
	s_cbranch_execz .LBB1142_209
.LBB1142_275:                           ;   in Loop: Header=BB1142_101 Depth=2
	global_load_b64 v[32:33], v[58:59], off offset:3072
	s_wait_xcnt 0x0
	s_or_b32 exec_lo, exec_lo, s34
	s_delay_alu instid0(SALU_CYCLE_1)
	s_mov_b32 s34, exec_lo
	v_cmpx_lt_u32_e64 v144, v165
	s_cbranch_execz .LBB1142_210
.LBB1142_276:                           ;   in Loop: Header=BB1142_101 Depth=2
	global_load_b64 v[30:31], v[58:59], off offset:3328
	s_wait_xcnt 0x0
	s_or_b32 exec_lo, exec_lo, s34
	s_delay_alu instid0(SALU_CYCLE_1)
	s_mov_b32 s34, exec_lo
	v_cmpx_lt_u32_e64 v145, v165
	s_cbranch_execz .LBB1142_211
.LBB1142_277:                           ;   in Loop: Header=BB1142_101 Depth=2
	global_load_b64 v[28:29], v[58:59], off offset:3584
	s_wait_xcnt 0x0
	s_or_b32 exec_lo, exec_lo, s34
	s_delay_alu instid0(SALU_CYCLE_1)
	s_mov_b32 s34, exec_lo
	v_cmpx_lt_u32_e64 v146, v165
	s_cbranch_execz .LBB1142_212
.LBB1142_278:                           ;   in Loop: Header=BB1142_101 Depth=2
	global_load_b64 v[26:27], v[58:59], off offset:3840
	s_wait_xcnt 0x0
	s_or_b32 exec_lo, exec_lo, s34
	s_and_saveexec_b32 s34, vcc_lo
	s_cbranch_execz .LBB1142_213
.LBB1142_279:                           ;   in Loop: Header=BB1142_101 Depth=2
	ds_load_b64 v[58:59], v123 offset:1024
	s_wait_dscnt 0x0
	v_cmp_ne_u64_e64 s30, s[42:43], v[58:59]
	s_delay_alu instid0(VALU_DEP_1) | instskip(SKIP_1) | instid1(VALU_DEP_1)
	v_cndmask_b32_e64 v59, 0x7fffffff, v59, s30
	v_cndmask_b32_e64 v58, -1, v58, s30
	v_lshrrev_b64 v[58:59], s54, v[58:59]
	s_delay_alu instid0(VALU_DEP_1)
	v_and_b32_e32 v164, s59, v58
	s_or_b32 exec_lo, exec_lo, s34
	s_and_saveexec_b32 s34, s15
	s_cbranch_execz .LBB1142_214
.LBB1142_280:                           ;   in Loop: Header=BB1142_101 Depth=2
	ds_load_b64 v[58:59], v123 offset:3072
	s_wait_dscnt 0x0
	v_cmp_ne_u64_e64 s30, s[42:43], v[58:59]
	s_delay_alu instid0(VALU_DEP_1) | instskip(SKIP_1) | instid1(VALU_DEP_1)
	v_cndmask_b32_e64 v59, 0x7fffffff, v59, s30
	v_cndmask_b32_e64 v58, -1, v58, s30
	v_lshrrev_b64 v[58:59], s54, v[58:59]
	s_delay_alu instid0(VALU_DEP_1)
	v_and_b32_e32 v163, s59, v58
	s_or_b32 exec_lo, exec_lo, s34
	s_and_saveexec_b32 s34, s16
	s_cbranch_execz .LBB1142_215
.LBB1142_281:                           ;   in Loop: Header=BB1142_101 Depth=2
	ds_load_b64 v[58:59], v123 offset:5120
	s_wait_dscnt 0x0
	v_cmp_ne_u64_e64 s30, s[42:43], v[58:59]
	s_delay_alu instid0(VALU_DEP_1) | instskip(SKIP_1) | instid1(VALU_DEP_1)
	v_cndmask_b32_e64 v59, 0x7fffffff, v59, s30
	v_cndmask_b32_e64 v58, -1, v58, s30
	v_lshrrev_b64 v[58:59], s54, v[58:59]
	s_delay_alu instid0(VALU_DEP_1)
	v_and_b32_e32 v162, s59, v58
	s_or_b32 exec_lo, exec_lo, s34
	s_and_saveexec_b32 s34, s17
	s_cbranch_execz .LBB1142_216
.LBB1142_282:                           ;   in Loop: Header=BB1142_101 Depth=2
	ds_load_b64 v[58:59], v123 offset:7168
	s_wait_dscnt 0x0
	v_cmp_ne_u64_e64 s30, s[42:43], v[58:59]
	s_delay_alu instid0(VALU_DEP_1) | instskip(SKIP_1) | instid1(VALU_DEP_1)
	v_cndmask_b32_e64 v59, 0x7fffffff, v59, s30
	v_cndmask_b32_e64 v58, -1, v58, s30
	v_lshrrev_b64 v[58:59], s54, v[58:59]
	s_delay_alu instid0(VALU_DEP_1)
	v_and_b32_e32 v161, s59, v58
	s_or_b32 exec_lo, exec_lo, s34
	s_and_saveexec_b32 s34, s18
	s_cbranch_execz .LBB1142_217
.LBB1142_283:                           ;   in Loop: Header=BB1142_101 Depth=2
	ds_load_b64 v[58:59], v123 offset:9216
	s_wait_dscnt 0x0
	v_cmp_ne_u64_e64 s30, s[42:43], v[58:59]
	s_delay_alu instid0(VALU_DEP_1) | instskip(SKIP_1) | instid1(VALU_DEP_1)
	v_cndmask_b32_e64 v59, 0x7fffffff, v59, s30
	v_cndmask_b32_e64 v58, -1, v58, s30
	v_lshrrev_b64 v[58:59], s54, v[58:59]
	s_delay_alu instid0(VALU_DEP_1)
	v_and_b32_e32 v160, s59, v58
	s_or_b32 exec_lo, exec_lo, s34
	s_and_saveexec_b32 s34, s19
	s_cbranch_execz .LBB1142_218
.LBB1142_284:                           ;   in Loop: Header=BB1142_101 Depth=2
	ds_load_b64 v[58:59], v123 offset:11264
	s_wait_dscnt 0x0
	v_cmp_ne_u64_e64 s30, s[42:43], v[58:59]
	s_delay_alu instid0(VALU_DEP_1) | instskip(SKIP_1) | instid1(VALU_DEP_1)
	v_cndmask_b32_e64 v59, 0x7fffffff, v59, s30
	v_cndmask_b32_e64 v58, -1, v58, s30
	v_lshrrev_b64 v[58:59], s54, v[58:59]
	s_delay_alu instid0(VALU_DEP_1)
	v_and_b32_e32 v159, s59, v58
	s_or_b32 exec_lo, exec_lo, s34
	s_and_saveexec_b32 s34, s20
	s_cbranch_execz .LBB1142_219
.LBB1142_285:                           ;   in Loop: Header=BB1142_101 Depth=2
	ds_load_b64 v[58:59], v123 offset:13312
	s_wait_dscnt 0x0
	v_cmp_ne_u64_e64 s30, s[42:43], v[58:59]
	s_delay_alu instid0(VALU_DEP_1) | instskip(SKIP_1) | instid1(VALU_DEP_1)
	v_cndmask_b32_e64 v59, 0x7fffffff, v59, s30
	v_cndmask_b32_e64 v58, -1, v58, s30
	v_lshrrev_b64 v[58:59], s54, v[58:59]
	s_delay_alu instid0(VALU_DEP_1)
	v_and_b32_e32 v158, s59, v58
	s_or_b32 exec_lo, exec_lo, s34
	s_and_saveexec_b32 s34, s21
	s_cbranch_execz .LBB1142_220
.LBB1142_286:                           ;   in Loop: Header=BB1142_101 Depth=2
	ds_load_b64 v[58:59], v123 offset:15360
	s_wait_dscnt 0x0
	v_cmp_ne_u64_e64 s30, s[42:43], v[58:59]
	s_delay_alu instid0(VALU_DEP_1) | instskip(SKIP_1) | instid1(VALU_DEP_1)
	v_cndmask_b32_e64 v59, 0x7fffffff, v59, s30
	v_cndmask_b32_e64 v58, -1, v58, s30
	v_lshrrev_b64 v[58:59], s54, v[58:59]
	s_delay_alu instid0(VALU_DEP_1)
	v_and_b32_e32 v157, s59, v58
	s_or_b32 exec_lo, exec_lo, s34
	s_and_saveexec_b32 s34, s22
	s_cbranch_execz .LBB1142_221
.LBB1142_287:                           ;   in Loop: Header=BB1142_101 Depth=2
	ds_load_b64 v[58:59], v123 offset:17408
	s_wait_dscnt 0x0
	v_cmp_ne_u64_e64 s30, s[42:43], v[58:59]
	s_delay_alu instid0(VALU_DEP_1) | instskip(SKIP_1) | instid1(VALU_DEP_1)
	v_cndmask_b32_e64 v59, 0x7fffffff, v59, s30
	v_cndmask_b32_e64 v58, -1, v58, s30
	v_lshrrev_b64 v[58:59], s54, v[58:59]
	s_delay_alu instid0(VALU_DEP_1)
	v_and_b32_e32 v156, s59, v58
	s_or_b32 exec_lo, exec_lo, s34
	s_and_saveexec_b32 s34, s23
	s_cbranch_execz .LBB1142_222
.LBB1142_288:                           ;   in Loop: Header=BB1142_101 Depth=2
	ds_load_b64 v[58:59], v123 offset:19456
	s_wait_dscnt 0x0
	v_cmp_ne_u64_e64 s30, s[42:43], v[58:59]
	s_delay_alu instid0(VALU_DEP_1) | instskip(SKIP_1) | instid1(VALU_DEP_1)
	v_cndmask_b32_e64 v59, 0x7fffffff, v59, s30
	v_cndmask_b32_e64 v58, -1, v58, s30
	v_lshrrev_b64 v[58:59], s54, v[58:59]
	s_delay_alu instid0(VALU_DEP_1)
	v_and_b32_e32 v155, s59, v58
	s_or_b32 exec_lo, exec_lo, s34
	s_and_saveexec_b32 s34, s24
	s_cbranch_execz .LBB1142_223
.LBB1142_289:                           ;   in Loop: Header=BB1142_101 Depth=2
	ds_load_b64 v[58:59], v123 offset:21504
	s_wait_dscnt 0x0
	v_cmp_ne_u64_e64 s30, s[42:43], v[58:59]
	s_delay_alu instid0(VALU_DEP_1) | instskip(SKIP_1) | instid1(VALU_DEP_1)
	v_cndmask_b32_e64 v59, 0x7fffffff, v59, s30
	v_cndmask_b32_e64 v58, -1, v58, s30
	v_lshrrev_b64 v[58:59], s54, v[58:59]
	s_delay_alu instid0(VALU_DEP_1)
	v_and_b32_e32 v154, s59, v58
	s_or_b32 exec_lo, exec_lo, s34
	s_and_saveexec_b32 s34, s25
	s_cbranch_execz .LBB1142_224
.LBB1142_290:                           ;   in Loop: Header=BB1142_101 Depth=2
	ds_load_b64 v[58:59], v123 offset:23552
	s_wait_dscnt 0x0
	v_cmp_ne_u64_e64 s30, s[42:43], v[58:59]
	s_delay_alu instid0(VALU_DEP_1) | instskip(SKIP_1) | instid1(VALU_DEP_1)
	v_cndmask_b32_e64 v59, 0x7fffffff, v59, s30
	v_cndmask_b32_e64 v58, -1, v58, s30
	v_lshrrev_b64 v[58:59], s54, v[58:59]
	s_delay_alu instid0(VALU_DEP_1)
	v_and_b32_e32 v153, s59, v58
	s_or_b32 exec_lo, exec_lo, s34
	s_and_saveexec_b32 s34, s26
	s_cbranch_execz .LBB1142_225
.LBB1142_291:                           ;   in Loop: Header=BB1142_101 Depth=2
	ds_load_b64 v[58:59], v123 offset:25600
	s_wait_dscnt 0x0
	v_cmp_ne_u64_e64 s30, s[42:43], v[58:59]
	s_delay_alu instid0(VALU_DEP_1) | instskip(SKIP_1) | instid1(VALU_DEP_1)
	v_cndmask_b32_e64 v59, 0x7fffffff, v59, s30
	v_cndmask_b32_e64 v58, -1, v58, s30
	v_lshrrev_b64 v[58:59], s54, v[58:59]
	s_delay_alu instid0(VALU_DEP_1)
	v_and_b32_e32 v152, s59, v58
	s_or_b32 exec_lo, exec_lo, s34
	s_and_saveexec_b32 s34, s27
	s_cbranch_execz .LBB1142_226
.LBB1142_292:                           ;   in Loop: Header=BB1142_101 Depth=2
	ds_load_b64 v[58:59], v123 offset:27648
	s_wait_dscnt 0x0
	v_cmp_ne_u64_e64 s30, s[42:43], v[58:59]
	s_delay_alu instid0(VALU_DEP_1) | instskip(SKIP_1) | instid1(VALU_DEP_1)
	v_cndmask_b32_e64 v59, 0x7fffffff, v59, s30
	v_cndmask_b32_e64 v58, -1, v58, s30
	v_lshrrev_b64 v[58:59], s54, v[58:59]
	s_delay_alu instid0(VALU_DEP_1)
	v_and_b32_e32 v151, s59, v58
	s_or_b32 exec_lo, exec_lo, s34
	s_and_saveexec_b32 s34, s28
	s_cbranch_execz .LBB1142_227
.LBB1142_293:                           ;   in Loop: Header=BB1142_101 Depth=2
	ds_load_b64 v[58:59], v123 offset:29696
	s_wait_dscnt 0x0
	v_cmp_ne_u64_e64 s30, s[42:43], v[58:59]
	s_delay_alu instid0(VALU_DEP_1) | instskip(SKIP_1) | instid1(VALU_DEP_1)
	v_cndmask_b32_e64 v59, 0x7fffffff, v59, s30
	v_cndmask_b32_e64 v58, -1, v58, s30
	v_lshrrev_b64 v[58:59], s54, v[58:59]
	s_delay_alu instid0(VALU_DEP_1)
	v_and_b32_e32 v150, s59, v58
	s_or_b32 exec_lo, exec_lo, s34
	s_and_saveexec_b32 s34, s29
	s_cbranch_execnz .LBB1142_228
	s_branch .LBB1142_229
.LBB1142_294:                           ;   in Loop: Header=BB1142_101 Depth=2
	v_lshlrev_b32_e32 v58, 2, v164
	ds_load_b32 v60, v58
	ds_load_b64 v[58:59], v123 offset:1024
	s_wait_dscnt 0x1
	v_add_nc_u32_e32 v60, v60, v2
	s_wait_dscnt 0x0
	global_store_b64 v60, v[58:59], s[44:45] scale_offset
	s_wait_xcnt 0x0
	s_or_b32 exec_lo, exec_lo, s30
	s_and_saveexec_b32 s30, s15
	s_cbranch_execz .LBB1142_231
.LBB1142_295:                           ;   in Loop: Header=BB1142_101 Depth=2
	v_lshlrev_b32_e32 v58, 2, v163
	ds_load_b32 v60, v58
	ds_load_b64 v[58:59], v123 offset:3072
	s_wait_dscnt 0x1
	v_add_nc_u32_e32 v60, v60, v98
	s_wait_dscnt 0x0
	global_store_b64 v60, v[58:59], s[44:45] scale_offset
	s_wait_xcnt 0x0
	s_or_b32 exec_lo, exec_lo, s30
	s_and_saveexec_b32 s15, s16
	s_cbranch_execz .LBB1142_232
.LBB1142_296:                           ;   in Loop: Header=BB1142_101 Depth=2
	v_lshlrev_b32_e32 v58, 2, v162
	ds_load_b32 v60, v58
	ds_load_b64 v[58:59], v123 offset:5120
	s_wait_dscnt 0x1
	v_add_nc_u32_e32 v60, v60, v99
	s_wait_dscnt 0x0
	global_store_b64 v60, v[58:59], s[44:45] scale_offset
	s_wait_xcnt 0x0
	s_or_b32 exec_lo, exec_lo, s15
	s_and_saveexec_b32 s15, s17
	s_cbranch_execz .LBB1142_233
.LBB1142_297:                           ;   in Loop: Header=BB1142_101 Depth=2
	v_lshlrev_b32_e32 v58, 2, v161
	ds_load_b32 v60, v58
	ds_load_b64 v[58:59], v123 offset:7168
	s_wait_dscnt 0x1
	v_add_nc_u32_e32 v60, v60, v100
	s_wait_dscnt 0x0
	global_store_b64 v60, v[58:59], s[44:45] scale_offset
	s_wait_xcnt 0x0
	s_or_b32 exec_lo, exec_lo, s15
	s_and_saveexec_b32 s15, s18
	s_cbranch_execz .LBB1142_234
.LBB1142_298:                           ;   in Loop: Header=BB1142_101 Depth=2
	v_lshlrev_b32_e32 v58, 2, v160
	ds_load_b32 v60, v58
	ds_load_b64 v[58:59], v123 offset:9216
	s_wait_dscnt 0x1
	v_add_nc_u32_e32 v60, v60, v101
	s_wait_dscnt 0x0
	global_store_b64 v60, v[58:59], s[44:45] scale_offset
	s_wait_xcnt 0x0
	s_or_b32 exec_lo, exec_lo, s15
	s_and_saveexec_b32 s15, s19
	s_cbranch_execz .LBB1142_235
.LBB1142_299:                           ;   in Loop: Header=BB1142_101 Depth=2
	v_lshlrev_b32_e32 v58, 2, v159
	ds_load_b32 v60, v58
	ds_load_b64 v[58:59], v123 offset:11264
	s_wait_dscnt 0x1
	v_add_nc_u32_e32 v60, v60, v102
	s_wait_dscnt 0x0
	global_store_b64 v60, v[58:59], s[44:45] scale_offset
	s_wait_xcnt 0x0
	s_or_b32 exec_lo, exec_lo, s15
	s_and_saveexec_b32 s15, s20
	s_cbranch_execz .LBB1142_236
.LBB1142_300:                           ;   in Loop: Header=BB1142_101 Depth=2
	v_lshlrev_b32_e32 v58, 2, v158
	ds_load_b32 v60, v58
	ds_load_b64 v[58:59], v123 offset:13312
	s_wait_dscnt 0x1
	v_add_nc_u32_e32 v60, v60, v103
	s_wait_dscnt 0x0
	global_store_b64 v60, v[58:59], s[44:45] scale_offset
	s_wait_xcnt 0x0
	s_or_b32 exec_lo, exec_lo, s15
	s_and_saveexec_b32 s15, s21
	s_cbranch_execz .LBB1142_237
.LBB1142_301:                           ;   in Loop: Header=BB1142_101 Depth=2
	v_lshlrev_b32_e32 v58, 2, v157
	ds_load_b32 v60, v58
	ds_load_b64 v[58:59], v123 offset:15360
	s_wait_dscnt 0x1
	v_add_nc_u32_e32 v60, v60, v104
	s_wait_dscnt 0x0
	global_store_b64 v60, v[58:59], s[44:45] scale_offset
	s_wait_xcnt 0x0
	s_or_b32 exec_lo, exec_lo, s15
	s_and_saveexec_b32 s15, s22
	s_cbranch_execz .LBB1142_238
.LBB1142_302:                           ;   in Loop: Header=BB1142_101 Depth=2
	v_lshlrev_b32_e32 v58, 2, v156
	ds_load_b32 v60, v58
	ds_load_b64 v[58:59], v123 offset:17408
	s_wait_dscnt 0x1
	v_add_nc_u32_e32 v60, v60, v105
	s_wait_dscnt 0x0
	global_store_b64 v60, v[58:59], s[44:45] scale_offset
	s_wait_xcnt 0x0
	s_or_b32 exec_lo, exec_lo, s15
	s_and_saveexec_b32 s15, s23
	s_cbranch_execz .LBB1142_239
.LBB1142_303:                           ;   in Loop: Header=BB1142_101 Depth=2
	v_lshlrev_b32_e32 v58, 2, v155
	ds_load_b32 v60, v58
	ds_load_b64 v[58:59], v123 offset:19456
	s_wait_dscnt 0x1
	v_add_nc_u32_e32 v60, v60, v106
	s_wait_dscnt 0x0
	global_store_b64 v60, v[58:59], s[44:45] scale_offset
	s_wait_xcnt 0x0
	s_or_b32 exec_lo, exec_lo, s15
	s_and_saveexec_b32 s15, s24
	s_cbranch_execz .LBB1142_240
.LBB1142_304:                           ;   in Loop: Header=BB1142_101 Depth=2
	v_lshlrev_b32_e32 v58, 2, v154
	ds_load_b32 v60, v58
	ds_load_b64 v[58:59], v123 offset:21504
	s_wait_dscnt 0x1
	v_add_nc_u32_e32 v60, v60, v107
	s_wait_dscnt 0x0
	global_store_b64 v60, v[58:59], s[44:45] scale_offset
	s_wait_xcnt 0x0
	s_or_b32 exec_lo, exec_lo, s15
	s_and_saveexec_b32 s15, s25
	s_cbranch_execz .LBB1142_241
.LBB1142_305:                           ;   in Loop: Header=BB1142_101 Depth=2
	v_lshlrev_b32_e32 v58, 2, v153
	ds_load_b32 v60, v58
	ds_load_b64 v[58:59], v123 offset:23552
	s_wait_dscnt 0x1
	v_add_nc_u32_e32 v60, v60, v108
	s_wait_dscnt 0x0
	global_store_b64 v60, v[58:59], s[44:45] scale_offset
	s_wait_xcnt 0x0
	s_or_b32 exec_lo, exec_lo, s15
	s_and_saveexec_b32 s15, s26
	s_cbranch_execz .LBB1142_242
.LBB1142_306:                           ;   in Loop: Header=BB1142_101 Depth=2
	v_lshlrev_b32_e32 v58, 2, v152
	ds_load_b32 v60, v58
	ds_load_b64 v[58:59], v123 offset:25600
	s_wait_dscnt 0x1
	v_add_nc_u32_e32 v60, v60, v109
	s_wait_dscnt 0x0
	global_store_b64 v60, v[58:59], s[44:45] scale_offset
	s_wait_xcnt 0x0
	s_or_b32 exec_lo, exec_lo, s15
	s_and_saveexec_b32 s15, s27
	s_cbranch_execz .LBB1142_243
.LBB1142_307:                           ;   in Loop: Header=BB1142_101 Depth=2
	v_lshlrev_b32_e32 v58, 2, v151
	ds_load_b32 v60, v58
	ds_load_b64 v[58:59], v123 offset:27648
	s_wait_dscnt 0x1
	v_add_nc_u32_e32 v60, v60, v110
	s_wait_dscnt 0x0
	global_store_b64 v60, v[58:59], s[44:45] scale_offset
	s_wait_xcnt 0x0
	s_or_b32 exec_lo, exec_lo, s15
	s_and_saveexec_b32 s15, s28
	s_cbranch_execz .LBB1142_244
.LBB1142_308:                           ;   in Loop: Header=BB1142_101 Depth=2
	v_lshlrev_b32_e32 v58, 2, v150
	ds_load_b32 v60, v58
	ds_load_b64 v[58:59], v123 offset:29696
	s_wait_dscnt 0x1
	v_add_nc_u32_e32 v60, v60, v111
	s_wait_dscnt 0x0
	global_store_b64 v60, v[58:59], s[44:45] scale_offset
	s_wait_xcnt 0x0
	s_or_b32 exec_lo, exec_lo, s15
	s_and_saveexec_b32 s15, s29
	s_cbranch_execnz .LBB1142_245
	s_branch .LBB1142_246
.LBB1142_309:                           ;   in Loop: Header=BB1142_17 Depth=1
	s_wait_dscnt 0x0
	s_barrier_signal -1
	s_mov_b32 s7, 0
	s_barrier_wait -1
.LBB1142_310:                           ;   in Loop: Header=BB1142_17 Depth=1
	s_and_b32 vcc_lo, exec_lo, s7
	s_cbranch_vccz .LBB1142_602
; %bb.311:                              ;   in Loop: Header=BB1142_17 Depth=1
	s_mov_b32 s7, s58
	s_mov_b32 s34, s56
	s_barrier_signal -1
	s_barrier_wait -1
                                        ; implicit-def: $vgpr22_vgpr23
                                        ; implicit-def: $vgpr24_vgpr25
                                        ; implicit-def: $vgpr26_vgpr27
                                        ; implicit-def: $vgpr28_vgpr29
                                        ; implicit-def: $vgpr30_vgpr31
                                        ; implicit-def: $vgpr32_vgpr33
                                        ; implicit-def: $vgpr34_vgpr35
                                        ; implicit-def: $vgpr36_vgpr37
                                        ; implicit-def: $vgpr38_vgpr39
                                        ; implicit-def: $vgpr40_vgpr41
                                        ; implicit-def: $vgpr42_vgpr43
                                        ; implicit-def: $vgpr44_vgpr45
                                        ; implicit-def: $vgpr46_vgpr47
                                        ; implicit-def: $vgpr48_vgpr49
                                        ; implicit-def: $vgpr50_vgpr51
                                        ; implicit-def: $vgpr52_vgpr53
	s_branch .LBB1142_313
.LBB1142_312:                           ;   in Loop: Header=BB1142_313 Depth=2
	s_or_b32 exec_lo, exec_lo, s8
	s_addk_co_i32 s7, 0xf000
	s_cmp_ge_u32 s10, s51
	s_mov_b32 s34, s10
	s_cbranch_scc1 .LBB1142_381
.LBB1142_313:                           ;   Parent Loop BB1142_17 Depth=1
                                        ; =>  This Inner Loop Header: Depth=2
	s_add_co_i32 s10, s34, 0x1000
	s_mov_b32 s8, -1
	s_cmp_gt_u32 s10, s51
                                        ; implicit-def: $vgpr54_vgpr55
                                        ; implicit-def: $vgpr56_vgpr57
                                        ; implicit-def: $vgpr58_vgpr59
                                        ; implicit-def: $vgpr60_vgpr61
                                        ; implicit-def: $vgpr62_vgpr63
                                        ; implicit-def: $vgpr64_vgpr65
                                        ; implicit-def: $vgpr66_vgpr67
                                        ; implicit-def: $vgpr68_vgpr69
                                        ; implicit-def: $vgpr70_vgpr71
                                        ; implicit-def: $vgpr72_vgpr73
                                        ; implicit-def: $vgpr74_vgpr75
                                        ; implicit-def: $vgpr76_vgpr77
                                        ; implicit-def: $vgpr78_vgpr79
                                        ; implicit-def: $vgpr80_vgpr81
                                        ; implicit-def: $vgpr82_vgpr83
                                        ; implicit-def: $vgpr84_vgpr85
	s_cbranch_scc1 .LBB1142_315
; %bb.314:                              ;   in Loop: Header=BB1142_313 Depth=2
	v_lshl_add_u64 v[84:85], s[34:35], 3, v[10:11]
	s_mov_b32 s8, 0
	s_clause 0xf
	global_load_b64 v[54:55], v[84:85], off
	global_load_b64 v[56:57], v[84:85], off offset:2048
	global_load_b64 v[58:59], v[84:85], off offset:4096
	;; [unrolled: 1-line block ×15, first 2 shown]
.LBB1142_315:                           ;   in Loop: Header=BB1142_313 Depth=2
	s_and_not1_b32 vcc_lo, exec_lo, s8
	s_movk_i32 s8, 0x1000
	s_cbranch_vccnz .LBB1142_334
; %bb.316:                              ;   in Loop: Header=BB1142_313 Depth=2
	s_lshl_b64 s[8:9], s[34:35], 3
	s_mov_b32 s11, exec_lo
	s_add_nc_u64 s[8:9], s[38:39], s[8:9]
	s_wait_xcnt 0x0
	v_cmpx_gt_u32_e64 s7, v2
	s_cbranch_execnz .LBB1142_366
; %bb.317:                              ;   in Loop: Header=BB1142_313 Depth=2
	s_or_b32 exec_lo, exec_lo, s11
	s_delay_alu instid0(SALU_CYCLE_1)
	s_mov_b32 s11, exec_lo
	v_cmpx_gt_u32_e64 s7, v98
	s_cbranch_execnz .LBB1142_367
.LBB1142_318:                           ;   in Loop: Header=BB1142_313 Depth=2
	s_or_b32 exec_lo, exec_lo, s11
	s_delay_alu instid0(SALU_CYCLE_1)
	s_mov_b32 s11, exec_lo
	v_cmpx_gt_u32_e64 s7, v99
	s_cbranch_execnz .LBB1142_368
.LBB1142_319:                           ;   in Loop: Header=BB1142_313 Depth=2
	s_or_b32 exec_lo, exec_lo, s11
	s_delay_alu instid0(SALU_CYCLE_1)
	s_mov_b32 s11, exec_lo
	v_cmpx_gt_u32_e64 s7, v100
	s_cbranch_execnz .LBB1142_369
.LBB1142_320:                           ;   in Loop: Header=BB1142_313 Depth=2
	s_or_b32 exec_lo, exec_lo, s11
	s_delay_alu instid0(SALU_CYCLE_1)
	s_mov_b32 s11, exec_lo
	v_cmpx_gt_u32_e64 s7, v101
	s_cbranch_execnz .LBB1142_370
.LBB1142_321:                           ;   in Loop: Header=BB1142_313 Depth=2
	s_or_b32 exec_lo, exec_lo, s11
	s_delay_alu instid0(SALU_CYCLE_1)
	s_mov_b32 s11, exec_lo
	v_cmpx_gt_u32_e64 s7, v102
	s_cbranch_execnz .LBB1142_371
.LBB1142_322:                           ;   in Loop: Header=BB1142_313 Depth=2
	s_or_b32 exec_lo, exec_lo, s11
	s_delay_alu instid0(SALU_CYCLE_1)
	s_mov_b32 s11, exec_lo
	v_cmpx_gt_u32_e64 s7, v103
	s_cbranch_execnz .LBB1142_372
.LBB1142_323:                           ;   in Loop: Header=BB1142_313 Depth=2
	s_or_b32 exec_lo, exec_lo, s11
	s_delay_alu instid0(SALU_CYCLE_1)
	s_mov_b32 s11, exec_lo
	v_cmpx_gt_u32_e64 s7, v104
	s_cbranch_execnz .LBB1142_373
.LBB1142_324:                           ;   in Loop: Header=BB1142_313 Depth=2
	s_or_b32 exec_lo, exec_lo, s11
	s_delay_alu instid0(SALU_CYCLE_1)
	s_mov_b32 s11, exec_lo
	v_cmpx_gt_u32_e64 s7, v105
	s_cbranch_execnz .LBB1142_374
.LBB1142_325:                           ;   in Loop: Header=BB1142_313 Depth=2
	s_or_b32 exec_lo, exec_lo, s11
	s_delay_alu instid0(SALU_CYCLE_1)
	s_mov_b32 s11, exec_lo
	v_cmpx_gt_u32_e64 s7, v106
	s_cbranch_execnz .LBB1142_375
.LBB1142_326:                           ;   in Loop: Header=BB1142_313 Depth=2
	s_or_b32 exec_lo, exec_lo, s11
	s_delay_alu instid0(SALU_CYCLE_1)
	s_mov_b32 s11, exec_lo
	v_cmpx_gt_u32_e64 s7, v107
	s_cbranch_execnz .LBB1142_376
.LBB1142_327:                           ;   in Loop: Header=BB1142_313 Depth=2
	s_or_b32 exec_lo, exec_lo, s11
	s_delay_alu instid0(SALU_CYCLE_1)
	s_mov_b32 s11, exec_lo
	v_cmpx_gt_u32_e64 s7, v108
	s_cbranch_execnz .LBB1142_377
.LBB1142_328:                           ;   in Loop: Header=BB1142_313 Depth=2
	s_or_b32 exec_lo, exec_lo, s11
	s_delay_alu instid0(SALU_CYCLE_1)
	s_mov_b32 s11, exec_lo
	v_cmpx_gt_u32_e64 s7, v109
	s_cbranch_execnz .LBB1142_378
.LBB1142_329:                           ;   in Loop: Header=BB1142_313 Depth=2
	s_or_b32 exec_lo, exec_lo, s11
	s_delay_alu instid0(SALU_CYCLE_1)
	s_mov_b32 s11, exec_lo
	v_cmpx_gt_u32_e64 s7, v110
	s_cbranch_execnz .LBB1142_379
.LBB1142_330:                           ;   in Loop: Header=BB1142_313 Depth=2
	s_or_b32 exec_lo, exec_lo, s11
	s_delay_alu instid0(SALU_CYCLE_1)
	s_mov_b32 s11, exec_lo
	v_cmpx_gt_u32_e64 s7, v111
	s_cbranch_execnz .LBB1142_380
.LBB1142_331:                           ;   in Loop: Header=BB1142_313 Depth=2
	s_or_b32 exec_lo, exec_lo, s11
	s_delay_alu instid0(SALU_CYCLE_1)
	s_mov_b32 s11, exec_lo
	v_cmpx_gt_u32_e64 s7, v112
	s_cbranch_execz .LBB1142_333
.LBB1142_332:                           ;   in Loop: Header=BB1142_313 Depth=2
	global_load_b64 v[22:23], v2, s[8:9] offset:30720 scale_offset
.LBB1142_333:                           ;   in Loop: Header=BB1142_313 Depth=2
	s_wait_xcnt 0x0
	s_or_b32 exec_lo, exec_lo, s11
	s_wait_loadcnt 0x0
	v_mov_b64_e32 v[54:55], v[52:53]
	v_mov_b64_e32 v[56:57], v[50:51]
	;; [unrolled: 1-line block ×16, first 2 shown]
	s_mov_b32 s8, s7
.LBB1142_334:                           ;   in Loop: Header=BB1142_313 Depth=2
	s_wait_loadcnt 0x0
	s_delay_alu instid0(VALU_DEP_1) | instskip(NEXT) | instid1(VALU_DEP_3)
	v_mov_b64_e32 v[22:23], v[84:85]
	v_mov_b64_e32 v[24:25], v[82:83]
	;; [unrolled: 1-line block ×16, first 2 shown]
	s_mov_b32 s9, exec_lo
	s_wait_xcnt 0x0
	v_cmpx_gt_u32_e64 s8, v2
	s_cbranch_execnz .LBB1142_350
; %bb.335:                              ;   in Loop: Header=BB1142_313 Depth=2
	s_or_b32 exec_lo, exec_lo, s9
	s_delay_alu instid0(SALU_CYCLE_1)
	s_mov_b32 s9, exec_lo
	v_cmpx_gt_u32_e64 s8, v98
	s_cbranch_execnz .LBB1142_351
.LBB1142_336:                           ;   in Loop: Header=BB1142_313 Depth=2
	s_or_b32 exec_lo, exec_lo, s9
	s_delay_alu instid0(SALU_CYCLE_1)
	s_mov_b32 s9, exec_lo
	v_cmpx_gt_u32_e64 s8, v99
	s_cbranch_execnz .LBB1142_352
.LBB1142_337:                           ;   in Loop: Header=BB1142_313 Depth=2
	s_or_b32 exec_lo, exec_lo, s9
	s_delay_alu instid0(SALU_CYCLE_1)
	s_mov_b32 s9, exec_lo
	v_cmpx_gt_u32_e64 s8, v100
	s_cbranch_execnz .LBB1142_353
.LBB1142_338:                           ;   in Loop: Header=BB1142_313 Depth=2
	s_or_b32 exec_lo, exec_lo, s9
	s_delay_alu instid0(SALU_CYCLE_1)
	s_mov_b32 s9, exec_lo
	v_cmpx_gt_u32_e64 s8, v101
	s_cbranch_execnz .LBB1142_354
.LBB1142_339:                           ;   in Loop: Header=BB1142_313 Depth=2
	s_or_b32 exec_lo, exec_lo, s9
	s_delay_alu instid0(SALU_CYCLE_1)
	s_mov_b32 s9, exec_lo
	v_cmpx_gt_u32_e64 s8, v102
	s_cbranch_execnz .LBB1142_355
.LBB1142_340:                           ;   in Loop: Header=BB1142_313 Depth=2
	s_or_b32 exec_lo, exec_lo, s9
	s_delay_alu instid0(SALU_CYCLE_1)
	s_mov_b32 s9, exec_lo
	v_cmpx_gt_u32_e64 s8, v103
	s_cbranch_execnz .LBB1142_356
.LBB1142_341:                           ;   in Loop: Header=BB1142_313 Depth=2
	s_or_b32 exec_lo, exec_lo, s9
	s_delay_alu instid0(SALU_CYCLE_1)
	s_mov_b32 s9, exec_lo
	v_cmpx_gt_u32_e64 s8, v104
	s_cbranch_execnz .LBB1142_357
.LBB1142_342:                           ;   in Loop: Header=BB1142_313 Depth=2
	s_or_b32 exec_lo, exec_lo, s9
	s_delay_alu instid0(SALU_CYCLE_1)
	s_mov_b32 s9, exec_lo
	v_cmpx_gt_u32_e64 s8, v105
	s_cbranch_execnz .LBB1142_358
.LBB1142_343:                           ;   in Loop: Header=BB1142_313 Depth=2
	s_or_b32 exec_lo, exec_lo, s9
	s_delay_alu instid0(SALU_CYCLE_1)
	s_mov_b32 s9, exec_lo
	v_cmpx_gt_u32_e64 s8, v106
	s_cbranch_execnz .LBB1142_359
.LBB1142_344:                           ;   in Loop: Header=BB1142_313 Depth=2
	s_or_b32 exec_lo, exec_lo, s9
	s_delay_alu instid0(SALU_CYCLE_1)
	s_mov_b32 s9, exec_lo
	v_cmpx_gt_u32_e64 s8, v107
	s_cbranch_execnz .LBB1142_360
.LBB1142_345:                           ;   in Loop: Header=BB1142_313 Depth=2
	s_or_b32 exec_lo, exec_lo, s9
	s_delay_alu instid0(SALU_CYCLE_1)
	s_mov_b32 s9, exec_lo
	v_cmpx_gt_u32_e64 s8, v108
	s_cbranch_execnz .LBB1142_361
.LBB1142_346:                           ;   in Loop: Header=BB1142_313 Depth=2
	s_or_b32 exec_lo, exec_lo, s9
	s_delay_alu instid0(SALU_CYCLE_1)
	s_mov_b32 s9, exec_lo
	v_cmpx_gt_u32_e64 s8, v109
	s_cbranch_execnz .LBB1142_362
.LBB1142_347:                           ;   in Loop: Header=BB1142_313 Depth=2
	s_or_b32 exec_lo, exec_lo, s9
	s_delay_alu instid0(SALU_CYCLE_1)
	s_mov_b32 s9, exec_lo
	v_cmpx_gt_u32_e64 s8, v110
	s_cbranch_execnz .LBB1142_363
.LBB1142_348:                           ;   in Loop: Header=BB1142_313 Depth=2
	s_or_b32 exec_lo, exec_lo, s9
	s_delay_alu instid0(SALU_CYCLE_1)
	s_mov_b32 s9, exec_lo
	v_cmpx_gt_u32_e64 s8, v111
	s_cbranch_execnz .LBB1142_364
.LBB1142_349:                           ;   in Loop: Header=BB1142_313 Depth=2
	s_or_b32 exec_lo, exec_lo, s9
	v_cmp_gt_u32_e32 vcc_lo, s8, v112
	s_and_saveexec_b32 s8, vcc_lo
	s_cbranch_execz .LBB1142_312
	s_branch .LBB1142_365
.LBB1142_350:                           ;   in Loop: Header=BB1142_313 Depth=2
	s_delay_alu instid0(VALU_DEP_2) | instskip(SKIP_1) | instid1(VALU_DEP_1)
	v_cmp_gt_i64_e32 vcc_lo, 0, v[52:53]
	v_cndmask_b32_e64 v55, 0x7fffffff, 0, vcc_lo
	v_dual_ashrrev_i32 v54, 31, v53 :: v_dual_bitop2_b32 v55, v55, v53 bitop3:0x14
	s_delay_alu instid0(VALU_DEP_1) | instskip(NEXT) | instid1(VALU_DEP_1)
	v_not_b32_e32 v54, v54
	v_xor_b32_e32 v54, v54, v52
	s_delay_alu instid0(VALU_DEP_1) | instskip(SKIP_2) | instid1(VALU_DEP_1)
	v_cmp_ne_u64_e32 vcc_lo, s[42:43], v[54:55]
	v_cndmask_b32_e32 v55, 0x7fffffff, v55, vcc_lo
	v_cndmask_b32_e32 v54, -1, v54, vcc_lo
	v_lshrrev_b64 v[54:55], s54, v[54:55]
	s_delay_alu instid0(VALU_DEP_1) | instskip(NEXT) | instid1(VALU_DEP_1)
	v_and_b32_e32 v54, s59, v54
	v_lshl_or_b32 v54, v54, 4, v113
	ds_add_u32 v54, v125
	s_or_b32 exec_lo, exec_lo, s9
	s_delay_alu instid0(SALU_CYCLE_1)
	s_mov_b32 s9, exec_lo
	v_cmpx_gt_u32_e64 s8, v98
	s_cbranch_execz .LBB1142_336
.LBB1142_351:                           ;   in Loop: Header=BB1142_313 Depth=2
	v_cmp_gt_i64_e32 vcc_lo, 0, v[50:51]
	v_cndmask_b32_e64 v55, 0x7fffffff, 0, vcc_lo
	s_delay_alu instid0(VALU_DEP_1) | instskip(NEXT) | instid1(VALU_DEP_1)
	v_dual_ashrrev_i32 v54, 31, v51 :: v_dual_bitop2_b32 v55, v55, v51 bitop3:0x14
	v_not_b32_e32 v54, v54
	s_delay_alu instid0(VALU_DEP_1) | instskip(NEXT) | instid1(VALU_DEP_1)
	v_xor_b32_e32 v54, v54, v50
	v_cmp_ne_u64_e32 vcc_lo, s[42:43], v[54:55]
	v_cndmask_b32_e32 v55, 0x7fffffff, v55, vcc_lo
	v_cndmask_b32_e32 v54, -1, v54, vcc_lo
	s_delay_alu instid0(VALU_DEP_1) | instskip(NEXT) | instid1(VALU_DEP_1)
	v_lshrrev_b64 v[54:55], s54, v[54:55]
	v_and_b32_e32 v54, s59, v54
	s_delay_alu instid0(VALU_DEP_1) | instskip(SKIP_2) | instid1(SALU_CYCLE_1)
	v_lshl_or_b32 v54, v54, 4, v113
	ds_add_u32 v54, v125
	s_or_b32 exec_lo, exec_lo, s9
	s_mov_b32 s9, exec_lo
	v_cmpx_gt_u32_e64 s8, v99
	s_cbranch_execz .LBB1142_337
.LBB1142_352:                           ;   in Loop: Header=BB1142_313 Depth=2
	v_cmp_gt_i64_e32 vcc_lo, 0, v[48:49]
	v_cndmask_b32_e64 v55, 0x7fffffff, 0, vcc_lo
	s_delay_alu instid0(VALU_DEP_1) | instskip(NEXT) | instid1(VALU_DEP_1)
	v_dual_ashrrev_i32 v54, 31, v49 :: v_dual_bitop2_b32 v55, v55, v49 bitop3:0x14
	v_not_b32_e32 v54, v54
	s_delay_alu instid0(VALU_DEP_1) | instskip(NEXT) | instid1(VALU_DEP_1)
	v_xor_b32_e32 v54, v54, v48
	v_cmp_ne_u64_e32 vcc_lo, s[42:43], v[54:55]
	v_cndmask_b32_e32 v55, 0x7fffffff, v55, vcc_lo
	v_cndmask_b32_e32 v54, -1, v54, vcc_lo
	s_delay_alu instid0(VALU_DEP_1) | instskip(NEXT) | instid1(VALU_DEP_1)
	v_lshrrev_b64 v[54:55], s54, v[54:55]
	v_and_b32_e32 v54, s59, v54
	s_delay_alu instid0(VALU_DEP_1) | instskip(SKIP_2) | instid1(SALU_CYCLE_1)
	v_lshl_or_b32 v54, v54, 4, v113
	ds_add_u32 v54, v125
	s_or_b32 exec_lo, exec_lo, s9
	s_mov_b32 s9, exec_lo
	v_cmpx_gt_u32_e64 s8, v100
	s_cbranch_execz .LBB1142_338
.LBB1142_353:                           ;   in Loop: Header=BB1142_313 Depth=2
	v_cmp_gt_i64_e32 vcc_lo, 0, v[46:47]
	v_cndmask_b32_e64 v55, 0x7fffffff, 0, vcc_lo
	s_delay_alu instid0(VALU_DEP_1) | instskip(NEXT) | instid1(VALU_DEP_1)
	v_dual_ashrrev_i32 v54, 31, v47 :: v_dual_bitop2_b32 v55, v55, v47 bitop3:0x14
	v_not_b32_e32 v54, v54
	s_delay_alu instid0(VALU_DEP_1) | instskip(NEXT) | instid1(VALU_DEP_1)
	v_xor_b32_e32 v54, v54, v46
	v_cmp_ne_u64_e32 vcc_lo, s[42:43], v[54:55]
	v_cndmask_b32_e32 v55, 0x7fffffff, v55, vcc_lo
	v_cndmask_b32_e32 v54, -1, v54, vcc_lo
	s_delay_alu instid0(VALU_DEP_1) | instskip(NEXT) | instid1(VALU_DEP_1)
	v_lshrrev_b64 v[54:55], s54, v[54:55]
	v_and_b32_e32 v54, s59, v54
	s_delay_alu instid0(VALU_DEP_1) | instskip(SKIP_2) | instid1(SALU_CYCLE_1)
	v_lshl_or_b32 v54, v54, 4, v113
	ds_add_u32 v54, v125
	s_or_b32 exec_lo, exec_lo, s9
	s_mov_b32 s9, exec_lo
	v_cmpx_gt_u32_e64 s8, v101
	s_cbranch_execz .LBB1142_339
.LBB1142_354:                           ;   in Loop: Header=BB1142_313 Depth=2
	v_cmp_gt_i64_e32 vcc_lo, 0, v[44:45]
	v_cndmask_b32_e64 v55, 0x7fffffff, 0, vcc_lo
	s_delay_alu instid0(VALU_DEP_1) | instskip(NEXT) | instid1(VALU_DEP_1)
	v_dual_ashrrev_i32 v54, 31, v45 :: v_dual_bitop2_b32 v55, v55, v45 bitop3:0x14
	v_not_b32_e32 v54, v54
	s_delay_alu instid0(VALU_DEP_1) | instskip(NEXT) | instid1(VALU_DEP_1)
	v_xor_b32_e32 v54, v54, v44
	v_cmp_ne_u64_e32 vcc_lo, s[42:43], v[54:55]
	v_cndmask_b32_e32 v55, 0x7fffffff, v55, vcc_lo
	v_cndmask_b32_e32 v54, -1, v54, vcc_lo
	s_delay_alu instid0(VALU_DEP_1) | instskip(NEXT) | instid1(VALU_DEP_1)
	v_lshrrev_b64 v[54:55], s54, v[54:55]
	v_and_b32_e32 v54, s59, v54
	s_delay_alu instid0(VALU_DEP_1) | instskip(SKIP_2) | instid1(SALU_CYCLE_1)
	v_lshl_or_b32 v54, v54, 4, v113
	ds_add_u32 v54, v125
	s_or_b32 exec_lo, exec_lo, s9
	s_mov_b32 s9, exec_lo
	v_cmpx_gt_u32_e64 s8, v102
	s_cbranch_execz .LBB1142_340
.LBB1142_355:                           ;   in Loop: Header=BB1142_313 Depth=2
	v_cmp_gt_i64_e32 vcc_lo, 0, v[42:43]
	v_cndmask_b32_e64 v55, 0x7fffffff, 0, vcc_lo
	s_delay_alu instid0(VALU_DEP_1) | instskip(NEXT) | instid1(VALU_DEP_1)
	v_dual_ashrrev_i32 v54, 31, v43 :: v_dual_bitop2_b32 v55, v55, v43 bitop3:0x14
	v_not_b32_e32 v54, v54
	s_delay_alu instid0(VALU_DEP_1) | instskip(NEXT) | instid1(VALU_DEP_1)
	v_xor_b32_e32 v54, v54, v42
	v_cmp_ne_u64_e32 vcc_lo, s[42:43], v[54:55]
	v_cndmask_b32_e32 v55, 0x7fffffff, v55, vcc_lo
	v_cndmask_b32_e32 v54, -1, v54, vcc_lo
	s_delay_alu instid0(VALU_DEP_1) | instskip(NEXT) | instid1(VALU_DEP_1)
	v_lshrrev_b64 v[54:55], s54, v[54:55]
	v_and_b32_e32 v54, s59, v54
	s_delay_alu instid0(VALU_DEP_1) | instskip(SKIP_2) | instid1(SALU_CYCLE_1)
	v_lshl_or_b32 v54, v54, 4, v113
	ds_add_u32 v54, v125
	s_or_b32 exec_lo, exec_lo, s9
	s_mov_b32 s9, exec_lo
	v_cmpx_gt_u32_e64 s8, v103
	s_cbranch_execz .LBB1142_341
.LBB1142_356:                           ;   in Loop: Header=BB1142_313 Depth=2
	v_cmp_gt_i64_e32 vcc_lo, 0, v[40:41]
	v_cndmask_b32_e64 v55, 0x7fffffff, 0, vcc_lo
	s_delay_alu instid0(VALU_DEP_1) | instskip(NEXT) | instid1(VALU_DEP_1)
	v_dual_ashrrev_i32 v54, 31, v41 :: v_dual_bitop2_b32 v55, v55, v41 bitop3:0x14
	v_not_b32_e32 v54, v54
	s_delay_alu instid0(VALU_DEP_1) | instskip(NEXT) | instid1(VALU_DEP_1)
	v_xor_b32_e32 v54, v54, v40
	v_cmp_ne_u64_e32 vcc_lo, s[42:43], v[54:55]
	v_cndmask_b32_e32 v55, 0x7fffffff, v55, vcc_lo
	v_cndmask_b32_e32 v54, -1, v54, vcc_lo
	s_delay_alu instid0(VALU_DEP_1) | instskip(NEXT) | instid1(VALU_DEP_1)
	v_lshrrev_b64 v[54:55], s54, v[54:55]
	v_and_b32_e32 v54, s59, v54
	s_delay_alu instid0(VALU_DEP_1) | instskip(SKIP_2) | instid1(SALU_CYCLE_1)
	v_lshl_or_b32 v54, v54, 4, v113
	ds_add_u32 v54, v125
	s_or_b32 exec_lo, exec_lo, s9
	s_mov_b32 s9, exec_lo
	v_cmpx_gt_u32_e64 s8, v104
	s_cbranch_execz .LBB1142_342
.LBB1142_357:                           ;   in Loop: Header=BB1142_313 Depth=2
	v_cmp_gt_i64_e32 vcc_lo, 0, v[38:39]
	v_cndmask_b32_e64 v55, 0x7fffffff, 0, vcc_lo
	s_delay_alu instid0(VALU_DEP_1) | instskip(NEXT) | instid1(VALU_DEP_1)
	v_dual_ashrrev_i32 v54, 31, v39 :: v_dual_bitop2_b32 v55, v55, v39 bitop3:0x14
	v_not_b32_e32 v54, v54
	s_delay_alu instid0(VALU_DEP_1) | instskip(NEXT) | instid1(VALU_DEP_1)
	v_xor_b32_e32 v54, v54, v38
	v_cmp_ne_u64_e32 vcc_lo, s[42:43], v[54:55]
	v_cndmask_b32_e32 v55, 0x7fffffff, v55, vcc_lo
	v_cndmask_b32_e32 v54, -1, v54, vcc_lo
	s_delay_alu instid0(VALU_DEP_1) | instskip(NEXT) | instid1(VALU_DEP_1)
	v_lshrrev_b64 v[54:55], s54, v[54:55]
	v_and_b32_e32 v54, s59, v54
	s_delay_alu instid0(VALU_DEP_1) | instskip(SKIP_2) | instid1(SALU_CYCLE_1)
	v_lshl_or_b32 v54, v54, 4, v113
	ds_add_u32 v54, v125
	s_or_b32 exec_lo, exec_lo, s9
	s_mov_b32 s9, exec_lo
	v_cmpx_gt_u32_e64 s8, v105
	s_cbranch_execz .LBB1142_343
.LBB1142_358:                           ;   in Loop: Header=BB1142_313 Depth=2
	v_cmp_gt_i64_e32 vcc_lo, 0, v[36:37]
	v_cndmask_b32_e64 v55, 0x7fffffff, 0, vcc_lo
	s_delay_alu instid0(VALU_DEP_1) | instskip(NEXT) | instid1(VALU_DEP_1)
	v_dual_ashrrev_i32 v54, 31, v37 :: v_dual_bitop2_b32 v55, v55, v37 bitop3:0x14
	v_not_b32_e32 v54, v54
	s_delay_alu instid0(VALU_DEP_1) | instskip(NEXT) | instid1(VALU_DEP_1)
	v_xor_b32_e32 v54, v54, v36
	v_cmp_ne_u64_e32 vcc_lo, s[42:43], v[54:55]
	v_cndmask_b32_e32 v55, 0x7fffffff, v55, vcc_lo
	v_cndmask_b32_e32 v54, -1, v54, vcc_lo
	s_delay_alu instid0(VALU_DEP_1) | instskip(NEXT) | instid1(VALU_DEP_1)
	v_lshrrev_b64 v[54:55], s54, v[54:55]
	v_and_b32_e32 v54, s59, v54
	s_delay_alu instid0(VALU_DEP_1) | instskip(SKIP_2) | instid1(SALU_CYCLE_1)
	v_lshl_or_b32 v54, v54, 4, v113
	ds_add_u32 v54, v125
	s_or_b32 exec_lo, exec_lo, s9
	s_mov_b32 s9, exec_lo
	v_cmpx_gt_u32_e64 s8, v106
	s_cbranch_execz .LBB1142_344
.LBB1142_359:                           ;   in Loop: Header=BB1142_313 Depth=2
	v_cmp_gt_i64_e32 vcc_lo, 0, v[34:35]
	v_cndmask_b32_e64 v55, 0x7fffffff, 0, vcc_lo
	s_delay_alu instid0(VALU_DEP_1) | instskip(NEXT) | instid1(VALU_DEP_1)
	v_dual_ashrrev_i32 v54, 31, v35 :: v_dual_bitop2_b32 v55, v55, v35 bitop3:0x14
	v_not_b32_e32 v54, v54
	s_delay_alu instid0(VALU_DEP_1) | instskip(NEXT) | instid1(VALU_DEP_1)
	v_xor_b32_e32 v54, v54, v34
	v_cmp_ne_u64_e32 vcc_lo, s[42:43], v[54:55]
	v_cndmask_b32_e32 v55, 0x7fffffff, v55, vcc_lo
	v_cndmask_b32_e32 v54, -1, v54, vcc_lo
	s_delay_alu instid0(VALU_DEP_1) | instskip(NEXT) | instid1(VALU_DEP_1)
	v_lshrrev_b64 v[54:55], s54, v[54:55]
	v_and_b32_e32 v54, s59, v54
	s_delay_alu instid0(VALU_DEP_1) | instskip(SKIP_2) | instid1(SALU_CYCLE_1)
	v_lshl_or_b32 v54, v54, 4, v113
	ds_add_u32 v54, v125
	s_or_b32 exec_lo, exec_lo, s9
	s_mov_b32 s9, exec_lo
	v_cmpx_gt_u32_e64 s8, v107
	s_cbranch_execz .LBB1142_345
.LBB1142_360:                           ;   in Loop: Header=BB1142_313 Depth=2
	v_cmp_gt_i64_e32 vcc_lo, 0, v[32:33]
	v_cndmask_b32_e64 v55, 0x7fffffff, 0, vcc_lo
	s_delay_alu instid0(VALU_DEP_1) | instskip(NEXT) | instid1(VALU_DEP_1)
	v_dual_ashrrev_i32 v54, 31, v33 :: v_dual_bitop2_b32 v55, v55, v33 bitop3:0x14
	v_not_b32_e32 v54, v54
	s_delay_alu instid0(VALU_DEP_1) | instskip(NEXT) | instid1(VALU_DEP_1)
	v_xor_b32_e32 v54, v54, v32
	v_cmp_ne_u64_e32 vcc_lo, s[42:43], v[54:55]
	v_cndmask_b32_e32 v55, 0x7fffffff, v55, vcc_lo
	v_cndmask_b32_e32 v54, -1, v54, vcc_lo
	s_delay_alu instid0(VALU_DEP_1) | instskip(NEXT) | instid1(VALU_DEP_1)
	v_lshrrev_b64 v[54:55], s54, v[54:55]
	v_and_b32_e32 v54, s59, v54
	s_delay_alu instid0(VALU_DEP_1) | instskip(SKIP_2) | instid1(SALU_CYCLE_1)
	v_lshl_or_b32 v54, v54, 4, v113
	ds_add_u32 v54, v125
	s_or_b32 exec_lo, exec_lo, s9
	s_mov_b32 s9, exec_lo
	v_cmpx_gt_u32_e64 s8, v108
	s_cbranch_execz .LBB1142_346
.LBB1142_361:                           ;   in Loop: Header=BB1142_313 Depth=2
	v_cmp_gt_i64_e32 vcc_lo, 0, v[30:31]
	v_cndmask_b32_e64 v55, 0x7fffffff, 0, vcc_lo
	s_delay_alu instid0(VALU_DEP_1) | instskip(NEXT) | instid1(VALU_DEP_1)
	v_dual_ashrrev_i32 v54, 31, v31 :: v_dual_bitop2_b32 v55, v55, v31 bitop3:0x14
	v_not_b32_e32 v54, v54
	s_delay_alu instid0(VALU_DEP_1) | instskip(NEXT) | instid1(VALU_DEP_1)
	v_xor_b32_e32 v54, v54, v30
	v_cmp_ne_u64_e32 vcc_lo, s[42:43], v[54:55]
	v_cndmask_b32_e32 v55, 0x7fffffff, v55, vcc_lo
	v_cndmask_b32_e32 v54, -1, v54, vcc_lo
	s_delay_alu instid0(VALU_DEP_1) | instskip(NEXT) | instid1(VALU_DEP_1)
	v_lshrrev_b64 v[54:55], s54, v[54:55]
	v_and_b32_e32 v54, s59, v54
	s_delay_alu instid0(VALU_DEP_1) | instskip(SKIP_2) | instid1(SALU_CYCLE_1)
	v_lshl_or_b32 v54, v54, 4, v113
	ds_add_u32 v54, v125
	s_or_b32 exec_lo, exec_lo, s9
	s_mov_b32 s9, exec_lo
	v_cmpx_gt_u32_e64 s8, v109
	s_cbranch_execz .LBB1142_347
.LBB1142_362:                           ;   in Loop: Header=BB1142_313 Depth=2
	v_cmp_gt_i64_e32 vcc_lo, 0, v[28:29]
	v_cndmask_b32_e64 v55, 0x7fffffff, 0, vcc_lo
	s_delay_alu instid0(VALU_DEP_1) | instskip(NEXT) | instid1(VALU_DEP_1)
	v_dual_ashrrev_i32 v54, 31, v29 :: v_dual_bitop2_b32 v55, v55, v29 bitop3:0x14
	v_not_b32_e32 v54, v54
	s_delay_alu instid0(VALU_DEP_1) | instskip(NEXT) | instid1(VALU_DEP_1)
	v_xor_b32_e32 v54, v54, v28
	v_cmp_ne_u64_e32 vcc_lo, s[42:43], v[54:55]
	v_cndmask_b32_e32 v55, 0x7fffffff, v55, vcc_lo
	v_cndmask_b32_e32 v54, -1, v54, vcc_lo
	s_delay_alu instid0(VALU_DEP_1) | instskip(NEXT) | instid1(VALU_DEP_1)
	v_lshrrev_b64 v[54:55], s54, v[54:55]
	v_and_b32_e32 v54, s59, v54
	s_delay_alu instid0(VALU_DEP_1) | instskip(SKIP_2) | instid1(SALU_CYCLE_1)
	v_lshl_or_b32 v54, v54, 4, v113
	ds_add_u32 v54, v125
	s_or_b32 exec_lo, exec_lo, s9
	s_mov_b32 s9, exec_lo
	v_cmpx_gt_u32_e64 s8, v110
	s_cbranch_execz .LBB1142_348
.LBB1142_363:                           ;   in Loop: Header=BB1142_313 Depth=2
	v_cmp_gt_i64_e32 vcc_lo, 0, v[26:27]
	v_cndmask_b32_e64 v55, 0x7fffffff, 0, vcc_lo
	s_delay_alu instid0(VALU_DEP_1) | instskip(NEXT) | instid1(VALU_DEP_1)
	v_dual_ashrrev_i32 v54, 31, v27 :: v_dual_bitop2_b32 v55, v55, v27 bitop3:0x14
	v_not_b32_e32 v54, v54
	s_delay_alu instid0(VALU_DEP_1) | instskip(NEXT) | instid1(VALU_DEP_1)
	v_xor_b32_e32 v54, v54, v26
	v_cmp_ne_u64_e32 vcc_lo, s[42:43], v[54:55]
	v_cndmask_b32_e32 v55, 0x7fffffff, v55, vcc_lo
	v_cndmask_b32_e32 v54, -1, v54, vcc_lo
	s_delay_alu instid0(VALU_DEP_1) | instskip(NEXT) | instid1(VALU_DEP_1)
	v_lshrrev_b64 v[54:55], s54, v[54:55]
	v_and_b32_e32 v54, s59, v54
	s_delay_alu instid0(VALU_DEP_1) | instskip(SKIP_2) | instid1(SALU_CYCLE_1)
	v_lshl_or_b32 v54, v54, 4, v113
	ds_add_u32 v54, v125
	s_or_b32 exec_lo, exec_lo, s9
	s_mov_b32 s9, exec_lo
	v_cmpx_gt_u32_e64 s8, v111
	s_cbranch_execz .LBB1142_349
.LBB1142_364:                           ;   in Loop: Header=BB1142_313 Depth=2
	v_cmp_gt_i64_e32 vcc_lo, 0, v[24:25]
	v_cndmask_b32_e64 v55, 0x7fffffff, 0, vcc_lo
	s_delay_alu instid0(VALU_DEP_1) | instskip(NEXT) | instid1(VALU_DEP_1)
	v_dual_ashrrev_i32 v54, 31, v25 :: v_dual_bitop2_b32 v55, v55, v25 bitop3:0x14
	v_not_b32_e32 v54, v54
	s_delay_alu instid0(VALU_DEP_1) | instskip(NEXT) | instid1(VALU_DEP_1)
	v_xor_b32_e32 v54, v54, v24
	v_cmp_ne_u64_e32 vcc_lo, s[42:43], v[54:55]
	v_cndmask_b32_e32 v55, 0x7fffffff, v55, vcc_lo
	v_cndmask_b32_e32 v54, -1, v54, vcc_lo
	s_delay_alu instid0(VALU_DEP_1) | instskip(NEXT) | instid1(VALU_DEP_1)
	v_lshrrev_b64 v[54:55], s54, v[54:55]
	v_and_b32_e32 v54, s59, v54
	s_delay_alu instid0(VALU_DEP_1)
	v_lshl_or_b32 v54, v54, 4, v113
	ds_add_u32 v54, v125
	s_or_b32 exec_lo, exec_lo, s9
	v_cmp_gt_u32_e32 vcc_lo, s8, v112
	s_and_saveexec_b32 s8, vcc_lo
	s_cbranch_execz .LBB1142_312
.LBB1142_365:                           ;   in Loop: Header=BB1142_313 Depth=2
	v_cmp_gt_i64_e32 vcc_lo, 0, v[22:23]
	v_cndmask_b32_e64 v55, 0x7fffffff, 0, vcc_lo
	s_delay_alu instid0(VALU_DEP_1) | instskip(NEXT) | instid1(VALU_DEP_1)
	v_dual_ashrrev_i32 v54, 31, v23 :: v_dual_bitop2_b32 v55, v55, v23 bitop3:0x14
	v_not_b32_e32 v54, v54
	s_delay_alu instid0(VALU_DEP_1) | instskip(NEXT) | instid1(VALU_DEP_1)
	v_xor_b32_e32 v54, v54, v22
	v_cmp_ne_u64_e32 vcc_lo, s[42:43], v[54:55]
	v_cndmask_b32_e32 v55, 0x7fffffff, v55, vcc_lo
	v_cndmask_b32_e32 v54, -1, v54, vcc_lo
	s_delay_alu instid0(VALU_DEP_1) | instskip(NEXT) | instid1(VALU_DEP_1)
	v_lshrrev_b64 v[54:55], s54, v[54:55]
	v_and_b32_e32 v54, s59, v54
	s_delay_alu instid0(VALU_DEP_1)
	v_lshl_or_b32 v54, v54, 4, v113
	ds_add_u32 v54, v125
	s_branch .LBB1142_312
.LBB1142_366:                           ;   in Loop: Header=BB1142_313 Depth=2
	global_load_b64 v[52:53], v2, s[8:9] scale_offset
	s_wait_xcnt 0x0
	s_or_b32 exec_lo, exec_lo, s11
	s_delay_alu instid0(SALU_CYCLE_1)
	s_mov_b32 s11, exec_lo
	v_cmpx_gt_u32_e64 s7, v98
	s_cbranch_execz .LBB1142_318
.LBB1142_367:                           ;   in Loop: Header=BB1142_313 Depth=2
	global_load_b64 v[50:51], v2, s[8:9] offset:2048 scale_offset
	s_wait_xcnt 0x0
	s_or_b32 exec_lo, exec_lo, s11
	s_delay_alu instid0(SALU_CYCLE_1)
	s_mov_b32 s11, exec_lo
	v_cmpx_gt_u32_e64 s7, v99
	s_cbranch_execz .LBB1142_319
.LBB1142_368:                           ;   in Loop: Header=BB1142_313 Depth=2
	global_load_b64 v[48:49], v2, s[8:9] offset:4096 scale_offset
	s_wait_xcnt 0x0
	s_or_b32 exec_lo, exec_lo, s11
	s_delay_alu instid0(SALU_CYCLE_1)
	s_mov_b32 s11, exec_lo
	v_cmpx_gt_u32_e64 s7, v100
	s_cbranch_execz .LBB1142_320
.LBB1142_369:                           ;   in Loop: Header=BB1142_313 Depth=2
	global_load_b64 v[46:47], v2, s[8:9] offset:6144 scale_offset
	s_wait_xcnt 0x0
	s_or_b32 exec_lo, exec_lo, s11
	s_delay_alu instid0(SALU_CYCLE_1)
	s_mov_b32 s11, exec_lo
	v_cmpx_gt_u32_e64 s7, v101
	s_cbranch_execz .LBB1142_321
.LBB1142_370:                           ;   in Loop: Header=BB1142_313 Depth=2
	global_load_b64 v[44:45], v2, s[8:9] offset:8192 scale_offset
	s_wait_xcnt 0x0
	s_or_b32 exec_lo, exec_lo, s11
	s_delay_alu instid0(SALU_CYCLE_1)
	s_mov_b32 s11, exec_lo
	v_cmpx_gt_u32_e64 s7, v102
	s_cbranch_execz .LBB1142_322
.LBB1142_371:                           ;   in Loop: Header=BB1142_313 Depth=2
	global_load_b64 v[42:43], v2, s[8:9] offset:10240 scale_offset
	s_wait_xcnt 0x0
	s_or_b32 exec_lo, exec_lo, s11
	s_delay_alu instid0(SALU_CYCLE_1)
	s_mov_b32 s11, exec_lo
	v_cmpx_gt_u32_e64 s7, v103
	s_cbranch_execz .LBB1142_323
.LBB1142_372:                           ;   in Loop: Header=BB1142_313 Depth=2
	global_load_b64 v[40:41], v2, s[8:9] offset:12288 scale_offset
	s_wait_xcnt 0x0
	s_or_b32 exec_lo, exec_lo, s11
	s_delay_alu instid0(SALU_CYCLE_1)
	s_mov_b32 s11, exec_lo
	v_cmpx_gt_u32_e64 s7, v104
	s_cbranch_execz .LBB1142_324
.LBB1142_373:                           ;   in Loop: Header=BB1142_313 Depth=2
	global_load_b64 v[38:39], v2, s[8:9] offset:14336 scale_offset
	s_wait_xcnt 0x0
	s_or_b32 exec_lo, exec_lo, s11
	s_delay_alu instid0(SALU_CYCLE_1)
	s_mov_b32 s11, exec_lo
	v_cmpx_gt_u32_e64 s7, v105
	s_cbranch_execz .LBB1142_325
.LBB1142_374:                           ;   in Loop: Header=BB1142_313 Depth=2
	global_load_b64 v[36:37], v2, s[8:9] offset:16384 scale_offset
	s_wait_xcnt 0x0
	s_or_b32 exec_lo, exec_lo, s11
	s_delay_alu instid0(SALU_CYCLE_1)
	s_mov_b32 s11, exec_lo
	v_cmpx_gt_u32_e64 s7, v106
	s_cbranch_execz .LBB1142_326
.LBB1142_375:                           ;   in Loop: Header=BB1142_313 Depth=2
	global_load_b64 v[34:35], v2, s[8:9] offset:18432 scale_offset
	s_wait_xcnt 0x0
	s_or_b32 exec_lo, exec_lo, s11
	s_delay_alu instid0(SALU_CYCLE_1)
	s_mov_b32 s11, exec_lo
	v_cmpx_gt_u32_e64 s7, v107
	s_cbranch_execz .LBB1142_327
.LBB1142_376:                           ;   in Loop: Header=BB1142_313 Depth=2
	global_load_b64 v[32:33], v2, s[8:9] offset:20480 scale_offset
	s_wait_xcnt 0x0
	s_or_b32 exec_lo, exec_lo, s11
	s_delay_alu instid0(SALU_CYCLE_1)
	s_mov_b32 s11, exec_lo
	v_cmpx_gt_u32_e64 s7, v108
	s_cbranch_execz .LBB1142_328
.LBB1142_377:                           ;   in Loop: Header=BB1142_313 Depth=2
	global_load_b64 v[30:31], v2, s[8:9] offset:22528 scale_offset
	s_wait_xcnt 0x0
	s_or_b32 exec_lo, exec_lo, s11
	s_delay_alu instid0(SALU_CYCLE_1)
	s_mov_b32 s11, exec_lo
	v_cmpx_gt_u32_e64 s7, v109
	s_cbranch_execz .LBB1142_329
.LBB1142_378:                           ;   in Loop: Header=BB1142_313 Depth=2
	global_load_b64 v[28:29], v2, s[8:9] offset:24576 scale_offset
	s_wait_xcnt 0x0
	s_or_b32 exec_lo, exec_lo, s11
	s_delay_alu instid0(SALU_CYCLE_1)
	s_mov_b32 s11, exec_lo
	v_cmpx_gt_u32_e64 s7, v110
	s_cbranch_execz .LBB1142_330
.LBB1142_379:                           ;   in Loop: Header=BB1142_313 Depth=2
	global_load_b64 v[26:27], v2, s[8:9] offset:26624 scale_offset
	s_wait_xcnt 0x0
	s_or_b32 exec_lo, exec_lo, s11
	s_delay_alu instid0(SALU_CYCLE_1)
	s_mov_b32 s11, exec_lo
	v_cmpx_gt_u32_e64 s7, v111
	s_cbranch_execz .LBB1142_331
.LBB1142_380:                           ;   in Loop: Header=BB1142_313 Depth=2
	global_load_b64 v[24:25], v2, s[8:9] offset:28672 scale_offset
	s_wait_xcnt 0x0
	s_or_b32 exec_lo, exec_lo, s11
	s_delay_alu instid0(SALU_CYCLE_1)
	s_mov_b32 s11, exec_lo
	v_cmpx_gt_u32_e64 s7, v112
	s_cbranch_execnz .LBB1142_332
	s_branch .LBB1142_333
.LBB1142_381:                           ;   in Loop: Header=BB1142_17 Depth=1
	v_mov_b32_e32 v22, 0
	s_wait_dscnt 0x0
	s_barrier_signal -1
	s_barrier_wait -1
	s_and_saveexec_b32 s7, s0
	s_cbranch_execz .LBB1142_383
; %bb.382:                              ;   in Loop: Header=BB1142_17 Depth=1
	ds_load_2addr_b64 v[22:25], v115 offset1:1
	s_wait_dscnt 0x0
	v_add_nc_u32_e32 v22, v23, v22
	s_delay_alu instid0(VALU_DEP_1)
	v_add3_u32 v22, v22, v24, v25
.LBB1142_383:                           ;   in Loop: Header=BB1142_17 Depth=1
	s_or_b32 exec_lo, exec_lo, s7
	s_delay_alu instid0(VALU_DEP_1)
	v_mov_b32_dpp v23, v22 row_shr:1 row_mask:0xf bank_mask:0xf
	v_cmp_eq_u32_e64 s7, 0, v126
	v_cmp_lt_u32_e64 s8, 1, v126
	v_cmp_lt_u32_e64 s9, 3, v126
	v_cmp_lt_u32_e64 s10, 7, v126
	v_cmp_eq_u32_e64 s11, 0, v128
	v_cndmask_b32_e64 v23, v23, 0, s7
	s_delay_alu instid0(VALU_DEP_1) | instskip(NEXT) | instid1(VALU_DEP_1)
	v_add_nc_u32_e32 v22, v23, v22
	v_mov_b32_dpp v23, v22 row_shr:2 row_mask:0xf bank_mask:0xf
	s_delay_alu instid0(VALU_DEP_1) | instskip(NEXT) | instid1(VALU_DEP_1)
	v_cndmask_b32_e64 v23, 0, v23, s8
	v_add_nc_u32_e32 v22, v22, v23
	s_delay_alu instid0(VALU_DEP_1) | instskip(NEXT) | instid1(VALU_DEP_1)
	v_mov_b32_dpp v23, v22 row_shr:4 row_mask:0xf bank_mask:0xf
	v_cndmask_b32_e64 v23, 0, v23, s9
	s_delay_alu instid0(VALU_DEP_1) | instskip(NEXT) | instid1(VALU_DEP_1)
	v_add_nc_u32_e32 v22, v22, v23
	v_mov_b32_dpp v23, v22 row_shr:8 row_mask:0xf bank_mask:0xf
	s_delay_alu instid0(VALU_DEP_1) | instskip(NEXT) | instid1(VALU_DEP_1)
	v_cndmask_b32_e64 v23, 0, v23, s10
	v_add_nc_u32_e32 v22, v22, v23
	ds_swizzle_b32 v23, v22 offset:swizzle(BROADCAST,32,15)
	s_wait_dscnt 0x0
	v_and_b32_e32 v23, v127, v23
	s_delay_alu instid0(VALU_DEP_1)
	v_add_nc_u32_e32 v22, v22, v23
	s_and_saveexec_b32 s12, s1
; %bb.384:                              ;   in Loop: Header=BB1142_17 Depth=1
	ds_store_b32 v116, v22
; %bb.385:                              ;   in Loop: Header=BB1142_17 Depth=1
	s_or_b32 exec_lo, exec_lo, s12
	s_wait_dscnt 0x0
	s_barrier_signal -1
	s_barrier_wait -1
	s_and_saveexec_b32 s12, s4
	s_cbranch_execz .LBB1142_387
; %bb.386:                              ;   in Loop: Header=BB1142_17 Depth=1
	ds_load_b32 v23, v117
	v_cmp_ne_u32_e32 vcc_lo, 0, v130
	s_wait_dscnt 0x0
	v_mov_b32_dpp v24, v23 row_shr:1 row_mask:0xf bank_mask:0xf
	s_delay_alu instid0(VALU_DEP_1) | instskip(SKIP_1) | instid1(VALU_DEP_2)
	v_cndmask_b32_e32 v24, 0, v24, vcc_lo
	v_cmp_lt_u32_e32 vcc_lo, 1, v130
	v_add_nc_u32_e32 v23, v24, v23
	s_delay_alu instid0(VALU_DEP_1) | instskip(NEXT) | instid1(VALU_DEP_1)
	v_mov_b32_dpp v24, v23 row_shr:2 row_mask:0xf bank_mask:0xf
	v_cndmask_b32_e32 v24, 0, v24, vcc_lo
	v_cmp_lt_u32_e32 vcc_lo, 3, v130
	s_delay_alu instid0(VALU_DEP_2) | instskip(NEXT) | instid1(VALU_DEP_1)
	v_add_nc_u32_e32 v23, v23, v24
	v_mov_b32_dpp v24, v23 row_shr:4 row_mask:0xf bank_mask:0xf
	s_delay_alu instid0(VALU_DEP_1) | instskip(NEXT) | instid1(VALU_DEP_1)
	v_cndmask_b32_e32 v24, 0, v24, vcc_lo
	v_add_nc_u32_e32 v23, v23, v24
	ds_store_b32 v117, v23
.LBB1142_387:                           ;   in Loop: Header=BB1142_17 Depth=1
	s_or_b32 exec_lo, exec_lo, s12
	v_mov_b32_e32 v23, 0
	s_wait_dscnt 0x0
	s_barrier_signal -1
	s_barrier_wait -1
	s_and_saveexec_b32 s12, s5
; %bb.388:                              ;   in Loop: Header=BB1142_17 Depth=1
	ds_load_b32 v23, v118
; %bb.389:                              ;   in Loop: Header=BB1142_17 Depth=1
	s_or_b32 exec_lo, exec_lo, s12
	v_cmp_gt_i32_e32 vcc_lo, 0, v131
	s_wait_dscnt 0x0
	s_barrier_signal -1
	s_barrier_wait -1
	v_cndmask_b32_e32 v24, v131, v124, vcc_lo
	s_delay_alu instid0(VALU_DEP_1)
	v_dual_add_nc_u32 v22, v23, v22 :: v_dual_lshlrev_b32 v147, 2, v24
	ds_bpermute_b32 v22, v147, v22
	s_and_saveexec_b32 s12, s0
	s_cbranch_execz .LBB1142_391
; %bb.390:                              ;   in Loop: Header=BB1142_17 Depth=1
	s_wait_dscnt 0x0
	v_cndmask_b32_e64 v22, v22, v23, s6
	s_delay_alu instid0(VALU_DEP_1)
	v_add_nc_u32_e32 v22, s56, v22
	ds_store_b32 v3, v22
.LBB1142_391:                           ;   in Loop: Header=BB1142_17 Depth=1
	s_or_b32 exec_lo, exec_lo, s12
	s_load_b64 s[12:13], s[52:53], 0x0
	v_add_nc_u64_e32 v[24:25], v[14:15], v[4:5]
	s_mov_b32 s60, s58
                                        ; implicit-def: $vgpr28_vgpr29
                                        ; implicit-def: $vgpr30_vgpr31
                                        ; implicit-def: $vgpr32_vgpr33
                                        ; implicit-def: $vgpr34_vgpr35
                                        ; implicit-def: $vgpr36_vgpr37
                                        ; implicit-def: $vgpr38_vgpr39
                                        ; implicit-def: $vgpr40_vgpr41
                                        ; implicit-def: $vgpr42_vgpr43
                                        ; implicit-def: $vgpr44_vgpr45
                                        ; implicit-def: $vgpr46_vgpr47
                                        ; implicit-def: $vgpr48_vgpr49
                                        ; implicit-def: $vgpr50_vgpr51
                                        ; implicit-def: $vgpr52_vgpr53
                                        ; implicit-def: $vgpr54_vgpr55
                                        ; implicit-def: $vgpr56_vgpr57
                                        ; implicit-def: $vgpr149
                                        ; implicit-def: $vgpr150
                                        ; implicit-def: $vgpr151
                                        ; implicit-def: $vgpr152
                                        ; implicit-def: $vgpr153
                                        ; implicit-def: $vgpr154
                                        ; implicit-def: $vgpr155
                                        ; implicit-def: $vgpr156
                                        ; implicit-def: $vgpr157
                                        ; implicit-def: $vgpr158
                                        ; implicit-def: $vgpr159
                                        ; implicit-def: $vgpr160
                                        ; implicit-def: $vgpr161
                                        ; implicit-def: $vgpr162
                                        ; implicit-def: $vgpr163
                                        ; implicit-def: $vgpr164
	s_wait_kmcnt 0x0
	s_cmp_lt_u32 s33, s12
	s_cselect_b32 s34, 12, 18
	s_cmp_lt_u32 s31, s13
	s_mov_b32 s13, s35
	s_cselect_b32 s12, 14, 20
	s_delay_alu instid0(SALU_CYCLE_1)
	s_add_nc_u64 s[12:13], s[52:53], s[12:13]
	s_load_u16 s14, s[12:13], 0x0
	s_wait_xcnt 0x0
	s_add_nc_u64 s[12:13], s[52:53], s[34:35]
	s_mov_b32 s34, s56
	s_load_u16 s12, s[12:13], 0x0
	s_wait_xcnt 0x0
	v_cmp_lt_u32_e64 s13, 1, v130
	s_wait_dscnt 0x0
	s_wait_kmcnt 0x0
	v_mad_u32_u24 v22, v119, s14, v121
	v_cmp_lt_u32_e64 s14, 3, v130
	s_delay_alu instid0(VALU_DEP_2) | instskip(SKIP_1) | instid1(VALU_DEP_2)
	v_mad_u32 v22, v22, s12, v2
	v_cmp_eq_u32_e64 s12, 0, v130
	v_lshrrev_b32_e32 v26, 3, v22
	v_add_nc_u64_e32 v[22:23], v[12:13], v[4:5]
	s_delay_alu instid0(VALU_DEP_2)
	v_and_b32_e32 v148, 0x1ffffffc, v26
                                        ; implicit-def: $vgpr26_vgpr27
	s_branch .LBB1142_393
.LBB1142_392:                           ;   in Loop: Header=BB1142_393 Depth=2
	s_or_b32 exec_lo, exec_lo, s15
	s_addk_co_i32 s60, 0xf000
	s_cmp_lt_u32 s61, s51
	s_mov_b32 s34, s61
	s_cbranch_scc0 .LBB1142_601
.LBB1142_393:                           ;   Parent Loop BB1142_17 Depth=1
                                        ; =>  This Inner Loop Header: Depth=2
	s_add_co_i32 s61, s34, 0x1000
	s_delay_alu instid0(SALU_CYCLE_1)
	s_cmp_gt_u32 s61, s51
	s_cbranch_scc1 .LBB1142_395
; %bb.394:                              ;   in Loop: Header=BB1142_393 Depth=2
	v_lshl_add_u64 v[66:67], s[34:35], 3, v[24:25]
	s_mov_b32 s15, -1
	s_clause 0xe
	global_load_b64 v[58:59], v[66:67], off
	global_load_b64 v[60:61], v[66:67], off offset:256
	global_load_b64 v[62:63], v[66:67], off offset:512
	global_load_b64 v[70:71], v[66:67], off offset:768
	global_load_b64 v[74:75], v[66:67], off offset:1024
	global_load_b64 v[78:79], v[66:67], off offset:1280
	global_load_b64 v[82:83], v[66:67], off offset:1536
	global_load_b64 v[86:87], v[66:67], off offset:1792
	global_load_b64 v[88:89], v[66:67], off offset:2048
	global_load_b64 v[84:85], v[66:67], off offset:2304
	global_load_b64 v[80:81], v[66:67], off offset:2560
	global_load_b64 v[76:77], v[66:67], off offset:2816
	global_load_b64 v[72:73], v[66:67], off offset:3072
	global_load_b64 v[68:69], v[66:67], off offset:3328
	global_load_b64 v[64:65], v[66:67], off offset:3584
	s_movk_i32 s16, 0x1000
	s_cbranch_execz .LBB1142_396
	s_branch .LBB1142_427
.LBB1142_395:                           ;   in Loop: Header=BB1142_393 Depth=2
	s_mov_b32 s15, 0
                                        ; implicit-def: $vgpr58_vgpr59
                                        ; implicit-def: $vgpr60_vgpr61
                                        ; implicit-def: $vgpr62_vgpr63
                                        ; implicit-def: $vgpr70_vgpr71
                                        ; implicit-def: $vgpr74_vgpr75
                                        ; implicit-def: $vgpr78_vgpr79
                                        ; implicit-def: $vgpr82_vgpr83
                                        ; implicit-def: $vgpr86_vgpr87
                                        ; implicit-def: $vgpr88_vgpr89
                                        ; implicit-def: $vgpr84_vgpr85
                                        ; implicit-def: $vgpr80_vgpr81
                                        ; implicit-def: $vgpr76_vgpr77
                                        ; implicit-def: $vgpr72_vgpr73
                                        ; implicit-def: $vgpr68_vgpr69
                                        ; implicit-def: $vgpr64_vgpr65
	s_movk_i32 s16, 0x1000
.LBB1142_396:                           ;   in Loop: Header=BB1142_393 Depth=2
	s_wait_loadcnt 0xd
	v_mov_b64_e32 v[60:61], -1
	v_mov_b64_e32 v[58:59], -1
	s_wait_xcnt 0x0
	v_lshl_add_u64 v[66:67], s[34:35], 3, v[24:25]
	s_mov_b32 s15, exec_lo
	v_cmpx_gt_u32_e64 s60, v129
	s_cbranch_execz .LBB1142_398
; %bb.397:                              ;   in Loop: Header=BB1142_393 Depth=2
	global_load_b64 v[58:59], v[66:67], off
.LBB1142_398:                           ;   in Loop: Header=BB1142_393 Depth=2
	s_wait_xcnt 0x0
	s_or_b32 exec_lo, exec_lo, s15
	s_delay_alu instid0(SALU_CYCLE_1)
	s_mov_b32 s15, exec_lo
	v_cmpx_gt_u32_e64 s60, v132
	s_cbranch_execz .LBB1142_400
; %bb.399:                              ;   in Loop: Header=BB1142_393 Depth=2
	global_load_b64 v[60:61], v[66:67], off offset:256
.LBB1142_400:                           ;   in Loop: Header=BB1142_393 Depth=2
	s_wait_xcnt 0x0
	s_or_b32 exec_lo, exec_lo, s15
	s_wait_loadcnt 0xb
	v_mov_b64_e32 v[70:71], -1
	v_mov_b64_e32 v[62:63], -1
	s_mov_b32 s15, exec_lo
	v_cmpx_gt_u32_e64 s60, v133
	s_cbranch_execz .LBB1142_402
; %bb.401:                              ;   in Loop: Header=BB1142_393 Depth=2
	global_load_b64 v[62:63], v[66:67], off offset:512
.LBB1142_402:                           ;   in Loop: Header=BB1142_393 Depth=2
	s_wait_xcnt 0x0
	s_or_b32 exec_lo, exec_lo, s15
	s_delay_alu instid0(SALU_CYCLE_1)
	s_mov_b32 s15, exec_lo
	v_cmpx_gt_u32_e64 s60, v134
	s_cbranch_execz .LBB1142_404
; %bb.403:                              ;   in Loop: Header=BB1142_393 Depth=2
	global_load_b64 v[70:71], v[66:67], off offset:768
.LBB1142_404:                           ;   in Loop: Header=BB1142_393 Depth=2
	s_wait_xcnt 0x0
	s_or_b32 exec_lo, exec_lo, s15
	s_wait_loadcnt 0x9
	v_mov_b64_e32 v[78:79], -1
	v_mov_b64_e32 v[74:75], -1
	s_mov_b32 s15, exec_lo
	v_cmpx_gt_u32_e64 s60, v135
	s_cbranch_execz .LBB1142_406
; %bb.405:                              ;   in Loop: Header=BB1142_393 Depth=2
	global_load_b64 v[74:75], v[66:67], off offset:1024
.LBB1142_406:                           ;   in Loop: Header=BB1142_393 Depth=2
	;; [unrolled: 20-line block ×6, first 2 shown]
	s_wait_xcnt 0x0
	s_or_b32 exec_lo, exec_lo, s15
	s_delay_alu instid0(SALU_CYCLE_1)
	s_mov_b32 s15, exec_lo
	v_cmpx_gt_u32_e64 s60, v144
	s_cbranch_execz .LBB1142_424
; %bb.423:                              ;   in Loop: Header=BB1142_393 Depth=2
	global_load_b64 v[68:69], v[66:67], off offset:3328
.LBB1142_424:                           ;   in Loop: Header=BB1142_393 Depth=2
	s_wait_xcnt 0x0
	s_or_b32 exec_lo, exec_lo, s15
	s_wait_loadcnt 0x0
	v_mov_b64_e32 v[64:65], -1
	s_mov_b32 s15, exec_lo
	v_cmpx_gt_u32_e64 s60, v145
	s_cbranch_execz .LBB1142_426
; %bb.425:                              ;   in Loop: Header=BB1142_393 Depth=2
	global_load_b64 v[64:65], v[66:67], off offset:3584
.LBB1142_426:                           ;   in Loop: Header=BB1142_393 Depth=2
	s_wait_xcnt 0x0
	s_or_b32 exec_lo, exec_lo, s15
	v_cmp_gt_u32_e64 s15, s60, v146
	s_sub_co_i32 s16, s51, s34
.LBB1142_427:                           ;   in Loop: Header=BB1142_393 Depth=2
	s_wait_xcnt 0x0
	v_mov_b64_e32 v[66:67], -1
	v_mov_b32_e32 v165, s60
	s_and_saveexec_b32 s17, s15
	s_cbranch_execz .LBB1142_429
; %bb.428:                              ;   in Loop: Header=BB1142_393 Depth=2
	v_lshl_add_u64 v[66:67], s[34:35], 3, v[24:25]
	v_mov_b32_e32 v165, s16
	global_load_b64 v[66:67], v[66:67], off offset:3840
.LBB1142_429:                           ;   in Loop: Header=BB1142_393 Depth=2
	s_wait_xcnt 0x0
	s_or_b32 exec_lo, exec_lo, s17
	s_wait_loadcnt 0xe
	v_cmp_gt_i64_e32 vcc_lo, 0, v[58:59]
	v_add_nc_u32_e32 v168, 0x420, v120
	v_add_nc_u32_e32 v169, 0x428, v120
	;; [unrolled: 1-line block ×3, first 2 shown]
	v_cndmask_b32_e64 v91, 0x7fffffff, 0, vcc_lo
	s_delay_alu instid0(VALU_DEP_1) | instskip(NEXT) | instid1(VALU_DEP_1)
	v_dual_ashrrev_i32 v90, 31, v59 :: v_dual_bitop2_b32 v59, v91, v59 bitop3:0x14
	v_not_b32_e32 v90, v90
	s_delay_alu instid0(VALU_DEP_1) | instskip(NEXT) | instid1(VALU_DEP_1)
	v_xor_b32_e32 v58, v90, v58
	v_cmp_ne_u64_e32 vcc_lo, s[42:43], v[58:59]
	v_cndmask_b32_e32 v91, 0x7fffffff, v59, vcc_lo
	v_cndmask_b32_e32 v90, -1, v58, vcc_lo
	s_delay_alu instid0(VALU_DEP_1) | instskip(NEXT) | instid1(VALU_DEP_1)
	v_lshrrev_b64 v[90:91], s54, v[90:91]
	v_bitop3_b32 v91, v90, 1, s59 bitop3:0x80
	v_and_b32_e32 v92, s59, v90
	s_delay_alu instid0(VALU_DEP_2) | instskip(NEXT) | instid1(VALU_DEP_1)
	v_add_co_u32 v90, s15, v91, -1
	v_cndmask_b32_e64 v91, 0, 1, s15
	s_delay_alu instid0(VALU_DEP_3) | instskip(NEXT) | instid1(VALU_DEP_2)
	v_lshlrev_b32_e32 v93, 30, v92
	v_cmp_ne_u32_e32 vcc_lo, 0, v91
	s_delay_alu instid0(VALU_DEP_2) | instskip(SKIP_1) | instid1(VALU_DEP_2)
	v_not_b32_e32 v91, v93
	v_cmp_gt_i32_e64 s15, 0, v93
	v_dual_ashrrev_i32 v91, 31, v91 :: v_dual_lshlrev_b32 v94, 29, v92
	v_dual_lshlrev_b32 v95, 28, v92 :: v_dual_lshlrev_b32 v96, 27, v92
	v_dual_lshlrev_b32 v97, 26, v92 :: v_dual_lshlrev_b32 v166, 25, v92
	v_lshlrev_b32_e32 v167, 24, v92
	s_delay_alu instid0(VALU_DEP_4)
	v_cmp_gt_i32_e64 s16, 0, v94
	v_not_b32_e32 v93, v94
	v_not_b32_e32 v94, v95
	v_cmp_gt_i32_e64 s17, 0, v95
	v_cmp_gt_i32_e64 s18, 0, v96
	v_not_b32_e32 v95, v96
	v_not_b32_e32 v96, v97
	v_dual_ashrrev_i32 v93, 31, v93 :: v_dual_bitop2_b32 v90, vcc_lo, v90 bitop3:0x14
	v_dual_ashrrev_i32 v94, 31, v94 :: v_dual_bitop2_b32 v91, s15, v91 bitop3:0x14
	v_cmp_gt_i32_e64 s19, 0, v97
	v_cmp_gt_i32_e64 s20, 0, v166
	v_not_b32_e32 v97, v166
	v_not_b32_e32 v166, v167
	v_dual_ashrrev_i32 v95, 31, v95 :: v_dual_ashrrev_i32 v96, 31, v96
	v_xor_b32_e32 v93, s16, v93
	v_xor_b32_e32 v94, s17, v94
	v_bitop3_b32 v90, v90, v91, exec_lo bitop3:0x80
	v_cmp_gt_i32_e64 s21, 0, v167
	v_dual_ashrrev_i32 v91, 31, v97 :: v_dual_ashrrev_i32 v97, 31, v166
	v_xor_b32_e32 v95, s18, v95
	v_xor_b32_e32 v96, s19, v96
	v_bitop3_b32 v90, v90, v94, v93 bitop3:0x80
	s_delay_alu instid0(VALU_DEP_4) | instskip(SKIP_2) | instid1(VALU_DEP_4)
	v_xor_b32_e32 v91, s20, v91
	v_xor_b32_e32 v93, s21, v97
	v_add_nc_u32_e32 v167, 0x438, v120
	v_bitop3_b32 v90, v90, v96, v95 bitop3:0x80
	ds_store_2addr_b32 v167, v5, v5 offset1:1
	ds_store_2addr_b32 v168, v5, v5 offset1:1
	;; [unrolled: 1-line block ×4, first 2 shown]
	ds_store_b32 v120, v5 offset:1088
	v_bitop3_b32 v90, v90, v93, v91 bitop3:0x80
	v_mul_u32_u24_e32 v91, 36, v92
	s_wait_loadcnt_dscnt 0x0
	s_barrier_signal -1
	s_barrier_wait -1
	v_mbcnt_lo_u32_b32 v166, v90, 0
	v_cmp_ne_u32_e64 s15, 0, v90
	v_add_nc_u32_e32 v171, v148, v91
	s_delay_alu instid0(VALU_DEP_3) | instskip(SKIP_1) | instid1(SALU_CYCLE_1)
	v_cmp_eq_u32_e32 vcc_lo, 0, v166
	; wave barrier
	s_and_b32 s16, s15, vcc_lo
	s_and_saveexec_b32 s15, s16
; %bb.430:                              ;   in Loop: Header=BB1142_393 Depth=2
	v_bcnt_u32_b32 v90, v90, 0
	ds_store_b32 v171, v90 offset:1056
; %bb.431:                              ;   in Loop: Header=BB1142_393 Depth=2
	s_or_b32 exec_lo, exec_lo, s15
	v_cmp_gt_i64_e32 vcc_lo, 0, v[60:61]
	; wave barrier
	v_cndmask_b32_e64 v91, 0x7fffffff, 0, vcc_lo
	s_delay_alu instid0(VALU_DEP_1) | instskip(NEXT) | instid1(VALU_DEP_1)
	v_dual_ashrrev_i32 v90, 31, v61 :: v_dual_bitop2_b32 v61, v91, v61 bitop3:0x14
	v_not_b32_e32 v90, v90
	s_delay_alu instid0(VALU_DEP_1) | instskip(NEXT) | instid1(VALU_DEP_1)
	v_xor_b32_e32 v60, v90, v60
	v_cmp_ne_u64_e32 vcc_lo, s[42:43], v[60:61]
	v_cndmask_b32_e32 v91, 0x7fffffff, v61, vcc_lo
	v_cndmask_b32_e32 v90, -1, v60, vcc_lo
	s_delay_alu instid0(VALU_DEP_1) | instskip(NEXT) | instid1(VALU_DEP_1)
	v_lshrrev_b64 v[90:91], s54, v[90:91]
	v_bitop3_b32 v91, v90, 1, s59 bitop3:0x80
	v_and_b32_e32 v92, s59, v90
	s_delay_alu instid0(VALU_DEP_2) | instskip(NEXT) | instid1(VALU_DEP_1)
	v_add_co_u32 v90, s15, v91, -1
	v_cndmask_b32_e64 v91, 0, 1, s15
	s_delay_alu instid0(VALU_DEP_3) | instskip(SKIP_1) | instid1(VALU_DEP_3)
	v_dual_lshlrev_b32 v93, 30, v92 :: v_dual_lshlrev_b32 v95, 28, v92
	v_dual_lshlrev_b32 v94, 29, v92 :: v_dual_lshlrev_b32 v96, 27, v92
	v_cmp_ne_u32_e32 vcc_lo, 0, v91
	s_delay_alu instid0(VALU_DEP_3) | instskip(SKIP_1) | instid1(VALU_DEP_4)
	v_cmp_gt_i32_e64 s15, 0, v93
	v_not_b32_e32 v91, v93
	v_cmp_gt_i32_e64 s16, 0, v94
	v_not_b32_e32 v93, v94
	;; [unrolled: 2-line block ×3, first 2 shown]
	v_not_b32_e32 v95, v96
	s_delay_alu instid0(VALU_DEP_4) | instskip(NEXT) | instid1(VALU_DEP_2)
	v_dual_ashrrev_i32 v91, 31, v91 :: v_dual_ashrrev_i32 v93, 31, v93
	v_dual_ashrrev_i32 v94, 31, v94 :: v_dual_ashrrev_i32 v95, 31, v95
	v_dual_lshlrev_b32 v97, 26, v92 :: v_dual_lshlrev_b32 v172, 25, v92
	v_lshlrev_b32_e32 v173, 24, v92
	v_cmp_gt_i32_e64 s18, 0, v96
	v_xor_b32_e32 v91, s15, v91
	s_delay_alu instid0(VALU_DEP_4)
	v_not_b32_e32 v96, v97
	v_xor_b32_e32 v90, vcc_lo, v90
	v_cmp_gt_i32_e64 s19, 0, v97
	v_cmp_gt_i32_e64 s20, 0, v172
	v_not_b32_e32 v97, v172
	v_not_b32_e32 v172, v173
	v_dual_ashrrev_i32 v96, 31, v96 :: v_dual_bitop2_b32 v93, s16, v93 bitop3:0x14
	v_xor_b32_e32 v94, s17, v94
	v_bitop3_b32 v90, v90, v91, exec_lo bitop3:0x80
	v_cmp_gt_i32_e64 s21, 0, v173
	v_dual_ashrrev_i32 v91, 31, v97 :: v_dual_ashrrev_i32 v97, 31, v172
	v_xor_b32_e32 v95, s18, v95
	v_xor_b32_e32 v96, s19, v96
	v_bitop3_b32 v90, v90, v94, v93 bitop3:0x80
	v_mad_u32_u24 v93, v92, 36, v148
	v_xor_b32_e32 v91, s20, v91
	v_xor_b32_e32 v94, s21, v97
	s_delay_alu instid0(VALU_DEP_4) | instskip(SKIP_3) | instid1(VALU_DEP_2)
	v_bitop3_b32 v90, v90, v96, v95 bitop3:0x80
	ds_load_b32 v172, v93 offset:1056
	; wave barrier
	v_bitop3_b32 v90, v90, v94, v91 bitop3:0x80
	v_mul_u32_u24_e32 v91, 36, v92
	v_mbcnt_lo_u32_b32 v173, v90, 0
	v_cmp_ne_u32_e64 s15, 0, v90
	s_delay_alu instid0(VALU_DEP_3) | instskip(NEXT) | instid1(VALU_DEP_3)
	v_add_nc_u32_e32 v174, v148, v91
	v_cmp_eq_u32_e32 vcc_lo, 0, v173
	s_and_b32 s16, s15, vcc_lo
	s_delay_alu instid0(SALU_CYCLE_1)
	s_and_saveexec_b32 s15, s16
	s_cbranch_execz .LBB1142_433
; %bb.432:                              ;   in Loop: Header=BB1142_393 Depth=2
	s_wait_dscnt 0x0
	v_bcnt_u32_b32 v90, v90, v172
	ds_store_b32 v174, v90 offset:1056
.LBB1142_433:                           ;   in Loop: Header=BB1142_393 Depth=2
	s_or_b32 exec_lo, exec_lo, s15
	v_cmp_gt_i64_e32 vcc_lo, 0, v[62:63]
	; wave barrier
	v_cndmask_b32_e64 v91, 0x7fffffff, 0, vcc_lo
	s_delay_alu instid0(VALU_DEP_1) | instskip(NEXT) | instid1(VALU_DEP_1)
	v_dual_ashrrev_i32 v90, 31, v63 :: v_dual_bitop2_b32 v63, v91, v63 bitop3:0x14
	v_not_b32_e32 v90, v90
	s_delay_alu instid0(VALU_DEP_1) | instskip(NEXT) | instid1(VALU_DEP_1)
	v_xor_b32_e32 v62, v90, v62
	v_cmp_ne_u64_e32 vcc_lo, s[42:43], v[62:63]
	v_cndmask_b32_e32 v91, 0x7fffffff, v63, vcc_lo
	v_cndmask_b32_e32 v90, -1, v62, vcc_lo
	s_delay_alu instid0(VALU_DEP_1) | instskip(NEXT) | instid1(VALU_DEP_1)
	v_lshrrev_b64 v[90:91], s54, v[90:91]
	v_bitop3_b32 v91, v90, 1, s59 bitop3:0x80
	v_and_b32_e32 v92, s59, v90
	s_delay_alu instid0(VALU_DEP_2) | instskip(NEXT) | instid1(VALU_DEP_1)
	v_add_co_u32 v90, s15, v91, -1
	v_cndmask_b32_e64 v91, 0, 1, s15
	s_delay_alu instid0(VALU_DEP_3) | instskip(NEXT) | instid1(VALU_DEP_2)
	v_lshlrev_b32_e32 v93, 30, v92
	v_cmp_ne_u32_e32 vcc_lo, 0, v91
	s_delay_alu instid0(VALU_DEP_2) | instskip(SKIP_1) | instid1(VALU_DEP_2)
	v_not_b32_e32 v91, v93
	v_cmp_gt_i32_e64 s15, 0, v93
	v_dual_ashrrev_i32 v91, 31, v91 :: v_dual_lshlrev_b32 v94, 29, v92
	v_dual_lshlrev_b32 v95, 28, v92 :: v_dual_lshlrev_b32 v96, 27, v92
	v_dual_lshlrev_b32 v97, 26, v92 :: v_dual_lshlrev_b32 v175, 25, v92
	v_lshlrev_b32_e32 v176, 24, v92
	s_delay_alu instid0(VALU_DEP_4)
	v_cmp_gt_i32_e64 s16, 0, v94
	v_not_b32_e32 v93, v94
	v_not_b32_e32 v94, v95
	v_cmp_gt_i32_e64 s17, 0, v95
	v_cmp_gt_i32_e64 s18, 0, v96
	v_not_b32_e32 v95, v96
	v_not_b32_e32 v96, v97
	v_dual_ashrrev_i32 v93, 31, v93 :: v_dual_bitop2_b32 v90, vcc_lo, v90 bitop3:0x14
	v_dual_ashrrev_i32 v94, 31, v94 :: v_dual_bitop2_b32 v91, s15, v91 bitop3:0x14
	v_cmp_gt_i32_e64 s19, 0, v97
	v_cmp_gt_i32_e64 s20, 0, v175
	v_not_b32_e32 v97, v175
	v_not_b32_e32 v175, v176
	v_dual_ashrrev_i32 v95, 31, v95 :: v_dual_ashrrev_i32 v96, 31, v96
	v_xor_b32_e32 v93, s16, v93
	v_xor_b32_e32 v94, s17, v94
	v_bitop3_b32 v90, v90, v91, exec_lo bitop3:0x80
	v_cmp_gt_i32_e64 s21, 0, v176
	v_dual_ashrrev_i32 v91, 31, v97 :: v_dual_ashrrev_i32 v97, 31, v175
	v_xor_b32_e32 v95, s18, v95
	v_xor_b32_e32 v96, s19, v96
	v_bitop3_b32 v90, v90, v94, v93 bitop3:0x80
	v_mad_u32_u24 v93, v92, 36, v148
	v_xor_b32_e32 v91, s20, v91
	v_xor_b32_e32 v94, s21, v97
	s_delay_alu instid0(VALU_DEP_4) | instskip(SKIP_3) | instid1(VALU_DEP_2)
	v_bitop3_b32 v90, v90, v96, v95 bitop3:0x80
	ds_load_b32 v175, v93 offset:1056
	; wave barrier
	v_bitop3_b32 v90, v90, v94, v91 bitop3:0x80
	v_mul_u32_u24_e32 v91, 36, v92
	v_mbcnt_lo_u32_b32 v176, v90, 0
	v_cmp_ne_u32_e64 s15, 0, v90
	s_delay_alu instid0(VALU_DEP_3) | instskip(NEXT) | instid1(VALU_DEP_3)
	v_add_nc_u32_e32 v177, v148, v91
	v_cmp_eq_u32_e32 vcc_lo, 0, v176
	s_and_b32 s16, s15, vcc_lo
	s_delay_alu instid0(SALU_CYCLE_1)
	s_and_saveexec_b32 s15, s16
	s_cbranch_execz .LBB1142_435
; %bb.434:                              ;   in Loop: Header=BB1142_393 Depth=2
	s_wait_dscnt 0x0
	v_bcnt_u32_b32 v90, v90, v175
	ds_store_b32 v177, v90 offset:1056
.LBB1142_435:                           ;   in Loop: Header=BB1142_393 Depth=2
	s_or_b32 exec_lo, exec_lo, s15
	v_cmp_gt_i64_e32 vcc_lo, 0, v[70:71]
	; wave barrier
	v_cndmask_b32_e64 v91, 0x7fffffff, 0, vcc_lo
	s_delay_alu instid0(VALU_DEP_1) | instskip(NEXT) | instid1(VALU_DEP_1)
	v_dual_ashrrev_i32 v90, 31, v71 :: v_dual_bitop2_b32 v71, v91, v71 bitop3:0x14
	v_not_b32_e32 v90, v90
	s_delay_alu instid0(VALU_DEP_1) | instskip(NEXT) | instid1(VALU_DEP_1)
	v_xor_b32_e32 v70, v90, v70
	v_cmp_ne_u64_e32 vcc_lo, s[42:43], v[70:71]
	v_cndmask_b32_e32 v91, 0x7fffffff, v71, vcc_lo
	v_cndmask_b32_e32 v90, -1, v70, vcc_lo
	s_delay_alu instid0(VALU_DEP_1) | instskip(NEXT) | instid1(VALU_DEP_1)
	v_lshrrev_b64 v[90:91], s54, v[90:91]
	v_bitop3_b32 v91, v90, 1, s59 bitop3:0x80
	v_and_b32_e32 v92, s59, v90
	s_delay_alu instid0(VALU_DEP_2) | instskip(NEXT) | instid1(VALU_DEP_1)
	v_add_co_u32 v90, s15, v91, -1
	v_cndmask_b32_e64 v91, 0, 1, s15
	s_delay_alu instid0(VALU_DEP_3) | instskip(NEXT) | instid1(VALU_DEP_2)
	v_lshlrev_b32_e32 v93, 30, v92
	v_cmp_ne_u32_e32 vcc_lo, 0, v91
	s_delay_alu instid0(VALU_DEP_2) | instskip(SKIP_1) | instid1(VALU_DEP_2)
	v_not_b32_e32 v91, v93
	v_cmp_gt_i32_e64 s15, 0, v93
	v_dual_ashrrev_i32 v91, 31, v91 :: v_dual_lshlrev_b32 v94, 29, v92
	v_dual_lshlrev_b32 v95, 28, v92 :: v_dual_lshlrev_b32 v96, 27, v92
	v_dual_lshlrev_b32 v97, 26, v92 :: v_dual_lshlrev_b32 v178, 25, v92
	v_lshlrev_b32_e32 v179, 24, v92
	s_delay_alu instid0(VALU_DEP_4)
	v_cmp_gt_i32_e64 s16, 0, v94
	v_not_b32_e32 v93, v94
	v_not_b32_e32 v94, v95
	v_cmp_gt_i32_e64 s17, 0, v95
	v_cmp_gt_i32_e64 s18, 0, v96
	v_not_b32_e32 v95, v96
	v_not_b32_e32 v96, v97
	v_dual_ashrrev_i32 v93, 31, v93 :: v_dual_bitop2_b32 v90, vcc_lo, v90 bitop3:0x14
	v_dual_ashrrev_i32 v94, 31, v94 :: v_dual_bitop2_b32 v91, s15, v91 bitop3:0x14
	v_cmp_gt_i32_e64 s19, 0, v97
	v_cmp_gt_i32_e64 s20, 0, v178
	v_not_b32_e32 v97, v178
	v_not_b32_e32 v178, v179
	v_dual_ashrrev_i32 v95, 31, v95 :: v_dual_ashrrev_i32 v96, 31, v96
	v_xor_b32_e32 v93, s16, v93
	v_xor_b32_e32 v94, s17, v94
	v_bitop3_b32 v90, v90, v91, exec_lo bitop3:0x80
	v_cmp_gt_i32_e64 s21, 0, v179
	v_dual_ashrrev_i32 v91, 31, v97 :: v_dual_ashrrev_i32 v97, 31, v178
	v_xor_b32_e32 v95, s18, v95
	v_xor_b32_e32 v96, s19, v96
	v_bitop3_b32 v90, v90, v94, v93 bitop3:0x80
	v_mad_u32_u24 v93, v92, 36, v148
	v_xor_b32_e32 v91, s20, v91
	v_xor_b32_e32 v94, s21, v97
	s_delay_alu instid0(VALU_DEP_4) | instskip(SKIP_3) | instid1(VALU_DEP_2)
	v_bitop3_b32 v90, v90, v96, v95 bitop3:0x80
	ds_load_b32 v178, v93 offset:1056
	; wave barrier
	v_bitop3_b32 v90, v90, v94, v91 bitop3:0x80
	v_mul_u32_u24_e32 v91, 36, v92
	v_mbcnt_lo_u32_b32 v179, v90, 0
	v_cmp_ne_u32_e64 s15, 0, v90
	s_delay_alu instid0(VALU_DEP_3) | instskip(NEXT) | instid1(VALU_DEP_3)
	v_add_nc_u32_e32 v180, v148, v91
	v_cmp_eq_u32_e32 vcc_lo, 0, v179
	s_and_b32 s16, s15, vcc_lo
	s_delay_alu instid0(SALU_CYCLE_1)
	s_and_saveexec_b32 s15, s16
	s_cbranch_execz .LBB1142_437
; %bb.436:                              ;   in Loop: Header=BB1142_393 Depth=2
	s_wait_dscnt 0x0
	v_bcnt_u32_b32 v90, v90, v178
	ds_store_b32 v180, v90 offset:1056
.LBB1142_437:                           ;   in Loop: Header=BB1142_393 Depth=2
	s_or_b32 exec_lo, exec_lo, s15
	v_cmp_gt_i64_e32 vcc_lo, 0, v[74:75]
	; wave barrier
	v_cndmask_b32_e64 v91, 0x7fffffff, 0, vcc_lo
	s_delay_alu instid0(VALU_DEP_1) | instskip(NEXT) | instid1(VALU_DEP_1)
	v_dual_ashrrev_i32 v90, 31, v75 :: v_dual_bitop2_b32 v75, v91, v75 bitop3:0x14
	v_not_b32_e32 v90, v90
	s_delay_alu instid0(VALU_DEP_1) | instskip(NEXT) | instid1(VALU_DEP_1)
	v_xor_b32_e32 v74, v90, v74
	v_cmp_ne_u64_e32 vcc_lo, s[42:43], v[74:75]
	v_cndmask_b32_e32 v91, 0x7fffffff, v75, vcc_lo
	v_cndmask_b32_e32 v90, -1, v74, vcc_lo
	s_delay_alu instid0(VALU_DEP_1) | instskip(NEXT) | instid1(VALU_DEP_1)
	v_lshrrev_b64 v[90:91], s54, v[90:91]
	v_bitop3_b32 v91, v90, 1, s59 bitop3:0x80
	v_and_b32_e32 v92, s59, v90
	s_delay_alu instid0(VALU_DEP_2) | instskip(NEXT) | instid1(VALU_DEP_1)
	v_add_co_u32 v90, s15, v91, -1
	v_cndmask_b32_e64 v91, 0, 1, s15
	s_delay_alu instid0(VALU_DEP_3) | instskip(NEXT) | instid1(VALU_DEP_2)
	v_lshlrev_b32_e32 v93, 30, v92
	v_cmp_ne_u32_e32 vcc_lo, 0, v91
	s_delay_alu instid0(VALU_DEP_2) | instskip(SKIP_1) | instid1(VALU_DEP_2)
	v_not_b32_e32 v91, v93
	v_cmp_gt_i32_e64 s15, 0, v93
	v_dual_ashrrev_i32 v91, 31, v91 :: v_dual_lshlrev_b32 v94, 29, v92
	v_dual_lshlrev_b32 v95, 28, v92 :: v_dual_lshlrev_b32 v96, 27, v92
	v_dual_lshlrev_b32 v97, 26, v92 :: v_dual_lshlrev_b32 v181, 25, v92
	v_lshlrev_b32_e32 v182, 24, v92
	s_delay_alu instid0(VALU_DEP_4)
	v_cmp_gt_i32_e64 s16, 0, v94
	v_not_b32_e32 v93, v94
	v_not_b32_e32 v94, v95
	v_cmp_gt_i32_e64 s17, 0, v95
	v_cmp_gt_i32_e64 s18, 0, v96
	v_not_b32_e32 v95, v96
	v_not_b32_e32 v96, v97
	v_dual_ashrrev_i32 v93, 31, v93 :: v_dual_bitop2_b32 v90, vcc_lo, v90 bitop3:0x14
	v_dual_ashrrev_i32 v94, 31, v94 :: v_dual_bitop2_b32 v91, s15, v91 bitop3:0x14
	v_cmp_gt_i32_e64 s19, 0, v97
	v_cmp_gt_i32_e64 s20, 0, v181
	v_not_b32_e32 v97, v181
	v_not_b32_e32 v181, v182
	v_dual_ashrrev_i32 v95, 31, v95 :: v_dual_ashrrev_i32 v96, 31, v96
	v_xor_b32_e32 v93, s16, v93
	v_xor_b32_e32 v94, s17, v94
	v_bitop3_b32 v90, v90, v91, exec_lo bitop3:0x80
	v_cmp_gt_i32_e64 s21, 0, v182
	v_ashrrev_i32_e32 v91, 31, v97
	v_dual_ashrrev_i32 v97, 31, v181 :: v_dual_bitop2_b32 v95, s18, v95 bitop3:0x14
	v_xor_b32_e32 v96, s19, v96
	v_bitop3_b32 v90, v90, v94, v93 bitop3:0x80
	v_mad_u32_u24 v93, v92, 36, v148
	v_xor_b32_e32 v91, s20, v91
	v_xor_b32_e32 v94, s21, v97
	s_delay_alu instid0(VALU_DEP_4) | instskip(SKIP_3) | instid1(VALU_DEP_2)
	v_bitop3_b32 v90, v90, v96, v95 bitop3:0x80
	ds_load_b32 v181, v93 offset:1056
	; wave barrier
	v_bitop3_b32 v90, v90, v94, v91 bitop3:0x80
	v_mul_u32_u24_e32 v91, 36, v92
	v_mbcnt_lo_u32_b32 v182, v90, 0
	v_cmp_ne_u32_e64 s15, 0, v90
	s_delay_alu instid0(VALU_DEP_3) | instskip(NEXT) | instid1(VALU_DEP_3)
	v_add_nc_u32_e32 v183, v148, v91
	v_cmp_eq_u32_e32 vcc_lo, 0, v182
	s_and_b32 s16, s15, vcc_lo
	s_delay_alu instid0(SALU_CYCLE_1)
	s_and_saveexec_b32 s15, s16
	s_cbranch_execz .LBB1142_439
; %bb.438:                              ;   in Loop: Header=BB1142_393 Depth=2
	s_wait_dscnt 0x0
	v_bcnt_u32_b32 v90, v90, v181
	ds_store_b32 v183, v90 offset:1056
.LBB1142_439:                           ;   in Loop: Header=BB1142_393 Depth=2
	s_or_b32 exec_lo, exec_lo, s15
	v_cmp_gt_i64_e32 vcc_lo, 0, v[78:79]
	; wave barrier
	v_cndmask_b32_e64 v91, 0x7fffffff, 0, vcc_lo
	s_delay_alu instid0(VALU_DEP_1) | instskip(NEXT) | instid1(VALU_DEP_1)
	v_dual_ashrrev_i32 v90, 31, v79 :: v_dual_bitop2_b32 v79, v91, v79 bitop3:0x14
	v_not_b32_e32 v90, v90
	s_delay_alu instid0(VALU_DEP_1) | instskip(NEXT) | instid1(VALU_DEP_1)
	v_xor_b32_e32 v78, v90, v78
	v_cmp_ne_u64_e32 vcc_lo, s[42:43], v[78:79]
	v_cndmask_b32_e32 v91, 0x7fffffff, v79, vcc_lo
	v_cndmask_b32_e32 v90, -1, v78, vcc_lo
	s_delay_alu instid0(VALU_DEP_1) | instskip(NEXT) | instid1(VALU_DEP_1)
	v_lshrrev_b64 v[90:91], s54, v[90:91]
	v_bitop3_b32 v91, v90, 1, s59 bitop3:0x80
	v_and_b32_e32 v92, s59, v90
	s_delay_alu instid0(VALU_DEP_2) | instskip(NEXT) | instid1(VALU_DEP_1)
	v_add_co_u32 v90, s15, v91, -1
	v_cndmask_b32_e64 v91, 0, 1, s15
	s_delay_alu instid0(VALU_DEP_3) | instskip(NEXT) | instid1(VALU_DEP_2)
	v_lshlrev_b32_e32 v93, 30, v92
	v_cmp_ne_u32_e32 vcc_lo, 0, v91
	s_delay_alu instid0(VALU_DEP_2) | instskip(SKIP_1) | instid1(VALU_DEP_2)
	v_not_b32_e32 v91, v93
	v_cmp_gt_i32_e64 s15, 0, v93
	v_dual_ashrrev_i32 v91, 31, v91 :: v_dual_lshlrev_b32 v94, 29, v92
	v_dual_lshlrev_b32 v95, 28, v92 :: v_dual_lshlrev_b32 v96, 27, v92
	v_dual_lshlrev_b32 v97, 26, v92 :: v_dual_lshlrev_b32 v184, 25, v92
	v_lshlrev_b32_e32 v185, 24, v92
	s_delay_alu instid0(VALU_DEP_4)
	v_cmp_gt_i32_e64 s16, 0, v94
	v_not_b32_e32 v93, v94
	v_not_b32_e32 v94, v95
	v_cmp_gt_i32_e64 s17, 0, v95
	v_cmp_gt_i32_e64 s18, 0, v96
	v_not_b32_e32 v95, v96
	v_not_b32_e32 v96, v97
	v_dual_ashrrev_i32 v93, 31, v93 :: v_dual_bitop2_b32 v90, vcc_lo, v90 bitop3:0x14
	v_dual_ashrrev_i32 v94, 31, v94 :: v_dual_bitop2_b32 v91, s15, v91 bitop3:0x14
	v_cmp_gt_i32_e64 s19, 0, v97
	v_cmp_gt_i32_e64 s20, 0, v184
	v_not_b32_e32 v97, v184
	v_not_b32_e32 v184, v185
	v_dual_ashrrev_i32 v95, 31, v95 :: v_dual_ashrrev_i32 v96, 31, v96
	v_xor_b32_e32 v93, s16, v93
	v_xor_b32_e32 v94, s17, v94
	v_bitop3_b32 v90, v90, v91, exec_lo bitop3:0x80
	v_cmp_gt_i32_e64 s21, 0, v185
	v_dual_ashrrev_i32 v91, 31, v97 :: v_dual_ashrrev_i32 v97, 31, v184
	v_xor_b32_e32 v95, s18, v95
	v_xor_b32_e32 v96, s19, v96
	v_bitop3_b32 v90, v90, v94, v93 bitop3:0x80
	v_mad_u32_u24 v93, v92, 36, v148
	v_xor_b32_e32 v91, s20, v91
	v_xor_b32_e32 v94, s21, v97
	s_delay_alu instid0(VALU_DEP_4) | instskip(SKIP_3) | instid1(VALU_DEP_2)
	v_bitop3_b32 v90, v90, v96, v95 bitop3:0x80
	ds_load_b32 v184, v93 offset:1056
	; wave barrier
	v_bitop3_b32 v90, v90, v94, v91 bitop3:0x80
	v_mul_u32_u24_e32 v91, 36, v92
	v_mbcnt_lo_u32_b32 v185, v90, 0
	v_cmp_ne_u32_e64 s15, 0, v90
	s_delay_alu instid0(VALU_DEP_3) | instskip(NEXT) | instid1(VALU_DEP_3)
	v_add_nc_u32_e32 v186, v148, v91
	v_cmp_eq_u32_e32 vcc_lo, 0, v185
	s_and_b32 s16, s15, vcc_lo
	s_delay_alu instid0(SALU_CYCLE_1)
	s_and_saveexec_b32 s15, s16
	s_cbranch_execz .LBB1142_441
; %bb.440:                              ;   in Loop: Header=BB1142_393 Depth=2
	s_wait_dscnt 0x0
	v_bcnt_u32_b32 v90, v90, v184
	ds_store_b32 v186, v90 offset:1056
.LBB1142_441:                           ;   in Loop: Header=BB1142_393 Depth=2
	s_or_b32 exec_lo, exec_lo, s15
	v_cmp_gt_i64_e32 vcc_lo, 0, v[82:83]
	; wave barrier
	v_cndmask_b32_e64 v91, 0x7fffffff, 0, vcc_lo
	s_delay_alu instid0(VALU_DEP_1) | instskip(NEXT) | instid1(VALU_DEP_1)
	v_dual_ashrrev_i32 v90, 31, v83 :: v_dual_bitop2_b32 v83, v91, v83 bitop3:0x14
	v_not_b32_e32 v90, v90
	s_delay_alu instid0(VALU_DEP_1) | instskip(NEXT) | instid1(VALU_DEP_1)
	v_xor_b32_e32 v82, v90, v82
	v_cmp_ne_u64_e32 vcc_lo, s[42:43], v[82:83]
	v_cndmask_b32_e32 v91, 0x7fffffff, v83, vcc_lo
	v_cndmask_b32_e32 v90, -1, v82, vcc_lo
	s_delay_alu instid0(VALU_DEP_1) | instskip(NEXT) | instid1(VALU_DEP_1)
	v_lshrrev_b64 v[90:91], s54, v[90:91]
	v_bitop3_b32 v91, v90, 1, s59 bitop3:0x80
	v_and_b32_e32 v92, s59, v90
	s_delay_alu instid0(VALU_DEP_2) | instskip(NEXT) | instid1(VALU_DEP_1)
	v_add_co_u32 v90, s15, v91, -1
	v_cndmask_b32_e64 v91, 0, 1, s15
	s_delay_alu instid0(VALU_DEP_3) | instskip(NEXT) | instid1(VALU_DEP_2)
	v_lshlrev_b32_e32 v93, 30, v92
	v_cmp_ne_u32_e32 vcc_lo, 0, v91
	s_delay_alu instid0(VALU_DEP_2) | instskip(SKIP_1) | instid1(VALU_DEP_2)
	v_not_b32_e32 v91, v93
	v_cmp_gt_i32_e64 s15, 0, v93
	v_dual_ashrrev_i32 v91, 31, v91 :: v_dual_lshlrev_b32 v94, 29, v92
	v_dual_lshlrev_b32 v95, 28, v92 :: v_dual_lshlrev_b32 v96, 27, v92
	v_dual_lshlrev_b32 v97, 26, v92 :: v_dual_lshlrev_b32 v187, 25, v92
	v_lshlrev_b32_e32 v188, 24, v92
	s_delay_alu instid0(VALU_DEP_4)
	v_cmp_gt_i32_e64 s16, 0, v94
	v_not_b32_e32 v93, v94
	v_not_b32_e32 v94, v95
	v_cmp_gt_i32_e64 s17, 0, v95
	v_cmp_gt_i32_e64 s18, 0, v96
	v_not_b32_e32 v95, v96
	v_not_b32_e32 v96, v97
	v_dual_ashrrev_i32 v93, 31, v93 :: v_dual_bitop2_b32 v90, vcc_lo, v90 bitop3:0x14
	v_dual_ashrrev_i32 v94, 31, v94 :: v_dual_bitop2_b32 v91, s15, v91 bitop3:0x14
	v_cmp_gt_i32_e64 s19, 0, v97
	v_cmp_gt_i32_e64 s20, 0, v187
	v_not_b32_e32 v97, v187
	v_not_b32_e32 v187, v188
	v_dual_ashrrev_i32 v95, 31, v95 :: v_dual_ashrrev_i32 v96, 31, v96
	v_xor_b32_e32 v93, s16, v93
	v_xor_b32_e32 v94, s17, v94
	v_bitop3_b32 v90, v90, v91, exec_lo bitop3:0x80
	v_cmp_gt_i32_e64 s21, 0, v188
	v_dual_ashrrev_i32 v91, 31, v97 :: v_dual_ashrrev_i32 v97, 31, v187
	v_xor_b32_e32 v95, s18, v95
	v_xor_b32_e32 v96, s19, v96
	v_bitop3_b32 v90, v90, v94, v93 bitop3:0x80
	v_mad_u32_u24 v93, v92, 36, v148
	v_xor_b32_e32 v91, s20, v91
	v_xor_b32_e32 v94, s21, v97
	s_delay_alu instid0(VALU_DEP_4) | instskip(SKIP_3) | instid1(VALU_DEP_2)
	v_bitop3_b32 v90, v90, v96, v95 bitop3:0x80
	ds_load_b32 v187, v93 offset:1056
	; wave barrier
	v_bitop3_b32 v90, v90, v94, v91 bitop3:0x80
	v_mul_u32_u24_e32 v91, 36, v92
	v_mbcnt_lo_u32_b32 v188, v90, 0
	v_cmp_ne_u32_e64 s15, 0, v90
	s_delay_alu instid0(VALU_DEP_3) | instskip(NEXT) | instid1(VALU_DEP_3)
	v_add_nc_u32_e32 v189, v148, v91
	v_cmp_eq_u32_e32 vcc_lo, 0, v188
	s_and_b32 s16, s15, vcc_lo
	s_delay_alu instid0(SALU_CYCLE_1)
	s_and_saveexec_b32 s15, s16
	s_cbranch_execz .LBB1142_443
; %bb.442:                              ;   in Loop: Header=BB1142_393 Depth=2
	s_wait_dscnt 0x0
	v_bcnt_u32_b32 v90, v90, v187
	ds_store_b32 v189, v90 offset:1056
.LBB1142_443:                           ;   in Loop: Header=BB1142_393 Depth=2
	s_or_b32 exec_lo, exec_lo, s15
	v_cmp_gt_i64_e32 vcc_lo, 0, v[86:87]
	; wave barrier
	v_cndmask_b32_e64 v91, 0x7fffffff, 0, vcc_lo
	s_delay_alu instid0(VALU_DEP_1) | instskip(NEXT) | instid1(VALU_DEP_1)
	v_dual_ashrrev_i32 v90, 31, v87 :: v_dual_bitop2_b32 v87, v91, v87 bitop3:0x14
	v_not_b32_e32 v90, v90
	s_delay_alu instid0(VALU_DEP_1) | instskip(NEXT) | instid1(VALU_DEP_1)
	v_xor_b32_e32 v86, v90, v86
	v_cmp_ne_u64_e32 vcc_lo, s[42:43], v[86:87]
	v_cndmask_b32_e32 v91, 0x7fffffff, v87, vcc_lo
	v_cndmask_b32_e32 v90, -1, v86, vcc_lo
	s_delay_alu instid0(VALU_DEP_1) | instskip(NEXT) | instid1(VALU_DEP_1)
	v_lshrrev_b64 v[90:91], s54, v[90:91]
	v_bitop3_b32 v91, v90, 1, s59 bitop3:0x80
	v_and_b32_e32 v92, s59, v90
	s_delay_alu instid0(VALU_DEP_2) | instskip(NEXT) | instid1(VALU_DEP_1)
	v_add_co_u32 v90, s15, v91, -1
	v_cndmask_b32_e64 v91, 0, 1, s15
	s_delay_alu instid0(VALU_DEP_3) | instskip(NEXT) | instid1(VALU_DEP_2)
	v_lshlrev_b32_e32 v93, 30, v92
	v_cmp_ne_u32_e32 vcc_lo, 0, v91
	s_delay_alu instid0(VALU_DEP_2) | instskip(SKIP_1) | instid1(VALU_DEP_2)
	v_not_b32_e32 v91, v93
	v_cmp_gt_i32_e64 s15, 0, v93
	v_dual_ashrrev_i32 v91, 31, v91 :: v_dual_lshlrev_b32 v94, 29, v92
	v_dual_lshlrev_b32 v95, 28, v92 :: v_dual_lshlrev_b32 v96, 27, v92
	v_dual_lshlrev_b32 v97, 26, v92 :: v_dual_lshlrev_b32 v190, 25, v92
	v_lshlrev_b32_e32 v191, 24, v92
	s_delay_alu instid0(VALU_DEP_4)
	v_cmp_gt_i32_e64 s16, 0, v94
	v_not_b32_e32 v93, v94
	v_not_b32_e32 v94, v95
	v_cmp_gt_i32_e64 s17, 0, v95
	v_cmp_gt_i32_e64 s18, 0, v96
	v_not_b32_e32 v95, v96
	v_not_b32_e32 v96, v97
	v_dual_ashrrev_i32 v93, 31, v93 :: v_dual_bitop2_b32 v90, vcc_lo, v90 bitop3:0x14
	v_dual_ashrrev_i32 v94, 31, v94 :: v_dual_bitop2_b32 v91, s15, v91 bitop3:0x14
	v_cmp_gt_i32_e64 s19, 0, v97
	v_cmp_gt_i32_e64 s20, 0, v190
	v_not_b32_e32 v97, v190
	v_not_b32_e32 v190, v191
	v_dual_ashrrev_i32 v95, 31, v95 :: v_dual_ashrrev_i32 v96, 31, v96
	v_xor_b32_e32 v93, s16, v93
	v_xor_b32_e32 v94, s17, v94
	v_bitop3_b32 v90, v90, v91, exec_lo bitop3:0x80
	v_cmp_gt_i32_e64 s21, 0, v191
	v_dual_ashrrev_i32 v91, 31, v97 :: v_dual_ashrrev_i32 v97, 31, v190
	v_xor_b32_e32 v95, s18, v95
	v_xor_b32_e32 v96, s19, v96
	v_bitop3_b32 v90, v90, v94, v93 bitop3:0x80
	v_mad_u32_u24 v93, v92, 36, v148
	v_xor_b32_e32 v91, s20, v91
	v_xor_b32_e32 v94, s21, v97
	s_delay_alu instid0(VALU_DEP_4) | instskip(SKIP_3) | instid1(VALU_DEP_2)
	v_bitop3_b32 v90, v90, v96, v95 bitop3:0x80
	ds_load_b32 v190, v93 offset:1056
	; wave barrier
	v_bitop3_b32 v90, v90, v94, v91 bitop3:0x80
	v_mul_u32_u24_e32 v91, 36, v92
	v_mbcnt_lo_u32_b32 v191, v90, 0
	v_cmp_ne_u32_e64 s15, 0, v90
	s_delay_alu instid0(VALU_DEP_3) | instskip(NEXT) | instid1(VALU_DEP_3)
	v_add_nc_u32_e32 v192, v148, v91
	v_cmp_eq_u32_e32 vcc_lo, 0, v191
	s_and_b32 s16, s15, vcc_lo
	s_delay_alu instid0(SALU_CYCLE_1)
	s_and_saveexec_b32 s15, s16
	s_cbranch_execz .LBB1142_445
; %bb.444:                              ;   in Loop: Header=BB1142_393 Depth=2
	s_wait_dscnt 0x0
	v_bcnt_u32_b32 v90, v90, v190
	ds_store_b32 v192, v90 offset:1056
.LBB1142_445:                           ;   in Loop: Header=BB1142_393 Depth=2
	s_or_b32 exec_lo, exec_lo, s15
	v_cmp_gt_i64_e32 vcc_lo, 0, v[88:89]
	; wave barrier
	v_cndmask_b32_e64 v91, 0x7fffffff, 0, vcc_lo
	s_delay_alu instid0(VALU_DEP_1) | instskip(NEXT) | instid1(VALU_DEP_1)
	v_dual_ashrrev_i32 v90, 31, v89 :: v_dual_bitop2_b32 v89, v91, v89 bitop3:0x14
	v_not_b32_e32 v90, v90
	s_delay_alu instid0(VALU_DEP_1) | instskip(NEXT) | instid1(VALU_DEP_1)
	v_xor_b32_e32 v88, v90, v88
	v_cmp_ne_u64_e32 vcc_lo, s[42:43], v[88:89]
	v_cndmask_b32_e32 v91, 0x7fffffff, v89, vcc_lo
	v_cndmask_b32_e32 v90, -1, v88, vcc_lo
	s_delay_alu instid0(VALU_DEP_1) | instskip(NEXT) | instid1(VALU_DEP_1)
	v_lshrrev_b64 v[90:91], s54, v[90:91]
	v_bitop3_b32 v91, v90, 1, s59 bitop3:0x80
	v_and_b32_e32 v92, s59, v90
	s_delay_alu instid0(VALU_DEP_2) | instskip(NEXT) | instid1(VALU_DEP_1)
	v_add_co_u32 v90, s15, v91, -1
	v_cndmask_b32_e64 v91, 0, 1, s15
	s_delay_alu instid0(VALU_DEP_3) | instskip(SKIP_1) | instid1(VALU_DEP_3)
	v_dual_lshlrev_b32 v93, 30, v92 :: v_dual_lshlrev_b32 v95, 28, v92
	v_dual_lshlrev_b32 v94, 29, v92 :: v_dual_lshlrev_b32 v96, 27, v92
	v_cmp_ne_u32_e32 vcc_lo, 0, v91
	s_delay_alu instid0(VALU_DEP_3) | instskip(SKIP_1) | instid1(VALU_DEP_4)
	v_cmp_gt_i32_e64 s15, 0, v93
	v_not_b32_e32 v91, v93
	v_cmp_gt_i32_e64 s16, 0, v94
	v_not_b32_e32 v93, v94
	;; [unrolled: 2-line block ×3, first 2 shown]
	v_not_b32_e32 v95, v96
	s_delay_alu instid0(VALU_DEP_4) | instskip(NEXT) | instid1(VALU_DEP_2)
	v_dual_ashrrev_i32 v91, 31, v91 :: v_dual_ashrrev_i32 v93, 31, v93
	v_dual_ashrrev_i32 v94, 31, v94 :: v_dual_ashrrev_i32 v95, 31, v95
	v_dual_lshlrev_b32 v97, 26, v92 :: v_dual_lshlrev_b32 v193, 25, v92
	v_lshlrev_b32_e32 v194, 24, v92
	v_cmp_gt_i32_e64 s18, 0, v96
	v_xor_b32_e32 v91, s15, v91
	s_delay_alu instid0(VALU_DEP_4)
	v_not_b32_e32 v96, v97
	v_xor_b32_e32 v90, vcc_lo, v90
	v_cmp_gt_i32_e64 s19, 0, v97
	v_cmp_gt_i32_e64 s20, 0, v193
	v_not_b32_e32 v97, v193
	v_not_b32_e32 v193, v194
	v_dual_ashrrev_i32 v96, 31, v96 :: v_dual_bitop2_b32 v93, s16, v93 bitop3:0x14
	v_xor_b32_e32 v94, s17, v94
	v_bitop3_b32 v90, v90, v91, exec_lo bitop3:0x80
	v_cmp_gt_i32_e64 s21, 0, v194
	v_ashrrev_i32_e32 v91, 31, v97
	v_dual_ashrrev_i32 v97, 31, v193 :: v_dual_bitop2_b32 v95, s18, v95 bitop3:0x14
	v_xor_b32_e32 v96, s19, v96
	v_bitop3_b32 v90, v90, v94, v93 bitop3:0x80
	v_mad_u32_u24 v93, v92, 36, v148
	v_xor_b32_e32 v91, s20, v91
	v_xor_b32_e32 v94, s21, v97
	s_delay_alu instid0(VALU_DEP_4) | instskip(SKIP_3) | instid1(VALU_DEP_2)
	v_bitop3_b32 v90, v90, v96, v95 bitop3:0x80
	ds_load_b32 v193, v93 offset:1056
	; wave barrier
	v_bitop3_b32 v90, v90, v94, v91 bitop3:0x80
	v_mul_u32_u24_e32 v91, 36, v92
	v_mbcnt_lo_u32_b32 v194, v90, 0
	v_cmp_ne_u32_e64 s15, 0, v90
	s_delay_alu instid0(VALU_DEP_3) | instskip(NEXT) | instid1(VALU_DEP_3)
	v_add_nc_u32_e32 v195, v148, v91
	v_cmp_eq_u32_e32 vcc_lo, 0, v194
	s_and_b32 s16, s15, vcc_lo
	s_delay_alu instid0(SALU_CYCLE_1)
	s_and_saveexec_b32 s15, s16
	s_cbranch_execz .LBB1142_447
; %bb.446:                              ;   in Loop: Header=BB1142_393 Depth=2
	s_wait_dscnt 0x0
	v_bcnt_u32_b32 v90, v90, v193
	ds_store_b32 v195, v90 offset:1056
.LBB1142_447:                           ;   in Loop: Header=BB1142_393 Depth=2
	s_or_b32 exec_lo, exec_lo, s15
	v_cmp_gt_i64_e32 vcc_lo, 0, v[84:85]
	; wave barrier
	v_cndmask_b32_e64 v91, 0x7fffffff, 0, vcc_lo
	s_delay_alu instid0(VALU_DEP_1) | instskip(NEXT) | instid1(VALU_DEP_1)
	v_dual_ashrrev_i32 v90, 31, v85 :: v_dual_bitop2_b32 v85, v91, v85 bitop3:0x14
	v_not_b32_e32 v90, v90
	s_delay_alu instid0(VALU_DEP_1) | instskip(NEXT) | instid1(VALU_DEP_1)
	v_xor_b32_e32 v84, v90, v84
	v_cmp_ne_u64_e32 vcc_lo, s[42:43], v[84:85]
	v_cndmask_b32_e32 v91, 0x7fffffff, v85, vcc_lo
	v_cndmask_b32_e32 v90, -1, v84, vcc_lo
	s_delay_alu instid0(VALU_DEP_1) | instskip(NEXT) | instid1(VALU_DEP_1)
	v_lshrrev_b64 v[90:91], s54, v[90:91]
	v_bitop3_b32 v91, v90, 1, s59 bitop3:0x80
	v_and_b32_e32 v92, s59, v90
	s_delay_alu instid0(VALU_DEP_2) | instskip(NEXT) | instid1(VALU_DEP_1)
	v_add_co_u32 v90, s15, v91, -1
	v_cndmask_b32_e64 v91, 0, 1, s15
	s_delay_alu instid0(VALU_DEP_3) | instskip(SKIP_1) | instid1(VALU_DEP_3)
	v_dual_lshlrev_b32 v93, 30, v92 :: v_dual_lshlrev_b32 v95, 28, v92
	v_dual_lshlrev_b32 v94, 29, v92 :: v_dual_lshlrev_b32 v96, 27, v92
	v_cmp_ne_u32_e32 vcc_lo, 0, v91
	s_delay_alu instid0(VALU_DEP_3) | instskip(SKIP_1) | instid1(VALU_DEP_4)
	v_cmp_gt_i32_e64 s15, 0, v93
	v_not_b32_e32 v91, v93
	v_cmp_gt_i32_e64 s16, 0, v94
	v_not_b32_e32 v93, v94
	;; [unrolled: 2-line block ×3, first 2 shown]
	v_not_b32_e32 v95, v96
	s_delay_alu instid0(VALU_DEP_4) | instskip(NEXT) | instid1(VALU_DEP_2)
	v_dual_ashrrev_i32 v91, 31, v91 :: v_dual_ashrrev_i32 v93, 31, v93
	v_dual_ashrrev_i32 v94, 31, v94 :: v_dual_ashrrev_i32 v95, 31, v95
	v_dual_lshlrev_b32 v97, 26, v92 :: v_dual_lshlrev_b32 v196, 25, v92
	v_lshlrev_b32_e32 v197, 24, v92
	v_cmp_gt_i32_e64 s18, 0, v96
	v_xor_b32_e32 v91, s15, v91
	s_delay_alu instid0(VALU_DEP_4)
	v_not_b32_e32 v96, v97
	v_xor_b32_e32 v90, vcc_lo, v90
	v_cmp_gt_i32_e64 s19, 0, v97
	v_cmp_gt_i32_e64 s20, 0, v196
	v_not_b32_e32 v97, v196
	v_not_b32_e32 v196, v197
	v_dual_ashrrev_i32 v96, 31, v96 :: v_dual_bitop2_b32 v93, s16, v93 bitop3:0x14
	v_xor_b32_e32 v94, s17, v94
	v_bitop3_b32 v90, v90, v91, exec_lo bitop3:0x80
	v_cmp_gt_i32_e64 s21, 0, v197
	v_dual_ashrrev_i32 v91, 31, v97 :: v_dual_ashrrev_i32 v97, 31, v196
	v_xor_b32_e32 v95, s18, v95
	v_xor_b32_e32 v96, s19, v96
	v_bitop3_b32 v90, v90, v94, v93 bitop3:0x80
	v_mad_u32_u24 v93, v92, 36, v148
	v_xor_b32_e32 v91, s20, v91
	v_xor_b32_e32 v94, s21, v97
	s_delay_alu instid0(VALU_DEP_4) | instskip(SKIP_3) | instid1(VALU_DEP_2)
	v_bitop3_b32 v90, v90, v96, v95 bitop3:0x80
	ds_load_b32 v196, v93 offset:1056
	; wave barrier
	v_bitop3_b32 v90, v90, v94, v91 bitop3:0x80
	v_mul_u32_u24_e32 v91, 36, v92
	v_mbcnt_lo_u32_b32 v197, v90, 0
	v_cmp_ne_u32_e64 s15, 0, v90
	s_delay_alu instid0(VALU_DEP_3) | instskip(NEXT) | instid1(VALU_DEP_3)
	v_add_nc_u32_e32 v198, v148, v91
	v_cmp_eq_u32_e32 vcc_lo, 0, v197
	s_and_b32 s16, s15, vcc_lo
	s_delay_alu instid0(SALU_CYCLE_1)
	s_and_saveexec_b32 s15, s16
	s_cbranch_execz .LBB1142_449
; %bb.448:                              ;   in Loop: Header=BB1142_393 Depth=2
	s_wait_dscnt 0x0
	v_bcnt_u32_b32 v90, v90, v196
	ds_store_b32 v198, v90 offset:1056
.LBB1142_449:                           ;   in Loop: Header=BB1142_393 Depth=2
	s_or_b32 exec_lo, exec_lo, s15
	v_cmp_gt_i64_e32 vcc_lo, 0, v[80:81]
	; wave barrier
	v_cndmask_b32_e64 v91, 0x7fffffff, 0, vcc_lo
	s_delay_alu instid0(VALU_DEP_1) | instskip(NEXT) | instid1(VALU_DEP_1)
	v_dual_ashrrev_i32 v90, 31, v81 :: v_dual_bitop2_b32 v81, v91, v81 bitop3:0x14
	v_not_b32_e32 v90, v90
	s_delay_alu instid0(VALU_DEP_1) | instskip(NEXT) | instid1(VALU_DEP_1)
	v_xor_b32_e32 v80, v90, v80
	v_cmp_ne_u64_e32 vcc_lo, s[42:43], v[80:81]
	v_cndmask_b32_e32 v91, 0x7fffffff, v81, vcc_lo
	v_cndmask_b32_e32 v90, -1, v80, vcc_lo
	s_delay_alu instid0(VALU_DEP_1) | instskip(NEXT) | instid1(VALU_DEP_1)
	v_lshrrev_b64 v[90:91], s54, v[90:91]
	v_bitop3_b32 v91, v90, 1, s59 bitop3:0x80
	v_and_b32_e32 v92, s59, v90
	s_delay_alu instid0(VALU_DEP_2) | instskip(NEXT) | instid1(VALU_DEP_1)
	v_add_co_u32 v90, s15, v91, -1
	v_cndmask_b32_e64 v91, 0, 1, s15
	s_delay_alu instid0(VALU_DEP_3) | instskip(SKIP_1) | instid1(VALU_DEP_3)
	v_dual_lshlrev_b32 v93, 30, v92 :: v_dual_lshlrev_b32 v95, 28, v92
	v_dual_lshlrev_b32 v94, 29, v92 :: v_dual_lshlrev_b32 v96, 27, v92
	v_cmp_ne_u32_e32 vcc_lo, 0, v91
	s_delay_alu instid0(VALU_DEP_3) | instskip(SKIP_1) | instid1(VALU_DEP_4)
	v_cmp_gt_i32_e64 s15, 0, v93
	v_not_b32_e32 v91, v93
	v_cmp_gt_i32_e64 s16, 0, v94
	v_not_b32_e32 v93, v94
	;; [unrolled: 2-line block ×3, first 2 shown]
	v_not_b32_e32 v95, v96
	s_delay_alu instid0(VALU_DEP_4) | instskip(NEXT) | instid1(VALU_DEP_2)
	v_dual_ashrrev_i32 v91, 31, v91 :: v_dual_ashrrev_i32 v93, 31, v93
	v_dual_ashrrev_i32 v94, 31, v94 :: v_dual_ashrrev_i32 v95, 31, v95
	v_dual_lshlrev_b32 v97, 26, v92 :: v_dual_lshlrev_b32 v199, 25, v92
	v_lshlrev_b32_e32 v200, 24, v92
	v_cmp_gt_i32_e64 s18, 0, v96
	v_xor_b32_e32 v91, s15, v91
	s_delay_alu instid0(VALU_DEP_4)
	v_not_b32_e32 v96, v97
	v_xor_b32_e32 v90, vcc_lo, v90
	v_cmp_gt_i32_e64 s19, 0, v97
	v_cmp_gt_i32_e64 s20, 0, v199
	v_not_b32_e32 v97, v199
	v_not_b32_e32 v199, v200
	v_dual_ashrrev_i32 v96, 31, v96 :: v_dual_bitop2_b32 v93, s16, v93 bitop3:0x14
	v_xor_b32_e32 v94, s17, v94
	v_bitop3_b32 v90, v90, v91, exec_lo bitop3:0x80
	v_cmp_gt_i32_e64 s21, 0, v200
	v_dual_ashrrev_i32 v91, 31, v97 :: v_dual_ashrrev_i32 v97, 31, v199
	v_xor_b32_e32 v95, s18, v95
	v_xor_b32_e32 v96, s19, v96
	v_bitop3_b32 v90, v90, v94, v93 bitop3:0x80
	v_mad_u32_u24 v93, v92, 36, v148
	v_xor_b32_e32 v91, s20, v91
	v_xor_b32_e32 v94, s21, v97
	s_delay_alu instid0(VALU_DEP_4) | instskip(SKIP_3) | instid1(VALU_DEP_2)
	v_bitop3_b32 v90, v90, v96, v95 bitop3:0x80
	ds_load_b32 v199, v93 offset:1056
	; wave barrier
	v_bitop3_b32 v90, v90, v94, v91 bitop3:0x80
	v_mul_u32_u24_e32 v91, 36, v92
	v_mbcnt_lo_u32_b32 v200, v90, 0
	v_cmp_ne_u32_e64 s15, 0, v90
	s_delay_alu instid0(VALU_DEP_3) | instskip(NEXT) | instid1(VALU_DEP_3)
	v_add_nc_u32_e32 v201, v148, v91
	v_cmp_eq_u32_e32 vcc_lo, 0, v200
	s_and_b32 s16, s15, vcc_lo
	s_delay_alu instid0(SALU_CYCLE_1)
	s_and_saveexec_b32 s15, s16
	s_cbranch_execz .LBB1142_451
; %bb.450:                              ;   in Loop: Header=BB1142_393 Depth=2
	s_wait_dscnt 0x0
	v_bcnt_u32_b32 v90, v90, v199
	ds_store_b32 v201, v90 offset:1056
.LBB1142_451:                           ;   in Loop: Header=BB1142_393 Depth=2
	s_or_b32 exec_lo, exec_lo, s15
	v_cmp_gt_i64_e32 vcc_lo, 0, v[76:77]
	; wave barrier
	v_cndmask_b32_e64 v91, 0x7fffffff, 0, vcc_lo
	s_delay_alu instid0(VALU_DEP_1) | instskip(NEXT) | instid1(VALU_DEP_1)
	v_dual_ashrrev_i32 v90, 31, v77 :: v_dual_bitop2_b32 v77, v91, v77 bitop3:0x14
	v_not_b32_e32 v90, v90
	s_delay_alu instid0(VALU_DEP_1) | instskip(NEXT) | instid1(VALU_DEP_1)
	v_xor_b32_e32 v76, v90, v76
	v_cmp_ne_u64_e32 vcc_lo, s[42:43], v[76:77]
	v_cndmask_b32_e32 v91, 0x7fffffff, v77, vcc_lo
	v_cndmask_b32_e32 v90, -1, v76, vcc_lo
	s_delay_alu instid0(VALU_DEP_1) | instskip(NEXT) | instid1(VALU_DEP_1)
	v_lshrrev_b64 v[90:91], s54, v[90:91]
	v_bitop3_b32 v91, v90, 1, s59 bitop3:0x80
	v_and_b32_e32 v92, s59, v90
	s_delay_alu instid0(VALU_DEP_2) | instskip(NEXT) | instid1(VALU_DEP_1)
	v_add_co_u32 v90, s15, v91, -1
	v_cndmask_b32_e64 v91, 0, 1, s15
	s_delay_alu instid0(VALU_DEP_3) | instskip(SKIP_1) | instid1(VALU_DEP_3)
	v_dual_lshlrev_b32 v93, 30, v92 :: v_dual_lshlrev_b32 v95, 28, v92
	v_dual_lshlrev_b32 v94, 29, v92 :: v_dual_lshlrev_b32 v96, 27, v92
	v_cmp_ne_u32_e32 vcc_lo, 0, v91
	s_delay_alu instid0(VALU_DEP_3) | instskip(SKIP_1) | instid1(VALU_DEP_4)
	v_cmp_gt_i32_e64 s15, 0, v93
	v_not_b32_e32 v91, v93
	v_cmp_gt_i32_e64 s16, 0, v94
	v_not_b32_e32 v93, v94
	;; [unrolled: 2-line block ×3, first 2 shown]
	v_not_b32_e32 v95, v96
	s_delay_alu instid0(VALU_DEP_4) | instskip(NEXT) | instid1(VALU_DEP_2)
	v_dual_ashrrev_i32 v91, 31, v91 :: v_dual_ashrrev_i32 v93, 31, v93
	v_dual_ashrrev_i32 v94, 31, v94 :: v_dual_ashrrev_i32 v95, 31, v95
	v_dual_lshlrev_b32 v97, 26, v92 :: v_dual_lshlrev_b32 v202, 25, v92
	v_lshlrev_b32_e32 v203, 24, v92
	v_cmp_gt_i32_e64 s18, 0, v96
	v_xor_b32_e32 v91, s15, v91
	s_delay_alu instid0(VALU_DEP_4)
	v_not_b32_e32 v96, v97
	v_xor_b32_e32 v90, vcc_lo, v90
	v_cmp_gt_i32_e64 s19, 0, v97
	v_cmp_gt_i32_e64 s20, 0, v202
	v_not_b32_e32 v97, v202
	v_not_b32_e32 v202, v203
	v_dual_ashrrev_i32 v96, 31, v96 :: v_dual_bitop2_b32 v93, s16, v93 bitop3:0x14
	v_xor_b32_e32 v94, s17, v94
	v_bitop3_b32 v90, v90, v91, exec_lo bitop3:0x80
	v_cmp_gt_i32_e64 s21, 0, v203
	v_dual_ashrrev_i32 v91, 31, v97 :: v_dual_ashrrev_i32 v97, 31, v202
	v_xor_b32_e32 v95, s18, v95
	v_xor_b32_e32 v96, s19, v96
	v_bitop3_b32 v90, v90, v94, v93 bitop3:0x80
	v_mad_u32_u24 v93, v92, 36, v148
	v_xor_b32_e32 v91, s20, v91
	v_xor_b32_e32 v94, s21, v97
	s_delay_alu instid0(VALU_DEP_4) | instskip(SKIP_3) | instid1(VALU_DEP_2)
	v_bitop3_b32 v90, v90, v96, v95 bitop3:0x80
	ds_load_b32 v202, v93 offset:1056
	; wave barrier
	v_bitop3_b32 v90, v90, v94, v91 bitop3:0x80
	v_mul_u32_u24_e32 v91, 36, v92
	v_mbcnt_lo_u32_b32 v203, v90, 0
	v_cmp_ne_u32_e64 s15, 0, v90
	s_delay_alu instid0(VALU_DEP_3) | instskip(NEXT) | instid1(VALU_DEP_3)
	v_add_nc_u32_e32 v204, v148, v91
	v_cmp_eq_u32_e32 vcc_lo, 0, v203
	s_and_b32 s16, s15, vcc_lo
	s_delay_alu instid0(SALU_CYCLE_1)
	s_and_saveexec_b32 s15, s16
	s_cbranch_execz .LBB1142_453
; %bb.452:                              ;   in Loop: Header=BB1142_393 Depth=2
	s_wait_dscnt 0x0
	v_bcnt_u32_b32 v90, v90, v202
	ds_store_b32 v204, v90 offset:1056
.LBB1142_453:                           ;   in Loop: Header=BB1142_393 Depth=2
	s_or_b32 exec_lo, exec_lo, s15
	v_cmp_gt_i64_e32 vcc_lo, 0, v[72:73]
	; wave barrier
	v_cndmask_b32_e64 v91, 0x7fffffff, 0, vcc_lo
	s_delay_alu instid0(VALU_DEP_1) | instskip(NEXT) | instid1(VALU_DEP_1)
	v_dual_ashrrev_i32 v90, 31, v73 :: v_dual_bitop2_b32 v73, v91, v73 bitop3:0x14
	v_not_b32_e32 v90, v90
	s_delay_alu instid0(VALU_DEP_1) | instskip(NEXT) | instid1(VALU_DEP_1)
	v_xor_b32_e32 v72, v90, v72
	v_cmp_ne_u64_e32 vcc_lo, s[42:43], v[72:73]
	v_cndmask_b32_e32 v91, 0x7fffffff, v73, vcc_lo
	v_cndmask_b32_e32 v90, -1, v72, vcc_lo
	s_delay_alu instid0(VALU_DEP_1) | instskip(NEXT) | instid1(VALU_DEP_1)
	v_lshrrev_b64 v[90:91], s54, v[90:91]
	v_bitop3_b32 v91, v90, 1, s59 bitop3:0x80
	v_and_b32_e32 v92, s59, v90
	s_delay_alu instid0(VALU_DEP_2) | instskip(NEXT) | instid1(VALU_DEP_1)
	v_add_co_u32 v90, s15, v91, -1
	v_cndmask_b32_e64 v91, 0, 1, s15
	s_delay_alu instid0(VALU_DEP_3) | instskip(SKIP_1) | instid1(VALU_DEP_3)
	v_dual_lshlrev_b32 v93, 30, v92 :: v_dual_lshlrev_b32 v95, 28, v92
	v_dual_lshlrev_b32 v94, 29, v92 :: v_dual_lshlrev_b32 v96, 27, v92
	v_cmp_ne_u32_e32 vcc_lo, 0, v91
	s_delay_alu instid0(VALU_DEP_3) | instskip(SKIP_1) | instid1(VALU_DEP_4)
	v_cmp_gt_i32_e64 s15, 0, v93
	v_not_b32_e32 v91, v93
	v_cmp_gt_i32_e64 s16, 0, v94
	v_not_b32_e32 v93, v94
	;; [unrolled: 2-line block ×3, first 2 shown]
	v_not_b32_e32 v95, v96
	s_delay_alu instid0(VALU_DEP_4) | instskip(NEXT) | instid1(VALU_DEP_2)
	v_dual_ashrrev_i32 v91, 31, v91 :: v_dual_ashrrev_i32 v93, 31, v93
	v_dual_ashrrev_i32 v94, 31, v94 :: v_dual_ashrrev_i32 v95, 31, v95
	v_dual_lshlrev_b32 v97, 26, v92 :: v_dual_lshlrev_b32 v205, 25, v92
	v_lshlrev_b32_e32 v206, 24, v92
	v_cmp_gt_i32_e64 s18, 0, v96
	v_xor_b32_e32 v91, s15, v91
	s_delay_alu instid0(VALU_DEP_4)
	v_not_b32_e32 v96, v97
	v_xor_b32_e32 v90, vcc_lo, v90
	v_cmp_gt_i32_e64 s19, 0, v97
	v_cmp_gt_i32_e64 s20, 0, v205
	v_not_b32_e32 v97, v205
	v_not_b32_e32 v205, v206
	v_dual_ashrrev_i32 v96, 31, v96 :: v_dual_bitop2_b32 v93, s16, v93 bitop3:0x14
	v_xor_b32_e32 v94, s17, v94
	v_bitop3_b32 v90, v90, v91, exec_lo bitop3:0x80
	v_cmp_gt_i32_e64 s21, 0, v206
	v_ashrrev_i32_e32 v91, 31, v97
	v_dual_ashrrev_i32 v97, 31, v205 :: v_dual_bitop2_b32 v95, s18, v95 bitop3:0x14
	v_xor_b32_e32 v96, s19, v96
	v_bitop3_b32 v90, v90, v94, v93 bitop3:0x80
	v_mad_u32_u24 v93, v92, 36, v148
	v_xor_b32_e32 v91, s20, v91
	v_xor_b32_e32 v94, s21, v97
	s_delay_alu instid0(VALU_DEP_4) | instskip(SKIP_3) | instid1(VALU_DEP_2)
	v_bitop3_b32 v90, v90, v96, v95 bitop3:0x80
	ds_load_b32 v205, v93 offset:1056
	; wave barrier
	v_bitop3_b32 v90, v90, v94, v91 bitop3:0x80
	v_mul_u32_u24_e32 v91, 36, v92
	v_mbcnt_lo_u32_b32 v206, v90, 0
	v_cmp_ne_u32_e64 s15, 0, v90
	s_delay_alu instid0(VALU_DEP_3) | instskip(NEXT) | instid1(VALU_DEP_3)
	v_add_nc_u32_e32 v207, v148, v91
	v_cmp_eq_u32_e32 vcc_lo, 0, v206
	s_and_b32 s16, s15, vcc_lo
	s_delay_alu instid0(SALU_CYCLE_1)
	s_and_saveexec_b32 s15, s16
	s_cbranch_execz .LBB1142_455
; %bb.454:                              ;   in Loop: Header=BB1142_393 Depth=2
	s_wait_dscnt 0x0
	v_bcnt_u32_b32 v90, v90, v205
	ds_store_b32 v207, v90 offset:1056
.LBB1142_455:                           ;   in Loop: Header=BB1142_393 Depth=2
	s_or_b32 exec_lo, exec_lo, s15
	v_cmp_gt_i64_e32 vcc_lo, 0, v[68:69]
	; wave barrier
	v_cndmask_b32_e64 v91, 0x7fffffff, 0, vcc_lo
	s_delay_alu instid0(VALU_DEP_1) | instskip(NEXT) | instid1(VALU_DEP_1)
	v_dual_ashrrev_i32 v90, 31, v69 :: v_dual_bitop2_b32 v69, v91, v69 bitop3:0x14
	v_not_b32_e32 v90, v90
	s_delay_alu instid0(VALU_DEP_1) | instskip(NEXT) | instid1(VALU_DEP_1)
	v_xor_b32_e32 v68, v90, v68
	v_cmp_ne_u64_e32 vcc_lo, s[42:43], v[68:69]
	v_cndmask_b32_e32 v91, 0x7fffffff, v69, vcc_lo
	v_cndmask_b32_e32 v90, -1, v68, vcc_lo
	s_delay_alu instid0(VALU_DEP_1) | instskip(NEXT) | instid1(VALU_DEP_1)
	v_lshrrev_b64 v[90:91], s54, v[90:91]
	v_bitop3_b32 v91, v90, 1, s59 bitop3:0x80
	v_and_b32_e32 v92, s59, v90
	s_delay_alu instid0(VALU_DEP_2) | instskip(NEXT) | instid1(VALU_DEP_1)
	v_add_co_u32 v90, s15, v91, -1
	v_cndmask_b32_e64 v91, 0, 1, s15
	s_delay_alu instid0(VALU_DEP_3) | instskip(SKIP_1) | instid1(VALU_DEP_3)
	v_dual_lshlrev_b32 v93, 30, v92 :: v_dual_lshlrev_b32 v95, 28, v92
	v_dual_lshlrev_b32 v94, 29, v92 :: v_dual_lshlrev_b32 v96, 27, v92
	v_cmp_ne_u32_e32 vcc_lo, 0, v91
	s_delay_alu instid0(VALU_DEP_3) | instskip(SKIP_1) | instid1(VALU_DEP_4)
	v_cmp_gt_i32_e64 s15, 0, v93
	v_not_b32_e32 v91, v93
	v_cmp_gt_i32_e64 s16, 0, v94
	v_not_b32_e32 v93, v94
	;; [unrolled: 2-line block ×3, first 2 shown]
	v_not_b32_e32 v95, v96
	s_delay_alu instid0(VALU_DEP_4) | instskip(NEXT) | instid1(VALU_DEP_2)
	v_dual_ashrrev_i32 v91, 31, v91 :: v_dual_ashrrev_i32 v93, 31, v93
	v_dual_ashrrev_i32 v94, 31, v94 :: v_dual_ashrrev_i32 v95, 31, v95
	v_dual_lshlrev_b32 v97, 26, v92 :: v_dual_lshlrev_b32 v208, 25, v92
	v_lshlrev_b32_e32 v209, 24, v92
	v_cmp_gt_i32_e64 s18, 0, v96
	v_xor_b32_e32 v91, s15, v91
	s_delay_alu instid0(VALU_DEP_4)
	v_not_b32_e32 v96, v97
	v_xor_b32_e32 v90, vcc_lo, v90
	v_cmp_gt_i32_e64 s19, 0, v97
	v_cmp_gt_i32_e64 s20, 0, v208
	v_not_b32_e32 v97, v208
	v_not_b32_e32 v208, v209
	v_dual_ashrrev_i32 v96, 31, v96 :: v_dual_bitop2_b32 v93, s16, v93 bitop3:0x14
	v_xor_b32_e32 v94, s17, v94
	v_bitop3_b32 v90, v90, v91, exec_lo bitop3:0x80
	v_cmp_gt_i32_e64 s21, 0, v209
	v_dual_ashrrev_i32 v91, 31, v97 :: v_dual_ashrrev_i32 v97, 31, v208
	v_xor_b32_e32 v95, s18, v95
	v_xor_b32_e32 v96, s19, v96
	v_bitop3_b32 v90, v90, v94, v93 bitop3:0x80
	v_mad_u32_u24 v93, v92, 36, v148
	v_xor_b32_e32 v91, s20, v91
	v_xor_b32_e32 v94, s21, v97
	s_delay_alu instid0(VALU_DEP_4) | instskip(SKIP_3) | instid1(VALU_DEP_2)
	v_bitop3_b32 v90, v90, v96, v95 bitop3:0x80
	ds_load_b32 v208, v93 offset:1056
	; wave barrier
	v_bitop3_b32 v90, v90, v94, v91 bitop3:0x80
	v_mul_u32_u24_e32 v91, 36, v92
	v_mbcnt_lo_u32_b32 v209, v90, 0
	v_cmp_ne_u32_e64 s15, 0, v90
	s_delay_alu instid0(VALU_DEP_3) | instskip(NEXT) | instid1(VALU_DEP_3)
	v_add_nc_u32_e32 v211, v148, v91
	v_cmp_eq_u32_e32 vcc_lo, 0, v209
	s_and_b32 s16, s15, vcc_lo
	s_delay_alu instid0(SALU_CYCLE_1)
	s_and_saveexec_b32 s15, s16
	s_cbranch_execz .LBB1142_457
; %bb.456:                              ;   in Loop: Header=BB1142_393 Depth=2
	s_wait_dscnt 0x0
	v_bcnt_u32_b32 v90, v90, v208
	ds_store_b32 v211, v90 offset:1056
.LBB1142_457:                           ;   in Loop: Header=BB1142_393 Depth=2
	s_or_b32 exec_lo, exec_lo, s15
	v_cmp_gt_i64_e32 vcc_lo, 0, v[64:65]
	; wave barrier
	v_cndmask_b32_e64 v91, 0x7fffffff, 0, vcc_lo
	s_delay_alu instid0(VALU_DEP_1) | instskip(NEXT) | instid1(VALU_DEP_1)
	v_dual_ashrrev_i32 v90, 31, v65 :: v_dual_bitop2_b32 v65, v91, v65 bitop3:0x14
	v_not_b32_e32 v90, v90
	s_delay_alu instid0(VALU_DEP_1) | instskip(NEXT) | instid1(VALU_DEP_1)
	v_xor_b32_e32 v64, v90, v64
	v_cmp_ne_u64_e32 vcc_lo, s[42:43], v[64:65]
	v_cndmask_b32_e32 v91, 0x7fffffff, v65, vcc_lo
	v_cndmask_b32_e32 v90, -1, v64, vcc_lo
	s_delay_alu instid0(VALU_DEP_1) | instskip(NEXT) | instid1(VALU_DEP_1)
	v_lshrrev_b64 v[90:91], s54, v[90:91]
	v_bitop3_b32 v91, v90, 1, s59 bitop3:0x80
	v_and_b32_e32 v92, s59, v90
	s_delay_alu instid0(VALU_DEP_2) | instskip(NEXT) | instid1(VALU_DEP_1)
	v_add_co_u32 v90, s15, v91, -1
	v_cndmask_b32_e64 v91, 0, 1, s15
	s_delay_alu instid0(VALU_DEP_3) | instskip(SKIP_1) | instid1(VALU_DEP_3)
	v_dual_lshlrev_b32 v93, 30, v92 :: v_dual_lshlrev_b32 v95, 28, v92
	v_dual_lshlrev_b32 v94, 29, v92 :: v_dual_lshlrev_b32 v96, 27, v92
	v_cmp_ne_u32_e32 vcc_lo, 0, v91
	s_delay_alu instid0(VALU_DEP_3) | instskip(SKIP_1) | instid1(VALU_DEP_4)
	v_cmp_gt_i32_e64 s15, 0, v93
	v_not_b32_e32 v91, v93
	v_cmp_gt_i32_e64 s16, 0, v94
	v_not_b32_e32 v93, v94
	v_cmp_gt_i32_e64 s17, 0, v95
	v_not_b32_e32 v94, v95
	v_not_b32_e32 v95, v96
	s_delay_alu instid0(VALU_DEP_4) | instskip(NEXT) | instid1(VALU_DEP_2)
	v_dual_ashrrev_i32 v91, 31, v91 :: v_dual_ashrrev_i32 v93, 31, v93
	v_dual_ashrrev_i32 v94, 31, v94 :: v_dual_ashrrev_i32 v95, 31, v95
	v_dual_lshlrev_b32 v97, 26, v92 :: v_dual_lshlrev_b32 v210, 25, v92
	v_lshlrev_b32_e32 v212, 24, v92
	v_cmp_gt_i32_e64 s18, 0, v96
	v_xor_b32_e32 v91, s15, v91
	s_delay_alu instid0(VALU_DEP_4)
	v_not_b32_e32 v96, v97
	v_xor_b32_e32 v90, vcc_lo, v90
	v_cmp_gt_i32_e64 s19, 0, v97
	v_cmp_gt_i32_e64 s20, 0, v210
	v_not_b32_e32 v97, v210
	v_not_b32_e32 v210, v212
	v_dual_ashrrev_i32 v96, 31, v96 :: v_dual_bitop2_b32 v93, s16, v93 bitop3:0x14
	v_xor_b32_e32 v94, s17, v94
	v_bitop3_b32 v90, v90, v91, exec_lo bitop3:0x80
	v_cmp_gt_i32_e64 s21, 0, v212
	v_dual_ashrrev_i32 v91, 31, v97 :: v_dual_ashrrev_i32 v97, 31, v210
	v_xor_b32_e32 v95, s18, v95
	v_xor_b32_e32 v96, s19, v96
	v_bitop3_b32 v90, v90, v94, v93 bitop3:0x80
	v_mad_u32_u24 v93, v92, 36, v148
	v_xor_b32_e32 v91, s20, v91
	v_xor_b32_e32 v94, s21, v97
	s_delay_alu instid0(VALU_DEP_4) | instskip(SKIP_3) | instid1(VALU_DEP_2)
	v_bitop3_b32 v90, v90, v96, v95 bitop3:0x80
	ds_load_b32 v210, v93 offset:1056
	; wave barrier
	v_bitop3_b32 v90, v90, v94, v91 bitop3:0x80
	v_mul_u32_u24_e32 v91, 36, v92
	v_mbcnt_lo_u32_b32 v212, v90, 0
	v_cmp_ne_u32_e64 s15, 0, v90
	s_delay_alu instid0(VALU_DEP_3) | instskip(NEXT) | instid1(VALU_DEP_3)
	v_add_nc_u32_e32 v215, v148, v91
	v_cmp_eq_u32_e32 vcc_lo, 0, v212
	s_and_b32 s16, s15, vcc_lo
	s_delay_alu instid0(SALU_CYCLE_1)
	s_and_saveexec_b32 s15, s16
	s_cbranch_execz .LBB1142_459
; %bb.458:                              ;   in Loop: Header=BB1142_393 Depth=2
	s_wait_dscnt 0x0
	v_bcnt_u32_b32 v90, v90, v210
	ds_store_b32 v215, v90 offset:1056
.LBB1142_459:                           ;   in Loop: Header=BB1142_393 Depth=2
	s_or_b32 exec_lo, exec_lo, s15
	v_cmp_gt_i64_e32 vcc_lo, 0, v[66:67]
	; wave barrier
	v_cndmask_b32_e64 v91, 0x7fffffff, 0, vcc_lo
	s_delay_alu instid0(VALU_DEP_1) | instskip(NEXT) | instid1(VALU_DEP_1)
	v_dual_ashrrev_i32 v90, 31, v67 :: v_dual_bitop2_b32 v67, v91, v67 bitop3:0x14
	v_not_b32_e32 v90, v90
	s_delay_alu instid0(VALU_DEP_1) | instskip(NEXT) | instid1(VALU_DEP_1)
	v_xor_b32_e32 v66, v90, v66
	v_cmp_ne_u64_e32 vcc_lo, s[42:43], v[66:67]
	v_cndmask_b32_e32 v91, 0x7fffffff, v67, vcc_lo
	v_cndmask_b32_e32 v90, -1, v66, vcc_lo
	s_delay_alu instid0(VALU_DEP_1) | instskip(NEXT) | instid1(VALU_DEP_1)
	v_lshrrev_b64 v[90:91], s54, v[90:91]
	v_bitop3_b32 v91, v90, 1, s59 bitop3:0x80
	v_and_b32_e32 v92, s59, v90
	s_delay_alu instid0(VALU_DEP_2) | instskip(NEXT) | instid1(VALU_DEP_1)
	v_add_co_u32 v90, s15, v91, -1
	v_cndmask_b32_e64 v91, 0, 1, s15
	s_delay_alu instid0(VALU_DEP_3) | instskip(NEXT) | instid1(VALU_DEP_2)
	v_lshlrev_b32_e32 v93, 30, v92
	v_cmp_ne_u32_e32 vcc_lo, 0, v91
	s_delay_alu instid0(VALU_DEP_2) | instskip(SKIP_1) | instid1(VALU_DEP_2)
	v_not_b32_e32 v91, v93
	v_cmp_gt_i32_e64 s15, 0, v93
	v_dual_ashrrev_i32 v91, 31, v91 :: v_dual_lshlrev_b32 v94, 29, v92
	v_dual_lshlrev_b32 v95, 28, v92 :: v_dual_lshlrev_b32 v96, 27, v92
	v_dual_lshlrev_b32 v97, 26, v92 :: v_dual_lshlrev_b32 v213, 25, v92
	v_lshlrev_b32_e32 v214, 24, v92
	s_delay_alu instid0(VALU_DEP_4)
	v_cmp_gt_i32_e64 s16, 0, v94
	v_not_b32_e32 v93, v94
	v_not_b32_e32 v94, v95
	v_cmp_gt_i32_e64 s17, 0, v95
	v_cmp_gt_i32_e64 s18, 0, v96
	v_not_b32_e32 v95, v96
	v_not_b32_e32 v96, v97
	v_dual_ashrrev_i32 v93, 31, v93 :: v_dual_bitop2_b32 v90, vcc_lo, v90 bitop3:0x14
	v_dual_ashrrev_i32 v94, 31, v94 :: v_dual_bitop2_b32 v91, s15, v91 bitop3:0x14
	v_cmp_gt_i32_e64 s19, 0, v97
	v_cmp_gt_i32_e64 s20, 0, v213
	v_not_b32_e32 v97, v213
	v_not_b32_e32 v213, v214
	v_dual_ashrrev_i32 v95, 31, v95 :: v_dual_ashrrev_i32 v96, 31, v96
	v_xor_b32_e32 v93, s16, v93
	v_xor_b32_e32 v94, s17, v94
	v_bitop3_b32 v90, v90, v91, exec_lo bitop3:0x80
	v_cmp_gt_i32_e64 s21, 0, v214
	v_ashrrev_i32_e32 v91, 31, v97
	v_dual_ashrrev_i32 v97, 31, v213 :: v_dual_bitop2_b32 v95, s18, v95 bitop3:0x14
	v_xor_b32_e32 v96, s19, v96
	v_bitop3_b32 v90, v90, v94, v93 bitop3:0x80
	v_mad_u32_u24 v93, v92, 36, v148
	v_xor_b32_e32 v91, s20, v91
	v_xor_b32_e32 v94, s21, v97
	s_delay_alu instid0(VALU_DEP_4) | instskip(SKIP_3) | instid1(VALU_DEP_2)
	v_bitop3_b32 v90, v90, v96, v95 bitop3:0x80
	ds_load_b32 v213, v93 offset:1056
	; wave barrier
	v_bitop3_b32 v90, v90, v94, v91 bitop3:0x80
	v_mul_u32_u24_e32 v91, 36, v92
	v_mbcnt_lo_u32_b32 v214, v90, 0
	v_cmp_ne_u32_e64 s15, 0, v90
	s_delay_alu instid0(VALU_DEP_3) | instskip(NEXT) | instid1(VALU_DEP_3)
	v_add_nc_u32_e32 v216, v148, v91
	v_cmp_eq_u32_e32 vcc_lo, 0, v214
	s_and_b32 s16, s15, vcc_lo
	s_delay_alu instid0(SALU_CYCLE_1)
	s_and_saveexec_b32 s15, s16
	s_cbranch_execz .LBB1142_461
; %bb.460:                              ;   in Loop: Header=BB1142_393 Depth=2
	s_wait_dscnt 0x0
	v_bcnt_u32_b32 v90, v90, v213
	ds_store_b32 v216, v90 offset:1056
.LBB1142_461:                           ;   in Loop: Header=BB1142_393 Depth=2
	s_or_b32 exec_lo, exec_lo, s15
	; wave barrier
	s_wait_dscnt 0x0
	s_barrier_signal -1
	s_barrier_wait -1
	ds_load_2addr_b32 v[96:97], v168 offset1:1
	ds_load_2addr_b32 v[94:95], v169 offset1:1
	;; [unrolled: 1-line block ×4, first 2 shown]
	ds_load_b32 v217, v120 offset:1088
	s_wait_dscnt 0x3
	v_add3_u32 v218, v97, v96, v94
	s_wait_dscnt 0x2
	s_delay_alu instid0(VALU_DEP_1) | instskip(SKIP_1) | instid1(VALU_DEP_1)
	v_add3_u32 v218, v218, v95, v92
	s_wait_dscnt 0x1
	v_add3_u32 v218, v218, v93, v90
	s_wait_dscnt 0x0
	s_delay_alu instid0(VALU_DEP_1) | instskip(NEXT) | instid1(VALU_DEP_1)
	v_add3_u32 v217, v218, v91, v217
	v_mov_b32_dpp v218, v217 row_shr:1 row_mask:0xf bank_mask:0xf
	s_delay_alu instid0(VALU_DEP_1) | instskip(NEXT) | instid1(VALU_DEP_1)
	v_cndmask_b32_e64 v218, v218, 0, s7
	v_add_nc_u32_e32 v217, v218, v217
	s_delay_alu instid0(VALU_DEP_1) | instskip(NEXT) | instid1(VALU_DEP_1)
	v_mov_b32_dpp v218, v217 row_shr:2 row_mask:0xf bank_mask:0xf
	v_cndmask_b32_e64 v218, 0, v218, s8
	s_delay_alu instid0(VALU_DEP_1) | instskip(NEXT) | instid1(VALU_DEP_1)
	v_add_nc_u32_e32 v217, v217, v218
	v_mov_b32_dpp v218, v217 row_shr:4 row_mask:0xf bank_mask:0xf
	s_delay_alu instid0(VALU_DEP_1) | instskip(NEXT) | instid1(VALU_DEP_1)
	v_cndmask_b32_e64 v218, 0, v218, s9
	v_add_nc_u32_e32 v217, v217, v218
	s_delay_alu instid0(VALU_DEP_1) | instskip(NEXT) | instid1(VALU_DEP_1)
	v_mov_b32_dpp v218, v217 row_shr:8 row_mask:0xf bank_mask:0xf
	v_cndmask_b32_e64 v218, 0, v218, s10
	s_delay_alu instid0(VALU_DEP_1) | instskip(SKIP_3) | instid1(VALU_DEP_1)
	v_add_nc_u32_e32 v217, v217, v218
	ds_swizzle_b32 v218, v217 offset:swizzle(BROADCAST,32,15)
	s_wait_dscnt 0x0
	v_cndmask_b32_e64 v218, v218, 0, s11
	v_add_nc_u32_e32 v217, v217, v218
	s_and_saveexec_b32 s15, s1
; %bb.462:                              ;   in Loop: Header=BB1142_393 Depth=2
	ds_store_b32 v114, v217 offset:1024
; %bb.463:                              ;   in Loop: Header=BB1142_393 Depth=2
	s_or_b32 exec_lo, exec_lo, s15
	s_wait_dscnt 0x0
	s_barrier_signal -1
	s_barrier_wait -1
	s_and_saveexec_b32 s15, s4
	s_cbranch_execz .LBB1142_465
; %bb.464:                              ;   in Loop: Header=BB1142_393 Depth=2
	ds_load_b32 v218, v122 offset:1024
	s_wait_dscnt 0x0
	v_mov_b32_dpp v219, v218 row_shr:1 row_mask:0xf bank_mask:0xf
	s_delay_alu instid0(VALU_DEP_1) | instskip(NEXT) | instid1(VALU_DEP_1)
	v_cndmask_b32_e64 v219, v219, 0, s12
	v_add_nc_u32_e32 v218, v219, v218
	s_delay_alu instid0(VALU_DEP_1) | instskip(NEXT) | instid1(VALU_DEP_1)
	v_mov_b32_dpp v219, v218 row_shr:2 row_mask:0xf bank_mask:0xf
	v_cndmask_b32_e64 v219, 0, v219, s13
	s_delay_alu instid0(VALU_DEP_1) | instskip(NEXT) | instid1(VALU_DEP_1)
	v_add_nc_u32_e32 v218, v218, v219
	v_mov_b32_dpp v219, v218 row_shr:4 row_mask:0xf bank_mask:0xf
	s_delay_alu instid0(VALU_DEP_1) | instskip(NEXT) | instid1(VALU_DEP_1)
	v_cndmask_b32_e64 v219, 0, v219, s14
	v_add_nc_u32_e32 v218, v218, v219
	ds_store_b32 v122, v218 offset:1024
.LBB1142_465:                           ;   in Loop: Header=BB1142_393 Depth=2
	s_or_b32 exec_lo, exec_lo, s15
	v_mov_b32_e32 v218, 0
	s_wait_dscnt 0x0
	s_barrier_signal -1
	s_barrier_wait -1
	s_and_saveexec_b32 s15, s5
; %bb.466:                              ;   in Loop: Header=BB1142_393 Depth=2
	ds_load_b32 v218, v114 offset:1020
; %bb.467:                              ;   in Loop: Header=BB1142_393 Depth=2
	s_or_b32 exec_lo, exec_lo, s15
	s_wait_dscnt 0x0
	v_add_nc_u32_e32 v217, v218, v217
	ds_bpermute_b32 v217, v147, v217
	s_wait_dscnt 0x0
	v_cndmask_b32_e64 v217, v217, v218, s6
	s_delay_alu instid0(VALU_DEP_1) | instskip(NEXT) | instid1(VALU_DEP_1)
	v_cndmask_b32_e64 v217, v217, 0, s2
	v_add_nc_u32_e32 v96, v217, v96
	s_delay_alu instid0(VALU_DEP_1) | instskip(NEXT) | instid1(VALU_DEP_1)
	v_add_nc_u32_e32 v97, v96, v97
	v_add_nc_u32_e32 v94, v97, v94
	s_delay_alu instid0(VALU_DEP_1) | instskip(NEXT) | instid1(VALU_DEP_1)
	v_add_nc_u32_e32 v95, v94, v95
	;; [unrolled: 3-line block ×3, first 2 shown]
	v_add_nc_u32_e32 v90, v93, v90
	s_delay_alu instid0(VALU_DEP_1)
	v_add_nc_u32_e32 v91, v90, v91
	ds_store_2addr_b32 v167, v93, v90 offset1:1
	ds_store_2addr_b32 v168, v217, v96 offset1:1
	;; [unrolled: 1-line block ×4, first 2 shown]
	ds_store_b32 v120, v91 offset:1088
	s_wait_dscnt 0x0
	s_barrier_signal -1
	s_barrier_wait -1
	ds_load_b32 v91, v171 offset:1056
	ds_load_b32 v96, v174 offset:1056
	;; [unrolled: 1-line block ×17, first 2 shown]
	v_mov_b32_e32 v90, 0x1000
	s_and_saveexec_b32 s15, s3
; %bb.468:                              ;   in Loop: Header=BB1142_393 Depth=2
	ds_load_b32 v90, v120 offset:1092
; %bb.469:                              ;   in Loop: Header=BB1142_393 Depth=2
	s_or_b32 exec_lo, exec_lo, s15
	s_wait_dscnt 0x0
	s_barrier_signal -1
	s_barrier_wait -1
	s_and_saveexec_b32 s15, s0
	s_cbranch_execz .LBB1142_471
; %bb.470:                              ;   in Loop: Header=BB1142_393 Depth=2
	ds_load_b32 v189, v3
	s_wait_dscnt 0x0
	v_sub_nc_u32_e32 v186, v189, v186
	ds_store_b32 v3, v186
.LBB1142_471:                           ;   in Loop: Header=BB1142_393 Depth=2
	s_or_b32 exec_lo, exec_lo, s15
	v_dual_lshlrev_b32 v166, 3, v166 :: v_dual_lshlrev_b32 v173, 3, v173
	v_lshlrev_b32_e32 v172, 3, v172
	v_dual_lshlrev_b32 v96, 3, v96 :: v_dual_lshlrev_b32 v95, 3, v95
	s_delay_alu instid0(VALU_DEP_3)
	v_lshl_add_u32 v91, v91, 3, v166
	v_dual_lshlrev_b32 v176, 3, v176 :: v_dual_lshlrev_b32 v166, 3, v175
	v_dual_lshlrev_b32 v175, 3, v179 :: v_dual_lshlrev_b32 v178, 3, v178
	v_lshlrev_b32_e32 v179, 3, v181
	ds_store_b64 v91, v[58:59] offset:1024
	v_dual_lshlrev_b32 v58, 3, v94 :: v_dual_lshlrev_b32 v181, 3, v93
	v_dual_lshlrev_b32 v59, 3, v182 :: v_dual_lshlrev_b32 v182, 3, v185
	v_lshlrev_b32_e32 v184, 3, v184
	v_lshlrev_b32_e32 v185, 3, v92
	v_add3_u32 v92, v173, v172, v96
	v_add3_u32 v93, v176, v166, v95
	;; [unrolled: 1-line block ×4, first 2 shown]
	v_lshlrev_b32_e32 v59, 3, v187
	v_add3_u32 v96, v182, v184, v185
	ds_store_b64 v92, v[60:61] offset:1024
	ds_store_b64 v93, v[62:63] offset:1024
	;; [unrolled: 1-line block ×5, first 2 shown]
	v_dual_lshlrev_b32 v58, 3, v188 :: v_dual_lshlrev_b32 v61, 3, v191
	v_dual_lshlrev_b32 v60, 3, v183 :: v_dual_lshlrev_b32 v62, 3, v190
	;; [unrolled: 1-line block ×3, first 2 shown]
	v_lshlrev_b32_e32 v71, 3, v193
	v_dual_lshlrev_b32 v74, 3, v177 :: v_dual_lshlrev_b32 v78, 3, v196
	v_dual_lshlrev_b32 v75, 3, v197 :: v_dual_lshlrev_b32 v79, 3, v174
	;; [unrolled: 1-line block ×3, first 2 shown]
	v_lshlrev_b32_e32 v171, 3, v171
	v_add3_u32 v60, v58, v59, v60
	v_add3_u32 v61, v61, v62, v63
	;; [unrolled: 1-line block ×4, first 2 shown]
	v_lshlrev_b32_e32 v59, 3, v202
	v_add3_u32 v70, v166, v172, v171
	ds_store_b64 v60, v[82:83] offset:1024
	ds_store_b64 v61, v[86:87] offset:1024
	;; [unrolled: 1-line block ×5, first 2 shown]
	v_dual_lshlrev_b32 v58, 3, v203 :: v_dual_lshlrev_b32 v71, 3, v170
	v_dual_lshlrev_b32 v74, 3, v206 :: v_dual_lshlrev_b32 v75, 3, v205
	;; [unrolled: 1-line block ×6, first 2 shown]
	v_lshlrev_b32_e32 v86, 3, v213
	v_lshlrev_b32_e32 v87, 3, v97
	v_add3_u32 v71, v58, v59, v71
	v_add3_u32 v74, v74, v75, v78
	;; [unrolled: 1-line block ×5, first 2 shown]
	v_cmp_lt_u32_e32 vcc_lo, v2, v165
	ds_store_b64 v71, v[76:77] offset:1024
	ds_store_b64 v74, v[72:73] offset:1024
	;; [unrolled: 1-line block ×5, first 2 shown]
	s_wait_dscnt 0x0
	s_barrier_signal -1
	s_barrier_wait -1
	s_and_saveexec_b32 s16, vcc_lo
	s_cbranch_execnz .LBB1142_540
; %bb.472:                              ;   in Loop: Header=BB1142_393 Depth=2
	s_or_b32 exec_lo, exec_lo, s16
	v_cmp_lt_u32_e64 s15, v98, v165
	s_and_saveexec_b32 s17, s15
	s_cbranch_execnz .LBB1142_541
.LBB1142_473:                           ;   in Loop: Header=BB1142_393 Depth=2
	s_or_b32 exec_lo, exec_lo, s17
	v_cmp_lt_u32_e64 s16, v99, v165
	s_and_saveexec_b32 s18, s16
	s_cbranch_execnz .LBB1142_542
.LBB1142_474:                           ;   in Loop: Header=BB1142_393 Depth=2
	s_or_b32 exec_lo, exec_lo, s18
	v_cmp_lt_u32_e64 s17, v100, v165
	s_and_saveexec_b32 s19, s17
	s_cbranch_execnz .LBB1142_543
.LBB1142_475:                           ;   in Loop: Header=BB1142_393 Depth=2
	s_or_b32 exec_lo, exec_lo, s19
	v_cmp_lt_u32_e64 s18, v101, v165
	s_and_saveexec_b32 s20, s18
	s_cbranch_execnz .LBB1142_544
.LBB1142_476:                           ;   in Loop: Header=BB1142_393 Depth=2
	s_or_b32 exec_lo, exec_lo, s20
	v_cmp_lt_u32_e64 s19, v102, v165
	s_and_saveexec_b32 s21, s19
	s_cbranch_execnz .LBB1142_545
.LBB1142_477:                           ;   in Loop: Header=BB1142_393 Depth=2
	s_or_b32 exec_lo, exec_lo, s21
	v_cmp_lt_u32_e64 s20, v103, v165
	s_and_saveexec_b32 s22, s20
	s_cbranch_execnz .LBB1142_546
.LBB1142_478:                           ;   in Loop: Header=BB1142_393 Depth=2
	s_or_b32 exec_lo, exec_lo, s22
	v_cmp_lt_u32_e64 s21, v104, v165
	s_and_saveexec_b32 s23, s21
	s_cbranch_execnz .LBB1142_547
.LBB1142_479:                           ;   in Loop: Header=BB1142_393 Depth=2
	s_or_b32 exec_lo, exec_lo, s23
	v_cmp_lt_u32_e64 s22, v105, v165
	s_and_saveexec_b32 s24, s22
	s_cbranch_execnz .LBB1142_548
.LBB1142_480:                           ;   in Loop: Header=BB1142_393 Depth=2
	s_or_b32 exec_lo, exec_lo, s24
	v_cmp_lt_u32_e64 s23, v106, v165
	s_and_saveexec_b32 s25, s23
	s_cbranch_execnz .LBB1142_549
.LBB1142_481:                           ;   in Loop: Header=BB1142_393 Depth=2
	s_or_b32 exec_lo, exec_lo, s25
	v_cmp_lt_u32_e64 s24, v107, v165
	s_and_saveexec_b32 s26, s24
	s_cbranch_execnz .LBB1142_550
.LBB1142_482:                           ;   in Loop: Header=BB1142_393 Depth=2
	s_or_b32 exec_lo, exec_lo, s26
	v_cmp_lt_u32_e64 s25, v108, v165
	s_and_saveexec_b32 s27, s25
	s_cbranch_execnz .LBB1142_551
.LBB1142_483:                           ;   in Loop: Header=BB1142_393 Depth=2
	s_or_b32 exec_lo, exec_lo, s27
	v_cmp_lt_u32_e64 s26, v109, v165
	s_and_saveexec_b32 s28, s26
	s_cbranch_execnz .LBB1142_552
.LBB1142_484:                           ;   in Loop: Header=BB1142_393 Depth=2
	s_or_b32 exec_lo, exec_lo, s28
	v_cmp_lt_u32_e64 s27, v110, v165
	s_and_saveexec_b32 s29, s27
	s_cbranch_execnz .LBB1142_553
.LBB1142_485:                           ;   in Loop: Header=BB1142_393 Depth=2
	s_or_b32 exec_lo, exec_lo, s29
	v_cmp_lt_u32_e64 s28, v111, v165
	s_and_saveexec_b32 s30, s28
	s_cbranch_execnz .LBB1142_554
.LBB1142_486:                           ;   in Loop: Header=BB1142_393 Depth=2
	s_or_b32 exec_lo, exec_lo, s30
	v_cmp_lt_u32_e64 s29, v112, v165
	s_and_saveexec_b32 s62, s29
	s_cbranch_execz .LBB1142_488
.LBB1142_487:                           ;   in Loop: Header=BB1142_393 Depth=2
	ds_load_b64 v[58:59], v123 offset:31744
	s_wait_dscnt 0x0
	v_cmp_ne_u64_e64 s30, s[42:43], v[58:59]
	s_delay_alu instid0(VALU_DEP_1) | instskip(SKIP_2) | instid1(VALU_DEP_2)
	v_cndmask_b32_e64 v65, 0x7fffffff, v59, s30
	v_cndmask_b32_e64 v64, -1, v58, s30
	v_cmp_gt_i64_e64 s30, 0, v[58:59]
	v_lshrrev_b64 v[64:65], s54, v[64:65]
	v_ashrrev_i32_e32 v65, 31, v59
	s_delay_alu instid0(VALU_DEP_3) | instskip(NEXT) | instid1(VALU_DEP_2)
	v_cndmask_b32_e64 v66, 0x7fffffff, 0, s30
	v_not_b32_e32 v65, v65
	s_delay_alu instid0(VALU_DEP_4) | instskip(NEXT) | instid1(VALU_DEP_1)
	v_and_b32_e32 v64, s59, v64
	v_dual_lshlrev_b32 v64, 2, v64 :: v_dual_bitop2_b32 v59, v66, v59 bitop3:0x14
	ds_load_b32 v64, v64
	s_wait_dscnt 0x0
	v_dual_add_nc_u32 v64, v64, v112 :: v_dual_bitop2_b32 v58, v65, v58 bitop3:0x14
	global_store_b64 v64, v[58:59], s[40:41] scale_offset
.LBB1142_488:                           ;   in Loop: Header=BB1142_393 Depth=2
	s_wait_xcnt 0x0
	s_or_b32 exec_lo, exec_lo, s62
	v_lshl_add_u64 v[58:59], s[34:35], 3, v[22:23]
	v_cmp_lt_u32_e64 s30, v129, v165
	s_and_saveexec_b32 s34, s30
	s_delay_alu instid0(SALU_CYCLE_1)
	s_xor_b32 s30, exec_lo, s34
	s_cbranch_execnz .LBB1142_555
; %bb.489:                              ;   in Loop: Header=BB1142_393 Depth=2
	s_or_b32 exec_lo, exec_lo, s30
	s_delay_alu instid0(SALU_CYCLE_1)
	s_mov_b32 s34, exec_lo
	v_cmpx_lt_u32_e64 v132, v165
	s_cbranch_execnz .LBB1142_556
.LBB1142_490:                           ;   in Loop: Header=BB1142_393 Depth=2
	s_or_b32 exec_lo, exec_lo, s34
	s_delay_alu instid0(SALU_CYCLE_1)
	s_mov_b32 s34, exec_lo
	v_cmpx_lt_u32_e64 v133, v165
	s_cbranch_execnz .LBB1142_557
.LBB1142_491:                           ;   in Loop: Header=BB1142_393 Depth=2
	s_or_b32 exec_lo, exec_lo, s34
	s_delay_alu instid0(SALU_CYCLE_1)
	s_mov_b32 s34, exec_lo
	v_cmpx_lt_u32_e64 v134, v165
	s_cbranch_execnz .LBB1142_558
.LBB1142_492:                           ;   in Loop: Header=BB1142_393 Depth=2
	s_or_b32 exec_lo, exec_lo, s34
	s_delay_alu instid0(SALU_CYCLE_1)
	s_mov_b32 s34, exec_lo
	v_cmpx_lt_u32_e64 v135, v165
	s_cbranch_execnz .LBB1142_559
.LBB1142_493:                           ;   in Loop: Header=BB1142_393 Depth=2
	s_or_b32 exec_lo, exec_lo, s34
	s_delay_alu instid0(SALU_CYCLE_1)
	s_mov_b32 s34, exec_lo
	v_cmpx_lt_u32_e64 v136, v165
	s_cbranch_execnz .LBB1142_560
.LBB1142_494:                           ;   in Loop: Header=BB1142_393 Depth=2
	s_or_b32 exec_lo, exec_lo, s34
	s_delay_alu instid0(SALU_CYCLE_1)
	s_mov_b32 s34, exec_lo
	v_cmpx_lt_u32_e64 v137, v165
	s_cbranch_execnz .LBB1142_561
.LBB1142_495:                           ;   in Loop: Header=BB1142_393 Depth=2
	s_or_b32 exec_lo, exec_lo, s34
	s_delay_alu instid0(SALU_CYCLE_1)
	s_mov_b32 s34, exec_lo
	v_cmpx_lt_u32_e64 v138, v165
	s_cbranch_execnz .LBB1142_562
.LBB1142_496:                           ;   in Loop: Header=BB1142_393 Depth=2
	s_or_b32 exec_lo, exec_lo, s34
	s_delay_alu instid0(SALU_CYCLE_1)
	s_mov_b32 s34, exec_lo
	v_cmpx_lt_u32_e64 v139, v165
	s_cbranch_execnz .LBB1142_563
.LBB1142_497:                           ;   in Loop: Header=BB1142_393 Depth=2
	s_or_b32 exec_lo, exec_lo, s34
	s_delay_alu instid0(SALU_CYCLE_1)
	s_mov_b32 s34, exec_lo
	v_cmpx_lt_u32_e64 v140, v165
	s_cbranch_execnz .LBB1142_564
.LBB1142_498:                           ;   in Loop: Header=BB1142_393 Depth=2
	s_or_b32 exec_lo, exec_lo, s34
	s_delay_alu instid0(SALU_CYCLE_1)
	s_mov_b32 s34, exec_lo
	v_cmpx_lt_u32_e64 v141, v165
	s_cbranch_execnz .LBB1142_565
.LBB1142_499:                           ;   in Loop: Header=BB1142_393 Depth=2
	s_or_b32 exec_lo, exec_lo, s34
	s_delay_alu instid0(SALU_CYCLE_1)
	s_mov_b32 s34, exec_lo
	v_cmpx_lt_u32_e64 v142, v165
	s_cbranch_execnz .LBB1142_566
.LBB1142_500:                           ;   in Loop: Header=BB1142_393 Depth=2
	s_or_b32 exec_lo, exec_lo, s34
	s_delay_alu instid0(SALU_CYCLE_1)
	s_mov_b32 s34, exec_lo
	v_cmpx_lt_u32_e64 v143, v165
	s_cbranch_execnz .LBB1142_567
.LBB1142_501:                           ;   in Loop: Header=BB1142_393 Depth=2
	s_or_b32 exec_lo, exec_lo, s34
	s_delay_alu instid0(SALU_CYCLE_1)
	s_mov_b32 s34, exec_lo
	v_cmpx_lt_u32_e64 v144, v165
	s_cbranch_execnz .LBB1142_568
.LBB1142_502:                           ;   in Loop: Header=BB1142_393 Depth=2
	s_or_b32 exec_lo, exec_lo, s34
	s_delay_alu instid0(SALU_CYCLE_1)
	s_mov_b32 s34, exec_lo
	v_cmpx_lt_u32_e64 v145, v165
	s_cbranch_execnz .LBB1142_569
.LBB1142_503:                           ;   in Loop: Header=BB1142_393 Depth=2
	s_or_b32 exec_lo, exec_lo, s34
	s_delay_alu instid0(SALU_CYCLE_1)
	s_mov_b32 s34, exec_lo
	v_cmpx_lt_u32_e64 v146, v165
	s_cbranch_execnz .LBB1142_570
.LBB1142_504:                           ;   in Loop: Header=BB1142_393 Depth=2
	s_or_b32 exec_lo, exec_lo, s34
	s_and_saveexec_b32 s34, vcc_lo
	s_cbranch_execnz .LBB1142_571
.LBB1142_505:                           ;   in Loop: Header=BB1142_393 Depth=2
	s_or_b32 exec_lo, exec_lo, s34
	s_and_saveexec_b32 s34, s15
	s_cbranch_execnz .LBB1142_572
.LBB1142_506:                           ;   in Loop: Header=BB1142_393 Depth=2
	s_or_b32 exec_lo, exec_lo, s34
	s_and_saveexec_b32 s34, s16
	s_cbranch_execnz .LBB1142_573
.LBB1142_507:                           ;   in Loop: Header=BB1142_393 Depth=2
	s_or_b32 exec_lo, exec_lo, s34
	s_and_saveexec_b32 s34, s17
	s_cbranch_execnz .LBB1142_574
.LBB1142_508:                           ;   in Loop: Header=BB1142_393 Depth=2
	s_or_b32 exec_lo, exec_lo, s34
	s_and_saveexec_b32 s34, s18
	s_cbranch_execnz .LBB1142_575
.LBB1142_509:                           ;   in Loop: Header=BB1142_393 Depth=2
	s_or_b32 exec_lo, exec_lo, s34
	s_and_saveexec_b32 s34, s19
	s_cbranch_execnz .LBB1142_576
.LBB1142_510:                           ;   in Loop: Header=BB1142_393 Depth=2
	s_or_b32 exec_lo, exec_lo, s34
	s_and_saveexec_b32 s34, s20
	s_cbranch_execnz .LBB1142_577
.LBB1142_511:                           ;   in Loop: Header=BB1142_393 Depth=2
	s_or_b32 exec_lo, exec_lo, s34
	s_and_saveexec_b32 s34, s21
	s_cbranch_execnz .LBB1142_578
.LBB1142_512:                           ;   in Loop: Header=BB1142_393 Depth=2
	s_or_b32 exec_lo, exec_lo, s34
	s_and_saveexec_b32 s34, s22
	s_cbranch_execnz .LBB1142_579
.LBB1142_513:                           ;   in Loop: Header=BB1142_393 Depth=2
	s_or_b32 exec_lo, exec_lo, s34
	s_and_saveexec_b32 s34, s23
	s_cbranch_execnz .LBB1142_580
.LBB1142_514:                           ;   in Loop: Header=BB1142_393 Depth=2
	s_or_b32 exec_lo, exec_lo, s34
	s_and_saveexec_b32 s34, s24
	s_cbranch_execnz .LBB1142_581
.LBB1142_515:                           ;   in Loop: Header=BB1142_393 Depth=2
	s_or_b32 exec_lo, exec_lo, s34
	s_and_saveexec_b32 s34, s25
	s_cbranch_execnz .LBB1142_582
.LBB1142_516:                           ;   in Loop: Header=BB1142_393 Depth=2
	s_or_b32 exec_lo, exec_lo, s34
	s_and_saveexec_b32 s34, s26
	s_cbranch_execnz .LBB1142_583
.LBB1142_517:                           ;   in Loop: Header=BB1142_393 Depth=2
	s_or_b32 exec_lo, exec_lo, s34
	s_and_saveexec_b32 s34, s27
	s_cbranch_execnz .LBB1142_584
.LBB1142_518:                           ;   in Loop: Header=BB1142_393 Depth=2
	s_or_b32 exec_lo, exec_lo, s34
	s_and_saveexec_b32 s34, s28
	s_cbranch_execnz .LBB1142_585
.LBB1142_519:                           ;   in Loop: Header=BB1142_393 Depth=2
	s_or_b32 exec_lo, exec_lo, s34
	s_and_saveexec_b32 s34, s29
	s_cbranch_execz .LBB1142_521
.LBB1142_520:                           ;   in Loop: Header=BB1142_393 Depth=2
	ds_load_b64 v[58:59], v123 offset:31744
	s_wait_dscnt 0x0
	v_cmp_ne_u64_e64 s30, s[42:43], v[58:59]
	s_delay_alu instid0(VALU_DEP_1) | instskip(SKIP_1) | instid1(VALU_DEP_1)
	v_cndmask_b32_e64 v59, 0x7fffffff, v59, s30
	v_cndmask_b32_e64 v58, -1, v58, s30
	v_lshrrev_b64 v[58:59], s54, v[58:59]
	s_delay_alu instid0(VALU_DEP_1)
	v_and_b32_e32 v149, s59, v58
.LBB1142_521:                           ;   in Loop: Header=BB1142_393 Depth=2
	s_or_b32 exec_lo, exec_lo, s34
	s_wait_loadcnt 0x0
	s_wait_storecnt 0x0
	s_barrier_signal -1
	s_barrier_wait -1
	ds_store_b64 v91, v[56:57] offset:1024
	ds_store_b64 v92, v[54:55] offset:1024
	;; [unrolled: 1-line block ×16, first 2 shown]
	s_wait_dscnt 0x0
	s_barrier_signal -1
	s_barrier_wait -1
	s_and_saveexec_b32 s30, vcc_lo
	s_cbranch_execnz .LBB1142_586
; %bb.522:                              ;   in Loop: Header=BB1142_393 Depth=2
	s_or_b32 exec_lo, exec_lo, s30
	s_and_saveexec_b32 s30, s15
	s_cbranch_execnz .LBB1142_587
.LBB1142_523:                           ;   in Loop: Header=BB1142_393 Depth=2
	s_or_b32 exec_lo, exec_lo, s30
	s_and_saveexec_b32 s15, s16
	s_cbranch_execnz .LBB1142_588
.LBB1142_524:                           ;   in Loop: Header=BB1142_393 Depth=2
	s_or_b32 exec_lo, exec_lo, s15
	s_and_saveexec_b32 s15, s17
	s_cbranch_execnz .LBB1142_589
.LBB1142_525:                           ;   in Loop: Header=BB1142_393 Depth=2
	s_or_b32 exec_lo, exec_lo, s15
	s_and_saveexec_b32 s15, s18
	s_cbranch_execnz .LBB1142_590
.LBB1142_526:                           ;   in Loop: Header=BB1142_393 Depth=2
	s_or_b32 exec_lo, exec_lo, s15
	s_and_saveexec_b32 s15, s19
	s_cbranch_execnz .LBB1142_591
.LBB1142_527:                           ;   in Loop: Header=BB1142_393 Depth=2
	s_or_b32 exec_lo, exec_lo, s15
	s_and_saveexec_b32 s15, s20
	s_cbranch_execnz .LBB1142_592
.LBB1142_528:                           ;   in Loop: Header=BB1142_393 Depth=2
	s_or_b32 exec_lo, exec_lo, s15
	s_and_saveexec_b32 s15, s21
	s_cbranch_execnz .LBB1142_593
.LBB1142_529:                           ;   in Loop: Header=BB1142_393 Depth=2
	s_or_b32 exec_lo, exec_lo, s15
	s_and_saveexec_b32 s15, s22
	s_cbranch_execnz .LBB1142_594
.LBB1142_530:                           ;   in Loop: Header=BB1142_393 Depth=2
	s_or_b32 exec_lo, exec_lo, s15
	s_and_saveexec_b32 s15, s23
	s_cbranch_execnz .LBB1142_595
.LBB1142_531:                           ;   in Loop: Header=BB1142_393 Depth=2
	s_or_b32 exec_lo, exec_lo, s15
	s_and_saveexec_b32 s15, s24
	s_cbranch_execnz .LBB1142_596
.LBB1142_532:                           ;   in Loop: Header=BB1142_393 Depth=2
	s_or_b32 exec_lo, exec_lo, s15
	s_and_saveexec_b32 s15, s25
	s_cbranch_execnz .LBB1142_597
.LBB1142_533:                           ;   in Loop: Header=BB1142_393 Depth=2
	s_or_b32 exec_lo, exec_lo, s15
	s_and_saveexec_b32 s15, s26
	s_cbranch_execnz .LBB1142_598
.LBB1142_534:                           ;   in Loop: Header=BB1142_393 Depth=2
	s_or_b32 exec_lo, exec_lo, s15
	s_and_saveexec_b32 s15, s27
	s_cbranch_execnz .LBB1142_599
.LBB1142_535:                           ;   in Loop: Header=BB1142_393 Depth=2
	s_or_b32 exec_lo, exec_lo, s15
	s_and_saveexec_b32 s15, s28
	s_cbranch_execnz .LBB1142_600
.LBB1142_536:                           ;   in Loop: Header=BB1142_393 Depth=2
	s_or_b32 exec_lo, exec_lo, s15
	s_and_saveexec_b32 s15, s29
	s_cbranch_execz .LBB1142_538
.LBB1142_537:                           ;   in Loop: Header=BB1142_393 Depth=2
	v_lshlrev_b32_e32 v58, 2, v149
	ds_load_b32 v60, v58
	ds_load_b64 v[58:59], v123 offset:31744
	s_wait_dscnt 0x1
	v_add_nc_u32_e32 v60, v60, v112
	s_wait_dscnt 0x0
	global_store_b64 v60, v[58:59], s[46:47] scale_offset
.LBB1142_538:                           ;   in Loop: Header=BB1142_393 Depth=2
	s_wait_xcnt 0x0
	s_or_b32 exec_lo, exec_lo, s15
	s_wait_storecnt 0x0
	s_barrier_signal -1
	s_barrier_wait -1
	s_and_saveexec_b32 s15, s0
	s_cbranch_execz .LBB1142_392
; %bb.539:                              ;   in Loop: Header=BB1142_393 Depth=2
	ds_load_b32 v58, v3
	s_wait_dscnt 0x0
	v_add_nc_u32_e32 v58, v58, v90
	ds_store_b32 v3, v58
	s_branch .LBB1142_392
.LBB1142_540:                           ;   in Loop: Header=BB1142_393 Depth=2
	ds_load_b64 v[58:59], v123 offset:1024
	s_wait_dscnt 0x0
	v_cmp_ne_u64_e64 s15, s[42:43], v[58:59]
	s_delay_alu instid0(VALU_DEP_1) | instskip(SKIP_2) | instid1(VALU_DEP_2)
	v_cndmask_b32_e64 v65, 0x7fffffff, v59, s15
	v_cndmask_b32_e64 v64, -1, v58, s15
	v_cmp_gt_i64_e64 s15, 0, v[58:59]
	v_lshrrev_b64 v[64:65], s54, v[64:65]
	v_ashrrev_i32_e32 v65, 31, v59
	s_delay_alu instid0(VALU_DEP_3) | instskip(NEXT) | instid1(VALU_DEP_2)
	v_cndmask_b32_e64 v66, 0x7fffffff, 0, s15
	v_not_b32_e32 v65, v65
	s_delay_alu instid0(VALU_DEP_4) | instskip(NEXT) | instid1(VALU_DEP_3)
	v_and_b32_e32 v64, s59, v64
	v_xor_b32_e32 v59, v66, v59
	s_delay_alu instid0(VALU_DEP_2)
	v_dual_lshlrev_b32 v64, 2, v64 :: v_dual_bitop2_b32 v58, v65, v58 bitop3:0x14
	ds_load_b32 v64, v64
	s_wait_dscnt 0x0
	v_add_nc_u32_e32 v64, v64, v2
	global_store_b64 v64, v[58:59], s[40:41] scale_offset
	s_wait_xcnt 0x0
	s_or_b32 exec_lo, exec_lo, s16
	v_cmp_lt_u32_e64 s15, v98, v165
	s_and_saveexec_b32 s17, s15
	s_cbranch_execz .LBB1142_473
.LBB1142_541:                           ;   in Loop: Header=BB1142_393 Depth=2
	ds_load_b64 v[58:59], v123 offset:3072
	s_wait_dscnt 0x0
	v_cmp_ne_u64_e64 s16, s[42:43], v[58:59]
	s_delay_alu instid0(VALU_DEP_1) | instskip(SKIP_2) | instid1(VALU_DEP_2)
	v_cndmask_b32_e64 v65, 0x7fffffff, v59, s16
	v_cndmask_b32_e64 v64, -1, v58, s16
	v_cmp_gt_i64_e64 s16, 0, v[58:59]
	v_lshrrev_b64 v[64:65], s54, v[64:65]
	v_ashrrev_i32_e32 v65, 31, v59
	s_delay_alu instid0(VALU_DEP_3) | instskip(NEXT) | instid1(VALU_DEP_2)
	v_cndmask_b32_e64 v66, 0x7fffffff, 0, s16
	v_not_b32_e32 v65, v65
	s_delay_alu instid0(VALU_DEP_4) | instskip(NEXT) | instid1(VALU_DEP_3)
	v_and_b32_e32 v64, s59, v64
	v_xor_b32_e32 v59, v66, v59
	s_delay_alu instid0(VALU_DEP_2)
	v_dual_lshlrev_b32 v64, 2, v64 :: v_dual_bitop2_b32 v58, v65, v58 bitop3:0x14
	ds_load_b32 v64, v64
	s_wait_dscnt 0x0
	v_add_nc_u32_e32 v64, v64, v98
	global_store_b64 v64, v[58:59], s[40:41] scale_offset
	s_wait_xcnt 0x0
	s_or_b32 exec_lo, exec_lo, s17
	v_cmp_lt_u32_e64 s16, v99, v165
	s_and_saveexec_b32 s18, s16
	s_cbranch_execz .LBB1142_474
.LBB1142_542:                           ;   in Loop: Header=BB1142_393 Depth=2
	ds_load_b64 v[58:59], v123 offset:5120
	s_wait_dscnt 0x0
	v_cmp_ne_u64_e64 s17, s[42:43], v[58:59]
	s_delay_alu instid0(VALU_DEP_1) | instskip(SKIP_2) | instid1(VALU_DEP_2)
	v_cndmask_b32_e64 v65, 0x7fffffff, v59, s17
	v_cndmask_b32_e64 v64, -1, v58, s17
	v_cmp_gt_i64_e64 s17, 0, v[58:59]
	v_lshrrev_b64 v[64:65], s54, v[64:65]
	v_ashrrev_i32_e32 v65, 31, v59
	s_delay_alu instid0(VALU_DEP_3) | instskip(NEXT) | instid1(VALU_DEP_2)
	v_cndmask_b32_e64 v66, 0x7fffffff, 0, s17
	v_not_b32_e32 v65, v65
	s_delay_alu instid0(VALU_DEP_4) | instskip(NEXT) | instid1(VALU_DEP_1)
	v_and_b32_e32 v64, s59, v64
	v_dual_lshlrev_b32 v64, 2, v64 :: v_dual_bitop2_b32 v59, v66, v59 bitop3:0x14
	ds_load_b32 v64, v64
	s_wait_dscnt 0x0
	v_dual_add_nc_u32 v64, v64, v99 :: v_dual_bitop2_b32 v58, v65, v58 bitop3:0x14
	global_store_b64 v64, v[58:59], s[40:41] scale_offset
	s_wait_xcnt 0x0
	s_or_b32 exec_lo, exec_lo, s18
	v_cmp_lt_u32_e64 s17, v100, v165
	s_and_saveexec_b32 s19, s17
	s_cbranch_execz .LBB1142_475
.LBB1142_543:                           ;   in Loop: Header=BB1142_393 Depth=2
	ds_load_b64 v[58:59], v123 offset:7168
	s_wait_dscnt 0x0
	v_cmp_ne_u64_e64 s18, s[42:43], v[58:59]
	s_delay_alu instid0(VALU_DEP_1) | instskip(SKIP_2) | instid1(VALU_DEP_2)
	v_cndmask_b32_e64 v65, 0x7fffffff, v59, s18
	v_cndmask_b32_e64 v64, -1, v58, s18
	v_cmp_gt_i64_e64 s18, 0, v[58:59]
	v_lshrrev_b64 v[64:65], s54, v[64:65]
	v_ashrrev_i32_e32 v65, 31, v59
	s_delay_alu instid0(VALU_DEP_3) | instskip(NEXT) | instid1(VALU_DEP_2)
	v_cndmask_b32_e64 v66, 0x7fffffff, 0, s18
	v_not_b32_e32 v65, v65
	s_delay_alu instid0(VALU_DEP_4) | instskip(NEXT) | instid1(VALU_DEP_1)
	v_and_b32_e32 v64, s59, v64
	v_dual_lshlrev_b32 v64, 2, v64 :: v_dual_bitop2_b32 v59, v66, v59 bitop3:0x14
	ds_load_b32 v64, v64
	s_wait_dscnt 0x0
	v_dual_add_nc_u32 v64, v64, v100 :: v_dual_bitop2_b32 v58, v65, v58 bitop3:0x14
	global_store_b64 v64, v[58:59], s[40:41] scale_offset
	s_wait_xcnt 0x0
	s_or_b32 exec_lo, exec_lo, s19
	v_cmp_lt_u32_e64 s18, v101, v165
	s_and_saveexec_b32 s20, s18
	s_cbranch_execz .LBB1142_476
.LBB1142_544:                           ;   in Loop: Header=BB1142_393 Depth=2
	ds_load_b64 v[58:59], v123 offset:9216
	s_wait_dscnt 0x0
	v_cmp_ne_u64_e64 s19, s[42:43], v[58:59]
	s_delay_alu instid0(VALU_DEP_1) | instskip(SKIP_2) | instid1(VALU_DEP_2)
	v_cndmask_b32_e64 v65, 0x7fffffff, v59, s19
	v_cndmask_b32_e64 v64, -1, v58, s19
	v_cmp_gt_i64_e64 s19, 0, v[58:59]
	v_lshrrev_b64 v[64:65], s54, v[64:65]
	v_ashrrev_i32_e32 v65, 31, v59
	s_delay_alu instid0(VALU_DEP_3) | instskip(NEXT) | instid1(VALU_DEP_2)
	v_cndmask_b32_e64 v66, 0x7fffffff, 0, s19
	v_not_b32_e32 v65, v65
	s_delay_alu instid0(VALU_DEP_4) | instskip(NEXT) | instid1(VALU_DEP_1)
	v_and_b32_e32 v64, s59, v64
	v_dual_lshlrev_b32 v64, 2, v64 :: v_dual_bitop2_b32 v59, v66, v59 bitop3:0x14
	ds_load_b32 v64, v64
	s_wait_dscnt 0x0
	v_dual_add_nc_u32 v64, v64, v101 :: v_dual_bitop2_b32 v58, v65, v58 bitop3:0x14
	global_store_b64 v64, v[58:59], s[40:41] scale_offset
	s_wait_xcnt 0x0
	s_or_b32 exec_lo, exec_lo, s20
	v_cmp_lt_u32_e64 s19, v102, v165
	s_and_saveexec_b32 s21, s19
	s_cbranch_execz .LBB1142_477
.LBB1142_545:                           ;   in Loop: Header=BB1142_393 Depth=2
	ds_load_b64 v[58:59], v123 offset:11264
	s_wait_dscnt 0x0
	v_cmp_ne_u64_e64 s20, s[42:43], v[58:59]
	s_delay_alu instid0(VALU_DEP_1) | instskip(SKIP_2) | instid1(VALU_DEP_2)
	v_cndmask_b32_e64 v65, 0x7fffffff, v59, s20
	v_cndmask_b32_e64 v64, -1, v58, s20
	v_cmp_gt_i64_e64 s20, 0, v[58:59]
	v_lshrrev_b64 v[64:65], s54, v[64:65]
	v_ashrrev_i32_e32 v65, 31, v59
	s_delay_alu instid0(VALU_DEP_3) | instskip(NEXT) | instid1(VALU_DEP_2)
	v_cndmask_b32_e64 v66, 0x7fffffff, 0, s20
	v_not_b32_e32 v65, v65
	s_delay_alu instid0(VALU_DEP_4) | instskip(NEXT) | instid1(VALU_DEP_3)
	v_and_b32_e32 v64, s59, v64
	v_xor_b32_e32 v59, v66, v59
	s_delay_alu instid0(VALU_DEP_2)
	v_dual_lshlrev_b32 v64, 2, v64 :: v_dual_bitop2_b32 v58, v65, v58 bitop3:0x14
	ds_load_b32 v64, v64
	s_wait_dscnt 0x0
	v_add_nc_u32_e32 v64, v64, v102
	global_store_b64 v64, v[58:59], s[40:41] scale_offset
	s_wait_xcnt 0x0
	s_or_b32 exec_lo, exec_lo, s21
	v_cmp_lt_u32_e64 s20, v103, v165
	s_and_saveexec_b32 s22, s20
	s_cbranch_execz .LBB1142_478
.LBB1142_546:                           ;   in Loop: Header=BB1142_393 Depth=2
	ds_load_b64 v[58:59], v123 offset:13312
	s_wait_dscnt 0x0
	v_cmp_ne_u64_e64 s21, s[42:43], v[58:59]
	s_delay_alu instid0(VALU_DEP_1) | instskip(SKIP_2) | instid1(VALU_DEP_2)
	v_cndmask_b32_e64 v65, 0x7fffffff, v59, s21
	v_cndmask_b32_e64 v64, -1, v58, s21
	v_cmp_gt_i64_e64 s21, 0, v[58:59]
	v_lshrrev_b64 v[64:65], s54, v[64:65]
	v_ashrrev_i32_e32 v65, 31, v59
	s_delay_alu instid0(VALU_DEP_3) | instskip(NEXT) | instid1(VALU_DEP_2)
	v_cndmask_b32_e64 v66, 0x7fffffff, 0, s21
	v_not_b32_e32 v65, v65
	s_delay_alu instid0(VALU_DEP_4) | instskip(NEXT) | instid1(VALU_DEP_1)
	v_and_b32_e32 v64, s59, v64
	v_dual_lshlrev_b32 v64, 2, v64 :: v_dual_bitop2_b32 v59, v66, v59 bitop3:0x14
	ds_load_b32 v64, v64
	s_wait_dscnt 0x0
	v_dual_add_nc_u32 v64, v64, v103 :: v_dual_bitop2_b32 v58, v65, v58 bitop3:0x14
	global_store_b64 v64, v[58:59], s[40:41] scale_offset
	s_wait_xcnt 0x0
	s_or_b32 exec_lo, exec_lo, s22
	v_cmp_lt_u32_e64 s21, v104, v165
	s_and_saveexec_b32 s23, s21
	s_cbranch_execz .LBB1142_479
.LBB1142_547:                           ;   in Loop: Header=BB1142_393 Depth=2
	ds_load_b64 v[58:59], v123 offset:15360
	s_wait_dscnt 0x0
	v_cmp_ne_u64_e64 s22, s[42:43], v[58:59]
	s_delay_alu instid0(VALU_DEP_1) | instskip(SKIP_2) | instid1(VALU_DEP_2)
	v_cndmask_b32_e64 v65, 0x7fffffff, v59, s22
	v_cndmask_b32_e64 v64, -1, v58, s22
	v_cmp_gt_i64_e64 s22, 0, v[58:59]
	v_lshrrev_b64 v[64:65], s54, v[64:65]
	v_ashrrev_i32_e32 v65, 31, v59
	s_delay_alu instid0(VALU_DEP_3) | instskip(NEXT) | instid1(VALU_DEP_2)
	v_cndmask_b32_e64 v66, 0x7fffffff, 0, s22
	v_not_b32_e32 v65, v65
	s_delay_alu instid0(VALU_DEP_4) | instskip(NEXT) | instid1(VALU_DEP_1)
	v_and_b32_e32 v64, s59, v64
	v_dual_lshlrev_b32 v64, 2, v64 :: v_dual_bitop2_b32 v59, v66, v59 bitop3:0x14
	ds_load_b32 v64, v64
	s_wait_dscnt 0x0
	v_dual_add_nc_u32 v64, v64, v104 :: v_dual_bitop2_b32 v58, v65, v58 bitop3:0x14
	global_store_b64 v64, v[58:59], s[40:41] scale_offset
	s_wait_xcnt 0x0
	s_or_b32 exec_lo, exec_lo, s23
	v_cmp_lt_u32_e64 s22, v105, v165
	s_and_saveexec_b32 s24, s22
	s_cbranch_execz .LBB1142_480
.LBB1142_548:                           ;   in Loop: Header=BB1142_393 Depth=2
	ds_load_b64 v[58:59], v123 offset:17408
	s_wait_dscnt 0x0
	v_cmp_ne_u64_e64 s23, s[42:43], v[58:59]
	s_delay_alu instid0(VALU_DEP_1) | instskip(SKIP_2) | instid1(VALU_DEP_2)
	v_cndmask_b32_e64 v65, 0x7fffffff, v59, s23
	v_cndmask_b32_e64 v64, -1, v58, s23
	v_cmp_gt_i64_e64 s23, 0, v[58:59]
	v_lshrrev_b64 v[64:65], s54, v[64:65]
	v_ashrrev_i32_e32 v65, 31, v59
	s_delay_alu instid0(VALU_DEP_3) | instskip(NEXT) | instid1(VALU_DEP_2)
	v_cndmask_b32_e64 v66, 0x7fffffff, 0, s23
	v_not_b32_e32 v65, v65
	s_delay_alu instid0(VALU_DEP_4) | instskip(NEXT) | instid1(VALU_DEP_1)
	v_and_b32_e32 v64, s59, v64
	v_dual_lshlrev_b32 v64, 2, v64 :: v_dual_bitop2_b32 v59, v66, v59 bitop3:0x14
	ds_load_b32 v64, v64
	s_wait_dscnt 0x0
	v_dual_add_nc_u32 v64, v64, v105 :: v_dual_bitop2_b32 v58, v65, v58 bitop3:0x14
	global_store_b64 v64, v[58:59], s[40:41] scale_offset
	s_wait_xcnt 0x0
	s_or_b32 exec_lo, exec_lo, s24
	v_cmp_lt_u32_e64 s23, v106, v165
	s_and_saveexec_b32 s25, s23
	s_cbranch_execz .LBB1142_481
.LBB1142_549:                           ;   in Loop: Header=BB1142_393 Depth=2
	ds_load_b64 v[58:59], v123 offset:19456
	s_wait_dscnt 0x0
	v_cmp_ne_u64_e64 s24, s[42:43], v[58:59]
	s_delay_alu instid0(VALU_DEP_1) | instskip(SKIP_2) | instid1(VALU_DEP_2)
	v_cndmask_b32_e64 v65, 0x7fffffff, v59, s24
	v_cndmask_b32_e64 v64, -1, v58, s24
	v_cmp_gt_i64_e64 s24, 0, v[58:59]
	v_lshrrev_b64 v[64:65], s54, v[64:65]
	v_ashrrev_i32_e32 v65, 31, v59
	s_delay_alu instid0(VALU_DEP_3) | instskip(NEXT) | instid1(VALU_DEP_2)
	v_cndmask_b32_e64 v66, 0x7fffffff, 0, s24
	v_not_b32_e32 v65, v65
	s_delay_alu instid0(VALU_DEP_4) | instskip(NEXT) | instid1(VALU_DEP_3)
	v_and_b32_e32 v64, s59, v64
	v_xor_b32_e32 v59, v66, v59
	s_delay_alu instid0(VALU_DEP_2)
	v_dual_lshlrev_b32 v64, 2, v64 :: v_dual_bitop2_b32 v58, v65, v58 bitop3:0x14
	ds_load_b32 v64, v64
	s_wait_dscnt 0x0
	v_add_nc_u32_e32 v64, v64, v106
	global_store_b64 v64, v[58:59], s[40:41] scale_offset
	s_wait_xcnt 0x0
	s_or_b32 exec_lo, exec_lo, s25
	v_cmp_lt_u32_e64 s24, v107, v165
	s_and_saveexec_b32 s26, s24
	s_cbranch_execz .LBB1142_482
.LBB1142_550:                           ;   in Loop: Header=BB1142_393 Depth=2
	ds_load_b64 v[58:59], v123 offset:21504
	s_wait_dscnt 0x0
	v_cmp_ne_u64_e64 s25, s[42:43], v[58:59]
	s_delay_alu instid0(VALU_DEP_1) | instskip(SKIP_2) | instid1(VALU_DEP_2)
	v_cndmask_b32_e64 v65, 0x7fffffff, v59, s25
	v_cndmask_b32_e64 v64, -1, v58, s25
	v_cmp_gt_i64_e64 s25, 0, v[58:59]
	v_lshrrev_b64 v[64:65], s54, v[64:65]
	v_ashrrev_i32_e32 v65, 31, v59
	s_delay_alu instid0(VALU_DEP_3) | instskip(NEXT) | instid1(VALU_DEP_2)
	v_cndmask_b32_e64 v66, 0x7fffffff, 0, s25
	v_not_b32_e32 v65, v65
	s_delay_alu instid0(VALU_DEP_4) | instskip(NEXT) | instid1(VALU_DEP_1)
	v_and_b32_e32 v64, s59, v64
	v_dual_lshlrev_b32 v64, 2, v64 :: v_dual_bitop2_b32 v59, v66, v59 bitop3:0x14
	ds_load_b32 v64, v64
	s_wait_dscnt 0x0
	v_dual_add_nc_u32 v64, v64, v107 :: v_dual_bitop2_b32 v58, v65, v58 bitop3:0x14
	global_store_b64 v64, v[58:59], s[40:41] scale_offset
	s_wait_xcnt 0x0
	s_or_b32 exec_lo, exec_lo, s26
	v_cmp_lt_u32_e64 s25, v108, v165
	s_and_saveexec_b32 s27, s25
	s_cbranch_execz .LBB1142_483
.LBB1142_551:                           ;   in Loop: Header=BB1142_393 Depth=2
	ds_load_b64 v[58:59], v123 offset:23552
	s_wait_dscnt 0x0
	v_cmp_ne_u64_e64 s26, s[42:43], v[58:59]
	s_delay_alu instid0(VALU_DEP_1) | instskip(SKIP_2) | instid1(VALU_DEP_2)
	v_cndmask_b32_e64 v65, 0x7fffffff, v59, s26
	v_cndmask_b32_e64 v64, -1, v58, s26
	v_cmp_gt_i64_e64 s26, 0, v[58:59]
	v_lshrrev_b64 v[64:65], s54, v[64:65]
	v_ashrrev_i32_e32 v65, 31, v59
	s_delay_alu instid0(VALU_DEP_3) | instskip(NEXT) | instid1(VALU_DEP_2)
	v_cndmask_b32_e64 v66, 0x7fffffff, 0, s26
	v_not_b32_e32 v65, v65
	s_delay_alu instid0(VALU_DEP_4) | instskip(NEXT) | instid1(VALU_DEP_1)
	v_and_b32_e32 v64, s59, v64
	v_dual_lshlrev_b32 v64, 2, v64 :: v_dual_bitop2_b32 v59, v66, v59 bitop3:0x14
	ds_load_b32 v64, v64
	s_wait_dscnt 0x0
	v_dual_add_nc_u32 v64, v64, v108 :: v_dual_bitop2_b32 v58, v65, v58 bitop3:0x14
	global_store_b64 v64, v[58:59], s[40:41] scale_offset
	s_wait_xcnt 0x0
	s_or_b32 exec_lo, exec_lo, s27
	v_cmp_lt_u32_e64 s26, v109, v165
	s_and_saveexec_b32 s28, s26
	s_cbranch_execz .LBB1142_484
.LBB1142_552:                           ;   in Loop: Header=BB1142_393 Depth=2
	ds_load_b64 v[58:59], v123 offset:25600
	s_wait_dscnt 0x0
	v_cmp_ne_u64_e64 s27, s[42:43], v[58:59]
	s_delay_alu instid0(VALU_DEP_1) | instskip(SKIP_2) | instid1(VALU_DEP_2)
	v_cndmask_b32_e64 v65, 0x7fffffff, v59, s27
	v_cndmask_b32_e64 v64, -1, v58, s27
	v_cmp_gt_i64_e64 s27, 0, v[58:59]
	v_lshrrev_b64 v[64:65], s54, v[64:65]
	v_ashrrev_i32_e32 v65, 31, v59
	s_delay_alu instid0(VALU_DEP_3) | instskip(NEXT) | instid1(VALU_DEP_2)
	v_cndmask_b32_e64 v66, 0x7fffffff, 0, s27
	v_not_b32_e32 v65, v65
	s_delay_alu instid0(VALU_DEP_4) | instskip(NEXT) | instid1(VALU_DEP_1)
	v_and_b32_e32 v64, s59, v64
	v_dual_lshlrev_b32 v64, 2, v64 :: v_dual_bitop2_b32 v59, v66, v59 bitop3:0x14
	ds_load_b32 v64, v64
	s_wait_dscnt 0x0
	v_dual_add_nc_u32 v64, v64, v109 :: v_dual_bitop2_b32 v58, v65, v58 bitop3:0x14
	global_store_b64 v64, v[58:59], s[40:41] scale_offset
	s_wait_xcnt 0x0
	s_or_b32 exec_lo, exec_lo, s28
	v_cmp_lt_u32_e64 s27, v110, v165
	s_and_saveexec_b32 s29, s27
	s_cbranch_execz .LBB1142_485
.LBB1142_553:                           ;   in Loop: Header=BB1142_393 Depth=2
	ds_load_b64 v[58:59], v123 offset:27648
	s_wait_dscnt 0x0
	v_cmp_ne_u64_e64 s28, s[42:43], v[58:59]
	s_delay_alu instid0(VALU_DEP_1) | instskip(SKIP_2) | instid1(VALU_DEP_2)
	v_cndmask_b32_e64 v65, 0x7fffffff, v59, s28
	v_cndmask_b32_e64 v64, -1, v58, s28
	v_cmp_gt_i64_e64 s28, 0, v[58:59]
	v_lshrrev_b64 v[64:65], s54, v[64:65]
	v_ashrrev_i32_e32 v65, 31, v59
	s_delay_alu instid0(VALU_DEP_3) | instskip(NEXT) | instid1(VALU_DEP_2)
	v_cndmask_b32_e64 v66, 0x7fffffff, 0, s28
	v_not_b32_e32 v65, v65
	s_delay_alu instid0(VALU_DEP_4) | instskip(NEXT) | instid1(VALU_DEP_3)
	v_and_b32_e32 v64, s59, v64
	v_xor_b32_e32 v59, v66, v59
	s_delay_alu instid0(VALU_DEP_2)
	v_dual_lshlrev_b32 v64, 2, v64 :: v_dual_bitop2_b32 v58, v65, v58 bitop3:0x14
	ds_load_b32 v64, v64
	s_wait_dscnt 0x0
	v_add_nc_u32_e32 v64, v64, v110
	global_store_b64 v64, v[58:59], s[40:41] scale_offset
	s_wait_xcnt 0x0
	s_or_b32 exec_lo, exec_lo, s29
	v_cmp_lt_u32_e64 s28, v111, v165
	s_and_saveexec_b32 s30, s28
	s_cbranch_execz .LBB1142_486
.LBB1142_554:                           ;   in Loop: Header=BB1142_393 Depth=2
	ds_load_b64 v[58:59], v123 offset:29696
	s_wait_dscnt 0x0
	v_cmp_ne_u64_e64 s29, s[42:43], v[58:59]
	s_delay_alu instid0(VALU_DEP_1) | instskip(SKIP_2) | instid1(VALU_DEP_2)
	v_cndmask_b32_e64 v65, 0x7fffffff, v59, s29
	v_cndmask_b32_e64 v64, -1, v58, s29
	v_cmp_gt_i64_e64 s29, 0, v[58:59]
	v_lshrrev_b64 v[64:65], s54, v[64:65]
	v_ashrrev_i32_e32 v65, 31, v59
	s_delay_alu instid0(VALU_DEP_3) | instskip(NEXT) | instid1(VALU_DEP_2)
	v_cndmask_b32_e64 v66, 0x7fffffff, 0, s29
	v_not_b32_e32 v65, v65
	s_delay_alu instid0(VALU_DEP_4) | instskip(NEXT) | instid1(VALU_DEP_1)
	v_and_b32_e32 v64, s59, v64
	v_dual_lshlrev_b32 v64, 2, v64 :: v_dual_bitop2_b32 v59, v66, v59 bitop3:0x14
	ds_load_b32 v64, v64
	s_wait_dscnt 0x0
	v_dual_add_nc_u32 v64, v64, v111 :: v_dual_bitop2_b32 v58, v65, v58 bitop3:0x14
	global_store_b64 v64, v[58:59], s[40:41] scale_offset
	s_wait_xcnt 0x0
	s_or_b32 exec_lo, exec_lo, s30
	v_cmp_lt_u32_e64 s29, v112, v165
	s_and_saveexec_b32 s62, s29
	s_cbranch_execnz .LBB1142_487
	s_branch .LBB1142_488
.LBB1142_555:                           ;   in Loop: Header=BB1142_393 Depth=2
	global_load_b64 v[56:57], v[58:59], off
	s_wait_xcnt 0x0
	s_or_b32 exec_lo, exec_lo, s30
	s_delay_alu instid0(SALU_CYCLE_1)
	s_mov_b32 s34, exec_lo
	v_cmpx_lt_u32_e64 v132, v165
	s_cbranch_execz .LBB1142_490
.LBB1142_556:                           ;   in Loop: Header=BB1142_393 Depth=2
	global_load_b64 v[54:55], v[58:59], off offset:256
	s_wait_xcnt 0x0
	s_or_b32 exec_lo, exec_lo, s34
	s_delay_alu instid0(SALU_CYCLE_1)
	s_mov_b32 s34, exec_lo
	v_cmpx_lt_u32_e64 v133, v165
	s_cbranch_execz .LBB1142_491
.LBB1142_557:                           ;   in Loop: Header=BB1142_393 Depth=2
	global_load_b64 v[52:53], v[58:59], off offset:512
	s_wait_xcnt 0x0
	s_or_b32 exec_lo, exec_lo, s34
	s_delay_alu instid0(SALU_CYCLE_1)
	s_mov_b32 s34, exec_lo
	v_cmpx_lt_u32_e64 v134, v165
	s_cbranch_execz .LBB1142_492
.LBB1142_558:                           ;   in Loop: Header=BB1142_393 Depth=2
	global_load_b64 v[50:51], v[58:59], off offset:768
	s_wait_xcnt 0x0
	s_or_b32 exec_lo, exec_lo, s34
	s_delay_alu instid0(SALU_CYCLE_1)
	s_mov_b32 s34, exec_lo
	v_cmpx_lt_u32_e64 v135, v165
	s_cbranch_execz .LBB1142_493
.LBB1142_559:                           ;   in Loop: Header=BB1142_393 Depth=2
	global_load_b64 v[48:49], v[58:59], off offset:1024
	s_wait_xcnt 0x0
	s_or_b32 exec_lo, exec_lo, s34
	s_delay_alu instid0(SALU_CYCLE_1)
	s_mov_b32 s34, exec_lo
	v_cmpx_lt_u32_e64 v136, v165
	s_cbranch_execz .LBB1142_494
.LBB1142_560:                           ;   in Loop: Header=BB1142_393 Depth=2
	global_load_b64 v[46:47], v[58:59], off offset:1280
	s_wait_xcnt 0x0
	s_or_b32 exec_lo, exec_lo, s34
	s_delay_alu instid0(SALU_CYCLE_1)
	s_mov_b32 s34, exec_lo
	v_cmpx_lt_u32_e64 v137, v165
	s_cbranch_execz .LBB1142_495
.LBB1142_561:                           ;   in Loop: Header=BB1142_393 Depth=2
	global_load_b64 v[44:45], v[58:59], off offset:1536
	s_wait_xcnt 0x0
	s_or_b32 exec_lo, exec_lo, s34
	s_delay_alu instid0(SALU_CYCLE_1)
	s_mov_b32 s34, exec_lo
	v_cmpx_lt_u32_e64 v138, v165
	s_cbranch_execz .LBB1142_496
.LBB1142_562:                           ;   in Loop: Header=BB1142_393 Depth=2
	global_load_b64 v[42:43], v[58:59], off offset:1792
	s_wait_xcnt 0x0
	s_or_b32 exec_lo, exec_lo, s34
	s_delay_alu instid0(SALU_CYCLE_1)
	s_mov_b32 s34, exec_lo
	v_cmpx_lt_u32_e64 v139, v165
	s_cbranch_execz .LBB1142_497
.LBB1142_563:                           ;   in Loop: Header=BB1142_393 Depth=2
	global_load_b64 v[40:41], v[58:59], off offset:2048
	s_wait_xcnt 0x0
	s_or_b32 exec_lo, exec_lo, s34
	s_delay_alu instid0(SALU_CYCLE_1)
	s_mov_b32 s34, exec_lo
	v_cmpx_lt_u32_e64 v140, v165
	s_cbranch_execz .LBB1142_498
.LBB1142_564:                           ;   in Loop: Header=BB1142_393 Depth=2
	global_load_b64 v[38:39], v[58:59], off offset:2304
	s_wait_xcnt 0x0
	s_or_b32 exec_lo, exec_lo, s34
	s_delay_alu instid0(SALU_CYCLE_1)
	s_mov_b32 s34, exec_lo
	v_cmpx_lt_u32_e64 v141, v165
	s_cbranch_execz .LBB1142_499
.LBB1142_565:                           ;   in Loop: Header=BB1142_393 Depth=2
	global_load_b64 v[36:37], v[58:59], off offset:2560
	s_wait_xcnt 0x0
	s_or_b32 exec_lo, exec_lo, s34
	s_delay_alu instid0(SALU_CYCLE_1)
	s_mov_b32 s34, exec_lo
	v_cmpx_lt_u32_e64 v142, v165
	s_cbranch_execz .LBB1142_500
.LBB1142_566:                           ;   in Loop: Header=BB1142_393 Depth=2
	global_load_b64 v[34:35], v[58:59], off offset:2816
	s_wait_xcnt 0x0
	s_or_b32 exec_lo, exec_lo, s34
	s_delay_alu instid0(SALU_CYCLE_1)
	s_mov_b32 s34, exec_lo
	v_cmpx_lt_u32_e64 v143, v165
	s_cbranch_execz .LBB1142_501
.LBB1142_567:                           ;   in Loop: Header=BB1142_393 Depth=2
	global_load_b64 v[32:33], v[58:59], off offset:3072
	s_wait_xcnt 0x0
	s_or_b32 exec_lo, exec_lo, s34
	s_delay_alu instid0(SALU_CYCLE_1)
	s_mov_b32 s34, exec_lo
	v_cmpx_lt_u32_e64 v144, v165
	s_cbranch_execz .LBB1142_502
.LBB1142_568:                           ;   in Loop: Header=BB1142_393 Depth=2
	global_load_b64 v[30:31], v[58:59], off offset:3328
	s_wait_xcnt 0x0
	s_or_b32 exec_lo, exec_lo, s34
	s_delay_alu instid0(SALU_CYCLE_1)
	s_mov_b32 s34, exec_lo
	v_cmpx_lt_u32_e64 v145, v165
	s_cbranch_execz .LBB1142_503
.LBB1142_569:                           ;   in Loop: Header=BB1142_393 Depth=2
	global_load_b64 v[28:29], v[58:59], off offset:3584
	s_wait_xcnt 0x0
	s_or_b32 exec_lo, exec_lo, s34
	s_delay_alu instid0(SALU_CYCLE_1)
	s_mov_b32 s34, exec_lo
	v_cmpx_lt_u32_e64 v146, v165
	s_cbranch_execz .LBB1142_504
.LBB1142_570:                           ;   in Loop: Header=BB1142_393 Depth=2
	global_load_b64 v[26:27], v[58:59], off offset:3840
	s_wait_xcnt 0x0
	s_or_b32 exec_lo, exec_lo, s34
	s_and_saveexec_b32 s34, vcc_lo
	s_cbranch_execz .LBB1142_505
.LBB1142_571:                           ;   in Loop: Header=BB1142_393 Depth=2
	ds_load_b64 v[58:59], v123 offset:1024
	s_wait_dscnt 0x0
	v_cmp_ne_u64_e64 s30, s[42:43], v[58:59]
	s_delay_alu instid0(VALU_DEP_1) | instskip(SKIP_1) | instid1(VALU_DEP_1)
	v_cndmask_b32_e64 v59, 0x7fffffff, v59, s30
	v_cndmask_b32_e64 v58, -1, v58, s30
	v_lshrrev_b64 v[58:59], s54, v[58:59]
	s_delay_alu instid0(VALU_DEP_1)
	v_and_b32_e32 v164, s59, v58
	s_or_b32 exec_lo, exec_lo, s34
	s_and_saveexec_b32 s34, s15
	s_cbranch_execz .LBB1142_506
.LBB1142_572:                           ;   in Loop: Header=BB1142_393 Depth=2
	ds_load_b64 v[58:59], v123 offset:3072
	s_wait_dscnt 0x0
	v_cmp_ne_u64_e64 s30, s[42:43], v[58:59]
	s_delay_alu instid0(VALU_DEP_1) | instskip(SKIP_1) | instid1(VALU_DEP_1)
	v_cndmask_b32_e64 v59, 0x7fffffff, v59, s30
	v_cndmask_b32_e64 v58, -1, v58, s30
	v_lshrrev_b64 v[58:59], s54, v[58:59]
	s_delay_alu instid0(VALU_DEP_1)
	v_and_b32_e32 v163, s59, v58
	s_or_b32 exec_lo, exec_lo, s34
	s_and_saveexec_b32 s34, s16
	s_cbranch_execz .LBB1142_507
.LBB1142_573:                           ;   in Loop: Header=BB1142_393 Depth=2
	ds_load_b64 v[58:59], v123 offset:5120
	s_wait_dscnt 0x0
	v_cmp_ne_u64_e64 s30, s[42:43], v[58:59]
	s_delay_alu instid0(VALU_DEP_1) | instskip(SKIP_1) | instid1(VALU_DEP_1)
	v_cndmask_b32_e64 v59, 0x7fffffff, v59, s30
	v_cndmask_b32_e64 v58, -1, v58, s30
	v_lshrrev_b64 v[58:59], s54, v[58:59]
	s_delay_alu instid0(VALU_DEP_1)
	v_and_b32_e32 v162, s59, v58
	s_or_b32 exec_lo, exec_lo, s34
	s_and_saveexec_b32 s34, s17
	s_cbranch_execz .LBB1142_508
.LBB1142_574:                           ;   in Loop: Header=BB1142_393 Depth=2
	ds_load_b64 v[58:59], v123 offset:7168
	s_wait_dscnt 0x0
	v_cmp_ne_u64_e64 s30, s[42:43], v[58:59]
	s_delay_alu instid0(VALU_DEP_1) | instskip(SKIP_1) | instid1(VALU_DEP_1)
	v_cndmask_b32_e64 v59, 0x7fffffff, v59, s30
	v_cndmask_b32_e64 v58, -1, v58, s30
	v_lshrrev_b64 v[58:59], s54, v[58:59]
	s_delay_alu instid0(VALU_DEP_1)
	v_and_b32_e32 v161, s59, v58
	s_or_b32 exec_lo, exec_lo, s34
	s_and_saveexec_b32 s34, s18
	s_cbranch_execz .LBB1142_509
.LBB1142_575:                           ;   in Loop: Header=BB1142_393 Depth=2
	ds_load_b64 v[58:59], v123 offset:9216
	s_wait_dscnt 0x0
	v_cmp_ne_u64_e64 s30, s[42:43], v[58:59]
	s_delay_alu instid0(VALU_DEP_1) | instskip(SKIP_1) | instid1(VALU_DEP_1)
	v_cndmask_b32_e64 v59, 0x7fffffff, v59, s30
	v_cndmask_b32_e64 v58, -1, v58, s30
	v_lshrrev_b64 v[58:59], s54, v[58:59]
	s_delay_alu instid0(VALU_DEP_1)
	v_and_b32_e32 v160, s59, v58
	s_or_b32 exec_lo, exec_lo, s34
	s_and_saveexec_b32 s34, s19
	s_cbranch_execz .LBB1142_510
.LBB1142_576:                           ;   in Loop: Header=BB1142_393 Depth=2
	ds_load_b64 v[58:59], v123 offset:11264
	s_wait_dscnt 0x0
	v_cmp_ne_u64_e64 s30, s[42:43], v[58:59]
	s_delay_alu instid0(VALU_DEP_1) | instskip(SKIP_1) | instid1(VALU_DEP_1)
	v_cndmask_b32_e64 v59, 0x7fffffff, v59, s30
	v_cndmask_b32_e64 v58, -1, v58, s30
	v_lshrrev_b64 v[58:59], s54, v[58:59]
	s_delay_alu instid0(VALU_DEP_1)
	v_and_b32_e32 v159, s59, v58
	s_or_b32 exec_lo, exec_lo, s34
	s_and_saveexec_b32 s34, s20
	s_cbranch_execz .LBB1142_511
.LBB1142_577:                           ;   in Loop: Header=BB1142_393 Depth=2
	ds_load_b64 v[58:59], v123 offset:13312
	s_wait_dscnt 0x0
	v_cmp_ne_u64_e64 s30, s[42:43], v[58:59]
	s_delay_alu instid0(VALU_DEP_1) | instskip(SKIP_1) | instid1(VALU_DEP_1)
	v_cndmask_b32_e64 v59, 0x7fffffff, v59, s30
	v_cndmask_b32_e64 v58, -1, v58, s30
	v_lshrrev_b64 v[58:59], s54, v[58:59]
	s_delay_alu instid0(VALU_DEP_1)
	v_and_b32_e32 v158, s59, v58
	s_or_b32 exec_lo, exec_lo, s34
	s_and_saveexec_b32 s34, s21
	s_cbranch_execz .LBB1142_512
.LBB1142_578:                           ;   in Loop: Header=BB1142_393 Depth=2
	ds_load_b64 v[58:59], v123 offset:15360
	s_wait_dscnt 0x0
	v_cmp_ne_u64_e64 s30, s[42:43], v[58:59]
	s_delay_alu instid0(VALU_DEP_1) | instskip(SKIP_1) | instid1(VALU_DEP_1)
	v_cndmask_b32_e64 v59, 0x7fffffff, v59, s30
	v_cndmask_b32_e64 v58, -1, v58, s30
	v_lshrrev_b64 v[58:59], s54, v[58:59]
	s_delay_alu instid0(VALU_DEP_1)
	v_and_b32_e32 v157, s59, v58
	s_or_b32 exec_lo, exec_lo, s34
	s_and_saveexec_b32 s34, s22
	s_cbranch_execz .LBB1142_513
.LBB1142_579:                           ;   in Loop: Header=BB1142_393 Depth=2
	ds_load_b64 v[58:59], v123 offset:17408
	s_wait_dscnt 0x0
	v_cmp_ne_u64_e64 s30, s[42:43], v[58:59]
	s_delay_alu instid0(VALU_DEP_1) | instskip(SKIP_1) | instid1(VALU_DEP_1)
	v_cndmask_b32_e64 v59, 0x7fffffff, v59, s30
	v_cndmask_b32_e64 v58, -1, v58, s30
	v_lshrrev_b64 v[58:59], s54, v[58:59]
	s_delay_alu instid0(VALU_DEP_1)
	v_and_b32_e32 v156, s59, v58
	s_or_b32 exec_lo, exec_lo, s34
	s_and_saveexec_b32 s34, s23
	s_cbranch_execz .LBB1142_514
.LBB1142_580:                           ;   in Loop: Header=BB1142_393 Depth=2
	ds_load_b64 v[58:59], v123 offset:19456
	s_wait_dscnt 0x0
	v_cmp_ne_u64_e64 s30, s[42:43], v[58:59]
	s_delay_alu instid0(VALU_DEP_1) | instskip(SKIP_1) | instid1(VALU_DEP_1)
	v_cndmask_b32_e64 v59, 0x7fffffff, v59, s30
	v_cndmask_b32_e64 v58, -1, v58, s30
	v_lshrrev_b64 v[58:59], s54, v[58:59]
	s_delay_alu instid0(VALU_DEP_1)
	v_and_b32_e32 v155, s59, v58
	s_or_b32 exec_lo, exec_lo, s34
	s_and_saveexec_b32 s34, s24
	s_cbranch_execz .LBB1142_515
.LBB1142_581:                           ;   in Loop: Header=BB1142_393 Depth=2
	ds_load_b64 v[58:59], v123 offset:21504
	s_wait_dscnt 0x0
	v_cmp_ne_u64_e64 s30, s[42:43], v[58:59]
	s_delay_alu instid0(VALU_DEP_1) | instskip(SKIP_1) | instid1(VALU_DEP_1)
	v_cndmask_b32_e64 v59, 0x7fffffff, v59, s30
	v_cndmask_b32_e64 v58, -1, v58, s30
	v_lshrrev_b64 v[58:59], s54, v[58:59]
	s_delay_alu instid0(VALU_DEP_1)
	v_and_b32_e32 v154, s59, v58
	s_or_b32 exec_lo, exec_lo, s34
	s_and_saveexec_b32 s34, s25
	s_cbranch_execz .LBB1142_516
.LBB1142_582:                           ;   in Loop: Header=BB1142_393 Depth=2
	ds_load_b64 v[58:59], v123 offset:23552
	s_wait_dscnt 0x0
	v_cmp_ne_u64_e64 s30, s[42:43], v[58:59]
	s_delay_alu instid0(VALU_DEP_1) | instskip(SKIP_1) | instid1(VALU_DEP_1)
	v_cndmask_b32_e64 v59, 0x7fffffff, v59, s30
	v_cndmask_b32_e64 v58, -1, v58, s30
	v_lshrrev_b64 v[58:59], s54, v[58:59]
	s_delay_alu instid0(VALU_DEP_1)
	v_and_b32_e32 v153, s59, v58
	s_or_b32 exec_lo, exec_lo, s34
	s_and_saveexec_b32 s34, s26
	s_cbranch_execz .LBB1142_517
.LBB1142_583:                           ;   in Loop: Header=BB1142_393 Depth=2
	ds_load_b64 v[58:59], v123 offset:25600
	s_wait_dscnt 0x0
	v_cmp_ne_u64_e64 s30, s[42:43], v[58:59]
	s_delay_alu instid0(VALU_DEP_1) | instskip(SKIP_1) | instid1(VALU_DEP_1)
	v_cndmask_b32_e64 v59, 0x7fffffff, v59, s30
	v_cndmask_b32_e64 v58, -1, v58, s30
	v_lshrrev_b64 v[58:59], s54, v[58:59]
	s_delay_alu instid0(VALU_DEP_1)
	v_and_b32_e32 v152, s59, v58
	s_or_b32 exec_lo, exec_lo, s34
	s_and_saveexec_b32 s34, s27
	s_cbranch_execz .LBB1142_518
.LBB1142_584:                           ;   in Loop: Header=BB1142_393 Depth=2
	ds_load_b64 v[58:59], v123 offset:27648
	s_wait_dscnt 0x0
	v_cmp_ne_u64_e64 s30, s[42:43], v[58:59]
	s_delay_alu instid0(VALU_DEP_1) | instskip(SKIP_1) | instid1(VALU_DEP_1)
	v_cndmask_b32_e64 v59, 0x7fffffff, v59, s30
	v_cndmask_b32_e64 v58, -1, v58, s30
	v_lshrrev_b64 v[58:59], s54, v[58:59]
	s_delay_alu instid0(VALU_DEP_1)
	v_and_b32_e32 v151, s59, v58
	s_or_b32 exec_lo, exec_lo, s34
	s_and_saveexec_b32 s34, s28
	s_cbranch_execz .LBB1142_519
.LBB1142_585:                           ;   in Loop: Header=BB1142_393 Depth=2
	ds_load_b64 v[58:59], v123 offset:29696
	s_wait_dscnt 0x0
	v_cmp_ne_u64_e64 s30, s[42:43], v[58:59]
	s_delay_alu instid0(VALU_DEP_1) | instskip(SKIP_1) | instid1(VALU_DEP_1)
	v_cndmask_b32_e64 v59, 0x7fffffff, v59, s30
	v_cndmask_b32_e64 v58, -1, v58, s30
	v_lshrrev_b64 v[58:59], s54, v[58:59]
	s_delay_alu instid0(VALU_DEP_1)
	v_and_b32_e32 v150, s59, v58
	s_or_b32 exec_lo, exec_lo, s34
	s_and_saveexec_b32 s34, s29
	s_cbranch_execnz .LBB1142_520
	s_branch .LBB1142_521
.LBB1142_586:                           ;   in Loop: Header=BB1142_393 Depth=2
	v_lshlrev_b32_e32 v58, 2, v164
	ds_load_b32 v60, v58
	ds_load_b64 v[58:59], v123 offset:1024
	s_wait_dscnt 0x1
	v_add_nc_u32_e32 v60, v60, v2
	s_wait_dscnt 0x0
	global_store_b64 v60, v[58:59], s[46:47] scale_offset
	s_wait_xcnt 0x0
	s_or_b32 exec_lo, exec_lo, s30
	s_and_saveexec_b32 s30, s15
	s_cbranch_execz .LBB1142_523
.LBB1142_587:                           ;   in Loop: Header=BB1142_393 Depth=2
	v_lshlrev_b32_e32 v58, 2, v163
	ds_load_b32 v60, v58
	ds_load_b64 v[58:59], v123 offset:3072
	s_wait_dscnt 0x1
	v_add_nc_u32_e32 v60, v60, v98
	s_wait_dscnt 0x0
	global_store_b64 v60, v[58:59], s[46:47] scale_offset
	s_wait_xcnt 0x0
	s_or_b32 exec_lo, exec_lo, s30
	s_and_saveexec_b32 s15, s16
	s_cbranch_execz .LBB1142_524
.LBB1142_588:                           ;   in Loop: Header=BB1142_393 Depth=2
	v_lshlrev_b32_e32 v58, 2, v162
	ds_load_b32 v60, v58
	ds_load_b64 v[58:59], v123 offset:5120
	s_wait_dscnt 0x1
	v_add_nc_u32_e32 v60, v60, v99
	s_wait_dscnt 0x0
	global_store_b64 v60, v[58:59], s[46:47] scale_offset
	s_wait_xcnt 0x0
	s_or_b32 exec_lo, exec_lo, s15
	s_and_saveexec_b32 s15, s17
	s_cbranch_execz .LBB1142_525
.LBB1142_589:                           ;   in Loop: Header=BB1142_393 Depth=2
	v_lshlrev_b32_e32 v58, 2, v161
	ds_load_b32 v60, v58
	ds_load_b64 v[58:59], v123 offset:7168
	s_wait_dscnt 0x1
	v_add_nc_u32_e32 v60, v60, v100
	s_wait_dscnt 0x0
	global_store_b64 v60, v[58:59], s[46:47] scale_offset
	s_wait_xcnt 0x0
	s_or_b32 exec_lo, exec_lo, s15
	s_and_saveexec_b32 s15, s18
	s_cbranch_execz .LBB1142_526
.LBB1142_590:                           ;   in Loop: Header=BB1142_393 Depth=2
	v_lshlrev_b32_e32 v58, 2, v160
	ds_load_b32 v60, v58
	ds_load_b64 v[58:59], v123 offset:9216
	s_wait_dscnt 0x1
	v_add_nc_u32_e32 v60, v60, v101
	s_wait_dscnt 0x0
	global_store_b64 v60, v[58:59], s[46:47] scale_offset
	s_wait_xcnt 0x0
	s_or_b32 exec_lo, exec_lo, s15
	s_and_saveexec_b32 s15, s19
	s_cbranch_execz .LBB1142_527
.LBB1142_591:                           ;   in Loop: Header=BB1142_393 Depth=2
	v_lshlrev_b32_e32 v58, 2, v159
	ds_load_b32 v60, v58
	ds_load_b64 v[58:59], v123 offset:11264
	s_wait_dscnt 0x1
	v_add_nc_u32_e32 v60, v60, v102
	s_wait_dscnt 0x0
	global_store_b64 v60, v[58:59], s[46:47] scale_offset
	s_wait_xcnt 0x0
	s_or_b32 exec_lo, exec_lo, s15
	s_and_saveexec_b32 s15, s20
	s_cbranch_execz .LBB1142_528
.LBB1142_592:                           ;   in Loop: Header=BB1142_393 Depth=2
	v_lshlrev_b32_e32 v58, 2, v158
	ds_load_b32 v60, v58
	ds_load_b64 v[58:59], v123 offset:13312
	s_wait_dscnt 0x1
	v_add_nc_u32_e32 v60, v60, v103
	s_wait_dscnt 0x0
	global_store_b64 v60, v[58:59], s[46:47] scale_offset
	s_wait_xcnt 0x0
	s_or_b32 exec_lo, exec_lo, s15
	s_and_saveexec_b32 s15, s21
	s_cbranch_execz .LBB1142_529
.LBB1142_593:                           ;   in Loop: Header=BB1142_393 Depth=2
	v_lshlrev_b32_e32 v58, 2, v157
	ds_load_b32 v60, v58
	ds_load_b64 v[58:59], v123 offset:15360
	s_wait_dscnt 0x1
	v_add_nc_u32_e32 v60, v60, v104
	s_wait_dscnt 0x0
	global_store_b64 v60, v[58:59], s[46:47] scale_offset
	s_wait_xcnt 0x0
	s_or_b32 exec_lo, exec_lo, s15
	s_and_saveexec_b32 s15, s22
	s_cbranch_execz .LBB1142_530
.LBB1142_594:                           ;   in Loop: Header=BB1142_393 Depth=2
	v_lshlrev_b32_e32 v58, 2, v156
	ds_load_b32 v60, v58
	ds_load_b64 v[58:59], v123 offset:17408
	s_wait_dscnt 0x1
	v_add_nc_u32_e32 v60, v60, v105
	s_wait_dscnt 0x0
	global_store_b64 v60, v[58:59], s[46:47] scale_offset
	s_wait_xcnt 0x0
	s_or_b32 exec_lo, exec_lo, s15
	s_and_saveexec_b32 s15, s23
	s_cbranch_execz .LBB1142_531
.LBB1142_595:                           ;   in Loop: Header=BB1142_393 Depth=2
	v_lshlrev_b32_e32 v58, 2, v155
	ds_load_b32 v60, v58
	ds_load_b64 v[58:59], v123 offset:19456
	s_wait_dscnt 0x1
	v_add_nc_u32_e32 v60, v60, v106
	s_wait_dscnt 0x0
	global_store_b64 v60, v[58:59], s[46:47] scale_offset
	s_wait_xcnt 0x0
	s_or_b32 exec_lo, exec_lo, s15
	s_and_saveexec_b32 s15, s24
	s_cbranch_execz .LBB1142_532
.LBB1142_596:                           ;   in Loop: Header=BB1142_393 Depth=2
	v_lshlrev_b32_e32 v58, 2, v154
	ds_load_b32 v60, v58
	ds_load_b64 v[58:59], v123 offset:21504
	s_wait_dscnt 0x1
	v_add_nc_u32_e32 v60, v60, v107
	s_wait_dscnt 0x0
	global_store_b64 v60, v[58:59], s[46:47] scale_offset
	s_wait_xcnt 0x0
	s_or_b32 exec_lo, exec_lo, s15
	s_and_saveexec_b32 s15, s25
	s_cbranch_execz .LBB1142_533
.LBB1142_597:                           ;   in Loop: Header=BB1142_393 Depth=2
	v_lshlrev_b32_e32 v58, 2, v153
	ds_load_b32 v60, v58
	ds_load_b64 v[58:59], v123 offset:23552
	s_wait_dscnt 0x1
	v_add_nc_u32_e32 v60, v60, v108
	s_wait_dscnt 0x0
	global_store_b64 v60, v[58:59], s[46:47] scale_offset
	s_wait_xcnt 0x0
	s_or_b32 exec_lo, exec_lo, s15
	s_and_saveexec_b32 s15, s26
	s_cbranch_execz .LBB1142_534
.LBB1142_598:                           ;   in Loop: Header=BB1142_393 Depth=2
	v_lshlrev_b32_e32 v58, 2, v152
	ds_load_b32 v60, v58
	ds_load_b64 v[58:59], v123 offset:25600
	s_wait_dscnt 0x1
	v_add_nc_u32_e32 v60, v60, v109
	s_wait_dscnt 0x0
	global_store_b64 v60, v[58:59], s[46:47] scale_offset
	s_wait_xcnt 0x0
	s_or_b32 exec_lo, exec_lo, s15
	s_and_saveexec_b32 s15, s27
	s_cbranch_execz .LBB1142_535
.LBB1142_599:                           ;   in Loop: Header=BB1142_393 Depth=2
	v_lshlrev_b32_e32 v58, 2, v151
	ds_load_b32 v60, v58
	ds_load_b64 v[58:59], v123 offset:27648
	s_wait_dscnt 0x1
	v_add_nc_u32_e32 v60, v60, v110
	s_wait_dscnt 0x0
	global_store_b64 v60, v[58:59], s[46:47] scale_offset
	s_wait_xcnt 0x0
	s_or_b32 exec_lo, exec_lo, s15
	s_and_saveexec_b32 s15, s28
	s_cbranch_execz .LBB1142_536
.LBB1142_600:                           ;   in Loop: Header=BB1142_393 Depth=2
	v_lshlrev_b32_e32 v58, 2, v150
	ds_load_b32 v60, v58
	ds_load_b64 v[58:59], v123 offset:29696
	s_wait_dscnt 0x1
	v_add_nc_u32_e32 v60, v60, v111
	s_wait_dscnt 0x0
	global_store_b64 v60, v[58:59], s[46:47] scale_offset
	s_wait_xcnt 0x0
	s_or_b32 exec_lo, exec_lo, s15
	s_and_saveexec_b32 s15, s29
	s_cbranch_execnz .LBB1142_537
	s_branch .LBB1142_538
.LBB1142_601:                           ;   in Loop: Header=BB1142_17 Depth=1
	s_wait_dscnt 0x0
	s_barrier_signal -1
	s_barrier_wait -1
.LBB1142_602:                           ;   in Loop: Header=BB1142_17 Depth=1
	s_mov_b32 s7, 0
.LBB1142_603:                           ;   in Loop: Header=BB1142_17 Depth=1
	s_delay_alu instid0(SALU_CYCLE_1)
	s_and_not1_b32 vcc_lo, exec_lo, s7
	s_cbranch_vccnz .LBB1142_16
; %bb.604:                              ;   in Loop: Header=BB1142_17 Depth=1
	s_lshl_b32 s7, -1, s55
	s_and_b32 vcc_lo, exec_lo, s57
	s_not_b32 s55, s7
	s_mov_b32 s7, -1
	s_cbranch_vccz .LBB1142_896
; %bb.605:                              ;   in Loop: Header=BB1142_17 Depth=1
	s_mov_b32 s7, s58
	s_mov_b32 s34, s56
	s_barrier_signal -1
	s_barrier_wait -1
                                        ; implicit-def: $vgpr22_vgpr23
                                        ; implicit-def: $vgpr24_vgpr25
                                        ; implicit-def: $vgpr26_vgpr27
                                        ; implicit-def: $vgpr28_vgpr29
                                        ; implicit-def: $vgpr30_vgpr31
                                        ; implicit-def: $vgpr32_vgpr33
                                        ; implicit-def: $vgpr34_vgpr35
                                        ; implicit-def: $vgpr36_vgpr37
                                        ; implicit-def: $vgpr38_vgpr39
                                        ; implicit-def: $vgpr40_vgpr41
                                        ; implicit-def: $vgpr42_vgpr43
                                        ; implicit-def: $vgpr44_vgpr45
                                        ; implicit-def: $vgpr46_vgpr47
                                        ; implicit-def: $vgpr48_vgpr49
                                        ; implicit-def: $vgpr50_vgpr51
                                        ; implicit-def: $vgpr52_vgpr53
	s_branch .LBB1142_607
.LBB1142_606:                           ;   in Loop: Header=BB1142_607 Depth=2
	s_or_b32 exec_lo, exec_lo, s8
	s_addk_co_i32 s7, 0xf000
	s_cmp_ge_u32 s10, s51
	s_mov_b32 s34, s10
	s_cbranch_scc1 .LBB1142_675
.LBB1142_607:                           ;   Parent Loop BB1142_17 Depth=1
                                        ; =>  This Inner Loop Header: Depth=2
	s_add_co_i32 s10, s34, 0x1000
	s_mov_b32 s8, -1
	s_cmp_gt_u32 s10, s51
                                        ; implicit-def: $vgpr54_vgpr55
                                        ; implicit-def: $vgpr56_vgpr57
                                        ; implicit-def: $vgpr58_vgpr59
                                        ; implicit-def: $vgpr60_vgpr61
                                        ; implicit-def: $vgpr62_vgpr63
                                        ; implicit-def: $vgpr64_vgpr65
                                        ; implicit-def: $vgpr66_vgpr67
                                        ; implicit-def: $vgpr68_vgpr69
                                        ; implicit-def: $vgpr70_vgpr71
                                        ; implicit-def: $vgpr72_vgpr73
                                        ; implicit-def: $vgpr74_vgpr75
                                        ; implicit-def: $vgpr76_vgpr77
                                        ; implicit-def: $vgpr78_vgpr79
                                        ; implicit-def: $vgpr80_vgpr81
                                        ; implicit-def: $vgpr82_vgpr83
                                        ; implicit-def: $vgpr84_vgpr85
	s_cbranch_scc1 .LBB1142_609
; %bb.608:                              ;   in Loop: Header=BB1142_607 Depth=2
	v_lshl_add_u64 v[84:85], s[34:35], 3, v[16:17]
	s_mov_b32 s8, 0
	s_clause 0xf
	global_load_b64 v[54:55], v[84:85], off
	global_load_b64 v[56:57], v[84:85], off offset:2048
	global_load_b64 v[58:59], v[84:85], off offset:4096
	;; [unrolled: 1-line block ×15, first 2 shown]
.LBB1142_609:                           ;   in Loop: Header=BB1142_607 Depth=2
	s_and_not1_b32 vcc_lo, exec_lo, s8
	s_movk_i32 s8, 0x1000
	s_cbranch_vccnz .LBB1142_628
; %bb.610:                              ;   in Loop: Header=BB1142_607 Depth=2
	s_lshl_b64 s[8:9], s[34:35], 3
	s_mov_b32 s11, exec_lo
	s_add_nc_u64 s[8:9], s[36:37], s[8:9]
	s_wait_xcnt 0x0
	v_cmpx_gt_u32_e64 s7, v2
	s_cbranch_execnz .LBB1142_660
; %bb.611:                              ;   in Loop: Header=BB1142_607 Depth=2
	s_or_b32 exec_lo, exec_lo, s11
	s_delay_alu instid0(SALU_CYCLE_1)
	s_mov_b32 s11, exec_lo
	v_cmpx_gt_u32_e64 s7, v98
	s_cbranch_execnz .LBB1142_661
.LBB1142_612:                           ;   in Loop: Header=BB1142_607 Depth=2
	s_or_b32 exec_lo, exec_lo, s11
	s_delay_alu instid0(SALU_CYCLE_1)
	s_mov_b32 s11, exec_lo
	v_cmpx_gt_u32_e64 s7, v99
	s_cbranch_execnz .LBB1142_662
.LBB1142_613:                           ;   in Loop: Header=BB1142_607 Depth=2
	s_or_b32 exec_lo, exec_lo, s11
	s_delay_alu instid0(SALU_CYCLE_1)
	s_mov_b32 s11, exec_lo
	v_cmpx_gt_u32_e64 s7, v100
	s_cbranch_execnz .LBB1142_663
.LBB1142_614:                           ;   in Loop: Header=BB1142_607 Depth=2
	s_or_b32 exec_lo, exec_lo, s11
	s_delay_alu instid0(SALU_CYCLE_1)
	s_mov_b32 s11, exec_lo
	v_cmpx_gt_u32_e64 s7, v101
	s_cbranch_execnz .LBB1142_664
.LBB1142_615:                           ;   in Loop: Header=BB1142_607 Depth=2
	s_or_b32 exec_lo, exec_lo, s11
	s_delay_alu instid0(SALU_CYCLE_1)
	s_mov_b32 s11, exec_lo
	v_cmpx_gt_u32_e64 s7, v102
	s_cbranch_execnz .LBB1142_665
.LBB1142_616:                           ;   in Loop: Header=BB1142_607 Depth=2
	s_or_b32 exec_lo, exec_lo, s11
	s_delay_alu instid0(SALU_CYCLE_1)
	s_mov_b32 s11, exec_lo
	v_cmpx_gt_u32_e64 s7, v103
	s_cbranch_execnz .LBB1142_666
.LBB1142_617:                           ;   in Loop: Header=BB1142_607 Depth=2
	s_or_b32 exec_lo, exec_lo, s11
	s_delay_alu instid0(SALU_CYCLE_1)
	s_mov_b32 s11, exec_lo
	v_cmpx_gt_u32_e64 s7, v104
	s_cbranch_execnz .LBB1142_667
.LBB1142_618:                           ;   in Loop: Header=BB1142_607 Depth=2
	s_or_b32 exec_lo, exec_lo, s11
	s_delay_alu instid0(SALU_CYCLE_1)
	s_mov_b32 s11, exec_lo
	v_cmpx_gt_u32_e64 s7, v105
	s_cbranch_execnz .LBB1142_668
.LBB1142_619:                           ;   in Loop: Header=BB1142_607 Depth=2
	s_or_b32 exec_lo, exec_lo, s11
	s_delay_alu instid0(SALU_CYCLE_1)
	s_mov_b32 s11, exec_lo
	v_cmpx_gt_u32_e64 s7, v106
	s_cbranch_execnz .LBB1142_669
.LBB1142_620:                           ;   in Loop: Header=BB1142_607 Depth=2
	s_or_b32 exec_lo, exec_lo, s11
	s_delay_alu instid0(SALU_CYCLE_1)
	s_mov_b32 s11, exec_lo
	v_cmpx_gt_u32_e64 s7, v107
	s_cbranch_execnz .LBB1142_670
.LBB1142_621:                           ;   in Loop: Header=BB1142_607 Depth=2
	s_or_b32 exec_lo, exec_lo, s11
	s_delay_alu instid0(SALU_CYCLE_1)
	s_mov_b32 s11, exec_lo
	v_cmpx_gt_u32_e64 s7, v108
	s_cbranch_execnz .LBB1142_671
.LBB1142_622:                           ;   in Loop: Header=BB1142_607 Depth=2
	s_or_b32 exec_lo, exec_lo, s11
	s_delay_alu instid0(SALU_CYCLE_1)
	s_mov_b32 s11, exec_lo
	v_cmpx_gt_u32_e64 s7, v109
	s_cbranch_execnz .LBB1142_672
.LBB1142_623:                           ;   in Loop: Header=BB1142_607 Depth=2
	s_or_b32 exec_lo, exec_lo, s11
	s_delay_alu instid0(SALU_CYCLE_1)
	s_mov_b32 s11, exec_lo
	v_cmpx_gt_u32_e64 s7, v110
	s_cbranch_execnz .LBB1142_673
.LBB1142_624:                           ;   in Loop: Header=BB1142_607 Depth=2
	s_or_b32 exec_lo, exec_lo, s11
	s_delay_alu instid0(SALU_CYCLE_1)
	s_mov_b32 s11, exec_lo
	v_cmpx_gt_u32_e64 s7, v111
	s_cbranch_execnz .LBB1142_674
.LBB1142_625:                           ;   in Loop: Header=BB1142_607 Depth=2
	s_or_b32 exec_lo, exec_lo, s11
	s_delay_alu instid0(SALU_CYCLE_1)
	s_mov_b32 s11, exec_lo
	v_cmpx_gt_u32_e64 s7, v112
	s_cbranch_execz .LBB1142_627
.LBB1142_626:                           ;   in Loop: Header=BB1142_607 Depth=2
	global_load_b64 v[22:23], v2, s[8:9] offset:30720 scale_offset
.LBB1142_627:                           ;   in Loop: Header=BB1142_607 Depth=2
	s_wait_xcnt 0x0
	s_or_b32 exec_lo, exec_lo, s11
	s_wait_loadcnt 0x0
	v_mov_b64_e32 v[54:55], v[52:53]
	v_mov_b64_e32 v[56:57], v[50:51]
	;; [unrolled: 1-line block ×16, first 2 shown]
	s_mov_b32 s8, s7
.LBB1142_628:                           ;   in Loop: Header=BB1142_607 Depth=2
	s_wait_loadcnt 0x0
	s_delay_alu instid0(VALU_DEP_1) | instskip(NEXT) | instid1(VALU_DEP_3)
	v_mov_b64_e32 v[22:23], v[84:85]
	v_mov_b64_e32 v[24:25], v[82:83]
	;; [unrolled: 1-line block ×16, first 2 shown]
	s_mov_b32 s9, exec_lo
	s_wait_xcnt 0x0
	v_cmpx_gt_u32_e64 s8, v2
	s_cbranch_execnz .LBB1142_644
; %bb.629:                              ;   in Loop: Header=BB1142_607 Depth=2
	s_or_b32 exec_lo, exec_lo, s9
	s_delay_alu instid0(SALU_CYCLE_1)
	s_mov_b32 s9, exec_lo
	v_cmpx_gt_u32_e64 s8, v98
	s_cbranch_execnz .LBB1142_645
.LBB1142_630:                           ;   in Loop: Header=BB1142_607 Depth=2
	s_or_b32 exec_lo, exec_lo, s9
	s_delay_alu instid0(SALU_CYCLE_1)
	s_mov_b32 s9, exec_lo
	v_cmpx_gt_u32_e64 s8, v99
	s_cbranch_execnz .LBB1142_646
.LBB1142_631:                           ;   in Loop: Header=BB1142_607 Depth=2
	s_or_b32 exec_lo, exec_lo, s9
	s_delay_alu instid0(SALU_CYCLE_1)
	s_mov_b32 s9, exec_lo
	v_cmpx_gt_u32_e64 s8, v100
	s_cbranch_execnz .LBB1142_647
.LBB1142_632:                           ;   in Loop: Header=BB1142_607 Depth=2
	s_or_b32 exec_lo, exec_lo, s9
	s_delay_alu instid0(SALU_CYCLE_1)
	s_mov_b32 s9, exec_lo
	v_cmpx_gt_u32_e64 s8, v101
	s_cbranch_execnz .LBB1142_648
.LBB1142_633:                           ;   in Loop: Header=BB1142_607 Depth=2
	s_or_b32 exec_lo, exec_lo, s9
	s_delay_alu instid0(SALU_CYCLE_1)
	s_mov_b32 s9, exec_lo
	v_cmpx_gt_u32_e64 s8, v102
	s_cbranch_execnz .LBB1142_649
.LBB1142_634:                           ;   in Loop: Header=BB1142_607 Depth=2
	s_or_b32 exec_lo, exec_lo, s9
	s_delay_alu instid0(SALU_CYCLE_1)
	s_mov_b32 s9, exec_lo
	v_cmpx_gt_u32_e64 s8, v103
	s_cbranch_execnz .LBB1142_650
.LBB1142_635:                           ;   in Loop: Header=BB1142_607 Depth=2
	s_or_b32 exec_lo, exec_lo, s9
	s_delay_alu instid0(SALU_CYCLE_1)
	s_mov_b32 s9, exec_lo
	v_cmpx_gt_u32_e64 s8, v104
	s_cbranch_execnz .LBB1142_651
.LBB1142_636:                           ;   in Loop: Header=BB1142_607 Depth=2
	s_or_b32 exec_lo, exec_lo, s9
	s_delay_alu instid0(SALU_CYCLE_1)
	s_mov_b32 s9, exec_lo
	v_cmpx_gt_u32_e64 s8, v105
	s_cbranch_execnz .LBB1142_652
.LBB1142_637:                           ;   in Loop: Header=BB1142_607 Depth=2
	s_or_b32 exec_lo, exec_lo, s9
	s_delay_alu instid0(SALU_CYCLE_1)
	s_mov_b32 s9, exec_lo
	v_cmpx_gt_u32_e64 s8, v106
	s_cbranch_execnz .LBB1142_653
.LBB1142_638:                           ;   in Loop: Header=BB1142_607 Depth=2
	s_or_b32 exec_lo, exec_lo, s9
	s_delay_alu instid0(SALU_CYCLE_1)
	s_mov_b32 s9, exec_lo
	v_cmpx_gt_u32_e64 s8, v107
	s_cbranch_execnz .LBB1142_654
.LBB1142_639:                           ;   in Loop: Header=BB1142_607 Depth=2
	s_or_b32 exec_lo, exec_lo, s9
	s_delay_alu instid0(SALU_CYCLE_1)
	s_mov_b32 s9, exec_lo
	v_cmpx_gt_u32_e64 s8, v108
	s_cbranch_execnz .LBB1142_655
.LBB1142_640:                           ;   in Loop: Header=BB1142_607 Depth=2
	s_or_b32 exec_lo, exec_lo, s9
	s_delay_alu instid0(SALU_CYCLE_1)
	s_mov_b32 s9, exec_lo
	v_cmpx_gt_u32_e64 s8, v109
	s_cbranch_execnz .LBB1142_656
.LBB1142_641:                           ;   in Loop: Header=BB1142_607 Depth=2
	s_or_b32 exec_lo, exec_lo, s9
	s_delay_alu instid0(SALU_CYCLE_1)
	s_mov_b32 s9, exec_lo
	v_cmpx_gt_u32_e64 s8, v110
	s_cbranch_execnz .LBB1142_657
.LBB1142_642:                           ;   in Loop: Header=BB1142_607 Depth=2
	s_or_b32 exec_lo, exec_lo, s9
	s_delay_alu instid0(SALU_CYCLE_1)
	s_mov_b32 s9, exec_lo
	v_cmpx_gt_u32_e64 s8, v111
	s_cbranch_execnz .LBB1142_658
.LBB1142_643:                           ;   in Loop: Header=BB1142_607 Depth=2
	s_or_b32 exec_lo, exec_lo, s9
	v_cmp_gt_u32_e32 vcc_lo, s8, v112
	s_and_saveexec_b32 s8, vcc_lo
	s_cbranch_execz .LBB1142_606
	s_branch .LBB1142_659
.LBB1142_644:                           ;   in Loop: Header=BB1142_607 Depth=2
	s_delay_alu instid0(VALU_DEP_2) | instskip(SKIP_1) | instid1(VALU_DEP_1)
	v_cmp_gt_i64_e32 vcc_lo, 0, v[52:53]
	v_cndmask_b32_e64 v55, 0x7fffffff, 0, vcc_lo
	v_dual_ashrrev_i32 v54, 31, v53 :: v_dual_bitop2_b32 v55, v55, v53 bitop3:0x14
	s_delay_alu instid0(VALU_DEP_1) | instskip(NEXT) | instid1(VALU_DEP_1)
	v_not_b32_e32 v54, v54
	v_xor_b32_e32 v54, v54, v52
	s_delay_alu instid0(VALU_DEP_1) | instskip(SKIP_2) | instid1(VALU_DEP_1)
	v_cmp_ne_u64_e32 vcc_lo, s[42:43], v[54:55]
	v_cndmask_b32_e32 v55, 0x7fffffff, v55, vcc_lo
	v_cndmask_b32_e32 v54, -1, v54, vcc_lo
	v_lshrrev_b64 v[54:55], s48, v[54:55]
	s_delay_alu instid0(VALU_DEP_1) | instskip(NEXT) | instid1(VALU_DEP_1)
	v_and_b32_e32 v54, s55, v54
	v_lshl_or_b32 v54, v54, 4, v113
	ds_add_u32 v54, v125
	s_or_b32 exec_lo, exec_lo, s9
	s_delay_alu instid0(SALU_CYCLE_1)
	s_mov_b32 s9, exec_lo
	v_cmpx_gt_u32_e64 s8, v98
	s_cbranch_execz .LBB1142_630
.LBB1142_645:                           ;   in Loop: Header=BB1142_607 Depth=2
	v_cmp_gt_i64_e32 vcc_lo, 0, v[50:51]
	v_cndmask_b32_e64 v55, 0x7fffffff, 0, vcc_lo
	s_delay_alu instid0(VALU_DEP_1) | instskip(NEXT) | instid1(VALU_DEP_1)
	v_dual_ashrrev_i32 v54, 31, v51 :: v_dual_bitop2_b32 v55, v55, v51 bitop3:0x14
	v_not_b32_e32 v54, v54
	s_delay_alu instid0(VALU_DEP_1) | instskip(NEXT) | instid1(VALU_DEP_1)
	v_xor_b32_e32 v54, v54, v50
	v_cmp_ne_u64_e32 vcc_lo, s[42:43], v[54:55]
	v_cndmask_b32_e32 v55, 0x7fffffff, v55, vcc_lo
	v_cndmask_b32_e32 v54, -1, v54, vcc_lo
	s_delay_alu instid0(VALU_DEP_1) | instskip(NEXT) | instid1(VALU_DEP_1)
	v_lshrrev_b64 v[54:55], s48, v[54:55]
	v_and_b32_e32 v54, s55, v54
	s_delay_alu instid0(VALU_DEP_1) | instskip(SKIP_2) | instid1(SALU_CYCLE_1)
	v_lshl_or_b32 v54, v54, 4, v113
	ds_add_u32 v54, v125
	s_or_b32 exec_lo, exec_lo, s9
	s_mov_b32 s9, exec_lo
	v_cmpx_gt_u32_e64 s8, v99
	s_cbranch_execz .LBB1142_631
.LBB1142_646:                           ;   in Loop: Header=BB1142_607 Depth=2
	v_cmp_gt_i64_e32 vcc_lo, 0, v[48:49]
	v_cndmask_b32_e64 v55, 0x7fffffff, 0, vcc_lo
	s_delay_alu instid0(VALU_DEP_1) | instskip(NEXT) | instid1(VALU_DEP_1)
	v_dual_ashrrev_i32 v54, 31, v49 :: v_dual_bitop2_b32 v55, v55, v49 bitop3:0x14
	v_not_b32_e32 v54, v54
	s_delay_alu instid0(VALU_DEP_1) | instskip(NEXT) | instid1(VALU_DEP_1)
	v_xor_b32_e32 v54, v54, v48
	v_cmp_ne_u64_e32 vcc_lo, s[42:43], v[54:55]
	v_cndmask_b32_e32 v55, 0x7fffffff, v55, vcc_lo
	v_cndmask_b32_e32 v54, -1, v54, vcc_lo
	s_delay_alu instid0(VALU_DEP_1) | instskip(NEXT) | instid1(VALU_DEP_1)
	v_lshrrev_b64 v[54:55], s48, v[54:55]
	v_and_b32_e32 v54, s55, v54
	s_delay_alu instid0(VALU_DEP_1) | instskip(SKIP_2) | instid1(SALU_CYCLE_1)
	v_lshl_or_b32 v54, v54, 4, v113
	ds_add_u32 v54, v125
	s_or_b32 exec_lo, exec_lo, s9
	s_mov_b32 s9, exec_lo
	v_cmpx_gt_u32_e64 s8, v100
	s_cbranch_execz .LBB1142_632
.LBB1142_647:                           ;   in Loop: Header=BB1142_607 Depth=2
	v_cmp_gt_i64_e32 vcc_lo, 0, v[46:47]
	v_cndmask_b32_e64 v55, 0x7fffffff, 0, vcc_lo
	s_delay_alu instid0(VALU_DEP_1) | instskip(NEXT) | instid1(VALU_DEP_1)
	v_dual_ashrrev_i32 v54, 31, v47 :: v_dual_bitop2_b32 v55, v55, v47 bitop3:0x14
	v_not_b32_e32 v54, v54
	s_delay_alu instid0(VALU_DEP_1) | instskip(NEXT) | instid1(VALU_DEP_1)
	v_xor_b32_e32 v54, v54, v46
	v_cmp_ne_u64_e32 vcc_lo, s[42:43], v[54:55]
	v_cndmask_b32_e32 v55, 0x7fffffff, v55, vcc_lo
	v_cndmask_b32_e32 v54, -1, v54, vcc_lo
	s_delay_alu instid0(VALU_DEP_1) | instskip(NEXT) | instid1(VALU_DEP_1)
	v_lshrrev_b64 v[54:55], s48, v[54:55]
	v_and_b32_e32 v54, s55, v54
	s_delay_alu instid0(VALU_DEP_1) | instskip(SKIP_2) | instid1(SALU_CYCLE_1)
	v_lshl_or_b32 v54, v54, 4, v113
	ds_add_u32 v54, v125
	s_or_b32 exec_lo, exec_lo, s9
	s_mov_b32 s9, exec_lo
	v_cmpx_gt_u32_e64 s8, v101
	s_cbranch_execz .LBB1142_633
.LBB1142_648:                           ;   in Loop: Header=BB1142_607 Depth=2
	v_cmp_gt_i64_e32 vcc_lo, 0, v[44:45]
	v_cndmask_b32_e64 v55, 0x7fffffff, 0, vcc_lo
	s_delay_alu instid0(VALU_DEP_1) | instskip(NEXT) | instid1(VALU_DEP_1)
	v_dual_ashrrev_i32 v54, 31, v45 :: v_dual_bitop2_b32 v55, v55, v45 bitop3:0x14
	v_not_b32_e32 v54, v54
	s_delay_alu instid0(VALU_DEP_1) | instskip(NEXT) | instid1(VALU_DEP_1)
	v_xor_b32_e32 v54, v54, v44
	v_cmp_ne_u64_e32 vcc_lo, s[42:43], v[54:55]
	v_cndmask_b32_e32 v55, 0x7fffffff, v55, vcc_lo
	v_cndmask_b32_e32 v54, -1, v54, vcc_lo
	s_delay_alu instid0(VALU_DEP_1) | instskip(NEXT) | instid1(VALU_DEP_1)
	v_lshrrev_b64 v[54:55], s48, v[54:55]
	v_and_b32_e32 v54, s55, v54
	s_delay_alu instid0(VALU_DEP_1) | instskip(SKIP_2) | instid1(SALU_CYCLE_1)
	v_lshl_or_b32 v54, v54, 4, v113
	ds_add_u32 v54, v125
	s_or_b32 exec_lo, exec_lo, s9
	s_mov_b32 s9, exec_lo
	v_cmpx_gt_u32_e64 s8, v102
	s_cbranch_execz .LBB1142_634
.LBB1142_649:                           ;   in Loop: Header=BB1142_607 Depth=2
	v_cmp_gt_i64_e32 vcc_lo, 0, v[42:43]
	v_cndmask_b32_e64 v55, 0x7fffffff, 0, vcc_lo
	s_delay_alu instid0(VALU_DEP_1) | instskip(NEXT) | instid1(VALU_DEP_1)
	v_dual_ashrrev_i32 v54, 31, v43 :: v_dual_bitop2_b32 v55, v55, v43 bitop3:0x14
	v_not_b32_e32 v54, v54
	s_delay_alu instid0(VALU_DEP_1) | instskip(NEXT) | instid1(VALU_DEP_1)
	v_xor_b32_e32 v54, v54, v42
	v_cmp_ne_u64_e32 vcc_lo, s[42:43], v[54:55]
	v_cndmask_b32_e32 v55, 0x7fffffff, v55, vcc_lo
	v_cndmask_b32_e32 v54, -1, v54, vcc_lo
	s_delay_alu instid0(VALU_DEP_1) | instskip(NEXT) | instid1(VALU_DEP_1)
	v_lshrrev_b64 v[54:55], s48, v[54:55]
	v_and_b32_e32 v54, s55, v54
	s_delay_alu instid0(VALU_DEP_1) | instskip(SKIP_2) | instid1(SALU_CYCLE_1)
	v_lshl_or_b32 v54, v54, 4, v113
	ds_add_u32 v54, v125
	s_or_b32 exec_lo, exec_lo, s9
	s_mov_b32 s9, exec_lo
	v_cmpx_gt_u32_e64 s8, v103
	s_cbranch_execz .LBB1142_635
.LBB1142_650:                           ;   in Loop: Header=BB1142_607 Depth=2
	v_cmp_gt_i64_e32 vcc_lo, 0, v[40:41]
	v_cndmask_b32_e64 v55, 0x7fffffff, 0, vcc_lo
	s_delay_alu instid0(VALU_DEP_1) | instskip(NEXT) | instid1(VALU_DEP_1)
	v_dual_ashrrev_i32 v54, 31, v41 :: v_dual_bitop2_b32 v55, v55, v41 bitop3:0x14
	v_not_b32_e32 v54, v54
	s_delay_alu instid0(VALU_DEP_1) | instskip(NEXT) | instid1(VALU_DEP_1)
	v_xor_b32_e32 v54, v54, v40
	v_cmp_ne_u64_e32 vcc_lo, s[42:43], v[54:55]
	v_cndmask_b32_e32 v55, 0x7fffffff, v55, vcc_lo
	v_cndmask_b32_e32 v54, -1, v54, vcc_lo
	s_delay_alu instid0(VALU_DEP_1) | instskip(NEXT) | instid1(VALU_DEP_1)
	v_lshrrev_b64 v[54:55], s48, v[54:55]
	v_and_b32_e32 v54, s55, v54
	s_delay_alu instid0(VALU_DEP_1) | instskip(SKIP_2) | instid1(SALU_CYCLE_1)
	v_lshl_or_b32 v54, v54, 4, v113
	ds_add_u32 v54, v125
	s_or_b32 exec_lo, exec_lo, s9
	s_mov_b32 s9, exec_lo
	v_cmpx_gt_u32_e64 s8, v104
	s_cbranch_execz .LBB1142_636
.LBB1142_651:                           ;   in Loop: Header=BB1142_607 Depth=2
	v_cmp_gt_i64_e32 vcc_lo, 0, v[38:39]
	v_cndmask_b32_e64 v55, 0x7fffffff, 0, vcc_lo
	s_delay_alu instid0(VALU_DEP_1) | instskip(NEXT) | instid1(VALU_DEP_1)
	v_dual_ashrrev_i32 v54, 31, v39 :: v_dual_bitop2_b32 v55, v55, v39 bitop3:0x14
	v_not_b32_e32 v54, v54
	s_delay_alu instid0(VALU_DEP_1) | instskip(NEXT) | instid1(VALU_DEP_1)
	v_xor_b32_e32 v54, v54, v38
	v_cmp_ne_u64_e32 vcc_lo, s[42:43], v[54:55]
	v_cndmask_b32_e32 v55, 0x7fffffff, v55, vcc_lo
	v_cndmask_b32_e32 v54, -1, v54, vcc_lo
	s_delay_alu instid0(VALU_DEP_1) | instskip(NEXT) | instid1(VALU_DEP_1)
	v_lshrrev_b64 v[54:55], s48, v[54:55]
	v_and_b32_e32 v54, s55, v54
	s_delay_alu instid0(VALU_DEP_1) | instskip(SKIP_2) | instid1(SALU_CYCLE_1)
	v_lshl_or_b32 v54, v54, 4, v113
	ds_add_u32 v54, v125
	s_or_b32 exec_lo, exec_lo, s9
	s_mov_b32 s9, exec_lo
	v_cmpx_gt_u32_e64 s8, v105
	s_cbranch_execz .LBB1142_637
.LBB1142_652:                           ;   in Loop: Header=BB1142_607 Depth=2
	v_cmp_gt_i64_e32 vcc_lo, 0, v[36:37]
	v_cndmask_b32_e64 v55, 0x7fffffff, 0, vcc_lo
	s_delay_alu instid0(VALU_DEP_1) | instskip(NEXT) | instid1(VALU_DEP_1)
	v_dual_ashrrev_i32 v54, 31, v37 :: v_dual_bitop2_b32 v55, v55, v37 bitop3:0x14
	v_not_b32_e32 v54, v54
	s_delay_alu instid0(VALU_DEP_1) | instskip(NEXT) | instid1(VALU_DEP_1)
	v_xor_b32_e32 v54, v54, v36
	v_cmp_ne_u64_e32 vcc_lo, s[42:43], v[54:55]
	v_cndmask_b32_e32 v55, 0x7fffffff, v55, vcc_lo
	v_cndmask_b32_e32 v54, -1, v54, vcc_lo
	s_delay_alu instid0(VALU_DEP_1) | instskip(NEXT) | instid1(VALU_DEP_1)
	v_lshrrev_b64 v[54:55], s48, v[54:55]
	v_and_b32_e32 v54, s55, v54
	s_delay_alu instid0(VALU_DEP_1) | instskip(SKIP_2) | instid1(SALU_CYCLE_1)
	v_lshl_or_b32 v54, v54, 4, v113
	ds_add_u32 v54, v125
	s_or_b32 exec_lo, exec_lo, s9
	s_mov_b32 s9, exec_lo
	v_cmpx_gt_u32_e64 s8, v106
	s_cbranch_execz .LBB1142_638
.LBB1142_653:                           ;   in Loop: Header=BB1142_607 Depth=2
	v_cmp_gt_i64_e32 vcc_lo, 0, v[34:35]
	v_cndmask_b32_e64 v55, 0x7fffffff, 0, vcc_lo
	s_delay_alu instid0(VALU_DEP_1) | instskip(NEXT) | instid1(VALU_DEP_1)
	v_dual_ashrrev_i32 v54, 31, v35 :: v_dual_bitop2_b32 v55, v55, v35 bitop3:0x14
	v_not_b32_e32 v54, v54
	s_delay_alu instid0(VALU_DEP_1) | instskip(NEXT) | instid1(VALU_DEP_1)
	v_xor_b32_e32 v54, v54, v34
	v_cmp_ne_u64_e32 vcc_lo, s[42:43], v[54:55]
	v_cndmask_b32_e32 v55, 0x7fffffff, v55, vcc_lo
	v_cndmask_b32_e32 v54, -1, v54, vcc_lo
	s_delay_alu instid0(VALU_DEP_1) | instskip(NEXT) | instid1(VALU_DEP_1)
	v_lshrrev_b64 v[54:55], s48, v[54:55]
	v_and_b32_e32 v54, s55, v54
	s_delay_alu instid0(VALU_DEP_1) | instskip(SKIP_2) | instid1(SALU_CYCLE_1)
	v_lshl_or_b32 v54, v54, 4, v113
	ds_add_u32 v54, v125
	s_or_b32 exec_lo, exec_lo, s9
	s_mov_b32 s9, exec_lo
	v_cmpx_gt_u32_e64 s8, v107
	s_cbranch_execz .LBB1142_639
.LBB1142_654:                           ;   in Loop: Header=BB1142_607 Depth=2
	v_cmp_gt_i64_e32 vcc_lo, 0, v[32:33]
	v_cndmask_b32_e64 v55, 0x7fffffff, 0, vcc_lo
	s_delay_alu instid0(VALU_DEP_1) | instskip(NEXT) | instid1(VALU_DEP_1)
	v_dual_ashrrev_i32 v54, 31, v33 :: v_dual_bitop2_b32 v55, v55, v33 bitop3:0x14
	v_not_b32_e32 v54, v54
	s_delay_alu instid0(VALU_DEP_1) | instskip(NEXT) | instid1(VALU_DEP_1)
	v_xor_b32_e32 v54, v54, v32
	v_cmp_ne_u64_e32 vcc_lo, s[42:43], v[54:55]
	v_cndmask_b32_e32 v55, 0x7fffffff, v55, vcc_lo
	v_cndmask_b32_e32 v54, -1, v54, vcc_lo
	s_delay_alu instid0(VALU_DEP_1) | instskip(NEXT) | instid1(VALU_DEP_1)
	v_lshrrev_b64 v[54:55], s48, v[54:55]
	v_and_b32_e32 v54, s55, v54
	s_delay_alu instid0(VALU_DEP_1) | instskip(SKIP_2) | instid1(SALU_CYCLE_1)
	v_lshl_or_b32 v54, v54, 4, v113
	ds_add_u32 v54, v125
	s_or_b32 exec_lo, exec_lo, s9
	s_mov_b32 s9, exec_lo
	v_cmpx_gt_u32_e64 s8, v108
	s_cbranch_execz .LBB1142_640
.LBB1142_655:                           ;   in Loop: Header=BB1142_607 Depth=2
	v_cmp_gt_i64_e32 vcc_lo, 0, v[30:31]
	v_cndmask_b32_e64 v55, 0x7fffffff, 0, vcc_lo
	s_delay_alu instid0(VALU_DEP_1) | instskip(NEXT) | instid1(VALU_DEP_1)
	v_dual_ashrrev_i32 v54, 31, v31 :: v_dual_bitop2_b32 v55, v55, v31 bitop3:0x14
	v_not_b32_e32 v54, v54
	s_delay_alu instid0(VALU_DEP_1) | instskip(NEXT) | instid1(VALU_DEP_1)
	v_xor_b32_e32 v54, v54, v30
	v_cmp_ne_u64_e32 vcc_lo, s[42:43], v[54:55]
	v_cndmask_b32_e32 v55, 0x7fffffff, v55, vcc_lo
	v_cndmask_b32_e32 v54, -1, v54, vcc_lo
	s_delay_alu instid0(VALU_DEP_1) | instskip(NEXT) | instid1(VALU_DEP_1)
	v_lshrrev_b64 v[54:55], s48, v[54:55]
	v_and_b32_e32 v54, s55, v54
	s_delay_alu instid0(VALU_DEP_1) | instskip(SKIP_2) | instid1(SALU_CYCLE_1)
	v_lshl_or_b32 v54, v54, 4, v113
	ds_add_u32 v54, v125
	s_or_b32 exec_lo, exec_lo, s9
	s_mov_b32 s9, exec_lo
	v_cmpx_gt_u32_e64 s8, v109
	s_cbranch_execz .LBB1142_641
.LBB1142_656:                           ;   in Loop: Header=BB1142_607 Depth=2
	v_cmp_gt_i64_e32 vcc_lo, 0, v[28:29]
	v_cndmask_b32_e64 v55, 0x7fffffff, 0, vcc_lo
	s_delay_alu instid0(VALU_DEP_1) | instskip(NEXT) | instid1(VALU_DEP_1)
	v_dual_ashrrev_i32 v54, 31, v29 :: v_dual_bitop2_b32 v55, v55, v29 bitop3:0x14
	v_not_b32_e32 v54, v54
	s_delay_alu instid0(VALU_DEP_1) | instskip(NEXT) | instid1(VALU_DEP_1)
	v_xor_b32_e32 v54, v54, v28
	v_cmp_ne_u64_e32 vcc_lo, s[42:43], v[54:55]
	v_cndmask_b32_e32 v55, 0x7fffffff, v55, vcc_lo
	v_cndmask_b32_e32 v54, -1, v54, vcc_lo
	s_delay_alu instid0(VALU_DEP_1) | instskip(NEXT) | instid1(VALU_DEP_1)
	v_lshrrev_b64 v[54:55], s48, v[54:55]
	v_and_b32_e32 v54, s55, v54
	s_delay_alu instid0(VALU_DEP_1) | instskip(SKIP_2) | instid1(SALU_CYCLE_1)
	v_lshl_or_b32 v54, v54, 4, v113
	ds_add_u32 v54, v125
	s_or_b32 exec_lo, exec_lo, s9
	s_mov_b32 s9, exec_lo
	v_cmpx_gt_u32_e64 s8, v110
	s_cbranch_execz .LBB1142_642
.LBB1142_657:                           ;   in Loop: Header=BB1142_607 Depth=2
	v_cmp_gt_i64_e32 vcc_lo, 0, v[26:27]
	v_cndmask_b32_e64 v55, 0x7fffffff, 0, vcc_lo
	s_delay_alu instid0(VALU_DEP_1) | instskip(NEXT) | instid1(VALU_DEP_1)
	v_dual_ashrrev_i32 v54, 31, v27 :: v_dual_bitop2_b32 v55, v55, v27 bitop3:0x14
	v_not_b32_e32 v54, v54
	s_delay_alu instid0(VALU_DEP_1) | instskip(NEXT) | instid1(VALU_DEP_1)
	v_xor_b32_e32 v54, v54, v26
	v_cmp_ne_u64_e32 vcc_lo, s[42:43], v[54:55]
	v_cndmask_b32_e32 v55, 0x7fffffff, v55, vcc_lo
	v_cndmask_b32_e32 v54, -1, v54, vcc_lo
	s_delay_alu instid0(VALU_DEP_1) | instskip(NEXT) | instid1(VALU_DEP_1)
	v_lshrrev_b64 v[54:55], s48, v[54:55]
	v_and_b32_e32 v54, s55, v54
	s_delay_alu instid0(VALU_DEP_1) | instskip(SKIP_2) | instid1(SALU_CYCLE_1)
	v_lshl_or_b32 v54, v54, 4, v113
	ds_add_u32 v54, v125
	s_or_b32 exec_lo, exec_lo, s9
	s_mov_b32 s9, exec_lo
	v_cmpx_gt_u32_e64 s8, v111
	s_cbranch_execz .LBB1142_643
.LBB1142_658:                           ;   in Loop: Header=BB1142_607 Depth=2
	v_cmp_gt_i64_e32 vcc_lo, 0, v[24:25]
	v_cndmask_b32_e64 v55, 0x7fffffff, 0, vcc_lo
	s_delay_alu instid0(VALU_DEP_1) | instskip(NEXT) | instid1(VALU_DEP_1)
	v_dual_ashrrev_i32 v54, 31, v25 :: v_dual_bitop2_b32 v55, v55, v25 bitop3:0x14
	v_not_b32_e32 v54, v54
	s_delay_alu instid0(VALU_DEP_1) | instskip(NEXT) | instid1(VALU_DEP_1)
	v_xor_b32_e32 v54, v54, v24
	v_cmp_ne_u64_e32 vcc_lo, s[42:43], v[54:55]
	v_cndmask_b32_e32 v55, 0x7fffffff, v55, vcc_lo
	v_cndmask_b32_e32 v54, -1, v54, vcc_lo
	s_delay_alu instid0(VALU_DEP_1) | instskip(NEXT) | instid1(VALU_DEP_1)
	v_lshrrev_b64 v[54:55], s48, v[54:55]
	v_and_b32_e32 v54, s55, v54
	s_delay_alu instid0(VALU_DEP_1)
	v_lshl_or_b32 v54, v54, 4, v113
	ds_add_u32 v54, v125
	s_or_b32 exec_lo, exec_lo, s9
	v_cmp_gt_u32_e32 vcc_lo, s8, v112
	s_and_saveexec_b32 s8, vcc_lo
	s_cbranch_execz .LBB1142_606
.LBB1142_659:                           ;   in Loop: Header=BB1142_607 Depth=2
	v_cmp_gt_i64_e32 vcc_lo, 0, v[22:23]
	v_cndmask_b32_e64 v55, 0x7fffffff, 0, vcc_lo
	s_delay_alu instid0(VALU_DEP_1) | instskip(NEXT) | instid1(VALU_DEP_1)
	v_dual_ashrrev_i32 v54, 31, v23 :: v_dual_bitop2_b32 v55, v55, v23 bitop3:0x14
	v_not_b32_e32 v54, v54
	s_delay_alu instid0(VALU_DEP_1) | instskip(NEXT) | instid1(VALU_DEP_1)
	v_xor_b32_e32 v54, v54, v22
	v_cmp_ne_u64_e32 vcc_lo, s[42:43], v[54:55]
	v_cndmask_b32_e32 v55, 0x7fffffff, v55, vcc_lo
	v_cndmask_b32_e32 v54, -1, v54, vcc_lo
	s_delay_alu instid0(VALU_DEP_1) | instskip(NEXT) | instid1(VALU_DEP_1)
	v_lshrrev_b64 v[54:55], s48, v[54:55]
	v_and_b32_e32 v54, s55, v54
	s_delay_alu instid0(VALU_DEP_1)
	v_lshl_or_b32 v54, v54, 4, v113
	ds_add_u32 v54, v125
	s_branch .LBB1142_606
.LBB1142_660:                           ;   in Loop: Header=BB1142_607 Depth=2
	global_load_b64 v[52:53], v2, s[8:9] scale_offset
	s_wait_xcnt 0x0
	s_or_b32 exec_lo, exec_lo, s11
	s_delay_alu instid0(SALU_CYCLE_1)
	s_mov_b32 s11, exec_lo
	v_cmpx_gt_u32_e64 s7, v98
	s_cbranch_execz .LBB1142_612
.LBB1142_661:                           ;   in Loop: Header=BB1142_607 Depth=2
	global_load_b64 v[50:51], v2, s[8:9] offset:2048 scale_offset
	s_wait_xcnt 0x0
	s_or_b32 exec_lo, exec_lo, s11
	s_delay_alu instid0(SALU_CYCLE_1)
	s_mov_b32 s11, exec_lo
	v_cmpx_gt_u32_e64 s7, v99
	s_cbranch_execz .LBB1142_613
.LBB1142_662:                           ;   in Loop: Header=BB1142_607 Depth=2
	global_load_b64 v[48:49], v2, s[8:9] offset:4096 scale_offset
	s_wait_xcnt 0x0
	s_or_b32 exec_lo, exec_lo, s11
	s_delay_alu instid0(SALU_CYCLE_1)
	s_mov_b32 s11, exec_lo
	v_cmpx_gt_u32_e64 s7, v100
	s_cbranch_execz .LBB1142_614
.LBB1142_663:                           ;   in Loop: Header=BB1142_607 Depth=2
	global_load_b64 v[46:47], v2, s[8:9] offset:6144 scale_offset
	s_wait_xcnt 0x0
	s_or_b32 exec_lo, exec_lo, s11
	s_delay_alu instid0(SALU_CYCLE_1)
	s_mov_b32 s11, exec_lo
	v_cmpx_gt_u32_e64 s7, v101
	s_cbranch_execz .LBB1142_615
.LBB1142_664:                           ;   in Loop: Header=BB1142_607 Depth=2
	global_load_b64 v[44:45], v2, s[8:9] offset:8192 scale_offset
	s_wait_xcnt 0x0
	s_or_b32 exec_lo, exec_lo, s11
	s_delay_alu instid0(SALU_CYCLE_1)
	s_mov_b32 s11, exec_lo
	v_cmpx_gt_u32_e64 s7, v102
	s_cbranch_execz .LBB1142_616
.LBB1142_665:                           ;   in Loop: Header=BB1142_607 Depth=2
	global_load_b64 v[42:43], v2, s[8:9] offset:10240 scale_offset
	s_wait_xcnt 0x0
	s_or_b32 exec_lo, exec_lo, s11
	s_delay_alu instid0(SALU_CYCLE_1)
	s_mov_b32 s11, exec_lo
	v_cmpx_gt_u32_e64 s7, v103
	s_cbranch_execz .LBB1142_617
.LBB1142_666:                           ;   in Loop: Header=BB1142_607 Depth=2
	global_load_b64 v[40:41], v2, s[8:9] offset:12288 scale_offset
	s_wait_xcnt 0x0
	s_or_b32 exec_lo, exec_lo, s11
	s_delay_alu instid0(SALU_CYCLE_1)
	s_mov_b32 s11, exec_lo
	v_cmpx_gt_u32_e64 s7, v104
	s_cbranch_execz .LBB1142_618
.LBB1142_667:                           ;   in Loop: Header=BB1142_607 Depth=2
	global_load_b64 v[38:39], v2, s[8:9] offset:14336 scale_offset
	s_wait_xcnt 0x0
	s_or_b32 exec_lo, exec_lo, s11
	s_delay_alu instid0(SALU_CYCLE_1)
	s_mov_b32 s11, exec_lo
	v_cmpx_gt_u32_e64 s7, v105
	s_cbranch_execz .LBB1142_619
.LBB1142_668:                           ;   in Loop: Header=BB1142_607 Depth=2
	global_load_b64 v[36:37], v2, s[8:9] offset:16384 scale_offset
	s_wait_xcnt 0x0
	s_or_b32 exec_lo, exec_lo, s11
	s_delay_alu instid0(SALU_CYCLE_1)
	s_mov_b32 s11, exec_lo
	v_cmpx_gt_u32_e64 s7, v106
	s_cbranch_execz .LBB1142_620
.LBB1142_669:                           ;   in Loop: Header=BB1142_607 Depth=2
	global_load_b64 v[34:35], v2, s[8:9] offset:18432 scale_offset
	s_wait_xcnt 0x0
	s_or_b32 exec_lo, exec_lo, s11
	s_delay_alu instid0(SALU_CYCLE_1)
	s_mov_b32 s11, exec_lo
	v_cmpx_gt_u32_e64 s7, v107
	s_cbranch_execz .LBB1142_621
.LBB1142_670:                           ;   in Loop: Header=BB1142_607 Depth=2
	global_load_b64 v[32:33], v2, s[8:9] offset:20480 scale_offset
	s_wait_xcnt 0x0
	s_or_b32 exec_lo, exec_lo, s11
	s_delay_alu instid0(SALU_CYCLE_1)
	s_mov_b32 s11, exec_lo
	v_cmpx_gt_u32_e64 s7, v108
	s_cbranch_execz .LBB1142_622
.LBB1142_671:                           ;   in Loop: Header=BB1142_607 Depth=2
	global_load_b64 v[30:31], v2, s[8:9] offset:22528 scale_offset
	s_wait_xcnt 0x0
	s_or_b32 exec_lo, exec_lo, s11
	s_delay_alu instid0(SALU_CYCLE_1)
	s_mov_b32 s11, exec_lo
	v_cmpx_gt_u32_e64 s7, v109
	s_cbranch_execz .LBB1142_623
.LBB1142_672:                           ;   in Loop: Header=BB1142_607 Depth=2
	global_load_b64 v[28:29], v2, s[8:9] offset:24576 scale_offset
	s_wait_xcnt 0x0
	s_or_b32 exec_lo, exec_lo, s11
	s_delay_alu instid0(SALU_CYCLE_1)
	s_mov_b32 s11, exec_lo
	v_cmpx_gt_u32_e64 s7, v110
	s_cbranch_execz .LBB1142_624
.LBB1142_673:                           ;   in Loop: Header=BB1142_607 Depth=2
	global_load_b64 v[26:27], v2, s[8:9] offset:26624 scale_offset
	s_wait_xcnt 0x0
	s_or_b32 exec_lo, exec_lo, s11
	s_delay_alu instid0(SALU_CYCLE_1)
	s_mov_b32 s11, exec_lo
	v_cmpx_gt_u32_e64 s7, v111
	s_cbranch_execz .LBB1142_625
.LBB1142_674:                           ;   in Loop: Header=BB1142_607 Depth=2
	global_load_b64 v[24:25], v2, s[8:9] offset:28672 scale_offset
	s_wait_xcnt 0x0
	s_or_b32 exec_lo, exec_lo, s11
	s_delay_alu instid0(SALU_CYCLE_1)
	s_mov_b32 s11, exec_lo
	v_cmpx_gt_u32_e64 s7, v112
	s_cbranch_execnz .LBB1142_626
	s_branch .LBB1142_627
.LBB1142_675:                           ;   in Loop: Header=BB1142_17 Depth=1
	v_mov_b32_e32 v22, 0
	s_wait_dscnt 0x0
	s_barrier_signal -1
	s_barrier_wait -1
	s_and_saveexec_b32 s7, s0
	s_cbranch_execz .LBB1142_677
; %bb.676:                              ;   in Loop: Header=BB1142_17 Depth=1
	ds_load_2addr_b64 v[22:25], v115 offset1:1
	s_wait_dscnt 0x0
	v_add_nc_u32_e32 v22, v23, v22
	s_delay_alu instid0(VALU_DEP_1)
	v_add3_u32 v22, v22, v24, v25
.LBB1142_677:                           ;   in Loop: Header=BB1142_17 Depth=1
	s_or_b32 exec_lo, exec_lo, s7
	s_delay_alu instid0(VALU_DEP_1)
	v_mov_b32_dpp v23, v22 row_shr:1 row_mask:0xf bank_mask:0xf
	v_cmp_eq_u32_e64 s7, 0, v126
	v_cmp_lt_u32_e64 s8, 1, v126
	v_cmp_lt_u32_e64 s9, 3, v126
	;; [unrolled: 1-line block ×3, first 2 shown]
	v_cmp_eq_u32_e64 s11, 0, v128
	v_cndmask_b32_e64 v23, v23, 0, s7
	s_delay_alu instid0(VALU_DEP_1) | instskip(NEXT) | instid1(VALU_DEP_1)
	v_add_nc_u32_e32 v22, v23, v22
	v_mov_b32_dpp v23, v22 row_shr:2 row_mask:0xf bank_mask:0xf
	s_delay_alu instid0(VALU_DEP_1) | instskip(NEXT) | instid1(VALU_DEP_1)
	v_cndmask_b32_e64 v23, 0, v23, s8
	v_add_nc_u32_e32 v22, v22, v23
	s_delay_alu instid0(VALU_DEP_1) | instskip(NEXT) | instid1(VALU_DEP_1)
	v_mov_b32_dpp v23, v22 row_shr:4 row_mask:0xf bank_mask:0xf
	v_cndmask_b32_e64 v23, 0, v23, s9
	s_delay_alu instid0(VALU_DEP_1) | instskip(NEXT) | instid1(VALU_DEP_1)
	v_add_nc_u32_e32 v22, v22, v23
	v_mov_b32_dpp v23, v22 row_shr:8 row_mask:0xf bank_mask:0xf
	s_delay_alu instid0(VALU_DEP_1) | instskip(NEXT) | instid1(VALU_DEP_1)
	v_cndmask_b32_e64 v23, 0, v23, s10
	v_add_nc_u32_e32 v22, v22, v23
	ds_swizzle_b32 v23, v22 offset:swizzle(BROADCAST,32,15)
	s_wait_dscnt 0x0
	v_and_b32_e32 v23, v127, v23
	s_delay_alu instid0(VALU_DEP_1)
	v_add_nc_u32_e32 v22, v22, v23
	s_and_saveexec_b32 s12, s1
; %bb.678:                              ;   in Loop: Header=BB1142_17 Depth=1
	ds_store_b32 v116, v22
; %bb.679:                              ;   in Loop: Header=BB1142_17 Depth=1
	s_or_b32 exec_lo, exec_lo, s12
	s_wait_dscnt 0x0
	s_barrier_signal -1
	s_barrier_wait -1
	s_and_saveexec_b32 s12, s4
	s_cbranch_execz .LBB1142_681
; %bb.680:                              ;   in Loop: Header=BB1142_17 Depth=1
	ds_load_b32 v23, v117
	v_cmp_ne_u32_e32 vcc_lo, 0, v130
	s_wait_dscnt 0x0
	v_mov_b32_dpp v24, v23 row_shr:1 row_mask:0xf bank_mask:0xf
	s_delay_alu instid0(VALU_DEP_1) | instskip(SKIP_1) | instid1(VALU_DEP_2)
	v_cndmask_b32_e32 v24, 0, v24, vcc_lo
	v_cmp_lt_u32_e32 vcc_lo, 1, v130
	v_add_nc_u32_e32 v23, v24, v23
	s_delay_alu instid0(VALU_DEP_1) | instskip(NEXT) | instid1(VALU_DEP_1)
	v_mov_b32_dpp v24, v23 row_shr:2 row_mask:0xf bank_mask:0xf
	v_cndmask_b32_e32 v24, 0, v24, vcc_lo
	v_cmp_lt_u32_e32 vcc_lo, 3, v130
	s_delay_alu instid0(VALU_DEP_2) | instskip(NEXT) | instid1(VALU_DEP_1)
	v_add_nc_u32_e32 v23, v23, v24
	v_mov_b32_dpp v24, v23 row_shr:4 row_mask:0xf bank_mask:0xf
	s_delay_alu instid0(VALU_DEP_1) | instskip(NEXT) | instid1(VALU_DEP_1)
	v_cndmask_b32_e32 v24, 0, v24, vcc_lo
	v_add_nc_u32_e32 v23, v23, v24
	ds_store_b32 v117, v23
.LBB1142_681:                           ;   in Loop: Header=BB1142_17 Depth=1
	s_or_b32 exec_lo, exec_lo, s12
	v_mov_b32_e32 v23, 0
	s_wait_dscnt 0x0
	s_barrier_signal -1
	s_barrier_wait -1
	s_and_saveexec_b32 s12, s5
; %bb.682:                              ;   in Loop: Header=BB1142_17 Depth=1
	ds_load_b32 v23, v118
; %bb.683:                              ;   in Loop: Header=BB1142_17 Depth=1
	s_or_b32 exec_lo, exec_lo, s12
	v_cmp_gt_i32_e32 vcc_lo, 0, v131
	s_wait_dscnt 0x0
	s_barrier_signal -1
	s_barrier_wait -1
	v_cndmask_b32_e32 v24, v131, v124, vcc_lo
	s_delay_alu instid0(VALU_DEP_1)
	v_dual_add_nc_u32 v22, v23, v22 :: v_dual_lshlrev_b32 v147, 2, v24
	ds_bpermute_b32 v22, v147, v22
	s_and_saveexec_b32 s12, s0
	s_cbranch_execz .LBB1142_685
; %bb.684:                              ;   in Loop: Header=BB1142_17 Depth=1
	s_wait_dscnt 0x0
	v_cndmask_b32_e64 v22, v22, v23, s6
	s_delay_alu instid0(VALU_DEP_1)
	v_add_nc_u32_e32 v22, s56, v22
	ds_store_b32 v3, v22
.LBB1142_685:                           ;   in Loop: Header=BB1142_17 Depth=1
	s_or_b32 exec_lo, exec_lo, s12
	s_load_b64 s[12:13], s[52:53], 0x0
	v_add_nc_u64_e32 v[24:25], v[20:21], v[4:5]
	s_mov_b32 s59, s58
                                        ; implicit-def: $vgpr28_vgpr29
                                        ; implicit-def: $vgpr30_vgpr31
                                        ; implicit-def: $vgpr32_vgpr33
                                        ; implicit-def: $vgpr34_vgpr35
                                        ; implicit-def: $vgpr36_vgpr37
                                        ; implicit-def: $vgpr38_vgpr39
                                        ; implicit-def: $vgpr40_vgpr41
                                        ; implicit-def: $vgpr42_vgpr43
                                        ; implicit-def: $vgpr44_vgpr45
                                        ; implicit-def: $vgpr46_vgpr47
                                        ; implicit-def: $vgpr48_vgpr49
                                        ; implicit-def: $vgpr50_vgpr51
                                        ; implicit-def: $vgpr52_vgpr53
                                        ; implicit-def: $vgpr54_vgpr55
                                        ; implicit-def: $vgpr56_vgpr57
                                        ; implicit-def: $vgpr149
                                        ; implicit-def: $vgpr150
                                        ; implicit-def: $vgpr151
                                        ; implicit-def: $vgpr152
                                        ; implicit-def: $vgpr153
                                        ; implicit-def: $vgpr154
                                        ; implicit-def: $vgpr155
                                        ; implicit-def: $vgpr156
                                        ; implicit-def: $vgpr157
                                        ; implicit-def: $vgpr158
                                        ; implicit-def: $vgpr159
                                        ; implicit-def: $vgpr160
                                        ; implicit-def: $vgpr161
                                        ; implicit-def: $vgpr162
                                        ; implicit-def: $vgpr163
                                        ; implicit-def: $vgpr164
	s_wait_kmcnt 0x0
	s_cmp_lt_u32 s33, s12
	s_cselect_b32 s34, 12, 18
	s_cmp_lt_u32 s31, s13
	s_mov_b32 s13, s35
	s_cselect_b32 s12, 14, 20
	s_delay_alu instid0(SALU_CYCLE_1)
	s_add_nc_u64 s[12:13], s[52:53], s[12:13]
	s_load_u16 s14, s[12:13], 0x0
	s_wait_xcnt 0x0
	s_add_nc_u64 s[12:13], s[52:53], s[34:35]
	s_mov_b32 s34, s56
	s_load_u16 s12, s[12:13], 0x0
	s_wait_xcnt 0x0
	v_cmp_lt_u32_e64 s13, 1, v130
	s_wait_dscnt 0x0
	s_wait_kmcnt 0x0
	v_mad_u32_u24 v22, v119, s14, v121
	v_cmp_lt_u32_e64 s14, 3, v130
	s_delay_alu instid0(VALU_DEP_2) | instskip(SKIP_1) | instid1(VALU_DEP_2)
	v_mad_u32 v22, v22, s12, v2
	v_cmp_eq_u32_e64 s12, 0, v130
	v_lshrrev_b32_e32 v26, 3, v22
	v_add_nc_u64_e32 v[22:23], v[18:19], v[4:5]
	s_delay_alu instid0(VALU_DEP_2)
	v_and_b32_e32 v148, 0x1ffffffc, v26
                                        ; implicit-def: $vgpr26_vgpr27
	s_branch .LBB1142_687
.LBB1142_686:                           ;   in Loop: Header=BB1142_687 Depth=2
	s_or_b32 exec_lo, exec_lo, s15
	s_addk_co_i32 s59, 0xf000
	s_cmp_lt_u32 s60, s51
	s_mov_b32 s34, s60
	s_cbranch_scc0 .LBB1142_895
.LBB1142_687:                           ;   Parent Loop BB1142_17 Depth=1
                                        ; =>  This Inner Loop Header: Depth=2
	s_add_co_i32 s60, s34, 0x1000
	s_delay_alu instid0(SALU_CYCLE_1)
	s_cmp_gt_u32 s60, s51
	s_cbranch_scc1 .LBB1142_689
; %bb.688:                              ;   in Loop: Header=BB1142_687 Depth=2
	v_lshl_add_u64 v[66:67], s[34:35], 3, v[24:25]
	s_mov_b32 s15, -1
	s_clause 0xe
	global_load_b64 v[58:59], v[66:67], off
	global_load_b64 v[60:61], v[66:67], off offset:256
	global_load_b64 v[62:63], v[66:67], off offset:512
	;; [unrolled: 1-line block ×14, first 2 shown]
	s_movk_i32 s16, 0x1000
	s_cbranch_execz .LBB1142_690
	s_branch .LBB1142_721
.LBB1142_689:                           ;   in Loop: Header=BB1142_687 Depth=2
	s_mov_b32 s15, 0
                                        ; implicit-def: $vgpr58_vgpr59
                                        ; implicit-def: $vgpr60_vgpr61
                                        ; implicit-def: $vgpr62_vgpr63
                                        ; implicit-def: $vgpr70_vgpr71
                                        ; implicit-def: $vgpr74_vgpr75
                                        ; implicit-def: $vgpr78_vgpr79
                                        ; implicit-def: $vgpr82_vgpr83
                                        ; implicit-def: $vgpr86_vgpr87
                                        ; implicit-def: $vgpr88_vgpr89
                                        ; implicit-def: $vgpr84_vgpr85
                                        ; implicit-def: $vgpr80_vgpr81
                                        ; implicit-def: $vgpr76_vgpr77
                                        ; implicit-def: $vgpr72_vgpr73
                                        ; implicit-def: $vgpr68_vgpr69
                                        ; implicit-def: $vgpr64_vgpr65
	s_movk_i32 s16, 0x1000
.LBB1142_690:                           ;   in Loop: Header=BB1142_687 Depth=2
	s_wait_loadcnt 0xd
	v_mov_b64_e32 v[60:61], -1
	v_mov_b64_e32 v[58:59], -1
	s_wait_xcnt 0x0
	v_lshl_add_u64 v[66:67], s[34:35], 3, v[24:25]
	s_mov_b32 s15, exec_lo
	v_cmpx_gt_u32_e64 s59, v129
	s_cbranch_execz .LBB1142_692
; %bb.691:                              ;   in Loop: Header=BB1142_687 Depth=2
	global_load_b64 v[58:59], v[66:67], off
.LBB1142_692:                           ;   in Loop: Header=BB1142_687 Depth=2
	s_wait_xcnt 0x0
	s_or_b32 exec_lo, exec_lo, s15
	s_delay_alu instid0(SALU_CYCLE_1)
	s_mov_b32 s15, exec_lo
	v_cmpx_gt_u32_e64 s59, v132
	s_cbranch_execz .LBB1142_694
; %bb.693:                              ;   in Loop: Header=BB1142_687 Depth=2
	global_load_b64 v[60:61], v[66:67], off offset:256
.LBB1142_694:                           ;   in Loop: Header=BB1142_687 Depth=2
	s_wait_xcnt 0x0
	s_or_b32 exec_lo, exec_lo, s15
	s_wait_loadcnt 0xb
	v_mov_b64_e32 v[70:71], -1
	v_mov_b64_e32 v[62:63], -1
	s_mov_b32 s15, exec_lo
	v_cmpx_gt_u32_e64 s59, v133
	s_cbranch_execz .LBB1142_696
; %bb.695:                              ;   in Loop: Header=BB1142_687 Depth=2
	global_load_b64 v[62:63], v[66:67], off offset:512
.LBB1142_696:                           ;   in Loop: Header=BB1142_687 Depth=2
	s_wait_xcnt 0x0
	s_or_b32 exec_lo, exec_lo, s15
	s_delay_alu instid0(SALU_CYCLE_1)
	s_mov_b32 s15, exec_lo
	v_cmpx_gt_u32_e64 s59, v134
	s_cbranch_execz .LBB1142_698
; %bb.697:                              ;   in Loop: Header=BB1142_687 Depth=2
	global_load_b64 v[70:71], v[66:67], off offset:768
.LBB1142_698:                           ;   in Loop: Header=BB1142_687 Depth=2
	s_wait_xcnt 0x0
	s_or_b32 exec_lo, exec_lo, s15
	s_wait_loadcnt 0x9
	v_mov_b64_e32 v[78:79], -1
	v_mov_b64_e32 v[74:75], -1
	s_mov_b32 s15, exec_lo
	v_cmpx_gt_u32_e64 s59, v135
	s_cbranch_execz .LBB1142_700
; %bb.699:                              ;   in Loop: Header=BB1142_687 Depth=2
	global_load_b64 v[74:75], v[66:67], off offset:1024
.LBB1142_700:                           ;   in Loop: Header=BB1142_687 Depth=2
	;; [unrolled: 20-line block ×6, first 2 shown]
	s_wait_xcnt 0x0
	s_or_b32 exec_lo, exec_lo, s15
	s_delay_alu instid0(SALU_CYCLE_1)
	s_mov_b32 s15, exec_lo
	v_cmpx_gt_u32_e64 s59, v144
	s_cbranch_execz .LBB1142_718
; %bb.717:                              ;   in Loop: Header=BB1142_687 Depth=2
	global_load_b64 v[68:69], v[66:67], off offset:3328
.LBB1142_718:                           ;   in Loop: Header=BB1142_687 Depth=2
	s_wait_xcnt 0x0
	s_or_b32 exec_lo, exec_lo, s15
	s_wait_loadcnt 0x0
	v_mov_b64_e32 v[64:65], -1
	s_mov_b32 s15, exec_lo
	v_cmpx_gt_u32_e64 s59, v145
	s_cbranch_execz .LBB1142_720
; %bb.719:                              ;   in Loop: Header=BB1142_687 Depth=2
	global_load_b64 v[64:65], v[66:67], off offset:3584
.LBB1142_720:                           ;   in Loop: Header=BB1142_687 Depth=2
	s_wait_xcnt 0x0
	s_or_b32 exec_lo, exec_lo, s15
	v_cmp_gt_u32_e64 s15, s59, v146
	s_sub_co_i32 s16, s51, s34
.LBB1142_721:                           ;   in Loop: Header=BB1142_687 Depth=2
	s_wait_xcnt 0x0
	v_mov_b64_e32 v[66:67], -1
	v_mov_b32_e32 v165, s59
	s_and_saveexec_b32 s17, s15
	s_cbranch_execz .LBB1142_723
; %bb.722:                              ;   in Loop: Header=BB1142_687 Depth=2
	v_lshl_add_u64 v[66:67], s[34:35], 3, v[24:25]
	v_mov_b32_e32 v165, s16
	global_load_b64 v[66:67], v[66:67], off offset:3840
.LBB1142_723:                           ;   in Loop: Header=BB1142_687 Depth=2
	s_wait_xcnt 0x0
	s_or_b32 exec_lo, exec_lo, s17
	s_wait_loadcnt 0xe
	v_cmp_gt_i64_e32 vcc_lo, 0, v[58:59]
	v_add_nc_u32_e32 v168, 0x420, v120
	v_add_nc_u32_e32 v169, 0x428, v120
	;; [unrolled: 1-line block ×3, first 2 shown]
	v_cndmask_b32_e64 v91, 0x7fffffff, 0, vcc_lo
	s_delay_alu instid0(VALU_DEP_1) | instskip(NEXT) | instid1(VALU_DEP_1)
	v_dual_ashrrev_i32 v90, 31, v59 :: v_dual_bitop2_b32 v59, v91, v59 bitop3:0x14
	v_not_b32_e32 v90, v90
	s_delay_alu instid0(VALU_DEP_1) | instskip(NEXT) | instid1(VALU_DEP_1)
	v_xor_b32_e32 v58, v90, v58
	v_cmp_ne_u64_e32 vcc_lo, s[42:43], v[58:59]
	v_cndmask_b32_e32 v91, 0x7fffffff, v59, vcc_lo
	v_cndmask_b32_e32 v90, -1, v58, vcc_lo
	s_delay_alu instid0(VALU_DEP_1) | instskip(NEXT) | instid1(VALU_DEP_1)
	v_lshrrev_b64 v[90:91], s48, v[90:91]
	v_bitop3_b32 v91, v90, 1, s55 bitop3:0x80
	v_and_b32_e32 v92, s55, v90
	s_delay_alu instid0(VALU_DEP_2) | instskip(NEXT) | instid1(VALU_DEP_1)
	v_add_co_u32 v90, s15, v91, -1
	v_cndmask_b32_e64 v91, 0, 1, s15
	s_delay_alu instid0(VALU_DEP_3) | instskip(NEXT) | instid1(VALU_DEP_2)
	v_lshlrev_b32_e32 v93, 30, v92
	v_cmp_ne_u32_e32 vcc_lo, 0, v91
	s_delay_alu instid0(VALU_DEP_2) | instskip(SKIP_1) | instid1(VALU_DEP_2)
	v_not_b32_e32 v91, v93
	v_cmp_gt_i32_e64 s15, 0, v93
	v_dual_ashrrev_i32 v91, 31, v91 :: v_dual_lshlrev_b32 v94, 29, v92
	v_dual_lshlrev_b32 v95, 28, v92 :: v_dual_lshlrev_b32 v96, 27, v92
	v_dual_lshlrev_b32 v97, 26, v92 :: v_dual_lshlrev_b32 v166, 25, v92
	v_lshlrev_b32_e32 v167, 24, v92
	s_delay_alu instid0(VALU_DEP_4)
	v_cmp_gt_i32_e64 s16, 0, v94
	v_not_b32_e32 v93, v94
	v_not_b32_e32 v94, v95
	v_cmp_gt_i32_e64 s17, 0, v95
	v_cmp_gt_i32_e64 s18, 0, v96
	v_not_b32_e32 v95, v96
	v_not_b32_e32 v96, v97
	v_dual_ashrrev_i32 v93, 31, v93 :: v_dual_bitop2_b32 v90, vcc_lo, v90 bitop3:0x14
	v_dual_ashrrev_i32 v94, 31, v94 :: v_dual_bitop2_b32 v91, s15, v91 bitop3:0x14
	v_cmp_gt_i32_e64 s19, 0, v97
	v_cmp_gt_i32_e64 s20, 0, v166
	v_not_b32_e32 v97, v166
	v_not_b32_e32 v166, v167
	v_dual_ashrrev_i32 v95, 31, v95 :: v_dual_ashrrev_i32 v96, 31, v96
	v_xor_b32_e32 v93, s16, v93
	v_xor_b32_e32 v94, s17, v94
	v_bitop3_b32 v90, v90, v91, exec_lo bitop3:0x80
	v_cmp_gt_i32_e64 s21, 0, v167
	v_dual_ashrrev_i32 v91, 31, v97 :: v_dual_ashrrev_i32 v97, 31, v166
	v_xor_b32_e32 v95, s18, v95
	v_xor_b32_e32 v96, s19, v96
	v_bitop3_b32 v90, v90, v94, v93 bitop3:0x80
	s_delay_alu instid0(VALU_DEP_4) | instskip(SKIP_2) | instid1(VALU_DEP_4)
	v_xor_b32_e32 v91, s20, v91
	v_xor_b32_e32 v93, s21, v97
	v_add_nc_u32_e32 v167, 0x438, v120
	v_bitop3_b32 v90, v90, v96, v95 bitop3:0x80
	ds_store_2addr_b32 v167, v5, v5 offset1:1
	ds_store_2addr_b32 v168, v5, v5 offset1:1
	ds_store_2addr_b32 v169, v5, v5 offset1:1
	ds_store_2addr_b32 v170, v5, v5 offset1:1
	ds_store_b32 v120, v5 offset:1088
	v_bitop3_b32 v90, v90, v93, v91 bitop3:0x80
	v_mul_u32_u24_e32 v91, 36, v92
	s_wait_loadcnt_dscnt 0x0
	s_barrier_signal -1
	s_barrier_wait -1
	v_mbcnt_lo_u32_b32 v166, v90, 0
	v_cmp_ne_u32_e64 s15, 0, v90
	v_add_nc_u32_e32 v171, v148, v91
	s_delay_alu instid0(VALU_DEP_3) | instskip(SKIP_1) | instid1(SALU_CYCLE_1)
	v_cmp_eq_u32_e32 vcc_lo, 0, v166
	; wave barrier
	s_and_b32 s16, s15, vcc_lo
	s_and_saveexec_b32 s15, s16
; %bb.724:                              ;   in Loop: Header=BB1142_687 Depth=2
	v_bcnt_u32_b32 v90, v90, 0
	ds_store_b32 v171, v90 offset:1056
; %bb.725:                              ;   in Loop: Header=BB1142_687 Depth=2
	s_or_b32 exec_lo, exec_lo, s15
	v_cmp_gt_i64_e32 vcc_lo, 0, v[60:61]
	; wave barrier
	v_cndmask_b32_e64 v91, 0x7fffffff, 0, vcc_lo
	s_delay_alu instid0(VALU_DEP_1) | instskip(NEXT) | instid1(VALU_DEP_1)
	v_dual_ashrrev_i32 v90, 31, v61 :: v_dual_bitop2_b32 v61, v91, v61 bitop3:0x14
	v_not_b32_e32 v90, v90
	s_delay_alu instid0(VALU_DEP_1) | instskip(NEXT) | instid1(VALU_DEP_1)
	v_xor_b32_e32 v60, v90, v60
	v_cmp_ne_u64_e32 vcc_lo, s[42:43], v[60:61]
	v_cndmask_b32_e32 v91, 0x7fffffff, v61, vcc_lo
	v_cndmask_b32_e32 v90, -1, v60, vcc_lo
	s_delay_alu instid0(VALU_DEP_1) | instskip(NEXT) | instid1(VALU_DEP_1)
	v_lshrrev_b64 v[90:91], s48, v[90:91]
	v_bitop3_b32 v91, v90, 1, s55 bitop3:0x80
	v_and_b32_e32 v92, s55, v90
	s_delay_alu instid0(VALU_DEP_2) | instskip(NEXT) | instid1(VALU_DEP_1)
	v_add_co_u32 v90, s15, v91, -1
	v_cndmask_b32_e64 v91, 0, 1, s15
	s_delay_alu instid0(VALU_DEP_3) | instskip(SKIP_1) | instid1(VALU_DEP_3)
	v_dual_lshlrev_b32 v93, 30, v92 :: v_dual_lshlrev_b32 v95, 28, v92
	v_dual_lshlrev_b32 v94, 29, v92 :: v_dual_lshlrev_b32 v96, 27, v92
	v_cmp_ne_u32_e32 vcc_lo, 0, v91
	s_delay_alu instid0(VALU_DEP_3) | instskip(SKIP_1) | instid1(VALU_DEP_4)
	v_cmp_gt_i32_e64 s15, 0, v93
	v_not_b32_e32 v91, v93
	v_cmp_gt_i32_e64 s16, 0, v94
	v_not_b32_e32 v93, v94
	;; [unrolled: 2-line block ×3, first 2 shown]
	v_not_b32_e32 v95, v96
	s_delay_alu instid0(VALU_DEP_4) | instskip(NEXT) | instid1(VALU_DEP_2)
	v_dual_ashrrev_i32 v91, 31, v91 :: v_dual_ashrrev_i32 v93, 31, v93
	v_dual_ashrrev_i32 v94, 31, v94 :: v_dual_ashrrev_i32 v95, 31, v95
	v_dual_lshlrev_b32 v97, 26, v92 :: v_dual_lshlrev_b32 v172, 25, v92
	v_lshlrev_b32_e32 v173, 24, v92
	v_cmp_gt_i32_e64 s18, 0, v96
	v_xor_b32_e32 v91, s15, v91
	s_delay_alu instid0(VALU_DEP_4)
	v_not_b32_e32 v96, v97
	v_xor_b32_e32 v90, vcc_lo, v90
	v_cmp_gt_i32_e64 s19, 0, v97
	v_cmp_gt_i32_e64 s20, 0, v172
	v_not_b32_e32 v97, v172
	v_not_b32_e32 v172, v173
	v_dual_ashrrev_i32 v96, 31, v96 :: v_dual_bitop2_b32 v93, s16, v93 bitop3:0x14
	v_xor_b32_e32 v94, s17, v94
	v_bitop3_b32 v90, v90, v91, exec_lo bitop3:0x80
	v_cmp_gt_i32_e64 s21, 0, v173
	v_dual_ashrrev_i32 v91, 31, v97 :: v_dual_ashrrev_i32 v97, 31, v172
	v_xor_b32_e32 v95, s18, v95
	v_xor_b32_e32 v96, s19, v96
	v_bitop3_b32 v90, v90, v94, v93 bitop3:0x80
	v_mad_u32_u24 v93, v92, 36, v148
	v_xor_b32_e32 v91, s20, v91
	v_xor_b32_e32 v94, s21, v97
	s_delay_alu instid0(VALU_DEP_4) | instskip(SKIP_3) | instid1(VALU_DEP_2)
	v_bitop3_b32 v90, v90, v96, v95 bitop3:0x80
	ds_load_b32 v172, v93 offset:1056
	; wave barrier
	v_bitop3_b32 v90, v90, v94, v91 bitop3:0x80
	v_mul_u32_u24_e32 v91, 36, v92
	v_mbcnt_lo_u32_b32 v173, v90, 0
	v_cmp_ne_u32_e64 s15, 0, v90
	s_delay_alu instid0(VALU_DEP_3) | instskip(NEXT) | instid1(VALU_DEP_3)
	v_add_nc_u32_e32 v174, v148, v91
	v_cmp_eq_u32_e32 vcc_lo, 0, v173
	s_and_b32 s16, s15, vcc_lo
	s_delay_alu instid0(SALU_CYCLE_1)
	s_and_saveexec_b32 s15, s16
	s_cbranch_execz .LBB1142_727
; %bb.726:                              ;   in Loop: Header=BB1142_687 Depth=2
	s_wait_dscnt 0x0
	v_bcnt_u32_b32 v90, v90, v172
	ds_store_b32 v174, v90 offset:1056
.LBB1142_727:                           ;   in Loop: Header=BB1142_687 Depth=2
	s_or_b32 exec_lo, exec_lo, s15
	v_cmp_gt_i64_e32 vcc_lo, 0, v[62:63]
	; wave barrier
	v_cndmask_b32_e64 v91, 0x7fffffff, 0, vcc_lo
	s_delay_alu instid0(VALU_DEP_1) | instskip(NEXT) | instid1(VALU_DEP_1)
	v_dual_ashrrev_i32 v90, 31, v63 :: v_dual_bitop2_b32 v63, v91, v63 bitop3:0x14
	v_not_b32_e32 v90, v90
	s_delay_alu instid0(VALU_DEP_1) | instskip(NEXT) | instid1(VALU_DEP_1)
	v_xor_b32_e32 v62, v90, v62
	v_cmp_ne_u64_e32 vcc_lo, s[42:43], v[62:63]
	v_cndmask_b32_e32 v91, 0x7fffffff, v63, vcc_lo
	v_cndmask_b32_e32 v90, -1, v62, vcc_lo
	s_delay_alu instid0(VALU_DEP_1) | instskip(NEXT) | instid1(VALU_DEP_1)
	v_lshrrev_b64 v[90:91], s48, v[90:91]
	v_bitop3_b32 v91, v90, 1, s55 bitop3:0x80
	v_and_b32_e32 v92, s55, v90
	s_delay_alu instid0(VALU_DEP_2) | instskip(NEXT) | instid1(VALU_DEP_1)
	v_add_co_u32 v90, s15, v91, -1
	v_cndmask_b32_e64 v91, 0, 1, s15
	s_delay_alu instid0(VALU_DEP_3) | instskip(NEXT) | instid1(VALU_DEP_2)
	v_lshlrev_b32_e32 v93, 30, v92
	v_cmp_ne_u32_e32 vcc_lo, 0, v91
	s_delay_alu instid0(VALU_DEP_2) | instskip(SKIP_1) | instid1(VALU_DEP_2)
	v_not_b32_e32 v91, v93
	v_cmp_gt_i32_e64 s15, 0, v93
	v_dual_ashrrev_i32 v91, 31, v91 :: v_dual_lshlrev_b32 v94, 29, v92
	v_dual_lshlrev_b32 v95, 28, v92 :: v_dual_lshlrev_b32 v96, 27, v92
	v_dual_lshlrev_b32 v97, 26, v92 :: v_dual_lshlrev_b32 v175, 25, v92
	v_lshlrev_b32_e32 v176, 24, v92
	s_delay_alu instid0(VALU_DEP_4)
	v_cmp_gt_i32_e64 s16, 0, v94
	v_not_b32_e32 v93, v94
	v_not_b32_e32 v94, v95
	v_cmp_gt_i32_e64 s17, 0, v95
	v_cmp_gt_i32_e64 s18, 0, v96
	v_not_b32_e32 v95, v96
	v_not_b32_e32 v96, v97
	v_dual_ashrrev_i32 v93, 31, v93 :: v_dual_bitop2_b32 v90, vcc_lo, v90 bitop3:0x14
	v_dual_ashrrev_i32 v94, 31, v94 :: v_dual_bitop2_b32 v91, s15, v91 bitop3:0x14
	v_cmp_gt_i32_e64 s19, 0, v97
	v_cmp_gt_i32_e64 s20, 0, v175
	v_not_b32_e32 v97, v175
	v_not_b32_e32 v175, v176
	v_dual_ashrrev_i32 v95, 31, v95 :: v_dual_ashrrev_i32 v96, 31, v96
	v_xor_b32_e32 v93, s16, v93
	v_xor_b32_e32 v94, s17, v94
	v_bitop3_b32 v90, v90, v91, exec_lo bitop3:0x80
	v_cmp_gt_i32_e64 s21, 0, v176
	v_dual_ashrrev_i32 v91, 31, v97 :: v_dual_ashrrev_i32 v97, 31, v175
	v_xor_b32_e32 v95, s18, v95
	v_xor_b32_e32 v96, s19, v96
	v_bitop3_b32 v90, v90, v94, v93 bitop3:0x80
	v_mad_u32_u24 v93, v92, 36, v148
	v_xor_b32_e32 v91, s20, v91
	v_xor_b32_e32 v94, s21, v97
	s_delay_alu instid0(VALU_DEP_4) | instskip(SKIP_3) | instid1(VALU_DEP_2)
	v_bitop3_b32 v90, v90, v96, v95 bitop3:0x80
	ds_load_b32 v175, v93 offset:1056
	; wave barrier
	v_bitop3_b32 v90, v90, v94, v91 bitop3:0x80
	v_mul_u32_u24_e32 v91, 36, v92
	v_mbcnt_lo_u32_b32 v176, v90, 0
	v_cmp_ne_u32_e64 s15, 0, v90
	s_delay_alu instid0(VALU_DEP_3) | instskip(NEXT) | instid1(VALU_DEP_3)
	v_add_nc_u32_e32 v177, v148, v91
	v_cmp_eq_u32_e32 vcc_lo, 0, v176
	s_and_b32 s16, s15, vcc_lo
	s_delay_alu instid0(SALU_CYCLE_1)
	s_and_saveexec_b32 s15, s16
	s_cbranch_execz .LBB1142_729
; %bb.728:                              ;   in Loop: Header=BB1142_687 Depth=2
	s_wait_dscnt 0x0
	v_bcnt_u32_b32 v90, v90, v175
	ds_store_b32 v177, v90 offset:1056
.LBB1142_729:                           ;   in Loop: Header=BB1142_687 Depth=2
	s_or_b32 exec_lo, exec_lo, s15
	v_cmp_gt_i64_e32 vcc_lo, 0, v[70:71]
	; wave barrier
	v_cndmask_b32_e64 v91, 0x7fffffff, 0, vcc_lo
	s_delay_alu instid0(VALU_DEP_1) | instskip(NEXT) | instid1(VALU_DEP_1)
	v_dual_ashrrev_i32 v90, 31, v71 :: v_dual_bitop2_b32 v71, v91, v71 bitop3:0x14
	v_not_b32_e32 v90, v90
	s_delay_alu instid0(VALU_DEP_1) | instskip(NEXT) | instid1(VALU_DEP_1)
	v_xor_b32_e32 v70, v90, v70
	v_cmp_ne_u64_e32 vcc_lo, s[42:43], v[70:71]
	v_cndmask_b32_e32 v91, 0x7fffffff, v71, vcc_lo
	v_cndmask_b32_e32 v90, -1, v70, vcc_lo
	s_delay_alu instid0(VALU_DEP_1) | instskip(NEXT) | instid1(VALU_DEP_1)
	v_lshrrev_b64 v[90:91], s48, v[90:91]
	v_bitop3_b32 v91, v90, 1, s55 bitop3:0x80
	v_and_b32_e32 v92, s55, v90
	s_delay_alu instid0(VALU_DEP_2) | instskip(NEXT) | instid1(VALU_DEP_1)
	v_add_co_u32 v90, s15, v91, -1
	v_cndmask_b32_e64 v91, 0, 1, s15
	s_delay_alu instid0(VALU_DEP_3) | instskip(NEXT) | instid1(VALU_DEP_2)
	v_lshlrev_b32_e32 v93, 30, v92
	v_cmp_ne_u32_e32 vcc_lo, 0, v91
	s_delay_alu instid0(VALU_DEP_2) | instskip(SKIP_1) | instid1(VALU_DEP_2)
	v_not_b32_e32 v91, v93
	v_cmp_gt_i32_e64 s15, 0, v93
	v_dual_ashrrev_i32 v91, 31, v91 :: v_dual_lshlrev_b32 v94, 29, v92
	v_dual_lshlrev_b32 v95, 28, v92 :: v_dual_lshlrev_b32 v96, 27, v92
	v_dual_lshlrev_b32 v97, 26, v92 :: v_dual_lshlrev_b32 v178, 25, v92
	v_lshlrev_b32_e32 v179, 24, v92
	s_delay_alu instid0(VALU_DEP_4)
	v_cmp_gt_i32_e64 s16, 0, v94
	v_not_b32_e32 v93, v94
	v_not_b32_e32 v94, v95
	v_cmp_gt_i32_e64 s17, 0, v95
	v_cmp_gt_i32_e64 s18, 0, v96
	v_not_b32_e32 v95, v96
	v_not_b32_e32 v96, v97
	v_dual_ashrrev_i32 v93, 31, v93 :: v_dual_bitop2_b32 v90, vcc_lo, v90 bitop3:0x14
	v_dual_ashrrev_i32 v94, 31, v94 :: v_dual_bitop2_b32 v91, s15, v91 bitop3:0x14
	v_cmp_gt_i32_e64 s19, 0, v97
	v_cmp_gt_i32_e64 s20, 0, v178
	v_not_b32_e32 v97, v178
	v_not_b32_e32 v178, v179
	v_dual_ashrrev_i32 v95, 31, v95 :: v_dual_ashrrev_i32 v96, 31, v96
	v_xor_b32_e32 v93, s16, v93
	v_xor_b32_e32 v94, s17, v94
	v_bitop3_b32 v90, v90, v91, exec_lo bitop3:0x80
	v_cmp_gt_i32_e64 s21, 0, v179
	v_dual_ashrrev_i32 v91, 31, v97 :: v_dual_ashrrev_i32 v97, 31, v178
	v_xor_b32_e32 v95, s18, v95
	v_xor_b32_e32 v96, s19, v96
	v_bitop3_b32 v90, v90, v94, v93 bitop3:0x80
	v_mad_u32_u24 v93, v92, 36, v148
	v_xor_b32_e32 v91, s20, v91
	v_xor_b32_e32 v94, s21, v97
	s_delay_alu instid0(VALU_DEP_4) | instskip(SKIP_3) | instid1(VALU_DEP_2)
	v_bitop3_b32 v90, v90, v96, v95 bitop3:0x80
	ds_load_b32 v178, v93 offset:1056
	; wave barrier
	v_bitop3_b32 v90, v90, v94, v91 bitop3:0x80
	v_mul_u32_u24_e32 v91, 36, v92
	v_mbcnt_lo_u32_b32 v179, v90, 0
	v_cmp_ne_u32_e64 s15, 0, v90
	s_delay_alu instid0(VALU_DEP_3) | instskip(NEXT) | instid1(VALU_DEP_3)
	v_add_nc_u32_e32 v180, v148, v91
	v_cmp_eq_u32_e32 vcc_lo, 0, v179
	s_and_b32 s16, s15, vcc_lo
	s_delay_alu instid0(SALU_CYCLE_1)
	s_and_saveexec_b32 s15, s16
	s_cbranch_execz .LBB1142_731
; %bb.730:                              ;   in Loop: Header=BB1142_687 Depth=2
	s_wait_dscnt 0x0
	v_bcnt_u32_b32 v90, v90, v178
	ds_store_b32 v180, v90 offset:1056
.LBB1142_731:                           ;   in Loop: Header=BB1142_687 Depth=2
	s_or_b32 exec_lo, exec_lo, s15
	v_cmp_gt_i64_e32 vcc_lo, 0, v[74:75]
	; wave barrier
	v_cndmask_b32_e64 v91, 0x7fffffff, 0, vcc_lo
	s_delay_alu instid0(VALU_DEP_1) | instskip(NEXT) | instid1(VALU_DEP_1)
	v_dual_ashrrev_i32 v90, 31, v75 :: v_dual_bitop2_b32 v75, v91, v75 bitop3:0x14
	v_not_b32_e32 v90, v90
	s_delay_alu instid0(VALU_DEP_1) | instskip(NEXT) | instid1(VALU_DEP_1)
	v_xor_b32_e32 v74, v90, v74
	v_cmp_ne_u64_e32 vcc_lo, s[42:43], v[74:75]
	v_cndmask_b32_e32 v91, 0x7fffffff, v75, vcc_lo
	v_cndmask_b32_e32 v90, -1, v74, vcc_lo
	s_delay_alu instid0(VALU_DEP_1) | instskip(NEXT) | instid1(VALU_DEP_1)
	v_lshrrev_b64 v[90:91], s48, v[90:91]
	v_bitop3_b32 v91, v90, 1, s55 bitop3:0x80
	v_and_b32_e32 v92, s55, v90
	s_delay_alu instid0(VALU_DEP_2) | instskip(NEXT) | instid1(VALU_DEP_1)
	v_add_co_u32 v90, s15, v91, -1
	v_cndmask_b32_e64 v91, 0, 1, s15
	s_delay_alu instid0(VALU_DEP_3) | instskip(NEXT) | instid1(VALU_DEP_2)
	v_lshlrev_b32_e32 v93, 30, v92
	v_cmp_ne_u32_e32 vcc_lo, 0, v91
	s_delay_alu instid0(VALU_DEP_2) | instskip(SKIP_1) | instid1(VALU_DEP_2)
	v_not_b32_e32 v91, v93
	v_cmp_gt_i32_e64 s15, 0, v93
	v_dual_ashrrev_i32 v91, 31, v91 :: v_dual_lshlrev_b32 v94, 29, v92
	v_dual_lshlrev_b32 v95, 28, v92 :: v_dual_lshlrev_b32 v96, 27, v92
	v_dual_lshlrev_b32 v97, 26, v92 :: v_dual_lshlrev_b32 v181, 25, v92
	v_lshlrev_b32_e32 v182, 24, v92
	s_delay_alu instid0(VALU_DEP_4)
	v_cmp_gt_i32_e64 s16, 0, v94
	v_not_b32_e32 v93, v94
	v_not_b32_e32 v94, v95
	v_cmp_gt_i32_e64 s17, 0, v95
	v_cmp_gt_i32_e64 s18, 0, v96
	v_not_b32_e32 v95, v96
	v_not_b32_e32 v96, v97
	v_dual_ashrrev_i32 v93, 31, v93 :: v_dual_bitop2_b32 v90, vcc_lo, v90 bitop3:0x14
	v_dual_ashrrev_i32 v94, 31, v94 :: v_dual_bitop2_b32 v91, s15, v91 bitop3:0x14
	v_cmp_gt_i32_e64 s19, 0, v97
	v_cmp_gt_i32_e64 s20, 0, v181
	v_not_b32_e32 v97, v181
	v_not_b32_e32 v181, v182
	v_dual_ashrrev_i32 v95, 31, v95 :: v_dual_ashrrev_i32 v96, 31, v96
	v_xor_b32_e32 v93, s16, v93
	v_xor_b32_e32 v94, s17, v94
	v_bitop3_b32 v90, v90, v91, exec_lo bitop3:0x80
	v_cmp_gt_i32_e64 s21, 0, v182
	v_ashrrev_i32_e32 v91, 31, v97
	v_dual_ashrrev_i32 v97, 31, v181 :: v_dual_bitop2_b32 v95, s18, v95 bitop3:0x14
	v_xor_b32_e32 v96, s19, v96
	v_bitop3_b32 v90, v90, v94, v93 bitop3:0x80
	v_mad_u32_u24 v93, v92, 36, v148
	v_xor_b32_e32 v91, s20, v91
	v_xor_b32_e32 v94, s21, v97
	s_delay_alu instid0(VALU_DEP_4) | instskip(SKIP_3) | instid1(VALU_DEP_2)
	v_bitop3_b32 v90, v90, v96, v95 bitop3:0x80
	ds_load_b32 v181, v93 offset:1056
	; wave barrier
	v_bitop3_b32 v90, v90, v94, v91 bitop3:0x80
	v_mul_u32_u24_e32 v91, 36, v92
	v_mbcnt_lo_u32_b32 v182, v90, 0
	v_cmp_ne_u32_e64 s15, 0, v90
	s_delay_alu instid0(VALU_DEP_3) | instskip(NEXT) | instid1(VALU_DEP_3)
	v_add_nc_u32_e32 v183, v148, v91
	v_cmp_eq_u32_e32 vcc_lo, 0, v182
	s_and_b32 s16, s15, vcc_lo
	s_delay_alu instid0(SALU_CYCLE_1)
	s_and_saveexec_b32 s15, s16
	s_cbranch_execz .LBB1142_733
; %bb.732:                              ;   in Loop: Header=BB1142_687 Depth=2
	s_wait_dscnt 0x0
	v_bcnt_u32_b32 v90, v90, v181
	ds_store_b32 v183, v90 offset:1056
.LBB1142_733:                           ;   in Loop: Header=BB1142_687 Depth=2
	s_or_b32 exec_lo, exec_lo, s15
	v_cmp_gt_i64_e32 vcc_lo, 0, v[78:79]
	; wave barrier
	v_cndmask_b32_e64 v91, 0x7fffffff, 0, vcc_lo
	s_delay_alu instid0(VALU_DEP_1) | instskip(NEXT) | instid1(VALU_DEP_1)
	v_dual_ashrrev_i32 v90, 31, v79 :: v_dual_bitop2_b32 v79, v91, v79 bitop3:0x14
	v_not_b32_e32 v90, v90
	s_delay_alu instid0(VALU_DEP_1) | instskip(NEXT) | instid1(VALU_DEP_1)
	v_xor_b32_e32 v78, v90, v78
	v_cmp_ne_u64_e32 vcc_lo, s[42:43], v[78:79]
	v_cndmask_b32_e32 v91, 0x7fffffff, v79, vcc_lo
	v_cndmask_b32_e32 v90, -1, v78, vcc_lo
	s_delay_alu instid0(VALU_DEP_1) | instskip(NEXT) | instid1(VALU_DEP_1)
	v_lshrrev_b64 v[90:91], s48, v[90:91]
	v_bitop3_b32 v91, v90, 1, s55 bitop3:0x80
	v_and_b32_e32 v92, s55, v90
	s_delay_alu instid0(VALU_DEP_2) | instskip(NEXT) | instid1(VALU_DEP_1)
	v_add_co_u32 v90, s15, v91, -1
	v_cndmask_b32_e64 v91, 0, 1, s15
	s_delay_alu instid0(VALU_DEP_3) | instskip(NEXT) | instid1(VALU_DEP_2)
	v_lshlrev_b32_e32 v93, 30, v92
	v_cmp_ne_u32_e32 vcc_lo, 0, v91
	s_delay_alu instid0(VALU_DEP_2) | instskip(SKIP_1) | instid1(VALU_DEP_2)
	v_not_b32_e32 v91, v93
	v_cmp_gt_i32_e64 s15, 0, v93
	v_dual_ashrrev_i32 v91, 31, v91 :: v_dual_lshlrev_b32 v94, 29, v92
	v_dual_lshlrev_b32 v95, 28, v92 :: v_dual_lshlrev_b32 v96, 27, v92
	v_dual_lshlrev_b32 v97, 26, v92 :: v_dual_lshlrev_b32 v184, 25, v92
	v_lshlrev_b32_e32 v185, 24, v92
	s_delay_alu instid0(VALU_DEP_4)
	v_cmp_gt_i32_e64 s16, 0, v94
	v_not_b32_e32 v93, v94
	v_not_b32_e32 v94, v95
	v_cmp_gt_i32_e64 s17, 0, v95
	v_cmp_gt_i32_e64 s18, 0, v96
	v_not_b32_e32 v95, v96
	v_not_b32_e32 v96, v97
	v_dual_ashrrev_i32 v93, 31, v93 :: v_dual_bitop2_b32 v90, vcc_lo, v90 bitop3:0x14
	v_dual_ashrrev_i32 v94, 31, v94 :: v_dual_bitop2_b32 v91, s15, v91 bitop3:0x14
	v_cmp_gt_i32_e64 s19, 0, v97
	v_cmp_gt_i32_e64 s20, 0, v184
	v_not_b32_e32 v97, v184
	v_not_b32_e32 v184, v185
	v_dual_ashrrev_i32 v95, 31, v95 :: v_dual_ashrrev_i32 v96, 31, v96
	v_xor_b32_e32 v93, s16, v93
	v_xor_b32_e32 v94, s17, v94
	v_bitop3_b32 v90, v90, v91, exec_lo bitop3:0x80
	v_cmp_gt_i32_e64 s21, 0, v185
	v_dual_ashrrev_i32 v91, 31, v97 :: v_dual_ashrrev_i32 v97, 31, v184
	v_xor_b32_e32 v95, s18, v95
	v_xor_b32_e32 v96, s19, v96
	v_bitop3_b32 v90, v90, v94, v93 bitop3:0x80
	v_mad_u32_u24 v93, v92, 36, v148
	v_xor_b32_e32 v91, s20, v91
	v_xor_b32_e32 v94, s21, v97
	s_delay_alu instid0(VALU_DEP_4) | instskip(SKIP_3) | instid1(VALU_DEP_2)
	v_bitop3_b32 v90, v90, v96, v95 bitop3:0x80
	ds_load_b32 v184, v93 offset:1056
	; wave barrier
	v_bitop3_b32 v90, v90, v94, v91 bitop3:0x80
	v_mul_u32_u24_e32 v91, 36, v92
	v_mbcnt_lo_u32_b32 v185, v90, 0
	v_cmp_ne_u32_e64 s15, 0, v90
	s_delay_alu instid0(VALU_DEP_3) | instskip(NEXT) | instid1(VALU_DEP_3)
	v_add_nc_u32_e32 v186, v148, v91
	v_cmp_eq_u32_e32 vcc_lo, 0, v185
	s_and_b32 s16, s15, vcc_lo
	s_delay_alu instid0(SALU_CYCLE_1)
	s_and_saveexec_b32 s15, s16
	s_cbranch_execz .LBB1142_735
; %bb.734:                              ;   in Loop: Header=BB1142_687 Depth=2
	s_wait_dscnt 0x0
	v_bcnt_u32_b32 v90, v90, v184
	ds_store_b32 v186, v90 offset:1056
.LBB1142_735:                           ;   in Loop: Header=BB1142_687 Depth=2
	s_or_b32 exec_lo, exec_lo, s15
	v_cmp_gt_i64_e32 vcc_lo, 0, v[82:83]
	; wave barrier
	v_cndmask_b32_e64 v91, 0x7fffffff, 0, vcc_lo
	s_delay_alu instid0(VALU_DEP_1) | instskip(NEXT) | instid1(VALU_DEP_1)
	v_dual_ashrrev_i32 v90, 31, v83 :: v_dual_bitop2_b32 v83, v91, v83 bitop3:0x14
	v_not_b32_e32 v90, v90
	s_delay_alu instid0(VALU_DEP_1) | instskip(NEXT) | instid1(VALU_DEP_1)
	v_xor_b32_e32 v82, v90, v82
	v_cmp_ne_u64_e32 vcc_lo, s[42:43], v[82:83]
	v_cndmask_b32_e32 v91, 0x7fffffff, v83, vcc_lo
	v_cndmask_b32_e32 v90, -1, v82, vcc_lo
	s_delay_alu instid0(VALU_DEP_1) | instskip(NEXT) | instid1(VALU_DEP_1)
	v_lshrrev_b64 v[90:91], s48, v[90:91]
	v_bitop3_b32 v91, v90, 1, s55 bitop3:0x80
	v_and_b32_e32 v92, s55, v90
	s_delay_alu instid0(VALU_DEP_2) | instskip(NEXT) | instid1(VALU_DEP_1)
	v_add_co_u32 v90, s15, v91, -1
	v_cndmask_b32_e64 v91, 0, 1, s15
	s_delay_alu instid0(VALU_DEP_3) | instskip(NEXT) | instid1(VALU_DEP_2)
	v_lshlrev_b32_e32 v93, 30, v92
	v_cmp_ne_u32_e32 vcc_lo, 0, v91
	s_delay_alu instid0(VALU_DEP_2) | instskip(SKIP_1) | instid1(VALU_DEP_2)
	v_not_b32_e32 v91, v93
	v_cmp_gt_i32_e64 s15, 0, v93
	v_dual_ashrrev_i32 v91, 31, v91 :: v_dual_lshlrev_b32 v94, 29, v92
	v_dual_lshlrev_b32 v95, 28, v92 :: v_dual_lshlrev_b32 v96, 27, v92
	v_dual_lshlrev_b32 v97, 26, v92 :: v_dual_lshlrev_b32 v187, 25, v92
	v_lshlrev_b32_e32 v188, 24, v92
	s_delay_alu instid0(VALU_DEP_4)
	v_cmp_gt_i32_e64 s16, 0, v94
	v_not_b32_e32 v93, v94
	v_not_b32_e32 v94, v95
	v_cmp_gt_i32_e64 s17, 0, v95
	v_cmp_gt_i32_e64 s18, 0, v96
	v_not_b32_e32 v95, v96
	v_not_b32_e32 v96, v97
	v_dual_ashrrev_i32 v93, 31, v93 :: v_dual_bitop2_b32 v90, vcc_lo, v90 bitop3:0x14
	v_dual_ashrrev_i32 v94, 31, v94 :: v_dual_bitop2_b32 v91, s15, v91 bitop3:0x14
	v_cmp_gt_i32_e64 s19, 0, v97
	v_cmp_gt_i32_e64 s20, 0, v187
	v_not_b32_e32 v97, v187
	v_not_b32_e32 v187, v188
	v_dual_ashrrev_i32 v95, 31, v95 :: v_dual_ashrrev_i32 v96, 31, v96
	v_xor_b32_e32 v93, s16, v93
	v_xor_b32_e32 v94, s17, v94
	v_bitop3_b32 v90, v90, v91, exec_lo bitop3:0x80
	v_cmp_gt_i32_e64 s21, 0, v188
	v_dual_ashrrev_i32 v91, 31, v97 :: v_dual_ashrrev_i32 v97, 31, v187
	v_xor_b32_e32 v95, s18, v95
	v_xor_b32_e32 v96, s19, v96
	v_bitop3_b32 v90, v90, v94, v93 bitop3:0x80
	v_mad_u32_u24 v93, v92, 36, v148
	v_xor_b32_e32 v91, s20, v91
	v_xor_b32_e32 v94, s21, v97
	s_delay_alu instid0(VALU_DEP_4) | instskip(SKIP_3) | instid1(VALU_DEP_2)
	v_bitop3_b32 v90, v90, v96, v95 bitop3:0x80
	ds_load_b32 v187, v93 offset:1056
	; wave barrier
	v_bitop3_b32 v90, v90, v94, v91 bitop3:0x80
	v_mul_u32_u24_e32 v91, 36, v92
	v_mbcnt_lo_u32_b32 v188, v90, 0
	v_cmp_ne_u32_e64 s15, 0, v90
	s_delay_alu instid0(VALU_DEP_3) | instskip(NEXT) | instid1(VALU_DEP_3)
	v_add_nc_u32_e32 v189, v148, v91
	v_cmp_eq_u32_e32 vcc_lo, 0, v188
	s_and_b32 s16, s15, vcc_lo
	s_delay_alu instid0(SALU_CYCLE_1)
	s_and_saveexec_b32 s15, s16
	s_cbranch_execz .LBB1142_737
; %bb.736:                              ;   in Loop: Header=BB1142_687 Depth=2
	s_wait_dscnt 0x0
	v_bcnt_u32_b32 v90, v90, v187
	ds_store_b32 v189, v90 offset:1056
.LBB1142_737:                           ;   in Loop: Header=BB1142_687 Depth=2
	s_or_b32 exec_lo, exec_lo, s15
	v_cmp_gt_i64_e32 vcc_lo, 0, v[86:87]
	; wave barrier
	v_cndmask_b32_e64 v91, 0x7fffffff, 0, vcc_lo
	s_delay_alu instid0(VALU_DEP_1) | instskip(NEXT) | instid1(VALU_DEP_1)
	v_dual_ashrrev_i32 v90, 31, v87 :: v_dual_bitop2_b32 v87, v91, v87 bitop3:0x14
	v_not_b32_e32 v90, v90
	s_delay_alu instid0(VALU_DEP_1) | instskip(NEXT) | instid1(VALU_DEP_1)
	v_xor_b32_e32 v86, v90, v86
	v_cmp_ne_u64_e32 vcc_lo, s[42:43], v[86:87]
	v_cndmask_b32_e32 v91, 0x7fffffff, v87, vcc_lo
	v_cndmask_b32_e32 v90, -1, v86, vcc_lo
	s_delay_alu instid0(VALU_DEP_1) | instskip(NEXT) | instid1(VALU_DEP_1)
	v_lshrrev_b64 v[90:91], s48, v[90:91]
	v_bitop3_b32 v91, v90, 1, s55 bitop3:0x80
	v_and_b32_e32 v92, s55, v90
	s_delay_alu instid0(VALU_DEP_2) | instskip(NEXT) | instid1(VALU_DEP_1)
	v_add_co_u32 v90, s15, v91, -1
	v_cndmask_b32_e64 v91, 0, 1, s15
	s_delay_alu instid0(VALU_DEP_3) | instskip(NEXT) | instid1(VALU_DEP_2)
	v_lshlrev_b32_e32 v93, 30, v92
	v_cmp_ne_u32_e32 vcc_lo, 0, v91
	s_delay_alu instid0(VALU_DEP_2) | instskip(SKIP_1) | instid1(VALU_DEP_2)
	v_not_b32_e32 v91, v93
	v_cmp_gt_i32_e64 s15, 0, v93
	v_dual_ashrrev_i32 v91, 31, v91 :: v_dual_lshlrev_b32 v94, 29, v92
	v_dual_lshlrev_b32 v95, 28, v92 :: v_dual_lshlrev_b32 v96, 27, v92
	v_dual_lshlrev_b32 v97, 26, v92 :: v_dual_lshlrev_b32 v190, 25, v92
	v_lshlrev_b32_e32 v191, 24, v92
	s_delay_alu instid0(VALU_DEP_4)
	v_cmp_gt_i32_e64 s16, 0, v94
	v_not_b32_e32 v93, v94
	v_not_b32_e32 v94, v95
	v_cmp_gt_i32_e64 s17, 0, v95
	v_cmp_gt_i32_e64 s18, 0, v96
	v_not_b32_e32 v95, v96
	v_not_b32_e32 v96, v97
	v_dual_ashrrev_i32 v93, 31, v93 :: v_dual_bitop2_b32 v90, vcc_lo, v90 bitop3:0x14
	v_dual_ashrrev_i32 v94, 31, v94 :: v_dual_bitop2_b32 v91, s15, v91 bitop3:0x14
	v_cmp_gt_i32_e64 s19, 0, v97
	v_cmp_gt_i32_e64 s20, 0, v190
	v_not_b32_e32 v97, v190
	v_not_b32_e32 v190, v191
	v_dual_ashrrev_i32 v95, 31, v95 :: v_dual_ashrrev_i32 v96, 31, v96
	v_xor_b32_e32 v93, s16, v93
	v_xor_b32_e32 v94, s17, v94
	v_bitop3_b32 v90, v90, v91, exec_lo bitop3:0x80
	v_cmp_gt_i32_e64 s21, 0, v191
	v_dual_ashrrev_i32 v91, 31, v97 :: v_dual_ashrrev_i32 v97, 31, v190
	v_xor_b32_e32 v95, s18, v95
	v_xor_b32_e32 v96, s19, v96
	v_bitop3_b32 v90, v90, v94, v93 bitop3:0x80
	v_mad_u32_u24 v93, v92, 36, v148
	v_xor_b32_e32 v91, s20, v91
	v_xor_b32_e32 v94, s21, v97
	s_delay_alu instid0(VALU_DEP_4) | instskip(SKIP_3) | instid1(VALU_DEP_2)
	v_bitop3_b32 v90, v90, v96, v95 bitop3:0x80
	ds_load_b32 v190, v93 offset:1056
	; wave barrier
	v_bitop3_b32 v90, v90, v94, v91 bitop3:0x80
	v_mul_u32_u24_e32 v91, 36, v92
	v_mbcnt_lo_u32_b32 v191, v90, 0
	v_cmp_ne_u32_e64 s15, 0, v90
	s_delay_alu instid0(VALU_DEP_3) | instskip(NEXT) | instid1(VALU_DEP_3)
	v_add_nc_u32_e32 v192, v148, v91
	v_cmp_eq_u32_e32 vcc_lo, 0, v191
	s_and_b32 s16, s15, vcc_lo
	s_delay_alu instid0(SALU_CYCLE_1)
	s_and_saveexec_b32 s15, s16
	s_cbranch_execz .LBB1142_739
; %bb.738:                              ;   in Loop: Header=BB1142_687 Depth=2
	s_wait_dscnt 0x0
	v_bcnt_u32_b32 v90, v90, v190
	ds_store_b32 v192, v90 offset:1056
.LBB1142_739:                           ;   in Loop: Header=BB1142_687 Depth=2
	s_or_b32 exec_lo, exec_lo, s15
	v_cmp_gt_i64_e32 vcc_lo, 0, v[88:89]
	; wave barrier
	v_cndmask_b32_e64 v91, 0x7fffffff, 0, vcc_lo
	s_delay_alu instid0(VALU_DEP_1) | instskip(NEXT) | instid1(VALU_DEP_1)
	v_dual_ashrrev_i32 v90, 31, v89 :: v_dual_bitop2_b32 v89, v91, v89 bitop3:0x14
	v_not_b32_e32 v90, v90
	s_delay_alu instid0(VALU_DEP_1) | instskip(NEXT) | instid1(VALU_DEP_1)
	v_xor_b32_e32 v88, v90, v88
	v_cmp_ne_u64_e32 vcc_lo, s[42:43], v[88:89]
	v_cndmask_b32_e32 v91, 0x7fffffff, v89, vcc_lo
	v_cndmask_b32_e32 v90, -1, v88, vcc_lo
	s_delay_alu instid0(VALU_DEP_1) | instskip(NEXT) | instid1(VALU_DEP_1)
	v_lshrrev_b64 v[90:91], s48, v[90:91]
	v_bitop3_b32 v91, v90, 1, s55 bitop3:0x80
	v_and_b32_e32 v92, s55, v90
	s_delay_alu instid0(VALU_DEP_2) | instskip(NEXT) | instid1(VALU_DEP_1)
	v_add_co_u32 v90, s15, v91, -1
	v_cndmask_b32_e64 v91, 0, 1, s15
	s_delay_alu instid0(VALU_DEP_3) | instskip(SKIP_1) | instid1(VALU_DEP_3)
	v_dual_lshlrev_b32 v93, 30, v92 :: v_dual_lshlrev_b32 v95, 28, v92
	v_dual_lshlrev_b32 v94, 29, v92 :: v_dual_lshlrev_b32 v96, 27, v92
	v_cmp_ne_u32_e32 vcc_lo, 0, v91
	s_delay_alu instid0(VALU_DEP_3) | instskip(SKIP_1) | instid1(VALU_DEP_4)
	v_cmp_gt_i32_e64 s15, 0, v93
	v_not_b32_e32 v91, v93
	v_cmp_gt_i32_e64 s16, 0, v94
	v_not_b32_e32 v93, v94
	;; [unrolled: 2-line block ×3, first 2 shown]
	v_not_b32_e32 v95, v96
	s_delay_alu instid0(VALU_DEP_4) | instskip(NEXT) | instid1(VALU_DEP_2)
	v_dual_ashrrev_i32 v91, 31, v91 :: v_dual_ashrrev_i32 v93, 31, v93
	v_dual_ashrrev_i32 v94, 31, v94 :: v_dual_ashrrev_i32 v95, 31, v95
	v_dual_lshlrev_b32 v97, 26, v92 :: v_dual_lshlrev_b32 v193, 25, v92
	v_lshlrev_b32_e32 v194, 24, v92
	v_cmp_gt_i32_e64 s18, 0, v96
	v_xor_b32_e32 v91, s15, v91
	s_delay_alu instid0(VALU_DEP_4)
	v_not_b32_e32 v96, v97
	v_xor_b32_e32 v90, vcc_lo, v90
	v_cmp_gt_i32_e64 s19, 0, v97
	v_cmp_gt_i32_e64 s20, 0, v193
	v_not_b32_e32 v97, v193
	v_not_b32_e32 v193, v194
	v_dual_ashrrev_i32 v96, 31, v96 :: v_dual_bitop2_b32 v93, s16, v93 bitop3:0x14
	v_xor_b32_e32 v94, s17, v94
	v_bitop3_b32 v90, v90, v91, exec_lo bitop3:0x80
	v_cmp_gt_i32_e64 s21, 0, v194
	v_ashrrev_i32_e32 v91, 31, v97
	v_dual_ashrrev_i32 v97, 31, v193 :: v_dual_bitop2_b32 v95, s18, v95 bitop3:0x14
	v_xor_b32_e32 v96, s19, v96
	v_bitop3_b32 v90, v90, v94, v93 bitop3:0x80
	v_mad_u32_u24 v93, v92, 36, v148
	v_xor_b32_e32 v91, s20, v91
	v_xor_b32_e32 v94, s21, v97
	s_delay_alu instid0(VALU_DEP_4) | instskip(SKIP_3) | instid1(VALU_DEP_2)
	v_bitop3_b32 v90, v90, v96, v95 bitop3:0x80
	ds_load_b32 v193, v93 offset:1056
	; wave barrier
	v_bitop3_b32 v90, v90, v94, v91 bitop3:0x80
	v_mul_u32_u24_e32 v91, 36, v92
	v_mbcnt_lo_u32_b32 v194, v90, 0
	v_cmp_ne_u32_e64 s15, 0, v90
	s_delay_alu instid0(VALU_DEP_3) | instskip(NEXT) | instid1(VALU_DEP_3)
	v_add_nc_u32_e32 v195, v148, v91
	v_cmp_eq_u32_e32 vcc_lo, 0, v194
	s_and_b32 s16, s15, vcc_lo
	s_delay_alu instid0(SALU_CYCLE_1)
	s_and_saveexec_b32 s15, s16
	s_cbranch_execz .LBB1142_741
; %bb.740:                              ;   in Loop: Header=BB1142_687 Depth=2
	s_wait_dscnt 0x0
	v_bcnt_u32_b32 v90, v90, v193
	ds_store_b32 v195, v90 offset:1056
.LBB1142_741:                           ;   in Loop: Header=BB1142_687 Depth=2
	s_or_b32 exec_lo, exec_lo, s15
	v_cmp_gt_i64_e32 vcc_lo, 0, v[84:85]
	; wave barrier
	v_cndmask_b32_e64 v91, 0x7fffffff, 0, vcc_lo
	s_delay_alu instid0(VALU_DEP_1) | instskip(NEXT) | instid1(VALU_DEP_1)
	v_dual_ashrrev_i32 v90, 31, v85 :: v_dual_bitop2_b32 v85, v91, v85 bitop3:0x14
	v_not_b32_e32 v90, v90
	s_delay_alu instid0(VALU_DEP_1) | instskip(NEXT) | instid1(VALU_DEP_1)
	v_xor_b32_e32 v84, v90, v84
	v_cmp_ne_u64_e32 vcc_lo, s[42:43], v[84:85]
	v_cndmask_b32_e32 v91, 0x7fffffff, v85, vcc_lo
	v_cndmask_b32_e32 v90, -1, v84, vcc_lo
	s_delay_alu instid0(VALU_DEP_1) | instskip(NEXT) | instid1(VALU_DEP_1)
	v_lshrrev_b64 v[90:91], s48, v[90:91]
	v_bitop3_b32 v91, v90, 1, s55 bitop3:0x80
	v_and_b32_e32 v92, s55, v90
	s_delay_alu instid0(VALU_DEP_2) | instskip(NEXT) | instid1(VALU_DEP_1)
	v_add_co_u32 v90, s15, v91, -1
	v_cndmask_b32_e64 v91, 0, 1, s15
	s_delay_alu instid0(VALU_DEP_3) | instskip(SKIP_1) | instid1(VALU_DEP_3)
	v_dual_lshlrev_b32 v93, 30, v92 :: v_dual_lshlrev_b32 v95, 28, v92
	v_dual_lshlrev_b32 v94, 29, v92 :: v_dual_lshlrev_b32 v96, 27, v92
	v_cmp_ne_u32_e32 vcc_lo, 0, v91
	s_delay_alu instid0(VALU_DEP_3) | instskip(SKIP_1) | instid1(VALU_DEP_4)
	v_cmp_gt_i32_e64 s15, 0, v93
	v_not_b32_e32 v91, v93
	v_cmp_gt_i32_e64 s16, 0, v94
	v_not_b32_e32 v93, v94
	;; [unrolled: 2-line block ×3, first 2 shown]
	v_not_b32_e32 v95, v96
	s_delay_alu instid0(VALU_DEP_4) | instskip(NEXT) | instid1(VALU_DEP_2)
	v_dual_ashrrev_i32 v91, 31, v91 :: v_dual_ashrrev_i32 v93, 31, v93
	v_dual_ashrrev_i32 v94, 31, v94 :: v_dual_ashrrev_i32 v95, 31, v95
	v_dual_lshlrev_b32 v97, 26, v92 :: v_dual_lshlrev_b32 v196, 25, v92
	v_lshlrev_b32_e32 v197, 24, v92
	v_cmp_gt_i32_e64 s18, 0, v96
	v_xor_b32_e32 v91, s15, v91
	s_delay_alu instid0(VALU_DEP_4)
	v_not_b32_e32 v96, v97
	v_xor_b32_e32 v90, vcc_lo, v90
	v_cmp_gt_i32_e64 s19, 0, v97
	v_cmp_gt_i32_e64 s20, 0, v196
	v_not_b32_e32 v97, v196
	v_not_b32_e32 v196, v197
	v_dual_ashrrev_i32 v96, 31, v96 :: v_dual_bitop2_b32 v93, s16, v93 bitop3:0x14
	v_xor_b32_e32 v94, s17, v94
	v_bitop3_b32 v90, v90, v91, exec_lo bitop3:0x80
	v_cmp_gt_i32_e64 s21, 0, v197
	v_dual_ashrrev_i32 v91, 31, v97 :: v_dual_ashrrev_i32 v97, 31, v196
	v_xor_b32_e32 v95, s18, v95
	v_xor_b32_e32 v96, s19, v96
	v_bitop3_b32 v90, v90, v94, v93 bitop3:0x80
	v_mad_u32_u24 v93, v92, 36, v148
	v_xor_b32_e32 v91, s20, v91
	v_xor_b32_e32 v94, s21, v97
	s_delay_alu instid0(VALU_DEP_4) | instskip(SKIP_3) | instid1(VALU_DEP_2)
	v_bitop3_b32 v90, v90, v96, v95 bitop3:0x80
	ds_load_b32 v196, v93 offset:1056
	; wave barrier
	v_bitop3_b32 v90, v90, v94, v91 bitop3:0x80
	v_mul_u32_u24_e32 v91, 36, v92
	v_mbcnt_lo_u32_b32 v197, v90, 0
	v_cmp_ne_u32_e64 s15, 0, v90
	s_delay_alu instid0(VALU_DEP_3) | instskip(NEXT) | instid1(VALU_DEP_3)
	v_add_nc_u32_e32 v198, v148, v91
	v_cmp_eq_u32_e32 vcc_lo, 0, v197
	s_and_b32 s16, s15, vcc_lo
	s_delay_alu instid0(SALU_CYCLE_1)
	s_and_saveexec_b32 s15, s16
	s_cbranch_execz .LBB1142_743
; %bb.742:                              ;   in Loop: Header=BB1142_687 Depth=2
	s_wait_dscnt 0x0
	v_bcnt_u32_b32 v90, v90, v196
	ds_store_b32 v198, v90 offset:1056
.LBB1142_743:                           ;   in Loop: Header=BB1142_687 Depth=2
	s_or_b32 exec_lo, exec_lo, s15
	v_cmp_gt_i64_e32 vcc_lo, 0, v[80:81]
	; wave barrier
	v_cndmask_b32_e64 v91, 0x7fffffff, 0, vcc_lo
	s_delay_alu instid0(VALU_DEP_1) | instskip(NEXT) | instid1(VALU_DEP_1)
	v_dual_ashrrev_i32 v90, 31, v81 :: v_dual_bitop2_b32 v81, v91, v81 bitop3:0x14
	v_not_b32_e32 v90, v90
	s_delay_alu instid0(VALU_DEP_1) | instskip(NEXT) | instid1(VALU_DEP_1)
	v_xor_b32_e32 v80, v90, v80
	v_cmp_ne_u64_e32 vcc_lo, s[42:43], v[80:81]
	v_cndmask_b32_e32 v91, 0x7fffffff, v81, vcc_lo
	v_cndmask_b32_e32 v90, -1, v80, vcc_lo
	s_delay_alu instid0(VALU_DEP_1) | instskip(NEXT) | instid1(VALU_DEP_1)
	v_lshrrev_b64 v[90:91], s48, v[90:91]
	v_bitop3_b32 v91, v90, 1, s55 bitop3:0x80
	v_and_b32_e32 v92, s55, v90
	s_delay_alu instid0(VALU_DEP_2) | instskip(NEXT) | instid1(VALU_DEP_1)
	v_add_co_u32 v90, s15, v91, -1
	v_cndmask_b32_e64 v91, 0, 1, s15
	s_delay_alu instid0(VALU_DEP_3) | instskip(SKIP_1) | instid1(VALU_DEP_3)
	v_dual_lshlrev_b32 v93, 30, v92 :: v_dual_lshlrev_b32 v95, 28, v92
	v_dual_lshlrev_b32 v94, 29, v92 :: v_dual_lshlrev_b32 v96, 27, v92
	v_cmp_ne_u32_e32 vcc_lo, 0, v91
	s_delay_alu instid0(VALU_DEP_3) | instskip(SKIP_1) | instid1(VALU_DEP_4)
	v_cmp_gt_i32_e64 s15, 0, v93
	v_not_b32_e32 v91, v93
	v_cmp_gt_i32_e64 s16, 0, v94
	v_not_b32_e32 v93, v94
	;; [unrolled: 2-line block ×3, first 2 shown]
	v_not_b32_e32 v95, v96
	s_delay_alu instid0(VALU_DEP_4) | instskip(NEXT) | instid1(VALU_DEP_2)
	v_dual_ashrrev_i32 v91, 31, v91 :: v_dual_ashrrev_i32 v93, 31, v93
	v_dual_ashrrev_i32 v94, 31, v94 :: v_dual_ashrrev_i32 v95, 31, v95
	v_dual_lshlrev_b32 v97, 26, v92 :: v_dual_lshlrev_b32 v199, 25, v92
	v_lshlrev_b32_e32 v200, 24, v92
	v_cmp_gt_i32_e64 s18, 0, v96
	v_xor_b32_e32 v91, s15, v91
	s_delay_alu instid0(VALU_DEP_4)
	v_not_b32_e32 v96, v97
	v_xor_b32_e32 v90, vcc_lo, v90
	v_cmp_gt_i32_e64 s19, 0, v97
	v_cmp_gt_i32_e64 s20, 0, v199
	v_not_b32_e32 v97, v199
	v_not_b32_e32 v199, v200
	v_dual_ashrrev_i32 v96, 31, v96 :: v_dual_bitop2_b32 v93, s16, v93 bitop3:0x14
	v_xor_b32_e32 v94, s17, v94
	v_bitop3_b32 v90, v90, v91, exec_lo bitop3:0x80
	v_cmp_gt_i32_e64 s21, 0, v200
	v_dual_ashrrev_i32 v91, 31, v97 :: v_dual_ashrrev_i32 v97, 31, v199
	v_xor_b32_e32 v95, s18, v95
	v_xor_b32_e32 v96, s19, v96
	v_bitop3_b32 v90, v90, v94, v93 bitop3:0x80
	v_mad_u32_u24 v93, v92, 36, v148
	v_xor_b32_e32 v91, s20, v91
	v_xor_b32_e32 v94, s21, v97
	s_delay_alu instid0(VALU_DEP_4) | instskip(SKIP_3) | instid1(VALU_DEP_2)
	v_bitop3_b32 v90, v90, v96, v95 bitop3:0x80
	ds_load_b32 v199, v93 offset:1056
	; wave barrier
	v_bitop3_b32 v90, v90, v94, v91 bitop3:0x80
	v_mul_u32_u24_e32 v91, 36, v92
	v_mbcnt_lo_u32_b32 v200, v90, 0
	v_cmp_ne_u32_e64 s15, 0, v90
	s_delay_alu instid0(VALU_DEP_3) | instskip(NEXT) | instid1(VALU_DEP_3)
	v_add_nc_u32_e32 v201, v148, v91
	v_cmp_eq_u32_e32 vcc_lo, 0, v200
	s_and_b32 s16, s15, vcc_lo
	s_delay_alu instid0(SALU_CYCLE_1)
	s_and_saveexec_b32 s15, s16
	s_cbranch_execz .LBB1142_745
; %bb.744:                              ;   in Loop: Header=BB1142_687 Depth=2
	s_wait_dscnt 0x0
	v_bcnt_u32_b32 v90, v90, v199
	ds_store_b32 v201, v90 offset:1056
.LBB1142_745:                           ;   in Loop: Header=BB1142_687 Depth=2
	s_or_b32 exec_lo, exec_lo, s15
	v_cmp_gt_i64_e32 vcc_lo, 0, v[76:77]
	; wave barrier
	v_cndmask_b32_e64 v91, 0x7fffffff, 0, vcc_lo
	s_delay_alu instid0(VALU_DEP_1) | instskip(NEXT) | instid1(VALU_DEP_1)
	v_dual_ashrrev_i32 v90, 31, v77 :: v_dual_bitop2_b32 v77, v91, v77 bitop3:0x14
	v_not_b32_e32 v90, v90
	s_delay_alu instid0(VALU_DEP_1) | instskip(NEXT) | instid1(VALU_DEP_1)
	v_xor_b32_e32 v76, v90, v76
	v_cmp_ne_u64_e32 vcc_lo, s[42:43], v[76:77]
	v_cndmask_b32_e32 v91, 0x7fffffff, v77, vcc_lo
	v_cndmask_b32_e32 v90, -1, v76, vcc_lo
	s_delay_alu instid0(VALU_DEP_1) | instskip(NEXT) | instid1(VALU_DEP_1)
	v_lshrrev_b64 v[90:91], s48, v[90:91]
	v_bitop3_b32 v91, v90, 1, s55 bitop3:0x80
	v_and_b32_e32 v92, s55, v90
	s_delay_alu instid0(VALU_DEP_2) | instskip(NEXT) | instid1(VALU_DEP_1)
	v_add_co_u32 v90, s15, v91, -1
	v_cndmask_b32_e64 v91, 0, 1, s15
	s_delay_alu instid0(VALU_DEP_3) | instskip(SKIP_1) | instid1(VALU_DEP_3)
	v_dual_lshlrev_b32 v93, 30, v92 :: v_dual_lshlrev_b32 v95, 28, v92
	v_dual_lshlrev_b32 v94, 29, v92 :: v_dual_lshlrev_b32 v96, 27, v92
	v_cmp_ne_u32_e32 vcc_lo, 0, v91
	s_delay_alu instid0(VALU_DEP_3) | instskip(SKIP_1) | instid1(VALU_DEP_4)
	v_cmp_gt_i32_e64 s15, 0, v93
	v_not_b32_e32 v91, v93
	v_cmp_gt_i32_e64 s16, 0, v94
	v_not_b32_e32 v93, v94
	;; [unrolled: 2-line block ×3, first 2 shown]
	v_not_b32_e32 v95, v96
	s_delay_alu instid0(VALU_DEP_4) | instskip(NEXT) | instid1(VALU_DEP_2)
	v_dual_ashrrev_i32 v91, 31, v91 :: v_dual_ashrrev_i32 v93, 31, v93
	v_dual_ashrrev_i32 v94, 31, v94 :: v_dual_ashrrev_i32 v95, 31, v95
	v_dual_lshlrev_b32 v97, 26, v92 :: v_dual_lshlrev_b32 v202, 25, v92
	v_lshlrev_b32_e32 v203, 24, v92
	v_cmp_gt_i32_e64 s18, 0, v96
	v_xor_b32_e32 v91, s15, v91
	s_delay_alu instid0(VALU_DEP_4)
	v_not_b32_e32 v96, v97
	v_xor_b32_e32 v90, vcc_lo, v90
	v_cmp_gt_i32_e64 s19, 0, v97
	v_cmp_gt_i32_e64 s20, 0, v202
	v_not_b32_e32 v97, v202
	v_not_b32_e32 v202, v203
	v_dual_ashrrev_i32 v96, 31, v96 :: v_dual_bitop2_b32 v93, s16, v93 bitop3:0x14
	v_xor_b32_e32 v94, s17, v94
	v_bitop3_b32 v90, v90, v91, exec_lo bitop3:0x80
	v_cmp_gt_i32_e64 s21, 0, v203
	v_dual_ashrrev_i32 v91, 31, v97 :: v_dual_ashrrev_i32 v97, 31, v202
	v_xor_b32_e32 v95, s18, v95
	v_xor_b32_e32 v96, s19, v96
	v_bitop3_b32 v90, v90, v94, v93 bitop3:0x80
	v_mad_u32_u24 v93, v92, 36, v148
	v_xor_b32_e32 v91, s20, v91
	v_xor_b32_e32 v94, s21, v97
	s_delay_alu instid0(VALU_DEP_4) | instskip(SKIP_3) | instid1(VALU_DEP_2)
	v_bitop3_b32 v90, v90, v96, v95 bitop3:0x80
	ds_load_b32 v202, v93 offset:1056
	; wave barrier
	v_bitop3_b32 v90, v90, v94, v91 bitop3:0x80
	v_mul_u32_u24_e32 v91, 36, v92
	v_mbcnt_lo_u32_b32 v203, v90, 0
	v_cmp_ne_u32_e64 s15, 0, v90
	s_delay_alu instid0(VALU_DEP_3) | instskip(NEXT) | instid1(VALU_DEP_3)
	v_add_nc_u32_e32 v204, v148, v91
	v_cmp_eq_u32_e32 vcc_lo, 0, v203
	s_and_b32 s16, s15, vcc_lo
	s_delay_alu instid0(SALU_CYCLE_1)
	s_and_saveexec_b32 s15, s16
	s_cbranch_execz .LBB1142_747
; %bb.746:                              ;   in Loop: Header=BB1142_687 Depth=2
	s_wait_dscnt 0x0
	v_bcnt_u32_b32 v90, v90, v202
	ds_store_b32 v204, v90 offset:1056
.LBB1142_747:                           ;   in Loop: Header=BB1142_687 Depth=2
	s_or_b32 exec_lo, exec_lo, s15
	v_cmp_gt_i64_e32 vcc_lo, 0, v[72:73]
	; wave barrier
	v_cndmask_b32_e64 v91, 0x7fffffff, 0, vcc_lo
	s_delay_alu instid0(VALU_DEP_1) | instskip(NEXT) | instid1(VALU_DEP_1)
	v_dual_ashrrev_i32 v90, 31, v73 :: v_dual_bitop2_b32 v73, v91, v73 bitop3:0x14
	v_not_b32_e32 v90, v90
	s_delay_alu instid0(VALU_DEP_1) | instskip(NEXT) | instid1(VALU_DEP_1)
	v_xor_b32_e32 v72, v90, v72
	v_cmp_ne_u64_e32 vcc_lo, s[42:43], v[72:73]
	v_cndmask_b32_e32 v91, 0x7fffffff, v73, vcc_lo
	v_cndmask_b32_e32 v90, -1, v72, vcc_lo
	s_delay_alu instid0(VALU_DEP_1) | instskip(NEXT) | instid1(VALU_DEP_1)
	v_lshrrev_b64 v[90:91], s48, v[90:91]
	v_bitop3_b32 v91, v90, 1, s55 bitop3:0x80
	v_and_b32_e32 v92, s55, v90
	s_delay_alu instid0(VALU_DEP_2) | instskip(NEXT) | instid1(VALU_DEP_1)
	v_add_co_u32 v90, s15, v91, -1
	v_cndmask_b32_e64 v91, 0, 1, s15
	s_delay_alu instid0(VALU_DEP_3) | instskip(SKIP_1) | instid1(VALU_DEP_3)
	v_dual_lshlrev_b32 v93, 30, v92 :: v_dual_lshlrev_b32 v95, 28, v92
	v_dual_lshlrev_b32 v94, 29, v92 :: v_dual_lshlrev_b32 v96, 27, v92
	v_cmp_ne_u32_e32 vcc_lo, 0, v91
	s_delay_alu instid0(VALU_DEP_3) | instskip(SKIP_1) | instid1(VALU_DEP_4)
	v_cmp_gt_i32_e64 s15, 0, v93
	v_not_b32_e32 v91, v93
	v_cmp_gt_i32_e64 s16, 0, v94
	v_not_b32_e32 v93, v94
	;; [unrolled: 2-line block ×3, first 2 shown]
	v_not_b32_e32 v95, v96
	s_delay_alu instid0(VALU_DEP_4) | instskip(NEXT) | instid1(VALU_DEP_2)
	v_dual_ashrrev_i32 v91, 31, v91 :: v_dual_ashrrev_i32 v93, 31, v93
	v_dual_ashrrev_i32 v94, 31, v94 :: v_dual_ashrrev_i32 v95, 31, v95
	v_dual_lshlrev_b32 v97, 26, v92 :: v_dual_lshlrev_b32 v205, 25, v92
	v_lshlrev_b32_e32 v206, 24, v92
	v_cmp_gt_i32_e64 s18, 0, v96
	v_xor_b32_e32 v91, s15, v91
	s_delay_alu instid0(VALU_DEP_4)
	v_not_b32_e32 v96, v97
	v_xor_b32_e32 v90, vcc_lo, v90
	v_cmp_gt_i32_e64 s19, 0, v97
	v_cmp_gt_i32_e64 s20, 0, v205
	v_not_b32_e32 v97, v205
	v_not_b32_e32 v205, v206
	v_dual_ashrrev_i32 v96, 31, v96 :: v_dual_bitop2_b32 v93, s16, v93 bitop3:0x14
	v_xor_b32_e32 v94, s17, v94
	v_bitop3_b32 v90, v90, v91, exec_lo bitop3:0x80
	v_cmp_gt_i32_e64 s21, 0, v206
	v_ashrrev_i32_e32 v91, 31, v97
	v_dual_ashrrev_i32 v97, 31, v205 :: v_dual_bitop2_b32 v95, s18, v95 bitop3:0x14
	v_xor_b32_e32 v96, s19, v96
	v_bitop3_b32 v90, v90, v94, v93 bitop3:0x80
	v_mad_u32_u24 v93, v92, 36, v148
	v_xor_b32_e32 v91, s20, v91
	v_xor_b32_e32 v94, s21, v97
	s_delay_alu instid0(VALU_DEP_4) | instskip(SKIP_3) | instid1(VALU_DEP_2)
	v_bitop3_b32 v90, v90, v96, v95 bitop3:0x80
	ds_load_b32 v205, v93 offset:1056
	; wave barrier
	v_bitop3_b32 v90, v90, v94, v91 bitop3:0x80
	v_mul_u32_u24_e32 v91, 36, v92
	v_mbcnt_lo_u32_b32 v206, v90, 0
	v_cmp_ne_u32_e64 s15, 0, v90
	s_delay_alu instid0(VALU_DEP_3) | instskip(NEXT) | instid1(VALU_DEP_3)
	v_add_nc_u32_e32 v207, v148, v91
	v_cmp_eq_u32_e32 vcc_lo, 0, v206
	s_and_b32 s16, s15, vcc_lo
	s_delay_alu instid0(SALU_CYCLE_1)
	s_and_saveexec_b32 s15, s16
	s_cbranch_execz .LBB1142_749
; %bb.748:                              ;   in Loop: Header=BB1142_687 Depth=2
	s_wait_dscnt 0x0
	v_bcnt_u32_b32 v90, v90, v205
	ds_store_b32 v207, v90 offset:1056
.LBB1142_749:                           ;   in Loop: Header=BB1142_687 Depth=2
	s_or_b32 exec_lo, exec_lo, s15
	v_cmp_gt_i64_e32 vcc_lo, 0, v[68:69]
	; wave barrier
	v_cndmask_b32_e64 v91, 0x7fffffff, 0, vcc_lo
	s_delay_alu instid0(VALU_DEP_1) | instskip(NEXT) | instid1(VALU_DEP_1)
	v_dual_ashrrev_i32 v90, 31, v69 :: v_dual_bitop2_b32 v69, v91, v69 bitop3:0x14
	v_not_b32_e32 v90, v90
	s_delay_alu instid0(VALU_DEP_1) | instskip(NEXT) | instid1(VALU_DEP_1)
	v_xor_b32_e32 v68, v90, v68
	v_cmp_ne_u64_e32 vcc_lo, s[42:43], v[68:69]
	v_cndmask_b32_e32 v91, 0x7fffffff, v69, vcc_lo
	v_cndmask_b32_e32 v90, -1, v68, vcc_lo
	s_delay_alu instid0(VALU_DEP_1) | instskip(NEXT) | instid1(VALU_DEP_1)
	v_lshrrev_b64 v[90:91], s48, v[90:91]
	v_bitop3_b32 v91, v90, 1, s55 bitop3:0x80
	v_and_b32_e32 v92, s55, v90
	s_delay_alu instid0(VALU_DEP_2) | instskip(NEXT) | instid1(VALU_DEP_1)
	v_add_co_u32 v90, s15, v91, -1
	v_cndmask_b32_e64 v91, 0, 1, s15
	s_delay_alu instid0(VALU_DEP_3) | instskip(SKIP_1) | instid1(VALU_DEP_3)
	v_dual_lshlrev_b32 v93, 30, v92 :: v_dual_lshlrev_b32 v95, 28, v92
	v_dual_lshlrev_b32 v94, 29, v92 :: v_dual_lshlrev_b32 v96, 27, v92
	v_cmp_ne_u32_e32 vcc_lo, 0, v91
	s_delay_alu instid0(VALU_DEP_3) | instskip(SKIP_1) | instid1(VALU_DEP_4)
	v_cmp_gt_i32_e64 s15, 0, v93
	v_not_b32_e32 v91, v93
	v_cmp_gt_i32_e64 s16, 0, v94
	v_not_b32_e32 v93, v94
	v_cmp_gt_i32_e64 s17, 0, v95
	v_not_b32_e32 v94, v95
	v_not_b32_e32 v95, v96
	s_delay_alu instid0(VALU_DEP_4) | instskip(NEXT) | instid1(VALU_DEP_2)
	v_dual_ashrrev_i32 v91, 31, v91 :: v_dual_ashrrev_i32 v93, 31, v93
	v_dual_ashrrev_i32 v94, 31, v94 :: v_dual_ashrrev_i32 v95, 31, v95
	v_dual_lshlrev_b32 v97, 26, v92 :: v_dual_lshlrev_b32 v208, 25, v92
	v_lshlrev_b32_e32 v209, 24, v92
	v_cmp_gt_i32_e64 s18, 0, v96
	v_xor_b32_e32 v91, s15, v91
	s_delay_alu instid0(VALU_DEP_4)
	v_not_b32_e32 v96, v97
	v_xor_b32_e32 v90, vcc_lo, v90
	v_cmp_gt_i32_e64 s19, 0, v97
	v_cmp_gt_i32_e64 s20, 0, v208
	v_not_b32_e32 v97, v208
	v_not_b32_e32 v208, v209
	v_dual_ashrrev_i32 v96, 31, v96 :: v_dual_bitop2_b32 v93, s16, v93 bitop3:0x14
	v_xor_b32_e32 v94, s17, v94
	v_bitop3_b32 v90, v90, v91, exec_lo bitop3:0x80
	v_cmp_gt_i32_e64 s21, 0, v209
	v_dual_ashrrev_i32 v91, 31, v97 :: v_dual_ashrrev_i32 v97, 31, v208
	v_xor_b32_e32 v95, s18, v95
	v_xor_b32_e32 v96, s19, v96
	v_bitop3_b32 v90, v90, v94, v93 bitop3:0x80
	v_mad_u32_u24 v93, v92, 36, v148
	v_xor_b32_e32 v91, s20, v91
	v_xor_b32_e32 v94, s21, v97
	s_delay_alu instid0(VALU_DEP_4) | instskip(SKIP_3) | instid1(VALU_DEP_2)
	v_bitop3_b32 v90, v90, v96, v95 bitop3:0x80
	ds_load_b32 v208, v93 offset:1056
	; wave barrier
	v_bitop3_b32 v90, v90, v94, v91 bitop3:0x80
	v_mul_u32_u24_e32 v91, 36, v92
	v_mbcnt_lo_u32_b32 v209, v90, 0
	v_cmp_ne_u32_e64 s15, 0, v90
	s_delay_alu instid0(VALU_DEP_3) | instskip(NEXT) | instid1(VALU_DEP_3)
	v_add_nc_u32_e32 v211, v148, v91
	v_cmp_eq_u32_e32 vcc_lo, 0, v209
	s_and_b32 s16, s15, vcc_lo
	s_delay_alu instid0(SALU_CYCLE_1)
	s_and_saveexec_b32 s15, s16
	s_cbranch_execz .LBB1142_751
; %bb.750:                              ;   in Loop: Header=BB1142_687 Depth=2
	s_wait_dscnt 0x0
	v_bcnt_u32_b32 v90, v90, v208
	ds_store_b32 v211, v90 offset:1056
.LBB1142_751:                           ;   in Loop: Header=BB1142_687 Depth=2
	s_or_b32 exec_lo, exec_lo, s15
	v_cmp_gt_i64_e32 vcc_lo, 0, v[64:65]
	; wave barrier
	v_cndmask_b32_e64 v91, 0x7fffffff, 0, vcc_lo
	s_delay_alu instid0(VALU_DEP_1) | instskip(NEXT) | instid1(VALU_DEP_1)
	v_dual_ashrrev_i32 v90, 31, v65 :: v_dual_bitop2_b32 v65, v91, v65 bitop3:0x14
	v_not_b32_e32 v90, v90
	s_delay_alu instid0(VALU_DEP_1) | instskip(NEXT) | instid1(VALU_DEP_1)
	v_xor_b32_e32 v64, v90, v64
	v_cmp_ne_u64_e32 vcc_lo, s[42:43], v[64:65]
	v_cndmask_b32_e32 v91, 0x7fffffff, v65, vcc_lo
	v_cndmask_b32_e32 v90, -1, v64, vcc_lo
	s_delay_alu instid0(VALU_DEP_1) | instskip(NEXT) | instid1(VALU_DEP_1)
	v_lshrrev_b64 v[90:91], s48, v[90:91]
	v_bitop3_b32 v91, v90, 1, s55 bitop3:0x80
	v_and_b32_e32 v92, s55, v90
	s_delay_alu instid0(VALU_DEP_2) | instskip(NEXT) | instid1(VALU_DEP_1)
	v_add_co_u32 v90, s15, v91, -1
	v_cndmask_b32_e64 v91, 0, 1, s15
	s_delay_alu instid0(VALU_DEP_3) | instskip(SKIP_1) | instid1(VALU_DEP_3)
	v_dual_lshlrev_b32 v93, 30, v92 :: v_dual_lshlrev_b32 v95, 28, v92
	v_dual_lshlrev_b32 v94, 29, v92 :: v_dual_lshlrev_b32 v96, 27, v92
	v_cmp_ne_u32_e32 vcc_lo, 0, v91
	s_delay_alu instid0(VALU_DEP_3) | instskip(SKIP_1) | instid1(VALU_DEP_4)
	v_cmp_gt_i32_e64 s15, 0, v93
	v_not_b32_e32 v91, v93
	v_cmp_gt_i32_e64 s16, 0, v94
	v_not_b32_e32 v93, v94
	;; [unrolled: 2-line block ×3, first 2 shown]
	v_not_b32_e32 v95, v96
	s_delay_alu instid0(VALU_DEP_4) | instskip(NEXT) | instid1(VALU_DEP_2)
	v_dual_ashrrev_i32 v91, 31, v91 :: v_dual_ashrrev_i32 v93, 31, v93
	v_dual_ashrrev_i32 v94, 31, v94 :: v_dual_ashrrev_i32 v95, 31, v95
	v_dual_lshlrev_b32 v97, 26, v92 :: v_dual_lshlrev_b32 v210, 25, v92
	v_lshlrev_b32_e32 v212, 24, v92
	v_cmp_gt_i32_e64 s18, 0, v96
	v_xor_b32_e32 v91, s15, v91
	s_delay_alu instid0(VALU_DEP_4)
	v_not_b32_e32 v96, v97
	v_xor_b32_e32 v90, vcc_lo, v90
	v_cmp_gt_i32_e64 s19, 0, v97
	v_cmp_gt_i32_e64 s20, 0, v210
	v_not_b32_e32 v97, v210
	v_not_b32_e32 v210, v212
	v_dual_ashrrev_i32 v96, 31, v96 :: v_dual_bitop2_b32 v93, s16, v93 bitop3:0x14
	v_xor_b32_e32 v94, s17, v94
	v_bitop3_b32 v90, v90, v91, exec_lo bitop3:0x80
	v_cmp_gt_i32_e64 s21, 0, v212
	v_dual_ashrrev_i32 v91, 31, v97 :: v_dual_ashrrev_i32 v97, 31, v210
	v_xor_b32_e32 v95, s18, v95
	v_xor_b32_e32 v96, s19, v96
	v_bitop3_b32 v90, v90, v94, v93 bitop3:0x80
	v_mad_u32_u24 v93, v92, 36, v148
	v_xor_b32_e32 v91, s20, v91
	v_xor_b32_e32 v94, s21, v97
	s_delay_alu instid0(VALU_DEP_4) | instskip(SKIP_3) | instid1(VALU_DEP_2)
	v_bitop3_b32 v90, v90, v96, v95 bitop3:0x80
	ds_load_b32 v210, v93 offset:1056
	; wave barrier
	v_bitop3_b32 v90, v90, v94, v91 bitop3:0x80
	v_mul_u32_u24_e32 v91, 36, v92
	v_mbcnt_lo_u32_b32 v212, v90, 0
	v_cmp_ne_u32_e64 s15, 0, v90
	s_delay_alu instid0(VALU_DEP_3) | instskip(NEXT) | instid1(VALU_DEP_3)
	v_add_nc_u32_e32 v215, v148, v91
	v_cmp_eq_u32_e32 vcc_lo, 0, v212
	s_and_b32 s16, s15, vcc_lo
	s_delay_alu instid0(SALU_CYCLE_1)
	s_and_saveexec_b32 s15, s16
	s_cbranch_execz .LBB1142_753
; %bb.752:                              ;   in Loop: Header=BB1142_687 Depth=2
	s_wait_dscnt 0x0
	v_bcnt_u32_b32 v90, v90, v210
	ds_store_b32 v215, v90 offset:1056
.LBB1142_753:                           ;   in Loop: Header=BB1142_687 Depth=2
	s_or_b32 exec_lo, exec_lo, s15
	v_cmp_gt_i64_e32 vcc_lo, 0, v[66:67]
	; wave barrier
	v_cndmask_b32_e64 v91, 0x7fffffff, 0, vcc_lo
	s_delay_alu instid0(VALU_DEP_1) | instskip(NEXT) | instid1(VALU_DEP_1)
	v_dual_ashrrev_i32 v90, 31, v67 :: v_dual_bitop2_b32 v67, v91, v67 bitop3:0x14
	v_not_b32_e32 v90, v90
	s_delay_alu instid0(VALU_DEP_1) | instskip(NEXT) | instid1(VALU_DEP_1)
	v_xor_b32_e32 v66, v90, v66
	v_cmp_ne_u64_e32 vcc_lo, s[42:43], v[66:67]
	v_cndmask_b32_e32 v91, 0x7fffffff, v67, vcc_lo
	v_cndmask_b32_e32 v90, -1, v66, vcc_lo
	s_delay_alu instid0(VALU_DEP_1) | instskip(NEXT) | instid1(VALU_DEP_1)
	v_lshrrev_b64 v[90:91], s48, v[90:91]
	v_bitop3_b32 v91, v90, 1, s55 bitop3:0x80
	v_and_b32_e32 v92, s55, v90
	s_delay_alu instid0(VALU_DEP_2) | instskip(NEXT) | instid1(VALU_DEP_1)
	v_add_co_u32 v90, s15, v91, -1
	v_cndmask_b32_e64 v91, 0, 1, s15
	s_delay_alu instid0(VALU_DEP_3) | instskip(NEXT) | instid1(VALU_DEP_2)
	v_lshlrev_b32_e32 v93, 30, v92
	v_cmp_ne_u32_e32 vcc_lo, 0, v91
	s_delay_alu instid0(VALU_DEP_2) | instskip(SKIP_1) | instid1(VALU_DEP_2)
	v_not_b32_e32 v91, v93
	v_cmp_gt_i32_e64 s15, 0, v93
	v_dual_ashrrev_i32 v91, 31, v91 :: v_dual_lshlrev_b32 v94, 29, v92
	v_dual_lshlrev_b32 v95, 28, v92 :: v_dual_lshlrev_b32 v96, 27, v92
	v_dual_lshlrev_b32 v97, 26, v92 :: v_dual_lshlrev_b32 v213, 25, v92
	v_lshlrev_b32_e32 v214, 24, v92
	s_delay_alu instid0(VALU_DEP_4)
	v_cmp_gt_i32_e64 s16, 0, v94
	v_not_b32_e32 v93, v94
	v_not_b32_e32 v94, v95
	v_cmp_gt_i32_e64 s17, 0, v95
	v_cmp_gt_i32_e64 s18, 0, v96
	v_not_b32_e32 v95, v96
	v_not_b32_e32 v96, v97
	v_dual_ashrrev_i32 v93, 31, v93 :: v_dual_bitop2_b32 v90, vcc_lo, v90 bitop3:0x14
	v_dual_ashrrev_i32 v94, 31, v94 :: v_dual_bitop2_b32 v91, s15, v91 bitop3:0x14
	v_cmp_gt_i32_e64 s19, 0, v97
	v_cmp_gt_i32_e64 s20, 0, v213
	v_not_b32_e32 v97, v213
	v_not_b32_e32 v213, v214
	v_dual_ashrrev_i32 v95, 31, v95 :: v_dual_ashrrev_i32 v96, 31, v96
	v_xor_b32_e32 v93, s16, v93
	v_xor_b32_e32 v94, s17, v94
	v_bitop3_b32 v90, v90, v91, exec_lo bitop3:0x80
	v_cmp_gt_i32_e64 s21, 0, v214
	v_ashrrev_i32_e32 v91, 31, v97
	v_dual_ashrrev_i32 v97, 31, v213 :: v_dual_bitop2_b32 v95, s18, v95 bitop3:0x14
	v_xor_b32_e32 v96, s19, v96
	v_bitop3_b32 v90, v90, v94, v93 bitop3:0x80
	v_mad_u32_u24 v93, v92, 36, v148
	v_xor_b32_e32 v91, s20, v91
	v_xor_b32_e32 v94, s21, v97
	s_delay_alu instid0(VALU_DEP_4) | instskip(SKIP_3) | instid1(VALU_DEP_2)
	v_bitop3_b32 v90, v90, v96, v95 bitop3:0x80
	ds_load_b32 v213, v93 offset:1056
	; wave barrier
	v_bitop3_b32 v90, v90, v94, v91 bitop3:0x80
	v_mul_u32_u24_e32 v91, 36, v92
	v_mbcnt_lo_u32_b32 v214, v90, 0
	v_cmp_ne_u32_e64 s15, 0, v90
	s_delay_alu instid0(VALU_DEP_3) | instskip(NEXT) | instid1(VALU_DEP_3)
	v_add_nc_u32_e32 v216, v148, v91
	v_cmp_eq_u32_e32 vcc_lo, 0, v214
	s_and_b32 s16, s15, vcc_lo
	s_delay_alu instid0(SALU_CYCLE_1)
	s_and_saveexec_b32 s15, s16
	s_cbranch_execz .LBB1142_755
; %bb.754:                              ;   in Loop: Header=BB1142_687 Depth=2
	s_wait_dscnt 0x0
	v_bcnt_u32_b32 v90, v90, v213
	ds_store_b32 v216, v90 offset:1056
.LBB1142_755:                           ;   in Loop: Header=BB1142_687 Depth=2
	s_or_b32 exec_lo, exec_lo, s15
	; wave barrier
	s_wait_dscnt 0x0
	s_barrier_signal -1
	s_barrier_wait -1
	ds_load_2addr_b32 v[96:97], v168 offset1:1
	ds_load_2addr_b32 v[94:95], v169 offset1:1
	ds_load_2addr_b32 v[92:93], v170 offset1:1
	ds_load_2addr_b32 v[90:91], v167 offset1:1
	ds_load_b32 v217, v120 offset:1088
	s_wait_dscnt 0x3
	v_add3_u32 v218, v97, v96, v94
	s_wait_dscnt 0x2
	s_delay_alu instid0(VALU_DEP_1) | instskip(SKIP_1) | instid1(VALU_DEP_1)
	v_add3_u32 v218, v218, v95, v92
	s_wait_dscnt 0x1
	v_add3_u32 v218, v218, v93, v90
	s_wait_dscnt 0x0
	s_delay_alu instid0(VALU_DEP_1) | instskip(NEXT) | instid1(VALU_DEP_1)
	v_add3_u32 v217, v218, v91, v217
	v_mov_b32_dpp v218, v217 row_shr:1 row_mask:0xf bank_mask:0xf
	s_delay_alu instid0(VALU_DEP_1) | instskip(NEXT) | instid1(VALU_DEP_1)
	v_cndmask_b32_e64 v218, v218, 0, s7
	v_add_nc_u32_e32 v217, v218, v217
	s_delay_alu instid0(VALU_DEP_1) | instskip(NEXT) | instid1(VALU_DEP_1)
	v_mov_b32_dpp v218, v217 row_shr:2 row_mask:0xf bank_mask:0xf
	v_cndmask_b32_e64 v218, 0, v218, s8
	s_delay_alu instid0(VALU_DEP_1) | instskip(NEXT) | instid1(VALU_DEP_1)
	v_add_nc_u32_e32 v217, v217, v218
	v_mov_b32_dpp v218, v217 row_shr:4 row_mask:0xf bank_mask:0xf
	s_delay_alu instid0(VALU_DEP_1) | instskip(NEXT) | instid1(VALU_DEP_1)
	v_cndmask_b32_e64 v218, 0, v218, s9
	v_add_nc_u32_e32 v217, v217, v218
	s_delay_alu instid0(VALU_DEP_1) | instskip(NEXT) | instid1(VALU_DEP_1)
	v_mov_b32_dpp v218, v217 row_shr:8 row_mask:0xf bank_mask:0xf
	v_cndmask_b32_e64 v218, 0, v218, s10
	s_delay_alu instid0(VALU_DEP_1) | instskip(SKIP_3) | instid1(VALU_DEP_1)
	v_add_nc_u32_e32 v217, v217, v218
	ds_swizzle_b32 v218, v217 offset:swizzle(BROADCAST,32,15)
	s_wait_dscnt 0x0
	v_cndmask_b32_e64 v218, v218, 0, s11
	v_add_nc_u32_e32 v217, v217, v218
	s_and_saveexec_b32 s15, s1
; %bb.756:                              ;   in Loop: Header=BB1142_687 Depth=2
	ds_store_b32 v114, v217 offset:1024
; %bb.757:                              ;   in Loop: Header=BB1142_687 Depth=2
	s_or_b32 exec_lo, exec_lo, s15
	s_wait_dscnt 0x0
	s_barrier_signal -1
	s_barrier_wait -1
	s_and_saveexec_b32 s15, s4
	s_cbranch_execz .LBB1142_759
; %bb.758:                              ;   in Loop: Header=BB1142_687 Depth=2
	ds_load_b32 v218, v122 offset:1024
	s_wait_dscnt 0x0
	v_mov_b32_dpp v219, v218 row_shr:1 row_mask:0xf bank_mask:0xf
	s_delay_alu instid0(VALU_DEP_1) | instskip(NEXT) | instid1(VALU_DEP_1)
	v_cndmask_b32_e64 v219, v219, 0, s12
	v_add_nc_u32_e32 v218, v219, v218
	s_delay_alu instid0(VALU_DEP_1) | instskip(NEXT) | instid1(VALU_DEP_1)
	v_mov_b32_dpp v219, v218 row_shr:2 row_mask:0xf bank_mask:0xf
	v_cndmask_b32_e64 v219, 0, v219, s13
	s_delay_alu instid0(VALU_DEP_1) | instskip(NEXT) | instid1(VALU_DEP_1)
	v_add_nc_u32_e32 v218, v218, v219
	v_mov_b32_dpp v219, v218 row_shr:4 row_mask:0xf bank_mask:0xf
	s_delay_alu instid0(VALU_DEP_1) | instskip(NEXT) | instid1(VALU_DEP_1)
	v_cndmask_b32_e64 v219, 0, v219, s14
	v_add_nc_u32_e32 v218, v218, v219
	ds_store_b32 v122, v218 offset:1024
.LBB1142_759:                           ;   in Loop: Header=BB1142_687 Depth=2
	s_or_b32 exec_lo, exec_lo, s15
	v_mov_b32_e32 v218, 0
	s_wait_dscnt 0x0
	s_barrier_signal -1
	s_barrier_wait -1
	s_and_saveexec_b32 s15, s5
; %bb.760:                              ;   in Loop: Header=BB1142_687 Depth=2
	ds_load_b32 v218, v114 offset:1020
; %bb.761:                              ;   in Loop: Header=BB1142_687 Depth=2
	s_or_b32 exec_lo, exec_lo, s15
	s_wait_dscnt 0x0
	v_add_nc_u32_e32 v217, v218, v217
	ds_bpermute_b32 v217, v147, v217
	s_wait_dscnt 0x0
	v_cndmask_b32_e64 v217, v217, v218, s6
	s_delay_alu instid0(VALU_DEP_1) | instskip(NEXT) | instid1(VALU_DEP_1)
	v_cndmask_b32_e64 v217, v217, 0, s2
	v_add_nc_u32_e32 v96, v217, v96
	s_delay_alu instid0(VALU_DEP_1) | instskip(NEXT) | instid1(VALU_DEP_1)
	v_add_nc_u32_e32 v97, v96, v97
	v_add_nc_u32_e32 v94, v97, v94
	s_delay_alu instid0(VALU_DEP_1) | instskip(NEXT) | instid1(VALU_DEP_1)
	v_add_nc_u32_e32 v95, v94, v95
	;; [unrolled: 3-line block ×3, first 2 shown]
	v_add_nc_u32_e32 v90, v93, v90
	s_delay_alu instid0(VALU_DEP_1)
	v_add_nc_u32_e32 v91, v90, v91
	ds_store_2addr_b32 v167, v93, v90 offset1:1
	ds_store_2addr_b32 v168, v217, v96 offset1:1
	;; [unrolled: 1-line block ×4, first 2 shown]
	ds_store_b32 v120, v91 offset:1088
	s_wait_dscnt 0x0
	s_barrier_signal -1
	s_barrier_wait -1
	ds_load_b32 v91, v171 offset:1056
	ds_load_b32 v96, v174 offset:1056
	;; [unrolled: 1-line block ×17, first 2 shown]
	v_mov_b32_e32 v90, 0x1000
	s_and_saveexec_b32 s15, s3
; %bb.762:                              ;   in Loop: Header=BB1142_687 Depth=2
	ds_load_b32 v90, v120 offset:1092
; %bb.763:                              ;   in Loop: Header=BB1142_687 Depth=2
	s_or_b32 exec_lo, exec_lo, s15
	s_wait_dscnt 0x0
	s_barrier_signal -1
	s_barrier_wait -1
	s_and_saveexec_b32 s15, s0
	s_cbranch_execz .LBB1142_765
; %bb.764:                              ;   in Loop: Header=BB1142_687 Depth=2
	ds_load_b32 v189, v3
	s_wait_dscnt 0x0
	v_sub_nc_u32_e32 v186, v189, v186
	ds_store_b32 v3, v186
.LBB1142_765:                           ;   in Loop: Header=BB1142_687 Depth=2
	s_or_b32 exec_lo, exec_lo, s15
	v_dual_lshlrev_b32 v166, 3, v166 :: v_dual_lshlrev_b32 v173, 3, v173
	v_lshlrev_b32_e32 v172, 3, v172
	v_dual_lshlrev_b32 v96, 3, v96 :: v_dual_lshlrev_b32 v95, 3, v95
	s_delay_alu instid0(VALU_DEP_3)
	v_lshl_add_u32 v91, v91, 3, v166
	v_dual_lshlrev_b32 v176, 3, v176 :: v_dual_lshlrev_b32 v166, 3, v175
	v_dual_lshlrev_b32 v175, 3, v179 :: v_dual_lshlrev_b32 v178, 3, v178
	v_lshlrev_b32_e32 v179, 3, v181
	ds_store_b64 v91, v[58:59] offset:1024
	v_dual_lshlrev_b32 v58, 3, v94 :: v_dual_lshlrev_b32 v181, 3, v93
	v_dual_lshlrev_b32 v59, 3, v182 :: v_dual_lshlrev_b32 v182, 3, v185
	v_lshlrev_b32_e32 v184, 3, v184
	v_lshlrev_b32_e32 v185, 3, v92
	v_add3_u32 v92, v173, v172, v96
	v_add3_u32 v93, v176, v166, v95
	;; [unrolled: 1-line block ×4, first 2 shown]
	v_lshlrev_b32_e32 v59, 3, v187
	v_add3_u32 v96, v182, v184, v185
	ds_store_b64 v92, v[60:61] offset:1024
	ds_store_b64 v93, v[62:63] offset:1024
	;; [unrolled: 1-line block ×5, first 2 shown]
	v_dual_lshlrev_b32 v58, 3, v188 :: v_dual_lshlrev_b32 v61, 3, v191
	v_dual_lshlrev_b32 v60, 3, v183 :: v_dual_lshlrev_b32 v62, 3, v190
	;; [unrolled: 1-line block ×3, first 2 shown]
	v_lshlrev_b32_e32 v71, 3, v193
	v_dual_lshlrev_b32 v74, 3, v177 :: v_dual_lshlrev_b32 v78, 3, v196
	v_dual_lshlrev_b32 v75, 3, v197 :: v_dual_lshlrev_b32 v79, 3, v174
	;; [unrolled: 1-line block ×3, first 2 shown]
	v_lshlrev_b32_e32 v171, 3, v171
	v_add3_u32 v60, v58, v59, v60
	v_add3_u32 v61, v61, v62, v63
	;; [unrolled: 1-line block ×4, first 2 shown]
	v_lshlrev_b32_e32 v59, 3, v202
	v_add3_u32 v70, v166, v172, v171
	ds_store_b64 v60, v[82:83] offset:1024
	ds_store_b64 v61, v[86:87] offset:1024
	ds_store_b64 v62, v[88:89] offset:1024
	ds_store_b64 v63, v[84:85] offset:1024
	ds_store_b64 v70, v[80:81] offset:1024
	v_dual_lshlrev_b32 v58, 3, v203 :: v_dual_lshlrev_b32 v71, 3, v170
	v_dual_lshlrev_b32 v74, 3, v206 :: v_dual_lshlrev_b32 v75, 3, v205
	;; [unrolled: 1-line block ×6, first 2 shown]
	v_lshlrev_b32_e32 v86, 3, v213
	v_lshlrev_b32_e32 v87, 3, v97
	v_add3_u32 v71, v58, v59, v71
	v_add3_u32 v74, v74, v75, v78
	;; [unrolled: 1-line block ×5, first 2 shown]
	v_cmp_lt_u32_e32 vcc_lo, v2, v165
	ds_store_b64 v71, v[76:77] offset:1024
	ds_store_b64 v74, v[72:73] offset:1024
	;; [unrolled: 1-line block ×5, first 2 shown]
	s_wait_dscnt 0x0
	s_barrier_signal -1
	s_barrier_wait -1
	s_and_saveexec_b32 s16, vcc_lo
	s_cbranch_execnz .LBB1142_834
; %bb.766:                              ;   in Loop: Header=BB1142_687 Depth=2
	s_or_b32 exec_lo, exec_lo, s16
	v_cmp_lt_u32_e64 s15, v98, v165
	s_and_saveexec_b32 s17, s15
	s_cbranch_execnz .LBB1142_835
.LBB1142_767:                           ;   in Loop: Header=BB1142_687 Depth=2
	s_or_b32 exec_lo, exec_lo, s17
	v_cmp_lt_u32_e64 s16, v99, v165
	s_and_saveexec_b32 s18, s16
	s_cbranch_execnz .LBB1142_836
.LBB1142_768:                           ;   in Loop: Header=BB1142_687 Depth=2
	s_or_b32 exec_lo, exec_lo, s18
	v_cmp_lt_u32_e64 s17, v100, v165
	s_and_saveexec_b32 s19, s17
	s_cbranch_execnz .LBB1142_837
.LBB1142_769:                           ;   in Loop: Header=BB1142_687 Depth=2
	s_or_b32 exec_lo, exec_lo, s19
	v_cmp_lt_u32_e64 s18, v101, v165
	s_and_saveexec_b32 s20, s18
	s_cbranch_execnz .LBB1142_838
.LBB1142_770:                           ;   in Loop: Header=BB1142_687 Depth=2
	s_or_b32 exec_lo, exec_lo, s20
	v_cmp_lt_u32_e64 s19, v102, v165
	s_and_saveexec_b32 s21, s19
	s_cbranch_execnz .LBB1142_839
.LBB1142_771:                           ;   in Loop: Header=BB1142_687 Depth=2
	s_or_b32 exec_lo, exec_lo, s21
	v_cmp_lt_u32_e64 s20, v103, v165
	s_and_saveexec_b32 s22, s20
	s_cbranch_execnz .LBB1142_840
.LBB1142_772:                           ;   in Loop: Header=BB1142_687 Depth=2
	s_or_b32 exec_lo, exec_lo, s22
	v_cmp_lt_u32_e64 s21, v104, v165
	s_and_saveexec_b32 s23, s21
	s_cbranch_execnz .LBB1142_841
.LBB1142_773:                           ;   in Loop: Header=BB1142_687 Depth=2
	s_or_b32 exec_lo, exec_lo, s23
	v_cmp_lt_u32_e64 s22, v105, v165
	s_and_saveexec_b32 s24, s22
	s_cbranch_execnz .LBB1142_842
.LBB1142_774:                           ;   in Loop: Header=BB1142_687 Depth=2
	s_or_b32 exec_lo, exec_lo, s24
	v_cmp_lt_u32_e64 s23, v106, v165
	s_and_saveexec_b32 s25, s23
	s_cbranch_execnz .LBB1142_843
.LBB1142_775:                           ;   in Loop: Header=BB1142_687 Depth=2
	s_or_b32 exec_lo, exec_lo, s25
	v_cmp_lt_u32_e64 s24, v107, v165
	s_and_saveexec_b32 s26, s24
	s_cbranch_execnz .LBB1142_844
.LBB1142_776:                           ;   in Loop: Header=BB1142_687 Depth=2
	s_or_b32 exec_lo, exec_lo, s26
	v_cmp_lt_u32_e64 s25, v108, v165
	s_and_saveexec_b32 s27, s25
	s_cbranch_execnz .LBB1142_845
.LBB1142_777:                           ;   in Loop: Header=BB1142_687 Depth=2
	s_or_b32 exec_lo, exec_lo, s27
	v_cmp_lt_u32_e64 s26, v109, v165
	s_and_saveexec_b32 s28, s26
	s_cbranch_execnz .LBB1142_846
.LBB1142_778:                           ;   in Loop: Header=BB1142_687 Depth=2
	s_or_b32 exec_lo, exec_lo, s28
	v_cmp_lt_u32_e64 s27, v110, v165
	s_and_saveexec_b32 s29, s27
	s_cbranch_execnz .LBB1142_847
.LBB1142_779:                           ;   in Loop: Header=BB1142_687 Depth=2
	s_or_b32 exec_lo, exec_lo, s29
	v_cmp_lt_u32_e64 s28, v111, v165
	s_and_saveexec_b32 s30, s28
	s_cbranch_execnz .LBB1142_848
.LBB1142_780:                           ;   in Loop: Header=BB1142_687 Depth=2
	s_or_b32 exec_lo, exec_lo, s30
	v_cmp_lt_u32_e64 s29, v112, v165
	s_and_saveexec_b32 s61, s29
	s_cbranch_execz .LBB1142_782
.LBB1142_781:                           ;   in Loop: Header=BB1142_687 Depth=2
	ds_load_b64 v[58:59], v123 offset:31744
	s_wait_dscnt 0x0
	v_cmp_ne_u64_e64 s30, s[42:43], v[58:59]
	s_delay_alu instid0(VALU_DEP_1) | instskip(SKIP_2) | instid1(VALU_DEP_2)
	v_cndmask_b32_e64 v65, 0x7fffffff, v59, s30
	v_cndmask_b32_e64 v64, -1, v58, s30
	v_cmp_gt_i64_e64 s30, 0, v[58:59]
	v_lshrrev_b64 v[64:65], s48, v[64:65]
	v_ashrrev_i32_e32 v65, 31, v59
	s_delay_alu instid0(VALU_DEP_3) | instskip(NEXT) | instid1(VALU_DEP_2)
	v_cndmask_b32_e64 v66, 0x7fffffff, 0, s30
	v_not_b32_e32 v65, v65
	s_delay_alu instid0(VALU_DEP_4) | instskip(NEXT) | instid1(VALU_DEP_1)
	v_and_b32_e32 v64, s55, v64
	v_dual_lshlrev_b32 v64, 2, v64 :: v_dual_bitop2_b32 v59, v66, v59 bitop3:0x14
	ds_load_b32 v64, v64
	s_wait_dscnt 0x0
	v_dual_add_nc_u32 v64, v64, v112 :: v_dual_bitop2_b32 v58, v65, v58 bitop3:0x14
	global_store_b64 v64, v[58:59], s[38:39] scale_offset
.LBB1142_782:                           ;   in Loop: Header=BB1142_687 Depth=2
	s_wait_xcnt 0x0
	s_or_b32 exec_lo, exec_lo, s61
	v_lshl_add_u64 v[58:59], s[34:35], 3, v[22:23]
	v_cmp_lt_u32_e64 s30, v129, v165
	s_and_saveexec_b32 s34, s30
	s_delay_alu instid0(SALU_CYCLE_1)
	s_xor_b32 s30, exec_lo, s34
	s_cbranch_execnz .LBB1142_849
; %bb.783:                              ;   in Loop: Header=BB1142_687 Depth=2
	s_or_b32 exec_lo, exec_lo, s30
	s_delay_alu instid0(SALU_CYCLE_1)
	s_mov_b32 s34, exec_lo
	v_cmpx_lt_u32_e64 v132, v165
	s_cbranch_execnz .LBB1142_850
.LBB1142_784:                           ;   in Loop: Header=BB1142_687 Depth=2
	s_or_b32 exec_lo, exec_lo, s34
	s_delay_alu instid0(SALU_CYCLE_1)
	s_mov_b32 s34, exec_lo
	v_cmpx_lt_u32_e64 v133, v165
	s_cbranch_execnz .LBB1142_851
.LBB1142_785:                           ;   in Loop: Header=BB1142_687 Depth=2
	s_or_b32 exec_lo, exec_lo, s34
	s_delay_alu instid0(SALU_CYCLE_1)
	s_mov_b32 s34, exec_lo
	v_cmpx_lt_u32_e64 v134, v165
	s_cbranch_execnz .LBB1142_852
.LBB1142_786:                           ;   in Loop: Header=BB1142_687 Depth=2
	s_or_b32 exec_lo, exec_lo, s34
	s_delay_alu instid0(SALU_CYCLE_1)
	s_mov_b32 s34, exec_lo
	v_cmpx_lt_u32_e64 v135, v165
	s_cbranch_execnz .LBB1142_853
.LBB1142_787:                           ;   in Loop: Header=BB1142_687 Depth=2
	s_or_b32 exec_lo, exec_lo, s34
	s_delay_alu instid0(SALU_CYCLE_1)
	s_mov_b32 s34, exec_lo
	v_cmpx_lt_u32_e64 v136, v165
	s_cbranch_execnz .LBB1142_854
.LBB1142_788:                           ;   in Loop: Header=BB1142_687 Depth=2
	s_or_b32 exec_lo, exec_lo, s34
	s_delay_alu instid0(SALU_CYCLE_1)
	s_mov_b32 s34, exec_lo
	v_cmpx_lt_u32_e64 v137, v165
	s_cbranch_execnz .LBB1142_855
.LBB1142_789:                           ;   in Loop: Header=BB1142_687 Depth=2
	s_or_b32 exec_lo, exec_lo, s34
	s_delay_alu instid0(SALU_CYCLE_1)
	s_mov_b32 s34, exec_lo
	v_cmpx_lt_u32_e64 v138, v165
	s_cbranch_execnz .LBB1142_856
.LBB1142_790:                           ;   in Loop: Header=BB1142_687 Depth=2
	s_or_b32 exec_lo, exec_lo, s34
	s_delay_alu instid0(SALU_CYCLE_1)
	s_mov_b32 s34, exec_lo
	v_cmpx_lt_u32_e64 v139, v165
	s_cbranch_execnz .LBB1142_857
.LBB1142_791:                           ;   in Loop: Header=BB1142_687 Depth=2
	s_or_b32 exec_lo, exec_lo, s34
	s_delay_alu instid0(SALU_CYCLE_1)
	s_mov_b32 s34, exec_lo
	v_cmpx_lt_u32_e64 v140, v165
	s_cbranch_execnz .LBB1142_858
.LBB1142_792:                           ;   in Loop: Header=BB1142_687 Depth=2
	s_or_b32 exec_lo, exec_lo, s34
	s_delay_alu instid0(SALU_CYCLE_1)
	s_mov_b32 s34, exec_lo
	v_cmpx_lt_u32_e64 v141, v165
	s_cbranch_execnz .LBB1142_859
.LBB1142_793:                           ;   in Loop: Header=BB1142_687 Depth=2
	s_or_b32 exec_lo, exec_lo, s34
	s_delay_alu instid0(SALU_CYCLE_1)
	s_mov_b32 s34, exec_lo
	v_cmpx_lt_u32_e64 v142, v165
	s_cbranch_execnz .LBB1142_860
.LBB1142_794:                           ;   in Loop: Header=BB1142_687 Depth=2
	s_or_b32 exec_lo, exec_lo, s34
	s_delay_alu instid0(SALU_CYCLE_1)
	s_mov_b32 s34, exec_lo
	v_cmpx_lt_u32_e64 v143, v165
	s_cbranch_execnz .LBB1142_861
.LBB1142_795:                           ;   in Loop: Header=BB1142_687 Depth=2
	s_or_b32 exec_lo, exec_lo, s34
	s_delay_alu instid0(SALU_CYCLE_1)
	s_mov_b32 s34, exec_lo
	v_cmpx_lt_u32_e64 v144, v165
	s_cbranch_execnz .LBB1142_862
.LBB1142_796:                           ;   in Loop: Header=BB1142_687 Depth=2
	s_or_b32 exec_lo, exec_lo, s34
	s_delay_alu instid0(SALU_CYCLE_1)
	s_mov_b32 s34, exec_lo
	v_cmpx_lt_u32_e64 v145, v165
	s_cbranch_execnz .LBB1142_863
.LBB1142_797:                           ;   in Loop: Header=BB1142_687 Depth=2
	s_or_b32 exec_lo, exec_lo, s34
	s_delay_alu instid0(SALU_CYCLE_1)
	s_mov_b32 s34, exec_lo
	v_cmpx_lt_u32_e64 v146, v165
	s_cbranch_execnz .LBB1142_864
.LBB1142_798:                           ;   in Loop: Header=BB1142_687 Depth=2
	s_or_b32 exec_lo, exec_lo, s34
	s_and_saveexec_b32 s34, vcc_lo
	s_cbranch_execnz .LBB1142_865
.LBB1142_799:                           ;   in Loop: Header=BB1142_687 Depth=2
	s_or_b32 exec_lo, exec_lo, s34
	s_and_saveexec_b32 s34, s15
	s_cbranch_execnz .LBB1142_866
.LBB1142_800:                           ;   in Loop: Header=BB1142_687 Depth=2
	s_or_b32 exec_lo, exec_lo, s34
	s_and_saveexec_b32 s34, s16
	s_cbranch_execnz .LBB1142_867
.LBB1142_801:                           ;   in Loop: Header=BB1142_687 Depth=2
	s_or_b32 exec_lo, exec_lo, s34
	s_and_saveexec_b32 s34, s17
	s_cbranch_execnz .LBB1142_868
.LBB1142_802:                           ;   in Loop: Header=BB1142_687 Depth=2
	s_or_b32 exec_lo, exec_lo, s34
	s_and_saveexec_b32 s34, s18
	s_cbranch_execnz .LBB1142_869
.LBB1142_803:                           ;   in Loop: Header=BB1142_687 Depth=2
	s_or_b32 exec_lo, exec_lo, s34
	s_and_saveexec_b32 s34, s19
	s_cbranch_execnz .LBB1142_870
.LBB1142_804:                           ;   in Loop: Header=BB1142_687 Depth=2
	s_or_b32 exec_lo, exec_lo, s34
	s_and_saveexec_b32 s34, s20
	s_cbranch_execnz .LBB1142_871
.LBB1142_805:                           ;   in Loop: Header=BB1142_687 Depth=2
	s_or_b32 exec_lo, exec_lo, s34
	s_and_saveexec_b32 s34, s21
	s_cbranch_execnz .LBB1142_872
.LBB1142_806:                           ;   in Loop: Header=BB1142_687 Depth=2
	s_or_b32 exec_lo, exec_lo, s34
	s_and_saveexec_b32 s34, s22
	s_cbranch_execnz .LBB1142_873
.LBB1142_807:                           ;   in Loop: Header=BB1142_687 Depth=2
	s_or_b32 exec_lo, exec_lo, s34
	s_and_saveexec_b32 s34, s23
	s_cbranch_execnz .LBB1142_874
.LBB1142_808:                           ;   in Loop: Header=BB1142_687 Depth=2
	s_or_b32 exec_lo, exec_lo, s34
	s_and_saveexec_b32 s34, s24
	s_cbranch_execnz .LBB1142_875
.LBB1142_809:                           ;   in Loop: Header=BB1142_687 Depth=2
	s_or_b32 exec_lo, exec_lo, s34
	s_and_saveexec_b32 s34, s25
	s_cbranch_execnz .LBB1142_876
.LBB1142_810:                           ;   in Loop: Header=BB1142_687 Depth=2
	s_or_b32 exec_lo, exec_lo, s34
	s_and_saveexec_b32 s34, s26
	s_cbranch_execnz .LBB1142_877
.LBB1142_811:                           ;   in Loop: Header=BB1142_687 Depth=2
	s_or_b32 exec_lo, exec_lo, s34
	s_and_saveexec_b32 s34, s27
	s_cbranch_execnz .LBB1142_878
.LBB1142_812:                           ;   in Loop: Header=BB1142_687 Depth=2
	s_or_b32 exec_lo, exec_lo, s34
	s_and_saveexec_b32 s34, s28
	s_cbranch_execnz .LBB1142_879
.LBB1142_813:                           ;   in Loop: Header=BB1142_687 Depth=2
	s_or_b32 exec_lo, exec_lo, s34
	s_and_saveexec_b32 s34, s29
	s_cbranch_execz .LBB1142_815
.LBB1142_814:                           ;   in Loop: Header=BB1142_687 Depth=2
	ds_load_b64 v[58:59], v123 offset:31744
	s_wait_dscnt 0x0
	v_cmp_ne_u64_e64 s30, s[42:43], v[58:59]
	s_delay_alu instid0(VALU_DEP_1) | instskip(SKIP_1) | instid1(VALU_DEP_1)
	v_cndmask_b32_e64 v59, 0x7fffffff, v59, s30
	v_cndmask_b32_e64 v58, -1, v58, s30
	v_lshrrev_b64 v[58:59], s48, v[58:59]
	s_delay_alu instid0(VALU_DEP_1)
	v_and_b32_e32 v149, s55, v58
.LBB1142_815:                           ;   in Loop: Header=BB1142_687 Depth=2
	s_or_b32 exec_lo, exec_lo, s34
	s_wait_loadcnt 0x0
	s_wait_storecnt 0x0
	s_barrier_signal -1
	s_barrier_wait -1
	ds_store_b64 v91, v[56:57] offset:1024
	ds_store_b64 v92, v[54:55] offset:1024
	;; [unrolled: 1-line block ×16, first 2 shown]
	s_wait_dscnt 0x0
	s_barrier_signal -1
	s_barrier_wait -1
	s_and_saveexec_b32 s30, vcc_lo
	s_cbranch_execnz .LBB1142_880
; %bb.816:                              ;   in Loop: Header=BB1142_687 Depth=2
	s_or_b32 exec_lo, exec_lo, s30
	s_and_saveexec_b32 s30, s15
	s_cbranch_execnz .LBB1142_881
.LBB1142_817:                           ;   in Loop: Header=BB1142_687 Depth=2
	s_or_b32 exec_lo, exec_lo, s30
	s_and_saveexec_b32 s15, s16
	s_cbranch_execnz .LBB1142_882
.LBB1142_818:                           ;   in Loop: Header=BB1142_687 Depth=2
	s_or_b32 exec_lo, exec_lo, s15
	s_and_saveexec_b32 s15, s17
	s_cbranch_execnz .LBB1142_883
.LBB1142_819:                           ;   in Loop: Header=BB1142_687 Depth=2
	s_or_b32 exec_lo, exec_lo, s15
	s_and_saveexec_b32 s15, s18
	s_cbranch_execnz .LBB1142_884
.LBB1142_820:                           ;   in Loop: Header=BB1142_687 Depth=2
	s_or_b32 exec_lo, exec_lo, s15
	s_and_saveexec_b32 s15, s19
	s_cbranch_execnz .LBB1142_885
.LBB1142_821:                           ;   in Loop: Header=BB1142_687 Depth=2
	s_or_b32 exec_lo, exec_lo, s15
	s_and_saveexec_b32 s15, s20
	s_cbranch_execnz .LBB1142_886
.LBB1142_822:                           ;   in Loop: Header=BB1142_687 Depth=2
	s_or_b32 exec_lo, exec_lo, s15
	s_and_saveexec_b32 s15, s21
	s_cbranch_execnz .LBB1142_887
.LBB1142_823:                           ;   in Loop: Header=BB1142_687 Depth=2
	s_or_b32 exec_lo, exec_lo, s15
	s_and_saveexec_b32 s15, s22
	s_cbranch_execnz .LBB1142_888
.LBB1142_824:                           ;   in Loop: Header=BB1142_687 Depth=2
	s_or_b32 exec_lo, exec_lo, s15
	s_and_saveexec_b32 s15, s23
	s_cbranch_execnz .LBB1142_889
.LBB1142_825:                           ;   in Loop: Header=BB1142_687 Depth=2
	s_or_b32 exec_lo, exec_lo, s15
	s_and_saveexec_b32 s15, s24
	s_cbranch_execnz .LBB1142_890
.LBB1142_826:                           ;   in Loop: Header=BB1142_687 Depth=2
	s_or_b32 exec_lo, exec_lo, s15
	s_and_saveexec_b32 s15, s25
	s_cbranch_execnz .LBB1142_891
.LBB1142_827:                           ;   in Loop: Header=BB1142_687 Depth=2
	s_or_b32 exec_lo, exec_lo, s15
	s_and_saveexec_b32 s15, s26
	s_cbranch_execnz .LBB1142_892
.LBB1142_828:                           ;   in Loop: Header=BB1142_687 Depth=2
	s_or_b32 exec_lo, exec_lo, s15
	s_and_saveexec_b32 s15, s27
	s_cbranch_execnz .LBB1142_893
.LBB1142_829:                           ;   in Loop: Header=BB1142_687 Depth=2
	s_or_b32 exec_lo, exec_lo, s15
	s_and_saveexec_b32 s15, s28
	s_cbranch_execnz .LBB1142_894
.LBB1142_830:                           ;   in Loop: Header=BB1142_687 Depth=2
	s_or_b32 exec_lo, exec_lo, s15
	s_and_saveexec_b32 s15, s29
	s_cbranch_execz .LBB1142_832
.LBB1142_831:                           ;   in Loop: Header=BB1142_687 Depth=2
	v_lshlrev_b32_e32 v58, 2, v149
	ds_load_b32 v60, v58
	ds_load_b64 v[58:59], v123 offset:31744
	s_wait_dscnt 0x1
	v_add_nc_u32_e32 v60, v60, v112
	s_wait_dscnt 0x0
	global_store_b64 v60, v[58:59], s[44:45] scale_offset
.LBB1142_832:                           ;   in Loop: Header=BB1142_687 Depth=2
	s_wait_xcnt 0x0
	s_or_b32 exec_lo, exec_lo, s15
	s_wait_storecnt 0x0
	s_barrier_signal -1
	s_barrier_wait -1
	s_and_saveexec_b32 s15, s0
	s_cbranch_execz .LBB1142_686
; %bb.833:                              ;   in Loop: Header=BB1142_687 Depth=2
	ds_load_b32 v58, v3
	s_wait_dscnt 0x0
	v_add_nc_u32_e32 v58, v58, v90
	ds_store_b32 v3, v58
	s_branch .LBB1142_686
.LBB1142_834:                           ;   in Loop: Header=BB1142_687 Depth=2
	ds_load_b64 v[58:59], v123 offset:1024
	s_wait_dscnt 0x0
	v_cmp_ne_u64_e64 s15, s[42:43], v[58:59]
	s_delay_alu instid0(VALU_DEP_1) | instskip(SKIP_2) | instid1(VALU_DEP_2)
	v_cndmask_b32_e64 v65, 0x7fffffff, v59, s15
	v_cndmask_b32_e64 v64, -1, v58, s15
	v_cmp_gt_i64_e64 s15, 0, v[58:59]
	v_lshrrev_b64 v[64:65], s48, v[64:65]
	v_ashrrev_i32_e32 v65, 31, v59
	s_delay_alu instid0(VALU_DEP_3) | instskip(NEXT) | instid1(VALU_DEP_2)
	v_cndmask_b32_e64 v66, 0x7fffffff, 0, s15
	v_not_b32_e32 v65, v65
	s_delay_alu instid0(VALU_DEP_4) | instskip(NEXT) | instid1(VALU_DEP_3)
	v_and_b32_e32 v64, s55, v64
	v_xor_b32_e32 v59, v66, v59
	s_delay_alu instid0(VALU_DEP_2)
	v_dual_lshlrev_b32 v64, 2, v64 :: v_dual_bitop2_b32 v58, v65, v58 bitop3:0x14
	ds_load_b32 v64, v64
	s_wait_dscnt 0x0
	v_add_nc_u32_e32 v64, v64, v2
	global_store_b64 v64, v[58:59], s[38:39] scale_offset
	s_wait_xcnt 0x0
	s_or_b32 exec_lo, exec_lo, s16
	v_cmp_lt_u32_e64 s15, v98, v165
	s_and_saveexec_b32 s17, s15
	s_cbranch_execz .LBB1142_767
.LBB1142_835:                           ;   in Loop: Header=BB1142_687 Depth=2
	ds_load_b64 v[58:59], v123 offset:3072
	s_wait_dscnt 0x0
	v_cmp_ne_u64_e64 s16, s[42:43], v[58:59]
	s_delay_alu instid0(VALU_DEP_1) | instskip(SKIP_2) | instid1(VALU_DEP_2)
	v_cndmask_b32_e64 v65, 0x7fffffff, v59, s16
	v_cndmask_b32_e64 v64, -1, v58, s16
	v_cmp_gt_i64_e64 s16, 0, v[58:59]
	v_lshrrev_b64 v[64:65], s48, v[64:65]
	v_ashrrev_i32_e32 v65, 31, v59
	s_delay_alu instid0(VALU_DEP_3) | instskip(NEXT) | instid1(VALU_DEP_2)
	v_cndmask_b32_e64 v66, 0x7fffffff, 0, s16
	v_not_b32_e32 v65, v65
	s_delay_alu instid0(VALU_DEP_4) | instskip(NEXT) | instid1(VALU_DEP_3)
	v_and_b32_e32 v64, s55, v64
	v_xor_b32_e32 v59, v66, v59
	s_delay_alu instid0(VALU_DEP_2)
	v_dual_lshlrev_b32 v64, 2, v64 :: v_dual_bitop2_b32 v58, v65, v58 bitop3:0x14
	ds_load_b32 v64, v64
	s_wait_dscnt 0x0
	v_add_nc_u32_e32 v64, v64, v98
	global_store_b64 v64, v[58:59], s[38:39] scale_offset
	s_wait_xcnt 0x0
	s_or_b32 exec_lo, exec_lo, s17
	v_cmp_lt_u32_e64 s16, v99, v165
	s_and_saveexec_b32 s18, s16
	s_cbranch_execz .LBB1142_768
.LBB1142_836:                           ;   in Loop: Header=BB1142_687 Depth=2
	ds_load_b64 v[58:59], v123 offset:5120
	s_wait_dscnt 0x0
	v_cmp_ne_u64_e64 s17, s[42:43], v[58:59]
	s_delay_alu instid0(VALU_DEP_1) | instskip(SKIP_2) | instid1(VALU_DEP_2)
	v_cndmask_b32_e64 v65, 0x7fffffff, v59, s17
	v_cndmask_b32_e64 v64, -1, v58, s17
	v_cmp_gt_i64_e64 s17, 0, v[58:59]
	v_lshrrev_b64 v[64:65], s48, v[64:65]
	v_ashrrev_i32_e32 v65, 31, v59
	s_delay_alu instid0(VALU_DEP_3) | instskip(NEXT) | instid1(VALU_DEP_2)
	v_cndmask_b32_e64 v66, 0x7fffffff, 0, s17
	v_not_b32_e32 v65, v65
	s_delay_alu instid0(VALU_DEP_4) | instskip(NEXT) | instid1(VALU_DEP_1)
	v_and_b32_e32 v64, s55, v64
	v_dual_lshlrev_b32 v64, 2, v64 :: v_dual_bitop2_b32 v59, v66, v59 bitop3:0x14
	ds_load_b32 v64, v64
	s_wait_dscnt 0x0
	v_dual_add_nc_u32 v64, v64, v99 :: v_dual_bitop2_b32 v58, v65, v58 bitop3:0x14
	global_store_b64 v64, v[58:59], s[38:39] scale_offset
	s_wait_xcnt 0x0
	s_or_b32 exec_lo, exec_lo, s18
	v_cmp_lt_u32_e64 s17, v100, v165
	s_and_saveexec_b32 s19, s17
	s_cbranch_execz .LBB1142_769
.LBB1142_837:                           ;   in Loop: Header=BB1142_687 Depth=2
	ds_load_b64 v[58:59], v123 offset:7168
	s_wait_dscnt 0x0
	v_cmp_ne_u64_e64 s18, s[42:43], v[58:59]
	s_delay_alu instid0(VALU_DEP_1) | instskip(SKIP_2) | instid1(VALU_DEP_2)
	v_cndmask_b32_e64 v65, 0x7fffffff, v59, s18
	v_cndmask_b32_e64 v64, -1, v58, s18
	v_cmp_gt_i64_e64 s18, 0, v[58:59]
	v_lshrrev_b64 v[64:65], s48, v[64:65]
	v_ashrrev_i32_e32 v65, 31, v59
	s_delay_alu instid0(VALU_DEP_3) | instskip(NEXT) | instid1(VALU_DEP_2)
	v_cndmask_b32_e64 v66, 0x7fffffff, 0, s18
	v_not_b32_e32 v65, v65
	s_delay_alu instid0(VALU_DEP_4) | instskip(NEXT) | instid1(VALU_DEP_1)
	v_and_b32_e32 v64, s55, v64
	v_dual_lshlrev_b32 v64, 2, v64 :: v_dual_bitop2_b32 v59, v66, v59 bitop3:0x14
	ds_load_b32 v64, v64
	s_wait_dscnt 0x0
	v_dual_add_nc_u32 v64, v64, v100 :: v_dual_bitop2_b32 v58, v65, v58 bitop3:0x14
	global_store_b64 v64, v[58:59], s[38:39] scale_offset
	s_wait_xcnt 0x0
	s_or_b32 exec_lo, exec_lo, s19
	v_cmp_lt_u32_e64 s18, v101, v165
	s_and_saveexec_b32 s20, s18
	s_cbranch_execz .LBB1142_770
.LBB1142_838:                           ;   in Loop: Header=BB1142_687 Depth=2
	ds_load_b64 v[58:59], v123 offset:9216
	s_wait_dscnt 0x0
	v_cmp_ne_u64_e64 s19, s[42:43], v[58:59]
	s_delay_alu instid0(VALU_DEP_1) | instskip(SKIP_2) | instid1(VALU_DEP_2)
	v_cndmask_b32_e64 v65, 0x7fffffff, v59, s19
	v_cndmask_b32_e64 v64, -1, v58, s19
	v_cmp_gt_i64_e64 s19, 0, v[58:59]
	v_lshrrev_b64 v[64:65], s48, v[64:65]
	v_ashrrev_i32_e32 v65, 31, v59
	s_delay_alu instid0(VALU_DEP_3) | instskip(NEXT) | instid1(VALU_DEP_2)
	v_cndmask_b32_e64 v66, 0x7fffffff, 0, s19
	v_not_b32_e32 v65, v65
	s_delay_alu instid0(VALU_DEP_4) | instskip(NEXT) | instid1(VALU_DEP_1)
	v_and_b32_e32 v64, s55, v64
	v_dual_lshlrev_b32 v64, 2, v64 :: v_dual_bitop2_b32 v59, v66, v59 bitop3:0x14
	ds_load_b32 v64, v64
	s_wait_dscnt 0x0
	v_dual_add_nc_u32 v64, v64, v101 :: v_dual_bitop2_b32 v58, v65, v58 bitop3:0x14
	global_store_b64 v64, v[58:59], s[38:39] scale_offset
	s_wait_xcnt 0x0
	s_or_b32 exec_lo, exec_lo, s20
	v_cmp_lt_u32_e64 s19, v102, v165
	s_and_saveexec_b32 s21, s19
	s_cbranch_execz .LBB1142_771
.LBB1142_839:                           ;   in Loop: Header=BB1142_687 Depth=2
	ds_load_b64 v[58:59], v123 offset:11264
	s_wait_dscnt 0x0
	v_cmp_ne_u64_e64 s20, s[42:43], v[58:59]
	s_delay_alu instid0(VALU_DEP_1) | instskip(SKIP_2) | instid1(VALU_DEP_2)
	v_cndmask_b32_e64 v65, 0x7fffffff, v59, s20
	v_cndmask_b32_e64 v64, -1, v58, s20
	v_cmp_gt_i64_e64 s20, 0, v[58:59]
	v_lshrrev_b64 v[64:65], s48, v[64:65]
	v_ashrrev_i32_e32 v65, 31, v59
	s_delay_alu instid0(VALU_DEP_3) | instskip(NEXT) | instid1(VALU_DEP_2)
	v_cndmask_b32_e64 v66, 0x7fffffff, 0, s20
	v_not_b32_e32 v65, v65
	s_delay_alu instid0(VALU_DEP_4) | instskip(NEXT) | instid1(VALU_DEP_3)
	v_and_b32_e32 v64, s55, v64
	v_xor_b32_e32 v59, v66, v59
	s_delay_alu instid0(VALU_DEP_2)
	v_dual_lshlrev_b32 v64, 2, v64 :: v_dual_bitop2_b32 v58, v65, v58 bitop3:0x14
	ds_load_b32 v64, v64
	s_wait_dscnt 0x0
	v_add_nc_u32_e32 v64, v64, v102
	global_store_b64 v64, v[58:59], s[38:39] scale_offset
	s_wait_xcnt 0x0
	s_or_b32 exec_lo, exec_lo, s21
	v_cmp_lt_u32_e64 s20, v103, v165
	s_and_saveexec_b32 s22, s20
	s_cbranch_execz .LBB1142_772
.LBB1142_840:                           ;   in Loop: Header=BB1142_687 Depth=2
	ds_load_b64 v[58:59], v123 offset:13312
	s_wait_dscnt 0x0
	v_cmp_ne_u64_e64 s21, s[42:43], v[58:59]
	s_delay_alu instid0(VALU_DEP_1) | instskip(SKIP_2) | instid1(VALU_DEP_2)
	v_cndmask_b32_e64 v65, 0x7fffffff, v59, s21
	v_cndmask_b32_e64 v64, -1, v58, s21
	v_cmp_gt_i64_e64 s21, 0, v[58:59]
	v_lshrrev_b64 v[64:65], s48, v[64:65]
	v_ashrrev_i32_e32 v65, 31, v59
	s_delay_alu instid0(VALU_DEP_3) | instskip(NEXT) | instid1(VALU_DEP_2)
	v_cndmask_b32_e64 v66, 0x7fffffff, 0, s21
	v_not_b32_e32 v65, v65
	s_delay_alu instid0(VALU_DEP_4) | instskip(NEXT) | instid1(VALU_DEP_1)
	v_and_b32_e32 v64, s55, v64
	v_dual_lshlrev_b32 v64, 2, v64 :: v_dual_bitop2_b32 v59, v66, v59 bitop3:0x14
	ds_load_b32 v64, v64
	s_wait_dscnt 0x0
	v_dual_add_nc_u32 v64, v64, v103 :: v_dual_bitop2_b32 v58, v65, v58 bitop3:0x14
	global_store_b64 v64, v[58:59], s[38:39] scale_offset
	s_wait_xcnt 0x0
	s_or_b32 exec_lo, exec_lo, s22
	v_cmp_lt_u32_e64 s21, v104, v165
	s_and_saveexec_b32 s23, s21
	s_cbranch_execz .LBB1142_773
.LBB1142_841:                           ;   in Loop: Header=BB1142_687 Depth=2
	ds_load_b64 v[58:59], v123 offset:15360
	s_wait_dscnt 0x0
	v_cmp_ne_u64_e64 s22, s[42:43], v[58:59]
	s_delay_alu instid0(VALU_DEP_1) | instskip(SKIP_2) | instid1(VALU_DEP_2)
	v_cndmask_b32_e64 v65, 0x7fffffff, v59, s22
	v_cndmask_b32_e64 v64, -1, v58, s22
	v_cmp_gt_i64_e64 s22, 0, v[58:59]
	v_lshrrev_b64 v[64:65], s48, v[64:65]
	v_ashrrev_i32_e32 v65, 31, v59
	s_delay_alu instid0(VALU_DEP_3) | instskip(NEXT) | instid1(VALU_DEP_2)
	v_cndmask_b32_e64 v66, 0x7fffffff, 0, s22
	v_not_b32_e32 v65, v65
	s_delay_alu instid0(VALU_DEP_4) | instskip(NEXT) | instid1(VALU_DEP_1)
	v_and_b32_e32 v64, s55, v64
	v_dual_lshlrev_b32 v64, 2, v64 :: v_dual_bitop2_b32 v59, v66, v59 bitop3:0x14
	ds_load_b32 v64, v64
	s_wait_dscnt 0x0
	v_dual_add_nc_u32 v64, v64, v104 :: v_dual_bitop2_b32 v58, v65, v58 bitop3:0x14
	global_store_b64 v64, v[58:59], s[38:39] scale_offset
	s_wait_xcnt 0x0
	s_or_b32 exec_lo, exec_lo, s23
	v_cmp_lt_u32_e64 s22, v105, v165
	s_and_saveexec_b32 s24, s22
	s_cbranch_execz .LBB1142_774
.LBB1142_842:                           ;   in Loop: Header=BB1142_687 Depth=2
	ds_load_b64 v[58:59], v123 offset:17408
	s_wait_dscnt 0x0
	v_cmp_ne_u64_e64 s23, s[42:43], v[58:59]
	s_delay_alu instid0(VALU_DEP_1) | instskip(SKIP_2) | instid1(VALU_DEP_2)
	v_cndmask_b32_e64 v65, 0x7fffffff, v59, s23
	v_cndmask_b32_e64 v64, -1, v58, s23
	v_cmp_gt_i64_e64 s23, 0, v[58:59]
	v_lshrrev_b64 v[64:65], s48, v[64:65]
	v_ashrrev_i32_e32 v65, 31, v59
	s_delay_alu instid0(VALU_DEP_3) | instskip(NEXT) | instid1(VALU_DEP_2)
	v_cndmask_b32_e64 v66, 0x7fffffff, 0, s23
	v_not_b32_e32 v65, v65
	s_delay_alu instid0(VALU_DEP_4) | instskip(NEXT) | instid1(VALU_DEP_1)
	v_and_b32_e32 v64, s55, v64
	v_dual_lshlrev_b32 v64, 2, v64 :: v_dual_bitop2_b32 v59, v66, v59 bitop3:0x14
	ds_load_b32 v64, v64
	s_wait_dscnt 0x0
	v_dual_add_nc_u32 v64, v64, v105 :: v_dual_bitop2_b32 v58, v65, v58 bitop3:0x14
	global_store_b64 v64, v[58:59], s[38:39] scale_offset
	s_wait_xcnt 0x0
	s_or_b32 exec_lo, exec_lo, s24
	v_cmp_lt_u32_e64 s23, v106, v165
	s_and_saveexec_b32 s25, s23
	s_cbranch_execz .LBB1142_775
.LBB1142_843:                           ;   in Loop: Header=BB1142_687 Depth=2
	ds_load_b64 v[58:59], v123 offset:19456
	s_wait_dscnt 0x0
	v_cmp_ne_u64_e64 s24, s[42:43], v[58:59]
	s_delay_alu instid0(VALU_DEP_1) | instskip(SKIP_2) | instid1(VALU_DEP_2)
	v_cndmask_b32_e64 v65, 0x7fffffff, v59, s24
	v_cndmask_b32_e64 v64, -1, v58, s24
	v_cmp_gt_i64_e64 s24, 0, v[58:59]
	v_lshrrev_b64 v[64:65], s48, v[64:65]
	v_ashrrev_i32_e32 v65, 31, v59
	s_delay_alu instid0(VALU_DEP_3) | instskip(NEXT) | instid1(VALU_DEP_2)
	v_cndmask_b32_e64 v66, 0x7fffffff, 0, s24
	v_not_b32_e32 v65, v65
	s_delay_alu instid0(VALU_DEP_4) | instskip(NEXT) | instid1(VALU_DEP_3)
	v_and_b32_e32 v64, s55, v64
	v_xor_b32_e32 v59, v66, v59
	s_delay_alu instid0(VALU_DEP_2)
	v_dual_lshlrev_b32 v64, 2, v64 :: v_dual_bitop2_b32 v58, v65, v58 bitop3:0x14
	ds_load_b32 v64, v64
	s_wait_dscnt 0x0
	v_add_nc_u32_e32 v64, v64, v106
	global_store_b64 v64, v[58:59], s[38:39] scale_offset
	s_wait_xcnt 0x0
	s_or_b32 exec_lo, exec_lo, s25
	v_cmp_lt_u32_e64 s24, v107, v165
	s_and_saveexec_b32 s26, s24
	s_cbranch_execz .LBB1142_776
.LBB1142_844:                           ;   in Loop: Header=BB1142_687 Depth=2
	ds_load_b64 v[58:59], v123 offset:21504
	s_wait_dscnt 0x0
	v_cmp_ne_u64_e64 s25, s[42:43], v[58:59]
	s_delay_alu instid0(VALU_DEP_1) | instskip(SKIP_2) | instid1(VALU_DEP_2)
	v_cndmask_b32_e64 v65, 0x7fffffff, v59, s25
	v_cndmask_b32_e64 v64, -1, v58, s25
	v_cmp_gt_i64_e64 s25, 0, v[58:59]
	v_lshrrev_b64 v[64:65], s48, v[64:65]
	v_ashrrev_i32_e32 v65, 31, v59
	s_delay_alu instid0(VALU_DEP_3) | instskip(NEXT) | instid1(VALU_DEP_2)
	v_cndmask_b32_e64 v66, 0x7fffffff, 0, s25
	v_not_b32_e32 v65, v65
	s_delay_alu instid0(VALU_DEP_4) | instskip(NEXT) | instid1(VALU_DEP_1)
	v_and_b32_e32 v64, s55, v64
	v_dual_lshlrev_b32 v64, 2, v64 :: v_dual_bitop2_b32 v59, v66, v59 bitop3:0x14
	ds_load_b32 v64, v64
	s_wait_dscnt 0x0
	v_dual_add_nc_u32 v64, v64, v107 :: v_dual_bitop2_b32 v58, v65, v58 bitop3:0x14
	global_store_b64 v64, v[58:59], s[38:39] scale_offset
	s_wait_xcnt 0x0
	s_or_b32 exec_lo, exec_lo, s26
	v_cmp_lt_u32_e64 s25, v108, v165
	s_and_saveexec_b32 s27, s25
	s_cbranch_execz .LBB1142_777
.LBB1142_845:                           ;   in Loop: Header=BB1142_687 Depth=2
	ds_load_b64 v[58:59], v123 offset:23552
	s_wait_dscnt 0x0
	v_cmp_ne_u64_e64 s26, s[42:43], v[58:59]
	s_delay_alu instid0(VALU_DEP_1) | instskip(SKIP_2) | instid1(VALU_DEP_2)
	v_cndmask_b32_e64 v65, 0x7fffffff, v59, s26
	v_cndmask_b32_e64 v64, -1, v58, s26
	v_cmp_gt_i64_e64 s26, 0, v[58:59]
	v_lshrrev_b64 v[64:65], s48, v[64:65]
	v_ashrrev_i32_e32 v65, 31, v59
	s_delay_alu instid0(VALU_DEP_3) | instskip(NEXT) | instid1(VALU_DEP_2)
	v_cndmask_b32_e64 v66, 0x7fffffff, 0, s26
	v_not_b32_e32 v65, v65
	s_delay_alu instid0(VALU_DEP_4) | instskip(NEXT) | instid1(VALU_DEP_1)
	v_and_b32_e32 v64, s55, v64
	v_dual_lshlrev_b32 v64, 2, v64 :: v_dual_bitop2_b32 v59, v66, v59 bitop3:0x14
	ds_load_b32 v64, v64
	s_wait_dscnt 0x0
	v_dual_add_nc_u32 v64, v64, v108 :: v_dual_bitop2_b32 v58, v65, v58 bitop3:0x14
	global_store_b64 v64, v[58:59], s[38:39] scale_offset
	s_wait_xcnt 0x0
	s_or_b32 exec_lo, exec_lo, s27
	v_cmp_lt_u32_e64 s26, v109, v165
	s_and_saveexec_b32 s28, s26
	s_cbranch_execz .LBB1142_778
.LBB1142_846:                           ;   in Loop: Header=BB1142_687 Depth=2
	ds_load_b64 v[58:59], v123 offset:25600
	s_wait_dscnt 0x0
	v_cmp_ne_u64_e64 s27, s[42:43], v[58:59]
	s_delay_alu instid0(VALU_DEP_1) | instskip(SKIP_2) | instid1(VALU_DEP_2)
	v_cndmask_b32_e64 v65, 0x7fffffff, v59, s27
	v_cndmask_b32_e64 v64, -1, v58, s27
	v_cmp_gt_i64_e64 s27, 0, v[58:59]
	v_lshrrev_b64 v[64:65], s48, v[64:65]
	v_ashrrev_i32_e32 v65, 31, v59
	s_delay_alu instid0(VALU_DEP_3) | instskip(NEXT) | instid1(VALU_DEP_2)
	v_cndmask_b32_e64 v66, 0x7fffffff, 0, s27
	v_not_b32_e32 v65, v65
	s_delay_alu instid0(VALU_DEP_4) | instskip(NEXT) | instid1(VALU_DEP_1)
	v_and_b32_e32 v64, s55, v64
	v_dual_lshlrev_b32 v64, 2, v64 :: v_dual_bitop2_b32 v59, v66, v59 bitop3:0x14
	ds_load_b32 v64, v64
	s_wait_dscnt 0x0
	v_dual_add_nc_u32 v64, v64, v109 :: v_dual_bitop2_b32 v58, v65, v58 bitop3:0x14
	global_store_b64 v64, v[58:59], s[38:39] scale_offset
	s_wait_xcnt 0x0
	s_or_b32 exec_lo, exec_lo, s28
	v_cmp_lt_u32_e64 s27, v110, v165
	s_and_saveexec_b32 s29, s27
	s_cbranch_execz .LBB1142_779
.LBB1142_847:                           ;   in Loop: Header=BB1142_687 Depth=2
	ds_load_b64 v[58:59], v123 offset:27648
	s_wait_dscnt 0x0
	v_cmp_ne_u64_e64 s28, s[42:43], v[58:59]
	s_delay_alu instid0(VALU_DEP_1) | instskip(SKIP_2) | instid1(VALU_DEP_2)
	v_cndmask_b32_e64 v65, 0x7fffffff, v59, s28
	v_cndmask_b32_e64 v64, -1, v58, s28
	v_cmp_gt_i64_e64 s28, 0, v[58:59]
	v_lshrrev_b64 v[64:65], s48, v[64:65]
	v_ashrrev_i32_e32 v65, 31, v59
	s_delay_alu instid0(VALU_DEP_3) | instskip(NEXT) | instid1(VALU_DEP_2)
	v_cndmask_b32_e64 v66, 0x7fffffff, 0, s28
	v_not_b32_e32 v65, v65
	s_delay_alu instid0(VALU_DEP_4) | instskip(NEXT) | instid1(VALU_DEP_3)
	v_and_b32_e32 v64, s55, v64
	v_xor_b32_e32 v59, v66, v59
	s_delay_alu instid0(VALU_DEP_2)
	v_dual_lshlrev_b32 v64, 2, v64 :: v_dual_bitop2_b32 v58, v65, v58 bitop3:0x14
	ds_load_b32 v64, v64
	s_wait_dscnt 0x0
	v_add_nc_u32_e32 v64, v64, v110
	global_store_b64 v64, v[58:59], s[38:39] scale_offset
	s_wait_xcnt 0x0
	s_or_b32 exec_lo, exec_lo, s29
	v_cmp_lt_u32_e64 s28, v111, v165
	s_and_saveexec_b32 s30, s28
	s_cbranch_execz .LBB1142_780
.LBB1142_848:                           ;   in Loop: Header=BB1142_687 Depth=2
	ds_load_b64 v[58:59], v123 offset:29696
	s_wait_dscnt 0x0
	v_cmp_ne_u64_e64 s29, s[42:43], v[58:59]
	s_delay_alu instid0(VALU_DEP_1) | instskip(SKIP_2) | instid1(VALU_DEP_2)
	v_cndmask_b32_e64 v65, 0x7fffffff, v59, s29
	v_cndmask_b32_e64 v64, -1, v58, s29
	v_cmp_gt_i64_e64 s29, 0, v[58:59]
	v_lshrrev_b64 v[64:65], s48, v[64:65]
	v_ashrrev_i32_e32 v65, 31, v59
	s_delay_alu instid0(VALU_DEP_3) | instskip(NEXT) | instid1(VALU_DEP_2)
	v_cndmask_b32_e64 v66, 0x7fffffff, 0, s29
	v_not_b32_e32 v65, v65
	s_delay_alu instid0(VALU_DEP_4) | instskip(NEXT) | instid1(VALU_DEP_1)
	v_and_b32_e32 v64, s55, v64
	v_dual_lshlrev_b32 v64, 2, v64 :: v_dual_bitop2_b32 v59, v66, v59 bitop3:0x14
	ds_load_b32 v64, v64
	s_wait_dscnt 0x0
	v_dual_add_nc_u32 v64, v64, v111 :: v_dual_bitop2_b32 v58, v65, v58 bitop3:0x14
	global_store_b64 v64, v[58:59], s[38:39] scale_offset
	s_wait_xcnt 0x0
	s_or_b32 exec_lo, exec_lo, s30
	v_cmp_lt_u32_e64 s29, v112, v165
	s_and_saveexec_b32 s61, s29
	s_cbranch_execnz .LBB1142_781
	s_branch .LBB1142_782
.LBB1142_849:                           ;   in Loop: Header=BB1142_687 Depth=2
	global_load_b64 v[56:57], v[58:59], off
	s_wait_xcnt 0x0
	s_or_b32 exec_lo, exec_lo, s30
	s_delay_alu instid0(SALU_CYCLE_1)
	s_mov_b32 s34, exec_lo
	v_cmpx_lt_u32_e64 v132, v165
	s_cbranch_execz .LBB1142_784
.LBB1142_850:                           ;   in Loop: Header=BB1142_687 Depth=2
	global_load_b64 v[54:55], v[58:59], off offset:256
	s_wait_xcnt 0x0
	s_or_b32 exec_lo, exec_lo, s34
	s_delay_alu instid0(SALU_CYCLE_1)
	s_mov_b32 s34, exec_lo
	v_cmpx_lt_u32_e64 v133, v165
	s_cbranch_execz .LBB1142_785
.LBB1142_851:                           ;   in Loop: Header=BB1142_687 Depth=2
	global_load_b64 v[52:53], v[58:59], off offset:512
	s_wait_xcnt 0x0
	s_or_b32 exec_lo, exec_lo, s34
	s_delay_alu instid0(SALU_CYCLE_1)
	s_mov_b32 s34, exec_lo
	v_cmpx_lt_u32_e64 v134, v165
	s_cbranch_execz .LBB1142_786
.LBB1142_852:                           ;   in Loop: Header=BB1142_687 Depth=2
	global_load_b64 v[50:51], v[58:59], off offset:768
	s_wait_xcnt 0x0
	s_or_b32 exec_lo, exec_lo, s34
	s_delay_alu instid0(SALU_CYCLE_1)
	s_mov_b32 s34, exec_lo
	v_cmpx_lt_u32_e64 v135, v165
	s_cbranch_execz .LBB1142_787
.LBB1142_853:                           ;   in Loop: Header=BB1142_687 Depth=2
	global_load_b64 v[48:49], v[58:59], off offset:1024
	s_wait_xcnt 0x0
	s_or_b32 exec_lo, exec_lo, s34
	s_delay_alu instid0(SALU_CYCLE_1)
	s_mov_b32 s34, exec_lo
	v_cmpx_lt_u32_e64 v136, v165
	s_cbranch_execz .LBB1142_788
.LBB1142_854:                           ;   in Loop: Header=BB1142_687 Depth=2
	global_load_b64 v[46:47], v[58:59], off offset:1280
	s_wait_xcnt 0x0
	s_or_b32 exec_lo, exec_lo, s34
	s_delay_alu instid0(SALU_CYCLE_1)
	s_mov_b32 s34, exec_lo
	v_cmpx_lt_u32_e64 v137, v165
	s_cbranch_execz .LBB1142_789
.LBB1142_855:                           ;   in Loop: Header=BB1142_687 Depth=2
	global_load_b64 v[44:45], v[58:59], off offset:1536
	s_wait_xcnt 0x0
	s_or_b32 exec_lo, exec_lo, s34
	s_delay_alu instid0(SALU_CYCLE_1)
	s_mov_b32 s34, exec_lo
	v_cmpx_lt_u32_e64 v138, v165
	s_cbranch_execz .LBB1142_790
.LBB1142_856:                           ;   in Loop: Header=BB1142_687 Depth=2
	global_load_b64 v[42:43], v[58:59], off offset:1792
	s_wait_xcnt 0x0
	s_or_b32 exec_lo, exec_lo, s34
	s_delay_alu instid0(SALU_CYCLE_1)
	s_mov_b32 s34, exec_lo
	v_cmpx_lt_u32_e64 v139, v165
	s_cbranch_execz .LBB1142_791
.LBB1142_857:                           ;   in Loop: Header=BB1142_687 Depth=2
	global_load_b64 v[40:41], v[58:59], off offset:2048
	s_wait_xcnt 0x0
	s_or_b32 exec_lo, exec_lo, s34
	s_delay_alu instid0(SALU_CYCLE_1)
	s_mov_b32 s34, exec_lo
	v_cmpx_lt_u32_e64 v140, v165
	s_cbranch_execz .LBB1142_792
.LBB1142_858:                           ;   in Loop: Header=BB1142_687 Depth=2
	global_load_b64 v[38:39], v[58:59], off offset:2304
	s_wait_xcnt 0x0
	s_or_b32 exec_lo, exec_lo, s34
	s_delay_alu instid0(SALU_CYCLE_1)
	s_mov_b32 s34, exec_lo
	v_cmpx_lt_u32_e64 v141, v165
	s_cbranch_execz .LBB1142_793
.LBB1142_859:                           ;   in Loop: Header=BB1142_687 Depth=2
	global_load_b64 v[36:37], v[58:59], off offset:2560
	s_wait_xcnt 0x0
	s_or_b32 exec_lo, exec_lo, s34
	s_delay_alu instid0(SALU_CYCLE_1)
	s_mov_b32 s34, exec_lo
	v_cmpx_lt_u32_e64 v142, v165
	s_cbranch_execz .LBB1142_794
.LBB1142_860:                           ;   in Loop: Header=BB1142_687 Depth=2
	global_load_b64 v[34:35], v[58:59], off offset:2816
	s_wait_xcnt 0x0
	s_or_b32 exec_lo, exec_lo, s34
	s_delay_alu instid0(SALU_CYCLE_1)
	s_mov_b32 s34, exec_lo
	v_cmpx_lt_u32_e64 v143, v165
	s_cbranch_execz .LBB1142_795
.LBB1142_861:                           ;   in Loop: Header=BB1142_687 Depth=2
	global_load_b64 v[32:33], v[58:59], off offset:3072
	s_wait_xcnt 0x0
	s_or_b32 exec_lo, exec_lo, s34
	s_delay_alu instid0(SALU_CYCLE_1)
	s_mov_b32 s34, exec_lo
	v_cmpx_lt_u32_e64 v144, v165
	s_cbranch_execz .LBB1142_796
.LBB1142_862:                           ;   in Loop: Header=BB1142_687 Depth=2
	global_load_b64 v[30:31], v[58:59], off offset:3328
	s_wait_xcnt 0x0
	s_or_b32 exec_lo, exec_lo, s34
	s_delay_alu instid0(SALU_CYCLE_1)
	s_mov_b32 s34, exec_lo
	v_cmpx_lt_u32_e64 v145, v165
	s_cbranch_execz .LBB1142_797
.LBB1142_863:                           ;   in Loop: Header=BB1142_687 Depth=2
	global_load_b64 v[28:29], v[58:59], off offset:3584
	s_wait_xcnt 0x0
	s_or_b32 exec_lo, exec_lo, s34
	s_delay_alu instid0(SALU_CYCLE_1)
	s_mov_b32 s34, exec_lo
	v_cmpx_lt_u32_e64 v146, v165
	s_cbranch_execz .LBB1142_798
.LBB1142_864:                           ;   in Loop: Header=BB1142_687 Depth=2
	global_load_b64 v[26:27], v[58:59], off offset:3840
	s_wait_xcnt 0x0
	s_or_b32 exec_lo, exec_lo, s34
	s_and_saveexec_b32 s34, vcc_lo
	s_cbranch_execz .LBB1142_799
.LBB1142_865:                           ;   in Loop: Header=BB1142_687 Depth=2
	ds_load_b64 v[58:59], v123 offset:1024
	s_wait_dscnt 0x0
	v_cmp_ne_u64_e64 s30, s[42:43], v[58:59]
	s_delay_alu instid0(VALU_DEP_1) | instskip(SKIP_1) | instid1(VALU_DEP_1)
	v_cndmask_b32_e64 v59, 0x7fffffff, v59, s30
	v_cndmask_b32_e64 v58, -1, v58, s30
	v_lshrrev_b64 v[58:59], s48, v[58:59]
	s_delay_alu instid0(VALU_DEP_1)
	v_and_b32_e32 v164, s55, v58
	s_or_b32 exec_lo, exec_lo, s34
	s_and_saveexec_b32 s34, s15
	s_cbranch_execz .LBB1142_800
.LBB1142_866:                           ;   in Loop: Header=BB1142_687 Depth=2
	ds_load_b64 v[58:59], v123 offset:3072
	s_wait_dscnt 0x0
	v_cmp_ne_u64_e64 s30, s[42:43], v[58:59]
	s_delay_alu instid0(VALU_DEP_1) | instskip(SKIP_1) | instid1(VALU_DEP_1)
	v_cndmask_b32_e64 v59, 0x7fffffff, v59, s30
	v_cndmask_b32_e64 v58, -1, v58, s30
	v_lshrrev_b64 v[58:59], s48, v[58:59]
	s_delay_alu instid0(VALU_DEP_1)
	v_and_b32_e32 v163, s55, v58
	s_or_b32 exec_lo, exec_lo, s34
	s_and_saveexec_b32 s34, s16
	s_cbranch_execz .LBB1142_801
.LBB1142_867:                           ;   in Loop: Header=BB1142_687 Depth=2
	ds_load_b64 v[58:59], v123 offset:5120
	s_wait_dscnt 0x0
	v_cmp_ne_u64_e64 s30, s[42:43], v[58:59]
	s_delay_alu instid0(VALU_DEP_1) | instskip(SKIP_1) | instid1(VALU_DEP_1)
	v_cndmask_b32_e64 v59, 0x7fffffff, v59, s30
	v_cndmask_b32_e64 v58, -1, v58, s30
	v_lshrrev_b64 v[58:59], s48, v[58:59]
	s_delay_alu instid0(VALU_DEP_1)
	v_and_b32_e32 v162, s55, v58
	s_or_b32 exec_lo, exec_lo, s34
	s_and_saveexec_b32 s34, s17
	s_cbranch_execz .LBB1142_802
.LBB1142_868:                           ;   in Loop: Header=BB1142_687 Depth=2
	ds_load_b64 v[58:59], v123 offset:7168
	s_wait_dscnt 0x0
	v_cmp_ne_u64_e64 s30, s[42:43], v[58:59]
	s_delay_alu instid0(VALU_DEP_1) | instskip(SKIP_1) | instid1(VALU_DEP_1)
	v_cndmask_b32_e64 v59, 0x7fffffff, v59, s30
	v_cndmask_b32_e64 v58, -1, v58, s30
	v_lshrrev_b64 v[58:59], s48, v[58:59]
	s_delay_alu instid0(VALU_DEP_1)
	v_and_b32_e32 v161, s55, v58
	s_or_b32 exec_lo, exec_lo, s34
	s_and_saveexec_b32 s34, s18
	s_cbranch_execz .LBB1142_803
.LBB1142_869:                           ;   in Loop: Header=BB1142_687 Depth=2
	ds_load_b64 v[58:59], v123 offset:9216
	s_wait_dscnt 0x0
	v_cmp_ne_u64_e64 s30, s[42:43], v[58:59]
	s_delay_alu instid0(VALU_DEP_1) | instskip(SKIP_1) | instid1(VALU_DEP_1)
	v_cndmask_b32_e64 v59, 0x7fffffff, v59, s30
	v_cndmask_b32_e64 v58, -1, v58, s30
	v_lshrrev_b64 v[58:59], s48, v[58:59]
	s_delay_alu instid0(VALU_DEP_1)
	v_and_b32_e32 v160, s55, v58
	s_or_b32 exec_lo, exec_lo, s34
	s_and_saveexec_b32 s34, s19
	s_cbranch_execz .LBB1142_804
.LBB1142_870:                           ;   in Loop: Header=BB1142_687 Depth=2
	ds_load_b64 v[58:59], v123 offset:11264
	s_wait_dscnt 0x0
	v_cmp_ne_u64_e64 s30, s[42:43], v[58:59]
	s_delay_alu instid0(VALU_DEP_1) | instskip(SKIP_1) | instid1(VALU_DEP_1)
	v_cndmask_b32_e64 v59, 0x7fffffff, v59, s30
	v_cndmask_b32_e64 v58, -1, v58, s30
	v_lshrrev_b64 v[58:59], s48, v[58:59]
	s_delay_alu instid0(VALU_DEP_1)
	v_and_b32_e32 v159, s55, v58
	s_or_b32 exec_lo, exec_lo, s34
	s_and_saveexec_b32 s34, s20
	s_cbranch_execz .LBB1142_805
.LBB1142_871:                           ;   in Loop: Header=BB1142_687 Depth=2
	ds_load_b64 v[58:59], v123 offset:13312
	s_wait_dscnt 0x0
	v_cmp_ne_u64_e64 s30, s[42:43], v[58:59]
	s_delay_alu instid0(VALU_DEP_1) | instskip(SKIP_1) | instid1(VALU_DEP_1)
	v_cndmask_b32_e64 v59, 0x7fffffff, v59, s30
	v_cndmask_b32_e64 v58, -1, v58, s30
	v_lshrrev_b64 v[58:59], s48, v[58:59]
	s_delay_alu instid0(VALU_DEP_1)
	v_and_b32_e32 v158, s55, v58
	s_or_b32 exec_lo, exec_lo, s34
	s_and_saveexec_b32 s34, s21
	s_cbranch_execz .LBB1142_806
.LBB1142_872:                           ;   in Loop: Header=BB1142_687 Depth=2
	ds_load_b64 v[58:59], v123 offset:15360
	s_wait_dscnt 0x0
	v_cmp_ne_u64_e64 s30, s[42:43], v[58:59]
	s_delay_alu instid0(VALU_DEP_1) | instskip(SKIP_1) | instid1(VALU_DEP_1)
	v_cndmask_b32_e64 v59, 0x7fffffff, v59, s30
	v_cndmask_b32_e64 v58, -1, v58, s30
	v_lshrrev_b64 v[58:59], s48, v[58:59]
	s_delay_alu instid0(VALU_DEP_1)
	v_and_b32_e32 v157, s55, v58
	s_or_b32 exec_lo, exec_lo, s34
	s_and_saveexec_b32 s34, s22
	s_cbranch_execz .LBB1142_807
.LBB1142_873:                           ;   in Loop: Header=BB1142_687 Depth=2
	ds_load_b64 v[58:59], v123 offset:17408
	s_wait_dscnt 0x0
	v_cmp_ne_u64_e64 s30, s[42:43], v[58:59]
	s_delay_alu instid0(VALU_DEP_1) | instskip(SKIP_1) | instid1(VALU_DEP_1)
	v_cndmask_b32_e64 v59, 0x7fffffff, v59, s30
	v_cndmask_b32_e64 v58, -1, v58, s30
	v_lshrrev_b64 v[58:59], s48, v[58:59]
	s_delay_alu instid0(VALU_DEP_1)
	v_and_b32_e32 v156, s55, v58
	s_or_b32 exec_lo, exec_lo, s34
	s_and_saveexec_b32 s34, s23
	s_cbranch_execz .LBB1142_808
.LBB1142_874:                           ;   in Loop: Header=BB1142_687 Depth=2
	ds_load_b64 v[58:59], v123 offset:19456
	s_wait_dscnt 0x0
	v_cmp_ne_u64_e64 s30, s[42:43], v[58:59]
	s_delay_alu instid0(VALU_DEP_1) | instskip(SKIP_1) | instid1(VALU_DEP_1)
	v_cndmask_b32_e64 v59, 0x7fffffff, v59, s30
	v_cndmask_b32_e64 v58, -1, v58, s30
	v_lshrrev_b64 v[58:59], s48, v[58:59]
	s_delay_alu instid0(VALU_DEP_1)
	v_and_b32_e32 v155, s55, v58
	s_or_b32 exec_lo, exec_lo, s34
	s_and_saveexec_b32 s34, s24
	s_cbranch_execz .LBB1142_809
.LBB1142_875:                           ;   in Loop: Header=BB1142_687 Depth=2
	ds_load_b64 v[58:59], v123 offset:21504
	s_wait_dscnt 0x0
	v_cmp_ne_u64_e64 s30, s[42:43], v[58:59]
	s_delay_alu instid0(VALU_DEP_1) | instskip(SKIP_1) | instid1(VALU_DEP_1)
	v_cndmask_b32_e64 v59, 0x7fffffff, v59, s30
	v_cndmask_b32_e64 v58, -1, v58, s30
	v_lshrrev_b64 v[58:59], s48, v[58:59]
	s_delay_alu instid0(VALU_DEP_1)
	v_and_b32_e32 v154, s55, v58
	s_or_b32 exec_lo, exec_lo, s34
	s_and_saveexec_b32 s34, s25
	s_cbranch_execz .LBB1142_810
.LBB1142_876:                           ;   in Loop: Header=BB1142_687 Depth=2
	ds_load_b64 v[58:59], v123 offset:23552
	s_wait_dscnt 0x0
	v_cmp_ne_u64_e64 s30, s[42:43], v[58:59]
	s_delay_alu instid0(VALU_DEP_1) | instskip(SKIP_1) | instid1(VALU_DEP_1)
	v_cndmask_b32_e64 v59, 0x7fffffff, v59, s30
	v_cndmask_b32_e64 v58, -1, v58, s30
	v_lshrrev_b64 v[58:59], s48, v[58:59]
	s_delay_alu instid0(VALU_DEP_1)
	v_and_b32_e32 v153, s55, v58
	s_or_b32 exec_lo, exec_lo, s34
	s_and_saveexec_b32 s34, s26
	s_cbranch_execz .LBB1142_811
.LBB1142_877:                           ;   in Loop: Header=BB1142_687 Depth=2
	ds_load_b64 v[58:59], v123 offset:25600
	s_wait_dscnt 0x0
	v_cmp_ne_u64_e64 s30, s[42:43], v[58:59]
	s_delay_alu instid0(VALU_DEP_1) | instskip(SKIP_1) | instid1(VALU_DEP_1)
	v_cndmask_b32_e64 v59, 0x7fffffff, v59, s30
	v_cndmask_b32_e64 v58, -1, v58, s30
	v_lshrrev_b64 v[58:59], s48, v[58:59]
	s_delay_alu instid0(VALU_DEP_1)
	v_and_b32_e32 v152, s55, v58
	s_or_b32 exec_lo, exec_lo, s34
	s_and_saveexec_b32 s34, s27
	s_cbranch_execz .LBB1142_812
.LBB1142_878:                           ;   in Loop: Header=BB1142_687 Depth=2
	ds_load_b64 v[58:59], v123 offset:27648
	s_wait_dscnt 0x0
	v_cmp_ne_u64_e64 s30, s[42:43], v[58:59]
	s_delay_alu instid0(VALU_DEP_1) | instskip(SKIP_1) | instid1(VALU_DEP_1)
	v_cndmask_b32_e64 v59, 0x7fffffff, v59, s30
	v_cndmask_b32_e64 v58, -1, v58, s30
	v_lshrrev_b64 v[58:59], s48, v[58:59]
	s_delay_alu instid0(VALU_DEP_1)
	v_and_b32_e32 v151, s55, v58
	s_or_b32 exec_lo, exec_lo, s34
	s_and_saveexec_b32 s34, s28
	s_cbranch_execz .LBB1142_813
.LBB1142_879:                           ;   in Loop: Header=BB1142_687 Depth=2
	ds_load_b64 v[58:59], v123 offset:29696
	s_wait_dscnt 0x0
	v_cmp_ne_u64_e64 s30, s[42:43], v[58:59]
	s_delay_alu instid0(VALU_DEP_1) | instskip(SKIP_1) | instid1(VALU_DEP_1)
	v_cndmask_b32_e64 v59, 0x7fffffff, v59, s30
	v_cndmask_b32_e64 v58, -1, v58, s30
	v_lshrrev_b64 v[58:59], s48, v[58:59]
	s_delay_alu instid0(VALU_DEP_1)
	v_and_b32_e32 v150, s55, v58
	s_or_b32 exec_lo, exec_lo, s34
	s_and_saveexec_b32 s34, s29
	s_cbranch_execnz .LBB1142_814
	s_branch .LBB1142_815
.LBB1142_880:                           ;   in Loop: Header=BB1142_687 Depth=2
	v_lshlrev_b32_e32 v58, 2, v164
	ds_load_b32 v60, v58
	ds_load_b64 v[58:59], v123 offset:1024
	s_wait_dscnt 0x1
	v_add_nc_u32_e32 v60, v60, v2
	s_wait_dscnt 0x0
	global_store_b64 v60, v[58:59], s[44:45] scale_offset
	s_wait_xcnt 0x0
	s_or_b32 exec_lo, exec_lo, s30
	s_and_saveexec_b32 s30, s15
	s_cbranch_execz .LBB1142_817
.LBB1142_881:                           ;   in Loop: Header=BB1142_687 Depth=2
	v_lshlrev_b32_e32 v58, 2, v163
	ds_load_b32 v60, v58
	ds_load_b64 v[58:59], v123 offset:3072
	s_wait_dscnt 0x1
	v_add_nc_u32_e32 v60, v60, v98
	s_wait_dscnt 0x0
	global_store_b64 v60, v[58:59], s[44:45] scale_offset
	s_wait_xcnt 0x0
	s_or_b32 exec_lo, exec_lo, s30
	s_and_saveexec_b32 s15, s16
	s_cbranch_execz .LBB1142_818
.LBB1142_882:                           ;   in Loop: Header=BB1142_687 Depth=2
	v_lshlrev_b32_e32 v58, 2, v162
	ds_load_b32 v60, v58
	ds_load_b64 v[58:59], v123 offset:5120
	s_wait_dscnt 0x1
	v_add_nc_u32_e32 v60, v60, v99
	s_wait_dscnt 0x0
	global_store_b64 v60, v[58:59], s[44:45] scale_offset
	s_wait_xcnt 0x0
	s_or_b32 exec_lo, exec_lo, s15
	s_and_saveexec_b32 s15, s17
	s_cbranch_execz .LBB1142_819
.LBB1142_883:                           ;   in Loop: Header=BB1142_687 Depth=2
	v_lshlrev_b32_e32 v58, 2, v161
	ds_load_b32 v60, v58
	ds_load_b64 v[58:59], v123 offset:7168
	s_wait_dscnt 0x1
	v_add_nc_u32_e32 v60, v60, v100
	s_wait_dscnt 0x0
	global_store_b64 v60, v[58:59], s[44:45] scale_offset
	s_wait_xcnt 0x0
	s_or_b32 exec_lo, exec_lo, s15
	s_and_saveexec_b32 s15, s18
	s_cbranch_execz .LBB1142_820
.LBB1142_884:                           ;   in Loop: Header=BB1142_687 Depth=2
	v_lshlrev_b32_e32 v58, 2, v160
	ds_load_b32 v60, v58
	ds_load_b64 v[58:59], v123 offset:9216
	s_wait_dscnt 0x1
	v_add_nc_u32_e32 v60, v60, v101
	s_wait_dscnt 0x0
	global_store_b64 v60, v[58:59], s[44:45] scale_offset
	s_wait_xcnt 0x0
	s_or_b32 exec_lo, exec_lo, s15
	s_and_saveexec_b32 s15, s19
	s_cbranch_execz .LBB1142_821
.LBB1142_885:                           ;   in Loop: Header=BB1142_687 Depth=2
	v_lshlrev_b32_e32 v58, 2, v159
	ds_load_b32 v60, v58
	ds_load_b64 v[58:59], v123 offset:11264
	s_wait_dscnt 0x1
	v_add_nc_u32_e32 v60, v60, v102
	s_wait_dscnt 0x0
	global_store_b64 v60, v[58:59], s[44:45] scale_offset
	s_wait_xcnt 0x0
	s_or_b32 exec_lo, exec_lo, s15
	s_and_saveexec_b32 s15, s20
	s_cbranch_execz .LBB1142_822
.LBB1142_886:                           ;   in Loop: Header=BB1142_687 Depth=2
	v_lshlrev_b32_e32 v58, 2, v158
	ds_load_b32 v60, v58
	ds_load_b64 v[58:59], v123 offset:13312
	s_wait_dscnt 0x1
	v_add_nc_u32_e32 v60, v60, v103
	s_wait_dscnt 0x0
	global_store_b64 v60, v[58:59], s[44:45] scale_offset
	s_wait_xcnt 0x0
	s_or_b32 exec_lo, exec_lo, s15
	s_and_saveexec_b32 s15, s21
	s_cbranch_execz .LBB1142_823
.LBB1142_887:                           ;   in Loop: Header=BB1142_687 Depth=2
	v_lshlrev_b32_e32 v58, 2, v157
	ds_load_b32 v60, v58
	ds_load_b64 v[58:59], v123 offset:15360
	s_wait_dscnt 0x1
	v_add_nc_u32_e32 v60, v60, v104
	s_wait_dscnt 0x0
	global_store_b64 v60, v[58:59], s[44:45] scale_offset
	s_wait_xcnt 0x0
	s_or_b32 exec_lo, exec_lo, s15
	s_and_saveexec_b32 s15, s22
	s_cbranch_execz .LBB1142_824
.LBB1142_888:                           ;   in Loop: Header=BB1142_687 Depth=2
	v_lshlrev_b32_e32 v58, 2, v156
	ds_load_b32 v60, v58
	ds_load_b64 v[58:59], v123 offset:17408
	s_wait_dscnt 0x1
	v_add_nc_u32_e32 v60, v60, v105
	s_wait_dscnt 0x0
	global_store_b64 v60, v[58:59], s[44:45] scale_offset
	s_wait_xcnt 0x0
	s_or_b32 exec_lo, exec_lo, s15
	s_and_saveexec_b32 s15, s23
	s_cbranch_execz .LBB1142_825
.LBB1142_889:                           ;   in Loop: Header=BB1142_687 Depth=2
	v_lshlrev_b32_e32 v58, 2, v155
	ds_load_b32 v60, v58
	ds_load_b64 v[58:59], v123 offset:19456
	s_wait_dscnt 0x1
	v_add_nc_u32_e32 v60, v60, v106
	s_wait_dscnt 0x0
	global_store_b64 v60, v[58:59], s[44:45] scale_offset
	s_wait_xcnt 0x0
	s_or_b32 exec_lo, exec_lo, s15
	s_and_saveexec_b32 s15, s24
	s_cbranch_execz .LBB1142_826
.LBB1142_890:                           ;   in Loop: Header=BB1142_687 Depth=2
	v_lshlrev_b32_e32 v58, 2, v154
	ds_load_b32 v60, v58
	ds_load_b64 v[58:59], v123 offset:21504
	s_wait_dscnt 0x1
	v_add_nc_u32_e32 v60, v60, v107
	s_wait_dscnt 0x0
	global_store_b64 v60, v[58:59], s[44:45] scale_offset
	s_wait_xcnt 0x0
	s_or_b32 exec_lo, exec_lo, s15
	s_and_saveexec_b32 s15, s25
	s_cbranch_execz .LBB1142_827
.LBB1142_891:                           ;   in Loop: Header=BB1142_687 Depth=2
	v_lshlrev_b32_e32 v58, 2, v153
	ds_load_b32 v60, v58
	ds_load_b64 v[58:59], v123 offset:23552
	s_wait_dscnt 0x1
	v_add_nc_u32_e32 v60, v60, v108
	s_wait_dscnt 0x0
	global_store_b64 v60, v[58:59], s[44:45] scale_offset
	s_wait_xcnt 0x0
	s_or_b32 exec_lo, exec_lo, s15
	s_and_saveexec_b32 s15, s26
	s_cbranch_execz .LBB1142_828
.LBB1142_892:                           ;   in Loop: Header=BB1142_687 Depth=2
	v_lshlrev_b32_e32 v58, 2, v152
	ds_load_b32 v60, v58
	ds_load_b64 v[58:59], v123 offset:25600
	s_wait_dscnt 0x1
	v_add_nc_u32_e32 v60, v60, v109
	s_wait_dscnt 0x0
	global_store_b64 v60, v[58:59], s[44:45] scale_offset
	s_wait_xcnt 0x0
	s_or_b32 exec_lo, exec_lo, s15
	s_and_saveexec_b32 s15, s27
	s_cbranch_execz .LBB1142_829
.LBB1142_893:                           ;   in Loop: Header=BB1142_687 Depth=2
	v_lshlrev_b32_e32 v58, 2, v151
	ds_load_b32 v60, v58
	ds_load_b64 v[58:59], v123 offset:27648
	s_wait_dscnt 0x1
	v_add_nc_u32_e32 v60, v60, v110
	s_wait_dscnt 0x0
	global_store_b64 v60, v[58:59], s[44:45] scale_offset
	s_wait_xcnt 0x0
	s_or_b32 exec_lo, exec_lo, s15
	s_and_saveexec_b32 s15, s28
	s_cbranch_execz .LBB1142_830
.LBB1142_894:                           ;   in Loop: Header=BB1142_687 Depth=2
	v_lshlrev_b32_e32 v58, 2, v150
	ds_load_b32 v60, v58
	ds_load_b64 v[58:59], v123 offset:29696
	s_wait_dscnt 0x1
	v_add_nc_u32_e32 v60, v60, v111
	s_wait_dscnt 0x0
	global_store_b64 v60, v[58:59], s[44:45] scale_offset
	s_wait_xcnt 0x0
	s_or_b32 exec_lo, exec_lo, s15
	s_and_saveexec_b32 s15, s29
	s_cbranch_execnz .LBB1142_831
	s_branch .LBB1142_832
.LBB1142_895:                           ;   in Loop: Header=BB1142_17 Depth=1
	s_wait_dscnt 0x0
	s_barrier_signal -1
	s_mov_b32 s7, 0
	s_barrier_wait -1
.LBB1142_896:                           ;   in Loop: Header=BB1142_17 Depth=1
	s_and_b32 vcc_lo, exec_lo, s7
	s_cbranch_vccz .LBB1142_16
; %bb.897:                              ;   in Loop: Header=BB1142_17 Depth=1
	s_mov_b32 s7, s58
	s_mov_b32 s34, s56
	s_barrier_signal -1
	s_barrier_wait -1
                                        ; implicit-def: $vgpr22_vgpr23
                                        ; implicit-def: $vgpr24_vgpr25
                                        ; implicit-def: $vgpr26_vgpr27
                                        ; implicit-def: $vgpr28_vgpr29
                                        ; implicit-def: $vgpr30_vgpr31
                                        ; implicit-def: $vgpr32_vgpr33
                                        ; implicit-def: $vgpr34_vgpr35
                                        ; implicit-def: $vgpr36_vgpr37
                                        ; implicit-def: $vgpr38_vgpr39
                                        ; implicit-def: $vgpr40_vgpr41
                                        ; implicit-def: $vgpr42_vgpr43
                                        ; implicit-def: $vgpr44_vgpr45
                                        ; implicit-def: $vgpr46_vgpr47
                                        ; implicit-def: $vgpr48_vgpr49
                                        ; implicit-def: $vgpr50_vgpr51
                                        ; implicit-def: $vgpr52_vgpr53
	s_branch .LBB1142_899
.LBB1142_898:                           ;   in Loop: Header=BB1142_899 Depth=2
	s_or_b32 exec_lo, exec_lo, s8
	s_addk_co_i32 s7, 0xf000
	s_cmp_ge_u32 s10, s51
	s_mov_b32 s34, s10
	s_cbranch_scc1 .LBB1142_967
.LBB1142_899:                           ;   Parent Loop BB1142_17 Depth=1
                                        ; =>  This Inner Loop Header: Depth=2
	s_add_co_i32 s10, s34, 0x1000
	s_mov_b32 s8, -1
	s_cmp_gt_u32 s10, s51
                                        ; implicit-def: $vgpr54_vgpr55
                                        ; implicit-def: $vgpr56_vgpr57
                                        ; implicit-def: $vgpr58_vgpr59
                                        ; implicit-def: $vgpr60_vgpr61
                                        ; implicit-def: $vgpr62_vgpr63
                                        ; implicit-def: $vgpr64_vgpr65
                                        ; implicit-def: $vgpr66_vgpr67
                                        ; implicit-def: $vgpr68_vgpr69
                                        ; implicit-def: $vgpr70_vgpr71
                                        ; implicit-def: $vgpr72_vgpr73
                                        ; implicit-def: $vgpr74_vgpr75
                                        ; implicit-def: $vgpr76_vgpr77
                                        ; implicit-def: $vgpr78_vgpr79
                                        ; implicit-def: $vgpr80_vgpr81
                                        ; implicit-def: $vgpr82_vgpr83
                                        ; implicit-def: $vgpr84_vgpr85
	s_cbranch_scc1 .LBB1142_901
; %bb.900:                              ;   in Loop: Header=BB1142_899 Depth=2
	v_lshl_add_u64 v[84:85], s[34:35], 3, v[16:17]
	s_mov_b32 s8, 0
	s_clause 0xf
	global_load_b64 v[54:55], v[84:85], off
	global_load_b64 v[56:57], v[84:85], off offset:2048
	global_load_b64 v[58:59], v[84:85], off offset:4096
	;; [unrolled: 1-line block ×15, first 2 shown]
.LBB1142_901:                           ;   in Loop: Header=BB1142_899 Depth=2
	s_and_not1_b32 vcc_lo, exec_lo, s8
	s_movk_i32 s8, 0x1000
	s_cbranch_vccnz .LBB1142_920
; %bb.902:                              ;   in Loop: Header=BB1142_899 Depth=2
	s_lshl_b64 s[8:9], s[34:35], 3
	s_mov_b32 s11, exec_lo
	s_add_nc_u64 s[8:9], s[36:37], s[8:9]
	s_wait_xcnt 0x0
	v_cmpx_gt_u32_e64 s7, v2
	s_cbranch_execnz .LBB1142_952
; %bb.903:                              ;   in Loop: Header=BB1142_899 Depth=2
	s_or_b32 exec_lo, exec_lo, s11
	s_delay_alu instid0(SALU_CYCLE_1)
	s_mov_b32 s11, exec_lo
	v_cmpx_gt_u32_e64 s7, v98
	s_cbranch_execnz .LBB1142_953
.LBB1142_904:                           ;   in Loop: Header=BB1142_899 Depth=2
	s_or_b32 exec_lo, exec_lo, s11
	s_delay_alu instid0(SALU_CYCLE_1)
	s_mov_b32 s11, exec_lo
	v_cmpx_gt_u32_e64 s7, v99
	s_cbranch_execnz .LBB1142_954
.LBB1142_905:                           ;   in Loop: Header=BB1142_899 Depth=2
	s_or_b32 exec_lo, exec_lo, s11
	s_delay_alu instid0(SALU_CYCLE_1)
	s_mov_b32 s11, exec_lo
	v_cmpx_gt_u32_e64 s7, v100
	s_cbranch_execnz .LBB1142_955
.LBB1142_906:                           ;   in Loop: Header=BB1142_899 Depth=2
	s_or_b32 exec_lo, exec_lo, s11
	s_delay_alu instid0(SALU_CYCLE_1)
	s_mov_b32 s11, exec_lo
	v_cmpx_gt_u32_e64 s7, v101
	s_cbranch_execnz .LBB1142_956
.LBB1142_907:                           ;   in Loop: Header=BB1142_899 Depth=2
	s_or_b32 exec_lo, exec_lo, s11
	s_delay_alu instid0(SALU_CYCLE_1)
	s_mov_b32 s11, exec_lo
	v_cmpx_gt_u32_e64 s7, v102
	s_cbranch_execnz .LBB1142_957
.LBB1142_908:                           ;   in Loop: Header=BB1142_899 Depth=2
	s_or_b32 exec_lo, exec_lo, s11
	s_delay_alu instid0(SALU_CYCLE_1)
	s_mov_b32 s11, exec_lo
	v_cmpx_gt_u32_e64 s7, v103
	s_cbranch_execnz .LBB1142_958
.LBB1142_909:                           ;   in Loop: Header=BB1142_899 Depth=2
	s_or_b32 exec_lo, exec_lo, s11
	s_delay_alu instid0(SALU_CYCLE_1)
	s_mov_b32 s11, exec_lo
	v_cmpx_gt_u32_e64 s7, v104
	s_cbranch_execnz .LBB1142_959
.LBB1142_910:                           ;   in Loop: Header=BB1142_899 Depth=2
	s_or_b32 exec_lo, exec_lo, s11
	s_delay_alu instid0(SALU_CYCLE_1)
	s_mov_b32 s11, exec_lo
	v_cmpx_gt_u32_e64 s7, v105
	s_cbranch_execnz .LBB1142_960
.LBB1142_911:                           ;   in Loop: Header=BB1142_899 Depth=2
	s_or_b32 exec_lo, exec_lo, s11
	s_delay_alu instid0(SALU_CYCLE_1)
	s_mov_b32 s11, exec_lo
	v_cmpx_gt_u32_e64 s7, v106
	s_cbranch_execnz .LBB1142_961
.LBB1142_912:                           ;   in Loop: Header=BB1142_899 Depth=2
	s_or_b32 exec_lo, exec_lo, s11
	s_delay_alu instid0(SALU_CYCLE_1)
	s_mov_b32 s11, exec_lo
	v_cmpx_gt_u32_e64 s7, v107
	s_cbranch_execnz .LBB1142_962
.LBB1142_913:                           ;   in Loop: Header=BB1142_899 Depth=2
	s_or_b32 exec_lo, exec_lo, s11
	s_delay_alu instid0(SALU_CYCLE_1)
	s_mov_b32 s11, exec_lo
	v_cmpx_gt_u32_e64 s7, v108
	s_cbranch_execnz .LBB1142_963
.LBB1142_914:                           ;   in Loop: Header=BB1142_899 Depth=2
	s_or_b32 exec_lo, exec_lo, s11
	s_delay_alu instid0(SALU_CYCLE_1)
	s_mov_b32 s11, exec_lo
	v_cmpx_gt_u32_e64 s7, v109
	s_cbranch_execnz .LBB1142_964
.LBB1142_915:                           ;   in Loop: Header=BB1142_899 Depth=2
	s_or_b32 exec_lo, exec_lo, s11
	s_delay_alu instid0(SALU_CYCLE_1)
	s_mov_b32 s11, exec_lo
	v_cmpx_gt_u32_e64 s7, v110
	s_cbranch_execnz .LBB1142_965
.LBB1142_916:                           ;   in Loop: Header=BB1142_899 Depth=2
	s_or_b32 exec_lo, exec_lo, s11
	s_delay_alu instid0(SALU_CYCLE_1)
	s_mov_b32 s11, exec_lo
	v_cmpx_gt_u32_e64 s7, v111
	s_cbranch_execnz .LBB1142_966
.LBB1142_917:                           ;   in Loop: Header=BB1142_899 Depth=2
	s_or_b32 exec_lo, exec_lo, s11
	s_delay_alu instid0(SALU_CYCLE_1)
	s_mov_b32 s11, exec_lo
	v_cmpx_gt_u32_e64 s7, v112
	s_cbranch_execz .LBB1142_919
.LBB1142_918:                           ;   in Loop: Header=BB1142_899 Depth=2
	global_load_b64 v[22:23], v2, s[8:9] offset:30720 scale_offset
.LBB1142_919:                           ;   in Loop: Header=BB1142_899 Depth=2
	s_wait_xcnt 0x0
	s_or_b32 exec_lo, exec_lo, s11
	s_wait_loadcnt 0x0
	v_mov_b64_e32 v[54:55], v[52:53]
	v_mov_b64_e32 v[56:57], v[50:51]
	;; [unrolled: 1-line block ×16, first 2 shown]
	s_mov_b32 s8, s7
.LBB1142_920:                           ;   in Loop: Header=BB1142_899 Depth=2
	s_wait_loadcnt 0x0
	s_delay_alu instid0(VALU_DEP_1) | instskip(NEXT) | instid1(VALU_DEP_3)
	v_mov_b64_e32 v[22:23], v[84:85]
	v_mov_b64_e32 v[24:25], v[82:83]
	;; [unrolled: 1-line block ×16, first 2 shown]
	s_mov_b32 s9, exec_lo
	s_wait_xcnt 0x0
	v_cmpx_gt_u32_e64 s8, v2
	s_cbranch_execnz .LBB1142_936
; %bb.921:                              ;   in Loop: Header=BB1142_899 Depth=2
	s_or_b32 exec_lo, exec_lo, s9
	s_delay_alu instid0(SALU_CYCLE_1)
	s_mov_b32 s9, exec_lo
	v_cmpx_gt_u32_e64 s8, v98
	s_cbranch_execnz .LBB1142_937
.LBB1142_922:                           ;   in Loop: Header=BB1142_899 Depth=2
	s_or_b32 exec_lo, exec_lo, s9
	s_delay_alu instid0(SALU_CYCLE_1)
	s_mov_b32 s9, exec_lo
	v_cmpx_gt_u32_e64 s8, v99
	s_cbranch_execnz .LBB1142_938
.LBB1142_923:                           ;   in Loop: Header=BB1142_899 Depth=2
	s_or_b32 exec_lo, exec_lo, s9
	s_delay_alu instid0(SALU_CYCLE_1)
	s_mov_b32 s9, exec_lo
	v_cmpx_gt_u32_e64 s8, v100
	s_cbranch_execnz .LBB1142_939
.LBB1142_924:                           ;   in Loop: Header=BB1142_899 Depth=2
	s_or_b32 exec_lo, exec_lo, s9
	s_delay_alu instid0(SALU_CYCLE_1)
	s_mov_b32 s9, exec_lo
	v_cmpx_gt_u32_e64 s8, v101
	s_cbranch_execnz .LBB1142_940
.LBB1142_925:                           ;   in Loop: Header=BB1142_899 Depth=2
	s_or_b32 exec_lo, exec_lo, s9
	s_delay_alu instid0(SALU_CYCLE_1)
	s_mov_b32 s9, exec_lo
	v_cmpx_gt_u32_e64 s8, v102
	s_cbranch_execnz .LBB1142_941
.LBB1142_926:                           ;   in Loop: Header=BB1142_899 Depth=2
	s_or_b32 exec_lo, exec_lo, s9
	s_delay_alu instid0(SALU_CYCLE_1)
	s_mov_b32 s9, exec_lo
	v_cmpx_gt_u32_e64 s8, v103
	s_cbranch_execnz .LBB1142_942
.LBB1142_927:                           ;   in Loop: Header=BB1142_899 Depth=2
	s_or_b32 exec_lo, exec_lo, s9
	s_delay_alu instid0(SALU_CYCLE_1)
	s_mov_b32 s9, exec_lo
	v_cmpx_gt_u32_e64 s8, v104
	s_cbranch_execnz .LBB1142_943
.LBB1142_928:                           ;   in Loop: Header=BB1142_899 Depth=2
	s_or_b32 exec_lo, exec_lo, s9
	s_delay_alu instid0(SALU_CYCLE_1)
	s_mov_b32 s9, exec_lo
	v_cmpx_gt_u32_e64 s8, v105
	s_cbranch_execnz .LBB1142_944
.LBB1142_929:                           ;   in Loop: Header=BB1142_899 Depth=2
	s_or_b32 exec_lo, exec_lo, s9
	s_delay_alu instid0(SALU_CYCLE_1)
	s_mov_b32 s9, exec_lo
	v_cmpx_gt_u32_e64 s8, v106
	s_cbranch_execnz .LBB1142_945
.LBB1142_930:                           ;   in Loop: Header=BB1142_899 Depth=2
	s_or_b32 exec_lo, exec_lo, s9
	s_delay_alu instid0(SALU_CYCLE_1)
	s_mov_b32 s9, exec_lo
	v_cmpx_gt_u32_e64 s8, v107
	s_cbranch_execnz .LBB1142_946
.LBB1142_931:                           ;   in Loop: Header=BB1142_899 Depth=2
	s_or_b32 exec_lo, exec_lo, s9
	s_delay_alu instid0(SALU_CYCLE_1)
	s_mov_b32 s9, exec_lo
	v_cmpx_gt_u32_e64 s8, v108
	s_cbranch_execnz .LBB1142_947
.LBB1142_932:                           ;   in Loop: Header=BB1142_899 Depth=2
	s_or_b32 exec_lo, exec_lo, s9
	s_delay_alu instid0(SALU_CYCLE_1)
	s_mov_b32 s9, exec_lo
	v_cmpx_gt_u32_e64 s8, v109
	s_cbranch_execnz .LBB1142_948
.LBB1142_933:                           ;   in Loop: Header=BB1142_899 Depth=2
	s_or_b32 exec_lo, exec_lo, s9
	s_delay_alu instid0(SALU_CYCLE_1)
	s_mov_b32 s9, exec_lo
	v_cmpx_gt_u32_e64 s8, v110
	s_cbranch_execnz .LBB1142_949
.LBB1142_934:                           ;   in Loop: Header=BB1142_899 Depth=2
	s_or_b32 exec_lo, exec_lo, s9
	s_delay_alu instid0(SALU_CYCLE_1)
	s_mov_b32 s9, exec_lo
	v_cmpx_gt_u32_e64 s8, v111
	s_cbranch_execnz .LBB1142_950
.LBB1142_935:                           ;   in Loop: Header=BB1142_899 Depth=2
	s_or_b32 exec_lo, exec_lo, s9
	v_cmp_gt_u32_e32 vcc_lo, s8, v112
	s_and_saveexec_b32 s8, vcc_lo
	s_cbranch_execz .LBB1142_898
	s_branch .LBB1142_951
.LBB1142_936:                           ;   in Loop: Header=BB1142_899 Depth=2
	s_delay_alu instid0(VALU_DEP_2) | instskip(SKIP_1) | instid1(VALU_DEP_1)
	v_cmp_gt_i64_e32 vcc_lo, 0, v[52:53]
	v_cndmask_b32_e64 v55, 0x7fffffff, 0, vcc_lo
	v_dual_ashrrev_i32 v54, 31, v53 :: v_dual_bitop2_b32 v55, v55, v53 bitop3:0x14
	s_delay_alu instid0(VALU_DEP_1) | instskip(NEXT) | instid1(VALU_DEP_1)
	v_not_b32_e32 v54, v54
	v_xor_b32_e32 v54, v54, v52
	s_delay_alu instid0(VALU_DEP_1) | instskip(SKIP_2) | instid1(VALU_DEP_1)
	v_cmp_ne_u64_e32 vcc_lo, s[42:43], v[54:55]
	v_cndmask_b32_e32 v55, 0x7fffffff, v55, vcc_lo
	v_cndmask_b32_e32 v54, -1, v54, vcc_lo
	v_lshrrev_b64 v[54:55], s48, v[54:55]
	s_delay_alu instid0(VALU_DEP_1) | instskip(NEXT) | instid1(VALU_DEP_1)
	v_and_b32_e32 v54, s55, v54
	v_lshl_or_b32 v54, v54, 4, v113
	ds_add_u32 v54, v125
	s_or_b32 exec_lo, exec_lo, s9
	s_delay_alu instid0(SALU_CYCLE_1)
	s_mov_b32 s9, exec_lo
	v_cmpx_gt_u32_e64 s8, v98
	s_cbranch_execz .LBB1142_922
.LBB1142_937:                           ;   in Loop: Header=BB1142_899 Depth=2
	v_cmp_gt_i64_e32 vcc_lo, 0, v[50:51]
	v_cndmask_b32_e64 v55, 0x7fffffff, 0, vcc_lo
	s_delay_alu instid0(VALU_DEP_1) | instskip(NEXT) | instid1(VALU_DEP_1)
	v_dual_ashrrev_i32 v54, 31, v51 :: v_dual_bitop2_b32 v55, v55, v51 bitop3:0x14
	v_not_b32_e32 v54, v54
	s_delay_alu instid0(VALU_DEP_1) | instskip(NEXT) | instid1(VALU_DEP_1)
	v_xor_b32_e32 v54, v54, v50
	v_cmp_ne_u64_e32 vcc_lo, s[42:43], v[54:55]
	v_cndmask_b32_e32 v55, 0x7fffffff, v55, vcc_lo
	v_cndmask_b32_e32 v54, -1, v54, vcc_lo
	s_delay_alu instid0(VALU_DEP_1) | instskip(NEXT) | instid1(VALU_DEP_1)
	v_lshrrev_b64 v[54:55], s48, v[54:55]
	v_and_b32_e32 v54, s55, v54
	s_delay_alu instid0(VALU_DEP_1) | instskip(SKIP_2) | instid1(SALU_CYCLE_1)
	v_lshl_or_b32 v54, v54, 4, v113
	ds_add_u32 v54, v125
	s_or_b32 exec_lo, exec_lo, s9
	s_mov_b32 s9, exec_lo
	v_cmpx_gt_u32_e64 s8, v99
	s_cbranch_execz .LBB1142_923
.LBB1142_938:                           ;   in Loop: Header=BB1142_899 Depth=2
	v_cmp_gt_i64_e32 vcc_lo, 0, v[48:49]
	v_cndmask_b32_e64 v55, 0x7fffffff, 0, vcc_lo
	s_delay_alu instid0(VALU_DEP_1) | instskip(NEXT) | instid1(VALU_DEP_1)
	v_dual_ashrrev_i32 v54, 31, v49 :: v_dual_bitop2_b32 v55, v55, v49 bitop3:0x14
	v_not_b32_e32 v54, v54
	s_delay_alu instid0(VALU_DEP_1) | instskip(NEXT) | instid1(VALU_DEP_1)
	v_xor_b32_e32 v54, v54, v48
	v_cmp_ne_u64_e32 vcc_lo, s[42:43], v[54:55]
	v_cndmask_b32_e32 v55, 0x7fffffff, v55, vcc_lo
	v_cndmask_b32_e32 v54, -1, v54, vcc_lo
	s_delay_alu instid0(VALU_DEP_1) | instskip(NEXT) | instid1(VALU_DEP_1)
	v_lshrrev_b64 v[54:55], s48, v[54:55]
	v_and_b32_e32 v54, s55, v54
	s_delay_alu instid0(VALU_DEP_1) | instskip(SKIP_2) | instid1(SALU_CYCLE_1)
	v_lshl_or_b32 v54, v54, 4, v113
	ds_add_u32 v54, v125
	s_or_b32 exec_lo, exec_lo, s9
	s_mov_b32 s9, exec_lo
	v_cmpx_gt_u32_e64 s8, v100
	s_cbranch_execz .LBB1142_924
.LBB1142_939:                           ;   in Loop: Header=BB1142_899 Depth=2
	v_cmp_gt_i64_e32 vcc_lo, 0, v[46:47]
	v_cndmask_b32_e64 v55, 0x7fffffff, 0, vcc_lo
	s_delay_alu instid0(VALU_DEP_1) | instskip(NEXT) | instid1(VALU_DEP_1)
	v_dual_ashrrev_i32 v54, 31, v47 :: v_dual_bitop2_b32 v55, v55, v47 bitop3:0x14
	v_not_b32_e32 v54, v54
	s_delay_alu instid0(VALU_DEP_1) | instskip(NEXT) | instid1(VALU_DEP_1)
	v_xor_b32_e32 v54, v54, v46
	v_cmp_ne_u64_e32 vcc_lo, s[42:43], v[54:55]
	v_cndmask_b32_e32 v55, 0x7fffffff, v55, vcc_lo
	v_cndmask_b32_e32 v54, -1, v54, vcc_lo
	s_delay_alu instid0(VALU_DEP_1) | instskip(NEXT) | instid1(VALU_DEP_1)
	v_lshrrev_b64 v[54:55], s48, v[54:55]
	v_and_b32_e32 v54, s55, v54
	s_delay_alu instid0(VALU_DEP_1) | instskip(SKIP_2) | instid1(SALU_CYCLE_1)
	v_lshl_or_b32 v54, v54, 4, v113
	ds_add_u32 v54, v125
	s_or_b32 exec_lo, exec_lo, s9
	s_mov_b32 s9, exec_lo
	v_cmpx_gt_u32_e64 s8, v101
	s_cbranch_execz .LBB1142_925
.LBB1142_940:                           ;   in Loop: Header=BB1142_899 Depth=2
	v_cmp_gt_i64_e32 vcc_lo, 0, v[44:45]
	v_cndmask_b32_e64 v55, 0x7fffffff, 0, vcc_lo
	s_delay_alu instid0(VALU_DEP_1) | instskip(NEXT) | instid1(VALU_DEP_1)
	v_dual_ashrrev_i32 v54, 31, v45 :: v_dual_bitop2_b32 v55, v55, v45 bitop3:0x14
	v_not_b32_e32 v54, v54
	s_delay_alu instid0(VALU_DEP_1) | instskip(NEXT) | instid1(VALU_DEP_1)
	v_xor_b32_e32 v54, v54, v44
	v_cmp_ne_u64_e32 vcc_lo, s[42:43], v[54:55]
	v_cndmask_b32_e32 v55, 0x7fffffff, v55, vcc_lo
	v_cndmask_b32_e32 v54, -1, v54, vcc_lo
	s_delay_alu instid0(VALU_DEP_1) | instskip(NEXT) | instid1(VALU_DEP_1)
	v_lshrrev_b64 v[54:55], s48, v[54:55]
	v_and_b32_e32 v54, s55, v54
	s_delay_alu instid0(VALU_DEP_1) | instskip(SKIP_2) | instid1(SALU_CYCLE_1)
	v_lshl_or_b32 v54, v54, 4, v113
	ds_add_u32 v54, v125
	s_or_b32 exec_lo, exec_lo, s9
	s_mov_b32 s9, exec_lo
	v_cmpx_gt_u32_e64 s8, v102
	s_cbranch_execz .LBB1142_926
.LBB1142_941:                           ;   in Loop: Header=BB1142_899 Depth=2
	v_cmp_gt_i64_e32 vcc_lo, 0, v[42:43]
	v_cndmask_b32_e64 v55, 0x7fffffff, 0, vcc_lo
	s_delay_alu instid0(VALU_DEP_1) | instskip(NEXT) | instid1(VALU_DEP_1)
	v_dual_ashrrev_i32 v54, 31, v43 :: v_dual_bitop2_b32 v55, v55, v43 bitop3:0x14
	v_not_b32_e32 v54, v54
	s_delay_alu instid0(VALU_DEP_1) | instskip(NEXT) | instid1(VALU_DEP_1)
	v_xor_b32_e32 v54, v54, v42
	v_cmp_ne_u64_e32 vcc_lo, s[42:43], v[54:55]
	v_cndmask_b32_e32 v55, 0x7fffffff, v55, vcc_lo
	v_cndmask_b32_e32 v54, -1, v54, vcc_lo
	s_delay_alu instid0(VALU_DEP_1) | instskip(NEXT) | instid1(VALU_DEP_1)
	v_lshrrev_b64 v[54:55], s48, v[54:55]
	v_and_b32_e32 v54, s55, v54
	s_delay_alu instid0(VALU_DEP_1) | instskip(SKIP_2) | instid1(SALU_CYCLE_1)
	v_lshl_or_b32 v54, v54, 4, v113
	ds_add_u32 v54, v125
	s_or_b32 exec_lo, exec_lo, s9
	s_mov_b32 s9, exec_lo
	v_cmpx_gt_u32_e64 s8, v103
	s_cbranch_execz .LBB1142_927
.LBB1142_942:                           ;   in Loop: Header=BB1142_899 Depth=2
	v_cmp_gt_i64_e32 vcc_lo, 0, v[40:41]
	v_cndmask_b32_e64 v55, 0x7fffffff, 0, vcc_lo
	s_delay_alu instid0(VALU_DEP_1) | instskip(NEXT) | instid1(VALU_DEP_1)
	v_dual_ashrrev_i32 v54, 31, v41 :: v_dual_bitop2_b32 v55, v55, v41 bitop3:0x14
	v_not_b32_e32 v54, v54
	s_delay_alu instid0(VALU_DEP_1) | instskip(NEXT) | instid1(VALU_DEP_1)
	v_xor_b32_e32 v54, v54, v40
	v_cmp_ne_u64_e32 vcc_lo, s[42:43], v[54:55]
	v_cndmask_b32_e32 v55, 0x7fffffff, v55, vcc_lo
	v_cndmask_b32_e32 v54, -1, v54, vcc_lo
	s_delay_alu instid0(VALU_DEP_1) | instskip(NEXT) | instid1(VALU_DEP_1)
	v_lshrrev_b64 v[54:55], s48, v[54:55]
	v_and_b32_e32 v54, s55, v54
	s_delay_alu instid0(VALU_DEP_1) | instskip(SKIP_2) | instid1(SALU_CYCLE_1)
	v_lshl_or_b32 v54, v54, 4, v113
	ds_add_u32 v54, v125
	s_or_b32 exec_lo, exec_lo, s9
	s_mov_b32 s9, exec_lo
	v_cmpx_gt_u32_e64 s8, v104
	s_cbranch_execz .LBB1142_928
.LBB1142_943:                           ;   in Loop: Header=BB1142_899 Depth=2
	v_cmp_gt_i64_e32 vcc_lo, 0, v[38:39]
	v_cndmask_b32_e64 v55, 0x7fffffff, 0, vcc_lo
	s_delay_alu instid0(VALU_DEP_1) | instskip(NEXT) | instid1(VALU_DEP_1)
	v_dual_ashrrev_i32 v54, 31, v39 :: v_dual_bitop2_b32 v55, v55, v39 bitop3:0x14
	v_not_b32_e32 v54, v54
	s_delay_alu instid0(VALU_DEP_1) | instskip(NEXT) | instid1(VALU_DEP_1)
	v_xor_b32_e32 v54, v54, v38
	v_cmp_ne_u64_e32 vcc_lo, s[42:43], v[54:55]
	v_cndmask_b32_e32 v55, 0x7fffffff, v55, vcc_lo
	v_cndmask_b32_e32 v54, -1, v54, vcc_lo
	s_delay_alu instid0(VALU_DEP_1) | instskip(NEXT) | instid1(VALU_DEP_1)
	v_lshrrev_b64 v[54:55], s48, v[54:55]
	v_and_b32_e32 v54, s55, v54
	s_delay_alu instid0(VALU_DEP_1) | instskip(SKIP_2) | instid1(SALU_CYCLE_1)
	v_lshl_or_b32 v54, v54, 4, v113
	ds_add_u32 v54, v125
	s_or_b32 exec_lo, exec_lo, s9
	s_mov_b32 s9, exec_lo
	v_cmpx_gt_u32_e64 s8, v105
	s_cbranch_execz .LBB1142_929
.LBB1142_944:                           ;   in Loop: Header=BB1142_899 Depth=2
	v_cmp_gt_i64_e32 vcc_lo, 0, v[36:37]
	v_cndmask_b32_e64 v55, 0x7fffffff, 0, vcc_lo
	s_delay_alu instid0(VALU_DEP_1) | instskip(NEXT) | instid1(VALU_DEP_1)
	v_dual_ashrrev_i32 v54, 31, v37 :: v_dual_bitop2_b32 v55, v55, v37 bitop3:0x14
	v_not_b32_e32 v54, v54
	s_delay_alu instid0(VALU_DEP_1) | instskip(NEXT) | instid1(VALU_DEP_1)
	v_xor_b32_e32 v54, v54, v36
	v_cmp_ne_u64_e32 vcc_lo, s[42:43], v[54:55]
	v_cndmask_b32_e32 v55, 0x7fffffff, v55, vcc_lo
	v_cndmask_b32_e32 v54, -1, v54, vcc_lo
	s_delay_alu instid0(VALU_DEP_1) | instskip(NEXT) | instid1(VALU_DEP_1)
	v_lshrrev_b64 v[54:55], s48, v[54:55]
	v_and_b32_e32 v54, s55, v54
	s_delay_alu instid0(VALU_DEP_1) | instskip(SKIP_2) | instid1(SALU_CYCLE_1)
	v_lshl_or_b32 v54, v54, 4, v113
	ds_add_u32 v54, v125
	s_or_b32 exec_lo, exec_lo, s9
	s_mov_b32 s9, exec_lo
	v_cmpx_gt_u32_e64 s8, v106
	s_cbranch_execz .LBB1142_930
.LBB1142_945:                           ;   in Loop: Header=BB1142_899 Depth=2
	v_cmp_gt_i64_e32 vcc_lo, 0, v[34:35]
	v_cndmask_b32_e64 v55, 0x7fffffff, 0, vcc_lo
	s_delay_alu instid0(VALU_DEP_1) | instskip(NEXT) | instid1(VALU_DEP_1)
	v_dual_ashrrev_i32 v54, 31, v35 :: v_dual_bitop2_b32 v55, v55, v35 bitop3:0x14
	v_not_b32_e32 v54, v54
	s_delay_alu instid0(VALU_DEP_1) | instskip(NEXT) | instid1(VALU_DEP_1)
	v_xor_b32_e32 v54, v54, v34
	v_cmp_ne_u64_e32 vcc_lo, s[42:43], v[54:55]
	v_cndmask_b32_e32 v55, 0x7fffffff, v55, vcc_lo
	v_cndmask_b32_e32 v54, -1, v54, vcc_lo
	s_delay_alu instid0(VALU_DEP_1) | instskip(NEXT) | instid1(VALU_DEP_1)
	v_lshrrev_b64 v[54:55], s48, v[54:55]
	v_and_b32_e32 v54, s55, v54
	s_delay_alu instid0(VALU_DEP_1) | instskip(SKIP_2) | instid1(SALU_CYCLE_1)
	v_lshl_or_b32 v54, v54, 4, v113
	ds_add_u32 v54, v125
	s_or_b32 exec_lo, exec_lo, s9
	s_mov_b32 s9, exec_lo
	v_cmpx_gt_u32_e64 s8, v107
	s_cbranch_execz .LBB1142_931
.LBB1142_946:                           ;   in Loop: Header=BB1142_899 Depth=2
	v_cmp_gt_i64_e32 vcc_lo, 0, v[32:33]
	v_cndmask_b32_e64 v55, 0x7fffffff, 0, vcc_lo
	s_delay_alu instid0(VALU_DEP_1) | instskip(NEXT) | instid1(VALU_DEP_1)
	v_dual_ashrrev_i32 v54, 31, v33 :: v_dual_bitop2_b32 v55, v55, v33 bitop3:0x14
	v_not_b32_e32 v54, v54
	s_delay_alu instid0(VALU_DEP_1) | instskip(NEXT) | instid1(VALU_DEP_1)
	v_xor_b32_e32 v54, v54, v32
	v_cmp_ne_u64_e32 vcc_lo, s[42:43], v[54:55]
	v_cndmask_b32_e32 v55, 0x7fffffff, v55, vcc_lo
	v_cndmask_b32_e32 v54, -1, v54, vcc_lo
	s_delay_alu instid0(VALU_DEP_1) | instskip(NEXT) | instid1(VALU_DEP_1)
	v_lshrrev_b64 v[54:55], s48, v[54:55]
	v_and_b32_e32 v54, s55, v54
	s_delay_alu instid0(VALU_DEP_1) | instskip(SKIP_2) | instid1(SALU_CYCLE_1)
	v_lshl_or_b32 v54, v54, 4, v113
	ds_add_u32 v54, v125
	s_or_b32 exec_lo, exec_lo, s9
	s_mov_b32 s9, exec_lo
	v_cmpx_gt_u32_e64 s8, v108
	s_cbranch_execz .LBB1142_932
.LBB1142_947:                           ;   in Loop: Header=BB1142_899 Depth=2
	v_cmp_gt_i64_e32 vcc_lo, 0, v[30:31]
	v_cndmask_b32_e64 v55, 0x7fffffff, 0, vcc_lo
	s_delay_alu instid0(VALU_DEP_1) | instskip(NEXT) | instid1(VALU_DEP_1)
	v_dual_ashrrev_i32 v54, 31, v31 :: v_dual_bitop2_b32 v55, v55, v31 bitop3:0x14
	v_not_b32_e32 v54, v54
	s_delay_alu instid0(VALU_DEP_1) | instskip(NEXT) | instid1(VALU_DEP_1)
	v_xor_b32_e32 v54, v54, v30
	v_cmp_ne_u64_e32 vcc_lo, s[42:43], v[54:55]
	v_cndmask_b32_e32 v55, 0x7fffffff, v55, vcc_lo
	v_cndmask_b32_e32 v54, -1, v54, vcc_lo
	s_delay_alu instid0(VALU_DEP_1) | instskip(NEXT) | instid1(VALU_DEP_1)
	v_lshrrev_b64 v[54:55], s48, v[54:55]
	v_and_b32_e32 v54, s55, v54
	s_delay_alu instid0(VALU_DEP_1) | instskip(SKIP_2) | instid1(SALU_CYCLE_1)
	v_lshl_or_b32 v54, v54, 4, v113
	ds_add_u32 v54, v125
	s_or_b32 exec_lo, exec_lo, s9
	s_mov_b32 s9, exec_lo
	v_cmpx_gt_u32_e64 s8, v109
	s_cbranch_execz .LBB1142_933
.LBB1142_948:                           ;   in Loop: Header=BB1142_899 Depth=2
	v_cmp_gt_i64_e32 vcc_lo, 0, v[28:29]
	v_cndmask_b32_e64 v55, 0x7fffffff, 0, vcc_lo
	s_delay_alu instid0(VALU_DEP_1) | instskip(NEXT) | instid1(VALU_DEP_1)
	v_dual_ashrrev_i32 v54, 31, v29 :: v_dual_bitop2_b32 v55, v55, v29 bitop3:0x14
	v_not_b32_e32 v54, v54
	s_delay_alu instid0(VALU_DEP_1) | instskip(NEXT) | instid1(VALU_DEP_1)
	v_xor_b32_e32 v54, v54, v28
	v_cmp_ne_u64_e32 vcc_lo, s[42:43], v[54:55]
	v_cndmask_b32_e32 v55, 0x7fffffff, v55, vcc_lo
	v_cndmask_b32_e32 v54, -1, v54, vcc_lo
	s_delay_alu instid0(VALU_DEP_1) | instskip(NEXT) | instid1(VALU_DEP_1)
	v_lshrrev_b64 v[54:55], s48, v[54:55]
	v_and_b32_e32 v54, s55, v54
	s_delay_alu instid0(VALU_DEP_1) | instskip(SKIP_2) | instid1(SALU_CYCLE_1)
	v_lshl_or_b32 v54, v54, 4, v113
	ds_add_u32 v54, v125
	s_or_b32 exec_lo, exec_lo, s9
	s_mov_b32 s9, exec_lo
	v_cmpx_gt_u32_e64 s8, v110
	s_cbranch_execz .LBB1142_934
.LBB1142_949:                           ;   in Loop: Header=BB1142_899 Depth=2
	v_cmp_gt_i64_e32 vcc_lo, 0, v[26:27]
	v_cndmask_b32_e64 v55, 0x7fffffff, 0, vcc_lo
	s_delay_alu instid0(VALU_DEP_1) | instskip(NEXT) | instid1(VALU_DEP_1)
	v_dual_ashrrev_i32 v54, 31, v27 :: v_dual_bitop2_b32 v55, v55, v27 bitop3:0x14
	v_not_b32_e32 v54, v54
	s_delay_alu instid0(VALU_DEP_1) | instskip(NEXT) | instid1(VALU_DEP_1)
	v_xor_b32_e32 v54, v54, v26
	v_cmp_ne_u64_e32 vcc_lo, s[42:43], v[54:55]
	v_cndmask_b32_e32 v55, 0x7fffffff, v55, vcc_lo
	v_cndmask_b32_e32 v54, -1, v54, vcc_lo
	s_delay_alu instid0(VALU_DEP_1) | instskip(NEXT) | instid1(VALU_DEP_1)
	v_lshrrev_b64 v[54:55], s48, v[54:55]
	v_and_b32_e32 v54, s55, v54
	s_delay_alu instid0(VALU_DEP_1) | instskip(SKIP_2) | instid1(SALU_CYCLE_1)
	v_lshl_or_b32 v54, v54, 4, v113
	ds_add_u32 v54, v125
	s_or_b32 exec_lo, exec_lo, s9
	s_mov_b32 s9, exec_lo
	v_cmpx_gt_u32_e64 s8, v111
	s_cbranch_execz .LBB1142_935
.LBB1142_950:                           ;   in Loop: Header=BB1142_899 Depth=2
	v_cmp_gt_i64_e32 vcc_lo, 0, v[24:25]
	v_cndmask_b32_e64 v55, 0x7fffffff, 0, vcc_lo
	s_delay_alu instid0(VALU_DEP_1) | instskip(NEXT) | instid1(VALU_DEP_1)
	v_dual_ashrrev_i32 v54, 31, v25 :: v_dual_bitop2_b32 v55, v55, v25 bitop3:0x14
	v_not_b32_e32 v54, v54
	s_delay_alu instid0(VALU_DEP_1) | instskip(NEXT) | instid1(VALU_DEP_1)
	v_xor_b32_e32 v54, v54, v24
	v_cmp_ne_u64_e32 vcc_lo, s[42:43], v[54:55]
	v_cndmask_b32_e32 v55, 0x7fffffff, v55, vcc_lo
	v_cndmask_b32_e32 v54, -1, v54, vcc_lo
	s_delay_alu instid0(VALU_DEP_1) | instskip(NEXT) | instid1(VALU_DEP_1)
	v_lshrrev_b64 v[54:55], s48, v[54:55]
	v_and_b32_e32 v54, s55, v54
	s_delay_alu instid0(VALU_DEP_1)
	v_lshl_or_b32 v54, v54, 4, v113
	ds_add_u32 v54, v125
	s_or_b32 exec_lo, exec_lo, s9
	v_cmp_gt_u32_e32 vcc_lo, s8, v112
	s_and_saveexec_b32 s8, vcc_lo
	s_cbranch_execz .LBB1142_898
.LBB1142_951:                           ;   in Loop: Header=BB1142_899 Depth=2
	v_cmp_gt_i64_e32 vcc_lo, 0, v[22:23]
	v_cndmask_b32_e64 v55, 0x7fffffff, 0, vcc_lo
	s_delay_alu instid0(VALU_DEP_1) | instskip(NEXT) | instid1(VALU_DEP_1)
	v_dual_ashrrev_i32 v54, 31, v23 :: v_dual_bitop2_b32 v55, v55, v23 bitop3:0x14
	v_not_b32_e32 v54, v54
	s_delay_alu instid0(VALU_DEP_1) | instskip(NEXT) | instid1(VALU_DEP_1)
	v_xor_b32_e32 v54, v54, v22
	v_cmp_ne_u64_e32 vcc_lo, s[42:43], v[54:55]
	v_cndmask_b32_e32 v55, 0x7fffffff, v55, vcc_lo
	v_cndmask_b32_e32 v54, -1, v54, vcc_lo
	s_delay_alu instid0(VALU_DEP_1) | instskip(NEXT) | instid1(VALU_DEP_1)
	v_lshrrev_b64 v[54:55], s48, v[54:55]
	v_and_b32_e32 v54, s55, v54
	s_delay_alu instid0(VALU_DEP_1)
	v_lshl_or_b32 v54, v54, 4, v113
	ds_add_u32 v54, v125
	s_branch .LBB1142_898
.LBB1142_952:                           ;   in Loop: Header=BB1142_899 Depth=2
	global_load_b64 v[52:53], v2, s[8:9] scale_offset
	s_wait_xcnt 0x0
	s_or_b32 exec_lo, exec_lo, s11
	s_delay_alu instid0(SALU_CYCLE_1)
	s_mov_b32 s11, exec_lo
	v_cmpx_gt_u32_e64 s7, v98
	s_cbranch_execz .LBB1142_904
.LBB1142_953:                           ;   in Loop: Header=BB1142_899 Depth=2
	global_load_b64 v[50:51], v2, s[8:9] offset:2048 scale_offset
	s_wait_xcnt 0x0
	s_or_b32 exec_lo, exec_lo, s11
	s_delay_alu instid0(SALU_CYCLE_1)
	s_mov_b32 s11, exec_lo
	v_cmpx_gt_u32_e64 s7, v99
	s_cbranch_execz .LBB1142_905
.LBB1142_954:                           ;   in Loop: Header=BB1142_899 Depth=2
	global_load_b64 v[48:49], v2, s[8:9] offset:4096 scale_offset
	s_wait_xcnt 0x0
	s_or_b32 exec_lo, exec_lo, s11
	s_delay_alu instid0(SALU_CYCLE_1)
	s_mov_b32 s11, exec_lo
	v_cmpx_gt_u32_e64 s7, v100
	s_cbranch_execz .LBB1142_906
.LBB1142_955:                           ;   in Loop: Header=BB1142_899 Depth=2
	global_load_b64 v[46:47], v2, s[8:9] offset:6144 scale_offset
	s_wait_xcnt 0x0
	s_or_b32 exec_lo, exec_lo, s11
	s_delay_alu instid0(SALU_CYCLE_1)
	s_mov_b32 s11, exec_lo
	v_cmpx_gt_u32_e64 s7, v101
	s_cbranch_execz .LBB1142_907
.LBB1142_956:                           ;   in Loop: Header=BB1142_899 Depth=2
	global_load_b64 v[44:45], v2, s[8:9] offset:8192 scale_offset
	s_wait_xcnt 0x0
	s_or_b32 exec_lo, exec_lo, s11
	s_delay_alu instid0(SALU_CYCLE_1)
	s_mov_b32 s11, exec_lo
	v_cmpx_gt_u32_e64 s7, v102
	s_cbranch_execz .LBB1142_908
.LBB1142_957:                           ;   in Loop: Header=BB1142_899 Depth=2
	global_load_b64 v[42:43], v2, s[8:9] offset:10240 scale_offset
	s_wait_xcnt 0x0
	s_or_b32 exec_lo, exec_lo, s11
	s_delay_alu instid0(SALU_CYCLE_1)
	s_mov_b32 s11, exec_lo
	v_cmpx_gt_u32_e64 s7, v103
	s_cbranch_execz .LBB1142_909
.LBB1142_958:                           ;   in Loop: Header=BB1142_899 Depth=2
	global_load_b64 v[40:41], v2, s[8:9] offset:12288 scale_offset
	s_wait_xcnt 0x0
	s_or_b32 exec_lo, exec_lo, s11
	s_delay_alu instid0(SALU_CYCLE_1)
	s_mov_b32 s11, exec_lo
	v_cmpx_gt_u32_e64 s7, v104
	s_cbranch_execz .LBB1142_910
.LBB1142_959:                           ;   in Loop: Header=BB1142_899 Depth=2
	global_load_b64 v[38:39], v2, s[8:9] offset:14336 scale_offset
	s_wait_xcnt 0x0
	s_or_b32 exec_lo, exec_lo, s11
	s_delay_alu instid0(SALU_CYCLE_1)
	s_mov_b32 s11, exec_lo
	v_cmpx_gt_u32_e64 s7, v105
	s_cbranch_execz .LBB1142_911
.LBB1142_960:                           ;   in Loop: Header=BB1142_899 Depth=2
	global_load_b64 v[36:37], v2, s[8:9] offset:16384 scale_offset
	s_wait_xcnt 0x0
	s_or_b32 exec_lo, exec_lo, s11
	s_delay_alu instid0(SALU_CYCLE_1)
	s_mov_b32 s11, exec_lo
	v_cmpx_gt_u32_e64 s7, v106
	s_cbranch_execz .LBB1142_912
.LBB1142_961:                           ;   in Loop: Header=BB1142_899 Depth=2
	global_load_b64 v[34:35], v2, s[8:9] offset:18432 scale_offset
	s_wait_xcnt 0x0
	s_or_b32 exec_lo, exec_lo, s11
	s_delay_alu instid0(SALU_CYCLE_1)
	s_mov_b32 s11, exec_lo
	v_cmpx_gt_u32_e64 s7, v107
	s_cbranch_execz .LBB1142_913
.LBB1142_962:                           ;   in Loop: Header=BB1142_899 Depth=2
	global_load_b64 v[32:33], v2, s[8:9] offset:20480 scale_offset
	s_wait_xcnt 0x0
	s_or_b32 exec_lo, exec_lo, s11
	s_delay_alu instid0(SALU_CYCLE_1)
	s_mov_b32 s11, exec_lo
	v_cmpx_gt_u32_e64 s7, v108
	s_cbranch_execz .LBB1142_914
.LBB1142_963:                           ;   in Loop: Header=BB1142_899 Depth=2
	global_load_b64 v[30:31], v2, s[8:9] offset:22528 scale_offset
	s_wait_xcnt 0x0
	s_or_b32 exec_lo, exec_lo, s11
	s_delay_alu instid0(SALU_CYCLE_1)
	s_mov_b32 s11, exec_lo
	v_cmpx_gt_u32_e64 s7, v109
	s_cbranch_execz .LBB1142_915
.LBB1142_964:                           ;   in Loop: Header=BB1142_899 Depth=2
	global_load_b64 v[28:29], v2, s[8:9] offset:24576 scale_offset
	s_wait_xcnt 0x0
	s_or_b32 exec_lo, exec_lo, s11
	s_delay_alu instid0(SALU_CYCLE_1)
	s_mov_b32 s11, exec_lo
	v_cmpx_gt_u32_e64 s7, v110
	s_cbranch_execz .LBB1142_916
.LBB1142_965:                           ;   in Loop: Header=BB1142_899 Depth=2
	global_load_b64 v[26:27], v2, s[8:9] offset:26624 scale_offset
	s_wait_xcnt 0x0
	s_or_b32 exec_lo, exec_lo, s11
	s_delay_alu instid0(SALU_CYCLE_1)
	s_mov_b32 s11, exec_lo
	v_cmpx_gt_u32_e64 s7, v111
	s_cbranch_execz .LBB1142_917
.LBB1142_966:                           ;   in Loop: Header=BB1142_899 Depth=2
	global_load_b64 v[24:25], v2, s[8:9] offset:28672 scale_offset
	s_wait_xcnt 0x0
	s_or_b32 exec_lo, exec_lo, s11
	s_delay_alu instid0(SALU_CYCLE_1)
	s_mov_b32 s11, exec_lo
	v_cmpx_gt_u32_e64 s7, v112
	s_cbranch_execnz .LBB1142_918
	s_branch .LBB1142_919
.LBB1142_967:                           ;   in Loop: Header=BB1142_17 Depth=1
	v_mov_b32_e32 v22, 0
	s_wait_dscnt 0x0
	s_barrier_signal -1
	s_barrier_wait -1
	s_and_saveexec_b32 s7, s0
	s_cbranch_execz .LBB1142_969
; %bb.968:                              ;   in Loop: Header=BB1142_17 Depth=1
	ds_load_2addr_b64 v[22:25], v115 offset1:1
	s_wait_dscnt 0x0
	v_add_nc_u32_e32 v22, v23, v22
	s_delay_alu instid0(VALU_DEP_1)
	v_add3_u32 v22, v22, v24, v25
.LBB1142_969:                           ;   in Loop: Header=BB1142_17 Depth=1
	s_or_b32 exec_lo, exec_lo, s7
	s_delay_alu instid0(VALU_DEP_1)
	v_mov_b32_dpp v23, v22 row_shr:1 row_mask:0xf bank_mask:0xf
	v_cmp_eq_u32_e64 s7, 0, v126
	v_cmp_lt_u32_e64 s8, 1, v126
	v_cmp_lt_u32_e64 s9, 3, v126
	;; [unrolled: 1-line block ×3, first 2 shown]
	v_cmp_eq_u32_e64 s11, 0, v128
	v_cndmask_b32_e64 v23, v23, 0, s7
	s_delay_alu instid0(VALU_DEP_1) | instskip(NEXT) | instid1(VALU_DEP_1)
	v_add_nc_u32_e32 v22, v23, v22
	v_mov_b32_dpp v23, v22 row_shr:2 row_mask:0xf bank_mask:0xf
	s_delay_alu instid0(VALU_DEP_1) | instskip(NEXT) | instid1(VALU_DEP_1)
	v_cndmask_b32_e64 v23, 0, v23, s8
	v_add_nc_u32_e32 v22, v22, v23
	s_delay_alu instid0(VALU_DEP_1) | instskip(NEXT) | instid1(VALU_DEP_1)
	v_mov_b32_dpp v23, v22 row_shr:4 row_mask:0xf bank_mask:0xf
	v_cndmask_b32_e64 v23, 0, v23, s9
	s_delay_alu instid0(VALU_DEP_1) | instskip(NEXT) | instid1(VALU_DEP_1)
	v_add_nc_u32_e32 v22, v22, v23
	v_mov_b32_dpp v23, v22 row_shr:8 row_mask:0xf bank_mask:0xf
	s_delay_alu instid0(VALU_DEP_1) | instskip(NEXT) | instid1(VALU_DEP_1)
	v_cndmask_b32_e64 v23, 0, v23, s10
	v_add_nc_u32_e32 v22, v22, v23
	ds_swizzle_b32 v23, v22 offset:swizzle(BROADCAST,32,15)
	s_wait_dscnt 0x0
	v_and_b32_e32 v23, v127, v23
	s_delay_alu instid0(VALU_DEP_1)
	v_add_nc_u32_e32 v22, v22, v23
	s_and_saveexec_b32 s12, s1
; %bb.970:                              ;   in Loop: Header=BB1142_17 Depth=1
	ds_store_b32 v116, v22
; %bb.971:                              ;   in Loop: Header=BB1142_17 Depth=1
	s_or_b32 exec_lo, exec_lo, s12
	s_wait_dscnt 0x0
	s_barrier_signal -1
	s_barrier_wait -1
	s_and_saveexec_b32 s12, s4
	s_cbranch_execz .LBB1142_973
; %bb.972:                              ;   in Loop: Header=BB1142_17 Depth=1
	ds_load_b32 v23, v117
	v_cmp_ne_u32_e32 vcc_lo, 0, v130
	s_wait_dscnt 0x0
	v_mov_b32_dpp v24, v23 row_shr:1 row_mask:0xf bank_mask:0xf
	s_delay_alu instid0(VALU_DEP_1) | instskip(SKIP_1) | instid1(VALU_DEP_2)
	v_cndmask_b32_e32 v24, 0, v24, vcc_lo
	v_cmp_lt_u32_e32 vcc_lo, 1, v130
	v_add_nc_u32_e32 v23, v24, v23
	s_delay_alu instid0(VALU_DEP_1) | instskip(NEXT) | instid1(VALU_DEP_1)
	v_mov_b32_dpp v24, v23 row_shr:2 row_mask:0xf bank_mask:0xf
	v_cndmask_b32_e32 v24, 0, v24, vcc_lo
	v_cmp_lt_u32_e32 vcc_lo, 3, v130
	s_delay_alu instid0(VALU_DEP_2) | instskip(NEXT) | instid1(VALU_DEP_1)
	v_add_nc_u32_e32 v23, v23, v24
	v_mov_b32_dpp v24, v23 row_shr:4 row_mask:0xf bank_mask:0xf
	s_delay_alu instid0(VALU_DEP_1) | instskip(NEXT) | instid1(VALU_DEP_1)
	v_cndmask_b32_e32 v24, 0, v24, vcc_lo
	v_add_nc_u32_e32 v23, v23, v24
	ds_store_b32 v117, v23
.LBB1142_973:                           ;   in Loop: Header=BB1142_17 Depth=1
	s_or_b32 exec_lo, exec_lo, s12
	v_mov_b32_e32 v23, 0
	s_wait_dscnt 0x0
	s_barrier_signal -1
	s_barrier_wait -1
	s_and_saveexec_b32 s12, s5
; %bb.974:                              ;   in Loop: Header=BB1142_17 Depth=1
	ds_load_b32 v23, v118
; %bb.975:                              ;   in Loop: Header=BB1142_17 Depth=1
	s_or_b32 exec_lo, exec_lo, s12
	v_cmp_gt_i32_e32 vcc_lo, 0, v131
	s_wait_dscnt 0x0
	s_barrier_signal -1
	s_barrier_wait -1
	v_cndmask_b32_e32 v24, v131, v124, vcc_lo
	s_delay_alu instid0(VALU_DEP_1)
	v_dual_add_nc_u32 v22, v23, v22 :: v_dual_lshlrev_b32 v147, 2, v24
	ds_bpermute_b32 v22, v147, v22
	s_and_saveexec_b32 s12, s0
	s_cbranch_execz .LBB1142_977
; %bb.976:                              ;   in Loop: Header=BB1142_17 Depth=1
	s_wait_dscnt 0x0
	v_cndmask_b32_e64 v22, v22, v23, s6
	s_delay_alu instid0(VALU_DEP_1)
	v_add_nc_u32_e32 v22, s56, v22
	ds_store_b32 v3, v22
.LBB1142_977:                           ;   in Loop: Header=BB1142_17 Depth=1
	s_or_b32 exec_lo, exec_lo, s12
	s_load_b64 s[12:13], s[52:53], 0x0
	v_add_nc_u64_e32 v[24:25], v[20:21], v[4:5]
	s_mov_b32 s59, s58
                                        ; implicit-def: $vgpr28_vgpr29
                                        ; implicit-def: $vgpr30_vgpr31
                                        ; implicit-def: $vgpr32_vgpr33
                                        ; implicit-def: $vgpr34_vgpr35
                                        ; implicit-def: $vgpr36_vgpr37
                                        ; implicit-def: $vgpr38_vgpr39
                                        ; implicit-def: $vgpr40_vgpr41
                                        ; implicit-def: $vgpr42_vgpr43
                                        ; implicit-def: $vgpr44_vgpr45
                                        ; implicit-def: $vgpr46_vgpr47
                                        ; implicit-def: $vgpr48_vgpr49
                                        ; implicit-def: $vgpr50_vgpr51
                                        ; implicit-def: $vgpr52_vgpr53
                                        ; implicit-def: $vgpr54_vgpr55
                                        ; implicit-def: $vgpr56_vgpr57
                                        ; implicit-def: $vgpr149
                                        ; implicit-def: $vgpr150
                                        ; implicit-def: $vgpr151
                                        ; implicit-def: $vgpr152
                                        ; implicit-def: $vgpr153
                                        ; implicit-def: $vgpr154
                                        ; implicit-def: $vgpr155
                                        ; implicit-def: $vgpr156
                                        ; implicit-def: $vgpr157
                                        ; implicit-def: $vgpr158
                                        ; implicit-def: $vgpr159
                                        ; implicit-def: $vgpr160
                                        ; implicit-def: $vgpr161
                                        ; implicit-def: $vgpr162
                                        ; implicit-def: $vgpr163
                                        ; implicit-def: $vgpr164
	s_wait_kmcnt 0x0
	s_cmp_lt_u32 s33, s12
	s_cselect_b32 s34, 12, 18
	s_cmp_lt_u32 s31, s13
	s_mov_b32 s13, s35
	s_cselect_b32 s12, 14, 20
	s_delay_alu instid0(SALU_CYCLE_1)
	s_add_nc_u64 s[12:13], s[52:53], s[12:13]
	s_load_u16 s14, s[12:13], 0x0
	s_wait_xcnt 0x0
	s_add_nc_u64 s[12:13], s[52:53], s[34:35]
	s_mov_b32 s34, s56
	s_load_u16 s12, s[12:13], 0x0
	s_wait_xcnt 0x0
	v_cmp_lt_u32_e64 s13, 1, v130
	s_wait_dscnt 0x0
	s_wait_kmcnt 0x0
	v_mad_u32_u24 v22, v119, s14, v121
	v_cmp_lt_u32_e64 s14, 3, v130
	s_delay_alu instid0(VALU_DEP_2) | instskip(SKIP_1) | instid1(VALU_DEP_2)
	v_mad_u32 v22, v22, s12, v2
	v_cmp_eq_u32_e64 s12, 0, v130
	v_lshrrev_b32_e32 v26, 3, v22
	v_add_nc_u64_e32 v[22:23], v[18:19], v[4:5]
	s_delay_alu instid0(VALU_DEP_2)
	v_and_b32_e32 v148, 0x1ffffffc, v26
                                        ; implicit-def: $vgpr26_vgpr27
	s_branch .LBB1142_979
.LBB1142_978:                           ;   in Loop: Header=BB1142_979 Depth=2
	s_or_b32 exec_lo, exec_lo, s15
	s_addk_co_i32 s59, 0xf000
	s_cmp_lt_u32 s60, s51
	s_mov_b32 s34, s60
	s_cbranch_scc0 .LBB1142_15
.LBB1142_979:                           ;   Parent Loop BB1142_17 Depth=1
                                        ; =>  This Inner Loop Header: Depth=2
	s_add_co_i32 s60, s34, 0x1000
	s_delay_alu instid0(SALU_CYCLE_1)
	s_cmp_gt_u32 s60, s51
	s_cbranch_scc1 .LBB1142_981
; %bb.980:                              ;   in Loop: Header=BB1142_979 Depth=2
	v_lshl_add_u64 v[66:67], s[34:35], 3, v[24:25]
	s_mov_b32 s15, -1
	s_clause 0xe
	global_load_b64 v[58:59], v[66:67], off
	global_load_b64 v[60:61], v[66:67], off offset:256
	global_load_b64 v[62:63], v[66:67], off offset:512
	;; [unrolled: 1-line block ×14, first 2 shown]
	s_movk_i32 s16, 0x1000
	s_cbranch_execz .LBB1142_982
	s_branch .LBB1142_1013
.LBB1142_981:                           ;   in Loop: Header=BB1142_979 Depth=2
	s_mov_b32 s15, 0
                                        ; implicit-def: $vgpr58_vgpr59
                                        ; implicit-def: $vgpr60_vgpr61
                                        ; implicit-def: $vgpr62_vgpr63
                                        ; implicit-def: $vgpr70_vgpr71
                                        ; implicit-def: $vgpr74_vgpr75
                                        ; implicit-def: $vgpr78_vgpr79
                                        ; implicit-def: $vgpr82_vgpr83
                                        ; implicit-def: $vgpr86_vgpr87
                                        ; implicit-def: $vgpr88_vgpr89
                                        ; implicit-def: $vgpr84_vgpr85
                                        ; implicit-def: $vgpr80_vgpr81
                                        ; implicit-def: $vgpr76_vgpr77
                                        ; implicit-def: $vgpr72_vgpr73
                                        ; implicit-def: $vgpr68_vgpr69
                                        ; implicit-def: $vgpr64_vgpr65
	s_movk_i32 s16, 0x1000
.LBB1142_982:                           ;   in Loop: Header=BB1142_979 Depth=2
	s_wait_loadcnt 0xd
	v_mov_b64_e32 v[60:61], -1
	v_mov_b64_e32 v[58:59], -1
	s_wait_xcnt 0x0
	v_lshl_add_u64 v[66:67], s[34:35], 3, v[24:25]
	s_mov_b32 s15, exec_lo
	v_cmpx_gt_u32_e64 s59, v129
	s_cbranch_execz .LBB1142_984
; %bb.983:                              ;   in Loop: Header=BB1142_979 Depth=2
	global_load_b64 v[58:59], v[66:67], off
.LBB1142_984:                           ;   in Loop: Header=BB1142_979 Depth=2
	s_wait_xcnt 0x0
	s_or_b32 exec_lo, exec_lo, s15
	s_delay_alu instid0(SALU_CYCLE_1)
	s_mov_b32 s15, exec_lo
	v_cmpx_gt_u32_e64 s59, v132
	s_cbranch_execz .LBB1142_986
; %bb.985:                              ;   in Loop: Header=BB1142_979 Depth=2
	global_load_b64 v[60:61], v[66:67], off offset:256
.LBB1142_986:                           ;   in Loop: Header=BB1142_979 Depth=2
	s_wait_xcnt 0x0
	s_or_b32 exec_lo, exec_lo, s15
	s_wait_loadcnt 0xb
	v_mov_b64_e32 v[70:71], -1
	v_mov_b64_e32 v[62:63], -1
	s_mov_b32 s15, exec_lo
	v_cmpx_gt_u32_e64 s59, v133
	s_cbranch_execz .LBB1142_988
; %bb.987:                              ;   in Loop: Header=BB1142_979 Depth=2
	global_load_b64 v[62:63], v[66:67], off offset:512
.LBB1142_988:                           ;   in Loop: Header=BB1142_979 Depth=2
	s_wait_xcnt 0x0
	s_or_b32 exec_lo, exec_lo, s15
	s_delay_alu instid0(SALU_CYCLE_1)
	s_mov_b32 s15, exec_lo
	v_cmpx_gt_u32_e64 s59, v134
	s_cbranch_execz .LBB1142_990
; %bb.989:                              ;   in Loop: Header=BB1142_979 Depth=2
	global_load_b64 v[70:71], v[66:67], off offset:768
.LBB1142_990:                           ;   in Loop: Header=BB1142_979 Depth=2
	s_wait_xcnt 0x0
	s_or_b32 exec_lo, exec_lo, s15
	s_wait_loadcnt 0x9
	v_mov_b64_e32 v[78:79], -1
	v_mov_b64_e32 v[74:75], -1
	s_mov_b32 s15, exec_lo
	v_cmpx_gt_u32_e64 s59, v135
	s_cbranch_execz .LBB1142_992
; %bb.991:                              ;   in Loop: Header=BB1142_979 Depth=2
	global_load_b64 v[74:75], v[66:67], off offset:1024
.LBB1142_992:                           ;   in Loop: Header=BB1142_979 Depth=2
	;; [unrolled: 20-line block ×3, first 2 shown]
	s_wait_xcnt 0x0
	s_or_b32 exec_lo, exec_lo, s15
	s_delay_alu instid0(SALU_CYCLE_1)
	s_mov_b32 s15, exec_lo
	v_cmpx_gt_u32_e64 s59, v138
	s_cbranch_execz .LBB1142_998
; %bb.997:                              ;   in Loop: Header=BB1142_979 Depth=2
	global_load_b64 v[86:87], v[66:67], off offset:1792
.LBB1142_998:                           ;   in Loop: Header=BB1142_979 Depth=2
	s_wait_xcnt 0x0
	s_or_b32 exec_lo, exec_lo, s15
	s_wait_loadcnt 0x5
	v_mov_b64_e32 v[84:85], -1
	v_mov_b64_e32 v[88:89], -1
	s_mov_b32 s15, exec_lo
	v_cmpx_gt_u32_e64 s59, v139
	s_cbranch_execz .LBB1142_1000
; %bb.999:                              ;   in Loop: Header=BB1142_979 Depth=2
	global_load_b64 v[88:89], v[66:67], off offset:2048
.LBB1142_1000:                          ;   in Loop: Header=BB1142_979 Depth=2
	s_wait_xcnt 0x0
	s_or_b32 exec_lo, exec_lo, s15
	s_delay_alu instid0(SALU_CYCLE_1)
	s_mov_b32 s15, exec_lo
	v_cmpx_gt_u32_e64 s59, v140
	s_cbranch_execz .LBB1142_1002
; %bb.1001:                             ;   in Loop: Header=BB1142_979 Depth=2
	global_load_b64 v[84:85], v[66:67], off offset:2304
.LBB1142_1002:                          ;   in Loop: Header=BB1142_979 Depth=2
	s_wait_xcnt 0x0
	s_or_b32 exec_lo, exec_lo, s15
	s_wait_loadcnt 0x3
	v_mov_b64_e32 v[76:77], -1
	v_mov_b64_e32 v[80:81], -1
	s_mov_b32 s15, exec_lo
	v_cmpx_gt_u32_e64 s59, v141
	s_cbranch_execz .LBB1142_1004
; %bb.1003:                             ;   in Loop: Header=BB1142_979 Depth=2
	global_load_b64 v[80:81], v[66:67], off offset:2560
.LBB1142_1004:                          ;   in Loop: Header=BB1142_979 Depth=2
	s_wait_xcnt 0x0
	s_or_b32 exec_lo, exec_lo, s15
	s_delay_alu instid0(SALU_CYCLE_1)
	s_mov_b32 s15, exec_lo
	v_cmpx_gt_u32_e64 s59, v142
	s_cbranch_execz .LBB1142_1006
; %bb.1005:                             ;   in Loop: Header=BB1142_979 Depth=2
	global_load_b64 v[76:77], v[66:67], off offset:2816
.LBB1142_1006:                          ;   in Loop: Header=BB1142_979 Depth=2
	s_wait_xcnt 0x0
	s_or_b32 exec_lo, exec_lo, s15
	s_wait_loadcnt 0x1
	v_mov_b64_e32 v[68:69], -1
	v_mov_b64_e32 v[72:73], -1
	s_mov_b32 s15, exec_lo
	v_cmpx_gt_u32_e64 s59, v143
	s_cbranch_execz .LBB1142_1008
; %bb.1007:                             ;   in Loop: Header=BB1142_979 Depth=2
	global_load_b64 v[72:73], v[66:67], off offset:3072
.LBB1142_1008:                          ;   in Loop: Header=BB1142_979 Depth=2
	s_wait_xcnt 0x0
	s_or_b32 exec_lo, exec_lo, s15
	s_delay_alu instid0(SALU_CYCLE_1)
	s_mov_b32 s15, exec_lo
	v_cmpx_gt_u32_e64 s59, v144
	s_cbranch_execz .LBB1142_1010
; %bb.1009:                             ;   in Loop: Header=BB1142_979 Depth=2
	global_load_b64 v[68:69], v[66:67], off offset:3328
.LBB1142_1010:                          ;   in Loop: Header=BB1142_979 Depth=2
	s_wait_xcnt 0x0
	s_or_b32 exec_lo, exec_lo, s15
	s_wait_loadcnt 0x0
	v_mov_b64_e32 v[64:65], -1
	s_mov_b32 s15, exec_lo
	v_cmpx_gt_u32_e64 s59, v145
	s_cbranch_execz .LBB1142_1012
; %bb.1011:                             ;   in Loop: Header=BB1142_979 Depth=2
	global_load_b64 v[64:65], v[66:67], off offset:3584
.LBB1142_1012:                          ;   in Loop: Header=BB1142_979 Depth=2
	s_wait_xcnt 0x0
	s_or_b32 exec_lo, exec_lo, s15
	v_cmp_gt_u32_e64 s15, s59, v146
	s_sub_co_i32 s16, s51, s34
.LBB1142_1013:                          ;   in Loop: Header=BB1142_979 Depth=2
	s_wait_xcnt 0x0
	v_mov_b64_e32 v[66:67], -1
	v_mov_b32_e32 v165, s59
	s_and_saveexec_b32 s17, s15
	s_cbranch_execz .LBB1142_1015
; %bb.1014:                             ;   in Loop: Header=BB1142_979 Depth=2
	v_lshl_add_u64 v[66:67], s[34:35], 3, v[24:25]
	v_mov_b32_e32 v165, s16
	global_load_b64 v[66:67], v[66:67], off offset:3840
.LBB1142_1015:                          ;   in Loop: Header=BB1142_979 Depth=2
	s_wait_xcnt 0x0
	s_or_b32 exec_lo, exec_lo, s17
	s_wait_loadcnt 0xe
	v_cmp_gt_i64_e32 vcc_lo, 0, v[58:59]
	v_add_nc_u32_e32 v168, 0x420, v120
	v_add_nc_u32_e32 v169, 0x428, v120
	;; [unrolled: 1-line block ×3, first 2 shown]
	v_cndmask_b32_e64 v91, 0x7fffffff, 0, vcc_lo
	s_delay_alu instid0(VALU_DEP_1) | instskip(NEXT) | instid1(VALU_DEP_1)
	v_dual_ashrrev_i32 v90, 31, v59 :: v_dual_bitop2_b32 v59, v91, v59 bitop3:0x14
	v_not_b32_e32 v90, v90
	s_delay_alu instid0(VALU_DEP_1) | instskip(NEXT) | instid1(VALU_DEP_1)
	v_xor_b32_e32 v58, v90, v58
	v_cmp_ne_u64_e32 vcc_lo, s[42:43], v[58:59]
	v_cndmask_b32_e32 v91, 0x7fffffff, v59, vcc_lo
	v_cndmask_b32_e32 v90, -1, v58, vcc_lo
	s_delay_alu instid0(VALU_DEP_1) | instskip(NEXT) | instid1(VALU_DEP_1)
	v_lshrrev_b64 v[90:91], s48, v[90:91]
	v_bitop3_b32 v91, v90, 1, s55 bitop3:0x80
	v_and_b32_e32 v92, s55, v90
	s_delay_alu instid0(VALU_DEP_2) | instskip(NEXT) | instid1(VALU_DEP_1)
	v_add_co_u32 v90, s15, v91, -1
	v_cndmask_b32_e64 v91, 0, 1, s15
	s_delay_alu instid0(VALU_DEP_3) | instskip(NEXT) | instid1(VALU_DEP_2)
	v_lshlrev_b32_e32 v93, 30, v92
	v_cmp_ne_u32_e32 vcc_lo, 0, v91
	s_delay_alu instid0(VALU_DEP_2) | instskip(SKIP_1) | instid1(VALU_DEP_2)
	v_not_b32_e32 v91, v93
	v_cmp_gt_i32_e64 s15, 0, v93
	v_dual_ashrrev_i32 v91, 31, v91 :: v_dual_lshlrev_b32 v94, 29, v92
	v_dual_lshlrev_b32 v95, 28, v92 :: v_dual_lshlrev_b32 v96, 27, v92
	v_dual_lshlrev_b32 v97, 26, v92 :: v_dual_lshlrev_b32 v166, 25, v92
	v_lshlrev_b32_e32 v167, 24, v92
	s_delay_alu instid0(VALU_DEP_4)
	v_cmp_gt_i32_e64 s16, 0, v94
	v_not_b32_e32 v93, v94
	v_not_b32_e32 v94, v95
	v_cmp_gt_i32_e64 s17, 0, v95
	v_cmp_gt_i32_e64 s18, 0, v96
	v_not_b32_e32 v95, v96
	v_not_b32_e32 v96, v97
	v_dual_ashrrev_i32 v93, 31, v93 :: v_dual_bitop2_b32 v90, vcc_lo, v90 bitop3:0x14
	v_dual_ashrrev_i32 v94, 31, v94 :: v_dual_bitop2_b32 v91, s15, v91 bitop3:0x14
	v_cmp_gt_i32_e64 s19, 0, v97
	v_cmp_gt_i32_e64 s20, 0, v166
	v_not_b32_e32 v97, v166
	v_not_b32_e32 v166, v167
	v_dual_ashrrev_i32 v95, 31, v95 :: v_dual_ashrrev_i32 v96, 31, v96
	v_xor_b32_e32 v93, s16, v93
	v_xor_b32_e32 v94, s17, v94
	v_bitop3_b32 v90, v90, v91, exec_lo bitop3:0x80
	v_cmp_gt_i32_e64 s21, 0, v167
	v_dual_ashrrev_i32 v91, 31, v97 :: v_dual_ashrrev_i32 v97, 31, v166
	v_xor_b32_e32 v95, s18, v95
	v_xor_b32_e32 v96, s19, v96
	v_bitop3_b32 v90, v90, v94, v93 bitop3:0x80
	s_delay_alu instid0(VALU_DEP_4) | instskip(SKIP_2) | instid1(VALU_DEP_4)
	v_xor_b32_e32 v91, s20, v91
	v_xor_b32_e32 v93, s21, v97
	v_add_nc_u32_e32 v167, 0x438, v120
	v_bitop3_b32 v90, v90, v96, v95 bitop3:0x80
	ds_store_2addr_b32 v167, v5, v5 offset1:1
	ds_store_2addr_b32 v168, v5, v5 offset1:1
	;; [unrolled: 1-line block ×4, first 2 shown]
	ds_store_b32 v120, v5 offset:1088
	v_bitop3_b32 v90, v90, v93, v91 bitop3:0x80
	v_mul_u32_u24_e32 v91, 36, v92
	s_wait_loadcnt_dscnt 0x0
	s_barrier_signal -1
	s_barrier_wait -1
	v_mbcnt_lo_u32_b32 v166, v90, 0
	v_cmp_ne_u32_e64 s15, 0, v90
	v_add_nc_u32_e32 v171, v148, v91
	s_delay_alu instid0(VALU_DEP_3) | instskip(SKIP_1) | instid1(SALU_CYCLE_1)
	v_cmp_eq_u32_e32 vcc_lo, 0, v166
	; wave barrier
	s_and_b32 s16, s15, vcc_lo
	s_and_saveexec_b32 s15, s16
; %bb.1016:                             ;   in Loop: Header=BB1142_979 Depth=2
	v_bcnt_u32_b32 v90, v90, 0
	ds_store_b32 v171, v90 offset:1056
; %bb.1017:                             ;   in Loop: Header=BB1142_979 Depth=2
	s_or_b32 exec_lo, exec_lo, s15
	v_cmp_gt_i64_e32 vcc_lo, 0, v[60:61]
	; wave barrier
	v_cndmask_b32_e64 v91, 0x7fffffff, 0, vcc_lo
	s_delay_alu instid0(VALU_DEP_1) | instskip(NEXT) | instid1(VALU_DEP_1)
	v_dual_ashrrev_i32 v90, 31, v61 :: v_dual_bitop2_b32 v61, v91, v61 bitop3:0x14
	v_not_b32_e32 v90, v90
	s_delay_alu instid0(VALU_DEP_1) | instskip(NEXT) | instid1(VALU_DEP_1)
	v_xor_b32_e32 v60, v90, v60
	v_cmp_ne_u64_e32 vcc_lo, s[42:43], v[60:61]
	v_cndmask_b32_e32 v91, 0x7fffffff, v61, vcc_lo
	v_cndmask_b32_e32 v90, -1, v60, vcc_lo
	s_delay_alu instid0(VALU_DEP_1) | instskip(NEXT) | instid1(VALU_DEP_1)
	v_lshrrev_b64 v[90:91], s48, v[90:91]
	v_bitop3_b32 v91, v90, 1, s55 bitop3:0x80
	v_and_b32_e32 v92, s55, v90
	s_delay_alu instid0(VALU_DEP_2) | instskip(NEXT) | instid1(VALU_DEP_1)
	v_add_co_u32 v90, s15, v91, -1
	v_cndmask_b32_e64 v91, 0, 1, s15
	s_delay_alu instid0(VALU_DEP_3) | instskip(SKIP_1) | instid1(VALU_DEP_3)
	v_dual_lshlrev_b32 v93, 30, v92 :: v_dual_lshlrev_b32 v95, 28, v92
	v_dual_lshlrev_b32 v94, 29, v92 :: v_dual_lshlrev_b32 v96, 27, v92
	v_cmp_ne_u32_e32 vcc_lo, 0, v91
	s_delay_alu instid0(VALU_DEP_3) | instskip(SKIP_1) | instid1(VALU_DEP_4)
	v_cmp_gt_i32_e64 s15, 0, v93
	v_not_b32_e32 v91, v93
	v_cmp_gt_i32_e64 s16, 0, v94
	v_not_b32_e32 v93, v94
	;; [unrolled: 2-line block ×3, first 2 shown]
	v_not_b32_e32 v95, v96
	s_delay_alu instid0(VALU_DEP_4) | instskip(NEXT) | instid1(VALU_DEP_2)
	v_dual_ashrrev_i32 v91, 31, v91 :: v_dual_ashrrev_i32 v93, 31, v93
	v_dual_ashrrev_i32 v94, 31, v94 :: v_dual_ashrrev_i32 v95, 31, v95
	v_dual_lshlrev_b32 v97, 26, v92 :: v_dual_lshlrev_b32 v172, 25, v92
	v_lshlrev_b32_e32 v173, 24, v92
	v_cmp_gt_i32_e64 s18, 0, v96
	v_xor_b32_e32 v91, s15, v91
	s_delay_alu instid0(VALU_DEP_4)
	v_not_b32_e32 v96, v97
	v_xor_b32_e32 v90, vcc_lo, v90
	v_cmp_gt_i32_e64 s19, 0, v97
	v_cmp_gt_i32_e64 s20, 0, v172
	v_not_b32_e32 v97, v172
	v_not_b32_e32 v172, v173
	v_dual_ashrrev_i32 v96, 31, v96 :: v_dual_bitop2_b32 v93, s16, v93 bitop3:0x14
	v_xor_b32_e32 v94, s17, v94
	v_bitop3_b32 v90, v90, v91, exec_lo bitop3:0x80
	v_cmp_gt_i32_e64 s21, 0, v173
	v_dual_ashrrev_i32 v91, 31, v97 :: v_dual_ashrrev_i32 v97, 31, v172
	v_xor_b32_e32 v95, s18, v95
	v_xor_b32_e32 v96, s19, v96
	v_bitop3_b32 v90, v90, v94, v93 bitop3:0x80
	v_mad_u32_u24 v93, v92, 36, v148
	v_xor_b32_e32 v91, s20, v91
	v_xor_b32_e32 v94, s21, v97
	s_delay_alu instid0(VALU_DEP_4) | instskip(SKIP_3) | instid1(VALU_DEP_2)
	v_bitop3_b32 v90, v90, v96, v95 bitop3:0x80
	ds_load_b32 v172, v93 offset:1056
	; wave barrier
	v_bitop3_b32 v90, v90, v94, v91 bitop3:0x80
	v_mul_u32_u24_e32 v91, 36, v92
	v_mbcnt_lo_u32_b32 v173, v90, 0
	v_cmp_ne_u32_e64 s15, 0, v90
	s_delay_alu instid0(VALU_DEP_3) | instskip(NEXT) | instid1(VALU_DEP_3)
	v_add_nc_u32_e32 v174, v148, v91
	v_cmp_eq_u32_e32 vcc_lo, 0, v173
	s_and_b32 s16, s15, vcc_lo
	s_delay_alu instid0(SALU_CYCLE_1)
	s_and_saveexec_b32 s15, s16
	s_cbranch_execz .LBB1142_1019
; %bb.1018:                             ;   in Loop: Header=BB1142_979 Depth=2
	s_wait_dscnt 0x0
	v_bcnt_u32_b32 v90, v90, v172
	ds_store_b32 v174, v90 offset:1056
.LBB1142_1019:                          ;   in Loop: Header=BB1142_979 Depth=2
	s_or_b32 exec_lo, exec_lo, s15
	v_cmp_gt_i64_e32 vcc_lo, 0, v[62:63]
	; wave barrier
	v_cndmask_b32_e64 v91, 0x7fffffff, 0, vcc_lo
	s_delay_alu instid0(VALU_DEP_1) | instskip(NEXT) | instid1(VALU_DEP_1)
	v_dual_ashrrev_i32 v90, 31, v63 :: v_dual_bitop2_b32 v63, v91, v63 bitop3:0x14
	v_not_b32_e32 v90, v90
	s_delay_alu instid0(VALU_DEP_1) | instskip(NEXT) | instid1(VALU_DEP_1)
	v_xor_b32_e32 v62, v90, v62
	v_cmp_ne_u64_e32 vcc_lo, s[42:43], v[62:63]
	v_cndmask_b32_e32 v91, 0x7fffffff, v63, vcc_lo
	v_cndmask_b32_e32 v90, -1, v62, vcc_lo
	s_delay_alu instid0(VALU_DEP_1) | instskip(NEXT) | instid1(VALU_DEP_1)
	v_lshrrev_b64 v[90:91], s48, v[90:91]
	v_bitop3_b32 v91, v90, 1, s55 bitop3:0x80
	v_and_b32_e32 v92, s55, v90
	s_delay_alu instid0(VALU_DEP_2) | instskip(NEXT) | instid1(VALU_DEP_1)
	v_add_co_u32 v90, s15, v91, -1
	v_cndmask_b32_e64 v91, 0, 1, s15
	s_delay_alu instid0(VALU_DEP_3) | instskip(NEXT) | instid1(VALU_DEP_2)
	v_lshlrev_b32_e32 v93, 30, v92
	v_cmp_ne_u32_e32 vcc_lo, 0, v91
	s_delay_alu instid0(VALU_DEP_2) | instskip(SKIP_1) | instid1(VALU_DEP_2)
	v_not_b32_e32 v91, v93
	v_cmp_gt_i32_e64 s15, 0, v93
	v_dual_ashrrev_i32 v91, 31, v91 :: v_dual_lshlrev_b32 v94, 29, v92
	v_dual_lshlrev_b32 v95, 28, v92 :: v_dual_lshlrev_b32 v96, 27, v92
	v_dual_lshlrev_b32 v97, 26, v92 :: v_dual_lshlrev_b32 v175, 25, v92
	v_lshlrev_b32_e32 v176, 24, v92
	s_delay_alu instid0(VALU_DEP_4)
	v_cmp_gt_i32_e64 s16, 0, v94
	v_not_b32_e32 v93, v94
	v_not_b32_e32 v94, v95
	v_cmp_gt_i32_e64 s17, 0, v95
	v_cmp_gt_i32_e64 s18, 0, v96
	v_not_b32_e32 v95, v96
	v_not_b32_e32 v96, v97
	v_dual_ashrrev_i32 v93, 31, v93 :: v_dual_bitop2_b32 v90, vcc_lo, v90 bitop3:0x14
	v_dual_ashrrev_i32 v94, 31, v94 :: v_dual_bitop2_b32 v91, s15, v91 bitop3:0x14
	v_cmp_gt_i32_e64 s19, 0, v97
	v_cmp_gt_i32_e64 s20, 0, v175
	v_not_b32_e32 v97, v175
	v_not_b32_e32 v175, v176
	v_dual_ashrrev_i32 v95, 31, v95 :: v_dual_ashrrev_i32 v96, 31, v96
	v_xor_b32_e32 v93, s16, v93
	v_xor_b32_e32 v94, s17, v94
	v_bitop3_b32 v90, v90, v91, exec_lo bitop3:0x80
	v_cmp_gt_i32_e64 s21, 0, v176
	v_dual_ashrrev_i32 v91, 31, v97 :: v_dual_ashrrev_i32 v97, 31, v175
	v_xor_b32_e32 v95, s18, v95
	v_xor_b32_e32 v96, s19, v96
	v_bitop3_b32 v90, v90, v94, v93 bitop3:0x80
	v_mad_u32_u24 v93, v92, 36, v148
	v_xor_b32_e32 v91, s20, v91
	v_xor_b32_e32 v94, s21, v97
	s_delay_alu instid0(VALU_DEP_4) | instskip(SKIP_3) | instid1(VALU_DEP_2)
	v_bitop3_b32 v90, v90, v96, v95 bitop3:0x80
	ds_load_b32 v175, v93 offset:1056
	; wave barrier
	v_bitop3_b32 v90, v90, v94, v91 bitop3:0x80
	v_mul_u32_u24_e32 v91, 36, v92
	v_mbcnt_lo_u32_b32 v176, v90, 0
	v_cmp_ne_u32_e64 s15, 0, v90
	s_delay_alu instid0(VALU_DEP_3) | instskip(NEXT) | instid1(VALU_DEP_3)
	v_add_nc_u32_e32 v177, v148, v91
	v_cmp_eq_u32_e32 vcc_lo, 0, v176
	s_and_b32 s16, s15, vcc_lo
	s_delay_alu instid0(SALU_CYCLE_1)
	s_and_saveexec_b32 s15, s16
	s_cbranch_execz .LBB1142_1021
; %bb.1020:                             ;   in Loop: Header=BB1142_979 Depth=2
	s_wait_dscnt 0x0
	v_bcnt_u32_b32 v90, v90, v175
	ds_store_b32 v177, v90 offset:1056
.LBB1142_1021:                          ;   in Loop: Header=BB1142_979 Depth=2
	s_or_b32 exec_lo, exec_lo, s15
	v_cmp_gt_i64_e32 vcc_lo, 0, v[70:71]
	; wave barrier
	v_cndmask_b32_e64 v91, 0x7fffffff, 0, vcc_lo
	s_delay_alu instid0(VALU_DEP_1) | instskip(NEXT) | instid1(VALU_DEP_1)
	v_dual_ashrrev_i32 v90, 31, v71 :: v_dual_bitop2_b32 v71, v91, v71 bitop3:0x14
	v_not_b32_e32 v90, v90
	s_delay_alu instid0(VALU_DEP_1) | instskip(NEXT) | instid1(VALU_DEP_1)
	v_xor_b32_e32 v70, v90, v70
	v_cmp_ne_u64_e32 vcc_lo, s[42:43], v[70:71]
	v_cndmask_b32_e32 v91, 0x7fffffff, v71, vcc_lo
	v_cndmask_b32_e32 v90, -1, v70, vcc_lo
	s_delay_alu instid0(VALU_DEP_1) | instskip(NEXT) | instid1(VALU_DEP_1)
	v_lshrrev_b64 v[90:91], s48, v[90:91]
	v_bitop3_b32 v91, v90, 1, s55 bitop3:0x80
	v_and_b32_e32 v92, s55, v90
	s_delay_alu instid0(VALU_DEP_2) | instskip(NEXT) | instid1(VALU_DEP_1)
	v_add_co_u32 v90, s15, v91, -1
	v_cndmask_b32_e64 v91, 0, 1, s15
	s_delay_alu instid0(VALU_DEP_3) | instskip(NEXT) | instid1(VALU_DEP_2)
	v_lshlrev_b32_e32 v93, 30, v92
	v_cmp_ne_u32_e32 vcc_lo, 0, v91
	s_delay_alu instid0(VALU_DEP_2) | instskip(SKIP_1) | instid1(VALU_DEP_2)
	v_not_b32_e32 v91, v93
	v_cmp_gt_i32_e64 s15, 0, v93
	v_dual_ashrrev_i32 v91, 31, v91 :: v_dual_lshlrev_b32 v94, 29, v92
	v_dual_lshlrev_b32 v95, 28, v92 :: v_dual_lshlrev_b32 v96, 27, v92
	v_dual_lshlrev_b32 v97, 26, v92 :: v_dual_lshlrev_b32 v178, 25, v92
	v_lshlrev_b32_e32 v179, 24, v92
	s_delay_alu instid0(VALU_DEP_4)
	v_cmp_gt_i32_e64 s16, 0, v94
	v_not_b32_e32 v93, v94
	v_not_b32_e32 v94, v95
	v_cmp_gt_i32_e64 s17, 0, v95
	v_cmp_gt_i32_e64 s18, 0, v96
	v_not_b32_e32 v95, v96
	v_not_b32_e32 v96, v97
	v_dual_ashrrev_i32 v93, 31, v93 :: v_dual_bitop2_b32 v90, vcc_lo, v90 bitop3:0x14
	v_dual_ashrrev_i32 v94, 31, v94 :: v_dual_bitop2_b32 v91, s15, v91 bitop3:0x14
	v_cmp_gt_i32_e64 s19, 0, v97
	v_cmp_gt_i32_e64 s20, 0, v178
	v_not_b32_e32 v97, v178
	v_not_b32_e32 v178, v179
	v_dual_ashrrev_i32 v95, 31, v95 :: v_dual_ashrrev_i32 v96, 31, v96
	v_xor_b32_e32 v93, s16, v93
	v_xor_b32_e32 v94, s17, v94
	v_bitop3_b32 v90, v90, v91, exec_lo bitop3:0x80
	v_cmp_gt_i32_e64 s21, 0, v179
	v_dual_ashrrev_i32 v91, 31, v97 :: v_dual_ashrrev_i32 v97, 31, v178
	v_xor_b32_e32 v95, s18, v95
	v_xor_b32_e32 v96, s19, v96
	v_bitop3_b32 v90, v90, v94, v93 bitop3:0x80
	v_mad_u32_u24 v93, v92, 36, v148
	v_xor_b32_e32 v91, s20, v91
	v_xor_b32_e32 v94, s21, v97
	s_delay_alu instid0(VALU_DEP_4) | instskip(SKIP_3) | instid1(VALU_DEP_2)
	v_bitop3_b32 v90, v90, v96, v95 bitop3:0x80
	ds_load_b32 v178, v93 offset:1056
	; wave barrier
	v_bitop3_b32 v90, v90, v94, v91 bitop3:0x80
	v_mul_u32_u24_e32 v91, 36, v92
	v_mbcnt_lo_u32_b32 v179, v90, 0
	v_cmp_ne_u32_e64 s15, 0, v90
	s_delay_alu instid0(VALU_DEP_3) | instskip(NEXT) | instid1(VALU_DEP_3)
	v_add_nc_u32_e32 v180, v148, v91
	v_cmp_eq_u32_e32 vcc_lo, 0, v179
	s_and_b32 s16, s15, vcc_lo
	s_delay_alu instid0(SALU_CYCLE_1)
	s_and_saveexec_b32 s15, s16
	s_cbranch_execz .LBB1142_1023
; %bb.1022:                             ;   in Loop: Header=BB1142_979 Depth=2
	s_wait_dscnt 0x0
	v_bcnt_u32_b32 v90, v90, v178
	ds_store_b32 v180, v90 offset:1056
.LBB1142_1023:                          ;   in Loop: Header=BB1142_979 Depth=2
	s_or_b32 exec_lo, exec_lo, s15
	v_cmp_gt_i64_e32 vcc_lo, 0, v[74:75]
	; wave barrier
	v_cndmask_b32_e64 v91, 0x7fffffff, 0, vcc_lo
	s_delay_alu instid0(VALU_DEP_1) | instskip(NEXT) | instid1(VALU_DEP_1)
	v_dual_ashrrev_i32 v90, 31, v75 :: v_dual_bitop2_b32 v75, v91, v75 bitop3:0x14
	v_not_b32_e32 v90, v90
	s_delay_alu instid0(VALU_DEP_1) | instskip(NEXT) | instid1(VALU_DEP_1)
	v_xor_b32_e32 v74, v90, v74
	v_cmp_ne_u64_e32 vcc_lo, s[42:43], v[74:75]
	v_cndmask_b32_e32 v91, 0x7fffffff, v75, vcc_lo
	v_cndmask_b32_e32 v90, -1, v74, vcc_lo
	s_delay_alu instid0(VALU_DEP_1) | instskip(NEXT) | instid1(VALU_DEP_1)
	v_lshrrev_b64 v[90:91], s48, v[90:91]
	v_bitop3_b32 v91, v90, 1, s55 bitop3:0x80
	v_and_b32_e32 v92, s55, v90
	s_delay_alu instid0(VALU_DEP_2) | instskip(NEXT) | instid1(VALU_DEP_1)
	v_add_co_u32 v90, s15, v91, -1
	v_cndmask_b32_e64 v91, 0, 1, s15
	s_delay_alu instid0(VALU_DEP_3) | instskip(NEXT) | instid1(VALU_DEP_2)
	v_lshlrev_b32_e32 v93, 30, v92
	v_cmp_ne_u32_e32 vcc_lo, 0, v91
	s_delay_alu instid0(VALU_DEP_2) | instskip(SKIP_1) | instid1(VALU_DEP_2)
	v_not_b32_e32 v91, v93
	v_cmp_gt_i32_e64 s15, 0, v93
	v_dual_ashrrev_i32 v91, 31, v91 :: v_dual_lshlrev_b32 v94, 29, v92
	v_dual_lshlrev_b32 v95, 28, v92 :: v_dual_lshlrev_b32 v96, 27, v92
	v_dual_lshlrev_b32 v97, 26, v92 :: v_dual_lshlrev_b32 v181, 25, v92
	v_lshlrev_b32_e32 v182, 24, v92
	s_delay_alu instid0(VALU_DEP_4)
	v_cmp_gt_i32_e64 s16, 0, v94
	v_not_b32_e32 v93, v94
	v_not_b32_e32 v94, v95
	v_cmp_gt_i32_e64 s17, 0, v95
	v_cmp_gt_i32_e64 s18, 0, v96
	v_not_b32_e32 v95, v96
	v_not_b32_e32 v96, v97
	v_dual_ashrrev_i32 v93, 31, v93 :: v_dual_bitop2_b32 v90, vcc_lo, v90 bitop3:0x14
	v_dual_ashrrev_i32 v94, 31, v94 :: v_dual_bitop2_b32 v91, s15, v91 bitop3:0x14
	v_cmp_gt_i32_e64 s19, 0, v97
	v_cmp_gt_i32_e64 s20, 0, v181
	v_not_b32_e32 v97, v181
	v_not_b32_e32 v181, v182
	v_dual_ashrrev_i32 v95, 31, v95 :: v_dual_ashrrev_i32 v96, 31, v96
	v_xor_b32_e32 v93, s16, v93
	v_xor_b32_e32 v94, s17, v94
	v_bitop3_b32 v90, v90, v91, exec_lo bitop3:0x80
	v_cmp_gt_i32_e64 s21, 0, v182
	v_ashrrev_i32_e32 v91, 31, v97
	v_dual_ashrrev_i32 v97, 31, v181 :: v_dual_bitop2_b32 v95, s18, v95 bitop3:0x14
	v_xor_b32_e32 v96, s19, v96
	v_bitop3_b32 v90, v90, v94, v93 bitop3:0x80
	v_mad_u32_u24 v93, v92, 36, v148
	v_xor_b32_e32 v91, s20, v91
	v_xor_b32_e32 v94, s21, v97
	s_delay_alu instid0(VALU_DEP_4) | instskip(SKIP_3) | instid1(VALU_DEP_2)
	v_bitop3_b32 v90, v90, v96, v95 bitop3:0x80
	ds_load_b32 v181, v93 offset:1056
	; wave barrier
	v_bitop3_b32 v90, v90, v94, v91 bitop3:0x80
	v_mul_u32_u24_e32 v91, 36, v92
	v_mbcnt_lo_u32_b32 v182, v90, 0
	v_cmp_ne_u32_e64 s15, 0, v90
	s_delay_alu instid0(VALU_DEP_3) | instskip(NEXT) | instid1(VALU_DEP_3)
	v_add_nc_u32_e32 v183, v148, v91
	v_cmp_eq_u32_e32 vcc_lo, 0, v182
	s_and_b32 s16, s15, vcc_lo
	s_delay_alu instid0(SALU_CYCLE_1)
	s_and_saveexec_b32 s15, s16
	s_cbranch_execz .LBB1142_1025
; %bb.1024:                             ;   in Loop: Header=BB1142_979 Depth=2
	s_wait_dscnt 0x0
	v_bcnt_u32_b32 v90, v90, v181
	ds_store_b32 v183, v90 offset:1056
.LBB1142_1025:                          ;   in Loop: Header=BB1142_979 Depth=2
	s_or_b32 exec_lo, exec_lo, s15
	v_cmp_gt_i64_e32 vcc_lo, 0, v[78:79]
	; wave barrier
	v_cndmask_b32_e64 v91, 0x7fffffff, 0, vcc_lo
	s_delay_alu instid0(VALU_DEP_1) | instskip(NEXT) | instid1(VALU_DEP_1)
	v_dual_ashrrev_i32 v90, 31, v79 :: v_dual_bitop2_b32 v79, v91, v79 bitop3:0x14
	v_not_b32_e32 v90, v90
	s_delay_alu instid0(VALU_DEP_1) | instskip(NEXT) | instid1(VALU_DEP_1)
	v_xor_b32_e32 v78, v90, v78
	v_cmp_ne_u64_e32 vcc_lo, s[42:43], v[78:79]
	v_cndmask_b32_e32 v91, 0x7fffffff, v79, vcc_lo
	v_cndmask_b32_e32 v90, -1, v78, vcc_lo
	s_delay_alu instid0(VALU_DEP_1) | instskip(NEXT) | instid1(VALU_DEP_1)
	v_lshrrev_b64 v[90:91], s48, v[90:91]
	v_bitop3_b32 v91, v90, 1, s55 bitop3:0x80
	v_and_b32_e32 v92, s55, v90
	s_delay_alu instid0(VALU_DEP_2) | instskip(NEXT) | instid1(VALU_DEP_1)
	v_add_co_u32 v90, s15, v91, -1
	v_cndmask_b32_e64 v91, 0, 1, s15
	s_delay_alu instid0(VALU_DEP_3) | instskip(NEXT) | instid1(VALU_DEP_2)
	v_lshlrev_b32_e32 v93, 30, v92
	v_cmp_ne_u32_e32 vcc_lo, 0, v91
	s_delay_alu instid0(VALU_DEP_2) | instskip(SKIP_1) | instid1(VALU_DEP_2)
	v_not_b32_e32 v91, v93
	v_cmp_gt_i32_e64 s15, 0, v93
	v_dual_ashrrev_i32 v91, 31, v91 :: v_dual_lshlrev_b32 v94, 29, v92
	v_dual_lshlrev_b32 v95, 28, v92 :: v_dual_lshlrev_b32 v96, 27, v92
	v_dual_lshlrev_b32 v97, 26, v92 :: v_dual_lshlrev_b32 v184, 25, v92
	v_lshlrev_b32_e32 v185, 24, v92
	s_delay_alu instid0(VALU_DEP_4)
	v_cmp_gt_i32_e64 s16, 0, v94
	v_not_b32_e32 v93, v94
	v_not_b32_e32 v94, v95
	v_cmp_gt_i32_e64 s17, 0, v95
	v_cmp_gt_i32_e64 s18, 0, v96
	v_not_b32_e32 v95, v96
	v_not_b32_e32 v96, v97
	v_dual_ashrrev_i32 v93, 31, v93 :: v_dual_bitop2_b32 v90, vcc_lo, v90 bitop3:0x14
	v_dual_ashrrev_i32 v94, 31, v94 :: v_dual_bitop2_b32 v91, s15, v91 bitop3:0x14
	v_cmp_gt_i32_e64 s19, 0, v97
	v_cmp_gt_i32_e64 s20, 0, v184
	v_not_b32_e32 v97, v184
	v_not_b32_e32 v184, v185
	v_dual_ashrrev_i32 v95, 31, v95 :: v_dual_ashrrev_i32 v96, 31, v96
	v_xor_b32_e32 v93, s16, v93
	v_xor_b32_e32 v94, s17, v94
	v_bitop3_b32 v90, v90, v91, exec_lo bitop3:0x80
	v_cmp_gt_i32_e64 s21, 0, v185
	v_dual_ashrrev_i32 v91, 31, v97 :: v_dual_ashrrev_i32 v97, 31, v184
	v_xor_b32_e32 v95, s18, v95
	v_xor_b32_e32 v96, s19, v96
	v_bitop3_b32 v90, v90, v94, v93 bitop3:0x80
	v_mad_u32_u24 v93, v92, 36, v148
	v_xor_b32_e32 v91, s20, v91
	v_xor_b32_e32 v94, s21, v97
	s_delay_alu instid0(VALU_DEP_4) | instskip(SKIP_3) | instid1(VALU_DEP_2)
	v_bitop3_b32 v90, v90, v96, v95 bitop3:0x80
	ds_load_b32 v184, v93 offset:1056
	; wave barrier
	v_bitop3_b32 v90, v90, v94, v91 bitop3:0x80
	v_mul_u32_u24_e32 v91, 36, v92
	v_mbcnt_lo_u32_b32 v185, v90, 0
	v_cmp_ne_u32_e64 s15, 0, v90
	s_delay_alu instid0(VALU_DEP_3) | instskip(NEXT) | instid1(VALU_DEP_3)
	v_add_nc_u32_e32 v186, v148, v91
	v_cmp_eq_u32_e32 vcc_lo, 0, v185
	s_and_b32 s16, s15, vcc_lo
	s_delay_alu instid0(SALU_CYCLE_1)
	s_and_saveexec_b32 s15, s16
	s_cbranch_execz .LBB1142_1027
; %bb.1026:                             ;   in Loop: Header=BB1142_979 Depth=2
	s_wait_dscnt 0x0
	v_bcnt_u32_b32 v90, v90, v184
	ds_store_b32 v186, v90 offset:1056
.LBB1142_1027:                          ;   in Loop: Header=BB1142_979 Depth=2
	s_or_b32 exec_lo, exec_lo, s15
	v_cmp_gt_i64_e32 vcc_lo, 0, v[82:83]
	; wave barrier
	v_cndmask_b32_e64 v91, 0x7fffffff, 0, vcc_lo
	s_delay_alu instid0(VALU_DEP_1) | instskip(NEXT) | instid1(VALU_DEP_1)
	v_dual_ashrrev_i32 v90, 31, v83 :: v_dual_bitop2_b32 v83, v91, v83 bitop3:0x14
	v_not_b32_e32 v90, v90
	s_delay_alu instid0(VALU_DEP_1) | instskip(NEXT) | instid1(VALU_DEP_1)
	v_xor_b32_e32 v82, v90, v82
	v_cmp_ne_u64_e32 vcc_lo, s[42:43], v[82:83]
	v_cndmask_b32_e32 v91, 0x7fffffff, v83, vcc_lo
	v_cndmask_b32_e32 v90, -1, v82, vcc_lo
	s_delay_alu instid0(VALU_DEP_1) | instskip(NEXT) | instid1(VALU_DEP_1)
	v_lshrrev_b64 v[90:91], s48, v[90:91]
	v_bitop3_b32 v91, v90, 1, s55 bitop3:0x80
	v_and_b32_e32 v92, s55, v90
	s_delay_alu instid0(VALU_DEP_2) | instskip(NEXT) | instid1(VALU_DEP_1)
	v_add_co_u32 v90, s15, v91, -1
	v_cndmask_b32_e64 v91, 0, 1, s15
	s_delay_alu instid0(VALU_DEP_3) | instskip(NEXT) | instid1(VALU_DEP_2)
	v_lshlrev_b32_e32 v93, 30, v92
	v_cmp_ne_u32_e32 vcc_lo, 0, v91
	s_delay_alu instid0(VALU_DEP_2) | instskip(SKIP_1) | instid1(VALU_DEP_2)
	v_not_b32_e32 v91, v93
	v_cmp_gt_i32_e64 s15, 0, v93
	v_dual_ashrrev_i32 v91, 31, v91 :: v_dual_lshlrev_b32 v94, 29, v92
	v_dual_lshlrev_b32 v95, 28, v92 :: v_dual_lshlrev_b32 v96, 27, v92
	v_dual_lshlrev_b32 v97, 26, v92 :: v_dual_lshlrev_b32 v187, 25, v92
	v_lshlrev_b32_e32 v188, 24, v92
	s_delay_alu instid0(VALU_DEP_4)
	v_cmp_gt_i32_e64 s16, 0, v94
	v_not_b32_e32 v93, v94
	v_not_b32_e32 v94, v95
	v_cmp_gt_i32_e64 s17, 0, v95
	v_cmp_gt_i32_e64 s18, 0, v96
	v_not_b32_e32 v95, v96
	v_not_b32_e32 v96, v97
	v_dual_ashrrev_i32 v93, 31, v93 :: v_dual_bitop2_b32 v90, vcc_lo, v90 bitop3:0x14
	v_dual_ashrrev_i32 v94, 31, v94 :: v_dual_bitop2_b32 v91, s15, v91 bitop3:0x14
	v_cmp_gt_i32_e64 s19, 0, v97
	v_cmp_gt_i32_e64 s20, 0, v187
	v_not_b32_e32 v97, v187
	v_not_b32_e32 v187, v188
	v_dual_ashrrev_i32 v95, 31, v95 :: v_dual_ashrrev_i32 v96, 31, v96
	v_xor_b32_e32 v93, s16, v93
	v_xor_b32_e32 v94, s17, v94
	v_bitop3_b32 v90, v90, v91, exec_lo bitop3:0x80
	v_cmp_gt_i32_e64 s21, 0, v188
	v_dual_ashrrev_i32 v91, 31, v97 :: v_dual_ashrrev_i32 v97, 31, v187
	v_xor_b32_e32 v95, s18, v95
	v_xor_b32_e32 v96, s19, v96
	v_bitop3_b32 v90, v90, v94, v93 bitop3:0x80
	v_mad_u32_u24 v93, v92, 36, v148
	v_xor_b32_e32 v91, s20, v91
	v_xor_b32_e32 v94, s21, v97
	s_delay_alu instid0(VALU_DEP_4) | instskip(SKIP_3) | instid1(VALU_DEP_2)
	v_bitop3_b32 v90, v90, v96, v95 bitop3:0x80
	ds_load_b32 v187, v93 offset:1056
	; wave barrier
	v_bitop3_b32 v90, v90, v94, v91 bitop3:0x80
	v_mul_u32_u24_e32 v91, 36, v92
	v_mbcnt_lo_u32_b32 v188, v90, 0
	v_cmp_ne_u32_e64 s15, 0, v90
	s_delay_alu instid0(VALU_DEP_3) | instskip(NEXT) | instid1(VALU_DEP_3)
	v_add_nc_u32_e32 v189, v148, v91
	v_cmp_eq_u32_e32 vcc_lo, 0, v188
	s_and_b32 s16, s15, vcc_lo
	s_delay_alu instid0(SALU_CYCLE_1)
	s_and_saveexec_b32 s15, s16
	s_cbranch_execz .LBB1142_1029
; %bb.1028:                             ;   in Loop: Header=BB1142_979 Depth=2
	s_wait_dscnt 0x0
	v_bcnt_u32_b32 v90, v90, v187
	ds_store_b32 v189, v90 offset:1056
.LBB1142_1029:                          ;   in Loop: Header=BB1142_979 Depth=2
	s_or_b32 exec_lo, exec_lo, s15
	v_cmp_gt_i64_e32 vcc_lo, 0, v[86:87]
	; wave barrier
	v_cndmask_b32_e64 v91, 0x7fffffff, 0, vcc_lo
	s_delay_alu instid0(VALU_DEP_1) | instskip(NEXT) | instid1(VALU_DEP_1)
	v_dual_ashrrev_i32 v90, 31, v87 :: v_dual_bitop2_b32 v87, v91, v87 bitop3:0x14
	v_not_b32_e32 v90, v90
	s_delay_alu instid0(VALU_DEP_1) | instskip(NEXT) | instid1(VALU_DEP_1)
	v_xor_b32_e32 v86, v90, v86
	v_cmp_ne_u64_e32 vcc_lo, s[42:43], v[86:87]
	v_cndmask_b32_e32 v91, 0x7fffffff, v87, vcc_lo
	v_cndmask_b32_e32 v90, -1, v86, vcc_lo
	s_delay_alu instid0(VALU_DEP_1) | instskip(NEXT) | instid1(VALU_DEP_1)
	v_lshrrev_b64 v[90:91], s48, v[90:91]
	v_bitop3_b32 v91, v90, 1, s55 bitop3:0x80
	v_and_b32_e32 v92, s55, v90
	s_delay_alu instid0(VALU_DEP_2) | instskip(NEXT) | instid1(VALU_DEP_1)
	v_add_co_u32 v90, s15, v91, -1
	v_cndmask_b32_e64 v91, 0, 1, s15
	s_delay_alu instid0(VALU_DEP_3) | instskip(NEXT) | instid1(VALU_DEP_2)
	v_lshlrev_b32_e32 v93, 30, v92
	v_cmp_ne_u32_e32 vcc_lo, 0, v91
	s_delay_alu instid0(VALU_DEP_2) | instskip(SKIP_1) | instid1(VALU_DEP_2)
	v_not_b32_e32 v91, v93
	v_cmp_gt_i32_e64 s15, 0, v93
	v_dual_ashrrev_i32 v91, 31, v91 :: v_dual_lshlrev_b32 v94, 29, v92
	v_dual_lshlrev_b32 v95, 28, v92 :: v_dual_lshlrev_b32 v96, 27, v92
	v_dual_lshlrev_b32 v97, 26, v92 :: v_dual_lshlrev_b32 v190, 25, v92
	v_lshlrev_b32_e32 v191, 24, v92
	s_delay_alu instid0(VALU_DEP_4)
	v_cmp_gt_i32_e64 s16, 0, v94
	v_not_b32_e32 v93, v94
	v_not_b32_e32 v94, v95
	v_cmp_gt_i32_e64 s17, 0, v95
	v_cmp_gt_i32_e64 s18, 0, v96
	v_not_b32_e32 v95, v96
	v_not_b32_e32 v96, v97
	v_dual_ashrrev_i32 v93, 31, v93 :: v_dual_bitop2_b32 v90, vcc_lo, v90 bitop3:0x14
	v_dual_ashrrev_i32 v94, 31, v94 :: v_dual_bitop2_b32 v91, s15, v91 bitop3:0x14
	v_cmp_gt_i32_e64 s19, 0, v97
	v_cmp_gt_i32_e64 s20, 0, v190
	v_not_b32_e32 v97, v190
	v_not_b32_e32 v190, v191
	v_dual_ashrrev_i32 v95, 31, v95 :: v_dual_ashrrev_i32 v96, 31, v96
	v_xor_b32_e32 v93, s16, v93
	v_xor_b32_e32 v94, s17, v94
	v_bitop3_b32 v90, v90, v91, exec_lo bitop3:0x80
	v_cmp_gt_i32_e64 s21, 0, v191
	v_dual_ashrrev_i32 v91, 31, v97 :: v_dual_ashrrev_i32 v97, 31, v190
	v_xor_b32_e32 v95, s18, v95
	v_xor_b32_e32 v96, s19, v96
	v_bitop3_b32 v90, v90, v94, v93 bitop3:0x80
	v_mad_u32_u24 v93, v92, 36, v148
	v_xor_b32_e32 v91, s20, v91
	v_xor_b32_e32 v94, s21, v97
	s_delay_alu instid0(VALU_DEP_4) | instskip(SKIP_3) | instid1(VALU_DEP_2)
	v_bitop3_b32 v90, v90, v96, v95 bitop3:0x80
	ds_load_b32 v190, v93 offset:1056
	; wave barrier
	v_bitop3_b32 v90, v90, v94, v91 bitop3:0x80
	v_mul_u32_u24_e32 v91, 36, v92
	v_mbcnt_lo_u32_b32 v191, v90, 0
	v_cmp_ne_u32_e64 s15, 0, v90
	s_delay_alu instid0(VALU_DEP_3) | instskip(NEXT) | instid1(VALU_DEP_3)
	v_add_nc_u32_e32 v192, v148, v91
	v_cmp_eq_u32_e32 vcc_lo, 0, v191
	s_and_b32 s16, s15, vcc_lo
	s_delay_alu instid0(SALU_CYCLE_1)
	s_and_saveexec_b32 s15, s16
	s_cbranch_execz .LBB1142_1031
; %bb.1030:                             ;   in Loop: Header=BB1142_979 Depth=2
	s_wait_dscnt 0x0
	v_bcnt_u32_b32 v90, v90, v190
	ds_store_b32 v192, v90 offset:1056
.LBB1142_1031:                          ;   in Loop: Header=BB1142_979 Depth=2
	s_or_b32 exec_lo, exec_lo, s15
	v_cmp_gt_i64_e32 vcc_lo, 0, v[88:89]
	; wave barrier
	v_cndmask_b32_e64 v91, 0x7fffffff, 0, vcc_lo
	s_delay_alu instid0(VALU_DEP_1) | instskip(NEXT) | instid1(VALU_DEP_1)
	v_dual_ashrrev_i32 v90, 31, v89 :: v_dual_bitop2_b32 v89, v91, v89 bitop3:0x14
	v_not_b32_e32 v90, v90
	s_delay_alu instid0(VALU_DEP_1) | instskip(NEXT) | instid1(VALU_DEP_1)
	v_xor_b32_e32 v88, v90, v88
	v_cmp_ne_u64_e32 vcc_lo, s[42:43], v[88:89]
	v_cndmask_b32_e32 v91, 0x7fffffff, v89, vcc_lo
	v_cndmask_b32_e32 v90, -1, v88, vcc_lo
	s_delay_alu instid0(VALU_DEP_1) | instskip(NEXT) | instid1(VALU_DEP_1)
	v_lshrrev_b64 v[90:91], s48, v[90:91]
	v_and_b32_e32 v92, s55, v90
	v_bitop3_b32 v91, v90, 1, s55 bitop3:0x80
	s_delay_alu instid0(VALU_DEP_2) | instskip(NEXT) | instid1(VALU_DEP_2)
	v_lshlrev_b32_e32 v95, 27, v92
	v_add_co_u32 v90, s15, v91, -1
	s_delay_alu instid0(VALU_DEP_1) | instskip(NEXT) | instid1(VALU_DEP_3)
	v_cndmask_b32_e64 v194, 0, 1, s15
	v_cmp_gt_i32_e64 s17, 0, v95
	v_not_b32_e32 v95, v95
	s_delay_alu instid0(VALU_DEP_3) | instskip(NEXT) | instid1(VALU_DEP_2)
	v_cmp_ne_u32_e64 s21, 0, v194
	v_dual_ashrrev_i32 v95, 31, v95 :: v_dual_lshlrev_b32 v91, 30, v92
	v_dual_lshlrev_b32 v93, 29, v92 :: v_dual_lshlrev_b32 v94, 28, v92
	v_dual_lshlrev_b32 v96, 26, v92 :: v_dual_lshlrev_b32 v97, 25, v92
	v_lshlrev_b32_e32 v193, 24, v92
	s_delay_alu instid0(VALU_DEP_4)
	v_cmp_gt_i32_e32 vcc_lo, 0, v91
	v_not_b32_e32 v91, v91
	v_cmp_gt_i32_e64 s15, 0, v93
	v_not_b32_e32 v93, v93
	v_cmp_gt_i32_e64 s16, 0, v94
	v_not_b32_e32 v94, v94
	v_ashrrev_i32_e32 v91, 31, v91
	v_cmp_gt_i32_e64 s18, 0, v96
	v_not_b32_e32 v96, v96
	s_delay_alu instid0(VALU_DEP_4) | instskip(NEXT) | instid1(VALU_DEP_4)
	v_dual_ashrrev_i32 v93, 31, v93 :: v_dual_ashrrev_i32 v94, 31, v94
	v_xor_b32_e32 v91, vcc_lo, v91
	s_delay_alu instid0(VALU_DEP_3)
	v_dual_ashrrev_i32 v96, 31, v96 :: v_dual_bitop2_b32 v90, s21, v90 bitop3:0x14
	v_cmp_gt_i32_e64 s19, 0, v97
	v_not_b32_e32 v97, v97
	v_cmp_gt_i32_e64 s20, 0, v193
	v_not_b32_e32 v193, v193
	v_xor_b32_e32 v93, s15, v93
	v_xor_b32_e32 v94, s16, v94
	v_bitop3_b32 v90, v90, v91, exec_lo bitop3:0x80
	v_ashrrev_i32_e32 v91, 31, v97
	v_dual_ashrrev_i32 v97, 31, v193 :: v_dual_bitop2_b32 v95, s17, v95 bitop3:0x14
	v_xor_b32_e32 v96, s18, v96
	s_delay_alu instid0(VALU_DEP_4) | instskip(SKIP_3) | instid1(VALU_DEP_4)
	v_bitop3_b32 v90, v90, v94, v93 bitop3:0x80
	v_mad_u32_u24 v93, v92, 36, v148
	v_xor_b32_e32 v91, s19, v91
	v_xor_b32_e32 v94, s20, v97
	v_bitop3_b32 v90, v90, v96, v95 bitop3:0x80
	ds_load_b32 v193, v93 offset:1056
	; wave barrier
	v_bitop3_b32 v90, v90, v94, v91 bitop3:0x80
	v_mul_u32_u24_e32 v91, 36, v92
	s_delay_alu instid0(VALU_DEP_2) | instskip(SKIP_1) | instid1(VALU_DEP_3)
	v_mbcnt_lo_u32_b32 v194, v90, 0
	v_cmp_ne_u32_e64 s15, 0, v90
	v_add_nc_u32_e32 v195, v148, v91
	s_delay_alu instid0(VALU_DEP_3) | instskip(SKIP_1) | instid1(SALU_CYCLE_1)
	v_cmp_eq_u32_e32 vcc_lo, 0, v194
	s_and_b32 s16, s15, vcc_lo
	s_and_saveexec_b32 s15, s16
	s_cbranch_execz .LBB1142_1033
; %bb.1032:                             ;   in Loop: Header=BB1142_979 Depth=2
	s_wait_dscnt 0x0
	v_bcnt_u32_b32 v90, v90, v193
	ds_store_b32 v195, v90 offset:1056
.LBB1142_1033:                          ;   in Loop: Header=BB1142_979 Depth=2
	s_or_b32 exec_lo, exec_lo, s15
	v_cmp_gt_i64_e32 vcc_lo, 0, v[84:85]
	; wave barrier
	v_cndmask_b32_e64 v91, 0x7fffffff, 0, vcc_lo
	s_delay_alu instid0(VALU_DEP_1) | instskip(NEXT) | instid1(VALU_DEP_1)
	v_dual_ashrrev_i32 v90, 31, v85 :: v_dual_bitop2_b32 v85, v91, v85 bitop3:0x14
	v_not_b32_e32 v90, v90
	s_delay_alu instid0(VALU_DEP_1) | instskip(NEXT) | instid1(VALU_DEP_1)
	v_xor_b32_e32 v84, v90, v84
	v_cmp_ne_u64_e32 vcc_lo, s[42:43], v[84:85]
	v_cndmask_b32_e32 v91, 0x7fffffff, v85, vcc_lo
	v_cndmask_b32_e32 v90, -1, v84, vcc_lo
	s_delay_alu instid0(VALU_DEP_1) | instskip(NEXT) | instid1(VALU_DEP_1)
	v_lshrrev_b64 v[90:91], s48, v[90:91]
	v_bitop3_b32 v91, v90, 1, s55 bitop3:0x80
	v_and_b32_e32 v92, s55, v90
	s_delay_alu instid0(VALU_DEP_2) | instskip(NEXT) | instid1(VALU_DEP_1)
	v_add_co_u32 v90, s15, v91, -1
	v_cndmask_b32_e64 v91, 0, 1, s15
	s_delay_alu instid0(VALU_DEP_3) | instskip(SKIP_1) | instid1(VALU_DEP_3)
	v_dual_lshlrev_b32 v93, 30, v92 :: v_dual_lshlrev_b32 v95, 28, v92
	v_dual_lshlrev_b32 v94, 29, v92 :: v_dual_lshlrev_b32 v96, 27, v92
	v_cmp_ne_u32_e32 vcc_lo, 0, v91
	s_delay_alu instid0(VALU_DEP_3) | instskip(SKIP_1) | instid1(VALU_DEP_4)
	v_cmp_gt_i32_e64 s15, 0, v93
	v_not_b32_e32 v91, v93
	v_cmp_gt_i32_e64 s16, 0, v94
	v_not_b32_e32 v93, v94
	;; [unrolled: 2-line block ×3, first 2 shown]
	v_not_b32_e32 v95, v96
	s_delay_alu instid0(VALU_DEP_4) | instskip(NEXT) | instid1(VALU_DEP_2)
	v_dual_ashrrev_i32 v91, 31, v91 :: v_dual_ashrrev_i32 v93, 31, v93
	v_dual_ashrrev_i32 v94, 31, v94 :: v_dual_ashrrev_i32 v95, 31, v95
	v_dual_lshlrev_b32 v97, 26, v92 :: v_dual_lshlrev_b32 v196, 25, v92
	v_lshlrev_b32_e32 v197, 24, v92
	v_cmp_gt_i32_e64 s18, 0, v96
	v_xor_b32_e32 v91, s15, v91
	s_delay_alu instid0(VALU_DEP_4)
	v_not_b32_e32 v96, v97
	v_xor_b32_e32 v90, vcc_lo, v90
	v_cmp_gt_i32_e64 s19, 0, v97
	v_cmp_gt_i32_e64 s20, 0, v196
	v_not_b32_e32 v97, v196
	v_not_b32_e32 v196, v197
	v_dual_ashrrev_i32 v96, 31, v96 :: v_dual_bitop2_b32 v93, s16, v93 bitop3:0x14
	v_xor_b32_e32 v94, s17, v94
	v_bitop3_b32 v90, v90, v91, exec_lo bitop3:0x80
	v_cmp_gt_i32_e64 s21, 0, v197
	v_dual_ashrrev_i32 v91, 31, v97 :: v_dual_ashrrev_i32 v97, 31, v196
	v_xor_b32_e32 v95, s18, v95
	v_xor_b32_e32 v96, s19, v96
	v_bitop3_b32 v90, v90, v94, v93 bitop3:0x80
	v_mad_u32_u24 v93, v92, 36, v148
	v_xor_b32_e32 v91, s20, v91
	v_xor_b32_e32 v94, s21, v97
	s_delay_alu instid0(VALU_DEP_4) | instskip(SKIP_3) | instid1(VALU_DEP_2)
	v_bitop3_b32 v90, v90, v96, v95 bitop3:0x80
	ds_load_b32 v196, v93 offset:1056
	; wave barrier
	v_bitop3_b32 v90, v90, v94, v91 bitop3:0x80
	v_mul_u32_u24_e32 v91, 36, v92
	v_mbcnt_lo_u32_b32 v197, v90, 0
	v_cmp_ne_u32_e64 s15, 0, v90
	s_delay_alu instid0(VALU_DEP_3) | instskip(NEXT) | instid1(VALU_DEP_3)
	v_add_nc_u32_e32 v198, v148, v91
	v_cmp_eq_u32_e32 vcc_lo, 0, v197
	s_and_b32 s16, s15, vcc_lo
	s_delay_alu instid0(SALU_CYCLE_1)
	s_and_saveexec_b32 s15, s16
	s_cbranch_execz .LBB1142_1035
; %bb.1034:                             ;   in Loop: Header=BB1142_979 Depth=2
	s_wait_dscnt 0x0
	v_bcnt_u32_b32 v90, v90, v196
	ds_store_b32 v198, v90 offset:1056
.LBB1142_1035:                          ;   in Loop: Header=BB1142_979 Depth=2
	s_or_b32 exec_lo, exec_lo, s15
	v_cmp_gt_i64_e32 vcc_lo, 0, v[80:81]
	; wave barrier
	v_cndmask_b32_e64 v91, 0x7fffffff, 0, vcc_lo
	s_delay_alu instid0(VALU_DEP_1) | instskip(NEXT) | instid1(VALU_DEP_1)
	v_dual_ashrrev_i32 v90, 31, v81 :: v_dual_bitop2_b32 v81, v91, v81 bitop3:0x14
	v_not_b32_e32 v90, v90
	s_delay_alu instid0(VALU_DEP_1) | instskip(NEXT) | instid1(VALU_DEP_1)
	v_xor_b32_e32 v80, v90, v80
	v_cmp_ne_u64_e32 vcc_lo, s[42:43], v[80:81]
	v_cndmask_b32_e32 v91, 0x7fffffff, v81, vcc_lo
	v_cndmask_b32_e32 v90, -1, v80, vcc_lo
	s_delay_alu instid0(VALU_DEP_1) | instskip(NEXT) | instid1(VALU_DEP_1)
	v_lshrrev_b64 v[90:91], s48, v[90:91]
	v_bitop3_b32 v91, v90, 1, s55 bitop3:0x80
	v_and_b32_e32 v92, s55, v90
	s_delay_alu instid0(VALU_DEP_2) | instskip(NEXT) | instid1(VALU_DEP_1)
	v_add_co_u32 v90, s15, v91, -1
	v_cndmask_b32_e64 v91, 0, 1, s15
	s_delay_alu instid0(VALU_DEP_3) | instskip(SKIP_1) | instid1(VALU_DEP_3)
	v_dual_lshlrev_b32 v93, 30, v92 :: v_dual_lshlrev_b32 v95, 28, v92
	v_dual_lshlrev_b32 v94, 29, v92 :: v_dual_lshlrev_b32 v96, 27, v92
	v_cmp_ne_u32_e32 vcc_lo, 0, v91
	s_delay_alu instid0(VALU_DEP_3) | instskip(SKIP_1) | instid1(VALU_DEP_4)
	v_cmp_gt_i32_e64 s15, 0, v93
	v_not_b32_e32 v91, v93
	v_cmp_gt_i32_e64 s16, 0, v94
	v_not_b32_e32 v93, v94
	v_cmp_gt_i32_e64 s17, 0, v95
	v_not_b32_e32 v94, v95
	v_not_b32_e32 v95, v96
	s_delay_alu instid0(VALU_DEP_4) | instskip(NEXT) | instid1(VALU_DEP_2)
	v_dual_ashrrev_i32 v91, 31, v91 :: v_dual_ashrrev_i32 v93, 31, v93
	v_dual_ashrrev_i32 v94, 31, v94 :: v_dual_ashrrev_i32 v95, 31, v95
	v_dual_lshlrev_b32 v97, 26, v92 :: v_dual_lshlrev_b32 v199, 25, v92
	v_lshlrev_b32_e32 v200, 24, v92
	v_cmp_gt_i32_e64 s18, 0, v96
	v_xor_b32_e32 v91, s15, v91
	s_delay_alu instid0(VALU_DEP_4)
	v_not_b32_e32 v96, v97
	v_xor_b32_e32 v90, vcc_lo, v90
	v_cmp_gt_i32_e64 s19, 0, v97
	v_cmp_gt_i32_e64 s20, 0, v199
	v_not_b32_e32 v97, v199
	v_not_b32_e32 v199, v200
	v_dual_ashrrev_i32 v96, 31, v96 :: v_dual_bitop2_b32 v93, s16, v93 bitop3:0x14
	v_xor_b32_e32 v94, s17, v94
	v_bitop3_b32 v90, v90, v91, exec_lo bitop3:0x80
	v_cmp_gt_i32_e64 s21, 0, v200
	v_dual_ashrrev_i32 v91, 31, v97 :: v_dual_ashrrev_i32 v97, 31, v199
	v_xor_b32_e32 v95, s18, v95
	v_xor_b32_e32 v96, s19, v96
	v_bitop3_b32 v90, v90, v94, v93 bitop3:0x80
	v_mad_u32_u24 v93, v92, 36, v148
	v_xor_b32_e32 v91, s20, v91
	v_xor_b32_e32 v94, s21, v97
	s_delay_alu instid0(VALU_DEP_4) | instskip(SKIP_3) | instid1(VALU_DEP_2)
	v_bitop3_b32 v90, v90, v96, v95 bitop3:0x80
	ds_load_b32 v199, v93 offset:1056
	; wave barrier
	v_bitop3_b32 v90, v90, v94, v91 bitop3:0x80
	v_mul_u32_u24_e32 v91, 36, v92
	v_mbcnt_lo_u32_b32 v200, v90, 0
	v_cmp_ne_u32_e64 s15, 0, v90
	s_delay_alu instid0(VALU_DEP_3) | instskip(NEXT) | instid1(VALU_DEP_3)
	v_add_nc_u32_e32 v201, v148, v91
	v_cmp_eq_u32_e32 vcc_lo, 0, v200
	s_and_b32 s16, s15, vcc_lo
	s_delay_alu instid0(SALU_CYCLE_1)
	s_and_saveexec_b32 s15, s16
	s_cbranch_execz .LBB1142_1037
; %bb.1036:                             ;   in Loop: Header=BB1142_979 Depth=2
	s_wait_dscnt 0x0
	v_bcnt_u32_b32 v90, v90, v199
	ds_store_b32 v201, v90 offset:1056
.LBB1142_1037:                          ;   in Loop: Header=BB1142_979 Depth=2
	s_or_b32 exec_lo, exec_lo, s15
	v_cmp_gt_i64_e32 vcc_lo, 0, v[76:77]
	; wave barrier
	v_cndmask_b32_e64 v91, 0x7fffffff, 0, vcc_lo
	s_delay_alu instid0(VALU_DEP_1) | instskip(NEXT) | instid1(VALU_DEP_1)
	v_dual_ashrrev_i32 v90, 31, v77 :: v_dual_bitop2_b32 v77, v91, v77 bitop3:0x14
	v_not_b32_e32 v90, v90
	s_delay_alu instid0(VALU_DEP_1) | instskip(NEXT) | instid1(VALU_DEP_1)
	v_xor_b32_e32 v76, v90, v76
	v_cmp_ne_u64_e32 vcc_lo, s[42:43], v[76:77]
	v_cndmask_b32_e32 v91, 0x7fffffff, v77, vcc_lo
	v_cndmask_b32_e32 v90, -1, v76, vcc_lo
	s_delay_alu instid0(VALU_DEP_1) | instskip(NEXT) | instid1(VALU_DEP_1)
	v_lshrrev_b64 v[90:91], s48, v[90:91]
	v_bitop3_b32 v91, v90, 1, s55 bitop3:0x80
	v_and_b32_e32 v92, s55, v90
	s_delay_alu instid0(VALU_DEP_2) | instskip(NEXT) | instid1(VALU_DEP_1)
	v_add_co_u32 v90, s15, v91, -1
	v_cndmask_b32_e64 v91, 0, 1, s15
	s_delay_alu instid0(VALU_DEP_3) | instskip(SKIP_1) | instid1(VALU_DEP_3)
	v_dual_lshlrev_b32 v93, 30, v92 :: v_dual_lshlrev_b32 v95, 28, v92
	v_dual_lshlrev_b32 v94, 29, v92 :: v_dual_lshlrev_b32 v96, 27, v92
	v_cmp_ne_u32_e32 vcc_lo, 0, v91
	s_delay_alu instid0(VALU_DEP_3) | instskip(SKIP_1) | instid1(VALU_DEP_4)
	v_cmp_gt_i32_e64 s15, 0, v93
	v_not_b32_e32 v91, v93
	v_cmp_gt_i32_e64 s16, 0, v94
	v_not_b32_e32 v93, v94
	;; [unrolled: 2-line block ×3, first 2 shown]
	v_not_b32_e32 v95, v96
	s_delay_alu instid0(VALU_DEP_4) | instskip(NEXT) | instid1(VALU_DEP_2)
	v_dual_ashrrev_i32 v91, 31, v91 :: v_dual_ashrrev_i32 v93, 31, v93
	v_dual_ashrrev_i32 v94, 31, v94 :: v_dual_ashrrev_i32 v95, 31, v95
	v_dual_lshlrev_b32 v97, 26, v92 :: v_dual_lshlrev_b32 v202, 25, v92
	v_lshlrev_b32_e32 v203, 24, v92
	v_cmp_gt_i32_e64 s18, 0, v96
	v_xor_b32_e32 v91, s15, v91
	s_delay_alu instid0(VALU_DEP_4)
	v_not_b32_e32 v96, v97
	v_xor_b32_e32 v90, vcc_lo, v90
	v_cmp_gt_i32_e64 s19, 0, v97
	v_cmp_gt_i32_e64 s20, 0, v202
	v_not_b32_e32 v97, v202
	v_not_b32_e32 v202, v203
	v_dual_ashrrev_i32 v96, 31, v96 :: v_dual_bitop2_b32 v93, s16, v93 bitop3:0x14
	v_xor_b32_e32 v94, s17, v94
	v_bitop3_b32 v90, v90, v91, exec_lo bitop3:0x80
	v_cmp_gt_i32_e64 s21, 0, v203
	v_dual_ashrrev_i32 v91, 31, v97 :: v_dual_ashrrev_i32 v97, 31, v202
	v_xor_b32_e32 v95, s18, v95
	v_xor_b32_e32 v96, s19, v96
	v_bitop3_b32 v90, v90, v94, v93 bitop3:0x80
	v_mad_u32_u24 v93, v92, 36, v148
	v_xor_b32_e32 v91, s20, v91
	v_xor_b32_e32 v94, s21, v97
	s_delay_alu instid0(VALU_DEP_4) | instskip(SKIP_3) | instid1(VALU_DEP_2)
	v_bitop3_b32 v90, v90, v96, v95 bitop3:0x80
	ds_load_b32 v202, v93 offset:1056
	; wave barrier
	v_bitop3_b32 v90, v90, v94, v91 bitop3:0x80
	v_mul_u32_u24_e32 v91, 36, v92
	v_mbcnt_lo_u32_b32 v203, v90, 0
	v_cmp_ne_u32_e64 s15, 0, v90
	s_delay_alu instid0(VALU_DEP_3) | instskip(NEXT) | instid1(VALU_DEP_3)
	v_add_nc_u32_e32 v204, v148, v91
	v_cmp_eq_u32_e32 vcc_lo, 0, v203
	s_and_b32 s16, s15, vcc_lo
	s_delay_alu instid0(SALU_CYCLE_1)
	s_and_saveexec_b32 s15, s16
	s_cbranch_execz .LBB1142_1039
; %bb.1038:                             ;   in Loop: Header=BB1142_979 Depth=2
	s_wait_dscnt 0x0
	v_bcnt_u32_b32 v90, v90, v202
	ds_store_b32 v204, v90 offset:1056
.LBB1142_1039:                          ;   in Loop: Header=BB1142_979 Depth=2
	s_or_b32 exec_lo, exec_lo, s15
	v_cmp_gt_i64_e32 vcc_lo, 0, v[72:73]
	; wave barrier
	v_cndmask_b32_e64 v91, 0x7fffffff, 0, vcc_lo
	s_delay_alu instid0(VALU_DEP_1) | instskip(NEXT) | instid1(VALU_DEP_1)
	v_dual_ashrrev_i32 v90, 31, v73 :: v_dual_bitop2_b32 v73, v91, v73 bitop3:0x14
	v_not_b32_e32 v90, v90
	s_delay_alu instid0(VALU_DEP_1) | instskip(NEXT) | instid1(VALU_DEP_1)
	v_xor_b32_e32 v72, v90, v72
	v_cmp_ne_u64_e32 vcc_lo, s[42:43], v[72:73]
	v_cndmask_b32_e32 v91, 0x7fffffff, v73, vcc_lo
	v_cndmask_b32_e32 v90, -1, v72, vcc_lo
	s_delay_alu instid0(VALU_DEP_1) | instskip(NEXT) | instid1(VALU_DEP_1)
	v_lshrrev_b64 v[90:91], s48, v[90:91]
	v_bitop3_b32 v91, v90, 1, s55 bitop3:0x80
	v_and_b32_e32 v92, s55, v90
	s_delay_alu instid0(VALU_DEP_2) | instskip(NEXT) | instid1(VALU_DEP_1)
	v_add_co_u32 v90, s15, v91, -1
	v_cndmask_b32_e64 v91, 0, 1, s15
	s_delay_alu instid0(VALU_DEP_3) | instskip(SKIP_1) | instid1(VALU_DEP_3)
	v_dual_lshlrev_b32 v93, 30, v92 :: v_dual_lshlrev_b32 v95, 28, v92
	v_dual_lshlrev_b32 v94, 29, v92 :: v_dual_lshlrev_b32 v96, 27, v92
	v_cmp_ne_u32_e32 vcc_lo, 0, v91
	s_delay_alu instid0(VALU_DEP_3) | instskip(SKIP_1) | instid1(VALU_DEP_4)
	v_cmp_gt_i32_e64 s15, 0, v93
	v_not_b32_e32 v91, v93
	v_cmp_gt_i32_e64 s16, 0, v94
	v_not_b32_e32 v93, v94
	v_cmp_gt_i32_e64 s17, 0, v95
	v_not_b32_e32 v94, v95
	v_not_b32_e32 v95, v96
	s_delay_alu instid0(VALU_DEP_4) | instskip(NEXT) | instid1(VALU_DEP_2)
	v_dual_ashrrev_i32 v91, 31, v91 :: v_dual_ashrrev_i32 v93, 31, v93
	v_dual_ashrrev_i32 v94, 31, v94 :: v_dual_ashrrev_i32 v95, 31, v95
	v_dual_lshlrev_b32 v97, 26, v92 :: v_dual_lshlrev_b32 v205, 25, v92
	v_lshlrev_b32_e32 v206, 24, v92
	v_cmp_gt_i32_e64 s18, 0, v96
	v_xor_b32_e32 v91, s15, v91
	s_delay_alu instid0(VALU_DEP_4)
	v_not_b32_e32 v96, v97
	v_xor_b32_e32 v90, vcc_lo, v90
	v_cmp_gt_i32_e64 s19, 0, v97
	v_cmp_gt_i32_e64 s20, 0, v205
	v_not_b32_e32 v97, v205
	v_not_b32_e32 v205, v206
	v_dual_ashrrev_i32 v96, 31, v96 :: v_dual_bitop2_b32 v93, s16, v93 bitop3:0x14
	v_xor_b32_e32 v94, s17, v94
	v_bitop3_b32 v90, v90, v91, exec_lo bitop3:0x80
	v_cmp_gt_i32_e64 s21, 0, v206
	v_ashrrev_i32_e32 v91, 31, v97
	v_dual_ashrrev_i32 v97, 31, v205 :: v_dual_bitop2_b32 v95, s18, v95 bitop3:0x14
	v_xor_b32_e32 v96, s19, v96
	v_bitop3_b32 v90, v90, v94, v93 bitop3:0x80
	v_mad_u32_u24 v93, v92, 36, v148
	v_xor_b32_e32 v91, s20, v91
	v_xor_b32_e32 v94, s21, v97
	s_delay_alu instid0(VALU_DEP_4) | instskip(SKIP_3) | instid1(VALU_DEP_2)
	v_bitop3_b32 v90, v90, v96, v95 bitop3:0x80
	ds_load_b32 v205, v93 offset:1056
	; wave barrier
	v_bitop3_b32 v90, v90, v94, v91 bitop3:0x80
	v_mul_u32_u24_e32 v91, 36, v92
	v_mbcnt_lo_u32_b32 v206, v90, 0
	v_cmp_ne_u32_e64 s15, 0, v90
	s_delay_alu instid0(VALU_DEP_3) | instskip(NEXT) | instid1(VALU_DEP_3)
	v_add_nc_u32_e32 v207, v148, v91
	v_cmp_eq_u32_e32 vcc_lo, 0, v206
	s_and_b32 s16, s15, vcc_lo
	s_delay_alu instid0(SALU_CYCLE_1)
	s_and_saveexec_b32 s15, s16
	s_cbranch_execz .LBB1142_1041
; %bb.1040:                             ;   in Loop: Header=BB1142_979 Depth=2
	s_wait_dscnt 0x0
	v_bcnt_u32_b32 v90, v90, v205
	ds_store_b32 v207, v90 offset:1056
.LBB1142_1041:                          ;   in Loop: Header=BB1142_979 Depth=2
	s_or_b32 exec_lo, exec_lo, s15
	v_cmp_gt_i64_e32 vcc_lo, 0, v[68:69]
	; wave barrier
	v_cndmask_b32_e64 v91, 0x7fffffff, 0, vcc_lo
	s_delay_alu instid0(VALU_DEP_1) | instskip(NEXT) | instid1(VALU_DEP_1)
	v_dual_ashrrev_i32 v90, 31, v69 :: v_dual_bitop2_b32 v69, v91, v69 bitop3:0x14
	v_not_b32_e32 v90, v90
	s_delay_alu instid0(VALU_DEP_1) | instskip(NEXT) | instid1(VALU_DEP_1)
	v_xor_b32_e32 v68, v90, v68
	v_cmp_ne_u64_e32 vcc_lo, s[42:43], v[68:69]
	v_cndmask_b32_e32 v91, 0x7fffffff, v69, vcc_lo
	v_cndmask_b32_e32 v90, -1, v68, vcc_lo
	s_delay_alu instid0(VALU_DEP_1) | instskip(NEXT) | instid1(VALU_DEP_1)
	v_lshrrev_b64 v[90:91], s48, v[90:91]
	v_bitop3_b32 v91, v90, 1, s55 bitop3:0x80
	v_and_b32_e32 v92, s55, v90
	s_delay_alu instid0(VALU_DEP_2) | instskip(NEXT) | instid1(VALU_DEP_1)
	v_add_co_u32 v90, s15, v91, -1
	v_cndmask_b32_e64 v91, 0, 1, s15
	s_delay_alu instid0(VALU_DEP_3) | instskip(SKIP_1) | instid1(VALU_DEP_3)
	v_dual_lshlrev_b32 v93, 30, v92 :: v_dual_lshlrev_b32 v95, 28, v92
	v_dual_lshlrev_b32 v94, 29, v92 :: v_dual_lshlrev_b32 v96, 27, v92
	v_cmp_ne_u32_e32 vcc_lo, 0, v91
	s_delay_alu instid0(VALU_DEP_3) | instskip(SKIP_1) | instid1(VALU_DEP_4)
	v_cmp_gt_i32_e64 s15, 0, v93
	v_not_b32_e32 v91, v93
	v_cmp_gt_i32_e64 s16, 0, v94
	v_not_b32_e32 v93, v94
	;; [unrolled: 2-line block ×3, first 2 shown]
	v_not_b32_e32 v95, v96
	s_delay_alu instid0(VALU_DEP_4) | instskip(NEXT) | instid1(VALU_DEP_2)
	v_dual_ashrrev_i32 v91, 31, v91 :: v_dual_ashrrev_i32 v93, 31, v93
	v_dual_ashrrev_i32 v94, 31, v94 :: v_dual_ashrrev_i32 v95, 31, v95
	v_dual_lshlrev_b32 v97, 26, v92 :: v_dual_lshlrev_b32 v208, 25, v92
	v_lshlrev_b32_e32 v209, 24, v92
	v_cmp_gt_i32_e64 s18, 0, v96
	v_xor_b32_e32 v91, s15, v91
	s_delay_alu instid0(VALU_DEP_4)
	v_not_b32_e32 v96, v97
	v_xor_b32_e32 v90, vcc_lo, v90
	v_cmp_gt_i32_e64 s19, 0, v97
	v_cmp_gt_i32_e64 s20, 0, v208
	v_not_b32_e32 v97, v208
	v_not_b32_e32 v208, v209
	v_dual_ashrrev_i32 v96, 31, v96 :: v_dual_bitop2_b32 v93, s16, v93 bitop3:0x14
	v_xor_b32_e32 v94, s17, v94
	v_bitop3_b32 v90, v90, v91, exec_lo bitop3:0x80
	v_cmp_gt_i32_e64 s21, 0, v209
	v_dual_ashrrev_i32 v91, 31, v97 :: v_dual_ashrrev_i32 v97, 31, v208
	v_xor_b32_e32 v95, s18, v95
	v_xor_b32_e32 v96, s19, v96
	v_bitop3_b32 v90, v90, v94, v93 bitop3:0x80
	v_mad_u32_u24 v93, v92, 36, v148
	v_xor_b32_e32 v91, s20, v91
	v_xor_b32_e32 v94, s21, v97
	s_delay_alu instid0(VALU_DEP_4) | instskip(SKIP_3) | instid1(VALU_DEP_2)
	v_bitop3_b32 v90, v90, v96, v95 bitop3:0x80
	ds_load_b32 v208, v93 offset:1056
	; wave barrier
	v_bitop3_b32 v90, v90, v94, v91 bitop3:0x80
	v_mul_u32_u24_e32 v91, 36, v92
	v_mbcnt_lo_u32_b32 v209, v90, 0
	v_cmp_ne_u32_e64 s15, 0, v90
	s_delay_alu instid0(VALU_DEP_3) | instskip(NEXT) | instid1(VALU_DEP_3)
	v_add_nc_u32_e32 v211, v148, v91
	v_cmp_eq_u32_e32 vcc_lo, 0, v209
	s_and_b32 s16, s15, vcc_lo
	s_delay_alu instid0(SALU_CYCLE_1)
	s_and_saveexec_b32 s15, s16
	s_cbranch_execz .LBB1142_1043
; %bb.1042:                             ;   in Loop: Header=BB1142_979 Depth=2
	s_wait_dscnt 0x0
	v_bcnt_u32_b32 v90, v90, v208
	ds_store_b32 v211, v90 offset:1056
.LBB1142_1043:                          ;   in Loop: Header=BB1142_979 Depth=2
	s_or_b32 exec_lo, exec_lo, s15
	v_cmp_gt_i64_e32 vcc_lo, 0, v[64:65]
	; wave barrier
	v_cndmask_b32_e64 v91, 0x7fffffff, 0, vcc_lo
	s_delay_alu instid0(VALU_DEP_1) | instskip(NEXT) | instid1(VALU_DEP_1)
	v_dual_ashrrev_i32 v90, 31, v65 :: v_dual_bitop2_b32 v65, v91, v65 bitop3:0x14
	v_not_b32_e32 v90, v90
	s_delay_alu instid0(VALU_DEP_1) | instskip(NEXT) | instid1(VALU_DEP_1)
	v_xor_b32_e32 v64, v90, v64
	v_cmp_ne_u64_e32 vcc_lo, s[42:43], v[64:65]
	v_cndmask_b32_e32 v91, 0x7fffffff, v65, vcc_lo
	v_cndmask_b32_e32 v90, -1, v64, vcc_lo
	s_delay_alu instid0(VALU_DEP_1) | instskip(NEXT) | instid1(VALU_DEP_1)
	v_lshrrev_b64 v[90:91], s48, v[90:91]
	v_bitop3_b32 v91, v90, 1, s55 bitop3:0x80
	v_and_b32_e32 v92, s55, v90
	s_delay_alu instid0(VALU_DEP_2) | instskip(NEXT) | instid1(VALU_DEP_1)
	v_add_co_u32 v90, s15, v91, -1
	v_cndmask_b32_e64 v91, 0, 1, s15
	s_delay_alu instid0(VALU_DEP_3) | instskip(SKIP_1) | instid1(VALU_DEP_3)
	v_dual_lshlrev_b32 v93, 30, v92 :: v_dual_lshlrev_b32 v95, 28, v92
	v_dual_lshlrev_b32 v94, 29, v92 :: v_dual_lshlrev_b32 v96, 27, v92
	v_cmp_ne_u32_e32 vcc_lo, 0, v91
	s_delay_alu instid0(VALU_DEP_3) | instskip(SKIP_1) | instid1(VALU_DEP_4)
	v_cmp_gt_i32_e64 s15, 0, v93
	v_not_b32_e32 v91, v93
	v_cmp_gt_i32_e64 s16, 0, v94
	v_not_b32_e32 v93, v94
	;; [unrolled: 2-line block ×3, first 2 shown]
	v_not_b32_e32 v95, v96
	s_delay_alu instid0(VALU_DEP_4) | instskip(NEXT) | instid1(VALU_DEP_2)
	v_dual_ashrrev_i32 v91, 31, v91 :: v_dual_ashrrev_i32 v93, 31, v93
	v_dual_ashrrev_i32 v94, 31, v94 :: v_dual_ashrrev_i32 v95, 31, v95
	v_dual_lshlrev_b32 v97, 26, v92 :: v_dual_lshlrev_b32 v210, 25, v92
	v_lshlrev_b32_e32 v212, 24, v92
	v_cmp_gt_i32_e64 s18, 0, v96
	v_xor_b32_e32 v91, s15, v91
	s_delay_alu instid0(VALU_DEP_4)
	v_not_b32_e32 v96, v97
	v_xor_b32_e32 v90, vcc_lo, v90
	v_cmp_gt_i32_e64 s19, 0, v97
	v_cmp_gt_i32_e64 s20, 0, v210
	v_not_b32_e32 v97, v210
	v_not_b32_e32 v210, v212
	v_dual_ashrrev_i32 v96, 31, v96 :: v_dual_bitop2_b32 v93, s16, v93 bitop3:0x14
	v_xor_b32_e32 v94, s17, v94
	v_bitop3_b32 v90, v90, v91, exec_lo bitop3:0x80
	v_cmp_gt_i32_e64 s21, 0, v212
	v_dual_ashrrev_i32 v91, 31, v97 :: v_dual_ashrrev_i32 v97, 31, v210
	v_xor_b32_e32 v95, s18, v95
	v_xor_b32_e32 v96, s19, v96
	v_bitop3_b32 v90, v90, v94, v93 bitop3:0x80
	v_mad_u32_u24 v93, v92, 36, v148
	v_xor_b32_e32 v91, s20, v91
	v_xor_b32_e32 v94, s21, v97
	s_delay_alu instid0(VALU_DEP_4) | instskip(SKIP_3) | instid1(VALU_DEP_2)
	v_bitop3_b32 v90, v90, v96, v95 bitop3:0x80
	ds_load_b32 v210, v93 offset:1056
	; wave barrier
	v_bitop3_b32 v90, v90, v94, v91 bitop3:0x80
	v_mul_u32_u24_e32 v91, 36, v92
	v_mbcnt_lo_u32_b32 v212, v90, 0
	v_cmp_ne_u32_e64 s15, 0, v90
	s_delay_alu instid0(VALU_DEP_3) | instskip(NEXT) | instid1(VALU_DEP_3)
	v_add_nc_u32_e32 v215, v148, v91
	v_cmp_eq_u32_e32 vcc_lo, 0, v212
	s_and_b32 s16, s15, vcc_lo
	s_delay_alu instid0(SALU_CYCLE_1)
	s_and_saveexec_b32 s15, s16
	s_cbranch_execz .LBB1142_1045
; %bb.1044:                             ;   in Loop: Header=BB1142_979 Depth=2
	s_wait_dscnt 0x0
	v_bcnt_u32_b32 v90, v90, v210
	ds_store_b32 v215, v90 offset:1056
.LBB1142_1045:                          ;   in Loop: Header=BB1142_979 Depth=2
	s_or_b32 exec_lo, exec_lo, s15
	v_cmp_gt_i64_e32 vcc_lo, 0, v[66:67]
	; wave barrier
	v_cndmask_b32_e64 v91, 0x7fffffff, 0, vcc_lo
	s_delay_alu instid0(VALU_DEP_1) | instskip(NEXT) | instid1(VALU_DEP_1)
	v_dual_ashrrev_i32 v90, 31, v67 :: v_dual_bitop2_b32 v67, v91, v67 bitop3:0x14
	v_not_b32_e32 v90, v90
	s_delay_alu instid0(VALU_DEP_1) | instskip(NEXT) | instid1(VALU_DEP_1)
	v_xor_b32_e32 v66, v90, v66
	v_cmp_ne_u64_e32 vcc_lo, s[42:43], v[66:67]
	v_cndmask_b32_e32 v91, 0x7fffffff, v67, vcc_lo
	v_cndmask_b32_e32 v90, -1, v66, vcc_lo
	s_delay_alu instid0(VALU_DEP_1) | instskip(NEXT) | instid1(VALU_DEP_1)
	v_lshrrev_b64 v[90:91], s48, v[90:91]
	v_bitop3_b32 v91, v90, 1, s55 bitop3:0x80
	v_and_b32_e32 v92, s55, v90
	s_delay_alu instid0(VALU_DEP_2) | instskip(NEXT) | instid1(VALU_DEP_1)
	v_add_co_u32 v90, s15, v91, -1
	v_cndmask_b32_e64 v91, 0, 1, s15
	s_delay_alu instid0(VALU_DEP_3) | instskip(NEXT) | instid1(VALU_DEP_2)
	v_lshlrev_b32_e32 v93, 30, v92
	v_cmp_ne_u32_e32 vcc_lo, 0, v91
	s_delay_alu instid0(VALU_DEP_2) | instskip(SKIP_1) | instid1(VALU_DEP_2)
	v_not_b32_e32 v91, v93
	v_cmp_gt_i32_e64 s15, 0, v93
	v_dual_ashrrev_i32 v91, 31, v91 :: v_dual_lshlrev_b32 v94, 29, v92
	v_dual_lshlrev_b32 v95, 28, v92 :: v_dual_lshlrev_b32 v96, 27, v92
	v_dual_lshlrev_b32 v97, 26, v92 :: v_dual_lshlrev_b32 v213, 25, v92
	v_lshlrev_b32_e32 v214, 24, v92
	s_delay_alu instid0(VALU_DEP_4)
	v_cmp_gt_i32_e64 s16, 0, v94
	v_not_b32_e32 v93, v94
	v_not_b32_e32 v94, v95
	v_cmp_gt_i32_e64 s17, 0, v95
	v_cmp_gt_i32_e64 s18, 0, v96
	v_not_b32_e32 v95, v96
	v_not_b32_e32 v96, v97
	v_dual_ashrrev_i32 v93, 31, v93 :: v_dual_bitop2_b32 v90, vcc_lo, v90 bitop3:0x14
	v_dual_ashrrev_i32 v94, 31, v94 :: v_dual_bitop2_b32 v91, s15, v91 bitop3:0x14
	v_cmp_gt_i32_e64 s19, 0, v97
	v_cmp_gt_i32_e64 s20, 0, v213
	v_not_b32_e32 v97, v213
	v_not_b32_e32 v213, v214
	v_dual_ashrrev_i32 v95, 31, v95 :: v_dual_ashrrev_i32 v96, 31, v96
	v_xor_b32_e32 v93, s16, v93
	v_xor_b32_e32 v94, s17, v94
	v_bitop3_b32 v90, v90, v91, exec_lo bitop3:0x80
	v_cmp_gt_i32_e64 s21, 0, v214
	v_ashrrev_i32_e32 v91, 31, v97
	v_dual_ashrrev_i32 v97, 31, v213 :: v_dual_bitop2_b32 v95, s18, v95 bitop3:0x14
	v_xor_b32_e32 v96, s19, v96
	v_bitop3_b32 v90, v90, v94, v93 bitop3:0x80
	v_mad_u32_u24 v93, v92, 36, v148
	v_xor_b32_e32 v91, s20, v91
	v_xor_b32_e32 v94, s21, v97
	s_delay_alu instid0(VALU_DEP_4) | instskip(SKIP_3) | instid1(VALU_DEP_2)
	v_bitop3_b32 v90, v90, v96, v95 bitop3:0x80
	ds_load_b32 v213, v93 offset:1056
	; wave barrier
	v_bitop3_b32 v90, v90, v94, v91 bitop3:0x80
	v_mul_u32_u24_e32 v91, 36, v92
	v_mbcnt_lo_u32_b32 v214, v90, 0
	v_cmp_ne_u32_e64 s15, 0, v90
	s_delay_alu instid0(VALU_DEP_3) | instskip(NEXT) | instid1(VALU_DEP_3)
	v_add_nc_u32_e32 v216, v148, v91
	v_cmp_eq_u32_e32 vcc_lo, 0, v214
	s_and_b32 s16, s15, vcc_lo
	s_delay_alu instid0(SALU_CYCLE_1)
	s_and_saveexec_b32 s15, s16
	s_cbranch_execz .LBB1142_1047
; %bb.1046:                             ;   in Loop: Header=BB1142_979 Depth=2
	s_wait_dscnt 0x0
	v_bcnt_u32_b32 v90, v90, v213
	ds_store_b32 v216, v90 offset:1056
.LBB1142_1047:                          ;   in Loop: Header=BB1142_979 Depth=2
	s_or_b32 exec_lo, exec_lo, s15
	; wave barrier
	s_wait_dscnt 0x0
	s_barrier_signal -1
	s_barrier_wait -1
	ds_load_2addr_b32 v[96:97], v168 offset1:1
	ds_load_2addr_b32 v[94:95], v169 offset1:1
	;; [unrolled: 1-line block ×4, first 2 shown]
	ds_load_b32 v217, v120 offset:1088
	s_wait_dscnt 0x3
	v_add3_u32 v218, v97, v96, v94
	s_wait_dscnt 0x2
	s_delay_alu instid0(VALU_DEP_1) | instskip(SKIP_1) | instid1(VALU_DEP_1)
	v_add3_u32 v218, v218, v95, v92
	s_wait_dscnt 0x1
	v_add3_u32 v218, v218, v93, v90
	s_wait_dscnt 0x0
	s_delay_alu instid0(VALU_DEP_1) | instskip(NEXT) | instid1(VALU_DEP_1)
	v_add3_u32 v217, v218, v91, v217
	v_mov_b32_dpp v218, v217 row_shr:1 row_mask:0xf bank_mask:0xf
	s_delay_alu instid0(VALU_DEP_1) | instskip(NEXT) | instid1(VALU_DEP_1)
	v_cndmask_b32_e64 v218, v218, 0, s7
	v_add_nc_u32_e32 v217, v218, v217
	s_delay_alu instid0(VALU_DEP_1) | instskip(NEXT) | instid1(VALU_DEP_1)
	v_mov_b32_dpp v218, v217 row_shr:2 row_mask:0xf bank_mask:0xf
	v_cndmask_b32_e64 v218, 0, v218, s8
	s_delay_alu instid0(VALU_DEP_1) | instskip(NEXT) | instid1(VALU_DEP_1)
	v_add_nc_u32_e32 v217, v217, v218
	v_mov_b32_dpp v218, v217 row_shr:4 row_mask:0xf bank_mask:0xf
	s_delay_alu instid0(VALU_DEP_1) | instskip(NEXT) | instid1(VALU_DEP_1)
	v_cndmask_b32_e64 v218, 0, v218, s9
	v_add_nc_u32_e32 v217, v217, v218
	s_delay_alu instid0(VALU_DEP_1) | instskip(NEXT) | instid1(VALU_DEP_1)
	v_mov_b32_dpp v218, v217 row_shr:8 row_mask:0xf bank_mask:0xf
	v_cndmask_b32_e64 v218, 0, v218, s10
	s_delay_alu instid0(VALU_DEP_1) | instskip(SKIP_3) | instid1(VALU_DEP_1)
	v_add_nc_u32_e32 v217, v217, v218
	ds_swizzle_b32 v218, v217 offset:swizzle(BROADCAST,32,15)
	s_wait_dscnt 0x0
	v_cndmask_b32_e64 v218, v218, 0, s11
	v_add_nc_u32_e32 v217, v217, v218
	s_and_saveexec_b32 s15, s1
; %bb.1048:                             ;   in Loop: Header=BB1142_979 Depth=2
	ds_store_b32 v114, v217 offset:1024
; %bb.1049:                             ;   in Loop: Header=BB1142_979 Depth=2
	s_or_b32 exec_lo, exec_lo, s15
	s_wait_dscnt 0x0
	s_barrier_signal -1
	s_barrier_wait -1
	s_and_saveexec_b32 s15, s4
	s_cbranch_execz .LBB1142_1051
; %bb.1050:                             ;   in Loop: Header=BB1142_979 Depth=2
	ds_load_b32 v218, v122 offset:1024
	s_wait_dscnt 0x0
	v_mov_b32_dpp v219, v218 row_shr:1 row_mask:0xf bank_mask:0xf
	s_delay_alu instid0(VALU_DEP_1) | instskip(NEXT) | instid1(VALU_DEP_1)
	v_cndmask_b32_e64 v219, v219, 0, s12
	v_add_nc_u32_e32 v218, v219, v218
	s_delay_alu instid0(VALU_DEP_1) | instskip(NEXT) | instid1(VALU_DEP_1)
	v_mov_b32_dpp v219, v218 row_shr:2 row_mask:0xf bank_mask:0xf
	v_cndmask_b32_e64 v219, 0, v219, s13
	s_delay_alu instid0(VALU_DEP_1) | instskip(NEXT) | instid1(VALU_DEP_1)
	v_add_nc_u32_e32 v218, v218, v219
	v_mov_b32_dpp v219, v218 row_shr:4 row_mask:0xf bank_mask:0xf
	s_delay_alu instid0(VALU_DEP_1) | instskip(NEXT) | instid1(VALU_DEP_1)
	v_cndmask_b32_e64 v219, 0, v219, s14
	v_add_nc_u32_e32 v218, v218, v219
	ds_store_b32 v122, v218 offset:1024
.LBB1142_1051:                          ;   in Loop: Header=BB1142_979 Depth=2
	s_or_b32 exec_lo, exec_lo, s15
	v_mov_b32_e32 v218, 0
	s_wait_dscnt 0x0
	s_barrier_signal -1
	s_barrier_wait -1
	s_and_saveexec_b32 s15, s5
; %bb.1052:                             ;   in Loop: Header=BB1142_979 Depth=2
	ds_load_b32 v218, v114 offset:1020
; %bb.1053:                             ;   in Loop: Header=BB1142_979 Depth=2
	s_or_b32 exec_lo, exec_lo, s15
	s_wait_dscnt 0x0
	v_add_nc_u32_e32 v217, v218, v217
	ds_bpermute_b32 v217, v147, v217
	s_wait_dscnt 0x0
	v_cndmask_b32_e64 v217, v217, v218, s6
	s_delay_alu instid0(VALU_DEP_1) | instskip(NEXT) | instid1(VALU_DEP_1)
	v_cndmask_b32_e64 v217, v217, 0, s2
	v_add_nc_u32_e32 v96, v217, v96
	s_delay_alu instid0(VALU_DEP_1) | instskip(NEXT) | instid1(VALU_DEP_1)
	v_add_nc_u32_e32 v97, v96, v97
	v_add_nc_u32_e32 v94, v97, v94
	s_delay_alu instid0(VALU_DEP_1) | instskip(NEXT) | instid1(VALU_DEP_1)
	v_add_nc_u32_e32 v95, v94, v95
	;; [unrolled: 3-line block ×3, first 2 shown]
	v_add_nc_u32_e32 v90, v93, v90
	s_delay_alu instid0(VALU_DEP_1)
	v_add_nc_u32_e32 v91, v90, v91
	ds_store_2addr_b32 v167, v93, v90 offset1:1
	ds_store_2addr_b32 v168, v217, v96 offset1:1
	;; [unrolled: 1-line block ×4, first 2 shown]
	ds_store_b32 v120, v91 offset:1088
	s_wait_dscnt 0x0
	s_barrier_signal -1
	s_barrier_wait -1
	ds_load_b32 v91, v171 offset:1056
	ds_load_b32 v96, v174 offset:1056
	;; [unrolled: 1-line block ×17, first 2 shown]
	v_mov_b32_e32 v90, 0x1000
	s_and_saveexec_b32 s15, s3
; %bb.1054:                             ;   in Loop: Header=BB1142_979 Depth=2
	ds_load_b32 v90, v120 offset:1092
; %bb.1055:                             ;   in Loop: Header=BB1142_979 Depth=2
	s_or_b32 exec_lo, exec_lo, s15
	s_wait_dscnt 0x0
	s_barrier_signal -1
	s_barrier_wait -1
	s_and_saveexec_b32 s15, s0
	s_cbranch_execz .LBB1142_1057
; %bb.1056:                             ;   in Loop: Header=BB1142_979 Depth=2
	ds_load_b32 v189, v3
	s_wait_dscnt 0x0
	v_sub_nc_u32_e32 v186, v189, v186
	ds_store_b32 v3, v186
.LBB1142_1057:                          ;   in Loop: Header=BB1142_979 Depth=2
	s_or_b32 exec_lo, exec_lo, s15
	v_dual_lshlrev_b32 v166, 3, v166 :: v_dual_lshlrev_b32 v173, 3, v173
	v_lshlrev_b32_e32 v172, 3, v172
	v_dual_lshlrev_b32 v96, 3, v96 :: v_dual_lshlrev_b32 v95, 3, v95
	s_delay_alu instid0(VALU_DEP_3)
	v_lshl_add_u32 v91, v91, 3, v166
	v_dual_lshlrev_b32 v176, 3, v176 :: v_dual_lshlrev_b32 v166, 3, v175
	v_dual_lshlrev_b32 v175, 3, v179 :: v_dual_lshlrev_b32 v178, 3, v178
	v_lshlrev_b32_e32 v179, 3, v181
	ds_store_b64 v91, v[58:59] offset:1024
	v_dual_lshlrev_b32 v58, 3, v94 :: v_dual_lshlrev_b32 v181, 3, v93
	v_dual_lshlrev_b32 v59, 3, v182 :: v_dual_lshlrev_b32 v182, 3, v185
	v_lshlrev_b32_e32 v184, 3, v184
	v_lshlrev_b32_e32 v185, 3, v92
	v_add3_u32 v92, v173, v172, v96
	v_add3_u32 v93, v176, v166, v95
	;; [unrolled: 1-line block ×4, first 2 shown]
	v_lshlrev_b32_e32 v59, 3, v187
	v_add3_u32 v96, v182, v184, v185
	ds_store_b64 v92, v[60:61] offset:1024
	ds_store_b64 v93, v[62:63] offset:1024
	;; [unrolled: 1-line block ×5, first 2 shown]
	v_dual_lshlrev_b32 v58, 3, v188 :: v_dual_lshlrev_b32 v61, 3, v191
	v_dual_lshlrev_b32 v60, 3, v183 :: v_dual_lshlrev_b32 v62, 3, v190
	;; [unrolled: 1-line block ×3, first 2 shown]
	v_lshlrev_b32_e32 v71, 3, v193
	v_dual_lshlrev_b32 v74, 3, v177 :: v_dual_lshlrev_b32 v78, 3, v196
	v_dual_lshlrev_b32 v75, 3, v197 :: v_dual_lshlrev_b32 v79, 3, v174
	;; [unrolled: 1-line block ×3, first 2 shown]
	v_lshlrev_b32_e32 v171, 3, v171
	v_add3_u32 v60, v58, v59, v60
	v_add3_u32 v61, v61, v62, v63
	;; [unrolled: 1-line block ×4, first 2 shown]
	v_lshlrev_b32_e32 v59, 3, v202
	v_add3_u32 v70, v166, v172, v171
	ds_store_b64 v60, v[82:83] offset:1024
	ds_store_b64 v61, v[86:87] offset:1024
	;; [unrolled: 1-line block ×5, first 2 shown]
	v_dual_lshlrev_b32 v58, 3, v203 :: v_dual_lshlrev_b32 v71, 3, v170
	v_dual_lshlrev_b32 v74, 3, v206 :: v_dual_lshlrev_b32 v75, 3, v205
	;; [unrolled: 1-line block ×6, first 2 shown]
	v_lshlrev_b32_e32 v86, 3, v213
	v_lshlrev_b32_e32 v87, 3, v97
	v_add3_u32 v71, v58, v59, v71
	v_add3_u32 v74, v74, v75, v78
	;; [unrolled: 1-line block ×5, first 2 shown]
	v_cmp_lt_u32_e32 vcc_lo, v2, v165
	ds_store_b64 v71, v[76:77] offset:1024
	ds_store_b64 v74, v[72:73] offset:1024
	;; [unrolled: 1-line block ×5, first 2 shown]
	s_wait_dscnt 0x0
	s_barrier_signal -1
	s_barrier_wait -1
	s_and_saveexec_b32 s16, vcc_lo
	s_cbranch_execnz .LBB1142_1126
; %bb.1058:                             ;   in Loop: Header=BB1142_979 Depth=2
	s_or_b32 exec_lo, exec_lo, s16
	v_cmp_lt_u32_e64 s15, v98, v165
	s_and_saveexec_b32 s17, s15
	s_cbranch_execnz .LBB1142_1127
.LBB1142_1059:                          ;   in Loop: Header=BB1142_979 Depth=2
	s_or_b32 exec_lo, exec_lo, s17
	v_cmp_lt_u32_e64 s16, v99, v165
	s_and_saveexec_b32 s18, s16
	s_cbranch_execnz .LBB1142_1128
.LBB1142_1060:                          ;   in Loop: Header=BB1142_979 Depth=2
	s_or_b32 exec_lo, exec_lo, s18
	v_cmp_lt_u32_e64 s17, v100, v165
	s_and_saveexec_b32 s19, s17
	s_cbranch_execnz .LBB1142_1129
.LBB1142_1061:                          ;   in Loop: Header=BB1142_979 Depth=2
	s_or_b32 exec_lo, exec_lo, s19
	v_cmp_lt_u32_e64 s18, v101, v165
	s_and_saveexec_b32 s20, s18
	s_cbranch_execnz .LBB1142_1130
.LBB1142_1062:                          ;   in Loop: Header=BB1142_979 Depth=2
	s_or_b32 exec_lo, exec_lo, s20
	v_cmp_lt_u32_e64 s19, v102, v165
	s_and_saveexec_b32 s21, s19
	s_cbranch_execnz .LBB1142_1131
.LBB1142_1063:                          ;   in Loop: Header=BB1142_979 Depth=2
	s_or_b32 exec_lo, exec_lo, s21
	v_cmp_lt_u32_e64 s20, v103, v165
	s_and_saveexec_b32 s22, s20
	s_cbranch_execnz .LBB1142_1132
.LBB1142_1064:                          ;   in Loop: Header=BB1142_979 Depth=2
	s_or_b32 exec_lo, exec_lo, s22
	v_cmp_lt_u32_e64 s21, v104, v165
	s_and_saveexec_b32 s23, s21
	s_cbranch_execnz .LBB1142_1133
.LBB1142_1065:                          ;   in Loop: Header=BB1142_979 Depth=2
	s_or_b32 exec_lo, exec_lo, s23
	v_cmp_lt_u32_e64 s22, v105, v165
	s_and_saveexec_b32 s24, s22
	s_cbranch_execnz .LBB1142_1134
.LBB1142_1066:                          ;   in Loop: Header=BB1142_979 Depth=2
	s_or_b32 exec_lo, exec_lo, s24
	v_cmp_lt_u32_e64 s23, v106, v165
	s_and_saveexec_b32 s25, s23
	s_cbranch_execnz .LBB1142_1135
.LBB1142_1067:                          ;   in Loop: Header=BB1142_979 Depth=2
	s_or_b32 exec_lo, exec_lo, s25
	v_cmp_lt_u32_e64 s24, v107, v165
	s_and_saveexec_b32 s26, s24
	s_cbranch_execnz .LBB1142_1136
.LBB1142_1068:                          ;   in Loop: Header=BB1142_979 Depth=2
	s_or_b32 exec_lo, exec_lo, s26
	v_cmp_lt_u32_e64 s25, v108, v165
	s_and_saveexec_b32 s27, s25
	s_cbranch_execnz .LBB1142_1137
.LBB1142_1069:                          ;   in Loop: Header=BB1142_979 Depth=2
	s_or_b32 exec_lo, exec_lo, s27
	v_cmp_lt_u32_e64 s26, v109, v165
	s_and_saveexec_b32 s28, s26
	s_cbranch_execnz .LBB1142_1138
.LBB1142_1070:                          ;   in Loop: Header=BB1142_979 Depth=2
	s_or_b32 exec_lo, exec_lo, s28
	v_cmp_lt_u32_e64 s27, v110, v165
	s_and_saveexec_b32 s29, s27
	s_cbranch_execnz .LBB1142_1139
.LBB1142_1071:                          ;   in Loop: Header=BB1142_979 Depth=2
	s_or_b32 exec_lo, exec_lo, s29
	v_cmp_lt_u32_e64 s28, v111, v165
	s_and_saveexec_b32 s30, s28
	s_cbranch_execnz .LBB1142_1140
.LBB1142_1072:                          ;   in Loop: Header=BB1142_979 Depth=2
	s_or_b32 exec_lo, exec_lo, s30
	v_cmp_lt_u32_e64 s29, v112, v165
	s_and_saveexec_b32 s61, s29
	s_cbranch_execz .LBB1142_1074
.LBB1142_1073:                          ;   in Loop: Header=BB1142_979 Depth=2
	ds_load_b64 v[58:59], v123 offset:31744
	s_wait_dscnt 0x0
	v_cmp_ne_u64_e64 s30, s[42:43], v[58:59]
	s_delay_alu instid0(VALU_DEP_1) | instskip(SKIP_2) | instid1(VALU_DEP_2)
	v_cndmask_b32_e64 v65, 0x7fffffff, v59, s30
	v_cndmask_b32_e64 v64, -1, v58, s30
	v_cmp_gt_i64_e64 s30, 0, v[58:59]
	v_lshrrev_b64 v[64:65], s48, v[64:65]
	v_ashrrev_i32_e32 v65, 31, v59
	s_delay_alu instid0(VALU_DEP_3) | instskip(NEXT) | instid1(VALU_DEP_2)
	v_cndmask_b32_e64 v66, 0x7fffffff, 0, s30
	v_not_b32_e32 v65, v65
	s_delay_alu instid0(VALU_DEP_4) | instskip(NEXT) | instid1(VALU_DEP_1)
	v_and_b32_e32 v64, s55, v64
	v_dual_lshlrev_b32 v64, 2, v64 :: v_dual_bitop2_b32 v59, v66, v59 bitop3:0x14
	ds_load_b32 v64, v64
	s_wait_dscnt 0x0
	v_dual_add_nc_u32 v64, v64, v112 :: v_dual_bitop2_b32 v58, v65, v58 bitop3:0x14
	global_store_b64 v64, v[58:59], s[40:41] scale_offset
.LBB1142_1074:                          ;   in Loop: Header=BB1142_979 Depth=2
	s_wait_xcnt 0x0
	s_or_b32 exec_lo, exec_lo, s61
	v_lshl_add_u64 v[58:59], s[34:35], 3, v[22:23]
	v_cmp_lt_u32_e64 s30, v129, v165
	s_and_saveexec_b32 s34, s30
	s_delay_alu instid0(SALU_CYCLE_1)
	s_xor_b32 s30, exec_lo, s34
	s_cbranch_execnz .LBB1142_1141
; %bb.1075:                             ;   in Loop: Header=BB1142_979 Depth=2
	s_or_b32 exec_lo, exec_lo, s30
	s_delay_alu instid0(SALU_CYCLE_1)
	s_mov_b32 s34, exec_lo
	v_cmpx_lt_u32_e64 v132, v165
	s_cbranch_execnz .LBB1142_1142
.LBB1142_1076:                          ;   in Loop: Header=BB1142_979 Depth=2
	s_or_b32 exec_lo, exec_lo, s34
	s_delay_alu instid0(SALU_CYCLE_1)
	s_mov_b32 s34, exec_lo
	v_cmpx_lt_u32_e64 v133, v165
	s_cbranch_execnz .LBB1142_1143
.LBB1142_1077:                          ;   in Loop: Header=BB1142_979 Depth=2
	s_or_b32 exec_lo, exec_lo, s34
	s_delay_alu instid0(SALU_CYCLE_1)
	s_mov_b32 s34, exec_lo
	v_cmpx_lt_u32_e64 v134, v165
	s_cbranch_execnz .LBB1142_1144
.LBB1142_1078:                          ;   in Loop: Header=BB1142_979 Depth=2
	s_or_b32 exec_lo, exec_lo, s34
	s_delay_alu instid0(SALU_CYCLE_1)
	s_mov_b32 s34, exec_lo
	v_cmpx_lt_u32_e64 v135, v165
	s_cbranch_execnz .LBB1142_1145
.LBB1142_1079:                          ;   in Loop: Header=BB1142_979 Depth=2
	s_or_b32 exec_lo, exec_lo, s34
	s_delay_alu instid0(SALU_CYCLE_1)
	s_mov_b32 s34, exec_lo
	v_cmpx_lt_u32_e64 v136, v165
	s_cbranch_execnz .LBB1142_1146
.LBB1142_1080:                          ;   in Loop: Header=BB1142_979 Depth=2
	s_or_b32 exec_lo, exec_lo, s34
	s_delay_alu instid0(SALU_CYCLE_1)
	s_mov_b32 s34, exec_lo
	v_cmpx_lt_u32_e64 v137, v165
	s_cbranch_execnz .LBB1142_1147
.LBB1142_1081:                          ;   in Loop: Header=BB1142_979 Depth=2
	s_or_b32 exec_lo, exec_lo, s34
	s_delay_alu instid0(SALU_CYCLE_1)
	s_mov_b32 s34, exec_lo
	v_cmpx_lt_u32_e64 v138, v165
	s_cbranch_execnz .LBB1142_1148
.LBB1142_1082:                          ;   in Loop: Header=BB1142_979 Depth=2
	s_or_b32 exec_lo, exec_lo, s34
	s_delay_alu instid0(SALU_CYCLE_1)
	s_mov_b32 s34, exec_lo
	v_cmpx_lt_u32_e64 v139, v165
	s_cbranch_execnz .LBB1142_1149
.LBB1142_1083:                          ;   in Loop: Header=BB1142_979 Depth=2
	s_or_b32 exec_lo, exec_lo, s34
	s_delay_alu instid0(SALU_CYCLE_1)
	s_mov_b32 s34, exec_lo
	v_cmpx_lt_u32_e64 v140, v165
	s_cbranch_execnz .LBB1142_1150
.LBB1142_1084:                          ;   in Loop: Header=BB1142_979 Depth=2
	s_or_b32 exec_lo, exec_lo, s34
	s_delay_alu instid0(SALU_CYCLE_1)
	s_mov_b32 s34, exec_lo
	v_cmpx_lt_u32_e64 v141, v165
	s_cbranch_execnz .LBB1142_1151
.LBB1142_1085:                          ;   in Loop: Header=BB1142_979 Depth=2
	s_or_b32 exec_lo, exec_lo, s34
	s_delay_alu instid0(SALU_CYCLE_1)
	s_mov_b32 s34, exec_lo
	v_cmpx_lt_u32_e64 v142, v165
	s_cbranch_execnz .LBB1142_1152
.LBB1142_1086:                          ;   in Loop: Header=BB1142_979 Depth=2
	s_or_b32 exec_lo, exec_lo, s34
	s_delay_alu instid0(SALU_CYCLE_1)
	s_mov_b32 s34, exec_lo
	v_cmpx_lt_u32_e64 v143, v165
	s_cbranch_execnz .LBB1142_1153
.LBB1142_1087:                          ;   in Loop: Header=BB1142_979 Depth=2
	s_or_b32 exec_lo, exec_lo, s34
	s_delay_alu instid0(SALU_CYCLE_1)
	s_mov_b32 s34, exec_lo
	v_cmpx_lt_u32_e64 v144, v165
	s_cbranch_execnz .LBB1142_1154
.LBB1142_1088:                          ;   in Loop: Header=BB1142_979 Depth=2
	s_or_b32 exec_lo, exec_lo, s34
	s_delay_alu instid0(SALU_CYCLE_1)
	s_mov_b32 s34, exec_lo
	v_cmpx_lt_u32_e64 v145, v165
	s_cbranch_execnz .LBB1142_1155
.LBB1142_1089:                          ;   in Loop: Header=BB1142_979 Depth=2
	s_or_b32 exec_lo, exec_lo, s34
	s_delay_alu instid0(SALU_CYCLE_1)
	s_mov_b32 s34, exec_lo
	v_cmpx_lt_u32_e64 v146, v165
	s_cbranch_execnz .LBB1142_1156
.LBB1142_1090:                          ;   in Loop: Header=BB1142_979 Depth=2
	s_or_b32 exec_lo, exec_lo, s34
	s_and_saveexec_b32 s34, vcc_lo
	s_cbranch_execnz .LBB1142_1157
.LBB1142_1091:                          ;   in Loop: Header=BB1142_979 Depth=2
	s_or_b32 exec_lo, exec_lo, s34
	s_and_saveexec_b32 s34, s15
	s_cbranch_execnz .LBB1142_1158
.LBB1142_1092:                          ;   in Loop: Header=BB1142_979 Depth=2
	s_or_b32 exec_lo, exec_lo, s34
	s_and_saveexec_b32 s34, s16
	s_cbranch_execnz .LBB1142_1159
.LBB1142_1093:                          ;   in Loop: Header=BB1142_979 Depth=2
	s_or_b32 exec_lo, exec_lo, s34
	s_and_saveexec_b32 s34, s17
	s_cbranch_execnz .LBB1142_1160
.LBB1142_1094:                          ;   in Loop: Header=BB1142_979 Depth=2
	s_or_b32 exec_lo, exec_lo, s34
	s_and_saveexec_b32 s34, s18
	s_cbranch_execnz .LBB1142_1161
.LBB1142_1095:                          ;   in Loop: Header=BB1142_979 Depth=2
	s_or_b32 exec_lo, exec_lo, s34
	s_and_saveexec_b32 s34, s19
	s_cbranch_execnz .LBB1142_1162
.LBB1142_1096:                          ;   in Loop: Header=BB1142_979 Depth=2
	s_or_b32 exec_lo, exec_lo, s34
	s_and_saveexec_b32 s34, s20
	s_cbranch_execnz .LBB1142_1163
.LBB1142_1097:                          ;   in Loop: Header=BB1142_979 Depth=2
	s_or_b32 exec_lo, exec_lo, s34
	s_and_saveexec_b32 s34, s21
	s_cbranch_execnz .LBB1142_1164
.LBB1142_1098:                          ;   in Loop: Header=BB1142_979 Depth=2
	s_or_b32 exec_lo, exec_lo, s34
	s_and_saveexec_b32 s34, s22
	s_cbranch_execnz .LBB1142_1165
.LBB1142_1099:                          ;   in Loop: Header=BB1142_979 Depth=2
	s_or_b32 exec_lo, exec_lo, s34
	s_and_saveexec_b32 s34, s23
	s_cbranch_execnz .LBB1142_1166
.LBB1142_1100:                          ;   in Loop: Header=BB1142_979 Depth=2
	s_or_b32 exec_lo, exec_lo, s34
	s_and_saveexec_b32 s34, s24
	s_cbranch_execnz .LBB1142_1167
.LBB1142_1101:                          ;   in Loop: Header=BB1142_979 Depth=2
	s_or_b32 exec_lo, exec_lo, s34
	s_and_saveexec_b32 s34, s25
	s_cbranch_execnz .LBB1142_1168
.LBB1142_1102:                          ;   in Loop: Header=BB1142_979 Depth=2
	s_or_b32 exec_lo, exec_lo, s34
	s_and_saveexec_b32 s34, s26
	s_cbranch_execnz .LBB1142_1169
.LBB1142_1103:                          ;   in Loop: Header=BB1142_979 Depth=2
	s_or_b32 exec_lo, exec_lo, s34
	s_and_saveexec_b32 s34, s27
	s_cbranch_execnz .LBB1142_1170
.LBB1142_1104:                          ;   in Loop: Header=BB1142_979 Depth=2
	s_or_b32 exec_lo, exec_lo, s34
	s_and_saveexec_b32 s34, s28
	s_cbranch_execnz .LBB1142_1171
.LBB1142_1105:                          ;   in Loop: Header=BB1142_979 Depth=2
	s_or_b32 exec_lo, exec_lo, s34
	s_and_saveexec_b32 s34, s29
	s_cbranch_execz .LBB1142_1107
.LBB1142_1106:                          ;   in Loop: Header=BB1142_979 Depth=2
	ds_load_b64 v[58:59], v123 offset:31744
	s_wait_dscnt 0x0
	v_cmp_ne_u64_e64 s30, s[42:43], v[58:59]
	s_delay_alu instid0(VALU_DEP_1) | instskip(SKIP_1) | instid1(VALU_DEP_1)
	v_cndmask_b32_e64 v59, 0x7fffffff, v59, s30
	v_cndmask_b32_e64 v58, -1, v58, s30
	v_lshrrev_b64 v[58:59], s48, v[58:59]
	s_delay_alu instid0(VALU_DEP_1)
	v_and_b32_e32 v149, s55, v58
.LBB1142_1107:                          ;   in Loop: Header=BB1142_979 Depth=2
	s_or_b32 exec_lo, exec_lo, s34
	s_wait_loadcnt 0x0
	s_wait_storecnt 0x0
	s_barrier_signal -1
	s_barrier_wait -1
	ds_store_b64 v91, v[56:57] offset:1024
	ds_store_b64 v92, v[54:55] offset:1024
	ds_store_b64 v93, v[52:53] offset:1024
	ds_store_b64 v94, v[50:51] offset:1024
	ds_store_b64 v95, v[48:49] offset:1024
	ds_store_b64 v96, v[46:47] offset:1024
	ds_store_b64 v60, v[44:45] offset:1024
	ds_store_b64 v61, v[42:43] offset:1024
	ds_store_b64 v62, v[40:41] offset:1024
	ds_store_b64 v63, v[38:39] offset:1024
	ds_store_b64 v70, v[36:37] offset:1024
	ds_store_b64 v71, v[34:35] offset:1024
	ds_store_b64 v74, v[32:33] offset:1024
	ds_store_b64 v75, v[30:31] offset:1024
	ds_store_b64 v78, v[28:29] offset:1024
	ds_store_b64 v79, v[26:27] offset:1024
	s_wait_dscnt 0x0
	s_barrier_signal -1
	s_barrier_wait -1
	s_and_saveexec_b32 s30, vcc_lo
	s_cbranch_execnz .LBB1142_1172
; %bb.1108:                             ;   in Loop: Header=BB1142_979 Depth=2
	s_or_b32 exec_lo, exec_lo, s30
	s_and_saveexec_b32 s30, s15
	s_cbranch_execnz .LBB1142_1173
.LBB1142_1109:                          ;   in Loop: Header=BB1142_979 Depth=2
	s_or_b32 exec_lo, exec_lo, s30
	s_and_saveexec_b32 s15, s16
	s_cbranch_execnz .LBB1142_1174
.LBB1142_1110:                          ;   in Loop: Header=BB1142_979 Depth=2
	s_or_b32 exec_lo, exec_lo, s15
	s_and_saveexec_b32 s15, s17
	s_cbranch_execnz .LBB1142_1175
.LBB1142_1111:                          ;   in Loop: Header=BB1142_979 Depth=2
	s_or_b32 exec_lo, exec_lo, s15
	s_and_saveexec_b32 s15, s18
	s_cbranch_execnz .LBB1142_1176
.LBB1142_1112:                          ;   in Loop: Header=BB1142_979 Depth=2
	s_or_b32 exec_lo, exec_lo, s15
	s_and_saveexec_b32 s15, s19
	s_cbranch_execnz .LBB1142_1177
.LBB1142_1113:                          ;   in Loop: Header=BB1142_979 Depth=2
	s_or_b32 exec_lo, exec_lo, s15
	s_and_saveexec_b32 s15, s20
	s_cbranch_execnz .LBB1142_1178
.LBB1142_1114:                          ;   in Loop: Header=BB1142_979 Depth=2
	s_or_b32 exec_lo, exec_lo, s15
	s_and_saveexec_b32 s15, s21
	s_cbranch_execnz .LBB1142_1179
.LBB1142_1115:                          ;   in Loop: Header=BB1142_979 Depth=2
	s_or_b32 exec_lo, exec_lo, s15
	s_and_saveexec_b32 s15, s22
	s_cbranch_execnz .LBB1142_1180
.LBB1142_1116:                          ;   in Loop: Header=BB1142_979 Depth=2
	s_or_b32 exec_lo, exec_lo, s15
	s_and_saveexec_b32 s15, s23
	s_cbranch_execnz .LBB1142_1181
.LBB1142_1117:                          ;   in Loop: Header=BB1142_979 Depth=2
	s_or_b32 exec_lo, exec_lo, s15
	s_and_saveexec_b32 s15, s24
	s_cbranch_execnz .LBB1142_1182
.LBB1142_1118:                          ;   in Loop: Header=BB1142_979 Depth=2
	s_or_b32 exec_lo, exec_lo, s15
	s_and_saveexec_b32 s15, s25
	s_cbranch_execnz .LBB1142_1183
.LBB1142_1119:                          ;   in Loop: Header=BB1142_979 Depth=2
	s_or_b32 exec_lo, exec_lo, s15
	s_and_saveexec_b32 s15, s26
	s_cbranch_execnz .LBB1142_1184
.LBB1142_1120:                          ;   in Loop: Header=BB1142_979 Depth=2
	s_or_b32 exec_lo, exec_lo, s15
	s_and_saveexec_b32 s15, s27
	s_cbranch_execnz .LBB1142_1185
.LBB1142_1121:                          ;   in Loop: Header=BB1142_979 Depth=2
	s_or_b32 exec_lo, exec_lo, s15
	s_and_saveexec_b32 s15, s28
	s_cbranch_execnz .LBB1142_1186
.LBB1142_1122:                          ;   in Loop: Header=BB1142_979 Depth=2
	s_or_b32 exec_lo, exec_lo, s15
	s_and_saveexec_b32 s15, s29
	s_cbranch_execz .LBB1142_1124
.LBB1142_1123:                          ;   in Loop: Header=BB1142_979 Depth=2
	v_lshlrev_b32_e32 v58, 2, v149
	ds_load_b32 v60, v58
	ds_load_b64 v[58:59], v123 offset:31744
	s_wait_dscnt 0x1
	v_add_nc_u32_e32 v60, v60, v112
	s_wait_dscnt 0x0
	global_store_b64 v60, v[58:59], s[46:47] scale_offset
.LBB1142_1124:                          ;   in Loop: Header=BB1142_979 Depth=2
	s_wait_xcnt 0x0
	s_or_b32 exec_lo, exec_lo, s15
	s_wait_storecnt 0x0
	s_barrier_signal -1
	s_barrier_wait -1
	s_and_saveexec_b32 s15, s0
	s_cbranch_execz .LBB1142_978
; %bb.1125:                             ;   in Loop: Header=BB1142_979 Depth=2
	ds_load_b32 v58, v3
	s_wait_dscnt 0x0
	v_add_nc_u32_e32 v58, v58, v90
	ds_store_b32 v3, v58
	s_branch .LBB1142_978
.LBB1142_1126:                          ;   in Loop: Header=BB1142_979 Depth=2
	ds_load_b64 v[58:59], v123 offset:1024
	s_wait_dscnt 0x0
	v_cmp_ne_u64_e64 s15, s[42:43], v[58:59]
	s_delay_alu instid0(VALU_DEP_1) | instskip(SKIP_2) | instid1(VALU_DEP_2)
	v_cndmask_b32_e64 v65, 0x7fffffff, v59, s15
	v_cndmask_b32_e64 v64, -1, v58, s15
	v_cmp_gt_i64_e64 s15, 0, v[58:59]
	v_lshrrev_b64 v[64:65], s48, v[64:65]
	v_ashrrev_i32_e32 v65, 31, v59
	s_delay_alu instid0(VALU_DEP_3) | instskip(NEXT) | instid1(VALU_DEP_2)
	v_cndmask_b32_e64 v66, 0x7fffffff, 0, s15
	v_not_b32_e32 v65, v65
	s_delay_alu instid0(VALU_DEP_4) | instskip(NEXT) | instid1(VALU_DEP_3)
	v_and_b32_e32 v64, s55, v64
	v_xor_b32_e32 v59, v66, v59
	s_delay_alu instid0(VALU_DEP_2)
	v_dual_lshlrev_b32 v64, 2, v64 :: v_dual_bitop2_b32 v58, v65, v58 bitop3:0x14
	ds_load_b32 v64, v64
	s_wait_dscnt 0x0
	v_add_nc_u32_e32 v64, v64, v2
	global_store_b64 v64, v[58:59], s[40:41] scale_offset
	s_wait_xcnt 0x0
	s_or_b32 exec_lo, exec_lo, s16
	v_cmp_lt_u32_e64 s15, v98, v165
	s_and_saveexec_b32 s17, s15
	s_cbranch_execz .LBB1142_1059
.LBB1142_1127:                          ;   in Loop: Header=BB1142_979 Depth=2
	ds_load_b64 v[58:59], v123 offset:3072
	s_wait_dscnt 0x0
	v_cmp_ne_u64_e64 s16, s[42:43], v[58:59]
	s_delay_alu instid0(VALU_DEP_1) | instskip(SKIP_2) | instid1(VALU_DEP_2)
	v_cndmask_b32_e64 v65, 0x7fffffff, v59, s16
	v_cndmask_b32_e64 v64, -1, v58, s16
	v_cmp_gt_i64_e64 s16, 0, v[58:59]
	v_lshrrev_b64 v[64:65], s48, v[64:65]
	v_ashrrev_i32_e32 v65, 31, v59
	s_delay_alu instid0(VALU_DEP_3) | instskip(NEXT) | instid1(VALU_DEP_2)
	v_cndmask_b32_e64 v66, 0x7fffffff, 0, s16
	v_not_b32_e32 v65, v65
	s_delay_alu instid0(VALU_DEP_4) | instskip(NEXT) | instid1(VALU_DEP_3)
	v_and_b32_e32 v64, s55, v64
	v_xor_b32_e32 v59, v66, v59
	s_delay_alu instid0(VALU_DEP_2)
	v_dual_lshlrev_b32 v64, 2, v64 :: v_dual_bitop2_b32 v58, v65, v58 bitop3:0x14
	ds_load_b32 v64, v64
	s_wait_dscnt 0x0
	v_add_nc_u32_e32 v64, v64, v98
	global_store_b64 v64, v[58:59], s[40:41] scale_offset
	s_wait_xcnt 0x0
	s_or_b32 exec_lo, exec_lo, s17
	v_cmp_lt_u32_e64 s16, v99, v165
	s_and_saveexec_b32 s18, s16
	s_cbranch_execz .LBB1142_1060
.LBB1142_1128:                          ;   in Loop: Header=BB1142_979 Depth=2
	ds_load_b64 v[58:59], v123 offset:5120
	s_wait_dscnt 0x0
	v_cmp_ne_u64_e64 s17, s[42:43], v[58:59]
	s_delay_alu instid0(VALU_DEP_1) | instskip(SKIP_2) | instid1(VALU_DEP_2)
	v_cndmask_b32_e64 v65, 0x7fffffff, v59, s17
	v_cndmask_b32_e64 v64, -1, v58, s17
	v_cmp_gt_i64_e64 s17, 0, v[58:59]
	v_lshrrev_b64 v[64:65], s48, v[64:65]
	v_ashrrev_i32_e32 v65, 31, v59
	s_delay_alu instid0(VALU_DEP_3) | instskip(NEXT) | instid1(VALU_DEP_2)
	v_cndmask_b32_e64 v66, 0x7fffffff, 0, s17
	v_not_b32_e32 v65, v65
	s_delay_alu instid0(VALU_DEP_4) | instskip(NEXT) | instid1(VALU_DEP_1)
	v_and_b32_e32 v64, s55, v64
	v_dual_lshlrev_b32 v64, 2, v64 :: v_dual_bitop2_b32 v59, v66, v59 bitop3:0x14
	ds_load_b32 v64, v64
	s_wait_dscnt 0x0
	v_dual_add_nc_u32 v64, v64, v99 :: v_dual_bitop2_b32 v58, v65, v58 bitop3:0x14
	global_store_b64 v64, v[58:59], s[40:41] scale_offset
	s_wait_xcnt 0x0
	s_or_b32 exec_lo, exec_lo, s18
	v_cmp_lt_u32_e64 s17, v100, v165
	s_and_saveexec_b32 s19, s17
	s_cbranch_execz .LBB1142_1061
.LBB1142_1129:                          ;   in Loop: Header=BB1142_979 Depth=2
	ds_load_b64 v[58:59], v123 offset:7168
	s_wait_dscnt 0x0
	v_cmp_ne_u64_e64 s18, s[42:43], v[58:59]
	s_delay_alu instid0(VALU_DEP_1) | instskip(SKIP_2) | instid1(VALU_DEP_2)
	v_cndmask_b32_e64 v65, 0x7fffffff, v59, s18
	v_cndmask_b32_e64 v64, -1, v58, s18
	v_cmp_gt_i64_e64 s18, 0, v[58:59]
	v_lshrrev_b64 v[64:65], s48, v[64:65]
	v_ashrrev_i32_e32 v65, 31, v59
	s_delay_alu instid0(VALU_DEP_3) | instskip(NEXT) | instid1(VALU_DEP_2)
	v_cndmask_b32_e64 v66, 0x7fffffff, 0, s18
	v_not_b32_e32 v65, v65
	s_delay_alu instid0(VALU_DEP_4) | instskip(NEXT) | instid1(VALU_DEP_1)
	v_and_b32_e32 v64, s55, v64
	v_dual_lshlrev_b32 v64, 2, v64 :: v_dual_bitop2_b32 v59, v66, v59 bitop3:0x14
	ds_load_b32 v64, v64
	s_wait_dscnt 0x0
	v_dual_add_nc_u32 v64, v64, v100 :: v_dual_bitop2_b32 v58, v65, v58 bitop3:0x14
	global_store_b64 v64, v[58:59], s[40:41] scale_offset
	s_wait_xcnt 0x0
	s_or_b32 exec_lo, exec_lo, s19
	v_cmp_lt_u32_e64 s18, v101, v165
	s_and_saveexec_b32 s20, s18
	s_cbranch_execz .LBB1142_1062
.LBB1142_1130:                          ;   in Loop: Header=BB1142_979 Depth=2
	ds_load_b64 v[58:59], v123 offset:9216
	s_wait_dscnt 0x0
	v_cmp_ne_u64_e64 s19, s[42:43], v[58:59]
	s_delay_alu instid0(VALU_DEP_1) | instskip(SKIP_2) | instid1(VALU_DEP_2)
	v_cndmask_b32_e64 v65, 0x7fffffff, v59, s19
	v_cndmask_b32_e64 v64, -1, v58, s19
	v_cmp_gt_i64_e64 s19, 0, v[58:59]
	v_lshrrev_b64 v[64:65], s48, v[64:65]
	v_ashrrev_i32_e32 v65, 31, v59
	s_delay_alu instid0(VALU_DEP_3) | instskip(NEXT) | instid1(VALU_DEP_2)
	v_cndmask_b32_e64 v66, 0x7fffffff, 0, s19
	v_not_b32_e32 v65, v65
	s_delay_alu instid0(VALU_DEP_4) | instskip(NEXT) | instid1(VALU_DEP_1)
	v_and_b32_e32 v64, s55, v64
	v_dual_lshlrev_b32 v64, 2, v64 :: v_dual_bitop2_b32 v59, v66, v59 bitop3:0x14
	ds_load_b32 v64, v64
	s_wait_dscnt 0x0
	v_dual_add_nc_u32 v64, v64, v101 :: v_dual_bitop2_b32 v58, v65, v58 bitop3:0x14
	global_store_b64 v64, v[58:59], s[40:41] scale_offset
	s_wait_xcnt 0x0
	s_or_b32 exec_lo, exec_lo, s20
	v_cmp_lt_u32_e64 s19, v102, v165
	s_and_saveexec_b32 s21, s19
	s_cbranch_execz .LBB1142_1063
.LBB1142_1131:                          ;   in Loop: Header=BB1142_979 Depth=2
	ds_load_b64 v[58:59], v123 offset:11264
	s_wait_dscnt 0x0
	v_cmp_ne_u64_e64 s20, s[42:43], v[58:59]
	s_delay_alu instid0(VALU_DEP_1) | instskip(SKIP_2) | instid1(VALU_DEP_2)
	v_cndmask_b32_e64 v65, 0x7fffffff, v59, s20
	v_cndmask_b32_e64 v64, -1, v58, s20
	v_cmp_gt_i64_e64 s20, 0, v[58:59]
	v_lshrrev_b64 v[64:65], s48, v[64:65]
	v_ashrrev_i32_e32 v65, 31, v59
	s_delay_alu instid0(VALU_DEP_3) | instskip(NEXT) | instid1(VALU_DEP_2)
	v_cndmask_b32_e64 v66, 0x7fffffff, 0, s20
	v_not_b32_e32 v65, v65
	s_delay_alu instid0(VALU_DEP_4) | instskip(NEXT) | instid1(VALU_DEP_3)
	v_and_b32_e32 v64, s55, v64
	v_xor_b32_e32 v59, v66, v59
	s_delay_alu instid0(VALU_DEP_2)
	v_dual_lshlrev_b32 v64, 2, v64 :: v_dual_bitop2_b32 v58, v65, v58 bitop3:0x14
	ds_load_b32 v64, v64
	s_wait_dscnt 0x0
	v_add_nc_u32_e32 v64, v64, v102
	global_store_b64 v64, v[58:59], s[40:41] scale_offset
	s_wait_xcnt 0x0
	s_or_b32 exec_lo, exec_lo, s21
	v_cmp_lt_u32_e64 s20, v103, v165
	s_and_saveexec_b32 s22, s20
	s_cbranch_execz .LBB1142_1064
.LBB1142_1132:                          ;   in Loop: Header=BB1142_979 Depth=2
	ds_load_b64 v[58:59], v123 offset:13312
	s_wait_dscnt 0x0
	v_cmp_ne_u64_e64 s21, s[42:43], v[58:59]
	s_delay_alu instid0(VALU_DEP_1) | instskip(SKIP_2) | instid1(VALU_DEP_2)
	v_cndmask_b32_e64 v65, 0x7fffffff, v59, s21
	v_cndmask_b32_e64 v64, -1, v58, s21
	v_cmp_gt_i64_e64 s21, 0, v[58:59]
	v_lshrrev_b64 v[64:65], s48, v[64:65]
	v_ashrrev_i32_e32 v65, 31, v59
	s_delay_alu instid0(VALU_DEP_3) | instskip(NEXT) | instid1(VALU_DEP_2)
	v_cndmask_b32_e64 v66, 0x7fffffff, 0, s21
	v_not_b32_e32 v65, v65
	s_delay_alu instid0(VALU_DEP_4) | instskip(NEXT) | instid1(VALU_DEP_1)
	v_and_b32_e32 v64, s55, v64
	v_dual_lshlrev_b32 v64, 2, v64 :: v_dual_bitop2_b32 v59, v66, v59 bitop3:0x14
	ds_load_b32 v64, v64
	s_wait_dscnt 0x0
	v_dual_add_nc_u32 v64, v64, v103 :: v_dual_bitop2_b32 v58, v65, v58 bitop3:0x14
	global_store_b64 v64, v[58:59], s[40:41] scale_offset
	s_wait_xcnt 0x0
	s_or_b32 exec_lo, exec_lo, s22
	v_cmp_lt_u32_e64 s21, v104, v165
	s_and_saveexec_b32 s23, s21
	s_cbranch_execz .LBB1142_1065
.LBB1142_1133:                          ;   in Loop: Header=BB1142_979 Depth=2
	ds_load_b64 v[58:59], v123 offset:15360
	s_wait_dscnt 0x0
	v_cmp_ne_u64_e64 s22, s[42:43], v[58:59]
	s_delay_alu instid0(VALU_DEP_1) | instskip(SKIP_2) | instid1(VALU_DEP_2)
	v_cndmask_b32_e64 v65, 0x7fffffff, v59, s22
	v_cndmask_b32_e64 v64, -1, v58, s22
	v_cmp_gt_i64_e64 s22, 0, v[58:59]
	v_lshrrev_b64 v[64:65], s48, v[64:65]
	v_ashrrev_i32_e32 v65, 31, v59
	s_delay_alu instid0(VALU_DEP_3) | instskip(NEXT) | instid1(VALU_DEP_2)
	v_cndmask_b32_e64 v66, 0x7fffffff, 0, s22
	v_not_b32_e32 v65, v65
	s_delay_alu instid0(VALU_DEP_4) | instskip(NEXT) | instid1(VALU_DEP_1)
	v_and_b32_e32 v64, s55, v64
	v_dual_lshlrev_b32 v64, 2, v64 :: v_dual_bitop2_b32 v59, v66, v59 bitop3:0x14
	ds_load_b32 v64, v64
	s_wait_dscnt 0x0
	v_dual_add_nc_u32 v64, v64, v104 :: v_dual_bitop2_b32 v58, v65, v58 bitop3:0x14
	global_store_b64 v64, v[58:59], s[40:41] scale_offset
	s_wait_xcnt 0x0
	s_or_b32 exec_lo, exec_lo, s23
	v_cmp_lt_u32_e64 s22, v105, v165
	s_and_saveexec_b32 s24, s22
	s_cbranch_execz .LBB1142_1066
.LBB1142_1134:                          ;   in Loop: Header=BB1142_979 Depth=2
	ds_load_b64 v[58:59], v123 offset:17408
	s_wait_dscnt 0x0
	v_cmp_ne_u64_e64 s23, s[42:43], v[58:59]
	s_delay_alu instid0(VALU_DEP_1) | instskip(SKIP_2) | instid1(VALU_DEP_2)
	v_cndmask_b32_e64 v65, 0x7fffffff, v59, s23
	v_cndmask_b32_e64 v64, -1, v58, s23
	v_cmp_gt_i64_e64 s23, 0, v[58:59]
	v_lshrrev_b64 v[64:65], s48, v[64:65]
	v_ashrrev_i32_e32 v65, 31, v59
	s_delay_alu instid0(VALU_DEP_3) | instskip(NEXT) | instid1(VALU_DEP_2)
	v_cndmask_b32_e64 v66, 0x7fffffff, 0, s23
	v_not_b32_e32 v65, v65
	s_delay_alu instid0(VALU_DEP_4) | instskip(NEXT) | instid1(VALU_DEP_1)
	v_and_b32_e32 v64, s55, v64
	v_dual_lshlrev_b32 v64, 2, v64 :: v_dual_bitop2_b32 v59, v66, v59 bitop3:0x14
	ds_load_b32 v64, v64
	s_wait_dscnt 0x0
	v_dual_add_nc_u32 v64, v64, v105 :: v_dual_bitop2_b32 v58, v65, v58 bitop3:0x14
	global_store_b64 v64, v[58:59], s[40:41] scale_offset
	s_wait_xcnt 0x0
	s_or_b32 exec_lo, exec_lo, s24
	v_cmp_lt_u32_e64 s23, v106, v165
	s_and_saveexec_b32 s25, s23
	s_cbranch_execz .LBB1142_1067
.LBB1142_1135:                          ;   in Loop: Header=BB1142_979 Depth=2
	ds_load_b64 v[58:59], v123 offset:19456
	s_wait_dscnt 0x0
	v_cmp_ne_u64_e64 s24, s[42:43], v[58:59]
	s_delay_alu instid0(VALU_DEP_1) | instskip(SKIP_2) | instid1(VALU_DEP_2)
	v_cndmask_b32_e64 v65, 0x7fffffff, v59, s24
	v_cndmask_b32_e64 v64, -1, v58, s24
	v_cmp_gt_i64_e64 s24, 0, v[58:59]
	v_lshrrev_b64 v[64:65], s48, v[64:65]
	v_ashrrev_i32_e32 v65, 31, v59
	s_delay_alu instid0(VALU_DEP_3) | instskip(NEXT) | instid1(VALU_DEP_2)
	v_cndmask_b32_e64 v66, 0x7fffffff, 0, s24
	v_not_b32_e32 v65, v65
	s_delay_alu instid0(VALU_DEP_4) | instskip(NEXT) | instid1(VALU_DEP_3)
	v_and_b32_e32 v64, s55, v64
	v_xor_b32_e32 v59, v66, v59
	s_delay_alu instid0(VALU_DEP_2)
	v_dual_lshlrev_b32 v64, 2, v64 :: v_dual_bitop2_b32 v58, v65, v58 bitop3:0x14
	ds_load_b32 v64, v64
	s_wait_dscnt 0x0
	v_add_nc_u32_e32 v64, v64, v106
	global_store_b64 v64, v[58:59], s[40:41] scale_offset
	s_wait_xcnt 0x0
	s_or_b32 exec_lo, exec_lo, s25
	v_cmp_lt_u32_e64 s24, v107, v165
	s_and_saveexec_b32 s26, s24
	s_cbranch_execz .LBB1142_1068
.LBB1142_1136:                          ;   in Loop: Header=BB1142_979 Depth=2
	ds_load_b64 v[58:59], v123 offset:21504
	s_wait_dscnt 0x0
	v_cmp_ne_u64_e64 s25, s[42:43], v[58:59]
	s_delay_alu instid0(VALU_DEP_1) | instskip(SKIP_2) | instid1(VALU_DEP_2)
	v_cndmask_b32_e64 v65, 0x7fffffff, v59, s25
	v_cndmask_b32_e64 v64, -1, v58, s25
	v_cmp_gt_i64_e64 s25, 0, v[58:59]
	v_lshrrev_b64 v[64:65], s48, v[64:65]
	v_ashrrev_i32_e32 v65, 31, v59
	s_delay_alu instid0(VALU_DEP_3) | instskip(NEXT) | instid1(VALU_DEP_2)
	v_cndmask_b32_e64 v66, 0x7fffffff, 0, s25
	v_not_b32_e32 v65, v65
	s_delay_alu instid0(VALU_DEP_4) | instskip(NEXT) | instid1(VALU_DEP_1)
	v_and_b32_e32 v64, s55, v64
	v_dual_lshlrev_b32 v64, 2, v64 :: v_dual_bitop2_b32 v59, v66, v59 bitop3:0x14
	ds_load_b32 v64, v64
	s_wait_dscnt 0x0
	v_dual_add_nc_u32 v64, v64, v107 :: v_dual_bitop2_b32 v58, v65, v58 bitop3:0x14
	global_store_b64 v64, v[58:59], s[40:41] scale_offset
	s_wait_xcnt 0x0
	s_or_b32 exec_lo, exec_lo, s26
	v_cmp_lt_u32_e64 s25, v108, v165
	s_and_saveexec_b32 s27, s25
	s_cbranch_execz .LBB1142_1069
.LBB1142_1137:                          ;   in Loop: Header=BB1142_979 Depth=2
	ds_load_b64 v[58:59], v123 offset:23552
	s_wait_dscnt 0x0
	v_cmp_ne_u64_e64 s26, s[42:43], v[58:59]
	s_delay_alu instid0(VALU_DEP_1) | instskip(SKIP_2) | instid1(VALU_DEP_2)
	v_cndmask_b32_e64 v65, 0x7fffffff, v59, s26
	v_cndmask_b32_e64 v64, -1, v58, s26
	v_cmp_gt_i64_e64 s26, 0, v[58:59]
	v_lshrrev_b64 v[64:65], s48, v[64:65]
	v_ashrrev_i32_e32 v65, 31, v59
	s_delay_alu instid0(VALU_DEP_3) | instskip(NEXT) | instid1(VALU_DEP_2)
	v_cndmask_b32_e64 v66, 0x7fffffff, 0, s26
	v_not_b32_e32 v65, v65
	s_delay_alu instid0(VALU_DEP_4) | instskip(NEXT) | instid1(VALU_DEP_1)
	v_and_b32_e32 v64, s55, v64
	v_dual_lshlrev_b32 v64, 2, v64 :: v_dual_bitop2_b32 v59, v66, v59 bitop3:0x14
	ds_load_b32 v64, v64
	s_wait_dscnt 0x0
	v_dual_add_nc_u32 v64, v64, v108 :: v_dual_bitop2_b32 v58, v65, v58 bitop3:0x14
	global_store_b64 v64, v[58:59], s[40:41] scale_offset
	s_wait_xcnt 0x0
	s_or_b32 exec_lo, exec_lo, s27
	v_cmp_lt_u32_e64 s26, v109, v165
	s_and_saveexec_b32 s28, s26
	s_cbranch_execz .LBB1142_1070
.LBB1142_1138:                          ;   in Loop: Header=BB1142_979 Depth=2
	ds_load_b64 v[58:59], v123 offset:25600
	s_wait_dscnt 0x0
	v_cmp_ne_u64_e64 s27, s[42:43], v[58:59]
	s_delay_alu instid0(VALU_DEP_1) | instskip(SKIP_2) | instid1(VALU_DEP_2)
	v_cndmask_b32_e64 v65, 0x7fffffff, v59, s27
	v_cndmask_b32_e64 v64, -1, v58, s27
	v_cmp_gt_i64_e64 s27, 0, v[58:59]
	v_lshrrev_b64 v[64:65], s48, v[64:65]
	v_ashrrev_i32_e32 v65, 31, v59
	s_delay_alu instid0(VALU_DEP_3) | instskip(NEXT) | instid1(VALU_DEP_2)
	v_cndmask_b32_e64 v66, 0x7fffffff, 0, s27
	v_not_b32_e32 v65, v65
	s_delay_alu instid0(VALU_DEP_4) | instskip(NEXT) | instid1(VALU_DEP_1)
	v_and_b32_e32 v64, s55, v64
	v_dual_lshlrev_b32 v64, 2, v64 :: v_dual_bitop2_b32 v59, v66, v59 bitop3:0x14
	ds_load_b32 v64, v64
	s_wait_dscnt 0x0
	v_dual_add_nc_u32 v64, v64, v109 :: v_dual_bitop2_b32 v58, v65, v58 bitop3:0x14
	global_store_b64 v64, v[58:59], s[40:41] scale_offset
	s_wait_xcnt 0x0
	s_or_b32 exec_lo, exec_lo, s28
	v_cmp_lt_u32_e64 s27, v110, v165
	s_and_saveexec_b32 s29, s27
	s_cbranch_execz .LBB1142_1071
.LBB1142_1139:                          ;   in Loop: Header=BB1142_979 Depth=2
	ds_load_b64 v[58:59], v123 offset:27648
	s_wait_dscnt 0x0
	v_cmp_ne_u64_e64 s28, s[42:43], v[58:59]
	s_delay_alu instid0(VALU_DEP_1) | instskip(SKIP_2) | instid1(VALU_DEP_2)
	v_cndmask_b32_e64 v65, 0x7fffffff, v59, s28
	v_cndmask_b32_e64 v64, -1, v58, s28
	v_cmp_gt_i64_e64 s28, 0, v[58:59]
	v_lshrrev_b64 v[64:65], s48, v[64:65]
	v_ashrrev_i32_e32 v65, 31, v59
	s_delay_alu instid0(VALU_DEP_3) | instskip(NEXT) | instid1(VALU_DEP_2)
	v_cndmask_b32_e64 v66, 0x7fffffff, 0, s28
	v_not_b32_e32 v65, v65
	s_delay_alu instid0(VALU_DEP_4) | instskip(NEXT) | instid1(VALU_DEP_3)
	v_and_b32_e32 v64, s55, v64
	v_xor_b32_e32 v59, v66, v59
	s_delay_alu instid0(VALU_DEP_2)
	v_dual_lshlrev_b32 v64, 2, v64 :: v_dual_bitop2_b32 v58, v65, v58 bitop3:0x14
	ds_load_b32 v64, v64
	s_wait_dscnt 0x0
	v_add_nc_u32_e32 v64, v64, v110
	global_store_b64 v64, v[58:59], s[40:41] scale_offset
	s_wait_xcnt 0x0
	s_or_b32 exec_lo, exec_lo, s29
	v_cmp_lt_u32_e64 s28, v111, v165
	s_and_saveexec_b32 s30, s28
	s_cbranch_execz .LBB1142_1072
.LBB1142_1140:                          ;   in Loop: Header=BB1142_979 Depth=2
	ds_load_b64 v[58:59], v123 offset:29696
	s_wait_dscnt 0x0
	v_cmp_ne_u64_e64 s29, s[42:43], v[58:59]
	s_delay_alu instid0(VALU_DEP_1) | instskip(SKIP_2) | instid1(VALU_DEP_2)
	v_cndmask_b32_e64 v65, 0x7fffffff, v59, s29
	v_cndmask_b32_e64 v64, -1, v58, s29
	v_cmp_gt_i64_e64 s29, 0, v[58:59]
	v_lshrrev_b64 v[64:65], s48, v[64:65]
	v_ashrrev_i32_e32 v65, 31, v59
	s_delay_alu instid0(VALU_DEP_3) | instskip(NEXT) | instid1(VALU_DEP_2)
	v_cndmask_b32_e64 v66, 0x7fffffff, 0, s29
	v_not_b32_e32 v65, v65
	s_delay_alu instid0(VALU_DEP_4) | instskip(NEXT) | instid1(VALU_DEP_1)
	v_and_b32_e32 v64, s55, v64
	v_dual_lshlrev_b32 v64, 2, v64 :: v_dual_bitop2_b32 v59, v66, v59 bitop3:0x14
	ds_load_b32 v64, v64
	s_wait_dscnt 0x0
	v_dual_add_nc_u32 v64, v64, v111 :: v_dual_bitop2_b32 v58, v65, v58 bitop3:0x14
	global_store_b64 v64, v[58:59], s[40:41] scale_offset
	s_wait_xcnt 0x0
	s_or_b32 exec_lo, exec_lo, s30
	v_cmp_lt_u32_e64 s29, v112, v165
	s_and_saveexec_b32 s61, s29
	s_cbranch_execnz .LBB1142_1073
	s_branch .LBB1142_1074
.LBB1142_1141:                          ;   in Loop: Header=BB1142_979 Depth=2
	global_load_b64 v[56:57], v[58:59], off
	s_wait_xcnt 0x0
	s_or_b32 exec_lo, exec_lo, s30
	s_delay_alu instid0(SALU_CYCLE_1)
	s_mov_b32 s34, exec_lo
	v_cmpx_lt_u32_e64 v132, v165
	s_cbranch_execz .LBB1142_1076
.LBB1142_1142:                          ;   in Loop: Header=BB1142_979 Depth=2
	global_load_b64 v[54:55], v[58:59], off offset:256
	s_wait_xcnt 0x0
	s_or_b32 exec_lo, exec_lo, s34
	s_delay_alu instid0(SALU_CYCLE_1)
	s_mov_b32 s34, exec_lo
	v_cmpx_lt_u32_e64 v133, v165
	s_cbranch_execz .LBB1142_1077
.LBB1142_1143:                          ;   in Loop: Header=BB1142_979 Depth=2
	global_load_b64 v[52:53], v[58:59], off offset:512
	s_wait_xcnt 0x0
	s_or_b32 exec_lo, exec_lo, s34
	s_delay_alu instid0(SALU_CYCLE_1)
	s_mov_b32 s34, exec_lo
	v_cmpx_lt_u32_e64 v134, v165
	s_cbranch_execz .LBB1142_1078
.LBB1142_1144:                          ;   in Loop: Header=BB1142_979 Depth=2
	global_load_b64 v[50:51], v[58:59], off offset:768
	s_wait_xcnt 0x0
	s_or_b32 exec_lo, exec_lo, s34
	s_delay_alu instid0(SALU_CYCLE_1)
	s_mov_b32 s34, exec_lo
	v_cmpx_lt_u32_e64 v135, v165
	s_cbranch_execz .LBB1142_1079
.LBB1142_1145:                          ;   in Loop: Header=BB1142_979 Depth=2
	global_load_b64 v[48:49], v[58:59], off offset:1024
	s_wait_xcnt 0x0
	s_or_b32 exec_lo, exec_lo, s34
	s_delay_alu instid0(SALU_CYCLE_1)
	s_mov_b32 s34, exec_lo
	v_cmpx_lt_u32_e64 v136, v165
	s_cbranch_execz .LBB1142_1080
.LBB1142_1146:                          ;   in Loop: Header=BB1142_979 Depth=2
	global_load_b64 v[46:47], v[58:59], off offset:1280
	s_wait_xcnt 0x0
	s_or_b32 exec_lo, exec_lo, s34
	s_delay_alu instid0(SALU_CYCLE_1)
	s_mov_b32 s34, exec_lo
	v_cmpx_lt_u32_e64 v137, v165
	s_cbranch_execz .LBB1142_1081
.LBB1142_1147:                          ;   in Loop: Header=BB1142_979 Depth=2
	global_load_b64 v[44:45], v[58:59], off offset:1536
	s_wait_xcnt 0x0
	s_or_b32 exec_lo, exec_lo, s34
	s_delay_alu instid0(SALU_CYCLE_1)
	s_mov_b32 s34, exec_lo
	v_cmpx_lt_u32_e64 v138, v165
	s_cbranch_execz .LBB1142_1082
.LBB1142_1148:                          ;   in Loop: Header=BB1142_979 Depth=2
	global_load_b64 v[42:43], v[58:59], off offset:1792
	s_wait_xcnt 0x0
	s_or_b32 exec_lo, exec_lo, s34
	s_delay_alu instid0(SALU_CYCLE_1)
	s_mov_b32 s34, exec_lo
	v_cmpx_lt_u32_e64 v139, v165
	s_cbranch_execz .LBB1142_1083
.LBB1142_1149:                          ;   in Loop: Header=BB1142_979 Depth=2
	global_load_b64 v[40:41], v[58:59], off offset:2048
	s_wait_xcnt 0x0
	s_or_b32 exec_lo, exec_lo, s34
	s_delay_alu instid0(SALU_CYCLE_1)
	s_mov_b32 s34, exec_lo
	v_cmpx_lt_u32_e64 v140, v165
	s_cbranch_execz .LBB1142_1084
.LBB1142_1150:                          ;   in Loop: Header=BB1142_979 Depth=2
	global_load_b64 v[38:39], v[58:59], off offset:2304
	s_wait_xcnt 0x0
	s_or_b32 exec_lo, exec_lo, s34
	s_delay_alu instid0(SALU_CYCLE_1)
	s_mov_b32 s34, exec_lo
	v_cmpx_lt_u32_e64 v141, v165
	s_cbranch_execz .LBB1142_1085
.LBB1142_1151:                          ;   in Loop: Header=BB1142_979 Depth=2
	global_load_b64 v[36:37], v[58:59], off offset:2560
	s_wait_xcnt 0x0
	s_or_b32 exec_lo, exec_lo, s34
	s_delay_alu instid0(SALU_CYCLE_1)
	s_mov_b32 s34, exec_lo
	v_cmpx_lt_u32_e64 v142, v165
	s_cbranch_execz .LBB1142_1086
.LBB1142_1152:                          ;   in Loop: Header=BB1142_979 Depth=2
	global_load_b64 v[34:35], v[58:59], off offset:2816
	s_wait_xcnt 0x0
	s_or_b32 exec_lo, exec_lo, s34
	s_delay_alu instid0(SALU_CYCLE_1)
	s_mov_b32 s34, exec_lo
	v_cmpx_lt_u32_e64 v143, v165
	s_cbranch_execz .LBB1142_1087
.LBB1142_1153:                          ;   in Loop: Header=BB1142_979 Depth=2
	global_load_b64 v[32:33], v[58:59], off offset:3072
	s_wait_xcnt 0x0
	s_or_b32 exec_lo, exec_lo, s34
	s_delay_alu instid0(SALU_CYCLE_1)
	s_mov_b32 s34, exec_lo
	v_cmpx_lt_u32_e64 v144, v165
	s_cbranch_execz .LBB1142_1088
.LBB1142_1154:                          ;   in Loop: Header=BB1142_979 Depth=2
	global_load_b64 v[30:31], v[58:59], off offset:3328
	s_wait_xcnt 0x0
	s_or_b32 exec_lo, exec_lo, s34
	s_delay_alu instid0(SALU_CYCLE_1)
	s_mov_b32 s34, exec_lo
	v_cmpx_lt_u32_e64 v145, v165
	s_cbranch_execz .LBB1142_1089
.LBB1142_1155:                          ;   in Loop: Header=BB1142_979 Depth=2
	global_load_b64 v[28:29], v[58:59], off offset:3584
	s_wait_xcnt 0x0
	s_or_b32 exec_lo, exec_lo, s34
	s_delay_alu instid0(SALU_CYCLE_1)
	s_mov_b32 s34, exec_lo
	v_cmpx_lt_u32_e64 v146, v165
	s_cbranch_execz .LBB1142_1090
.LBB1142_1156:                          ;   in Loop: Header=BB1142_979 Depth=2
	global_load_b64 v[26:27], v[58:59], off offset:3840
	s_wait_xcnt 0x0
	s_or_b32 exec_lo, exec_lo, s34
	s_and_saveexec_b32 s34, vcc_lo
	s_cbranch_execz .LBB1142_1091
.LBB1142_1157:                          ;   in Loop: Header=BB1142_979 Depth=2
	ds_load_b64 v[58:59], v123 offset:1024
	s_wait_dscnt 0x0
	v_cmp_ne_u64_e64 s30, s[42:43], v[58:59]
	s_delay_alu instid0(VALU_DEP_1) | instskip(SKIP_1) | instid1(VALU_DEP_1)
	v_cndmask_b32_e64 v59, 0x7fffffff, v59, s30
	v_cndmask_b32_e64 v58, -1, v58, s30
	v_lshrrev_b64 v[58:59], s48, v[58:59]
	s_delay_alu instid0(VALU_DEP_1)
	v_and_b32_e32 v164, s55, v58
	s_or_b32 exec_lo, exec_lo, s34
	s_and_saveexec_b32 s34, s15
	s_cbranch_execz .LBB1142_1092
.LBB1142_1158:                          ;   in Loop: Header=BB1142_979 Depth=2
	ds_load_b64 v[58:59], v123 offset:3072
	s_wait_dscnt 0x0
	v_cmp_ne_u64_e64 s30, s[42:43], v[58:59]
	s_delay_alu instid0(VALU_DEP_1) | instskip(SKIP_1) | instid1(VALU_DEP_1)
	v_cndmask_b32_e64 v59, 0x7fffffff, v59, s30
	v_cndmask_b32_e64 v58, -1, v58, s30
	v_lshrrev_b64 v[58:59], s48, v[58:59]
	s_delay_alu instid0(VALU_DEP_1)
	v_and_b32_e32 v163, s55, v58
	s_or_b32 exec_lo, exec_lo, s34
	s_and_saveexec_b32 s34, s16
	s_cbranch_execz .LBB1142_1093
.LBB1142_1159:                          ;   in Loop: Header=BB1142_979 Depth=2
	ds_load_b64 v[58:59], v123 offset:5120
	s_wait_dscnt 0x0
	v_cmp_ne_u64_e64 s30, s[42:43], v[58:59]
	s_delay_alu instid0(VALU_DEP_1) | instskip(SKIP_1) | instid1(VALU_DEP_1)
	v_cndmask_b32_e64 v59, 0x7fffffff, v59, s30
	v_cndmask_b32_e64 v58, -1, v58, s30
	v_lshrrev_b64 v[58:59], s48, v[58:59]
	s_delay_alu instid0(VALU_DEP_1)
	v_and_b32_e32 v162, s55, v58
	s_or_b32 exec_lo, exec_lo, s34
	s_and_saveexec_b32 s34, s17
	s_cbranch_execz .LBB1142_1094
.LBB1142_1160:                          ;   in Loop: Header=BB1142_979 Depth=2
	ds_load_b64 v[58:59], v123 offset:7168
	s_wait_dscnt 0x0
	v_cmp_ne_u64_e64 s30, s[42:43], v[58:59]
	s_delay_alu instid0(VALU_DEP_1) | instskip(SKIP_1) | instid1(VALU_DEP_1)
	v_cndmask_b32_e64 v59, 0x7fffffff, v59, s30
	v_cndmask_b32_e64 v58, -1, v58, s30
	v_lshrrev_b64 v[58:59], s48, v[58:59]
	s_delay_alu instid0(VALU_DEP_1)
	v_and_b32_e32 v161, s55, v58
	s_or_b32 exec_lo, exec_lo, s34
	s_and_saveexec_b32 s34, s18
	s_cbranch_execz .LBB1142_1095
.LBB1142_1161:                          ;   in Loop: Header=BB1142_979 Depth=2
	ds_load_b64 v[58:59], v123 offset:9216
	s_wait_dscnt 0x0
	v_cmp_ne_u64_e64 s30, s[42:43], v[58:59]
	s_delay_alu instid0(VALU_DEP_1) | instskip(SKIP_1) | instid1(VALU_DEP_1)
	v_cndmask_b32_e64 v59, 0x7fffffff, v59, s30
	v_cndmask_b32_e64 v58, -1, v58, s30
	v_lshrrev_b64 v[58:59], s48, v[58:59]
	s_delay_alu instid0(VALU_DEP_1)
	v_and_b32_e32 v160, s55, v58
	s_or_b32 exec_lo, exec_lo, s34
	s_and_saveexec_b32 s34, s19
	s_cbranch_execz .LBB1142_1096
.LBB1142_1162:                          ;   in Loop: Header=BB1142_979 Depth=2
	ds_load_b64 v[58:59], v123 offset:11264
	s_wait_dscnt 0x0
	v_cmp_ne_u64_e64 s30, s[42:43], v[58:59]
	s_delay_alu instid0(VALU_DEP_1) | instskip(SKIP_1) | instid1(VALU_DEP_1)
	v_cndmask_b32_e64 v59, 0x7fffffff, v59, s30
	v_cndmask_b32_e64 v58, -1, v58, s30
	v_lshrrev_b64 v[58:59], s48, v[58:59]
	s_delay_alu instid0(VALU_DEP_1)
	v_and_b32_e32 v159, s55, v58
	s_or_b32 exec_lo, exec_lo, s34
	s_and_saveexec_b32 s34, s20
	s_cbranch_execz .LBB1142_1097
.LBB1142_1163:                          ;   in Loop: Header=BB1142_979 Depth=2
	ds_load_b64 v[58:59], v123 offset:13312
	s_wait_dscnt 0x0
	v_cmp_ne_u64_e64 s30, s[42:43], v[58:59]
	s_delay_alu instid0(VALU_DEP_1) | instskip(SKIP_1) | instid1(VALU_DEP_1)
	v_cndmask_b32_e64 v59, 0x7fffffff, v59, s30
	v_cndmask_b32_e64 v58, -1, v58, s30
	v_lshrrev_b64 v[58:59], s48, v[58:59]
	s_delay_alu instid0(VALU_DEP_1)
	v_and_b32_e32 v158, s55, v58
	s_or_b32 exec_lo, exec_lo, s34
	s_and_saveexec_b32 s34, s21
	s_cbranch_execz .LBB1142_1098
.LBB1142_1164:                          ;   in Loop: Header=BB1142_979 Depth=2
	ds_load_b64 v[58:59], v123 offset:15360
	s_wait_dscnt 0x0
	v_cmp_ne_u64_e64 s30, s[42:43], v[58:59]
	s_delay_alu instid0(VALU_DEP_1) | instskip(SKIP_1) | instid1(VALU_DEP_1)
	v_cndmask_b32_e64 v59, 0x7fffffff, v59, s30
	v_cndmask_b32_e64 v58, -1, v58, s30
	v_lshrrev_b64 v[58:59], s48, v[58:59]
	s_delay_alu instid0(VALU_DEP_1)
	v_and_b32_e32 v157, s55, v58
	s_or_b32 exec_lo, exec_lo, s34
	s_and_saveexec_b32 s34, s22
	s_cbranch_execz .LBB1142_1099
.LBB1142_1165:                          ;   in Loop: Header=BB1142_979 Depth=2
	ds_load_b64 v[58:59], v123 offset:17408
	s_wait_dscnt 0x0
	v_cmp_ne_u64_e64 s30, s[42:43], v[58:59]
	s_delay_alu instid0(VALU_DEP_1) | instskip(SKIP_1) | instid1(VALU_DEP_1)
	v_cndmask_b32_e64 v59, 0x7fffffff, v59, s30
	v_cndmask_b32_e64 v58, -1, v58, s30
	v_lshrrev_b64 v[58:59], s48, v[58:59]
	s_delay_alu instid0(VALU_DEP_1)
	v_and_b32_e32 v156, s55, v58
	s_or_b32 exec_lo, exec_lo, s34
	s_and_saveexec_b32 s34, s23
	s_cbranch_execz .LBB1142_1100
.LBB1142_1166:                          ;   in Loop: Header=BB1142_979 Depth=2
	ds_load_b64 v[58:59], v123 offset:19456
	s_wait_dscnt 0x0
	v_cmp_ne_u64_e64 s30, s[42:43], v[58:59]
	s_delay_alu instid0(VALU_DEP_1) | instskip(SKIP_1) | instid1(VALU_DEP_1)
	v_cndmask_b32_e64 v59, 0x7fffffff, v59, s30
	v_cndmask_b32_e64 v58, -1, v58, s30
	v_lshrrev_b64 v[58:59], s48, v[58:59]
	s_delay_alu instid0(VALU_DEP_1)
	v_and_b32_e32 v155, s55, v58
	s_or_b32 exec_lo, exec_lo, s34
	s_and_saveexec_b32 s34, s24
	s_cbranch_execz .LBB1142_1101
.LBB1142_1167:                          ;   in Loop: Header=BB1142_979 Depth=2
	ds_load_b64 v[58:59], v123 offset:21504
	s_wait_dscnt 0x0
	v_cmp_ne_u64_e64 s30, s[42:43], v[58:59]
	s_delay_alu instid0(VALU_DEP_1) | instskip(SKIP_1) | instid1(VALU_DEP_1)
	v_cndmask_b32_e64 v59, 0x7fffffff, v59, s30
	v_cndmask_b32_e64 v58, -1, v58, s30
	v_lshrrev_b64 v[58:59], s48, v[58:59]
	s_delay_alu instid0(VALU_DEP_1)
	v_and_b32_e32 v154, s55, v58
	s_or_b32 exec_lo, exec_lo, s34
	s_and_saveexec_b32 s34, s25
	s_cbranch_execz .LBB1142_1102
.LBB1142_1168:                          ;   in Loop: Header=BB1142_979 Depth=2
	ds_load_b64 v[58:59], v123 offset:23552
	s_wait_dscnt 0x0
	v_cmp_ne_u64_e64 s30, s[42:43], v[58:59]
	s_delay_alu instid0(VALU_DEP_1) | instskip(SKIP_1) | instid1(VALU_DEP_1)
	v_cndmask_b32_e64 v59, 0x7fffffff, v59, s30
	v_cndmask_b32_e64 v58, -1, v58, s30
	v_lshrrev_b64 v[58:59], s48, v[58:59]
	s_delay_alu instid0(VALU_DEP_1)
	v_and_b32_e32 v153, s55, v58
	s_or_b32 exec_lo, exec_lo, s34
	s_and_saveexec_b32 s34, s26
	s_cbranch_execz .LBB1142_1103
.LBB1142_1169:                          ;   in Loop: Header=BB1142_979 Depth=2
	ds_load_b64 v[58:59], v123 offset:25600
	s_wait_dscnt 0x0
	v_cmp_ne_u64_e64 s30, s[42:43], v[58:59]
	s_delay_alu instid0(VALU_DEP_1) | instskip(SKIP_1) | instid1(VALU_DEP_1)
	v_cndmask_b32_e64 v59, 0x7fffffff, v59, s30
	v_cndmask_b32_e64 v58, -1, v58, s30
	v_lshrrev_b64 v[58:59], s48, v[58:59]
	s_delay_alu instid0(VALU_DEP_1)
	v_and_b32_e32 v152, s55, v58
	s_or_b32 exec_lo, exec_lo, s34
	s_and_saveexec_b32 s34, s27
	s_cbranch_execz .LBB1142_1104
.LBB1142_1170:                          ;   in Loop: Header=BB1142_979 Depth=2
	ds_load_b64 v[58:59], v123 offset:27648
	s_wait_dscnt 0x0
	v_cmp_ne_u64_e64 s30, s[42:43], v[58:59]
	s_delay_alu instid0(VALU_DEP_1) | instskip(SKIP_1) | instid1(VALU_DEP_1)
	v_cndmask_b32_e64 v59, 0x7fffffff, v59, s30
	v_cndmask_b32_e64 v58, -1, v58, s30
	v_lshrrev_b64 v[58:59], s48, v[58:59]
	s_delay_alu instid0(VALU_DEP_1)
	v_and_b32_e32 v151, s55, v58
	s_or_b32 exec_lo, exec_lo, s34
	s_and_saveexec_b32 s34, s28
	s_cbranch_execz .LBB1142_1105
.LBB1142_1171:                          ;   in Loop: Header=BB1142_979 Depth=2
	ds_load_b64 v[58:59], v123 offset:29696
	s_wait_dscnt 0x0
	v_cmp_ne_u64_e64 s30, s[42:43], v[58:59]
	s_delay_alu instid0(VALU_DEP_1) | instskip(SKIP_1) | instid1(VALU_DEP_1)
	v_cndmask_b32_e64 v59, 0x7fffffff, v59, s30
	v_cndmask_b32_e64 v58, -1, v58, s30
	v_lshrrev_b64 v[58:59], s48, v[58:59]
	s_delay_alu instid0(VALU_DEP_1)
	v_and_b32_e32 v150, s55, v58
	s_or_b32 exec_lo, exec_lo, s34
	s_and_saveexec_b32 s34, s29
	s_cbranch_execnz .LBB1142_1106
	s_branch .LBB1142_1107
.LBB1142_1172:                          ;   in Loop: Header=BB1142_979 Depth=2
	v_lshlrev_b32_e32 v58, 2, v164
	ds_load_b32 v60, v58
	ds_load_b64 v[58:59], v123 offset:1024
	s_wait_dscnt 0x1
	v_add_nc_u32_e32 v60, v60, v2
	s_wait_dscnt 0x0
	global_store_b64 v60, v[58:59], s[46:47] scale_offset
	s_wait_xcnt 0x0
	s_or_b32 exec_lo, exec_lo, s30
	s_and_saveexec_b32 s30, s15
	s_cbranch_execz .LBB1142_1109
.LBB1142_1173:                          ;   in Loop: Header=BB1142_979 Depth=2
	v_lshlrev_b32_e32 v58, 2, v163
	ds_load_b32 v60, v58
	ds_load_b64 v[58:59], v123 offset:3072
	s_wait_dscnt 0x1
	v_add_nc_u32_e32 v60, v60, v98
	s_wait_dscnt 0x0
	global_store_b64 v60, v[58:59], s[46:47] scale_offset
	s_wait_xcnt 0x0
	s_or_b32 exec_lo, exec_lo, s30
	s_and_saveexec_b32 s15, s16
	s_cbranch_execz .LBB1142_1110
.LBB1142_1174:                          ;   in Loop: Header=BB1142_979 Depth=2
	v_lshlrev_b32_e32 v58, 2, v162
	ds_load_b32 v60, v58
	ds_load_b64 v[58:59], v123 offset:5120
	s_wait_dscnt 0x1
	v_add_nc_u32_e32 v60, v60, v99
	s_wait_dscnt 0x0
	global_store_b64 v60, v[58:59], s[46:47] scale_offset
	s_wait_xcnt 0x0
	s_or_b32 exec_lo, exec_lo, s15
	s_and_saveexec_b32 s15, s17
	s_cbranch_execz .LBB1142_1111
.LBB1142_1175:                          ;   in Loop: Header=BB1142_979 Depth=2
	v_lshlrev_b32_e32 v58, 2, v161
	ds_load_b32 v60, v58
	ds_load_b64 v[58:59], v123 offset:7168
	s_wait_dscnt 0x1
	v_add_nc_u32_e32 v60, v60, v100
	s_wait_dscnt 0x0
	global_store_b64 v60, v[58:59], s[46:47] scale_offset
	s_wait_xcnt 0x0
	s_or_b32 exec_lo, exec_lo, s15
	s_and_saveexec_b32 s15, s18
	s_cbranch_execz .LBB1142_1112
.LBB1142_1176:                          ;   in Loop: Header=BB1142_979 Depth=2
	v_lshlrev_b32_e32 v58, 2, v160
	ds_load_b32 v60, v58
	ds_load_b64 v[58:59], v123 offset:9216
	s_wait_dscnt 0x1
	v_add_nc_u32_e32 v60, v60, v101
	s_wait_dscnt 0x0
	global_store_b64 v60, v[58:59], s[46:47] scale_offset
	s_wait_xcnt 0x0
	s_or_b32 exec_lo, exec_lo, s15
	s_and_saveexec_b32 s15, s19
	s_cbranch_execz .LBB1142_1113
.LBB1142_1177:                          ;   in Loop: Header=BB1142_979 Depth=2
	v_lshlrev_b32_e32 v58, 2, v159
	ds_load_b32 v60, v58
	ds_load_b64 v[58:59], v123 offset:11264
	s_wait_dscnt 0x1
	v_add_nc_u32_e32 v60, v60, v102
	s_wait_dscnt 0x0
	global_store_b64 v60, v[58:59], s[46:47] scale_offset
	s_wait_xcnt 0x0
	s_or_b32 exec_lo, exec_lo, s15
	s_and_saveexec_b32 s15, s20
	s_cbranch_execz .LBB1142_1114
.LBB1142_1178:                          ;   in Loop: Header=BB1142_979 Depth=2
	v_lshlrev_b32_e32 v58, 2, v158
	ds_load_b32 v60, v58
	ds_load_b64 v[58:59], v123 offset:13312
	s_wait_dscnt 0x1
	v_add_nc_u32_e32 v60, v60, v103
	s_wait_dscnt 0x0
	global_store_b64 v60, v[58:59], s[46:47] scale_offset
	s_wait_xcnt 0x0
	s_or_b32 exec_lo, exec_lo, s15
	s_and_saveexec_b32 s15, s21
	s_cbranch_execz .LBB1142_1115
.LBB1142_1179:                          ;   in Loop: Header=BB1142_979 Depth=2
	v_lshlrev_b32_e32 v58, 2, v157
	ds_load_b32 v60, v58
	ds_load_b64 v[58:59], v123 offset:15360
	s_wait_dscnt 0x1
	v_add_nc_u32_e32 v60, v60, v104
	s_wait_dscnt 0x0
	global_store_b64 v60, v[58:59], s[46:47] scale_offset
	s_wait_xcnt 0x0
	s_or_b32 exec_lo, exec_lo, s15
	s_and_saveexec_b32 s15, s22
	s_cbranch_execz .LBB1142_1116
.LBB1142_1180:                          ;   in Loop: Header=BB1142_979 Depth=2
	v_lshlrev_b32_e32 v58, 2, v156
	ds_load_b32 v60, v58
	ds_load_b64 v[58:59], v123 offset:17408
	s_wait_dscnt 0x1
	v_add_nc_u32_e32 v60, v60, v105
	s_wait_dscnt 0x0
	global_store_b64 v60, v[58:59], s[46:47] scale_offset
	s_wait_xcnt 0x0
	s_or_b32 exec_lo, exec_lo, s15
	s_and_saveexec_b32 s15, s23
	s_cbranch_execz .LBB1142_1117
.LBB1142_1181:                          ;   in Loop: Header=BB1142_979 Depth=2
	v_lshlrev_b32_e32 v58, 2, v155
	ds_load_b32 v60, v58
	ds_load_b64 v[58:59], v123 offset:19456
	s_wait_dscnt 0x1
	v_add_nc_u32_e32 v60, v60, v106
	s_wait_dscnt 0x0
	global_store_b64 v60, v[58:59], s[46:47] scale_offset
	s_wait_xcnt 0x0
	s_or_b32 exec_lo, exec_lo, s15
	s_and_saveexec_b32 s15, s24
	s_cbranch_execz .LBB1142_1118
.LBB1142_1182:                          ;   in Loop: Header=BB1142_979 Depth=2
	v_lshlrev_b32_e32 v58, 2, v154
	ds_load_b32 v60, v58
	ds_load_b64 v[58:59], v123 offset:21504
	s_wait_dscnt 0x1
	v_add_nc_u32_e32 v60, v60, v107
	s_wait_dscnt 0x0
	global_store_b64 v60, v[58:59], s[46:47] scale_offset
	s_wait_xcnt 0x0
	s_or_b32 exec_lo, exec_lo, s15
	s_and_saveexec_b32 s15, s25
	s_cbranch_execz .LBB1142_1119
.LBB1142_1183:                          ;   in Loop: Header=BB1142_979 Depth=2
	v_lshlrev_b32_e32 v58, 2, v153
	ds_load_b32 v60, v58
	ds_load_b64 v[58:59], v123 offset:23552
	s_wait_dscnt 0x1
	v_add_nc_u32_e32 v60, v60, v108
	s_wait_dscnt 0x0
	global_store_b64 v60, v[58:59], s[46:47] scale_offset
	s_wait_xcnt 0x0
	s_or_b32 exec_lo, exec_lo, s15
	s_and_saveexec_b32 s15, s26
	s_cbranch_execz .LBB1142_1120
.LBB1142_1184:                          ;   in Loop: Header=BB1142_979 Depth=2
	v_lshlrev_b32_e32 v58, 2, v152
	ds_load_b32 v60, v58
	ds_load_b64 v[58:59], v123 offset:25600
	s_wait_dscnt 0x1
	v_add_nc_u32_e32 v60, v60, v109
	s_wait_dscnt 0x0
	global_store_b64 v60, v[58:59], s[46:47] scale_offset
	s_wait_xcnt 0x0
	s_or_b32 exec_lo, exec_lo, s15
	s_and_saveexec_b32 s15, s27
	s_cbranch_execz .LBB1142_1121
.LBB1142_1185:                          ;   in Loop: Header=BB1142_979 Depth=2
	v_lshlrev_b32_e32 v58, 2, v151
	ds_load_b32 v60, v58
	ds_load_b64 v[58:59], v123 offset:27648
	s_wait_dscnt 0x1
	v_add_nc_u32_e32 v60, v60, v110
	s_wait_dscnt 0x0
	global_store_b64 v60, v[58:59], s[46:47] scale_offset
	s_wait_xcnt 0x0
	s_or_b32 exec_lo, exec_lo, s15
	s_and_saveexec_b32 s15, s28
	s_cbranch_execz .LBB1142_1122
.LBB1142_1186:                          ;   in Loop: Header=BB1142_979 Depth=2
	v_lshlrev_b32_e32 v58, 2, v150
	ds_load_b32 v60, v58
	ds_load_b64 v[58:59], v123 offset:29696
	s_wait_dscnt 0x1
	v_add_nc_u32_e32 v60, v60, v111
	s_wait_dscnt 0x0
	global_store_b64 v60, v[58:59], s[46:47] scale_offset
	s_wait_xcnt 0x0
	s_or_b32 exec_lo, exec_lo, s15
	s_and_saveexec_b32 s15, s29
	s_cbranch_execnz .LBB1142_1123
	s_branch .LBB1142_1124
.LBB1142_1187:
	s_endpgm
	.section	.rodata,"a",@progbits
	.p2align	6, 0x0
	.amdhsa_kernel _ZN7rocprim17ROCPRIM_400000_NS6detail17trampoline_kernelINS0_14default_configENS1_36segmented_radix_sort_config_selectorIdlEEZNS1_25segmented_radix_sort_implIS3_Lb1EPKdPdPKlPlN2at6native12_GLOBAL__N_18offset_tEEE10hipError_tPvRmT1_PNSt15iterator_traitsISK_E10value_typeET2_T3_PNSL_ISQ_E10value_typeET4_jRbjT5_SW_jjP12ihipStream_tbEUlT_E2_NS1_11comp_targetILNS1_3genE0ELNS1_11target_archE4294967295ELNS1_3gpuE0ELNS1_3repE0EEENS1_30default_config_static_selectorELNS0_4arch9wavefront6targetE0EEEvSK_
		.amdhsa_group_segment_fixed_size 33824
		.amdhsa_private_segment_fixed_size 0
		.amdhsa_kernarg_size 336
		.amdhsa_user_sgpr_count 4
		.amdhsa_user_sgpr_dispatch_ptr 0
		.amdhsa_user_sgpr_queue_ptr 1
		.amdhsa_user_sgpr_kernarg_segment_ptr 1
		.amdhsa_user_sgpr_dispatch_id 0
		.amdhsa_user_sgpr_kernarg_preload_length 0
		.amdhsa_user_sgpr_kernarg_preload_offset 0
		.amdhsa_user_sgpr_private_segment_size 0
		.amdhsa_wavefront_size32 1
		.amdhsa_uses_dynamic_stack 0
		.amdhsa_enable_private_segment 0
		.amdhsa_system_sgpr_workgroup_id_x 1
		.amdhsa_system_sgpr_workgroup_id_y 1
		.amdhsa_system_sgpr_workgroup_id_z 0
		.amdhsa_system_sgpr_workgroup_info 0
		.amdhsa_system_vgpr_workitem_id 2
		.amdhsa_next_free_vgpr 319
		.amdhsa_next_free_sgpr 63
		.amdhsa_named_barrier_count 0
		.amdhsa_reserve_vcc 1
		.amdhsa_float_round_mode_32 0
		.amdhsa_float_round_mode_16_64 0
		.amdhsa_float_denorm_mode_32 3
		.amdhsa_float_denorm_mode_16_64 3
		.amdhsa_fp16_overflow 0
		.amdhsa_memory_ordered 1
		.amdhsa_forward_progress 1
		.amdhsa_inst_pref_size 255
		.amdhsa_round_robin_scheduling 0
		.amdhsa_exception_fp_ieee_invalid_op 0
		.amdhsa_exception_fp_denorm_src 0
		.amdhsa_exception_fp_ieee_div_zero 0
		.amdhsa_exception_fp_ieee_overflow 0
		.amdhsa_exception_fp_ieee_underflow 0
		.amdhsa_exception_fp_ieee_inexact 0
		.amdhsa_exception_int_div_zero 0
	.end_amdhsa_kernel
	.section	.text._ZN7rocprim17ROCPRIM_400000_NS6detail17trampoline_kernelINS0_14default_configENS1_36segmented_radix_sort_config_selectorIdlEEZNS1_25segmented_radix_sort_implIS3_Lb1EPKdPdPKlPlN2at6native12_GLOBAL__N_18offset_tEEE10hipError_tPvRmT1_PNSt15iterator_traitsISK_E10value_typeET2_T3_PNSL_ISQ_E10value_typeET4_jRbjT5_SW_jjP12ihipStream_tbEUlT_E2_NS1_11comp_targetILNS1_3genE0ELNS1_11target_archE4294967295ELNS1_3gpuE0ELNS1_3repE0EEENS1_30default_config_static_selectorELNS0_4arch9wavefront6targetE0EEEvSK_,"axG",@progbits,_ZN7rocprim17ROCPRIM_400000_NS6detail17trampoline_kernelINS0_14default_configENS1_36segmented_radix_sort_config_selectorIdlEEZNS1_25segmented_radix_sort_implIS3_Lb1EPKdPdPKlPlN2at6native12_GLOBAL__N_18offset_tEEE10hipError_tPvRmT1_PNSt15iterator_traitsISK_E10value_typeET2_T3_PNSL_ISQ_E10value_typeET4_jRbjT5_SW_jjP12ihipStream_tbEUlT_E2_NS1_11comp_targetILNS1_3genE0ELNS1_11target_archE4294967295ELNS1_3gpuE0ELNS1_3repE0EEENS1_30default_config_static_selectorELNS0_4arch9wavefront6targetE0EEEvSK_,comdat
.Lfunc_end1142:
	.size	_ZN7rocprim17ROCPRIM_400000_NS6detail17trampoline_kernelINS0_14default_configENS1_36segmented_radix_sort_config_selectorIdlEEZNS1_25segmented_radix_sort_implIS3_Lb1EPKdPdPKlPlN2at6native12_GLOBAL__N_18offset_tEEE10hipError_tPvRmT1_PNSt15iterator_traitsISK_E10value_typeET2_T3_PNSL_ISQ_E10value_typeET4_jRbjT5_SW_jjP12ihipStream_tbEUlT_E2_NS1_11comp_targetILNS1_3genE0ELNS1_11target_archE4294967295ELNS1_3gpuE0ELNS1_3repE0EEENS1_30default_config_static_selectorELNS0_4arch9wavefront6targetE0EEEvSK_, .Lfunc_end1142-_ZN7rocprim17ROCPRIM_400000_NS6detail17trampoline_kernelINS0_14default_configENS1_36segmented_radix_sort_config_selectorIdlEEZNS1_25segmented_radix_sort_implIS3_Lb1EPKdPdPKlPlN2at6native12_GLOBAL__N_18offset_tEEE10hipError_tPvRmT1_PNSt15iterator_traitsISK_E10value_typeET2_T3_PNSL_ISQ_E10value_typeET4_jRbjT5_SW_jjP12ihipStream_tbEUlT_E2_NS1_11comp_targetILNS1_3genE0ELNS1_11target_archE4294967295ELNS1_3gpuE0ELNS1_3repE0EEENS1_30default_config_static_selectorELNS0_4arch9wavefront6targetE0EEEvSK_
                                        ; -- End function
	.set _ZN7rocprim17ROCPRIM_400000_NS6detail17trampoline_kernelINS0_14default_configENS1_36segmented_radix_sort_config_selectorIdlEEZNS1_25segmented_radix_sort_implIS3_Lb1EPKdPdPKlPlN2at6native12_GLOBAL__N_18offset_tEEE10hipError_tPvRmT1_PNSt15iterator_traitsISK_E10value_typeET2_T3_PNSL_ISQ_E10value_typeET4_jRbjT5_SW_jjP12ihipStream_tbEUlT_E2_NS1_11comp_targetILNS1_3genE0ELNS1_11target_archE4294967295ELNS1_3gpuE0ELNS1_3repE0EEENS1_30default_config_static_selectorELNS0_4arch9wavefront6targetE0EEEvSK_.num_vgpr, max(220, .L_ZN7rocprim17ROCPRIM_400000_NS6detail26segmented_warp_sort_helperINS1_20WarpSortHelperConfigILj8ELj4ELj256EEEdlLi256ELb1EvE4sortIPKdPdPKlPlEEvT_S9_T0_T1_SC_T2_bjjjjRNS5_12storage_typeE.num_vgpr, .L_ZN7rocprim17ROCPRIM_400000_NS6detail40segmented_radix_sort_single_block_helperIdlLj256ELj16ELb1EE4sortIPKdPdPKlPlEEbT_T0_T1_T2_jjjjRNS3_12storage_typeE.num_vgpr)
	.set _ZN7rocprim17ROCPRIM_400000_NS6detail17trampoline_kernelINS0_14default_configENS1_36segmented_radix_sort_config_selectorIdlEEZNS1_25segmented_radix_sort_implIS3_Lb1EPKdPdPKlPlN2at6native12_GLOBAL__N_18offset_tEEE10hipError_tPvRmT1_PNSt15iterator_traitsISK_E10value_typeET2_T3_PNSL_ISQ_E10value_typeET4_jRbjT5_SW_jjP12ihipStream_tbEUlT_E2_NS1_11comp_targetILNS1_3genE0ELNS1_11target_archE4294967295ELNS1_3gpuE0ELNS1_3repE0EEENS1_30default_config_static_selectorELNS0_4arch9wavefront6targetE0EEEvSK_.num_agpr, max(0, .L_ZN7rocprim17ROCPRIM_400000_NS6detail26segmented_warp_sort_helperINS1_20WarpSortHelperConfigILj8ELj4ELj256EEEdlLi256ELb1EvE4sortIPKdPdPKlPlEEvT_S9_T0_T1_SC_T2_bjjjjRNS5_12storage_typeE.num_agpr, .L_ZN7rocprim17ROCPRIM_400000_NS6detail40segmented_radix_sort_single_block_helperIdlLj256ELj16ELb1EE4sortIPKdPdPKlPlEEbT_T0_T1_T2_jjjjRNS3_12storage_typeE.num_agpr)
	.set _ZN7rocprim17ROCPRIM_400000_NS6detail17trampoline_kernelINS0_14default_configENS1_36segmented_radix_sort_config_selectorIdlEEZNS1_25segmented_radix_sort_implIS3_Lb1EPKdPdPKlPlN2at6native12_GLOBAL__N_18offset_tEEE10hipError_tPvRmT1_PNSt15iterator_traitsISK_E10value_typeET2_T3_PNSL_ISQ_E10value_typeET4_jRbjT5_SW_jjP12ihipStream_tbEUlT_E2_NS1_11comp_targetILNS1_3genE0ELNS1_11target_archE4294967295ELNS1_3gpuE0ELNS1_3repE0EEENS1_30default_config_static_selectorELNS0_4arch9wavefront6targetE0EEEvSK_.numbered_sgpr, max(63, .L_ZN7rocprim17ROCPRIM_400000_NS6detail26segmented_warp_sort_helperINS1_20WarpSortHelperConfigILj8ELj4ELj256EEEdlLi256ELb1EvE4sortIPKdPdPKlPlEEvT_S9_T0_T1_SC_T2_bjjjjRNS5_12storage_typeE.numbered_sgpr, .L_ZN7rocprim17ROCPRIM_400000_NS6detail40segmented_radix_sort_single_block_helperIdlLj256ELj16ELb1EE4sortIPKdPdPKlPlEEbT_T0_T1_T2_jjjjRNS3_12storage_typeE.numbered_sgpr)
	.set _ZN7rocprim17ROCPRIM_400000_NS6detail17trampoline_kernelINS0_14default_configENS1_36segmented_radix_sort_config_selectorIdlEEZNS1_25segmented_radix_sort_implIS3_Lb1EPKdPdPKlPlN2at6native12_GLOBAL__N_18offset_tEEE10hipError_tPvRmT1_PNSt15iterator_traitsISK_E10value_typeET2_T3_PNSL_ISQ_E10value_typeET4_jRbjT5_SW_jjP12ihipStream_tbEUlT_E2_NS1_11comp_targetILNS1_3genE0ELNS1_11target_archE4294967295ELNS1_3gpuE0ELNS1_3repE0EEENS1_30default_config_static_selectorELNS0_4arch9wavefront6targetE0EEEvSK_.num_named_barrier, max(0, .L_ZN7rocprim17ROCPRIM_400000_NS6detail26segmented_warp_sort_helperINS1_20WarpSortHelperConfigILj8ELj4ELj256EEEdlLi256ELb1EvE4sortIPKdPdPKlPlEEvT_S9_T0_T1_SC_T2_bjjjjRNS5_12storage_typeE.num_named_barrier, .L_ZN7rocprim17ROCPRIM_400000_NS6detail40segmented_radix_sort_single_block_helperIdlLj256ELj16ELb1EE4sortIPKdPdPKlPlEEbT_T0_T1_T2_jjjjRNS3_12storage_typeE.num_named_barrier)
	.set _ZN7rocprim17ROCPRIM_400000_NS6detail17trampoline_kernelINS0_14default_configENS1_36segmented_radix_sort_config_selectorIdlEEZNS1_25segmented_radix_sort_implIS3_Lb1EPKdPdPKlPlN2at6native12_GLOBAL__N_18offset_tEEE10hipError_tPvRmT1_PNSt15iterator_traitsISK_E10value_typeET2_T3_PNSL_ISQ_E10value_typeET4_jRbjT5_SW_jjP12ihipStream_tbEUlT_E2_NS1_11comp_targetILNS1_3genE0ELNS1_11target_archE4294967295ELNS1_3gpuE0ELNS1_3repE0EEENS1_30default_config_static_selectorELNS0_4arch9wavefront6targetE0EEEvSK_.private_seg_size, 0+max(.L_ZN7rocprim17ROCPRIM_400000_NS6detail26segmented_warp_sort_helperINS1_20WarpSortHelperConfigILj8ELj4ELj256EEEdlLi256ELb1EvE4sortIPKdPdPKlPlEEvT_S9_T0_T1_SC_T2_bjjjjRNS5_12storage_typeE.private_seg_size, .L_ZN7rocprim17ROCPRIM_400000_NS6detail40segmented_radix_sort_single_block_helperIdlLj256ELj16ELb1EE4sortIPKdPdPKlPlEEbT_T0_T1_T2_jjjjRNS3_12storage_typeE.private_seg_size)
	.set _ZN7rocprim17ROCPRIM_400000_NS6detail17trampoline_kernelINS0_14default_configENS1_36segmented_radix_sort_config_selectorIdlEEZNS1_25segmented_radix_sort_implIS3_Lb1EPKdPdPKlPlN2at6native12_GLOBAL__N_18offset_tEEE10hipError_tPvRmT1_PNSt15iterator_traitsISK_E10value_typeET2_T3_PNSL_ISQ_E10value_typeET4_jRbjT5_SW_jjP12ihipStream_tbEUlT_E2_NS1_11comp_targetILNS1_3genE0ELNS1_11target_archE4294967295ELNS1_3gpuE0ELNS1_3repE0EEENS1_30default_config_static_selectorELNS0_4arch9wavefront6targetE0EEEvSK_.uses_vcc, or(1, .L_ZN7rocprim17ROCPRIM_400000_NS6detail26segmented_warp_sort_helperINS1_20WarpSortHelperConfigILj8ELj4ELj256EEEdlLi256ELb1EvE4sortIPKdPdPKlPlEEvT_S9_T0_T1_SC_T2_bjjjjRNS5_12storage_typeE.uses_vcc, .L_ZN7rocprim17ROCPRIM_400000_NS6detail40segmented_radix_sort_single_block_helperIdlLj256ELj16ELb1EE4sortIPKdPdPKlPlEEbT_T0_T1_T2_jjjjRNS3_12storage_typeE.uses_vcc)
	.set _ZN7rocprim17ROCPRIM_400000_NS6detail17trampoline_kernelINS0_14default_configENS1_36segmented_radix_sort_config_selectorIdlEEZNS1_25segmented_radix_sort_implIS3_Lb1EPKdPdPKlPlN2at6native12_GLOBAL__N_18offset_tEEE10hipError_tPvRmT1_PNSt15iterator_traitsISK_E10value_typeET2_T3_PNSL_ISQ_E10value_typeET4_jRbjT5_SW_jjP12ihipStream_tbEUlT_E2_NS1_11comp_targetILNS1_3genE0ELNS1_11target_archE4294967295ELNS1_3gpuE0ELNS1_3repE0EEENS1_30default_config_static_selectorELNS0_4arch9wavefront6targetE0EEEvSK_.uses_flat_scratch, or(0, .L_ZN7rocprim17ROCPRIM_400000_NS6detail26segmented_warp_sort_helperINS1_20WarpSortHelperConfigILj8ELj4ELj256EEEdlLi256ELb1EvE4sortIPKdPdPKlPlEEvT_S9_T0_T1_SC_T2_bjjjjRNS5_12storage_typeE.uses_flat_scratch, .L_ZN7rocprim17ROCPRIM_400000_NS6detail40segmented_radix_sort_single_block_helperIdlLj256ELj16ELb1EE4sortIPKdPdPKlPlEEbT_T0_T1_T2_jjjjRNS3_12storage_typeE.uses_flat_scratch)
	.set _ZN7rocprim17ROCPRIM_400000_NS6detail17trampoline_kernelINS0_14default_configENS1_36segmented_radix_sort_config_selectorIdlEEZNS1_25segmented_radix_sort_implIS3_Lb1EPKdPdPKlPlN2at6native12_GLOBAL__N_18offset_tEEE10hipError_tPvRmT1_PNSt15iterator_traitsISK_E10value_typeET2_T3_PNSL_ISQ_E10value_typeET4_jRbjT5_SW_jjP12ihipStream_tbEUlT_E2_NS1_11comp_targetILNS1_3genE0ELNS1_11target_archE4294967295ELNS1_3gpuE0ELNS1_3repE0EEENS1_30default_config_static_selectorELNS0_4arch9wavefront6targetE0EEEvSK_.has_dyn_sized_stack, or(0, .L_ZN7rocprim17ROCPRIM_400000_NS6detail26segmented_warp_sort_helperINS1_20WarpSortHelperConfigILj8ELj4ELj256EEEdlLi256ELb1EvE4sortIPKdPdPKlPlEEvT_S9_T0_T1_SC_T2_bjjjjRNS5_12storage_typeE.has_dyn_sized_stack, .L_ZN7rocprim17ROCPRIM_400000_NS6detail40segmented_radix_sort_single_block_helperIdlLj256ELj16ELb1EE4sortIPKdPdPKlPlEEbT_T0_T1_T2_jjjjRNS3_12storage_typeE.has_dyn_sized_stack)
	.set _ZN7rocprim17ROCPRIM_400000_NS6detail17trampoline_kernelINS0_14default_configENS1_36segmented_radix_sort_config_selectorIdlEEZNS1_25segmented_radix_sort_implIS3_Lb1EPKdPdPKlPlN2at6native12_GLOBAL__N_18offset_tEEE10hipError_tPvRmT1_PNSt15iterator_traitsISK_E10value_typeET2_T3_PNSL_ISQ_E10value_typeET4_jRbjT5_SW_jjP12ihipStream_tbEUlT_E2_NS1_11comp_targetILNS1_3genE0ELNS1_11target_archE4294967295ELNS1_3gpuE0ELNS1_3repE0EEENS1_30default_config_static_selectorELNS0_4arch9wavefront6targetE0EEEvSK_.has_recursion, or(0, .L_ZN7rocprim17ROCPRIM_400000_NS6detail26segmented_warp_sort_helperINS1_20WarpSortHelperConfigILj8ELj4ELj256EEEdlLi256ELb1EvE4sortIPKdPdPKlPlEEvT_S9_T0_T1_SC_T2_bjjjjRNS5_12storage_typeE.has_recursion, .L_ZN7rocprim17ROCPRIM_400000_NS6detail40segmented_radix_sort_single_block_helperIdlLj256ELj16ELb1EE4sortIPKdPdPKlPlEEbT_T0_T1_T2_jjjjRNS3_12storage_typeE.has_recursion)
	.set _ZN7rocprim17ROCPRIM_400000_NS6detail17trampoline_kernelINS0_14default_configENS1_36segmented_radix_sort_config_selectorIdlEEZNS1_25segmented_radix_sort_implIS3_Lb1EPKdPdPKlPlN2at6native12_GLOBAL__N_18offset_tEEE10hipError_tPvRmT1_PNSt15iterator_traitsISK_E10value_typeET2_T3_PNSL_ISQ_E10value_typeET4_jRbjT5_SW_jjP12ihipStream_tbEUlT_E2_NS1_11comp_targetILNS1_3genE0ELNS1_11target_archE4294967295ELNS1_3gpuE0ELNS1_3repE0EEENS1_30default_config_static_selectorELNS0_4arch9wavefront6targetE0EEEvSK_.has_indirect_call, or(0, .L_ZN7rocprim17ROCPRIM_400000_NS6detail26segmented_warp_sort_helperINS1_20WarpSortHelperConfigILj8ELj4ELj256EEEdlLi256ELb1EvE4sortIPKdPdPKlPlEEvT_S9_T0_T1_SC_T2_bjjjjRNS5_12storage_typeE.has_indirect_call, .L_ZN7rocprim17ROCPRIM_400000_NS6detail40segmented_radix_sort_single_block_helperIdlLj256ELj16ELb1EE4sortIPKdPdPKlPlEEbT_T0_T1_T2_jjjjRNS3_12storage_typeE.has_indirect_call)
	.section	.AMDGPU.csdata,"",@progbits
; Kernel info:
; codeLenInByte = 83032
; TotalNumSgprs: 65
; NumVgprs: 319
; ScratchSize: 0
; MemoryBound: 0
; FloatMode: 240
; IeeeMode: 1
; LDSByteSize: 33824 bytes/workgroup (compile time only)
; SGPRBlocks: 0
; VGPRBlocks: 19
; NumSGPRsForWavesPerEU: 65
; NumVGPRsForWavesPerEU: 319
; NamedBarCnt: 0
; Occupancy: 3
; WaveLimiterHint : 1
; COMPUTE_PGM_RSRC2:SCRATCH_EN: 0
; COMPUTE_PGM_RSRC2:USER_SGPR: 4
; COMPUTE_PGM_RSRC2:TRAP_HANDLER: 0
; COMPUTE_PGM_RSRC2:TGID_X_EN: 1
; COMPUTE_PGM_RSRC2:TGID_Y_EN: 1
; COMPUTE_PGM_RSRC2:TGID_Z_EN: 0
; COMPUTE_PGM_RSRC2:TIDIG_COMP_CNT: 2
	.section	.text._ZN7rocprim17ROCPRIM_400000_NS6detail17trampoline_kernelINS0_14default_configENS1_36segmented_radix_sort_config_selectorIdlEEZNS1_25segmented_radix_sort_implIS3_Lb1EPKdPdPKlPlN2at6native12_GLOBAL__N_18offset_tEEE10hipError_tPvRmT1_PNSt15iterator_traitsISK_E10value_typeET2_T3_PNSL_ISQ_E10value_typeET4_jRbjT5_SW_jjP12ihipStream_tbEUlT_E2_NS1_11comp_targetILNS1_3genE5ELNS1_11target_archE942ELNS1_3gpuE9ELNS1_3repE0EEENS1_30default_config_static_selectorELNS0_4arch9wavefront6targetE0EEEvSK_,"axG",@progbits,_ZN7rocprim17ROCPRIM_400000_NS6detail17trampoline_kernelINS0_14default_configENS1_36segmented_radix_sort_config_selectorIdlEEZNS1_25segmented_radix_sort_implIS3_Lb1EPKdPdPKlPlN2at6native12_GLOBAL__N_18offset_tEEE10hipError_tPvRmT1_PNSt15iterator_traitsISK_E10value_typeET2_T3_PNSL_ISQ_E10value_typeET4_jRbjT5_SW_jjP12ihipStream_tbEUlT_E2_NS1_11comp_targetILNS1_3genE5ELNS1_11target_archE942ELNS1_3gpuE9ELNS1_3repE0EEENS1_30default_config_static_selectorELNS0_4arch9wavefront6targetE0EEEvSK_,comdat
	.globl	_ZN7rocprim17ROCPRIM_400000_NS6detail17trampoline_kernelINS0_14default_configENS1_36segmented_radix_sort_config_selectorIdlEEZNS1_25segmented_radix_sort_implIS3_Lb1EPKdPdPKlPlN2at6native12_GLOBAL__N_18offset_tEEE10hipError_tPvRmT1_PNSt15iterator_traitsISK_E10value_typeET2_T3_PNSL_ISQ_E10value_typeET4_jRbjT5_SW_jjP12ihipStream_tbEUlT_E2_NS1_11comp_targetILNS1_3genE5ELNS1_11target_archE942ELNS1_3gpuE9ELNS1_3repE0EEENS1_30default_config_static_selectorELNS0_4arch9wavefront6targetE0EEEvSK_ ; -- Begin function _ZN7rocprim17ROCPRIM_400000_NS6detail17trampoline_kernelINS0_14default_configENS1_36segmented_radix_sort_config_selectorIdlEEZNS1_25segmented_radix_sort_implIS3_Lb1EPKdPdPKlPlN2at6native12_GLOBAL__N_18offset_tEEE10hipError_tPvRmT1_PNSt15iterator_traitsISK_E10value_typeET2_T3_PNSL_ISQ_E10value_typeET4_jRbjT5_SW_jjP12ihipStream_tbEUlT_E2_NS1_11comp_targetILNS1_3genE5ELNS1_11target_archE942ELNS1_3gpuE9ELNS1_3repE0EEENS1_30default_config_static_selectorELNS0_4arch9wavefront6targetE0EEEvSK_
	.p2align	8
	.type	_ZN7rocprim17ROCPRIM_400000_NS6detail17trampoline_kernelINS0_14default_configENS1_36segmented_radix_sort_config_selectorIdlEEZNS1_25segmented_radix_sort_implIS3_Lb1EPKdPdPKlPlN2at6native12_GLOBAL__N_18offset_tEEE10hipError_tPvRmT1_PNSt15iterator_traitsISK_E10value_typeET2_T3_PNSL_ISQ_E10value_typeET4_jRbjT5_SW_jjP12ihipStream_tbEUlT_E2_NS1_11comp_targetILNS1_3genE5ELNS1_11target_archE942ELNS1_3gpuE9ELNS1_3repE0EEENS1_30default_config_static_selectorELNS0_4arch9wavefront6targetE0EEEvSK_,@function
_ZN7rocprim17ROCPRIM_400000_NS6detail17trampoline_kernelINS0_14default_configENS1_36segmented_radix_sort_config_selectorIdlEEZNS1_25segmented_radix_sort_implIS3_Lb1EPKdPdPKlPlN2at6native12_GLOBAL__N_18offset_tEEE10hipError_tPvRmT1_PNSt15iterator_traitsISK_E10value_typeET2_T3_PNSL_ISQ_E10value_typeET4_jRbjT5_SW_jjP12ihipStream_tbEUlT_E2_NS1_11comp_targetILNS1_3genE5ELNS1_11target_archE942ELNS1_3gpuE9ELNS1_3repE0EEENS1_30default_config_static_selectorELNS0_4arch9wavefront6targetE0EEEvSK_: ; @_ZN7rocprim17ROCPRIM_400000_NS6detail17trampoline_kernelINS0_14default_configENS1_36segmented_radix_sort_config_selectorIdlEEZNS1_25segmented_radix_sort_implIS3_Lb1EPKdPdPKlPlN2at6native12_GLOBAL__N_18offset_tEEE10hipError_tPvRmT1_PNSt15iterator_traitsISK_E10value_typeET2_T3_PNSL_ISQ_E10value_typeET4_jRbjT5_SW_jjP12ihipStream_tbEUlT_E2_NS1_11comp_targetILNS1_3genE5ELNS1_11target_archE942ELNS1_3gpuE9ELNS1_3repE0EEENS1_30default_config_static_selectorELNS0_4arch9wavefront6targetE0EEEvSK_
; %bb.0:
	.section	.rodata,"a",@progbits
	.p2align	6, 0x0
	.amdhsa_kernel _ZN7rocprim17ROCPRIM_400000_NS6detail17trampoline_kernelINS0_14default_configENS1_36segmented_radix_sort_config_selectorIdlEEZNS1_25segmented_radix_sort_implIS3_Lb1EPKdPdPKlPlN2at6native12_GLOBAL__N_18offset_tEEE10hipError_tPvRmT1_PNSt15iterator_traitsISK_E10value_typeET2_T3_PNSL_ISQ_E10value_typeET4_jRbjT5_SW_jjP12ihipStream_tbEUlT_E2_NS1_11comp_targetILNS1_3genE5ELNS1_11target_archE942ELNS1_3gpuE9ELNS1_3repE0EEENS1_30default_config_static_selectorELNS0_4arch9wavefront6targetE0EEEvSK_
		.amdhsa_group_segment_fixed_size 0
		.amdhsa_private_segment_fixed_size 0
		.amdhsa_kernarg_size 80
		.amdhsa_user_sgpr_count 2
		.amdhsa_user_sgpr_dispatch_ptr 0
		.amdhsa_user_sgpr_queue_ptr 0
		.amdhsa_user_sgpr_kernarg_segment_ptr 1
		.amdhsa_user_sgpr_dispatch_id 0
		.amdhsa_user_sgpr_kernarg_preload_length 0
		.amdhsa_user_sgpr_kernarg_preload_offset 0
		.amdhsa_user_sgpr_private_segment_size 0
		.amdhsa_wavefront_size32 1
		.amdhsa_uses_dynamic_stack 0
		.amdhsa_enable_private_segment 0
		.amdhsa_system_sgpr_workgroup_id_x 1
		.amdhsa_system_sgpr_workgroup_id_y 0
		.amdhsa_system_sgpr_workgroup_id_z 0
		.amdhsa_system_sgpr_workgroup_info 0
		.amdhsa_system_vgpr_workitem_id 0
		.amdhsa_next_free_vgpr 1
		.amdhsa_next_free_sgpr 1
		.amdhsa_named_barrier_count 0
		.amdhsa_reserve_vcc 0
		.amdhsa_float_round_mode_32 0
		.amdhsa_float_round_mode_16_64 0
		.amdhsa_float_denorm_mode_32 3
		.amdhsa_float_denorm_mode_16_64 3
		.amdhsa_fp16_overflow 0
		.amdhsa_memory_ordered 1
		.amdhsa_forward_progress 1
		.amdhsa_inst_pref_size 0
		.amdhsa_round_robin_scheduling 0
		.amdhsa_exception_fp_ieee_invalid_op 0
		.amdhsa_exception_fp_denorm_src 0
		.amdhsa_exception_fp_ieee_div_zero 0
		.amdhsa_exception_fp_ieee_overflow 0
		.amdhsa_exception_fp_ieee_underflow 0
		.amdhsa_exception_fp_ieee_inexact 0
		.amdhsa_exception_int_div_zero 0
	.end_amdhsa_kernel
	.section	.text._ZN7rocprim17ROCPRIM_400000_NS6detail17trampoline_kernelINS0_14default_configENS1_36segmented_radix_sort_config_selectorIdlEEZNS1_25segmented_radix_sort_implIS3_Lb1EPKdPdPKlPlN2at6native12_GLOBAL__N_18offset_tEEE10hipError_tPvRmT1_PNSt15iterator_traitsISK_E10value_typeET2_T3_PNSL_ISQ_E10value_typeET4_jRbjT5_SW_jjP12ihipStream_tbEUlT_E2_NS1_11comp_targetILNS1_3genE5ELNS1_11target_archE942ELNS1_3gpuE9ELNS1_3repE0EEENS1_30default_config_static_selectorELNS0_4arch9wavefront6targetE0EEEvSK_,"axG",@progbits,_ZN7rocprim17ROCPRIM_400000_NS6detail17trampoline_kernelINS0_14default_configENS1_36segmented_radix_sort_config_selectorIdlEEZNS1_25segmented_radix_sort_implIS3_Lb1EPKdPdPKlPlN2at6native12_GLOBAL__N_18offset_tEEE10hipError_tPvRmT1_PNSt15iterator_traitsISK_E10value_typeET2_T3_PNSL_ISQ_E10value_typeET4_jRbjT5_SW_jjP12ihipStream_tbEUlT_E2_NS1_11comp_targetILNS1_3genE5ELNS1_11target_archE942ELNS1_3gpuE9ELNS1_3repE0EEENS1_30default_config_static_selectorELNS0_4arch9wavefront6targetE0EEEvSK_,comdat
.Lfunc_end1143:
	.size	_ZN7rocprim17ROCPRIM_400000_NS6detail17trampoline_kernelINS0_14default_configENS1_36segmented_radix_sort_config_selectorIdlEEZNS1_25segmented_radix_sort_implIS3_Lb1EPKdPdPKlPlN2at6native12_GLOBAL__N_18offset_tEEE10hipError_tPvRmT1_PNSt15iterator_traitsISK_E10value_typeET2_T3_PNSL_ISQ_E10value_typeET4_jRbjT5_SW_jjP12ihipStream_tbEUlT_E2_NS1_11comp_targetILNS1_3genE5ELNS1_11target_archE942ELNS1_3gpuE9ELNS1_3repE0EEENS1_30default_config_static_selectorELNS0_4arch9wavefront6targetE0EEEvSK_, .Lfunc_end1143-_ZN7rocprim17ROCPRIM_400000_NS6detail17trampoline_kernelINS0_14default_configENS1_36segmented_radix_sort_config_selectorIdlEEZNS1_25segmented_radix_sort_implIS3_Lb1EPKdPdPKlPlN2at6native12_GLOBAL__N_18offset_tEEE10hipError_tPvRmT1_PNSt15iterator_traitsISK_E10value_typeET2_T3_PNSL_ISQ_E10value_typeET4_jRbjT5_SW_jjP12ihipStream_tbEUlT_E2_NS1_11comp_targetILNS1_3genE5ELNS1_11target_archE942ELNS1_3gpuE9ELNS1_3repE0EEENS1_30default_config_static_selectorELNS0_4arch9wavefront6targetE0EEEvSK_
                                        ; -- End function
	.set _ZN7rocprim17ROCPRIM_400000_NS6detail17trampoline_kernelINS0_14default_configENS1_36segmented_radix_sort_config_selectorIdlEEZNS1_25segmented_radix_sort_implIS3_Lb1EPKdPdPKlPlN2at6native12_GLOBAL__N_18offset_tEEE10hipError_tPvRmT1_PNSt15iterator_traitsISK_E10value_typeET2_T3_PNSL_ISQ_E10value_typeET4_jRbjT5_SW_jjP12ihipStream_tbEUlT_E2_NS1_11comp_targetILNS1_3genE5ELNS1_11target_archE942ELNS1_3gpuE9ELNS1_3repE0EEENS1_30default_config_static_selectorELNS0_4arch9wavefront6targetE0EEEvSK_.num_vgpr, 0
	.set _ZN7rocprim17ROCPRIM_400000_NS6detail17trampoline_kernelINS0_14default_configENS1_36segmented_radix_sort_config_selectorIdlEEZNS1_25segmented_radix_sort_implIS3_Lb1EPKdPdPKlPlN2at6native12_GLOBAL__N_18offset_tEEE10hipError_tPvRmT1_PNSt15iterator_traitsISK_E10value_typeET2_T3_PNSL_ISQ_E10value_typeET4_jRbjT5_SW_jjP12ihipStream_tbEUlT_E2_NS1_11comp_targetILNS1_3genE5ELNS1_11target_archE942ELNS1_3gpuE9ELNS1_3repE0EEENS1_30default_config_static_selectorELNS0_4arch9wavefront6targetE0EEEvSK_.num_agpr, 0
	.set _ZN7rocprim17ROCPRIM_400000_NS6detail17trampoline_kernelINS0_14default_configENS1_36segmented_radix_sort_config_selectorIdlEEZNS1_25segmented_radix_sort_implIS3_Lb1EPKdPdPKlPlN2at6native12_GLOBAL__N_18offset_tEEE10hipError_tPvRmT1_PNSt15iterator_traitsISK_E10value_typeET2_T3_PNSL_ISQ_E10value_typeET4_jRbjT5_SW_jjP12ihipStream_tbEUlT_E2_NS1_11comp_targetILNS1_3genE5ELNS1_11target_archE942ELNS1_3gpuE9ELNS1_3repE0EEENS1_30default_config_static_selectorELNS0_4arch9wavefront6targetE0EEEvSK_.numbered_sgpr, 0
	.set _ZN7rocprim17ROCPRIM_400000_NS6detail17trampoline_kernelINS0_14default_configENS1_36segmented_radix_sort_config_selectorIdlEEZNS1_25segmented_radix_sort_implIS3_Lb1EPKdPdPKlPlN2at6native12_GLOBAL__N_18offset_tEEE10hipError_tPvRmT1_PNSt15iterator_traitsISK_E10value_typeET2_T3_PNSL_ISQ_E10value_typeET4_jRbjT5_SW_jjP12ihipStream_tbEUlT_E2_NS1_11comp_targetILNS1_3genE5ELNS1_11target_archE942ELNS1_3gpuE9ELNS1_3repE0EEENS1_30default_config_static_selectorELNS0_4arch9wavefront6targetE0EEEvSK_.num_named_barrier, 0
	.set _ZN7rocprim17ROCPRIM_400000_NS6detail17trampoline_kernelINS0_14default_configENS1_36segmented_radix_sort_config_selectorIdlEEZNS1_25segmented_radix_sort_implIS3_Lb1EPKdPdPKlPlN2at6native12_GLOBAL__N_18offset_tEEE10hipError_tPvRmT1_PNSt15iterator_traitsISK_E10value_typeET2_T3_PNSL_ISQ_E10value_typeET4_jRbjT5_SW_jjP12ihipStream_tbEUlT_E2_NS1_11comp_targetILNS1_3genE5ELNS1_11target_archE942ELNS1_3gpuE9ELNS1_3repE0EEENS1_30default_config_static_selectorELNS0_4arch9wavefront6targetE0EEEvSK_.private_seg_size, 0
	.set _ZN7rocprim17ROCPRIM_400000_NS6detail17trampoline_kernelINS0_14default_configENS1_36segmented_radix_sort_config_selectorIdlEEZNS1_25segmented_radix_sort_implIS3_Lb1EPKdPdPKlPlN2at6native12_GLOBAL__N_18offset_tEEE10hipError_tPvRmT1_PNSt15iterator_traitsISK_E10value_typeET2_T3_PNSL_ISQ_E10value_typeET4_jRbjT5_SW_jjP12ihipStream_tbEUlT_E2_NS1_11comp_targetILNS1_3genE5ELNS1_11target_archE942ELNS1_3gpuE9ELNS1_3repE0EEENS1_30default_config_static_selectorELNS0_4arch9wavefront6targetE0EEEvSK_.uses_vcc, 0
	.set _ZN7rocprim17ROCPRIM_400000_NS6detail17trampoline_kernelINS0_14default_configENS1_36segmented_radix_sort_config_selectorIdlEEZNS1_25segmented_radix_sort_implIS3_Lb1EPKdPdPKlPlN2at6native12_GLOBAL__N_18offset_tEEE10hipError_tPvRmT1_PNSt15iterator_traitsISK_E10value_typeET2_T3_PNSL_ISQ_E10value_typeET4_jRbjT5_SW_jjP12ihipStream_tbEUlT_E2_NS1_11comp_targetILNS1_3genE5ELNS1_11target_archE942ELNS1_3gpuE9ELNS1_3repE0EEENS1_30default_config_static_selectorELNS0_4arch9wavefront6targetE0EEEvSK_.uses_flat_scratch, 0
	.set _ZN7rocprim17ROCPRIM_400000_NS6detail17trampoline_kernelINS0_14default_configENS1_36segmented_radix_sort_config_selectorIdlEEZNS1_25segmented_radix_sort_implIS3_Lb1EPKdPdPKlPlN2at6native12_GLOBAL__N_18offset_tEEE10hipError_tPvRmT1_PNSt15iterator_traitsISK_E10value_typeET2_T3_PNSL_ISQ_E10value_typeET4_jRbjT5_SW_jjP12ihipStream_tbEUlT_E2_NS1_11comp_targetILNS1_3genE5ELNS1_11target_archE942ELNS1_3gpuE9ELNS1_3repE0EEENS1_30default_config_static_selectorELNS0_4arch9wavefront6targetE0EEEvSK_.has_dyn_sized_stack, 0
	.set _ZN7rocprim17ROCPRIM_400000_NS6detail17trampoline_kernelINS0_14default_configENS1_36segmented_radix_sort_config_selectorIdlEEZNS1_25segmented_radix_sort_implIS3_Lb1EPKdPdPKlPlN2at6native12_GLOBAL__N_18offset_tEEE10hipError_tPvRmT1_PNSt15iterator_traitsISK_E10value_typeET2_T3_PNSL_ISQ_E10value_typeET4_jRbjT5_SW_jjP12ihipStream_tbEUlT_E2_NS1_11comp_targetILNS1_3genE5ELNS1_11target_archE942ELNS1_3gpuE9ELNS1_3repE0EEENS1_30default_config_static_selectorELNS0_4arch9wavefront6targetE0EEEvSK_.has_recursion, 0
	.set _ZN7rocprim17ROCPRIM_400000_NS6detail17trampoline_kernelINS0_14default_configENS1_36segmented_radix_sort_config_selectorIdlEEZNS1_25segmented_radix_sort_implIS3_Lb1EPKdPdPKlPlN2at6native12_GLOBAL__N_18offset_tEEE10hipError_tPvRmT1_PNSt15iterator_traitsISK_E10value_typeET2_T3_PNSL_ISQ_E10value_typeET4_jRbjT5_SW_jjP12ihipStream_tbEUlT_E2_NS1_11comp_targetILNS1_3genE5ELNS1_11target_archE942ELNS1_3gpuE9ELNS1_3repE0EEENS1_30default_config_static_selectorELNS0_4arch9wavefront6targetE0EEEvSK_.has_indirect_call, 0
	.section	.AMDGPU.csdata,"",@progbits
; Kernel info:
; codeLenInByte = 0
; TotalNumSgprs: 0
; NumVgprs: 0
; ScratchSize: 0
; MemoryBound: 0
; FloatMode: 240
; IeeeMode: 1
; LDSByteSize: 0 bytes/workgroup (compile time only)
; SGPRBlocks: 0
; VGPRBlocks: 0
; NumSGPRsForWavesPerEU: 1
; NumVGPRsForWavesPerEU: 1
; NamedBarCnt: 0
; Occupancy: 16
; WaveLimiterHint : 0
; COMPUTE_PGM_RSRC2:SCRATCH_EN: 0
; COMPUTE_PGM_RSRC2:USER_SGPR: 2
; COMPUTE_PGM_RSRC2:TRAP_HANDLER: 0
; COMPUTE_PGM_RSRC2:TGID_X_EN: 1
; COMPUTE_PGM_RSRC2:TGID_Y_EN: 0
; COMPUTE_PGM_RSRC2:TGID_Z_EN: 0
; COMPUTE_PGM_RSRC2:TIDIG_COMP_CNT: 0
	.section	.text._ZN7rocprim17ROCPRIM_400000_NS6detail17trampoline_kernelINS0_14default_configENS1_36segmented_radix_sort_config_selectorIdlEEZNS1_25segmented_radix_sort_implIS3_Lb1EPKdPdPKlPlN2at6native12_GLOBAL__N_18offset_tEEE10hipError_tPvRmT1_PNSt15iterator_traitsISK_E10value_typeET2_T3_PNSL_ISQ_E10value_typeET4_jRbjT5_SW_jjP12ihipStream_tbEUlT_E2_NS1_11comp_targetILNS1_3genE4ELNS1_11target_archE910ELNS1_3gpuE8ELNS1_3repE0EEENS1_30default_config_static_selectorELNS0_4arch9wavefront6targetE0EEEvSK_,"axG",@progbits,_ZN7rocprim17ROCPRIM_400000_NS6detail17trampoline_kernelINS0_14default_configENS1_36segmented_radix_sort_config_selectorIdlEEZNS1_25segmented_radix_sort_implIS3_Lb1EPKdPdPKlPlN2at6native12_GLOBAL__N_18offset_tEEE10hipError_tPvRmT1_PNSt15iterator_traitsISK_E10value_typeET2_T3_PNSL_ISQ_E10value_typeET4_jRbjT5_SW_jjP12ihipStream_tbEUlT_E2_NS1_11comp_targetILNS1_3genE4ELNS1_11target_archE910ELNS1_3gpuE8ELNS1_3repE0EEENS1_30default_config_static_selectorELNS0_4arch9wavefront6targetE0EEEvSK_,comdat
	.globl	_ZN7rocprim17ROCPRIM_400000_NS6detail17trampoline_kernelINS0_14default_configENS1_36segmented_radix_sort_config_selectorIdlEEZNS1_25segmented_radix_sort_implIS3_Lb1EPKdPdPKlPlN2at6native12_GLOBAL__N_18offset_tEEE10hipError_tPvRmT1_PNSt15iterator_traitsISK_E10value_typeET2_T3_PNSL_ISQ_E10value_typeET4_jRbjT5_SW_jjP12ihipStream_tbEUlT_E2_NS1_11comp_targetILNS1_3genE4ELNS1_11target_archE910ELNS1_3gpuE8ELNS1_3repE0EEENS1_30default_config_static_selectorELNS0_4arch9wavefront6targetE0EEEvSK_ ; -- Begin function _ZN7rocprim17ROCPRIM_400000_NS6detail17trampoline_kernelINS0_14default_configENS1_36segmented_radix_sort_config_selectorIdlEEZNS1_25segmented_radix_sort_implIS3_Lb1EPKdPdPKlPlN2at6native12_GLOBAL__N_18offset_tEEE10hipError_tPvRmT1_PNSt15iterator_traitsISK_E10value_typeET2_T3_PNSL_ISQ_E10value_typeET4_jRbjT5_SW_jjP12ihipStream_tbEUlT_E2_NS1_11comp_targetILNS1_3genE4ELNS1_11target_archE910ELNS1_3gpuE8ELNS1_3repE0EEENS1_30default_config_static_selectorELNS0_4arch9wavefront6targetE0EEEvSK_
	.p2align	8
	.type	_ZN7rocprim17ROCPRIM_400000_NS6detail17trampoline_kernelINS0_14default_configENS1_36segmented_radix_sort_config_selectorIdlEEZNS1_25segmented_radix_sort_implIS3_Lb1EPKdPdPKlPlN2at6native12_GLOBAL__N_18offset_tEEE10hipError_tPvRmT1_PNSt15iterator_traitsISK_E10value_typeET2_T3_PNSL_ISQ_E10value_typeET4_jRbjT5_SW_jjP12ihipStream_tbEUlT_E2_NS1_11comp_targetILNS1_3genE4ELNS1_11target_archE910ELNS1_3gpuE8ELNS1_3repE0EEENS1_30default_config_static_selectorELNS0_4arch9wavefront6targetE0EEEvSK_,@function
_ZN7rocprim17ROCPRIM_400000_NS6detail17trampoline_kernelINS0_14default_configENS1_36segmented_radix_sort_config_selectorIdlEEZNS1_25segmented_radix_sort_implIS3_Lb1EPKdPdPKlPlN2at6native12_GLOBAL__N_18offset_tEEE10hipError_tPvRmT1_PNSt15iterator_traitsISK_E10value_typeET2_T3_PNSL_ISQ_E10value_typeET4_jRbjT5_SW_jjP12ihipStream_tbEUlT_E2_NS1_11comp_targetILNS1_3genE4ELNS1_11target_archE910ELNS1_3gpuE8ELNS1_3repE0EEENS1_30default_config_static_selectorELNS0_4arch9wavefront6targetE0EEEvSK_: ; @_ZN7rocprim17ROCPRIM_400000_NS6detail17trampoline_kernelINS0_14default_configENS1_36segmented_radix_sort_config_selectorIdlEEZNS1_25segmented_radix_sort_implIS3_Lb1EPKdPdPKlPlN2at6native12_GLOBAL__N_18offset_tEEE10hipError_tPvRmT1_PNSt15iterator_traitsISK_E10value_typeET2_T3_PNSL_ISQ_E10value_typeET4_jRbjT5_SW_jjP12ihipStream_tbEUlT_E2_NS1_11comp_targetILNS1_3genE4ELNS1_11target_archE910ELNS1_3gpuE8ELNS1_3repE0EEENS1_30default_config_static_selectorELNS0_4arch9wavefront6targetE0EEEvSK_
; %bb.0:
	.section	.rodata,"a",@progbits
	.p2align	6, 0x0
	.amdhsa_kernel _ZN7rocprim17ROCPRIM_400000_NS6detail17trampoline_kernelINS0_14default_configENS1_36segmented_radix_sort_config_selectorIdlEEZNS1_25segmented_radix_sort_implIS3_Lb1EPKdPdPKlPlN2at6native12_GLOBAL__N_18offset_tEEE10hipError_tPvRmT1_PNSt15iterator_traitsISK_E10value_typeET2_T3_PNSL_ISQ_E10value_typeET4_jRbjT5_SW_jjP12ihipStream_tbEUlT_E2_NS1_11comp_targetILNS1_3genE4ELNS1_11target_archE910ELNS1_3gpuE8ELNS1_3repE0EEENS1_30default_config_static_selectorELNS0_4arch9wavefront6targetE0EEEvSK_
		.amdhsa_group_segment_fixed_size 0
		.amdhsa_private_segment_fixed_size 0
		.amdhsa_kernarg_size 80
		.amdhsa_user_sgpr_count 2
		.amdhsa_user_sgpr_dispatch_ptr 0
		.amdhsa_user_sgpr_queue_ptr 0
		.amdhsa_user_sgpr_kernarg_segment_ptr 1
		.amdhsa_user_sgpr_dispatch_id 0
		.amdhsa_user_sgpr_kernarg_preload_length 0
		.amdhsa_user_sgpr_kernarg_preload_offset 0
		.amdhsa_user_sgpr_private_segment_size 0
		.amdhsa_wavefront_size32 1
		.amdhsa_uses_dynamic_stack 0
		.amdhsa_enable_private_segment 0
		.amdhsa_system_sgpr_workgroup_id_x 1
		.amdhsa_system_sgpr_workgroup_id_y 0
		.amdhsa_system_sgpr_workgroup_id_z 0
		.amdhsa_system_sgpr_workgroup_info 0
		.amdhsa_system_vgpr_workitem_id 0
		.amdhsa_next_free_vgpr 1
		.amdhsa_next_free_sgpr 1
		.amdhsa_named_barrier_count 0
		.amdhsa_reserve_vcc 0
		.amdhsa_float_round_mode_32 0
		.amdhsa_float_round_mode_16_64 0
		.amdhsa_float_denorm_mode_32 3
		.amdhsa_float_denorm_mode_16_64 3
		.amdhsa_fp16_overflow 0
		.amdhsa_memory_ordered 1
		.amdhsa_forward_progress 1
		.amdhsa_inst_pref_size 0
		.amdhsa_round_robin_scheduling 0
		.amdhsa_exception_fp_ieee_invalid_op 0
		.amdhsa_exception_fp_denorm_src 0
		.amdhsa_exception_fp_ieee_div_zero 0
		.amdhsa_exception_fp_ieee_overflow 0
		.amdhsa_exception_fp_ieee_underflow 0
		.amdhsa_exception_fp_ieee_inexact 0
		.amdhsa_exception_int_div_zero 0
	.end_amdhsa_kernel
	.section	.text._ZN7rocprim17ROCPRIM_400000_NS6detail17trampoline_kernelINS0_14default_configENS1_36segmented_radix_sort_config_selectorIdlEEZNS1_25segmented_radix_sort_implIS3_Lb1EPKdPdPKlPlN2at6native12_GLOBAL__N_18offset_tEEE10hipError_tPvRmT1_PNSt15iterator_traitsISK_E10value_typeET2_T3_PNSL_ISQ_E10value_typeET4_jRbjT5_SW_jjP12ihipStream_tbEUlT_E2_NS1_11comp_targetILNS1_3genE4ELNS1_11target_archE910ELNS1_3gpuE8ELNS1_3repE0EEENS1_30default_config_static_selectorELNS0_4arch9wavefront6targetE0EEEvSK_,"axG",@progbits,_ZN7rocprim17ROCPRIM_400000_NS6detail17trampoline_kernelINS0_14default_configENS1_36segmented_radix_sort_config_selectorIdlEEZNS1_25segmented_radix_sort_implIS3_Lb1EPKdPdPKlPlN2at6native12_GLOBAL__N_18offset_tEEE10hipError_tPvRmT1_PNSt15iterator_traitsISK_E10value_typeET2_T3_PNSL_ISQ_E10value_typeET4_jRbjT5_SW_jjP12ihipStream_tbEUlT_E2_NS1_11comp_targetILNS1_3genE4ELNS1_11target_archE910ELNS1_3gpuE8ELNS1_3repE0EEENS1_30default_config_static_selectorELNS0_4arch9wavefront6targetE0EEEvSK_,comdat
.Lfunc_end1144:
	.size	_ZN7rocprim17ROCPRIM_400000_NS6detail17trampoline_kernelINS0_14default_configENS1_36segmented_radix_sort_config_selectorIdlEEZNS1_25segmented_radix_sort_implIS3_Lb1EPKdPdPKlPlN2at6native12_GLOBAL__N_18offset_tEEE10hipError_tPvRmT1_PNSt15iterator_traitsISK_E10value_typeET2_T3_PNSL_ISQ_E10value_typeET4_jRbjT5_SW_jjP12ihipStream_tbEUlT_E2_NS1_11comp_targetILNS1_3genE4ELNS1_11target_archE910ELNS1_3gpuE8ELNS1_3repE0EEENS1_30default_config_static_selectorELNS0_4arch9wavefront6targetE0EEEvSK_, .Lfunc_end1144-_ZN7rocprim17ROCPRIM_400000_NS6detail17trampoline_kernelINS0_14default_configENS1_36segmented_radix_sort_config_selectorIdlEEZNS1_25segmented_radix_sort_implIS3_Lb1EPKdPdPKlPlN2at6native12_GLOBAL__N_18offset_tEEE10hipError_tPvRmT1_PNSt15iterator_traitsISK_E10value_typeET2_T3_PNSL_ISQ_E10value_typeET4_jRbjT5_SW_jjP12ihipStream_tbEUlT_E2_NS1_11comp_targetILNS1_3genE4ELNS1_11target_archE910ELNS1_3gpuE8ELNS1_3repE0EEENS1_30default_config_static_selectorELNS0_4arch9wavefront6targetE0EEEvSK_
                                        ; -- End function
	.set _ZN7rocprim17ROCPRIM_400000_NS6detail17trampoline_kernelINS0_14default_configENS1_36segmented_radix_sort_config_selectorIdlEEZNS1_25segmented_radix_sort_implIS3_Lb1EPKdPdPKlPlN2at6native12_GLOBAL__N_18offset_tEEE10hipError_tPvRmT1_PNSt15iterator_traitsISK_E10value_typeET2_T3_PNSL_ISQ_E10value_typeET4_jRbjT5_SW_jjP12ihipStream_tbEUlT_E2_NS1_11comp_targetILNS1_3genE4ELNS1_11target_archE910ELNS1_3gpuE8ELNS1_3repE0EEENS1_30default_config_static_selectorELNS0_4arch9wavefront6targetE0EEEvSK_.num_vgpr, 0
	.set _ZN7rocprim17ROCPRIM_400000_NS6detail17trampoline_kernelINS0_14default_configENS1_36segmented_radix_sort_config_selectorIdlEEZNS1_25segmented_radix_sort_implIS3_Lb1EPKdPdPKlPlN2at6native12_GLOBAL__N_18offset_tEEE10hipError_tPvRmT1_PNSt15iterator_traitsISK_E10value_typeET2_T3_PNSL_ISQ_E10value_typeET4_jRbjT5_SW_jjP12ihipStream_tbEUlT_E2_NS1_11comp_targetILNS1_3genE4ELNS1_11target_archE910ELNS1_3gpuE8ELNS1_3repE0EEENS1_30default_config_static_selectorELNS0_4arch9wavefront6targetE0EEEvSK_.num_agpr, 0
	.set _ZN7rocprim17ROCPRIM_400000_NS6detail17trampoline_kernelINS0_14default_configENS1_36segmented_radix_sort_config_selectorIdlEEZNS1_25segmented_radix_sort_implIS3_Lb1EPKdPdPKlPlN2at6native12_GLOBAL__N_18offset_tEEE10hipError_tPvRmT1_PNSt15iterator_traitsISK_E10value_typeET2_T3_PNSL_ISQ_E10value_typeET4_jRbjT5_SW_jjP12ihipStream_tbEUlT_E2_NS1_11comp_targetILNS1_3genE4ELNS1_11target_archE910ELNS1_3gpuE8ELNS1_3repE0EEENS1_30default_config_static_selectorELNS0_4arch9wavefront6targetE0EEEvSK_.numbered_sgpr, 0
	.set _ZN7rocprim17ROCPRIM_400000_NS6detail17trampoline_kernelINS0_14default_configENS1_36segmented_radix_sort_config_selectorIdlEEZNS1_25segmented_radix_sort_implIS3_Lb1EPKdPdPKlPlN2at6native12_GLOBAL__N_18offset_tEEE10hipError_tPvRmT1_PNSt15iterator_traitsISK_E10value_typeET2_T3_PNSL_ISQ_E10value_typeET4_jRbjT5_SW_jjP12ihipStream_tbEUlT_E2_NS1_11comp_targetILNS1_3genE4ELNS1_11target_archE910ELNS1_3gpuE8ELNS1_3repE0EEENS1_30default_config_static_selectorELNS0_4arch9wavefront6targetE0EEEvSK_.num_named_barrier, 0
	.set _ZN7rocprim17ROCPRIM_400000_NS6detail17trampoline_kernelINS0_14default_configENS1_36segmented_radix_sort_config_selectorIdlEEZNS1_25segmented_radix_sort_implIS3_Lb1EPKdPdPKlPlN2at6native12_GLOBAL__N_18offset_tEEE10hipError_tPvRmT1_PNSt15iterator_traitsISK_E10value_typeET2_T3_PNSL_ISQ_E10value_typeET4_jRbjT5_SW_jjP12ihipStream_tbEUlT_E2_NS1_11comp_targetILNS1_3genE4ELNS1_11target_archE910ELNS1_3gpuE8ELNS1_3repE0EEENS1_30default_config_static_selectorELNS0_4arch9wavefront6targetE0EEEvSK_.private_seg_size, 0
	.set _ZN7rocprim17ROCPRIM_400000_NS6detail17trampoline_kernelINS0_14default_configENS1_36segmented_radix_sort_config_selectorIdlEEZNS1_25segmented_radix_sort_implIS3_Lb1EPKdPdPKlPlN2at6native12_GLOBAL__N_18offset_tEEE10hipError_tPvRmT1_PNSt15iterator_traitsISK_E10value_typeET2_T3_PNSL_ISQ_E10value_typeET4_jRbjT5_SW_jjP12ihipStream_tbEUlT_E2_NS1_11comp_targetILNS1_3genE4ELNS1_11target_archE910ELNS1_3gpuE8ELNS1_3repE0EEENS1_30default_config_static_selectorELNS0_4arch9wavefront6targetE0EEEvSK_.uses_vcc, 0
	.set _ZN7rocprim17ROCPRIM_400000_NS6detail17trampoline_kernelINS0_14default_configENS1_36segmented_radix_sort_config_selectorIdlEEZNS1_25segmented_radix_sort_implIS3_Lb1EPKdPdPKlPlN2at6native12_GLOBAL__N_18offset_tEEE10hipError_tPvRmT1_PNSt15iterator_traitsISK_E10value_typeET2_T3_PNSL_ISQ_E10value_typeET4_jRbjT5_SW_jjP12ihipStream_tbEUlT_E2_NS1_11comp_targetILNS1_3genE4ELNS1_11target_archE910ELNS1_3gpuE8ELNS1_3repE0EEENS1_30default_config_static_selectorELNS0_4arch9wavefront6targetE0EEEvSK_.uses_flat_scratch, 0
	.set _ZN7rocprim17ROCPRIM_400000_NS6detail17trampoline_kernelINS0_14default_configENS1_36segmented_radix_sort_config_selectorIdlEEZNS1_25segmented_radix_sort_implIS3_Lb1EPKdPdPKlPlN2at6native12_GLOBAL__N_18offset_tEEE10hipError_tPvRmT1_PNSt15iterator_traitsISK_E10value_typeET2_T3_PNSL_ISQ_E10value_typeET4_jRbjT5_SW_jjP12ihipStream_tbEUlT_E2_NS1_11comp_targetILNS1_3genE4ELNS1_11target_archE910ELNS1_3gpuE8ELNS1_3repE0EEENS1_30default_config_static_selectorELNS0_4arch9wavefront6targetE0EEEvSK_.has_dyn_sized_stack, 0
	.set _ZN7rocprim17ROCPRIM_400000_NS6detail17trampoline_kernelINS0_14default_configENS1_36segmented_radix_sort_config_selectorIdlEEZNS1_25segmented_radix_sort_implIS3_Lb1EPKdPdPKlPlN2at6native12_GLOBAL__N_18offset_tEEE10hipError_tPvRmT1_PNSt15iterator_traitsISK_E10value_typeET2_T3_PNSL_ISQ_E10value_typeET4_jRbjT5_SW_jjP12ihipStream_tbEUlT_E2_NS1_11comp_targetILNS1_3genE4ELNS1_11target_archE910ELNS1_3gpuE8ELNS1_3repE0EEENS1_30default_config_static_selectorELNS0_4arch9wavefront6targetE0EEEvSK_.has_recursion, 0
	.set _ZN7rocprim17ROCPRIM_400000_NS6detail17trampoline_kernelINS0_14default_configENS1_36segmented_radix_sort_config_selectorIdlEEZNS1_25segmented_radix_sort_implIS3_Lb1EPKdPdPKlPlN2at6native12_GLOBAL__N_18offset_tEEE10hipError_tPvRmT1_PNSt15iterator_traitsISK_E10value_typeET2_T3_PNSL_ISQ_E10value_typeET4_jRbjT5_SW_jjP12ihipStream_tbEUlT_E2_NS1_11comp_targetILNS1_3genE4ELNS1_11target_archE910ELNS1_3gpuE8ELNS1_3repE0EEENS1_30default_config_static_selectorELNS0_4arch9wavefront6targetE0EEEvSK_.has_indirect_call, 0
	.section	.AMDGPU.csdata,"",@progbits
; Kernel info:
; codeLenInByte = 0
; TotalNumSgprs: 0
; NumVgprs: 0
; ScratchSize: 0
; MemoryBound: 0
; FloatMode: 240
; IeeeMode: 1
; LDSByteSize: 0 bytes/workgroup (compile time only)
; SGPRBlocks: 0
; VGPRBlocks: 0
; NumSGPRsForWavesPerEU: 1
; NumVGPRsForWavesPerEU: 1
; NamedBarCnt: 0
; Occupancy: 16
; WaveLimiterHint : 0
; COMPUTE_PGM_RSRC2:SCRATCH_EN: 0
; COMPUTE_PGM_RSRC2:USER_SGPR: 2
; COMPUTE_PGM_RSRC2:TRAP_HANDLER: 0
; COMPUTE_PGM_RSRC2:TGID_X_EN: 1
; COMPUTE_PGM_RSRC2:TGID_Y_EN: 0
; COMPUTE_PGM_RSRC2:TGID_Z_EN: 0
; COMPUTE_PGM_RSRC2:TIDIG_COMP_CNT: 0
	.section	.text._ZN7rocprim17ROCPRIM_400000_NS6detail17trampoline_kernelINS0_14default_configENS1_36segmented_radix_sort_config_selectorIdlEEZNS1_25segmented_radix_sort_implIS3_Lb1EPKdPdPKlPlN2at6native12_GLOBAL__N_18offset_tEEE10hipError_tPvRmT1_PNSt15iterator_traitsISK_E10value_typeET2_T3_PNSL_ISQ_E10value_typeET4_jRbjT5_SW_jjP12ihipStream_tbEUlT_E2_NS1_11comp_targetILNS1_3genE3ELNS1_11target_archE908ELNS1_3gpuE7ELNS1_3repE0EEENS1_30default_config_static_selectorELNS0_4arch9wavefront6targetE0EEEvSK_,"axG",@progbits,_ZN7rocprim17ROCPRIM_400000_NS6detail17trampoline_kernelINS0_14default_configENS1_36segmented_radix_sort_config_selectorIdlEEZNS1_25segmented_radix_sort_implIS3_Lb1EPKdPdPKlPlN2at6native12_GLOBAL__N_18offset_tEEE10hipError_tPvRmT1_PNSt15iterator_traitsISK_E10value_typeET2_T3_PNSL_ISQ_E10value_typeET4_jRbjT5_SW_jjP12ihipStream_tbEUlT_E2_NS1_11comp_targetILNS1_3genE3ELNS1_11target_archE908ELNS1_3gpuE7ELNS1_3repE0EEENS1_30default_config_static_selectorELNS0_4arch9wavefront6targetE0EEEvSK_,comdat
	.globl	_ZN7rocprim17ROCPRIM_400000_NS6detail17trampoline_kernelINS0_14default_configENS1_36segmented_radix_sort_config_selectorIdlEEZNS1_25segmented_radix_sort_implIS3_Lb1EPKdPdPKlPlN2at6native12_GLOBAL__N_18offset_tEEE10hipError_tPvRmT1_PNSt15iterator_traitsISK_E10value_typeET2_T3_PNSL_ISQ_E10value_typeET4_jRbjT5_SW_jjP12ihipStream_tbEUlT_E2_NS1_11comp_targetILNS1_3genE3ELNS1_11target_archE908ELNS1_3gpuE7ELNS1_3repE0EEENS1_30default_config_static_selectorELNS0_4arch9wavefront6targetE0EEEvSK_ ; -- Begin function _ZN7rocprim17ROCPRIM_400000_NS6detail17trampoline_kernelINS0_14default_configENS1_36segmented_radix_sort_config_selectorIdlEEZNS1_25segmented_radix_sort_implIS3_Lb1EPKdPdPKlPlN2at6native12_GLOBAL__N_18offset_tEEE10hipError_tPvRmT1_PNSt15iterator_traitsISK_E10value_typeET2_T3_PNSL_ISQ_E10value_typeET4_jRbjT5_SW_jjP12ihipStream_tbEUlT_E2_NS1_11comp_targetILNS1_3genE3ELNS1_11target_archE908ELNS1_3gpuE7ELNS1_3repE0EEENS1_30default_config_static_selectorELNS0_4arch9wavefront6targetE0EEEvSK_
	.p2align	8
	.type	_ZN7rocprim17ROCPRIM_400000_NS6detail17trampoline_kernelINS0_14default_configENS1_36segmented_radix_sort_config_selectorIdlEEZNS1_25segmented_radix_sort_implIS3_Lb1EPKdPdPKlPlN2at6native12_GLOBAL__N_18offset_tEEE10hipError_tPvRmT1_PNSt15iterator_traitsISK_E10value_typeET2_T3_PNSL_ISQ_E10value_typeET4_jRbjT5_SW_jjP12ihipStream_tbEUlT_E2_NS1_11comp_targetILNS1_3genE3ELNS1_11target_archE908ELNS1_3gpuE7ELNS1_3repE0EEENS1_30default_config_static_selectorELNS0_4arch9wavefront6targetE0EEEvSK_,@function
_ZN7rocprim17ROCPRIM_400000_NS6detail17trampoline_kernelINS0_14default_configENS1_36segmented_radix_sort_config_selectorIdlEEZNS1_25segmented_radix_sort_implIS3_Lb1EPKdPdPKlPlN2at6native12_GLOBAL__N_18offset_tEEE10hipError_tPvRmT1_PNSt15iterator_traitsISK_E10value_typeET2_T3_PNSL_ISQ_E10value_typeET4_jRbjT5_SW_jjP12ihipStream_tbEUlT_E2_NS1_11comp_targetILNS1_3genE3ELNS1_11target_archE908ELNS1_3gpuE7ELNS1_3repE0EEENS1_30default_config_static_selectorELNS0_4arch9wavefront6targetE0EEEvSK_: ; @_ZN7rocprim17ROCPRIM_400000_NS6detail17trampoline_kernelINS0_14default_configENS1_36segmented_radix_sort_config_selectorIdlEEZNS1_25segmented_radix_sort_implIS3_Lb1EPKdPdPKlPlN2at6native12_GLOBAL__N_18offset_tEEE10hipError_tPvRmT1_PNSt15iterator_traitsISK_E10value_typeET2_T3_PNSL_ISQ_E10value_typeET4_jRbjT5_SW_jjP12ihipStream_tbEUlT_E2_NS1_11comp_targetILNS1_3genE3ELNS1_11target_archE908ELNS1_3gpuE7ELNS1_3repE0EEENS1_30default_config_static_selectorELNS0_4arch9wavefront6targetE0EEEvSK_
; %bb.0:
	.section	.rodata,"a",@progbits
	.p2align	6, 0x0
	.amdhsa_kernel _ZN7rocprim17ROCPRIM_400000_NS6detail17trampoline_kernelINS0_14default_configENS1_36segmented_radix_sort_config_selectorIdlEEZNS1_25segmented_radix_sort_implIS3_Lb1EPKdPdPKlPlN2at6native12_GLOBAL__N_18offset_tEEE10hipError_tPvRmT1_PNSt15iterator_traitsISK_E10value_typeET2_T3_PNSL_ISQ_E10value_typeET4_jRbjT5_SW_jjP12ihipStream_tbEUlT_E2_NS1_11comp_targetILNS1_3genE3ELNS1_11target_archE908ELNS1_3gpuE7ELNS1_3repE0EEENS1_30default_config_static_selectorELNS0_4arch9wavefront6targetE0EEEvSK_
		.amdhsa_group_segment_fixed_size 0
		.amdhsa_private_segment_fixed_size 0
		.amdhsa_kernarg_size 80
		.amdhsa_user_sgpr_count 2
		.amdhsa_user_sgpr_dispatch_ptr 0
		.amdhsa_user_sgpr_queue_ptr 0
		.amdhsa_user_sgpr_kernarg_segment_ptr 1
		.amdhsa_user_sgpr_dispatch_id 0
		.amdhsa_user_sgpr_kernarg_preload_length 0
		.amdhsa_user_sgpr_kernarg_preload_offset 0
		.amdhsa_user_sgpr_private_segment_size 0
		.amdhsa_wavefront_size32 1
		.amdhsa_uses_dynamic_stack 0
		.amdhsa_enable_private_segment 0
		.amdhsa_system_sgpr_workgroup_id_x 1
		.amdhsa_system_sgpr_workgroup_id_y 0
		.amdhsa_system_sgpr_workgroup_id_z 0
		.amdhsa_system_sgpr_workgroup_info 0
		.amdhsa_system_vgpr_workitem_id 0
		.amdhsa_next_free_vgpr 1
		.amdhsa_next_free_sgpr 1
		.amdhsa_named_barrier_count 0
		.amdhsa_reserve_vcc 0
		.amdhsa_float_round_mode_32 0
		.amdhsa_float_round_mode_16_64 0
		.amdhsa_float_denorm_mode_32 3
		.amdhsa_float_denorm_mode_16_64 3
		.amdhsa_fp16_overflow 0
		.amdhsa_memory_ordered 1
		.amdhsa_forward_progress 1
		.amdhsa_inst_pref_size 0
		.amdhsa_round_robin_scheduling 0
		.amdhsa_exception_fp_ieee_invalid_op 0
		.amdhsa_exception_fp_denorm_src 0
		.amdhsa_exception_fp_ieee_div_zero 0
		.amdhsa_exception_fp_ieee_overflow 0
		.amdhsa_exception_fp_ieee_underflow 0
		.amdhsa_exception_fp_ieee_inexact 0
		.amdhsa_exception_int_div_zero 0
	.end_amdhsa_kernel
	.section	.text._ZN7rocprim17ROCPRIM_400000_NS6detail17trampoline_kernelINS0_14default_configENS1_36segmented_radix_sort_config_selectorIdlEEZNS1_25segmented_radix_sort_implIS3_Lb1EPKdPdPKlPlN2at6native12_GLOBAL__N_18offset_tEEE10hipError_tPvRmT1_PNSt15iterator_traitsISK_E10value_typeET2_T3_PNSL_ISQ_E10value_typeET4_jRbjT5_SW_jjP12ihipStream_tbEUlT_E2_NS1_11comp_targetILNS1_3genE3ELNS1_11target_archE908ELNS1_3gpuE7ELNS1_3repE0EEENS1_30default_config_static_selectorELNS0_4arch9wavefront6targetE0EEEvSK_,"axG",@progbits,_ZN7rocprim17ROCPRIM_400000_NS6detail17trampoline_kernelINS0_14default_configENS1_36segmented_radix_sort_config_selectorIdlEEZNS1_25segmented_radix_sort_implIS3_Lb1EPKdPdPKlPlN2at6native12_GLOBAL__N_18offset_tEEE10hipError_tPvRmT1_PNSt15iterator_traitsISK_E10value_typeET2_T3_PNSL_ISQ_E10value_typeET4_jRbjT5_SW_jjP12ihipStream_tbEUlT_E2_NS1_11comp_targetILNS1_3genE3ELNS1_11target_archE908ELNS1_3gpuE7ELNS1_3repE0EEENS1_30default_config_static_selectorELNS0_4arch9wavefront6targetE0EEEvSK_,comdat
.Lfunc_end1145:
	.size	_ZN7rocprim17ROCPRIM_400000_NS6detail17trampoline_kernelINS0_14default_configENS1_36segmented_radix_sort_config_selectorIdlEEZNS1_25segmented_radix_sort_implIS3_Lb1EPKdPdPKlPlN2at6native12_GLOBAL__N_18offset_tEEE10hipError_tPvRmT1_PNSt15iterator_traitsISK_E10value_typeET2_T3_PNSL_ISQ_E10value_typeET4_jRbjT5_SW_jjP12ihipStream_tbEUlT_E2_NS1_11comp_targetILNS1_3genE3ELNS1_11target_archE908ELNS1_3gpuE7ELNS1_3repE0EEENS1_30default_config_static_selectorELNS0_4arch9wavefront6targetE0EEEvSK_, .Lfunc_end1145-_ZN7rocprim17ROCPRIM_400000_NS6detail17trampoline_kernelINS0_14default_configENS1_36segmented_radix_sort_config_selectorIdlEEZNS1_25segmented_radix_sort_implIS3_Lb1EPKdPdPKlPlN2at6native12_GLOBAL__N_18offset_tEEE10hipError_tPvRmT1_PNSt15iterator_traitsISK_E10value_typeET2_T3_PNSL_ISQ_E10value_typeET4_jRbjT5_SW_jjP12ihipStream_tbEUlT_E2_NS1_11comp_targetILNS1_3genE3ELNS1_11target_archE908ELNS1_3gpuE7ELNS1_3repE0EEENS1_30default_config_static_selectorELNS0_4arch9wavefront6targetE0EEEvSK_
                                        ; -- End function
	.set _ZN7rocprim17ROCPRIM_400000_NS6detail17trampoline_kernelINS0_14default_configENS1_36segmented_radix_sort_config_selectorIdlEEZNS1_25segmented_radix_sort_implIS3_Lb1EPKdPdPKlPlN2at6native12_GLOBAL__N_18offset_tEEE10hipError_tPvRmT1_PNSt15iterator_traitsISK_E10value_typeET2_T3_PNSL_ISQ_E10value_typeET4_jRbjT5_SW_jjP12ihipStream_tbEUlT_E2_NS1_11comp_targetILNS1_3genE3ELNS1_11target_archE908ELNS1_3gpuE7ELNS1_3repE0EEENS1_30default_config_static_selectorELNS0_4arch9wavefront6targetE0EEEvSK_.num_vgpr, 0
	.set _ZN7rocprim17ROCPRIM_400000_NS6detail17trampoline_kernelINS0_14default_configENS1_36segmented_radix_sort_config_selectorIdlEEZNS1_25segmented_radix_sort_implIS3_Lb1EPKdPdPKlPlN2at6native12_GLOBAL__N_18offset_tEEE10hipError_tPvRmT1_PNSt15iterator_traitsISK_E10value_typeET2_T3_PNSL_ISQ_E10value_typeET4_jRbjT5_SW_jjP12ihipStream_tbEUlT_E2_NS1_11comp_targetILNS1_3genE3ELNS1_11target_archE908ELNS1_3gpuE7ELNS1_3repE0EEENS1_30default_config_static_selectorELNS0_4arch9wavefront6targetE0EEEvSK_.num_agpr, 0
	.set _ZN7rocprim17ROCPRIM_400000_NS6detail17trampoline_kernelINS0_14default_configENS1_36segmented_radix_sort_config_selectorIdlEEZNS1_25segmented_radix_sort_implIS3_Lb1EPKdPdPKlPlN2at6native12_GLOBAL__N_18offset_tEEE10hipError_tPvRmT1_PNSt15iterator_traitsISK_E10value_typeET2_T3_PNSL_ISQ_E10value_typeET4_jRbjT5_SW_jjP12ihipStream_tbEUlT_E2_NS1_11comp_targetILNS1_3genE3ELNS1_11target_archE908ELNS1_3gpuE7ELNS1_3repE0EEENS1_30default_config_static_selectorELNS0_4arch9wavefront6targetE0EEEvSK_.numbered_sgpr, 0
	.set _ZN7rocprim17ROCPRIM_400000_NS6detail17trampoline_kernelINS0_14default_configENS1_36segmented_radix_sort_config_selectorIdlEEZNS1_25segmented_radix_sort_implIS3_Lb1EPKdPdPKlPlN2at6native12_GLOBAL__N_18offset_tEEE10hipError_tPvRmT1_PNSt15iterator_traitsISK_E10value_typeET2_T3_PNSL_ISQ_E10value_typeET4_jRbjT5_SW_jjP12ihipStream_tbEUlT_E2_NS1_11comp_targetILNS1_3genE3ELNS1_11target_archE908ELNS1_3gpuE7ELNS1_3repE0EEENS1_30default_config_static_selectorELNS0_4arch9wavefront6targetE0EEEvSK_.num_named_barrier, 0
	.set _ZN7rocprim17ROCPRIM_400000_NS6detail17trampoline_kernelINS0_14default_configENS1_36segmented_radix_sort_config_selectorIdlEEZNS1_25segmented_radix_sort_implIS3_Lb1EPKdPdPKlPlN2at6native12_GLOBAL__N_18offset_tEEE10hipError_tPvRmT1_PNSt15iterator_traitsISK_E10value_typeET2_T3_PNSL_ISQ_E10value_typeET4_jRbjT5_SW_jjP12ihipStream_tbEUlT_E2_NS1_11comp_targetILNS1_3genE3ELNS1_11target_archE908ELNS1_3gpuE7ELNS1_3repE0EEENS1_30default_config_static_selectorELNS0_4arch9wavefront6targetE0EEEvSK_.private_seg_size, 0
	.set _ZN7rocprim17ROCPRIM_400000_NS6detail17trampoline_kernelINS0_14default_configENS1_36segmented_radix_sort_config_selectorIdlEEZNS1_25segmented_radix_sort_implIS3_Lb1EPKdPdPKlPlN2at6native12_GLOBAL__N_18offset_tEEE10hipError_tPvRmT1_PNSt15iterator_traitsISK_E10value_typeET2_T3_PNSL_ISQ_E10value_typeET4_jRbjT5_SW_jjP12ihipStream_tbEUlT_E2_NS1_11comp_targetILNS1_3genE3ELNS1_11target_archE908ELNS1_3gpuE7ELNS1_3repE0EEENS1_30default_config_static_selectorELNS0_4arch9wavefront6targetE0EEEvSK_.uses_vcc, 0
	.set _ZN7rocprim17ROCPRIM_400000_NS6detail17trampoline_kernelINS0_14default_configENS1_36segmented_radix_sort_config_selectorIdlEEZNS1_25segmented_radix_sort_implIS3_Lb1EPKdPdPKlPlN2at6native12_GLOBAL__N_18offset_tEEE10hipError_tPvRmT1_PNSt15iterator_traitsISK_E10value_typeET2_T3_PNSL_ISQ_E10value_typeET4_jRbjT5_SW_jjP12ihipStream_tbEUlT_E2_NS1_11comp_targetILNS1_3genE3ELNS1_11target_archE908ELNS1_3gpuE7ELNS1_3repE0EEENS1_30default_config_static_selectorELNS0_4arch9wavefront6targetE0EEEvSK_.uses_flat_scratch, 0
	.set _ZN7rocprim17ROCPRIM_400000_NS6detail17trampoline_kernelINS0_14default_configENS1_36segmented_radix_sort_config_selectorIdlEEZNS1_25segmented_radix_sort_implIS3_Lb1EPKdPdPKlPlN2at6native12_GLOBAL__N_18offset_tEEE10hipError_tPvRmT1_PNSt15iterator_traitsISK_E10value_typeET2_T3_PNSL_ISQ_E10value_typeET4_jRbjT5_SW_jjP12ihipStream_tbEUlT_E2_NS1_11comp_targetILNS1_3genE3ELNS1_11target_archE908ELNS1_3gpuE7ELNS1_3repE0EEENS1_30default_config_static_selectorELNS0_4arch9wavefront6targetE0EEEvSK_.has_dyn_sized_stack, 0
	.set _ZN7rocprim17ROCPRIM_400000_NS6detail17trampoline_kernelINS0_14default_configENS1_36segmented_radix_sort_config_selectorIdlEEZNS1_25segmented_radix_sort_implIS3_Lb1EPKdPdPKlPlN2at6native12_GLOBAL__N_18offset_tEEE10hipError_tPvRmT1_PNSt15iterator_traitsISK_E10value_typeET2_T3_PNSL_ISQ_E10value_typeET4_jRbjT5_SW_jjP12ihipStream_tbEUlT_E2_NS1_11comp_targetILNS1_3genE3ELNS1_11target_archE908ELNS1_3gpuE7ELNS1_3repE0EEENS1_30default_config_static_selectorELNS0_4arch9wavefront6targetE0EEEvSK_.has_recursion, 0
	.set _ZN7rocprim17ROCPRIM_400000_NS6detail17trampoline_kernelINS0_14default_configENS1_36segmented_radix_sort_config_selectorIdlEEZNS1_25segmented_radix_sort_implIS3_Lb1EPKdPdPKlPlN2at6native12_GLOBAL__N_18offset_tEEE10hipError_tPvRmT1_PNSt15iterator_traitsISK_E10value_typeET2_T3_PNSL_ISQ_E10value_typeET4_jRbjT5_SW_jjP12ihipStream_tbEUlT_E2_NS1_11comp_targetILNS1_3genE3ELNS1_11target_archE908ELNS1_3gpuE7ELNS1_3repE0EEENS1_30default_config_static_selectorELNS0_4arch9wavefront6targetE0EEEvSK_.has_indirect_call, 0
	.section	.AMDGPU.csdata,"",@progbits
; Kernel info:
; codeLenInByte = 0
; TotalNumSgprs: 0
; NumVgprs: 0
; ScratchSize: 0
; MemoryBound: 0
; FloatMode: 240
; IeeeMode: 1
; LDSByteSize: 0 bytes/workgroup (compile time only)
; SGPRBlocks: 0
; VGPRBlocks: 0
; NumSGPRsForWavesPerEU: 1
; NumVGPRsForWavesPerEU: 1
; NamedBarCnt: 0
; Occupancy: 16
; WaveLimiterHint : 0
; COMPUTE_PGM_RSRC2:SCRATCH_EN: 0
; COMPUTE_PGM_RSRC2:USER_SGPR: 2
; COMPUTE_PGM_RSRC2:TRAP_HANDLER: 0
; COMPUTE_PGM_RSRC2:TGID_X_EN: 1
; COMPUTE_PGM_RSRC2:TGID_Y_EN: 0
; COMPUTE_PGM_RSRC2:TGID_Z_EN: 0
; COMPUTE_PGM_RSRC2:TIDIG_COMP_CNT: 0
	.section	.text._ZN7rocprim17ROCPRIM_400000_NS6detail17trampoline_kernelINS0_14default_configENS1_36segmented_radix_sort_config_selectorIdlEEZNS1_25segmented_radix_sort_implIS3_Lb1EPKdPdPKlPlN2at6native12_GLOBAL__N_18offset_tEEE10hipError_tPvRmT1_PNSt15iterator_traitsISK_E10value_typeET2_T3_PNSL_ISQ_E10value_typeET4_jRbjT5_SW_jjP12ihipStream_tbEUlT_E2_NS1_11comp_targetILNS1_3genE2ELNS1_11target_archE906ELNS1_3gpuE6ELNS1_3repE0EEENS1_30default_config_static_selectorELNS0_4arch9wavefront6targetE0EEEvSK_,"axG",@progbits,_ZN7rocprim17ROCPRIM_400000_NS6detail17trampoline_kernelINS0_14default_configENS1_36segmented_radix_sort_config_selectorIdlEEZNS1_25segmented_radix_sort_implIS3_Lb1EPKdPdPKlPlN2at6native12_GLOBAL__N_18offset_tEEE10hipError_tPvRmT1_PNSt15iterator_traitsISK_E10value_typeET2_T3_PNSL_ISQ_E10value_typeET4_jRbjT5_SW_jjP12ihipStream_tbEUlT_E2_NS1_11comp_targetILNS1_3genE2ELNS1_11target_archE906ELNS1_3gpuE6ELNS1_3repE0EEENS1_30default_config_static_selectorELNS0_4arch9wavefront6targetE0EEEvSK_,comdat
	.globl	_ZN7rocprim17ROCPRIM_400000_NS6detail17trampoline_kernelINS0_14default_configENS1_36segmented_radix_sort_config_selectorIdlEEZNS1_25segmented_radix_sort_implIS3_Lb1EPKdPdPKlPlN2at6native12_GLOBAL__N_18offset_tEEE10hipError_tPvRmT1_PNSt15iterator_traitsISK_E10value_typeET2_T3_PNSL_ISQ_E10value_typeET4_jRbjT5_SW_jjP12ihipStream_tbEUlT_E2_NS1_11comp_targetILNS1_3genE2ELNS1_11target_archE906ELNS1_3gpuE6ELNS1_3repE0EEENS1_30default_config_static_selectorELNS0_4arch9wavefront6targetE0EEEvSK_ ; -- Begin function _ZN7rocprim17ROCPRIM_400000_NS6detail17trampoline_kernelINS0_14default_configENS1_36segmented_radix_sort_config_selectorIdlEEZNS1_25segmented_radix_sort_implIS3_Lb1EPKdPdPKlPlN2at6native12_GLOBAL__N_18offset_tEEE10hipError_tPvRmT1_PNSt15iterator_traitsISK_E10value_typeET2_T3_PNSL_ISQ_E10value_typeET4_jRbjT5_SW_jjP12ihipStream_tbEUlT_E2_NS1_11comp_targetILNS1_3genE2ELNS1_11target_archE906ELNS1_3gpuE6ELNS1_3repE0EEENS1_30default_config_static_selectorELNS0_4arch9wavefront6targetE0EEEvSK_
	.p2align	8
	.type	_ZN7rocprim17ROCPRIM_400000_NS6detail17trampoline_kernelINS0_14default_configENS1_36segmented_radix_sort_config_selectorIdlEEZNS1_25segmented_radix_sort_implIS3_Lb1EPKdPdPKlPlN2at6native12_GLOBAL__N_18offset_tEEE10hipError_tPvRmT1_PNSt15iterator_traitsISK_E10value_typeET2_T3_PNSL_ISQ_E10value_typeET4_jRbjT5_SW_jjP12ihipStream_tbEUlT_E2_NS1_11comp_targetILNS1_3genE2ELNS1_11target_archE906ELNS1_3gpuE6ELNS1_3repE0EEENS1_30default_config_static_selectorELNS0_4arch9wavefront6targetE0EEEvSK_,@function
_ZN7rocprim17ROCPRIM_400000_NS6detail17trampoline_kernelINS0_14default_configENS1_36segmented_radix_sort_config_selectorIdlEEZNS1_25segmented_radix_sort_implIS3_Lb1EPKdPdPKlPlN2at6native12_GLOBAL__N_18offset_tEEE10hipError_tPvRmT1_PNSt15iterator_traitsISK_E10value_typeET2_T3_PNSL_ISQ_E10value_typeET4_jRbjT5_SW_jjP12ihipStream_tbEUlT_E2_NS1_11comp_targetILNS1_3genE2ELNS1_11target_archE906ELNS1_3gpuE6ELNS1_3repE0EEENS1_30default_config_static_selectorELNS0_4arch9wavefront6targetE0EEEvSK_: ; @_ZN7rocprim17ROCPRIM_400000_NS6detail17trampoline_kernelINS0_14default_configENS1_36segmented_radix_sort_config_selectorIdlEEZNS1_25segmented_radix_sort_implIS3_Lb1EPKdPdPKlPlN2at6native12_GLOBAL__N_18offset_tEEE10hipError_tPvRmT1_PNSt15iterator_traitsISK_E10value_typeET2_T3_PNSL_ISQ_E10value_typeET4_jRbjT5_SW_jjP12ihipStream_tbEUlT_E2_NS1_11comp_targetILNS1_3genE2ELNS1_11target_archE906ELNS1_3gpuE6ELNS1_3repE0EEENS1_30default_config_static_selectorELNS0_4arch9wavefront6targetE0EEEvSK_
; %bb.0:
	.section	.rodata,"a",@progbits
	.p2align	6, 0x0
	.amdhsa_kernel _ZN7rocprim17ROCPRIM_400000_NS6detail17trampoline_kernelINS0_14default_configENS1_36segmented_radix_sort_config_selectorIdlEEZNS1_25segmented_radix_sort_implIS3_Lb1EPKdPdPKlPlN2at6native12_GLOBAL__N_18offset_tEEE10hipError_tPvRmT1_PNSt15iterator_traitsISK_E10value_typeET2_T3_PNSL_ISQ_E10value_typeET4_jRbjT5_SW_jjP12ihipStream_tbEUlT_E2_NS1_11comp_targetILNS1_3genE2ELNS1_11target_archE906ELNS1_3gpuE6ELNS1_3repE0EEENS1_30default_config_static_selectorELNS0_4arch9wavefront6targetE0EEEvSK_
		.amdhsa_group_segment_fixed_size 0
		.amdhsa_private_segment_fixed_size 0
		.amdhsa_kernarg_size 80
		.amdhsa_user_sgpr_count 2
		.amdhsa_user_sgpr_dispatch_ptr 0
		.amdhsa_user_sgpr_queue_ptr 0
		.amdhsa_user_sgpr_kernarg_segment_ptr 1
		.amdhsa_user_sgpr_dispatch_id 0
		.amdhsa_user_sgpr_kernarg_preload_length 0
		.amdhsa_user_sgpr_kernarg_preload_offset 0
		.amdhsa_user_sgpr_private_segment_size 0
		.amdhsa_wavefront_size32 1
		.amdhsa_uses_dynamic_stack 0
		.amdhsa_enable_private_segment 0
		.amdhsa_system_sgpr_workgroup_id_x 1
		.amdhsa_system_sgpr_workgroup_id_y 0
		.amdhsa_system_sgpr_workgroup_id_z 0
		.amdhsa_system_sgpr_workgroup_info 0
		.amdhsa_system_vgpr_workitem_id 0
		.amdhsa_next_free_vgpr 1
		.amdhsa_next_free_sgpr 1
		.amdhsa_named_barrier_count 0
		.amdhsa_reserve_vcc 0
		.amdhsa_float_round_mode_32 0
		.amdhsa_float_round_mode_16_64 0
		.amdhsa_float_denorm_mode_32 3
		.amdhsa_float_denorm_mode_16_64 3
		.amdhsa_fp16_overflow 0
		.amdhsa_memory_ordered 1
		.amdhsa_forward_progress 1
		.amdhsa_inst_pref_size 0
		.amdhsa_round_robin_scheduling 0
		.amdhsa_exception_fp_ieee_invalid_op 0
		.amdhsa_exception_fp_denorm_src 0
		.amdhsa_exception_fp_ieee_div_zero 0
		.amdhsa_exception_fp_ieee_overflow 0
		.amdhsa_exception_fp_ieee_underflow 0
		.amdhsa_exception_fp_ieee_inexact 0
		.amdhsa_exception_int_div_zero 0
	.end_amdhsa_kernel
	.section	.text._ZN7rocprim17ROCPRIM_400000_NS6detail17trampoline_kernelINS0_14default_configENS1_36segmented_radix_sort_config_selectorIdlEEZNS1_25segmented_radix_sort_implIS3_Lb1EPKdPdPKlPlN2at6native12_GLOBAL__N_18offset_tEEE10hipError_tPvRmT1_PNSt15iterator_traitsISK_E10value_typeET2_T3_PNSL_ISQ_E10value_typeET4_jRbjT5_SW_jjP12ihipStream_tbEUlT_E2_NS1_11comp_targetILNS1_3genE2ELNS1_11target_archE906ELNS1_3gpuE6ELNS1_3repE0EEENS1_30default_config_static_selectorELNS0_4arch9wavefront6targetE0EEEvSK_,"axG",@progbits,_ZN7rocprim17ROCPRIM_400000_NS6detail17trampoline_kernelINS0_14default_configENS1_36segmented_radix_sort_config_selectorIdlEEZNS1_25segmented_radix_sort_implIS3_Lb1EPKdPdPKlPlN2at6native12_GLOBAL__N_18offset_tEEE10hipError_tPvRmT1_PNSt15iterator_traitsISK_E10value_typeET2_T3_PNSL_ISQ_E10value_typeET4_jRbjT5_SW_jjP12ihipStream_tbEUlT_E2_NS1_11comp_targetILNS1_3genE2ELNS1_11target_archE906ELNS1_3gpuE6ELNS1_3repE0EEENS1_30default_config_static_selectorELNS0_4arch9wavefront6targetE0EEEvSK_,comdat
.Lfunc_end1146:
	.size	_ZN7rocprim17ROCPRIM_400000_NS6detail17trampoline_kernelINS0_14default_configENS1_36segmented_radix_sort_config_selectorIdlEEZNS1_25segmented_radix_sort_implIS3_Lb1EPKdPdPKlPlN2at6native12_GLOBAL__N_18offset_tEEE10hipError_tPvRmT1_PNSt15iterator_traitsISK_E10value_typeET2_T3_PNSL_ISQ_E10value_typeET4_jRbjT5_SW_jjP12ihipStream_tbEUlT_E2_NS1_11comp_targetILNS1_3genE2ELNS1_11target_archE906ELNS1_3gpuE6ELNS1_3repE0EEENS1_30default_config_static_selectorELNS0_4arch9wavefront6targetE0EEEvSK_, .Lfunc_end1146-_ZN7rocprim17ROCPRIM_400000_NS6detail17trampoline_kernelINS0_14default_configENS1_36segmented_radix_sort_config_selectorIdlEEZNS1_25segmented_radix_sort_implIS3_Lb1EPKdPdPKlPlN2at6native12_GLOBAL__N_18offset_tEEE10hipError_tPvRmT1_PNSt15iterator_traitsISK_E10value_typeET2_T3_PNSL_ISQ_E10value_typeET4_jRbjT5_SW_jjP12ihipStream_tbEUlT_E2_NS1_11comp_targetILNS1_3genE2ELNS1_11target_archE906ELNS1_3gpuE6ELNS1_3repE0EEENS1_30default_config_static_selectorELNS0_4arch9wavefront6targetE0EEEvSK_
                                        ; -- End function
	.set _ZN7rocprim17ROCPRIM_400000_NS6detail17trampoline_kernelINS0_14default_configENS1_36segmented_radix_sort_config_selectorIdlEEZNS1_25segmented_radix_sort_implIS3_Lb1EPKdPdPKlPlN2at6native12_GLOBAL__N_18offset_tEEE10hipError_tPvRmT1_PNSt15iterator_traitsISK_E10value_typeET2_T3_PNSL_ISQ_E10value_typeET4_jRbjT5_SW_jjP12ihipStream_tbEUlT_E2_NS1_11comp_targetILNS1_3genE2ELNS1_11target_archE906ELNS1_3gpuE6ELNS1_3repE0EEENS1_30default_config_static_selectorELNS0_4arch9wavefront6targetE0EEEvSK_.num_vgpr, 0
	.set _ZN7rocprim17ROCPRIM_400000_NS6detail17trampoline_kernelINS0_14default_configENS1_36segmented_radix_sort_config_selectorIdlEEZNS1_25segmented_radix_sort_implIS3_Lb1EPKdPdPKlPlN2at6native12_GLOBAL__N_18offset_tEEE10hipError_tPvRmT1_PNSt15iterator_traitsISK_E10value_typeET2_T3_PNSL_ISQ_E10value_typeET4_jRbjT5_SW_jjP12ihipStream_tbEUlT_E2_NS1_11comp_targetILNS1_3genE2ELNS1_11target_archE906ELNS1_3gpuE6ELNS1_3repE0EEENS1_30default_config_static_selectorELNS0_4arch9wavefront6targetE0EEEvSK_.num_agpr, 0
	.set _ZN7rocprim17ROCPRIM_400000_NS6detail17trampoline_kernelINS0_14default_configENS1_36segmented_radix_sort_config_selectorIdlEEZNS1_25segmented_radix_sort_implIS3_Lb1EPKdPdPKlPlN2at6native12_GLOBAL__N_18offset_tEEE10hipError_tPvRmT1_PNSt15iterator_traitsISK_E10value_typeET2_T3_PNSL_ISQ_E10value_typeET4_jRbjT5_SW_jjP12ihipStream_tbEUlT_E2_NS1_11comp_targetILNS1_3genE2ELNS1_11target_archE906ELNS1_3gpuE6ELNS1_3repE0EEENS1_30default_config_static_selectorELNS0_4arch9wavefront6targetE0EEEvSK_.numbered_sgpr, 0
	.set _ZN7rocprim17ROCPRIM_400000_NS6detail17trampoline_kernelINS0_14default_configENS1_36segmented_radix_sort_config_selectorIdlEEZNS1_25segmented_radix_sort_implIS3_Lb1EPKdPdPKlPlN2at6native12_GLOBAL__N_18offset_tEEE10hipError_tPvRmT1_PNSt15iterator_traitsISK_E10value_typeET2_T3_PNSL_ISQ_E10value_typeET4_jRbjT5_SW_jjP12ihipStream_tbEUlT_E2_NS1_11comp_targetILNS1_3genE2ELNS1_11target_archE906ELNS1_3gpuE6ELNS1_3repE0EEENS1_30default_config_static_selectorELNS0_4arch9wavefront6targetE0EEEvSK_.num_named_barrier, 0
	.set _ZN7rocprim17ROCPRIM_400000_NS6detail17trampoline_kernelINS0_14default_configENS1_36segmented_radix_sort_config_selectorIdlEEZNS1_25segmented_radix_sort_implIS3_Lb1EPKdPdPKlPlN2at6native12_GLOBAL__N_18offset_tEEE10hipError_tPvRmT1_PNSt15iterator_traitsISK_E10value_typeET2_T3_PNSL_ISQ_E10value_typeET4_jRbjT5_SW_jjP12ihipStream_tbEUlT_E2_NS1_11comp_targetILNS1_3genE2ELNS1_11target_archE906ELNS1_3gpuE6ELNS1_3repE0EEENS1_30default_config_static_selectorELNS0_4arch9wavefront6targetE0EEEvSK_.private_seg_size, 0
	.set _ZN7rocprim17ROCPRIM_400000_NS6detail17trampoline_kernelINS0_14default_configENS1_36segmented_radix_sort_config_selectorIdlEEZNS1_25segmented_radix_sort_implIS3_Lb1EPKdPdPKlPlN2at6native12_GLOBAL__N_18offset_tEEE10hipError_tPvRmT1_PNSt15iterator_traitsISK_E10value_typeET2_T3_PNSL_ISQ_E10value_typeET4_jRbjT5_SW_jjP12ihipStream_tbEUlT_E2_NS1_11comp_targetILNS1_3genE2ELNS1_11target_archE906ELNS1_3gpuE6ELNS1_3repE0EEENS1_30default_config_static_selectorELNS0_4arch9wavefront6targetE0EEEvSK_.uses_vcc, 0
	.set _ZN7rocprim17ROCPRIM_400000_NS6detail17trampoline_kernelINS0_14default_configENS1_36segmented_radix_sort_config_selectorIdlEEZNS1_25segmented_radix_sort_implIS3_Lb1EPKdPdPKlPlN2at6native12_GLOBAL__N_18offset_tEEE10hipError_tPvRmT1_PNSt15iterator_traitsISK_E10value_typeET2_T3_PNSL_ISQ_E10value_typeET4_jRbjT5_SW_jjP12ihipStream_tbEUlT_E2_NS1_11comp_targetILNS1_3genE2ELNS1_11target_archE906ELNS1_3gpuE6ELNS1_3repE0EEENS1_30default_config_static_selectorELNS0_4arch9wavefront6targetE0EEEvSK_.uses_flat_scratch, 0
	.set _ZN7rocprim17ROCPRIM_400000_NS6detail17trampoline_kernelINS0_14default_configENS1_36segmented_radix_sort_config_selectorIdlEEZNS1_25segmented_radix_sort_implIS3_Lb1EPKdPdPKlPlN2at6native12_GLOBAL__N_18offset_tEEE10hipError_tPvRmT1_PNSt15iterator_traitsISK_E10value_typeET2_T3_PNSL_ISQ_E10value_typeET4_jRbjT5_SW_jjP12ihipStream_tbEUlT_E2_NS1_11comp_targetILNS1_3genE2ELNS1_11target_archE906ELNS1_3gpuE6ELNS1_3repE0EEENS1_30default_config_static_selectorELNS0_4arch9wavefront6targetE0EEEvSK_.has_dyn_sized_stack, 0
	.set _ZN7rocprim17ROCPRIM_400000_NS6detail17trampoline_kernelINS0_14default_configENS1_36segmented_radix_sort_config_selectorIdlEEZNS1_25segmented_radix_sort_implIS3_Lb1EPKdPdPKlPlN2at6native12_GLOBAL__N_18offset_tEEE10hipError_tPvRmT1_PNSt15iterator_traitsISK_E10value_typeET2_T3_PNSL_ISQ_E10value_typeET4_jRbjT5_SW_jjP12ihipStream_tbEUlT_E2_NS1_11comp_targetILNS1_3genE2ELNS1_11target_archE906ELNS1_3gpuE6ELNS1_3repE0EEENS1_30default_config_static_selectorELNS0_4arch9wavefront6targetE0EEEvSK_.has_recursion, 0
	.set _ZN7rocprim17ROCPRIM_400000_NS6detail17trampoline_kernelINS0_14default_configENS1_36segmented_radix_sort_config_selectorIdlEEZNS1_25segmented_radix_sort_implIS3_Lb1EPKdPdPKlPlN2at6native12_GLOBAL__N_18offset_tEEE10hipError_tPvRmT1_PNSt15iterator_traitsISK_E10value_typeET2_T3_PNSL_ISQ_E10value_typeET4_jRbjT5_SW_jjP12ihipStream_tbEUlT_E2_NS1_11comp_targetILNS1_3genE2ELNS1_11target_archE906ELNS1_3gpuE6ELNS1_3repE0EEENS1_30default_config_static_selectorELNS0_4arch9wavefront6targetE0EEEvSK_.has_indirect_call, 0
	.section	.AMDGPU.csdata,"",@progbits
; Kernel info:
; codeLenInByte = 0
; TotalNumSgprs: 0
; NumVgprs: 0
; ScratchSize: 0
; MemoryBound: 0
; FloatMode: 240
; IeeeMode: 1
; LDSByteSize: 0 bytes/workgroup (compile time only)
; SGPRBlocks: 0
; VGPRBlocks: 0
; NumSGPRsForWavesPerEU: 1
; NumVGPRsForWavesPerEU: 1
; NamedBarCnt: 0
; Occupancy: 16
; WaveLimiterHint : 0
; COMPUTE_PGM_RSRC2:SCRATCH_EN: 0
; COMPUTE_PGM_RSRC2:USER_SGPR: 2
; COMPUTE_PGM_RSRC2:TRAP_HANDLER: 0
; COMPUTE_PGM_RSRC2:TGID_X_EN: 1
; COMPUTE_PGM_RSRC2:TGID_Y_EN: 0
; COMPUTE_PGM_RSRC2:TGID_Z_EN: 0
; COMPUTE_PGM_RSRC2:TIDIG_COMP_CNT: 0
	.section	.text._ZN7rocprim17ROCPRIM_400000_NS6detail17trampoline_kernelINS0_14default_configENS1_36segmented_radix_sort_config_selectorIdlEEZNS1_25segmented_radix_sort_implIS3_Lb1EPKdPdPKlPlN2at6native12_GLOBAL__N_18offset_tEEE10hipError_tPvRmT1_PNSt15iterator_traitsISK_E10value_typeET2_T3_PNSL_ISQ_E10value_typeET4_jRbjT5_SW_jjP12ihipStream_tbEUlT_E2_NS1_11comp_targetILNS1_3genE10ELNS1_11target_archE1201ELNS1_3gpuE5ELNS1_3repE0EEENS1_30default_config_static_selectorELNS0_4arch9wavefront6targetE0EEEvSK_,"axG",@progbits,_ZN7rocprim17ROCPRIM_400000_NS6detail17trampoline_kernelINS0_14default_configENS1_36segmented_radix_sort_config_selectorIdlEEZNS1_25segmented_radix_sort_implIS3_Lb1EPKdPdPKlPlN2at6native12_GLOBAL__N_18offset_tEEE10hipError_tPvRmT1_PNSt15iterator_traitsISK_E10value_typeET2_T3_PNSL_ISQ_E10value_typeET4_jRbjT5_SW_jjP12ihipStream_tbEUlT_E2_NS1_11comp_targetILNS1_3genE10ELNS1_11target_archE1201ELNS1_3gpuE5ELNS1_3repE0EEENS1_30default_config_static_selectorELNS0_4arch9wavefront6targetE0EEEvSK_,comdat
	.globl	_ZN7rocprim17ROCPRIM_400000_NS6detail17trampoline_kernelINS0_14default_configENS1_36segmented_radix_sort_config_selectorIdlEEZNS1_25segmented_radix_sort_implIS3_Lb1EPKdPdPKlPlN2at6native12_GLOBAL__N_18offset_tEEE10hipError_tPvRmT1_PNSt15iterator_traitsISK_E10value_typeET2_T3_PNSL_ISQ_E10value_typeET4_jRbjT5_SW_jjP12ihipStream_tbEUlT_E2_NS1_11comp_targetILNS1_3genE10ELNS1_11target_archE1201ELNS1_3gpuE5ELNS1_3repE0EEENS1_30default_config_static_selectorELNS0_4arch9wavefront6targetE0EEEvSK_ ; -- Begin function _ZN7rocprim17ROCPRIM_400000_NS6detail17trampoline_kernelINS0_14default_configENS1_36segmented_radix_sort_config_selectorIdlEEZNS1_25segmented_radix_sort_implIS3_Lb1EPKdPdPKlPlN2at6native12_GLOBAL__N_18offset_tEEE10hipError_tPvRmT1_PNSt15iterator_traitsISK_E10value_typeET2_T3_PNSL_ISQ_E10value_typeET4_jRbjT5_SW_jjP12ihipStream_tbEUlT_E2_NS1_11comp_targetILNS1_3genE10ELNS1_11target_archE1201ELNS1_3gpuE5ELNS1_3repE0EEENS1_30default_config_static_selectorELNS0_4arch9wavefront6targetE0EEEvSK_
	.p2align	8
	.type	_ZN7rocprim17ROCPRIM_400000_NS6detail17trampoline_kernelINS0_14default_configENS1_36segmented_radix_sort_config_selectorIdlEEZNS1_25segmented_radix_sort_implIS3_Lb1EPKdPdPKlPlN2at6native12_GLOBAL__N_18offset_tEEE10hipError_tPvRmT1_PNSt15iterator_traitsISK_E10value_typeET2_T3_PNSL_ISQ_E10value_typeET4_jRbjT5_SW_jjP12ihipStream_tbEUlT_E2_NS1_11comp_targetILNS1_3genE10ELNS1_11target_archE1201ELNS1_3gpuE5ELNS1_3repE0EEENS1_30default_config_static_selectorELNS0_4arch9wavefront6targetE0EEEvSK_,@function
_ZN7rocprim17ROCPRIM_400000_NS6detail17trampoline_kernelINS0_14default_configENS1_36segmented_radix_sort_config_selectorIdlEEZNS1_25segmented_radix_sort_implIS3_Lb1EPKdPdPKlPlN2at6native12_GLOBAL__N_18offset_tEEE10hipError_tPvRmT1_PNSt15iterator_traitsISK_E10value_typeET2_T3_PNSL_ISQ_E10value_typeET4_jRbjT5_SW_jjP12ihipStream_tbEUlT_E2_NS1_11comp_targetILNS1_3genE10ELNS1_11target_archE1201ELNS1_3gpuE5ELNS1_3repE0EEENS1_30default_config_static_selectorELNS0_4arch9wavefront6targetE0EEEvSK_: ; @_ZN7rocprim17ROCPRIM_400000_NS6detail17trampoline_kernelINS0_14default_configENS1_36segmented_radix_sort_config_selectorIdlEEZNS1_25segmented_radix_sort_implIS3_Lb1EPKdPdPKlPlN2at6native12_GLOBAL__N_18offset_tEEE10hipError_tPvRmT1_PNSt15iterator_traitsISK_E10value_typeET2_T3_PNSL_ISQ_E10value_typeET4_jRbjT5_SW_jjP12ihipStream_tbEUlT_E2_NS1_11comp_targetILNS1_3genE10ELNS1_11target_archE1201ELNS1_3gpuE5ELNS1_3repE0EEENS1_30default_config_static_selectorELNS0_4arch9wavefront6targetE0EEEvSK_
; %bb.0:
	.section	.rodata,"a",@progbits
	.p2align	6, 0x0
	.amdhsa_kernel _ZN7rocprim17ROCPRIM_400000_NS6detail17trampoline_kernelINS0_14default_configENS1_36segmented_radix_sort_config_selectorIdlEEZNS1_25segmented_radix_sort_implIS3_Lb1EPKdPdPKlPlN2at6native12_GLOBAL__N_18offset_tEEE10hipError_tPvRmT1_PNSt15iterator_traitsISK_E10value_typeET2_T3_PNSL_ISQ_E10value_typeET4_jRbjT5_SW_jjP12ihipStream_tbEUlT_E2_NS1_11comp_targetILNS1_3genE10ELNS1_11target_archE1201ELNS1_3gpuE5ELNS1_3repE0EEENS1_30default_config_static_selectorELNS0_4arch9wavefront6targetE0EEEvSK_
		.amdhsa_group_segment_fixed_size 0
		.amdhsa_private_segment_fixed_size 0
		.amdhsa_kernarg_size 80
		.amdhsa_user_sgpr_count 2
		.amdhsa_user_sgpr_dispatch_ptr 0
		.amdhsa_user_sgpr_queue_ptr 0
		.amdhsa_user_sgpr_kernarg_segment_ptr 1
		.amdhsa_user_sgpr_dispatch_id 0
		.amdhsa_user_sgpr_kernarg_preload_length 0
		.amdhsa_user_sgpr_kernarg_preload_offset 0
		.amdhsa_user_sgpr_private_segment_size 0
		.amdhsa_wavefront_size32 1
		.amdhsa_uses_dynamic_stack 0
		.amdhsa_enable_private_segment 0
		.amdhsa_system_sgpr_workgroup_id_x 1
		.amdhsa_system_sgpr_workgroup_id_y 0
		.amdhsa_system_sgpr_workgroup_id_z 0
		.amdhsa_system_sgpr_workgroup_info 0
		.amdhsa_system_vgpr_workitem_id 0
		.amdhsa_next_free_vgpr 1
		.amdhsa_next_free_sgpr 1
		.amdhsa_named_barrier_count 0
		.amdhsa_reserve_vcc 0
		.amdhsa_float_round_mode_32 0
		.amdhsa_float_round_mode_16_64 0
		.amdhsa_float_denorm_mode_32 3
		.amdhsa_float_denorm_mode_16_64 3
		.amdhsa_fp16_overflow 0
		.amdhsa_memory_ordered 1
		.amdhsa_forward_progress 1
		.amdhsa_inst_pref_size 0
		.amdhsa_round_robin_scheduling 0
		.amdhsa_exception_fp_ieee_invalid_op 0
		.amdhsa_exception_fp_denorm_src 0
		.amdhsa_exception_fp_ieee_div_zero 0
		.amdhsa_exception_fp_ieee_overflow 0
		.amdhsa_exception_fp_ieee_underflow 0
		.amdhsa_exception_fp_ieee_inexact 0
		.amdhsa_exception_int_div_zero 0
	.end_amdhsa_kernel
	.section	.text._ZN7rocprim17ROCPRIM_400000_NS6detail17trampoline_kernelINS0_14default_configENS1_36segmented_radix_sort_config_selectorIdlEEZNS1_25segmented_radix_sort_implIS3_Lb1EPKdPdPKlPlN2at6native12_GLOBAL__N_18offset_tEEE10hipError_tPvRmT1_PNSt15iterator_traitsISK_E10value_typeET2_T3_PNSL_ISQ_E10value_typeET4_jRbjT5_SW_jjP12ihipStream_tbEUlT_E2_NS1_11comp_targetILNS1_3genE10ELNS1_11target_archE1201ELNS1_3gpuE5ELNS1_3repE0EEENS1_30default_config_static_selectorELNS0_4arch9wavefront6targetE0EEEvSK_,"axG",@progbits,_ZN7rocprim17ROCPRIM_400000_NS6detail17trampoline_kernelINS0_14default_configENS1_36segmented_radix_sort_config_selectorIdlEEZNS1_25segmented_radix_sort_implIS3_Lb1EPKdPdPKlPlN2at6native12_GLOBAL__N_18offset_tEEE10hipError_tPvRmT1_PNSt15iterator_traitsISK_E10value_typeET2_T3_PNSL_ISQ_E10value_typeET4_jRbjT5_SW_jjP12ihipStream_tbEUlT_E2_NS1_11comp_targetILNS1_3genE10ELNS1_11target_archE1201ELNS1_3gpuE5ELNS1_3repE0EEENS1_30default_config_static_selectorELNS0_4arch9wavefront6targetE0EEEvSK_,comdat
.Lfunc_end1147:
	.size	_ZN7rocprim17ROCPRIM_400000_NS6detail17trampoline_kernelINS0_14default_configENS1_36segmented_radix_sort_config_selectorIdlEEZNS1_25segmented_radix_sort_implIS3_Lb1EPKdPdPKlPlN2at6native12_GLOBAL__N_18offset_tEEE10hipError_tPvRmT1_PNSt15iterator_traitsISK_E10value_typeET2_T3_PNSL_ISQ_E10value_typeET4_jRbjT5_SW_jjP12ihipStream_tbEUlT_E2_NS1_11comp_targetILNS1_3genE10ELNS1_11target_archE1201ELNS1_3gpuE5ELNS1_3repE0EEENS1_30default_config_static_selectorELNS0_4arch9wavefront6targetE0EEEvSK_, .Lfunc_end1147-_ZN7rocprim17ROCPRIM_400000_NS6detail17trampoline_kernelINS0_14default_configENS1_36segmented_radix_sort_config_selectorIdlEEZNS1_25segmented_radix_sort_implIS3_Lb1EPKdPdPKlPlN2at6native12_GLOBAL__N_18offset_tEEE10hipError_tPvRmT1_PNSt15iterator_traitsISK_E10value_typeET2_T3_PNSL_ISQ_E10value_typeET4_jRbjT5_SW_jjP12ihipStream_tbEUlT_E2_NS1_11comp_targetILNS1_3genE10ELNS1_11target_archE1201ELNS1_3gpuE5ELNS1_3repE0EEENS1_30default_config_static_selectorELNS0_4arch9wavefront6targetE0EEEvSK_
                                        ; -- End function
	.set _ZN7rocprim17ROCPRIM_400000_NS6detail17trampoline_kernelINS0_14default_configENS1_36segmented_radix_sort_config_selectorIdlEEZNS1_25segmented_radix_sort_implIS3_Lb1EPKdPdPKlPlN2at6native12_GLOBAL__N_18offset_tEEE10hipError_tPvRmT1_PNSt15iterator_traitsISK_E10value_typeET2_T3_PNSL_ISQ_E10value_typeET4_jRbjT5_SW_jjP12ihipStream_tbEUlT_E2_NS1_11comp_targetILNS1_3genE10ELNS1_11target_archE1201ELNS1_3gpuE5ELNS1_3repE0EEENS1_30default_config_static_selectorELNS0_4arch9wavefront6targetE0EEEvSK_.num_vgpr, 0
	.set _ZN7rocprim17ROCPRIM_400000_NS6detail17trampoline_kernelINS0_14default_configENS1_36segmented_radix_sort_config_selectorIdlEEZNS1_25segmented_radix_sort_implIS3_Lb1EPKdPdPKlPlN2at6native12_GLOBAL__N_18offset_tEEE10hipError_tPvRmT1_PNSt15iterator_traitsISK_E10value_typeET2_T3_PNSL_ISQ_E10value_typeET4_jRbjT5_SW_jjP12ihipStream_tbEUlT_E2_NS1_11comp_targetILNS1_3genE10ELNS1_11target_archE1201ELNS1_3gpuE5ELNS1_3repE0EEENS1_30default_config_static_selectorELNS0_4arch9wavefront6targetE0EEEvSK_.num_agpr, 0
	.set _ZN7rocprim17ROCPRIM_400000_NS6detail17trampoline_kernelINS0_14default_configENS1_36segmented_radix_sort_config_selectorIdlEEZNS1_25segmented_radix_sort_implIS3_Lb1EPKdPdPKlPlN2at6native12_GLOBAL__N_18offset_tEEE10hipError_tPvRmT1_PNSt15iterator_traitsISK_E10value_typeET2_T3_PNSL_ISQ_E10value_typeET4_jRbjT5_SW_jjP12ihipStream_tbEUlT_E2_NS1_11comp_targetILNS1_3genE10ELNS1_11target_archE1201ELNS1_3gpuE5ELNS1_3repE0EEENS1_30default_config_static_selectorELNS0_4arch9wavefront6targetE0EEEvSK_.numbered_sgpr, 0
	.set _ZN7rocprim17ROCPRIM_400000_NS6detail17trampoline_kernelINS0_14default_configENS1_36segmented_radix_sort_config_selectorIdlEEZNS1_25segmented_radix_sort_implIS3_Lb1EPKdPdPKlPlN2at6native12_GLOBAL__N_18offset_tEEE10hipError_tPvRmT1_PNSt15iterator_traitsISK_E10value_typeET2_T3_PNSL_ISQ_E10value_typeET4_jRbjT5_SW_jjP12ihipStream_tbEUlT_E2_NS1_11comp_targetILNS1_3genE10ELNS1_11target_archE1201ELNS1_3gpuE5ELNS1_3repE0EEENS1_30default_config_static_selectorELNS0_4arch9wavefront6targetE0EEEvSK_.num_named_barrier, 0
	.set _ZN7rocprim17ROCPRIM_400000_NS6detail17trampoline_kernelINS0_14default_configENS1_36segmented_radix_sort_config_selectorIdlEEZNS1_25segmented_radix_sort_implIS3_Lb1EPKdPdPKlPlN2at6native12_GLOBAL__N_18offset_tEEE10hipError_tPvRmT1_PNSt15iterator_traitsISK_E10value_typeET2_T3_PNSL_ISQ_E10value_typeET4_jRbjT5_SW_jjP12ihipStream_tbEUlT_E2_NS1_11comp_targetILNS1_3genE10ELNS1_11target_archE1201ELNS1_3gpuE5ELNS1_3repE0EEENS1_30default_config_static_selectorELNS0_4arch9wavefront6targetE0EEEvSK_.private_seg_size, 0
	.set _ZN7rocprim17ROCPRIM_400000_NS6detail17trampoline_kernelINS0_14default_configENS1_36segmented_radix_sort_config_selectorIdlEEZNS1_25segmented_radix_sort_implIS3_Lb1EPKdPdPKlPlN2at6native12_GLOBAL__N_18offset_tEEE10hipError_tPvRmT1_PNSt15iterator_traitsISK_E10value_typeET2_T3_PNSL_ISQ_E10value_typeET4_jRbjT5_SW_jjP12ihipStream_tbEUlT_E2_NS1_11comp_targetILNS1_3genE10ELNS1_11target_archE1201ELNS1_3gpuE5ELNS1_3repE0EEENS1_30default_config_static_selectorELNS0_4arch9wavefront6targetE0EEEvSK_.uses_vcc, 0
	.set _ZN7rocprim17ROCPRIM_400000_NS6detail17trampoline_kernelINS0_14default_configENS1_36segmented_radix_sort_config_selectorIdlEEZNS1_25segmented_radix_sort_implIS3_Lb1EPKdPdPKlPlN2at6native12_GLOBAL__N_18offset_tEEE10hipError_tPvRmT1_PNSt15iterator_traitsISK_E10value_typeET2_T3_PNSL_ISQ_E10value_typeET4_jRbjT5_SW_jjP12ihipStream_tbEUlT_E2_NS1_11comp_targetILNS1_3genE10ELNS1_11target_archE1201ELNS1_3gpuE5ELNS1_3repE0EEENS1_30default_config_static_selectorELNS0_4arch9wavefront6targetE0EEEvSK_.uses_flat_scratch, 0
	.set _ZN7rocprim17ROCPRIM_400000_NS6detail17trampoline_kernelINS0_14default_configENS1_36segmented_radix_sort_config_selectorIdlEEZNS1_25segmented_radix_sort_implIS3_Lb1EPKdPdPKlPlN2at6native12_GLOBAL__N_18offset_tEEE10hipError_tPvRmT1_PNSt15iterator_traitsISK_E10value_typeET2_T3_PNSL_ISQ_E10value_typeET4_jRbjT5_SW_jjP12ihipStream_tbEUlT_E2_NS1_11comp_targetILNS1_3genE10ELNS1_11target_archE1201ELNS1_3gpuE5ELNS1_3repE0EEENS1_30default_config_static_selectorELNS0_4arch9wavefront6targetE0EEEvSK_.has_dyn_sized_stack, 0
	.set _ZN7rocprim17ROCPRIM_400000_NS6detail17trampoline_kernelINS0_14default_configENS1_36segmented_radix_sort_config_selectorIdlEEZNS1_25segmented_radix_sort_implIS3_Lb1EPKdPdPKlPlN2at6native12_GLOBAL__N_18offset_tEEE10hipError_tPvRmT1_PNSt15iterator_traitsISK_E10value_typeET2_T3_PNSL_ISQ_E10value_typeET4_jRbjT5_SW_jjP12ihipStream_tbEUlT_E2_NS1_11comp_targetILNS1_3genE10ELNS1_11target_archE1201ELNS1_3gpuE5ELNS1_3repE0EEENS1_30default_config_static_selectorELNS0_4arch9wavefront6targetE0EEEvSK_.has_recursion, 0
	.set _ZN7rocprim17ROCPRIM_400000_NS6detail17trampoline_kernelINS0_14default_configENS1_36segmented_radix_sort_config_selectorIdlEEZNS1_25segmented_radix_sort_implIS3_Lb1EPKdPdPKlPlN2at6native12_GLOBAL__N_18offset_tEEE10hipError_tPvRmT1_PNSt15iterator_traitsISK_E10value_typeET2_T3_PNSL_ISQ_E10value_typeET4_jRbjT5_SW_jjP12ihipStream_tbEUlT_E2_NS1_11comp_targetILNS1_3genE10ELNS1_11target_archE1201ELNS1_3gpuE5ELNS1_3repE0EEENS1_30default_config_static_selectorELNS0_4arch9wavefront6targetE0EEEvSK_.has_indirect_call, 0
	.section	.AMDGPU.csdata,"",@progbits
; Kernel info:
; codeLenInByte = 0
; TotalNumSgprs: 0
; NumVgprs: 0
; ScratchSize: 0
; MemoryBound: 0
; FloatMode: 240
; IeeeMode: 1
; LDSByteSize: 0 bytes/workgroup (compile time only)
; SGPRBlocks: 0
; VGPRBlocks: 0
; NumSGPRsForWavesPerEU: 1
; NumVGPRsForWavesPerEU: 1
; NamedBarCnt: 0
; Occupancy: 16
; WaveLimiterHint : 0
; COMPUTE_PGM_RSRC2:SCRATCH_EN: 0
; COMPUTE_PGM_RSRC2:USER_SGPR: 2
; COMPUTE_PGM_RSRC2:TRAP_HANDLER: 0
; COMPUTE_PGM_RSRC2:TGID_X_EN: 1
; COMPUTE_PGM_RSRC2:TGID_Y_EN: 0
; COMPUTE_PGM_RSRC2:TGID_Z_EN: 0
; COMPUTE_PGM_RSRC2:TIDIG_COMP_CNT: 0
	.section	.text._ZN7rocprim17ROCPRIM_400000_NS6detail17trampoline_kernelINS0_14default_configENS1_36segmented_radix_sort_config_selectorIdlEEZNS1_25segmented_radix_sort_implIS3_Lb1EPKdPdPKlPlN2at6native12_GLOBAL__N_18offset_tEEE10hipError_tPvRmT1_PNSt15iterator_traitsISK_E10value_typeET2_T3_PNSL_ISQ_E10value_typeET4_jRbjT5_SW_jjP12ihipStream_tbEUlT_E2_NS1_11comp_targetILNS1_3genE10ELNS1_11target_archE1200ELNS1_3gpuE4ELNS1_3repE0EEENS1_30default_config_static_selectorELNS0_4arch9wavefront6targetE0EEEvSK_,"axG",@progbits,_ZN7rocprim17ROCPRIM_400000_NS6detail17trampoline_kernelINS0_14default_configENS1_36segmented_radix_sort_config_selectorIdlEEZNS1_25segmented_radix_sort_implIS3_Lb1EPKdPdPKlPlN2at6native12_GLOBAL__N_18offset_tEEE10hipError_tPvRmT1_PNSt15iterator_traitsISK_E10value_typeET2_T3_PNSL_ISQ_E10value_typeET4_jRbjT5_SW_jjP12ihipStream_tbEUlT_E2_NS1_11comp_targetILNS1_3genE10ELNS1_11target_archE1200ELNS1_3gpuE4ELNS1_3repE0EEENS1_30default_config_static_selectorELNS0_4arch9wavefront6targetE0EEEvSK_,comdat
	.globl	_ZN7rocprim17ROCPRIM_400000_NS6detail17trampoline_kernelINS0_14default_configENS1_36segmented_radix_sort_config_selectorIdlEEZNS1_25segmented_radix_sort_implIS3_Lb1EPKdPdPKlPlN2at6native12_GLOBAL__N_18offset_tEEE10hipError_tPvRmT1_PNSt15iterator_traitsISK_E10value_typeET2_T3_PNSL_ISQ_E10value_typeET4_jRbjT5_SW_jjP12ihipStream_tbEUlT_E2_NS1_11comp_targetILNS1_3genE10ELNS1_11target_archE1200ELNS1_3gpuE4ELNS1_3repE0EEENS1_30default_config_static_selectorELNS0_4arch9wavefront6targetE0EEEvSK_ ; -- Begin function _ZN7rocprim17ROCPRIM_400000_NS6detail17trampoline_kernelINS0_14default_configENS1_36segmented_radix_sort_config_selectorIdlEEZNS1_25segmented_radix_sort_implIS3_Lb1EPKdPdPKlPlN2at6native12_GLOBAL__N_18offset_tEEE10hipError_tPvRmT1_PNSt15iterator_traitsISK_E10value_typeET2_T3_PNSL_ISQ_E10value_typeET4_jRbjT5_SW_jjP12ihipStream_tbEUlT_E2_NS1_11comp_targetILNS1_3genE10ELNS1_11target_archE1200ELNS1_3gpuE4ELNS1_3repE0EEENS1_30default_config_static_selectorELNS0_4arch9wavefront6targetE0EEEvSK_
	.p2align	8
	.type	_ZN7rocprim17ROCPRIM_400000_NS6detail17trampoline_kernelINS0_14default_configENS1_36segmented_radix_sort_config_selectorIdlEEZNS1_25segmented_radix_sort_implIS3_Lb1EPKdPdPKlPlN2at6native12_GLOBAL__N_18offset_tEEE10hipError_tPvRmT1_PNSt15iterator_traitsISK_E10value_typeET2_T3_PNSL_ISQ_E10value_typeET4_jRbjT5_SW_jjP12ihipStream_tbEUlT_E2_NS1_11comp_targetILNS1_3genE10ELNS1_11target_archE1200ELNS1_3gpuE4ELNS1_3repE0EEENS1_30default_config_static_selectorELNS0_4arch9wavefront6targetE0EEEvSK_,@function
_ZN7rocprim17ROCPRIM_400000_NS6detail17trampoline_kernelINS0_14default_configENS1_36segmented_radix_sort_config_selectorIdlEEZNS1_25segmented_radix_sort_implIS3_Lb1EPKdPdPKlPlN2at6native12_GLOBAL__N_18offset_tEEE10hipError_tPvRmT1_PNSt15iterator_traitsISK_E10value_typeET2_T3_PNSL_ISQ_E10value_typeET4_jRbjT5_SW_jjP12ihipStream_tbEUlT_E2_NS1_11comp_targetILNS1_3genE10ELNS1_11target_archE1200ELNS1_3gpuE4ELNS1_3repE0EEENS1_30default_config_static_selectorELNS0_4arch9wavefront6targetE0EEEvSK_: ; @_ZN7rocprim17ROCPRIM_400000_NS6detail17trampoline_kernelINS0_14default_configENS1_36segmented_radix_sort_config_selectorIdlEEZNS1_25segmented_radix_sort_implIS3_Lb1EPKdPdPKlPlN2at6native12_GLOBAL__N_18offset_tEEE10hipError_tPvRmT1_PNSt15iterator_traitsISK_E10value_typeET2_T3_PNSL_ISQ_E10value_typeET4_jRbjT5_SW_jjP12ihipStream_tbEUlT_E2_NS1_11comp_targetILNS1_3genE10ELNS1_11target_archE1200ELNS1_3gpuE4ELNS1_3repE0EEENS1_30default_config_static_selectorELNS0_4arch9wavefront6targetE0EEEvSK_
; %bb.0:
	.section	.rodata,"a",@progbits
	.p2align	6, 0x0
	.amdhsa_kernel _ZN7rocprim17ROCPRIM_400000_NS6detail17trampoline_kernelINS0_14default_configENS1_36segmented_radix_sort_config_selectorIdlEEZNS1_25segmented_radix_sort_implIS3_Lb1EPKdPdPKlPlN2at6native12_GLOBAL__N_18offset_tEEE10hipError_tPvRmT1_PNSt15iterator_traitsISK_E10value_typeET2_T3_PNSL_ISQ_E10value_typeET4_jRbjT5_SW_jjP12ihipStream_tbEUlT_E2_NS1_11comp_targetILNS1_3genE10ELNS1_11target_archE1200ELNS1_3gpuE4ELNS1_3repE0EEENS1_30default_config_static_selectorELNS0_4arch9wavefront6targetE0EEEvSK_
		.amdhsa_group_segment_fixed_size 0
		.amdhsa_private_segment_fixed_size 0
		.amdhsa_kernarg_size 80
		.amdhsa_user_sgpr_count 2
		.amdhsa_user_sgpr_dispatch_ptr 0
		.amdhsa_user_sgpr_queue_ptr 0
		.amdhsa_user_sgpr_kernarg_segment_ptr 1
		.amdhsa_user_sgpr_dispatch_id 0
		.amdhsa_user_sgpr_kernarg_preload_length 0
		.amdhsa_user_sgpr_kernarg_preload_offset 0
		.amdhsa_user_sgpr_private_segment_size 0
		.amdhsa_wavefront_size32 1
		.amdhsa_uses_dynamic_stack 0
		.amdhsa_enable_private_segment 0
		.amdhsa_system_sgpr_workgroup_id_x 1
		.amdhsa_system_sgpr_workgroup_id_y 0
		.amdhsa_system_sgpr_workgroup_id_z 0
		.amdhsa_system_sgpr_workgroup_info 0
		.amdhsa_system_vgpr_workitem_id 0
		.amdhsa_next_free_vgpr 1
		.amdhsa_next_free_sgpr 1
		.amdhsa_named_barrier_count 0
		.amdhsa_reserve_vcc 0
		.amdhsa_float_round_mode_32 0
		.amdhsa_float_round_mode_16_64 0
		.amdhsa_float_denorm_mode_32 3
		.amdhsa_float_denorm_mode_16_64 3
		.amdhsa_fp16_overflow 0
		.amdhsa_memory_ordered 1
		.amdhsa_forward_progress 1
		.amdhsa_inst_pref_size 0
		.amdhsa_round_robin_scheduling 0
		.amdhsa_exception_fp_ieee_invalid_op 0
		.amdhsa_exception_fp_denorm_src 0
		.amdhsa_exception_fp_ieee_div_zero 0
		.amdhsa_exception_fp_ieee_overflow 0
		.amdhsa_exception_fp_ieee_underflow 0
		.amdhsa_exception_fp_ieee_inexact 0
		.amdhsa_exception_int_div_zero 0
	.end_amdhsa_kernel
	.section	.text._ZN7rocprim17ROCPRIM_400000_NS6detail17trampoline_kernelINS0_14default_configENS1_36segmented_radix_sort_config_selectorIdlEEZNS1_25segmented_radix_sort_implIS3_Lb1EPKdPdPKlPlN2at6native12_GLOBAL__N_18offset_tEEE10hipError_tPvRmT1_PNSt15iterator_traitsISK_E10value_typeET2_T3_PNSL_ISQ_E10value_typeET4_jRbjT5_SW_jjP12ihipStream_tbEUlT_E2_NS1_11comp_targetILNS1_3genE10ELNS1_11target_archE1200ELNS1_3gpuE4ELNS1_3repE0EEENS1_30default_config_static_selectorELNS0_4arch9wavefront6targetE0EEEvSK_,"axG",@progbits,_ZN7rocprim17ROCPRIM_400000_NS6detail17trampoline_kernelINS0_14default_configENS1_36segmented_radix_sort_config_selectorIdlEEZNS1_25segmented_radix_sort_implIS3_Lb1EPKdPdPKlPlN2at6native12_GLOBAL__N_18offset_tEEE10hipError_tPvRmT1_PNSt15iterator_traitsISK_E10value_typeET2_T3_PNSL_ISQ_E10value_typeET4_jRbjT5_SW_jjP12ihipStream_tbEUlT_E2_NS1_11comp_targetILNS1_3genE10ELNS1_11target_archE1200ELNS1_3gpuE4ELNS1_3repE0EEENS1_30default_config_static_selectorELNS0_4arch9wavefront6targetE0EEEvSK_,comdat
.Lfunc_end1148:
	.size	_ZN7rocprim17ROCPRIM_400000_NS6detail17trampoline_kernelINS0_14default_configENS1_36segmented_radix_sort_config_selectorIdlEEZNS1_25segmented_radix_sort_implIS3_Lb1EPKdPdPKlPlN2at6native12_GLOBAL__N_18offset_tEEE10hipError_tPvRmT1_PNSt15iterator_traitsISK_E10value_typeET2_T3_PNSL_ISQ_E10value_typeET4_jRbjT5_SW_jjP12ihipStream_tbEUlT_E2_NS1_11comp_targetILNS1_3genE10ELNS1_11target_archE1200ELNS1_3gpuE4ELNS1_3repE0EEENS1_30default_config_static_selectorELNS0_4arch9wavefront6targetE0EEEvSK_, .Lfunc_end1148-_ZN7rocprim17ROCPRIM_400000_NS6detail17trampoline_kernelINS0_14default_configENS1_36segmented_radix_sort_config_selectorIdlEEZNS1_25segmented_radix_sort_implIS3_Lb1EPKdPdPKlPlN2at6native12_GLOBAL__N_18offset_tEEE10hipError_tPvRmT1_PNSt15iterator_traitsISK_E10value_typeET2_T3_PNSL_ISQ_E10value_typeET4_jRbjT5_SW_jjP12ihipStream_tbEUlT_E2_NS1_11comp_targetILNS1_3genE10ELNS1_11target_archE1200ELNS1_3gpuE4ELNS1_3repE0EEENS1_30default_config_static_selectorELNS0_4arch9wavefront6targetE0EEEvSK_
                                        ; -- End function
	.set _ZN7rocprim17ROCPRIM_400000_NS6detail17trampoline_kernelINS0_14default_configENS1_36segmented_radix_sort_config_selectorIdlEEZNS1_25segmented_radix_sort_implIS3_Lb1EPKdPdPKlPlN2at6native12_GLOBAL__N_18offset_tEEE10hipError_tPvRmT1_PNSt15iterator_traitsISK_E10value_typeET2_T3_PNSL_ISQ_E10value_typeET4_jRbjT5_SW_jjP12ihipStream_tbEUlT_E2_NS1_11comp_targetILNS1_3genE10ELNS1_11target_archE1200ELNS1_3gpuE4ELNS1_3repE0EEENS1_30default_config_static_selectorELNS0_4arch9wavefront6targetE0EEEvSK_.num_vgpr, 0
	.set _ZN7rocprim17ROCPRIM_400000_NS6detail17trampoline_kernelINS0_14default_configENS1_36segmented_radix_sort_config_selectorIdlEEZNS1_25segmented_radix_sort_implIS3_Lb1EPKdPdPKlPlN2at6native12_GLOBAL__N_18offset_tEEE10hipError_tPvRmT1_PNSt15iterator_traitsISK_E10value_typeET2_T3_PNSL_ISQ_E10value_typeET4_jRbjT5_SW_jjP12ihipStream_tbEUlT_E2_NS1_11comp_targetILNS1_3genE10ELNS1_11target_archE1200ELNS1_3gpuE4ELNS1_3repE0EEENS1_30default_config_static_selectorELNS0_4arch9wavefront6targetE0EEEvSK_.num_agpr, 0
	.set _ZN7rocprim17ROCPRIM_400000_NS6detail17trampoline_kernelINS0_14default_configENS1_36segmented_radix_sort_config_selectorIdlEEZNS1_25segmented_radix_sort_implIS3_Lb1EPKdPdPKlPlN2at6native12_GLOBAL__N_18offset_tEEE10hipError_tPvRmT1_PNSt15iterator_traitsISK_E10value_typeET2_T3_PNSL_ISQ_E10value_typeET4_jRbjT5_SW_jjP12ihipStream_tbEUlT_E2_NS1_11comp_targetILNS1_3genE10ELNS1_11target_archE1200ELNS1_3gpuE4ELNS1_3repE0EEENS1_30default_config_static_selectorELNS0_4arch9wavefront6targetE0EEEvSK_.numbered_sgpr, 0
	.set _ZN7rocprim17ROCPRIM_400000_NS6detail17trampoline_kernelINS0_14default_configENS1_36segmented_radix_sort_config_selectorIdlEEZNS1_25segmented_radix_sort_implIS3_Lb1EPKdPdPKlPlN2at6native12_GLOBAL__N_18offset_tEEE10hipError_tPvRmT1_PNSt15iterator_traitsISK_E10value_typeET2_T3_PNSL_ISQ_E10value_typeET4_jRbjT5_SW_jjP12ihipStream_tbEUlT_E2_NS1_11comp_targetILNS1_3genE10ELNS1_11target_archE1200ELNS1_3gpuE4ELNS1_3repE0EEENS1_30default_config_static_selectorELNS0_4arch9wavefront6targetE0EEEvSK_.num_named_barrier, 0
	.set _ZN7rocprim17ROCPRIM_400000_NS6detail17trampoline_kernelINS0_14default_configENS1_36segmented_radix_sort_config_selectorIdlEEZNS1_25segmented_radix_sort_implIS3_Lb1EPKdPdPKlPlN2at6native12_GLOBAL__N_18offset_tEEE10hipError_tPvRmT1_PNSt15iterator_traitsISK_E10value_typeET2_T3_PNSL_ISQ_E10value_typeET4_jRbjT5_SW_jjP12ihipStream_tbEUlT_E2_NS1_11comp_targetILNS1_3genE10ELNS1_11target_archE1200ELNS1_3gpuE4ELNS1_3repE0EEENS1_30default_config_static_selectorELNS0_4arch9wavefront6targetE0EEEvSK_.private_seg_size, 0
	.set _ZN7rocprim17ROCPRIM_400000_NS6detail17trampoline_kernelINS0_14default_configENS1_36segmented_radix_sort_config_selectorIdlEEZNS1_25segmented_radix_sort_implIS3_Lb1EPKdPdPKlPlN2at6native12_GLOBAL__N_18offset_tEEE10hipError_tPvRmT1_PNSt15iterator_traitsISK_E10value_typeET2_T3_PNSL_ISQ_E10value_typeET4_jRbjT5_SW_jjP12ihipStream_tbEUlT_E2_NS1_11comp_targetILNS1_3genE10ELNS1_11target_archE1200ELNS1_3gpuE4ELNS1_3repE0EEENS1_30default_config_static_selectorELNS0_4arch9wavefront6targetE0EEEvSK_.uses_vcc, 0
	.set _ZN7rocprim17ROCPRIM_400000_NS6detail17trampoline_kernelINS0_14default_configENS1_36segmented_radix_sort_config_selectorIdlEEZNS1_25segmented_radix_sort_implIS3_Lb1EPKdPdPKlPlN2at6native12_GLOBAL__N_18offset_tEEE10hipError_tPvRmT1_PNSt15iterator_traitsISK_E10value_typeET2_T3_PNSL_ISQ_E10value_typeET4_jRbjT5_SW_jjP12ihipStream_tbEUlT_E2_NS1_11comp_targetILNS1_3genE10ELNS1_11target_archE1200ELNS1_3gpuE4ELNS1_3repE0EEENS1_30default_config_static_selectorELNS0_4arch9wavefront6targetE0EEEvSK_.uses_flat_scratch, 0
	.set _ZN7rocprim17ROCPRIM_400000_NS6detail17trampoline_kernelINS0_14default_configENS1_36segmented_radix_sort_config_selectorIdlEEZNS1_25segmented_radix_sort_implIS3_Lb1EPKdPdPKlPlN2at6native12_GLOBAL__N_18offset_tEEE10hipError_tPvRmT1_PNSt15iterator_traitsISK_E10value_typeET2_T3_PNSL_ISQ_E10value_typeET4_jRbjT5_SW_jjP12ihipStream_tbEUlT_E2_NS1_11comp_targetILNS1_3genE10ELNS1_11target_archE1200ELNS1_3gpuE4ELNS1_3repE0EEENS1_30default_config_static_selectorELNS0_4arch9wavefront6targetE0EEEvSK_.has_dyn_sized_stack, 0
	.set _ZN7rocprim17ROCPRIM_400000_NS6detail17trampoline_kernelINS0_14default_configENS1_36segmented_radix_sort_config_selectorIdlEEZNS1_25segmented_radix_sort_implIS3_Lb1EPKdPdPKlPlN2at6native12_GLOBAL__N_18offset_tEEE10hipError_tPvRmT1_PNSt15iterator_traitsISK_E10value_typeET2_T3_PNSL_ISQ_E10value_typeET4_jRbjT5_SW_jjP12ihipStream_tbEUlT_E2_NS1_11comp_targetILNS1_3genE10ELNS1_11target_archE1200ELNS1_3gpuE4ELNS1_3repE0EEENS1_30default_config_static_selectorELNS0_4arch9wavefront6targetE0EEEvSK_.has_recursion, 0
	.set _ZN7rocprim17ROCPRIM_400000_NS6detail17trampoline_kernelINS0_14default_configENS1_36segmented_radix_sort_config_selectorIdlEEZNS1_25segmented_radix_sort_implIS3_Lb1EPKdPdPKlPlN2at6native12_GLOBAL__N_18offset_tEEE10hipError_tPvRmT1_PNSt15iterator_traitsISK_E10value_typeET2_T3_PNSL_ISQ_E10value_typeET4_jRbjT5_SW_jjP12ihipStream_tbEUlT_E2_NS1_11comp_targetILNS1_3genE10ELNS1_11target_archE1200ELNS1_3gpuE4ELNS1_3repE0EEENS1_30default_config_static_selectorELNS0_4arch9wavefront6targetE0EEEvSK_.has_indirect_call, 0
	.section	.AMDGPU.csdata,"",@progbits
; Kernel info:
; codeLenInByte = 0
; TotalNumSgprs: 0
; NumVgprs: 0
; ScratchSize: 0
; MemoryBound: 0
; FloatMode: 240
; IeeeMode: 1
; LDSByteSize: 0 bytes/workgroup (compile time only)
; SGPRBlocks: 0
; VGPRBlocks: 0
; NumSGPRsForWavesPerEU: 1
; NumVGPRsForWavesPerEU: 1
; NamedBarCnt: 0
; Occupancy: 16
; WaveLimiterHint : 0
; COMPUTE_PGM_RSRC2:SCRATCH_EN: 0
; COMPUTE_PGM_RSRC2:USER_SGPR: 2
; COMPUTE_PGM_RSRC2:TRAP_HANDLER: 0
; COMPUTE_PGM_RSRC2:TGID_X_EN: 1
; COMPUTE_PGM_RSRC2:TGID_Y_EN: 0
; COMPUTE_PGM_RSRC2:TGID_Z_EN: 0
; COMPUTE_PGM_RSRC2:TIDIG_COMP_CNT: 0
	.section	.text._ZN7rocprim17ROCPRIM_400000_NS6detail17trampoline_kernelINS0_14default_configENS1_36segmented_radix_sort_config_selectorIdlEEZNS1_25segmented_radix_sort_implIS3_Lb1EPKdPdPKlPlN2at6native12_GLOBAL__N_18offset_tEEE10hipError_tPvRmT1_PNSt15iterator_traitsISK_E10value_typeET2_T3_PNSL_ISQ_E10value_typeET4_jRbjT5_SW_jjP12ihipStream_tbEUlT_E2_NS1_11comp_targetILNS1_3genE9ELNS1_11target_archE1100ELNS1_3gpuE3ELNS1_3repE0EEENS1_30default_config_static_selectorELNS0_4arch9wavefront6targetE0EEEvSK_,"axG",@progbits,_ZN7rocprim17ROCPRIM_400000_NS6detail17trampoline_kernelINS0_14default_configENS1_36segmented_radix_sort_config_selectorIdlEEZNS1_25segmented_radix_sort_implIS3_Lb1EPKdPdPKlPlN2at6native12_GLOBAL__N_18offset_tEEE10hipError_tPvRmT1_PNSt15iterator_traitsISK_E10value_typeET2_T3_PNSL_ISQ_E10value_typeET4_jRbjT5_SW_jjP12ihipStream_tbEUlT_E2_NS1_11comp_targetILNS1_3genE9ELNS1_11target_archE1100ELNS1_3gpuE3ELNS1_3repE0EEENS1_30default_config_static_selectorELNS0_4arch9wavefront6targetE0EEEvSK_,comdat
	.globl	_ZN7rocprim17ROCPRIM_400000_NS6detail17trampoline_kernelINS0_14default_configENS1_36segmented_radix_sort_config_selectorIdlEEZNS1_25segmented_radix_sort_implIS3_Lb1EPKdPdPKlPlN2at6native12_GLOBAL__N_18offset_tEEE10hipError_tPvRmT1_PNSt15iterator_traitsISK_E10value_typeET2_T3_PNSL_ISQ_E10value_typeET4_jRbjT5_SW_jjP12ihipStream_tbEUlT_E2_NS1_11comp_targetILNS1_3genE9ELNS1_11target_archE1100ELNS1_3gpuE3ELNS1_3repE0EEENS1_30default_config_static_selectorELNS0_4arch9wavefront6targetE0EEEvSK_ ; -- Begin function _ZN7rocprim17ROCPRIM_400000_NS6detail17trampoline_kernelINS0_14default_configENS1_36segmented_radix_sort_config_selectorIdlEEZNS1_25segmented_radix_sort_implIS3_Lb1EPKdPdPKlPlN2at6native12_GLOBAL__N_18offset_tEEE10hipError_tPvRmT1_PNSt15iterator_traitsISK_E10value_typeET2_T3_PNSL_ISQ_E10value_typeET4_jRbjT5_SW_jjP12ihipStream_tbEUlT_E2_NS1_11comp_targetILNS1_3genE9ELNS1_11target_archE1100ELNS1_3gpuE3ELNS1_3repE0EEENS1_30default_config_static_selectorELNS0_4arch9wavefront6targetE0EEEvSK_
	.p2align	8
	.type	_ZN7rocprim17ROCPRIM_400000_NS6detail17trampoline_kernelINS0_14default_configENS1_36segmented_radix_sort_config_selectorIdlEEZNS1_25segmented_radix_sort_implIS3_Lb1EPKdPdPKlPlN2at6native12_GLOBAL__N_18offset_tEEE10hipError_tPvRmT1_PNSt15iterator_traitsISK_E10value_typeET2_T3_PNSL_ISQ_E10value_typeET4_jRbjT5_SW_jjP12ihipStream_tbEUlT_E2_NS1_11comp_targetILNS1_3genE9ELNS1_11target_archE1100ELNS1_3gpuE3ELNS1_3repE0EEENS1_30default_config_static_selectorELNS0_4arch9wavefront6targetE0EEEvSK_,@function
_ZN7rocprim17ROCPRIM_400000_NS6detail17trampoline_kernelINS0_14default_configENS1_36segmented_radix_sort_config_selectorIdlEEZNS1_25segmented_radix_sort_implIS3_Lb1EPKdPdPKlPlN2at6native12_GLOBAL__N_18offset_tEEE10hipError_tPvRmT1_PNSt15iterator_traitsISK_E10value_typeET2_T3_PNSL_ISQ_E10value_typeET4_jRbjT5_SW_jjP12ihipStream_tbEUlT_E2_NS1_11comp_targetILNS1_3genE9ELNS1_11target_archE1100ELNS1_3gpuE3ELNS1_3repE0EEENS1_30default_config_static_selectorELNS0_4arch9wavefront6targetE0EEEvSK_: ; @_ZN7rocprim17ROCPRIM_400000_NS6detail17trampoline_kernelINS0_14default_configENS1_36segmented_radix_sort_config_selectorIdlEEZNS1_25segmented_radix_sort_implIS3_Lb1EPKdPdPKlPlN2at6native12_GLOBAL__N_18offset_tEEE10hipError_tPvRmT1_PNSt15iterator_traitsISK_E10value_typeET2_T3_PNSL_ISQ_E10value_typeET4_jRbjT5_SW_jjP12ihipStream_tbEUlT_E2_NS1_11comp_targetILNS1_3genE9ELNS1_11target_archE1100ELNS1_3gpuE3ELNS1_3repE0EEENS1_30default_config_static_selectorELNS0_4arch9wavefront6targetE0EEEvSK_
; %bb.0:
	.section	.rodata,"a",@progbits
	.p2align	6, 0x0
	.amdhsa_kernel _ZN7rocprim17ROCPRIM_400000_NS6detail17trampoline_kernelINS0_14default_configENS1_36segmented_radix_sort_config_selectorIdlEEZNS1_25segmented_radix_sort_implIS3_Lb1EPKdPdPKlPlN2at6native12_GLOBAL__N_18offset_tEEE10hipError_tPvRmT1_PNSt15iterator_traitsISK_E10value_typeET2_T3_PNSL_ISQ_E10value_typeET4_jRbjT5_SW_jjP12ihipStream_tbEUlT_E2_NS1_11comp_targetILNS1_3genE9ELNS1_11target_archE1100ELNS1_3gpuE3ELNS1_3repE0EEENS1_30default_config_static_selectorELNS0_4arch9wavefront6targetE0EEEvSK_
		.amdhsa_group_segment_fixed_size 0
		.amdhsa_private_segment_fixed_size 0
		.amdhsa_kernarg_size 80
		.amdhsa_user_sgpr_count 2
		.amdhsa_user_sgpr_dispatch_ptr 0
		.amdhsa_user_sgpr_queue_ptr 0
		.amdhsa_user_sgpr_kernarg_segment_ptr 1
		.amdhsa_user_sgpr_dispatch_id 0
		.amdhsa_user_sgpr_kernarg_preload_length 0
		.amdhsa_user_sgpr_kernarg_preload_offset 0
		.amdhsa_user_sgpr_private_segment_size 0
		.amdhsa_wavefront_size32 1
		.amdhsa_uses_dynamic_stack 0
		.amdhsa_enable_private_segment 0
		.amdhsa_system_sgpr_workgroup_id_x 1
		.amdhsa_system_sgpr_workgroup_id_y 0
		.amdhsa_system_sgpr_workgroup_id_z 0
		.amdhsa_system_sgpr_workgroup_info 0
		.amdhsa_system_vgpr_workitem_id 0
		.amdhsa_next_free_vgpr 1
		.amdhsa_next_free_sgpr 1
		.amdhsa_named_barrier_count 0
		.amdhsa_reserve_vcc 0
		.amdhsa_float_round_mode_32 0
		.amdhsa_float_round_mode_16_64 0
		.amdhsa_float_denorm_mode_32 3
		.amdhsa_float_denorm_mode_16_64 3
		.amdhsa_fp16_overflow 0
		.amdhsa_memory_ordered 1
		.amdhsa_forward_progress 1
		.amdhsa_inst_pref_size 0
		.amdhsa_round_robin_scheduling 0
		.amdhsa_exception_fp_ieee_invalid_op 0
		.amdhsa_exception_fp_denorm_src 0
		.amdhsa_exception_fp_ieee_div_zero 0
		.amdhsa_exception_fp_ieee_overflow 0
		.amdhsa_exception_fp_ieee_underflow 0
		.amdhsa_exception_fp_ieee_inexact 0
		.amdhsa_exception_int_div_zero 0
	.end_amdhsa_kernel
	.section	.text._ZN7rocprim17ROCPRIM_400000_NS6detail17trampoline_kernelINS0_14default_configENS1_36segmented_radix_sort_config_selectorIdlEEZNS1_25segmented_radix_sort_implIS3_Lb1EPKdPdPKlPlN2at6native12_GLOBAL__N_18offset_tEEE10hipError_tPvRmT1_PNSt15iterator_traitsISK_E10value_typeET2_T3_PNSL_ISQ_E10value_typeET4_jRbjT5_SW_jjP12ihipStream_tbEUlT_E2_NS1_11comp_targetILNS1_3genE9ELNS1_11target_archE1100ELNS1_3gpuE3ELNS1_3repE0EEENS1_30default_config_static_selectorELNS0_4arch9wavefront6targetE0EEEvSK_,"axG",@progbits,_ZN7rocprim17ROCPRIM_400000_NS6detail17trampoline_kernelINS0_14default_configENS1_36segmented_radix_sort_config_selectorIdlEEZNS1_25segmented_radix_sort_implIS3_Lb1EPKdPdPKlPlN2at6native12_GLOBAL__N_18offset_tEEE10hipError_tPvRmT1_PNSt15iterator_traitsISK_E10value_typeET2_T3_PNSL_ISQ_E10value_typeET4_jRbjT5_SW_jjP12ihipStream_tbEUlT_E2_NS1_11comp_targetILNS1_3genE9ELNS1_11target_archE1100ELNS1_3gpuE3ELNS1_3repE0EEENS1_30default_config_static_selectorELNS0_4arch9wavefront6targetE0EEEvSK_,comdat
.Lfunc_end1149:
	.size	_ZN7rocprim17ROCPRIM_400000_NS6detail17trampoline_kernelINS0_14default_configENS1_36segmented_radix_sort_config_selectorIdlEEZNS1_25segmented_radix_sort_implIS3_Lb1EPKdPdPKlPlN2at6native12_GLOBAL__N_18offset_tEEE10hipError_tPvRmT1_PNSt15iterator_traitsISK_E10value_typeET2_T3_PNSL_ISQ_E10value_typeET4_jRbjT5_SW_jjP12ihipStream_tbEUlT_E2_NS1_11comp_targetILNS1_3genE9ELNS1_11target_archE1100ELNS1_3gpuE3ELNS1_3repE0EEENS1_30default_config_static_selectorELNS0_4arch9wavefront6targetE0EEEvSK_, .Lfunc_end1149-_ZN7rocprim17ROCPRIM_400000_NS6detail17trampoline_kernelINS0_14default_configENS1_36segmented_radix_sort_config_selectorIdlEEZNS1_25segmented_radix_sort_implIS3_Lb1EPKdPdPKlPlN2at6native12_GLOBAL__N_18offset_tEEE10hipError_tPvRmT1_PNSt15iterator_traitsISK_E10value_typeET2_T3_PNSL_ISQ_E10value_typeET4_jRbjT5_SW_jjP12ihipStream_tbEUlT_E2_NS1_11comp_targetILNS1_3genE9ELNS1_11target_archE1100ELNS1_3gpuE3ELNS1_3repE0EEENS1_30default_config_static_selectorELNS0_4arch9wavefront6targetE0EEEvSK_
                                        ; -- End function
	.set _ZN7rocprim17ROCPRIM_400000_NS6detail17trampoline_kernelINS0_14default_configENS1_36segmented_radix_sort_config_selectorIdlEEZNS1_25segmented_radix_sort_implIS3_Lb1EPKdPdPKlPlN2at6native12_GLOBAL__N_18offset_tEEE10hipError_tPvRmT1_PNSt15iterator_traitsISK_E10value_typeET2_T3_PNSL_ISQ_E10value_typeET4_jRbjT5_SW_jjP12ihipStream_tbEUlT_E2_NS1_11comp_targetILNS1_3genE9ELNS1_11target_archE1100ELNS1_3gpuE3ELNS1_3repE0EEENS1_30default_config_static_selectorELNS0_4arch9wavefront6targetE0EEEvSK_.num_vgpr, 0
	.set _ZN7rocprim17ROCPRIM_400000_NS6detail17trampoline_kernelINS0_14default_configENS1_36segmented_radix_sort_config_selectorIdlEEZNS1_25segmented_radix_sort_implIS3_Lb1EPKdPdPKlPlN2at6native12_GLOBAL__N_18offset_tEEE10hipError_tPvRmT1_PNSt15iterator_traitsISK_E10value_typeET2_T3_PNSL_ISQ_E10value_typeET4_jRbjT5_SW_jjP12ihipStream_tbEUlT_E2_NS1_11comp_targetILNS1_3genE9ELNS1_11target_archE1100ELNS1_3gpuE3ELNS1_3repE0EEENS1_30default_config_static_selectorELNS0_4arch9wavefront6targetE0EEEvSK_.num_agpr, 0
	.set _ZN7rocprim17ROCPRIM_400000_NS6detail17trampoline_kernelINS0_14default_configENS1_36segmented_radix_sort_config_selectorIdlEEZNS1_25segmented_radix_sort_implIS3_Lb1EPKdPdPKlPlN2at6native12_GLOBAL__N_18offset_tEEE10hipError_tPvRmT1_PNSt15iterator_traitsISK_E10value_typeET2_T3_PNSL_ISQ_E10value_typeET4_jRbjT5_SW_jjP12ihipStream_tbEUlT_E2_NS1_11comp_targetILNS1_3genE9ELNS1_11target_archE1100ELNS1_3gpuE3ELNS1_3repE0EEENS1_30default_config_static_selectorELNS0_4arch9wavefront6targetE0EEEvSK_.numbered_sgpr, 0
	.set _ZN7rocprim17ROCPRIM_400000_NS6detail17trampoline_kernelINS0_14default_configENS1_36segmented_radix_sort_config_selectorIdlEEZNS1_25segmented_radix_sort_implIS3_Lb1EPKdPdPKlPlN2at6native12_GLOBAL__N_18offset_tEEE10hipError_tPvRmT1_PNSt15iterator_traitsISK_E10value_typeET2_T3_PNSL_ISQ_E10value_typeET4_jRbjT5_SW_jjP12ihipStream_tbEUlT_E2_NS1_11comp_targetILNS1_3genE9ELNS1_11target_archE1100ELNS1_3gpuE3ELNS1_3repE0EEENS1_30default_config_static_selectorELNS0_4arch9wavefront6targetE0EEEvSK_.num_named_barrier, 0
	.set _ZN7rocprim17ROCPRIM_400000_NS6detail17trampoline_kernelINS0_14default_configENS1_36segmented_radix_sort_config_selectorIdlEEZNS1_25segmented_radix_sort_implIS3_Lb1EPKdPdPKlPlN2at6native12_GLOBAL__N_18offset_tEEE10hipError_tPvRmT1_PNSt15iterator_traitsISK_E10value_typeET2_T3_PNSL_ISQ_E10value_typeET4_jRbjT5_SW_jjP12ihipStream_tbEUlT_E2_NS1_11comp_targetILNS1_3genE9ELNS1_11target_archE1100ELNS1_3gpuE3ELNS1_3repE0EEENS1_30default_config_static_selectorELNS0_4arch9wavefront6targetE0EEEvSK_.private_seg_size, 0
	.set _ZN7rocprim17ROCPRIM_400000_NS6detail17trampoline_kernelINS0_14default_configENS1_36segmented_radix_sort_config_selectorIdlEEZNS1_25segmented_radix_sort_implIS3_Lb1EPKdPdPKlPlN2at6native12_GLOBAL__N_18offset_tEEE10hipError_tPvRmT1_PNSt15iterator_traitsISK_E10value_typeET2_T3_PNSL_ISQ_E10value_typeET4_jRbjT5_SW_jjP12ihipStream_tbEUlT_E2_NS1_11comp_targetILNS1_3genE9ELNS1_11target_archE1100ELNS1_3gpuE3ELNS1_3repE0EEENS1_30default_config_static_selectorELNS0_4arch9wavefront6targetE0EEEvSK_.uses_vcc, 0
	.set _ZN7rocprim17ROCPRIM_400000_NS6detail17trampoline_kernelINS0_14default_configENS1_36segmented_radix_sort_config_selectorIdlEEZNS1_25segmented_radix_sort_implIS3_Lb1EPKdPdPKlPlN2at6native12_GLOBAL__N_18offset_tEEE10hipError_tPvRmT1_PNSt15iterator_traitsISK_E10value_typeET2_T3_PNSL_ISQ_E10value_typeET4_jRbjT5_SW_jjP12ihipStream_tbEUlT_E2_NS1_11comp_targetILNS1_3genE9ELNS1_11target_archE1100ELNS1_3gpuE3ELNS1_3repE0EEENS1_30default_config_static_selectorELNS0_4arch9wavefront6targetE0EEEvSK_.uses_flat_scratch, 0
	.set _ZN7rocprim17ROCPRIM_400000_NS6detail17trampoline_kernelINS0_14default_configENS1_36segmented_radix_sort_config_selectorIdlEEZNS1_25segmented_radix_sort_implIS3_Lb1EPKdPdPKlPlN2at6native12_GLOBAL__N_18offset_tEEE10hipError_tPvRmT1_PNSt15iterator_traitsISK_E10value_typeET2_T3_PNSL_ISQ_E10value_typeET4_jRbjT5_SW_jjP12ihipStream_tbEUlT_E2_NS1_11comp_targetILNS1_3genE9ELNS1_11target_archE1100ELNS1_3gpuE3ELNS1_3repE0EEENS1_30default_config_static_selectorELNS0_4arch9wavefront6targetE0EEEvSK_.has_dyn_sized_stack, 0
	.set _ZN7rocprim17ROCPRIM_400000_NS6detail17trampoline_kernelINS0_14default_configENS1_36segmented_radix_sort_config_selectorIdlEEZNS1_25segmented_radix_sort_implIS3_Lb1EPKdPdPKlPlN2at6native12_GLOBAL__N_18offset_tEEE10hipError_tPvRmT1_PNSt15iterator_traitsISK_E10value_typeET2_T3_PNSL_ISQ_E10value_typeET4_jRbjT5_SW_jjP12ihipStream_tbEUlT_E2_NS1_11comp_targetILNS1_3genE9ELNS1_11target_archE1100ELNS1_3gpuE3ELNS1_3repE0EEENS1_30default_config_static_selectorELNS0_4arch9wavefront6targetE0EEEvSK_.has_recursion, 0
	.set _ZN7rocprim17ROCPRIM_400000_NS6detail17trampoline_kernelINS0_14default_configENS1_36segmented_radix_sort_config_selectorIdlEEZNS1_25segmented_radix_sort_implIS3_Lb1EPKdPdPKlPlN2at6native12_GLOBAL__N_18offset_tEEE10hipError_tPvRmT1_PNSt15iterator_traitsISK_E10value_typeET2_T3_PNSL_ISQ_E10value_typeET4_jRbjT5_SW_jjP12ihipStream_tbEUlT_E2_NS1_11comp_targetILNS1_3genE9ELNS1_11target_archE1100ELNS1_3gpuE3ELNS1_3repE0EEENS1_30default_config_static_selectorELNS0_4arch9wavefront6targetE0EEEvSK_.has_indirect_call, 0
	.section	.AMDGPU.csdata,"",@progbits
; Kernel info:
; codeLenInByte = 0
; TotalNumSgprs: 0
; NumVgprs: 0
; ScratchSize: 0
; MemoryBound: 0
; FloatMode: 240
; IeeeMode: 1
; LDSByteSize: 0 bytes/workgroup (compile time only)
; SGPRBlocks: 0
; VGPRBlocks: 0
; NumSGPRsForWavesPerEU: 1
; NumVGPRsForWavesPerEU: 1
; NamedBarCnt: 0
; Occupancy: 16
; WaveLimiterHint : 0
; COMPUTE_PGM_RSRC2:SCRATCH_EN: 0
; COMPUTE_PGM_RSRC2:USER_SGPR: 2
; COMPUTE_PGM_RSRC2:TRAP_HANDLER: 0
; COMPUTE_PGM_RSRC2:TGID_X_EN: 1
; COMPUTE_PGM_RSRC2:TGID_Y_EN: 0
; COMPUTE_PGM_RSRC2:TGID_Z_EN: 0
; COMPUTE_PGM_RSRC2:TIDIG_COMP_CNT: 0
	.section	.text._ZN7rocprim17ROCPRIM_400000_NS6detail17trampoline_kernelINS0_14default_configENS1_36segmented_radix_sort_config_selectorIdlEEZNS1_25segmented_radix_sort_implIS3_Lb1EPKdPdPKlPlN2at6native12_GLOBAL__N_18offset_tEEE10hipError_tPvRmT1_PNSt15iterator_traitsISK_E10value_typeET2_T3_PNSL_ISQ_E10value_typeET4_jRbjT5_SW_jjP12ihipStream_tbEUlT_E2_NS1_11comp_targetILNS1_3genE8ELNS1_11target_archE1030ELNS1_3gpuE2ELNS1_3repE0EEENS1_30default_config_static_selectorELNS0_4arch9wavefront6targetE0EEEvSK_,"axG",@progbits,_ZN7rocprim17ROCPRIM_400000_NS6detail17trampoline_kernelINS0_14default_configENS1_36segmented_radix_sort_config_selectorIdlEEZNS1_25segmented_radix_sort_implIS3_Lb1EPKdPdPKlPlN2at6native12_GLOBAL__N_18offset_tEEE10hipError_tPvRmT1_PNSt15iterator_traitsISK_E10value_typeET2_T3_PNSL_ISQ_E10value_typeET4_jRbjT5_SW_jjP12ihipStream_tbEUlT_E2_NS1_11comp_targetILNS1_3genE8ELNS1_11target_archE1030ELNS1_3gpuE2ELNS1_3repE0EEENS1_30default_config_static_selectorELNS0_4arch9wavefront6targetE0EEEvSK_,comdat
	.globl	_ZN7rocprim17ROCPRIM_400000_NS6detail17trampoline_kernelINS0_14default_configENS1_36segmented_radix_sort_config_selectorIdlEEZNS1_25segmented_radix_sort_implIS3_Lb1EPKdPdPKlPlN2at6native12_GLOBAL__N_18offset_tEEE10hipError_tPvRmT1_PNSt15iterator_traitsISK_E10value_typeET2_T3_PNSL_ISQ_E10value_typeET4_jRbjT5_SW_jjP12ihipStream_tbEUlT_E2_NS1_11comp_targetILNS1_3genE8ELNS1_11target_archE1030ELNS1_3gpuE2ELNS1_3repE0EEENS1_30default_config_static_selectorELNS0_4arch9wavefront6targetE0EEEvSK_ ; -- Begin function _ZN7rocprim17ROCPRIM_400000_NS6detail17trampoline_kernelINS0_14default_configENS1_36segmented_radix_sort_config_selectorIdlEEZNS1_25segmented_radix_sort_implIS3_Lb1EPKdPdPKlPlN2at6native12_GLOBAL__N_18offset_tEEE10hipError_tPvRmT1_PNSt15iterator_traitsISK_E10value_typeET2_T3_PNSL_ISQ_E10value_typeET4_jRbjT5_SW_jjP12ihipStream_tbEUlT_E2_NS1_11comp_targetILNS1_3genE8ELNS1_11target_archE1030ELNS1_3gpuE2ELNS1_3repE0EEENS1_30default_config_static_selectorELNS0_4arch9wavefront6targetE0EEEvSK_
	.p2align	8
	.type	_ZN7rocprim17ROCPRIM_400000_NS6detail17trampoline_kernelINS0_14default_configENS1_36segmented_radix_sort_config_selectorIdlEEZNS1_25segmented_radix_sort_implIS3_Lb1EPKdPdPKlPlN2at6native12_GLOBAL__N_18offset_tEEE10hipError_tPvRmT1_PNSt15iterator_traitsISK_E10value_typeET2_T3_PNSL_ISQ_E10value_typeET4_jRbjT5_SW_jjP12ihipStream_tbEUlT_E2_NS1_11comp_targetILNS1_3genE8ELNS1_11target_archE1030ELNS1_3gpuE2ELNS1_3repE0EEENS1_30default_config_static_selectorELNS0_4arch9wavefront6targetE0EEEvSK_,@function
_ZN7rocprim17ROCPRIM_400000_NS6detail17trampoline_kernelINS0_14default_configENS1_36segmented_radix_sort_config_selectorIdlEEZNS1_25segmented_radix_sort_implIS3_Lb1EPKdPdPKlPlN2at6native12_GLOBAL__N_18offset_tEEE10hipError_tPvRmT1_PNSt15iterator_traitsISK_E10value_typeET2_T3_PNSL_ISQ_E10value_typeET4_jRbjT5_SW_jjP12ihipStream_tbEUlT_E2_NS1_11comp_targetILNS1_3genE8ELNS1_11target_archE1030ELNS1_3gpuE2ELNS1_3repE0EEENS1_30default_config_static_selectorELNS0_4arch9wavefront6targetE0EEEvSK_: ; @_ZN7rocprim17ROCPRIM_400000_NS6detail17trampoline_kernelINS0_14default_configENS1_36segmented_radix_sort_config_selectorIdlEEZNS1_25segmented_radix_sort_implIS3_Lb1EPKdPdPKlPlN2at6native12_GLOBAL__N_18offset_tEEE10hipError_tPvRmT1_PNSt15iterator_traitsISK_E10value_typeET2_T3_PNSL_ISQ_E10value_typeET4_jRbjT5_SW_jjP12ihipStream_tbEUlT_E2_NS1_11comp_targetILNS1_3genE8ELNS1_11target_archE1030ELNS1_3gpuE2ELNS1_3repE0EEENS1_30default_config_static_selectorELNS0_4arch9wavefront6targetE0EEEvSK_
; %bb.0:
	.section	.rodata,"a",@progbits
	.p2align	6, 0x0
	.amdhsa_kernel _ZN7rocprim17ROCPRIM_400000_NS6detail17trampoline_kernelINS0_14default_configENS1_36segmented_radix_sort_config_selectorIdlEEZNS1_25segmented_radix_sort_implIS3_Lb1EPKdPdPKlPlN2at6native12_GLOBAL__N_18offset_tEEE10hipError_tPvRmT1_PNSt15iterator_traitsISK_E10value_typeET2_T3_PNSL_ISQ_E10value_typeET4_jRbjT5_SW_jjP12ihipStream_tbEUlT_E2_NS1_11comp_targetILNS1_3genE8ELNS1_11target_archE1030ELNS1_3gpuE2ELNS1_3repE0EEENS1_30default_config_static_selectorELNS0_4arch9wavefront6targetE0EEEvSK_
		.amdhsa_group_segment_fixed_size 0
		.amdhsa_private_segment_fixed_size 0
		.amdhsa_kernarg_size 80
		.amdhsa_user_sgpr_count 2
		.amdhsa_user_sgpr_dispatch_ptr 0
		.amdhsa_user_sgpr_queue_ptr 0
		.amdhsa_user_sgpr_kernarg_segment_ptr 1
		.amdhsa_user_sgpr_dispatch_id 0
		.amdhsa_user_sgpr_kernarg_preload_length 0
		.amdhsa_user_sgpr_kernarg_preload_offset 0
		.amdhsa_user_sgpr_private_segment_size 0
		.amdhsa_wavefront_size32 1
		.amdhsa_uses_dynamic_stack 0
		.amdhsa_enable_private_segment 0
		.amdhsa_system_sgpr_workgroup_id_x 1
		.amdhsa_system_sgpr_workgroup_id_y 0
		.amdhsa_system_sgpr_workgroup_id_z 0
		.amdhsa_system_sgpr_workgroup_info 0
		.amdhsa_system_vgpr_workitem_id 0
		.amdhsa_next_free_vgpr 1
		.amdhsa_next_free_sgpr 1
		.amdhsa_named_barrier_count 0
		.amdhsa_reserve_vcc 0
		.amdhsa_float_round_mode_32 0
		.amdhsa_float_round_mode_16_64 0
		.amdhsa_float_denorm_mode_32 3
		.amdhsa_float_denorm_mode_16_64 3
		.amdhsa_fp16_overflow 0
		.amdhsa_memory_ordered 1
		.amdhsa_forward_progress 1
		.amdhsa_inst_pref_size 0
		.amdhsa_round_robin_scheduling 0
		.amdhsa_exception_fp_ieee_invalid_op 0
		.amdhsa_exception_fp_denorm_src 0
		.amdhsa_exception_fp_ieee_div_zero 0
		.amdhsa_exception_fp_ieee_overflow 0
		.amdhsa_exception_fp_ieee_underflow 0
		.amdhsa_exception_fp_ieee_inexact 0
		.amdhsa_exception_int_div_zero 0
	.end_amdhsa_kernel
	.section	.text._ZN7rocprim17ROCPRIM_400000_NS6detail17trampoline_kernelINS0_14default_configENS1_36segmented_radix_sort_config_selectorIdlEEZNS1_25segmented_radix_sort_implIS3_Lb1EPKdPdPKlPlN2at6native12_GLOBAL__N_18offset_tEEE10hipError_tPvRmT1_PNSt15iterator_traitsISK_E10value_typeET2_T3_PNSL_ISQ_E10value_typeET4_jRbjT5_SW_jjP12ihipStream_tbEUlT_E2_NS1_11comp_targetILNS1_3genE8ELNS1_11target_archE1030ELNS1_3gpuE2ELNS1_3repE0EEENS1_30default_config_static_selectorELNS0_4arch9wavefront6targetE0EEEvSK_,"axG",@progbits,_ZN7rocprim17ROCPRIM_400000_NS6detail17trampoline_kernelINS0_14default_configENS1_36segmented_radix_sort_config_selectorIdlEEZNS1_25segmented_radix_sort_implIS3_Lb1EPKdPdPKlPlN2at6native12_GLOBAL__N_18offset_tEEE10hipError_tPvRmT1_PNSt15iterator_traitsISK_E10value_typeET2_T3_PNSL_ISQ_E10value_typeET4_jRbjT5_SW_jjP12ihipStream_tbEUlT_E2_NS1_11comp_targetILNS1_3genE8ELNS1_11target_archE1030ELNS1_3gpuE2ELNS1_3repE0EEENS1_30default_config_static_selectorELNS0_4arch9wavefront6targetE0EEEvSK_,comdat
.Lfunc_end1150:
	.size	_ZN7rocprim17ROCPRIM_400000_NS6detail17trampoline_kernelINS0_14default_configENS1_36segmented_radix_sort_config_selectorIdlEEZNS1_25segmented_radix_sort_implIS3_Lb1EPKdPdPKlPlN2at6native12_GLOBAL__N_18offset_tEEE10hipError_tPvRmT1_PNSt15iterator_traitsISK_E10value_typeET2_T3_PNSL_ISQ_E10value_typeET4_jRbjT5_SW_jjP12ihipStream_tbEUlT_E2_NS1_11comp_targetILNS1_3genE8ELNS1_11target_archE1030ELNS1_3gpuE2ELNS1_3repE0EEENS1_30default_config_static_selectorELNS0_4arch9wavefront6targetE0EEEvSK_, .Lfunc_end1150-_ZN7rocprim17ROCPRIM_400000_NS6detail17trampoline_kernelINS0_14default_configENS1_36segmented_radix_sort_config_selectorIdlEEZNS1_25segmented_radix_sort_implIS3_Lb1EPKdPdPKlPlN2at6native12_GLOBAL__N_18offset_tEEE10hipError_tPvRmT1_PNSt15iterator_traitsISK_E10value_typeET2_T3_PNSL_ISQ_E10value_typeET4_jRbjT5_SW_jjP12ihipStream_tbEUlT_E2_NS1_11comp_targetILNS1_3genE8ELNS1_11target_archE1030ELNS1_3gpuE2ELNS1_3repE0EEENS1_30default_config_static_selectorELNS0_4arch9wavefront6targetE0EEEvSK_
                                        ; -- End function
	.set _ZN7rocprim17ROCPRIM_400000_NS6detail17trampoline_kernelINS0_14default_configENS1_36segmented_radix_sort_config_selectorIdlEEZNS1_25segmented_radix_sort_implIS3_Lb1EPKdPdPKlPlN2at6native12_GLOBAL__N_18offset_tEEE10hipError_tPvRmT1_PNSt15iterator_traitsISK_E10value_typeET2_T3_PNSL_ISQ_E10value_typeET4_jRbjT5_SW_jjP12ihipStream_tbEUlT_E2_NS1_11comp_targetILNS1_3genE8ELNS1_11target_archE1030ELNS1_3gpuE2ELNS1_3repE0EEENS1_30default_config_static_selectorELNS0_4arch9wavefront6targetE0EEEvSK_.num_vgpr, 0
	.set _ZN7rocprim17ROCPRIM_400000_NS6detail17trampoline_kernelINS0_14default_configENS1_36segmented_radix_sort_config_selectorIdlEEZNS1_25segmented_radix_sort_implIS3_Lb1EPKdPdPKlPlN2at6native12_GLOBAL__N_18offset_tEEE10hipError_tPvRmT1_PNSt15iterator_traitsISK_E10value_typeET2_T3_PNSL_ISQ_E10value_typeET4_jRbjT5_SW_jjP12ihipStream_tbEUlT_E2_NS1_11comp_targetILNS1_3genE8ELNS1_11target_archE1030ELNS1_3gpuE2ELNS1_3repE0EEENS1_30default_config_static_selectorELNS0_4arch9wavefront6targetE0EEEvSK_.num_agpr, 0
	.set _ZN7rocprim17ROCPRIM_400000_NS6detail17trampoline_kernelINS0_14default_configENS1_36segmented_radix_sort_config_selectorIdlEEZNS1_25segmented_radix_sort_implIS3_Lb1EPKdPdPKlPlN2at6native12_GLOBAL__N_18offset_tEEE10hipError_tPvRmT1_PNSt15iterator_traitsISK_E10value_typeET2_T3_PNSL_ISQ_E10value_typeET4_jRbjT5_SW_jjP12ihipStream_tbEUlT_E2_NS1_11comp_targetILNS1_3genE8ELNS1_11target_archE1030ELNS1_3gpuE2ELNS1_3repE0EEENS1_30default_config_static_selectorELNS0_4arch9wavefront6targetE0EEEvSK_.numbered_sgpr, 0
	.set _ZN7rocprim17ROCPRIM_400000_NS6detail17trampoline_kernelINS0_14default_configENS1_36segmented_radix_sort_config_selectorIdlEEZNS1_25segmented_radix_sort_implIS3_Lb1EPKdPdPKlPlN2at6native12_GLOBAL__N_18offset_tEEE10hipError_tPvRmT1_PNSt15iterator_traitsISK_E10value_typeET2_T3_PNSL_ISQ_E10value_typeET4_jRbjT5_SW_jjP12ihipStream_tbEUlT_E2_NS1_11comp_targetILNS1_3genE8ELNS1_11target_archE1030ELNS1_3gpuE2ELNS1_3repE0EEENS1_30default_config_static_selectorELNS0_4arch9wavefront6targetE0EEEvSK_.num_named_barrier, 0
	.set _ZN7rocprim17ROCPRIM_400000_NS6detail17trampoline_kernelINS0_14default_configENS1_36segmented_radix_sort_config_selectorIdlEEZNS1_25segmented_radix_sort_implIS3_Lb1EPKdPdPKlPlN2at6native12_GLOBAL__N_18offset_tEEE10hipError_tPvRmT1_PNSt15iterator_traitsISK_E10value_typeET2_T3_PNSL_ISQ_E10value_typeET4_jRbjT5_SW_jjP12ihipStream_tbEUlT_E2_NS1_11comp_targetILNS1_3genE8ELNS1_11target_archE1030ELNS1_3gpuE2ELNS1_3repE0EEENS1_30default_config_static_selectorELNS0_4arch9wavefront6targetE0EEEvSK_.private_seg_size, 0
	.set _ZN7rocprim17ROCPRIM_400000_NS6detail17trampoline_kernelINS0_14default_configENS1_36segmented_radix_sort_config_selectorIdlEEZNS1_25segmented_radix_sort_implIS3_Lb1EPKdPdPKlPlN2at6native12_GLOBAL__N_18offset_tEEE10hipError_tPvRmT1_PNSt15iterator_traitsISK_E10value_typeET2_T3_PNSL_ISQ_E10value_typeET4_jRbjT5_SW_jjP12ihipStream_tbEUlT_E2_NS1_11comp_targetILNS1_3genE8ELNS1_11target_archE1030ELNS1_3gpuE2ELNS1_3repE0EEENS1_30default_config_static_selectorELNS0_4arch9wavefront6targetE0EEEvSK_.uses_vcc, 0
	.set _ZN7rocprim17ROCPRIM_400000_NS6detail17trampoline_kernelINS0_14default_configENS1_36segmented_radix_sort_config_selectorIdlEEZNS1_25segmented_radix_sort_implIS3_Lb1EPKdPdPKlPlN2at6native12_GLOBAL__N_18offset_tEEE10hipError_tPvRmT1_PNSt15iterator_traitsISK_E10value_typeET2_T3_PNSL_ISQ_E10value_typeET4_jRbjT5_SW_jjP12ihipStream_tbEUlT_E2_NS1_11comp_targetILNS1_3genE8ELNS1_11target_archE1030ELNS1_3gpuE2ELNS1_3repE0EEENS1_30default_config_static_selectorELNS0_4arch9wavefront6targetE0EEEvSK_.uses_flat_scratch, 0
	.set _ZN7rocprim17ROCPRIM_400000_NS6detail17trampoline_kernelINS0_14default_configENS1_36segmented_radix_sort_config_selectorIdlEEZNS1_25segmented_radix_sort_implIS3_Lb1EPKdPdPKlPlN2at6native12_GLOBAL__N_18offset_tEEE10hipError_tPvRmT1_PNSt15iterator_traitsISK_E10value_typeET2_T3_PNSL_ISQ_E10value_typeET4_jRbjT5_SW_jjP12ihipStream_tbEUlT_E2_NS1_11comp_targetILNS1_3genE8ELNS1_11target_archE1030ELNS1_3gpuE2ELNS1_3repE0EEENS1_30default_config_static_selectorELNS0_4arch9wavefront6targetE0EEEvSK_.has_dyn_sized_stack, 0
	.set _ZN7rocprim17ROCPRIM_400000_NS6detail17trampoline_kernelINS0_14default_configENS1_36segmented_radix_sort_config_selectorIdlEEZNS1_25segmented_radix_sort_implIS3_Lb1EPKdPdPKlPlN2at6native12_GLOBAL__N_18offset_tEEE10hipError_tPvRmT1_PNSt15iterator_traitsISK_E10value_typeET2_T3_PNSL_ISQ_E10value_typeET4_jRbjT5_SW_jjP12ihipStream_tbEUlT_E2_NS1_11comp_targetILNS1_3genE8ELNS1_11target_archE1030ELNS1_3gpuE2ELNS1_3repE0EEENS1_30default_config_static_selectorELNS0_4arch9wavefront6targetE0EEEvSK_.has_recursion, 0
	.set _ZN7rocprim17ROCPRIM_400000_NS6detail17trampoline_kernelINS0_14default_configENS1_36segmented_radix_sort_config_selectorIdlEEZNS1_25segmented_radix_sort_implIS3_Lb1EPKdPdPKlPlN2at6native12_GLOBAL__N_18offset_tEEE10hipError_tPvRmT1_PNSt15iterator_traitsISK_E10value_typeET2_T3_PNSL_ISQ_E10value_typeET4_jRbjT5_SW_jjP12ihipStream_tbEUlT_E2_NS1_11comp_targetILNS1_3genE8ELNS1_11target_archE1030ELNS1_3gpuE2ELNS1_3repE0EEENS1_30default_config_static_selectorELNS0_4arch9wavefront6targetE0EEEvSK_.has_indirect_call, 0
	.section	.AMDGPU.csdata,"",@progbits
; Kernel info:
; codeLenInByte = 0
; TotalNumSgprs: 0
; NumVgprs: 0
; ScratchSize: 0
; MemoryBound: 0
; FloatMode: 240
; IeeeMode: 1
; LDSByteSize: 0 bytes/workgroup (compile time only)
; SGPRBlocks: 0
; VGPRBlocks: 0
; NumSGPRsForWavesPerEU: 1
; NumVGPRsForWavesPerEU: 1
; NamedBarCnt: 0
; Occupancy: 16
; WaveLimiterHint : 0
; COMPUTE_PGM_RSRC2:SCRATCH_EN: 0
; COMPUTE_PGM_RSRC2:USER_SGPR: 2
; COMPUTE_PGM_RSRC2:TRAP_HANDLER: 0
; COMPUTE_PGM_RSRC2:TGID_X_EN: 1
; COMPUTE_PGM_RSRC2:TGID_Y_EN: 0
; COMPUTE_PGM_RSRC2:TGID_Z_EN: 0
; COMPUTE_PGM_RSRC2:TIDIG_COMP_CNT: 0
	.section	.text._ZN7rocprim17ROCPRIM_400000_NS6detail17trampoline_kernelINS0_13select_configILj256ELj13ELNS0_17block_load_methodE3ELS4_3ELS4_3ELNS0_20block_scan_algorithmE0ELj4294967295EEENS1_25partition_config_selectorILNS1_17partition_subalgoE4EjNS0_10empty_typeEbEEZZNS1_14partition_implILS8_4ELb0ES6_15HIP_vector_typeIjLj2EENS0_17counting_iteratorIjlEEPS9_SG_NS0_5tupleIJPjSI_NS0_16reverse_iteratorISI_EEEEENSH_IJSG_SG_SG_EEES9_SI_JZNS1_25segmented_radix_sort_implINS0_14default_configELb0EPKdPdPKlPlN2at6native12_GLOBAL__N_18offset_tEEE10hipError_tPvRmT1_PNSt15iterator_traitsIS12_E10value_typeET2_T3_PNS13_IS18_E10value_typeET4_jRbjT5_S1E_jjP12ihipStream_tbEUljE_ZNSN_ISO_Lb0ESQ_SR_ST_SU_SY_EESZ_S10_S11_S12_S16_S17_S18_S1B_S1C_jS1D_jS1E_S1E_jjS1G_bEUljE0_EEESZ_S10_S11_S18_S1C_S1E_T6_T7_T9_mT8_S1G_bDpT10_ENKUlT_T0_E_clISt17integral_constantIbLb0EES1U_EEDaS1P_S1Q_EUlS1P_E_NS1_11comp_targetILNS1_3genE0ELNS1_11target_archE4294967295ELNS1_3gpuE0ELNS1_3repE0EEENS1_30default_config_static_selectorELNS0_4arch9wavefront6targetE0EEEvS12_,"axG",@progbits,_ZN7rocprim17ROCPRIM_400000_NS6detail17trampoline_kernelINS0_13select_configILj256ELj13ELNS0_17block_load_methodE3ELS4_3ELS4_3ELNS0_20block_scan_algorithmE0ELj4294967295EEENS1_25partition_config_selectorILNS1_17partition_subalgoE4EjNS0_10empty_typeEbEEZZNS1_14partition_implILS8_4ELb0ES6_15HIP_vector_typeIjLj2EENS0_17counting_iteratorIjlEEPS9_SG_NS0_5tupleIJPjSI_NS0_16reverse_iteratorISI_EEEEENSH_IJSG_SG_SG_EEES9_SI_JZNS1_25segmented_radix_sort_implINS0_14default_configELb0EPKdPdPKlPlN2at6native12_GLOBAL__N_18offset_tEEE10hipError_tPvRmT1_PNSt15iterator_traitsIS12_E10value_typeET2_T3_PNS13_IS18_E10value_typeET4_jRbjT5_S1E_jjP12ihipStream_tbEUljE_ZNSN_ISO_Lb0ESQ_SR_ST_SU_SY_EESZ_S10_S11_S12_S16_S17_S18_S1B_S1C_jS1D_jS1E_S1E_jjS1G_bEUljE0_EEESZ_S10_S11_S18_S1C_S1E_T6_T7_T9_mT8_S1G_bDpT10_ENKUlT_T0_E_clISt17integral_constantIbLb0EES1U_EEDaS1P_S1Q_EUlS1P_E_NS1_11comp_targetILNS1_3genE0ELNS1_11target_archE4294967295ELNS1_3gpuE0ELNS1_3repE0EEENS1_30default_config_static_selectorELNS0_4arch9wavefront6targetE0EEEvS12_,comdat
	.globl	_ZN7rocprim17ROCPRIM_400000_NS6detail17trampoline_kernelINS0_13select_configILj256ELj13ELNS0_17block_load_methodE3ELS4_3ELS4_3ELNS0_20block_scan_algorithmE0ELj4294967295EEENS1_25partition_config_selectorILNS1_17partition_subalgoE4EjNS0_10empty_typeEbEEZZNS1_14partition_implILS8_4ELb0ES6_15HIP_vector_typeIjLj2EENS0_17counting_iteratorIjlEEPS9_SG_NS0_5tupleIJPjSI_NS0_16reverse_iteratorISI_EEEEENSH_IJSG_SG_SG_EEES9_SI_JZNS1_25segmented_radix_sort_implINS0_14default_configELb0EPKdPdPKlPlN2at6native12_GLOBAL__N_18offset_tEEE10hipError_tPvRmT1_PNSt15iterator_traitsIS12_E10value_typeET2_T3_PNS13_IS18_E10value_typeET4_jRbjT5_S1E_jjP12ihipStream_tbEUljE_ZNSN_ISO_Lb0ESQ_SR_ST_SU_SY_EESZ_S10_S11_S12_S16_S17_S18_S1B_S1C_jS1D_jS1E_S1E_jjS1G_bEUljE0_EEESZ_S10_S11_S18_S1C_S1E_T6_T7_T9_mT8_S1G_bDpT10_ENKUlT_T0_E_clISt17integral_constantIbLb0EES1U_EEDaS1P_S1Q_EUlS1P_E_NS1_11comp_targetILNS1_3genE0ELNS1_11target_archE4294967295ELNS1_3gpuE0ELNS1_3repE0EEENS1_30default_config_static_selectorELNS0_4arch9wavefront6targetE0EEEvS12_ ; -- Begin function _ZN7rocprim17ROCPRIM_400000_NS6detail17trampoline_kernelINS0_13select_configILj256ELj13ELNS0_17block_load_methodE3ELS4_3ELS4_3ELNS0_20block_scan_algorithmE0ELj4294967295EEENS1_25partition_config_selectorILNS1_17partition_subalgoE4EjNS0_10empty_typeEbEEZZNS1_14partition_implILS8_4ELb0ES6_15HIP_vector_typeIjLj2EENS0_17counting_iteratorIjlEEPS9_SG_NS0_5tupleIJPjSI_NS0_16reverse_iteratorISI_EEEEENSH_IJSG_SG_SG_EEES9_SI_JZNS1_25segmented_radix_sort_implINS0_14default_configELb0EPKdPdPKlPlN2at6native12_GLOBAL__N_18offset_tEEE10hipError_tPvRmT1_PNSt15iterator_traitsIS12_E10value_typeET2_T3_PNS13_IS18_E10value_typeET4_jRbjT5_S1E_jjP12ihipStream_tbEUljE_ZNSN_ISO_Lb0ESQ_SR_ST_SU_SY_EESZ_S10_S11_S12_S16_S17_S18_S1B_S1C_jS1D_jS1E_S1E_jjS1G_bEUljE0_EEESZ_S10_S11_S18_S1C_S1E_T6_T7_T9_mT8_S1G_bDpT10_ENKUlT_T0_E_clISt17integral_constantIbLb0EES1U_EEDaS1P_S1Q_EUlS1P_E_NS1_11comp_targetILNS1_3genE0ELNS1_11target_archE4294967295ELNS1_3gpuE0ELNS1_3repE0EEENS1_30default_config_static_selectorELNS0_4arch9wavefront6targetE0EEEvS12_
	.p2align	8
	.type	_ZN7rocprim17ROCPRIM_400000_NS6detail17trampoline_kernelINS0_13select_configILj256ELj13ELNS0_17block_load_methodE3ELS4_3ELS4_3ELNS0_20block_scan_algorithmE0ELj4294967295EEENS1_25partition_config_selectorILNS1_17partition_subalgoE4EjNS0_10empty_typeEbEEZZNS1_14partition_implILS8_4ELb0ES6_15HIP_vector_typeIjLj2EENS0_17counting_iteratorIjlEEPS9_SG_NS0_5tupleIJPjSI_NS0_16reverse_iteratorISI_EEEEENSH_IJSG_SG_SG_EEES9_SI_JZNS1_25segmented_radix_sort_implINS0_14default_configELb0EPKdPdPKlPlN2at6native12_GLOBAL__N_18offset_tEEE10hipError_tPvRmT1_PNSt15iterator_traitsIS12_E10value_typeET2_T3_PNS13_IS18_E10value_typeET4_jRbjT5_S1E_jjP12ihipStream_tbEUljE_ZNSN_ISO_Lb0ESQ_SR_ST_SU_SY_EESZ_S10_S11_S12_S16_S17_S18_S1B_S1C_jS1D_jS1E_S1E_jjS1G_bEUljE0_EEESZ_S10_S11_S18_S1C_S1E_T6_T7_T9_mT8_S1G_bDpT10_ENKUlT_T0_E_clISt17integral_constantIbLb0EES1U_EEDaS1P_S1Q_EUlS1P_E_NS1_11comp_targetILNS1_3genE0ELNS1_11target_archE4294967295ELNS1_3gpuE0ELNS1_3repE0EEENS1_30default_config_static_selectorELNS0_4arch9wavefront6targetE0EEEvS12_,@function
_ZN7rocprim17ROCPRIM_400000_NS6detail17trampoline_kernelINS0_13select_configILj256ELj13ELNS0_17block_load_methodE3ELS4_3ELS4_3ELNS0_20block_scan_algorithmE0ELj4294967295EEENS1_25partition_config_selectorILNS1_17partition_subalgoE4EjNS0_10empty_typeEbEEZZNS1_14partition_implILS8_4ELb0ES6_15HIP_vector_typeIjLj2EENS0_17counting_iteratorIjlEEPS9_SG_NS0_5tupleIJPjSI_NS0_16reverse_iteratorISI_EEEEENSH_IJSG_SG_SG_EEES9_SI_JZNS1_25segmented_radix_sort_implINS0_14default_configELb0EPKdPdPKlPlN2at6native12_GLOBAL__N_18offset_tEEE10hipError_tPvRmT1_PNSt15iterator_traitsIS12_E10value_typeET2_T3_PNS13_IS18_E10value_typeET4_jRbjT5_S1E_jjP12ihipStream_tbEUljE_ZNSN_ISO_Lb0ESQ_SR_ST_SU_SY_EESZ_S10_S11_S12_S16_S17_S18_S1B_S1C_jS1D_jS1E_S1E_jjS1G_bEUljE0_EEESZ_S10_S11_S18_S1C_S1E_T6_T7_T9_mT8_S1G_bDpT10_ENKUlT_T0_E_clISt17integral_constantIbLb0EES1U_EEDaS1P_S1Q_EUlS1P_E_NS1_11comp_targetILNS1_3genE0ELNS1_11target_archE4294967295ELNS1_3gpuE0ELNS1_3repE0EEENS1_30default_config_static_selectorELNS0_4arch9wavefront6targetE0EEEvS12_: ; @_ZN7rocprim17ROCPRIM_400000_NS6detail17trampoline_kernelINS0_13select_configILj256ELj13ELNS0_17block_load_methodE3ELS4_3ELS4_3ELNS0_20block_scan_algorithmE0ELj4294967295EEENS1_25partition_config_selectorILNS1_17partition_subalgoE4EjNS0_10empty_typeEbEEZZNS1_14partition_implILS8_4ELb0ES6_15HIP_vector_typeIjLj2EENS0_17counting_iteratorIjlEEPS9_SG_NS0_5tupleIJPjSI_NS0_16reverse_iteratorISI_EEEEENSH_IJSG_SG_SG_EEES9_SI_JZNS1_25segmented_radix_sort_implINS0_14default_configELb0EPKdPdPKlPlN2at6native12_GLOBAL__N_18offset_tEEE10hipError_tPvRmT1_PNSt15iterator_traitsIS12_E10value_typeET2_T3_PNS13_IS18_E10value_typeET4_jRbjT5_S1E_jjP12ihipStream_tbEUljE_ZNSN_ISO_Lb0ESQ_SR_ST_SU_SY_EESZ_S10_S11_S12_S16_S17_S18_S1B_S1C_jS1D_jS1E_S1E_jjS1G_bEUljE0_EEESZ_S10_S11_S18_S1C_S1E_T6_T7_T9_mT8_S1G_bDpT10_ENKUlT_T0_E_clISt17integral_constantIbLb0EES1U_EEDaS1P_S1Q_EUlS1P_E_NS1_11comp_targetILNS1_3genE0ELNS1_11target_archE4294967295ELNS1_3gpuE0ELNS1_3repE0EEENS1_30default_config_static_selectorELNS0_4arch9wavefront6targetE0EEEvS12_
; %bb.0:
	s_clause 0x4
	s_load_b128 s[24:27], s[0:1], 0x58
	s_load_b32 s4, s[0:1], 0x80
	s_load_b64 s[34:35], s[0:1], 0x10
	s_load_b64 s[2:3], s[0:1], 0x68
	s_load_b32 s8, s[0:1], 0x8
	s_bfe_u32 s5, ttmp6, 0x4000c
	s_and_b32 s6, ttmp6, 15
	s_add_co_i32 s5, s5, 1
	s_getreg_b32 s7, hwreg(HW_REG_IB_STS2, 6, 4)
	s_mul_i32 s5, ttmp9, s5
	s_load_b64 s[42:43], s[0:1], 0xa8
	s_add_co_i32 s6, s6, s5
	s_cmp_eq_u32 s7, 0
	s_load_b256 s[16:23], s[0:1], 0x88
	s_cselect_b32 s33, ttmp9, s6
	s_mov_b32 s5, 0
	s_mul_i32 s40, s33, 0xd00
	s_wait_kmcnt 0x0
	s_add_co_i32 s9, s4, -1
	s_mulk_i32 s4, 0xd00
	s_load_b128 s[28:31], s[26:27], 0x0
	s_cmp_eq_u32 s33, s9
	s_add_nc_u64 s[6:7], s[34:35], s[4:5]
	s_cselect_b32 s15, -1, 0
	s_cmp_lg_u32 s33, s9
	v_cmp_gt_u64_e64 s3, s[2:3], s[6:7]
	s_cselect_b32 s5, -1, 0
	s_add_co_i32 s6, s8, s40
	s_delay_alu instid0(SALU_CYCLE_1) | instskip(NEXT) | instid1(SALU_CYCLE_1)
	s_add_co_i32 s6, s6, s34
	v_add_nc_u32_e32 v1, s6, v0
	s_or_b32 s3, s5, s3
	s_mov_b32 s5, -1
	s_and_b32 vcc_lo, exec_lo, s3
	s_delay_alu instid0(VALU_DEP_1)
	v_add_nc_u32_e32 v2, 0x100, v1
	v_add_nc_u32_e32 v3, 0x200, v1
	;; [unrolled: 1-line block ×12, first 2 shown]
	s_cbranch_vccz .LBB1151_2
; %bb.1:
	v_lshlrev_b32_e32 v14, 2, v0
	s_mov_b32 s5, 0
	ds_store_2addr_stride64_b32 v14, v1, v2 offset1:4
	ds_store_2addr_stride64_b32 v14, v3, v4 offset0:8 offset1:12
	ds_store_2addr_stride64_b32 v14, v5, v6 offset0:16 offset1:20
	;; [unrolled: 1-line block ×5, first 2 shown]
	ds_store_b32 v14, v13 offset:12288
	s_wait_dscnt 0x0
	s_barrier_signal -1
	s_barrier_wait -1
.LBB1151_2:
	s_and_not1_b32 vcc_lo, exec_lo, s5
	s_add_co_i32 s4, s4, s34
	s_cbranch_vccnz .LBB1151_4
; %bb.3:
	v_lshlrev_b32_e32 v14, 2, v0
	ds_store_2addr_stride64_b32 v14, v1, v2 offset1:4
	ds_store_2addr_stride64_b32 v14, v3, v4 offset0:8 offset1:12
	ds_store_2addr_stride64_b32 v14, v5, v6 offset0:16 offset1:20
	;; [unrolled: 1-line block ×5, first 2 shown]
	ds_store_b32 v14, v13 offset:12288
	s_wait_dscnt 0x0
	s_barrier_signal -1
	s_barrier_wait -1
.LBB1151_4:
	v_mul_u32_u24_e32 v30, 13, v0
	s_load_b128 s[36:39], s[0:1], 0x28
	s_wait_xcnt 0x0
	s_load_b64 s[26:27], s[0:1], 0x38
	v_cndmask_b32_e64 v29, 0, 1, s3
	s_sub_co_i32 s41, s2, s4
	v_lshlrev_b32_e32 v1, 2, v30
	s_and_not1_b32 vcc_lo, exec_lo, s3
	ds_load_b32 v28, v1 offset:48
	ds_load_2addr_b32 v[10:11], v1 offset0:10 offset1:11
	ds_load_2addr_b32 v[12:13], v1 offset0:8 offset1:9
	;; [unrolled: 1-line block ×4, first 2 shown]
	ds_load_2addr_b32 v[20:21], v1 offset1:1
	ds_load_2addr_b32 v[18:19], v1 offset0:2 offset1:3
	s_wait_dscnt 0x0
	s_barrier_signal -1
	s_barrier_wait -1
	s_cbranch_vccnz .LBB1151_32
; %bb.5:
	v_dual_add_nc_u32 v1, s17, v20 :: v_dual_add_nc_u32 v2, s19, v20
	s_mov_b32 s45, 0
	s_mov_b32 s44, 0
	s_mov_b32 s3, exec_lo
	s_delay_alu instid0(VALU_DEP_1) | instskip(SKIP_1) | instid1(VALU_DEP_1)
	v_mul_lo_u32 v1, v1, s16
	v_mul_lo_u32 v2, v2, s18
	v_sub_nc_u32_e32 v1, v1, v2
	s_delay_alu instid0(VALU_DEP_1)
	v_cmp_lt_u32_e32 vcc_lo, s20, v1
	v_cmpx_ge_u32_e64 s20, v1
	s_cbranch_execz .LBB1151_7
; %bb.6:
	v_dual_add_nc_u32 v1, s22, v20 :: v_dual_add_nc_u32 v2, s42, v20
	s_delay_alu instid0(VALU_DEP_1) | instskip(NEXT) | instid1(VALU_DEP_2)
	v_mul_lo_u32 v1, v1, s21
	v_mul_lo_u32 v2, v2, s23
	s_delay_alu instid0(VALU_DEP_1) | instskip(NEXT) | instid1(VALU_DEP_1)
	v_sub_nc_u32_e32 v1, v1, v2
	v_cmp_lt_u32_e64 s2, s43, v1
	s_and_b32 s44, s2, exec_lo
.LBB1151_7:
	s_or_b32 exec_lo, exec_lo, s3
	v_dual_add_nc_u32 v1, s17, v21 :: v_dual_add_nc_u32 v2, s19, v21
	s_mov_b32 s4, exec_lo
	s_delay_alu instid0(VALU_DEP_1) | instskip(NEXT) | instid1(VALU_DEP_2)
	v_mul_lo_u32 v1, v1, s16
	v_mul_lo_u32 v2, v2, s18
	s_delay_alu instid0(VALU_DEP_1) | instskip(NEXT) | instid1(VALU_DEP_1)
	v_sub_nc_u32_e32 v1, v1, v2
	v_cmp_lt_u32_e64 s2, s20, v1
	v_cmpx_ge_u32_e64 s20, v1
	s_cbranch_execz .LBB1151_9
; %bb.8:
	v_dual_add_nc_u32 v1, s22, v21 :: v_dual_add_nc_u32 v2, s42, v21
	s_delay_alu instid0(VALU_DEP_1) | instskip(NEXT) | instid1(VALU_DEP_2)
	v_mul_lo_u32 v1, v1, s21
	v_mul_lo_u32 v2, v2, s23
	s_delay_alu instid0(VALU_DEP_1) | instskip(NEXT) | instid1(VALU_DEP_1)
	v_sub_nc_u32_e32 v1, v1, v2
	v_cmp_lt_u32_e64 s3, s43, v1
	s_and_b32 s45, s3, exec_lo
.LBB1151_9:
	s_or_b32 exec_lo, exec_lo, s4
	v_dual_add_nc_u32 v1, s17, v18 :: v_dual_add_nc_u32 v2, s19, v18
	s_mov_b32 s47, 0
	s_mov_b32 s46, 0
	s_mov_b32 s5, exec_lo
	s_delay_alu instid0(VALU_DEP_1) | instskip(SKIP_1) | instid1(VALU_DEP_1)
	v_mul_lo_u32 v1, v1, s16
	v_mul_lo_u32 v2, v2, s18
	v_sub_nc_u32_e32 v1, v1, v2
	s_delay_alu instid0(VALU_DEP_1)
	v_cmp_lt_u32_e64 s3, s20, v1
	v_cmpx_ge_u32_e64 s20, v1
	s_cbranch_execz .LBB1151_11
; %bb.10:
	v_dual_add_nc_u32 v1, s22, v18 :: v_dual_add_nc_u32 v2, s42, v18
	s_delay_alu instid0(VALU_DEP_1) | instskip(NEXT) | instid1(VALU_DEP_2)
	v_mul_lo_u32 v1, v1, s21
	v_mul_lo_u32 v2, v2, s23
	s_delay_alu instid0(VALU_DEP_1) | instskip(NEXT) | instid1(VALU_DEP_1)
	v_sub_nc_u32_e32 v1, v1, v2
	v_cmp_lt_u32_e64 s4, s43, v1
	s_and_b32 s46, s4, exec_lo
.LBB1151_11:
	s_or_b32 exec_lo, exec_lo, s5
	v_dual_add_nc_u32 v1, s17, v19 :: v_dual_add_nc_u32 v2, s19, v19
	s_mov_b32 s6, exec_lo
	s_delay_alu instid0(VALU_DEP_1) | instskip(NEXT) | instid1(VALU_DEP_2)
	v_mul_lo_u32 v1, v1, s16
	v_mul_lo_u32 v2, v2, s18
	s_delay_alu instid0(VALU_DEP_1) | instskip(NEXT) | instid1(VALU_DEP_1)
	v_sub_nc_u32_e32 v1, v1, v2
	v_cmp_lt_u32_e64 s4, s20, v1
	v_cmpx_ge_u32_e64 s20, v1
	s_cbranch_execz .LBB1151_13
; %bb.12:
	v_dual_add_nc_u32 v1, s22, v19 :: v_dual_add_nc_u32 v2, s42, v19
	s_delay_alu instid0(VALU_DEP_1) | instskip(NEXT) | instid1(VALU_DEP_2)
	v_mul_lo_u32 v1, v1, s21
	v_mul_lo_u32 v2, v2, s23
	s_delay_alu instid0(VALU_DEP_1) | instskip(NEXT) | instid1(VALU_DEP_1)
	v_sub_nc_u32_e32 v1, v1, v2
	v_cmp_lt_u32_e64 s5, s43, v1
	s_and_b32 s47, s5, exec_lo
.LBB1151_13:
	s_or_b32 exec_lo, exec_lo, s6
	v_dual_add_nc_u32 v1, s17, v16 :: v_dual_add_nc_u32 v2, s19, v16
	s_mov_b32 s49, 0
	s_mov_b32 s48, 0
	s_mov_b32 s7, exec_lo
	s_delay_alu instid0(VALU_DEP_1) | instskip(SKIP_1) | instid1(VALU_DEP_1)
	v_mul_lo_u32 v1, v1, s16
	v_mul_lo_u32 v2, v2, s18
	v_sub_nc_u32_e32 v1, v1, v2
	s_delay_alu instid0(VALU_DEP_1)
	v_cmp_lt_u32_e64 s5, s20, v1
	;; [unrolled: 44-line block ×6, first 2 shown]
	v_cmpx_ge_u32_e64 s20, v1
	s_cbranch_execz .LBB1151_31
; %bb.30:
	v_dual_add_nc_u32 v1, s22, v28 :: v_dual_add_nc_u32 v2, s42, v28
	s_delay_alu instid0(VALU_DEP_1) | instskip(NEXT) | instid1(VALU_DEP_2)
	v_mul_lo_u32 v1, v1, s21
	v_mul_lo_u32 v2, v2, s23
	s_delay_alu instid0(VALU_DEP_1) | instskip(NEXT) | instid1(VALU_DEP_1)
	v_sub_nc_u32_e32 v1, v1, v2
	v_cmp_lt_u32_e64 s14, s43, v1
	s_and_b32 s57, s14, exec_lo
.LBB1151_31:
	s_or_b32 exec_lo, exec_lo, s58
	v_cndmask_b32_e64 v2, 0, 1, s2
	v_cndmask_b32_e64 v4, 0, 1, s4
	v_cndmask_b32_e64 v1, 0, 1, vcc_lo
	v_cndmask_b32_e64 v3, 0, 1, s3
	v_cndmask_b32_e64 v6, 0, 1, s6
	v_lshlrev_b16 v2, 8, v2
	v_lshlrev_b16 v4, 8, v4
	v_cndmask_b32_e64 v8, 0, 1, s8
	v_cndmask_b32_e64 v22, 0, 1, s10
	;; [unrolled: 1-line block ×3, first 2 shown]
	v_or_b32_e32 v1, v1, v2
	v_or_b32_e32 v2, v3, v4
	v_cndmask_b32_e64 v4, 0, 1, s46
	v_cndmask_b32_e64 v5, 0, 1, s5
	;; [unrolled: 1-line block ×4, first 2 shown]
	v_lshlrev_b32_e32 v2, 16, v2
	v_and_b32_e32 v1, 0xffff, v1
	v_cndmask_b32_e64 v33, 0, 1, s50
	v_cndmask_b32_e64 v36, 0, 1, s48
	v_cndmask_b32_e64 v37, 0, 1, s45
	v_cndmask_b32_e64 v39, 0, 1, s44
	v_or_b32_e32 v31, v1, v2
	v_lshlrev_b16 v1, 8, v6
	v_lshlrev_b16 v2, 8, v8
	;; [unrolled: 1-line block ×5, first 2 shown]
	v_cndmask_b32_e64 v7, 0, 1, s7
	v_cndmask_b32_e64 v24, 0, 1, s56
	;; [unrolled: 1-line block ×6, first 2 shown]
	v_lshlrev_b16 v22, 8, v39
	v_or_b32_e32 v4, v37, v4
	v_or_b32_e32 v1, v5, v1
	v_or_b32_e32 v5, v9, v6
	v_or_b32_e32 v6, v23, v8
	v_lshlrev_b16 v8, 8, v36
	v_lshlrev_b16 v9, 8, v33
	v_cndmask_b32_e64 v26, 0, 1, s54
	v_cndmask_b32_e64 v32, 0, 1, s51
	v_lshlrev_b16 v23, 8, v24
	v_or_b32_e32 v3, v3, v8
	v_or_b32_e32 v8, v35, v9
	;; [unrolled: 1-line block ×4, first 2 shown]
	v_lshlrev_b16 v22, 8, v27
	v_and_b32_e32 v5, 0xffff, v5
	v_lshlrev_b32_e32 v4, 16, v4
	v_and_b32_e32 v1, 0xffff, v1
	v_and_b32_e32 v7, 0xffff, v7
	v_or_b32_e32 v9, v32, v22
	v_or_b32_e32 v22, v26, v23
	v_and_b32_e32 v3, 0xffff, v3
	v_dual_lshlrev_b32 v8, 16, v8 :: v_dual_lshlrev_b32 v2, 16, v2
	s_delay_alu instid0(VALU_DEP_4) | instskip(NEXT) | instid1(VALU_DEP_4)
	v_and_b32_e32 v9, 0xffff, v9
	v_lshlrev_b32_e32 v22, 16, v22
	v_lshlrev_b32_e32 v6, 16, v6
	v_cndmask_b32_e64 v34, 0, 1, s55
	v_cndmask_b32_e64 v38, 0, 1, s57
	v_or_b32_e32 v33, v1, v2
	v_or_b32_e32 v37, v7, v4
	;; [unrolled: 1-line block ×5, first 2 shown]
	s_load_b64 s[4:5], s[0:1], 0x78
	s_and_b32 vcc_lo, exec_lo, s52
	s_add_co_i32 s6, s41, 0xd00
	s_cbranch_vccnz .LBB1151_33
	s_branch .LBB1151_110
.LBB1151_32:
                                        ; implicit-def: $vgpr38
                                        ; implicit-def: $vgpr34
                                        ; implicit-def: $vgpr35
                                        ; implicit-def: $vgpr32
                                        ; implicit-def: $vgpr37
                                        ; implicit-def: $vgpr36
                                        ; implicit-def: $vgpr33
                                        ; implicit-def: $vgpr31
	s_load_b64 s[4:5], s[0:1], 0x78
	s_add_co_i32 s6, s41, 0xd00
	s_cbranch_execz .LBB1151_110
.LBB1151_33:
	v_dual_mov_b32 v2, 0 :: v_dual_mov_b32 v1, 0
	s_wait_xcnt 0x0
	s_mov_b32 s1, exec_lo
	v_cmpx_gt_u32_e64 s6, v30
	s_cbranch_execz .LBB1151_37
; %bb.34:
	v_dual_add_nc_u32 v1, s17, v20 :: v_dual_add_nc_u32 v2, s19, v20
	s_mov_b32 s3, 0
	s_mov_b32 s2, exec_lo
	s_delay_alu instid0(VALU_DEP_1) | instskip(NEXT) | instid1(VALU_DEP_2)
	v_mul_lo_u32 v1, v1, s16
	v_mul_lo_u32 v2, v2, s18
	s_delay_alu instid0(VALU_DEP_1) | instskip(NEXT) | instid1(VALU_DEP_1)
	v_sub_nc_u32_e32 v1, v1, v2
	v_cmp_lt_u32_e32 vcc_lo, s20, v1
	v_cmpx_ge_u32_e64 s20, v1
	s_cbranch_execz .LBB1151_36
; %bb.35:
	v_dual_add_nc_u32 v1, s22, v20 :: v_dual_add_nc_u32 v2, s42, v20
	s_delay_alu instid0(VALU_DEP_1) | instskip(NEXT) | instid1(VALU_DEP_2)
	v_mul_lo_u32 v1, v1, s21
	v_mul_lo_u32 v2, v2, s23
	s_delay_alu instid0(VALU_DEP_1) | instskip(NEXT) | instid1(VALU_DEP_1)
	v_sub_nc_u32_e32 v1, v1, v2
	v_cmp_lt_u32_e64 s0, s43, v1
	s_and_b32 s3, s0, exec_lo
.LBB1151_36:
	s_or_b32 exec_lo, exec_lo, s2
	v_cndmask_b32_e64 v2, 0, 1, s3
	v_cndmask_b32_e64 v1, 0, 1, vcc_lo
.LBB1151_37:
	s_or_b32 exec_lo, exec_lo, s1
	s_delay_alu instid0(VALU_DEP_2) | instskip(SKIP_2) | instid1(VALU_DEP_3)
	v_lshlrev_b16 v2, 8, v2
	v_add_nc_u32_e32 v3, 1, v30
	v_lshlrev_b16 v9, 8, 0
                                        ; implicit-def: $vgpr5
                                        ; implicit-def: $vgpr7
                                        ; implicit-def: $vgpr4
                                        ; implicit-def: $vgpr8
	v_and_b32_e32 v6, 0xffff, v2
	s_delay_alu instid0(VALU_DEP_3) | instskip(NEXT) | instid1(VALU_DEP_2)
	v_cmp_le_u32_e32 vcc_lo, s6, v3
                                        ; implicit-def: $vgpr3
                                        ; implicit-def: $vgpr2
	v_lshrrev_b32_e32 v22, 8, v6
	s_and_saveexec_b32 s0, vcc_lo
	s_delay_alu instid0(SALU_CYCLE_1)
	s_xor_b32 s0, exec_lo, s0
	s_cbranch_execz .LBB1151_39
; %bb.38:
	s_delay_alu instid0(VALU_DEP_1) | instskip(SKIP_3) | instid1(VALU_DEP_4)
	v_lshlrev_b16 v2, 8, v22
	v_bitop3_b16 v3, 0, v9, 0xff bitop3:0xec
	v_and_b32_e32 v8, 0xff, v1
                                        ; implicit-def: $vgpr1
                                        ; implicit-def: $vgpr9
                                        ; implicit-def: $vgpr22
	v_mov_b32_e32 v5, 0
	v_bitop3_b16 v6, v6, v2, 0xff bitop3:0xec
	v_mov_b32_e32 v2, 0
	v_and_b32_e32 v4, 0xffff, v3
	v_and_b32_e32 v3, 0xffff, v3
	s_delay_alu instid0(VALU_DEP_4)
	v_and_b32_e32 v7, 0xffff, v6
                                        ; implicit-def: $vgpr6
.LBB1151_39:
	s_and_not1_saveexec_b32 s1, s0
	s_cbranch_execz .LBB1151_43
; %bb.40:
	v_dual_add_nc_u32 v2, s17, v21 :: v_dual_add_nc_u32 v3, s19, v21
	s_mov_b32 s2, 0
	s_mov_b32 s3, exec_lo
	s_delay_alu instid0(VALU_DEP_1) | instskip(NEXT) | instid1(VALU_DEP_2)
	v_mul_lo_u32 v2, v2, s16
	v_mul_lo_u32 v3, v3, s18
	s_delay_alu instid0(VALU_DEP_1) | instskip(NEXT) | instid1(VALU_DEP_1)
	v_sub_nc_u32_e32 v2, v2, v3
	v_cmp_lt_u32_e32 vcc_lo, s20, v2
	v_cmpx_ge_u32_e64 s20, v2
	s_cbranch_execz .LBB1151_42
; %bb.41:
	v_dual_add_nc_u32 v2, s22, v21 :: v_dual_add_nc_u32 v3, s42, v21
	s_delay_alu instid0(VALU_DEP_1) | instskip(NEXT) | instid1(VALU_DEP_2)
	v_mul_lo_u32 v2, v2, s21
	v_mul_lo_u32 v3, v3, s23
	s_delay_alu instid0(VALU_DEP_1) | instskip(NEXT) | instid1(VALU_DEP_1)
	v_sub_nc_u32_e32 v2, v2, v3
	v_cmp_lt_u32_e64 s0, s43, v2
	s_and_b32 s2, s0, exec_lo
.LBB1151_42:
	s_or_b32 exec_lo, exec_lo, s3
	v_cndmask_b32_e64 v2, 0, 1, vcc_lo
	v_lshlrev_b16 v3, 8, v22
	v_cndmask_b32_e64 v7, 0, 1, s2
	v_mov_b32_e32 v5, 0
	s_delay_alu instid0(VALU_DEP_4) | instskip(NEXT) | instid1(VALU_DEP_4)
	v_lshlrev_b16 v2, 8, v2
	v_bitop3_b16 v3, v6, v3, 0xff bitop3:0xec
	v_bitop3_b16 v6, 0, v9, 0xff bitop3:0xec
	s_delay_alu instid0(VALU_DEP_3) | instskip(NEXT) | instid1(VALU_DEP_3)
	v_bitop3_b16 v1, v1, v2, 0xff bitop3:0xec
	v_and_b32_e32 v3, 0xffff, v3
	v_mov_b32_e32 v2, 0
	s_delay_alu instid0(VALU_DEP_4) | instskip(NEXT) | instid1(VALU_DEP_4)
	v_and_b32_e32 v4, 0xffff, v6
	v_and_b32_e32 v8, 0xffff, v1
	s_delay_alu instid0(VALU_DEP_4)
	v_lshl_or_b32 v7, v7, 16, v3
	v_and_b32_e32 v3, 0xffff, v6
.LBB1151_43:
	s_or_b32 exec_lo, exec_lo, s1
	s_delay_alu instid0(VALU_DEP_3) | instskip(NEXT) | instid1(VALU_DEP_1)
	v_dual_add_nc_u32 v1, 2, v30 :: v_dual_lshrrev_b32 v9, 8, v8
                                        ; implicit-def: $vgpr6
	v_cmp_le_u32_e32 vcc_lo, s6, v1
                                        ; implicit-def: $vgpr1
	s_and_saveexec_b32 s0, vcc_lo
	s_delay_alu instid0(SALU_CYCLE_1)
	s_xor_b32 s0, exec_lo, s0
	s_cbranch_execz .LBB1151_45
; %bb.44:
	v_lshlrev_b16 v1, 8, v9
	v_and_b32_e32 v9, 0xff0000, v7
	v_perm_b32 v4, v4, v4, 0x3060504
	s_delay_alu instid0(VALU_DEP_3) | instskip(NEXT) | instid1(VALU_DEP_1)
	v_bitop3_b16 v1, v8, v1, 0xff bitop3:0xec
	v_and_b32_e32 v1, 0xffff, v1
	s_delay_alu instid0(VALU_DEP_1)
	v_and_or_b32 v6, 0xff000000, v8, v1
	v_perm_b32 v1, v7, v9, 0x3020504
                                        ; implicit-def: $vgpr9
                                        ; implicit-def: $vgpr8
                                        ; implicit-def: $vgpr7
.LBB1151_45:
	s_and_not1_saveexec_b32 s1, s0
	s_cbranch_execz .LBB1151_49
; %bb.46:
	v_dual_add_nc_u32 v1, s17, v18 :: v_dual_add_nc_u32 v6, s19, v18
	s_mov_b32 s2, 0
	s_mov_b32 s3, exec_lo
	s_delay_alu instid0(VALU_DEP_1) | instskip(NEXT) | instid1(VALU_DEP_2)
	v_mul_lo_u32 v1, v1, s16
	v_mul_lo_u32 v6, v6, s18
	s_delay_alu instid0(VALU_DEP_1) | instskip(NEXT) | instid1(VALU_DEP_1)
	v_sub_nc_u32_e32 v1, v1, v6
	v_cmp_lt_u32_e32 vcc_lo, s20, v1
	v_cmpx_ge_u32_e64 s20, v1
	s_cbranch_execz .LBB1151_48
; %bb.47:
	v_dual_add_nc_u32 v1, s22, v18 :: v_dual_add_nc_u32 v6, s42, v18
	s_delay_alu instid0(VALU_DEP_1) | instskip(NEXT) | instid1(VALU_DEP_2)
	v_mul_lo_u32 v1, v1, s21
	v_mul_lo_u32 v6, v6, s23
	s_delay_alu instid0(VALU_DEP_1) | instskip(NEXT) | instid1(VALU_DEP_1)
	v_sub_nc_u32_e32 v1, v1, v6
	v_cmp_lt_u32_e64 s0, s43, v1
	s_and_b32 s2, s0, exec_lo
.LBB1151_48:
	s_or_b32 exec_lo, exec_lo, s3
	v_dual_lshrrev_b32 v1, 24, v8 :: v_dual_lshrrev_b32 v23, 8, v7
	v_cndmask_b32_e64 v6, 0, 1, s2
	v_cndmask_b32_e64 v22, 0, 1, vcc_lo
	v_lshlrev_b16 v9, 8, v9
	s_delay_alu instid0(VALU_DEP_4)
	v_lshlrev_b16 v1, 8, v1
	v_lshrrev_b32_e32 v24, 16, v7
	v_lshlrev_b16 v6, 8, v6
	v_lshlrev_b16 v23, 8, v23
	v_bitop3_b16 v8, v8, v9, 0xff bitop3:0xec
	v_or_b32_e32 v1, v22, v1
	s_delay_alu instid0(VALU_DEP_4) | instskip(NEXT) | instid1(VALU_DEP_4)
	v_bitop3_b16 v6, v24, v6, 0xff bitop3:0xec
	v_bitop3_b16 v7, v7, v23, 0xff bitop3:0xec
	s_delay_alu instid0(VALU_DEP_4) | instskip(NEXT) | instid1(VALU_DEP_3)
	v_and_b32_e32 v8, 0xffff, v8
	v_dual_lshlrev_b32 v1, 16, v1 :: v_dual_lshlrev_b32 v9, 16, v6
	s_delay_alu instid0(VALU_DEP_3) | instskip(NEXT) | instid1(VALU_DEP_2)
	v_and_b32_e32 v7, 0xffff, v7
	v_or_b32_e32 v6, v8, v1
	s_delay_alu instid0(VALU_DEP_2)
	v_or_b32_e32 v1, v7, v9
.LBB1151_49:
	s_or_b32 exec_lo, exec_lo, s1
	v_dual_add_nc_u32 v8, 3, v30 :: v_dual_lshrrev_b32 v9, 24, v5
	v_lshrrev_b32_e32 v7, 16, v5
                                        ; implicit-def: $vgpr31
	s_delay_alu instid0(VALU_DEP_2) | instskip(SKIP_2) | instid1(SALU_CYCLE_1)
	v_cmp_le_u32_e32 vcc_lo, s6, v8
	v_lshrrev_b32_e32 v8, 8, v5
                                        ; implicit-def: $vgpr5
	s_and_saveexec_b32 s0, vcc_lo
	s_xor_b32 s0, exec_lo, s0
	s_cbranch_execz .LBB1151_51
; %bb.50:
	v_lshlrev_b16 v5, 8, v9
	v_lshlrev_b16 v8, 8, v8
	v_perm_b32 v4, v4, v4, 0x3060504
	v_perm_b32 v3, v3, v3, 0x3060504
                                        ; implicit-def: $vgpr9
	s_delay_alu instid0(VALU_DEP_4) | instskip(SKIP_2) | instid1(VALU_DEP_3)
	v_bitop3_b16 v5, v7, v5, 0xff bitop3:0xec
	v_and_b32_e32 v7, 0xff0000, v6
	v_and_b32_e32 v8, 0xffff, v8
	v_lshlrev_b32_e32 v5, 16, v5
	s_delay_alu instid0(VALU_DEP_3) | instskip(NEXT) | instid1(VALU_DEP_2)
	v_perm_b32 v31, v6, v7, 0x3020504
                                        ; implicit-def: $vgpr6
                                        ; implicit-def: $vgpr7
	v_or_b32_e32 v5, v8, v5
                                        ; implicit-def: $vgpr8
.LBB1151_51:
	s_and_not1_saveexec_b32 s1, s0
	s_cbranch_execz .LBB1151_55
; %bb.52:
	v_dual_add_nc_u32 v5, s17, v19 :: v_dual_add_nc_u32 v22, s19, v19
	s_mov_b32 s2, 0
	s_mov_b32 s3, exec_lo
	s_delay_alu instid0(VALU_DEP_1) | instskip(NEXT) | instid1(VALU_DEP_2)
	v_mul_lo_u32 v5, v5, s16
	v_mul_lo_u32 v22, v22, s18
	s_delay_alu instid0(VALU_DEP_1) | instskip(NEXT) | instid1(VALU_DEP_1)
	v_sub_nc_u32_e32 v5, v5, v22
	v_cmp_lt_u32_e32 vcc_lo, s20, v5
	v_cmpx_ge_u32_e64 s20, v5
	s_cbranch_execz .LBB1151_54
; %bb.53:
	v_dual_add_nc_u32 v5, s22, v19 :: v_dual_add_nc_u32 v22, s42, v19
	s_delay_alu instid0(VALU_DEP_1) | instskip(NEXT) | instid1(VALU_DEP_2)
	v_mul_lo_u32 v5, v5, s21
	v_mul_lo_u32 v22, v22, s23
	s_delay_alu instid0(VALU_DEP_1) | instskip(NEXT) | instid1(VALU_DEP_1)
	v_sub_nc_u32_e32 v5, v5, v22
	v_cmp_lt_u32_e64 s0, s43, v5
	s_and_b32 s2, s0, exec_lo
.LBB1151_54:
	s_or_b32 exec_lo, exec_lo, s3
	v_cndmask_b32_e64 v5, 0, 1, vcc_lo
	v_dual_lshrrev_b32 v22, 8, v6 :: v_dual_lshrrev_b32 v24, 16, v6
	v_cndmask_b32_e64 v23, 0, 1, s2
	v_lshlrev_b16 v9, 8, v9
	s_delay_alu instid0(VALU_DEP_4) | instskip(NEXT) | instid1(VALU_DEP_4)
	v_lshlrev_b16 v5, 8, v5
	v_lshlrev_b16 v22, 8, v22
	;; [unrolled: 1-line block ×3, first 2 shown]
	s_delay_alu instid0(VALU_DEP_4) | instskip(NEXT) | instid1(VALU_DEP_4)
	v_bitop3_b16 v7, v7, v9, 0xff bitop3:0xec
	v_bitop3_b16 v5, v24, v5, 0xff bitop3:0xec
	s_delay_alu instid0(VALU_DEP_4) | instskip(NEXT) | instid1(VALU_DEP_3)
	v_bitop3_b16 v6, v6, v22, 0xff bitop3:0xec
	v_dual_lshlrev_b32 v7, 16, v7 :: v_dual_bitop2_b32 v8, v23, v8 bitop3:0x54
	s_delay_alu instid0(VALU_DEP_3) | instskip(NEXT) | instid1(VALU_DEP_3)
	v_lshlrev_b32_e32 v5, 16, v5
	v_and_b32_e32 v6, 0xffff, v6
	s_delay_alu instid0(VALU_DEP_3) | instskip(NEXT) | instid1(VALU_DEP_2)
	v_and_b32_e32 v8, 0xffff, v8
	v_or_b32_e32 v31, v6, v5
	s_delay_alu instid0(VALU_DEP_2)
	v_or_b32_e32 v5, v8, v7
.LBB1151_55:
	s_or_b32 exec_lo, exec_lo, s1
	v_dual_add_nc_u32 v6, 4, v30 :: v_dual_lshrrev_b32 v22, 8, v4
	v_dual_lshrrev_b32 v7, 16, v4 :: v_dual_lshrrev_b32 v23, 24, v4
	s_delay_alu instid0(VALU_DEP_3) | instskip(NEXT) | instid1(VALU_DEP_3)
	v_dual_lshrrev_b32 v9, 24, v5 :: v_dual_lshrrev_b32 v8, 16, v5
	v_cmp_le_u32_e32 vcc_lo, s6, v6
                                        ; implicit-def: $vgpr4
                                        ; implicit-def: $vgpr6
	s_and_saveexec_b32 s0, vcc_lo
	s_delay_alu instid0(SALU_CYCLE_1)
	s_xor_b32 s0, exec_lo, s0
	s_cbranch_execz .LBB1151_57
; %bb.56:
	v_lshlrev_b16 v4, 8, v23
	v_lshlrev_b16 v6, 8, v22
	;; [unrolled: 1-line block ×3, first 2 shown]
	v_perm_b32 v3, v3, v3, 0x3060504
                                        ; implicit-def: $vgpr22
                                        ; implicit-def: $vgpr23
	s_delay_alu instid0(VALU_DEP_4) | instskip(NEXT) | instid1(VALU_DEP_4)
	v_bitop3_b16 v4, v7, v4, 0xff bitop3:0xec
	v_and_b32_e32 v6, 0xffff, v6
	s_delay_alu instid0(VALU_DEP_4) | instskip(NEXT) | instid1(VALU_DEP_3)
	v_bitop3_b16 v7, v8, v9, 0xff bitop3:0xec
                                        ; implicit-def: $vgpr9
	v_lshlrev_b32_e32 v8, 16, v4
	s_delay_alu instid0(VALU_DEP_2) | instskip(NEXT) | instid1(VALU_DEP_2)
	v_perm_b32 v4, v7, v5, 0x5040c00
                                        ; implicit-def: $vgpr5
                                        ; implicit-def: $vgpr7
	v_or_b32_e32 v6, v6, v8
                                        ; implicit-def: $vgpr8
.LBB1151_57:
	s_and_not1_saveexec_b32 s1, s0
	s_cbranch_execz .LBB1151_61
; %bb.58:
	v_dual_add_nc_u32 v4, s17, v16 :: v_dual_add_nc_u32 v6, s19, v16
	s_mov_b32 s2, 0
	s_mov_b32 s3, exec_lo
	s_delay_alu instid0(VALU_DEP_1) | instskip(NEXT) | instid1(VALU_DEP_2)
	v_mul_lo_u32 v4, v4, s16
	v_mul_lo_u32 v6, v6, s18
	s_delay_alu instid0(VALU_DEP_1) | instskip(NEXT) | instid1(VALU_DEP_1)
	v_sub_nc_u32_e32 v4, v4, v6
	v_cmp_lt_u32_e32 vcc_lo, s20, v4
	v_cmpx_ge_u32_e64 s20, v4
	s_cbranch_execz .LBB1151_60
; %bb.59:
	v_dual_add_nc_u32 v4, s22, v16 :: v_dual_add_nc_u32 v6, s42, v16
	s_delay_alu instid0(VALU_DEP_1) | instskip(NEXT) | instid1(VALU_DEP_2)
	v_mul_lo_u32 v4, v4, s21
	v_mul_lo_u32 v6, v6, s23
	s_delay_alu instid0(VALU_DEP_1) | instskip(NEXT) | instid1(VALU_DEP_1)
	v_sub_nc_u32_e32 v4, v4, v6
	v_cmp_lt_u32_e64 s0, s43, v4
	s_and_b32 s2, s0, exec_lo
.LBB1151_60:
	s_or_b32 exec_lo, exec_lo, s3
	v_cndmask_b32_e64 v4, 0, 1, s2
	v_cndmask_b32_e64 v6, 0, 1, vcc_lo
	v_lshlrev_b16 v23, 8, v23
	v_lshlrev_b16 v22, 8, v22
	;; [unrolled: 1-line block ×4, first 2 shown]
	s_delay_alu instid0(VALU_DEP_4) | instskip(NEXT) | instid1(VALU_DEP_4)
	v_bitop3_b16 v7, v7, v23, 0xff bitop3:0xec
	v_or_b32_e32 v6, v6, v22
	s_delay_alu instid0(VALU_DEP_4) | instskip(NEXT) | instid1(VALU_DEP_4)
	v_bitop3_b16 v8, v8, v9, 0xff bitop3:0xec
	v_bitop3_b16 v4, v5, v4, 0xff bitop3:0xec
	s_delay_alu instid0(VALU_DEP_4) | instskip(NEXT) | instid1(VALU_DEP_4)
	v_lshlrev_b32_e32 v5, 16, v7
	v_and_b32_e32 v6, 0xffff, v6
	s_delay_alu instid0(VALU_DEP_4) | instskip(NEXT) | instid1(VALU_DEP_4)
	v_lshlrev_b32_e32 v7, 16, v8
	v_and_b32_e32 v4, 0xffff, v4
	s_delay_alu instid0(VALU_DEP_3) | instskip(NEXT) | instid1(VALU_DEP_2)
	v_or_b32_e32 v6, v6, v5
	v_or_b32_e32 v4, v4, v7
.LBB1151_61:
	s_or_b32 exec_lo, exec_lo, s1
	s_delay_alu instid0(VALU_DEP_1) | instskip(NEXT) | instid1(VALU_DEP_2)
	v_dual_add_nc_u32 v5, 5, v30 :: v_dual_lshrrev_b32 v22, 8, v4
	v_dual_lshrrev_b32 v8, 16, v6 :: v_dual_lshrrev_b32 v9, 24, v6
                                        ; implicit-def: $vgpr7
	s_delay_alu instid0(VALU_DEP_2) | instskip(SKIP_1) | instid1(SALU_CYCLE_1)
	v_cmp_le_u32_e32 vcc_lo, s6, v5
                                        ; implicit-def: $vgpr5
	s_and_saveexec_b32 s0, vcc_lo
	s_xor_b32 s0, exec_lo, s0
	s_cbranch_execz .LBB1151_63
; %bb.62:
	v_lshlrev_b16 v5, 8, v22
	v_lshlrev_b16 v7, 8, v9
	v_perm_b32 v3, v3, v3, 0x3060504
                                        ; implicit-def: $vgpr9
                                        ; implicit-def: $vgpr22
	s_delay_alu instid0(VALU_DEP_3) | instskip(NEXT) | instid1(VALU_DEP_3)
	v_bitop3_b16 v5, v4, v5, 0xff bitop3:0xec
	v_bitop3_b16 v7, v8, v7, 0xff bitop3:0xec
                                        ; implicit-def: $vgpr8
	s_delay_alu instid0(VALU_DEP_2) | instskip(NEXT) | instid1(VALU_DEP_2)
	v_and_b32_e32 v5, 0xffff, v5
	v_perm_b32 v7, v7, v6, 0x5040c00
                                        ; implicit-def: $vgpr6
	s_delay_alu instid0(VALU_DEP_2)
	v_and_or_b32 v5, 0xff000000, v4, v5
                                        ; implicit-def: $vgpr4
.LBB1151_63:
	s_and_not1_saveexec_b32 s1, s0
	s_cbranch_execz .LBB1151_67
; %bb.64:
	v_dual_add_nc_u32 v5, s17, v17 :: v_dual_add_nc_u32 v7, s19, v17
	s_mov_b32 s2, 0
	s_mov_b32 s3, exec_lo
	s_delay_alu instid0(VALU_DEP_1) | instskip(NEXT) | instid1(VALU_DEP_2)
	v_mul_lo_u32 v5, v5, s16
	v_mul_lo_u32 v7, v7, s18
	s_delay_alu instid0(VALU_DEP_1) | instskip(NEXT) | instid1(VALU_DEP_1)
	v_sub_nc_u32_e32 v5, v5, v7
	v_cmp_lt_u32_e32 vcc_lo, s20, v5
	v_cmpx_ge_u32_e64 s20, v5
	s_cbranch_execz .LBB1151_66
; %bb.65:
	v_dual_add_nc_u32 v5, s22, v17 :: v_dual_add_nc_u32 v7, s42, v17
	s_delay_alu instid0(VALU_DEP_1) | instskip(NEXT) | instid1(VALU_DEP_2)
	v_mul_lo_u32 v5, v5, s21
	v_mul_lo_u32 v7, v7, s23
	s_delay_alu instid0(VALU_DEP_1) | instskip(NEXT) | instid1(VALU_DEP_1)
	v_sub_nc_u32_e32 v5, v5, v7
	v_cmp_lt_u32_e64 s0, s43, v5
	s_and_b32 s2, s0, exec_lo
.LBB1151_66:
	s_or_b32 exec_lo, exec_lo, s3
	v_cndmask_b32_e64 v5, 0, 1, vcc_lo
	v_lshrrev_b32_e32 v7, 24, v4
	v_cndmask_b32_e64 v23, 0, 1, s2
	v_lshlrev_b16 v9, 8, v9
	v_lshlrev_b16 v22, 8, v22
	;; [unrolled: 1-line block ×4, first 2 shown]
	s_delay_alu instid0(VALU_DEP_4) | instskip(NEXT) | instid1(VALU_DEP_4)
	v_bitop3_b16 v8, v8, v9, 0xff bitop3:0xec
	v_bitop3_b16 v4, v4, v22, 0xff bitop3:0xec
	s_delay_alu instid0(VALU_DEP_4) | instskip(NEXT) | instid1(VALU_DEP_3)
	v_bitop3_b16 v5, v6, v5, 0xff bitop3:0xec
	v_dual_lshlrev_b32 v7, 16, v8 :: v_dual_bitop2_b32 v6, v23, v7 bitop3:0x54
	s_delay_alu instid0(VALU_DEP_3) | instskip(NEXT) | instid1(VALU_DEP_3)
	v_and_b32_e32 v4, 0xffff, v4
	v_and_b32_e32 v5, 0xffff, v5
	s_delay_alu instid0(VALU_DEP_1) | instskip(NEXT) | instid1(VALU_DEP_1)
	v_dual_lshlrev_b32 v6, 16, v6 :: v_dual_bitop2_b32 v7, v5, v7 bitop3:0x54
	v_or_b32_e32 v5, v4, v6
.LBB1151_67:
	s_or_b32 exec_lo, exec_lo, s1
	s_delay_alu instid0(VALU_DEP_2) | instskip(NEXT) | instid1(VALU_DEP_1)
	v_dual_add_nc_u32 v4, 6, v30 :: v_dual_lshrrev_b32 v6, 8, v7
                                        ; implicit-def: $vgpr32
	v_cmp_le_u32_e32 vcc_lo, s6, v4
                                        ; implicit-def: $vgpr4
	s_and_saveexec_b32 s0, vcc_lo
	s_delay_alu instid0(SALU_CYCLE_1)
	s_xor_b32 s0, exec_lo, s0
	s_cbranch_execz .LBB1151_69
; %bb.68:
	v_lshlrev_b16 v4, 8, v6
	v_and_b32_e32 v6, 0xff0000, v5
	v_perm_b32 v3, v3, v3, 0x3060504
	s_delay_alu instid0(VALU_DEP_3) | instskip(NEXT) | instid1(VALU_DEP_3)
	v_bitop3_b16 v4, v7, v4, 0xff bitop3:0xec
	v_perm_b32 v32, v5, v6, 0x3020504
                                        ; implicit-def: $vgpr6
                                        ; implicit-def: $vgpr5
	s_delay_alu instid0(VALU_DEP_2) | instskip(NEXT) | instid1(VALU_DEP_1)
	v_and_b32_e32 v4, 0xffff, v4
	v_and_or_b32 v4, 0xff000000, v7, v4
                                        ; implicit-def: $vgpr7
.LBB1151_69:
	s_and_not1_saveexec_b32 s1, s0
	s_cbranch_execz .LBB1151_73
; %bb.70:
	v_dual_add_nc_u32 v4, s17, v14 :: v_dual_add_nc_u32 v8, s19, v14
	s_mov_b32 s2, 0
	s_mov_b32 s3, exec_lo
	s_delay_alu instid0(VALU_DEP_1) | instskip(NEXT) | instid1(VALU_DEP_2)
	v_mul_lo_u32 v4, v4, s16
	v_mul_lo_u32 v8, v8, s18
	s_delay_alu instid0(VALU_DEP_1) | instskip(NEXT) | instid1(VALU_DEP_1)
	v_sub_nc_u32_e32 v4, v4, v8
	v_cmp_lt_u32_e32 vcc_lo, s20, v4
	v_cmpx_ge_u32_e64 s20, v4
	s_cbranch_execz .LBB1151_72
; %bb.71:
	v_dual_add_nc_u32 v4, s22, v14 :: v_dual_add_nc_u32 v8, s42, v14
	s_delay_alu instid0(VALU_DEP_1) | instskip(NEXT) | instid1(VALU_DEP_2)
	v_mul_lo_u32 v4, v4, s21
	v_mul_lo_u32 v8, v8, s23
	s_delay_alu instid0(VALU_DEP_1) | instskip(NEXT) | instid1(VALU_DEP_1)
	v_sub_nc_u32_e32 v4, v4, v8
	v_cmp_lt_u32_e64 s0, s43, v4
	s_and_b32 s2, s0, exec_lo
.LBB1151_72:
	s_or_b32 exec_lo, exec_lo, s3
	v_dual_lshrrev_b32 v4, 24, v7 :: v_dual_lshrrev_b32 v22, 8, v5
	v_cndmask_b32_e64 v8, 0, 1, s2
	v_cndmask_b32_e64 v9, 0, 1, vcc_lo
	v_lshlrev_b16 v6, 8, v6
	s_delay_alu instid0(VALU_DEP_4)
	v_lshlrev_b16 v4, 8, v4
	v_lshrrev_b32_e32 v23, 16, v5
	v_lshlrev_b16 v8, 8, v8
	v_lshlrev_b16 v22, 8, v22
	v_bitop3_b16 v6, v7, v6, 0xff bitop3:0xec
	v_or_b32_e32 v4, v9, v4
	s_delay_alu instid0(VALU_DEP_4) | instskip(NEXT) | instid1(VALU_DEP_4)
	v_bitop3_b16 v7, v23, v8, 0xff bitop3:0xec
	v_bitop3_b16 v5, v5, v22, 0xff bitop3:0xec
	s_delay_alu instid0(VALU_DEP_4) | instskip(NEXT) | instid1(VALU_DEP_3)
	v_and_b32_e32 v6, 0xffff, v6
	v_dual_lshlrev_b32 v4, 16, v4 :: v_dual_lshlrev_b32 v7, 16, v7
	s_delay_alu instid0(VALU_DEP_3) | instskip(NEXT) | instid1(VALU_DEP_2)
	v_and_b32_e32 v5, 0xffff, v5
	v_or_b32_e32 v4, v6, v4
	s_delay_alu instid0(VALU_DEP_2)
	v_or_b32_e32 v32, v5, v7
.LBB1151_73:
	s_or_b32 exec_lo, exec_lo, s1
	v_dual_add_nc_u32 v7, 7, v30 :: v_dual_lshrrev_b32 v5, 8, v3
	v_lshrrev_b32_e32 v6, 16, v3
                                        ; implicit-def: $vgpr33
	s_delay_alu instid0(VALU_DEP_2) | instskip(SKIP_2) | instid1(SALU_CYCLE_1)
	v_cmp_le_u32_e32 vcc_lo, s6, v7
	v_lshrrev_b32_e32 v7, 24, v3
                                        ; implicit-def: $vgpr3
	s_and_saveexec_b32 s0, vcc_lo
	s_xor_b32 s0, exec_lo, s0
	s_cbranch_execz .LBB1151_75
; %bb.74:
	s_delay_alu instid0(VALU_DEP_1) | instskip(SKIP_1) | instid1(VALU_DEP_2)
	v_lshlrev_b16 v3, 8, v7
	v_lshlrev_b16 v5, 8, v5
                                        ; implicit-def: $vgpr7
	v_bitop3_b16 v3, v6, v3, 0xff bitop3:0xec
	v_and_b32_e32 v6, 0xff0000, v4
	s_delay_alu instid0(VALU_DEP_3) | instskip(NEXT) | instid1(VALU_DEP_3)
	v_and_b32_e32 v5, 0xffff, v5
	v_lshlrev_b32_e32 v3, 16, v3
	s_delay_alu instid0(VALU_DEP_3) | instskip(NEXT) | instid1(VALU_DEP_2)
	v_perm_b32 v33, v4, v6, 0x3020504
                                        ; implicit-def: $vgpr4
                                        ; implicit-def: $vgpr6
	v_or_b32_e32 v3, v5, v3
                                        ; implicit-def: $vgpr5
.LBB1151_75:
	s_and_not1_saveexec_b32 s1, s0
	s_cbranch_execz .LBB1151_79
; %bb.76:
	v_dual_add_nc_u32 v3, s17, v15 :: v_dual_add_nc_u32 v8, s19, v15
	s_mov_b32 s2, 0
	s_mov_b32 s3, exec_lo
	s_delay_alu instid0(VALU_DEP_1) | instskip(NEXT) | instid1(VALU_DEP_2)
	v_mul_lo_u32 v3, v3, s16
	v_mul_lo_u32 v8, v8, s18
	s_delay_alu instid0(VALU_DEP_1) | instskip(NEXT) | instid1(VALU_DEP_1)
	v_sub_nc_u32_e32 v3, v3, v8
	v_cmp_lt_u32_e32 vcc_lo, s20, v3
	v_cmpx_ge_u32_e64 s20, v3
	s_cbranch_execz .LBB1151_78
; %bb.77:
	v_dual_add_nc_u32 v3, s22, v15 :: v_dual_add_nc_u32 v8, s42, v15
	s_delay_alu instid0(VALU_DEP_1) | instskip(NEXT) | instid1(VALU_DEP_2)
	v_mul_lo_u32 v3, v3, s21
	v_mul_lo_u32 v8, v8, s23
	s_delay_alu instid0(VALU_DEP_1) | instskip(NEXT) | instid1(VALU_DEP_1)
	v_sub_nc_u32_e32 v3, v3, v8
	v_cmp_lt_u32_e64 s0, s43, v3
	s_and_b32 s2, s0, exec_lo
.LBB1151_78:
	s_or_b32 exec_lo, exec_lo, s3
	v_cndmask_b32_e64 v3, 0, 1, vcc_lo
	v_dual_lshrrev_b32 v8, 8, v4 :: v_dual_lshrrev_b32 v22, 16, v4
	v_cndmask_b32_e64 v9, 0, 1, s2
	v_lshlrev_b16 v7, 8, v7
	s_delay_alu instid0(VALU_DEP_4) | instskip(NEXT) | instid1(VALU_DEP_4)
	v_lshlrev_b16 v3, 8, v3
	v_lshlrev_b16 v8, 8, v8
	v_lshlrev_b16 v5, 8, v5
	s_delay_alu instid0(VALU_DEP_4) | instskip(NEXT) | instid1(VALU_DEP_4)
	v_bitop3_b16 v6, v6, v7, 0xff bitop3:0xec
	v_bitop3_b16 v3, v22, v3, 0xff bitop3:0xec
	s_delay_alu instid0(VALU_DEP_4) | instskip(NEXT) | instid1(VALU_DEP_3)
	v_bitop3_b16 v4, v4, v8, 0xff bitop3:0xec
	v_dual_lshlrev_b32 v6, 16, v6 :: v_dual_bitop2_b32 v5, v9, v5 bitop3:0x54
	s_delay_alu instid0(VALU_DEP_3) | instskip(NEXT) | instid1(VALU_DEP_3)
	v_lshlrev_b32_e32 v3, 16, v3
	v_and_b32_e32 v4, 0xffff, v4
	s_delay_alu instid0(VALU_DEP_3) | instskip(NEXT) | instid1(VALU_DEP_2)
	v_and_b32_e32 v5, 0xffff, v5
	v_or_b32_e32 v33, v4, v3
	s_delay_alu instid0(VALU_DEP_2)
	v_or_b32_e32 v3, v5, v6
.LBB1151_79:
	s_or_b32 exec_lo, exec_lo, s1
	s_delay_alu instid0(VALU_DEP_1) | instskip(SKIP_2) | instid1(VALU_DEP_3)
	v_dual_add_nc_u32 v4, 8, v30 :: v_dual_lshrrev_b32 v5, 16, v3
	v_dual_lshrrev_b32 v6, 24, v3 :: v_dual_lshrrev_b32 v9, 24, v2
	v_dual_lshrrev_b32 v7, 16, v2 :: v_dual_lshrrev_b32 v8, 8, v2
	v_cmp_le_u32_e32 vcc_lo, s6, v4
                                        ; implicit-def: $vgpr2
                                        ; implicit-def: $vgpr4
	s_and_saveexec_b32 s0, vcc_lo
	s_delay_alu instid0(SALU_CYCLE_1)
	s_xor_b32 s0, exec_lo, s0
	s_cbranch_execz .LBB1151_81
; %bb.80:
	v_lshlrev_b16 v2, 8, v9
	v_lshlrev_b16 v4, 8, v8
	;; [unrolled: 1-line block ×3, first 2 shown]
	v_perm_b32 v1, v1, v1, 0x3060504
                                        ; implicit-def: $vgpr9
                                        ; implicit-def: $vgpr8
	s_delay_alu instid0(VALU_DEP_4) | instskip(NEXT) | instid1(VALU_DEP_4)
	v_bitop3_b16 v2, v7, v2, 0xff bitop3:0xec
	v_and_b32_e32 v4, 0xffff, v4
	s_delay_alu instid0(VALU_DEP_4) | instskip(NEXT) | instid1(VALU_DEP_3)
	v_bitop3_b16 v5, v5, v6, 0xff bitop3:0xec
                                        ; implicit-def: $vgpr6
                                        ; implicit-def: $vgpr7
	v_lshlrev_b32_e32 v2, 16, v2
	s_delay_alu instid0(VALU_DEP_1) | instskip(NEXT) | instid1(VALU_DEP_3)
	v_or_b32_e32 v4, v4, v2
	v_perm_b32 v2, v5, v3, 0x5040c00
                                        ; implicit-def: $vgpr3
                                        ; implicit-def: $vgpr5
.LBB1151_81:
	s_and_not1_saveexec_b32 s1, s0
	s_cbranch_execz .LBB1151_85
; %bb.82:
	v_dual_add_nc_u32 v2, s17, v12 :: v_dual_add_nc_u32 v4, s19, v12
	s_mov_b32 s2, 0
	s_mov_b32 s3, exec_lo
	s_delay_alu instid0(VALU_DEP_1) | instskip(NEXT) | instid1(VALU_DEP_2)
	v_mul_lo_u32 v2, v2, s16
	v_mul_lo_u32 v4, v4, s18
	s_delay_alu instid0(VALU_DEP_1) | instskip(NEXT) | instid1(VALU_DEP_1)
	v_sub_nc_u32_e32 v2, v2, v4
	v_cmp_lt_u32_e32 vcc_lo, s20, v2
	v_cmpx_ge_u32_e64 s20, v2
	s_cbranch_execz .LBB1151_84
; %bb.83:
	v_dual_add_nc_u32 v2, s22, v12 :: v_dual_add_nc_u32 v4, s42, v12
	s_delay_alu instid0(VALU_DEP_1) | instskip(NEXT) | instid1(VALU_DEP_2)
	v_mul_lo_u32 v2, v2, s21
	v_mul_lo_u32 v4, v4, s23
	s_delay_alu instid0(VALU_DEP_1) | instskip(NEXT) | instid1(VALU_DEP_1)
	v_sub_nc_u32_e32 v2, v2, v4
	v_cmp_lt_u32_e64 s0, s43, v2
	s_and_b32 s2, s0, exec_lo
.LBB1151_84:
	s_or_b32 exec_lo, exec_lo, s3
	v_cndmask_b32_e64 v2, 0, 1, s2
	v_cndmask_b32_e64 v4, 0, 1, vcc_lo
	v_lshlrev_b16 v9, 8, v9
	v_lshlrev_b16 v8, 8, v8
	;; [unrolled: 1-line block ×4, first 2 shown]
	s_delay_alu instid0(VALU_DEP_4) | instskip(NEXT) | instid1(VALU_DEP_4)
	v_bitop3_b16 v7, v7, v9, 0xff bitop3:0xec
	v_or_b32_e32 v4, v4, v8
	s_delay_alu instid0(VALU_DEP_4) | instskip(NEXT) | instid1(VALU_DEP_4)
	v_bitop3_b16 v5, v5, v6, 0xff bitop3:0xec
	v_bitop3_b16 v2, v3, v2, 0xff bitop3:0xec
	s_delay_alu instid0(VALU_DEP_4) | instskip(NEXT) | instid1(VALU_DEP_4)
	v_lshlrev_b32_e32 v3, 16, v7
	v_and_b32_e32 v4, 0xffff, v4
	s_delay_alu instid0(VALU_DEP_4) | instskip(NEXT) | instid1(VALU_DEP_4)
	v_lshlrev_b32_e32 v5, 16, v5
	v_and_b32_e32 v2, 0xffff, v2
	s_delay_alu instid0(VALU_DEP_3) | instskip(NEXT) | instid1(VALU_DEP_2)
	v_or_b32_e32 v4, v4, v3
	v_or_b32_e32 v2, v2, v5
.LBB1151_85:
	s_or_b32 exec_lo, exec_lo, s1
	s_delay_alu instid0(VALU_DEP_2) | instskip(NEXT) | instid1(VALU_DEP_2)
	v_dual_add_nc_u32 v3, 9, v30 :: v_dual_lshrrev_b32 v8, 24, v4
	v_dual_lshrrev_b32 v7, 8, v2 :: v_dual_lshrrev_b32 v6, 16, v4
                                        ; implicit-def: $vgpr5
	s_delay_alu instid0(VALU_DEP_2) | instskip(SKIP_1) | instid1(SALU_CYCLE_1)
	v_cmp_le_u32_e32 vcc_lo, s6, v3
                                        ; implicit-def: $vgpr3
	s_and_saveexec_b32 s0, vcc_lo
	s_xor_b32 s0, exec_lo, s0
	s_cbranch_execz .LBB1151_87
; %bb.86:
	v_lshlrev_b16 v3, 8, v7
	v_lshlrev_b16 v5, 8, v8
	v_perm_b32 v1, v1, v1, 0x3060504
                                        ; implicit-def: $vgpr7
                                        ; implicit-def: $vgpr8
	s_delay_alu instid0(VALU_DEP_3) | instskip(NEXT) | instid1(VALU_DEP_3)
	v_bitop3_b16 v3, v2, v3, 0xff bitop3:0xec
	v_bitop3_b16 v5, v6, v5, 0xff bitop3:0xec
                                        ; implicit-def: $vgpr6
	s_delay_alu instid0(VALU_DEP_2) | instskip(NEXT) | instid1(VALU_DEP_2)
	v_and_b32_e32 v3, 0xffff, v3
	v_perm_b32 v5, v5, v4, 0x5040c00
                                        ; implicit-def: $vgpr4
	s_delay_alu instid0(VALU_DEP_2)
	v_and_or_b32 v3, 0xff000000, v2, v3
                                        ; implicit-def: $vgpr2
.LBB1151_87:
	s_and_not1_saveexec_b32 s1, s0
	s_cbranch_execz .LBB1151_91
; %bb.88:
	v_dual_add_nc_u32 v3, s17, v13 :: v_dual_add_nc_u32 v5, s19, v13
	s_mov_b32 s2, 0
	s_mov_b32 s3, exec_lo
	s_delay_alu instid0(VALU_DEP_1) | instskip(NEXT) | instid1(VALU_DEP_2)
	v_mul_lo_u32 v3, v3, s16
	v_mul_lo_u32 v5, v5, s18
	s_delay_alu instid0(VALU_DEP_1) | instskip(NEXT) | instid1(VALU_DEP_1)
	v_sub_nc_u32_e32 v3, v3, v5
	v_cmp_lt_u32_e32 vcc_lo, s20, v3
	v_cmpx_ge_u32_e64 s20, v3
	s_cbranch_execz .LBB1151_90
; %bb.89:
	v_dual_add_nc_u32 v3, s22, v13 :: v_dual_add_nc_u32 v5, s42, v13
	s_delay_alu instid0(VALU_DEP_1) | instskip(NEXT) | instid1(VALU_DEP_2)
	v_mul_lo_u32 v3, v3, s21
	v_mul_lo_u32 v5, v5, s23
	s_delay_alu instid0(VALU_DEP_1) | instskip(NEXT) | instid1(VALU_DEP_1)
	v_sub_nc_u32_e32 v3, v3, v5
	v_cmp_lt_u32_e64 s0, s43, v3
	s_and_b32 s2, s0, exec_lo
.LBB1151_90:
	s_or_b32 exec_lo, exec_lo, s3
	v_cndmask_b32_e64 v3, 0, 1, vcc_lo
	v_lshrrev_b32_e32 v5, 24, v2
	v_cndmask_b32_e64 v9, 0, 1, s2
	v_lshlrev_b16 v8, 8, v8
	v_lshlrev_b16 v7, 8, v7
	;; [unrolled: 1-line block ×4, first 2 shown]
	s_delay_alu instid0(VALU_DEP_4) | instskip(NEXT) | instid1(VALU_DEP_4)
	v_bitop3_b16 v6, v6, v8, 0xff bitop3:0xec
	v_bitop3_b16 v2, v2, v7, 0xff bitop3:0xec
	s_delay_alu instid0(VALU_DEP_4) | instskip(NEXT) | instid1(VALU_DEP_3)
	v_bitop3_b16 v3, v4, v3, 0xff bitop3:0xec
	v_dual_lshlrev_b32 v5, 16, v6 :: v_dual_bitop2_b32 v4, v9, v5 bitop3:0x54
	s_delay_alu instid0(VALU_DEP_3) | instskip(NEXT) | instid1(VALU_DEP_3)
	v_and_b32_e32 v2, 0xffff, v2
	v_and_b32_e32 v3, 0xffff, v3
	s_delay_alu instid0(VALU_DEP_1) | instskip(NEXT) | instid1(VALU_DEP_1)
	v_dual_lshlrev_b32 v4, 16, v4 :: v_dual_bitop2_b32 v5, v3, v5 bitop3:0x54
	v_or_b32_e32 v3, v2, v4
.LBB1151_91:
	s_or_b32 exec_lo, exec_lo, s1
	s_delay_alu instid0(VALU_DEP_2) | instskip(NEXT) | instid1(VALU_DEP_1)
	v_dual_add_nc_u32 v2, 10, v30 :: v_dual_lshrrev_b32 v4, 8, v5
                                        ; implicit-def: $vgpr35
	v_cmp_le_u32_e32 vcc_lo, s6, v2
                                        ; implicit-def: $vgpr2
	s_and_saveexec_b32 s0, vcc_lo
	s_delay_alu instid0(SALU_CYCLE_1)
	s_xor_b32 s0, exec_lo, s0
	s_cbranch_execz .LBB1151_93
; %bb.92:
	v_lshlrev_b16 v2, 8, v4
	v_and_b32_e32 v4, 0xff0000, v3
	v_perm_b32 v1, v1, v1, 0x3060504
	s_delay_alu instid0(VALU_DEP_3) | instskip(NEXT) | instid1(VALU_DEP_3)
	v_bitop3_b16 v2, v5, v2, 0xff bitop3:0xec
	v_perm_b32 v35, v3, v4, 0x3020504
                                        ; implicit-def: $vgpr4
                                        ; implicit-def: $vgpr3
	s_delay_alu instid0(VALU_DEP_2) | instskip(NEXT) | instid1(VALU_DEP_1)
	v_and_b32_e32 v2, 0xffff, v2
	v_and_or_b32 v2, 0xff000000, v5, v2
                                        ; implicit-def: $vgpr5
.LBB1151_93:
	s_and_not1_saveexec_b32 s1, s0
	s_cbranch_execz .LBB1151_97
; %bb.94:
	v_dual_add_nc_u32 v2, s17, v10 :: v_dual_add_nc_u32 v6, s19, v10
	s_mov_b32 s2, 0
	s_mov_b32 s3, exec_lo
	s_delay_alu instid0(VALU_DEP_1) | instskip(NEXT) | instid1(VALU_DEP_2)
	v_mul_lo_u32 v2, v2, s16
	v_mul_lo_u32 v6, v6, s18
	s_delay_alu instid0(VALU_DEP_1) | instskip(NEXT) | instid1(VALU_DEP_1)
	v_sub_nc_u32_e32 v2, v2, v6
	v_cmp_lt_u32_e32 vcc_lo, s20, v2
	v_cmpx_ge_u32_e64 s20, v2
	s_cbranch_execz .LBB1151_96
; %bb.95:
	v_dual_add_nc_u32 v2, s22, v10 :: v_dual_add_nc_u32 v6, s42, v10
	s_delay_alu instid0(VALU_DEP_1) | instskip(NEXT) | instid1(VALU_DEP_2)
	v_mul_lo_u32 v2, v2, s21
	v_mul_lo_u32 v6, v6, s23
	s_delay_alu instid0(VALU_DEP_1) | instskip(NEXT) | instid1(VALU_DEP_1)
	v_sub_nc_u32_e32 v2, v2, v6
	v_cmp_lt_u32_e64 s0, s43, v2
	s_and_b32 s2, s0, exec_lo
.LBB1151_96:
	s_or_b32 exec_lo, exec_lo, s3
	v_dual_lshrrev_b32 v2, 24, v5 :: v_dual_lshrrev_b32 v8, 8, v3
	v_cndmask_b32_e64 v6, 0, 1, s2
	v_cndmask_b32_e64 v7, 0, 1, vcc_lo
	v_lshlrev_b16 v4, 8, v4
	s_delay_alu instid0(VALU_DEP_4)
	v_lshlrev_b16 v2, 8, v2
	v_lshrrev_b32_e32 v9, 16, v3
	v_lshlrev_b16 v6, 8, v6
	v_lshlrev_b16 v8, 8, v8
	v_bitop3_b16 v4, v5, v4, 0xff bitop3:0xec
	v_or_b32_e32 v2, v7, v2
	s_delay_alu instid0(VALU_DEP_4) | instskip(NEXT) | instid1(VALU_DEP_4)
	v_bitop3_b16 v5, v9, v6, 0xff bitop3:0xec
	v_bitop3_b16 v3, v3, v8, 0xff bitop3:0xec
	s_delay_alu instid0(VALU_DEP_4) | instskip(NEXT) | instid1(VALU_DEP_3)
	v_and_b32_e32 v4, 0xffff, v4
	v_dual_lshlrev_b32 v2, 16, v2 :: v_dual_lshlrev_b32 v5, 16, v5
	s_delay_alu instid0(VALU_DEP_3) | instskip(NEXT) | instid1(VALU_DEP_2)
	v_and_b32_e32 v3, 0xffff, v3
	v_or_b32_e32 v2, v4, v2
	s_delay_alu instid0(VALU_DEP_2)
	v_or_b32_e32 v35, v3, v5
.LBB1151_97:
	s_or_b32 exec_lo, exec_lo, s1
	v_dual_mov_b32 v34, 0 :: v_dual_add_nc_u32 v3, 11, v30
	s_mov_b32 s0, exec_lo
                                        ; implicit-def: $vgpr36
	s_delay_alu instid0(VALU_DEP_1)
	v_cmpx_le_u32_e64 s6, v3
	s_xor_b32 s0, exec_lo, s0
; %bb.98:
	v_and_b32_e32 v3, 0xff0000, v2
	v_perm_b32 v1, v1, v1, 0x3060504
	s_delay_alu instid0(VALU_DEP_2)
	v_perm_b32 v36, v2, v3, 0x3020504
                                        ; implicit-def: $vgpr2
; %bb.99:
	s_and_not1_saveexec_b32 s1, s0
	s_cbranch_execz .LBB1151_103
; %bb.100:
	v_dual_add_nc_u32 v3, s17, v11 :: v_dual_add_nc_u32 v4, s19, v11
	s_mov_b32 s2, 0
	s_mov_b32 s3, exec_lo
	s_delay_alu instid0(VALU_DEP_1) | instskip(NEXT) | instid1(VALU_DEP_2)
	v_mul_lo_u32 v3, v3, s16
	v_mul_lo_u32 v4, v4, s18
	s_delay_alu instid0(VALU_DEP_1) | instskip(NEXT) | instid1(VALU_DEP_1)
	v_sub_nc_u32_e32 v3, v3, v4
	v_cmp_lt_u32_e32 vcc_lo, s20, v3
	v_cmpx_ge_u32_e64 s20, v3
	s_cbranch_execz .LBB1151_102
; %bb.101:
	v_dual_add_nc_u32 v3, s22, v11 :: v_dual_add_nc_u32 v4, s42, v11
	s_delay_alu instid0(VALU_DEP_1) | instskip(NEXT) | instid1(VALU_DEP_2)
	v_mul_lo_u32 v3, v3, s21
	v_mul_lo_u32 v4, v4, s23
	s_delay_alu instid0(VALU_DEP_1) | instskip(NEXT) | instid1(VALU_DEP_1)
	v_sub_nc_u32_e32 v3, v3, v4
	v_cmp_lt_u32_e64 s0, s43, v3
	s_and_b32 s2, s0, exec_lo
.LBB1151_102:
	s_or_b32 exec_lo, exec_lo, s3
	v_cndmask_b32_e64 v3, 0, 1, vcc_lo
	v_dual_lshrrev_b32 v4, 8, v2 :: v_dual_lshrrev_b32 v5, 16, v2
	v_cndmask_b32_e64 v34, 0, 1, s2
	s_delay_alu instid0(VALU_DEP_3) | instskip(NEXT) | instid1(VALU_DEP_3)
	v_lshlrev_b16 v3, 8, v3
	v_lshlrev_b16 v4, 8, v4
	s_delay_alu instid0(VALU_DEP_2) | instskip(NEXT) | instid1(VALU_DEP_2)
	v_bitop3_b16 v3, v5, v3, 0xff bitop3:0xec
	v_bitop3_b16 v2, v2, v4, 0xff bitop3:0xec
	s_delay_alu instid0(VALU_DEP_2) | instskip(NEXT) | instid1(VALU_DEP_2)
	v_lshlrev_b32_e32 v3, 16, v3
	v_and_b32_e32 v2, 0xffff, v2
	s_delay_alu instid0(VALU_DEP_1)
	v_or_b32_e32 v36, v2, v3
.LBB1151_103:
	s_or_b32 exec_lo, exec_lo, s1
	v_dual_add_nc_u32 v4, 12, v30 :: v_dual_lshrrev_b32 v2, 8, v1
	v_dual_lshrrev_b32 v3, 16, v1 :: v_dual_lshrrev_b32 v1, 24, v1
	s_mov_b32 s0, exec_lo
                                        ; implicit-def: $vgpr37
	s_delay_alu instid0(VALU_DEP_2)
	v_cmpx_le_u32_e64 s6, v4
	s_xor_b32 s0, exec_lo, s0
; %bb.104:
	s_delay_alu instid0(VALU_DEP_2) | instskip(SKIP_1) | instid1(VALU_DEP_2)
	v_lshlrev_b16 v1, 8, v1
	v_lshlrev_b16 v2, 8, v2
	v_bitop3_b16 v1, v3, v1, 0xff bitop3:0xec
	s_delay_alu instid0(VALU_DEP_2) | instskip(NEXT) | instid1(VALU_DEP_2)
	v_and_b32_e32 v2, 0xffff, v2
                                        ; implicit-def: $vgpr3
	v_lshlrev_b32_e32 v1, 16, v1
	s_delay_alu instid0(VALU_DEP_1)
	v_or_b32_e32 v37, v2, v1
                                        ; implicit-def: $vgpr1
                                        ; implicit-def: $vgpr2
; %bb.105:
	s_or_saveexec_b32 s1, s0
	v_mov_b32_e32 v38, 0
	s_xor_b32 exec_lo, exec_lo, s1
	s_cbranch_execz .LBB1151_109
; %bb.106:
	v_dual_add_nc_u32 v4, s19, v28 :: v_dual_add_nc_u32 v5, s17, v28
	s_mov_b32 s2, 0
	s_mov_b32 s3, exec_lo
	s_delay_alu instid0(VALU_DEP_1) | instskip(NEXT) | instid1(VALU_DEP_2)
	v_mul_lo_u32 v4, v4, s18
	v_mul_lo_u32 v5, v5, s16
	s_delay_alu instid0(VALU_DEP_1) | instskip(NEXT) | instid1(VALU_DEP_1)
	v_sub_nc_u32_e32 v4, v5, v4
	v_cmp_lt_u32_e32 vcc_lo, s20, v4
	v_cmpx_ge_u32_e64 s20, v4
	s_cbranch_execz .LBB1151_108
; %bb.107:
	v_dual_add_nc_u32 v4, s42, v28 :: v_dual_add_nc_u32 v5, s22, v28
	s_delay_alu instid0(VALU_DEP_1) | instskip(NEXT) | instid1(VALU_DEP_2)
	v_mul_lo_u32 v4, v4, s23
	v_mul_lo_u32 v5, v5, s21
	s_delay_alu instid0(VALU_DEP_1) | instskip(NEXT) | instid1(VALU_DEP_1)
	v_sub_nc_u32_e32 v4, v5, v4
	v_cmp_lt_u32_e64 s0, s43, v4
	s_and_b32 s2, s0, exec_lo
.LBB1151_108:
	s_or_b32 exec_lo, exec_lo, s3
	v_cndmask_b32_e64 v4, 0, 1, vcc_lo
	v_lshlrev_b16 v1, 8, v1
	v_lshlrev_b16 v2, 8, v2
	v_cndmask_b32_e64 v38, 0, 1, s2
	s_delay_alu instid0(VALU_DEP_3) | instskip(NEXT) | instid1(VALU_DEP_1)
	v_bitop3_b16 v1, v3, v1, 0xff bitop3:0xec
	v_dual_lshlrev_b32 v1, 16, v1 :: v_dual_bitop2_b32 v2, v4, v2 bitop3:0x54
	s_delay_alu instid0(VALU_DEP_1) | instskip(NEXT) | instid1(VALU_DEP_1)
	v_and_b32_e32 v2, 0xffff, v2
	v_or_b32_e32 v37, v2, v1
.LBB1151_109:
	s_or_b32 exec_lo, exec_lo, s1
.LBB1151_110:
	v_and_b32_e32 v61, 0xff, v31
	s_delay_alu instid0(VALU_DEP_2)
	v_bfe_u32 v62, v37, 8, 8
	v_bfe_u32 v59, v31, 8, 8
	;; [unrolled: 1-line block ×4, first 2 shown]
	v_dual_lshrrev_b32 v44, 24, v37 :: v_dual_lshrrev_b32 v43, 24, v31
	v_and_b32_e32 v57, 0xff, v32
	v_and_b32_e32 v55, 0xff, v33
	v_bfe_u32 v56, v32, 8, 8
	v_add3_u32 v1, v59, v61, v58
	v_add3_u32 v2, v60, v62, v44
	v_bfe_u32 v53, v33, 8, 8
	v_bfe_u32 v54, v32, 16, 8
	;; [unrolled: 1-line block ×3, first 2 shown]
	v_dual_lshrrev_b32 v42, 24, v32 :: v_dual_lshrrev_b32 v41, 24, v33
	v_add3_u32 v1, v1, v43, v55
	v_add3_u32 v2, v2, v57, v56
	v_and_b32_e32 v52, 0xff, v35
	v_and_b32_e32 v48, 0xff, v36
	v_bfe_u32 v50, v35, 8, 8
	v_add3_u32 v1, v1, v53, v51
	v_add3_u32 v2, v2, v54, v42
	v_bfe_u32 v47, v36, 8, 8
	v_bfe_u32 v49, v35, 16, 8
	v_bfe_u32 v46, v36, 16, 8
	v_dual_lshrrev_b32 v40, 24, v35 :: v_dual_lshrrev_b32 v39, 24, v36
	v_add3_u32 v1, v1, v41, v48
	v_add3_u32 v2, v2, v52, v50
	v_mbcnt_lo_u32_b32 v63, -1, 0
	v_and_b32_e32 v45, 0xff, v34
	v_and_b32_e32 v3, 0xff, v37
	;; [unrolled: 1-line block ×3, first 2 shown]
	v_add3_u32 v1, v1, v47, v46
	v_add3_u32 v2, v2, v49, v40
	v_dual_lshrrev_b32 v64, 5, v0 :: v_dual_bitop2_b32 v65, 15, v63 bitop3:0x40
	v_and_b32_e32 v67, 16, v63
	s_delay_alu instid0(VALU_DEP_4) | instskip(NEXT) | instid1(VALU_DEP_4)
	v_add3_u32 v68, v1, v39, v3
	v_add3_u32 v69, v2, v45, v4
	s_wait_xcnt 0x0
	v_cmp_eq_u32_e64 s1, 0, v65
	v_cmp_lt_u32_e64 s0, 1, v65
	v_cmp_lt_u32_e64 s2, 3, v65
	v_or_b32_e32 v66, 31, v0
	s_cmp_lg_u32 s33, 0
	s_mov_b32 s3, -1
	v_cmp_lt_u32_e32 vcc_lo, 7, v65
	s_cbranch_scc0 .LBB1151_131
; %bb.111:
	v_mov_b32_dpp v1, v69 row_shr:1 row_mask:0xf bank_mask:0xf
	v_mov_b32_dpp v2, v68 row_shr:1 row_mask:0xf bank_mask:0xf
	s_mov_b32 s3, exec_lo
	s_delay_alu instid0(VALU_DEP_1) | instskip(NEXT) | instid1(VALU_DEP_1)
	v_dual_add_nc_u32 v1, v1, v69 :: v_dual_add_nc_u32 v2, v2, v68
	v_dual_cndmask_b32 v1, v1, v69, s1 :: v_dual_cndmask_b32 v2, v2, v68, s1
	s_delay_alu instid0(VALU_DEP_1) | instskip(NEXT) | instid1(VALU_DEP_2)
	v_mov_b32_dpp v3, v1 row_shr:2 row_mask:0xf bank_mask:0xf
	v_mov_b32_dpp v4, v2 row_shr:2 row_mask:0xf bank_mask:0xf
	s_delay_alu instid0(VALU_DEP_1) | instskip(NEXT) | instid1(VALU_DEP_1)
	v_dual_add_nc_u32 v3, v1, v3 :: v_dual_add_nc_u32 v4, v2, v4
	v_dual_cndmask_b32 v1, v1, v3, s0 :: v_dual_cndmask_b32 v2, v2, v4, s0
	s_delay_alu instid0(VALU_DEP_1) | instskip(NEXT) | instid1(VALU_DEP_2)
	v_mov_b32_dpp v3, v1 row_shr:4 row_mask:0xf bank_mask:0xf
	v_mov_b32_dpp v4, v2 row_shr:4 row_mask:0xf bank_mask:0xf
	;; [unrolled: 6-line block ×3, first 2 shown]
	s_delay_alu instid0(VALU_DEP_1) | instskip(NEXT) | instid1(VALU_DEP_1)
	v_dual_add_nc_u32 v3, v1, v3 :: v_dual_add_nc_u32 v4, v2, v4
	v_dual_cndmask_b32 v1, v1, v3 :: v_dual_cndmask_b32 v2, v2, v4
	v_cmp_eq_u32_e32 vcc_lo, 0, v67
	ds_swizzle_b32 v3, v1 offset:swizzle(BROADCAST,32,15)
	ds_swizzle_b32 v4, v2 offset:swizzle(BROADCAST,32,15)
	s_wait_dscnt 0x0
	v_dual_add_nc_u32 v3, v1, v3 :: v_dual_add_nc_u32 v4, v2, v4
	v_cmpx_eq_u32_e64 v0, v66
; %bb.112:
	s_delay_alu instid0(VALU_DEP_2) | instskip(NEXT) | instid1(VALU_DEP_3)
	v_dual_lshlrev_b32 v5, 3, v64 :: v_dual_cndmask_b32 v7, v3, v1, vcc_lo
	v_cndmask_b32_e32 v6, v4, v2, vcc_lo
	ds_store_b64 v5, v[6:7]
; %bb.113:
	s_or_b32 exec_lo, exec_lo, s3
	s_delay_alu instid0(SALU_CYCLE_1)
	s_mov_b32 s3, exec_lo
	s_wait_dscnt 0x0
	s_barrier_signal -1
	s_barrier_wait -1
	v_cmpx_gt_u32_e32 8, v0
	s_cbranch_execz .LBB1151_115
; %bb.114:
	v_dual_lshlrev_b32 v5, 3, v0 :: v_dual_bitop2_b32 v22, 7, v63 bitop3:0x40
	ds_load_b64 v[6:7], v5
	v_cmp_eq_u32_e64 s2, 0, v22
	s_wait_dscnt 0x0
	v_mov_b32_dpp v8, v6 row_shr:1 row_mask:0xf bank_mask:0xf
	v_mov_b32_dpp v9, v7 row_shr:1 row_mask:0xf bank_mask:0xf
	s_delay_alu instid0(VALU_DEP_1) | instskip(NEXT) | instid1(VALU_DEP_1)
	v_dual_add_nc_u32 v8, v8, v6 :: v_dual_add_nc_u32 v9, v9, v7
	v_dual_cndmask_b32 v6, v8, v6, s2 :: v_dual_cndmask_b32 v7, v9, v7, s2
	v_cmp_lt_u32_e64 s2, 1, v22
	s_delay_alu instid0(VALU_DEP_2) | instskip(NEXT) | instid1(VALU_DEP_3)
	v_mov_b32_dpp v8, v6 row_shr:2 row_mask:0xf bank_mask:0xf
	v_mov_b32_dpp v9, v7 row_shr:2 row_mask:0xf bank_mask:0xf
	s_delay_alu instid0(VALU_DEP_1) | instskip(NEXT) | instid1(VALU_DEP_1)
	v_dual_add_nc_u32 v8, v6, v8 :: v_dual_add_nc_u32 v9, v7, v9
	v_dual_cndmask_b32 v6, v6, v8, s2 :: v_dual_cndmask_b32 v7, v7, v9, s2
	v_cmp_lt_u32_e64 s2, 3, v22
	s_delay_alu instid0(VALU_DEP_2) | instskip(NEXT) | instid1(VALU_DEP_3)
	v_mov_b32_dpp v8, v6 row_shr:4 row_mask:0xf bank_mask:0xf
	v_mov_b32_dpp v9, v7 row_shr:4 row_mask:0xf bank_mask:0xf
	s_delay_alu instid0(VALU_DEP_1) | instskip(NEXT) | instid1(VALU_DEP_1)
	v_dual_cndmask_b32 v8, 0, v8, s2 :: v_dual_cndmask_b32 v9, 0, v9, s2
	v_dual_add_nc_u32 v6, v8, v6 :: v_dual_add_nc_u32 v7, v9, v7
	ds_store_b64 v5, v[6:7]
.LBB1151_115:
	s_or_b32 exec_lo, exec_lo, s3
	v_dual_cndmask_b32 v1, v3, v1 :: v_dual_cndmask_b32 v2, v4, v2
	s_mov_b32 s3, exec_lo
	v_cmp_gt_u32_e32 vcc_lo, 32, v0
	s_wait_dscnt 0x0
	s_barrier_signal -1
	s_barrier_wait -1
                                        ; implicit-def: $vgpr22
	v_cmpx_lt_u32_e32 31, v0
	s_cbranch_execz .LBB1151_117
; %bb.116:
	v_lshl_add_u32 v3, v64, 3, -8
	ds_load_b64 v[22:23], v3
	s_wait_dscnt 0x0
	v_dual_add_nc_u32 v1, v23, v1 :: v_dual_add_nc_u32 v2, v22, v2
.LBB1151_117:
	s_or_b32 exec_lo, exec_lo, s3
	v_sub_co_u32 v3, s2, v63, 1
	s_delay_alu instid0(VALU_DEP_1) | instskip(NEXT) | instid1(VALU_DEP_1)
	v_cmp_gt_i32_e64 s3, 0, v3
	v_cndmask_b32_e64 v3, v3, v63, s3
	s_delay_alu instid0(VALU_DEP_1)
	v_lshlrev_b32_e32 v3, 2, v3
	ds_bpermute_b32 v70, v3, v2
	ds_bpermute_b32 v1, v3, v1
	s_and_saveexec_b32 s3, vcc_lo
	s_cbranch_execz .LBB1151_136
; %bb.118:
	v_mov_b32_e32 v5, 0
	ds_load_b64 v[2:3], v5 offset:56
	s_and_saveexec_b32 s7, s2
	s_cbranch_execz .LBB1151_120
; %bb.119:
	s_add_co_i32 s8, s33, 32
	s_mov_b32 s9, 0
	v_mov_b32_e32 v4, 1
	s_lshl_b64 s[8:9], s[8:9], 4
	s_wait_kmcnt 0x0
	s_add_nc_u64 s[8:9], s[4:5], s[8:9]
	s_delay_alu instid0(SALU_CYCLE_1)
	v_mov_b64_e32 v[6:7], s[8:9]
	s_wait_dscnt 0x0
	;;#ASMSTART
	global_store_b128 v[6:7], v[2:5] off scope:SCOPE_DEV	
s_wait_storecnt 0x0
	;;#ASMEND
.LBB1151_120:
	s_or_b32 exec_lo, exec_lo, s7
	v_xad_u32 v24, v63, -1, s33
	s_mov_b32 s8, 0
	s_mov_b32 s7, exec_lo
	s_delay_alu instid0(VALU_DEP_1) | instskip(SKIP_1) | instid1(VALU_DEP_1)
	v_add_nc_u32_e32 v4, 32, v24
	s_wait_kmcnt 0x0
	v_lshl_add_u64 v[4:5], v[4:5], 4, s[4:5]
	;;#ASMSTART
	global_load_b128 v[6:9], v[4:5] off scope:SCOPE_DEV	
s_wait_loadcnt 0x0
	;;#ASMEND
	v_and_b32_e32 v9, 0xff, v8
	s_delay_alu instid0(VALU_DEP_1)
	v_cmpx_eq_u16_e32 0, v9
	s_cbranch_execz .LBB1151_123
.LBB1151_121:                           ; =>This Inner Loop Header: Depth=1
	;;#ASMSTART
	global_load_b128 v[6:9], v[4:5] off scope:SCOPE_DEV	
s_wait_loadcnt 0x0
	;;#ASMEND
	v_and_b32_e32 v9, 0xff, v8
	s_delay_alu instid0(VALU_DEP_1) | instskip(SKIP_1) | instid1(SALU_CYCLE_1)
	v_cmp_ne_u16_e32 vcc_lo, 0, v9
	s_or_b32 s8, vcc_lo, s8
	s_and_not1_b32 exec_lo, exec_lo, s8
	s_cbranch_execnz .LBB1151_121
; %bb.122:
	s_or_b32 exec_lo, exec_lo, s8
.LBB1151_123:
	s_delay_alu instid0(SALU_CYCLE_1)
	s_or_b32 exec_lo, exec_lo, s7
	v_cmp_ne_u32_e32 vcc_lo, 31, v63
	v_lshlrev_b32_e64 v72, v63, -1
	v_lshl_or_b32 v79, v63, 2, 64
	v_dual_add_nc_u32 v76, 4, v63 :: v_dual_add_nc_u32 v80, 16, v63
	v_add_co_ci_u32_e64 v4, null, 0, v63, vcc_lo
	s_delay_alu instid0(VALU_DEP_1)
	v_lshlrev_b32_e32 v71, 2, v4
	v_and_b32_e32 v4, 0xff, v8
	ds_bpermute_b32 v5, v71, v7
	v_cmp_eq_u16_e32 vcc_lo, 2, v4
	s_wait_dscnt 0x0
	v_add_nc_u32_e32 v5, v5, v7
	ds_bpermute_b32 v4, v71, v6
	v_and_b32_e32 v9, vcc_lo, v72
	v_cmp_gt_u32_e32 vcc_lo, 30, v63
	v_cndmask_b32_e64 v25, 0, 2, vcc_lo
	s_delay_alu instid0(VALU_DEP_1) | instskip(SKIP_3) | instid1(VALU_DEP_1)
	v_add_lshl_u32 v73, v25, v63, 2
	s_wait_dscnt 0x0
	v_add_nc_u32_e32 v4, v4, v6
	v_or_b32_e32 v9, 0x80000000, v9
	v_ctz_i32_b32_e32 v9, v9
	s_delay_alu instid0(VALU_DEP_1) | instskip(NEXT) | instid1(VALU_DEP_4)
	v_cmp_lt_u32_e32 vcc_lo, v63, v9
	v_dual_cndmask_b32 v5, v7, v5 :: v_dual_cndmask_b32 v4, v6, v4
	v_cmp_gt_u32_e32 vcc_lo, 28, v63
	ds_bpermute_b32 v6, v73, v5
	ds_bpermute_b32 v7, v73, v4
	v_add_nc_u32_e32 v74, 2, v63
	v_cndmask_b32_e64 v25, 0, 4, vcc_lo
	s_delay_alu instid0(VALU_DEP_1) | instskip(SKIP_4) | instid1(VALU_DEP_2)
	v_add_lshl_u32 v75, v25, v63, 2
	s_wait_dscnt 0x1
	v_add_nc_u32_e32 v6, v5, v6
	v_cmp_gt_u32_e32 vcc_lo, v74, v9
	s_wait_dscnt 0x0
	v_dual_add_nc_u32 v7, v4, v7 :: v_dual_cndmask_b32 v5, v6, v5, vcc_lo
	s_delay_alu instid0(VALU_DEP_1)
	v_cndmask_b32_e32 v4, v7, v4, vcc_lo
	v_cmp_gt_u32_e32 vcc_lo, 24, v63
	ds_bpermute_b32 v6, v75, v5
	ds_bpermute_b32 v7, v75, v4
	v_cndmask_b32_e64 v25, 0, 8, vcc_lo
	v_cmp_gt_u32_e32 vcc_lo, v76, v9
	s_delay_alu instid0(VALU_DEP_2) | instskip(SKIP_3) | instid1(VALU_DEP_1)
	v_add_lshl_u32 v77, v25, v63, 2
	s_wait_dscnt 0x1
	v_dual_mov_b32 v25, 0 :: v_dual_add_nc_u32 v6, v5, v6
	s_wait_dscnt 0x0
	v_dual_add_nc_u32 v7, v4, v7 :: v_dual_cndmask_b32 v5, v6, v5, vcc_lo
	s_delay_alu instid0(VALU_DEP_1) | instskip(SKIP_4) | instid1(VALU_DEP_1)
	v_cndmask_b32_e32 v4, v7, v4, vcc_lo
	ds_bpermute_b32 v6, v77, v5
	ds_bpermute_b32 v7, v77, v4
	s_wait_dscnt 0x1
	v_dual_add_nc_u32 v78, 8, v63 :: v_dual_add_nc_u32 v6, v5, v6
	v_cmp_gt_u32_e32 vcc_lo, v78, v9
	s_wait_dscnt 0x0
	s_delay_alu instid0(VALU_DEP_2) | instskip(NEXT) | instid1(VALU_DEP_1)
	v_dual_add_nc_u32 v7, v4, v7 :: v_dual_cndmask_b32 v5, v6, v5, vcc_lo
	v_cndmask_b32_e32 v4, v7, v4, vcc_lo
	v_cmp_le_u32_e32 vcc_lo, v80, v9
	ds_bpermute_b32 v7, v79, v5
	ds_bpermute_b32 v6, v79, v4
	s_wait_dscnt 0x0
	v_dual_cndmask_b32 v7, 0, v7 :: v_dual_cndmask_b32 v6, 0, v6
	s_delay_alu instid0(VALU_DEP_1)
	v_dual_add_nc_u32 v7, v7, v5 :: v_dual_add_nc_u32 v6, v6, v4
	s_branch .LBB1151_127
.LBB1151_124:                           ;   in Loop: Header=BB1151_127 Depth=1
	s_or_b32 exec_lo, exec_lo, s8
.LBB1151_125:                           ;   in Loop: Header=BB1151_127 Depth=1
	s_delay_alu instid0(SALU_CYCLE_1)
	s_or_b32 exec_lo, exec_lo, s7
	ds_bpermute_b32 v9, v71, v6
	ds_bpermute_b32 v26, v71, v7
	v_and_b32_e32 v27, 0xff, v8
	v_subrev_nc_u32_e32 v24, 32, v24
	s_mov_b32 s7, 0
	s_delay_alu instid0(VALU_DEP_2) | instskip(SKIP_1) | instid1(VALU_DEP_1)
	v_cmp_eq_u16_e32 vcc_lo, 2, v27
	v_and_or_b32 v27, vcc_lo, v72, 0x80000000
	v_ctz_i32_b32_e32 v27, v27
	s_wait_dscnt 0x0
	v_dual_add_nc_u32 v9, v9, v6 :: v_dual_add_nc_u32 v26, v26, v7
	s_delay_alu instid0(VALU_DEP_2) | instskip(NEXT) | instid1(VALU_DEP_2)
	v_cmp_lt_u32_e32 vcc_lo, v63, v27
	v_dual_cndmask_b32 v7, v7, v26 :: v_dual_cndmask_b32 v6, v6, v9
	v_cmp_gt_u32_e32 vcc_lo, v74, v27
	ds_bpermute_b32 v26, v73, v7
	ds_bpermute_b32 v9, v73, v6
	s_wait_dscnt 0x0
	v_dual_add_nc_u32 v26, v7, v26 :: v_dual_add_nc_u32 v9, v6, v9
	s_delay_alu instid0(VALU_DEP_1)
	v_dual_cndmask_b32 v7, v26, v7 :: v_dual_cndmask_b32 v6, v9, v6
	v_cmp_gt_u32_e32 vcc_lo, v76, v27
	ds_bpermute_b32 v26, v75, v7
	ds_bpermute_b32 v9, v75, v6
	s_wait_dscnt 0x0
	v_dual_add_nc_u32 v26, v7, v26 :: v_dual_add_nc_u32 v9, v6, v9
	s_delay_alu instid0(VALU_DEP_1)
	;; [unrolled: 7-line block ×3, first 2 shown]
	v_dual_cndmask_b32 v7, v26, v7 :: v_dual_cndmask_b32 v6, v9, v6
	v_cmp_le_u32_e32 vcc_lo, v80, v27
	ds_bpermute_b32 v26, v79, v7
	ds_bpermute_b32 v9, v79, v6
	s_wait_dscnt 0x0
	v_dual_cndmask_b32 v26, 0, v26 :: v_dual_cndmask_b32 v9, 0, v9
	s_delay_alu instid0(VALU_DEP_1) | instskip(NEXT) | instid1(VALU_DEP_2)
	v_add3_u32 v7, v7, v5, v26
	v_add3_u32 v6, v6, v4, v9
.LBB1151_126:                           ;   in Loop: Header=BB1151_127 Depth=1
	s_and_b32 vcc_lo, exec_lo, s7
	s_cbranch_vccnz .LBB1151_132
.LBB1151_127:                           ; =>This Loop Header: Depth=1
                                        ;     Child Loop BB1151_130 Depth 2
	v_and_b32_e32 v4, 0xff, v8
	s_mov_b32 s7, -1
                                        ; implicit-def: $vgpr8
	s_delay_alu instid0(VALU_DEP_1)
	v_cmp_ne_u16_e32 vcc_lo, 2, v4
	v_mov_b64_e32 v[4:5], v[6:7]
                                        ; implicit-def: $vgpr6_vgpr7
	s_cmp_lg_u32 vcc_lo, exec_lo
	s_cbranch_scc1 .LBB1151_126
; %bb.128:                              ;   in Loop: Header=BB1151_127 Depth=1
	v_lshl_add_u64 v[26:27], v[24:25], 4, s[4:5]
	;;#ASMSTART
	global_load_b128 v[6:9], v[26:27] off scope:SCOPE_DEV	
s_wait_loadcnt 0x0
	;;#ASMEND
	v_and_b32_e32 v9, 0xff, v8
	s_mov_b32 s7, exec_lo
	s_delay_alu instid0(VALU_DEP_1)
	v_cmpx_eq_u16_e32 0, v9
	s_cbranch_execz .LBB1151_125
; %bb.129:                              ;   in Loop: Header=BB1151_127 Depth=1
	s_mov_b32 s8, 0
.LBB1151_130:                           ;   Parent Loop BB1151_127 Depth=1
                                        ; =>  This Inner Loop Header: Depth=2
	;;#ASMSTART
	global_load_b128 v[6:9], v[26:27] off scope:SCOPE_DEV	
s_wait_loadcnt 0x0
	;;#ASMEND
	v_and_b32_e32 v9, 0xff, v8
	s_delay_alu instid0(VALU_DEP_1) | instskip(SKIP_1) | instid1(SALU_CYCLE_1)
	v_cmp_ne_u16_e32 vcc_lo, 0, v9
	s_or_b32 s8, vcc_lo, s8
	s_and_not1_b32 exec_lo, exec_lo, s8
	s_cbranch_execnz .LBB1151_130
	s_branch .LBB1151_124
.LBB1151_131:
                                        ; implicit-def: $vgpr1
                                        ; implicit-def: $vgpr4
                                        ; implicit-def: $vgpr6
                                        ; implicit-def: $vgpr8
                                        ; implicit-def: $vgpr22
	s_and_b32 vcc_lo, exec_lo, s3
	s_cbranch_vccnz .LBB1151_137
	s_branch .LBB1151_146
.LBB1151_132:
	s_and_saveexec_b32 s7, s2
	s_cbranch_execz .LBB1151_134
; %bb.133:
	s_add_co_i32 s8, s33, 32
	s_mov_b32 s9, 0
	v_dual_mov_b32 v8, 2 :: v_dual_mov_b32 v9, 0
	s_lshl_b64 s[8:9], s[8:9], 4
	v_dual_add_nc_u32 v7, v5, v3 :: v_dual_add_nc_u32 v6, v4, v2
	s_add_nc_u64 s[8:9], s[4:5], s[8:9]
	s_delay_alu instid0(SALU_CYCLE_1)
	v_mov_b64_e32 v[24:25], s[8:9]
	;;#ASMSTART
	global_store_b128 v[24:25], v[6:9] off scope:SCOPE_DEV	
s_wait_storecnt 0x0
	;;#ASMEND
	ds_store_b128 v9, v[2:5] offset:13312
.LBB1151_134:
	s_or_b32 exec_lo, exec_lo, s7
	v_cmp_eq_u32_e32 vcc_lo, 0, v0
	s_and_b32 exec_lo, exec_lo, vcc_lo
; %bb.135:
	v_mov_b32_e32 v2, 0
	ds_store_b64 v2, v[4:5] offset:56
.LBB1151_136:
	s_or_b32 exec_lo, exec_lo, s3
	s_wait_dscnt 0x0
	v_dual_mov_b32 v2, 0 :: v_dual_cndmask_b32 v1, v1, v23, s2
	s_barrier_signal -1
	s_barrier_wait -1
	ds_load_b64 v[8:9], v2 offset:56
	s_wait_dscnt 0x0
	s_barrier_signal -1
	s_barrier_wait -1
	ds_load_b128 v[2:5], v2 offset:13312
	v_cndmask_b32_e64 v6, v70, v22, s2
	v_cmp_eq_u32_e32 vcc_lo, 0, v0
	s_delay_alu instid0(VALU_DEP_2) | instskip(SKIP_2) | instid1(VALU_DEP_2)
	v_dual_add_nc_u32 v1, v9, v1 :: v_dual_add_nc_u32 v7, v8, v6
	s_wait_dscnt 0x0
	v_mov_b32_e32 v6, v5
	v_dual_cndmask_b32 v1, v1, v9 :: v_dual_cndmask_b32 v22, v7, v8
	v_mov_b32_e32 v8, v3
	s_branch .LBB1151_146
.LBB1151_137:
	v_mov_b32_dpp v1, v68 row_shr:1 row_mask:0xf bank_mask:0xf
	v_mov_b32_dpp v2, v69 row_shr:1 row_mask:0xf bank_mask:0xf
	v_cmp_lt_u32_e32 vcc_lo, 3, v65
	s_delay_alu instid0(VALU_DEP_2) | instskip(NEXT) | instid1(VALU_DEP_1)
	v_dual_add_nc_u32 v1, v1, v68 :: v_dual_add_nc_u32 v2, v2, v69
	v_dual_cndmask_b32 v1, v1, v68, s1 :: v_dual_cndmask_b32 v2, v2, v69, s1
	s_mov_b32 s1, exec_lo
	s_delay_alu instid0(VALU_DEP_1) | instskip(NEXT) | instid1(VALU_DEP_2)
	v_mov_b32_dpp v3, v1 row_shr:2 row_mask:0xf bank_mask:0xf
	v_mov_b32_dpp v4, v2 row_shr:2 row_mask:0xf bank_mask:0xf
	s_delay_alu instid0(VALU_DEP_1) | instskip(NEXT) | instid1(VALU_DEP_1)
	v_dual_add_nc_u32 v3, v1, v3 :: v_dual_add_nc_u32 v4, v2, v4
	v_dual_cndmask_b32 v1, v1, v3, s0 :: v_dual_cndmask_b32 v2, v2, v4, s0
	s_delay_alu instid0(VALU_DEP_1) | instskip(NEXT) | instid1(VALU_DEP_2)
	v_mov_b32_dpp v3, v1 row_shr:4 row_mask:0xf bank_mask:0xf
	v_mov_b32_dpp v4, v2 row_shr:4 row_mask:0xf bank_mask:0xf
	s_delay_alu instid0(VALU_DEP_1) | instskip(NEXT) | instid1(VALU_DEP_1)
	v_dual_add_nc_u32 v3, v1, v3 :: v_dual_add_nc_u32 v4, v2, v4
	v_dual_cndmask_b32 v3, v1, v3 :: v_dual_cndmask_b32 v2, v2, v4
	v_cmp_lt_u32_e32 vcc_lo, 7, v65
	s_delay_alu instid0(VALU_DEP_2) | instskip(NEXT) | instid1(VALU_DEP_3)
	v_mov_b32_dpp v1, v3 row_shr:8 row_mask:0xf bank_mask:0xf
	v_mov_b32_dpp v4, v2 row_shr:8 row_mask:0xf bank_mask:0xf
	s_delay_alu instid0(VALU_DEP_1) | instskip(NEXT) | instid1(VALU_DEP_1)
	v_dual_add_nc_u32 v5, v3, v1 :: v_dual_add_nc_u32 v1, v2, v4
	v_cndmask_b32_e32 v1, v2, v1, vcc_lo
	s_delay_alu instid0(VALU_DEP_2)
	v_cndmask_b32_e32 v2, v3, v5, vcc_lo
	v_cmp_eq_u32_e32 vcc_lo, 0, v67
	ds_swizzle_b32 v4, v2 offset:swizzle(BROADCAST,32,15)
	s_wait_dscnt 0x0
	v_add_nc_u32_e32 v4, v2, v4
	ds_swizzle_b32 v3, v1 offset:swizzle(BROADCAST,32,15)
	s_wait_dscnt 0x0
	v_add_nc_u32_e32 v3, v1, v3
	v_cmpx_eq_u32_e64 v0, v66
; %bb.138:
	s_delay_alu instid0(VALU_DEP_2)
	v_dual_cndmask_b32 v6, v4, v2 :: v_dual_cndmask_b32 v7, v3, v1
	v_lshlrev_b32_e32 v5, 3, v64
	ds_store_b64 v5, v[6:7]
; %bb.139:
	s_or_b32 exec_lo, exec_lo, s1
	s_delay_alu instid0(SALU_CYCLE_1)
	s_mov_b32 s1, exec_lo
	s_wait_dscnt 0x0
	s_barrier_signal -1
	s_barrier_wait -1
	v_cmpx_gt_u32_e32 8, v0
	s_cbranch_execz .LBB1151_141
; %bb.140:
	v_dual_lshlrev_b32 v5, 3, v0 :: v_dual_bitop2_b32 v22, 7, v63 bitop3:0x40
	ds_load_b64 v[6:7], v5
	v_cmp_eq_u32_e64 s0, 0, v22
	s_wait_dscnt 0x0
	v_mov_b32_dpp v8, v6 row_shr:1 row_mask:0xf bank_mask:0xf
	v_mov_b32_dpp v9, v7 row_shr:1 row_mask:0xf bank_mask:0xf
	s_delay_alu instid0(VALU_DEP_1) | instskip(NEXT) | instid1(VALU_DEP_1)
	v_dual_add_nc_u32 v8, v8, v6 :: v_dual_add_nc_u32 v9, v9, v7
	v_dual_cndmask_b32 v6, v8, v6, s0 :: v_dual_cndmask_b32 v7, v9, v7, s0
	v_cmp_lt_u32_e64 s0, 1, v22
	s_delay_alu instid0(VALU_DEP_2) | instskip(NEXT) | instid1(VALU_DEP_3)
	v_mov_b32_dpp v8, v6 row_shr:2 row_mask:0xf bank_mask:0xf
	v_mov_b32_dpp v9, v7 row_shr:2 row_mask:0xf bank_mask:0xf
	s_delay_alu instid0(VALU_DEP_1) | instskip(NEXT) | instid1(VALU_DEP_1)
	v_dual_add_nc_u32 v8, v6, v8 :: v_dual_add_nc_u32 v9, v7, v9
	v_dual_cndmask_b32 v6, v6, v8, s0 :: v_dual_cndmask_b32 v7, v7, v9, s0
	v_cmp_lt_u32_e64 s0, 3, v22
	s_delay_alu instid0(VALU_DEP_2) | instskip(NEXT) | instid1(VALU_DEP_3)
	v_mov_b32_dpp v8, v6 row_shr:4 row_mask:0xf bank_mask:0xf
	v_mov_b32_dpp v9, v7 row_shr:4 row_mask:0xf bank_mask:0xf
	s_delay_alu instid0(VALU_DEP_1) | instskip(NEXT) | instid1(VALU_DEP_1)
	v_dual_cndmask_b32 v8, 0, v8, s0 :: v_dual_cndmask_b32 v9, 0, v9, s0
	v_dual_add_nc_u32 v6, v8, v6 :: v_dual_add_nc_u32 v7, v9, v7
	ds_store_b64 v5, v[6:7]
.LBB1151_141:
	s_or_b32 exec_lo, exec_lo, s1
	v_dual_mov_b32 v5, 0 :: v_dual_mov_b32 v6, 0
	v_mov_b32_e32 v7, 0
	s_mov_b32 s1, exec_lo
	s_wait_dscnt 0x0
	s_barrier_signal -1
	s_barrier_wait -1
	v_cmpx_lt_u32_e32 31, v0
; %bb.142:
	v_lshl_add_u32 v6, v64, 3, -8
	ds_load_b64 v[6:7], v6
; %bb.143:
	s_or_b32 exec_lo, exec_lo, s1
	v_sub_co_u32 v8, s0, v63, 1
	v_dual_cndmask_b32 v2, v4, v2 :: v_dual_cndmask_b32 v1, v3, v1
	v_cmp_eq_u32_e32 vcc_lo, 0, v0
	s_delay_alu instid0(VALU_DEP_3) | instskip(SKIP_1) | instid1(VALU_DEP_1)
	v_cmp_gt_i32_e64 s1, 0, v8
	s_wait_dscnt 0x0
	v_dual_add_nc_u32 v2, v6, v2 :: v_dual_cndmask_b32 v4, v8, v63, s1
	s_delay_alu instid0(VALU_DEP_1)
	v_dual_lshlrev_b32 v3, 2, v4 :: v_dual_add_nc_u32 v4, v7, v1
	ds_bpermute_b32 v1, v3, v2
	ds_bpermute_b32 v8, v3, v4
	ds_load_b64 v[2:3], v5 offset:56
	s_and_saveexec_b32 s1, vcc_lo
	s_cbranch_execz .LBB1151_145
; %bb.144:
	s_wait_kmcnt 0x0
	s_add_nc_u64 s[2:3], s[4:5], 0x200
	v_dual_mov_b32 v4, 2 :: v_dual_mov_b32 v5, 0
	v_mov_b64_e32 v[22:23], s[2:3]
	s_wait_dscnt 0x0
	;;#ASMSTART
	global_store_b128 v[22:23], v[2:5] off scope:SCOPE_DEV	
s_wait_storecnt 0x0
	;;#ASMEND
.LBB1151_145:
	s_or_b32 exec_lo, exec_lo, s1
	s_wait_dscnt 0x1
	v_dual_cndmask_b32 v5, v8, v7, s0 :: v_dual_cndmask_b32 v7, v1, v6, s0
	v_dual_mov_b32 v6, 0 :: v_dual_mov_b32 v4, 0
	s_wait_dscnt 0x0
	v_mov_b32_e32 v8, v3
	s_delay_alu instid0(VALU_DEP_3)
	v_cndmask_b32_e64 v1, v5, 0, vcc_lo
	v_cndmask_b32_e64 v22, v7, 0, vcc_lo
	s_barrier_signal -1
	s_barrier_wait -1
.LBB1151_146:
	s_delay_alu instid0(VALU_DEP_1) | instskip(SKIP_1) | instid1(VALU_DEP_2)
	v_dual_add_nc_u32 v62, v1, v62 :: v_dual_add_nc_u32 v70, v22, v61
	v_dual_mov_b32 v5, 0 :: v_dual_lshrrev_b32 v68, 16, v37
	v_dual_lshrrev_b32 v3, 8, v37 :: v_dual_add_nc_u32 v71, v62, v60
	s_delay_alu instid0(VALU_DEP_3) | instskip(SKIP_1) | instid1(VALU_DEP_3)
	v_dual_add_nc_u32 v59, v70, v59 :: v_dual_lshlrev_b32 v60, 1, v2
	v_dual_sub_nc_u32 v72, v22, v4 :: v_dual_sub_nc_u32 v1, v1, v6
	v_dual_add_nc_u32 v73, v71, v44 :: v_dual_bitop2_b32 v74, 1, v31 bitop3:0x40
	s_delay_alu instid0(VALU_DEP_3) | instskip(NEXT) | instid1(VALU_DEP_3)
	v_dual_add_nc_u32 v58, v59, v58 :: v_dual_bitop2_b32 v75, 1, v3 bitop3:0x40
	v_dual_add_nc_u32 v1, v1, v2 :: v_dual_sub_nc_u32 v70, v70, v4
	s_delay_alu instid0(VALU_DEP_2)
	v_dual_add_nc_u32 v57, v73, v57 :: v_dual_add_nc_u32 v76, v58, v43
	v_mov_b32_e32 v61, v5
	s_wait_kmcnt 0x0
	v_add_nc_u64_e32 v[22:23], s[28:29], v[4:5]
	v_dual_mov_b32 v3, v5 :: v_dual_mov_b32 v7, v5
	v_dual_add_nc_u32 v55, v76, v55 :: v_dual_add_nc_u32 v56, v57, v56
	v_cmp_eq_u32_e32 vcc_lo, 1, v75
	v_dual_lshrrev_b32 v69, 8, v31 :: v_dual_lshrrev_b32 v67, 16, v31
	s_delay_alu instid0(VALU_DEP_3) | instskip(NEXT) | instid1(VALU_DEP_4)
	v_dual_add_nc_u32 v53, v55, v53 :: v_dual_mov_b32 v9, v5
	v_add_nc_u32_e32 v54, v56, v54
	v_add3_u32 v5, v60, v8, v30
	s_delay_alu instid0(VALU_DEP_3) | instskip(NEXT) | instid1(VALU_DEP_3)
	v_dual_sub_nc_u32 v62, v62, v6 :: v_dual_add_nc_u32 v51, v53, v51
	v_dual_add_nc_u32 v78, v72, v1 :: v_dual_add_nc_u32 v77, v54, v42
	s_delay_alu instid0(VALU_DEP_2) | instskip(NEXT) | instid1(VALU_DEP_2)
	v_dual_sub_nc_u32 v59, v59, v4 :: v_dual_add_nc_u32 v62, v62, v2
	v_dual_add_nc_u32 v79, v51, v41 :: v_dual_sub_nc_u32 v78, v5, v78
	s_delay_alu instid0(VALU_DEP_3) | instskip(SKIP_1) | instid1(VALU_DEP_3)
	v_add_nc_u32_e32 v52, v77, v52
	v_dual_sub_nc_u32 v73, v73, v6 :: v_dual_sub_nc_u32 v58, v58, v4
	v_add_nc_u32_e32 v48, v79, v48
	s_delay_alu instid0(VALU_DEP_4) | instskip(SKIP_2) | instid1(VALU_DEP_4)
	v_dual_sub_nc_u32 v71, v71, v6 :: v_dual_cndmask_b32 v1, v78, v1, vcc_lo
	v_cmp_eq_u32_e32 vcc_lo, 1, v74
	v_add_nc_u32_e32 v50, v52, v50
	v_dual_add_nc_u32 v80, v62, v70 :: v_dual_add_nc_u32 v47, v48, v47
	v_dual_lshrrev_b32 v66, 8, v32 :: v_dual_lshrrev_b32 v65, 16, v32
	v_dual_cndmask_b32 v1, v1, v72, vcc_lo :: v_dual_add_nc_u32 v71, v71, v2
	s_delay_alu instid0(VALU_DEP_3) | instskip(NEXT) | instid1(VALU_DEP_4)
	v_dual_add_nc_u32 v49, v50, v49 :: v_dual_add_nc_u32 v46, v47, v46
	v_sub_nc_u32_e32 v74, v5, v80
	s_delay_alu instid0(VALU_DEP_3) | instskip(NEXT) | instid1(VALU_DEP_3)
	v_dual_add_nc_u32 v75, v71, v59 :: v_dual_bitop2_b32 v68, 1, v68 bitop3:0x40
	v_dual_add_nc_u32 v72, v49, v40 :: v_dual_bitop2_b32 v69, 1, v69 bitop3:0x40
	s_delay_alu instid0(VALU_DEP_3) | instskip(NEXT) | instid1(VALU_DEP_3)
	v_add_nc_u32_e32 v74, 1, v74
	v_cmp_eq_u32_e32 vcc_lo, 1, v68
	s_delay_alu instid0(VALU_DEP_3) | instskip(SKIP_1) | instid1(VALU_DEP_4)
	v_dual_sub_nc_u32 v75, v5, v75 :: v_dual_add_nc_u32 v45, v72, v45
	v_dual_add_nc_u32 v68, v73, v2 :: v_dual_bitop2_b32 v44, 1, v44 bitop3:0x40
	v_cndmask_b32_e32 v62, v74, v62, vcc_lo
	v_cmp_eq_u32_e32 vcc_lo, 1, v69
	s_delay_alu instid0(VALU_DEP_3)
	v_dual_add_nc_u32 v73, 2, v75 :: v_dual_add_nc_u32 v69, v58, v68
	v_dual_lshlrev_b32 v1, 2, v1 :: v_dual_bitop2_b32 v67, 1, v67 bitop3:0x40
	v_add_nc_u32_e32 v78, v46, v39
	v_cndmask_b32_e32 v62, v62, v70, vcc_lo
	v_cmp_eq_u32_e32 vcc_lo, 1, v44
	v_dual_sub_nc_u32 v57, v57, v6 :: v_dual_bitop2_b32 v43, 1, v43 bitop3:0x40
	ds_store_b32 v1, v20
	v_dual_lshlrev_b32 v20, 2, v62 :: v_dual_cndmask_b32 v44, v73, v71, vcc_lo
	v_cmp_eq_u32_e32 vcc_lo, 1, v67
	v_sub_nc_u32_e32 v1, v5, v69
	v_dual_lshrrev_b32 v63, 16, v33 :: v_dual_lshrrev_b32 v64, 8, v33
	ds_store_b32 v20, v21
	v_dual_cndmask_b32 v44, v44, v59, vcc_lo :: v_dual_bitop2_b32 v32, 1, v32 bitop3:0x40
	v_dual_add_nc_u32 v1, 3, v1 :: v_dual_add_nc_u32 v57, v57, v2
	v_dual_sub_nc_u32 v54, v54, v6 :: v_dual_lshrrev_b32 v25, 16, v35
	v_lshrrev_b32_e32 v27, 8, v35
	s_delay_alu instid0(VALU_DEP_4)
	v_cmp_eq_u32_e32 vcc_lo, 1, v32
	v_sub_nc_u32_e32 v56, v56, v6
	v_sub_nc_u32_e32 v32, v76, v4
	v_dual_lshrrev_b32 v26, 8, v36 :: v_dual_lshrrev_b32 v24, 16, v36
	v_cndmask_b32_e32 v1, v1, v68, vcc_lo
	v_cmp_eq_u32_e32 vcc_lo, 1, v43
	v_dual_sub_nc_u32 v55, v55, v4 :: v_dual_add_nc_u32 v56, v56, v2
	v_dual_add_nc_u32 v43, v32, v57 :: v_dual_lshlrev_b32 v21, 2, v44
	s_delay_alu instid0(VALU_DEP_4) | instskip(NEXT) | instid1(VALU_DEP_2)
	v_dual_cndmask_b32 v1, v1, v58, vcc_lo :: v_dual_bitop2_b32 v58, 1, v65 bitop3:0x40
	v_dual_add_nc_u32 v20, v55, v56 :: v_dual_sub_nc_u32 v43, v5, v43
	s_delay_alu instid0(VALU_DEP_2) | instskip(NEXT) | instid1(VALU_DEP_2)
	v_dual_lshlrev_b32 v1, 2, v1 :: v_dual_bitop2_b32 v44, 1, v66 bitop3:0x40
	v_dual_sub_nc_u32 v20, v5, v20 :: v_dual_bitop2_b32 v33, 1, v33 bitop3:0x40
	s_delay_alu instid0(VALU_DEP_3) | instskip(NEXT) | instid1(VALU_DEP_3)
	v_add_nc_u32_e32 v43, 4, v43
	v_cmp_eq_u32_e32 vcc_lo, 1, v44
	v_dual_sub_nc_u32 v53, v53, v4 :: v_dual_add_nc_u32 v54, v54, v2
	s_delay_alu instid0(VALU_DEP_4)
	v_add_nc_u32_e32 v20, 5, v20
	ds_store_b32 v21, v18
	v_cndmask_b32_e32 v43, v43, v57, vcc_lo
	v_cmp_eq_u32_e32 vcc_lo, 1, v58
	v_and_b32_e32 v44, 1, v64
	ds_store_b32 v1, v19
	v_and_b32_e32 v21, 1, v63
	v_sub_nc_u64_e32 v[30:31], s[30:31], v[2:3]
	v_dual_cndmask_b32 v20, v20, v56, vcc_lo :: v_dual_add_nc_u32 v56, v53, v54
	v_cmp_eq_u32_e32 vcc_lo, 1, v33
	v_sub_nc_u32_e32 v33, v52, v6
	s_mov_b32 s41, 0
	s_delay_alu instid0(VALU_DEP_3)
	v_dual_sub_nc_u32 v18, v5, v56 :: v_dual_bitop2_b32 v27, 1, v27 bitop3:0x40
	v_cndmask_b32_e32 v32, v43, v32, vcc_lo
	v_cmp_eq_u32_e32 vcc_lo, 1, v44
	v_add_nc_u64_e32 v[30:31], v[30:31], v[6:7]
	s_add_nc_u64 s[0:1], s[34:35], s[40:41]
	v_dual_add_nc_u32 v18, 6, v18 :: v_dual_cndmask_b32 v20, v20, v55, vcc_lo
	v_dual_lshlrev_b32 v1, 2, v32 :: v_dual_sub_nc_u32 v32, v77, v6
	s_delay_alu instid0(VALU_DEP_2)
	v_dual_lshlrev_b32 v19, 2, v20 :: v_dual_bitop2_b32 v20, 1, v42 bitop3:0x40
	v_sub_nc_u32_e32 v42, v79, v4
	ds_store_b32 v1, v16
	ds_store_b32 v19, v17
	v_cmp_eq_u32_e32 vcc_lo, 1, v20
	v_dual_sub_nc_u32 v20, v51, v4 :: v_dual_add_nc_u32 v32, v32, v2
	v_dual_add_nc_u32 v33, v33, v2 :: v_dual_bitop2_b32 v19, 1, v35 bitop3:0x40
	v_cndmask_b32_e32 v18, v18, v54, vcc_lo
	v_cmp_eq_u32_e32 vcc_lo, 1, v21
	s_delay_alu instid0(VALU_DEP_4) | instskip(NEXT) | instid1(VALU_DEP_3)
	v_add_nc_u32_e32 v21, v20, v32
	v_dual_cndmask_b32 v18, v18, v53 :: v_dual_sub_nc_u32 v35, v48, v4
	v_add_nc_u32_e32 v1, v42, v33
	s_delay_alu instid0(VALU_DEP_3) | instskip(SKIP_1) | instid1(VALU_DEP_4)
	v_dual_sub_nc_u32 v17, v5, v21 :: v_dual_sub_nc_u32 v21, v50, v6
	v_cmp_eq_u32_e32 vcc_lo, 1, v19
	v_dual_lshlrev_b32 v16, 2, v18 :: v_dual_bitop2_b32 v18, 1, v41 bitop3:0x40
	s_delay_alu instid0(VALU_DEP_4) | instskip(NEXT) | instid1(VALU_DEP_4)
	v_sub_nc_u32_e32 v1, v5, v1
	v_dual_add_nc_u32 v17, 7, v17 :: v_dual_add_nc_u32 v21, v21, v2
	ds_store_b32 v16, v14
	v_dual_add_nc_u32 v1, 8, v1 :: v_dual_cndmask_b32 v17, v17, v32, vcc_lo
	v_cmp_eq_u32_e32 vcc_lo, 1, v27
	v_dual_add_nc_u32 v27, v35, v21 :: v_dual_bitop2_b32 v19, 1, v36 bitop3:0x40
	s_delay_alu instid0(VALU_DEP_3) | instskip(SKIP_1) | instid1(VALU_DEP_3)
	v_cndmask_b32_e32 v1, v1, v33, vcc_lo
	v_cmp_eq_u32_e32 vcc_lo, 1, v18
	v_dual_sub_nc_u32 v14, v5, v27 :: v_dual_bitop2_b32 v18, 1, v25 bitop3:0x40
	v_cndmask_b32_e32 v17, v17, v20, vcc_lo
	v_cmp_eq_u32_e32 vcc_lo, 1, v19
	v_dual_sub_nc_u32 v19, v47, v4 :: v_dual_cndmask_b32 v1, v1, v42, vcc_lo
	s_delay_alu instid0(VALU_DEP_4) | instskip(NEXT) | instid1(VALU_DEP_2)
	v_cmp_eq_u32_e32 vcc_lo, 1, v18
	v_lshlrev_b32_e32 v1, 2, v1
	v_dual_lshlrev_b32 v16, 2, v17 :: v_dual_sub_nc_u32 v17, v49, v6
	ds_store_b32 v16, v15
	v_add_nc_u32_e32 v17, v17, v2
	v_add_nc_u32_e32 v14, 9, v14
	ds_store_b32 v1, v12
	v_dual_sub_nc_u32 v16, v45, v6 :: v_dual_add_nc_u32 v15, v19, v17
	v_dual_cndmask_b32 v14, v14, v21, vcc_lo :: v_dual_bitop2_b32 v20, 1, v26 bitop3:0x40
	v_sub_nc_u32_e32 v12, v72, v6
	s_delay_alu instid0(VALU_DEP_3) | instskip(NEXT) | instid1(VALU_DEP_3)
	v_add_nc_u32_e32 v16, v16, v2
	v_cmp_eq_u32_e32 vcc_lo, 1, v20
	v_sub_nc_u32_e32 v20, v78, v4
	v_cndmask_b32_e32 v1, v14, v35, vcc_lo
	v_dual_sub_nc_u32 v14, v5, v15 :: v_dual_bitop2_b32 v15, 1, v40 bitop3:0x40
	v_dual_sub_nc_u32 v18, v46, v4 :: v_dual_add_nc_u32 v12, v12, v2
	s_delay_alu instid0(VALU_DEP_2) | instskip(NEXT) | instid1(VALU_DEP_3)
	v_dual_add_nc_u32 v14, 10, v14 :: v_dual_bitop2_b32 v4, 1, v24 bitop3:0x40
	v_cmp_eq_u32_e32 vcc_lo, 1, v15
	v_add_nc_u32_e32 v15, v20, v16
	s_delay_alu instid0(VALU_DEP_4) | instskip(NEXT) | instid1(VALU_DEP_4)
	v_dual_add_nc_u32 v21, v18, v12 :: v_dual_lshlrev_b32 v1, 2, v1
	v_cndmask_b32_e32 v14, v14, v17, vcc_lo
	v_cmp_eq_u32_e32 vcc_lo, 1, v4
	s_delay_alu instid0(VALU_DEP_3) | instskip(SKIP_4) | instid1(VALU_DEP_3)
	v_dual_sub_nc_u32 v17, v5, v21 :: v_dual_sub_nc_u32 v4, v5, v15
	ds_store_b32 v1, v13
	v_dual_cndmask_b32 v14, v14, v19, vcc_lo :: v_dual_bitop2_b32 v19, 1, v34 bitop3:0x40
	v_dual_add_nc_u32 v17, 11, v17 :: v_dual_bitop2_b32 v15, 1, v39 bitop3:0x40
	v_dual_add_nc_u32 v24, 12, v4 :: v_dual_bitop2_b32 v21, 1, v38 bitop3:0x40
	v_cmp_eq_u32_e32 vcc_lo, 1, v19
	v_add_nc_u64_e32 v[4:5], v[8:9], v[60:61]
	s_delay_alu instid0(VALU_DEP_4) | instskip(SKIP_2) | instid1(VALU_DEP_4)
	v_dual_lshlrev_b32 v14, 2, v14 :: v_dual_cndmask_b32 v12, v17, v12, vcc_lo
	v_and_b32_e32 v17, 1, v37
	v_cmp_eq_u32_e32 vcc_lo, 1, v21
	v_add_nc_u64_e32 v[4:5], v[4:5], v[30:31]
	ds_store_b32 v14, v10
	v_cndmask_b32_e32 v16, v24, v16, vcc_lo
	v_cmp_eq_u32_e32 vcc_lo, 1, v15
	v_add_nc_u64_e32 v[4:5], v[4:5], v[22:23]
	v_cndmask_b32_e32 v12, v12, v18, vcc_lo
	v_cmp_eq_u32_e32 vcc_lo, 1, v17
	v_cndmask_b32_e32 v15, v16, v20, vcc_lo
	v_cmp_ne_u32_e32 vcc_lo, 1, v29
	s_delay_alu instid0(VALU_DEP_2)
	v_dual_lshlrev_b32 v10, 2, v15 :: v_dual_lshlrev_b32 v1, 2, v12
	v_lshlrev_b64_e32 v[12:13], 2, v[30:31]
	v_lshlrev_b64_e32 v[14:15], 2, v[22:23]
	s_and_b32 vcc_lo, exec_lo, vcc_lo
	ds_store_b32 v1, v11
	ds_store_b32 v10, v28
	v_sub_nc_u64_e32 v[10:11], s[0:1], v[4:5]
	v_add_nc_u64_e32 v[4:5], s[38:39], v[12:13]
	v_add_nc_u64_e32 v[12:13], s[36:37], v[14:15]
	v_add_nc_u32_e32 v14, v2, v8
	s_mov_b32 s0, -1
	s_wait_dscnt 0x0
	s_barrier_signal -1
	s_barrier_wait -1
	s_cbranch_vccz .LBB1151_150
; %bb.147:
	s_and_b32 vcc_lo, exec_lo, s0
	s_cbranch_vccnz .LBB1151_255
.LBB1151_148:
	v_cmp_eq_u32_e32 vcc_lo, 0, v0
	s_and_b32 s0, vcc_lo, s15
	s_delay_alu instid0(SALU_CYCLE_1)
	s_and_saveexec_b32 s1, s0
	s_cbranch_execnz .LBB1151_373
.LBB1151_149:
	s_sendmsg sendmsg(MSG_DEALLOC_VGPRS)
	s_endpgm
.LBB1151_150:
	s_mov_b32 s0, exec_lo
	v_cmpx_ge_u32_e64 v0, v2
	s_xor_b32 s0, exec_lo, s0
	s_cbranch_execz .LBB1151_156
; %bb.151:
	v_mov_b32_e32 v1, 0
	s_mov_b32 s1, exec_lo
	v_cmpx_ge_u32_e64 v0, v14
	s_xor_b32 s1, exec_lo, s1
	s_cbranch_execz .LBB1151_153
; %bb.152:
	v_lshlrev_b32_e32 v15, 2, v0
	v_add_nc_u64_e32 v[16:17], v[10:11], v[0:1]
	ds_load_b32 v1, v15
	v_lshlrev_b64_e32 v[16:17], 2, v[16:17]
	s_delay_alu instid0(VALU_DEP_1)
	v_sub_nc_u64_e32 v[16:17], s[26:27], v[16:17]
	s_wait_dscnt 0x0
	global_store_b32 v[16:17], v1, off offset:-4
.LBB1151_153:
	s_wait_xcnt 0x0
	s_and_not1_saveexec_b32 s1, s1
	s_cbranch_execz .LBB1151_155
; %bb.154:
	v_lshlrev_b32_e32 v1, 2, v0
	v_readfirstlane_b32 s2, v4
	v_readfirstlane_b32 s3, v5
	ds_load_b32 v1, v1
	s_wait_dscnt 0x0
	global_store_b32 v0, v1, s[2:3] scale_offset
.LBB1151_155:
	s_wait_xcnt 0x0
	s_or_b32 exec_lo, exec_lo, s1
.LBB1151_156:
	s_and_not1_saveexec_b32 s0, s0
	s_cbranch_execz .LBB1151_158
; %bb.157:
	v_lshlrev_b32_e32 v1, 2, v0
	v_readfirstlane_b32 s2, v12
	v_readfirstlane_b32 s3, v13
	ds_load_b32 v1, v1
	s_wait_dscnt 0x0
	global_store_b32 v0, v1, s[2:3] scale_offset
.LBB1151_158:
	s_wait_xcnt 0x0
	s_or_b32 exec_lo, exec_lo, s0
	v_or_b32_e32 v1, 0x100, v0
	s_mov_b32 s0, exec_lo
	s_delay_alu instid0(VALU_DEP_1)
	v_cmpx_ge_u32_e64 v1, v2
	s_xor_b32 s0, exec_lo, s0
	s_cbranch_execz .LBB1151_164
; %bb.159:
	s_mov_b32 s1, exec_lo
	v_cmpx_ge_u32_e64 v1, v14
	s_xor_b32 s1, exec_lo, s1
	s_cbranch_execz .LBB1151_161
; %bb.160:
	v_dual_mov_b32 v1, 0 :: v_dual_lshlrev_b32 v15, 2, v0
	s_delay_alu instid0(VALU_DEP_1) | instskip(SKIP_2) | instid1(VALU_DEP_1)
	v_add_nc_u64_e32 v[16:17], v[10:11], v[0:1]
	ds_load_b32 v1, v15 offset:1024
	v_lshlrev_b64_e32 v[16:17], 2, v[16:17]
	v_sub_nc_u64_e32 v[16:17], s[26:27], v[16:17]
	s_wait_dscnt 0x0
	global_store_b32 v[16:17], v1, off offset:-1028
.LBB1151_161:
	s_wait_xcnt 0x0
	s_and_not1_saveexec_b32 s1, s1
	s_cbranch_execz .LBB1151_163
; %bb.162:
	v_lshlrev_b32_e32 v1, 2, v0
	v_readfirstlane_b32 s2, v4
	v_readfirstlane_b32 s3, v5
	ds_load_b32 v1, v1 offset:1024
	s_wait_dscnt 0x0
	global_store_b32 v0, v1, s[2:3] offset:1024 scale_offset
.LBB1151_163:
	s_wait_xcnt 0x0
	s_or_b32 exec_lo, exec_lo, s1
.LBB1151_164:
	s_and_not1_saveexec_b32 s0, s0
	s_cbranch_execz .LBB1151_166
; %bb.165:
	v_lshlrev_b32_e32 v1, 2, v0
	v_readfirstlane_b32 s2, v12
	v_readfirstlane_b32 s3, v13
	ds_load_b32 v1, v1 offset:1024
	s_wait_dscnt 0x0
	global_store_b32 v0, v1, s[2:3] offset:1024 scale_offset
.LBB1151_166:
	s_wait_xcnt 0x0
	s_or_b32 exec_lo, exec_lo, s0
	v_or_b32_e32 v1, 0x200, v0
	s_mov_b32 s0, exec_lo
	s_delay_alu instid0(VALU_DEP_1)
	v_cmpx_ge_u32_e64 v1, v2
	s_xor_b32 s0, exec_lo, s0
	s_cbranch_execz .LBB1151_172
; %bb.167:
	s_mov_b32 s1, exec_lo
	v_cmpx_ge_u32_e64 v1, v14
	s_xor_b32 s1, exec_lo, s1
	s_cbranch_execz .LBB1151_169
; %bb.168:
	v_dual_mov_b32 v1, 0 :: v_dual_lshlrev_b32 v15, 2, v0
	s_delay_alu instid0(VALU_DEP_1) | instskip(SKIP_2) | instid1(VALU_DEP_1)
	v_add_nc_u64_e32 v[16:17], v[10:11], v[0:1]
	ds_load_b32 v1, v15 offset:2048
	v_lshlrev_b64_e32 v[16:17], 2, v[16:17]
	v_sub_nc_u64_e32 v[16:17], s[26:27], v[16:17]
	s_wait_dscnt 0x0
	global_store_b32 v[16:17], v1, off offset:-2052
.LBB1151_169:
	s_wait_xcnt 0x0
	s_and_not1_saveexec_b32 s1, s1
	s_cbranch_execz .LBB1151_171
; %bb.170:
	v_lshlrev_b32_e32 v1, 2, v0
	v_readfirstlane_b32 s2, v4
	v_readfirstlane_b32 s3, v5
	ds_load_b32 v1, v1 offset:2048
	s_wait_dscnt 0x0
	global_store_b32 v0, v1, s[2:3] offset:2048 scale_offset
.LBB1151_171:
	s_wait_xcnt 0x0
	s_or_b32 exec_lo, exec_lo, s1
.LBB1151_172:
	s_and_not1_saveexec_b32 s0, s0
	s_cbranch_execz .LBB1151_174
; %bb.173:
	v_lshlrev_b32_e32 v1, 2, v0
	v_readfirstlane_b32 s2, v12
	v_readfirstlane_b32 s3, v13
	ds_load_b32 v1, v1 offset:2048
	s_wait_dscnt 0x0
	global_store_b32 v0, v1, s[2:3] offset:2048 scale_offset
.LBB1151_174:
	;; [unrolled: 47-line block ×12, first 2 shown]
	s_wait_xcnt 0x0
	s_or_b32 exec_lo, exec_lo, s0
	s_branch .LBB1151_148
.LBB1151_255:
	s_mov_b32 s0, exec_lo
	v_cmpx_gt_u32_e64 s6, v0
	s_cbranch_execz .LBB1151_264
; %bb.256:
	s_mov_b32 s1, exec_lo
	v_cmpx_ge_u32_e64 v0, v2
	s_xor_b32 s1, exec_lo, s1
	s_cbranch_execz .LBB1151_262
; %bb.257:
	v_mov_b32_e32 v1, 0
	s_mov_b32 s2, exec_lo
	v_cmpx_ge_u32_e64 v0, v14
	s_xor_b32 s2, exec_lo, s2
	s_cbranch_execz .LBB1151_259
; %bb.258:
	v_lshlrev_b32_e32 v15, 2, v0
	v_add_nc_u64_e32 v[16:17], v[10:11], v[0:1]
	ds_load_b32 v1, v15
	v_lshlrev_b64_e32 v[16:17], 2, v[16:17]
	s_delay_alu instid0(VALU_DEP_1)
	v_sub_nc_u64_e32 v[16:17], s[26:27], v[16:17]
	s_wait_dscnt 0x0
	global_store_b32 v[16:17], v1, off offset:-4
.LBB1151_259:
	s_wait_xcnt 0x0
	s_and_not1_saveexec_b32 s2, s2
	s_cbranch_execz .LBB1151_261
; %bb.260:
	v_lshlrev_b32_e32 v1, 2, v0
	v_readfirstlane_b32 s4, v4
	v_readfirstlane_b32 s5, v5
	ds_load_b32 v1, v1
	s_wait_dscnt 0x0
	global_store_b32 v0, v1, s[4:5] scale_offset
.LBB1151_261:
	s_wait_xcnt 0x0
	s_or_b32 exec_lo, exec_lo, s2
.LBB1151_262:
	s_and_not1_saveexec_b32 s1, s1
	s_cbranch_execz .LBB1151_264
; %bb.263:
	v_lshlrev_b32_e32 v1, 2, v0
	v_readfirstlane_b32 s2, v12
	v_readfirstlane_b32 s3, v13
	ds_load_b32 v1, v1
	s_wait_dscnt 0x0
	global_store_b32 v0, v1, s[2:3] scale_offset
.LBB1151_264:
	s_wait_xcnt 0x0
	s_or_b32 exec_lo, exec_lo, s0
	v_or_b32_e32 v1, 0x100, v0
	s_mov_b32 s0, exec_lo
	s_delay_alu instid0(VALU_DEP_1)
	v_cmpx_gt_u32_e64 s6, v1
	s_cbranch_execz .LBB1151_273
; %bb.265:
	s_mov_b32 s1, exec_lo
	v_cmpx_ge_u32_e64 v1, v2
	s_xor_b32 s1, exec_lo, s1
	s_cbranch_execz .LBB1151_271
; %bb.266:
	s_mov_b32 s2, exec_lo
	v_cmpx_ge_u32_e64 v1, v14
	s_xor_b32 s2, exec_lo, s2
	s_cbranch_execz .LBB1151_268
; %bb.267:
	v_dual_mov_b32 v1, 0 :: v_dual_lshlrev_b32 v15, 2, v0
	s_delay_alu instid0(VALU_DEP_1) | instskip(SKIP_2) | instid1(VALU_DEP_1)
	v_add_nc_u64_e32 v[16:17], v[10:11], v[0:1]
	ds_load_b32 v1, v15 offset:1024
	v_lshlrev_b64_e32 v[16:17], 2, v[16:17]
	v_sub_nc_u64_e32 v[16:17], s[26:27], v[16:17]
	s_wait_dscnt 0x0
	global_store_b32 v[16:17], v1, off offset:-1028
.LBB1151_268:
	s_wait_xcnt 0x0
	s_and_not1_saveexec_b32 s2, s2
	s_cbranch_execz .LBB1151_270
; %bb.269:
	v_lshlrev_b32_e32 v1, 2, v0
	v_readfirstlane_b32 s4, v4
	v_readfirstlane_b32 s5, v5
	ds_load_b32 v1, v1 offset:1024
	s_wait_dscnt 0x0
	global_store_b32 v0, v1, s[4:5] offset:1024 scale_offset
.LBB1151_270:
	s_wait_xcnt 0x0
	s_or_b32 exec_lo, exec_lo, s2
.LBB1151_271:
	s_and_not1_saveexec_b32 s1, s1
	s_cbranch_execz .LBB1151_273
; %bb.272:
	v_lshlrev_b32_e32 v1, 2, v0
	v_readfirstlane_b32 s2, v12
	v_readfirstlane_b32 s3, v13
	ds_load_b32 v1, v1 offset:1024
	s_wait_dscnt 0x0
	global_store_b32 v0, v1, s[2:3] offset:1024 scale_offset
.LBB1151_273:
	s_wait_xcnt 0x0
	s_or_b32 exec_lo, exec_lo, s0
	v_or_b32_e32 v1, 0x200, v0
	s_mov_b32 s0, exec_lo
	s_delay_alu instid0(VALU_DEP_1)
	v_cmpx_gt_u32_e64 s6, v1
	s_cbranch_execz .LBB1151_282
; %bb.274:
	s_mov_b32 s1, exec_lo
	v_cmpx_ge_u32_e64 v1, v2
	s_xor_b32 s1, exec_lo, s1
	s_cbranch_execz .LBB1151_280
; %bb.275:
	s_mov_b32 s2, exec_lo
	v_cmpx_ge_u32_e64 v1, v14
	s_xor_b32 s2, exec_lo, s2
	s_cbranch_execz .LBB1151_277
; %bb.276:
	v_dual_mov_b32 v1, 0 :: v_dual_lshlrev_b32 v15, 2, v0
	s_delay_alu instid0(VALU_DEP_1) | instskip(SKIP_2) | instid1(VALU_DEP_1)
	v_add_nc_u64_e32 v[16:17], v[10:11], v[0:1]
	ds_load_b32 v1, v15 offset:2048
	v_lshlrev_b64_e32 v[16:17], 2, v[16:17]
	v_sub_nc_u64_e32 v[16:17], s[26:27], v[16:17]
	s_wait_dscnt 0x0
	global_store_b32 v[16:17], v1, off offset:-2052
.LBB1151_277:
	s_wait_xcnt 0x0
	s_and_not1_saveexec_b32 s2, s2
	s_cbranch_execz .LBB1151_279
; %bb.278:
	v_lshlrev_b32_e32 v1, 2, v0
	v_readfirstlane_b32 s4, v4
	v_readfirstlane_b32 s5, v5
	ds_load_b32 v1, v1 offset:2048
	s_wait_dscnt 0x0
	global_store_b32 v0, v1, s[4:5] offset:2048 scale_offset
.LBB1151_279:
	s_wait_xcnt 0x0
	s_or_b32 exec_lo, exec_lo, s2
.LBB1151_280:
	s_and_not1_saveexec_b32 s1, s1
	s_cbranch_execz .LBB1151_282
; %bb.281:
	v_lshlrev_b32_e32 v1, 2, v0
	v_readfirstlane_b32 s2, v12
	v_readfirstlane_b32 s3, v13
	ds_load_b32 v1, v1 offset:2048
	s_wait_dscnt 0x0
	global_store_b32 v0, v1, s[2:3] offset:2048 scale_offset
.LBB1151_282:
	;; [unrolled: 51-line block ×11, first 2 shown]
	s_wait_xcnt 0x0
	s_or_b32 exec_lo, exec_lo, s0
	v_or_b32_e32 v1, 0xc00, v0
	s_mov_b32 s0, exec_lo
	s_delay_alu instid0(VALU_DEP_1)
	v_cmpx_gt_u32_e64 s6, v1
	s_cbranch_execz .LBB1151_372
; %bb.364:
	s_mov_b32 s1, exec_lo
	v_cmpx_ge_u32_e64 v1, v2
	s_xor_b32 s1, exec_lo, s1
	s_cbranch_execz .LBB1151_370
; %bb.365:
	s_mov_b32 s2, exec_lo
	v_cmpx_ge_u32_e64 v1, v14
	s_xor_b32 s2, exec_lo, s2
	s_cbranch_execz .LBB1151_367
; %bb.366:
	v_dual_mov_b32 v1, 0 :: v_dual_lshlrev_b32 v12, 2, v0
	s_delay_alu instid0(VALU_DEP_1) | instskip(SKIP_2) | instid1(VALU_DEP_1)
	v_add_nc_u64_e32 v[4:5], v[10:11], v[0:1]
	ds_load_b32 v1, v12 offset:12288
	v_lshlrev_b64_e32 v[4:5], 2, v[4:5]
	v_sub_nc_u64_e32 v[4:5], s[26:27], v[4:5]
	s_wait_dscnt 0x0
	global_store_b32 v[4:5], v1, off offset:-12292
                                        ; implicit-def: $vgpr4_vgpr5
.LBB1151_367:
	s_wait_xcnt 0x0
	s_and_not1_saveexec_b32 s2, s2
	s_cbranch_execz .LBB1151_369
; %bb.368:
	v_lshlrev_b32_e32 v1, 2, v0
	v_readfirstlane_b32 s4, v4
	v_readfirstlane_b32 s5, v5
	ds_load_b32 v1, v1 offset:12288
	s_wait_dscnt 0x0
	global_store_b32 v0, v1, s[4:5] offset:12288 scale_offset
.LBB1151_369:
	s_wait_xcnt 0x0
	s_or_b32 exec_lo, exec_lo, s2
                                        ; implicit-def: $vgpr12_vgpr13
.LBB1151_370:
	s_and_not1_saveexec_b32 s1, s1
	s_cbranch_execz .LBB1151_372
; %bb.371:
	v_lshlrev_b32_e32 v1, 2, v0
	v_readfirstlane_b32 s2, v12
	v_readfirstlane_b32 s3, v13
	ds_load_b32 v1, v1 offset:12288
	s_wait_dscnt 0x0
	global_store_b32 v0, v1, s[2:3] offset:12288 scale_offset
.LBB1151_372:
	s_wait_xcnt 0x0
	s_or_b32 exec_lo, exec_lo, s0
	v_cmp_eq_u32_e32 vcc_lo, 0, v0
	s_and_b32 s0, vcc_lo, s15
	s_delay_alu instid0(SALU_CYCLE_1)
	s_and_saveexec_b32 s1, s0
	s_cbranch_execz .LBB1151_149
.LBB1151_373:
	v_add_nc_u64_e32 v[0:1], s[30:31], v[8:9]
	v_add_nc_u64_e32 v[2:3], v[22:23], v[2:3]
	s_delay_alu instid0(VALU_DEP_2)
	v_add_nc_u64_e32 v[4:5], v[0:1], v[6:7]
	v_mov_b32_e32 v0, 0
	global_store_b128 v0, v[2:5], s[24:25]
	s_sendmsg sendmsg(MSG_DEALLOC_VGPRS)
	s_endpgm
	.section	.rodata,"a",@progbits
	.p2align	6, 0x0
	.amdhsa_kernel _ZN7rocprim17ROCPRIM_400000_NS6detail17trampoline_kernelINS0_13select_configILj256ELj13ELNS0_17block_load_methodE3ELS4_3ELS4_3ELNS0_20block_scan_algorithmE0ELj4294967295EEENS1_25partition_config_selectorILNS1_17partition_subalgoE4EjNS0_10empty_typeEbEEZZNS1_14partition_implILS8_4ELb0ES6_15HIP_vector_typeIjLj2EENS0_17counting_iteratorIjlEEPS9_SG_NS0_5tupleIJPjSI_NS0_16reverse_iteratorISI_EEEEENSH_IJSG_SG_SG_EEES9_SI_JZNS1_25segmented_radix_sort_implINS0_14default_configELb0EPKdPdPKlPlN2at6native12_GLOBAL__N_18offset_tEEE10hipError_tPvRmT1_PNSt15iterator_traitsIS12_E10value_typeET2_T3_PNS13_IS18_E10value_typeET4_jRbjT5_S1E_jjP12ihipStream_tbEUljE_ZNSN_ISO_Lb0ESQ_SR_ST_SU_SY_EESZ_S10_S11_S12_S16_S17_S18_S1B_S1C_jS1D_jS1E_S1E_jjS1G_bEUljE0_EEESZ_S10_S11_S18_S1C_S1E_T6_T7_T9_mT8_S1G_bDpT10_ENKUlT_T0_E_clISt17integral_constantIbLb0EES1U_EEDaS1P_S1Q_EUlS1P_E_NS1_11comp_targetILNS1_3genE0ELNS1_11target_archE4294967295ELNS1_3gpuE0ELNS1_3repE0EEENS1_30default_config_static_selectorELNS0_4arch9wavefront6targetE0EEEvS12_
		.amdhsa_group_segment_fixed_size 13328
		.amdhsa_private_segment_fixed_size 0
		.amdhsa_kernarg_size 176
		.amdhsa_user_sgpr_count 2
		.amdhsa_user_sgpr_dispatch_ptr 0
		.amdhsa_user_sgpr_queue_ptr 0
		.amdhsa_user_sgpr_kernarg_segment_ptr 1
		.amdhsa_user_sgpr_dispatch_id 0
		.amdhsa_user_sgpr_kernarg_preload_length 0
		.amdhsa_user_sgpr_kernarg_preload_offset 0
		.amdhsa_user_sgpr_private_segment_size 0
		.amdhsa_wavefront_size32 1
		.amdhsa_uses_dynamic_stack 0
		.amdhsa_enable_private_segment 0
		.amdhsa_system_sgpr_workgroup_id_x 1
		.amdhsa_system_sgpr_workgroup_id_y 0
		.amdhsa_system_sgpr_workgroup_id_z 0
		.amdhsa_system_sgpr_workgroup_info 0
		.amdhsa_system_vgpr_workitem_id 0
		.amdhsa_next_free_vgpr 81
		.amdhsa_next_free_sgpr 59
		.amdhsa_named_barrier_count 0
		.amdhsa_reserve_vcc 1
		.amdhsa_float_round_mode_32 0
		.amdhsa_float_round_mode_16_64 0
		.amdhsa_float_denorm_mode_32 3
		.amdhsa_float_denorm_mode_16_64 3
		.amdhsa_fp16_overflow 0
		.amdhsa_memory_ordered 1
		.amdhsa_forward_progress 1
		.amdhsa_inst_pref_size 139
		.amdhsa_round_robin_scheduling 0
		.amdhsa_exception_fp_ieee_invalid_op 0
		.amdhsa_exception_fp_denorm_src 0
		.amdhsa_exception_fp_ieee_div_zero 0
		.amdhsa_exception_fp_ieee_overflow 0
		.amdhsa_exception_fp_ieee_underflow 0
		.amdhsa_exception_fp_ieee_inexact 0
		.amdhsa_exception_int_div_zero 0
	.end_amdhsa_kernel
	.section	.text._ZN7rocprim17ROCPRIM_400000_NS6detail17trampoline_kernelINS0_13select_configILj256ELj13ELNS0_17block_load_methodE3ELS4_3ELS4_3ELNS0_20block_scan_algorithmE0ELj4294967295EEENS1_25partition_config_selectorILNS1_17partition_subalgoE4EjNS0_10empty_typeEbEEZZNS1_14partition_implILS8_4ELb0ES6_15HIP_vector_typeIjLj2EENS0_17counting_iteratorIjlEEPS9_SG_NS0_5tupleIJPjSI_NS0_16reverse_iteratorISI_EEEEENSH_IJSG_SG_SG_EEES9_SI_JZNS1_25segmented_radix_sort_implINS0_14default_configELb0EPKdPdPKlPlN2at6native12_GLOBAL__N_18offset_tEEE10hipError_tPvRmT1_PNSt15iterator_traitsIS12_E10value_typeET2_T3_PNS13_IS18_E10value_typeET4_jRbjT5_S1E_jjP12ihipStream_tbEUljE_ZNSN_ISO_Lb0ESQ_SR_ST_SU_SY_EESZ_S10_S11_S12_S16_S17_S18_S1B_S1C_jS1D_jS1E_S1E_jjS1G_bEUljE0_EEESZ_S10_S11_S18_S1C_S1E_T6_T7_T9_mT8_S1G_bDpT10_ENKUlT_T0_E_clISt17integral_constantIbLb0EES1U_EEDaS1P_S1Q_EUlS1P_E_NS1_11comp_targetILNS1_3genE0ELNS1_11target_archE4294967295ELNS1_3gpuE0ELNS1_3repE0EEENS1_30default_config_static_selectorELNS0_4arch9wavefront6targetE0EEEvS12_,"axG",@progbits,_ZN7rocprim17ROCPRIM_400000_NS6detail17trampoline_kernelINS0_13select_configILj256ELj13ELNS0_17block_load_methodE3ELS4_3ELS4_3ELNS0_20block_scan_algorithmE0ELj4294967295EEENS1_25partition_config_selectorILNS1_17partition_subalgoE4EjNS0_10empty_typeEbEEZZNS1_14partition_implILS8_4ELb0ES6_15HIP_vector_typeIjLj2EENS0_17counting_iteratorIjlEEPS9_SG_NS0_5tupleIJPjSI_NS0_16reverse_iteratorISI_EEEEENSH_IJSG_SG_SG_EEES9_SI_JZNS1_25segmented_radix_sort_implINS0_14default_configELb0EPKdPdPKlPlN2at6native12_GLOBAL__N_18offset_tEEE10hipError_tPvRmT1_PNSt15iterator_traitsIS12_E10value_typeET2_T3_PNS13_IS18_E10value_typeET4_jRbjT5_S1E_jjP12ihipStream_tbEUljE_ZNSN_ISO_Lb0ESQ_SR_ST_SU_SY_EESZ_S10_S11_S12_S16_S17_S18_S1B_S1C_jS1D_jS1E_S1E_jjS1G_bEUljE0_EEESZ_S10_S11_S18_S1C_S1E_T6_T7_T9_mT8_S1G_bDpT10_ENKUlT_T0_E_clISt17integral_constantIbLb0EES1U_EEDaS1P_S1Q_EUlS1P_E_NS1_11comp_targetILNS1_3genE0ELNS1_11target_archE4294967295ELNS1_3gpuE0ELNS1_3repE0EEENS1_30default_config_static_selectorELNS0_4arch9wavefront6targetE0EEEvS12_,comdat
.Lfunc_end1151:
	.size	_ZN7rocprim17ROCPRIM_400000_NS6detail17trampoline_kernelINS0_13select_configILj256ELj13ELNS0_17block_load_methodE3ELS4_3ELS4_3ELNS0_20block_scan_algorithmE0ELj4294967295EEENS1_25partition_config_selectorILNS1_17partition_subalgoE4EjNS0_10empty_typeEbEEZZNS1_14partition_implILS8_4ELb0ES6_15HIP_vector_typeIjLj2EENS0_17counting_iteratorIjlEEPS9_SG_NS0_5tupleIJPjSI_NS0_16reverse_iteratorISI_EEEEENSH_IJSG_SG_SG_EEES9_SI_JZNS1_25segmented_radix_sort_implINS0_14default_configELb0EPKdPdPKlPlN2at6native12_GLOBAL__N_18offset_tEEE10hipError_tPvRmT1_PNSt15iterator_traitsIS12_E10value_typeET2_T3_PNS13_IS18_E10value_typeET4_jRbjT5_S1E_jjP12ihipStream_tbEUljE_ZNSN_ISO_Lb0ESQ_SR_ST_SU_SY_EESZ_S10_S11_S12_S16_S17_S18_S1B_S1C_jS1D_jS1E_S1E_jjS1G_bEUljE0_EEESZ_S10_S11_S18_S1C_S1E_T6_T7_T9_mT8_S1G_bDpT10_ENKUlT_T0_E_clISt17integral_constantIbLb0EES1U_EEDaS1P_S1Q_EUlS1P_E_NS1_11comp_targetILNS1_3genE0ELNS1_11target_archE4294967295ELNS1_3gpuE0ELNS1_3repE0EEENS1_30default_config_static_selectorELNS0_4arch9wavefront6targetE0EEEvS12_, .Lfunc_end1151-_ZN7rocprim17ROCPRIM_400000_NS6detail17trampoline_kernelINS0_13select_configILj256ELj13ELNS0_17block_load_methodE3ELS4_3ELS4_3ELNS0_20block_scan_algorithmE0ELj4294967295EEENS1_25partition_config_selectorILNS1_17partition_subalgoE4EjNS0_10empty_typeEbEEZZNS1_14partition_implILS8_4ELb0ES6_15HIP_vector_typeIjLj2EENS0_17counting_iteratorIjlEEPS9_SG_NS0_5tupleIJPjSI_NS0_16reverse_iteratorISI_EEEEENSH_IJSG_SG_SG_EEES9_SI_JZNS1_25segmented_radix_sort_implINS0_14default_configELb0EPKdPdPKlPlN2at6native12_GLOBAL__N_18offset_tEEE10hipError_tPvRmT1_PNSt15iterator_traitsIS12_E10value_typeET2_T3_PNS13_IS18_E10value_typeET4_jRbjT5_S1E_jjP12ihipStream_tbEUljE_ZNSN_ISO_Lb0ESQ_SR_ST_SU_SY_EESZ_S10_S11_S12_S16_S17_S18_S1B_S1C_jS1D_jS1E_S1E_jjS1G_bEUljE0_EEESZ_S10_S11_S18_S1C_S1E_T6_T7_T9_mT8_S1G_bDpT10_ENKUlT_T0_E_clISt17integral_constantIbLb0EES1U_EEDaS1P_S1Q_EUlS1P_E_NS1_11comp_targetILNS1_3genE0ELNS1_11target_archE4294967295ELNS1_3gpuE0ELNS1_3repE0EEENS1_30default_config_static_selectorELNS0_4arch9wavefront6targetE0EEEvS12_
                                        ; -- End function
	.set _ZN7rocprim17ROCPRIM_400000_NS6detail17trampoline_kernelINS0_13select_configILj256ELj13ELNS0_17block_load_methodE3ELS4_3ELS4_3ELNS0_20block_scan_algorithmE0ELj4294967295EEENS1_25partition_config_selectorILNS1_17partition_subalgoE4EjNS0_10empty_typeEbEEZZNS1_14partition_implILS8_4ELb0ES6_15HIP_vector_typeIjLj2EENS0_17counting_iteratorIjlEEPS9_SG_NS0_5tupleIJPjSI_NS0_16reverse_iteratorISI_EEEEENSH_IJSG_SG_SG_EEES9_SI_JZNS1_25segmented_radix_sort_implINS0_14default_configELb0EPKdPdPKlPlN2at6native12_GLOBAL__N_18offset_tEEE10hipError_tPvRmT1_PNSt15iterator_traitsIS12_E10value_typeET2_T3_PNS13_IS18_E10value_typeET4_jRbjT5_S1E_jjP12ihipStream_tbEUljE_ZNSN_ISO_Lb0ESQ_SR_ST_SU_SY_EESZ_S10_S11_S12_S16_S17_S18_S1B_S1C_jS1D_jS1E_S1E_jjS1G_bEUljE0_EEESZ_S10_S11_S18_S1C_S1E_T6_T7_T9_mT8_S1G_bDpT10_ENKUlT_T0_E_clISt17integral_constantIbLb0EES1U_EEDaS1P_S1Q_EUlS1P_E_NS1_11comp_targetILNS1_3genE0ELNS1_11target_archE4294967295ELNS1_3gpuE0ELNS1_3repE0EEENS1_30default_config_static_selectorELNS0_4arch9wavefront6targetE0EEEvS12_.num_vgpr, 81
	.set _ZN7rocprim17ROCPRIM_400000_NS6detail17trampoline_kernelINS0_13select_configILj256ELj13ELNS0_17block_load_methodE3ELS4_3ELS4_3ELNS0_20block_scan_algorithmE0ELj4294967295EEENS1_25partition_config_selectorILNS1_17partition_subalgoE4EjNS0_10empty_typeEbEEZZNS1_14partition_implILS8_4ELb0ES6_15HIP_vector_typeIjLj2EENS0_17counting_iteratorIjlEEPS9_SG_NS0_5tupleIJPjSI_NS0_16reverse_iteratorISI_EEEEENSH_IJSG_SG_SG_EEES9_SI_JZNS1_25segmented_radix_sort_implINS0_14default_configELb0EPKdPdPKlPlN2at6native12_GLOBAL__N_18offset_tEEE10hipError_tPvRmT1_PNSt15iterator_traitsIS12_E10value_typeET2_T3_PNS13_IS18_E10value_typeET4_jRbjT5_S1E_jjP12ihipStream_tbEUljE_ZNSN_ISO_Lb0ESQ_SR_ST_SU_SY_EESZ_S10_S11_S12_S16_S17_S18_S1B_S1C_jS1D_jS1E_S1E_jjS1G_bEUljE0_EEESZ_S10_S11_S18_S1C_S1E_T6_T7_T9_mT8_S1G_bDpT10_ENKUlT_T0_E_clISt17integral_constantIbLb0EES1U_EEDaS1P_S1Q_EUlS1P_E_NS1_11comp_targetILNS1_3genE0ELNS1_11target_archE4294967295ELNS1_3gpuE0ELNS1_3repE0EEENS1_30default_config_static_selectorELNS0_4arch9wavefront6targetE0EEEvS12_.num_agpr, 0
	.set _ZN7rocprim17ROCPRIM_400000_NS6detail17trampoline_kernelINS0_13select_configILj256ELj13ELNS0_17block_load_methodE3ELS4_3ELS4_3ELNS0_20block_scan_algorithmE0ELj4294967295EEENS1_25partition_config_selectorILNS1_17partition_subalgoE4EjNS0_10empty_typeEbEEZZNS1_14partition_implILS8_4ELb0ES6_15HIP_vector_typeIjLj2EENS0_17counting_iteratorIjlEEPS9_SG_NS0_5tupleIJPjSI_NS0_16reverse_iteratorISI_EEEEENSH_IJSG_SG_SG_EEES9_SI_JZNS1_25segmented_radix_sort_implINS0_14default_configELb0EPKdPdPKlPlN2at6native12_GLOBAL__N_18offset_tEEE10hipError_tPvRmT1_PNSt15iterator_traitsIS12_E10value_typeET2_T3_PNS13_IS18_E10value_typeET4_jRbjT5_S1E_jjP12ihipStream_tbEUljE_ZNSN_ISO_Lb0ESQ_SR_ST_SU_SY_EESZ_S10_S11_S12_S16_S17_S18_S1B_S1C_jS1D_jS1E_S1E_jjS1G_bEUljE0_EEESZ_S10_S11_S18_S1C_S1E_T6_T7_T9_mT8_S1G_bDpT10_ENKUlT_T0_E_clISt17integral_constantIbLb0EES1U_EEDaS1P_S1Q_EUlS1P_E_NS1_11comp_targetILNS1_3genE0ELNS1_11target_archE4294967295ELNS1_3gpuE0ELNS1_3repE0EEENS1_30default_config_static_selectorELNS0_4arch9wavefront6targetE0EEEvS12_.numbered_sgpr, 59
	.set _ZN7rocprim17ROCPRIM_400000_NS6detail17trampoline_kernelINS0_13select_configILj256ELj13ELNS0_17block_load_methodE3ELS4_3ELS4_3ELNS0_20block_scan_algorithmE0ELj4294967295EEENS1_25partition_config_selectorILNS1_17partition_subalgoE4EjNS0_10empty_typeEbEEZZNS1_14partition_implILS8_4ELb0ES6_15HIP_vector_typeIjLj2EENS0_17counting_iteratorIjlEEPS9_SG_NS0_5tupleIJPjSI_NS0_16reverse_iteratorISI_EEEEENSH_IJSG_SG_SG_EEES9_SI_JZNS1_25segmented_radix_sort_implINS0_14default_configELb0EPKdPdPKlPlN2at6native12_GLOBAL__N_18offset_tEEE10hipError_tPvRmT1_PNSt15iterator_traitsIS12_E10value_typeET2_T3_PNS13_IS18_E10value_typeET4_jRbjT5_S1E_jjP12ihipStream_tbEUljE_ZNSN_ISO_Lb0ESQ_SR_ST_SU_SY_EESZ_S10_S11_S12_S16_S17_S18_S1B_S1C_jS1D_jS1E_S1E_jjS1G_bEUljE0_EEESZ_S10_S11_S18_S1C_S1E_T6_T7_T9_mT8_S1G_bDpT10_ENKUlT_T0_E_clISt17integral_constantIbLb0EES1U_EEDaS1P_S1Q_EUlS1P_E_NS1_11comp_targetILNS1_3genE0ELNS1_11target_archE4294967295ELNS1_3gpuE0ELNS1_3repE0EEENS1_30default_config_static_selectorELNS0_4arch9wavefront6targetE0EEEvS12_.num_named_barrier, 0
	.set _ZN7rocprim17ROCPRIM_400000_NS6detail17trampoline_kernelINS0_13select_configILj256ELj13ELNS0_17block_load_methodE3ELS4_3ELS4_3ELNS0_20block_scan_algorithmE0ELj4294967295EEENS1_25partition_config_selectorILNS1_17partition_subalgoE4EjNS0_10empty_typeEbEEZZNS1_14partition_implILS8_4ELb0ES6_15HIP_vector_typeIjLj2EENS0_17counting_iteratorIjlEEPS9_SG_NS0_5tupleIJPjSI_NS0_16reverse_iteratorISI_EEEEENSH_IJSG_SG_SG_EEES9_SI_JZNS1_25segmented_radix_sort_implINS0_14default_configELb0EPKdPdPKlPlN2at6native12_GLOBAL__N_18offset_tEEE10hipError_tPvRmT1_PNSt15iterator_traitsIS12_E10value_typeET2_T3_PNS13_IS18_E10value_typeET4_jRbjT5_S1E_jjP12ihipStream_tbEUljE_ZNSN_ISO_Lb0ESQ_SR_ST_SU_SY_EESZ_S10_S11_S12_S16_S17_S18_S1B_S1C_jS1D_jS1E_S1E_jjS1G_bEUljE0_EEESZ_S10_S11_S18_S1C_S1E_T6_T7_T9_mT8_S1G_bDpT10_ENKUlT_T0_E_clISt17integral_constantIbLb0EES1U_EEDaS1P_S1Q_EUlS1P_E_NS1_11comp_targetILNS1_3genE0ELNS1_11target_archE4294967295ELNS1_3gpuE0ELNS1_3repE0EEENS1_30default_config_static_selectorELNS0_4arch9wavefront6targetE0EEEvS12_.private_seg_size, 0
	.set _ZN7rocprim17ROCPRIM_400000_NS6detail17trampoline_kernelINS0_13select_configILj256ELj13ELNS0_17block_load_methodE3ELS4_3ELS4_3ELNS0_20block_scan_algorithmE0ELj4294967295EEENS1_25partition_config_selectorILNS1_17partition_subalgoE4EjNS0_10empty_typeEbEEZZNS1_14partition_implILS8_4ELb0ES6_15HIP_vector_typeIjLj2EENS0_17counting_iteratorIjlEEPS9_SG_NS0_5tupleIJPjSI_NS0_16reverse_iteratorISI_EEEEENSH_IJSG_SG_SG_EEES9_SI_JZNS1_25segmented_radix_sort_implINS0_14default_configELb0EPKdPdPKlPlN2at6native12_GLOBAL__N_18offset_tEEE10hipError_tPvRmT1_PNSt15iterator_traitsIS12_E10value_typeET2_T3_PNS13_IS18_E10value_typeET4_jRbjT5_S1E_jjP12ihipStream_tbEUljE_ZNSN_ISO_Lb0ESQ_SR_ST_SU_SY_EESZ_S10_S11_S12_S16_S17_S18_S1B_S1C_jS1D_jS1E_S1E_jjS1G_bEUljE0_EEESZ_S10_S11_S18_S1C_S1E_T6_T7_T9_mT8_S1G_bDpT10_ENKUlT_T0_E_clISt17integral_constantIbLb0EES1U_EEDaS1P_S1Q_EUlS1P_E_NS1_11comp_targetILNS1_3genE0ELNS1_11target_archE4294967295ELNS1_3gpuE0ELNS1_3repE0EEENS1_30default_config_static_selectorELNS0_4arch9wavefront6targetE0EEEvS12_.uses_vcc, 1
	.set _ZN7rocprim17ROCPRIM_400000_NS6detail17trampoline_kernelINS0_13select_configILj256ELj13ELNS0_17block_load_methodE3ELS4_3ELS4_3ELNS0_20block_scan_algorithmE0ELj4294967295EEENS1_25partition_config_selectorILNS1_17partition_subalgoE4EjNS0_10empty_typeEbEEZZNS1_14partition_implILS8_4ELb0ES6_15HIP_vector_typeIjLj2EENS0_17counting_iteratorIjlEEPS9_SG_NS0_5tupleIJPjSI_NS0_16reverse_iteratorISI_EEEEENSH_IJSG_SG_SG_EEES9_SI_JZNS1_25segmented_radix_sort_implINS0_14default_configELb0EPKdPdPKlPlN2at6native12_GLOBAL__N_18offset_tEEE10hipError_tPvRmT1_PNSt15iterator_traitsIS12_E10value_typeET2_T3_PNS13_IS18_E10value_typeET4_jRbjT5_S1E_jjP12ihipStream_tbEUljE_ZNSN_ISO_Lb0ESQ_SR_ST_SU_SY_EESZ_S10_S11_S12_S16_S17_S18_S1B_S1C_jS1D_jS1E_S1E_jjS1G_bEUljE0_EEESZ_S10_S11_S18_S1C_S1E_T6_T7_T9_mT8_S1G_bDpT10_ENKUlT_T0_E_clISt17integral_constantIbLb0EES1U_EEDaS1P_S1Q_EUlS1P_E_NS1_11comp_targetILNS1_3genE0ELNS1_11target_archE4294967295ELNS1_3gpuE0ELNS1_3repE0EEENS1_30default_config_static_selectorELNS0_4arch9wavefront6targetE0EEEvS12_.uses_flat_scratch, 0
	.set _ZN7rocprim17ROCPRIM_400000_NS6detail17trampoline_kernelINS0_13select_configILj256ELj13ELNS0_17block_load_methodE3ELS4_3ELS4_3ELNS0_20block_scan_algorithmE0ELj4294967295EEENS1_25partition_config_selectorILNS1_17partition_subalgoE4EjNS0_10empty_typeEbEEZZNS1_14partition_implILS8_4ELb0ES6_15HIP_vector_typeIjLj2EENS0_17counting_iteratorIjlEEPS9_SG_NS0_5tupleIJPjSI_NS0_16reverse_iteratorISI_EEEEENSH_IJSG_SG_SG_EEES9_SI_JZNS1_25segmented_radix_sort_implINS0_14default_configELb0EPKdPdPKlPlN2at6native12_GLOBAL__N_18offset_tEEE10hipError_tPvRmT1_PNSt15iterator_traitsIS12_E10value_typeET2_T3_PNS13_IS18_E10value_typeET4_jRbjT5_S1E_jjP12ihipStream_tbEUljE_ZNSN_ISO_Lb0ESQ_SR_ST_SU_SY_EESZ_S10_S11_S12_S16_S17_S18_S1B_S1C_jS1D_jS1E_S1E_jjS1G_bEUljE0_EEESZ_S10_S11_S18_S1C_S1E_T6_T7_T9_mT8_S1G_bDpT10_ENKUlT_T0_E_clISt17integral_constantIbLb0EES1U_EEDaS1P_S1Q_EUlS1P_E_NS1_11comp_targetILNS1_3genE0ELNS1_11target_archE4294967295ELNS1_3gpuE0ELNS1_3repE0EEENS1_30default_config_static_selectorELNS0_4arch9wavefront6targetE0EEEvS12_.has_dyn_sized_stack, 0
	.set _ZN7rocprim17ROCPRIM_400000_NS6detail17trampoline_kernelINS0_13select_configILj256ELj13ELNS0_17block_load_methodE3ELS4_3ELS4_3ELNS0_20block_scan_algorithmE0ELj4294967295EEENS1_25partition_config_selectorILNS1_17partition_subalgoE4EjNS0_10empty_typeEbEEZZNS1_14partition_implILS8_4ELb0ES6_15HIP_vector_typeIjLj2EENS0_17counting_iteratorIjlEEPS9_SG_NS0_5tupleIJPjSI_NS0_16reverse_iteratorISI_EEEEENSH_IJSG_SG_SG_EEES9_SI_JZNS1_25segmented_radix_sort_implINS0_14default_configELb0EPKdPdPKlPlN2at6native12_GLOBAL__N_18offset_tEEE10hipError_tPvRmT1_PNSt15iterator_traitsIS12_E10value_typeET2_T3_PNS13_IS18_E10value_typeET4_jRbjT5_S1E_jjP12ihipStream_tbEUljE_ZNSN_ISO_Lb0ESQ_SR_ST_SU_SY_EESZ_S10_S11_S12_S16_S17_S18_S1B_S1C_jS1D_jS1E_S1E_jjS1G_bEUljE0_EEESZ_S10_S11_S18_S1C_S1E_T6_T7_T9_mT8_S1G_bDpT10_ENKUlT_T0_E_clISt17integral_constantIbLb0EES1U_EEDaS1P_S1Q_EUlS1P_E_NS1_11comp_targetILNS1_3genE0ELNS1_11target_archE4294967295ELNS1_3gpuE0ELNS1_3repE0EEENS1_30default_config_static_selectorELNS0_4arch9wavefront6targetE0EEEvS12_.has_recursion, 0
	.set _ZN7rocprim17ROCPRIM_400000_NS6detail17trampoline_kernelINS0_13select_configILj256ELj13ELNS0_17block_load_methodE3ELS4_3ELS4_3ELNS0_20block_scan_algorithmE0ELj4294967295EEENS1_25partition_config_selectorILNS1_17partition_subalgoE4EjNS0_10empty_typeEbEEZZNS1_14partition_implILS8_4ELb0ES6_15HIP_vector_typeIjLj2EENS0_17counting_iteratorIjlEEPS9_SG_NS0_5tupleIJPjSI_NS0_16reverse_iteratorISI_EEEEENSH_IJSG_SG_SG_EEES9_SI_JZNS1_25segmented_radix_sort_implINS0_14default_configELb0EPKdPdPKlPlN2at6native12_GLOBAL__N_18offset_tEEE10hipError_tPvRmT1_PNSt15iterator_traitsIS12_E10value_typeET2_T3_PNS13_IS18_E10value_typeET4_jRbjT5_S1E_jjP12ihipStream_tbEUljE_ZNSN_ISO_Lb0ESQ_SR_ST_SU_SY_EESZ_S10_S11_S12_S16_S17_S18_S1B_S1C_jS1D_jS1E_S1E_jjS1G_bEUljE0_EEESZ_S10_S11_S18_S1C_S1E_T6_T7_T9_mT8_S1G_bDpT10_ENKUlT_T0_E_clISt17integral_constantIbLb0EES1U_EEDaS1P_S1Q_EUlS1P_E_NS1_11comp_targetILNS1_3genE0ELNS1_11target_archE4294967295ELNS1_3gpuE0ELNS1_3repE0EEENS1_30default_config_static_selectorELNS0_4arch9wavefront6targetE0EEEvS12_.has_indirect_call, 0
	.section	.AMDGPU.csdata,"",@progbits
; Kernel info:
; codeLenInByte = 17784
; TotalNumSgprs: 61
; NumVgprs: 81
; ScratchSize: 0
; MemoryBound: 0
; FloatMode: 240
; IeeeMode: 1
; LDSByteSize: 13328 bytes/workgroup (compile time only)
; SGPRBlocks: 0
; VGPRBlocks: 5
; NumSGPRsForWavesPerEU: 61
; NumVGPRsForWavesPerEU: 81
; NamedBarCnt: 0
; Occupancy: 10
; WaveLimiterHint : 1
; COMPUTE_PGM_RSRC2:SCRATCH_EN: 0
; COMPUTE_PGM_RSRC2:USER_SGPR: 2
; COMPUTE_PGM_RSRC2:TRAP_HANDLER: 0
; COMPUTE_PGM_RSRC2:TGID_X_EN: 1
; COMPUTE_PGM_RSRC2:TGID_Y_EN: 0
; COMPUTE_PGM_RSRC2:TGID_Z_EN: 0
; COMPUTE_PGM_RSRC2:TIDIG_COMP_CNT: 0
	.section	.text._ZN7rocprim17ROCPRIM_400000_NS6detail17trampoline_kernelINS0_13select_configILj256ELj13ELNS0_17block_load_methodE3ELS4_3ELS4_3ELNS0_20block_scan_algorithmE0ELj4294967295EEENS1_25partition_config_selectorILNS1_17partition_subalgoE4EjNS0_10empty_typeEbEEZZNS1_14partition_implILS8_4ELb0ES6_15HIP_vector_typeIjLj2EENS0_17counting_iteratorIjlEEPS9_SG_NS0_5tupleIJPjSI_NS0_16reverse_iteratorISI_EEEEENSH_IJSG_SG_SG_EEES9_SI_JZNS1_25segmented_radix_sort_implINS0_14default_configELb0EPKdPdPKlPlN2at6native12_GLOBAL__N_18offset_tEEE10hipError_tPvRmT1_PNSt15iterator_traitsIS12_E10value_typeET2_T3_PNS13_IS18_E10value_typeET4_jRbjT5_S1E_jjP12ihipStream_tbEUljE_ZNSN_ISO_Lb0ESQ_SR_ST_SU_SY_EESZ_S10_S11_S12_S16_S17_S18_S1B_S1C_jS1D_jS1E_S1E_jjS1G_bEUljE0_EEESZ_S10_S11_S18_S1C_S1E_T6_T7_T9_mT8_S1G_bDpT10_ENKUlT_T0_E_clISt17integral_constantIbLb0EES1U_EEDaS1P_S1Q_EUlS1P_E_NS1_11comp_targetILNS1_3genE5ELNS1_11target_archE942ELNS1_3gpuE9ELNS1_3repE0EEENS1_30default_config_static_selectorELNS0_4arch9wavefront6targetE0EEEvS12_,"axG",@progbits,_ZN7rocprim17ROCPRIM_400000_NS6detail17trampoline_kernelINS0_13select_configILj256ELj13ELNS0_17block_load_methodE3ELS4_3ELS4_3ELNS0_20block_scan_algorithmE0ELj4294967295EEENS1_25partition_config_selectorILNS1_17partition_subalgoE4EjNS0_10empty_typeEbEEZZNS1_14partition_implILS8_4ELb0ES6_15HIP_vector_typeIjLj2EENS0_17counting_iteratorIjlEEPS9_SG_NS0_5tupleIJPjSI_NS0_16reverse_iteratorISI_EEEEENSH_IJSG_SG_SG_EEES9_SI_JZNS1_25segmented_radix_sort_implINS0_14default_configELb0EPKdPdPKlPlN2at6native12_GLOBAL__N_18offset_tEEE10hipError_tPvRmT1_PNSt15iterator_traitsIS12_E10value_typeET2_T3_PNS13_IS18_E10value_typeET4_jRbjT5_S1E_jjP12ihipStream_tbEUljE_ZNSN_ISO_Lb0ESQ_SR_ST_SU_SY_EESZ_S10_S11_S12_S16_S17_S18_S1B_S1C_jS1D_jS1E_S1E_jjS1G_bEUljE0_EEESZ_S10_S11_S18_S1C_S1E_T6_T7_T9_mT8_S1G_bDpT10_ENKUlT_T0_E_clISt17integral_constantIbLb0EES1U_EEDaS1P_S1Q_EUlS1P_E_NS1_11comp_targetILNS1_3genE5ELNS1_11target_archE942ELNS1_3gpuE9ELNS1_3repE0EEENS1_30default_config_static_selectorELNS0_4arch9wavefront6targetE0EEEvS12_,comdat
	.globl	_ZN7rocprim17ROCPRIM_400000_NS6detail17trampoline_kernelINS0_13select_configILj256ELj13ELNS0_17block_load_methodE3ELS4_3ELS4_3ELNS0_20block_scan_algorithmE0ELj4294967295EEENS1_25partition_config_selectorILNS1_17partition_subalgoE4EjNS0_10empty_typeEbEEZZNS1_14partition_implILS8_4ELb0ES6_15HIP_vector_typeIjLj2EENS0_17counting_iteratorIjlEEPS9_SG_NS0_5tupleIJPjSI_NS0_16reverse_iteratorISI_EEEEENSH_IJSG_SG_SG_EEES9_SI_JZNS1_25segmented_radix_sort_implINS0_14default_configELb0EPKdPdPKlPlN2at6native12_GLOBAL__N_18offset_tEEE10hipError_tPvRmT1_PNSt15iterator_traitsIS12_E10value_typeET2_T3_PNS13_IS18_E10value_typeET4_jRbjT5_S1E_jjP12ihipStream_tbEUljE_ZNSN_ISO_Lb0ESQ_SR_ST_SU_SY_EESZ_S10_S11_S12_S16_S17_S18_S1B_S1C_jS1D_jS1E_S1E_jjS1G_bEUljE0_EEESZ_S10_S11_S18_S1C_S1E_T6_T7_T9_mT8_S1G_bDpT10_ENKUlT_T0_E_clISt17integral_constantIbLb0EES1U_EEDaS1P_S1Q_EUlS1P_E_NS1_11comp_targetILNS1_3genE5ELNS1_11target_archE942ELNS1_3gpuE9ELNS1_3repE0EEENS1_30default_config_static_selectorELNS0_4arch9wavefront6targetE0EEEvS12_ ; -- Begin function _ZN7rocprim17ROCPRIM_400000_NS6detail17trampoline_kernelINS0_13select_configILj256ELj13ELNS0_17block_load_methodE3ELS4_3ELS4_3ELNS0_20block_scan_algorithmE0ELj4294967295EEENS1_25partition_config_selectorILNS1_17partition_subalgoE4EjNS0_10empty_typeEbEEZZNS1_14partition_implILS8_4ELb0ES6_15HIP_vector_typeIjLj2EENS0_17counting_iteratorIjlEEPS9_SG_NS0_5tupleIJPjSI_NS0_16reverse_iteratorISI_EEEEENSH_IJSG_SG_SG_EEES9_SI_JZNS1_25segmented_radix_sort_implINS0_14default_configELb0EPKdPdPKlPlN2at6native12_GLOBAL__N_18offset_tEEE10hipError_tPvRmT1_PNSt15iterator_traitsIS12_E10value_typeET2_T3_PNS13_IS18_E10value_typeET4_jRbjT5_S1E_jjP12ihipStream_tbEUljE_ZNSN_ISO_Lb0ESQ_SR_ST_SU_SY_EESZ_S10_S11_S12_S16_S17_S18_S1B_S1C_jS1D_jS1E_S1E_jjS1G_bEUljE0_EEESZ_S10_S11_S18_S1C_S1E_T6_T7_T9_mT8_S1G_bDpT10_ENKUlT_T0_E_clISt17integral_constantIbLb0EES1U_EEDaS1P_S1Q_EUlS1P_E_NS1_11comp_targetILNS1_3genE5ELNS1_11target_archE942ELNS1_3gpuE9ELNS1_3repE0EEENS1_30default_config_static_selectorELNS0_4arch9wavefront6targetE0EEEvS12_
	.p2align	8
	.type	_ZN7rocprim17ROCPRIM_400000_NS6detail17trampoline_kernelINS0_13select_configILj256ELj13ELNS0_17block_load_methodE3ELS4_3ELS4_3ELNS0_20block_scan_algorithmE0ELj4294967295EEENS1_25partition_config_selectorILNS1_17partition_subalgoE4EjNS0_10empty_typeEbEEZZNS1_14partition_implILS8_4ELb0ES6_15HIP_vector_typeIjLj2EENS0_17counting_iteratorIjlEEPS9_SG_NS0_5tupleIJPjSI_NS0_16reverse_iteratorISI_EEEEENSH_IJSG_SG_SG_EEES9_SI_JZNS1_25segmented_radix_sort_implINS0_14default_configELb0EPKdPdPKlPlN2at6native12_GLOBAL__N_18offset_tEEE10hipError_tPvRmT1_PNSt15iterator_traitsIS12_E10value_typeET2_T3_PNS13_IS18_E10value_typeET4_jRbjT5_S1E_jjP12ihipStream_tbEUljE_ZNSN_ISO_Lb0ESQ_SR_ST_SU_SY_EESZ_S10_S11_S12_S16_S17_S18_S1B_S1C_jS1D_jS1E_S1E_jjS1G_bEUljE0_EEESZ_S10_S11_S18_S1C_S1E_T6_T7_T9_mT8_S1G_bDpT10_ENKUlT_T0_E_clISt17integral_constantIbLb0EES1U_EEDaS1P_S1Q_EUlS1P_E_NS1_11comp_targetILNS1_3genE5ELNS1_11target_archE942ELNS1_3gpuE9ELNS1_3repE0EEENS1_30default_config_static_selectorELNS0_4arch9wavefront6targetE0EEEvS12_,@function
_ZN7rocprim17ROCPRIM_400000_NS6detail17trampoline_kernelINS0_13select_configILj256ELj13ELNS0_17block_load_methodE3ELS4_3ELS4_3ELNS0_20block_scan_algorithmE0ELj4294967295EEENS1_25partition_config_selectorILNS1_17partition_subalgoE4EjNS0_10empty_typeEbEEZZNS1_14partition_implILS8_4ELb0ES6_15HIP_vector_typeIjLj2EENS0_17counting_iteratorIjlEEPS9_SG_NS0_5tupleIJPjSI_NS0_16reverse_iteratorISI_EEEEENSH_IJSG_SG_SG_EEES9_SI_JZNS1_25segmented_radix_sort_implINS0_14default_configELb0EPKdPdPKlPlN2at6native12_GLOBAL__N_18offset_tEEE10hipError_tPvRmT1_PNSt15iterator_traitsIS12_E10value_typeET2_T3_PNS13_IS18_E10value_typeET4_jRbjT5_S1E_jjP12ihipStream_tbEUljE_ZNSN_ISO_Lb0ESQ_SR_ST_SU_SY_EESZ_S10_S11_S12_S16_S17_S18_S1B_S1C_jS1D_jS1E_S1E_jjS1G_bEUljE0_EEESZ_S10_S11_S18_S1C_S1E_T6_T7_T9_mT8_S1G_bDpT10_ENKUlT_T0_E_clISt17integral_constantIbLb0EES1U_EEDaS1P_S1Q_EUlS1P_E_NS1_11comp_targetILNS1_3genE5ELNS1_11target_archE942ELNS1_3gpuE9ELNS1_3repE0EEENS1_30default_config_static_selectorELNS0_4arch9wavefront6targetE0EEEvS12_: ; @_ZN7rocprim17ROCPRIM_400000_NS6detail17trampoline_kernelINS0_13select_configILj256ELj13ELNS0_17block_load_methodE3ELS4_3ELS4_3ELNS0_20block_scan_algorithmE0ELj4294967295EEENS1_25partition_config_selectorILNS1_17partition_subalgoE4EjNS0_10empty_typeEbEEZZNS1_14partition_implILS8_4ELb0ES6_15HIP_vector_typeIjLj2EENS0_17counting_iteratorIjlEEPS9_SG_NS0_5tupleIJPjSI_NS0_16reverse_iteratorISI_EEEEENSH_IJSG_SG_SG_EEES9_SI_JZNS1_25segmented_radix_sort_implINS0_14default_configELb0EPKdPdPKlPlN2at6native12_GLOBAL__N_18offset_tEEE10hipError_tPvRmT1_PNSt15iterator_traitsIS12_E10value_typeET2_T3_PNS13_IS18_E10value_typeET4_jRbjT5_S1E_jjP12ihipStream_tbEUljE_ZNSN_ISO_Lb0ESQ_SR_ST_SU_SY_EESZ_S10_S11_S12_S16_S17_S18_S1B_S1C_jS1D_jS1E_S1E_jjS1G_bEUljE0_EEESZ_S10_S11_S18_S1C_S1E_T6_T7_T9_mT8_S1G_bDpT10_ENKUlT_T0_E_clISt17integral_constantIbLb0EES1U_EEDaS1P_S1Q_EUlS1P_E_NS1_11comp_targetILNS1_3genE5ELNS1_11target_archE942ELNS1_3gpuE9ELNS1_3repE0EEENS1_30default_config_static_selectorELNS0_4arch9wavefront6targetE0EEEvS12_
; %bb.0:
	.section	.rodata,"a",@progbits
	.p2align	6, 0x0
	.amdhsa_kernel _ZN7rocprim17ROCPRIM_400000_NS6detail17trampoline_kernelINS0_13select_configILj256ELj13ELNS0_17block_load_methodE3ELS4_3ELS4_3ELNS0_20block_scan_algorithmE0ELj4294967295EEENS1_25partition_config_selectorILNS1_17partition_subalgoE4EjNS0_10empty_typeEbEEZZNS1_14partition_implILS8_4ELb0ES6_15HIP_vector_typeIjLj2EENS0_17counting_iteratorIjlEEPS9_SG_NS0_5tupleIJPjSI_NS0_16reverse_iteratorISI_EEEEENSH_IJSG_SG_SG_EEES9_SI_JZNS1_25segmented_radix_sort_implINS0_14default_configELb0EPKdPdPKlPlN2at6native12_GLOBAL__N_18offset_tEEE10hipError_tPvRmT1_PNSt15iterator_traitsIS12_E10value_typeET2_T3_PNS13_IS18_E10value_typeET4_jRbjT5_S1E_jjP12ihipStream_tbEUljE_ZNSN_ISO_Lb0ESQ_SR_ST_SU_SY_EESZ_S10_S11_S12_S16_S17_S18_S1B_S1C_jS1D_jS1E_S1E_jjS1G_bEUljE0_EEESZ_S10_S11_S18_S1C_S1E_T6_T7_T9_mT8_S1G_bDpT10_ENKUlT_T0_E_clISt17integral_constantIbLb0EES1U_EEDaS1P_S1Q_EUlS1P_E_NS1_11comp_targetILNS1_3genE5ELNS1_11target_archE942ELNS1_3gpuE9ELNS1_3repE0EEENS1_30default_config_static_selectorELNS0_4arch9wavefront6targetE0EEEvS12_
		.amdhsa_group_segment_fixed_size 0
		.amdhsa_private_segment_fixed_size 0
		.amdhsa_kernarg_size 176
		.amdhsa_user_sgpr_count 2
		.amdhsa_user_sgpr_dispatch_ptr 0
		.amdhsa_user_sgpr_queue_ptr 0
		.amdhsa_user_sgpr_kernarg_segment_ptr 1
		.amdhsa_user_sgpr_dispatch_id 0
		.amdhsa_user_sgpr_kernarg_preload_length 0
		.amdhsa_user_sgpr_kernarg_preload_offset 0
		.amdhsa_user_sgpr_private_segment_size 0
		.amdhsa_wavefront_size32 1
		.amdhsa_uses_dynamic_stack 0
		.amdhsa_enable_private_segment 0
		.amdhsa_system_sgpr_workgroup_id_x 1
		.amdhsa_system_sgpr_workgroup_id_y 0
		.amdhsa_system_sgpr_workgroup_id_z 0
		.amdhsa_system_sgpr_workgroup_info 0
		.amdhsa_system_vgpr_workitem_id 0
		.amdhsa_next_free_vgpr 1
		.amdhsa_next_free_sgpr 1
		.amdhsa_named_barrier_count 0
		.amdhsa_reserve_vcc 0
		.amdhsa_float_round_mode_32 0
		.amdhsa_float_round_mode_16_64 0
		.amdhsa_float_denorm_mode_32 3
		.amdhsa_float_denorm_mode_16_64 3
		.amdhsa_fp16_overflow 0
		.amdhsa_memory_ordered 1
		.amdhsa_forward_progress 1
		.amdhsa_inst_pref_size 0
		.amdhsa_round_robin_scheduling 0
		.amdhsa_exception_fp_ieee_invalid_op 0
		.amdhsa_exception_fp_denorm_src 0
		.amdhsa_exception_fp_ieee_div_zero 0
		.amdhsa_exception_fp_ieee_overflow 0
		.amdhsa_exception_fp_ieee_underflow 0
		.amdhsa_exception_fp_ieee_inexact 0
		.amdhsa_exception_int_div_zero 0
	.end_amdhsa_kernel
	.section	.text._ZN7rocprim17ROCPRIM_400000_NS6detail17trampoline_kernelINS0_13select_configILj256ELj13ELNS0_17block_load_methodE3ELS4_3ELS4_3ELNS0_20block_scan_algorithmE0ELj4294967295EEENS1_25partition_config_selectorILNS1_17partition_subalgoE4EjNS0_10empty_typeEbEEZZNS1_14partition_implILS8_4ELb0ES6_15HIP_vector_typeIjLj2EENS0_17counting_iteratorIjlEEPS9_SG_NS0_5tupleIJPjSI_NS0_16reverse_iteratorISI_EEEEENSH_IJSG_SG_SG_EEES9_SI_JZNS1_25segmented_radix_sort_implINS0_14default_configELb0EPKdPdPKlPlN2at6native12_GLOBAL__N_18offset_tEEE10hipError_tPvRmT1_PNSt15iterator_traitsIS12_E10value_typeET2_T3_PNS13_IS18_E10value_typeET4_jRbjT5_S1E_jjP12ihipStream_tbEUljE_ZNSN_ISO_Lb0ESQ_SR_ST_SU_SY_EESZ_S10_S11_S12_S16_S17_S18_S1B_S1C_jS1D_jS1E_S1E_jjS1G_bEUljE0_EEESZ_S10_S11_S18_S1C_S1E_T6_T7_T9_mT8_S1G_bDpT10_ENKUlT_T0_E_clISt17integral_constantIbLb0EES1U_EEDaS1P_S1Q_EUlS1P_E_NS1_11comp_targetILNS1_3genE5ELNS1_11target_archE942ELNS1_3gpuE9ELNS1_3repE0EEENS1_30default_config_static_selectorELNS0_4arch9wavefront6targetE0EEEvS12_,"axG",@progbits,_ZN7rocprim17ROCPRIM_400000_NS6detail17trampoline_kernelINS0_13select_configILj256ELj13ELNS0_17block_load_methodE3ELS4_3ELS4_3ELNS0_20block_scan_algorithmE0ELj4294967295EEENS1_25partition_config_selectorILNS1_17partition_subalgoE4EjNS0_10empty_typeEbEEZZNS1_14partition_implILS8_4ELb0ES6_15HIP_vector_typeIjLj2EENS0_17counting_iteratorIjlEEPS9_SG_NS0_5tupleIJPjSI_NS0_16reverse_iteratorISI_EEEEENSH_IJSG_SG_SG_EEES9_SI_JZNS1_25segmented_radix_sort_implINS0_14default_configELb0EPKdPdPKlPlN2at6native12_GLOBAL__N_18offset_tEEE10hipError_tPvRmT1_PNSt15iterator_traitsIS12_E10value_typeET2_T3_PNS13_IS18_E10value_typeET4_jRbjT5_S1E_jjP12ihipStream_tbEUljE_ZNSN_ISO_Lb0ESQ_SR_ST_SU_SY_EESZ_S10_S11_S12_S16_S17_S18_S1B_S1C_jS1D_jS1E_S1E_jjS1G_bEUljE0_EEESZ_S10_S11_S18_S1C_S1E_T6_T7_T9_mT8_S1G_bDpT10_ENKUlT_T0_E_clISt17integral_constantIbLb0EES1U_EEDaS1P_S1Q_EUlS1P_E_NS1_11comp_targetILNS1_3genE5ELNS1_11target_archE942ELNS1_3gpuE9ELNS1_3repE0EEENS1_30default_config_static_selectorELNS0_4arch9wavefront6targetE0EEEvS12_,comdat
.Lfunc_end1152:
	.size	_ZN7rocprim17ROCPRIM_400000_NS6detail17trampoline_kernelINS0_13select_configILj256ELj13ELNS0_17block_load_methodE3ELS4_3ELS4_3ELNS0_20block_scan_algorithmE0ELj4294967295EEENS1_25partition_config_selectorILNS1_17partition_subalgoE4EjNS0_10empty_typeEbEEZZNS1_14partition_implILS8_4ELb0ES6_15HIP_vector_typeIjLj2EENS0_17counting_iteratorIjlEEPS9_SG_NS0_5tupleIJPjSI_NS0_16reverse_iteratorISI_EEEEENSH_IJSG_SG_SG_EEES9_SI_JZNS1_25segmented_radix_sort_implINS0_14default_configELb0EPKdPdPKlPlN2at6native12_GLOBAL__N_18offset_tEEE10hipError_tPvRmT1_PNSt15iterator_traitsIS12_E10value_typeET2_T3_PNS13_IS18_E10value_typeET4_jRbjT5_S1E_jjP12ihipStream_tbEUljE_ZNSN_ISO_Lb0ESQ_SR_ST_SU_SY_EESZ_S10_S11_S12_S16_S17_S18_S1B_S1C_jS1D_jS1E_S1E_jjS1G_bEUljE0_EEESZ_S10_S11_S18_S1C_S1E_T6_T7_T9_mT8_S1G_bDpT10_ENKUlT_T0_E_clISt17integral_constantIbLb0EES1U_EEDaS1P_S1Q_EUlS1P_E_NS1_11comp_targetILNS1_3genE5ELNS1_11target_archE942ELNS1_3gpuE9ELNS1_3repE0EEENS1_30default_config_static_selectorELNS0_4arch9wavefront6targetE0EEEvS12_, .Lfunc_end1152-_ZN7rocprim17ROCPRIM_400000_NS6detail17trampoline_kernelINS0_13select_configILj256ELj13ELNS0_17block_load_methodE3ELS4_3ELS4_3ELNS0_20block_scan_algorithmE0ELj4294967295EEENS1_25partition_config_selectorILNS1_17partition_subalgoE4EjNS0_10empty_typeEbEEZZNS1_14partition_implILS8_4ELb0ES6_15HIP_vector_typeIjLj2EENS0_17counting_iteratorIjlEEPS9_SG_NS0_5tupleIJPjSI_NS0_16reverse_iteratorISI_EEEEENSH_IJSG_SG_SG_EEES9_SI_JZNS1_25segmented_radix_sort_implINS0_14default_configELb0EPKdPdPKlPlN2at6native12_GLOBAL__N_18offset_tEEE10hipError_tPvRmT1_PNSt15iterator_traitsIS12_E10value_typeET2_T3_PNS13_IS18_E10value_typeET4_jRbjT5_S1E_jjP12ihipStream_tbEUljE_ZNSN_ISO_Lb0ESQ_SR_ST_SU_SY_EESZ_S10_S11_S12_S16_S17_S18_S1B_S1C_jS1D_jS1E_S1E_jjS1G_bEUljE0_EEESZ_S10_S11_S18_S1C_S1E_T6_T7_T9_mT8_S1G_bDpT10_ENKUlT_T0_E_clISt17integral_constantIbLb0EES1U_EEDaS1P_S1Q_EUlS1P_E_NS1_11comp_targetILNS1_3genE5ELNS1_11target_archE942ELNS1_3gpuE9ELNS1_3repE0EEENS1_30default_config_static_selectorELNS0_4arch9wavefront6targetE0EEEvS12_
                                        ; -- End function
	.set _ZN7rocprim17ROCPRIM_400000_NS6detail17trampoline_kernelINS0_13select_configILj256ELj13ELNS0_17block_load_methodE3ELS4_3ELS4_3ELNS0_20block_scan_algorithmE0ELj4294967295EEENS1_25partition_config_selectorILNS1_17partition_subalgoE4EjNS0_10empty_typeEbEEZZNS1_14partition_implILS8_4ELb0ES6_15HIP_vector_typeIjLj2EENS0_17counting_iteratorIjlEEPS9_SG_NS0_5tupleIJPjSI_NS0_16reverse_iteratorISI_EEEEENSH_IJSG_SG_SG_EEES9_SI_JZNS1_25segmented_radix_sort_implINS0_14default_configELb0EPKdPdPKlPlN2at6native12_GLOBAL__N_18offset_tEEE10hipError_tPvRmT1_PNSt15iterator_traitsIS12_E10value_typeET2_T3_PNS13_IS18_E10value_typeET4_jRbjT5_S1E_jjP12ihipStream_tbEUljE_ZNSN_ISO_Lb0ESQ_SR_ST_SU_SY_EESZ_S10_S11_S12_S16_S17_S18_S1B_S1C_jS1D_jS1E_S1E_jjS1G_bEUljE0_EEESZ_S10_S11_S18_S1C_S1E_T6_T7_T9_mT8_S1G_bDpT10_ENKUlT_T0_E_clISt17integral_constantIbLb0EES1U_EEDaS1P_S1Q_EUlS1P_E_NS1_11comp_targetILNS1_3genE5ELNS1_11target_archE942ELNS1_3gpuE9ELNS1_3repE0EEENS1_30default_config_static_selectorELNS0_4arch9wavefront6targetE0EEEvS12_.num_vgpr, 0
	.set _ZN7rocprim17ROCPRIM_400000_NS6detail17trampoline_kernelINS0_13select_configILj256ELj13ELNS0_17block_load_methodE3ELS4_3ELS4_3ELNS0_20block_scan_algorithmE0ELj4294967295EEENS1_25partition_config_selectorILNS1_17partition_subalgoE4EjNS0_10empty_typeEbEEZZNS1_14partition_implILS8_4ELb0ES6_15HIP_vector_typeIjLj2EENS0_17counting_iteratorIjlEEPS9_SG_NS0_5tupleIJPjSI_NS0_16reverse_iteratorISI_EEEEENSH_IJSG_SG_SG_EEES9_SI_JZNS1_25segmented_radix_sort_implINS0_14default_configELb0EPKdPdPKlPlN2at6native12_GLOBAL__N_18offset_tEEE10hipError_tPvRmT1_PNSt15iterator_traitsIS12_E10value_typeET2_T3_PNS13_IS18_E10value_typeET4_jRbjT5_S1E_jjP12ihipStream_tbEUljE_ZNSN_ISO_Lb0ESQ_SR_ST_SU_SY_EESZ_S10_S11_S12_S16_S17_S18_S1B_S1C_jS1D_jS1E_S1E_jjS1G_bEUljE0_EEESZ_S10_S11_S18_S1C_S1E_T6_T7_T9_mT8_S1G_bDpT10_ENKUlT_T0_E_clISt17integral_constantIbLb0EES1U_EEDaS1P_S1Q_EUlS1P_E_NS1_11comp_targetILNS1_3genE5ELNS1_11target_archE942ELNS1_3gpuE9ELNS1_3repE0EEENS1_30default_config_static_selectorELNS0_4arch9wavefront6targetE0EEEvS12_.num_agpr, 0
	.set _ZN7rocprim17ROCPRIM_400000_NS6detail17trampoline_kernelINS0_13select_configILj256ELj13ELNS0_17block_load_methodE3ELS4_3ELS4_3ELNS0_20block_scan_algorithmE0ELj4294967295EEENS1_25partition_config_selectorILNS1_17partition_subalgoE4EjNS0_10empty_typeEbEEZZNS1_14partition_implILS8_4ELb0ES6_15HIP_vector_typeIjLj2EENS0_17counting_iteratorIjlEEPS9_SG_NS0_5tupleIJPjSI_NS0_16reverse_iteratorISI_EEEEENSH_IJSG_SG_SG_EEES9_SI_JZNS1_25segmented_radix_sort_implINS0_14default_configELb0EPKdPdPKlPlN2at6native12_GLOBAL__N_18offset_tEEE10hipError_tPvRmT1_PNSt15iterator_traitsIS12_E10value_typeET2_T3_PNS13_IS18_E10value_typeET4_jRbjT5_S1E_jjP12ihipStream_tbEUljE_ZNSN_ISO_Lb0ESQ_SR_ST_SU_SY_EESZ_S10_S11_S12_S16_S17_S18_S1B_S1C_jS1D_jS1E_S1E_jjS1G_bEUljE0_EEESZ_S10_S11_S18_S1C_S1E_T6_T7_T9_mT8_S1G_bDpT10_ENKUlT_T0_E_clISt17integral_constantIbLb0EES1U_EEDaS1P_S1Q_EUlS1P_E_NS1_11comp_targetILNS1_3genE5ELNS1_11target_archE942ELNS1_3gpuE9ELNS1_3repE0EEENS1_30default_config_static_selectorELNS0_4arch9wavefront6targetE0EEEvS12_.numbered_sgpr, 0
	.set _ZN7rocprim17ROCPRIM_400000_NS6detail17trampoline_kernelINS0_13select_configILj256ELj13ELNS0_17block_load_methodE3ELS4_3ELS4_3ELNS0_20block_scan_algorithmE0ELj4294967295EEENS1_25partition_config_selectorILNS1_17partition_subalgoE4EjNS0_10empty_typeEbEEZZNS1_14partition_implILS8_4ELb0ES6_15HIP_vector_typeIjLj2EENS0_17counting_iteratorIjlEEPS9_SG_NS0_5tupleIJPjSI_NS0_16reverse_iteratorISI_EEEEENSH_IJSG_SG_SG_EEES9_SI_JZNS1_25segmented_radix_sort_implINS0_14default_configELb0EPKdPdPKlPlN2at6native12_GLOBAL__N_18offset_tEEE10hipError_tPvRmT1_PNSt15iterator_traitsIS12_E10value_typeET2_T3_PNS13_IS18_E10value_typeET4_jRbjT5_S1E_jjP12ihipStream_tbEUljE_ZNSN_ISO_Lb0ESQ_SR_ST_SU_SY_EESZ_S10_S11_S12_S16_S17_S18_S1B_S1C_jS1D_jS1E_S1E_jjS1G_bEUljE0_EEESZ_S10_S11_S18_S1C_S1E_T6_T7_T9_mT8_S1G_bDpT10_ENKUlT_T0_E_clISt17integral_constantIbLb0EES1U_EEDaS1P_S1Q_EUlS1P_E_NS1_11comp_targetILNS1_3genE5ELNS1_11target_archE942ELNS1_3gpuE9ELNS1_3repE0EEENS1_30default_config_static_selectorELNS0_4arch9wavefront6targetE0EEEvS12_.num_named_barrier, 0
	.set _ZN7rocprim17ROCPRIM_400000_NS6detail17trampoline_kernelINS0_13select_configILj256ELj13ELNS0_17block_load_methodE3ELS4_3ELS4_3ELNS0_20block_scan_algorithmE0ELj4294967295EEENS1_25partition_config_selectorILNS1_17partition_subalgoE4EjNS0_10empty_typeEbEEZZNS1_14partition_implILS8_4ELb0ES6_15HIP_vector_typeIjLj2EENS0_17counting_iteratorIjlEEPS9_SG_NS0_5tupleIJPjSI_NS0_16reverse_iteratorISI_EEEEENSH_IJSG_SG_SG_EEES9_SI_JZNS1_25segmented_radix_sort_implINS0_14default_configELb0EPKdPdPKlPlN2at6native12_GLOBAL__N_18offset_tEEE10hipError_tPvRmT1_PNSt15iterator_traitsIS12_E10value_typeET2_T3_PNS13_IS18_E10value_typeET4_jRbjT5_S1E_jjP12ihipStream_tbEUljE_ZNSN_ISO_Lb0ESQ_SR_ST_SU_SY_EESZ_S10_S11_S12_S16_S17_S18_S1B_S1C_jS1D_jS1E_S1E_jjS1G_bEUljE0_EEESZ_S10_S11_S18_S1C_S1E_T6_T7_T9_mT8_S1G_bDpT10_ENKUlT_T0_E_clISt17integral_constantIbLb0EES1U_EEDaS1P_S1Q_EUlS1P_E_NS1_11comp_targetILNS1_3genE5ELNS1_11target_archE942ELNS1_3gpuE9ELNS1_3repE0EEENS1_30default_config_static_selectorELNS0_4arch9wavefront6targetE0EEEvS12_.private_seg_size, 0
	.set _ZN7rocprim17ROCPRIM_400000_NS6detail17trampoline_kernelINS0_13select_configILj256ELj13ELNS0_17block_load_methodE3ELS4_3ELS4_3ELNS0_20block_scan_algorithmE0ELj4294967295EEENS1_25partition_config_selectorILNS1_17partition_subalgoE4EjNS0_10empty_typeEbEEZZNS1_14partition_implILS8_4ELb0ES6_15HIP_vector_typeIjLj2EENS0_17counting_iteratorIjlEEPS9_SG_NS0_5tupleIJPjSI_NS0_16reverse_iteratorISI_EEEEENSH_IJSG_SG_SG_EEES9_SI_JZNS1_25segmented_radix_sort_implINS0_14default_configELb0EPKdPdPKlPlN2at6native12_GLOBAL__N_18offset_tEEE10hipError_tPvRmT1_PNSt15iterator_traitsIS12_E10value_typeET2_T3_PNS13_IS18_E10value_typeET4_jRbjT5_S1E_jjP12ihipStream_tbEUljE_ZNSN_ISO_Lb0ESQ_SR_ST_SU_SY_EESZ_S10_S11_S12_S16_S17_S18_S1B_S1C_jS1D_jS1E_S1E_jjS1G_bEUljE0_EEESZ_S10_S11_S18_S1C_S1E_T6_T7_T9_mT8_S1G_bDpT10_ENKUlT_T0_E_clISt17integral_constantIbLb0EES1U_EEDaS1P_S1Q_EUlS1P_E_NS1_11comp_targetILNS1_3genE5ELNS1_11target_archE942ELNS1_3gpuE9ELNS1_3repE0EEENS1_30default_config_static_selectorELNS0_4arch9wavefront6targetE0EEEvS12_.uses_vcc, 0
	.set _ZN7rocprim17ROCPRIM_400000_NS6detail17trampoline_kernelINS0_13select_configILj256ELj13ELNS0_17block_load_methodE3ELS4_3ELS4_3ELNS0_20block_scan_algorithmE0ELj4294967295EEENS1_25partition_config_selectorILNS1_17partition_subalgoE4EjNS0_10empty_typeEbEEZZNS1_14partition_implILS8_4ELb0ES6_15HIP_vector_typeIjLj2EENS0_17counting_iteratorIjlEEPS9_SG_NS0_5tupleIJPjSI_NS0_16reverse_iteratorISI_EEEEENSH_IJSG_SG_SG_EEES9_SI_JZNS1_25segmented_radix_sort_implINS0_14default_configELb0EPKdPdPKlPlN2at6native12_GLOBAL__N_18offset_tEEE10hipError_tPvRmT1_PNSt15iterator_traitsIS12_E10value_typeET2_T3_PNS13_IS18_E10value_typeET4_jRbjT5_S1E_jjP12ihipStream_tbEUljE_ZNSN_ISO_Lb0ESQ_SR_ST_SU_SY_EESZ_S10_S11_S12_S16_S17_S18_S1B_S1C_jS1D_jS1E_S1E_jjS1G_bEUljE0_EEESZ_S10_S11_S18_S1C_S1E_T6_T7_T9_mT8_S1G_bDpT10_ENKUlT_T0_E_clISt17integral_constantIbLb0EES1U_EEDaS1P_S1Q_EUlS1P_E_NS1_11comp_targetILNS1_3genE5ELNS1_11target_archE942ELNS1_3gpuE9ELNS1_3repE0EEENS1_30default_config_static_selectorELNS0_4arch9wavefront6targetE0EEEvS12_.uses_flat_scratch, 0
	.set _ZN7rocprim17ROCPRIM_400000_NS6detail17trampoline_kernelINS0_13select_configILj256ELj13ELNS0_17block_load_methodE3ELS4_3ELS4_3ELNS0_20block_scan_algorithmE0ELj4294967295EEENS1_25partition_config_selectorILNS1_17partition_subalgoE4EjNS0_10empty_typeEbEEZZNS1_14partition_implILS8_4ELb0ES6_15HIP_vector_typeIjLj2EENS0_17counting_iteratorIjlEEPS9_SG_NS0_5tupleIJPjSI_NS0_16reverse_iteratorISI_EEEEENSH_IJSG_SG_SG_EEES9_SI_JZNS1_25segmented_radix_sort_implINS0_14default_configELb0EPKdPdPKlPlN2at6native12_GLOBAL__N_18offset_tEEE10hipError_tPvRmT1_PNSt15iterator_traitsIS12_E10value_typeET2_T3_PNS13_IS18_E10value_typeET4_jRbjT5_S1E_jjP12ihipStream_tbEUljE_ZNSN_ISO_Lb0ESQ_SR_ST_SU_SY_EESZ_S10_S11_S12_S16_S17_S18_S1B_S1C_jS1D_jS1E_S1E_jjS1G_bEUljE0_EEESZ_S10_S11_S18_S1C_S1E_T6_T7_T9_mT8_S1G_bDpT10_ENKUlT_T0_E_clISt17integral_constantIbLb0EES1U_EEDaS1P_S1Q_EUlS1P_E_NS1_11comp_targetILNS1_3genE5ELNS1_11target_archE942ELNS1_3gpuE9ELNS1_3repE0EEENS1_30default_config_static_selectorELNS0_4arch9wavefront6targetE0EEEvS12_.has_dyn_sized_stack, 0
	.set _ZN7rocprim17ROCPRIM_400000_NS6detail17trampoline_kernelINS0_13select_configILj256ELj13ELNS0_17block_load_methodE3ELS4_3ELS4_3ELNS0_20block_scan_algorithmE0ELj4294967295EEENS1_25partition_config_selectorILNS1_17partition_subalgoE4EjNS0_10empty_typeEbEEZZNS1_14partition_implILS8_4ELb0ES6_15HIP_vector_typeIjLj2EENS0_17counting_iteratorIjlEEPS9_SG_NS0_5tupleIJPjSI_NS0_16reverse_iteratorISI_EEEEENSH_IJSG_SG_SG_EEES9_SI_JZNS1_25segmented_radix_sort_implINS0_14default_configELb0EPKdPdPKlPlN2at6native12_GLOBAL__N_18offset_tEEE10hipError_tPvRmT1_PNSt15iterator_traitsIS12_E10value_typeET2_T3_PNS13_IS18_E10value_typeET4_jRbjT5_S1E_jjP12ihipStream_tbEUljE_ZNSN_ISO_Lb0ESQ_SR_ST_SU_SY_EESZ_S10_S11_S12_S16_S17_S18_S1B_S1C_jS1D_jS1E_S1E_jjS1G_bEUljE0_EEESZ_S10_S11_S18_S1C_S1E_T6_T7_T9_mT8_S1G_bDpT10_ENKUlT_T0_E_clISt17integral_constantIbLb0EES1U_EEDaS1P_S1Q_EUlS1P_E_NS1_11comp_targetILNS1_3genE5ELNS1_11target_archE942ELNS1_3gpuE9ELNS1_3repE0EEENS1_30default_config_static_selectorELNS0_4arch9wavefront6targetE0EEEvS12_.has_recursion, 0
	.set _ZN7rocprim17ROCPRIM_400000_NS6detail17trampoline_kernelINS0_13select_configILj256ELj13ELNS0_17block_load_methodE3ELS4_3ELS4_3ELNS0_20block_scan_algorithmE0ELj4294967295EEENS1_25partition_config_selectorILNS1_17partition_subalgoE4EjNS0_10empty_typeEbEEZZNS1_14partition_implILS8_4ELb0ES6_15HIP_vector_typeIjLj2EENS0_17counting_iteratorIjlEEPS9_SG_NS0_5tupleIJPjSI_NS0_16reverse_iteratorISI_EEEEENSH_IJSG_SG_SG_EEES9_SI_JZNS1_25segmented_radix_sort_implINS0_14default_configELb0EPKdPdPKlPlN2at6native12_GLOBAL__N_18offset_tEEE10hipError_tPvRmT1_PNSt15iterator_traitsIS12_E10value_typeET2_T3_PNS13_IS18_E10value_typeET4_jRbjT5_S1E_jjP12ihipStream_tbEUljE_ZNSN_ISO_Lb0ESQ_SR_ST_SU_SY_EESZ_S10_S11_S12_S16_S17_S18_S1B_S1C_jS1D_jS1E_S1E_jjS1G_bEUljE0_EEESZ_S10_S11_S18_S1C_S1E_T6_T7_T9_mT8_S1G_bDpT10_ENKUlT_T0_E_clISt17integral_constantIbLb0EES1U_EEDaS1P_S1Q_EUlS1P_E_NS1_11comp_targetILNS1_3genE5ELNS1_11target_archE942ELNS1_3gpuE9ELNS1_3repE0EEENS1_30default_config_static_selectorELNS0_4arch9wavefront6targetE0EEEvS12_.has_indirect_call, 0
	.section	.AMDGPU.csdata,"",@progbits
; Kernel info:
; codeLenInByte = 0
; TotalNumSgprs: 0
; NumVgprs: 0
; ScratchSize: 0
; MemoryBound: 0
; FloatMode: 240
; IeeeMode: 1
; LDSByteSize: 0 bytes/workgroup (compile time only)
; SGPRBlocks: 0
; VGPRBlocks: 0
; NumSGPRsForWavesPerEU: 1
; NumVGPRsForWavesPerEU: 1
; NamedBarCnt: 0
; Occupancy: 16
; WaveLimiterHint : 0
; COMPUTE_PGM_RSRC2:SCRATCH_EN: 0
; COMPUTE_PGM_RSRC2:USER_SGPR: 2
; COMPUTE_PGM_RSRC2:TRAP_HANDLER: 0
; COMPUTE_PGM_RSRC2:TGID_X_EN: 1
; COMPUTE_PGM_RSRC2:TGID_Y_EN: 0
; COMPUTE_PGM_RSRC2:TGID_Z_EN: 0
; COMPUTE_PGM_RSRC2:TIDIG_COMP_CNT: 0
	.section	.text._ZN7rocprim17ROCPRIM_400000_NS6detail17trampoline_kernelINS0_13select_configILj256ELj13ELNS0_17block_load_methodE3ELS4_3ELS4_3ELNS0_20block_scan_algorithmE0ELj4294967295EEENS1_25partition_config_selectorILNS1_17partition_subalgoE4EjNS0_10empty_typeEbEEZZNS1_14partition_implILS8_4ELb0ES6_15HIP_vector_typeIjLj2EENS0_17counting_iteratorIjlEEPS9_SG_NS0_5tupleIJPjSI_NS0_16reverse_iteratorISI_EEEEENSH_IJSG_SG_SG_EEES9_SI_JZNS1_25segmented_radix_sort_implINS0_14default_configELb0EPKdPdPKlPlN2at6native12_GLOBAL__N_18offset_tEEE10hipError_tPvRmT1_PNSt15iterator_traitsIS12_E10value_typeET2_T3_PNS13_IS18_E10value_typeET4_jRbjT5_S1E_jjP12ihipStream_tbEUljE_ZNSN_ISO_Lb0ESQ_SR_ST_SU_SY_EESZ_S10_S11_S12_S16_S17_S18_S1B_S1C_jS1D_jS1E_S1E_jjS1G_bEUljE0_EEESZ_S10_S11_S18_S1C_S1E_T6_T7_T9_mT8_S1G_bDpT10_ENKUlT_T0_E_clISt17integral_constantIbLb0EES1U_EEDaS1P_S1Q_EUlS1P_E_NS1_11comp_targetILNS1_3genE4ELNS1_11target_archE910ELNS1_3gpuE8ELNS1_3repE0EEENS1_30default_config_static_selectorELNS0_4arch9wavefront6targetE0EEEvS12_,"axG",@progbits,_ZN7rocprim17ROCPRIM_400000_NS6detail17trampoline_kernelINS0_13select_configILj256ELj13ELNS0_17block_load_methodE3ELS4_3ELS4_3ELNS0_20block_scan_algorithmE0ELj4294967295EEENS1_25partition_config_selectorILNS1_17partition_subalgoE4EjNS0_10empty_typeEbEEZZNS1_14partition_implILS8_4ELb0ES6_15HIP_vector_typeIjLj2EENS0_17counting_iteratorIjlEEPS9_SG_NS0_5tupleIJPjSI_NS0_16reverse_iteratorISI_EEEEENSH_IJSG_SG_SG_EEES9_SI_JZNS1_25segmented_radix_sort_implINS0_14default_configELb0EPKdPdPKlPlN2at6native12_GLOBAL__N_18offset_tEEE10hipError_tPvRmT1_PNSt15iterator_traitsIS12_E10value_typeET2_T3_PNS13_IS18_E10value_typeET4_jRbjT5_S1E_jjP12ihipStream_tbEUljE_ZNSN_ISO_Lb0ESQ_SR_ST_SU_SY_EESZ_S10_S11_S12_S16_S17_S18_S1B_S1C_jS1D_jS1E_S1E_jjS1G_bEUljE0_EEESZ_S10_S11_S18_S1C_S1E_T6_T7_T9_mT8_S1G_bDpT10_ENKUlT_T0_E_clISt17integral_constantIbLb0EES1U_EEDaS1P_S1Q_EUlS1P_E_NS1_11comp_targetILNS1_3genE4ELNS1_11target_archE910ELNS1_3gpuE8ELNS1_3repE0EEENS1_30default_config_static_selectorELNS0_4arch9wavefront6targetE0EEEvS12_,comdat
	.globl	_ZN7rocprim17ROCPRIM_400000_NS6detail17trampoline_kernelINS0_13select_configILj256ELj13ELNS0_17block_load_methodE3ELS4_3ELS4_3ELNS0_20block_scan_algorithmE0ELj4294967295EEENS1_25partition_config_selectorILNS1_17partition_subalgoE4EjNS0_10empty_typeEbEEZZNS1_14partition_implILS8_4ELb0ES6_15HIP_vector_typeIjLj2EENS0_17counting_iteratorIjlEEPS9_SG_NS0_5tupleIJPjSI_NS0_16reverse_iteratorISI_EEEEENSH_IJSG_SG_SG_EEES9_SI_JZNS1_25segmented_radix_sort_implINS0_14default_configELb0EPKdPdPKlPlN2at6native12_GLOBAL__N_18offset_tEEE10hipError_tPvRmT1_PNSt15iterator_traitsIS12_E10value_typeET2_T3_PNS13_IS18_E10value_typeET4_jRbjT5_S1E_jjP12ihipStream_tbEUljE_ZNSN_ISO_Lb0ESQ_SR_ST_SU_SY_EESZ_S10_S11_S12_S16_S17_S18_S1B_S1C_jS1D_jS1E_S1E_jjS1G_bEUljE0_EEESZ_S10_S11_S18_S1C_S1E_T6_T7_T9_mT8_S1G_bDpT10_ENKUlT_T0_E_clISt17integral_constantIbLb0EES1U_EEDaS1P_S1Q_EUlS1P_E_NS1_11comp_targetILNS1_3genE4ELNS1_11target_archE910ELNS1_3gpuE8ELNS1_3repE0EEENS1_30default_config_static_selectorELNS0_4arch9wavefront6targetE0EEEvS12_ ; -- Begin function _ZN7rocprim17ROCPRIM_400000_NS6detail17trampoline_kernelINS0_13select_configILj256ELj13ELNS0_17block_load_methodE3ELS4_3ELS4_3ELNS0_20block_scan_algorithmE0ELj4294967295EEENS1_25partition_config_selectorILNS1_17partition_subalgoE4EjNS0_10empty_typeEbEEZZNS1_14partition_implILS8_4ELb0ES6_15HIP_vector_typeIjLj2EENS0_17counting_iteratorIjlEEPS9_SG_NS0_5tupleIJPjSI_NS0_16reverse_iteratorISI_EEEEENSH_IJSG_SG_SG_EEES9_SI_JZNS1_25segmented_radix_sort_implINS0_14default_configELb0EPKdPdPKlPlN2at6native12_GLOBAL__N_18offset_tEEE10hipError_tPvRmT1_PNSt15iterator_traitsIS12_E10value_typeET2_T3_PNS13_IS18_E10value_typeET4_jRbjT5_S1E_jjP12ihipStream_tbEUljE_ZNSN_ISO_Lb0ESQ_SR_ST_SU_SY_EESZ_S10_S11_S12_S16_S17_S18_S1B_S1C_jS1D_jS1E_S1E_jjS1G_bEUljE0_EEESZ_S10_S11_S18_S1C_S1E_T6_T7_T9_mT8_S1G_bDpT10_ENKUlT_T0_E_clISt17integral_constantIbLb0EES1U_EEDaS1P_S1Q_EUlS1P_E_NS1_11comp_targetILNS1_3genE4ELNS1_11target_archE910ELNS1_3gpuE8ELNS1_3repE0EEENS1_30default_config_static_selectorELNS0_4arch9wavefront6targetE0EEEvS12_
	.p2align	8
	.type	_ZN7rocprim17ROCPRIM_400000_NS6detail17trampoline_kernelINS0_13select_configILj256ELj13ELNS0_17block_load_methodE3ELS4_3ELS4_3ELNS0_20block_scan_algorithmE0ELj4294967295EEENS1_25partition_config_selectorILNS1_17partition_subalgoE4EjNS0_10empty_typeEbEEZZNS1_14partition_implILS8_4ELb0ES6_15HIP_vector_typeIjLj2EENS0_17counting_iteratorIjlEEPS9_SG_NS0_5tupleIJPjSI_NS0_16reverse_iteratorISI_EEEEENSH_IJSG_SG_SG_EEES9_SI_JZNS1_25segmented_radix_sort_implINS0_14default_configELb0EPKdPdPKlPlN2at6native12_GLOBAL__N_18offset_tEEE10hipError_tPvRmT1_PNSt15iterator_traitsIS12_E10value_typeET2_T3_PNS13_IS18_E10value_typeET4_jRbjT5_S1E_jjP12ihipStream_tbEUljE_ZNSN_ISO_Lb0ESQ_SR_ST_SU_SY_EESZ_S10_S11_S12_S16_S17_S18_S1B_S1C_jS1D_jS1E_S1E_jjS1G_bEUljE0_EEESZ_S10_S11_S18_S1C_S1E_T6_T7_T9_mT8_S1G_bDpT10_ENKUlT_T0_E_clISt17integral_constantIbLb0EES1U_EEDaS1P_S1Q_EUlS1P_E_NS1_11comp_targetILNS1_3genE4ELNS1_11target_archE910ELNS1_3gpuE8ELNS1_3repE0EEENS1_30default_config_static_selectorELNS0_4arch9wavefront6targetE0EEEvS12_,@function
_ZN7rocprim17ROCPRIM_400000_NS6detail17trampoline_kernelINS0_13select_configILj256ELj13ELNS0_17block_load_methodE3ELS4_3ELS4_3ELNS0_20block_scan_algorithmE0ELj4294967295EEENS1_25partition_config_selectorILNS1_17partition_subalgoE4EjNS0_10empty_typeEbEEZZNS1_14partition_implILS8_4ELb0ES6_15HIP_vector_typeIjLj2EENS0_17counting_iteratorIjlEEPS9_SG_NS0_5tupleIJPjSI_NS0_16reverse_iteratorISI_EEEEENSH_IJSG_SG_SG_EEES9_SI_JZNS1_25segmented_radix_sort_implINS0_14default_configELb0EPKdPdPKlPlN2at6native12_GLOBAL__N_18offset_tEEE10hipError_tPvRmT1_PNSt15iterator_traitsIS12_E10value_typeET2_T3_PNS13_IS18_E10value_typeET4_jRbjT5_S1E_jjP12ihipStream_tbEUljE_ZNSN_ISO_Lb0ESQ_SR_ST_SU_SY_EESZ_S10_S11_S12_S16_S17_S18_S1B_S1C_jS1D_jS1E_S1E_jjS1G_bEUljE0_EEESZ_S10_S11_S18_S1C_S1E_T6_T7_T9_mT8_S1G_bDpT10_ENKUlT_T0_E_clISt17integral_constantIbLb0EES1U_EEDaS1P_S1Q_EUlS1P_E_NS1_11comp_targetILNS1_3genE4ELNS1_11target_archE910ELNS1_3gpuE8ELNS1_3repE0EEENS1_30default_config_static_selectorELNS0_4arch9wavefront6targetE0EEEvS12_: ; @_ZN7rocprim17ROCPRIM_400000_NS6detail17trampoline_kernelINS0_13select_configILj256ELj13ELNS0_17block_load_methodE3ELS4_3ELS4_3ELNS0_20block_scan_algorithmE0ELj4294967295EEENS1_25partition_config_selectorILNS1_17partition_subalgoE4EjNS0_10empty_typeEbEEZZNS1_14partition_implILS8_4ELb0ES6_15HIP_vector_typeIjLj2EENS0_17counting_iteratorIjlEEPS9_SG_NS0_5tupleIJPjSI_NS0_16reverse_iteratorISI_EEEEENSH_IJSG_SG_SG_EEES9_SI_JZNS1_25segmented_radix_sort_implINS0_14default_configELb0EPKdPdPKlPlN2at6native12_GLOBAL__N_18offset_tEEE10hipError_tPvRmT1_PNSt15iterator_traitsIS12_E10value_typeET2_T3_PNS13_IS18_E10value_typeET4_jRbjT5_S1E_jjP12ihipStream_tbEUljE_ZNSN_ISO_Lb0ESQ_SR_ST_SU_SY_EESZ_S10_S11_S12_S16_S17_S18_S1B_S1C_jS1D_jS1E_S1E_jjS1G_bEUljE0_EEESZ_S10_S11_S18_S1C_S1E_T6_T7_T9_mT8_S1G_bDpT10_ENKUlT_T0_E_clISt17integral_constantIbLb0EES1U_EEDaS1P_S1Q_EUlS1P_E_NS1_11comp_targetILNS1_3genE4ELNS1_11target_archE910ELNS1_3gpuE8ELNS1_3repE0EEENS1_30default_config_static_selectorELNS0_4arch9wavefront6targetE0EEEvS12_
; %bb.0:
	.section	.rodata,"a",@progbits
	.p2align	6, 0x0
	.amdhsa_kernel _ZN7rocprim17ROCPRIM_400000_NS6detail17trampoline_kernelINS0_13select_configILj256ELj13ELNS0_17block_load_methodE3ELS4_3ELS4_3ELNS0_20block_scan_algorithmE0ELj4294967295EEENS1_25partition_config_selectorILNS1_17partition_subalgoE4EjNS0_10empty_typeEbEEZZNS1_14partition_implILS8_4ELb0ES6_15HIP_vector_typeIjLj2EENS0_17counting_iteratorIjlEEPS9_SG_NS0_5tupleIJPjSI_NS0_16reverse_iteratorISI_EEEEENSH_IJSG_SG_SG_EEES9_SI_JZNS1_25segmented_radix_sort_implINS0_14default_configELb0EPKdPdPKlPlN2at6native12_GLOBAL__N_18offset_tEEE10hipError_tPvRmT1_PNSt15iterator_traitsIS12_E10value_typeET2_T3_PNS13_IS18_E10value_typeET4_jRbjT5_S1E_jjP12ihipStream_tbEUljE_ZNSN_ISO_Lb0ESQ_SR_ST_SU_SY_EESZ_S10_S11_S12_S16_S17_S18_S1B_S1C_jS1D_jS1E_S1E_jjS1G_bEUljE0_EEESZ_S10_S11_S18_S1C_S1E_T6_T7_T9_mT8_S1G_bDpT10_ENKUlT_T0_E_clISt17integral_constantIbLb0EES1U_EEDaS1P_S1Q_EUlS1P_E_NS1_11comp_targetILNS1_3genE4ELNS1_11target_archE910ELNS1_3gpuE8ELNS1_3repE0EEENS1_30default_config_static_selectorELNS0_4arch9wavefront6targetE0EEEvS12_
		.amdhsa_group_segment_fixed_size 0
		.amdhsa_private_segment_fixed_size 0
		.amdhsa_kernarg_size 176
		.amdhsa_user_sgpr_count 2
		.amdhsa_user_sgpr_dispatch_ptr 0
		.amdhsa_user_sgpr_queue_ptr 0
		.amdhsa_user_sgpr_kernarg_segment_ptr 1
		.amdhsa_user_sgpr_dispatch_id 0
		.amdhsa_user_sgpr_kernarg_preload_length 0
		.amdhsa_user_sgpr_kernarg_preload_offset 0
		.amdhsa_user_sgpr_private_segment_size 0
		.amdhsa_wavefront_size32 1
		.amdhsa_uses_dynamic_stack 0
		.amdhsa_enable_private_segment 0
		.amdhsa_system_sgpr_workgroup_id_x 1
		.amdhsa_system_sgpr_workgroup_id_y 0
		.amdhsa_system_sgpr_workgroup_id_z 0
		.amdhsa_system_sgpr_workgroup_info 0
		.amdhsa_system_vgpr_workitem_id 0
		.amdhsa_next_free_vgpr 1
		.amdhsa_next_free_sgpr 1
		.amdhsa_named_barrier_count 0
		.amdhsa_reserve_vcc 0
		.amdhsa_float_round_mode_32 0
		.amdhsa_float_round_mode_16_64 0
		.amdhsa_float_denorm_mode_32 3
		.amdhsa_float_denorm_mode_16_64 3
		.amdhsa_fp16_overflow 0
		.amdhsa_memory_ordered 1
		.amdhsa_forward_progress 1
		.amdhsa_inst_pref_size 0
		.amdhsa_round_robin_scheduling 0
		.amdhsa_exception_fp_ieee_invalid_op 0
		.amdhsa_exception_fp_denorm_src 0
		.amdhsa_exception_fp_ieee_div_zero 0
		.amdhsa_exception_fp_ieee_overflow 0
		.amdhsa_exception_fp_ieee_underflow 0
		.amdhsa_exception_fp_ieee_inexact 0
		.amdhsa_exception_int_div_zero 0
	.end_amdhsa_kernel
	.section	.text._ZN7rocprim17ROCPRIM_400000_NS6detail17trampoline_kernelINS0_13select_configILj256ELj13ELNS0_17block_load_methodE3ELS4_3ELS4_3ELNS0_20block_scan_algorithmE0ELj4294967295EEENS1_25partition_config_selectorILNS1_17partition_subalgoE4EjNS0_10empty_typeEbEEZZNS1_14partition_implILS8_4ELb0ES6_15HIP_vector_typeIjLj2EENS0_17counting_iteratorIjlEEPS9_SG_NS0_5tupleIJPjSI_NS0_16reverse_iteratorISI_EEEEENSH_IJSG_SG_SG_EEES9_SI_JZNS1_25segmented_radix_sort_implINS0_14default_configELb0EPKdPdPKlPlN2at6native12_GLOBAL__N_18offset_tEEE10hipError_tPvRmT1_PNSt15iterator_traitsIS12_E10value_typeET2_T3_PNS13_IS18_E10value_typeET4_jRbjT5_S1E_jjP12ihipStream_tbEUljE_ZNSN_ISO_Lb0ESQ_SR_ST_SU_SY_EESZ_S10_S11_S12_S16_S17_S18_S1B_S1C_jS1D_jS1E_S1E_jjS1G_bEUljE0_EEESZ_S10_S11_S18_S1C_S1E_T6_T7_T9_mT8_S1G_bDpT10_ENKUlT_T0_E_clISt17integral_constantIbLb0EES1U_EEDaS1P_S1Q_EUlS1P_E_NS1_11comp_targetILNS1_3genE4ELNS1_11target_archE910ELNS1_3gpuE8ELNS1_3repE0EEENS1_30default_config_static_selectorELNS0_4arch9wavefront6targetE0EEEvS12_,"axG",@progbits,_ZN7rocprim17ROCPRIM_400000_NS6detail17trampoline_kernelINS0_13select_configILj256ELj13ELNS0_17block_load_methodE3ELS4_3ELS4_3ELNS0_20block_scan_algorithmE0ELj4294967295EEENS1_25partition_config_selectorILNS1_17partition_subalgoE4EjNS0_10empty_typeEbEEZZNS1_14partition_implILS8_4ELb0ES6_15HIP_vector_typeIjLj2EENS0_17counting_iteratorIjlEEPS9_SG_NS0_5tupleIJPjSI_NS0_16reverse_iteratorISI_EEEEENSH_IJSG_SG_SG_EEES9_SI_JZNS1_25segmented_radix_sort_implINS0_14default_configELb0EPKdPdPKlPlN2at6native12_GLOBAL__N_18offset_tEEE10hipError_tPvRmT1_PNSt15iterator_traitsIS12_E10value_typeET2_T3_PNS13_IS18_E10value_typeET4_jRbjT5_S1E_jjP12ihipStream_tbEUljE_ZNSN_ISO_Lb0ESQ_SR_ST_SU_SY_EESZ_S10_S11_S12_S16_S17_S18_S1B_S1C_jS1D_jS1E_S1E_jjS1G_bEUljE0_EEESZ_S10_S11_S18_S1C_S1E_T6_T7_T9_mT8_S1G_bDpT10_ENKUlT_T0_E_clISt17integral_constantIbLb0EES1U_EEDaS1P_S1Q_EUlS1P_E_NS1_11comp_targetILNS1_3genE4ELNS1_11target_archE910ELNS1_3gpuE8ELNS1_3repE0EEENS1_30default_config_static_selectorELNS0_4arch9wavefront6targetE0EEEvS12_,comdat
.Lfunc_end1153:
	.size	_ZN7rocprim17ROCPRIM_400000_NS6detail17trampoline_kernelINS0_13select_configILj256ELj13ELNS0_17block_load_methodE3ELS4_3ELS4_3ELNS0_20block_scan_algorithmE0ELj4294967295EEENS1_25partition_config_selectorILNS1_17partition_subalgoE4EjNS0_10empty_typeEbEEZZNS1_14partition_implILS8_4ELb0ES6_15HIP_vector_typeIjLj2EENS0_17counting_iteratorIjlEEPS9_SG_NS0_5tupleIJPjSI_NS0_16reverse_iteratorISI_EEEEENSH_IJSG_SG_SG_EEES9_SI_JZNS1_25segmented_radix_sort_implINS0_14default_configELb0EPKdPdPKlPlN2at6native12_GLOBAL__N_18offset_tEEE10hipError_tPvRmT1_PNSt15iterator_traitsIS12_E10value_typeET2_T3_PNS13_IS18_E10value_typeET4_jRbjT5_S1E_jjP12ihipStream_tbEUljE_ZNSN_ISO_Lb0ESQ_SR_ST_SU_SY_EESZ_S10_S11_S12_S16_S17_S18_S1B_S1C_jS1D_jS1E_S1E_jjS1G_bEUljE0_EEESZ_S10_S11_S18_S1C_S1E_T6_T7_T9_mT8_S1G_bDpT10_ENKUlT_T0_E_clISt17integral_constantIbLb0EES1U_EEDaS1P_S1Q_EUlS1P_E_NS1_11comp_targetILNS1_3genE4ELNS1_11target_archE910ELNS1_3gpuE8ELNS1_3repE0EEENS1_30default_config_static_selectorELNS0_4arch9wavefront6targetE0EEEvS12_, .Lfunc_end1153-_ZN7rocprim17ROCPRIM_400000_NS6detail17trampoline_kernelINS0_13select_configILj256ELj13ELNS0_17block_load_methodE3ELS4_3ELS4_3ELNS0_20block_scan_algorithmE0ELj4294967295EEENS1_25partition_config_selectorILNS1_17partition_subalgoE4EjNS0_10empty_typeEbEEZZNS1_14partition_implILS8_4ELb0ES6_15HIP_vector_typeIjLj2EENS0_17counting_iteratorIjlEEPS9_SG_NS0_5tupleIJPjSI_NS0_16reverse_iteratorISI_EEEEENSH_IJSG_SG_SG_EEES9_SI_JZNS1_25segmented_radix_sort_implINS0_14default_configELb0EPKdPdPKlPlN2at6native12_GLOBAL__N_18offset_tEEE10hipError_tPvRmT1_PNSt15iterator_traitsIS12_E10value_typeET2_T3_PNS13_IS18_E10value_typeET4_jRbjT5_S1E_jjP12ihipStream_tbEUljE_ZNSN_ISO_Lb0ESQ_SR_ST_SU_SY_EESZ_S10_S11_S12_S16_S17_S18_S1B_S1C_jS1D_jS1E_S1E_jjS1G_bEUljE0_EEESZ_S10_S11_S18_S1C_S1E_T6_T7_T9_mT8_S1G_bDpT10_ENKUlT_T0_E_clISt17integral_constantIbLb0EES1U_EEDaS1P_S1Q_EUlS1P_E_NS1_11comp_targetILNS1_3genE4ELNS1_11target_archE910ELNS1_3gpuE8ELNS1_3repE0EEENS1_30default_config_static_selectorELNS0_4arch9wavefront6targetE0EEEvS12_
                                        ; -- End function
	.set _ZN7rocprim17ROCPRIM_400000_NS6detail17trampoline_kernelINS0_13select_configILj256ELj13ELNS0_17block_load_methodE3ELS4_3ELS4_3ELNS0_20block_scan_algorithmE0ELj4294967295EEENS1_25partition_config_selectorILNS1_17partition_subalgoE4EjNS0_10empty_typeEbEEZZNS1_14partition_implILS8_4ELb0ES6_15HIP_vector_typeIjLj2EENS0_17counting_iteratorIjlEEPS9_SG_NS0_5tupleIJPjSI_NS0_16reverse_iteratorISI_EEEEENSH_IJSG_SG_SG_EEES9_SI_JZNS1_25segmented_radix_sort_implINS0_14default_configELb0EPKdPdPKlPlN2at6native12_GLOBAL__N_18offset_tEEE10hipError_tPvRmT1_PNSt15iterator_traitsIS12_E10value_typeET2_T3_PNS13_IS18_E10value_typeET4_jRbjT5_S1E_jjP12ihipStream_tbEUljE_ZNSN_ISO_Lb0ESQ_SR_ST_SU_SY_EESZ_S10_S11_S12_S16_S17_S18_S1B_S1C_jS1D_jS1E_S1E_jjS1G_bEUljE0_EEESZ_S10_S11_S18_S1C_S1E_T6_T7_T9_mT8_S1G_bDpT10_ENKUlT_T0_E_clISt17integral_constantIbLb0EES1U_EEDaS1P_S1Q_EUlS1P_E_NS1_11comp_targetILNS1_3genE4ELNS1_11target_archE910ELNS1_3gpuE8ELNS1_3repE0EEENS1_30default_config_static_selectorELNS0_4arch9wavefront6targetE0EEEvS12_.num_vgpr, 0
	.set _ZN7rocprim17ROCPRIM_400000_NS6detail17trampoline_kernelINS0_13select_configILj256ELj13ELNS0_17block_load_methodE3ELS4_3ELS4_3ELNS0_20block_scan_algorithmE0ELj4294967295EEENS1_25partition_config_selectorILNS1_17partition_subalgoE4EjNS0_10empty_typeEbEEZZNS1_14partition_implILS8_4ELb0ES6_15HIP_vector_typeIjLj2EENS0_17counting_iteratorIjlEEPS9_SG_NS0_5tupleIJPjSI_NS0_16reverse_iteratorISI_EEEEENSH_IJSG_SG_SG_EEES9_SI_JZNS1_25segmented_radix_sort_implINS0_14default_configELb0EPKdPdPKlPlN2at6native12_GLOBAL__N_18offset_tEEE10hipError_tPvRmT1_PNSt15iterator_traitsIS12_E10value_typeET2_T3_PNS13_IS18_E10value_typeET4_jRbjT5_S1E_jjP12ihipStream_tbEUljE_ZNSN_ISO_Lb0ESQ_SR_ST_SU_SY_EESZ_S10_S11_S12_S16_S17_S18_S1B_S1C_jS1D_jS1E_S1E_jjS1G_bEUljE0_EEESZ_S10_S11_S18_S1C_S1E_T6_T7_T9_mT8_S1G_bDpT10_ENKUlT_T0_E_clISt17integral_constantIbLb0EES1U_EEDaS1P_S1Q_EUlS1P_E_NS1_11comp_targetILNS1_3genE4ELNS1_11target_archE910ELNS1_3gpuE8ELNS1_3repE0EEENS1_30default_config_static_selectorELNS0_4arch9wavefront6targetE0EEEvS12_.num_agpr, 0
	.set _ZN7rocprim17ROCPRIM_400000_NS6detail17trampoline_kernelINS0_13select_configILj256ELj13ELNS0_17block_load_methodE3ELS4_3ELS4_3ELNS0_20block_scan_algorithmE0ELj4294967295EEENS1_25partition_config_selectorILNS1_17partition_subalgoE4EjNS0_10empty_typeEbEEZZNS1_14partition_implILS8_4ELb0ES6_15HIP_vector_typeIjLj2EENS0_17counting_iteratorIjlEEPS9_SG_NS0_5tupleIJPjSI_NS0_16reverse_iteratorISI_EEEEENSH_IJSG_SG_SG_EEES9_SI_JZNS1_25segmented_radix_sort_implINS0_14default_configELb0EPKdPdPKlPlN2at6native12_GLOBAL__N_18offset_tEEE10hipError_tPvRmT1_PNSt15iterator_traitsIS12_E10value_typeET2_T3_PNS13_IS18_E10value_typeET4_jRbjT5_S1E_jjP12ihipStream_tbEUljE_ZNSN_ISO_Lb0ESQ_SR_ST_SU_SY_EESZ_S10_S11_S12_S16_S17_S18_S1B_S1C_jS1D_jS1E_S1E_jjS1G_bEUljE0_EEESZ_S10_S11_S18_S1C_S1E_T6_T7_T9_mT8_S1G_bDpT10_ENKUlT_T0_E_clISt17integral_constantIbLb0EES1U_EEDaS1P_S1Q_EUlS1P_E_NS1_11comp_targetILNS1_3genE4ELNS1_11target_archE910ELNS1_3gpuE8ELNS1_3repE0EEENS1_30default_config_static_selectorELNS0_4arch9wavefront6targetE0EEEvS12_.numbered_sgpr, 0
	.set _ZN7rocprim17ROCPRIM_400000_NS6detail17trampoline_kernelINS0_13select_configILj256ELj13ELNS0_17block_load_methodE3ELS4_3ELS4_3ELNS0_20block_scan_algorithmE0ELj4294967295EEENS1_25partition_config_selectorILNS1_17partition_subalgoE4EjNS0_10empty_typeEbEEZZNS1_14partition_implILS8_4ELb0ES6_15HIP_vector_typeIjLj2EENS0_17counting_iteratorIjlEEPS9_SG_NS0_5tupleIJPjSI_NS0_16reverse_iteratorISI_EEEEENSH_IJSG_SG_SG_EEES9_SI_JZNS1_25segmented_radix_sort_implINS0_14default_configELb0EPKdPdPKlPlN2at6native12_GLOBAL__N_18offset_tEEE10hipError_tPvRmT1_PNSt15iterator_traitsIS12_E10value_typeET2_T3_PNS13_IS18_E10value_typeET4_jRbjT5_S1E_jjP12ihipStream_tbEUljE_ZNSN_ISO_Lb0ESQ_SR_ST_SU_SY_EESZ_S10_S11_S12_S16_S17_S18_S1B_S1C_jS1D_jS1E_S1E_jjS1G_bEUljE0_EEESZ_S10_S11_S18_S1C_S1E_T6_T7_T9_mT8_S1G_bDpT10_ENKUlT_T0_E_clISt17integral_constantIbLb0EES1U_EEDaS1P_S1Q_EUlS1P_E_NS1_11comp_targetILNS1_3genE4ELNS1_11target_archE910ELNS1_3gpuE8ELNS1_3repE0EEENS1_30default_config_static_selectorELNS0_4arch9wavefront6targetE0EEEvS12_.num_named_barrier, 0
	.set _ZN7rocprim17ROCPRIM_400000_NS6detail17trampoline_kernelINS0_13select_configILj256ELj13ELNS0_17block_load_methodE3ELS4_3ELS4_3ELNS0_20block_scan_algorithmE0ELj4294967295EEENS1_25partition_config_selectorILNS1_17partition_subalgoE4EjNS0_10empty_typeEbEEZZNS1_14partition_implILS8_4ELb0ES6_15HIP_vector_typeIjLj2EENS0_17counting_iteratorIjlEEPS9_SG_NS0_5tupleIJPjSI_NS0_16reverse_iteratorISI_EEEEENSH_IJSG_SG_SG_EEES9_SI_JZNS1_25segmented_radix_sort_implINS0_14default_configELb0EPKdPdPKlPlN2at6native12_GLOBAL__N_18offset_tEEE10hipError_tPvRmT1_PNSt15iterator_traitsIS12_E10value_typeET2_T3_PNS13_IS18_E10value_typeET4_jRbjT5_S1E_jjP12ihipStream_tbEUljE_ZNSN_ISO_Lb0ESQ_SR_ST_SU_SY_EESZ_S10_S11_S12_S16_S17_S18_S1B_S1C_jS1D_jS1E_S1E_jjS1G_bEUljE0_EEESZ_S10_S11_S18_S1C_S1E_T6_T7_T9_mT8_S1G_bDpT10_ENKUlT_T0_E_clISt17integral_constantIbLb0EES1U_EEDaS1P_S1Q_EUlS1P_E_NS1_11comp_targetILNS1_3genE4ELNS1_11target_archE910ELNS1_3gpuE8ELNS1_3repE0EEENS1_30default_config_static_selectorELNS0_4arch9wavefront6targetE0EEEvS12_.private_seg_size, 0
	.set _ZN7rocprim17ROCPRIM_400000_NS6detail17trampoline_kernelINS0_13select_configILj256ELj13ELNS0_17block_load_methodE3ELS4_3ELS4_3ELNS0_20block_scan_algorithmE0ELj4294967295EEENS1_25partition_config_selectorILNS1_17partition_subalgoE4EjNS0_10empty_typeEbEEZZNS1_14partition_implILS8_4ELb0ES6_15HIP_vector_typeIjLj2EENS0_17counting_iteratorIjlEEPS9_SG_NS0_5tupleIJPjSI_NS0_16reverse_iteratorISI_EEEEENSH_IJSG_SG_SG_EEES9_SI_JZNS1_25segmented_radix_sort_implINS0_14default_configELb0EPKdPdPKlPlN2at6native12_GLOBAL__N_18offset_tEEE10hipError_tPvRmT1_PNSt15iterator_traitsIS12_E10value_typeET2_T3_PNS13_IS18_E10value_typeET4_jRbjT5_S1E_jjP12ihipStream_tbEUljE_ZNSN_ISO_Lb0ESQ_SR_ST_SU_SY_EESZ_S10_S11_S12_S16_S17_S18_S1B_S1C_jS1D_jS1E_S1E_jjS1G_bEUljE0_EEESZ_S10_S11_S18_S1C_S1E_T6_T7_T9_mT8_S1G_bDpT10_ENKUlT_T0_E_clISt17integral_constantIbLb0EES1U_EEDaS1P_S1Q_EUlS1P_E_NS1_11comp_targetILNS1_3genE4ELNS1_11target_archE910ELNS1_3gpuE8ELNS1_3repE0EEENS1_30default_config_static_selectorELNS0_4arch9wavefront6targetE0EEEvS12_.uses_vcc, 0
	.set _ZN7rocprim17ROCPRIM_400000_NS6detail17trampoline_kernelINS0_13select_configILj256ELj13ELNS0_17block_load_methodE3ELS4_3ELS4_3ELNS0_20block_scan_algorithmE0ELj4294967295EEENS1_25partition_config_selectorILNS1_17partition_subalgoE4EjNS0_10empty_typeEbEEZZNS1_14partition_implILS8_4ELb0ES6_15HIP_vector_typeIjLj2EENS0_17counting_iteratorIjlEEPS9_SG_NS0_5tupleIJPjSI_NS0_16reverse_iteratorISI_EEEEENSH_IJSG_SG_SG_EEES9_SI_JZNS1_25segmented_radix_sort_implINS0_14default_configELb0EPKdPdPKlPlN2at6native12_GLOBAL__N_18offset_tEEE10hipError_tPvRmT1_PNSt15iterator_traitsIS12_E10value_typeET2_T3_PNS13_IS18_E10value_typeET4_jRbjT5_S1E_jjP12ihipStream_tbEUljE_ZNSN_ISO_Lb0ESQ_SR_ST_SU_SY_EESZ_S10_S11_S12_S16_S17_S18_S1B_S1C_jS1D_jS1E_S1E_jjS1G_bEUljE0_EEESZ_S10_S11_S18_S1C_S1E_T6_T7_T9_mT8_S1G_bDpT10_ENKUlT_T0_E_clISt17integral_constantIbLb0EES1U_EEDaS1P_S1Q_EUlS1P_E_NS1_11comp_targetILNS1_3genE4ELNS1_11target_archE910ELNS1_3gpuE8ELNS1_3repE0EEENS1_30default_config_static_selectorELNS0_4arch9wavefront6targetE0EEEvS12_.uses_flat_scratch, 0
	.set _ZN7rocprim17ROCPRIM_400000_NS6detail17trampoline_kernelINS0_13select_configILj256ELj13ELNS0_17block_load_methodE3ELS4_3ELS4_3ELNS0_20block_scan_algorithmE0ELj4294967295EEENS1_25partition_config_selectorILNS1_17partition_subalgoE4EjNS0_10empty_typeEbEEZZNS1_14partition_implILS8_4ELb0ES6_15HIP_vector_typeIjLj2EENS0_17counting_iteratorIjlEEPS9_SG_NS0_5tupleIJPjSI_NS0_16reverse_iteratorISI_EEEEENSH_IJSG_SG_SG_EEES9_SI_JZNS1_25segmented_radix_sort_implINS0_14default_configELb0EPKdPdPKlPlN2at6native12_GLOBAL__N_18offset_tEEE10hipError_tPvRmT1_PNSt15iterator_traitsIS12_E10value_typeET2_T3_PNS13_IS18_E10value_typeET4_jRbjT5_S1E_jjP12ihipStream_tbEUljE_ZNSN_ISO_Lb0ESQ_SR_ST_SU_SY_EESZ_S10_S11_S12_S16_S17_S18_S1B_S1C_jS1D_jS1E_S1E_jjS1G_bEUljE0_EEESZ_S10_S11_S18_S1C_S1E_T6_T7_T9_mT8_S1G_bDpT10_ENKUlT_T0_E_clISt17integral_constantIbLb0EES1U_EEDaS1P_S1Q_EUlS1P_E_NS1_11comp_targetILNS1_3genE4ELNS1_11target_archE910ELNS1_3gpuE8ELNS1_3repE0EEENS1_30default_config_static_selectorELNS0_4arch9wavefront6targetE0EEEvS12_.has_dyn_sized_stack, 0
	.set _ZN7rocprim17ROCPRIM_400000_NS6detail17trampoline_kernelINS0_13select_configILj256ELj13ELNS0_17block_load_methodE3ELS4_3ELS4_3ELNS0_20block_scan_algorithmE0ELj4294967295EEENS1_25partition_config_selectorILNS1_17partition_subalgoE4EjNS0_10empty_typeEbEEZZNS1_14partition_implILS8_4ELb0ES6_15HIP_vector_typeIjLj2EENS0_17counting_iteratorIjlEEPS9_SG_NS0_5tupleIJPjSI_NS0_16reverse_iteratorISI_EEEEENSH_IJSG_SG_SG_EEES9_SI_JZNS1_25segmented_radix_sort_implINS0_14default_configELb0EPKdPdPKlPlN2at6native12_GLOBAL__N_18offset_tEEE10hipError_tPvRmT1_PNSt15iterator_traitsIS12_E10value_typeET2_T3_PNS13_IS18_E10value_typeET4_jRbjT5_S1E_jjP12ihipStream_tbEUljE_ZNSN_ISO_Lb0ESQ_SR_ST_SU_SY_EESZ_S10_S11_S12_S16_S17_S18_S1B_S1C_jS1D_jS1E_S1E_jjS1G_bEUljE0_EEESZ_S10_S11_S18_S1C_S1E_T6_T7_T9_mT8_S1G_bDpT10_ENKUlT_T0_E_clISt17integral_constantIbLb0EES1U_EEDaS1P_S1Q_EUlS1P_E_NS1_11comp_targetILNS1_3genE4ELNS1_11target_archE910ELNS1_3gpuE8ELNS1_3repE0EEENS1_30default_config_static_selectorELNS0_4arch9wavefront6targetE0EEEvS12_.has_recursion, 0
	.set _ZN7rocprim17ROCPRIM_400000_NS6detail17trampoline_kernelINS0_13select_configILj256ELj13ELNS0_17block_load_methodE3ELS4_3ELS4_3ELNS0_20block_scan_algorithmE0ELj4294967295EEENS1_25partition_config_selectorILNS1_17partition_subalgoE4EjNS0_10empty_typeEbEEZZNS1_14partition_implILS8_4ELb0ES6_15HIP_vector_typeIjLj2EENS0_17counting_iteratorIjlEEPS9_SG_NS0_5tupleIJPjSI_NS0_16reverse_iteratorISI_EEEEENSH_IJSG_SG_SG_EEES9_SI_JZNS1_25segmented_radix_sort_implINS0_14default_configELb0EPKdPdPKlPlN2at6native12_GLOBAL__N_18offset_tEEE10hipError_tPvRmT1_PNSt15iterator_traitsIS12_E10value_typeET2_T3_PNS13_IS18_E10value_typeET4_jRbjT5_S1E_jjP12ihipStream_tbEUljE_ZNSN_ISO_Lb0ESQ_SR_ST_SU_SY_EESZ_S10_S11_S12_S16_S17_S18_S1B_S1C_jS1D_jS1E_S1E_jjS1G_bEUljE0_EEESZ_S10_S11_S18_S1C_S1E_T6_T7_T9_mT8_S1G_bDpT10_ENKUlT_T0_E_clISt17integral_constantIbLb0EES1U_EEDaS1P_S1Q_EUlS1P_E_NS1_11comp_targetILNS1_3genE4ELNS1_11target_archE910ELNS1_3gpuE8ELNS1_3repE0EEENS1_30default_config_static_selectorELNS0_4arch9wavefront6targetE0EEEvS12_.has_indirect_call, 0
	.section	.AMDGPU.csdata,"",@progbits
; Kernel info:
; codeLenInByte = 0
; TotalNumSgprs: 0
; NumVgprs: 0
; ScratchSize: 0
; MemoryBound: 0
; FloatMode: 240
; IeeeMode: 1
; LDSByteSize: 0 bytes/workgroup (compile time only)
; SGPRBlocks: 0
; VGPRBlocks: 0
; NumSGPRsForWavesPerEU: 1
; NumVGPRsForWavesPerEU: 1
; NamedBarCnt: 0
; Occupancy: 16
; WaveLimiterHint : 0
; COMPUTE_PGM_RSRC2:SCRATCH_EN: 0
; COMPUTE_PGM_RSRC2:USER_SGPR: 2
; COMPUTE_PGM_RSRC2:TRAP_HANDLER: 0
; COMPUTE_PGM_RSRC2:TGID_X_EN: 1
; COMPUTE_PGM_RSRC2:TGID_Y_EN: 0
; COMPUTE_PGM_RSRC2:TGID_Z_EN: 0
; COMPUTE_PGM_RSRC2:TIDIG_COMP_CNT: 0
	.section	.text._ZN7rocprim17ROCPRIM_400000_NS6detail17trampoline_kernelINS0_13select_configILj256ELj13ELNS0_17block_load_methodE3ELS4_3ELS4_3ELNS0_20block_scan_algorithmE0ELj4294967295EEENS1_25partition_config_selectorILNS1_17partition_subalgoE4EjNS0_10empty_typeEbEEZZNS1_14partition_implILS8_4ELb0ES6_15HIP_vector_typeIjLj2EENS0_17counting_iteratorIjlEEPS9_SG_NS0_5tupleIJPjSI_NS0_16reverse_iteratorISI_EEEEENSH_IJSG_SG_SG_EEES9_SI_JZNS1_25segmented_radix_sort_implINS0_14default_configELb0EPKdPdPKlPlN2at6native12_GLOBAL__N_18offset_tEEE10hipError_tPvRmT1_PNSt15iterator_traitsIS12_E10value_typeET2_T3_PNS13_IS18_E10value_typeET4_jRbjT5_S1E_jjP12ihipStream_tbEUljE_ZNSN_ISO_Lb0ESQ_SR_ST_SU_SY_EESZ_S10_S11_S12_S16_S17_S18_S1B_S1C_jS1D_jS1E_S1E_jjS1G_bEUljE0_EEESZ_S10_S11_S18_S1C_S1E_T6_T7_T9_mT8_S1G_bDpT10_ENKUlT_T0_E_clISt17integral_constantIbLb0EES1U_EEDaS1P_S1Q_EUlS1P_E_NS1_11comp_targetILNS1_3genE3ELNS1_11target_archE908ELNS1_3gpuE7ELNS1_3repE0EEENS1_30default_config_static_selectorELNS0_4arch9wavefront6targetE0EEEvS12_,"axG",@progbits,_ZN7rocprim17ROCPRIM_400000_NS6detail17trampoline_kernelINS0_13select_configILj256ELj13ELNS0_17block_load_methodE3ELS4_3ELS4_3ELNS0_20block_scan_algorithmE0ELj4294967295EEENS1_25partition_config_selectorILNS1_17partition_subalgoE4EjNS0_10empty_typeEbEEZZNS1_14partition_implILS8_4ELb0ES6_15HIP_vector_typeIjLj2EENS0_17counting_iteratorIjlEEPS9_SG_NS0_5tupleIJPjSI_NS0_16reverse_iteratorISI_EEEEENSH_IJSG_SG_SG_EEES9_SI_JZNS1_25segmented_radix_sort_implINS0_14default_configELb0EPKdPdPKlPlN2at6native12_GLOBAL__N_18offset_tEEE10hipError_tPvRmT1_PNSt15iterator_traitsIS12_E10value_typeET2_T3_PNS13_IS18_E10value_typeET4_jRbjT5_S1E_jjP12ihipStream_tbEUljE_ZNSN_ISO_Lb0ESQ_SR_ST_SU_SY_EESZ_S10_S11_S12_S16_S17_S18_S1B_S1C_jS1D_jS1E_S1E_jjS1G_bEUljE0_EEESZ_S10_S11_S18_S1C_S1E_T6_T7_T9_mT8_S1G_bDpT10_ENKUlT_T0_E_clISt17integral_constantIbLb0EES1U_EEDaS1P_S1Q_EUlS1P_E_NS1_11comp_targetILNS1_3genE3ELNS1_11target_archE908ELNS1_3gpuE7ELNS1_3repE0EEENS1_30default_config_static_selectorELNS0_4arch9wavefront6targetE0EEEvS12_,comdat
	.globl	_ZN7rocprim17ROCPRIM_400000_NS6detail17trampoline_kernelINS0_13select_configILj256ELj13ELNS0_17block_load_methodE3ELS4_3ELS4_3ELNS0_20block_scan_algorithmE0ELj4294967295EEENS1_25partition_config_selectorILNS1_17partition_subalgoE4EjNS0_10empty_typeEbEEZZNS1_14partition_implILS8_4ELb0ES6_15HIP_vector_typeIjLj2EENS0_17counting_iteratorIjlEEPS9_SG_NS0_5tupleIJPjSI_NS0_16reverse_iteratorISI_EEEEENSH_IJSG_SG_SG_EEES9_SI_JZNS1_25segmented_radix_sort_implINS0_14default_configELb0EPKdPdPKlPlN2at6native12_GLOBAL__N_18offset_tEEE10hipError_tPvRmT1_PNSt15iterator_traitsIS12_E10value_typeET2_T3_PNS13_IS18_E10value_typeET4_jRbjT5_S1E_jjP12ihipStream_tbEUljE_ZNSN_ISO_Lb0ESQ_SR_ST_SU_SY_EESZ_S10_S11_S12_S16_S17_S18_S1B_S1C_jS1D_jS1E_S1E_jjS1G_bEUljE0_EEESZ_S10_S11_S18_S1C_S1E_T6_T7_T9_mT8_S1G_bDpT10_ENKUlT_T0_E_clISt17integral_constantIbLb0EES1U_EEDaS1P_S1Q_EUlS1P_E_NS1_11comp_targetILNS1_3genE3ELNS1_11target_archE908ELNS1_3gpuE7ELNS1_3repE0EEENS1_30default_config_static_selectorELNS0_4arch9wavefront6targetE0EEEvS12_ ; -- Begin function _ZN7rocprim17ROCPRIM_400000_NS6detail17trampoline_kernelINS0_13select_configILj256ELj13ELNS0_17block_load_methodE3ELS4_3ELS4_3ELNS0_20block_scan_algorithmE0ELj4294967295EEENS1_25partition_config_selectorILNS1_17partition_subalgoE4EjNS0_10empty_typeEbEEZZNS1_14partition_implILS8_4ELb0ES6_15HIP_vector_typeIjLj2EENS0_17counting_iteratorIjlEEPS9_SG_NS0_5tupleIJPjSI_NS0_16reverse_iteratorISI_EEEEENSH_IJSG_SG_SG_EEES9_SI_JZNS1_25segmented_radix_sort_implINS0_14default_configELb0EPKdPdPKlPlN2at6native12_GLOBAL__N_18offset_tEEE10hipError_tPvRmT1_PNSt15iterator_traitsIS12_E10value_typeET2_T3_PNS13_IS18_E10value_typeET4_jRbjT5_S1E_jjP12ihipStream_tbEUljE_ZNSN_ISO_Lb0ESQ_SR_ST_SU_SY_EESZ_S10_S11_S12_S16_S17_S18_S1B_S1C_jS1D_jS1E_S1E_jjS1G_bEUljE0_EEESZ_S10_S11_S18_S1C_S1E_T6_T7_T9_mT8_S1G_bDpT10_ENKUlT_T0_E_clISt17integral_constantIbLb0EES1U_EEDaS1P_S1Q_EUlS1P_E_NS1_11comp_targetILNS1_3genE3ELNS1_11target_archE908ELNS1_3gpuE7ELNS1_3repE0EEENS1_30default_config_static_selectorELNS0_4arch9wavefront6targetE0EEEvS12_
	.p2align	8
	.type	_ZN7rocprim17ROCPRIM_400000_NS6detail17trampoline_kernelINS0_13select_configILj256ELj13ELNS0_17block_load_methodE3ELS4_3ELS4_3ELNS0_20block_scan_algorithmE0ELj4294967295EEENS1_25partition_config_selectorILNS1_17partition_subalgoE4EjNS0_10empty_typeEbEEZZNS1_14partition_implILS8_4ELb0ES6_15HIP_vector_typeIjLj2EENS0_17counting_iteratorIjlEEPS9_SG_NS0_5tupleIJPjSI_NS0_16reverse_iteratorISI_EEEEENSH_IJSG_SG_SG_EEES9_SI_JZNS1_25segmented_radix_sort_implINS0_14default_configELb0EPKdPdPKlPlN2at6native12_GLOBAL__N_18offset_tEEE10hipError_tPvRmT1_PNSt15iterator_traitsIS12_E10value_typeET2_T3_PNS13_IS18_E10value_typeET4_jRbjT5_S1E_jjP12ihipStream_tbEUljE_ZNSN_ISO_Lb0ESQ_SR_ST_SU_SY_EESZ_S10_S11_S12_S16_S17_S18_S1B_S1C_jS1D_jS1E_S1E_jjS1G_bEUljE0_EEESZ_S10_S11_S18_S1C_S1E_T6_T7_T9_mT8_S1G_bDpT10_ENKUlT_T0_E_clISt17integral_constantIbLb0EES1U_EEDaS1P_S1Q_EUlS1P_E_NS1_11comp_targetILNS1_3genE3ELNS1_11target_archE908ELNS1_3gpuE7ELNS1_3repE0EEENS1_30default_config_static_selectorELNS0_4arch9wavefront6targetE0EEEvS12_,@function
_ZN7rocprim17ROCPRIM_400000_NS6detail17trampoline_kernelINS0_13select_configILj256ELj13ELNS0_17block_load_methodE3ELS4_3ELS4_3ELNS0_20block_scan_algorithmE0ELj4294967295EEENS1_25partition_config_selectorILNS1_17partition_subalgoE4EjNS0_10empty_typeEbEEZZNS1_14partition_implILS8_4ELb0ES6_15HIP_vector_typeIjLj2EENS0_17counting_iteratorIjlEEPS9_SG_NS0_5tupleIJPjSI_NS0_16reverse_iteratorISI_EEEEENSH_IJSG_SG_SG_EEES9_SI_JZNS1_25segmented_radix_sort_implINS0_14default_configELb0EPKdPdPKlPlN2at6native12_GLOBAL__N_18offset_tEEE10hipError_tPvRmT1_PNSt15iterator_traitsIS12_E10value_typeET2_T3_PNS13_IS18_E10value_typeET4_jRbjT5_S1E_jjP12ihipStream_tbEUljE_ZNSN_ISO_Lb0ESQ_SR_ST_SU_SY_EESZ_S10_S11_S12_S16_S17_S18_S1B_S1C_jS1D_jS1E_S1E_jjS1G_bEUljE0_EEESZ_S10_S11_S18_S1C_S1E_T6_T7_T9_mT8_S1G_bDpT10_ENKUlT_T0_E_clISt17integral_constantIbLb0EES1U_EEDaS1P_S1Q_EUlS1P_E_NS1_11comp_targetILNS1_3genE3ELNS1_11target_archE908ELNS1_3gpuE7ELNS1_3repE0EEENS1_30default_config_static_selectorELNS0_4arch9wavefront6targetE0EEEvS12_: ; @_ZN7rocprim17ROCPRIM_400000_NS6detail17trampoline_kernelINS0_13select_configILj256ELj13ELNS0_17block_load_methodE3ELS4_3ELS4_3ELNS0_20block_scan_algorithmE0ELj4294967295EEENS1_25partition_config_selectorILNS1_17partition_subalgoE4EjNS0_10empty_typeEbEEZZNS1_14partition_implILS8_4ELb0ES6_15HIP_vector_typeIjLj2EENS0_17counting_iteratorIjlEEPS9_SG_NS0_5tupleIJPjSI_NS0_16reverse_iteratorISI_EEEEENSH_IJSG_SG_SG_EEES9_SI_JZNS1_25segmented_radix_sort_implINS0_14default_configELb0EPKdPdPKlPlN2at6native12_GLOBAL__N_18offset_tEEE10hipError_tPvRmT1_PNSt15iterator_traitsIS12_E10value_typeET2_T3_PNS13_IS18_E10value_typeET4_jRbjT5_S1E_jjP12ihipStream_tbEUljE_ZNSN_ISO_Lb0ESQ_SR_ST_SU_SY_EESZ_S10_S11_S12_S16_S17_S18_S1B_S1C_jS1D_jS1E_S1E_jjS1G_bEUljE0_EEESZ_S10_S11_S18_S1C_S1E_T6_T7_T9_mT8_S1G_bDpT10_ENKUlT_T0_E_clISt17integral_constantIbLb0EES1U_EEDaS1P_S1Q_EUlS1P_E_NS1_11comp_targetILNS1_3genE3ELNS1_11target_archE908ELNS1_3gpuE7ELNS1_3repE0EEENS1_30default_config_static_selectorELNS0_4arch9wavefront6targetE0EEEvS12_
; %bb.0:
	.section	.rodata,"a",@progbits
	.p2align	6, 0x0
	.amdhsa_kernel _ZN7rocprim17ROCPRIM_400000_NS6detail17trampoline_kernelINS0_13select_configILj256ELj13ELNS0_17block_load_methodE3ELS4_3ELS4_3ELNS0_20block_scan_algorithmE0ELj4294967295EEENS1_25partition_config_selectorILNS1_17partition_subalgoE4EjNS0_10empty_typeEbEEZZNS1_14partition_implILS8_4ELb0ES6_15HIP_vector_typeIjLj2EENS0_17counting_iteratorIjlEEPS9_SG_NS0_5tupleIJPjSI_NS0_16reverse_iteratorISI_EEEEENSH_IJSG_SG_SG_EEES9_SI_JZNS1_25segmented_radix_sort_implINS0_14default_configELb0EPKdPdPKlPlN2at6native12_GLOBAL__N_18offset_tEEE10hipError_tPvRmT1_PNSt15iterator_traitsIS12_E10value_typeET2_T3_PNS13_IS18_E10value_typeET4_jRbjT5_S1E_jjP12ihipStream_tbEUljE_ZNSN_ISO_Lb0ESQ_SR_ST_SU_SY_EESZ_S10_S11_S12_S16_S17_S18_S1B_S1C_jS1D_jS1E_S1E_jjS1G_bEUljE0_EEESZ_S10_S11_S18_S1C_S1E_T6_T7_T9_mT8_S1G_bDpT10_ENKUlT_T0_E_clISt17integral_constantIbLb0EES1U_EEDaS1P_S1Q_EUlS1P_E_NS1_11comp_targetILNS1_3genE3ELNS1_11target_archE908ELNS1_3gpuE7ELNS1_3repE0EEENS1_30default_config_static_selectorELNS0_4arch9wavefront6targetE0EEEvS12_
		.amdhsa_group_segment_fixed_size 0
		.amdhsa_private_segment_fixed_size 0
		.amdhsa_kernarg_size 176
		.amdhsa_user_sgpr_count 2
		.amdhsa_user_sgpr_dispatch_ptr 0
		.amdhsa_user_sgpr_queue_ptr 0
		.amdhsa_user_sgpr_kernarg_segment_ptr 1
		.amdhsa_user_sgpr_dispatch_id 0
		.amdhsa_user_sgpr_kernarg_preload_length 0
		.amdhsa_user_sgpr_kernarg_preload_offset 0
		.amdhsa_user_sgpr_private_segment_size 0
		.amdhsa_wavefront_size32 1
		.amdhsa_uses_dynamic_stack 0
		.amdhsa_enable_private_segment 0
		.amdhsa_system_sgpr_workgroup_id_x 1
		.amdhsa_system_sgpr_workgroup_id_y 0
		.amdhsa_system_sgpr_workgroup_id_z 0
		.amdhsa_system_sgpr_workgroup_info 0
		.amdhsa_system_vgpr_workitem_id 0
		.amdhsa_next_free_vgpr 1
		.amdhsa_next_free_sgpr 1
		.amdhsa_named_barrier_count 0
		.amdhsa_reserve_vcc 0
		.amdhsa_float_round_mode_32 0
		.amdhsa_float_round_mode_16_64 0
		.amdhsa_float_denorm_mode_32 3
		.amdhsa_float_denorm_mode_16_64 3
		.amdhsa_fp16_overflow 0
		.amdhsa_memory_ordered 1
		.amdhsa_forward_progress 1
		.amdhsa_inst_pref_size 0
		.amdhsa_round_robin_scheduling 0
		.amdhsa_exception_fp_ieee_invalid_op 0
		.amdhsa_exception_fp_denorm_src 0
		.amdhsa_exception_fp_ieee_div_zero 0
		.amdhsa_exception_fp_ieee_overflow 0
		.amdhsa_exception_fp_ieee_underflow 0
		.amdhsa_exception_fp_ieee_inexact 0
		.amdhsa_exception_int_div_zero 0
	.end_amdhsa_kernel
	.section	.text._ZN7rocprim17ROCPRIM_400000_NS6detail17trampoline_kernelINS0_13select_configILj256ELj13ELNS0_17block_load_methodE3ELS4_3ELS4_3ELNS0_20block_scan_algorithmE0ELj4294967295EEENS1_25partition_config_selectorILNS1_17partition_subalgoE4EjNS0_10empty_typeEbEEZZNS1_14partition_implILS8_4ELb0ES6_15HIP_vector_typeIjLj2EENS0_17counting_iteratorIjlEEPS9_SG_NS0_5tupleIJPjSI_NS0_16reverse_iteratorISI_EEEEENSH_IJSG_SG_SG_EEES9_SI_JZNS1_25segmented_radix_sort_implINS0_14default_configELb0EPKdPdPKlPlN2at6native12_GLOBAL__N_18offset_tEEE10hipError_tPvRmT1_PNSt15iterator_traitsIS12_E10value_typeET2_T3_PNS13_IS18_E10value_typeET4_jRbjT5_S1E_jjP12ihipStream_tbEUljE_ZNSN_ISO_Lb0ESQ_SR_ST_SU_SY_EESZ_S10_S11_S12_S16_S17_S18_S1B_S1C_jS1D_jS1E_S1E_jjS1G_bEUljE0_EEESZ_S10_S11_S18_S1C_S1E_T6_T7_T9_mT8_S1G_bDpT10_ENKUlT_T0_E_clISt17integral_constantIbLb0EES1U_EEDaS1P_S1Q_EUlS1P_E_NS1_11comp_targetILNS1_3genE3ELNS1_11target_archE908ELNS1_3gpuE7ELNS1_3repE0EEENS1_30default_config_static_selectorELNS0_4arch9wavefront6targetE0EEEvS12_,"axG",@progbits,_ZN7rocprim17ROCPRIM_400000_NS6detail17trampoline_kernelINS0_13select_configILj256ELj13ELNS0_17block_load_methodE3ELS4_3ELS4_3ELNS0_20block_scan_algorithmE0ELj4294967295EEENS1_25partition_config_selectorILNS1_17partition_subalgoE4EjNS0_10empty_typeEbEEZZNS1_14partition_implILS8_4ELb0ES6_15HIP_vector_typeIjLj2EENS0_17counting_iteratorIjlEEPS9_SG_NS0_5tupleIJPjSI_NS0_16reverse_iteratorISI_EEEEENSH_IJSG_SG_SG_EEES9_SI_JZNS1_25segmented_radix_sort_implINS0_14default_configELb0EPKdPdPKlPlN2at6native12_GLOBAL__N_18offset_tEEE10hipError_tPvRmT1_PNSt15iterator_traitsIS12_E10value_typeET2_T3_PNS13_IS18_E10value_typeET4_jRbjT5_S1E_jjP12ihipStream_tbEUljE_ZNSN_ISO_Lb0ESQ_SR_ST_SU_SY_EESZ_S10_S11_S12_S16_S17_S18_S1B_S1C_jS1D_jS1E_S1E_jjS1G_bEUljE0_EEESZ_S10_S11_S18_S1C_S1E_T6_T7_T9_mT8_S1G_bDpT10_ENKUlT_T0_E_clISt17integral_constantIbLb0EES1U_EEDaS1P_S1Q_EUlS1P_E_NS1_11comp_targetILNS1_3genE3ELNS1_11target_archE908ELNS1_3gpuE7ELNS1_3repE0EEENS1_30default_config_static_selectorELNS0_4arch9wavefront6targetE0EEEvS12_,comdat
.Lfunc_end1154:
	.size	_ZN7rocprim17ROCPRIM_400000_NS6detail17trampoline_kernelINS0_13select_configILj256ELj13ELNS0_17block_load_methodE3ELS4_3ELS4_3ELNS0_20block_scan_algorithmE0ELj4294967295EEENS1_25partition_config_selectorILNS1_17partition_subalgoE4EjNS0_10empty_typeEbEEZZNS1_14partition_implILS8_4ELb0ES6_15HIP_vector_typeIjLj2EENS0_17counting_iteratorIjlEEPS9_SG_NS0_5tupleIJPjSI_NS0_16reverse_iteratorISI_EEEEENSH_IJSG_SG_SG_EEES9_SI_JZNS1_25segmented_radix_sort_implINS0_14default_configELb0EPKdPdPKlPlN2at6native12_GLOBAL__N_18offset_tEEE10hipError_tPvRmT1_PNSt15iterator_traitsIS12_E10value_typeET2_T3_PNS13_IS18_E10value_typeET4_jRbjT5_S1E_jjP12ihipStream_tbEUljE_ZNSN_ISO_Lb0ESQ_SR_ST_SU_SY_EESZ_S10_S11_S12_S16_S17_S18_S1B_S1C_jS1D_jS1E_S1E_jjS1G_bEUljE0_EEESZ_S10_S11_S18_S1C_S1E_T6_T7_T9_mT8_S1G_bDpT10_ENKUlT_T0_E_clISt17integral_constantIbLb0EES1U_EEDaS1P_S1Q_EUlS1P_E_NS1_11comp_targetILNS1_3genE3ELNS1_11target_archE908ELNS1_3gpuE7ELNS1_3repE0EEENS1_30default_config_static_selectorELNS0_4arch9wavefront6targetE0EEEvS12_, .Lfunc_end1154-_ZN7rocprim17ROCPRIM_400000_NS6detail17trampoline_kernelINS0_13select_configILj256ELj13ELNS0_17block_load_methodE3ELS4_3ELS4_3ELNS0_20block_scan_algorithmE0ELj4294967295EEENS1_25partition_config_selectorILNS1_17partition_subalgoE4EjNS0_10empty_typeEbEEZZNS1_14partition_implILS8_4ELb0ES6_15HIP_vector_typeIjLj2EENS0_17counting_iteratorIjlEEPS9_SG_NS0_5tupleIJPjSI_NS0_16reverse_iteratorISI_EEEEENSH_IJSG_SG_SG_EEES9_SI_JZNS1_25segmented_radix_sort_implINS0_14default_configELb0EPKdPdPKlPlN2at6native12_GLOBAL__N_18offset_tEEE10hipError_tPvRmT1_PNSt15iterator_traitsIS12_E10value_typeET2_T3_PNS13_IS18_E10value_typeET4_jRbjT5_S1E_jjP12ihipStream_tbEUljE_ZNSN_ISO_Lb0ESQ_SR_ST_SU_SY_EESZ_S10_S11_S12_S16_S17_S18_S1B_S1C_jS1D_jS1E_S1E_jjS1G_bEUljE0_EEESZ_S10_S11_S18_S1C_S1E_T6_T7_T9_mT8_S1G_bDpT10_ENKUlT_T0_E_clISt17integral_constantIbLb0EES1U_EEDaS1P_S1Q_EUlS1P_E_NS1_11comp_targetILNS1_3genE3ELNS1_11target_archE908ELNS1_3gpuE7ELNS1_3repE0EEENS1_30default_config_static_selectorELNS0_4arch9wavefront6targetE0EEEvS12_
                                        ; -- End function
	.set _ZN7rocprim17ROCPRIM_400000_NS6detail17trampoline_kernelINS0_13select_configILj256ELj13ELNS0_17block_load_methodE3ELS4_3ELS4_3ELNS0_20block_scan_algorithmE0ELj4294967295EEENS1_25partition_config_selectorILNS1_17partition_subalgoE4EjNS0_10empty_typeEbEEZZNS1_14partition_implILS8_4ELb0ES6_15HIP_vector_typeIjLj2EENS0_17counting_iteratorIjlEEPS9_SG_NS0_5tupleIJPjSI_NS0_16reverse_iteratorISI_EEEEENSH_IJSG_SG_SG_EEES9_SI_JZNS1_25segmented_radix_sort_implINS0_14default_configELb0EPKdPdPKlPlN2at6native12_GLOBAL__N_18offset_tEEE10hipError_tPvRmT1_PNSt15iterator_traitsIS12_E10value_typeET2_T3_PNS13_IS18_E10value_typeET4_jRbjT5_S1E_jjP12ihipStream_tbEUljE_ZNSN_ISO_Lb0ESQ_SR_ST_SU_SY_EESZ_S10_S11_S12_S16_S17_S18_S1B_S1C_jS1D_jS1E_S1E_jjS1G_bEUljE0_EEESZ_S10_S11_S18_S1C_S1E_T6_T7_T9_mT8_S1G_bDpT10_ENKUlT_T0_E_clISt17integral_constantIbLb0EES1U_EEDaS1P_S1Q_EUlS1P_E_NS1_11comp_targetILNS1_3genE3ELNS1_11target_archE908ELNS1_3gpuE7ELNS1_3repE0EEENS1_30default_config_static_selectorELNS0_4arch9wavefront6targetE0EEEvS12_.num_vgpr, 0
	.set _ZN7rocprim17ROCPRIM_400000_NS6detail17trampoline_kernelINS0_13select_configILj256ELj13ELNS0_17block_load_methodE3ELS4_3ELS4_3ELNS0_20block_scan_algorithmE0ELj4294967295EEENS1_25partition_config_selectorILNS1_17partition_subalgoE4EjNS0_10empty_typeEbEEZZNS1_14partition_implILS8_4ELb0ES6_15HIP_vector_typeIjLj2EENS0_17counting_iteratorIjlEEPS9_SG_NS0_5tupleIJPjSI_NS0_16reverse_iteratorISI_EEEEENSH_IJSG_SG_SG_EEES9_SI_JZNS1_25segmented_radix_sort_implINS0_14default_configELb0EPKdPdPKlPlN2at6native12_GLOBAL__N_18offset_tEEE10hipError_tPvRmT1_PNSt15iterator_traitsIS12_E10value_typeET2_T3_PNS13_IS18_E10value_typeET4_jRbjT5_S1E_jjP12ihipStream_tbEUljE_ZNSN_ISO_Lb0ESQ_SR_ST_SU_SY_EESZ_S10_S11_S12_S16_S17_S18_S1B_S1C_jS1D_jS1E_S1E_jjS1G_bEUljE0_EEESZ_S10_S11_S18_S1C_S1E_T6_T7_T9_mT8_S1G_bDpT10_ENKUlT_T0_E_clISt17integral_constantIbLb0EES1U_EEDaS1P_S1Q_EUlS1P_E_NS1_11comp_targetILNS1_3genE3ELNS1_11target_archE908ELNS1_3gpuE7ELNS1_3repE0EEENS1_30default_config_static_selectorELNS0_4arch9wavefront6targetE0EEEvS12_.num_agpr, 0
	.set _ZN7rocprim17ROCPRIM_400000_NS6detail17trampoline_kernelINS0_13select_configILj256ELj13ELNS0_17block_load_methodE3ELS4_3ELS4_3ELNS0_20block_scan_algorithmE0ELj4294967295EEENS1_25partition_config_selectorILNS1_17partition_subalgoE4EjNS0_10empty_typeEbEEZZNS1_14partition_implILS8_4ELb0ES6_15HIP_vector_typeIjLj2EENS0_17counting_iteratorIjlEEPS9_SG_NS0_5tupleIJPjSI_NS0_16reverse_iteratorISI_EEEEENSH_IJSG_SG_SG_EEES9_SI_JZNS1_25segmented_radix_sort_implINS0_14default_configELb0EPKdPdPKlPlN2at6native12_GLOBAL__N_18offset_tEEE10hipError_tPvRmT1_PNSt15iterator_traitsIS12_E10value_typeET2_T3_PNS13_IS18_E10value_typeET4_jRbjT5_S1E_jjP12ihipStream_tbEUljE_ZNSN_ISO_Lb0ESQ_SR_ST_SU_SY_EESZ_S10_S11_S12_S16_S17_S18_S1B_S1C_jS1D_jS1E_S1E_jjS1G_bEUljE0_EEESZ_S10_S11_S18_S1C_S1E_T6_T7_T9_mT8_S1G_bDpT10_ENKUlT_T0_E_clISt17integral_constantIbLb0EES1U_EEDaS1P_S1Q_EUlS1P_E_NS1_11comp_targetILNS1_3genE3ELNS1_11target_archE908ELNS1_3gpuE7ELNS1_3repE0EEENS1_30default_config_static_selectorELNS0_4arch9wavefront6targetE0EEEvS12_.numbered_sgpr, 0
	.set _ZN7rocprim17ROCPRIM_400000_NS6detail17trampoline_kernelINS0_13select_configILj256ELj13ELNS0_17block_load_methodE3ELS4_3ELS4_3ELNS0_20block_scan_algorithmE0ELj4294967295EEENS1_25partition_config_selectorILNS1_17partition_subalgoE4EjNS0_10empty_typeEbEEZZNS1_14partition_implILS8_4ELb0ES6_15HIP_vector_typeIjLj2EENS0_17counting_iteratorIjlEEPS9_SG_NS0_5tupleIJPjSI_NS0_16reverse_iteratorISI_EEEEENSH_IJSG_SG_SG_EEES9_SI_JZNS1_25segmented_radix_sort_implINS0_14default_configELb0EPKdPdPKlPlN2at6native12_GLOBAL__N_18offset_tEEE10hipError_tPvRmT1_PNSt15iterator_traitsIS12_E10value_typeET2_T3_PNS13_IS18_E10value_typeET4_jRbjT5_S1E_jjP12ihipStream_tbEUljE_ZNSN_ISO_Lb0ESQ_SR_ST_SU_SY_EESZ_S10_S11_S12_S16_S17_S18_S1B_S1C_jS1D_jS1E_S1E_jjS1G_bEUljE0_EEESZ_S10_S11_S18_S1C_S1E_T6_T7_T9_mT8_S1G_bDpT10_ENKUlT_T0_E_clISt17integral_constantIbLb0EES1U_EEDaS1P_S1Q_EUlS1P_E_NS1_11comp_targetILNS1_3genE3ELNS1_11target_archE908ELNS1_3gpuE7ELNS1_3repE0EEENS1_30default_config_static_selectorELNS0_4arch9wavefront6targetE0EEEvS12_.num_named_barrier, 0
	.set _ZN7rocprim17ROCPRIM_400000_NS6detail17trampoline_kernelINS0_13select_configILj256ELj13ELNS0_17block_load_methodE3ELS4_3ELS4_3ELNS0_20block_scan_algorithmE0ELj4294967295EEENS1_25partition_config_selectorILNS1_17partition_subalgoE4EjNS0_10empty_typeEbEEZZNS1_14partition_implILS8_4ELb0ES6_15HIP_vector_typeIjLj2EENS0_17counting_iteratorIjlEEPS9_SG_NS0_5tupleIJPjSI_NS0_16reverse_iteratorISI_EEEEENSH_IJSG_SG_SG_EEES9_SI_JZNS1_25segmented_radix_sort_implINS0_14default_configELb0EPKdPdPKlPlN2at6native12_GLOBAL__N_18offset_tEEE10hipError_tPvRmT1_PNSt15iterator_traitsIS12_E10value_typeET2_T3_PNS13_IS18_E10value_typeET4_jRbjT5_S1E_jjP12ihipStream_tbEUljE_ZNSN_ISO_Lb0ESQ_SR_ST_SU_SY_EESZ_S10_S11_S12_S16_S17_S18_S1B_S1C_jS1D_jS1E_S1E_jjS1G_bEUljE0_EEESZ_S10_S11_S18_S1C_S1E_T6_T7_T9_mT8_S1G_bDpT10_ENKUlT_T0_E_clISt17integral_constantIbLb0EES1U_EEDaS1P_S1Q_EUlS1P_E_NS1_11comp_targetILNS1_3genE3ELNS1_11target_archE908ELNS1_3gpuE7ELNS1_3repE0EEENS1_30default_config_static_selectorELNS0_4arch9wavefront6targetE0EEEvS12_.private_seg_size, 0
	.set _ZN7rocprim17ROCPRIM_400000_NS6detail17trampoline_kernelINS0_13select_configILj256ELj13ELNS0_17block_load_methodE3ELS4_3ELS4_3ELNS0_20block_scan_algorithmE0ELj4294967295EEENS1_25partition_config_selectorILNS1_17partition_subalgoE4EjNS0_10empty_typeEbEEZZNS1_14partition_implILS8_4ELb0ES6_15HIP_vector_typeIjLj2EENS0_17counting_iteratorIjlEEPS9_SG_NS0_5tupleIJPjSI_NS0_16reverse_iteratorISI_EEEEENSH_IJSG_SG_SG_EEES9_SI_JZNS1_25segmented_radix_sort_implINS0_14default_configELb0EPKdPdPKlPlN2at6native12_GLOBAL__N_18offset_tEEE10hipError_tPvRmT1_PNSt15iterator_traitsIS12_E10value_typeET2_T3_PNS13_IS18_E10value_typeET4_jRbjT5_S1E_jjP12ihipStream_tbEUljE_ZNSN_ISO_Lb0ESQ_SR_ST_SU_SY_EESZ_S10_S11_S12_S16_S17_S18_S1B_S1C_jS1D_jS1E_S1E_jjS1G_bEUljE0_EEESZ_S10_S11_S18_S1C_S1E_T6_T7_T9_mT8_S1G_bDpT10_ENKUlT_T0_E_clISt17integral_constantIbLb0EES1U_EEDaS1P_S1Q_EUlS1P_E_NS1_11comp_targetILNS1_3genE3ELNS1_11target_archE908ELNS1_3gpuE7ELNS1_3repE0EEENS1_30default_config_static_selectorELNS0_4arch9wavefront6targetE0EEEvS12_.uses_vcc, 0
	.set _ZN7rocprim17ROCPRIM_400000_NS6detail17trampoline_kernelINS0_13select_configILj256ELj13ELNS0_17block_load_methodE3ELS4_3ELS4_3ELNS0_20block_scan_algorithmE0ELj4294967295EEENS1_25partition_config_selectorILNS1_17partition_subalgoE4EjNS0_10empty_typeEbEEZZNS1_14partition_implILS8_4ELb0ES6_15HIP_vector_typeIjLj2EENS0_17counting_iteratorIjlEEPS9_SG_NS0_5tupleIJPjSI_NS0_16reverse_iteratorISI_EEEEENSH_IJSG_SG_SG_EEES9_SI_JZNS1_25segmented_radix_sort_implINS0_14default_configELb0EPKdPdPKlPlN2at6native12_GLOBAL__N_18offset_tEEE10hipError_tPvRmT1_PNSt15iterator_traitsIS12_E10value_typeET2_T3_PNS13_IS18_E10value_typeET4_jRbjT5_S1E_jjP12ihipStream_tbEUljE_ZNSN_ISO_Lb0ESQ_SR_ST_SU_SY_EESZ_S10_S11_S12_S16_S17_S18_S1B_S1C_jS1D_jS1E_S1E_jjS1G_bEUljE0_EEESZ_S10_S11_S18_S1C_S1E_T6_T7_T9_mT8_S1G_bDpT10_ENKUlT_T0_E_clISt17integral_constantIbLb0EES1U_EEDaS1P_S1Q_EUlS1P_E_NS1_11comp_targetILNS1_3genE3ELNS1_11target_archE908ELNS1_3gpuE7ELNS1_3repE0EEENS1_30default_config_static_selectorELNS0_4arch9wavefront6targetE0EEEvS12_.uses_flat_scratch, 0
	.set _ZN7rocprim17ROCPRIM_400000_NS6detail17trampoline_kernelINS0_13select_configILj256ELj13ELNS0_17block_load_methodE3ELS4_3ELS4_3ELNS0_20block_scan_algorithmE0ELj4294967295EEENS1_25partition_config_selectorILNS1_17partition_subalgoE4EjNS0_10empty_typeEbEEZZNS1_14partition_implILS8_4ELb0ES6_15HIP_vector_typeIjLj2EENS0_17counting_iteratorIjlEEPS9_SG_NS0_5tupleIJPjSI_NS0_16reverse_iteratorISI_EEEEENSH_IJSG_SG_SG_EEES9_SI_JZNS1_25segmented_radix_sort_implINS0_14default_configELb0EPKdPdPKlPlN2at6native12_GLOBAL__N_18offset_tEEE10hipError_tPvRmT1_PNSt15iterator_traitsIS12_E10value_typeET2_T3_PNS13_IS18_E10value_typeET4_jRbjT5_S1E_jjP12ihipStream_tbEUljE_ZNSN_ISO_Lb0ESQ_SR_ST_SU_SY_EESZ_S10_S11_S12_S16_S17_S18_S1B_S1C_jS1D_jS1E_S1E_jjS1G_bEUljE0_EEESZ_S10_S11_S18_S1C_S1E_T6_T7_T9_mT8_S1G_bDpT10_ENKUlT_T0_E_clISt17integral_constantIbLb0EES1U_EEDaS1P_S1Q_EUlS1P_E_NS1_11comp_targetILNS1_3genE3ELNS1_11target_archE908ELNS1_3gpuE7ELNS1_3repE0EEENS1_30default_config_static_selectorELNS0_4arch9wavefront6targetE0EEEvS12_.has_dyn_sized_stack, 0
	.set _ZN7rocprim17ROCPRIM_400000_NS6detail17trampoline_kernelINS0_13select_configILj256ELj13ELNS0_17block_load_methodE3ELS4_3ELS4_3ELNS0_20block_scan_algorithmE0ELj4294967295EEENS1_25partition_config_selectorILNS1_17partition_subalgoE4EjNS0_10empty_typeEbEEZZNS1_14partition_implILS8_4ELb0ES6_15HIP_vector_typeIjLj2EENS0_17counting_iteratorIjlEEPS9_SG_NS0_5tupleIJPjSI_NS0_16reverse_iteratorISI_EEEEENSH_IJSG_SG_SG_EEES9_SI_JZNS1_25segmented_radix_sort_implINS0_14default_configELb0EPKdPdPKlPlN2at6native12_GLOBAL__N_18offset_tEEE10hipError_tPvRmT1_PNSt15iterator_traitsIS12_E10value_typeET2_T3_PNS13_IS18_E10value_typeET4_jRbjT5_S1E_jjP12ihipStream_tbEUljE_ZNSN_ISO_Lb0ESQ_SR_ST_SU_SY_EESZ_S10_S11_S12_S16_S17_S18_S1B_S1C_jS1D_jS1E_S1E_jjS1G_bEUljE0_EEESZ_S10_S11_S18_S1C_S1E_T6_T7_T9_mT8_S1G_bDpT10_ENKUlT_T0_E_clISt17integral_constantIbLb0EES1U_EEDaS1P_S1Q_EUlS1P_E_NS1_11comp_targetILNS1_3genE3ELNS1_11target_archE908ELNS1_3gpuE7ELNS1_3repE0EEENS1_30default_config_static_selectorELNS0_4arch9wavefront6targetE0EEEvS12_.has_recursion, 0
	.set _ZN7rocprim17ROCPRIM_400000_NS6detail17trampoline_kernelINS0_13select_configILj256ELj13ELNS0_17block_load_methodE3ELS4_3ELS4_3ELNS0_20block_scan_algorithmE0ELj4294967295EEENS1_25partition_config_selectorILNS1_17partition_subalgoE4EjNS0_10empty_typeEbEEZZNS1_14partition_implILS8_4ELb0ES6_15HIP_vector_typeIjLj2EENS0_17counting_iteratorIjlEEPS9_SG_NS0_5tupleIJPjSI_NS0_16reverse_iteratorISI_EEEEENSH_IJSG_SG_SG_EEES9_SI_JZNS1_25segmented_radix_sort_implINS0_14default_configELb0EPKdPdPKlPlN2at6native12_GLOBAL__N_18offset_tEEE10hipError_tPvRmT1_PNSt15iterator_traitsIS12_E10value_typeET2_T3_PNS13_IS18_E10value_typeET4_jRbjT5_S1E_jjP12ihipStream_tbEUljE_ZNSN_ISO_Lb0ESQ_SR_ST_SU_SY_EESZ_S10_S11_S12_S16_S17_S18_S1B_S1C_jS1D_jS1E_S1E_jjS1G_bEUljE0_EEESZ_S10_S11_S18_S1C_S1E_T6_T7_T9_mT8_S1G_bDpT10_ENKUlT_T0_E_clISt17integral_constantIbLb0EES1U_EEDaS1P_S1Q_EUlS1P_E_NS1_11comp_targetILNS1_3genE3ELNS1_11target_archE908ELNS1_3gpuE7ELNS1_3repE0EEENS1_30default_config_static_selectorELNS0_4arch9wavefront6targetE0EEEvS12_.has_indirect_call, 0
	.section	.AMDGPU.csdata,"",@progbits
; Kernel info:
; codeLenInByte = 0
; TotalNumSgprs: 0
; NumVgprs: 0
; ScratchSize: 0
; MemoryBound: 0
; FloatMode: 240
; IeeeMode: 1
; LDSByteSize: 0 bytes/workgroup (compile time only)
; SGPRBlocks: 0
; VGPRBlocks: 0
; NumSGPRsForWavesPerEU: 1
; NumVGPRsForWavesPerEU: 1
; NamedBarCnt: 0
; Occupancy: 16
; WaveLimiterHint : 0
; COMPUTE_PGM_RSRC2:SCRATCH_EN: 0
; COMPUTE_PGM_RSRC2:USER_SGPR: 2
; COMPUTE_PGM_RSRC2:TRAP_HANDLER: 0
; COMPUTE_PGM_RSRC2:TGID_X_EN: 1
; COMPUTE_PGM_RSRC2:TGID_Y_EN: 0
; COMPUTE_PGM_RSRC2:TGID_Z_EN: 0
; COMPUTE_PGM_RSRC2:TIDIG_COMP_CNT: 0
	.section	.text._ZN7rocprim17ROCPRIM_400000_NS6detail17trampoline_kernelINS0_13select_configILj256ELj13ELNS0_17block_load_methodE3ELS4_3ELS4_3ELNS0_20block_scan_algorithmE0ELj4294967295EEENS1_25partition_config_selectorILNS1_17partition_subalgoE4EjNS0_10empty_typeEbEEZZNS1_14partition_implILS8_4ELb0ES6_15HIP_vector_typeIjLj2EENS0_17counting_iteratorIjlEEPS9_SG_NS0_5tupleIJPjSI_NS0_16reverse_iteratorISI_EEEEENSH_IJSG_SG_SG_EEES9_SI_JZNS1_25segmented_radix_sort_implINS0_14default_configELb0EPKdPdPKlPlN2at6native12_GLOBAL__N_18offset_tEEE10hipError_tPvRmT1_PNSt15iterator_traitsIS12_E10value_typeET2_T3_PNS13_IS18_E10value_typeET4_jRbjT5_S1E_jjP12ihipStream_tbEUljE_ZNSN_ISO_Lb0ESQ_SR_ST_SU_SY_EESZ_S10_S11_S12_S16_S17_S18_S1B_S1C_jS1D_jS1E_S1E_jjS1G_bEUljE0_EEESZ_S10_S11_S18_S1C_S1E_T6_T7_T9_mT8_S1G_bDpT10_ENKUlT_T0_E_clISt17integral_constantIbLb0EES1U_EEDaS1P_S1Q_EUlS1P_E_NS1_11comp_targetILNS1_3genE2ELNS1_11target_archE906ELNS1_3gpuE6ELNS1_3repE0EEENS1_30default_config_static_selectorELNS0_4arch9wavefront6targetE0EEEvS12_,"axG",@progbits,_ZN7rocprim17ROCPRIM_400000_NS6detail17trampoline_kernelINS0_13select_configILj256ELj13ELNS0_17block_load_methodE3ELS4_3ELS4_3ELNS0_20block_scan_algorithmE0ELj4294967295EEENS1_25partition_config_selectorILNS1_17partition_subalgoE4EjNS0_10empty_typeEbEEZZNS1_14partition_implILS8_4ELb0ES6_15HIP_vector_typeIjLj2EENS0_17counting_iteratorIjlEEPS9_SG_NS0_5tupleIJPjSI_NS0_16reverse_iteratorISI_EEEEENSH_IJSG_SG_SG_EEES9_SI_JZNS1_25segmented_radix_sort_implINS0_14default_configELb0EPKdPdPKlPlN2at6native12_GLOBAL__N_18offset_tEEE10hipError_tPvRmT1_PNSt15iterator_traitsIS12_E10value_typeET2_T3_PNS13_IS18_E10value_typeET4_jRbjT5_S1E_jjP12ihipStream_tbEUljE_ZNSN_ISO_Lb0ESQ_SR_ST_SU_SY_EESZ_S10_S11_S12_S16_S17_S18_S1B_S1C_jS1D_jS1E_S1E_jjS1G_bEUljE0_EEESZ_S10_S11_S18_S1C_S1E_T6_T7_T9_mT8_S1G_bDpT10_ENKUlT_T0_E_clISt17integral_constantIbLb0EES1U_EEDaS1P_S1Q_EUlS1P_E_NS1_11comp_targetILNS1_3genE2ELNS1_11target_archE906ELNS1_3gpuE6ELNS1_3repE0EEENS1_30default_config_static_selectorELNS0_4arch9wavefront6targetE0EEEvS12_,comdat
	.globl	_ZN7rocprim17ROCPRIM_400000_NS6detail17trampoline_kernelINS0_13select_configILj256ELj13ELNS0_17block_load_methodE3ELS4_3ELS4_3ELNS0_20block_scan_algorithmE0ELj4294967295EEENS1_25partition_config_selectorILNS1_17partition_subalgoE4EjNS0_10empty_typeEbEEZZNS1_14partition_implILS8_4ELb0ES6_15HIP_vector_typeIjLj2EENS0_17counting_iteratorIjlEEPS9_SG_NS0_5tupleIJPjSI_NS0_16reverse_iteratorISI_EEEEENSH_IJSG_SG_SG_EEES9_SI_JZNS1_25segmented_radix_sort_implINS0_14default_configELb0EPKdPdPKlPlN2at6native12_GLOBAL__N_18offset_tEEE10hipError_tPvRmT1_PNSt15iterator_traitsIS12_E10value_typeET2_T3_PNS13_IS18_E10value_typeET4_jRbjT5_S1E_jjP12ihipStream_tbEUljE_ZNSN_ISO_Lb0ESQ_SR_ST_SU_SY_EESZ_S10_S11_S12_S16_S17_S18_S1B_S1C_jS1D_jS1E_S1E_jjS1G_bEUljE0_EEESZ_S10_S11_S18_S1C_S1E_T6_T7_T9_mT8_S1G_bDpT10_ENKUlT_T0_E_clISt17integral_constantIbLb0EES1U_EEDaS1P_S1Q_EUlS1P_E_NS1_11comp_targetILNS1_3genE2ELNS1_11target_archE906ELNS1_3gpuE6ELNS1_3repE0EEENS1_30default_config_static_selectorELNS0_4arch9wavefront6targetE0EEEvS12_ ; -- Begin function _ZN7rocprim17ROCPRIM_400000_NS6detail17trampoline_kernelINS0_13select_configILj256ELj13ELNS0_17block_load_methodE3ELS4_3ELS4_3ELNS0_20block_scan_algorithmE0ELj4294967295EEENS1_25partition_config_selectorILNS1_17partition_subalgoE4EjNS0_10empty_typeEbEEZZNS1_14partition_implILS8_4ELb0ES6_15HIP_vector_typeIjLj2EENS0_17counting_iteratorIjlEEPS9_SG_NS0_5tupleIJPjSI_NS0_16reverse_iteratorISI_EEEEENSH_IJSG_SG_SG_EEES9_SI_JZNS1_25segmented_radix_sort_implINS0_14default_configELb0EPKdPdPKlPlN2at6native12_GLOBAL__N_18offset_tEEE10hipError_tPvRmT1_PNSt15iterator_traitsIS12_E10value_typeET2_T3_PNS13_IS18_E10value_typeET4_jRbjT5_S1E_jjP12ihipStream_tbEUljE_ZNSN_ISO_Lb0ESQ_SR_ST_SU_SY_EESZ_S10_S11_S12_S16_S17_S18_S1B_S1C_jS1D_jS1E_S1E_jjS1G_bEUljE0_EEESZ_S10_S11_S18_S1C_S1E_T6_T7_T9_mT8_S1G_bDpT10_ENKUlT_T0_E_clISt17integral_constantIbLb0EES1U_EEDaS1P_S1Q_EUlS1P_E_NS1_11comp_targetILNS1_3genE2ELNS1_11target_archE906ELNS1_3gpuE6ELNS1_3repE0EEENS1_30default_config_static_selectorELNS0_4arch9wavefront6targetE0EEEvS12_
	.p2align	8
	.type	_ZN7rocprim17ROCPRIM_400000_NS6detail17trampoline_kernelINS0_13select_configILj256ELj13ELNS0_17block_load_methodE3ELS4_3ELS4_3ELNS0_20block_scan_algorithmE0ELj4294967295EEENS1_25partition_config_selectorILNS1_17partition_subalgoE4EjNS0_10empty_typeEbEEZZNS1_14partition_implILS8_4ELb0ES6_15HIP_vector_typeIjLj2EENS0_17counting_iteratorIjlEEPS9_SG_NS0_5tupleIJPjSI_NS0_16reverse_iteratorISI_EEEEENSH_IJSG_SG_SG_EEES9_SI_JZNS1_25segmented_radix_sort_implINS0_14default_configELb0EPKdPdPKlPlN2at6native12_GLOBAL__N_18offset_tEEE10hipError_tPvRmT1_PNSt15iterator_traitsIS12_E10value_typeET2_T3_PNS13_IS18_E10value_typeET4_jRbjT5_S1E_jjP12ihipStream_tbEUljE_ZNSN_ISO_Lb0ESQ_SR_ST_SU_SY_EESZ_S10_S11_S12_S16_S17_S18_S1B_S1C_jS1D_jS1E_S1E_jjS1G_bEUljE0_EEESZ_S10_S11_S18_S1C_S1E_T6_T7_T9_mT8_S1G_bDpT10_ENKUlT_T0_E_clISt17integral_constantIbLb0EES1U_EEDaS1P_S1Q_EUlS1P_E_NS1_11comp_targetILNS1_3genE2ELNS1_11target_archE906ELNS1_3gpuE6ELNS1_3repE0EEENS1_30default_config_static_selectorELNS0_4arch9wavefront6targetE0EEEvS12_,@function
_ZN7rocprim17ROCPRIM_400000_NS6detail17trampoline_kernelINS0_13select_configILj256ELj13ELNS0_17block_load_methodE3ELS4_3ELS4_3ELNS0_20block_scan_algorithmE0ELj4294967295EEENS1_25partition_config_selectorILNS1_17partition_subalgoE4EjNS0_10empty_typeEbEEZZNS1_14partition_implILS8_4ELb0ES6_15HIP_vector_typeIjLj2EENS0_17counting_iteratorIjlEEPS9_SG_NS0_5tupleIJPjSI_NS0_16reverse_iteratorISI_EEEEENSH_IJSG_SG_SG_EEES9_SI_JZNS1_25segmented_radix_sort_implINS0_14default_configELb0EPKdPdPKlPlN2at6native12_GLOBAL__N_18offset_tEEE10hipError_tPvRmT1_PNSt15iterator_traitsIS12_E10value_typeET2_T3_PNS13_IS18_E10value_typeET4_jRbjT5_S1E_jjP12ihipStream_tbEUljE_ZNSN_ISO_Lb0ESQ_SR_ST_SU_SY_EESZ_S10_S11_S12_S16_S17_S18_S1B_S1C_jS1D_jS1E_S1E_jjS1G_bEUljE0_EEESZ_S10_S11_S18_S1C_S1E_T6_T7_T9_mT8_S1G_bDpT10_ENKUlT_T0_E_clISt17integral_constantIbLb0EES1U_EEDaS1P_S1Q_EUlS1P_E_NS1_11comp_targetILNS1_3genE2ELNS1_11target_archE906ELNS1_3gpuE6ELNS1_3repE0EEENS1_30default_config_static_selectorELNS0_4arch9wavefront6targetE0EEEvS12_: ; @_ZN7rocprim17ROCPRIM_400000_NS6detail17trampoline_kernelINS0_13select_configILj256ELj13ELNS0_17block_load_methodE3ELS4_3ELS4_3ELNS0_20block_scan_algorithmE0ELj4294967295EEENS1_25partition_config_selectorILNS1_17partition_subalgoE4EjNS0_10empty_typeEbEEZZNS1_14partition_implILS8_4ELb0ES6_15HIP_vector_typeIjLj2EENS0_17counting_iteratorIjlEEPS9_SG_NS0_5tupleIJPjSI_NS0_16reverse_iteratorISI_EEEEENSH_IJSG_SG_SG_EEES9_SI_JZNS1_25segmented_radix_sort_implINS0_14default_configELb0EPKdPdPKlPlN2at6native12_GLOBAL__N_18offset_tEEE10hipError_tPvRmT1_PNSt15iterator_traitsIS12_E10value_typeET2_T3_PNS13_IS18_E10value_typeET4_jRbjT5_S1E_jjP12ihipStream_tbEUljE_ZNSN_ISO_Lb0ESQ_SR_ST_SU_SY_EESZ_S10_S11_S12_S16_S17_S18_S1B_S1C_jS1D_jS1E_S1E_jjS1G_bEUljE0_EEESZ_S10_S11_S18_S1C_S1E_T6_T7_T9_mT8_S1G_bDpT10_ENKUlT_T0_E_clISt17integral_constantIbLb0EES1U_EEDaS1P_S1Q_EUlS1P_E_NS1_11comp_targetILNS1_3genE2ELNS1_11target_archE906ELNS1_3gpuE6ELNS1_3repE0EEENS1_30default_config_static_selectorELNS0_4arch9wavefront6targetE0EEEvS12_
; %bb.0:
	.section	.rodata,"a",@progbits
	.p2align	6, 0x0
	.amdhsa_kernel _ZN7rocprim17ROCPRIM_400000_NS6detail17trampoline_kernelINS0_13select_configILj256ELj13ELNS0_17block_load_methodE3ELS4_3ELS4_3ELNS0_20block_scan_algorithmE0ELj4294967295EEENS1_25partition_config_selectorILNS1_17partition_subalgoE4EjNS0_10empty_typeEbEEZZNS1_14partition_implILS8_4ELb0ES6_15HIP_vector_typeIjLj2EENS0_17counting_iteratorIjlEEPS9_SG_NS0_5tupleIJPjSI_NS0_16reverse_iteratorISI_EEEEENSH_IJSG_SG_SG_EEES9_SI_JZNS1_25segmented_radix_sort_implINS0_14default_configELb0EPKdPdPKlPlN2at6native12_GLOBAL__N_18offset_tEEE10hipError_tPvRmT1_PNSt15iterator_traitsIS12_E10value_typeET2_T3_PNS13_IS18_E10value_typeET4_jRbjT5_S1E_jjP12ihipStream_tbEUljE_ZNSN_ISO_Lb0ESQ_SR_ST_SU_SY_EESZ_S10_S11_S12_S16_S17_S18_S1B_S1C_jS1D_jS1E_S1E_jjS1G_bEUljE0_EEESZ_S10_S11_S18_S1C_S1E_T6_T7_T9_mT8_S1G_bDpT10_ENKUlT_T0_E_clISt17integral_constantIbLb0EES1U_EEDaS1P_S1Q_EUlS1P_E_NS1_11comp_targetILNS1_3genE2ELNS1_11target_archE906ELNS1_3gpuE6ELNS1_3repE0EEENS1_30default_config_static_selectorELNS0_4arch9wavefront6targetE0EEEvS12_
		.amdhsa_group_segment_fixed_size 0
		.amdhsa_private_segment_fixed_size 0
		.amdhsa_kernarg_size 176
		.amdhsa_user_sgpr_count 2
		.amdhsa_user_sgpr_dispatch_ptr 0
		.amdhsa_user_sgpr_queue_ptr 0
		.amdhsa_user_sgpr_kernarg_segment_ptr 1
		.amdhsa_user_sgpr_dispatch_id 0
		.amdhsa_user_sgpr_kernarg_preload_length 0
		.amdhsa_user_sgpr_kernarg_preload_offset 0
		.amdhsa_user_sgpr_private_segment_size 0
		.amdhsa_wavefront_size32 1
		.amdhsa_uses_dynamic_stack 0
		.amdhsa_enable_private_segment 0
		.amdhsa_system_sgpr_workgroup_id_x 1
		.amdhsa_system_sgpr_workgroup_id_y 0
		.amdhsa_system_sgpr_workgroup_id_z 0
		.amdhsa_system_sgpr_workgroup_info 0
		.amdhsa_system_vgpr_workitem_id 0
		.amdhsa_next_free_vgpr 1
		.amdhsa_next_free_sgpr 1
		.amdhsa_named_barrier_count 0
		.amdhsa_reserve_vcc 0
		.amdhsa_float_round_mode_32 0
		.amdhsa_float_round_mode_16_64 0
		.amdhsa_float_denorm_mode_32 3
		.amdhsa_float_denorm_mode_16_64 3
		.amdhsa_fp16_overflow 0
		.amdhsa_memory_ordered 1
		.amdhsa_forward_progress 1
		.amdhsa_inst_pref_size 0
		.amdhsa_round_robin_scheduling 0
		.amdhsa_exception_fp_ieee_invalid_op 0
		.amdhsa_exception_fp_denorm_src 0
		.amdhsa_exception_fp_ieee_div_zero 0
		.amdhsa_exception_fp_ieee_overflow 0
		.amdhsa_exception_fp_ieee_underflow 0
		.amdhsa_exception_fp_ieee_inexact 0
		.amdhsa_exception_int_div_zero 0
	.end_amdhsa_kernel
	.section	.text._ZN7rocprim17ROCPRIM_400000_NS6detail17trampoline_kernelINS0_13select_configILj256ELj13ELNS0_17block_load_methodE3ELS4_3ELS4_3ELNS0_20block_scan_algorithmE0ELj4294967295EEENS1_25partition_config_selectorILNS1_17partition_subalgoE4EjNS0_10empty_typeEbEEZZNS1_14partition_implILS8_4ELb0ES6_15HIP_vector_typeIjLj2EENS0_17counting_iteratorIjlEEPS9_SG_NS0_5tupleIJPjSI_NS0_16reverse_iteratorISI_EEEEENSH_IJSG_SG_SG_EEES9_SI_JZNS1_25segmented_radix_sort_implINS0_14default_configELb0EPKdPdPKlPlN2at6native12_GLOBAL__N_18offset_tEEE10hipError_tPvRmT1_PNSt15iterator_traitsIS12_E10value_typeET2_T3_PNS13_IS18_E10value_typeET4_jRbjT5_S1E_jjP12ihipStream_tbEUljE_ZNSN_ISO_Lb0ESQ_SR_ST_SU_SY_EESZ_S10_S11_S12_S16_S17_S18_S1B_S1C_jS1D_jS1E_S1E_jjS1G_bEUljE0_EEESZ_S10_S11_S18_S1C_S1E_T6_T7_T9_mT8_S1G_bDpT10_ENKUlT_T0_E_clISt17integral_constantIbLb0EES1U_EEDaS1P_S1Q_EUlS1P_E_NS1_11comp_targetILNS1_3genE2ELNS1_11target_archE906ELNS1_3gpuE6ELNS1_3repE0EEENS1_30default_config_static_selectorELNS0_4arch9wavefront6targetE0EEEvS12_,"axG",@progbits,_ZN7rocprim17ROCPRIM_400000_NS6detail17trampoline_kernelINS0_13select_configILj256ELj13ELNS0_17block_load_methodE3ELS4_3ELS4_3ELNS0_20block_scan_algorithmE0ELj4294967295EEENS1_25partition_config_selectorILNS1_17partition_subalgoE4EjNS0_10empty_typeEbEEZZNS1_14partition_implILS8_4ELb0ES6_15HIP_vector_typeIjLj2EENS0_17counting_iteratorIjlEEPS9_SG_NS0_5tupleIJPjSI_NS0_16reverse_iteratorISI_EEEEENSH_IJSG_SG_SG_EEES9_SI_JZNS1_25segmented_radix_sort_implINS0_14default_configELb0EPKdPdPKlPlN2at6native12_GLOBAL__N_18offset_tEEE10hipError_tPvRmT1_PNSt15iterator_traitsIS12_E10value_typeET2_T3_PNS13_IS18_E10value_typeET4_jRbjT5_S1E_jjP12ihipStream_tbEUljE_ZNSN_ISO_Lb0ESQ_SR_ST_SU_SY_EESZ_S10_S11_S12_S16_S17_S18_S1B_S1C_jS1D_jS1E_S1E_jjS1G_bEUljE0_EEESZ_S10_S11_S18_S1C_S1E_T6_T7_T9_mT8_S1G_bDpT10_ENKUlT_T0_E_clISt17integral_constantIbLb0EES1U_EEDaS1P_S1Q_EUlS1P_E_NS1_11comp_targetILNS1_3genE2ELNS1_11target_archE906ELNS1_3gpuE6ELNS1_3repE0EEENS1_30default_config_static_selectorELNS0_4arch9wavefront6targetE0EEEvS12_,comdat
.Lfunc_end1155:
	.size	_ZN7rocprim17ROCPRIM_400000_NS6detail17trampoline_kernelINS0_13select_configILj256ELj13ELNS0_17block_load_methodE3ELS4_3ELS4_3ELNS0_20block_scan_algorithmE0ELj4294967295EEENS1_25partition_config_selectorILNS1_17partition_subalgoE4EjNS0_10empty_typeEbEEZZNS1_14partition_implILS8_4ELb0ES6_15HIP_vector_typeIjLj2EENS0_17counting_iteratorIjlEEPS9_SG_NS0_5tupleIJPjSI_NS0_16reverse_iteratorISI_EEEEENSH_IJSG_SG_SG_EEES9_SI_JZNS1_25segmented_radix_sort_implINS0_14default_configELb0EPKdPdPKlPlN2at6native12_GLOBAL__N_18offset_tEEE10hipError_tPvRmT1_PNSt15iterator_traitsIS12_E10value_typeET2_T3_PNS13_IS18_E10value_typeET4_jRbjT5_S1E_jjP12ihipStream_tbEUljE_ZNSN_ISO_Lb0ESQ_SR_ST_SU_SY_EESZ_S10_S11_S12_S16_S17_S18_S1B_S1C_jS1D_jS1E_S1E_jjS1G_bEUljE0_EEESZ_S10_S11_S18_S1C_S1E_T6_T7_T9_mT8_S1G_bDpT10_ENKUlT_T0_E_clISt17integral_constantIbLb0EES1U_EEDaS1P_S1Q_EUlS1P_E_NS1_11comp_targetILNS1_3genE2ELNS1_11target_archE906ELNS1_3gpuE6ELNS1_3repE0EEENS1_30default_config_static_selectorELNS0_4arch9wavefront6targetE0EEEvS12_, .Lfunc_end1155-_ZN7rocprim17ROCPRIM_400000_NS6detail17trampoline_kernelINS0_13select_configILj256ELj13ELNS0_17block_load_methodE3ELS4_3ELS4_3ELNS0_20block_scan_algorithmE0ELj4294967295EEENS1_25partition_config_selectorILNS1_17partition_subalgoE4EjNS0_10empty_typeEbEEZZNS1_14partition_implILS8_4ELb0ES6_15HIP_vector_typeIjLj2EENS0_17counting_iteratorIjlEEPS9_SG_NS0_5tupleIJPjSI_NS0_16reverse_iteratorISI_EEEEENSH_IJSG_SG_SG_EEES9_SI_JZNS1_25segmented_radix_sort_implINS0_14default_configELb0EPKdPdPKlPlN2at6native12_GLOBAL__N_18offset_tEEE10hipError_tPvRmT1_PNSt15iterator_traitsIS12_E10value_typeET2_T3_PNS13_IS18_E10value_typeET4_jRbjT5_S1E_jjP12ihipStream_tbEUljE_ZNSN_ISO_Lb0ESQ_SR_ST_SU_SY_EESZ_S10_S11_S12_S16_S17_S18_S1B_S1C_jS1D_jS1E_S1E_jjS1G_bEUljE0_EEESZ_S10_S11_S18_S1C_S1E_T6_T7_T9_mT8_S1G_bDpT10_ENKUlT_T0_E_clISt17integral_constantIbLb0EES1U_EEDaS1P_S1Q_EUlS1P_E_NS1_11comp_targetILNS1_3genE2ELNS1_11target_archE906ELNS1_3gpuE6ELNS1_3repE0EEENS1_30default_config_static_selectorELNS0_4arch9wavefront6targetE0EEEvS12_
                                        ; -- End function
	.set _ZN7rocprim17ROCPRIM_400000_NS6detail17trampoline_kernelINS0_13select_configILj256ELj13ELNS0_17block_load_methodE3ELS4_3ELS4_3ELNS0_20block_scan_algorithmE0ELj4294967295EEENS1_25partition_config_selectorILNS1_17partition_subalgoE4EjNS0_10empty_typeEbEEZZNS1_14partition_implILS8_4ELb0ES6_15HIP_vector_typeIjLj2EENS0_17counting_iteratorIjlEEPS9_SG_NS0_5tupleIJPjSI_NS0_16reverse_iteratorISI_EEEEENSH_IJSG_SG_SG_EEES9_SI_JZNS1_25segmented_radix_sort_implINS0_14default_configELb0EPKdPdPKlPlN2at6native12_GLOBAL__N_18offset_tEEE10hipError_tPvRmT1_PNSt15iterator_traitsIS12_E10value_typeET2_T3_PNS13_IS18_E10value_typeET4_jRbjT5_S1E_jjP12ihipStream_tbEUljE_ZNSN_ISO_Lb0ESQ_SR_ST_SU_SY_EESZ_S10_S11_S12_S16_S17_S18_S1B_S1C_jS1D_jS1E_S1E_jjS1G_bEUljE0_EEESZ_S10_S11_S18_S1C_S1E_T6_T7_T9_mT8_S1G_bDpT10_ENKUlT_T0_E_clISt17integral_constantIbLb0EES1U_EEDaS1P_S1Q_EUlS1P_E_NS1_11comp_targetILNS1_3genE2ELNS1_11target_archE906ELNS1_3gpuE6ELNS1_3repE0EEENS1_30default_config_static_selectorELNS0_4arch9wavefront6targetE0EEEvS12_.num_vgpr, 0
	.set _ZN7rocprim17ROCPRIM_400000_NS6detail17trampoline_kernelINS0_13select_configILj256ELj13ELNS0_17block_load_methodE3ELS4_3ELS4_3ELNS0_20block_scan_algorithmE0ELj4294967295EEENS1_25partition_config_selectorILNS1_17partition_subalgoE4EjNS0_10empty_typeEbEEZZNS1_14partition_implILS8_4ELb0ES6_15HIP_vector_typeIjLj2EENS0_17counting_iteratorIjlEEPS9_SG_NS0_5tupleIJPjSI_NS0_16reverse_iteratorISI_EEEEENSH_IJSG_SG_SG_EEES9_SI_JZNS1_25segmented_radix_sort_implINS0_14default_configELb0EPKdPdPKlPlN2at6native12_GLOBAL__N_18offset_tEEE10hipError_tPvRmT1_PNSt15iterator_traitsIS12_E10value_typeET2_T3_PNS13_IS18_E10value_typeET4_jRbjT5_S1E_jjP12ihipStream_tbEUljE_ZNSN_ISO_Lb0ESQ_SR_ST_SU_SY_EESZ_S10_S11_S12_S16_S17_S18_S1B_S1C_jS1D_jS1E_S1E_jjS1G_bEUljE0_EEESZ_S10_S11_S18_S1C_S1E_T6_T7_T9_mT8_S1G_bDpT10_ENKUlT_T0_E_clISt17integral_constantIbLb0EES1U_EEDaS1P_S1Q_EUlS1P_E_NS1_11comp_targetILNS1_3genE2ELNS1_11target_archE906ELNS1_3gpuE6ELNS1_3repE0EEENS1_30default_config_static_selectorELNS0_4arch9wavefront6targetE0EEEvS12_.num_agpr, 0
	.set _ZN7rocprim17ROCPRIM_400000_NS6detail17trampoline_kernelINS0_13select_configILj256ELj13ELNS0_17block_load_methodE3ELS4_3ELS4_3ELNS0_20block_scan_algorithmE0ELj4294967295EEENS1_25partition_config_selectorILNS1_17partition_subalgoE4EjNS0_10empty_typeEbEEZZNS1_14partition_implILS8_4ELb0ES6_15HIP_vector_typeIjLj2EENS0_17counting_iteratorIjlEEPS9_SG_NS0_5tupleIJPjSI_NS0_16reverse_iteratorISI_EEEEENSH_IJSG_SG_SG_EEES9_SI_JZNS1_25segmented_radix_sort_implINS0_14default_configELb0EPKdPdPKlPlN2at6native12_GLOBAL__N_18offset_tEEE10hipError_tPvRmT1_PNSt15iterator_traitsIS12_E10value_typeET2_T3_PNS13_IS18_E10value_typeET4_jRbjT5_S1E_jjP12ihipStream_tbEUljE_ZNSN_ISO_Lb0ESQ_SR_ST_SU_SY_EESZ_S10_S11_S12_S16_S17_S18_S1B_S1C_jS1D_jS1E_S1E_jjS1G_bEUljE0_EEESZ_S10_S11_S18_S1C_S1E_T6_T7_T9_mT8_S1G_bDpT10_ENKUlT_T0_E_clISt17integral_constantIbLb0EES1U_EEDaS1P_S1Q_EUlS1P_E_NS1_11comp_targetILNS1_3genE2ELNS1_11target_archE906ELNS1_3gpuE6ELNS1_3repE0EEENS1_30default_config_static_selectorELNS0_4arch9wavefront6targetE0EEEvS12_.numbered_sgpr, 0
	.set _ZN7rocprim17ROCPRIM_400000_NS6detail17trampoline_kernelINS0_13select_configILj256ELj13ELNS0_17block_load_methodE3ELS4_3ELS4_3ELNS0_20block_scan_algorithmE0ELj4294967295EEENS1_25partition_config_selectorILNS1_17partition_subalgoE4EjNS0_10empty_typeEbEEZZNS1_14partition_implILS8_4ELb0ES6_15HIP_vector_typeIjLj2EENS0_17counting_iteratorIjlEEPS9_SG_NS0_5tupleIJPjSI_NS0_16reverse_iteratorISI_EEEEENSH_IJSG_SG_SG_EEES9_SI_JZNS1_25segmented_radix_sort_implINS0_14default_configELb0EPKdPdPKlPlN2at6native12_GLOBAL__N_18offset_tEEE10hipError_tPvRmT1_PNSt15iterator_traitsIS12_E10value_typeET2_T3_PNS13_IS18_E10value_typeET4_jRbjT5_S1E_jjP12ihipStream_tbEUljE_ZNSN_ISO_Lb0ESQ_SR_ST_SU_SY_EESZ_S10_S11_S12_S16_S17_S18_S1B_S1C_jS1D_jS1E_S1E_jjS1G_bEUljE0_EEESZ_S10_S11_S18_S1C_S1E_T6_T7_T9_mT8_S1G_bDpT10_ENKUlT_T0_E_clISt17integral_constantIbLb0EES1U_EEDaS1P_S1Q_EUlS1P_E_NS1_11comp_targetILNS1_3genE2ELNS1_11target_archE906ELNS1_3gpuE6ELNS1_3repE0EEENS1_30default_config_static_selectorELNS0_4arch9wavefront6targetE0EEEvS12_.num_named_barrier, 0
	.set _ZN7rocprim17ROCPRIM_400000_NS6detail17trampoline_kernelINS0_13select_configILj256ELj13ELNS0_17block_load_methodE3ELS4_3ELS4_3ELNS0_20block_scan_algorithmE0ELj4294967295EEENS1_25partition_config_selectorILNS1_17partition_subalgoE4EjNS0_10empty_typeEbEEZZNS1_14partition_implILS8_4ELb0ES6_15HIP_vector_typeIjLj2EENS0_17counting_iteratorIjlEEPS9_SG_NS0_5tupleIJPjSI_NS0_16reverse_iteratorISI_EEEEENSH_IJSG_SG_SG_EEES9_SI_JZNS1_25segmented_radix_sort_implINS0_14default_configELb0EPKdPdPKlPlN2at6native12_GLOBAL__N_18offset_tEEE10hipError_tPvRmT1_PNSt15iterator_traitsIS12_E10value_typeET2_T3_PNS13_IS18_E10value_typeET4_jRbjT5_S1E_jjP12ihipStream_tbEUljE_ZNSN_ISO_Lb0ESQ_SR_ST_SU_SY_EESZ_S10_S11_S12_S16_S17_S18_S1B_S1C_jS1D_jS1E_S1E_jjS1G_bEUljE0_EEESZ_S10_S11_S18_S1C_S1E_T6_T7_T9_mT8_S1G_bDpT10_ENKUlT_T0_E_clISt17integral_constantIbLb0EES1U_EEDaS1P_S1Q_EUlS1P_E_NS1_11comp_targetILNS1_3genE2ELNS1_11target_archE906ELNS1_3gpuE6ELNS1_3repE0EEENS1_30default_config_static_selectorELNS0_4arch9wavefront6targetE0EEEvS12_.private_seg_size, 0
	.set _ZN7rocprim17ROCPRIM_400000_NS6detail17trampoline_kernelINS0_13select_configILj256ELj13ELNS0_17block_load_methodE3ELS4_3ELS4_3ELNS0_20block_scan_algorithmE0ELj4294967295EEENS1_25partition_config_selectorILNS1_17partition_subalgoE4EjNS0_10empty_typeEbEEZZNS1_14partition_implILS8_4ELb0ES6_15HIP_vector_typeIjLj2EENS0_17counting_iteratorIjlEEPS9_SG_NS0_5tupleIJPjSI_NS0_16reverse_iteratorISI_EEEEENSH_IJSG_SG_SG_EEES9_SI_JZNS1_25segmented_radix_sort_implINS0_14default_configELb0EPKdPdPKlPlN2at6native12_GLOBAL__N_18offset_tEEE10hipError_tPvRmT1_PNSt15iterator_traitsIS12_E10value_typeET2_T3_PNS13_IS18_E10value_typeET4_jRbjT5_S1E_jjP12ihipStream_tbEUljE_ZNSN_ISO_Lb0ESQ_SR_ST_SU_SY_EESZ_S10_S11_S12_S16_S17_S18_S1B_S1C_jS1D_jS1E_S1E_jjS1G_bEUljE0_EEESZ_S10_S11_S18_S1C_S1E_T6_T7_T9_mT8_S1G_bDpT10_ENKUlT_T0_E_clISt17integral_constantIbLb0EES1U_EEDaS1P_S1Q_EUlS1P_E_NS1_11comp_targetILNS1_3genE2ELNS1_11target_archE906ELNS1_3gpuE6ELNS1_3repE0EEENS1_30default_config_static_selectorELNS0_4arch9wavefront6targetE0EEEvS12_.uses_vcc, 0
	.set _ZN7rocprim17ROCPRIM_400000_NS6detail17trampoline_kernelINS0_13select_configILj256ELj13ELNS0_17block_load_methodE3ELS4_3ELS4_3ELNS0_20block_scan_algorithmE0ELj4294967295EEENS1_25partition_config_selectorILNS1_17partition_subalgoE4EjNS0_10empty_typeEbEEZZNS1_14partition_implILS8_4ELb0ES6_15HIP_vector_typeIjLj2EENS0_17counting_iteratorIjlEEPS9_SG_NS0_5tupleIJPjSI_NS0_16reverse_iteratorISI_EEEEENSH_IJSG_SG_SG_EEES9_SI_JZNS1_25segmented_radix_sort_implINS0_14default_configELb0EPKdPdPKlPlN2at6native12_GLOBAL__N_18offset_tEEE10hipError_tPvRmT1_PNSt15iterator_traitsIS12_E10value_typeET2_T3_PNS13_IS18_E10value_typeET4_jRbjT5_S1E_jjP12ihipStream_tbEUljE_ZNSN_ISO_Lb0ESQ_SR_ST_SU_SY_EESZ_S10_S11_S12_S16_S17_S18_S1B_S1C_jS1D_jS1E_S1E_jjS1G_bEUljE0_EEESZ_S10_S11_S18_S1C_S1E_T6_T7_T9_mT8_S1G_bDpT10_ENKUlT_T0_E_clISt17integral_constantIbLb0EES1U_EEDaS1P_S1Q_EUlS1P_E_NS1_11comp_targetILNS1_3genE2ELNS1_11target_archE906ELNS1_3gpuE6ELNS1_3repE0EEENS1_30default_config_static_selectorELNS0_4arch9wavefront6targetE0EEEvS12_.uses_flat_scratch, 0
	.set _ZN7rocprim17ROCPRIM_400000_NS6detail17trampoline_kernelINS0_13select_configILj256ELj13ELNS0_17block_load_methodE3ELS4_3ELS4_3ELNS0_20block_scan_algorithmE0ELj4294967295EEENS1_25partition_config_selectorILNS1_17partition_subalgoE4EjNS0_10empty_typeEbEEZZNS1_14partition_implILS8_4ELb0ES6_15HIP_vector_typeIjLj2EENS0_17counting_iteratorIjlEEPS9_SG_NS0_5tupleIJPjSI_NS0_16reverse_iteratorISI_EEEEENSH_IJSG_SG_SG_EEES9_SI_JZNS1_25segmented_radix_sort_implINS0_14default_configELb0EPKdPdPKlPlN2at6native12_GLOBAL__N_18offset_tEEE10hipError_tPvRmT1_PNSt15iterator_traitsIS12_E10value_typeET2_T3_PNS13_IS18_E10value_typeET4_jRbjT5_S1E_jjP12ihipStream_tbEUljE_ZNSN_ISO_Lb0ESQ_SR_ST_SU_SY_EESZ_S10_S11_S12_S16_S17_S18_S1B_S1C_jS1D_jS1E_S1E_jjS1G_bEUljE0_EEESZ_S10_S11_S18_S1C_S1E_T6_T7_T9_mT8_S1G_bDpT10_ENKUlT_T0_E_clISt17integral_constantIbLb0EES1U_EEDaS1P_S1Q_EUlS1P_E_NS1_11comp_targetILNS1_3genE2ELNS1_11target_archE906ELNS1_3gpuE6ELNS1_3repE0EEENS1_30default_config_static_selectorELNS0_4arch9wavefront6targetE0EEEvS12_.has_dyn_sized_stack, 0
	.set _ZN7rocprim17ROCPRIM_400000_NS6detail17trampoline_kernelINS0_13select_configILj256ELj13ELNS0_17block_load_methodE3ELS4_3ELS4_3ELNS0_20block_scan_algorithmE0ELj4294967295EEENS1_25partition_config_selectorILNS1_17partition_subalgoE4EjNS0_10empty_typeEbEEZZNS1_14partition_implILS8_4ELb0ES6_15HIP_vector_typeIjLj2EENS0_17counting_iteratorIjlEEPS9_SG_NS0_5tupleIJPjSI_NS0_16reverse_iteratorISI_EEEEENSH_IJSG_SG_SG_EEES9_SI_JZNS1_25segmented_radix_sort_implINS0_14default_configELb0EPKdPdPKlPlN2at6native12_GLOBAL__N_18offset_tEEE10hipError_tPvRmT1_PNSt15iterator_traitsIS12_E10value_typeET2_T3_PNS13_IS18_E10value_typeET4_jRbjT5_S1E_jjP12ihipStream_tbEUljE_ZNSN_ISO_Lb0ESQ_SR_ST_SU_SY_EESZ_S10_S11_S12_S16_S17_S18_S1B_S1C_jS1D_jS1E_S1E_jjS1G_bEUljE0_EEESZ_S10_S11_S18_S1C_S1E_T6_T7_T9_mT8_S1G_bDpT10_ENKUlT_T0_E_clISt17integral_constantIbLb0EES1U_EEDaS1P_S1Q_EUlS1P_E_NS1_11comp_targetILNS1_3genE2ELNS1_11target_archE906ELNS1_3gpuE6ELNS1_3repE0EEENS1_30default_config_static_selectorELNS0_4arch9wavefront6targetE0EEEvS12_.has_recursion, 0
	.set _ZN7rocprim17ROCPRIM_400000_NS6detail17trampoline_kernelINS0_13select_configILj256ELj13ELNS0_17block_load_methodE3ELS4_3ELS4_3ELNS0_20block_scan_algorithmE0ELj4294967295EEENS1_25partition_config_selectorILNS1_17partition_subalgoE4EjNS0_10empty_typeEbEEZZNS1_14partition_implILS8_4ELb0ES6_15HIP_vector_typeIjLj2EENS0_17counting_iteratorIjlEEPS9_SG_NS0_5tupleIJPjSI_NS0_16reverse_iteratorISI_EEEEENSH_IJSG_SG_SG_EEES9_SI_JZNS1_25segmented_radix_sort_implINS0_14default_configELb0EPKdPdPKlPlN2at6native12_GLOBAL__N_18offset_tEEE10hipError_tPvRmT1_PNSt15iterator_traitsIS12_E10value_typeET2_T3_PNS13_IS18_E10value_typeET4_jRbjT5_S1E_jjP12ihipStream_tbEUljE_ZNSN_ISO_Lb0ESQ_SR_ST_SU_SY_EESZ_S10_S11_S12_S16_S17_S18_S1B_S1C_jS1D_jS1E_S1E_jjS1G_bEUljE0_EEESZ_S10_S11_S18_S1C_S1E_T6_T7_T9_mT8_S1G_bDpT10_ENKUlT_T0_E_clISt17integral_constantIbLb0EES1U_EEDaS1P_S1Q_EUlS1P_E_NS1_11comp_targetILNS1_3genE2ELNS1_11target_archE906ELNS1_3gpuE6ELNS1_3repE0EEENS1_30default_config_static_selectorELNS0_4arch9wavefront6targetE0EEEvS12_.has_indirect_call, 0
	.section	.AMDGPU.csdata,"",@progbits
; Kernel info:
; codeLenInByte = 0
; TotalNumSgprs: 0
; NumVgprs: 0
; ScratchSize: 0
; MemoryBound: 0
; FloatMode: 240
; IeeeMode: 1
; LDSByteSize: 0 bytes/workgroup (compile time only)
; SGPRBlocks: 0
; VGPRBlocks: 0
; NumSGPRsForWavesPerEU: 1
; NumVGPRsForWavesPerEU: 1
; NamedBarCnt: 0
; Occupancy: 16
; WaveLimiterHint : 0
; COMPUTE_PGM_RSRC2:SCRATCH_EN: 0
; COMPUTE_PGM_RSRC2:USER_SGPR: 2
; COMPUTE_PGM_RSRC2:TRAP_HANDLER: 0
; COMPUTE_PGM_RSRC2:TGID_X_EN: 1
; COMPUTE_PGM_RSRC2:TGID_Y_EN: 0
; COMPUTE_PGM_RSRC2:TGID_Z_EN: 0
; COMPUTE_PGM_RSRC2:TIDIG_COMP_CNT: 0
	.section	.text._ZN7rocprim17ROCPRIM_400000_NS6detail17trampoline_kernelINS0_13select_configILj256ELj13ELNS0_17block_load_methodE3ELS4_3ELS4_3ELNS0_20block_scan_algorithmE0ELj4294967295EEENS1_25partition_config_selectorILNS1_17partition_subalgoE4EjNS0_10empty_typeEbEEZZNS1_14partition_implILS8_4ELb0ES6_15HIP_vector_typeIjLj2EENS0_17counting_iteratorIjlEEPS9_SG_NS0_5tupleIJPjSI_NS0_16reverse_iteratorISI_EEEEENSH_IJSG_SG_SG_EEES9_SI_JZNS1_25segmented_radix_sort_implINS0_14default_configELb0EPKdPdPKlPlN2at6native12_GLOBAL__N_18offset_tEEE10hipError_tPvRmT1_PNSt15iterator_traitsIS12_E10value_typeET2_T3_PNS13_IS18_E10value_typeET4_jRbjT5_S1E_jjP12ihipStream_tbEUljE_ZNSN_ISO_Lb0ESQ_SR_ST_SU_SY_EESZ_S10_S11_S12_S16_S17_S18_S1B_S1C_jS1D_jS1E_S1E_jjS1G_bEUljE0_EEESZ_S10_S11_S18_S1C_S1E_T6_T7_T9_mT8_S1G_bDpT10_ENKUlT_T0_E_clISt17integral_constantIbLb0EES1U_EEDaS1P_S1Q_EUlS1P_E_NS1_11comp_targetILNS1_3genE10ELNS1_11target_archE1200ELNS1_3gpuE4ELNS1_3repE0EEENS1_30default_config_static_selectorELNS0_4arch9wavefront6targetE0EEEvS12_,"axG",@progbits,_ZN7rocprim17ROCPRIM_400000_NS6detail17trampoline_kernelINS0_13select_configILj256ELj13ELNS0_17block_load_methodE3ELS4_3ELS4_3ELNS0_20block_scan_algorithmE0ELj4294967295EEENS1_25partition_config_selectorILNS1_17partition_subalgoE4EjNS0_10empty_typeEbEEZZNS1_14partition_implILS8_4ELb0ES6_15HIP_vector_typeIjLj2EENS0_17counting_iteratorIjlEEPS9_SG_NS0_5tupleIJPjSI_NS0_16reverse_iteratorISI_EEEEENSH_IJSG_SG_SG_EEES9_SI_JZNS1_25segmented_radix_sort_implINS0_14default_configELb0EPKdPdPKlPlN2at6native12_GLOBAL__N_18offset_tEEE10hipError_tPvRmT1_PNSt15iterator_traitsIS12_E10value_typeET2_T3_PNS13_IS18_E10value_typeET4_jRbjT5_S1E_jjP12ihipStream_tbEUljE_ZNSN_ISO_Lb0ESQ_SR_ST_SU_SY_EESZ_S10_S11_S12_S16_S17_S18_S1B_S1C_jS1D_jS1E_S1E_jjS1G_bEUljE0_EEESZ_S10_S11_S18_S1C_S1E_T6_T7_T9_mT8_S1G_bDpT10_ENKUlT_T0_E_clISt17integral_constantIbLb0EES1U_EEDaS1P_S1Q_EUlS1P_E_NS1_11comp_targetILNS1_3genE10ELNS1_11target_archE1200ELNS1_3gpuE4ELNS1_3repE0EEENS1_30default_config_static_selectorELNS0_4arch9wavefront6targetE0EEEvS12_,comdat
	.globl	_ZN7rocprim17ROCPRIM_400000_NS6detail17trampoline_kernelINS0_13select_configILj256ELj13ELNS0_17block_load_methodE3ELS4_3ELS4_3ELNS0_20block_scan_algorithmE0ELj4294967295EEENS1_25partition_config_selectorILNS1_17partition_subalgoE4EjNS0_10empty_typeEbEEZZNS1_14partition_implILS8_4ELb0ES6_15HIP_vector_typeIjLj2EENS0_17counting_iteratorIjlEEPS9_SG_NS0_5tupleIJPjSI_NS0_16reverse_iteratorISI_EEEEENSH_IJSG_SG_SG_EEES9_SI_JZNS1_25segmented_radix_sort_implINS0_14default_configELb0EPKdPdPKlPlN2at6native12_GLOBAL__N_18offset_tEEE10hipError_tPvRmT1_PNSt15iterator_traitsIS12_E10value_typeET2_T3_PNS13_IS18_E10value_typeET4_jRbjT5_S1E_jjP12ihipStream_tbEUljE_ZNSN_ISO_Lb0ESQ_SR_ST_SU_SY_EESZ_S10_S11_S12_S16_S17_S18_S1B_S1C_jS1D_jS1E_S1E_jjS1G_bEUljE0_EEESZ_S10_S11_S18_S1C_S1E_T6_T7_T9_mT8_S1G_bDpT10_ENKUlT_T0_E_clISt17integral_constantIbLb0EES1U_EEDaS1P_S1Q_EUlS1P_E_NS1_11comp_targetILNS1_3genE10ELNS1_11target_archE1200ELNS1_3gpuE4ELNS1_3repE0EEENS1_30default_config_static_selectorELNS0_4arch9wavefront6targetE0EEEvS12_ ; -- Begin function _ZN7rocprim17ROCPRIM_400000_NS6detail17trampoline_kernelINS0_13select_configILj256ELj13ELNS0_17block_load_methodE3ELS4_3ELS4_3ELNS0_20block_scan_algorithmE0ELj4294967295EEENS1_25partition_config_selectorILNS1_17partition_subalgoE4EjNS0_10empty_typeEbEEZZNS1_14partition_implILS8_4ELb0ES6_15HIP_vector_typeIjLj2EENS0_17counting_iteratorIjlEEPS9_SG_NS0_5tupleIJPjSI_NS0_16reverse_iteratorISI_EEEEENSH_IJSG_SG_SG_EEES9_SI_JZNS1_25segmented_radix_sort_implINS0_14default_configELb0EPKdPdPKlPlN2at6native12_GLOBAL__N_18offset_tEEE10hipError_tPvRmT1_PNSt15iterator_traitsIS12_E10value_typeET2_T3_PNS13_IS18_E10value_typeET4_jRbjT5_S1E_jjP12ihipStream_tbEUljE_ZNSN_ISO_Lb0ESQ_SR_ST_SU_SY_EESZ_S10_S11_S12_S16_S17_S18_S1B_S1C_jS1D_jS1E_S1E_jjS1G_bEUljE0_EEESZ_S10_S11_S18_S1C_S1E_T6_T7_T9_mT8_S1G_bDpT10_ENKUlT_T0_E_clISt17integral_constantIbLb0EES1U_EEDaS1P_S1Q_EUlS1P_E_NS1_11comp_targetILNS1_3genE10ELNS1_11target_archE1200ELNS1_3gpuE4ELNS1_3repE0EEENS1_30default_config_static_selectorELNS0_4arch9wavefront6targetE0EEEvS12_
	.p2align	8
	.type	_ZN7rocprim17ROCPRIM_400000_NS6detail17trampoline_kernelINS0_13select_configILj256ELj13ELNS0_17block_load_methodE3ELS4_3ELS4_3ELNS0_20block_scan_algorithmE0ELj4294967295EEENS1_25partition_config_selectorILNS1_17partition_subalgoE4EjNS0_10empty_typeEbEEZZNS1_14partition_implILS8_4ELb0ES6_15HIP_vector_typeIjLj2EENS0_17counting_iteratorIjlEEPS9_SG_NS0_5tupleIJPjSI_NS0_16reverse_iteratorISI_EEEEENSH_IJSG_SG_SG_EEES9_SI_JZNS1_25segmented_radix_sort_implINS0_14default_configELb0EPKdPdPKlPlN2at6native12_GLOBAL__N_18offset_tEEE10hipError_tPvRmT1_PNSt15iterator_traitsIS12_E10value_typeET2_T3_PNS13_IS18_E10value_typeET4_jRbjT5_S1E_jjP12ihipStream_tbEUljE_ZNSN_ISO_Lb0ESQ_SR_ST_SU_SY_EESZ_S10_S11_S12_S16_S17_S18_S1B_S1C_jS1D_jS1E_S1E_jjS1G_bEUljE0_EEESZ_S10_S11_S18_S1C_S1E_T6_T7_T9_mT8_S1G_bDpT10_ENKUlT_T0_E_clISt17integral_constantIbLb0EES1U_EEDaS1P_S1Q_EUlS1P_E_NS1_11comp_targetILNS1_3genE10ELNS1_11target_archE1200ELNS1_3gpuE4ELNS1_3repE0EEENS1_30default_config_static_selectorELNS0_4arch9wavefront6targetE0EEEvS12_,@function
_ZN7rocprim17ROCPRIM_400000_NS6detail17trampoline_kernelINS0_13select_configILj256ELj13ELNS0_17block_load_methodE3ELS4_3ELS4_3ELNS0_20block_scan_algorithmE0ELj4294967295EEENS1_25partition_config_selectorILNS1_17partition_subalgoE4EjNS0_10empty_typeEbEEZZNS1_14partition_implILS8_4ELb0ES6_15HIP_vector_typeIjLj2EENS0_17counting_iteratorIjlEEPS9_SG_NS0_5tupleIJPjSI_NS0_16reverse_iteratorISI_EEEEENSH_IJSG_SG_SG_EEES9_SI_JZNS1_25segmented_radix_sort_implINS0_14default_configELb0EPKdPdPKlPlN2at6native12_GLOBAL__N_18offset_tEEE10hipError_tPvRmT1_PNSt15iterator_traitsIS12_E10value_typeET2_T3_PNS13_IS18_E10value_typeET4_jRbjT5_S1E_jjP12ihipStream_tbEUljE_ZNSN_ISO_Lb0ESQ_SR_ST_SU_SY_EESZ_S10_S11_S12_S16_S17_S18_S1B_S1C_jS1D_jS1E_S1E_jjS1G_bEUljE0_EEESZ_S10_S11_S18_S1C_S1E_T6_T7_T9_mT8_S1G_bDpT10_ENKUlT_T0_E_clISt17integral_constantIbLb0EES1U_EEDaS1P_S1Q_EUlS1P_E_NS1_11comp_targetILNS1_3genE10ELNS1_11target_archE1200ELNS1_3gpuE4ELNS1_3repE0EEENS1_30default_config_static_selectorELNS0_4arch9wavefront6targetE0EEEvS12_: ; @_ZN7rocprim17ROCPRIM_400000_NS6detail17trampoline_kernelINS0_13select_configILj256ELj13ELNS0_17block_load_methodE3ELS4_3ELS4_3ELNS0_20block_scan_algorithmE0ELj4294967295EEENS1_25partition_config_selectorILNS1_17partition_subalgoE4EjNS0_10empty_typeEbEEZZNS1_14partition_implILS8_4ELb0ES6_15HIP_vector_typeIjLj2EENS0_17counting_iteratorIjlEEPS9_SG_NS0_5tupleIJPjSI_NS0_16reverse_iteratorISI_EEEEENSH_IJSG_SG_SG_EEES9_SI_JZNS1_25segmented_radix_sort_implINS0_14default_configELb0EPKdPdPKlPlN2at6native12_GLOBAL__N_18offset_tEEE10hipError_tPvRmT1_PNSt15iterator_traitsIS12_E10value_typeET2_T3_PNS13_IS18_E10value_typeET4_jRbjT5_S1E_jjP12ihipStream_tbEUljE_ZNSN_ISO_Lb0ESQ_SR_ST_SU_SY_EESZ_S10_S11_S12_S16_S17_S18_S1B_S1C_jS1D_jS1E_S1E_jjS1G_bEUljE0_EEESZ_S10_S11_S18_S1C_S1E_T6_T7_T9_mT8_S1G_bDpT10_ENKUlT_T0_E_clISt17integral_constantIbLb0EES1U_EEDaS1P_S1Q_EUlS1P_E_NS1_11comp_targetILNS1_3genE10ELNS1_11target_archE1200ELNS1_3gpuE4ELNS1_3repE0EEENS1_30default_config_static_selectorELNS0_4arch9wavefront6targetE0EEEvS12_
; %bb.0:
	.section	.rodata,"a",@progbits
	.p2align	6, 0x0
	.amdhsa_kernel _ZN7rocprim17ROCPRIM_400000_NS6detail17trampoline_kernelINS0_13select_configILj256ELj13ELNS0_17block_load_methodE3ELS4_3ELS4_3ELNS0_20block_scan_algorithmE0ELj4294967295EEENS1_25partition_config_selectorILNS1_17partition_subalgoE4EjNS0_10empty_typeEbEEZZNS1_14partition_implILS8_4ELb0ES6_15HIP_vector_typeIjLj2EENS0_17counting_iteratorIjlEEPS9_SG_NS0_5tupleIJPjSI_NS0_16reverse_iteratorISI_EEEEENSH_IJSG_SG_SG_EEES9_SI_JZNS1_25segmented_radix_sort_implINS0_14default_configELb0EPKdPdPKlPlN2at6native12_GLOBAL__N_18offset_tEEE10hipError_tPvRmT1_PNSt15iterator_traitsIS12_E10value_typeET2_T3_PNS13_IS18_E10value_typeET4_jRbjT5_S1E_jjP12ihipStream_tbEUljE_ZNSN_ISO_Lb0ESQ_SR_ST_SU_SY_EESZ_S10_S11_S12_S16_S17_S18_S1B_S1C_jS1D_jS1E_S1E_jjS1G_bEUljE0_EEESZ_S10_S11_S18_S1C_S1E_T6_T7_T9_mT8_S1G_bDpT10_ENKUlT_T0_E_clISt17integral_constantIbLb0EES1U_EEDaS1P_S1Q_EUlS1P_E_NS1_11comp_targetILNS1_3genE10ELNS1_11target_archE1200ELNS1_3gpuE4ELNS1_3repE0EEENS1_30default_config_static_selectorELNS0_4arch9wavefront6targetE0EEEvS12_
		.amdhsa_group_segment_fixed_size 0
		.amdhsa_private_segment_fixed_size 0
		.amdhsa_kernarg_size 176
		.amdhsa_user_sgpr_count 2
		.amdhsa_user_sgpr_dispatch_ptr 0
		.amdhsa_user_sgpr_queue_ptr 0
		.amdhsa_user_sgpr_kernarg_segment_ptr 1
		.amdhsa_user_sgpr_dispatch_id 0
		.amdhsa_user_sgpr_kernarg_preload_length 0
		.amdhsa_user_sgpr_kernarg_preload_offset 0
		.amdhsa_user_sgpr_private_segment_size 0
		.amdhsa_wavefront_size32 1
		.amdhsa_uses_dynamic_stack 0
		.amdhsa_enable_private_segment 0
		.amdhsa_system_sgpr_workgroup_id_x 1
		.amdhsa_system_sgpr_workgroup_id_y 0
		.amdhsa_system_sgpr_workgroup_id_z 0
		.amdhsa_system_sgpr_workgroup_info 0
		.amdhsa_system_vgpr_workitem_id 0
		.amdhsa_next_free_vgpr 1
		.amdhsa_next_free_sgpr 1
		.amdhsa_named_barrier_count 0
		.amdhsa_reserve_vcc 0
		.amdhsa_float_round_mode_32 0
		.amdhsa_float_round_mode_16_64 0
		.amdhsa_float_denorm_mode_32 3
		.amdhsa_float_denorm_mode_16_64 3
		.amdhsa_fp16_overflow 0
		.amdhsa_memory_ordered 1
		.amdhsa_forward_progress 1
		.amdhsa_inst_pref_size 0
		.amdhsa_round_robin_scheduling 0
		.amdhsa_exception_fp_ieee_invalid_op 0
		.amdhsa_exception_fp_denorm_src 0
		.amdhsa_exception_fp_ieee_div_zero 0
		.amdhsa_exception_fp_ieee_overflow 0
		.amdhsa_exception_fp_ieee_underflow 0
		.amdhsa_exception_fp_ieee_inexact 0
		.amdhsa_exception_int_div_zero 0
	.end_amdhsa_kernel
	.section	.text._ZN7rocprim17ROCPRIM_400000_NS6detail17trampoline_kernelINS0_13select_configILj256ELj13ELNS0_17block_load_methodE3ELS4_3ELS4_3ELNS0_20block_scan_algorithmE0ELj4294967295EEENS1_25partition_config_selectorILNS1_17partition_subalgoE4EjNS0_10empty_typeEbEEZZNS1_14partition_implILS8_4ELb0ES6_15HIP_vector_typeIjLj2EENS0_17counting_iteratorIjlEEPS9_SG_NS0_5tupleIJPjSI_NS0_16reverse_iteratorISI_EEEEENSH_IJSG_SG_SG_EEES9_SI_JZNS1_25segmented_radix_sort_implINS0_14default_configELb0EPKdPdPKlPlN2at6native12_GLOBAL__N_18offset_tEEE10hipError_tPvRmT1_PNSt15iterator_traitsIS12_E10value_typeET2_T3_PNS13_IS18_E10value_typeET4_jRbjT5_S1E_jjP12ihipStream_tbEUljE_ZNSN_ISO_Lb0ESQ_SR_ST_SU_SY_EESZ_S10_S11_S12_S16_S17_S18_S1B_S1C_jS1D_jS1E_S1E_jjS1G_bEUljE0_EEESZ_S10_S11_S18_S1C_S1E_T6_T7_T9_mT8_S1G_bDpT10_ENKUlT_T0_E_clISt17integral_constantIbLb0EES1U_EEDaS1P_S1Q_EUlS1P_E_NS1_11comp_targetILNS1_3genE10ELNS1_11target_archE1200ELNS1_3gpuE4ELNS1_3repE0EEENS1_30default_config_static_selectorELNS0_4arch9wavefront6targetE0EEEvS12_,"axG",@progbits,_ZN7rocprim17ROCPRIM_400000_NS6detail17trampoline_kernelINS0_13select_configILj256ELj13ELNS0_17block_load_methodE3ELS4_3ELS4_3ELNS0_20block_scan_algorithmE0ELj4294967295EEENS1_25partition_config_selectorILNS1_17partition_subalgoE4EjNS0_10empty_typeEbEEZZNS1_14partition_implILS8_4ELb0ES6_15HIP_vector_typeIjLj2EENS0_17counting_iteratorIjlEEPS9_SG_NS0_5tupleIJPjSI_NS0_16reverse_iteratorISI_EEEEENSH_IJSG_SG_SG_EEES9_SI_JZNS1_25segmented_radix_sort_implINS0_14default_configELb0EPKdPdPKlPlN2at6native12_GLOBAL__N_18offset_tEEE10hipError_tPvRmT1_PNSt15iterator_traitsIS12_E10value_typeET2_T3_PNS13_IS18_E10value_typeET4_jRbjT5_S1E_jjP12ihipStream_tbEUljE_ZNSN_ISO_Lb0ESQ_SR_ST_SU_SY_EESZ_S10_S11_S12_S16_S17_S18_S1B_S1C_jS1D_jS1E_S1E_jjS1G_bEUljE0_EEESZ_S10_S11_S18_S1C_S1E_T6_T7_T9_mT8_S1G_bDpT10_ENKUlT_T0_E_clISt17integral_constantIbLb0EES1U_EEDaS1P_S1Q_EUlS1P_E_NS1_11comp_targetILNS1_3genE10ELNS1_11target_archE1200ELNS1_3gpuE4ELNS1_3repE0EEENS1_30default_config_static_selectorELNS0_4arch9wavefront6targetE0EEEvS12_,comdat
.Lfunc_end1156:
	.size	_ZN7rocprim17ROCPRIM_400000_NS6detail17trampoline_kernelINS0_13select_configILj256ELj13ELNS0_17block_load_methodE3ELS4_3ELS4_3ELNS0_20block_scan_algorithmE0ELj4294967295EEENS1_25partition_config_selectorILNS1_17partition_subalgoE4EjNS0_10empty_typeEbEEZZNS1_14partition_implILS8_4ELb0ES6_15HIP_vector_typeIjLj2EENS0_17counting_iteratorIjlEEPS9_SG_NS0_5tupleIJPjSI_NS0_16reverse_iteratorISI_EEEEENSH_IJSG_SG_SG_EEES9_SI_JZNS1_25segmented_radix_sort_implINS0_14default_configELb0EPKdPdPKlPlN2at6native12_GLOBAL__N_18offset_tEEE10hipError_tPvRmT1_PNSt15iterator_traitsIS12_E10value_typeET2_T3_PNS13_IS18_E10value_typeET4_jRbjT5_S1E_jjP12ihipStream_tbEUljE_ZNSN_ISO_Lb0ESQ_SR_ST_SU_SY_EESZ_S10_S11_S12_S16_S17_S18_S1B_S1C_jS1D_jS1E_S1E_jjS1G_bEUljE0_EEESZ_S10_S11_S18_S1C_S1E_T6_T7_T9_mT8_S1G_bDpT10_ENKUlT_T0_E_clISt17integral_constantIbLb0EES1U_EEDaS1P_S1Q_EUlS1P_E_NS1_11comp_targetILNS1_3genE10ELNS1_11target_archE1200ELNS1_3gpuE4ELNS1_3repE0EEENS1_30default_config_static_selectorELNS0_4arch9wavefront6targetE0EEEvS12_, .Lfunc_end1156-_ZN7rocprim17ROCPRIM_400000_NS6detail17trampoline_kernelINS0_13select_configILj256ELj13ELNS0_17block_load_methodE3ELS4_3ELS4_3ELNS0_20block_scan_algorithmE0ELj4294967295EEENS1_25partition_config_selectorILNS1_17partition_subalgoE4EjNS0_10empty_typeEbEEZZNS1_14partition_implILS8_4ELb0ES6_15HIP_vector_typeIjLj2EENS0_17counting_iteratorIjlEEPS9_SG_NS0_5tupleIJPjSI_NS0_16reverse_iteratorISI_EEEEENSH_IJSG_SG_SG_EEES9_SI_JZNS1_25segmented_radix_sort_implINS0_14default_configELb0EPKdPdPKlPlN2at6native12_GLOBAL__N_18offset_tEEE10hipError_tPvRmT1_PNSt15iterator_traitsIS12_E10value_typeET2_T3_PNS13_IS18_E10value_typeET4_jRbjT5_S1E_jjP12ihipStream_tbEUljE_ZNSN_ISO_Lb0ESQ_SR_ST_SU_SY_EESZ_S10_S11_S12_S16_S17_S18_S1B_S1C_jS1D_jS1E_S1E_jjS1G_bEUljE0_EEESZ_S10_S11_S18_S1C_S1E_T6_T7_T9_mT8_S1G_bDpT10_ENKUlT_T0_E_clISt17integral_constantIbLb0EES1U_EEDaS1P_S1Q_EUlS1P_E_NS1_11comp_targetILNS1_3genE10ELNS1_11target_archE1200ELNS1_3gpuE4ELNS1_3repE0EEENS1_30default_config_static_selectorELNS0_4arch9wavefront6targetE0EEEvS12_
                                        ; -- End function
	.set _ZN7rocprim17ROCPRIM_400000_NS6detail17trampoline_kernelINS0_13select_configILj256ELj13ELNS0_17block_load_methodE3ELS4_3ELS4_3ELNS0_20block_scan_algorithmE0ELj4294967295EEENS1_25partition_config_selectorILNS1_17partition_subalgoE4EjNS0_10empty_typeEbEEZZNS1_14partition_implILS8_4ELb0ES6_15HIP_vector_typeIjLj2EENS0_17counting_iteratorIjlEEPS9_SG_NS0_5tupleIJPjSI_NS0_16reverse_iteratorISI_EEEEENSH_IJSG_SG_SG_EEES9_SI_JZNS1_25segmented_radix_sort_implINS0_14default_configELb0EPKdPdPKlPlN2at6native12_GLOBAL__N_18offset_tEEE10hipError_tPvRmT1_PNSt15iterator_traitsIS12_E10value_typeET2_T3_PNS13_IS18_E10value_typeET4_jRbjT5_S1E_jjP12ihipStream_tbEUljE_ZNSN_ISO_Lb0ESQ_SR_ST_SU_SY_EESZ_S10_S11_S12_S16_S17_S18_S1B_S1C_jS1D_jS1E_S1E_jjS1G_bEUljE0_EEESZ_S10_S11_S18_S1C_S1E_T6_T7_T9_mT8_S1G_bDpT10_ENKUlT_T0_E_clISt17integral_constantIbLb0EES1U_EEDaS1P_S1Q_EUlS1P_E_NS1_11comp_targetILNS1_3genE10ELNS1_11target_archE1200ELNS1_3gpuE4ELNS1_3repE0EEENS1_30default_config_static_selectorELNS0_4arch9wavefront6targetE0EEEvS12_.num_vgpr, 0
	.set _ZN7rocprim17ROCPRIM_400000_NS6detail17trampoline_kernelINS0_13select_configILj256ELj13ELNS0_17block_load_methodE3ELS4_3ELS4_3ELNS0_20block_scan_algorithmE0ELj4294967295EEENS1_25partition_config_selectorILNS1_17partition_subalgoE4EjNS0_10empty_typeEbEEZZNS1_14partition_implILS8_4ELb0ES6_15HIP_vector_typeIjLj2EENS0_17counting_iteratorIjlEEPS9_SG_NS0_5tupleIJPjSI_NS0_16reverse_iteratorISI_EEEEENSH_IJSG_SG_SG_EEES9_SI_JZNS1_25segmented_radix_sort_implINS0_14default_configELb0EPKdPdPKlPlN2at6native12_GLOBAL__N_18offset_tEEE10hipError_tPvRmT1_PNSt15iterator_traitsIS12_E10value_typeET2_T3_PNS13_IS18_E10value_typeET4_jRbjT5_S1E_jjP12ihipStream_tbEUljE_ZNSN_ISO_Lb0ESQ_SR_ST_SU_SY_EESZ_S10_S11_S12_S16_S17_S18_S1B_S1C_jS1D_jS1E_S1E_jjS1G_bEUljE0_EEESZ_S10_S11_S18_S1C_S1E_T6_T7_T9_mT8_S1G_bDpT10_ENKUlT_T0_E_clISt17integral_constantIbLb0EES1U_EEDaS1P_S1Q_EUlS1P_E_NS1_11comp_targetILNS1_3genE10ELNS1_11target_archE1200ELNS1_3gpuE4ELNS1_3repE0EEENS1_30default_config_static_selectorELNS0_4arch9wavefront6targetE0EEEvS12_.num_agpr, 0
	.set _ZN7rocprim17ROCPRIM_400000_NS6detail17trampoline_kernelINS0_13select_configILj256ELj13ELNS0_17block_load_methodE3ELS4_3ELS4_3ELNS0_20block_scan_algorithmE0ELj4294967295EEENS1_25partition_config_selectorILNS1_17partition_subalgoE4EjNS0_10empty_typeEbEEZZNS1_14partition_implILS8_4ELb0ES6_15HIP_vector_typeIjLj2EENS0_17counting_iteratorIjlEEPS9_SG_NS0_5tupleIJPjSI_NS0_16reverse_iteratorISI_EEEEENSH_IJSG_SG_SG_EEES9_SI_JZNS1_25segmented_radix_sort_implINS0_14default_configELb0EPKdPdPKlPlN2at6native12_GLOBAL__N_18offset_tEEE10hipError_tPvRmT1_PNSt15iterator_traitsIS12_E10value_typeET2_T3_PNS13_IS18_E10value_typeET4_jRbjT5_S1E_jjP12ihipStream_tbEUljE_ZNSN_ISO_Lb0ESQ_SR_ST_SU_SY_EESZ_S10_S11_S12_S16_S17_S18_S1B_S1C_jS1D_jS1E_S1E_jjS1G_bEUljE0_EEESZ_S10_S11_S18_S1C_S1E_T6_T7_T9_mT8_S1G_bDpT10_ENKUlT_T0_E_clISt17integral_constantIbLb0EES1U_EEDaS1P_S1Q_EUlS1P_E_NS1_11comp_targetILNS1_3genE10ELNS1_11target_archE1200ELNS1_3gpuE4ELNS1_3repE0EEENS1_30default_config_static_selectorELNS0_4arch9wavefront6targetE0EEEvS12_.numbered_sgpr, 0
	.set _ZN7rocprim17ROCPRIM_400000_NS6detail17trampoline_kernelINS0_13select_configILj256ELj13ELNS0_17block_load_methodE3ELS4_3ELS4_3ELNS0_20block_scan_algorithmE0ELj4294967295EEENS1_25partition_config_selectorILNS1_17partition_subalgoE4EjNS0_10empty_typeEbEEZZNS1_14partition_implILS8_4ELb0ES6_15HIP_vector_typeIjLj2EENS0_17counting_iteratorIjlEEPS9_SG_NS0_5tupleIJPjSI_NS0_16reverse_iteratorISI_EEEEENSH_IJSG_SG_SG_EEES9_SI_JZNS1_25segmented_radix_sort_implINS0_14default_configELb0EPKdPdPKlPlN2at6native12_GLOBAL__N_18offset_tEEE10hipError_tPvRmT1_PNSt15iterator_traitsIS12_E10value_typeET2_T3_PNS13_IS18_E10value_typeET4_jRbjT5_S1E_jjP12ihipStream_tbEUljE_ZNSN_ISO_Lb0ESQ_SR_ST_SU_SY_EESZ_S10_S11_S12_S16_S17_S18_S1B_S1C_jS1D_jS1E_S1E_jjS1G_bEUljE0_EEESZ_S10_S11_S18_S1C_S1E_T6_T7_T9_mT8_S1G_bDpT10_ENKUlT_T0_E_clISt17integral_constantIbLb0EES1U_EEDaS1P_S1Q_EUlS1P_E_NS1_11comp_targetILNS1_3genE10ELNS1_11target_archE1200ELNS1_3gpuE4ELNS1_3repE0EEENS1_30default_config_static_selectorELNS0_4arch9wavefront6targetE0EEEvS12_.num_named_barrier, 0
	.set _ZN7rocprim17ROCPRIM_400000_NS6detail17trampoline_kernelINS0_13select_configILj256ELj13ELNS0_17block_load_methodE3ELS4_3ELS4_3ELNS0_20block_scan_algorithmE0ELj4294967295EEENS1_25partition_config_selectorILNS1_17partition_subalgoE4EjNS0_10empty_typeEbEEZZNS1_14partition_implILS8_4ELb0ES6_15HIP_vector_typeIjLj2EENS0_17counting_iteratorIjlEEPS9_SG_NS0_5tupleIJPjSI_NS0_16reverse_iteratorISI_EEEEENSH_IJSG_SG_SG_EEES9_SI_JZNS1_25segmented_radix_sort_implINS0_14default_configELb0EPKdPdPKlPlN2at6native12_GLOBAL__N_18offset_tEEE10hipError_tPvRmT1_PNSt15iterator_traitsIS12_E10value_typeET2_T3_PNS13_IS18_E10value_typeET4_jRbjT5_S1E_jjP12ihipStream_tbEUljE_ZNSN_ISO_Lb0ESQ_SR_ST_SU_SY_EESZ_S10_S11_S12_S16_S17_S18_S1B_S1C_jS1D_jS1E_S1E_jjS1G_bEUljE0_EEESZ_S10_S11_S18_S1C_S1E_T6_T7_T9_mT8_S1G_bDpT10_ENKUlT_T0_E_clISt17integral_constantIbLb0EES1U_EEDaS1P_S1Q_EUlS1P_E_NS1_11comp_targetILNS1_3genE10ELNS1_11target_archE1200ELNS1_3gpuE4ELNS1_3repE0EEENS1_30default_config_static_selectorELNS0_4arch9wavefront6targetE0EEEvS12_.private_seg_size, 0
	.set _ZN7rocprim17ROCPRIM_400000_NS6detail17trampoline_kernelINS0_13select_configILj256ELj13ELNS0_17block_load_methodE3ELS4_3ELS4_3ELNS0_20block_scan_algorithmE0ELj4294967295EEENS1_25partition_config_selectorILNS1_17partition_subalgoE4EjNS0_10empty_typeEbEEZZNS1_14partition_implILS8_4ELb0ES6_15HIP_vector_typeIjLj2EENS0_17counting_iteratorIjlEEPS9_SG_NS0_5tupleIJPjSI_NS0_16reverse_iteratorISI_EEEEENSH_IJSG_SG_SG_EEES9_SI_JZNS1_25segmented_radix_sort_implINS0_14default_configELb0EPKdPdPKlPlN2at6native12_GLOBAL__N_18offset_tEEE10hipError_tPvRmT1_PNSt15iterator_traitsIS12_E10value_typeET2_T3_PNS13_IS18_E10value_typeET4_jRbjT5_S1E_jjP12ihipStream_tbEUljE_ZNSN_ISO_Lb0ESQ_SR_ST_SU_SY_EESZ_S10_S11_S12_S16_S17_S18_S1B_S1C_jS1D_jS1E_S1E_jjS1G_bEUljE0_EEESZ_S10_S11_S18_S1C_S1E_T6_T7_T9_mT8_S1G_bDpT10_ENKUlT_T0_E_clISt17integral_constantIbLb0EES1U_EEDaS1P_S1Q_EUlS1P_E_NS1_11comp_targetILNS1_3genE10ELNS1_11target_archE1200ELNS1_3gpuE4ELNS1_3repE0EEENS1_30default_config_static_selectorELNS0_4arch9wavefront6targetE0EEEvS12_.uses_vcc, 0
	.set _ZN7rocprim17ROCPRIM_400000_NS6detail17trampoline_kernelINS0_13select_configILj256ELj13ELNS0_17block_load_methodE3ELS4_3ELS4_3ELNS0_20block_scan_algorithmE0ELj4294967295EEENS1_25partition_config_selectorILNS1_17partition_subalgoE4EjNS0_10empty_typeEbEEZZNS1_14partition_implILS8_4ELb0ES6_15HIP_vector_typeIjLj2EENS0_17counting_iteratorIjlEEPS9_SG_NS0_5tupleIJPjSI_NS0_16reverse_iteratorISI_EEEEENSH_IJSG_SG_SG_EEES9_SI_JZNS1_25segmented_radix_sort_implINS0_14default_configELb0EPKdPdPKlPlN2at6native12_GLOBAL__N_18offset_tEEE10hipError_tPvRmT1_PNSt15iterator_traitsIS12_E10value_typeET2_T3_PNS13_IS18_E10value_typeET4_jRbjT5_S1E_jjP12ihipStream_tbEUljE_ZNSN_ISO_Lb0ESQ_SR_ST_SU_SY_EESZ_S10_S11_S12_S16_S17_S18_S1B_S1C_jS1D_jS1E_S1E_jjS1G_bEUljE0_EEESZ_S10_S11_S18_S1C_S1E_T6_T7_T9_mT8_S1G_bDpT10_ENKUlT_T0_E_clISt17integral_constantIbLb0EES1U_EEDaS1P_S1Q_EUlS1P_E_NS1_11comp_targetILNS1_3genE10ELNS1_11target_archE1200ELNS1_3gpuE4ELNS1_3repE0EEENS1_30default_config_static_selectorELNS0_4arch9wavefront6targetE0EEEvS12_.uses_flat_scratch, 0
	.set _ZN7rocprim17ROCPRIM_400000_NS6detail17trampoline_kernelINS0_13select_configILj256ELj13ELNS0_17block_load_methodE3ELS4_3ELS4_3ELNS0_20block_scan_algorithmE0ELj4294967295EEENS1_25partition_config_selectorILNS1_17partition_subalgoE4EjNS0_10empty_typeEbEEZZNS1_14partition_implILS8_4ELb0ES6_15HIP_vector_typeIjLj2EENS0_17counting_iteratorIjlEEPS9_SG_NS0_5tupleIJPjSI_NS0_16reverse_iteratorISI_EEEEENSH_IJSG_SG_SG_EEES9_SI_JZNS1_25segmented_radix_sort_implINS0_14default_configELb0EPKdPdPKlPlN2at6native12_GLOBAL__N_18offset_tEEE10hipError_tPvRmT1_PNSt15iterator_traitsIS12_E10value_typeET2_T3_PNS13_IS18_E10value_typeET4_jRbjT5_S1E_jjP12ihipStream_tbEUljE_ZNSN_ISO_Lb0ESQ_SR_ST_SU_SY_EESZ_S10_S11_S12_S16_S17_S18_S1B_S1C_jS1D_jS1E_S1E_jjS1G_bEUljE0_EEESZ_S10_S11_S18_S1C_S1E_T6_T7_T9_mT8_S1G_bDpT10_ENKUlT_T0_E_clISt17integral_constantIbLb0EES1U_EEDaS1P_S1Q_EUlS1P_E_NS1_11comp_targetILNS1_3genE10ELNS1_11target_archE1200ELNS1_3gpuE4ELNS1_3repE0EEENS1_30default_config_static_selectorELNS0_4arch9wavefront6targetE0EEEvS12_.has_dyn_sized_stack, 0
	.set _ZN7rocprim17ROCPRIM_400000_NS6detail17trampoline_kernelINS0_13select_configILj256ELj13ELNS0_17block_load_methodE3ELS4_3ELS4_3ELNS0_20block_scan_algorithmE0ELj4294967295EEENS1_25partition_config_selectorILNS1_17partition_subalgoE4EjNS0_10empty_typeEbEEZZNS1_14partition_implILS8_4ELb0ES6_15HIP_vector_typeIjLj2EENS0_17counting_iteratorIjlEEPS9_SG_NS0_5tupleIJPjSI_NS0_16reverse_iteratorISI_EEEEENSH_IJSG_SG_SG_EEES9_SI_JZNS1_25segmented_radix_sort_implINS0_14default_configELb0EPKdPdPKlPlN2at6native12_GLOBAL__N_18offset_tEEE10hipError_tPvRmT1_PNSt15iterator_traitsIS12_E10value_typeET2_T3_PNS13_IS18_E10value_typeET4_jRbjT5_S1E_jjP12ihipStream_tbEUljE_ZNSN_ISO_Lb0ESQ_SR_ST_SU_SY_EESZ_S10_S11_S12_S16_S17_S18_S1B_S1C_jS1D_jS1E_S1E_jjS1G_bEUljE0_EEESZ_S10_S11_S18_S1C_S1E_T6_T7_T9_mT8_S1G_bDpT10_ENKUlT_T0_E_clISt17integral_constantIbLb0EES1U_EEDaS1P_S1Q_EUlS1P_E_NS1_11comp_targetILNS1_3genE10ELNS1_11target_archE1200ELNS1_3gpuE4ELNS1_3repE0EEENS1_30default_config_static_selectorELNS0_4arch9wavefront6targetE0EEEvS12_.has_recursion, 0
	.set _ZN7rocprim17ROCPRIM_400000_NS6detail17trampoline_kernelINS0_13select_configILj256ELj13ELNS0_17block_load_methodE3ELS4_3ELS4_3ELNS0_20block_scan_algorithmE0ELj4294967295EEENS1_25partition_config_selectorILNS1_17partition_subalgoE4EjNS0_10empty_typeEbEEZZNS1_14partition_implILS8_4ELb0ES6_15HIP_vector_typeIjLj2EENS0_17counting_iteratorIjlEEPS9_SG_NS0_5tupleIJPjSI_NS0_16reverse_iteratorISI_EEEEENSH_IJSG_SG_SG_EEES9_SI_JZNS1_25segmented_radix_sort_implINS0_14default_configELb0EPKdPdPKlPlN2at6native12_GLOBAL__N_18offset_tEEE10hipError_tPvRmT1_PNSt15iterator_traitsIS12_E10value_typeET2_T3_PNS13_IS18_E10value_typeET4_jRbjT5_S1E_jjP12ihipStream_tbEUljE_ZNSN_ISO_Lb0ESQ_SR_ST_SU_SY_EESZ_S10_S11_S12_S16_S17_S18_S1B_S1C_jS1D_jS1E_S1E_jjS1G_bEUljE0_EEESZ_S10_S11_S18_S1C_S1E_T6_T7_T9_mT8_S1G_bDpT10_ENKUlT_T0_E_clISt17integral_constantIbLb0EES1U_EEDaS1P_S1Q_EUlS1P_E_NS1_11comp_targetILNS1_3genE10ELNS1_11target_archE1200ELNS1_3gpuE4ELNS1_3repE0EEENS1_30default_config_static_selectorELNS0_4arch9wavefront6targetE0EEEvS12_.has_indirect_call, 0
	.section	.AMDGPU.csdata,"",@progbits
; Kernel info:
; codeLenInByte = 0
; TotalNumSgprs: 0
; NumVgprs: 0
; ScratchSize: 0
; MemoryBound: 0
; FloatMode: 240
; IeeeMode: 1
; LDSByteSize: 0 bytes/workgroup (compile time only)
; SGPRBlocks: 0
; VGPRBlocks: 0
; NumSGPRsForWavesPerEU: 1
; NumVGPRsForWavesPerEU: 1
; NamedBarCnt: 0
; Occupancy: 16
; WaveLimiterHint : 0
; COMPUTE_PGM_RSRC2:SCRATCH_EN: 0
; COMPUTE_PGM_RSRC2:USER_SGPR: 2
; COMPUTE_PGM_RSRC2:TRAP_HANDLER: 0
; COMPUTE_PGM_RSRC2:TGID_X_EN: 1
; COMPUTE_PGM_RSRC2:TGID_Y_EN: 0
; COMPUTE_PGM_RSRC2:TGID_Z_EN: 0
; COMPUTE_PGM_RSRC2:TIDIG_COMP_CNT: 0
	.section	.text._ZN7rocprim17ROCPRIM_400000_NS6detail17trampoline_kernelINS0_13select_configILj256ELj13ELNS0_17block_load_methodE3ELS4_3ELS4_3ELNS0_20block_scan_algorithmE0ELj4294967295EEENS1_25partition_config_selectorILNS1_17partition_subalgoE4EjNS0_10empty_typeEbEEZZNS1_14partition_implILS8_4ELb0ES6_15HIP_vector_typeIjLj2EENS0_17counting_iteratorIjlEEPS9_SG_NS0_5tupleIJPjSI_NS0_16reverse_iteratorISI_EEEEENSH_IJSG_SG_SG_EEES9_SI_JZNS1_25segmented_radix_sort_implINS0_14default_configELb0EPKdPdPKlPlN2at6native12_GLOBAL__N_18offset_tEEE10hipError_tPvRmT1_PNSt15iterator_traitsIS12_E10value_typeET2_T3_PNS13_IS18_E10value_typeET4_jRbjT5_S1E_jjP12ihipStream_tbEUljE_ZNSN_ISO_Lb0ESQ_SR_ST_SU_SY_EESZ_S10_S11_S12_S16_S17_S18_S1B_S1C_jS1D_jS1E_S1E_jjS1G_bEUljE0_EEESZ_S10_S11_S18_S1C_S1E_T6_T7_T9_mT8_S1G_bDpT10_ENKUlT_T0_E_clISt17integral_constantIbLb0EES1U_EEDaS1P_S1Q_EUlS1P_E_NS1_11comp_targetILNS1_3genE9ELNS1_11target_archE1100ELNS1_3gpuE3ELNS1_3repE0EEENS1_30default_config_static_selectorELNS0_4arch9wavefront6targetE0EEEvS12_,"axG",@progbits,_ZN7rocprim17ROCPRIM_400000_NS6detail17trampoline_kernelINS0_13select_configILj256ELj13ELNS0_17block_load_methodE3ELS4_3ELS4_3ELNS0_20block_scan_algorithmE0ELj4294967295EEENS1_25partition_config_selectorILNS1_17partition_subalgoE4EjNS0_10empty_typeEbEEZZNS1_14partition_implILS8_4ELb0ES6_15HIP_vector_typeIjLj2EENS0_17counting_iteratorIjlEEPS9_SG_NS0_5tupleIJPjSI_NS0_16reverse_iteratorISI_EEEEENSH_IJSG_SG_SG_EEES9_SI_JZNS1_25segmented_radix_sort_implINS0_14default_configELb0EPKdPdPKlPlN2at6native12_GLOBAL__N_18offset_tEEE10hipError_tPvRmT1_PNSt15iterator_traitsIS12_E10value_typeET2_T3_PNS13_IS18_E10value_typeET4_jRbjT5_S1E_jjP12ihipStream_tbEUljE_ZNSN_ISO_Lb0ESQ_SR_ST_SU_SY_EESZ_S10_S11_S12_S16_S17_S18_S1B_S1C_jS1D_jS1E_S1E_jjS1G_bEUljE0_EEESZ_S10_S11_S18_S1C_S1E_T6_T7_T9_mT8_S1G_bDpT10_ENKUlT_T0_E_clISt17integral_constantIbLb0EES1U_EEDaS1P_S1Q_EUlS1P_E_NS1_11comp_targetILNS1_3genE9ELNS1_11target_archE1100ELNS1_3gpuE3ELNS1_3repE0EEENS1_30default_config_static_selectorELNS0_4arch9wavefront6targetE0EEEvS12_,comdat
	.globl	_ZN7rocprim17ROCPRIM_400000_NS6detail17trampoline_kernelINS0_13select_configILj256ELj13ELNS0_17block_load_methodE3ELS4_3ELS4_3ELNS0_20block_scan_algorithmE0ELj4294967295EEENS1_25partition_config_selectorILNS1_17partition_subalgoE4EjNS0_10empty_typeEbEEZZNS1_14partition_implILS8_4ELb0ES6_15HIP_vector_typeIjLj2EENS0_17counting_iteratorIjlEEPS9_SG_NS0_5tupleIJPjSI_NS0_16reverse_iteratorISI_EEEEENSH_IJSG_SG_SG_EEES9_SI_JZNS1_25segmented_radix_sort_implINS0_14default_configELb0EPKdPdPKlPlN2at6native12_GLOBAL__N_18offset_tEEE10hipError_tPvRmT1_PNSt15iterator_traitsIS12_E10value_typeET2_T3_PNS13_IS18_E10value_typeET4_jRbjT5_S1E_jjP12ihipStream_tbEUljE_ZNSN_ISO_Lb0ESQ_SR_ST_SU_SY_EESZ_S10_S11_S12_S16_S17_S18_S1B_S1C_jS1D_jS1E_S1E_jjS1G_bEUljE0_EEESZ_S10_S11_S18_S1C_S1E_T6_T7_T9_mT8_S1G_bDpT10_ENKUlT_T0_E_clISt17integral_constantIbLb0EES1U_EEDaS1P_S1Q_EUlS1P_E_NS1_11comp_targetILNS1_3genE9ELNS1_11target_archE1100ELNS1_3gpuE3ELNS1_3repE0EEENS1_30default_config_static_selectorELNS0_4arch9wavefront6targetE0EEEvS12_ ; -- Begin function _ZN7rocprim17ROCPRIM_400000_NS6detail17trampoline_kernelINS0_13select_configILj256ELj13ELNS0_17block_load_methodE3ELS4_3ELS4_3ELNS0_20block_scan_algorithmE0ELj4294967295EEENS1_25partition_config_selectorILNS1_17partition_subalgoE4EjNS0_10empty_typeEbEEZZNS1_14partition_implILS8_4ELb0ES6_15HIP_vector_typeIjLj2EENS0_17counting_iteratorIjlEEPS9_SG_NS0_5tupleIJPjSI_NS0_16reverse_iteratorISI_EEEEENSH_IJSG_SG_SG_EEES9_SI_JZNS1_25segmented_radix_sort_implINS0_14default_configELb0EPKdPdPKlPlN2at6native12_GLOBAL__N_18offset_tEEE10hipError_tPvRmT1_PNSt15iterator_traitsIS12_E10value_typeET2_T3_PNS13_IS18_E10value_typeET4_jRbjT5_S1E_jjP12ihipStream_tbEUljE_ZNSN_ISO_Lb0ESQ_SR_ST_SU_SY_EESZ_S10_S11_S12_S16_S17_S18_S1B_S1C_jS1D_jS1E_S1E_jjS1G_bEUljE0_EEESZ_S10_S11_S18_S1C_S1E_T6_T7_T9_mT8_S1G_bDpT10_ENKUlT_T0_E_clISt17integral_constantIbLb0EES1U_EEDaS1P_S1Q_EUlS1P_E_NS1_11comp_targetILNS1_3genE9ELNS1_11target_archE1100ELNS1_3gpuE3ELNS1_3repE0EEENS1_30default_config_static_selectorELNS0_4arch9wavefront6targetE0EEEvS12_
	.p2align	8
	.type	_ZN7rocprim17ROCPRIM_400000_NS6detail17trampoline_kernelINS0_13select_configILj256ELj13ELNS0_17block_load_methodE3ELS4_3ELS4_3ELNS0_20block_scan_algorithmE0ELj4294967295EEENS1_25partition_config_selectorILNS1_17partition_subalgoE4EjNS0_10empty_typeEbEEZZNS1_14partition_implILS8_4ELb0ES6_15HIP_vector_typeIjLj2EENS0_17counting_iteratorIjlEEPS9_SG_NS0_5tupleIJPjSI_NS0_16reverse_iteratorISI_EEEEENSH_IJSG_SG_SG_EEES9_SI_JZNS1_25segmented_radix_sort_implINS0_14default_configELb0EPKdPdPKlPlN2at6native12_GLOBAL__N_18offset_tEEE10hipError_tPvRmT1_PNSt15iterator_traitsIS12_E10value_typeET2_T3_PNS13_IS18_E10value_typeET4_jRbjT5_S1E_jjP12ihipStream_tbEUljE_ZNSN_ISO_Lb0ESQ_SR_ST_SU_SY_EESZ_S10_S11_S12_S16_S17_S18_S1B_S1C_jS1D_jS1E_S1E_jjS1G_bEUljE0_EEESZ_S10_S11_S18_S1C_S1E_T6_T7_T9_mT8_S1G_bDpT10_ENKUlT_T0_E_clISt17integral_constantIbLb0EES1U_EEDaS1P_S1Q_EUlS1P_E_NS1_11comp_targetILNS1_3genE9ELNS1_11target_archE1100ELNS1_3gpuE3ELNS1_3repE0EEENS1_30default_config_static_selectorELNS0_4arch9wavefront6targetE0EEEvS12_,@function
_ZN7rocprim17ROCPRIM_400000_NS6detail17trampoline_kernelINS0_13select_configILj256ELj13ELNS0_17block_load_methodE3ELS4_3ELS4_3ELNS0_20block_scan_algorithmE0ELj4294967295EEENS1_25partition_config_selectorILNS1_17partition_subalgoE4EjNS0_10empty_typeEbEEZZNS1_14partition_implILS8_4ELb0ES6_15HIP_vector_typeIjLj2EENS0_17counting_iteratorIjlEEPS9_SG_NS0_5tupleIJPjSI_NS0_16reverse_iteratorISI_EEEEENSH_IJSG_SG_SG_EEES9_SI_JZNS1_25segmented_radix_sort_implINS0_14default_configELb0EPKdPdPKlPlN2at6native12_GLOBAL__N_18offset_tEEE10hipError_tPvRmT1_PNSt15iterator_traitsIS12_E10value_typeET2_T3_PNS13_IS18_E10value_typeET4_jRbjT5_S1E_jjP12ihipStream_tbEUljE_ZNSN_ISO_Lb0ESQ_SR_ST_SU_SY_EESZ_S10_S11_S12_S16_S17_S18_S1B_S1C_jS1D_jS1E_S1E_jjS1G_bEUljE0_EEESZ_S10_S11_S18_S1C_S1E_T6_T7_T9_mT8_S1G_bDpT10_ENKUlT_T0_E_clISt17integral_constantIbLb0EES1U_EEDaS1P_S1Q_EUlS1P_E_NS1_11comp_targetILNS1_3genE9ELNS1_11target_archE1100ELNS1_3gpuE3ELNS1_3repE0EEENS1_30default_config_static_selectorELNS0_4arch9wavefront6targetE0EEEvS12_: ; @_ZN7rocprim17ROCPRIM_400000_NS6detail17trampoline_kernelINS0_13select_configILj256ELj13ELNS0_17block_load_methodE3ELS4_3ELS4_3ELNS0_20block_scan_algorithmE0ELj4294967295EEENS1_25partition_config_selectorILNS1_17partition_subalgoE4EjNS0_10empty_typeEbEEZZNS1_14partition_implILS8_4ELb0ES6_15HIP_vector_typeIjLj2EENS0_17counting_iteratorIjlEEPS9_SG_NS0_5tupleIJPjSI_NS0_16reverse_iteratorISI_EEEEENSH_IJSG_SG_SG_EEES9_SI_JZNS1_25segmented_radix_sort_implINS0_14default_configELb0EPKdPdPKlPlN2at6native12_GLOBAL__N_18offset_tEEE10hipError_tPvRmT1_PNSt15iterator_traitsIS12_E10value_typeET2_T3_PNS13_IS18_E10value_typeET4_jRbjT5_S1E_jjP12ihipStream_tbEUljE_ZNSN_ISO_Lb0ESQ_SR_ST_SU_SY_EESZ_S10_S11_S12_S16_S17_S18_S1B_S1C_jS1D_jS1E_S1E_jjS1G_bEUljE0_EEESZ_S10_S11_S18_S1C_S1E_T6_T7_T9_mT8_S1G_bDpT10_ENKUlT_T0_E_clISt17integral_constantIbLb0EES1U_EEDaS1P_S1Q_EUlS1P_E_NS1_11comp_targetILNS1_3genE9ELNS1_11target_archE1100ELNS1_3gpuE3ELNS1_3repE0EEENS1_30default_config_static_selectorELNS0_4arch9wavefront6targetE0EEEvS12_
; %bb.0:
	.section	.rodata,"a",@progbits
	.p2align	6, 0x0
	.amdhsa_kernel _ZN7rocprim17ROCPRIM_400000_NS6detail17trampoline_kernelINS0_13select_configILj256ELj13ELNS0_17block_load_methodE3ELS4_3ELS4_3ELNS0_20block_scan_algorithmE0ELj4294967295EEENS1_25partition_config_selectorILNS1_17partition_subalgoE4EjNS0_10empty_typeEbEEZZNS1_14partition_implILS8_4ELb0ES6_15HIP_vector_typeIjLj2EENS0_17counting_iteratorIjlEEPS9_SG_NS0_5tupleIJPjSI_NS0_16reverse_iteratorISI_EEEEENSH_IJSG_SG_SG_EEES9_SI_JZNS1_25segmented_radix_sort_implINS0_14default_configELb0EPKdPdPKlPlN2at6native12_GLOBAL__N_18offset_tEEE10hipError_tPvRmT1_PNSt15iterator_traitsIS12_E10value_typeET2_T3_PNS13_IS18_E10value_typeET4_jRbjT5_S1E_jjP12ihipStream_tbEUljE_ZNSN_ISO_Lb0ESQ_SR_ST_SU_SY_EESZ_S10_S11_S12_S16_S17_S18_S1B_S1C_jS1D_jS1E_S1E_jjS1G_bEUljE0_EEESZ_S10_S11_S18_S1C_S1E_T6_T7_T9_mT8_S1G_bDpT10_ENKUlT_T0_E_clISt17integral_constantIbLb0EES1U_EEDaS1P_S1Q_EUlS1P_E_NS1_11comp_targetILNS1_3genE9ELNS1_11target_archE1100ELNS1_3gpuE3ELNS1_3repE0EEENS1_30default_config_static_selectorELNS0_4arch9wavefront6targetE0EEEvS12_
		.amdhsa_group_segment_fixed_size 0
		.amdhsa_private_segment_fixed_size 0
		.amdhsa_kernarg_size 176
		.amdhsa_user_sgpr_count 2
		.amdhsa_user_sgpr_dispatch_ptr 0
		.amdhsa_user_sgpr_queue_ptr 0
		.amdhsa_user_sgpr_kernarg_segment_ptr 1
		.amdhsa_user_sgpr_dispatch_id 0
		.amdhsa_user_sgpr_kernarg_preload_length 0
		.amdhsa_user_sgpr_kernarg_preload_offset 0
		.amdhsa_user_sgpr_private_segment_size 0
		.amdhsa_wavefront_size32 1
		.amdhsa_uses_dynamic_stack 0
		.amdhsa_enable_private_segment 0
		.amdhsa_system_sgpr_workgroup_id_x 1
		.amdhsa_system_sgpr_workgroup_id_y 0
		.amdhsa_system_sgpr_workgroup_id_z 0
		.amdhsa_system_sgpr_workgroup_info 0
		.amdhsa_system_vgpr_workitem_id 0
		.amdhsa_next_free_vgpr 1
		.amdhsa_next_free_sgpr 1
		.amdhsa_named_barrier_count 0
		.amdhsa_reserve_vcc 0
		.amdhsa_float_round_mode_32 0
		.amdhsa_float_round_mode_16_64 0
		.amdhsa_float_denorm_mode_32 3
		.amdhsa_float_denorm_mode_16_64 3
		.amdhsa_fp16_overflow 0
		.amdhsa_memory_ordered 1
		.amdhsa_forward_progress 1
		.amdhsa_inst_pref_size 0
		.amdhsa_round_robin_scheduling 0
		.amdhsa_exception_fp_ieee_invalid_op 0
		.amdhsa_exception_fp_denorm_src 0
		.amdhsa_exception_fp_ieee_div_zero 0
		.amdhsa_exception_fp_ieee_overflow 0
		.amdhsa_exception_fp_ieee_underflow 0
		.amdhsa_exception_fp_ieee_inexact 0
		.amdhsa_exception_int_div_zero 0
	.end_amdhsa_kernel
	.section	.text._ZN7rocprim17ROCPRIM_400000_NS6detail17trampoline_kernelINS0_13select_configILj256ELj13ELNS0_17block_load_methodE3ELS4_3ELS4_3ELNS0_20block_scan_algorithmE0ELj4294967295EEENS1_25partition_config_selectorILNS1_17partition_subalgoE4EjNS0_10empty_typeEbEEZZNS1_14partition_implILS8_4ELb0ES6_15HIP_vector_typeIjLj2EENS0_17counting_iteratorIjlEEPS9_SG_NS0_5tupleIJPjSI_NS0_16reverse_iteratorISI_EEEEENSH_IJSG_SG_SG_EEES9_SI_JZNS1_25segmented_radix_sort_implINS0_14default_configELb0EPKdPdPKlPlN2at6native12_GLOBAL__N_18offset_tEEE10hipError_tPvRmT1_PNSt15iterator_traitsIS12_E10value_typeET2_T3_PNS13_IS18_E10value_typeET4_jRbjT5_S1E_jjP12ihipStream_tbEUljE_ZNSN_ISO_Lb0ESQ_SR_ST_SU_SY_EESZ_S10_S11_S12_S16_S17_S18_S1B_S1C_jS1D_jS1E_S1E_jjS1G_bEUljE0_EEESZ_S10_S11_S18_S1C_S1E_T6_T7_T9_mT8_S1G_bDpT10_ENKUlT_T0_E_clISt17integral_constantIbLb0EES1U_EEDaS1P_S1Q_EUlS1P_E_NS1_11comp_targetILNS1_3genE9ELNS1_11target_archE1100ELNS1_3gpuE3ELNS1_3repE0EEENS1_30default_config_static_selectorELNS0_4arch9wavefront6targetE0EEEvS12_,"axG",@progbits,_ZN7rocprim17ROCPRIM_400000_NS6detail17trampoline_kernelINS0_13select_configILj256ELj13ELNS0_17block_load_methodE3ELS4_3ELS4_3ELNS0_20block_scan_algorithmE0ELj4294967295EEENS1_25partition_config_selectorILNS1_17partition_subalgoE4EjNS0_10empty_typeEbEEZZNS1_14partition_implILS8_4ELb0ES6_15HIP_vector_typeIjLj2EENS0_17counting_iteratorIjlEEPS9_SG_NS0_5tupleIJPjSI_NS0_16reverse_iteratorISI_EEEEENSH_IJSG_SG_SG_EEES9_SI_JZNS1_25segmented_radix_sort_implINS0_14default_configELb0EPKdPdPKlPlN2at6native12_GLOBAL__N_18offset_tEEE10hipError_tPvRmT1_PNSt15iterator_traitsIS12_E10value_typeET2_T3_PNS13_IS18_E10value_typeET4_jRbjT5_S1E_jjP12ihipStream_tbEUljE_ZNSN_ISO_Lb0ESQ_SR_ST_SU_SY_EESZ_S10_S11_S12_S16_S17_S18_S1B_S1C_jS1D_jS1E_S1E_jjS1G_bEUljE0_EEESZ_S10_S11_S18_S1C_S1E_T6_T7_T9_mT8_S1G_bDpT10_ENKUlT_T0_E_clISt17integral_constantIbLb0EES1U_EEDaS1P_S1Q_EUlS1P_E_NS1_11comp_targetILNS1_3genE9ELNS1_11target_archE1100ELNS1_3gpuE3ELNS1_3repE0EEENS1_30default_config_static_selectorELNS0_4arch9wavefront6targetE0EEEvS12_,comdat
.Lfunc_end1157:
	.size	_ZN7rocprim17ROCPRIM_400000_NS6detail17trampoline_kernelINS0_13select_configILj256ELj13ELNS0_17block_load_methodE3ELS4_3ELS4_3ELNS0_20block_scan_algorithmE0ELj4294967295EEENS1_25partition_config_selectorILNS1_17partition_subalgoE4EjNS0_10empty_typeEbEEZZNS1_14partition_implILS8_4ELb0ES6_15HIP_vector_typeIjLj2EENS0_17counting_iteratorIjlEEPS9_SG_NS0_5tupleIJPjSI_NS0_16reverse_iteratorISI_EEEEENSH_IJSG_SG_SG_EEES9_SI_JZNS1_25segmented_radix_sort_implINS0_14default_configELb0EPKdPdPKlPlN2at6native12_GLOBAL__N_18offset_tEEE10hipError_tPvRmT1_PNSt15iterator_traitsIS12_E10value_typeET2_T3_PNS13_IS18_E10value_typeET4_jRbjT5_S1E_jjP12ihipStream_tbEUljE_ZNSN_ISO_Lb0ESQ_SR_ST_SU_SY_EESZ_S10_S11_S12_S16_S17_S18_S1B_S1C_jS1D_jS1E_S1E_jjS1G_bEUljE0_EEESZ_S10_S11_S18_S1C_S1E_T6_T7_T9_mT8_S1G_bDpT10_ENKUlT_T0_E_clISt17integral_constantIbLb0EES1U_EEDaS1P_S1Q_EUlS1P_E_NS1_11comp_targetILNS1_3genE9ELNS1_11target_archE1100ELNS1_3gpuE3ELNS1_3repE0EEENS1_30default_config_static_selectorELNS0_4arch9wavefront6targetE0EEEvS12_, .Lfunc_end1157-_ZN7rocprim17ROCPRIM_400000_NS6detail17trampoline_kernelINS0_13select_configILj256ELj13ELNS0_17block_load_methodE3ELS4_3ELS4_3ELNS0_20block_scan_algorithmE0ELj4294967295EEENS1_25partition_config_selectorILNS1_17partition_subalgoE4EjNS0_10empty_typeEbEEZZNS1_14partition_implILS8_4ELb0ES6_15HIP_vector_typeIjLj2EENS0_17counting_iteratorIjlEEPS9_SG_NS0_5tupleIJPjSI_NS0_16reverse_iteratorISI_EEEEENSH_IJSG_SG_SG_EEES9_SI_JZNS1_25segmented_radix_sort_implINS0_14default_configELb0EPKdPdPKlPlN2at6native12_GLOBAL__N_18offset_tEEE10hipError_tPvRmT1_PNSt15iterator_traitsIS12_E10value_typeET2_T3_PNS13_IS18_E10value_typeET4_jRbjT5_S1E_jjP12ihipStream_tbEUljE_ZNSN_ISO_Lb0ESQ_SR_ST_SU_SY_EESZ_S10_S11_S12_S16_S17_S18_S1B_S1C_jS1D_jS1E_S1E_jjS1G_bEUljE0_EEESZ_S10_S11_S18_S1C_S1E_T6_T7_T9_mT8_S1G_bDpT10_ENKUlT_T0_E_clISt17integral_constantIbLb0EES1U_EEDaS1P_S1Q_EUlS1P_E_NS1_11comp_targetILNS1_3genE9ELNS1_11target_archE1100ELNS1_3gpuE3ELNS1_3repE0EEENS1_30default_config_static_selectorELNS0_4arch9wavefront6targetE0EEEvS12_
                                        ; -- End function
	.set _ZN7rocprim17ROCPRIM_400000_NS6detail17trampoline_kernelINS0_13select_configILj256ELj13ELNS0_17block_load_methodE3ELS4_3ELS4_3ELNS0_20block_scan_algorithmE0ELj4294967295EEENS1_25partition_config_selectorILNS1_17partition_subalgoE4EjNS0_10empty_typeEbEEZZNS1_14partition_implILS8_4ELb0ES6_15HIP_vector_typeIjLj2EENS0_17counting_iteratorIjlEEPS9_SG_NS0_5tupleIJPjSI_NS0_16reverse_iteratorISI_EEEEENSH_IJSG_SG_SG_EEES9_SI_JZNS1_25segmented_radix_sort_implINS0_14default_configELb0EPKdPdPKlPlN2at6native12_GLOBAL__N_18offset_tEEE10hipError_tPvRmT1_PNSt15iterator_traitsIS12_E10value_typeET2_T3_PNS13_IS18_E10value_typeET4_jRbjT5_S1E_jjP12ihipStream_tbEUljE_ZNSN_ISO_Lb0ESQ_SR_ST_SU_SY_EESZ_S10_S11_S12_S16_S17_S18_S1B_S1C_jS1D_jS1E_S1E_jjS1G_bEUljE0_EEESZ_S10_S11_S18_S1C_S1E_T6_T7_T9_mT8_S1G_bDpT10_ENKUlT_T0_E_clISt17integral_constantIbLb0EES1U_EEDaS1P_S1Q_EUlS1P_E_NS1_11comp_targetILNS1_3genE9ELNS1_11target_archE1100ELNS1_3gpuE3ELNS1_3repE0EEENS1_30default_config_static_selectorELNS0_4arch9wavefront6targetE0EEEvS12_.num_vgpr, 0
	.set _ZN7rocprim17ROCPRIM_400000_NS6detail17trampoline_kernelINS0_13select_configILj256ELj13ELNS0_17block_load_methodE3ELS4_3ELS4_3ELNS0_20block_scan_algorithmE0ELj4294967295EEENS1_25partition_config_selectorILNS1_17partition_subalgoE4EjNS0_10empty_typeEbEEZZNS1_14partition_implILS8_4ELb0ES6_15HIP_vector_typeIjLj2EENS0_17counting_iteratorIjlEEPS9_SG_NS0_5tupleIJPjSI_NS0_16reverse_iteratorISI_EEEEENSH_IJSG_SG_SG_EEES9_SI_JZNS1_25segmented_radix_sort_implINS0_14default_configELb0EPKdPdPKlPlN2at6native12_GLOBAL__N_18offset_tEEE10hipError_tPvRmT1_PNSt15iterator_traitsIS12_E10value_typeET2_T3_PNS13_IS18_E10value_typeET4_jRbjT5_S1E_jjP12ihipStream_tbEUljE_ZNSN_ISO_Lb0ESQ_SR_ST_SU_SY_EESZ_S10_S11_S12_S16_S17_S18_S1B_S1C_jS1D_jS1E_S1E_jjS1G_bEUljE0_EEESZ_S10_S11_S18_S1C_S1E_T6_T7_T9_mT8_S1G_bDpT10_ENKUlT_T0_E_clISt17integral_constantIbLb0EES1U_EEDaS1P_S1Q_EUlS1P_E_NS1_11comp_targetILNS1_3genE9ELNS1_11target_archE1100ELNS1_3gpuE3ELNS1_3repE0EEENS1_30default_config_static_selectorELNS0_4arch9wavefront6targetE0EEEvS12_.num_agpr, 0
	.set _ZN7rocprim17ROCPRIM_400000_NS6detail17trampoline_kernelINS0_13select_configILj256ELj13ELNS0_17block_load_methodE3ELS4_3ELS4_3ELNS0_20block_scan_algorithmE0ELj4294967295EEENS1_25partition_config_selectorILNS1_17partition_subalgoE4EjNS0_10empty_typeEbEEZZNS1_14partition_implILS8_4ELb0ES6_15HIP_vector_typeIjLj2EENS0_17counting_iteratorIjlEEPS9_SG_NS0_5tupleIJPjSI_NS0_16reverse_iteratorISI_EEEEENSH_IJSG_SG_SG_EEES9_SI_JZNS1_25segmented_radix_sort_implINS0_14default_configELb0EPKdPdPKlPlN2at6native12_GLOBAL__N_18offset_tEEE10hipError_tPvRmT1_PNSt15iterator_traitsIS12_E10value_typeET2_T3_PNS13_IS18_E10value_typeET4_jRbjT5_S1E_jjP12ihipStream_tbEUljE_ZNSN_ISO_Lb0ESQ_SR_ST_SU_SY_EESZ_S10_S11_S12_S16_S17_S18_S1B_S1C_jS1D_jS1E_S1E_jjS1G_bEUljE0_EEESZ_S10_S11_S18_S1C_S1E_T6_T7_T9_mT8_S1G_bDpT10_ENKUlT_T0_E_clISt17integral_constantIbLb0EES1U_EEDaS1P_S1Q_EUlS1P_E_NS1_11comp_targetILNS1_3genE9ELNS1_11target_archE1100ELNS1_3gpuE3ELNS1_3repE0EEENS1_30default_config_static_selectorELNS0_4arch9wavefront6targetE0EEEvS12_.numbered_sgpr, 0
	.set _ZN7rocprim17ROCPRIM_400000_NS6detail17trampoline_kernelINS0_13select_configILj256ELj13ELNS0_17block_load_methodE3ELS4_3ELS4_3ELNS0_20block_scan_algorithmE0ELj4294967295EEENS1_25partition_config_selectorILNS1_17partition_subalgoE4EjNS0_10empty_typeEbEEZZNS1_14partition_implILS8_4ELb0ES6_15HIP_vector_typeIjLj2EENS0_17counting_iteratorIjlEEPS9_SG_NS0_5tupleIJPjSI_NS0_16reverse_iteratorISI_EEEEENSH_IJSG_SG_SG_EEES9_SI_JZNS1_25segmented_radix_sort_implINS0_14default_configELb0EPKdPdPKlPlN2at6native12_GLOBAL__N_18offset_tEEE10hipError_tPvRmT1_PNSt15iterator_traitsIS12_E10value_typeET2_T3_PNS13_IS18_E10value_typeET4_jRbjT5_S1E_jjP12ihipStream_tbEUljE_ZNSN_ISO_Lb0ESQ_SR_ST_SU_SY_EESZ_S10_S11_S12_S16_S17_S18_S1B_S1C_jS1D_jS1E_S1E_jjS1G_bEUljE0_EEESZ_S10_S11_S18_S1C_S1E_T6_T7_T9_mT8_S1G_bDpT10_ENKUlT_T0_E_clISt17integral_constantIbLb0EES1U_EEDaS1P_S1Q_EUlS1P_E_NS1_11comp_targetILNS1_3genE9ELNS1_11target_archE1100ELNS1_3gpuE3ELNS1_3repE0EEENS1_30default_config_static_selectorELNS0_4arch9wavefront6targetE0EEEvS12_.num_named_barrier, 0
	.set _ZN7rocprim17ROCPRIM_400000_NS6detail17trampoline_kernelINS0_13select_configILj256ELj13ELNS0_17block_load_methodE3ELS4_3ELS4_3ELNS0_20block_scan_algorithmE0ELj4294967295EEENS1_25partition_config_selectorILNS1_17partition_subalgoE4EjNS0_10empty_typeEbEEZZNS1_14partition_implILS8_4ELb0ES6_15HIP_vector_typeIjLj2EENS0_17counting_iteratorIjlEEPS9_SG_NS0_5tupleIJPjSI_NS0_16reverse_iteratorISI_EEEEENSH_IJSG_SG_SG_EEES9_SI_JZNS1_25segmented_radix_sort_implINS0_14default_configELb0EPKdPdPKlPlN2at6native12_GLOBAL__N_18offset_tEEE10hipError_tPvRmT1_PNSt15iterator_traitsIS12_E10value_typeET2_T3_PNS13_IS18_E10value_typeET4_jRbjT5_S1E_jjP12ihipStream_tbEUljE_ZNSN_ISO_Lb0ESQ_SR_ST_SU_SY_EESZ_S10_S11_S12_S16_S17_S18_S1B_S1C_jS1D_jS1E_S1E_jjS1G_bEUljE0_EEESZ_S10_S11_S18_S1C_S1E_T6_T7_T9_mT8_S1G_bDpT10_ENKUlT_T0_E_clISt17integral_constantIbLb0EES1U_EEDaS1P_S1Q_EUlS1P_E_NS1_11comp_targetILNS1_3genE9ELNS1_11target_archE1100ELNS1_3gpuE3ELNS1_3repE0EEENS1_30default_config_static_selectorELNS0_4arch9wavefront6targetE0EEEvS12_.private_seg_size, 0
	.set _ZN7rocprim17ROCPRIM_400000_NS6detail17trampoline_kernelINS0_13select_configILj256ELj13ELNS0_17block_load_methodE3ELS4_3ELS4_3ELNS0_20block_scan_algorithmE0ELj4294967295EEENS1_25partition_config_selectorILNS1_17partition_subalgoE4EjNS0_10empty_typeEbEEZZNS1_14partition_implILS8_4ELb0ES6_15HIP_vector_typeIjLj2EENS0_17counting_iteratorIjlEEPS9_SG_NS0_5tupleIJPjSI_NS0_16reverse_iteratorISI_EEEEENSH_IJSG_SG_SG_EEES9_SI_JZNS1_25segmented_radix_sort_implINS0_14default_configELb0EPKdPdPKlPlN2at6native12_GLOBAL__N_18offset_tEEE10hipError_tPvRmT1_PNSt15iterator_traitsIS12_E10value_typeET2_T3_PNS13_IS18_E10value_typeET4_jRbjT5_S1E_jjP12ihipStream_tbEUljE_ZNSN_ISO_Lb0ESQ_SR_ST_SU_SY_EESZ_S10_S11_S12_S16_S17_S18_S1B_S1C_jS1D_jS1E_S1E_jjS1G_bEUljE0_EEESZ_S10_S11_S18_S1C_S1E_T6_T7_T9_mT8_S1G_bDpT10_ENKUlT_T0_E_clISt17integral_constantIbLb0EES1U_EEDaS1P_S1Q_EUlS1P_E_NS1_11comp_targetILNS1_3genE9ELNS1_11target_archE1100ELNS1_3gpuE3ELNS1_3repE0EEENS1_30default_config_static_selectorELNS0_4arch9wavefront6targetE0EEEvS12_.uses_vcc, 0
	.set _ZN7rocprim17ROCPRIM_400000_NS6detail17trampoline_kernelINS0_13select_configILj256ELj13ELNS0_17block_load_methodE3ELS4_3ELS4_3ELNS0_20block_scan_algorithmE0ELj4294967295EEENS1_25partition_config_selectorILNS1_17partition_subalgoE4EjNS0_10empty_typeEbEEZZNS1_14partition_implILS8_4ELb0ES6_15HIP_vector_typeIjLj2EENS0_17counting_iteratorIjlEEPS9_SG_NS0_5tupleIJPjSI_NS0_16reverse_iteratorISI_EEEEENSH_IJSG_SG_SG_EEES9_SI_JZNS1_25segmented_radix_sort_implINS0_14default_configELb0EPKdPdPKlPlN2at6native12_GLOBAL__N_18offset_tEEE10hipError_tPvRmT1_PNSt15iterator_traitsIS12_E10value_typeET2_T3_PNS13_IS18_E10value_typeET4_jRbjT5_S1E_jjP12ihipStream_tbEUljE_ZNSN_ISO_Lb0ESQ_SR_ST_SU_SY_EESZ_S10_S11_S12_S16_S17_S18_S1B_S1C_jS1D_jS1E_S1E_jjS1G_bEUljE0_EEESZ_S10_S11_S18_S1C_S1E_T6_T7_T9_mT8_S1G_bDpT10_ENKUlT_T0_E_clISt17integral_constantIbLb0EES1U_EEDaS1P_S1Q_EUlS1P_E_NS1_11comp_targetILNS1_3genE9ELNS1_11target_archE1100ELNS1_3gpuE3ELNS1_3repE0EEENS1_30default_config_static_selectorELNS0_4arch9wavefront6targetE0EEEvS12_.uses_flat_scratch, 0
	.set _ZN7rocprim17ROCPRIM_400000_NS6detail17trampoline_kernelINS0_13select_configILj256ELj13ELNS0_17block_load_methodE3ELS4_3ELS4_3ELNS0_20block_scan_algorithmE0ELj4294967295EEENS1_25partition_config_selectorILNS1_17partition_subalgoE4EjNS0_10empty_typeEbEEZZNS1_14partition_implILS8_4ELb0ES6_15HIP_vector_typeIjLj2EENS0_17counting_iteratorIjlEEPS9_SG_NS0_5tupleIJPjSI_NS0_16reverse_iteratorISI_EEEEENSH_IJSG_SG_SG_EEES9_SI_JZNS1_25segmented_radix_sort_implINS0_14default_configELb0EPKdPdPKlPlN2at6native12_GLOBAL__N_18offset_tEEE10hipError_tPvRmT1_PNSt15iterator_traitsIS12_E10value_typeET2_T3_PNS13_IS18_E10value_typeET4_jRbjT5_S1E_jjP12ihipStream_tbEUljE_ZNSN_ISO_Lb0ESQ_SR_ST_SU_SY_EESZ_S10_S11_S12_S16_S17_S18_S1B_S1C_jS1D_jS1E_S1E_jjS1G_bEUljE0_EEESZ_S10_S11_S18_S1C_S1E_T6_T7_T9_mT8_S1G_bDpT10_ENKUlT_T0_E_clISt17integral_constantIbLb0EES1U_EEDaS1P_S1Q_EUlS1P_E_NS1_11comp_targetILNS1_3genE9ELNS1_11target_archE1100ELNS1_3gpuE3ELNS1_3repE0EEENS1_30default_config_static_selectorELNS0_4arch9wavefront6targetE0EEEvS12_.has_dyn_sized_stack, 0
	.set _ZN7rocprim17ROCPRIM_400000_NS6detail17trampoline_kernelINS0_13select_configILj256ELj13ELNS0_17block_load_methodE3ELS4_3ELS4_3ELNS0_20block_scan_algorithmE0ELj4294967295EEENS1_25partition_config_selectorILNS1_17partition_subalgoE4EjNS0_10empty_typeEbEEZZNS1_14partition_implILS8_4ELb0ES6_15HIP_vector_typeIjLj2EENS0_17counting_iteratorIjlEEPS9_SG_NS0_5tupleIJPjSI_NS0_16reverse_iteratorISI_EEEEENSH_IJSG_SG_SG_EEES9_SI_JZNS1_25segmented_radix_sort_implINS0_14default_configELb0EPKdPdPKlPlN2at6native12_GLOBAL__N_18offset_tEEE10hipError_tPvRmT1_PNSt15iterator_traitsIS12_E10value_typeET2_T3_PNS13_IS18_E10value_typeET4_jRbjT5_S1E_jjP12ihipStream_tbEUljE_ZNSN_ISO_Lb0ESQ_SR_ST_SU_SY_EESZ_S10_S11_S12_S16_S17_S18_S1B_S1C_jS1D_jS1E_S1E_jjS1G_bEUljE0_EEESZ_S10_S11_S18_S1C_S1E_T6_T7_T9_mT8_S1G_bDpT10_ENKUlT_T0_E_clISt17integral_constantIbLb0EES1U_EEDaS1P_S1Q_EUlS1P_E_NS1_11comp_targetILNS1_3genE9ELNS1_11target_archE1100ELNS1_3gpuE3ELNS1_3repE0EEENS1_30default_config_static_selectorELNS0_4arch9wavefront6targetE0EEEvS12_.has_recursion, 0
	.set _ZN7rocprim17ROCPRIM_400000_NS6detail17trampoline_kernelINS0_13select_configILj256ELj13ELNS0_17block_load_methodE3ELS4_3ELS4_3ELNS0_20block_scan_algorithmE0ELj4294967295EEENS1_25partition_config_selectorILNS1_17partition_subalgoE4EjNS0_10empty_typeEbEEZZNS1_14partition_implILS8_4ELb0ES6_15HIP_vector_typeIjLj2EENS0_17counting_iteratorIjlEEPS9_SG_NS0_5tupleIJPjSI_NS0_16reverse_iteratorISI_EEEEENSH_IJSG_SG_SG_EEES9_SI_JZNS1_25segmented_radix_sort_implINS0_14default_configELb0EPKdPdPKlPlN2at6native12_GLOBAL__N_18offset_tEEE10hipError_tPvRmT1_PNSt15iterator_traitsIS12_E10value_typeET2_T3_PNS13_IS18_E10value_typeET4_jRbjT5_S1E_jjP12ihipStream_tbEUljE_ZNSN_ISO_Lb0ESQ_SR_ST_SU_SY_EESZ_S10_S11_S12_S16_S17_S18_S1B_S1C_jS1D_jS1E_S1E_jjS1G_bEUljE0_EEESZ_S10_S11_S18_S1C_S1E_T6_T7_T9_mT8_S1G_bDpT10_ENKUlT_T0_E_clISt17integral_constantIbLb0EES1U_EEDaS1P_S1Q_EUlS1P_E_NS1_11comp_targetILNS1_3genE9ELNS1_11target_archE1100ELNS1_3gpuE3ELNS1_3repE0EEENS1_30default_config_static_selectorELNS0_4arch9wavefront6targetE0EEEvS12_.has_indirect_call, 0
	.section	.AMDGPU.csdata,"",@progbits
; Kernel info:
; codeLenInByte = 0
; TotalNumSgprs: 0
; NumVgprs: 0
; ScratchSize: 0
; MemoryBound: 0
; FloatMode: 240
; IeeeMode: 1
; LDSByteSize: 0 bytes/workgroup (compile time only)
; SGPRBlocks: 0
; VGPRBlocks: 0
; NumSGPRsForWavesPerEU: 1
; NumVGPRsForWavesPerEU: 1
; NamedBarCnt: 0
; Occupancy: 16
; WaveLimiterHint : 0
; COMPUTE_PGM_RSRC2:SCRATCH_EN: 0
; COMPUTE_PGM_RSRC2:USER_SGPR: 2
; COMPUTE_PGM_RSRC2:TRAP_HANDLER: 0
; COMPUTE_PGM_RSRC2:TGID_X_EN: 1
; COMPUTE_PGM_RSRC2:TGID_Y_EN: 0
; COMPUTE_PGM_RSRC2:TGID_Z_EN: 0
; COMPUTE_PGM_RSRC2:TIDIG_COMP_CNT: 0
	.section	.text._ZN7rocprim17ROCPRIM_400000_NS6detail17trampoline_kernelINS0_13select_configILj256ELj13ELNS0_17block_load_methodE3ELS4_3ELS4_3ELNS0_20block_scan_algorithmE0ELj4294967295EEENS1_25partition_config_selectorILNS1_17partition_subalgoE4EjNS0_10empty_typeEbEEZZNS1_14partition_implILS8_4ELb0ES6_15HIP_vector_typeIjLj2EENS0_17counting_iteratorIjlEEPS9_SG_NS0_5tupleIJPjSI_NS0_16reverse_iteratorISI_EEEEENSH_IJSG_SG_SG_EEES9_SI_JZNS1_25segmented_radix_sort_implINS0_14default_configELb0EPKdPdPKlPlN2at6native12_GLOBAL__N_18offset_tEEE10hipError_tPvRmT1_PNSt15iterator_traitsIS12_E10value_typeET2_T3_PNS13_IS18_E10value_typeET4_jRbjT5_S1E_jjP12ihipStream_tbEUljE_ZNSN_ISO_Lb0ESQ_SR_ST_SU_SY_EESZ_S10_S11_S12_S16_S17_S18_S1B_S1C_jS1D_jS1E_S1E_jjS1G_bEUljE0_EEESZ_S10_S11_S18_S1C_S1E_T6_T7_T9_mT8_S1G_bDpT10_ENKUlT_T0_E_clISt17integral_constantIbLb0EES1U_EEDaS1P_S1Q_EUlS1P_E_NS1_11comp_targetILNS1_3genE8ELNS1_11target_archE1030ELNS1_3gpuE2ELNS1_3repE0EEENS1_30default_config_static_selectorELNS0_4arch9wavefront6targetE0EEEvS12_,"axG",@progbits,_ZN7rocprim17ROCPRIM_400000_NS6detail17trampoline_kernelINS0_13select_configILj256ELj13ELNS0_17block_load_methodE3ELS4_3ELS4_3ELNS0_20block_scan_algorithmE0ELj4294967295EEENS1_25partition_config_selectorILNS1_17partition_subalgoE4EjNS0_10empty_typeEbEEZZNS1_14partition_implILS8_4ELb0ES6_15HIP_vector_typeIjLj2EENS0_17counting_iteratorIjlEEPS9_SG_NS0_5tupleIJPjSI_NS0_16reverse_iteratorISI_EEEEENSH_IJSG_SG_SG_EEES9_SI_JZNS1_25segmented_radix_sort_implINS0_14default_configELb0EPKdPdPKlPlN2at6native12_GLOBAL__N_18offset_tEEE10hipError_tPvRmT1_PNSt15iterator_traitsIS12_E10value_typeET2_T3_PNS13_IS18_E10value_typeET4_jRbjT5_S1E_jjP12ihipStream_tbEUljE_ZNSN_ISO_Lb0ESQ_SR_ST_SU_SY_EESZ_S10_S11_S12_S16_S17_S18_S1B_S1C_jS1D_jS1E_S1E_jjS1G_bEUljE0_EEESZ_S10_S11_S18_S1C_S1E_T6_T7_T9_mT8_S1G_bDpT10_ENKUlT_T0_E_clISt17integral_constantIbLb0EES1U_EEDaS1P_S1Q_EUlS1P_E_NS1_11comp_targetILNS1_3genE8ELNS1_11target_archE1030ELNS1_3gpuE2ELNS1_3repE0EEENS1_30default_config_static_selectorELNS0_4arch9wavefront6targetE0EEEvS12_,comdat
	.globl	_ZN7rocprim17ROCPRIM_400000_NS6detail17trampoline_kernelINS0_13select_configILj256ELj13ELNS0_17block_load_methodE3ELS4_3ELS4_3ELNS0_20block_scan_algorithmE0ELj4294967295EEENS1_25partition_config_selectorILNS1_17partition_subalgoE4EjNS0_10empty_typeEbEEZZNS1_14partition_implILS8_4ELb0ES6_15HIP_vector_typeIjLj2EENS0_17counting_iteratorIjlEEPS9_SG_NS0_5tupleIJPjSI_NS0_16reverse_iteratorISI_EEEEENSH_IJSG_SG_SG_EEES9_SI_JZNS1_25segmented_radix_sort_implINS0_14default_configELb0EPKdPdPKlPlN2at6native12_GLOBAL__N_18offset_tEEE10hipError_tPvRmT1_PNSt15iterator_traitsIS12_E10value_typeET2_T3_PNS13_IS18_E10value_typeET4_jRbjT5_S1E_jjP12ihipStream_tbEUljE_ZNSN_ISO_Lb0ESQ_SR_ST_SU_SY_EESZ_S10_S11_S12_S16_S17_S18_S1B_S1C_jS1D_jS1E_S1E_jjS1G_bEUljE0_EEESZ_S10_S11_S18_S1C_S1E_T6_T7_T9_mT8_S1G_bDpT10_ENKUlT_T0_E_clISt17integral_constantIbLb0EES1U_EEDaS1P_S1Q_EUlS1P_E_NS1_11comp_targetILNS1_3genE8ELNS1_11target_archE1030ELNS1_3gpuE2ELNS1_3repE0EEENS1_30default_config_static_selectorELNS0_4arch9wavefront6targetE0EEEvS12_ ; -- Begin function _ZN7rocprim17ROCPRIM_400000_NS6detail17trampoline_kernelINS0_13select_configILj256ELj13ELNS0_17block_load_methodE3ELS4_3ELS4_3ELNS0_20block_scan_algorithmE0ELj4294967295EEENS1_25partition_config_selectorILNS1_17partition_subalgoE4EjNS0_10empty_typeEbEEZZNS1_14partition_implILS8_4ELb0ES6_15HIP_vector_typeIjLj2EENS0_17counting_iteratorIjlEEPS9_SG_NS0_5tupleIJPjSI_NS0_16reverse_iteratorISI_EEEEENSH_IJSG_SG_SG_EEES9_SI_JZNS1_25segmented_radix_sort_implINS0_14default_configELb0EPKdPdPKlPlN2at6native12_GLOBAL__N_18offset_tEEE10hipError_tPvRmT1_PNSt15iterator_traitsIS12_E10value_typeET2_T3_PNS13_IS18_E10value_typeET4_jRbjT5_S1E_jjP12ihipStream_tbEUljE_ZNSN_ISO_Lb0ESQ_SR_ST_SU_SY_EESZ_S10_S11_S12_S16_S17_S18_S1B_S1C_jS1D_jS1E_S1E_jjS1G_bEUljE0_EEESZ_S10_S11_S18_S1C_S1E_T6_T7_T9_mT8_S1G_bDpT10_ENKUlT_T0_E_clISt17integral_constantIbLb0EES1U_EEDaS1P_S1Q_EUlS1P_E_NS1_11comp_targetILNS1_3genE8ELNS1_11target_archE1030ELNS1_3gpuE2ELNS1_3repE0EEENS1_30default_config_static_selectorELNS0_4arch9wavefront6targetE0EEEvS12_
	.p2align	8
	.type	_ZN7rocprim17ROCPRIM_400000_NS6detail17trampoline_kernelINS0_13select_configILj256ELj13ELNS0_17block_load_methodE3ELS4_3ELS4_3ELNS0_20block_scan_algorithmE0ELj4294967295EEENS1_25partition_config_selectorILNS1_17partition_subalgoE4EjNS0_10empty_typeEbEEZZNS1_14partition_implILS8_4ELb0ES6_15HIP_vector_typeIjLj2EENS0_17counting_iteratorIjlEEPS9_SG_NS0_5tupleIJPjSI_NS0_16reverse_iteratorISI_EEEEENSH_IJSG_SG_SG_EEES9_SI_JZNS1_25segmented_radix_sort_implINS0_14default_configELb0EPKdPdPKlPlN2at6native12_GLOBAL__N_18offset_tEEE10hipError_tPvRmT1_PNSt15iterator_traitsIS12_E10value_typeET2_T3_PNS13_IS18_E10value_typeET4_jRbjT5_S1E_jjP12ihipStream_tbEUljE_ZNSN_ISO_Lb0ESQ_SR_ST_SU_SY_EESZ_S10_S11_S12_S16_S17_S18_S1B_S1C_jS1D_jS1E_S1E_jjS1G_bEUljE0_EEESZ_S10_S11_S18_S1C_S1E_T6_T7_T9_mT8_S1G_bDpT10_ENKUlT_T0_E_clISt17integral_constantIbLb0EES1U_EEDaS1P_S1Q_EUlS1P_E_NS1_11comp_targetILNS1_3genE8ELNS1_11target_archE1030ELNS1_3gpuE2ELNS1_3repE0EEENS1_30default_config_static_selectorELNS0_4arch9wavefront6targetE0EEEvS12_,@function
_ZN7rocprim17ROCPRIM_400000_NS6detail17trampoline_kernelINS0_13select_configILj256ELj13ELNS0_17block_load_methodE3ELS4_3ELS4_3ELNS0_20block_scan_algorithmE0ELj4294967295EEENS1_25partition_config_selectorILNS1_17partition_subalgoE4EjNS0_10empty_typeEbEEZZNS1_14partition_implILS8_4ELb0ES6_15HIP_vector_typeIjLj2EENS0_17counting_iteratorIjlEEPS9_SG_NS0_5tupleIJPjSI_NS0_16reverse_iteratorISI_EEEEENSH_IJSG_SG_SG_EEES9_SI_JZNS1_25segmented_radix_sort_implINS0_14default_configELb0EPKdPdPKlPlN2at6native12_GLOBAL__N_18offset_tEEE10hipError_tPvRmT1_PNSt15iterator_traitsIS12_E10value_typeET2_T3_PNS13_IS18_E10value_typeET4_jRbjT5_S1E_jjP12ihipStream_tbEUljE_ZNSN_ISO_Lb0ESQ_SR_ST_SU_SY_EESZ_S10_S11_S12_S16_S17_S18_S1B_S1C_jS1D_jS1E_S1E_jjS1G_bEUljE0_EEESZ_S10_S11_S18_S1C_S1E_T6_T7_T9_mT8_S1G_bDpT10_ENKUlT_T0_E_clISt17integral_constantIbLb0EES1U_EEDaS1P_S1Q_EUlS1P_E_NS1_11comp_targetILNS1_3genE8ELNS1_11target_archE1030ELNS1_3gpuE2ELNS1_3repE0EEENS1_30default_config_static_selectorELNS0_4arch9wavefront6targetE0EEEvS12_: ; @_ZN7rocprim17ROCPRIM_400000_NS6detail17trampoline_kernelINS0_13select_configILj256ELj13ELNS0_17block_load_methodE3ELS4_3ELS4_3ELNS0_20block_scan_algorithmE0ELj4294967295EEENS1_25partition_config_selectorILNS1_17partition_subalgoE4EjNS0_10empty_typeEbEEZZNS1_14partition_implILS8_4ELb0ES6_15HIP_vector_typeIjLj2EENS0_17counting_iteratorIjlEEPS9_SG_NS0_5tupleIJPjSI_NS0_16reverse_iteratorISI_EEEEENSH_IJSG_SG_SG_EEES9_SI_JZNS1_25segmented_radix_sort_implINS0_14default_configELb0EPKdPdPKlPlN2at6native12_GLOBAL__N_18offset_tEEE10hipError_tPvRmT1_PNSt15iterator_traitsIS12_E10value_typeET2_T3_PNS13_IS18_E10value_typeET4_jRbjT5_S1E_jjP12ihipStream_tbEUljE_ZNSN_ISO_Lb0ESQ_SR_ST_SU_SY_EESZ_S10_S11_S12_S16_S17_S18_S1B_S1C_jS1D_jS1E_S1E_jjS1G_bEUljE0_EEESZ_S10_S11_S18_S1C_S1E_T6_T7_T9_mT8_S1G_bDpT10_ENKUlT_T0_E_clISt17integral_constantIbLb0EES1U_EEDaS1P_S1Q_EUlS1P_E_NS1_11comp_targetILNS1_3genE8ELNS1_11target_archE1030ELNS1_3gpuE2ELNS1_3repE0EEENS1_30default_config_static_selectorELNS0_4arch9wavefront6targetE0EEEvS12_
; %bb.0:
	.section	.rodata,"a",@progbits
	.p2align	6, 0x0
	.amdhsa_kernel _ZN7rocprim17ROCPRIM_400000_NS6detail17trampoline_kernelINS0_13select_configILj256ELj13ELNS0_17block_load_methodE3ELS4_3ELS4_3ELNS0_20block_scan_algorithmE0ELj4294967295EEENS1_25partition_config_selectorILNS1_17partition_subalgoE4EjNS0_10empty_typeEbEEZZNS1_14partition_implILS8_4ELb0ES6_15HIP_vector_typeIjLj2EENS0_17counting_iteratorIjlEEPS9_SG_NS0_5tupleIJPjSI_NS0_16reverse_iteratorISI_EEEEENSH_IJSG_SG_SG_EEES9_SI_JZNS1_25segmented_radix_sort_implINS0_14default_configELb0EPKdPdPKlPlN2at6native12_GLOBAL__N_18offset_tEEE10hipError_tPvRmT1_PNSt15iterator_traitsIS12_E10value_typeET2_T3_PNS13_IS18_E10value_typeET4_jRbjT5_S1E_jjP12ihipStream_tbEUljE_ZNSN_ISO_Lb0ESQ_SR_ST_SU_SY_EESZ_S10_S11_S12_S16_S17_S18_S1B_S1C_jS1D_jS1E_S1E_jjS1G_bEUljE0_EEESZ_S10_S11_S18_S1C_S1E_T6_T7_T9_mT8_S1G_bDpT10_ENKUlT_T0_E_clISt17integral_constantIbLb0EES1U_EEDaS1P_S1Q_EUlS1P_E_NS1_11comp_targetILNS1_3genE8ELNS1_11target_archE1030ELNS1_3gpuE2ELNS1_3repE0EEENS1_30default_config_static_selectorELNS0_4arch9wavefront6targetE0EEEvS12_
		.amdhsa_group_segment_fixed_size 0
		.amdhsa_private_segment_fixed_size 0
		.amdhsa_kernarg_size 176
		.amdhsa_user_sgpr_count 2
		.amdhsa_user_sgpr_dispatch_ptr 0
		.amdhsa_user_sgpr_queue_ptr 0
		.amdhsa_user_sgpr_kernarg_segment_ptr 1
		.amdhsa_user_sgpr_dispatch_id 0
		.amdhsa_user_sgpr_kernarg_preload_length 0
		.amdhsa_user_sgpr_kernarg_preload_offset 0
		.amdhsa_user_sgpr_private_segment_size 0
		.amdhsa_wavefront_size32 1
		.amdhsa_uses_dynamic_stack 0
		.amdhsa_enable_private_segment 0
		.amdhsa_system_sgpr_workgroup_id_x 1
		.amdhsa_system_sgpr_workgroup_id_y 0
		.amdhsa_system_sgpr_workgroup_id_z 0
		.amdhsa_system_sgpr_workgroup_info 0
		.amdhsa_system_vgpr_workitem_id 0
		.amdhsa_next_free_vgpr 1
		.amdhsa_next_free_sgpr 1
		.amdhsa_named_barrier_count 0
		.amdhsa_reserve_vcc 0
		.amdhsa_float_round_mode_32 0
		.amdhsa_float_round_mode_16_64 0
		.amdhsa_float_denorm_mode_32 3
		.amdhsa_float_denorm_mode_16_64 3
		.amdhsa_fp16_overflow 0
		.amdhsa_memory_ordered 1
		.amdhsa_forward_progress 1
		.amdhsa_inst_pref_size 0
		.amdhsa_round_robin_scheduling 0
		.amdhsa_exception_fp_ieee_invalid_op 0
		.amdhsa_exception_fp_denorm_src 0
		.amdhsa_exception_fp_ieee_div_zero 0
		.amdhsa_exception_fp_ieee_overflow 0
		.amdhsa_exception_fp_ieee_underflow 0
		.amdhsa_exception_fp_ieee_inexact 0
		.amdhsa_exception_int_div_zero 0
	.end_amdhsa_kernel
	.section	.text._ZN7rocprim17ROCPRIM_400000_NS6detail17trampoline_kernelINS0_13select_configILj256ELj13ELNS0_17block_load_methodE3ELS4_3ELS4_3ELNS0_20block_scan_algorithmE0ELj4294967295EEENS1_25partition_config_selectorILNS1_17partition_subalgoE4EjNS0_10empty_typeEbEEZZNS1_14partition_implILS8_4ELb0ES6_15HIP_vector_typeIjLj2EENS0_17counting_iteratorIjlEEPS9_SG_NS0_5tupleIJPjSI_NS0_16reverse_iteratorISI_EEEEENSH_IJSG_SG_SG_EEES9_SI_JZNS1_25segmented_radix_sort_implINS0_14default_configELb0EPKdPdPKlPlN2at6native12_GLOBAL__N_18offset_tEEE10hipError_tPvRmT1_PNSt15iterator_traitsIS12_E10value_typeET2_T3_PNS13_IS18_E10value_typeET4_jRbjT5_S1E_jjP12ihipStream_tbEUljE_ZNSN_ISO_Lb0ESQ_SR_ST_SU_SY_EESZ_S10_S11_S12_S16_S17_S18_S1B_S1C_jS1D_jS1E_S1E_jjS1G_bEUljE0_EEESZ_S10_S11_S18_S1C_S1E_T6_T7_T9_mT8_S1G_bDpT10_ENKUlT_T0_E_clISt17integral_constantIbLb0EES1U_EEDaS1P_S1Q_EUlS1P_E_NS1_11comp_targetILNS1_3genE8ELNS1_11target_archE1030ELNS1_3gpuE2ELNS1_3repE0EEENS1_30default_config_static_selectorELNS0_4arch9wavefront6targetE0EEEvS12_,"axG",@progbits,_ZN7rocprim17ROCPRIM_400000_NS6detail17trampoline_kernelINS0_13select_configILj256ELj13ELNS0_17block_load_methodE3ELS4_3ELS4_3ELNS0_20block_scan_algorithmE0ELj4294967295EEENS1_25partition_config_selectorILNS1_17partition_subalgoE4EjNS0_10empty_typeEbEEZZNS1_14partition_implILS8_4ELb0ES6_15HIP_vector_typeIjLj2EENS0_17counting_iteratorIjlEEPS9_SG_NS0_5tupleIJPjSI_NS0_16reverse_iteratorISI_EEEEENSH_IJSG_SG_SG_EEES9_SI_JZNS1_25segmented_radix_sort_implINS0_14default_configELb0EPKdPdPKlPlN2at6native12_GLOBAL__N_18offset_tEEE10hipError_tPvRmT1_PNSt15iterator_traitsIS12_E10value_typeET2_T3_PNS13_IS18_E10value_typeET4_jRbjT5_S1E_jjP12ihipStream_tbEUljE_ZNSN_ISO_Lb0ESQ_SR_ST_SU_SY_EESZ_S10_S11_S12_S16_S17_S18_S1B_S1C_jS1D_jS1E_S1E_jjS1G_bEUljE0_EEESZ_S10_S11_S18_S1C_S1E_T6_T7_T9_mT8_S1G_bDpT10_ENKUlT_T0_E_clISt17integral_constantIbLb0EES1U_EEDaS1P_S1Q_EUlS1P_E_NS1_11comp_targetILNS1_3genE8ELNS1_11target_archE1030ELNS1_3gpuE2ELNS1_3repE0EEENS1_30default_config_static_selectorELNS0_4arch9wavefront6targetE0EEEvS12_,comdat
.Lfunc_end1158:
	.size	_ZN7rocprim17ROCPRIM_400000_NS6detail17trampoline_kernelINS0_13select_configILj256ELj13ELNS0_17block_load_methodE3ELS4_3ELS4_3ELNS0_20block_scan_algorithmE0ELj4294967295EEENS1_25partition_config_selectorILNS1_17partition_subalgoE4EjNS0_10empty_typeEbEEZZNS1_14partition_implILS8_4ELb0ES6_15HIP_vector_typeIjLj2EENS0_17counting_iteratorIjlEEPS9_SG_NS0_5tupleIJPjSI_NS0_16reverse_iteratorISI_EEEEENSH_IJSG_SG_SG_EEES9_SI_JZNS1_25segmented_radix_sort_implINS0_14default_configELb0EPKdPdPKlPlN2at6native12_GLOBAL__N_18offset_tEEE10hipError_tPvRmT1_PNSt15iterator_traitsIS12_E10value_typeET2_T3_PNS13_IS18_E10value_typeET4_jRbjT5_S1E_jjP12ihipStream_tbEUljE_ZNSN_ISO_Lb0ESQ_SR_ST_SU_SY_EESZ_S10_S11_S12_S16_S17_S18_S1B_S1C_jS1D_jS1E_S1E_jjS1G_bEUljE0_EEESZ_S10_S11_S18_S1C_S1E_T6_T7_T9_mT8_S1G_bDpT10_ENKUlT_T0_E_clISt17integral_constantIbLb0EES1U_EEDaS1P_S1Q_EUlS1P_E_NS1_11comp_targetILNS1_3genE8ELNS1_11target_archE1030ELNS1_3gpuE2ELNS1_3repE0EEENS1_30default_config_static_selectorELNS0_4arch9wavefront6targetE0EEEvS12_, .Lfunc_end1158-_ZN7rocprim17ROCPRIM_400000_NS6detail17trampoline_kernelINS0_13select_configILj256ELj13ELNS0_17block_load_methodE3ELS4_3ELS4_3ELNS0_20block_scan_algorithmE0ELj4294967295EEENS1_25partition_config_selectorILNS1_17partition_subalgoE4EjNS0_10empty_typeEbEEZZNS1_14partition_implILS8_4ELb0ES6_15HIP_vector_typeIjLj2EENS0_17counting_iteratorIjlEEPS9_SG_NS0_5tupleIJPjSI_NS0_16reverse_iteratorISI_EEEEENSH_IJSG_SG_SG_EEES9_SI_JZNS1_25segmented_radix_sort_implINS0_14default_configELb0EPKdPdPKlPlN2at6native12_GLOBAL__N_18offset_tEEE10hipError_tPvRmT1_PNSt15iterator_traitsIS12_E10value_typeET2_T3_PNS13_IS18_E10value_typeET4_jRbjT5_S1E_jjP12ihipStream_tbEUljE_ZNSN_ISO_Lb0ESQ_SR_ST_SU_SY_EESZ_S10_S11_S12_S16_S17_S18_S1B_S1C_jS1D_jS1E_S1E_jjS1G_bEUljE0_EEESZ_S10_S11_S18_S1C_S1E_T6_T7_T9_mT8_S1G_bDpT10_ENKUlT_T0_E_clISt17integral_constantIbLb0EES1U_EEDaS1P_S1Q_EUlS1P_E_NS1_11comp_targetILNS1_3genE8ELNS1_11target_archE1030ELNS1_3gpuE2ELNS1_3repE0EEENS1_30default_config_static_selectorELNS0_4arch9wavefront6targetE0EEEvS12_
                                        ; -- End function
	.set _ZN7rocprim17ROCPRIM_400000_NS6detail17trampoline_kernelINS0_13select_configILj256ELj13ELNS0_17block_load_methodE3ELS4_3ELS4_3ELNS0_20block_scan_algorithmE0ELj4294967295EEENS1_25partition_config_selectorILNS1_17partition_subalgoE4EjNS0_10empty_typeEbEEZZNS1_14partition_implILS8_4ELb0ES6_15HIP_vector_typeIjLj2EENS0_17counting_iteratorIjlEEPS9_SG_NS0_5tupleIJPjSI_NS0_16reverse_iteratorISI_EEEEENSH_IJSG_SG_SG_EEES9_SI_JZNS1_25segmented_radix_sort_implINS0_14default_configELb0EPKdPdPKlPlN2at6native12_GLOBAL__N_18offset_tEEE10hipError_tPvRmT1_PNSt15iterator_traitsIS12_E10value_typeET2_T3_PNS13_IS18_E10value_typeET4_jRbjT5_S1E_jjP12ihipStream_tbEUljE_ZNSN_ISO_Lb0ESQ_SR_ST_SU_SY_EESZ_S10_S11_S12_S16_S17_S18_S1B_S1C_jS1D_jS1E_S1E_jjS1G_bEUljE0_EEESZ_S10_S11_S18_S1C_S1E_T6_T7_T9_mT8_S1G_bDpT10_ENKUlT_T0_E_clISt17integral_constantIbLb0EES1U_EEDaS1P_S1Q_EUlS1P_E_NS1_11comp_targetILNS1_3genE8ELNS1_11target_archE1030ELNS1_3gpuE2ELNS1_3repE0EEENS1_30default_config_static_selectorELNS0_4arch9wavefront6targetE0EEEvS12_.num_vgpr, 0
	.set _ZN7rocprim17ROCPRIM_400000_NS6detail17trampoline_kernelINS0_13select_configILj256ELj13ELNS0_17block_load_methodE3ELS4_3ELS4_3ELNS0_20block_scan_algorithmE0ELj4294967295EEENS1_25partition_config_selectorILNS1_17partition_subalgoE4EjNS0_10empty_typeEbEEZZNS1_14partition_implILS8_4ELb0ES6_15HIP_vector_typeIjLj2EENS0_17counting_iteratorIjlEEPS9_SG_NS0_5tupleIJPjSI_NS0_16reverse_iteratorISI_EEEEENSH_IJSG_SG_SG_EEES9_SI_JZNS1_25segmented_radix_sort_implINS0_14default_configELb0EPKdPdPKlPlN2at6native12_GLOBAL__N_18offset_tEEE10hipError_tPvRmT1_PNSt15iterator_traitsIS12_E10value_typeET2_T3_PNS13_IS18_E10value_typeET4_jRbjT5_S1E_jjP12ihipStream_tbEUljE_ZNSN_ISO_Lb0ESQ_SR_ST_SU_SY_EESZ_S10_S11_S12_S16_S17_S18_S1B_S1C_jS1D_jS1E_S1E_jjS1G_bEUljE0_EEESZ_S10_S11_S18_S1C_S1E_T6_T7_T9_mT8_S1G_bDpT10_ENKUlT_T0_E_clISt17integral_constantIbLb0EES1U_EEDaS1P_S1Q_EUlS1P_E_NS1_11comp_targetILNS1_3genE8ELNS1_11target_archE1030ELNS1_3gpuE2ELNS1_3repE0EEENS1_30default_config_static_selectorELNS0_4arch9wavefront6targetE0EEEvS12_.num_agpr, 0
	.set _ZN7rocprim17ROCPRIM_400000_NS6detail17trampoline_kernelINS0_13select_configILj256ELj13ELNS0_17block_load_methodE3ELS4_3ELS4_3ELNS0_20block_scan_algorithmE0ELj4294967295EEENS1_25partition_config_selectorILNS1_17partition_subalgoE4EjNS0_10empty_typeEbEEZZNS1_14partition_implILS8_4ELb0ES6_15HIP_vector_typeIjLj2EENS0_17counting_iteratorIjlEEPS9_SG_NS0_5tupleIJPjSI_NS0_16reverse_iteratorISI_EEEEENSH_IJSG_SG_SG_EEES9_SI_JZNS1_25segmented_radix_sort_implINS0_14default_configELb0EPKdPdPKlPlN2at6native12_GLOBAL__N_18offset_tEEE10hipError_tPvRmT1_PNSt15iterator_traitsIS12_E10value_typeET2_T3_PNS13_IS18_E10value_typeET4_jRbjT5_S1E_jjP12ihipStream_tbEUljE_ZNSN_ISO_Lb0ESQ_SR_ST_SU_SY_EESZ_S10_S11_S12_S16_S17_S18_S1B_S1C_jS1D_jS1E_S1E_jjS1G_bEUljE0_EEESZ_S10_S11_S18_S1C_S1E_T6_T7_T9_mT8_S1G_bDpT10_ENKUlT_T0_E_clISt17integral_constantIbLb0EES1U_EEDaS1P_S1Q_EUlS1P_E_NS1_11comp_targetILNS1_3genE8ELNS1_11target_archE1030ELNS1_3gpuE2ELNS1_3repE0EEENS1_30default_config_static_selectorELNS0_4arch9wavefront6targetE0EEEvS12_.numbered_sgpr, 0
	.set _ZN7rocprim17ROCPRIM_400000_NS6detail17trampoline_kernelINS0_13select_configILj256ELj13ELNS0_17block_load_methodE3ELS4_3ELS4_3ELNS0_20block_scan_algorithmE0ELj4294967295EEENS1_25partition_config_selectorILNS1_17partition_subalgoE4EjNS0_10empty_typeEbEEZZNS1_14partition_implILS8_4ELb0ES6_15HIP_vector_typeIjLj2EENS0_17counting_iteratorIjlEEPS9_SG_NS0_5tupleIJPjSI_NS0_16reverse_iteratorISI_EEEEENSH_IJSG_SG_SG_EEES9_SI_JZNS1_25segmented_radix_sort_implINS0_14default_configELb0EPKdPdPKlPlN2at6native12_GLOBAL__N_18offset_tEEE10hipError_tPvRmT1_PNSt15iterator_traitsIS12_E10value_typeET2_T3_PNS13_IS18_E10value_typeET4_jRbjT5_S1E_jjP12ihipStream_tbEUljE_ZNSN_ISO_Lb0ESQ_SR_ST_SU_SY_EESZ_S10_S11_S12_S16_S17_S18_S1B_S1C_jS1D_jS1E_S1E_jjS1G_bEUljE0_EEESZ_S10_S11_S18_S1C_S1E_T6_T7_T9_mT8_S1G_bDpT10_ENKUlT_T0_E_clISt17integral_constantIbLb0EES1U_EEDaS1P_S1Q_EUlS1P_E_NS1_11comp_targetILNS1_3genE8ELNS1_11target_archE1030ELNS1_3gpuE2ELNS1_3repE0EEENS1_30default_config_static_selectorELNS0_4arch9wavefront6targetE0EEEvS12_.num_named_barrier, 0
	.set _ZN7rocprim17ROCPRIM_400000_NS6detail17trampoline_kernelINS0_13select_configILj256ELj13ELNS0_17block_load_methodE3ELS4_3ELS4_3ELNS0_20block_scan_algorithmE0ELj4294967295EEENS1_25partition_config_selectorILNS1_17partition_subalgoE4EjNS0_10empty_typeEbEEZZNS1_14partition_implILS8_4ELb0ES6_15HIP_vector_typeIjLj2EENS0_17counting_iteratorIjlEEPS9_SG_NS0_5tupleIJPjSI_NS0_16reverse_iteratorISI_EEEEENSH_IJSG_SG_SG_EEES9_SI_JZNS1_25segmented_radix_sort_implINS0_14default_configELb0EPKdPdPKlPlN2at6native12_GLOBAL__N_18offset_tEEE10hipError_tPvRmT1_PNSt15iterator_traitsIS12_E10value_typeET2_T3_PNS13_IS18_E10value_typeET4_jRbjT5_S1E_jjP12ihipStream_tbEUljE_ZNSN_ISO_Lb0ESQ_SR_ST_SU_SY_EESZ_S10_S11_S12_S16_S17_S18_S1B_S1C_jS1D_jS1E_S1E_jjS1G_bEUljE0_EEESZ_S10_S11_S18_S1C_S1E_T6_T7_T9_mT8_S1G_bDpT10_ENKUlT_T0_E_clISt17integral_constantIbLb0EES1U_EEDaS1P_S1Q_EUlS1P_E_NS1_11comp_targetILNS1_3genE8ELNS1_11target_archE1030ELNS1_3gpuE2ELNS1_3repE0EEENS1_30default_config_static_selectorELNS0_4arch9wavefront6targetE0EEEvS12_.private_seg_size, 0
	.set _ZN7rocprim17ROCPRIM_400000_NS6detail17trampoline_kernelINS0_13select_configILj256ELj13ELNS0_17block_load_methodE3ELS4_3ELS4_3ELNS0_20block_scan_algorithmE0ELj4294967295EEENS1_25partition_config_selectorILNS1_17partition_subalgoE4EjNS0_10empty_typeEbEEZZNS1_14partition_implILS8_4ELb0ES6_15HIP_vector_typeIjLj2EENS0_17counting_iteratorIjlEEPS9_SG_NS0_5tupleIJPjSI_NS0_16reverse_iteratorISI_EEEEENSH_IJSG_SG_SG_EEES9_SI_JZNS1_25segmented_radix_sort_implINS0_14default_configELb0EPKdPdPKlPlN2at6native12_GLOBAL__N_18offset_tEEE10hipError_tPvRmT1_PNSt15iterator_traitsIS12_E10value_typeET2_T3_PNS13_IS18_E10value_typeET4_jRbjT5_S1E_jjP12ihipStream_tbEUljE_ZNSN_ISO_Lb0ESQ_SR_ST_SU_SY_EESZ_S10_S11_S12_S16_S17_S18_S1B_S1C_jS1D_jS1E_S1E_jjS1G_bEUljE0_EEESZ_S10_S11_S18_S1C_S1E_T6_T7_T9_mT8_S1G_bDpT10_ENKUlT_T0_E_clISt17integral_constantIbLb0EES1U_EEDaS1P_S1Q_EUlS1P_E_NS1_11comp_targetILNS1_3genE8ELNS1_11target_archE1030ELNS1_3gpuE2ELNS1_3repE0EEENS1_30default_config_static_selectorELNS0_4arch9wavefront6targetE0EEEvS12_.uses_vcc, 0
	.set _ZN7rocprim17ROCPRIM_400000_NS6detail17trampoline_kernelINS0_13select_configILj256ELj13ELNS0_17block_load_methodE3ELS4_3ELS4_3ELNS0_20block_scan_algorithmE0ELj4294967295EEENS1_25partition_config_selectorILNS1_17partition_subalgoE4EjNS0_10empty_typeEbEEZZNS1_14partition_implILS8_4ELb0ES6_15HIP_vector_typeIjLj2EENS0_17counting_iteratorIjlEEPS9_SG_NS0_5tupleIJPjSI_NS0_16reverse_iteratorISI_EEEEENSH_IJSG_SG_SG_EEES9_SI_JZNS1_25segmented_radix_sort_implINS0_14default_configELb0EPKdPdPKlPlN2at6native12_GLOBAL__N_18offset_tEEE10hipError_tPvRmT1_PNSt15iterator_traitsIS12_E10value_typeET2_T3_PNS13_IS18_E10value_typeET4_jRbjT5_S1E_jjP12ihipStream_tbEUljE_ZNSN_ISO_Lb0ESQ_SR_ST_SU_SY_EESZ_S10_S11_S12_S16_S17_S18_S1B_S1C_jS1D_jS1E_S1E_jjS1G_bEUljE0_EEESZ_S10_S11_S18_S1C_S1E_T6_T7_T9_mT8_S1G_bDpT10_ENKUlT_T0_E_clISt17integral_constantIbLb0EES1U_EEDaS1P_S1Q_EUlS1P_E_NS1_11comp_targetILNS1_3genE8ELNS1_11target_archE1030ELNS1_3gpuE2ELNS1_3repE0EEENS1_30default_config_static_selectorELNS0_4arch9wavefront6targetE0EEEvS12_.uses_flat_scratch, 0
	.set _ZN7rocprim17ROCPRIM_400000_NS6detail17trampoline_kernelINS0_13select_configILj256ELj13ELNS0_17block_load_methodE3ELS4_3ELS4_3ELNS0_20block_scan_algorithmE0ELj4294967295EEENS1_25partition_config_selectorILNS1_17partition_subalgoE4EjNS0_10empty_typeEbEEZZNS1_14partition_implILS8_4ELb0ES6_15HIP_vector_typeIjLj2EENS0_17counting_iteratorIjlEEPS9_SG_NS0_5tupleIJPjSI_NS0_16reverse_iteratorISI_EEEEENSH_IJSG_SG_SG_EEES9_SI_JZNS1_25segmented_radix_sort_implINS0_14default_configELb0EPKdPdPKlPlN2at6native12_GLOBAL__N_18offset_tEEE10hipError_tPvRmT1_PNSt15iterator_traitsIS12_E10value_typeET2_T3_PNS13_IS18_E10value_typeET4_jRbjT5_S1E_jjP12ihipStream_tbEUljE_ZNSN_ISO_Lb0ESQ_SR_ST_SU_SY_EESZ_S10_S11_S12_S16_S17_S18_S1B_S1C_jS1D_jS1E_S1E_jjS1G_bEUljE0_EEESZ_S10_S11_S18_S1C_S1E_T6_T7_T9_mT8_S1G_bDpT10_ENKUlT_T0_E_clISt17integral_constantIbLb0EES1U_EEDaS1P_S1Q_EUlS1P_E_NS1_11comp_targetILNS1_3genE8ELNS1_11target_archE1030ELNS1_3gpuE2ELNS1_3repE0EEENS1_30default_config_static_selectorELNS0_4arch9wavefront6targetE0EEEvS12_.has_dyn_sized_stack, 0
	.set _ZN7rocprim17ROCPRIM_400000_NS6detail17trampoline_kernelINS0_13select_configILj256ELj13ELNS0_17block_load_methodE3ELS4_3ELS4_3ELNS0_20block_scan_algorithmE0ELj4294967295EEENS1_25partition_config_selectorILNS1_17partition_subalgoE4EjNS0_10empty_typeEbEEZZNS1_14partition_implILS8_4ELb0ES6_15HIP_vector_typeIjLj2EENS0_17counting_iteratorIjlEEPS9_SG_NS0_5tupleIJPjSI_NS0_16reverse_iteratorISI_EEEEENSH_IJSG_SG_SG_EEES9_SI_JZNS1_25segmented_radix_sort_implINS0_14default_configELb0EPKdPdPKlPlN2at6native12_GLOBAL__N_18offset_tEEE10hipError_tPvRmT1_PNSt15iterator_traitsIS12_E10value_typeET2_T3_PNS13_IS18_E10value_typeET4_jRbjT5_S1E_jjP12ihipStream_tbEUljE_ZNSN_ISO_Lb0ESQ_SR_ST_SU_SY_EESZ_S10_S11_S12_S16_S17_S18_S1B_S1C_jS1D_jS1E_S1E_jjS1G_bEUljE0_EEESZ_S10_S11_S18_S1C_S1E_T6_T7_T9_mT8_S1G_bDpT10_ENKUlT_T0_E_clISt17integral_constantIbLb0EES1U_EEDaS1P_S1Q_EUlS1P_E_NS1_11comp_targetILNS1_3genE8ELNS1_11target_archE1030ELNS1_3gpuE2ELNS1_3repE0EEENS1_30default_config_static_selectorELNS0_4arch9wavefront6targetE0EEEvS12_.has_recursion, 0
	.set _ZN7rocprim17ROCPRIM_400000_NS6detail17trampoline_kernelINS0_13select_configILj256ELj13ELNS0_17block_load_methodE3ELS4_3ELS4_3ELNS0_20block_scan_algorithmE0ELj4294967295EEENS1_25partition_config_selectorILNS1_17partition_subalgoE4EjNS0_10empty_typeEbEEZZNS1_14partition_implILS8_4ELb0ES6_15HIP_vector_typeIjLj2EENS0_17counting_iteratorIjlEEPS9_SG_NS0_5tupleIJPjSI_NS0_16reverse_iteratorISI_EEEEENSH_IJSG_SG_SG_EEES9_SI_JZNS1_25segmented_radix_sort_implINS0_14default_configELb0EPKdPdPKlPlN2at6native12_GLOBAL__N_18offset_tEEE10hipError_tPvRmT1_PNSt15iterator_traitsIS12_E10value_typeET2_T3_PNS13_IS18_E10value_typeET4_jRbjT5_S1E_jjP12ihipStream_tbEUljE_ZNSN_ISO_Lb0ESQ_SR_ST_SU_SY_EESZ_S10_S11_S12_S16_S17_S18_S1B_S1C_jS1D_jS1E_S1E_jjS1G_bEUljE0_EEESZ_S10_S11_S18_S1C_S1E_T6_T7_T9_mT8_S1G_bDpT10_ENKUlT_T0_E_clISt17integral_constantIbLb0EES1U_EEDaS1P_S1Q_EUlS1P_E_NS1_11comp_targetILNS1_3genE8ELNS1_11target_archE1030ELNS1_3gpuE2ELNS1_3repE0EEENS1_30default_config_static_selectorELNS0_4arch9wavefront6targetE0EEEvS12_.has_indirect_call, 0
	.section	.AMDGPU.csdata,"",@progbits
; Kernel info:
; codeLenInByte = 0
; TotalNumSgprs: 0
; NumVgprs: 0
; ScratchSize: 0
; MemoryBound: 0
; FloatMode: 240
; IeeeMode: 1
; LDSByteSize: 0 bytes/workgroup (compile time only)
; SGPRBlocks: 0
; VGPRBlocks: 0
; NumSGPRsForWavesPerEU: 1
; NumVGPRsForWavesPerEU: 1
; NamedBarCnt: 0
; Occupancy: 16
; WaveLimiterHint : 0
; COMPUTE_PGM_RSRC2:SCRATCH_EN: 0
; COMPUTE_PGM_RSRC2:USER_SGPR: 2
; COMPUTE_PGM_RSRC2:TRAP_HANDLER: 0
; COMPUTE_PGM_RSRC2:TGID_X_EN: 1
; COMPUTE_PGM_RSRC2:TGID_Y_EN: 0
; COMPUTE_PGM_RSRC2:TGID_Z_EN: 0
; COMPUTE_PGM_RSRC2:TIDIG_COMP_CNT: 0
	.section	.text._ZN7rocprim17ROCPRIM_400000_NS6detail17trampoline_kernelINS0_13select_configILj256ELj13ELNS0_17block_load_methodE3ELS4_3ELS4_3ELNS0_20block_scan_algorithmE0ELj4294967295EEENS1_25partition_config_selectorILNS1_17partition_subalgoE4EjNS0_10empty_typeEbEEZZNS1_14partition_implILS8_4ELb0ES6_15HIP_vector_typeIjLj2EENS0_17counting_iteratorIjlEEPS9_SG_NS0_5tupleIJPjSI_NS0_16reverse_iteratorISI_EEEEENSH_IJSG_SG_SG_EEES9_SI_JZNS1_25segmented_radix_sort_implINS0_14default_configELb0EPKdPdPKlPlN2at6native12_GLOBAL__N_18offset_tEEE10hipError_tPvRmT1_PNSt15iterator_traitsIS12_E10value_typeET2_T3_PNS13_IS18_E10value_typeET4_jRbjT5_S1E_jjP12ihipStream_tbEUljE_ZNSN_ISO_Lb0ESQ_SR_ST_SU_SY_EESZ_S10_S11_S12_S16_S17_S18_S1B_S1C_jS1D_jS1E_S1E_jjS1G_bEUljE0_EEESZ_S10_S11_S18_S1C_S1E_T6_T7_T9_mT8_S1G_bDpT10_ENKUlT_T0_E_clISt17integral_constantIbLb1EES1U_EEDaS1P_S1Q_EUlS1P_E_NS1_11comp_targetILNS1_3genE0ELNS1_11target_archE4294967295ELNS1_3gpuE0ELNS1_3repE0EEENS1_30default_config_static_selectorELNS0_4arch9wavefront6targetE0EEEvS12_,"axG",@progbits,_ZN7rocprim17ROCPRIM_400000_NS6detail17trampoline_kernelINS0_13select_configILj256ELj13ELNS0_17block_load_methodE3ELS4_3ELS4_3ELNS0_20block_scan_algorithmE0ELj4294967295EEENS1_25partition_config_selectorILNS1_17partition_subalgoE4EjNS0_10empty_typeEbEEZZNS1_14partition_implILS8_4ELb0ES6_15HIP_vector_typeIjLj2EENS0_17counting_iteratorIjlEEPS9_SG_NS0_5tupleIJPjSI_NS0_16reverse_iteratorISI_EEEEENSH_IJSG_SG_SG_EEES9_SI_JZNS1_25segmented_radix_sort_implINS0_14default_configELb0EPKdPdPKlPlN2at6native12_GLOBAL__N_18offset_tEEE10hipError_tPvRmT1_PNSt15iterator_traitsIS12_E10value_typeET2_T3_PNS13_IS18_E10value_typeET4_jRbjT5_S1E_jjP12ihipStream_tbEUljE_ZNSN_ISO_Lb0ESQ_SR_ST_SU_SY_EESZ_S10_S11_S12_S16_S17_S18_S1B_S1C_jS1D_jS1E_S1E_jjS1G_bEUljE0_EEESZ_S10_S11_S18_S1C_S1E_T6_T7_T9_mT8_S1G_bDpT10_ENKUlT_T0_E_clISt17integral_constantIbLb1EES1U_EEDaS1P_S1Q_EUlS1P_E_NS1_11comp_targetILNS1_3genE0ELNS1_11target_archE4294967295ELNS1_3gpuE0ELNS1_3repE0EEENS1_30default_config_static_selectorELNS0_4arch9wavefront6targetE0EEEvS12_,comdat
	.globl	_ZN7rocprim17ROCPRIM_400000_NS6detail17trampoline_kernelINS0_13select_configILj256ELj13ELNS0_17block_load_methodE3ELS4_3ELS4_3ELNS0_20block_scan_algorithmE0ELj4294967295EEENS1_25partition_config_selectorILNS1_17partition_subalgoE4EjNS0_10empty_typeEbEEZZNS1_14partition_implILS8_4ELb0ES6_15HIP_vector_typeIjLj2EENS0_17counting_iteratorIjlEEPS9_SG_NS0_5tupleIJPjSI_NS0_16reverse_iteratorISI_EEEEENSH_IJSG_SG_SG_EEES9_SI_JZNS1_25segmented_radix_sort_implINS0_14default_configELb0EPKdPdPKlPlN2at6native12_GLOBAL__N_18offset_tEEE10hipError_tPvRmT1_PNSt15iterator_traitsIS12_E10value_typeET2_T3_PNS13_IS18_E10value_typeET4_jRbjT5_S1E_jjP12ihipStream_tbEUljE_ZNSN_ISO_Lb0ESQ_SR_ST_SU_SY_EESZ_S10_S11_S12_S16_S17_S18_S1B_S1C_jS1D_jS1E_S1E_jjS1G_bEUljE0_EEESZ_S10_S11_S18_S1C_S1E_T6_T7_T9_mT8_S1G_bDpT10_ENKUlT_T0_E_clISt17integral_constantIbLb1EES1U_EEDaS1P_S1Q_EUlS1P_E_NS1_11comp_targetILNS1_3genE0ELNS1_11target_archE4294967295ELNS1_3gpuE0ELNS1_3repE0EEENS1_30default_config_static_selectorELNS0_4arch9wavefront6targetE0EEEvS12_ ; -- Begin function _ZN7rocprim17ROCPRIM_400000_NS6detail17trampoline_kernelINS0_13select_configILj256ELj13ELNS0_17block_load_methodE3ELS4_3ELS4_3ELNS0_20block_scan_algorithmE0ELj4294967295EEENS1_25partition_config_selectorILNS1_17partition_subalgoE4EjNS0_10empty_typeEbEEZZNS1_14partition_implILS8_4ELb0ES6_15HIP_vector_typeIjLj2EENS0_17counting_iteratorIjlEEPS9_SG_NS0_5tupleIJPjSI_NS0_16reverse_iteratorISI_EEEEENSH_IJSG_SG_SG_EEES9_SI_JZNS1_25segmented_radix_sort_implINS0_14default_configELb0EPKdPdPKlPlN2at6native12_GLOBAL__N_18offset_tEEE10hipError_tPvRmT1_PNSt15iterator_traitsIS12_E10value_typeET2_T3_PNS13_IS18_E10value_typeET4_jRbjT5_S1E_jjP12ihipStream_tbEUljE_ZNSN_ISO_Lb0ESQ_SR_ST_SU_SY_EESZ_S10_S11_S12_S16_S17_S18_S1B_S1C_jS1D_jS1E_S1E_jjS1G_bEUljE0_EEESZ_S10_S11_S18_S1C_S1E_T6_T7_T9_mT8_S1G_bDpT10_ENKUlT_T0_E_clISt17integral_constantIbLb1EES1U_EEDaS1P_S1Q_EUlS1P_E_NS1_11comp_targetILNS1_3genE0ELNS1_11target_archE4294967295ELNS1_3gpuE0ELNS1_3repE0EEENS1_30default_config_static_selectorELNS0_4arch9wavefront6targetE0EEEvS12_
	.p2align	8
	.type	_ZN7rocprim17ROCPRIM_400000_NS6detail17trampoline_kernelINS0_13select_configILj256ELj13ELNS0_17block_load_methodE3ELS4_3ELS4_3ELNS0_20block_scan_algorithmE0ELj4294967295EEENS1_25partition_config_selectorILNS1_17partition_subalgoE4EjNS0_10empty_typeEbEEZZNS1_14partition_implILS8_4ELb0ES6_15HIP_vector_typeIjLj2EENS0_17counting_iteratorIjlEEPS9_SG_NS0_5tupleIJPjSI_NS0_16reverse_iteratorISI_EEEEENSH_IJSG_SG_SG_EEES9_SI_JZNS1_25segmented_radix_sort_implINS0_14default_configELb0EPKdPdPKlPlN2at6native12_GLOBAL__N_18offset_tEEE10hipError_tPvRmT1_PNSt15iterator_traitsIS12_E10value_typeET2_T3_PNS13_IS18_E10value_typeET4_jRbjT5_S1E_jjP12ihipStream_tbEUljE_ZNSN_ISO_Lb0ESQ_SR_ST_SU_SY_EESZ_S10_S11_S12_S16_S17_S18_S1B_S1C_jS1D_jS1E_S1E_jjS1G_bEUljE0_EEESZ_S10_S11_S18_S1C_S1E_T6_T7_T9_mT8_S1G_bDpT10_ENKUlT_T0_E_clISt17integral_constantIbLb1EES1U_EEDaS1P_S1Q_EUlS1P_E_NS1_11comp_targetILNS1_3genE0ELNS1_11target_archE4294967295ELNS1_3gpuE0ELNS1_3repE0EEENS1_30default_config_static_selectorELNS0_4arch9wavefront6targetE0EEEvS12_,@function
_ZN7rocprim17ROCPRIM_400000_NS6detail17trampoline_kernelINS0_13select_configILj256ELj13ELNS0_17block_load_methodE3ELS4_3ELS4_3ELNS0_20block_scan_algorithmE0ELj4294967295EEENS1_25partition_config_selectorILNS1_17partition_subalgoE4EjNS0_10empty_typeEbEEZZNS1_14partition_implILS8_4ELb0ES6_15HIP_vector_typeIjLj2EENS0_17counting_iteratorIjlEEPS9_SG_NS0_5tupleIJPjSI_NS0_16reverse_iteratorISI_EEEEENSH_IJSG_SG_SG_EEES9_SI_JZNS1_25segmented_radix_sort_implINS0_14default_configELb0EPKdPdPKlPlN2at6native12_GLOBAL__N_18offset_tEEE10hipError_tPvRmT1_PNSt15iterator_traitsIS12_E10value_typeET2_T3_PNS13_IS18_E10value_typeET4_jRbjT5_S1E_jjP12ihipStream_tbEUljE_ZNSN_ISO_Lb0ESQ_SR_ST_SU_SY_EESZ_S10_S11_S12_S16_S17_S18_S1B_S1C_jS1D_jS1E_S1E_jjS1G_bEUljE0_EEESZ_S10_S11_S18_S1C_S1E_T6_T7_T9_mT8_S1G_bDpT10_ENKUlT_T0_E_clISt17integral_constantIbLb1EES1U_EEDaS1P_S1Q_EUlS1P_E_NS1_11comp_targetILNS1_3genE0ELNS1_11target_archE4294967295ELNS1_3gpuE0ELNS1_3repE0EEENS1_30default_config_static_selectorELNS0_4arch9wavefront6targetE0EEEvS12_: ; @_ZN7rocprim17ROCPRIM_400000_NS6detail17trampoline_kernelINS0_13select_configILj256ELj13ELNS0_17block_load_methodE3ELS4_3ELS4_3ELNS0_20block_scan_algorithmE0ELj4294967295EEENS1_25partition_config_selectorILNS1_17partition_subalgoE4EjNS0_10empty_typeEbEEZZNS1_14partition_implILS8_4ELb0ES6_15HIP_vector_typeIjLj2EENS0_17counting_iteratorIjlEEPS9_SG_NS0_5tupleIJPjSI_NS0_16reverse_iteratorISI_EEEEENSH_IJSG_SG_SG_EEES9_SI_JZNS1_25segmented_radix_sort_implINS0_14default_configELb0EPKdPdPKlPlN2at6native12_GLOBAL__N_18offset_tEEE10hipError_tPvRmT1_PNSt15iterator_traitsIS12_E10value_typeET2_T3_PNS13_IS18_E10value_typeET4_jRbjT5_S1E_jjP12ihipStream_tbEUljE_ZNSN_ISO_Lb0ESQ_SR_ST_SU_SY_EESZ_S10_S11_S12_S16_S17_S18_S1B_S1C_jS1D_jS1E_S1E_jjS1G_bEUljE0_EEESZ_S10_S11_S18_S1C_S1E_T6_T7_T9_mT8_S1G_bDpT10_ENKUlT_T0_E_clISt17integral_constantIbLb1EES1U_EEDaS1P_S1Q_EUlS1P_E_NS1_11comp_targetILNS1_3genE0ELNS1_11target_archE4294967295ELNS1_3gpuE0ELNS1_3repE0EEENS1_30default_config_static_selectorELNS0_4arch9wavefront6targetE0EEEvS12_
; %bb.0:
	s_endpgm
	.section	.rodata,"a",@progbits
	.p2align	6, 0x0
	.amdhsa_kernel _ZN7rocprim17ROCPRIM_400000_NS6detail17trampoline_kernelINS0_13select_configILj256ELj13ELNS0_17block_load_methodE3ELS4_3ELS4_3ELNS0_20block_scan_algorithmE0ELj4294967295EEENS1_25partition_config_selectorILNS1_17partition_subalgoE4EjNS0_10empty_typeEbEEZZNS1_14partition_implILS8_4ELb0ES6_15HIP_vector_typeIjLj2EENS0_17counting_iteratorIjlEEPS9_SG_NS0_5tupleIJPjSI_NS0_16reverse_iteratorISI_EEEEENSH_IJSG_SG_SG_EEES9_SI_JZNS1_25segmented_radix_sort_implINS0_14default_configELb0EPKdPdPKlPlN2at6native12_GLOBAL__N_18offset_tEEE10hipError_tPvRmT1_PNSt15iterator_traitsIS12_E10value_typeET2_T3_PNS13_IS18_E10value_typeET4_jRbjT5_S1E_jjP12ihipStream_tbEUljE_ZNSN_ISO_Lb0ESQ_SR_ST_SU_SY_EESZ_S10_S11_S12_S16_S17_S18_S1B_S1C_jS1D_jS1E_S1E_jjS1G_bEUljE0_EEESZ_S10_S11_S18_S1C_S1E_T6_T7_T9_mT8_S1G_bDpT10_ENKUlT_T0_E_clISt17integral_constantIbLb1EES1U_EEDaS1P_S1Q_EUlS1P_E_NS1_11comp_targetILNS1_3genE0ELNS1_11target_archE4294967295ELNS1_3gpuE0ELNS1_3repE0EEENS1_30default_config_static_selectorELNS0_4arch9wavefront6targetE0EEEvS12_
		.amdhsa_group_segment_fixed_size 0
		.amdhsa_private_segment_fixed_size 0
		.amdhsa_kernarg_size 184
		.amdhsa_user_sgpr_count 2
		.amdhsa_user_sgpr_dispatch_ptr 0
		.amdhsa_user_sgpr_queue_ptr 0
		.amdhsa_user_sgpr_kernarg_segment_ptr 1
		.amdhsa_user_sgpr_dispatch_id 0
		.amdhsa_user_sgpr_kernarg_preload_length 0
		.amdhsa_user_sgpr_kernarg_preload_offset 0
		.amdhsa_user_sgpr_private_segment_size 0
		.amdhsa_wavefront_size32 1
		.amdhsa_uses_dynamic_stack 0
		.amdhsa_enable_private_segment 0
		.amdhsa_system_sgpr_workgroup_id_x 1
		.amdhsa_system_sgpr_workgroup_id_y 0
		.amdhsa_system_sgpr_workgroup_id_z 0
		.amdhsa_system_sgpr_workgroup_info 0
		.amdhsa_system_vgpr_workitem_id 0
		.amdhsa_next_free_vgpr 1
		.amdhsa_next_free_sgpr 1
		.amdhsa_named_barrier_count 0
		.amdhsa_reserve_vcc 0
		.amdhsa_float_round_mode_32 0
		.amdhsa_float_round_mode_16_64 0
		.amdhsa_float_denorm_mode_32 3
		.amdhsa_float_denorm_mode_16_64 3
		.amdhsa_fp16_overflow 0
		.amdhsa_memory_ordered 1
		.amdhsa_forward_progress 1
		.amdhsa_inst_pref_size 1
		.amdhsa_round_robin_scheduling 0
		.amdhsa_exception_fp_ieee_invalid_op 0
		.amdhsa_exception_fp_denorm_src 0
		.amdhsa_exception_fp_ieee_div_zero 0
		.amdhsa_exception_fp_ieee_overflow 0
		.amdhsa_exception_fp_ieee_underflow 0
		.amdhsa_exception_fp_ieee_inexact 0
		.amdhsa_exception_int_div_zero 0
	.end_amdhsa_kernel
	.section	.text._ZN7rocprim17ROCPRIM_400000_NS6detail17trampoline_kernelINS0_13select_configILj256ELj13ELNS0_17block_load_methodE3ELS4_3ELS4_3ELNS0_20block_scan_algorithmE0ELj4294967295EEENS1_25partition_config_selectorILNS1_17partition_subalgoE4EjNS0_10empty_typeEbEEZZNS1_14partition_implILS8_4ELb0ES6_15HIP_vector_typeIjLj2EENS0_17counting_iteratorIjlEEPS9_SG_NS0_5tupleIJPjSI_NS0_16reverse_iteratorISI_EEEEENSH_IJSG_SG_SG_EEES9_SI_JZNS1_25segmented_radix_sort_implINS0_14default_configELb0EPKdPdPKlPlN2at6native12_GLOBAL__N_18offset_tEEE10hipError_tPvRmT1_PNSt15iterator_traitsIS12_E10value_typeET2_T3_PNS13_IS18_E10value_typeET4_jRbjT5_S1E_jjP12ihipStream_tbEUljE_ZNSN_ISO_Lb0ESQ_SR_ST_SU_SY_EESZ_S10_S11_S12_S16_S17_S18_S1B_S1C_jS1D_jS1E_S1E_jjS1G_bEUljE0_EEESZ_S10_S11_S18_S1C_S1E_T6_T7_T9_mT8_S1G_bDpT10_ENKUlT_T0_E_clISt17integral_constantIbLb1EES1U_EEDaS1P_S1Q_EUlS1P_E_NS1_11comp_targetILNS1_3genE0ELNS1_11target_archE4294967295ELNS1_3gpuE0ELNS1_3repE0EEENS1_30default_config_static_selectorELNS0_4arch9wavefront6targetE0EEEvS12_,"axG",@progbits,_ZN7rocprim17ROCPRIM_400000_NS6detail17trampoline_kernelINS0_13select_configILj256ELj13ELNS0_17block_load_methodE3ELS4_3ELS4_3ELNS0_20block_scan_algorithmE0ELj4294967295EEENS1_25partition_config_selectorILNS1_17partition_subalgoE4EjNS0_10empty_typeEbEEZZNS1_14partition_implILS8_4ELb0ES6_15HIP_vector_typeIjLj2EENS0_17counting_iteratorIjlEEPS9_SG_NS0_5tupleIJPjSI_NS0_16reverse_iteratorISI_EEEEENSH_IJSG_SG_SG_EEES9_SI_JZNS1_25segmented_radix_sort_implINS0_14default_configELb0EPKdPdPKlPlN2at6native12_GLOBAL__N_18offset_tEEE10hipError_tPvRmT1_PNSt15iterator_traitsIS12_E10value_typeET2_T3_PNS13_IS18_E10value_typeET4_jRbjT5_S1E_jjP12ihipStream_tbEUljE_ZNSN_ISO_Lb0ESQ_SR_ST_SU_SY_EESZ_S10_S11_S12_S16_S17_S18_S1B_S1C_jS1D_jS1E_S1E_jjS1G_bEUljE0_EEESZ_S10_S11_S18_S1C_S1E_T6_T7_T9_mT8_S1G_bDpT10_ENKUlT_T0_E_clISt17integral_constantIbLb1EES1U_EEDaS1P_S1Q_EUlS1P_E_NS1_11comp_targetILNS1_3genE0ELNS1_11target_archE4294967295ELNS1_3gpuE0ELNS1_3repE0EEENS1_30default_config_static_selectorELNS0_4arch9wavefront6targetE0EEEvS12_,comdat
.Lfunc_end1159:
	.size	_ZN7rocprim17ROCPRIM_400000_NS6detail17trampoline_kernelINS0_13select_configILj256ELj13ELNS0_17block_load_methodE3ELS4_3ELS4_3ELNS0_20block_scan_algorithmE0ELj4294967295EEENS1_25partition_config_selectorILNS1_17partition_subalgoE4EjNS0_10empty_typeEbEEZZNS1_14partition_implILS8_4ELb0ES6_15HIP_vector_typeIjLj2EENS0_17counting_iteratorIjlEEPS9_SG_NS0_5tupleIJPjSI_NS0_16reverse_iteratorISI_EEEEENSH_IJSG_SG_SG_EEES9_SI_JZNS1_25segmented_radix_sort_implINS0_14default_configELb0EPKdPdPKlPlN2at6native12_GLOBAL__N_18offset_tEEE10hipError_tPvRmT1_PNSt15iterator_traitsIS12_E10value_typeET2_T3_PNS13_IS18_E10value_typeET4_jRbjT5_S1E_jjP12ihipStream_tbEUljE_ZNSN_ISO_Lb0ESQ_SR_ST_SU_SY_EESZ_S10_S11_S12_S16_S17_S18_S1B_S1C_jS1D_jS1E_S1E_jjS1G_bEUljE0_EEESZ_S10_S11_S18_S1C_S1E_T6_T7_T9_mT8_S1G_bDpT10_ENKUlT_T0_E_clISt17integral_constantIbLb1EES1U_EEDaS1P_S1Q_EUlS1P_E_NS1_11comp_targetILNS1_3genE0ELNS1_11target_archE4294967295ELNS1_3gpuE0ELNS1_3repE0EEENS1_30default_config_static_selectorELNS0_4arch9wavefront6targetE0EEEvS12_, .Lfunc_end1159-_ZN7rocprim17ROCPRIM_400000_NS6detail17trampoline_kernelINS0_13select_configILj256ELj13ELNS0_17block_load_methodE3ELS4_3ELS4_3ELNS0_20block_scan_algorithmE0ELj4294967295EEENS1_25partition_config_selectorILNS1_17partition_subalgoE4EjNS0_10empty_typeEbEEZZNS1_14partition_implILS8_4ELb0ES6_15HIP_vector_typeIjLj2EENS0_17counting_iteratorIjlEEPS9_SG_NS0_5tupleIJPjSI_NS0_16reverse_iteratorISI_EEEEENSH_IJSG_SG_SG_EEES9_SI_JZNS1_25segmented_radix_sort_implINS0_14default_configELb0EPKdPdPKlPlN2at6native12_GLOBAL__N_18offset_tEEE10hipError_tPvRmT1_PNSt15iterator_traitsIS12_E10value_typeET2_T3_PNS13_IS18_E10value_typeET4_jRbjT5_S1E_jjP12ihipStream_tbEUljE_ZNSN_ISO_Lb0ESQ_SR_ST_SU_SY_EESZ_S10_S11_S12_S16_S17_S18_S1B_S1C_jS1D_jS1E_S1E_jjS1G_bEUljE0_EEESZ_S10_S11_S18_S1C_S1E_T6_T7_T9_mT8_S1G_bDpT10_ENKUlT_T0_E_clISt17integral_constantIbLb1EES1U_EEDaS1P_S1Q_EUlS1P_E_NS1_11comp_targetILNS1_3genE0ELNS1_11target_archE4294967295ELNS1_3gpuE0ELNS1_3repE0EEENS1_30default_config_static_selectorELNS0_4arch9wavefront6targetE0EEEvS12_
                                        ; -- End function
	.set _ZN7rocprim17ROCPRIM_400000_NS6detail17trampoline_kernelINS0_13select_configILj256ELj13ELNS0_17block_load_methodE3ELS4_3ELS4_3ELNS0_20block_scan_algorithmE0ELj4294967295EEENS1_25partition_config_selectorILNS1_17partition_subalgoE4EjNS0_10empty_typeEbEEZZNS1_14partition_implILS8_4ELb0ES6_15HIP_vector_typeIjLj2EENS0_17counting_iteratorIjlEEPS9_SG_NS0_5tupleIJPjSI_NS0_16reverse_iteratorISI_EEEEENSH_IJSG_SG_SG_EEES9_SI_JZNS1_25segmented_radix_sort_implINS0_14default_configELb0EPKdPdPKlPlN2at6native12_GLOBAL__N_18offset_tEEE10hipError_tPvRmT1_PNSt15iterator_traitsIS12_E10value_typeET2_T3_PNS13_IS18_E10value_typeET4_jRbjT5_S1E_jjP12ihipStream_tbEUljE_ZNSN_ISO_Lb0ESQ_SR_ST_SU_SY_EESZ_S10_S11_S12_S16_S17_S18_S1B_S1C_jS1D_jS1E_S1E_jjS1G_bEUljE0_EEESZ_S10_S11_S18_S1C_S1E_T6_T7_T9_mT8_S1G_bDpT10_ENKUlT_T0_E_clISt17integral_constantIbLb1EES1U_EEDaS1P_S1Q_EUlS1P_E_NS1_11comp_targetILNS1_3genE0ELNS1_11target_archE4294967295ELNS1_3gpuE0ELNS1_3repE0EEENS1_30default_config_static_selectorELNS0_4arch9wavefront6targetE0EEEvS12_.num_vgpr, 0
	.set _ZN7rocprim17ROCPRIM_400000_NS6detail17trampoline_kernelINS0_13select_configILj256ELj13ELNS0_17block_load_methodE3ELS4_3ELS4_3ELNS0_20block_scan_algorithmE0ELj4294967295EEENS1_25partition_config_selectorILNS1_17partition_subalgoE4EjNS0_10empty_typeEbEEZZNS1_14partition_implILS8_4ELb0ES6_15HIP_vector_typeIjLj2EENS0_17counting_iteratorIjlEEPS9_SG_NS0_5tupleIJPjSI_NS0_16reverse_iteratorISI_EEEEENSH_IJSG_SG_SG_EEES9_SI_JZNS1_25segmented_radix_sort_implINS0_14default_configELb0EPKdPdPKlPlN2at6native12_GLOBAL__N_18offset_tEEE10hipError_tPvRmT1_PNSt15iterator_traitsIS12_E10value_typeET2_T3_PNS13_IS18_E10value_typeET4_jRbjT5_S1E_jjP12ihipStream_tbEUljE_ZNSN_ISO_Lb0ESQ_SR_ST_SU_SY_EESZ_S10_S11_S12_S16_S17_S18_S1B_S1C_jS1D_jS1E_S1E_jjS1G_bEUljE0_EEESZ_S10_S11_S18_S1C_S1E_T6_T7_T9_mT8_S1G_bDpT10_ENKUlT_T0_E_clISt17integral_constantIbLb1EES1U_EEDaS1P_S1Q_EUlS1P_E_NS1_11comp_targetILNS1_3genE0ELNS1_11target_archE4294967295ELNS1_3gpuE0ELNS1_3repE0EEENS1_30default_config_static_selectorELNS0_4arch9wavefront6targetE0EEEvS12_.num_agpr, 0
	.set _ZN7rocprim17ROCPRIM_400000_NS6detail17trampoline_kernelINS0_13select_configILj256ELj13ELNS0_17block_load_methodE3ELS4_3ELS4_3ELNS0_20block_scan_algorithmE0ELj4294967295EEENS1_25partition_config_selectorILNS1_17partition_subalgoE4EjNS0_10empty_typeEbEEZZNS1_14partition_implILS8_4ELb0ES6_15HIP_vector_typeIjLj2EENS0_17counting_iteratorIjlEEPS9_SG_NS0_5tupleIJPjSI_NS0_16reverse_iteratorISI_EEEEENSH_IJSG_SG_SG_EEES9_SI_JZNS1_25segmented_radix_sort_implINS0_14default_configELb0EPKdPdPKlPlN2at6native12_GLOBAL__N_18offset_tEEE10hipError_tPvRmT1_PNSt15iterator_traitsIS12_E10value_typeET2_T3_PNS13_IS18_E10value_typeET4_jRbjT5_S1E_jjP12ihipStream_tbEUljE_ZNSN_ISO_Lb0ESQ_SR_ST_SU_SY_EESZ_S10_S11_S12_S16_S17_S18_S1B_S1C_jS1D_jS1E_S1E_jjS1G_bEUljE0_EEESZ_S10_S11_S18_S1C_S1E_T6_T7_T9_mT8_S1G_bDpT10_ENKUlT_T0_E_clISt17integral_constantIbLb1EES1U_EEDaS1P_S1Q_EUlS1P_E_NS1_11comp_targetILNS1_3genE0ELNS1_11target_archE4294967295ELNS1_3gpuE0ELNS1_3repE0EEENS1_30default_config_static_selectorELNS0_4arch9wavefront6targetE0EEEvS12_.numbered_sgpr, 0
	.set _ZN7rocprim17ROCPRIM_400000_NS6detail17trampoline_kernelINS0_13select_configILj256ELj13ELNS0_17block_load_methodE3ELS4_3ELS4_3ELNS0_20block_scan_algorithmE0ELj4294967295EEENS1_25partition_config_selectorILNS1_17partition_subalgoE4EjNS0_10empty_typeEbEEZZNS1_14partition_implILS8_4ELb0ES6_15HIP_vector_typeIjLj2EENS0_17counting_iteratorIjlEEPS9_SG_NS0_5tupleIJPjSI_NS0_16reverse_iteratorISI_EEEEENSH_IJSG_SG_SG_EEES9_SI_JZNS1_25segmented_radix_sort_implINS0_14default_configELb0EPKdPdPKlPlN2at6native12_GLOBAL__N_18offset_tEEE10hipError_tPvRmT1_PNSt15iterator_traitsIS12_E10value_typeET2_T3_PNS13_IS18_E10value_typeET4_jRbjT5_S1E_jjP12ihipStream_tbEUljE_ZNSN_ISO_Lb0ESQ_SR_ST_SU_SY_EESZ_S10_S11_S12_S16_S17_S18_S1B_S1C_jS1D_jS1E_S1E_jjS1G_bEUljE0_EEESZ_S10_S11_S18_S1C_S1E_T6_T7_T9_mT8_S1G_bDpT10_ENKUlT_T0_E_clISt17integral_constantIbLb1EES1U_EEDaS1P_S1Q_EUlS1P_E_NS1_11comp_targetILNS1_3genE0ELNS1_11target_archE4294967295ELNS1_3gpuE0ELNS1_3repE0EEENS1_30default_config_static_selectorELNS0_4arch9wavefront6targetE0EEEvS12_.num_named_barrier, 0
	.set _ZN7rocprim17ROCPRIM_400000_NS6detail17trampoline_kernelINS0_13select_configILj256ELj13ELNS0_17block_load_methodE3ELS4_3ELS4_3ELNS0_20block_scan_algorithmE0ELj4294967295EEENS1_25partition_config_selectorILNS1_17partition_subalgoE4EjNS0_10empty_typeEbEEZZNS1_14partition_implILS8_4ELb0ES6_15HIP_vector_typeIjLj2EENS0_17counting_iteratorIjlEEPS9_SG_NS0_5tupleIJPjSI_NS0_16reverse_iteratorISI_EEEEENSH_IJSG_SG_SG_EEES9_SI_JZNS1_25segmented_radix_sort_implINS0_14default_configELb0EPKdPdPKlPlN2at6native12_GLOBAL__N_18offset_tEEE10hipError_tPvRmT1_PNSt15iterator_traitsIS12_E10value_typeET2_T3_PNS13_IS18_E10value_typeET4_jRbjT5_S1E_jjP12ihipStream_tbEUljE_ZNSN_ISO_Lb0ESQ_SR_ST_SU_SY_EESZ_S10_S11_S12_S16_S17_S18_S1B_S1C_jS1D_jS1E_S1E_jjS1G_bEUljE0_EEESZ_S10_S11_S18_S1C_S1E_T6_T7_T9_mT8_S1G_bDpT10_ENKUlT_T0_E_clISt17integral_constantIbLb1EES1U_EEDaS1P_S1Q_EUlS1P_E_NS1_11comp_targetILNS1_3genE0ELNS1_11target_archE4294967295ELNS1_3gpuE0ELNS1_3repE0EEENS1_30default_config_static_selectorELNS0_4arch9wavefront6targetE0EEEvS12_.private_seg_size, 0
	.set _ZN7rocprim17ROCPRIM_400000_NS6detail17trampoline_kernelINS0_13select_configILj256ELj13ELNS0_17block_load_methodE3ELS4_3ELS4_3ELNS0_20block_scan_algorithmE0ELj4294967295EEENS1_25partition_config_selectorILNS1_17partition_subalgoE4EjNS0_10empty_typeEbEEZZNS1_14partition_implILS8_4ELb0ES6_15HIP_vector_typeIjLj2EENS0_17counting_iteratorIjlEEPS9_SG_NS0_5tupleIJPjSI_NS0_16reverse_iteratorISI_EEEEENSH_IJSG_SG_SG_EEES9_SI_JZNS1_25segmented_radix_sort_implINS0_14default_configELb0EPKdPdPKlPlN2at6native12_GLOBAL__N_18offset_tEEE10hipError_tPvRmT1_PNSt15iterator_traitsIS12_E10value_typeET2_T3_PNS13_IS18_E10value_typeET4_jRbjT5_S1E_jjP12ihipStream_tbEUljE_ZNSN_ISO_Lb0ESQ_SR_ST_SU_SY_EESZ_S10_S11_S12_S16_S17_S18_S1B_S1C_jS1D_jS1E_S1E_jjS1G_bEUljE0_EEESZ_S10_S11_S18_S1C_S1E_T6_T7_T9_mT8_S1G_bDpT10_ENKUlT_T0_E_clISt17integral_constantIbLb1EES1U_EEDaS1P_S1Q_EUlS1P_E_NS1_11comp_targetILNS1_3genE0ELNS1_11target_archE4294967295ELNS1_3gpuE0ELNS1_3repE0EEENS1_30default_config_static_selectorELNS0_4arch9wavefront6targetE0EEEvS12_.uses_vcc, 0
	.set _ZN7rocprim17ROCPRIM_400000_NS6detail17trampoline_kernelINS0_13select_configILj256ELj13ELNS0_17block_load_methodE3ELS4_3ELS4_3ELNS0_20block_scan_algorithmE0ELj4294967295EEENS1_25partition_config_selectorILNS1_17partition_subalgoE4EjNS0_10empty_typeEbEEZZNS1_14partition_implILS8_4ELb0ES6_15HIP_vector_typeIjLj2EENS0_17counting_iteratorIjlEEPS9_SG_NS0_5tupleIJPjSI_NS0_16reverse_iteratorISI_EEEEENSH_IJSG_SG_SG_EEES9_SI_JZNS1_25segmented_radix_sort_implINS0_14default_configELb0EPKdPdPKlPlN2at6native12_GLOBAL__N_18offset_tEEE10hipError_tPvRmT1_PNSt15iterator_traitsIS12_E10value_typeET2_T3_PNS13_IS18_E10value_typeET4_jRbjT5_S1E_jjP12ihipStream_tbEUljE_ZNSN_ISO_Lb0ESQ_SR_ST_SU_SY_EESZ_S10_S11_S12_S16_S17_S18_S1B_S1C_jS1D_jS1E_S1E_jjS1G_bEUljE0_EEESZ_S10_S11_S18_S1C_S1E_T6_T7_T9_mT8_S1G_bDpT10_ENKUlT_T0_E_clISt17integral_constantIbLb1EES1U_EEDaS1P_S1Q_EUlS1P_E_NS1_11comp_targetILNS1_3genE0ELNS1_11target_archE4294967295ELNS1_3gpuE0ELNS1_3repE0EEENS1_30default_config_static_selectorELNS0_4arch9wavefront6targetE0EEEvS12_.uses_flat_scratch, 0
	.set _ZN7rocprim17ROCPRIM_400000_NS6detail17trampoline_kernelINS0_13select_configILj256ELj13ELNS0_17block_load_methodE3ELS4_3ELS4_3ELNS0_20block_scan_algorithmE0ELj4294967295EEENS1_25partition_config_selectorILNS1_17partition_subalgoE4EjNS0_10empty_typeEbEEZZNS1_14partition_implILS8_4ELb0ES6_15HIP_vector_typeIjLj2EENS0_17counting_iteratorIjlEEPS9_SG_NS0_5tupleIJPjSI_NS0_16reverse_iteratorISI_EEEEENSH_IJSG_SG_SG_EEES9_SI_JZNS1_25segmented_radix_sort_implINS0_14default_configELb0EPKdPdPKlPlN2at6native12_GLOBAL__N_18offset_tEEE10hipError_tPvRmT1_PNSt15iterator_traitsIS12_E10value_typeET2_T3_PNS13_IS18_E10value_typeET4_jRbjT5_S1E_jjP12ihipStream_tbEUljE_ZNSN_ISO_Lb0ESQ_SR_ST_SU_SY_EESZ_S10_S11_S12_S16_S17_S18_S1B_S1C_jS1D_jS1E_S1E_jjS1G_bEUljE0_EEESZ_S10_S11_S18_S1C_S1E_T6_T7_T9_mT8_S1G_bDpT10_ENKUlT_T0_E_clISt17integral_constantIbLb1EES1U_EEDaS1P_S1Q_EUlS1P_E_NS1_11comp_targetILNS1_3genE0ELNS1_11target_archE4294967295ELNS1_3gpuE0ELNS1_3repE0EEENS1_30default_config_static_selectorELNS0_4arch9wavefront6targetE0EEEvS12_.has_dyn_sized_stack, 0
	.set _ZN7rocprim17ROCPRIM_400000_NS6detail17trampoline_kernelINS0_13select_configILj256ELj13ELNS0_17block_load_methodE3ELS4_3ELS4_3ELNS0_20block_scan_algorithmE0ELj4294967295EEENS1_25partition_config_selectorILNS1_17partition_subalgoE4EjNS0_10empty_typeEbEEZZNS1_14partition_implILS8_4ELb0ES6_15HIP_vector_typeIjLj2EENS0_17counting_iteratorIjlEEPS9_SG_NS0_5tupleIJPjSI_NS0_16reverse_iteratorISI_EEEEENSH_IJSG_SG_SG_EEES9_SI_JZNS1_25segmented_radix_sort_implINS0_14default_configELb0EPKdPdPKlPlN2at6native12_GLOBAL__N_18offset_tEEE10hipError_tPvRmT1_PNSt15iterator_traitsIS12_E10value_typeET2_T3_PNS13_IS18_E10value_typeET4_jRbjT5_S1E_jjP12ihipStream_tbEUljE_ZNSN_ISO_Lb0ESQ_SR_ST_SU_SY_EESZ_S10_S11_S12_S16_S17_S18_S1B_S1C_jS1D_jS1E_S1E_jjS1G_bEUljE0_EEESZ_S10_S11_S18_S1C_S1E_T6_T7_T9_mT8_S1G_bDpT10_ENKUlT_T0_E_clISt17integral_constantIbLb1EES1U_EEDaS1P_S1Q_EUlS1P_E_NS1_11comp_targetILNS1_3genE0ELNS1_11target_archE4294967295ELNS1_3gpuE0ELNS1_3repE0EEENS1_30default_config_static_selectorELNS0_4arch9wavefront6targetE0EEEvS12_.has_recursion, 0
	.set _ZN7rocprim17ROCPRIM_400000_NS6detail17trampoline_kernelINS0_13select_configILj256ELj13ELNS0_17block_load_methodE3ELS4_3ELS4_3ELNS0_20block_scan_algorithmE0ELj4294967295EEENS1_25partition_config_selectorILNS1_17partition_subalgoE4EjNS0_10empty_typeEbEEZZNS1_14partition_implILS8_4ELb0ES6_15HIP_vector_typeIjLj2EENS0_17counting_iteratorIjlEEPS9_SG_NS0_5tupleIJPjSI_NS0_16reverse_iteratorISI_EEEEENSH_IJSG_SG_SG_EEES9_SI_JZNS1_25segmented_radix_sort_implINS0_14default_configELb0EPKdPdPKlPlN2at6native12_GLOBAL__N_18offset_tEEE10hipError_tPvRmT1_PNSt15iterator_traitsIS12_E10value_typeET2_T3_PNS13_IS18_E10value_typeET4_jRbjT5_S1E_jjP12ihipStream_tbEUljE_ZNSN_ISO_Lb0ESQ_SR_ST_SU_SY_EESZ_S10_S11_S12_S16_S17_S18_S1B_S1C_jS1D_jS1E_S1E_jjS1G_bEUljE0_EEESZ_S10_S11_S18_S1C_S1E_T6_T7_T9_mT8_S1G_bDpT10_ENKUlT_T0_E_clISt17integral_constantIbLb1EES1U_EEDaS1P_S1Q_EUlS1P_E_NS1_11comp_targetILNS1_3genE0ELNS1_11target_archE4294967295ELNS1_3gpuE0ELNS1_3repE0EEENS1_30default_config_static_selectorELNS0_4arch9wavefront6targetE0EEEvS12_.has_indirect_call, 0
	.section	.AMDGPU.csdata,"",@progbits
; Kernel info:
; codeLenInByte = 4
; TotalNumSgprs: 0
; NumVgprs: 0
; ScratchSize: 0
; MemoryBound: 0
; FloatMode: 240
; IeeeMode: 1
; LDSByteSize: 0 bytes/workgroup (compile time only)
; SGPRBlocks: 0
; VGPRBlocks: 0
; NumSGPRsForWavesPerEU: 1
; NumVGPRsForWavesPerEU: 1
; NamedBarCnt: 0
; Occupancy: 16
; WaveLimiterHint : 0
; COMPUTE_PGM_RSRC2:SCRATCH_EN: 0
; COMPUTE_PGM_RSRC2:USER_SGPR: 2
; COMPUTE_PGM_RSRC2:TRAP_HANDLER: 0
; COMPUTE_PGM_RSRC2:TGID_X_EN: 1
; COMPUTE_PGM_RSRC2:TGID_Y_EN: 0
; COMPUTE_PGM_RSRC2:TGID_Z_EN: 0
; COMPUTE_PGM_RSRC2:TIDIG_COMP_CNT: 0
	.section	.text._ZN7rocprim17ROCPRIM_400000_NS6detail17trampoline_kernelINS0_13select_configILj256ELj13ELNS0_17block_load_methodE3ELS4_3ELS4_3ELNS0_20block_scan_algorithmE0ELj4294967295EEENS1_25partition_config_selectorILNS1_17partition_subalgoE4EjNS0_10empty_typeEbEEZZNS1_14partition_implILS8_4ELb0ES6_15HIP_vector_typeIjLj2EENS0_17counting_iteratorIjlEEPS9_SG_NS0_5tupleIJPjSI_NS0_16reverse_iteratorISI_EEEEENSH_IJSG_SG_SG_EEES9_SI_JZNS1_25segmented_radix_sort_implINS0_14default_configELb0EPKdPdPKlPlN2at6native12_GLOBAL__N_18offset_tEEE10hipError_tPvRmT1_PNSt15iterator_traitsIS12_E10value_typeET2_T3_PNS13_IS18_E10value_typeET4_jRbjT5_S1E_jjP12ihipStream_tbEUljE_ZNSN_ISO_Lb0ESQ_SR_ST_SU_SY_EESZ_S10_S11_S12_S16_S17_S18_S1B_S1C_jS1D_jS1E_S1E_jjS1G_bEUljE0_EEESZ_S10_S11_S18_S1C_S1E_T6_T7_T9_mT8_S1G_bDpT10_ENKUlT_T0_E_clISt17integral_constantIbLb1EES1U_EEDaS1P_S1Q_EUlS1P_E_NS1_11comp_targetILNS1_3genE5ELNS1_11target_archE942ELNS1_3gpuE9ELNS1_3repE0EEENS1_30default_config_static_selectorELNS0_4arch9wavefront6targetE0EEEvS12_,"axG",@progbits,_ZN7rocprim17ROCPRIM_400000_NS6detail17trampoline_kernelINS0_13select_configILj256ELj13ELNS0_17block_load_methodE3ELS4_3ELS4_3ELNS0_20block_scan_algorithmE0ELj4294967295EEENS1_25partition_config_selectorILNS1_17partition_subalgoE4EjNS0_10empty_typeEbEEZZNS1_14partition_implILS8_4ELb0ES6_15HIP_vector_typeIjLj2EENS0_17counting_iteratorIjlEEPS9_SG_NS0_5tupleIJPjSI_NS0_16reverse_iteratorISI_EEEEENSH_IJSG_SG_SG_EEES9_SI_JZNS1_25segmented_radix_sort_implINS0_14default_configELb0EPKdPdPKlPlN2at6native12_GLOBAL__N_18offset_tEEE10hipError_tPvRmT1_PNSt15iterator_traitsIS12_E10value_typeET2_T3_PNS13_IS18_E10value_typeET4_jRbjT5_S1E_jjP12ihipStream_tbEUljE_ZNSN_ISO_Lb0ESQ_SR_ST_SU_SY_EESZ_S10_S11_S12_S16_S17_S18_S1B_S1C_jS1D_jS1E_S1E_jjS1G_bEUljE0_EEESZ_S10_S11_S18_S1C_S1E_T6_T7_T9_mT8_S1G_bDpT10_ENKUlT_T0_E_clISt17integral_constantIbLb1EES1U_EEDaS1P_S1Q_EUlS1P_E_NS1_11comp_targetILNS1_3genE5ELNS1_11target_archE942ELNS1_3gpuE9ELNS1_3repE0EEENS1_30default_config_static_selectorELNS0_4arch9wavefront6targetE0EEEvS12_,comdat
	.globl	_ZN7rocprim17ROCPRIM_400000_NS6detail17trampoline_kernelINS0_13select_configILj256ELj13ELNS0_17block_load_methodE3ELS4_3ELS4_3ELNS0_20block_scan_algorithmE0ELj4294967295EEENS1_25partition_config_selectorILNS1_17partition_subalgoE4EjNS0_10empty_typeEbEEZZNS1_14partition_implILS8_4ELb0ES6_15HIP_vector_typeIjLj2EENS0_17counting_iteratorIjlEEPS9_SG_NS0_5tupleIJPjSI_NS0_16reverse_iteratorISI_EEEEENSH_IJSG_SG_SG_EEES9_SI_JZNS1_25segmented_radix_sort_implINS0_14default_configELb0EPKdPdPKlPlN2at6native12_GLOBAL__N_18offset_tEEE10hipError_tPvRmT1_PNSt15iterator_traitsIS12_E10value_typeET2_T3_PNS13_IS18_E10value_typeET4_jRbjT5_S1E_jjP12ihipStream_tbEUljE_ZNSN_ISO_Lb0ESQ_SR_ST_SU_SY_EESZ_S10_S11_S12_S16_S17_S18_S1B_S1C_jS1D_jS1E_S1E_jjS1G_bEUljE0_EEESZ_S10_S11_S18_S1C_S1E_T6_T7_T9_mT8_S1G_bDpT10_ENKUlT_T0_E_clISt17integral_constantIbLb1EES1U_EEDaS1P_S1Q_EUlS1P_E_NS1_11comp_targetILNS1_3genE5ELNS1_11target_archE942ELNS1_3gpuE9ELNS1_3repE0EEENS1_30default_config_static_selectorELNS0_4arch9wavefront6targetE0EEEvS12_ ; -- Begin function _ZN7rocprim17ROCPRIM_400000_NS6detail17trampoline_kernelINS0_13select_configILj256ELj13ELNS0_17block_load_methodE3ELS4_3ELS4_3ELNS0_20block_scan_algorithmE0ELj4294967295EEENS1_25partition_config_selectorILNS1_17partition_subalgoE4EjNS0_10empty_typeEbEEZZNS1_14partition_implILS8_4ELb0ES6_15HIP_vector_typeIjLj2EENS0_17counting_iteratorIjlEEPS9_SG_NS0_5tupleIJPjSI_NS0_16reverse_iteratorISI_EEEEENSH_IJSG_SG_SG_EEES9_SI_JZNS1_25segmented_radix_sort_implINS0_14default_configELb0EPKdPdPKlPlN2at6native12_GLOBAL__N_18offset_tEEE10hipError_tPvRmT1_PNSt15iterator_traitsIS12_E10value_typeET2_T3_PNS13_IS18_E10value_typeET4_jRbjT5_S1E_jjP12ihipStream_tbEUljE_ZNSN_ISO_Lb0ESQ_SR_ST_SU_SY_EESZ_S10_S11_S12_S16_S17_S18_S1B_S1C_jS1D_jS1E_S1E_jjS1G_bEUljE0_EEESZ_S10_S11_S18_S1C_S1E_T6_T7_T9_mT8_S1G_bDpT10_ENKUlT_T0_E_clISt17integral_constantIbLb1EES1U_EEDaS1P_S1Q_EUlS1P_E_NS1_11comp_targetILNS1_3genE5ELNS1_11target_archE942ELNS1_3gpuE9ELNS1_3repE0EEENS1_30default_config_static_selectorELNS0_4arch9wavefront6targetE0EEEvS12_
	.p2align	8
	.type	_ZN7rocprim17ROCPRIM_400000_NS6detail17trampoline_kernelINS0_13select_configILj256ELj13ELNS0_17block_load_methodE3ELS4_3ELS4_3ELNS0_20block_scan_algorithmE0ELj4294967295EEENS1_25partition_config_selectorILNS1_17partition_subalgoE4EjNS0_10empty_typeEbEEZZNS1_14partition_implILS8_4ELb0ES6_15HIP_vector_typeIjLj2EENS0_17counting_iteratorIjlEEPS9_SG_NS0_5tupleIJPjSI_NS0_16reverse_iteratorISI_EEEEENSH_IJSG_SG_SG_EEES9_SI_JZNS1_25segmented_radix_sort_implINS0_14default_configELb0EPKdPdPKlPlN2at6native12_GLOBAL__N_18offset_tEEE10hipError_tPvRmT1_PNSt15iterator_traitsIS12_E10value_typeET2_T3_PNS13_IS18_E10value_typeET4_jRbjT5_S1E_jjP12ihipStream_tbEUljE_ZNSN_ISO_Lb0ESQ_SR_ST_SU_SY_EESZ_S10_S11_S12_S16_S17_S18_S1B_S1C_jS1D_jS1E_S1E_jjS1G_bEUljE0_EEESZ_S10_S11_S18_S1C_S1E_T6_T7_T9_mT8_S1G_bDpT10_ENKUlT_T0_E_clISt17integral_constantIbLb1EES1U_EEDaS1P_S1Q_EUlS1P_E_NS1_11comp_targetILNS1_3genE5ELNS1_11target_archE942ELNS1_3gpuE9ELNS1_3repE0EEENS1_30default_config_static_selectorELNS0_4arch9wavefront6targetE0EEEvS12_,@function
_ZN7rocprim17ROCPRIM_400000_NS6detail17trampoline_kernelINS0_13select_configILj256ELj13ELNS0_17block_load_methodE3ELS4_3ELS4_3ELNS0_20block_scan_algorithmE0ELj4294967295EEENS1_25partition_config_selectorILNS1_17partition_subalgoE4EjNS0_10empty_typeEbEEZZNS1_14partition_implILS8_4ELb0ES6_15HIP_vector_typeIjLj2EENS0_17counting_iteratorIjlEEPS9_SG_NS0_5tupleIJPjSI_NS0_16reverse_iteratorISI_EEEEENSH_IJSG_SG_SG_EEES9_SI_JZNS1_25segmented_radix_sort_implINS0_14default_configELb0EPKdPdPKlPlN2at6native12_GLOBAL__N_18offset_tEEE10hipError_tPvRmT1_PNSt15iterator_traitsIS12_E10value_typeET2_T3_PNS13_IS18_E10value_typeET4_jRbjT5_S1E_jjP12ihipStream_tbEUljE_ZNSN_ISO_Lb0ESQ_SR_ST_SU_SY_EESZ_S10_S11_S12_S16_S17_S18_S1B_S1C_jS1D_jS1E_S1E_jjS1G_bEUljE0_EEESZ_S10_S11_S18_S1C_S1E_T6_T7_T9_mT8_S1G_bDpT10_ENKUlT_T0_E_clISt17integral_constantIbLb1EES1U_EEDaS1P_S1Q_EUlS1P_E_NS1_11comp_targetILNS1_3genE5ELNS1_11target_archE942ELNS1_3gpuE9ELNS1_3repE0EEENS1_30default_config_static_selectorELNS0_4arch9wavefront6targetE0EEEvS12_: ; @_ZN7rocprim17ROCPRIM_400000_NS6detail17trampoline_kernelINS0_13select_configILj256ELj13ELNS0_17block_load_methodE3ELS4_3ELS4_3ELNS0_20block_scan_algorithmE0ELj4294967295EEENS1_25partition_config_selectorILNS1_17partition_subalgoE4EjNS0_10empty_typeEbEEZZNS1_14partition_implILS8_4ELb0ES6_15HIP_vector_typeIjLj2EENS0_17counting_iteratorIjlEEPS9_SG_NS0_5tupleIJPjSI_NS0_16reverse_iteratorISI_EEEEENSH_IJSG_SG_SG_EEES9_SI_JZNS1_25segmented_radix_sort_implINS0_14default_configELb0EPKdPdPKlPlN2at6native12_GLOBAL__N_18offset_tEEE10hipError_tPvRmT1_PNSt15iterator_traitsIS12_E10value_typeET2_T3_PNS13_IS18_E10value_typeET4_jRbjT5_S1E_jjP12ihipStream_tbEUljE_ZNSN_ISO_Lb0ESQ_SR_ST_SU_SY_EESZ_S10_S11_S12_S16_S17_S18_S1B_S1C_jS1D_jS1E_S1E_jjS1G_bEUljE0_EEESZ_S10_S11_S18_S1C_S1E_T6_T7_T9_mT8_S1G_bDpT10_ENKUlT_T0_E_clISt17integral_constantIbLb1EES1U_EEDaS1P_S1Q_EUlS1P_E_NS1_11comp_targetILNS1_3genE5ELNS1_11target_archE942ELNS1_3gpuE9ELNS1_3repE0EEENS1_30default_config_static_selectorELNS0_4arch9wavefront6targetE0EEEvS12_
; %bb.0:
	.section	.rodata,"a",@progbits
	.p2align	6, 0x0
	.amdhsa_kernel _ZN7rocprim17ROCPRIM_400000_NS6detail17trampoline_kernelINS0_13select_configILj256ELj13ELNS0_17block_load_methodE3ELS4_3ELS4_3ELNS0_20block_scan_algorithmE0ELj4294967295EEENS1_25partition_config_selectorILNS1_17partition_subalgoE4EjNS0_10empty_typeEbEEZZNS1_14partition_implILS8_4ELb0ES6_15HIP_vector_typeIjLj2EENS0_17counting_iteratorIjlEEPS9_SG_NS0_5tupleIJPjSI_NS0_16reverse_iteratorISI_EEEEENSH_IJSG_SG_SG_EEES9_SI_JZNS1_25segmented_radix_sort_implINS0_14default_configELb0EPKdPdPKlPlN2at6native12_GLOBAL__N_18offset_tEEE10hipError_tPvRmT1_PNSt15iterator_traitsIS12_E10value_typeET2_T3_PNS13_IS18_E10value_typeET4_jRbjT5_S1E_jjP12ihipStream_tbEUljE_ZNSN_ISO_Lb0ESQ_SR_ST_SU_SY_EESZ_S10_S11_S12_S16_S17_S18_S1B_S1C_jS1D_jS1E_S1E_jjS1G_bEUljE0_EEESZ_S10_S11_S18_S1C_S1E_T6_T7_T9_mT8_S1G_bDpT10_ENKUlT_T0_E_clISt17integral_constantIbLb1EES1U_EEDaS1P_S1Q_EUlS1P_E_NS1_11comp_targetILNS1_3genE5ELNS1_11target_archE942ELNS1_3gpuE9ELNS1_3repE0EEENS1_30default_config_static_selectorELNS0_4arch9wavefront6targetE0EEEvS12_
		.amdhsa_group_segment_fixed_size 0
		.amdhsa_private_segment_fixed_size 0
		.amdhsa_kernarg_size 184
		.amdhsa_user_sgpr_count 2
		.amdhsa_user_sgpr_dispatch_ptr 0
		.amdhsa_user_sgpr_queue_ptr 0
		.amdhsa_user_sgpr_kernarg_segment_ptr 1
		.amdhsa_user_sgpr_dispatch_id 0
		.amdhsa_user_sgpr_kernarg_preload_length 0
		.amdhsa_user_sgpr_kernarg_preload_offset 0
		.amdhsa_user_sgpr_private_segment_size 0
		.amdhsa_wavefront_size32 1
		.amdhsa_uses_dynamic_stack 0
		.amdhsa_enable_private_segment 0
		.amdhsa_system_sgpr_workgroup_id_x 1
		.amdhsa_system_sgpr_workgroup_id_y 0
		.amdhsa_system_sgpr_workgroup_id_z 0
		.amdhsa_system_sgpr_workgroup_info 0
		.amdhsa_system_vgpr_workitem_id 0
		.amdhsa_next_free_vgpr 1
		.amdhsa_next_free_sgpr 1
		.amdhsa_named_barrier_count 0
		.amdhsa_reserve_vcc 0
		.amdhsa_float_round_mode_32 0
		.amdhsa_float_round_mode_16_64 0
		.amdhsa_float_denorm_mode_32 3
		.amdhsa_float_denorm_mode_16_64 3
		.amdhsa_fp16_overflow 0
		.amdhsa_memory_ordered 1
		.amdhsa_forward_progress 1
		.amdhsa_inst_pref_size 0
		.amdhsa_round_robin_scheduling 0
		.amdhsa_exception_fp_ieee_invalid_op 0
		.amdhsa_exception_fp_denorm_src 0
		.amdhsa_exception_fp_ieee_div_zero 0
		.amdhsa_exception_fp_ieee_overflow 0
		.amdhsa_exception_fp_ieee_underflow 0
		.amdhsa_exception_fp_ieee_inexact 0
		.amdhsa_exception_int_div_zero 0
	.end_amdhsa_kernel
	.section	.text._ZN7rocprim17ROCPRIM_400000_NS6detail17trampoline_kernelINS0_13select_configILj256ELj13ELNS0_17block_load_methodE3ELS4_3ELS4_3ELNS0_20block_scan_algorithmE0ELj4294967295EEENS1_25partition_config_selectorILNS1_17partition_subalgoE4EjNS0_10empty_typeEbEEZZNS1_14partition_implILS8_4ELb0ES6_15HIP_vector_typeIjLj2EENS0_17counting_iteratorIjlEEPS9_SG_NS0_5tupleIJPjSI_NS0_16reverse_iteratorISI_EEEEENSH_IJSG_SG_SG_EEES9_SI_JZNS1_25segmented_radix_sort_implINS0_14default_configELb0EPKdPdPKlPlN2at6native12_GLOBAL__N_18offset_tEEE10hipError_tPvRmT1_PNSt15iterator_traitsIS12_E10value_typeET2_T3_PNS13_IS18_E10value_typeET4_jRbjT5_S1E_jjP12ihipStream_tbEUljE_ZNSN_ISO_Lb0ESQ_SR_ST_SU_SY_EESZ_S10_S11_S12_S16_S17_S18_S1B_S1C_jS1D_jS1E_S1E_jjS1G_bEUljE0_EEESZ_S10_S11_S18_S1C_S1E_T6_T7_T9_mT8_S1G_bDpT10_ENKUlT_T0_E_clISt17integral_constantIbLb1EES1U_EEDaS1P_S1Q_EUlS1P_E_NS1_11comp_targetILNS1_3genE5ELNS1_11target_archE942ELNS1_3gpuE9ELNS1_3repE0EEENS1_30default_config_static_selectorELNS0_4arch9wavefront6targetE0EEEvS12_,"axG",@progbits,_ZN7rocprim17ROCPRIM_400000_NS6detail17trampoline_kernelINS0_13select_configILj256ELj13ELNS0_17block_load_methodE3ELS4_3ELS4_3ELNS0_20block_scan_algorithmE0ELj4294967295EEENS1_25partition_config_selectorILNS1_17partition_subalgoE4EjNS0_10empty_typeEbEEZZNS1_14partition_implILS8_4ELb0ES6_15HIP_vector_typeIjLj2EENS0_17counting_iteratorIjlEEPS9_SG_NS0_5tupleIJPjSI_NS0_16reverse_iteratorISI_EEEEENSH_IJSG_SG_SG_EEES9_SI_JZNS1_25segmented_radix_sort_implINS0_14default_configELb0EPKdPdPKlPlN2at6native12_GLOBAL__N_18offset_tEEE10hipError_tPvRmT1_PNSt15iterator_traitsIS12_E10value_typeET2_T3_PNS13_IS18_E10value_typeET4_jRbjT5_S1E_jjP12ihipStream_tbEUljE_ZNSN_ISO_Lb0ESQ_SR_ST_SU_SY_EESZ_S10_S11_S12_S16_S17_S18_S1B_S1C_jS1D_jS1E_S1E_jjS1G_bEUljE0_EEESZ_S10_S11_S18_S1C_S1E_T6_T7_T9_mT8_S1G_bDpT10_ENKUlT_T0_E_clISt17integral_constantIbLb1EES1U_EEDaS1P_S1Q_EUlS1P_E_NS1_11comp_targetILNS1_3genE5ELNS1_11target_archE942ELNS1_3gpuE9ELNS1_3repE0EEENS1_30default_config_static_selectorELNS0_4arch9wavefront6targetE0EEEvS12_,comdat
.Lfunc_end1160:
	.size	_ZN7rocprim17ROCPRIM_400000_NS6detail17trampoline_kernelINS0_13select_configILj256ELj13ELNS0_17block_load_methodE3ELS4_3ELS4_3ELNS0_20block_scan_algorithmE0ELj4294967295EEENS1_25partition_config_selectorILNS1_17partition_subalgoE4EjNS0_10empty_typeEbEEZZNS1_14partition_implILS8_4ELb0ES6_15HIP_vector_typeIjLj2EENS0_17counting_iteratorIjlEEPS9_SG_NS0_5tupleIJPjSI_NS0_16reverse_iteratorISI_EEEEENSH_IJSG_SG_SG_EEES9_SI_JZNS1_25segmented_radix_sort_implINS0_14default_configELb0EPKdPdPKlPlN2at6native12_GLOBAL__N_18offset_tEEE10hipError_tPvRmT1_PNSt15iterator_traitsIS12_E10value_typeET2_T3_PNS13_IS18_E10value_typeET4_jRbjT5_S1E_jjP12ihipStream_tbEUljE_ZNSN_ISO_Lb0ESQ_SR_ST_SU_SY_EESZ_S10_S11_S12_S16_S17_S18_S1B_S1C_jS1D_jS1E_S1E_jjS1G_bEUljE0_EEESZ_S10_S11_S18_S1C_S1E_T6_T7_T9_mT8_S1G_bDpT10_ENKUlT_T0_E_clISt17integral_constantIbLb1EES1U_EEDaS1P_S1Q_EUlS1P_E_NS1_11comp_targetILNS1_3genE5ELNS1_11target_archE942ELNS1_3gpuE9ELNS1_3repE0EEENS1_30default_config_static_selectorELNS0_4arch9wavefront6targetE0EEEvS12_, .Lfunc_end1160-_ZN7rocprim17ROCPRIM_400000_NS6detail17trampoline_kernelINS0_13select_configILj256ELj13ELNS0_17block_load_methodE3ELS4_3ELS4_3ELNS0_20block_scan_algorithmE0ELj4294967295EEENS1_25partition_config_selectorILNS1_17partition_subalgoE4EjNS0_10empty_typeEbEEZZNS1_14partition_implILS8_4ELb0ES6_15HIP_vector_typeIjLj2EENS0_17counting_iteratorIjlEEPS9_SG_NS0_5tupleIJPjSI_NS0_16reverse_iteratorISI_EEEEENSH_IJSG_SG_SG_EEES9_SI_JZNS1_25segmented_radix_sort_implINS0_14default_configELb0EPKdPdPKlPlN2at6native12_GLOBAL__N_18offset_tEEE10hipError_tPvRmT1_PNSt15iterator_traitsIS12_E10value_typeET2_T3_PNS13_IS18_E10value_typeET4_jRbjT5_S1E_jjP12ihipStream_tbEUljE_ZNSN_ISO_Lb0ESQ_SR_ST_SU_SY_EESZ_S10_S11_S12_S16_S17_S18_S1B_S1C_jS1D_jS1E_S1E_jjS1G_bEUljE0_EEESZ_S10_S11_S18_S1C_S1E_T6_T7_T9_mT8_S1G_bDpT10_ENKUlT_T0_E_clISt17integral_constantIbLb1EES1U_EEDaS1P_S1Q_EUlS1P_E_NS1_11comp_targetILNS1_3genE5ELNS1_11target_archE942ELNS1_3gpuE9ELNS1_3repE0EEENS1_30default_config_static_selectorELNS0_4arch9wavefront6targetE0EEEvS12_
                                        ; -- End function
	.set _ZN7rocprim17ROCPRIM_400000_NS6detail17trampoline_kernelINS0_13select_configILj256ELj13ELNS0_17block_load_methodE3ELS4_3ELS4_3ELNS0_20block_scan_algorithmE0ELj4294967295EEENS1_25partition_config_selectorILNS1_17partition_subalgoE4EjNS0_10empty_typeEbEEZZNS1_14partition_implILS8_4ELb0ES6_15HIP_vector_typeIjLj2EENS0_17counting_iteratorIjlEEPS9_SG_NS0_5tupleIJPjSI_NS0_16reverse_iteratorISI_EEEEENSH_IJSG_SG_SG_EEES9_SI_JZNS1_25segmented_radix_sort_implINS0_14default_configELb0EPKdPdPKlPlN2at6native12_GLOBAL__N_18offset_tEEE10hipError_tPvRmT1_PNSt15iterator_traitsIS12_E10value_typeET2_T3_PNS13_IS18_E10value_typeET4_jRbjT5_S1E_jjP12ihipStream_tbEUljE_ZNSN_ISO_Lb0ESQ_SR_ST_SU_SY_EESZ_S10_S11_S12_S16_S17_S18_S1B_S1C_jS1D_jS1E_S1E_jjS1G_bEUljE0_EEESZ_S10_S11_S18_S1C_S1E_T6_T7_T9_mT8_S1G_bDpT10_ENKUlT_T0_E_clISt17integral_constantIbLb1EES1U_EEDaS1P_S1Q_EUlS1P_E_NS1_11comp_targetILNS1_3genE5ELNS1_11target_archE942ELNS1_3gpuE9ELNS1_3repE0EEENS1_30default_config_static_selectorELNS0_4arch9wavefront6targetE0EEEvS12_.num_vgpr, 0
	.set _ZN7rocprim17ROCPRIM_400000_NS6detail17trampoline_kernelINS0_13select_configILj256ELj13ELNS0_17block_load_methodE3ELS4_3ELS4_3ELNS0_20block_scan_algorithmE0ELj4294967295EEENS1_25partition_config_selectorILNS1_17partition_subalgoE4EjNS0_10empty_typeEbEEZZNS1_14partition_implILS8_4ELb0ES6_15HIP_vector_typeIjLj2EENS0_17counting_iteratorIjlEEPS9_SG_NS0_5tupleIJPjSI_NS0_16reverse_iteratorISI_EEEEENSH_IJSG_SG_SG_EEES9_SI_JZNS1_25segmented_radix_sort_implINS0_14default_configELb0EPKdPdPKlPlN2at6native12_GLOBAL__N_18offset_tEEE10hipError_tPvRmT1_PNSt15iterator_traitsIS12_E10value_typeET2_T3_PNS13_IS18_E10value_typeET4_jRbjT5_S1E_jjP12ihipStream_tbEUljE_ZNSN_ISO_Lb0ESQ_SR_ST_SU_SY_EESZ_S10_S11_S12_S16_S17_S18_S1B_S1C_jS1D_jS1E_S1E_jjS1G_bEUljE0_EEESZ_S10_S11_S18_S1C_S1E_T6_T7_T9_mT8_S1G_bDpT10_ENKUlT_T0_E_clISt17integral_constantIbLb1EES1U_EEDaS1P_S1Q_EUlS1P_E_NS1_11comp_targetILNS1_3genE5ELNS1_11target_archE942ELNS1_3gpuE9ELNS1_3repE0EEENS1_30default_config_static_selectorELNS0_4arch9wavefront6targetE0EEEvS12_.num_agpr, 0
	.set _ZN7rocprim17ROCPRIM_400000_NS6detail17trampoline_kernelINS0_13select_configILj256ELj13ELNS0_17block_load_methodE3ELS4_3ELS4_3ELNS0_20block_scan_algorithmE0ELj4294967295EEENS1_25partition_config_selectorILNS1_17partition_subalgoE4EjNS0_10empty_typeEbEEZZNS1_14partition_implILS8_4ELb0ES6_15HIP_vector_typeIjLj2EENS0_17counting_iteratorIjlEEPS9_SG_NS0_5tupleIJPjSI_NS0_16reverse_iteratorISI_EEEEENSH_IJSG_SG_SG_EEES9_SI_JZNS1_25segmented_radix_sort_implINS0_14default_configELb0EPKdPdPKlPlN2at6native12_GLOBAL__N_18offset_tEEE10hipError_tPvRmT1_PNSt15iterator_traitsIS12_E10value_typeET2_T3_PNS13_IS18_E10value_typeET4_jRbjT5_S1E_jjP12ihipStream_tbEUljE_ZNSN_ISO_Lb0ESQ_SR_ST_SU_SY_EESZ_S10_S11_S12_S16_S17_S18_S1B_S1C_jS1D_jS1E_S1E_jjS1G_bEUljE0_EEESZ_S10_S11_S18_S1C_S1E_T6_T7_T9_mT8_S1G_bDpT10_ENKUlT_T0_E_clISt17integral_constantIbLb1EES1U_EEDaS1P_S1Q_EUlS1P_E_NS1_11comp_targetILNS1_3genE5ELNS1_11target_archE942ELNS1_3gpuE9ELNS1_3repE0EEENS1_30default_config_static_selectorELNS0_4arch9wavefront6targetE0EEEvS12_.numbered_sgpr, 0
	.set _ZN7rocprim17ROCPRIM_400000_NS6detail17trampoline_kernelINS0_13select_configILj256ELj13ELNS0_17block_load_methodE3ELS4_3ELS4_3ELNS0_20block_scan_algorithmE0ELj4294967295EEENS1_25partition_config_selectorILNS1_17partition_subalgoE4EjNS0_10empty_typeEbEEZZNS1_14partition_implILS8_4ELb0ES6_15HIP_vector_typeIjLj2EENS0_17counting_iteratorIjlEEPS9_SG_NS0_5tupleIJPjSI_NS0_16reverse_iteratorISI_EEEEENSH_IJSG_SG_SG_EEES9_SI_JZNS1_25segmented_radix_sort_implINS0_14default_configELb0EPKdPdPKlPlN2at6native12_GLOBAL__N_18offset_tEEE10hipError_tPvRmT1_PNSt15iterator_traitsIS12_E10value_typeET2_T3_PNS13_IS18_E10value_typeET4_jRbjT5_S1E_jjP12ihipStream_tbEUljE_ZNSN_ISO_Lb0ESQ_SR_ST_SU_SY_EESZ_S10_S11_S12_S16_S17_S18_S1B_S1C_jS1D_jS1E_S1E_jjS1G_bEUljE0_EEESZ_S10_S11_S18_S1C_S1E_T6_T7_T9_mT8_S1G_bDpT10_ENKUlT_T0_E_clISt17integral_constantIbLb1EES1U_EEDaS1P_S1Q_EUlS1P_E_NS1_11comp_targetILNS1_3genE5ELNS1_11target_archE942ELNS1_3gpuE9ELNS1_3repE0EEENS1_30default_config_static_selectorELNS0_4arch9wavefront6targetE0EEEvS12_.num_named_barrier, 0
	.set _ZN7rocprim17ROCPRIM_400000_NS6detail17trampoline_kernelINS0_13select_configILj256ELj13ELNS0_17block_load_methodE3ELS4_3ELS4_3ELNS0_20block_scan_algorithmE0ELj4294967295EEENS1_25partition_config_selectorILNS1_17partition_subalgoE4EjNS0_10empty_typeEbEEZZNS1_14partition_implILS8_4ELb0ES6_15HIP_vector_typeIjLj2EENS0_17counting_iteratorIjlEEPS9_SG_NS0_5tupleIJPjSI_NS0_16reverse_iteratorISI_EEEEENSH_IJSG_SG_SG_EEES9_SI_JZNS1_25segmented_radix_sort_implINS0_14default_configELb0EPKdPdPKlPlN2at6native12_GLOBAL__N_18offset_tEEE10hipError_tPvRmT1_PNSt15iterator_traitsIS12_E10value_typeET2_T3_PNS13_IS18_E10value_typeET4_jRbjT5_S1E_jjP12ihipStream_tbEUljE_ZNSN_ISO_Lb0ESQ_SR_ST_SU_SY_EESZ_S10_S11_S12_S16_S17_S18_S1B_S1C_jS1D_jS1E_S1E_jjS1G_bEUljE0_EEESZ_S10_S11_S18_S1C_S1E_T6_T7_T9_mT8_S1G_bDpT10_ENKUlT_T0_E_clISt17integral_constantIbLb1EES1U_EEDaS1P_S1Q_EUlS1P_E_NS1_11comp_targetILNS1_3genE5ELNS1_11target_archE942ELNS1_3gpuE9ELNS1_3repE0EEENS1_30default_config_static_selectorELNS0_4arch9wavefront6targetE0EEEvS12_.private_seg_size, 0
	.set _ZN7rocprim17ROCPRIM_400000_NS6detail17trampoline_kernelINS0_13select_configILj256ELj13ELNS0_17block_load_methodE3ELS4_3ELS4_3ELNS0_20block_scan_algorithmE0ELj4294967295EEENS1_25partition_config_selectorILNS1_17partition_subalgoE4EjNS0_10empty_typeEbEEZZNS1_14partition_implILS8_4ELb0ES6_15HIP_vector_typeIjLj2EENS0_17counting_iteratorIjlEEPS9_SG_NS0_5tupleIJPjSI_NS0_16reverse_iteratorISI_EEEEENSH_IJSG_SG_SG_EEES9_SI_JZNS1_25segmented_radix_sort_implINS0_14default_configELb0EPKdPdPKlPlN2at6native12_GLOBAL__N_18offset_tEEE10hipError_tPvRmT1_PNSt15iterator_traitsIS12_E10value_typeET2_T3_PNS13_IS18_E10value_typeET4_jRbjT5_S1E_jjP12ihipStream_tbEUljE_ZNSN_ISO_Lb0ESQ_SR_ST_SU_SY_EESZ_S10_S11_S12_S16_S17_S18_S1B_S1C_jS1D_jS1E_S1E_jjS1G_bEUljE0_EEESZ_S10_S11_S18_S1C_S1E_T6_T7_T9_mT8_S1G_bDpT10_ENKUlT_T0_E_clISt17integral_constantIbLb1EES1U_EEDaS1P_S1Q_EUlS1P_E_NS1_11comp_targetILNS1_3genE5ELNS1_11target_archE942ELNS1_3gpuE9ELNS1_3repE0EEENS1_30default_config_static_selectorELNS0_4arch9wavefront6targetE0EEEvS12_.uses_vcc, 0
	.set _ZN7rocprim17ROCPRIM_400000_NS6detail17trampoline_kernelINS0_13select_configILj256ELj13ELNS0_17block_load_methodE3ELS4_3ELS4_3ELNS0_20block_scan_algorithmE0ELj4294967295EEENS1_25partition_config_selectorILNS1_17partition_subalgoE4EjNS0_10empty_typeEbEEZZNS1_14partition_implILS8_4ELb0ES6_15HIP_vector_typeIjLj2EENS0_17counting_iteratorIjlEEPS9_SG_NS0_5tupleIJPjSI_NS0_16reverse_iteratorISI_EEEEENSH_IJSG_SG_SG_EEES9_SI_JZNS1_25segmented_radix_sort_implINS0_14default_configELb0EPKdPdPKlPlN2at6native12_GLOBAL__N_18offset_tEEE10hipError_tPvRmT1_PNSt15iterator_traitsIS12_E10value_typeET2_T3_PNS13_IS18_E10value_typeET4_jRbjT5_S1E_jjP12ihipStream_tbEUljE_ZNSN_ISO_Lb0ESQ_SR_ST_SU_SY_EESZ_S10_S11_S12_S16_S17_S18_S1B_S1C_jS1D_jS1E_S1E_jjS1G_bEUljE0_EEESZ_S10_S11_S18_S1C_S1E_T6_T7_T9_mT8_S1G_bDpT10_ENKUlT_T0_E_clISt17integral_constantIbLb1EES1U_EEDaS1P_S1Q_EUlS1P_E_NS1_11comp_targetILNS1_3genE5ELNS1_11target_archE942ELNS1_3gpuE9ELNS1_3repE0EEENS1_30default_config_static_selectorELNS0_4arch9wavefront6targetE0EEEvS12_.uses_flat_scratch, 0
	.set _ZN7rocprim17ROCPRIM_400000_NS6detail17trampoline_kernelINS0_13select_configILj256ELj13ELNS0_17block_load_methodE3ELS4_3ELS4_3ELNS0_20block_scan_algorithmE0ELj4294967295EEENS1_25partition_config_selectorILNS1_17partition_subalgoE4EjNS0_10empty_typeEbEEZZNS1_14partition_implILS8_4ELb0ES6_15HIP_vector_typeIjLj2EENS0_17counting_iteratorIjlEEPS9_SG_NS0_5tupleIJPjSI_NS0_16reverse_iteratorISI_EEEEENSH_IJSG_SG_SG_EEES9_SI_JZNS1_25segmented_radix_sort_implINS0_14default_configELb0EPKdPdPKlPlN2at6native12_GLOBAL__N_18offset_tEEE10hipError_tPvRmT1_PNSt15iterator_traitsIS12_E10value_typeET2_T3_PNS13_IS18_E10value_typeET4_jRbjT5_S1E_jjP12ihipStream_tbEUljE_ZNSN_ISO_Lb0ESQ_SR_ST_SU_SY_EESZ_S10_S11_S12_S16_S17_S18_S1B_S1C_jS1D_jS1E_S1E_jjS1G_bEUljE0_EEESZ_S10_S11_S18_S1C_S1E_T6_T7_T9_mT8_S1G_bDpT10_ENKUlT_T0_E_clISt17integral_constantIbLb1EES1U_EEDaS1P_S1Q_EUlS1P_E_NS1_11comp_targetILNS1_3genE5ELNS1_11target_archE942ELNS1_3gpuE9ELNS1_3repE0EEENS1_30default_config_static_selectorELNS0_4arch9wavefront6targetE0EEEvS12_.has_dyn_sized_stack, 0
	.set _ZN7rocprim17ROCPRIM_400000_NS6detail17trampoline_kernelINS0_13select_configILj256ELj13ELNS0_17block_load_methodE3ELS4_3ELS4_3ELNS0_20block_scan_algorithmE0ELj4294967295EEENS1_25partition_config_selectorILNS1_17partition_subalgoE4EjNS0_10empty_typeEbEEZZNS1_14partition_implILS8_4ELb0ES6_15HIP_vector_typeIjLj2EENS0_17counting_iteratorIjlEEPS9_SG_NS0_5tupleIJPjSI_NS0_16reverse_iteratorISI_EEEEENSH_IJSG_SG_SG_EEES9_SI_JZNS1_25segmented_radix_sort_implINS0_14default_configELb0EPKdPdPKlPlN2at6native12_GLOBAL__N_18offset_tEEE10hipError_tPvRmT1_PNSt15iterator_traitsIS12_E10value_typeET2_T3_PNS13_IS18_E10value_typeET4_jRbjT5_S1E_jjP12ihipStream_tbEUljE_ZNSN_ISO_Lb0ESQ_SR_ST_SU_SY_EESZ_S10_S11_S12_S16_S17_S18_S1B_S1C_jS1D_jS1E_S1E_jjS1G_bEUljE0_EEESZ_S10_S11_S18_S1C_S1E_T6_T7_T9_mT8_S1G_bDpT10_ENKUlT_T0_E_clISt17integral_constantIbLb1EES1U_EEDaS1P_S1Q_EUlS1P_E_NS1_11comp_targetILNS1_3genE5ELNS1_11target_archE942ELNS1_3gpuE9ELNS1_3repE0EEENS1_30default_config_static_selectorELNS0_4arch9wavefront6targetE0EEEvS12_.has_recursion, 0
	.set _ZN7rocprim17ROCPRIM_400000_NS6detail17trampoline_kernelINS0_13select_configILj256ELj13ELNS0_17block_load_methodE3ELS4_3ELS4_3ELNS0_20block_scan_algorithmE0ELj4294967295EEENS1_25partition_config_selectorILNS1_17partition_subalgoE4EjNS0_10empty_typeEbEEZZNS1_14partition_implILS8_4ELb0ES6_15HIP_vector_typeIjLj2EENS0_17counting_iteratorIjlEEPS9_SG_NS0_5tupleIJPjSI_NS0_16reverse_iteratorISI_EEEEENSH_IJSG_SG_SG_EEES9_SI_JZNS1_25segmented_radix_sort_implINS0_14default_configELb0EPKdPdPKlPlN2at6native12_GLOBAL__N_18offset_tEEE10hipError_tPvRmT1_PNSt15iterator_traitsIS12_E10value_typeET2_T3_PNS13_IS18_E10value_typeET4_jRbjT5_S1E_jjP12ihipStream_tbEUljE_ZNSN_ISO_Lb0ESQ_SR_ST_SU_SY_EESZ_S10_S11_S12_S16_S17_S18_S1B_S1C_jS1D_jS1E_S1E_jjS1G_bEUljE0_EEESZ_S10_S11_S18_S1C_S1E_T6_T7_T9_mT8_S1G_bDpT10_ENKUlT_T0_E_clISt17integral_constantIbLb1EES1U_EEDaS1P_S1Q_EUlS1P_E_NS1_11comp_targetILNS1_3genE5ELNS1_11target_archE942ELNS1_3gpuE9ELNS1_3repE0EEENS1_30default_config_static_selectorELNS0_4arch9wavefront6targetE0EEEvS12_.has_indirect_call, 0
	.section	.AMDGPU.csdata,"",@progbits
; Kernel info:
; codeLenInByte = 0
; TotalNumSgprs: 0
; NumVgprs: 0
; ScratchSize: 0
; MemoryBound: 0
; FloatMode: 240
; IeeeMode: 1
; LDSByteSize: 0 bytes/workgroup (compile time only)
; SGPRBlocks: 0
; VGPRBlocks: 0
; NumSGPRsForWavesPerEU: 1
; NumVGPRsForWavesPerEU: 1
; NamedBarCnt: 0
; Occupancy: 16
; WaveLimiterHint : 0
; COMPUTE_PGM_RSRC2:SCRATCH_EN: 0
; COMPUTE_PGM_RSRC2:USER_SGPR: 2
; COMPUTE_PGM_RSRC2:TRAP_HANDLER: 0
; COMPUTE_PGM_RSRC2:TGID_X_EN: 1
; COMPUTE_PGM_RSRC2:TGID_Y_EN: 0
; COMPUTE_PGM_RSRC2:TGID_Z_EN: 0
; COMPUTE_PGM_RSRC2:TIDIG_COMP_CNT: 0
	.section	.text._ZN7rocprim17ROCPRIM_400000_NS6detail17trampoline_kernelINS0_13select_configILj256ELj13ELNS0_17block_load_methodE3ELS4_3ELS4_3ELNS0_20block_scan_algorithmE0ELj4294967295EEENS1_25partition_config_selectorILNS1_17partition_subalgoE4EjNS0_10empty_typeEbEEZZNS1_14partition_implILS8_4ELb0ES6_15HIP_vector_typeIjLj2EENS0_17counting_iteratorIjlEEPS9_SG_NS0_5tupleIJPjSI_NS0_16reverse_iteratorISI_EEEEENSH_IJSG_SG_SG_EEES9_SI_JZNS1_25segmented_radix_sort_implINS0_14default_configELb0EPKdPdPKlPlN2at6native12_GLOBAL__N_18offset_tEEE10hipError_tPvRmT1_PNSt15iterator_traitsIS12_E10value_typeET2_T3_PNS13_IS18_E10value_typeET4_jRbjT5_S1E_jjP12ihipStream_tbEUljE_ZNSN_ISO_Lb0ESQ_SR_ST_SU_SY_EESZ_S10_S11_S12_S16_S17_S18_S1B_S1C_jS1D_jS1E_S1E_jjS1G_bEUljE0_EEESZ_S10_S11_S18_S1C_S1E_T6_T7_T9_mT8_S1G_bDpT10_ENKUlT_T0_E_clISt17integral_constantIbLb1EES1U_EEDaS1P_S1Q_EUlS1P_E_NS1_11comp_targetILNS1_3genE4ELNS1_11target_archE910ELNS1_3gpuE8ELNS1_3repE0EEENS1_30default_config_static_selectorELNS0_4arch9wavefront6targetE0EEEvS12_,"axG",@progbits,_ZN7rocprim17ROCPRIM_400000_NS6detail17trampoline_kernelINS0_13select_configILj256ELj13ELNS0_17block_load_methodE3ELS4_3ELS4_3ELNS0_20block_scan_algorithmE0ELj4294967295EEENS1_25partition_config_selectorILNS1_17partition_subalgoE4EjNS0_10empty_typeEbEEZZNS1_14partition_implILS8_4ELb0ES6_15HIP_vector_typeIjLj2EENS0_17counting_iteratorIjlEEPS9_SG_NS0_5tupleIJPjSI_NS0_16reverse_iteratorISI_EEEEENSH_IJSG_SG_SG_EEES9_SI_JZNS1_25segmented_radix_sort_implINS0_14default_configELb0EPKdPdPKlPlN2at6native12_GLOBAL__N_18offset_tEEE10hipError_tPvRmT1_PNSt15iterator_traitsIS12_E10value_typeET2_T3_PNS13_IS18_E10value_typeET4_jRbjT5_S1E_jjP12ihipStream_tbEUljE_ZNSN_ISO_Lb0ESQ_SR_ST_SU_SY_EESZ_S10_S11_S12_S16_S17_S18_S1B_S1C_jS1D_jS1E_S1E_jjS1G_bEUljE0_EEESZ_S10_S11_S18_S1C_S1E_T6_T7_T9_mT8_S1G_bDpT10_ENKUlT_T0_E_clISt17integral_constantIbLb1EES1U_EEDaS1P_S1Q_EUlS1P_E_NS1_11comp_targetILNS1_3genE4ELNS1_11target_archE910ELNS1_3gpuE8ELNS1_3repE0EEENS1_30default_config_static_selectorELNS0_4arch9wavefront6targetE0EEEvS12_,comdat
	.globl	_ZN7rocprim17ROCPRIM_400000_NS6detail17trampoline_kernelINS0_13select_configILj256ELj13ELNS0_17block_load_methodE3ELS4_3ELS4_3ELNS0_20block_scan_algorithmE0ELj4294967295EEENS1_25partition_config_selectorILNS1_17partition_subalgoE4EjNS0_10empty_typeEbEEZZNS1_14partition_implILS8_4ELb0ES6_15HIP_vector_typeIjLj2EENS0_17counting_iteratorIjlEEPS9_SG_NS0_5tupleIJPjSI_NS0_16reverse_iteratorISI_EEEEENSH_IJSG_SG_SG_EEES9_SI_JZNS1_25segmented_radix_sort_implINS0_14default_configELb0EPKdPdPKlPlN2at6native12_GLOBAL__N_18offset_tEEE10hipError_tPvRmT1_PNSt15iterator_traitsIS12_E10value_typeET2_T3_PNS13_IS18_E10value_typeET4_jRbjT5_S1E_jjP12ihipStream_tbEUljE_ZNSN_ISO_Lb0ESQ_SR_ST_SU_SY_EESZ_S10_S11_S12_S16_S17_S18_S1B_S1C_jS1D_jS1E_S1E_jjS1G_bEUljE0_EEESZ_S10_S11_S18_S1C_S1E_T6_T7_T9_mT8_S1G_bDpT10_ENKUlT_T0_E_clISt17integral_constantIbLb1EES1U_EEDaS1P_S1Q_EUlS1P_E_NS1_11comp_targetILNS1_3genE4ELNS1_11target_archE910ELNS1_3gpuE8ELNS1_3repE0EEENS1_30default_config_static_selectorELNS0_4arch9wavefront6targetE0EEEvS12_ ; -- Begin function _ZN7rocprim17ROCPRIM_400000_NS6detail17trampoline_kernelINS0_13select_configILj256ELj13ELNS0_17block_load_methodE3ELS4_3ELS4_3ELNS0_20block_scan_algorithmE0ELj4294967295EEENS1_25partition_config_selectorILNS1_17partition_subalgoE4EjNS0_10empty_typeEbEEZZNS1_14partition_implILS8_4ELb0ES6_15HIP_vector_typeIjLj2EENS0_17counting_iteratorIjlEEPS9_SG_NS0_5tupleIJPjSI_NS0_16reverse_iteratorISI_EEEEENSH_IJSG_SG_SG_EEES9_SI_JZNS1_25segmented_radix_sort_implINS0_14default_configELb0EPKdPdPKlPlN2at6native12_GLOBAL__N_18offset_tEEE10hipError_tPvRmT1_PNSt15iterator_traitsIS12_E10value_typeET2_T3_PNS13_IS18_E10value_typeET4_jRbjT5_S1E_jjP12ihipStream_tbEUljE_ZNSN_ISO_Lb0ESQ_SR_ST_SU_SY_EESZ_S10_S11_S12_S16_S17_S18_S1B_S1C_jS1D_jS1E_S1E_jjS1G_bEUljE0_EEESZ_S10_S11_S18_S1C_S1E_T6_T7_T9_mT8_S1G_bDpT10_ENKUlT_T0_E_clISt17integral_constantIbLb1EES1U_EEDaS1P_S1Q_EUlS1P_E_NS1_11comp_targetILNS1_3genE4ELNS1_11target_archE910ELNS1_3gpuE8ELNS1_3repE0EEENS1_30default_config_static_selectorELNS0_4arch9wavefront6targetE0EEEvS12_
	.p2align	8
	.type	_ZN7rocprim17ROCPRIM_400000_NS6detail17trampoline_kernelINS0_13select_configILj256ELj13ELNS0_17block_load_methodE3ELS4_3ELS4_3ELNS0_20block_scan_algorithmE0ELj4294967295EEENS1_25partition_config_selectorILNS1_17partition_subalgoE4EjNS0_10empty_typeEbEEZZNS1_14partition_implILS8_4ELb0ES6_15HIP_vector_typeIjLj2EENS0_17counting_iteratorIjlEEPS9_SG_NS0_5tupleIJPjSI_NS0_16reverse_iteratorISI_EEEEENSH_IJSG_SG_SG_EEES9_SI_JZNS1_25segmented_radix_sort_implINS0_14default_configELb0EPKdPdPKlPlN2at6native12_GLOBAL__N_18offset_tEEE10hipError_tPvRmT1_PNSt15iterator_traitsIS12_E10value_typeET2_T3_PNS13_IS18_E10value_typeET4_jRbjT5_S1E_jjP12ihipStream_tbEUljE_ZNSN_ISO_Lb0ESQ_SR_ST_SU_SY_EESZ_S10_S11_S12_S16_S17_S18_S1B_S1C_jS1D_jS1E_S1E_jjS1G_bEUljE0_EEESZ_S10_S11_S18_S1C_S1E_T6_T7_T9_mT8_S1G_bDpT10_ENKUlT_T0_E_clISt17integral_constantIbLb1EES1U_EEDaS1P_S1Q_EUlS1P_E_NS1_11comp_targetILNS1_3genE4ELNS1_11target_archE910ELNS1_3gpuE8ELNS1_3repE0EEENS1_30default_config_static_selectorELNS0_4arch9wavefront6targetE0EEEvS12_,@function
_ZN7rocprim17ROCPRIM_400000_NS6detail17trampoline_kernelINS0_13select_configILj256ELj13ELNS0_17block_load_methodE3ELS4_3ELS4_3ELNS0_20block_scan_algorithmE0ELj4294967295EEENS1_25partition_config_selectorILNS1_17partition_subalgoE4EjNS0_10empty_typeEbEEZZNS1_14partition_implILS8_4ELb0ES6_15HIP_vector_typeIjLj2EENS0_17counting_iteratorIjlEEPS9_SG_NS0_5tupleIJPjSI_NS0_16reverse_iteratorISI_EEEEENSH_IJSG_SG_SG_EEES9_SI_JZNS1_25segmented_radix_sort_implINS0_14default_configELb0EPKdPdPKlPlN2at6native12_GLOBAL__N_18offset_tEEE10hipError_tPvRmT1_PNSt15iterator_traitsIS12_E10value_typeET2_T3_PNS13_IS18_E10value_typeET4_jRbjT5_S1E_jjP12ihipStream_tbEUljE_ZNSN_ISO_Lb0ESQ_SR_ST_SU_SY_EESZ_S10_S11_S12_S16_S17_S18_S1B_S1C_jS1D_jS1E_S1E_jjS1G_bEUljE0_EEESZ_S10_S11_S18_S1C_S1E_T6_T7_T9_mT8_S1G_bDpT10_ENKUlT_T0_E_clISt17integral_constantIbLb1EES1U_EEDaS1P_S1Q_EUlS1P_E_NS1_11comp_targetILNS1_3genE4ELNS1_11target_archE910ELNS1_3gpuE8ELNS1_3repE0EEENS1_30default_config_static_selectorELNS0_4arch9wavefront6targetE0EEEvS12_: ; @_ZN7rocprim17ROCPRIM_400000_NS6detail17trampoline_kernelINS0_13select_configILj256ELj13ELNS0_17block_load_methodE3ELS4_3ELS4_3ELNS0_20block_scan_algorithmE0ELj4294967295EEENS1_25partition_config_selectorILNS1_17partition_subalgoE4EjNS0_10empty_typeEbEEZZNS1_14partition_implILS8_4ELb0ES6_15HIP_vector_typeIjLj2EENS0_17counting_iteratorIjlEEPS9_SG_NS0_5tupleIJPjSI_NS0_16reverse_iteratorISI_EEEEENSH_IJSG_SG_SG_EEES9_SI_JZNS1_25segmented_radix_sort_implINS0_14default_configELb0EPKdPdPKlPlN2at6native12_GLOBAL__N_18offset_tEEE10hipError_tPvRmT1_PNSt15iterator_traitsIS12_E10value_typeET2_T3_PNS13_IS18_E10value_typeET4_jRbjT5_S1E_jjP12ihipStream_tbEUljE_ZNSN_ISO_Lb0ESQ_SR_ST_SU_SY_EESZ_S10_S11_S12_S16_S17_S18_S1B_S1C_jS1D_jS1E_S1E_jjS1G_bEUljE0_EEESZ_S10_S11_S18_S1C_S1E_T6_T7_T9_mT8_S1G_bDpT10_ENKUlT_T0_E_clISt17integral_constantIbLb1EES1U_EEDaS1P_S1Q_EUlS1P_E_NS1_11comp_targetILNS1_3genE4ELNS1_11target_archE910ELNS1_3gpuE8ELNS1_3repE0EEENS1_30default_config_static_selectorELNS0_4arch9wavefront6targetE0EEEvS12_
; %bb.0:
	.section	.rodata,"a",@progbits
	.p2align	6, 0x0
	.amdhsa_kernel _ZN7rocprim17ROCPRIM_400000_NS6detail17trampoline_kernelINS0_13select_configILj256ELj13ELNS0_17block_load_methodE3ELS4_3ELS4_3ELNS0_20block_scan_algorithmE0ELj4294967295EEENS1_25partition_config_selectorILNS1_17partition_subalgoE4EjNS0_10empty_typeEbEEZZNS1_14partition_implILS8_4ELb0ES6_15HIP_vector_typeIjLj2EENS0_17counting_iteratorIjlEEPS9_SG_NS0_5tupleIJPjSI_NS0_16reverse_iteratorISI_EEEEENSH_IJSG_SG_SG_EEES9_SI_JZNS1_25segmented_radix_sort_implINS0_14default_configELb0EPKdPdPKlPlN2at6native12_GLOBAL__N_18offset_tEEE10hipError_tPvRmT1_PNSt15iterator_traitsIS12_E10value_typeET2_T3_PNS13_IS18_E10value_typeET4_jRbjT5_S1E_jjP12ihipStream_tbEUljE_ZNSN_ISO_Lb0ESQ_SR_ST_SU_SY_EESZ_S10_S11_S12_S16_S17_S18_S1B_S1C_jS1D_jS1E_S1E_jjS1G_bEUljE0_EEESZ_S10_S11_S18_S1C_S1E_T6_T7_T9_mT8_S1G_bDpT10_ENKUlT_T0_E_clISt17integral_constantIbLb1EES1U_EEDaS1P_S1Q_EUlS1P_E_NS1_11comp_targetILNS1_3genE4ELNS1_11target_archE910ELNS1_3gpuE8ELNS1_3repE0EEENS1_30default_config_static_selectorELNS0_4arch9wavefront6targetE0EEEvS12_
		.amdhsa_group_segment_fixed_size 0
		.amdhsa_private_segment_fixed_size 0
		.amdhsa_kernarg_size 184
		.amdhsa_user_sgpr_count 2
		.amdhsa_user_sgpr_dispatch_ptr 0
		.amdhsa_user_sgpr_queue_ptr 0
		.amdhsa_user_sgpr_kernarg_segment_ptr 1
		.amdhsa_user_sgpr_dispatch_id 0
		.amdhsa_user_sgpr_kernarg_preload_length 0
		.amdhsa_user_sgpr_kernarg_preload_offset 0
		.amdhsa_user_sgpr_private_segment_size 0
		.amdhsa_wavefront_size32 1
		.amdhsa_uses_dynamic_stack 0
		.amdhsa_enable_private_segment 0
		.amdhsa_system_sgpr_workgroup_id_x 1
		.amdhsa_system_sgpr_workgroup_id_y 0
		.amdhsa_system_sgpr_workgroup_id_z 0
		.amdhsa_system_sgpr_workgroup_info 0
		.amdhsa_system_vgpr_workitem_id 0
		.amdhsa_next_free_vgpr 1
		.amdhsa_next_free_sgpr 1
		.amdhsa_named_barrier_count 0
		.amdhsa_reserve_vcc 0
		.amdhsa_float_round_mode_32 0
		.amdhsa_float_round_mode_16_64 0
		.amdhsa_float_denorm_mode_32 3
		.amdhsa_float_denorm_mode_16_64 3
		.amdhsa_fp16_overflow 0
		.amdhsa_memory_ordered 1
		.amdhsa_forward_progress 1
		.amdhsa_inst_pref_size 0
		.amdhsa_round_robin_scheduling 0
		.amdhsa_exception_fp_ieee_invalid_op 0
		.amdhsa_exception_fp_denorm_src 0
		.amdhsa_exception_fp_ieee_div_zero 0
		.amdhsa_exception_fp_ieee_overflow 0
		.amdhsa_exception_fp_ieee_underflow 0
		.amdhsa_exception_fp_ieee_inexact 0
		.amdhsa_exception_int_div_zero 0
	.end_amdhsa_kernel
	.section	.text._ZN7rocprim17ROCPRIM_400000_NS6detail17trampoline_kernelINS0_13select_configILj256ELj13ELNS0_17block_load_methodE3ELS4_3ELS4_3ELNS0_20block_scan_algorithmE0ELj4294967295EEENS1_25partition_config_selectorILNS1_17partition_subalgoE4EjNS0_10empty_typeEbEEZZNS1_14partition_implILS8_4ELb0ES6_15HIP_vector_typeIjLj2EENS0_17counting_iteratorIjlEEPS9_SG_NS0_5tupleIJPjSI_NS0_16reverse_iteratorISI_EEEEENSH_IJSG_SG_SG_EEES9_SI_JZNS1_25segmented_radix_sort_implINS0_14default_configELb0EPKdPdPKlPlN2at6native12_GLOBAL__N_18offset_tEEE10hipError_tPvRmT1_PNSt15iterator_traitsIS12_E10value_typeET2_T3_PNS13_IS18_E10value_typeET4_jRbjT5_S1E_jjP12ihipStream_tbEUljE_ZNSN_ISO_Lb0ESQ_SR_ST_SU_SY_EESZ_S10_S11_S12_S16_S17_S18_S1B_S1C_jS1D_jS1E_S1E_jjS1G_bEUljE0_EEESZ_S10_S11_S18_S1C_S1E_T6_T7_T9_mT8_S1G_bDpT10_ENKUlT_T0_E_clISt17integral_constantIbLb1EES1U_EEDaS1P_S1Q_EUlS1P_E_NS1_11comp_targetILNS1_3genE4ELNS1_11target_archE910ELNS1_3gpuE8ELNS1_3repE0EEENS1_30default_config_static_selectorELNS0_4arch9wavefront6targetE0EEEvS12_,"axG",@progbits,_ZN7rocprim17ROCPRIM_400000_NS6detail17trampoline_kernelINS0_13select_configILj256ELj13ELNS0_17block_load_methodE3ELS4_3ELS4_3ELNS0_20block_scan_algorithmE0ELj4294967295EEENS1_25partition_config_selectorILNS1_17partition_subalgoE4EjNS0_10empty_typeEbEEZZNS1_14partition_implILS8_4ELb0ES6_15HIP_vector_typeIjLj2EENS0_17counting_iteratorIjlEEPS9_SG_NS0_5tupleIJPjSI_NS0_16reverse_iteratorISI_EEEEENSH_IJSG_SG_SG_EEES9_SI_JZNS1_25segmented_radix_sort_implINS0_14default_configELb0EPKdPdPKlPlN2at6native12_GLOBAL__N_18offset_tEEE10hipError_tPvRmT1_PNSt15iterator_traitsIS12_E10value_typeET2_T3_PNS13_IS18_E10value_typeET4_jRbjT5_S1E_jjP12ihipStream_tbEUljE_ZNSN_ISO_Lb0ESQ_SR_ST_SU_SY_EESZ_S10_S11_S12_S16_S17_S18_S1B_S1C_jS1D_jS1E_S1E_jjS1G_bEUljE0_EEESZ_S10_S11_S18_S1C_S1E_T6_T7_T9_mT8_S1G_bDpT10_ENKUlT_T0_E_clISt17integral_constantIbLb1EES1U_EEDaS1P_S1Q_EUlS1P_E_NS1_11comp_targetILNS1_3genE4ELNS1_11target_archE910ELNS1_3gpuE8ELNS1_3repE0EEENS1_30default_config_static_selectorELNS0_4arch9wavefront6targetE0EEEvS12_,comdat
.Lfunc_end1161:
	.size	_ZN7rocprim17ROCPRIM_400000_NS6detail17trampoline_kernelINS0_13select_configILj256ELj13ELNS0_17block_load_methodE3ELS4_3ELS4_3ELNS0_20block_scan_algorithmE0ELj4294967295EEENS1_25partition_config_selectorILNS1_17partition_subalgoE4EjNS0_10empty_typeEbEEZZNS1_14partition_implILS8_4ELb0ES6_15HIP_vector_typeIjLj2EENS0_17counting_iteratorIjlEEPS9_SG_NS0_5tupleIJPjSI_NS0_16reverse_iteratorISI_EEEEENSH_IJSG_SG_SG_EEES9_SI_JZNS1_25segmented_radix_sort_implINS0_14default_configELb0EPKdPdPKlPlN2at6native12_GLOBAL__N_18offset_tEEE10hipError_tPvRmT1_PNSt15iterator_traitsIS12_E10value_typeET2_T3_PNS13_IS18_E10value_typeET4_jRbjT5_S1E_jjP12ihipStream_tbEUljE_ZNSN_ISO_Lb0ESQ_SR_ST_SU_SY_EESZ_S10_S11_S12_S16_S17_S18_S1B_S1C_jS1D_jS1E_S1E_jjS1G_bEUljE0_EEESZ_S10_S11_S18_S1C_S1E_T6_T7_T9_mT8_S1G_bDpT10_ENKUlT_T0_E_clISt17integral_constantIbLb1EES1U_EEDaS1P_S1Q_EUlS1P_E_NS1_11comp_targetILNS1_3genE4ELNS1_11target_archE910ELNS1_3gpuE8ELNS1_3repE0EEENS1_30default_config_static_selectorELNS0_4arch9wavefront6targetE0EEEvS12_, .Lfunc_end1161-_ZN7rocprim17ROCPRIM_400000_NS6detail17trampoline_kernelINS0_13select_configILj256ELj13ELNS0_17block_load_methodE3ELS4_3ELS4_3ELNS0_20block_scan_algorithmE0ELj4294967295EEENS1_25partition_config_selectorILNS1_17partition_subalgoE4EjNS0_10empty_typeEbEEZZNS1_14partition_implILS8_4ELb0ES6_15HIP_vector_typeIjLj2EENS0_17counting_iteratorIjlEEPS9_SG_NS0_5tupleIJPjSI_NS0_16reverse_iteratorISI_EEEEENSH_IJSG_SG_SG_EEES9_SI_JZNS1_25segmented_radix_sort_implINS0_14default_configELb0EPKdPdPKlPlN2at6native12_GLOBAL__N_18offset_tEEE10hipError_tPvRmT1_PNSt15iterator_traitsIS12_E10value_typeET2_T3_PNS13_IS18_E10value_typeET4_jRbjT5_S1E_jjP12ihipStream_tbEUljE_ZNSN_ISO_Lb0ESQ_SR_ST_SU_SY_EESZ_S10_S11_S12_S16_S17_S18_S1B_S1C_jS1D_jS1E_S1E_jjS1G_bEUljE0_EEESZ_S10_S11_S18_S1C_S1E_T6_T7_T9_mT8_S1G_bDpT10_ENKUlT_T0_E_clISt17integral_constantIbLb1EES1U_EEDaS1P_S1Q_EUlS1P_E_NS1_11comp_targetILNS1_3genE4ELNS1_11target_archE910ELNS1_3gpuE8ELNS1_3repE0EEENS1_30default_config_static_selectorELNS0_4arch9wavefront6targetE0EEEvS12_
                                        ; -- End function
	.set _ZN7rocprim17ROCPRIM_400000_NS6detail17trampoline_kernelINS0_13select_configILj256ELj13ELNS0_17block_load_methodE3ELS4_3ELS4_3ELNS0_20block_scan_algorithmE0ELj4294967295EEENS1_25partition_config_selectorILNS1_17partition_subalgoE4EjNS0_10empty_typeEbEEZZNS1_14partition_implILS8_4ELb0ES6_15HIP_vector_typeIjLj2EENS0_17counting_iteratorIjlEEPS9_SG_NS0_5tupleIJPjSI_NS0_16reverse_iteratorISI_EEEEENSH_IJSG_SG_SG_EEES9_SI_JZNS1_25segmented_radix_sort_implINS0_14default_configELb0EPKdPdPKlPlN2at6native12_GLOBAL__N_18offset_tEEE10hipError_tPvRmT1_PNSt15iterator_traitsIS12_E10value_typeET2_T3_PNS13_IS18_E10value_typeET4_jRbjT5_S1E_jjP12ihipStream_tbEUljE_ZNSN_ISO_Lb0ESQ_SR_ST_SU_SY_EESZ_S10_S11_S12_S16_S17_S18_S1B_S1C_jS1D_jS1E_S1E_jjS1G_bEUljE0_EEESZ_S10_S11_S18_S1C_S1E_T6_T7_T9_mT8_S1G_bDpT10_ENKUlT_T0_E_clISt17integral_constantIbLb1EES1U_EEDaS1P_S1Q_EUlS1P_E_NS1_11comp_targetILNS1_3genE4ELNS1_11target_archE910ELNS1_3gpuE8ELNS1_3repE0EEENS1_30default_config_static_selectorELNS0_4arch9wavefront6targetE0EEEvS12_.num_vgpr, 0
	.set _ZN7rocprim17ROCPRIM_400000_NS6detail17trampoline_kernelINS0_13select_configILj256ELj13ELNS0_17block_load_methodE3ELS4_3ELS4_3ELNS0_20block_scan_algorithmE0ELj4294967295EEENS1_25partition_config_selectorILNS1_17partition_subalgoE4EjNS0_10empty_typeEbEEZZNS1_14partition_implILS8_4ELb0ES6_15HIP_vector_typeIjLj2EENS0_17counting_iteratorIjlEEPS9_SG_NS0_5tupleIJPjSI_NS0_16reverse_iteratorISI_EEEEENSH_IJSG_SG_SG_EEES9_SI_JZNS1_25segmented_radix_sort_implINS0_14default_configELb0EPKdPdPKlPlN2at6native12_GLOBAL__N_18offset_tEEE10hipError_tPvRmT1_PNSt15iterator_traitsIS12_E10value_typeET2_T3_PNS13_IS18_E10value_typeET4_jRbjT5_S1E_jjP12ihipStream_tbEUljE_ZNSN_ISO_Lb0ESQ_SR_ST_SU_SY_EESZ_S10_S11_S12_S16_S17_S18_S1B_S1C_jS1D_jS1E_S1E_jjS1G_bEUljE0_EEESZ_S10_S11_S18_S1C_S1E_T6_T7_T9_mT8_S1G_bDpT10_ENKUlT_T0_E_clISt17integral_constantIbLb1EES1U_EEDaS1P_S1Q_EUlS1P_E_NS1_11comp_targetILNS1_3genE4ELNS1_11target_archE910ELNS1_3gpuE8ELNS1_3repE0EEENS1_30default_config_static_selectorELNS0_4arch9wavefront6targetE0EEEvS12_.num_agpr, 0
	.set _ZN7rocprim17ROCPRIM_400000_NS6detail17trampoline_kernelINS0_13select_configILj256ELj13ELNS0_17block_load_methodE3ELS4_3ELS4_3ELNS0_20block_scan_algorithmE0ELj4294967295EEENS1_25partition_config_selectorILNS1_17partition_subalgoE4EjNS0_10empty_typeEbEEZZNS1_14partition_implILS8_4ELb0ES6_15HIP_vector_typeIjLj2EENS0_17counting_iteratorIjlEEPS9_SG_NS0_5tupleIJPjSI_NS0_16reverse_iteratorISI_EEEEENSH_IJSG_SG_SG_EEES9_SI_JZNS1_25segmented_radix_sort_implINS0_14default_configELb0EPKdPdPKlPlN2at6native12_GLOBAL__N_18offset_tEEE10hipError_tPvRmT1_PNSt15iterator_traitsIS12_E10value_typeET2_T3_PNS13_IS18_E10value_typeET4_jRbjT5_S1E_jjP12ihipStream_tbEUljE_ZNSN_ISO_Lb0ESQ_SR_ST_SU_SY_EESZ_S10_S11_S12_S16_S17_S18_S1B_S1C_jS1D_jS1E_S1E_jjS1G_bEUljE0_EEESZ_S10_S11_S18_S1C_S1E_T6_T7_T9_mT8_S1G_bDpT10_ENKUlT_T0_E_clISt17integral_constantIbLb1EES1U_EEDaS1P_S1Q_EUlS1P_E_NS1_11comp_targetILNS1_3genE4ELNS1_11target_archE910ELNS1_3gpuE8ELNS1_3repE0EEENS1_30default_config_static_selectorELNS0_4arch9wavefront6targetE0EEEvS12_.numbered_sgpr, 0
	.set _ZN7rocprim17ROCPRIM_400000_NS6detail17trampoline_kernelINS0_13select_configILj256ELj13ELNS0_17block_load_methodE3ELS4_3ELS4_3ELNS0_20block_scan_algorithmE0ELj4294967295EEENS1_25partition_config_selectorILNS1_17partition_subalgoE4EjNS0_10empty_typeEbEEZZNS1_14partition_implILS8_4ELb0ES6_15HIP_vector_typeIjLj2EENS0_17counting_iteratorIjlEEPS9_SG_NS0_5tupleIJPjSI_NS0_16reverse_iteratorISI_EEEEENSH_IJSG_SG_SG_EEES9_SI_JZNS1_25segmented_radix_sort_implINS0_14default_configELb0EPKdPdPKlPlN2at6native12_GLOBAL__N_18offset_tEEE10hipError_tPvRmT1_PNSt15iterator_traitsIS12_E10value_typeET2_T3_PNS13_IS18_E10value_typeET4_jRbjT5_S1E_jjP12ihipStream_tbEUljE_ZNSN_ISO_Lb0ESQ_SR_ST_SU_SY_EESZ_S10_S11_S12_S16_S17_S18_S1B_S1C_jS1D_jS1E_S1E_jjS1G_bEUljE0_EEESZ_S10_S11_S18_S1C_S1E_T6_T7_T9_mT8_S1G_bDpT10_ENKUlT_T0_E_clISt17integral_constantIbLb1EES1U_EEDaS1P_S1Q_EUlS1P_E_NS1_11comp_targetILNS1_3genE4ELNS1_11target_archE910ELNS1_3gpuE8ELNS1_3repE0EEENS1_30default_config_static_selectorELNS0_4arch9wavefront6targetE0EEEvS12_.num_named_barrier, 0
	.set _ZN7rocprim17ROCPRIM_400000_NS6detail17trampoline_kernelINS0_13select_configILj256ELj13ELNS0_17block_load_methodE3ELS4_3ELS4_3ELNS0_20block_scan_algorithmE0ELj4294967295EEENS1_25partition_config_selectorILNS1_17partition_subalgoE4EjNS0_10empty_typeEbEEZZNS1_14partition_implILS8_4ELb0ES6_15HIP_vector_typeIjLj2EENS0_17counting_iteratorIjlEEPS9_SG_NS0_5tupleIJPjSI_NS0_16reverse_iteratorISI_EEEEENSH_IJSG_SG_SG_EEES9_SI_JZNS1_25segmented_radix_sort_implINS0_14default_configELb0EPKdPdPKlPlN2at6native12_GLOBAL__N_18offset_tEEE10hipError_tPvRmT1_PNSt15iterator_traitsIS12_E10value_typeET2_T3_PNS13_IS18_E10value_typeET4_jRbjT5_S1E_jjP12ihipStream_tbEUljE_ZNSN_ISO_Lb0ESQ_SR_ST_SU_SY_EESZ_S10_S11_S12_S16_S17_S18_S1B_S1C_jS1D_jS1E_S1E_jjS1G_bEUljE0_EEESZ_S10_S11_S18_S1C_S1E_T6_T7_T9_mT8_S1G_bDpT10_ENKUlT_T0_E_clISt17integral_constantIbLb1EES1U_EEDaS1P_S1Q_EUlS1P_E_NS1_11comp_targetILNS1_3genE4ELNS1_11target_archE910ELNS1_3gpuE8ELNS1_3repE0EEENS1_30default_config_static_selectorELNS0_4arch9wavefront6targetE0EEEvS12_.private_seg_size, 0
	.set _ZN7rocprim17ROCPRIM_400000_NS6detail17trampoline_kernelINS0_13select_configILj256ELj13ELNS0_17block_load_methodE3ELS4_3ELS4_3ELNS0_20block_scan_algorithmE0ELj4294967295EEENS1_25partition_config_selectorILNS1_17partition_subalgoE4EjNS0_10empty_typeEbEEZZNS1_14partition_implILS8_4ELb0ES6_15HIP_vector_typeIjLj2EENS0_17counting_iteratorIjlEEPS9_SG_NS0_5tupleIJPjSI_NS0_16reverse_iteratorISI_EEEEENSH_IJSG_SG_SG_EEES9_SI_JZNS1_25segmented_radix_sort_implINS0_14default_configELb0EPKdPdPKlPlN2at6native12_GLOBAL__N_18offset_tEEE10hipError_tPvRmT1_PNSt15iterator_traitsIS12_E10value_typeET2_T3_PNS13_IS18_E10value_typeET4_jRbjT5_S1E_jjP12ihipStream_tbEUljE_ZNSN_ISO_Lb0ESQ_SR_ST_SU_SY_EESZ_S10_S11_S12_S16_S17_S18_S1B_S1C_jS1D_jS1E_S1E_jjS1G_bEUljE0_EEESZ_S10_S11_S18_S1C_S1E_T6_T7_T9_mT8_S1G_bDpT10_ENKUlT_T0_E_clISt17integral_constantIbLb1EES1U_EEDaS1P_S1Q_EUlS1P_E_NS1_11comp_targetILNS1_3genE4ELNS1_11target_archE910ELNS1_3gpuE8ELNS1_3repE0EEENS1_30default_config_static_selectorELNS0_4arch9wavefront6targetE0EEEvS12_.uses_vcc, 0
	.set _ZN7rocprim17ROCPRIM_400000_NS6detail17trampoline_kernelINS0_13select_configILj256ELj13ELNS0_17block_load_methodE3ELS4_3ELS4_3ELNS0_20block_scan_algorithmE0ELj4294967295EEENS1_25partition_config_selectorILNS1_17partition_subalgoE4EjNS0_10empty_typeEbEEZZNS1_14partition_implILS8_4ELb0ES6_15HIP_vector_typeIjLj2EENS0_17counting_iteratorIjlEEPS9_SG_NS0_5tupleIJPjSI_NS0_16reverse_iteratorISI_EEEEENSH_IJSG_SG_SG_EEES9_SI_JZNS1_25segmented_radix_sort_implINS0_14default_configELb0EPKdPdPKlPlN2at6native12_GLOBAL__N_18offset_tEEE10hipError_tPvRmT1_PNSt15iterator_traitsIS12_E10value_typeET2_T3_PNS13_IS18_E10value_typeET4_jRbjT5_S1E_jjP12ihipStream_tbEUljE_ZNSN_ISO_Lb0ESQ_SR_ST_SU_SY_EESZ_S10_S11_S12_S16_S17_S18_S1B_S1C_jS1D_jS1E_S1E_jjS1G_bEUljE0_EEESZ_S10_S11_S18_S1C_S1E_T6_T7_T9_mT8_S1G_bDpT10_ENKUlT_T0_E_clISt17integral_constantIbLb1EES1U_EEDaS1P_S1Q_EUlS1P_E_NS1_11comp_targetILNS1_3genE4ELNS1_11target_archE910ELNS1_3gpuE8ELNS1_3repE0EEENS1_30default_config_static_selectorELNS0_4arch9wavefront6targetE0EEEvS12_.uses_flat_scratch, 0
	.set _ZN7rocprim17ROCPRIM_400000_NS6detail17trampoline_kernelINS0_13select_configILj256ELj13ELNS0_17block_load_methodE3ELS4_3ELS4_3ELNS0_20block_scan_algorithmE0ELj4294967295EEENS1_25partition_config_selectorILNS1_17partition_subalgoE4EjNS0_10empty_typeEbEEZZNS1_14partition_implILS8_4ELb0ES6_15HIP_vector_typeIjLj2EENS0_17counting_iteratorIjlEEPS9_SG_NS0_5tupleIJPjSI_NS0_16reverse_iteratorISI_EEEEENSH_IJSG_SG_SG_EEES9_SI_JZNS1_25segmented_radix_sort_implINS0_14default_configELb0EPKdPdPKlPlN2at6native12_GLOBAL__N_18offset_tEEE10hipError_tPvRmT1_PNSt15iterator_traitsIS12_E10value_typeET2_T3_PNS13_IS18_E10value_typeET4_jRbjT5_S1E_jjP12ihipStream_tbEUljE_ZNSN_ISO_Lb0ESQ_SR_ST_SU_SY_EESZ_S10_S11_S12_S16_S17_S18_S1B_S1C_jS1D_jS1E_S1E_jjS1G_bEUljE0_EEESZ_S10_S11_S18_S1C_S1E_T6_T7_T9_mT8_S1G_bDpT10_ENKUlT_T0_E_clISt17integral_constantIbLb1EES1U_EEDaS1P_S1Q_EUlS1P_E_NS1_11comp_targetILNS1_3genE4ELNS1_11target_archE910ELNS1_3gpuE8ELNS1_3repE0EEENS1_30default_config_static_selectorELNS0_4arch9wavefront6targetE0EEEvS12_.has_dyn_sized_stack, 0
	.set _ZN7rocprim17ROCPRIM_400000_NS6detail17trampoline_kernelINS0_13select_configILj256ELj13ELNS0_17block_load_methodE3ELS4_3ELS4_3ELNS0_20block_scan_algorithmE0ELj4294967295EEENS1_25partition_config_selectorILNS1_17partition_subalgoE4EjNS0_10empty_typeEbEEZZNS1_14partition_implILS8_4ELb0ES6_15HIP_vector_typeIjLj2EENS0_17counting_iteratorIjlEEPS9_SG_NS0_5tupleIJPjSI_NS0_16reverse_iteratorISI_EEEEENSH_IJSG_SG_SG_EEES9_SI_JZNS1_25segmented_radix_sort_implINS0_14default_configELb0EPKdPdPKlPlN2at6native12_GLOBAL__N_18offset_tEEE10hipError_tPvRmT1_PNSt15iterator_traitsIS12_E10value_typeET2_T3_PNS13_IS18_E10value_typeET4_jRbjT5_S1E_jjP12ihipStream_tbEUljE_ZNSN_ISO_Lb0ESQ_SR_ST_SU_SY_EESZ_S10_S11_S12_S16_S17_S18_S1B_S1C_jS1D_jS1E_S1E_jjS1G_bEUljE0_EEESZ_S10_S11_S18_S1C_S1E_T6_T7_T9_mT8_S1G_bDpT10_ENKUlT_T0_E_clISt17integral_constantIbLb1EES1U_EEDaS1P_S1Q_EUlS1P_E_NS1_11comp_targetILNS1_3genE4ELNS1_11target_archE910ELNS1_3gpuE8ELNS1_3repE0EEENS1_30default_config_static_selectorELNS0_4arch9wavefront6targetE0EEEvS12_.has_recursion, 0
	.set _ZN7rocprim17ROCPRIM_400000_NS6detail17trampoline_kernelINS0_13select_configILj256ELj13ELNS0_17block_load_methodE3ELS4_3ELS4_3ELNS0_20block_scan_algorithmE0ELj4294967295EEENS1_25partition_config_selectorILNS1_17partition_subalgoE4EjNS0_10empty_typeEbEEZZNS1_14partition_implILS8_4ELb0ES6_15HIP_vector_typeIjLj2EENS0_17counting_iteratorIjlEEPS9_SG_NS0_5tupleIJPjSI_NS0_16reverse_iteratorISI_EEEEENSH_IJSG_SG_SG_EEES9_SI_JZNS1_25segmented_radix_sort_implINS0_14default_configELb0EPKdPdPKlPlN2at6native12_GLOBAL__N_18offset_tEEE10hipError_tPvRmT1_PNSt15iterator_traitsIS12_E10value_typeET2_T3_PNS13_IS18_E10value_typeET4_jRbjT5_S1E_jjP12ihipStream_tbEUljE_ZNSN_ISO_Lb0ESQ_SR_ST_SU_SY_EESZ_S10_S11_S12_S16_S17_S18_S1B_S1C_jS1D_jS1E_S1E_jjS1G_bEUljE0_EEESZ_S10_S11_S18_S1C_S1E_T6_T7_T9_mT8_S1G_bDpT10_ENKUlT_T0_E_clISt17integral_constantIbLb1EES1U_EEDaS1P_S1Q_EUlS1P_E_NS1_11comp_targetILNS1_3genE4ELNS1_11target_archE910ELNS1_3gpuE8ELNS1_3repE0EEENS1_30default_config_static_selectorELNS0_4arch9wavefront6targetE0EEEvS12_.has_indirect_call, 0
	.section	.AMDGPU.csdata,"",@progbits
; Kernel info:
; codeLenInByte = 0
; TotalNumSgprs: 0
; NumVgprs: 0
; ScratchSize: 0
; MemoryBound: 0
; FloatMode: 240
; IeeeMode: 1
; LDSByteSize: 0 bytes/workgroup (compile time only)
; SGPRBlocks: 0
; VGPRBlocks: 0
; NumSGPRsForWavesPerEU: 1
; NumVGPRsForWavesPerEU: 1
; NamedBarCnt: 0
; Occupancy: 16
; WaveLimiterHint : 0
; COMPUTE_PGM_RSRC2:SCRATCH_EN: 0
; COMPUTE_PGM_RSRC2:USER_SGPR: 2
; COMPUTE_PGM_RSRC2:TRAP_HANDLER: 0
; COMPUTE_PGM_RSRC2:TGID_X_EN: 1
; COMPUTE_PGM_RSRC2:TGID_Y_EN: 0
; COMPUTE_PGM_RSRC2:TGID_Z_EN: 0
; COMPUTE_PGM_RSRC2:TIDIG_COMP_CNT: 0
	.section	.text._ZN7rocprim17ROCPRIM_400000_NS6detail17trampoline_kernelINS0_13select_configILj256ELj13ELNS0_17block_load_methodE3ELS4_3ELS4_3ELNS0_20block_scan_algorithmE0ELj4294967295EEENS1_25partition_config_selectorILNS1_17partition_subalgoE4EjNS0_10empty_typeEbEEZZNS1_14partition_implILS8_4ELb0ES6_15HIP_vector_typeIjLj2EENS0_17counting_iteratorIjlEEPS9_SG_NS0_5tupleIJPjSI_NS0_16reverse_iteratorISI_EEEEENSH_IJSG_SG_SG_EEES9_SI_JZNS1_25segmented_radix_sort_implINS0_14default_configELb0EPKdPdPKlPlN2at6native12_GLOBAL__N_18offset_tEEE10hipError_tPvRmT1_PNSt15iterator_traitsIS12_E10value_typeET2_T3_PNS13_IS18_E10value_typeET4_jRbjT5_S1E_jjP12ihipStream_tbEUljE_ZNSN_ISO_Lb0ESQ_SR_ST_SU_SY_EESZ_S10_S11_S12_S16_S17_S18_S1B_S1C_jS1D_jS1E_S1E_jjS1G_bEUljE0_EEESZ_S10_S11_S18_S1C_S1E_T6_T7_T9_mT8_S1G_bDpT10_ENKUlT_T0_E_clISt17integral_constantIbLb1EES1U_EEDaS1P_S1Q_EUlS1P_E_NS1_11comp_targetILNS1_3genE3ELNS1_11target_archE908ELNS1_3gpuE7ELNS1_3repE0EEENS1_30default_config_static_selectorELNS0_4arch9wavefront6targetE0EEEvS12_,"axG",@progbits,_ZN7rocprim17ROCPRIM_400000_NS6detail17trampoline_kernelINS0_13select_configILj256ELj13ELNS0_17block_load_methodE3ELS4_3ELS4_3ELNS0_20block_scan_algorithmE0ELj4294967295EEENS1_25partition_config_selectorILNS1_17partition_subalgoE4EjNS0_10empty_typeEbEEZZNS1_14partition_implILS8_4ELb0ES6_15HIP_vector_typeIjLj2EENS0_17counting_iteratorIjlEEPS9_SG_NS0_5tupleIJPjSI_NS0_16reverse_iteratorISI_EEEEENSH_IJSG_SG_SG_EEES9_SI_JZNS1_25segmented_radix_sort_implINS0_14default_configELb0EPKdPdPKlPlN2at6native12_GLOBAL__N_18offset_tEEE10hipError_tPvRmT1_PNSt15iterator_traitsIS12_E10value_typeET2_T3_PNS13_IS18_E10value_typeET4_jRbjT5_S1E_jjP12ihipStream_tbEUljE_ZNSN_ISO_Lb0ESQ_SR_ST_SU_SY_EESZ_S10_S11_S12_S16_S17_S18_S1B_S1C_jS1D_jS1E_S1E_jjS1G_bEUljE0_EEESZ_S10_S11_S18_S1C_S1E_T6_T7_T9_mT8_S1G_bDpT10_ENKUlT_T0_E_clISt17integral_constantIbLb1EES1U_EEDaS1P_S1Q_EUlS1P_E_NS1_11comp_targetILNS1_3genE3ELNS1_11target_archE908ELNS1_3gpuE7ELNS1_3repE0EEENS1_30default_config_static_selectorELNS0_4arch9wavefront6targetE0EEEvS12_,comdat
	.globl	_ZN7rocprim17ROCPRIM_400000_NS6detail17trampoline_kernelINS0_13select_configILj256ELj13ELNS0_17block_load_methodE3ELS4_3ELS4_3ELNS0_20block_scan_algorithmE0ELj4294967295EEENS1_25partition_config_selectorILNS1_17partition_subalgoE4EjNS0_10empty_typeEbEEZZNS1_14partition_implILS8_4ELb0ES6_15HIP_vector_typeIjLj2EENS0_17counting_iteratorIjlEEPS9_SG_NS0_5tupleIJPjSI_NS0_16reverse_iteratorISI_EEEEENSH_IJSG_SG_SG_EEES9_SI_JZNS1_25segmented_radix_sort_implINS0_14default_configELb0EPKdPdPKlPlN2at6native12_GLOBAL__N_18offset_tEEE10hipError_tPvRmT1_PNSt15iterator_traitsIS12_E10value_typeET2_T3_PNS13_IS18_E10value_typeET4_jRbjT5_S1E_jjP12ihipStream_tbEUljE_ZNSN_ISO_Lb0ESQ_SR_ST_SU_SY_EESZ_S10_S11_S12_S16_S17_S18_S1B_S1C_jS1D_jS1E_S1E_jjS1G_bEUljE0_EEESZ_S10_S11_S18_S1C_S1E_T6_T7_T9_mT8_S1G_bDpT10_ENKUlT_T0_E_clISt17integral_constantIbLb1EES1U_EEDaS1P_S1Q_EUlS1P_E_NS1_11comp_targetILNS1_3genE3ELNS1_11target_archE908ELNS1_3gpuE7ELNS1_3repE0EEENS1_30default_config_static_selectorELNS0_4arch9wavefront6targetE0EEEvS12_ ; -- Begin function _ZN7rocprim17ROCPRIM_400000_NS6detail17trampoline_kernelINS0_13select_configILj256ELj13ELNS0_17block_load_methodE3ELS4_3ELS4_3ELNS0_20block_scan_algorithmE0ELj4294967295EEENS1_25partition_config_selectorILNS1_17partition_subalgoE4EjNS0_10empty_typeEbEEZZNS1_14partition_implILS8_4ELb0ES6_15HIP_vector_typeIjLj2EENS0_17counting_iteratorIjlEEPS9_SG_NS0_5tupleIJPjSI_NS0_16reverse_iteratorISI_EEEEENSH_IJSG_SG_SG_EEES9_SI_JZNS1_25segmented_radix_sort_implINS0_14default_configELb0EPKdPdPKlPlN2at6native12_GLOBAL__N_18offset_tEEE10hipError_tPvRmT1_PNSt15iterator_traitsIS12_E10value_typeET2_T3_PNS13_IS18_E10value_typeET4_jRbjT5_S1E_jjP12ihipStream_tbEUljE_ZNSN_ISO_Lb0ESQ_SR_ST_SU_SY_EESZ_S10_S11_S12_S16_S17_S18_S1B_S1C_jS1D_jS1E_S1E_jjS1G_bEUljE0_EEESZ_S10_S11_S18_S1C_S1E_T6_T7_T9_mT8_S1G_bDpT10_ENKUlT_T0_E_clISt17integral_constantIbLb1EES1U_EEDaS1P_S1Q_EUlS1P_E_NS1_11comp_targetILNS1_3genE3ELNS1_11target_archE908ELNS1_3gpuE7ELNS1_3repE0EEENS1_30default_config_static_selectorELNS0_4arch9wavefront6targetE0EEEvS12_
	.p2align	8
	.type	_ZN7rocprim17ROCPRIM_400000_NS6detail17trampoline_kernelINS0_13select_configILj256ELj13ELNS0_17block_load_methodE3ELS4_3ELS4_3ELNS0_20block_scan_algorithmE0ELj4294967295EEENS1_25partition_config_selectorILNS1_17partition_subalgoE4EjNS0_10empty_typeEbEEZZNS1_14partition_implILS8_4ELb0ES6_15HIP_vector_typeIjLj2EENS0_17counting_iteratorIjlEEPS9_SG_NS0_5tupleIJPjSI_NS0_16reverse_iteratorISI_EEEEENSH_IJSG_SG_SG_EEES9_SI_JZNS1_25segmented_radix_sort_implINS0_14default_configELb0EPKdPdPKlPlN2at6native12_GLOBAL__N_18offset_tEEE10hipError_tPvRmT1_PNSt15iterator_traitsIS12_E10value_typeET2_T3_PNS13_IS18_E10value_typeET4_jRbjT5_S1E_jjP12ihipStream_tbEUljE_ZNSN_ISO_Lb0ESQ_SR_ST_SU_SY_EESZ_S10_S11_S12_S16_S17_S18_S1B_S1C_jS1D_jS1E_S1E_jjS1G_bEUljE0_EEESZ_S10_S11_S18_S1C_S1E_T6_T7_T9_mT8_S1G_bDpT10_ENKUlT_T0_E_clISt17integral_constantIbLb1EES1U_EEDaS1P_S1Q_EUlS1P_E_NS1_11comp_targetILNS1_3genE3ELNS1_11target_archE908ELNS1_3gpuE7ELNS1_3repE0EEENS1_30default_config_static_selectorELNS0_4arch9wavefront6targetE0EEEvS12_,@function
_ZN7rocprim17ROCPRIM_400000_NS6detail17trampoline_kernelINS0_13select_configILj256ELj13ELNS0_17block_load_methodE3ELS4_3ELS4_3ELNS0_20block_scan_algorithmE0ELj4294967295EEENS1_25partition_config_selectorILNS1_17partition_subalgoE4EjNS0_10empty_typeEbEEZZNS1_14partition_implILS8_4ELb0ES6_15HIP_vector_typeIjLj2EENS0_17counting_iteratorIjlEEPS9_SG_NS0_5tupleIJPjSI_NS0_16reverse_iteratorISI_EEEEENSH_IJSG_SG_SG_EEES9_SI_JZNS1_25segmented_radix_sort_implINS0_14default_configELb0EPKdPdPKlPlN2at6native12_GLOBAL__N_18offset_tEEE10hipError_tPvRmT1_PNSt15iterator_traitsIS12_E10value_typeET2_T3_PNS13_IS18_E10value_typeET4_jRbjT5_S1E_jjP12ihipStream_tbEUljE_ZNSN_ISO_Lb0ESQ_SR_ST_SU_SY_EESZ_S10_S11_S12_S16_S17_S18_S1B_S1C_jS1D_jS1E_S1E_jjS1G_bEUljE0_EEESZ_S10_S11_S18_S1C_S1E_T6_T7_T9_mT8_S1G_bDpT10_ENKUlT_T0_E_clISt17integral_constantIbLb1EES1U_EEDaS1P_S1Q_EUlS1P_E_NS1_11comp_targetILNS1_3genE3ELNS1_11target_archE908ELNS1_3gpuE7ELNS1_3repE0EEENS1_30default_config_static_selectorELNS0_4arch9wavefront6targetE0EEEvS12_: ; @_ZN7rocprim17ROCPRIM_400000_NS6detail17trampoline_kernelINS0_13select_configILj256ELj13ELNS0_17block_load_methodE3ELS4_3ELS4_3ELNS0_20block_scan_algorithmE0ELj4294967295EEENS1_25partition_config_selectorILNS1_17partition_subalgoE4EjNS0_10empty_typeEbEEZZNS1_14partition_implILS8_4ELb0ES6_15HIP_vector_typeIjLj2EENS0_17counting_iteratorIjlEEPS9_SG_NS0_5tupleIJPjSI_NS0_16reverse_iteratorISI_EEEEENSH_IJSG_SG_SG_EEES9_SI_JZNS1_25segmented_radix_sort_implINS0_14default_configELb0EPKdPdPKlPlN2at6native12_GLOBAL__N_18offset_tEEE10hipError_tPvRmT1_PNSt15iterator_traitsIS12_E10value_typeET2_T3_PNS13_IS18_E10value_typeET4_jRbjT5_S1E_jjP12ihipStream_tbEUljE_ZNSN_ISO_Lb0ESQ_SR_ST_SU_SY_EESZ_S10_S11_S12_S16_S17_S18_S1B_S1C_jS1D_jS1E_S1E_jjS1G_bEUljE0_EEESZ_S10_S11_S18_S1C_S1E_T6_T7_T9_mT8_S1G_bDpT10_ENKUlT_T0_E_clISt17integral_constantIbLb1EES1U_EEDaS1P_S1Q_EUlS1P_E_NS1_11comp_targetILNS1_3genE3ELNS1_11target_archE908ELNS1_3gpuE7ELNS1_3repE0EEENS1_30default_config_static_selectorELNS0_4arch9wavefront6targetE0EEEvS12_
; %bb.0:
	.section	.rodata,"a",@progbits
	.p2align	6, 0x0
	.amdhsa_kernel _ZN7rocprim17ROCPRIM_400000_NS6detail17trampoline_kernelINS0_13select_configILj256ELj13ELNS0_17block_load_methodE3ELS4_3ELS4_3ELNS0_20block_scan_algorithmE0ELj4294967295EEENS1_25partition_config_selectorILNS1_17partition_subalgoE4EjNS0_10empty_typeEbEEZZNS1_14partition_implILS8_4ELb0ES6_15HIP_vector_typeIjLj2EENS0_17counting_iteratorIjlEEPS9_SG_NS0_5tupleIJPjSI_NS0_16reverse_iteratorISI_EEEEENSH_IJSG_SG_SG_EEES9_SI_JZNS1_25segmented_radix_sort_implINS0_14default_configELb0EPKdPdPKlPlN2at6native12_GLOBAL__N_18offset_tEEE10hipError_tPvRmT1_PNSt15iterator_traitsIS12_E10value_typeET2_T3_PNS13_IS18_E10value_typeET4_jRbjT5_S1E_jjP12ihipStream_tbEUljE_ZNSN_ISO_Lb0ESQ_SR_ST_SU_SY_EESZ_S10_S11_S12_S16_S17_S18_S1B_S1C_jS1D_jS1E_S1E_jjS1G_bEUljE0_EEESZ_S10_S11_S18_S1C_S1E_T6_T7_T9_mT8_S1G_bDpT10_ENKUlT_T0_E_clISt17integral_constantIbLb1EES1U_EEDaS1P_S1Q_EUlS1P_E_NS1_11comp_targetILNS1_3genE3ELNS1_11target_archE908ELNS1_3gpuE7ELNS1_3repE0EEENS1_30default_config_static_selectorELNS0_4arch9wavefront6targetE0EEEvS12_
		.amdhsa_group_segment_fixed_size 0
		.amdhsa_private_segment_fixed_size 0
		.amdhsa_kernarg_size 184
		.amdhsa_user_sgpr_count 2
		.amdhsa_user_sgpr_dispatch_ptr 0
		.amdhsa_user_sgpr_queue_ptr 0
		.amdhsa_user_sgpr_kernarg_segment_ptr 1
		.amdhsa_user_sgpr_dispatch_id 0
		.amdhsa_user_sgpr_kernarg_preload_length 0
		.amdhsa_user_sgpr_kernarg_preload_offset 0
		.amdhsa_user_sgpr_private_segment_size 0
		.amdhsa_wavefront_size32 1
		.amdhsa_uses_dynamic_stack 0
		.amdhsa_enable_private_segment 0
		.amdhsa_system_sgpr_workgroup_id_x 1
		.amdhsa_system_sgpr_workgroup_id_y 0
		.amdhsa_system_sgpr_workgroup_id_z 0
		.amdhsa_system_sgpr_workgroup_info 0
		.amdhsa_system_vgpr_workitem_id 0
		.amdhsa_next_free_vgpr 1
		.amdhsa_next_free_sgpr 1
		.amdhsa_named_barrier_count 0
		.amdhsa_reserve_vcc 0
		.amdhsa_float_round_mode_32 0
		.amdhsa_float_round_mode_16_64 0
		.amdhsa_float_denorm_mode_32 3
		.amdhsa_float_denorm_mode_16_64 3
		.amdhsa_fp16_overflow 0
		.amdhsa_memory_ordered 1
		.amdhsa_forward_progress 1
		.amdhsa_inst_pref_size 0
		.amdhsa_round_robin_scheduling 0
		.amdhsa_exception_fp_ieee_invalid_op 0
		.amdhsa_exception_fp_denorm_src 0
		.amdhsa_exception_fp_ieee_div_zero 0
		.amdhsa_exception_fp_ieee_overflow 0
		.amdhsa_exception_fp_ieee_underflow 0
		.amdhsa_exception_fp_ieee_inexact 0
		.amdhsa_exception_int_div_zero 0
	.end_amdhsa_kernel
	.section	.text._ZN7rocprim17ROCPRIM_400000_NS6detail17trampoline_kernelINS0_13select_configILj256ELj13ELNS0_17block_load_methodE3ELS4_3ELS4_3ELNS0_20block_scan_algorithmE0ELj4294967295EEENS1_25partition_config_selectorILNS1_17partition_subalgoE4EjNS0_10empty_typeEbEEZZNS1_14partition_implILS8_4ELb0ES6_15HIP_vector_typeIjLj2EENS0_17counting_iteratorIjlEEPS9_SG_NS0_5tupleIJPjSI_NS0_16reverse_iteratorISI_EEEEENSH_IJSG_SG_SG_EEES9_SI_JZNS1_25segmented_radix_sort_implINS0_14default_configELb0EPKdPdPKlPlN2at6native12_GLOBAL__N_18offset_tEEE10hipError_tPvRmT1_PNSt15iterator_traitsIS12_E10value_typeET2_T3_PNS13_IS18_E10value_typeET4_jRbjT5_S1E_jjP12ihipStream_tbEUljE_ZNSN_ISO_Lb0ESQ_SR_ST_SU_SY_EESZ_S10_S11_S12_S16_S17_S18_S1B_S1C_jS1D_jS1E_S1E_jjS1G_bEUljE0_EEESZ_S10_S11_S18_S1C_S1E_T6_T7_T9_mT8_S1G_bDpT10_ENKUlT_T0_E_clISt17integral_constantIbLb1EES1U_EEDaS1P_S1Q_EUlS1P_E_NS1_11comp_targetILNS1_3genE3ELNS1_11target_archE908ELNS1_3gpuE7ELNS1_3repE0EEENS1_30default_config_static_selectorELNS0_4arch9wavefront6targetE0EEEvS12_,"axG",@progbits,_ZN7rocprim17ROCPRIM_400000_NS6detail17trampoline_kernelINS0_13select_configILj256ELj13ELNS0_17block_load_methodE3ELS4_3ELS4_3ELNS0_20block_scan_algorithmE0ELj4294967295EEENS1_25partition_config_selectorILNS1_17partition_subalgoE4EjNS0_10empty_typeEbEEZZNS1_14partition_implILS8_4ELb0ES6_15HIP_vector_typeIjLj2EENS0_17counting_iteratorIjlEEPS9_SG_NS0_5tupleIJPjSI_NS0_16reverse_iteratorISI_EEEEENSH_IJSG_SG_SG_EEES9_SI_JZNS1_25segmented_radix_sort_implINS0_14default_configELb0EPKdPdPKlPlN2at6native12_GLOBAL__N_18offset_tEEE10hipError_tPvRmT1_PNSt15iterator_traitsIS12_E10value_typeET2_T3_PNS13_IS18_E10value_typeET4_jRbjT5_S1E_jjP12ihipStream_tbEUljE_ZNSN_ISO_Lb0ESQ_SR_ST_SU_SY_EESZ_S10_S11_S12_S16_S17_S18_S1B_S1C_jS1D_jS1E_S1E_jjS1G_bEUljE0_EEESZ_S10_S11_S18_S1C_S1E_T6_T7_T9_mT8_S1G_bDpT10_ENKUlT_T0_E_clISt17integral_constantIbLb1EES1U_EEDaS1P_S1Q_EUlS1P_E_NS1_11comp_targetILNS1_3genE3ELNS1_11target_archE908ELNS1_3gpuE7ELNS1_3repE0EEENS1_30default_config_static_selectorELNS0_4arch9wavefront6targetE0EEEvS12_,comdat
.Lfunc_end1162:
	.size	_ZN7rocprim17ROCPRIM_400000_NS6detail17trampoline_kernelINS0_13select_configILj256ELj13ELNS0_17block_load_methodE3ELS4_3ELS4_3ELNS0_20block_scan_algorithmE0ELj4294967295EEENS1_25partition_config_selectorILNS1_17partition_subalgoE4EjNS0_10empty_typeEbEEZZNS1_14partition_implILS8_4ELb0ES6_15HIP_vector_typeIjLj2EENS0_17counting_iteratorIjlEEPS9_SG_NS0_5tupleIJPjSI_NS0_16reverse_iteratorISI_EEEEENSH_IJSG_SG_SG_EEES9_SI_JZNS1_25segmented_radix_sort_implINS0_14default_configELb0EPKdPdPKlPlN2at6native12_GLOBAL__N_18offset_tEEE10hipError_tPvRmT1_PNSt15iterator_traitsIS12_E10value_typeET2_T3_PNS13_IS18_E10value_typeET4_jRbjT5_S1E_jjP12ihipStream_tbEUljE_ZNSN_ISO_Lb0ESQ_SR_ST_SU_SY_EESZ_S10_S11_S12_S16_S17_S18_S1B_S1C_jS1D_jS1E_S1E_jjS1G_bEUljE0_EEESZ_S10_S11_S18_S1C_S1E_T6_T7_T9_mT8_S1G_bDpT10_ENKUlT_T0_E_clISt17integral_constantIbLb1EES1U_EEDaS1P_S1Q_EUlS1P_E_NS1_11comp_targetILNS1_3genE3ELNS1_11target_archE908ELNS1_3gpuE7ELNS1_3repE0EEENS1_30default_config_static_selectorELNS0_4arch9wavefront6targetE0EEEvS12_, .Lfunc_end1162-_ZN7rocprim17ROCPRIM_400000_NS6detail17trampoline_kernelINS0_13select_configILj256ELj13ELNS0_17block_load_methodE3ELS4_3ELS4_3ELNS0_20block_scan_algorithmE0ELj4294967295EEENS1_25partition_config_selectorILNS1_17partition_subalgoE4EjNS0_10empty_typeEbEEZZNS1_14partition_implILS8_4ELb0ES6_15HIP_vector_typeIjLj2EENS0_17counting_iteratorIjlEEPS9_SG_NS0_5tupleIJPjSI_NS0_16reverse_iteratorISI_EEEEENSH_IJSG_SG_SG_EEES9_SI_JZNS1_25segmented_radix_sort_implINS0_14default_configELb0EPKdPdPKlPlN2at6native12_GLOBAL__N_18offset_tEEE10hipError_tPvRmT1_PNSt15iterator_traitsIS12_E10value_typeET2_T3_PNS13_IS18_E10value_typeET4_jRbjT5_S1E_jjP12ihipStream_tbEUljE_ZNSN_ISO_Lb0ESQ_SR_ST_SU_SY_EESZ_S10_S11_S12_S16_S17_S18_S1B_S1C_jS1D_jS1E_S1E_jjS1G_bEUljE0_EEESZ_S10_S11_S18_S1C_S1E_T6_T7_T9_mT8_S1G_bDpT10_ENKUlT_T0_E_clISt17integral_constantIbLb1EES1U_EEDaS1P_S1Q_EUlS1P_E_NS1_11comp_targetILNS1_3genE3ELNS1_11target_archE908ELNS1_3gpuE7ELNS1_3repE0EEENS1_30default_config_static_selectorELNS0_4arch9wavefront6targetE0EEEvS12_
                                        ; -- End function
	.set _ZN7rocprim17ROCPRIM_400000_NS6detail17trampoline_kernelINS0_13select_configILj256ELj13ELNS0_17block_load_methodE3ELS4_3ELS4_3ELNS0_20block_scan_algorithmE0ELj4294967295EEENS1_25partition_config_selectorILNS1_17partition_subalgoE4EjNS0_10empty_typeEbEEZZNS1_14partition_implILS8_4ELb0ES6_15HIP_vector_typeIjLj2EENS0_17counting_iteratorIjlEEPS9_SG_NS0_5tupleIJPjSI_NS0_16reverse_iteratorISI_EEEEENSH_IJSG_SG_SG_EEES9_SI_JZNS1_25segmented_radix_sort_implINS0_14default_configELb0EPKdPdPKlPlN2at6native12_GLOBAL__N_18offset_tEEE10hipError_tPvRmT1_PNSt15iterator_traitsIS12_E10value_typeET2_T3_PNS13_IS18_E10value_typeET4_jRbjT5_S1E_jjP12ihipStream_tbEUljE_ZNSN_ISO_Lb0ESQ_SR_ST_SU_SY_EESZ_S10_S11_S12_S16_S17_S18_S1B_S1C_jS1D_jS1E_S1E_jjS1G_bEUljE0_EEESZ_S10_S11_S18_S1C_S1E_T6_T7_T9_mT8_S1G_bDpT10_ENKUlT_T0_E_clISt17integral_constantIbLb1EES1U_EEDaS1P_S1Q_EUlS1P_E_NS1_11comp_targetILNS1_3genE3ELNS1_11target_archE908ELNS1_3gpuE7ELNS1_3repE0EEENS1_30default_config_static_selectorELNS0_4arch9wavefront6targetE0EEEvS12_.num_vgpr, 0
	.set _ZN7rocprim17ROCPRIM_400000_NS6detail17trampoline_kernelINS0_13select_configILj256ELj13ELNS0_17block_load_methodE3ELS4_3ELS4_3ELNS0_20block_scan_algorithmE0ELj4294967295EEENS1_25partition_config_selectorILNS1_17partition_subalgoE4EjNS0_10empty_typeEbEEZZNS1_14partition_implILS8_4ELb0ES6_15HIP_vector_typeIjLj2EENS0_17counting_iteratorIjlEEPS9_SG_NS0_5tupleIJPjSI_NS0_16reverse_iteratorISI_EEEEENSH_IJSG_SG_SG_EEES9_SI_JZNS1_25segmented_radix_sort_implINS0_14default_configELb0EPKdPdPKlPlN2at6native12_GLOBAL__N_18offset_tEEE10hipError_tPvRmT1_PNSt15iterator_traitsIS12_E10value_typeET2_T3_PNS13_IS18_E10value_typeET4_jRbjT5_S1E_jjP12ihipStream_tbEUljE_ZNSN_ISO_Lb0ESQ_SR_ST_SU_SY_EESZ_S10_S11_S12_S16_S17_S18_S1B_S1C_jS1D_jS1E_S1E_jjS1G_bEUljE0_EEESZ_S10_S11_S18_S1C_S1E_T6_T7_T9_mT8_S1G_bDpT10_ENKUlT_T0_E_clISt17integral_constantIbLb1EES1U_EEDaS1P_S1Q_EUlS1P_E_NS1_11comp_targetILNS1_3genE3ELNS1_11target_archE908ELNS1_3gpuE7ELNS1_3repE0EEENS1_30default_config_static_selectorELNS0_4arch9wavefront6targetE0EEEvS12_.num_agpr, 0
	.set _ZN7rocprim17ROCPRIM_400000_NS6detail17trampoline_kernelINS0_13select_configILj256ELj13ELNS0_17block_load_methodE3ELS4_3ELS4_3ELNS0_20block_scan_algorithmE0ELj4294967295EEENS1_25partition_config_selectorILNS1_17partition_subalgoE4EjNS0_10empty_typeEbEEZZNS1_14partition_implILS8_4ELb0ES6_15HIP_vector_typeIjLj2EENS0_17counting_iteratorIjlEEPS9_SG_NS0_5tupleIJPjSI_NS0_16reverse_iteratorISI_EEEEENSH_IJSG_SG_SG_EEES9_SI_JZNS1_25segmented_radix_sort_implINS0_14default_configELb0EPKdPdPKlPlN2at6native12_GLOBAL__N_18offset_tEEE10hipError_tPvRmT1_PNSt15iterator_traitsIS12_E10value_typeET2_T3_PNS13_IS18_E10value_typeET4_jRbjT5_S1E_jjP12ihipStream_tbEUljE_ZNSN_ISO_Lb0ESQ_SR_ST_SU_SY_EESZ_S10_S11_S12_S16_S17_S18_S1B_S1C_jS1D_jS1E_S1E_jjS1G_bEUljE0_EEESZ_S10_S11_S18_S1C_S1E_T6_T7_T9_mT8_S1G_bDpT10_ENKUlT_T0_E_clISt17integral_constantIbLb1EES1U_EEDaS1P_S1Q_EUlS1P_E_NS1_11comp_targetILNS1_3genE3ELNS1_11target_archE908ELNS1_3gpuE7ELNS1_3repE0EEENS1_30default_config_static_selectorELNS0_4arch9wavefront6targetE0EEEvS12_.numbered_sgpr, 0
	.set _ZN7rocprim17ROCPRIM_400000_NS6detail17trampoline_kernelINS0_13select_configILj256ELj13ELNS0_17block_load_methodE3ELS4_3ELS4_3ELNS0_20block_scan_algorithmE0ELj4294967295EEENS1_25partition_config_selectorILNS1_17partition_subalgoE4EjNS0_10empty_typeEbEEZZNS1_14partition_implILS8_4ELb0ES6_15HIP_vector_typeIjLj2EENS0_17counting_iteratorIjlEEPS9_SG_NS0_5tupleIJPjSI_NS0_16reverse_iteratorISI_EEEEENSH_IJSG_SG_SG_EEES9_SI_JZNS1_25segmented_radix_sort_implINS0_14default_configELb0EPKdPdPKlPlN2at6native12_GLOBAL__N_18offset_tEEE10hipError_tPvRmT1_PNSt15iterator_traitsIS12_E10value_typeET2_T3_PNS13_IS18_E10value_typeET4_jRbjT5_S1E_jjP12ihipStream_tbEUljE_ZNSN_ISO_Lb0ESQ_SR_ST_SU_SY_EESZ_S10_S11_S12_S16_S17_S18_S1B_S1C_jS1D_jS1E_S1E_jjS1G_bEUljE0_EEESZ_S10_S11_S18_S1C_S1E_T6_T7_T9_mT8_S1G_bDpT10_ENKUlT_T0_E_clISt17integral_constantIbLb1EES1U_EEDaS1P_S1Q_EUlS1P_E_NS1_11comp_targetILNS1_3genE3ELNS1_11target_archE908ELNS1_3gpuE7ELNS1_3repE0EEENS1_30default_config_static_selectorELNS0_4arch9wavefront6targetE0EEEvS12_.num_named_barrier, 0
	.set _ZN7rocprim17ROCPRIM_400000_NS6detail17trampoline_kernelINS0_13select_configILj256ELj13ELNS0_17block_load_methodE3ELS4_3ELS4_3ELNS0_20block_scan_algorithmE0ELj4294967295EEENS1_25partition_config_selectorILNS1_17partition_subalgoE4EjNS0_10empty_typeEbEEZZNS1_14partition_implILS8_4ELb0ES6_15HIP_vector_typeIjLj2EENS0_17counting_iteratorIjlEEPS9_SG_NS0_5tupleIJPjSI_NS0_16reverse_iteratorISI_EEEEENSH_IJSG_SG_SG_EEES9_SI_JZNS1_25segmented_radix_sort_implINS0_14default_configELb0EPKdPdPKlPlN2at6native12_GLOBAL__N_18offset_tEEE10hipError_tPvRmT1_PNSt15iterator_traitsIS12_E10value_typeET2_T3_PNS13_IS18_E10value_typeET4_jRbjT5_S1E_jjP12ihipStream_tbEUljE_ZNSN_ISO_Lb0ESQ_SR_ST_SU_SY_EESZ_S10_S11_S12_S16_S17_S18_S1B_S1C_jS1D_jS1E_S1E_jjS1G_bEUljE0_EEESZ_S10_S11_S18_S1C_S1E_T6_T7_T9_mT8_S1G_bDpT10_ENKUlT_T0_E_clISt17integral_constantIbLb1EES1U_EEDaS1P_S1Q_EUlS1P_E_NS1_11comp_targetILNS1_3genE3ELNS1_11target_archE908ELNS1_3gpuE7ELNS1_3repE0EEENS1_30default_config_static_selectorELNS0_4arch9wavefront6targetE0EEEvS12_.private_seg_size, 0
	.set _ZN7rocprim17ROCPRIM_400000_NS6detail17trampoline_kernelINS0_13select_configILj256ELj13ELNS0_17block_load_methodE3ELS4_3ELS4_3ELNS0_20block_scan_algorithmE0ELj4294967295EEENS1_25partition_config_selectorILNS1_17partition_subalgoE4EjNS0_10empty_typeEbEEZZNS1_14partition_implILS8_4ELb0ES6_15HIP_vector_typeIjLj2EENS0_17counting_iteratorIjlEEPS9_SG_NS0_5tupleIJPjSI_NS0_16reverse_iteratorISI_EEEEENSH_IJSG_SG_SG_EEES9_SI_JZNS1_25segmented_radix_sort_implINS0_14default_configELb0EPKdPdPKlPlN2at6native12_GLOBAL__N_18offset_tEEE10hipError_tPvRmT1_PNSt15iterator_traitsIS12_E10value_typeET2_T3_PNS13_IS18_E10value_typeET4_jRbjT5_S1E_jjP12ihipStream_tbEUljE_ZNSN_ISO_Lb0ESQ_SR_ST_SU_SY_EESZ_S10_S11_S12_S16_S17_S18_S1B_S1C_jS1D_jS1E_S1E_jjS1G_bEUljE0_EEESZ_S10_S11_S18_S1C_S1E_T6_T7_T9_mT8_S1G_bDpT10_ENKUlT_T0_E_clISt17integral_constantIbLb1EES1U_EEDaS1P_S1Q_EUlS1P_E_NS1_11comp_targetILNS1_3genE3ELNS1_11target_archE908ELNS1_3gpuE7ELNS1_3repE0EEENS1_30default_config_static_selectorELNS0_4arch9wavefront6targetE0EEEvS12_.uses_vcc, 0
	.set _ZN7rocprim17ROCPRIM_400000_NS6detail17trampoline_kernelINS0_13select_configILj256ELj13ELNS0_17block_load_methodE3ELS4_3ELS4_3ELNS0_20block_scan_algorithmE0ELj4294967295EEENS1_25partition_config_selectorILNS1_17partition_subalgoE4EjNS0_10empty_typeEbEEZZNS1_14partition_implILS8_4ELb0ES6_15HIP_vector_typeIjLj2EENS0_17counting_iteratorIjlEEPS9_SG_NS0_5tupleIJPjSI_NS0_16reverse_iteratorISI_EEEEENSH_IJSG_SG_SG_EEES9_SI_JZNS1_25segmented_radix_sort_implINS0_14default_configELb0EPKdPdPKlPlN2at6native12_GLOBAL__N_18offset_tEEE10hipError_tPvRmT1_PNSt15iterator_traitsIS12_E10value_typeET2_T3_PNS13_IS18_E10value_typeET4_jRbjT5_S1E_jjP12ihipStream_tbEUljE_ZNSN_ISO_Lb0ESQ_SR_ST_SU_SY_EESZ_S10_S11_S12_S16_S17_S18_S1B_S1C_jS1D_jS1E_S1E_jjS1G_bEUljE0_EEESZ_S10_S11_S18_S1C_S1E_T6_T7_T9_mT8_S1G_bDpT10_ENKUlT_T0_E_clISt17integral_constantIbLb1EES1U_EEDaS1P_S1Q_EUlS1P_E_NS1_11comp_targetILNS1_3genE3ELNS1_11target_archE908ELNS1_3gpuE7ELNS1_3repE0EEENS1_30default_config_static_selectorELNS0_4arch9wavefront6targetE0EEEvS12_.uses_flat_scratch, 0
	.set _ZN7rocprim17ROCPRIM_400000_NS6detail17trampoline_kernelINS0_13select_configILj256ELj13ELNS0_17block_load_methodE3ELS4_3ELS4_3ELNS0_20block_scan_algorithmE0ELj4294967295EEENS1_25partition_config_selectorILNS1_17partition_subalgoE4EjNS0_10empty_typeEbEEZZNS1_14partition_implILS8_4ELb0ES6_15HIP_vector_typeIjLj2EENS0_17counting_iteratorIjlEEPS9_SG_NS0_5tupleIJPjSI_NS0_16reverse_iteratorISI_EEEEENSH_IJSG_SG_SG_EEES9_SI_JZNS1_25segmented_radix_sort_implINS0_14default_configELb0EPKdPdPKlPlN2at6native12_GLOBAL__N_18offset_tEEE10hipError_tPvRmT1_PNSt15iterator_traitsIS12_E10value_typeET2_T3_PNS13_IS18_E10value_typeET4_jRbjT5_S1E_jjP12ihipStream_tbEUljE_ZNSN_ISO_Lb0ESQ_SR_ST_SU_SY_EESZ_S10_S11_S12_S16_S17_S18_S1B_S1C_jS1D_jS1E_S1E_jjS1G_bEUljE0_EEESZ_S10_S11_S18_S1C_S1E_T6_T7_T9_mT8_S1G_bDpT10_ENKUlT_T0_E_clISt17integral_constantIbLb1EES1U_EEDaS1P_S1Q_EUlS1P_E_NS1_11comp_targetILNS1_3genE3ELNS1_11target_archE908ELNS1_3gpuE7ELNS1_3repE0EEENS1_30default_config_static_selectorELNS0_4arch9wavefront6targetE0EEEvS12_.has_dyn_sized_stack, 0
	.set _ZN7rocprim17ROCPRIM_400000_NS6detail17trampoline_kernelINS0_13select_configILj256ELj13ELNS0_17block_load_methodE3ELS4_3ELS4_3ELNS0_20block_scan_algorithmE0ELj4294967295EEENS1_25partition_config_selectorILNS1_17partition_subalgoE4EjNS0_10empty_typeEbEEZZNS1_14partition_implILS8_4ELb0ES6_15HIP_vector_typeIjLj2EENS0_17counting_iteratorIjlEEPS9_SG_NS0_5tupleIJPjSI_NS0_16reverse_iteratorISI_EEEEENSH_IJSG_SG_SG_EEES9_SI_JZNS1_25segmented_radix_sort_implINS0_14default_configELb0EPKdPdPKlPlN2at6native12_GLOBAL__N_18offset_tEEE10hipError_tPvRmT1_PNSt15iterator_traitsIS12_E10value_typeET2_T3_PNS13_IS18_E10value_typeET4_jRbjT5_S1E_jjP12ihipStream_tbEUljE_ZNSN_ISO_Lb0ESQ_SR_ST_SU_SY_EESZ_S10_S11_S12_S16_S17_S18_S1B_S1C_jS1D_jS1E_S1E_jjS1G_bEUljE0_EEESZ_S10_S11_S18_S1C_S1E_T6_T7_T9_mT8_S1G_bDpT10_ENKUlT_T0_E_clISt17integral_constantIbLb1EES1U_EEDaS1P_S1Q_EUlS1P_E_NS1_11comp_targetILNS1_3genE3ELNS1_11target_archE908ELNS1_3gpuE7ELNS1_3repE0EEENS1_30default_config_static_selectorELNS0_4arch9wavefront6targetE0EEEvS12_.has_recursion, 0
	.set _ZN7rocprim17ROCPRIM_400000_NS6detail17trampoline_kernelINS0_13select_configILj256ELj13ELNS0_17block_load_methodE3ELS4_3ELS4_3ELNS0_20block_scan_algorithmE0ELj4294967295EEENS1_25partition_config_selectorILNS1_17partition_subalgoE4EjNS0_10empty_typeEbEEZZNS1_14partition_implILS8_4ELb0ES6_15HIP_vector_typeIjLj2EENS0_17counting_iteratorIjlEEPS9_SG_NS0_5tupleIJPjSI_NS0_16reverse_iteratorISI_EEEEENSH_IJSG_SG_SG_EEES9_SI_JZNS1_25segmented_radix_sort_implINS0_14default_configELb0EPKdPdPKlPlN2at6native12_GLOBAL__N_18offset_tEEE10hipError_tPvRmT1_PNSt15iterator_traitsIS12_E10value_typeET2_T3_PNS13_IS18_E10value_typeET4_jRbjT5_S1E_jjP12ihipStream_tbEUljE_ZNSN_ISO_Lb0ESQ_SR_ST_SU_SY_EESZ_S10_S11_S12_S16_S17_S18_S1B_S1C_jS1D_jS1E_S1E_jjS1G_bEUljE0_EEESZ_S10_S11_S18_S1C_S1E_T6_T7_T9_mT8_S1G_bDpT10_ENKUlT_T0_E_clISt17integral_constantIbLb1EES1U_EEDaS1P_S1Q_EUlS1P_E_NS1_11comp_targetILNS1_3genE3ELNS1_11target_archE908ELNS1_3gpuE7ELNS1_3repE0EEENS1_30default_config_static_selectorELNS0_4arch9wavefront6targetE0EEEvS12_.has_indirect_call, 0
	.section	.AMDGPU.csdata,"",@progbits
; Kernel info:
; codeLenInByte = 0
; TotalNumSgprs: 0
; NumVgprs: 0
; ScratchSize: 0
; MemoryBound: 0
; FloatMode: 240
; IeeeMode: 1
; LDSByteSize: 0 bytes/workgroup (compile time only)
; SGPRBlocks: 0
; VGPRBlocks: 0
; NumSGPRsForWavesPerEU: 1
; NumVGPRsForWavesPerEU: 1
; NamedBarCnt: 0
; Occupancy: 16
; WaveLimiterHint : 0
; COMPUTE_PGM_RSRC2:SCRATCH_EN: 0
; COMPUTE_PGM_RSRC2:USER_SGPR: 2
; COMPUTE_PGM_RSRC2:TRAP_HANDLER: 0
; COMPUTE_PGM_RSRC2:TGID_X_EN: 1
; COMPUTE_PGM_RSRC2:TGID_Y_EN: 0
; COMPUTE_PGM_RSRC2:TGID_Z_EN: 0
; COMPUTE_PGM_RSRC2:TIDIG_COMP_CNT: 0
	.section	.text._ZN7rocprim17ROCPRIM_400000_NS6detail17trampoline_kernelINS0_13select_configILj256ELj13ELNS0_17block_load_methodE3ELS4_3ELS4_3ELNS0_20block_scan_algorithmE0ELj4294967295EEENS1_25partition_config_selectorILNS1_17partition_subalgoE4EjNS0_10empty_typeEbEEZZNS1_14partition_implILS8_4ELb0ES6_15HIP_vector_typeIjLj2EENS0_17counting_iteratorIjlEEPS9_SG_NS0_5tupleIJPjSI_NS0_16reverse_iteratorISI_EEEEENSH_IJSG_SG_SG_EEES9_SI_JZNS1_25segmented_radix_sort_implINS0_14default_configELb0EPKdPdPKlPlN2at6native12_GLOBAL__N_18offset_tEEE10hipError_tPvRmT1_PNSt15iterator_traitsIS12_E10value_typeET2_T3_PNS13_IS18_E10value_typeET4_jRbjT5_S1E_jjP12ihipStream_tbEUljE_ZNSN_ISO_Lb0ESQ_SR_ST_SU_SY_EESZ_S10_S11_S12_S16_S17_S18_S1B_S1C_jS1D_jS1E_S1E_jjS1G_bEUljE0_EEESZ_S10_S11_S18_S1C_S1E_T6_T7_T9_mT8_S1G_bDpT10_ENKUlT_T0_E_clISt17integral_constantIbLb1EES1U_EEDaS1P_S1Q_EUlS1P_E_NS1_11comp_targetILNS1_3genE2ELNS1_11target_archE906ELNS1_3gpuE6ELNS1_3repE0EEENS1_30default_config_static_selectorELNS0_4arch9wavefront6targetE0EEEvS12_,"axG",@progbits,_ZN7rocprim17ROCPRIM_400000_NS6detail17trampoline_kernelINS0_13select_configILj256ELj13ELNS0_17block_load_methodE3ELS4_3ELS4_3ELNS0_20block_scan_algorithmE0ELj4294967295EEENS1_25partition_config_selectorILNS1_17partition_subalgoE4EjNS0_10empty_typeEbEEZZNS1_14partition_implILS8_4ELb0ES6_15HIP_vector_typeIjLj2EENS0_17counting_iteratorIjlEEPS9_SG_NS0_5tupleIJPjSI_NS0_16reverse_iteratorISI_EEEEENSH_IJSG_SG_SG_EEES9_SI_JZNS1_25segmented_radix_sort_implINS0_14default_configELb0EPKdPdPKlPlN2at6native12_GLOBAL__N_18offset_tEEE10hipError_tPvRmT1_PNSt15iterator_traitsIS12_E10value_typeET2_T3_PNS13_IS18_E10value_typeET4_jRbjT5_S1E_jjP12ihipStream_tbEUljE_ZNSN_ISO_Lb0ESQ_SR_ST_SU_SY_EESZ_S10_S11_S12_S16_S17_S18_S1B_S1C_jS1D_jS1E_S1E_jjS1G_bEUljE0_EEESZ_S10_S11_S18_S1C_S1E_T6_T7_T9_mT8_S1G_bDpT10_ENKUlT_T0_E_clISt17integral_constantIbLb1EES1U_EEDaS1P_S1Q_EUlS1P_E_NS1_11comp_targetILNS1_3genE2ELNS1_11target_archE906ELNS1_3gpuE6ELNS1_3repE0EEENS1_30default_config_static_selectorELNS0_4arch9wavefront6targetE0EEEvS12_,comdat
	.globl	_ZN7rocprim17ROCPRIM_400000_NS6detail17trampoline_kernelINS0_13select_configILj256ELj13ELNS0_17block_load_methodE3ELS4_3ELS4_3ELNS0_20block_scan_algorithmE0ELj4294967295EEENS1_25partition_config_selectorILNS1_17partition_subalgoE4EjNS0_10empty_typeEbEEZZNS1_14partition_implILS8_4ELb0ES6_15HIP_vector_typeIjLj2EENS0_17counting_iteratorIjlEEPS9_SG_NS0_5tupleIJPjSI_NS0_16reverse_iteratorISI_EEEEENSH_IJSG_SG_SG_EEES9_SI_JZNS1_25segmented_radix_sort_implINS0_14default_configELb0EPKdPdPKlPlN2at6native12_GLOBAL__N_18offset_tEEE10hipError_tPvRmT1_PNSt15iterator_traitsIS12_E10value_typeET2_T3_PNS13_IS18_E10value_typeET4_jRbjT5_S1E_jjP12ihipStream_tbEUljE_ZNSN_ISO_Lb0ESQ_SR_ST_SU_SY_EESZ_S10_S11_S12_S16_S17_S18_S1B_S1C_jS1D_jS1E_S1E_jjS1G_bEUljE0_EEESZ_S10_S11_S18_S1C_S1E_T6_T7_T9_mT8_S1G_bDpT10_ENKUlT_T0_E_clISt17integral_constantIbLb1EES1U_EEDaS1P_S1Q_EUlS1P_E_NS1_11comp_targetILNS1_3genE2ELNS1_11target_archE906ELNS1_3gpuE6ELNS1_3repE0EEENS1_30default_config_static_selectorELNS0_4arch9wavefront6targetE0EEEvS12_ ; -- Begin function _ZN7rocprim17ROCPRIM_400000_NS6detail17trampoline_kernelINS0_13select_configILj256ELj13ELNS0_17block_load_methodE3ELS4_3ELS4_3ELNS0_20block_scan_algorithmE0ELj4294967295EEENS1_25partition_config_selectorILNS1_17partition_subalgoE4EjNS0_10empty_typeEbEEZZNS1_14partition_implILS8_4ELb0ES6_15HIP_vector_typeIjLj2EENS0_17counting_iteratorIjlEEPS9_SG_NS0_5tupleIJPjSI_NS0_16reverse_iteratorISI_EEEEENSH_IJSG_SG_SG_EEES9_SI_JZNS1_25segmented_radix_sort_implINS0_14default_configELb0EPKdPdPKlPlN2at6native12_GLOBAL__N_18offset_tEEE10hipError_tPvRmT1_PNSt15iterator_traitsIS12_E10value_typeET2_T3_PNS13_IS18_E10value_typeET4_jRbjT5_S1E_jjP12ihipStream_tbEUljE_ZNSN_ISO_Lb0ESQ_SR_ST_SU_SY_EESZ_S10_S11_S12_S16_S17_S18_S1B_S1C_jS1D_jS1E_S1E_jjS1G_bEUljE0_EEESZ_S10_S11_S18_S1C_S1E_T6_T7_T9_mT8_S1G_bDpT10_ENKUlT_T0_E_clISt17integral_constantIbLb1EES1U_EEDaS1P_S1Q_EUlS1P_E_NS1_11comp_targetILNS1_3genE2ELNS1_11target_archE906ELNS1_3gpuE6ELNS1_3repE0EEENS1_30default_config_static_selectorELNS0_4arch9wavefront6targetE0EEEvS12_
	.p2align	8
	.type	_ZN7rocprim17ROCPRIM_400000_NS6detail17trampoline_kernelINS0_13select_configILj256ELj13ELNS0_17block_load_methodE3ELS4_3ELS4_3ELNS0_20block_scan_algorithmE0ELj4294967295EEENS1_25partition_config_selectorILNS1_17partition_subalgoE4EjNS0_10empty_typeEbEEZZNS1_14partition_implILS8_4ELb0ES6_15HIP_vector_typeIjLj2EENS0_17counting_iteratorIjlEEPS9_SG_NS0_5tupleIJPjSI_NS0_16reverse_iteratorISI_EEEEENSH_IJSG_SG_SG_EEES9_SI_JZNS1_25segmented_radix_sort_implINS0_14default_configELb0EPKdPdPKlPlN2at6native12_GLOBAL__N_18offset_tEEE10hipError_tPvRmT1_PNSt15iterator_traitsIS12_E10value_typeET2_T3_PNS13_IS18_E10value_typeET4_jRbjT5_S1E_jjP12ihipStream_tbEUljE_ZNSN_ISO_Lb0ESQ_SR_ST_SU_SY_EESZ_S10_S11_S12_S16_S17_S18_S1B_S1C_jS1D_jS1E_S1E_jjS1G_bEUljE0_EEESZ_S10_S11_S18_S1C_S1E_T6_T7_T9_mT8_S1G_bDpT10_ENKUlT_T0_E_clISt17integral_constantIbLb1EES1U_EEDaS1P_S1Q_EUlS1P_E_NS1_11comp_targetILNS1_3genE2ELNS1_11target_archE906ELNS1_3gpuE6ELNS1_3repE0EEENS1_30default_config_static_selectorELNS0_4arch9wavefront6targetE0EEEvS12_,@function
_ZN7rocprim17ROCPRIM_400000_NS6detail17trampoline_kernelINS0_13select_configILj256ELj13ELNS0_17block_load_methodE3ELS4_3ELS4_3ELNS0_20block_scan_algorithmE0ELj4294967295EEENS1_25partition_config_selectorILNS1_17partition_subalgoE4EjNS0_10empty_typeEbEEZZNS1_14partition_implILS8_4ELb0ES6_15HIP_vector_typeIjLj2EENS0_17counting_iteratorIjlEEPS9_SG_NS0_5tupleIJPjSI_NS0_16reverse_iteratorISI_EEEEENSH_IJSG_SG_SG_EEES9_SI_JZNS1_25segmented_radix_sort_implINS0_14default_configELb0EPKdPdPKlPlN2at6native12_GLOBAL__N_18offset_tEEE10hipError_tPvRmT1_PNSt15iterator_traitsIS12_E10value_typeET2_T3_PNS13_IS18_E10value_typeET4_jRbjT5_S1E_jjP12ihipStream_tbEUljE_ZNSN_ISO_Lb0ESQ_SR_ST_SU_SY_EESZ_S10_S11_S12_S16_S17_S18_S1B_S1C_jS1D_jS1E_S1E_jjS1G_bEUljE0_EEESZ_S10_S11_S18_S1C_S1E_T6_T7_T9_mT8_S1G_bDpT10_ENKUlT_T0_E_clISt17integral_constantIbLb1EES1U_EEDaS1P_S1Q_EUlS1P_E_NS1_11comp_targetILNS1_3genE2ELNS1_11target_archE906ELNS1_3gpuE6ELNS1_3repE0EEENS1_30default_config_static_selectorELNS0_4arch9wavefront6targetE0EEEvS12_: ; @_ZN7rocprim17ROCPRIM_400000_NS6detail17trampoline_kernelINS0_13select_configILj256ELj13ELNS0_17block_load_methodE3ELS4_3ELS4_3ELNS0_20block_scan_algorithmE0ELj4294967295EEENS1_25partition_config_selectorILNS1_17partition_subalgoE4EjNS0_10empty_typeEbEEZZNS1_14partition_implILS8_4ELb0ES6_15HIP_vector_typeIjLj2EENS0_17counting_iteratorIjlEEPS9_SG_NS0_5tupleIJPjSI_NS0_16reverse_iteratorISI_EEEEENSH_IJSG_SG_SG_EEES9_SI_JZNS1_25segmented_radix_sort_implINS0_14default_configELb0EPKdPdPKlPlN2at6native12_GLOBAL__N_18offset_tEEE10hipError_tPvRmT1_PNSt15iterator_traitsIS12_E10value_typeET2_T3_PNS13_IS18_E10value_typeET4_jRbjT5_S1E_jjP12ihipStream_tbEUljE_ZNSN_ISO_Lb0ESQ_SR_ST_SU_SY_EESZ_S10_S11_S12_S16_S17_S18_S1B_S1C_jS1D_jS1E_S1E_jjS1G_bEUljE0_EEESZ_S10_S11_S18_S1C_S1E_T6_T7_T9_mT8_S1G_bDpT10_ENKUlT_T0_E_clISt17integral_constantIbLb1EES1U_EEDaS1P_S1Q_EUlS1P_E_NS1_11comp_targetILNS1_3genE2ELNS1_11target_archE906ELNS1_3gpuE6ELNS1_3repE0EEENS1_30default_config_static_selectorELNS0_4arch9wavefront6targetE0EEEvS12_
; %bb.0:
	.section	.rodata,"a",@progbits
	.p2align	6, 0x0
	.amdhsa_kernel _ZN7rocprim17ROCPRIM_400000_NS6detail17trampoline_kernelINS0_13select_configILj256ELj13ELNS0_17block_load_methodE3ELS4_3ELS4_3ELNS0_20block_scan_algorithmE0ELj4294967295EEENS1_25partition_config_selectorILNS1_17partition_subalgoE4EjNS0_10empty_typeEbEEZZNS1_14partition_implILS8_4ELb0ES6_15HIP_vector_typeIjLj2EENS0_17counting_iteratorIjlEEPS9_SG_NS0_5tupleIJPjSI_NS0_16reverse_iteratorISI_EEEEENSH_IJSG_SG_SG_EEES9_SI_JZNS1_25segmented_radix_sort_implINS0_14default_configELb0EPKdPdPKlPlN2at6native12_GLOBAL__N_18offset_tEEE10hipError_tPvRmT1_PNSt15iterator_traitsIS12_E10value_typeET2_T3_PNS13_IS18_E10value_typeET4_jRbjT5_S1E_jjP12ihipStream_tbEUljE_ZNSN_ISO_Lb0ESQ_SR_ST_SU_SY_EESZ_S10_S11_S12_S16_S17_S18_S1B_S1C_jS1D_jS1E_S1E_jjS1G_bEUljE0_EEESZ_S10_S11_S18_S1C_S1E_T6_T7_T9_mT8_S1G_bDpT10_ENKUlT_T0_E_clISt17integral_constantIbLb1EES1U_EEDaS1P_S1Q_EUlS1P_E_NS1_11comp_targetILNS1_3genE2ELNS1_11target_archE906ELNS1_3gpuE6ELNS1_3repE0EEENS1_30default_config_static_selectorELNS0_4arch9wavefront6targetE0EEEvS12_
		.amdhsa_group_segment_fixed_size 0
		.amdhsa_private_segment_fixed_size 0
		.amdhsa_kernarg_size 184
		.amdhsa_user_sgpr_count 2
		.amdhsa_user_sgpr_dispatch_ptr 0
		.amdhsa_user_sgpr_queue_ptr 0
		.amdhsa_user_sgpr_kernarg_segment_ptr 1
		.amdhsa_user_sgpr_dispatch_id 0
		.amdhsa_user_sgpr_kernarg_preload_length 0
		.amdhsa_user_sgpr_kernarg_preload_offset 0
		.amdhsa_user_sgpr_private_segment_size 0
		.amdhsa_wavefront_size32 1
		.amdhsa_uses_dynamic_stack 0
		.amdhsa_enable_private_segment 0
		.amdhsa_system_sgpr_workgroup_id_x 1
		.amdhsa_system_sgpr_workgroup_id_y 0
		.amdhsa_system_sgpr_workgroup_id_z 0
		.amdhsa_system_sgpr_workgroup_info 0
		.amdhsa_system_vgpr_workitem_id 0
		.amdhsa_next_free_vgpr 1
		.amdhsa_next_free_sgpr 1
		.amdhsa_named_barrier_count 0
		.amdhsa_reserve_vcc 0
		.amdhsa_float_round_mode_32 0
		.amdhsa_float_round_mode_16_64 0
		.amdhsa_float_denorm_mode_32 3
		.amdhsa_float_denorm_mode_16_64 3
		.amdhsa_fp16_overflow 0
		.amdhsa_memory_ordered 1
		.amdhsa_forward_progress 1
		.amdhsa_inst_pref_size 0
		.amdhsa_round_robin_scheduling 0
		.amdhsa_exception_fp_ieee_invalid_op 0
		.amdhsa_exception_fp_denorm_src 0
		.amdhsa_exception_fp_ieee_div_zero 0
		.amdhsa_exception_fp_ieee_overflow 0
		.amdhsa_exception_fp_ieee_underflow 0
		.amdhsa_exception_fp_ieee_inexact 0
		.amdhsa_exception_int_div_zero 0
	.end_amdhsa_kernel
	.section	.text._ZN7rocprim17ROCPRIM_400000_NS6detail17trampoline_kernelINS0_13select_configILj256ELj13ELNS0_17block_load_methodE3ELS4_3ELS4_3ELNS0_20block_scan_algorithmE0ELj4294967295EEENS1_25partition_config_selectorILNS1_17partition_subalgoE4EjNS0_10empty_typeEbEEZZNS1_14partition_implILS8_4ELb0ES6_15HIP_vector_typeIjLj2EENS0_17counting_iteratorIjlEEPS9_SG_NS0_5tupleIJPjSI_NS0_16reverse_iteratorISI_EEEEENSH_IJSG_SG_SG_EEES9_SI_JZNS1_25segmented_radix_sort_implINS0_14default_configELb0EPKdPdPKlPlN2at6native12_GLOBAL__N_18offset_tEEE10hipError_tPvRmT1_PNSt15iterator_traitsIS12_E10value_typeET2_T3_PNS13_IS18_E10value_typeET4_jRbjT5_S1E_jjP12ihipStream_tbEUljE_ZNSN_ISO_Lb0ESQ_SR_ST_SU_SY_EESZ_S10_S11_S12_S16_S17_S18_S1B_S1C_jS1D_jS1E_S1E_jjS1G_bEUljE0_EEESZ_S10_S11_S18_S1C_S1E_T6_T7_T9_mT8_S1G_bDpT10_ENKUlT_T0_E_clISt17integral_constantIbLb1EES1U_EEDaS1P_S1Q_EUlS1P_E_NS1_11comp_targetILNS1_3genE2ELNS1_11target_archE906ELNS1_3gpuE6ELNS1_3repE0EEENS1_30default_config_static_selectorELNS0_4arch9wavefront6targetE0EEEvS12_,"axG",@progbits,_ZN7rocprim17ROCPRIM_400000_NS6detail17trampoline_kernelINS0_13select_configILj256ELj13ELNS0_17block_load_methodE3ELS4_3ELS4_3ELNS0_20block_scan_algorithmE0ELj4294967295EEENS1_25partition_config_selectorILNS1_17partition_subalgoE4EjNS0_10empty_typeEbEEZZNS1_14partition_implILS8_4ELb0ES6_15HIP_vector_typeIjLj2EENS0_17counting_iteratorIjlEEPS9_SG_NS0_5tupleIJPjSI_NS0_16reverse_iteratorISI_EEEEENSH_IJSG_SG_SG_EEES9_SI_JZNS1_25segmented_radix_sort_implINS0_14default_configELb0EPKdPdPKlPlN2at6native12_GLOBAL__N_18offset_tEEE10hipError_tPvRmT1_PNSt15iterator_traitsIS12_E10value_typeET2_T3_PNS13_IS18_E10value_typeET4_jRbjT5_S1E_jjP12ihipStream_tbEUljE_ZNSN_ISO_Lb0ESQ_SR_ST_SU_SY_EESZ_S10_S11_S12_S16_S17_S18_S1B_S1C_jS1D_jS1E_S1E_jjS1G_bEUljE0_EEESZ_S10_S11_S18_S1C_S1E_T6_T7_T9_mT8_S1G_bDpT10_ENKUlT_T0_E_clISt17integral_constantIbLb1EES1U_EEDaS1P_S1Q_EUlS1P_E_NS1_11comp_targetILNS1_3genE2ELNS1_11target_archE906ELNS1_3gpuE6ELNS1_3repE0EEENS1_30default_config_static_selectorELNS0_4arch9wavefront6targetE0EEEvS12_,comdat
.Lfunc_end1163:
	.size	_ZN7rocprim17ROCPRIM_400000_NS6detail17trampoline_kernelINS0_13select_configILj256ELj13ELNS0_17block_load_methodE3ELS4_3ELS4_3ELNS0_20block_scan_algorithmE0ELj4294967295EEENS1_25partition_config_selectorILNS1_17partition_subalgoE4EjNS0_10empty_typeEbEEZZNS1_14partition_implILS8_4ELb0ES6_15HIP_vector_typeIjLj2EENS0_17counting_iteratorIjlEEPS9_SG_NS0_5tupleIJPjSI_NS0_16reverse_iteratorISI_EEEEENSH_IJSG_SG_SG_EEES9_SI_JZNS1_25segmented_radix_sort_implINS0_14default_configELb0EPKdPdPKlPlN2at6native12_GLOBAL__N_18offset_tEEE10hipError_tPvRmT1_PNSt15iterator_traitsIS12_E10value_typeET2_T3_PNS13_IS18_E10value_typeET4_jRbjT5_S1E_jjP12ihipStream_tbEUljE_ZNSN_ISO_Lb0ESQ_SR_ST_SU_SY_EESZ_S10_S11_S12_S16_S17_S18_S1B_S1C_jS1D_jS1E_S1E_jjS1G_bEUljE0_EEESZ_S10_S11_S18_S1C_S1E_T6_T7_T9_mT8_S1G_bDpT10_ENKUlT_T0_E_clISt17integral_constantIbLb1EES1U_EEDaS1P_S1Q_EUlS1P_E_NS1_11comp_targetILNS1_3genE2ELNS1_11target_archE906ELNS1_3gpuE6ELNS1_3repE0EEENS1_30default_config_static_selectorELNS0_4arch9wavefront6targetE0EEEvS12_, .Lfunc_end1163-_ZN7rocprim17ROCPRIM_400000_NS6detail17trampoline_kernelINS0_13select_configILj256ELj13ELNS0_17block_load_methodE3ELS4_3ELS4_3ELNS0_20block_scan_algorithmE0ELj4294967295EEENS1_25partition_config_selectorILNS1_17partition_subalgoE4EjNS0_10empty_typeEbEEZZNS1_14partition_implILS8_4ELb0ES6_15HIP_vector_typeIjLj2EENS0_17counting_iteratorIjlEEPS9_SG_NS0_5tupleIJPjSI_NS0_16reverse_iteratorISI_EEEEENSH_IJSG_SG_SG_EEES9_SI_JZNS1_25segmented_radix_sort_implINS0_14default_configELb0EPKdPdPKlPlN2at6native12_GLOBAL__N_18offset_tEEE10hipError_tPvRmT1_PNSt15iterator_traitsIS12_E10value_typeET2_T3_PNS13_IS18_E10value_typeET4_jRbjT5_S1E_jjP12ihipStream_tbEUljE_ZNSN_ISO_Lb0ESQ_SR_ST_SU_SY_EESZ_S10_S11_S12_S16_S17_S18_S1B_S1C_jS1D_jS1E_S1E_jjS1G_bEUljE0_EEESZ_S10_S11_S18_S1C_S1E_T6_T7_T9_mT8_S1G_bDpT10_ENKUlT_T0_E_clISt17integral_constantIbLb1EES1U_EEDaS1P_S1Q_EUlS1P_E_NS1_11comp_targetILNS1_3genE2ELNS1_11target_archE906ELNS1_3gpuE6ELNS1_3repE0EEENS1_30default_config_static_selectorELNS0_4arch9wavefront6targetE0EEEvS12_
                                        ; -- End function
	.set _ZN7rocprim17ROCPRIM_400000_NS6detail17trampoline_kernelINS0_13select_configILj256ELj13ELNS0_17block_load_methodE3ELS4_3ELS4_3ELNS0_20block_scan_algorithmE0ELj4294967295EEENS1_25partition_config_selectorILNS1_17partition_subalgoE4EjNS0_10empty_typeEbEEZZNS1_14partition_implILS8_4ELb0ES6_15HIP_vector_typeIjLj2EENS0_17counting_iteratorIjlEEPS9_SG_NS0_5tupleIJPjSI_NS0_16reverse_iteratorISI_EEEEENSH_IJSG_SG_SG_EEES9_SI_JZNS1_25segmented_radix_sort_implINS0_14default_configELb0EPKdPdPKlPlN2at6native12_GLOBAL__N_18offset_tEEE10hipError_tPvRmT1_PNSt15iterator_traitsIS12_E10value_typeET2_T3_PNS13_IS18_E10value_typeET4_jRbjT5_S1E_jjP12ihipStream_tbEUljE_ZNSN_ISO_Lb0ESQ_SR_ST_SU_SY_EESZ_S10_S11_S12_S16_S17_S18_S1B_S1C_jS1D_jS1E_S1E_jjS1G_bEUljE0_EEESZ_S10_S11_S18_S1C_S1E_T6_T7_T9_mT8_S1G_bDpT10_ENKUlT_T0_E_clISt17integral_constantIbLb1EES1U_EEDaS1P_S1Q_EUlS1P_E_NS1_11comp_targetILNS1_3genE2ELNS1_11target_archE906ELNS1_3gpuE6ELNS1_3repE0EEENS1_30default_config_static_selectorELNS0_4arch9wavefront6targetE0EEEvS12_.num_vgpr, 0
	.set _ZN7rocprim17ROCPRIM_400000_NS6detail17trampoline_kernelINS0_13select_configILj256ELj13ELNS0_17block_load_methodE3ELS4_3ELS4_3ELNS0_20block_scan_algorithmE0ELj4294967295EEENS1_25partition_config_selectorILNS1_17partition_subalgoE4EjNS0_10empty_typeEbEEZZNS1_14partition_implILS8_4ELb0ES6_15HIP_vector_typeIjLj2EENS0_17counting_iteratorIjlEEPS9_SG_NS0_5tupleIJPjSI_NS0_16reverse_iteratorISI_EEEEENSH_IJSG_SG_SG_EEES9_SI_JZNS1_25segmented_radix_sort_implINS0_14default_configELb0EPKdPdPKlPlN2at6native12_GLOBAL__N_18offset_tEEE10hipError_tPvRmT1_PNSt15iterator_traitsIS12_E10value_typeET2_T3_PNS13_IS18_E10value_typeET4_jRbjT5_S1E_jjP12ihipStream_tbEUljE_ZNSN_ISO_Lb0ESQ_SR_ST_SU_SY_EESZ_S10_S11_S12_S16_S17_S18_S1B_S1C_jS1D_jS1E_S1E_jjS1G_bEUljE0_EEESZ_S10_S11_S18_S1C_S1E_T6_T7_T9_mT8_S1G_bDpT10_ENKUlT_T0_E_clISt17integral_constantIbLb1EES1U_EEDaS1P_S1Q_EUlS1P_E_NS1_11comp_targetILNS1_3genE2ELNS1_11target_archE906ELNS1_3gpuE6ELNS1_3repE0EEENS1_30default_config_static_selectorELNS0_4arch9wavefront6targetE0EEEvS12_.num_agpr, 0
	.set _ZN7rocprim17ROCPRIM_400000_NS6detail17trampoline_kernelINS0_13select_configILj256ELj13ELNS0_17block_load_methodE3ELS4_3ELS4_3ELNS0_20block_scan_algorithmE0ELj4294967295EEENS1_25partition_config_selectorILNS1_17partition_subalgoE4EjNS0_10empty_typeEbEEZZNS1_14partition_implILS8_4ELb0ES6_15HIP_vector_typeIjLj2EENS0_17counting_iteratorIjlEEPS9_SG_NS0_5tupleIJPjSI_NS0_16reverse_iteratorISI_EEEEENSH_IJSG_SG_SG_EEES9_SI_JZNS1_25segmented_radix_sort_implINS0_14default_configELb0EPKdPdPKlPlN2at6native12_GLOBAL__N_18offset_tEEE10hipError_tPvRmT1_PNSt15iterator_traitsIS12_E10value_typeET2_T3_PNS13_IS18_E10value_typeET4_jRbjT5_S1E_jjP12ihipStream_tbEUljE_ZNSN_ISO_Lb0ESQ_SR_ST_SU_SY_EESZ_S10_S11_S12_S16_S17_S18_S1B_S1C_jS1D_jS1E_S1E_jjS1G_bEUljE0_EEESZ_S10_S11_S18_S1C_S1E_T6_T7_T9_mT8_S1G_bDpT10_ENKUlT_T0_E_clISt17integral_constantIbLb1EES1U_EEDaS1P_S1Q_EUlS1P_E_NS1_11comp_targetILNS1_3genE2ELNS1_11target_archE906ELNS1_3gpuE6ELNS1_3repE0EEENS1_30default_config_static_selectorELNS0_4arch9wavefront6targetE0EEEvS12_.numbered_sgpr, 0
	.set _ZN7rocprim17ROCPRIM_400000_NS6detail17trampoline_kernelINS0_13select_configILj256ELj13ELNS0_17block_load_methodE3ELS4_3ELS4_3ELNS0_20block_scan_algorithmE0ELj4294967295EEENS1_25partition_config_selectorILNS1_17partition_subalgoE4EjNS0_10empty_typeEbEEZZNS1_14partition_implILS8_4ELb0ES6_15HIP_vector_typeIjLj2EENS0_17counting_iteratorIjlEEPS9_SG_NS0_5tupleIJPjSI_NS0_16reverse_iteratorISI_EEEEENSH_IJSG_SG_SG_EEES9_SI_JZNS1_25segmented_radix_sort_implINS0_14default_configELb0EPKdPdPKlPlN2at6native12_GLOBAL__N_18offset_tEEE10hipError_tPvRmT1_PNSt15iterator_traitsIS12_E10value_typeET2_T3_PNS13_IS18_E10value_typeET4_jRbjT5_S1E_jjP12ihipStream_tbEUljE_ZNSN_ISO_Lb0ESQ_SR_ST_SU_SY_EESZ_S10_S11_S12_S16_S17_S18_S1B_S1C_jS1D_jS1E_S1E_jjS1G_bEUljE0_EEESZ_S10_S11_S18_S1C_S1E_T6_T7_T9_mT8_S1G_bDpT10_ENKUlT_T0_E_clISt17integral_constantIbLb1EES1U_EEDaS1P_S1Q_EUlS1P_E_NS1_11comp_targetILNS1_3genE2ELNS1_11target_archE906ELNS1_3gpuE6ELNS1_3repE0EEENS1_30default_config_static_selectorELNS0_4arch9wavefront6targetE0EEEvS12_.num_named_barrier, 0
	.set _ZN7rocprim17ROCPRIM_400000_NS6detail17trampoline_kernelINS0_13select_configILj256ELj13ELNS0_17block_load_methodE3ELS4_3ELS4_3ELNS0_20block_scan_algorithmE0ELj4294967295EEENS1_25partition_config_selectorILNS1_17partition_subalgoE4EjNS0_10empty_typeEbEEZZNS1_14partition_implILS8_4ELb0ES6_15HIP_vector_typeIjLj2EENS0_17counting_iteratorIjlEEPS9_SG_NS0_5tupleIJPjSI_NS0_16reverse_iteratorISI_EEEEENSH_IJSG_SG_SG_EEES9_SI_JZNS1_25segmented_radix_sort_implINS0_14default_configELb0EPKdPdPKlPlN2at6native12_GLOBAL__N_18offset_tEEE10hipError_tPvRmT1_PNSt15iterator_traitsIS12_E10value_typeET2_T3_PNS13_IS18_E10value_typeET4_jRbjT5_S1E_jjP12ihipStream_tbEUljE_ZNSN_ISO_Lb0ESQ_SR_ST_SU_SY_EESZ_S10_S11_S12_S16_S17_S18_S1B_S1C_jS1D_jS1E_S1E_jjS1G_bEUljE0_EEESZ_S10_S11_S18_S1C_S1E_T6_T7_T9_mT8_S1G_bDpT10_ENKUlT_T0_E_clISt17integral_constantIbLb1EES1U_EEDaS1P_S1Q_EUlS1P_E_NS1_11comp_targetILNS1_3genE2ELNS1_11target_archE906ELNS1_3gpuE6ELNS1_3repE0EEENS1_30default_config_static_selectorELNS0_4arch9wavefront6targetE0EEEvS12_.private_seg_size, 0
	.set _ZN7rocprim17ROCPRIM_400000_NS6detail17trampoline_kernelINS0_13select_configILj256ELj13ELNS0_17block_load_methodE3ELS4_3ELS4_3ELNS0_20block_scan_algorithmE0ELj4294967295EEENS1_25partition_config_selectorILNS1_17partition_subalgoE4EjNS0_10empty_typeEbEEZZNS1_14partition_implILS8_4ELb0ES6_15HIP_vector_typeIjLj2EENS0_17counting_iteratorIjlEEPS9_SG_NS0_5tupleIJPjSI_NS0_16reverse_iteratorISI_EEEEENSH_IJSG_SG_SG_EEES9_SI_JZNS1_25segmented_radix_sort_implINS0_14default_configELb0EPKdPdPKlPlN2at6native12_GLOBAL__N_18offset_tEEE10hipError_tPvRmT1_PNSt15iterator_traitsIS12_E10value_typeET2_T3_PNS13_IS18_E10value_typeET4_jRbjT5_S1E_jjP12ihipStream_tbEUljE_ZNSN_ISO_Lb0ESQ_SR_ST_SU_SY_EESZ_S10_S11_S12_S16_S17_S18_S1B_S1C_jS1D_jS1E_S1E_jjS1G_bEUljE0_EEESZ_S10_S11_S18_S1C_S1E_T6_T7_T9_mT8_S1G_bDpT10_ENKUlT_T0_E_clISt17integral_constantIbLb1EES1U_EEDaS1P_S1Q_EUlS1P_E_NS1_11comp_targetILNS1_3genE2ELNS1_11target_archE906ELNS1_3gpuE6ELNS1_3repE0EEENS1_30default_config_static_selectorELNS0_4arch9wavefront6targetE0EEEvS12_.uses_vcc, 0
	.set _ZN7rocprim17ROCPRIM_400000_NS6detail17trampoline_kernelINS0_13select_configILj256ELj13ELNS0_17block_load_methodE3ELS4_3ELS4_3ELNS0_20block_scan_algorithmE0ELj4294967295EEENS1_25partition_config_selectorILNS1_17partition_subalgoE4EjNS0_10empty_typeEbEEZZNS1_14partition_implILS8_4ELb0ES6_15HIP_vector_typeIjLj2EENS0_17counting_iteratorIjlEEPS9_SG_NS0_5tupleIJPjSI_NS0_16reverse_iteratorISI_EEEEENSH_IJSG_SG_SG_EEES9_SI_JZNS1_25segmented_radix_sort_implINS0_14default_configELb0EPKdPdPKlPlN2at6native12_GLOBAL__N_18offset_tEEE10hipError_tPvRmT1_PNSt15iterator_traitsIS12_E10value_typeET2_T3_PNS13_IS18_E10value_typeET4_jRbjT5_S1E_jjP12ihipStream_tbEUljE_ZNSN_ISO_Lb0ESQ_SR_ST_SU_SY_EESZ_S10_S11_S12_S16_S17_S18_S1B_S1C_jS1D_jS1E_S1E_jjS1G_bEUljE0_EEESZ_S10_S11_S18_S1C_S1E_T6_T7_T9_mT8_S1G_bDpT10_ENKUlT_T0_E_clISt17integral_constantIbLb1EES1U_EEDaS1P_S1Q_EUlS1P_E_NS1_11comp_targetILNS1_3genE2ELNS1_11target_archE906ELNS1_3gpuE6ELNS1_3repE0EEENS1_30default_config_static_selectorELNS0_4arch9wavefront6targetE0EEEvS12_.uses_flat_scratch, 0
	.set _ZN7rocprim17ROCPRIM_400000_NS6detail17trampoline_kernelINS0_13select_configILj256ELj13ELNS0_17block_load_methodE3ELS4_3ELS4_3ELNS0_20block_scan_algorithmE0ELj4294967295EEENS1_25partition_config_selectorILNS1_17partition_subalgoE4EjNS0_10empty_typeEbEEZZNS1_14partition_implILS8_4ELb0ES6_15HIP_vector_typeIjLj2EENS0_17counting_iteratorIjlEEPS9_SG_NS0_5tupleIJPjSI_NS0_16reverse_iteratorISI_EEEEENSH_IJSG_SG_SG_EEES9_SI_JZNS1_25segmented_radix_sort_implINS0_14default_configELb0EPKdPdPKlPlN2at6native12_GLOBAL__N_18offset_tEEE10hipError_tPvRmT1_PNSt15iterator_traitsIS12_E10value_typeET2_T3_PNS13_IS18_E10value_typeET4_jRbjT5_S1E_jjP12ihipStream_tbEUljE_ZNSN_ISO_Lb0ESQ_SR_ST_SU_SY_EESZ_S10_S11_S12_S16_S17_S18_S1B_S1C_jS1D_jS1E_S1E_jjS1G_bEUljE0_EEESZ_S10_S11_S18_S1C_S1E_T6_T7_T9_mT8_S1G_bDpT10_ENKUlT_T0_E_clISt17integral_constantIbLb1EES1U_EEDaS1P_S1Q_EUlS1P_E_NS1_11comp_targetILNS1_3genE2ELNS1_11target_archE906ELNS1_3gpuE6ELNS1_3repE0EEENS1_30default_config_static_selectorELNS0_4arch9wavefront6targetE0EEEvS12_.has_dyn_sized_stack, 0
	.set _ZN7rocprim17ROCPRIM_400000_NS6detail17trampoline_kernelINS0_13select_configILj256ELj13ELNS0_17block_load_methodE3ELS4_3ELS4_3ELNS0_20block_scan_algorithmE0ELj4294967295EEENS1_25partition_config_selectorILNS1_17partition_subalgoE4EjNS0_10empty_typeEbEEZZNS1_14partition_implILS8_4ELb0ES6_15HIP_vector_typeIjLj2EENS0_17counting_iteratorIjlEEPS9_SG_NS0_5tupleIJPjSI_NS0_16reverse_iteratorISI_EEEEENSH_IJSG_SG_SG_EEES9_SI_JZNS1_25segmented_radix_sort_implINS0_14default_configELb0EPKdPdPKlPlN2at6native12_GLOBAL__N_18offset_tEEE10hipError_tPvRmT1_PNSt15iterator_traitsIS12_E10value_typeET2_T3_PNS13_IS18_E10value_typeET4_jRbjT5_S1E_jjP12ihipStream_tbEUljE_ZNSN_ISO_Lb0ESQ_SR_ST_SU_SY_EESZ_S10_S11_S12_S16_S17_S18_S1B_S1C_jS1D_jS1E_S1E_jjS1G_bEUljE0_EEESZ_S10_S11_S18_S1C_S1E_T6_T7_T9_mT8_S1G_bDpT10_ENKUlT_T0_E_clISt17integral_constantIbLb1EES1U_EEDaS1P_S1Q_EUlS1P_E_NS1_11comp_targetILNS1_3genE2ELNS1_11target_archE906ELNS1_3gpuE6ELNS1_3repE0EEENS1_30default_config_static_selectorELNS0_4arch9wavefront6targetE0EEEvS12_.has_recursion, 0
	.set _ZN7rocprim17ROCPRIM_400000_NS6detail17trampoline_kernelINS0_13select_configILj256ELj13ELNS0_17block_load_methodE3ELS4_3ELS4_3ELNS0_20block_scan_algorithmE0ELj4294967295EEENS1_25partition_config_selectorILNS1_17partition_subalgoE4EjNS0_10empty_typeEbEEZZNS1_14partition_implILS8_4ELb0ES6_15HIP_vector_typeIjLj2EENS0_17counting_iteratorIjlEEPS9_SG_NS0_5tupleIJPjSI_NS0_16reverse_iteratorISI_EEEEENSH_IJSG_SG_SG_EEES9_SI_JZNS1_25segmented_radix_sort_implINS0_14default_configELb0EPKdPdPKlPlN2at6native12_GLOBAL__N_18offset_tEEE10hipError_tPvRmT1_PNSt15iterator_traitsIS12_E10value_typeET2_T3_PNS13_IS18_E10value_typeET4_jRbjT5_S1E_jjP12ihipStream_tbEUljE_ZNSN_ISO_Lb0ESQ_SR_ST_SU_SY_EESZ_S10_S11_S12_S16_S17_S18_S1B_S1C_jS1D_jS1E_S1E_jjS1G_bEUljE0_EEESZ_S10_S11_S18_S1C_S1E_T6_T7_T9_mT8_S1G_bDpT10_ENKUlT_T0_E_clISt17integral_constantIbLb1EES1U_EEDaS1P_S1Q_EUlS1P_E_NS1_11comp_targetILNS1_3genE2ELNS1_11target_archE906ELNS1_3gpuE6ELNS1_3repE0EEENS1_30default_config_static_selectorELNS0_4arch9wavefront6targetE0EEEvS12_.has_indirect_call, 0
	.section	.AMDGPU.csdata,"",@progbits
; Kernel info:
; codeLenInByte = 0
; TotalNumSgprs: 0
; NumVgprs: 0
; ScratchSize: 0
; MemoryBound: 0
; FloatMode: 240
; IeeeMode: 1
; LDSByteSize: 0 bytes/workgroup (compile time only)
; SGPRBlocks: 0
; VGPRBlocks: 0
; NumSGPRsForWavesPerEU: 1
; NumVGPRsForWavesPerEU: 1
; NamedBarCnt: 0
; Occupancy: 16
; WaveLimiterHint : 0
; COMPUTE_PGM_RSRC2:SCRATCH_EN: 0
; COMPUTE_PGM_RSRC2:USER_SGPR: 2
; COMPUTE_PGM_RSRC2:TRAP_HANDLER: 0
; COMPUTE_PGM_RSRC2:TGID_X_EN: 1
; COMPUTE_PGM_RSRC2:TGID_Y_EN: 0
; COMPUTE_PGM_RSRC2:TGID_Z_EN: 0
; COMPUTE_PGM_RSRC2:TIDIG_COMP_CNT: 0
	.section	.text._ZN7rocprim17ROCPRIM_400000_NS6detail17trampoline_kernelINS0_13select_configILj256ELj13ELNS0_17block_load_methodE3ELS4_3ELS4_3ELNS0_20block_scan_algorithmE0ELj4294967295EEENS1_25partition_config_selectorILNS1_17partition_subalgoE4EjNS0_10empty_typeEbEEZZNS1_14partition_implILS8_4ELb0ES6_15HIP_vector_typeIjLj2EENS0_17counting_iteratorIjlEEPS9_SG_NS0_5tupleIJPjSI_NS0_16reverse_iteratorISI_EEEEENSH_IJSG_SG_SG_EEES9_SI_JZNS1_25segmented_radix_sort_implINS0_14default_configELb0EPKdPdPKlPlN2at6native12_GLOBAL__N_18offset_tEEE10hipError_tPvRmT1_PNSt15iterator_traitsIS12_E10value_typeET2_T3_PNS13_IS18_E10value_typeET4_jRbjT5_S1E_jjP12ihipStream_tbEUljE_ZNSN_ISO_Lb0ESQ_SR_ST_SU_SY_EESZ_S10_S11_S12_S16_S17_S18_S1B_S1C_jS1D_jS1E_S1E_jjS1G_bEUljE0_EEESZ_S10_S11_S18_S1C_S1E_T6_T7_T9_mT8_S1G_bDpT10_ENKUlT_T0_E_clISt17integral_constantIbLb1EES1U_EEDaS1P_S1Q_EUlS1P_E_NS1_11comp_targetILNS1_3genE10ELNS1_11target_archE1200ELNS1_3gpuE4ELNS1_3repE0EEENS1_30default_config_static_selectorELNS0_4arch9wavefront6targetE0EEEvS12_,"axG",@progbits,_ZN7rocprim17ROCPRIM_400000_NS6detail17trampoline_kernelINS0_13select_configILj256ELj13ELNS0_17block_load_methodE3ELS4_3ELS4_3ELNS0_20block_scan_algorithmE0ELj4294967295EEENS1_25partition_config_selectorILNS1_17partition_subalgoE4EjNS0_10empty_typeEbEEZZNS1_14partition_implILS8_4ELb0ES6_15HIP_vector_typeIjLj2EENS0_17counting_iteratorIjlEEPS9_SG_NS0_5tupleIJPjSI_NS0_16reverse_iteratorISI_EEEEENSH_IJSG_SG_SG_EEES9_SI_JZNS1_25segmented_radix_sort_implINS0_14default_configELb0EPKdPdPKlPlN2at6native12_GLOBAL__N_18offset_tEEE10hipError_tPvRmT1_PNSt15iterator_traitsIS12_E10value_typeET2_T3_PNS13_IS18_E10value_typeET4_jRbjT5_S1E_jjP12ihipStream_tbEUljE_ZNSN_ISO_Lb0ESQ_SR_ST_SU_SY_EESZ_S10_S11_S12_S16_S17_S18_S1B_S1C_jS1D_jS1E_S1E_jjS1G_bEUljE0_EEESZ_S10_S11_S18_S1C_S1E_T6_T7_T9_mT8_S1G_bDpT10_ENKUlT_T0_E_clISt17integral_constantIbLb1EES1U_EEDaS1P_S1Q_EUlS1P_E_NS1_11comp_targetILNS1_3genE10ELNS1_11target_archE1200ELNS1_3gpuE4ELNS1_3repE0EEENS1_30default_config_static_selectorELNS0_4arch9wavefront6targetE0EEEvS12_,comdat
	.globl	_ZN7rocprim17ROCPRIM_400000_NS6detail17trampoline_kernelINS0_13select_configILj256ELj13ELNS0_17block_load_methodE3ELS4_3ELS4_3ELNS0_20block_scan_algorithmE0ELj4294967295EEENS1_25partition_config_selectorILNS1_17partition_subalgoE4EjNS0_10empty_typeEbEEZZNS1_14partition_implILS8_4ELb0ES6_15HIP_vector_typeIjLj2EENS0_17counting_iteratorIjlEEPS9_SG_NS0_5tupleIJPjSI_NS0_16reverse_iteratorISI_EEEEENSH_IJSG_SG_SG_EEES9_SI_JZNS1_25segmented_radix_sort_implINS0_14default_configELb0EPKdPdPKlPlN2at6native12_GLOBAL__N_18offset_tEEE10hipError_tPvRmT1_PNSt15iterator_traitsIS12_E10value_typeET2_T3_PNS13_IS18_E10value_typeET4_jRbjT5_S1E_jjP12ihipStream_tbEUljE_ZNSN_ISO_Lb0ESQ_SR_ST_SU_SY_EESZ_S10_S11_S12_S16_S17_S18_S1B_S1C_jS1D_jS1E_S1E_jjS1G_bEUljE0_EEESZ_S10_S11_S18_S1C_S1E_T6_T7_T9_mT8_S1G_bDpT10_ENKUlT_T0_E_clISt17integral_constantIbLb1EES1U_EEDaS1P_S1Q_EUlS1P_E_NS1_11comp_targetILNS1_3genE10ELNS1_11target_archE1200ELNS1_3gpuE4ELNS1_3repE0EEENS1_30default_config_static_selectorELNS0_4arch9wavefront6targetE0EEEvS12_ ; -- Begin function _ZN7rocprim17ROCPRIM_400000_NS6detail17trampoline_kernelINS0_13select_configILj256ELj13ELNS0_17block_load_methodE3ELS4_3ELS4_3ELNS0_20block_scan_algorithmE0ELj4294967295EEENS1_25partition_config_selectorILNS1_17partition_subalgoE4EjNS0_10empty_typeEbEEZZNS1_14partition_implILS8_4ELb0ES6_15HIP_vector_typeIjLj2EENS0_17counting_iteratorIjlEEPS9_SG_NS0_5tupleIJPjSI_NS0_16reverse_iteratorISI_EEEEENSH_IJSG_SG_SG_EEES9_SI_JZNS1_25segmented_radix_sort_implINS0_14default_configELb0EPKdPdPKlPlN2at6native12_GLOBAL__N_18offset_tEEE10hipError_tPvRmT1_PNSt15iterator_traitsIS12_E10value_typeET2_T3_PNS13_IS18_E10value_typeET4_jRbjT5_S1E_jjP12ihipStream_tbEUljE_ZNSN_ISO_Lb0ESQ_SR_ST_SU_SY_EESZ_S10_S11_S12_S16_S17_S18_S1B_S1C_jS1D_jS1E_S1E_jjS1G_bEUljE0_EEESZ_S10_S11_S18_S1C_S1E_T6_T7_T9_mT8_S1G_bDpT10_ENKUlT_T0_E_clISt17integral_constantIbLb1EES1U_EEDaS1P_S1Q_EUlS1P_E_NS1_11comp_targetILNS1_3genE10ELNS1_11target_archE1200ELNS1_3gpuE4ELNS1_3repE0EEENS1_30default_config_static_selectorELNS0_4arch9wavefront6targetE0EEEvS12_
	.p2align	8
	.type	_ZN7rocprim17ROCPRIM_400000_NS6detail17trampoline_kernelINS0_13select_configILj256ELj13ELNS0_17block_load_methodE3ELS4_3ELS4_3ELNS0_20block_scan_algorithmE0ELj4294967295EEENS1_25partition_config_selectorILNS1_17partition_subalgoE4EjNS0_10empty_typeEbEEZZNS1_14partition_implILS8_4ELb0ES6_15HIP_vector_typeIjLj2EENS0_17counting_iteratorIjlEEPS9_SG_NS0_5tupleIJPjSI_NS0_16reverse_iteratorISI_EEEEENSH_IJSG_SG_SG_EEES9_SI_JZNS1_25segmented_radix_sort_implINS0_14default_configELb0EPKdPdPKlPlN2at6native12_GLOBAL__N_18offset_tEEE10hipError_tPvRmT1_PNSt15iterator_traitsIS12_E10value_typeET2_T3_PNS13_IS18_E10value_typeET4_jRbjT5_S1E_jjP12ihipStream_tbEUljE_ZNSN_ISO_Lb0ESQ_SR_ST_SU_SY_EESZ_S10_S11_S12_S16_S17_S18_S1B_S1C_jS1D_jS1E_S1E_jjS1G_bEUljE0_EEESZ_S10_S11_S18_S1C_S1E_T6_T7_T9_mT8_S1G_bDpT10_ENKUlT_T0_E_clISt17integral_constantIbLb1EES1U_EEDaS1P_S1Q_EUlS1P_E_NS1_11comp_targetILNS1_3genE10ELNS1_11target_archE1200ELNS1_3gpuE4ELNS1_3repE0EEENS1_30default_config_static_selectorELNS0_4arch9wavefront6targetE0EEEvS12_,@function
_ZN7rocprim17ROCPRIM_400000_NS6detail17trampoline_kernelINS0_13select_configILj256ELj13ELNS0_17block_load_methodE3ELS4_3ELS4_3ELNS0_20block_scan_algorithmE0ELj4294967295EEENS1_25partition_config_selectorILNS1_17partition_subalgoE4EjNS0_10empty_typeEbEEZZNS1_14partition_implILS8_4ELb0ES6_15HIP_vector_typeIjLj2EENS0_17counting_iteratorIjlEEPS9_SG_NS0_5tupleIJPjSI_NS0_16reverse_iteratorISI_EEEEENSH_IJSG_SG_SG_EEES9_SI_JZNS1_25segmented_radix_sort_implINS0_14default_configELb0EPKdPdPKlPlN2at6native12_GLOBAL__N_18offset_tEEE10hipError_tPvRmT1_PNSt15iterator_traitsIS12_E10value_typeET2_T3_PNS13_IS18_E10value_typeET4_jRbjT5_S1E_jjP12ihipStream_tbEUljE_ZNSN_ISO_Lb0ESQ_SR_ST_SU_SY_EESZ_S10_S11_S12_S16_S17_S18_S1B_S1C_jS1D_jS1E_S1E_jjS1G_bEUljE0_EEESZ_S10_S11_S18_S1C_S1E_T6_T7_T9_mT8_S1G_bDpT10_ENKUlT_T0_E_clISt17integral_constantIbLb1EES1U_EEDaS1P_S1Q_EUlS1P_E_NS1_11comp_targetILNS1_3genE10ELNS1_11target_archE1200ELNS1_3gpuE4ELNS1_3repE0EEENS1_30default_config_static_selectorELNS0_4arch9wavefront6targetE0EEEvS12_: ; @_ZN7rocprim17ROCPRIM_400000_NS6detail17trampoline_kernelINS0_13select_configILj256ELj13ELNS0_17block_load_methodE3ELS4_3ELS4_3ELNS0_20block_scan_algorithmE0ELj4294967295EEENS1_25partition_config_selectorILNS1_17partition_subalgoE4EjNS0_10empty_typeEbEEZZNS1_14partition_implILS8_4ELb0ES6_15HIP_vector_typeIjLj2EENS0_17counting_iteratorIjlEEPS9_SG_NS0_5tupleIJPjSI_NS0_16reverse_iteratorISI_EEEEENSH_IJSG_SG_SG_EEES9_SI_JZNS1_25segmented_radix_sort_implINS0_14default_configELb0EPKdPdPKlPlN2at6native12_GLOBAL__N_18offset_tEEE10hipError_tPvRmT1_PNSt15iterator_traitsIS12_E10value_typeET2_T3_PNS13_IS18_E10value_typeET4_jRbjT5_S1E_jjP12ihipStream_tbEUljE_ZNSN_ISO_Lb0ESQ_SR_ST_SU_SY_EESZ_S10_S11_S12_S16_S17_S18_S1B_S1C_jS1D_jS1E_S1E_jjS1G_bEUljE0_EEESZ_S10_S11_S18_S1C_S1E_T6_T7_T9_mT8_S1G_bDpT10_ENKUlT_T0_E_clISt17integral_constantIbLb1EES1U_EEDaS1P_S1Q_EUlS1P_E_NS1_11comp_targetILNS1_3genE10ELNS1_11target_archE1200ELNS1_3gpuE4ELNS1_3repE0EEENS1_30default_config_static_selectorELNS0_4arch9wavefront6targetE0EEEvS12_
; %bb.0:
	.section	.rodata,"a",@progbits
	.p2align	6, 0x0
	.amdhsa_kernel _ZN7rocprim17ROCPRIM_400000_NS6detail17trampoline_kernelINS0_13select_configILj256ELj13ELNS0_17block_load_methodE3ELS4_3ELS4_3ELNS0_20block_scan_algorithmE0ELj4294967295EEENS1_25partition_config_selectorILNS1_17partition_subalgoE4EjNS0_10empty_typeEbEEZZNS1_14partition_implILS8_4ELb0ES6_15HIP_vector_typeIjLj2EENS0_17counting_iteratorIjlEEPS9_SG_NS0_5tupleIJPjSI_NS0_16reverse_iteratorISI_EEEEENSH_IJSG_SG_SG_EEES9_SI_JZNS1_25segmented_radix_sort_implINS0_14default_configELb0EPKdPdPKlPlN2at6native12_GLOBAL__N_18offset_tEEE10hipError_tPvRmT1_PNSt15iterator_traitsIS12_E10value_typeET2_T3_PNS13_IS18_E10value_typeET4_jRbjT5_S1E_jjP12ihipStream_tbEUljE_ZNSN_ISO_Lb0ESQ_SR_ST_SU_SY_EESZ_S10_S11_S12_S16_S17_S18_S1B_S1C_jS1D_jS1E_S1E_jjS1G_bEUljE0_EEESZ_S10_S11_S18_S1C_S1E_T6_T7_T9_mT8_S1G_bDpT10_ENKUlT_T0_E_clISt17integral_constantIbLb1EES1U_EEDaS1P_S1Q_EUlS1P_E_NS1_11comp_targetILNS1_3genE10ELNS1_11target_archE1200ELNS1_3gpuE4ELNS1_3repE0EEENS1_30default_config_static_selectorELNS0_4arch9wavefront6targetE0EEEvS12_
		.amdhsa_group_segment_fixed_size 0
		.amdhsa_private_segment_fixed_size 0
		.amdhsa_kernarg_size 184
		.amdhsa_user_sgpr_count 2
		.amdhsa_user_sgpr_dispatch_ptr 0
		.amdhsa_user_sgpr_queue_ptr 0
		.amdhsa_user_sgpr_kernarg_segment_ptr 1
		.amdhsa_user_sgpr_dispatch_id 0
		.amdhsa_user_sgpr_kernarg_preload_length 0
		.amdhsa_user_sgpr_kernarg_preload_offset 0
		.amdhsa_user_sgpr_private_segment_size 0
		.amdhsa_wavefront_size32 1
		.amdhsa_uses_dynamic_stack 0
		.amdhsa_enable_private_segment 0
		.amdhsa_system_sgpr_workgroup_id_x 1
		.amdhsa_system_sgpr_workgroup_id_y 0
		.amdhsa_system_sgpr_workgroup_id_z 0
		.amdhsa_system_sgpr_workgroup_info 0
		.amdhsa_system_vgpr_workitem_id 0
		.amdhsa_next_free_vgpr 1
		.amdhsa_next_free_sgpr 1
		.amdhsa_named_barrier_count 0
		.amdhsa_reserve_vcc 0
		.amdhsa_float_round_mode_32 0
		.amdhsa_float_round_mode_16_64 0
		.amdhsa_float_denorm_mode_32 3
		.amdhsa_float_denorm_mode_16_64 3
		.amdhsa_fp16_overflow 0
		.amdhsa_memory_ordered 1
		.amdhsa_forward_progress 1
		.amdhsa_inst_pref_size 0
		.amdhsa_round_robin_scheduling 0
		.amdhsa_exception_fp_ieee_invalid_op 0
		.amdhsa_exception_fp_denorm_src 0
		.amdhsa_exception_fp_ieee_div_zero 0
		.amdhsa_exception_fp_ieee_overflow 0
		.amdhsa_exception_fp_ieee_underflow 0
		.amdhsa_exception_fp_ieee_inexact 0
		.amdhsa_exception_int_div_zero 0
	.end_amdhsa_kernel
	.section	.text._ZN7rocprim17ROCPRIM_400000_NS6detail17trampoline_kernelINS0_13select_configILj256ELj13ELNS0_17block_load_methodE3ELS4_3ELS4_3ELNS0_20block_scan_algorithmE0ELj4294967295EEENS1_25partition_config_selectorILNS1_17partition_subalgoE4EjNS0_10empty_typeEbEEZZNS1_14partition_implILS8_4ELb0ES6_15HIP_vector_typeIjLj2EENS0_17counting_iteratorIjlEEPS9_SG_NS0_5tupleIJPjSI_NS0_16reverse_iteratorISI_EEEEENSH_IJSG_SG_SG_EEES9_SI_JZNS1_25segmented_radix_sort_implINS0_14default_configELb0EPKdPdPKlPlN2at6native12_GLOBAL__N_18offset_tEEE10hipError_tPvRmT1_PNSt15iterator_traitsIS12_E10value_typeET2_T3_PNS13_IS18_E10value_typeET4_jRbjT5_S1E_jjP12ihipStream_tbEUljE_ZNSN_ISO_Lb0ESQ_SR_ST_SU_SY_EESZ_S10_S11_S12_S16_S17_S18_S1B_S1C_jS1D_jS1E_S1E_jjS1G_bEUljE0_EEESZ_S10_S11_S18_S1C_S1E_T6_T7_T9_mT8_S1G_bDpT10_ENKUlT_T0_E_clISt17integral_constantIbLb1EES1U_EEDaS1P_S1Q_EUlS1P_E_NS1_11comp_targetILNS1_3genE10ELNS1_11target_archE1200ELNS1_3gpuE4ELNS1_3repE0EEENS1_30default_config_static_selectorELNS0_4arch9wavefront6targetE0EEEvS12_,"axG",@progbits,_ZN7rocprim17ROCPRIM_400000_NS6detail17trampoline_kernelINS0_13select_configILj256ELj13ELNS0_17block_load_methodE3ELS4_3ELS4_3ELNS0_20block_scan_algorithmE0ELj4294967295EEENS1_25partition_config_selectorILNS1_17partition_subalgoE4EjNS0_10empty_typeEbEEZZNS1_14partition_implILS8_4ELb0ES6_15HIP_vector_typeIjLj2EENS0_17counting_iteratorIjlEEPS9_SG_NS0_5tupleIJPjSI_NS0_16reverse_iteratorISI_EEEEENSH_IJSG_SG_SG_EEES9_SI_JZNS1_25segmented_radix_sort_implINS0_14default_configELb0EPKdPdPKlPlN2at6native12_GLOBAL__N_18offset_tEEE10hipError_tPvRmT1_PNSt15iterator_traitsIS12_E10value_typeET2_T3_PNS13_IS18_E10value_typeET4_jRbjT5_S1E_jjP12ihipStream_tbEUljE_ZNSN_ISO_Lb0ESQ_SR_ST_SU_SY_EESZ_S10_S11_S12_S16_S17_S18_S1B_S1C_jS1D_jS1E_S1E_jjS1G_bEUljE0_EEESZ_S10_S11_S18_S1C_S1E_T6_T7_T9_mT8_S1G_bDpT10_ENKUlT_T0_E_clISt17integral_constantIbLb1EES1U_EEDaS1P_S1Q_EUlS1P_E_NS1_11comp_targetILNS1_3genE10ELNS1_11target_archE1200ELNS1_3gpuE4ELNS1_3repE0EEENS1_30default_config_static_selectorELNS0_4arch9wavefront6targetE0EEEvS12_,comdat
.Lfunc_end1164:
	.size	_ZN7rocprim17ROCPRIM_400000_NS6detail17trampoline_kernelINS0_13select_configILj256ELj13ELNS0_17block_load_methodE3ELS4_3ELS4_3ELNS0_20block_scan_algorithmE0ELj4294967295EEENS1_25partition_config_selectorILNS1_17partition_subalgoE4EjNS0_10empty_typeEbEEZZNS1_14partition_implILS8_4ELb0ES6_15HIP_vector_typeIjLj2EENS0_17counting_iteratorIjlEEPS9_SG_NS0_5tupleIJPjSI_NS0_16reverse_iteratorISI_EEEEENSH_IJSG_SG_SG_EEES9_SI_JZNS1_25segmented_radix_sort_implINS0_14default_configELb0EPKdPdPKlPlN2at6native12_GLOBAL__N_18offset_tEEE10hipError_tPvRmT1_PNSt15iterator_traitsIS12_E10value_typeET2_T3_PNS13_IS18_E10value_typeET4_jRbjT5_S1E_jjP12ihipStream_tbEUljE_ZNSN_ISO_Lb0ESQ_SR_ST_SU_SY_EESZ_S10_S11_S12_S16_S17_S18_S1B_S1C_jS1D_jS1E_S1E_jjS1G_bEUljE0_EEESZ_S10_S11_S18_S1C_S1E_T6_T7_T9_mT8_S1G_bDpT10_ENKUlT_T0_E_clISt17integral_constantIbLb1EES1U_EEDaS1P_S1Q_EUlS1P_E_NS1_11comp_targetILNS1_3genE10ELNS1_11target_archE1200ELNS1_3gpuE4ELNS1_3repE0EEENS1_30default_config_static_selectorELNS0_4arch9wavefront6targetE0EEEvS12_, .Lfunc_end1164-_ZN7rocprim17ROCPRIM_400000_NS6detail17trampoline_kernelINS0_13select_configILj256ELj13ELNS0_17block_load_methodE3ELS4_3ELS4_3ELNS0_20block_scan_algorithmE0ELj4294967295EEENS1_25partition_config_selectorILNS1_17partition_subalgoE4EjNS0_10empty_typeEbEEZZNS1_14partition_implILS8_4ELb0ES6_15HIP_vector_typeIjLj2EENS0_17counting_iteratorIjlEEPS9_SG_NS0_5tupleIJPjSI_NS0_16reverse_iteratorISI_EEEEENSH_IJSG_SG_SG_EEES9_SI_JZNS1_25segmented_radix_sort_implINS0_14default_configELb0EPKdPdPKlPlN2at6native12_GLOBAL__N_18offset_tEEE10hipError_tPvRmT1_PNSt15iterator_traitsIS12_E10value_typeET2_T3_PNS13_IS18_E10value_typeET4_jRbjT5_S1E_jjP12ihipStream_tbEUljE_ZNSN_ISO_Lb0ESQ_SR_ST_SU_SY_EESZ_S10_S11_S12_S16_S17_S18_S1B_S1C_jS1D_jS1E_S1E_jjS1G_bEUljE0_EEESZ_S10_S11_S18_S1C_S1E_T6_T7_T9_mT8_S1G_bDpT10_ENKUlT_T0_E_clISt17integral_constantIbLb1EES1U_EEDaS1P_S1Q_EUlS1P_E_NS1_11comp_targetILNS1_3genE10ELNS1_11target_archE1200ELNS1_3gpuE4ELNS1_3repE0EEENS1_30default_config_static_selectorELNS0_4arch9wavefront6targetE0EEEvS12_
                                        ; -- End function
	.set _ZN7rocprim17ROCPRIM_400000_NS6detail17trampoline_kernelINS0_13select_configILj256ELj13ELNS0_17block_load_methodE3ELS4_3ELS4_3ELNS0_20block_scan_algorithmE0ELj4294967295EEENS1_25partition_config_selectorILNS1_17partition_subalgoE4EjNS0_10empty_typeEbEEZZNS1_14partition_implILS8_4ELb0ES6_15HIP_vector_typeIjLj2EENS0_17counting_iteratorIjlEEPS9_SG_NS0_5tupleIJPjSI_NS0_16reverse_iteratorISI_EEEEENSH_IJSG_SG_SG_EEES9_SI_JZNS1_25segmented_radix_sort_implINS0_14default_configELb0EPKdPdPKlPlN2at6native12_GLOBAL__N_18offset_tEEE10hipError_tPvRmT1_PNSt15iterator_traitsIS12_E10value_typeET2_T3_PNS13_IS18_E10value_typeET4_jRbjT5_S1E_jjP12ihipStream_tbEUljE_ZNSN_ISO_Lb0ESQ_SR_ST_SU_SY_EESZ_S10_S11_S12_S16_S17_S18_S1B_S1C_jS1D_jS1E_S1E_jjS1G_bEUljE0_EEESZ_S10_S11_S18_S1C_S1E_T6_T7_T9_mT8_S1G_bDpT10_ENKUlT_T0_E_clISt17integral_constantIbLb1EES1U_EEDaS1P_S1Q_EUlS1P_E_NS1_11comp_targetILNS1_3genE10ELNS1_11target_archE1200ELNS1_3gpuE4ELNS1_3repE0EEENS1_30default_config_static_selectorELNS0_4arch9wavefront6targetE0EEEvS12_.num_vgpr, 0
	.set _ZN7rocprim17ROCPRIM_400000_NS6detail17trampoline_kernelINS0_13select_configILj256ELj13ELNS0_17block_load_methodE3ELS4_3ELS4_3ELNS0_20block_scan_algorithmE0ELj4294967295EEENS1_25partition_config_selectorILNS1_17partition_subalgoE4EjNS0_10empty_typeEbEEZZNS1_14partition_implILS8_4ELb0ES6_15HIP_vector_typeIjLj2EENS0_17counting_iteratorIjlEEPS9_SG_NS0_5tupleIJPjSI_NS0_16reverse_iteratorISI_EEEEENSH_IJSG_SG_SG_EEES9_SI_JZNS1_25segmented_radix_sort_implINS0_14default_configELb0EPKdPdPKlPlN2at6native12_GLOBAL__N_18offset_tEEE10hipError_tPvRmT1_PNSt15iterator_traitsIS12_E10value_typeET2_T3_PNS13_IS18_E10value_typeET4_jRbjT5_S1E_jjP12ihipStream_tbEUljE_ZNSN_ISO_Lb0ESQ_SR_ST_SU_SY_EESZ_S10_S11_S12_S16_S17_S18_S1B_S1C_jS1D_jS1E_S1E_jjS1G_bEUljE0_EEESZ_S10_S11_S18_S1C_S1E_T6_T7_T9_mT8_S1G_bDpT10_ENKUlT_T0_E_clISt17integral_constantIbLb1EES1U_EEDaS1P_S1Q_EUlS1P_E_NS1_11comp_targetILNS1_3genE10ELNS1_11target_archE1200ELNS1_3gpuE4ELNS1_3repE0EEENS1_30default_config_static_selectorELNS0_4arch9wavefront6targetE0EEEvS12_.num_agpr, 0
	.set _ZN7rocprim17ROCPRIM_400000_NS6detail17trampoline_kernelINS0_13select_configILj256ELj13ELNS0_17block_load_methodE3ELS4_3ELS4_3ELNS0_20block_scan_algorithmE0ELj4294967295EEENS1_25partition_config_selectorILNS1_17partition_subalgoE4EjNS0_10empty_typeEbEEZZNS1_14partition_implILS8_4ELb0ES6_15HIP_vector_typeIjLj2EENS0_17counting_iteratorIjlEEPS9_SG_NS0_5tupleIJPjSI_NS0_16reverse_iteratorISI_EEEEENSH_IJSG_SG_SG_EEES9_SI_JZNS1_25segmented_radix_sort_implINS0_14default_configELb0EPKdPdPKlPlN2at6native12_GLOBAL__N_18offset_tEEE10hipError_tPvRmT1_PNSt15iterator_traitsIS12_E10value_typeET2_T3_PNS13_IS18_E10value_typeET4_jRbjT5_S1E_jjP12ihipStream_tbEUljE_ZNSN_ISO_Lb0ESQ_SR_ST_SU_SY_EESZ_S10_S11_S12_S16_S17_S18_S1B_S1C_jS1D_jS1E_S1E_jjS1G_bEUljE0_EEESZ_S10_S11_S18_S1C_S1E_T6_T7_T9_mT8_S1G_bDpT10_ENKUlT_T0_E_clISt17integral_constantIbLb1EES1U_EEDaS1P_S1Q_EUlS1P_E_NS1_11comp_targetILNS1_3genE10ELNS1_11target_archE1200ELNS1_3gpuE4ELNS1_3repE0EEENS1_30default_config_static_selectorELNS0_4arch9wavefront6targetE0EEEvS12_.numbered_sgpr, 0
	.set _ZN7rocprim17ROCPRIM_400000_NS6detail17trampoline_kernelINS0_13select_configILj256ELj13ELNS0_17block_load_methodE3ELS4_3ELS4_3ELNS0_20block_scan_algorithmE0ELj4294967295EEENS1_25partition_config_selectorILNS1_17partition_subalgoE4EjNS0_10empty_typeEbEEZZNS1_14partition_implILS8_4ELb0ES6_15HIP_vector_typeIjLj2EENS0_17counting_iteratorIjlEEPS9_SG_NS0_5tupleIJPjSI_NS0_16reverse_iteratorISI_EEEEENSH_IJSG_SG_SG_EEES9_SI_JZNS1_25segmented_radix_sort_implINS0_14default_configELb0EPKdPdPKlPlN2at6native12_GLOBAL__N_18offset_tEEE10hipError_tPvRmT1_PNSt15iterator_traitsIS12_E10value_typeET2_T3_PNS13_IS18_E10value_typeET4_jRbjT5_S1E_jjP12ihipStream_tbEUljE_ZNSN_ISO_Lb0ESQ_SR_ST_SU_SY_EESZ_S10_S11_S12_S16_S17_S18_S1B_S1C_jS1D_jS1E_S1E_jjS1G_bEUljE0_EEESZ_S10_S11_S18_S1C_S1E_T6_T7_T9_mT8_S1G_bDpT10_ENKUlT_T0_E_clISt17integral_constantIbLb1EES1U_EEDaS1P_S1Q_EUlS1P_E_NS1_11comp_targetILNS1_3genE10ELNS1_11target_archE1200ELNS1_3gpuE4ELNS1_3repE0EEENS1_30default_config_static_selectorELNS0_4arch9wavefront6targetE0EEEvS12_.num_named_barrier, 0
	.set _ZN7rocprim17ROCPRIM_400000_NS6detail17trampoline_kernelINS0_13select_configILj256ELj13ELNS0_17block_load_methodE3ELS4_3ELS4_3ELNS0_20block_scan_algorithmE0ELj4294967295EEENS1_25partition_config_selectorILNS1_17partition_subalgoE4EjNS0_10empty_typeEbEEZZNS1_14partition_implILS8_4ELb0ES6_15HIP_vector_typeIjLj2EENS0_17counting_iteratorIjlEEPS9_SG_NS0_5tupleIJPjSI_NS0_16reverse_iteratorISI_EEEEENSH_IJSG_SG_SG_EEES9_SI_JZNS1_25segmented_radix_sort_implINS0_14default_configELb0EPKdPdPKlPlN2at6native12_GLOBAL__N_18offset_tEEE10hipError_tPvRmT1_PNSt15iterator_traitsIS12_E10value_typeET2_T3_PNS13_IS18_E10value_typeET4_jRbjT5_S1E_jjP12ihipStream_tbEUljE_ZNSN_ISO_Lb0ESQ_SR_ST_SU_SY_EESZ_S10_S11_S12_S16_S17_S18_S1B_S1C_jS1D_jS1E_S1E_jjS1G_bEUljE0_EEESZ_S10_S11_S18_S1C_S1E_T6_T7_T9_mT8_S1G_bDpT10_ENKUlT_T0_E_clISt17integral_constantIbLb1EES1U_EEDaS1P_S1Q_EUlS1P_E_NS1_11comp_targetILNS1_3genE10ELNS1_11target_archE1200ELNS1_3gpuE4ELNS1_3repE0EEENS1_30default_config_static_selectorELNS0_4arch9wavefront6targetE0EEEvS12_.private_seg_size, 0
	.set _ZN7rocprim17ROCPRIM_400000_NS6detail17trampoline_kernelINS0_13select_configILj256ELj13ELNS0_17block_load_methodE3ELS4_3ELS4_3ELNS0_20block_scan_algorithmE0ELj4294967295EEENS1_25partition_config_selectorILNS1_17partition_subalgoE4EjNS0_10empty_typeEbEEZZNS1_14partition_implILS8_4ELb0ES6_15HIP_vector_typeIjLj2EENS0_17counting_iteratorIjlEEPS9_SG_NS0_5tupleIJPjSI_NS0_16reverse_iteratorISI_EEEEENSH_IJSG_SG_SG_EEES9_SI_JZNS1_25segmented_radix_sort_implINS0_14default_configELb0EPKdPdPKlPlN2at6native12_GLOBAL__N_18offset_tEEE10hipError_tPvRmT1_PNSt15iterator_traitsIS12_E10value_typeET2_T3_PNS13_IS18_E10value_typeET4_jRbjT5_S1E_jjP12ihipStream_tbEUljE_ZNSN_ISO_Lb0ESQ_SR_ST_SU_SY_EESZ_S10_S11_S12_S16_S17_S18_S1B_S1C_jS1D_jS1E_S1E_jjS1G_bEUljE0_EEESZ_S10_S11_S18_S1C_S1E_T6_T7_T9_mT8_S1G_bDpT10_ENKUlT_T0_E_clISt17integral_constantIbLb1EES1U_EEDaS1P_S1Q_EUlS1P_E_NS1_11comp_targetILNS1_3genE10ELNS1_11target_archE1200ELNS1_3gpuE4ELNS1_3repE0EEENS1_30default_config_static_selectorELNS0_4arch9wavefront6targetE0EEEvS12_.uses_vcc, 0
	.set _ZN7rocprim17ROCPRIM_400000_NS6detail17trampoline_kernelINS0_13select_configILj256ELj13ELNS0_17block_load_methodE3ELS4_3ELS4_3ELNS0_20block_scan_algorithmE0ELj4294967295EEENS1_25partition_config_selectorILNS1_17partition_subalgoE4EjNS0_10empty_typeEbEEZZNS1_14partition_implILS8_4ELb0ES6_15HIP_vector_typeIjLj2EENS0_17counting_iteratorIjlEEPS9_SG_NS0_5tupleIJPjSI_NS0_16reverse_iteratorISI_EEEEENSH_IJSG_SG_SG_EEES9_SI_JZNS1_25segmented_radix_sort_implINS0_14default_configELb0EPKdPdPKlPlN2at6native12_GLOBAL__N_18offset_tEEE10hipError_tPvRmT1_PNSt15iterator_traitsIS12_E10value_typeET2_T3_PNS13_IS18_E10value_typeET4_jRbjT5_S1E_jjP12ihipStream_tbEUljE_ZNSN_ISO_Lb0ESQ_SR_ST_SU_SY_EESZ_S10_S11_S12_S16_S17_S18_S1B_S1C_jS1D_jS1E_S1E_jjS1G_bEUljE0_EEESZ_S10_S11_S18_S1C_S1E_T6_T7_T9_mT8_S1G_bDpT10_ENKUlT_T0_E_clISt17integral_constantIbLb1EES1U_EEDaS1P_S1Q_EUlS1P_E_NS1_11comp_targetILNS1_3genE10ELNS1_11target_archE1200ELNS1_3gpuE4ELNS1_3repE0EEENS1_30default_config_static_selectorELNS0_4arch9wavefront6targetE0EEEvS12_.uses_flat_scratch, 0
	.set _ZN7rocprim17ROCPRIM_400000_NS6detail17trampoline_kernelINS0_13select_configILj256ELj13ELNS0_17block_load_methodE3ELS4_3ELS4_3ELNS0_20block_scan_algorithmE0ELj4294967295EEENS1_25partition_config_selectorILNS1_17partition_subalgoE4EjNS0_10empty_typeEbEEZZNS1_14partition_implILS8_4ELb0ES6_15HIP_vector_typeIjLj2EENS0_17counting_iteratorIjlEEPS9_SG_NS0_5tupleIJPjSI_NS0_16reverse_iteratorISI_EEEEENSH_IJSG_SG_SG_EEES9_SI_JZNS1_25segmented_radix_sort_implINS0_14default_configELb0EPKdPdPKlPlN2at6native12_GLOBAL__N_18offset_tEEE10hipError_tPvRmT1_PNSt15iterator_traitsIS12_E10value_typeET2_T3_PNS13_IS18_E10value_typeET4_jRbjT5_S1E_jjP12ihipStream_tbEUljE_ZNSN_ISO_Lb0ESQ_SR_ST_SU_SY_EESZ_S10_S11_S12_S16_S17_S18_S1B_S1C_jS1D_jS1E_S1E_jjS1G_bEUljE0_EEESZ_S10_S11_S18_S1C_S1E_T6_T7_T9_mT8_S1G_bDpT10_ENKUlT_T0_E_clISt17integral_constantIbLb1EES1U_EEDaS1P_S1Q_EUlS1P_E_NS1_11comp_targetILNS1_3genE10ELNS1_11target_archE1200ELNS1_3gpuE4ELNS1_3repE0EEENS1_30default_config_static_selectorELNS0_4arch9wavefront6targetE0EEEvS12_.has_dyn_sized_stack, 0
	.set _ZN7rocprim17ROCPRIM_400000_NS6detail17trampoline_kernelINS0_13select_configILj256ELj13ELNS0_17block_load_methodE3ELS4_3ELS4_3ELNS0_20block_scan_algorithmE0ELj4294967295EEENS1_25partition_config_selectorILNS1_17partition_subalgoE4EjNS0_10empty_typeEbEEZZNS1_14partition_implILS8_4ELb0ES6_15HIP_vector_typeIjLj2EENS0_17counting_iteratorIjlEEPS9_SG_NS0_5tupleIJPjSI_NS0_16reverse_iteratorISI_EEEEENSH_IJSG_SG_SG_EEES9_SI_JZNS1_25segmented_radix_sort_implINS0_14default_configELb0EPKdPdPKlPlN2at6native12_GLOBAL__N_18offset_tEEE10hipError_tPvRmT1_PNSt15iterator_traitsIS12_E10value_typeET2_T3_PNS13_IS18_E10value_typeET4_jRbjT5_S1E_jjP12ihipStream_tbEUljE_ZNSN_ISO_Lb0ESQ_SR_ST_SU_SY_EESZ_S10_S11_S12_S16_S17_S18_S1B_S1C_jS1D_jS1E_S1E_jjS1G_bEUljE0_EEESZ_S10_S11_S18_S1C_S1E_T6_T7_T9_mT8_S1G_bDpT10_ENKUlT_T0_E_clISt17integral_constantIbLb1EES1U_EEDaS1P_S1Q_EUlS1P_E_NS1_11comp_targetILNS1_3genE10ELNS1_11target_archE1200ELNS1_3gpuE4ELNS1_3repE0EEENS1_30default_config_static_selectorELNS0_4arch9wavefront6targetE0EEEvS12_.has_recursion, 0
	.set _ZN7rocprim17ROCPRIM_400000_NS6detail17trampoline_kernelINS0_13select_configILj256ELj13ELNS0_17block_load_methodE3ELS4_3ELS4_3ELNS0_20block_scan_algorithmE0ELj4294967295EEENS1_25partition_config_selectorILNS1_17partition_subalgoE4EjNS0_10empty_typeEbEEZZNS1_14partition_implILS8_4ELb0ES6_15HIP_vector_typeIjLj2EENS0_17counting_iteratorIjlEEPS9_SG_NS0_5tupleIJPjSI_NS0_16reverse_iteratorISI_EEEEENSH_IJSG_SG_SG_EEES9_SI_JZNS1_25segmented_radix_sort_implINS0_14default_configELb0EPKdPdPKlPlN2at6native12_GLOBAL__N_18offset_tEEE10hipError_tPvRmT1_PNSt15iterator_traitsIS12_E10value_typeET2_T3_PNS13_IS18_E10value_typeET4_jRbjT5_S1E_jjP12ihipStream_tbEUljE_ZNSN_ISO_Lb0ESQ_SR_ST_SU_SY_EESZ_S10_S11_S12_S16_S17_S18_S1B_S1C_jS1D_jS1E_S1E_jjS1G_bEUljE0_EEESZ_S10_S11_S18_S1C_S1E_T6_T7_T9_mT8_S1G_bDpT10_ENKUlT_T0_E_clISt17integral_constantIbLb1EES1U_EEDaS1P_S1Q_EUlS1P_E_NS1_11comp_targetILNS1_3genE10ELNS1_11target_archE1200ELNS1_3gpuE4ELNS1_3repE0EEENS1_30default_config_static_selectorELNS0_4arch9wavefront6targetE0EEEvS12_.has_indirect_call, 0
	.section	.AMDGPU.csdata,"",@progbits
; Kernel info:
; codeLenInByte = 0
; TotalNumSgprs: 0
; NumVgprs: 0
; ScratchSize: 0
; MemoryBound: 0
; FloatMode: 240
; IeeeMode: 1
; LDSByteSize: 0 bytes/workgroup (compile time only)
; SGPRBlocks: 0
; VGPRBlocks: 0
; NumSGPRsForWavesPerEU: 1
; NumVGPRsForWavesPerEU: 1
; NamedBarCnt: 0
; Occupancy: 16
; WaveLimiterHint : 0
; COMPUTE_PGM_RSRC2:SCRATCH_EN: 0
; COMPUTE_PGM_RSRC2:USER_SGPR: 2
; COMPUTE_PGM_RSRC2:TRAP_HANDLER: 0
; COMPUTE_PGM_RSRC2:TGID_X_EN: 1
; COMPUTE_PGM_RSRC2:TGID_Y_EN: 0
; COMPUTE_PGM_RSRC2:TGID_Z_EN: 0
; COMPUTE_PGM_RSRC2:TIDIG_COMP_CNT: 0
	.section	.text._ZN7rocprim17ROCPRIM_400000_NS6detail17trampoline_kernelINS0_13select_configILj256ELj13ELNS0_17block_load_methodE3ELS4_3ELS4_3ELNS0_20block_scan_algorithmE0ELj4294967295EEENS1_25partition_config_selectorILNS1_17partition_subalgoE4EjNS0_10empty_typeEbEEZZNS1_14partition_implILS8_4ELb0ES6_15HIP_vector_typeIjLj2EENS0_17counting_iteratorIjlEEPS9_SG_NS0_5tupleIJPjSI_NS0_16reverse_iteratorISI_EEEEENSH_IJSG_SG_SG_EEES9_SI_JZNS1_25segmented_radix_sort_implINS0_14default_configELb0EPKdPdPKlPlN2at6native12_GLOBAL__N_18offset_tEEE10hipError_tPvRmT1_PNSt15iterator_traitsIS12_E10value_typeET2_T3_PNS13_IS18_E10value_typeET4_jRbjT5_S1E_jjP12ihipStream_tbEUljE_ZNSN_ISO_Lb0ESQ_SR_ST_SU_SY_EESZ_S10_S11_S12_S16_S17_S18_S1B_S1C_jS1D_jS1E_S1E_jjS1G_bEUljE0_EEESZ_S10_S11_S18_S1C_S1E_T6_T7_T9_mT8_S1G_bDpT10_ENKUlT_T0_E_clISt17integral_constantIbLb1EES1U_EEDaS1P_S1Q_EUlS1P_E_NS1_11comp_targetILNS1_3genE9ELNS1_11target_archE1100ELNS1_3gpuE3ELNS1_3repE0EEENS1_30default_config_static_selectorELNS0_4arch9wavefront6targetE0EEEvS12_,"axG",@progbits,_ZN7rocprim17ROCPRIM_400000_NS6detail17trampoline_kernelINS0_13select_configILj256ELj13ELNS0_17block_load_methodE3ELS4_3ELS4_3ELNS0_20block_scan_algorithmE0ELj4294967295EEENS1_25partition_config_selectorILNS1_17partition_subalgoE4EjNS0_10empty_typeEbEEZZNS1_14partition_implILS8_4ELb0ES6_15HIP_vector_typeIjLj2EENS0_17counting_iteratorIjlEEPS9_SG_NS0_5tupleIJPjSI_NS0_16reverse_iteratorISI_EEEEENSH_IJSG_SG_SG_EEES9_SI_JZNS1_25segmented_radix_sort_implINS0_14default_configELb0EPKdPdPKlPlN2at6native12_GLOBAL__N_18offset_tEEE10hipError_tPvRmT1_PNSt15iterator_traitsIS12_E10value_typeET2_T3_PNS13_IS18_E10value_typeET4_jRbjT5_S1E_jjP12ihipStream_tbEUljE_ZNSN_ISO_Lb0ESQ_SR_ST_SU_SY_EESZ_S10_S11_S12_S16_S17_S18_S1B_S1C_jS1D_jS1E_S1E_jjS1G_bEUljE0_EEESZ_S10_S11_S18_S1C_S1E_T6_T7_T9_mT8_S1G_bDpT10_ENKUlT_T0_E_clISt17integral_constantIbLb1EES1U_EEDaS1P_S1Q_EUlS1P_E_NS1_11comp_targetILNS1_3genE9ELNS1_11target_archE1100ELNS1_3gpuE3ELNS1_3repE0EEENS1_30default_config_static_selectorELNS0_4arch9wavefront6targetE0EEEvS12_,comdat
	.globl	_ZN7rocprim17ROCPRIM_400000_NS6detail17trampoline_kernelINS0_13select_configILj256ELj13ELNS0_17block_load_methodE3ELS4_3ELS4_3ELNS0_20block_scan_algorithmE0ELj4294967295EEENS1_25partition_config_selectorILNS1_17partition_subalgoE4EjNS0_10empty_typeEbEEZZNS1_14partition_implILS8_4ELb0ES6_15HIP_vector_typeIjLj2EENS0_17counting_iteratorIjlEEPS9_SG_NS0_5tupleIJPjSI_NS0_16reverse_iteratorISI_EEEEENSH_IJSG_SG_SG_EEES9_SI_JZNS1_25segmented_radix_sort_implINS0_14default_configELb0EPKdPdPKlPlN2at6native12_GLOBAL__N_18offset_tEEE10hipError_tPvRmT1_PNSt15iterator_traitsIS12_E10value_typeET2_T3_PNS13_IS18_E10value_typeET4_jRbjT5_S1E_jjP12ihipStream_tbEUljE_ZNSN_ISO_Lb0ESQ_SR_ST_SU_SY_EESZ_S10_S11_S12_S16_S17_S18_S1B_S1C_jS1D_jS1E_S1E_jjS1G_bEUljE0_EEESZ_S10_S11_S18_S1C_S1E_T6_T7_T9_mT8_S1G_bDpT10_ENKUlT_T0_E_clISt17integral_constantIbLb1EES1U_EEDaS1P_S1Q_EUlS1P_E_NS1_11comp_targetILNS1_3genE9ELNS1_11target_archE1100ELNS1_3gpuE3ELNS1_3repE0EEENS1_30default_config_static_selectorELNS0_4arch9wavefront6targetE0EEEvS12_ ; -- Begin function _ZN7rocprim17ROCPRIM_400000_NS6detail17trampoline_kernelINS0_13select_configILj256ELj13ELNS0_17block_load_methodE3ELS4_3ELS4_3ELNS0_20block_scan_algorithmE0ELj4294967295EEENS1_25partition_config_selectorILNS1_17partition_subalgoE4EjNS0_10empty_typeEbEEZZNS1_14partition_implILS8_4ELb0ES6_15HIP_vector_typeIjLj2EENS0_17counting_iteratorIjlEEPS9_SG_NS0_5tupleIJPjSI_NS0_16reverse_iteratorISI_EEEEENSH_IJSG_SG_SG_EEES9_SI_JZNS1_25segmented_radix_sort_implINS0_14default_configELb0EPKdPdPKlPlN2at6native12_GLOBAL__N_18offset_tEEE10hipError_tPvRmT1_PNSt15iterator_traitsIS12_E10value_typeET2_T3_PNS13_IS18_E10value_typeET4_jRbjT5_S1E_jjP12ihipStream_tbEUljE_ZNSN_ISO_Lb0ESQ_SR_ST_SU_SY_EESZ_S10_S11_S12_S16_S17_S18_S1B_S1C_jS1D_jS1E_S1E_jjS1G_bEUljE0_EEESZ_S10_S11_S18_S1C_S1E_T6_T7_T9_mT8_S1G_bDpT10_ENKUlT_T0_E_clISt17integral_constantIbLb1EES1U_EEDaS1P_S1Q_EUlS1P_E_NS1_11comp_targetILNS1_3genE9ELNS1_11target_archE1100ELNS1_3gpuE3ELNS1_3repE0EEENS1_30default_config_static_selectorELNS0_4arch9wavefront6targetE0EEEvS12_
	.p2align	8
	.type	_ZN7rocprim17ROCPRIM_400000_NS6detail17trampoline_kernelINS0_13select_configILj256ELj13ELNS0_17block_load_methodE3ELS4_3ELS4_3ELNS0_20block_scan_algorithmE0ELj4294967295EEENS1_25partition_config_selectorILNS1_17partition_subalgoE4EjNS0_10empty_typeEbEEZZNS1_14partition_implILS8_4ELb0ES6_15HIP_vector_typeIjLj2EENS0_17counting_iteratorIjlEEPS9_SG_NS0_5tupleIJPjSI_NS0_16reverse_iteratorISI_EEEEENSH_IJSG_SG_SG_EEES9_SI_JZNS1_25segmented_radix_sort_implINS0_14default_configELb0EPKdPdPKlPlN2at6native12_GLOBAL__N_18offset_tEEE10hipError_tPvRmT1_PNSt15iterator_traitsIS12_E10value_typeET2_T3_PNS13_IS18_E10value_typeET4_jRbjT5_S1E_jjP12ihipStream_tbEUljE_ZNSN_ISO_Lb0ESQ_SR_ST_SU_SY_EESZ_S10_S11_S12_S16_S17_S18_S1B_S1C_jS1D_jS1E_S1E_jjS1G_bEUljE0_EEESZ_S10_S11_S18_S1C_S1E_T6_T7_T9_mT8_S1G_bDpT10_ENKUlT_T0_E_clISt17integral_constantIbLb1EES1U_EEDaS1P_S1Q_EUlS1P_E_NS1_11comp_targetILNS1_3genE9ELNS1_11target_archE1100ELNS1_3gpuE3ELNS1_3repE0EEENS1_30default_config_static_selectorELNS0_4arch9wavefront6targetE0EEEvS12_,@function
_ZN7rocprim17ROCPRIM_400000_NS6detail17trampoline_kernelINS0_13select_configILj256ELj13ELNS0_17block_load_methodE3ELS4_3ELS4_3ELNS0_20block_scan_algorithmE0ELj4294967295EEENS1_25partition_config_selectorILNS1_17partition_subalgoE4EjNS0_10empty_typeEbEEZZNS1_14partition_implILS8_4ELb0ES6_15HIP_vector_typeIjLj2EENS0_17counting_iteratorIjlEEPS9_SG_NS0_5tupleIJPjSI_NS0_16reverse_iteratorISI_EEEEENSH_IJSG_SG_SG_EEES9_SI_JZNS1_25segmented_radix_sort_implINS0_14default_configELb0EPKdPdPKlPlN2at6native12_GLOBAL__N_18offset_tEEE10hipError_tPvRmT1_PNSt15iterator_traitsIS12_E10value_typeET2_T3_PNS13_IS18_E10value_typeET4_jRbjT5_S1E_jjP12ihipStream_tbEUljE_ZNSN_ISO_Lb0ESQ_SR_ST_SU_SY_EESZ_S10_S11_S12_S16_S17_S18_S1B_S1C_jS1D_jS1E_S1E_jjS1G_bEUljE0_EEESZ_S10_S11_S18_S1C_S1E_T6_T7_T9_mT8_S1G_bDpT10_ENKUlT_T0_E_clISt17integral_constantIbLb1EES1U_EEDaS1P_S1Q_EUlS1P_E_NS1_11comp_targetILNS1_3genE9ELNS1_11target_archE1100ELNS1_3gpuE3ELNS1_3repE0EEENS1_30default_config_static_selectorELNS0_4arch9wavefront6targetE0EEEvS12_: ; @_ZN7rocprim17ROCPRIM_400000_NS6detail17trampoline_kernelINS0_13select_configILj256ELj13ELNS0_17block_load_methodE3ELS4_3ELS4_3ELNS0_20block_scan_algorithmE0ELj4294967295EEENS1_25partition_config_selectorILNS1_17partition_subalgoE4EjNS0_10empty_typeEbEEZZNS1_14partition_implILS8_4ELb0ES6_15HIP_vector_typeIjLj2EENS0_17counting_iteratorIjlEEPS9_SG_NS0_5tupleIJPjSI_NS0_16reverse_iteratorISI_EEEEENSH_IJSG_SG_SG_EEES9_SI_JZNS1_25segmented_radix_sort_implINS0_14default_configELb0EPKdPdPKlPlN2at6native12_GLOBAL__N_18offset_tEEE10hipError_tPvRmT1_PNSt15iterator_traitsIS12_E10value_typeET2_T3_PNS13_IS18_E10value_typeET4_jRbjT5_S1E_jjP12ihipStream_tbEUljE_ZNSN_ISO_Lb0ESQ_SR_ST_SU_SY_EESZ_S10_S11_S12_S16_S17_S18_S1B_S1C_jS1D_jS1E_S1E_jjS1G_bEUljE0_EEESZ_S10_S11_S18_S1C_S1E_T6_T7_T9_mT8_S1G_bDpT10_ENKUlT_T0_E_clISt17integral_constantIbLb1EES1U_EEDaS1P_S1Q_EUlS1P_E_NS1_11comp_targetILNS1_3genE9ELNS1_11target_archE1100ELNS1_3gpuE3ELNS1_3repE0EEENS1_30default_config_static_selectorELNS0_4arch9wavefront6targetE0EEEvS12_
; %bb.0:
	.section	.rodata,"a",@progbits
	.p2align	6, 0x0
	.amdhsa_kernel _ZN7rocprim17ROCPRIM_400000_NS6detail17trampoline_kernelINS0_13select_configILj256ELj13ELNS0_17block_load_methodE3ELS4_3ELS4_3ELNS0_20block_scan_algorithmE0ELj4294967295EEENS1_25partition_config_selectorILNS1_17partition_subalgoE4EjNS0_10empty_typeEbEEZZNS1_14partition_implILS8_4ELb0ES6_15HIP_vector_typeIjLj2EENS0_17counting_iteratorIjlEEPS9_SG_NS0_5tupleIJPjSI_NS0_16reverse_iteratorISI_EEEEENSH_IJSG_SG_SG_EEES9_SI_JZNS1_25segmented_radix_sort_implINS0_14default_configELb0EPKdPdPKlPlN2at6native12_GLOBAL__N_18offset_tEEE10hipError_tPvRmT1_PNSt15iterator_traitsIS12_E10value_typeET2_T3_PNS13_IS18_E10value_typeET4_jRbjT5_S1E_jjP12ihipStream_tbEUljE_ZNSN_ISO_Lb0ESQ_SR_ST_SU_SY_EESZ_S10_S11_S12_S16_S17_S18_S1B_S1C_jS1D_jS1E_S1E_jjS1G_bEUljE0_EEESZ_S10_S11_S18_S1C_S1E_T6_T7_T9_mT8_S1G_bDpT10_ENKUlT_T0_E_clISt17integral_constantIbLb1EES1U_EEDaS1P_S1Q_EUlS1P_E_NS1_11comp_targetILNS1_3genE9ELNS1_11target_archE1100ELNS1_3gpuE3ELNS1_3repE0EEENS1_30default_config_static_selectorELNS0_4arch9wavefront6targetE0EEEvS12_
		.amdhsa_group_segment_fixed_size 0
		.amdhsa_private_segment_fixed_size 0
		.amdhsa_kernarg_size 184
		.amdhsa_user_sgpr_count 2
		.amdhsa_user_sgpr_dispatch_ptr 0
		.amdhsa_user_sgpr_queue_ptr 0
		.amdhsa_user_sgpr_kernarg_segment_ptr 1
		.amdhsa_user_sgpr_dispatch_id 0
		.amdhsa_user_sgpr_kernarg_preload_length 0
		.amdhsa_user_sgpr_kernarg_preload_offset 0
		.amdhsa_user_sgpr_private_segment_size 0
		.amdhsa_wavefront_size32 1
		.amdhsa_uses_dynamic_stack 0
		.amdhsa_enable_private_segment 0
		.amdhsa_system_sgpr_workgroup_id_x 1
		.amdhsa_system_sgpr_workgroup_id_y 0
		.amdhsa_system_sgpr_workgroup_id_z 0
		.amdhsa_system_sgpr_workgroup_info 0
		.amdhsa_system_vgpr_workitem_id 0
		.amdhsa_next_free_vgpr 1
		.amdhsa_next_free_sgpr 1
		.amdhsa_named_barrier_count 0
		.amdhsa_reserve_vcc 0
		.amdhsa_float_round_mode_32 0
		.amdhsa_float_round_mode_16_64 0
		.amdhsa_float_denorm_mode_32 3
		.amdhsa_float_denorm_mode_16_64 3
		.amdhsa_fp16_overflow 0
		.amdhsa_memory_ordered 1
		.amdhsa_forward_progress 1
		.amdhsa_inst_pref_size 0
		.amdhsa_round_robin_scheduling 0
		.amdhsa_exception_fp_ieee_invalid_op 0
		.amdhsa_exception_fp_denorm_src 0
		.amdhsa_exception_fp_ieee_div_zero 0
		.amdhsa_exception_fp_ieee_overflow 0
		.amdhsa_exception_fp_ieee_underflow 0
		.amdhsa_exception_fp_ieee_inexact 0
		.amdhsa_exception_int_div_zero 0
	.end_amdhsa_kernel
	.section	.text._ZN7rocprim17ROCPRIM_400000_NS6detail17trampoline_kernelINS0_13select_configILj256ELj13ELNS0_17block_load_methodE3ELS4_3ELS4_3ELNS0_20block_scan_algorithmE0ELj4294967295EEENS1_25partition_config_selectorILNS1_17partition_subalgoE4EjNS0_10empty_typeEbEEZZNS1_14partition_implILS8_4ELb0ES6_15HIP_vector_typeIjLj2EENS0_17counting_iteratorIjlEEPS9_SG_NS0_5tupleIJPjSI_NS0_16reverse_iteratorISI_EEEEENSH_IJSG_SG_SG_EEES9_SI_JZNS1_25segmented_radix_sort_implINS0_14default_configELb0EPKdPdPKlPlN2at6native12_GLOBAL__N_18offset_tEEE10hipError_tPvRmT1_PNSt15iterator_traitsIS12_E10value_typeET2_T3_PNS13_IS18_E10value_typeET4_jRbjT5_S1E_jjP12ihipStream_tbEUljE_ZNSN_ISO_Lb0ESQ_SR_ST_SU_SY_EESZ_S10_S11_S12_S16_S17_S18_S1B_S1C_jS1D_jS1E_S1E_jjS1G_bEUljE0_EEESZ_S10_S11_S18_S1C_S1E_T6_T7_T9_mT8_S1G_bDpT10_ENKUlT_T0_E_clISt17integral_constantIbLb1EES1U_EEDaS1P_S1Q_EUlS1P_E_NS1_11comp_targetILNS1_3genE9ELNS1_11target_archE1100ELNS1_3gpuE3ELNS1_3repE0EEENS1_30default_config_static_selectorELNS0_4arch9wavefront6targetE0EEEvS12_,"axG",@progbits,_ZN7rocprim17ROCPRIM_400000_NS6detail17trampoline_kernelINS0_13select_configILj256ELj13ELNS0_17block_load_methodE3ELS4_3ELS4_3ELNS0_20block_scan_algorithmE0ELj4294967295EEENS1_25partition_config_selectorILNS1_17partition_subalgoE4EjNS0_10empty_typeEbEEZZNS1_14partition_implILS8_4ELb0ES6_15HIP_vector_typeIjLj2EENS0_17counting_iteratorIjlEEPS9_SG_NS0_5tupleIJPjSI_NS0_16reverse_iteratorISI_EEEEENSH_IJSG_SG_SG_EEES9_SI_JZNS1_25segmented_radix_sort_implINS0_14default_configELb0EPKdPdPKlPlN2at6native12_GLOBAL__N_18offset_tEEE10hipError_tPvRmT1_PNSt15iterator_traitsIS12_E10value_typeET2_T3_PNS13_IS18_E10value_typeET4_jRbjT5_S1E_jjP12ihipStream_tbEUljE_ZNSN_ISO_Lb0ESQ_SR_ST_SU_SY_EESZ_S10_S11_S12_S16_S17_S18_S1B_S1C_jS1D_jS1E_S1E_jjS1G_bEUljE0_EEESZ_S10_S11_S18_S1C_S1E_T6_T7_T9_mT8_S1G_bDpT10_ENKUlT_T0_E_clISt17integral_constantIbLb1EES1U_EEDaS1P_S1Q_EUlS1P_E_NS1_11comp_targetILNS1_3genE9ELNS1_11target_archE1100ELNS1_3gpuE3ELNS1_3repE0EEENS1_30default_config_static_selectorELNS0_4arch9wavefront6targetE0EEEvS12_,comdat
.Lfunc_end1165:
	.size	_ZN7rocprim17ROCPRIM_400000_NS6detail17trampoline_kernelINS0_13select_configILj256ELj13ELNS0_17block_load_methodE3ELS4_3ELS4_3ELNS0_20block_scan_algorithmE0ELj4294967295EEENS1_25partition_config_selectorILNS1_17partition_subalgoE4EjNS0_10empty_typeEbEEZZNS1_14partition_implILS8_4ELb0ES6_15HIP_vector_typeIjLj2EENS0_17counting_iteratorIjlEEPS9_SG_NS0_5tupleIJPjSI_NS0_16reverse_iteratorISI_EEEEENSH_IJSG_SG_SG_EEES9_SI_JZNS1_25segmented_radix_sort_implINS0_14default_configELb0EPKdPdPKlPlN2at6native12_GLOBAL__N_18offset_tEEE10hipError_tPvRmT1_PNSt15iterator_traitsIS12_E10value_typeET2_T3_PNS13_IS18_E10value_typeET4_jRbjT5_S1E_jjP12ihipStream_tbEUljE_ZNSN_ISO_Lb0ESQ_SR_ST_SU_SY_EESZ_S10_S11_S12_S16_S17_S18_S1B_S1C_jS1D_jS1E_S1E_jjS1G_bEUljE0_EEESZ_S10_S11_S18_S1C_S1E_T6_T7_T9_mT8_S1G_bDpT10_ENKUlT_T0_E_clISt17integral_constantIbLb1EES1U_EEDaS1P_S1Q_EUlS1P_E_NS1_11comp_targetILNS1_3genE9ELNS1_11target_archE1100ELNS1_3gpuE3ELNS1_3repE0EEENS1_30default_config_static_selectorELNS0_4arch9wavefront6targetE0EEEvS12_, .Lfunc_end1165-_ZN7rocprim17ROCPRIM_400000_NS6detail17trampoline_kernelINS0_13select_configILj256ELj13ELNS0_17block_load_methodE3ELS4_3ELS4_3ELNS0_20block_scan_algorithmE0ELj4294967295EEENS1_25partition_config_selectorILNS1_17partition_subalgoE4EjNS0_10empty_typeEbEEZZNS1_14partition_implILS8_4ELb0ES6_15HIP_vector_typeIjLj2EENS0_17counting_iteratorIjlEEPS9_SG_NS0_5tupleIJPjSI_NS0_16reverse_iteratorISI_EEEEENSH_IJSG_SG_SG_EEES9_SI_JZNS1_25segmented_radix_sort_implINS0_14default_configELb0EPKdPdPKlPlN2at6native12_GLOBAL__N_18offset_tEEE10hipError_tPvRmT1_PNSt15iterator_traitsIS12_E10value_typeET2_T3_PNS13_IS18_E10value_typeET4_jRbjT5_S1E_jjP12ihipStream_tbEUljE_ZNSN_ISO_Lb0ESQ_SR_ST_SU_SY_EESZ_S10_S11_S12_S16_S17_S18_S1B_S1C_jS1D_jS1E_S1E_jjS1G_bEUljE0_EEESZ_S10_S11_S18_S1C_S1E_T6_T7_T9_mT8_S1G_bDpT10_ENKUlT_T0_E_clISt17integral_constantIbLb1EES1U_EEDaS1P_S1Q_EUlS1P_E_NS1_11comp_targetILNS1_3genE9ELNS1_11target_archE1100ELNS1_3gpuE3ELNS1_3repE0EEENS1_30default_config_static_selectorELNS0_4arch9wavefront6targetE0EEEvS12_
                                        ; -- End function
	.set _ZN7rocprim17ROCPRIM_400000_NS6detail17trampoline_kernelINS0_13select_configILj256ELj13ELNS0_17block_load_methodE3ELS4_3ELS4_3ELNS0_20block_scan_algorithmE0ELj4294967295EEENS1_25partition_config_selectorILNS1_17partition_subalgoE4EjNS0_10empty_typeEbEEZZNS1_14partition_implILS8_4ELb0ES6_15HIP_vector_typeIjLj2EENS0_17counting_iteratorIjlEEPS9_SG_NS0_5tupleIJPjSI_NS0_16reverse_iteratorISI_EEEEENSH_IJSG_SG_SG_EEES9_SI_JZNS1_25segmented_radix_sort_implINS0_14default_configELb0EPKdPdPKlPlN2at6native12_GLOBAL__N_18offset_tEEE10hipError_tPvRmT1_PNSt15iterator_traitsIS12_E10value_typeET2_T3_PNS13_IS18_E10value_typeET4_jRbjT5_S1E_jjP12ihipStream_tbEUljE_ZNSN_ISO_Lb0ESQ_SR_ST_SU_SY_EESZ_S10_S11_S12_S16_S17_S18_S1B_S1C_jS1D_jS1E_S1E_jjS1G_bEUljE0_EEESZ_S10_S11_S18_S1C_S1E_T6_T7_T9_mT8_S1G_bDpT10_ENKUlT_T0_E_clISt17integral_constantIbLb1EES1U_EEDaS1P_S1Q_EUlS1P_E_NS1_11comp_targetILNS1_3genE9ELNS1_11target_archE1100ELNS1_3gpuE3ELNS1_3repE0EEENS1_30default_config_static_selectorELNS0_4arch9wavefront6targetE0EEEvS12_.num_vgpr, 0
	.set _ZN7rocprim17ROCPRIM_400000_NS6detail17trampoline_kernelINS0_13select_configILj256ELj13ELNS0_17block_load_methodE3ELS4_3ELS4_3ELNS0_20block_scan_algorithmE0ELj4294967295EEENS1_25partition_config_selectorILNS1_17partition_subalgoE4EjNS0_10empty_typeEbEEZZNS1_14partition_implILS8_4ELb0ES6_15HIP_vector_typeIjLj2EENS0_17counting_iteratorIjlEEPS9_SG_NS0_5tupleIJPjSI_NS0_16reverse_iteratorISI_EEEEENSH_IJSG_SG_SG_EEES9_SI_JZNS1_25segmented_radix_sort_implINS0_14default_configELb0EPKdPdPKlPlN2at6native12_GLOBAL__N_18offset_tEEE10hipError_tPvRmT1_PNSt15iterator_traitsIS12_E10value_typeET2_T3_PNS13_IS18_E10value_typeET4_jRbjT5_S1E_jjP12ihipStream_tbEUljE_ZNSN_ISO_Lb0ESQ_SR_ST_SU_SY_EESZ_S10_S11_S12_S16_S17_S18_S1B_S1C_jS1D_jS1E_S1E_jjS1G_bEUljE0_EEESZ_S10_S11_S18_S1C_S1E_T6_T7_T9_mT8_S1G_bDpT10_ENKUlT_T0_E_clISt17integral_constantIbLb1EES1U_EEDaS1P_S1Q_EUlS1P_E_NS1_11comp_targetILNS1_3genE9ELNS1_11target_archE1100ELNS1_3gpuE3ELNS1_3repE0EEENS1_30default_config_static_selectorELNS0_4arch9wavefront6targetE0EEEvS12_.num_agpr, 0
	.set _ZN7rocprim17ROCPRIM_400000_NS6detail17trampoline_kernelINS0_13select_configILj256ELj13ELNS0_17block_load_methodE3ELS4_3ELS4_3ELNS0_20block_scan_algorithmE0ELj4294967295EEENS1_25partition_config_selectorILNS1_17partition_subalgoE4EjNS0_10empty_typeEbEEZZNS1_14partition_implILS8_4ELb0ES6_15HIP_vector_typeIjLj2EENS0_17counting_iteratorIjlEEPS9_SG_NS0_5tupleIJPjSI_NS0_16reverse_iteratorISI_EEEEENSH_IJSG_SG_SG_EEES9_SI_JZNS1_25segmented_radix_sort_implINS0_14default_configELb0EPKdPdPKlPlN2at6native12_GLOBAL__N_18offset_tEEE10hipError_tPvRmT1_PNSt15iterator_traitsIS12_E10value_typeET2_T3_PNS13_IS18_E10value_typeET4_jRbjT5_S1E_jjP12ihipStream_tbEUljE_ZNSN_ISO_Lb0ESQ_SR_ST_SU_SY_EESZ_S10_S11_S12_S16_S17_S18_S1B_S1C_jS1D_jS1E_S1E_jjS1G_bEUljE0_EEESZ_S10_S11_S18_S1C_S1E_T6_T7_T9_mT8_S1G_bDpT10_ENKUlT_T0_E_clISt17integral_constantIbLb1EES1U_EEDaS1P_S1Q_EUlS1P_E_NS1_11comp_targetILNS1_3genE9ELNS1_11target_archE1100ELNS1_3gpuE3ELNS1_3repE0EEENS1_30default_config_static_selectorELNS0_4arch9wavefront6targetE0EEEvS12_.numbered_sgpr, 0
	.set _ZN7rocprim17ROCPRIM_400000_NS6detail17trampoline_kernelINS0_13select_configILj256ELj13ELNS0_17block_load_methodE3ELS4_3ELS4_3ELNS0_20block_scan_algorithmE0ELj4294967295EEENS1_25partition_config_selectorILNS1_17partition_subalgoE4EjNS0_10empty_typeEbEEZZNS1_14partition_implILS8_4ELb0ES6_15HIP_vector_typeIjLj2EENS0_17counting_iteratorIjlEEPS9_SG_NS0_5tupleIJPjSI_NS0_16reverse_iteratorISI_EEEEENSH_IJSG_SG_SG_EEES9_SI_JZNS1_25segmented_radix_sort_implINS0_14default_configELb0EPKdPdPKlPlN2at6native12_GLOBAL__N_18offset_tEEE10hipError_tPvRmT1_PNSt15iterator_traitsIS12_E10value_typeET2_T3_PNS13_IS18_E10value_typeET4_jRbjT5_S1E_jjP12ihipStream_tbEUljE_ZNSN_ISO_Lb0ESQ_SR_ST_SU_SY_EESZ_S10_S11_S12_S16_S17_S18_S1B_S1C_jS1D_jS1E_S1E_jjS1G_bEUljE0_EEESZ_S10_S11_S18_S1C_S1E_T6_T7_T9_mT8_S1G_bDpT10_ENKUlT_T0_E_clISt17integral_constantIbLb1EES1U_EEDaS1P_S1Q_EUlS1P_E_NS1_11comp_targetILNS1_3genE9ELNS1_11target_archE1100ELNS1_3gpuE3ELNS1_3repE0EEENS1_30default_config_static_selectorELNS0_4arch9wavefront6targetE0EEEvS12_.num_named_barrier, 0
	.set _ZN7rocprim17ROCPRIM_400000_NS6detail17trampoline_kernelINS0_13select_configILj256ELj13ELNS0_17block_load_methodE3ELS4_3ELS4_3ELNS0_20block_scan_algorithmE0ELj4294967295EEENS1_25partition_config_selectorILNS1_17partition_subalgoE4EjNS0_10empty_typeEbEEZZNS1_14partition_implILS8_4ELb0ES6_15HIP_vector_typeIjLj2EENS0_17counting_iteratorIjlEEPS9_SG_NS0_5tupleIJPjSI_NS0_16reverse_iteratorISI_EEEEENSH_IJSG_SG_SG_EEES9_SI_JZNS1_25segmented_radix_sort_implINS0_14default_configELb0EPKdPdPKlPlN2at6native12_GLOBAL__N_18offset_tEEE10hipError_tPvRmT1_PNSt15iterator_traitsIS12_E10value_typeET2_T3_PNS13_IS18_E10value_typeET4_jRbjT5_S1E_jjP12ihipStream_tbEUljE_ZNSN_ISO_Lb0ESQ_SR_ST_SU_SY_EESZ_S10_S11_S12_S16_S17_S18_S1B_S1C_jS1D_jS1E_S1E_jjS1G_bEUljE0_EEESZ_S10_S11_S18_S1C_S1E_T6_T7_T9_mT8_S1G_bDpT10_ENKUlT_T0_E_clISt17integral_constantIbLb1EES1U_EEDaS1P_S1Q_EUlS1P_E_NS1_11comp_targetILNS1_3genE9ELNS1_11target_archE1100ELNS1_3gpuE3ELNS1_3repE0EEENS1_30default_config_static_selectorELNS0_4arch9wavefront6targetE0EEEvS12_.private_seg_size, 0
	.set _ZN7rocprim17ROCPRIM_400000_NS6detail17trampoline_kernelINS0_13select_configILj256ELj13ELNS0_17block_load_methodE3ELS4_3ELS4_3ELNS0_20block_scan_algorithmE0ELj4294967295EEENS1_25partition_config_selectorILNS1_17partition_subalgoE4EjNS0_10empty_typeEbEEZZNS1_14partition_implILS8_4ELb0ES6_15HIP_vector_typeIjLj2EENS0_17counting_iteratorIjlEEPS9_SG_NS0_5tupleIJPjSI_NS0_16reverse_iteratorISI_EEEEENSH_IJSG_SG_SG_EEES9_SI_JZNS1_25segmented_radix_sort_implINS0_14default_configELb0EPKdPdPKlPlN2at6native12_GLOBAL__N_18offset_tEEE10hipError_tPvRmT1_PNSt15iterator_traitsIS12_E10value_typeET2_T3_PNS13_IS18_E10value_typeET4_jRbjT5_S1E_jjP12ihipStream_tbEUljE_ZNSN_ISO_Lb0ESQ_SR_ST_SU_SY_EESZ_S10_S11_S12_S16_S17_S18_S1B_S1C_jS1D_jS1E_S1E_jjS1G_bEUljE0_EEESZ_S10_S11_S18_S1C_S1E_T6_T7_T9_mT8_S1G_bDpT10_ENKUlT_T0_E_clISt17integral_constantIbLb1EES1U_EEDaS1P_S1Q_EUlS1P_E_NS1_11comp_targetILNS1_3genE9ELNS1_11target_archE1100ELNS1_3gpuE3ELNS1_3repE0EEENS1_30default_config_static_selectorELNS0_4arch9wavefront6targetE0EEEvS12_.uses_vcc, 0
	.set _ZN7rocprim17ROCPRIM_400000_NS6detail17trampoline_kernelINS0_13select_configILj256ELj13ELNS0_17block_load_methodE3ELS4_3ELS4_3ELNS0_20block_scan_algorithmE0ELj4294967295EEENS1_25partition_config_selectorILNS1_17partition_subalgoE4EjNS0_10empty_typeEbEEZZNS1_14partition_implILS8_4ELb0ES6_15HIP_vector_typeIjLj2EENS0_17counting_iteratorIjlEEPS9_SG_NS0_5tupleIJPjSI_NS0_16reverse_iteratorISI_EEEEENSH_IJSG_SG_SG_EEES9_SI_JZNS1_25segmented_radix_sort_implINS0_14default_configELb0EPKdPdPKlPlN2at6native12_GLOBAL__N_18offset_tEEE10hipError_tPvRmT1_PNSt15iterator_traitsIS12_E10value_typeET2_T3_PNS13_IS18_E10value_typeET4_jRbjT5_S1E_jjP12ihipStream_tbEUljE_ZNSN_ISO_Lb0ESQ_SR_ST_SU_SY_EESZ_S10_S11_S12_S16_S17_S18_S1B_S1C_jS1D_jS1E_S1E_jjS1G_bEUljE0_EEESZ_S10_S11_S18_S1C_S1E_T6_T7_T9_mT8_S1G_bDpT10_ENKUlT_T0_E_clISt17integral_constantIbLb1EES1U_EEDaS1P_S1Q_EUlS1P_E_NS1_11comp_targetILNS1_3genE9ELNS1_11target_archE1100ELNS1_3gpuE3ELNS1_3repE0EEENS1_30default_config_static_selectorELNS0_4arch9wavefront6targetE0EEEvS12_.uses_flat_scratch, 0
	.set _ZN7rocprim17ROCPRIM_400000_NS6detail17trampoline_kernelINS0_13select_configILj256ELj13ELNS0_17block_load_methodE3ELS4_3ELS4_3ELNS0_20block_scan_algorithmE0ELj4294967295EEENS1_25partition_config_selectorILNS1_17partition_subalgoE4EjNS0_10empty_typeEbEEZZNS1_14partition_implILS8_4ELb0ES6_15HIP_vector_typeIjLj2EENS0_17counting_iteratorIjlEEPS9_SG_NS0_5tupleIJPjSI_NS0_16reverse_iteratorISI_EEEEENSH_IJSG_SG_SG_EEES9_SI_JZNS1_25segmented_radix_sort_implINS0_14default_configELb0EPKdPdPKlPlN2at6native12_GLOBAL__N_18offset_tEEE10hipError_tPvRmT1_PNSt15iterator_traitsIS12_E10value_typeET2_T3_PNS13_IS18_E10value_typeET4_jRbjT5_S1E_jjP12ihipStream_tbEUljE_ZNSN_ISO_Lb0ESQ_SR_ST_SU_SY_EESZ_S10_S11_S12_S16_S17_S18_S1B_S1C_jS1D_jS1E_S1E_jjS1G_bEUljE0_EEESZ_S10_S11_S18_S1C_S1E_T6_T7_T9_mT8_S1G_bDpT10_ENKUlT_T0_E_clISt17integral_constantIbLb1EES1U_EEDaS1P_S1Q_EUlS1P_E_NS1_11comp_targetILNS1_3genE9ELNS1_11target_archE1100ELNS1_3gpuE3ELNS1_3repE0EEENS1_30default_config_static_selectorELNS0_4arch9wavefront6targetE0EEEvS12_.has_dyn_sized_stack, 0
	.set _ZN7rocprim17ROCPRIM_400000_NS6detail17trampoline_kernelINS0_13select_configILj256ELj13ELNS0_17block_load_methodE3ELS4_3ELS4_3ELNS0_20block_scan_algorithmE0ELj4294967295EEENS1_25partition_config_selectorILNS1_17partition_subalgoE4EjNS0_10empty_typeEbEEZZNS1_14partition_implILS8_4ELb0ES6_15HIP_vector_typeIjLj2EENS0_17counting_iteratorIjlEEPS9_SG_NS0_5tupleIJPjSI_NS0_16reverse_iteratorISI_EEEEENSH_IJSG_SG_SG_EEES9_SI_JZNS1_25segmented_radix_sort_implINS0_14default_configELb0EPKdPdPKlPlN2at6native12_GLOBAL__N_18offset_tEEE10hipError_tPvRmT1_PNSt15iterator_traitsIS12_E10value_typeET2_T3_PNS13_IS18_E10value_typeET4_jRbjT5_S1E_jjP12ihipStream_tbEUljE_ZNSN_ISO_Lb0ESQ_SR_ST_SU_SY_EESZ_S10_S11_S12_S16_S17_S18_S1B_S1C_jS1D_jS1E_S1E_jjS1G_bEUljE0_EEESZ_S10_S11_S18_S1C_S1E_T6_T7_T9_mT8_S1G_bDpT10_ENKUlT_T0_E_clISt17integral_constantIbLb1EES1U_EEDaS1P_S1Q_EUlS1P_E_NS1_11comp_targetILNS1_3genE9ELNS1_11target_archE1100ELNS1_3gpuE3ELNS1_3repE0EEENS1_30default_config_static_selectorELNS0_4arch9wavefront6targetE0EEEvS12_.has_recursion, 0
	.set _ZN7rocprim17ROCPRIM_400000_NS6detail17trampoline_kernelINS0_13select_configILj256ELj13ELNS0_17block_load_methodE3ELS4_3ELS4_3ELNS0_20block_scan_algorithmE0ELj4294967295EEENS1_25partition_config_selectorILNS1_17partition_subalgoE4EjNS0_10empty_typeEbEEZZNS1_14partition_implILS8_4ELb0ES6_15HIP_vector_typeIjLj2EENS0_17counting_iteratorIjlEEPS9_SG_NS0_5tupleIJPjSI_NS0_16reverse_iteratorISI_EEEEENSH_IJSG_SG_SG_EEES9_SI_JZNS1_25segmented_radix_sort_implINS0_14default_configELb0EPKdPdPKlPlN2at6native12_GLOBAL__N_18offset_tEEE10hipError_tPvRmT1_PNSt15iterator_traitsIS12_E10value_typeET2_T3_PNS13_IS18_E10value_typeET4_jRbjT5_S1E_jjP12ihipStream_tbEUljE_ZNSN_ISO_Lb0ESQ_SR_ST_SU_SY_EESZ_S10_S11_S12_S16_S17_S18_S1B_S1C_jS1D_jS1E_S1E_jjS1G_bEUljE0_EEESZ_S10_S11_S18_S1C_S1E_T6_T7_T9_mT8_S1G_bDpT10_ENKUlT_T0_E_clISt17integral_constantIbLb1EES1U_EEDaS1P_S1Q_EUlS1P_E_NS1_11comp_targetILNS1_3genE9ELNS1_11target_archE1100ELNS1_3gpuE3ELNS1_3repE0EEENS1_30default_config_static_selectorELNS0_4arch9wavefront6targetE0EEEvS12_.has_indirect_call, 0
	.section	.AMDGPU.csdata,"",@progbits
; Kernel info:
; codeLenInByte = 0
; TotalNumSgprs: 0
; NumVgprs: 0
; ScratchSize: 0
; MemoryBound: 0
; FloatMode: 240
; IeeeMode: 1
; LDSByteSize: 0 bytes/workgroup (compile time only)
; SGPRBlocks: 0
; VGPRBlocks: 0
; NumSGPRsForWavesPerEU: 1
; NumVGPRsForWavesPerEU: 1
; NamedBarCnt: 0
; Occupancy: 16
; WaveLimiterHint : 0
; COMPUTE_PGM_RSRC2:SCRATCH_EN: 0
; COMPUTE_PGM_RSRC2:USER_SGPR: 2
; COMPUTE_PGM_RSRC2:TRAP_HANDLER: 0
; COMPUTE_PGM_RSRC2:TGID_X_EN: 1
; COMPUTE_PGM_RSRC2:TGID_Y_EN: 0
; COMPUTE_PGM_RSRC2:TGID_Z_EN: 0
; COMPUTE_PGM_RSRC2:TIDIG_COMP_CNT: 0
	.section	.text._ZN7rocprim17ROCPRIM_400000_NS6detail17trampoline_kernelINS0_13select_configILj256ELj13ELNS0_17block_load_methodE3ELS4_3ELS4_3ELNS0_20block_scan_algorithmE0ELj4294967295EEENS1_25partition_config_selectorILNS1_17partition_subalgoE4EjNS0_10empty_typeEbEEZZNS1_14partition_implILS8_4ELb0ES6_15HIP_vector_typeIjLj2EENS0_17counting_iteratorIjlEEPS9_SG_NS0_5tupleIJPjSI_NS0_16reverse_iteratorISI_EEEEENSH_IJSG_SG_SG_EEES9_SI_JZNS1_25segmented_radix_sort_implINS0_14default_configELb0EPKdPdPKlPlN2at6native12_GLOBAL__N_18offset_tEEE10hipError_tPvRmT1_PNSt15iterator_traitsIS12_E10value_typeET2_T3_PNS13_IS18_E10value_typeET4_jRbjT5_S1E_jjP12ihipStream_tbEUljE_ZNSN_ISO_Lb0ESQ_SR_ST_SU_SY_EESZ_S10_S11_S12_S16_S17_S18_S1B_S1C_jS1D_jS1E_S1E_jjS1G_bEUljE0_EEESZ_S10_S11_S18_S1C_S1E_T6_T7_T9_mT8_S1G_bDpT10_ENKUlT_T0_E_clISt17integral_constantIbLb1EES1U_EEDaS1P_S1Q_EUlS1P_E_NS1_11comp_targetILNS1_3genE8ELNS1_11target_archE1030ELNS1_3gpuE2ELNS1_3repE0EEENS1_30default_config_static_selectorELNS0_4arch9wavefront6targetE0EEEvS12_,"axG",@progbits,_ZN7rocprim17ROCPRIM_400000_NS6detail17trampoline_kernelINS0_13select_configILj256ELj13ELNS0_17block_load_methodE3ELS4_3ELS4_3ELNS0_20block_scan_algorithmE0ELj4294967295EEENS1_25partition_config_selectorILNS1_17partition_subalgoE4EjNS0_10empty_typeEbEEZZNS1_14partition_implILS8_4ELb0ES6_15HIP_vector_typeIjLj2EENS0_17counting_iteratorIjlEEPS9_SG_NS0_5tupleIJPjSI_NS0_16reverse_iteratorISI_EEEEENSH_IJSG_SG_SG_EEES9_SI_JZNS1_25segmented_radix_sort_implINS0_14default_configELb0EPKdPdPKlPlN2at6native12_GLOBAL__N_18offset_tEEE10hipError_tPvRmT1_PNSt15iterator_traitsIS12_E10value_typeET2_T3_PNS13_IS18_E10value_typeET4_jRbjT5_S1E_jjP12ihipStream_tbEUljE_ZNSN_ISO_Lb0ESQ_SR_ST_SU_SY_EESZ_S10_S11_S12_S16_S17_S18_S1B_S1C_jS1D_jS1E_S1E_jjS1G_bEUljE0_EEESZ_S10_S11_S18_S1C_S1E_T6_T7_T9_mT8_S1G_bDpT10_ENKUlT_T0_E_clISt17integral_constantIbLb1EES1U_EEDaS1P_S1Q_EUlS1P_E_NS1_11comp_targetILNS1_3genE8ELNS1_11target_archE1030ELNS1_3gpuE2ELNS1_3repE0EEENS1_30default_config_static_selectorELNS0_4arch9wavefront6targetE0EEEvS12_,comdat
	.globl	_ZN7rocprim17ROCPRIM_400000_NS6detail17trampoline_kernelINS0_13select_configILj256ELj13ELNS0_17block_load_methodE3ELS4_3ELS4_3ELNS0_20block_scan_algorithmE0ELj4294967295EEENS1_25partition_config_selectorILNS1_17partition_subalgoE4EjNS0_10empty_typeEbEEZZNS1_14partition_implILS8_4ELb0ES6_15HIP_vector_typeIjLj2EENS0_17counting_iteratorIjlEEPS9_SG_NS0_5tupleIJPjSI_NS0_16reverse_iteratorISI_EEEEENSH_IJSG_SG_SG_EEES9_SI_JZNS1_25segmented_radix_sort_implINS0_14default_configELb0EPKdPdPKlPlN2at6native12_GLOBAL__N_18offset_tEEE10hipError_tPvRmT1_PNSt15iterator_traitsIS12_E10value_typeET2_T3_PNS13_IS18_E10value_typeET4_jRbjT5_S1E_jjP12ihipStream_tbEUljE_ZNSN_ISO_Lb0ESQ_SR_ST_SU_SY_EESZ_S10_S11_S12_S16_S17_S18_S1B_S1C_jS1D_jS1E_S1E_jjS1G_bEUljE0_EEESZ_S10_S11_S18_S1C_S1E_T6_T7_T9_mT8_S1G_bDpT10_ENKUlT_T0_E_clISt17integral_constantIbLb1EES1U_EEDaS1P_S1Q_EUlS1P_E_NS1_11comp_targetILNS1_3genE8ELNS1_11target_archE1030ELNS1_3gpuE2ELNS1_3repE0EEENS1_30default_config_static_selectorELNS0_4arch9wavefront6targetE0EEEvS12_ ; -- Begin function _ZN7rocprim17ROCPRIM_400000_NS6detail17trampoline_kernelINS0_13select_configILj256ELj13ELNS0_17block_load_methodE3ELS4_3ELS4_3ELNS0_20block_scan_algorithmE0ELj4294967295EEENS1_25partition_config_selectorILNS1_17partition_subalgoE4EjNS0_10empty_typeEbEEZZNS1_14partition_implILS8_4ELb0ES6_15HIP_vector_typeIjLj2EENS0_17counting_iteratorIjlEEPS9_SG_NS0_5tupleIJPjSI_NS0_16reverse_iteratorISI_EEEEENSH_IJSG_SG_SG_EEES9_SI_JZNS1_25segmented_radix_sort_implINS0_14default_configELb0EPKdPdPKlPlN2at6native12_GLOBAL__N_18offset_tEEE10hipError_tPvRmT1_PNSt15iterator_traitsIS12_E10value_typeET2_T3_PNS13_IS18_E10value_typeET4_jRbjT5_S1E_jjP12ihipStream_tbEUljE_ZNSN_ISO_Lb0ESQ_SR_ST_SU_SY_EESZ_S10_S11_S12_S16_S17_S18_S1B_S1C_jS1D_jS1E_S1E_jjS1G_bEUljE0_EEESZ_S10_S11_S18_S1C_S1E_T6_T7_T9_mT8_S1G_bDpT10_ENKUlT_T0_E_clISt17integral_constantIbLb1EES1U_EEDaS1P_S1Q_EUlS1P_E_NS1_11comp_targetILNS1_3genE8ELNS1_11target_archE1030ELNS1_3gpuE2ELNS1_3repE0EEENS1_30default_config_static_selectorELNS0_4arch9wavefront6targetE0EEEvS12_
	.p2align	8
	.type	_ZN7rocprim17ROCPRIM_400000_NS6detail17trampoline_kernelINS0_13select_configILj256ELj13ELNS0_17block_load_methodE3ELS4_3ELS4_3ELNS0_20block_scan_algorithmE0ELj4294967295EEENS1_25partition_config_selectorILNS1_17partition_subalgoE4EjNS0_10empty_typeEbEEZZNS1_14partition_implILS8_4ELb0ES6_15HIP_vector_typeIjLj2EENS0_17counting_iteratorIjlEEPS9_SG_NS0_5tupleIJPjSI_NS0_16reverse_iteratorISI_EEEEENSH_IJSG_SG_SG_EEES9_SI_JZNS1_25segmented_radix_sort_implINS0_14default_configELb0EPKdPdPKlPlN2at6native12_GLOBAL__N_18offset_tEEE10hipError_tPvRmT1_PNSt15iterator_traitsIS12_E10value_typeET2_T3_PNS13_IS18_E10value_typeET4_jRbjT5_S1E_jjP12ihipStream_tbEUljE_ZNSN_ISO_Lb0ESQ_SR_ST_SU_SY_EESZ_S10_S11_S12_S16_S17_S18_S1B_S1C_jS1D_jS1E_S1E_jjS1G_bEUljE0_EEESZ_S10_S11_S18_S1C_S1E_T6_T7_T9_mT8_S1G_bDpT10_ENKUlT_T0_E_clISt17integral_constantIbLb1EES1U_EEDaS1P_S1Q_EUlS1P_E_NS1_11comp_targetILNS1_3genE8ELNS1_11target_archE1030ELNS1_3gpuE2ELNS1_3repE0EEENS1_30default_config_static_selectorELNS0_4arch9wavefront6targetE0EEEvS12_,@function
_ZN7rocprim17ROCPRIM_400000_NS6detail17trampoline_kernelINS0_13select_configILj256ELj13ELNS0_17block_load_methodE3ELS4_3ELS4_3ELNS0_20block_scan_algorithmE0ELj4294967295EEENS1_25partition_config_selectorILNS1_17partition_subalgoE4EjNS0_10empty_typeEbEEZZNS1_14partition_implILS8_4ELb0ES6_15HIP_vector_typeIjLj2EENS0_17counting_iteratorIjlEEPS9_SG_NS0_5tupleIJPjSI_NS0_16reverse_iteratorISI_EEEEENSH_IJSG_SG_SG_EEES9_SI_JZNS1_25segmented_radix_sort_implINS0_14default_configELb0EPKdPdPKlPlN2at6native12_GLOBAL__N_18offset_tEEE10hipError_tPvRmT1_PNSt15iterator_traitsIS12_E10value_typeET2_T3_PNS13_IS18_E10value_typeET4_jRbjT5_S1E_jjP12ihipStream_tbEUljE_ZNSN_ISO_Lb0ESQ_SR_ST_SU_SY_EESZ_S10_S11_S12_S16_S17_S18_S1B_S1C_jS1D_jS1E_S1E_jjS1G_bEUljE0_EEESZ_S10_S11_S18_S1C_S1E_T6_T7_T9_mT8_S1G_bDpT10_ENKUlT_T0_E_clISt17integral_constantIbLb1EES1U_EEDaS1P_S1Q_EUlS1P_E_NS1_11comp_targetILNS1_3genE8ELNS1_11target_archE1030ELNS1_3gpuE2ELNS1_3repE0EEENS1_30default_config_static_selectorELNS0_4arch9wavefront6targetE0EEEvS12_: ; @_ZN7rocprim17ROCPRIM_400000_NS6detail17trampoline_kernelINS0_13select_configILj256ELj13ELNS0_17block_load_methodE3ELS4_3ELS4_3ELNS0_20block_scan_algorithmE0ELj4294967295EEENS1_25partition_config_selectorILNS1_17partition_subalgoE4EjNS0_10empty_typeEbEEZZNS1_14partition_implILS8_4ELb0ES6_15HIP_vector_typeIjLj2EENS0_17counting_iteratorIjlEEPS9_SG_NS0_5tupleIJPjSI_NS0_16reverse_iteratorISI_EEEEENSH_IJSG_SG_SG_EEES9_SI_JZNS1_25segmented_radix_sort_implINS0_14default_configELb0EPKdPdPKlPlN2at6native12_GLOBAL__N_18offset_tEEE10hipError_tPvRmT1_PNSt15iterator_traitsIS12_E10value_typeET2_T3_PNS13_IS18_E10value_typeET4_jRbjT5_S1E_jjP12ihipStream_tbEUljE_ZNSN_ISO_Lb0ESQ_SR_ST_SU_SY_EESZ_S10_S11_S12_S16_S17_S18_S1B_S1C_jS1D_jS1E_S1E_jjS1G_bEUljE0_EEESZ_S10_S11_S18_S1C_S1E_T6_T7_T9_mT8_S1G_bDpT10_ENKUlT_T0_E_clISt17integral_constantIbLb1EES1U_EEDaS1P_S1Q_EUlS1P_E_NS1_11comp_targetILNS1_3genE8ELNS1_11target_archE1030ELNS1_3gpuE2ELNS1_3repE0EEENS1_30default_config_static_selectorELNS0_4arch9wavefront6targetE0EEEvS12_
; %bb.0:
	.section	.rodata,"a",@progbits
	.p2align	6, 0x0
	.amdhsa_kernel _ZN7rocprim17ROCPRIM_400000_NS6detail17trampoline_kernelINS0_13select_configILj256ELj13ELNS0_17block_load_methodE3ELS4_3ELS4_3ELNS0_20block_scan_algorithmE0ELj4294967295EEENS1_25partition_config_selectorILNS1_17partition_subalgoE4EjNS0_10empty_typeEbEEZZNS1_14partition_implILS8_4ELb0ES6_15HIP_vector_typeIjLj2EENS0_17counting_iteratorIjlEEPS9_SG_NS0_5tupleIJPjSI_NS0_16reverse_iteratorISI_EEEEENSH_IJSG_SG_SG_EEES9_SI_JZNS1_25segmented_radix_sort_implINS0_14default_configELb0EPKdPdPKlPlN2at6native12_GLOBAL__N_18offset_tEEE10hipError_tPvRmT1_PNSt15iterator_traitsIS12_E10value_typeET2_T3_PNS13_IS18_E10value_typeET4_jRbjT5_S1E_jjP12ihipStream_tbEUljE_ZNSN_ISO_Lb0ESQ_SR_ST_SU_SY_EESZ_S10_S11_S12_S16_S17_S18_S1B_S1C_jS1D_jS1E_S1E_jjS1G_bEUljE0_EEESZ_S10_S11_S18_S1C_S1E_T6_T7_T9_mT8_S1G_bDpT10_ENKUlT_T0_E_clISt17integral_constantIbLb1EES1U_EEDaS1P_S1Q_EUlS1P_E_NS1_11comp_targetILNS1_3genE8ELNS1_11target_archE1030ELNS1_3gpuE2ELNS1_3repE0EEENS1_30default_config_static_selectorELNS0_4arch9wavefront6targetE0EEEvS12_
		.amdhsa_group_segment_fixed_size 0
		.amdhsa_private_segment_fixed_size 0
		.amdhsa_kernarg_size 184
		.amdhsa_user_sgpr_count 2
		.amdhsa_user_sgpr_dispatch_ptr 0
		.amdhsa_user_sgpr_queue_ptr 0
		.amdhsa_user_sgpr_kernarg_segment_ptr 1
		.amdhsa_user_sgpr_dispatch_id 0
		.amdhsa_user_sgpr_kernarg_preload_length 0
		.amdhsa_user_sgpr_kernarg_preload_offset 0
		.amdhsa_user_sgpr_private_segment_size 0
		.amdhsa_wavefront_size32 1
		.amdhsa_uses_dynamic_stack 0
		.amdhsa_enable_private_segment 0
		.amdhsa_system_sgpr_workgroup_id_x 1
		.amdhsa_system_sgpr_workgroup_id_y 0
		.amdhsa_system_sgpr_workgroup_id_z 0
		.amdhsa_system_sgpr_workgroup_info 0
		.amdhsa_system_vgpr_workitem_id 0
		.amdhsa_next_free_vgpr 1
		.amdhsa_next_free_sgpr 1
		.amdhsa_named_barrier_count 0
		.amdhsa_reserve_vcc 0
		.amdhsa_float_round_mode_32 0
		.amdhsa_float_round_mode_16_64 0
		.amdhsa_float_denorm_mode_32 3
		.amdhsa_float_denorm_mode_16_64 3
		.amdhsa_fp16_overflow 0
		.amdhsa_memory_ordered 1
		.amdhsa_forward_progress 1
		.amdhsa_inst_pref_size 0
		.amdhsa_round_robin_scheduling 0
		.amdhsa_exception_fp_ieee_invalid_op 0
		.amdhsa_exception_fp_denorm_src 0
		.amdhsa_exception_fp_ieee_div_zero 0
		.amdhsa_exception_fp_ieee_overflow 0
		.amdhsa_exception_fp_ieee_underflow 0
		.amdhsa_exception_fp_ieee_inexact 0
		.amdhsa_exception_int_div_zero 0
	.end_amdhsa_kernel
	.section	.text._ZN7rocprim17ROCPRIM_400000_NS6detail17trampoline_kernelINS0_13select_configILj256ELj13ELNS0_17block_load_methodE3ELS4_3ELS4_3ELNS0_20block_scan_algorithmE0ELj4294967295EEENS1_25partition_config_selectorILNS1_17partition_subalgoE4EjNS0_10empty_typeEbEEZZNS1_14partition_implILS8_4ELb0ES6_15HIP_vector_typeIjLj2EENS0_17counting_iteratorIjlEEPS9_SG_NS0_5tupleIJPjSI_NS0_16reverse_iteratorISI_EEEEENSH_IJSG_SG_SG_EEES9_SI_JZNS1_25segmented_radix_sort_implINS0_14default_configELb0EPKdPdPKlPlN2at6native12_GLOBAL__N_18offset_tEEE10hipError_tPvRmT1_PNSt15iterator_traitsIS12_E10value_typeET2_T3_PNS13_IS18_E10value_typeET4_jRbjT5_S1E_jjP12ihipStream_tbEUljE_ZNSN_ISO_Lb0ESQ_SR_ST_SU_SY_EESZ_S10_S11_S12_S16_S17_S18_S1B_S1C_jS1D_jS1E_S1E_jjS1G_bEUljE0_EEESZ_S10_S11_S18_S1C_S1E_T6_T7_T9_mT8_S1G_bDpT10_ENKUlT_T0_E_clISt17integral_constantIbLb1EES1U_EEDaS1P_S1Q_EUlS1P_E_NS1_11comp_targetILNS1_3genE8ELNS1_11target_archE1030ELNS1_3gpuE2ELNS1_3repE0EEENS1_30default_config_static_selectorELNS0_4arch9wavefront6targetE0EEEvS12_,"axG",@progbits,_ZN7rocprim17ROCPRIM_400000_NS6detail17trampoline_kernelINS0_13select_configILj256ELj13ELNS0_17block_load_methodE3ELS4_3ELS4_3ELNS0_20block_scan_algorithmE0ELj4294967295EEENS1_25partition_config_selectorILNS1_17partition_subalgoE4EjNS0_10empty_typeEbEEZZNS1_14partition_implILS8_4ELb0ES6_15HIP_vector_typeIjLj2EENS0_17counting_iteratorIjlEEPS9_SG_NS0_5tupleIJPjSI_NS0_16reverse_iteratorISI_EEEEENSH_IJSG_SG_SG_EEES9_SI_JZNS1_25segmented_radix_sort_implINS0_14default_configELb0EPKdPdPKlPlN2at6native12_GLOBAL__N_18offset_tEEE10hipError_tPvRmT1_PNSt15iterator_traitsIS12_E10value_typeET2_T3_PNS13_IS18_E10value_typeET4_jRbjT5_S1E_jjP12ihipStream_tbEUljE_ZNSN_ISO_Lb0ESQ_SR_ST_SU_SY_EESZ_S10_S11_S12_S16_S17_S18_S1B_S1C_jS1D_jS1E_S1E_jjS1G_bEUljE0_EEESZ_S10_S11_S18_S1C_S1E_T6_T7_T9_mT8_S1G_bDpT10_ENKUlT_T0_E_clISt17integral_constantIbLb1EES1U_EEDaS1P_S1Q_EUlS1P_E_NS1_11comp_targetILNS1_3genE8ELNS1_11target_archE1030ELNS1_3gpuE2ELNS1_3repE0EEENS1_30default_config_static_selectorELNS0_4arch9wavefront6targetE0EEEvS12_,comdat
.Lfunc_end1166:
	.size	_ZN7rocprim17ROCPRIM_400000_NS6detail17trampoline_kernelINS0_13select_configILj256ELj13ELNS0_17block_load_methodE3ELS4_3ELS4_3ELNS0_20block_scan_algorithmE0ELj4294967295EEENS1_25partition_config_selectorILNS1_17partition_subalgoE4EjNS0_10empty_typeEbEEZZNS1_14partition_implILS8_4ELb0ES6_15HIP_vector_typeIjLj2EENS0_17counting_iteratorIjlEEPS9_SG_NS0_5tupleIJPjSI_NS0_16reverse_iteratorISI_EEEEENSH_IJSG_SG_SG_EEES9_SI_JZNS1_25segmented_radix_sort_implINS0_14default_configELb0EPKdPdPKlPlN2at6native12_GLOBAL__N_18offset_tEEE10hipError_tPvRmT1_PNSt15iterator_traitsIS12_E10value_typeET2_T3_PNS13_IS18_E10value_typeET4_jRbjT5_S1E_jjP12ihipStream_tbEUljE_ZNSN_ISO_Lb0ESQ_SR_ST_SU_SY_EESZ_S10_S11_S12_S16_S17_S18_S1B_S1C_jS1D_jS1E_S1E_jjS1G_bEUljE0_EEESZ_S10_S11_S18_S1C_S1E_T6_T7_T9_mT8_S1G_bDpT10_ENKUlT_T0_E_clISt17integral_constantIbLb1EES1U_EEDaS1P_S1Q_EUlS1P_E_NS1_11comp_targetILNS1_3genE8ELNS1_11target_archE1030ELNS1_3gpuE2ELNS1_3repE0EEENS1_30default_config_static_selectorELNS0_4arch9wavefront6targetE0EEEvS12_, .Lfunc_end1166-_ZN7rocprim17ROCPRIM_400000_NS6detail17trampoline_kernelINS0_13select_configILj256ELj13ELNS0_17block_load_methodE3ELS4_3ELS4_3ELNS0_20block_scan_algorithmE0ELj4294967295EEENS1_25partition_config_selectorILNS1_17partition_subalgoE4EjNS0_10empty_typeEbEEZZNS1_14partition_implILS8_4ELb0ES6_15HIP_vector_typeIjLj2EENS0_17counting_iteratorIjlEEPS9_SG_NS0_5tupleIJPjSI_NS0_16reverse_iteratorISI_EEEEENSH_IJSG_SG_SG_EEES9_SI_JZNS1_25segmented_radix_sort_implINS0_14default_configELb0EPKdPdPKlPlN2at6native12_GLOBAL__N_18offset_tEEE10hipError_tPvRmT1_PNSt15iterator_traitsIS12_E10value_typeET2_T3_PNS13_IS18_E10value_typeET4_jRbjT5_S1E_jjP12ihipStream_tbEUljE_ZNSN_ISO_Lb0ESQ_SR_ST_SU_SY_EESZ_S10_S11_S12_S16_S17_S18_S1B_S1C_jS1D_jS1E_S1E_jjS1G_bEUljE0_EEESZ_S10_S11_S18_S1C_S1E_T6_T7_T9_mT8_S1G_bDpT10_ENKUlT_T0_E_clISt17integral_constantIbLb1EES1U_EEDaS1P_S1Q_EUlS1P_E_NS1_11comp_targetILNS1_3genE8ELNS1_11target_archE1030ELNS1_3gpuE2ELNS1_3repE0EEENS1_30default_config_static_selectorELNS0_4arch9wavefront6targetE0EEEvS12_
                                        ; -- End function
	.set _ZN7rocprim17ROCPRIM_400000_NS6detail17trampoline_kernelINS0_13select_configILj256ELj13ELNS0_17block_load_methodE3ELS4_3ELS4_3ELNS0_20block_scan_algorithmE0ELj4294967295EEENS1_25partition_config_selectorILNS1_17partition_subalgoE4EjNS0_10empty_typeEbEEZZNS1_14partition_implILS8_4ELb0ES6_15HIP_vector_typeIjLj2EENS0_17counting_iteratorIjlEEPS9_SG_NS0_5tupleIJPjSI_NS0_16reverse_iteratorISI_EEEEENSH_IJSG_SG_SG_EEES9_SI_JZNS1_25segmented_radix_sort_implINS0_14default_configELb0EPKdPdPKlPlN2at6native12_GLOBAL__N_18offset_tEEE10hipError_tPvRmT1_PNSt15iterator_traitsIS12_E10value_typeET2_T3_PNS13_IS18_E10value_typeET4_jRbjT5_S1E_jjP12ihipStream_tbEUljE_ZNSN_ISO_Lb0ESQ_SR_ST_SU_SY_EESZ_S10_S11_S12_S16_S17_S18_S1B_S1C_jS1D_jS1E_S1E_jjS1G_bEUljE0_EEESZ_S10_S11_S18_S1C_S1E_T6_T7_T9_mT8_S1G_bDpT10_ENKUlT_T0_E_clISt17integral_constantIbLb1EES1U_EEDaS1P_S1Q_EUlS1P_E_NS1_11comp_targetILNS1_3genE8ELNS1_11target_archE1030ELNS1_3gpuE2ELNS1_3repE0EEENS1_30default_config_static_selectorELNS0_4arch9wavefront6targetE0EEEvS12_.num_vgpr, 0
	.set _ZN7rocprim17ROCPRIM_400000_NS6detail17trampoline_kernelINS0_13select_configILj256ELj13ELNS0_17block_load_methodE3ELS4_3ELS4_3ELNS0_20block_scan_algorithmE0ELj4294967295EEENS1_25partition_config_selectorILNS1_17partition_subalgoE4EjNS0_10empty_typeEbEEZZNS1_14partition_implILS8_4ELb0ES6_15HIP_vector_typeIjLj2EENS0_17counting_iteratorIjlEEPS9_SG_NS0_5tupleIJPjSI_NS0_16reverse_iteratorISI_EEEEENSH_IJSG_SG_SG_EEES9_SI_JZNS1_25segmented_radix_sort_implINS0_14default_configELb0EPKdPdPKlPlN2at6native12_GLOBAL__N_18offset_tEEE10hipError_tPvRmT1_PNSt15iterator_traitsIS12_E10value_typeET2_T3_PNS13_IS18_E10value_typeET4_jRbjT5_S1E_jjP12ihipStream_tbEUljE_ZNSN_ISO_Lb0ESQ_SR_ST_SU_SY_EESZ_S10_S11_S12_S16_S17_S18_S1B_S1C_jS1D_jS1E_S1E_jjS1G_bEUljE0_EEESZ_S10_S11_S18_S1C_S1E_T6_T7_T9_mT8_S1G_bDpT10_ENKUlT_T0_E_clISt17integral_constantIbLb1EES1U_EEDaS1P_S1Q_EUlS1P_E_NS1_11comp_targetILNS1_3genE8ELNS1_11target_archE1030ELNS1_3gpuE2ELNS1_3repE0EEENS1_30default_config_static_selectorELNS0_4arch9wavefront6targetE0EEEvS12_.num_agpr, 0
	.set _ZN7rocprim17ROCPRIM_400000_NS6detail17trampoline_kernelINS0_13select_configILj256ELj13ELNS0_17block_load_methodE3ELS4_3ELS4_3ELNS0_20block_scan_algorithmE0ELj4294967295EEENS1_25partition_config_selectorILNS1_17partition_subalgoE4EjNS0_10empty_typeEbEEZZNS1_14partition_implILS8_4ELb0ES6_15HIP_vector_typeIjLj2EENS0_17counting_iteratorIjlEEPS9_SG_NS0_5tupleIJPjSI_NS0_16reverse_iteratorISI_EEEEENSH_IJSG_SG_SG_EEES9_SI_JZNS1_25segmented_radix_sort_implINS0_14default_configELb0EPKdPdPKlPlN2at6native12_GLOBAL__N_18offset_tEEE10hipError_tPvRmT1_PNSt15iterator_traitsIS12_E10value_typeET2_T3_PNS13_IS18_E10value_typeET4_jRbjT5_S1E_jjP12ihipStream_tbEUljE_ZNSN_ISO_Lb0ESQ_SR_ST_SU_SY_EESZ_S10_S11_S12_S16_S17_S18_S1B_S1C_jS1D_jS1E_S1E_jjS1G_bEUljE0_EEESZ_S10_S11_S18_S1C_S1E_T6_T7_T9_mT8_S1G_bDpT10_ENKUlT_T0_E_clISt17integral_constantIbLb1EES1U_EEDaS1P_S1Q_EUlS1P_E_NS1_11comp_targetILNS1_3genE8ELNS1_11target_archE1030ELNS1_3gpuE2ELNS1_3repE0EEENS1_30default_config_static_selectorELNS0_4arch9wavefront6targetE0EEEvS12_.numbered_sgpr, 0
	.set _ZN7rocprim17ROCPRIM_400000_NS6detail17trampoline_kernelINS0_13select_configILj256ELj13ELNS0_17block_load_methodE3ELS4_3ELS4_3ELNS0_20block_scan_algorithmE0ELj4294967295EEENS1_25partition_config_selectorILNS1_17partition_subalgoE4EjNS0_10empty_typeEbEEZZNS1_14partition_implILS8_4ELb0ES6_15HIP_vector_typeIjLj2EENS0_17counting_iteratorIjlEEPS9_SG_NS0_5tupleIJPjSI_NS0_16reverse_iteratorISI_EEEEENSH_IJSG_SG_SG_EEES9_SI_JZNS1_25segmented_radix_sort_implINS0_14default_configELb0EPKdPdPKlPlN2at6native12_GLOBAL__N_18offset_tEEE10hipError_tPvRmT1_PNSt15iterator_traitsIS12_E10value_typeET2_T3_PNS13_IS18_E10value_typeET4_jRbjT5_S1E_jjP12ihipStream_tbEUljE_ZNSN_ISO_Lb0ESQ_SR_ST_SU_SY_EESZ_S10_S11_S12_S16_S17_S18_S1B_S1C_jS1D_jS1E_S1E_jjS1G_bEUljE0_EEESZ_S10_S11_S18_S1C_S1E_T6_T7_T9_mT8_S1G_bDpT10_ENKUlT_T0_E_clISt17integral_constantIbLb1EES1U_EEDaS1P_S1Q_EUlS1P_E_NS1_11comp_targetILNS1_3genE8ELNS1_11target_archE1030ELNS1_3gpuE2ELNS1_3repE0EEENS1_30default_config_static_selectorELNS0_4arch9wavefront6targetE0EEEvS12_.num_named_barrier, 0
	.set _ZN7rocprim17ROCPRIM_400000_NS6detail17trampoline_kernelINS0_13select_configILj256ELj13ELNS0_17block_load_methodE3ELS4_3ELS4_3ELNS0_20block_scan_algorithmE0ELj4294967295EEENS1_25partition_config_selectorILNS1_17partition_subalgoE4EjNS0_10empty_typeEbEEZZNS1_14partition_implILS8_4ELb0ES6_15HIP_vector_typeIjLj2EENS0_17counting_iteratorIjlEEPS9_SG_NS0_5tupleIJPjSI_NS0_16reverse_iteratorISI_EEEEENSH_IJSG_SG_SG_EEES9_SI_JZNS1_25segmented_radix_sort_implINS0_14default_configELb0EPKdPdPKlPlN2at6native12_GLOBAL__N_18offset_tEEE10hipError_tPvRmT1_PNSt15iterator_traitsIS12_E10value_typeET2_T3_PNS13_IS18_E10value_typeET4_jRbjT5_S1E_jjP12ihipStream_tbEUljE_ZNSN_ISO_Lb0ESQ_SR_ST_SU_SY_EESZ_S10_S11_S12_S16_S17_S18_S1B_S1C_jS1D_jS1E_S1E_jjS1G_bEUljE0_EEESZ_S10_S11_S18_S1C_S1E_T6_T7_T9_mT8_S1G_bDpT10_ENKUlT_T0_E_clISt17integral_constantIbLb1EES1U_EEDaS1P_S1Q_EUlS1P_E_NS1_11comp_targetILNS1_3genE8ELNS1_11target_archE1030ELNS1_3gpuE2ELNS1_3repE0EEENS1_30default_config_static_selectorELNS0_4arch9wavefront6targetE0EEEvS12_.private_seg_size, 0
	.set _ZN7rocprim17ROCPRIM_400000_NS6detail17trampoline_kernelINS0_13select_configILj256ELj13ELNS0_17block_load_methodE3ELS4_3ELS4_3ELNS0_20block_scan_algorithmE0ELj4294967295EEENS1_25partition_config_selectorILNS1_17partition_subalgoE4EjNS0_10empty_typeEbEEZZNS1_14partition_implILS8_4ELb0ES6_15HIP_vector_typeIjLj2EENS0_17counting_iteratorIjlEEPS9_SG_NS0_5tupleIJPjSI_NS0_16reverse_iteratorISI_EEEEENSH_IJSG_SG_SG_EEES9_SI_JZNS1_25segmented_radix_sort_implINS0_14default_configELb0EPKdPdPKlPlN2at6native12_GLOBAL__N_18offset_tEEE10hipError_tPvRmT1_PNSt15iterator_traitsIS12_E10value_typeET2_T3_PNS13_IS18_E10value_typeET4_jRbjT5_S1E_jjP12ihipStream_tbEUljE_ZNSN_ISO_Lb0ESQ_SR_ST_SU_SY_EESZ_S10_S11_S12_S16_S17_S18_S1B_S1C_jS1D_jS1E_S1E_jjS1G_bEUljE0_EEESZ_S10_S11_S18_S1C_S1E_T6_T7_T9_mT8_S1G_bDpT10_ENKUlT_T0_E_clISt17integral_constantIbLb1EES1U_EEDaS1P_S1Q_EUlS1P_E_NS1_11comp_targetILNS1_3genE8ELNS1_11target_archE1030ELNS1_3gpuE2ELNS1_3repE0EEENS1_30default_config_static_selectorELNS0_4arch9wavefront6targetE0EEEvS12_.uses_vcc, 0
	.set _ZN7rocprim17ROCPRIM_400000_NS6detail17trampoline_kernelINS0_13select_configILj256ELj13ELNS0_17block_load_methodE3ELS4_3ELS4_3ELNS0_20block_scan_algorithmE0ELj4294967295EEENS1_25partition_config_selectorILNS1_17partition_subalgoE4EjNS0_10empty_typeEbEEZZNS1_14partition_implILS8_4ELb0ES6_15HIP_vector_typeIjLj2EENS0_17counting_iteratorIjlEEPS9_SG_NS0_5tupleIJPjSI_NS0_16reverse_iteratorISI_EEEEENSH_IJSG_SG_SG_EEES9_SI_JZNS1_25segmented_radix_sort_implINS0_14default_configELb0EPKdPdPKlPlN2at6native12_GLOBAL__N_18offset_tEEE10hipError_tPvRmT1_PNSt15iterator_traitsIS12_E10value_typeET2_T3_PNS13_IS18_E10value_typeET4_jRbjT5_S1E_jjP12ihipStream_tbEUljE_ZNSN_ISO_Lb0ESQ_SR_ST_SU_SY_EESZ_S10_S11_S12_S16_S17_S18_S1B_S1C_jS1D_jS1E_S1E_jjS1G_bEUljE0_EEESZ_S10_S11_S18_S1C_S1E_T6_T7_T9_mT8_S1G_bDpT10_ENKUlT_T0_E_clISt17integral_constantIbLb1EES1U_EEDaS1P_S1Q_EUlS1P_E_NS1_11comp_targetILNS1_3genE8ELNS1_11target_archE1030ELNS1_3gpuE2ELNS1_3repE0EEENS1_30default_config_static_selectorELNS0_4arch9wavefront6targetE0EEEvS12_.uses_flat_scratch, 0
	.set _ZN7rocprim17ROCPRIM_400000_NS6detail17trampoline_kernelINS0_13select_configILj256ELj13ELNS0_17block_load_methodE3ELS4_3ELS4_3ELNS0_20block_scan_algorithmE0ELj4294967295EEENS1_25partition_config_selectorILNS1_17partition_subalgoE4EjNS0_10empty_typeEbEEZZNS1_14partition_implILS8_4ELb0ES6_15HIP_vector_typeIjLj2EENS0_17counting_iteratorIjlEEPS9_SG_NS0_5tupleIJPjSI_NS0_16reverse_iteratorISI_EEEEENSH_IJSG_SG_SG_EEES9_SI_JZNS1_25segmented_radix_sort_implINS0_14default_configELb0EPKdPdPKlPlN2at6native12_GLOBAL__N_18offset_tEEE10hipError_tPvRmT1_PNSt15iterator_traitsIS12_E10value_typeET2_T3_PNS13_IS18_E10value_typeET4_jRbjT5_S1E_jjP12ihipStream_tbEUljE_ZNSN_ISO_Lb0ESQ_SR_ST_SU_SY_EESZ_S10_S11_S12_S16_S17_S18_S1B_S1C_jS1D_jS1E_S1E_jjS1G_bEUljE0_EEESZ_S10_S11_S18_S1C_S1E_T6_T7_T9_mT8_S1G_bDpT10_ENKUlT_T0_E_clISt17integral_constantIbLb1EES1U_EEDaS1P_S1Q_EUlS1P_E_NS1_11comp_targetILNS1_3genE8ELNS1_11target_archE1030ELNS1_3gpuE2ELNS1_3repE0EEENS1_30default_config_static_selectorELNS0_4arch9wavefront6targetE0EEEvS12_.has_dyn_sized_stack, 0
	.set _ZN7rocprim17ROCPRIM_400000_NS6detail17trampoline_kernelINS0_13select_configILj256ELj13ELNS0_17block_load_methodE3ELS4_3ELS4_3ELNS0_20block_scan_algorithmE0ELj4294967295EEENS1_25partition_config_selectorILNS1_17partition_subalgoE4EjNS0_10empty_typeEbEEZZNS1_14partition_implILS8_4ELb0ES6_15HIP_vector_typeIjLj2EENS0_17counting_iteratorIjlEEPS9_SG_NS0_5tupleIJPjSI_NS0_16reverse_iteratorISI_EEEEENSH_IJSG_SG_SG_EEES9_SI_JZNS1_25segmented_radix_sort_implINS0_14default_configELb0EPKdPdPKlPlN2at6native12_GLOBAL__N_18offset_tEEE10hipError_tPvRmT1_PNSt15iterator_traitsIS12_E10value_typeET2_T3_PNS13_IS18_E10value_typeET4_jRbjT5_S1E_jjP12ihipStream_tbEUljE_ZNSN_ISO_Lb0ESQ_SR_ST_SU_SY_EESZ_S10_S11_S12_S16_S17_S18_S1B_S1C_jS1D_jS1E_S1E_jjS1G_bEUljE0_EEESZ_S10_S11_S18_S1C_S1E_T6_T7_T9_mT8_S1G_bDpT10_ENKUlT_T0_E_clISt17integral_constantIbLb1EES1U_EEDaS1P_S1Q_EUlS1P_E_NS1_11comp_targetILNS1_3genE8ELNS1_11target_archE1030ELNS1_3gpuE2ELNS1_3repE0EEENS1_30default_config_static_selectorELNS0_4arch9wavefront6targetE0EEEvS12_.has_recursion, 0
	.set _ZN7rocprim17ROCPRIM_400000_NS6detail17trampoline_kernelINS0_13select_configILj256ELj13ELNS0_17block_load_methodE3ELS4_3ELS4_3ELNS0_20block_scan_algorithmE0ELj4294967295EEENS1_25partition_config_selectorILNS1_17partition_subalgoE4EjNS0_10empty_typeEbEEZZNS1_14partition_implILS8_4ELb0ES6_15HIP_vector_typeIjLj2EENS0_17counting_iteratorIjlEEPS9_SG_NS0_5tupleIJPjSI_NS0_16reverse_iteratorISI_EEEEENSH_IJSG_SG_SG_EEES9_SI_JZNS1_25segmented_radix_sort_implINS0_14default_configELb0EPKdPdPKlPlN2at6native12_GLOBAL__N_18offset_tEEE10hipError_tPvRmT1_PNSt15iterator_traitsIS12_E10value_typeET2_T3_PNS13_IS18_E10value_typeET4_jRbjT5_S1E_jjP12ihipStream_tbEUljE_ZNSN_ISO_Lb0ESQ_SR_ST_SU_SY_EESZ_S10_S11_S12_S16_S17_S18_S1B_S1C_jS1D_jS1E_S1E_jjS1G_bEUljE0_EEESZ_S10_S11_S18_S1C_S1E_T6_T7_T9_mT8_S1G_bDpT10_ENKUlT_T0_E_clISt17integral_constantIbLb1EES1U_EEDaS1P_S1Q_EUlS1P_E_NS1_11comp_targetILNS1_3genE8ELNS1_11target_archE1030ELNS1_3gpuE2ELNS1_3repE0EEENS1_30default_config_static_selectorELNS0_4arch9wavefront6targetE0EEEvS12_.has_indirect_call, 0
	.section	.AMDGPU.csdata,"",@progbits
; Kernel info:
; codeLenInByte = 0
; TotalNumSgprs: 0
; NumVgprs: 0
; ScratchSize: 0
; MemoryBound: 0
; FloatMode: 240
; IeeeMode: 1
; LDSByteSize: 0 bytes/workgroup (compile time only)
; SGPRBlocks: 0
; VGPRBlocks: 0
; NumSGPRsForWavesPerEU: 1
; NumVGPRsForWavesPerEU: 1
; NamedBarCnt: 0
; Occupancy: 16
; WaveLimiterHint : 0
; COMPUTE_PGM_RSRC2:SCRATCH_EN: 0
; COMPUTE_PGM_RSRC2:USER_SGPR: 2
; COMPUTE_PGM_RSRC2:TRAP_HANDLER: 0
; COMPUTE_PGM_RSRC2:TGID_X_EN: 1
; COMPUTE_PGM_RSRC2:TGID_Y_EN: 0
; COMPUTE_PGM_RSRC2:TGID_Z_EN: 0
; COMPUTE_PGM_RSRC2:TIDIG_COMP_CNT: 0
	.section	.text._ZN7rocprim17ROCPRIM_400000_NS6detail17trampoline_kernelINS0_13select_configILj256ELj13ELNS0_17block_load_methodE3ELS4_3ELS4_3ELNS0_20block_scan_algorithmE0ELj4294967295EEENS1_25partition_config_selectorILNS1_17partition_subalgoE4EjNS0_10empty_typeEbEEZZNS1_14partition_implILS8_4ELb0ES6_15HIP_vector_typeIjLj2EENS0_17counting_iteratorIjlEEPS9_SG_NS0_5tupleIJPjSI_NS0_16reverse_iteratorISI_EEEEENSH_IJSG_SG_SG_EEES9_SI_JZNS1_25segmented_radix_sort_implINS0_14default_configELb0EPKdPdPKlPlN2at6native12_GLOBAL__N_18offset_tEEE10hipError_tPvRmT1_PNSt15iterator_traitsIS12_E10value_typeET2_T3_PNS13_IS18_E10value_typeET4_jRbjT5_S1E_jjP12ihipStream_tbEUljE_ZNSN_ISO_Lb0ESQ_SR_ST_SU_SY_EESZ_S10_S11_S12_S16_S17_S18_S1B_S1C_jS1D_jS1E_S1E_jjS1G_bEUljE0_EEESZ_S10_S11_S18_S1C_S1E_T6_T7_T9_mT8_S1G_bDpT10_ENKUlT_T0_E_clISt17integral_constantIbLb1EES1T_IbLb0EEEEDaS1P_S1Q_EUlS1P_E_NS1_11comp_targetILNS1_3genE0ELNS1_11target_archE4294967295ELNS1_3gpuE0ELNS1_3repE0EEENS1_30default_config_static_selectorELNS0_4arch9wavefront6targetE0EEEvS12_,"axG",@progbits,_ZN7rocprim17ROCPRIM_400000_NS6detail17trampoline_kernelINS0_13select_configILj256ELj13ELNS0_17block_load_methodE3ELS4_3ELS4_3ELNS0_20block_scan_algorithmE0ELj4294967295EEENS1_25partition_config_selectorILNS1_17partition_subalgoE4EjNS0_10empty_typeEbEEZZNS1_14partition_implILS8_4ELb0ES6_15HIP_vector_typeIjLj2EENS0_17counting_iteratorIjlEEPS9_SG_NS0_5tupleIJPjSI_NS0_16reverse_iteratorISI_EEEEENSH_IJSG_SG_SG_EEES9_SI_JZNS1_25segmented_radix_sort_implINS0_14default_configELb0EPKdPdPKlPlN2at6native12_GLOBAL__N_18offset_tEEE10hipError_tPvRmT1_PNSt15iterator_traitsIS12_E10value_typeET2_T3_PNS13_IS18_E10value_typeET4_jRbjT5_S1E_jjP12ihipStream_tbEUljE_ZNSN_ISO_Lb0ESQ_SR_ST_SU_SY_EESZ_S10_S11_S12_S16_S17_S18_S1B_S1C_jS1D_jS1E_S1E_jjS1G_bEUljE0_EEESZ_S10_S11_S18_S1C_S1E_T6_T7_T9_mT8_S1G_bDpT10_ENKUlT_T0_E_clISt17integral_constantIbLb1EES1T_IbLb0EEEEDaS1P_S1Q_EUlS1P_E_NS1_11comp_targetILNS1_3genE0ELNS1_11target_archE4294967295ELNS1_3gpuE0ELNS1_3repE0EEENS1_30default_config_static_selectorELNS0_4arch9wavefront6targetE0EEEvS12_,comdat
	.globl	_ZN7rocprim17ROCPRIM_400000_NS6detail17trampoline_kernelINS0_13select_configILj256ELj13ELNS0_17block_load_methodE3ELS4_3ELS4_3ELNS0_20block_scan_algorithmE0ELj4294967295EEENS1_25partition_config_selectorILNS1_17partition_subalgoE4EjNS0_10empty_typeEbEEZZNS1_14partition_implILS8_4ELb0ES6_15HIP_vector_typeIjLj2EENS0_17counting_iteratorIjlEEPS9_SG_NS0_5tupleIJPjSI_NS0_16reverse_iteratorISI_EEEEENSH_IJSG_SG_SG_EEES9_SI_JZNS1_25segmented_radix_sort_implINS0_14default_configELb0EPKdPdPKlPlN2at6native12_GLOBAL__N_18offset_tEEE10hipError_tPvRmT1_PNSt15iterator_traitsIS12_E10value_typeET2_T3_PNS13_IS18_E10value_typeET4_jRbjT5_S1E_jjP12ihipStream_tbEUljE_ZNSN_ISO_Lb0ESQ_SR_ST_SU_SY_EESZ_S10_S11_S12_S16_S17_S18_S1B_S1C_jS1D_jS1E_S1E_jjS1G_bEUljE0_EEESZ_S10_S11_S18_S1C_S1E_T6_T7_T9_mT8_S1G_bDpT10_ENKUlT_T0_E_clISt17integral_constantIbLb1EES1T_IbLb0EEEEDaS1P_S1Q_EUlS1P_E_NS1_11comp_targetILNS1_3genE0ELNS1_11target_archE4294967295ELNS1_3gpuE0ELNS1_3repE0EEENS1_30default_config_static_selectorELNS0_4arch9wavefront6targetE0EEEvS12_ ; -- Begin function _ZN7rocprim17ROCPRIM_400000_NS6detail17trampoline_kernelINS0_13select_configILj256ELj13ELNS0_17block_load_methodE3ELS4_3ELS4_3ELNS0_20block_scan_algorithmE0ELj4294967295EEENS1_25partition_config_selectorILNS1_17partition_subalgoE4EjNS0_10empty_typeEbEEZZNS1_14partition_implILS8_4ELb0ES6_15HIP_vector_typeIjLj2EENS0_17counting_iteratorIjlEEPS9_SG_NS0_5tupleIJPjSI_NS0_16reverse_iteratorISI_EEEEENSH_IJSG_SG_SG_EEES9_SI_JZNS1_25segmented_radix_sort_implINS0_14default_configELb0EPKdPdPKlPlN2at6native12_GLOBAL__N_18offset_tEEE10hipError_tPvRmT1_PNSt15iterator_traitsIS12_E10value_typeET2_T3_PNS13_IS18_E10value_typeET4_jRbjT5_S1E_jjP12ihipStream_tbEUljE_ZNSN_ISO_Lb0ESQ_SR_ST_SU_SY_EESZ_S10_S11_S12_S16_S17_S18_S1B_S1C_jS1D_jS1E_S1E_jjS1G_bEUljE0_EEESZ_S10_S11_S18_S1C_S1E_T6_T7_T9_mT8_S1G_bDpT10_ENKUlT_T0_E_clISt17integral_constantIbLb1EES1T_IbLb0EEEEDaS1P_S1Q_EUlS1P_E_NS1_11comp_targetILNS1_3genE0ELNS1_11target_archE4294967295ELNS1_3gpuE0ELNS1_3repE0EEENS1_30default_config_static_selectorELNS0_4arch9wavefront6targetE0EEEvS12_
	.p2align	8
	.type	_ZN7rocprim17ROCPRIM_400000_NS6detail17trampoline_kernelINS0_13select_configILj256ELj13ELNS0_17block_load_methodE3ELS4_3ELS4_3ELNS0_20block_scan_algorithmE0ELj4294967295EEENS1_25partition_config_selectorILNS1_17partition_subalgoE4EjNS0_10empty_typeEbEEZZNS1_14partition_implILS8_4ELb0ES6_15HIP_vector_typeIjLj2EENS0_17counting_iteratorIjlEEPS9_SG_NS0_5tupleIJPjSI_NS0_16reverse_iteratorISI_EEEEENSH_IJSG_SG_SG_EEES9_SI_JZNS1_25segmented_radix_sort_implINS0_14default_configELb0EPKdPdPKlPlN2at6native12_GLOBAL__N_18offset_tEEE10hipError_tPvRmT1_PNSt15iterator_traitsIS12_E10value_typeET2_T3_PNS13_IS18_E10value_typeET4_jRbjT5_S1E_jjP12ihipStream_tbEUljE_ZNSN_ISO_Lb0ESQ_SR_ST_SU_SY_EESZ_S10_S11_S12_S16_S17_S18_S1B_S1C_jS1D_jS1E_S1E_jjS1G_bEUljE0_EEESZ_S10_S11_S18_S1C_S1E_T6_T7_T9_mT8_S1G_bDpT10_ENKUlT_T0_E_clISt17integral_constantIbLb1EES1T_IbLb0EEEEDaS1P_S1Q_EUlS1P_E_NS1_11comp_targetILNS1_3genE0ELNS1_11target_archE4294967295ELNS1_3gpuE0ELNS1_3repE0EEENS1_30default_config_static_selectorELNS0_4arch9wavefront6targetE0EEEvS12_,@function
_ZN7rocprim17ROCPRIM_400000_NS6detail17trampoline_kernelINS0_13select_configILj256ELj13ELNS0_17block_load_methodE3ELS4_3ELS4_3ELNS0_20block_scan_algorithmE0ELj4294967295EEENS1_25partition_config_selectorILNS1_17partition_subalgoE4EjNS0_10empty_typeEbEEZZNS1_14partition_implILS8_4ELb0ES6_15HIP_vector_typeIjLj2EENS0_17counting_iteratorIjlEEPS9_SG_NS0_5tupleIJPjSI_NS0_16reverse_iteratorISI_EEEEENSH_IJSG_SG_SG_EEES9_SI_JZNS1_25segmented_radix_sort_implINS0_14default_configELb0EPKdPdPKlPlN2at6native12_GLOBAL__N_18offset_tEEE10hipError_tPvRmT1_PNSt15iterator_traitsIS12_E10value_typeET2_T3_PNS13_IS18_E10value_typeET4_jRbjT5_S1E_jjP12ihipStream_tbEUljE_ZNSN_ISO_Lb0ESQ_SR_ST_SU_SY_EESZ_S10_S11_S12_S16_S17_S18_S1B_S1C_jS1D_jS1E_S1E_jjS1G_bEUljE0_EEESZ_S10_S11_S18_S1C_S1E_T6_T7_T9_mT8_S1G_bDpT10_ENKUlT_T0_E_clISt17integral_constantIbLb1EES1T_IbLb0EEEEDaS1P_S1Q_EUlS1P_E_NS1_11comp_targetILNS1_3genE0ELNS1_11target_archE4294967295ELNS1_3gpuE0ELNS1_3repE0EEENS1_30default_config_static_selectorELNS0_4arch9wavefront6targetE0EEEvS12_: ; @_ZN7rocprim17ROCPRIM_400000_NS6detail17trampoline_kernelINS0_13select_configILj256ELj13ELNS0_17block_load_methodE3ELS4_3ELS4_3ELNS0_20block_scan_algorithmE0ELj4294967295EEENS1_25partition_config_selectorILNS1_17partition_subalgoE4EjNS0_10empty_typeEbEEZZNS1_14partition_implILS8_4ELb0ES6_15HIP_vector_typeIjLj2EENS0_17counting_iteratorIjlEEPS9_SG_NS0_5tupleIJPjSI_NS0_16reverse_iteratorISI_EEEEENSH_IJSG_SG_SG_EEES9_SI_JZNS1_25segmented_radix_sort_implINS0_14default_configELb0EPKdPdPKlPlN2at6native12_GLOBAL__N_18offset_tEEE10hipError_tPvRmT1_PNSt15iterator_traitsIS12_E10value_typeET2_T3_PNS13_IS18_E10value_typeET4_jRbjT5_S1E_jjP12ihipStream_tbEUljE_ZNSN_ISO_Lb0ESQ_SR_ST_SU_SY_EESZ_S10_S11_S12_S16_S17_S18_S1B_S1C_jS1D_jS1E_S1E_jjS1G_bEUljE0_EEESZ_S10_S11_S18_S1C_S1E_T6_T7_T9_mT8_S1G_bDpT10_ENKUlT_T0_E_clISt17integral_constantIbLb1EES1T_IbLb0EEEEDaS1P_S1Q_EUlS1P_E_NS1_11comp_targetILNS1_3genE0ELNS1_11target_archE4294967295ELNS1_3gpuE0ELNS1_3repE0EEENS1_30default_config_static_selectorELNS0_4arch9wavefront6targetE0EEEvS12_
; %bb.0:
	s_endpgm
	.section	.rodata,"a",@progbits
	.p2align	6, 0x0
	.amdhsa_kernel _ZN7rocprim17ROCPRIM_400000_NS6detail17trampoline_kernelINS0_13select_configILj256ELj13ELNS0_17block_load_methodE3ELS4_3ELS4_3ELNS0_20block_scan_algorithmE0ELj4294967295EEENS1_25partition_config_selectorILNS1_17partition_subalgoE4EjNS0_10empty_typeEbEEZZNS1_14partition_implILS8_4ELb0ES6_15HIP_vector_typeIjLj2EENS0_17counting_iteratorIjlEEPS9_SG_NS0_5tupleIJPjSI_NS0_16reverse_iteratorISI_EEEEENSH_IJSG_SG_SG_EEES9_SI_JZNS1_25segmented_radix_sort_implINS0_14default_configELb0EPKdPdPKlPlN2at6native12_GLOBAL__N_18offset_tEEE10hipError_tPvRmT1_PNSt15iterator_traitsIS12_E10value_typeET2_T3_PNS13_IS18_E10value_typeET4_jRbjT5_S1E_jjP12ihipStream_tbEUljE_ZNSN_ISO_Lb0ESQ_SR_ST_SU_SY_EESZ_S10_S11_S12_S16_S17_S18_S1B_S1C_jS1D_jS1E_S1E_jjS1G_bEUljE0_EEESZ_S10_S11_S18_S1C_S1E_T6_T7_T9_mT8_S1G_bDpT10_ENKUlT_T0_E_clISt17integral_constantIbLb1EES1T_IbLb0EEEEDaS1P_S1Q_EUlS1P_E_NS1_11comp_targetILNS1_3genE0ELNS1_11target_archE4294967295ELNS1_3gpuE0ELNS1_3repE0EEENS1_30default_config_static_selectorELNS0_4arch9wavefront6targetE0EEEvS12_
		.amdhsa_group_segment_fixed_size 0
		.amdhsa_private_segment_fixed_size 0
		.amdhsa_kernarg_size 176
		.amdhsa_user_sgpr_count 2
		.amdhsa_user_sgpr_dispatch_ptr 0
		.amdhsa_user_sgpr_queue_ptr 0
		.amdhsa_user_sgpr_kernarg_segment_ptr 1
		.amdhsa_user_sgpr_dispatch_id 0
		.amdhsa_user_sgpr_kernarg_preload_length 0
		.amdhsa_user_sgpr_kernarg_preload_offset 0
		.amdhsa_user_sgpr_private_segment_size 0
		.amdhsa_wavefront_size32 1
		.amdhsa_uses_dynamic_stack 0
		.amdhsa_enable_private_segment 0
		.amdhsa_system_sgpr_workgroup_id_x 1
		.amdhsa_system_sgpr_workgroup_id_y 0
		.amdhsa_system_sgpr_workgroup_id_z 0
		.amdhsa_system_sgpr_workgroup_info 0
		.amdhsa_system_vgpr_workitem_id 0
		.amdhsa_next_free_vgpr 1
		.amdhsa_next_free_sgpr 1
		.amdhsa_named_barrier_count 0
		.amdhsa_reserve_vcc 0
		.amdhsa_float_round_mode_32 0
		.amdhsa_float_round_mode_16_64 0
		.amdhsa_float_denorm_mode_32 3
		.amdhsa_float_denorm_mode_16_64 3
		.amdhsa_fp16_overflow 0
		.amdhsa_memory_ordered 1
		.amdhsa_forward_progress 1
		.amdhsa_inst_pref_size 1
		.amdhsa_round_robin_scheduling 0
		.amdhsa_exception_fp_ieee_invalid_op 0
		.amdhsa_exception_fp_denorm_src 0
		.amdhsa_exception_fp_ieee_div_zero 0
		.amdhsa_exception_fp_ieee_overflow 0
		.amdhsa_exception_fp_ieee_underflow 0
		.amdhsa_exception_fp_ieee_inexact 0
		.amdhsa_exception_int_div_zero 0
	.end_amdhsa_kernel
	.section	.text._ZN7rocprim17ROCPRIM_400000_NS6detail17trampoline_kernelINS0_13select_configILj256ELj13ELNS0_17block_load_methodE3ELS4_3ELS4_3ELNS0_20block_scan_algorithmE0ELj4294967295EEENS1_25partition_config_selectorILNS1_17partition_subalgoE4EjNS0_10empty_typeEbEEZZNS1_14partition_implILS8_4ELb0ES6_15HIP_vector_typeIjLj2EENS0_17counting_iteratorIjlEEPS9_SG_NS0_5tupleIJPjSI_NS0_16reverse_iteratorISI_EEEEENSH_IJSG_SG_SG_EEES9_SI_JZNS1_25segmented_radix_sort_implINS0_14default_configELb0EPKdPdPKlPlN2at6native12_GLOBAL__N_18offset_tEEE10hipError_tPvRmT1_PNSt15iterator_traitsIS12_E10value_typeET2_T3_PNS13_IS18_E10value_typeET4_jRbjT5_S1E_jjP12ihipStream_tbEUljE_ZNSN_ISO_Lb0ESQ_SR_ST_SU_SY_EESZ_S10_S11_S12_S16_S17_S18_S1B_S1C_jS1D_jS1E_S1E_jjS1G_bEUljE0_EEESZ_S10_S11_S18_S1C_S1E_T6_T7_T9_mT8_S1G_bDpT10_ENKUlT_T0_E_clISt17integral_constantIbLb1EES1T_IbLb0EEEEDaS1P_S1Q_EUlS1P_E_NS1_11comp_targetILNS1_3genE0ELNS1_11target_archE4294967295ELNS1_3gpuE0ELNS1_3repE0EEENS1_30default_config_static_selectorELNS0_4arch9wavefront6targetE0EEEvS12_,"axG",@progbits,_ZN7rocprim17ROCPRIM_400000_NS6detail17trampoline_kernelINS0_13select_configILj256ELj13ELNS0_17block_load_methodE3ELS4_3ELS4_3ELNS0_20block_scan_algorithmE0ELj4294967295EEENS1_25partition_config_selectorILNS1_17partition_subalgoE4EjNS0_10empty_typeEbEEZZNS1_14partition_implILS8_4ELb0ES6_15HIP_vector_typeIjLj2EENS0_17counting_iteratorIjlEEPS9_SG_NS0_5tupleIJPjSI_NS0_16reverse_iteratorISI_EEEEENSH_IJSG_SG_SG_EEES9_SI_JZNS1_25segmented_radix_sort_implINS0_14default_configELb0EPKdPdPKlPlN2at6native12_GLOBAL__N_18offset_tEEE10hipError_tPvRmT1_PNSt15iterator_traitsIS12_E10value_typeET2_T3_PNS13_IS18_E10value_typeET4_jRbjT5_S1E_jjP12ihipStream_tbEUljE_ZNSN_ISO_Lb0ESQ_SR_ST_SU_SY_EESZ_S10_S11_S12_S16_S17_S18_S1B_S1C_jS1D_jS1E_S1E_jjS1G_bEUljE0_EEESZ_S10_S11_S18_S1C_S1E_T6_T7_T9_mT8_S1G_bDpT10_ENKUlT_T0_E_clISt17integral_constantIbLb1EES1T_IbLb0EEEEDaS1P_S1Q_EUlS1P_E_NS1_11comp_targetILNS1_3genE0ELNS1_11target_archE4294967295ELNS1_3gpuE0ELNS1_3repE0EEENS1_30default_config_static_selectorELNS0_4arch9wavefront6targetE0EEEvS12_,comdat
.Lfunc_end1167:
	.size	_ZN7rocprim17ROCPRIM_400000_NS6detail17trampoline_kernelINS0_13select_configILj256ELj13ELNS0_17block_load_methodE3ELS4_3ELS4_3ELNS0_20block_scan_algorithmE0ELj4294967295EEENS1_25partition_config_selectorILNS1_17partition_subalgoE4EjNS0_10empty_typeEbEEZZNS1_14partition_implILS8_4ELb0ES6_15HIP_vector_typeIjLj2EENS0_17counting_iteratorIjlEEPS9_SG_NS0_5tupleIJPjSI_NS0_16reverse_iteratorISI_EEEEENSH_IJSG_SG_SG_EEES9_SI_JZNS1_25segmented_radix_sort_implINS0_14default_configELb0EPKdPdPKlPlN2at6native12_GLOBAL__N_18offset_tEEE10hipError_tPvRmT1_PNSt15iterator_traitsIS12_E10value_typeET2_T3_PNS13_IS18_E10value_typeET4_jRbjT5_S1E_jjP12ihipStream_tbEUljE_ZNSN_ISO_Lb0ESQ_SR_ST_SU_SY_EESZ_S10_S11_S12_S16_S17_S18_S1B_S1C_jS1D_jS1E_S1E_jjS1G_bEUljE0_EEESZ_S10_S11_S18_S1C_S1E_T6_T7_T9_mT8_S1G_bDpT10_ENKUlT_T0_E_clISt17integral_constantIbLb1EES1T_IbLb0EEEEDaS1P_S1Q_EUlS1P_E_NS1_11comp_targetILNS1_3genE0ELNS1_11target_archE4294967295ELNS1_3gpuE0ELNS1_3repE0EEENS1_30default_config_static_selectorELNS0_4arch9wavefront6targetE0EEEvS12_, .Lfunc_end1167-_ZN7rocprim17ROCPRIM_400000_NS6detail17trampoline_kernelINS0_13select_configILj256ELj13ELNS0_17block_load_methodE3ELS4_3ELS4_3ELNS0_20block_scan_algorithmE0ELj4294967295EEENS1_25partition_config_selectorILNS1_17partition_subalgoE4EjNS0_10empty_typeEbEEZZNS1_14partition_implILS8_4ELb0ES6_15HIP_vector_typeIjLj2EENS0_17counting_iteratorIjlEEPS9_SG_NS0_5tupleIJPjSI_NS0_16reverse_iteratorISI_EEEEENSH_IJSG_SG_SG_EEES9_SI_JZNS1_25segmented_radix_sort_implINS0_14default_configELb0EPKdPdPKlPlN2at6native12_GLOBAL__N_18offset_tEEE10hipError_tPvRmT1_PNSt15iterator_traitsIS12_E10value_typeET2_T3_PNS13_IS18_E10value_typeET4_jRbjT5_S1E_jjP12ihipStream_tbEUljE_ZNSN_ISO_Lb0ESQ_SR_ST_SU_SY_EESZ_S10_S11_S12_S16_S17_S18_S1B_S1C_jS1D_jS1E_S1E_jjS1G_bEUljE0_EEESZ_S10_S11_S18_S1C_S1E_T6_T7_T9_mT8_S1G_bDpT10_ENKUlT_T0_E_clISt17integral_constantIbLb1EES1T_IbLb0EEEEDaS1P_S1Q_EUlS1P_E_NS1_11comp_targetILNS1_3genE0ELNS1_11target_archE4294967295ELNS1_3gpuE0ELNS1_3repE0EEENS1_30default_config_static_selectorELNS0_4arch9wavefront6targetE0EEEvS12_
                                        ; -- End function
	.set _ZN7rocprim17ROCPRIM_400000_NS6detail17trampoline_kernelINS0_13select_configILj256ELj13ELNS0_17block_load_methodE3ELS4_3ELS4_3ELNS0_20block_scan_algorithmE0ELj4294967295EEENS1_25partition_config_selectorILNS1_17partition_subalgoE4EjNS0_10empty_typeEbEEZZNS1_14partition_implILS8_4ELb0ES6_15HIP_vector_typeIjLj2EENS0_17counting_iteratorIjlEEPS9_SG_NS0_5tupleIJPjSI_NS0_16reverse_iteratorISI_EEEEENSH_IJSG_SG_SG_EEES9_SI_JZNS1_25segmented_radix_sort_implINS0_14default_configELb0EPKdPdPKlPlN2at6native12_GLOBAL__N_18offset_tEEE10hipError_tPvRmT1_PNSt15iterator_traitsIS12_E10value_typeET2_T3_PNS13_IS18_E10value_typeET4_jRbjT5_S1E_jjP12ihipStream_tbEUljE_ZNSN_ISO_Lb0ESQ_SR_ST_SU_SY_EESZ_S10_S11_S12_S16_S17_S18_S1B_S1C_jS1D_jS1E_S1E_jjS1G_bEUljE0_EEESZ_S10_S11_S18_S1C_S1E_T6_T7_T9_mT8_S1G_bDpT10_ENKUlT_T0_E_clISt17integral_constantIbLb1EES1T_IbLb0EEEEDaS1P_S1Q_EUlS1P_E_NS1_11comp_targetILNS1_3genE0ELNS1_11target_archE4294967295ELNS1_3gpuE0ELNS1_3repE0EEENS1_30default_config_static_selectorELNS0_4arch9wavefront6targetE0EEEvS12_.num_vgpr, 0
	.set _ZN7rocprim17ROCPRIM_400000_NS6detail17trampoline_kernelINS0_13select_configILj256ELj13ELNS0_17block_load_methodE3ELS4_3ELS4_3ELNS0_20block_scan_algorithmE0ELj4294967295EEENS1_25partition_config_selectorILNS1_17partition_subalgoE4EjNS0_10empty_typeEbEEZZNS1_14partition_implILS8_4ELb0ES6_15HIP_vector_typeIjLj2EENS0_17counting_iteratorIjlEEPS9_SG_NS0_5tupleIJPjSI_NS0_16reverse_iteratorISI_EEEEENSH_IJSG_SG_SG_EEES9_SI_JZNS1_25segmented_radix_sort_implINS0_14default_configELb0EPKdPdPKlPlN2at6native12_GLOBAL__N_18offset_tEEE10hipError_tPvRmT1_PNSt15iterator_traitsIS12_E10value_typeET2_T3_PNS13_IS18_E10value_typeET4_jRbjT5_S1E_jjP12ihipStream_tbEUljE_ZNSN_ISO_Lb0ESQ_SR_ST_SU_SY_EESZ_S10_S11_S12_S16_S17_S18_S1B_S1C_jS1D_jS1E_S1E_jjS1G_bEUljE0_EEESZ_S10_S11_S18_S1C_S1E_T6_T7_T9_mT8_S1G_bDpT10_ENKUlT_T0_E_clISt17integral_constantIbLb1EES1T_IbLb0EEEEDaS1P_S1Q_EUlS1P_E_NS1_11comp_targetILNS1_3genE0ELNS1_11target_archE4294967295ELNS1_3gpuE0ELNS1_3repE0EEENS1_30default_config_static_selectorELNS0_4arch9wavefront6targetE0EEEvS12_.num_agpr, 0
	.set _ZN7rocprim17ROCPRIM_400000_NS6detail17trampoline_kernelINS0_13select_configILj256ELj13ELNS0_17block_load_methodE3ELS4_3ELS4_3ELNS0_20block_scan_algorithmE0ELj4294967295EEENS1_25partition_config_selectorILNS1_17partition_subalgoE4EjNS0_10empty_typeEbEEZZNS1_14partition_implILS8_4ELb0ES6_15HIP_vector_typeIjLj2EENS0_17counting_iteratorIjlEEPS9_SG_NS0_5tupleIJPjSI_NS0_16reverse_iteratorISI_EEEEENSH_IJSG_SG_SG_EEES9_SI_JZNS1_25segmented_radix_sort_implINS0_14default_configELb0EPKdPdPKlPlN2at6native12_GLOBAL__N_18offset_tEEE10hipError_tPvRmT1_PNSt15iterator_traitsIS12_E10value_typeET2_T3_PNS13_IS18_E10value_typeET4_jRbjT5_S1E_jjP12ihipStream_tbEUljE_ZNSN_ISO_Lb0ESQ_SR_ST_SU_SY_EESZ_S10_S11_S12_S16_S17_S18_S1B_S1C_jS1D_jS1E_S1E_jjS1G_bEUljE0_EEESZ_S10_S11_S18_S1C_S1E_T6_T7_T9_mT8_S1G_bDpT10_ENKUlT_T0_E_clISt17integral_constantIbLb1EES1T_IbLb0EEEEDaS1P_S1Q_EUlS1P_E_NS1_11comp_targetILNS1_3genE0ELNS1_11target_archE4294967295ELNS1_3gpuE0ELNS1_3repE0EEENS1_30default_config_static_selectorELNS0_4arch9wavefront6targetE0EEEvS12_.numbered_sgpr, 0
	.set _ZN7rocprim17ROCPRIM_400000_NS6detail17trampoline_kernelINS0_13select_configILj256ELj13ELNS0_17block_load_methodE3ELS4_3ELS4_3ELNS0_20block_scan_algorithmE0ELj4294967295EEENS1_25partition_config_selectorILNS1_17partition_subalgoE4EjNS0_10empty_typeEbEEZZNS1_14partition_implILS8_4ELb0ES6_15HIP_vector_typeIjLj2EENS0_17counting_iteratorIjlEEPS9_SG_NS0_5tupleIJPjSI_NS0_16reverse_iteratorISI_EEEEENSH_IJSG_SG_SG_EEES9_SI_JZNS1_25segmented_radix_sort_implINS0_14default_configELb0EPKdPdPKlPlN2at6native12_GLOBAL__N_18offset_tEEE10hipError_tPvRmT1_PNSt15iterator_traitsIS12_E10value_typeET2_T3_PNS13_IS18_E10value_typeET4_jRbjT5_S1E_jjP12ihipStream_tbEUljE_ZNSN_ISO_Lb0ESQ_SR_ST_SU_SY_EESZ_S10_S11_S12_S16_S17_S18_S1B_S1C_jS1D_jS1E_S1E_jjS1G_bEUljE0_EEESZ_S10_S11_S18_S1C_S1E_T6_T7_T9_mT8_S1G_bDpT10_ENKUlT_T0_E_clISt17integral_constantIbLb1EES1T_IbLb0EEEEDaS1P_S1Q_EUlS1P_E_NS1_11comp_targetILNS1_3genE0ELNS1_11target_archE4294967295ELNS1_3gpuE0ELNS1_3repE0EEENS1_30default_config_static_selectorELNS0_4arch9wavefront6targetE0EEEvS12_.num_named_barrier, 0
	.set _ZN7rocprim17ROCPRIM_400000_NS6detail17trampoline_kernelINS0_13select_configILj256ELj13ELNS0_17block_load_methodE3ELS4_3ELS4_3ELNS0_20block_scan_algorithmE0ELj4294967295EEENS1_25partition_config_selectorILNS1_17partition_subalgoE4EjNS0_10empty_typeEbEEZZNS1_14partition_implILS8_4ELb0ES6_15HIP_vector_typeIjLj2EENS0_17counting_iteratorIjlEEPS9_SG_NS0_5tupleIJPjSI_NS0_16reverse_iteratorISI_EEEEENSH_IJSG_SG_SG_EEES9_SI_JZNS1_25segmented_radix_sort_implINS0_14default_configELb0EPKdPdPKlPlN2at6native12_GLOBAL__N_18offset_tEEE10hipError_tPvRmT1_PNSt15iterator_traitsIS12_E10value_typeET2_T3_PNS13_IS18_E10value_typeET4_jRbjT5_S1E_jjP12ihipStream_tbEUljE_ZNSN_ISO_Lb0ESQ_SR_ST_SU_SY_EESZ_S10_S11_S12_S16_S17_S18_S1B_S1C_jS1D_jS1E_S1E_jjS1G_bEUljE0_EEESZ_S10_S11_S18_S1C_S1E_T6_T7_T9_mT8_S1G_bDpT10_ENKUlT_T0_E_clISt17integral_constantIbLb1EES1T_IbLb0EEEEDaS1P_S1Q_EUlS1P_E_NS1_11comp_targetILNS1_3genE0ELNS1_11target_archE4294967295ELNS1_3gpuE0ELNS1_3repE0EEENS1_30default_config_static_selectorELNS0_4arch9wavefront6targetE0EEEvS12_.private_seg_size, 0
	.set _ZN7rocprim17ROCPRIM_400000_NS6detail17trampoline_kernelINS0_13select_configILj256ELj13ELNS0_17block_load_methodE3ELS4_3ELS4_3ELNS0_20block_scan_algorithmE0ELj4294967295EEENS1_25partition_config_selectorILNS1_17partition_subalgoE4EjNS0_10empty_typeEbEEZZNS1_14partition_implILS8_4ELb0ES6_15HIP_vector_typeIjLj2EENS0_17counting_iteratorIjlEEPS9_SG_NS0_5tupleIJPjSI_NS0_16reverse_iteratorISI_EEEEENSH_IJSG_SG_SG_EEES9_SI_JZNS1_25segmented_radix_sort_implINS0_14default_configELb0EPKdPdPKlPlN2at6native12_GLOBAL__N_18offset_tEEE10hipError_tPvRmT1_PNSt15iterator_traitsIS12_E10value_typeET2_T3_PNS13_IS18_E10value_typeET4_jRbjT5_S1E_jjP12ihipStream_tbEUljE_ZNSN_ISO_Lb0ESQ_SR_ST_SU_SY_EESZ_S10_S11_S12_S16_S17_S18_S1B_S1C_jS1D_jS1E_S1E_jjS1G_bEUljE0_EEESZ_S10_S11_S18_S1C_S1E_T6_T7_T9_mT8_S1G_bDpT10_ENKUlT_T0_E_clISt17integral_constantIbLb1EES1T_IbLb0EEEEDaS1P_S1Q_EUlS1P_E_NS1_11comp_targetILNS1_3genE0ELNS1_11target_archE4294967295ELNS1_3gpuE0ELNS1_3repE0EEENS1_30default_config_static_selectorELNS0_4arch9wavefront6targetE0EEEvS12_.uses_vcc, 0
	.set _ZN7rocprim17ROCPRIM_400000_NS6detail17trampoline_kernelINS0_13select_configILj256ELj13ELNS0_17block_load_methodE3ELS4_3ELS4_3ELNS0_20block_scan_algorithmE0ELj4294967295EEENS1_25partition_config_selectorILNS1_17partition_subalgoE4EjNS0_10empty_typeEbEEZZNS1_14partition_implILS8_4ELb0ES6_15HIP_vector_typeIjLj2EENS0_17counting_iteratorIjlEEPS9_SG_NS0_5tupleIJPjSI_NS0_16reverse_iteratorISI_EEEEENSH_IJSG_SG_SG_EEES9_SI_JZNS1_25segmented_radix_sort_implINS0_14default_configELb0EPKdPdPKlPlN2at6native12_GLOBAL__N_18offset_tEEE10hipError_tPvRmT1_PNSt15iterator_traitsIS12_E10value_typeET2_T3_PNS13_IS18_E10value_typeET4_jRbjT5_S1E_jjP12ihipStream_tbEUljE_ZNSN_ISO_Lb0ESQ_SR_ST_SU_SY_EESZ_S10_S11_S12_S16_S17_S18_S1B_S1C_jS1D_jS1E_S1E_jjS1G_bEUljE0_EEESZ_S10_S11_S18_S1C_S1E_T6_T7_T9_mT8_S1G_bDpT10_ENKUlT_T0_E_clISt17integral_constantIbLb1EES1T_IbLb0EEEEDaS1P_S1Q_EUlS1P_E_NS1_11comp_targetILNS1_3genE0ELNS1_11target_archE4294967295ELNS1_3gpuE0ELNS1_3repE0EEENS1_30default_config_static_selectorELNS0_4arch9wavefront6targetE0EEEvS12_.uses_flat_scratch, 0
	.set _ZN7rocprim17ROCPRIM_400000_NS6detail17trampoline_kernelINS0_13select_configILj256ELj13ELNS0_17block_load_methodE3ELS4_3ELS4_3ELNS0_20block_scan_algorithmE0ELj4294967295EEENS1_25partition_config_selectorILNS1_17partition_subalgoE4EjNS0_10empty_typeEbEEZZNS1_14partition_implILS8_4ELb0ES6_15HIP_vector_typeIjLj2EENS0_17counting_iteratorIjlEEPS9_SG_NS0_5tupleIJPjSI_NS0_16reverse_iteratorISI_EEEEENSH_IJSG_SG_SG_EEES9_SI_JZNS1_25segmented_radix_sort_implINS0_14default_configELb0EPKdPdPKlPlN2at6native12_GLOBAL__N_18offset_tEEE10hipError_tPvRmT1_PNSt15iterator_traitsIS12_E10value_typeET2_T3_PNS13_IS18_E10value_typeET4_jRbjT5_S1E_jjP12ihipStream_tbEUljE_ZNSN_ISO_Lb0ESQ_SR_ST_SU_SY_EESZ_S10_S11_S12_S16_S17_S18_S1B_S1C_jS1D_jS1E_S1E_jjS1G_bEUljE0_EEESZ_S10_S11_S18_S1C_S1E_T6_T7_T9_mT8_S1G_bDpT10_ENKUlT_T0_E_clISt17integral_constantIbLb1EES1T_IbLb0EEEEDaS1P_S1Q_EUlS1P_E_NS1_11comp_targetILNS1_3genE0ELNS1_11target_archE4294967295ELNS1_3gpuE0ELNS1_3repE0EEENS1_30default_config_static_selectorELNS0_4arch9wavefront6targetE0EEEvS12_.has_dyn_sized_stack, 0
	.set _ZN7rocprim17ROCPRIM_400000_NS6detail17trampoline_kernelINS0_13select_configILj256ELj13ELNS0_17block_load_methodE3ELS4_3ELS4_3ELNS0_20block_scan_algorithmE0ELj4294967295EEENS1_25partition_config_selectorILNS1_17partition_subalgoE4EjNS0_10empty_typeEbEEZZNS1_14partition_implILS8_4ELb0ES6_15HIP_vector_typeIjLj2EENS0_17counting_iteratorIjlEEPS9_SG_NS0_5tupleIJPjSI_NS0_16reverse_iteratorISI_EEEEENSH_IJSG_SG_SG_EEES9_SI_JZNS1_25segmented_radix_sort_implINS0_14default_configELb0EPKdPdPKlPlN2at6native12_GLOBAL__N_18offset_tEEE10hipError_tPvRmT1_PNSt15iterator_traitsIS12_E10value_typeET2_T3_PNS13_IS18_E10value_typeET4_jRbjT5_S1E_jjP12ihipStream_tbEUljE_ZNSN_ISO_Lb0ESQ_SR_ST_SU_SY_EESZ_S10_S11_S12_S16_S17_S18_S1B_S1C_jS1D_jS1E_S1E_jjS1G_bEUljE0_EEESZ_S10_S11_S18_S1C_S1E_T6_T7_T9_mT8_S1G_bDpT10_ENKUlT_T0_E_clISt17integral_constantIbLb1EES1T_IbLb0EEEEDaS1P_S1Q_EUlS1P_E_NS1_11comp_targetILNS1_3genE0ELNS1_11target_archE4294967295ELNS1_3gpuE0ELNS1_3repE0EEENS1_30default_config_static_selectorELNS0_4arch9wavefront6targetE0EEEvS12_.has_recursion, 0
	.set _ZN7rocprim17ROCPRIM_400000_NS6detail17trampoline_kernelINS0_13select_configILj256ELj13ELNS0_17block_load_methodE3ELS4_3ELS4_3ELNS0_20block_scan_algorithmE0ELj4294967295EEENS1_25partition_config_selectorILNS1_17partition_subalgoE4EjNS0_10empty_typeEbEEZZNS1_14partition_implILS8_4ELb0ES6_15HIP_vector_typeIjLj2EENS0_17counting_iteratorIjlEEPS9_SG_NS0_5tupleIJPjSI_NS0_16reverse_iteratorISI_EEEEENSH_IJSG_SG_SG_EEES9_SI_JZNS1_25segmented_radix_sort_implINS0_14default_configELb0EPKdPdPKlPlN2at6native12_GLOBAL__N_18offset_tEEE10hipError_tPvRmT1_PNSt15iterator_traitsIS12_E10value_typeET2_T3_PNS13_IS18_E10value_typeET4_jRbjT5_S1E_jjP12ihipStream_tbEUljE_ZNSN_ISO_Lb0ESQ_SR_ST_SU_SY_EESZ_S10_S11_S12_S16_S17_S18_S1B_S1C_jS1D_jS1E_S1E_jjS1G_bEUljE0_EEESZ_S10_S11_S18_S1C_S1E_T6_T7_T9_mT8_S1G_bDpT10_ENKUlT_T0_E_clISt17integral_constantIbLb1EES1T_IbLb0EEEEDaS1P_S1Q_EUlS1P_E_NS1_11comp_targetILNS1_3genE0ELNS1_11target_archE4294967295ELNS1_3gpuE0ELNS1_3repE0EEENS1_30default_config_static_selectorELNS0_4arch9wavefront6targetE0EEEvS12_.has_indirect_call, 0
	.section	.AMDGPU.csdata,"",@progbits
; Kernel info:
; codeLenInByte = 4
; TotalNumSgprs: 0
; NumVgprs: 0
; ScratchSize: 0
; MemoryBound: 0
; FloatMode: 240
; IeeeMode: 1
; LDSByteSize: 0 bytes/workgroup (compile time only)
; SGPRBlocks: 0
; VGPRBlocks: 0
; NumSGPRsForWavesPerEU: 1
; NumVGPRsForWavesPerEU: 1
; NamedBarCnt: 0
; Occupancy: 16
; WaveLimiterHint : 0
; COMPUTE_PGM_RSRC2:SCRATCH_EN: 0
; COMPUTE_PGM_RSRC2:USER_SGPR: 2
; COMPUTE_PGM_RSRC2:TRAP_HANDLER: 0
; COMPUTE_PGM_RSRC2:TGID_X_EN: 1
; COMPUTE_PGM_RSRC2:TGID_Y_EN: 0
; COMPUTE_PGM_RSRC2:TGID_Z_EN: 0
; COMPUTE_PGM_RSRC2:TIDIG_COMP_CNT: 0
	.section	.text._ZN7rocprim17ROCPRIM_400000_NS6detail17trampoline_kernelINS0_13select_configILj256ELj13ELNS0_17block_load_methodE3ELS4_3ELS4_3ELNS0_20block_scan_algorithmE0ELj4294967295EEENS1_25partition_config_selectorILNS1_17partition_subalgoE4EjNS0_10empty_typeEbEEZZNS1_14partition_implILS8_4ELb0ES6_15HIP_vector_typeIjLj2EENS0_17counting_iteratorIjlEEPS9_SG_NS0_5tupleIJPjSI_NS0_16reverse_iteratorISI_EEEEENSH_IJSG_SG_SG_EEES9_SI_JZNS1_25segmented_radix_sort_implINS0_14default_configELb0EPKdPdPKlPlN2at6native12_GLOBAL__N_18offset_tEEE10hipError_tPvRmT1_PNSt15iterator_traitsIS12_E10value_typeET2_T3_PNS13_IS18_E10value_typeET4_jRbjT5_S1E_jjP12ihipStream_tbEUljE_ZNSN_ISO_Lb0ESQ_SR_ST_SU_SY_EESZ_S10_S11_S12_S16_S17_S18_S1B_S1C_jS1D_jS1E_S1E_jjS1G_bEUljE0_EEESZ_S10_S11_S18_S1C_S1E_T6_T7_T9_mT8_S1G_bDpT10_ENKUlT_T0_E_clISt17integral_constantIbLb1EES1T_IbLb0EEEEDaS1P_S1Q_EUlS1P_E_NS1_11comp_targetILNS1_3genE5ELNS1_11target_archE942ELNS1_3gpuE9ELNS1_3repE0EEENS1_30default_config_static_selectorELNS0_4arch9wavefront6targetE0EEEvS12_,"axG",@progbits,_ZN7rocprim17ROCPRIM_400000_NS6detail17trampoline_kernelINS0_13select_configILj256ELj13ELNS0_17block_load_methodE3ELS4_3ELS4_3ELNS0_20block_scan_algorithmE0ELj4294967295EEENS1_25partition_config_selectorILNS1_17partition_subalgoE4EjNS0_10empty_typeEbEEZZNS1_14partition_implILS8_4ELb0ES6_15HIP_vector_typeIjLj2EENS0_17counting_iteratorIjlEEPS9_SG_NS0_5tupleIJPjSI_NS0_16reverse_iteratorISI_EEEEENSH_IJSG_SG_SG_EEES9_SI_JZNS1_25segmented_radix_sort_implINS0_14default_configELb0EPKdPdPKlPlN2at6native12_GLOBAL__N_18offset_tEEE10hipError_tPvRmT1_PNSt15iterator_traitsIS12_E10value_typeET2_T3_PNS13_IS18_E10value_typeET4_jRbjT5_S1E_jjP12ihipStream_tbEUljE_ZNSN_ISO_Lb0ESQ_SR_ST_SU_SY_EESZ_S10_S11_S12_S16_S17_S18_S1B_S1C_jS1D_jS1E_S1E_jjS1G_bEUljE0_EEESZ_S10_S11_S18_S1C_S1E_T6_T7_T9_mT8_S1G_bDpT10_ENKUlT_T0_E_clISt17integral_constantIbLb1EES1T_IbLb0EEEEDaS1P_S1Q_EUlS1P_E_NS1_11comp_targetILNS1_3genE5ELNS1_11target_archE942ELNS1_3gpuE9ELNS1_3repE0EEENS1_30default_config_static_selectorELNS0_4arch9wavefront6targetE0EEEvS12_,comdat
	.globl	_ZN7rocprim17ROCPRIM_400000_NS6detail17trampoline_kernelINS0_13select_configILj256ELj13ELNS0_17block_load_methodE3ELS4_3ELS4_3ELNS0_20block_scan_algorithmE0ELj4294967295EEENS1_25partition_config_selectorILNS1_17partition_subalgoE4EjNS0_10empty_typeEbEEZZNS1_14partition_implILS8_4ELb0ES6_15HIP_vector_typeIjLj2EENS0_17counting_iteratorIjlEEPS9_SG_NS0_5tupleIJPjSI_NS0_16reverse_iteratorISI_EEEEENSH_IJSG_SG_SG_EEES9_SI_JZNS1_25segmented_radix_sort_implINS0_14default_configELb0EPKdPdPKlPlN2at6native12_GLOBAL__N_18offset_tEEE10hipError_tPvRmT1_PNSt15iterator_traitsIS12_E10value_typeET2_T3_PNS13_IS18_E10value_typeET4_jRbjT5_S1E_jjP12ihipStream_tbEUljE_ZNSN_ISO_Lb0ESQ_SR_ST_SU_SY_EESZ_S10_S11_S12_S16_S17_S18_S1B_S1C_jS1D_jS1E_S1E_jjS1G_bEUljE0_EEESZ_S10_S11_S18_S1C_S1E_T6_T7_T9_mT8_S1G_bDpT10_ENKUlT_T0_E_clISt17integral_constantIbLb1EES1T_IbLb0EEEEDaS1P_S1Q_EUlS1P_E_NS1_11comp_targetILNS1_3genE5ELNS1_11target_archE942ELNS1_3gpuE9ELNS1_3repE0EEENS1_30default_config_static_selectorELNS0_4arch9wavefront6targetE0EEEvS12_ ; -- Begin function _ZN7rocprim17ROCPRIM_400000_NS6detail17trampoline_kernelINS0_13select_configILj256ELj13ELNS0_17block_load_methodE3ELS4_3ELS4_3ELNS0_20block_scan_algorithmE0ELj4294967295EEENS1_25partition_config_selectorILNS1_17partition_subalgoE4EjNS0_10empty_typeEbEEZZNS1_14partition_implILS8_4ELb0ES6_15HIP_vector_typeIjLj2EENS0_17counting_iteratorIjlEEPS9_SG_NS0_5tupleIJPjSI_NS0_16reverse_iteratorISI_EEEEENSH_IJSG_SG_SG_EEES9_SI_JZNS1_25segmented_radix_sort_implINS0_14default_configELb0EPKdPdPKlPlN2at6native12_GLOBAL__N_18offset_tEEE10hipError_tPvRmT1_PNSt15iterator_traitsIS12_E10value_typeET2_T3_PNS13_IS18_E10value_typeET4_jRbjT5_S1E_jjP12ihipStream_tbEUljE_ZNSN_ISO_Lb0ESQ_SR_ST_SU_SY_EESZ_S10_S11_S12_S16_S17_S18_S1B_S1C_jS1D_jS1E_S1E_jjS1G_bEUljE0_EEESZ_S10_S11_S18_S1C_S1E_T6_T7_T9_mT8_S1G_bDpT10_ENKUlT_T0_E_clISt17integral_constantIbLb1EES1T_IbLb0EEEEDaS1P_S1Q_EUlS1P_E_NS1_11comp_targetILNS1_3genE5ELNS1_11target_archE942ELNS1_3gpuE9ELNS1_3repE0EEENS1_30default_config_static_selectorELNS0_4arch9wavefront6targetE0EEEvS12_
	.p2align	8
	.type	_ZN7rocprim17ROCPRIM_400000_NS6detail17trampoline_kernelINS0_13select_configILj256ELj13ELNS0_17block_load_methodE3ELS4_3ELS4_3ELNS0_20block_scan_algorithmE0ELj4294967295EEENS1_25partition_config_selectorILNS1_17partition_subalgoE4EjNS0_10empty_typeEbEEZZNS1_14partition_implILS8_4ELb0ES6_15HIP_vector_typeIjLj2EENS0_17counting_iteratorIjlEEPS9_SG_NS0_5tupleIJPjSI_NS0_16reverse_iteratorISI_EEEEENSH_IJSG_SG_SG_EEES9_SI_JZNS1_25segmented_radix_sort_implINS0_14default_configELb0EPKdPdPKlPlN2at6native12_GLOBAL__N_18offset_tEEE10hipError_tPvRmT1_PNSt15iterator_traitsIS12_E10value_typeET2_T3_PNS13_IS18_E10value_typeET4_jRbjT5_S1E_jjP12ihipStream_tbEUljE_ZNSN_ISO_Lb0ESQ_SR_ST_SU_SY_EESZ_S10_S11_S12_S16_S17_S18_S1B_S1C_jS1D_jS1E_S1E_jjS1G_bEUljE0_EEESZ_S10_S11_S18_S1C_S1E_T6_T7_T9_mT8_S1G_bDpT10_ENKUlT_T0_E_clISt17integral_constantIbLb1EES1T_IbLb0EEEEDaS1P_S1Q_EUlS1P_E_NS1_11comp_targetILNS1_3genE5ELNS1_11target_archE942ELNS1_3gpuE9ELNS1_3repE0EEENS1_30default_config_static_selectorELNS0_4arch9wavefront6targetE0EEEvS12_,@function
_ZN7rocprim17ROCPRIM_400000_NS6detail17trampoline_kernelINS0_13select_configILj256ELj13ELNS0_17block_load_methodE3ELS4_3ELS4_3ELNS0_20block_scan_algorithmE0ELj4294967295EEENS1_25partition_config_selectorILNS1_17partition_subalgoE4EjNS0_10empty_typeEbEEZZNS1_14partition_implILS8_4ELb0ES6_15HIP_vector_typeIjLj2EENS0_17counting_iteratorIjlEEPS9_SG_NS0_5tupleIJPjSI_NS0_16reverse_iteratorISI_EEEEENSH_IJSG_SG_SG_EEES9_SI_JZNS1_25segmented_radix_sort_implINS0_14default_configELb0EPKdPdPKlPlN2at6native12_GLOBAL__N_18offset_tEEE10hipError_tPvRmT1_PNSt15iterator_traitsIS12_E10value_typeET2_T3_PNS13_IS18_E10value_typeET4_jRbjT5_S1E_jjP12ihipStream_tbEUljE_ZNSN_ISO_Lb0ESQ_SR_ST_SU_SY_EESZ_S10_S11_S12_S16_S17_S18_S1B_S1C_jS1D_jS1E_S1E_jjS1G_bEUljE0_EEESZ_S10_S11_S18_S1C_S1E_T6_T7_T9_mT8_S1G_bDpT10_ENKUlT_T0_E_clISt17integral_constantIbLb1EES1T_IbLb0EEEEDaS1P_S1Q_EUlS1P_E_NS1_11comp_targetILNS1_3genE5ELNS1_11target_archE942ELNS1_3gpuE9ELNS1_3repE0EEENS1_30default_config_static_selectorELNS0_4arch9wavefront6targetE0EEEvS12_: ; @_ZN7rocprim17ROCPRIM_400000_NS6detail17trampoline_kernelINS0_13select_configILj256ELj13ELNS0_17block_load_methodE3ELS4_3ELS4_3ELNS0_20block_scan_algorithmE0ELj4294967295EEENS1_25partition_config_selectorILNS1_17partition_subalgoE4EjNS0_10empty_typeEbEEZZNS1_14partition_implILS8_4ELb0ES6_15HIP_vector_typeIjLj2EENS0_17counting_iteratorIjlEEPS9_SG_NS0_5tupleIJPjSI_NS0_16reverse_iteratorISI_EEEEENSH_IJSG_SG_SG_EEES9_SI_JZNS1_25segmented_radix_sort_implINS0_14default_configELb0EPKdPdPKlPlN2at6native12_GLOBAL__N_18offset_tEEE10hipError_tPvRmT1_PNSt15iterator_traitsIS12_E10value_typeET2_T3_PNS13_IS18_E10value_typeET4_jRbjT5_S1E_jjP12ihipStream_tbEUljE_ZNSN_ISO_Lb0ESQ_SR_ST_SU_SY_EESZ_S10_S11_S12_S16_S17_S18_S1B_S1C_jS1D_jS1E_S1E_jjS1G_bEUljE0_EEESZ_S10_S11_S18_S1C_S1E_T6_T7_T9_mT8_S1G_bDpT10_ENKUlT_T0_E_clISt17integral_constantIbLb1EES1T_IbLb0EEEEDaS1P_S1Q_EUlS1P_E_NS1_11comp_targetILNS1_3genE5ELNS1_11target_archE942ELNS1_3gpuE9ELNS1_3repE0EEENS1_30default_config_static_selectorELNS0_4arch9wavefront6targetE0EEEvS12_
; %bb.0:
	.section	.rodata,"a",@progbits
	.p2align	6, 0x0
	.amdhsa_kernel _ZN7rocprim17ROCPRIM_400000_NS6detail17trampoline_kernelINS0_13select_configILj256ELj13ELNS0_17block_load_methodE3ELS4_3ELS4_3ELNS0_20block_scan_algorithmE0ELj4294967295EEENS1_25partition_config_selectorILNS1_17partition_subalgoE4EjNS0_10empty_typeEbEEZZNS1_14partition_implILS8_4ELb0ES6_15HIP_vector_typeIjLj2EENS0_17counting_iteratorIjlEEPS9_SG_NS0_5tupleIJPjSI_NS0_16reverse_iteratorISI_EEEEENSH_IJSG_SG_SG_EEES9_SI_JZNS1_25segmented_radix_sort_implINS0_14default_configELb0EPKdPdPKlPlN2at6native12_GLOBAL__N_18offset_tEEE10hipError_tPvRmT1_PNSt15iterator_traitsIS12_E10value_typeET2_T3_PNS13_IS18_E10value_typeET4_jRbjT5_S1E_jjP12ihipStream_tbEUljE_ZNSN_ISO_Lb0ESQ_SR_ST_SU_SY_EESZ_S10_S11_S12_S16_S17_S18_S1B_S1C_jS1D_jS1E_S1E_jjS1G_bEUljE0_EEESZ_S10_S11_S18_S1C_S1E_T6_T7_T9_mT8_S1G_bDpT10_ENKUlT_T0_E_clISt17integral_constantIbLb1EES1T_IbLb0EEEEDaS1P_S1Q_EUlS1P_E_NS1_11comp_targetILNS1_3genE5ELNS1_11target_archE942ELNS1_3gpuE9ELNS1_3repE0EEENS1_30default_config_static_selectorELNS0_4arch9wavefront6targetE0EEEvS12_
		.amdhsa_group_segment_fixed_size 0
		.amdhsa_private_segment_fixed_size 0
		.amdhsa_kernarg_size 176
		.amdhsa_user_sgpr_count 2
		.amdhsa_user_sgpr_dispatch_ptr 0
		.amdhsa_user_sgpr_queue_ptr 0
		.amdhsa_user_sgpr_kernarg_segment_ptr 1
		.amdhsa_user_sgpr_dispatch_id 0
		.amdhsa_user_sgpr_kernarg_preload_length 0
		.amdhsa_user_sgpr_kernarg_preload_offset 0
		.amdhsa_user_sgpr_private_segment_size 0
		.amdhsa_wavefront_size32 1
		.amdhsa_uses_dynamic_stack 0
		.amdhsa_enable_private_segment 0
		.amdhsa_system_sgpr_workgroup_id_x 1
		.amdhsa_system_sgpr_workgroup_id_y 0
		.amdhsa_system_sgpr_workgroup_id_z 0
		.amdhsa_system_sgpr_workgroup_info 0
		.amdhsa_system_vgpr_workitem_id 0
		.amdhsa_next_free_vgpr 1
		.amdhsa_next_free_sgpr 1
		.amdhsa_named_barrier_count 0
		.amdhsa_reserve_vcc 0
		.amdhsa_float_round_mode_32 0
		.amdhsa_float_round_mode_16_64 0
		.amdhsa_float_denorm_mode_32 3
		.amdhsa_float_denorm_mode_16_64 3
		.amdhsa_fp16_overflow 0
		.amdhsa_memory_ordered 1
		.amdhsa_forward_progress 1
		.amdhsa_inst_pref_size 0
		.amdhsa_round_robin_scheduling 0
		.amdhsa_exception_fp_ieee_invalid_op 0
		.amdhsa_exception_fp_denorm_src 0
		.amdhsa_exception_fp_ieee_div_zero 0
		.amdhsa_exception_fp_ieee_overflow 0
		.amdhsa_exception_fp_ieee_underflow 0
		.amdhsa_exception_fp_ieee_inexact 0
		.amdhsa_exception_int_div_zero 0
	.end_amdhsa_kernel
	.section	.text._ZN7rocprim17ROCPRIM_400000_NS6detail17trampoline_kernelINS0_13select_configILj256ELj13ELNS0_17block_load_methodE3ELS4_3ELS4_3ELNS0_20block_scan_algorithmE0ELj4294967295EEENS1_25partition_config_selectorILNS1_17partition_subalgoE4EjNS0_10empty_typeEbEEZZNS1_14partition_implILS8_4ELb0ES6_15HIP_vector_typeIjLj2EENS0_17counting_iteratorIjlEEPS9_SG_NS0_5tupleIJPjSI_NS0_16reverse_iteratorISI_EEEEENSH_IJSG_SG_SG_EEES9_SI_JZNS1_25segmented_radix_sort_implINS0_14default_configELb0EPKdPdPKlPlN2at6native12_GLOBAL__N_18offset_tEEE10hipError_tPvRmT1_PNSt15iterator_traitsIS12_E10value_typeET2_T3_PNS13_IS18_E10value_typeET4_jRbjT5_S1E_jjP12ihipStream_tbEUljE_ZNSN_ISO_Lb0ESQ_SR_ST_SU_SY_EESZ_S10_S11_S12_S16_S17_S18_S1B_S1C_jS1D_jS1E_S1E_jjS1G_bEUljE0_EEESZ_S10_S11_S18_S1C_S1E_T6_T7_T9_mT8_S1G_bDpT10_ENKUlT_T0_E_clISt17integral_constantIbLb1EES1T_IbLb0EEEEDaS1P_S1Q_EUlS1P_E_NS1_11comp_targetILNS1_3genE5ELNS1_11target_archE942ELNS1_3gpuE9ELNS1_3repE0EEENS1_30default_config_static_selectorELNS0_4arch9wavefront6targetE0EEEvS12_,"axG",@progbits,_ZN7rocprim17ROCPRIM_400000_NS6detail17trampoline_kernelINS0_13select_configILj256ELj13ELNS0_17block_load_methodE3ELS4_3ELS4_3ELNS0_20block_scan_algorithmE0ELj4294967295EEENS1_25partition_config_selectorILNS1_17partition_subalgoE4EjNS0_10empty_typeEbEEZZNS1_14partition_implILS8_4ELb0ES6_15HIP_vector_typeIjLj2EENS0_17counting_iteratorIjlEEPS9_SG_NS0_5tupleIJPjSI_NS0_16reverse_iteratorISI_EEEEENSH_IJSG_SG_SG_EEES9_SI_JZNS1_25segmented_radix_sort_implINS0_14default_configELb0EPKdPdPKlPlN2at6native12_GLOBAL__N_18offset_tEEE10hipError_tPvRmT1_PNSt15iterator_traitsIS12_E10value_typeET2_T3_PNS13_IS18_E10value_typeET4_jRbjT5_S1E_jjP12ihipStream_tbEUljE_ZNSN_ISO_Lb0ESQ_SR_ST_SU_SY_EESZ_S10_S11_S12_S16_S17_S18_S1B_S1C_jS1D_jS1E_S1E_jjS1G_bEUljE0_EEESZ_S10_S11_S18_S1C_S1E_T6_T7_T9_mT8_S1G_bDpT10_ENKUlT_T0_E_clISt17integral_constantIbLb1EES1T_IbLb0EEEEDaS1P_S1Q_EUlS1P_E_NS1_11comp_targetILNS1_3genE5ELNS1_11target_archE942ELNS1_3gpuE9ELNS1_3repE0EEENS1_30default_config_static_selectorELNS0_4arch9wavefront6targetE0EEEvS12_,comdat
.Lfunc_end1168:
	.size	_ZN7rocprim17ROCPRIM_400000_NS6detail17trampoline_kernelINS0_13select_configILj256ELj13ELNS0_17block_load_methodE3ELS4_3ELS4_3ELNS0_20block_scan_algorithmE0ELj4294967295EEENS1_25partition_config_selectorILNS1_17partition_subalgoE4EjNS0_10empty_typeEbEEZZNS1_14partition_implILS8_4ELb0ES6_15HIP_vector_typeIjLj2EENS0_17counting_iteratorIjlEEPS9_SG_NS0_5tupleIJPjSI_NS0_16reverse_iteratorISI_EEEEENSH_IJSG_SG_SG_EEES9_SI_JZNS1_25segmented_radix_sort_implINS0_14default_configELb0EPKdPdPKlPlN2at6native12_GLOBAL__N_18offset_tEEE10hipError_tPvRmT1_PNSt15iterator_traitsIS12_E10value_typeET2_T3_PNS13_IS18_E10value_typeET4_jRbjT5_S1E_jjP12ihipStream_tbEUljE_ZNSN_ISO_Lb0ESQ_SR_ST_SU_SY_EESZ_S10_S11_S12_S16_S17_S18_S1B_S1C_jS1D_jS1E_S1E_jjS1G_bEUljE0_EEESZ_S10_S11_S18_S1C_S1E_T6_T7_T9_mT8_S1G_bDpT10_ENKUlT_T0_E_clISt17integral_constantIbLb1EES1T_IbLb0EEEEDaS1P_S1Q_EUlS1P_E_NS1_11comp_targetILNS1_3genE5ELNS1_11target_archE942ELNS1_3gpuE9ELNS1_3repE0EEENS1_30default_config_static_selectorELNS0_4arch9wavefront6targetE0EEEvS12_, .Lfunc_end1168-_ZN7rocprim17ROCPRIM_400000_NS6detail17trampoline_kernelINS0_13select_configILj256ELj13ELNS0_17block_load_methodE3ELS4_3ELS4_3ELNS0_20block_scan_algorithmE0ELj4294967295EEENS1_25partition_config_selectorILNS1_17partition_subalgoE4EjNS0_10empty_typeEbEEZZNS1_14partition_implILS8_4ELb0ES6_15HIP_vector_typeIjLj2EENS0_17counting_iteratorIjlEEPS9_SG_NS0_5tupleIJPjSI_NS0_16reverse_iteratorISI_EEEEENSH_IJSG_SG_SG_EEES9_SI_JZNS1_25segmented_radix_sort_implINS0_14default_configELb0EPKdPdPKlPlN2at6native12_GLOBAL__N_18offset_tEEE10hipError_tPvRmT1_PNSt15iterator_traitsIS12_E10value_typeET2_T3_PNS13_IS18_E10value_typeET4_jRbjT5_S1E_jjP12ihipStream_tbEUljE_ZNSN_ISO_Lb0ESQ_SR_ST_SU_SY_EESZ_S10_S11_S12_S16_S17_S18_S1B_S1C_jS1D_jS1E_S1E_jjS1G_bEUljE0_EEESZ_S10_S11_S18_S1C_S1E_T6_T7_T9_mT8_S1G_bDpT10_ENKUlT_T0_E_clISt17integral_constantIbLb1EES1T_IbLb0EEEEDaS1P_S1Q_EUlS1P_E_NS1_11comp_targetILNS1_3genE5ELNS1_11target_archE942ELNS1_3gpuE9ELNS1_3repE0EEENS1_30default_config_static_selectorELNS0_4arch9wavefront6targetE0EEEvS12_
                                        ; -- End function
	.set _ZN7rocprim17ROCPRIM_400000_NS6detail17trampoline_kernelINS0_13select_configILj256ELj13ELNS0_17block_load_methodE3ELS4_3ELS4_3ELNS0_20block_scan_algorithmE0ELj4294967295EEENS1_25partition_config_selectorILNS1_17partition_subalgoE4EjNS0_10empty_typeEbEEZZNS1_14partition_implILS8_4ELb0ES6_15HIP_vector_typeIjLj2EENS0_17counting_iteratorIjlEEPS9_SG_NS0_5tupleIJPjSI_NS0_16reverse_iteratorISI_EEEEENSH_IJSG_SG_SG_EEES9_SI_JZNS1_25segmented_radix_sort_implINS0_14default_configELb0EPKdPdPKlPlN2at6native12_GLOBAL__N_18offset_tEEE10hipError_tPvRmT1_PNSt15iterator_traitsIS12_E10value_typeET2_T3_PNS13_IS18_E10value_typeET4_jRbjT5_S1E_jjP12ihipStream_tbEUljE_ZNSN_ISO_Lb0ESQ_SR_ST_SU_SY_EESZ_S10_S11_S12_S16_S17_S18_S1B_S1C_jS1D_jS1E_S1E_jjS1G_bEUljE0_EEESZ_S10_S11_S18_S1C_S1E_T6_T7_T9_mT8_S1G_bDpT10_ENKUlT_T0_E_clISt17integral_constantIbLb1EES1T_IbLb0EEEEDaS1P_S1Q_EUlS1P_E_NS1_11comp_targetILNS1_3genE5ELNS1_11target_archE942ELNS1_3gpuE9ELNS1_3repE0EEENS1_30default_config_static_selectorELNS0_4arch9wavefront6targetE0EEEvS12_.num_vgpr, 0
	.set _ZN7rocprim17ROCPRIM_400000_NS6detail17trampoline_kernelINS0_13select_configILj256ELj13ELNS0_17block_load_methodE3ELS4_3ELS4_3ELNS0_20block_scan_algorithmE0ELj4294967295EEENS1_25partition_config_selectorILNS1_17partition_subalgoE4EjNS0_10empty_typeEbEEZZNS1_14partition_implILS8_4ELb0ES6_15HIP_vector_typeIjLj2EENS0_17counting_iteratorIjlEEPS9_SG_NS0_5tupleIJPjSI_NS0_16reverse_iteratorISI_EEEEENSH_IJSG_SG_SG_EEES9_SI_JZNS1_25segmented_radix_sort_implINS0_14default_configELb0EPKdPdPKlPlN2at6native12_GLOBAL__N_18offset_tEEE10hipError_tPvRmT1_PNSt15iterator_traitsIS12_E10value_typeET2_T3_PNS13_IS18_E10value_typeET4_jRbjT5_S1E_jjP12ihipStream_tbEUljE_ZNSN_ISO_Lb0ESQ_SR_ST_SU_SY_EESZ_S10_S11_S12_S16_S17_S18_S1B_S1C_jS1D_jS1E_S1E_jjS1G_bEUljE0_EEESZ_S10_S11_S18_S1C_S1E_T6_T7_T9_mT8_S1G_bDpT10_ENKUlT_T0_E_clISt17integral_constantIbLb1EES1T_IbLb0EEEEDaS1P_S1Q_EUlS1P_E_NS1_11comp_targetILNS1_3genE5ELNS1_11target_archE942ELNS1_3gpuE9ELNS1_3repE0EEENS1_30default_config_static_selectorELNS0_4arch9wavefront6targetE0EEEvS12_.num_agpr, 0
	.set _ZN7rocprim17ROCPRIM_400000_NS6detail17trampoline_kernelINS0_13select_configILj256ELj13ELNS0_17block_load_methodE3ELS4_3ELS4_3ELNS0_20block_scan_algorithmE0ELj4294967295EEENS1_25partition_config_selectorILNS1_17partition_subalgoE4EjNS0_10empty_typeEbEEZZNS1_14partition_implILS8_4ELb0ES6_15HIP_vector_typeIjLj2EENS0_17counting_iteratorIjlEEPS9_SG_NS0_5tupleIJPjSI_NS0_16reverse_iteratorISI_EEEEENSH_IJSG_SG_SG_EEES9_SI_JZNS1_25segmented_radix_sort_implINS0_14default_configELb0EPKdPdPKlPlN2at6native12_GLOBAL__N_18offset_tEEE10hipError_tPvRmT1_PNSt15iterator_traitsIS12_E10value_typeET2_T3_PNS13_IS18_E10value_typeET4_jRbjT5_S1E_jjP12ihipStream_tbEUljE_ZNSN_ISO_Lb0ESQ_SR_ST_SU_SY_EESZ_S10_S11_S12_S16_S17_S18_S1B_S1C_jS1D_jS1E_S1E_jjS1G_bEUljE0_EEESZ_S10_S11_S18_S1C_S1E_T6_T7_T9_mT8_S1G_bDpT10_ENKUlT_T0_E_clISt17integral_constantIbLb1EES1T_IbLb0EEEEDaS1P_S1Q_EUlS1P_E_NS1_11comp_targetILNS1_3genE5ELNS1_11target_archE942ELNS1_3gpuE9ELNS1_3repE0EEENS1_30default_config_static_selectorELNS0_4arch9wavefront6targetE0EEEvS12_.numbered_sgpr, 0
	.set _ZN7rocprim17ROCPRIM_400000_NS6detail17trampoline_kernelINS0_13select_configILj256ELj13ELNS0_17block_load_methodE3ELS4_3ELS4_3ELNS0_20block_scan_algorithmE0ELj4294967295EEENS1_25partition_config_selectorILNS1_17partition_subalgoE4EjNS0_10empty_typeEbEEZZNS1_14partition_implILS8_4ELb0ES6_15HIP_vector_typeIjLj2EENS0_17counting_iteratorIjlEEPS9_SG_NS0_5tupleIJPjSI_NS0_16reverse_iteratorISI_EEEEENSH_IJSG_SG_SG_EEES9_SI_JZNS1_25segmented_radix_sort_implINS0_14default_configELb0EPKdPdPKlPlN2at6native12_GLOBAL__N_18offset_tEEE10hipError_tPvRmT1_PNSt15iterator_traitsIS12_E10value_typeET2_T3_PNS13_IS18_E10value_typeET4_jRbjT5_S1E_jjP12ihipStream_tbEUljE_ZNSN_ISO_Lb0ESQ_SR_ST_SU_SY_EESZ_S10_S11_S12_S16_S17_S18_S1B_S1C_jS1D_jS1E_S1E_jjS1G_bEUljE0_EEESZ_S10_S11_S18_S1C_S1E_T6_T7_T9_mT8_S1G_bDpT10_ENKUlT_T0_E_clISt17integral_constantIbLb1EES1T_IbLb0EEEEDaS1P_S1Q_EUlS1P_E_NS1_11comp_targetILNS1_3genE5ELNS1_11target_archE942ELNS1_3gpuE9ELNS1_3repE0EEENS1_30default_config_static_selectorELNS0_4arch9wavefront6targetE0EEEvS12_.num_named_barrier, 0
	.set _ZN7rocprim17ROCPRIM_400000_NS6detail17trampoline_kernelINS0_13select_configILj256ELj13ELNS0_17block_load_methodE3ELS4_3ELS4_3ELNS0_20block_scan_algorithmE0ELj4294967295EEENS1_25partition_config_selectorILNS1_17partition_subalgoE4EjNS0_10empty_typeEbEEZZNS1_14partition_implILS8_4ELb0ES6_15HIP_vector_typeIjLj2EENS0_17counting_iteratorIjlEEPS9_SG_NS0_5tupleIJPjSI_NS0_16reverse_iteratorISI_EEEEENSH_IJSG_SG_SG_EEES9_SI_JZNS1_25segmented_radix_sort_implINS0_14default_configELb0EPKdPdPKlPlN2at6native12_GLOBAL__N_18offset_tEEE10hipError_tPvRmT1_PNSt15iterator_traitsIS12_E10value_typeET2_T3_PNS13_IS18_E10value_typeET4_jRbjT5_S1E_jjP12ihipStream_tbEUljE_ZNSN_ISO_Lb0ESQ_SR_ST_SU_SY_EESZ_S10_S11_S12_S16_S17_S18_S1B_S1C_jS1D_jS1E_S1E_jjS1G_bEUljE0_EEESZ_S10_S11_S18_S1C_S1E_T6_T7_T9_mT8_S1G_bDpT10_ENKUlT_T0_E_clISt17integral_constantIbLb1EES1T_IbLb0EEEEDaS1P_S1Q_EUlS1P_E_NS1_11comp_targetILNS1_3genE5ELNS1_11target_archE942ELNS1_3gpuE9ELNS1_3repE0EEENS1_30default_config_static_selectorELNS0_4arch9wavefront6targetE0EEEvS12_.private_seg_size, 0
	.set _ZN7rocprim17ROCPRIM_400000_NS6detail17trampoline_kernelINS0_13select_configILj256ELj13ELNS0_17block_load_methodE3ELS4_3ELS4_3ELNS0_20block_scan_algorithmE0ELj4294967295EEENS1_25partition_config_selectorILNS1_17partition_subalgoE4EjNS0_10empty_typeEbEEZZNS1_14partition_implILS8_4ELb0ES6_15HIP_vector_typeIjLj2EENS0_17counting_iteratorIjlEEPS9_SG_NS0_5tupleIJPjSI_NS0_16reverse_iteratorISI_EEEEENSH_IJSG_SG_SG_EEES9_SI_JZNS1_25segmented_radix_sort_implINS0_14default_configELb0EPKdPdPKlPlN2at6native12_GLOBAL__N_18offset_tEEE10hipError_tPvRmT1_PNSt15iterator_traitsIS12_E10value_typeET2_T3_PNS13_IS18_E10value_typeET4_jRbjT5_S1E_jjP12ihipStream_tbEUljE_ZNSN_ISO_Lb0ESQ_SR_ST_SU_SY_EESZ_S10_S11_S12_S16_S17_S18_S1B_S1C_jS1D_jS1E_S1E_jjS1G_bEUljE0_EEESZ_S10_S11_S18_S1C_S1E_T6_T7_T9_mT8_S1G_bDpT10_ENKUlT_T0_E_clISt17integral_constantIbLb1EES1T_IbLb0EEEEDaS1P_S1Q_EUlS1P_E_NS1_11comp_targetILNS1_3genE5ELNS1_11target_archE942ELNS1_3gpuE9ELNS1_3repE0EEENS1_30default_config_static_selectorELNS0_4arch9wavefront6targetE0EEEvS12_.uses_vcc, 0
	.set _ZN7rocprim17ROCPRIM_400000_NS6detail17trampoline_kernelINS0_13select_configILj256ELj13ELNS0_17block_load_methodE3ELS4_3ELS4_3ELNS0_20block_scan_algorithmE0ELj4294967295EEENS1_25partition_config_selectorILNS1_17partition_subalgoE4EjNS0_10empty_typeEbEEZZNS1_14partition_implILS8_4ELb0ES6_15HIP_vector_typeIjLj2EENS0_17counting_iteratorIjlEEPS9_SG_NS0_5tupleIJPjSI_NS0_16reverse_iteratorISI_EEEEENSH_IJSG_SG_SG_EEES9_SI_JZNS1_25segmented_radix_sort_implINS0_14default_configELb0EPKdPdPKlPlN2at6native12_GLOBAL__N_18offset_tEEE10hipError_tPvRmT1_PNSt15iterator_traitsIS12_E10value_typeET2_T3_PNS13_IS18_E10value_typeET4_jRbjT5_S1E_jjP12ihipStream_tbEUljE_ZNSN_ISO_Lb0ESQ_SR_ST_SU_SY_EESZ_S10_S11_S12_S16_S17_S18_S1B_S1C_jS1D_jS1E_S1E_jjS1G_bEUljE0_EEESZ_S10_S11_S18_S1C_S1E_T6_T7_T9_mT8_S1G_bDpT10_ENKUlT_T0_E_clISt17integral_constantIbLb1EES1T_IbLb0EEEEDaS1P_S1Q_EUlS1P_E_NS1_11comp_targetILNS1_3genE5ELNS1_11target_archE942ELNS1_3gpuE9ELNS1_3repE0EEENS1_30default_config_static_selectorELNS0_4arch9wavefront6targetE0EEEvS12_.uses_flat_scratch, 0
	.set _ZN7rocprim17ROCPRIM_400000_NS6detail17trampoline_kernelINS0_13select_configILj256ELj13ELNS0_17block_load_methodE3ELS4_3ELS4_3ELNS0_20block_scan_algorithmE0ELj4294967295EEENS1_25partition_config_selectorILNS1_17partition_subalgoE4EjNS0_10empty_typeEbEEZZNS1_14partition_implILS8_4ELb0ES6_15HIP_vector_typeIjLj2EENS0_17counting_iteratorIjlEEPS9_SG_NS0_5tupleIJPjSI_NS0_16reverse_iteratorISI_EEEEENSH_IJSG_SG_SG_EEES9_SI_JZNS1_25segmented_radix_sort_implINS0_14default_configELb0EPKdPdPKlPlN2at6native12_GLOBAL__N_18offset_tEEE10hipError_tPvRmT1_PNSt15iterator_traitsIS12_E10value_typeET2_T3_PNS13_IS18_E10value_typeET4_jRbjT5_S1E_jjP12ihipStream_tbEUljE_ZNSN_ISO_Lb0ESQ_SR_ST_SU_SY_EESZ_S10_S11_S12_S16_S17_S18_S1B_S1C_jS1D_jS1E_S1E_jjS1G_bEUljE0_EEESZ_S10_S11_S18_S1C_S1E_T6_T7_T9_mT8_S1G_bDpT10_ENKUlT_T0_E_clISt17integral_constantIbLb1EES1T_IbLb0EEEEDaS1P_S1Q_EUlS1P_E_NS1_11comp_targetILNS1_3genE5ELNS1_11target_archE942ELNS1_3gpuE9ELNS1_3repE0EEENS1_30default_config_static_selectorELNS0_4arch9wavefront6targetE0EEEvS12_.has_dyn_sized_stack, 0
	.set _ZN7rocprim17ROCPRIM_400000_NS6detail17trampoline_kernelINS0_13select_configILj256ELj13ELNS0_17block_load_methodE3ELS4_3ELS4_3ELNS0_20block_scan_algorithmE0ELj4294967295EEENS1_25partition_config_selectorILNS1_17partition_subalgoE4EjNS0_10empty_typeEbEEZZNS1_14partition_implILS8_4ELb0ES6_15HIP_vector_typeIjLj2EENS0_17counting_iteratorIjlEEPS9_SG_NS0_5tupleIJPjSI_NS0_16reverse_iteratorISI_EEEEENSH_IJSG_SG_SG_EEES9_SI_JZNS1_25segmented_radix_sort_implINS0_14default_configELb0EPKdPdPKlPlN2at6native12_GLOBAL__N_18offset_tEEE10hipError_tPvRmT1_PNSt15iterator_traitsIS12_E10value_typeET2_T3_PNS13_IS18_E10value_typeET4_jRbjT5_S1E_jjP12ihipStream_tbEUljE_ZNSN_ISO_Lb0ESQ_SR_ST_SU_SY_EESZ_S10_S11_S12_S16_S17_S18_S1B_S1C_jS1D_jS1E_S1E_jjS1G_bEUljE0_EEESZ_S10_S11_S18_S1C_S1E_T6_T7_T9_mT8_S1G_bDpT10_ENKUlT_T0_E_clISt17integral_constantIbLb1EES1T_IbLb0EEEEDaS1P_S1Q_EUlS1P_E_NS1_11comp_targetILNS1_3genE5ELNS1_11target_archE942ELNS1_3gpuE9ELNS1_3repE0EEENS1_30default_config_static_selectorELNS0_4arch9wavefront6targetE0EEEvS12_.has_recursion, 0
	.set _ZN7rocprim17ROCPRIM_400000_NS6detail17trampoline_kernelINS0_13select_configILj256ELj13ELNS0_17block_load_methodE3ELS4_3ELS4_3ELNS0_20block_scan_algorithmE0ELj4294967295EEENS1_25partition_config_selectorILNS1_17partition_subalgoE4EjNS0_10empty_typeEbEEZZNS1_14partition_implILS8_4ELb0ES6_15HIP_vector_typeIjLj2EENS0_17counting_iteratorIjlEEPS9_SG_NS0_5tupleIJPjSI_NS0_16reverse_iteratorISI_EEEEENSH_IJSG_SG_SG_EEES9_SI_JZNS1_25segmented_radix_sort_implINS0_14default_configELb0EPKdPdPKlPlN2at6native12_GLOBAL__N_18offset_tEEE10hipError_tPvRmT1_PNSt15iterator_traitsIS12_E10value_typeET2_T3_PNS13_IS18_E10value_typeET4_jRbjT5_S1E_jjP12ihipStream_tbEUljE_ZNSN_ISO_Lb0ESQ_SR_ST_SU_SY_EESZ_S10_S11_S12_S16_S17_S18_S1B_S1C_jS1D_jS1E_S1E_jjS1G_bEUljE0_EEESZ_S10_S11_S18_S1C_S1E_T6_T7_T9_mT8_S1G_bDpT10_ENKUlT_T0_E_clISt17integral_constantIbLb1EES1T_IbLb0EEEEDaS1P_S1Q_EUlS1P_E_NS1_11comp_targetILNS1_3genE5ELNS1_11target_archE942ELNS1_3gpuE9ELNS1_3repE0EEENS1_30default_config_static_selectorELNS0_4arch9wavefront6targetE0EEEvS12_.has_indirect_call, 0
	.section	.AMDGPU.csdata,"",@progbits
; Kernel info:
; codeLenInByte = 0
; TotalNumSgprs: 0
; NumVgprs: 0
; ScratchSize: 0
; MemoryBound: 0
; FloatMode: 240
; IeeeMode: 1
; LDSByteSize: 0 bytes/workgroup (compile time only)
; SGPRBlocks: 0
; VGPRBlocks: 0
; NumSGPRsForWavesPerEU: 1
; NumVGPRsForWavesPerEU: 1
; NamedBarCnt: 0
; Occupancy: 16
; WaveLimiterHint : 0
; COMPUTE_PGM_RSRC2:SCRATCH_EN: 0
; COMPUTE_PGM_RSRC2:USER_SGPR: 2
; COMPUTE_PGM_RSRC2:TRAP_HANDLER: 0
; COMPUTE_PGM_RSRC2:TGID_X_EN: 1
; COMPUTE_PGM_RSRC2:TGID_Y_EN: 0
; COMPUTE_PGM_RSRC2:TGID_Z_EN: 0
; COMPUTE_PGM_RSRC2:TIDIG_COMP_CNT: 0
	.section	.text._ZN7rocprim17ROCPRIM_400000_NS6detail17trampoline_kernelINS0_13select_configILj256ELj13ELNS0_17block_load_methodE3ELS4_3ELS4_3ELNS0_20block_scan_algorithmE0ELj4294967295EEENS1_25partition_config_selectorILNS1_17partition_subalgoE4EjNS0_10empty_typeEbEEZZNS1_14partition_implILS8_4ELb0ES6_15HIP_vector_typeIjLj2EENS0_17counting_iteratorIjlEEPS9_SG_NS0_5tupleIJPjSI_NS0_16reverse_iteratorISI_EEEEENSH_IJSG_SG_SG_EEES9_SI_JZNS1_25segmented_radix_sort_implINS0_14default_configELb0EPKdPdPKlPlN2at6native12_GLOBAL__N_18offset_tEEE10hipError_tPvRmT1_PNSt15iterator_traitsIS12_E10value_typeET2_T3_PNS13_IS18_E10value_typeET4_jRbjT5_S1E_jjP12ihipStream_tbEUljE_ZNSN_ISO_Lb0ESQ_SR_ST_SU_SY_EESZ_S10_S11_S12_S16_S17_S18_S1B_S1C_jS1D_jS1E_S1E_jjS1G_bEUljE0_EEESZ_S10_S11_S18_S1C_S1E_T6_T7_T9_mT8_S1G_bDpT10_ENKUlT_T0_E_clISt17integral_constantIbLb1EES1T_IbLb0EEEEDaS1P_S1Q_EUlS1P_E_NS1_11comp_targetILNS1_3genE4ELNS1_11target_archE910ELNS1_3gpuE8ELNS1_3repE0EEENS1_30default_config_static_selectorELNS0_4arch9wavefront6targetE0EEEvS12_,"axG",@progbits,_ZN7rocprim17ROCPRIM_400000_NS6detail17trampoline_kernelINS0_13select_configILj256ELj13ELNS0_17block_load_methodE3ELS4_3ELS4_3ELNS0_20block_scan_algorithmE0ELj4294967295EEENS1_25partition_config_selectorILNS1_17partition_subalgoE4EjNS0_10empty_typeEbEEZZNS1_14partition_implILS8_4ELb0ES6_15HIP_vector_typeIjLj2EENS0_17counting_iteratorIjlEEPS9_SG_NS0_5tupleIJPjSI_NS0_16reverse_iteratorISI_EEEEENSH_IJSG_SG_SG_EEES9_SI_JZNS1_25segmented_radix_sort_implINS0_14default_configELb0EPKdPdPKlPlN2at6native12_GLOBAL__N_18offset_tEEE10hipError_tPvRmT1_PNSt15iterator_traitsIS12_E10value_typeET2_T3_PNS13_IS18_E10value_typeET4_jRbjT5_S1E_jjP12ihipStream_tbEUljE_ZNSN_ISO_Lb0ESQ_SR_ST_SU_SY_EESZ_S10_S11_S12_S16_S17_S18_S1B_S1C_jS1D_jS1E_S1E_jjS1G_bEUljE0_EEESZ_S10_S11_S18_S1C_S1E_T6_T7_T9_mT8_S1G_bDpT10_ENKUlT_T0_E_clISt17integral_constantIbLb1EES1T_IbLb0EEEEDaS1P_S1Q_EUlS1P_E_NS1_11comp_targetILNS1_3genE4ELNS1_11target_archE910ELNS1_3gpuE8ELNS1_3repE0EEENS1_30default_config_static_selectorELNS0_4arch9wavefront6targetE0EEEvS12_,comdat
	.globl	_ZN7rocprim17ROCPRIM_400000_NS6detail17trampoline_kernelINS0_13select_configILj256ELj13ELNS0_17block_load_methodE3ELS4_3ELS4_3ELNS0_20block_scan_algorithmE0ELj4294967295EEENS1_25partition_config_selectorILNS1_17partition_subalgoE4EjNS0_10empty_typeEbEEZZNS1_14partition_implILS8_4ELb0ES6_15HIP_vector_typeIjLj2EENS0_17counting_iteratorIjlEEPS9_SG_NS0_5tupleIJPjSI_NS0_16reverse_iteratorISI_EEEEENSH_IJSG_SG_SG_EEES9_SI_JZNS1_25segmented_radix_sort_implINS0_14default_configELb0EPKdPdPKlPlN2at6native12_GLOBAL__N_18offset_tEEE10hipError_tPvRmT1_PNSt15iterator_traitsIS12_E10value_typeET2_T3_PNS13_IS18_E10value_typeET4_jRbjT5_S1E_jjP12ihipStream_tbEUljE_ZNSN_ISO_Lb0ESQ_SR_ST_SU_SY_EESZ_S10_S11_S12_S16_S17_S18_S1B_S1C_jS1D_jS1E_S1E_jjS1G_bEUljE0_EEESZ_S10_S11_S18_S1C_S1E_T6_T7_T9_mT8_S1G_bDpT10_ENKUlT_T0_E_clISt17integral_constantIbLb1EES1T_IbLb0EEEEDaS1P_S1Q_EUlS1P_E_NS1_11comp_targetILNS1_3genE4ELNS1_11target_archE910ELNS1_3gpuE8ELNS1_3repE0EEENS1_30default_config_static_selectorELNS0_4arch9wavefront6targetE0EEEvS12_ ; -- Begin function _ZN7rocprim17ROCPRIM_400000_NS6detail17trampoline_kernelINS0_13select_configILj256ELj13ELNS0_17block_load_methodE3ELS4_3ELS4_3ELNS0_20block_scan_algorithmE0ELj4294967295EEENS1_25partition_config_selectorILNS1_17partition_subalgoE4EjNS0_10empty_typeEbEEZZNS1_14partition_implILS8_4ELb0ES6_15HIP_vector_typeIjLj2EENS0_17counting_iteratorIjlEEPS9_SG_NS0_5tupleIJPjSI_NS0_16reverse_iteratorISI_EEEEENSH_IJSG_SG_SG_EEES9_SI_JZNS1_25segmented_radix_sort_implINS0_14default_configELb0EPKdPdPKlPlN2at6native12_GLOBAL__N_18offset_tEEE10hipError_tPvRmT1_PNSt15iterator_traitsIS12_E10value_typeET2_T3_PNS13_IS18_E10value_typeET4_jRbjT5_S1E_jjP12ihipStream_tbEUljE_ZNSN_ISO_Lb0ESQ_SR_ST_SU_SY_EESZ_S10_S11_S12_S16_S17_S18_S1B_S1C_jS1D_jS1E_S1E_jjS1G_bEUljE0_EEESZ_S10_S11_S18_S1C_S1E_T6_T7_T9_mT8_S1G_bDpT10_ENKUlT_T0_E_clISt17integral_constantIbLb1EES1T_IbLb0EEEEDaS1P_S1Q_EUlS1P_E_NS1_11comp_targetILNS1_3genE4ELNS1_11target_archE910ELNS1_3gpuE8ELNS1_3repE0EEENS1_30default_config_static_selectorELNS0_4arch9wavefront6targetE0EEEvS12_
	.p2align	8
	.type	_ZN7rocprim17ROCPRIM_400000_NS6detail17trampoline_kernelINS0_13select_configILj256ELj13ELNS0_17block_load_methodE3ELS4_3ELS4_3ELNS0_20block_scan_algorithmE0ELj4294967295EEENS1_25partition_config_selectorILNS1_17partition_subalgoE4EjNS0_10empty_typeEbEEZZNS1_14partition_implILS8_4ELb0ES6_15HIP_vector_typeIjLj2EENS0_17counting_iteratorIjlEEPS9_SG_NS0_5tupleIJPjSI_NS0_16reverse_iteratorISI_EEEEENSH_IJSG_SG_SG_EEES9_SI_JZNS1_25segmented_radix_sort_implINS0_14default_configELb0EPKdPdPKlPlN2at6native12_GLOBAL__N_18offset_tEEE10hipError_tPvRmT1_PNSt15iterator_traitsIS12_E10value_typeET2_T3_PNS13_IS18_E10value_typeET4_jRbjT5_S1E_jjP12ihipStream_tbEUljE_ZNSN_ISO_Lb0ESQ_SR_ST_SU_SY_EESZ_S10_S11_S12_S16_S17_S18_S1B_S1C_jS1D_jS1E_S1E_jjS1G_bEUljE0_EEESZ_S10_S11_S18_S1C_S1E_T6_T7_T9_mT8_S1G_bDpT10_ENKUlT_T0_E_clISt17integral_constantIbLb1EES1T_IbLb0EEEEDaS1P_S1Q_EUlS1P_E_NS1_11comp_targetILNS1_3genE4ELNS1_11target_archE910ELNS1_3gpuE8ELNS1_3repE0EEENS1_30default_config_static_selectorELNS0_4arch9wavefront6targetE0EEEvS12_,@function
_ZN7rocprim17ROCPRIM_400000_NS6detail17trampoline_kernelINS0_13select_configILj256ELj13ELNS0_17block_load_methodE3ELS4_3ELS4_3ELNS0_20block_scan_algorithmE0ELj4294967295EEENS1_25partition_config_selectorILNS1_17partition_subalgoE4EjNS0_10empty_typeEbEEZZNS1_14partition_implILS8_4ELb0ES6_15HIP_vector_typeIjLj2EENS0_17counting_iteratorIjlEEPS9_SG_NS0_5tupleIJPjSI_NS0_16reverse_iteratorISI_EEEEENSH_IJSG_SG_SG_EEES9_SI_JZNS1_25segmented_radix_sort_implINS0_14default_configELb0EPKdPdPKlPlN2at6native12_GLOBAL__N_18offset_tEEE10hipError_tPvRmT1_PNSt15iterator_traitsIS12_E10value_typeET2_T3_PNS13_IS18_E10value_typeET4_jRbjT5_S1E_jjP12ihipStream_tbEUljE_ZNSN_ISO_Lb0ESQ_SR_ST_SU_SY_EESZ_S10_S11_S12_S16_S17_S18_S1B_S1C_jS1D_jS1E_S1E_jjS1G_bEUljE0_EEESZ_S10_S11_S18_S1C_S1E_T6_T7_T9_mT8_S1G_bDpT10_ENKUlT_T0_E_clISt17integral_constantIbLb1EES1T_IbLb0EEEEDaS1P_S1Q_EUlS1P_E_NS1_11comp_targetILNS1_3genE4ELNS1_11target_archE910ELNS1_3gpuE8ELNS1_3repE0EEENS1_30default_config_static_selectorELNS0_4arch9wavefront6targetE0EEEvS12_: ; @_ZN7rocprim17ROCPRIM_400000_NS6detail17trampoline_kernelINS0_13select_configILj256ELj13ELNS0_17block_load_methodE3ELS4_3ELS4_3ELNS0_20block_scan_algorithmE0ELj4294967295EEENS1_25partition_config_selectorILNS1_17partition_subalgoE4EjNS0_10empty_typeEbEEZZNS1_14partition_implILS8_4ELb0ES6_15HIP_vector_typeIjLj2EENS0_17counting_iteratorIjlEEPS9_SG_NS0_5tupleIJPjSI_NS0_16reverse_iteratorISI_EEEEENSH_IJSG_SG_SG_EEES9_SI_JZNS1_25segmented_radix_sort_implINS0_14default_configELb0EPKdPdPKlPlN2at6native12_GLOBAL__N_18offset_tEEE10hipError_tPvRmT1_PNSt15iterator_traitsIS12_E10value_typeET2_T3_PNS13_IS18_E10value_typeET4_jRbjT5_S1E_jjP12ihipStream_tbEUljE_ZNSN_ISO_Lb0ESQ_SR_ST_SU_SY_EESZ_S10_S11_S12_S16_S17_S18_S1B_S1C_jS1D_jS1E_S1E_jjS1G_bEUljE0_EEESZ_S10_S11_S18_S1C_S1E_T6_T7_T9_mT8_S1G_bDpT10_ENKUlT_T0_E_clISt17integral_constantIbLb1EES1T_IbLb0EEEEDaS1P_S1Q_EUlS1P_E_NS1_11comp_targetILNS1_3genE4ELNS1_11target_archE910ELNS1_3gpuE8ELNS1_3repE0EEENS1_30default_config_static_selectorELNS0_4arch9wavefront6targetE0EEEvS12_
; %bb.0:
	.section	.rodata,"a",@progbits
	.p2align	6, 0x0
	.amdhsa_kernel _ZN7rocprim17ROCPRIM_400000_NS6detail17trampoline_kernelINS0_13select_configILj256ELj13ELNS0_17block_load_methodE3ELS4_3ELS4_3ELNS0_20block_scan_algorithmE0ELj4294967295EEENS1_25partition_config_selectorILNS1_17partition_subalgoE4EjNS0_10empty_typeEbEEZZNS1_14partition_implILS8_4ELb0ES6_15HIP_vector_typeIjLj2EENS0_17counting_iteratorIjlEEPS9_SG_NS0_5tupleIJPjSI_NS0_16reverse_iteratorISI_EEEEENSH_IJSG_SG_SG_EEES9_SI_JZNS1_25segmented_radix_sort_implINS0_14default_configELb0EPKdPdPKlPlN2at6native12_GLOBAL__N_18offset_tEEE10hipError_tPvRmT1_PNSt15iterator_traitsIS12_E10value_typeET2_T3_PNS13_IS18_E10value_typeET4_jRbjT5_S1E_jjP12ihipStream_tbEUljE_ZNSN_ISO_Lb0ESQ_SR_ST_SU_SY_EESZ_S10_S11_S12_S16_S17_S18_S1B_S1C_jS1D_jS1E_S1E_jjS1G_bEUljE0_EEESZ_S10_S11_S18_S1C_S1E_T6_T7_T9_mT8_S1G_bDpT10_ENKUlT_T0_E_clISt17integral_constantIbLb1EES1T_IbLb0EEEEDaS1P_S1Q_EUlS1P_E_NS1_11comp_targetILNS1_3genE4ELNS1_11target_archE910ELNS1_3gpuE8ELNS1_3repE0EEENS1_30default_config_static_selectorELNS0_4arch9wavefront6targetE0EEEvS12_
		.amdhsa_group_segment_fixed_size 0
		.amdhsa_private_segment_fixed_size 0
		.amdhsa_kernarg_size 176
		.amdhsa_user_sgpr_count 2
		.amdhsa_user_sgpr_dispatch_ptr 0
		.amdhsa_user_sgpr_queue_ptr 0
		.amdhsa_user_sgpr_kernarg_segment_ptr 1
		.amdhsa_user_sgpr_dispatch_id 0
		.amdhsa_user_sgpr_kernarg_preload_length 0
		.amdhsa_user_sgpr_kernarg_preload_offset 0
		.amdhsa_user_sgpr_private_segment_size 0
		.amdhsa_wavefront_size32 1
		.amdhsa_uses_dynamic_stack 0
		.amdhsa_enable_private_segment 0
		.amdhsa_system_sgpr_workgroup_id_x 1
		.amdhsa_system_sgpr_workgroup_id_y 0
		.amdhsa_system_sgpr_workgroup_id_z 0
		.amdhsa_system_sgpr_workgroup_info 0
		.amdhsa_system_vgpr_workitem_id 0
		.amdhsa_next_free_vgpr 1
		.amdhsa_next_free_sgpr 1
		.amdhsa_named_barrier_count 0
		.amdhsa_reserve_vcc 0
		.amdhsa_float_round_mode_32 0
		.amdhsa_float_round_mode_16_64 0
		.amdhsa_float_denorm_mode_32 3
		.amdhsa_float_denorm_mode_16_64 3
		.amdhsa_fp16_overflow 0
		.amdhsa_memory_ordered 1
		.amdhsa_forward_progress 1
		.amdhsa_inst_pref_size 0
		.amdhsa_round_robin_scheduling 0
		.amdhsa_exception_fp_ieee_invalid_op 0
		.amdhsa_exception_fp_denorm_src 0
		.amdhsa_exception_fp_ieee_div_zero 0
		.amdhsa_exception_fp_ieee_overflow 0
		.amdhsa_exception_fp_ieee_underflow 0
		.amdhsa_exception_fp_ieee_inexact 0
		.amdhsa_exception_int_div_zero 0
	.end_amdhsa_kernel
	.section	.text._ZN7rocprim17ROCPRIM_400000_NS6detail17trampoline_kernelINS0_13select_configILj256ELj13ELNS0_17block_load_methodE3ELS4_3ELS4_3ELNS0_20block_scan_algorithmE0ELj4294967295EEENS1_25partition_config_selectorILNS1_17partition_subalgoE4EjNS0_10empty_typeEbEEZZNS1_14partition_implILS8_4ELb0ES6_15HIP_vector_typeIjLj2EENS0_17counting_iteratorIjlEEPS9_SG_NS0_5tupleIJPjSI_NS0_16reverse_iteratorISI_EEEEENSH_IJSG_SG_SG_EEES9_SI_JZNS1_25segmented_radix_sort_implINS0_14default_configELb0EPKdPdPKlPlN2at6native12_GLOBAL__N_18offset_tEEE10hipError_tPvRmT1_PNSt15iterator_traitsIS12_E10value_typeET2_T3_PNS13_IS18_E10value_typeET4_jRbjT5_S1E_jjP12ihipStream_tbEUljE_ZNSN_ISO_Lb0ESQ_SR_ST_SU_SY_EESZ_S10_S11_S12_S16_S17_S18_S1B_S1C_jS1D_jS1E_S1E_jjS1G_bEUljE0_EEESZ_S10_S11_S18_S1C_S1E_T6_T7_T9_mT8_S1G_bDpT10_ENKUlT_T0_E_clISt17integral_constantIbLb1EES1T_IbLb0EEEEDaS1P_S1Q_EUlS1P_E_NS1_11comp_targetILNS1_3genE4ELNS1_11target_archE910ELNS1_3gpuE8ELNS1_3repE0EEENS1_30default_config_static_selectorELNS0_4arch9wavefront6targetE0EEEvS12_,"axG",@progbits,_ZN7rocprim17ROCPRIM_400000_NS6detail17trampoline_kernelINS0_13select_configILj256ELj13ELNS0_17block_load_methodE3ELS4_3ELS4_3ELNS0_20block_scan_algorithmE0ELj4294967295EEENS1_25partition_config_selectorILNS1_17partition_subalgoE4EjNS0_10empty_typeEbEEZZNS1_14partition_implILS8_4ELb0ES6_15HIP_vector_typeIjLj2EENS0_17counting_iteratorIjlEEPS9_SG_NS0_5tupleIJPjSI_NS0_16reverse_iteratorISI_EEEEENSH_IJSG_SG_SG_EEES9_SI_JZNS1_25segmented_radix_sort_implINS0_14default_configELb0EPKdPdPKlPlN2at6native12_GLOBAL__N_18offset_tEEE10hipError_tPvRmT1_PNSt15iterator_traitsIS12_E10value_typeET2_T3_PNS13_IS18_E10value_typeET4_jRbjT5_S1E_jjP12ihipStream_tbEUljE_ZNSN_ISO_Lb0ESQ_SR_ST_SU_SY_EESZ_S10_S11_S12_S16_S17_S18_S1B_S1C_jS1D_jS1E_S1E_jjS1G_bEUljE0_EEESZ_S10_S11_S18_S1C_S1E_T6_T7_T9_mT8_S1G_bDpT10_ENKUlT_T0_E_clISt17integral_constantIbLb1EES1T_IbLb0EEEEDaS1P_S1Q_EUlS1P_E_NS1_11comp_targetILNS1_3genE4ELNS1_11target_archE910ELNS1_3gpuE8ELNS1_3repE0EEENS1_30default_config_static_selectorELNS0_4arch9wavefront6targetE0EEEvS12_,comdat
.Lfunc_end1169:
	.size	_ZN7rocprim17ROCPRIM_400000_NS6detail17trampoline_kernelINS0_13select_configILj256ELj13ELNS0_17block_load_methodE3ELS4_3ELS4_3ELNS0_20block_scan_algorithmE0ELj4294967295EEENS1_25partition_config_selectorILNS1_17partition_subalgoE4EjNS0_10empty_typeEbEEZZNS1_14partition_implILS8_4ELb0ES6_15HIP_vector_typeIjLj2EENS0_17counting_iteratorIjlEEPS9_SG_NS0_5tupleIJPjSI_NS0_16reverse_iteratorISI_EEEEENSH_IJSG_SG_SG_EEES9_SI_JZNS1_25segmented_radix_sort_implINS0_14default_configELb0EPKdPdPKlPlN2at6native12_GLOBAL__N_18offset_tEEE10hipError_tPvRmT1_PNSt15iterator_traitsIS12_E10value_typeET2_T3_PNS13_IS18_E10value_typeET4_jRbjT5_S1E_jjP12ihipStream_tbEUljE_ZNSN_ISO_Lb0ESQ_SR_ST_SU_SY_EESZ_S10_S11_S12_S16_S17_S18_S1B_S1C_jS1D_jS1E_S1E_jjS1G_bEUljE0_EEESZ_S10_S11_S18_S1C_S1E_T6_T7_T9_mT8_S1G_bDpT10_ENKUlT_T0_E_clISt17integral_constantIbLb1EES1T_IbLb0EEEEDaS1P_S1Q_EUlS1P_E_NS1_11comp_targetILNS1_3genE4ELNS1_11target_archE910ELNS1_3gpuE8ELNS1_3repE0EEENS1_30default_config_static_selectorELNS0_4arch9wavefront6targetE0EEEvS12_, .Lfunc_end1169-_ZN7rocprim17ROCPRIM_400000_NS6detail17trampoline_kernelINS0_13select_configILj256ELj13ELNS0_17block_load_methodE3ELS4_3ELS4_3ELNS0_20block_scan_algorithmE0ELj4294967295EEENS1_25partition_config_selectorILNS1_17partition_subalgoE4EjNS0_10empty_typeEbEEZZNS1_14partition_implILS8_4ELb0ES6_15HIP_vector_typeIjLj2EENS0_17counting_iteratorIjlEEPS9_SG_NS0_5tupleIJPjSI_NS0_16reverse_iteratorISI_EEEEENSH_IJSG_SG_SG_EEES9_SI_JZNS1_25segmented_radix_sort_implINS0_14default_configELb0EPKdPdPKlPlN2at6native12_GLOBAL__N_18offset_tEEE10hipError_tPvRmT1_PNSt15iterator_traitsIS12_E10value_typeET2_T3_PNS13_IS18_E10value_typeET4_jRbjT5_S1E_jjP12ihipStream_tbEUljE_ZNSN_ISO_Lb0ESQ_SR_ST_SU_SY_EESZ_S10_S11_S12_S16_S17_S18_S1B_S1C_jS1D_jS1E_S1E_jjS1G_bEUljE0_EEESZ_S10_S11_S18_S1C_S1E_T6_T7_T9_mT8_S1G_bDpT10_ENKUlT_T0_E_clISt17integral_constantIbLb1EES1T_IbLb0EEEEDaS1P_S1Q_EUlS1P_E_NS1_11comp_targetILNS1_3genE4ELNS1_11target_archE910ELNS1_3gpuE8ELNS1_3repE0EEENS1_30default_config_static_selectorELNS0_4arch9wavefront6targetE0EEEvS12_
                                        ; -- End function
	.set _ZN7rocprim17ROCPRIM_400000_NS6detail17trampoline_kernelINS0_13select_configILj256ELj13ELNS0_17block_load_methodE3ELS4_3ELS4_3ELNS0_20block_scan_algorithmE0ELj4294967295EEENS1_25partition_config_selectorILNS1_17partition_subalgoE4EjNS0_10empty_typeEbEEZZNS1_14partition_implILS8_4ELb0ES6_15HIP_vector_typeIjLj2EENS0_17counting_iteratorIjlEEPS9_SG_NS0_5tupleIJPjSI_NS0_16reverse_iteratorISI_EEEEENSH_IJSG_SG_SG_EEES9_SI_JZNS1_25segmented_radix_sort_implINS0_14default_configELb0EPKdPdPKlPlN2at6native12_GLOBAL__N_18offset_tEEE10hipError_tPvRmT1_PNSt15iterator_traitsIS12_E10value_typeET2_T3_PNS13_IS18_E10value_typeET4_jRbjT5_S1E_jjP12ihipStream_tbEUljE_ZNSN_ISO_Lb0ESQ_SR_ST_SU_SY_EESZ_S10_S11_S12_S16_S17_S18_S1B_S1C_jS1D_jS1E_S1E_jjS1G_bEUljE0_EEESZ_S10_S11_S18_S1C_S1E_T6_T7_T9_mT8_S1G_bDpT10_ENKUlT_T0_E_clISt17integral_constantIbLb1EES1T_IbLb0EEEEDaS1P_S1Q_EUlS1P_E_NS1_11comp_targetILNS1_3genE4ELNS1_11target_archE910ELNS1_3gpuE8ELNS1_3repE0EEENS1_30default_config_static_selectorELNS0_4arch9wavefront6targetE0EEEvS12_.num_vgpr, 0
	.set _ZN7rocprim17ROCPRIM_400000_NS6detail17trampoline_kernelINS0_13select_configILj256ELj13ELNS0_17block_load_methodE3ELS4_3ELS4_3ELNS0_20block_scan_algorithmE0ELj4294967295EEENS1_25partition_config_selectorILNS1_17partition_subalgoE4EjNS0_10empty_typeEbEEZZNS1_14partition_implILS8_4ELb0ES6_15HIP_vector_typeIjLj2EENS0_17counting_iteratorIjlEEPS9_SG_NS0_5tupleIJPjSI_NS0_16reverse_iteratorISI_EEEEENSH_IJSG_SG_SG_EEES9_SI_JZNS1_25segmented_radix_sort_implINS0_14default_configELb0EPKdPdPKlPlN2at6native12_GLOBAL__N_18offset_tEEE10hipError_tPvRmT1_PNSt15iterator_traitsIS12_E10value_typeET2_T3_PNS13_IS18_E10value_typeET4_jRbjT5_S1E_jjP12ihipStream_tbEUljE_ZNSN_ISO_Lb0ESQ_SR_ST_SU_SY_EESZ_S10_S11_S12_S16_S17_S18_S1B_S1C_jS1D_jS1E_S1E_jjS1G_bEUljE0_EEESZ_S10_S11_S18_S1C_S1E_T6_T7_T9_mT8_S1G_bDpT10_ENKUlT_T0_E_clISt17integral_constantIbLb1EES1T_IbLb0EEEEDaS1P_S1Q_EUlS1P_E_NS1_11comp_targetILNS1_3genE4ELNS1_11target_archE910ELNS1_3gpuE8ELNS1_3repE0EEENS1_30default_config_static_selectorELNS0_4arch9wavefront6targetE0EEEvS12_.num_agpr, 0
	.set _ZN7rocprim17ROCPRIM_400000_NS6detail17trampoline_kernelINS0_13select_configILj256ELj13ELNS0_17block_load_methodE3ELS4_3ELS4_3ELNS0_20block_scan_algorithmE0ELj4294967295EEENS1_25partition_config_selectorILNS1_17partition_subalgoE4EjNS0_10empty_typeEbEEZZNS1_14partition_implILS8_4ELb0ES6_15HIP_vector_typeIjLj2EENS0_17counting_iteratorIjlEEPS9_SG_NS0_5tupleIJPjSI_NS0_16reverse_iteratorISI_EEEEENSH_IJSG_SG_SG_EEES9_SI_JZNS1_25segmented_radix_sort_implINS0_14default_configELb0EPKdPdPKlPlN2at6native12_GLOBAL__N_18offset_tEEE10hipError_tPvRmT1_PNSt15iterator_traitsIS12_E10value_typeET2_T3_PNS13_IS18_E10value_typeET4_jRbjT5_S1E_jjP12ihipStream_tbEUljE_ZNSN_ISO_Lb0ESQ_SR_ST_SU_SY_EESZ_S10_S11_S12_S16_S17_S18_S1B_S1C_jS1D_jS1E_S1E_jjS1G_bEUljE0_EEESZ_S10_S11_S18_S1C_S1E_T6_T7_T9_mT8_S1G_bDpT10_ENKUlT_T0_E_clISt17integral_constantIbLb1EES1T_IbLb0EEEEDaS1P_S1Q_EUlS1P_E_NS1_11comp_targetILNS1_3genE4ELNS1_11target_archE910ELNS1_3gpuE8ELNS1_3repE0EEENS1_30default_config_static_selectorELNS0_4arch9wavefront6targetE0EEEvS12_.numbered_sgpr, 0
	.set _ZN7rocprim17ROCPRIM_400000_NS6detail17trampoline_kernelINS0_13select_configILj256ELj13ELNS0_17block_load_methodE3ELS4_3ELS4_3ELNS0_20block_scan_algorithmE0ELj4294967295EEENS1_25partition_config_selectorILNS1_17partition_subalgoE4EjNS0_10empty_typeEbEEZZNS1_14partition_implILS8_4ELb0ES6_15HIP_vector_typeIjLj2EENS0_17counting_iteratorIjlEEPS9_SG_NS0_5tupleIJPjSI_NS0_16reverse_iteratorISI_EEEEENSH_IJSG_SG_SG_EEES9_SI_JZNS1_25segmented_radix_sort_implINS0_14default_configELb0EPKdPdPKlPlN2at6native12_GLOBAL__N_18offset_tEEE10hipError_tPvRmT1_PNSt15iterator_traitsIS12_E10value_typeET2_T3_PNS13_IS18_E10value_typeET4_jRbjT5_S1E_jjP12ihipStream_tbEUljE_ZNSN_ISO_Lb0ESQ_SR_ST_SU_SY_EESZ_S10_S11_S12_S16_S17_S18_S1B_S1C_jS1D_jS1E_S1E_jjS1G_bEUljE0_EEESZ_S10_S11_S18_S1C_S1E_T6_T7_T9_mT8_S1G_bDpT10_ENKUlT_T0_E_clISt17integral_constantIbLb1EES1T_IbLb0EEEEDaS1P_S1Q_EUlS1P_E_NS1_11comp_targetILNS1_3genE4ELNS1_11target_archE910ELNS1_3gpuE8ELNS1_3repE0EEENS1_30default_config_static_selectorELNS0_4arch9wavefront6targetE0EEEvS12_.num_named_barrier, 0
	.set _ZN7rocprim17ROCPRIM_400000_NS6detail17trampoline_kernelINS0_13select_configILj256ELj13ELNS0_17block_load_methodE3ELS4_3ELS4_3ELNS0_20block_scan_algorithmE0ELj4294967295EEENS1_25partition_config_selectorILNS1_17partition_subalgoE4EjNS0_10empty_typeEbEEZZNS1_14partition_implILS8_4ELb0ES6_15HIP_vector_typeIjLj2EENS0_17counting_iteratorIjlEEPS9_SG_NS0_5tupleIJPjSI_NS0_16reverse_iteratorISI_EEEEENSH_IJSG_SG_SG_EEES9_SI_JZNS1_25segmented_radix_sort_implINS0_14default_configELb0EPKdPdPKlPlN2at6native12_GLOBAL__N_18offset_tEEE10hipError_tPvRmT1_PNSt15iterator_traitsIS12_E10value_typeET2_T3_PNS13_IS18_E10value_typeET4_jRbjT5_S1E_jjP12ihipStream_tbEUljE_ZNSN_ISO_Lb0ESQ_SR_ST_SU_SY_EESZ_S10_S11_S12_S16_S17_S18_S1B_S1C_jS1D_jS1E_S1E_jjS1G_bEUljE0_EEESZ_S10_S11_S18_S1C_S1E_T6_T7_T9_mT8_S1G_bDpT10_ENKUlT_T0_E_clISt17integral_constantIbLb1EES1T_IbLb0EEEEDaS1P_S1Q_EUlS1P_E_NS1_11comp_targetILNS1_3genE4ELNS1_11target_archE910ELNS1_3gpuE8ELNS1_3repE0EEENS1_30default_config_static_selectorELNS0_4arch9wavefront6targetE0EEEvS12_.private_seg_size, 0
	.set _ZN7rocprim17ROCPRIM_400000_NS6detail17trampoline_kernelINS0_13select_configILj256ELj13ELNS0_17block_load_methodE3ELS4_3ELS4_3ELNS0_20block_scan_algorithmE0ELj4294967295EEENS1_25partition_config_selectorILNS1_17partition_subalgoE4EjNS0_10empty_typeEbEEZZNS1_14partition_implILS8_4ELb0ES6_15HIP_vector_typeIjLj2EENS0_17counting_iteratorIjlEEPS9_SG_NS0_5tupleIJPjSI_NS0_16reverse_iteratorISI_EEEEENSH_IJSG_SG_SG_EEES9_SI_JZNS1_25segmented_radix_sort_implINS0_14default_configELb0EPKdPdPKlPlN2at6native12_GLOBAL__N_18offset_tEEE10hipError_tPvRmT1_PNSt15iterator_traitsIS12_E10value_typeET2_T3_PNS13_IS18_E10value_typeET4_jRbjT5_S1E_jjP12ihipStream_tbEUljE_ZNSN_ISO_Lb0ESQ_SR_ST_SU_SY_EESZ_S10_S11_S12_S16_S17_S18_S1B_S1C_jS1D_jS1E_S1E_jjS1G_bEUljE0_EEESZ_S10_S11_S18_S1C_S1E_T6_T7_T9_mT8_S1G_bDpT10_ENKUlT_T0_E_clISt17integral_constantIbLb1EES1T_IbLb0EEEEDaS1P_S1Q_EUlS1P_E_NS1_11comp_targetILNS1_3genE4ELNS1_11target_archE910ELNS1_3gpuE8ELNS1_3repE0EEENS1_30default_config_static_selectorELNS0_4arch9wavefront6targetE0EEEvS12_.uses_vcc, 0
	.set _ZN7rocprim17ROCPRIM_400000_NS6detail17trampoline_kernelINS0_13select_configILj256ELj13ELNS0_17block_load_methodE3ELS4_3ELS4_3ELNS0_20block_scan_algorithmE0ELj4294967295EEENS1_25partition_config_selectorILNS1_17partition_subalgoE4EjNS0_10empty_typeEbEEZZNS1_14partition_implILS8_4ELb0ES6_15HIP_vector_typeIjLj2EENS0_17counting_iteratorIjlEEPS9_SG_NS0_5tupleIJPjSI_NS0_16reverse_iteratorISI_EEEEENSH_IJSG_SG_SG_EEES9_SI_JZNS1_25segmented_radix_sort_implINS0_14default_configELb0EPKdPdPKlPlN2at6native12_GLOBAL__N_18offset_tEEE10hipError_tPvRmT1_PNSt15iterator_traitsIS12_E10value_typeET2_T3_PNS13_IS18_E10value_typeET4_jRbjT5_S1E_jjP12ihipStream_tbEUljE_ZNSN_ISO_Lb0ESQ_SR_ST_SU_SY_EESZ_S10_S11_S12_S16_S17_S18_S1B_S1C_jS1D_jS1E_S1E_jjS1G_bEUljE0_EEESZ_S10_S11_S18_S1C_S1E_T6_T7_T9_mT8_S1G_bDpT10_ENKUlT_T0_E_clISt17integral_constantIbLb1EES1T_IbLb0EEEEDaS1P_S1Q_EUlS1P_E_NS1_11comp_targetILNS1_3genE4ELNS1_11target_archE910ELNS1_3gpuE8ELNS1_3repE0EEENS1_30default_config_static_selectorELNS0_4arch9wavefront6targetE0EEEvS12_.uses_flat_scratch, 0
	.set _ZN7rocprim17ROCPRIM_400000_NS6detail17trampoline_kernelINS0_13select_configILj256ELj13ELNS0_17block_load_methodE3ELS4_3ELS4_3ELNS0_20block_scan_algorithmE0ELj4294967295EEENS1_25partition_config_selectorILNS1_17partition_subalgoE4EjNS0_10empty_typeEbEEZZNS1_14partition_implILS8_4ELb0ES6_15HIP_vector_typeIjLj2EENS0_17counting_iteratorIjlEEPS9_SG_NS0_5tupleIJPjSI_NS0_16reverse_iteratorISI_EEEEENSH_IJSG_SG_SG_EEES9_SI_JZNS1_25segmented_radix_sort_implINS0_14default_configELb0EPKdPdPKlPlN2at6native12_GLOBAL__N_18offset_tEEE10hipError_tPvRmT1_PNSt15iterator_traitsIS12_E10value_typeET2_T3_PNS13_IS18_E10value_typeET4_jRbjT5_S1E_jjP12ihipStream_tbEUljE_ZNSN_ISO_Lb0ESQ_SR_ST_SU_SY_EESZ_S10_S11_S12_S16_S17_S18_S1B_S1C_jS1D_jS1E_S1E_jjS1G_bEUljE0_EEESZ_S10_S11_S18_S1C_S1E_T6_T7_T9_mT8_S1G_bDpT10_ENKUlT_T0_E_clISt17integral_constantIbLb1EES1T_IbLb0EEEEDaS1P_S1Q_EUlS1P_E_NS1_11comp_targetILNS1_3genE4ELNS1_11target_archE910ELNS1_3gpuE8ELNS1_3repE0EEENS1_30default_config_static_selectorELNS0_4arch9wavefront6targetE0EEEvS12_.has_dyn_sized_stack, 0
	.set _ZN7rocprim17ROCPRIM_400000_NS6detail17trampoline_kernelINS0_13select_configILj256ELj13ELNS0_17block_load_methodE3ELS4_3ELS4_3ELNS0_20block_scan_algorithmE0ELj4294967295EEENS1_25partition_config_selectorILNS1_17partition_subalgoE4EjNS0_10empty_typeEbEEZZNS1_14partition_implILS8_4ELb0ES6_15HIP_vector_typeIjLj2EENS0_17counting_iteratorIjlEEPS9_SG_NS0_5tupleIJPjSI_NS0_16reverse_iteratorISI_EEEEENSH_IJSG_SG_SG_EEES9_SI_JZNS1_25segmented_radix_sort_implINS0_14default_configELb0EPKdPdPKlPlN2at6native12_GLOBAL__N_18offset_tEEE10hipError_tPvRmT1_PNSt15iterator_traitsIS12_E10value_typeET2_T3_PNS13_IS18_E10value_typeET4_jRbjT5_S1E_jjP12ihipStream_tbEUljE_ZNSN_ISO_Lb0ESQ_SR_ST_SU_SY_EESZ_S10_S11_S12_S16_S17_S18_S1B_S1C_jS1D_jS1E_S1E_jjS1G_bEUljE0_EEESZ_S10_S11_S18_S1C_S1E_T6_T7_T9_mT8_S1G_bDpT10_ENKUlT_T0_E_clISt17integral_constantIbLb1EES1T_IbLb0EEEEDaS1P_S1Q_EUlS1P_E_NS1_11comp_targetILNS1_3genE4ELNS1_11target_archE910ELNS1_3gpuE8ELNS1_3repE0EEENS1_30default_config_static_selectorELNS0_4arch9wavefront6targetE0EEEvS12_.has_recursion, 0
	.set _ZN7rocprim17ROCPRIM_400000_NS6detail17trampoline_kernelINS0_13select_configILj256ELj13ELNS0_17block_load_methodE3ELS4_3ELS4_3ELNS0_20block_scan_algorithmE0ELj4294967295EEENS1_25partition_config_selectorILNS1_17partition_subalgoE4EjNS0_10empty_typeEbEEZZNS1_14partition_implILS8_4ELb0ES6_15HIP_vector_typeIjLj2EENS0_17counting_iteratorIjlEEPS9_SG_NS0_5tupleIJPjSI_NS0_16reverse_iteratorISI_EEEEENSH_IJSG_SG_SG_EEES9_SI_JZNS1_25segmented_radix_sort_implINS0_14default_configELb0EPKdPdPKlPlN2at6native12_GLOBAL__N_18offset_tEEE10hipError_tPvRmT1_PNSt15iterator_traitsIS12_E10value_typeET2_T3_PNS13_IS18_E10value_typeET4_jRbjT5_S1E_jjP12ihipStream_tbEUljE_ZNSN_ISO_Lb0ESQ_SR_ST_SU_SY_EESZ_S10_S11_S12_S16_S17_S18_S1B_S1C_jS1D_jS1E_S1E_jjS1G_bEUljE0_EEESZ_S10_S11_S18_S1C_S1E_T6_T7_T9_mT8_S1G_bDpT10_ENKUlT_T0_E_clISt17integral_constantIbLb1EES1T_IbLb0EEEEDaS1P_S1Q_EUlS1P_E_NS1_11comp_targetILNS1_3genE4ELNS1_11target_archE910ELNS1_3gpuE8ELNS1_3repE0EEENS1_30default_config_static_selectorELNS0_4arch9wavefront6targetE0EEEvS12_.has_indirect_call, 0
	.section	.AMDGPU.csdata,"",@progbits
; Kernel info:
; codeLenInByte = 0
; TotalNumSgprs: 0
; NumVgprs: 0
; ScratchSize: 0
; MemoryBound: 0
; FloatMode: 240
; IeeeMode: 1
; LDSByteSize: 0 bytes/workgroup (compile time only)
; SGPRBlocks: 0
; VGPRBlocks: 0
; NumSGPRsForWavesPerEU: 1
; NumVGPRsForWavesPerEU: 1
; NamedBarCnt: 0
; Occupancy: 16
; WaveLimiterHint : 0
; COMPUTE_PGM_RSRC2:SCRATCH_EN: 0
; COMPUTE_PGM_RSRC2:USER_SGPR: 2
; COMPUTE_PGM_RSRC2:TRAP_HANDLER: 0
; COMPUTE_PGM_RSRC2:TGID_X_EN: 1
; COMPUTE_PGM_RSRC2:TGID_Y_EN: 0
; COMPUTE_PGM_RSRC2:TGID_Z_EN: 0
; COMPUTE_PGM_RSRC2:TIDIG_COMP_CNT: 0
	.section	.text._ZN7rocprim17ROCPRIM_400000_NS6detail17trampoline_kernelINS0_13select_configILj256ELj13ELNS0_17block_load_methodE3ELS4_3ELS4_3ELNS0_20block_scan_algorithmE0ELj4294967295EEENS1_25partition_config_selectorILNS1_17partition_subalgoE4EjNS0_10empty_typeEbEEZZNS1_14partition_implILS8_4ELb0ES6_15HIP_vector_typeIjLj2EENS0_17counting_iteratorIjlEEPS9_SG_NS0_5tupleIJPjSI_NS0_16reverse_iteratorISI_EEEEENSH_IJSG_SG_SG_EEES9_SI_JZNS1_25segmented_radix_sort_implINS0_14default_configELb0EPKdPdPKlPlN2at6native12_GLOBAL__N_18offset_tEEE10hipError_tPvRmT1_PNSt15iterator_traitsIS12_E10value_typeET2_T3_PNS13_IS18_E10value_typeET4_jRbjT5_S1E_jjP12ihipStream_tbEUljE_ZNSN_ISO_Lb0ESQ_SR_ST_SU_SY_EESZ_S10_S11_S12_S16_S17_S18_S1B_S1C_jS1D_jS1E_S1E_jjS1G_bEUljE0_EEESZ_S10_S11_S18_S1C_S1E_T6_T7_T9_mT8_S1G_bDpT10_ENKUlT_T0_E_clISt17integral_constantIbLb1EES1T_IbLb0EEEEDaS1P_S1Q_EUlS1P_E_NS1_11comp_targetILNS1_3genE3ELNS1_11target_archE908ELNS1_3gpuE7ELNS1_3repE0EEENS1_30default_config_static_selectorELNS0_4arch9wavefront6targetE0EEEvS12_,"axG",@progbits,_ZN7rocprim17ROCPRIM_400000_NS6detail17trampoline_kernelINS0_13select_configILj256ELj13ELNS0_17block_load_methodE3ELS4_3ELS4_3ELNS0_20block_scan_algorithmE0ELj4294967295EEENS1_25partition_config_selectorILNS1_17partition_subalgoE4EjNS0_10empty_typeEbEEZZNS1_14partition_implILS8_4ELb0ES6_15HIP_vector_typeIjLj2EENS0_17counting_iteratorIjlEEPS9_SG_NS0_5tupleIJPjSI_NS0_16reverse_iteratorISI_EEEEENSH_IJSG_SG_SG_EEES9_SI_JZNS1_25segmented_radix_sort_implINS0_14default_configELb0EPKdPdPKlPlN2at6native12_GLOBAL__N_18offset_tEEE10hipError_tPvRmT1_PNSt15iterator_traitsIS12_E10value_typeET2_T3_PNS13_IS18_E10value_typeET4_jRbjT5_S1E_jjP12ihipStream_tbEUljE_ZNSN_ISO_Lb0ESQ_SR_ST_SU_SY_EESZ_S10_S11_S12_S16_S17_S18_S1B_S1C_jS1D_jS1E_S1E_jjS1G_bEUljE0_EEESZ_S10_S11_S18_S1C_S1E_T6_T7_T9_mT8_S1G_bDpT10_ENKUlT_T0_E_clISt17integral_constantIbLb1EES1T_IbLb0EEEEDaS1P_S1Q_EUlS1P_E_NS1_11comp_targetILNS1_3genE3ELNS1_11target_archE908ELNS1_3gpuE7ELNS1_3repE0EEENS1_30default_config_static_selectorELNS0_4arch9wavefront6targetE0EEEvS12_,comdat
	.globl	_ZN7rocprim17ROCPRIM_400000_NS6detail17trampoline_kernelINS0_13select_configILj256ELj13ELNS0_17block_load_methodE3ELS4_3ELS4_3ELNS0_20block_scan_algorithmE0ELj4294967295EEENS1_25partition_config_selectorILNS1_17partition_subalgoE4EjNS0_10empty_typeEbEEZZNS1_14partition_implILS8_4ELb0ES6_15HIP_vector_typeIjLj2EENS0_17counting_iteratorIjlEEPS9_SG_NS0_5tupleIJPjSI_NS0_16reverse_iteratorISI_EEEEENSH_IJSG_SG_SG_EEES9_SI_JZNS1_25segmented_radix_sort_implINS0_14default_configELb0EPKdPdPKlPlN2at6native12_GLOBAL__N_18offset_tEEE10hipError_tPvRmT1_PNSt15iterator_traitsIS12_E10value_typeET2_T3_PNS13_IS18_E10value_typeET4_jRbjT5_S1E_jjP12ihipStream_tbEUljE_ZNSN_ISO_Lb0ESQ_SR_ST_SU_SY_EESZ_S10_S11_S12_S16_S17_S18_S1B_S1C_jS1D_jS1E_S1E_jjS1G_bEUljE0_EEESZ_S10_S11_S18_S1C_S1E_T6_T7_T9_mT8_S1G_bDpT10_ENKUlT_T0_E_clISt17integral_constantIbLb1EES1T_IbLb0EEEEDaS1P_S1Q_EUlS1P_E_NS1_11comp_targetILNS1_3genE3ELNS1_11target_archE908ELNS1_3gpuE7ELNS1_3repE0EEENS1_30default_config_static_selectorELNS0_4arch9wavefront6targetE0EEEvS12_ ; -- Begin function _ZN7rocprim17ROCPRIM_400000_NS6detail17trampoline_kernelINS0_13select_configILj256ELj13ELNS0_17block_load_methodE3ELS4_3ELS4_3ELNS0_20block_scan_algorithmE0ELj4294967295EEENS1_25partition_config_selectorILNS1_17partition_subalgoE4EjNS0_10empty_typeEbEEZZNS1_14partition_implILS8_4ELb0ES6_15HIP_vector_typeIjLj2EENS0_17counting_iteratorIjlEEPS9_SG_NS0_5tupleIJPjSI_NS0_16reverse_iteratorISI_EEEEENSH_IJSG_SG_SG_EEES9_SI_JZNS1_25segmented_radix_sort_implINS0_14default_configELb0EPKdPdPKlPlN2at6native12_GLOBAL__N_18offset_tEEE10hipError_tPvRmT1_PNSt15iterator_traitsIS12_E10value_typeET2_T3_PNS13_IS18_E10value_typeET4_jRbjT5_S1E_jjP12ihipStream_tbEUljE_ZNSN_ISO_Lb0ESQ_SR_ST_SU_SY_EESZ_S10_S11_S12_S16_S17_S18_S1B_S1C_jS1D_jS1E_S1E_jjS1G_bEUljE0_EEESZ_S10_S11_S18_S1C_S1E_T6_T7_T9_mT8_S1G_bDpT10_ENKUlT_T0_E_clISt17integral_constantIbLb1EES1T_IbLb0EEEEDaS1P_S1Q_EUlS1P_E_NS1_11comp_targetILNS1_3genE3ELNS1_11target_archE908ELNS1_3gpuE7ELNS1_3repE0EEENS1_30default_config_static_selectorELNS0_4arch9wavefront6targetE0EEEvS12_
	.p2align	8
	.type	_ZN7rocprim17ROCPRIM_400000_NS6detail17trampoline_kernelINS0_13select_configILj256ELj13ELNS0_17block_load_methodE3ELS4_3ELS4_3ELNS0_20block_scan_algorithmE0ELj4294967295EEENS1_25partition_config_selectorILNS1_17partition_subalgoE4EjNS0_10empty_typeEbEEZZNS1_14partition_implILS8_4ELb0ES6_15HIP_vector_typeIjLj2EENS0_17counting_iteratorIjlEEPS9_SG_NS0_5tupleIJPjSI_NS0_16reverse_iteratorISI_EEEEENSH_IJSG_SG_SG_EEES9_SI_JZNS1_25segmented_radix_sort_implINS0_14default_configELb0EPKdPdPKlPlN2at6native12_GLOBAL__N_18offset_tEEE10hipError_tPvRmT1_PNSt15iterator_traitsIS12_E10value_typeET2_T3_PNS13_IS18_E10value_typeET4_jRbjT5_S1E_jjP12ihipStream_tbEUljE_ZNSN_ISO_Lb0ESQ_SR_ST_SU_SY_EESZ_S10_S11_S12_S16_S17_S18_S1B_S1C_jS1D_jS1E_S1E_jjS1G_bEUljE0_EEESZ_S10_S11_S18_S1C_S1E_T6_T7_T9_mT8_S1G_bDpT10_ENKUlT_T0_E_clISt17integral_constantIbLb1EES1T_IbLb0EEEEDaS1P_S1Q_EUlS1P_E_NS1_11comp_targetILNS1_3genE3ELNS1_11target_archE908ELNS1_3gpuE7ELNS1_3repE0EEENS1_30default_config_static_selectorELNS0_4arch9wavefront6targetE0EEEvS12_,@function
_ZN7rocprim17ROCPRIM_400000_NS6detail17trampoline_kernelINS0_13select_configILj256ELj13ELNS0_17block_load_methodE3ELS4_3ELS4_3ELNS0_20block_scan_algorithmE0ELj4294967295EEENS1_25partition_config_selectorILNS1_17partition_subalgoE4EjNS0_10empty_typeEbEEZZNS1_14partition_implILS8_4ELb0ES6_15HIP_vector_typeIjLj2EENS0_17counting_iteratorIjlEEPS9_SG_NS0_5tupleIJPjSI_NS0_16reverse_iteratorISI_EEEEENSH_IJSG_SG_SG_EEES9_SI_JZNS1_25segmented_radix_sort_implINS0_14default_configELb0EPKdPdPKlPlN2at6native12_GLOBAL__N_18offset_tEEE10hipError_tPvRmT1_PNSt15iterator_traitsIS12_E10value_typeET2_T3_PNS13_IS18_E10value_typeET4_jRbjT5_S1E_jjP12ihipStream_tbEUljE_ZNSN_ISO_Lb0ESQ_SR_ST_SU_SY_EESZ_S10_S11_S12_S16_S17_S18_S1B_S1C_jS1D_jS1E_S1E_jjS1G_bEUljE0_EEESZ_S10_S11_S18_S1C_S1E_T6_T7_T9_mT8_S1G_bDpT10_ENKUlT_T0_E_clISt17integral_constantIbLb1EES1T_IbLb0EEEEDaS1P_S1Q_EUlS1P_E_NS1_11comp_targetILNS1_3genE3ELNS1_11target_archE908ELNS1_3gpuE7ELNS1_3repE0EEENS1_30default_config_static_selectorELNS0_4arch9wavefront6targetE0EEEvS12_: ; @_ZN7rocprim17ROCPRIM_400000_NS6detail17trampoline_kernelINS0_13select_configILj256ELj13ELNS0_17block_load_methodE3ELS4_3ELS4_3ELNS0_20block_scan_algorithmE0ELj4294967295EEENS1_25partition_config_selectorILNS1_17partition_subalgoE4EjNS0_10empty_typeEbEEZZNS1_14partition_implILS8_4ELb0ES6_15HIP_vector_typeIjLj2EENS0_17counting_iteratorIjlEEPS9_SG_NS0_5tupleIJPjSI_NS0_16reverse_iteratorISI_EEEEENSH_IJSG_SG_SG_EEES9_SI_JZNS1_25segmented_radix_sort_implINS0_14default_configELb0EPKdPdPKlPlN2at6native12_GLOBAL__N_18offset_tEEE10hipError_tPvRmT1_PNSt15iterator_traitsIS12_E10value_typeET2_T3_PNS13_IS18_E10value_typeET4_jRbjT5_S1E_jjP12ihipStream_tbEUljE_ZNSN_ISO_Lb0ESQ_SR_ST_SU_SY_EESZ_S10_S11_S12_S16_S17_S18_S1B_S1C_jS1D_jS1E_S1E_jjS1G_bEUljE0_EEESZ_S10_S11_S18_S1C_S1E_T6_T7_T9_mT8_S1G_bDpT10_ENKUlT_T0_E_clISt17integral_constantIbLb1EES1T_IbLb0EEEEDaS1P_S1Q_EUlS1P_E_NS1_11comp_targetILNS1_3genE3ELNS1_11target_archE908ELNS1_3gpuE7ELNS1_3repE0EEENS1_30default_config_static_selectorELNS0_4arch9wavefront6targetE0EEEvS12_
; %bb.0:
	.section	.rodata,"a",@progbits
	.p2align	6, 0x0
	.amdhsa_kernel _ZN7rocprim17ROCPRIM_400000_NS6detail17trampoline_kernelINS0_13select_configILj256ELj13ELNS0_17block_load_methodE3ELS4_3ELS4_3ELNS0_20block_scan_algorithmE0ELj4294967295EEENS1_25partition_config_selectorILNS1_17partition_subalgoE4EjNS0_10empty_typeEbEEZZNS1_14partition_implILS8_4ELb0ES6_15HIP_vector_typeIjLj2EENS0_17counting_iteratorIjlEEPS9_SG_NS0_5tupleIJPjSI_NS0_16reverse_iteratorISI_EEEEENSH_IJSG_SG_SG_EEES9_SI_JZNS1_25segmented_radix_sort_implINS0_14default_configELb0EPKdPdPKlPlN2at6native12_GLOBAL__N_18offset_tEEE10hipError_tPvRmT1_PNSt15iterator_traitsIS12_E10value_typeET2_T3_PNS13_IS18_E10value_typeET4_jRbjT5_S1E_jjP12ihipStream_tbEUljE_ZNSN_ISO_Lb0ESQ_SR_ST_SU_SY_EESZ_S10_S11_S12_S16_S17_S18_S1B_S1C_jS1D_jS1E_S1E_jjS1G_bEUljE0_EEESZ_S10_S11_S18_S1C_S1E_T6_T7_T9_mT8_S1G_bDpT10_ENKUlT_T0_E_clISt17integral_constantIbLb1EES1T_IbLb0EEEEDaS1P_S1Q_EUlS1P_E_NS1_11comp_targetILNS1_3genE3ELNS1_11target_archE908ELNS1_3gpuE7ELNS1_3repE0EEENS1_30default_config_static_selectorELNS0_4arch9wavefront6targetE0EEEvS12_
		.amdhsa_group_segment_fixed_size 0
		.amdhsa_private_segment_fixed_size 0
		.amdhsa_kernarg_size 176
		.amdhsa_user_sgpr_count 2
		.amdhsa_user_sgpr_dispatch_ptr 0
		.amdhsa_user_sgpr_queue_ptr 0
		.amdhsa_user_sgpr_kernarg_segment_ptr 1
		.amdhsa_user_sgpr_dispatch_id 0
		.amdhsa_user_sgpr_kernarg_preload_length 0
		.amdhsa_user_sgpr_kernarg_preload_offset 0
		.amdhsa_user_sgpr_private_segment_size 0
		.amdhsa_wavefront_size32 1
		.amdhsa_uses_dynamic_stack 0
		.amdhsa_enable_private_segment 0
		.amdhsa_system_sgpr_workgroup_id_x 1
		.amdhsa_system_sgpr_workgroup_id_y 0
		.amdhsa_system_sgpr_workgroup_id_z 0
		.amdhsa_system_sgpr_workgroup_info 0
		.amdhsa_system_vgpr_workitem_id 0
		.amdhsa_next_free_vgpr 1
		.amdhsa_next_free_sgpr 1
		.amdhsa_named_barrier_count 0
		.amdhsa_reserve_vcc 0
		.amdhsa_float_round_mode_32 0
		.amdhsa_float_round_mode_16_64 0
		.amdhsa_float_denorm_mode_32 3
		.amdhsa_float_denorm_mode_16_64 3
		.amdhsa_fp16_overflow 0
		.amdhsa_memory_ordered 1
		.amdhsa_forward_progress 1
		.amdhsa_inst_pref_size 0
		.amdhsa_round_robin_scheduling 0
		.amdhsa_exception_fp_ieee_invalid_op 0
		.amdhsa_exception_fp_denorm_src 0
		.amdhsa_exception_fp_ieee_div_zero 0
		.amdhsa_exception_fp_ieee_overflow 0
		.amdhsa_exception_fp_ieee_underflow 0
		.amdhsa_exception_fp_ieee_inexact 0
		.amdhsa_exception_int_div_zero 0
	.end_amdhsa_kernel
	.section	.text._ZN7rocprim17ROCPRIM_400000_NS6detail17trampoline_kernelINS0_13select_configILj256ELj13ELNS0_17block_load_methodE3ELS4_3ELS4_3ELNS0_20block_scan_algorithmE0ELj4294967295EEENS1_25partition_config_selectorILNS1_17partition_subalgoE4EjNS0_10empty_typeEbEEZZNS1_14partition_implILS8_4ELb0ES6_15HIP_vector_typeIjLj2EENS0_17counting_iteratorIjlEEPS9_SG_NS0_5tupleIJPjSI_NS0_16reverse_iteratorISI_EEEEENSH_IJSG_SG_SG_EEES9_SI_JZNS1_25segmented_radix_sort_implINS0_14default_configELb0EPKdPdPKlPlN2at6native12_GLOBAL__N_18offset_tEEE10hipError_tPvRmT1_PNSt15iterator_traitsIS12_E10value_typeET2_T3_PNS13_IS18_E10value_typeET4_jRbjT5_S1E_jjP12ihipStream_tbEUljE_ZNSN_ISO_Lb0ESQ_SR_ST_SU_SY_EESZ_S10_S11_S12_S16_S17_S18_S1B_S1C_jS1D_jS1E_S1E_jjS1G_bEUljE0_EEESZ_S10_S11_S18_S1C_S1E_T6_T7_T9_mT8_S1G_bDpT10_ENKUlT_T0_E_clISt17integral_constantIbLb1EES1T_IbLb0EEEEDaS1P_S1Q_EUlS1P_E_NS1_11comp_targetILNS1_3genE3ELNS1_11target_archE908ELNS1_3gpuE7ELNS1_3repE0EEENS1_30default_config_static_selectorELNS0_4arch9wavefront6targetE0EEEvS12_,"axG",@progbits,_ZN7rocprim17ROCPRIM_400000_NS6detail17trampoline_kernelINS0_13select_configILj256ELj13ELNS0_17block_load_methodE3ELS4_3ELS4_3ELNS0_20block_scan_algorithmE0ELj4294967295EEENS1_25partition_config_selectorILNS1_17partition_subalgoE4EjNS0_10empty_typeEbEEZZNS1_14partition_implILS8_4ELb0ES6_15HIP_vector_typeIjLj2EENS0_17counting_iteratorIjlEEPS9_SG_NS0_5tupleIJPjSI_NS0_16reverse_iteratorISI_EEEEENSH_IJSG_SG_SG_EEES9_SI_JZNS1_25segmented_radix_sort_implINS0_14default_configELb0EPKdPdPKlPlN2at6native12_GLOBAL__N_18offset_tEEE10hipError_tPvRmT1_PNSt15iterator_traitsIS12_E10value_typeET2_T3_PNS13_IS18_E10value_typeET4_jRbjT5_S1E_jjP12ihipStream_tbEUljE_ZNSN_ISO_Lb0ESQ_SR_ST_SU_SY_EESZ_S10_S11_S12_S16_S17_S18_S1B_S1C_jS1D_jS1E_S1E_jjS1G_bEUljE0_EEESZ_S10_S11_S18_S1C_S1E_T6_T7_T9_mT8_S1G_bDpT10_ENKUlT_T0_E_clISt17integral_constantIbLb1EES1T_IbLb0EEEEDaS1P_S1Q_EUlS1P_E_NS1_11comp_targetILNS1_3genE3ELNS1_11target_archE908ELNS1_3gpuE7ELNS1_3repE0EEENS1_30default_config_static_selectorELNS0_4arch9wavefront6targetE0EEEvS12_,comdat
.Lfunc_end1170:
	.size	_ZN7rocprim17ROCPRIM_400000_NS6detail17trampoline_kernelINS0_13select_configILj256ELj13ELNS0_17block_load_methodE3ELS4_3ELS4_3ELNS0_20block_scan_algorithmE0ELj4294967295EEENS1_25partition_config_selectorILNS1_17partition_subalgoE4EjNS0_10empty_typeEbEEZZNS1_14partition_implILS8_4ELb0ES6_15HIP_vector_typeIjLj2EENS0_17counting_iteratorIjlEEPS9_SG_NS0_5tupleIJPjSI_NS0_16reverse_iteratorISI_EEEEENSH_IJSG_SG_SG_EEES9_SI_JZNS1_25segmented_radix_sort_implINS0_14default_configELb0EPKdPdPKlPlN2at6native12_GLOBAL__N_18offset_tEEE10hipError_tPvRmT1_PNSt15iterator_traitsIS12_E10value_typeET2_T3_PNS13_IS18_E10value_typeET4_jRbjT5_S1E_jjP12ihipStream_tbEUljE_ZNSN_ISO_Lb0ESQ_SR_ST_SU_SY_EESZ_S10_S11_S12_S16_S17_S18_S1B_S1C_jS1D_jS1E_S1E_jjS1G_bEUljE0_EEESZ_S10_S11_S18_S1C_S1E_T6_T7_T9_mT8_S1G_bDpT10_ENKUlT_T0_E_clISt17integral_constantIbLb1EES1T_IbLb0EEEEDaS1P_S1Q_EUlS1P_E_NS1_11comp_targetILNS1_3genE3ELNS1_11target_archE908ELNS1_3gpuE7ELNS1_3repE0EEENS1_30default_config_static_selectorELNS0_4arch9wavefront6targetE0EEEvS12_, .Lfunc_end1170-_ZN7rocprim17ROCPRIM_400000_NS6detail17trampoline_kernelINS0_13select_configILj256ELj13ELNS0_17block_load_methodE3ELS4_3ELS4_3ELNS0_20block_scan_algorithmE0ELj4294967295EEENS1_25partition_config_selectorILNS1_17partition_subalgoE4EjNS0_10empty_typeEbEEZZNS1_14partition_implILS8_4ELb0ES6_15HIP_vector_typeIjLj2EENS0_17counting_iteratorIjlEEPS9_SG_NS0_5tupleIJPjSI_NS0_16reverse_iteratorISI_EEEEENSH_IJSG_SG_SG_EEES9_SI_JZNS1_25segmented_radix_sort_implINS0_14default_configELb0EPKdPdPKlPlN2at6native12_GLOBAL__N_18offset_tEEE10hipError_tPvRmT1_PNSt15iterator_traitsIS12_E10value_typeET2_T3_PNS13_IS18_E10value_typeET4_jRbjT5_S1E_jjP12ihipStream_tbEUljE_ZNSN_ISO_Lb0ESQ_SR_ST_SU_SY_EESZ_S10_S11_S12_S16_S17_S18_S1B_S1C_jS1D_jS1E_S1E_jjS1G_bEUljE0_EEESZ_S10_S11_S18_S1C_S1E_T6_T7_T9_mT8_S1G_bDpT10_ENKUlT_T0_E_clISt17integral_constantIbLb1EES1T_IbLb0EEEEDaS1P_S1Q_EUlS1P_E_NS1_11comp_targetILNS1_3genE3ELNS1_11target_archE908ELNS1_3gpuE7ELNS1_3repE0EEENS1_30default_config_static_selectorELNS0_4arch9wavefront6targetE0EEEvS12_
                                        ; -- End function
	.set _ZN7rocprim17ROCPRIM_400000_NS6detail17trampoline_kernelINS0_13select_configILj256ELj13ELNS0_17block_load_methodE3ELS4_3ELS4_3ELNS0_20block_scan_algorithmE0ELj4294967295EEENS1_25partition_config_selectorILNS1_17partition_subalgoE4EjNS0_10empty_typeEbEEZZNS1_14partition_implILS8_4ELb0ES6_15HIP_vector_typeIjLj2EENS0_17counting_iteratorIjlEEPS9_SG_NS0_5tupleIJPjSI_NS0_16reverse_iteratorISI_EEEEENSH_IJSG_SG_SG_EEES9_SI_JZNS1_25segmented_radix_sort_implINS0_14default_configELb0EPKdPdPKlPlN2at6native12_GLOBAL__N_18offset_tEEE10hipError_tPvRmT1_PNSt15iterator_traitsIS12_E10value_typeET2_T3_PNS13_IS18_E10value_typeET4_jRbjT5_S1E_jjP12ihipStream_tbEUljE_ZNSN_ISO_Lb0ESQ_SR_ST_SU_SY_EESZ_S10_S11_S12_S16_S17_S18_S1B_S1C_jS1D_jS1E_S1E_jjS1G_bEUljE0_EEESZ_S10_S11_S18_S1C_S1E_T6_T7_T9_mT8_S1G_bDpT10_ENKUlT_T0_E_clISt17integral_constantIbLb1EES1T_IbLb0EEEEDaS1P_S1Q_EUlS1P_E_NS1_11comp_targetILNS1_3genE3ELNS1_11target_archE908ELNS1_3gpuE7ELNS1_3repE0EEENS1_30default_config_static_selectorELNS0_4arch9wavefront6targetE0EEEvS12_.num_vgpr, 0
	.set _ZN7rocprim17ROCPRIM_400000_NS6detail17trampoline_kernelINS0_13select_configILj256ELj13ELNS0_17block_load_methodE3ELS4_3ELS4_3ELNS0_20block_scan_algorithmE0ELj4294967295EEENS1_25partition_config_selectorILNS1_17partition_subalgoE4EjNS0_10empty_typeEbEEZZNS1_14partition_implILS8_4ELb0ES6_15HIP_vector_typeIjLj2EENS0_17counting_iteratorIjlEEPS9_SG_NS0_5tupleIJPjSI_NS0_16reverse_iteratorISI_EEEEENSH_IJSG_SG_SG_EEES9_SI_JZNS1_25segmented_radix_sort_implINS0_14default_configELb0EPKdPdPKlPlN2at6native12_GLOBAL__N_18offset_tEEE10hipError_tPvRmT1_PNSt15iterator_traitsIS12_E10value_typeET2_T3_PNS13_IS18_E10value_typeET4_jRbjT5_S1E_jjP12ihipStream_tbEUljE_ZNSN_ISO_Lb0ESQ_SR_ST_SU_SY_EESZ_S10_S11_S12_S16_S17_S18_S1B_S1C_jS1D_jS1E_S1E_jjS1G_bEUljE0_EEESZ_S10_S11_S18_S1C_S1E_T6_T7_T9_mT8_S1G_bDpT10_ENKUlT_T0_E_clISt17integral_constantIbLb1EES1T_IbLb0EEEEDaS1P_S1Q_EUlS1P_E_NS1_11comp_targetILNS1_3genE3ELNS1_11target_archE908ELNS1_3gpuE7ELNS1_3repE0EEENS1_30default_config_static_selectorELNS0_4arch9wavefront6targetE0EEEvS12_.num_agpr, 0
	.set _ZN7rocprim17ROCPRIM_400000_NS6detail17trampoline_kernelINS0_13select_configILj256ELj13ELNS0_17block_load_methodE3ELS4_3ELS4_3ELNS0_20block_scan_algorithmE0ELj4294967295EEENS1_25partition_config_selectorILNS1_17partition_subalgoE4EjNS0_10empty_typeEbEEZZNS1_14partition_implILS8_4ELb0ES6_15HIP_vector_typeIjLj2EENS0_17counting_iteratorIjlEEPS9_SG_NS0_5tupleIJPjSI_NS0_16reverse_iteratorISI_EEEEENSH_IJSG_SG_SG_EEES9_SI_JZNS1_25segmented_radix_sort_implINS0_14default_configELb0EPKdPdPKlPlN2at6native12_GLOBAL__N_18offset_tEEE10hipError_tPvRmT1_PNSt15iterator_traitsIS12_E10value_typeET2_T3_PNS13_IS18_E10value_typeET4_jRbjT5_S1E_jjP12ihipStream_tbEUljE_ZNSN_ISO_Lb0ESQ_SR_ST_SU_SY_EESZ_S10_S11_S12_S16_S17_S18_S1B_S1C_jS1D_jS1E_S1E_jjS1G_bEUljE0_EEESZ_S10_S11_S18_S1C_S1E_T6_T7_T9_mT8_S1G_bDpT10_ENKUlT_T0_E_clISt17integral_constantIbLb1EES1T_IbLb0EEEEDaS1P_S1Q_EUlS1P_E_NS1_11comp_targetILNS1_3genE3ELNS1_11target_archE908ELNS1_3gpuE7ELNS1_3repE0EEENS1_30default_config_static_selectorELNS0_4arch9wavefront6targetE0EEEvS12_.numbered_sgpr, 0
	.set _ZN7rocprim17ROCPRIM_400000_NS6detail17trampoline_kernelINS0_13select_configILj256ELj13ELNS0_17block_load_methodE3ELS4_3ELS4_3ELNS0_20block_scan_algorithmE0ELj4294967295EEENS1_25partition_config_selectorILNS1_17partition_subalgoE4EjNS0_10empty_typeEbEEZZNS1_14partition_implILS8_4ELb0ES6_15HIP_vector_typeIjLj2EENS0_17counting_iteratorIjlEEPS9_SG_NS0_5tupleIJPjSI_NS0_16reverse_iteratorISI_EEEEENSH_IJSG_SG_SG_EEES9_SI_JZNS1_25segmented_radix_sort_implINS0_14default_configELb0EPKdPdPKlPlN2at6native12_GLOBAL__N_18offset_tEEE10hipError_tPvRmT1_PNSt15iterator_traitsIS12_E10value_typeET2_T3_PNS13_IS18_E10value_typeET4_jRbjT5_S1E_jjP12ihipStream_tbEUljE_ZNSN_ISO_Lb0ESQ_SR_ST_SU_SY_EESZ_S10_S11_S12_S16_S17_S18_S1B_S1C_jS1D_jS1E_S1E_jjS1G_bEUljE0_EEESZ_S10_S11_S18_S1C_S1E_T6_T7_T9_mT8_S1G_bDpT10_ENKUlT_T0_E_clISt17integral_constantIbLb1EES1T_IbLb0EEEEDaS1P_S1Q_EUlS1P_E_NS1_11comp_targetILNS1_3genE3ELNS1_11target_archE908ELNS1_3gpuE7ELNS1_3repE0EEENS1_30default_config_static_selectorELNS0_4arch9wavefront6targetE0EEEvS12_.num_named_barrier, 0
	.set _ZN7rocprim17ROCPRIM_400000_NS6detail17trampoline_kernelINS0_13select_configILj256ELj13ELNS0_17block_load_methodE3ELS4_3ELS4_3ELNS0_20block_scan_algorithmE0ELj4294967295EEENS1_25partition_config_selectorILNS1_17partition_subalgoE4EjNS0_10empty_typeEbEEZZNS1_14partition_implILS8_4ELb0ES6_15HIP_vector_typeIjLj2EENS0_17counting_iteratorIjlEEPS9_SG_NS0_5tupleIJPjSI_NS0_16reverse_iteratorISI_EEEEENSH_IJSG_SG_SG_EEES9_SI_JZNS1_25segmented_radix_sort_implINS0_14default_configELb0EPKdPdPKlPlN2at6native12_GLOBAL__N_18offset_tEEE10hipError_tPvRmT1_PNSt15iterator_traitsIS12_E10value_typeET2_T3_PNS13_IS18_E10value_typeET4_jRbjT5_S1E_jjP12ihipStream_tbEUljE_ZNSN_ISO_Lb0ESQ_SR_ST_SU_SY_EESZ_S10_S11_S12_S16_S17_S18_S1B_S1C_jS1D_jS1E_S1E_jjS1G_bEUljE0_EEESZ_S10_S11_S18_S1C_S1E_T6_T7_T9_mT8_S1G_bDpT10_ENKUlT_T0_E_clISt17integral_constantIbLb1EES1T_IbLb0EEEEDaS1P_S1Q_EUlS1P_E_NS1_11comp_targetILNS1_3genE3ELNS1_11target_archE908ELNS1_3gpuE7ELNS1_3repE0EEENS1_30default_config_static_selectorELNS0_4arch9wavefront6targetE0EEEvS12_.private_seg_size, 0
	.set _ZN7rocprim17ROCPRIM_400000_NS6detail17trampoline_kernelINS0_13select_configILj256ELj13ELNS0_17block_load_methodE3ELS4_3ELS4_3ELNS0_20block_scan_algorithmE0ELj4294967295EEENS1_25partition_config_selectorILNS1_17partition_subalgoE4EjNS0_10empty_typeEbEEZZNS1_14partition_implILS8_4ELb0ES6_15HIP_vector_typeIjLj2EENS0_17counting_iteratorIjlEEPS9_SG_NS0_5tupleIJPjSI_NS0_16reverse_iteratorISI_EEEEENSH_IJSG_SG_SG_EEES9_SI_JZNS1_25segmented_radix_sort_implINS0_14default_configELb0EPKdPdPKlPlN2at6native12_GLOBAL__N_18offset_tEEE10hipError_tPvRmT1_PNSt15iterator_traitsIS12_E10value_typeET2_T3_PNS13_IS18_E10value_typeET4_jRbjT5_S1E_jjP12ihipStream_tbEUljE_ZNSN_ISO_Lb0ESQ_SR_ST_SU_SY_EESZ_S10_S11_S12_S16_S17_S18_S1B_S1C_jS1D_jS1E_S1E_jjS1G_bEUljE0_EEESZ_S10_S11_S18_S1C_S1E_T6_T7_T9_mT8_S1G_bDpT10_ENKUlT_T0_E_clISt17integral_constantIbLb1EES1T_IbLb0EEEEDaS1P_S1Q_EUlS1P_E_NS1_11comp_targetILNS1_3genE3ELNS1_11target_archE908ELNS1_3gpuE7ELNS1_3repE0EEENS1_30default_config_static_selectorELNS0_4arch9wavefront6targetE0EEEvS12_.uses_vcc, 0
	.set _ZN7rocprim17ROCPRIM_400000_NS6detail17trampoline_kernelINS0_13select_configILj256ELj13ELNS0_17block_load_methodE3ELS4_3ELS4_3ELNS0_20block_scan_algorithmE0ELj4294967295EEENS1_25partition_config_selectorILNS1_17partition_subalgoE4EjNS0_10empty_typeEbEEZZNS1_14partition_implILS8_4ELb0ES6_15HIP_vector_typeIjLj2EENS0_17counting_iteratorIjlEEPS9_SG_NS0_5tupleIJPjSI_NS0_16reverse_iteratorISI_EEEEENSH_IJSG_SG_SG_EEES9_SI_JZNS1_25segmented_radix_sort_implINS0_14default_configELb0EPKdPdPKlPlN2at6native12_GLOBAL__N_18offset_tEEE10hipError_tPvRmT1_PNSt15iterator_traitsIS12_E10value_typeET2_T3_PNS13_IS18_E10value_typeET4_jRbjT5_S1E_jjP12ihipStream_tbEUljE_ZNSN_ISO_Lb0ESQ_SR_ST_SU_SY_EESZ_S10_S11_S12_S16_S17_S18_S1B_S1C_jS1D_jS1E_S1E_jjS1G_bEUljE0_EEESZ_S10_S11_S18_S1C_S1E_T6_T7_T9_mT8_S1G_bDpT10_ENKUlT_T0_E_clISt17integral_constantIbLb1EES1T_IbLb0EEEEDaS1P_S1Q_EUlS1P_E_NS1_11comp_targetILNS1_3genE3ELNS1_11target_archE908ELNS1_3gpuE7ELNS1_3repE0EEENS1_30default_config_static_selectorELNS0_4arch9wavefront6targetE0EEEvS12_.uses_flat_scratch, 0
	.set _ZN7rocprim17ROCPRIM_400000_NS6detail17trampoline_kernelINS0_13select_configILj256ELj13ELNS0_17block_load_methodE3ELS4_3ELS4_3ELNS0_20block_scan_algorithmE0ELj4294967295EEENS1_25partition_config_selectorILNS1_17partition_subalgoE4EjNS0_10empty_typeEbEEZZNS1_14partition_implILS8_4ELb0ES6_15HIP_vector_typeIjLj2EENS0_17counting_iteratorIjlEEPS9_SG_NS0_5tupleIJPjSI_NS0_16reverse_iteratorISI_EEEEENSH_IJSG_SG_SG_EEES9_SI_JZNS1_25segmented_radix_sort_implINS0_14default_configELb0EPKdPdPKlPlN2at6native12_GLOBAL__N_18offset_tEEE10hipError_tPvRmT1_PNSt15iterator_traitsIS12_E10value_typeET2_T3_PNS13_IS18_E10value_typeET4_jRbjT5_S1E_jjP12ihipStream_tbEUljE_ZNSN_ISO_Lb0ESQ_SR_ST_SU_SY_EESZ_S10_S11_S12_S16_S17_S18_S1B_S1C_jS1D_jS1E_S1E_jjS1G_bEUljE0_EEESZ_S10_S11_S18_S1C_S1E_T6_T7_T9_mT8_S1G_bDpT10_ENKUlT_T0_E_clISt17integral_constantIbLb1EES1T_IbLb0EEEEDaS1P_S1Q_EUlS1P_E_NS1_11comp_targetILNS1_3genE3ELNS1_11target_archE908ELNS1_3gpuE7ELNS1_3repE0EEENS1_30default_config_static_selectorELNS0_4arch9wavefront6targetE0EEEvS12_.has_dyn_sized_stack, 0
	.set _ZN7rocprim17ROCPRIM_400000_NS6detail17trampoline_kernelINS0_13select_configILj256ELj13ELNS0_17block_load_methodE3ELS4_3ELS4_3ELNS0_20block_scan_algorithmE0ELj4294967295EEENS1_25partition_config_selectorILNS1_17partition_subalgoE4EjNS0_10empty_typeEbEEZZNS1_14partition_implILS8_4ELb0ES6_15HIP_vector_typeIjLj2EENS0_17counting_iteratorIjlEEPS9_SG_NS0_5tupleIJPjSI_NS0_16reverse_iteratorISI_EEEEENSH_IJSG_SG_SG_EEES9_SI_JZNS1_25segmented_radix_sort_implINS0_14default_configELb0EPKdPdPKlPlN2at6native12_GLOBAL__N_18offset_tEEE10hipError_tPvRmT1_PNSt15iterator_traitsIS12_E10value_typeET2_T3_PNS13_IS18_E10value_typeET4_jRbjT5_S1E_jjP12ihipStream_tbEUljE_ZNSN_ISO_Lb0ESQ_SR_ST_SU_SY_EESZ_S10_S11_S12_S16_S17_S18_S1B_S1C_jS1D_jS1E_S1E_jjS1G_bEUljE0_EEESZ_S10_S11_S18_S1C_S1E_T6_T7_T9_mT8_S1G_bDpT10_ENKUlT_T0_E_clISt17integral_constantIbLb1EES1T_IbLb0EEEEDaS1P_S1Q_EUlS1P_E_NS1_11comp_targetILNS1_3genE3ELNS1_11target_archE908ELNS1_3gpuE7ELNS1_3repE0EEENS1_30default_config_static_selectorELNS0_4arch9wavefront6targetE0EEEvS12_.has_recursion, 0
	.set _ZN7rocprim17ROCPRIM_400000_NS6detail17trampoline_kernelINS0_13select_configILj256ELj13ELNS0_17block_load_methodE3ELS4_3ELS4_3ELNS0_20block_scan_algorithmE0ELj4294967295EEENS1_25partition_config_selectorILNS1_17partition_subalgoE4EjNS0_10empty_typeEbEEZZNS1_14partition_implILS8_4ELb0ES6_15HIP_vector_typeIjLj2EENS0_17counting_iteratorIjlEEPS9_SG_NS0_5tupleIJPjSI_NS0_16reverse_iteratorISI_EEEEENSH_IJSG_SG_SG_EEES9_SI_JZNS1_25segmented_radix_sort_implINS0_14default_configELb0EPKdPdPKlPlN2at6native12_GLOBAL__N_18offset_tEEE10hipError_tPvRmT1_PNSt15iterator_traitsIS12_E10value_typeET2_T3_PNS13_IS18_E10value_typeET4_jRbjT5_S1E_jjP12ihipStream_tbEUljE_ZNSN_ISO_Lb0ESQ_SR_ST_SU_SY_EESZ_S10_S11_S12_S16_S17_S18_S1B_S1C_jS1D_jS1E_S1E_jjS1G_bEUljE0_EEESZ_S10_S11_S18_S1C_S1E_T6_T7_T9_mT8_S1G_bDpT10_ENKUlT_T0_E_clISt17integral_constantIbLb1EES1T_IbLb0EEEEDaS1P_S1Q_EUlS1P_E_NS1_11comp_targetILNS1_3genE3ELNS1_11target_archE908ELNS1_3gpuE7ELNS1_3repE0EEENS1_30default_config_static_selectorELNS0_4arch9wavefront6targetE0EEEvS12_.has_indirect_call, 0
	.section	.AMDGPU.csdata,"",@progbits
; Kernel info:
; codeLenInByte = 0
; TotalNumSgprs: 0
; NumVgprs: 0
; ScratchSize: 0
; MemoryBound: 0
; FloatMode: 240
; IeeeMode: 1
; LDSByteSize: 0 bytes/workgroup (compile time only)
; SGPRBlocks: 0
; VGPRBlocks: 0
; NumSGPRsForWavesPerEU: 1
; NumVGPRsForWavesPerEU: 1
; NamedBarCnt: 0
; Occupancy: 16
; WaveLimiterHint : 0
; COMPUTE_PGM_RSRC2:SCRATCH_EN: 0
; COMPUTE_PGM_RSRC2:USER_SGPR: 2
; COMPUTE_PGM_RSRC2:TRAP_HANDLER: 0
; COMPUTE_PGM_RSRC2:TGID_X_EN: 1
; COMPUTE_PGM_RSRC2:TGID_Y_EN: 0
; COMPUTE_PGM_RSRC2:TGID_Z_EN: 0
; COMPUTE_PGM_RSRC2:TIDIG_COMP_CNT: 0
	.section	.text._ZN7rocprim17ROCPRIM_400000_NS6detail17trampoline_kernelINS0_13select_configILj256ELj13ELNS0_17block_load_methodE3ELS4_3ELS4_3ELNS0_20block_scan_algorithmE0ELj4294967295EEENS1_25partition_config_selectorILNS1_17partition_subalgoE4EjNS0_10empty_typeEbEEZZNS1_14partition_implILS8_4ELb0ES6_15HIP_vector_typeIjLj2EENS0_17counting_iteratorIjlEEPS9_SG_NS0_5tupleIJPjSI_NS0_16reverse_iteratorISI_EEEEENSH_IJSG_SG_SG_EEES9_SI_JZNS1_25segmented_radix_sort_implINS0_14default_configELb0EPKdPdPKlPlN2at6native12_GLOBAL__N_18offset_tEEE10hipError_tPvRmT1_PNSt15iterator_traitsIS12_E10value_typeET2_T3_PNS13_IS18_E10value_typeET4_jRbjT5_S1E_jjP12ihipStream_tbEUljE_ZNSN_ISO_Lb0ESQ_SR_ST_SU_SY_EESZ_S10_S11_S12_S16_S17_S18_S1B_S1C_jS1D_jS1E_S1E_jjS1G_bEUljE0_EEESZ_S10_S11_S18_S1C_S1E_T6_T7_T9_mT8_S1G_bDpT10_ENKUlT_T0_E_clISt17integral_constantIbLb1EES1T_IbLb0EEEEDaS1P_S1Q_EUlS1P_E_NS1_11comp_targetILNS1_3genE2ELNS1_11target_archE906ELNS1_3gpuE6ELNS1_3repE0EEENS1_30default_config_static_selectorELNS0_4arch9wavefront6targetE0EEEvS12_,"axG",@progbits,_ZN7rocprim17ROCPRIM_400000_NS6detail17trampoline_kernelINS0_13select_configILj256ELj13ELNS0_17block_load_methodE3ELS4_3ELS4_3ELNS0_20block_scan_algorithmE0ELj4294967295EEENS1_25partition_config_selectorILNS1_17partition_subalgoE4EjNS0_10empty_typeEbEEZZNS1_14partition_implILS8_4ELb0ES6_15HIP_vector_typeIjLj2EENS0_17counting_iteratorIjlEEPS9_SG_NS0_5tupleIJPjSI_NS0_16reverse_iteratorISI_EEEEENSH_IJSG_SG_SG_EEES9_SI_JZNS1_25segmented_radix_sort_implINS0_14default_configELb0EPKdPdPKlPlN2at6native12_GLOBAL__N_18offset_tEEE10hipError_tPvRmT1_PNSt15iterator_traitsIS12_E10value_typeET2_T3_PNS13_IS18_E10value_typeET4_jRbjT5_S1E_jjP12ihipStream_tbEUljE_ZNSN_ISO_Lb0ESQ_SR_ST_SU_SY_EESZ_S10_S11_S12_S16_S17_S18_S1B_S1C_jS1D_jS1E_S1E_jjS1G_bEUljE0_EEESZ_S10_S11_S18_S1C_S1E_T6_T7_T9_mT8_S1G_bDpT10_ENKUlT_T0_E_clISt17integral_constantIbLb1EES1T_IbLb0EEEEDaS1P_S1Q_EUlS1P_E_NS1_11comp_targetILNS1_3genE2ELNS1_11target_archE906ELNS1_3gpuE6ELNS1_3repE0EEENS1_30default_config_static_selectorELNS0_4arch9wavefront6targetE0EEEvS12_,comdat
	.globl	_ZN7rocprim17ROCPRIM_400000_NS6detail17trampoline_kernelINS0_13select_configILj256ELj13ELNS0_17block_load_methodE3ELS4_3ELS4_3ELNS0_20block_scan_algorithmE0ELj4294967295EEENS1_25partition_config_selectorILNS1_17partition_subalgoE4EjNS0_10empty_typeEbEEZZNS1_14partition_implILS8_4ELb0ES6_15HIP_vector_typeIjLj2EENS0_17counting_iteratorIjlEEPS9_SG_NS0_5tupleIJPjSI_NS0_16reverse_iteratorISI_EEEEENSH_IJSG_SG_SG_EEES9_SI_JZNS1_25segmented_radix_sort_implINS0_14default_configELb0EPKdPdPKlPlN2at6native12_GLOBAL__N_18offset_tEEE10hipError_tPvRmT1_PNSt15iterator_traitsIS12_E10value_typeET2_T3_PNS13_IS18_E10value_typeET4_jRbjT5_S1E_jjP12ihipStream_tbEUljE_ZNSN_ISO_Lb0ESQ_SR_ST_SU_SY_EESZ_S10_S11_S12_S16_S17_S18_S1B_S1C_jS1D_jS1E_S1E_jjS1G_bEUljE0_EEESZ_S10_S11_S18_S1C_S1E_T6_T7_T9_mT8_S1G_bDpT10_ENKUlT_T0_E_clISt17integral_constantIbLb1EES1T_IbLb0EEEEDaS1P_S1Q_EUlS1P_E_NS1_11comp_targetILNS1_3genE2ELNS1_11target_archE906ELNS1_3gpuE6ELNS1_3repE0EEENS1_30default_config_static_selectorELNS0_4arch9wavefront6targetE0EEEvS12_ ; -- Begin function _ZN7rocprim17ROCPRIM_400000_NS6detail17trampoline_kernelINS0_13select_configILj256ELj13ELNS0_17block_load_methodE3ELS4_3ELS4_3ELNS0_20block_scan_algorithmE0ELj4294967295EEENS1_25partition_config_selectorILNS1_17partition_subalgoE4EjNS0_10empty_typeEbEEZZNS1_14partition_implILS8_4ELb0ES6_15HIP_vector_typeIjLj2EENS0_17counting_iteratorIjlEEPS9_SG_NS0_5tupleIJPjSI_NS0_16reverse_iteratorISI_EEEEENSH_IJSG_SG_SG_EEES9_SI_JZNS1_25segmented_radix_sort_implINS0_14default_configELb0EPKdPdPKlPlN2at6native12_GLOBAL__N_18offset_tEEE10hipError_tPvRmT1_PNSt15iterator_traitsIS12_E10value_typeET2_T3_PNS13_IS18_E10value_typeET4_jRbjT5_S1E_jjP12ihipStream_tbEUljE_ZNSN_ISO_Lb0ESQ_SR_ST_SU_SY_EESZ_S10_S11_S12_S16_S17_S18_S1B_S1C_jS1D_jS1E_S1E_jjS1G_bEUljE0_EEESZ_S10_S11_S18_S1C_S1E_T6_T7_T9_mT8_S1G_bDpT10_ENKUlT_T0_E_clISt17integral_constantIbLb1EES1T_IbLb0EEEEDaS1P_S1Q_EUlS1P_E_NS1_11comp_targetILNS1_3genE2ELNS1_11target_archE906ELNS1_3gpuE6ELNS1_3repE0EEENS1_30default_config_static_selectorELNS0_4arch9wavefront6targetE0EEEvS12_
	.p2align	8
	.type	_ZN7rocprim17ROCPRIM_400000_NS6detail17trampoline_kernelINS0_13select_configILj256ELj13ELNS0_17block_load_methodE3ELS4_3ELS4_3ELNS0_20block_scan_algorithmE0ELj4294967295EEENS1_25partition_config_selectorILNS1_17partition_subalgoE4EjNS0_10empty_typeEbEEZZNS1_14partition_implILS8_4ELb0ES6_15HIP_vector_typeIjLj2EENS0_17counting_iteratorIjlEEPS9_SG_NS0_5tupleIJPjSI_NS0_16reverse_iteratorISI_EEEEENSH_IJSG_SG_SG_EEES9_SI_JZNS1_25segmented_radix_sort_implINS0_14default_configELb0EPKdPdPKlPlN2at6native12_GLOBAL__N_18offset_tEEE10hipError_tPvRmT1_PNSt15iterator_traitsIS12_E10value_typeET2_T3_PNS13_IS18_E10value_typeET4_jRbjT5_S1E_jjP12ihipStream_tbEUljE_ZNSN_ISO_Lb0ESQ_SR_ST_SU_SY_EESZ_S10_S11_S12_S16_S17_S18_S1B_S1C_jS1D_jS1E_S1E_jjS1G_bEUljE0_EEESZ_S10_S11_S18_S1C_S1E_T6_T7_T9_mT8_S1G_bDpT10_ENKUlT_T0_E_clISt17integral_constantIbLb1EES1T_IbLb0EEEEDaS1P_S1Q_EUlS1P_E_NS1_11comp_targetILNS1_3genE2ELNS1_11target_archE906ELNS1_3gpuE6ELNS1_3repE0EEENS1_30default_config_static_selectorELNS0_4arch9wavefront6targetE0EEEvS12_,@function
_ZN7rocprim17ROCPRIM_400000_NS6detail17trampoline_kernelINS0_13select_configILj256ELj13ELNS0_17block_load_methodE3ELS4_3ELS4_3ELNS0_20block_scan_algorithmE0ELj4294967295EEENS1_25partition_config_selectorILNS1_17partition_subalgoE4EjNS0_10empty_typeEbEEZZNS1_14partition_implILS8_4ELb0ES6_15HIP_vector_typeIjLj2EENS0_17counting_iteratorIjlEEPS9_SG_NS0_5tupleIJPjSI_NS0_16reverse_iteratorISI_EEEEENSH_IJSG_SG_SG_EEES9_SI_JZNS1_25segmented_radix_sort_implINS0_14default_configELb0EPKdPdPKlPlN2at6native12_GLOBAL__N_18offset_tEEE10hipError_tPvRmT1_PNSt15iterator_traitsIS12_E10value_typeET2_T3_PNS13_IS18_E10value_typeET4_jRbjT5_S1E_jjP12ihipStream_tbEUljE_ZNSN_ISO_Lb0ESQ_SR_ST_SU_SY_EESZ_S10_S11_S12_S16_S17_S18_S1B_S1C_jS1D_jS1E_S1E_jjS1G_bEUljE0_EEESZ_S10_S11_S18_S1C_S1E_T6_T7_T9_mT8_S1G_bDpT10_ENKUlT_T0_E_clISt17integral_constantIbLb1EES1T_IbLb0EEEEDaS1P_S1Q_EUlS1P_E_NS1_11comp_targetILNS1_3genE2ELNS1_11target_archE906ELNS1_3gpuE6ELNS1_3repE0EEENS1_30default_config_static_selectorELNS0_4arch9wavefront6targetE0EEEvS12_: ; @_ZN7rocprim17ROCPRIM_400000_NS6detail17trampoline_kernelINS0_13select_configILj256ELj13ELNS0_17block_load_methodE3ELS4_3ELS4_3ELNS0_20block_scan_algorithmE0ELj4294967295EEENS1_25partition_config_selectorILNS1_17partition_subalgoE4EjNS0_10empty_typeEbEEZZNS1_14partition_implILS8_4ELb0ES6_15HIP_vector_typeIjLj2EENS0_17counting_iteratorIjlEEPS9_SG_NS0_5tupleIJPjSI_NS0_16reverse_iteratorISI_EEEEENSH_IJSG_SG_SG_EEES9_SI_JZNS1_25segmented_radix_sort_implINS0_14default_configELb0EPKdPdPKlPlN2at6native12_GLOBAL__N_18offset_tEEE10hipError_tPvRmT1_PNSt15iterator_traitsIS12_E10value_typeET2_T3_PNS13_IS18_E10value_typeET4_jRbjT5_S1E_jjP12ihipStream_tbEUljE_ZNSN_ISO_Lb0ESQ_SR_ST_SU_SY_EESZ_S10_S11_S12_S16_S17_S18_S1B_S1C_jS1D_jS1E_S1E_jjS1G_bEUljE0_EEESZ_S10_S11_S18_S1C_S1E_T6_T7_T9_mT8_S1G_bDpT10_ENKUlT_T0_E_clISt17integral_constantIbLb1EES1T_IbLb0EEEEDaS1P_S1Q_EUlS1P_E_NS1_11comp_targetILNS1_3genE2ELNS1_11target_archE906ELNS1_3gpuE6ELNS1_3repE0EEENS1_30default_config_static_selectorELNS0_4arch9wavefront6targetE0EEEvS12_
; %bb.0:
	.section	.rodata,"a",@progbits
	.p2align	6, 0x0
	.amdhsa_kernel _ZN7rocprim17ROCPRIM_400000_NS6detail17trampoline_kernelINS0_13select_configILj256ELj13ELNS0_17block_load_methodE3ELS4_3ELS4_3ELNS0_20block_scan_algorithmE0ELj4294967295EEENS1_25partition_config_selectorILNS1_17partition_subalgoE4EjNS0_10empty_typeEbEEZZNS1_14partition_implILS8_4ELb0ES6_15HIP_vector_typeIjLj2EENS0_17counting_iteratorIjlEEPS9_SG_NS0_5tupleIJPjSI_NS0_16reverse_iteratorISI_EEEEENSH_IJSG_SG_SG_EEES9_SI_JZNS1_25segmented_radix_sort_implINS0_14default_configELb0EPKdPdPKlPlN2at6native12_GLOBAL__N_18offset_tEEE10hipError_tPvRmT1_PNSt15iterator_traitsIS12_E10value_typeET2_T3_PNS13_IS18_E10value_typeET4_jRbjT5_S1E_jjP12ihipStream_tbEUljE_ZNSN_ISO_Lb0ESQ_SR_ST_SU_SY_EESZ_S10_S11_S12_S16_S17_S18_S1B_S1C_jS1D_jS1E_S1E_jjS1G_bEUljE0_EEESZ_S10_S11_S18_S1C_S1E_T6_T7_T9_mT8_S1G_bDpT10_ENKUlT_T0_E_clISt17integral_constantIbLb1EES1T_IbLb0EEEEDaS1P_S1Q_EUlS1P_E_NS1_11comp_targetILNS1_3genE2ELNS1_11target_archE906ELNS1_3gpuE6ELNS1_3repE0EEENS1_30default_config_static_selectorELNS0_4arch9wavefront6targetE0EEEvS12_
		.amdhsa_group_segment_fixed_size 0
		.amdhsa_private_segment_fixed_size 0
		.amdhsa_kernarg_size 176
		.amdhsa_user_sgpr_count 2
		.amdhsa_user_sgpr_dispatch_ptr 0
		.amdhsa_user_sgpr_queue_ptr 0
		.amdhsa_user_sgpr_kernarg_segment_ptr 1
		.amdhsa_user_sgpr_dispatch_id 0
		.amdhsa_user_sgpr_kernarg_preload_length 0
		.amdhsa_user_sgpr_kernarg_preload_offset 0
		.amdhsa_user_sgpr_private_segment_size 0
		.amdhsa_wavefront_size32 1
		.amdhsa_uses_dynamic_stack 0
		.amdhsa_enable_private_segment 0
		.amdhsa_system_sgpr_workgroup_id_x 1
		.amdhsa_system_sgpr_workgroup_id_y 0
		.amdhsa_system_sgpr_workgroup_id_z 0
		.amdhsa_system_sgpr_workgroup_info 0
		.amdhsa_system_vgpr_workitem_id 0
		.amdhsa_next_free_vgpr 1
		.amdhsa_next_free_sgpr 1
		.amdhsa_named_barrier_count 0
		.amdhsa_reserve_vcc 0
		.amdhsa_float_round_mode_32 0
		.amdhsa_float_round_mode_16_64 0
		.amdhsa_float_denorm_mode_32 3
		.amdhsa_float_denorm_mode_16_64 3
		.amdhsa_fp16_overflow 0
		.amdhsa_memory_ordered 1
		.amdhsa_forward_progress 1
		.amdhsa_inst_pref_size 0
		.amdhsa_round_robin_scheduling 0
		.amdhsa_exception_fp_ieee_invalid_op 0
		.amdhsa_exception_fp_denorm_src 0
		.amdhsa_exception_fp_ieee_div_zero 0
		.amdhsa_exception_fp_ieee_overflow 0
		.amdhsa_exception_fp_ieee_underflow 0
		.amdhsa_exception_fp_ieee_inexact 0
		.amdhsa_exception_int_div_zero 0
	.end_amdhsa_kernel
	.section	.text._ZN7rocprim17ROCPRIM_400000_NS6detail17trampoline_kernelINS0_13select_configILj256ELj13ELNS0_17block_load_methodE3ELS4_3ELS4_3ELNS0_20block_scan_algorithmE0ELj4294967295EEENS1_25partition_config_selectorILNS1_17partition_subalgoE4EjNS0_10empty_typeEbEEZZNS1_14partition_implILS8_4ELb0ES6_15HIP_vector_typeIjLj2EENS0_17counting_iteratorIjlEEPS9_SG_NS0_5tupleIJPjSI_NS0_16reverse_iteratorISI_EEEEENSH_IJSG_SG_SG_EEES9_SI_JZNS1_25segmented_radix_sort_implINS0_14default_configELb0EPKdPdPKlPlN2at6native12_GLOBAL__N_18offset_tEEE10hipError_tPvRmT1_PNSt15iterator_traitsIS12_E10value_typeET2_T3_PNS13_IS18_E10value_typeET4_jRbjT5_S1E_jjP12ihipStream_tbEUljE_ZNSN_ISO_Lb0ESQ_SR_ST_SU_SY_EESZ_S10_S11_S12_S16_S17_S18_S1B_S1C_jS1D_jS1E_S1E_jjS1G_bEUljE0_EEESZ_S10_S11_S18_S1C_S1E_T6_T7_T9_mT8_S1G_bDpT10_ENKUlT_T0_E_clISt17integral_constantIbLb1EES1T_IbLb0EEEEDaS1P_S1Q_EUlS1P_E_NS1_11comp_targetILNS1_3genE2ELNS1_11target_archE906ELNS1_3gpuE6ELNS1_3repE0EEENS1_30default_config_static_selectorELNS0_4arch9wavefront6targetE0EEEvS12_,"axG",@progbits,_ZN7rocprim17ROCPRIM_400000_NS6detail17trampoline_kernelINS0_13select_configILj256ELj13ELNS0_17block_load_methodE3ELS4_3ELS4_3ELNS0_20block_scan_algorithmE0ELj4294967295EEENS1_25partition_config_selectorILNS1_17partition_subalgoE4EjNS0_10empty_typeEbEEZZNS1_14partition_implILS8_4ELb0ES6_15HIP_vector_typeIjLj2EENS0_17counting_iteratorIjlEEPS9_SG_NS0_5tupleIJPjSI_NS0_16reverse_iteratorISI_EEEEENSH_IJSG_SG_SG_EEES9_SI_JZNS1_25segmented_radix_sort_implINS0_14default_configELb0EPKdPdPKlPlN2at6native12_GLOBAL__N_18offset_tEEE10hipError_tPvRmT1_PNSt15iterator_traitsIS12_E10value_typeET2_T3_PNS13_IS18_E10value_typeET4_jRbjT5_S1E_jjP12ihipStream_tbEUljE_ZNSN_ISO_Lb0ESQ_SR_ST_SU_SY_EESZ_S10_S11_S12_S16_S17_S18_S1B_S1C_jS1D_jS1E_S1E_jjS1G_bEUljE0_EEESZ_S10_S11_S18_S1C_S1E_T6_T7_T9_mT8_S1G_bDpT10_ENKUlT_T0_E_clISt17integral_constantIbLb1EES1T_IbLb0EEEEDaS1P_S1Q_EUlS1P_E_NS1_11comp_targetILNS1_3genE2ELNS1_11target_archE906ELNS1_3gpuE6ELNS1_3repE0EEENS1_30default_config_static_selectorELNS0_4arch9wavefront6targetE0EEEvS12_,comdat
.Lfunc_end1171:
	.size	_ZN7rocprim17ROCPRIM_400000_NS6detail17trampoline_kernelINS0_13select_configILj256ELj13ELNS0_17block_load_methodE3ELS4_3ELS4_3ELNS0_20block_scan_algorithmE0ELj4294967295EEENS1_25partition_config_selectorILNS1_17partition_subalgoE4EjNS0_10empty_typeEbEEZZNS1_14partition_implILS8_4ELb0ES6_15HIP_vector_typeIjLj2EENS0_17counting_iteratorIjlEEPS9_SG_NS0_5tupleIJPjSI_NS0_16reverse_iteratorISI_EEEEENSH_IJSG_SG_SG_EEES9_SI_JZNS1_25segmented_radix_sort_implINS0_14default_configELb0EPKdPdPKlPlN2at6native12_GLOBAL__N_18offset_tEEE10hipError_tPvRmT1_PNSt15iterator_traitsIS12_E10value_typeET2_T3_PNS13_IS18_E10value_typeET4_jRbjT5_S1E_jjP12ihipStream_tbEUljE_ZNSN_ISO_Lb0ESQ_SR_ST_SU_SY_EESZ_S10_S11_S12_S16_S17_S18_S1B_S1C_jS1D_jS1E_S1E_jjS1G_bEUljE0_EEESZ_S10_S11_S18_S1C_S1E_T6_T7_T9_mT8_S1G_bDpT10_ENKUlT_T0_E_clISt17integral_constantIbLb1EES1T_IbLb0EEEEDaS1P_S1Q_EUlS1P_E_NS1_11comp_targetILNS1_3genE2ELNS1_11target_archE906ELNS1_3gpuE6ELNS1_3repE0EEENS1_30default_config_static_selectorELNS0_4arch9wavefront6targetE0EEEvS12_, .Lfunc_end1171-_ZN7rocprim17ROCPRIM_400000_NS6detail17trampoline_kernelINS0_13select_configILj256ELj13ELNS0_17block_load_methodE3ELS4_3ELS4_3ELNS0_20block_scan_algorithmE0ELj4294967295EEENS1_25partition_config_selectorILNS1_17partition_subalgoE4EjNS0_10empty_typeEbEEZZNS1_14partition_implILS8_4ELb0ES6_15HIP_vector_typeIjLj2EENS0_17counting_iteratorIjlEEPS9_SG_NS0_5tupleIJPjSI_NS0_16reverse_iteratorISI_EEEEENSH_IJSG_SG_SG_EEES9_SI_JZNS1_25segmented_radix_sort_implINS0_14default_configELb0EPKdPdPKlPlN2at6native12_GLOBAL__N_18offset_tEEE10hipError_tPvRmT1_PNSt15iterator_traitsIS12_E10value_typeET2_T3_PNS13_IS18_E10value_typeET4_jRbjT5_S1E_jjP12ihipStream_tbEUljE_ZNSN_ISO_Lb0ESQ_SR_ST_SU_SY_EESZ_S10_S11_S12_S16_S17_S18_S1B_S1C_jS1D_jS1E_S1E_jjS1G_bEUljE0_EEESZ_S10_S11_S18_S1C_S1E_T6_T7_T9_mT8_S1G_bDpT10_ENKUlT_T0_E_clISt17integral_constantIbLb1EES1T_IbLb0EEEEDaS1P_S1Q_EUlS1P_E_NS1_11comp_targetILNS1_3genE2ELNS1_11target_archE906ELNS1_3gpuE6ELNS1_3repE0EEENS1_30default_config_static_selectorELNS0_4arch9wavefront6targetE0EEEvS12_
                                        ; -- End function
	.set _ZN7rocprim17ROCPRIM_400000_NS6detail17trampoline_kernelINS0_13select_configILj256ELj13ELNS0_17block_load_methodE3ELS4_3ELS4_3ELNS0_20block_scan_algorithmE0ELj4294967295EEENS1_25partition_config_selectorILNS1_17partition_subalgoE4EjNS0_10empty_typeEbEEZZNS1_14partition_implILS8_4ELb0ES6_15HIP_vector_typeIjLj2EENS0_17counting_iteratorIjlEEPS9_SG_NS0_5tupleIJPjSI_NS0_16reverse_iteratorISI_EEEEENSH_IJSG_SG_SG_EEES9_SI_JZNS1_25segmented_radix_sort_implINS0_14default_configELb0EPKdPdPKlPlN2at6native12_GLOBAL__N_18offset_tEEE10hipError_tPvRmT1_PNSt15iterator_traitsIS12_E10value_typeET2_T3_PNS13_IS18_E10value_typeET4_jRbjT5_S1E_jjP12ihipStream_tbEUljE_ZNSN_ISO_Lb0ESQ_SR_ST_SU_SY_EESZ_S10_S11_S12_S16_S17_S18_S1B_S1C_jS1D_jS1E_S1E_jjS1G_bEUljE0_EEESZ_S10_S11_S18_S1C_S1E_T6_T7_T9_mT8_S1G_bDpT10_ENKUlT_T0_E_clISt17integral_constantIbLb1EES1T_IbLb0EEEEDaS1P_S1Q_EUlS1P_E_NS1_11comp_targetILNS1_3genE2ELNS1_11target_archE906ELNS1_3gpuE6ELNS1_3repE0EEENS1_30default_config_static_selectorELNS0_4arch9wavefront6targetE0EEEvS12_.num_vgpr, 0
	.set _ZN7rocprim17ROCPRIM_400000_NS6detail17trampoline_kernelINS0_13select_configILj256ELj13ELNS0_17block_load_methodE3ELS4_3ELS4_3ELNS0_20block_scan_algorithmE0ELj4294967295EEENS1_25partition_config_selectorILNS1_17partition_subalgoE4EjNS0_10empty_typeEbEEZZNS1_14partition_implILS8_4ELb0ES6_15HIP_vector_typeIjLj2EENS0_17counting_iteratorIjlEEPS9_SG_NS0_5tupleIJPjSI_NS0_16reverse_iteratorISI_EEEEENSH_IJSG_SG_SG_EEES9_SI_JZNS1_25segmented_radix_sort_implINS0_14default_configELb0EPKdPdPKlPlN2at6native12_GLOBAL__N_18offset_tEEE10hipError_tPvRmT1_PNSt15iterator_traitsIS12_E10value_typeET2_T3_PNS13_IS18_E10value_typeET4_jRbjT5_S1E_jjP12ihipStream_tbEUljE_ZNSN_ISO_Lb0ESQ_SR_ST_SU_SY_EESZ_S10_S11_S12_S16_S17_S18_S1B_S1C_jS1D_jS1E_S1E_jjS1G_bEUljE0_EEESZ_S10_S11_S18_S1C_S1E_T6_T7_T9_mT8_S1G_bDpT10_ENKUlT_T0_E_clISt17integral_constantIbLb1EES1T_IbLb0EEEEDaS1P_S1Q_EUlS1P_E_NS1_11comp_targetILNS1_3genE2ELNS1_11target_archE906ELNS1_3gpuE6ELNS1_3repE0EEENS1_30default_config_static_selectorELNS0_4arch9wavefront6targetE0EEEvS12_.num_agpr, 0
	.set _ZN7rocprim17ROCPRIM_400000_NS6detail17trampoline_kernelINS0_13select_configILj256ELj13ELNS0_17block_load_methodE3ELS4_3ELS4_3ELNS0_20block_scan_algorithmE0ELj4294967295EEENS1_25partition_config_selectorILNS1_17partition_subalgoE4EjNS0_10empty_typeEbEEZZNS1_14partition_implILS8_4ELb0ES6_15HIP_vector_typeIjLj2EENS0_17counting_iteratorIjlEEPS9_SG_NS0_5tupleIJPjSI_NS0_16reverse_iteratorISI_EEEEENSH_IJSG_SG_SG_EEES9_SI_JZNS1_25segmented_radix_sort_implINS0_14default_configELb0EPKdPdPKlPlN2at6native12_GLOBAL__N_18offset_tEEE10hipError_tPvRmT1_PNSt15iterator_traitsIS12_E10value_typeET2_T3_PNS13_IS18_E10value_typeET4_jRbjT5_S1E_jjP12ihipStream_tbEUljE_ZNSN_ISO_Lb0ESQ_SR_ST_SU_SY_EESZ_S10_S11_S12_S16_S17_S18_S1B_S1C_jS1D_jS1E_S1E_jjS1G_bEUljE0_EEESZ_S10_S11_S18_S1C_S1E_T6_T7_T9_mT8_S1G_bDpT10_ENKUlT_T0_E_clISt17integral_constantIbLb1EES1T_IbLb0EEEEDaS1P_S1Q_EUlS1P_E_NS1_11comp_targetILNS1_3genE2ELNS1_11target_archE906ELNS1_3gpuE6ELNS1_3repE0EEENS1_30default_config_static_selectorELNS0_4arch9wavefront6targetE0EEEvS12_.numbered_sgpr, 0
	.set _ZN7rocprim17ROCPRIM_400000_NS6detail17trampoline_kernelINS0_13select_configILj256ELj13ELNS0_17block_load_methodE3ELS4_3ELS4_3ELNS0_20block_scan_algorithmE0ELj4294967295EEENS1_25partition_config_selectorILNS1_17partition_subalgoE4EjNS0_10empty_typeEbEEZZNS1_14partition_implILS8_4ELb0ES6_15HIP_vector_typeIjLj2EENS0_17counting_iteratorIjlEEPS9_SG_NS0_5tupleIJPjSI_NS0_16reverse_iteratorISI_EEEEENSH_IJSG_SG_SG_EEES9_SI_JZNS1_25segmented_radix_sort_implINS0_14default_configELb0EPKdPdPKlPlN2at6native12_GLOBAL__N_18offset_tEEE10hipError_tPvRmT1_PNSt15iterator_traitsIS12_E10value_typeET2_T3_PNS13_IS18_E10value_typeET4_jRbjT5_S1E_jjP12ihipStream_tbEUljE_ZNSN_ISO_Lb0ESQ_SR_ST_SU_SY_EESZ_S10_S11_S12_S16_S17_S18_S1B_S1C_jS1D_jS1E_S1E_jjS1G_bEUljE0_EEESZ_S10_S11_S18_S1C_S1E_T6_T7_T9_mT8_S1G_bDpT10_ENKUlT_T0_E_clISt17integral_constantIbLb1EES1T_IbLb0EEEEDaS1P_S1Q_EUlS1P_E_NS1_11comp_targetILNS1_3genE2ELNS1_11target_archE906ELNS1_3gpuE6ELNS1_3repE0EEENS1_30default_config_static_selectorELNS0_4arch9wavefront6targetE0EEEvS12_.num_named_barrier, 0
	.set _ZN7rocprim17ROCPRIM_400000_NS6detail17trampoline_kernelINS0_13select_configILj256ELj13ELNS0_17block_load_methodE3ELS4_3ELS4_3ELNS0_20block_scan_algorithmE0ELj4294967295EEENS1_25partition_config_selectorILNS1_17partition_subalgoE4EjNS0_10empty_typeEbEEZZNS1_14partition_implILS8_4ELb0ES6_15HIP_vector_typeIjLj2EENS0_17counting_iteratorIjlEEPS9_SG_NS0_5tupleIJPjSI_NS0_16reverse_iteratorISI_EEEEENSH_IJSG_SG_SG_EEES9_SI_JZNS1_25segmented_radix_sort_implINS0_14default_configELb0EPKdPdPKlPlN2at6native12_GLOBAL__N_18offset_tEEE10hipError_tPvRmT1_PNSt15iterator_traitsIS12_E10value_typeET2_T3_PNS13_IS18_E10value_typeET4_jRbjT5_S1E_jjP12ihipStream_tbEUljE_ZNSN_ISO_Lb0ESQ_SR_ST_SU_SY_EESZ_S10_S11_S12_S16_S17_S18_S1B_S1C_jS1D_jS1E_S1E_jjS1G_bEUljE0_EEESZ_S10_S11_S18_S1C_S1E_T6_T7_T9_mT8_S1G_bDpT10_ENKUlT_T0_E_clISt17integral_constantIbLb1EES1T_IbLb0EEEEDaS1P_S1Q_EUlS1P_E_NS1_11comp_targetILNS1_3genE2ELNS1_11target_archE906ELNS1_3gpuE6ELNS1_3repE0EEENS1_30default_config_static_selectorELNS0_4arch9wavefront6targetE0EEEvS12_.private_seg_size, 0
	.set _ZN7rocprim17ROCPRIM_400000_NS6detail17trampoline_kernelINS0_13select_configILj256ELj13ELNS0_17block_load_methodE3ELS4_3ELS4_3ELNS0_20block_scan_algorithmE0ELj4294967295EEENS1_25partition_config_selectorILNS1_17partition_subalgoE4EjNS0_10empty_typeEbEEZZNS1_14partition_implILS8_4ELb0ES6_15HIP_vector_typeIjLj2EENS0_17counting_iteratorIjlEEPS9_SG_NS0_5tupleIJPjSI_NS0_16reverse_iteratorISI_EEEEENSH_IJSG_SG_SG_EEES9_SI_JZNS1_25segmented_radix_sort_implINS0_14default_configELb0EPKdPdPKlPlN2at6native12_GLOBAL__N_18offset_tEEE10hipError_tPvRmT1_PNSt15iterator_traitsIS12_E10value_typeET2_T3_PNS13_IS18_E10value_typeET4_jRbjT5_S1E_jjP12ihipStream_tbEUljE_ZNSN_ISO_Lb0ESQ_SR_ST_SU_SY_EESZ_S10_S11_S12_S16_S17_S18_S1B_S1C_jS1D_jS1E_S1E_jjS1G_bEUljE0_EEESZ_S10_S11_S18_S1C_S1E_T6_T7_T9_mT8_S1G_bDpT10_ENKUlT_T0_E_clISt17integral_constantIbLb1EES1T_IbLb0EEEEDaS1P_S1Q_EUlS1P_E_NS1_11comp_targetILNS1_3genE2ELNS1_11target_archE906ELNS1_3gpuE6ELNS1_3repE0EEENS1_30default_config_static_selectorELNS0_4arch9wavefront6targetE0EEEvS12_.uses_vcc, 0
	.set _ZN7rocprim17ROCPRIM_400000_NS6detail17trampoline_kernelINS0_13select_configILj256ELj13ELNS0_17block_load_methodE3ELS4_3ELS4_3ELNS0_20block_scan_algorithmE0ELj4294967295EEENS1_25partition_config_selectorILNS1_17partition_subalgoE4EjNS0_10empty_typeEbEEZZNS1_14partition_implILS8_4ELb0ES6_15HIP_vector_typeIjLj2EENS0_17counting_iteratorIjlEEPS9_SG_NS0_5tupleIJPjSI_NS0_16reverse_iteratorISI_EEEEENSH_IJSG_SG_SG_EEES9_SI_JZNS1_25segmented_radix_sort_implINS0_14default_configELb0EPKdPdPKlPlN2at6native12_GLOBAL__N_18offset_tEEE10hipError_tPvRmT1_PNSt15iterator_traitsIS12_E10value_typeET2_T3_PNS13_IS18_E10value_typeET4_jRbjT5_S1E_jjP12ihipStream_tbEUljE_ZNSN_ISO_Lb0ESQ_SR_ST_SU_SY_EESZ_S10_S11_S12_S16_S17_S18_S1B_S1C_jS1D_jS1E_S1E_jjS1G_bEUljE0_EEESZ_S10_S11_S18_S1C_S1E_T6_T7_T9_mT8_S1G_bDpT10_ENKUlT_T0_E_clISt17integral_constantIbLb1EES1T_IbLb0EEEEDaS1P_S1Q_EUlS1P_E_NS1_11comp_targetILNS1_3genE2ELNS1_11target_archE906ELNS1_3gpuE6ELNS1_3repE0EEENS1_30default_config_static_selectorELNS0_4arch9wavefront6targetE0EEEvS12_.uses_flat_scratch, 0
	.set _ZN7rocprim17ROCPRIM_400000_NS6detail17trampoline_kernelINS0_13select_configILj256ELj13ELNS0_17block_load_methodE3ELS4_3ELS4_3ELNS0_20block_scan_algorithmE0ELj4294967295EEENS1_25partition_config_selectorILNS1_17partition_subalgoE4EjNS0_10empty_typeEbEEZZNS1_14partition_implILS8_4ELb0ES6_15HIP_vector_typeIjLj2EENS0_17counting_iteratorIjlEEPS9_SG_NS0_5tupleIJPjSI_NS0_16reverse_iteratorISI_EEEEENSH_IJSG_SG_SG_EEES9_SI_JZNS1_25segmented_radix_sort_implINS0_14default_configELb0EPKdPdPKlPlN2at6native12_GLOBAL__N_18offset_tEEE10hipError_tPvRmT1_PNSt15iterator_traitsIS12_E10value_typeET2_T3_PNS13_IS18_E10value_typeET4_jRbjT5_S1E_jjP12ihipStream_tbEUljE_ZNSN_ISO_Lb0ESQ_SR_ST_SU_SY_EESZ_S10_S11_S12_S16_S17_S18_S1B_S1C_jS1D_jS1E_S1E_jjS1G_bEUljE0_EEESZ_S10_S11_S18_S1C_S1E_T6_T7_T9_mT8_S1G_bDpT10_ENKUlT_T0_E_clISt17integral_constantIbLb1EES1T_IbLb0EEEEDaS1P_S1Q_EUlS1P_E_NS1_11comp_targetILNS1_3genE2ELNS1_11target_archE906ELNS1_3gpuE6ELNS1_3repE0EEENS1_30default_config_static_selectorELNS0_4arch9wavefront6targetE0EEEvS12_.has_dyn_sized_stack, 0
	.set _ZN7rocprim17ROCPRIM_400000_NS6detail17trampoline_kernelINS0_13select_configILj256ELj13ELNS0_17block_load_methodE3ELS4_3ELS4_3ELNS0_20block_scan_algorithmE0ELj4294967295EEENS1_25partition_config_selectorILNS1_17partition_subalgoE4EjNS0_10empty_typeEbEEZZNS1_14partition_implILS8_4ELb0ES6_15HIP_vector_typeIjLj2EENS0_17counting_iteratorIjlEEPS9_SG_NS0_5tupleIJPjSI_NS0_16reverse_iteratorISI_EEEEENSH_IJSG_SG_SG_EEES9_SI_JZNS1_25segmented_radix_sort_implINS0_14default_configELb0EPKdPdPKlPlN2at6native12_GLOBAL__N_18offset_tEEE10hipError_tPvRmT1_PNSt15iterator_traitsIS12_E10value_typeET2_T3_PNS13_IS18_E10value_typeET4_jRbjT5_S1E_jjP12ihipStream_tbEUljE_ZNSN_ISO_Lb0ESQ_SR_ST_SU_SY_EESZ_S10_S11_S12_S16_S17_S18_S1B_S1C_jS1D_jS1E_S1E_jjS1G_bEUljE0_EEESZ_S10_S11_S18_S1C_S1E_T6_T7_T9_mT8_S1G_bDpT10_ENKUlT_T0_E_clISt17integral_constantIbLb1EES1T_IbLb0EEEEDaS1P_S1Q_EUlS1P_E_NS1_11comp_targetILNS1_3genE2ELNS1_11target_archE906ELNS1_3gpuE6ELNS1_3repE0EEENS1_30default_config_static_selectorELNS0_4arch9wavefront6targetE0EEEvS12_.has_recursion, 0
	.set _ZN7rocprim17ROCPRIM_400000_NS6detail17trampoline_kernelINS0_13select_configILj256ELj13ELNS0_17block_load_methodE3ELS4_3ELS4_3ELNS0_20block_scan_algorithmE0ELj4294967295EEENS1_25partition_config_selectorILNS1_17partition_subalgoE4EjNS0_10empty_typeEbEEZZNS1_14partition_implILS8_4ELb0ES6_15HIP_vector_typeIjLj2EENS0_17counting_iteratorIjlEEPS9_SG_NS0_5tupleIJPjSI_NS0_16reverse_iteratorISI_EEEEENSH_IJSG_SG_SG_EEES9_SI_JZNS1_25segmented_radix_sort_implINS0_14default_configELb0EPKdPdPKlPlN2at6native12_GLOBAL__N_18offset_tEEE10hipError_tPvRmT1_PNSt15iterator_traitsIS12_E10value_typeET2_T3_PNS13_IS18_E10value_typeET4_jRbjT5_S1E_jjP12ihipStream_tbEUljE_ZNSN_ISO_Lb0ESQ_SR_ST_SU_SY_EESZ_S10_S11_S12_S16_S17_S18_S1B_S1C_jS1D_jS1E_S1E_jjS1G_bEUljE0_EEESZ_S10_S11_S18_S1C_S1E_T6_T7_T9_mT8_S1G_bDpT10_ENKUlT_T0_E_clISt17integral_constantIbLb1EES1T_IbLb0EEEEDaS1P_S1Q_EUlS1P_E_NS1_11comp_targetILNS1_3genE2ELNS1_11target_archE906ELNS1_3gpuE6ELNS1_3repE0EEENS1_30default_config_static_selectorELNS0_4arch9wavefront6targetE0EEEvS12_.has_indirect_call, 0
	.section	.AMDGPU.csdata,"",@progbits
; Kernel info:
; codeLenInByte = 0
; TotalNumSgprs: 0
; NumVgprs: 0
; ScratchSize: 0
; MemoryBound: 0
; FloatMode: 240
; IeeeMode: 1
; LDSByteSize: 0 bytes/workgroup (compile time only)
; SGPRBlocks: 0
; VGPRBlocks: 0
; NumSGPRsForWavesPerEU: 1
; NumVGPRsForWavesPerEU: 1
; NamedBarCnt: 0
; Occupancy: 16
; WaveLimiterHint : 0
; COMPUTE_PGM_RSRC2:SCRATCH_EN: 0
; COMPUTE_PGM_RSRC2:USER_SGPR: 2
; COMPUTE_PGM_RSRC2:TRAP_HANDLER: 0
; COMPUTE_PGM_RSRC2:TGID_X_EN: 1
; COMPUTE_PGM_RSRC2:TGID_Y_EN: 0
; COMPUTE_PGM_RSRC2:TGID_Z_EN: 0
; COMPUTE_PGM_RSRC2:TIDIG_COMP_CNT: 0
	.section	.text._ZN7rocprim17ROCPRIM_400000_NS6detail17trampoline_kernelINS0_13select_configILj256ELj13ELNS0_17block_load_methodE3ELS4_3ELS4_3ELNS0_20block_scan_algorithmE0ELj4294967295EEENS1_25partition_config_selectorILNS1_17partition_subalgoE4EjNS0_10empty_typeEbEEZZNS1_14partition_implILS8_4ELb0ES6_15HIP_vector_typeIjLj2EENS0_17counting_iteratorIjlEEPS9_SG_NS0_5tupleIJPjSI_NS0_16reverse_iteratorISI_EEEEENSH_IJSG_SG_SG_EEES9_SI_JZNS1_25segmented_radix_sort_implINS0_14default_configELb0EPKdPdPKlPlN2at6native12_GLOBAL__N_18offset_tEEE10hipError_tPvRmT1_PNSt15iterator_traitsIS12_E10value_typeET2_T3_PNS13_IS18_E10value_typeET4_jRbjT5_S1E_jjP12ihipStream_tbEUljE_ZNSN_ISO_Lb0ESQ_SR_ST_SU_SY_EESZ_S10_S11_S12_S16_S17_S18_S1B_S1C_jS1D_jS1E_S1E_jjS1G_bEUljE0_EEESZ_S10_S11_S18_S1C_S1E_T6_T7_T9_mT8_S1G_bDpT10_ENKUlT_T0_E_clISt17integral_constantIbLb1EES1T_IbLb0EEEEDaS1P_S1Q_EUlS1P_E_NS1_11comp_targetILNS1_3genE10ELNS1_11target_archE1200ELNS1_3gpuE4ELNS1_3repE0EEENS1_30default_config_static_selectorELNS0_4arch9wavefront6targetE0EEEvS12_,"axG",@progbits,_ZN7rocprim17ROCPRIM_400000_NS6detail17trampoline_kernelINS0_13select_configILj256ELj13ELNS0_17block_load_methodE3ELS4_3ELS4_3ELNS0_20block_scan_algorithmE0ELj4294967295EEENS1_25partition_config_selectorILNS1_17partition_subalgoE4EjNS0_10empty_typeEbEEZZNS1_14partition_implILS8_4ELb0ES6_15HIP_vector_typeIjLj2EENS0_17counting_iteratorIjlEEPS9_SG_NS0_5tupleIJPjSI_NS0_16reverse_iteratorISI_EEEEENSH_IJSG_SG_SG_EEES9_SI_JZNS1_25segmented_radix_sort_implINS0_14default_configELb0EPKdPdPKlPlN2at6native12_GLOBAL__N_18offset_tEEE10hipError_tPvRmT1_PNSt15iterator_traitsIS12_E10value_typeET2_T3_PNS13_IS18_E10value_typeET4_jRbjT5_S1E_jjP12ihipStream_tbEUljE_ZNSN_ISO_Lb0ESQ_SR_ST_SU_SY_EESZ_S10_S11_S12_S16_S17_S18_S1B_S1C_jS1D_jS1E_S1E_jjS1G_bEUljE0_EEESZ_S10_S11_S18_S1C_S1E_T6_T7_T9_mT8_S1G_bDpT10_ENKUlT_T0_E_clISt17integral_constantIbLb1EES1T_IbLb0EEEEDaS1P_S1Q_EUlS1P_E_NS1_11comp_targetILNS1_3genE10ELNS1_11target_archE1200ELNS1_3gpuE4ELNS1_3repE0EEENS1_30default_config_static_selectorELNS0_4arch9wavefront6targetE0EEEvS12_,comdat
	.globl	_ZN7rocprim17ROCPRIM_400000_NS6detail17trampoline_kernelINS0_13select_configILj256ELj13ELNS0_17block_load_methodE3ELS4_3ELS4_3ELNS0_20block_scan_algorithmE0ELj4294967295EEENS1_25partition_config_selectorILNS1_17partition_subalgoE4EjNS0_10empty_typeEbEEZZNS1_14partition_implILS8_4ELb0ES6_15HIP_vector_typeIjLj2EENS0_17counting_iteratorIjlEEPS9_SG_NS0_5tupleIJPjSI_NS0_16reverse_iteratorISI_EEEEENSH_IJSG_SG_SG_EEES9_SI_JZNS1_25segmented_radix_sort_implINS0_14default_configELb0EPKdPdPKlPlN2at6native12_GLOBAL__N_18offset_tEEE10hipError_tPvRmT1_PNSt15iterator_traitsIS12_E10value_typeET2_T3_PNS13_IS18_E10value_typeET4_jRbjT5_S1E_jjP12ihipStream_tbEUljE_ZNSN_ISO_Lb0ESQ_SR_ST_SU_SY_EESZ_S10_S11_S12_S16_S17_S18_S1B_S1C_jS1D_jS1E_S1E_jjS1G_bEUljE0_EEESZ_S10_S11_S18_S1C_S1E_T6_T7_T9_mT8_S1G_bDpT10_ENKUlT_T0_E_clISt17integral_constantIbLb1EES1T_IbLb0EEEEDaS1P_S1Q_EUlS1P_E_NS1_11comp_targetILNS1_3genE10ELNS1_11target_archE1200ELNS1_3gpuE4ELNS1_3repE0EEENS1_30default_config_static_selectorELNS0_4arch9wavefront6targetE0EEEvS12_ ; -- Begin function _ZN7rocprim17ROCPRIM_400000_NS6detail17trampoline_kernelINS0_13select_configILj256ELj13ELNS0_17block_load_methodE3ELS4_3ELS4_3ELNS0_20block_scan_algorithmE0ELj4294967295EEENS1_25partition_config_selectorILNS1_17partition_subalgoE4EjNS0_10empty_typeEbEEZZNS1_14partition_implILS8_4ELb0ES6_15HIP_vector_typeIjLj2EENS0_17counting_iteratorIjlEEPS9_SG_NS0_5tupleIJPjSI_NS0_16reverse_iteratorISI_EEEEENSH_IJSG_SG_SG_EEES9_SI_JZNS1_25segmented_radix_sort_implINS0_14default_configELb0EPKdPdPKlPlN2at6native12_GLOBAL__N_18offset_tEEE10hipError_tPvRmT1_PNSt15iterator_traitsIS12_E10value_typeET2_T3_PNS13_IS18_E10value_typeET4_jRbjT5_S1E_jjP12ihipStream_tbEUljE_ZNSN_ISO_Lb0ESQ_SR_ST_SU_SY_EESZ_S10_S11_S12_S16_S17_S18_S1B_S1C_jS1D_jS1E_S1E_jjS1G_bEUljE0_EEESZ_S10_S11_S18_S1C_S1E_T6_T7_T9_mT8_S1G_bDpT10_ENKUlT_T0_E_clISt17integral_constantIbLb1EES1T_IbLb0EEEEDaS1P_S1Q_EUlS1P_E_NS1_11comp_targetILNS1_3genE10ELNS1_11target_archE1200ELNS1_3gpuE4ELNS1_3repE0EEENS1_30default_config_static_selectorELNS0_4arch9wavefront6targetE0EEEvS12_
	.p2align	8
	.type	_ZN7rocprim17ROCPRIM_400000_NS6detail17trampoline_kernelINS0_13select_configILj256ELj13ELNS0_17block_load_methodE3ELS4_3ELS4_3ELNS0_20block_scan_algorithmE0ELj4294967295EEENS1_25partition_config_selectorILNS1_17partition_subalgoE4EjNS0_10empty_typeEbEEZZNS1_14partition_implILS8_4ELb0ES6_15HIP_vector_typeIjLj2EENS0_17counting_iteratorIjlEEPS9_SG_NS0_5tupleIJPjSI_NS0_16reverse_iteratorISI_EEEEENSH_IJSG_SG_SG_EEES9_SI_JZNS1_25segmented_radix_sort_implINS0_14default_configELb0EPKdPdPKlPlN2at6native12_GLOBAL__N_18offset_tEEE10hipError_tPvRmT1_PNSt15iterator_traitsIS12_E10value_typeET2_T3_PNS13_IS18_E10value_typeET4_jRbjT5_S1E_jjP12ihipStream_tbEUljE_ZNSN_ISO_Lb0ESQ_SR_ST_SU_SY_EESZ_S10_S11_S12_S16_S17_S18_S1B_S1C_jS1D_jS1E_S1E_jjS1G_bEUljE0_EEESZ_S10_S11_S18_S1C_S1E_T6_T7_T9_mT8_S1G_bDpT10_ENKUlT_T0_E_clISt17integral_constantIbLb1EES1T_IbLb0EEEEDaS1P_S1Q_EUlS1P_E_NS1_11comp_targetILNS1_3genE10ELNS1_11target_archE1200ELNS1_3gpuE4ELNS1_3repE0EEENS1_30default_config_static_selectorELNS0_4arch9wavefront6targetE0EEEvS12_,@function
_ZN7rocprim17ROCPRIM_400000_NS6detail17trampoline_kernelINS0_13select_configILj256ELj13ELNS0_17block_load_methodE3ELS4_3ELS4_3ELNS0_20block_scan_algorithmE0ELj4294967295EEENS1_25partition_config_selectorILNS1_17partition_subalgoE4EjNS0_10empty_typeEbEEZZNS1_14partition_implILS8_4ELb0ES6_15HIP_vector_typeIjLj2EENS0_17counting_iteratorIjlEEPS9_SG_NS0_5tupleIJPjSI_NS0_16reverse_iteratorISI_EEEEENSH_IJSG_SG_SG_EEES9_SI_JZNS1_25segmented_radix_sort_implINS0_14default_configELb0EPKdPdPKlPlN2at6native12_GLOBAL__N_18offset_tEEE10hipError_tPvRmT1_PNSt15iterator_traitsIS12_E10value_typeET2_T3_PNS13_IS18_E10value_typeET4_jRbjT5_S1E_jjP12ihipStream_tbEUljE_ZNSN_ISO_Lb0ESQ_SR_ST_SU_SY_EESZ_S10_S11_S12_S16_S17_S18_S1B_S1C_jS1D_jS1E_S1E_jjS1G_bEUljE0_EEESZ_S10_S11_S18_S1C_S1E_T6_T7_T9_mT8_S1G_bDpT10_ENKUlT_T0_E_clISt17integral_constantIbLb1EES1T_IbLb0EEEEDaS1P_S1Q_EUlS1P_E_NS1_11comp_targetILNS1_3genE10ELNS1_11target_archE1200ELNS1_3gpuE4ELNS1_3repE0EEENS1_30default_config_static_selectorELNS0_4arch9wavefront6targetE0EEEvS12_: ; @_ZN7rocprim17ROCPRIM_400000_NS6detail17trampoline_kernelINS0_13select_configILj256ELj13ELNS0_17block_load_methodE3ELS4_3ELS4_3ELNS0_20block_scan_algorithmE0ELj4294967295EEENS1_25partition_config_selectorILNS1_17partition_subalgoE4EjNS0_10empty_typeEbEEZZNS1_14partition_implILS8_4ELb0ES6_15HIP_vector_typeIjLj2EENS0_17counting_iteratorIjlEEPS9_SG_NS0_5tupleIJPjSI_NS0_16reverse_iteratorISI_EEEEENSH_IJSG_SG_SG_EEES9_SI_JZNS1_25segmented_radix_sort_implINS0_14default_configELb0EPKdPdPKlPlN2at6native12_GLOBAL__N_18offset_tEEE10hipError_tPvRmT1_PNSt15iterator_traitsIS12_E10value_typeET2_T3_PNS13_IS18_E10value_typeET4_jRbjT5_S1E_jjP12ihipStream_tbEUljE_ZNSN_ISO_Lb0ESQ_SR_ST_SU_SY_EESZ_S10_S11_S12_S16_S17_S18_S1B_S1C_jS1D_jS1E_S1E_jjS1G_bEUljE0_EEESZ_S10_S11_S18_S1C_S1E_T6_T7_T9_mT8_S1G_bDpT10_ENKUlT_T0_E_clISt17integral_constantIbLb1EES1T_IbLb0EEEEDaS1P_S1Q_EUlS1P_E_NS1_11comp_targetILNS1_3genE10ELNS1_11target_archE1200ELNS1_3gpuE4ELNS1_3repE0EEENS1_30default_config_static_selectorELNS0_4arch9wavefront6targetE0EEEvS12_
; %bb.0:
	.section	.rodata,"a",@progbits
	.p2align	6, 0x0
	.amdhsa_kernel _ZN7rocprim17ROCPRIM_400000_NS6detail17trampoline_kernelINS0_13select_configILj256ELj13ELNS0_17block_load_methodE3ELS4_3ELS4_3ELNS0_20block_scan_algorithmE0ELj4294967295EEENS1_25partition_config_selectorILNS1_17partition_subalgoE4EjNS0_10empty_typeEbEEZZNS1_14partition_implILS8_4ELb0ES6_15HIP_vector_typeIjLj2EENS0_17counting_iteratorIjlEEPS9_SG_NS0_5tupleIJPjSI_NS0_16reverse_iteratorISI_EEEEENSH_IJSG_SG_SG_EEES9_SI_JZNS1_25segmented_radix_sort_implINS0_14default_configELb0EPKdPdPKlPlN2at6native12_GLOBAL__N_18offset_tEEE10hipError_tPvRmT1_PNSt15iterator_traitsIS12_E10value_typeET2_T3_PNS13_IS18_E10value_typeET4_jRbjT5_S1E_jjP12ihipStream_tbEUljE_ZNSN_ISO_Lb0ESQ_SR_ST_SU_SY_EESZ_S10_S11_S12_S16_S17_S18_S1B_S1C_jS1D_jS1E_S1E_jjS1G_bEUljE0_EEESZ_S10_S11_S18_S1C_S1E_T6_T7_T9_mT8_S1G_bDpT10_ENKUlT_T0_E_clISt17integral_constantIbLb1EES1T_IbLb0EEEEDaS1P_S1Q_EUlS1P_E_NS1_11comp_targetILNS1_3genE10ELNS1_11target_archE1200ELNS1_3gpuE4ELNS1_3repE0EEENS1_30default_config_static_selectorELNS0_4arch9wavefront6targetE0EEEvS12_
		.amdhsa_group_segment_fixed_size 0
		.amdhsa_private_segment_fixed_size 0
		.amdhsa_kernarg_size 176
		.amdhsa_user_sgpr_count 2
		.amdhsa_user_sgpr_dispatch_ptr 0
		.amdhsa_user_sgpr_queue_ptr 0
		.amdhsa_user_sgpr_kernarg_segment_ptr 1
		.amdhsa_user_sgpr_dispatch_id 0
		.amdhsa_user_sgpr_kernarg_preload_length 0
		.amdhsa_user_sgpr_kernarg_preload_offset 0
		.amdhsa_user_sgpr_private_segment_size 0
		.amdhsa_wavefront_size32 1
		.amdhsa_uses_dynamic_stack 0
		.amdhsa_enable_private_segment 0
		.amdhsa_system_sgpr_workgroup_id_x 1
		.amdhsa_system_sgpr_workgroup_id_y 0
		.amdhsa_system_sgpr_workgroup_id_z 0
		.amdhsa_system_sgpr_workgroup_info 0
		.amdhsa_system_vgpr_workitem_id 0
		.amdhsa_next_free_vgpr 1
		.amdhsa_next_free_sgpr 1
		.amdhsa_named_barrier_count 0
		.amdhsa_reserve_vcc 0
		.amdhsa_float_round_mode_32 0
		.amdhsa_float_round_mode_16_64 0
		.amdhsa_float_denorm_mode_32 3
		.amdhsa_float_denorm_mode_16_64 3
		.amdhsa_fp16_overflow 0
		.amdhsa_memory_ordered 1
		.amdhsa_forward_progress 1
		.amdhsa_inst_pref_size 0
		.amdhsa_round_robin_scheduling 0
		.amdhsa_exception_fp_ieee_invalid_op 0
		.amdhsa_exception_fp_denorm_src 0
		.amdhsa_exception_fp_ieee_div_zero 0
		.amdhsa_exception_fp_ieee_overflow 0
		.amdhsa_exception_fp_ieee_underflow 0
		.amdhsa_exception_fp_ieee_inexact 0
		.amdhsa_exception_int_div_zero 0
	.end_amdhsa_kernel
	.section	.text._ZN7rocprim17ROCPRIM_400000_NS6detail17trampoline_kernelINS0_13select_configILj256ELj13ELNS0_17block_load_methodE3ELS4_3ELS4_3ELNS0_20block_scan_algorithmE0ELj4294967295EEENS1_25partition_config_selectorILNS1_17partition_subalgoE4EjNS0_10empty_typeEbEEZZNS1_14partition_implILS8_4ELb0ES6_15HIP_vector_typeIjLj2EENS0_17counting_iteratorIjlEEPS9_SG_NS0_5tupleIJPjSI_NS0_16reverse_iteratorISI_EEEEENSH_IJSG_SG_SG_EEES9_SI_JZNS1_25segmented_radix_sort_implINS0_14default_configELb0EPKdPdPKlPlN2at6native12_GLOBAL__N_18offset_tEEE10hipError_tPvRmT1_PNSt15iterator_traitsIS12_E10value_typeET2_T3_PNS13_IS18_E10value_typeET4_jRbjT5_S1E_jjP12ihipStream_tbEUljE_ZNSN_ISO_Lb0ESQ_SR_ST_SU_SY_EESZ_S10_S11_S12_S16_S17_S18_S1B_S1C_jS1D_jS1E_S1E_jjS1G_bEUljE0_EEESZ_S10_S11_S18_S1C_S1E_T6_T7_T9_mT8_S1G_bDpT10_ENKUlT_T0_E_clISt17integral_constantIbLb1EES1T_IbLb0EEEEDaS1P_S1Q_EUlS1P_E_NS1_11comp_targetILNS1_3genE10ELNS1_11target_archE1200ELNS1_3gpuE4ELNS1_3repE0EEENS1_30default_config_static_selectorELNS0_4arch9wavefront6targetE0EEEvS12_,"axG",@progbits,_ZN7rocprim17ROCPRIM_400000_NS6detail17trampoline_kernelINS0_13select_configILj256ELj13ELNS0_17block_load_methodE3ELS4_3ELS4_3ELNS0_20block_scan_algorithmE0ELj4294967295EEENS1_25partition_config_selectorILNS1_17partition_subalgoE4EjNS0_10empty_typeEbEEZZNS1_14partition_implILS8_4ELb0ES6_15HIP_vector_typeIjLj2EENS0_17counting_iteratorIjlEEPS9_SG_NS0_5tupleIJPjSI_NS0_16reverse_iteratorISI_EEEEENSH_IJSG_SG_SG_EEES9_SI_JZNS1_25segmented_radix_sort_implINS0_14default_configELb0EPKdPdPKlPlN2at6native12_GLOBAL__N_18offset_tEEE10hipError_tPvRmT1_PNSt15iterator_traitsIS12_E10value_typeET2_T3_PNS13_IS18_E10value_typeET4_jRbjT5_S1E_jjP12ihipStream_tbEUljE_ZNSN_ISO_Lb0ESQ_SR_ST_SU_SY_EESZ_S10_S11_S12_S16_S17_S18_S1B_S1C_jS1D_jS1E_S1E_jjS1G_bEUljE0_EEESZ_S10_S11_S18_S1C_S1E_T6_T7_T9_mT8_S1G_bDpT10_ENKUlT_T0_E_clISt17integral_constantIbLb1EES1T_IbLb0EEEEDaS1P_S1Q_EUlS1P_E_NS1_11comp_targetILNS1_3genE10ELNS1_11target_archE1200ELNS1_3gpuE4ELNS1_3repE0EEENS1_30default_config_static_selectorELNS0_4arch9wavefront6targetE0EEEvS12_,comdat
.Lfunc_end1172:
	.size	_ZN7rocprim17ROCPRIM_400000_NS6detail17trampoline_kernelINS0_13select_configILj256ELj13ELNS0_17block_load_methodE3ELS4_3ELS4_3ELNS0_20block_scan_algorithmE0ELj4294967295EEENS1_25partition_config_selectorILNS1_17partition_subalgoE4EjNS0_10empty_typeEbEEZZNS1_14partition_implILS8_4ELb0ES6_15HIP_vector_typeIjLj2EENS0_17counting_iteratorIjlEEPS9_SG_NS0_5tupleIJPjSI_NS0_16reverse_iteratorISI_EEEEENSH_IJSG_SG_SG_EEES9_SI_JZNS1_25segmented_radix_sort_implINS0_14default_configELb0EPKdPdPKlPlN2at6native12_GLOBAL__N_18offset_tEEE10hipError_tPvRmT1_PNSt15iterator_traitsIS12_E10value_typeET2_T3_PNS13_IS18_E10value_typeET4_jRbjT5_S1E_jjP12ihipStream_tbEUljE_ZNSN_ISO_Lb0ESQ_SR_ST_SU_SY_EESZ_S10_S11_S12_S16_S17_S18_S1B_S1C_jS1D_jS1E_S1E_jjS1G_bEUljE0_EEESZ_S10_S11_S18_S1C_S1E_T6_T7_T9_mT8_S1G_bDpT10_ENKUlT_T0_E_clISt17integral_constantIbLb1EES1T_IbLb0EEEEDaS1P_S1Q_EUlS1P_E_NS1_11comp_targetILNS1_3genE10ELNS1_11target_archE1200ELNS1_3gpuE4ELNS1_3repE0EEENS1_30default_config_static_selectorELNS0_4arch9wavefront6targetE0EEEvS12_, .Lfunc_end1172-_ZN7rocprim17ROCPRIM_400000_NS6detail17trampoline_kernelINS0_13select_configILj256ELj13ELNS0_17block_load_methodE3ELS4_3ELS4_3ELNS0_20block_scan_algorithmE0ELj4294967295EEENS1_25partition_config_selectorILNS1_17partition_subalgoE4EjNS0_10empty_typeEbEEZZNS1_14partition_implILS8_4ELb0ES6_15HIP_vector_typeIjLj2EENS0_17counting_iteratorIjlEEPS9_SG_NS0_5tupleIJPjSI_NS0_16reverse_iteratorISI_EEEEENSH_IJSG_SG_SG_EEES9_SI_JZNS1_25segmented_radix_sort_implINS0_14default_configELb0EPKdPdPKlPlN2at6native12_GLOBAL__N_18offset_tEEE10hipError_tPvRmT1_PNSt15iterator_traitsIS12_E10value_typeET2_T3_PNS13_IS18_E10value_typeET4_jRbjT5_S1E_jjP12ihipStream_tbEUljE_ZNSN_ISO_Lb0ESQ_SR_ST_SU_SY_EESZ_S10_S11_S12_S16_S17_S18_S1B_S1C_jS1D_jS1E_S1E_jjS1G_bEUljE0_EEESZ_S10_S11_S18_S1C_S1E_T6_T7_T9_mT8_S1G_bDpT10_ENKUlT_T0_E_clISt17integral_constantIbLb1EES1T_IbLb0EEEEDaS1P_S1Q_EUlS1P_E_NS1_11comp_targetILNS1_3genE10ELNS1_11target_archE1200ELNS1_3gpuE4ELNS1_3repE0EEENS1_30default_config_static_selectorELNS0_4arch9wavefront6targetE0EEEvS12_
                                        ; -- End function
	.set _ZN7rocprim17ROCPRIM_400000_NS6detail17trampoline_kernelINS0_13select_configILj256ELj13ELNS0_17block_load_methodE3ELS4_3ELS4_3ELNS0_20block_scan_algorithmE0ELj4294967295EEENS1_25partition_config_selectorILNS1_17partition_subalgoE4EjNS0_10empty_typeEbEEZZNS1_14partition_implILS8_4ELb0ES6_15HIP_vector_typeIjLj2EENS0_17counting_iteratorIjlEEPS9_SG_NS0_5tupleIJPjSI_NS0_16reverse_iteratorISI_EEEEENSH_IJSG_SG_SG_EEES9_SI_JZNS1_25segmented_radix_sort_implINS0_14default_configELb0EPKdPdPKlPlN2at6native12_GLOBAL__N_18offset_tEEE10hipError_tPvRmT1_PNSt15iterator_traitsIS12_E10value_typeET2_T3_PNS13_IS18_E10value_typeET4_jRbjT5_S1E_jjP12ihipStream_tbEUljE_ZNSN_ISO_Lb0ESQ_SR_ST_SU_SY_EESZ_S10_S11_S12_S16_S17_S18_S1B_S1C_jS1D_jS1E_S1E_jjS1G_bEUljE0_EEESZ_S10_S11_S18_S1C_S1E_T6_T7_T9_mT8_S1G_bDpT10_ENKUlT_T0_E_clISt17integral_constantIbLb1EES1T_IbLb0EEEEDaS1P_S1Q_EUlS1P_E_NS1_11comp_targetILNS1_3genE10ELNS1_11target_archE1200ELNS1_3gpuE4ELNS1_3repE0EEENS1_30default_config_static_selectorELNS0_4arch9wavefront6targetE0EEEvS12_.num_vgpr, 0
	.set _ZN7rocprim17ROCPRIM_400000_NS6detail17trampoline_kernelINS0_13select_configILj256ELj13ELNS0_17block_load_methodE3ELS4_3ELS4_3ELNS0_20block_scan_algorithmE0ELj4294967295EEENS1_25partition_config_selectorILNS1_17partition_subalgoE4EjNS0_10empty_typeEbEEZZNS1_14partition_implILS8_4ELb0ES6_15HIP_vector_typeIjLj2EENS0_17counting_iteratorIjlEEPS9_SG_NS0_5tupleIJPjSI_NS0_16reverse_iteratorISI_EEEEENSH_IJSG_SG_SG_EEES9_SI_JZNS1_25segmented_radix_sort_implINS0_14default_configELb0EPKdPdPKlPlN2at6native12_GLOBAL__N_18offset_tEEE10hipError_tPvRmT1_PNSt15iterator_traitsIS12_E10value_typeET2_T3_PNS13_IS18_E10value_typeET4_jRbjT5_S1E_jjP12ihipStream_tbEUljE_ZNSN_ISO_Lb0ESQ_SR_ST_SU_SY_EESZ_S10_S11_S12_S16_S17_S18_S1B_S1C_jS1D_jS1E_S1E_jjS1G_bEUljE0_EEESZ_S10_S11_S18_S1C_S1E_T6_T7_T9_mT8_S1G_bDpT10_ENKUlT_T0_E_clISt17integral_constantIbLb1EES1T_IbLb0EEEEDaS1P_S1Q_EUlS1P_E_NS1_11comp_targetILNS1_3genE10ELNS1_11target_archE1200ELNS1_3gpuE4ELNS1_3repE0EEENS1_30default_config_static_selectorELNS0_4arch9wavefront6targetE0EEEvS12_.num_agpr, 0
	.set _ZN7rocprim17ROCPRIM_400000_NS6detail17trampoline_kernelINS0_13select_configILj256ELj13ELNS0_17block_load_methodE3ELS4_3ELS4_3ELNS0_20block_scan_algorithmE0ELj4294967295EEENS1_25partition_config_selectorILNS1_17partition_subalgoE4EjNS0_10empty_typeEbEEZZNS1_14partition_implILS8_4ELb0ES6_15HIP_vector_typeIjLj2EENS0_17counting_iteratorIjlEEPS9_SG_NS0_5tupleIJPjSI_NS0_16reverse_iteratorISI_EEEEENSH_IJSG_SG_SG_EEES9_SI_JZNS1_25segmented_radix_sort_implINS0_14default_configELb0EPKdPdPKlPlN2at6native12_GLOBAL__N_18offset_tEEE10hipError_tPvRmT1_PNSt15iterator_traitsIS12_E10value_typeET2_T3_PNS13_IS18_E10value_typeET4_jRbjT5_S1E_jjP12ihipStream_tbEUljE_ZNSN_ISO_Lb0ESQ_SR_ST_SU_SY_EESZ_S10_S11_S12_S16_S17_S18_S1B_S1C_jS1D_jS1E_S1E_jjS1G_bEUljE0_EEESZ_S10_S11_S18_S1C_S1E_T6_T7_T9_mT8_S1G_bDpT10_ENKUlT_T0_E_clISt17integral_constantIbLb1EES1T_IbLb0EEEEDaS1P_S1Q_EUlS1P_E_NS1_11comp_targetILNS1_3genE10ELNS1_11target_archE1200ELNS1_3gpuE4ELNS1_3repE0EEENS1_30default_config_static_selectorELNS0_4arch9wavefront6targetE0EEEvS12_.numbered_sgpr, 0
	.set _ZN7rocprim17ROCPRIM_400000_NS6detail17trampoline_kernelINS0_13select_configILj256ELj13ELNS0_17block_load_methodE3ELS4_3ELS4_3ELNS0_20block_scan_algorithmE0ELj4294967295EEENS1_25partition_config_selectorILNS1_17partition_subalgoE4EjNS0_10empty_typeEbEEZZNS1_14partition_implILS8_4ELb0ES6_15HIP_vector_typeIjLj2EENS0_17counting_iteratorIjlEEPS9_SG_NS0_5tupleIJPjSI_NS0_16reverse_iteratorISI_EEEEENSH_IJSG_SG_SG_EEES9_SI_JZNS1_25segmented_radix_sort_implINS0_14default_configELb0EPKdPdPKlPlN2at6native12_GLOBAL__N_18offset_tEEE10hipError_tPvRmT1_PNSt15iterator_traitsIS12_E10value_typeET2_T3_PNS13_IS18_E10value_typeET4_jRbjT5_S1E_jjP12ihipStream_tbEUljE_ZNSN_ISO_Lb0ESQ_SR_ST_SU_SY_EESZ_S10_S11_S12_S16_S17_S18_S1B_S1C_jS1D_jS1E_S1E_jjS1G_bEUljE0_EEESZ_S10_S11_S18_S1C_S1E_T6_T7_T9_mT8_S1G_bDpT10_ENKUlT_T0_E_clISt17integral_constantIbLb1EES1T_IbLb0EEEEDaS1P_S1Q_EUlS1P_E_NS1_11comp_targetILNS1_3genE10ELNS1_11target_archE1200ELNS1_3gpuE4ELNS1_3repE0EEENS1_30default_config_static_selectorELNS0_4arch9wavefront6targetE0EEEvS12_.num_named_barrier, 0
	.set _ZN7rocprim17ROCPRIM_400000_NS6detail17trampoline_kernelINS0_13select_configILj256ELj13ELNS0_17block_load_methodE3ELS4_3ELS4_3ELNS0_20block_scan_algorithmE0ELj4294967295EEENS1_25partition_config_selectorILNS1_17partition_subalgoE4EjNS0_10empty_typeEbEEZZNS1_14partition_implILS8_4ELb0ES6_15HIP_vector_typeIjLj2EENS0_17counting_iteratorIjlEEPS9_SG_NS0_5tupleIJPjSI_NS0_16reverse_iteratorISI_EEEEENSH_IJSG_SG_SG_EEES9_SI_JZNS1_25segmented_radix_sort_implINS0_14default_configELb0EPKdPdPKlPlN2at6native12_GLOBAL__N_18offset_tEEE10hipError_tPvRmT1_PNSt15iterator_traitsIS12_E10value_typeET2_T3_PNS13_IS18_E10value_typeET4_jRbjT5_S1E_jjP12ihipStream_tbEUljE_ZNSN_ISO_Lb0ESQ_SR_ST_SU_SY_EESZ_S10_S11_S12_S16_S17_S18_S1B_S1C_jS1D_jS1E_S1E_jjS1G_bEUljE0_EEESZ_S10_S11_S18_S1C_S1E_T6_T7_T9_mT8_S1G_bDpT10_ENKUlT_T0_E_clISt17integral_constantIbLb1EES1T_IbLb0EEEEDaS1P_S1Q_EUlS1P_E_NS1_11comp_targetILNS1_3genE10ELNS1_11target_archE1200ELNS1_3gpuE4ELNS1_3repE0EEENS1_30default_config_static_selectorELNS0_4arch9wavefront6targetE0EEEvS12_.private_seg_size, 0
	.set _ZN7rocprim17ROCPRIM_400000_NS6detail17trampoline_kernelINS0_13select_configILj256ELj13ELNS0_17block_load_methodE3ELS4_3ELS4_3ELNS0_20block_scan_algorithmE0ELj4294967295EEENS1_25partition_config_selectorILNS1_17partition_subalgoE4EjNS0_10empty_typeEbEEZZNS1_14partition_implILS8_4ELb0ES6_15HIP_vector_typeIjLj2EENS0_17counting_iteratorIjlEEPS9_SG_NS0_5tupleIJPjSI_NS0_16reverse_iteratorISI_EEEEENSH_IJSG_SG_SG_EEES9_SI_JZNS1_25segmented_radix_sort_implINS0_14default_configELb0EPKdPdPKlPlN2at6native12_GLOBAL__N_18offset_tEEE10hipError_tPvRmT1_PNSt15iterator_traitsIS12_E10value_typeET2_T3_PNS13_IS18_E10value_typeET4_jRbjT5_S1E_jjP12ihipStream_tbEUljE_ZNSN_ISO_Lb0ESQ_SR_ST_SU_SY_EESZ_S10_S11_S12_S16_S17_S18_S1B_S1C_jS1D_jS1E_S1E_jjS1G_bEUljE0_EEESZ_S10_S11_S18_S1C_S1E_T6_T7_T9_mT8_S1G_bDpT10_ENKUlT_T0_E_clISt17integral_constantIbLb1EES1T_IbLb0EEEEDaS1P_S1Q_EUlS1P_E_NS1_11comp_targetILNS1_3genE10ELNS1_11target_archE1200ELNS1_3gpuE4ELNS1_3repE0EEENS1_30default_config_static_selectorELNS0_4arch9wavefront6targetE0EEEvS12_.uses_vcc, 0
	.set _ZN7rocprim17ROCPRIM_400000_NS6detail17trampoline_kernelINS0_13select_configILj256ELj13ELNS0_17block_load_methodE3ELS4_3ELS4_3ELNS0_20block_scan_algorithmE0ELj4294967295EEENS1_25partition_config_selectorILNS1_17partition_subalgoE4EjNS0_10empty_typeEbEEZZNS1_14partition_implILS8_4ELb0ES6_15HIP_vector_typeIjLj2EENS0_17counting_iteratorIjlEEPS9_SG_NS0_5tupleIJPjSI_NS0_16reverse_iteratorISI_EEEEENSH_IJSG_SG_SG_EEES9_SI_JZNS1_25segmented_radix_sort_implINS0_14default_configELb0EPKdPdPKlPlN2at6native12_GLOBAL__N_18offset_tEEE10hipError_tPvRmT1_PNSt15iterator_traitsIS12_E10value_typeET2_T3_PNS13_IS18_E10value_typeET4_jRbjT5_S1E_jjP12ihipStream_tbEUljE_ZNSN_ISO_Lb0ESQ_SR_ST_SU_SY_EESZ_S10_S11_S12_S16_S17_S18_S1B_S1C_jS1D_jS1E_S1E_jjS1G_bEUljE0_EEESZ_S10_S11_S18_S1C_S1E_T6_T7_T9_mT8_S1G_bDpT10_ENKUlT_T0_E_clISt17integral_constantIbLb1EES1T_IbLb0EEEEDaS1P_S1Q_EUlS1P_E_NS1_11comp_targetILNS1_3genE10ELNS1_11target_archE1200ELNS1_3gpuE4ELNS1_3repE0EEENS1_30default_config_static_selectorELNS0_4arch9wavefront6targetE0EEEvS12_.uses_flat_scratch, 0
	.set _ZN7rocprim17ROCPRIM_400000_NS6detail17trampoline_kernelINS0_13select_configILj256ELj13ELNS0_17block_load_methodE3ELS4_3ELS4_3ELNS0_20block_scan_algorithmE0ELj4294967295EEENS1_25partition_config_selectorILNS1_17partition_subalgoE4EjNS0_10empty_typeEbEEZZNS1_14partition_implILS8_4ELb0ES6_15HIP_vector_typeIjLj2EENS0_17counting_iteratorIjlEEPS9_SG_NS0_5tupleIJPjSI_NS0_16reverse_iteratorISI_EEEEENSH_IJSG_SG_SG_EEES9_SI_JZNS1_25segmented_radix_sort_implINS0_14default_configELb0EPKdPdPKlPlN2at6native12_GLOBAL__N_18offset_tEEE10hipError_tPvRmT1_PNSt15iterator_traitsIS12_E10value_typeET2_T3_PNS13_IS18_E10value_typeET4_jRbjT5_S1E_jjP12ihipStream_tbEUljE_ZNSN_ISO_Lb0ESQ_SR_ST_SU_SY_EESZ_S10_S11_S12_S16_S17_S18_S1B_S1C_jS1D_jS1E_S1E_jjS1G_bEUljE0_EEESZ_S10_S11_S18_S1C_S1E_T6_T7_T9_mT8_S1G_bDpT10_ENKUlT_T0_E_clISt17integral_constantIbLb1EES1T_IbLb0EEEEDaS1P_S1Q_EUlS1P_E_NS1_11comp_targetILNS1_3genE10ELNS1_11target_archE1200ELNS1_3gpuE4ELNS1_3repE0EEENS1_30default_config_static_selectorELNS0_4arch9wavefront6targetE0EEEvS12_.has_dyn_sized_stack, 0
	.set _ZN7rocprim17ROCPRIM_400000_NS6detail17trampoline_kernelINS0_13select_configILj256ELj13ELNS0_17block_load_methodE3ELS4_3ELS4_3ELNS0_20block_scan_algorithmE0ELj4294967295EEENS1_25partition_config_selectorILNS1_17partition_subalgoE4EjNS0_10empty_typeEbEEZZNS1_14partition_implILS8_4ELb0ES6_15HIP_vector_typeIjLj2EENS0_17counting_iteratorIjlEEPS9_SG_NS0_5tupleIJPjSI_NS0_16reverse_iteratorISI_EEEEENSH_IJSG_SG_SG_EEES9_SI_JZNS1_25segmented_radix_sort_implINS0_14default_configELb0EPKdPdPKlPlN2at6native12_GLOBAL__N_18offset_tEEE10hipError_tPvRmT1_PNSt15iterator_traitsIS12_E10value_typeET2_T3_PNS13_IS18_E10value_typeET4_jRbjT5_S1E_jjP12ihipStream_tbEUljE_ZNSN_ISO_Lb0ESQ_SR_ST_SU_SY_EESZ_S10_S11_S12_S16_S17_S18_S1B_S1C_jS1D_jS1E_S1E_jjS1G_bEUljE0_EEESZ_S10_S11_S18_S1C_S1E_T6_T7_T9_mT8_S1G_bDpT10_ENKUlT_T0_E_clISt17integral_constantIbLb1EES1T_IbLb0EEEEDaS1P_S1Q_EUlS1P_E_NS1_11comp_targetILNS1_3genE10ELNS1_11target_archE1200ELNS1_3gpuE4ELNS1_3repE0EEENS1_30default_config_static_selectorELNS0_4arch9wavefront6targetE0EEEvS12_.has_recursion, 0
	.set _ZN7rocprim17ROCPRIM_400000_NS6detail17trampoline_kernelINS0_13select_configILj256ELj13ELNS0_17block_load_methodE3ELS4_3ELS4_3ELNS0_20block_scan_algorithmE0ELj4294967295EEENS1_25partition_config_selectorILNS1_17partition_subalgoE4EjNS0_10empty_typeEbEEZZNS1_14partition_implILS8_4ELb0ES6_15HIP_vector_typeIjLj2EENS0_17counting_iteratorIjlEEPS9_SG_NS0_5tupleIJPjSI_NS0_16reverse_iteratorISI_EEEEENSH_IJSG_SG_SG_EEES9_SI_JZNS1_25segmented_radix_sort_implINS0_14default_configELb0EPKdPdPKlPlN2at6native12_GLOBAL__N_18offset_tEEE10hipError_tPvRmT1_PNSt15iterator_traitsIS12_E10value_typeET2_T3_PNS13_IS18_E10value_typeET4_jRbjT5_S1E_jjP12ihipStream_tbEUljE_ZNSN_ISO_Lb0ESQ_SR_ST_SU_SY_EESZ_S10_S11_S12_S16_S17_S18_S1B_S1C_jS1D_jS1E_S1E_jjS1G_bEUljE0_EEESZ_S10_S11_S18_S1C_S1E_T6_T7_T9_mT8_S1G_bDpT10_ENKUlT_T0_E_clISt17integral_constantIbLb1EES1T_IbLb0EEEEDaS1P_S1Q_EUlS1P_E_NS1_11comp_targetILNS1_3genE10ELNS1_11target_archE1200ELNS1_3gpuE4ELNS1_3repE0EEENS1_30default_config_static_selectorELNS0_4arch9wavefront6targetE0EEEvS12_.has_indirect_call, 0
	.section	.AMDGPU.csdata,"",@progbits
; Kernel info:
; codeLenInByte = 0
; TotalNumSgprs: 0
; NumVgprs: 0
; ScratchSize: 0
; MemoryBound: 0
; FloatMode: 240
; IeeeMode: 1
; LDSByteSize: 0 bytes/workgroup (compile time only)
; SGPRBlocks: 0
; VGPRBlocks: 0
; NumSGPRsForWavesPerEU: 1
; NumVGPRsForWavesPerEU: 1
; NamedBarCnt: 0
; Occupancy: 16
; WaveLimiterHint : 0
; COMPUTE_PGM_RSRC2:SCRATCH_EN: 0
; COMPUTE_PGM_RSRC2:USER_SGPR: 2
; COMPUTE_PGM_RSRC2:TRAP_HANDLER: 0
; COMPUTE_PGM_RSRC2:TGID_X_EN: 1
; COMPUTE_PGM_RSRC2:TGID_Y_EN: 0
; COMPUTE_PGM_RSRC2:TGID_Z_EN: 0
; COMPUTE_PGM_RSRC2:TIDIG_COMP_CNT: 0
	.section	.text._ZN7rocprim17ROCPRIM_400000_NS6detail17trampoline_kernelINS0_13select_configILj256ELj13ELNS0_17block_load_methodE3ELS4_3ELS4_3ELNS0_20block_scan_algorithmE0ELj4294967295EEENS1_25partition_config_selectorILNS1_17partition_subalgoE4EjNS0_10empty_typeEbEEZZNS1_14partition_implILS8_4ELb0ES6_15HIP_vector_typeIjLj2EENS0_17counting_iteratorIjlEEPS9_SG_NS0_5tupleIJPjSI_NS0_16reverse_iteratorISI_EEEEENSH_IJSG_SG_SG_EEES9_SI_JZNS1_25segmented_radix_sort_implINS0_14default_configELb0EPKdPdPKlPlN2at6native12_GLOBAL__N_18offset_tEEE10hipError_tPvRmT1_PNSt15iterator_traitsIS12_E10value_typeET2_T3_PNS13_IS18_E10value_typeET4_jRbjT5_S1E_jjP12ihipStream_tbEUljE_ZNSN_ISO_Lb0ESQ_SR_ST_SU_SY_EESZ_S10_S11_S12_S16_S17_S18_S1B_S1C_jS1D_jS1E_S1E_jjS1G_bEUljE0_EEESZ_S10_S11_S18_S1C_S1E_T6_T7_T9_mT8_S1G_bDpT10_ENKUlT_T0_E_clISt17integral_constantIbLb1EES1T_IbLb0EEEEDaS1P_S1Q_EUlS1P_E_NS1_11comp_targetILNS1_3genE9ELNS1_11target_archE1100ELNS1_3gpuE3ELNS1_3repE0EEENS1_30default_config_static_selectorELNS0_4arch9wavefront6targetE0EEEvS12_,"axG",@progbits,_ZN7rocprim17ROCPRIM_400000_NS6detail17trampoline_kernelINS0_13select_configILj256ELj13ELNS0_17block_load_methodE3ELS4_3ELS4_3ELNS0_20block_scan_algorithmE0ELj4294967295EEENS1_25partition_config_selectorILNS1_17partition_subalgoE4EjNS0_10empty_typeEbEEZZNS1_14partition_implILS8_4ELb0ES6_15HIP_vector_typeIjLj2EENS0_17counting_iteratorIjlEEPS9_SG_NS0_5tupleIJPjSI_NS0_16reverse_iteratorISI_EEEEENSH_IJSG_SG_SG_EEES9_SI_JZNS1_25segmented_radix_sort_implINS0_14default_configELb0EPKdPdPKlPlN2at6native12_GLOBAL__N_18offset_tEEE10hipError_tPvRmT1_PNSt15iterator_traitsIS12_E10value_typeET2_T3_PNS13_IS18_E10value_typeET4_jRbjT5_S1E_jjP12ihipStream_tbEUljE_ZNSN_ISO_Lb0ESQ_SR_ST_SU_SY_EESZ_S10_S11_S12_S16_S17_S18_S1B_S1C_jS1D_jS1E_S1E_jjS1G_bEUljE0_EEESZ_S10_S11_S18_S1C_S1E_T6_T7_T9_mT8_S1G_bDpT10_ENKUlT_T0_E_clISt17integral_constantIbLb1EES1T_IbLb0EEEEDaS1P_S1Q_EUlS1P_E_NS1_11comp_targetILNS1_3genE9ELNS1_11target_archE1100ELNS1_3gpuE3ELNS1_3repE0EEENS1_30default_config_static_selectorELNS0_4arch9wavefront6targetE0EEEvS12_,comdat
	.globl	_ZN7rocprim17ROCPRIM_400000_NS6detail17trampoline_kernelINS0_13select_configILj256ELj13ELNS0_17block_load_methodE3ELS4_3ELS4_3ELNS0_20block_scan_algorithmE0ELj4294967295EEENS1_25partition_config_selectorILNS1_17partition_subalgoE4EjNS0_10empty_typeEbEEZZNS1_14partition_implILS8_4ELb0ES6_15HIP_vector_typeIjLj2EENS0_17counting_iteratorIjlEEPS9_SG_NS0_5tupleIJPjSI_NS0_16reverse_iteratorISI_EEEEENSH_IJSG_SG_SG_EEES9_SI_JZNS1_25segmented_radix_sort_implINS0_14default_configELb0EPKdPdPKlPlN2at6native12_GLOBAL__N_18offset_tEEE10hipError_tPvRmT1_PNSt15iterator_traitsIS12_E10value_typeET2_T3_PNS13_IS18_E10value_typeET4_jRbjT5_S1E_jjP12ihipStream_tbEUljE_ZNSN_ISO_Lb0ESQ_SR_ST_SU_SY_EESZ_S10_S11_S12_S16_S17_S18_S1B_S1C_jS1D_jS1E_S1E_jjS1G_bEUljE0_EEESZ_S10_S11_S18_S1C_S1E_T6_T7_T9_mT8_S1G_bDpT10_ENKUlT_T0_E_clISt17integral_constantIbLb1EES1T_IbLb0EEEEDaS1P_S1Q_EUlS1P_E_NS1_11comp_targetILNS1_3genE9ELNS1_11target_archE1100ELNS1_3gpuE3ELNS1_3repE0EEENS1_30default_config_static_selectorELNS0_4arch9wavefront6targetE0EEEvS12_ ; -- Begin function _ZN7rocprim17ROCPRIM_400000_NS6detail17trampoline_kernelINS0_13select_configILj256ELj13ELNS0_17block_load_methodE3ELS4_3ELS4_3ELNS0_20block_scan_algorithmE0ELj4294967295EEENS1_25partition_config_selectorILNS1_17partition_subalgoE4EjNS0_10empty_typeEbEEZZNS1_14partition_implILS8_4ELb0ES6_15HIP_vector_typeIjLj2EENS0_17counting_iteratorIjlEEPS9_SG_NS0_5tupleIJPjSI_NS0_16reverse_iteratorISI_EEEEENSH_IJSG_SG_SG_EEES9_SI_JZNS1_25segmented_radix_sort_implINS0_14default_configELb0EPKdPdPKlPlN2at6native12_GLOBAL__N_18offset_tEEE10hipError_tPvRmT1_PNSt15iterator_traitsIS12_E10value_typeET2_T3_PNS13_IS18_E10value_typeET4_jRbjT5_S1E_jjP12ihipStream_tbEUljE_ZNSN_ISO_Lb0ESQ_SR_ST_SU_SY_EESZ_S10_S11_S12_S16_S17_S18_S1B_S1C_jS1D_jS1E_S1E_jjS1G_bEUljE0_EEESZ_S10_S11_S18_S1C_S1E_T6_T7_T9_mT8_S1G_bDpT10_ENKUlT_T0_E_clISt17integral_constantIbLb1EES1T_IbLb0EEEEDaS1P_S1Q_EUlS1P_E_NS1_11comp_targetILNS1_3genE9ELNS1_11target_archE1100ELNS1_3gpuE3ELNS1_3repE0EEENS1_30default_config_static_selectorELNS0_4arch9wavefront6targetE0EEEvS12_
	.p2align	8
	.type	_ZN7rocprim17ROCPRIM_400000_NS6detail17trampoline_kernelINS0_13select_configILj256ELj13ELNS0_17block_load_methodE3ELS4_3ELS4_3ELNS0_20block_scan_algorithmE0ELj4294967295EEENS1_25partition_config_selectorILNS1_17partition_subalgoE4EjNS0_10empty_typeEbEEZZNS1_14partition_implILS8_4ELb0ES6_15HIP_vector_typeIjLj2EENS0_17counting_iteratorIjlEEPS9_SG_NS0_5tupleIJPjSI_NS0_16reverse_iteratorISI_EEEEENSH_IJSG_SG_SG_EEES9_SI_JZNS1_25segmented_radix_sort_implINS0_14default_configELb0EPKdPdPKlPlN2at6native12_GLOBAL__N_18offset_tEEE10hipError_tPvRmT1_PNSt15iterator_traitsIS12_E10value_typeET2_T3_PNS13_IS18_E10value_typeET4_jRbjT5_S1E_jjP12ihipStream_tbEUljE_ZNSN_ISO_Lb0ESQ_SR_ST_SU_SY_EESZ_S10_S11_S12_S16_S17_S18_S1B_S1C_jS1D_jS1E_S1E_jjS1G_bEUljE0_EEESZ_S10_S11_S18_S1C_S1E_T6_T7_T9_mT8_S1G_bDpT10_ENKUlT_T0_E_clISt17integral_constantIbLb1EES1T_IbLb0EEEEDaS1P_S1Q_EUlS1P_E_NS1_11comp_targetILNS1_3genE9ELNS1_11target_archE1100ELNS1_3gpuE3ELNS1_3repE0EEENS1_30default_config_static_selectorELNS0_4arch9wavefront6targetE0EEEvS12_,@function
_ZN7rocprim17ROCPRIM_400000_NS6detail17trampoline_kernelINS0_13select_configILj256ELj13ELNS0_17block_load_methodE3ELS4_3ELS4_3ELNS0_20block_scan_algorithmE0ELj4294967295EEENS1_25partition_config_selectorILNS1_17partition_subalgoE4EjNS0_10empty_typeEbEEZZNS1_14partition_implILS8_4ELb0ES6_15HIP_vector_typeIjLj2EENS0_17counting_iteratorIjlEEPS9_SG_NS0_5tupleIJPjSI_NS0_16reverse_iteratorISI_EEEEENSH_IJSG_SG_SG_EEES9_SI_JZNS1_25segmented_radix_sort_implINS0_14default_configELb0EPKdPdPKlPlN2at6native12_GLOBAL__N_18offset_tEEE10hipError_tPvRmT1_PNSt15iterator_traitsIS12_E10value_typeET2_T3_PNS13_IS18_E10value_typeET4_jRbjT5_S1E_jjP12ihipStream_tbEUljE_ZNSN_ISO_Lb0ESQ_SR_ST_SU_SY_EESZ_S10_S11_S12_S16_S17_S18_S1B_S1C_jS1D_jS1E_S1E_jjS1G_bEUljE0_EEESZ_S10_S11_S18_S1C_S1E_T6_T7_T9_mT8_S1G_bDpT10_ENKUlT_T0_E_clISt17integral_constantIbLb1EES1T_IbLb0EEEEDaS1P_S1Q_EUlS1P_E_NS1_11comp_targetILNS1_3genE9ELNS1_11target_archE1100ELNS1_3gpuE3ELNS1_3repE0EEENS1_30default_config_static_selectorELNS0_4arch9wavefront6targetE0EEEvS12_: ; @_ZN7rocprim17ROCPRIM_400000_NS6detail17trampoline_kernelINS0_13select_configILj256ELj13ELNS0_17block_load_methodE3ELS4_3ELS4_3ELNS0_20block_scan_algorithmE0ELj4294967295EEENS1_25partition_config_selectorILNS1_17partition_subalgoE4EjNS0_10empty_typeEbEEZZNS1_14partition_implILS8_4ELb0ES6_15HIP_vector_typeIjLj2EENS0_17counting_iteratorIjlEEPS9_SG_NS0_5tupleIJPjSI_NS0_16reverse_iteratorISI_EEEEENSH_IJSG_SG_SG_EEES9_SI_JZNS1_25segmented_radix_sort_implINS0_14default_configELb0EPKdPdPKlPlN2at6native12_GLOBAL__N_18offset_tEEE10hipError_tPvRmT1_PNSt15iterator_traitsIS12_E10value_typeET2_T3_PNS13_IS18_E10value_typeET4_jRbjT5_S1E_jjP12ihipStream_tbEUljE_ZNSN_ISO_Lb0ESQ_SR_ST_SU_SY_EESZ_S10_S11_S12_S16_S17_S18_S1B_S1C_jS1D_jS1E_S1E_jjS1G_bEUljE0_EEESZ_S10_S11_S18_S1C_S1E_T6_T7_T9_mT8_S1G_bDpT10_ENKUlT_T0_E_clISt17integral_constantIbLb1EES1T_IbLb0EEEEDaS1P_S1Q_EUlS1P_E_NS1_11comp_targetILNS1_3genE9ELNS1_11target_archE1100ELNS1_3gpuE3ELNS1_3repE0EEENS1_30default_config_static_selectorELNS0_4arch9wavefront6targetE0EEEvS12_
; %bb.0:
	.section	.rodata,"a",@progbits
	.p2align	6, 0x0
	.amdhsa_kernel _ZN7rocprim17ROCPRIM_400000_NS6detail17trampoline_kernelINS0_13select_configILj256ELj13ELNS0_17block_load_methodE3ELS4_3ELS4_3ELNS0_20block_scan_algorithmE0ELj4294967295EEENS1_25partition_config_selectorILNS1_17partition_subalgoE4EjNS0_10empty_typeEbEEZZNS1_14partition_implILS8_4ELb0ES6_15HIP_vector_typeIjLj2EENS0_17counting_iteratorIjlEEPS9_SG_NS0_5tupleIJPjSI_NS0_16reverse_iteratorISI_EEEEENSH_IJSG_SG_SG_EEES9_SI_JZNS1_25segmented_radix_sort_implINS0_14default_configELb0EPKdPdPKlPlN2at6native12_GLOBAL__N_18offset_tEEE10hipError_tPvRmT1_PNSt15iterator_traitsIS12_E10value_typeET2_T3_PNS13_IS18_E10value_typeET4_jRbjT5_S1E_jjP12ihipStream_tbEUljE_ZNSN_ISO_Lb0ESQ_SR_ST_SU_SY_EESZ_S10_S11_S12_S16_S17_S18_S1B_S1C_jS1D_jS1E_S1E_jjS1G_bEUljE0_EEESZ_S10_S11_S18_S1C_S1E_T6_T7_T9_mT8_S1G_bDpT10_ENKUlT_T0_E_clISt17integral_constantIbLb1EES1T_IbLb0EEEEDaS1P_S1Q_EUlS1P_E_NS1_11comp_targetILNS1_3genE9ELNS1_11target_archE1100ELNS1_3gpuE3ELNS1_3repE0EEENS1_30default_config_static_selectorELNS0_4arch9wavefront6targetE0EEEvS12_
		.amdhsa_group_segment_fixed_size 0
		.amdhsa_private_segment_fixed_size 0
		.amdhsa_kernarg_size 176
		.amdhsa_user_sgpr_count 2
		.amdhsa_user_sgpr_dispatch_ptr 0
		.amdhsa_user_sgpr_queue_ptr 0
		.amdhsa_user_sgpr_kernarg_segment_ptr 1
		.amdhsa_user_sgpr_dispatch_id 0
		.amdhsa_user_sgpr_kernarg_preload_length 0
		.amdhsa_user_sgpr_kernarg_preload_offset 0
		.amdhsa_user_sgpr_private_segment_size 0
		.amdhsa_wavefront_size32 1
		.amdhsa_uses_dynamic_stack 0
		.amdhsa_enable_private_segment 0
		.amdhsa_system_sgpr_workgroup_id_x 1
		.amdhsa_system_sgpr_workgroup_id_y 0
		.amdhsa_system_sgpr_workgroup_id_z 0
		.amdhsa_system_sgpr_workgroup_info 0
		.amdhsa_system_vgpr_workitem_id 0
		.amdhsa_next_free_vgpr 1
		.amdhsa_next_free_sgpr 1
		.amdhsa_named_barrier_count 0
		.amdhsa_reserve_vcc 0
		.amdhsa_float_round_mode_32 0
		.amdhsa_float_round_mode_16_64 0
		.amdhsa_float_denorm_mode_32 3
		.amdhsa_float_denorm_mode_16_64 3
		.amdhsa_fp16_overflow 0
		.amdhsa_memory_ordered 1
		.amdhsa_forward_progress 1
		.amdhsa_inst_pref_size 0
		.amdhsa_round_robin_scheduling 0
		.amdhsa_exception_fp_ieee_invalid_op 0
		.amdhsa_exception_fp_denorm_src 0
		.amdhsa_exception_fp_ieee_div_zero 0
		.amdhsa_exception_fp_ieee_overflow 0
		.amdhsa_exception_fp_ieee_underflow 0
		.amdhsa_exception_fp_ieee_inexact 0
		.amdhsa_exception_int_div_zero 0
	.end_amdhsa_kernel
	.section	.text._ZN7rocprim17ROCPRIM_400000_NS6detail17trampoline_kernelINS0_13select_configILj256ELj13ELNS0_17block_load_methodE3ELS4_3ELS4_3ELNS0_20block_scan_algorithmE0ELj4294967295EEENS1_25partition_config_selectorILNS1_17partition_subalgoE4EjNS0_10empty_typeEbEEZZNS1_14partition_implILS8_4ELb0ES6_15HIP_vector_typeIjLj2EENS0_17counting_iteratorIjlEEPS9_SG_NS0_5tupleIJPjSI_NS0_16reverse_iteratorISI_EEEEENSH_IJSG_SG_SG_EEES9_SI_JZNS1_25segmented_radix_sort_implINS0_14default_configELb0EPKdPdPKlPlN2at6native12_GLOBAL__N_18offset_tEEE10hipError_tPvRmT1_PNSt15iterator_traitsIS12_E10value_typeET2_T3_PNS13_IS18_E10value_typeET4_jRbjT5_S1E_jjP12ihipStream_tbEUljE_ZNSN_ISO_Lb0ESQ_SR_ST_SU_SY_EESZ_S10_S11_S12_S16_S17_S18_S1B_S1C_jS1D_jS1E_S1E_jjS1G_bEUljE0_EEESZ_S10_S11_S18_S1C_S1E_T6_T7_T9_mT8_S1G_bDpT10_ENKUlT_T0_E_clISt17integral_constantIbLb1EES1T_IbLb0EEEEDaS1P_S1Q_EUlS1P_E_NS1_11comp_targetILNS1_3genE9ELNS1_11target_archE1100ELNS1_3gpuE3ELNS1_3repE0EEENS1_30default_config_static_selectorELNS0_4arch9wavefront6targetE0EEEvS12_,"axG",@progbits,_ZN7rocprim17ROCPRIM_400000_NS6detail17trampoline_kernelINS0_13select_configILj256ELj13ELNS0_17block_load_methodE3ELS4_3ELS4_3ELNS0_20block_scan_algorithmE0ELj4294967295EEENS1_25partition_config_selectorILNS1_17partition_subalgoE4EjNS0_10empty_typeEbEEZZNS1_14partition_implILS8_4ELb0ES6_15HIP_vector_typeIjLj2EENS0_17counting_iteratorIjlEEPS9_SG_NS0_5tupleIJPjSI_NS0_16reverse_iteratorISI_EEEEENSH_IJSG_SG_SG_EEES9_SI_JZNS1_25segmented_radix_sort_implINS0_14default_configELb0EPKdPdPKlPlN2at6native12_GLOBAL__N_18offset_tEEE10hipError_tPvRmT1_PNSt15iterator_traitsIS12_E10value_typeET2_T3_PNS13_IS18_E10value_typeET4_jRbjT5_S1E_jjP12ihipStream_tbEUljE_ZNSN_ISO_Lb0ESQ_SR_ST_SU_SY_EESZ_S10_S11_S12_S16_S17_S18_S1B_S1C_jS1D_jS1E_S1E_jjS1G_bEUljE0_EEESZ_S10_S11_S18_S1C_S1E_T6_T7_T9_mT8_S1G_bDpT10_ENKUlT_T0_E_clISt17integral_constantIbLb1EES1T_IbLb0EEEEDaS1P_S1Q_EUlS1P_E_NS1_11comp_targetILNS1_3genE9ELNS1_11target_archE1100ELNS1_3gpuE3ELNS1_3repE0EEENS1_30default_config_static_selectorELNS0_4arch9wavefront6targetE0EEEvS12_,comdat
.Lfunc_end1173:
	.size	_ZN7rocprim17ROCPRIM_400000_NS6detail17trampoline_kernelINS0_13select_configILj256ELj13ELNS0_17block_load_methodE3ELS4_3ELS4_3ELNS0_20block_scan_algorithmE0ELj4294967295EEENS1_25partition_config_selectorILNS1_17partition_subalgoE4EjNS0_10empty_typeEbEEZZNS1_14partition_implILS8_4ELb0ES6_15HIP_vector_typeIjLj2EENS0_17counting_iteratorIjlEEPS9_SG_NS0_5tupleIJPjSI_NS0_16reverse_iteratorISI_EEEEENSH_IJSG_SG_SG_EEES9_SI_JZNS1_25segmented_radix_sort_implINS0_14default_configELb0EPKdPdPKlPlN2at6native12_GLOBAL__N_18offset_tEEE10hipError_tPvRmT1_PNSt15iterator_traitsIS12_E10value_typeET2_T3_PNS13_IS18_E10value_typeET4_jRbjT5_S1E_jjP12ihipStream_tbEUljE_ZNSN_ISO_Lb0ESQ_SR_ST_SU_SY_EESZ_S10_S11_S12_S16_S17_S18_S1B_S1C_jS1D_jS1E_S1E_jjS1G_bEUljE0_EEESZ_S10_S11_S18_S1C_S1E_T6_T7_T9_mT8_S1G_bDpT10_ENKUlT_T0_E_clISt17integral_constantIbLb1EES1T_IbLb0EEEEDaS1P_S1Q_EUlS1P_E_NS1_11comp_targetILNS1_3genE9ELNS1_11target_archE1100ELNS1_3gpuE3ELNS1_3repE0EEENS1_30default_config_static_selectorELNS0_4arch9wavefront6targetE0EEEvS12_, .Lfunc_end1173-_ZN7rocprim17ROCPRIM_400000_NS6detail17trampoline_kernelINS0_13select_configILj256ELj13ELNS0_17block_load_methodE3ELS4_3ELS4_3ELNS0_20block_scan_algorithmE0ELj4294967295EEENS1_25partition_config_selectorILNS1_17partition_subalgoE4EjNS0_10empty_typeEbEEZZNS1_14partition_implILS8_4ELb0ES6_15HIP_vector_typeIjLj2EENS0_17counting_iteratorIjlEEPS9_SG_NS0_5tupleIJPjSI_NS0_16reverse_iteratorISI_EEEEENSH_IJSG_SG_SG_EEES9_SI_JZNS1_25segmented_radix_sort_implINS0_14default_configELb0EPKdPdPKlPlN2at6native12_GLOBAL__N_18offset_tEEE10hipError_tPvRmT1_PNSt15iterator_traitsIS12_E10value_typeET2_T3_PNS13_IS18_E10value_typeET4_jRbjT5_S1E_jjP12ihipStream_tbEUljE_ZNSN_ISO_Lb0ESQ_SR_ST_SU_SY_EESZ_S10_S11_S12_S16_S17_S18_S1B_S1C_jS1D_jS1E_S1E_jjS1G_bEUljE0_EEESZ_S10_S11_S18_S1C_S1E_T6_T7_T9_mT8_S1G_bDpT10_ENKUlT_T0_E_clISt17integral_constantIbLb1EES1T_IbLb0EEEEDaS1P_S1Q_EUlS1P_E_NS1_11comp_targetILNS1_3genE9ELNS1_11target_archE1100ELNS1_3gpuE3ELNS1_3repE0EEENS1_30default_config_static_selectorELNS0_4arch9wavefront6targetE0EEEvS12_
                                        ; -- End function
	.set _ZN7rocprim17ROCPRIM_400000_NS6detail17trampoline_kernelINS0_13select_configILj256ELj13ELNS0_17block_load_methodE3ELS4_3ELS4_3ELNS0_20block_scan_algorithmE0ELj4294967295EEENS1_25partition_config_selectorILNS1_17partition_subalgoE4EjNS0_10empty_typeEbEEZZNS1_14partition_implILS8_4ELb0ES6_15HIP_vector_typeIjLj2EENS0_17counting_iteratorIjlEEPS9_SG_NS0_5tupleIJPjSI_NS0_16reverse_iteratorISI_EEEEENSH_IJSG_SG_SG_EEES9_SI_JZNS1_25segmented_radix_sort_implINS0_14default_configELb0EPKdPdPKlPlN2at6native12_GLOBAL__N_18offset_tEEE10hipError_tPvRmT1_PNSt15iterator_traitsIS12_E10value_typeET2_T3_PNS13_IS18_E10value_typeET4_jRbjT5_S1E_jjP12ihipStream_tbEUljE_ZNSN_ISO_Lb0ESQ_SR_ST_SU_SY_EESZ_S10_S11_S12_S16_S17_S18_S1B_S1C_jS1D_jS1E_S1E_jjS1G_bEUljE0_EEESZ_S10_S11_S18_S1C_S1E_T6_T7_T9_mT8_S1G_bDpT10_ENKUlT_T0_E_clISt17integral_constantIbLb1EES1T_IbLb0EEEEDaS1P_S1Q_EUlS1P_E_NS1_11comp_targetILNS1_3genE9ELNS1_11target_archE1100ELNS1_3gpuE3ELNS1_3repE0EEENS1_30default_config_static_selectorELNS0_4arch9wavefront6targetE0EEEvS12_.num_vgpr, 0
	.set _ZN7rocprim17ROCPRIM_400000_NS6detail17trampoline_kernelINS0_13select_configILj256ELj13ELNS0_17block_load_methodE3ELS4_3ELS4_3ELNS0_20block_scan_algorithmE0ELj4294967295EEENS1_25partition_config_selectorILNS1_17partition_subalgoE4EjNS0_10empty_typeEbEEZZNS1_14partition_implILS8_4ELb0ES6_15HIP_vector_typeIjLj2EENS0_17counting_iteratorIjlEEPS9_SG_NS0_5tupleIJPjSI_NS0_16reverse_iteratorISI_EEEEENSH_IJSG_SG_SG_EEES9_SI_JZNS1_25segmented_radix_sort_implINS0_14default_configELb0EPKdPdPKlPlN2at6native12_GLOBAL__N_18offset_tEEE10hipError_tPvRmT1_PNSt15iterator_traitsIS12_E10value_typeET2_T3_PNS13_IS18_E10value_typeET4_jRbjT5_S1E_jjP12ihipStream_tbEUljE_ZNSN_ISO_Lb0ESQ_SR_ST_SU_SY_EESZ_S10_S11_S12_S16_S17_S18_S1B_S1C_jS1D_jS1E_S1E_jjS1G_bEUljE0_EEESZ_S10_S11_S18_S1C_S1E_T6_T7_T9_mT8_S1G_bDpT10_ENKUlT_T0_E_clISt17integral_constantIbLb1EES1T_IbLb0EEEEDaS1P_S1Q_EUlS1P_E_NS1_11comp_targetILNS1_3genE9ELNS1_11target_archE1100ELNS1_3gpuE3ELNS1_3repE0EEENS1_30default_config_static_selectorELNS0_4arch9wavefront6targetE0EEEvS12_.num_agpr, 0
	.set _ZN7rocprim17ROCPRIM_400000_NS6detail17trampoline_kernelINS0_13select_configILj256ELj13ELNS0_17block_load_methodE3ELS4_3ELS4_3ELNS0_20block_scan_algorithmE0ELj4294967295EEENS1_25partition_config_selectorILNS1_17partition_subalgoE4EjNS0_10empty_typeEbEEZZNS1_14partition_implILS8_4ELb0ES6_15HIP_vector_typeIjLj2EENS0_17counting_iteratorIjlEEPS9_SG_NS0_5tupleIJPjSI_NS0_16reverse_iteratorISI_EEEEENSH_IJSG_SG_SG_EEES9_SI_JZNS1_25segmented_radix_sort_implINS0_14default_configELb0EPKdPdPKlPlN2at6native12_GLOBAL__N_18offset_tEEE10hipError_tPvRmT1_PNSt15iterator_traitsIS12_E10value_typeET2_T3_PNS13_IS18_E10value_typeET4_jRbjT5_S1E_jjP12ihipStream_tbEUljE_ZNSN_ISO_Lb0ESQ_SR_ST_SU_SY_EESZ_S10_S11_S12_S16_S17_S18_S1B_S1C_jS1D_jS1E_S1E_jjS1G_bEUljE0_EEESZ_S10_S11_S18_S1C_S1E_T6_T7_T9_mT8_S1G_bDpT10_ENKUlT_T0_E_clISt17integral_constantIbLb1EES1T_IbLb0EEEEDaS1P_S1Q_EUlS1P_E_NS1_11comp_targetILNS1_3genE9ELNS1_11target_archE1100ELNS1_3gpuE3ELNS1_3repE0EEENS1_30default_config_static_selectorELNS0_4arch9wavefront6targetE0EEEvS12_.numbered_sgpr, 0
	.set _ZN7rocprim17ROCPRIM_400000_NS6detail17trampoline_kernelINS0_13select_configILj256ELj13ELNS0_17block_load_methodE3ELS4_3ELS4_3ELNS0_20block_scan_algorithmE0ELj4294967295EEENS1_25partition_config_selectorILNS1_17partition_subalgoE4EjNS0_10empty_typeEbEEZZNS1_14partition_implILS8_4ELb0ES6_15HIP_vector_typeIjLj2EENS0_17counting_iteratorIjlEEPS9_SG_NS0_5tupleIJPjSI_NS0_16reverse_iteratorISI_EEEEENSH_IJSG_SG_SG_EEES9_SI_JZNS1_25segmented_radix_sort_implINS0_14default_configELb0EPKdPdPKlPlN2at6native12_GLOBAL__N_18offset_tEEE10hipError_tPvRmT1_PNSt15iterator_traitsIS12_E10value_typeET2_T3_PNS13_IS18_E10value_typeET4_jRbjT5_S1E_jjP12ihipStream_tbEUljE_ZNSN_ISO_Lb0ESQ_SR_ST_SU_SY_EESZ_S10_S11_S12_S16_S17_S18_S1B_S1C_jS1D_jS1E_S1E_jjS1G_bEUljE0_EEESZ_S10_S11_S18_S1C_S1E_T6_T7_T9_mT8_S1G_bDpT10_ENKUlT_T0_E_clISt17integral_constantIbLb1EES1T_IbLb0EEEEDaS1P_S1Q_EUlS1P_E_NS1_11comp_targetILNS1_3genE9ELNS1_11target_archE1100ELNS1_3gpuE3ELNS1_3repE0EEENS1_30default_config_static_selectorELNS0_4arch9wavefront6targetE0EEEvS12_.num_named_barrier, 0
	.set _ZN7rocprim17ROCPRIM_400000_NS6detail17trampoline_kernelINS0_13select_configILj256ELj13ELNS0_17block_load_methodE3ELS4_3ELS4_3ELNS0_20block_scan_algorithmE0ELj4294967295EEENS1_25partition_config_selectorILNS1_17partition_subalgoE4EjNS0_10empty_typeEbEEZZNS1_14partition_implILS8_4ELb0ES6_15HIP_vector_typeIjLj2EENS0_17counting_iteratorIjlEEPS9_SG_NS0_5tupleIJPjSI_NS0_16reverse_iteratorISI_EEEEENSH_IJSG_SG_SG_EEES9_SI_JZNS1_25segmented_radix_sort_implINS0_14default_configELb0EPKdPdPKlPlN2at6native12_GLOBAL__N_18offset_tEEE10hipError_tPvRmT1_PNSt15iterator_traitsIS12_E10value_typeET2_T3_PNS13_IS18_E10value_typeET4_jRbjT5_S1E_jjP12ihipStream_tbEUljE_ZNSN_ISO_Lb0ESQ_SR_ST_SU_SY_EESZ_S10_S11_S12_S16_S17_S18_S1B_S1C_jS1D_jS1E_S1E_jjS1G_bEUljE0_EEESZ_S10_S11_S18_S1C_S1E_T6_T7_T9_mT8_S1G_bDpT10_ENKUlT_T0_E_clISt17integral_constantIbLb1EES1T_IbLb0EEEEDaS1P_S1Q_EUlS1P_E_NS1_11comp_targetILNS1_3genE9ELNS1_11target_archE1100ELNS1_3gpuE3ELNS1_3repE0EEENS1_30default_config_static_selectorELNS0_4arch9wavefront6targetE0EEEvS12_.private_seg_size, 0
	.set _ZN7rocprim17ROCPRIM_400000_NS6detail17trampoline_kernelINS0_13select_configILj256ELj13ELNS0_17block_load_methodE3ELS4_3ELS4_3ELNS0_20block_scan_algorithmE0ELj4294967295EEENS1_25partition_config_selectorILNS1_17partition_subalgoE4EjNS0_10empty_typeEbEEZZNS1_14partition_implILS8_4ELb0ES6_15HIP_vector_typeIjLj2EENS0_17counting_iteratorIjlEEPS9_SG_NS0_5tupleIJPjSI_NS0_16reverse_iteratorISI_EEEEENSH_IJSG_SG_SG_EEES9_SI_JZNS1_25segmented_radix_sort_implINS0_14default_configELb0EPKdPdPKlPlN2at6native12_GLOBAL__N_18offset_tEEE10hipError_tPvRmT1_PNSt15iterator_traitsIS12_E10value_typeET2_T3_PNS13_IS18_E10value_typeET4_jRbjT5_S1E_jjP12ihipStream_tbEUljE_ZNSN_ISO_Lb0ESQ_SR_ST_SU_SY_EESZ_S10_S11_S12_S16_S17_S18_S1B_S1C_jS1D_jS1E_S1E_jjS1G_bEUljE0_EEESZ_S10_S11_S18_S1C_S1E_T6_T7_T9_mT8_S1G_bDpT10_ENKUlT_T0_E_clISt17integral_constantIbLb1EES1T_IbLb0EEEEDaS1P_S1Q_EUlS1P_E_NS1_11comp_targetILNS1_3genE9ELNS1_11target_archE1100ELNS1_3gpuE3ELNS1_3repE0EEENS1_30default_config_static_selectorELNS0_4arch9wavefront6targetE0EEEvS12_.uses_vcc, 0
	.set _ZN7rocprim17ROCPRIM_400000_NS6detail17trampoline_kernelINS0_13select_configILj256ELj13ELNS0_17block_load_methodE3ELS4_3ELS4_3ELNS0_20block_scan_algorithmE0ELj4294967295EEENS1_25partition_config_selectorILNS1_17partition_subalgoE4EjNS0_10empty_typeEbEEZZNS1_14partition_implILS8_4ELb0ES6_15HIP_vector_typeIjLj2EENS0_17counting_iteratorIjlEEPS9_SG_NS0_5tupleIJPjSI_NS0_16reverse_iteratorISI_EEEEENSH_IJSG_SG_SG_EEES9_SI_JZNS1_25segmented_radix_sort_implINS0_14default_configELb0EPKdPdPKlPlN2at6native12_GLOBAL__N_18offset_tEEE10hipError_tPvRmT1_PNSt15iterator_traitsIS12_E10value_typeET2_T3_PNS13_IS18_E10value_typeET4_jRbjT5_S1E_jjP12ihipStream_tbEUljE_ZNSN_ISO_Lb0ESQ_SR_ST_SU_SY_EESZ_S10_S11_S12_S16_S17_S18_S1B_S1C_jS1D_jS1E_S1E_jjS1G_bEUljE0_EEESZ_S10_S11_S18_S1C_S1E_T6_T7_T9_mT8_S1G_bDpT10_ENKUlT_T0_E_clISt17integral_constantIbLb1EES1T_IbLb0EEEEDaS1P_S1Q_EUlS1P_E_NS1_11comp_targetILNS1_3genE9ELNS1_11target_archE1100ELNS1_3gpuE3ELNS1_3repE0EEENS1_30default_config_static_selectorELNS0_4arch9wavefront6targetE0EEEvS12_.uses_flat_scratch, 0
	.set _ZN7rocprim17ROCPRIM_400000_NS6detail17trampoline_kernelINS0_13select_configILj256ELj13ELNS0_17block_load_methodE3ELS4_3ELS4_3ELNS0_20block_scan_algorithmE0ELj4294967295EEENS1_25partition_config_selectorILNS1_17partition_subalgoE4EjNS0_10empty_typeEbEEZZNS1_14partition_implILS8_4ELb0ES6_15HIP_vector_typeIjLj2EENS0_17counting_iteratorIjlEEPS9_SG_NS0_5tupleIJPjSI_NS0_16reverse_iteratorISI_EEEEENSH_IJSG_SG_SG_EEES9_SI_JZNS1_25segmented_radix_sort_implINS0_14default_configELb0EPKdPdPKlPlN2at6native12_GLOBAL__N_18offset_tEEE10hipError_tPvRmT1_PNSt15iterator_traitsIS12_E10value_typeET2_T3_PNS13_IS18_E10value_typeET4_jRbjT5_S1E_jjP12ihipStream_tbEUljE_ZNSN_ISO_Lb0ESQ_SR_ST_SU_SY_EESZ_S10_S11_S12_S16_S17_S18_S1B_S1C_jS1D_jS1E_S1E_jjS1G_bEUljE0_EEESZ_S10_S11_S18_S1C_S1E_T6_T7_T9_mT8_S1G_bDpT10_ENKUlT_T0_E_clISt17integral_constantIbLb1EES1T_IbLb0EEEEDaS1P_S1Q_EUlS1P_E_NS1_11comp_targetILNS1_3genE9ELNS1_11target_archE1100ELNS1_3gpuE3ELNS1_3repE0EEENS1_30default_config_static_selectorELNS0_4arch9wavefront6targetE0EEEvS12_.has_dyn_sized_stack, 0
	.set _ZN7rocprim17ROCPRIM_400000_NS6detail17trampoline_kernelINS0_13select_configILj256ELj13ELNS0_17block_load_methodE3ELS4_3ELS4_3ELNS0_20block_scan_algorithmE0ELj4294967295EEENS1_25partition_config_selectorILNS1_17partition_subalgoE4EjNS0_10empty_typeEbEEZZNS1_14partition_implILS8_4ELb0ES6_15HIP_vector_typeIjLj2EENS0_17counting_iteratorIjlEEPS9_SG_NS0_5tupleIJPjSI_NS0_16reverse_iteratorISI_EEEEENSH_IJSG_SG_SG_EEES9_SI_JZNS1_25segmented_radix_sort_implINS0_14default_configELb0EPKdPdPKlPlN2at6native12_GLOBAL__N_18offset_tEEE10hipError_tPvRmT1_PNSt15iterator_traitsIS12_E10value_typeET2_T3_PNS13_IS18_E10value_typeET4_jRbjT5_S1E_jjP12ihipStream_tbEUljE_ZNSN_ISO_Lb0ESQ_SR_ST_SU_SY_EESZ_S10_S11_S12_S16_S17_S18_S1B_S1C_jS1D_jS1E_S1E_jjS1G_bEUljE0_EEESZ_S10_S11_S18_S1C_S1E_T6_T7_T9_mT8_S1G_bDpT10_ENKUlT_T0_E_clISt17integral_constantIbLb1EES1T_IbLb0EEEEDaS1P_S1Q_EUlS1P_E_NS1_11comp_targetILNS1_3genE9ELNS1_11target_archE1100ELNS1_3gpuE3ELNS1_3repE0EEENS1_30default_config_static_selectorELNS0_4arch9wavefront6targetE0EEEvS12_.has_recursion, 0
	.set _ZN7rocprim17ROCPRIM_400000_NS6detail17trampoline_kernelINS0_13select_configILj256ELj13ELNS0_17block_load_methodE3ELS4_3ELS4_3ELNS0_20block_scan_algorithmE0ELj4294967295EEENS1_25partition_config_selectorILNS1_17partition_subalgoE4EjNS0_10empty_typeEbEEZZNS1_14partition_implILS8_4ELb0ES6_15HIP_vector_typeIjLj2EENS0_17counting_iteratorIjlEEPS9_SG_NS0_5tupleIJPjSI_NS0_16reverse_iteratorISI_EEEEENSH_IJSG_SG_SG_EEES9_SI_JZNS1_25segmented_radix_sort_implINS0_14default_configELb0EPKdPdPKlPlN2at6native12_GLOBAL__N_18offset_tEEE10hipError_tPvRmT1_PNSt15iterator_traitsIS12_E10value_typeET2_T3_PNS13_IS18_E10value_typeET4_jRbjT5_S1E_jjP12ihipStream_tbEUljE_ZNSN_ISO_Lb0ESQ_SR_ST_SU_SY_EESZ_S10_S11_S12_S16_S17_S18_S1B_S1C_jS1D_jS1E_S1E_jjS1G_bEUljE0_EEESZ_S10_S11_S18_S1C_S1E_T6_T7_T9_mT8_S1G_bDpT10_ENKUlT_T0_E_clISt17integral_constantIbLb1EES1T_IbLb0EEEEDaS1P_S1Q_EUlS1P_E_NS1_11comp_targetILNS1_3genE9ELNS1_11target_archE1100ELNS1_3gpuE3ELNS1_3repE0EEENS1_30default_config_static_selectorELNS0_4arch9wavefront6targetE0EEEvS12_.has_indirect_call, 0
	.section	.AMDGPU.csdata,"",@progbits
; Kernel info:
; codeLenInByte = 0
; TotalNumSgprs: 0
; NumVgprs: 0
; ScratchSize: 0
; MemoryBound: 0
; FloatMode: 240
; IeeeMode: 1
; LDSByteSize: 0 bytes/workgroup (compile time only)
; SGPRBlocks: 0
; VGPRBlocks: 0
; NumSGPRsForWavesPerEU: 1
; NumVGPRsForWavesPerEU: 1
; NamedBarCnt: 0
; Occupancy: 16
; WaveLimiterHint : 0
; COMPUTE_PGM_RSRC2:SCRATCH_EN: 0
; COMPUTE_PGM_RSRC2:USER_SGPR: 2
; COMPUTE_PGM_RSRC2:TRAP_HANDLER: 0
; COMPUTE_PGM_RSRC2:TGID_X_EN: 1
; COMPUTE_PGM_RSRC2:TGID_Y_EN: 0
; COMPUTE_PGM_RSRC2:TGID_Z_EN: 0
; COMPUTE_PGM_RSRC2:TIDIG_COMP_CNT: 0
	.section	.text._ZN7rocprim17ROCPRIM_400000_NS6detail17trampoline_kernelINS0_13select_configILj256ELj13ELNS0_17block_load_methodE3ELS4_3ELS4_3ELNS0_20block_scan_algorithmE0ELj4294967295EEENS1_25partition_config_selectorILNS1_17partition_subalgoE4EjNS0_10empty_typeEbEEZZNS1_14partition_implILS8_4ELb0ES6_15HIP_vector_typeIjLj2EENS0_17counting_iteratorIjlEEPS9_SG_NS0_5tupleIJPjSI_NS0_16reverse_iteratorISI_EEEEENSH_IJSG_SG_SG_EEES9_SI_JZNS1_25segmented_radix_sort_implINS0_14default_configELb0EPKdPdPKlPlN2at6native12_GLOBAL__N_18offset_tEEE10hipError_tPvRmT1_PNSt15iterator_traitsIS12_E10value_typeET2_T3_PNS13_IS18_E10value_typeET4_jRbjT5_S1E_jjP12ihipStream_tbEUljE_ZNSN_ISO_Lb0ESQ_SR_ST_SU_SY_EESZ_S10_S11_S12_S16_S17_S18_S1B_S1C_jS1D_jS1E_S1E_jjS1G_bEUljE0_EEESZ_S10_S11_S18_S1C_S1E_T6_T7_T9_mT8_S1G_bDpT10_ENKUlT_T0_E_clISt17integral_constantIbLb1EES1T_IbLb0EEEEDaS1P_S1Q_EUlS1P_E_NS1_11comp_targetILNS1_3genE8ELNS1_11target_archE1030ELNS1_3gpuE2ELNS1_3repE0EEENS1_30default_config_static_selectorELNS0_4arch9wavefront6targetE0EEEvS12_,"axG",@progbits,_ZN7rocprim17ROCPRIM_400000_NS6detail17trampoline_kernelINS0_13select_configILj256ELj13ELNS0_17block_load_methodE3ELS4_3ELS4_3ELNS0_20block_scan_algorithmE0ELj4294967295EEENS1_25partition_config_selectorILNS1_17partition_subalgoE4EjNS0_10empty_typeEbEEZZNS1_14partition_implILS8_4ELb0ES6_15HIP_vector_typeIjLj2EENS0_17counting_iteratorIjlEEPS9_SG_NS0_5tupleIJPjSI_NS0_16reverse_iteratorISI_EEEEENSH_IJSG_SG_SG_EEES9_SI_JZNS1_25segmented_radix_sort_implINS0_14default_configELb0EPKdPdPKlPlN2at6native12_GLOBAL__N_18offset_tEEE10hipError_tPvRmT1_PNSt15iterator_traitsIS12_E10value_typeET2_T3_PNS13_IS18_E10value_typeET4_jRbjT5_S1E_jjP12ihipStream_tbEUljE_ZNSN_ISO_Lb0ESQ_SR_ST_SU_SY_EESZ_S10_S11_S12_S16_S17_S18_S1B_S1C_jS1D_jS1E_S1E_jjS1G_bEUljE0_EEESZ_S10_S11_S18_S1C_S1E_T6_T7_T9_mT8_S1G_bDpT10_ENKUlT_T0_E_clISt17integral_constantIbLb1EES1T_IbLb0EEEEDaS1P_S1Q_EUlS1P_E_NS1_11comp_targetILNS1_3genE8ELNS1_11target_archE1030ELNS1_3gpuE2ELNS1_3repE0EEENS1_30default_config_static_selectorELNS0_4arch9wavefront6targetE0EEEvS12_,comdat
	.globl	_ZN7rocprim17ROCPRIM_400000_NS6detail17trampoline_kernelINS0_13select_configILj256ELj13ELNS0_17block_load_methodE3ELS4_3ELS4_3ELNS0_20block_scan_algorithmE0ELj4294967295EEENS1_25partition_config_selectorILNS1_17partition_subalgoE4EjNS0_10empty_typeEbEEZZNS1_14partition_implILS8_4ELb0ES6_15HIP_vector_typeIjLj2EENS0_17counting_iteratorIjlEEPS9_SG_NS0_5tupleIJPjSI_NS0_16reverse_iteratorISI_EEEEENSH_IJSG_SG_SG_EEES9_SI_JZNS1_25segmented_radix_sort_implINS0_14default_configELb0EPKdPdPKlPlN2at6native12_GLOBAL__N_18offset_tEEE10hipError_tPvRmT1_PNSt15iterator_traitsIS12_E10value_typeET2_T3_PNS13_IS18_E10value_typeET4_jRbjT5_S1E_jjP12ihipStream_tbEUljE_ZNSN_ISO_Lb0ESQ_SR_ST_SU_SY_EESZ_S10_S11_S12_S16_S17_S18_S1B_S1C_jS1D_jS1E_S1E_jjS1G_bEUljE0_EEESZ_S10_S11_S18_S1C_S1E_T6_T7_T9_mT8_S1G_bDpT10_ENKUlT_T0_E_clISt17integral_constantIbLb1EES1T_IbLb0EEEEDaS1P_S1Q_EUlS1P_E_NS1_11comp_targetILNS1_3genE8ELNS1_11target_archE1030ELNS1_3gpuE2ELNS1_3repE0EEENS1_30default_config_static_selectorELNS0_4arch9wavefront6targetE0EEEvS12_ ; -- Begin function _ZN7rocprim17ROCPRIM_400000_NS6detail17trampoline_kernelINS0_13select_configILj256ELj13ELNS0_17block_load_methodE3ELS4_3ELS4_3ELNS0_20block_scan_algorithmE0ELj4294967295EEENS1_25partition_config_selectorILNS1_17partition_subalgoE4EjNS0_10empty_typeEbEEZZNS1_14partition_implILS8_4ELb0ES6_15HIP_vector_typeIjLj2EENS0_17counting_iteratorIjlEEPS9_SG_NS0_5tupleIJPjSI_NS0_16reverse_iteratorISI_EEEEENSH_IJSG_SG_SG_EEES9_SI_JZNS1_25segmented_radix_sort_implINS0_14default_configELb0EPKdPdPKlPlN2at6native12_GLOBAL__N_18offset_tEEE10hipError_tPvRmT1_PNSt15iterator_traitsIS12_E10value_typeET2_T3_PNS13_IS18_E10value_typeET4_jRbjT5_S1E_jjP12ihipStream_tbEUljE_ZNSN_ISO_Lb0ESQ_SR_ST_SU_SY_EESZ_S10_S11_S12_S16_S17_S18_S1B_S1C_jS1D_jS1E_S1E_jjS1G_bEUljE0_EEESZ_S10_S11_S18_S1C_S1E_T6_T7_T9_mT8_S1G_bDpT10_ENKUlT_T0_E_clISt17integral_constantIbLb1EES1T_IbLb0EEEEDaS1P_S1Q_EUlS1P_E_NS1_11comp_targetILNS1_3genE8ELNS1_11target_archE1030ELNS1_3gpuE2ELNS1_3repE0EEENS1_30default_config_static_selectorELNS0_4arch9wavefront6targetE0EEEvS12_
	.p2align	8
	.type	_ZN7rocprim17ROCPRIM_400000_NS6detail17trampoline_kernelINS0_13select_configILj256ELj13ELNS0_17block_load_methodE3ELS4_3ELS4_3ELNS0_20block_scan_algorithmE0ELj4294967295EEENS1_25partition_config_selectorILNS1_17partition_subalgoE4EjNS0_10empty_typeEbEEZZNS1_14partition_implILS8_4ELb0ES6_15HIP_vector_typeIjLj2EENS0_17counting_iteratorIjlEEPS9_SG_NS0_5tupleIJPjSI_NS0_16reverse_iteratorISI_EEEEENSH_IJSG_SG_SG_EEES9_SI_JZNS1_25segmented_radix_sort_implINS0_14default_configELb0EPKdPdPKlPlN2at6native12_GLOBAL__N_18offset_tEEE10hipError_tPvRmT1_PNSt15iterator_traitsIS12_E10value_typeET2_T3_PNS13_IS18_E10value_typeET4_jRbjT5_S1E_jjP12ihipStream_tbEUljE_ZNSN_ISO_Lb0ESQ_SR_ST_SU_SY_EESZ_S10_S11_S12_S16_S17_S18_S1B_S1C_jS1D_jS1E_S1E_jjS1G_bEUljE0_EEESZ_S10_S11_S18_S1C_S1E_T6_T7_T9_mT8_S1G_bDpT10_ENKUlT_T0_E_clISt17integral_constantIbLb1EES1T_IbLb0EEEEDaS1P_S1Q_EUlS1P_E_NS1_11comp_targetILNS1_3genE8ELNS1_11target_archE1030ELNS1_3gpuE2ELNS1_3repE0EEENS1_30default_config_static_selectorELNS0_4arch9wavefront6targetE0EEEvS12_,@function
_ZN7rocprim17ROCPRIM_400000_NS6detail17trampoline_kernelINS0_13select_configILj256ELj13ELNS0_17block_load_methodE3ELS4_3ELS4_3ELNS0_20block_scan_algorithmE0ELj4294967295EEENS1_25partition_config_selectorILNS1_17partition_subalgoE4EjNS0_10empty_typeEbEEZZNS1_14partition_implILS8_4ELb0ES6_15HIP_vector_typeIjLj2EENS0_17counting_iteratorIjlEEPS9_SG_NS0_5tupleIJPjSI_NS0_16reverse_iteratorISI_EEEEENSH_IJSG_SG_SG_EEES9_SI_JZNS1_25segmented_radix_sort_implINS0_14default_configELb0EPKdPdPKlPlN2at6native12_GLOBAL__N_18offset_tEEE10hipError_tPvRmT1_PNSt15iterator_traitsIS12_E10value_typeET2_T3_PNS13_IS18_E10value_typeET4_jRbjT5_S1E_jjP12ihipStream_tbEUljE_ZNSN_ISO_Lb0ESQ_SR_ST_SU_SY_EESZ_S10_S11_S12_S16_S17_S18_S1B_S1C_jS1D_jS1E_S1E_jjS1G_bEUljE0_EEESZ_S10_S11_S18_S1C_S1E_T6_T7_T9_mT8_S1G_bDpT10_ENKUlT_T0_E_clISt17integral_constantIbLb1EES1T_IbLb0EEEEDaS1P_S1Q_EUlS1P_E_NS1_11comp_targetILNS1_3genE8ELNS1_11target_archE1030ELNS1_3gpuE2ELNS1_3repE0EEENS1_30default_config_static_selectorELNS0_4arch9wavefront6targetE0EEEvS12_: ; @_ZN7rocprim17ROCPRIM_400000_NS6detail17trampoline_kernelINS0_13select_configILj256ELj13ELNS0_17block_load_methodE3ELS4_3ELS4_3ELNS0_20block_scan_algorithmE0ELj4294967295EEENS1_25partition_config_selectorILNS1_17partition_subalgoE4EjNS0_10empty_typeEbEEZZNS1_14partition_implILS8_4ELb0ES6_15HIP_vector_typeIjLj2EENS0_17counting_iteratorIjlEEPS9_SG_NS0_5tupleIJPjSI_NS0_16reverse_iteratorISI_EEEEENSH_IJSG_SG_SG_EEES9_SI_JZNS1_25segmented_radix_sort_implINS0_14default_configELb0EPKdPdPKlPlN2at6native12_GLOBAL__N_18offset_tEEE10hipError_tPvRmT1_PNSt15iterator_traitsIS12_E10value_typeET2_T3_PNS13_IS18_E10value_typeET4_jRbjT5_S1E_jjP12ihipStream_tbEUljE_ZNSN_ISO_Lb0ESQ_SR_ST_SU_SY_EESZ_S10_S11_S12_S16_S17_S18_S1B_S1C_jS1D_jS1E_S1E_jjS1G_bEUljE0_EEESZ_S10_S11_S18_S1C_S1E_T6_T7_T9_mT8_S1G_bDpT10_ENKUlT_T0_E_clISt17integral_constantIbLb1EES1T_IbLb0EEEEDaS1P_S1Q_EUlS1P_E_NS1_11comp_targetILNS1_3genE8ELNS1_11target_archE1030ELNS1_3gpuE2ELNS1_3repE0EEENS1_30default_config_static_selectorELNS0_4arch9wavefront6targetE0EEEvS12_
; %bb.0:
	.section	.rodata,"a",@progbits
	.p2align	6, 0x0
	.amdhsa_kernel _ZN7rocprim17ROCPRIM_400000_NS6detail17trampoline_kernelINS0_13select_configILj256ELj13ELNS0_17block_load_methodE3ELS4_3ELS4_3ELNS0_20block_scan_algorithmE0ELj4294967295EEENS1_25partition_config_selectorILNS1_17partition_subalgoE4EjNS0_10empty_typeEbEEZZNS1_14partition_implILS8_4ELb0ES6_15HIP_vector_typeIjLj2EENS0_17counting_iteratorIjlEEPS9_SG_NS0_5tupleIJPjSI_NS0_16reverse_iteratorISI_EEEEENSH_IJSG_SG_SG_EEES9_SI_JZNS1_25segmented_radix_sort_implINS0_14default_configELb0EPKdPdPKlPlN2at6native12_GLOBAL__N_18offset_tEEE10hipError_tPvRmT1_PNSt15iterator_traitsIS12_E10value_typeET2_T3_PNS13_IS18_E10value_typeET4_jRbjT5_S1E_jjP12ihipStream_tbEUljE_ZNSN_ISO_Lb0ESQ_SR_ST_SU_SY_EESZ_S10_S11_S12_S16_S17_S18_S1B_S1C_jS1D_jS1E_S1E_jjS1G_bEUljE0_EEESZ_S10_S11_S18_S1C_S1E_T6_T7_T9_mT8_S1G_bDpT10_ENKUlT_T0_E_clISt17integral_constantIbLb1EES1T_IbLb0EEEEDaS1P_S1Q_EUlS1P_E_NS1_11comp_targetILNS1_3genE8ELNS1_11target_archE1030ELNS1_3gpuE2ELNS1_3repE0EEENS1_30default_config_static_selectorELNS0_4arch9wavefront6targetE0EEEvS12_
		.amdhsa_group_segment_fixed_size 0
		.amdhsa_private_segment_fixed_size 0
		.amdhsa_kernarg_size 176
		.amdhsa_user_sgpr_count 2
		.amdhsa_user_sgpr_dispatch_ptr 0
		.amdhsa_user_sgpr_queue_ptr 0
		.amdhsa_user_sgpr_kernarg_segment_ptr 1
		.amdhsa_user_sgpr_dispatch_id 0
		.amdhsa_user_sgpr_kernarg_preload_length 0
		.amdhsa_user_sgpr_kernarg_preload_offset 0
		.amdhsa_user_sgpr_private_segment_size 0
		.amdhsa_wavefront_size32 1
		.amdhsa_uses_dynamic_stack 0
		.amdhsa_enable_private_segment 0
		.amdhsa_system_sgpr_workgroup_id_x 1
		.amdhsa_system_sgpr_workgroup_id_y 0
		.amdhsa_system_sgpr_workgroup_id_z 0
		.amdhsa_system_sgpr_workgroup_info 0
		.amdhsa_system_vgpr_workitem_id 0
		.amdhsa_next_free_vgpr 1
		.amdhsa_next_free_sgpr 1
		.amdhsa_named_barrier_count 0
		.amdhsa_reserve_vcc 0
		.amdhsa_float_round_mode_32 0
		.amdhsa_float_round_mode_16_64 0
		.amdhsa_float_denorm_mode_32 3
		.amdhsa_float_denorm_mode_16_64 3
		.amdhsa_fp16_overflow 0
		.amdhsa_memory_ordered 1
		.amdhsa_forward_progress 1
		.amdhsa_inst_pref_size 0
		.amdhsa_round_robin_scheduling 0
		.amdhsa_exception_fp_ieee_invalid_op 0
		.amdhsa_exception_fp_denorm_src 0
		.amdhsa_exception_fp_ieee_div_zero 0
		.amdhsa_exception_fp_ieee_overflow 0
		.amdhsa_exception_fp_ieee_underflow 0
		.amdhsa_exception_fp_ieee_inexact 0
		.amdhsa_exception_int_div_zero 0
	.end_amdhsa_kernel
	.section	.text._ZN7rocprim17ROCPRIM_400000_NS6detail17trampoline_kernelINS0_13select_configILj256ELj13ELNS0_17block_load_methodE3ELS4_3ELS4_3ELNS0_20block_scan_algorithmE0ELj4294967295EEENS1_25partition_config_selectorILNS1_17partition_subalgoE4EjNS0_10empty_typeEbEEZZNS1_14partition_implILS8_4ELb0ES6_15HIP_vector_typeIjLj2EENS0_17counting_iteratorIjlEEPS9_SG_NS0_5tupleIJPjSI_NS0_16reverse_iteratorISI_EEEEENSH_IJSG_SG_SG_EEES9_SI_JZNS1_25segmented_radix_sort_implINS0_14default_configELb0EPKdPdPKlPlN2at6native12_GLOBAL__N_18offset_tEEE10hipError_tPvRmT1_PNSt15iterator_traitsIS12_E10value_typeET2_T3_PNS13_IS18_E10value_typeET4_jRbjT5_S1E_jjP12ihipStream_tbEUljE_ZNSN_ISO_Lb0ESQ_SR_ST_SU_SY_EESZ_S10_S11_S12_S16_S17_S18_S1B_S1C_jS1D_jS1E_S1E_jjS1G_bEUljE0_EEESZ_S10_S11_S18_S1C_S1E_T6_T7_T9_mT8_S1G_bDpT10_ENKUlT_T0_E_clISt17integral_constantIbLb1EES1T_IbLb0EEEEDaS1P_S1Q_EUlS1P_E_NS1_11comp_targetILNS1_3genE8ELNS1_11target_archE1030ELNS1_3gpuE2ELNS1_3repE0EEENS1_30default_config_static_selectorELNS0_4arch9wavefront6targetE0EEEvS12_,"axG",@progbits,_ZN7rocprim17ROCPRIM_400000_NS6detail17trampoline_kernelINS0_13select_configILj256ELj13ELNS0_17block_load_methodE3ELS4_3ELS4_3ELNS0_20block_scan_algorithmE0ELj4294967295EEENS1_25partition_config_selectorILNS1_17partition_subalgoE4EjNS0_10empty_typeEbEEZZNS1_14partition_implILS8_4ELb0ES6_15HIP_vector_typeIjLj2EENS0_17counting_iteratorIjlEEPS9_SG_NS0_5tupleIJPjSI_NS0_16reverse_iteratorISI_EEEEENSH_IJSG_SG_SG_EEES9_SI_JZNS1_25segmented_radix_sort_implINS0_14default_configELb0EPKdPdPKlPlN2at6native12_GLOBAL__N_18offset_tEEE10hipError_tPvRmT1_PNSt15iterator_traitsIS12_E10value_typeET2_T3_PNS13_IS18_E10value_typeET4_jRbjT5_S1E_jjP12ihipStream_tbEUljE_ZNSN_ISO_Lb0ESQ_SR_ST_SU_SY_EESZ_S10_S11_S12_S16_S17_S18_S1B_S1C_jS1D_jS1E_S1E_jjS1G_bEUljE0_EEESZ_S10_S11_S18_S1C_S1E_T6_T7_T9_mT8_S1G_bDpT10_ENKUlT_T0_E_clISt17integral_constantIbLb1EES1T_IbLb0EEEEDaS1P_S1Q_EUlS1P_E_NS1_11comp_targetILNS1_3genE8ELNS1_11target_archE1030ELNS1_3gpuE2ELNS1_3repE0EEENS1_30default_config_static_selectorELNS0_4arch9wavefront6targetE0EEEvS12_,comdat
.Lfunc_end1174:
	.size	_ZN7rocprim17ROCPRIM_400000_NS6detail17trampoline_kernelINS0_13select_configILj256ELj13ELNS0_17block_load_methodE3ELS4_3ELS4_3ELNS0_20block_scan_algorithmE0ELj4294967295EEENS1_25partition_config_selectorILNS1_17partition_subalgoE4EjNS0_10empty_typeEbEEZZNS1_14partition_implILS8_4ELb0ES6_15HIP_vector_typeIjLj2EENS0_17counting_iteratorIjlEEPS9_SG_NS0_5tupleIJPjSI_NS0_16reverse_iteratorISI_EEEEENSH_IJSG_SG_SG_EEES9_SI_JZNS1_25segmented_radix_sort_implINS0_14default_configELb0EPKdPdPKlPlN2at6native12_GLOBAL__N_18offset_tEEE10hipError_tPvRmT1_PNSt15iterator_traitsIS12_E10value_typeET2_T3_PNS13_IS18_E10value_typeET4_jRbjT5_S1E_jjP12ihipStream_tbEUljE_ZNSN_ISO_Lb0ESQ_SR_ST_SU_SY_EESZ_S10_S11_S12_S16_S17_S18_S1B_S1C_jS1D_jS1E_S1E_jjS1G_bEUljE0_EEESZ_S10_S11_S18_S1C_S1E_T6_T7_T9_mT8_S1G_bDpT10_ENKUlT_T0_E_clISt17integral_constantIbLb1EES1T_IbLb0EEEEDaS1P_S1Q_EUlS1P_E_NS1_11comp_targetILNS1_3genE8ELNS1_11target_archE1030ELNS1_3gpuE2ELNS1_3repE0EEENS1_30default_config_static_selectorELNS0_4arch9wavefront6targetE0EEEvS12_, .Lfunc_end1174-_ZN7rocprim17ROCPRIM_400000_NS6detail17trampoline_kernelINS0_13select_configILj256ELj13ELNS0_17block_load_methodE3ELS4_3ELS4_3ELNS0_20block_scan_algorithmE0ELj4294967295EEENS1_25partition_config_selectorILNS1_17partition_subalgoE4EjNS0_10empty_typeEbEEZZNS1_14partition_implILS8_4ELb0ES6_15HIP_vector_typeIjLj2EENS0_17counting_iteratorIjlEEPS9_SG_NS0_5tupleIJPjSI_NS0_16reverse_iteratorISI_EEEEENSH_IJSG_SG_SG_EEES9_SI_JZNS1_25segmented_radix_sort_implINS0_14default_configELb0EPKdPdPKlPlN2at6native12_GLOBAL__N_18offset_tEEE10hipError_tPvRmT1_PNSt15iterator_traitsIS12_E10value_typeET2_T3_PNS13_IS18_E10value_typeET4_jRbjT5_S1E_jjP12ihipStream_tbEUljE_ZNSN_ISO_Lb0ESQ_SR_ST_SU_SY_EESZ_S10_S11_S12_S16_S17_S18_S1B_S1C_jS1D_jS1E_S1E_jjS1G_bEUljE0_EEESZ_S10_S11_S18_S1C_S1E_T6_T7_T9_mT8_S1G_bDpT10_ENKUlT_T0_E_clISt17integral_constantIbLb1EES1T_IbLb0EEEEDaS1P_S1Q_EUlS1P_E_NS1_11comp_targetILNS1_3genE8ELNS1_11target_archE1030ELNS1_3gpuE2ELNS1_3repE0EEENS1_30default_config_static_selectorELNS0_4arch9wavefront6targetE0EEEvS12_
                                        ; -- End function
	.set _ZN7rocprim17ROCPRIM_400000_NS6detail17trampoline_kernelINS0_13select_configILj256ELj13ELNS0_17block_load_methodE3ELS4_3ELS4_3ELNS0_20block_scan_algorithmE0ELj4294967295EEENS1_25partition_config_selectorILNS1_17partition_subalgoE4EjNS0_10empty_typeEbEEZZNS1_14partition_implILS8_4ELb0ES6_15HIP_vector_typeIjLj2EENS0_17counting_iteratorIjlEEPS9_SG_NS0_5tupleIJPjSI_NS0_16reverse_iteratorISI_EEEEENSH_IJSG_SG_SG_EEES9_SI_JZNS1_25segmented_radix_sort_implINS0_14default_configELb0EPKdPdPKlPlN2at6native12_GLOBAL__N_18offset_tEEE10hipError_tPvRmT1_PNSt15iterator_traitsIS12_E10value_typeET2_T3_PNS13_IS18_E10value_typeET4_jRbjT5_S1E_jjP12ihipStream_tbEUljE_ZNSN_ISO_Lb0ESQ_SR_ST_SU_SY_EESZ_S10_S11_S12_S16_S17_S18_S1B_S1C_jS1D_jS1E_S1E_jjS1G_bEUljE0_EEESZ_S10_S11_S18_S1C_S1E_T6_T7_T9_mT8_S1G_bDpT10_ENKUlT_T0_E_clISt17integral_constantIbLb1EES1T_IbLb0EEEEDaS1P_S1Q_EUlS1P_E_NS1_11comp_targetILNS1_3genE8ELNS1_11target_archE1030ELNS1_3gpuE2ELNS1_3repE0EEENS1_30default_config_static_selectorELNS0_4arch9wavefront6targetE0EEEvS12_.num_vgpr, 0
	.set _ZN7rocprim17ROCPRIM_400000_NS6detail17trampoline_kernelINS0_13select_configILj256ELj13ELNS0_17block_load_methodE3ELS4_3ELS4_3ELNS0_20block_scan_algorithmE0ELj4294967295EEENS1_25partition_config_selectorILNS1_17partition_subalgoE4EjNS0_10empty_typeEbEEZZNS1_14partition_implILS8_4ELb0ES6_15HIP_vector_typeIjLj2EENS0_17counting_iteratorIjlEEPS9_SG_NS0_5tupleIJPjSI_NS0_16reverse_iteratorISI_EEEEENSH_IJSG_SG_SG_EEES9_SI_JZNS1_25segmented_radix_sort_implINS0_14default_configELb0EPKdPdPKlPlN2at6native12_GLOBAL__N_18offset_tEEE10hipError_tPvRmT1_PNSt15iterator_traitsIS12_E10value_typeET2_T3_PNS13_IS18_E10value_typeET4_jRbjT5_S1E_jjP12ihipStream_tbEUljE_ZNSN_ISO_Lb0ESQ_SR_ST_SU_SY_EESZ_S10_S11_S12_S16_S17_S18_S1B_S1C_jS1D_jS1E_S1E_jjS1G_bEUljE0_EEESZ_S10_S11_S18_S1C_S1E_T6_T7_T9_mT8_S1G_bDpT10_ENKUlT_T0_E_clISt17integral_constantIbLb1EES1T_IbLb0EEEEDaS1P_S1Q_EUlS1P_E_NS1_11comp_targetILNS1_3genE8ELNS1_11target_archE1030ELNS1_3gpuE2ELNS1_3repE0EEENS1_30default_config_static_selectorELNS0_4arch9wavefront6targetE0EEEvS12_.num_agpr, 0
	.set _ZN7rocprim17ROCPRIM_400000_NS6detail17trampoline_kernelINS0_13select_configILj256ELj13ELNS0_17block_load_methodE3ELS4_3ELS4_3ELNS0_20block_scan_algorithmE0ELj4294967295EEENS1_25partition_config_selectorILNS1_17partition_subalgoE4EjNS0_10empty_typeEbEEZZNS1_14partition_implILS8_4ELb0ES6_15HIP_vector_typeIjLj2EENS0_17counting_iteratorIjlEEPS9_SG_NS0_5tupleIJPjSI_NS0_16reverse_iteratorISI_EEEEENSH_IJSG_SG_SG_EEES9_SI_JZNS1_25segmented_radix_sort_implINS0_14default_configELb0EPKdPdPKlPlN2at6native12_GLOBAL__N_18offset_tEEE10hipError_tPvRmT1_PNSt15iterator_traitsIS12_E10value_typeET2_T3_PNS13_IS18_E10value_typeET4_jRbjT5_S1E_jjP12ihipStream_tbEUljE_ZNSN_ISO_Lb0ESQ_SR_ST_SU_SY_EESZ_S10_S11_S12_S16_S17_S18_S1B_S1C_jS1D_jS1E_S1E_jjS1G_bEUljE0_EEESZ_S10_S11_S18_S1C_S1E_T6_T7_T9_mT8_S1G_bDpT10_ENKUlT_T0_E_clISt17integral_constantIbLb1EES1T_IbLb0EEEEDaS1P_S1Q_EUlS1P_E_NS1_11comp_targetILNS1_3genE8ELNS1_11target_archE1030ELNS1_3gpuE2ELNS1_3repE0EEENS1_30default_config_static_selectorELNS0_4arch9wavefront6targetE0EEEvS12_.numbered_sgpr, 0
	.set _ZN7rocprim17ROCPRIM_400000_NS6detail17trampoline_kernelINS0_13select_configILj256ELj13ELNS0_17block_load_methodE3ELS4_3ELS4_3ELNS0_20block_scan_algorithmE0ELj4294967295EEENS1_25partition_config_selectorILNS1_17partition_subalgoE4EjNS0_10empty_typeEbEEZZNS1_14partition_implILS8_4ELb0ES6_15HIP_vector_typeIjLj2EENS0_17counting_iteratorIjlEEPS9_SG_NS0_5tupleIJPjSI_NS0_16reverse_iteratorISI_EEEEENSH_IJSG_SG_SG_EEES9_SI_JZNS1_25segmented_radix_sort_implINS0_14default_configELb0EPKdPdPKlPlN2at6native12_GLOBAL__N_18offset_tEEE10hipError_tPvRmT1_PNSt15iterator_traitsIS12_E10value_typeET2_T3_PNS13_IS18_E10value_typeET4_jRbjT5_S1E_jjP12ihipStream_tbEUljE_ZNSN_ISO_Lb0ESQ_SR_ST_SU_SY_EESZ_S10_S11_S12_S16_S17_S18_S1B_S1C_jS1D_jS1E_S1E_jjS1G_bEUljE0_EEESZ_S10_S11_S18_S1C_S1E_T6_T7_T9_mT8_S1G_bDpT10_ENKUlT_T0_E_clISt17integral_constantIbLb1EES1T_IbLb0EEEEDaS1P_S1Q_EUlS1P_E_NS1_11comp_targetILNS1_3genE8ELNS1_11target_archE1030ELNS1_3gpuE2ELNS1_3repE0EEENS1_30default_config_static_selectorELNS0_4arch9wavefront6targetE0EEEvS12_.num_named_barrier, 0
	.set _ZN7rocprim17ROCPRIM_400000_NS6detail17trampoline_kernelINS0_13select_configILj256ELj13ELNS0_17block_load_methodE3ELS4_3ELS4_3ELNS0_20block_scan_algorithmE0ELj4294967295EEENS1_25partition_config_selectorILNS1_17partition_subalgoE4EjNS0_10empty_typeEbEEZZNS1_14partition_implILS8_4ELb0ES6_15HIP_vector_typeIjLj2EENS0_17counting_iteratorIjlEEPS9_SG_NS0_5tupleIJPjSI_NS0_16reverse_iteratorISI_EEEEENSH_IJSG_SG_SG_EEES9_SI_JZNS1_25segmented_radix_sort_implINS0_14default_configELb0EPKdPdPKlPlN2at6native12_GLOBAL__N_18offset_tEEE10hipError_tPvRmT1_PNSt15iterator_traitsIS12_E10value_typeET2_T3_PNS13_IS18_E10value_typeET4_jRbjT5_S1E_jjP12ihipStream_tbEUljE_ZNSN_ISO_Lb0ESQ_SR_ST_SU_SY_EESZ_S10_S11_S12_S16_S17_S18_S1B_S1C_jS1D_jS1E_S1E_jjS1G_bEUljE0_EEESZ_S10_S11_S18_S1C_S1E_T6_T7_T9_mT8_S1G_bDpT10_ENKUlT_T0_E_clISt17integral_constantIbLb1EES1T_IbLb0EEEEDaS1P_S1Q_EUlS1P_E_NS1_11comp_targetILNS1_3genE8ELNS1_11target_archE1030ELNS1_3gpuE2ELNS1_3repE0EEENS1_30default_config_static_selectorELNS0_4arch9wavefront6targetE0EEEvS12_.private_seg_size, 0
	.set _ZN7rocprim17ROCPRIM_400000_NS6detail17trampoline_kernelINS0_13select_configILj256ELj13ELNS0_17block_load_methodE3ELS4_3ELS4_3ELNS0_20block_scan_algorithmE0ELj4294967295EEENS1_25partition_config_selectorILNS1_17partition_subalgoE4EjNS0_10empty_typeEbEEZZNS1_14partition_implILS8_4ELb0ES6_15HIP_vector_typeIjLj2EENS0_17counting_iteratorIjlEEPS9_SG_NS0_5tupleIJPjSI_NS0_16reverse_iteratorISI_EEEEENSH_IJSG_SG_SG_EEES9_SI_JZNS1_25segmented_radix_sort_implINS0_14default_configELb0EPKdPdPKlPlN2at6native12_GLOBAL__N_18offset_tEEE10hipError_tPvRmT1_PNSt15iterator_traitsIS12_E10value_typeET2_T3_PNS13_IS18_E10value_typeET4_jRbjT5_S1E_jjP12ihipStream_tbEUljE_ZNSN_ISO_Lb0ESQ_SR_ST_SU_SY_EESZ_S10_S11_S12_S16_S17_S18_S1B_S1C_jS1D_jS1E_S1E_jjS1G_bEUljE0_EEESZ_S10_S11_S18_S1C_S1E_T6_T7_T9_mT8_S1G_bDpT10_ENKUlT_T0_E_clISt17integral_constantIbLb1EES1T_IbLb0EEEEDaS1P_S1Q_EUlS1P_E_NS1_11comp_targetILNS1_3genE8ELNS1_11target_archE1030ELNS1_3gpuE2ELNS1_3repE0EEENS1_30default_config_static_selectorELNS0_4arch9wavefront6targetE0EEEvS12_.uses_vcc, 0
	.set _ZN7rocprim17ROCPRIM_400000_NS6detail17trampoline_kernelINS0_13select_configILj256ELj13ELNS0_17block_load_methodE3ELS4_3ELS4_3ELNS0_20block_scan_algorithmE0ELj4294967295EEENS1_25partition_config_selectorILNS1_17partition_subalgoE4EjNS0_10empty_typeEbEEZZNS1_14partition_implILS8_4ELb0ES6_15HIP_vector_typeIjLj2EENS0_17counting_iteratorIjlEEPS9_SG_NS0_5tupleIJPjSI_NS0_16reverse_iteratorISI_EEEEENSH_IJSG_SG_SG_EEES9_SI_JZNS1_25segmented_radix_sort_implINS0_14default_configELb0EPKdPdPKlPlN2at6native12_GLOBAL__N_18offset_tEEE10hipError_tPvRmT1_PNSt15iterator_traitsIS12_E10value_typeET2_T3_PNS13_IS18_E10value_typeET4_jRbjT5_S1E_jjP12ihipStream_tbEUljE_ZNSN_ISO_Lb0ESQ_SR_ST_SU_SY_EESZ_S10_S11_S12_S16_S17_S18_S1B_S1C_jS1D_jS1E_S1E_jjS1G_bEUljE0_EEESZ_S10_S11_S18_S1C_S1E_T6_T7_T9_mT8_S1G_bDpT10_ENKUlT_T0_E_clISt17integral_constantIbLb1EES1T_IbLb0EEEEDaS1P_S1Q_EUlS1P_E_NS1_11comp_targetILNS1_3genE8ELNS1_11target_archE1030ELNS1_3gpuE2ELNS1_3repE0EEENS1_30default_config_static_selectorELNS0_4arch9wavefront6targetE0EEEvS12_.uses_flat_scratch, 0
	.set _ZN7rocprim17ROCPRIM_400000_NS6detail17trampoline_kernelINS0_13select_configILj256ELj13ELNS0_17block_load_methodE3ELS4_3ELS4_3ELNS0_20block_scan_algorithmE0ELj4294967295EEENS1_25partition_config_selectorILNS1_17partition_subalgoE4EjNS0_10empty_typeEbEEZZNS1_14partition_implILS8_4ELb0ES6_15HIP_vector_typeIjLj2EENS0_17counting_iteratorIjlEEPS9_SG_NS0_5tupleIJPjSI_NS0_16reverse_iteratorISI_EEEEENSH_IJSG_SG_SG_EEES9_SI_JZNS1_25segmented_radix_sort_implINS0_14default_configELb0EPKdPdPKlPlN2at6native12_GLOBAL__N_18offset_tEEE10hipError_tPvRmT1_PNSt15iterator_traitsIS12_E10value_typeET2_T3_PNS13_IS18_E10value_typeET4_jRbjT5_S1E_jjP12ihipStream_tbEUljE_ZNSN_ISO_Lb0ESQ_SR_ST_SU_SY_EESZ_S10_S11_S12_S16_S17_S18_S1B_S1C_jS1D_jS1E_S1E_jjS1G_bEUljE0_EEESZ_S10_S11_S18_S1C_S1E_T6_T7_T9_mT8_S1G_bDpT10_ENKUlT_T0_E_clISt17integral_constantIbLb1EES1T_IbLb0EEEEDaS1P_S1Q_EUlS1P_E_NS1_11comp_targetILNS1_3genE8ELNS1_11target_archE1030ELNS1_3gpuE2ELNS1_3repE0EEENS1_30default_config_static_selectorELNS0_4arch9wavefront6targetE0EEEvS12_.has_dyn_sized_stack, 0
	.set _ZN7rocprim17ROCPRIM_400000_NS6detail17trampoline_kernelINS0_13select_configILj256ELj13ELNS0_17block_load_methodE3ELS4_3ELS4_3ELNS0_20block_scan_algorithmE0ELj4294967295EEENS1_25partition_config_selectorILNS1_17partition_subalgoE4EjNS0_10empty_typeEbEEZZNS1_14partition_implILS8_4ELb0ES6_15HIP_vector_typeIjLj2EENS0_17counting_iteratorIjlEEPS9_SG_NS0_5tupleIJPjSI_NS0_16reverse_iteratorISI_EEEEENSH_IJSG_SG_SG_EEES9_SI_JZNS1_25segmented_radix_sort_implINS0_14default_configELb0EPKdPdPKlPlN2at6native12_GLOBAL__N_18offset_tEEE10hipError_tPvRmT1_PNSt15iterator_traitsIS12_E10value_typeET2_T3_PNS13_IS18_E10value_typeET4_jRbjT5_S1E_jjP12ihipStream_tbEUljE_ZNSN_ISO_Lb0ESQ_SR_ST_SU_SY_EESZ_S10_S11_S12_S16_S17_S18_S1B_S1C_jS1D_jS1E_S1E_jjS1G_bEUljE0_EEESZ_S10_S11_S18_S1C_S1E_T6_T7_T9_mT8_S1G_bDpT10_ENKUlT_T0_E_clISt17integral_constantIbLb1EES1T_IbLb0EEEEDaS1P_S1Q_EUlS1P_E_NS1_11comp_targetILNS1_3genE8ELNS1_11target_archE1030ELNS1_3gpuE2ELNS1_3repE0EEENS1_30default_config_static_selectorELNS0_4arch9wavefront6targetE0EEEvS12_.has_recursion, 0
	.set _ZN7rocprim17ROCPRIM_400000_NS6detail17trampoline_kernelINS0_13select_configILj256ELj13ELNS0_17block_load_methodE3ELS4_3ELS4_3ELNS0_20block_scan_algorithmE0ELj4294967295EEENS1_25partition_config_selectorILNS1_17partition_subalgoE4EjNS0_10empty_typeEbEEZZNS1_14partition_implILS8_4ELb0ES6_15HIP_vector_typeIjLj2EENS0_17counting_iteratorIjlEEPS9_SG_NS0_5tupleIJPjSI_NS0_16reverse_iteratorISI_EEEEENSH_IJSG_SG_SG_EEES9_SI_JZNS1_25segmented_radix_sort_implINS0_14default_configELb0EPKdPdPKlPlN2at6native12_GLOBAL__N_18offset_tEEE10hipError_tPvRmT1_PNSt15iterator_traitsIS12_E10value_typeET2_T3_PNS13_IS18_E10value_typeET4_jRbjT5_S1E_jjP12ihipStream_tbEUljE_ZNSN_ISO_Lb0ESQ_SR_ST_SU_SY_EESZ_S10_S11_S12_S16_S17_S18_S1B_S1C_jS1D_jS1E_S1E_jjS1G_bEUljE0_EEESZ_S10_S11_S18_S1C_S1E_T6_T7_T9_mT8_S1G_bDpT10_ENKUlT_T0_E_clISt17integral_constantIbLb1EES1T_IbLb0EEEEDaS1P_S1Q_EUlS1P_E_NS1_11comp_targetILNS1_3genE8ELNS1_11target_archE1030ELNS1_3gpuE2ELNS1_3repE0EEENS1_30default_config_static_selectorELNS0_4arch9wavefront6targetE0EEEvS12_.has_indirect_call, 0
	.section	.AMDGPU.csdata,"",@progbits
; Kernel info:
; codeLenInByte = 0
; TotalNumSgprs: 0
; NumVgprs: 0
; ScratchSize: 0
; MemoryBound: 0
; FloatMode: 240
; IeeeMode: 1
; LDSByteSize: 0 bytes/workgroup (compile time only)
; SGPRBlocks: 0
; VGPRBlocks: 0
; NumSGPRsForWavesPerEU: 1
; NumVGPRsForWavesPerEU: 1
; NamedBarCnt: 0
; Occupancy: 16
; WaveLimiterHint : 0
; COMPUTE_PGM_RSRC2:SCRATCH_EN: 0
; COMPUTE_PGM_RSRC2:USER_SGPR: 2
; COMPUTE_PGM_RSRC2:TRAP_HANDLER: 0
; COMPUTE_PGM_RSRC2:TGID_X_EN: 1
; COMPUTE_PGM_RSRC2:TGID_Y_EN: 0
; COMPUTE_PGM_RSRC2:TGID_Z_EN: 0
; COMPUTE_PGM_RSRC2:TIDIG_COMP_CNT: 0
	.section	.text._ZN7rocprim17ROCPRIM_400000_NS6detail17trampoline_kernelINS0_13select_configILj256ELj13ELNS0_17block_load_methodE3ELS4_3ELS4_3ELNS0_20block_scan_algorithmE0ELj4294967295EEENS1_25partition_config_selectorILNS1_17partition_subalgoE4EjNS0_10empty_typeEbEEZZNS1_14partition_implILS8_4ELb0ES6_15HIP_vector_typeIjLj2EENS0_17counting_iteratorIjlEEPS9_SG_NS0_5tupleIJPjSI_NS0_16reverse_iteratorISI_EEEEENSH_IJSG_SG_SG_EEES9_SI_JZNS1_25segmented_radix_sort_implINS0_14default_configELb0EPKdPdPKlPlN2at6native12_GLOBAL__N_18offset_tEEE10hipError_tPvRmT1_PNSt15iterator_traitsIS12_E10value_typeET2_T3_PNS13_IS18_E10value_typeET4_jRbjT5_S1E_jjP12ihipStream_tbEUljE_ZNSN_ISO_Lb0ESQ_SR_ST_SU_SY_EESZ_S10_S11_S12_S16_S17_S18_S1B_S1C_jS1D_jS1E_S1E_jjS1G_bEUljE0_EEESZ_S10_S11_S18_S1C_S1E_T6_T7_T9_mT8_S1G_bDpT10_ENKUlT_T0_E_clISt17integral_constantIbLb0EES1T_IbLb1EEEEDaS1P_S1Q_EUlS1P_E_NS1_11comp_targetILNS1_3genE0ELNS1_11target_archE4294967295ELNS1_3gpuE0ELNS1_3repE0EEENS1_30default_config_static_selectorELNS0_4arch9wavefront6targetE0EEEvS12_,"axG",@progbits,_ZN7rocprim17ROCPRIM_400000_NS6detail17trampoline_kernelINS0_13select_configILj256ELj13ELNS0_17block_load_methodE3ELS4_3ELS4_3ELNS0_20block_scan_algorithmE0ELj4294967295EEENS1_25partition_config_selectorILNS1_17partition_subalgoE4EjNS0_10empty_typeEbEEZZNS1_14partition_implILS8_4ELb0ES6_15HIP_vector_typeIjLj2EENS0_17counting_iteratorIjlEEPS9_SG_NS0_5tupleIJPjSI_NS0_16reverse_iteratorISI_EEEEENSH_IJSG_SG_SG_EEES9_SI_JZNS1_25segmented_radix_sort_implINS0_14default_configELb0EPKdPdPKlPlN2at6native12_GLOBAL__N_18offset_tEEE10hipError_tPvRmT1_PNSt15iterator_traitsIS12_E10value_typeET2_T3_PNS13_IS18_E10value_typeET4_jRbjT5_S1E_jjP12ihipStream_tbEUljE_ZNSN_ISO_Lb0ESQ_SR_ST_SU_SY_EESZ_S10_S11_S12_S16_S17_S18_S1B_S1C_jS1D_jS1E_S1E_jjS1G_bEUljE0_EEESZ_S10_S11_S18_S1C_S1E_T6_T7_T9_mT8_S1G_bDpT10_ENKUlT_T0_E_clISt17integral_constantIbLb0EES1T_IbLb1EEEEDaS1P_S1Q_EUlS1P_E_NS1_11comp_targetILNS1_3genE0ELNS1_11target_archE4294967295ELNS1_3gpuE0ELNS1_3repE0EEENS1_30default_config_static_selectorELNS0_4arch9wavefront6targetE0EEEvS12_,comdat
	.globl	_ZN7rocprim17ROCPRIM_400000_NS6detail17trampoline_kernelINS0_13select_configILj256ELj13ELNS0_17block_load_methodE3ELS4_3ELS4_3ELNS0_20block_scan_algorithmE0ELj4294967295EEENS1_25partition_config_selectorILNS1_17partition_subalgoE4EjNS0_10empty_typeEbEEZZNS1_14partition_implILS8_4ELb0ES6_15HIP_vector_typeIjLj2EENS0_17counting_iteratorIjlEEPS9_SG_NS0_5tupleIJPjSI_NS0_16reverse_iteratorISI_EEEEENSH_IJSG_SG_SG_EEES9_SI_JZNS1_25segmented_radix_sort_implINS0_14default_configELb0EPKdPdPKlPlN2at6native12_GLOBAL__N_18offset_tEEE10hipError_tPvRmT1_PNSt15iterator_traitsIS12_E10value_typeET2_T3_PNS13_IS18_E10value_typeET4_jRbjT5_S1E_jjP12ihipStream_tbEUljE_ZNSN_ISO_Lb0ESQ_SR_ST_SU_SY_EESZ_S10_S11_S12_S16_S17_S18_S1B_S1C_jS1D_jS1E_S1E_jjS1G_bEUljE0_EEESZ_S10_S11_S18_S1C_S1E_T6_T7_T9_mT8_S1G_bDpT10_ENKUlT_T0_E_clISt17integral_constantIbLb0EES1T_IbLb1EEEEDaS1P_S1Q_EUlS1P_E_NS1_11comp_targetILNS1_3genE0ELNS1_11target_archE4294967295ELNS1_3gpuE0ELNS1_3repE0EEENS1_30default_config_static_selectorELNS0_4arch9wavefront6targetE0EEEvS12_ ; -- Begin function _ZN7rocprim17ROCPRIM_400000_NS6detail17trampoline_kernelINS0_13select_configILj256ELj13ELNS0_17block_load_methodE3ELS4_3ELS4_3ELNS0_20block_scan_algorithmE0ELj4294967295EEENS1_25partition_config_selectorILNS1_17partition_subalgoE4EjNS0_10empty_typeEbEEZZNS1_14partition_implILS8_4ELb0ES6_15HIP_vector_typeIjLj2EENS0_17counting_iteratorIjlEEPS9_SG_NS0_5tupleIJPjSI_NS0_16reverse_iteratorISI_EEEEENSH_IJSG_SG_SG_EEES9_SI_JZNS1_25segmented_radix_sort_implINS0_14default_configELb0EPKdPdPKlPlN2at6native12_GLOBAL__N_18offset_tEEE10hipError_tPvRmT1_PNSt15iterator_traitsIS12_E10value_typeET2_T3_PNS13_IS18_E10value_typeET4_jRbjT5_S1E_jjP12ihipStream_tbEUljE_ZNSN_ISO_Lb0ESQ_SR_ST_SU_SY_EESZ_S10_S11_S12_S16_S17_S18_S1B_S1C_jS1D_jS1E_S1E_jjS1G_bEUljE0_EEESZ_S10_S11_S18_S1C_S1E_T6_T7_T9_mT8_S1G_bDpT10_ENKUlT_T0_E_clISt17integral_constantIbLb0EES1T_IbLb1EEEEDaS1P_S1Q_EUlS1P_E_NS1_11comp_targetILNS1_3genE0ELNS1_11target_archE4294967295ELNS1_3gpuE0ELNS1_3repE0EEENS1_30default_config_static_selectorELNS0_4arch9wavefront6targetE0EEEvS12_
	.p2align	8
	.type	_ZN7rocprim17ROCPRIM_400000_NS6detail17trampoline_kernelINS0_13select_configILj256ELj13ELNS0_17block_load_methodE3ELS4_3ELS4_3ELNS0_20block_scan_algorithmE0ELj4294967295EEENS1_25partition_config_selectorILNS1_17partition_subalgoE4EjNS0_10empty_typeEbEEZZNS1_14partition_implILS8_4ELb0ES6_15HIP_vector_typeIjLj2EENS0_17counting_iteratorIjlEEPS9_SG_NS0_5tupleIJPjSI_NS0_16reverse_iteratorISI_EEEEENSH_IJSG_SG_SG_EEES9_SI_JZNS1_25segmented_radix_sort_implINS0_14default_configELb0EPKdPdPKlPlN2at6native12_GLOBAL__N_18offset_tEEE10hipError_tPvRmT1_PNSt15iterator_traitsIS12_E10value_typeET2_T3_PNS13_IS18_E10value_typeET4_jRbjT5_S1E_jjP12ihipStream_tbEUljE_ZNSN_ISO_Lb0ESQ_SR_ST_SU_SY_EESZ_S10_S11_S12_S16_S17_S18_S1B_S1C_jS1D_jS1E_S1E_jjS1G_bEUljE0_EEESZ_S10_S11_S18_S1C_S1E_T6_T7_T9_mT8_S1G_bDpT10_ENKUlT_T0_E_clISt17integral_constantIbLb0EES1T_IbLb1EEEEDaS1P_S1Q_EUlS1P_E_NS1_11comp_targetILNS1_3genE0ELNS1_11target_archE4294967295ELNS1_3gpuE0ELNS1_3repE0EEENS1_30default_config_static_selectorELNS0_4arch9wavefront6targetE0EEEvS12_,@function
_ZN7rocprim17ROCPRIM_400000_NS6detail17trampoline_kernelINS0_13select_configILj256ELj13ELNS0_17block_load_methodE3ELS4_3ELS4_3ELNS0_20block_scan_algorithmE0ELj4294967295EEENS1_25partition_config_selectorILNS1_17partition_subalgoE4EjNS0_10empty_typeEbEEZZNS1_14partition_implILS8_4ELb0ES6_15HIP_vector_typeIjLj2EENS0_17counting_iteratorIjlEEPS9_SG_NS0_5tupleIJPjSI_NS0_16reverse_iteratorISI_EEEEENSH_IJSG_SG_SG_EEES9_SI_JZNS1_25segmented_radix_sort_implINS0_14default_configELb0EPKdPdPKlPlN2at6native12_GLOBAL__N_18offset_tEEE10hipError_tPvRmT1_PNSt15iterator_traitsIS12_E10value_typeET2_T3_PNS13_IS18_E10value_typeET4_jRbjT5_S1E_jjP12ihipStream_tbEUljE_ZNSN_ISO_Lb0ESQ_SR_ST_SU_SY_EESZ_S10_S11_S12_S16_S17_S18_S1B_S1C_jS1D_jS1E_S1E_jjS1G_bEUljE0_EEESZ_S10_S11_S18_S1C_S1E_T6_T7_T9_mT8_S1G_bDpT10_ENKUlT_T0_E_clISt17integral_constantIbLb0EES1T_IbLb1EEEEDaS1P_S1Q_EUlS1P_E_NS1_11comp_targetILNS1_3genE0ELNS1_11target_archE4294967295ELNS1_3gpuE0ELNS1_3repE0EEENS1_30default_config_static_selectorELNS0_4arch9wavefront6targetE0EEEvS12_: ; @_ZN7rocprim17ROCPRIM_400000_NS6detail17trampoline_kernelINS0_13select_configILj256ELj13ELNS0_17block_load_methodE3ELS4_3ELS4_3ELNS0_20block_scan_algorithmE0ELj4294967295EEENS1_25partition_config_selectorILNS1_17partition_subalgoE4EjNS0_10empty_typeEbEEZZNS1_14partition_implILS8_4ELb0ES6_15HIP_vector_typeIjLj2EENS0_17counting_iteratorIjlEEPS9_SG_NS0_5tupleIJPjSI_NS0_16reverse_iteratorISI_EEEEENSH_IJSG_SG_SG_EEES9_SI_JZNS1_25segmented_radix_sort_implINS0_14default_configELb0EPKdPdPKlPlN2at6native12_GLOBAL__N_18offset_tEEE10hipError_tPvRmT1_PNSt15iterator_traitsIS12_E10value_typeET2_T3_PNS13_IS18_E10value_typeET4_jRbjT5_S1E_jjP12ihipStream_tbEUljE_ZNSN_ISO_Lb0ESQ_SR_ST_SU_SY_EESZ_S10_S11_S12_S16_S17_S18_S1B_S1C_jS1D_jS1E_S1E_jjS1G_bEUljE0_EEESZ_S10_S11_S18_S1C_S1E_T6_T7_T9_mT8_S1G_bDpT10_ENKUlT_T0_E_clISt17integral_constantIbLb0EES1T_IbLb1EEEEDaS1P_S1Q_EUlS1P_E_NS1_11comp_targetILNS1_3genE0ELNS1_11target_archE4294967295ELNS1_3gpuE0ELNS1_3repE0EEENS1_30default_config_static_selectorELNS0_4arch9wavefront6targetE0EEEvS12_
; %bb.0:
	s_clause 0x7
	s_load_b64 s[34:35], s[0:1], 0x10
	s_load_b128 s[28:31], s[0:1], 0x28
	s_load_b64 s[14:15], s[0:1], 0x38
	s_load_b128 s[24:27], s[0:1], 0x58
	s_load_b64 s[4:5], s[0:1], 0x68
	s_load_b64 s[36:37], s[0:1], 0x78
	;; [unrolled: 1-line block ×3, first 2 shown]
	s_load_b256 s[16:23], s[0:1], 0x90
	v_cmp_eq_u32_e64 s2, 0, v0
	s_and_saveexec_b32 s3, s2
	s_cbranch_execz .LBB1175_4
; %bb.1:
	s_mov_b32 s7, exec_lo
	s_mov_b32 s6, exec_lo
	v_mbcnt_lo_u32_b32 v1, s7, 0
                                        ; implicit-def: $vgpr2
	s_delay_alu instid0(VALU_DEP_1)
	v_cmpx_eq_u32_e32 0, v1
	s_cbranch_execz .LBB1175_3
; %bb.2:
	s_load_b64 s[8:9], s[0:1], 0x88
	s_bcnt1_i32_b32 s7, s7
	s_delay_alu instid0(SALU_CYCLE_1)
	v_dual_mov_b32 v2, 0 :: v_dual_mov_b32 v3, s7
	s_wait_xcnt 0x0
	s_wait_kmcnt 0x0
	global_atomic_add_u32 v2, v2, v3, s[8:9] th:TH_ATOMIC_RETURN scope:SCOPE_DEV
.LBB1175_3:
	s_wait_xcnt 0x0
	s_or_b32 exec_lo, exec_lo, s6
	s_wait_loadcnt 0x0
	v_readfirstlane_b32 s6, v2
	s_delay_alu instid0(VALU_DEP_1)
	v_dual_mov_b32 v2, 0 :: v_dual_add_nc_u32 v1, s6, v1
	ds_store_b32 v2, v1
.LBB1175_4:
	s_or_b32 exec_lo, exec_lo, s3
	v_mov_b32_e32 v1, 0
	s_clause 0x1
	s_load_b32 s3, s[0:1], 0x8
	s_load_b32 s6, s[0:1], 0x80
	s_wait_dscnt 0x0
	s_barrier_signal -1
	s_barrier_wait -1
	ds_load_b32 v6, v1
	s_wait_dscnt 0x0
	s_barrier_signal -1
	s_barrier_wait -1
	s_wait_kmcnt 0x0
	global_load_b128 v[2:5], v1, s[26:27]
	s_mov_b32 s1, 0
	s_add_co_i32 s3, s3, s34
	s_mul_i32 s0, s6, 0xd00
	s_add_co_i32 s6, s6, -1
	s_add_nc_u64 s[8:9], s[34:35], s[0:1]
	s_delay_alu instid0(SALU_CYCLE_1)
	v_cmp_gt_u64_e64 s1, s[4:5], s[8:9]
	v_mul_lo_u32 v14, 0xd00, v6
	s_wait_xcnt 0x0
	v_readfirstlane_b32 s27, v6
	v_cmp_ne_u32_e32 vcc_lo, s6, v6
	s_cmp_eq_u32 s27, s6
	s_cselect_b32 s26, -1, 0
	s_or_b32 s1, s1, vcc_lo
	v_add3_u32 v1, v14, s3, v0
	s_and_b32 vcc_lo, exec_lo, s1
	s_mov_b32 s3, -1
	s_delay_alu instid0(VALU_DEP_1)
	v_add_nc_u32_e32 v6, 0x100, v1
	v_add_nc_u32_e32 v7, 0x200, v1
	;; [unrolled: 1-line block ×12, first 2 shown]
	s_cbranch_vccz .LBB1175_6
; %bb.5:
	v_lshlrev_b32_e32 v19, 2, v0
	s_mov_b32 s3, 0
	ds_store_2addr_stride64_b32 v19, v1, v6 offset1:4
	ds_store_2addr_stride64_b32 v19, v7, v8 offset0:8 offset1:12
	ds_store_2addr_stride64_b32 v19, v9, v10 offset0:16 offset1:20
	;; [unrolled: 1-line block ×5, first 2 shown]
	ds_store_b32 v19, v18 offset:12288
	s_wait_loadcnt_dscnt 0x0
	s_barrier_signal -1
	s_barrier_wait -1
.LBB1175_6:
	s_and_not1_b32 vcc_lo, exec_lo, s3
	s_add_co_i32 s0, s0, s34
	s_cbranch_vccnz .LBB1175_8
; %bb.7:
	v_lshlrev_b32_e32 v19, 2, v0
	ds_store_2addr_stride64_b32 v19, v1, v6 offset1:4
	ds_store_2addr_stride64_b32 v19, v7, v8 offset0:8 offset1:12
	ds_store_2addr_stride64_b32 v19, v9, v10 offset0:16 offset1:20
	;; [unrolled: 1-line block ×5, first 2 shown]
	ds_store_b32 v19, v18 offset:12288
	s_wait_loadcnt_dscnt 0x0
	s_barrier_signal -1
	s_barrier_wait -1
.LBB1175_8:
	v_mul_u32_u24_e32 v15, 13, v0
	s_wait_loadcnt 0x0
	v_cndmask_b32_e64 v35, 0, 1, s1
	s_sub_co_i32 s33, s4, s0
	s_and_not1_b32 vcc_lo, exec_lo, s1
	v_lshlrev_b32_e32 v1, 2, v15
	ds_load_b32 v34, v1 offset:48
	ds_load_2addr_b32 v[16:17], v1 offset0:10 offset1:11
	ds_load_2addr_b32 v[18:19], v1 offset0:8 offset1:9
	;; [unrolled: 1-line block ×4, first 2 shown]
	ds_load_2addr_b32 v[26:27], v1 offset1:1
	ds_load_2addr_b32 v[24:25], v1 offset0:2 offset1:3
	s_wait_dscnt 0x0
	s_barrier_signal -1
	s_barrier_wait -1
	s_cbranch_vccnz .LBB1175_36
; %bb.9:
	v_dual_add_nc_u32 v1, s17, v26 :: v_dual_add_nc_u32 v6, s19, v26
	s_mov_b32 s41, 0
	s_mov_b32 s40, 0
	s_mov_b32 s1, exec_lo
	s_delay_alu instid0(VALU_DEP_1) | instskip(SKIP_1) | instid1(VALU_DEP_1)
	v_mul_lo_u32 v1, v1, s16
	v_mul_lo_u32 v6, v6, s18
	v_sub_nc_u32_e32 v1, v1, v6
	s_delay_alu instid0(VALU_DEP_1)
	v_cmp_lt_u32_e32 vcc_lo, s20, v1
	v_cmpx_ge_u32_e64 s20, v1
	s_cbranch_execz .LBB1175_11
; %bb.10:
	v_dual_add_nc_u32 v1, s22, v26 :: v_dual_add_nc_u32 v6, s38, v26
	s_delay_alu instid0(VALU_DEP_1) | instskip(NEXT) | instid1(VALU_DEP_2)
	v_mul_lo_u32 v1, v1, s21
	v_mul_lo_u32 v6, v6, s23
	s_delay_alu instid0(VALU_DEP_1) | instskip(NEXT) | instid1(VALU_DEP_1)
	v_sub_nc_u32_e32 v1, v1, v6
	v_cmp_lt_u32_e64 s0, s39, v1
	s_and_b32 s40, s0, exec_lo
.LBB1175_11:
	s_or_b32 exec_lo, exec_lo, s1
	v_dual_add_nc_u32 v1, s17, v27 :: v_dual_add_nc_u32 v6, s19, v27
	s_mov_b32 s3, exec_lo
	s_delay_alu instid0(VALU_DEP_1) | instskip(NEXT) | instid1(VALU_DEP_2)
	v_mul_lo_u32 v1, v1, s16
	v_mul_lo_u32 v6, v6, s18
	s_delay_alu instid0(VALU_DEP_1) | instskip(NEXT) | instid1(VALU_DEP_1)
	v_sub_nc_u32_e32 v1, v1, v6
	v_cmp_lt_u32_e64 s0, s20, v1
	v_cmpx_ge_u32_e64 s20, v1
	s_cbranch_execz .LBB1175_13
; %bb.12:
	v_dual_add_nc_u32 v1, s22, v27 :: v_dual_add_nc_u32 v6, s38, v27
	s_delay_alu instid0(VALU_DEP_1) | instskip(NEXT) | instid1(VALU_DEP_2)
	v_mul_lo_u32 v1, v1, s21
	v_mul_lo_u32 v6, v6, s23
	s_delay_alu instid0(VALU_DEP_1) | instskip(NEXT) | instid1(VALU_DEP_1)
	v_sub_nc_u32_e32 v1, v1, v6
	v_cmp_lt_u32_e64 s1, s39, v1
	s_and_b32 s41, s1, exec_lo
.LBB1175_13:
	s_or_b32 exec_lo, exec_lo, s3
	v_dual_add_nc_u32 v1, s17, v24 :: v_dual_add_nc_u32 v6, s19, v24
	s_mov_b32 s43, 0
	s_mov_b32 s42, 0
	s_mov_b32 s4, exec_lo
	s_delay_alu instid0(VALU_DEP_1) | instskip(SKIP_1) | instid1(VALU_DEP_1)
	v_mul_lo_u32 v1, v1, s16
	v_mul_lo_u32 v6, v6, s18
	v_sub_nc_u32_e32 v1, v1, v6
	s_delay_alu instid0(VALU_DEP_1)
	v_cmp_lt_u32_e64 s1, s20, v1
	v_cmpx_ge_u32_e64 s20, v1
	s_cbranch_execz .LBB1175_15
; %bb.14:
	v_dual_add_nc_u32 v1, s22, v24 :: v_dual_add_nc_u32 v6, s38, v24
	s_delay_alu instid0(VALU_DEP_1) | instskip(NEXT) | instid1(VALU_DEP_2)
	v_mul_lo_u32 v1, v1, s21
	v_mul_lo_u32 v6, v6, s23
	s_delay_alu instid0(VALU_DEP_1) | instskip(NEXT) | instid1(VALU_DEP_1)
	v_sub_nc_u32_e32 v1, v1, v6
	v_cmp_lt_u32_e64 s3, s39, v1
	s_and_b32 s42, s3, exec_lo
.LBB1175_15:
	s_or_b32 exec_lo, exec_lo, s4
	v_dual_add_nc_u32 v1, s17, v25 :: v_dual_add_nc_u32 v6, s19, v25
	s_mov_b32 s5, exec_lo
	s_delay_alu instid0(VALU_DEP_1) | instskip(NEXT) | instid1(VALU_DEP_2)
	v_mul_lo_u32 v1, v1, s16
	v_mul_lo_u32 v6, v6, s18
	s_delay_alu instid0(VALU_DEP_1) | instskip(NEXT) | instid1(VALU_DEP_1)
	v_sub_nc_u32_e32 v1, v1, v6
	v_cmp_lt_u32_e64 s3, s20, v1
	v_cmpx_ge_u32_e64 s20, v1
	s_cbranch_execz .LBB1175_17
; %bb.16:
	v_dual_add_nc_u32 v1, s22, v25 :: v_dual_add_nc_u32 v6, s38, v25
	s_delay_alu instid0(VALU_DEP_1) | instskip(NEXT) | instid1(VALU_DEP_2)
	v_mul_lo_u32 v1, v1, s21
	v_mul_lo_u32 v6, v6, s23
	s_delay_alu instid0(VALU_DEP_1) | instskip(NEXT) | instid1(VALU_DEP_1)
	v_sub_nc_u32_e32 v1, v1, v6
	v_cmp_lt_u32_e64 s4, s39, v1
	s_and_b32 s43, s4, exec_lo
.LBB1175_17:
	s_or_b32 exec_lo, exec_lo, s5
	v_dual_add_nc_u32 v1, s17, v22 :: v_dual_add_nc_u32 v6, s19, v22
	s_mov_b32 s45, 0
	s_mov_b32 s44, 0
	s_mov_b32 s6, exec_lo
	s_delay_alu instid0(VALU_DEP_1) | instskip(SKIP_1) | instid1(VALU_DEP_1)
	v_mul_lo_u32 v1, v1, s16
	v_mul_lo_u32 v6, v6, s18
	v_sub_nc_u32_e32 v1, v1, v6
	s_delay_alu instid0(VALU_DEP_1)
	v_cmp_lt_u32_e64 s4, s20, v1
	;; [unrolled: 44-line block ×6, first 2 shown]
	v_cmpx_ge_u32_e64 s20, v1
	s_cbranch_execz .LBB1175_35
; %bb.34:
	v_dual_add_nc_u32 v1, s22, v34 :: v_dual_add_nc_u32 v6, s38, v34
	s_delay_alu instid0(VALU_DEP_1) | instskip(NEXT) | instid1(VALU_DEP_2)
	v_mul_lo_u32 v1, v1, s21
	v_mul_lo_u32 v6, v6, s23
	s_delay_alu instid0(VALU_DEP_1) | instskip(NEXT) | instid1(VALU_DEP_1)
	v_sub_nc_u32_e32 v1, v1, v6
	v_cmp_lt_u32_e64 s13, s39, v1
	s_and_b32 s53, s13, exec_lo
.LBB1175_35:
	s_or_b32 exec_lo, exec_lo, s54
	v_cndmask_b32_e64 v6, 0, 1, s0
	v_cndmask_b32_e64 v8, 0, 1, s3
	v_cndmask_b32_e64 v1, 0, 1, vcc_lo
	v_cndmask_b32_e64 v7, 0, 1, s1
	v_cndmask_b32_e64 v10, 0, 1, s5
	v_lshlrev_b16 v6, 8, v6
	v_lshlrev_b16 v8, 8, v8
	v_cndmask_b32_e64 v12, 0, 1, s7
	v_cndmask_b32_e64 v28, 0, 1, s9
	;; [unrolled: 1-line block ×3, first 2 shown]
	v_or_b32_e32 v1, v1, v6
	v_or_b32_e32 v6, v7, v8
	v_cndmask_b32_e64 v8, 0, 1, s42
	v_cndmask_b32_e64 v9, 0, 1, s4
	;; [unrolled: 1-line block ×4, first 2 shown]
	v_lshlrev_b32_e32 v6, 16, v6
	v_and_b32_e32 v1, 0xffff, v1
	v_cndmask_b32_e64 v38, 0, 1, s46
	v_cndmask_b32_e64 v41, 0, 1, s44
	;; [unrolled: 1-line block ×4, first 2 shown]
	v_or_b32_e32 v36, v1, v6
	v_lshlrev_b16 v1, 8, v10
	v_lshlrev_b16 v6, 8, v12
	;; [unrolled: 1-line block ×5, first 2 shown]
	v_cndmask_b32_e64 v11, 0, 1, s6
	v_cndmask_b32_e64 v30, 0, 1, s52
	;; [unrolled: 1-line block ×6, first 2 shown]
	v_lshlrev_b16 v28, 8, v44
	v_or_b32_e32 v8, v42, v8
	v_or_b32_e32 v1, v9, v1
	;; [unrolled: 1-line block ×4, first 2 shown]
	v_lshlrev_b16 v12, 8, v41
	v_lshlrev_b16 v13, 8, v38
	v_cndmask_b32_e64 v32, 0, 1, s50
	v_cndmask_b32_e64 v37, 0, 1, s47
	v_lshlrev_b16 v29, 8, v30
	v_or_b32_e32 v7, v7, v12
	v_or_b32_e32 v12, v40, v13
	;; [unrolled: 1-line block ×4, first 2 shown]
	v_lshlrev_b16 v28, 8, v33
	v_dual_lshlrev_b32 v10, 16, v10 :: v_dual_lshlrev_b32 v8, 16, v8
	v_and_b32_e32 v1, 0xffff, v1
	s_delay_alu instid0(VALU_DEP_4) | instskip(NEXT) | instid1(VALU_DEP_4)
	v_and_b32_e32 v11, 0xffff, v11
	v_or_b32_e32 v13, v37, v28
	v_or_b32_e32 v28, v32, v29
	v_and_b32_e32 v7, 0xffff, v7
	v_dual_lshlrev_b32 v12, 16, v12 :: v_dual_lshlrev_b32 v6, 16, v6
	s_delay_alu instid0(VALU_DEP_4) | instskip(NEXT) | instid1(VALU_DEP_4)
	v_and_b32_e32 v13, 0xffff, v13
	v_lshlrev_b32_e32 v28, 16, v28
	v_and_b32_e32 v9, 0xffff, v9
	v_cndmask_b32_e64 v39, 0, 1, s51
	v_cndmask_b32_e64 v43, 0, 1, s53
	v_or_b32_e32 v38, v1, v6
	v_or_b32_e32 v42, v11, v8
	v_or_b32_e32 v41, v9, v10
	v_or_b32_e32 v37, v7, v12
	v_or_b32_e32 v40, v13, v28
	s_and_b32 vcc_lo, exec_lo, s48
	s_add_co_i32 s5, s33, 0xd00
	s_cbranch_vccnz .LBB1175_37
	s_branch .LBB1175_114
.LBB1175_36:
                                        ; implicit-def: $vgpr43
                                        ; implicit-def: $vgpr39
                                        ; implicit-def: $vgpr40
                                        ; implicit-def: $vgpr37
                                        ; implicit-def: $vgpr42
                                        ; implicit-def: $vgpr41
                                        ; implicit-def: $vgpr38
                                        ; implicit-def: $vgpr36
	s_add_co_i32 s5, s33, 0xd00
	s_cbranch_execz .LBB1175_114
.LBB1175_37:
	v_dual_mov_b32 v6, 0 :: v_dual_mov_b32 v1, 0
	s_mov_b32 s1, exec_lo
	v_cmpx_gt_u32_e64 s5, v15
	s_cbranch_execz .LBB1175_41
; %bb.38:
	v_dual_add_nc_u32 v1, s17, v26 :: v_dual_add_nc_u32 v6, s19, v26
	s_mov_b32 s4, 0
	s_mov_b32 s3, exec_lo
	s_delay_alu instid0(VALU_DEP_1) | instskip(NEXT) | instid1(VALU_DEP_2)
	v_mul_lo_u32 v1, v1, s16
	v_mul_lo_u32 v6, v6, s18
	s_delay_alu instid0(VALU_DEP_1) | instskip(NEXT) | instid1(VALU_DEP_1)
	v_sub_nc_u32_e32 v1, v1, v6
	v_cmp_lt_u32_e32 vcc_lo, s20, v1
	v_cmpx_ge_u32_e64 s20, v1
	s_cbranch_execz .LBB1175_40
; %bb.39:
	v_dual_add_nc_u32 v1, s22, v26 :: v_dual_add_nc_u32 v6, s38, v26
	s_delay_alu instid0(VALU_DEP_1) | instskip(NEXT) | instid1(VALU_DEP_2)
	v_mul_lo_u32 v1, v1, s21
	v_mul_lo_u32 v6, v6, s23
	s_delay_alu instid0(VALU_DEP_1) | instskip(NEXT) | instid1(VALU_DEP_1)
	v_sub_nc_u32_e32 v1, v1, v6
	v_cmp_lt_u32_e64 s0, s39, v1
	s_and_b32 s4, s0, exec_lo
.LBB1175_40:
	s_or_b32 exec_lo, exec_lo, s3
	v_cndmask_b32_e64 v6, 0, 1, s4
	v_cndmask_b32_e64 v1, 0, 1, vcc_lo
.LBB1175_41:
	s_or_b32 exec_lo, exec_lo, s1
	s_delay_alu instid0(VALU_DEP_2) | instskip(SKIP_1) | instid1(VALU_DEP_2)
	v_lshlrev_b16 v6, 8, v6
	v_lshlrev_b16 v13, 8, 0
                                        ; implicit-def: $vgpr9
                                        ; implicit-def: $vgpr11
                                        ; implicit-def: $vgpr8
                                        ; implicit-def: $vgpr12
	v_and_b32_e32 v10, 0xffff, v6
	v_add_nc_u32_e32 v7, 1, v15
                                        ; implicit-def: $vgpr6
	s_delay_alu instid0(VALU_DEP_2) | instskip(NEXT) | instid1(VALU_DEP_2)
	v_lshrrev_b32_e32 v28, 8, v10
	v_cmp_le_u32_e32 vcc_lo, s5, v7
                                        ; implicit-def: $vgpr7
	s_and_saveexec_b32 s0, vcc_lo
	s_delay_alu instid0(SALU_CYCLE_1)
	s_xor_b32 s0, exec_lo, s0
	s_cbranch_execz .LBB1175_43
; %bb.42:
	v_lshlrev_b16 v6, 8, v28
	v_bitop3_b16 v7, 0, v13, 0xff bitop3:0xec
	v_and_b32_e32 v12, 0xff, v1
                                        ; implicit-def: $vgpr1
                                        ; implicit-def: $vgpr13
                                        ; implicit-def: $vgpr28
	v_mov_b32_e32 v9, 0
	s_delay_alu instid0(VALU_DEP_4) | instskip(SKIP_3) | instid1(VALU_DEP_4)
	v_bitop3_b16 v10, v10, v6, 0xff bitop3:0xec
	v_mov_b32_e32 v6, 0
	v_and_b32_e32 v8, 0xffff, v7
	v_and_b32_e32 v7, 0xffff, v7
	;; [unrolled: 1-line block ×3, first 2 shown]
                                        ; implicit-def: $vgpr10
.LBB1175_43:
	s_and_not1_saveexec_b32 s1, s0
	s_cbranch_execz .LBB1175_47
; %bb.44:
	v_dual_add_nc_u32 v6, s17, v27 :: v_dual_add_nc_u32 v7, s19, v27
	s_mov_b32 s3, 0
	s_mov_b32 s4, exec_lo
	s_delay_alu instid0(VALU_DEP_1) | instskip(NEXT) | instid1(VALU_DEP_2)
	v_mul_lo_u32 v6, v6, s16
	v_mul_lo_u32 v7, v7, s18
	s_delay_alu instid0(VALU_DEP_1) | instskip(NEXT) | instid1(VALU_DEP_1)
	v_sub_nc_u32_e32 v6, v6, v7
	v_cmp_lt_u32_e32 vcc_lo, s20, v6
	v_cmpx_ge_u32_e64 s20, v6
	s_cbranch_execz .LBB1175_46
; %bb.45:
	v_dual_add_nc_u32 v6, s22, v27 :: v_dual_add_nc_u32 v7, s38, v27
	s_delay_alu instid0(VALU_DEP_1) | instskip(NEXT) | instid1(VALU_DEP_2)
	v_mul_lo_u32 v6, v6, s21
	v_mul_lo_u32 v7, v7, s23
	s_delay_alu instid0(VALU_DEP_1) | instskip(NEXT) | instid1(VALU_DEP_1)
	v_sub_nc_u32_e32 v6, v6, v7
	v_cmp_lt_u32_e64 s0, s39, v6
	s_and_b32 s3, s0, exec_lo
.LBB1175_46:
	s_or_b32 exec_lo, exec_lo, s4
	v_cndmask_b32_e64 v6, 0, 1, vcc_lo
	v_lshlrev_b16 v7, 8, v28
	v_cndmask_b32_e64 v11, 0, 1, s3
	v_mov_b32_e32 v9, 0
	s_delay_alu instid0(VALU_DEP_4) | instskip(NEXT) | instid1(VALU_DEP_4)
	v_lshlrev_b16 v6, 8, v6
	v_bitop3_b16 v7, v10, v7, 0xff bitop3:0xec
	v_bitop3_b16 v10, 0, v13, 0xff bitop3:0xec
	s_delay_alu instid0(VALU_DEP_3) | instskip(NEXT) | instid1(VALU_DEP_3)
	v_bitop3_b16 v1, v1, v6, 0xff bitop3:0xec
	v_and_b32_e32 v7, 0xffff, v7
	v_mov_b32_e32 v6, 0
	s_delay_alu instid0(VALU_DEP_4) | instskip(NEXT) | instid1(VALU_DEP_4)
	v_and_b32_e32 v8, 0xffff, v10
	v_and_b32_e32 v12, 0xffff, v1
	s_delay_alu instid0(VALU_DEP_4)
	v_lshl_or_b32 v11, v11, 16, v7
	v_and_b32_e32 v7, 0xffff, v10
.LBB1175_47:
	s_or_b32 exec_lo, exec_lo, s1
	s_delay_alu instid0(VALU_DEP_3) | instskip(NEXT) | instid1(VALU_DEP_1)
	v_dual_add_nc_u32 v1, 2, v15 :: v_dual_lshrrev_b32 v13, 8, v12
                                        ; implicit-def: $vgpr10
	v_cmp_le_u32_e32 vcc_lo, s5, v1
                                        ; implicit-def: $vgpr1
	s_and_saveexec_b32 s0, vcc_lo
	s_delay_alu instid0(SALU_CYCLE_1)
	s_xor_b32 s0, exec_lo, s0
	s_cbranch_execz .LBB1175_49
; %bb.48:
	v_lshlrev_b16 v1, 8, v13
	v_and_b32_e32 v13, 0xff0000, v11
	v_perm_b32 v8, v8, v8, 0x3060504
	s_delay_alu instid0(VALU_DEP_3) | instskip(NEXT) | instid1(VALU_DEP_1)
	v_bitop3_b16 v1, v12, v1, 0xff bitop3:0xec
	v_and_b32_e32 v1, 0xffff, v1
	s_delay_alu instid0(VALU_DEP_1)
	v_and_or_b32 v10, 0xff000000, v12, v1
	v_perm_b32 v1, v11, v13, 0x3020504
                                        ; implicit-def: $vgpr13
                                        ; implicit-def: $vgpr12
                                        ; implicit-def: $vgpr11
.LBB1175_49:
	s_and_not1_saveexec_b32 s1, s0
	s_cbranch_execz .LBB1175_53
; %bb.50:
	v_dual_add_nc_u32 v1, s17, v24 :: v_dual_add_nc_u32 v10, s19, v24
	s_mov_b32 s3, 0
	s_mov_b32 s4, exec_lo
	s_delay_alu instid0(VALU_DEP_1) | instskip(NEXT) | instid1(VALU_DEP_2)
	v_mul_lo_u32 v1, v1, s16
	v_mul_lo_u32 v10, v10, s18
	s_delay_alu instid0(VALU_DEP_1) | instskip(NEXT) | instid1(VALU_DEP_1)
	v_sub_nc_u32_e32 v1, v1, v10
	v_cmp_lt_u32_e32 vcc_lo, s20, v1
	v_cmpx_ge_u32_e64 s20, v1
	s_cbranch_execz .LBB1175_52
; %bb.51:
	v_dual_add_nc_u32 v1, s22, v24 :: v_dual_add_nc_u32 v10, s38, v24
	s_delay_alu instid0(VALU_DEP_1) | instskip(NEXT) | instid1(VALU_DEP_2)
	v_mul_lo_u32 v1, v1, s21
	v_mul_lo_u32 v10, v10, s23
	s_delay_alu instid0(VALU_DEP_1) | instskip(NEXT) | instid1(VALU_DEP_1)
	v_sub_nc_u32_e32 v1, v1, v10
	v_cmp_lt_u32_e64 s0, s39, v1
	s_and_b32 s3, s0, exec_lo
.LBB1175_52:
	s_or_b32 exec_lo, exec_lo, s4
	v_dual_lshrrev_b32 v1, 24, v12 :: v_dual_lshrrev_b32 v29, 8, v11
	v_cndmask_b32_e64 v10, 0, 1, s3
	v_cndmask_b32_e64 v28, 0, 1, vcc_lo
	v_lshlrev_b16 v13, 8, v13
	s_delay_alu instid0(VALU_DEP_4)
	v_lshlrev_b16 v1, 8, v1
	v_lshrrev_b32_e32 v30, 16, v11
	v_lshlrev_b16 v10, 8, v10
	v_lshlrev_b16 v29, 8, v29
	v_bitop3_b16 v12, v12, v13, 0xff bitop3:0xec
	v_or_b32_e32 v1, v28, v1
	s_delay_alu instid0(VALU_DEP_4) | instskip(NEXT) | instid1(VALU_DEP_4)
	v_bitop3_b16 v10, v30, v10, 0xff bitop3:0xec
	v_bitop3_b16 v11, v11, v29, 0xff bitop3:0xec
	s_delay_alu instid0(VALU_DEP_4) | instskip(NEXT) | instid1(VALU_DEP_3)
	v_and_b32_e32 v12, 0xffff, v12
	v_dual_lshlrev_b32 v1, 16, v1 :: v_dual_lshlrev_b32 v13, 16, v10
	s_delay_alu instid0(VALU_DEP_3) | instskip(NEXT) | instid1(VALU_DEP_2)
	v_and_b32_e32 v11, 0xffff, v11
	v_or_b32_e32 v10, v12, v1
	s_delay_alu instid0(VALU_DEP_2)
	v_or_b32_e32 v1, v11, v13
.LBB1175_53:
	s_or_b32 exec_lo, exec_lo, s1
	v_dual_add_nc_u32 v12, 3, v15 :: v_dual_lshrrev_b32 v13, 24, v9
	v_lshrrev_b32_e32 v11, 16, v9
                                        ; implicit-def: $vgpr36
	s_delay_alu instid0(VALU_DEP_2) | instskip(SKIP_2) | instid1(SALU_CYCLE_1)
	v_cmp_le_u32_e32 vcc_lo, s5, v12
	v_lshrrev_b32_e32 v12, 8, v9
                                        ; implicit-def: $vgpr9
	s_and_saveexec_b32 s0, vcc_lo
	s_xor_b32 s0, exec_lo, s0
	s_cbranch_execz .LBB1175_55
; %bb.54:
	v_lshlrev_b16 v9, 8, v13
	v_lshlrev_b16 v12, 8, v12
	v_perm_b32 v8, v8, v8, 0x3060504
	v_perm_b32 v7, v7, v7, 0x3060504
                                        ; implicit-def: $vgpr13
	s_delay_alu instid0(VALU_DEP_4) | instskip(SKIP_2) | instid1(VALU_DEP_3)
	v_bitop3_b16 v9, v11, v9, 0xff bitop3:0xec
	v_and_b32_e32 v11, 0xff0000, v10
	v_and_b32_e32 v12, 0xffff, v12
	v_lshlrev_b32_e32 v9, 16, v9
	s_delay_alu instid0(VALU_DEP_3) | instskip(NEXT) | instid1(VALU_DEP_2)
	v_perm_b32 v36, v10, v11, 0x3020504
                                        ; implicit-def: $vgpr10
                                        ; implicit-def: $vgpr11
	v_or_b32_e32 v9, v12, v9
                                        ; implicit-def: $vgpr12
.LBB1175_55:
	s_and_not1_saveexec_b32 s1, s0
	s_cbranch_execz .LBB1175_59
; %bb.56:
	v_dual_add_nc_u32 v9, s17, v25 :: v_dual_add_nc_u32 v28, s19, v25
	s_mov_b32 s3, 0
	s_mov_b32 s4, exec_lo
	s_delay_alu instid0(VALU_DEP_1) | instskip(NEXT) | instid1(VALU_DEP_2)
	v_mul_lo_u32 v9, v9, s16
	v_mul_lo_u32 v28, v28, s18
	s_delay_alu instid0(VALU_DEP_1) | instskip(NEXT) | instid1(VALU_DEP_1)
	v_sub_nc_u32_e32 v9, v9, v28
	v_cmp_lt_u32_e32 vcc_lo, s20, v9
	v_cmpx_ge_u32_e64 s20, v9
	s_cbranch_execz .LBB1175_58
; %bb.57:
	v_dual_add_nc_u32 v9, s22, v25 :: v_dual_add_nc_u32 v28, s38, v25
	s_delay_alu instid0(VALU_DEP_1) | instskip(NEXT) | instid1(VALU_DEP_2)
	v_mul_lo_u32 v9, v9, s21
	v_mul_lo_u32 v28, v28, s23
	s_delay_alu instid0(VALU_DEP_1) | instskip(NEXT) | instid1(VALU_DEP_1)
	v_sub_nc_u32_e32 v9, v9, v28
	v_cmp_lt_u32_e64 s0, s39, v9
	s_and_b32 s3, s0, exec_lo
.LBB1175_58:
	s_or_b32 exec_lo, exec_lo, s4
	v_cndmask_b32_e64 v9, 0, 1, vcc_lo
	v_dual_lshrrev_b32 v28, 8, v10 :: v_dual_lshrrev_b32 v30, 16, v10
	v_cndmask_b32_e64 v29, 0, 1, s3
	v_lshlrev_b16 v13, 8, v13
	s_delay_alu instid0(VALU_DEP_4) | instskip(NEXT) | instid1(VALU_DEP_4)
	v_lshlrev_b16 v9, 8, v9
	v_lshlrev_b16 v28, 8, v28
	;; [unrolled: 1-line block ×3, first 2 shown]
	s_delay_alu instid0(VALU_DEP_4) | instskip(NEXT) | instid1(VALU_DEP_4)
	v_bitop3_b16 v11, v11, v13, 0xff bitop3:0xec
	v_bitop3_b16 v9, v30, v9, 0xff bitop3:0xec
	s_delay_alu instid0(VALU_DEP_4) | instskip(NEXT) | instid1(VALU_DEP_3)
	v_bitop3_b16 v10, v10, v28, 0xff bitop3:0xec
	v_dual_lshlrev_b32 v11, 16, v11 :: v_dual_bitop2_b32 v12, v29, v12 bitop3:0x54
	s_delay_alu instid0(VALU_DEP_3) | instskip(NEXT) | instid1(VALU_DEP_3)
	v_lshlrev_b32_e32 v9, 16, v9
	v_and_b32_e32 v10, 0xffff, v10
	s_delay_alu instid0(VALU_DEP_3) | instskip(NEXT) | instid1(VALU_DEP_2)
	v_and_b32_e32 v12, 0xffff, v12
	v_or_b32_e32 v36, v10, v9
	s_delay_alu instid0(VALU_DEP_2)
	v_or_b32_e32 v9, v12, v11
.LBB1175_59:
	s_or_b32 exec_lo, exec_lo, s1
	v_dual_add_nc_u32 v10, 4, v15 :: v_dual_lshrrev_b32 v28, 8, v8
	v_dual_lshrrev_b32 v11, 16, v8 :: v_dual_lshrrev_b32 v29, 24, v8
	s_delay_alu instid0(VALU_DEP_3) | instskip(NEXT) | instid1(VALU_DEP_3)
	v_dual_lshrrev_b32 v13, 24, v9 :: v_dual_lshrrev_b32 v12, 16, v9
	v_cmp_le_u32_e32 vcc_lo, s5, v10
                                        ; implicit-def: $vgpr8
                                        ; implicit-def: $vgpr10
	s_and_saveexec_b32 s0, vcc_lo
	s_delay_alu instid0(SALU_CYCLE_1)
	s_xor_b32 s0, exec_lo, s0
	s_cbranch_execz .LBB1175_61
; %bb.60:
	v_lshlrev_b16 v8, 8, v29
	v_lshlrev_b16 v10, 8, v28
	;; [unrolled: 1-line block ×3, first 2 shown]
	v_perm_b32 v7, v7, v7, 0x3060504
                                        ; implicit-def: $vgpr28
                                        ; implicit-def: $vgpr29
	s_delay_alu instid0(VALU_DEP_4) | instskip(NEXT) | instid1(VALU_DEP_4)
	v_bitop3_b16 v8, v11, v8, 0xff bitop3:0xec
	v_and_b32_e32 v10, 0xffff, v10
	s_delay_alu instid0(VALU_DEP_4) | instskip(NEXT) | instid1(VALU_DEP_3)
	v_bitop3_b16 v11, v12, v13, 0xff bitop3:0xec
                                        ; implicit-def: $vgpr13
	v_lshlrev_b32_e32 v12, 16, v8
	s_delay_alu instid0(VALU_DEP_2) | instskip(NEXT) | instid1(VALU_DEP_2)
	v_perm_b32 v8, v11, v9, 0x5040c00
                                        ; implicit-def: $vgpr9
                                        ; implicit-def: $vgpr11
	v_or_b32_e32 v10, v10, v12
                                        ; implicit-def: $vgpr12
.LBB1175_61:
	s_and_not1_saveexec_b32 s1, s0
	s_cbranch_execz .LBB1175_65
; %bb.62:
	v_dual_add_nc_u32 v8, s17, v22 :: v_dual_add_nc_u32 v10, s19, v22
	s_mov_b32 s3, 0
	s_mov_b32 s4, exec_lo
	s_delay_alu instid0(VALU_DEP_1) | instskip(NEXT) | instid1(VALU_DEP_2)
	v_mul_lo_u32 v8, v8, s16
	v_mul_lo_u32 v10, v10, s18
	s_delay_alu instid0(VALU_DEP_1) | instskip(NEXT) | instid1(VALU_DEP_1)
	v_sub_nc_u32_e32 v8, v8, v10
	v_cmp_lt_u32_e32 vcc_lo, s20, v8
	v_cmpx_ge_u32_e64 s20, v8
	s_cbranch_execz .LBB1175_64
; %bb.63:
	v_dual_add_nc_u32 v8, s22, v22 :: v_dual_add_nc_u32 v10, s38, v22
	s_delay_alu instid0(VALU_DEP_1) | instskip(NEXT) | instid1(VALU_DEP_2)
	v_mul_lo_u32 v8, v8, s21
	v_mul_lo_u32 v10, v10, s23
	s_delay_alu instid0(VALU_DEP_1) | instskip(NEXT) | instid1(VALU_DEP_1)
	v_sub_nc_u32_e32 v8, v8, v10
	v_cmp_lt_u32_e64 s0, s39, v8
	s_and_b32 s3, s0, exec_lo
.LBB1175_64:
	s_or_b32 exec_lo, exec_lo, s4
	v_cndmask_b32_e64 v8, 0, 1, s3
	v_cndmask_b32_e64 v10, 0, 1, vcc_lo
	v_lshlrev_b16 v29, 8, v29
	v_lshlrev_b16 v28, 8, v28
	;; [unrolled: 1-line block ×4, first 2 shown]
	s_delay_alu instid0(VALU_DEP_4) | instskip(NEXT) | instid1(VALU_DEP_4)
	v_bitop3_b16 v11, v11, v29, 0xff bitop3:0xec
	v_or_b32_e32 v10, v10, v28
	s_delay_alu instid0(VALU_DEP_4) | instskip(NEXT) | instid1(VALU_DEP_4)
	v_bitop3_b16 v12, v12, v13, 0xff bitop3:0xec
	v_bitop3_b16 v8, v9, v8, 0xff bitop3:0xec
	s_delay_alu instid0(VALU_DEP_4) | instskip(NEXT) | instid1(VALU_DEP_4)
	v_lshlrev_b32_e32 v9, 16, v11
	v_and_b32_e32 v10, 0xffff, v10
	s_delay_alu instid0(VALU_DEP_4) | instskip(NEXT) | instid1(VALU_DEP_4)
	v_lshlrev_b32_e32 v11, 16, v12
	v_and_b32_e32 v8, 0xffff, v8
	s_delay_alu instid0(VALU_DEP_3) | instskip(NEXT) | instid1(VALU_DEP_2)
	v_or_b32_e32 v10, v10, v9
	v_or_b32_e32 v8, v8, v11
.LBB1175_65:
	s_or_b32 exec_lo, exec_lo, s1
	s_delay_alu instid0(VALU_DEP_1) | instskip(NEXT) | instid1(VALU_DEP_2)
	v_dual_add_nc_u32 v9, 5, v15 :: v_dual_lshrrev_b32 v12, 16, v10
	v_dual_lshrrev_b32 v13, 24, v10 :: v_dual_lshrrev_b32 v28, 8, v8
                                        ; implicit-def: $vgpr11
	s_delay_alu instid0(VALU_DEP_2) | instskip(SKIP_1) | instid1(SALU_CYCLE_1)
	v_cmp_le_u32_e32 vcc_lo, s5, v9
                                        ; implicit-def: $vgpr9
	s_and_saveexec_b32 s0, vcc_lo
	s_xor_b32 s0, exec_lo, s0
	s_cbranch_execz .LBB1175_67
; %bb.66:
	v_lshlrev_b16 v9, 8, v28
	v_lshlrev_b16 v11, 8, v13
	v_perm_b32 v7, v7, v7, 0x3060504
                                        ; implicit-def: $vgpr13
                                        ; implicit-def: $vgpr28
	s_delay_alu instid0(VALU_DEP_3) | instskip(NEXT) | instid1(VALU_DEP_3)
	v_bitop3_b16 v9, v8, v9, 0xff bitop3:0xec
	v_bitop3_b16 v11, v12, v11, 0xff bitop3:0xec
                                        ; implicit-def: $vgpr12
	s_delay_alu instid0(VALU_DEP_2) | instskip(NEXT) | instid1(VALU_DEP_2)
	v_and_b32_e32 v9, 0xffff, v9
	v_perm_b32 v11, v11, v10, 0x5040c00
                                        ; implicit-def: $vgpr10
	s_delay_alu instid0(VALU_DEP_2)
	v_and_or_b32 v9, 0xff000000, v8, v9
                                        ; implicit-def: $vgpr8
.LBB1175_67:
	s_and_not1_saveexec_b32 s1, s0
	s_cbranch_execz .LBB1175_71
; %bb.68:
	v_dual_add_nc_u32 v9, s17, v23 :: v_dual_add_nc_u32 v11, s19, v23
	s_mov_b32 s3, 0
	s_mov_b32 s4, exec_lo
	s_delay_alu instid0(VALU_DEP_1) | instskip(NEXT) | instid1(VALU_DEP_2)
	v_mul_lo_u32 v9, v9, s16
	v_mul_lo_u32 v11, v11, s18
	s_delay_alu instid0(VALU_DEP_1) | instskip(NEXT) | instid1(VALU_DEP_1)
	v_sub_nc_u32_e32 v9, v9, v11
	v_cmp_lt_u32_e32 vcc_lo, s20, v9
	v_cmpx_ge_u32_e64 s20, v9
	s_cbranch_execz .LBB1175_70
; %bb.69:
	v_dual_add_nc_u32 v9, s22, v23 :: v_dual_add_nc_u32 v11, s38, v23
	s_delay_alu instid0(VALU_DEP_1) | instskip(NEXT) | instid1(VALU_DEP_2)
	v_mul_lo_u32 v9, v9, s21
	v_mul_lo_u32 v11, v11, s23
	s_delay_alu instid0(VALU_DEP_1) | instskip(NEXT) | instid1(VALU_DEP_1)
	v_sub_nc_u32_e32 v9, v9, v11
	v_cmp_lt_u32_e64 s0, s39, v9
	s_and_b32 s3, s0, exec_lo
.LBB1175_70:
	s_or_b32 exec_lo, exec_lo, s4
	v_cndmask_b32_e64 v9, 0, 1, vcc_lo
	v_lshrrev_b32_e32 v11, 24, v8
	v_cndmask_b32_e64 v29, 0, 1, s3
	v_lshlrev_b16 v13, 8, v13
	v_lshlrev_b16 v28, 8, v28
	;; [unrolled: 1-line block ×4, first 2 shown]
	s_delay_alu instid0(VALU_DEP_4) | instskip(NEXT) | instid1(VALU_DEP_4)
	v_bitop3_b16 v12, v12, v13, 0xff bitop3:0xec
	v_bitop3_b16 v8, v8, v28, 0xff bitop3:0xec
	s_delay_alu instid0(VALU_DEP_4) | instskip(NEXT) | instid1(VALU_DEP_3)
	v_bitop3_b16 v9, v10, v9, 0xff bitop3:0xec
	v_dual_lshlrev_b32 v11, 16, v12 :: v_dual_bitop2_b32 v10, v29, v11 bitop3:0x54
	s_delay_alu instid0(VALU_DEP_3) | instskip(NEXT) | instid1(VALU_DEP_3)
	v_and_b32_e32 v8, 0xffff, v8
	v_and_b32_e32 v9, 0xffff, v9
	s_delay_alu instid0(VALU_DEP_1) | instskip(NEXT) | instid1(VALU_DEP_1)
	v_dual_lshlrev_b32 v10, 16, v10 :: v_dual_bitop2_b32 v11, v9, v11 bitop3:0x54
	v_or_b32_e32 v9, v8, v10
.LBB1175_71:
	s_or_b32 exec_lo, exec_lo, s1
	v_add_nc_u32_e32 v8, 6, v15
	s_delay_alu instid0(VALU_DEP_3) | instskip(NEXT) | instid1(VALU_DEP_2)
	v_lshrrev_b32_e32 v10, 8, v11
                                        ; implicit-def: $vgpr37
	v_cmp_le_u32_e32 vcc_lo, s5, v8
                                        ; implicit-def: $vgpr8
	s_and_saveexec_b32 s0, vcc_lo
	s_delay_alu instid0(SALU_CYCLE_1)
	s_xor_b32 s0, exec_lo, s0
	s_cbranch_execz .LBB1175_73
; %bb.72:
	v_lshlrev_b16 v8, 8, v10
	v_and_b32_e32 v10, 0xff0000, v9
	v_perm_b32 v7, v7, v7, 0x3060504
	s_delay_alu instid0(VALU_DEP_3) | instskip(NEXT) | instid1(VALU_DEP_3)
	v_bitop3_b16 v8, v11, v8, 0xff bitop3:0xec
	v_perm_b32 v37, v9, v10, 0x3020504
                                        ; implicit-def: $vgpr10
                                        ; implicit-def: $vgpr9
	s_delay_alu instid0(VALU_DEP_2) | instskip(NEXT) | instid1(VALU_DEP_1)
	v_and_b32_e32 v8, 0xffff, v8
	v_and_or_b32 v8, 0xff000000, v11, v8
                                        ; implicit-def: $vgpr11
.LBB1175_73:
	s_and_not1_saveexec_b32 s1, s0
	s_cbranch_execz .LBB1175_77
; %bb.74:
	v_dual_add_nc_u32 v8, s17, v20 :: v_dual_add_nc_u32 v12, s19, v20
	s_mov_b32 s3, 0
	s_mov_b32 s4, exec_lo
	s_delay_alu instid0(VALU_DEP_1) | instskip(NEXT) | instid1(VALU_DEP_2)
	v_mul_lo_u32 v8, v8, s16
	v_mul_lo_u32 v12, v12, s18
	s_delay_alu instid0(VALU_DEP_1) | instskip(NEXT) | instid1(VALU_DEP_1)
	v_sub_nc_u32_e32 v8, v8, v12
	v_cmp_lt_u32_e32 vcc_lo, s20, v8
	v_cmpx_ge_u32_e64 s20, v8
	s_cbranch_execz .LBB1175_76
; %bb.75:
	v_dual_add_nc_u32 v8, s22, v20 :: v_dual_add_nc_u32 v12, s38, v20
	s_delay_alu instid0(VALU_DEP_1) | instskip(NEXT) | instid1(VALU_DEP_2)
	v_mul_lo_u32 v8, v8, s21
	v_mul_lo_u32 v12, v12, s23
	s_delay_alu instid0(VALU_DEP_1) | instskip(NEXT) | instid1(VALU_DEP_1)
	v_sub_nc_u32_e32 v8, v8, v12
	v_cmp_lt_u32_e64 s0, s39, v8
	s_and_b32 s3, s0, exec_lo
.LBB1175_76:
	s_or_b32 exec_lo, exec_lo, s4
	v_dual_lshrrev_b32 v8, 24, v11 :: v_dual_lshrrev_b32 v28, 8, v9
	v_cndmask_b32_e64 v12, 0, 1, s3
	v_cndmask_b32_e64 v13, 0, 1, vcc_lo
	v_lshlrev_b16 v10, 8, v10
	s_delay_alu instid0(VALU_DEP_4)
	v_lshlrev_b16 v8, 8, v8
	v_lshrrev_b32_e32 v29, 16, v9
	v_lshlrev_b16 v12, 8, v12
	v_lshlrev_b16 v28, 8, v28
	v_bitop3_b16 v10, v11, v10, 0xff bitop3:0xec
	v_or_b32_e32 v8, v13, v8
	s_delay_alu instid0(VALU_DEP_4) | instskip(NEXT) | instid1(VALU_DEP_4)
	v_bitop3_b16 v11, v29, v12, 0xff bitop3:0xec
	v_bitop3_b16 v9, v9, v28, 0xff bitop3:0xec
	s_delay_alu instid0(VALU_DEP_4) | instskip(NEXT) | instid1(VALU_DEP_3)
	v_and_b32_e32 v10, 0xffff, v10
	v_dual_lshlrev_b32 v8, 16, v8 :: v_dual_lshlrev_b32 v11, 16, v11
	s_delay_alu instid0(VALU_DEP_3) | instskip(NEXT) | instid1(VALU_DEP_2)
	v_and_b32_e32 v9, 0xffff, v9
	v_or_b32_e32 v8, v10, v8
	s_delay_alu instid0(VALU_DEP_2)
	v_or_b32_e32 v37, v9, v11
.LBB1175_77:
	s_or_b32 exec_lo, exec_lo, s1
	v_add_nc_u32_e32 v11, 7, v15
	v_dual_lshrrev_b32 v9, 8, v7 :: v_dual_lshrrev_b32 v10, 16, v7
                                        ; implicit-def: $vgpr38
	s_delay_alu instid0(VALU_DEP_2) | instskip(SKIP_2) | instid1(SALU_CYCLE_1)
	v_cmp_le_u32_e32 vcc_lo, s5, v11
	v_lshrrev_b32_e32 v11, 24, v7
                                        ; implicit-def: $vgpr7
	s_and_saveexec_b32 s0, vcc_lo
	s_xor_b32 s0, exec_lo, s0
	s_cbranch_execz .LBB1175_79
; %bb.78:
	s_delay_alu instid0(VALU_DEP_1) | instskip(SKIP_1) | instid1(VALU_DEP_2)
	v_lshlrev_b16 v7, 8, v11
	v_lshlrev_b16 v9, 8, v9
                                        ; implicit-def: $vgpr11
	v_bitop3_b16 v7, v10, v7, 0xff bitop3:0xec
	v_and_b32_e32 v10, 0xff0000, v8
	s_delay_alu instid0(VALU_DEP_3) | instskip(NEXT) | instid1(VALU_DEP_3)
	v_and_b32_e32 v9, 0xffff, v9
	v_lshlrev_b32_e32 v7, 16, v7
	s_delay_alu instid0(VALU_DEP_3) | instskip(NEXT) | instid1(VALU_DEP_2)
	v_perm_b32 v38, v8, v10, 0x3020504
                                        ; implicit-def: $vgpr8
                                        ; implicit-def: $vgpr10
	v_or_b32_e32 v7, v9, v7
                                        ; implicit-def: $vgpr9
.LBB1175_79:
	s_and_not1_saveexec_b32 s1, s0
	s_cbranch_execz .LBB1175_83
; %bb.80:
	v_dual_add_nc_u32 v7, s17, v21 :: v_dual_add_nc_u32 v12, s19, v21
	s_mov_b32 s3, 0
	s_mov_b32 s4, exec_lo
	s_delay_alu instid0(VALU_DEP_1) | instskip(NEXT) | instid1(VALU_DEP_2)
	v_mul_lo_u32 v7, v7, s16
	v_mul_lo_u32 v12, v12, s18
	s_delay_alu instid0(VALU_DEP_1) | instskip(NEXT) | instid1(VALU_DEP_1)
	v_sub_nc_u32_e32 v7, v7, v12
	v_cmp_lt_u32_e32 vcc_lo, s20, v7
	v_cmpx_ge_u32_e64 s20, v7
	s_cbranch_execz .LBB1175_82
; %bb.81:
	v_dual_add_nc_u32 v7, s22, v21 :: v_dual_add_nc_u32 v12, s38, v21
	s_delay_alu instid0(VALU_DEP_1) | instskip(NEXT) | instid1(VALU_DEP_2)
	v_mul_lo_u32 v7, v7, s21
	v_mul_lo_u32 v12, v12, s23
	s_delay_alu instid0(VALU_DEP_1) | instskip(NEXT) | instid1(VALU_DEP_1)
	v_sub_nc_u32_e32 v7, v7, v12
	v_cmp_lt_u32_e64 s0, s39, v7
	s_and_b32 s3, s0, exec_lo
.LBB1175_82:
	s_or_b32 exec_lo, exec_lo, s4
	v_cndmask_b32_e64 v7, 0, 1, vcc_lo
	v_dual_lshrrev_b32 v12, 8, v8 :: v_dual_lshrrev_b32 v28, 16, v8
	v_cndmask_b32_e64 v13, 0, 1, s3
	v_lshlrev_b16 v11, 8, v11
	s_delay_alu instid0(VALU_DEP_4) | instskip(NEXT) | instid1(VALU_DEP_4)
	v_lshlrev_b16 v7, 8, v7
	v_lshlrev_b16 v12, 8, v12
	;; [unrolled: 1-line block ×3, first 2 shown]
	s_delay_alu instid0(VALU_DEP_4) | instskip(NEXT) | instid1(VALU_DEP_4)
	v_bitop3_b16 v10, v10, v11, 0xff bitop3:0xec
	v_bitop3_b16 v7, v28, v7, 0xff bitop3:0xec
	s_delay_alu instid0(VALU_DEP_4) | instskip(NEXT) | instid1(VALU_DEP_3)
	v_bitop3_b16 v8, v8, v12, 0xff bitop3:0xec
	v_dual_lshlrev_b32 v10, 16, v10 :: v_dual_bitop2_b32 v9, v13, v9 bitop3:0x54
	s_delay_alu instid0(VALU_DEP_3) | instskip(NEXT) | instid1(VALU_DEP_3)
	v_lshlrev_b32_e32 v7, 16, v7
	v_and_b32_e32 v8, 0xffff, v8
	s_delay_alu instid0(VALU_DEP_3) | instskip(NEXT) | instid1(VALU_DEP_2)
	v_and_b32_e32 v9, 0xffff, v9
	v_or_b32_e32 v38, v8, v7
	s_delay_alu instid0(VALU_DEP_2)
	v_or_b32_e32 v7, v9, v10
.LBB1175_83:
	s_or_b32 exec_lo, exec_lo, s1
	v_dual_add_nc_u32 v8, 8, v15 :: v_dual_lshrrev_b32 v13, 24, v6
	s_delay_alu instid0(VALU_DEP_2) | instskip(SKIP_1) | instid1(VALU_DEP_3)
	v_dual_lshrrev_b32 v9, 16, v7 :: v_dual_lshrrev_b32 v10, 24, v7
	v_dual_lshrrev_b32 v11, 16, v6 :: v_dual_lshrrev_b32 v12, 8, v6
	v_cmp_le_u32_e32 vcc_lo, s5, v8
                                        ; implicit-def: $vgpr6
                                        ; implicit-def: $vgpr8
	s_and_saveexec_b32 s0, vcc_lo
	s_delay_alu instid0(SALU_CYCLE_1)
	s_xor_b32 s0, exec_lo, s0
	s_cbranch_execz .LBB1175_85
; %bb.84:
	v_lshlrev_b16 v6, 8, v13
	v_lshlrev_b16 v8, 8, v12
	;; [unrolled: 1-line block ×3, first 2 shown]
	v_perm_b32 v1, v1, v1, 0x3060504
                                        ; implicit-def: $vgpr13
                                        ; implicit-def: $vgpr12
	s_delay_alu instid0(VALU_DEP_4) | instskip(NEXT) | instid1(VALU_DEP_4)
	v_bitop3_b16 v6, v11, v6, 0xff bitop3:0xec
	v_and_b32_e32 v8, 0xffff, v8
	s_delay_alu instid0(VALU_DEP_4) | instskip(NEXT) | instid1(VALU_DEP_3)
	v_bitop3_b16 v9, v9, v10, 0xff bitop3:0xec
                                        ; implicit-def: $vgpr10
                                        ; implicit-def: $vgpr11
	v_lshlrev_b32_e32 v6, 16, v6
	s_delay_alu instid0(VALU_DEP_1) | instskip(NEXT) | instid1(VALU_DEP_3)
	v_or_b32_e32 v8, v8, v6
	v_perm_b32 v6, v9, v7, 0x5040c00
                                        ; implicit-def: $vgpr7
                                        ; implicit-def: $vgpr9
.LBB1175_85:
	s_and_not1_saveexec_b32 s1, s0
	s_cbranch_execz .LBB1175_89
; %bb.86:
	v_dual_add_nc_u32 v6, s17, v18 :: v_dual_add_nc_u32 v8, s19, v18
	s_mov_b32 s3, 0
	s_mov_b32 s4, exec_lo
	s_delay_alu instid0(VALU_DEP_1) | instskip(NEXT) | instid1(VALU_DEP_2)
	v_mul_lo_u32 v6, v6, s16
	v_mul_lo_u32 v8, v8, s18
	s_delay_alu instid0(VALU_DEP_1) | instskip(NEXT) | instid1(VALU_DEP_1)
	v_sub_nc_u32_e32 v6, v6, v8
	v_cmp_lt_u32_e32 vcc_lo, s20, v6
	v_cmpx_ge_u32_e64 s20, v6
	s_cbranch_execz .LBB1175_88
; %bb.87:
	v_dual_add_nc_u32 v6, s22, v18 :: v_dual_add_nc_u32 v8, s38, v18
	s_delay_alu instid0(VALU_DEP_1) | instskip(NEXT) | instid1(VALU_DEP_2)
	v_mul_lo_u32 v6, v6, s21
	v_mul_lo_u32 v8, v8, s23
	s_delay_alu instid0(VALU_DEP_1) | instskip(NEXT) | instid1(VALU_DEP_1)
	v_sub_nc_u32_e32 v6, v6, v8
	v_cmp_lt_u32_e64 s0, s39, v6
	s_and_b32 s3, s0, exec_lo
.LBB1175_88:
	s_or_b32 exec_lo, exec_lo, s4
	v_cndmask_b32_e64 v6, 0, 1, s3
	v_cndmask_b32_e64 v8, 0, 1, vcc_lo
	v_lshlrev_b16 v13, 8, v13
	v_lshlrev_b16 v12, 8, v12
	;; [unrolled: 1-line block ×4, first 2 shown]
	s_delay_alu instid0(VALU_DEP_4) | instskip(NEXT) | instid1(VALU_DEP_4)
	v_bitop3_b16 v11, v11, v13, 0xff bitop3:0xec
	v_or_b32_e32 v8, v8, v12
	s_delay_alu instid0(VALU_DEP_4) | instskip(NEXT) | instid1(VALU_DEP_4)
	v_bitop3_b16 v9, v9, v10, 0xff bitop3:0xec
	v_bitop3_b16 v6, v7, v6, 0xff bitop3:0xec
	s_delay_alu instid0(VALU_DEP_4) | instskip(NEXT) | instid1(VALU_DEP_4)
	v_lshlrev_b32_e32 v7, 16, v11
	v_and_b32_e32 v8, 0xffff, v8
	s_delay_alu instid0(VALU_DEP_4) | instskip(NEXT) | instid1(VALU_DEP_4)
	v_lshlrev_b32_e32 v9, 16, v9
	v_and_b32_e32 v6, 0xffff, v6
	s_delay_alu instid0(VALU_DEP_3) | instskip(NEXT) | instid1(VALU_DEP_2)
	v_or_b32_e32 v8, v8, v7
	v_or_b32_e32 v6, v6, v9
.LBB1175_89:
	s_or_b32 exec_lo, exec_lo, s1
	s_delay_alu instid0(VALU_DEP_1) | instskip(NEXT) | instid1(VALU_DEP_3)
	v_dual_add_nc_u32 v7, 9, v15 :: v_dual_lshrrev_b32 v11, 8, v6
	v_dual_lshrrev_b32 v12, 24, v8 :: v_dual_lshrrev_b32 v10, 16, v8
                                        ; implicit-def: $vgpr9
	s_delay_alu instid0(VALU_DEP_2) | instskip(SKIP_1) | instid1(SALU_CYCLE_1)
	v_cmp_le_u32_e32 vcc_lo, s5, v7
                                        ; implicit-def: $vgpr7
	s_and_saveexec_b32 s0, vcc_lo
	s_xor_b32 s0, exec_lo, s0
	s_cbranch_execz .LBB1175_91
; %bb.90:
	v_lshlrev_b16 v7, 8, v11
	v_lshlrev_b16 v9, 8, v12
	v_perm_b32 v1, v1, v1, 0x3060504
                                        ; implicit-def: $vgpr11
                                        ; implicit-def: $vgpr12
	s_delay_alu instid0(VALU_DEP_3) | instskip(NEXT) | instid1(VALU_DEP_3)
	v_bitop3_b16 v7, v6, v7, 0xff bitop3:0xec
	v_bitop3_b16 v9, v10, v9, 0xff bitop3:0xec
                                        ; implicit-def: $vgpr10
	s_delay_alu instid0(VALU_DEP_2) | instskip(NEXT) | instid1(VALU_DEP_2)
	v_and_b32_e32 v7, 0xffff, v7
	v_perm_b32 v9, v9, v8, 0x5040c00
                                        ; implicit-def: $vgpr8
	s_delay_alu instid0(VALU_DEP_2)
	v_and_or_b32 v7, 0xff000000, v6, v7
                                        ; implicit-def: $vgpr6
.LBB1175_91:
	s_and_not1_saveexec_b32 s1, s0
	s_cbranch_execz .LBB1175_95
; %bb.92:
	v_dual_add_nc_u32 v7, s17, v19 :: v_dual_add_nc_u32 v9, s19, v19
	s_mov_b32 s3, 0
	s_mov_b32 s4, exec_lo
	s_delay_alu instid0(VALU_DEP_1) | instskip(NEXT) | instid1(VALU_DEP_2)
	v_mul_lo_u32 v7, v7, s16
	v_mul_lo_u32 v9, v9, s18
	s_delay_alu instid0(VALU_DEP_1) | instskip(NEXT) | instid1(VALU_DEP_1)
	v_sub_nc_u32_e32 v7, v7, v9
	v_cmp_lt_u32_e32 vcc_lo, s20, v7
	v_cmpx_ge_u32_e64 s20, v7
	s_cbranch_execz .LBB1175_94
; %bb.93:
	v_dual_add_nc_u32 v7, s22, v19 :: v_dual_add_nc_u32 v9, s38, v19
	s_delay_alu instid0(VALU_DEP_1) | instskip(NEXT) | instid1(VALU_DEP_2)
	v_mul_lo_u32 v7, v7, s21
	v_mul_lo_u32 v9, v9, s23
	s_delay_alu instid0(VALU_DEP_1) | instskip(NEXT) | instid1(VALU_DEP_1)
	v_sub_nc_u32_e32 v7, v7, v9
	v_cmp_lt_u32_e64 s0, s39, v7
	s_and_b32 s3, s0, exec_lo
.LBB1175_94:
	s_or_b32 exec_lo, exec_lo, s4
	v_cndmask_b32_e64 v7, 0, 1, vcc_lo
	v_lshrrev_b32_e32 v9, 24, v6
	v_cndmask_b32_e64 v13, 0, 1, s3
	v_lshlrev_b16 v12, 8, v12
	v_lshlrev_b16 v11, 8, v11
	;; [unrolled: 1-line block ×4, first 2 shown]
	s_delay_alu instid0(VALU_DEP_4) | instskip(NEXT) | instid1(VALU_DEP_4)
	v_bitop3_b16 v10, v10, v12, 0xff bitop3:0xec
	v_bitop3_b16 v6, v6, v11, 0xff bitop3:0xec
	s_delay_alu instid0(VALU_DEP_4) | instskip(NEXT) | instid1(VALU_DEP_3)
	v_bitop3_b16 v7, v8, v7, 0xff bitop3:0xec
	v_dual_lshlrev_b32 v9, 16, v10 :: v_dual_bitop2_b32 v8, v13, v9 bitop3:0x54
	s_delay_alu instid0(VALU_DEP_3) | instskip(NEXT) | instid1(VALU_DEP_3)
	v_and_b32_e32 v6, 0xffff, v6
	v_and_b32_e32 v7, 0xffff, v7
	s_delay_alu instid0(VALU_DEP_1) | instskip(NEXT) | instid1(VALU_DEP_1)
	v_dual_lshlrev_b32 v8, 16, v8 :: v_dual_bitop2_b32 v9, v7, v9 bitop3:0x54
	v_or_b32_e32 v7, v6, v8
.LBB1175_95:
	s_or_b32 exec_lo, exec_lo, s1
	s_delay_alu instid0(VALU_DEP_2) | instskip(NEXT) | instid1(VALU_DEP_1)
	v_dual_add_nc_u32 v6, 10, v15 :: v_dual_lshrrev_b32 v8, 8, v9
                                        ; implicit-def: $vgpr40
	v_cmp_le_u32_e32 vcc_lo, s5, v6
                                        ; implicit-def: $vgpr6
	s_and_saveexec_b32 s0, vcc_lo
	s_delay_alu instid0(SALU_CYCLE_1)
	s_xor_b32 s0, exec_lo, s0
	s_cbranch_execz .LBB1175_97
; %bb.96:
	v_lshlrev_b16 v6, 8, v8
	v_and_b32_e32 v8, 0xff0000, v7
	v_perm_b32 v1, v1, v1, 0x3060504
	s_delay_alu instid0(VALU_DEP_3) | instskip(NEXT) | instid1(VALU_DEP_3)
	v_bitop3_b16 v6, v9, v6, 0xff bitop3:0xec
	v_perm_b32 v40, v7, v8, 0x3020504
                                        ; implicit-def: $vgpr8
                                        ; implicit-def: $vgpr7
	s_delay_alu instid0(VALU_DEP_2) | instskip(NEXT) | instid1(VALU_DEP_1)
	v_and_b32_e32 v6, 0xffff, v6
	v_and_or_b32 v6, 0xff000000, v9, v6
                                        ; implicit-def: $vgpr9
.LBB1175_97:
	s_and_not1_saveexec_b32 s1, s0
	s_cbranch_execz .LBB1175_101
; %bb.98:
	v_dual_add_nc_u32 v6, s17, v16 :: v_dual_add_nc_u32 v10, s19, v16
	s_mov_b32 s3, 0
	s_mov_b32 s4, exec_lo
	s_delay_alu instid0(VALU_DEP_1) | instskip(NEXT) | instid1(VALU_DEP_2)
	v_mul_lo_u32 v6, v6, s16
	v_mul_lo_u32 v10, v10, s18
	s_delay_alu instid0(VALU_DEP_1) | instskip(NEXT) | instid1(VALU_DEP_1)
	v_sub_nc_u32_e32 v6, v6, v10
	v_cmp_lt_u32_e32 vcc_lo, s20, v6
	v_cmpx_ge_u32_e64 s20, v6
	s_cbranch_execz .LBB1175_100
; %bb.99:
	v_dual_add_nc_u32 v6, s22, v16 :: v_dual_add_nc_u32 v10, s38, v16
	s_delay_alu instid0(VALU_DEP_1) | instskip(NEXT) | instid1(VALU_DEP_2)
	v_mul_lo_u32 v6, v6, s21
	v_mul_lo_u32 v10, v10, s23
	s_delay_alu instid0(VALU_DEP_1) | instskip(NEXT) | instid1(VALU_DEP_1)
	v_sub_nc_u32_e32 v6, v6, v10
	v_cmp_lt_u32_e64 s0, s39, v6
	s_and_b32 s3, s0, exec_lo
.LBB1175_100:
	s_or_b32 exec_lo, exec_lo, s4
	v_dual_lshrrev_b32 v6, 24, v9 :: v_dual_lshrrev_b32 v12, 8, v7
	v_cndmask_b32_e64 v10, 0, 1, s3
	v_cndmask_b32_e64 v11, 0, 1, vcc_lo
	v_lshlrev_b16 v8, 8, v8
	s_delay_alu instid0(VALU_DEP_4)
	v_lshlrev_b16 v6, 8, v6
	v_lshrrev_b32_e32 v13, 16, v7
	v_lshlrev_b16 v10, 8, v10
	v_lshlrev_b16 v12, 8, v12
	v_bitop3_b16 v8, v9, v8, 0xff bitop3:0xec
	v_or_b32_e32 v6, v11, v6
	s_delay_alu instid0(VALU_DEP_4) | instskip(NEXT) | instid1(VALU_DEP_4)
	v_bitop3_b16 v9, v13, v10, 0xff bitop3:0xec
	v_bitop3_b16 v7, v7, v12, 0xff bitop3:0xec
	s_delay_alu instid0(VALU_DEP_4) | instskip(NEXT) | instid1(VALU_DEP_3)
	v_and_b32_e32 v8, 0xffff, v8
	v_dual_lshlrev_b32 v6, 16, v6 :: v_dual_lshlrev_b32 v9, 16, v9
	s_delay_alu instid0(VALU_DEP_3) | instskip(NEXT) | instid1(VALU_DEP_2)
	v_and_b32_e32 v7, 0xffff, v7
	v_or_b32_e32 v6, v8, v6
	s_delay_alu instid0(VALU_DEP_2)
	v_or_b32_e32 v40, v7, v9
.LBB1175_101:
	s_or_b32 exec_lo, exec_lo, s1
	v_dual_add_nc_u32 v7, 11, v15 :: v_dual_mov_b32 v39, 0
	s_mov_b32 s0, exec_lo
                                        ; implicit-def: $vgpr41
	s_delay_alu instid0(VALU_DEP_1)
	v_cmpx_le_u32_e64 s5, v7
	s_xor_b32 s0, exec_lo, s0
; %bb.102:
	v_and_b32_e32 v7, 0xff0000, v6
	v_perm_b32 v1, v1, v1, 0x3060504
	s_delay_alu instid0(VALU_DEP_2)
	v_perm_b32 v41, v6, v7, 0x3020504
                                        ; implicit-def: $vgpr6
; %bb.103:
	s_and_not1_saveexec_b32 s1, s0
	s_cbranch_execz .LBB1175_107
; %bb.104:
	v_dual_add_nc_u32 v7, s17, v17 :: v_dual_add_nc_u32 v8, s19, v17
	s_mov_b32 s3, 0
	s_mov_b32 s4, exec_lo
	s_delay_alu instid0(VALU_DEP_1) | instskip(NEXT) | instid1(VALU_DEP_2)
	v_mul_lo_u32 v7, v7, s16
	v_mul_lo_u32 v8, v8, s18
	s_delay_alu instid0(VALU_DEP_1) | instskip(NEXT) | instid1(VALU_DEP_1)
	v_sub_nc_u32_e32 v7, v7, v8
	v_cmp_lt_u32_e32 vcc_lo, s20, v7
	v_cmpx_ge_u32_e64 s20, v7
	s_cbranch_execz .LBB1175_106
; %bb.105:
	v_dual_add_nc_u32 v7, s22, v17 :: v_dual_add_nc_u32 v8, s38, v17
	s_delay_alu instid0(VALU_DEP_1) | instskip(NEXT) | instid1(VALU_DEP_2)
	v_mul_lo_u32 v7, v7, s21
	v_mul_lo_u32 v8, v8, s23
	s_delay_alu instid0(VALU_DEP_1) | instskip(NEXT) | instid1(VALU_DEP_1)
	v_sub_nc_u32_e32 v7, v7, v8
	v_cmp_lt_u32_e64 s0, s39, v7
	s_and_b32 s3, s0, exec_lo
.LBB1175_106:
	s_or_b32 exec_lo, exec_lo, s4
	v_cndmask_b32_e64 v7, 0, 1, vcc_lo
	v_dual_lshrrev_b32 v8, 8, v6 :: v_dual_lshrrev_b32 v9, 16, v6
	v_cndmask_b32_e64 v39, 0, 1, s3
	s_delay_alu instid0(VALU_DEP_3) | instskip(NEXT) | instid1(VALU_DEP_3)
	v_lshlrev_b16 v7, 8, v7
	v_lshlrev_b16 v8, 8, v8
	s_delay_alu instid0(VALU_DEP_2) | instskip(NEXT) | instid1(VALU_DEP_2)
	v_bitop3_b16 v7, v9, v7, 0xff bitop3:0xec
	v_bitop3_b16 v6, v6, v8, 0xff bitop3:0xec
	s_delay_alu instid0(VALU_DEP_2) | instskip(NEXT) | instid1(VALU_DEP_2)
	v_lshlrev_b32_e32 v7, 16, v7
	v_and_b32_e32 v6, 0xffff, v6
	s_delay_alu instid0(VALU_DEP_1)
	v_or_b32_e32 v41, v6, v7
.LBB1175_107:
	s_or_b32 exec_lo, exec_lo, s1
	v_dual_add_nc_u32 v8, 12, v15 :: v_dual_lshrrev_b32 v6, 8, v1
	v_dual_lshrrev_b32 v7, 16, v1 :: v_dual_lshrrev_b32 v1, 24, v1
	s_mov_b32 s0, exec_lo
                                        ; implicit-def: $vgpr42
	s_delay_alu instid0(VALU_DEP_2)
	v_cmpx_le_u32_e64 s5, v8
	s_xor_b32 s0, exec_lo, s0
; %bb.108:
	s_delay_alu instid0(VALU_DEP_2) | instskip(SKIP_1) | instid1(VALU_DEP_2)
	v_lshlrev_b16 v1, 8, v1
	v_lshlrev_b16 v6, 8, v6
	v_bitop3_b16 v1, v7, v1, 0xff bitop3:0xec
	s_delay_alu instid0(VALU_DEP_2) | instskip(NEXT) | instid1(VALU_DEP_2)
	v_and_b32_e32 v6, 0xffff, v6
                                        ; implicit-def: $vgpr7
	v_lshlrev_b32_e32 v1, 16, v1
	s_delay_alu instid0(VALU_DEP_1)
	v_or_b32_e32 v42, v6, v1
                                        ; implicit-def: $vgpr1
                                        ; implicit-def: $vgpr6
; %bb.109:
	s_or_saveexec_b32 s1, s0
	v_mov_b32_e32 v43, 0
	s_xor_b32 exec_lo, exec_lo, s1
	s_cbranch_execz .LBB1175_113
; %bb.110:
	v_dual_add_nc_u32 v8, s19, v34 :: v_dual_add_nc_u32 v9, s17, v34
	s_mov_b32 s3, 0
	s_mov_b32 s4, exec_lo
	s_delay_alu instid0(VALU_DEP_1) | instskip(NEXT) | instid1(VALU_DEP_2)
	v_mul_lo_u32 v8, v8, s18
	v_mul_lo_u32 v9, v9, s16
	s_delay_alu instid0(VALU_DEP_1) | instskip(NEXT) | instid1(VALU_DEP_1)
	v_sub_nc_u32_e32 v8, v9, v8
	v_cmp_lt_u32_e32 vcc_lo, s20, v8
	v_cmpx_ge_u32_e64 s20, v8
	s_cbranch_execz .LBB1175_112
; %bb.111:
	v_dual_add_nc_u32 v8, s38, v34 :: v_dual_add_nc_u32 v9, s22, v34
	s_delay_alu instid0(VALU_DEP_1) | instskip(NEXT) | instid1(VALU_DEP_2)
	v_mul_lo_u32 v8, v8, s23
	v_mul_lo_u32 v9, v9, s21
	s_delay_alu instid0(VALU_DEP_1) | instskip(NEXT) | instid1(VALU_DEP_1)
	v_sub_nc_u32_e32 v8, v9, v8
	v_cmp_lt_u32_e64 s0, s39, v8
	s_and_b32 s3, s0, exec_lo
.LBB1175_112:
	s_or_b32 exec_lo, exec_lo, s4
	v_cndmask_b32_e64 v8, 0, 1, vcc_lo
	v_lshlrev_b16 v1, 8, v1
	v_lshlrev_b16 v6, 8, v6
	v_cndmask_b32_e64 v43, 0, 1, s3
	s_delay_alu instid0(VALU_DEP_3) | instskip(NEXT) | instid1(VALU_DEP_1)
	v_bitop3_b16 v1, v7, v1, 0xff bitop3:0xec
	v_dual_lshlrev_b32 v1, 16, v1 :: v_dual_bitop2_b32 v6, v8, v6 bitop3:0x54
	s_delay_alu instid0(VALU_DEP_1) | instskip(NEXT) | instid1(VALU_DEP_1)
	v_and_b32_e32 v6, 0xffff, v6
	v_or_b32_e32 v42, v6, v1
.LBB1175_113:
	s_or_b32 exec_lo, exec_lo, s1
.LBB1175_114:
	v_and_b32_e32 v66, 0xff, v36
	s_delay_alu instid0(VALU_DEP_2)
	v_bfe_u32 v67, v42, 8, 8
	v_bfe_u32 v64, v36, 8, 8
	;; [unrolled: 1-line block ×4, first 2 shown]
	v_dual_lshrrev_b32 v49, 24, v42 :: v_dual_lshrrev_b32 v48, 24, v36
	v_and_b32_e32 v62, 0xff, v37
	v_and_b32_e32 v60, 0xff, v38
	v_bfe_u32 v61, v37, 8, 8
	v_add3_u32 v1, v64, v66, v63
	v_add3_u32 v6, v65, v67, v49
	v_bfe_u32 v58, v38, 8, 8
	v_bfe_u32 v59, v37, 16, 8
	;; [unrolled: 1-line block ×3, first 2 shown]
	v_dual_lshrrev_b32 v47, 24, v37 :: v_dual_lshrrev_b32 v46, 24, v38
	v_add3_u32 v1, v1, v48, v60
	v_add3_u32 v6, v6, v62, v61
	v_and_b32_e32 v57, 0xff, v40
	v_and_b32_e32 v53, 0xff, v41
	v_bfe_u32 v55, v40, 8, 8
	v_add3_u32 v1, v1, v58, v56
	v_add3_u32 v6, v6, v59, v47
	v_bfe_u32 v52, v41, 8, 8
	v_bfe_u32 v54, v40, 16, 8
	;; [unrolled: 1-line block ×3, first 2 shown]
	v_dual_lshrrev_b32 v45, 24, v40 :: v_dual_lshrrev_b32 v44, 24, v41
	v_add3_u32 v1, v1, v46, v53
	v_add3_u32 v6, v6, v57, v55
	v_mbcnt_lo_u32_b32 v68, -1, 0
	v_and_b32_e32 v50, 0xff, v39
	v_and_b32_e32 v7, 0xff, v42
	v_and_b32_e32 v8, 0xff, v43
	v_add3_u32 v1, v1, v52, v51
	v_add3_u32 v6, v6, v54, v45
	v_and_b32_e32 v70, 15, v68
	v_and_b32_e32 v72, 16, v68
	v_dual_lshrrev_b32 v69, 5, v0 :: v_dual_bitop2_b32 v71, 31, v0 bitop3:0x54
	v_add3_u32 v73, v1, v44, v7
	v_add3_u32 v74, v6, v50, v8
	v_cmp_eq_u32_e64 s1, 0, v70
	v_cmp_lt_u32_e64 s0, 1, v70
	v_cmp_lt_u32_e64 s3, 3, v70
	s_cmp_lg_u32 s27, 0
	s_mov_b32 s4, -1
	v_cmp_lt_u32_e32 vcc_lo, 7, v70
	s_cbranch_scc0 .LBB1175_135
; %bb.115:
	v_mov_b32_dpp v1, v74 row_shr:1 row_mask:0xf bank_mask:0xf
	v_mov_b32_dpp v6, v73 row_shr:1 row_mask:0xf bank_mask:0xf
	s_mov_b32 s4, exec_lo
	s_delay_alu instid0(VALU_DEP_1) | instskip(NEXT) | instid1(VALU_DEP_1)
	v_dual_add_nc_u32 v1, v1, v74 :: v_dual_add_nc_u32 v6, v6, v73
	v_dual_cndmask_b32 v1, v1, v74, s1 :: v_dual_cndmask_b32 v6, v6, v73, s1
	s_delay_alu instid0(VALU_DEP_1) | instskip(NEXT) | instid1(VALU_DEP_2)
	v_mov_b32_dpp v7, v1 row_shr:2 row_mask:0xf bank_mask:0xf
	v_mov_b32_dpp v8, v6 row_shr:2 row_mask:0xf bank_mask:0xf
	s_delay_alu instid0(VALU_DEP_1) | instskip(NEXT) | instid1(VALU_DEP_1)
	v_dual_add_nc_u32 v7, v1, v7 :: v_dual_add_nc_u32 v8, v6, v8
	v_dual_cndmask_b32 v1, v1, v7, s0 :: v_dual_cndmask_b32 v6, v6, v8, s0
	s_delay_alu instid0(VALU_DEP_1) | instskip(NEXT) | instid1(VALU_DEP_2)
	v_mov_b32_dpp v7, v1 row_shr:4 row_mask:0xf bank_mask:0xf
	v_mov_b32_dpp v8, v6 row_shr:4 row_mask:0xf bank_mask:0xf
	;; [unrolled: 6-line block ×3, first 2 shown]
	s_delay_alu instid0(VALU_DEP_1) | instskip(NEXT) | instid1(VALU_DEP_1)
	v_dual_add_nc_u32 v7, v1, v7 :: v_dual_add_nc_u32 v8, v6, v8
	v_dual_cndmask_b32 v1, v1, v7 :: v_dual_cndmask_b32 v6, v6, v8
	v_cmp_eq_u32_e32 vcc_lo, 0, v72
	ds_swizzle_b32 v7, v1 offset:swizzle(BROADCAST,32,15)
	ds_swizzle_b32 v8, v6 offset:swizzle(BROADCAST,32,15)
	s_wait_dscnt 0x0
	v_dual_add_nc_u32 v7, v1, v7 :: v_dual_add_nc_u32 v8, v6, v8
	v_cmpx_eq_u32_e64 v0, v71
; %bb.116:
	s_delay_alu instid0(VALU_DEP_2) | instskip(NEXT) | instid1(VALU_DEP_3)
	v_dual_cndmask_b32 v10, v8, v6 :: v_dual_lshlrev_b32 v9, 3, v69
	v_cndmask_b32_e32 v11, v7, v1, vcc_lo
	ds_store_b64 v9, v[10:11]
; %bb.117:
	s_or_b32 exec_lo, exec_lo, s4
	s_delay_alu instid0(SALU_CYCLE_1)
	s_mov_b32 s4, exec_lo
	s_wait_dscnt 0x0
	s_barrier_signal -1
	s_barrier_wait -1
	v_cmpx_gt_u32_e32 8, v0
	s_cbranch_execz .LBB1175_119
; %bb.118:
	v_lshlrev_b32_e32 v9, 3, v0
	ds_load_b64 v[10:11], v9
	s_wait_dscnt 0x0
	v_mov_b32_dpp v12, v10 row_shr:1 row_mask:0xf bank_mask:0xf
	v_mov_b32_dpp v13, v11 row_shr:1 row_mask:0xf bank_mask:0xf
	s_delay_alu instid0(VALU_DEP_2) | instskip(NEXT) | instid1(VALU_DEP_2)
	v_dual_add_nc_u32 v12, v12, v10 :: v_dual_bitop2_b32 v28, 7, v68 bitop3:0x40
	v_add_nc_u32_e32 v13, v13, v11
	s_delay_alu instid0(VALU_DEP_2) | instskip(NEXT) | instid1(VALU_DEP_1)
	v_cmp_eq_u32_e64 s3, 0, v28
	v_dual_cndmask_b32 v11, v13, v11, s3 :: v_dual_cndmask_b32 v10, v12, v10, s3
	v_cmp_lt_u32_e64 s3, 1, v28
	s_delay_alu instid0(VALU_DEP_2) | instskip(NEXT) | instid1(VALU_DEP_3)
	v_mov_b32_dpp v13, v11 row_shr:2 row_mask:0xf bank_mask:0xf
	v_mov_b32_dpp v12, v10 row_shr:2 row_mask:0xf bank_mask:0xf
	s_delay_alu instid0(VALU_DEP_1) | instskip(NEXT) | instid1(VALU_DEP_1)
	v_dual_add_nc_u32 v13, v11, v13 :: v_dual_add_nc_u32 v12, v10, v12
	v_dual_cndmask_b32 v11, v11, v13, s3 :: v_dual_cndmask_b32 v10, v10, v12, s3
	v_cmp_lt_u32_e64 s3, 3, v28
	s_delay_alu instid0(VALU_DEP_2) | instskip(NEXT) | instid1(VALU_DEP_3)
	v_mov_b32_dpp v13, v11 row_shr:4 row_mask:0xf bank_mask:0xf
	v_mov_b32_dpp v12, v10 row_shr:4 row_mask:0xf bank_mask:0xf
	s_delay_alu instid0(VALU_DEP_1) | instskip(NEXT) | instid1(VALU_DEP_1)
	v_dual_cndmask_b32 v13, 0, v13, s3 :: v_dual_cndmask_b32 v12, 0, v12, s3
	v_dual_add_nc_u32 v11, v13, v11 :: v_dual_add_nc_u32 v10, v12, v10
	ds_store_b64 v9, v[10:11]
.LBB1175_119:
	s_or_b32 exec_lo, exec_lo, s4
	v_dual_cndmask_b32 v1, v7, v1 :: v_dual_cndmask_b32 v6, v8, v6
	s_mov_b32 s4, exec_lo
	v_cmp_gt_u32_e32 vcc_lo, 32, v0
	s_wait_dscnt 0x0
	s_barrier_signal -1
	s_barrier_wait -1
                                        ; implicit-def: $vgpr28
	v_cmpx_lt_u32_e32 31, v0
	s_cbranch_execz .LBB1175_121
; %bb.120:
	v_lshl_add_u32 v7, v69, 3, -8
	ds_load_b64 v[28:29], v7
	s_wait_dscnt 0x0
	v_dual_add_nc_u32 v1, v29, v1 :: v_dual_add_nc_u32 v6, v28, v6
.LBB1175_121:
	s_or_b32 exec_lo, exec_lo, s4
	v_sub_co_u32 v7, s3, v68, 1
	s_delay_alu instid0(VALU_DEP_1) | instskip(NEXT) | instid1(VALU_DEP_1)
	v_cmp_gt_i32_e64 s4, 0, v7
	v_cndmask_b32_e64 v7, v7, v68, s4
	s_delay_alu instid0(VALU_DEP_1)
	v_lshlrev_b32_e32 v7, 2, v7
	ds_bpermute_b32 v75, v7, v6
	ds_bpermute_b32 v1, v7, v1
	s_and_saveexec_b32 s4, vcc_lo
	s_cbranch_execz .LBB1175_140
; %bb.122:
	v_mov_b32_e32 v9, 0
	ds_load_b64 v[6:7], v9 offset:56
	s_and_saveexec_b32 s6, s3
	s_cbranch_execz .LBB1175_124
; %bb.123:
	s_add_co_i32 s8, s27, 32
	s_mov_b32 s9, 0
	v_mov_b32_e32 v8, 1
	s_lshl_b64 s[8:9], s[8:9], 4
	s_delay_alu instid0(SALU_CYCLE_1) | instskip(NEXT) | instid1(SALU_CYCLE_1)
	s_add_nc_u64 s[8:9], s[36:37], s[8:9]
	v_mov_b64_e32 v[10:11], s[8:9]
	s_wait_dscnt 0x0
	;;#ASMSTART
	global_store_b128 v[10:11], v[6:9] off scope:SCOPE_DEV	
s_wait_storecnt 0x0
	;;#ASMEND
.LBB1175_124:
	s_or_b32 exec_lo, exec_lo, s6
	v_xad_u32 v30, v68, -1, s27
	s_mov_b32 s7, 0
	s_mov_b32 s6, exec_lo
	s_delay_alu instid0(VALU_DEP_1) | instskip(NEXT) | instid1(VALU_DEP_1)
	v_add_nc_u32_e32 v8, 32, v30
	v_lshl_add_u64 v[8:9], v[8:9], 4, s[36:37]
	;;#ASMSTART
	global_load_b128 v[10:13], v[8:9] off scope:SCOPE_DEV	
s_wait_loadcnt 0x0
	;;#ASMEND
	v_and_b32_e32 v13, 0xff, v12
	s_delay_alu instid0(VALU_DEP_1)
	v_cmpx_eq_u16_e32 0, v13
	s_cbranch_execz .LBB1175_127
.LBB1175_125:                           ; =>This Inner Loop Header: Depth=1
	;;#ASMSTART
	global_load_b128 v[10:13], v[8:9] off scope:SCOPE_DEV	
s_wait_loadcnt 0x0
	;;#ASMEND
	v_and_b32_e32 v13, 0xff, v12
	s_delay_alu instid0(VALU_DEP_1) | instskip(SKIP_1) | instid1(SALU_CYCLE_1)
	v_cmp_ne_u16_e32 vcc_lo, 0, v13
	s_or_b32 s7, vcc_lo, s7
	s_and_not1_b32 exec_lo, exec_lo, s7
	s_cbranch_execnz .LBB1175_125
; %bb.126:
	s_or_b32 exec_lo, exec_lo, s7
.LBB1175_127:
	s_delay_alu instid0(SALU_CYCLE_1) | instskip(SKIP_4) | instid1(VALU_DEP_1)
	s_or_b32 exec_lo, exec_lo, s6
	v_cmp_ne_u32_e32 vcc_lo, 31, v68
	v_lshlrev_b32_e64 v77, v68, -1
	v_lshl_or_b32 v84, v68, 2, 64
	v_add_co_ci_u32_e64 v8, null, 0, v68, vcc_lo
	v_lshlrev_b32_e32 v76, 2, v8
	v_and_b32_e32 v8, 0xff, v12
	s_delay_alu instid0(VALU_DEP_1)
	v_cmp_eq_u16_e32 vcc_lo, 2, v8
	v_and_b32_e32 v13, vcc_lo, v77
	ds_bpermute_b32 v9, v76, v11
	ds_bpermute_b32 v8, v76, v10
	v_cmp_gt_u32_e32 vcc_lo, 30, v68
	v_or_b32_e32 v13, 0x80000000, v13
	v_cndmask_b32_e64 v31, 0, 2, vcc_lo
	s_delay_alu instid0(VALU_DEP_2) | instskip(NEXT) | instid1(VALU_DEP_2)
	v_ctz_i32_b32_e32 v13, v13
	v_add_lshl_u32 v78, v31, v68, 2
	s_delay_alu instid0(VALU_DEP_2) | instskip(SKIP_2) | instid1(VALU_DEP_1)
	v_cmp_lt_u32_e32 vcc_lo, v68, v13
	s_wait_dscnt 0x0
	v_dual_add_nc_u32 v9, v9, v11 :: v_dual_add_nc_u32 v8, v8, v10
	v_dual_cndmask_b32 v9, v11, v9 :: v_dual_cndmask_b32 v8, v10, v8
	v_cmp_gt_u32_e32 vcc_lo, 28, v68
	ds_bpermute_b32 v10, v78, v9
	ds_bpermute_b32 v11, v78, v8
	v_add_nc_u32_e32 v79, 2, v68
	v_cndmask_b32_e64 v31, 0, 4, vcc_lo
	s_delay_alu instid0(VALU_DEP_1) | instskip(SKIP_4) | instid1(VALU_DEP_2)
	v_add_lshl_u32 v80, v31, v68, 2
	s_wait_dscnt 0x1
	v_add_nc_u32_e32 v10, v9, v10
	v_cmp_gt_u32_e32 vcc_lo, v79, v13
	s_wait_dscnt 0x0
	v_dual_add_nc_u32 v11, v8, v11 :: v_dual_cndmask_b32 v9, v10, v9, vcc_lo
	ds_bpermute_b32 v10, v80, v9
	v_cndmask_b32_e32 v8, v11, v8, vcc_lo
	v_cmp_gt_u32_e32 vcc_lo, 24, v68
	v_cndmask_b32_e64 v31, 0, 8, vcc_lo
	s_delay_alu instid0(VALU_DEP_1)
	v_add_lshl_u32 v82, v31, v68, 2
	s_wait_dscnt 0x0
	v_dual_mov_b32 v31, 0 :: v_dual_add_nc_u32 v10, v9, v10
	ds_bpermute_b32 v11, v80, v8
	s_wait_dscnt 0x0
	v_dual_add_nc_u32 v81, 4, v68 :: v_dual_add_nc_u32 v11, v8, v11
	s_delay_alu instid0(VALU_DEP_1) | instskip(NEXT) | instid1(VALU_DEP_2)
	v_cmp_gt_u32_e32 vcc_lo, v81, v13
	v_dual_cndmask_b32 v9, v10, v9 :: v_dual_cndmask_b32 v8, v11, v8
	ds_bpermute_b32 v10, v82, v9
	ds_bpermute_b32 v11, v82, v8
	s_wait_dscnt 0x1
	v_dual_add_nc_u32 v83, 8, v68 :: v_dual_add_nc_u32 v10, v9, v10
	s_delay_alu instid0(VALU_DEP_1) | instskip(SKIP_1) | instid1(VALU_DEP_2)
	v_cmp_gt_u32_e32 vcc_lo, v83, v13
	s_wait_dscnt 0x0
	v_dual_add_nc_u32 v11, v8, v11 :: v_dual_cndmask_b32 v9, v10, v9, vcc_lo
	s_delay_alu instid0(VALU_DEP_1) | instskip(SKIP_3) | instid1(VALU_DEP_1)
	v_cndmask_b32_e32 v8, v11, v8, vcc_lo
	ds_bpermute_b32 v11, v84, v9
	ds_bpermute_b32 v10, v84, v8
	v_add_nc_u32_e32 v85, 16, v68
	v_cmp_le_u32_e32 vcc_lo, v85, v13
	s_wait_dscnt 0x0
	v_dual_cndmask_b32 v11, 0, v11 :: v_dual_cndmask_b32 v10, 0, v10
	s_delay_alu instid0(VALU_DEP_1)
	v_dual_add_nc_u32 v11, v11, v9 :: v_dual_add_nc_u32 v10, v10, v8
	s_branch .LBB1175_131
.LBB1175_128:                           ;   in Loop: Header=BB1175_131 Depth=1
	s_or_b32 exec_lo, exec_lo, s7
.LBB1175_129:                           ;   in Loop: Header=BB1175_131 Depth=1
	s_delay_alu instid0(SALU_CYCLE_1)
	s_or_b32 exec_lo, exec_lo, s6
	ds_bpermute_b32 v13, v76, v10
	ds_bpermute_b32 v32, v76, v11
	v_and_b32_e32 v33, 0xff, v12
	v_subrev_nc_u32_e32 v30, 32, v30
	s_mov_b32 s6, 0
	s_delay_alu instid0(VALU_DEP_2) | instskip(SKIP_1) | instid1(VALU_DEP_1)
	v_cmp_eq_u16_e32 vcc_lo, 2, v33
	v_and_or_b32 v33, vcc_lo, v77, 0x80000000
	v_ctz_i32_b32_e32 v33, v33
	s_wait_dscnt 0x0
	v_dual_add_nc_u32 v13, v13, v10 :: v_dual_add_nc_u32 v32, v32, v11
	s_delay_alu instid0(VALU_DEP_2) | instskip(NEXT) | instid1(VALU_DEP_2)
	v_cmp_lt_u32_e32 vcc_lo, v68, v33
	v_dual_cndmask_b32 v11, v11, v32 :: v_dual_cndmask_b32 v10, v10, v13
	v_cmp_gt_u32_e32 vcc_lo, v79, v33
	ds_bpermute_b32 v32, v78, v11
	ds_bpermute_b32 v13, v78, v10
	s_wait_dscnt 0x0
	v_dual_add_nc_u32 v32, v11, v32 :: v_dual_add_nc_u32 v13, v10, v13
	s_delay_alu instid0(VALU_DEP_1)
	v_dual_cndmask_b32 v11, v32, v11 :: v_dual_cndmask_b32 v10, v13, v10
	v_cmp_gt_u32_e32 vcc_lo, v81, v33
	ds_bpermute_b32 v32, v80, v11
	ds_bpermute_b32 v13, v80, v10
	s_wait_dscnt 0x0
	v_dual_add_nc_u32 v32, v11, v32 :: v_dual_add_nc_u32 v13, v10, v13
	s_delay_alu instid0(VALU_DEP_1)
	;; [unrolled: 7-line block ×3, first 2 shown]
	v_dual_cndmask_b32 v11, v32, v11 :: v_dual_cndmask_b32 v10, v13, v10
	v_cmp_le_u32_e32 vcc_lo, v85, v33
	ds_bpermute_b32 v32, v84, v11
	ds_bpermute_b32 v13, v84, v10
	s_wait_dscnt 0x0
	v_dual_cndmask_b32 v32, 0, v32 :: v_dual_cndmask_b32 v13, 0, v13
	s_delay_alu instid0(VALU_DEP_1) | instskip(NEXT) | instid1(VALU_DEP_2)
	v_add3_u32 v11, v11, v9, v32
	v_add3_u32 v10, v10, v8, v13
.LBB1175_130:                           ;   in Loop: Header=BB1175_131 Depth=1
	s_and_b32 vcc_lo, exec_lo, s6
	s_cbranch_vccnz .LBB1175_136
.LBB1175_131:                           ; =>This Loop Header: Depth=1
                                        ;     Child Loop BB1175_134 Depth 2
	v_and_b32_e32 v8, 0xff, v12
	s_mov_b32 s6, -1
                                        ; implicit-def: $vgpr12
	s_delay_alu instid0(VALU_DEP_1)
	v_cmp_ne_u16_e32 vcc_lo, 2, v8
	v_mov_b64_e32 v[8:9], v[10:11]
                                        ; implicit-def: $vgpr10_vgpr11
	s_cmp_lg_u32 vcc_lo, exec_lo
	s_cbranch_scc1 .LBB1175_130
; %bb.132:                              ;   in Loop: Header=BB1175_131 Depth=1
	v_lshl_add_u64 v[32:33], v[30:31], 4, s[36:37]
	;;#ASMSTART
	global_load_b128 v[10:13], v[32:33] off scope:SCOPE_DEV	
s_wait_loadcnt 0x0
	;;#ASMEND
	v_and_b32_e32 v13, 0xff, v12
	s_mov_b32 s6, exec_lo
	s_delay_alu instid0(VALU_DEP_1)
	v_cmpx_eq_u16_e32 0, v13
	s_cbranch_execz .LBB1175_129
; %bb.133:                              ;   in Loop: Header=BB1175_131 Depth=1
	s_mov_b32 s7, 0
.LBB1175_134:                           ;   Parent Loop BB1175_131 Depth=1
                                        ; =>  This Inner Loop Header: Depth=2
	;;#ASMSTART
	global_load_b128 v[10:13], v[32:33] off scope:SCOPE_DEV	
s_wait_loadcnt 0x0
	;;#ASMEND
	v_and_b32_e32 v13, 0xff, v12
	s_delay_alu instid0(VALU_DEP_1) | instskip(SKIP_1) | instid1(SALU_CYCLE_1)
	v_cmp_ne_u16_e32 vcc_lo, 0, v13
	s_or_b32 s7, vcc_lo, s7
	s_and_not1_b32 exec_lo, exec_lo, s7
	s_cbranch_execnz .LBB1175_134
	s_branch .LBB1175_128
.LBB1175_135:
                                        ; implicit-def: $vgpr1
                                        ; implicit-def: $vgpr8
                                        ; implicit-def: $vgpr10
                                        ; implicit-def: $vgpr12
                                        ; implicit-def: $vgpr28
	s_and_b32 vcc_lo, exec_lo, s4
	s_cbranch_vccnz .LBB1175_141
	s_branch .LBB1175_150
.LBB1175_136:
	s_and_saveexec_b32 s6, s3
	s_cbranch_execz .LBB1175_138
; %bb.137:
	s_add_co_i32 s8, s27, 32
	s_mov_b32 s9, 0
	v_dual_mov_b32 v12, 2 :: v_dual_mov_b32 v13, 0
	s_lshl_b64 s[8:9], s[8:9], 4
	v_dual_add_nc_u32 v11, v9, v7 :: v_dual_add_nc_u32 v10, v8, v6
	s_add_nc_u64 s[8:9], s[36:37], s[8:9]
	s_delay_alu instid0(SALU_CYCLE_1)
	v_mov_b64_e32 v[30:31], s[8:9]
	;;#ASMSTART
	global_store_b128 v[30:31], v[10:13] off scope:SCOPE_DEV	
s_wait_storecnt 0x0
	;;#ASMEND
	ds_store_b128 v13, v[6:9] offset:13312
.LBB1175_138:
	s_or_b32 exec_lo, exec_lo, s6
	s_delay_alu instid0(SALU_CYCLE_1)
	s_and_b32 exec_lo, exec_lo, s2
; %bb.139:
	v_mov_b32_e32 v6, 0
	ds_store_b64 v6, v[8:9] offset:56
.LBB1175_140:
	s_or_b32 exec_lo, exec_lo, s4
	s_wait_dscnt 0x0
	v_dual_mov_b32 v6, 0 :: v_dual_cndmask_b32 v1, v1, v29, s3
	s_barrier_signal -1
	s_barrier_wait -1
	ds_load_b64 v[12:13], v6 offset:56
	s_wait_dscnt 0x0
	s_barrier_signal -1
	s_barrier_wait -1
	ds_load_b128 v[6:9], v6 offset:13312
	v_cndmask_b32_e64 v10, v75, v28, s3
	s_delay_alu instid0(VALU_DEP_1) | instskip(SKIP_2) | instid1(VALU_DEP_2)
	v_dual_add_nc_u32 v1, v13, v1 :: v_dual_add_nc_u32 v11, v12, v10
	s_wait_dscnt 0x0
	v_mov_b32_e32 v10, v9
	v_dual_cndmask_b32 v1, v1, v13, s2 :: v_dual_cndmask_b32 v28, v11, v12, s2
	v_mov_b32_e32 v12, v7
	s_branch .LBB1175_150
.LBB1175_141:
	v_mov_b32_dpp v1, v73 row_shr:1 row_mask:0xf bank_mask:0xf
	v_mov_b32_dpp v6, v74 row_shr:1 row_mask:0xf bank_mask:0xf
	v_cmp_lt_u32_e32 vcc_lo, 3, v70
	s_delay_alu instid0(VALU_DEP_2) | instskip(NEXT) | instid1(VALU_DEP_1)
	v_dual_add_nc_u32 v1, v1, v73 :: v_dual_add_nc_u32 v6, v6, v74
	v_dual_cndmask_b32 v1, v1, v73, s1 :: v_dual_cndmask_b32 v6, v6, v74, s1
	s_mov_b32 s1, exec_lo
	s_delay_alu instid0(VALU_DEP_1) | instskip(NEXT) | instid1(VALU_DEP_2)
	v_mov_b32_dpp v7, v1 row_shr:2 row_mask:0xf bank_mask:0xf
	v_mov_b32_dpp v8, v6 row_shr:2 row_mask:0xf bank_mask:0xf
	s_delay_alu instid0(VALU_DEP_1) | instskip(NEXT) | instid1(VALU_DEP_1)
	v_dual_add_nc_u32 v7, v1, v7 :: v_dual_add_nc_u32 v8, v6, v8
	v_dual_cndmask_b32 v1, v1, v7, s0 :: v_dual_cndmask_b32 v6, v6, v8, s0
	s_delay_alu instid0(VALU_DEP_1) | instskip(NEXT) | instid1(VALU_DEP_2)
	v_mov_b32_dpp v7, v1 row_shr:4 row_mask:0xf bank_mask:0xf
	v_mov_b32_dpp v8, v6 row_shr:4 row_mask:0xf bank_mask:0xf
	s_delay_alu instid0(VALU_DEP_1) | instskip(NEXT) | instid1(VALU_DEP_1)
	v_dual_add_nc_u32 v7, v1, v7 :: v_dual_add_nc_u32 v8, v6, v8
	v_dual_cndmask_b32 v7, v1, v7 :: v_dual_cndmask_b32 v6, v6, v8
	v_cmp_lt_u32_e32 vcc_lo, 7, v70
	s_delay_alu instid0(VALU_DEP_2) | instskip(NEXT) | instid1(VALU_DEP_3)
	v_mov_b32_dpp v1, v7 row_shr:8 row_mask:0xf bank_mask:0xf
	v_mov_b32_dpp v8, v6 row_shr:8 row_mask:0xf bank_mask:0xf
	s_delay_alu instid0(VALU_DEP_1) | instskip(NEXT) | instid1(VALU_DEP_1)
	v_dual_add_nc_u32 v9, v7, v1 :: v_dual_add_nc_u32 v1, v6, v8
	v_cndmask_b32_e32 v1, v6, v1, vcc_lo
	s_delay_alu instid0(VALU_DEP_2)
	v_cndmask_b32_e32 v6, v7, v9, vcc_lo
	v_cmp_eq_u32_e32 vcc_lo, 0, v72
	ds_swizzle_b32 v8, v6 offset:swizzle(BROADCAST,32,15)
	s_wait_dscnt 0x0
	v_add_nc_u32_e32 v8, v6, v8
	ds_swizzle_b32 v7, v1 offset:swizzle(BROADCAST,32,15)
	s_wait_dscnt 0x0
	v_add_nc_u32_e32 v7, v1, v7
	v_cmpx_eq_u32_e64 v0, v71
; %bb.142:
	s_delay_alu instid0(VALU_DEP_2)
	v_dual_cndmask_b32 v10, v8, v6 :: v_dual_cndmask_b32 v11, v7, v1
	v_lshlrev_b32_e32 v9, 3, v69
	ds_store_b64 v9, v[10:11]
; %bb.143:
	s_or_b32 exec_lo, exec_lo, s1
	s_delay_alu instid0(SALU_CYCLE_1)
	s_mov_b32 s1, exec_lo
	s_wait_dscnt 0x0
	s_barrier_signal -1
	s_barrier_wait -1
	v_cmpx_gt_u32_e32 8, v0
	s_cbranch_execz .LBB1175_145
; %bb.144:
	v_lshlrev_b32_e32 v9, 3, v0
	ds_load_b64 v[10:11], v9
	s_wait_dscnt 0x0
	v_mov_b32_dpp v12, v10 row_shr:1 row_mask:0xf bank_mask:0xf
	v_mov_b32_dpp v13, v11 row_shr:1 row_mask:0xf bank_mask:0xf
	s_delay_alu instid0(VALU_DEP_2) | instskip(NEXT) | instid1(VALU_DEP_2)
	v_dual_add_nc_u32 v12, v12, v10 :: v_dual_bitop2_b32 v28, 7, v68 bitop3:0x40
	v_add_nc_u32_e32 v13, v13, v11
	s_delay_alu instid0(VALU_DEP_2) | instskip(NEXT) | instid1(VALU_DEP_1)
	v_cmp_eq_u32_e64 s0, 0, v28
	v_dual_cndmask_b32 v11, v13, v11, s0 :: v_dual_cndmask_b32 v10, v12, v10, s0
	v_cmp_lt_u32_e64 s0, 1, v28
	s_delay_alu instid0(VALU_DEP_2) | instskip(NEXT) | instid1(VALU_DEP_3)
	v_mov_b32_dpp v13, v11 row_shr:2 row_mask:0xf bank_mask:0xf
	v_mov_b32_dpp v12, v10 row_shr:2 row_mask:0xf bank_mask:0xf
	s_delay_alu instid0(VALU_DEP_1) | instskip(NEXT) | instid1(VALU_DEP_1)
	v_dual_add_nc_u32 v13, v11, v13 :: v_dual_add_nc_u32 v12, v10, v12
	v_dual_cndmask_b32 v11, v11, v13, s0 :: v_dual_cndmask_b32 v10, v10, v12, s0
	v_cmp_lt_u32_e64 s0, 3, v28
	s_delay_alu instid0(VALU_DEP_2) | instskip(NEXT) | instid1(VALU_DEP_3)
	v_mov_b32_dpp v13, v11 row_shr:4 row_mask:0xf bank_mask:0xf
	v_mov_b32_dpp v12, v10 row_shr:4 row_mask:0xf bank_mask:0xf
	s_delay_alu instid0(VALU_DEP_1) | instskip(NEXT) | instid1(VALU_DEP_1)
	v_dual_cndmask_b32 v13, 0, v13, s0 :: v_dual_cndmask_b32 v12, 0, v12, s0
	v_dual_add_nc_u32 v11, v13, v11 :: v_dual_add_nc_u32 v10, v12, v10
	ds_store_b64 v9, v[10:11]
.LBB1175_145:
	s_or_b32 exec_lo, exec_lo, s1
	v_dual_mov_b32 v9, 0 :: v_dual_mov_b32 v10, 0
	v_mov_b32_e32 v11, 0
	s_mov_b32 s1, exec_lo
	s_wait_dscnt 0x0
	s_barrier_signal -1
	s_barrier_wait -1
	v_cmpx_lt_u32_e32 31, v0
; %bb.146:
	v_lshl_add_u32 v10, v69, 3, -8
	ds_load_b64 v[10:11], v10
; %bb.147:
	s_or_b32 exec_lo, exec_lo, s1
	v_sub_co_u32 v12, s0, v68, 1
	v_dual_cndmask_b32 v6, v8, v6 :: v_dual_cndmask_b32 v1, v7, v1
	s_delay_alu instid0(VALU_DEP_2) | instskip(SKIP_1) | instid1(VALU_DEP_1)
	v_cmp_gt_i32_e64 s1, 0, v12
	s_wait_dscnt 0x0
	v_dual_add_nc_u32 v6, v10, v6 :: v_dual_cndmask_b32 v8, v12, v68, s1
	s_delay_alu instid0(VALU_DEP_1)
	v_dual_lshlrev_b32 v7, 2, v8 :: v_dual_add_nc_u32 v8, v11, v1
	ds_bpermute_b32 v1, v7, v6
	ds_bpermute_b32 v12, v7, v8
	ds_load_b64 v[6:7], v9 offset:56
	s_and_saveexec_b32 s1, s2
	s_cbranch_execz .LBB1175_149
; %bb.148:
	s_add_nc_u64 s[6:7], s[36:37], 0x200
	v_dual_mov_b32 v8, 2 :: v_dual_mov_b32 v9, 0
	v_mov_b64_e32 v[28:29], s[6:7]
	s_wait_dscnt 0x0
	;;#ASMSTART
	global_store_b128 v[28:29], v[6:9] off scope:SCOPE_DEV	
s_wait_storecnt 0x0
	;;#ASMEND
.LBB1175_149:
	s_or_b32 exec_lo, exec_lo, s1
	s_wait_dscnt 0x1
	v_dual_cndmask_b32 v9, v12, v11, s0 :: v_dual_cndmask_b32 v11, v1, v10, s0
	v_dual_mov_b32 v10, 0 :: v_dual_mov_b32 v8, 0
	s_wait_dscnt 0x0
	v_mov_b32_e32 v12, v7
	s_delay_alu instid0(VALU_DEP_3)
	v_cndmask_b32_e64 v1, v9, 0, s2
	v_cndmask_b32_e64 v28, v11, 0, s2
	s_barrier_signal -1
	s_barrier_wait -1
.LBB1175_150:
	s_delay_alu instid0(VALU_DEP_1) | instskip(SKIP_2) | instid1(VALU_DEP_3)
	v_dual_add_nc_u32 v74, v1, v67 :: v_dual_add_nc_u32 v75, v28, v66
	v_dual_lshrrev_b32 v72, 16, v42 :: v_dual_lshrrev_b32 v7, 8, v42
	v_dual_lshrrev_b32 v73, 8, v36 :: v_dual_lshrrev_b32 v71, 16, v36
	v_dual_add_nc_u32 v65, v74, v65 :: v_dual_add_nc_u32 v64, v75, v64
	v_dual_mov_b32 v9, 0 :: v_dual_lshlrev_b32 v66, 1, v6
	s_delay_alu instid0(VALU_DEP_2) | instskip(NEXT) | instid1(VALU_DEP_3)
	v_dual_add_nc_u32 v76, v65, v49 :: v_dual_bitop2_b32 v36, 1, v36 bitop3:0x40
	v_add_nc_u32_e32 v63, v64, v63
	v_dual_sub_nc_u32 v28, v28, v8 :: v_dual_sub_nc_u32 v1, v1, v10
	s_delay_alu instid0(VALU_DEP_3) | instskip(NEXT) | instid1(VALU_DEP_3)
	v_dual_add_nc_u32 v62, v76, v62 :: v_dual_bitop2_b32 v77, 1, v7 bitop3:0x40
	v_dual_mov_b32 v7, v9 :: v_dual_add_nc_u32 v78, v63, v48
	v_mov_b32_e32 v11, v9
	s_delay_alu instid0(VALU_DEP_3) | instskip(SKIP_1) | instid1(VALU_DEP_4)
	v_dual_add_nc_u32 v1, v1, v6 :: v_dual_add_nc_u32 v61, v62, v61
	v_add3_u32 v15, v66, v12, v15
	v_add_nc_u32_e32 v60, v78, v60
	s_delay_alu instid0(VALU_DEP_3) | instskip(NEXT) | instid1(VALU_DEP_4)
	v_dual_sub_nc_u32 v74, v74, v10 :: v_dual_add_nc_u32 v81, v28, v1
	v_dual_add_nc_u32 v79, v61, v59 :: v_dual_sub_nc_u32 v75, v75, v8
	s_delay_alu instid0(VALU_DEP_3) | instskip(SKIP_1) | instid1(VALU_DEP_4)
	v_add_nc_u32_e32 v80, v60, v58
	v_cmp_eq_u32_e32 vcc_lo, 1, v77
	v_dual_add_nc_u32 v74, v74, v6 :: v_dual_sub_nc_u32 v64, v64, v8
	s_delay_alu instid0(VALU_DEP_3) | instskip(SKIP_2) | instid1(VALU_DEP_3)
	v_dual_add_nc_u32 v82, v79, v47 :: v_dual_add_nc_u32 v56, v80, v56
	v_dual_sub_nc_u32 v81, v15, v81 :: v_dual_sub_nc_u32 v65, v65, v10
	v_sub_nc_u64_e32 v[58:59], v[4:5], v[6:7]
	v_dual_add_nc_u32 v57, v82, v57 :: v_dual_add_nc_u32 v83, v56, v46
	s_delay_alu instid0(VALU_DEP_3) | instskip(SKIP_1) | instid1(VALU_DEP_3)
	v_dual_cndmask_b32 v1, v81, v1, vcc_lo :: v_dual_add_nc_u32 v81, v74, v75
	v_cmp_eq_u32_e32 vcc_lo, 1, v36
	v_dual_add_nc_u32 v55, v57, v55 :: v_dual_add_nc_u32 v77, v83, v53
	v_and_b32_e32 v72, 1, v72
	v_dual_sub_nc_u32 v63, v63, v8 :: v_dual_bitop2_b32 v49, 1, v49 bitop3:0x40
	s_delay_alu instid0(VALU_DEP_3) | instskip(NEXT) | instid1(VALU_DEP_4)
	v_dual_cndmask_b32 v1, v1, v28 :: v_dual_add_nc_u32 v28, v55, v54
	v_add_nc_u32_e32 v36, v77, v52
	v_add_nc_u32_e32 v54, v65, v6
	v_add_nc_u64_e32 v[52:53], v[58:59], v[10:11]
	s_delay_alu instid0(VALU_DEP_4)
	v_lshlrev_b32_e32 v1, 2, v1
	v_add_nc_u32_e32 v58, v28, v45
	v_dual_add_nc_u32 v51, v36, v51 :: v_dual_sub_nc_u32 v59, v15, v81
	v_add_nc_u32_e32 v65, v54, v64
	ds_store_b32 v1, v26
	v_dual_add_nc_u32 v1, v58, v50 :: v_dual_add_nc_u32 v26, v51, v44
	v_dual_sub_nc_u32 v73, v76, v10 :: v_dual_bitop2_b32 v50, 1, v73 bitop3:0x40
	v_dual_sub_nc_u32 v65, v15, v65 :: v_dual_add_nc_u32 v59, 1, v59
	v_cmp_eq_u32_e32 vcc_lo, 1, v72
	s_delay_alu instid0(VALU_DEP_3) | instskip(NEXT) | instid1(VALU_DEP_3)
	v_dual_add_nc_u32 v73, v73, v6 :: v_dual_bitop2_b32 v71, 1, v71 bitop3:0x40
	v_add_nc_u32_e32 v65, 2, v65
	v_dual_lshrrev_b32 v70, 8, v37 :: v_dual_lshrrev_b32 v69, 16, v37
	v_cndmask_b32_e32 v59, v59, v74, vcc_lo
	v_cmp_eq_u32_e32 vcc_lo, 1, v49
	v_dual_add_nc_u32 v72, v63, v73 :: v_dual_lshrrev_b32 v33, 16, v38
	v_dual_lshrrev_b32 v68, 8, v38 :: v_dual_lshrrev_b32 v31, 16, v40
	v_dual_cndmask_b32 v49, v65, v54 :: v_dual_lshrrev_b32 v32, 8, v40
	v_cmp_eq_u32_e32 vcc_lo, 1, v50
	s_delay_alu instid0(VALU_DEP_4)
	v_dual_sub_nc_u32 v54, v15, v72 :: v_dual_lshrrev_b32 v30, 8, v41
	v_dual_lshrrev_b32 v29, 16, v41 :: v_dual_sub_nc_u32 v1, v1, v10
	v_cndmask_b32_e32 v50, v59, v75, vcc_lo
	v_cmp_eq_u32_e32 vcc_lo, 1, v71
	v_dual_sub_nc_u32 v59, v62, v10 :: v_dual_bitop2_b32 v37, 1, v37 bitop3:0x40
	v_dual_add_nc_u32 v54, 3, v54 :: v_dual_bitop2_b32 v48, 1, v48 bitop3:0x40
	v_cndmask_b32_e32 v49, v49, v64, vcc_lo
	v_dual_sub_nc_u32 v62, v78, v8 :: v_dual_lshlrev_b32 v50, 2, v50
	s_delay_alu instid0(VALU_DEP_4) | instskip(SKIP_1) | instid1(VALU_DEP_4)
	v_add_nc_u32_e32 v59, v59, v6
	v_cmp_eq_u32_e32 vcc_lo, 1, v37
	v_lshlrev_b32_e32 v49, 2, v49
	v_add_nc_u64_e32 v[2:3], v[2:3], v[8:9]
	ds_store_b32 v50, v27
	v_dual_sub_nc_u32 v27, v61, v10 :: v_dual_cndmask_b32 v37, v54, v73, vcc_lo
	v_add_nc_u32_e32 v54, v62, v59
	v_cmp_eq_u32_e32 vcc_lo, 1, v48
	ds_store_b32 v49, v24
	v_dual_sub_nc_u32 v48, v60, v8 :: v_dual_sub_nc_u32 v50, v79, v10
	v_dual_cndmask_b32 v37, v37, v63 :: v_dual_sub_nc_u32 v24, v15, v54
	v_dual_add_nc_u32 v27, v27, v6 :: v_dual_mov_b32 v67, v9
	s_delay_alu instid0(VALU_DEP_2) | instskip(NEXT) | instid1(VALU_DEP_3)
	v_dual_mov_b32 v13, v9 :: v_dual_add_nc_u32 v24, 4, v24
	v_dual_lshlrev_b32 v37, 2, v37 :: v_dual_bitop2_b32 v49, 1, v70 bitop3:0x40
	s_delay_alu instid0(VALU_DEP_3)
	v_add_nc_u32_e32 v54, v48, v27
	s_mov_b32 s0, -1
	v_and_b32_e32 v40, 1, v40
	ds_store_b32 v37, v25
	v_cmp_eq_u32_e32 vcc_lo, 1, v49
	v_dual_sub_nc_u32 v49, v80, v8 :: v_dual_bitop2_b32 v38, 1, v38 bitop3:0x40
	v_dual_add_nc_u32 v50, v50, v6 :: v_dual_bitop2_b32 v37, 1, v69 bitop3:0x40
	v_cndmask_b32_e32 v24, v24, v59, vcc_lo
	s_delay_alu instid0(VALU_DEP_3) | instskip(SKIP_1) | instid1(VALU_DEP_3)
	v_cmp_eq_u32_e32 vcc_lo, 1, v38
	v_and_b32_e32 v32, 1, v32
	v_dual_cndmask_b32 v24, v24, v62, vcc_lo :: v_dual_bitop2_b32 v31, 1, v31 bitop3:0x40
	v_sub_nc_u32_e32 v54, v15, v54
	v_cmp_eq_u32_e32 vcc_lo, 1, v37
	s_delay_alu instid0(VALU_DEP_3) | instskip(NEXT) | instid1(VALU_DEP_3)
	v_dual_sub_nc_u32 v37, v57, v10 :: v_dual_lshlrev_b32 v24, 2, v24
	v_add_nc_u32_e32 v38, 5, v54
	v_dual_add_nc_u32 v25, v49, v50 :: v_dual_bitop2_b32 v54, 1, v68 bitop3:0x40
	ds_store_b32 v24, v22
	v_dual_cndmask_b32 v27, v38, v27, vcc_lo :: v_dual_sub_nc_u32 v25, v15, v25
	v_and_b32_e32 v22, 1, v47
	v_cmp_eq_u32_e32 vcc_lo, 1, v54
	v_dual_sub_nc_u32 v38, v55, v10 :: v_dual_sub_nc_u32 v47, v77, v8
	s_delay_alu instid0(VALU_DEP_4) | instskip(SKIP_3) | instid1(VALU_DEP_3)
	v_dual_cndmask_b32 v25, v27, v48 :: v_dual_add_nc_u32 v24, 6, v25
	v_sub_nc_u32_e32 v27, v82, v10
	v_cmp_eq_u32_e32 vcc_lo, 1, v22
	v_and_b32_e32 v33, 1, v33
	v_dual_lshlrev_b32 v25, 2, v25 :: v_dual_add_nc_u32 v27, v27, v6
	v_cndmask_b32_e32 v22, v24, v50, vcc_lo
	v_sub_nc_u32_e32 v24, v56, v8
	s_delay_alu instid0(VALU_DEP_4)
	v_cmp_eq_u32_e32 vcc_lo, 1, v33
	ds_store_b32 v25, v23
	v_dual_sub_nc_u32 v23, v83, v8 :: v_dual_add_nc_u32 v25, v37, v6
	v_dual_cndmask_b32 v22, v22, v49 :: v_dual_add_nc_u32 v33, v24, v27
	v_and_b32_e32 v37, 1, v46
	v_cmp_eq_u32_e32 vcc_lo, 1, v40
	s_delay_alu instid0(VALU_DEP_4) | instskip(NEXT) | instid1(VALU_DEP_4)
	v_add_nc_u32_e32 v46, v23, v25
	v_dual_sub_nc_u32 v33, v15, v33 :: v_dual_lshlrev_b32 v22, 2, v22
	s_delay_alu instid0(VALU_DEP_1)
	v_dual_sub_nc_u32 v46, v15, v46 :: v_dual_add_nc_u32 v33, 7, v33
	v_add_nc_u32_e32 v38, v38, v6
	ds_store_b32 v22, v20
	v_dual_cndmask_b32 v27, v33, v27, vcc_lo :: v_dual_bitop2_b32 v22, 1, v45 bitop3:0x40
	v_cmp_eq_u32_e32 vcc_lo, 1, v37
	v_add_nc_u32_e32 v33, v47, v38
	s_delay_alu instid0(VALU_DEP_3) | instskip(SKIP_2) | instid1(VALU_DEP_3)
	v_dual_add_nc_u32 v40, 8, v46 :: v_dual_cndmask_b32 v24, v27, v24, vcc_lo
	v_and_b32_e32 v27, 1, v41
	v_cmp_eq_u32_e32 vcc_lo, 1, v32
	v_dual_sub_nc_u32 v33, v15, v33 :: v_dual_lshlrev_b32 v24, 2, v24
	s_delay_alu instid0(VALU_DEP_4) | instskip(NEXT) | instid1(VALU_DEP_4)
	v_cndmask_b32_e32 v25, v40, v25, vcc_lo
	v_cmp_eq_u32_e32 vcc_lo, 1, v27
	s_delay_alu instid0(VALU_DEP_3) | instskip(NEXT) | instid1(VALU_DEP_3)
	v_dual_add_nc_u32 v32, 9, v33 :: v_dual_bitop2_b32 v27, 1, v30 bitop3:0x40
	v_dual_cndmask_b32 v23, v25, v23 :: v_dual_sub_nc_u32 v30, v36, v8
	v_sub_nc_u32_e32 v25, v28, v10
	v_cmp_eq_u32_e32 vcc_lo, 1, v31
	s_delay_alu instid0(VALU_DEP_2)
	v_dual_lshlrev_b32 v23, 2, v23 :: v_dual_add_nc_u32 v25, v25, v6
	v_cndmask_b32_e32 v28, v32, v38, vcc_lo
	v_cmp_eq_u32_e32 vcc_lo, 1, v27
	ds_store_b32 v24, v21
	ds_store_b32 v23, v18
	v_sub_nc_u32_e32 v21, v58, v10
	v_dual_add_nc_u32 v20, v30, v25 :: v_dual_sub_nc_u32 v23, v51, v8
	v_dual_cndmask_b32 v27, v28, v47 :: v_dual_sub_nc_u32 v8, v26, v8
	s_delay_alu instid0(VALU_DEP_2) | instskip(NEXT) | instid1(VALU_DEP_2)
	v_dual_add_nc_u32 v1, v1, v6 :: v_dual_sub_nc_u32 v20, v15, v20
	v_dual_add_nc_u32 v21, v21, v6 :: v_dual_lshlrev_b32 v18, 2, v27
	v_cmp_eq_u32_e32 vcc_lo, 1, v22
	s_delay_alu instid0(VALU_DEP_3) | instskip(SKIP_3) | instid1(VALU_DEP_1)
	v_dual_add_nc_u32 v22, v8, v1 :: v_dual_add_nc_u32 v20, 10, v20
	ds_store_b32 v18, v19
	v_cndmask_b32_e32 v20, v20, v25, vcc_lo
	v_add_nc_u32_e32 v26, v23, v21
	v_dual_sub_nc_u32 v18, v15, v26 :: v_dual_bitop2_b32 v24, 1, v29 bitop3:0x40
	s_delay_alu instid0(VALU_DEP_1) | instskip(SKIP_1) | instid1(VALU_DEP_3)
	v_cmp_eq_u32_e32 vcc_lo, 1, v24
	v_dual_sub_nc_u32 v15, v15, v22 :: v_dual_bitop2_b32 v24, 1, v39 bitop3:0x40
	v_dual_add_nc_u32 v25, 11, v18 :: v_dual_bitop2_b32 v22, 1, v44 bitop3:0x40
	v_cndmask_b32_e32 v20, v20, v30, vcc_lo
	s_delay_alu instid0(VALU_DEP_3) | instskip(SKIP_4) | instid1(VALU_DEP_4)
	v_cmp_eq_u32_e32 vcc_lo, 1, v24
	v_and_b32_e32 v26, 1, v43
	v_dual_add_nc_u32 v15, 12, v15 :: v_dual_bitop2_b32 v24, 1, v42 bitop3:0x40
	v_add_nc_u64_e32 v[18:19], v[12:13], v[66:67]
	v_cndmask_b32_e32 v21, v25, v21, vcc_lo
	v_cmp_eq_u32_e32 vcc_lo, 1, v26
	s_delay_alu instid0(VALU_DEP_4)
	v_dual_cndmask_b32 v1, v15, v1 :: v_dual_lshlrev_b32 v20, 2, v20
	v_cmp_eq_u32_e32 vcc_lo, 1, v22
	v_add_nc_u64_e32 v[18:19], v[18:19], v[52:53]
	v_mov_b32_e32 v15, v9
	ds_store_b32 v20, v16
	v_cndmask_b32_e32 v21, v21, v23, vcc_lo
	v_cmp_eq_u32_e32 vcc_lo, 1, v24
	s_delay_alu instid0(VALU_DEP_2)
	v_dual_cndmask_b32 v1, v1, v8 :: v_dual_lshlrev_b32 v22, 2, v21
	v_add_nc_u64_e32 v[8:9], s[34:35], v[14:15]
	v_add_nc_u64_e32 v[14:15], v[18:19], v[2:3]
	v_lshlrev_b64_e32 v[18:19], 2, v[52:53]
	v_lshlrev_b64_e32 v[20:21], 2, v[2:3]
	v_lshlrev_b32_e32 v1, 2, v1
	v_cmp_ne_u32_e32 vcc_lo, 1, v35
	v_sub_nc_u64_e32 v[14:15], v[8:9], v[14:15]
	v_add_nc_u64_e32 v[8:9], s[30:31], v[18:19]
	v_add_nc_u32_e32 v18, v6, v12
	ds_store_b32 v22, v17
	ds_store_b32 v1, v34
	v_add_nc_u64_e32 v[16:17], s[28:29], v[20:21]
	s_wait_dscnt 0x0
	s_barrier_signal -1
	s_barrier_wait -1
	s_cbranch_vccz .LBB1175_154
; %bb.151:
	s_and_b32 vcc_lo, exec_lo, s0
	s_cbranch_vccnz .LBB1175_259
.LBB1175_152:
	s_and_b32 s0, s2, s26
	s_delay_alu instid0(SALU_CYCLE_1)
	s_and_saveexec_b32 s1, s0
	s_cbranch_execnz .LBB1175_377
.LBB1175_153:
	s_sendmsg sendmsg(MSG_DEALLOC_VGPRS)
	s_endpgm
.LBB1175_154:
	s_mov_b32 s0, exec_lo
	v_cmpx_ge_u32_e64 v0, v6
	s_xor_b32 s0, exec_lo, s0
	s_cbranch_execz .LBB1175_160
; %bb.155:
	v_mov_b32_e32 v1, 0
	s_mov_b32 s1, exec_lo
	v_cmpx_ge_u32_e64 v0, v18
	s_xor_b32 s1, exec_lo, s1
	s_cbranch_execz .LBB1175_157
; %bb.156:
	v_lshlrev_b32_e32 v19, 2, v0
	v_add_nc_u64_e32 v[20:21], v[14:15], v[0:1]
	ds_load_b32 v1, v19
	v_lshlrev_b64_e32 v[20:21], 2, v[20:21]
	s_delay_alu instid0(VALU_DEP_1)
	v_sub_nc_u64_e32 v[20:21], s[14:15], v[20:21]
	s_wait_dscnt 0x0
	global_store_b32 v[20:21], v1, off offset:-4
.LBB1175_157:
	s_wait_xcnt 0x0
	s_and_not1_saveexec_b32 s1, s1
	s_cbranch_execz .LBB1175_159
; %bb.158:
	v_lshlrev_b32_e32 v1, 2, v0
	v_readfirstlane_b32 s6, v8
	v_readfirstlane_b32 s7, v9
	ds_load_b32 v1, v1
	s_wait_dscnt 0x0
	global_store_b32 v0, v1, s[6:7] scale_offset
.LBB1175_159:
	s_wait_xcnt 0x0
	s_or_b32 exec_lo, exec_lo, s1
.LBB1175_160:
	s_and_not1_saveexec_b32 s0, s0
	s_cbranch_execz .LBB1175_162
; %bb.161:
	v_lshlrev_b32_e32 v1, 2, v0
	v_readfirstlane_b32 s6, v16
	v_readfirstlane_b32 s7, v17
	ds_load_b32 v1, v1
	s_wait_dscnt 0x0
	global_store_b32 v0, v1, s[6:7] scale_offset
.LBB1175_162:
	s_wait_xcnt 0x0
	s_or_b32 exec_lo, exec_lo, s0
	v_or_b32_e32 v1, 0x100, v0
	s_mov_b32 s0, exec_lo
	s_delay_alu instid0(VALU_DEP_1)
	v_cmpx_ge_u32_e64 v1, v6
	s_xor_b32 s0, exec_lo, s0
	s_cbranch_execz .LBB1175_168
; %bb.163:
	s_mov_b32 s1, exec_lo
	v_cmpx_ge_u32_e64 v1, v18
	s_xor_b32 s1, exec_lo, s1
	s_cbranch_execz .LBB1175_165
; %bb.164:
	v_dual_mov_b32 v1, 0 :: v_dual_lshlrev_b32 v19, 2, v0
	s_delay_alu instid0(VALU_DEP_1) | instskip(SKIP_2) | instid1(VALU_DEP_1)
	v_add_nc_u64_e32 v[20:21], v[14:15], v[0:1]
	ds_load_b32 v1, v19 offset:1024
	v_lshlrev_b64_e32 v[20:21], 2, v[20:21]
	v_sub_nc_u64_e32 v[20:21], s[14:15], v[20:21]
	s_wait_dscnt 0x0
	global_store_b32 v[20:21], v1, off offset:-1028
.LBB1175_165:
	s_wait_xcnt 0x0
	s_and_not1_saveexec_b32 s1, s1
	s_cbranch_execz .LBB1175_167
; %bb.166:
	v_lshlrev_b32_e32 v1, 2, v0
	v_readfirstlane_b32 s6, v8
	v_readfirstlane_b32 s7, v9
	ds_load_b32 v1, v1 offset:1024
	s_wait_dscnt 0x0
	global_store_b32 v0, v1, s[6:7] offset:1024 scale_offset
.LBB1175_167:
	s_wait_xcnt 0x0
	s_or_b32 exec_lo, exec_lo, s1
.LBB1175_168:
	s_and_not1_saveexec_b32 s0, s0
	s_cbranch_execz .LBB1175_170
; %bb.169:
	v_lshlrev_b32_e32 v1, 2, v0
	v_readfirstlane_b32 s6, v16
	v_readfirstlane_b32 s7, v17
	ds_load_b32 v1, v1 offset:1024
	s_wait_dscnt 0x0
	global_store_b32 v0, v1, s[6:7] offset:1024 scale_offset
.LBB1175_170:
	s_wait_xcnt 0x0
	s_or_b32 exec_lo, exec_lo, s0
	v_or_b32_e32 v1, 0x200, v0
	s_mov_b32 s0, exec_lo
	s_delay_alu instid0(VALU_DEP_1)
	v_cmpx_ge_u32_e64 v1, v6
	s_xor_b32 s0, exec_lo, s0
	s_cbranch_execz .LBB1175_176
; %bb.171:
	s_mov_b32 s1, exec_lo
	v_cmpx_ge_u32_e64 v1, v18
	s_xor_b32 s1, exec_lo, s1
	s_cbranch_execz .LBB1175_173
; %bb.172:
	v_dual_mov_b32 v1, 0 :: v_dual_lshlrev_b32 v19, 2, v0
	s_delay_alu instid0(VALU_DEP_1) | instskip(SKIP_2) | instid1(VALU_DEP_1)
	v_add_nc_u64_e32 v[20:21], v[14:15], v[0:1]
	ds_load_b32 v1, v19 offset:2048
	v_lshlrev_b64_e32 v[20:21], 2, v[20:21]
	v_sub_nc_u64_e32 v[20:21], s[14:15], v[20:21]
	s_wait_dscnt 0x0
	global_store_b32 v[20:21], v1, off offset:-2052
.LBB1175_173:
	s_wait_xcnt 0x0
	s_and_not1_saveexec_b32 s1, s1
	s_cbranch_execz .LBB1175_175
; %bb.174:
	v_lshlrev_b32_e32 v1, 2, v0
	v_readfirstlane_b32 s6, v8
	v_readfirstlane_b32 s7, v9
	ds_load_b32 v1, v1 offset:2048
	s_wait_dscnt 0x0
	global_store_b32 v0, v1, s[6:7] offset:2048 scale_offset
.LBB1175_175:
	s_wait_xcnt 0x0
	s_or_b32 exec_lo, exec_lo, s1
.LBB1175_176:
	s_and_not1_saveexec_b32 s0, s0
	s_cbranch_execz .LBB1175_178
; %bb.177:
	v_lshlrev_b32_e32 v1, 2, v0
	v_readfirstlane_b32 s6, v16
	v_readfirstlane_b32 s7, v17
	ds_load_b32 v1, v1 offset:2048
	s_wait_dscnt 0x0
	global_store_b32 v0, v1, s[6:7] offset:2048 scale_offset
.LBB1175_178:
	;; [unrolled: 47-line block ×12, first 2 shown]
	s_wait_xcnt 0x0
	s_or_b32 exec_lo, exec_lo, s0
	s_branch .LBB1175_152
.LBB1175_259:
	s_mov_b32 s0, exec_lo
	v_cmpx_gt_u32_e64 s5, v0
	s_cbranch_execz .LBB1175_268
; %bb.260:
	s_mov_b32 s1, exec_lo
	v_cmpx_ge_u32_e64 v0, v6
	s_xor_b32 s1, exec_lo, s1
	s_cbranch_execz .LBB1175_266
; %bb.261:
	v_mov_b32_e32 v1, 0
	s_mov_b32 s3, exec_lo
	v_cmpx_ge_u32_e64 v0, v18
	s_xor_b32 s3, exec_lo, s3
	s_cbranch_execz .LBB1175_263
; %bb.262:
	v_lshlrev_b32_e32 v19, 2, v0
	v_add_nc_u64_e32 v[20:21], v[14:15], v[0:1]
	ds_load_b32 v1, v19
	v_lshlrev_b64_e32 v[20:21], 2, v[20:21]
	s_delay_alu instid0(VALU_DEP_1)
	v_sub_nc_u64_e32 v[20:21], s[14:15], v[20:21]
	s_wait_dscnt 0x0
	global_store_b32 v[20:21], v1, off offset:-4
.LBB1175_263:
	s_wait_xcnt 0x0
	s_and_not1_saveexec_b32 s3, s3
	s_cbranch_execz .LBB1175_265
; %bb.264:
	v_lshlrev_b32_e32 v1, 2, v0
	v_readfirstlane_b32 s6, v8
	v_readfirstlane_b32 s7, v9
	ds_load_b32 v1, v1
	s_wait_dscnt 0x0
	global_store_b32 v0, v1, s[6:7] scale_offset
.LBB1175_265:
	s_wait_xcnt 0x0
	s_or_b32 exec_lo, exec_lo, s3
.LBB1175_266:
	s_and_not1_saveexec_b32 s1, s1
	s_cbranch_execz .LBB1175_268
; %bb.267:
	v_lshlrev_b32_e32 v1, 2, v0
	v_readfirstlane_b32 s6, v16
	v_readfirstlane_b32 s7, v17
	ds_load_b32 v1, v1
	s_wait_dscnt 0x0
	global_store_b32 v0, v1, s[6:7] scale_offset
.LBB1175_268:
	s_wait_xcnt 0x0
	s_or_b32 exec_lo, exec_lo, s0
	v_or_b32_e32 v1, 0x100, v0
	s_mov_b32 s0, exec_lo
	s_delay_alu instid0(VALU_DEP_1)
	v_cmpx_gt_u32_e64 s5, v1
	s_cbranch_execz .LBB1175_277
; %bb.269:
	s_mov_b32 s1, exec_lo
	v_cmpx_ge_u32_e64 v1, v6
	s_xor_b32 s1, exec_lo, s1
	s_cbranch_execz .LBB1175_275
; %bb.270:
	s_mov_b32 s3, exec_lo
	v_cmpx_ge_u32_e64 v1, v18
	s_xor_b32 s3, exec_lo, s3
	s_cbranch_execz .LBB1175_272
; %bb.271:
	v_dual_mov_b32 v1, 0 :: v_dual_lshlrev_b32 v19, 2, v0
	s_delay_alu instid0(VALU_DEP_1) | instskip(SKIP_2) | instid1(VALU_DEP_1)
	v_add_nc_u64_e32 v[20:21], v[14:15], v[0:1]
	ds_load_b32 v1, v19 offset:1024
	v_lshlrev_b64_e32 v[20:21], 2, v[20:21]
	v_sub_nc_u64_e32 v[20:21], s[14:15], v[20:21]
	s_wait_dscnt 0x0
	global_store_b32 v[20:21], v1, off offset:-1028
.LBB1175_272:
	s_wait_xcnt 0x0
	s_and_not1_saveexec_b32 s3, s3
	s_cbranch_execz .LBB1175_274
; %bb.273:
	v_lshlrev_b32_e32 v1, 2, v0
	v_readfirstlane_b32 s6, v8
	v_readfirstlane_b32 s7, v9
	ds_load_b32 v1, v1 offset:1024
	s_wait_dscnt 0x0
	global_store_b32 v0, v1, s[6:7] offset:1024 scale_offset
.LBB1175_274:
	s_wait_xcnt 0x0
	s_or_b32 exec_lo, exec_lo, s3
.LBB1175_275:
	s_and_not1_saveexec_b32 s1, s1
	s_cbranch_execz .LBB1175_277
; %bb.276:
	v_lshlrev_b32_e32 v1, 2, v0
	v_readfirstlane_b32 s6, v16
	v_readfirstlane_b32 s7, v17
	ds_load_b32 v1, v1 offset:1024
	s_wait_dscnt 0x0
	global_store_b32 v0, v1, s[6:7] offset:1024 scale_offset
.LBB1175_277:
	s_wait_xcnt 0x0
	s_or_b32 exec_lo, exec_lo, s0
	v_or_b32_e32 v1, 0x200, v0
	s_mov_b32 s0, exec_lo
	s_delay_alu instid0(VALU_DEP_1)
	v_cmpx_gt_u32_e64 s5, v1
	s_cbranch_execz .LBB1175_286
; %bb.278:
	s_mov_b32 s1, exec_lo
	v_cmpx_ge_u32_e64 v1, v6
	s_xor_b32 s1, exec_lo, s1
	s_cbranch_execz .LBB1175_284
; %bb.279:
	s_mov_b32 s3, exec_lo
	v_cmpx_ge_u32_e64 v1, v18
	s_xor_b32 s3, exec_lo, s3
	s_cbranch_execz .LBB1175_281
; %bb.280:
	v_dual_mov_b32 v1, 0 :: v_dual_lshlrev_b32 v19, 2, v0
	s_delay_alu instid0(VALU_DEP_1) | instskip(SKIP_2) | instid1(VALU_DEP_1)
	v_add_nc_u64_e32 v[20:21], v[14:15], v[0:1]
	ds_load_b32 v1, v19 offset:2048
	v_lshlrev_b64_e32 v[20:21], 2, v[20:21]
	v_sub_nc_u64_e32 v[20:21], s[14:15], v[20:21]
	s_wait_dscnt 0x0
	global_store_b32 v[20:21], v1, off offset:-2052
.LBB1175_281:
	s_wait_xcnt 0x0
	s_and_not1_saveexec_b32 s3, s3
	s_cbranch_execz .LBB1175_283
; %bb.282:
	v_lshlrev_b32_e32 v1, 2, v0
	v_readfirstlane_b32 s6, v8
	v_readfirstlane_b32 s7, v9
	ds_load_b32 v1, v1 offset:2048
	s_wait_dscnt 0x0
	global_store_b32 v0, v1, s[6:7] offset:2048 scale_offset
.LBB1175_283:
	s_wait_xcnt 0x0
	s_or_b32 exec_lo, exec_lo, s3
.LBB1175_284:
	s_and_not1_saveexec_b32 s1, s1
	s_cbranch_execz .LBB1175_286
; %bb.285:
	v_lshlrev_b32_e32 v1, 2, v0
	v_readfirstlane_b32 s6, v16
	v_readfirstlane_b32 s7, v17
	ds_load_b32 v1, v1 offset:2048
	s_wait_dscnt 0x0
	global_store_b32 v0, v1, s[6:7] offset:2048 scale_offset
.LBB1175_286:
	;; [unrolled: 51-line block ×11, first 2 shown]
	s_wait_xcnt 0x0
	s_or_b32 exec_lo, exec_lo, s0
	v_or_b32_e32 v1, 0xc00, v0
	s_mov_b32 s0, exec_lo
	s_delay_alu instid0(VALU_DEP_1)
	v_cmpx_gt_u32_e64 s5, v1
	s_cbranch_execz .LBB1175_376
; %bb.368:
	s_mov_b32 s1, exec_lo
	v_cmpx_ge_u32_e64 v1, v6
	s_xor_b32 s1, exec_lo, s1
	s_cbranch_execz .LBB1175_374
; %bb.369:
	s_mov_b32 s3, exec_lo
	v_cmpx_ge_u32_e64 v1, v18
	s_xor_b32 s3, exec_lo, s3
	s_cbranch_execz .LBB1175_371
; %bb.370:
	v_dual_mov_b32 v1, 0 :: v_dual_lshlrev_b32 v8, 2, v0
	s_delay_alu instid0(VALU_DEP_1) | instskip(SKIP_2) | instid1(VALU_DEP_1)
	v_add_nc_u64_e32 v[0:1], v[14:15], v[0:1]
	ds_load_b32 v8, v8 offset:12288
	v_lshlrev_b64_e32 v[0:1], 2, v[0:1]
	v_sub_nc_u64_e32 v[0:1], s[14:15], v[0:1]
	s_wait_dscnt 0x0
	global_store_b32 v[0:1], v8, off offset:-12292
                                        ; implicit-def: $vgpr0
                                        ; implicit-def: $vgpr8_vgpr9
.LBB1175_371:
	s_wait_xcnt 0x0
	s_and_not1_saveexec_b32 s3, s3
	s_cbranch_execz .LBB1175_373
; %bb.372:
	v_lshlrev_b32_e32 v1, 2, v0
	v_readfirstlane_b32 s4, v8
	v_readfirstlane_b32 s5, v9
	ds_load_b32 v1, v1 offset:12288
	s_wait_dscnt 0x0
	global_store_b32 v0, v1, s[4:5] offset:12288 scale_offset
.LBB1175_373:
	s_wait_xcnt 0x0
	s_or_b32 exec_lo, exec_lo, s3
                                        ; implicit-def: $vgpr0
                                        ; implicit-def: $vgpr16_vgpr17
.LBB1175_374:
	s_and_not1_saveexec_b32 s1, s1
	s_cbranch_execz .LBB1175_376
; %bb.375:
	v_lshlrev_b32_e32 v1, 2, v0
	v_readfirstlane_b32 s4, v16
	v_readfirstlane_b32 s5, v17
	ds_load_b32 v1, v1 offset:12288
	s_wait_dscnt 0x0
	global_store_b32 v0, v1, s[4:5] offset:12288 scale_offset
.LBB1175_376:
	s_wait_xcnt 0x0
	s_or_b32 exec_lo, exec_lo, s0
	s_and_b32 s0, s2, s26
	s_delay_alu instid0(SALU_CYCLE_1)
	s_and_saveexec_b32 s1, s0
	s_cbranch_execz .LBB1175_153
.LBB1175_377:
	v_add_nc_u64_e32 v[0:1], v[4:5], v[12:13]
	v_add_nc_u64_e32 v[2:3], v[2:3], v[6:7]
	s_delay_alu instid0(VALU_DEP_2)
	v_add_nc_u64_e32 v[4:5], v[0:1], v[10:11]
	v_mov_b32_e32 v0, 0
	global_store_b128 v0, v[2:5], s[24:25]
	s_sendmsg sendmsg(MSG_DEALLOC_VGPRS)
	s_endpgm
	.section	.rodata,"a",@progbits
	.p2align	6, 0x0
	.amdhsa_kernel _ZN7rocprim17ROCPRIM_400000_NS6detail17trampoline_kernelINS0_13select_configILj256ELj13ELNS0_17block_load_methodE3ELS4_3ELS4_3ELNS0_20block_scan_algorithmE0ELj4294967295EEENS1_25partition_config_selectorILNS1_17partition_subalgoE4EjNS0_10empty_typeEbEEZZNS1_14partition_implILS8_4ELb0ES6_15HIP_vector_typeIjLj2EENS0_17counting_iteratorIjlEEPS9_SG_NS0_5tupleIJPjSI_NS0_16reverse_iteratorISI_EEEEENSH_IJSG_SG_SG_EEES9_SI_JZNS1_25segmented_radix_sort_implINS0_14default_configELb0EPKdPdPKlPlN2at6native12_GLOBAL__N_18offset_tEEE10hipError_tPvRmT1_PNSt15iterator_traitsIS12_E10value_typeET2_T3_PNS13_IS18_E10value_typeET4_jRbjT5_S1E_jjP12ihipStream_tbEUljE_ZNSN_ISO_Lb0ESQ_SR_ST_SU_SY_EESZ_S10_S11_S12_S16_S17_S18_S1B_S1C_jS1D_jS1E_S1E_jjS1G_bEUljE0_EEESZ_S10_S11_S18_S1C_S1E_T6_T7_T9_mT8_S1G_bDpT10_ENKUlT_T0_E_clISt17integral_constantIbLb0EES1T_IbLb1EEEEDaS1P_S1Q_EUlS1P_E_NS1_11comp_targetILNS1_3genE0ELNS1_11target_archE4294967295ELNS1_3gpuE0ELNS1_3repE0EEENS1_30default_config_static_selectorELNS0_4arch9wavefront6targetE0EEEvS12_
		.amdhsa_group_segment_fixed_size 13328
		.amdhsa_private_segment_fixed_size 0
		.amdhsa_kernarg_size 184
		.amdhsa_user_sgpr_count 2
		.amdhsa_user_sgpr_dispatch_ptr 0
		.amdhsa_user_sgpr_queue_ptr 0
		.amdhsa_user_sgpr_kernarg_segment_ptr 1
		.amdhsa_user_sgpr_dispatch_id 0
		.amdhsa_user_sgpr_kernarg_preload_length 0
		.amdhsa_user_sgpr_kernarg_preload_offset 0
		.amdhsa_user_sgpr_private_segment_size 0
		.amdhsa_wavefront_size32 1
		.amdhsa_uses_dynamic_stack 0
		.amdhsa_enable_private_segment 0
		.amdhsa_system_sgpr_workgroup_id_x 1
		.amdhsa_system_sgpr_workgroup_id_y 0
		.amdhsa_system_sgpr_workgroup_id_z 0
		.amdhsa_system_sgpr_workgroup_info 0
		.amdhsa_system_vgpr_workitem_id 0
		.amdhsa_next_free_vgpr 86
		.amdhsa_next_free_sgpr 55
		.amdhsa_named_barrier_count 0
		.amdhsa_reserve_vcc 1
		.amdhsa_float_round_mode_32 0
		.amdhsa_float_round_mode_16_64 0
		.amdhsa_float_denorm_mode_32 3
		.amdhsa_float_denorm_mode_16_64 3
		.amdhsa_fp16_overflow 0
		.amdhsa_memory_ordered 1
		.amdhsa_forward_progress 1
		.amdhsa_inst_pref_size 140
		.amdhsa_round_robin_scheduling 0
		.amdhsa_exception_fp_ieee_invalid_op 0
		.amdhsa_exception_fp_denorm_src 0
		.amdhsa_exception_fp_ieee_div_zero 0
		.amdhsa_exception_fp_ieee_overflow 0
		.amdhsa_exception_fp_ieee_underflow 0
		.amdhsa_exception_fp_ieee_inexact 0
		.amdhsa_exception_int_div_zero 0
	.end_amdhsa_kernel
	.section	.text._ZN7rocprim17ROCPRIM_400000_NS6detail17trampoline_kernelINS0_13select_configILj256ELj13ELNS0_17block_load_methodE3ELS4_3ELS4_3ELNS0_20block_scan_algorithmE0ELj4294967295EEENS1_25partition_config_selectorILNS1_17partition_subalgoE4EjNS0_10empty_typeEbEEZZNS1_14partition_implILS8_4ELb0ES6_15HIP_vector_typeIjLj2EENS0_17counting_iteratorIjlEEPS9_SG_NS0_5tupleIJPjSI_NS0_16reverse_iteratorISI_EEEEENSH_IJSG_SG_SG_EEES9_SI_JZNS1_25segmented_radix_sort_implINS0_14default_configELb0EPKdPdPKlPlN2at6native12_GLOBAL__N_18offset_tEEE10hipError_tPvRmT1_PNSt15iterator_traitsIS12_E10value_typeET2_T3_PNS13_IS18_E10value_typeET4_jRbjT5_S1E_jjP12ihipStream_tbEUljE_ZNSN_ISO_Lb0ESQ_SR_ST_SU_SY_EESZ_S10_S11_S12_S16_S17_S18_S1B_S1C_jS1D_jS1E_S1E_jjS1G_bEUljE0_EEESZ_S10_S11_S18_S1C_S1E_T6_T7_T9_mT8_S1G_bDpT10_ENKUlT_T0_E_clISt17integral_constantIbLb0EES1T_IbLb1EEEEDaS1P_S1Q_EUlS1P_E_NS1_11comp_targetILNS1_3genE0ELNS1_11target_archE4294967295ELNS1_3gpuE0ELNS1_3repE0EEENS1_30default_config_static_selectorELNS0_4arch9wavefront6targetE0EEEvS12_,"axG",@progbits,_ZN7rocprim17ROCPRIM_400000_NS6detail17trampoline_kernelINS0_13select_configILj256ELj13ELNS0_17block_load_methodE3ELS4_3ELS4_3ELNS0_20block_scan_algorithmE0ELj4294967295EEENS1_25partition_config_selectorILNS1_17partition_subalgoE4EjNS0_10empty_typeEbEEZZNS1_14partition_implILS8_4ELb0ES6_15HIP_vector_typeIjLj2EENS0_17counting_iteratorIjlEEPS9_SG_NS0_5tupleIJPjSI_NS0_16reverse_iteratorISI_EEEEENSH_IJSG_SG_SG_EEES9_SI_JZNS1_25segmented_radix_sort_implINS0_14default_configELb0EPKdPdPKlPlN2at6native12_GLOBAL__N_18offset_tEEE10hipError_tPvRmT1_PNSt15iterator_traitsIS12_E10value_typeET2_T3_PNS13_IS18_E10value_typeET4_jRbjT5_S1E_jjP12ihipStream_tbEUljE_ZNSN_ISO_Lb0ESQ_SR_ST_SU_SY_EESZ_S10_S11_S12_S16_S17_S18_S1B_S1C_jS1D_jS1E_S1E_jjS1G_bEUljE0_EEESZ_S10_S11_S18_S1C_S1E_T6_T7_T9_mT8_S1G_bDpT10_ENKUlT_T0_E_clISt17integral_constantIbLb0EES1T_IbLb1EEEEDaS1P_S1Q_EUlS1P_E_NS1_11comp_targetILNS1_3genE0ELNS1_11target_archE4294967295ELNS1_3gpuE0ELNS1_3repE0EEENS1_30default_config_static_selectorELNS0_4arch9wavefront6targetE0EEEvS12_,comdat
.Lfunc_end1175:
	.size	_ZN7rocprim17ROCPRIM_400000_NS6detail17trampoline_kernelINS0_13select_configILj256ELj13ELNS0_17block_load_methodE3ELS4_3ELS4_3ELNS0_20block_scan_algorithmE0ELj4294967295EEENS1_25partition_config_selectorILNS1_17partition_subalgoE4EjNS0_10empty_typeEbEEZZNS1_14partition_implILS8_4ELb0ES6_15HIP_vector_typeIjLj2EENS0_17counting_iteratorIjlEEPS9_SG_NS0_5tupleIJPjSI_NS0_16reverse_iteratorISI_EEEEENSH_IJSG_SG_SG_EEES9_SI_JZNS1_25segmented_radix_sort_implINS0_14default_configELb0EPKdPdPKlPlN2at6native12_GLOBAL__N_18offset_tEEE10hipError_tPvRmT1_PNSt15iterator_traitsIS12_E10value_typeET2_T3_PNS13_IS18_E10value_typeET4_jRbjT5_S1E_jjP12ihipStream_tbEUljE_ZNSN_ISO_Lb0ESQ_SR_ST_SU_SY_EESZ_S10_S11_S12_S16_S17_S18_S1B_S1C_jS1D_jS1E_S1E_jjS1G_bEUljE0_EEESZ_S10_S11_S18_S1C_S1E_T6_T7_T9_mT8_S1G_bDpT10_ENKUlT_T0_E_clISt17integral_constantIbLb0EES1T_IbLb1EEEEDaS1P_S1Q_EUlS1P_E_NS1_11comp_targetILNS1_3genE0ELNS1_11target_archE4294967295ELNS1_3gpuE0ELNS1_3repE0EEENS1_30default_config_static_selectorELNS0_4arch9wavefront6targetE0EEEvS12_, .Lfunc_end1175-_ZN7rocprim17ROCPRIM_400000_NS6detail17trampoline_kernelINS0_13select_configILj256ELj13ELNS0_17block_load_methodE3ELS4_3ELS4_3ELNS0_20block_scan_algorithmE0ELj4294967295EEENS1_25partition_config_selectorILNS1_17partition_subalgoE4EjNS0_10empty_typeEbEEZZNS1_14partition_implILS8_4ELb0ES6_15HIP_vector_typeIjLj2EENS0_17counting_iteratorIjlEEPS9_SG_NS0_5tupleIJPjSI_NS0_16reverse_iteratorISI_EEEEENSH_IJSG_SG_SG_EEES9_SI_JZNS1_25segmented_radix_sort_implINS0_14default_configELb0EPKdPdPKlPlN2at6native12_GLOBAL__N_18offset_tEEE10hipError_tPvRmT1_PNSt15iterator_traitsIS12_E10value_typeET2_T3_PNS13_IS18_E10value_typeET4_jRbjT5_S1E_jjP12ihipStream_tbEUljE_ZNSN_ISO_Lb0ESQ_SR_ST_SU_SY_EESZ_S10_S11_S12_S16_S17_S18_S1B_S1C_jS1D_jS1E_S1E_jjS1G_bEUljE0_EEESZ_S10_S11_S18_S1C_S1E_T6_T7_T9_mT8_S1G_bDpT10_ENKUlT_T0_E_clISt17integral_constantIbLb0EES1T_IbLb1EEEEDaS1P_S1Q_EUlS1P_E_NS1_11comp_targetILNS1_3genE0ELNS1_11target_archE4294967295ELNS1_3gpuE0ELNS1_3repE0EEENS1_30default_config_static_selectorELNS0_4arch9wavefront6targetE0EEEvS12_
                                        ; -- End function
	.set _ZN7rocprim17ROCPRIM_400000_NS6detail17trampoline_kernelINS0_13select_configILj256ELj13ELNS0_17block_load_methodE3ELS4_3ELS4_3ELNS0_20block_scan_algorithmE0ELj4294967295EEENS1_25partition_config_selectorILNS1_17partition_subalgoE4EjNS0_10empty_typeEbEEZZNS1_14partition_implILS8_4ELb0ES6_15HIP_vector_typeIjLj2EENS0_17counting_iteratorIjlEEPS9_SG_NS0_5tupleIJPjSI_NS0_16reverse_iteratorISI_EEEEENSH_IJSG_SG_SG_EEES9_SI_JZNS1_25segmented_radix_sort_implINS0_14default_configELb0EPKdPdPKlPlN2at6native12_GLOBAL__N_18offset_tEEE10hipError_tPvRmT1_PNSt15iterator_traitsIS12_E10value_typeET2_T3_PNS13_IS18_E10value_typeET4_jRbjT5_S1E_jjP12ihipStream_tbEUljE_ZNSN_ISO_Lb0ESQ_SR_ST_SU_SY_EESZ_S10_S11_S12_S16_S17_S18_S1B_S1C_jS1D_jS1E_S1E_jjS1G_bEUljE0_EEESZ_S10_S11_S18_S1C_S1E_T6_T7_T9_mT8_S1G_bDpT10_ENKUlT_T0_E_clISt17integral_constantIbLb0EES1T_IbLb1EEEEDaS1P_S1Q_EUlS1P_E_NS1_11comp_targetILNS1_3genE0ELNS1_11target_archE4294967295ELNS1_3gpuE0ELNS1_3repE0EEENS1_30default_config_static_selectorELNS0_4arch9wavefront6targetE0EEEvS12_.num_vgpr, 86
	.set _ZN7rocprim17ROCPRIM_400000_NS6detail17trampoline_kernelINS0_13select_configILj256ELj13ELNS0_17block_load_methodE3ELS4_3ELS4_3ELNS0_20block_scan_algorithmE0ELj4294967295EEENS1_25partition_config_selectorILNS1_17partition_subalgoE4EjNS0_10empty_typeEbEEZZNS1_14partition_implILS8_4ELb0ES6_15HIP_vector_typeIjLj2EENS0_17counting_iteratorIjlEEPS9_SG_NS0_5tupleIJPjSI_NS0_16reverse_iteratorISI_EEEEENSH_IJSG_SG_SG_EEES9_SI_JZNS1_25segmented_radix_sort_implINS0_14default_configELb0EPKdPdPKlPlN2at6native12_GLOBAL__N_18offset_tEEE10hipError_tPvRmT1_PNSt15iterator_traitsIS12_E10value_typeET2_T3_PNS13_IS18_E10value_typeET4_jRbjT5_S1E_jjP12ihipStream_tbEUljE_ZNSN_ISO_Lb0ESQ_SR_ST_SU_SY_EESZ_S10_S11_S12_S16_S17_S18_S1B_S1C_jS1D_jS1E_S1E_jjS1G_bEUljE0_EEESZ_S10_S11_S18_S1C_S1E_T6_T7_T9_mT8_S1G_bDpT10_ENKUlT_T0_E_clISt17integral_constantIbLb0EES1T_IbLb1EEEEDaS1P_S1Q_EUlS1P_E_NS1_11comp_targetILNS1_3genE0ELNS1_11target_archE4294967295ELNS1_3gpuE0ELNS1_3repE0EEENS1_30default_config_static_selectorELNS0_4arch9wavefront6targetE0EEEvS12_.num_agpr, 0
	.set _ZN7rocprim17ROCPRIM_400000_NS6detail17trampoline_kernelINS0_13select_configILj256ELj13ELNS0_17block_load_methodE3ELS4_3ELS4_3ELNS0_20block_scan_algorithmE0ELj4294967295EEENS1_25partition_config_selectorILNS1_17partition_subalgoE4EjNS0_10empty_typeEbEEZZNS1_14partition_implILS8_4ELb0ES6_15HIP_vector_typeIjLj2EENS0_17counting_iteratorIjlEEPS9_SG_NS0_5tupleIJPjSI_NS0_16reverse_iteratorISI_EEEEENSH_IJSG_SG_SG_EEES9_SI_JZNS1_25segmented_radix_sort_implINS0_14default_configELb0EPKdPdPKlPlN2at6native12_GLOBAL__N_18offset_tEEE10hipError_tPvRmT1_PNSt15iterator_traitsIS12_E10value_typeET2_T3_PNS13_IS18_E10value_typeET4_jRbjT5_S1E_jjP12ihipStream_tbEUljE_ZNSN_ISO_Lb0ESQ_SR_ST_SU_SY_EESZ_S10_S11_S12_S16_S17_S18_S1B_S1C_jS1D_jS1E_S1E_jjS1G_bEUljE0_EEESZ_S10_S11_S18_S1C_S1E_T6_T7_T9_mT8_S1G_bDpT10_ENKUlT_T0_E_clISt17integral_constantIbLb0EES1T_IbLb1EEEEDaS1P_S1Q_EUlS1P_E_NS1_11comp_targetILNS1_3genE0ELNS1_11target_archE4294967295ELNS1_3gpuE0ELNS1_3repE0EEENS1_30default_config_static_selectorELNS0_4arch9wavefront6targetE0EEEvS12_.numbered_sgpr, 55
	.set _ZN7rocprim17ROCPRIM_400000_NS6detail17trampoline_kernelINS0_13select_configILj256ELj13ELNS0_17block_load_methodE3ELS4_3ELS4_3ELNS0_20block_scan_algorithmE0ELj4294967295EEENS1_25partition_config_selectorILNS1_17partition_subalgoE4EjNS0_10empty_typeEbEEZZNS1_14partition_implILS8_4ELb0ES6_15HIP_vector_typeIjLj2EENS0_17counting_iteratorIjlEEPS9_SG_NS0_5tupleIJPjSI_NS0_16reverse_iteratorISI_EEEEENSH_IJSG_SG_SG_EEES9_SI_JZNS1_25segmented_radix_sort_implINS0_14default_configELb0EPKdPdPKlPlN2at6native12_GLOBAL__N_18offset_tEEE10hipError_tPvRmT1_PNSt15iterator_traitsIS12_E10value_typeET2_T3_PNS13_IS18_E10value_typeET4_jRbjT5_S1E_jjP12ihipStream_tbEUljE_ZNSN_ISO_Lb0ESQ_SR_ST_SU_SY_EESZ_S10_S11_S12_S16_S17_S18_S1B_S1C_jS1D_jS1E_S1E_jjS1G_bEUljE0_EEESZ_S10_S11_S18_S1C_S1E_T6_T7_T9_mT8_S1G_bDpT10_ENKUlT_T0_E_clISt17integral_constantIbLb0EES1T_IbLb1EEEEDaS1P_S1Q_EUlS1P_E_NS1_11comp_targetILNS1_3genE0ELNS1_11target_archE4294967295ELNS1_3gpuE0ELNS1_3repE0EEENS1_30default_config_static_selectorELNS0_4arch9wavefront6targetE0EEEvS12_.num_named_barrier, 0
	.set _ZN7rocprim17ROCPRIM_400000_NS6detail17trampoline_kernelINS0_13select_configILj256ELj13ELNS0_17block_load_methodE3ELS4_3ELS4_3ELNS0_20block_scan_algorithmE0ELj4294967295EEENS1_25partition_config_selectorILNS1_17partition_subalgoE4EjNS0_10empty_typeEbEEZZNS1_14partition_implILS8_4ELb0ES6_15HIP_vector_typeIjLj2EENS0_17counting_iteratorIjlEEPS9_SG_NS0_5tupleIJPjSI_NS0_16reverse_iteratorISI_EEEEENSH_IJSG_SG_SG_EEES9_SI_JZNS1_25segmented_radix_sort_implINS0_14default_configELb0EPKdPdPKlPlN2at6native12_GLOBAL__N_18offset_tEEE10hipError_tPvRmT1_PNSt15iterator_traitsIS12_E10value_typeET2_T3_PNS13_IS18_E10value_typeET4_jRbjT5_S1E_jjP12ihipStream_tbEUljE_ZNSN_ISO_Lb0ESQ_SR_ST_SU_SY_EESZ_S10_S11_S12_S16_S17_S18_S1B_S1C_jS1D_jS1E_S1E_jjS1G_bEUljE0_EEESZ_S10_S11_S18_S1C_S1E_T6_T7_T9_mT8_S1G_bDpT10_ENKUlT_T0_E_clISt17integral_constantIbLb0EES1T_IbLb1EEEEDaS1P_S1Q_EUlS1P_E_NS1_11comp_targetILNS1_3genE0ELNS1_11target_archE4294967295ELNS1_3gpuE0ELNS1_3repE0EEENS1_30default_config_static_selectorELNS0_4arch9wavefront6targetE0EEEvS12_.private_seg_size, 0
	.set _ZN7rocprim17ROCPRIM_400000_NS6detail17trampoline_kernelINS0_13select_configILj256ELj13ELNS0_17block_load_methodE3ELS4_3ELS4_3ELNS0_20block_scan_algorithmE0ELj4294967295EEENS1_25partition_config_selectorILNS1_17partition_subalgoE4EjNS0_10empty_typeEbEEZZNS1_14partition_implILS8_4ELb0ES6_15HIP_vector_typeIjLj2EENS0_17counting_iteratorIjlEEPS9_SG_NS0_5tupleIJPjSI_NS0_16reverse_iteratorISI_EEEEENSH_IJSG_SG_SG_EEES9_SI_JZNS1_25segmented_radix_sort_implINS0_14default_configELb0EPKdPdPKlPlN2at6native12_GLOBAL__N_18offset_tEEE10hipError_tPvRmT1_PNSt15iterator_traitsIS12_E10value_typeET2_T3_PNS13_IS18_E10value_typeET4_jRbjT5_S1E_jjP12ihipStream_tbEUljE_ZNSN_ISO_Lb0ESQ_SR_ST_SU_SY_EESZ_S10_S11_S12_S16_S17_S18_S1B_S1C_jS1D_jS1E_S1E_jjS1G_bEUljE0_EEESZ_S10_S11_S18_S1C_S1E_T6_T7_T9_mT8_S1G_bDpT10_ENKUlT_T0_E_clISt17integral_constantIbLb0EES1T_IbLb1EEEEDaS1P_S1Q_EUlS1P_E_NS1_11comp_targetILNS1_3genE0ELNS1_11target_archE4294967295ELNS1_3gpuE0ELNS1_3repE0EEENS1_30default_config_static_selectorELNS0_4arch9wavefront6targetE0EEEvS12_.uses_vcc, 1
	.set _ZN7rocprim17ROCPRIM_400000_NS6detail17trampoline_kernelINS0_13select_configILj256ELj13ELNS0_17block_load_methodE3ELS4_3ELS4_3ELNS0_20block_scan_algorithmE0ELj4294967295EEENS1_25partition_config_selectorILNS1_17partition_subalgoE4EjNS0_10empty_typeEbEEZZNS1_14partition_implILS8_4ELb0ES6_15HIP_vector_typeIjLj2EENS0_17counting_iteratorIjlEEPS9_SG_NS0_5tupleIJPjSI_NS0_16reverse_iteratorISI_EEEEENSH_IJSG_SG_SG_EEES9_SI_JZNS1_25segmented_radix_sort_implINS0_14default_configELb0EPKdPdPKlPlN2at6native12_GLOBAL__N_18offset_tEEE10hipError_tPvRmT1_PNSt15iterator_traitsIS12_E10value_typeET2_T3_PNS13_IS18_E10value_typeET4_jRbjT5_S1E_jjP12ihipStream_tbEUljE_ZNSN_ISO_Lb0ESQ_SR_ST_SU_SY_EESZ_S10_S11_S12_S16_S17_S18_S1B_S1C_jS1D_jS1E_S1E_jjS1G_bEUljE0_EEESZ_S10_S11_S18_S1C_S1E_T6_T7_T9_mT8_S1G_bDpT10_ENKUlT_T0_E_clISt17integral_constantIbLb0EES1T_IbLb1EEEEDaS1P_S1Q_EUlS1P_E_NS1_11comp_targetILNS1_3genE0ELNS1_11target_archE4294967295ELNS1_3gpuE0ELNS1_3repE0EEENS1_30default_config_static_selectorELNS0_4arch9wavefront6targetE0EEEvS12_.uses_flat_scratch, 0
	.set _ZN7rocprim17ROCPRIM_400000_NS6detail17trampoline_kernelINS0_13select_configILj256ELj13ELNS0_17block_load_methodE3ELS4_3ELS4_3ELNS0_20block_scan_algorithmE0ELj4294967295EEENS1_25partition_config_selectorILNS1_17partition_subalgoE4EjNS0_10empty_typeEbEEZZNS1_14partition_implILS8_4ELb0ES6_15HIP_vector_typeIjLj2EENS0_17counting_iteratorIjlEEPS9_SG_NS0_5tupleIJPjSI_NS0_16reverse_iteratorISI_EEEEENSH_IJSG_SG_SG_EEES9_SI_JZNS1_25segmented_radix_sort_implINS0_14default_configELb0EPKdPdPKlPlN2at6native12_GLOBAL__N_18offset_tEEE10hipError_tPvRmT1_PNSt15iterator_traitsIS12_E10value_typeET2_T3_PNS13_IS18_E10value_typeET4_jRbjT5_S1E_jjP12ihipStream_tbEUljE_ZNSN_ISO_Lb0ESQ_SR_ST_SU_SY_EESZ_S10_S11_S12_S16_S17_S18_S1B_S1C_jS1D_jS1E_S1E_jjS1G_bEUljE0_EEESZ_S10_S11_S18_S1C_S1E_T6_T7_T9_mT8_S1G_bDpT10_ENKUlT_T0_E_clISt17integral_constantIbLb0EES1T_IbLb1EEEEDaS1P_S1Q_EUlS1P_E_NS1_11comp_targetILNS1_3genE0ELNS1_11target_archE4294967295ELNS1_3gpuE0ELNS1_3repE0EEENS1_30default_config_static_selectorELNS0_4arch9wavefront6targetE0EEEvS12_.has_dyn_sized_stack, 0
	.set _ZN7rocprim17ROCPRIM_400000_NS6detail17trampoline_kernelINS0_13select_configILj256ELj13ELNS0_17block_load_methodE3ELS4_3ELS4_3ELNS0_20block_scan_algorithmE0ELj4294967295EEENS1_25partition_config_selectorILNS1_17partition_subalgoE4EjNS0_10empty_typeEbEEZZNS1_14partition_implILS8_4ELb0ES6_15HIP_vector_typeIjLj2EENS0_17counting_iteratorIjlEEPS9_SG_NS0_5tupleIJPjSI_NS0_16reverse_iteratorISI_EEEEENSH_IJSG_SG_SG_EEES9_SI_JZNS1_25segmented_radix_sort_implINS0_14default_configELb0EPKdPdPKlPlN2at6native12_GLOBAL__N_18offset_tEEE10hipError_tPvRmT1_PNSt15iterator_traitsIS12_E10value_typeET2_T3_PNS13_IS18_E10value_typeET4_jRbjT5_S1E_jjP12ihipStream_tbEUljE_ZNSN_ISO_Lb0ESQ_SR_ST_SU_SY_EESZ_S10_S11_S12_S16_S17_S18_S1B_S1C_jS1D_jS1E_S1E_jjS1G_bEUljE0_EEESZ_S10_S11_S18_S1C_S1E_T6_T7_T9_mT8_S1G_bDpT10_ENKUlT_T0_E_clISt17integral_constantIbLb0EES1T_IbLb1EEEEDaS1P_S1Q_EUlS1P_E_NS1_11comp_targetILNS1_3genE0ELNS1_11target_archE4294967295ELNS1_3gpuE0ELNS1_3repE0EEENS1_30default_config_static_selectorELNS0_4arch9wavefront6targetE0EEEvS12_.has_recursion, 0
	.set _ZN7rocprim17ROCPRIM_400000_NS6detail17trampoline_kernelINS0_13select_configILj256ELj13ELNS0_17block_load_methodE3ELS4_3ELS4_3ELNS0_20block_scan_algorithmE0ELj4294967295EEENS1_25partition_config_selectorILNS1_17partition_subalgoE4EjNS0_10empty_typeEbEEZZNS1_14partition_implILS8_4ELb0ES6_15HIP_vector_typeIjLj2EENS0_17counting_iteratorIjlEEPS9_SG_NS0_5tupleIJPjSI_NS0_16reverse_iteratorISI_EEEEENSH_IJSG_SG_SG_EEES9_SI_JZNS1_25segmented_radix_sort_implINS0_14default_configELb0EPKdPdPKlPlN2at6native12_GLOBAL__N_18offset_tEEE10hipError_tPvRmT1_PNSt15iterator_traitsIS12_E10value_typeET2_T3_PNS13_IS18_E10value_typeET4_jRbjT5_S1E_jjP12ihipStream_tbEUljE_ZNSN_ISO_Lb0ESQ_SR_ST_SU_SY_EESZ_S10_S11_S12_S16_S17_S18_S1B_S1C_jS1D_jS1E_S1E_jjS1G_bEUljE0_EEESZ_S10_S11_S18_S1C_S1E_T6_T7_T9_mT8_S1G_bDpT10_ENKUlT_T0_E_clISt17integral_constantIbLb0EES1T_IbLb1EEEEDaS1P_S1Q_EUlS1P_E_NS1_11comp_targetILNS1_3genE0ELNS1_11target_archE4294967295ELNS1_3gpuE0ELNS1_3repE0EEENS1_30default_config_static_selectorELNS0_4arch9wavefront6targetE0EEEvS12_.has_indirect_call, 0
	.section	.AMDGPU.csdata,"",@progbits
; Kernel info:
; codeLenInByte = 17828
; TotalNumSgprs: 57
; NumVgprs: 86
; ScratchSize: 0
; MemoryBound: 0
; FloatMode: 240
; IeeeMode: 1
; LDSByteSize: 13328 bytes/workgroup (compile time only)
; SGPRBlocks: 0
; VGPRBlocks: 5
; NumSGPRsForWavesPerEU: 57
; NumVGPRsForWavesPerEU: 86
; NamedBarCnt: 0
; Occupancy: 10
; WaveLimiterHint : 1
; COMPUTE_PGM_RSRC2:SCRATCH_EN: 0
; COMPUTE_PGM_RSRC2:USER_SGPR: 2
; COMPUTE_PGM_RSRC2:TRAP_HANDLER: 0
; COMPUTE_PGM_RSRC2:TGID_X_EN: 1
; COMPUTE_PGM_RSRC2:TGID_Y_EN: 0
; COMPUTE_PGM_RSRC2:TGID_Z_EN: 0
; COMPUTE_PGM_RSRC2:TIDIG_COMP_CNT: 0
	.section	.text._ZN7rocprim17ROCPRIM_400000_NS6detail17trampoline_kernelINS0_13select_configILj256ELj13ELNS0_17block_load_methodE3ELS4_3ELS4_3ELNS0_20block_scan_algorithmE0ELj4294967295EEENS1_25partition_config_selectorILNS1_17partition_subalgoE4EjNS0_10empty_typeEbEEZZNS1_14partition_implILS8_4ELb0ES6_15HIP_vector_typeIjLj2EENS0_17counting_iteratorIjlEEPS9_SG_NS0_5tupleIJPjSI_NS0_16reverse_iteratorISI_EEEEENSH_IJSG_SG_SG_EEES9_SI_JZNS1_25segmented_radix_sort_implINS0_14default_configELb0EPKdPdPKlPlN2at6native12_GLOBAL__N_18offset_tEEE10hipError_tPvRmT1_PNSt15iterator_traitsIS12_E10value_typeET2_T3_PNS13_IS18_E10value_typeET4_jRbjT5_S1E_jjP12ihipStream_tbEUljE_ZNSN_ISO_Lb0ESQ_SR_ST_SU_SY_EESZ_S10_S11_S12_S16_S17_S18_S1B_S1C_jS1D_jS1E_S1E_jjS1G_bEUljE0_EEESZ_S10_S11_S18_S1C_S1E_T6_T7_T9_mT8_S1G_bDpT10_ENKUlT_T0_E_clISt17integral_constantIbLb0EES1T_IbLb1EEEEDaS1P_S1Q_EUlS1P_E_NS1_11comp_targetILNS1_3genE5ELNS1_11target_archE942ELNS1_3gpuE9ELNS1_3repE0EEENS1_30default_config_static_selectorELNS0_4arch9wavefront6targetE0EEEvS12_,"axG",@progbits,_ZN7rocprim17ROCPRIM_400000_NS6detail17trampoline_kernelINS0_13select_configILj256ELj13ELNS0_17block_load_methodE3ELS4_3ELS4_3ELNS0_20block_scan_algorithmE0ELj4294967295EEENS1_25partition_config_selectorILNS1_17partition_subalgoE4EjNS0_10empty_typeEbEEZZNS1_14partition_implILS8_4ELb0ES6_15HIP_vector_typeIjLj2EENS0_17counting_iteratorIjlEEPS9_SG_NS0_5tupleIJPjSI_NS0_16reverse_iteratorISI_EEEEENSH_IJSG_SG_SG_EEES9_SI_JZNS1_25segmented_radix_sort_implINS0_14default_configELb0EPKdPdPKlPlN2at6native12_GLOBAL__N_18offset_tEEE10hipError_tPvRmT1_PNSt15iterator_traitsIS12_E10value_typeET2_T3_PNS13_IS18_E10value_typeET4_jRbjT5_S1E_jjP12ihipStream_tbEUljE_ZNSN_ISO_Lb0ESQ_SR_ST_SU_SY_EESZ_S10_S11_S12_S16_S17_S18_S1B_S1C_jS1D_jS1E_S1E_jjS1G_bEUljE0_EEESZ_S10_S11_S18_S1C_S1E_T6_T7_T9_mT8_S1G_bDpT10_ENKUlT_T0_E_clISt17integral_constantIbLb0EES1T_IbLb1EEEEDaS1P_S1Q_EUlS1P_E_NS1_11comp_targetILNS1_3genE5ELNS1_11target_archE942ELNS1_3gpuE9ELNS1_3repE0EEENS1_30default_config_static_selectorELNS0_4arch9wavefront6targetE0EEEvS12_,comdat
	.globl	_ZN7rocprim17ROCPRIM_400000_NS6detail17trampoline_kernelINS0_13select_configILj256ELj13ELNS0_17block_load_methodE3ELS4_3ELS4_3ELNS0_20block_scan_algorithmE0ELj4294967295EEENS1_25partition_config_selectorILNS1_17partition_subalgoE4EjNS0_10empty_typeEbEEZZNS1_14partition_implILS8_4ELb0ES6_15HIP_vector_typeIjLj2EENS0_17counting_iteratorIjlEEPS9_SG_NS0_5tupleIJPjSI_NS0_16reverse_iteratorISI_EEEEENSH_IJSG_SG_SG_EEES9_SI_JZNS1_25segmented_radix_sort_implINS0_14default_configELb0EPKdPdPKlPlN2at6native12_GLOBAL__N_18offset_tEEE10hipError_tPvRmT1_PNSt15iterator_traitsIS12_E10value_typeET2_T3_PNS13_IS18_E10value_typeET4_jRbjT5_S1E_jjP12ihipStream_tbEUljE_ZNSN_ISO_Lb0ESQ_SR_ST_SU_SY_EESZ_S10_S11_S12_S16_S17_S18_S1B_S1C_jS1D_jS1E_S1E_jjS1G_bEUljE0_EEESZ_S10_S11_S18_S1C_S1E_T6_T7_T9_mT8_S1G_bDpT10_ENKUlT_T0_E_clISt17integral_constantIbLb0EES1T_IbLb1EEEEDaS1P_S1Q_EUlS1P_E_NS1_11comp_targetILNS1_3genE5ELNS1_11target_archE942ELNS1_3gpuE9ELNS1_3repE0EEENS1_30default_config_static_selectorELNS0_4arch9wavefront6targetE0EEEvS12_ ; -- Begin function _ZN7rocprim17ROCPRIM_400000_NS6detail17trampoline_kernelINS0_13select_configILj256ELj13ELNS0_17block_load_methodE3ELS4_3ELS4_3ELNS0_20block_scan_algorithmE0ELj4294967295EEENS1_25partition_config_selectorILNS1_17partition_subalgoE4EjNS0_10empty_typeEbEEZZNS1_14partition_implILS8_4ELb0ES6_15HIP_vector_typeIjLj2EENS0_17counting_iteratorIjlEEPS9_SG_NS0_5tupleIJPjSI_NS0_16reverse_iteratorISI_EEEEENSH_IJSG_SG_SG_EEES9_SI_JZNS1_25segmented_radix_sort_implINS0_14default_configELb0EPKdPdPKlPlN2at6native12_GLOBAL__N_18offset_tEEE10hipError_tPvRmT1_PNSt15iterator_traitsIS12_E10value_typeET2_T3_PNS13_IS18_E10value_typeET4_jRbjT5_S1E_jjP12ihipStream_tbEUljE_ZNSN_ISO_Lb0ESQ_SR_ST_SU_SY_EESZ_S10_S11_S12_S16_S17_S18_S1B_S1C_jS1D_jS1E_S1E_jjS1G_bEUljE0_EEESZ_S10_S11_S18_S1C_S1E_T6_T7_T9_mT8_S1G_bDpT10_ENKUlT_T0_E_clISt17integral_constantIbLb0EES1T_IbLb1EEEEDaS1P_S1Q_EUlS1P_E_NS1_11comp_targetILNS1_3genE5ELNS1_11target_archE942ELNS1_3gpuE9ELNS1_3repE0EEENS1_30default_config_static_selectorELNS0_4arch9wavefront6targetE0EEEvS12_
	.p2align	8
	.type	_ZN7rocprim17ROCPRIM_400000_NS6detail17trampoline_kernelINS0_13select_configILj256ELj13ELNS0_17block_load_methodE3ELS4_3ELS4_3ELNS0_20block_scan_algorithmE0ELj4294967295EEENS1_25partition_config_selectorILNS1_17partition_subalgoE4EjNS0_10empty_typeEbEEZZNS1_14partition_implILS8_4ELb0ES6_15HIP_vector_typeIjLj2EENS0_17counting_iteratorIjlEEPS9_SG_NS0_5tupleIJPjSI_NS0_16reverse_iteratorISI_EEEEENSH_IJSG_SG_SG_EEES9_SI_JZNS1_25segmented_radix_sort_implINS0_14default_configELb0EPKdPdPKlPlN2at6native12_GLOBAL__N_18offset_tEEE10hipError_tPvRmT1_PNSt15iterator_traitsIS12_E10value_typeET2_T3_PNS13_IS18_E10value_typeET4_jRbjT5_S1E_jjP12ihipStream_tbEUljE_ZNSN_ISO_Lb0ESQ_SR_ST_SU_SY_EESZ_S10_S11_S12_S16_S17_S18_S1B_S1C_jS1D_jS1E_S1E_jjS1G_bEUljE0_EEESZ_S10_S11_S18_S1C_S1E_T6_T7_T9_mT8_S1G_bDpT10_ENKUlT_T0_E_clISt17integral_constantIbLb0EES1T_IbLb1EEEEDaS1P_S1Q_EUlS1P_E_NS1_11comp_targetILNS1_3genE5ELNS1_11target_archE942ELNS1_3gpuE9ELNS1_3repE0EEENS1_30default_config_static_selectorELNS0_4arch9wavefront6targetE0EEEvS12_,@function
_ZN7rocprim17ROCPRIM_400000_NS6detail17trampoline_kernelINS0_13select_configILj256ELj13ELNS0_17block_load_methodE3ELS4_3ELS4_3ELNS0_20block_scan_algorithmE0ELj4294967295EEENS1_25partition_config_selectorILNS1_17partition_subalgoE4EjNS0_10empty_typeEbEEZZNS1_14partition_implILS8_4ELb0ES6_15HIP_vector_typeIjLj2EENS0_17counting_iteratorIjlEEPS9_SG_NS0_5tupleIJPjSI_NS0_16reverse_iteratorISI_EEEEENSH_IJSG_SG_SG_EEES9_SI_JZNS1_25segmented_radix_sort_implINS0_14default_configELb0EPKdPdPKlPlN2at6native12_GLOBAL__N_18offset_tEEE10hipError_tPvRmT1_PNSt15iterator_traitsIS12_E10value_typeET2_T3_PNS13_IS18_E10value_typeET4_jRbjT5_S1E_jjP12ihipStream_tbEUljE_ZNSN_ISO_Lb0ESQ_SR_ST_SU_SY_EESZ_S10_S11_S12_S16_S17_S18_S1B_S1C_jS1D_jS1E_S1E_jjS1G_bEUljE0_EEESZ_S10_S11_S18_S1C_S1E_T6_T7_T9_mT8_S1G_bDpT10_ENKUlT_T0_E_clISt17integral_constantIbLb0EES1T_IbLb1EEEEDaS1P_S1Q_EUlS1P_E_NS1_11comp_targetILNS1_3genE5ELNS1_11target_archE942ELNS1_3gpuE9ELNS1_3repE0EEENS1_30default_config_static_selectorELNS0_4arch9wavefront6targetE0EEEvS12_: ; @_ZN7rocprim17ROCPRIM_400000_NS6detail17trampoline_kernelINS0_13select_configILj256ELj13ELNS0_17block_load_methodE3ELS4_3ELS4_3ELNS0_20block_scan_algorithmE0ELj4294967295EEENS1_25partition_config_selectorILNS1_17partition_subalgoE4EjNS0_10empty_typeEbEEZZNS1_14partition_implILS8_4ELb0ES6_15HIP_vector_typeIjLj2EENS0_17counting_iteratorIjlEEPS9_SG_NS0_5tupleIJPjSI_NS0_16reverse_iteratorISI_EEEEENSH_IJSG_SG_SG_EEES9_SI_JZNS1_25segmented_radix_sort_implINS0_14default_configELb0EPKdPdPKlPlN2at6native12_GLOBAL__N_18offset_tEEE10hipError_tPvRmT1_PNSt15iterator_traitsIS12_E10value_typeET2_T3_PNS13_IS18_E10value_typeET4_jRbjT5_S1E_jjP12ihipStream_tbEUljE_ZNSN_ISO_Lb0ESQ_SR_ST_SU_SY_EESZ_S10_S11_S12_S16_S17_S18_S1B_S1C_jS1D_jS1E_S1E_jjS1G_bEUljE0_EEESZ_S10_S11_S18_S1C_S1E_T6_T7_T9_mT8_S1G_bDpT10_ENKUlT_T0_E_clISt17integral_constantIbLb0EES1T_IbLb1EEEEDaS1P_S1Q_EUlS1P_E_NS1_11comp_targetILNS1_3genE5ELNS1_11target_archE942ELNS1_3gpuE9ELNS1_3repE0EEENS1_30default_config_static_selectorELNS0_4arch9wavefront6targetE0EEEvS12_
; %bb.0:
	.section	.rodata,"a",@progbits
	.p2align	6, 0x0
	.amdhsa_kernel _ZN7rocprim17ROCPRIM_400000_NS6detail17trampoline_kernelINS0_13select_configILj256ELj13ELNS0_17block_load_methodE3ELS4_3ELS4_3ELNS0_20block_scan_algorithmE0ELj4294967295EEENS1_25partition_config_selectorILNS1_17partition_subalgoE4EjNS0_10empty_typeEbEEZZNS1_14partition_implILS8_4ELb0ES6_15HIP_vector_typeIjLj2EENS0_17counting_iteratorIjlEEPS9_SG_NS0_5tupleIJPjSI_NS0_16reverse_iteratorISI_EEEEENSH_IJSG_SG_SG_EEES9_SI_JZNS1_25segmented_radix_sort_implINS0_14default_configELb0EPKdPdPKlPlN2at6native12_GLOBAL__N_18offset_tEEE10hipError_tPvRmT1_PNSt15iterator_traitsIS12_E10value_typeET2_T3_PNS13_IS18_E10value_typeET4_jRbjT5_S1E_jjP12ihipStream_tbEUljE_ZNSN_ISO_Lb0ESQ_SR_ST_SU_SY_EESZ_S10_S11_S12_S16_S17_S18_S1B_S1C_jS1D_jS1E_S1E_jjS1G_bEUljE0_EEESZ_S10_S11_S18_S1C_S1E_T6_T7_T9_mT8_S1G_bDpT10_ENKUlT_T0_E_clISt17integral_constantIbLb0EES1T_IbLb1EEEEDaS1P_S1Q_EUlS1P_E_NS1_11comp_targetILNS1_3genE5ELNS1_11target_archE942ELNS1_3gpuE9ELNS1_3repE0EEENS1_30default_config_static_selectorELNS0_4arch9wavefront6targetE0EEEvS12_
		.amdhsa_group_segment_fixed_size 0
		.amdhsa_private_segment_fixed_size 0
		.amdhsa_kernarg_size 184
		.amdhsa_user_sgpr_count 2
		.amdhsa_user_sgpr_dispatch_ptr 0
		.amdhsa_user_sgpr_queue_ptr 0
		.amdhsa_user_sgpr_kernarg_segment_ptr 1
		.amdhsa_user_sgpr_dispatch_id 0
		.amdhsa_user_sgpr_kernarg_preload_length 0
		.amdhsa_user_sgpr_kernarg_preload_offset 0
		.amdhsa_user_sgpr_private_segment_size 0
		.amdhsa_wavefront_size32 1
		.amdhsa_uses_dynamic_stack 0
		.amdhsa_enable_private_segment 0
		.amdhsa_system_sgpr_workgroup_id_x 1
		.amdhsa_system_sgpr_workgroup_id_y 0
		.amdhsa_system_sgpr_workgroup_id_z 0
		.amdhsa_system_sgpr_workgroup_info 0
		.amdhsa_system_vgpr_workitem_id 0
		.amdhsa_next_free_vgpr 1
		.amdhsa_next_free_sgpr 1
		.amdhsa_named_barrier_count 0
		.amdhsa_reserve_vcc 0
		.amdhsa_float_round_mode_32 0
		.amdhsa_float_round_mode_16_64 0
		.amdhsa_float_denorm_mode_32 3
		.amdhsa_float_denorm_mode_16_64 3
		.amdhsa_fp16_overflow 0
		.amdhsa_memory_ordered 1
		.amdhsa_forward_progress 1
		.amdhsa_inst_pref_size 0
		.amdhsa_round_robin_scheduling 0
		.amdhsa_exception_fp_ieee_invalid_op 0
		.amdhsa_exception_fp_denorm_src 0
		.amdhsa_exception_fp_ieee_div_zero 0
		.amdhsa_exception_fp_ieee_overflow 0
		.amdhsa_exception_fp_ieee_underflow 0
		.amdhsa_exception_fp_ieee_inexact 0
		.amdhsa_exception_int_div_zero 0
	.end_amdhsa_kernel
	.section	.text._ZN7rocprim17ROCPRIM_400000_NS6detail17trampoline_kernelINS0_13select_configILj256ELj13ELNS0_17block_load_methodE3ELS4_3ELS4_3ELNS0_20block_scan_algorithmE0ELj4294967295EEENS1_25partition_config_selectorILNS1_17partition_subalgoE4EjNS0_10empty_typeEbEEZZNS1_14partition_implILS8_4ELb0ES6_15HIP_vector_typeIjLj2EENS0_17counting_iteratorIjlEEPS9_SG_NS0_5tupleIJPjSI_NS0_16reverse_iteratorISI_EEEEENSH_IJSG_SG_SG_EEES9_SI_JZNS1_25segmented_radix_sort_implINS0_14default_configELb0EPKdPdPKlPlN2at6native12_GLOBAL__N_18offset_tEEE10hipError_tPvRmT1_PNSt15iterator_traitsIS12_E10value_typeET2_T3_PNS13_IS18_E10value_typeET4_jRbjT5_S1E_jjP12ihipStream_tbEUljE_ZNSN_ISO_Lb0ESQ_SR_ST_SU_SY_EESZ_S10_S11_S12_S16_S17_S18_S1B_S1C_jS1D_jS1E_S1E_jjS1G_bEUljE0_EEESZ_S10_S11_S18_S1C_S1E_T6_T7_T9_mT8_S1G_bDpT10_ENKUlT_T0_E_clISt17integral_constantIbLb0EES1T_IbLb1EEEEDaS1P_S1Q_EUlS1P_E_NS1_11comp_targetILNS1_3genE5ELNS1_11target_archE942ELNS1_3gpuE9ELNS1_3repE0EEENS1_30default_config_static_selectorELNS0_4arch9wavefront6targetE0EEEvS12_,"axG",@progbits,_ZN7rocprim17ROCPRIM_400000_NS6detail17trampoline_kernelINS0_13select_configILj256ELj13ELNS0_17block_load_methodE3ELS4_3ELS4_3ELNS0_20block_scan_algorithmE0ELj4294967295EEENS1_25partition_config_selectorILNS1_17partition_subalgoE4EjNS0_10empty_typeEbEEZZNS1_14partition_implILS8_4ELb0ES6_15HIP_vector_typeIjLj2EENS0_17counting_iteratorIjlEEPS9_SG_NS0_5tupleIJPjSI_NS0_16reverse_iteratorISI_EEEEENSH_IJSG_SG_SG_EEES9_SI_JZNS1_25segmented_radix_sort_implINS0_14default_configELb0EPKdPdPKlPlN2at6native12_GLOBAL__N_18offset_tEEE10hipError_tPvRmT1_PNSt15iterator_traitsIS12_E10value_typeET2_T3_PNS13_IS18_E10value_typeET4_jRbjT5_S1E_jjP12ihipStream_tbEUljE_ZNSN_ISO_Lb0ESQ_SR_ST_SU_SY_EESZ_S10_S11_S12_S16_S17_S18_S1B_S1C_jS1D_jS1E_S1E_jjS1G_bEUljE0_EEESZ_S10_S11_S18_S1C_S1E_T6_T7_T9_mT8_S1G_bDpT10_ENKUlT_T0_E_clISt17integral_constantIbLb0EES1T_IbLb1EEEEDaS1P_S1Q_EUlS1P_E_NS1_11comp_targetILNS1_3genE5ELNS1_11target_archE942ELNS1_3gpuE9ELNS1_3repE0EEENS1_30default_config_static_selectorELNS0_4arch9wavefront6targetE0EEEvS12_,comdat
.Lfunc_end1176:
	.size	_ZN7rocprim17ROCPRIM_400000_NS6detail17trampoline_kernelINS0_13select_configILj256ELj13ELNS0_17block_load_methodE3ELS4_3ELS4_3ELNS0_20block_scan_algorithmE0ELj4294967295EEENS1_25partition_config_selectorILNS1_17partition_subalgoE4EjNS0_10empty_typeEbEEZZNS1_14partition_implILS8_4ELb0ES6_15HIP_vector_typeIjLj2EENS0_17counting_iteratorIjlEEPS9_SG_NS0_5tupleIJPjSI_NS0_16reverse_iteratorISI_EEEEENSH_IJSG_SG_SG_EEES9_SI_JZNS1_25segmented_radix_sort_implINS0_14default_configELb0EPKdPdPKlPlN2at6native12_GLOBAL__N_18offset_tEEE10hipError_tPvRmT1_PNSt15iterator_traitsIS12_E10value_typeET2_T3_PNS13_IS18_E10value_typeET4_jRbjT5_S1E_jjP12ihipStream_tbEUljE_ZNSN_ISO_Lb0ESQ_SR_ST_SU_SY_EESZ_S10_S11_S12_S16_S17_S18_S1B_S1C_jS1D_jS1E_S1E_jjS1G_bEUljE0_EEESZ_S10_S11_S18_S1C_S1E_T6_T7_T9_mT8_S1G_bDpT10_ENKUlT_T0_E_clISt17integral_constantIbLb0EES1T_IbLb1EEEEDaS1P_S1Q_EUlS1P_E_NS1_11comp_targetILNS1_3genE5ELNS1_11target_archE942ELNS1_3gpuE9ELNS1_3repE0EEENS1_30default_config_static_selectorELNS0_4arch9wavefront6targetE0EEEvS12_, .Lfunc_end1176-_ZN7rocprim17ROCPRIM_400000_NS6detail17trampoline_kernelINS0_13select_configILj256ELj13ELNS0_17block_load_methodE3ELS4_3ELS4_3ELNS0_20block_scan_algorithmE0ELj4294967295EEENS1_25partition_config_selectorILNS1_17partition_subalgoE4EjNS0_10empty_typeEbEEZZNS1_14partition_implILS8_4ELb0ES6_15HIP_vector_typeIjLj2EENS0_17counting_iteratorIjlEEPS9_SG_NS0_5tupleIJPjSI_NS0_16reverse_iteratorISI_EEEEENSH_IJSG_SG_SG_EEES9_SI_JZNS1_25segmented_radix_sort_implINS0_14default_configELb0EPKdPdPKlPlN2at6native12_GLOBAL__N_18offset_tEEE10hipError_tPvRmT1_PNSt15iterator_traitsIS12_E10value_typeET2_T3_PNS13_IS18_E10value_typeET4_jRbjT5_S1E_jjP12ihipStream_tbEUljE_ZNSN_ISO_Lb0ESQ_SR_ST_SU_SY_EESZ_S10_S11_S12_S16_S17_S18_S1B_S1C_jS1D_jS1E_S1E_jjS1G_bEUljE0_EEESZ_S10_S11_S18_S1C_S1E_T6_T7_T9_mT8_S1G_bDpT10_ENKUlT_T0_E_clISt17integral_constantIbLb0EES1T_IbLb1EEEEDaS1P_S1Q_EUlS1P_E_NS1_11comp_targetILNS1_3genE5ELNS1_11target_archE942ELNS1_3gpuE9ELNS1_3repE0EEENS1_30default_config_static_selectorELNS0_4arch9wavefront6targetE0EEEvS12_
                                        ; -- End function
	.set _ZN7rocprim17ROCPRIM_400000_NS6detail17trampoline_kernelINS0_13select_configILj256ELj13ELNS0_17block_load_methodE3ELS4_3ELS4_3ELNS0_20block_scan_algorithmE0ELj4294967295EEENS1_25partition_config_selectorILNS1_17partition_subalgoE4EjNS0_10empty_typeEbEEZZNS1_14partition_implILS8_4ELb0ES6_15HIP_vector_typeIjLj2EENS0_17counting_iteratorIjlEEPS9_SG_NS0_5tupleIJPjSI_NS0_16reverse_iteratorISI_EEEEENSH_IJSG_SG_SG_EEES9_SI_JZNS1_25segmented_radix_sort_implINS0_14default_configELb0EPKdPdPKlPlN2at6native12_GLOBAL__N_18offset_tEEE10hipError_tPvRmT1_PNSt15iterator_traitsIS12_E10value_typeET2_T3_PNS13_IS18_E10value_typeET4_jRbjT5_S1E_jjP12ihipStream_tbEUljE_ZNSN_ISO_Lb0ESQ_SR_ST_SU_SY_EESZ_S10_S11_S12_S16_S17_S18_S1B_S1C_jS1D_jS1E_S1E_jjS1G_bEUljE0_EEESZ_S10_S11_S18_S1C_S1E_T6_T7_T9_mT8_S1G_bDpT10_ENKUlT_T0_E_clISt17integral_constantIbLb0EES1T_IbLb1EEEEDaS1P_S1Q_EUlS1P_E_NS1_11comp_targetILNS1_3genE5ELNS1_11target_archE942ELNS1_3gpuE9ELNS1_3repE0EEENS1_30default_config_static_selectorELNS0_4arch9wavefront6targetE0EEEvS12_.num_vgpr, 0
	.set _ZN7rocprim17ROCPRIM_400000_NS6detail17trampoline_kernelINS0_13select_configILj256ELj13ELNS0_17block_load_methodE3ELS4_3ELS4_3ELNS0_20block_scan_algorithmE0ELj4294967295EEENS1_25partition_config_selectorILNS1_17partition_subalgoE4EjNS0_10empty_typeEbEEZZNS1_14partition_implILS8_4ELb0ES6_15HIP_vector_typeIjLj2EENS0_17counting_iteratorIjlEEPS9_SG_NS0_5tupleIJPjSI_NS0_16reverse_iteratorISI_EEEEENSH_IJSG_SG_SG_EEES9_SI_JZNS1_25segmented_radix_sort_implINS0_14default_configELb0EPKdPdPKlPlN2at6native12_GLOBAL__N_18offset_tEEE10hipError_tPvRmT1_PNSt15iterator_traitsIS12_E10value_typeET2_T3_PNS13_IS18_E10value_typeET4_jRbjT5_S1E_jjP12ihipStream_tbEUljE_ZNSN_ISO_Lb0ESQ_SR_ST_SU_SY_EESZ_S10_S11_S12_S16_S17_S18_S1B_S1C_jS1D_jS1E_S1E_jjS1G_bEUljE0_EEESZ_S10_S11_S18_S1C_S1E_T6_T7_T9_mT8_S1G_bDpT10_ENKUlT_T0_E_clISt17integral_constantIbLb0EES1T_IbLb1EEEEDaS1P_S1Q_EUlS1P_E_NS1_11comp_targetILNS1_3genE5ELNS1_11target_archE942ELNS1_3gpuE9ELNS1_3repE0EEENS1_30default_config_static_selectorELNS0_4arch9wavefront6targetE0EEEvS12_.num_agpr, 0
	.set _ZN7rocprim17ROCPRIM_400000_NS6detail17trampoline_kernelINS0_13select_configILj256ELj13ELNS0_17block_load_methodE3ELS4_3ELS4_3ELNS0_20block_scan_algorithmE0ELj4294967295EEENS1_25partition_config_selectorILNS1_17partition_subalgoE4EjNS0_10empty_typeEbEEZZNS1_14partition_implILS8_4ELb0ES6_15HIP_vector_typeIjLj2EENS0_17counting_iteratorIjlEEPS9_SG_NS0_5tupleIJPjSI_NS0_16reverse_iteratorISI_EEEEENSH_IJSG_SG_SG_EEES9_SI_JZNS1_25segmented_radix_sort_implINS0_14default_configELb0EPKdPdPKlPlN2at6native12_GLOBAL__N_18offset_tEEE10hipError_tPvRmT1_PNSt15iterator_traitsIS12_E10value_typeET2_T3_PNS13_IS18_E10value_typeET4_jRbjT5_S1E_jjP12ihipStream_tbEUljE_ZNSN_ISO_Lb0ESQ_SR_ST_SU_SY_EESZ_S10_S11_S12_S16_S17_S18_S1B_S1C_jS1D_jS1E_S1E_jjS1G_bEUljE0_EEESZ_S10_S11_S18_S1C_S1E_T6_T7_T9_mT8_S1G_bDpT10_ENKUlT_T0_E_clISt17integral_constantIbLb0EES1T_IbLb1EEEEDaS1P_S1Q_EUlS1P_E_NS1_11comp_targetILNS1_3genE5ELNS1_11target_archE942ELNS1_3gpuE9ELNS1_3repE0EEENS1_30default_config_static_selectorELNS0_4arch9wavefront6targetE0EEEvS12_.numbered_sgpr, 0
	.set _ZN7rocprim17ROCPRIM_400000_NS6detail17trampoline_kernelINS0_13select_configILj256ELj13ELNS0_17block_load_methodE3ELS4_3ELS4_3ELNS0_20block_scan_algorithmE0ELj4294967295EEENS1_25partition_config_selectorILNS1_17partition_subalgoE4EjNS0_10empty_typeEbEEZZNS1_14partition_implILS8_4ELb0ES6_15HIP_vector_typeIjLj2EENS0_17counting_iteratorIjlEEPS9_SG_NS0_5tupleIJPjSI_NS0_16reverse_iteratorISI_EEEEENSH_IJSG_SG_SG_EEES9_SI_JZNS1_25segmented_radix_sort_implINS0_14default_configELb0EPKdPdPKlPlN2at6native12_GLOBAL__N_18offset_tEEE10hipError_tPvRmT1_PNSt15iterator_traitsIS12_E10value_typeET2_T3_PNS13_IS18_E10value_typeET4_jRbjT5_S1E_jjP12ihipStream_tbEUljE_ZNSN_ISO_Lb0ESQ_SR_ST_SU_SY_EESZ_S10_S11_S12_S16_S17_S18_S1B_S1C_jS1D_jS1E_S1E_jjS1G_bEUljE0_EEESZ_S10_S11_S18_S1C_S1E_T6_T7_T9_mT8_S1G_bDpT10_ENKUlT_T0_E_clISt17integral_constantIbLb0EES1T_IbLb1EEEEDaS1P_S1Q_EUlS1P_E_NS1_11comp_targetILNS1_3genE5ELNS1_11target_archE942ELNS1_3gpuE9ELNS1_3repE0EEENS1_30default_config_static_selectorELNS0_4arch9wavefront6targetE0EEEvS12_.num_named_barrier, 0
	.set _ZN7rocprim17ROCPRIM_400000_NS6detail17trampoline_kernelINS0_13select_configILj256ELj13ELNS0_17block_load_methodE3ELS4_3ELS4_3ELNS0_20block_scan_algorithmE0ELj4294967295EEENS1_25partition_config_selectorILNS1_17partition_subalgoE4EjNS0_10empty_typeEbEEZZNS1_14partition_implILS8_4ELb0ES6_15HIP_vector_typeIjLj2EENS0_17counting_iteratorIjlEEPS9_SG_NS0_5tupleIJPjSI_NS0_16reverse_iteratorISI_EEEEENSH_IJSG_SG_SG_EEES9_SI_JZNS1_25segmented_radix_sort_implINS0_14default_configELb0EPKdPdPKlPlN2at6native12_GLOBAL__N_18offset_tEEE10hipError_tPvRmT1_PNSt15iterator_traitsIS12_E10value_typeET2_T3_PNS13_IS18_E10value_typeET4_jRbjT5_S1E_jjP12ihipStream_tbEUljE_ZNSN_ISO_Lb0ESQ_SR_ST_SU_SY_EESZ_S10_S11_S12_S16_S17_S18_S1B_S1C_jS1D_jS1E_S1E_jjS1G_bEUljE0_EEESZ_S10_S11_S18_S1C_S1E_T6_T7_T9_mT8_S1G_bDpT10_ENKUlT_T0_E_clISt17integral_constantIbLb0EES1T_IbLb1EEEEDaS1P_S1Q_EUlS1P_E_NS1_11comp_targetILNS1_3genE5ELNS1_11target_archE942ELNS1_3gpuE9ELNS1_3repE0EEENS1_30default_config_static_selectorELNS0_4arch9wavefront6targetE0EEEvS12_.private_seg_size, 0
	.set _ZN7rocprim17ROCPRIM_400000_NS6detail17trampoline_kernelINS0_13select_configILj256ELj13ELNS0_17block_load_methodE3ELS4_3ELS4_3ELNS0_20block_scan_algorithmE0ELj4294967295EEENS1_25partition_config_selectorILNS1_17partition_subalgoE4EjNS0_10empty_typeEbEEZZNS1_14partition_implILS8_4ELb0ES6_15HIP_vector_typeIjLj2EENS0_17counting_iteratorIjlEEPS9_SG_NS0_5tupleIJPjSI_NS0_16reverse_iteratorISI_EEEEENSH_IJSG_SG_SG_EEES9_SI_JZNS1_25segmented_radix_sort_implINS0_14default_configELb0EPKdPdPKlPlN2at6native12_GLOBAL__N_18offset_tEEE10hipError_tPvRmT1_PNSt15iterator_traitsIS12_E10value_typeET2_T3_PNS13_IS18_E10value_typeET4_jRbjT5_S1E_jjP12ihipStream_tbEUljE_ZNSN_ISO_Lb0ESQ_SR_ST_SU_SY_EESZ_S10_S11_S12_S16_S17_S18_S1B_S1C_jS1D_jS1E_S1E_jjS1G_bEUljE0_EEESZ_S10_S11_S18_S1C_S1E_T6_T7_T9_mT8_S1G_bDpT10_ENKUlT_T0_E_clISt17integral_constantIbLb0EES1T_IbLb1EEEEDaS1P_S1Q_EUlS1P_E_NS1_11comp_targetILNS1_3genE5ELNS1_11target_archE942ELNS1_3gpuE9ELNS1_3repE0EEENS1_30default_config_static_selectorELNS0_4arch9wavefront6targetE0EEEvS12_.uses_vcc, 0
	.set _ZN7rocprim17ROCPRIM_400000_NS6detail17trampoline_kernelINS0_13select_configILj256ELj13ELNS0_17block_load_methodE3ELS4_3ELS4_3ELNS0_20block_scan_algorithmE0ELj4294967295EEENS1_25partition_config_selectorILNS1_17partition_subalgoE4EjNS0_10empty_typeEbEEZZNS1_14partition_implILS8_4ELb0ES6_15HIP_vector_typeIjLj2EENS0_17counting_iteratorIjlEEPS9_SG_NS0_5tupleIJPjSI_NS0_16reverse_iteratorISI_EEEEENSH_IJSG_SG_SG_EEES9_SI_JZNS1_25segmented_radix_sort_implINS0_14default_configELb0EPKdPdPKlPlN2at6native12_GLOBAL__N_18offset_tEEE10hipError_tPvRmT1_PNSt15iterator_traitsIS12_E10value_typeET2_T3_PNS13_IS18_E10value_typeET4_jRbjT5_S1E_jjP12ihipStream_tbEUljE_ZNSN_ISO_Lb0ESQ_SR_ST_SU_SY_EESZ_S10_S11_S12_S16_S17_S18_S1B_S1C_jS1D_jS1E_S1E_jjS1G_bEUljE0_EEESZ_S10_S11_S18_S1C_S1E_T6_T7_T9_mT8_S1G_bDpT10_ENKUlT_T0_E_clISt17integral_constantIbLb0EES1T_IbLb1EEEEDaS1P_S1Q_EUlS1P_E_NS1_11comp_targetILNS1_3genE5ELNS1_11target_archE942ELNS1_3gpuE9ELNS1_3repE0EEENS1_30default_config_static_selectorELNS0_4arch9wavefront6targetE0EEEvS12_.uses_flat_scratch, 0
	.set _ZN7rocprim17ROCPRIM_400000_NS6detail17trampoline_kernelINS0_13select_configILj256ELj13ELNS0_17block_load_methodE3ELS4_3ELS4_3ELNS0_20block_scan_algorithmE0ELj4294967295EEENS1_25partition_config_selectorILNS1_17partition_subalgoE4EjNS0_10empty_typeEbEEZZNS1_14partition_implILS8_4ELb0ES6_15HIP_vector_typeIjLj2EENS0_17counting_iteratorIjlEEPS9_SG_NS0_5tupleIJPjSI_NS0_16reverse_iteratorISI_EEEEENSH_IJSG_SG_SG_EEES9_SI_JZNS1_25segmented_radix_sort_implINS0_14default_configELb0EPKdPdPKlPlN2at6native12_GLOBAL__N_18offset_tEEE10hipError_tPvRmT1_PNSt15iterator_traitsIS12_E10value_typeET2_T3_PNS13_IS18_E10value_typeET4_jRbjT5_S1E_jjP12ihipStream_tbEUljE_ZNSN_ISO_Lb0ESQ_SR_ST_SU_SY_EESZ_S10_S11_S12_S16_S17_S18_S1B_S1C_jS1D_jS1E_S1E_jjS1G_bEUljE0_EEESZ_S10_S11_S18_S1C_S1E_T6_T7_T9_mT8_S1G_bDpT10_ENKUlT_T0_E_clISt17integral_constantIbLb0EES1T_IbLb1EEEEDaS1P_S1Q_EUlS1P_E_NS1_11comp_targetILNS1_3genE5ELNS1_11target_archE942ELNS1_3gpuE9ELNS1_3repE0EEENS1_30default_config_static_selectorELNS0_4arch9wavefront6targetE0EEEvS12_.has_dyn_sized_stack, 0
	.set _ZN7rocprim17ROCPRIM_400000_NS6detail17trampoline_kernelINS0_13select_configILj256ELj13ELNS0_17block_load_methodE3ELS4_3ELS4_3ELNS0_20block_scan_algorithmE0ELj4294967295EEENS1_25partition_config_selectorILNS1_17partition_subalgoE4EjNS0_10empty_typeEbEEZZNS1_14partition_implILS8_4ELb0ES6_15HIP_vector_typeIjLj2EENS0_17counting_iteratorIjlEEPS9_SG_NS0_5tupleIJPjSI_NS0_16reverse_iteratorISI_EEEEENSH_IJSG_SG_SG_EEES9_SI_JZNS1_25segmented_radix_sort_implINS0_14default_configELb0EPKdPdPKlPlN2at6native12_GLOBAL__N_18offset_tEEE10hipError_tPvRmT1_PNSt15iterator_traitsIS12_E10value_typeET2_T3_PNS13_IS18_E10value_typeET4_jRbjT5_S1E_jjP12ihipStream_tbEUljE_ZNSN_ISO_Lb0ESQ_SR_ST_SU_SY_EESZ_S10_S11_S12_S16_S17_S18_S1B_S1C_jS1D_jS1E_S1E_jjS1G_bEUljE0_EEESZ_S10_S11_S18_S1C_S1E_T6_T7_T9_mT8_S1G_bDpT10_ENKUlT_T0_E_clISt17integral_constantIbLb0EES1T_IbLb1EEEEDaS1P_S1Q_EUlS1P_E_NS1_11comp_targetILNS1_3genE5ELNS1_11target_archE942ELNS1_3gpuE9ELNS1_3repE0EEENS1_30default_config_static_selectorELNS0_4arch9wavefront6targetE0EEEvS12_.has_recursion, 0
	.set _ZN7rocprim17ROCPRIM_400000_NS6detail17trampoline_kernelINS0_13select_configILj256ELj13ELNS0_17block_load_methodE3ELS4_3ELS4_3ELNS0_20block_scan_algorithmE0ELj4294967295EEENS1_25partition_config_selectorILNS1_17partition_subalgoE4EjNS0_10empty_typeEbEEZZNS1_14partition_implILS8_4ELb0ES6_15HIP_vector_typeIjLj2EENS0_17counting_iteratorIjlEEPS9_SG_NS0_5tupleIJPjSI_NS0_16reverse_iteratorISI_EEEEENSH_IJSG_SG_SG_EEES9_SI_JZNS1_25segmented_radix_sort_implINS0_14default_configELb0EPKdPdPKlPlN2at6native12_GLOBAL__N_18offset_tEEE10hipError_tPvRmT1_PNSt15iterator_traitsIS12_E10value_typeET2_T3_PNS13_IS18_E10value_typeET4_jRbjT5_S1E_jjP12ihipStream_tbEUljE_ZNSN_ISO_Lb0ESQ_SR_ST_SU_SY_EESZ_S10_S11_S12_S16_S17_S18_S1B_S1C_jS1D_jS1E_S1E_jjS1G_bEUljE0_EEESZ_S10_S11_S18_S1C_S1E_T6_T7_T9_mT8_S1G_bDpT10_ENKUlT_T0_E_clISt17integral_constantIbLb0EES1T_IbLb1EEEEDaS1P_S1Q_EUlS1P_E_NS1_11comp_targetILNS1_3genE5ELNS1_11target_archE942ELNS1_3gpuE9ELNS1_3repE0EEENS1_30default_config_static_selectorELNS0_4arch9wavefront6targetE0EEEvS12_.has_indirect_call, 0
	.section	.AMDGPU.csdata,"",@progbits
; Kernel info:
; codeLenInByte = 0
; TotalNumSgprs: 0
; NumVgprs: 0
; ScratchSize: 0
; MemoryBound: 0
; FloatMode: 240
; IeeeMode: 1
; LDSByteSize: 0 bytes/workgroup (compile time only)
; SGPRBlocks: 0
; VGPRBlocks: 0
; NumSGPRsForWavesPerEU: 1
; NumVGPRsForWavesPerEU: 1
; NamedBarCnt: 0
; Occupancy: 16
; WaveLimiterHint : 0
; COMPUTE_PGM_RSRC2:SCRATCH_EN: 0
; COMPUTE_PGM_RSRC2:USER_SGPR: 2
; COMPUTE_PGM_RSRC2:TRAP_HANDLER: 0
; COMPUTE_PGM_RSRC2:TGID_X_EN: 1
; COMPUTE_PGM_RSRC2:TGID_Y_EN: 0
; COMPUTE_PGM_RSRC2:TGID_Z_EN: 0
; COMPUTE_PGM_RSRC2:TIDIG_COMP_CNT: 0
	.section	.text._ZN7rocprim17ROCPRIM_400000_NS6detail17trampoline_kernelINS0_13select_configILj256ELj13ELNS0_17block_load_methodE3ELS4_3ELS4_3ELNS0_20block_scan_algorithmE0ELj4294967295EEENS1_25partition_config_selectorILNS1_17partition_subalgoE4EjNS0_10empty_typeEbEEZZNS1_14partition_implILS8_4ELb0ES6_15HIP_vector_typeIjLj2EENS0_17counting_iteratorIjlEEPS9_SG_NS0_5tupleIJPjSI_NS0_16reverse_iteratorISI_EEEEENSH_IJSG_SG_SG_EEES9_SI_JZNS1_25segmented_radix_sort_implINS0_14default_configELb0EPKdPdPKlPlN2at6native12_GLOBAL__N_18offset_tEEE10hipError_tPvRmT1_PNSt15iterator_traitsIS12_E10value_typeET2_T3_PNS13_IS18_E10value_typeET4_jRbjT5_S1E_jjP12ihipStream_tbEUljE_ZNSN_ISO_Lb0ESQ_SR_ST_SU_SY_EESZ_S10_S11_S12_S16_S17_S18_S1B_S1C_jS1D_jS1E_S1E_jjS1G_bEUljE0_EEESZ_S10_S11_S18_S1C_S1E_T6_T7_T9_mT8_S1G_bDpT10_ENKUlT_T0_E_clISt17integral_constantIbLb0EES1T_IbLb1EEEEDaS1P_S1Q_EUlS1P_E_NS1_11comp_targetILNS1_3genE4ELNS1_11target_archE910ELNS1_3gpuE8ELNS1_3repE0EEENS1_30default_config_static_selectorELNS0_4arch9wavefront6targetE0EEEvS12_,"axG",@progbits,_ZN7rocprim17ROCPRIM_400000_NS6detail17trampoline_kernelINS0_13select_configILj256ELj13ELNS0_17block_load_methodE3ELS4_3ELS4_3ELNS0_20block_scan_algorithmE0ELj4294967295EEENS1_25partition_config_selectorILNS1_17partition_subalgoE4EjNS0_10empty_typeEbEEZZNS1_14partition_implILS8_4ELb0ES6_15HIP_vector_typeIjLj2EENS0_17counting_iteratorIjlEEPS9_SG_NS0_5tupleIJPjSI_NS0_16reverse_iteratorISI_EEEEENSH_IJSG_SG_SG_EEES9_SI_JZNS1_25segmented_radix_sort_implINS0_14default_configELb0EPKdPdPKlPlN2at6native12_GLOBAL__N_18offset_tEEE10hipError_tPvRmT1_PNSt15iterator_traitsIS12_E10value_typeET2_T3_PNS13_IS18_E10value_typeET4_jRbjT5_S1E_jjP12ihipStream_tbEUljE_ZNSN_ISO_Lb0ESQ_SR_ST_SU_SY_EESZ_S10_S11_S12_S16_S17_S18_S1B_S1C_jS1D_jS1E_S1E_jjS1G_bEUljE0_EEESZ_S10_S11_S18_S1C_S1E_T6_T7_T9_mT8_S1G_bDpT10_ENKUlT_T0_E_clISt17integral_constantIbLb0EES1T_IbLb1EEEEDaS1P_S1Q_EUlS1P_E_NS1_11comp_targetILNS1_3genE4ELNS1_11target_archE910ELNS1_3gpuE8ELNS1_3repE0EEENS1_30default_config_static_selectorELNS0_4arch9wavefront6targetE0EEEvS12_,comdat
	.globl	_ZN7rocprim17ROCPRIM_400000_NS6detail17trampoline_kernelINS0_13select_configILj256ELj13ELNS0_17block_load_methodE3ELS4_3ELS4_3ELNS0_20block_scan_algorithmE0ELj4294967295EEENS1_25partition_config_selectorILNS1_17partition_subalgoE4EjNS0_10empty_typeEbEEZZNS1_14partition_implILS8_4ELb0ES6_15HIP_vector_typeIjLj2EENS0_17counting_iteratorIjlEEPS9_SG_NS0_5tupleIJPjSI_NS0_16reverse_iteratorISI_EEEEENSH_IJSG_SG_SG_EEES9_SI_JZNS1_25segmented_radix_sort_implINS0_14default_configELb0EPKdPdPKlPlN2at6native12_GLOBAL__N_18offset_tEEE10hipError_tPvRmT1_PNSt15iterator_traitsIS12_E10value_typeET2_T3_PNS13_IS18_E10value_typeET4_jRbjT5_S1E_jjP12ihipStream_tbEUljE_ZNSN_ISO_Lb0ESQ_SR_ST_SU_SY_EESZ_S10_S11_S12_S16_S17_S18_S1B_S1C_jS1D_jS1E_S1E_jjS1G_bEUljE0_EEESZ_S10_S11_S18_S1C_S1E_T6_T7_T9_mT8_S1G_bDpT10_ENKUlT_T0_E_clISt17integral_constantIbLb0EES1T_IbLb1EEEEDaS1P_S1Q_EUlS1P_E_NS1_11comp_targetILNS1_3genE4ELNS1_11target_archE910ELNS1_3gpuE8ELNS1_3repE0EEENS1_30default_config_static_selectorELNS0_4arch9wavefront6targetE0EEEvS12_ ; -- Begin function _ZN7rocprim17ROCPRIM_400000_NS6detail17trampoline_kernelINS0_13select_configILj256ELj13ELNS0_17block_load_methodE3ELS4_3ELS4_3ELNS0_20block_scan_algorithmE0ELj4294967295EEENS1_25partition_config_selectorILNS1_17partition_subalgoE4EjNS0_10empty_typeEbEEZZNS1_14partition_implILS8_4ELb0ES6_15HIP_vector_typeIjLj2EENS0_17counting_iteratorIjlEEPS9_SG_NS0_5tupleIJPjSI_NS0_16reverse_iteratorISI_EEEEENSH_IJSG_SG_SG_EEES9_SI_JZNS1_25segmented_radix_sort_implINS0_14default_configELb0EPKdPdPKlPlN2at6native12_GLOBAL__N_18offset_tEEE10hipError_tPvRmT1_PNSt15iterator_traitsIS12_E10value_typeET2_T3_PNS13_IS18_E10value_typeET4_jRbjT5_S1E_jjP12ihipStream_tbEUljE_ZNSN_ISO_Lb0ESQ_SR_ST_SU_SY_EESZ_S10_S11_S12_S16_S17_S18_S1B_S1C_jS1D_jS1E_S1E_jjS1G_bEUljE0_EEESZ_S10_S11_S18_S1C_S1E_T6_T7_T9_mT8_S1G_bDpT10_ENKUlT_T0_E_clISt17integral_constantIbLb0EES1T_IbLb1EEEEDaS1P_S1Q_EUlS1P_E_NS1_11comp_targetILNS1_3genE4ELNS1_11target_archE910ELNS1_3gpuE8ELNS1_3repE0EEENS1_30default_config_static_selectorELNS0_4arch9wavefront6targetE0EEEvS12_
	.p2align	8
	.type	_ZN7rocprim17ROCPRIM_400000_NS6detail17trampoline_kernelINS0_13select_configILj256ELj13ELNS0_17block_load_methodE3ELS4_3ELS4_3ELNS0_20block_scan_algorithmE0ELj4294967295EEENS1_25partition_config_selectorILNS1_17partition_subalgoE4EjNS0_10empty_typeEbEEZZNS1_14partition_implILS8_4ELb0ES6_15HIP_vector_typeIjLj2EENS0_17counting_iteratorIjlEEPS9_SG_NS0_5tupleIJPjSI_NS0_16reverse_iteratorISI_EEEEENSH_IJSG_SG_SG_EEES9_SI_JZNS1_25segmented_radix_sort_implINS0_14default_configELb0EPKdPdPKlPlN2at6native12_GLOBAL__N_18offset_tEEE10hipError_tPvRmT1_PNSt15iterator_traitsIS12_E10value_typeET2_T3_PNS13_IS18_E10value_typeET4_jRbjT5_S1E_jjP12ihipStream_tbEUljE_ZNSN_ISO_Lb0ESQ_SR_ST_SU_SY_EESZ_S10_S11_S12_S16_S17_S18_S1B_S1C_jS1D_jS1E_S1E_jjS1G_bEUljE0_EEESZ_S10_S11_S18_S1C_S1E_T6_T7_T9_mT8_S1G_bDpT10_ENKUlT_T0_E_clISt17integral_constantIbLb0EES1T_IbLb1EEEEDaS1P_S1Q_EUlS1P_E_NS1_11comp_targetILNS1_3genE4ELNS1_11target_archE910ELNS1_3gpuE8ELNS1_3repE0EEENS1_30default_config_static_selectorELNS0_4arch9wavefront6targetE0EEEvS12_,@function
_ZN7rocprim17ROCPRIM_400000_NS6detail17trampoline_kernelINS0_13select_configILj256ELj13ELNS0_17block_load_methodE3ELS4_3ELS4_3ELNS0_20block_scan_algorithmE0ELj4294967295EEENS1_25partition_config_selectorILNS1_17partition_subalgoE4EjNS0_10empty_typeEbEEZZNS1_14partition_implILS8_4ELb0ES6_15HIP_vector_typeIjLj2EENS0_17counting_iteratorIjlEEPS9_SG_NS0_5tupleIJPjSI_NS0_16reverse_iteratorISI_EEEEENSH_IJSG_SG_SG_EEES9_SI_JZNS1_25segmented_radix_sort_implINS0_14default_configELb0EPKdPdPKlPlN2at6native12_GLOBAL__N_18offset_tEEE10hipError_tPvRmT1_PNSt15iterator_traitsIS12_E10value_typeET2_T3_PNS13_IS18_E10value_typeET4_jRbjT5_S1E_jjP12ihipStream_tbEUljE_ZNSN_ISO_Lb0ESQ_SR_ST_SU_SY_EESZ_S10_S11_S12_S16_S17_S18_S1B_S1C_jS1D_jS1E_S1E_jjS1G_bEUljE0_EEESZ_S10_S11_S18_S1C_S1E_T6_T7_T9_mT8_S1G_bDpT10_ENKUlT_T0_E_clISt17integral_constantIbLb0EES1T_IbLb1EEEEDaS1P_S1Q_EUlS1P_E_NS1_11comp_targetILNS1_3genE4ELNS1_11target_archE910ELNS1_3gpuE8ELNS1_3repE0EEENS1_30default_config_static_selectorELNS0_4arch9wavefront6targetE0EEEvS12_: ; @_ZN7rocprim17ROCPRIM_400000_NS6detail17trampoline_kernelINS0_13select_configILj256ELj13ELNS0_17block_load_methodE3ELS4_3ELS4_3ELNS0_20block_scan_algorithmE0ELj4294967295EEENS1_25partition_config_selectorILNS1_17partition_subalgoE4EjNS0_10empty_typeEbEEZZNS1_14partition_implILS8_4ELb0ES6_15HIP_vector_typeIjLj2EENS0_17counting_iteratorIjlEEPS9_SG_NS0_5tupleIJPjSI_NS0_16reverse_iteratorISI_EEEEENSH_IJSG_SG_SG_EEES9_SI_JZNS1_25segmented_radix_sort_implINS0_14default_configELb0EPKdPdPKlPlN2at6native12_GLOBAL__N_18offset_tEEE10hipError_tPvRmT1_PNSt15iterator_traitsIS12_E10value_typeET2_T3_PNS13_IS18_E10value_typeET4_jRbjT5_S1E_jjP12ihipStream_tbEUljE_ZNSN_ISO_Lb0ESQ_SR_ST_SU_SY_EESZ_S10_S11_S12_S16_S17_S18_S1B_S1C_jS1D_jS1E_S1E_jjS1G_bEUljE0_EEESZ_S10_S11_S18_S1C_S1E_T6_T7_T9_mT8_S1G_bDpT10_ENKUlT_T0_E_clISt17integral_constantIbLb0EES1T_IbLb1EEEEDaS1P_S1Q_EUlS1P_E_NS1_11comp_targetILNS1_3genE4ELNS1_11target_archE910ELNS1_3gpuE8ELNS1_3repE0EEENS1_30default_config_static_selectorELNS0_4arch9wavefront6targetE0EEEvS12_
; %bb.0:
	.section	.rodata,"a",@progbits
	.p2align	6, 0x0
	.amdhsa_kernel _ZN7rocprim17ROCPRIM_400000_NS6detail17trampoline_kernelINS0_13select_configILj256ELj13ELNS0_17block_load_methodE3ELS4_3ELS4_3ELNS0_20block_scan_algorithmE0ELj4294967295EEENS1_25partition_config_selectorILNS1_17partition_subalgoE4EjNS0_10empty_typeEbEEZZNS1_14partition_implILS8_4ELb0ES6_15HIP_vector_typeIjLj2EENS0_17counting_iteratorIjlEEPS9_SG_NS0_5tupleIJPjSI_NS0_16reverse_iteratorISI_EEEEENSH_IJSG_SG_SG_EEES9_SI_JZNS1_25segmented_radix_sort_implINS0_14default_configELb0EPKdPdPKlPlN2at6native12_GLOBAL__N_18offset_tEEE10hipError_tPvRmT1_PNSt15iterator_traitsIS12_E10value_typeET2_T3_PNS13_IS18_E10value_typeET4_jRbjT5_S1E_jjP12ihipStream_tbEUljE_ZNSN_ISO_Lb0ESQ_SR_ST_SU_SY_EESZ_S10_S11_S12_S16_S17_S18_S1B_S1C_jS1D_jS1E_S1E_jjS1G_bEUljE0_EEESZ_S10_S11_S18_S1C_S1E_T6_T7_T9_mT8_S1G_bDpT10_ENKUlT_T0_E_clISt17integral_constantIbLb0EES1T_IbLb1EEEEDaS1P_S1Q_EUlS1P_E_NS1_11comp_targetILNS1_3genE4ELNS1_11target_archE910ELNS1_3gpuE8ELNS1_3repE0EEENS1_30default_config_static_selectorELNS0_4arch9wavefront6targetE0EEEvS12_
		.amdhsa_group_segment_fixed_size 0
		.amdhsa_private_segment_fixed_size 0
		.amdhsa_kernarg_size 184
		.amdhsa_user_sgpr_count 2
		.amdhsa_user_sgpr_dispatch_ptr 0
		.amdhsa_user_sgpr_queue_ptr 0
		.amdhsa_user_sgpr_kernarg_segment_ptr 1
		.amdhsa_user_sgpr_dispatch_id 0
		.amdhsa_user_sgpr_kernarg_preload_length 0
		.amdhsa_user_sgpr_kernarg_preload_offset 0
		.amdhsa_user_sgpr_private_segment_size 0
		.amdhsa_wavefront_size32 1
		.amdhsa_uses_dynamic_stack 0
		.amdhsa_enable_private_segment 0
		.amdhsa_system_sgpr_workgroup_id_x 1
		.amdhsa_system_sgpr_workgroup_id_y 0
		.amdhsa_system_sgpr_workgroup_id_z 0
		.amdhsa_system_sgpr_workgroup_info 0
		.amdhsa_system_vgpr_workitem_id 0
		.amdhsa_next_free_vgpr 1
		.amdhsa_next_free_sgpr 1
		.amdhsa_named_barrier_count 0
		.amdhsa_reserve_vcc 0
		.amdhsa_float_round_mode_32 0
		.amdhsa_float_round_mode_16_64 0
		.amdhsa_float_denorm_mode_32 3
		.amdhsa_float_denorm_mode_16_64 3
		.amdhsa_fp16_overflow 0
		.amdhsa_memory_ordered 1
		.amdhsa_forward_progress 1
		.amdhsa_inst_pref_size 0
		.amdhsa_round_robin_scheduling 0
		.amdhsa_exception_fp_ieee_invalid_op 0
		.amdhsa_exception_fp_denorm_src 0
		.amdhsa_exception_fp_ieee_div_zero 0
		.amdhsa_exception_fp_ieee_overflow 0
		.amdhsa_exception_fp_ieee_underflow 0
		.amdhsa_exception_fp_ieee_inexact 0
		.amdhsa_exception_int_div_zero 0
	.end_amdhsa_kernel
	.section	.text._ZN7rocprim17ROCPRIM_400000_NS6detail17trampoline_kernelINS0_13select_configILj256ELj13ELNS0_17block_load_methodE3ELS4_3ELS4_3ELNS0_20block_scan_algorithmE0ELj4294967295EEENS1_25partition_config_selectorILNS1_17partition_subalgoE4EjNS0_10empty_typeEbEEZZNS1_14partition_implILS8_4ELb0ES6_15HIP_vector_typeIjLj2EENS0_17counting_iteratorIjlEEPS9_SG_NS0_5tupleIJPjSI_NS0_16reverse_iteratorISI_EEEEENSH_IJSG_SG_SG_EEES9_SI_JZNS1_25segmented_radix_sort_implINS0_14default_configELb0EPKdPdPKlPlN2at6native12_GLOBAL__N_18offset_tEEE10hipError_tPvRmT1_PNSt15iterator_traitsIS12_E10value_typeET2_T3_PNS13_IS18_E10value_typeET4_jRbjT5_S1E_jjP12ihipStream_tbEUljE_ZNSN_ISO_Lb0ESQ_SR_ST_SU_SY_EESZ_S10_S11_S12_S16_S17_S18_S1B_S1C_jS1D_jS1E_S1E_jjS1G_bEUljE0_EEESZ_S10_S11_S18_S1C_S1E_T6_T7_T9_mT8_S1G_bDpT10_ENKUlT_T0_E_clISt17integral_constantIbLb0EES1T_IbLb1EEEEDaS1P_S1Q_EUlS1P_E_NS1_11comp_targetILNS1_3genE4ELNS1_11target_archE910ELNS1_3gpuE8ELNS1_3repE0EEENS1_30default_config_static_selectorELNS0_4arch9wavefront6targetE0EEEvS12_,"axG",@progbits,_ZN7rocprim17ROCPRIM_400000_NS6detail17trampoline_kernelINS0_13select_configILj256ELj13ELNS0_17block_load_methodE3ELS4_3ELS4_3ELNS0_20block_scan_algorithmE0ELj4294967295EEENS1_25partition_config_selectorILNS1_17partition_subalgoE4EjNS0_10empty_typeEbEEZZNS1_14partition_implILS8_4ELb0ES6_15HIP_vector_typeIjLj2EENS0_17counting_iteratorIjlEEPS9_SG_NS0_5tupleIJPjSI_NS0_16reverse_iteratorISI_EEEEENSH_IJSG_SG_SG_EEES9_SI_JZNS1_25segmented_radix_sort_implINS0_14default_configELb0EPKdPdPKlPlN2at6native12_GLOBAL__N_18offset_tEEE10hipError_tPvRmT1_PNSt15iterator_traitsIS12_E10value_typeET2_T3_PNS13_IS18_E10value_typeET4_jRbjT5_S1E_jjP12ihipStream_tbEUljE_ZNSN_ISO_Lb0ESQ_SR_ST_SU_SY_EESZ_S10_S11_S12_S16_S17_S18_S1B_S1C_jS1D_jS1E_S1E_jjS1G_bEUljE0_EEESZ_S10_S11_S18_S1C_S1E_T6_T7_T9_mT8_S1G_bDpT10_ENKUlT_T0_E_clISt17integral_constantIbLb0EES1T_IbLb1EEEEDaS1P_S1Q_EUlS1P_E_NS1_11comp_targetILNS1_3genE4ELNS1_11target_archE910ELNS1_3gpuE8ELNS1_3repE0EEENS1_30default_config_static_selectorELNS0_4arch9wavefront6targetE0EEEvS12_,comdat
.Lfunc_end1177:
	.size	_ZN7rocprim17ROCPRIM_400000_NS6detail17trampoline_kernelINS0_13select_configILj256ELj13ELNS0_17block_load_methodE3ELS4_3ELS4_3ELNS0_20block_scan_algorithmE0ELj4294967295EEENS1_25partition_config_selectorILNS1_17partition_subalgoE4EjNS0_10empty_typeEbEEZZNS1_14partition_implILS8_4ELb0ES6_15HIP_vector_typeIjLj2EENS0_17counting_iteratorIjlEEPS9_SG_NS0_5tupleIJPjSI_NS0_16reverse_iteratorISI_EEEEENSH_IJSG_SG_SG_EEES9_SI_JZNS1_25segmented_radix_sort_implINS0_14default_configELb0EPKdPdPKlPlN2at6native12_GLOBAL__N_18offset_tEEE10hipError_tPvRmT1_PNSt15iterator_traitsIS12_E10value_typeET2_T3_PNS13_IS18_E10value_typeET4_jRbjT5_S1E_jjP12ihipStream_tbEUljE_ZNSN_ISO_Lb0ESQ_SR_ST_SU_SY_EESZ_S10_S11_S12_S16_S17_S18_S1B_S1C_jS1D_jS1E_S1E_jjS1G_bEUljE0_EEESZ_S10_S11_S18_S1C_S1E_T6_T7_T9_mT8_S1G_bDpT10_ENKUlT_T0_E_clISt17integral_constantIbLb0EES1T_IbLb1EEEEDaS1P_S1Q_EUlS1P_E_NS1_11comp_targetILNS1_3genE4ELNS1_11target_archE910ELNS1_3gpuE8ELNS1_3repE0EEENS1_30default_config_static_selectorELNS0_4arch9wavefront6targetE0EEEvS12_, .Lfunc_end1177-_ZN7rocprim17ROCPRIM_400000_NS6detail17trampoline_kernelINS0_13select_configILj256ELj13ELNS0_17block_load_methodE3ELS4_3ELS4_3ELNS0_20block_scan_algorithmE0ELj4294967295EEENS1_25partition_config_selectorILNS1_17partition_subalgoE4EjNS0_10empty_typeEbEEZZNS1_14partition_implILS8_4ELb0ES6_15HIP_vector_typeIjLj2EENS0_17counting_iteratorIjlEEPS9_SG_NS0_5tupleIJPjSI_NS0_16reverse_iteratorISI_EEEEENSH_IJSG_SG_SG_EEES9_SI_JZNS1_25segmented_radix_sort_implINS0_14default_configELb0EPKdPdPKlPlN2at6native12_GLOBAL__N_18offset_tEEE10hipError_tPvRmT1_PNSt15iterator_traitsIS12_E10value_typeET2_T3_PNS13_IS18_E10value_typeET4_jRbjT5_S1E_jjP12ihipStream_tbEUljE_ZNSN_ISO_Lb0ESQ_SR_ST_SU_SY_EESZ_S10_S11_S12_S16_S17_S18_S1B_S1C_jS1D_jS1E_S1E_jjS1G_bEUljE0_EEESZ_S10_S11_S18_S1C_S1E_T6_T7_T9_mT8_S1G_bDpT10_ENKUlT_T0_E_clISt17integral_constantIbLb0EES1T_IbLb1EEEEDaS1P_S1Q_EUlS1P_E_NS1_11comp_targetILNS1_3genE4ELNS1_11target_archE910ELNS1_3gpuE8ELNS1_3repE0EEENS1_30default_config_static_selectorELNS0_4arch9wavefront6targetE0EEEvS12_
                                        ; -- End function
	.set _ZN7rocprim17ROCPRIM_400000_NS6detail17trampoline_kernelINS0_13select_configILj256ELj13ELNS0_17block_load_methodE3ELS4_3ELS4_3ELNS0_20block_scan_algorithmE0ELj4294967295EEENS1_25partition_config_selectorILNS1_17partition_subalgoE4EjNS0_10empty_typeEbEEZZNS1_14partition_implILS8_4ELb0ES6_15HIP_vector_typeIjLj2EENS0_17counting_iteratorIjlEEPS9_SG_NS0_5tupleIJPjSI_NS0_16reverse_iteratorISI_EEEEENSH_IJSG_SG_SG_EEES9_SI_JZNS1_25segmented_radix_sort_implINS0_14default_configELb0EPKdPdPKlPlN2at6native12_GLOBAL__N_18offset_tEEE10hipError_tPvRmT1_PNSt15iterator_traitsIS12_E10value_typeET2_T3_PNS13_IS18_E10value_typeET4_jRbjT5_S1E_jjP12ihipStream_tbEUljE_ZNSN_ISO_Lb0ESQ_SR_ST_SU_SY_EESZ_S10_S11_S12_S16_S17_S18_S1B_S1C_jS1D_jS1E_S1E_jjS1G_bEUljE0_EEESZ_S10_S11_S18_S1C_S1E_T6_T7_T9_mT8_S1G_bDpT10_ENKUlT_T0_E_clISt17integral_constantIbLb0EES1T_IbLb1EEEEDaS1P_S1Q_EUlS1P_E_NS1_11comp_targetILNS1_3genE4ELNS1_11target_archE910ELNS1_3gpuE8ELNS1_3repE0EEENS1_30default_config_static_selectorELNS0_4arch9wavefront6targetE0EEEvS12_.num_vgpr, 0
	.set _ZN7rocprim17ROCPRIM_400000_NS6detail17trampoline_kernelINS0_13select_configILj256ELj13ELNS0_17block_load_methodE3ELS4_3ELS4_3ELNS0_20block_scan_algorithmE0ELj4294967295EEENS1_25partition_config_selectorILNS1_17partition_subalgoE4EjNS0_10empty_typeEbEEZZNS1_14partition_implILS8_4ELb0ES6_15HIP_vector_typeIjLj2EENS0_17counting_iteratorIjlEEPS9_SG_NS0_5tupleIJPjSI_NS0_16reverse_iteratorISI_EEEEENSH_IJSG_SG_SG_EEES9_SI_JZNS1_25segmented_radix_sort_implINS0_14default_configELb0EPKdPdPKlPlN2at6native12_GLOBAL__N_18offset_tEEE10hipError_tPvRmT1_PNSt15iterator_traitsIS12_E10value_typeET2_T3_PNS13_IS18_E10value_typeET4_jRbjT5_S1E_jjP12ihipStream_tbEUljE_ZNSN_ISO_Lb0ESQ_SR_ST_SU_SY_EESZ_S10_S11_S12_S16_S17_S18_S1B_S1C_jS1D_jS1E_S1E_jjS1G_bEUljE0_EEESZ_S10_S11_S18_S1C_S1E_T6_T7_T9_mT8_S1G_bDpT10_ENKUlT_T0_E_clISt17integral_constantIbLb0EES1T_IbLb1EEEEDaS1P_S1Q_EUlS1P_E_NS1_11comp_targetILNS1_3genE4ELNS1_11target_archE910ELNS1_3gpuE8ELNS1_3repE0EEENS1_30default_config_static_selectorELNS0_4arch9wavefront6targetE0EEEvS12_.num_agpr, 0
	.set _ZN7rocprim17ROCPRIM_400000_NS6detail17trampoline_kernelINS0_13select_configILj256ELj13ELNS0_17block_load_methodE3ELS4_3ELS4_3ELNS0_20block_scan_algorithmE0ELj4294967295EEENS1_25partition_config_selectorILNS1_17partition_subalgoE4EjNS0_10empty_typeEbEEZZNS1_14partition_implILS8_4ELb0ES6_15HIP_vector_typeIjLj2EENS0_17counting_iteratorIjlEEPS9_SG_NS0_5tupleIJPjSI_NS0_16reverse_iteratorISI_EEEEENSH_IJSG_SG_SG_EEES9_SI_JZNS1_25segmented_radix_sort_implINS0_14default_configELb0EPKdPdPKlPlN2at6native12_GLOBAL__N_18offset_tEEE10hipError_tPvRmT1_PNSt15iterator_traitsIS12_E10value_typeET2_T3_PNS13_IS18_E10value_typeET4_jRbjT5_S1E_jjP12ihipStream_tbEUljE_ZNSN_ISO_Lb0ESQ_SR_ST_SU_SY_EESZ_S10_S11_S12_S16_S17_S18_S1B_S1C_jS1D_jS1E_S1E_jjS1G_bEUljE0_EEESZ_S10_S11_S18_S1C_S1E_T6_T7_T9_mT8_S1G_bDpT10_ENKUlT_T0_E_clISt17integral_constantIbLb0EES1T_IbLb1EEEEDaS1P_S1Q_EUlS1P_E_NS1_11comp_targetILNS1_3genE4ELNS1_11target_archE910ELNS1_3gpuE8ELNS1_3repE0EEENS1_30default_config_static_selectorELNS0_4arch9wavefront6targetE0EEEvS12_.numbered_sgpr, 0
	.set _ZN7rocprim17ROCPRIM_400000_NS6detail17trampoline_kernelINS0_13select_configILj256ELj13ELNS0_17block_load_methodE3ELS4_3ELS4_3ELNS0_20block_scan_algorithmE0ELj4294967295EEENS1_25partition_config_selectorILNS1_17partition_subalgoE4EjNS0_10empty_typeEbEEZZNS1_14partition_implILS8_4ELb0ES6_15HIP_vector_typeIjLj2EENS0_17counting_iteratorIjlEEPS9_SG_NS0_5tupleIJPjSI_NS0_16reverse_iteratorISI_EEEEENSH_IJSG_SG_SG_EEES9_SI_JZNS1_25segmented_radix_sort_implINS0_14default_configELb0EPKdPdPKlPlN2at6native12_GLOBAL__N_18offset_tEEE10hipError_tPvRmT1_PNSt15iterator_traitsIS12_E10value_typeET2_T3_PNS13_IS18_E10value_typeET4_jRbjT5_S1E_jjP12ihipStream_tbEUljE_ZNSN_ISO_Lb0ESQ_SR_ST_SU_SY_EESZ_S10_S11_S12_S16_S17_S18_S1B_S1C_jS1D_jS1E_S1E_jjS1G_bEUljE0_EEESZ_S10_S11_S18_S1C_S1E_T6_T7_T9_mT8_S1G_bDpT10_ENKUlT_T0_E_clISt17integral_constantIbLb0EES1T_IbLb1EEEEDaS1P_S1Q_EUlS1P_E_NS1_11comp_targetILNS1_3genE4ELNS1_11target_archE910ELNS1_3gpuE8ELNS1_3repE0EEENS1_30default_config_static_selectorELNS0_4arch9wavefront6targetE0EEEvS12_.num_named_barrier, 0
	.set _ZN7rocprim17ROCPRIM_400000_NS6detail17trampoline_kernelINS0_13select_configILj256ELj13ELNS0_17block_load_methodE3ELS4_3ELS4_3ELNS0_20block_scan_algorithmE0ELj4294967295EEENS1_25partition_config_selectorILNS1_17partition_subalgoE4EjNS0_10empty_typeEbEEZZNS1_14partition_implILS8_4ELb0ES6_15HIP_vector_typeIjLj2EENS0_17counting_iteratorIjlEEPS9_SG_NS0_5tupleIJPjSI_NS0_16reverse_iteratorISI_EEEEENSH_IJSG_SG_SG_EEES9_SI_JZNS1_25segmented_radix_sort_implINS0_14default_configELb0EPKdPdPKlPlN2at6native12_GLOBAL__N_18offset_tEEE10hipError_tPvRmT1_PNSt15iterator_traitsIS12_E10value_typeET2_T3_PNS13_IS18_E10value_typeET4_jRbjT5_S1E_jjP12ihipStream_tbEUljE_ZNSN_ISO_Lb0ESQ_SR_ST_SU_SY_EESZ_S10_S11_S12_S16_S17_S18_S1B_S1C_jS1D_jS1E_S1E_jjS1G_bEUljE0_EEESZ_S10_S11_S18_S1C_S1E_T6_T7_T9_mT8_S1G_bDpT10_ENKUlT_T0_E_clISt17integral_constantIbLb0EES1T_IbLb1EEEEDaS1P_S1Q_EUlS1P_E_NS1_11comp_targetILNS1_3genE4ELNS1_11target_archE910ELNS1_3gpuE8ELNS1_3repE0EEENS1_30default_config_static_selectorELNS0_4arch9wavefront6targetE0EEEvS12_.private_seg_size, 0
	.set _ZN7rocprim17ROCPRIM_400000_NS6detail17trampoline_kernelINS0_13select_configILj256ELj13ELNS0_17block_load_methodE3ELS4_3ELS4_3ELNS0_20block_scan_algorithmE0ELj4294967295EEENS1_25partition_config_selectorILNS1_17partition_subalgoE4EjNS0_10empty_typeEbEEZZNS1_14partition_implILS8_4ELb0ES6_15HIP_vector_typeIjLj2EENS0_17counting_iteratorIjlEEPS9_SG_NS0_5tupleIJPjSI_NS0_16reverse_iteratorISI_EEEEENSH_IJSG_SG_SG_EEES9_SI_JZNS1_25segmented_radix_sort_implINS0_14default_configELb0EPKdPdPKlPlN2at6native12_GLOBAL__N_18offset_tEEE10hipError_tPvRmT1_PNSt15iterator_traitsIS12_E10value_typeET2_T3_PNS13_IS18_E10value_typeET4_jRbjT5_S1E_jjP12ihipStream_tbEUljE_ZNSN_ISO_Lb0ESQ_SR_ST_SU_SY_EESZ_S10_S11_S12_S16_S17_S18_S1B_S1C_jS1D_jS1E_S1E_jjS1G_bEUljE0_EEESZ_S10_S11_S18_S1C_S1E_T6_T7_T9_mT8_S1G_bDpT10_ENKUlT_T0_E_clISt17integral_constantIbLb0EES1T_IbLb1EEEEDaS1P_S1Q_EUlS1P_E_NS1_11comp_targetILNS1_3genE4ELNS1_11target_archE910ELNS1_3gpuE8ELNS1_3repE0EEENS1_30default_config_static_selectorELNS0_4arch9wavefront6targetE0EEEvS12_.uses_vcc, 0
	.set _ZN7rocprim17ROCPRIM_400000_NS6detail17trampoline_kernelINS0_13select_configILj256ELj13ELNS0_17block_load_methodE3ELS4_3ELS4_3ELNS0_20block_scan_algorithmE0ELj4294967295EEENS1_25partition_config_selectorILNS1_17partition_subalgoE4EjNS0_10empty_typeEbEEZZNS1_14partition_implILS8_4ELb0ES6_15HIP_vector_typeIjLj2EENS0_17counting_iteratorIjlEEPS9_SG_NS0_5tupleIJPjSI_NS0_16reverse_iteratorISI_EEEEENSH_IJSG_SG_SG_EEES9_SI_JZNS1_25segmented_radix_sort_implINS0_14default_configELb0EPKdPdPKlPlN2at6native12_GLOBAL__N_18offset_tEEE10hipError_tPvRmT1_PNSt15iterator_traitsIS12_E10value_typeET2_T3_PNS13_IS18_E10value_typeET4_jRbjT5_S1E_jjP12ihipStream_tbEUljE_ZNSN_ISO_Lb0ESQ_SR_ST_SU_SY_EESZ_S10_S11_S12_S16_S17_S18_S1B_S1C_jS1D_jS1E_S1E_jjS1G_bEUljE0_EEESZ_S10_S11_S18_S1C_S1E_T6_T7_T9_mT8_S1G_bDpT10_ENKUlT_T0_E_clISt17integral_constantIbLb0EES1T_IbLb1EEEEDaS1P_S1Q_EUlS1P_E_NS1_11comp_targetILNS1_3genE4ELNS1_11target_archE910ELNS1_3gpuE8ELNS1_3repE0EEENS1_30default_config_static_selectorELNS0_4arch9wavefront6targetE0EEEvS12_.uses_flat_scratch, 0
	.set _ZN7rocprim17ROCPRIM_400000_NS6detail17trampoline_kernelINS0_13select_configILj256ELj13ELNS0_17block_load_methodE3ELS4_3ELS4_3ELNS0_20block_scan_algorithmE0ELj4294967295EEENS1_25partition_config_selectorILNS1_17partition_subalgoE4EjNS0_10empty_typeEbEEZZNS1_14partition_implILS8_4ELb0ES6_15HIP_vector_typeIjLj2EENS0_17counting_iteratorIjlEEPS9_SG_NS0_5tupleIJPjSI_NS0_16reverse_iteratorISI_EEEEENSH_IJSG_SG_SG_EEES9_SI_JZNS1_25segmented_radix_sort_implINS0_14default_configELb0EPKdPdPKlPlN2at6native12_GLOBAL__N_18offset_tEEE10hipError_tPvRmT1_PNSt15iterator_traitsIS12_E10value_typeET2_T3_PNS13_IS18_E10value_typeET4_jRbjT5_S1E_jjP12ihipStream_tbEUljE_ZNSN_ISO_Lb0ESQ_SR_ST_SU_SY_EESZ_S10_S11_S12_S16_S17_S18_S1B_S1C_jS1D_jS1E_S1E_jjS1G_bEUljE0_EEESZ_S10_S11_S18_S1C_S1E_T6_T7_T9_mT8_S1G_bDpT10_ENKUlT_T0_E_clISt17integral_constantIbLb0EES1T_IbLb1EEEEDaS1P_S1Q_EUlS1P_E_NS1_11comp_targetILNS1_3genE4ELNS1_11target_archE910ELNS1_3gpuE8ELNS1_3repE0EEENS1_30default_config_static_selectorELNS0_4arch9wavefront6targetE0EEEvS12_.has_dyn_sized_stack, 0
	.set _ZN7rocprim17ROCPRIM_400000_NS6detail17trampoline_kernelINS0_13select_configILj256ELj13ELNS0_17block_load_methodE3ELS4_3ELS4_3ELNS0_20block_scan_algorithmE0ELj4294967295EEENS1_25partition_config_selectorILNS1_17partition_subalgoE4EjNS0_10empty_typeEbEEZZNS1_14partition_implILS8_4ELb0ES6_15HIP_vector_typeIjLj2EENS0_17counting_iteratorIjlEEPS9_SG_NS0_5tupleIJPjSI_NS0_16reverse_iteratorISI_EEEEENSH_IJSG_SG_SG_EEES9_SI_JZNS1_25segmented_radix_sort_implINS0_14default_configELb0EPKdPdPKlPlN2at6native12_GLOBAL__N_18offset_tEEE10hipError_tPvRmT1_PNSt15iterator_traitsIS12_E10value_typeET2_T3_PNS13_IS18_E10value_typeET4_jRbjT5_S1E_jjP12ihipStream_tbEUljE_ZNSN_ISO_Lb0ESQ_SR_ST_SU_SY_EESZ_S10_S11_S12_S16_S17_S18_S1B_S1C_jS1D_jS1E_S1E_jjS1G_bEUljE0_EEESZ_S10_S11_S18_S1C_S1E_T6_T7_T9_mT8_S1G_bDpT10_ENKUlT_T0_E_clISt17integral_constantIbLb0EES1T_IbLb1EEEEDaS1P_S1Q_EUlS1P_E_NS1_11comp_targetILNS1_3genE4ELNS1_11target_archE910ELNS1_3gpuE8ELNS1_3repE0EEENS1_30default_config_static_selectorELNS0_4arch9wavefront6targetE0EEEvS12_.has_recursion, 0
	.set _ZN7rocprim17ROCPRIM_400000_NS6detail17trampoline_kernelINS0_13select_configILj256ELj13ELNS0_17block_load_methodE3ELS4_3ELS4_3ELNS0_20block_scan_algorithmE0ELj4294967295EEENS1_25partition_config_selectorILNS1_17partition_subalgoE4EjNS0_10empty_typeEbEEZZNS1_14partition_implILS8_4ELb0ES6_15HIP_vector_typeIjLj2EENS0_17counting_iteratorIjlEEPS9_SG_NS0_5tupleIJPjSI_NS0_16reverse_iteratorISI_EEEEENSH_IJSG_SG_SG_EEES9_SI_JZNS1_25segmented_radix_sort_implINS0_14default_configELb0EPKdPdPKlPlN2at6native12_GLOBAL__N_18offset_tEEE10hipError_tPvRmT1_PNSt15iterator_traitsIS12_E10value_typeET2_T3_PNS13_IS18_E10value_typeET4_jRbjT5_S1E_jjP12ihipStream_tbEUljE_ZNSN_ISO_Lb0ESQ_SR_ST_SU_SY_EESZ_S10_S11_S12_S16_S17_S18_S1B_S1C_jS1D_jS1E_S1E_jjS1G_bEUljE0_EEESZ_S10_S11_S18_S1C_S1E_T6_T7_T9_mT8_S1G_bDpT10_ENKUlT_T0_E_clISt17integral_constantIbLb0EES1T_IbLb1EEEEDaS1P_S1Q_EUlS1P_E_NS1_11comp_targetILNS1_3genE4ELNS1_11target_archE910ELNS1_3gpuE8ELNS1_3repE0EEENS1_30default_config_static_selectorELNS0_4arch9wavefront6targetE0EEEvS12_.has_indirect_call, 0
	.section	.AMDGPU.csdata,"",@progbits
; Kernel info:
; codeLenInByte = 0
; TotalNumSgprs: 0
; NumVgprs: 0
; ScratchSize: 0
; MemoryBound: 0
; FloatMode: 240
; IeeeMode: 1
; LDSByteSize: 0 bytes/workgroup (compile time only)
; SGPRBlocks: 0
; VGPRBlocks: 0
; NumSGPRsForWavesPerEU: 1
; NumVGPRsForWavesPerEU: 1
; NamedBarCnt: 0
; Occupancy: 16
; WaveLimiterHint : 0
; COMPUTE_PGM_RSRC2:SCRATCH_EN: 0
; COMPUTE_PGM_RSRC2:USER_SGPR: 2
; COMPUTE_PGM_RSRC2:TRAP_HANDLER: 0
; COMPUTE_PGM_RSRC2:TGID_X_EN: 1
; COMPUTE_PGM_RSRC2:TGID_Y_EN: 0
; COMPUTE_PGM_RSRC2:TGID_Z_EN: 0
; COMPUTE_PGM_RSRC2:TIDIG_COMP_CNT: 0
	.section	.text._ZN7rocprim17ROCPRIM_400000_NS6detail17trampoline_kernelINS0_13select_configILj256ELj13ELNS0_17block_load_methodE3ELS4_3ELS4_3ELNS0_20block_scan_algorithmE0ELj4294967295EEENS1_25partition_config_selectorILNS1_17partition_subalgoE4EjNS0_10empty_typeEbEEZZNS1_14partition_implILS8_4ELb0ES6_15HIP_vector_typeIjLj2EENS0_17counting_iteratorIjlEEPS9_SG_NS0_5tupleIJPjSI_NS0_16reverse_iteratorISI_EEEEENSH_IJSG_SG_SG_EEES9_SI_JZNS1_25segmented_radix_sort_implINS0_14default_configELb0EPKdPdPKlPlN2at6native12_GLOBAL__N_18offset_tEEE10hipError_tPvRmT1_PNSt15iterator_traitsIS12_E10value_typeET2_T3_PNS13_IS18_E10value_typeET4_jRbjT5_S1E_jjP12ihipStream_tbEUljE_ZNSN_ISO_Lb0ESQ_SR_ST_SU_SY_EESZ_S10_S11_S12_S16_S17_S18_S1B_S1C_jS1D_jS1E_S1E_jjS1G_bEUljE0_EEESZ_S10_S11_S18_S1C_S1E_T6_T7_T9_mT8_S1G_bDpT10_ENKUlT_T0_E_clISt17integral_constantIbLb0EES1T_IbLb1EEEEDaS1P_S1Q_EUlS1P_E_NS1_11comp_targetILNS1_3genE3ELNS1_11target_archE908ELNS1_3gpuE7ELNS1_3repE0EEENS1_30default_config_static_selectorELNS0_4arch9wavefront6targetE0EEEvS12_,"axG",@progbits,_ZN7rocprim17ROCPRIM_400000_NS6detail17trampoline_kernelINS0_13select_configILj256ELj13ELNS0_17block_load_methodE3ELS4_3ELS4_3ELNS0_20block_scan_algorithmE0ELj4294967295EEENS1_25partition_config_selectorILNS1_17partition_subalgoE4EjNS0_10empty_typeEbEEZZNS1_14partition_implILS8_4ELb0ES6_15HIP_vector_typeIjLj2EENS0_17counting_iteratorIjlEEPS9_SG_NS0_5tupleIJPjSI_NS0_16reverse_iteratorISI_EEEEENSH_IJSG_SG_SG_EEES9_SI_JZNS1_25segmented_radix_sort_implINS0_14default_configELb0EPKdPdPKlPlN2at6native12_GLOBAL__N_18offset_tEEE10hipError_tPvRmT1_PNSt15iterator_traitsIS12_E10value_typeET2_T3_PNS13_IS18_E10value_typeET4_jRbjT5_S1E_jjP12ihipStream_tbEUljE_ZNSN_ISO_Lb0ESQ_SR_ST_SU_SY_EESZ_S10_S11_S12_S16_S17_S18_S1B_S1C_jS1D_jS1E_S1E_jjS1G_bEUljE0_EEESZ_S10_S11_S18_S1C_S1E_T6_T7_T9_mT8_S1G_bDpT10_ENKUlT_T0_E_clISt17integral_constantIbLb0EES1T_IbLb1EEEEDaS1P_S1Q_EUlS1P_E_NS1_11comp_targetILNS1_3genE3ELNS1_11target_archE908ELNS1_3gpuE7ELNS1_3repE0EEENS1_30default_config_static_selectorELNS0_4arch9wavefront6targetE0EEEvS12_,comdat
	.globl	_ZN7rocprim17ROCPRIM_400000_NS6detail17trampoline_kernelINS0_13select_configILj256ELj13ELNS0_17block_load_methodE3ELS4_3ELS4_3ELNS0_20block_scan_algorithmE0ELj4294967295EEENS1_25partition_config_selectorILNS1_17partition_subalgoE4EjNS0_10empty_typeEbEEZZNS1_14partition_implILS8_4ELb0ES6_15HIP_vector_typeIjLj2EENS0_17counting_iteratorIjlEEPS9_SG_NS0_5tupleIJPjSI_NS0_16reverse_iteratorISI_EEEEENSH_IJSG_SG_SG_EEES9_SI_JZNS1_25segmented_radix_sort_implINS0_14default_configELb0EPKdPdPKlPlN2at6native12_GLOBAL__N_18offset_tEEE10hipError_tPvRmT1_PNSt15iterator_traitsIS12_E10value_typeET2_T3_PNS13_IS18_E10value_typeET4_jRbjT5_S1E_jjP12ihipStream_tbEUljE_ZNSN_ISO_Lb0ESQ_SR_ST_SU_SY_EESZ_S10_S11_S12_S16_S17_S18_S1B_S1C_jS1D_jS1E_S1E_jjS1G_bEUljE0_EEESZ_S10_S11_S18_S1C_S1E_T6_T7_T9_mT8_S1G_bDpT10_ENKUlT_T0_E_clISt17integral_constantIbLb0EES1T_IbLb1EEEEDaS1P_S1Q_EUlS1P_E_NS1_11comp_targetILNS1_3genE3ELNS1_11target_archE908ELNS1_3gpuE7ELNS1_3repE0EEENS1_30default_config_static_selectorELNS0_4arch9wavefront6targetE0EEEvS12_ ; -- Begin function _ZN7rocprim17ROCPRIM_400000_NS6detail17trampoline_kernelINS0_13select_configILj256ELj13ELNS0_17block_load_methodE3ELS4_3ELS4_3ELNS0_20block_scan_algorithmE0ELj4294967295EEENS1_25partition_config_selectorILNS1_17partition_subalgoE4EjNS0_10empty_typeEbEEZZNS1_14partition_implILS8_4ELb0ES6_15HIP_vector_typeIjLj2EENS0_17counting_iteratorIjlEEPS9_SG_NS0_5tupleIJPjSI_NS0_16reverse_iteratorISI_EEEEENSH_IJSG_SG_SG_EEES9_SI_JZNS1_25segmented_radix_sort_implINS0_14default_configELb0EPKdPdPKlPlN2at6native12_GLOBAL__N_18offset_tEEE10hipError_tPvRmT1_PNSt15iterator_traitsIS12_E10value_typeET2_T3_PNS13_IS18_E10value_typeET4_jRbjT5_S1E_jjP12ihipStream_tbEUljE_ZNSN_ISO_Lb0ESQ_SR_ST_SU_SY_EESZ_S10_S11_S12_S16_S17_S18_S1B_S1C_jS1D_jS1E_S1E_jjS1G_bEUljE0_EEESZ_S10_S11_S18_S1C_S1E_T6_T7_T9_mT8_S1G_bDpT10_ENKUlT_T0_E_clISt17integral_constantIbLb0EES1T_IbLb1EEEEDaS1P_S1Q_EUlS1P_E_NS1_11comp_targetILNS1_3genE3ELNS1_11target_archE908ELNS1_3gpuE7ELNS1_3repE0EEENS1_30default_config_static_selectorELNS0_4arch9wavefront6targetE0EEEvS12_
	.p2align	8
	.type	_ZN7rocprim17ROCPRIM_400000_NS6detail17trampoline_kernelINS0_13select_configILj256ELj13ELNS0_17block_load_methodE3ELS4_3ELS4_3ELNS0_20block_scan_algorithmE0ELj4294967295EEENS1_25partition_config_selectorILNS1_17partition_subalgoE4EjNS0_10empty_typeEbEEZZNS1_14partition_implILS8_4ELb0ES6_15HIP_vector_typeIjLj2EENS0_17counting_iteratorIjlEEPS9_SG_NS0_5tupleIJPjSI_NS0_16reverse_iteratorISI_EEEEENSH_IJSG_SG_SG_EEES9_SI_JZNS1_25segmented_radix_sort_implINS0_14default_configELb0EPKdPdPKlPlN2at6native12_GLOBAL__N_18offset_tEEE10hipError_tPvRmT1_PNSt15iterator_traitsIS12_E10value_typeET2_T3_PNS13_IS18_E10value_typeET4_jRbjT5_S1E_jjP12ihipStream_tbEUljE_ZNSN_ISO_Lb0ESQ_SR_ST_SU_SY_EESZ_S10_S11_S12_S16_S17_S18_S1B_S1C_jS1D_jS1E_S1E_jjS1G_bEUljE0_EEESZ_S10_S11_S18_S1C_S1E_T6_T7_T9_mT8_S1G_bDpT10_ENKUlT_T0_E_clISt17integral_constantIbLb0EES1T_IbLb1EEEEDaS1P_S1Q_EUlS1P_E_NS1_11comp_targetILNS1_3genE3ELNS1_11target_archE908ELNS1_3gpuE7ELNS1_3repE0EEENS1_30default_config_static_selectorELNS0_4arch9wavefront6targetE0EEEvS12_,@function
_ZN7rocprim17ROCPRIM_400000_NS6detail17trampoline_kernelINS0_13select_configILj256ELj13ELNS0_17block_load_methodE3ELS4_3ELS4_3ELNS0_20block_scan_algorithmE0ELj4294967295EEENS1_25partition_config_selectorILNS1_17partition_subalgoE4EjNS0_10empty_typeEbEEZZNS1_14partition_implILS8_4ELb0ES6_15HIP_vector_typeIjLj2EENS0_17counting_iteratorIjlEEPS9_SG_NS0_5tupleIJPjSI_NS0_16reverse_iteratorISI_EEEEENSH_IJSG_SG_SG_EEES9_SI_JZNS1_25segmented_radix_sort_implINS0_14default_configELb0EPKdPdPKlPlN2at6native12_GLOBAL__N_18offset_tEEE10hipError_tPvRmT1_PNSt15iterator_traitsIS12_E10value_typeET2_T3_PNS13_IS18_E10value_typeET4_jRbjT5_S1E_jjP12ihipStream_tbEUljE_ZNSN_ISO_Lb0ESQ_SR_ST_SU_SY_EESZ_S10_S11_S12_S16_S17_S18_S1B_S1C_jS1D_jS1E_S1E_jjS1G_bEUljE0_EEESZ_S10_S11_S18_S1C_S1E_T6_T7_T9_mT8_S1G_bDpT10_ENKUlT_T0_E_clISt17integral_constantIbLb0EES1T_IbLb1EEEEDaS1P_S1Q_EUlS1P_E_NS1_11comp_targetILNS1_3genE3ELNS1_11target_archE908ELNS1_3gpuE7ELNS1_3repE0EEENS1_30default_config_static_selectorELNS0_4arch9wavefront6targetE0EEEvS12_: ; @_ZN7rocprim17ROCPRIM_400000_NS6detail17trampoline_kernelINS0_13select_configILj256ELj13ELNS0_17block_load_methodE3ELS4_3ELS4_3ELNS0_20block_scan_algorithmE0ELj4294967295EEENS1_25partition_config_selectorILNS1_17partition_subalgoE4EjNS0_10empty_typeEbEEZZNS1_14partition_implILS8_4ELb0ES6_15HIP_vector_typeIjLj2EENS0_17counting_iteratorIjlEEPS9_SG_NS0_5tupleIJPjSI_NS0_16reverse_iteratorISI_EEEEENSH_IJSG_SG_SG_EEES9_SI_JZNS1_25segmented_radix_sort_implINS0_14default_configELb0EPKdPdPKlPlN2at6native12_GLOBAL__N_18offset_tEEE10hipError_tPvRmT1_PNSt15iterator_traitsIS12_E10value_typeET2_T3_PNS13_IS18_E10value_typeET4_jRbjT5_S1E_jjP12ihipStream_tbEUljE_ZNSN_ISO_Lb0ESQ_SR_ST_SU_SY_EESZ_S10_S11_S12_S16_S17_S18_S1B_S1C_jS1D_jS1E_S1E_jjS1G_bEUljE0_EEESZ_S10_S11_S18_S1C_S1E_T6_T7_T9_mT8_S1G_bDpT10_ENKUlT_T0_E_clISt17integral_constantIbLb0EES1T_IbLb1EEEEDaS1P_S1Q_EUlS1P_E_NS1_11comp_targetILNS1_3genE3ELNS1_11target_archE908ELNS1_3gpuE7ELNS1_3repE0EEENS1_30default_config_static_selectorELNS0_4arch9wavefront6targetE0EEEvS12_
; %bb.0:
	.section	.rodata,"a",@progbits
	.p2align	6, 0x0
	.amdhsa_kernel _ZN7rocprim17ROCPRIM_400000_NS6detail17trampoline_kernelINS0_13select_configILj256ELj13ELNS0_17block_load_methodE3ELS4_3ELS4_3ELNS0_20block_scan_algorithmE0ELj4294967295EEENS1_25partition_config_selectorILNS1_17partition_subalgoE4EjNS0_10empty_typeEbEEZZNS1_14partition_implILS8_4ELb0ES6_15HIP_vector_typeIjLj2EENS0_17counting_iteratorIjlEEPS9_SG_NS0_5tupleIJPjSI_NS0_16reverse_iteratorISI_EEEEENSH_IJSG_SG_SG_EEES9_SI_JZNS1_25segmented_radix_sort_implINS0_14default_configELb0EPKdPdPKlPlN2at6native12_GLOBAL__N_18offset_tEEE10hipError_tPvRmT1_PNSt15iterator_traitsIS12_E10value_typeET2_T3_PNS13_IS18_E10value_typeET4_jRbjT5_S1E_jjP12ihipStream_tbEUljE_ZNSN_ISO_Lb0ESQ_SR_ST_SU_SY_EESZ_S10_S11_S12_S16_S17_S18_S1B_S1C_jS1D_jS1E_S1E_jjS1G_bEUljE0_EEESZ_S10_S11_S18_S1C_S1E_T6_T7_T9_mT8_S1G_bDpT10_ENKUlT_T0_E_clISt17integral_constantIbLb0EES1T_IbLb1EEEEDaS1P_S1Q_EUlS1P_E_NS1_11comp_targetILNS1_3genE3ELNS1_11target_archE908ELNS1_3gpuE7ELNS1_3repE0EEENS1_30default_config_static_selectorELNS0_4arch9wavefront6targetE0EEEvS12_
		.amdhsa_group_segment_fixed_size 0
		.amdhsa_private_segment_fixed_size 0
		.amdhsa_kernarg_size 184
		.amdhsa_user_sgpr_count 2
		.amdhsa_user_sgpr_dispatch_ptr 0
		.amdhsa_user_sgpr_queue_ptr 0
		.amdhsa_user_sgpr_kernarg_segment_ptr 1
		.amdhsa_user_sgpr_dispatch_id 0
		.amdhsa_user_sgpr_kernarg_preload_length 0
		.amdhsa_user_sgpr_kernarg_preload_offset 0
		.amdhsa_user_sgpr_private_segment_size 0
		.amdhsa_wavefront_size32 1
		.amdhsa_uses_dynamic_stack 0
		.amdhsa_enable_private_segment 0
		.amdhsa_system_sgpr_workgroup_id_x 1
		.amdhsa_system_sgpr_workgroup_id_y 0
		.amdhsa_system_sgpr_workgroup_id_z 0
		.amdhsa_system_sgpr_workgroup_info 0
		.amdhsa_system_vgpr_workitem_id 0
		.amdhsa_next_free_vgpr 1
		.amdhsa_next_free_sgpr 1
		.amdhsa_named_barrier_count 0
		.amdhsa_reserve_vcc 0
		.amdhsa_float_round_mode_32 0
		.amdhsa_float_round_mode_16_64 0
		.amdhsa_float_denorm_mode_32 3
		.amdhsa_float_denorm_mode_16_64 3
		.amdhsa_fp16_overflow 0
		.amdhsa_memory_ordered 1
		.amdhsa_forward_progress 1
		.amdhsa_inst_pref_size 0
		.amdhsa_round_robin_scheduling 0
		.amdhsa_exception_fp_ieee_invalid_op 0
		.amdhsa_exception_fp_denorm_src 0
		.amdhsa_exception_fp_ieee_div_zero 0
		.amdhsa_exception_fp_ieee_overflow 0
		.amdhsa_exception_fp_ieee_underflow 0
		.amdhsa_exception_fp_ieee_inexact 0
		.amdhsa_exception_int_div_zero 0
	.end_amdhsa_kernel
	.section	.text._ZN7rocprim17ROCPRIM_400000_NS6detail17trampoline_kernelINS0_13select_configILj256ELj13ELNS0_17block_load_methodE3ELS4_3ELS4_3ELNS0_20block_scan_algorithmE0ELj4294967295EEENS1_25partition_config_selectorILNS1_17partition_subalgoE4EjNS0_10empty_typeEbEEZZNS1_14partition_implILS8_4ELb0ES6_15HIP_vector_typeIjLj2EENS0_17counting_iteratorIjlEEPS9_SG_NS0_5tupleIJPjSI_NS0_16reverse_iteratorISI_EEEEENSH_IJSG_SG_SG_EEES9_SI_JZNS1_25segmented_radix_sort_implINS0_14default_configELb0EPKdPdPKlPlN2at6native12_GLOBAL__N_18offset_tEEE10hipError_tPvRmT1_PNSt15iterator_traitsIS12_E10value_typeET2_T3_PNS13_IS18_E10value_typeET4_jRbjT5_S1E_jjP12ihipStream_tbEUljE_ZNSN_ISO_Lb0ESQ_SR_ST_SU_SY_EESZ_S10_S11_S12_S16_S17_S18_S1B_S1C_jS1D_jS1E_S1E_jjS1G_bEUljE0_EEESZ_S10_S11_S18_S1C_S1E_T6_T7_T9_mT8_S1G_bDpT10_ENKUlT_T0_E_clISt17integral_constantIbLb0EES1T_IbLb1EEEEDaS1P_S1Q_EUlS1P_E_NS1_11comp_targetILNS1_3genE3ELNS1_11target_archE908ELNS1_3gpuE7ELNS1_3repE0EEENS1_30default_config_static_selectorELNS0_4arch9wavefront6targetE0EEEvS12_,"axG",@progbits,_ZN7rocprim17ROCPRIM_400000_NS6detail17trampoline_kernelINS0_13select_configILj256ELj13ELNS0_17block_load_methodE3ELS4_3ELS4_3ELNS0_20block_scan_algorithmE0ELj4294967295EEENS1_25partition_config_selectorILNS1_17partition_subalgoE4EjNS0_10empty_typeEbEEZZNS1_14partition_implILS8_4ELb0ES6_15HIP_vector_typeIjLj2EENS0_17counting_iteratorIjlEEPS9_SG_NS0_5tupleIJPjSI_NS0_16reverse_iteratorISI_EEEEENSH_IJSG_SG_SG_EEES9_SI_JZNS1_25segmented_radix_sort_implINS0_14default_configELb0EPKdPdPKlPlN2at6native12_GLOBAL__N_18offset_tEEE10hipError_tPvRmT1_PNSt15iterator_traitsIS12_E10value_typeET2_T3_PNS13_IS18_E10value_typeET4_jRbjT5_S1E_jjP12ihipStream_tbEUljE_ZNSN_ISO_Lb0ESQ_SR_ST_SU_SY_EESZ_S10_S11_S12_S16_S17_S18_S1B_S1C_jS1D_jS1E_S1E_jjS1G_bEUljE0_EEESZ_S10_S11_S18_S1C_S1E_T6_T7_T9_mT8_S1G_bDpT10_ENKUlT_T0_E_clISt17integral_constantIbLb0EES1T_IbLb1EEEEDaS1P_S1Q_EUlS1P_E_NS1_11comp_targetILNS1_3genE3ELNS1_11target_archE908ELNS1_3gpuE7ELNS1_3repE0EEENS1_30default_config_static_selectorELNS0_4arch9wavefront6targetE0EEEvS12_,comdat
.Lfunc_end1178:
	.size	_ZN7rocprim17ROCPRIM_400000_NS6detail17trampoline_kernelINS0_13select_configILj256ELj13ELNS0_17block_load_methodE3ELS4_3ELS4_3ELNS0_20block_scan_algorithmE0ELj4294967295EEENS1_25partition_config_selectorILNS1_17partition_subalgoE4EjNS0_10empty_typeEbEEZZNS1_14partition_implILS8_4ELb0ES6_15HIP_vector_typeIjLj2EENS0_17counting_iteratorIjlEEPS9_SG_NS0_5tupleIJPjSI_NS0_16reverse_iteratorISI_EEEEENSH_IJSG_SG_SG_EEES9_SI_JZNS1_25segmented_radix_sort_implINS0_14default_configELb0EPKdPdPKlPlN2at6native12_GLOBAL__N_18offset_tEEE10hipError_tPvRmT1_PNSt15iterator_traitsIS12_E10value_typeET2_T3_PNS13_IS18_E10value_typeET4_jRbjT5_S1E_jjP12ihipStream_tbEUljE_ZNSN_ISO_Lb0ESQ_SR_ST_SU_SY_EESZ_S10_S11_S12_S16_S17_S18_S1B_S1C_jS1D_jS1E_S1E_jjS1G_bEUljE0_EEESZ_S10_S11_S18_S1C_S1E_T6_T7_T9_mT8_S1G_bDpT10_ENKUlT_T0_E_clISt17integral_constantIbLb0EES1T_IbLb1EEEEDaS1P_S1Q_EUlS1P_E_NS1_11comp_targetILNS1_3genE3ELNS1_11target_archE908ELNS1_3gpuE7ELNS1_3repE0EEENS1_30default_config_static_selectorELNS0_4arch9wavefront6targetE0EEEvS12_, .Lfunc_end1178-_ZN7rocprim17ROCPRIM_400000_NS6detail17trampoline_kernelINS0_13select_configILj256ELj13ELNS0_17block_load_methodE3ELS4_3ELS4_3ELNS0_20block_scan_algorithmE0ELj4294967295EEENS1_25partition_config_selectorILNS1_17partition_subalgoE4EjNS0_10empty_typeEbEEZZNS1_14partition_implILS8_4ELb0ES6_15HIP_vector_typeIjLj2EENS0_17counting_iteratorIjlEEPS9_SG_NS0_5tupleIJPjSI_NS0_16reverse_iteratorISI_EEEEENSH_IJSG_SG_SG_EEES9_SI_JZNS1_25segmented_radix_sort_implINS0_14default_configELb0EPKdPdPKlPlN2at6native12_GLOBAL__N_18offset_tEEE10hipError_tPvRmT1_PNSt15iterator_traitsIS12_E10value_typeET2_T3_PNS13_IS18_E10value_typeET4_jRbjT5_S1E_jjP12ihipStream_tbEUljE_ZNSN_ISO_Lb0ESQ_SR_ST_SU_SY_EESZ_S10_S11_S12_S16_S17_S18_S1B_S1C_jS1D_jS1E_S1E_jjS1G_bEUljE0_EEESZ_S10_S11_S18_S1C_S1E_T6_T7_T9_mT8_S1G_bDpT10_ENKUlT_T0_E_clISt17integral_constantIbLb0EES1T_IbLb1EEEEDaS1P_S1Q_EUlS1P_E_NS1_11comp_targetILNS1_3genE3ELNS1_11target_archE908ELNS1_3gpuE7ELNS1_3repE0EEENS1_30default_config_static_selectorELNS0_4arch9wavefront6targetE0EEEvS12_
                                        ; -- End function
	.set _ZN7rocprim17ROCPRIM_400000_NS6detail17trampoline_kernelINS0_13select_configILj256ELj13ELNS0_17block_load_methodE3ELS4_3ELS4_3ELNS0_20block_scan_algorithmE0ELj4294967295EEENS1_25partition_config_selectorILNS1_17partition_subalgoE4EjNS0_10empty_typeEbEEZZNS1_14partition_implILS8_4ELb0ES6_15HIP_vector_typeIjLj2EENS0_17counting_iteratorIjlEEPS9_SG_NS0_5tupleIJPjSI_NS0_16reverse_iteratorISI_EEEEENSH_IJSG_SG_SG_EEES9_SI_JZNS1_25segmented_radix_sort_implINS0_14default_configELb0EPKdPdPKlPlN2at6native12_GLOBAL__N_18offset_tEEE10hipError_tPvRmT1_PNSt15iterator_traitsIS12_E10value_typeET2_T3_PNS13_IS18_E10value_typeET4_jRbjT5_S1E_jjP12ihipStream_tbEUljE_ZNSN_ISO_Lb0ESQ_SR_ST_SU_SY_EESZ_S10_S11_S12_S16_S17_S18_S1B_S1C_jS1D_jS1E_S1E_jjS1G_bEUljE0_EEESZ_S10_S11_S18_S1C_S1E_T6_T7_T9_mT8_S1G_bDpT10_ENKUlT_T0_E_clISt17integral_constantIbLb0EES1T_IbLb1EEEEDaS1P_S1Q_EUlS1P_E_NS1_11comp_targetILNS1_3genE3ELNS1_11target_archE908ELNS1_3gpuE7ELNS1_3repE0EEENS1_30default_config_static_selectorELNS0_4arch9wavefront6targetE0EEEvS12_.num_vgpr, 0
	.set _ZN7rocprim17ROCPRIM_400000_NS6detail17trampoline_kernelINS0_13select_configILj256ELj13ELNS0_17block_load_methodE3ELS4_3ELS4_3ELNS0_20block_scan_algorithmE0ELj4294967295EEENS1_25partition_config_selectorILNS1_17partition_subalgoE4EjNS0_10empty_typeEbEEZZNS1_14partition_implILS8_4ELb0ES6_15HIP_vector_typeIjLj2EENS0_17counting_iteratorIjlEEPS9_SG_NS0_5tupleIJPjSI_NS0_16reverse_iteratorISI_EEEEENSH_IJSG_SG_SG_EEES9_SI_JZNS1_25segmented_radix_sort_implINS0_14default_configELb0EPKdPdPKlPlN2at6native12_GLOBAL__N_18offset_tEEE10hipError_tPvRmT1_PNSt15iterator_traitsIS12_E10value_typeET2_T3_PNS13_IS18_E10value_typeET4_jRbjT5_S1E_jjP12ihipStream_tbEUljE_ZNSN_ISO_Lb0ESQ_SR_ST_SU_SY_EESZ_S10_S11_S12_S16_S17_S18_S1B_S1C_jS1D_jS1E_S1E_jjS1G_bEUljE0_EEESZ_S10_S11_S18_S1C_S1E_T6_T7_T9_mT8_S1G_bDpT10_ENKUlT_T0_E_clISt17integral_constantIbLb0EES1T_IbLb1EEEEDaS1P_S1Q_EUlS1P_E_NS1_11comp_targetILNS1_3genE3ELNS1_11target_archE908ELNS1_3gpuE7ELNS1_3repE0EEENS1_30default_config_static_selectorELNS0_4arch9wavefront6targetE0EEEvS12_.num_agpr, 0
	.set _ZN7rocprim17ROCPRIM_400000_NS6detail17trampoline_kernelINS0_13select_configILj256ELj13ELNS0_17block_load_methodE3ELS4_3ELS4_3ELNS0_20block_scan_algorithmE0ELj4294967295EEENS1_25partition_config_selectorILNS1_17partition_subalgoE4EjNS0_10empty_typeEbEEZZNS1_14partition_implILS8_4ELb0ES6_15HIP_vector_typeIjLj2EENS0_17counting_iteratorIjlEEPS9_SG_NS0_5tupleIJPjSI_NS0_16reverse_iteratorISI_EEEEENSH_IJSG_SG_SG_EEES9_SI_JZNS1_25segmented_radix_sort_implINS0_14default_configELb0EPKdPdPKlPlN2at6native12_GLOBAL__N_18offset_tEEE10hipError_tPvRmT1_PNSt15iterator_traitsIS12_E10value_typeET2_T3_PNS13_IS18_E10value_typeET4_jRbjT5_S1E_jjP12ihipStream_tbEUljE_ZNSN_ISO_Lb0ESQ_SR_ST_SU_SY_EESZ_S10_S11_S12_S16_S17_S18_S1B_S1C_jS1D_jS1E_S1E_jjS1G_bEUljE0_EEESZ_S10_S11_S18_S1C_S1E_T6_T7_T9_mT8_S1G_bDpT10_ENKUlT_T0_E_clISt17integral_constantIbLb0EES1T_IbLb1EEEEDaS1P_S1Q_EUlS1P_E_NS1_11comp_targetILNS1_3genE3ELNS1_11target_archE908ELNS1_3gpuE7ELNS1_3repE0EEENS1_30default_config_static_selectorELNS0_4arch9wavefront6targetE0EEEvS12_.numbered_sgpr, 0
	.set _ZN7rocprim17ROCPRIM_400000_NS6detail17trampoline_kernelINS0_13select_configILj256ELj13ELNS0_17block_load_methodE3ELS4_3ELS4_3ELNS0_20block_scan_algorithmE0ELj4294967295EEENS1_25partition_config_selectorILNS1_17partition_subalgoE4EjNS0_10empty_typeEbEEZZNS1_14partition_implILS8_4ELb0ES6_15HIP_vector_typeIjLj2EENS0_17counting_iteratorIjlEEPS9_SG_NS0_5tupleIJPjSI_NS0_16reverse_iteratorISI_EEEEENSH_IJSG_SG_SG_EEES9_SI_JZNS1_25segmented_radix_sort_implINS0_14default_configELb0EPKdPdPKlPlN2at6native12_GLOBAL__N_18offset_tEEE10hipError_tPvRmT1_PNSt15iterator_traitsIS12_E10value_typeET2_T3_PNS13_IS18_E10value_typeET4_jRbjT5_S1E_jjP12ihipStream_tbEUljE_ZNSN_ISO_Lb0ESQ_SR_ST_SU_SY_EESZ_S10_S11_S12_S16_S17_S18_S1B_S1C_jS1D_jS1E_S1E_jjS1G_bEUljE0_EEESZ_S10_S11_S18_S1C_S1E_T6_T7_T9_mT8_S1G_bDpT10_ENKUlT_T0_E_clISt17integral_constantIbLb0EES1T_IbLb1EEEEDaS1P_S1Q_EUlS1P_E_NS1_11comp_targetILNS1_3genE3ELNS1_11target_archE908ELNS1_3gpuE7ELNS1_3repE0EEENS1_30default_config_static_selectorELNS0_4arch9wavefront6targetE0EEEvS12_.num_named_barrier, 0
	.set _ZN7rocprim17ROCPRIM_400000_NS6detail17trampoline_kernelINS0_13select_configILj256ELj13ELNS0_17block_load_methodE3ELS4_3ELS4_3ELNS0_20block_scan_algorithmE0ELj4294967295EEENS1_25partition_config_selectorILNS1_17partition_subalgoE4EjNS0_10empty_typeEbEEZZNS1_14partition_implILS8_4ELb0ES6_15HIP_vector_typeIjLj2EENS0_17counting_iteratorIjlEEPS9_SG_NS0_5tupleIJPjSI_NS0_16reverse_iteratorISI_EEEEENSH_IJSG_SG_SG_EEES9_SI_JZNS1_25segmented_radix_sort_implINS0_14default_configELb0EPKdPdPKlPlN2at6native12_GLOBAL__N_18offset_tEEE10hipError_tPvRmT1_PNSt15iterator_traitsIS12_E10value_typeET2_T3_PNS13_IS18_E10value_typeET4_jRbjT5_S1E_jjP12ihipStream_tbEUljE_ZNSN_ISO_Lb0ESQ_SR_ST_SU_SY_EESZ_S10_S11_S12_S16_S17_S18_S1B_S1C_jS1D_jS1E_S1E_jjS1G_bEUljE0_EEESZ_S10_S11_S18_S1C_S1E_T6_T7_T9_mT8_S1G_bDpT10_ENKUlT_T0_E_clISt17integral_constantIbLb0EES1T_IbLb1EEEEDaS1P_S1Q_EUlS1P_E_NS1_11comp_targetILNS1_3genE3ELNS1_11target_archE908ELNS1_3gpuE7ELNS1_3repE0EEENS1_30default_config_static_selectorELNS0_4arch9wavefront6targetE0EEEvS12_.private_seg_size, 0
	.set _ZN7rocprim17ROCPRIM_400000_NS6detail17trampoline_kernelINS0_13select_configILj256ELj13ELNS0_17block_load_methodE3ELS4_3ELS4_3ELNS0_20block_scan_algorithmE0ELj4294967295EEENS1_25partition_config_selectorILNS1_17partition_subalgoE4EjNS0_10empty_typeEbEEZZNS1_14partition_implILS8_4ELb0ES6_15HIP_vector_typeIjLj2EENS0_17counting_iteratorIjlEEPS9_SG_NS0_5tupleIJPjSI_NS0_16reverse_iteratorISI_EEEEENSH_IJSG_SG_SG_EEES9_SI_JZNS1_25segmented_radix_sort_implINS0_14default_configELb0EPKdPdPKlPlN2at6native12_GLOBAL__N_18offset_tEEE10hipError_tPvRmT1_PNSt15iterator_traitsIS12_E10value_typeET2_T3_PNS13_IS18_E10value_typeET4_jRbjT5_S1E_jjP12ihipStream_tbEUljE_ZNSN_ISO_Lb0ESQ_SR_ST_SU_SY_EESZ_S10_S11_S12_S16_S17_S18_S1B_S1C_jS1D_jS1E_S1E_jjS1G_bEUljE0_EEESZ_S10_S11_S18_S1C_S1E_T6_T7_T9_mT8_S1G_bDpT10_ENKUlT_T0_E_clISt17integral_constantIbLb0EES1T_IbLb1EEEEDaS1P_S1Q_EUlS1P_E_NS1_11comp_targetILNS1_3genE3ELNS1_11target_archE908ELNS1_3gpuE7ELNS1_3repE0EEENS1_30default_config_static_selectorELNS0_4arch9wavefront6targetE0EEEvS12_.uses_vcc, 0
	.set _ZN7rocprim17ROCPRIM_400000_NS6detail17trampoline_kernelINS0_13select_configILj256ELj13ELNS0_17block_load_methodE3ELS4_3ELS4_3ELNS0_20block_scan_algorithmE0ELj4294967295EEENS1_25partition_config_selectorILNS1_17partition_subalgoE4EjNS0_10empty_typeEbEEZZNS1_14partition_implILS8_4ELb0ES6_15HIP_vector_typeIjLj2EENS0_17counting_iteratorIjlEEPS9_SG_NS0_5tupleIJPjSI_NS0_16reverse_iteratorISI_EEEEENSH_IJSG_SG_SG_EEES9_SI_JZNS1_25segmented_radix_sort_implINS0_14default_configELb0EPKdPdPKlPlN2at6native12_GLOBAL__N_18offset_tEEE10hipError_tPvRmT1_PNSt15iterator_traitsIS12_E10value_typeET2_T3_PNS13_IS18_E10value_typeET4_jRbjT5_S1E_jjP12ihipStream_tbEUljE_ZNSN_ISO_Lb0ESQ_SR_ST_SU_SY_EESZ_S10_S11_S12_S16_S17_S18_S1B_S1C_jS1D_jS1E_S1E_jjS1G_bEUljE0_EEESZ_S10_S11_S18_S1C_S1E_T6_T7_T9_mT8_S1G_bDpT10_ENKUlT_T0_E_clISt17integral_constantIbLb0EES1T_IbLb1EEEEDaS1P_S1Q_EUlS1P_E_NS1_11comp_targetILNS1_3genE3ELNS1_11target_archE908ELNS1_3gpuE7ELNS1_3repE0EEENS1_30default_config_static_selectorELNS0_4arch9wavefront6targetE0EEEvS12_.uses_flat_scratch, 0
	.set _ZN7rocprim17ROCPRIM_400000_NS6detail17trampoline_kernelINS0_13select_configILj256ELj13ELNS0_17block_load_methodE3ELS4_3ELS4_3ELNS0_20block_scan_algorithmE0ELj4294967295EEENS1_25partition_config_selectorILNS1_17partition_subalgoE4EjNS0_10empty_typeEbEEZZNS1_14partition_implILS8_4ELb0ES6_15HIP_vector_typeIjLj2EENS0_17counting_iteratorIjlEEPS9_SG_NS0_5tupleIJPjSI_NS0_16reverse_iteratorISI_EEEEENSH_IJSG_SG_SG_EEES9_SI_JZNS1_25segmented_radix_sort_implINS0_14default_configELb0EPKdPdPKlPlN2at6native12_GLOBAL__N_18offset_tEEE10hipError_tPvRmT1_PNSt15iterator_traitsIS12_E10value_typeET2_T3_PNS13_IS18_E10value_typeET4_jRbjT5_S1E_jjP12ihipStream_tbEUljE_ZNSN_ISO_Lb0ESQ_SR_ST_SU_SY_EESZ_S10_S11_S12_S16_S17_S18_S1B_S1C_jS1D_jS1E_S1E_jjS1G_bEUljE0_EEESZ_S10_S11_S18_S1C_S1E_T6_T7_T9_mT8_S1G_bDpT10_ENKUlT_T0_E_clISt17integral_constantIbLb0EES1T_IbLb1EEEEDaS1P_S1Q_EUlS1P_E_NS1_11comp_targetILNS1_3genE3ELNS1_11target_archE908ELNS1_3gpuE7ELNS1_3repE0EEENS1_30default_config_static_selectorELNS0_4arch9wavefront6targetE0EEEvS12_.has_dyn_sized_stack, 0
	.set _ZN7rocprim17ROCPRIM_400000_NS6detail17trampoline_kernelINS0_13select_configILj256ELj13ELNS0_17block_load_methodE3ELS4_3ELS4_3ELNS0_20block_scan_algorithmE0ELj4294967295EEENS1_25partition_config_selectorILNS1_17partition_subalgoE4EjNS0_10empty_typeEbEEZZNS1_14partition_implILS8_4ELb0ES6_15HIP_vector_typeIjLj2EENS0_17counting_iteratorIjlEEPS9_SG_NS0_5tupleIJPjSI_NS0_16reverse_iteratorISI_EEEEENSH_IJSG_SG_SG_EEES9_SI_JZNS1_25segmented_radix_sort_implINS0_14default_configELb0EPKdPdPKlPlN2at6native12_GLOBAL__N_18offset_tEEE10hipError_tPvRmT1_PNSt15iterator_traitsIS12_E10value_typeET2_T3_PNS13_IS18_E10value_typeET4_jRbjT5_S1E_jjP12ihipStream_tbEUljE_ZNSN_ISO_Lb0ESQ_SR_ST_SU_SY_EESZ_S10_S11_S12_S16_S17_S18_S1B_S1C_jS1D_jS1E_S1E_jjS1G_bEUljE0_EEESZ_S10_S11_S18_S1C_S1E_T6_T7_T9_mT8_S1G_bDpT10_ENKUlT_T0_E_clISt17integral_constantIbLb0EES1T_IbLb1EEEEDaS1P_S1Q_EUlS1P_E_NS1_11comp_targetILNS1_3genE3ELNS1_11target_archE908ELNS1_3gpuE7ELNS1_3repE0EEENS1_30default_config_static_selectorELNS0_4arch9wavefront6targetE0EEEvS12_.has_recursion, 0
	.set _ZN7rocprim17ROCPRIM_400000_NS6detail17trampoline_kernelINS0_13select_configILj256ELj13ELNS0_17block_load_methodE3ELS4_3ELS4_3ELNS0_20block_scan_algorithmE0ELj4294967295EEENS1_25partition_config_selectorILNS1_17partition_subalgoE4EjNS0_10empty_typeEbEEZZNS1_14partition_implILS8_4ELb0ES6_15HIP_vector_typeIjLj2EENS0_17counting_iteratorIjlEEPS9_SG_NS0_5tupleIJPjSI_NS0_16reverse_iteratorISI_EEEEENSH_IJSG_SG_SG_EEES9_SI_JZNS1_25segmented_radix_sort_implINS0_14default_configELb0EPKdPdPKlPlN2at6native12_GLOBAL__N_18offset_tEEE10hipError_tPvRmT1_PNSt15iterator_traitsIS12_E10value_typeET2_T3_PNS13_IS18_E10value_typeET4_jRbjT5_S1E_jjP12ihipStream_tbEUljE_ZNSN_ISO_Lb0ESQ_SR_ST_SU_SY_EESZ_S10_S11_S12_S16_S17_S18_S1B_S1C_jS1D_jS1E_S1E_jjS1G_bEUljE0_EEESZ_S10_S11_S18_S1C_S1E_T6_T7_T9_mT8_S1G_bDpT10_ENKUlT_T0_E_clISt17integral_constantIbLb0EES1T_IbLb1EEEEDaS1P_S1Q_EUlS1P_E_NS1_11comp_targetILNS1_3genE3ELNS1_11target_archE908ELNS1_3gpuE7ELNS1_3repE0EEENS1_30default_config_static_selectorELNS0_4arch9wavefront6targetE0EEEvS12_.has_indirect_call, 0
	.section	.AMDGPU.csdata,"",@progbits
; Kernel info:
; codeLenInByte = 0
; TotalNumSgprs: 0
; NumVgprs: 0
; ScratchSize: 0
; MemoryBound: 0
; FloatMode: 240
; IeeeMode: 1
; LDSByteSize: 0 bytes/workgroup (compile time only)
; SGPRBlocks: 0
; VGPRBlocks: 0
; NumSGPRsForWavesPerEU: 1
; NumVGPRsForWavesPerEU: 1
; NamedBarCnt: 0
; Occupancy: 16
; WaveLimiterHint : 0
; COMPUTE_PGM_RSRC2:SCRATCH_EN: 0
; COMPUTE_PGM_RSRC2:USER_SGPR: 2
; COMPUTE_PGM_RSRC2:TRAP_HANDLER: 0
; COMPUTE_PGM_RSRC2:TGID_X_EN: 1
; COMPUTE_PGM_RSRC2:TGID_Y_EN: 0
; COMPUTE_PGM_RSRC2:TGID_Z_EN: 0
; COMPUTE_PGM_RSRC2:TIDIG_COMP_CNT: 0
	.section	.text._ZN7rocprim17ROCPRIM_400000_NS6detail17trampoline_kernelINS0_13select_configILj256ELj13ELNS0_17block_load_methodE3ELS4_3ELS4_3ELNS0_20block_scan_algorithmE0ELj4294967295EEENS1_25partition_config_selectorILNS1_17partition_subalgoE4EjNS0_10empty_typeEbEEZZNS1_14partition_implILS8_4ELb0ES6_15HIP_vector_typeIjLj2EENS0_17counting_iteratorIjlEEPS9_SG_NS0_5tupleIJPjSI_NS0_16reverse_iteratorISI_EEEEENSH_IJSG_SG_SG_EEES9_SI_JZNS1_25segmented_radix_sort_implINS0_14default_configELb0EPKdPdPKlPlN2at6native12_GLOBAL__N_18offset_tEEE10hipError_tPvRmT1_PNSt15iterator_traitsIS12_E10value_typeET2_T3_PNS13_IS18_E10value_typeET4_jRbjT5_S1E_jjP12ihipStream_tbEUljE_ZNSN_ISO_Lb0ESQ_SR_ST_SU_SY_EESZ_S10_S11_S12_S16_S17_S18_S1B_S1C_jS1D_jS1E_S1E_jjS1G_bEUljE0_EEESZ_S10_S11_S18_S1C_S1E_T6_T7_T9_mT8_S1G_bDpT10_ENKUlT_T0_E_clISt17integral_constantIbLb0EES1T_IbLb1EEEEDaS1P_S1Q_EUlS1P_E_NS1_11comp_targetILNS1_3genE2ELNS1_11target_archE906ELNS1_3gpuE6ELNS1_3repE0EEENS1_30default_config_static_selectorELNS0_4arch9wavefront6targetE0EEEvS12_,"axG",@progbits,_ZN7rocprim17ROCPRIM_400000_NS6detail17trampoline_kernelINS0_13select_configILj256ELj13ELNS0_17block_load_methodE3ELS4_3ELS4_3ELNS0_20block_scan_algorithmE0ELj4294967295EEENS1_25partition_config_selectorILNS1_17partition_subalgoE4EjNS0_10empty_typeEbEEZZNS1_14partition_implILS8_4ELb0ES6_15HIP_vector_typeIjLj2EENS0_17counting_iteratorIjlEEPS9_SG_NS0_5tupleIJPjSI_NS0_16reverse_iteratorISI_EEEEENSH_IJSG_SG_SG_EEES9_SI_JZNS1_25segmented_radix_sort_implINS0_14default_configELb0EPKdPdPKlPlN2at6native12_GLOBAL__N_18offset_tEEE10hipError_tPvRmT1_PNSt15iterator_traitsIS12_E10value_typeET2_T3_PNS13_IS18_E10value_typeET4_jRbjT5_S1E_jjP12ihipStream_tbEUljE_ZNSN_ISO_Lb0ESQ_SR_ST_SU_SY_EESZ_S10_S11_S12_S16_S17_S18_S1B_S1C_jS1D_jS1E_S1E_jjS1G_bEUljE0_EEESZ_S10_S11_S18_S1C_S1E_T6_T7_T9_mT8_S1G_bDpT10_ENKUlT_T0_E_clISt17integral_constantIbLb0EES1T_IbLb1EEEEDaS1P_S1Q_EUlS1P_E_NS1_11comp_targetILNS1_3genE2ELNS1_11target_archE906ELNS1_3gpuE6ELNS1_3repE0EEENS1_30default_config_static_selectorELNS0_4arch9wavefront6targetE0EEEvS12_,comdat
	.globl	_ZN7rocprim17ROCPRIM_400000_NS6detail17trampoline_kernelINS0_13select_configILj256ELj13ELNS0_17block_load_methodE3ELS4_3ELS4_3ELNS0_20block_scan_algorithmE0ELj4294967295EEENS1_25partition_config_selectorILNS1_17partition_subalgoE4EjNS0_10empty_typeEbEEZZNS1_14partition_implILS8_4ELb0ES6_15HIP_vector_typeIjLj2EENS0_17counting_iteratorIjlEEPS9_SG_NS0_5tupleIJPjSI_NS0_16reverse_iteratorISI_EEEEENSH_IJSG_SG_SG_EEES9_SI_JZNS1_25segmented_radix_sort_implINS0_14default_configELb0EPKdPdPKlPlN2at6native12_GLOBAL__N_18offset_tEEE10hipError_tPvRmT1_PNSt15iterator_traitsIS12_E10value_typeET2_T3_PNS13_IS18_E10value_typeET4_jRbjT5_S1E_jjP12ihipStream_tbEUljE_ZNSN_ISO_Lb0ESQ_SR_ST_SU_SY_EESZ_S10_S11_S12_S16_S17_S18_S1B_S1C_jS1D_jS1E_S1E_jjS1G_bEUljE0_EEESZ_S10_S11_S18_S1C_S1E_T6_T7_T9_mT8_S1G_bDpT10_ENKUlT_T0_E_clISt17integral_constantIbLb0EES1T_IbLb1EEEEDaS1P_S1Q_EUlS1P_E_NS1_11comp_targetILNS1_3genE2ELNS1_11target_archE906ELNS1_3gpuE6ELNS1_3repE0EEENS1_30default_config_static_selectorELNS0_4arch9wavefront6targetE0EEEvS12_ ; -- Begin function _ZN7rocprim17ROCPRIM_400000_NS6detail17trampoline_kernelINS0_13select_configILj256ELj13ELNS0_17block_load_methodE3ELS4_3ELS4_3ELNS0_20block_scan_algorithmE0ELj4294967295EEENS1_25partition_config_selectorILNS1_17partition_subalgoE4EjNS0_10empty_typeEbEEZZNS1_14partition_implILS8_4ELb0ES6_15HIP_vector_typeIjLj2EENS0_17counting_iteratorIjlEEPS9_SG_NS0_5tupleIJPjSI_NS0_16reverse_iteratorISI_EEEEENSH_IJSG_SG_SG_EEES9_SI_JZNS1_25segmented_radix_sort_implINS0_14default_configELb0EPKdPdPKlPlN2at6native12_GLOBAL__N_18offset_tEEE10hipError_tPvRmT1_PNSt15iterator_traitsIS12_E10value_typeET2_T3_PNS13_IS18_E10value_typeET4_jRbjT5_S1E_jjP12ihipStream_tbEUljE_ZNSN_ISO_Lb0ESQ_SR_ST_SU_SY_EESZ_S10_S11_S12_S16_S17_S18_S1B_S1C_jS1D_jS1E_S1E_jjS1G_bEUljE0_EEESZ_S10_S11_S18_S1C_S1E_T6_T7_T9_mT8_S1G_bDpT10_ENKUlT_T0_E_clISt17integral_constantIbLb0EES1T_IbLb1EEEEDaS1P_S1Q_EUlS1P_E_NS1_11comp_targetILNS1_3genE2ELNS1_11target_archE906ELNS1_3gpuE6ELNS1_3repE0EEENS1_30default_config_static_selectorELNS0_4arch9wavefront6targetE0EEEvS12_
	.p2align	8
	.type	_ZN7rocprim17ROCPRIM_400000_NS6detail17trampoline_kernelINS0_13select_configILj256ELj13ELNS0_17block_load_methodE3ELS4_3ELS4_3ELNS0_20block_scan_algorithmE0ELj4294967295EEENS1_25partition_config_selectorILNS1_17partition_subalgoE4EjNS0_10empty_typeEbEEZZNS1_14partition_implILS8_4ELb0ES6_15HIP_vector_typeIjLj2EENS0_17counting_iteratorIjlEEPS9_SG_NS0_5tupleIJPjSI_NS0_16reverse_iteratorISI_EEEEENSH_IJSG_SG_SG_EEES9_SI_JZNS1_25segmented_radix_sort_implINS0_14default_configELb0EPKdPdPKlPlN2at6native12_GLOBAL__N_18offset_tEEE10hipError_tPvRmT1_PNSt15iterator_traitsIS12_E10value_typeET2_T3_PNS13_IS18_E10value_typeET4_jRbjT5_S1E_jjP12ihipStream_tbEUljE_ZNSN_ISO_Lb0ESQ_SR_ST_SU_SY_EESZ_S10_S11_S12_S16_S17_S18_S1B_S1C_jS1D_jS1E_S1E_jjS1G_bEUljE0_EEESZ_S10_S11_S18_S1C_S1E_T6_T7_T9_mT8_S1G_bDpT10_ENKUlT_T0_E_clISt17integral_constantIbLb0EES1T_IbLb1EEEEDaS1P_S1Q_EUlS1P_E_NS1_11comp_targetILNS1_3genE2ELNS1_11target_archE906ELNS1_3gpuE6ELNS1_3repE0EEENS1_30default_config_static_selectorELNS0_4arch9wavefront6targetE0EEEvS12_,@function
_ZN7rocprim17ROCPRIM_400000_NS6detail17trampoline_kernelINS0_13select_configILj256ELj13ELNS0_17block_load_methodE3ELS4_3ELS4_3ELNS0_20block_scan_algorithmE0ELj4294967295EEENS1_25partition_config_selectorILNS1_17partition_subalgoE4EjNS0_10empty_typeEbEEZZNS1_14partition_implILS8_4ELb0ES6_15HIP_vector_typeIjLj2EENS0_17counting_iteratorIjlEEPS9_SG_NS0_5tupleIJPjSI_NS0_16reverse_iteratorISI_EEEEENSH_IJSG_SG_SG_EEES9_SI_JZNS1_25segmented_radix_sort_implINS0_14default_configELb0EPKdPdPKlPlN2at6native12_GLOBAL__N_18offset_tEEE10hipError_tPvRmT1_PNSt15iterator_traitsIS12_E10value_typeET2_T3_PNS13_IS18_E10value_typeET4_jRbjT5_S1E_jjP12ihipStream_tbEUljE_ZNSN_ISO_Lb0ESQ_SR_ST_SU_SY_EESZ_S10_S11_S12_S16_S17_S18_S1B_S1C_jS1D_jS1E_S1E_jjS1G_bEUljE0_EEESZ_S10_S11_S18_S1C_S1E_T6_T7_T9_mT8_S1G_bDpT10_ENKUlT_T0_E_clISt17integral_constantIbLb0EES1T_IbLb1EEEEDaS1P_S1Q_EUlS1P_E_NS1_11comp_targetILNS1_3genE2ELNS1_11target_archE906ELNS1_3gpuE6ELNS1_3repE0EEENS1_30default_config_static_selectorELNS0_4arch9wavefront6targetE0EEEvS12_: ; @_ZN7rocprim17ROCPRIM_400000_NS6detail17trampoline_kernelINS0_13select_configILj256ELj13ELNS0_17block_load_methodE3ELS4_3ELS4_3ELNS0_20block_scan_algorithmE0ELj4294967295EEENS1_25partition_config_selectorILNS1_17partition_subalgoE4EjNS0_10empty_typeEbEEZZNS1_14partition_implILS8_4ELb0ES6_15HIP_vector_typeIjLj2EENS0_17counting_iteratorIjlEEPS9_SG_NS0_5tupleIJPjSI_NS0_16reverse_iteratorISI_EEEEENSH_IJSG_SG_SG_EEES9_SI_JZNS1_25segmented_radix_sort_implINS0_14default_configELb0EPKdPdPKlPlN2at6native12_GLOBAL__N_18offset_tEEE10hipError_tPvRmT1_PNSt15iterator_traitsIS12_E10value_typeET2_T3_PNS13_IS18_E10value_typeET4_jRbjT5_S1E_jjP12ihipStream_tbEUljE_ZNSN_ISO_Lb0ESQ_SR_ST_SU_SY_EESZ_S10_S11_S12_S16_S17_S18_S1B_S1C_jS1D_jS1E_S1E_jjS1G_bEUljE0_EEESZ_S10_S11_S18_S1C_S1E_T6_T7_T9_mT8_S1G_bDpT10_ENKUlT_T0_E_clISt17integral_constantIbLb0EES1T_IbLb1EEEEDaS1P_S1Q_EUlS1P_E_NS1_11comp_targetILNS1_3genE2ELNS1_11target_archE906ELNS1_3gpuE6ELNS1_3repE0EEENS1_30default_config_static_selectorELNS0_4arch9wavefront6targetE0EEEvS12_
; %bb.0:
	.section	.rodata,"a",@progbits
	.p2align	6, 0x0
	.amdhsa_kernel _ZN7rocprim17ROCPRIM_400000_NS6detail17trampoline_kernelINS0_13select_configILj256ELj13ELNS0_17block_load_methodE3ELS4_3ELS4_3ELNS0_20block_scan_algorithmE0ELj4294967295EEENS1_25partition_config_selectorILNS1_17partition_subalgoE4EjNS0_10empty_typeEbEEZZNS1_14partition_implILS8_4ELb0ES6_15HIP_vector_typeIjLj2EENS0_17counting_iteratorIjlEEPS9_SG_NS0_5tupleIJPjSI_NS0_16reverse_iteratorISI_EEEEENSH_IJSG_SG_SG_EEES9_SI_JZNS1_25segmented_radix_sort_implINS0_14default_configELb0EPKdPdPKlPlN2at6native12_GLOBAL__N_18offset_tEEE10hipError_tPvRmT1_PNSt15iterator_traitsIS12_E10value_typeET2_T3_PNS13_IS18_E10value_typeET4_jRbjT5_S1E_jjP12ihipStream_tbEUljE_ZNSN_ISO_Lb0ESQ_SR_ST_SU_SY_EESZ_S10_S11_S12_S16_S17_S18_S1B_S1C_jS1D_jS1E_S1E_jjS1G_bEUljE0_EEESZ_S10_S11_S18_S1C_S1E_T6_T7_T9_mT8_S1G_bDpT10_ENKUlT_T0_E_clISt17integral_constantIbLb0EES1T_IbLb1EEEEDaS1P_S1Q_EUlS1P_E_NS1_11comp_targetILNS1_3genE2ELNS1_11target_archE906ELNS1_3gpuE6ELNS1_3repE0EEENS1_30default_config_static_selectorELNS0_4arch9wavefront6targetE0EEEvS12_
		.amdhsa_group_segment_fixed_size 0
		.amdhsa_private_segment_fixed_size 0
		.amdhsa_kernarg_size 184
		.amdhsa_user_sgpr_count 2
		.amdhsa_user_sgpr_dispatch_ptr 0
		.amdhsa_user_sgpr_queue_ptr 0
		.amdhsa_user_sgpr_kernarg_segment_ptr 1
		.amdhsa_user_sgpr_dispatch_id 0
		.amdhsa_user_sgpr_kernarg_preload_length 0
		.amdhsa_user_sgpr_kernarg_preload_offset 0
		.amdhsa_user_sgpr_private_segment_size 0
		.amdhsa_wavefront_size32 1
		.amdhsa_uses_dynamic_stack 0
		.amdhsa_enable_private_segment 0
		.amdhsa_system_sgpr_workgroup_id_x 1
		.amdhsa_system_sgpr_workgroup_id_y 0
		.amdhsa_system_sgpr_workgroup_id_z 0
		.amdhsa_system_sgpr_workgroup_info 0
		.amdhsa_system_vgpr_workitem_id 0
		.amdhsa_next_free_vgpr 1
		.amdhsa_next_free_sgpr 1
		.amdhsa_named_barrier_count 0
		.amdhsa_reserve_vcc 0
		.amdhsa_float_round_mode_32 0
		.amdhsa_float_round_mode_16_64 0
		.amdhsa_float_denorm_mode_32 3
		.amdhsa_float_denorm_mode_16_64 3
		.amdhsa_fp16_overflow 0
		.amdhsa_memory_ordered 1
		.amdhsa_forward_progress 1
		.amdhsa_inst_pref_size 0
		.amdhsa_round_robin_scheduling 0
		.amdhsa_exception_fp_ieee_invalid_op 0
		.amdhsa_exception_fp_denorm_src 0
		.amdhsa_exception_fp_ieee_div_zero 0
		.amdhsa_exception_fp_ieee_overflow 0
		.amdhsa_exception_fp_ieee_underflow 0
		.amdhsa_exception_fp_ieee_inexact 0
		.amdhsa_exception_int_div_zero 0
	.end_amdhsa_kernel
	.section	.text._ZN7rocprim17ROCPRIM_400000_NS6detail17trampoline_kernelINS0_13select_configILj256ELj13ELNS0_17block_load_methodE3ELS4_3ELS4_3ELNS0_20block_scan_algorithmE0ELj4294967295EEENS1_25partition_config_selectorILNS1_17partition_subalgoE4EjNS0_10empty_typeEbEEZZNS1_14partition_implILS8_4ELb0ES6_15HIP_vector_typeIjLj2EENS0_17counting_iteratorIjlEEPS9_SG_NS0_5tupleIJPjSI_NS0_16reverse_iteratorISI_EEEEENSH_IJSG_SG_SG_EEES9_SI_JZNS1_25segmented_radix_sort_implINS0_14default_configELb0EPKdPdPKlPlN2at6native12_GLOBAL__N_18offset_tEEE10hipError_tPvRmT1_PNSt15iterator_traitsIS12_E10value_typeET2_T3_PNS13_IS18_E10value_typeET4_jRbjT5_S1E_jjP12ihipStream_tbEUljE_ZNSN_ISO_Lb0ESQ_SR_ST_SU_SY_EESZ_S10_S11_S12_S16_S17_S18_S1B_S1C_jS1D_jS1E_S1E_jjS1G_bEUljE0_EEESZ_S10_S11_S18_S1C_S1E_T6_T7_T9_mT8_S1G_bDpT10_ENKUlT_T0_E_clISt17integral_constantIbLb0EES1T_IbLb1EEEEDaS1P_S1Q_EUlS1P_E_NS1_11comp_targetILNS1_3genE2ELNS1_11target_archE906ELNS1_3gpuE6ELNS1_3repE0EEENS1_30default_config_static_selectorELNS0_4arch9wavefront6targetE0EEEvS12_,"axG",@progbits,_ZN7rocprim17ROCPRIM_400000_NS6detail17trampoline_kernelINS0_13select_configILj256ELj13ELNS0_17block_load_methodE3ELS4_3ELS4_3ELNS0_20block_scan_algorithmE0ELj4294967295EEENS1_25partition_config_selectorILNS1_17partition_subalgoE4EjNS0_10empty_typeEbEEZZNS1_14partition_implILS8_4ELb0ES6_15HIP_vector_typeIjLj2EENS0_17counting_iteratorIjlEEPS9_SG_NS0_5tupleIJPjSI_NS0_16reverse_iteratorISI_EEEEENSH_IJSG_SG_SG_EEES9_SI_JZNS1_25segmented_radix_sort_implINS0_14default_configELb0EPKdPdPKlPlN2at6native12_GLOBAL__N_18offset_tEEE10hipError_tPvRmT1_PNSt15iterator_traitsIS12_E10value_typeET2_T3_PNS13_IS18_E10value_typeET4_jRbjT5_S1E_jjP12ihipStream_tbEUljE_ZNSN_ISO_Lb0ESQ_SR_ST_SU_SY_EESZ_S10_S11_S12_S16_S17_S18_S1B_S1C_jS1D_jS1E_S1E_jjS1G_bEUljE0_EEESZ_S10_S11_S18_S1C_S1E_T6_T7_T9_mT8_S1G_bDpT10_ENKUlT_T0_E_clISt17integral_constantIbLb0EES1T_IbLb1EEEEDaS1P_S1Q_EUlS1P_E_NS1_11comp_targetILNS1_3genE2ELNS1_11target_archE906ELNS1_3gpuE6ELNS1_3repE0EEENS1_30default_config_static_selectorELNS0_4arch9wavefront6targetE0EEEvS12_,comdat
.Lfunc_end1179:
	.size	_ZN7rocprim17ROCPRIM_400000_NS6detail17trampoline_kernelINS0_13select_configILj256ELj13ELNS0_17block_load_methodE3ELS4_3ELS4_3ELNS0_20block_scan_algorithmE0ELj4294967295EEENS1_25partition_config_selectorILNS1_17partition_subalgoE4EjNS0_10empty_typeEbEEZZNS1_14partition_implILS8_4ELb0ES6_15HIP_vector_typeIjLj2EENS0_17counting_iteratorIjlEEPS9_SG_NS0_5tupleIJPjSI_NS0_16reverse_iteratorISI_EEEEENSH_IJSG_SG_SG_EEES9_SI_JZNS1_25segmented_radix_sort_implINS0_14default_configELb0EPKdPdPKlPlN2at6native12_GLOBAL__N_18offset_tEEE10hipError_tPvRmT1_PNSt15iterator_traitsIS12_E10value_typeET2_T3_PNS13_IS18_E10value_typeET4_jRbjT5_S1E_jjP12ihipStream_tbEUljE_ZNSN_ISO_Lb0ESQ_SR_ST_SU_SY_EESZ_S10_S11_S12_S16_S17_S18_S1B_S1C_jS1D_jS1E_S1E_jjS1G_bEUljE0_EEESZ_S10_S11_S18_S1C_S1E_T6_T7_T9_mT8_S1G_bDpT10_ENKUlT_T0_E_clISt17integral_constantIbLb0EES1T_IbLb1EEEEDaS1P_S1Q_EUlS1P_E_NS1_11comp_targetILNS1_3genE2ELNS1_11target_archE906ELNS1_3gpuE6ELNS1_3repE0EEENS1_30default_config_static_selectorELNS0_4arch9wavefront6targetE0EEEvS12_, .Lfunc_end1179-_ZN7rocprim17ROCPRIM_400000_NS6detail17trampoline_kernelINS0_13select_configILj256ELj13ELNS0_17block_load_methodE3ELS4_3ELS4_3ELNS0_20block_scan_algorithmE0ELj4294967295EEENS1_25partition_config_selectorILNS1_17partition_subalgoE4EjNS0_10empty_typeEbEEZZNS1_14partition_implILS8_4ELb0ES6_15HIP_vector_typeIjLj2EENS0_17counting_iteratorIjlEEPS9_SG_NS0_5tupleIJPjSI_NS0_16reverse_iteratorISI_EEEEENSH_IJSG_SG_SG_EEES9_SI_JZNS1_25segmented_radix_sort_implINS0_14default_configELb0EPKdPdPKlPlN2at6native12_GLOBAL__N_18offset_tEEE10hipError_tPvRmT1_PNSt15iterator_traitsIS12_E10value_typeET2_T3_PNS13_IS18_E10value_typeET4_jRbjT5_S1E_jjP12ihipStream_tbEUljE_ZNSN_ISO_Lb0ESQ_SR_ST_SU_SY_EESZ_S10_S11_S12_S16_S17_S18_S1B_S1C_jS1D_jS1E_S1E_jjS1G_bEUljE0_EEESZ_S10_S11_S18_S1C_S1E_T6_T7_T9_mT8_S1G_bDpT10_ENKUlT_T0_E_clISt17integral_constantIbLb0EES1T_IbLb1EEEEDaS1P_S1Q_EUlS1P_E_NS1_11comp_targetILNS1_3genE2ELNS1_11target_archE906ELNS1_3gpuE6ELNS1_3repE0EEENS1_30default_config_static_selectorELNS0_4arch9wavefront6targetE0EEEvS12_
                                        ; -- End function
	.set _ZN7rocprim17ROCPRIM_400000_NS6detail17trampoline_kernelINS0_13select_configILj256ELj13ELNS0_17block_load_methodE3ELS4_3ELS4_3ELNS0_20block_scan_algorithmE0ELj4294967295EEENS1_25partition_config_selectorILNS1_17partition_subalgoE4EjNS0_10empty_typeEbEEZZNS1_14partition_implILS8_4ELb0ES6_15HIP_vector_typeIjLj2EENS0_17counting_iteratorIjlEEPS9_SG_NS0_5tupleIJPjSI_NS0_16reverse_iteratorISI_EEEEENSH_IJSG_SG_SG_EEES9_SI_JZNS1_25segmented_radix_sort_implINS0_14default_configELb0EPKdPdPKlPlN2at6native12_GLOBAL__N_18offset_tEEE10hipError_tPvRmT1_PNSt15iterator_traitsIS12_E10value_typeET2_T3_PNS13_IS18_E10value_typeET4_jRbjT5_S1E_jjP12ihipStream_tbEUljE_ZNSN_ISO_Lb0ESQ_SR_ST_SU_SY_EESZ_S10_S11_S12_S16_S17_S18_S1B_S1C_jS1D_jS1E_S1E_jjS1G_bEUljE0_EEESZ_S10_S11_S18_S1C_S1E_T6_T7_T9_mT8_S1G_bDpT10_ENKUlT_T0_E_clISt17integral_constantIbLb0EES1T_IbLb1EEEEDaS1P_S1Q_EUlS1P_E_NS1_11comp_targetILNS1_3genE2ELNS1_11target_archE906ELNS1_3gpuE6ELNS1_3repE0EEENS1_30default_config_static_selectorELNS0_4arch9wavefront6targetE0EEEvS12_.num_vgpr, 0
	.set _ZN7rocprim17ROCPRIM_400000_NS6detail17trampoline_kernelINS0_13select_configILj256ELj13ELNS0_17block_load_methodE3ELS4_3ELS4_3ELNS0_20block_scan_algorithmE0ELj4294967295EEENS1_25partition_config_selectorILNS1_17partition_subalgoE4EjNS0_10empty_typeEbEEZZNS1_14partition_implILS8_4ELb0ES6_15HIP_vector_typeIjLj2EENS0_17counting_iteratorIjlEEPS9_SG_NS0_5tupleIJPjSI_NS0_16reverse_iteratorISI_EEEEENSH_IJSG_SG_SG_EEES9_SI_JZNS1_25segmented_radix_sort_implINS0_14default_configELb0EPKdPdPKlPlN2at6native12_GLOBAL__N_18offset_tEEE10hipError_tPvRmT1_PNSt15iterator_traitsIS12_E10value_typeET2_T3_PNS13_IS18_E10value_typeET4_jRbjT5_S1E_jjP12ihipStream_tbEUljE_ZNSN_ISO_Lb0ESQ_SR_ST_SU_SY_EESZ_S10_S11_S12_S16_S17_S18_S1B_S1C_jS1D_jS1E_S1E_jjS1G_bEUljE0_EEESZ_S10_S11_S18_S1C_S1E_T6_T7_T9_mT8_S1G_bDpT10_ENKUlT_T0_E_clISt17integral_constantIbLb0EES1T_IbLb1EEEEDaS1P_S1Q_EUlS1P_E_NS1_11comp_targetILNS1_3genE2ELNS1_11target_archE906ELNS1_3gpuE6ELNS1_3repE0EEENS1_30default_config_static_selectorELNS0_4arch9wavefront6targetE0EEEvS12_.num_agpr, 0
	.set _ZN7rocprim17ROCPRIM_400000_NS6detail17trampoline_kernelINS0_13select_configILj256ELj13ELNS0_17block_load_methodE3ELS4_3ELS4_3ELNS0_20block_scan_algorithmE0ELj4294967295EEENS1_25partition_config_selectorILNS1_17partition_subalgoE4EjNS0_10empty_typeEbEEZZNS1_14partition_implILS8_4ELb0ES6_15HIP_vector_typeIjLj2EENS0_17counting_iteratorIjlEEPS9_SG_NS0_5tupleIJPjSI_NS0_16reverse_iteratorISI_EEEEENSH_IJSG_SG_SG_EEES9_SI_JZNS1_25segmented_radix_sort_implINS0_14default_configELb0EPKdPdPKlPlN2at6native12_GLOBAL__N_18offset_tEEE10hipError_tPvRmT1_PNSt15iterator_traitsIS12_E10value_typeET2_T3_PNS13_IS18_E10value_typeET4_jRbjT5_S1E_jjP12ihipStream_tbEUljE_ZNSN_ISO_Lb0ESQ_SR_ST_SU_SY_EESZ_S10_S11_S12_S16_S17_S18_S1B_S1C_jS1D_jS1E_S1E_jjS1G_bEUljE0_EEESZ_S10_S11_S18_S1C_S1E_T6_T7_T9_mT8_S1G_bDpT10_ENKUlT_T0_E_clISt17integral_constantIbLb0EES1T_IbLb1EEEEDaS1P_S1Q_EUlS1P_E_NS1_11comp_targetILNS1_3genE2ELNS1_11target_archE906ELNS1_3gpuE6ELNS1_3repE0EEENS1_30default_config_static_selectorELNS0_4arch9wavefront6targetE0EEEvS12_.numbered_sgpr, 0
	.set _ZN7rocprim17ROCPRIM_400000_NS6detail17trampoline_kernelINS0_13select_configILj256ELj13ELNS0_17block_load_methodE3ELS4_3ELS4_3ELNS0_20block_scan_algorithmE0ELj4294967295EEENS1_25partition_config_selectorILNS1_17partition_subalgoE4EjNS0_10empty_typeEbEEZZNS1_14partition_implILS8_4ELb0ES6_15HIP_vector_typeIjLj2EENS0_17counting_iteratorIjlEEPS9_SG_NS0_5tupleIJPjSI_NS0_16reverse_iteratorISI_EEEEENSH_IJSG_SG_SG_EEES9_SI_JZNS1_25segmented_radix_sort_implINS0_14default_configELb0EPKdPdPKlPlN2at6native12_GLOBAL__N_18offset_tEEE10hipError_tPvRmT1_PNSt15iterator_traitsIS12_E10value_typeET2_T3_PNS13_IS18_E10value_typeET4_jRbjT5_S1E_jjP12ihipStream_tbEUljE_ZNSN_ISO_Lb0ESQ_SR_ST_SU_SY_EESZ_S10_S11_S12_S16_S17_S18_S1B_S1C_jS1D_jS1E_S1E_jjS1G_bEUljE0_EEESZ_S10_S11_S18_S1C_S1E_T6_T7_T9_mT8_S1G_bDpT10_ENKUlT_T0_E_clISt17integral_constantIbLb0EES1T_IbLb1EEEEDaS1P_S1Q_EUlS1P_E_NS1_11comp_targetILNS1_3genE2ELNS1_11target_archE906ELNS1_3gpuE6ELNS1_3repE0EEENS1_30default_config_static_selectorELNS0_4arch9wavefront6targetE0EEEvS12_.num_named_barrier, 0
	.set _ZN7rocprim17ROCPRIM_400000_NS6detail17trampoline_kernelINS0_13select_configILj256ELj13ELNS0_17block_load_methodE3ELS4_3ELS4_3ELNS0_20block_scan_algorithmE0ELj4294967295EEENS1_25partition_config_selectorILNS1_17partition_subalgoE4EjNS0_10empty_typeEbEEZZNS1_14partition_implILS8_4ELb0ES6_15HIP_vector_typeIjLj2EENS0_17counting_iteratorIjlEEPS9_SG_NS0_5tupleIJPjSI_NS0_16reverse_iteratorISI_EEEEENSH_IJSG_SG_SG_EEES9_SI_JZNS1_25segmented_radix_sort_implINS0_14default_configELb0EPKdPdPKlPlN2at6native12_GLOBAL__N_18offset_tEEE10hipError_tPvRmT1_PNSt15iterator_traitsIS12_E10value_typeET2_T3_PNS13_IS18_E10value_typeET4_jRbjT5_S1E_jjP12ihipStream_tbEUljE_ZNSN_ISO_Lb0ESQ_SR_ST_SU_SY_EESZ_S10_S11_S12_S16_S17_S18_S1B_S1C_jS1D_jS1E_S1E_jjS1G_bEUljE0_EEESZ_S10_S11_S18_S1C_S1E_T6_T7_T9_mT8_S1G_bDpT10_ENKUlT_T0_E_clISt17integral_constantIbLb0EES1T_IbLb1EEEEDaS1P_S1Q_EUlS1P_E_NS1_11comp_targetILNS1_3genE2ELNS1_11target_archE906ELNS1_3gpuE6ELNS1_3repE0EEENS1_30default_config_static_selectorELNS0_4arch9wavefront6targetE0EEEvS12_.private_seg_size, 0
	.set _ZN7rocprim17ROCPRIM_400000_NS6detail17trampoline_kernelINS0_13select_configILj256ELj13ELNS0_17block_load_methodE3ELS4_3ELS4_3ELNS0_20block_scan_algorithmE0ELj4294967295EEENS1_25partition_config_selectorILNS1_17partition_subalgoE4EjNS0_10empty_typeEbEEZZNS1_14partition_implILS8_4ELb0ES6_15HIP_vector_typeIjLj2EENS0_17counting_iteratorIjlEEPS9_SG_NS0_5tupleIJPjSI_NS0_16reverse_iteratorISI_EEEEENSH_IJSG_SG_SG_EEES9_SI_JZNS1_25segmented_radix_sort_implINS0_14default_configELb0EPKdPdPKlPlN2at6native12_GLOBAL__N_18offset_tEEE10hipError_tPvRmT1_PNSt15iterator_traitsIS12_E10value_typeET2_T3_PNS13_IS18_E10value_typeET4_jRbjT5_S1E_jjP12ihipStream_tbEUljE_ZNSN_ISO_Lb0ESQ_SR_ST_SU_SY_EESZ_S10_S11_S12_S16_S17_S18_S1B_S1C_jS1D_jS1E_S1E_jjS1G_bEUljE0_EEESZ_S10_S11_S18_S1C_S1E_T6_T7_T9_mT8_S1G_bDpT10_ENKUlT_T0_E_clISt17integral_constantIbLb0EES1T_IbLb1EEEEDaS1P_S1Q_EUlS1P_E_NS1_11comp_targetILNS1_3genE2ELNS1_11target_archE906ELNS1_3gpuE6ELNS1_3repE0EEENS1_30default_config_static_selectorELNS0_4arch9wavefront6targetE0EEEvS12_.uses_vcc, 0
	.set _ZN7rocprim17ROCPRIM_400000_NS6detail17trampoline_kernelINS0_13select_configILj256ELj13ELNS0_17block_load_methodE3ELS4_3ELS4_3ELNS0_20block_scan_algorithmE0ELj4294967295EEENS1_25partition_config_selectorILNS1_17partition_subalgoE4EjNS0_10empty_typeEbEEZZNS1_14partition_implILS8_4ELb0ES6_15HIP_vector_typeIjLj2EENS0_17counting_iteratorIjlEEPS9_SG_NS0_5tupleIJPjSI_NS0_16reverse_iteratorISI_EEEEENSH_IJSG_SG_SG_EEES9_SI_JZNS1_25segmented_radix_sort_implINS0_14default_configELb0EPKdPdPKlPlN2at6native12_GLOBAL__N_18offset_tEEE10hipError_tPvRmT1_PNSt15iterator_traitsIS12_E10value_typeET2_T3_PNS13_IS18_E10value_typeET4_jRbjT5_S1E_jjP12ihipStream_tbEUljE_ZNSN_ISO_Lb0ESQ_SR_ST_SU_SY_EESZ_S10_S11_S12_S16_S17_S18_S1B_S1C_jS1D_jS1E_S1E_jjS1G_bEUljE0_EEESZ_S10_S11_S18_S1C_S1E_T6_T7_T9_mT8_S1G_bDpT10_ENKUlT_T0_E_clISt17integral_constantIbLb0EES1T_IbLb1EEEEDaS1P_S1Q_EUlS1P_E_NS1_11comp_targetILNS1_3genE2ELNS1_11target_archE906ELNS1_3gpuE6ELNS1_3repE0EEENS1_30default_config_static_selectorELNS0_4arch9wavefront6targetE0EEEvS12_.uses_flat_scratch, 0
	.set _ZN7rocprim17ROCPRIM_400000_NS6detail17trampoline_kernelINS0_13select_configILj256ELj13ELNS0_17block_load_methodE3ELS4_3ELS4_3ELNS0_20block_scan_algorithmE0ELj4294967295EEENS1_25partition_config_selectorILNS1_17partition_subalgoE4EjNS0_10empty_typeEbEEZZNS1_14partition_implILS8_4ELb0ES6_15HIP_vector_typeIjLj2EENS0_17counting_iteratorIjlEEPS9_SG_NS0_5tupleIJPjSI_NS0_16reverse_iteratorISI_EEEEENSH_IJSG_SG_SG_EEES9_SI_JZNS1_25segmented_radix_sort_implINS0_14default_configELb0EPKdPdPKlPlN2at6native12_GLOBAL__N_18offset_tEEE10hipError_tPvRmT1_PNSt15iterator_traitsIS12_E10value_typeET2_T3_PNS13_IS18_E10value_typeET4_jRbjT5_S1E_jjP12ihipStream_tbEUljE_ZNSN_ISO_Lb0ESQ_SR_ST_SU_SY_EESZ_S10_S11_S12_S16_S17_S18_S1B_S1C_jS1D_jS1E_S1E_jjS1G_bEUljE0_EEESZ_S10_S11_S18_S1C_S1E_T6_T7_T9_mT8_S1G_bDpT10_ENKUlT_T0_E_clISt17integral_constantIbLb0EES1T_IbLb1EEEEDaS1P_S1Q_EUlS1P_E_NS1_11comp_targetILNS1_3genE2ELNS1_11target_archE906ELNS1_3gpuE6ELNS1_3repE0EEENS1_30default_config_static_selectorELNS0_4arch9wavefront6targetE0EEEvS12_.has_dyn_sized_stack, 0
	.set _ZN7rocprim17ROCPRIM_400000_NS6detail17trampoline_kernelINS0_13select_configILj256ELj13ELNS0_17block_load_methodE3ELS4_3ELS4_3ELNS0_20block_scan_algorithmE0ELj4294967295EEENS1_25partition_config_selectorILNS1_17partition_subalgoE4EjNS0_10empty_typeEbEEZZNS1_14partition_implILS8_4ELb0ES6_15HIP_vector_typeIjLj2EENS0_17counting_iteratorIjlEEPS9_SG_NS0_5tupleIJPjSI_NS0_16reverse_iteratorISI_EEEEENSH_IJSG_SG_SG_EEES9_SI_JZNS1_25segmented_radix_sort_implINS0_14default_configELb0EPKdPdPKlPlN2at6native12_GLOBAL__N_18offset_tEEE10hipError_tPvRmT1_PNSt15iterator_traitsIS12_E10value_typeET2_T3_PNS13_IS18_E10value_typeET4_jRbjT5_S1E_jjP12ihipStream_tbEUljE_ZNSN_ISO_Lb0ESQ_SR_ST_SU_SY_EESZ_S10_S11_S12_S16_S17_S18_S1B_S1C_jS1D_jS1E_S1E_jjS1G_bEUljE0_EEESZ_S10_S11_S18_S1C_S1E_T6_T7_T9_mT8_S1G_bDpT10_ENKUlT_T0_E_clISt17integral_constantIbLb0EES1T_IbLb1EEEEDaS1P_S1Q_EUlS1P_E_NS1_11comp_targetILNS1_3genE2ELNS1_11target_archE906ELNS1_3gpuE6ELNS1_3repE0EEENS1_30default_config_static_selectorELNS0_4arch9wavefront6targetE0EEEvS12_.has_recursion, 0
	.set _ZN7rocprim17ROCPRIM_400000_NS6detail17trampoline_kernelINS0_13select_configILj256ELj13ELNS0_17block_load_methodE3ELS4_3ELS4_3ELNS0_20block_scan_algorithmE0ELj4294967295EEENS1_25partition_config_selectorILNS1_17partition_subalgoE4EjNS0_10empty_typeEbEEZZNS1_14partition_implILS8_4ELb0ES6_15HIP_vector_typeIjLj2EENS0_17counting_iteratorIjlEEPS9_SG_NS0_5tupleIJPjSI_NS0_16reverse_iteratorISI_EEEEENSH_IJSG_SG_SG_EEES9_SI_JZNS1_25segmented_radix_sort_implINS0_14default_configELb0EPKdPdPKlPlN2at6native12_GLOBAL__N_18offset_tEEE10hipError_tPvRmT1_PNSt15iterator_traitsIS12_E10value_typeET2_T3_PNS13_IS18_E10value_typeET4_jRbjT5_S1E_jjP12ihipStream_tbEUljE_ZNSN_ISO_Lb0ESQ_SR_ST_SU_SY_EESZ_S10_S11_S12_S16_S17_S18_S1B_S1C_jS1D_jS1E_S1E_jjS1G_bEUljE0_EEESZ_S10_S11_S18_S1C_S1E_T6_T7_T9_mT8_S1G_bDpT10_ENKUlT_T0_E_clISt17integral_constantIbLb0EES1T_IbLb1EEEEDaS1P_S1Q_EUlS1P_E_NS1_11comp_targetILNS1_3genE2ELNS1_11target_archE906ELNS1_3gpuE6ELNS1_3repE0EEENS1_30default_config_static_selectorELNS0_4arch9wavefront6targetE0EEEvS12_.has_indirect_call, 0
	.section	.AMDGPU.csdata,"",@progbits
; Kernel info:
; codeLenInByte = 0
; TotalNumSgprs: 0
; NumVgprs: 0
; ScratchSize: 0
; MemoryBound: 0
; FloatMode: 240
; IeeeMode: 1
; LDSByteSize: 0 bytes/workgroup (compile time only)
; SGPRBlocks: 0
; VGPRBlocks: 0
; NumSGPRsForWavesPerEU: 1
; NumVGPRsForWavesPerEU: 1
; NamedBarCnt: 0
; Occupancy: 16
; WaveLimiterHint : 0
; COMPUTE_PGM_RSRC2:SCRATCH_EN: 0
; COMPUTE_PGM_RSRC2:USER_SGPR: 2
; COMPUTE_PGM_RSRC2:TRAP_HANDLER: 0
; COMPUTE_PGM_RSRC2:TGID_X_EN: 1
; COMPUTE_PGM_RSRC2:TGID_Y_EN: 0
; COMPUTE_PGM_RSRC2:TGID_Z_EN: 0
; COMPUTE_PGM_RSRC2:TIDIG_COMP_CNT: 0
	.section	.text._ZN7rocprim17ROCPRIM_400000_NS6detail17trampoline_kernelINS0_13select_configILj256ELj13ELNS0_17block_load_methodE3ELS4_3ELS4_3ELNS0_20block_scan_algorithmE0ELj4294967295EEENS1_25partition_config_selectorILNS1_17partition_subalgoE4EjNS0_10empty_typeEbEEZZNS1_14partition_implILS8_4ELb0ES6_15HIP_vector_typeIjLj2EENS0_17counting_iteratorIjlEEPS9_SG_NS0_5tupleIJPjSI_NS0_16reverse_iteratorISI_EEEEENSH_IJSG_SG_SG_EEES9_SI_JZNS1_25segmented_radix_sort_implINS0_14default_configELb0EPKdPdPKlPlN2at6native12_GLOBAL__N_18offset_tEEE10hipError_tPvRmT1_PNSt15iterator_traitsIS12_E10value_typeET2_T3_PNS13_IS18_E10value_typeET4_jRbjT5_S1E_jjP12ihipStream_tbEUljE_ZNSN_ISO_Lb0ESQ_SR_ST_SU_SY_EESZ_S10_S11_S12_S16_S17_S18_S1B_S1C_jS1D_jS1E_S1E_jjS1G_bEUljE0_EEESZ_S10_S11_S18_S1C_S1E_T6_T7_T9_mT8_S1G_bDpT10_ENKUlT_T0_E_clISt17integral_constantIbLb0EES1T_IbLb1EEEEDaS1P_S1Q_EUlS1P_E_NS1_11comp_targetILNS1_3genE10ELNS1_11target_archE1200ELNS1_3gpuE4ELNS1_3repE0EEENS1_30default_config_static_selectorELNS0_4arch9wavefront6targetE0EEEvS12_,"axG",@progbits,_ZN7rocprim17ROCPRIM_400000_NS6detail17trampoline_kernelINS0_13select_configILj256ELj13ELNS0_17block_load_methodE3ELS4_3ELS4_3ELNS0_20block_scan_algorithmE0ELj4294967295EEENS1_25partition_config_selectorILNS1_17partition_subalgoE4EjNS0_10empty_typeEbEEZZNS1_14partition_implILS8_4ELb0ES6_15HIP_vector_typeIjLj2EENS0_17counting_iteratorIjlEEPS9_SG_NS0_5tupleIJPjSI_NS0_16reverse_iteratorISI_EEEEENSH_IJSG_SG_SG_EEES9_SI_JZNS1_25segmented_radix_sort_implINS0_14default_configELb0EPKdPdPKlPlN2at6native12_GLOBAL__N_18offset_tEEE10hipError_tPvRmT1_PNSt15iterator_traitsIS12_E10value_typeET2_T3_PNS13_IS18_E10value_typeET4_jRbjT5_S1E_jjP12ihipStream_tbEUljE_ZNSN_ISO_Lb0ESQ_SR_ST_SU_SY_EESZ_S10_S11_S12_S16_S17_S18_S1B_S1C_jS1D_jS1E_S1E_jjS1G_bEUljE0_EEESZ_S10_S11_S18_S1C_S1E_T6_T7_T9_mT8_S1G_bDpT10_ENKUlT_T0_E_clISt17integral_constantIbLb0EES1T_IbLb1EEEEDaS1P_S1Q_EUlS1P_E_NS1_11comp_targetILNS1_3genE10ELNS1_11target_archE1200ELNS1_3gpuE4ELNS1_3repE0EEENS1_30default_config_static_selectorELNS0_4arch9wavefront6targetE0EEEvS12_,comdat
	.globl	_ZN7rocprim17ROCPRIM_400000_NS6detail17trampoline_kernelINS0_13select_configILj256ELj13ELNS0_17block_load_methodE3ELS4_3ELS4_3ELNS0_20block_scan_algorithmE0ELj4294967295EEENS1_25partition_config_selectorILNS1_17partition_subalgoE4EjNS0_10empty_typeEbEEZZNS1_14partition_implILS8_4ELb0ES6_15HIP_vector_typeIjLj2EENS0_17counting_iteratorIjlEEPS9_SG_NS0_5tupleIJPjSI_NS0_16reverse_iteratorISI_EEEEENSH_IJSG_SG_SG_EEES9_SI_JZNS1_25segmented_radix_sort_implINS0_14default_configELb0EPKdPdPKlPlN2at6native12_GLOBAL__N_18offset_tEEE10hipError_tPvRmT1_PNSt15iterator_traitsIS12_E10value_typeET2_T3_PNS13_IS18_E10value_typeET4_jRbjT5_S1E_jjP12ihipStream_tbEUljE_ZNSN_ISO_Lb0ESQ_SR_ST_SU_SY_EESZ_S10_S11_S12_S16_S17_S18_S1B_S1C_jS1D_jS1E_S1E_jjS1G_bEUljE0_EEESZ_S10_S11_S18_S1C_S1E_T6_T7_T9_mT8_S1G_bDpT10_ENKUlT_T0_E_clISt17integral_constantIbLb0EES1T_IbLb1EEEEDaS1P_S1Q_EUlS1P_E_NS1_11comp_targetILNS1_3genE10ELNS1_11target_archE1200ELNS1_3gpuE4ELNS1_3repE0EEENS1_30default_config_static_selectorELNS0_4arch9wavefront6targetE0EEEvS12_ ; -- Begin function _ZN7rocprim17ROCPRIM_400000_NS6detail17trampoline_kernelINS0_13select_configILj256ELj13ELNS0_17block_load_methodE3ELS4_3ELS4_3ELNS0_20block_scan_algorithmE0ELj4294967295EEENS1_25partition_config_selectorILNS1_17partition_subalgoE4EjNS0_10empty_typeEbEEZZNS1_14partition_implILS8_4ELb0ES6_15HIP_vector_typeIjLj2EENS0_17counting_iteratorIjlEEPS9_SG_NS0_5tupleIJPjSI_NS0_16reverse_iteratorISI_EEEEENSH_IJSG_SG_SG_EEES9_SI_JZNS1_25segmented_radix_sort_implINS0_14default_configELb0EPKdPdPKlPlN2at6native12_GLOBAL__N_18offset_tEEE10hipError_tPvRmT1_PNSt15iterator_traitsIS12_E10value_typeET2_T3_PNS13_IS18_E10value_typeET4_jRbjT5_S1E_jjP12ihipStream_tbEUljE_ZNSN_ISO_Lb0ESQ_SR_ST_SU_SY_EESZ_S10_S11_S12_S16_S17_S18_S1B_S1C_jS1D_jS1E_S1E_jjS1G_bEUljE0_EEESZ_S10_S11_S18_S1C_S1E_T6_T7_T9_mT8_S1G_bDpT10_ENKUlT_T0_E_clISt17integral_constantIbLb0EES1T_IbLb1EEEEDaS1P_S1Q_EUlS1P_E_NS1_11comp_targetILNS1_3genE10ELNS1_11target_archE1200ELNS1_3gpuE4ELNS1_3repE0EEENS1_30default_config_static_selectorELNS0_4arch9wavefront6targetE0EEEvS12_
	.p2align	8
	.type	_ZN7rocprim17ROCPRIM_400000_NS6detail17trampoline_kernelINS0_13select_configILj256ELj13ELNS0_17block_load_methodE3ELS4_3ELS4_3ELNS0_20block_scan_algorithmE0ELj4294967295EEENS1_25partition_config_selectorILNS1_17partition_subalgoE4EjNS0_10empty_typeEbEEZZNS1_14partition_implILS8_4ELb0ES6_15HIP_vector_typeIjLj2EENS0_17counting_iteratorIjlEEPS9_SG_NS0_5tupleIJPjSI_NS0_16reverse_iteratorISI_EEEEENSH_IJSG_SG_SG_EEES9_SI_JZNS1_25segmented_radix_sort_implINS0_14default_configELb0EPKdPdPKlPlN2at6native12_GLOBAL__N_18offset_tEEE10hipError_tPvRmT1_PNSt15iterator_traitsIS12_E10value_typeET2_T3_PNS13_IS18_E10value_typeET4_jRbjT5_S1E_jjP12ihipStream_tbEUljE_ZNSN_ISO_Lb0ESQ_SR_ST_SU_SY_EESZ_S10_S11_S12_S16_S17_S18_S1B_S1C_jS1D_jS1E_S1E_jjS1G_bEUljE0_EEESZ_S10_S11_S18_S1C_S1E_T6_T7_T9_mT8_S1G_bDpT10_ENKUlT_T0_E_clISt17integral_constantIbLb0EES1T_IbLb1EEEEDaS1P_S1Q_EUlS1P_E_NS1_11comp_targetILNS1_3genE10ELNS1_11target_archE1200ELNS1_3gpuE4ELNS1_3repE0EEENS1_30default_config_static_selectorELNS0_4arch9wavefront6targetE0EEEvS12_,@function
_ZN7rocprim17ROCPRIM_400000_NS6detail17trampoline_kernelINS0_13select_configILj256ELj13ELNS0_17block_load_methodE3ELS4_3ELS4_3ELNS0_20block_scan_algorithmE0ELj4294967295EEENS1_25partition_config_selectorILNS1_17partition_subalgoE4EjNS0_10empty_typeEbEEZZNS1_14partition_implILS8_4ELb0ES6_15HIP_vector_typeIjLj2EENS0_17counting_iteratorIjlEEPS9_SG_NS0_5tupleIJPjSI_NS0_16reverse_iteratorISI_EEEEENSH_IJSG_SG_SG_EEES9_SI_JZNS1_25segmented_radix_sort_implINS0_14default_configELb0EPKdPdPKlPlN2at6native12_GLOBAL__N_18offset_tEEE10hipError_tPvRmT1_PNSt15iterator_traitsIS12_E10value_typeET2_T3_PNS13_IS18_E10value_typeET4_jRbjT5_S1E_jjP12ihipStream_tbEUljE_ZNSN_ISO_Lb0ESQ_SR_ST_SU_SY_EESZ_S10_S11_S12_S16_S17_S18_S1B_S1C_jS1D_jS1E_S1E_jjS1G_bEUljE0_EEESZ_S10_S11_S18_S1C_S1E_T6_T7_T9_mT8_S1G_bDpT10_ENKUlT_T0_E_clISt17integral_constantIbLb0EES1T_IbLb1EEEEDaS1P_S1Q_EUlS1P_E_NS1_11comp_targetILNS1_3genE10ELNS1_11target_archE1200ELNS1_3gpuE4ELNS1_3repE0EEENS1_30default_config_static_selectorELNS0_4arch9wavefront6targetE0EEEvS12_: ; @_ZN7rocprim17ROCPRIM_400000_NS6detail17trampoline_kernelINS0_13select_configILj256ELj13ELNS0_17block_load_methodE3ELS4_3ELS4_3ELNS0_20block_scan_algorithmE0ELj4294967295EEENS1_25partition_config_selectorILNS1_17partition_subalgoE4EjNS0_10empty_typeEbEEZZNS1_14partition_implILS8_4ELb0ES6_15HIP_vector_typeIjLj2EENS0_17counting_iteratorIjlEEPS9_SG_NS0_5tupleIJPjSI_NS0_16reverse_iteratorISI_EEEEENSH_IJSG_SG_SG_EEES9_SI_JZNS1_25segmented_radix_sort_implINS0_14default_configELb0EPKdPdPKlPlN2at6native12_GLOBAL__N_18offset_tEEE10hipError_tPvRmT1_PNSt15iterator_traitsIS12_E10value_typeET2_T3_PNS13_IS18_E10value_typeET4_jRbjT5_S1E_jjP12ihipStream_tbEUljE_ZNSN_ISO_Lb0ESQ_SR_ST_SU_SY_EESZ_S10_S11_S12_S16_S17_S18_S1B_S1C_jS1D_jS1E_S1E_jjS1G_bEUljE0_EEESZ_S10_S11_S18_S1C_S1E_T6_T7_T9_mT8_S1G_bDpT10_ENKUlT_T0_E_clISt17integral_constantIbLb0EES1T_IbLb1EEEEDaS1P_S1Q_EUlS1P_E_NS1_11comp_targetILNS1_3genE10ELNS1_11target_archE1200ELNS1_3gpuE4ELNS1_3repE0EEENS1_30default_config_static_selectorELNS0_4arch9wavefront6targetE0EEEvS12_
; %bb.0:
	.section	.rodata,"a",@progbits
	.p2align	6, 0x0
	.amdhsa_kernel _ZN7rocprim17ROCPRIM_400000_NS6detail17trampoline_kernelINS0_13select_configILj256ELj13ELNS0_17block_load_methodE3ELS4_3ELS4_3ELNS0_20block_scan_algorithmE0ELj4294967295EEENS1_25partition_config_selectorILNS1_17partition_subalgoE4EjNS0_10empty_typeEbEEZZNS1_14partition_implILS8_4ELb0ES6_15HIP_vector_typeIjLj2EENS0_17counting_iteratorIjlEEPS9_SG_NS0_5tupleIJPjSI_NS0_16reverse_iteratorISI_EEEEENSH_IJSG_SG_SG_EEES9_SI_JZNS1_25segmented_radix_sort_implINS0_14default_configELb0EPKdPdPKlPlN2at6native12_GLOBAL__N_18offset_tEEE10hipError_tPvRmT1_PNSt15iterator_traitsIS12_E10value_typeET2_T3_PNS13_IS18_E10value_typeET4_jRbjT5_S1E_jjP12ihipStream_tbEUljE_ZNSN_ISO_Lb0ESQ_SR_ST_SU_SY_EESZ_S10_S11_S12_S16_S17_S18_S1B_S1C_jS1D_jS1E_S1E_jjS1G_bEUljE0_EEESZ_S10_S11_S18_S1C_S1E_T6_T7_T9_mT8_S1G_bDpT10_ENKUlT_T0_E_clISt17integral_constantIbLb0EES1T_IbLb1EEEEDaS1P_S1Q_EUlS1P_E_NS1_11comp_targetILNS1_3genE10ELNS1_11target_archE1200ELNS1_3gpuE4ELNS1_3repE0EEENS1_30default_config_static_selectorELNS0_4arch9wavefront6targetE0EEEvS12_
		.amdhsa_group_segment_fixed_size 0
		.amdhsa_private_segment_fixed_size 0
		.amdhsa_kernarg_size 184
		.amdhsa_user_sgpr_count 2
		.amdhsa_user_sgpr_dispatch_ptr 0
		.amdhsa_user_sgpr_queue_ptr 0
		.amdhsa_user_sgpr_kernarg_segment_ptr 1
		.amdhsa_user_sgpr_dispatch_id 0
		.amdhsa_user_sgpr_kernarg_preload_length 0
		.amdhsa_user_sgpr_kernarg_preload_offset 0
		.amdhsa_user_sgpr_private_segment_size 0
		.amdhsa_wavefront_size32 1
		.amdhsa_uses_dynamic_stack 0
		.amdhsa_enable_private_segment 0
		.amdhsa_system_sgpr_workgroup_id_x 1
		.amdhsa_system_sgpr_workgroup_id_y 0
		.amdhsa_system_sgpr_workgroup_id_z 0
		.amdhsa_system_sgpr_workgroup_info 0
		.amdhsa_system_vgpr_workitem_id 0
		.amdhsa_next_free_vgpr 1
		.amdhsa_next_free_sgpr 1
		.amdhsa_named_barrier_count 0
		.amdhsa_reserve_vcc 0
		.amdhsa_float_round_mode_32 0
		.amdhsa_float_round_mode_16_64 0
		.amdhsa_float_denorm_mode_32 3
		.amdhsa_float_denorm_mode_16_64 3
		.amdhsa_fp16_overflow 0
		.amdhsa_memory_ordered 1
		.amdhsa_forward_progress 1
		.amdhsa_inst_pref_size 0
		.amdhsa_round_robin_scheduling 0
		.amdhsa_exception_fp_ieee_invalid_op 0
		.amdhsa_exception_fp_denorm_src 0
		.amdhsa_exception_fp_ieee_div_zero 0
		.amdhsa_exception_fp_ieee_overflow 0
		.amdhsa_exception_fp_ieee_underflow 0
		.amdhsa_exception_fp_ieee_inexact 0
		.amdhsa_exception_int_div_zero 0
	.end_amdhsa_kernel
	.section	.text._ZN7rocprim17ROCPRIM_400000_NS6detail17trampoline_kernelINS0_13select_configILj256ELj13ELNS0_17block_load_methodE3ELS4_3ELS4_3ELNS0_20block_scan_algorithmE0ELj4294967295EEENS1_25partition_config_selectorILNS1_17partition_subalgoE4EjNS0_10empty_typeEbEEZZNS1_14partition_implILS8_4ELb0ES6_15HIP_vector_typeIjLj2EENS0_17counting_iteratorIjlEEPS9_SG_NS0_5tupleIJPjSI_NS0_16reverse_iteratorISI_EEEEENSH_IJSG_SG_SG_EEES9_SI_JZNS1_25segmented_radix_sort_implINS0_14default_configELb0EPKdPdPKlPlN2at6native12_GLOBAL__N_18offset_tEEE10hipError_tPvRmT1_PNSt15iterator_traitsIS12_E10value_typeET2_T3_PNS13_IS18_E10value_typeET4_jRbjT5_S1E_jjP12ihipStream_tbEUljE_ZNSN_ISO_Lb0ESQ_SR_ST_SU_SY_EESZ_S10_S11_S12_S16_S17_S18_S1B_S1C_jS1D_jS1E_S1E_jjS1G_bEUljE0_EEESZ_S10_S11_S18_S1C_S1E_T6_T7_T9_mT8_S1G_bDpT10_ENKUlT_T0_E_clISt17integral_constantIbLb0EES1T_IbLb1EEEEDaS1P_S1Q_EUlS1P_E_NS1_11comp_targetILNS1_3genE10ELNS1_11target_archE1200ELNS1_3gpuE4ELNS1_3repE0EEENS1_30default_config_static_selectorELNS0_4arch9wavefront6targetE0EEEvS12_,"axG",@progbits,_ZN7rocprim17ROCPRIM_400000_NS6detail17trampoline_kernelINS0_13select_configILj256ELj13ELNS0_17block_load_methodE3ELS4_3ELS4_3ELNS0_20block_scan_algorithmE0ELj4294967295EEENS1_25partition_config_selectorILNS1_17partition_subalgoE4EjNS0_10empty_typeEbEEZZNS1_14partition_implILS8_4ELb0ES6_15HIP_vector_typeIjLj2EENS0_17counting_iteratorIjlEEPS9_SG_NS0_5tupleIJPjSI_NS0_16reverse_iteratorISI_EEEEENSH_IJSG_SG_SG_EEES9_SI_JZNS1_25segmented_radix_sort_implINS0_14default_configELb0EPKdPdPKlPlN2at6native12_GLOBAL__N_18offset_tEEE10hipError_tPvRmT1_PNSt15iterator_traitsIS12_E10value_typeET2_T3_PNS13_IS18_E10value_typeET4_jRbjT5_S1E_jjP12ihipStream_tbEUljE_ZNSN_ISO_Lb0ESQ_SR_ST_SU_SY_EESZ_S10_S11_S12_S16_S17_S18_S1B_S1C_jS1D_jS1E_S1E_jjS1G_bEUljE0_EEESZ_S10_S11_S18_S1C_S1E_T6_T7_T9_mT8_S1G_bDpT10_ENKUlT_T0_E_clISt17integral_constantIbLb0EES1T_IbLb1EEEEDaS1P_S1Q_EUlS1P_E_NS1_11comp_targetILNS1_3genE10ELNS1_11target_archE1200ELNS1_3gpuE4ELNS1_3repE0EEENS1_30default_config_static_selectorELNS0_4arch9wavefront6targetE0EEEvS12_,comdat
.Lfunc_end1180:
	.size	_ZN7rocprim17ROCPRIM_400000_NS6detail17trampoline_kernelINS0_13select_configILj256ELj13ELNS0_17block_load_methodE3ELS4_3ELS4_3ELNS0_20block_scan_algorithmE0ELj4294967295EEENS1_25partition_config_selectorILNS1_17partition_subalgoE4EjNS0_10empty_typeEbEEZZNS1_14partition_implILS8_4ELb0ES6_15HIP_vector_typeIjLj2EENS0_17counting_iteratorIjlEEPS9_SG_NS0_5tupleIJPjSI_NS0_16reverse_iteratorISI_EEEEENSH_IJSG_SG_SG_EEES9_SI_JZNS1_25segmented_radix_sort_implINS0_14default_configELb0EPKdPdPKlPlN2at6native12_GLOBAL__N_18offset_tEEE10hipError_tPvRmT1_PNSt15iterator_traitsIS12_E10value_typeET2_T3_PNS13_IS18_E10value_typeET4_jRbjT5_S1E_jjP12ihipStream_tbEUljE_ZNSN_ISO_Lb0ESQ_SR_ST_SU_SY_EESZ_S10_S11_S12_S16_S17_S18_S1B_S1C_jS1D_jS1E_S1E_jjS1G_bEUljE0_EEESZ_S10_S11_S18_S1C_S1E_T6_T7_T9_mT8_S1G_bDpT10_ENKUlT_T0_E_clISt17integral_constantIbLb0EES1T_IbLb1EEEEDaS1P_S1Q_EUlS1P_E_NS1_11comp_targetILNS1_3genE10ELNS1_11target_archE1200ELNS1_3gpuE4ELNS1_3repE0EEENS1_30default_config_static_selectorELNS0_4arch9wavefront6targetE0EEEvS12_, .Lfunc_end1180-_ZN7rocprim17ROCPRIM_400000_NS6detail17trampoline_kernelINS0_13select_configILj256ELj13ELNS0_17block_load_methodE3ELS4_3ELS4_3ELNS0_20block_scan_algorithmE0ELj4294967295EEENS1_25partition_config_selectorILNS1_17partition_subalgoE4EjNS0_10empty_typeEbEEZZNS1_14partition_implILS8_4ELb0ES6_15HIP_vector_typeIjLj2EENS0_17counting_iteratorIjlEEPS9_SG_NS0_5tupleIJPjSI_NS0_16reverse_iteratorISI_EEEEENSH_IJSG_SG_SG_EEES9_SI_JZNS1_25segmented_radix_sort_implINS0_14default_configELb0EPKdPdPKlPlN2at6native12_GLOBAL__N_18offset_tEEE10hipError_tPvRmT1_PNSt15iterator_traitsIS12_E10value_typeET2_T3_PNS13_IS18_E10value_typeET4_jRbjT5_S1E_jjP12ihipStream_tbEUljE_ZNSN_ISO_Lb0ESQ_SR_ST_SU_SY_EESZ_S10_S11_S12_S16_S17_S18_S1B_S1C_jS1D_jS1E_S1E_jjS1G_bEUljE0_EEESZ_S10_S11_S18_S1C_S1E_T6_T7_T9_mT8_S1G_bDpT10_ENKUlT_T0_E_clISt17integral_constantIbLb0EES1T_IbLb1EEEEDaS1P_S1Q_EUlS1P_E_NS1_11comp_targetILNS1_3genE10ELNS1_11target_archE1200ELNS1_3gpuE4ELNS1_3repE0EEENS1_30default_config_static_selectorELNS0_4arch9wavefront6targetE0EEEvS12_
                                        ; -- End function
	.set _ZN7rocprim17ROCPRIM_400000_NS6detail17trampoline_kernelINS0_13select_configILj256ELj13ELNS0_17block_load_methodE3ELS4_3ELS4_3ELNS0_20block_scan_algorithmE0ELj4294967295EEENS1_25partition_config_selectorILNS1_17partition_subalgoE4EjNS0_10empty_typeEbEEZZNS1_14partition_implILS8_4ELb0ES6_15HIP_vector_typeIjLj2EENS0_17counting_iteratorIjlEEPS9_SG_NS0_5tupleIJPjSI_NS0_16reverse_iteratorISI_EEEEENSH_IJSG_SG_SG_EEES9_SI_JZNS1_25segmented_radix_sort_implINS0_14default_configELb0EPKdPdPKlPlN2at6native12_GLOBAL__N_18offset_tEEE10hipError_tPvRmT1_PNSt15iterator_traitsIS12_E10value_typeET2_T3_PNS13_IS18_E10value_typeET4_jRbjT5_S1E_jjP12ihipStream_tbEUljE_ZNSN_ISO_Lb0ESQ_SR_ST_SU_SY_EESZ_S10_S11_S12_S16_S17_S18_S1B_S1C_jS1D_jS1E_S1E_jjS1G_bEUljE0_EEESZ_S10_S11_S18_S1C_S1E_T6_T7_T9_mT8_S1G_bDpT10_ENKUlT_T0_E_clISt17integral_constantIbLb0EES1T_IbLb1EEEEDaS1P_S1Q_EUlS1P_E_NS1_11comp_targetILNS1_3genE10ELNS1_11target_archE1200ELNS1_3gpuE4ELNS1_3repE0EEENS1_30default_config_static_selectorELNS0_4arch9wavefront6targetE0EEEvS12_.num_vgpr, 0
	.set _ZN7rocprim17ROCPRIM_400000_NS6detail17trampoline_kernelINS0_13select_configILj256ELj13ELNS0_17block_load_methodE3ELS4_3ELS4_3ELNS0_20block_scan_algorithmE0ELj4294967295EEENS1_25partition_config_selectorILNS1_17partition_subalgoE4EjNS0_10empty_typeEbEEZZNS1_14partition_implILS8_4ELb0ES6_15HIP_vector_typeIjLj2EENS0_17counting_iteratorIjlEEPS9_SG_NS0_5tupleIJPjSI_NS0_16reverse_iteratorISI_EEEEENSH_IJSG_SG_SG_EEES9_SI_JZNS1_25segmented_radix_sort_implINS0_14default_configELb0EPKdPdPKlPlN2at6native12_GLOBAL__N_18offset_tEEE10hipError_tPvRmT1_PNSt15iterator_traitsIS12_E10value_typeET2_T3_PNS13_IS18_E10value_typeET4_jRbjT5_S1E_jjP12ihipStream_tbEUljE_ZNSN_ISO_Lb0ESQ_SR_ST_SU_SY_EESZ_S10_S11_S12_S16_S17_S18_S1B_S1C_jS1D_jS1E_S1E_jjS1G_bEUljE0_EEESZ_S10_S11_S18_S1C_S1E_T6_T7_T9_mT8_S1G_bDpT10_ENKUlT_T0_E_clISt17integral_constantIbLb0EES1T_IbLb1EEEEDaS1P_S1Q_EUlS1P_E_NS1_11comp_targetILNS1_3genE10ELNS1_11target_archE1200ELNS1_3gpuE4ELNS1_3repE0EEENS1_30default_config_static_selectorELNS0_4arch9wavefront6targetE0EEEvS12_.num_agpr, 0
	.set _ZN7rocprim17ROCPRIM_400000_NS6detail17trampoline_kernelINS0_13select_configILj256ELj13ELNS0_17block_load_methodE3ELS4_3ELS4_3ELNS0_20block_scan_algorithmE0ELj4294967295EEENS1_25partition_config_selectorILNS1_17partition_subalgoE4EjNS0_10empty_typeEbEEZZNS1_14partition_implILS8_4ELb0ES6_15HIP_vector_typeIjLj2EENS0_17counting_iteratorIjlEEPS9_SG_NS0_5tupleIJPjSI_NS0_16reverse_iteratorISI_EEEEENSH_IJSG_SG_SG_EEES9_SI_JZNS1_25segmented_radix_sort_implINS0_14default_configELb0EPKdPdPKlPlN2at6native12_GLOBAL__N_18offset_tEEE10hipError_tPvRmT1_PNSt15iterator_traitsIS12_E10value_typeET2_T3_PNS13_IS18_E10value_typeET4_jRbjT5_S1E_jjP12ihipStream_tbEUljE_ZNSN_ISO_Lb0ESQ_SR_ST_SU_SY_EESZ_S10_S11_S12_S16_S17_S18_S1B_S1C_jS1D_jS1E_S1E_jjS1G_bEUljE0_EEESZ_S10_S11_S18_S1C_S1E_T6_T7_T9_mT8_S1G_bDpT10_ENKUlT_T0_E_clISt17integral_constantIbLb0EES1T_IbLb1EEEEDaS1P_S1Q_EUlS1P_E_NS1_11comp_targetILNS1_3genE10ELNS1_11target_archE1200ELNS1_3gpuE4ELNS1_3repE0EEENS1_30default_config_static_selectorELNS0_4arch9wavefront6targetE0EEEvS12_.numbered_sgpr, 0
	.set _ZN7rocprim17ROCPRIM_400000_NS6detail17trampoline_kernelINS0_13select_configILj256ELj13ELNS0_17block_load_methodE3ELS4_3ELS4_3ELNS0_20block_scan_algorithmE0ELj4294967295EEENS1_25partition_config_selectorILNS1_17partition_subalgoE4EjNS0_10empty_typeEbEEZZNS1_14partition_implILS8_4ELb0ES6_15HIP_vector_typeIjLj2EENS0_17counting_iteratorIjlEEPS9_SG_NS0_5tupleIJPjSI_NS0_16reverse_iteratorISI_EEEEENSH_IJSG_SG_SG_EEES9_SI_JZNS1_25segmented_radix_sort_implINS0_14default_configELb0EPKdPdPKlPlN2at6native12_GLOBAL__N_18offset_tEEE10hipError_tPvRmT1_PNSt15iterator_traitsIS12_E10value_typeET2_T3_PNS13_IS18_E10value_typeET4_jRbjT5_S1E_jjP12ihipStream_tbEUljE_ZNSN_ISO_Lb0ESQ_SR_ST_SU_SY_EESZ_S10_S11_S12_S16_S17_S18_S1B_S1C_jS1D_jS1E_S1E_jjS1G_bEUljE0_EEESZ_S10_S11_S18_S1C_S1E_T6_T7_T9_mT8_S1G_bDpT10_ENKUlT_T0_E_clISt17integral_constantIbLb0EES1T_IbLb1EEEEDaS1P_S1Q_EUlS1P_E_NS1_11comp_targetILNS1_3genE10ELNS1_11target_archE1200ELNS1_3gpuE4ELNS1_3repE0EEENS1_30default_config_static_selectorELNS0_4arch9wavefront6targetE0EEEvS12_.num_named_barrier, 0
	.set _ZN7rocprim17ROCPRIM_400000_NS6detail17trampoline_kernelINS0_13select_configILj256ELj13ELNS0_17block_load_methodE3ELS4_3ELS4_3ELNS0_20block_scan_algorithmE0ELj4294967295EEENS1_25partition_config_selectorILNS1_17partition_subalgoE4EjNS0_10empty_typeEbEEZZNS1_14partition_implILS8_4ELb0ES6_15HIP_vector_typeIjLj2EENS0_17counting_iteratorIjlEEPS9_SG_NS0_5tupleIJPjSI_NS0_16reverse_iteratorISI_EEEEENSH_IJSG_SG_SG_EEES9_SI_JZNS1_25segmented_radix_sort_implINS0_14default_configELb0EPKdPdPKlPlN2at6native12_GLOBAL__N_18offset_tEEE10hipError_tPvRmT1_PNSt15iterator_traitsIS12_E10value_typeET2_T3_PNS13_IS18_E10value_typeET4_jRbjT5_S1E_jjP12ihipStream_tbEUljE_ZNSN_ISO_Lb0ESQ_SR_ST_SU_SY_EESZ_S10_S11_S12_S16_S17_S18_S1B_S1C_jS1D_jS1E_S1E_jjS1G_bEUljE0_EEESZ_S10_S11_S18_S1C_S1E_T6_T7_T9_mT8_S1G_bDpT10_ENKUlT_T0_E_clISt17integral_constantIbLb0EES1T_IbLb1EEEEDaS1P_S1Q_EUlS1P_E_NS1_11comp_targetILNS1_3genE10ELNS1_11target_archE1200ELNS1_3gpuE4ELNS1_3repE0EEENS1_30default_config_static_selectorELNS0_4arch9wavefront6targetE0EEEvS12_.private_seg_size, 0
	.set _ZN7rocprim17ROCPRIM_400000_NS6detail17trampoline_kernelINS0_13select_configILj256ELj13ELNS0_17block_load_methodE3ELS4_3ELS4_3ELNS0_20block_scan_algorithmE0ELj4294967295EEENS1_25partition_config_selectorILNS1_17partition_subalgoE4EjNS0_10empty_typeEbEEZZNS1_14partition_implILS8_4ELb0ES6_15HIP_vector_typeIjLj2EENS0_17counting_iteratorIjlEEPS9_SG_NS0_5tupleIJPjSI_NS0_16reverse_iteratorISI_EEEEENSH_IJSG_SG_SG_EEES9_SI_JZNS1_25segmented_radix_sort_implINS0_14default_configELb0EPKdPdPKlPlN2at6native12_GLOBAL__N_18offset_tEEE10hipError_tPvRmT1_PNSt15iterator_traitsIS12_E10value_typeET2_T3_PNS13_IS18_E10value_typeET4_jRbjT5_S1E_jjP12ihipStream_tbEUljE_ZNSN_ISO_Lb0ESQ_SR_ST_SU_SY_EESZ_S10_S11_S12_S16_S17_S18_S1B_S1C_jS1D_jS1E_S1E_jjS1G_bEUljE0_EEESZ_S10_S11_S18_S1C_S1E_T6_T7_T9_mT8_S1G_bDpT10_ENKUlT_T0_E_clISt17integral_constantIbLb0EES1T_IbLb1EEEEDaS1P_S1Q_EUlS1P_E_NS1_11comp_targetILNS1_3genE10ELNS1_11target_archE1200ELNS1_3gpuE4ELNS1_3repE0EEENS1_30default_config_static_selectorELNS0_4arch9wavefront6targetE0EEEvS12_.uses_vcc, 0
	.set _ZN7rocprim17ROCPRIM_400000_NS6detail17trampoline_kernelINS0_13select_configILj256ELj13ELNS0_17block_load_methodE3ELS4_3ELS4_3ELNS0_20block_scan_algorithmE0ELj4294967295EEENS1_25partition_config_selectorILNS1_17partition_subalgoE4EjNS0_10empty_typeEbEEZZNS1_14partition_implILS8_4ELb0ES6_15HIP_vector_typeIjLj2EENS0_17counting_iteratorIjlEEPS9_SG_NS0_5tupleIJPjSI_NS0_16reverse_iteratorISI_EEEEENSH_IJSG_SG_SG_EEES9_SI_JZNS1_25segmented_radix_sort_implINS0_14default_configELb0EPKdPdPKlPlN2at6native12_GLOBAL__N_18offset_tEEE10hipError_tPvRmT1_PNSt15iterator_traitsIS12_E10value_typeET2_T3_PNS13_IS18_E10value_typeET4_jRbjT5_S1E_jjP12ihipStream_tbEUljE_ZNSN_ISO_Lb0ESQ_SR_ST_SU_SY_EESZ_S10_S11_S12_S16_S17_S18_S1B_S1C_jS1D_jS1E_S1E_jjS1G_bEUljE0_EEESZ_S10_S11_S18_S1C_S1E_T6_T7_T9_mT8_S1G_bDpT10_ENKUlT_T0_E_clISt17integral_constantIbLb0EES1T_IbLb1EEEEDaS1P_S1Q_EUlS1P_E_NS1_11comp_targetILNS1_3genE10ELNS1_11target_archE1200ELNS1_3gpuE4ELNS1_3repE0EEENS1_30default_config_static_selectorELNS0_4arch9wavefront6targetE0EEEvS12_.uses_flat_scratch, 0
	.set _ZN7rocprim17ROCPRIM_400000_NS6detail17trampoline_kernelINS0_13select_configILj256ELj13ELNS0_17block_load_methodE3ELS4_3ELS4_3ELNS0_20block_scan_algorithmE0ELj4294967295EEENS1_25partition_config_selectorILNS1_17partition_subalgoE4EjNS0_10empty_typeEbEEZZNS1_14partition_implILS8_4ELb0ES6_15HIP_vector_typeIjLj2EENS0_17counting_iteratorIjlEEPS9_SG_NS0_5tupleIJPjSI_NS0_16reverse_iteratorISI_EEEEENSH_IJSG_SG_SG_EEES9_SI_JZNS1_25segmented_radix_sort_implINS0_14default_configELb0EPKdPdPKlPlN2at6native12_GLOBAL__N_18offset_tEEE10hipError_tPvRmT1_PNSt15iterator_traitsIS12_E10value_typeET2_T3_PNS13_IS18_E10value_typeET4_jRbjT5_S1E_jjP12ihipStream_tbEUljE_ZNSN_ISO_Lb0ESQ_SR_ST_SU_SY_EESZ_S10_S11_S12_S16_S17_S18_S1B_S1C_jS1D_jS1E_S1E_jjS1G_bEUljE0_EEESZ_S10_S11_S18_S1C_S1E_T6_T7_T9_mT8_S1G_bDpT10_ENKUlT_T0_E_clISt17integral_constantIbLb0EES1T_IbLb1EEEEDaS1P_S1Q_EUlS1P_E_NS1_11comp_targetILNS1_3genE10ELNS1_11target_archE1200ELNS1_3gpuE4ELNS1_3repE0EEENS1_30default_config_static_selectorELNS0_4arch9wavefront6targetE0EEEvS12_.has_dyn_sized_stack, 0
	.set _ZN7rocprim17ROCPRIM_400000_NS6detail17trampoline_kernelINS0_13select_configILj256ELj13ELNS0_17block_load_methodE3ELS4_3ELS4_3ELNS0_20block_scan_algorithmE0ELj4294967295EEENS1_25partition_config_selectorILNS1_17partition_subalgoE4EjNS0_10empty_typeEbEEZZNS1_14partition_implILS8_4ELb0ES6_15HIP_vector_typeIjLj2EENS0_17counting_iteratorIjlEEPS9_SG_NS0_5tupleIJPjSI_NS0_16reverse_iteratorISI_EEEEENSH_IJSG_SG_SG_EEES9_SI_JZNS1_25segmented_radix_sort_implINS0_14default_configELb0EPKdPdPKlPlN2at6native12_GLOBAL__N_18offset_tEEE10hipError_tPvRmT1_PNSt15iterator_traitsIS12_E10value_typeET2_T3_PNS13_IS18_E10value_typeET4_jRbjT5_S1E_jjP12ihipStream_tbEUljE_ZNSN_ISO_Lb0ESQ_SR_ST_SU_SY_EESZ_S10_S11_S12_S16_S17_S18_S1B_S1C_jS1D_jS1E_S1E_jjS1G_bEUljE0_EEESZ_S10_S11_S18_S1C_S1E_T6_T7_T9_mT8_S1G_bDpT10_ENKUlT_T0_E_clISt17integral_constantIbLb0EES1T_IbLb1EEEEDaS1P_S1Q_EUlS1P_E_NS1_11comp_targetILNS1_3genE10ELNS1_11target_archE1200ELNS1_3gpuE4ELNS1_3repE0EEENS1_30default_config_static_selectorELNS0_4arch9wavefront6targetE0EEEvS12_.has_recursion, 0
	.set _ZN7rocprim17ROCPRIM_400000_NS6detail17trampoline_kernelINS0_13select_configILj256ELj13ELNS0_17block_load_methodE3ELS4_3ELS4_3ELNS0_20block_scan_algorithmE0ELj4294967295EEENS1_25partition_config_selectorILNS1_17partition_subalgoE4EjNS0_10empty_typeEbEEZZNS1_14partition_implILS8_4ELb0ES6_15HIP_vector_typeIjLj2EENS0_17counting_iteratorIjlEEPS9_SG_NS0_5tupleIJPjSI_NS0_16reverse_iteratorISI_EEEEENSH_IJSG_SG_SG_EEES9_SI_JZNS1_25segmented_radix_sort_implINS0_14default_configELb0EPKdPdPKlPlN2at6native12_GLOBAL__N_18offset_tEEE10hipError_tPvRmT1_PNSt15iterator_traitsIS12_E10value_typeET2_T3_PNS13_IS18_E10value_typeET4_jRbjT5_S1E_jjP12ihipStream_tbEUljE_ZNSN_ISO_Lb0ESQ_SR_ST_SU_SY_EESZ_S10_S11_S12_S16_S17_S18_S1B_S1C_jS1D_jS1E_S1E_jjS1G_bEUljE0_EEESZ_S10_S11_S18_S1C_S1E_T6_T7_T9_mT8_S1G_bDpT10_ENKUlT_T0_E_clISt17integral_constantIbLb0EES1T_IbLb1EEEEDaS1P_S1Q_EUlS1P_E_NS1_11comp_targetILNS1_3genE10ELNS1_11target_archE1200ELNS1_3gpuE4ELNS1_3repE0EEENS1_30default_config_static_selectorELNS0_4arch9wavefront6targetE0EEEvS12_.has_indirect_call, 0
	.section	.AMDGPU.csdata,"",@progbits
; Kernel info:
; codeLenInByte = 0
; TotalNumSgprs: 0
; NumVgprs: 0
; ScratchSize: 0
; MemoryBound: 0
; FloatMode: 240
; IeeeMode: 1
; LDSByteSize: 0 bytes/workgroup (compile time only)
; SGPRBlocks: 0
; VGPRBlocks: 0
; NumSGPRsForWavesPerEU: 1
; NumVGPRsForWavesPerEU: 1
; NamedBarCnt: 0
; Occupancy: 16
; WaveLimiterHint : 0
; COMPUTE_PGM_RSRC2:SCRATCH_EN: 0
; COMPUTE_PGM_RSRC2:USER_SGPR: 2
; COMPUTE_PGM_RSRC2:TRAP_HANDLER: 0
; COMPUTE_PGM_RSRC2:TGID_X_EN: 1
; COMPUTE_PGM_RSRC2:TGID_Y_EN: 0
; COMPUTE_PGM_RSRC2:TGID_Z_EN: 0
; COMPUTE_PGM_RSRC2:TIDIG_COMP_CNT: 0
	.section	.text._ZN7rocprim17ROCPRIM_400000_NS6detail17trampoline_kernelINS0_13select_configILj256ELj13ELNS0_17block_load_methodE3ELS4_3ELS4_3ELNS0_20block_scan_algorithmE0ELj4294967295EEENS1_25partition_config_selectorILNS1_17partition_subalgoE4EjNS0_10empty_typeEbEEZZNS1_14partition_implILS8_4ELb0ES6_15HIP_vector_typeIjLj2EENS0_17counting_iteratorIjlEEPS9_SG_NS0_5tupleIJPjSI_NS0_16reverse_iteratorISI_EEEEENSH_IJSG_SG_SG_EEES9_SI_JZNS1_25segmented_radix_sort_implINS0_14default_configELb0EPKdPdPKlPlN2at6native12_GLOBAL__N_18offset_tEEE10hipError_tPvRmT1_PNSt15iterator_traitsIS12_E10value_typeET2_T3_PNS13_IS18_E10value_typeET4_jRbjT5_S1E_jjP12ihipStream_tbEUljE_ZNSN_ISO_Lb0ESQ_SR_ST_SU_SY_EESZ_S10_S11_S12_S16_S17_S18_S1B_S1C_jS1D_jS1E_S1E_jjS1G_bEUljE0_EEESZ_S10_S11_S18_S1C_S1E_T6_T7_T9_mT8_S1G_bDpT10_ENKUlT_T0_E_clISt17integral_constantIbLb0EES1T_IbLb1EEEEDaS1P_S1Q_EUlS1P_E_NS1_11comp_targetILNS1_3genE9ELNS1_11target_archE1100ELNS1_3gpuE3ELNS1_3repE0EEENS1_30default_config_static_selectorELNS0_4arch9wavefront6targetE0EEEvS12_,"axG",@progbits,_ZN7rocprim17ROCPRIM_400000_NS6detail17trampoline_kernelINS0_13select_configILj256ELj13ELNS0_17block_load_methodE3ELS4_3ELS4_3ELNS0_20block_scan_algorithmE0ELj4294967295EEENS1_25partition_config_selectorILNS1_17partition_subalgoE4EjNS0_10empty_typeEbEEZZNS1_14partition_implILS8_4ELb0ES6_15HIP_vector_typeIjLj2EENS0_17counting_iteratorIjlEEPS9_SG_NS0_5tupleIJPjSI_NS0_16reverse_iteratorISI_EEEEENSH_IJSG_SG_SG_EEES9_SI_JZNS1_25segmented_radix_sort_implINS0_14default_configELb0EPKdPdPKlPlN2at6native12_GLOBAL__N_18offset_tEEE10hipError_tPvRmT1_PNSt15iterator_traitsIS12_E10value_typeET2_T3_PNS13_IS18_E10value_typeET4_jRbjT5_S1E_jjP12ihipStream_tbEUljE_ZNSN_ISO_Lb0ESQ_SR_ST_SU_SY_EESZ_S10_S11_S12_S16_S17_S18_S1B_S1C_jS1D_jS1E_S1E_jjS1G_bEUljE0_EEESZ_S10_S11_S18_S1C_S1E_T6_T7_T9_mT8_S1G_bDpT10_ENKUlT_T0_E_clISt17integral_constantIbLb0EES1T_IbLb1EEEEDaS1P_S1Q_EUlS1P_E_NS1_11comp_targetILNS1_3genE9ELNS1_11target_archE1100ELNS1_3gpuE3ELNS1_3repE0EEENS1_30default_config_static_selectorELNS0_4arch9wavefront6targetE0EEEvS12_,comdat
	.globl	_ZN7rocprim17ROCPRIM_400000_NS6detail17trampoline_kernelINS0_13select_configILj256ELj13ELNS0_17block_load_methodE3ELS4_3ELS4_3ELNS0_20block_scan_algorithmE0ELj4294967295EEENS1_25partition_config_selectorILNS1_17partition_subalgoE4EjNS0_10empty_typeEbEEZZNS1_14partition_implILS8_4ELb0ES6_15HIP_vector_typeIjLj2EENS0_17counting_iteratorIjlEEPS9_SG_NS0_5tupleIJPjSI_NS0_16reverse_iteratorISI_EEEEENSH_IJSG_SG_SG_EEES9_SI_JZNS1_25segmented_radix_sort_implINS0_14default_configELb0EPKdPdPKlPlN2at6native12_GLOBAL__N_18offset_tEEE10hipError_tPvRmT1_PNSt15iterator_traitsIS12_E10value_typeET2_T3_PNS13_IS18_E10value_typeET4_jRbjT5_S1E_jjP12ihipStream_tbEUljE_ZNSN_ISO_Lb0ESQ_SR_ST_SU_SY_EESZ_S10_S11_S12_S16_S17_S18_S1B_S1C_jS1D_jS1E_S1E_jjS1G_bEUljE0_EEESZ_S10_S11_S18_S1C_S1E_T6_T7_T9_mT8_S1G_bDpT10_ENKUlT_T0_E_clISt17integral_constantIbLb0EES1T_IbLb1EEEEDaS1P_S1Q_EUlS1P_E_NS1_11comp_targetILNS1_3genE9ELNS1_11target_archE1100ELNS1_3gpuE3ELNS1_3repE0EEENS1_30default_config_static_selectorELNS0_4arch9wavefront6targetE0EEEvS12_ ; -- Begin function _ZN7rocprim17ROCPRIM_400000_NS6detail17trampoline_kernelINS0_13select_configILj256ELj13ELNS0_17block_load_methodE3ELS4_3ELS4_3ELNS0_20block_scan_algorithmE0ELj4294967295EEENS1_25partition_config_selectorILNS1_17partition_subalgoE4EjNS0_10empty_typeEbEEZZNS1_14partition_implILS8_4ELb0ES6_15HIP_vector_typeIjLj2EENS0_17counting_iteratorIjlEEPS9_SG_NS0_5tupleIJPjSI_NS0_16reverse_iteratorISI_EEEEENSH_IJSG_SG_SG_EEES9_SI_JZNS1_25segmented_radix_sort_implINS0_14default_configELb0EPKdPdPKlPlN2at6native12_GLOBAL__N_18offset_tEEE10hipError_tPvRmT1_PNSt15iterator_traitsIS12_E10value_typeET2_T3_PNS13_IS18_E10value_typeET4_jRbjT5_S1E_jjP12ihipStream_tbEUljE_ZNSN_ISO_Lb0ESQ_SR_ST_SU_SY_EESZ_S10_S11_S12_S16_S17_S18_S1B_S1C_jS1D_jS1E_S1E_jjS1G_bEUljE0_EEESZ_S10_S11_S18_S1C_S1E_T6_T7_T9_mT8_S1G_bDpT10_ENKUlT_T0_E_clISt17integral_constantIbLb0EES1T_IbLb1EEEEDaS1P_S1Q_EUlS1P_E_NS1_11comp_targetILNS1_3genE9ELNS1_11target_archE1100ELNS1_3gpuE3ELNS1_3repE0EEENS1_30default_config_static_selectorELNS0_4arch9wavefront6targetE0EEEvS12_
	.p2align	8
	.type	_ZN7rocprim17ROCPRIM_400000_NS6detail17trampoline_kernelINS0_13select_configILj256ELj13ELNS0_17block_load_methodE3ELS4_3ELS4_3ELNS0_20block_scan_algorithmE0ELj4294967295EEENS1_25partition_config_selectorILNS1_17partition_subalgoE4EjNS0_10empty_typeEbEEZZNS1_14partition_implILS8_4ELb0ES6_15HIP_vector_typeIjLj2EENS0_17counting_iteratorIjlEEPS9_SG_NS0_5tupleIJPjSI_NS0_16reverse_iteratorISI_EEEEENSH_IJSG_SG_SG_EEES9_SI_JZNS1_25segmented_radix_sort_implINS0_14default_configELb0EPKdPdPKlPlN2at6native12_GLOBAL__N_18offset_tEEE10hipError_tPvRmT1_PNSt15iterator_traitsIS12_E10value_typeET2_T3_PNS13_IS18_E10value_typeET4_jRbjT5_S1E_jjP12ihipStream_tbEUljE_ZNSN_ISO_Lb0ESQ_SR_ST_SU_SY_EESZ_S10_S11_S12_S16_S17_S18_S1B_S1C_jS1D_jS1E_S1E_jjS1G_bEUljE0_EEESZ_S10_S11_S18_S1C_S1E_T6_T7_T9_mT8_S1G_bDpT10_ENKUlT_T0_E_clISt17integral_constantIbLb0EES1T_IbLb1EEEEDaS1P_S1Q_EUlS1P_E_NS1_11comp_targetILNS1_3genE9ELNS1_11target_archE1100ELNS1_3gpuE3ELNS1_3repE0EEENS1_30default_config_static_selectorELNS0_4arch9wavefront6targetE0EEEvS12_,@function
_ZN7rocprim17ROCPRIM_400000_NS6detail17trampoline_kernelINS0_13select_configILj256ELj13ELNS0_17block_load_methodE3ELS4_3ELS4_3ELNS0_20block_scan_algorithmE0ELj4294967295EEENS1_25partition_config_selectorILNS1_17partition_subalgoE4EjNS0_10empty_typeEbEEZZNS1_14partition_implILS8_4ELb0ES6_15HIP_vector_typeIjLj2EENS0_17counting_iteratorIjlEEPS9_SG_NS0_5tupleIJPjSI_NS0_16reverse_iteratorISI_EEEEENSH_IJSG_SG_SG_EEES9_SI_JZNS1_25segmented_radix_sort_implINS0_14default_configELb0EPKdPdPKlPlN2at6native12_GLOBAL__N_18offset_tEEE10hipError_tPvRmT1_PNSt15iterator_traitsIS12_E10value_typeET2_T3_PNS13_IS18_E10value_typeET4_jRbjT5_S1E_jjP12ihipStream_tbEUljE_ZNSN_ISO_Lb0ESQ_SR_ST_SU_SY_EESZ_S10_S11_S12_S16_S17_S18_S1B_S1C_jS1D_jS1E_S1E_jjS1G_bEUljE0_EEESZ_S10_S11_S18_S1C_S1E_T6_T7_T9_mT8_S1G_bDpT10_ENKUlT_T0_E_clISt17integral_constantIbLb0EES1T_IbLb1EEEEDaS1P_S1Q_EUlS1P_E_NS1_11comp_targetILNS1_3genE9ELNS1_11target_archE1100ELNS1_3gpuE3ELNS1_3repE0EEENS1_30default_config_static_selectorELNS0_4arch9wavefront6targetE0EEEvS12_: ; @_ZN7rocprim17ROCPRIM_400000_NS6detail17trampoline_kernelINS0_13select_configILj256ELj13ELNS0_17block_load_methodE3ELS4_3ELS4_3ELNS0_20block_scan_algorithmE0ELj4294967295EEENS1_25partition_config_selectorILNS1_17partition_subalgoE4EjNS0_10empty_typeEbEEZZNS1_14partition_implILS8_4ELb0ES6_15HIP_vector_typeIjLj2EENS0_17counting_iteratorIjlEEPS9_SG_NS0_5tupleIJPjSI_NS0_16reverse_iteratorISI_EEEEENSH_IJSG_SG_SG_EEES9_SI_JZNS1_25segmented_radix_sort_implINS0_14default_configELb0EPKdPdPKlPlN2at6native12_GLOBAL__N_18offset_tEEE10hipError_tPvRmT1_PNSt15iterator_traitsIS12_E10value_typeET2_T3_PNS13_IS18_E10value_typeET4_jRbjT5_S1E_jjP12ihipStream_tbEUljE_ZNSN_ISO_Lb0ESQ_SR_ST_SU_SY_EESZ_S10_S11_S12_S16_S17_S18_S1B_S1C_jS1D_jS1E_S1E_jjS1G_bEUljE0_EEESZ_S10_S11_S18_S1C_S1E_T6_T7_T9_mT8_S1G_bDpT10_ENKUlT_T0_E_clISt17integral_constantIbLb0EES1T_IbLb1EEEEDaS1P_S1Q_EUlS1P_E_NS1_11comp_targetILNS1_3genE9ELNS1_11target_archE1100ELNS1_3gpuE3ELNS1_3repE0EEENS1_30default_config_static_selectorELNS0_4arch9wavefront6targetE0EEEvS12_
; %bb.0:
	.section	.rodata,"a",@progbits
	.p2align	6, 0x0
	.amdhsa_kernel _ZN7rocprim17ROCPRIM_400000_NS6detail17trampoline_kernelINS0_13select_configILj256ELj13ELNS0_17block_load_methodE3ELS4_3ELS4_3ELNS0_20block_scan_algorithmE0ELj4294967295EEENS1_25partition_config_selectorILNS1_17partition_subalgoE4EjNS0_10empty_typeEbEEZZNS1_14partition_implILS8_4ELb0ES6_15HIP_vector_typeIjLj2EENS0_17counting_iteratorIjlEEPS9_SG_NS0_5tupleIJPjSI_NS0_16reverse_iteratorISI_EEEEENSH_IJSG_SG_SG_EEES9_SI_JZNS1_25segmented_radix_sort_implINS0_14default_configELb0EPKdPdPKlPlN2at6native12_GLOBAL__N_18offset_tEEE10hipError_tPvRmT1_PNSt15iterator_traitsIS12_E10value_typeET2_T3_PNS13_IS18_E10value_typeET4_jRbjT5_S1E_jjP12ihipStream_tbEUljE_ZNSN_ISO_Lb0ESQ_SR_ST_SU_SY_EESZ_S10_S11_S12_S16_S17_S18_S1B_S1C_jS1D_jS1E_S1E_jjS1G_bEUljE0_EEESZ_S10_S11_S18_S1C_S1E_T6_T7_T9_mT8_S1G_bDpT10_ENKUlT_T0_E_clISt17integral_constantIbLb0EES1T_IbLb1EEEEDaS1P_S1Q_EUlS1P_E_NS1_11comp_targetILNS1_3genE9ELNS1_11target_archE1100ELNS1_3gpuE3ELNS1_3repE0EEENS1_30default_config_static_selectorELNS0_4arch9wavefront6targetE0EEEvS12_
		.amdhsa_group_segment_fixed_size 0
		.amdhsa_private_segment_fixed_size 0
		.amdhsa_kernarg_size 184
		.amdhsa_user_sgpr_count 2
		.amdhsa_user_sgpr_dispatch_ptr 0
		.amdhsa_user_sgpr_queue_ptr 0
		.amdhsa_user_sgpr_kernarg_segment_ptr 1
		.amdhsa_user_sgpr_dispatch_id 0
		.amdhsa_user_sgpr_kernarg_preload_length 0
		.amdhsa_user_sgpr_kernarg_preload_offset 0
		.amdhsa_user_sgpr_private_segment_size 0
		.amdhsa_wavefront_size32 1
		.amdhsa_uses_dynamic_stack 0
		.amdhsa_enable_private_segment 0
		.amdhsa_system_sgpr_workgroup_id_x 1
		.amdhsa_system_sgpr_workgroup_id_y 0
		.amdhsa_system_sgpr_workgroup_id_z 0
		.amdhsa_system_sgpr_workgroup_info 0
		.amdhsa_system_vgpr_workitem_id 0
		.amdhsa_next_free_vgpr 1
		.amdhsa_next_free_sgpr 1
		.amdhsa_named_barrier_count 0
		.amdhsa_reserve_vcc 0
		.amdhsa_float_round_mode_32 0
		.amdhsa_float_round_mode_16_64 0
		.amdhsa_float_denorm_mode_32 3
		.amdhsa_float_denorm_mode_16_64 3
		.amdhsa_fp16_overflow 0
		.amdhsa_memory_ordered 1
		.amdhsa_forward_progress 1
		.amdhsa_inst_pref_size 0
		.amdhsa_round_robin_scheduling 0
		.amdhsa_exception_fp_ieee_invalid_op 0
		.amdhsa_exception_fp_denorm_src 0
		.amdhsa_exception_fp_ieee_div_zero 0
		.amdhsa_exception_fp_ieee_overflow 0
		.amdhsa_exception_fp_ieee_underflow 0
		.amdhsa_exception_fp_ieee_inexact 0
		.amdhsa_exception_int_div_zero 0
	.end_amdhsa_kernel
	.section	.text._ZN7rocprim17ROCPRIM_400000_NS6detail17trampoline_kernelINS0_13select_configILj256ELj13ELNS0_17block_load_methodE3ELS4_3ELS4_3ELNS0_20block_scan_algorithmE0ELj4294967295EEENS1_25partition_config_selectorILNS1_17partition_subalgoE4EjNS0_10empty_typeEbEEZZNS1_14partition_implILS8_4ELb0ES6_15HIP_vector_typeIjLj2EENS0_17counting_iteratorIjlEEPS9_SG_NS0_5tupleIJPjSI_NS0_16reverse_iteratorISI_EEEEENSH_IJSG_SG_SG_EEES9_SI_JZNS1_25segmented_radix_sort_implINS0_14default_configELb0EPKdPdPKlPlN2at6native12_GLOBAL__N_18offset_tEEE10hipError_tPvRmT1_PNSt15iterator_traitsIS12_E10value_typeET2_T3_PNS13_IS18_E10value_typeET4_jRbjT5_S1E_jjP12ihipStream_tbEUljE_ZNSN_ISO_Lb0ESQ_SR_ST_SU_SY_EESZ_S10_S11_S12_S16_S17_S18_S1B_S1C_jS1D_jS1E_S1E_jjS1G_bEUljE0_EEESZ_S10_S11_S18_S1C_S1E_T6_T7_T9_mT8_S1G_bDpT10_ENKUlT_T0_E_clISt17integral_constantIbLb0EES1T_IbLb1EEEEDaS1P_S1Q_EUlS1P_E_NS1_11comp_targetILNS1_3genE9ELNS1_11target_archE1100ELNS1_3gpuE3ELNS1_3repE0EEENS1_30default_config_static_selectorELNS0_4arch9wavefront6targetE0EEEvS12_,"axG",@progbits,_ZN7rocprim17ROCPRIM_400000_NS6detail17trampoline_kernelINS0_13select_configILj256ELj13ELNS0_17block_load_methodE3ELS4_3ELS4_3ELNS0_20block_scan_algorithmE0ELj4294967295EEENS1_25partition_config_selectorILNS1_17partition_subalgoE4EjNS0_10empty_typeEbEEZZNS1_14partition_implILS8_4ELb0ES6_15HIP_vector_typeIjLj2EENS0_17counting_iteratorIjlEEPS9_SG_NS0_5tupleIJPjSI_NS0_16reverse_iteratorISI_EEEEENSH_IJSG_SG_SG_EEES9_SI_JZNS1_25segmented_radix_sort_implINS0_14default_configELb0EPKdPdPKlPlN2at6native12_GLOBAL__N_18offset_tEEE10hipError_tPvRmT1_PNSt15iterator_traitsIS12_E10value_typeET2_T3_PNS13_IS18_E10value_typeET4_jRbjT5_S1E_jjP12ihipStream_tbEUljE_ZNSN_ISO_Lb0ESQ_SR_ST_SU_SY_EESZ_S10_S11_S12_S16_S17_S18_S1B_S1C_jS1D_jS1E_S1E_jjS1G_bEUljE0_EEESZ_S10_S11_S18_S1C_S1E_T6_T7_T9_mT8_S1G_bDpT10_ENKUlT_T0_E_clISt17integral_constantIbLb0EES1T_IbLb1EEEEDaS1P_S1Q_EUlS1P_E_NS1_11comp_targetILNS1_3genE9ELNS1_11target_archE1100ELNS1_3gpuE3ELNS1_3repE0EEENS1_30default_config_static_selectorELNS0_4arch9wavefront6targetE0EEEvS12_,comdat
.Lfunc_end1181:
	.size	_ZN7rocprim17ROCPRIM_400000_NS6detail17trampoline_kernelINS0_13select_configILj256ELj13ELNS0_17block_load_methodE3ELS4_3ELS4_3ELNS0_20block_scan_algorithmE0ELj4294967295EEENS1_25partition_config_selectorILNS1_17partition_subalgoE4EjNS0_10empty_typeEbEEZZNS1_14partition_implILS8_4ELb0ES6_15HIP_vector_typeIjLj2EENS0_17counting_iteratorIjlEEPS9_SG_NS0_5tupleIJPjSI_NS0_16reverse_iteratorISI_EEEEENSH_IJSG_SG_SG_EEES9_SI_JZNS1_25segmented_radix_sort_implINS0_14default_configELb0EPKdPdPKlPlN2at6native12_GLOBAL__N_18offset_tEEE10hipError_tPvRmT1_PNSt15iterator_traitsIS12_E10value_typeET2_T3_PNS13_IS18_E10value_typeET4_jRbjT5_S1E_jjP12ihipStream_tbEUljE_ZNSN_ISO_Lb0ESQ_SR_ST_SU_SY_EESZ_S10_S11_S12_S16_S17_S18_S1B_S1C_jS1D_jS1E_S1E_jjS1G_bEUljE0_EEESZ_S10_S11_S18_S1C_S1E_T6_T7_T9_mT8_S1G_bDpT10_ENKUlT_T0_E_clISt17integral_constantIbLb0EES1T_IbLb1EEEEDaS1P_S1Q_EUlS1P_E_NS1_11comp_targetILNS1_3genE9ELNS1_11target_archE1100ELNS1_3gpuE3ELNS1_3repE0EEENS1_30default_config_static_selectorELNS0_4arch9wavefront6targetE0EEEvS12_, .Lfunc_end1181-_ZN7rocprim17ROCPRIM_400000_NS6detail17trampoline_kernelINS0_13select_configILj256ELj13ELNS0_17block_load_methodE3ELS4_3ELS4_3ELNS0_20block_scan_algorithmE0ELj4294967295EEENS1_25partition_config_selectorILNS1_17partition_subalgoE4EjNS0_10empty_typeEbEEZZNS1_14partition_implILS8_4ELb0ES6_15HIP_vector_typeIjLj2EENS0_17counting_iteratorIjlEEPS9_SG_NS0_5tupleIJPjSI_NS0_16reverse_iteratorISI_EEEEENSH_IJSG_SG_SG_EEES9_SI_JZNS1_25segmented_radix_sort_implINS0_14default_configELb0EPKdPdPKlPlN2at6native12_GLOBAL__N_18offset_tEEE10hipError_tPvRmT1_PNSt15iterator_traitsIS12_E10value_typeET2_T3_PNS13_IS18_E10value_typeET4_jRbjT5_S1E_jjP12ihipStream_tbEUljE_ZNSN_ISO_Lb0ESQ_SR_ST_SU_SY_EESZ_S10_S11_S12_S16_S17_S18_S1B_S1C_jS1D_jS1E_S1E_jjS1G_bEUljE0_EEESZ_S10_S11_S18_S1C_S1E_T6_T7_T9_mT8_S1G_bDpT10_ENKUlT_T0_E_clISt17integral_constantIbLb0EES1T_IbLb1EEEEDaS1P_S1Q_EUlS1P_E_NS1_11comp_targetILNS1_3genE9ELNS1_11target_archE1100ELNS1_3gpuE3ELNS1_3repE0EEENS1_30default_config_static_selectorELNS0_4arch9wavefront6targetE0EEEvS12_
                                        ; -- End function
	.set _ZN7rocprim17ROCPRIM_400000_NS6detail17trampoline_kernelINS0_13select_configILj256ELj13ELNS0_17block_load_methodE3ELS4_3ELS4_3ELNS0_20block_scan_algorithmE0ELj4294967295EEENS1_25partition_config_selectorILNS1_17partition_subalgoE4EjNS0_10empty_typeEbEEZZNS1_14partition_implILS8_4ELb0ES6_15HIP_vector_typeIjLj2EENS0_17counting_iteratorIjlEEPS9_SG_NS0_5tupleIJPjSI_NS0_16reverse_iteratorISI_EEEEENSH_IJSG_SG_SG_EEES9_SI_JZNS1_25segmented_radix_sort_implINS0_14default_configELb0EPKdPdPKlPlN2at6native12_GLOBAL__N_18offset_tEEE10hipError_tPvRmT1_PNSt15iterator_traitsIS12_E10value_typeET2_T3_PNS13_IS18_E10value_typeET4_jRbjT5_S1E_jjP12ihipStream_tbEUljE_ZNSN_ISO_Lb0ESQ_SR_ST_SU_SY_EESZ_S10_S11_S12_S16_S17_S18_S1B_S1C_jS1D_jS1E_S1E_jjS1G_bEUljE0_EEESZ_S10_S11_S18_S1C_S1E_T6_T7_T9_mT8_S1G_bDpT10_ENKUlT_T0_E_clISt17integral_constantIbLb0EES1T_IbLb1EEEEDaS1P_S1Q_EUlS1P_E_NS1_11comp_targetILNS1_3genE9ELNS1_11target_archE1100ELNS1_3gpuE3ELNS1_3repE0EEENS1_30default_config_static_selectorELNS0_4arch9wavefront6targetE0EEEvS12_.num_vgpr, 0
	.set _ZN7rocprim17ROCPRIM_400000_NS6detail17trampoline_kernelINS0_13select_configILj256ELj13ELNS0_17block_load_methodE3ELS4_3ELS4_3ELNS0_20block_scan_algorithmE0ELj4294967295EEENS1_25partition_config_selectorILNS1_17partition_subalgoE4EjNS0_10empty_typeEbEEZZNS1_14partition_implILS8_4ELb0ES6_15HIP_vector_typeIjLj2EENS0_17counting_iteratorIjlEEPS9_SG_NS0_5tupleIJPjSI_NS0_16reverse_iteratorISI_EEEEENSH_IJSG_SG_SG_EEES9_SI_JZNS1_25segmented_radix_sort_implINS0_14default_configELb0EPKdPdPKlPlN2at6native12_GLOBAL__N_18offset_tEEE10hipError_tPvRmT1_PNSt15iterator_traitsIS12_E10value_typeET2_T3_PNS13_IS18_E10value_typeET4_jRbjT5_S1E_jjP12ihipStream_tbEUljE_ZNSN_ISO_Lb0ESQ_SR_ST_SU_SY_EESZ_S10_S11_S12_S16_S17_S18_S1B_S1C_jS1D_jS1E_S1E_jjS1G_bEUljE0_EEESZ_S10_S11_S18_S1C_S1E_T6_T7_T9_mT8_S1G_bDpT10_ENKUlT_T0_E_clISt17integral_constantIbLb0EES1T_IbLb1EEEEDaS1P_S1Q_EUlS1P_E_NS1_11comp_targetILNS1_3genE9ELNS1_11target_archE1100ELNS1_3gpuE3ELNS1_3repE0EEENS1_30default_config_static_selectorELNS0_4arch9wavefront6targetE0EEEvS12_.num_agpr, 0
	.set _ZN7rocprim17ROCPRIM_400000_NS6detail17trampoline_kernelINS0_13select_configILj256ELj13ELNS0_17block_load_methodE3ELS4_3ELS4_3ELNS0_20block_scan_algorithmE0ELj4294967295EEENS1_25partition_config_selectorILNS1_17partition_subalgoE4EjNS0_10empty_typeEbEEZZNS1_14partition_implILS8_4ELb0ES6_15HIP_vector_typeIjLj2EENS0_17counting_iteratorIjlEEPS9_SG_NS0_5tupleIJPjSI_NS0_16reverse_iteratorISI_EEEEENSH_IJSG_SG_SG_EEES9_SI_JZNS1_25segmented_radix_sort_implINS0_14default_configELb0EPKdPdPKlPlN2at6native12_GLOBAL__N_18offset_tEEE10hipError_tPvRmT1_PNSt15iterator_traitsIS12_E10value_typeET2_T3_PNS13_IS18_E10value_typeET4_jRbjT5_S1E_jjP12ihipStream_tbEUljE_ZNSN_ISO_Lb0ESQ_SR_ST_SU_SY_EESZ_S10_S11_S12_S16_S17_S18_S1B_S1C_jS1D_jS1E_S1E_jjS1G_bEUljE0_EEESZ_S10_S11_S18_S1C_S1E_T6_T7_T9_mT8_S1G_bDpT10_ENKUlT_T0_E_clISt17integral_constantIbLb0EES1T_IbLb1EEEEDaS1P_S1Q_EUlS1P_E_NS1_11comp_targetILNS1_3genE9ELNS1_11target_archE1100ELNS1_3gpuE3ELNS1_3repE0EEENS1_30default_config_static_selectorELNS0_4arch9wavefront6targetE0EEEvS12_.numbered_sgpr, 0
	.set _ZN7rocprim17ROCPRIM_400000_NS6detail17trampoline_kernelINS0_13select_configILj256ELj13ELNS0_17block_load_methodE3ELS4_3ELS4_3ELNS0_20block_scan_algorithmE0ELj4294967295EEENS1_25partition_config_selectorILNS1_17partition_subalgoE4EjNS0_10empty_typeEbEEZZNS1_14partition_implILS8_4ELb0ES6_15HIP_vector_typeIjLj2EENS0_17counting_iteratorIjlEEPS9_SG_NS0_5tupleIJPjSI_NS0_16reverse_iteratorISI_EEEEENSH_IJSG_SG_SG_EEES9_SI_JZNS1_25segmented_radix_sort_implINS0_14default_configELb0EPKdPdPKlPlN2at6native12_GLOBAL__N_18offset_tEEE10hipError_tPvRmT1_PNSt15iterator_traitsIS12_E10value_typeET2_T3_PNS13_IS18_E10value_typeET4_jRbjT5_S1E_jjP12ihipStream_tbEUljE_ZNSN_ISO_Lb0ESQ_SR_ST_SU_SY_EESZ_S10_S11_S12_S16_S17_S18_S1B_S1C_jS1D_jS1E_S1E_jjS1G_bEUljE0_EEESZ_S10_S11_S18_S1C_S1E_T6_T7_T9_mT8_S1G_bDpT10_ENKUlT_T0_E_clISt17integral_constantIbLb0EES1T_IbLb1EEEEDaS1P_S1Q_EUlS1P_E_NS1_11comp_targetILNS1_3genE9ELNS1_11target_archE1100ELNS1_3gpuE3ELNS1_3repE0EEENS1_30default_config_static_selectorELNS0_4arch9wavefront6targetE0EEEvS12_.num_named_barrier, 0
	.set _ZN7rocprim17ROCPRIM_400000_NS6detail17trampoline_kernelINS0_13select_configILj256ELj13ELNS0_17block_load_methodE3ELS4_3ELS4_3ELNS0_20block_scan_algorithmE0ELj4294967295EEENS1_25partition_config_selectorILNS1_17partition_subalgoE4EjNS0_10empty_typeEbEEZZNS1_14partition_implILS8_4ELb0ES6_15HIP_vector_typeIjLj2EENS0_17counting_iteratorIjlEEPS9_SG_NS0_5tupleIJPjSI_NS0_16reverse_iteratorISI_EEEEENSH_IJSG_SG_SG_EEES9_SI_JZNS1_25segmented_radix_sort_implINS0_14default_configELb0EPKdPdPKlPlN2at6native12_GLOBAL__N_18offset_tEEE10hipError_tPvRmT1_PNSt15iterator_traitsIS12_E10value_typeET2_T3_PNS13_IS18_E10value_typeET4_jRbjT5_S1E_jjP12ihipStream_tbEUljE_ZNSN_ISO_Lb0ESQ_SR_ST_SU_SY_EESZ_S10_S11_S12_S16_S17_S18_S1B_S1C_jS1D_jS1E_S1E_jjS1G_bEUljE0_EEESZ_S10_S11_S18_S1C_S1E_T6_T7_T9_mT8_S1G_bDpT10_ENKUlT_T0_E_clISt17integral_constantIbLb0EES1T_IbLb1EEEEDaS1P_S1Q_EUlS1P_E_NS1_11comp_targetILNS1_3genE9ELNS1_11target_archE1100ELNS1_3gpuE3ELNS1_3repE0EEENS1_30default_config_static_selectorELNS0_4arch9wavefront6targetE0EEEvS12_.private_seg_size, 0
	.set _ZN7rocprim17ROCPRIM_400000_NS6detail17trampoline_kernelINS0_13select_configILj256ELj13ELNS0_17block_load_methodE3ELS4_3ELS4_3ELNS0_20block_scan_algorithmE0ELj4294967295EEENS1_25partition_config_selectorILNS1_17partition_subalgoE4EjNS0_10empty_typeEbEEZZNS1_14partition_implILS8_4ELb0ES6_15HIP_vector_typeIjLj2EENS0_17counting_iteratorIjlEEPS9_SG_NS0_5tupleIJPjSI_NS0_16reverse_iteratorISI_EEEEENSH_IJSG_SG_SG_EEES9_SI_JZNS1_25segmented_radix_sort_implINS0_14default_configELb0EPKdPdPKlPlN2at6native12_GLOBAL__N_18offset_tEEE10hipError_tPvRmT1_PNSt15iterator_traitsIS12_E10value_typeET2_T3_PNS13_IS18_E10value_typeET4_jRbjT5_S1E_jjP12ihipStream_tbEUljE_ZNSN_ISO_Lb0ESQ_SR_ST_SU_SY_EESZ_S10_S11_S12_S16_S17_S18_S1B_S1C_jS1D_jS1E_S1E_jjS1G_bEUljE0_EEESZ_S10_S11_S18_S1C_S1E_T6_T7_T9_mT8_S1G_bDpT10_ENKUlT_T0_E_clISt17integral_constantIbLb0EES1T_IbLb1EEEEDaS1P_S1Q_EUlS1P_E_NS1_11comp_targetILNS1_3genE9ELNS1_11target_archE1100ELNS1_3gpuE3ELNS1_3repE0EEENS1_30default_config_static_selectorELNS0_4arch9wavefront6targetE0EEEvS12_.uses_vcc, 0
	.set _ZN7rocprim17ROCPRIM_400000_NS6detail17trampoline_kernelINS0_13select_configILj256ELj13ELNS0_17block_load_methodE3ELS4_3ELS4_3ELNS0_20block_scan_algorithmE0ELj4294967295EEENS1_25partition_config_selectorILNS1_17partition_subalgoE4EjNS0_10empty_typeEbEEZZNS1_14partition_implILS8_4ELb0ES6_15HIP_vector_typeIjLj2EENS0_17counting_iteratorIjlEEPS9_SG_NS0_5tupleIJPjSI_NS0_16reverse_iteratorISI_EEEEENSH_IJSG_SG_SG_EEES9_SI_JZNS1_25segmented_radix_sort_implINS0_14default_configELb0EPKdPdPKlPlN2at6native12_GLOBAL__N_18offset_tEEE10hipError_tPvRmT1_PNSt15iterator_traitsIS12_E10value_typeET2_T3_PNS13_IS18_E10value_typeET4_jRbjT5_S1E_jjP12ihipStream_tbEUljE_ZNSN_ISO_Lb0ESQ_SR_ST_SU_SY_EESZ_S10_S11_S12_S16_S17_S18_S1B_S1C_jS1D_jS1E_S1E_jjS1G_bEUljE0_EEESZ_S10_S11_S18_S1C_S1E_T6_T7_T9_mT8_S1G_bDpT10_ENKUlT_T0_E_clISt17integral_constantIbLb0EES1T_IbLb1EEEEDaS1P_S1Q_EUlS1P_E_NS1_11comp_targetILNS1_3genE9ELNS1_11target_archE1100ELNS1_3gpuE3ELNS1_3repE0EEENS1_30default_config_static_selectorELNS0_4arch9wavefront6targetE0EEEvS12_.uses_flat_scratch, 0
	.set _ZN7rocprim17ROCPRIM_400000_NS6detail17trampoline_kernelINS0_13select_configILj256ELj13ELNS0_17block_load_methodE3ELS4_3ELS4_3ELNS0_20block_scan_algorithmE0ELj4294967295EEENS1_25partition_config_selectorILNS1_17partition_subalgoE4EjNS0_10empty_typeEbEEZZNS1_14partition_implILS8_4ELb0ES6_15HIP_vector_typeIjLj2EENS0_17counting_iteratorIjlEEPS9_SG_NS0_5tupleIJPjSI_NS0_16reverse_iteratorISI_EEEEENSH_IJSG_SG_SG_EEES9_SI_JZNS1_25segmented_radix_sort_implINS0_14default_configELb0EPKdPdPKlPlN2at6native12_GLOBAL__N_18offset_tEEE10hipError_tPvRmT1_PNSt15iterator_traitsIS12_E10value_typeET2_T3_PNS13_IS18_E10value_typeET4_jRbjT5_S1E_jjP12ihipStream_tbEUljE_ZNSN_ISO_Lb0ESQ_SR_ST_SU_SY_EESZ_S10_S11_S12_S16_S17_S18_S1B_S1C_jS1D_jS1E_S1E_jjS1G_bEUljE0_EEESZ_S10_S11_S18_S1C_S1E_T6_T7_T9_mT8_S1G_bDpT10_ENKUlT_T0_E_clISt17integral_constantIbLb0EES1T_IbLb1EEEEDaS1P_S1Q_EUlS1P_E_NS1_11comp_targetILNS1_3genE9ELNS1_11target_archE1100ELNS1_3gpuE3ELNS1_3repE0EEENS1_30default_config_static_selectorELNS0_4arch9wavefront6targetE0EEEvS12_.has_dyn_sized_stack, 0
	.set _ZN7rocprim17ROCPRIM_400000_NS6detail17trampoline_kernelINS0_13select_configILj256ELj13ELNS0_17block_load_methodE3ELS4_3ELS4_3ELNS0_20block_scan_algorithmE0ELj4294967295EEENS1_25partition_config_selectorILNS1_17partition_subalgoE4EjNS0_10empty_typeEbEEZZNS1_14partition_implILS8_4ELb0ES6_15HIP_vector_typeIjLj2EENS0_17counting_iteratorIjlEEPS9_SG_NS0_5tupleIJPjSI_NS0_16reverse_iteratorISI_EEEEENSH_IJSG_SG_SG_EEES9_SI_JZNS1_25segmented_radix_sort_implINS0_14default_configELb0EPKdPdPKlPlN2at6native12_GLOBAL__N_18offset_tEEE10hipError_tPvRmT1_PNSt15iterator_traitsIS12_E10value_typeET2_T3_PNS13_IS18_E10value_typeET4_jRbjT5_S1E_jjP12ihipStream_tbEUljE_ZNSN_ISO_Lb0ESQ_SR_ST_SU_SY_EESZ_S10_S11_S12_S16_S17_S18_S1B_S1C_jS1D_jS1E_S1E_jjS1G_bEUljE0_EEESZ_S10_S11_S18_S1C_S1E_T6_T7_T9_mT8_S1G_bDpT10_ENKUlT_T0_E_clISt17integral_constantIbLb0EES1T_IbLb1EEEEDaS1P_S1Q_EUlS1P_E_NS1_11comp_targetILNS1_3genE9ELNS1_11target_archE1100ELNS1_3gpuE3ELNS1_3repE0EEENS1_30default_config_static_selectorELNS0_4arch9wavefront6targetE0EEEvS12_.has_recursion, 0
	.set _ZN7rocprim17ROCPRIM_400000_NS6detail17trampoline_kernelINS0_13select_configILj256ELj13ELNS0_17block_load_methodE3ELS4_3ELS4_3ELNS0_20block_scan_algorithmE0ELj4294967295EEENS1_25partition_config_selectorILNS1_17partition_subalgoE4EjNS0_10empty_typeEbEEZZNS1_14partition_implILS8_4ELb0ES6_15HIP_vector_typeIjLj2EENS0_17counting_iteratorIjlEEPS9_SG_NS0_5tupleIJPjSI_NS0_16reverse_iteratorISI_EEEEENSH_IJSG_SG_SG_EEES9_SI_JZNS1_25segmented_radix_sort_implINS0_14default_configELb0EPKdPdPKlPlN2at6native12_GLOBAL__N_18offset_tEEE10hipError_tPvRmT1_PNSt15iterator_traitsIS12_E10value_typeET2_T3_PNS13_IS18_E10value_typeET4_jRbjT5_S1E_jjP12ihipStream_tbEUljE_ZNSN_ISO_Lb0ESQ_SR_ST_SU_SY_EESZ_S10_S11_S12_S16_S17_S18_S1B_S1C_jS1D_jS1E_S1E_jjS1G_bEUljE0_EEESZ_S10_S11_S18_S1C_S1E_T6_T7_T9_mT8_S1G_bDpT10_ENKUlT_T0_E_clISt17integral_constantIbLb0EES1T_IbLb1EEEEDaS1P_S1Q_EUlS1P_E_NS1_11comp_targetILNS1_3genE9ELNS1_11target_archE1100ELNS1_3gpuE3ELNS1_3repE0EEENS1_30default_config_static_selectorELNS0_4arch9wavefront6targetE0EEEvS12_.has_indirect_call, 0
	.section	.AMDGPU.csdata,"",@progbits
; Kernel info:
; codeLenInByte = 0
; TotalNumSgprs: 0
; NumVgprs: 0
; ScratchSize: 0
; MemoryBound: 0
; FloatMode: 240
; IeeeMode: 1
; LDSByteSize: 0 bytes/workgroup (compile time only)
; SGPRBlocks: 0
; VGPRBlocks: 0
; NumSGPRsForWavesPerEU: 1
; NumVGPRsForWavesPerEU: 1
; NamedBarCnt: 0
; Occupancy: 16
; WaveLimiterHint : 0
; COMPUTE_PGM_RSRC2:SCRATCH_EN: 0
; COMPUTE_PGM_RSRC2:USER_SGPR: 2
; COMPUTE_PGM_RSRC2:TRAP_HANDLER: 0
; COMPUTE_PGM_RSRC2:TGID_X_EN: 1
; COMPUTE_PGM_RSRC2:TGID_Y_EN: 0
; COMPUTE_PGM_RSRC2:TGID_Z_EN: 0
; COMPUTE_PGM_RSRC2:TIDIG_COMP_CNT: 0
	.section	.text._ZN7rocprim17ROCPRIM_400000_NS6detail17trampoline_kernelINS0_13select_configILj256ELj13ELNS0_17block_load_methodE3ELS4_3ELS4_3ELNS0_20block_scan_algorithmE0ELj4294967295EEENS1_25partition_config_selectorILNS1_17partition_subalgoE4EjNS0_10empty_typeEbEEZZNS1_14partition_implILS8_4ELb0ES6_15HIP_vector_typeIjLj2EENS0_17counting_iteratorIjlEEPS9_SG_NS0_5tupleIJPjSI_NS0_16reverse_iteratorISI_EEEEENSH_IJSG_SG_SG_EEES9_SI_JZNS1_25segmented_radix_sort_implINS0_14default_configELb0EPKdPdPKlPlN2at6native12_GLOBAL__N_18offset_tEEE10hipError_tPvRmT1_PNSt15iterator_traitsIS12_E10value_typeET2_T3_PNS13_IS18_E10value_typeET4_jRbjT5_S1E_jjP12ihipStream_tbEUljE_ZNSN_ISO_Lb0ESQ_SR_ST_SU_SY_EESZ_S10_S11_S12_S16_S17_S18_S1B_S1C_jS1D_jS1E_S1E_jjS1G_bEUljE0_EEESZ_S10_S11_S18_S1C_S1E_T6_T7_T9_mT8_S1G_bDpT10_ENKUlT_T0_E_clISt17integral_constantIbLb0EES1T_IbLb1EEEEDaS1P_S1Q_EUlS1P_E_NS1_11comp_targetILNS1_3genE8ELNS1_11target_archE1030ELNS1_3gpuE2ELNS1_3repE0EEENS1_30default_config_static_selectorELNS0_4arch9wavefront6targetE0EEEvS12_,"axG",@progbits,_ZN7rocprim17ROCPRIM_400000_NS6detail17trampoline_kernelINS0_13select_configILj256ELj13ELNS0_17block_load_methodE3ELS4_3ELS4_3ELNS0_20block_scan_algorithmE0ELj4294967295EEENS1_25partition_config_selectorILNS1_17partition_subalgoE4EjNS0_10empty_typeEbEEZZNS1_14partition_implILS8_4ELb0ES6_15HIP_vector_typeIjLj2EENS0_17counting_iteratorIjlEEPS9_SG_NS0_5tupleIJPjSI_NS0_16reverse_iteratorISI_EEEEENSH_IJSG_SG_SG_EEES9_SI_JZNS1_25segmented_radix_sort_implINS0_14default_configELb0EPKdPdPKlPlN2at6native12_GLOBAL__N_18offset_tEEE10hipError_tPvRmT1_PNSt15iterator_traitsIS12_E10value_typeET2_T3_PNS13_IS18_E10value_typeET4_jRbjT5_S1E_jjP12ihipStream_tbEUljE_ZNSN_ISO_Lb0ESQ_SR_ST_SU_SY_EESZ_S10_S11_S12_S16_S17_S18_S1B_S1C_jS1D_jS1E_S1E_jjS1G_bEUljE0_EEESZ_S10_S11_S18_S1C_S1E_T6_T7_T9_mT8_S1G_bDpT10_ENKUlT_T0_E_clISt17integral_constantIbLb0EES1T_IbLb1EEEEDaS1P_S1Q_EUlS1P_E_NS1_11comp_targetILNS1_3genE8ELNS1_11target_archE1030ELNS1_3gpuE2ELNS1_3repE0EEENS1_30default_config_static_selectorELNS0_4arch9wavefront6targetE0EEEvS12_,comdat
	.globl	_ZN7rocprim17ROCPRIM_400000_NS6detail17trampoline_kernelINS0_13select_configILj256ELj13ELNS0_17block_load_methodE3ELS4_3ELS4_3ELNS0_20block_scan_algorithmE0ELj4294967295EEENS1_25partition_config_selectorILNS1_17partition_subalgoE4EjNS0_10empty_typeEbEEZZNS1_14partition_implILS8_4ELb0ES6_15HIP_vector_typeIjLj2EENS0_17counting_iteratorIjlEEPS9_SG_NS0_5tupleIJPjSI_NS0_16reverse_iteratorISI_EEEEENSH_IJSG_SG_SG_EEES9_SI_JZNS1_25segmented_radix_sort_implINS0_14default_configELb0EPKdPdPKlPlN2at6native12_GLOBAL__N_18offset_tEEE10hipError_tPvRmT1_PNSt15iterator_traitsIS12_E10value_typeET2_T3_PNS13_IS18_E10value_typeET4_jRbjT5_S1E_jjP12ihipStream_tbEUljE_ZNSN_ISO_Lb0ESQ_SR_ST_SU_SY_EESZ_S10_S11_S12_S16_S17_S18_S1B_S1C_jS1D_jS1E_S1E_jjS1G_bEUljE0_EEESZ_S10_S11_S18_S1C_S1E_T6_T7_T9_mT8_S1G_bDpT10_ENKUlT_T0_E_clISt17integral_constantIbLb0EES1T_IbLb1EEEEDaS1P_S1Q_EUlS1P_E_NS1_11comp_targetILNS1_3genE8ELNS1_11target_archE1030ELNS1_3gpuE2ELNS1_3repE0EEENS1_30default_config_static_selectorELNS0_4arch9wavefront6targetE0EEEvS12_ ; -- Begin function _ZN7rocprim17ROCPRIM_400000_NS6detail17trampoline_kernelINS0_13select_configILj256ELj13ELNS0_17block_load_methodE3ELS4_3ELS4_3ELNS0_20block_scan_algorithmE0ELj4294967295EEENS1_25partition_config_selectorILNS1_17partition_subalgoE4EjNS0_10empty_typeEbEEZZNS1_14partition_implILS8_4ELb0ES6_15HIP_vector_typeIjLj2EENS0_17counting_iteratorIjlEEPS9_SG_NS0_5tupleIJPjSI_NS0_16reverse_iteratorISI_EEEEENSH_IJSG_SG_SG_EEES9_SI_JZNS1_25segmented_radix_sort_implINS0_14default_configELb0EPKdPdPKlPlN2at6native12_GLOBAL__N_18offset_tEEE10hipError_tPvRmT1_PNSt15iterator_traitsIS12_E10value_typeET2_T3_PNS13_IS18_E10value_typeET4_jRbjT5_S1E_jjP12ihipStream_tbEUljE_ZNSN_ISO_Lb0ESQ_SR_ST_SU_SY_EESZ_S10_S11_S12_S16_S17_S18_S1B_S1C_jS1D_jS1E_S1E_jjS1G_bEUljE0_EEESZ_S10_S11_S18_S1C_S1E_T6_T7_T9_mT8_S1G_bDpT10_ENKUlT_T0_E_clISt17integral_constantIbLb0EES1T_IbLb1EEEEDaS1P_S1Q_EUlS1P_E_NS1_11comp_targetILNS1_3genE8ELNS1_11target_archE1030ELNS1_3gpuE2ELNS1_3repE0EEENS1_30default_config_static_selectorELNS0_4arch9wavefront6targetE0EEEvS12_
	.p2align	8
	.type	_ZN7rocprim17ROCPRIM_400000_NS6detail17trampoline_kernelINS0_13select_configILj256ELj13ELNS0_17block_load_methodE3ELS4_3ELS4_3ELNS0_20block_scan_algorithmE0ELj4294967295EEENS1_25partition_config_selectorILNS1_17partition_subalgoE4EjNS0_10empty_typeEbEEZZNS1_14partition_implILS8_4ELb0ES6_15HIP_vector_typeIjLj2EENS0_17counting_iteratorIjlEEPS9_SG_NS0_5tupleIJPjSI_NS0_16reverse_iteratorISI_EEEEENSH_IJSG_SG_SG_EEES9_SI_JZNS1_25segmented_radix_sort_implINS0_14default_configELb0EPKdPdPKlPlN2at6native12_GLOBAL__N_18offset_tEEE10hipError_tPvRmT1_PNSt15iterator_traitsIS12_E10value_typeET2_T3_PNS13_IS18_E10value_typeET4_jRbjT5_S1E_jjP12ihipStream_tbEUljE_ZNSN_ISO_Lb0ESQ_SR_ST_SU_SY_EESZ_S10_S11_S12_S16_S17_S18_S1B_S1C_jS1D_jS1E_S1E_jjS1G_bEUljE0_EEESZ_S10_S11_S18_S1C_S1E_T6_T7_T9_mT8_S1G_bDpT10_ENKUlT_T0_E_clISt17integral_constantIbLb0EES1T_IbLb1EEEEDaS1P_S1Q_EUlS1P_E_NS1_11comp_targetILNS1_3genE8ELNS1_11target_archE1030ELNS1_3gpuE2ELNS1_3repE0EEENS1_30default_config_static_selectorELNS0_4arch9wavefront6targetE0EEEvS12_,@function
_ZN7rocprim17ROCPRIM_400000_NS6detail17trampoline_kernelINS0_13select_configILj256ELj13ELNS0_17block_load_methodE3ELS4_3ELS4_3ELNS0_20block_scan_algorithmE0ELj4294967295EEENS1_25partition_config_selectorILNS1_17partition_subalgoE4EjNS0_10empty_typeEbEEZZNS1_14partition_implILS8_4ELb0ES6_15HIP_vector_typeIjLj2EENS0_17counting_iteratorIjlEEPS9_SG_NS0_5tupleIJPjSI_NS0_16reverse_iteratorISI_EEEEENSH_IJSG_SG_SG_EEES9_SI_JZNS1_25segmented_radix_sort_implINS0_14default_configELb0EPKdPdPKlPlN2at6native12_GLOBAL__N_18offset_tEEE10hipError_tPvRmT1_PNSt15iterator_traitsIS12_E10value_typeET2_T3_PNS13_IS18_E10value_typeET4_jRbjT5_S1E_jjP12ihipStream_tbEUljE_ZNSN_ISO_Lb0ESQ_SR_ST_SU_SY_EESZ_S10_S11_S12_S16_S17_S18_S1B_S1C_jS1D_jS1E_S1E_jjS1G_bEUljE0_EEESZ_S10_S11_S18_S1C_S1E_T6_T7_T9_mT8_S1G_bDpT10_ENKUlT_T0_E_clISt17integral_constantIbLb0EES1T_IbLb1EEEEDaS1P_S1Q_EUlS1P_E_NS1_11comp_targetILNS1_3genE8ELNS1_11target_archE1030ELNS1_3gpuE2ELNS1_3repE0EEENS1_30default_config_static_selectorELNS0_4arch9wavefront6targetE0EEEvS12_: ; @_ZN7rocprim17ROCPRIM_400000_NS6detail17trampoline_kernelINS0_13select_configILj256ELj13ELNS0_17block_load_methodE3ELS4_3ELS4_3ELNS0_20block_scan_algorithmE0ELj4294967295EEENS1_25partition_config_selectorILNS1_17partition_subalgoE4EjNS0_10empty_typeEbEEZZNS1_14partition_implILS8_4ELb0ES6_15HIP_vector_typeIjLj2EENS0_17counting_iteratorIjlEEPS9_SG_NS0_5tupleIJPjSI_NS0_16reverse_iteratorISI_EEEEENSH_IJSG_SG_SG_EEES9_SI_JZNS1_25segmented_radix_sort_implINS0_14default_configELb0EPKdPdPKlPlN2at6native12_GLOBAL__N_18offset_tEEE10hipError_tPvRmT1_PNSt15iterator_traitsIS12_E10value_typeET2_T3_PNS13_IS18_E10value_typeET4_jRbjT5_S1E_jjP12ihipStream_tbEUljE_ZNSN_ISO_Lb0ESQ_SR_ST_SU_SY_EESZ_S10_S11_S12_S16_S17_S18_S1B_S1C_jS1D_jS1E_S1E_jjS1G_bEUljE0_EEESZ_S10_S11_S18_S1C_S1E_T6_T7_T9_mT8_S1G_bDpT10_ENKUlT_T0_E_clISt17integral_constantIbLb0EES1T_IbLb1EEEEDaS1P_S1Q_EUlS1P_E_NS1_11comp_targetILNS1_3genE8ELNS1_11target_archE1030ELNS1_3gpuE2ELNS1_3repE0EEENS1_30default_config_static_selectorELNS0_4arch9wavefront6targetE0EEEvS12_
; %bb.0:
	.section	.rodata,"a",@progbits
	.p2align	6, 0x0
	.amdhsa_kernel _ZN7rocprim17ROCPRIM_400000_NS6detail17trampoline_kernelINS0_13select_configILj256ELj13ELNS0_17block_load_methodE3ELS4_3ELS4_3ELNS0_20block_scan_algorithmE0ELj4294967295EEENS1_25partition_config_selectorILNS1_17partition_subalgoE4EjNS0_10empty_typeEbEEZZNS1_14partition_implILS8_4ELb0ES6_15HIP_vector_typeIjLj2EENS0_17counting_iteratorIjlEEPS9_SG_NS0_5tupleIJPjSI_NS0_16reverse_iteratorISI_EEEEENSH_IJSG_SG_SG_EEES9_SI_JZNS1_25segmented_radix_sort_implINS0_14default_configELb0EPKdPdPKlPlN2at6native12_GLOBAL__N_18offset_tEEE10hipError_tPvRmT1_PNSt15iterator_traitsIS12_E10value_typeET2_T3_PNS13_IS18_E10value_typeET4_jRbjT5_S1E_jjP12ihipStream_tbEUljE_ZNSN_ISO_Lb0ESQ_SR_ST_SU_SY_EESZ_S10_S11_S12_S16_S17_S18_S1B_S1C_jS1D_jS1E_S1E_jjS1G_bEUljE0_EEESZ_S10_S11_S18_S1C_S1E_T6_T7_T9_mT8_S1G_bDpT10_ENKUlT_T0_E_clISt17integral_constantIbLb0EES1T_IbLb1EEEEDaS1P_S1Q_EUlS1P_E_NS1_11comp_targetILNS1_3genE8ELNS1_11target_archE1030ELNS1_3gpuE2ELNS1_3repE0EEENS1_30default_config_static_selectorELNS0_4arch9wavefront6targetE0EEEvS12_
		.amdhsa_group_segment_fixed_size 0
		.amdhsa_private_segment_fixed_size 0
		.amdhsa_kernarg_size 184
		.amdhsa_user_sgpr_count 2
		.amdhsa_user_sgpr_dispatch_ptr 0
		.amdhsa_user_sgpr_queue_ptr 0
		.amdhsa_user_sgpr_kernarg_segment_ptr 1
		.amdhsa_user_sgpr_dispatch_id 0
		.amdhsa_user_sgpr_kernarg_preload_length 0
		.amdhsa_user_sgpr_kernarg_preload_offset 0
		.amdhsa_user_sgpr_private_segment_size 0
		.amdhsa_wavefront_size32 1
		.amdhsa_uses_dynamic_stack 0
		.amdhsa_enable_private_segment 0
		.amdhsa_system_sgpr_workgroup_id_x 1
		.amdhsa_system_sgpr_workgroup_id_y 0
		.amdhsa_system_sgpr_workgroup_id_z 0
		.amdhsa_system_sgpr_workgroup_info 0
		.amdhsa_system_vgpr_workitem_id 0
		.amdhsa_next_free_vgpr 1
		.amdhsa_next_free_sgpr 1
		.amdhsa_named_barrier_count 0
		.amdhsa_reserve_vcc 0
		.amdhsa_float_round_mode_32 0
		.amdhsa_float_round_mode_16_64 0
		.amdhsa_float_denorm_mode_32 3
		.amdhsa_float_denorm_mode_16_64 3
		.amdhsa_fp16_overflow 0
		.amdhsa_memory_ordered 1
		.amdhsa_forward_progress 1
		.amdhsa_inst_pref_size 0
		.amdhsa_round_robin_scheduling 0
		.amdhsa_exception_fp_ieee_invalid_op 0
		.amdhsa_exception_fp_denorm_src 0
		.amdhsa_exception_fp_ieee_div_zero 0
		.amdhsa_exception_fp_ieee_overflow 0
		.amdhsa_exception_fp_ieee_underflow 0
		.amdhsa_exception_fp_ieee_inexact 0
		.amdhsa_exception_int_div_zero 0
	.end_amdhsa_kernel
	.section	.text._ZN7rocprim17ROCPRIM_400000_NS6detail17trampoline_kernelINS0_13select_configILj256ELj13ELNS0_17block_load_methodE3ELS4_3ELS4_3ELNS0_20block_scan_algorithmE0ELj4294967295EEENS1_25partition_config_selectorILNS1_17partition_subalgoE4EjNS0_10empty_typeEbEEZZNS1_14partition_implILS8_4ELb0ES6_15HIP_vector_typeIjLj2EENS0_17counting_iteratorIjlEEPS9_SG_NS0_5tupleIJPjSI_NS0_16reverse_iteratorISI_EEEEENSH_IJSG_SG_SG_EEES9_SI_JZNS1_25segmented_radix_sort_implINS0_14default_configELb0EPKdPdPKlPlN2at6native12_GLOBAL__N_18offset_tEEE10hipError_tPvRmT1_PNSt15iterator_traitsIS12_E10value_typeET2_T3_PNS13_IS18_E10value_typeET4_jRbjT5_S1E_jjP12ihipStream_tbEUljE_ZNSN_ISO_Lb0ESQ_SR_ST_SU_SY_EESZ_S10_S11_S12_S16_S17_S18_S1B_S1C_jS1D_jS1E_S1E_jjS1G_bEUljE0_EEESZ_S10_S11_S18_S1C_S1E_T6_T7_T9_mT8_S1G_bDpT10_ENKUlT_T0_E_clISt17integral_constantIbLb0EES1T_IbLb1EEEEDaS1P_S1Q_EUlS1P_E_NS1_11comp_targetILNS1_3genE8ELNS1_11target_archE1030ELNS1_3gpuE2ELNS1_3repE0EEENS1_30default_config_static_selectorELNS0_4arch9wavefront6targetE0EEEvS12_,"axG",@progbits,_ZN7rocprim17ROCPRIM_400000_NS6detail17trampoline_kernelINS0_13select_configILj256ELj13ELNS0_17block_load_methodE3ELS4_3ELS4_3ELNS0_20block_scan_algorithmE0ELj4294967295EEENS1_25partition_config_selectorILNS1_17partition_subalgoE4EjNS0_10empty_typeEbEEZZNS1_14partition_implILS8_4ELb0ES6_15HIP_vector_typeIjLj2EENS0_17counting_iteratorIjlEEPS9_SG_NS0_5tupleIJPjSI_NS0_16reverse_iteratorISI_EEEEENSH_IJSG_SG_SG_EEES9_SI_JZNS1_25segmented_radix_sort_implINS0_14default_configELb0EPKdPdPKlPlN2at6native12_GLOBAL__N_18offset_tEEE10hipError_tPvRmT1_PNSt15iterator_traitsIS12_E10value_typeET2_T3_PNS13_IS18_E10value_typeET4_jRbjT5_S1E_jjP12ihipStream_tbEUljE_ZNSN_ISO_Lb0ESQ_SR_ST_SU_SY_EESZ_S10_S11_S12_S16_S17_S18_S1B_S1C_jS1D_jS1E_S1E_jjS1G_bEUljE0_EEESZ_S10_S11_S18_S1C_S1E_T6_T7_T9_mT8_S1G_bDpT10_ENKUlT_T0_E_clISt17integral_constantIbLb0EES1T_IbLb1EEEEDaS1P_S1Q_EUlS1P_E_NS1_11comp_targetILNS1_3genE8ELNS1_11target_archE1030ELNS1_3gpuE2ELNS1_3repE0EEENS1_30default_config_static_selectorELNS0_4arch9wavefront6targetE0EEEvS12_,comdat
.Lfunc_end1182:
	.size	_ZN7rocprim17ROCPRIM_400000_NS6detail17trampoline_kernelINS0_13select_configILj256ELj13ELNS0_17block_load_methodE3ELS4_3ELS4_3ELNS0_20block_scan_algorithmE0ELj4294967295EEENS1_25partition_config_selectorILNS1_17partition_subalgoE4EjNS0_10empty_typeEbEEZZNS1_14partition_implILS8_4ELb0ES6_15HIP_vector_typeIjLj2EENS0_17counting_iteratorIjlEEPS9_SG_NS0_5tupleIJPjSI_NS0_16reverse_iteratorISI_EEEEENSH_IJSG_SG_SG_EEES9_SI_JZNS1_25segmented_radix_sort_implINS0_14default_configELb0EPKdPdPKlPlN2at6native12_GLOBAL__N_18offset_tEEE10hipError_tPvRmT1_PNSt15iterator_traitsIS12_E10value_typeET2_T3_PNS13_IS18_E10value_typeET4_jRbjT5_S1E_jjP12ihipStream_tbEUljE_ZNSN_ISO_Lb0ESQ_SR_ST_SU_SY_EESZ_S10_S11_S12_S16_S17_S18_S1B_S1C_jS1D_jS1E_S1E_jjS1G_bEUljE0_EEESZ_S10_S11_S18_S1C_S1E_T6_T7_T9_mT8_S1G_bDpT10_ENKUlT_T0_E_clISt17integral_constantIbLb0EES1T_IbLb1EEEEDaS1P_S1Q_EUlS1P_E_NS1_11comp_targetILNS1_3genE8ELNS1_11target_archE1030ELNS1_3gpuE2ELNS1_3repE0EEENS1_30default_config_static_selectorELNS0_4arch9wavefront6targetE0EEEvS12_, .Lfunc_end1182-_ZN7rocprim17ROCPRIM_400000_NS6detail17trampoline_kernelINS0_13select_configILj256ELj13ELNS0_17block_load_methodE3ELS4_3ELS4_3ELNS0_20block_scan_algorithmE0ELj4294967295EEENS1_25partition_config_selectorILNS1_17partition_subalgoE4EjNS0_10empty_typeEbEEZZNS1_14partition_implILS8_4ELb0ES6_15HIP_vector_typeIjLj2EENS0_17counting_iteratorIjlEEPS9_SG_NS0_5tupleIJPjSI_NS0_16reverse_iteratorISI_EEEEENSH_IJSG_SG_SG_EEES9_SI_JZNS1_25segmented_radix_sort_implINS0_14default_configELb0EPKdPdPKlPlN2at6native12_GLOBAL__N_18offset_tEEE10hipError_tPvRmT1_PNSt15iterator_traitsIS12_E10value_typeET2_T3_PNS13_IS18_E10value_typeET4_jRbjT5_S1E_jjP12ihipStream_tbEUljE_ZNSN_ISO_Lb0ESQ_SR_ST_SU_SY_EESZ_S10_S11_S12_S16_S17_S18_S1B_S1C_jS1D_jS1E_S1E_jjS1G_bEUljE0_EEESZ_S10_S11_S18_S1C_S1E_T6_T7_T9_mT8_S1G_bDpT10_ENKUlT_T0_E_clISt17integral_constantIbLb0EES1T_IbLb1EEEEDaS1P_S1Q_EUlS1P_E_NS1_11comp_targetILNS1_3genE8ELNS1_11target_archE1030ELNS1_3gpuE2ELNS1_3repE0EEENS1_30default_config_static_selectorELNS0_4arch9wavefront6targetE0EEEvS12_
                                        ; -- End function
	.set _ZN7rocprim17ROCPRIM_400000_NS6detail17trampoline_kernelINS0_13select_configILj256ELj13ELNS0_17block_load_methodE3ELS4_3ELS4_3ELNS0_20block_scan_algorithmE0ELj4294967295EEENS1_25partition_config_selectorILNS1_17partition_subalgoE4EjNS0_10empty_typeEbEEZZNS1_14partition_implILS8_4ELb0ES6_15HIP_vector_typeIjLj2EENS0_17counting_iteratorIjlEEPS9_SG_NS0_5tupleIJPjSI_NS0_16reverse_iteratorISI_EEEEENSH_IJSG_SG_SG_EEES9_SI_JZNS1_25segmented_radix_sort_implINS0_14default_configELb0EPKdPdPKlPlN2at6native12_GLOBAL__N_18offset_tEEE10hipError_tPvRmT1_PNSt15iterator_traitsIS12_E10value_typeET2_T3_PNS13_IS18_E10value_typeET4_jRbjT5_S1E_jjP12ihipStream_tbEUljE_ZNSN_ISO_Lb0ESQ_SR_ST_SU_SY_EESZ_S10_S11_S12_S16_S17_S18_S1B_S1C_jS1D_jS1E_S1E_jjS1G_bEUljE0_EEESZ_S10_S11_S18_S1C_S1E_T6_T7_T9_mT8_S1G_bDpT10_ENKUlT_T0_E_clISt17integral_constantIbLb0EES1T_IbLb1EEEEDaS1P_S1Q_EUlS1P_E_NS1_11comp_targetILNS1_3genE8ELNS1_11target_archE1030ELNS1_3gpuE2ELNS1_3repE0EEENS1_30default_config_static_selectorELNS0_4arch9wavefront6targetE0EEEvS12_.num_vgpr, 0
	.set _ZN7rocprim17ROCPRIM_400000_NS6detail17trampoline_kernelINS0_13select_configILj256ELj13ELNS0_17block_load_methodE3ELS4_3ELS4_3ELNS0_20block_scan_algorithmE0ELj4294967295EEENS1_25partition_config_selectorILNS1_17partition_subalgoE4EjNS0_10empty_typeEbEEZZNS1_14partition_implILS8_4ELb0ES6_15HIP_vector_typeIjLj2EENS0_17counting_iteratorIjlEEPS9_SG_NS0_5tupleIJPjSI_NS0_16reverse_iteratorISI_EEEEENSH_IJSG_SG_SG_EEES9_SI_JZNS1_25segmented_radix_sort_implINS0_14default_configELb0EPKdPdPKlPlN2at6native12_GLOBAL__N_18offset_tEEE10hipError_tPvRmT1_PNSt15iterator_traitsIS12_E10value_typeET2_T3_PNS13_IS18_E10value_typeET4_jRbjT5_S1E_jjP12ihipStream_tbEUljE_ZNSN_ISO_Lb0ESQ_SR_ST_SU_SY_EESZ_S10_S11_S12_S16_S17_S18_S1B_S1C_jS1D_jS1E_S1E_jjS1G_bEUljE0_EEESZ_S10_S11_S18_S1C_S1E_T6_T7_T9_mT8_S1G_bDpT10_ENKUlT_T0_E_clISt17integral_constantIbLb0EES1T_IbLb1EEEEDaS1P_S1Q_EUlS1P_E_NS1_11comp_targetILNS1_3genE8ELNS1_11target_archE1030ELNS1_3gpuE2ELNS1_3repE0EEENS1_30default_config_static_selectorELNS0_4arch9wavefront6targetE0EEEvS12_.num_agpr, 0
	.set _ZN7rocprim17ROCPRIM_400000_NS6detail17trampoline_kernelINS0_13select_configILj256ELj13ELNS0_17block_load_methodE3ELS4_3ELS4_3ELNS0_20block_scan_algorithmE0ELj4294967295EEENS1_25partition_config_selectorILNS1_17partition_subalgoE4EjNS0_10empty_typeEbEEZZNS1_14partition_implILS8_4ELb0ES6_15HIP_vector_typeIjLj2EENS0_17counting_iteratorIjlEEPS9_SG_NS0_5tupleIJPjSI_NS0_16reverse_iteratorISI_EEEEENSH_IJSG_SG_SG_EEES9_SI_JZNS1_25segmented_radix_sort_implINS0_14default_configELb0EPKdPdPKlPlN2at6native12_GLOBAL__N_18offset_tEEE10hipError_tPvRmT1_PNSt15iterator_traitsIS12_E10value_typeET2_T3_PNS13_IS18_E10value_typeET4_jRbjT5_S1E_jjP12ihipStream_tbEUljE_ZNSN_ISO_Lb0ESQ_SR_ST_SU_SY_EESZ_S10_S11_S12_S16_S17_S18_S1B_S1C_jS1D_jS1E_S1E_jjS1G_bEUljE0_EEESZ_S10_S11_S18_S1C_S1E_T6_T7_T9_mT8_S1G_bDpT10_ENKUlT_T0_E_clISt17integral_constantIbLb0EES1T_IbLb1EEEEDaS1P_S1Q_EUlS1P_E_NS1_11comp_targetILNS1_3genE8ELNS1_11target_archE1030ELNS1_3gpuE2ELNS1_3repE0EEENS1_30default_config_static_selectorELNS0_4arch9wavefront6targetE0EEEvS12_.numbered_sgpr, 0
	.set _ZN7rocprim17ROCPRIM_400000_NS6detail17trampoline_kernelINS0_13select_configILj256ELj13ELNS0_17block_load_methodE3ELS4_3ELS4_3ELNS0_20block_scan_algorithmE0ELj4294967295EEENS1_25partition_config_selectorILNS1_17partition_subalgoE4EjNS0_10empty_typeEbEEZZNS1_14partition_implILS8_4ELb0ES6_15HIP_vector_typeIjLj2EENS0_17counting_iteratorIjlEEPS9_SG_NS0_5tupleIJPjSI_NS0_16reverse_iteratorISI_EEEEENSH_IJSG_SG_SG_EEES9_SI_JZNS1_25segmented_radix_sort_implINS0_14default_configELb0EPKdPdPKlPlN2at6native12_GLOBAL__N_18offset_tEEE10hipError_tPvRmT1_PNSt15iterator_traitsIS12_E10value_typeET2_T3_PNS13_IS18_E10value_typeET4_jRbjT5_S1E_jjP12ihipStream_tbEUljE_ZNSN_ISO_Lb0ESQ_SR_ST_SU_SY_EESZ_S10_S11_S12_S16_S17_S18_S1B_S1C_jS1D_jS1E_S1E_jjS1G_bEUljE0_EEESZ_S10_S11_S18_S1C_S1E_T6_T7_T9_mT8_S1G_bDpT10_ENKUlT_T0_E_clISt17integral_constantIbLb0EES1T_IbLb1EEEEDaS1P_S1Q_EUlS1P_E_NS1_11comp_targetILNS1_3genE8ELNS1_11target_archE1030ELNS1_3gpuE2ELNS1_3repE0EEENS1_30default_config_static_selectorELNS0_4arch9wavefront6targetE0EEEvS12_.num_named_barrier, 0
	.set _ZN7rocprim17ROCPRIM_400000_NS6detail17trampoline_kernelINS0_13select_configILj256ELj13ELNS0_17block_load_methodE3ELS4_3ELS4_3ELNS0_20block_scan_algorithmE0ELj4294967295EEENS1_25partition_config_selectorILNS1_17partition_subalgoE4EjNS0_10empty_typeEbEEZZNS1_14partition_implILS8_4ELb0ES6_15HIP_vector_typeIjLj2EENS0_17counting_iteratorIjlEEPS9_SG_NS0_5tupleIJPjSI_NS0_16reverse_iteratorISI_EEEEENSH_IJSG_SG_SG_EEES9_SI_JZNS1_25segmented_radix_sort_implINS0_14default_configELb0EPKdPdPKlPlN2at6native12_GLOBAL__N_18offset_tEEE10hipError_tPvRmT1_PNSt15iterator_traitsIS12_E10value_typeET2_T3_PNS13_IS18_E10value_typeET4_jRbjT5_S1E_jjP12ihipStream_tbEUljE_ZNSN_ISO_Lb0ESQ_SR_ST_SU_SY_EESZ_S10_S11_S12_S16_S17_S18_S1B_S1C_jS1D_jS1E_S1E_jjS1G_bEUljE0_EEESZ_S10_S11_S18_S1C_S1E_T6_T7_T9_mT8_S1G_bDpT10_ENKUlT_T0_E_clISt17integral_constantIbLb0EES1T_IbLb1EEEEDaS1P_S1Q_EUlS1P_E_NS1_11comp_targetILNS1_3genE8ELNS1_11target_archE1030ELNS1_3gpuE2ELNS1_3repE0EEENS1_30default_config_static_selectorELNS0_4arch9wavefront6targetE0EEEvS12_.private_seg_size, 0
	.set _ZN7rocprim17ROCPRIM_400000_NS6detail17trampoline_kernelINS0_13select_configILj256ELj13ELNS0_17block_load_methodE3ELS4_3ELS4_3ELNS0_20block_scan_algorithmE0ELj4294967295EEENS1_25partition_config_selectorILNS1_17partition_subalgoE4EjNS0_10empty_typeEbEEZZNS1_14partition_implILS8_4ELb0ES6_15HIP_vector_typeIjLj2EENS0_17counting_iteratorIjlEEPS9_SG_NS0_5tupleIJPjSI_NS0_16reverse_iteratorISI_EEEEENSH_IJSG_SG_SG_EEES9_SI_JZNS1_25segmented_radix_sort_implINS0_14default_configELb0EPKdPdPKlPlN2at6native12_GLOBAL__N_18offset_tEEE10hipError_tPvRmT1_PNSt15iterator_traitsIS12_E10value_typeET2_T3_PNS13_IS18_E10value_typeET4_jRbjT5_S1E_jjP12ihipStream_tbEUljE_ZNSN_ISO_Lb0ESQ_SR_ST_SU_SY_EESZ_S10_S11_S12_S16_S17_S18_S1B_S1C_jS1D_jS1E_S1E_jjS1G_bEUljE0_EEESZ_S10_S11_S18_S1C_S1E_T6_T7_T9_mT8_S1G_bDpT10_ENKUlT_T0_E_clISt17integral_constantIbLb0EES1T_IbLb1EEEEDaS1P_S1Q_EUlS1P_E_NS1_11comp_targetILNS1_3genE8ELNS1_11target_archE1030ELNS1_3gpuE2ELNS1_3repE0EEENS1_30default_config_static_selectorELNS0_4arch9wavefront6targetE0EEEvS12_.uses_vcc, 0
	.set _ZN7rocprim17ROCPRIM_400000_NS6detail17trampoline_kernelINS0_13select_configILj256ELj13ELNS0_17block_load_methodE3ELS4_3ELS4_3ELNS0_20block_scan_algorithmE0ELj4294967295EEENS1_25partition_config_selectorILNS1_17partition_subalgoE4EjNS0_10empty_typeEbEEZZNS1_14partition_implILS8_4ELb0ES6_15HIP_vector_typeIjLj2EENS0_17counting_iteratorIjlEEPS9_SG_NS0_5tupleIJPjSI_NS0_16reverse_iteratorISI_EEEEENSH_IJSG_SG_SG_EEES9_SI_JZNS1_25segmented_radix_sort_implINS0_14default_configELb0EPKdPdPKlPlN2at6native12_GLOBAL__N_18offset_tEEE10hipError_tPvRmT1_PNSt15iterator_traitsIS12_E10value_typeET2_T3_PNS13_IS18_E10value_typeET4_jRbjT5_S1E_jjP12ihipStream_tbEUljE_ZNSN_ISO_Lb0ESQ_SR_ST_SU_SY_EESZ_S10_S11_S12_S16_S17_S18_S1B_S1C_jS1D_jS1E_S1E_jjS1G_bEUljE0_EEESZ_S10_S11_S18_S1C_S1E_T6_T7_T9_mT8_S1G_bDpT10_ENKUlT_T0_E_clISt17integral_constantIbLb0EES1T_IbLb1EEEEDaS1P_S1Q_EUlS1P_E_NS1_11comp_targetILNS1_3genE8ELNS1_11target_archE1030ELNS1_3gpuE2ELNS1_3repE0EEENS1_30default_config_static_selectorELNS0_4arch9wavefront6targetE0EEEvS12_.uses_flat_scratch, 0
	.set _ZN7rocprim17ROCPRIM_400000_NS6detail17trampoline_kernelINS0_13select_configILj256ELj13ELNS0_17block_load_methodE3ELS4_3ELS4_3ELNS0_20block_scan_algorithmE0ELj4294967295EEENS1_25partition_config_selectorILNS1_17partition_subalgoE4EjNS0_10empty_typeEbEEZZNS1_14partition_implILS8_4ELb0ES6_15HIP_vector_typeIjLj2EENS0_17counting_iteratorIjlEEPS9_SG_NS0_5tupleIJPjSI_NS0_16reverse_iteratorISI_EEEEENSH_IJSG_SG_SG_EEES9_SI_JZNS1_25segmented_radix_sort_implINS0_14default_configELb0EPKdPdPKlPlN2at6native12_GLOBAL__N_18offset_tEEE10hipError_tPvRmT1_PNSt15iterator_traitsIS12_E10value_typeET2_T3_PNS13_IS18_E10value_typeET4_jRbjT5_S1E_jjP12ihipStream_tbEUljE_ZNSN_ISO_Lb0ESQ_SR_ST_SU_SY_EESZ_S10_S11_S12_S16_S17_S18_S1B_S1C_jS1D_jS1E_S1E_jjS1G_bEUljE0_EEESZ_S10_S11_S18_S1C_S1E_T6_T7_T9_mT8_S1G_bDpT10_ENKUlT_T0_E_clISt17integral_constantIbLb0EES1T_IbLb1EEEEDaS1P_S1Q_EUlS1P_E_NS1_11comp_targetILNS1_3genE8ELNS1_11target_archE1030ELNS1_3gpuE2ELNS1_3repE0EEENS1_30default_config_static_selectorELNS0_4arch9wavefront6targetE0EEEvS12_.has_dyn_sized_stack, 0
	.set _ZN7rocprim17ROCPRIM_400000_NS6detail17trampoline_kernelINS0_13select_configILj256ELj13ELNS0_17block_load_methodE3ELS4_3ELS4_3ELNS0_20block_scan_algorithmE0ELj4294967295EEENS1_25partition_config_selectorILNS1_17partition_subalgoE4EjNS0_10empty_typeEbEEZZNS1_14partition_implILS8_4ELb0ES6_15HIP_vector_typeIjLj2EENS0_17counting_iteratorIjlEEPS9_SG_NS0_5tupleIJPjSI_NS0_16reverse_iteratorISI_EEEEENSH_IJSG_SG_SG_EEES9_SI_JZNS1_25segmented_radix_sort_implINS0_14default_configELb0EPKdPdPKlPlN2at6native12_GLOBAL__N_18offset_tEEE10hipError_tPvRmT1_PNSt15iterator_traitsIS12_E10value_typeET2_T3_PNS13_IS18_E10value_typeET4_jRbjT5_S1E_jjP12ihipStream_tbEUljE_ZNSN_ISO_Lb0ESQ_SR_ST_SU_SY_EESZ_S10_S11_S12_S16_S17_S18_S1B_S1C_jS1D_jS1E_S1E_jjS1G_bEUljE0_EEESZ_S10_S11_S18_S1C_S1E_T6_T7_T9_mT8_S1G_bDpT10_ENKUlT_T0_E_clISt17integral_constantIbLb0EES1T_IbLb1EEEEDaS1P_S1Q_EUlS1P_E_NS1_11comp_targetILNS1_3genE8ELNS1_11target_archE1030ELNS1_3gpuE2ELNS1_3repE0EEENS1_30default_config_static_selectorELNS0_4arch9wavefront6targetE0EEEvS12_.has_recursion, 0
	.set _ZN7rocprim17ROCPRIM_400000_NS6detail17trampoline_kernelINS0_13select_configILj256ELj13ELNS0_17block_load_methodE3ELS4_3ELS4_3ELNS0_20block_scan_algorithmE0ELj4294967295EEENS1_25partition_config_selectorILNS1_17partition_subalgoE4EjNS0_10empty_typeEbEEZZNS1_14partition_implILS8_4ELb0ES6_15HIP_vector_typeIjLj2EENS0_17counting_iteratorIjlEEPS9_SG_NS0_5tupleIJPjSI_NS0_16reverse_iteratorISI_EEEEENSH_IJSG_SG_SG_EEES9_SI_JZNS1_25segmented_radix_sort_implINS0_14default_configELb0EPKdPdPKlPlN2at6native12_GLOBAL__N_18offset_tEEE10hipError_tPvRmT1_PNSt15iterator_traitsIS12_E10value_typeET2_T3_PNS13_IS18_E10value_typeET4_jRbjT5_S1E_jjP12ihipStream_tbEUljE_ZNSN_ISO_Lb0ESQ_SR_ST_SU_SY_EESZ_S10_S11_S12_S16_S17_S18_S1B_S1C_jS1D_jS1E_S1E_jjS1G_bEUljE0_EEESZ_S10_S11_S18_S1C_S1E_T6_T7_T9_mT8_S1G_bDpT10_ENKUlT_T0_E_clISt17integral_constantIbLb0EES1T_IbLb1EEEEDaS1P_S1Q_EUlS1P_E_NS1_11comp_targetILNS1_3genE8ELNS1_11target_archE1030ELNS1_3gpuE2ELNS1_3repE0EEENS1_30default_config_static_selectorELNS0_4arch9wavefront6targetE0EEEvS12_.has_indirect_call, 0
	.section	.AMDGPU.csdata,"",@progbits
; Kernel info:
; codeLenInByte = 0
; TotalNumSgprs: 0
; NumVgprs: 0
; ScratchSize: 0
; MemoryBound: 0
; FloatMode: 240
; IeeeMode: 1
; LDSByteSize: 0 bytes/workgroup (compile time only)
; SGPRBlocks: 0
; VGPRBlocks: 0
; NumSGPRsForWavesPerEU: 1
; NumVGPRsForWavesPerEU: 1
; NamedBarCnt: 0
; Occupancy: 16
; WaveLimiterHint : 0
; COMPUTE_PGM_RSRC2:SCRATCH_EN: 0
; COMPUTE_PGM_RSRC2:USER_SGPR: 2
; COMPUTE_PGM_RSRC2:TRAP_HANDLER: 0
; COMPUTE_PGM_RSRC2:TGID_X_EN: 1
; COMPUTE_PGM_RSRC2:TGID_Y_EN: 0
; COMPUTE_PGM_RSRC2:TGID_Z_EN: 0
; COMPUTE_PGM_RSRC2:TIDIG_COMP_CNT: 0
	.section	.text._ZN7rocprim17ROCPRIM_400000_NS6detail17trampoline_kernelINS0_13select_configILj256ELj13ELNS0_17block_load_methodE3ELS4_3ELS4_3ELNS0_20block_scan_algorithmE0ELj4294967295EEENS1_25partition_config_selectorILNS1_17partition_subalgoE3EjNS0_10empty_typeEbEEZZNS1_14partition_implILS8_3ELb0ES6_jNS0_17counting_iteratorIjlEEPS9_SE_NS0_5tupleIJPjSE_EEENSF_IJSE_SE_EEES9_SG_JZNS1_25segmented_radix_sort_implINS0_14default_configELb0EPKdPdPKlPlN2at6native12_GLOBAL__N_18offset_tEEE10hipError_tPvRmT1_PNSt15iterator_traitsISY_E10value_typeET2_T3_PNSZ_IS14_E10value_typeET4_jRbjT5_S1A_jjP12ihipStream_tbEUljE_EEESV_SW_SX_S14_S18_S1A_T6_T7_T9_mT8_S1C_bDpT10_ENKUlT_T0_E_clISt17integral_constantIbLb0EES1P_EEDaS1K_S1L_EUlS1K_E_NS1_11comp_targetILNS1_3genE0ELNS1_11target_archE4294967295ELNS1_3gpuE0ELNS1_3repE0EEENS1_30default_config_static_selectorELNS0_4arch9wavefront6targetE0EEEvSY_,"axG",@progbits,_ZN7rocprim17ROCPRIM_400000_NS6detail17trampoline_kernelINS0_13select_configILj256ELj13ELNS0_17block_load_methodE3ELS4_3ELS4_3ELNS0_20block_scan_algorithmE0ELj4294967295EEENS1_25partition_config_selectorILNS1_17partition_subalgoE3EjNS0_10empty_typeEbEEZZNS1_14partition_implILS8_3ELb0ES6_jNS0_17counting_iteratorIjlEEPS9_SE_NS0_5tupleIJPjSE_EEENSF_IJSE_SE_EEES9_SG_JZNS1_25segmented_radix_sort_implINS0_14default_configELb0EPKdPdPKlPlN2at6native12_GLOBAL__N_18offset_tEEE10hipError_tPvRmT1_PNSt15iterator_traitsISY_E10value_typeET2_T3_PNSZ_IS14_E10value_typeET4_jRbjT5_S1A_jjP12ihipStream_tbEUljE_EEESV_SW_SX_S14_S18_S1A_T6_T7_T9_mT8_S1C_bDpT10_ENKUlT_T0_E_clISt17integral_constantIbLb0EES1P_EEDaS1K_S1L_EUlS1K_E_NS1_11comp_targetILNS1_3genE0ELNS1_11target_archE4294967295ELNS1_3gpuE0ELNS1_3repE0EEENS1_30default_config_static_selectorELNS0_4arch9wavefront6targetE0EEEvSY_,comdat
	.globl	_ZN7rocprim17ROCPRIM_400000_NS6detail17trampoline_kernelINS0_13select_configILj256ELj13ELNS0_17block_load_methodE3ELS4_3ELS4_3ELNS0_20block_scan_algorithmE0ELj4294967295EEENS1_25partition_config_selectorILNS1_17partition_subalgoE3EjNS0_10empty_typeEbEEZZNS1_14partition_implILS8_3ELb0ES6_jNS0_17counting_iteratorIjlEEPS9_SE_NS0_5tupleIJPjSE_EEENSF_IJSE_SE_EEES9_SG_JZNS1_25segmented_radix_sort_implINS0_14default_configELb0EPKdPdPKlPlN2at6native12_GLOBAL__N_18offset_tEEE10hipError_tPvRmT1_PNSt15iterator_traitsISY_E10value_typeET2_T3_PNSZ_IS14_E10value_typeET4_jRbjT5_S1A_jjP12ihipStream_tbEUljE_EEESV_SW_SX_S14_S18_S1A_T6_T7_T9_mT8_S1C_bDpT10_ENKUlT_T0_E_clISt17integral_constantIbLb0EES1P_EEDaS1K_S1L_EUlS1K_E_NS1_11comp_targetILNS1_3genE0ELNS1_11target_archE4294967295ELNS1_3gpuE0ELNS1_3repE0EEENS1_30default_config_static_selectorELNS0_4arch9wavefront6targetE0EEEvSY_ ; -- Begin function _ZN7rocprim17ROCPRIM_400000_NS6detail17trampoline_kernelINS0_13select_configILj256ELj13ELNS0_17block_load_methodE3ELS4_3ELS4_3ELNS0_20block_scan_algorithmE0ELj4294967295EEENS1_25partition_config_selectorILNS1_17partition_subalgoE3EjNS0_10empty_typeEbEEZZNS1_14partition_implILS8_3ELb0ES6_jNS0_17counting_iteratorIjlEEPS9_SE_NS0_5tupleIJPjSE_EEENSF_IJSE_SE_EEES9_SG_JZNS1_25segmented_radix_sort_implINS0_14default_configELb0EPKdPdPKlPlN2at6native12_GLOBAL__N_18offset_tEEE10hipError_tPvRmT1_PNSt15iterator_traitsISY_E10value_typeET2_T3_PNSZ_IS14_E10value_typeET4_jRbjT5_S1A_jjP12ihipStream_tbEUljE_EEESV_SW_SX_S14_S18_S1A_T6_T7_T9_mT8_S1C_bDpT10_ENKUlT_T0_E_clISt17integral_constantIbLb0EES1P_EEDaS1K_S1L_EUlS1K_E_NS1_11comp_targetILNS1_3genE0ELNS1_11target_archE4294967295ELNS1_3gpuE0ELNS1_3repE0EEENS1_30default_config_static_selectorELNS0_4arch9wavefront6targetE0EEEvSY_
	.p2align	8
	.type	_ZN7rocprim17ROCPRIM_400000_NS6detail17trampoline_kernelINS0_13select_configILj256ELj13ELNS0_17block_load_methodE3ELS4_3ELS4_3ELNS0_20block_scan_algorithmE0ELj4294967295EEENS1_25partition_config_selectorILNS1_17partition_subalgoE3EjNS0_10empty_typeEbEEZZNS1_14partition_implILS8_3ELb0ES6_jNS0_17counting_iteratorIjlEEPS9_SE_NS0_5tupleIJPjSE_EEENSF_IJSE_SE_EEES9_SG_JZNS1_25segmented_radix_sort_implINS0_14default_configELb0EPKdPdPKlPlN2at6native12_GLOBAL__N_18offset_tEEE10hipError_tPvRmT1_PNSt15iterator_traitsISY_E10value_typeET2_T3_PNSZ_IS14_E10value_typeET4_jRbjT5_S1A_jjP12ihipStream_tbEUljE_EEESV_SW_SX_S14_S18_S1A_T6_T7_T9_mT8_S1C_bDpT10_ENKUlT_T0_E_clISt17integral_constantIbLb0EES1P_EEDaS1K_S1L_EUlS1K_E_NS1_11comp_targetILNS1_3genE0ELNS1_11target_archE4294967295ELNS1_3gpuE0ELNS1_3repE0EEENS1_30default_config_static_selectorELNS0_4arch9wavefront6targetE0EEEvSY_,@function
_ZN7rocprim17ROCPRIM_400000_NS6detail17trampoline_kernelINS0_13select_configILj256ELj13ELNS0_17block_load_methodE3ELS4_3ELS4_3ELNS0_20block_scan_algorithmE0ELj4294967295EEENS1_25partition_config_selectorILNS1_17partition_subalgoE3EjNS0_10empty_typeEbEEZZNS1_14partition_implILS8_3ELb0ES6_jNS0_17counting_iteratorIjlEEPS9_SE_NS0_5tupleIJPjSE_EEENSF_IJSE_SE_EEES9_SG_JZNS1_25segmented_radix_sort_implINS0_14default_configELb0EPKdPdPKlPlN2at6native12_GLOBAL__N_18offset_tEEE10hipError_tPvRmT1_PNSt15iterator_traitsISY_E10value_typeET2_T3_PNSZ_IS14_E10value_typeET4_jRbjT5_S1A_jjP12ihipStream_tbEUljE_EEESV_SW_SX_S14_S18_S1A_T6_T7_T9_mT8_S1C_bDpT10_ENKUlT_T0_E_clISt17integral_constantIbLb0EES1P_EEDaS1K_S1L_EUlS1K_E_NS1_11comp_targetILNS1_3genE0ELNS1_11target_archE4294967295ELNS1_3gpuE0ELNS1_3repE0EEENS1_30default_config_static_selectorELNS0_4arch9wavefront6targetE0EEEvSY_: ; @_ZN7rocprim17ROCPRIM_400000_NS6detail17trampoline_kernelINS0_13select_configILj256ELj13ELNS0_17block_load_methodE3ELS4_3ELS4_3ELNS0_20block_scan_algorithmE0ELj4294967295EEENS1_25partition_config_selectorILNS1_17partition_subalgoE3EjNS0_10empty_typeEbEEZZNS1_14partition_implILS8_3ELb0ES6_jNS0_17counting_iteratorIjlEEPS9_SE_NS0_5tupleIJPjSE_EEENSF_IJSE_SE_EEES9_SG_JZNS1_25segmented_radix_sort_implINS0_14default_configELb0EPKdPdPKlPlN2at6native12_GLOBAL__N_18offset_tEEE10hipError_tPvRmT1_PNSt15iterator_traitsISY_E10value_typeET2_T3_PNSZ_IS14_E10value_typeET4_jRbjT5_S1A_jjP12ihipStream_tbEUljE_EEESV_SW_SX_S14_S18_S1A_T6_T7_T9_mT8_S1C_bDpT10_ENKUlT_T0_E_clISt17integral_constantIbLb0EES1P_EEDaS1K_S1L_EUlS1K_E_NS1_11comp_targetILNS1_3genE0ELNS1_11target_archE4294967295ELNS1_3gpuE0ELNS1_3repE0EEENS1_30default_config_static_selectorELNS0_4arch9wavefront6targetE0EEEvSY_
; %bb.0:
	s_clause 0x4
	s_load_b128 s[8:11], s[0:1], 0x48
	s_load_b32 s2, s[0:1], 0x70
	s_load_b64 s[12:13], s[0:1], 0x10
	s_load_b64 s[14:15], s[0:1], 0x58
	s_load_b32 s20, s[0:1], 0x8
	s_bfe_u32 s3, ttmp6, 0x4000c
	s_and_b32 s4, ttmp6, 15
	s_add_co_i32 s3, s3, 1
	s_getreg_b32 s5, hwreg(HW_REG_IB_STS2, 6, 4)
	s_mul_i32 s3, ttmp9, s3
	s_mov_b32 s17, 0
	s_add_co_i32 s16, s4, s3
	s_cmp_eq_u32 s5, 0
	s_clause 0x1
	s_load_b32 s3, s[0:1], 0x88
	s_load_b128 s[4:7], s[0:1], 0x78
	s_cselect_b32 s24, ttmp9, s16
	v_lshlrev_b32_e32 v19, 2, v0
	s_wait_kmcnt 0x0
	s_load_b64 s[18:19], s[10:11], 0x0
	s_mul_i32 s16, s2, 0xd00
	s_add_co_i32 s2, s2, -1
	s_add_co_i32 s21, s16, s12
	s_wait_xcnt 0x0
	s_add_nc_u64 s[10:11], s[12:13], s[16:17]
	s_sub_co_i32 s23, s14, s21
	v_cmp_gt_u64_e64 s11, s[14:15], s[10:11]
	s_addk_co_i32 s23, 0xd00
	s_cmp_eq_u32 s24, s2
	s_mul_i32 s10, s24, 0xd00
	s_cselect_b32 s22, -1, 0
	s_cmp_lg_u32 s24, s2
	s_mov_b32 s17, -1
	s_cselect_b32 s2, -1, 0
	s_add_co_i32 s16, s20, s10
	s_or_b32 s11, s2, s11
	s_add_co_i32 s16, s16, s12
	s_and_b32 vcc_lo, exec_lo, s11
	v_add_nc_u32_e32 v1, s16, v0
	s_cbranch_vccz .LBB1183_2
; %bb.1:
	s_delay_alu instid0(VALU_DEP_1)
	v_add_nc_u32_e32 v2, 0x100, v1
	v_add_nc_u32_e32 v3, 0x200, v1
	;; [unrolled: 1-line block ×12, first 2 shown]
	ds_store_2addr_stride64_b32 v19, v1, v2 offset1:4
	ds_store_2addr_stride64_b32 v19, v3, v4 offset0:8 offset1:12
	ds_store_2addr_stride64_b32 v19, v5, v6 offset0:16 offset1:20
	;; [unrolled: 1-line block ×5, first 2 shown]
	ds_store_b32 v19, v13 offset:12288
	s_wait_dscnt 0x0
	s_barrier_signal -1
	s_mov_b32 s17, 0
	s_barrier_wait -1
.LBB1183_2:
	v_cmp_gt_u32_e64 s2, s23, v0
	v_or_b32_e32 v40, 0x100, v0
	v_or_b32_e32 v38, 0x200, v0
	v_or_b32_e32 v36, 0x300, v0
	v_or_b32_e32 v34, 0x400, v0
	v_or_b32_e32 v32, 0x500, v0
	v_or_b32_e32 v30, 0x600, v0
	v_or_b32_e32 v28, 0x700, v0
	v_or_b32_e32 v26, 0x800, v0
	v_or_b32_e32 v24, 0x900, v0
	v_or_b32_e32 v22, 0xa00, v0
	v_or_b32_e32 v20, 0xb00, v0
	v_or_b32_e32 v18, 0xc00, v0
	s_and_not1_b32 vcc_lo, exec_lo, s17
	s_cbranch_vccnz .LBB1183_4
; %bb.3:
	v_dual_add_nc_u32 v2, s16, v40 :: v_dual_cndmask_b32 v1, 0, v1, s2
	v_cmp_gt_u32_e32 vcc_lo, s23, v40
	v_dual_add_nc_u32 v3, s16, v38 :: v_dual_add_nc_u32 v4, s16, v36
	v_dual_add_nc_u32 v7, s16, v30 :: v_dual_add_nc_u32 v8, s16, v28
	s_delay_alu instid0(VALU_DEP_4)
	v_cndmask_b32_e32 v2, 0, v2, vcc_lo
	v_cmp_gt_u32_e32 vcc_lo, s23, v38
	v_dual_add_nc_u32 v11, s16, v22 :: v_dual_add_nc_u32 v12, s16, v20
	v_cndmask_b32_e32 v3, 0, v3, vcc_lo
	v_cmp_gt_u32_e32 vcc_lo, s23, v36
	v_dual_cndmask_b32 v4, 0, v4 :: v_dual_add_nc_u32 v5, s16, v34
	v_cmp_gt_u32_e32 vcc_lo, s23, v34
	s_delay_alu instid0(VALU_DEP_2) | instskip(SKIP_1) | instid1(VALU_DEP_2)
	v_dual_cndmask_b32 v5, 0, v5 :: v_dual_add_nc_u32 v6, s16, v32
	v_cmp_gt_u32_e32 vcc_lo, s23, v32
	v_cndmask_b32_e32 v6, 0, v6, vcc_lo
	v_cmp_gt_u32_e32 vcc_lo, s23, v30
	v_cndmask_b32_e32 v7, 0, v7, vcc_lo
	v_cmp_gt_u32_e32 vcc_lo, s23, v28
	v_dual_cndmask_b32 v8, 0, v8 :: v_dual_add_nc_u32 v9, s16, v26
	v_cmp_gt_u32_e32 vcc_lo, s23, v26
	s_delay_alu instid0(VALU_DEP_2) | instskip(SKIP_1) | instid1(VALU_DEP_2)
	v_dual_cndmask_b32 v9, 0, v9 :: v_dual_add_nc_u32 v10, s16, v24
	v_cmp_gt_u32_e32 vcc_lo, s23, v24
	v_cndmask_b32_e32 v10, 0, v10, vcc_lo
	v_cmp_gt_u32_e32 vcc_lo, s23, v22
	v_cndmask_b32_e32 v11, 0, v11, vcc_lo
	v_cmp_gt_u32_e32 vcc_lo, s23, v20
	v_dual_cndmask_b32 v12, 0, v12 :: v_dual_add_nc_u32 v13, s16, v18
	v_cmp_gt_u32_e32 vcc_lo, s23, v18
	s_delay_alu instid0(VALU_DEP_2)
	v_cndmask_b32_e32 v13, 0, v13, vcc_lo
	ds_store_2addr_stride64_b32 v19, v1, v2 offset1:4
	ds_store_2addr_stride64_b32 v19, v3, v4 offset0:8 offset1:12
	ds_store_2addr_stride64_b32 v19, v5, v6 offset0:16 offset1:20
	;; [unrolled: 1-line block ×5, first 2 shown]
	ds_store_b32 v19, v13 offset:12288
	s_wait_dscnt 0x0
	s_barrier_signal -1
	s_barrier_wait -1
.LBB1183_4:
	v_mul_u32_u24_e32 v23, 13, v0
	v_cndmask_b32_e64 v21, 0, 1, s11
	s_and_not1_b32 vcc_lo, exec_lo, s11
	s_delay_alu instid0(VALU_DEP_2)
	v_lshlrev_b32_e32 v2, 2, v23
	ds_load_2addr_b32 v[50:51], v2 offset0:2 offset1:3
	ds_load_2addr_b32 v[46:47], v2 offset0:6 offset1:7
	;; [unrolled: 1-line block ×3, first 2 shown]
	ds_load_2addr_b32 v[52:53], v2 offset1:1
	ds_load_2addr_b32 v[42:43], v2 offset0:10 offset1:11
	ds_load_b32 v1, v2 offset:48
	ds_load_2addr_b32 v[44:45], v2 offset0:8 offset1:9
	s_wait_dscnt 0x0
	s_barrier_signal -1
	s_barrier_wait -1
	s_cbranch_vccnz .LBB1183_6
; %bb.5:
	v_dual_add_nc_u32 v2, s5, v51 :: v_dual_add_nc_u32 v3, s5, v53
	v_dual_add_nc_u32 v4, s5, v52 :: v_dual_add_nc_u32 v5, s5, v50
	;; [unrolled: 1-line block ×4, first 2 shown]
	s_delay_alu instid0(VALU_DEP_3) | instskip(NEXT) | instid1(VALU_DEP_4)
	v_mul_lo_u32 v5, v5, s4
	v_mul_lo_u32 v4, v4, s4
	;; [unrolled: 1-line block ×8, first 2 shown]
	v_dual_add_nc_u32 v10, s5, v48 :: v_dual_add_nc_u32 v11, s7, v48
	v_dual_add_nc_u32 v14, s7, v43 :: v_dual_add_nc_u32 v15, s5, v42
	;; [unrolled: 1-line block ×3, first 2 shown]
	s_delay_alu instid0(VALU_DEP_3)
	v_mul_lo_u32 v10, v10, s4
	v_dual_sub_nc_u32 v2, v2, v6 :: v_dual_sub_nc_u32 v3, v3, v7
	v_dual_sub_nc_u32 v4, v4, v8 :: v_dual_sub_nc_u32 v5, v5, v9
	v_dual_add_nc_u32 v6, s5, v49 :: v_dual_add_nc_u32 v7, s7, v49
	v_dual_add_nc_u32 v8, s5, v47 :: v_dual_add_nc_u32 v9, s7, v47
	v_mul_lo_u32 v11, v11, s6
	s_delay_alu instid0(VALU_DEP_3) | instskip(NEXT) | instid1(VALU_DEP_4)
	v_mul_lo_u32 v6, v6, s4
	v_mul_lo_u32 v7, v7, s6
	s_delay_alu instid0(VALU_DEP_4)
	v_mul_lo_u32 v8, v8, s4
	v_mul_lo_u32 v9, v9, s6
	v_cmp_lt_u32_e32 vcc_lo, s3, v2
	v_dual_add_nc_u32 v12, s5, v46 :: v_dual_add_nc_u32 v13, s5, v44
	v_mul_lo_u32 v14, v14, s6
	v_mul_lo_u32 v16, v16, s6
	v_cndmask_b32_e64 v2, 0, 1, vcc_lo
	v_cmp_lt_u32_e32 vcc_lo, s3, v3
	v_mul_lo_u32 v13, v13, s4
	v_dual_sub_nc_u32 v6, v6, v7 :: v_dual_add_nc_u32 v7, s7, v46
	v_dual_sub_nc_u32 v8, v8, v9 :: v_dual_sub_nc_u32 v9, v10, v11
	v_dual_add_nc_u32 v11, s5, v45 :: v_dual_add_nc_u32 v10, s5, v43
	v_cndmask_b32_e64 v3, 0, 1, vcc_lo
	s_delay_alu instid0(VALU_DEP_4)
	v_cmp_lt_u32_e32 vcc_lo, s3, v6
	v_mul_lo_u32 v12, v12, s4
	v_mul_lo_u32 v7, v7, s6
	;; [unrolled: 1-line block ×4, first 2 shown]
	v_cndmask_b32_e64 v6, 0, 1, vcc_lo
	v_cmp_lt_u32_e32 vcc_lo, s3, v8
	v_lshlrev_b16 v3, 8, v3
	v_add_nc_u32_e32 v25, s7, v42
	v_mul_lo_u32 v17, v17, s6
	v_lshlrev_b16 v6, 8, v6
	v_cndmask_b32_e64 v8, 0, 1, vcc_lo
	v_cmp_lt_u32_e32 vcc_lo, s3, v4
	v_dual_sub_nc_u32 v7, v12, v7 :: v_dual_sub_nc_u32 v10, v10, v14
	v_mul_lo_u32 v12, v15, s4
	v_mul_lo_u32 v15, v25, s6
	v_dual_add_nc_u32 v25, s7, v1 :: v_dual_lshrrev_b32 v3, 8, v3
	v_sub_nc_u32_e32 v11, v11, v16
	v_cndmask_b32_e64 v4, 0, 1, vcc_lo
	v_cmp_lt_u32_e32 vcc_lo, s3, v10
	v_dual_lshrrev_b32 v6, 8, v6 :: v_dual_add_nc_u32 v14, s5, v1
	v_mul_lo_u32 v16, v25, s6
	v_lshlrev_b16 v2, 8, v2
	v_cndmask_b32_e64 v10, 0, 1, vcc_lo
	v_cmp_lt_u32_e32 vcc_lo, s3, v11
	v_mul_lo_u32 v14, v14, s4
	v_dual_sub_nc_u32 v13, v13, v17 :: v_dual_sub_nc_u32 v12, v12, v15
	v_lshlrev_b16 v3, 8, v3
	v_cndmask_b32_e64 v11, 0, 1, vcc_lo
	v_cmp_lt_u32_e32 vcc_lo, s3, v5
	v_lshrrev_b32_e32 v2, 8, v2
	v_lshlrev_b16 v8, 8, v8
	v_or_b32_e32 v3, v4, v3
	v_lshlrev_b16 v4, 8, v10
	v_cndmask_b32_e64 v5, 0, 1, vcc_lo
	v_cmp_lt_u32_e32 vcc_lo, s3, v9
	v_lshlrev_b16 v10, 8, v11
	v_sub_nc_u32_e32 v11, v14, v16
	v_lshlrev_b16 v2, 8, v2
	v_lshrrev_b32_e32 v4, 8, v4
	v_cndmask_b32_e64 v9, 0, 1, vcc_lo
	v_cmp_lt_u32_e32 vcc_lo, s3, v7
	v_lshrrev_b32_e32 v10, 8, v10
	v_lshlrev_b16 v6, 8, v6
	v_or_b32_e32 v2, v5, v2
	v_lshlrev_b16 v4, 8, v4
	v_cndmask_b32_e64 v7, 0, 1, vcc_lo
	v_cmp_lt_u32_e32 vcc_lo, s3, v13
	v_lshlrev_b16 v10, 8, v10
	v_or_b32_e32 v5, v9, v6
	v_and_b32_e32 v3, 0xffff, v3
	v_dual_lshlrev_b32 v2, 16, v2 :: v_dual_bitop2_b32 v6, v7, v8 bitop3:0x54
	v_cndmask_b32_e64 v13, 0, 1, vcc_lo
	v_cmp_lt_u32_e32 vcc_lo, s3, v12
	s_delay_alu instid0(VALU_DEP_3) | instskip(SKIP_4) | instid1(VALU_DEP_4)
	v_lshlrev_b32_e32 v6, 16, v6
	v_and_b32_e32 v5, 0xffff, v5
	v_or_b32_e32 v35, v3, v2
	v_cndmask_b32_e64 v12, 0, 1, vcc_lo
	v_cmp_lt_u32_e32 vcc_lo, s3, v11
	v_or_b32_e32 v31, v5, v6
	s_delay_alu instid0(VALU_DEP_3) | instskip(SKIP_2) | instid1(VALU_DEP_3)
	v_or_b32_e32 v4, v12, v4
	v_or_b32_e32 v7, v13, v10
	v_cndmask_b32_e64 v25, 0, 1, vcc_lo
	v_lshlrev_b32_e32 v4, 16, v4
	s_delay_alu instid0(VALU_DEP_3) | instskip(NEXT) | instid1(VALU_DEP_1)
	v_and_b32_e32 v7, 0xffff, v7
	v_or_b32_e32 v27, v7, v4
	s_load_b64 s[20:21], s[0:1], 0x68
	s_cbranch_execz .LBB1183_7
	s_branch .LBB1183_34
.LBB1183_6:
                                        ; implicit-def: $vgpr25
                                        ; implicit-def: $vgpr27
                                        ; implicit-def: $vgpr31
                                        ; implicit-def: $vgpr35
	s_load_b64 s[20:21], s[0:1], 0x68
.LBB1183_7:
	v_dual_mov_b32 v3, 0 :: v_dual_mov_b32 v2, 0
	s_mov_b32 s2, exec_lo
	v_cmpx_gt_u32_e64 s23, v23
	s_cbranch_execz .LBB1183_9
; %bb.8:
	v_dual_add_nc_u32 v2, s5, v52 :: v_dual_add_nc_u32 v4, s7, v52
	s_delay_alu instid0(VALU_DEP_1) | instskip(NEXT) | instid1(VALU_DEP_2)
	v_mul_lo_u32 v2, v2, s4
	v_mul_lo_u32 v4, v4, s6
	s_delay_alu instid0(VALU_DEP_1) | instskip(NEXT) | instid1(VALU_DEP_1)
	v_sub_nc_u32_e32 v2, v2, v4
	v_cmp_lt_u32_e32 vcc_lo, s3, v2
	v_cndmask_b32_e64 v2, 0, 1, vcc_lo
.LBB1183_9:
	s_or_b32 exec_lo, exec_lo, s2
	v_add_nc_u32_e32 v4, 1, v23
	s_mov_b32 s2, exec_lo
	s_delay_alu instid0(VALU_DEP_1)
	v_cmpx_gt_u32_e64 s23, v4
	s_cbranch_execz .LBB1183_11
; %bb.10:
	v_dual_add_nc_u32 v3, s5, v53 :: v_dual_add_nc_u32 v4, s7, v53
	s_delay_alu instid0(VALU_DEP_1) | instskip(NEXT) | instid1(VALU_DEP_2)
	v_mul_lo_u32 v3, v3, s4
	v_mul_lo_u32 v4, v4, s6
	s_delay_alu instid0(VALU_DEP_1) | instskip(NEXT) | instid1(VALU_DEP_1)
	v_sub_nc_u32_e32 v3, v3, v4
	v_cmp_lt_u32_e32 vcc_lo, s3, v3
	v_cndmask_b32_e64 v3, 0, 1, vcc_lo
.LBB1183_11:
	s_or_b32 exec_lo, exec_lo, s2
	v_dual_mov_b32 v5, 0 :: v_dual_add_nc_u32 v4, 2, v23
	s_delay_alu instid0(VALU_DEP_1)
	v_cmp_gt_u32_e32 vcc_lo, s23, v4
	v_mov_b32_e32 v4, 0
	s_and_saveexec_b32 s2, vcc_lo
	s_cbranch_execz .LBB1183_13
; %bb.12:
	v_dual_add_nc_u32 v4, s5, v50 :: v_dual_add_nc_u32 v6, s7, v50
	s_delay_alu instid0(VALU_DEP_1) | instskip(NEXT) | instid1(VALU_DEP_2)
	v_mul_lo_u32 v4, v4, s4
	v_mul_lo_u32 v6, v6, s6
	s_delay_alu instid0(VALU_DEP_1) | instskip(NEXT) | instid1(VALU_DEP_1)
	v_sub_nc_u32_e32 v4, v4, v6
	v_cmp_lt_u32_e32 vcc_lo, s3, v4
	v_cndmask_b32_e64 v4, 0, 1, vcc_lo
.LBB1183_13:
	s_or_b32 exec_lo, exec_lo, s2
	v_add_nc_u32_e32 v6, 3, v23
	s_mov_b32 s2, exec_lo
	s_delay_alu instid0(VALU_DEP_1)
	v_cmpx_gt_u32_e64 s23, v6
	s_cbranch_execz .LBB1183_15
; %bb.14:
	v_dual_add_nc_u32 v5, s5, v51 :: v_dual_add_nc_u32 v6, s7, v51
	s_delay_alu instid0(VALU_DEP_1) | instskip(NEXT) | instid1(VALU_DEP_2)
	v_mul_lo_u32 v5, v5, s4
	v_mul_lo_u32 v6, v6, s6
	s_delay_alu instid0(VALU_DEP_1) | instskip(NEXT) | instid1(VALU_DEP_1)
	v_sub_nc_u32_e32 v5, v5, v6
	v_cmp_lt_u32_e32 vcc_lo, s3, v5
	v_cndmask_b32_e64 v5, 0, 1, vcc_lo
.LBB1183_15:
	s_or_b32 exec_lo, exec_lo, s2
	v_dual_mov_b32 v7, 0 :: v_dual_add_nc_u32 v6, 4, v23
	s_delay_alu instid0(VALU_DEP_1)
	v_cmp_gt_u32_e32 vcc_lo, s23, v6
	v_mov_b32_e32 v6, 0
	s_and_saveexec_b32 s2, vcc_lo
	;; [unrolled: 33-line block ×5, first 2 shown]
	s_cbranch_execz .LBB1183_29
; %bb.28:
	v_dual_add_nc_u32 v12, s5, v42 :: v_dual_add_nc_u32 v14, s7, v42
	s_delay_alu instid0(VALU_DEP_1) | instskip(NEXT) | instid1(VALU_DEP_2)
	v_mul_lo_u32 v12, v12, s4
	v_mul_lo_u32 v14, v14, s6
	s_delay_alu instid0(VALU_DEP_1) | instskip(NEXT) | instid1(VALU_DEP_1)
	v_sub_nc_u32_e32 v12, v12, v14
	v_cmp_lt_u32_e32 vcc_lo, s3, v12
	v_cndmask_b32_e64 v12, 0, 1, vcc_lo
.LBB1183_29:
	s_or_b32 exec_lo, exec_lo, s2
	v_add_nc_u32_e32 v14, 11, v23
	s_mov_b32 s2, exec_lo
	s_delay_alu instid0(VALU_DEP_1)
	v_cmpx_gt_u32_e64 s23, v14
	s_cbranch_execz .LBB1183_31
; %bb.30:
	v_dual_add_nc_u32 v13, s5, v43 :: v_dual_add_nc_u32 v14, s7, v43
	s_delay_alu instid0(VALU_DEP_1) | instskip(NEXT) | instid1(VALU_DEP_2)
	v_mul_lo_u32 v13, v13, s4
	v_mul_lo_u32 v14, v14, s6
	s_delay_alu instid0(VALU_DEP_1) | instskip(NEXT) | instid1(VALU_DEP_1)
	v_sub_nc_u32_e32 v13, v13, v14
	v_cmp_lt_u32_e32 vcc_lo, s3, v13
	v_cndmask_b32_e64 v13, 0, 1, vcc_lo
.LBB1183_31:
	s_or_b32 exec_lo, exec_lo, s2
	v_dual_mov_b32 v25, 0 :: v_dual_add_nc_u32 v14, 12, v23
	s_mov_b32 s2, exec_lo
	s_delay_alu instid0(VALU_DEP_1)
	v_cmpx_gt_u32_e64 s23, v14
	s_cbranch_execz .LBB1183_33
; %bb.32:
	v_dual_add_nc_u32 v14, s7, v1 :: v_dual_add_nc_u32 v15, s5, v1
	s_delay_alu instid0(VALU_DEP_1) | instskip(NEXT) | instid1(VALU_DEP_2)
	v_mul_lo_u32 v14, v14, s6
	v_mul_lo_u32 v15, v15, s4
	s_delay_alu instid0(VALU_DEP_1) | instskip(NEXT) | instid1(VALU_DEP_1)
	v_sub_nc_u32_e32 v14, v15, v14
	v_cmp_lt_u32_e32 vcc_lo, s3, v14
	v_cndmask_b32_e64 v25, 0, 1, vcc_lo
.LBB1183_33:
	s_or_b32 exec_lo, exec_lo, s2
	v_lshlrev_b16 v5, 8, v5
	v_lshlrev_b16 v7, 8, v7
	;; [unrolled: 1-line block ×5, first 2 shown]
	v_or_b32_e32 v4, v4, v5
	v_or_b32_e32 v5, v6, v7
	;; [unrolled: 1-line block ×3, first 2 shown]
	s_delay_alu instid0(VALU_DEP_4) | instskip(NEXT) | instid1(VALU_DEP_3)
	v_or_b32_e32 v7, v10, v11
	v_and_b32_e32 v5, 0xffff, v5
	s_delay_alu instid0(VALU_DEP_3) | instskip(SKIP_3) | instid1(VALU_DEP_4)
	v_dual_lshlrev_b32 v6, 16, v6 :: v_dual_bitop2_b32 v2, v2, v3 bitop3:0x54
	v_lshlrev_b32_e32 v4, 16, v4
	v_lshlrev_b16 v3, 8, v13
	v_and_b32_e32 v7, 0xffff, v7
	v_or_b32_e32 v31, v5, v6
	v_and_b32_e32 v2, 0xffff, v2
	s_delay_alu instid0(VALU_DEP_4) | instskip(NEXT) | instid1(VALU_DEP_1)
	v_or_b32_e32 v3, v12, v3
	v_dual_lshlrev_b32 v3, 16, v3 :: v_dual_bitop2_b32 v35, v2, v4 bitop3:0x54
	s_delay_alu instid0(VALU_DEP_1)
	v_or_b32_e32 v27, v7, v3
.LBB1183_34:
	s_delay_alu instid0(VALU_DEP_2)
	v_bfe_u32 v39, v35, 16, 8
	v_bfe_u32 v41, v35, 8, 8
	v_and_b32_e32 v55, 0xff, v35
	v_and_b32_e32 v56, 0xff, v31
	v_mbcnt_lo_u32_b32 v62, -1, 0
	v_lshrrev_b32_e32 v37, 24, v35
	v_bfe_u32 v57, v31, 16, 8
	v_add3_u32 v2, v41, v55, v39
	v_bfe_u32 v58, v31, 8, 8
	v_and_b32_e32 v4, 15, v62
	s_load_b64 s[16:17], s[0:1], 0x28
	v_dual_lshrrev_b32 v33, 24, v31 :: v_dual_lshrrev_b32 v63, 5, v0
	v_add3_u32 v2, v2, v37, v56
	v_and_b32_e32 v59, 0xff, v27
	v_bfe_u32 v60, v27, 16, 8
	v_bfe_u32 v61, v27, 8, 8
	v_dual_lshrrev_b32 v29, 24, v27 :: v_dual_bitop2_b32 v5, 31, v0 bitop3:0x54
	v_add3_u32 v2, v2, v58, v57
	v_and_b32_e32 v3, 0xff, v25
	v_and_b32_e32 v6, 16, v62
	v_cmp_eq_u32_e64 s5, 0, v4
	v_cmp_lt_u32_e64 s4, 1, v4
	v_add3_u32 v2, v2, v33, v59
	v_cmp_lt_u32_e64 s3, 3, v4
	v_cmp_lt_u32_e64 s2, 7, v4
	s_wait_xcnt 0x0
	v_cmp_eq_u32_e64 s1, 0, v6
	v_cmp_eq_u32_e64 s0, v0, v5
	v_add3_u32 v2, v2, v61, v60
	s_cmp_lg_u32 s24, 0
	s_mov_b32 s6, -1
	s_delay_alu instid0(VALU_DEP_1)
	v_add3_u32 v64, v2, v29, v3
	s_cbranch_scc0 .LBB1183_56
; %bb.35:
	s_delay_alu instid0(VALU_DEP_1) | instskip(NEXT) | instid1(VALU_DEP_1)
	v_mov_b32_dpp v2, v64 row_shr:1 row_mask:0xf bank_mask:0xf
	v_cndmask_b32_e64 v2, v2, 0, s5
	s_delay_alu instid0(VALU_DEP_1) | instskip(NEXT) | instid1(VALU_DEP_1)
	v_add_nc_u32_e32 v2, v2, v64
	v_mov_b32_dpp v3, v2 row_shr:2 row_mask:0xf bank_mask:0xf
	s_delay_alu instid0(VALU_DEP_1) | instskip(NEXT) | instid1(VALU_DEP_1)
	v_cndmask_b32_e64 v3, 0, v3, s4
	v_add_nc_u32_e32 v2, v2, v3
	s_delay_alu instid0(VALU_DEP_1) | instskip(NEXT) | instid1(VALU_DEP_1)
	v_mov_b32_dpp v3, v2 row_shr:4 row_mask:0xf bank_mask:0xf
	v_cndmask_b32_e64 v3, 0, v3, s3
	s_delay_alu instid0(VALU_DEP_1) | instskip(NEXT) | instid1(VALU_DEP_1)
	v_add_nc_u32_e32 v2, v2, v3
	v_mov_b32_dpp v3, v2 row_shr:8 row_mask:0xf bank_mask:0xf
	s_delay_alu instid0(VALU_DEP_1) | instskip(NEXT) | instid1(VALU_DEP_1)
	v_cndmask_b32_e64 v3, 0, v3, s2
	v_add_nc_u32_e32 v2, v2, v3
	ds_swizzle_b32 v3, v2 offset:swizzle(BROADCAST,32,15)
	s_wait_dscnt 0x0
	v_cndmask_b32_e64 v3, v3, 0, s1
	s_delay_alu instid0(VALU_DEP_1)
	v_add_nc_u32_e32 v2, v2, v3
	s_and_saveexec_b32 s6, s0
; %bb.36:
	v_lshlrev_b32_e32 v3, 2, v63
	ds_store_b32 v3, v2
; %bb.37:
	s_or_b32 exec_lo, exec_lo, s6
	s_delay_alu instid0(SALU_CYCLE_1)
	s_mov_b32 s6, exec_lo
	s_wait_dscnt 0x0
	s_barrier_signal -1
	s_barrier_wait -1
	v_cmpx_gt_u32_e32 8, v0
	s_cbranch_execz .LBB1183_39
; %bb.38:
	ds_load_b32 v3, v19
	s_wait_dscnt 0x0
	v_mov_b32_dpp v5, v3 row_shr:1 row_mask:0xf bank_mask:0xf
	v_and_b32_e32 v4, 7, v62
	s_delay_alu instid0(VALU_DEP_1) | instskip(NEXT) | instid1(VALU_DEP_3)
	v_cmp_ne_u32_e32 vcc_lo, 0, v4
	v_cndmask_b32_e32 v5, 0, v5, vcc_lo
	v_cmp_lt_u32_e32 vcc_lo, 1, v4
	s_delay_alu instid0(VALU_DEP_2) | instskip(NEXT) | instid1(VALU_DEP_1)
	v_add_nc_u32_e32 v3, v5, v3
	v_mov_b32_dpp v5, v3 row_shr:2 row_mask:0xf bank_mask:0xf
	s_delay_alu instid0(VALU_DEP_1) | instskip(SKIP_1) | instid1(VALU_DEP_2)
	v_cndmask_b32_e32 v5, 0, v5, vcc_lo
	v_cmp_lt_u32_e32 vcc_lo, 3, v4
	v_add_nc_u32_e32 v3, v3, v5
	s_delay_alu instid0(VALU_DEP_1) | instskip(NEXT) | instid1(VALU_DEP_1)
	v_mov_b32_dpp v5, v3 row_shr:4 row_mask:0xf bank_mask:0xf
	v_cndmask_b32_e32 v4, 0, v5, vcc_lo
	s_delay_alu instid0(VALU_DEP_1)
	v_add_nc_u32_e32 v3, v3, v4
	ds_store_b32 v19, v3
.LBB1183_39:
	s_or_b32 exec_lo, exec_lo, s6
	s_delay_alu instid0(SALU_CYCLE_1)
	s_mov_b32 s7, exec_lo
	v_cmp_gt_u32_e32 vcc_lo, 32, v0
	s_wait_dscnt 0x0
	s_barrier_signal -1
	s_barrier_wait -1
                                        ; implicit-def: $vgpr10
	v_cmpx_lt_u32_e32 31, v0
	s_cbranch_execz .LBB1183_41
; %bb.40:
	v_lshl_add_u32 v3, v63, 2, -4
	ds_load_b32 v10, v3
	s_wait_dscnt 0x0
	v_add_nc_u32_e32 v2, v10, v2
.LBB1183_41:
	s_or_b32 exec_lo, exec_lo, s7
	v_sub_co_u32 v3, s6, v62, 1
	s_delay_alu instid0(VALU_DEP_1) | instskip(NEXT) | instid1(VALU_DEP_1)
	v_cmp_gt_i32_e64 s7, 0, v3
	v_cndmask_b32_e64 v3, v3, v62, s7
	s_delay_alu instid0(VALU_DEP_1)
	v_lshlrev_b32_e32 v3, 2, v3
	ds_bpermute_b32 v11, v3, v2
	s_and_saveexec_b32 s7, vcc_lo
	s_cbranch_execz .LBB1183_61
; %bb.42:
	v_mov_b32_e32 v9, 0
	ds_load_b32 v2, v9 offset:28
	s_and_saveexec_b32 s11, s6
	s_cbranch_execz .LBB1183_44
; %bb.43:
	s_add_co_i32 s25, s24, 32
	s_delay_alu instid0(SALU_CYCLE_1)
	v_dual_mov_b32 v3, 1 :: v_dual_mov_b32 v4, s25
	s_wait_dscnt 0x0
	s_wait_kmcnt 0x0
	global_store_b64 v4, v[2:3], s[20:21] scale_offset scope:SCOPE_DEV
.LBB1183_44:
	s_wait_xcnt 0x0
	s_or_b32 exec_lo, exec_lo, s11
	v_xad_u32 v4, v62, -1, s24
	s_mov_b32 s25, 0
	s_mov_b32 s11, exec_lo
	s_delay_alu instid0(VALU_DEP_1)
	v_add_nc_u32_e32 v8, 32, v4
	s_wait_kmcnt 0x0
	global_load_b64 v[6:7], v8, s[20:21] scale_offset scope:SCOPE_DEV
	s_wait_loadcnt 0x0
	v_and_b32_e32 v3, 0xff, v7
	s_wait_xcnt 0x0
	s_delay_alu instid0(VALU_DEP_1)
	v_cmpx_eq_u16_e32 0, v3
	s_cbranch_execz .LBB1183_48
; %bb.45:
	v_lshl_add_u64 v[8:9], v[8:9], 3, s[20:21]
.LBB1183_46:                            ; =>This Inner Loop Header: Depth=1
	global_load_b64 v[6:7], v[8:9], off scope:SCOPE_DEV
	s_wait_loadcnt 0x0
	v_and_b32_e32 v3, 0xff, v7
	s_delay_alu instid0(VALU_DEP_1)
	v_cmp_ne_u16_e32 vcc_lo, 0, v3
	s_or_b32 s25, vcc_lo, s25
	s_wait_xcnt 0x0
	s_and_not1_b32 exec_lo, exec_lo, s25
	s_cbranch_execnz .LBB1183_46
; %bb.47:
	s_or_b32 exec_lo, exec_lo, s25
.LBB1183_48:
	s_delay_alu instid0(SALU_CYCLE_1)
	s_or_b32 exec_lo, exec_lo, s11
	v_cmp_ne_u32_e32 vcc_lo, 31, v62
	v_lshlrev_b32_e64 v13, v62, -1
	v_dual_add_nc_u32 v15, 2, v62 :: v_dual_add_nc_u32 v17, 4, v62
	v_dual_add_nc_u32 v65, 8, v62 :: v_dual_add_nc_u32 v67, 16, v62
	v_add_co_ci_u32_e64 v3, null, 0, v62, vcc_lo
	v_lshl_or_b32 v66, v62, 2, 64
	s_delay_alu instid0(VALU_DEP_2)
	v_lshlrev_b32_e32 v12, 2, v3
	v_and_b32_e32 v3, 0xff, v7
	ds_bpermute_b32 v5, v12, v6
	v_cmp_eq_u16_e32 vcc_lo, 2, v3
	v_and_or_b32 v3, vcc_lo, v13, 0x80000000
	v_cmp_gt_u32_e32 vcc_lo, 30, v62
	s_delay_alu instid0(VALU_DEP_2) | instskip(SKIP_1) | instid1(VALU_DEP_2)
	v_ctz_i32_b32_e32 v3, v3
	v_cndmask_b32_e64 v8, 0, 2, vcc_lo
	v_cmp_lt_u32_e32 vcc_lo, v62, v3
	s_delay_alu instid0(VALU_DEP_2)
	v_add_lshl_u32 v14, v8, v62, 2
	s_wait_dscnt 0x0
	v_cndmask_b32_e32 v5, 0, v5, vcc_lo
	v_cmp_gt_u32_e32 vcc_lo, 28, v62
	v_cndmask_b32_e64 v8, 0, 4, vcc_lo
	v_cmp_le_u32_e32 vcc_lo, v15, v3
	s_delay_alu instid0(VALU_DEP_4) | instskip(NEXT) | instid1(VALU_DEP_3)
	v_add_nc_u32_e32 v5, v5, v6
	v_add_lshl_u32 v16, v8, v62, 2
	ds_bpermute_b32 v6, v14, v5
	s_wait_dscnt 0x0
	v_cndmask_b32_e32 v6, 0, v6, vcc_lo
	v_cmp_gt_u32_e32 vcc_lo, 24, v62
	v_cndmask_b32_e64 v8, 0, 8, vcc_lo
	v_cmp_le_u32_e32 vcc_lo, v17, v3
	s_delay_alu instid0(VALU_DEP_4) | instskip(NEXT) | instid1(VALU_DEP_3)
	v_add_nc_u32_e32 v5, v5, v6
	v_add_lshl_u32 v54, v8, v62, 2
	ds_bpermute_b32 v6, v16, v5
	s_wait_dscnt 0x0
	v_cndmask_b32_e32 v6, 0, v6, vcc_lo
	v_cmp_le_u32_e32 vcc_lo, v65, v3
	s_delay_alu instid0(VALU_DEP_2) | instskip(SKIP_4) | instid1(VALU_DEP_2)
	v_add_nc_u32_e32 v5, v5, v6
	ds_bpermute_b32 v6, v54, v5
	s_wait_dscnt 0x0
	v_cndmask_b32_e32 v6, 0, v6, vcc_lo
	v_cmp_le_u32_e32 vcc_lo, v67, v3
	v_add_nc_u32_e32 v5, v5, v6
	ds_bpermute_b32 v6, v66, v5
	s_wait_dscnt 0x0
	v_cndmask_b32_e32 v3, 0, v6, vcc_lo
	s_delay_alu instid0(VALU_DEP_1)
	v_dual_mov_b32 v5, 0 :: v_dual_add_nc_u32 v6, v5, v3
	s_branch .LBB1183_52
.LBB1183_49:                            ;   in Loop: Header=BB1183_52 Depth=1
	s_or_b32 exec_lo, exec_lo, s25
.LBB1183_50:                            ;   in Loop: Header=BB1183_52 Depth=1
	s_delay_alu instid0(SALU_CYCLE_1)
	s_or_b32 exec_lo, exec_lo, s11
	v_and_b32_e32 v8, 0xff, v7
	ds_bpermute_b32 v9, v12, v6
	v_subrev_nc_u32_e32 v4, 32, v4
	s_mov_b32 s11, 0
	v_cmp_eq_u16_e32 vcc_lo, 2, v8
	v_and_or_b32 v8, vcc_lo, v13, 0x80000000
	s_delay_alu instid0(VALU_DEP_1) | instskip(NEXT) | instid1(VALU_DEP_1)
	v_ctz_i32_b32_e32 v8, v8
	v_cmp_lt_u32_e32 vcc_lo, v62, v8
	s_wait_dscnt 0x0
	v_cndmask_b32_e32 v9, 0, v9, vcc_lo
	v_cmp_le_u32_e32 vcc_lo, v15, v8
	s_delay_alu instid0(VALU_DEP_2) | instskip(SKIP_4) | instid1(VALU_DEP_2)
	v_add_nc_u32_e32 v6, v9, v6
	ds_bpermute_b32 v9, v14, v6
	s_wait_dscnt 0x0
	v_cndmask_b32_e32 v9, 0, v9, vcc_lo
	v_cmp_le_u32_e32 vcc_lo, v17, v8
	v_add_nc_u32_e32 v6, v6, v9
	ds_bpermute_b32 v9, v16, v6
	s_wait_dscnt 0x0
	v_cndmask_b32_e32 v9, 0, v9, vcc_lo
	v_cmp_le_u32_e32 vcc_lo, v65, v8
	s_delay_alu instid0(VALU_DEP_2) | instskip(SKIP_4) | instid1(VALU_DEP_2)
	v_add_nc_u32_e32 v6, v6, v9
	ds_bpermute_b32 v9, v54, v6
	s_wait_dscnt 0x0
	v_cndmask_b32_e32 v9, 0, v9, vcc_lo
	v_cmp_le_u32_e32 vcc_lo, v67, v8
	v_add_nc_u32_e32 v6, v6, v9
	ds_bpermute_b32 v9, v66, v6
	s_wait_dscnt 0x0
	v_cndmask_b32_e32 v8, 0, v9, vcc_lo
	s_delay_alu instid0(VALU_DEP_1)
	v_add3_u32 v6, v8, v3, v6
.LBB1183_51:                            ;   in Loop: Header=BB1183_52 Depth=1
	s_and_b32 vcc_lo, exec_lo, s11
	s_cbranch_vccnz .LBB1183_57
.LBB1183_52:                            ; =>This Loop Header: Depth=1
                                        ;     Child Loop BB1183_55 Depth 2
	v_and_b32_e32 v3, 0xff, v7
	s_mov_b32 s11, -1
                                        ; implicit-def: $vgpr7
	s_delay_alu instid0(VALU_DEP_1)
	v_cmp_ne_u16_e32 vcc_lo, 2, v3
	v_mov_b32_e32 v3, v6
                                        ; implicit-def: $vgpr6
	s_cmp_lg_u32 vcc_lo, exec_lo
	s_cbranch_scc1 .LBB1183_51
; %bb.53:                               ;   in Loop: Header=BB1183_52 Depth=1
	global_load_b64 v[6:7], v4, s[20:21] scale_offset scope:SCOPE_DEV
	s_mov_b32 s11, exec_lo
	s_wait_loadcnt 0x0
	v_and_b32_e32 v8, 0xff, v7
	s_wait_xcnt 0x0
	s_delay_alu instid0(VALU_DEP_1)
	v_cmpx_eq_u16_e32 0, v8
	s_cbranch_execz .LBB1183_50
; %bb.54:                               ;   in Loop: Header=BB1183_52 Depth=1
	v_lshl_add_u64 v[8:9], v[4:5], 3, s[20:21]
	s_mov_b32 s25, 0
.LBB1183_55:                            ;   Parent Loop BB1183_52 Depth=1
                                        ; =>  This Inner Loop Header: Depth=2
	global_load_b64 v[6:7], v[8:9], off scope:SCOPE_DEV
	s_wait_loadcnt 0x0
	v_and_b32_e32 v68, 0xff, v7
	s_delay_alu instid0(VALU_DEP_1)
	v_cmp_ne_u16_e32 vcc_lo, 0, v68
	s_or_b32 s25, vcc_lo, s25
	s_wait_xcnt 0x0
	s_and_not1_b32 exec_lo, exec_lo, s25
	s_cbranch_execnz .LBB1183_55
	s_branch .LBB1183_49
.LBB1183_56:
                                        ; implicit-def: $vgpr2_vgpr3_vgpr4_vgpr5_vgpr6_vgpr7_vgpr8_vgpr9_vgpr10_vgpr11_vgpr12_vgpr13_vgpr14_vgpr15_vgpr16_vgpr17
                                        ; implicit-def: $vgpr54
                                        ; implicit-def: $vgpr16
	s_and_b32 vcc_lo, exec_lo, s6
	s_cbranch_vccnz .LBB1183_62
	s_branch .LBB1183_71
.LBB1183_57:
	s_and_saveexec_b32 s11, s6
	s_cbranch_execz .LBB1183_59
; %bb.58:
	s_add_co_i32 s24, s24, 32
	v_dual_mov_b32 v5, 2 :: v_dual_add_nc_u32 v4, v3, v2
	v_dual_mov_b32 v6, s24 :: v_dual_mov_b32 v7, 0
	global_store_b64 v6, v[4:5], s[20:21] scale_offset scope:SCOPE_DEV
	ds_store_b64 v7, v[2:3] offset:13312
.LBB1183_59:
	s_wait_xcnt 0x0
	s_or_b32 exec_lo, exec_lo, s11
	v_cmp_eq_u32_e32 vcc_lo, 0, v0
	s_and_b32 exec_lo, exec_lo, vcc_lo
; %bb.60:
	v_mov_b32_e32 v2, 0
	ds_store_b32 v2, v3 offset:28
.LBB1183_61:
	s_or_b32 exec_lo, exec_lo, s7
	s_wait_dscnt 0x0
	v_dual_mov_b32 v12, 0 :: v_dual_cndmask_b32 v3, v11, v10, s6
	s_wait_storecnt 0x0
	s_barrier_signal -1
	s_barrier_wait -1
	ds_load_b32 v2, v12 offset:28
	v_cmp_ne_u32_e32 vcc_lo, 0, v0
	s_wait_dscnt 0x0
	s_barrier_signal -1
	s_barrier_wait -1
	v_cndmask_b32_e32 v3, 0, v3, vcc_lo
	ds_load_b64 v[16:17], v12 offset:13312
	v_add_nc_u32_e32 v2, v2, v3
	s_wait_dscnt 0x0
	s_delay_alu instid0(VALU_DEP_1) | instskip(NEXT) | instid1(VALU_DEP_1)
	v_dual_mov_b32 v54, v17 :: v_dual_add_nc_u32 v3, v2, v55
	v_add_nc_u32_e32 v4, v3, v41
	s_delay_alu instid0(VALU_DEP_1) | instskip(NEXT) | instid1(VALU_DEP_1)
	v_add_nc_u32_e32 v5, v4, v39
	v_add_nc_u32_e32 v6, v5, v37
	s_delay_alu instid0(VALU_DEP_1) | instskip(NEXT) | instid1(VALU_DEP_1)
	v_add_nc_u32_e32 v7, v6, v56
	;; [unrolled: 3-line block ×5, first 2 shown]
	v_add_nc_u32_e32 v14, v13, v29
	s_branch .LBB1183_71
.LBB1183_62:
	v_mov_b32_dpp v2, v64 row_shr:1 row_mask:0xf bank_mask:0xf
	s_delay_alu instid0(VALU_DEP_1) | instskip(NEXT) | instid1(VALU_DEP_1)
	v_cndmask_b32_e64 v2, v2, 0, s5
	v_add_nc_u32_e32 v2, v2, v64
	s_delay_alu instid0(VALU_DEP_1) | instskip(NEXT) | instid1(VALU_DEP_1)
	v_mov_b32_dpp v3, v2 row_shr:2 row_mask:0xf bank_mask:0xf
	v_cndmask_b32_e64 v3, 0, v3, s4
	s_delay_alu instid0(VALU_DEP_1) | instskip(NEXT) | instid1(VALU_DEP_1)
	v_add_nc_u32_e32 v2, v2, v3
	v_mov_b32_dpp v3, v2 row_shr:4 row_mask:0xf bank_mask:0xf
	s_delay_alu instid0(VALU_DEP_1) | instskip(NEXT) | instid1(VALU_DEP_1)
	v_cndmask_b32_e64 v3, 0, v3, s3
	v_add_nc_u32_e32 v2, v2, v3
	s_delay_alu instid0(VALU_DEP_1) | instskip(NEXT) | instid1(VALU_DEP_1)
	v_mov_b32_dpp v3, v2 row_shr:8 row_mask:0xf bank_mask:0xf
	v_cndmask_b32_e64 v3, 0, v3, s2
	s_delay_alu instid0(VALU_DEP_1) | instskip(SKIP_3) | instid1(VALU_DEP_1)
	v_add_nc_u32_e32 v2, v2, v3
	ds_swizzle_b32 v3, v2 offset:swizzle(BROADCAST,32,15)
	s_wait_dscnt 0x0
	v_cndmask_b32_e64 v3, v3, 0, s1
	v_add_nc_u32_e32 v2, v2, v3
	s_and_saveexec_b32 s1, s0
; %bb.63:
	v_lshlrev_b32_e32 v3, 2, v63
	ds_store_b32 v3, v2
; %bb.64:
	s_or_b32 exec_lo, exec_lo, s1
	s_delay_alu instid0(SALU_CYCLE_1)
	s_mov_b32 s0, exec_lo
	s_wait_dscnt 0x0
	s_barrier_signal -1
	s_barrier_wait -1
	v_cmpx_gt_u32_e32 8, v0
	s_cbranch_execz .LBB1183_66
; %bb.65:
	ds_load_b32 v3, v19
	s_wait_dscnt 0x0
	v_mov_b32_dpp v5, v3 row_shr:1 row_mask:0xf bank_mask:0xf
	v_and_b32_e32 v4, 7, v62
	s_delay_alu instid0(VALU_DEP_1) | instskip(NEXT) | instid1(VALU_DEP_3)
	v_cmp_ne_u32_e32 vcc_lo, 0, v4
	v_cndmask_b32_e32 v5, 0, v5, vcc_lo
	v_cmp_lt_u32_e32 vcc_lo, 1, v4
	s_delay_alu instid0(VALU_DEP_2) | instskip(NEXT) | instid1(VALU_DEP_1)
	v_add_nc_u32_e32 v3, v5, v3
	v_mov_b32_dpp v5, v3 row_shr:2 row_mask:0xf bank_mask:0xf
	s_delay_alu instid0(VALU_DEP_1) | instskip(SKIP_1) | instid1(VALU_DEP_2)
	v_cndmask_b32_e32 v5, 0, v5, vcc_lo
	v_cmp_lt_u32_e32 vcc_lo, 3, v4
	v_add_nc_u32_e32 v3, v3, v5
	s_delay_alu instid0(VALU_DEP_1) | instskip(NEXT) | instid1(VALU_DEP_1)
	v_mov_b32_dpp v5, v3 row_shr:4 row_mask:0xf bank_mask:0xf
	v_cndmask_b32_e32 v4, 0, v5, vcc_lo
	s_delay_alu instid0(VALU_DEP_1)
	v_add_nc_u32_e32 v3, v3, v4
	ds_store_b32 v19, v3
.LBB1183_66:
	s_or_b32 exec_lo, exec_lo, s0
	v_dual_mov_b32 v4, 0 :: v_dual_mov_b32 v3, 0
	s_mov_b32 s0, exec_lo
	s_wait_dscnt 0x0
	s_barrier_signal -1
	s_barrier_wait -1
	v_cmpx_lt_u32_e32 31, v0
; %bb.67:
	v_lshl_add_u32 v3, v63, 2, -4
	ds_load_b32 v3, v3
; %bb.68:
	s_or_b32 exec_lo, exec_lo, s0
	v_sub_co_u32 v5, vcc_lo, v62, 1
	ds_load_b32 v16, v4 offset:28
	v_cmp_gt_i32_e64 s0, 0, v5
	s_delay_alu instid0(VALU_DEP_1) | instskip(SKIP_3) | instid1(VALU_DEP_3)
	v_cndmask_b32_e64 v5, v5, v62, s0
	s_wait_dscnt 0x1
	v_add_nc_u32_e32 v2, v3, v2
	v_cmp_eq_u32_e64 s0, 0, v0
	v_lshlrev_b32_e32 v5, 2, v5
	ds_bpermute_b32 v2, v5, v2
	s_and_saveexec_b32 s1, s0
	s_cbranch_execz .LBB1183_70
; %bb.69:
	v_dual_mov_b32 v4, 0 :: v_dual_mov_b32 v17, 2
	s_wait_dscnt 0x1
	s_wait_kmcnt 0x0
	global_store_b64 v4, v[16:17], s[20:21] offset:256 scope:SCOPE_DEV
.LBB1183_70:
	s_wait_xcnt 0x0
	s_or_b32 exec_lo, exec_lo, s1
	s_wait_dscnt 0x0
	v_cndmask_b32_e32 v2, v2, v3, vcc_lo
	s_wait_storecnt 0x0
	s_barrier_signal -1
	s_barrier_wait -1
	s_delay_alu instid0(VALU_DEP_1) | instskip(NEXT) | instid1(VALU_DEP_1)
	v_cndmask_b32_e64 v2, v2, 0, s0
	v_dual_mov_b32 v54, 0 :: v_dual_add_nc_u32 v3, v2, v55
	s_delay_alu instid0(VALU_DEP_1) | instskip(NEXT) | instid1(VALU_DEP_1)
	v_add_nc_u32_e32 v4, v3, v41
	v_add_nc_u32_e32 v5, v4, v39
	s_delay_alu instid0(VALU_DEP_1) | instskip(NEXT) | instid1(VALU_DEP_1)
	v_add_nc_u32_e32 v6, v5, v37
	v_add_nc_u32_e32 v7, v6, v56
	;; [unrolled: 3-line block ×5, first 2 shown]
	s_delay_alu instid0(VALU_DEP_1)
	v_add_nc_u32_e32 v14, v13, v29
.LBB1183_71:
	v_dual_lshrrev_b32 v55, 16, v35 :: v_dual_lshrrev_b32 v56, 8, v35
	v_dual_add_nc_u32 v23, v16, v23 :: v_dual_sub_nc_u32 v3, v3, v54
	v_dual_sub_nc_u32 v2, v2, v54 :: v_dual_bitop2_b32 v35, 1, v35 bitop3:0x40
	s_delay_alu instid0(VALU_DEP_3) | instskip(NEXT) | instid1(VALU_DEP_4)
	v_dual_sub_nc_u32 v4, v4, v54 :: v_dual_bitop2_b32 v56, 1, v56 bitop3:0x40
	v_and_b32_e32 v55, 1, v55
	s_delay_alu instid0(VALU_DEP_3) | instskip(NEXT) | instid1(VALU_DEP_4)
	v_dual_sub_nc_u32 v57, v23, v3 :: v_dual_sub_nc_u32 v58, v23, v2
	v_cmp_eq_u32_e32 vcc_lo, 1, v35
	s_delay_alu instid0(VALU_DEP_4) | instskip(NEXT) | instid1(VALU_DEP_3)
	v_dual_sub_nc_u32 v5, v5, v54 :: v_dual_sub_nc_u32 v59, v23, v4
	v_dual_add_nc_u32 v57, 1, v57 :: v_dual_sub_nc_u32 v6, v6, v54
	s_delay_alu instid0(VALU_DEP_4) | instskip(SKIP_1) | instid1(VALU_DEP_4)
	v_cndmask_b32_e32 v2, v58, v2, vcc_lo
	v_cmp_eq_u32_e32 vcc_lo, 1, v56
	v_dual_sub_nc_u32 v35, v23, v5 :: v_dual_add_nc_u32 v56, 2, v59
	v_dual_lshrrev_b32 v41, 8, v31 :: v_dual_lshrrev_b32 v39, 16, v31
	v_dual_cndmask_b32 v3, v57, v3, vcc_lo :: v_dual_bitop2_b32 v37, 1, v37 bitop3:0x40
	v_lshlrev_b32_e32 v2, 2, v2
	v_cmp_eq_u32_e32 vcc_lo, 1, v55
	v_add_nc_u32_e32 v35, 3, v35
	s_delay_alu instid0(VALU_DEP_4)
	v_lshlrev_b32_e32 v3, 2, v3
	v_dual_lshrrev_b32 v15, 16, v27 :: v_dual_lshrrev_b32 v17, 8, v27
	v_cndmask_b32_e32 v4, v56, v4, vcc_lo
	v_cmp_eq_u32_e32 vcc_lo, 1, v37
	ds_store_b32 v2, v52
	ds_store_b32 v3, v53
	v_dual_lshlrev_b32 v3, 2, v4 :: v_dual_cndmask_b32 v5, v35, v5, vcc_lo
	s_delay_alu instid0(VALU_DEP_1) | instskip(SKIP_1) | instid1(VALU_DEP_2)
	v_dual_sub_nc_u32 v2, v23, v6 :: v_dual_lshlrev_b32 v4, 2, v5
	v_dual_sub_nc_u32 v5, v7, v54 :: v_dual_bitop2_b32 v7, 1, v31 bitop3:0x40
	v_add_nc_u32_e32 v2, 4, v2
	ds_store_b32 v3, v50
	ds_store_b32 v4, v51
	v_sub_nc_u32_e32 v3, v23, v5
	v_cmp_eq_u32_e32 vcc_lo, 1, v7
	s_delay_alu instid0(VALU_DEP_2) | instskip(SKIP_1) | instid1(VALU_DEP_2)
	v_dual_sub_nc_u32 v4, v8, v54 :: v_dual_add_nc_u32 v3, 5, v3
	v_dual_cndmask_b32 v2, v2, v6, vcc_lo :: v_dual_bitop2_b32 v6, 1, v41 bitop3:0x40
	v_dual_sub_nc_u32 v7, v9, v54 :: v_dual_sub_nc_u32 v8, v23, v4
	s_delay_alu instid0(VALU_DEP_2) | instskip(NEXT) | instid1(VALU_DEP_2)
	v_cmp_eq_u32_e32 vcc_lo, 1, v6
	v_dual_lshlrev_b32 v2, 2, v2 :: v_dual_add_nc_u32 v8, 6, v8
	v_cndmask_b32_e32 v3, v3, v5, vcc_lo
	s_delay_alu instid0(VALU_DEP_4)
	v_sub_nc_u32_e32 v5, v23, v7
	v_and_b32_e32 v6, 1, v39
	ds_store_b32 v2, v48
	v_dual_lshlrev_b32 v3, 2, v3 :: v_dual_add_nc_u32 v5, 7, v5
	v_cmp_eq_u32_e32 vcc_lo, 1, v6
	v_dual_sub_nc_u32 v6, v11, v54 :: v_dual_bitop2_b32 v2, 1, v33 bitop3:0x40
	ds_store_b32 v3, v49
	v_cndmask_b32_e32 v4, v8, v4, vcc_lo
	v_cmp_eq_u32_e32 vcc_lo, 1, v2
	s_delay_alu instid0(VALU_DEP_2)
	v_dual_lshlrev_b32 v4, 2, v4 :: v_dual_cndmask_b32 v2, v5, v7, vcc_lo
	v_dual_sub_nc_u32 v5, v10, v54 :: v_dual_bitop2_b32 v7, 1, v17 bitop3:0x40
	v_sub_nc_u32_e32 v3, v23, v6
	ds_store_b32 v4, v46
	v_dual_sub_nc_u32 v4, v23, v5 :: v_dual_lshlrev_b32 v2, 2, v2
	v_add_nc_u32_e32 v3, 9, v3
	v_cmp_eq_u32_e32 vcc_lo, 1, v7
	s_delay_alu instid0(VALU_DEP_3) | instskip(SKIP_3) | instid1(VALU_DEP_2)
	v_dual_sub_nc_u32 v7, v12, v54 :: v_dual_add_nc_u32 v4, 8, v4
	ds_store_b32 v2, v47
	v_dual_cndmask_b32 v3, v3, v6, vcc_lo :: v_dual_bitop2_b32 v2, 1, v27 bitop3:0x40
	v_dual_sub_nc_u32 v6, v13, v54 :: v_dual_sub_nc_u32 v8, v14, v54
	v_cmp_eq_u32_e32 vcc_lo, 1, v2
	v_dual_cndmask_b32 v2, v4, v5 :: v_dual_sub_nc_u32 v5, v23, v7
	s_delay_alu instid0(VALU_DEP_3) | instskip(SKIP_1) | instid1(VALU_DEP_3)
	v_dual_sub_nc_u32 v4, v23, v6 :: v_dual_sub_nc_u32 v9, v23, v8
	v_and_b32_e32 v10, 1, v15
	v_dual_lshlrev_b32 v2, 2, v2 :: v_dual_bitop2_b32 v12, 1, v25 bitop3:0x40
	s_delay_alu instid0(VALU_DEP_3) | instskip(NEXT) | instid1(VALU_DEP_1)
	v_dual_add_nc_u32 v4, 11, v4 :: v_dual_bitop2_b32 v11, 1, v29 bitop3:0x40
	v_cmp_eq_u32_e32 vcc_lo, 1, v11
	s_delay_alu instid0(VALU_DEP_2) | instskip(SKIP_3) | instid1(VALU_DEP_1)
	v_cndmask_b32_e32 v4, v4, v6, vcc_lo
	v_cmp_eq_u32_e32 vcc_lo, 1, v10
	v_add_nc_u32_e32 v9, 12, v9
	v_add_nc_u32_e32 v5, 10, v5
	v_cndmask_b32_e32 v5, v5, v7, vcc_lo
	v_cmp_eq_u32_e32 vcc_lo, 1, v12
	s_delay_alu instid0(VALU_DEP_2) | instskip(SKIP_3) | instid1(VALU_DEP_3)
	v_dual_lshlrev_b32 v3, 2, v3 :: v_dual_lshlrev_b32 v5, 2, v5
	v_cndmask_b32_e32 v6, v9, v8, vcc_lo
	v_lshlrev_b32_e32 v4, 2, v4
	v_cmp_ne_u32_e32 vcc_lo, 1, v21
	v_lshlrev_b32_e32 v6, 2, v6
	ds_store_b32 v2, v44
	ds_store_b32 v3, v45
	;; [unrolled: 1-line block ×5, first 2 shown]
	s_wait_dscnt 0x0
	s_barrier_signal -1
	s_barrier_wait -1
	ds_load_2addr_stride64_b32 v[14:15], v19 offset1:4
	ds_load_2addr_stride64_b32 v[12:13], v19 offset0:8 offset1:12
	ds_load_2addr_stride64_b32 v[10:11], v19 offset0:16 offset1:20
	;; [unrolled: 1-line block ×5, first 2 shown]
	ds_load_b32 v46, v19 offset:12288
	v_mov_b32_e32 v1, 0
	s_and_b32 vcc_lo, exec_lo, vcc_lo
	s_delay_alu instid0(VALU_DEP_1) | instskip(SKIP_3) | instid1(VALU_DEP_3)
	v_dual_mov_b32 v29, v1 :: v_dual_mov_b32 v55, v1
	v_dual_mov_b32 v41, v1 :: v_dual_mov_b32 v39, v1
	;; [unrolled: 1-line block ×3, first 2 shown]
	s_wait_kmcnt 0x0
	v_add_nc_u64_e32 v[2:3], s[18:19], v[54:55]
	v_dual_mov_b32 v33, v1 :: v_dual_mov_b32 v31, v1
	v_dual_mov_b32 v27, v1 :: v_dual_mov_b32 v25, v1
	;; [unrolled: 1-line block ×3, first 2 shown]
	v_mov_b32_e32 v19, v1
	s_cbranch_vccnz .LBB1183_125
; %bb.72:
	v_mov_b32_e32 v17, v1
	s_mov_b32 s11, 0
	v_sub_nc_u64_e64 v[42:43], v[2:3], s[12:13]
	s_sub_nc_u64 s[0:1], s[14:15], s[10:11]
	s_delay_alu instid0(VALU_DEP_2) | instid1(SALU_CYCLE_1)
	v_add_nc_u64_e32 v[44:45], s[0:1], v[16:17]
	s_mov_b32 s0, exec_lo
	s_delay_alu instid0(VALU_DEP_1)
	v_add_nc_u64_e32 v[42:43], v[44:45], v[42:43]
                                        ; implicit-def: $vgpr44_vgpr45
	v_cmpx_ge_u32_e64 v0, v16
	s_xor_b32 s0, exec_lo, s0
; %bb.73:
	v_not_b32_e32 v44, v0
	s_delay_alu instid0(VALU_DEP_1) | instskip(NEXT) | instid1(VALU_DEP_1)
	v_ashrrev_i32_e32 v45, 31, v44
	v_add_nc_u64_e32 v[44:45], v[42:43], v[44:45]
; %bb.74:
	s_and_not1_saveexec_b32 s0, s0
; %bb.75:
	v_add_nc_u64_e32 v[44:45], v[2:3], v[0:1]
; %bb.76:
	s_or_b32 exec_lo, exec_lo, s0
	s_delay_alu instid0(VALU_DEP_1)
	v_lshl_add_u64 v[44:45], v[44:45], 2, s[16:17]
	s_mov_b32 s0, exec_lo
	s_wait_dscnt 0x6
	global_store_b32 v[44:45], v14, off
                                        ; implicit-def: $vgpr44_vgpr45
	s_wait_xcnt 0x0
	v_cmpx_ge_u32_e64 v40, v16
	s_xor_b32 s0, exec_lo, s0
; %bb.77:
	v_xor_b32_e32 v44, 0xfffffeff, v0
	s_delay_alu instid0(VALU_DEP_1) | instskip(NEXT) | instid1(VALU_DEP_1)
	v_ashrrev_i32_e32 v45, 31, v44
	v_add_nc_u64_e32 v[44:45], v[42:43], v[44:45]
; %bb.78:
	s_and_not1_saveexec_b32 s0, s0
; %bb.79:
	v_add_nc_u64_e32 v[44:45], v[2:3], v[40:41]
; %bb.80:
	s_or_b32 exec_lo, exec_lo, s0
	s_delay_alu instid0(VALU_DEP_1)
	v_lshl_add_u64 v[44:45], v[44:45], 2, s[16:17]
	s_mov_b32 s0, exec_lo
	global_store_b32 v[44:45], v15, off
                                        ; implicit-def: $vgpr44_vgpr45
	s_wait_xcnt 0x0
	v_cmpx_ge_u32_e64 v38, v16
	s_xor_b32 s0, exec_lo, s0
; %bb.81:
	v_xor_b32_e32 v44, 0xfffffdff, v0
	s_delay_alu instid0(VALU_DEP_1) | instskip(NEXT) | instid1(VALU_DEP_1)
	v_ashrrev_i32_e32 v45, 31, v44
	v_add_nc_u64_e32 v[44:45], v[42:43], v[44:45]
; %bb.82:
	s_and_not1_saveexec_b32 s0, s0
; %bb.83:
	v_add_nc_u64_e32 v[44:45], v[2:3], v[38:39]
; %bb.84:
	s_or_b32 exec_lo, exec_lo, s0
	s_delay_alu instid0(VALU_DEP_1)
	v_lshl_add_u64 v[44:45], v[44:45], 2, s[16:17]
	s_mov_b32 s0, exec_lo
	s_wait_dscnt 0x5
	global_store_b32 v[44:45], v12, off
                                        ; implicit-def: $vgpr44_vgpr45
	s_wait_xcnt 0x0
	v_cmpx_ge_u32_e64 v36, v16
	s_xor_b32 s0, exec_lo, s0
; %bb.85:
	v_xor_b32_e32 v44, 0xfffffcff, v0
	s_delay_alu instid0(VALU_DEP_1) | instskip(NEXT) | instid1(VALU_DEP_1)
	v_ashrrev_i32_e32 v45, 31, v44
	v_add_nc_u64_e32 v[44:45], v[42:43], v[44:45]
; %bb.86:
	s_and_not1_saveexec_b32 s0, s0
; %bb.87:
	v_add_nc_u64_e32 v[44:45], v[2:3], v[36:37]
; %bb.88:
	s_or_b32 exec_lo, exec_lo, s0
	s_delay_alu instid0(VALU_DEP_1)
	v_lshl_add_u64 v[44:45], v[44:45], 2, s[16:17]
	s_mov_b32 s0, exec_lo
	global_store_b32 v[44:45], v13, off
                                        ; implicit-def: $vgpr44_vgpr45
	s_wait_xcnt 0x0
	v_cmpx_ge_u32_e64 v34, v16
	s_xor_b32 s0, exec_lo, s0
; %bb.89:
	v_xor_b32_e32 v44, 0xfffffbff, v0
	;; [unrolled: 39-line block ×6, first 2 shown]
	s_delay_alu instid0(VALU_DEP_1) | instskip(NEXT) | instid1(VALU_DEP_1)
	v_ashrrev_i32_e32 v45, 31, v44
	v_add_nc_u64_e32 v[44:45], v[42:43], v[44:45]
; %bb.122:
	s_and_not1_saveexec_b32 s0, s0
; %bb.123:
	v_add_nc_u64_e32 v[44:45], v[2:3], v[18:19]
; %bb.124:
	s_or_b32 exec_lo, exec_lo, s0
	s_mov_b32 s0, -1
	s_branch .LBB1183_205
.LBB1183_125:
	s_mov_b32 s0, 0
                                        ; implicit-def: $vgpr44_vgpr45
	s_cbranch_execz .LBB1183_205
; %bb.126:
	s_mov_b32 s11, 0
	v_mov_b32_e32 v17, 0
	s_add_nc_u64 s[2:3], s[12:13], s[10:11]
	s_mov_b32 s1, exec_lo
	s_sub_nc_u64 s[2:3], s[14:15], s[2:3]
	s_delay_alu instid0(VALU_DEP_1) | instid1(SALU_CYCLE_1)
	v_add_nc_u64_e32 v[42:43], s[2:3], v[16:17]
	s_delay_alu instid0(VALU_DEP_1)
	v_add_nc_u64_e32 v[42:43], v[42:43], v[2:3]
	v_cmpx_gt_u32_e64 s23, v0
	s_cbranch_execz .LBB1183_162
; %bb.127:
	s_mov_b32 s2, exec_lo
                                        ; implicit-def: $vgpr44_vgpr45
	v_cmpx_ge_u32_e64 v0, v16
	s_xor_b32 s2, exec_lo, s2
; %bb.128:
	v_not_b32_e32 v44, v0
	s_delay_alu instid0(VALU_DEP_1) | instskip(NEXT) | instid1(VALU_DEP_1)
	v_ashrrev_i32_e32 v45, 31, v44
	v_add_nc_u64_e32 v[44:45], v[42:43], v[44:45]
; %bb.129:
	s_and_not1_saveexec_b32 s2, s2
; %bb.130:
	v_add_nc_u64_e32 v[44:45], v[2:3], v[0:1]
; %bb.131:
	s_or_b32 exec_lo, exec_lo, s2
	s_delay_alu instid0(VALU_DEP_1) | instskip(SKIP_4) | instid1(SALU_CYCLE_1)
	v_lshl_add_u64 v[44:45], v[44:45], 2, s[16:17]
	s_wait_dscnt 0x6
	global_store_b32 v[44:45], v14, off
	s_wait_xcnt 0x0
	s_or_b32 exec_lo, exec_lo, s1
	s_mov_b32 s1, exec_lo
	v_cmpx_gt_u32_e64 s23, v40
	s_cbranch_execnz .LBB1183_163
.LBB1183_132:
	s_or_b32 exec_lo, exec_lo, s1
	s_delay_alu instid0(SALU_CYCLE_1)
	s_mov_b32 s1, exec_lo
	v_cmpx_gt_u32_e64 s23, v38
	s_cbranch_execz .LBB1183_168
.LBB1183_133:
	s_mov_b32 s2, exec_lo
                                        ; implicit-def: $vgpr14_vgpr15
	v_cmpx_ge_u32_e64 v38, v16
	s_xor_b32 s2, exec_lo, s2
	s_cbranch_execz .LBB1183_135
; %bb.134:
	s_wait_dscnt 0x6
	v_xor_b32_e32 v14, 0xfffffdff, v0
                                        ; implicit-def: $vgpr38_vgpr39
	s_delay_alu instid0(VALU_DEP_1) | instskip(NEXT) | instid1(VALU_DEP_1)
	v_ashrrev_i32_e32 v15, 31, v14
	v_add_nc_u64_e32 v[14:15], v[42:43], v[14:15]
.LBB1183_135:
	s_and_not1_saveexec_b32 s2, s2
	s_cbranch_execz .LBB1183_137
; %bb.136:
	s_wait_dscnt 0x6
	v_add_nc_u64_e32 v[14:15], v[2:3], v[38:39]
.LBB1183_137:
	s_or_b32 exec_lo, exec_lo, s2
	s_wait_dscnt 0x6
	s_delay_alu instid0(VALU_DEP_1) | instskip(SKIP_4) | instid1(SALU_CYCLE_1)
	v_lshl_add_u64 v[14:15], v[14:15], 2, s[16:17]
	s_wait_dscnt 0x5
	global_store_b32 v[14:15], v12, off
	s_wait_xcnt 0x0
	s_or_b32 exec_lo, exec_lo, s1
	s_mov_b32 s1, exec_lo
	v_cmpx_gt_u32_e64 s23, v36
	s_cbranch_execnz .LBB1183_169
.LBB1183_138:
	s_or_b32 exec_lo, exec_lo, s1
	s_delay_alu instid0(SALU_CYCLE_1)
	s_mov_b32 s1, exec_lo
	v_cmpx_gt_u32_e64 s23, v34
	s_cbranch_execz .LBB1183_174
.LBB1183_139:
	s_mov_b32 s2, exec_lo
                                        ; implicit-def: $vgpr12_vgpr13
	v_cmpx_ge_u32_e64 v34, v16
	s_xor_b32 s2, exec_lo, s2
	s_cbranch_execz .LBB1183_141
; %bb.140:
	s_wait_dscnt 0x5
	v_xor_b32_e32 v12, 0xfffffbff, v0
                                        ; implicit-def: $vgpr34_vgpr35
	s_delay_alu instid0(VALU_DEP_1) | instskip(NEXT) | instid1(VALU_DEP_1)
	v_ashrrev_i32_e32 v13, 31, v12
	v_add_nc_u64_e32 v[12:13], v[42:43], v[12:13]
.LBB1183_141:
	s_and_not1_saveexec_b32 s2, s2
	s_cbranch_execz .LBB1183_143
; %bb.142:
	s_wait_dscnt 0x5
	v_add_nc_u64_e32 v[12:13], v[2:3], v[34:35]
.LBB1183_143:
	s_or_b32 exec_lo, exec_lo, s2
	s_wait_dscnt 0x5
	s_delay_alu instid0(VALU_DEP_1) | instskip(SKIP_4) | instid1(SALU_CYCLE_1)
	v_lshl_add_u64 v[12:13], v[12:13], 2, s[16:17]
	s_wait_dscnt 0x4
	global_store_b32 v[12:13], v10, off
	s_wait_xcnt 0x0
	s_or_b32 exec_lo, exec_lo, s1
	s_mov_b32 s1, exec_lo
	v_cmpx_gt_u32_e64 s23, v32
	s_cbranch_execnz .LBB1183_175
.LBB1183_144:
	s_or_b32 exec_lo, exec_lo, s1
	s_delay_alu instid0(SALU_CYCLE_1)
	s_mov_b32 s1, exec_lo
	v_cmpx_gt_u32_e64 s23, v30
	s_cbranch_execz .LBB1183_180
.LBB1183_145:
	s_mov_b32 s2, exec_lo
                                        ; implicit-def: $vgpr10_vgpr11
	v_cmpx_ge_u32_e64 v30, v16
	s_xor_b32 s2, exec_lo, s2
	s_cbranch_execz .LBB1183_147
; %bb.146:
	s_wait_dscnt 0x4
	v_xor_b32_e32 v10, 0xfffff9ff, v0
                                        ; implicit-def: $vgpr30_vgpr31
	s_delay_alu instid0(VALU_DEP_1) | instskip(NEXT) | instid1(VALU_DEP_1)
	v_ashrrev_i32_e32 v11, 31, v10
	v_add_nc_u64_e32 v[10:11], v[42:43], v[10:11]
.LBB1183_147:
	s_and_not1_saveexec_b32 s2, s2
	s_cbranch_execz .LBB1183_149
; %bb.148:
	s_wait_dscnt 0x4
	v_add_nc_u64_e32 v[10:11], v[2:3], v[30:31]
.LBB1183_149:
	s_or_b32 exec_lo, exec_lo, s2
	s_wait_dscnt 0x4
	s_delay_alu instid0(VALU_DEP_1) | instskip(SKIP_4) | instid1(SALU_CYCLE_1)
	v_lshl_add_u64 v[10:11], v[10:11], 2, s[16:17]
	s_wait_dscnt 0x3
	global_store_b32 v[10:11], v8, off
	s_wait_xcnt 0x0
	s_or_b32 exec_lo, exec_lo, s1
	s_mov_b32 s1, exec_lo
	v_cmpx_gt_u32_e64 s23, v28
	s_cbranch_execnz .LBB1183_181
.LBB1183_150:
	s_or_b32 exec_lo, exec_lo, s1
	s_delay_alu instid0(SALU_CYCLE_1)
	s_mov_b32 s1, exec_lo
	v_cmpx_gt_u32_e64 s23, v26
	s_cbranch_execz .LBB1183_186
.LBB1183_151:
	s_mov_b32 s2, exec_lo
                                        ; implicit-def: $vgpr8_vgpr9
	v_cmpx_ge_u32_e64 v26, v16
	s_xor_b32 s2, exec_lo, s2
	s_cbranch_execz .LBB1183_153
; %bb.152:
	s_wait_dscnt 0x3
	v_xor_b32_e32 v8, 0xfffff7ff, v0
                                        ; implicit-def: $vgpr26_vgpr27
	s_delay_alu instid0(VALU_DEP_1) | instskip(NEXT) | instid1(VALU_DEP_1)
	v_ashrrev_i32_e32 v9, 31, v8
	v_add_nc_u64_e32 v[8:9], v[42:43], v[8:9]
.LBB1183_153:
	s_and_not1_saveexec_b32 s2, s2
	s_cbranch_execz .LBB1183_155
; %bb.154:
	s_wait_dscnt 0x3
	v_add_nc_u64_e32 v[8:9], v[2:3], v[26:27]
.LBB1183_155:
	s_or_b32 exec_lo, exec_lo, s2
	s_wait_dscnt 0x3
	s_delay_alu instid0(VALU_DEP_1) | instskip(SKIP_4) | instid1(SALU_CYCLE_1)
	v_lshl_add_u64 v[8:9], v[8:9], 2, s[16:17]
	s_wait_dscnt 0x2
	global_store_b32 v[8:9], v6, off
	s_wait_xcnt 0x0
	s_or_b32 exec_lo, exec_lo, s1
	s_mov_b32 s1, exec_lo
	v_cmpx_gt_u32_e64 s23, v24
	s_cbranch_execnz .LBB1183_187
.LBB1183_156:
	s_or_b32 exec_lo, exec_lo, s1
	s_delay_alu instid0(SALU_CYCLE_1)
	s_mov_b32 s1, exec_lo
	v_cmpx_gt_u32_e64 s23, v22
	s_cbranch_execz .LBB1183_192
.LBB1183_157:
	s_mov_b32 s2, exec_lo
                                        ; implicit-def: $vgpr6_vgpr7
	v_cmpx_ge_u32_e64 v22, v16
	s_xor_b32 s2, exec_lo, s2
	s_cbranch_execz .LBB1183_159
; %bb.158:
	s_wait_dscnt 0x2
	v_xor_b32_e32 v6, 0xfffff5ff, v0
                                        ; implicit-def: $vgpr22_vgpr23
	s_delay_alu instid0(VALU_DEP_1) | instskip(NEXT) | instid1(VALU_DEP_1)
	v_ashrrev_i32_e32 v7, 31, v6
	v_add_nc_u64_e32 v[6:7], v[42:43], v[6:7]
.LBB1183_159:
	s_and_not1_saveexec_b32 s2, s2
	s_cbranch_execz .LBB1183_161
; %bb.160:
	s_wait_dscnt 0x2
	v_add_nc_u64_e32 v[6:7], v[2:3], v[22:23]
.LBB1183_161:
	s_or_b32 exec_lo, exec_lo, s2
	s_wait_dscnt 0x2
	s_delay_alu instid0(VALU_DEP_1) | instskip(SKIP_4) | instid1(SALU_CYCLE_1)
	v_lshl_add_u64 v[6:7], v[6:7], 2, s[16:17]
	s_wait_dscnt 0x1
	global_store_b32 v[6:7], v4, off
	s_wait_xcnt 0x0
	s_or_b32 exec_lo, exec_lo, s1
	s_mov_b32 s1, exec_lo
	v_cmpx_gt_u32_e64 s23, v20
	s_cbranch_execz .LBB1183_198
	s_branch .LBB1183_193
.LBB1183_162:
	s_or_b32 exec_lo, exec_lo, s1
	s_delay_alu instid0(SALU_CYCLE_1)
	s_mov_b32 s1, exec_lo
	v_cmpx_gt_u32_e64 s23, v40
	s_cbranch_execz .LBB1183_132
.LBB1183_163:
	s_mov_b32 s2, exec_lo
                                        ; implicit-def: $vgpr44_vgpr45
	v_cmpx_ge_u32_e64 v40, v16
	s_xor_b32 s2, exec_lo, s2
; %bb.164:
	v_xor_b32_e32 v40, 0xfffffeff, v0
	s_delay_alu instid0(VALU_DEP_1) | instskip(NEXT) | instid1(VALU_DEP_1)
	v_ashrrev_i32_e32 v41, 31, v40
	v_add_nc_u64_e32 v[44:45], v[42:43], v[40:41]
                                        ; implicit-def: $vgpr40_vgpr41
; %bb.165:
	s_and_not1_saveexec_b32 s2, s2
; %bb.166:
	v_add_nc_u64_e32 v[44:45], v[2:3], v[40:41]
; %bb.167:
	s_or_b32 exec_lo, exec_lo, s2
	s_delay_alu instid0(VALU_DEP_1) | instskip(SKIP_4) | instid1(SALU_CYCLE_1)
	v_lshl_add_u64 v[40:41], v[44:45], 2, s[16:17]
	s_wait_dscnt 0x6
	global_store_b32 v[40:41], v15, off
	s_wait_xcnt 0x0
	s_or_b32 exec_lo, exec_lo, s1
	s_mov_b32 s1, exec_lo
	v_cmpx_gt_u32_e64 s23, v38
	s_cbranch_execnz .LBB1183_133
.LBB1183_168:
	s_or_b32 exec_lo, exec_lo, s1
	s_delay_alu instid0(SALU_CYCLE_1)
	s_mov_b32 s1, exec_lo
	v_cmpx_gt_u32_e64 s23, v36
	s_cbranch_execz .LBB1183_138
.LBB1183_169:
	s_mov_b32 s2, exec_lo
                                        ; implicit-def: $vgpr14_vgpr15
	v_cmpx_ge_u32_e64 v36, v16
	s_xor_b32 s2, exec_lo, s2
	s_cbranch_execz .LBB1183_171
; %bb.170:
	s_wait_dscnt 0x6
	v_xor_b32_e32 v14, 0xfffffcff, v0
                                        ; implicit-def: $vgpr36_vgpr37
	s_delay_alu instid0(VALU_DEP_1) | instskip(NEXT) | instid1(VALU_DEP_1)
	v_ashrrev_i32_e32 v15, 31, v14
	v_add_nc_u64_e32 v[14:15], v[42:43], v[14:15]
.LBB1183_171:
	s_and_not1_saveexec_b32 s2, s2
	s_cbranch_execz .LBB1183_173
; %bb.172:
	s_wait_dscnt 0x6
	v_add_nc_u64_e32 v[14:15], v[2:3], v[36:37]
.LBB1183_173:
	s_or_b32 exec_lo, exec_lo, s2
	s_wait_dscnt 0x6
	s_delay_alu instid0(VALU_DEP_1) | instskip(SKIP_4) | instid1(SALU_CYCLE_1)
	v_lshl_add_u64 v[14:15], v[14:15], 2, s[16:17]
	s_wait_dscnt 0x5
	global_store_b32 v[14:15], v13, off
	s_wait_xcnt 0x0
	s_or_b32 exec_lo, exec_lo, s1
	s_mov_b32 s1, exec_lo
	v_cmpx_gt_u32_e64 s23, v34
	s_cbranch_execnz .LBB1183_139
.LBB1183_174:
	s_or_b32 exec_lo, exec_lo, s1
	s_delay_alu instid0(SALU_CYCLE_1)
	s_mov_b32 s1, exec_lo
	v_cmpx_gt_u32_e64 s23, v32
	s_cbranch_execz .LBB1183_144
.LBB1183_175:
	s_mov_b32 s2, exec_lo
                                        ; implicit-def: $vgpr12_vgpr13
	v_cmpx_ge_u32_e64 v32, v16
	s_xor_b32 s2, exec_lo, s2
	s_cbranch_execz .LBB1183_177
; %bb.176:
	s_wait_dscnt 0x5
	v_xor_b32_e32 v12, 0xfffffaff, v0
                                        ; implicit-def: $vgpr32_vgpr33
	s_delay_alu instid0(VALU_DEP_1) | instskip(NEXT) | instid1(VALU_DEP_1)
	v_ashrrev_i32_e32 v13, 31, v12
	v_add_nc_u64_e32 v[12:13], v[42:43], v[12:13]
.LBB1183_177:
	s_and_not1_saveexec_b32 s2, s2
	s_cbranch_execz .LBB1183_179
; %bb.178:
	s_wait_dscnt 0x5
	v_add_nc_u64_e32 v[12:13], v[2:3], v[32:33]
.LBB1183_179:
	s_or_b32 exec_lo, exec_lo, s2
	s_wait_dscnt 0x5
	s_delay_alu instid0(VALU_DEP_1) | instskip(SKIP_4) | instid1(SALU_CYCLE_1)
	v_lshl_add_u64 v[12:13], v[12:13], 2, s[16:17]
	s_wait_dscnt 0x4
	global_store_b32 v[12:13], v11, off
	s_wait_xcnt 0x0
	s_or_b32 exec_lo, exec_lo, s1
	s_mov_b32 s1, exec_lo
	v_cmpx_gt_u32_e64 s23, v30
	s_cbranch_execnz .LBB1183_145
.LBB1183_180:
	s_or_b32 exec_lo, exec_lo, s1
	s_delay_alu instid0(SALU_CYCLE_1)
	s_mov_b32 s1, exec_lo
	v_cmpx_gt_u32_e64 s23, v28
	s_cbranch_execz .LBB1183_150
.LBB1183_181:
	s_mov_b32 s2, exec_lo
                                        ; implicit-def: $vgpr10_vgpr11
	v_cmpx_ge_u32_e64 v28, v16
	s_xor_b32 s2, exec_lo, s2
	s_cbranch_execz .LBB1183_183
; %bb.182:
	s_wait_dscnt 0x4
	v_xor_b32_e32 v10, 0xfffff8ff, v0
                                        ; implicit-def: $vgpr28_vgpr29
	s_delay_alu instid0(VALU_DEP_1) | instskip(NEXT) | instid1(VALU_DEP_1)
	v_ashrrev_i32_e32 v11, 31, v10
	v_add_nc_u64_e32 v[10:11], v[42:43], v[10:11]
.LBB1183_183:
	s_and_not1_saveexec_b32 s2, s2
	s_cbranch_execz .LBB1183_185
; %bb.184:
	s_wait_dscnt 0x4
	v_add_nc_u64_e32 v[10:11], v[2:3], v[28:29]
.LBB1183_185:
	s_or_b32 exec_lo, exec_lo, s2
	s_wait_dscnt 0x4
	s_delay_alu instid0(VALU_DEP_1) | instskip(SKIP_4) | instid1(SALU_CYCLE_1)
	v_lshl_add_u64 v[10:11], v[10:11], 2, s[16:17]
	s_wait_dscnt 0x3
	global_store_b32 v[10:11], v9, off
	s_wait_xcnt 0x0
	s_or_b32 exec_lo, exec_lo, s1
	s_mov_b32 s1, exec_lo
	v_cmpx_gt_u32_e64 s23, v26
	s_cbranch_execnz .LBB1183_151
.LBB1183_186:
	s_or_b32 exec_lo, exec_lo, s1
	s_delay_alu instid0(SALU_CYCLE_1)
	s_mov_b32 s1, exec_lo
	v_cmpx_gt_u32_e64 s23, v24
	s_cbranch_execz .LBB1183_156
.LBB1183_187:
	s_mov_b32 s2, exec_lo
                                        ; implicit-def: $vgpr8_vgpr9
	v_cmpx_ge_u32_e64 v24, v16
	s_xor_b32 s2, exec_lo, s2
	s_cbranch_execz .LBB1183_189
; %bb.188:
	s_wait_dscnt 0x3
	v_xor_b32_e32 v8, 0xfffff6ff, v0
                                        ; implicit-def: $vgpr24_vgpr25
	s_delay_alu instid0(VALU_DEP_1) | instskip(NEXT) | instid1(VALU_DEP_1)
	v_ashrrev_i32_e32 v9, 31, v8
	v_add_nc_u64_e32 v[8:9], v[42:43], v[8:9]
.LBB1183_189:
	s_and_not1_saveexec_b32 s2, s2
	s_cbranch_execz .LBB1183_191
; %bb.190:
	s_wait_dscnt 0x3
	v_add_nc_u64_e32 v[8:9], v[2:3], v[24:25]
.LBB1183_191:
	s_or_b32 exec_lo, exec_lo, s2
	s_wait_dscnt 0x3
	s_delay_alu instid0(VALU_DEP_1) | instskip(SKIP_4) | instid1(SALU_CYCLE_1)
	v_lshl_add_u64 v[8:9], v[8:9], 2, s[16:17]
	s_wait_dscnt 0x2
	global_store_b32 v[8:9], v7, off
	s_wait_xcnt 0x0
	s_or_b32 exec_lo, exec_lo, s1
	s_mov_b32 s1, exec_lo
	v_cmpx_gt_u32_e64 s23, v22
	s_cbranch_execnz .LBB1183_157
.LBB1183_192:
	s_or_b32 exec_lo, exec_lo, s1
	s_delay_alu instid0(SALU_CYCLE_1)
	s_mov_b32 s1, exec_lo
	v_cmpx_gt_u32_e64 s23, v20
	s_cbranch_execz .LBB1183_198
.LBB1183_193:
	s_mov_b32 s2, exec_lo
                                        ; implicit-def: $vgpr6_vgpr7
	v_cmpx_ge_u32_e64 v20, v16
	s_xor_b32 s2, exec_lo, s2
	s_cbranch_execz .LBB1183_195
; %bb.194:
	s_wait_dscnt 0x2
	v_xor_b32_e32 v6, 0xfffff4ff, v0
                                        ; implicit-def: $vgpr20_vgpr21
	s_delay_alu instid0(VALU_DEP_1) | instskip(NEXT) | instid1(VALU_DEP_1)
	v_ashrrev_i32_e32 v7, 31, v6
	v_add_nc_u64_e32 v[6:7], v[42:43], v[6:7]
.LBB1183_195:
	s_and_not1_saveexec_b32 s2, s2
	s_cbranch_execz .LBB1183_197
; %bb.196:
	s_wait_dscnt 0x2
	v_add_nc_u64_e32 v[6:7], v[2:3], v[20:21]
.LBB1183_197:
	s_or_b32 exec_lo, exec_lo, s2
	s_wait_dscnt 0x2
	s_delay_alu instid0(VALU_DEP_1)
	v_lshl_add_u64 v[6:7], v[6:7], 2, s[16:17]
	s_wait_dscnt 0x1
	global_store_b32 v[6:7], v5, off
.LBB1183_198:
	s_wait_xcnt 0x0
	s_or_b32 exec_lo, exec_lo, s1
	s_delay_alu instid0(SALU_CYCLE_1)
	s_mov_b32 s1, exec_lo
                                        ; implicit-def: $vgpr44_vgpr45
	v_cmpx_gt_u32_e64 s23, v18
	s_cbranch_execz .LBB1183_204
; %bb.199:
	s_mov_b32 s2, exec_lo
                                        ; implicit-def: $vgpr44_vgpr45
	v_cmpx_ge_u32_e64 v18, v16
	s_xor_b32 s2, exec_lo, s2
	s_cbranch_execz .LBB1183_201
; %bb.200:
	s_wait_dscnt 0x1
	v_xor_b32_e32 v4, 0xfffff3ff, v0
                                        ; implicit-def: $vgpr18_vgpr19
	s_delay_alu instid0(VALU_DEP_1) | instskip(NEXT) | instid1(VALU_DEP_1)
	v_ashrrev_i32_e32 v5, 31, v4
	v_add_nc_u64_e32 v[44:45], v[42:43], v[4:5]
.LBB1183_201:
	s_and_not1_saveexec_b32 s2, s2
; %bb.202:
	v_add_nc_u64_e32 v[44:45], v[2:3], v[18:19]
; %bb.203:
	s_or_b32 exec_lo, exec_lo, s2
	s_delay_alu instid0(SALU_CYCLE_1)
	s_or_b32 s0, s0, exec_lo
.LBB1183_204:
	s_or_b32 exec_lo, exec_lo, s1
.LBB1183_205:
	s_and_saveexec_b32 s1, s0
	s_cbranch_execz .LBB1183_207
; %bb.206:
	s_wait_dscnt 0x1
	v_lshl_add_u64 v[4:5], v[44:45], 2, s[16:17]
	s_wait_dscnt 0x0
	global_store_b32 v[4:5], v46, off
.LBB1183_207:
	s_wait_xcnt 0x0
	s_or_b32 exec_lo, exec_lo, s1
	v_cmp_eq_u32_e32 vcc_lo, 0, v0
	s_and_b32 s0, vcc_lo, s22
	s_delay_alu instid0(SALU_CYCLE_1)
	s_and_saveexec_b32 s1, s0
	s_cbranch_execz .LBB1183_209
; %bb.208:
	v_mov_b32_e32 v17, 0
	s_delay_alu instid0(VALU_DEP_1)
	v_add_nc_u64_e32 v[0:1], v[2:3], v[16:17]
	global_store_b64 v17, v[0:1], s[8:9]
.LBB1183_209:
	s_sendmsg sendmsg(MSG_DEALLOC_VGPRS)
	s_endpgm
	.section	.rodata,"a",@progbits
	.p2align	6, 0x0
	.amdhsa_kernel _ZN7rocprim17ROCPRIM_400000_NS6detail17trampoline_kernelINS0_13select_configILj256ELj13ELNS0_17block_load_methodE3ELS4_3ELS4_3ELNS0_20block_scan_algorithmE0ELj4294967295EEENS1_25partition_config_selectorILNS1_17partition_subalgoE3EjNS0_10empty_typeEbEEZZNS1_14partition_implILS8_3ELb0ES6_jNS0_17counting_iteratorIjlEEPS9_SE_NS0_5tupleIJPjSE_EEENSF_IJSE_SE_EEES9_SG_JZNS1_25segmented_radix_sort_implINS0_14default_configELb0EPKdPdPKlPlN2at6native12_GLOBAL__N_18offset_tEEE10hipError_tPvRmT1_PNSt15iterator_traitsISY_E10value_typeET2_T3_PNSZ_IS14_E10value_typeET4_jRbjT5_S1A_jjP12ihipStream_tbEUljE_EEESV_SW_SX_S14_S18_S1A_T6_T7_T9_mT8_S1C_bDpT10_ENKUlT_T0_E_clISt17integral_constantIbLb0EES1P_EEDaS1K_S1L_EUlS1K_E_NS1_11comp_targetILNS1_3genE0ELNS1_11target_archE4294967295ELNS1_3gpuE0ELNS1_3repE0EEENS1_30default_config_static_selectorELNS0_4arch9wavefront6targetE0EEEvSY_
		.amdhsa_group_segment_fixed_size 13320
		.amdhsa_private_segment_fixed_size 0
		.amdhsa_kernarg_size 144
		.amdhsa_user_sgpr_count 2
		.amdhsa_user_sgpr_dispatch_ptr 0
		.amdhsa_user_sgpr_queue_ptr 0
		.amdhsa_user_sgpr_kernarg_segment_ptr 1
		.amdhsa_user_sgpr_dispatch_id 0
		.amdhsa_user_sgpr_kernarg_preload_length 0
		.amdhsa_user_sgpr_kernarg_preload_offset 0
		.amdhsa_user_sgpr_private_segment_size 0
		.amdhsa_wavefront_size32 1
		.amdhsa_uses_dynamic_stack 0
		.amdhsa_enable_private_segment 0
		.amdhsa_system_sgpr_workgroup_id_x 1
		.amdhsa_system_sgpr_workgroup_id_y 0
		.amdhsa_system_sgpr_workgroup_id_z 0
		.amdhsa_system_sgpr_workgroup_info 0
		.amdhsa_system_vgpr_workitem_id 0
		.amdhsa_next_free_vgpr 69
		.amdhsa_next_free_sgpr 26
		.amdhsa_named_barrier_count 0
		.amdhsa_reserve_vcc 1
		.amdhsa_float_round_mode_32 0
		.amdhsa_float_round_mode_16_64 0
		.amdhsa_float_denorm_mode_32 3
		.amdhsa_float_denorm_mode_16_64 3
		.amdhsa_fp16_overflow 0
		.amdhsa_memory_ordered 1
		.amdhsa_forward_progress 1
		.amdhsa_inst_pref_size 70
		.amdhsa_round_robin_scheduling 0
		.amdhsa_exception_fp_ieee_invalid_op 0
		.amdhsa_exception_fp_denorm_src 0
		.amdhsa_exception_fp_ieee_div_zero 0
		.amdhsa_exception_fp_ieee_overflow 0
		.amdhsa_exception_fp_ieee_underflow 0
		.amdhsa_exception_fp_ieee_inexact 0
		.amdhsa_exception_int_div_zero 0
	.end_amdhsa_kernel
	.section	.text._ZN7rocprim17ROCPRIM_400000_NS6detail17trampoline_kernelINS0_13select_configILj256ELj13ELNS0_17block_load_methodE3ELS4_3ELS4_3ELNS0_20block_scan_algorithmE0ELj4294967295EEENS1_25partition_config_selectorILNS1_17partition_subalgoE3EjNS0_10empty_typeEbEEZZNS1_14partition_implILS8_3ELb0ES6_jNS0_17counting_iteratorIjlEEPS9_SE_NS0_5tupleIJPjSE_EEENSF_IJSE_SE_EEES9_SG_JZNS1_25segmented_radix_sort_implINS0_14default_configELb0EPKdPdPKlPlN2at6native12_GLOBAL__N_18offset_tEEE10hipError_tPvRmT1_PNSt15iterator_traitsISY_E10value_typeET2_T3_PNSZ_IS14_E10value_typeET4_jRbjT5_S1A_jjP12ihipStream_tbEUljE_EEESV_SW_SX_S14_S18_S1A_T6_T7_T9_mT8_S1C_bDpT10_ENKUlT_T0_E_clISt17integral_constantIbLb0EES1P_EEDaS1K_S1L_EUlS1K_E_NS1_11comp_targetILNS1_3genE0ELNS1_11target_archE4294967295ELNS1_3gpuE0ELNS1_3repE0EEENS1_30default_config_static_selectorELNS0_4arch9wavefront6targetE0EEEvSY_,"axG",@progbits,_ZN7rocprim17ROCPRIM_400000_NS6detail17trampoline_kernelINS0_13select_configILj256ELj13ELNS0_17block_load_methodE3ELS4_3ELS4_3ELNS0_20block_scan_algorithmE0ELj4294967295EEENS1_25partition_config_selectorILNS1_17partition_subalgoE3EjNS0_10empty_typeEbEEZZNS1_14partition_implILS8_3ELb0ES6_jNS0_17counting_iteratorIjlEEPS9_SE_NS0_5tupleIJPjSE_EEENSF_IJSE_SE_EEES9_SG_JZNS1_25segmented_radix_sort_implINS0_14default_configELb0EPKdPdPKlPlN2at6native12_GLOBAL__N_18offset_tEEE10hipError_tPvRmT1_PNSt15iterator_traitsISY_E10value_typeET2_T3_PNSZ_IS14_E10value_typeET4_jRbjT5_S1A_jjP12ihipStream_tbEUljE_EEESV_SW_SX_S14_S18_S1A_T6_T7_T9_mT8_S1C_bDpT10_ENKUlT_T0_E_clISt17integral_constantIbLb0EES1P_EEDaS1K_S1L_EUlS1K_E_NS1_11comp_targetILNS1_3genE0ELNS1_11target_archE4294967295ELNS1_3gpuE0ELNS1_3repE0EEENS1_30default_config_static_selectorELNS0_4arch9wavefront6targetE0EEEvSY_,comdat
.Lfunc_end1183:
	.size	_ZN7rocprim17ROCPRIM_400000_NS6detail17trampoline_kernelINS0_13select_configILj256ELj13ELNS0_17block_load_methodE3ELS4_3ELS4_3ELNS0_20block_scan_algorithmE0ELj4294967295EEENS1_25partition_config_selectorILNS1_17partition_subalgoE3EjNS0_10empty_typeEbEEZZNS1_14partition_implILS8_3ELb0ES6_jNS0_17counting_iteratorIjlEEPS9_SE_NS0_5tupleIJPjSE_EEENSF_IJSE_SE_EEES9_SG_JZNS1_25segmented_radix_sort_implINS0_14default_configELb0EPKdPdPKlPlN2at6native12_GLOBAL__N_18offset_tEEE10hipError_tPvRmT1_PNSt15iterator_traitsISY_E10value_typeET2_T3_PNSZ_IS14_E10value_typeET4_jRbjT5_S1A_jjP12ihipStream_tbEUljE_EEESV_SW_SX_S14_S18_S1A_T6_T7_T9_mT8_S1C_bDpT10_ENKUlT_T0_E_clISt17integral_constantIbLb0EES1P_EEDaS1K_S1L_EUlS1K_E_NS1_11comp_targetILNS1_3genE0ELNS1_11target_archE4294967295ELNS1_3gpuE0ELNS1_3repE0EEENS1_30default_config_static_selectorELNS0_4arch9wavefront6targetE0EEEvSY_, .Lfunc_end1183-_ZN7rocprim17ROCPRIM_400000_NS6detail17trampoline_kernelINS0_13select_configILj256ELj13ELNS0_17block_load_methodE3ELS4_3ELS4_3ELNS0_20block_scan_algorithmE0ELj4294967295EEENS1_25partition_config_selectorILNS1_17partition_subalgoE3EjNS0_10empty_typeEbEEZZNS1_14partition_implILS8_3ELb0ES6_jNS0_17counting_iteratorIjlEEPS9_SE_NS0_5tupleIJPjSE_EEENSF_IJSE_SE_EEES9_SG_JZNS1_25segmented_radix_sort_implINS0_14default_configELb0EPKdPdPKlPlN2at6native12_GLOBAL__N_18offset_tEEE10hipError_tPvRmT1_PNSt15iterator_traitsISY_E10value_typeET2_T3_PNSZ_IS14_E10value_typeET4_jRbjT5_S1A_jjP12ihipStream_tbEUljE_EEESV_SW_SX_S14_S18_S1A_T6_T7_T9_mT8_S1C_bDpT10_ENKUlT_T0_E_clISt17integral_constantIbLb0EES1P_EEDaS1K_S1L_EUlS1K_E_NS1_11comp_targetILNS1_3genE0ELNS1_11target_archE4294967295ELNS1_3gpuE0ELNS1_3repE0EEENS1_30default_config_static_selectorELNS0_4arch9wavefront6targetE0EEEvSY_
                                        ; -- End function
	.set _ZN7rocprim17ROCPRIM_400000_NS6detail17trampoline_kernelINS0_13select_configILj256ELj13ELNS0_17block_load_methodE3ELS4_3ELS4_3ELNS0_20block_scan_algorithmE0ELj4294967295EEENS1_25partition_config_selectorILNS1_17partition_subalgoE3EjNS0_10empty_typeEbEEZZNS1_14partition_implILS8_3ELb0ES6_jNS0_17counting_iteratorIjlEEPS9_SE_NS0_5tupleIJPjSE_EEENSF_IJSE_SE_EEES9_SG_JZNS1_25segmented_radix_sort_implINS0_14default_configELb0EPKdPdPKlPlN2at6native12_GLOBAL__N_18offset_tEEE10hipError_tPvRmT1_PNSt15iterator_traitsISY_E10value_typeET2_T3_PNSZ_IS14_E10value_typeET4_jRbjT5_S1A_jjP12ihipStream_tbEUljE_EEESV_SW_SX_S14_S18_S1A_T6_T7_T9_mT8_S1C_bDpT10_ENKUlT_T0_E_clISt17integral_constantIbLb0EES1P_EEDaS1K_S1L_EUlS1K_E_NS1_11comp_targetILNS1_3genE0ELNS1_11target_archE4294967295ELNS1_3gpuE0ELNS1_3repE0EEENS1_30default_config_static_selectorELNS0_4arch9wavefront6targetE0EEEvSY_.num_vgpr, 69
	.set _ZN7rocprim17ROCPRIM_400000_NS6detail17trampoline_kernelINS0_13select_configILj256ELj13ELNS0_17block_load_methodE3ELS4_3ELS4_3ELNS0_20block_scan_algorithmE0ELj4294967295EEENS1_25partition_config_selectorILNS1_17partition_subalgoE3EjNS0_10empty_typeEbEEZZNS1_14partition_implILS8_3ELb0ES6_jNS0_17counting_iteratorIjlEEPS9_SE_NS0_5tupleIJPjSE_EEENSF_IJSE_SE_EEES9_SG_JZNS1_25segmented_radix_sort_implINS0_14default_configELb0EPKdPdPKlPlN2at6native12_GLOBAL__N_18offset_tEEE10hipError_tPvRmT1_PNSt15iterator_traitsISY_E10value_typeET2_T3_PNSZ_IS14_E10value_typeET4_jRbjT5_S1A_jjP12ihipStream_tbEUljE_EEESV_SW_SX_S14_S18_S1A_T6_T7_T9_mT8_S1C_bDpT10_ENKUlT_T0_E_clISt17integral_constantIbLb0EES1P_EEDaS1K_S1L_EUlS1K_E_NS1_11comp_targetILNS1_3genE0ELNS1_11target_archE4294967295ELNS1_3gpuE0ELNS1_3repE0EEENS1_30default_config_static_selectorELNS0_4arch9wavefront6targetE0EEEvSY_.num_agpr, 0
	.set _ZN7rocprim17ROCPRIM_400000_NS6detail17trampoline_kernelINS0_13select_configILj256ELj13ELNS0_17block_load_methodE3ELS4_3ELS4_3ELNS0_20block_scan_algorithmE0ELj4294967295EEENS1_25partition_config_selectorILNS1_17partition_subalgoE3EjNS0_10empty_typeEbEEZZNS1_14partition_implILS8_3ELb0ES6_jNS0_17counting_iteratorIjlEEPS9_SE_NS0_5tupleIJPjSE_EEENSF_IJSE_SE_EEES9_SG_JZNS1_25segmented_radix_sort_implINS0_14default_configELb0EPKdPdPKlPlN2at6native12_GLOBAL__N_18offset_tEEE10hipError_tPvRmT1_PNSt15iterator_traitsISY_E10value_typeET2_T3_PNSZ_IS14_E10value_typeET4_jRbjT5_S1A_jjP12ihipStream_tbEUljE_EEESV_SW_SX_S14_S18_S1A_T6_T7_T9_mT8_S1C_bDpT10_ENKUlT_T0_E_clISt17integral_constantIbLb0EES1P_EEDaS1K_S1L_EUlS1K_E_NS1_11comp_targetILNS1_3genE0ELNS1_11target_archE4294967295ELNS1_3gpuE0ELNS1_3repE0EEENS1_30default_config_static_selectorELNS0_4arch9wavefront6targetE0EEEvSY_.numbered_sgpr, 26
	.set _ZN7rocprim17ROCPRIM_400000_NS6detail17trampoline_kernelINS0_13select_configILj256ELj13ELNS0_17block_load_methodE3ELS4_3ELS4_3ELNS0_20block_scan_algorithmE0ELj4294967295EEENS1_25partition_config_selectorILNS1_17partition_subalgoE3EjNS0_10empty_typeEbEEZZNS1_14partition_implILS8_3ELb0ES6_jNS0_17counting_iteratorIjlEEPS9_SE_NS0_5tupleIJPjSE_EEENSF_IJSE_SE_EEES9_SG_JZNS1_25segmented_radix_sort_implINS0_14default_configELb0EPKdPdPKlPlN2at6native12_GLOBAL__N_18offset_tEEE10hipError_tPvRmT1_PNSt15iterator_traitsISY_E10value_typeET2_T3_PNSZ_IS14_E10value_typeET4_jRbjT5_S1A_jjP12ihipStream_tbEUljE_EEESV_SW_SX_S14_S18_S1A_T6_T7_T9_mT8_S1C_bDpT10_ENKUlT_T0_E_clISt17integral_constantIbLb0EES1P_EEDaS1K_S1L_EUlS1K_E_NS1_11comp_targetILNS1_3genE0ELNS1_11target_archE4294967295ELNS1_3gpuE0ELNS1_3repE0EEENS1_30default_config_static_selectorELNS0_4arch9wavefront6targetE0EEEvSY_.num_named_barrier, 0
	.set _ZN7rocprim17ROCPRIM_400000_NS6detail17trampoline_kernelINS0_13select_configILj256ELj13ELNS0_17block_load_methodE3ELS4_3ELS4_3ELNS0_20block_scan_algorithmE0ELj4294967295EEENS1_25partition_config_selectorILNS1_17partition_subalgoE3EjNS0_10empty_typeEbEEZZNS1_14partition_implILS8_3ELb0ES6_jNS0_17counting_iteratorIjlEEPS9_SE_NS0_5tupleIJPjSE_EEENSF_IJSE_SE_EEES9_SG_JZNS1_25segmented_radix_sort_implINS0_14default_configELb0EPKdPdPKlPlN2at6native12_GLOBAL__N_18offset_tEEE10hipError_tPvRmT1_PNSt15iterator_traitsISY_E10value_typeET2_T3_PNSZ_IS14_E10value_typeET4_jRbjT5_S1A_jjP12ihipStream_tbEUljE_EEESV_SW_SX_S14_S18_S1A_T6_T7_T9_mT8_S1C_bDpT10_ENKUlT_T0_E_clISt17integral_constantIbLb0EES1P_EEDaS1K_S1L_EUlS1K_E_NS1_11comp_targetILNS1_3genE0ELNS1_11target_archE4294967295ELNS1_3gpuE0ELNS1_3repE0EEENS1_30default_config_static_selectorELNS0_4arch9wavefront6targetE0EEEvSY_.private_seg_size, 0
	.set _ZN7rocprim17ROCPRIM_400000_NS6detail17trampoline_kernelINS0_13select_configILj256ELj13ELNS0_17block_load_methodE3ELS4_3ELS4_3ELNS0_20block_scan_algorithmE0ELj4294967295EEENS1_25partition_config_selectorILNS1_17partition_subalgoE3EjNS0_10empty_typeEbEEZZNS1_14partition_implILS8_3ELb0ES6_jNS0_17counting_iteratorIjlEEPS9_SE_NS0_5tupleIJPjSE_EEENSF_IJSE_SE_EEES9_SG_JZNS1_25segmented_radix_sort_implINS0_14default_configELb0EPKdPdPKlPlN2at6native12_GLOBAL__N_18offset_tEEE10hipError_tPvRmT1_PNSt15iterator_traitsISY_E10value_typeET2_T3_PNSZ_IS14_E10value_typeET4_jRbjT5_S1A_jjP12ihipStream_tbEUljE_EEESV_SW_SX_S14_S18_S1A_T6_T7_T9_mT8_S1C_bDpT10_ENKUlT_T0_E_clISt17integral_constantIbLb0EES1P_EEDaS1K_S1L_EUlS1K_E_NS1_11comp_targetILNS1_3genE0ELNS1_11target_archE4294967295ELNS1_3gpuE0ELNS1_3repE0EEENS1_30default_config_static_selectorELNS0_4arch9wavefront6targetE0EEEvSY_.uses_vcc, 1
	.set _ZN7rocprim17ROCPRIM_400000_NS6detail17trampoline_kernelINS0_13select_configILj256ELj13ELNS0_17block_load_methodE3ELS4_3ELS4_3ELNS0_20block_scan_algorithmE0ELj4294967295EEENS1_25partition_config_selectorILNS1_17partition_subalgoE3EjNS0_10empty_typeEbEEZZNS1_14partition_implILS8_3ELb0ES6_jNS0_17counting_iteratorIjlEEPS9_SE_NS0_5tupleIJPjSE_EEENSF_IJSE_SE_EEES9_SG_JZNS1_25segmented_radix_sort_implINS0_14default_configELb0EPKdPdPKlPlN2at6native12_GLOBAL__N_18offset_tEEE10hipError_tPvRmT1_PNSt15iterator_traitsISY_E10value_typeET2_T3_PNSZ_IS14_E10value_typeET4_jRbjT5_S1A_jjP12ihipStream_tbEUljE_EEESV_SW_SX_S14_S18_S1A_T6_T7_T9_mT8_S1C_bDpT10_ENKUlT_T0_E_clISt17integral_constantIbLb0EES1P_EEDaS1K_S1L_EUlS1K_E_NS1_11comp_targetILNS1_3genE0ELNS1_11target_archE4294967295ELNS1_3gpuE0ELNS1_3repE0EEENS1_30default_config_static_selectorELNS0_4arch9wavefront6targetE0EEEvSY_.uses_flat_scratch, 0
	.set _ZN7rocprim17ROCPRIM_400000_NS6detail17trampoline_kernelINS0_13select_configILj256ELj13ELNS0_17block_load_methodE3ELS4_3ELS4_3ELNS0_20block_scan_algorithmE0ELj4294967295EEENS1_25partition_config_selectorILNS1_17partition_subalgoE3EjNS0_10empty_typeEbEEZZNS1_14partition_implILS8_3ELb0ES6_jNS0_17counting_iteratorIjlEEPS9_SE_NS0_5tupleIJPjSE_EEENSF_IJSE_SE_EEES9_SG_JZNS1_25segmented_radix_sort_implINS0_14default_configELb0EPKdPdPKlPlN2at6native12_GLOBAL__N_18offset_tEEE10hipError_tPvRmT1_PNSt15iterator_traitsISY_E10value_typeET2_T3_PNSZ_IS14_E10value_typeET4_jRbjT5_S1A_jjP12ihipStream_tbEUljE_EEESV_SW_SX_S14_S18_S1A_T6_T7_T9_mT8_S1C_bDpT10_ENKUlT_T0_E_clISt17integral_constantIbLb0EES1P_EEDaS1K_S1L_EUlS1K_E_NS1_11comp_targetILNS1_3genE0ELNS1_11target_archE4294967295ELNS1_3gpuE0ELNS1_3repE0EEENS1_30default_config_static_selectorELNS0_4arch9wavefront6targetE0EEEvSY_.has_dyn_sized_stack, 0
	.set _ZN7rocprim17ROCPRIM_400000_NS6detail17trampoline_kernelINS0_13select_configILj256ELj13ELNS0_17block_load_methodE3ELS4_3ELS4_3ELNS0_20block_scan_algorithmE0ELj4294967295EEENS1_25partition_config_selectorILNS1_17partition_subalgoE3EjNS0_10empty_typeEbEEZZNS1_14partition_implILS8_3ELb0ES6_jNS0_17counting_iteratorIjlEEPS9_SE_NS0_5tupleIJPjSE_EEENSF_IJSE_SE_EEES9_SG_JZNS1_25segmented_radix_sort_implINS0_14default_configELb0EPKdPdPKlPlN2at6native12_GLOBAL__N_18offset_tEEE10hipError_tPvRmT1_PNSt15iterator_traitsISY_E10value_typeET2_T3_PNSZ_IS14_E10value_typeET4_jRbjT5_S1A_jjP12ihipStream_tbEUljE_EEESV_SW_SX_S14_S18_S1A_T6_T7_T9_mT8_S1C_bDpT10_ENKUlT_T0_E_clISt17integral_constantIbLb0EES1P_EEDaS1K_S1L_EUlS1K_E_NS1_11comp_targetILNS1_3genE0ELNS1_11target_archE4294967295ELNS1_3gpuE0ELNS1_3repE0EEENS1_30default_config_static_selectorELNS0_4arch9wavefront6targetE0EEEvSY_.has_recursion, 0
	.set _ZN7rocprim17ROCPRIM_400000_NS6detail17trampoline_kernelINS0_13select_configILj256ELj13ELNS0_17block_load_methodE3ELS4_3ELS4_3ELNS0_20block_scan_algorithmE0ELj4294967295EEENS1_25partition_config_selectorILNS1_17partition_subalgoE3EjNS0_10empty_typeEbEEZZNS1_14partition_implILS8_3ELb0ES6_jNS0_17counting_iteratorIjlEEPS9_SE_NS0_5tupleIJPjSE_EEENSF_IJSE_SE_EEES9_SG_JZNS1_25segmented_radix_sort_implINS0_14default_configELb0EPKdPdPKlPlN2at6native12_GLOBAL__N_18offset_tEEE10hipError_tPvRmT1_PNSt15iterator_traitsISY_E10value_typeET2_T3_PNSZ_IS14_E10value_typeET4_jRbjT5_S1A_jjP12ihipStream_tbEUljE_EEESV_SW_SX_S14_S18_S1A_T6_T7_T9_mT8_S1C_bDpT10_ENKUlT_T0_E_clISt17integral_constantIbLb0EES1P_EEDaS1K_S1L_EUlS1K_E_NS1_11comp_targetILNS1_3genE0ELNS1_11target_archE4294967295ELNS1_3gpuE0ELNS1_3repE0EEENS1_30default_config_static_selectorELNS0_4arch9wavefront6targetE0EEEvSY_.has_indirect_call, 0
	.section	.AMDGPU.csdata,"",@progbits
; Kernel info:
; codeLenInByte = 8920
; TotalNumSgprs: 28
; NumVgprs: 69
; ScratchSize: 0
; MemoryBound: 0
; FloatMode: 240
; IeeeMode: 1
; LDSByteSize: 13320 bytes/workgroup (compile time only)
; SGPRBlocks: 0
; VGPRBlocks: 4
; NumSGPRsForWavesPerEU: 28
; NumVGPRsForWavesPerEU: 69
; NamedBarCnt: 0
; Occupancy: 12
; WaveLimiterHint : 0
; COMPUTE_PGM_RSRC2:SCRATCH_EN: 0
; COMPUTE_PGM_RSRC2:USER_SGPR: 2
; COMPUTE_PGM_RSRC2:TRAP_HANDLER: 0
; COMPUTE_PGM_RSRC2:TGID_X_EN: 1
; COMPUTE_PGM_RSRC2:TGID_Y_EN: 0
; COMPUTE_PGM_RSRC2:TGID_Z_EN: 0
; COMPUTE_PGM_RSRC2:TIDIG_COMP_CNT: 0
	.section	.text._ZN7rocprim17ROCPRIM_400000_NS6detail17trampoline_kernelINS0_13select_configILj256ELj13ELNS0_17block_load_methodE3ELS4_3ELS4_3ELNS0_20block_scan_algorithmE0ELj4294967295EEENS1_25partition_config_selectorILNS1_17partition_subalgoE3EjNS0_10empty_typeEbEEZZNS1_14partition_implILS8_3ELb0ES6_jNS0_17counting_iteratorIjlEEPS9_SE_NS0_5tupleIJPjSE_EEENSF_IJSE_SE_EEES9_SG_JZNS1_25segmented_radix_sort_implINS0_14default_configELb0EPKdPdPKlPlN2at6native12_GLOBAL__N_18offset_tEEE10hipError_tPvRmT1_PNSt15iterator_traitsISY_E10value_typeET2_T3_PNSZ_IS14_E10value_typeET4_jRbjT5_S1A_jjP12ihipStream_tbEUljE_EEESV_SW_SX_S14_S18_S1A_T6_T7_T9_mT8_S1C_bDpT10_ENKUlT_T0_E_clISt17integral_constantIbLb0EES1P_EEDaS1K_S1L_EUlS1K_E_NS1_11comp_targetILNS1_3genE5ELNS1_11target_archE942ELNS1_3gpuE9ELNS1_3repE0EEENS1_30default_config_static_selectorELNS0_4arch9wavefront6targetE0EEEvSY_,"axG",@progbits,_ZN7rocprim17ROCPRIM_400000_NS6detail17trampoline_kernelINS0_13select_configILj256ELj13ELNS0_17block_load_methodE3ELS4_3ELS4_3ELNS0_20block_scan_algorithmE0ELj4294967295EEENS1_25partition_config_selectorILNS1_17partition_subalgoE3EjNS0_10empty_typeEbEEZZNS1_14partition_implILS8_3ELb0ES6_jNS0_17counting_iteratorIjlEEPS9_SE_NS0_5tupleIJPjSE_EEENSF_IJSE_SE_EEES9_SG_JZNS1_25segmented_radix_sort_implINS0_14default_configELb0EPKdPdPKlPlN2at6native12_GLOBAL__N_18offset_tEEE10hipError_tPvRmT1_PNSt15iterator_traitsISY_E10value_typeET2_T3_PNSZ_IS14_E10value_typeET4_jRbjT5_S1A_jjP12ihipStream_tbEUljE_EEESV_SW_SX_S14_S18_S1A_T6_T7_T9_mT8_S1C_bDpT10_ENKUlT_T0_E_clISt17integral_constantIbLb0EES1P_EEDaS1K_S1L_EUlS1K_E_NS1_11comp_targetILNS1_3genE5ELNS1_11target_archE942ELNS1_3gpuE9ELNS1_3repE0EEENS1_30default_config_static_selectorELNS0_4arch9wavefront6targetE0EEEvSY_,comdat
	.globl	_ZN7rocprim17ROCPRIM_400000_NS6detail17trampoline_kernelINS0_13select_configILj256ELj13ELNS0_17block_load_methodE3ELS4_3ELS4_3ELNS0_20block_scan_algorithmE0ELj4294967295EEENS1_25partition_config_selectorILNS1_17partition_subalgoE3EjNS0_10empty_typeEbEEZZNS1_14partition_implILS8_3ELb0ES6_jNS0_17counting_iteratorIjlEEPS9_SE_NS0_5tupleIJPjSE_EEENSF_IJSE_SE_EEES9_SG_JZNS1_25segmented_radix_sort_implINS0_14default_configELb0EPKdPdPKlPlN2at6native12_GLOBAL__N_18offset_tEEE10hipError_tPvRmT1_PNSt15iterator_traitsISY_E10value_typeET2_T3_PNSZ_IS14_E10value_typeET4_jRbjT5_S1A_jjP12ihipStream_tbEUljE_EEESV_SW_SX_S14_S18_S1A_T6_T7_T9_mT8_S1C_bDpT10_ENKUlT_T0_E_clISt17integral_constantIbLb0EES1P_EEDaS1K_S1L_EUlS1K_E_NS1_11comp_targetILNS1_3genE5ELNS1_11target_archE942ELNS1_3gpuE9ELNS1_3repE0EEENS1_30default_config_static_selectorELNS0_4arch9wavefront6targetE0EEEvSY_ ; -- Begin function _ZN7rocprim17ROCPRIM_400000_NS6detail17trampoline_kernelINS0_13select_configILj256ELj13ELNS0_17block_load_methodE3ELS4_3ELS4_3ELNS0_20block_scan_algorithmE0ELj4294967295EEENS1_25partition_config_selectorILNS1_17partition_subalgoE3EjNS0_10empty_typeEbEEZZNS1_14partition_implILS8_3ELb0ES6_jNS0_17counting_iteratorIjlEEPS9_SE_NS0_5tupleIJPjSE_EEENSF_IJSE_SE_EEES9_SG_JZNS1_25segmented_radix_sort_implINS0_14default_configELb0EPKdPdPKlPlN2at6native12_GLOBAL__N_18offset_tEEE10hipError_tPvRmT1_PNSt15iterator_traitsISY_E10value_typeET2_T3_PNSZ_IS14_E10value_typeET4_jRbjT5_S1A_jjP12ihipStream_tbEUljE_EEESV_SW_SX_S14_S18_S1A_T6_T7_T9_mT8_S1C_bDpT10_ENKUlT_T0_E_clISt17integral_constantIbLb0EES1P_EEDaS1K_S1L_EUlS1K_E_NS1_11comp_targetILNS1_3genE5ELNS1_11target_archE942ELNS1_3gpuE9ELNS1_3repE0EEENS1_30default_config_static_selectorELNS0_4arch9wavefront6targetE0EEEvSY_
	.p2align	8
	.type	_ZN7rocprim17ROCPRIM_400000_NS6detail17trampoline_kernelINS0_13select_configILj256ELj13ELNS0_17block_load_methodE3ELS4_3ELS4_3ELNS0_20block_scan_algorithmE0ELj4294967295EEENS1_25partition_config_selectorILNS1_17partition_subalgoE3EjNS0_10empty_typeEbEEZZNS1_14partition_implILS8_3ELb0ES6_jNS0_17counting_iteratorIjlEEPS9_SE_NS0_5tupleIJPjSE_EEENSF_IJSE_SE_EEES9_SG_JZNS1_25segmented_radix_sort_implINS0_14default_configELb0EPKdPdPKlPlN2at6native12_GLOBAL__N_18offset_tEEE10hipError_tPvRmT1_PNSt15iterator_traitsISY_E10value_typeET2_T3_PNSZ_IS14_E10value_typeET4_jRbjT5_S1A_jjP12ihipStream_tbEUljE_EEESV_SW_SX_S14_S18_S1A_T6_T7_T9_mT8_S1C_bDpT10_ENKUlT_T0_E_clISt17integral_constantIbLb0EES1P_EEDaS1K_S1L_EUlS1K_E_NS1_11comp_targetILNS1_3genE5ELNS1_11target_archE942ELNS1_3gpuE9ELNS1_3repE0EEENS1_30default_config_static_selectorELNS0_4arch9wavefront6targetE0EEEvSY_,@function
_ZN7rocprim17ROCPRIM_400000_NS6detail17trampoline_kernelINS0_13select_configILj256ELj13ELNS0_17block_load_methodE3ELS4_3ELS4_3ELNS0_20block_scan_algorithmE0ELj4294967295EEENS1_25partition_config_selectorILNS1_17partition_subalgoE3EjNS0_10empty_typeEbEEZZNS1_14partition_implILS8_3ELb0ES6_jNS0_17counting_iteratorIjlEEPS9_SE_NS0_5tupleIJPjSE_EEENSF_IJSE_SE_EEES9_SG_JZNS1_25segmented_radix_sort_implINS0_14default_configELb0EPKdPdPKlPlN2at6native12_GLOBAL__N_18offset_tEEE10hipError_tPvRmT1_PNSt15iterator_traitsISY_E10value_typeET2_T3_PNSZ_IS14_E10value_typeET4_jRbjT5_S1A_jjP12ihipStream_tbEUljE_EEESV_SW_SX_S14_S18_S1A_T6_T7_T9_mT8_S1C_bDpT10_ENKUlT_T0_E_clISt17integral_constantIbLb0EES1P_EEDaS1K_S1L_EUlS1K_E_NS1_11comp_targetILNS1_3genE5ELNS1_11target_archE942ELNS1_3gpuE9ELNS1_3repE0EEENS1_30default_config_static_selectorELNS0_4arch9wavefront6targetE0EEEvSY_: ; @_ZN7rocprim17ROCPRIM_400000_NS6detail17trampoline_kernelINS0_13select_configILj256ELj13ELNS0_17block_load_methodE3ELS4_3ELS4_3ELNS0_20block_scan_algorithmE0ELj4294967295EEENS1_25partition_config_selectorILNS1_17partition_subalgoE3EjNS0_10empty_typeEbEEZZNS1_14partition_implILS8_3ELb0ES6_jNS0_17counting_iteratorIjlEEPS9_SE_NS0_5tupleIJPjSE_EEENSF_IJSE_SE_EEES9_SG_JZNS1_25segmented_radix_sort_implINS0_14default_configELb0EPKdPdPKlPlN2at6native12_GLOBAL__N_18offset_tEEE10hipError_tPvRmT1_PNSt15iterator_traitsISY_E10value_typeET2_T3_PNSZ_IS14_E10value_typeET4_jRbjT5_S1A_jjP12ihipStream_tbEUljE_EEESV_SW_SX_S14_S18_S1A_T6_T7_T9_mT8_S1C_bDpT10_ENKUlT_T0_E_clISt17integral_constantIbLb0EES1P_EEDaS1K_S1L_EUlS1K_E_NS1_11comp_targetILNS1_3genE5ELNS1_11target_archE942ELNS1_3gpuE9ELNS1_3repE0EEENS1_30default_config_static_selectorELNS0_4arch9wavefront6targetE0EEEvSY_
; %bb.0:
	.section	.rodata,"a",@progbits
	.p2align	6, 0x0
	.amdhsa_kernel _ZN7rocprim17ROCPRIM_400000_NS6detail17trampoline_kernelINS0_13select_configILj256ELj13ELNS0_17block_load_methodE3ELS4_3ELS4_3ELNS0_20block_scan_algorithmE0ELj4294967295EEENS1_25partition_config_selectorILNS1_17partition_subalgoE3EjNS0_10empty_typeEbEEZZNS1_14partition_implILS8_3ELb0ES6_jNS0_17counting_iteratorIjlEEPS9_SE_NS0_5tupleIJPjSE_EEENSF_IJSE_SE_EEES9_SG_JZNS1_25segmented_radix_sort_implINS0_14default_configELb0EPKdPdPKlPlN2at6native12_GLOBAL__N_18offset_tEEE10hipError_tPvRmT1_PNSt15iterator_traitsISY_E10value_typeET2_T3_PNSZ_IS14_E10value_typeET4_jRbjT5_S1A_jjP12ihipStream_tbEUljE_EEESV_SW_SX_S14_S18_S1A_T6_T7_T9_mT8_S1C_bDpT10_ENKUlT_T0_E_clISt17integral_constantIbLb0EES1P_EEDaS1K_S1L_EUlS1K_E_NS1_11comp_targetILNS1_3genE5ELNS1_11target_archE942ELNS1_3gpuE9ELNS1_3repE0EEENS1_30default_config_static_selectorELNS0_4arch9wavefront6targetE0EEEvSY_
		.amdhsa_group_segment_fixed_size 0
		.amdhsa_private_segment_fixed_size 0
		.amdhsa_kernarg_size 144
		.amdhsa_user_sgpr_count 2
		.amdhsa_user_sgpr_dispatch_ptr 0
		.amdhsa_user_sgpr_queue_ptr 0
		.amdhsa_user_sgpr_kernarg_segment_ptr 1
		.amdhsa_user_sgpr_dispatch_id 0
		.amdhsa_user_sgpr_kernarg_preload_length 0
		.amdhsa_user_sgpr_kernarg_preload_offset 0
		.amdhsa_user_sgpr_private_segment_size 0
		.amdhsa_wavefront_size32 1
		.amdhsa_uses_dynamic_stack 0
		.amdhsa_enable_private_segment 0
		.amdhsa_system_sgpr_workgroup_id_x 1
		.amdhsa_system_sgpr_workgroup_id_y 0
		.amdhsa_system_sgpr_workgroup_id_z 0
		.amdhsa_system_sgpr_workgroup_info 0
		.amdhsa_system_vgpr_workitem_id 0
		.amdhsa_next_free_vgpr 1
		.amdhsa_next_free_sgpr 1
		.amdhsa_named_barrier_count 0
		.amdhsa_reserve_vcc 0
		.amdhsa_float_round_mode_32 0
		.amdhsa_float_round_mode_16_64 0
		.amdhsa_float_denorm_mode_32 3
		.amdhsa_float_denorm_mode_16_64 3
		.amdhsa_fp16_overflow 0
		.amdhsa_memory_ordered 1
		.amdhsa_forward_progress 1
		.amdhsa_inst_pref_size 0
		.amdhsa_round_robin_scheduling 0
		.amdhsa_exception_fp_ieee_invalid_op 0
		.amdhsa_exception_fp_denorm_src 0
		.amdhsa_exception_fp_ieee_div_zero 0
		.amdhsa_exception_fp_ieee_overflow 0
		.amdhsa_exception_fp_ieee_underflow 0
		.amdhsa_exception_fp_ieee_inexact 0
		.amdhsa_exception_int_div_zero 0
	.end_amdhsa_kernel
	.section	.text._ZN7rocprim17ROCPRIM_400000_NS6detail17trampoline_kernelINS0_13select_configILj256ELj13ELNS0_17block_load_methodE3ELS4_3ELS4_3ELNS0_20block_scan_algorithmE0ELj4294967295EEENS1_25partition_config_selectorILNS1_17partition_subalgoE3EjNS0_10empty_typeEbEEZZNS1_14partition_implILS8_3ELb0ES6_jNS0_17counting_iteratorIjlEEPS9_SE_NS0_5tupleIJPjSE_EEENSF_IJSE_SE_EEES9_SG_JZNS1_25segmented_radix_sort_implINS0_14default_configELb0EPKdPdPKlPlN2at6native12_GLOBAL__N_18offset_tEEE10hipError_tPvRmT1_PNSt15iterator_traitsISY_E10value_typeET2_T3_PNSZ_IS14_E10value_typeET4_jRbjT5_S1A_jjP12ihipStream_tbEUljE_EEESV_SW_SX_S14_S18_S1A_T6_T7_T9_mT8_S1C_bDpT10_ENKUlT_T0_E_clISt17integral_constantIbLb0EES1P_EEDaS1K_S1L_EUlS1K_E_NS1_11comp_targetILNS1_3genE5ELNS1_11target_archE942ELNS1_3gpuE9ELNS1_3repE0EEENS1_30default_config_static_selectorELNS0_4arch9wavefront6targetE0EEEvSY_,"axG",@progbits,_ZN7rocprim17ROCPRIM_400000_NS6detail17trampoline_kernelINS0_13select_configILj256ELj13ELNS0_17block_load_methodE3ELS4_3ELS4_3ELNS0_20block_scan_algorithmE0ELj4294967295EEENS1_25partition_config_selectorILNS1_17partition_subalgoE3EjNS0_10empty_typeEbEEZZNS1_14partition_implILS8_3ELb0ES6_jNS0_17counting_iteratorIjlEEPS9_SE_NS0_5tupleIJPjSE_EEENSF_IJSE_SE_EEES9_SG_JZNS1_25segmented_radix_sort_implINS0_14default_configELb0EPKdPdPKlPlN2at6native12_GLOBAL__N_18offset_tEEE10hipError_tPvRmT1_PNSt15iterator_traitsISY_E10value_typeET2_T3_PNSZ_IS14_E10value_typeET4_jRbjT5_S1A_jjP12ihipStream_tbEUljE_EEESV_SW_SX_S14_S18_S1A_T6_T7_T9_mT8_S1C_bDpT10_ENKUlT_T0_E_clISt17integral_constantIbLb0EES1P_EEDaS1K_S1L_EUlS1K_E_NS1_11comp_targetILNS1_3genE5ELNS1_11target_archE942ELNS1_3gpuE9ELNS1_3repE0EEENS1_30default_config_static_selectorELNS0_4arch9wavefront6targetE0EEEvSY_,comdat
.Lfunc_end1184:
	.size	_ZN7rocprim17ROCPRIM_400000_NS6detail17trampoline_kernelINS0_13select_configILj256ELj13ELNS0_17block_load_methodE3ELS4_3ELS4_3ELNS0_20block_scan_algorithmE0ELj4294967295EEENS1_25partition_config_selectorILNS1_17partition_subalgoE3EjNS0_10empty_typeEbEEZZNS1_14partition_implILS8_3ELb0ES6_jNS0_17counting_iteratorIjlEEPS9_SE_NS0_5tupleIJPjSE_EEENSF_IJSE_SE_EEES9_SG_JZNS1_25segmented_radix_sort_implINS0_14default_configELb0EPKdPdPKlPlN2at6native12_GLOBAL__N_18offset_tEEE10hipError_tPvRmT1_PNSt15iterator_traitsISY_E10value_typeET2_T3_PNSZ_IS14_E10value_typeET4_jRbjT5_S1A_jjP12ihipStream_tbEUljE_EEESV_SW_SX_S14_S18_S1A_T6_T7_T9_mT8_S1C_bDpT10_ENKUlT_T0_E_clISt17integral_constantIbLb0EES1P_EEDaS1K_S1L_EUlS1K_E_NS1_11comp_targetILNS1_3genE5ELNS1_11target_archE942ELNS1_3gpuE9ELNS1_3repE0EEENS1_30default_config_static_selectorELNS0_4arch9wavefront6targetE0EEEvSY_, .Lfunc_end1184-_ZN7rocprim17ROCPRIM_400000_NS6detail17trampoline_kernelINS0_13select_configILj256ELj13ELNS0_17block_load_methodE3ELS4_3ELS4_3ELNS0_20block_scan_algorithmE0ELj4294967295EEENS1_25partition_config_selectorILNS1_17partition_subalgoE3EjNS0_10empty_typeEbEEZZNS1_14partition_implILS8_3ELb0ES6_jNS0_17counting_iteratorIjlEEPS9_SE_NS0_5tupleIJPjSE_EEENSF_IJSE_SE_EEES9_SG_JZNS1_25segmented_radix_sort_implINS0_14default_configELb0EPKdPdPKlPlN2at6native12_GLOBAL__N_18offset_tEEE10hipError_tPvRmT1_PNSt15iterator_traitsISY_E10value_typeET2_T3_PNSZ_IS14_E10value_typeET4_jRbjT5_S1A_jjP12ihipStream_tbEUljE_EEESV_SW_SX_S14_S18_S1A_T6_T7_T9_mT8_S1C_bDpT10_ENKUlT_T0_E_clISt17integral_constantIbLb0EES1P_EEDaS1K_S1L_EUlS1K_E_NS1_11comp_targetILNS1_3genE5ELNS1_11target_archE942ELNS1_3gpuE9ELNS1_3repE0EEENS1_30default_config_static_selectorELNS0_4arch9wavefront6targetE0EEEvSY_
                                        ; -- End function
	.set _ZN7rocprim17ROCPRIM_400000_NS6detail17trampoline_kernelINS0_13select_configILj256ELj13ELNS0_17block_load_methodE3ELS4_3ELS4_3ELNS0_20block_scan_algorithmE0ELj4294967295EEENS1_25partition_config_selectorILNS1_17partition_subalgoE3EjNS0_10empty_typeEbEEZZNS1_14partition_implILS8_3ELb0ES6_jNS0_17counting_iteratorIjlEEPS9_SE_NS0_5tupleIJPjSE_EEENSF_IJSE_SE_EEES9_SG_JZNS1_25segmented_radix_sort_implINS0_14default_configELb0EPKdPdPKlPlN2at6native12_GLOBAL__N_18offset_tEEE10hipError_tPvRmT1_PNSt15iterator_traitsISY_E10value_typeET2_T3_PNSZ_IS14_E10value_typeET4_jRbjT5_S1A_jjP12ihipStream_tbEUljE_EEESV_SW_SX_S14_S18_S1A_T6_T7_T9_mT8_S1C_bDpT10_ENKUlT_T0_E_clISt17integral_constantIbLb0EES1P_EEDaS1K_S1L_EUlS1K_E_NS1_11comp_targetILNS1_3genE5ELNS1_11target_archE942ELNS1_3gpuE9ELNS1_3repE0EEENS1_30default_config_static_selectorELNS0_4arch9wavefront6targetE0EEEvSY_.num_vgpr, 0
	.set _ZN7rocprim17ROCPRIM_400000_NS6detail17trampoline_kernelINS0_13select_configILj256ELj13ELNS0_17block_load_methodE3ELS4_3ELS4_3ELNS0_20block_scan_algorithmE0ELj4294967295EEENS1_25partition_config_selectorILNS1_17partition_subalgoE3EjNS0_10empty_typeEbEEZZNS1_14partition_implILS8_3ELb0ES6_jNS0_17counting_iteratorIjlEEPS9_SE_NS0_5tupleIJPjSE_EEENSF_IJSE_SE_EEES9_SG_JZNS1_25segmented_radix_sort_implINS0_14default_configELb0EPKdPdPKlPlN2at6native12_GLOBAL__N_18offset_tEEE10hipError_tPvRmT1_PNSt15iterator_traitsISY_E10value_typeET2_T3_PNSZ_IS14_E10value_typeET4_jRbjT5_S1A_jjP12ihipStream_tbEUljE_EEESV_SW_SX_S14_S18_S1A_T6_T7_T9_mT8_S1C_bDpT10_ENKUlT_T0_E_clISt17integral_constantIbLb0EES1P_EEDaS1K_S1L_EUlS1K_E_NS1_11comp_targetILNS1_3genE5ELNS1_11target_archE942ELNS1_3gpuE9ELNS1_3repE0EEENS1_30default_config_static_selectorELNS0_4arch9wavefront6targetE0EEEvSY_.num_agpr, 0
	.set _ZN7rocprim17ROCPRIM_400000_NS6detail17trampoline_kernelINS0_13select_configILj256ELj13ELNS0_17block_load_methodE3ELS4_3ELS4_3ELNS0_20block_scan_algorithmE0ELj4294967295EEENS1_25partition_config_selectorILNS1_17partition_subalgoE3EjNS0_10empty_typeEbEEZZNS1_14partition_implILS8_3ELb0ES6_jNS0_17counting_iteratorIjlEEPS9_SE_NS0_5tupleIJPjSE_EEENSF_IJSE_SE_EEES9_SG_JZNS1_25segmented_radix_sort_implINS0_14default_configELb0EPKdPdPKlPlN2at6native12_GLOBAL__N_18offset_tEEE10hipError_tPvRmT1_PNSt15iterator_traitsISY_E10value_typeET2_T3_PNSZ_IS14_E10value_typeET4_jRbjT5_S1A_jjP12ihipStream_tbEUljE_EEESV_SW_SX_S14_S18_S1A_T6_T7_T9_mT8_S1C_bDpT10_ENKUlT_T0_E_clISt17integral_constantIbLb0EES1P_EEDaS1K_S1L_EUlS1K_E_NS1_11comp_targetILNS1_3genE5ELNS1_11target_archE942ELNS1_3gpuE9ELNS1_3repE0EEENS1_30default_config_static_selectorELNS0_4arch9wavefront6targetE0EEEvSY_.numbered_sgpr, 0
	.set _ZN7rocprim17ROCPRIM_400000_NS6detail17trampoline_kernelINS0_13select_configILj256ELj13ELNS0_17block_load_methodE3ELS4_3ELS4_3ELNS0_20block_scan_algorithmE0ELj4294967295EEENS1_25partition_config_selectorILNS1_17partition_subalgoE3EjNS0_10empty_typeEbEEZZNS1_14partition_implILS8_3ELb0ES6_jNS0_17counting_iteratorIjlEEPS9_SE_NS0_5tupleIJPjSE_EEENSF_IJSE_SE_EEES9_SG_JZNS1_25segmented_radix_sort_implINS0_14default_configELb0EPKdPdPKlPlN2at6native12_GLOBAL__N_18offset_tEEE10hipError_tPvRmT1_PNSt15iterator_traitsISY_E10value_typeET2_T3_PNSZ_IS14_E10value_typeET4_jRbjT5_S1A_jjP12ihipStream_tbEUljE_EEESV_SW_SX_S14_S18_S1A_T6_T7_T9_mT8_S1C_bDpT10_ENKUlT_T0_E_clISt17integral_constantIbLb0EES1P_EEDaS1K_S1L_EUlS1K_E_NS1_11comp_targetILNS1_3genE5ELNS1_11target_archE942ELNS1_3gpuE9ELNS1_3repE0EEENS1_30default_config_static_selectorELNS0_4arch9wavefront6targetE0EEEvSY_.num_named_barrier, 0
	.set _ZN7rocprim17ROCPRIM_400000_NS6detail17trampoline_kernelINS0_13select_configILj256ELj13ELNS0_17block_load_methodE3ELS4_3ELS4_3ELNS0_20block_scan_algorithmE0ELj4294967295EEENS1_25partition_config_selectorILNS1_17partition_subalgoE3EjNS0_10empty_typeEbEEZZNS1_14partition_implILS8_3ELb0ES6_jNS0_17counting_iteratorIjlEEPS9_SE_NS0_5tupleIJPjSE_EEENSF_IJSE_SE_EEES9_SG_JZNS1_25segmented_radix_sort_implINS0_14default_configELb0EPKdPdPKlPlN2at6native12_GLOBAL__N_18offset_tEEE10hipError_tPvRmT1_PNSt15iterator_traitsISY_E10value_typeET2_T3_PNSZ_IS14_E10value_typeET4_jRbjT5_S1A_jjP12ihipStream_tbEUljE_EEESV_SW_SX_S14_S18_S1A_T6_T7_T9_mT8_S1C_bDpT10_ENKUlT_T0_E_clISt17integral_constantIbLb0EES1P_EEDaS1K_S1L_EUlS1K_E_NS1_11comp_targetILNS1_3genE5ELNS1_11target_archE942ELNS1_3gpuE9ELNS1_3repE0EEENS1_30default_config_static_selectorELNS0_4arch9wavefront6targetE0EEEvSY_.private_seg_size, 0
	.set _ZN7rocprim17ROCPRIM_400000_NS6detail17trampoline_kernelINS0_13select_configILj256ELj13ELNS0_17block_load_methodE3ELS4_3ELS4_3ELNS0_20block_scan_algorithmE0ELj4294967295EEENS1_25partition_config_selectorILNS1_17partition_subalgoE3EjNS0_10empty_typeEbEEZZNS1_14partition_implILS8_3ELb0ES6_jNS0_17counting_iteratorIjlEEPS9_SE_NS0_5tupleIJPjSE_EEENSF_IJSE_SE_EEES9_SG_JZNS1_25segmented_radix_sort_implINS0_14default_configELb0EPKdPdPKlPlN2at6native12_GLOBAL__N_18offset_tEEE10hipError_tPvRmT1_PNSt15iterator_traitsISY_E10value_typeET2_T3_PNSZ_IS14_E10value_typeET4_jRbjT5_S1A_jjP12ihipStream_tbEUljE_EEESV_SW_SX_S14_S18_S1A_T6_T7_T9_mT8_S1C_bDpT10_ENKUlT_T0_E_clISt17integral_constantIbLb0EES1P_EEDaS1K_S1L_EUlS1K_E_NS1_11comp_targetILNS1_3genE5ELNS1_11target_archE942ELNS1_3gpuE9ELNS1_3repE0EEENS1_30default_config_static_selectorELNS0_4arch9wavefront6targetE0EEEvSY_.uses_vcc, 0
	.set _ZN7rocprim17ROCPRIM_400000_NS6detail17trampoline_kernelINS0_13select_configILj256ELj13ELNS0_17block_load_methodE3ELS4_3ELS4_3ELNS0_20block_scan_algorithmE0ELj4294967295EEENS1_25partition_config_selectorILNS1_17partition_subalgoE3EjNS0_10empty_typeEbEEZZNS1_14partition_implILS8_3ELb0ES6_jNS0_17counting_iteratorIjlEEPS9_SE_NS0_5tupleIJPjSE_EEENSF_IJSE_SE_EEES9_SG_JZNS1_25segmented_radix_sort_implINS0_14default_configELb0EPKdPdPKlPlN2at6native12_GLOBAL__N_18offset_tEEE10hipError_tPvRmT1_PNSt15iterator_traitsISY_E10value_typeET2_T3_PNSZ_IS14_E10value_typeET4_jRbjT5_S1A_jjP12ihipStream_tbEUljE_EEESV_SW_SX_S14_S18_S1A_T6_T7_T9_mT8_S1C_bDpT10_ENKUlT_T0_E_clISt17integral_constantIbLb0EES1P_EEDaS1K_S1L_EUlS1K_E_NS1_11comp_targetILNS1_3genE5ELNS1_11target_archE942ELNS1_3gpuE9ELNS1_3repE0EEENS1_30default_config_static_selectorELNS0_4arch9wavefront6targetE0EEEvSY_.uses_flat_scratch, 0
	.set _ZN7rocprim17ROCPRIM_400000_NS6detail17trampoline_kernelINS0_13select_configILj256ELj13ELNS0_17block_load_methodE3ELS4_3ELS4_3ELNS0_20block_scan_algorithmE0ELj4294967295EEENS1_25partition_config_selectorILNS1_17partition_subalgoE3EjNS0_10empty_typeEbEEZZNS1_14partition_implILS8_3ELb0ES6_jNS0_17counting_iteratorIjlEEPS9_SE_NS0_5tupleIJPjSE_EEENSF_IJSE_SE_EEES9_SG_JZNS1_25segmented_radix_sort_implINS0_14default_configELb0EPKdPdPKlPlN2at6native12_GLOBAL__N_18offset_tEEE10hipError_tPvRmT1_PNSt15iterator_traitsISY_E10value_typeET2_T3_PNSZ_IS14_E10value_typeET4_jRbjT5_S1A_jjP12ihipStream_tbEUljE_EEESV_SW_SX_S14_S18_S1A_T6_T7_T9_mT8_S1C_bDpT10_ENKUlT_T0_E_clISt17integral_constantIbLb0EES1P_EEDaS1K_S1L_EUlS1K_E_NS1_11comp_targetILNS1_3genE5ELNS1_11target_archE942ELNS1_3gpuE9ELNS1_3repE0EEENS1_30default_config_static_selectorELNS0_4arch9wavefront6targetE0EEEvSY_.has_dyn_sized_stack, 0
	.set _ZN7rocprim17ROCPRIM_400000_NS6detail17trampoline_kernelINS0_13select_configILj256ELj13ELNS0_17block_load_methodE3ELS4_3ELS4_3ELNS0_20block_scan_algorithmE0ELj4294967295EEENS1_25partition_config_selectorILNS1_17partition_subalgoE3EjNS0_10empty_typeEbEEZZNS1_14partition_implILS8_3ELb0ES6_jNS0_17counting_iteratorIjlEEPS9_SE_NS0_5tupleIJPjSE_EEENSF_IJSE_SE_EEES9_SG_JZNS1_25segmented_radix_sort_implINS0_14default_configELb0EPKdPdPKlPlN2at6native12_GLOBAL__N_18offset_tEEE10hipError_tPvRmT1_PNSt15iterator_traitsISY_E10value_typeET2_T3_PNSZ_IS14_E10value_typeET4_jRbjT5_S1A_jjP12ihipStream_tbEUljE_EEESV_SW_SX_S14_S18_S1A_T6_T7_T9_mT8_S1C_bDpT10_ENKUlT_T0_E_clISt17integral_constantIbLb0EES1P_EEDaS1K_S1L_EUlS1K_E_NS1_11comp_targetILNS1_3genE5ELNS1_11target_archE942ELNS1_3gpuE9ELNS1_3repE0EEENS1_30default_config_static_selectorELNS0_4arch9wavefront6targetE0EEEvSY_.has_recursion, 0
	.set _ZN7rocprim17ROCPRIM_400000_NS6detail17trampoline_kernelINS0_13select_configILj256ELj13ELNS0_17block_load_methodE3ELS4_3ELS4_3ELNS0_20block_scan_algorithmE0ELj4294967295EEENS1_25partition_config_selectorILNS1_17partition_subalgoE3EjNS0_10empty_typeEbEEZZNS1_14partition_implILS8_3ELb0ES6_jNS0_17counting_iteratorIjlEEPS9_SE_NS0_5tupleIJPjSE_EEENSF_IJSE_SE_EEES9_SG_JZNS1_25segmented_radix_sort_implINS0_14default_configELb0EPKdPdPKlPlN2at6native12_GLOBAL__N_18offset_tEEE10hipError_tPvRmT1_PNSt15iterator_traitsISY_E10value_typeET2_T3_PNSZ_IS14_E10value_typeET4_jRbjT5_S1A_jjP12ihipStream_tbEUljE_EEESV_SW_SX_S14_S18_S1A_T6_T7_T9_mT8_S1C_bDpT10_ENKUlT_T0_E_clISt17integral_constantIbLb0EES1P_EEDaS1K_S1L_EUlS1K_E_NS1_11comp_targetILNS1_3genE5ELNS1_11target_archE942ELNS1_3gpuE9ELNS1_3repE0EEENS1_30default_config_static_selectorELNS0_4arch9wavefront6targetE0EEEvSY_.has_indirect_call, 0
	.section	.AMDGPU.csdata,"",@progbits
; Kernel info:
; codeLenInByte = 0
; TotalNumSgprs: 0
; NumVgprs: 0
; ScratchSize: 0
; MemoryBound: 0
; FloatMode: 240
; IeeeMode: 1
; LDSByteSize: 0 bytes/workgroup (compile time only)
; SGPRBlocks: 0
; VGPRBlocks: 0
; NumSGPRsForWavesPerEU: 1
; NumVGPRsForWavesPerEU: 1
; NamedBarCnt: 0
; Occupancy: 16
; WaveLimiterHint : 0
; COMPUTE_PGM_RSRC2:SCRATCH_EN: 0
; COMPUTE_PGM_RSRC2:USER_SGPR: 2
; COMPUTE_PGM_RSRC2:TRAP_HANDLER: 0
; COMPUTE_PGM_RSRC2:TGID_X_EN: 1
; COMPUTE_PGM_RSRC2:TGID_Y_EN: 0
; COMPUTE_PGM_RSRC2:TGID_Z_EN: 0
; COMPUTE_PGM_RSRC2:TIDIG_COMP_CNT: 0
	.section	.text._ZN7rocprim17ROCPRIM_400000_NS6detail17trampoline_kernelINS0_13select_configILj256ELj13ELNS0_17block_load_methodE3ELS4_3ELS4_3ELNS0_20block_scan_algorithmE0ELj4294967295EEENS1_25partition_config_selectorILNS1_17partition_subalgoE3EjNS0_10empty_typeEbEEZZNS1_14partition_implILS8_3ELb0ES6_jNS0_17counting_iteratorIjlEEPS9_SE_NS0_5tupleIJPjSE_EEENSF_IJSE_SE_EEES9_SG_JZNS1_25segmented_radix_sort_implINS0_14default_configELb0EPKdPdPKlPlN2at6native12_GLOBAL__N_18offset_tEEE10hipError_tPvRmT1_PNSt15iterator_traitsISY_E10value_typeET2_T3_PNSZ_IS14_E10value_typeET4_jRbjT5_S1A_jjP12ihipStream_tbEUljE_EEESV_SW_SX_S14_S18_S1A_T6_T7_T9_mT8_S1C_bDpT10_ENKUlT_T0_E_clISt17integral_constantIbLb0EES1P_EEDaS1K_S1L_EUlS1K_E_NS1_11comp_targetILNS1_3genE4ELNS1_11target_archE910ELNS1_3gpuE8ELNS1_3repE0EEENS1_30default_config_static_selectorELNS0_4arch9wavefront6targetE0EEEvSY_,"axG",@progbits,_ZN7rocprim17ROCPRIM_400000_NS6detail17trampoline_kernelINS0_13select_configILj256ELj13ELNS0_17block_load_methodE3ELS4_3ELS4_3ELNS0_20block_scan_algorithmE0ELj4294967295EEENS1_25partition_config_selectorILNS1_17partition_subalgoE3EjNS0_10empty_typeEbEEZZNS1_14partition_implILS8_3ELb0ES6_jNS0_17counting_iteratorIjlEEPS9_SE_NS0_5tupleIJPjSE_EEENSF_IJSE_SE_EEES9_SG_JZNS1_25segmented_radix_sort_implINS0_14default_configELb0EPKdPdPKlPlN2at6native12_GLOBAL__N_18offset_tEEE10hipError_tPvRmT1_PNSt15iterator_traitsISY_E10value_typeET2_T3_PNSZ_IS14_E10value_typeET4_jRbjT5_S1A_jjP12ihipStream_tbEUljE_EEESV_SW_SX_S14_S18_S1A_T6_T7_T9_mT8_S1C_bDpT10_ENKUlT_T0_E_clISt17integral_constantIbLb0EES1P_EEDaS1K_S1L_EUlS1K_E_NS1_11comp_targetILNS1_3genE4ELNS1_11target_archE910ELNS1_3gpuE8ELNS1_3repE0EEENS1_30default_config_static_selectorELNS0_4arch9wavefront6targetE0EEEvSY_,comdat
	.globl	_ZN7rocprim17ROCPRIM_400000_NS6detail17trampoline_kernelINS0_13select_configILj256ELj13ELNS0_17block_load_methodE3ELS4_3ELS4_3ELNS0_20block_scan_algorithmE0ELj4294967295EEENS1_25partition_config_selectorILNS1_17partition_subalgoE3EjNS0_10empty_typeEbEEZZNS1_14partition_implILS8_3ELb0ES6_jNS0_17counting_iteratorIjlEEPS9_SE_NS0_5tupleIJPjSE_EEENSF_IJSE_SE_EEES9_SG_JZNS1_25segmented_radix_sort_implINS0_14default_configELb0EPKdPdPKlPlN2at6native12_GLOBAL__N_18offset_tEEE10hipError_tPvRmT1_PNSt15iterator_traitsISY_E10value_typeET2_T3_PNSZ_IS14_E10value_typeET4_jRbjT5_S1A_jjP12ihipStream_tbEUljE_EEESV_SW_SX_S14_S18_S1A_T6_T7_T9_mT8_S1C_bDpT10_ENKUlT_T0_E_clISt17integral_constantIbLb0EES1P_EEDaS1K_S1L_EUlS1K_E_NS1_11comp_targetILNS1_3genE4ELNS1_11target_archE910ELNS1_3gpuE8ELNS1_3repE0EEENS1_30default_config_static_selectorELNS0_4arch9wavefront6targetE0EEEvSY_ ; -- Begin function _ZN7rocprim17ROCPRIM_400000_NS6detail17trampoline_kernelINS0_13select_configILj256ELj13ELNS0_17block_load_methodE3ELS4_3ELS4_3ELNS0_20block_scan_algorithmE0ELj4294967295EEENS1_25partition_config_selectorILNS1_17partition_subalgoE3EjNS0_10empty_typeEbEEZZNS1_14partition_implILS8_3ELb0ES6_jNS0_17counting_iteratorIjlEEPS9_SE_NS0_5tupleIJPjSE_EEENSF_IJSE_SE_EEES9_SG_JZNS1_25segmented_radix_sort_implINS0_14default_configELb0EPKdPdPKlPlN2at6native12_GLOBAL__N_18offset_tEEE10hipError_tPvRmT1_PNSt15iterator_traitsISY_E10value_typeET2_T3_PNSZ_IS14_E10value_typeET4_jRbjT5_S1A_jjP12ihipStream_tbEUljE_EEESV_SW_SX_S14_S18_S1A_T6_T7_T9_mT8_S1C_bDpT10_ENKUlT_T0_E_clISt17integral_constantIbLb0EES1P_EEDaS1K_S1L_EUlS1K_E_NS1_11comp_targetILNS1_3genE4ELNS1_11target_archE910ELNS1_3gpuE8ELNS1_3repE0EEENS1_30default_config_static_selectorELNS0_4arch9wavefront6targetE0EEEvSY_
	.p2align	8
	.type	_ZN7rocprim17ROCPRIM_400000_NS6detail17trampoline_kernelINS0_13select_configILj256ELj13ELNS0_17block_load_methodE3ELS4_3ELS4_3ELNS0_20block_scan_algorithmE0ELj4294967295EEENS1_25partition_config_selectorILNS1_17partition_subalgoE3EjNS0_10empty_typeEbEEZZNS1_14partition_implILS8_3ELb0ES6_jNS0_17counting_iteratorIjlEEPS9_SE_NS0_5tupleIJPjSE_EEENSF_IJSE_SE_EEES9_SG_JZNS1_25segmented_radix_sort_implINS0_14default_configELb0EPKdPdPKlPlN2at6native12_GLOBAL__N_18offset_tEEE10hipError_tPvRmT1_PNSt15iterator_traitsISY_E10value_typeET2_T3_PNSZ_IS14_E10value_typeET4_jRbjT5_S1A_jjP12ihipStream_tbEUljE_EEESV_SW_SX_S14_S18_S1A_T6_T7_T9_mT8_S1C_bDpT10_ENKUlT_T0_E_clISt17integral_constantIbLb0EES1P_EEDaS1K_S1L_EUlS1K_E_NS1_11comp_targetILNS1_3genE4ELNS1_11target_archE910ELNS1_3gpuE8ELNS1_3repE0EEENS1_30default_config_static_selectorELNS0_4arch9wavefront6targetE0EEEvSY_,@function
_ZN7rocprim17ROCPRIM_400000_NS6detail17trampoline_kernelINS0_13select_configILj256ELj13ELNS0_17block_load_methodE3ELS4_3ELS4_3ELNS0_20block_scan_algorithmE0ELj4294967295EEENS1_25partition_config_selectorILNS1_17partition_subalgoE3EjNS0_10empty_typeEbEEZZNS1_14partition_implILS8_3ELb0ES6_jNS0_17counting_iteratorIjlEEPS9_SE_NS0_5tupleIJPjSE_EEENSF_IJSE_SE_EEES9_SG_JZNS1_25segmented_radix_sort_implINS0_14default_configELb0EPKdPdPKlPlN2at6native12_GLOBAL__N_18offset_tEEE10hipError_tPvRmT1_PNSt15iterator_traitsISY_E10value_typeET2_T3_PNSZ_IS14_E10value_typeET4_jRbjT5_S1A_jjP12ihipStream_tbEUljE_EEESV_SW_SX_S14_S18_S1A_T6_T7_T9_mT8_S1C_bDpT10_ENKUlT_T0_E_clISt17integral_constantIbLb0EES1P_EEDaS1K_S1L_EUlS1K_E_NS1_11comp_targetILNS1_3genE4ELNS1_11target_archE910ELNS1_3gpuE8ELNS1_3repE0EEENS1_30default_config_static_selectorELNS0_4arch9wavefront6targetE0EEEvSY_: ; @_ZN7rocprim17ROCPRIM_400000_NS6detail17trampoline_kernelINS0_13select_configILj256ELj13ELNS0_17block_load_methodE3ELS4_3ELS4_3ELNS0_20block_scan_algorithmE0ELj4294967295EEENS1_25partition_config_selectorILNS1_17partition_subalgoE3EjNS0_10empty_typeEbEEZZNS1_14partition_implILS8_3ELb0ES6_jNS0_17counting_iteratorIjlEEPS9_SE_NS0_5tupleIJPjSE_EEENSF_IJSE_SE_EEES9_SG_JZNS1_25segmented_radix_sort_implINS0_14default_configELb0EPKdPdPKlPlN2at6native12_GLOBAL__N_18offset_tEEE10hipError_tPvRmT1_PNSt15iterator_traitsISY_E10value_typeET2_T3_PNSZ_IS14_E10value_typeET4_jRbjT5_S1A_jjP12ihipStream_tbEUljE_EEESV_SW_SX_S14_S18_S1A_T6_T7_T9_mT8_S1C_bDpT10_ENKUlT_T0_E_clISt17integral_constantIbLb0EES1P_EEDaS1K_S1L_EUlS1K_E_NS1_11comp_targetILNS1_3genE4ELNS1_11target_archE910ELNS1_3gpuE8ELNS1_3repE0EEENS1_30default_config_static_selectorELNS0_4arch9wavefront6targetE0EEEvSY_
; %bb.0:
	.section	.rodata,"a",@progbits
	.p2align	6, 0x0
	.amdhsa_kernel _ZN7rocprim17ROCPRIM_400000_NS6detail17trampoline_kernelINS0_13select_configILj256ELj13ELNS0_17block_load_methodE3ELS4_3ELS4_3ELNS0_20block_scan_algorithmE0ELj4294967295EEENS1_25partition_config_selectorILNS1_17partition_subalgoE3EjNS0_10empty_typeEbEEZZNS1_14partition_implILS8_3ELb0ES6_jNS0_17counting_iteratorIjlEEPS9_SE_NS0_5tupleIJPjSE_EEENSF_IJSE_SE_EEES9_SG_JZNS1_25segmented_radix_sort_implINS0_14default_configELb0EPKdPdPKlPlN2at6native12_GLOBAL__N_18offset_tEEE10hipError_tPvRmT1_PNSt15iterator_traitsISY_E10value_typeET2_T3_PNSZ_IS14_E10value_typeET4_jRbjT5_S1A_jjP12ihipStream_tbEUljE_EEESV_SW_SX_S14_S18_S1A_T6_T7_T9_mT8_S1C_bDpT10_ENKUlT_T0_E_clISt17integral_constantIbLb0EES1P_EEDaS1K_S1L_EUlS1K_E_NS1_11comp_targetILNS1_3genE4ELNS1_11target_archE910ELNS1_3gpuE8ELNS1_3repE0EEENS1_30default_config_static_selectorELNS0_4arch9wavefront6targetE0EEEvSY_
		.amdhsa_group_segment_fixed_size 0
		.amdhsa_private_segment_fixed_size 0
		.amdhsa_kernarg_size 144
		.amdhsa_user_sgpr_count 2
		.amdhsa_user_sgpr_dispatch_ptr 0
		.amdhsa_user_sgpr_queue_ptr 0
		.amdhsa_user_sgpr_kernarg_segment_ptr 1
		.amdhsa_user_sgpr_dispatch_id 0
		.amdhsa_user_sgpr_kernarg_preload_length 0
		.amdhsa_user_sgpr_kernarg_preload_offset 0
		.amdhsa_user_sgpr_private_segment_size 0
		.amdhsa_wavefront_size32 1
		.amdhsa_uses_dynamic_stack 0
		.amdhsa_enable_private_segment 0
		.amdhsa_system_sgpr_workgroup_id_x 1
		.amdhsa_system_sgpr_workgroup_id_y 0
		.amdhsa_system_sgpr_workgroup_id_z 0
		.amdhsa_system_sgpr_workgroup_info 0
		.amdhsa_system_vgpr_workitem_id 0
		.amdhsa_next_free_vgpr 1
		.amdhsa_next_free_sgpr 1
		.amdhsa_named_barrier_count 0
		.amdhsa_reserve_vcc 0
		.amdhsa_float_round_mode_32 0
		.amdhsa_float_round_mode_16_64 0
		.amdhsa_float_denorm_mode_32 3
		.amdhsa_float_denorm_mode_16_64 3
		.amdhsa_fp16_overflow 0
		.amdhsa_memory_ordered 1
		.amdhsa_forward_progress 1
		.amdhsa_inst_pref_size 0
		.amdhsa_round_robin_scheduling 0
		.amdhsa_exception_fp_ieee_invalid_op 0
		.amdhsa_exception_fp_denorm_src 0
		.amdhsa_exception_fp_ieee_div_zero 0
		.amdhsa_exception_fp_ieee_overflow 0
		.amdhsa_exception_fp_ieee_underflow 0
		.amdhsa_exception_fp_ieee_inexact 0
		.amdhsa_exception_int_div_zero 0
	.end_amdhsa_kernel
	.section	.text._ZN7rocprim17ROCPRIM_400000_NS6detail17trampoline_kernelINS0_13select_configILj256ELj13ELNS0_17block_load_methodE3ELS4_3ELS4_3ELNS0_20block_scan_algorithmE0ELj4294967295EEENS1_25partition_config_selectorILNS1_17partition_subalgoE3EjNS0_10empty_typeEbEEZZNS1_14partition_implILS8_3ELb0ES6_jNS0_17counting_iteratorIjlEEPS9_SE_NS0_5tupleIJPjSE_EEENSF_IJSE_SE_EEES9_SG_JZNS1_25segmented_radix_sort_implINS0_14default_configELb0EPKdPdPKlPlN2at6native12_GLOBAL__N_18offset_tEEE10hipError_tPvRmT1_PNSt15iterator_traitsISY_E10value_typeET2_T3_PNSZ_IS14_E10value_typeET4_jRbjT5_S1A_jjP12ihipStream_tbEUljE_EEESV_SW_SX_S14_S18_S1A_T6_T7_T9_mT8_S1C_bDpT10_ENKUlT_T0_E_clISt17integral_constantIbLb0EES1P_EEDaS1K_S1L_EUlS1K_E_NS1_11comp_targetILNS1_3genE4ELNS1_11target_archE910ELNS1_3gpuE8ELNS1_3repE0EEENS1_30default_config_static_selectorELNS0_4arch9wavefront6targetE0EEEvSY_,"axG",@progbits,_ZN7rocprim17ROCPRIM_400000_NS6detail17trampoline_kernelINS0_13select_configILj256ELj13ELNS0_17block_load_methodE3ELS4_3ELS4_3ELNS0_20block_scan_algorithmE0ELj4294967295EEENS1_25partition_config_selectorILNS1_17partition_subalgoE3EjNS0_10empty_typeEbEEZZNS1_14partition_implILS8_3ELb0ES6_jNS0_17counting_iteratorIjlEEPS9_SE_NS0_5tupleIJPjSE_EEENSF_IJSE_SE_EEES9_SG_JZNS1_25segmented_radix_sort_implINS0_14default_configELb0EPKdPdPKlPlN2at6native12_GLOBAL__N_18offset_tEEE10hipError_tPvRmT1_PNSt15iterator_traitsISY_E10value_typeET2_T3_PNSZ_IS14_E10value_typeET4_jRbjT5_S1A_jjP12ihipStream_tbEUljE_EEESV_SW_SX_S14_S18_S1A_T6_T7_T9_mT8_S1C_bDpT10_ENKUlT_T0_E_clISt17integral_constantIbLb0EES1P_EEDaS1K_S1L_EUlS1K_E_NS1_11comp_targetILNS1_3genE4ELNS1_11target_archE910ELNS1_3gpuE8ELNS1_3repE0EEENS1_30default_config_static_selectorELNS0_4arch9wavefront6targetE0EEEvSY_,comdat
.Lfunc_end1185:
	.size	_ZN7rocprim17ROCPRIM_400000_NS6detail17trampoline_kernelINS0_13select_configILj256ELj13ELNS0_17block_load_methodE3ELS4_3ELS4_3ELNS0_20block_scan_algorithmE0ELj4294967295EEENS1_25partition_config_selectorILNS1_17partition_subalgoE3EjNS0_10empty_typeEbEEZZNS1_14partition_implILS8_3ELb0ES6_jNS0_17counting_iteratorIjlEEPS9_SE_NS0_5tupleIJPjSE_EEENSF_IJSE_SE_EEES9_SG_JZNS1_25segmented_radix_sort_implINS0_14default_configELb0EPKdPdPKlPlN2at6native12_GLOBAL__N_18offset_tEEE10hipError_tPvRmT1_PNSt15iterator_traitsISY_E10value_typeET2_T3_PNSZ_IS14_E10value_typeET4_jRbjT5_S1A_jjP12ihipStream_tbEUljE_EEESV_SW_SX_S14_S18_S1A_T6_T7_T9_mT8_S1C_bDpT10_ENKUlT_T0_E_clISt17integral_constantIbLb0EES1P_EEDaS1K_S1L_EUlS1K_E_NS1_11comp_targetILNS1_3genE4ELNS1_11target_archE910ELNS1_3gpuE8ELNS1_3repE0EEENS1_30default_config_static_selectorELNS0_4arch9wavefront6targetE0EEEvSY_, .Lfunc_end1185-_ZN7rocprim17ROCPRIM_400000_NS6detail17trampoline_kernelINS0_13select_configILj256ELj13ELNS0_17block_load_methodE3ELS4_3ELS4_3ELNS0_20block_scan_algorithmE0ELj4294967295EEENS1_25partition_config_selectorILNS1_17partition_subalgoE3EjNS0_10empty_typeEbEEZZNS1_14partition_implILS8_3ELb0ES6_jNS0_17counting_iteratorIjlEEPS9_SE_NS0_5tupleIJPjSE_EEENSF_IJSE_SE_EEES9_SG_JZNS1_25segmented_radix_sort_implINS0_14default_configELb0EPKdPdPKlPlN2at6native12_GLOBAL__N_18offset_tEEE10hipError_tPvRmT1_PNSt15iterator_traitsISY_E10value_typeET2_T3_PNSZ_IS14_E10value_typeET4_jRbjT5_S1A_jjP12ihipStream_tbEUljE_EEESV_SW_SX_S14_S18_S1A_T6_T7_T9_mT8_S1C_bDpT10_ENKUlT_T0_E_clISt17integral_constantIbLb0EES1P_EEDaS1K_S1L_EUlS1K_E_NS1_11comp_targetILNS1_3genE4ELNS1_11target_archE910ELNS1_3gpuE8ELNS1_3repE0EEENS1_30default_config_static_selectorELNS0_4arch9wavefront6targetE0EEEvSY_
                                        ; -- End function
	.set _ZN7rocprim17ROCPRIM_400000_NS6detail17trampoline_kernelINS0_13select_configILj256ELj13ELNS0_17block_load_methodE3ELS4_3ELS4_3ELNS0_20block_scan_algorithmE0ELj4294967295EEENS1_25partition_config_selectorILNS1_17partition_subalgoE3EjNS0_10empty_typeEbEEZZNS1_14partition_implILS8_3ELb0ES6_jNS0_17counting_iteratorIjlEEPS9_SE_NS0_5tupleIJPjSE_EEENSF_IJSE_SE_EEES9_SG_JZNS1_25segmented_radix_sort_implINS0_14default_configELb0EPKdPdPKlPlN2at6native12_GLOBAL__N_18offset_tEEE10hipError_tPvRmT1_PNSt15iterator_traitsISY_E10value_typeET2_T3_PNSZ_IS14_E10value_typeET4_jRbjT5_S1A_jjP12ihipStream_tbEUljE_EEESV_SW_SX_S14_S18_S1A_T6_T7_T9_mT8_S1C_bDpT10_ENKUlT_T0_E_clISt17integral_constantIbLb0EES1P_EEDaS1K_S1L_EUlS1K_E_NS1_11comp_targetILNS1_3genE4ELNS1_11target_archE910ELNS1_3gpuE8ELNS1_3repE0EEENS1_30default_config_static_selectorELNS0_4arch9wavefront6targetE0EEEvSY_.num_vgpr, 0
	.set _ZN7rocprim17ROCPRIM_400000_NS6detail17trampoline_kernelINS0_13select_configILj256ELj13ELNS0_17block_load_methodE3ELS4_3ELS4_3ELNS0_20block_scan_algorithmE0ELj4294967295EEENS1_25partition_config_selectorILNS1_17partition_subalgoE3EjNS0_10empty_typeEbEEZZNS1_14partition_implILS8_3ELb0ES6_jNS0_17counting_iteratorIjlEEPS9_SE_NS0_5tupleIJPjSE_EEENSF_IJSE_SE_EEES9_SG_JZNS1_25segmented_radix_sort_implINS0_14default_configELb0EPKdPdPKlPlN2at6native12_GLOBAL__N_18offset_tEEE10hipError_tPvRmT1_PNSt15iterator_traitsISY_E10value_typeET2_T3_PNSZ_IS14_E10value_typeET4_jRbjT5_S1A_jjP12ihipStream_tbEUljE_EEESV_SW_SX_S14_S18_S1A_T6_T7_T9_mT8_S1C_bDpT10_ENKUlT_T0_E_clISt17integral_constantIbLb0EES1P_EEDaS1K_S1L_EUlS1K_E_NS1_11comp_targetILNS1_3genE4ELNS1_11target_archE910ELNS1_3gpuE8ELNS1_3repE0EEENS1_30default_config_static_selectorELNS0_4arch9wavefront6targetE0EEEvSY_.num_agpr, 0
	.set _ZN7rocprim17ROCPRIM_400000_NS6detail17trampoline_kernelINS0_13select_configILj256ELj13ELNS0_17block_load_methodE3ELS4_3ELS4_3ELNS0_20block_scan_algorithmE0ELj4294967295EEENS1_25partition_config_selectorILNS1_17partition_subalgoE3EjNS0_10empty_typeEbEEZZNS1_14partition_implILS8_3ELb0ES6_jNS0_17counting_iteratorIjlEEPS9_SE_NS0_5tupleIJPjSE_EEENSF_IJSE_SE_EEES9_SG_JZNS1_25segmented_radix_sort_implINS0_14default_configELb0EPKdPdPKlPlN2at6native12_GLOBAL__N_18offset_tEEE10hipError_tPvRmT1_PNSt15iterator_traitsISY_E10value_typeET2_T3_PNSZ_IS14_E10value_typeET4_jRbjT5_S1A_jjP12ihipStream_tbEUljE_EEESV_SW_SX_S14_S18_S1A_T6_T7_T9_mT8_S1C_bDpT10_ENKUlT_T0_E_clISt17integral_constantIbLb0EES1P_EEDaS1K_S1L_EUlS1K_E_NS1_11comp_targetILNS1_3genE4ELNS1_11target_archE910ELNS1_3gpuE8ELNS1_3repE0EEENS1_30default_config_static_selectorELNS0_4arch9wavefront6targetE0EEEvSY_.numbered_sgpr, 0
	.set _ZN7rocprim17ROCPRIM_400000_NS6detail17trampoline_kernelINS0_13select_configILj256ELj13ELNS0_17block_load_methodE3ELS4_3ELS4_3ELNS0_20block_scan_algorithmE0ELj4294967295EEENS1_25partition_config_selectorILNS1_17partition_subalgoE3EjNS0_10empty_typeEbEEZZNS1_14partition_implILS8_3ELb0ES6_jNS0_17counting_iteratorIjlEEPS9_SE_NS0_5tupleIJPjSE_EEENSF_IJSE_SE_EEES9_SG_JZNS1_25segmented_radix_sort_implINS0_14default_configELb0EPKdPdPKlPlN2at6native12_GLOBAL__N_18offset_tEEE10hipError_tPvRmT1_PNSt15iterator_traitsISY_E10value_typeET2_T3_PNSZ_IS14_E10value_typeET4_jRbjT5_S1A_jjP12ihipStream_tbEUljE_EEESV_SW_SX_S14_S18_S1A_T6_T7_T9_mT8_S1C_bDpT10_ENKUlT_T0_E_clISt17integral_constantIbLb0EES1P_EEDaS1K_S1L_EUlS1K_E_NS1_11comp_targetILNS1_3genE4ELNS1_11target_archE910ELNS1_3gpuE8ELNS1_3repE0EEENS1_30default_config_static_selectorELNS0_4arch9wavefront6targetE0EEEvSY_.num_named_barrier, 0
	.set _ZN7rocprim17ROCPRIM_400000_NS6detail17trampoline_kernelINS0_13select_configILj256ELj13ELNS0_17block_load_methodE3ELS4_3ELS4_3ELNS0_20block_scan_algorithmE0ELj4294967295EEENS1_25partition_config_selectorILNS1_17partition_subalgoE3EjNS0_10empty_typeEbEEZZNS1_14partition_implILS8_3ELb0ES6_jNS0_17counting_iteratorIjlEEPS9_SE_NS0_5tupleIJPjSE_EEENSF_IJSE_SE_EEES9_SG_JZNS1_25segmented_radix_sort_implINS0_14default_configELb0EPKdPdPKlPlN2at6native12_GLOBAL__N_18offset_tEEE10hipError_tPvRmT1_PNSt15iterator_traitsISY_E10value_typeET2_T3_PNSZ_IS14_E10value_typeET4_jRbjT5_S1A_jjP12ihipStream_tbEUljE_EEESV_SW_SX_S14_S18_S1A_T6_T7_T9_mT8_S1C_bDpT10_ENKUlT_T0_E_clISt17integral_constantIbLb0EES1P_EEDaS1K_S1L_EUlS1K_E_NS1_11comp_targetILNS1_3genE4ELNS1_11target_archE910ELNS1_3gpuE8ELNS1_3repE0EEENS1_30default_config_static_selectorELNS0_4arch9wavefront6targetE0EEEvSY_.private_seg_size, 0
	.set _ZN7rocprim17ROCPRIM_400000_NS6detail17trampoline_kernelINS0_13select_configILj256ELj13ELNS0_17block_load_methodE3ELS4_3ELS4_3ELNS0_20block_scan_algorithmE0ELj4294967295EEENS1_25partition_config_selectorILNS1_17partition_subalgoE3EjNS0_10empty_typeEbEEZZNS1_14partition_implILS8_3ELb0ES6_jNS0_17counting_iteratorIjlEEPS9_SE_NS0_5tupleIJPjSE_EEENSF_IJSE_SE_EEES9_SG_JZNS1_25segmented_radix_sort_implINS0_14default_configELb0EPKdPdPKlPlN2at6native12_GLOBAL__N_18offset_tEEE10hipError_tPvRmT1_PNSt15iterator_traitsISY_E10value_typeET2_T3_PNSZ_IS14_E10value_typeET4_jRbjT5_S1A_jjP12ihipStream_tbEUljE_EEESV_SW_SX_S14_S18_S1A_T6_T7_T9_mT8_S1C_bDpT10_ENKUlT_T0_E_clISt17integral_constantIbLb0EES1P_EEDaS1K_S1L_EUlS1K_E_NS1_11comp_targetILNS1_3genE4ELNS1_11target_archE910ELNS1_3gpuE8ELNS1_3repE0EEENS1_30default_config_static_selectorELNS0_4arch9wavefront6targetE0EEEvSY_.uses_vcc, 0
	.set _ZN7rocprim17ROCPRIM_400000_NS6detail17trampoline_kernelINS0_13select_configILj256ELj13ELNS0_17block_load_methodE3ELS4_3ELS4_3ELNS0_20block_scan_algorithmE0ELj4294967295EEENS1_25partition_config_selectorILNS1_17partition_subalgoE3EjNS0_10empty_typeEbEEZZNS1_14partition_implILS8_3ELb0ES6_jNS0_17counting_iteratorIjlEEPS9_SE_NS0_5tupleIJPjSE_EEENSF_IJSE_SE_EEES9_SG_JZNS1_25segmented_radix_sort_implINS0_14default_configELb0EPKdPdPKlPlN2at6native12_GLOBAL__N_18offset_tEEE10hipError_tPvRmT1_PNSt15iterator_traitsISY_E10value_typeET2_T3_PNSZ_IS14_E10value_typeET4_jRbjT5_S1A_jjP12ihipStream_tbEUljE_EEESV_SW_SX_S14_S18_S1A_T6_T7_T9_mT8_S1C_bDpT10_ENKUlT_T0_E_clISt17integral_constantIbLb0EES1P_EEDaS1K_S1L_EUlS1K_E_NS1_11comp_targetILNS1_3genE4ELNS1_11target_archE910ELNS1_3gpuE8ELNS1_3repE0EEENS1_30default_config_static_selectorELNS0_4arch9wavefront6targetE0EEEvSY_.uses_flat_scratch, 0
	.set _ZN7rocprim17ROCPRIM_400000_NS6detail17trampoline_kernelINS0_13select_configILj256ELj13ELNS0_17block_load_methodE3ELS4_3ELS4_3ELNS0_20block_scan_algorithmE0ELj4294967295EEENS1_25partition_config_selectorILNS1_17partition_subalgoE3EjNS0_10empty_typeEbEEZZNS1_14partition_implILS8_3ELb0ES6_jNS0_17counting_iteratorIjlEEPS9_SE_NS0_5tupleIJPjSE_EEENSF_IJSE_SE_EEES9_SG_JZNS1_25segmented_radix_sort_implINS0_14default_configELb0EPKdPdPKlPlN2at6native12_GLOBAL__N_18offset_tEEE10hipError_tPvRmT1_PNSt15iterator_traitsISY_E10value_typeET2_T3_PNSZ_IS14_E10value_typeET4_jRbjT5_S1A_jjP12ihipStream_tbEUljE_EEESV_SW_SX_S14_S18_S1A_T6_T7_T9_mT8_S1C_bDpT10_ENKUlT_T0_E_clISt17integral_constantIbLb0EES1P_EEDaS1K_S1L_EUlS1K_E_NS1_11comp_targetILNS1_3genE4ELNS1_11target_archE910ELNS1_3gpuE8ELNS1_3repE0EEENS1_30default_config_static_selectorELNS0_4arch9wavefront6targetE0EEEvSY_.has_dyn_sized_stack, 0
	.set _ZN7rocprim17ROCPRIM_400000_NS6detail17trampoline_kernelINS0_13select_configILj256ELj13ELNS0_17block_load_methodE3ELS4_3ELS4_3ELNS0_20block_scan_algorithmE0ELj4294967295EEENS1_25partition_config_selectorILNS1_17partition_subalgoE3EjNS0_10empty_typeEbEEZZNS1_14partition_implILS8_3ELb0ES6_jNS0_17counting_iteratorIjlEEPS9_SE_NS0_5tupleIJPjSE_EEENSF_IJSE_SE_EEES9_SG_JZNS1_25segmented_radix_sort_implINS0_14default_configELb0EPKdPdPKlPlN2at6native12_GLOBAL__N_18offset_tEEE10hipError_tPvRmT1_PNSt15iterator_traitsISY_E10value_typeET2_T3_PNSZ_IS14_E10value_typeET4_jRbjT5_S1A_jjP12ihipStream_tbEUljE_EEESV_SW_SX_S14_S18_S1A_T6_T7_T9_mT8_S1C_bDpT10_ENKUlT_T0_E_clISt17integral_constantIbLb0EES1P_EEDaS1K_S1L_EUlS1K_E_NS1_11comp_targetILNS1_3genE4ELNS1_11target_archE910ELNS1_3gpuE8ELNS1_3repE0EEENS1_30default_config_static_selectorELNS0_4arch9wavefront6targetE0EEEvSY_.has_recursion, 0
	.set _ZN7rocprim17ROCPRIM_400000_NS6detail17trampoline_kernelINS0_13select_configILj256ELj13ELNS0_17block_load_methodE3ELS4_3ELS4_3ELNS0_20block_scan_algorithmE0ELj4294967295EEENS1_25partition_config_selectorILNS1_17partition_subalgoE3EjNS0_10empty_typeEbEEZZNS1_14partition_implILS8_3ELb0ES6_jNS0_17counting_iteratorIjlEEPS9_SE_NS0_5tupleIJPjSE_EEENSF_IJSE_SE_EEES9_SG_JZNS1_25segmented_radix_sort_implINS0_14default_configELb0EPKdPdPKlPlN2at6native12_GLOBAL__N_18offset_tEEE10hipError_tPvRmT1_PNSt15iterator_traitsISY_E10value_typeET2_T3_PNSZ_IS14_E10value_typeET4_jRbjT5_S1A_jjP12ihipStream_tbEUljE_EEESV_SW_SX_S14_S18_S1A_T6_T7_T9_mT8_S1C_bDpT10_ENKUlT_T0_E_clISt17integral_constantIbLb0EES1P_EEDaS1K_S1L_EUlS1K_E_NS1_11comp_targetILNS1_3genE4ELNS1_11target_archE910ELNS1_3gpuE8ELNS1_3repE0EEENS1_30default_config_static_selectorELNS0_4arch9wavefront6targetE0EEEvSY_.has_indirect_call, 0
	.section	.AMDGPU.csdata,"",@progbits
; Kernel info:
; codeLenInByte = 0
; TotalNumSgprs: 0
; NumVgprs: 0
; ScratchSize: 0
; MemoryBound: 0
; FloatMode: 240
; IeeeMode: 1
; LDSByteSize: 0 bytes/workgroup (compile time only)
; SGPRBlocks: 0
; VGPRBlocks: 0
; NumSGPRsForWavesPerEU: 1
; NumVGPRsForWavesPerEU: 1
; NamedBarCnt: 0
; Occupancy: 16
; WaveLimiterHint : 0
; COMPUTE_PGM_RSRC2:SCRATCH_EN: 0
; COMPUTE_PGM_RSRC2:USER_SGPR: 2
; COMPUTE_PGM_RSRC2:TRAP_HANDLER: 0
; COMPUTE_PGM_RSRC2:TGID_X_EN: 1
; COMPUTE_PGM_RSRC2:TGID_Y_EN: 0
; COMPUTE_PGM_RSRC2:TGID_Z_EN: 0
; COMPUTE_PGM_RSRC2:TIDIG_COMP_CNT: 0
	.section	.text._ZN7rocprim17ROCPRIM_400000_NS6detail17trampoline_kernelINS0_13select_configILj256ELj13ELNS0_17block_load_methodE3ELS4_3ELS4_3ELNS0_20block_scan_algorithmE0ELj4294967295EEENS1_25partition_config_selectorILNS1_17partition_subalgoE3EjNS0_10empty_typeEbEEZZNS1_14partition_implILS8_3ELb0ES6_jNS0_17counting_iteratorIjlEEPS9_SE_NS0_5tupleIJPjSE_EEENSF_IJSE_SE_EEES9_SG_JZNS1_25segmented_radix_sort_implINS0_14default_configELb0EPKdPdPKlPlN2at6native12_GLOBAL__N_18offset_tEEE10hipError_tPvRmT1_PNSt15iterator_traitsISY_E10value_typeET2_T3_PNSZ_IS14_E10value_typeET4_jRbjT5_S1A_jjP12ihipStream_tbEUljE_EEESV_SW_SX_S14_S18_S1A_T6_T7_T9_mT8_S1C_bDpT10_ENKUlT_T0_E_clISt17integral_constantIbLb0EES1P_EEDaS1K_S1L_EUlS1K_E_NS1_11comp_targetILNS1_3genE3ELNS1_11target_archE908ELNS1_3gpuE7ELNS1_3repE0EEENS1_30default_config_static_selectorELNS0_4arch9wavefront6targetE0EEEvSY_,"axG",@progbits,_ZN7rocprim17ROCPRIM_400000_NS6detail17trampoline_kernelINS0_13select_configILj256ELj13ELNS0_17block_load_methodE3ELS4_3ELS4_3ELNS0_20block_scan_algorithmE0ELj4294967295EEENS1_25partition_config_selectorILNS1_17partition_subalgoE3EjNS0_10empty_typeEbEEZZNS1_14partition_implILS8_3ELb0ES6_jNS0_17counting_iteratorIjlEEPS9_SE_NS0_5tupleIJPjSE_EEENSF_IJSE_SE_EEES9_SG_JZNS1_25segmented_radix_sort_implINS0_14default_configELb0EPKdPdPKlPlN2at6native12_GLOBAL__N_18offset_tEEE10hipError_tPvRmT1_PNSt15iterator_traitsISY_E10value_typeET2_T3_PNSZ_IS14_E10value_typeET4_jRbjT5_S1A_jjP12ihipStream_tbEUljE_EEESV_SW_SX_S14_S18_S1A_T6_T7_T9_mT8_S1C_bDpT10_ENKUlT_T0_E_clISt17integral_constantIbLb0EES1P_EEDaS1K_S1L_EUlS1K_E_NS1_11comp_targetILNS1_3genE3ELNS1_11target_archE908ELNS1_3gpuE7ELNS1_3repE0EEENS1_30default_config_static_selectorELNS0_4arch9wavefront6targetE0EEEvSY_,comdat
	.globl	_ZN7rocprim17ROCPRIM_400000_NS6detail17trampoline_kernelINS0_13select_configILj256ELj13ELNS0_17block_load_methodE3ELS4_3ELS4_3ELNS0_20block_scan_algorithmE0ELj4294967295EEENS1_25partition_config_selectorILNS1_17partition_subalgoE3EjNS0_10empty_typeEbEEZZNS1_14partition_implILS8_3ELb0ES6_jNS0_17counting_iteratorIjlEEPS9_SE_NS0_5tupleIJPjSE_EEENSF_IJSE_SE_EEES9_SG_JZNS1_25segmented_radix_sort_implINS0_14default_configELb0EPKdPdPKlPlN2at6native12_GLOBAL__N_18offset_tEEE10hipError_tPvRmT1_PNSt15iterator_traitsISY_E10value_typeET2_T3_PNSZ_IS14_E10value_typeET4_jRbjT5_S1A_jjP12ihipStream_tbEUljE_EEESV_SW_SX_S14_S18_S1A_T6_T7_T9_mT8_S1C_bDpT10_ENKUlT_T0_E_clISt17integral_constantIbLb0EES1P_EEDaS1K_S1L_EUlS1K_E_NS1_11comp_targetILNS1_3genE3ELNS1_11target_archE908ELNS1_3gpuE7ELNS1_3repE0EEENS1_30default_config_static_selectorELNS0_4arch9wavefront6targetE0EEEvSY_ ; -- Begin function _ZN7rocprim17ROCPRIM_400000_NS6detail17trampoline_kernelINS0_13select_configILj256ELj13ELNS0_17block_load_methodE3ELS4_3ELS4_3ELNS0_20block_scan_algorithmE0ELj4294967295EEENS1_25partition_config_selectorILNS1_17partition_subalgoE3EjNS0_10empty_typeEbEEZZNS1_14partition_implILS8_3ELb0ES6_jNS0_17counting_iteratorIjlEEPS9_SE_NS0_5tupleIJPjSE_EEENSF_IJSE_SE_EEES9_SG_JZNS1_25segmented_radix_sort_implINS0_14default_configELb0EPKdPdPKlPlN2at6native12_GLOBAL__N_18offset_tEEE10hipError_tPvRmT1_PNSt15iterator_traitsISY_E10value_typeET2_T3_PNSZ_IS14_E10value_typeET4_jRbjT5_S1A_jjP12ihipStream_tbEUljE_EEESV_SW_SX_S14_S18_S1A_T6_T7_T9_mT8_S1C_bDpT10_ENKUlT_T0_E_clISt17integral_constantIbLb0EES1P_EEDaS1K_S1L_EUlS1K_E_NS1_11comp_targetILNS1_3genE3ELNS1_11target_archE908ELNS1_3gpuE7ELNS1_3repE0EEENS1_30default_config_static_selectorELNS0_4arch9wavefront6targetE0EEEvSY_
	.p2align	8
	.type	_ZN7rocprim17ROCPRIM_400000_NS6detail17trampoline_kernelINS0_13select_configILj256ELj13ELNS0_17block_load_methodE3ELS4_3ELS4_3ELNS0_20block_scan_algorithmE0ELj4294967295EEENS1_25partition_config_selectorILNS1_17partition_subalgoE3EjNS0_10empty_typeEbEEZZNS1_14partition_implILS8_3ELb0ES6_jNS0_17counting_iteratorIjlEEPS9_SE_NS0_5tupleIJPjSE_EEENSF_IJSE_SE_EEES9_SG_JZNS1_25segmented_radix_sort_implINS0_14default_configELb0EPKdPdPKlPlN2at6native12_GLOBAL__N_18offset_tEEE10hipError_tPvRmT1_PNSt15iterator_traitsISY_E10value_typeET2_T3_PNSZ_IS14_E10value_typeET4_jRbjT5_S1A_jjP12ihipStream_tbEUljE_EEESV_SW_SX_S14_S18_S1A_T6_T7_T9_mT8_S1C_bDpT10_ENKUlT_T0_E_clISt17integral_constantIbLb0EES1P_EEDaS1K_S1L_EUlS1K_E_NS1_11comp_targetILNS1_3genE3ELNS1_11target_archE908ELNS1_3gpuE7ELNS1_3repE0EEENS1_30default_config_static_selectorELNS0_4arch9wavefront6targetE0EEEvSY_,@function
_ZN7rocprim17ROCPRIM_400000_NS6detail17trampoline_kernelINS0_13select_configILj256ELj13ELNS0_17block_load_methodE3ELS4_3ELS4_3ELNS0_20block_scan_algorithmE0ELj4294967295EEENS1_25partition_config_selectorILNS1_17partition_subalgoE3EjNS0_10empty_typeEbEEZZNS1_14partition_implILS8_3ELb0ES6_jNS0_17counting_iteratorIjlEEPS9_SE_NS0_5tupleIJPjSE_EEENSF_IJSE_SE_EEES9_SG_JZNS1_25segmented_radix_sort_implINS0_14default_configELb0EPKdPdPKlPlN2at6native12_GLOBAL__N_18offset_tEEE10hipError_tPvRmT1_PNSt15iterator_traitsISY_E10value_typeET2_T3_PNSZ_IS14_E10value_typeET4_jRbjT5_S1A_jjP12ihipStream_tbEUljE_EEESV_SW_SX_S14_S18_S1A_T6_T7_T9_mT8_S1C_bDpT10_ENKUlT_T0_E_clISt17integral_constantIbLb0EES1P_EEDaS1K_S1L_EUlS1K_E_NS1_11comp_targetILNS1_3genE3ELNS1_11target_archE908ELNS1_3gpuE7ELNS1_3repE0EEENS1_30default_config_static_selectorELNS0_4arch9wavefront6targetE0EEEvSY_: ; @_ZN7rocprim17ROCPRIM_400000_NS6detail17trampoline_kernelINS0_13select_configILj256ELj13ELNS0_17block_load_methodE3ELS4_3ELS4_3ELNS0_20block_scan_algorithmE0ELj4294967295EEENS1_25partition_config_selectorILNS1_17partition_subalgoE3EjNS0_10empty_typeEbEEZZNS1_14partition_implILS8_3ELb0ES6_jNS0_17counting_iteratorIjlEEPS9_SE_NS0_5tupleIJPjSE_EEENSF_IJSE_SE_EEES9_SG_JZNS1_25segmented_radix_sort_implINS0_14default_configELb0EPKdPdPKlPlN2at6native12_GLOBAL__N_18offset_tEEE10hipError_tPvRmT1_PNSt15iterator_traitsISY_E10value_typeET2_T3_PNSZ_IS14_E10value_typeET4_jRbjT5_S1A_jjP12ihipStream_tbEUljE_EEESV_SW_SX_S14_S18_S1A_T6_T7_T9_mT8_S1C_bDpT10_ENKUlT_T0_E_clISt17integral_constantIbLb0EES1P_EEDaS1K_S1L_EUlS1K_E_NS1_11comp_targetILNS1_3genE3ELNS1_11target_archE908ELNS1_3gpuE7ELNS1_3repE0EEENS1_30default_config_static_selectorELNS0_4arch9wavefront6targetE0EEEvSY_
; %bb.0:
	.section	.rodata,"a",@progbits
	.p2align	6, 0x0
	.amdhsa_kernel _ZN7rocprim17ROCPRIM_400000_NS6detail17trampoline_kernelINS0_13select_configILj256ELj13ELNS0_17block_load_methodE3ELS4_3ELS4_3ELNS0_20block_scan_algorithmE0ELj4294967295EEENS1_25partition_config_selectorILNS1_17partition_subalgoE3EjNS0_10empty_typeEbEEZZNS1_14partition_implILS8_3ELb0ES6_jNS0_17counting_iteratorIjlEEPS9_SE_NS0_5tupleIJPjSE_EEENSF_IJSE_SE_EEES9_SG_JZNS1_25segmented_radix_sort_implINS0_14default_configELb0EPKdPdPKlPlN2at6native12_GLOBAL__N_18offset_tEEE10hipError_tPvRmT1_PNSt15iterator_traitsISY_E10value_typeET2_T3_PNSZ_IS14_E10value_typeET4_jRbjT5_S1A_jjP12ihipStream_tbEUljE_EEESV_SW_SX_S14_S18_S1A_T6_T7_T9_mT8_S1C_bDpT10_ENKUlT_T0_E_clISt17integral_constantIbLb0EES1P_EEDaS1K_S1L_EUlS1K_E_NS1_11comp_targetILNS1_3genE3ELNS1_11target_archE908ELNS1_3gpuE7ELNS1_3repE0EEENS1_30default_config_static_selectorELNS0_4arch9wavefront6targetE0EEEvSY_
		.amdhsa_group_segment_fixed_size 0
		.amdhsa_private_segment_fixed_size 0
		.amdhsa_kernarg_size 144
		.amdhsa_user_sgpr_count 2
		.amdhsa_user_sgpr_dispatch_ptr 0
		.amdhsa_user_sgpr_queue_ptr 0
		.amdhsa_user_sgpr_kernarg_segment_ptr 1
		.amdhsa_user_sgpr_dispatch_id 0
		.amdhsa_user_sgpr_kernarg_preload_length 0
		.amdhsa_user_sgpr_kernarg_preload_offset 0
		.amdhsa_user_sgpr_private_segment_size 0
		.amdhsa_wavefront_size32 1
		.amdhsa_uses_dynamic_stack 0
		.amdhsa_enable_private_segment 0
		.amdhsa_system_sgpr_workgroup_id_x 1
		.amdhsa_system_sgpr_workgroup_id_y 0
		.amdhsa_system_sgpr_workgroup_id_z 0
		.amdhsa_system_sgpr_workgroup_info 0
		.amdhsa_system_vgpr_workitem_id 0
		.amdhsa_next_free_vgpr 1
		.amdhsa_next_free_sgpr 1
		.amdhsa_named_barrier_count 0
		.amdhsa_reserve_vcc 0
		.amdhsa_float_round_mode_32 0
		.amdhsa_float_round_mode_16_64 0
		.amdhsa_float_denorm_mode_32 3
		.amdhsa_float_denorm_mode_16_64 3
		.amdhsa_fp16_overflow 0
		.amdhsa_memory_ordered 1
		.amdhsa_forward_progress 1
		.amdhsa_inst_pref_size 0
		.amdhsa_round_robin_scheduling 0
		.amdhsa_exception_fp_ieee_invalid_op 0
		.amdhsa_exception_fp_denorm_src 0
		.amdhsa_exception_fp_ieee_div_zero 0
		.amdhsa_exception_fp_ieee_overflow 0
		.amdhsa_exception_fp_ieee_underflow 0
		.amdhsa_exception_fp_ieee_inexact 0
		.amdhsa_exception_int_div_zero 0
	.end_amdhsa_kernel
	.section	.text._ZN7rocprim17ROCPRIM_400000_NS6detail17trampoline_kernelINS0_13select_configILj256ELj13ELNS0_17block_load_methodE3ELS4_3ELS4_3ELNS0_20block_scan_algorithmE0ELj4294967295EEENS1_25partition_config_selectorILNS1_17partition_subalgoE3EjNS0_10empty_typeEbEEZZNS1_14partition_implILS8_3ELb0ES6_jNS0_17counting_iteratorIjlEEPS9_SE_NS0_5tupleIJPjSE_EEENSF_IJSE_SE_EEES9_SG_JZNS1_25segmented_radix_sort_implINS0_14default_configELb0EPKdPdPKlPlN2at6native12_GLOBAL__N_18offset_tEEE10hipError_tPvRmT1_PNSt15iterator_traitsISY_E10value_typeET2_T3_PNSZ_IS14_E10value_typeET4_jRbjT5_S1A_jjP12ihipStream_tbEUljE_EEESV_SW_SX_S14_S18_S1A_T6_T7_T9_mT8_S1C_bDpT10_ENKUlT_T0_E_clISt17integral_constantIbLb0EES1P_EEDaS1K_S1L_EUlS1K_E_NS1_11comp_targetILNS1_3genE3ELNS1_11target_archE908ELNS1_3gpuE7ELNS1_3repE0EEENS1_30default_config_static_selectorELNS0_4arch9wavefront6targetE0EEEvSY_,"axG",@progbits,_ZN7rocprim17ROCPRIM_400000_NS6detail17trampoline_kernelINS0_13select_configILj256ELj13ELNS0_17block_load_methodE3ELS4_3ELS4_3ELNS0_20block_scan_algorithmE0ELj4294967295EEENS1_25partition_config_selectorILNS1_17partition_subalgoE3EjNS0_10empty_typeEbEEZZNS1_14partition_implILS8_3ELb0ES6_jNS0_17counting_iteratorIjlEEPS9_SE_NS0_5tupleIJPjSE_EEENSF_IJSE_SE_EEES9_SG_JZNS1_25segmented_radix_sort_implINS0_14default_configELb0EPKdPdPKlPlN2at6native12_GLOBAL__N_18offset_tEEE10hipError_tPvRmT1_PNSt15iterator_traitsISY_E10value_typeET2_T3_PNSZ_IS14_E10value_typeET4_jRbjT5_S1A_jjP12ihipStream_tbEUljE_EEESV_SW_SX_S14_S18_S1A_T6_T7_T9_mT8_S1C_bDpT10_ENKUlT_T0_E_clISt17integral_constantIbLb0EES1P_EEDaS1K_S1L_EUlS1K_E_NS1_11comp_targetILNS1_3genE3ELNS1_11target_archE908ELNS1_3gpuE7ELNS1_3repE0EEENS1_30default_config_static_selectorELNS0_4arch9wavefront6targetE0EEEvSY_,comdat
.Lfunc_end1186:
	.size	_ZN7rocprim17ROCPRIM_400000_NS6detail17trampoline_kernelINS0_13select_configILj256ELj13ELNS0_17block_load_methodE3ELS4_3ELS4_3ELNS0_20block_scan_algorithmE0ELj4294967295EEENS1_25partition_config_selectorILNS1_17partition_subalgoE3EjNS0_10empty_typeEbEEZZNS1_14partition_implILS8_3ELb0ES6_jNS0_17counting_iteratorIjlEEPS9_SE_NS0_5tupleIJPjSE_EEENSF_IJSE_SE_EEES9_SG_JZNS1_25segmented_radix_sort_implINS0_14default_configELb0EPKdPdPKlPlN2at6native12_GLOBAL__N_18offset_tEEE10hipError_tPvRmT1_PNSt15iterator_traitsISY_E10value_typeET2_T3_PNSZ_IS14_E10value_typeET4_jRbjT5_S1A_jjP12ihipStream_tbEUljE_EEESV_SW_SX_S14_S18_S1A_T6_T7_T9_mT8_S1C_bDpT10_ENKUlT_T0_E_clISt17integral_constantIbLb0EES1P_EEDaS1K_S1L_EUlS1K_E_NS1_11comp_targetILNS1_3genE3ELNS1_11target_archE908ELNS1_3gpuE7ELNS1_3repE0EEENS1_30default_config_static_selectorELNS0_4arch9wavefront6targetE0EEEvSY_, .Lfunc_end1186-_ZN7rocprim17ROCPRIM_400000_NS6detail17trampoline_kernelINS0_13select_configILj256ELj13ELNS0_17block_load_methodE3ELS4_3ELS4_3ELNS0_20block_scan_algorithmE0ELj4294967295EEENS1_25partition_config_selectorILNS1_17partition_subalgoE3EjNS0_10empty_typeEbEEZZNS1_14partition_implILS8_3ELb0ES6_jNS0_17counting_iteratorIjlEEPS9_SE_NS0_5tupleIJPjSE_EEENSF_IJSE_SE_EEES9_SG_JZNS1_25segmented_radix_sort_implINS0_14default_configELb0EPKdPdPKlPlN2at6native12_GLOBAL__N_18offset_tEEE10hipError_tPvRmT1_PNSt15iterator_traitsISY_E10value_typeET2_T3_PNSZ_IS14_E10value_typeET4_jRbjT5_S1A_jjP12ihipStream_tbEUljE_EEESV_SW_SX_S14_S18_S1A_T6_T7_T9_mT8_S1C_bDpT10_ENKUlT_T0_E_clISt17integral_constantIbLb0EES1P_EEDaS1K_S1L_EUlS1K_E_NS1_11comp_targetILNS1_3genE3ELNS1_11target_archE908ELNS1_3gpuE7ELNS1_3repE0EEENS1_30default_config_static_selectorELNS0_4arch9wavefront6targetE0EEEvSY_
                                        ; -- End function
	.set _ZN7rocprim17ROCPRIM_400000_NS6detail17trampoline_kernelINS0_13select_configILj256ELj13ELNS0_17block_load_methodE3ELS4_3ELS4_3ELNS0_20block_scan_algorithmE0ELj4294967295EEENS1_25partition_config_selectorILNS1_17partition_subalgoE3EjNS0_10empty_typeEbEEZZNS1_14partition_implILS8_3ELb0ES6_jNS0_17counting_iteratorIjlEEPS9_SE_NS0_5tupleIJPjSE_EEENSF_IJSE_SE_EEES9_SG_JZNS1_25segmented_radix_sort_implINS0_14default_configELb0EPKdPdPKlPlN2at6native12_GLOBAL__N_18offset_tEEE10hipError_tPvRmT1_PNSt15iterator_traitsISY_E10value_typeET2_T3_PNSZ_IS14_E10value_typeET4_jRbjT5_S1A_jjP12ihipStream_tbEUljE_EEESV_SW_SX_S14_S18_S1A_T6_T7_T9_mT8_S1C_bDpT10_ENKUlT_T0_E_clISt17integral_constantIbLb0EES1P_EEDaS1K_S1L_EUlS1K_E_NS1_11comp_targetILNS1_3genE3ELNS1_11target_archE908ELNS1_3gpuE7ELNS1_3repE0EEENS1_30default_config_static_selectorELNS0_4arch9wavefront6targetE0EEEvSY_.num_vgpr, 0
	.set _ZN7rocprim17ROCPRIM_400000_NS6detail17trampoline_kernelINS0_13select_configILj256ELj13ELNS0_17block_load_methodE3ELS4_3ELS4_3ELNS0_20block_scan_algorithmE0ELj4294967295EEENS1_25partition_config_selectorILNS1_17partition_subalgoE3EjNS0_10empty_typeEbEEZZNS1_14partition_implILS8_3ELb0ES6_jNS0_17counting_iteratorIjlEEPS9_SE_NS0_5tupleIJPjSE_EEENSF_IJSE_SE_EEES9_SG_JZNS1_25segmented_radix_sort_implINS0_14default_configELb0EPKdPdPKlPlN2at6native12_GLOBAL__N_18offset_tEEE10hipError_tPvRmT1_PNSt15iterator_traitsISY_E10value_typeET2_T3_PNSZ_IS14_E10value_typeET4_jRbjT5_S1A_jjP12ihipStream_tbEUljE_EEESV_SW_SX_S14_S18_S1A_T6_T7_T9_mT8_S1C_bDpT10_ENKUlT_T0_E_clISt17integral_constantIbLb0EES1P_EEDaS1K_S1L_EUlS1K_E_NS1_11comp_targetILNS1_3genE3ELNS1_11target_archE908ELNS1_3gpuE7ELNS1_3repE0EEENS1_30default_config_static_selectorELNS0_4arch9wavefront6targetE0EEEvSY_.num_agpr, 0
	.set _ZN7rocprim17ROCPRIM_400000_NS6detail17trampoline_kernelINS0_13select_configILj256ELj13ELNS0_17block_load_methodE3ELS4_3ELS4_3ELNS0_20block_scan_algorithmE0ELj4294967295EEENS1_25partition_config_selectorILNS1_17partition_subalgoE3EjNS0_10empty_typeEbEEZZNS1_14partition_implILS8_3ELb0ES6_jNS0_17counting_iteratorIjlEEPS9_SE_NS0_5tupleIJPjSE_EEENSF_IJSE_SE_EEES9_SG_JZNS1_25segmented_radix_sort_implINS0_14default_configELb0EPKdPdPKlPlN2at6native12_GLOBAL__N_18offset_tEEE10hipError_tPvRmT1_PNSt15iterator_traitsISY_E10value_typeET2_T3_PNSZ_IS14_E10value_typeET4_jRbjT5_S1A_jjP12ihipStream_tbEUljE_EEESV_SW_SX_S14_S18_S1A_T6_T7_T9_mT8_S1C_bDpT10_ENKUlT_T0_E_clISt17integral_constantIbLb0EES1P_EEDaS1K_S1L_EUlS1K_E_NS1_11comp_targetILNS1_3genE3ELNS1_11target_archE908ELNS1_3gpuE7ELNS1_3repE0EEENS1_30default_config_static_selectorELNS0_4arch9wavefront6targetE0EEEvSY_.numbered_sgpr, 0
	.set _ZN7rocprim17ROCPRIM_400000_NS6detail17trampoline_kernelINS0_13select_configILj256ELj13ELNS0_17block_load_methodE3ELS4_3ELS4_3ELNS0_20block_scan_algorithmE0ELj4294967295EEENS1_25partition_config_selectorILNS1_17partition_subalgoE3EjNS0_10empty_typeEbEEZZNS1_14partition_implILS8_3ELb0ES6_jNS0_17counting_iteratorIjlEEPS9_SE_NS0_5tupleIJPjSE_EEENSF_IJSE_SE_EEES9_SG_JZNS1_25segmented_radix_sort_implINS0_14default_configELb0EPKdPdPKlPlN2at6native12_GLOBAL__N_18offset_tEEE10hipError_tPvRmT1_PNSt15iterator_traitsISY_E10value_typeET2_T3_PNSZ_IS14_E10value_typeET4_jRbjT5_S1A_jjP12ihipStream_tbEUljE_EEESV_SW_SX_S14_S18_S1A_T6_T7_T9_mT8_S1C_bDpT10_ENKUlT_T0_E_clISt17integral_constantIbLb0EES1P_EEDaS1K_S1L_EUlS1K_E_NS1_11comp_targetILNS1_3genE3ELNS1_11target_archE908ELNS1_3gpuE7ELNS1_3repE0EEENS1_30default_config_static_selectorELNS0_4arch9wavefront6targetE0EEEvSY_.num_named_barrier, 0
	.set _ZN7rocprim17ROCPRIM_400000_NS6detail17trampoline_kernelINS0_13select_configILj256ELj13ELNS0_17block_load_methodE3ELS4_3ELS4_3ELNS0_20block_scan_algorithmE0ELj4294967295EEENS1_25partition_config_selectorILNS1_17partition_subalgoE3EjNS0_10empty_typeEbEEZZNS1_14partition_implILS8_3ELb0ES6_jNS0_17counting_iteratorIjlEEPS9_SE_NS0_5tupleIJPjSE_EEENSF_IJSE_SE_EEES9_SG_JZNS1_25segmented_radix_sort_implINS0_14default_configELb0EPKdPdPKlPlN2at6native12_GLOBAL__N_18offset_tEEE10hipError_tPvRmT1_PNSt15iterator_traitsISY_E10value_typeET2_T3_PNSZ_IS14_E10value_typeET4_jRbjT5_S1A_jjP12ihipStream_tbEUljE_EEESV_SW_SX_S14_S18_S1A_T6_T7_T9_mT8_S1C_bDpT10_ENKUlT_T0_E_clISt17integral_constantIbLb0EES1P_EEDaS1K_S1L_EUlS1K_E_NS1_11comp_targetILNS1_3genE3ELNS1_11target_archE908ELNS1_3gpuE7ELNS1_3repE0EEENS1_30default_config_static_selectorELNS0_4arch9wavefront6targetE0EEEvSY_.private_seg_size, 0
	.set _ZN7rocprim17ROCPRIM_400000_NS6detail17trampoline_kernelINS0_13select_configILj256ELj13ELNS0_17block_load_methodE3ELS4_3ELS4_3ELNS0_20block_scan_algorithmE0ELj4294967295EEENS1_25partition_config_selectorILNS1_17partition_subalgoE3EjNS0_10empty_typeEbEEZZNS1_14partition_implILS8_3ELb0ES6_jNS0_17counting_iteratorIjlEEPS9_SE_NS0_5tupleIJPjSE_EEENSF_IJSE_SE_EEES9_SG_JZNS1_25segmented_radix_sort_implINS0_14default_configELb0EPKdPdPKlPlN2at6native12_GLOBAL__N_18offset_tEEE10hipError_tPvRmT1_PNSt15iterator_traitsISY_E10value_typeET2_T3_PNSZ_IS14_E10value_typeET4_jRbjT5_S1A_jjP12ihipStream_tbEUljE_EEESV_SW_SX_S14_S18_S1A_T6_T7_T9_mT8_S1C_bDpT10_ENKUlT_T0_E_clISt17integral_constantIbLb0EES1P_EEDaS1K_S1L_EUlS1K_E_NS1_11comp_targetILNS1_3genE3ELNS1_11target_archE908ELNS1_3gpuE7ELNS1_3repE0EEENS1_30default_config_static_selectorELNS0_4arch9wavefront6targetE0EEEvSY_.uses_vcc, 0
	.set _ZN7rocprim17ROCPRIM_400000_NS6detail17trampoline_kernelINS0_13select_configILj256ELj13ELNS0_17block_load_methodE3ELS4_3ELS4_3ELNS0_20block_scan_algorithmE0ELj4294967295EEENS1_25partition_config_selectorILNS1_17partition_subalgoE3EjNS0_10empty_typeEbEEZZNS1_14partition_implILS8_3ELb0ES6_jNS0_17counting_iteratorIjlEEPS9_SE_NS0_5tupleIJPjSE_EEENSF_IJSE_SE_EEES9_SG_JZNS1_25segmented_radix_sort_implINS0_14default_configELb0EPKdPdPKlPlN2at6native12_GLOBAL__N_18offset_tEEE10hipError_tPvRmT1_PNSt15iterator_traitsISY_E10value_typeET2_T3_PNSZ_IS14_E10value_typeET4_jRbjT5_S1A_jjP12ihipStream_tbEUljE_EEESV_SW_SX_S14_S18_S1A_T6_T7_T9_mT8_S1C_bDpT10_ENKUlT_T0_E_clISt17integral_constantIbLb0EES1P_EEDaS1K_S1L_EUlS1K_E_NS1_11comp_targetILNS1_3genE3ELNS1_11target_archE908ELNS1_3gpuE7ELNS1_3repE0EEENS1_30default_config_static_selectorELNS0_4arch9wavefront6targetE0EEEvSY_.uses_flat_scratch, 0
	.set _ZN7rocprim17ROCPRIM_400000_NS6detail17trampoline_kernelINS0_13select_configILj256ELj13ELNS0_17block_load_methodE3ELS4_3ELS4_3ELNS0_20block_scan_algorithmE0ELj4294967295EEENS1_25partition_config_selectorILNS1_17partition_subalgoE3EjNS0_10empty_typeEbEEZZNS1_14partition_implILS8_3ELb0ES6_jNS0_17counting_iteratorIjlEEPS9_SE_NS0_5tupleIJPjSE_EEENSF_IJSE_SE_EEES9_SG_JZNS1_25segmented_radix_sort_implINS0_14default_configELb0EPKdPdPKlPlN2at6native12_GLOBAL__N_18offset_tEEE10hipError_tPvRmT1_PNSt15iterator_traitsISY_E10value_typeET2_T3_PNSZ_IS14_E10value_typeET4_jRbjT5_S1A_jjP12ihipStream_tbEUljE_EEESV_SW_SX_S14_S18_S1A_T6_T7_T9_mT8_S1C_bDpT10_ENKUlT_T0_E_clISt17integral_constantIbLb0EES1P_EEDaS1K_S1L_EUlS1K_E_NS1_11comp_targetILNS1_3genE3ELNS1_11target_archE908ELNS1_3gpuE7ELNS1_3repE0EEENS1_30default_config_static_selectorELNS0_4arch9wavefront6targetE0EEEvSY_.has_dyn_sized_stack, 0
	.set _ZN7rocprim17ROCPRIM_400000_NS6detail17trampoline_kernelINS0_13select_configILj256ELj13ELNS0_17block_load_methodE3ELS4_3ELS4_3ELNS0_20block_scan_algorithmE0ELj4294967295EEENS1_25partition_config_selectorILNS1_17partition_subalgoE3EjNS0_10empty_typeEbEEZZNS1_14partition_implILS8_3ELb0ES6_jNS0_17counting_iteratorIjlEEPS9_SE_NS0_5tupleIJPjSE_EEENSF_IJSE_SE_EEES9_SG_JZNS1_25segmented_radix_sort_implINS0_14default_configELb0EPKdPdPKlPlN2at6native12_GLOBAL__N_18offset_tEEE10hipError_tPvRmT1_PNSt15iterator_traitsISY_E10value_typeET2_T3_PNSZ_IS14_E10value_typeET4_jRbjT5_S1A_jjP12ihipStream_tbEUljE_EEESV_SW_SX_S14_S18_S1A_T6_T7_T9_mT8_S1C_bDpT10_ENKUlT_T0_E_clISt17integral_constantIbLb0EES1P_EEDaS1K_S1L_EUlS1K_E_NS1_11comp_targetILNS1_3genE3ELNS1_11target_archE908ELNS1_3gpuE7ELNS1_3repE0EEENS1_30default_config_static_selectorELNS0_4arch9wavefront6targetE0EEEvSY_.has_recursion, 0
	.set _ZN7rocprim17ROCPRIM_400000_NS6detail17trampoline_kernelINS0_13select_configILj256ELj13ELNS0_17block_load_methodE3ELS4_3ELS4_3ELNS0_20block_scan_algorithmE0ELj4294967295EEENS1_25partition_config_selectorILNS1_17partition_subalgoE3EjNS0_10empty_typeEbEEZZNS1_14partition_implILS8_3ELb0ES6_jNS0_17counting_iteratorIjlEEPS9_SE_NS0_5tupleIJPjSE_EEENSF_IJSE_SE_EEES9_SG_JZNS1_25segmented_radix_sort_implINS0_14default_configELb0EPKdPdPKlPlN2at6native12_GLOBAL__N_18offset_tEEE10hipError_tPvRmT1_PNSt15iterator_traitsISY_E10value_typeET2_T3_PNSZ_IS14_E10value_typeET4_jRbjT5_S1A_jjP12ihipStream_tbEUljE_EEESV_SW_SX_S14_S18_S1A_T6_T7_T9_mT8_S1C_bDpT10_ENKUlT_T0_E_clISt17integral_constantIbLb0EES1P_EEDaS1K_S1L_EUlS1K_E_NS1_11comp_targetILNS1_3genE3ELNS1_11target_archE908ELNS1_3gpuE7ELNS1_3repE0EEENS1_30default_config_static_selectorELNS0_4arch9wavefront6targetE0EEEvSY_.has_indirect_call, 0
	.section	.AMDGPU.csdata,"",@progbits
; Kernel info:
; codeLenInByte = 0
; TotalNumSgprs: 0
; NumVgprs: 0
; ScratchSize: 0
; MemoryBound: 0
; FloatMode: 240
; IeeeMode: 1
; LDSByteSize: 0 bytes/workgroup (compile time only)
; SGPRBlocks: 0
; VGPRBlocks: 0
; NumSGPRsForWavesPerEU: 1
; NumVGPRsForWavesPerEU: 1
; NamedBarCnt: 0
; Occupancy: 16
; WaveLimiterHint : 0
; COMPUTE_PGM_RSRC2:SCRATCH_EN: 0
; COMPUTE_PGM_RSRC2:USER_SGPR: 2
; COMPUTE_PGM_RSRC2:TRAP_HANDLER: 0
; COMPUTE_PGM_RSRC2:TGID_X_EN: 1
; COMPUTE_PGM_RSRC2:TGID_Y_EN: 0
; COMPUTE_PGM_RSRC2:TGID_Z_EN: 0
; COMPUTE_PGM_RSRC2:TIDIG_COMP_CNT: 0
	.section	.text._ZN7rocprim17ROCPRIM_400000_NS6detail17trampoline_kernelINS0_13select_configILj256ELj13ELNS0_17block_load_methodE3ELS4_3ELS4_3ELNS0_20block_scan_algorithmE0ELj4294967295EEENS1_25partition_config_selectorILNS1_17partition_subalgoE3EjNS0_10empty_typeEbEEZZNS1_14partition_implILS8_3ELb0ES6_jNS0_17counting_iteratorIjlEEPS9_SE_NS0_5tupleIJPjSE_EEENSF_IJSE_SE_EEES9_SG_JZNS1_25segmented_radix_sort_implINS0_14default_configELb0EPKdPdPKlPlN2at6native12_GLOBAL__N_18offset_tEEE10hipError_tPvRmT1_PNSt15iterator_traitsISY_E10value_typeET2_T3_PNSZ_IS14_E10value_typeET4_jRbjT5_S1A_jjP12ihipStream_tbEUljE_EEESV_SW_SX_S14_S18_S1A_T6_T7_T9_mT8_S1C_bDpT10_ENKUlT_T0_E_clISt17integral_constantIbLb0EES1P_EEDaS1K_S1L_EUlS1K_E_NS1_11comp_targetILNS1_3genE2ELNS1_11target_archE906ELNS1_3gpuE6ELNS1_3repE0EEENS1_30default_config_static_selectorELNS0_4arch9wavefront6targetE0EEEvSY_,"axG",@progbits,_ZN7rocprim17ROCPRIM_400000_NS6detail17trampoline_kernelINS0_13select_configILj256ELj13ELNS0_17block_load_methodE3ELS4_3ELS4_3ELNS0_20block_scan_algorithmE0ELj4294967295EEENS1_25partition_config_selectorILNS1_17partition_subalgoE3EjNS0_10empty_typeEbEEZZNS1_14partition_implILS8_3ELb0ES6_jNS0_17counting_iteratorIjlEEPS9_SE_NS0_5tupleIJPjSE_EEENSF_IJSE_SE_EEES9_SG_JZNS1_25segmented_radix_sort_implINS0_14default_configELb0EPKdPdPKlPlN2at6native12_GLOBAL__N_18offset_tEEE10hipError_tPvRmT1_PNSt15iterator_traitsISY_E10value_typeET2_T3_PNSZ_IS14_E10value_typeET4_jRbjT5_S1A_jjP12ihipStream_tbEUljE_EEESV_SW_SX_S14_S18_S1A_T6_T7_T9_mT8_S1C_bDpT10_ENKUlT_T0_E_clISt17integral_constantIbLb0EES1P_EEDaS1K_S1L_EUlS1K_E_NS1_11comp_targetILNS1_3genE2ELNS1_11target_archE906ELNS1_3gpuE6ELNS1_3repE0EEENS1_30default_config_static_selectorELNS0_4arch9wavefront6targetE0EEEvSY_,comdat
	.globl	_ZN7rocprim17ROCPRIM_400000_NS6detail17trampoline_kernelINS0_13select_configILj256ELj13ELNS0_17block_load_methodE3ELS4_3ELS4_3ELNS0_20block_scan_algorithmE0ELj4294967295EEENS1_25partition_config_selectorILNS1_17partition_subalgoE3EjNS0_10empty_typeEbEEZZNS1_14partition_implILS8_3ELb0ES6_jNS0_17counting_iteratorIjlEEPS9_SE_NS0_5tupleIJPjSE_EEENSF_IJSE_SE_EEES9_SG_JZNS1_25segmented_radix_sort_implINS0_14default_configELb0EPKdPdPKlPlN2at6native12_GLOBAL__N_18offset_tEEE10hipError_tPvRmT1_PNSt15iterator_traitsISY_E10value_typeET2_T3_PNSZ_IS14_E10value_typeET4_jRbjT5_S1A_jjP12ihipStream_tbEUljE_EEESV_SW_SX_S14_S18_S1A_T6_T7_T9_mT8_S1C_bDpT10_ENKUlT_T0_E_clISt17integral_constantIbLb0EES1P_EEDaS1K_S1L_EUlS1K_E_NS1_11comp_targetILNS1_3genE2ELNS1_11target_archE906ELNS1_3gpuE6ELNS1_3repE0EEENS1_30default_config_static_selectorELNS0_4arch9wavefront6targetE0EEEvSY_ ; -- Begin function _ZN7rocprim17ROCPRIM_400000_NS6detail17trampoline_kernelINS0_13select_configILj256ELj13ELNS0_17block_load_methodE3ELS4_3ELS4_3ELNS0_20block_scan_algorithmE0ELj4294967295EEENS1_25partition_config_selectorILNS1_17partition_subalgoE3EjNS0_10empty_typeEbEEZZNS1_14partition_implILS8_3ELb0ES6_jNS0_17counting_iteratorIjlEEPS9_SE_NS0_5tupleIJPjSE_EEENSF_IJSE_SE_EEES9_SG_JZNS1_25segmented_radix_sort_implINS0_14default_configELb0EPKdPdPKlPlN2at6native12_GLOBAL__N_18offset_tEEE10hipError_tPvRmT1_PNSt15iterator_traitsISY_E10value_typeET2_T3_PNSZ_IS14_E10value_typeET4_jRbjT5_S1A_jjP12ihipStream_tbEUljE_EEESV_SW_SX_S14_S18_S1A_T6_T7_T9_mT8_S1C_bDpT10_ENKUlT_T0_E_clISt17integral_constantIbLb0EES1P_EEDaS1K_S1L_EUlS1K_E_NS1_11comp_targetILNS1_3genE2ELNS1_11target_archE906ELNS1_3gpuE6ELNS1_3repE0EEENS1_30default_config_static_selectorELNS0_4arch9wavefront6targetE0EEEvSY_
	.p2align	8
	.type	_ZN7rocprim17ROCPRIM_400000_NS6detail17trampoline_kernelINS0_13select_configILj256ELj13ELNS0_17block_load_methodE3ELS4_3ELS4_3ELNS0_20block_scan_algorithmE0ELj4294967295EEENS1_25partition_config_selectorILNS1_17partition_subalgoE3EjNS0_10empty_typeEbEEZZNS1_14partition_implILS8_3ELb0ES6_jNS0_17counting_iteratorIjlEEPS9_SE_NS0_5tupleIJPjSE_EEENSF_IJSE_SE_EEES9_SG_JZNS1_25segmented_radix_sort_implINS0_14default_configELb0EPKdPdPKlPlN2at6native12_GLOBAL__N_18offset_tEEE10hipError_tPvRmT1_PNSt15iterator_traitsISY_E10value_typeET2_T3_PNSZ_IS14_E10value_typeET4_jRbjT5_S1A_jjP12ihipStream_tbEUljE_EEESV_SW_SX_S14_S18_S1A_T6_T7_T9_mT8_S1C_bDpT10_ENKUlT_T0_E_clISt17integral_constantIbLb0EES1P_EEDaS1K_S1L_EUlS1K_E_NS1_11comp_targetILNS1_3genE2ELNS1_11target_archE906ELNS1_3gpuE6ELNS1_3repE0EEENS1_30default_config_static_selectorELNS0_4arch9wavefront6targetE0EEEvSY_,@function
_ZN7rocprim17ROCPRIM_400000_NS6detail17trampoline_kernelINS0_13select_configILj256ELj13ELNS0_17block_load_methodE3ELS4_3ELS4_3ELNS0_20block_scan_algorithmE0ELj4294967295EEENS1_25partition_config_selectorILNS1_17partition_subalgoE3EjNS0_10empty_typeEbEEZZNS1_14partition_implILS8_3ELb0ES6_jNS0_17counting_iteratorIjlEEPS9_SE_NS0_5tupleIJPjSE_EEENSF_IJSE_SE_EEES9_SG_JZNS1_25segmented_radix_sort_implINS0_14default_configELb0EPKdPdPKlPlN2at6native12_GLOBAL__N_18offset_tEEE10hipError_tPvRmT1_PNSt15iterator_traitsISY_E10value_typeET2_T3_PNSZ_IS14_E10value_typeET4_jRbjT5_S1A_jjP12ihipStream_tbEUljE_EEESV_SW_SX_S14_S18_S1A_T6_T7_T9_mT8_S1C_bDpT10_ENKUlT_T0_E_clISt17integral_constantIbLb0EES1P_EEDaS1K_S1L_EUlS1K_E_NS1_11comp_targetILNS1_3genE2ELNS1_11target_archE906ELNS1_3gpuE6ELNS1_3repE0EEENS1_30default_config_static_selectorELNS0_4arch9wavefront6targetE0EEEvSY_: ; @_ZN7rocprim17ROCPRIM_400000_NS6detail17trampoline_kernelINS0_13select_configILj256ELj13ELNS0_17block_load_methodE3ELS4_3ELS4_3ELNS0_20block_scan_algorithmE0ELj4294967295EEENS1_25partition_config_selectorILNS1_17partition_subalgoE3EjNS0_10empty_typeEbEEZZNS1_14partition_implILS8_3ELb0ES6_jNS0_17counting_iteratorIjlEEPS9_SE_NS0_5tupleIJPjSE_EEENSF_IJSE_SE_EEES9_SG_JZNS1_25segmented_radix_sort_implINS0_14default_configELb0EPKdPdPKlPlN2at6native12_GLOBAL__N_18offset_tEEE10hipError_tPvRmT1_PNSt15iterator_traitsISY_E10value_typeET2_T3_PNSZ_IS14_E10value_typeET4_jRbjT5_S1A_jjP12ihipStream_tbEUljE_EEESV_SW_SX_S14_S18_S1A_T6_T7_T9_mT8_S1C_bDpT10_ENKUlT_T0_E_clISt17integral_constantIbLb0EES1P_EEDaS1K_S1L_EUlS1K_E_NS1_11comp_targetILNS1_3genE2ELNS1_11target_archE906ELNS1_3gpuE6ELNS1_3repE0EEENS1_30default_config_static_selectorELNS0_4arch9wavefront6targetE0EEEvSY_
; %bb.0:
	.section	.rodata,"a",@progbits
	.p2align	6, 0x0
	.amdhsa_kernel _ZN7rocprim17ROCPRIM_400000_NS6detail17trampoline_kernelINS0_13select_configILj256ELj13ELNS0_17block_load_methodE3ELS4_3ELS4_3ELNS0_20block_scan_algorithmE0ELj4294967295EEENS1_25partition_config_selectorILNS1_17partition_subalgoE3EjNS0_10empty_typeEbEEZZNS1_14partition_implILS8_3ELb0ES6_jNS0_17counting_iteratorIjlEEPS9_SE_NS0_5tupleIJPjSE_EEENSF_IJSE_SE_EEES9_SG_JZNS1_25segmented_radix_sort_implINS0_14default_configELb0EPKdPdPKlPlN2at6native12_GLOBAL__N_18offset_tEEE10hipError_tPvRmT1_PNSt15iterator_traitsISY_E10value_typeET2_T3_PNSZ_IS14_E10value_typeET4_jRbjT5_S1A_jjP12ihipStream_tbEUljE_EEESV_SW_SX_S14_S18_S1A_T6_T7_T9_mT8_S1C_bDpT10_ENKUlT_T0_E_clISt17integral_constantIbLb0EES1P_EEDaS1K_S1L_EUlS1K_E_NS1_11comp_targetILNS1_3genE2ELNS1_11target_archE906ELNS1_3gpuE6ELNS1_3repE0EEENS1_30default_config_static_selectorELNS0_4arch9wavefront6targetE0EEEvSY_
		.amdhsa_group_segment_fixed_size 0
		.amdhsa_private_segment_fixed_size 0
		.amdhsa_kernarg_size 144
		.amdhsa_user_sgpr_count 2
		.amdhsa_user_sgpr_dispatch_ptr 0
		.amdhsa_user_sgpr_queue_ptr 0
		.amdhsa_user_sgpr_kernarg_segment_ptr 1
		.amdhsa_user_sgpr_dispatch_id 0
		.amdhsa_user_sgpr_kernarg_preload_length 0
		.amdhsa_user_sgpr_kernarg_preload_offset 0
		.amdhsa_user_sgpr_private_segment_size 0
		.amdhsa_wavefront_size32 1
		.amdhsa_uses_dynamic_stack 0
		.amdhsa_enable_private_segment 0
		.amdhsa_system_sgpr_workgroup_id_x 1
		.amdhsa_system_sgpr_workgroup_id_y 0
		.amdhsa_system_sgpr_workgroup_id_z 0
		.amdhsa_system_sgpr_workgroup_info 0
		.amdhsa_system_vgpr_workitem_id 0
		.amdhsa_next_free_vgpr 1
		.amdhsa_next_free_sgpr 1
		.amdhsa_named_barrier_count 0
		.amdhsa_reserve_vcc 0
		.amdhsa_float_round_mode_32 0
		.amdhsa_float_round_mode_16_64 0
		.amdhsa_float_denorm_mode_32 3
		.amdhsa_float_denorm_mode_16_64 3
		.amdhsa_fp16_overflow 0
		.amdhsa_memory_ordered 1
		.amdhsa_forward_progress 1
		.amdhsa_inst_pref_size 0
		.amdhsa_round_robin_scheduling 0
		.amdhsa_exception_fp_ieee_invalid_op 0
		.amdhsa_exception_fp_denorm_src 0
		.amdhsa_exception_fp_ieee_div_zero 0
		.amdhsa_exception_fp_ieee_overflow 0
		.amdhsa_exception_fp_ieee_underflow 0
		.amdhsa_exception_fp_ieee_inexact 0
		.amdhsa_exception_int_div_zero 0
	.end_amdhsa_kernel
	.section	.text._ZN7rocprim17ROCPRIM_400000_NS6detail17trampoline_kernelINS0_13select_configILj256ELj13ELNS0_17block_load_methodE3ELS4_3ELS4_3ELNS0_20block_scan_algorithmE0ELj4294967295EEENS1_25partition_config_selectorILNS1_17partition_subalgoE3EjNS0_10empty_typeEbEEZZNS1_14partition_implILS8_3ELb0ES6_jNS0_17counting_iteratorIjlEEPS9_SE_NS0_5tupleIJPjSE_EEENSF_IJSE_SE_EEES9_SG_JZNS1_25segmented_radix_sort_implINS0_14default_configELb0EPKdPdPKlPlN2at6native12_GLOBAL__N_18offset_tEEE10hipError_tPvRmT1_PNSt15iterator_traitsISY_E10value_typeET2_T3_PNSZ_IS14_E10value_typeET4_jRbjT5_S1A_jjP12ihipStream_tbEUljE_EEESV_SW_SX_S14_S18_S1A_T6_T7_T9_mT8_S1C_bDpT10_ENKUlT_T0_E_clISt17integral_constantIbLb0EES1P_EEDaS1K_S1L_EUlS1K_E_NS1_11comp_targetILNS1_3genE2ELNS1_11target_archE906ELNS1_3gpuE6ELNS1_3repE0EEENS1_30default_config_static_selectorELNS0_4arch9wavefront6targetE0EEEvSY_,"axG",@progbits,_ZN7rocprim17ROCPRIM_400000_NS6detail17trampoline_kernelINS0_13select_configILj256ELj13ELNS0_17block_load_methodE3ELS4_3ELS4_3ELNS0_20block_scan_algorithmE0ELj4294967295EEENS1_25partition_config_selectorILNS1_17partition_subalgoE3EjNS0_10empty_typeEbEEZZNS1_14partition_implILS8_3ELb0ES6_jNS0_17counting_iteratorIjlEEPS9_SE_NS0_5tupleIJPjSE_EEENSF_IJSE_SE_EEES9_SG_JZNS1_25segmented_radix_sort_implINS0_14default_configELb0EPKdPdPKlPlN2at6native12_GLOBAL__N_18offset_tEEE10hipError_tPvRmT1_PNSt15iterator_traitsISY_E10value_typeET2_T3_PNSZ_IS14_E10value_typeET4_jRbjT5_S1A_jjP12ihipStream_tbEUljE_EEESV_SW_SX_S14_S18_S1A_T6_T7_T9_mT8_S1C_bDpT10_ENKUlT_T0_E_clISt17integral_constantIbLb0EES1P_EEDaS1K_S1L_EUlS1K_E_NS1_11comp_targetILNS1_3genE2ELNS1_11target_archE906ELNS1_3gpuE6ELNS1_3repE0EEENS1_30default_config_static_selectorELNS0_4arch9wavefront6targetE0EEEvSY_,comdat
.Lfunc_end1187:
	.size	_ZN7rocprim17ROCPRIM_400000_NS6detail17trampoline_kernelINS0_13select_configILj256ELj13ELNS0_17block_load_methodE3ELS4_3ELS4_3ELNS0_20block_scan_algorithmE0ELj4294967295EEENS1_25partition_config_selectorILNS1_17partition_subalgoE3EjNS0_10empty_typeEbEEZZNS1_14partition_implILS8_3ELb0ES6_jNS0_17counting_iteratorIjlEEPS9_SE_NS0_5tupleIJPjSE_EEENSF_IJSE_SE_EEES9_SG_JZNS1_25segmented_radix_sort_implINS0_14default_configELb0EPKdPdPKlPlN2at6native12_GLOBAL__N_18offset_tEEE10hipError_tPvRmT1_PNSt15iterator_traitsISY_E10value_typeET2_T3_PNSZ_IS14_E10value_typeET4_jRbjT5_S1A_jjP12ihipStream_tbEUljE_EEESV_SW_SX_S14_S18_S1A_T6_T7_T9_mT8_S1C_bDpT10_ENKUlT_T0_E_clISt17integral_constantIbLb0EES1P_EEDaS1K_S1L_EUlS1K_E_NS1_11comp_targetILNS1_3genE2ELNS1_11target_archE906ELNS1_3gpuE6ELNS1_3repE0EEENS1_30default_config_static_selectorELNS0_4arch9wavefront6targetE0EEEvSY_, .Lfunc_end1187-_ZN7rocprim17ROCPRIM_400000_NS6detail17trampoline_kernelINS0_13select_configILj256ELj13ELNS0_17block_load_methodE3ELS4_3ELS4_3ELNS0_20block_scan_algorithmE0ELj4294967295EEENS1_25partition_config_selectorILNS1_17partition_subalgoE3EjNS0_10empty_typeEbEEZZNS1_14partition_implILS8_3ELb0ES6_jNS0_17counting_iteratorIjlEEPS9_SE_NS0_5tupleIJPjSE_EEENSF_IJSE_SE_EEES9_SG_JZNS1_25segmented_radix_sort_implINS0_14default_configELb0EPKdPdPKlPlN2at6native12_GLOBAL__N_18offset_tEEE10hipError_tPvRmT1_PNSt15iterator_traitsISY_E10value_typeET2_T3_PNSZ_IS14_E10value_typeET4_jRbjT5_S1A_jjP12ihipStream_tbEUljE_EEESV_SW_SX_S14_S18_S1A_T6_T7_T9_mT8_S1C_bDpT10_ENKUlT_T0_E_clISt17integral_constantIbLb0EES1P_EEDaS1K_S1L_EUlS1K_E_NS1_11comp_targetILNS1_3genE2ELNS1_11target_archE906ELNS1_3gpuE6ELNS1_3repE0EEENS1_30default_config_static_selectorELNS0_4arch9wavefront6targetE0EEEvSY_
                                        ; -- End function
	.set _ZN7rocprim17ROCPRIM_400000_NS6detail17trampoline_kernelINS0_13select_configILj256ELj13ELNS0_17block_load_methodE3ELS4_3ELS4_3ELNS0_20block_scan_algorithmE0ELj4294967295EEENS1_25partition_config_selectorILNS1_17partition_subalgoE3EjNS0_10empty_typeEbEEZZNS1_14partition_implILS8_3ELb0ES6_jNS0_17counting_iteratorIjlEEPS9_SE_NS0_5tupleIJPjSE_EEENSF_IJSE_SE_EEES9_SG_JZNS1_25segmented_radix_sort_implINS0_14default_configELb0EPKdPdPKlPlN2at6native12_GLOBAL__N_18offset_tEEE10hipError_tPvRmT1_PNSt15iterator_traitsISY_E10value_typeET2_T3_PNSZ_IS14_E10value_typeET4_jRbjT5_S1A_jjP12ihipStream_tbEUljE_EEESV_SW_SX_S14_S18_S1A_T6_T7_T9_mT8_S1C_bDpT10_ENKUlT_T0_E_clISt17integral_constantIbLb0EES1P_EEDaS1K_S1L_EUlS1K_E_NS1_11comp_targetILNS1_3genE2ELNS1_11target_archE906ELNS1_3gpuE6ELNS1_3repE0EEENS1_30default_config_static_selectorELNS0_4arch9wavefront6targetE0EEEvSY_.num_vgpr, 0
	.set _ZN7rocprim17ROCPRIM_400000_NS6detail17trampoline_kernelINS0_13select_configILj256ELj13ELNS0_17block_load_methodE3ELS4_3ELS4_3ELNS0_20block_scan_algorithmE0ELj4294967295EEENS1_25partition_config_selectorILNS1_17partition_subalgoE3EjNS0_10empty_typeEbEEZZNS1_14partition_implILS8_3ELb0ES6_jNS0_17counting_iteratorIjlEEPS9_SE_NS0_5tupleIJPjSE_EEENSF_IJSE_SE_EEES9_SG_JZNS1_25segmented_radix_sort_implINS0_14default_configELb0EPKdPdPKlPlN2at6native12_GLOBAL__N_18offset_tEEE10hipError_tPvRmT1_PNSt15iterator_traitsISY_E10value_typeET2_T3_PNSZ_IS14_E10value_typeET4_jRbjT5_S1A_jjP12ihipStream_tbEUljE_EEESV_SW_SX_S14_S18_S1A_T6_T7_T9_mT8_S1C_bDpT10_ENKUlT_T0_E_clISt17integral_constantIbLb0EES1P_EEDaS1K_S1L_EUlS1K_E_NS1_11comp_targetILNS1_3genE2ELNS1_11target_archE906ELNS1_3gpuE6ELNS1_3repE0EEENS1_30default_config_static_selectorELNS0_4arch9wavefront6targetE0EEEvSY_.num_agpr, 0
	.set _ZN7rocprim17ROCPRIM_400000_NS6detail17trampoline_kernelINS0_13select_configILj256ELj13ELNS0_17block_load_methodE3ELS4_3ELS4_3ELNS0_20block_scan_algorithmE0ELj4294967295EEENS1_25partition_config_selectorILNS1_17partition_subalgoE3EjNS0_10empty_typeEbEEZZNS1_14partition_implILS8_3ELb0ES6_jNS0_17counting_iteratorIjlEEPS9_SE_NS0_5tupleIJPjSE_EEENSF_IJSE_SE_EEES9_SG_JZNS1_25segmented_radix_sort_implINS0_14default_configELb0EPKdPdPKlPlN2at6native12_GLOBAL__N_18offset_tEEE10hipError_tPvRmT1_PNSt15iterator_traitsISY_E10value_typeET2_T3_PNSZ_IS14_E10value_typeET4_jRbjT5_S1A_jjP12ihipStream_tbEUljE_EEESV_SW_SX_S14_S18_S1A_T6_T7_T9_mT8_S1C_bDpT10_ENKUlT_T0_E_clISt17integral_constantIbLb0EES1P_EEDaS1K_S1L_EUlS1K_E_NS1_11comp_targetILNS1_3genE2ELNS1_11target_archE906ELNS1_3gpuE6ELNS1_3repE0EEENS1_30default_config_static_selectorELNS0_4arch9wavefront6targetE0EEEvSY_.numbered_sgpr, 0
	.set _ZN7rocprim17ROCPRIM_400000_NS6detail17trampoline_kernelINS0_13select_configILj256ELj13ELNS0_17block_load_methodE3ELS4_3ELS4_3ELNS0_20block_scan_algorithmE0ELj4294967295EEENS1_25partition_config_selectorILNS1_17partition_subalgoE3EjNS0_10empty_typeEbEEZZNS1_14partition_implILS8_3ELb0ES6_jNS0_17counting_iteratorIjlEEPS9_SE_NS0_5tupleIJPjSE_EEENSF_IJSE_SE_EEES9_SG_JZNS1_25segmented_radix_sort_implINS0_14default_configELb0EPKdPdPKlPlN2at6native12_GLOBAL__N_18offset_tEEE10hipError_tPvRmT1_PNSt15iterator_traitsISY_E10value_typeET2_T3_PNSZ_IS14_E10value_typeET4_jRbjT5_S1A_jjP12ihipStream_tbEUljE_EEESV_SW_SX_S14_S18_S1A_T6_T7_T9_mT8_S1C_bDpT10_ENKUlT_T0_E_clISt17integral_constantIbLb0EES1P_EEDaS1K_S1L_EUlS1K_E_NS1_11comp_targetILNS1_3genE2ELNS1_11target_archE906ELNS1_3gpuE6ELNS1_3repE0EEENS1_30default_config_static_selectorELNS0_4arch9wavefront6targetE0EEEvSY_.num_named_barrier, 0
	.set _ZN7rocprim17ROCPRIM_400000_NS6detail17trampoline_kernelINS0_13select_configILj256ELj13ELNS0_17block_load_methodE3ELS4_3ELS4_3ELNS0_20block_scan_algorithmE0ELj4294967295EEENS1_25partition_config_selectorILNS1_17partition_subalgoE3EjNS0_10empty_typeEbEEZZNS1_14partition_implILS8_3ELb0ES6_jNS0_17counting_iteratorIjlEEPS9_SE_NS0_5tupleIJPjSE_EEENSF_IJSE_SE_EEES9_SG_JZNS1_25segmented_radix_sort_implINS0_14default_configELb0EPKdPdPKlPlN2at6native12_GLOBAL__N_18offset_tEEE10hipError_tPvRmT1_PNSt15iterator_traitsISY_E10value_typeET2_T3_PNSZ_IS14_E10value_typeET4_jRbjT5_S1A_jjP12ihipStream_tbEUljE_EEESV_SW_SX_S14_S18_S1A_T6_T7_T9_mT8_S1C_bDpT10_ENKUlT_T0_E_clISt17integral_constantIbLb0EES1P_EEDaS1K_S1L_EUlS1K_E_NS1_11comp_targetILNS1_3genE2ELNS1_11target_archE906ELNS1_3gpuE6ELNS1_3repE0EEENS1_30default_config_static_selectorELNS0_4arch9wavefront6targetE0EEEvSY_.private_seg_size, 0
	.set _ZN7rocprim17ROCPRIM_400000_NS6detail17trampoline_kernelINS0_13select_configILj256ELj13ELNS0_17block_load_methodE3ELS4_3ELS4_3ELNS0_20block_scan_algorithmE0ELj4294967295EEENS1_25partition_config_selectorILNS1_17partition_subalgoE3EjNS0_10empty_typeEbEEZZNS1_14partition_implILS8_3ELb0ES6_jNS0_17counting_iteratorIjlEEPS9_SE_NS0_5tupleIJPjSE_EEENSF_IJSE_SE_EEES9_SG_JZNS1_25segmented_radix_sort_implINS0_14default_configELb0EPKdPdPKlPlN2at6native12_GLOBAL__N_18offset_tEEE10hipError_tPvRmT1_PNSt15iterator_traitsISY_E10value_typeET2_T3_PNSZ_IS14_E10value_typeET4_jRbjT5_S1A_jjP12ihipStream_tbEUljE_EEESV_SW_SX_S14_S18_S1A_T6_T7_T9_mT8_S1C_bDpT10_ENKUlT_T0_E_clISt17integral_constantIbLb0EES1P_EEDaS1K_S1L_EUlS1K_E_NS1_11comp_targetILNS1_3genE2ELNS1_11target_archE906ELNS1_3gpuE6ELNS1_3repE0EEENS1_30default_config_static_selectorELNS0_4arch9wavefront6targetE0EEEvSY_.uses_vcc, 0
	.set _ZN7rocprim17ROCPRIM_400000_NS6detail17trampoline_kernelINS0_13select_configILj256ELj13ELNS0_17block_load_methodE3ELS4_3ELS4_3ELNS0_20block_scan_algorithmE0ELj4294967295EEENS1_25partition_config_selectorILNS1_17partition_subalgoE3EjNS0_10empty_typeEbEEZZNS1_14partition_implILS8_3ELb0ES6_jNS0_17counting_iteratorIjlEEPS9_SE_NS0_5tupleIJPjSE_EEENSF_IJSE_SE_EEES9_SG_JZNS1_25segmented_radix_sort_implINS0_14default_configELb0EPKdPdPKlPlN2at6native12_GLOBAL__N_18offset_tEEE10hipError_tPvRmT1_PNSt15iterator_traitsISY_E10value_typeET2_T3_PNSZ_IS14_E10value_typeET4_jRbjT5_S1A_jjP12ihipStream_tbEUljE_EEESV_SW_SX_S14_S18_S1A_T6_T7_T9_mT8_S1C_bDpT10_ENKUlT_T0_E_clISt17integral_constantIbLb0EES1P_EEDaS1K_S1L_EUlS1K_E_NS1_11comp_targetILNS1_3genE2ELNS1_11target_archE906ELNS1_3gpuE6ELNS1_3repE0EEENS1_30default_config_static_selectorELNS0_4arch9wavefront6targetE0EEEvSY_.uses_flat_scratch, 0
	.set _ZN7rocprim17ROCPRIM_400000_NS6detail17trampoline_kernelINS0_13select_configILj256ELj13ELNS0_17block_load_methodE3ELS4_3ELS4_3ELNS0_20block_scan_algorithmE0ELj4294967295EEENS1_25partition_config_selectorILNS1_17partition_subalgoE3EjNS0_10empty_typeEbEEZZNS1_14partition_implILS8_3ELb0ES6_jNS0_17counting_iteratorIjlEEPS9_SE_NS0_5tupleIJPjSE_EEENSF_IJSE_SE_EEES9_SG_JZNS1_25segmented_radix_sort_implINS0_14default_configELb0EPKdPdPKlPlN2at6native12_GLOBAL__N_18offset_tEEE10hipError_tPvRmT1_PNSt15iterator_traitsISY_E10value_typeET2_T3_PNSZ_IS14_E10value_typeET4_jRbjT5_S1A_jjP12ihipStream_tbEUljE_EEESV_SW_SX_S14_S18_S1A_T6_T7_T9_mT8_S1C_bDpT10_ENKUlT_T0_E_clISt17integral_constantIbLb0EES1P_EEDaS1K_S1L_EUlS1K_E_NS1_11comp_targetILNS1_3genE2ELNS1_11target_archE906ELNS1_3gpuE6ELNS1_3repE0EEENS1_30default_config_static_selectorELNS0_4arch9wavefront6targetE0EEEvSY_.has_dyn_sized_stack, 0
	.set _ZN7rocprim17ROCPRIM_400000_NS6detail17trampoline_kernelINS0_13select_configILj256ELj13ELNS0_17block_load_methodE3ELS4_3ELS4_3ELNS0_20block_scan_algorithmE0ELj4294967295EEENS1_25partition_config_selectorILNS1_17partition_subalgoE3EjNS0_10empty_typeEbEEZZNS1_14partition_implILS8_3ELb0ES6_jNS0_17counting_iteratorIjlEEPS9_SE_NS0_5tupleIJPjSE_EEENSF_IJSE_SE_EEES9_SG_JZNS1_25segmented_radix_sort_implINS0_14default_configELb0EPKdPdPKlPlN2at6native12_GLOBAL__N_18offset_tEEE10hipError_tPvRmT1_PNSt15iterator_traitsISY_E10value_typeET2_T3_PNSZ_IS14_E10value_typeET4_jRbjT5_S1A_jjP12ihipStream_tbEUljE_EEESV_SW_SX_S14_S18_S1A_T6_T7_T9_mT8_S1C_bDpT10_ENKUlT_T0_E_clISt17integral_constantIbLb0EES1P_EEDaS1K_S1L_EUlS1K_E_NS1_11comp_targetILNS1_3genE2ELNS1_11target_archE906ELNS1_3gpuE6ELNS1_3repE0EEENS1_30default_config_static_selectorELNS0_4arch9wavefront6targetE0EEEvSY_.has_recursion, 0
	.set _ZN7rocprim17ROCPRIM_400000_NS6detail17trampoline_kernelINS0_13select_configILj256ELj13ELNS0_17block_load_methodE3ELS4_3ELS4_3ELNS0_20block_scan_algorithmE0ELj4294967295EEENS1_25partition_config_selectorILNS1_17partition_subalgoE3EjNS0_10empty_typeEbEEZZNS1_14partition_implILS8_3ELb0ES6_jNS0_17counting_iteratorIjlEEPS9_SE_NS0_5tupleIJPjSE_EEENSF_IJSE_SE_EEES9_SG_JZNS1_25segmented_radix_sort_implINS0_14default_configELb0EPKdPdPKlPlN2at6native12_GLOBAL__N_18offset_tEEE10hipError_tPvRmT1_PNSt15iterator_traitsISY_E10value_typeET2_T3_PNSZ_IS14_E10value_typeET4_jRbjT5_S1A_jjP12ihipStream_tbEUljE_EEESV_SW_SX_S14_S18_S1A_T6_T7_T9_mT8_S1C_bDpT10_ENKUlT_T0_E_clISt17integral_constantIbLb0EES1P_EEDaS1K_S1L_EUlS1K_E_NS1_11comp_targetILNS1_3genE2ELNS1_11target_archE906ELNS1_3gpuE6ELNS1_3repE0EEENS1_30default_config_static_selectorELNS0_4arch9wavefront6targetE0EEEvSY_.has_indirect_call, 0
	.section	.AMDGPU.csdata,"",@progbits
; Kernel info:
; codeLenInByte = 0
; TotalNumSgprs: 0
; NumVgprs: 0
; ScratchSize: 0
; MemoryBound: 0
; FloatMode: 240
; IeeeMode: 1
; LDSByteSize: 0 bytes/workgroup (compile time only)
; SGPRBlocks: 0
; VGPRBlocks: 0
; NumSGPRsForWavesPerEU: 1
; NumVGPRsForWavesPerEU: 1
; NamedBarCnt: 0
; Occupancy: 16
; WaveLimiterHint : 0
; COMPUTE_PGM_RSRC2:SCRATCH_EN: 0
; COMPUTE_PGM_RSRC2:USER_SGPR: 2
; COMPUTE_PGM_RSRC2:TRAP_HANDLER: 0
; COMPUTE_PGM_RSRC2:TGID_X_EN: 1
; COMPUTE_PGM_RSRC2:TGID_Y_EN: 0
; COMPUTE_PGM_RSRC2:TGID_Z_EN: 0
; COMPUTE_PGM_RSRC2:TIDIG_COMP_CNT: 0
	.section	.text._ZN7rocprim17ROCPRIM_400000_NS6detail17trampoline_kernelINS0_13select_configILj256ELj13ELNS0_17block_load_methodE3ELS4_3ELS4_3ELNS0_20block_scan_algorithmE0ELj4294967295EEENS1_25partition_config_selectorILNS1_17partition_subalgoE3EjNS0_10empty_typeEbEEZZNS1_14partition_implILS8_3ELb0ES6_jNS0_17counting_iteratorIjlEEPS9_SE_NS0_5tupleIJPjSE_EEENSF_IJSE_SE_EEES9_SG_JZNS1_25segmented_radix_sort_implINS0_14default_configELb0EPKdPdPKlPlN2at6native12_GLOBAL__N_18offset_tEEE10hipError_tPvRmT1_PNSt15iterator_traitsISY_E10value_typeET2_T3_PNSZ_IS14_E10value_typeET4_jRbjT5_S1A_jjP12ihipStream_tbEUljE_EEESV_SW_SX_S14_S18_S1A_T6_T7_T9_mT8_S1C_bDpT10_ENKUlT_T0_E_clISt17integral_constantIbLb0EES1P_EEDaS1K_S1L_EUlS1K_E_NS1_11comp_targetILNS1_3genE10ELNS1_11target_archE1200ELNS1_3gpuE4ELNS1_3repE0EEENS1_30default_config_static_selectorELNS0_4arch9wavefront6targetE0EEEvSY_,"axG",@progbits,_ZN7rocprim17ROCPRIM_400000_NS6detail17trampoline_kernelINS0_13select_configILj256ELj13ELNS0_17block_load_methodE3ELS4_3ELS4_3ELNS0_20block_scan_algorithmE0ELj4294967295EEENS1_25partition_config_selectorILNS1_17partition_subalgoE3EjNS0_10empty_typeEbEEZZNS1_14partition_implILS8_3ELb0ES6_jNS0_17counting_iteratorIjlEEPS9_SE_NS0_5tupleIJPjSE_EEENSF_IJSE_SE_EEES9_SG_JZNS1_25segmented_radix_sort_implINS0_14default_configELb0EPKdPdPKlPlN2at6native12_GLOBAL__N_18offset_tEEE10hipError_tPvRmT1_PNSt15iterator_traitsISY_E10value_typeET2_T3_PNSZ_IS14_E10value_typeET4_jRbjT5_S1A_jjP12ihipStream_tbEUljE_EEESV_SW_SX_S14_S18_S1A_T6_T7_T9_mT8_S1C_bDpT10_ENKUlT_T0_E_clISt17integral_constantIbLb0EES1P_EEDaS1K_S1L_EUlS1K_E_NS1_11comp_targetILNS1_3genE10ELNS1_11target_archE1200ELNS1_3gpuE4ELNS1_3repE0EEENS1_30default_config_static_selectorELNS0_4arch9wavefront6targetE0EEEvSY_,comdat
	.globl	_ZN7rocprim17ROCPRIM_400000_NS6detail17trampoline_kernelINS0_13select_configILj256ELj13ELNS0_17block_load_methodE3ELS4_3ELS4_3ELNS0_20block_scan_algorithmE0ELj4294967295EEENS1_25partition_config_selectorILNS1_17partition_subalgoE3EjNS0_10empty_typeEbEEZZNS1_14partition_implILS8_3ELb0ES6_jNS0_17counting_iteratorIjlEEPS9_SE_NS0_5tupleIJPjSE_EEENSF_IJSE_SE_EEES9_SG_JZNS1_25segmented_radix_sort_implINS0_14default_configELb0EPKdPdPKlPlN2at6native12_GLOBAL__N_18offset_tEEE10hipError_tPvRmT1_PNSt15iterator_traitsISY_E10value_typeET2_T3_PNSZ_IS14_E10value_typeET4_jRbjT5_S1A_jjP12ihipStream_tbEUljE_EEESV_SW_SX_S14_S18_S1A_T6_T7_T9_mT8_S1C_bDpT10_ENKUlT_T0_E_clISt17integral_constantIbLb0EES1P_EEDaS1K_S1L_EUlS1K_E_NS1_11comp_targetILNS1_3genE10ELNS1_11target_archE1200ELNS1_3gpuE4ELNS1_3repE0EEENS1_30default_config_static_selectorELNS0_4arch9wavefront6targetE0EEEvSY_ ; -- Begin function _ZN7rocprim17ROCPRIM_400000_NS6detail17trampoline_kernelINS0_13select_configILj256ELj13ELNS0_17block_load_methodE3ELS4_3ELS4_3ELNS0_20block_scan_algorithmE0ELj4294967295EEENS1_25partition_config_selectorILNS1_17partition_subalgoE3EjNS0_10empty_typeEbEEZZNS1_14partition_implILS8_3ELb0ES6_jNS0_17counting_iteratorIjlEEPS9_SE_NS0_5tupleIJPjSE_EEENSF_IJSE_SE_EEES9_SG_JZNS1_25segmented_radix_sort_implINS0_14default_configELb0EPKdPdPKlPlN2at6native12_GLOBAL__N_18offset_tEEE10hipError_tPvRmT1_PNSt15iterator_traitsISY_E10value_typeET2_T3_PNSZ_IS14_E10value_typeET4_jRbjT5_S1A_jjP12ihipStream_tbEUljE_EEESV_SW_SX_S14_S18_S1A_T6_T7_T9_mT8_S1C_bDpT10_ENKUlT_T0_E_clISt17integral_constantIbLb0EES1P_EEDaS1K_S1L_EUlS1K_E_NS1_11comp_targetILNS1_3genE10ELNS1_11target_archE1200ELNS1_3gpuE4ELNS1_3repE0EEENS1_30default_config_static_selectorELNS0_4arch9wavefront6targetE0EEEvSY_
	.p2align	8
	.type	_ZN7rocprim17ROCPRIM_400000_NS6detail17trampoline_kernelINS0_13select_configILj256ELj13ELNS0_17block_load_methodE3ELS4_3ELS4_3ELNS0_20block_scan_algorithmE0ELj4294967295EEENS1_25partition_config_selectorILNS1_17partition_subalgoE3EjNS0_10empty_typeEbEEZZNS1_14partition_implILS8_3ELb0ES6_jNS0_17counting_iteratorIjlEEPS9_SE_NS0_5tupleIJPjSE_EEENSF_IJSE_SE_EEES9_SG_JZNS1_25segmented_radix_sort_implINS0_14default_configELb0EPKdPdPKlPlN2at6native12_GLOBAL__N_18offset_tEEE10hipError_tPvRmT1_PNSt15iterator_traitsISY_E10value_typeET2_T3_PNSZ_IS14_E10value_typeET4_jRbjT5_S1A_jjP12ihipStream_tbEUljE_EEESV_SW_SX_S14_S18_S1A_T6_T7_T9_mT8_S1C_bDpT10_ENKUlT_T0_E_clISt17integral_constantIbLb0EES1P_EEDaS1K_S1L_EUlS1K_E_NS1_11comp_targetILNS1_3genE10ELNS1_11target_archE1200ELNS1_3gpuE4ELNS1_3repE0EEENS1_30default_config_static_selectorELNS0_4arch9wavefront6targetE0EEEvSY_,@function
_ZN7rocprim17ROCPRIM_400000_NS6detail17trampoline_kernelINS0_13select_configILj256ELj13ELNS0_17block_load_methodE3ELS4_3ELS4_3ELNS0_20block_scan_algorithmE0ELj4294967295EEENS1_25partition_config_selectorILNS1_17partition_subalgoE3EjNS0_10empty_typeEbEEZZNS1_14partition_implILS8_3ELb0ES6_jNS0_17counting_iteratorIjlEEPS9_SE_NS0_5tupleIJPjSE_EEENSF_IJSE_SE_EEES9_SG_JZNS1_25segmented_radix_sort_implINS0_14default_configELb0EPKdPdPKlPlN2at6native12_GLOBAL__N_18offset_tEEE10hipError_tPvRmT1_PNSt15iterator_traitsISY_E10value_typeET2_T3_PNSZ_IS14_E10value_typeET4_jRbjT5_S1A_jjP12ihipStream_tbEUljE_EEESV_SW_SX_S14_S18_S1A_T6_T7_T9_mT8_S1C_bDpT10_ENKUlT_T0_E_clISt17integral_constantIbLb0EES1P_EEDaS1K_S1L_EUlS1K_E_NS1_11comp_targetILNS1_3genE10ELNS1_11target_archE1200ELNS1_3gpuE4ELNS1_3repE0EEENS1_30default_config_static_selectorELNS0_4arch9wavefront6targetE0EEEvSY_: ; @_ZN7rocprim17ROCPRIM_400000_NS6detail17trampoline_kernelINS0_13select_configILj256ELj13ELNS0_17block_load_methodE3ELS4_3ELS4_3ELNS0_20block_scan_algorithmE0ELj4294967295EEENS1_25partition_config_selectorILNS1_17partition_subalgoE3EjNS0_10empty_typeEbEEZZNS1_14partition_implILS8_3ELb0ES6_jNS0_17counting_iteratorIjlEEPS9_SE_NS0_5tupleIJPjSE_EEENSF_IJSE_SE_EEES9_SG_JZNS1_25segmented_radix_sort_implINS0_14default_configELb0EPKdPdPKlPlN2at6native12_GLOBAL__N_18offset_tEEE10hipError_tPvRmT1_PNSt15iterator_traitsISY_E10value_typeET2_T3_PNSZ_IS14_E10value_typeET4_jRbjT5_S1A_jjP12ihipStream_tbEUljE_EEESV_SW_SX_S14_S18_S1A_T6_T7_T9_mT8_S1C_bDpT10_ENKUlT_T0_E_clISt17integral_constantIbLb0EES1P_EEDaS1K_S1L_EUlS1K_E_NS1_11comp_targetILNS1_3genE10ELNS1_11target_archE1200ELNS1_3gpuE4ELNS1_3repE0EEENS1_30default_config_static_selectorELNS0_4arch9wavefront6targetE0EEEvSY_
; %bb.0:
	.section	.rodata,"a",@progbits
	.p2align	6, 0x0
	.amdhsa_kernel _ZN7rocprim17ROCPRIM_400000_NS6detail17trampoline_kernelINS0_13select_configILj256ELj13ELNS0_17block_load_methodE3ELS4_3ELS4_3ELNS0_20block_scan_algorithmE0ELj4294967295EEENS1_25partition_config_selectorILNS1_17partition_subalgoE3EjNS0_10empty_typeEbEEZZNS1_14partition_implILS8_3ELb0ES6_jNS0_17counting_iteratorIjlEEPS9_SE_NS0_5tupleIJPjSE_EEENSF_IJSE_SE_EEES9_SG_JZNS1_25segmented_radix_sort_implINS0_14default_configELb0EPKdPdPKlPlN2at6native12_GLOBAL__N_18offset_tEEE10hipError_tPvRmT1_PNSt15iterator_traitsISY_E10value_typeET2_T3_PNSZ_IS14_E10value_typeET4_jRbjT5_S1A_jjP12ihipStream_tbEUljE_EEESV_SW_SX_S14_S18_S1A_T6_T7_T9_mT8_S1C_bDpT10_ENKUlT_T0_E_clISt17integral_constantIbLb0EES1P_EEDaS1K_S1L_EUlS1K_E_NS1_11comp_targetILNS1_3genE10ELNS1_11target_archE1200ELNS1_3gpuE4ELNS1_3repE0EEENS1_30default_config_static_selectorELNS0_4arch9wavefront6targetE0EEEvSY_
		.amdhsa_group_segment_fixed_size 0
		.amdhsa_private_segment_fixed_size 0
		.amdhsa_kernarg_size 144
		.amdhsa_user_sgpr_count 2
		.amdhsa_user_sgpr_dispatch_ptr 0
		.amdhsa_user_sgpr_queue_ptr 0
		.amdhsa_user_sgpr_kernarg_segment_ptr 1
		.amdhsa_user_sgpr_dispatch_id 0
		.amdhsa_user_sgpr_kernarg_preload_length 0
		.amdhsa_user_sgpr_kernarg_preload_offset 0
		.amdhsa_user_sgpr_private_segment_size 0
		.amdhsa_wavefront_size32 1
		.amdhsa_uses_dynamic_stack 0
		.amdhsa_enable_private_segment 0
		.amdhsa_system_sgpr_workgroup_id_x 1
		.amdhsa_system_sgpr_workgroup_id_y 0
		.amdhsa_system_sgpr_workgroup_id_z 0
		.amdhsa_system_sgpr_workgroup_info 0
		.amdhsa_system_vgpr_workitem_id 0
		.amdhsa_next_free_vgpr 1
		.amdhsa_next_free_sgpr 1
		.amdhsa_named_barrier_count 0
		.amdhsa_reserve_vcc 0
		.amdhsa_float_round_mode_32 0
		.amdhsa_float_round_mode_16_64 0
		.amdhsa_float_denorm_mode_32 3
		.amdhsa_float_denorm_mode_16_64 3
		.amdhsa_fp16_overflow 0
		.amdhsa_memory_ordered 1
		.amdhsa_forward_progress 1
		.amdhsa_inst_pref_size 0
		.amdhsa_round_robin_scheduling 0
		.amdhsa_exception_fp_ieee_invalid_op 0
		.amdhsa_exception_fp_denorm_src 0
		.amdhsa_exception_fp_ieee_div_zero 0
		.amdhsa_exception_fp_ieee_overflow 0
		.amdhsa_exception_fp_ieee_underflow 0
		.amdhsa_exception_fp_ieee_inexact 0
		.amdhsa_exception_int_div_zero 0
	.end_amdhsa_kernel
	.section	.text._ZN7rocprim17ROCPRIM_400000_NS6detail17trampoline_kernelINS0_13select_configILj256ELj13ELNS0_17block_load_methodE3ELS4_3ELS4_3ELNS0_20block_scan_algorithmE0ELj4294967295EEENS1_25partition_config_selectorILNS1_17partition_subalgoE3EjNS0_10empty_typeEbEEZZNS1_14partition_implILS8_3ELb0ES6_jNS0_17counting_iteratorIjlEEPS9_SE_NS0_5tupleIJPjSE_EEENSF_IJSE_SE_EEES9_SG_JZNS1_25segmented_radix_sort_implINS0_14default_configELb0EPKdPdPKlPlN2at6native12_GLOBAL__N_18offset_tEEE10hipError_tPvRmT1_PNSt15iterator_traitsISY_E10value_typeET2_T3_PNSZ_IS14_E10value_typeET4_jRbjT5_S1A_jjP12ihipStream_tbEUljE_EEESV_SW_SX_S14_S18_S1A_T6_T7_T9_mT8_S1C_bDpT10_ENKUlT_T0_E_clISt17integral_constantIbLb0EES1P_EEDaS1K_S1L_EUlS1K_E_NS1_11comp_targetILNS1_3genE10ELNS1_11target_archE1200ELNS1_3gpuE4ELNS1_3repE0EEENS1_30default_config_static_selectorELNS0_4arch9wavefront6targetE0EEEvSY_,"axG",@progbits,_ZN7rocprim17ROCPRIM_400000_NS6detail17trampoline_kernelINS0_13select_configILj256ELj13ELNS0_17block_load_methodE3ELS4_3ELS4_3ELNS0_20block_scan_algorithmE0ELj4294967295EEENS1_25partition_config_selectorILNS1_17partition_subalgoE3EjNS0_10empty_typeEbEEZZNS1_14partition_implILS8_3ELb0ES6_jNS0_17counting_iteratorIjlEEPS9_SE_NS0_5tupleIJPjSE_EEENSF_IJSE_SE_EEES9_SG_JZNS1_25segmented_radix_sort_implINS0_14default_configELb0EPKdPdPKlPlN2at6native12_GLOBAL__N_18offset_tEEE10hipError_tPvRmT1_PNSt15iterator_traitsISY_E10value_typeET2_T3_PNSZ_IS14_E10value_typeET4_jRbjT5_S1A_jjP12ihipStream_tbEUljE_EEESV_SW_SX_S14_S18_S1A_T6_T7_T9_mT8_S1C_bDpT10_ENKUlT_T0_E_clISt17integral_constantIbLb0EES1P_EEDaS1K_S1L_EUlS1K_E_NS1_11comp_targetILNS1_3genE10ELNS1_11target_archE1200ELNS1_3gpuE4ELNS1_3repE0EEENS1_30default_config_static_selectorELNS0_4arch9wavefront6targetE0EEEvSY_,comdat
.Lfunc_end1188:
	.size	_ZN7rocprim17ROCPRIM_400000_NS6detail17trampoline_kernelINS0_13select_configILj256ELj13ELNS0_17block_load_methodE3ELS4_3ELS4_3ELNS0_20block_scan_algorithmE0ELj4294967295EEENS1_25partition_config_selectorILNS1_17partition_subalgoE3EjNS0_10empty_typeEbEEZZNS1_14partition_implILS8_3ELb0ES6_jNS0_17counting_iteratorIjlEEPS9_SE_NS0_5tupleIJPjSE_EEENSF_IJSE_SE_EEES9_SG_JZNS1_25segmented_radix_sort_implINS0_14default_configELb0EPKdPdPKlPlN2at6native12_GLOBAL__N_18offset_tEEE10hipError_tPvRmT1_PNSt15iterator_traitsISY_E10value_typeET2_T3_PNSZ_IS14_E10value_typeET4_jRbjT5_S1A_jjP12ihipStream_tbEUljE_EEESV_SW_SX_S14_S18_S1A_T6_T7_T9_mT8_S1C_bDpT10_ENKUlT_T0_E_clISt17integral_constantIbLb0EES1P_EEDaS1K_S1L_EUlS1K_E_NS1_11comp_targetILNS1_3genE10ELNS1_11target_archE1200ELNS1_3gpuE4ELNS1_3repE0EEENS1_30default_config_static_selectorELNS0_4arch9wavefront6targetE0EEEvSY_, .Lfunc_end1188-_ZN7rocprim17ROCPRIM_400000_NS6detail17trampoline_kernelINS0_13select_configILj256ELj13ELNS0_17block_load_methodE3ELS4_3ELS4_3ELNS0_20block_scan_algorithmE0ELj4294967295EEENS1_25partition_config_selectorILNS1_17partition_subalgoE3EjNS0_10empty_typeEbEEZZNS1_14partition_implILS8_3ELb0ES6_jNS0_17counting_iteratorIjlEEPS9_SE_NS0_5tupleIJPjSE_EEENSF_IJSE_SE_EEES9_SG_JZNS1_25segmented_radix_sort_implINS0_14default_configELb0EPKdPdPKlPlN2at6native12_GLOBAL__N_18offset_tEEE10hipError_tPvRmT1_PNSt15iterator_traitsISY_E10value_typeET2_T3_PNSZ_IS14_E10value_typeET4_jRbjT5_S1A_jjP12ihipStream_tbEUljE_EEESV_SW_SX_S14_S18_S1A_T6_T7_T9_mT8_S1C_bDpT10_ENKUlT_T0_E_clISt17integral_constantIbLb0EES1P_EEDaS1K_S1L_EUlS1K_E_NS1_11comp_targetILNS1_3genE10ELNS1_11target_archE1200ELNS1_3gpuE4ELNS1_3repE0EEENS1_30default_config_static_selectorELNS0_4arch9wavefront6targetE0EEEvSY_
                                        ; -- End function
	.set _ZN7rocprim17ROCPRIM_400000_NS6detail17trampoline_kernelINS0_13select_configILj256ELj13ELNS0_17block_load_methodE3ELS4_3ELS4_3ELNS0_20block_scan_algorithmE0ELj4294967295EEENS1_25partition_config_selectorILNS1_17partition_subalgoE3EjNS0_10empty_typeEbEEZZNS1_14partition_implILS8_3ELb0ES6_jNS0_17counting_iteratorIjlEEPS9_SE_NS0_5tupleIJPjSE_EEENSF_IJSE_SE_EEES9_SG_JZNS1_25segmented_radix_sort_implINS0_14default_configELb0EPKdPdPKlPlN2at6native12_GLOBAL__N_18offset_tEEE10hipError_tPvRmT1_PNSt15iterator_traitsISY_E10value_typeET2_T3_PNSZ_IS14_E10value_typeET4_jRbjT5_S1A_jjP12ihipStream_tbEUljE_EEESV_SW_SX_S14_S18_S1A_T6_T7_T9_mT8_S1C_bDpT10_ENKUlT_T0_E_clISt17integral_constantIbLb0EES1P_EEDaS1K_S1L_EUlS1K_E_NS1_11comp_targetILNS1_3genE10ELNS1_11target_archE1200ELNS1_3gpuE4ELNS1_3repE0EEENS1_30default_config_static_selectorELNS0_4arch9wavefront6targetE0EEEvSY_.num_vgpr, 0
	.set _ZN7rocprim17ROCPRIM_400000_NS6detail17trampoline_kernelINS0_13select_configILj256ELj13ELNS0_17block_load_methodE3ELS4_3ELS4_3ELNS0_20block_scan_algorithmE0ELj4294967295EEENS1_25partition_config_selectorILNS1_17partition_subalgoE3EjNS0_10empty_typeEbEEZZNS1_14partition_implILS8_3ELb0ES6_jNS0_17counting_iteratorIjlEEPS9_SE_NS0_5tupleIJPjSE_EEENSF_IJSE_SE_EEES9_SG_JZNS1_25segmented_radix_sort_implINS0_14default_configELb0EPKdPdPKlPlN2at6native12_GLOBAL__N_18offset_tEEE10hipError_tPvRmT1_PNSt15iterator_traitsISY_E10value_typeET2_T3_PNSZ_IS14_E10value_typeET4_jRbjT5_S1A_jjP12ihipStream_tbEUljE_EEESV_SW_SX_S14_S18_S1A_T6_T7_T9_mT8_S1C_bDpT10_ENKUlT_T0_E_clISt17integral_constantIbLb0EES1P_EEDaS1K_S1L_EUlS1K_E_NS1_11comp_targetILNS1_3genE10ELNS1_11target_archE1200ELNS1_3gpuE4ELNS1_3repE0EEENS1_30default_config_static_selectorELNS0_4arch9wavefront6targetE0EEEvSY_.num_agpr, 0
	.set _ZN7rocprim17ROCPRIM_400000_NS6detail17trampoline_kernelINS0_13select_configILj256ELj13ELNS0_17block_load_methodE3ELS4_3ELS4_3ELNS0_20block_scan_algorithmE0ELj4294967295EEENS1_25partition_config_selectorILNS1_17partition_subalgoE3EjNS0_10empty_typeEbEEZZNS1_14partition_implILS8_3ELb0ES6_jNS0_17counting_iteratorIjlEEPS9_SE_NS0_5tupleIJPjSE_EEENSF_IJSE_SE_EEES9_SG_JZNS1_25segmented_radix_sort_implINS0_14default_configELb0EPKdPdPKlPlN2at6native12_GLOBAL__N_18offset_tEEE10hipError_tPvRmT1_PNSt15iterator_traitsISY_E10value_typeET2_T3_PNSZ_IS14_E10value_typeET4_jRbjT5_S1A_jjP12ihipStream_tbEUljE_EEESV_SW_SX_S14_S18_S1A_T6_T7_T9_mT8_S1C_bDpT10_ENKUlT_T0_E_clISt17integral_constantIbLb0EES1P_EEDaS1K_S1L_EUlS1K_E_NS1_11comp_targetILNS1_3genE10ELNS1_11target_archE1200ELNS1_3gpuE4ELNS1_3repE0EEENS1_30default_config_static_selectorELNS0_4arch9wavefront6targetE0EEEvSY_.numbered_sgpr, 0
	.set _ZN7rocprim17ROCPRIM_400000_NS6detail17trampoline_kernelINS0_13select_configILj256ELj13ELNS0_17block_load_methodE3ELS4_3ELS4_3ELNS0_20block_scan_algorithmE0ELj4294967295EEENS1_25partition_config_selectorILNS1_17partition_subalgoE3EjNS0_10empty_typeEbEEZZNS1_14partition_implILS8_3ELb0ES6_jNS0_17counting_iteratorIjlEEPS9_SE_NS0_5tupleIJPjSE_EEENSF_IJSE_SE_EEES9_SG_JZNS1_25segmented_radix_sort_implINS0_14default_configELb0EPKdPdPKlPlN2at6native12_GLOBAL__N_18offset_tEEE10hipError_tPvRmT1_PNSt15iterator_traitsISY_E10value_typeET2_T3_PNSZ_IS14_E10value_typeET4_jRbjT5_S1A_jjP12ihipStream_tbEUljE_EEESV_SW_SX_S14_S18_S1A_T6_T7_T9_mT8_S1C_bDpT10_ENKUlT_T0_E_clISt17integral_constantIbLb0EES1P_EEDaS1K_S1L_EUlS1K_E_NS1_11comp_targetILNS1_3genE10ELNS1_11target_archE1200ELNS1_3gpuE4ELNS1_3repE0EEENS1_30default_config_static_selectorELNS0_4arch9wavefront6targetE0EEEvSY_.num_named_barrier, 0
	.set _ZN7rocprim17ROCPRIM_400000_NS6detail17trampoline_kernelINS0_13select_configILj256ELj13ELNS0_17block_load_methodE3ELS4_3ELS4_3ELNS0_20block_scan_algorithmE0ELj4294967295EEENS1_25partition_config_selectorILNS1_17partition_subalgoE3EjNS0_10empty_typeEbEEZZNS1_14partition_implILS8_3ELb0ES6_jNS0_17counting_iteratorIjlEEPS9_SE_NS0_5tupleIJPjSE_EEENSF_IJSE_SE_EEES9_SG_JZNS1_25segmented_radix_sort_implINS0_14default_configELb0EPKdPdPKlPlN2at6native12_GLOBAL__N_18offset_tEEE10hipError_tPvRmT1_PNSt15iterator_traitsISY_E10value_typeET2_T3_PNSZ_IS14_E10value_typeET4_jRbjT5_S1A_jjP12ihipStream_tbEUljE_EEESV_SW_SX_S14_S18_S1A_T6_T7_T9_mT8_S1C_bDpT10_ENKUlT_T0_E_clISt17integral_constantIbLb0EES1P_EEDaS1K_S1L_EUlS1K_E_NS1_11comp_targetILNS1_3genE10ELNS1_11target_archE1200ELNS1_3gpuE4ELNS1_3repE0EEENS1_30default_config_static_selectorELNS0_4arch9wavefront6targetE0EEEvSY_.private_seg_size, 0
	.set _ZN7rocprim17ROCPRIM_400000_NS6detail17trampoline_kernelINS0_13select_configILj256ELj13ELNS0_17block_load_methodE3ELS4_3ELS4_3ELNS0_20block_scan_algorithmE0ELj4294967295EEENS1_25partition_config_selectorILNS1_17partition_subalgoE3EjNS0_10empty_typeEbEEZZNS1_14partition_implILS8_3ELb0ES6_jNS0_17counting_iteratorIjlEEPS9_SE_NS0_5tupleIJPjSE_EEENSF_IJSE_SE_EEES9_SG_JZNS1_25segmented_radix_sort_implINS0_14default_configELb0EPKdPdPKlPlN2at6native12_GLOBAL__N_18offset_tEEE10hipError_tPvRmT1_PNSt15iterator_traitsISY_E10value_typeET2_T3_PNSZ_IS14_E10value_typeET4_jRbjT5_S1A_jjP12ihipStream_tbEUljE_EEESV_SW_SX_S14_S18_S1A_T6_T7_T9_mT8_S1C_bDpT10_ENKUlT_T0_E_clISt17integral_constantIbLb0EES1P_EEDaS1K_S1L_EUlS1K_E_NS1_11comp_targetILNS1_3genE10ELNS1_11target_archE1200ELNS1_3gpuE4ELNS1_3repE0EEENS1_30default_config_static_selectorELNS0_4arch9wavefront6targetE0EEEvSY_.uses_vcc, 0
	.set _ZN7rocprim17ROCPRIM_400000_NS6detail17trampoline_kernelINS0_13select_configILj256ELj13ELNS0_17block_load_methodE3ELS4_3ELS4_3ELNS0_20block_scan_algorithmE0ELj4294967295EEENS1_25partition_config_selectorILNS1_17partition_subalgoE3EjNS0_10empty_typeEbEEZZNS1_14partition_implILS8_3ELb0ES6_jNS0_17counting_iteratorIjlEEPS9_SE_NS0_5tupleIJPjSE_EEENSF_IJSE_SE_EEES9_SG_JZNS1_25segmented_radix_sort_implINS0_14default_configELb0EPKdPdPKlPlN2at6native12_GLOBAL__N_18offset_tEEE10hipError_tPvRmT1_PNSt15iterator_traitsISY_E10value_typeET2_T3_PNSZ_IS14_E10value_typeET4_jRbjT5_S1A_jjP12ihipStream_tbEUljE_EEESV_SW_SX_S14_S18_S1A_T6_T7_T9_mT8_S1C_bDpT10_ENKUlT_T0_E_clISt17integral_constantIbLb0EES1P_EEDaS1K_S1L_EUlS1K_E_NS1_11comp_targetILNS1_3genE10ELNS1_11target_archE1200ELNS1_3gpuE4ELNS1_3repE0EEENS1_30default_config_static_selectorELNS0_4arch9wavefront6targetE0EEEvSY_.uses_flat_scratch, 0
	.set _ZN7rocprim17ROCPRIM_400000_NS6detail17trampoline_kernelINS0_13select_configILj256ELj13ELNS0_17block_load_methodE3ELS4_3ELS4_3ELNS0_20block_scan_algorithmE0ELj4294967295EEENS1_25partition_config_selectorILNS1_17partition_subalgoE3EjNS0_10empty_typeEbEEZZNS1_14partition_implILS8_3ELb0ES6_jNS0_17counting_iteratorIjlEEPS9_SE_NS0_5tupleIJPjSE_EEENSF_IJSE_SE_EEES9_SG_JZNS1_25segmented_radix_sort_implINS0_14default_configELb0EPKdPdPKlPlN2at6native12_GLOBAL__N_18offset_tEEE10hipError_tPvRmT1_PNSt15iterator_traitsISY_E10value_typeET2_T3_PNSZ_IS14_E10value_typeET4_jRbjT5_S1A_jjP12ihipStream_tbEUljE_EEESV_SW_SX_S14_S18_S1A_T6_T7_T9_mT8_S1C_bDpT10_ENKUlT_T0_E_clISt17integral_constantIbLb0EES1P_EEDaS1K_S1L_EUlS1K_E_NS1_11comp_targetILNS1_3genE10ELNS1_11target_archE1200ELNS1_3gpuE4ELNS1_3repE0EEENS1_30default_config_static_selectorELNS0_4arch9wavefront6targetE0EEEvSY_.has_dyn_sized_stack, 0
	.set _ZN7rocprim17ROCPRIM_400000_NS6detail17trampoline_kernelINS0_13select_configILj256ELj13ELNS0_17block_load_methodE3ELS4_3ELS4_3ELNS0_20block_scan_algorithmE0ELj4294967295EEENS1_25partition_config_selectorILNS1_17partition_subalgoE3EjNS0_10empty_typeEbEEZZNS1_14partition_implILS8_3ELb0ES6_jNS0_17counting_iteratorIjlEEPS9_SE_NS0_5tupleIJPjSE_EEENSF_IJSE_SE_EEES9_SG_JZNS1_25segmented_radix_sort_implINS0_14default_configELb0EPKdPdPKlPlN2at6native12_GLOBAL__N_18offset_tEEE10hipError_tPvRmT1_PNSt15iterator_traitsISY_E10value_typeET2_T3_PNSZ_IS14_E10value_typeET4_jRbjT5_S1A_jjP12ihipStream_tbEUljE_EEESV_SW_SX_S14_S18_S1A_T6_T7_T9_mT8_S1C_bDpT10_ENKUlT_T0_E_clISt17integral_constantIbLb0EES1P_EEDaS1K_S1L_EUlS1K_E_NS1_11comp_targetILNS1_3genE10ELNS1_11target_archE1200ELNS1_3gpuE4ELNS1_3repE0EEENS1_30default_config_static_selectorELNS0_4arch9wavefront6targetE0EEEvSY_.has_recursion, 0
	.set _ZN7rocprim17ROCPRIM_400000_NS6detail17trampoline_kernelINS0_13select_configILj256ELj13ELNS0_17block_load_methodE3ELS4_3ELS4_3ELNS0_20block_scan_algorithmE0ELj4294967295EEENS1_25partition_config_selectorILNS1_17partition_subalgoE3EjNS0_10empty_typeEbEEZZNS1_14partition_implILS8_3ELb0ES6_jNS0_17counting_iteratorIjlEEPS9_SE_NS0_5tupleIJPjSE_EEENSF_IJSE_SE_EEES9_SG_JZNS1_25segmented_radix_sort_implINS0_14default_configELb0EPKdPdPKlPlN2at6native12_GLOBAL__N_18offset_tEEE10hipError_tPvRmT1_PNSt15iterator_traitsISY_E10value_typeET2_T3_PNSZ_IS14_E10value_typeET4_jRbjT5_S1A_jjP12ihipStream_tbEUljE_EEESV_SW_SX_S14_S18_S1A_T6_T7_T9_mT8_S1C_bDpT10_ENKUlT_T0_E_clISt17integral_constantIbLb0EES1P_EEDaS1K_S1L_EUlS1K_E_NS1_11comp_targetILNS1_3genE10ELNS1_11target_archE1200ELNS1_3gpuE4ELNS1_3repE0EEENS1_30default_config_static_selectorELNS0_4arch9wavefront6targetE0EEEvSY_.has_indirect_call, 0
	.section	.AMDGPU.csdata,"",@progbits
; Kernel info:
; codeLenInByte = 0
; TotalNumSgprs: 0
; NumVgprs: 0
; ScratchSize: 0
; MemoryBound: 0
; FloatMode: 240
; IeeeMode: 1
; LDSByteSize: 0 bytes/workgroup (compile time only)
; SGPRBlocks: 0
; VGPRBlocks: 0
; NumSGPRsForWavesPerEU: 1
; NumVGPRsForWavesPerEU: 1
; NamedBarCnt: 0
; Occupancy: 16
; WaveLimiterHint : 0
; COMPUTE_PGM_RSRC2:SCRATCH_EN: 0
; COMPUTE_PGM_RSRC2:USER_SGPR: 2
; COMPUTE_PGM_RSRC2:TRAP_HANDLER: 0
; COMPUTE_PGM_RSRC2:TGID_X_EN: 1
; COMPUTE_PGM_RSRC2:TGID_Y_EN: 0
; COMPUTE_PGM_RSRC2:TGID_Z_EN: 0
; COMPUTE_PGM_RSRC2:TIDIG_COMP_CNT: 0
	.section	.text._ZN7rocprim17ROCPRIM_400000_NS6detail17trampoline_kernelINS0_13select_configILj256ELj13ELNS0_17block_load_methodE3ELS4_3ELS4_3ELNS0_20block_scan_algorithmE0ELj4294967295EEENS1_25partition_config_selectorILNS1_17partition_subalgoE3EjNS0_10empty_typeEbEEZZNS1_14partition_implILS8_3ELb0ES6_jNS0_17counting_iteratorIjlEEPS9_SE_NS0_5tupleIJPjSE_EEENSF_IJSE_SE_EEES9_SG_JZNS1_25segmented_radix_sort_implINS0_14default_configELb0EPKdPdPKlPlN2at6native12_GLOBAL__N_18offset_tEEE10hipError_tPvRmT1_PNSt15iterator_traitsISY_E10value_typeET2_T3_PNSZ_IS14_E10value_typeET4_jRbjT5_S1A_jjP12ihipStream_tbEUljE_EEESV_SW_SX_S14_S18_S1A_T6_T7_T9_mT8_S1C_bDpT10_ENKUlT_T0_E_clISt17integral_constantIbLb0EES1P_EEDaS1K_S1L_EUlS1K_E_NS1_11comp_targetILNS1_3genE9ELNS1_11target_archE1100ELNS1_3gpuE3ELNS1_3repE0EEENS1_30default_config_static_selectorELNS0_4arch9wavefront6targetE0EEEvSY_,"axG",@progbits,_ZN7rocprim17ROCPRIM_400000_NS6detail17trampoline_kernelINS0_13select_configILj256ELj13ELNS0_17block_load_methodE3ELS4_3ELS4_3ELNS0_20block_scan_algorithmE0ELj4294967295EEENS1_25partition_config_selectorILNS1_17partition_subalgoE3EjNS0_10empty_typeEbEEZZNS1_14partition_implILS8_3ELb0ES6_jNS0_17counting_iteratorIjlEEPS9_SE_NS0_5tupleIJPjSE_EEENSF_IJSE_SE_EEES9_SG_JZNS1_25segmented_radix_sort_implINS0_14default_configELb0EPKdPdPKlPlN2at6native12_GLOBAL__N_18offset_tEEE10hipError_tPvRmT1_PNSt15iterator_traitsISY_E10value_typeET2_T3_PNSZ_IS14_E10value_typeET4_jRbjT5_S1A_jjP12ihipStream_tbEUljE_EEESV_SW_SX_S14_S18_S1A_T6_T7_T9_mT8_S1C_bDpT10_ENKUlT_T0_E_clISt17integral_constantIbLb0EES1P_EEDaS1K_S1L_EUlS1K_E_NS1_11comp_targetILNS1_3genE9ELNS1_11target_archE1100ELNS1_3gpuE3ELNS1_3repE0EEENS1_30default_config_static_selectorELNS0_4arch9wavefront6targetE0EEEvSY_,comdat
	.globl	_ZN7rocprim17ROCPRIM_400000_NS6detail17trampoline_kernelINS0_13select_configILj256ELj13ELNS0_17block_load_methodE3ELS4_3ELS4_3ELNS0_20block_scan_algorithmE0ELj4294967295EEENS1_25partition_config_selectorILNS1_17partition_subalgoE3EjNS0_10empty_typeEbEEZZNS1_14partition_implILS8_3ELb0ES6_jNS0_17counting_iteratorIjlEEPS9_SE_NS0_5tupleIJPjSE_EEENSF_IJSE_SE_EEES9_SG_JZNS1_25segmented_radix_sort_implINS0_14default_configELb0EPKdPdPKlPlN2at6native12_GLOBAL__N_18offset_tEEE10hipError_tPvRmT1_PNSt15iterator_traitsISY_E10value_typeET2_T3_PNSZ_IS14_E10value_typeET4_jRbjT5_S1A_jjP12ihipStream_tbEUljE_EEESV_SW_SX_S14_S18_S1A_T6_T7_T9_mT8_S1C_bDpT10_ENKUlT_T0_E_clISt17integral_constantIbLb0EES1P_EEDaS1K_S1L_EUlS1K_E_NS1_11comp_targetILNS1_3genE9ELNS1_11target_archE1100ELNS1_3gpuE3ELNS1_3repE0EEENS1_30default_config_static_selectorELNS0_4arch9wavefront6targetE0EEEvSY_ ; -- Begin function _ZN7rocprim17ROCPRIM_400000_NS6detail17trampoline_kernelINS0_13select_configILj256ELj13ELNS0_17block_load_methodE3ELS4_3ELS4_3ELNS0_20block_scan_algorithmE0ELj4294967295EEENS1_25partition_config_selectorILNS1_17partition_subalgoE3EjNS0_10empty_typeEbEEZZNS1_14partition_implILS8_3ELb0ES6_jNS0_17counting_iteratorIjlEEPS9_SE_NS0_5tupleIJPjSE_EEENSF_IJSE_SE_EEES9_SG_JZNS1_25segmented_radix_sort_implINS0_14default_configELb0EPKdPdPKlPlN2at6native12_GLOBAL__N_18offset_tEEE10hipError_tPvRmT1_PNSt15iterator_traitsISY_E10value_typeET2_T3_PNSZ_IS14_E10value_typeET4_jRbjT5_S1A_jjP12ihipStream_tbEUljE_EEESV_SW_SX_S14_S18_S1A_T6_T7_T9_mT8_S1C_bDpT10_ENKUlT_T0_E_clISt17integral_constantIbLb0EES1P_EEDaS1K_S1L_EUlS1K_E_NS1_11comp_targetILNS1_3genE9ELNS1_11target_archE1100ELNS1_3gpuE3ELNS1_3repE0EEENS1_30default_config_static_selectorELNS0_4arch9wavefront6targetE0EEEvSY_
	.p2align	8
	.type	_ZN7rocprim17ROCPRIM_400000_NS6detail17trampoline_kernelINS0_13select_configILj256ELj13ELNS0_17block_load_methodE3ELS4_3ELS4_3ELNS0_20block_scan_algorithmE0ELj4294967295EEENS1_25partition_config_selectorILNS1_17partition_subalgoE3EjNS0_10empty_typeEbEEZZNS1_14partition_implILS8_3ELb0ES6_jNS0_17counting_iteratorIjlEEPS9_SE_NS0_5tupleIJPjSE_EEENSF_IJSE_SE_EEES9_SG_JZNS1_25segmented_radix_sort_implINS0_14default_configELb0EPKdPdPKlPlN2at6native12_GLOBAL__N_18offset_tEEE10hipError_tPvRmT1_PNSt15iterator_traitsISY_E10value_typeET2_T3_PNSZ_IS14_E10value_typeET4_jRbjT5_S1A_jjP12ihipStream_tbEUljE_EEESV_SW_SX_S14_S18_S1A_T6_T7_T9_mT8_S1C_bDpT10_ENKUlT_T0_E_clISt17integral_constantIbLb0EES1P_EEDaS1K_S1L_EUlS1K_E_NS1_11comp_targetILNS1_3genE9ELNS1_11target_archE1100ELNS1_3gpuE3ELNS1_3repE0EEENS1_30default_config_static_selectorELNS0_4arch9wavefront6targetE0EEEvSY_,@function
_ZN7rocprim17ROCPRIM_400000_NS6detail17trampoline_kernelINS0_13select_configILj256ELj13ELNS0_17block_load_methodE3ELS4_3ELS4_3ELNS0_20block_scan_algorithmE0ELj4294967295EEENS1_25partition_config_selectorILNS1_17partition_subalgoE3EjNS0_10empty_typeEbEEZZNS1_14partition_implILS8_3ELb0ES6_jNS0_17counting_iteratorIjlEEPS9_SE_NS0_5tupleIJPjSE_EEENSF_IJSE_SE_EEES9_SG_JZNS1_25segmented_radix_sort_implINS0_14default_configELb0EPKdPdPKlPlN2at6native12_GLOBAL__N_18offset_tEEE10hipError_tPvRmT1_PNSt15iterator_traitsISY_E10value_typeET2_T3_PNSZ_IS14_E10value_typeET4_jRbjT5_S1A_jjP12ihipStream_tbEUljE_EEESV_SW_SX_S14_S18_S1A_T6_T7_T9_mT8_S1C_bDpT10_ENKUlT_T0_E_clISt17integral_constantIbLb0EES1P_EEDaS1K_S1L_EUlS1K_E_NS1_11comp_targetILNS1_3genE9ELNS1_11target_archE1100ELNS1_3gpuE3ELNS1_3repE0EEENS1_30default_config_static_selectorELNS0_4arch9wavefront6targetE0EEEvSY_: ; @_ZN7rocprim17ROCPRIM_400000_NS6detail17trampoline_kernelINS0_13select_configILj256ELj13ELNS0_17block_load_methodE3ELS4_3ELS4_3ELNS0_20block_scan_algorithmE0ELj4294967295EEENS1_25partition_config_selectorILNS1_17partition_subalgoE3EjNS0_10empty_typeEbEEZZNS1_14partition_implILS8_3ELb0ES6_jNS0_17counting_iteratorIjlEEPS9_SE_NS0_5tupleIJPjSE_EEENSF_IJSE_SE_EEES9_SG_JZNS1_25segmented_radix_sort_implINS0_14default_configELb0EPKdPdPKlPlN2at6native12_GLOBAL__N_18offset_tEEE10hipError_tPvRmT1_PNSt15iterator_traitsISY_E10value_typeET2_T3_PNSZ_IS14_E10value_typeET4_jRbjT5_S1A_jjP12ihipStream_tbEUljE_EEESV_SW_SX_S14_S18_S1A_T6_T7_T9_mT8_S1C_bDpT10_ENKUlT_T0_E_clISt17integral_constantIbLb0EES1P_EEDaS1K_S1L_EUlS1K_E_NS1_11comp_targetILNS1_3genE9ELNS1_11target_archE1100ELNS1_3gpuE3ELNS1_3repE0EEENS1_30default_config_static_selectorELNS0_4arch9wavefront6targetE0EEEvSY_
; %bb.0:
	.section	.rodata,"a",@progbits
	.p2align	6, 0x0
	.amdhsa_kernel _ZN7rocprim17ROCPRIM_400000_NS6detail17trampoline_kernelINS0_13select_configILj256ELj13ELNS0_17block_load_methodE3ELS4_3ELS4_3ELNS0_20block_scan_algorithmE0ELj4294967295EEENS1_25partition_config_selectorILNS1_17partition_subalgoE3EjNS0_10empty_typeEbEEZZNS1_14partition_implILS8_3ELb0ES6_jNS0_17counting_iteratorIjlEEPS9_SE_NS0_5tupleIJPjSE_EEENSF_IJSE_SE_EEES9_SG_JZNS1_25segmented_radix_sort_implINS0_14default_configELb0EPKdPdPKlPlN2at6native12_GLOBAL__N_18offset_tEEE10hipError_tPvRmT1_PNSt15iterator_traitsISY_E10value_typeET2_T3_PNSZ_IS14_E10value_typeET4_jRbjT5_S1A_jjP12ihipStream_tbEUljE_EEESV_SW_SX_S14_S18_S1A_T6_T7_T9_mT8_S1C_bDpT10_ENKUlT_T0_E_clISt17integral_constantIbLb0EES1P_EEDaS1K_S1L_EUlS1K_E_NS1_11comp_targetILNS1_3genE9ELNS1_11target_archE1100ELNS1_3gpuE3ELNS1_3repE0EEENS1_30default_config_static_selectorELNS0_4arch9wavefront6targetE0EEEvSY_
		.amdhsa_group_segment_fixed_size 0
		.amdhsa_private_segment_fixed_size 0
		.amdhsa_kernarg_size 144
		.amdhsa_user_sgpr_count 2
		.amdhsa_user_sgpr_dispatch_ptr 0
		.amdhsa_user_sgpr_queue_ptr 0
		.amdhsa_user_sgpr_kernarg_segment_ptr 1
		.amdhsa_user_sgpr_dispatch_id 0
		.amdhsa_user_sgpr_kernarg_preload_length 0
		.amdhsa_user_sgpr_kernarg_preload_offset 0
		.amdhsa_user_sgpr_private_segment_size 0
		.amdhsa_wavefront_size32 1
		.amdhsa_uses_dynamic_stack 0
		.amdhsa_enable_private_segment 0
		.amdhsa_system_sgpr_workgroup_id_x 1
		.amdhsa_system_sgpr_workgroup_id_y 0
		.amdhsa_system_sgpr_workgroup_id_z 0
		.amdhsa_system_sgpr_workgroup_info 0
		.amdhsa_system_vgpr_workitem_id 0
		.amdhsa_next_free_vgpr 1
		.amdhsa_next_free_sgpr 1
		.amdhsa_named_barrier_count 0
		.amdhsa_reserve_vcc 0
		.amdhsa_float_round_mode_32 0
		.amdhsa_float_round_mode_16_64 0
		.amdhsa_float_denorm_mode_32 3
		.amdhsa_float_denorm_mode_16_64 3
		.amdhsa_fp16_overflow 0
		.amdhsa_memory_ordered 1
		.amdhsa_forward_progress 1
		.amdhsa_inst_pref_size 0
		.amdhsa_round_robin_scheduling 0
		.amdhsa_exception_fp_ieee_invalid_op 0
		.amdhsa_exception_fp_denorm_src 0
		.amdhsa_exception_fp_ieee_div_zero 0
		.amdhsa_exception_fp_ieee_overflow 0
		.amdhsa_exception_fp_ieee_underflow 0
		.amdhsa_exception_fp_ieee_inexact 0
		.amdhsa_exception_int_div_zero 0
	.end_amdhsa_kernel
	.section	.text._ZN7rocprim17ROCPRIM_400000_NS6detail17trampoline_kernelINS0_13select_configILj256ELj13ELNS0_17block_load_methodE3ELS4_3ELS4_3ELNS0_20block_scan_algorithmE0ELj4294967295EEENS1_25partition_config_selectorILNS1_17partition_subalgoE3EjNS0_10empty_typeEbEEZZNS1_14partition_implILS8_3ELb0ES6_jNS0_17counting_iteratorIjlEEPS9_SE_NS0_5tupleIJPjSE_EEENSF_IJSE_SE_EEES9_SG_JZNS1_25segmented_radix_sort_implINS0_14default_configELb0EPKdPdPKlPlN2at6native12_GLOBAL__N_18offset_tEEE10hipError_tPvRmT1_PNSt15iterator_traitsISY_E10value_typeET2_T3_PNSZ_IS14_E10value_typeET4_jRbjT5_S1A_jjP12ihipStream_tbEUljE_EEESV_SW_SX_S14_S18_S1A_T6_T7_T9_mT8_S1C_bDpT10_ENKUlT_T0_E_clISt17integral_constantIbLb0EES1P_EEDaS1K_S1L_EUlS1K_E_NS1_11comp_targetILNS1_3genE9ELNS1_11target_archE1100ELNS1_3gpuE3ELNS1_3repE0EEENS1_30default_config_static_selectorELNS0_4arch9wavefront6targetE0EEEvSY_,"axG",@progbits,_ZN7rocprim17ROCPRIM_400000_NS6detail17trampoline_kernelINS0_13select_configILj256ELj13ELNS0_17block_load_methodE3ELS4_3ELS4_3ELNS0_20block_scan_algorithmE0ELj4294967295EEENS1_25partition_config_selectorILNS1_17partition_subalgoE3EjNS0_10empty_typeEbEEZZNS1_14partition_implILS8_3ELb0ES6_jNS0_17counting_iteratorIjlEEPS9_SE_NS0_5tupleIJPjSE_EEENSF_IJSE_SE_EEES9_SG_JZNS1_25segmented_radix_sort_implINS0_14default_configELb0EPKdPdPKlPlN2at6native12_GLOBAL__N_18offset_tEEE10hipError_tPvRmT1_PNSt15iterator_traitsISY_E10value_typeET2_T3_PNSZ_IS14_E10value_typeET4_jRbjT5_S1A_jjP12ihipStream_tbEUljE_EEESV_SW_SX_S14_S18_S1A_T6_T7_T9_mT8_S1C_bDpT10_ENKUlT_T0_E_clISt17integral_constantIbLb0EES1P_EEDaS1K_S1L_EUlS1K_E_NS1_11comp_targetILNS1_3genE9ELNS1_11target_archE1100ELNS1_3gpuE3ELNS1_3repE0EEENS1_30default_config_static_selectorELNS0_4arch9wavefront6targetE0EEEvSY_,comdat
.Lfunc_end1189:
	.size	_ZN7rocprim17ROCPRIM_400000_NS6detail17trampoline_kernelINS0_13select_configILj256ELj13ELNS0_17block_load_methodE3ELS4_3ELS4_3ELNS0_20block_scan_algorithmE0ELj4294967295EEENS1_25partition_config_selectorILNS1_17partition_subalgoE3EjNS0_10empty_typeEbEEZZNS1_14partition_implILS8_3ELb0ES6_jNS0_17counting_iteratorIjlEEPS9_SE_NS0_5tupleIJPjSE_EEENSF_IJSE_SE_EEES9_SG_JZNS1_25segmented_radix_sort_implINS0_14default_configELb0EPKdPdPKlPlN2at6native12_GLOBAL__N_18offset_tEEE10hipError_tPvRmT1_PNSt15iterator_traitsISY_E10value_typeET2_T3_PNSZ_IS14_E10value_typeET4_jRbjT5_S1A_jjP12ihipStream_tbEUljE_EEESV_SW_SX_S14_S18_S1A_T6_T7_T9_mT8_S1C_bDpT10_ENKUlT_T0_E_clISt17integral_constantIbLb0EES1P_EEDaS1K_S1L_EUlS1K_E_NS1_11comp_targetILNS1_3genE9ELNS1_11target_archE1100ELNS1_3gpuE3ELNS1_3repE0EEENS1_30default_config_static_selectorELNS0_4arch9wavefront6targetE0EEEvSY_, .Lfunc_end1189-_ZN7rocprim17ROCPRIM_400000_NS6detail17trampoline_kernelINS0_13select_configILj256ELj13ELNS0_17block_load_methodE3ELS4_3ELS4_3ELNS0_20block_scan_algorithmE0ELj4294967295EEENS1_25partition_config_selectorILNS1_17partition_subalgoE3EjNS0_10empty_typeEbEEZZNS1_14partition_implILS8_3ELb0ES6_jNS0_17counting_iteratorIjlEEPS9_SE_NS0_5tupleIJPjSE_EEENSF_IJSE_SE_EEES9_SG_JZNS1_25segmented_radix_sort_implINS0_14default_configELb0EPKdPdPKlPlN2at6native12_GLOBAL__N_18offset_tEEE10hipError_tPvRmT1_PNSt15iterator_traitsISY_E10value_typeET2_T3_PNSZ_IS14_E10value_typeET4_jRbjT5_S1A_jjP12ihipStream_tbEUljE_EEESV_SW_SX_S14_S18_S1A_T6_T7_T9_mT8_S1C_bDpT10_ENKUlT_T0_E_clISt17integral_constantIbLb0EES1P_EEDaS1K_S1L_EUlS1K_E_NS1_11comp_targetILNS1_3genE9ELNS1_11target_archE1100ELNS1_3gpuE3ELNS1_3repE0EEENS1_30default_config_static_selectorELNS0_4arch9wavefront6targetE0EEEvSY_
                                        ; -- End function
	.set _ZN7rocprim17ROCPRIM_400000_NS6detail17trampoline_kernelINS0_13select_configILj256ELj13ELNS0_17block_load_methodE3ELS4_3ELS4_3ELNS0_20block_scan_algorithmE0ELj4294967295EEENS1_25partition_config_selectorILNS1_17partition_subalgoE3EjNS0_10empty_typeEbEEZZNS1_14partition_implILS8_3ELb0ES6_jNS0_17counting_iteratorIjlEEPS9_SE_NS0_5tupleIJPjSE_EEENSF_IJSE_SE_EEES9_SG_JZNS1_25segmented_radix_sort_implINS0_14default_configELb0EPKdPdPKlPlN2at6native12_GLOBAL__N_18offset_tEEE10hipError_tPvRmT1_PNSt15iterator_traitsISY_E10value_typeET2_T3_PNSZ_IS14_E10value_typeET4_jRbjT5_S1A_jjP12ihipStream_tbEUljE_EEESV_SW_SX_S14_S18_S1A_T6_T7_T9_mT8_S1C_bDpT10_ENKUlT_T0_E_clISt17integral_constantIbLb0EES1P_EEDaS1K_S1L_EUlS1K_E_NS1_11comp_targetILNS1_3genE9ELNS1_11target_archE1100ELNS1_3gpuE3ELNS1_3repE0EEENS1_30default_config_static_selectorELNS0_4arch9wavefront6targetE0EEEvSY_.num_vgpr, 0
	.set _ZN7rocprim17ROCPRIM_400000_NS6detail17trampoline_kernelINS0_13select_configILj256ELj13ELNS0_17block_load_methodE3ELS4_3ELS4_3ELNS0_20block_scan_algorithmE0ELj4294967295EEENS1_25partition_config_selectorILNS1_17partition_subalgoE3EjNS0_10empty_typeEbEEZZNS1_14partition_implILS8_3ELb0ES6_jNS0_17counting_iteratorIjlEEPS9_SE_NS0_5tupleIJPjSE_EEENSF_IJSE_SE_EEES9_SG_JZNS1_25segmented_radix_sort_implINS0_14default_configELb0EPKdPdPKlPlN2at6native12_GLOBAL__N_18offset_tEEE10hipError_tPvRmT1_PNSt15iterator_traitsISY_E10value_typeET2_T3_PNSZ_IS14_E10value_typeET4_jRbjT5_S1A_jjP12ihipStream_tbEUljE_EEESV_SW_SX_S14_S18_S1A_T6_T7_T9_mT8_S1C_bDpT10_ENKUlT_T0_E_clISt17integral_constantIbLb0EES1P_EEDaS1K_S1L_EUlS1K_E_NS1_11comp_targetILNS1_3genE9ELNS1_11target_archE1100ELNS1_3gpuE3ELNS1_3repE0EEENS1_30default_config_static_selectorELNS0_4arch9wavefront6targetE0EEEvSY_.num_agpr, 0
	.set _ZN7rocprim17ROCPRIM_400000_NS6detail17trampoline_kernelINS0_13select_configILj256ELj13ELNS0_17block_load_methodE3ELS4_3ELS4_3ELNS0_20block_scan_algorithmE0ELj4294967295EEENS1_25partition_config_selectorILNS1_17partition_subalgoE3EjNS0_10empty_typeEbEEZZNS1_14partition_implILS8_3ELb0ES6_jNS0_17counting_iteratorIjlEEPS9_SE_NS0_5tupleIJPjSE_EEENSF_IJSE_SE_EEES9_SG_JZNS1_25segmented_radix_sort_implINS0_14default_configELb0EPKdPdPKlPlN2at6native12_GLOBAL__N_18offset_tEEE10hipError_tPvRmT1_PNSt15iterator_traitsISY_E10value_typeET2_T3_PNSZ_IS14_E10value_typeET4_jRbjT5_S1A_jjP12ihipStream_tbEUljE_EEESV_SW_SX_S14_S18_S1A_T6_T7_T9_mT8_S1C_bDpT10_ENKUlT_T0_E_clISt17integral_constantIbLb0EES1P_EEDaS1K_S1L_EUlS1K_E_NS1_11comp_targetILNS1_3genE9ELNS1_11target_archE1100ELNS1_3gpuE3ELNS1_3repE0EEENS1_30default_config_static_selectorELNS0_4arch9wavefront6targetE0EEEvSY_.numbered_sgpr, 0
	.set _ZN7rocprim17ROCPRIM_400000_NS6detail17trampoline_kernelINS0_13select_configILj256ELj13ELNS0_17block_load_methodE3ELS4_3ELS4_3ELNS0_20block_scan_algorithmE0ELj4294967295EEENS1_25partition_config_selectorILNS1_17partition_subalgoE3EjNS0_10empty_typeEbEEZZNS1_14partition_implILS8_3ELb0ES6_jNS0_17counting_iteratorIjlEEPS9_SE_NS0_5tupleIJPjSE_EEENSF_IJSE_SE_EEES9_SG_JZNS1_25segmented_radix_sort_implINS0_14default_configELb0EPKdPdPKlPlN2at6native12_GLOBAL__N_18offset_tEEE10hipError_tPvRmT1_PNSt15iterator_traitsISY_E10value_typeET2_T3_PNSZ_IS14_E10value_typeET4_jRbjT5_S1A_jjP12ihipStream_tbEUljE_EEESV_SW_SX_S14_S18_S1A_T6_T7_T9_mT8_S1C_bDpT10_ENKUlT_T0_E_clISt17integral_constantIbLb0EES1P_EEDaS1K_S1L_EUlS1K_E_NS1_11comp_targetILNS1_3genE9ELNS1_11target_archE1100ELNS1_3gpuE3ELNS1_3repE0EEENS1_30default_config_static_selectorELNS0_4arch9wavefront6targetE0EEEvSY_.num_named_barrier, 0
	.set _ZN7rocprim17ROCPRIM_400000_NS6detail17trampoline_kernelINS0_13select_configILj256ELj13ELNS0_17block_load_methodE3ELS4_3ELS4_3ELNS0_20block_scan_algorithmE0ELj4294967295EEENS1_25partition_config_selectorILNS1_17partition_subalgoE3EjNS0_10empty_typeEbEEZZNS1_14partition_implILS8_3ELb0ES6_jNS0_17counting_iteratorIjlEEPS9_SE_NS0_5tupleIJPjSE_EEENSF_IJSE_SE_EEES9_SG_JZNS1_25segmented_radix_sort_implINS0_14default_configELb0EPKdPdPKlPlN2at6native12_GLOBAL__N_18offset_tEEE10hipError_tPvRmT1_PNSt15iterator_traitsISY_E10value_typeET2_T3_PNSZ_IS14_E10value_typeET4_jRbjT5_S1A_jjP12ihipStream_tbEUljE_EEESV_SW_SX_S14_S18_S1A_T6_T7_T9_mT8_S1C_bDpT10_ENKUlT_T0_E_clISt17integral_constantIbLb0EES1P_EEDaS1K_S1L_EUlS1K_E_NS1_11comp_targetILNS1_3genE9ELNS1_11target_archE1100ELNS1_3gpuE3ELNS1_3repE0EEENS1_30default_config_static_selectorELNS0_4arch9wavefront6targetE0EEEvSY_.private_seg_size, 0
	.set _ZN7rocprim17ROCPRIM_400000_NS6detail17trampoline_kernelINS0_13select_configILj256ELj13ELNS0_17block_load_methodE3ELS4_3ELS4_3ELNS0_20block_scan_algorithmE0ELj4294967295EEENS1_25partition_config_selectorILNS1_17partition_subalgoE3EjNS0_10empty_typeEbEEZZNS1_14partition_implILS8_3ELb0ES6_jNS0_17counting_iteratorIjlEEPS9_SE_NS0_5tupleIJPjSE_EEENSF_IJSE_SE_EEES9_SG_JZNS1_25segmented_radix_sort_implINS0_14default_configELb0EPKdPdPKlPlN2at6native12_GLOBAL__N_18offset_tEEE10hipError_tPvRmT1_PNSt15iterator_traitsISY_E10value_typeET2_T3_PNSZ_IS14_E10value_typeET4_jRbjT5_S1A_jjP12ihipStream_tbEUljE_EEESV_SW_SX_S14_S18_S1A_T6_T7_T9_mT8_S1C_bDpT10_ENKUlT_T0_E_clISt17integral_constantIbLb0EES1P_EEDaS1K_S1L_EUlS1K_E_NS1_11comp_targetILNS1_3genE9ELNS1_11target_archE1100ELNS1_3gpuE3ELNS1_3repE0EEENS1_30default_config_static_selectorELNS0_4arch9wavefront6targetE0EEEvSY_.uses_vcc, 0
	.set _ZN7rocprim17ROCPRIM_400000_NS6detail17trampoline_kernelINS0_13select_configILj256ELj13ELNS0_17block_load_methodE3ELS4_3ELS4_3ELNS0_20block_scan_algorithmE0ELj4294967295EEENS1_25partition_config_selectorILNS1_17partition_subalgoE3EjNS0_10empty_typeEbEEZZNS1_14partition_implILS8_3ELb0ES6_jNS0_17counting_iteratorIjlEEPS9_SE_NS0_5tupleIJPjSE_EEENSF_IJSE_SE_EEES9_SG_JZNS1_25segmented_radix_sort_implINS0_14default_configELb0EPKdPdPKlPlN2at6native12_GLOBAL__N_18offset_tEEE10hipError_tPvRmT1_PNSt15iterator_traitsISY_E10value_typeET2_T3_PNSZ_IS14_E10value_typeET4_jRbjT5_S1A_jjP12ihipStream_tbEUljE_EEESV_SW_SX_S14_S18_S1A_T6_T7_T9_mT8_S1C_bDpT10_ENKUlT_T0_E_clISt17integral_constantIbLb0EES1P_EEDaS1K_S1L_EUlS1K_E_NS1_11comp_targetILNS1_3genE9ELNS1_11target_archE1100ELNS1_3gpuE3ELNS1_3repE0EEENS1_30default_config_static_selectorELNS0_4arch9wavefront6targetE0EEEvSY_.uses_flat_scratch, 0
	.set _ZN7rocprim17ROCPRIM_400000_NS6detail17trampoline_kernelINS0_13select_configILj256ELj13ELNS0_17block_load_methodE3ELS4_3ELS4_3ELNS0_20block_scan_algorithmE0ELj4294967295EEENS1_25partition_config_selectorILNS1_17partition_subalgoE3EjNS0_10empty_typeEbEEZZNS1_14partition_implILS8_3ELb0ES6_jNS0_17counting_iteratorIjlEEPS9_SE_NS0_5tupleIJPjSE_EEENSF_IJSE_SE_EEES9_SG_JZNS1_25segmented_radix_sort_implINS0_14default_configELb0EPKdPdPKlPlN2at6native12_GLOBAL__N_18offset_tEEE10hipError_tPvRmT1_PNSt15iterator_traitsISY_E10value_typeET2_T3_PNSZ_IS14_E10value_typeET4_jRbjT5_S1A_jjP12ihipStream_tbEUljE_EEESV_SW_SX_S14_S18_S1A_T6_T7_T9_mT8_S1C_bDpT10_ENKUlT_T0_E_clISt17integral_constantIbLb0EES1P_EEDaS1K_S1L_EUlS1K_E_NS1_11comp_targetILNS1_3genE9ELNS1_11target_archE1100ELNS1_3gpuE3ELNS1_3repE0EEENS1_30default_config_static_selectorELNS0_4arch9wavefront6targetE0EEEvSY_.has_dyn_sized_stack, 0
	.set _ZN7rocprim17ROCPRIM_400000_NS6detail17trampoline_kernelINS0_13select_configILj256ELj13ELNS0_17block_load_methodE3ELS4_3ELS4_3ELNS0_20block_scan_algorithmE0ELj4294967295EEENS1_25partition_config_selectorILNS1_17partition_subalgoE3EjNS0_10empty_typeEbEEZZNS1_14partition_implILS8_3ELb0ES6_jNS0_17counting_iteratorIjlEEPS9_SE_NS0_5tupleIJPjSE_EEENSF_IJSE_SE_EEES9_SG_JZNS1_25segmented_radix_sort_implINS0_14default_configELb0EPKdPdPKlPlN2at6native12_GLOBAL__N_18offset_tEEE10hipError_tPvRmT1_PNSt15iterator_traitsISY_E10value_typeET2_T3_PNSZ_IS14_E10value_typeET4_jRbjT5_S1A_jjP12ihipStream_tbEUljE_EEESV_SW_SX_S14_S18_S1A_T6_T7_T9_mT8_S1C_bDpT10_ENKUlT_T0_E_clISt17integral_constantIbLb0EES1P_EEDaS1K_S1L_EUlS1K_E_NS1_11comp_targetILNS1_3genE9ELNS1_11target_archE1100ELNS1_3gpuE3ELNS1_3repE0EEENS1_30default_config_static_selectorELNS0_4arch9wavefront6targetE0EEEvSY_.has_recursion, 0
	.set _ZN7rocprim17ROCPRIM_400000_NS6detail17trampoline_kernelINS0_13select_configILj256ELj13ELNS0_17block_load_methodE3ELS4_3ELS4_3ELNS0_20block_scan_algorithmE0ELj4294967295EEENS1_25partition_config_selectorILNS1_17partition_subalgoE3EjNS0_10empty_typeEbEEZZNS1_14partition_implILS8_3ELb0ES6_jNS0_17counting_iteratorIjlEEPS9_SE_NS0_5tupleIJPjSE_EEENSF_IJSE_SE_EEES9_SG_JZNS1_25segmented_radix_sort_implINS0_14default_configELb0EPKdPdPKlPlN2at6native12_GLOBAL__N_18offset_tEEE10hipError_tPvRmT1_PNSt15iterator_traitsISY_E10value_typeET2_T3_PNSZ_IS14_E10value_typeET4_jRbjT5_S1A_jjP12ihipStream_tbEUljE_EEESV_SW_SX_S14_S18_S1A_T6_T7_T9_mT8_S1C_bDpT10_ENKUlT_T0_E_clISt17integral_constantIbLb0EES1P_EEDaS1K_S1L_EUlS1K_E_NS1_11comp_targetILNS1_3genE9ELNS1_11target_archE1100ELNS1_3gpuE3ELNS1_3repE0EEENS1_30default_config_static_selectorELNS0_4arch9wavefront6targetE0EEEvSY_.has_indirect_call, 0
	.section	.AMDGPU.csdata,"",@progbits
; Kernel info:
; codeLenInByte = 0
; TotalNumSgprs: 0
; NumVgprs: 0
; ScratchSize: 0
; MemoryBound: 0
; FloatMode: 240
; IeeeMode: 1
; LDSByteSize: 0 bytes/workgroup (compile time only)
; SGPRBlocks: 0
; VGPRBlocks: 0
; NumSGPRsForWavesPerEU: 1
; NumVGPRsForWavesPerEU: 1
; NamedBarCnt: 0
; Occupancy: 16
; WaveLimiterHint : 0
; COMPUTE_PGM_RSRC2:SCRATCH_EN: 0
; COMPUTE_PGM_RSRC2:USER_SGPR: 2
; COMPUTE_PGM_RSRC2:TRAP_HANDLER: 0
; COMPUTE_PGM_RSRC2:TGID_X_EN: 1
; COMPUTE_PGM_RSRC2:TGID_Y_EN: 0
; COMPUTE_PGM_RSRC2:TGID_Z_EN: 0
; COMPUTE_PGM_RSRC2:TIDIG_COMP_CNT: 0
	.section	.text._ZN7rocprim17ROCPRIM_400000_NS6detail17trampoline_kernelINS0_13select_configILj256ELj13ELNS0_17block_load_methodE3ELS4_3ELS4_3ELNS0_20block_scan_algorithmE0ELj4294967295EEENS1_25partition_config_selectorILNS1_17partition_subalgoE3EjNS0_10empty_typeEbEEZZNS1_14partition_implILS8_3ELb0ES6_jNS0_17counting_iteratorIjlEEPS9_SE_NS0_5tupleIJPjSE_EEENSF_IJSE_SE_EEES9_SG_JZNS1_25segmented_radix_sort_implINS0_14default_configELb0EPKdPdPKlPlN2at6native12_GLOBAL__N_18offset_tEEE10hipError_tPvRmT1_PNSt15iterator_traitsISY_E10value_typeET2_T3_PNSZ_IS14_E10value_typeET4_jRbjT5_S1A_jjP12ihipStream_tbEUljE_EEESV_SW_SX_S14_S18_S1A_T6_T7_T9_mT8_S1C_bDpT10_ENKUlT_T0_E_clISt17integral_constantIbLb0EES1P_EEDaS1K_S1L_EUlS1K_E_NS1_11comp_targetILNS1_3genE8ELNS1_11target_archE1030ELNS1_3gpuE2ELNS1_3repE0EEENS1_30default_config_static_selectorELNS0_4arch9wavefront6targetE0EEEvSY_,"axG",@progbits,_ZN7rocprim17ROCPRIM_400000_NS6detail17trampoline_kernelINS0_13select_configILj256ELj13ELNS0_17block_load_methodE3ELS4_3ELS4_3ELNS0_20block_scan_algorithmE0ELj4294967295EEENS1_25partition_config_selectorILNS1_17partition_subalgoE3EjNS0_10empty_typeEbEEZZNS1_14partition_implILS8_3ELb0ES6_jNS0_17counting_iteratorIjlEEPS9_SE_NS0_5tupleIJPjSE_EEENSF_IJSE_SE_EEES9_SG_JZNS1_25segmented_radix_sort_implINS0_14default_configELb0EPKdPdPKlPlN2at6native12_GLOBAL__N_18offset_tEEE10hipError_tPvRmT1_PNSt15iterator_traitsISY_E10value_typeET2_T3_PNSZ_IS14_E10value_typeET4_jRbjT5_S1A_jjP12ihipStream_tbEUljE_EEESV_SW_SX_S14_S18_S1A_T6_T7_T9_mT8_S1C_bDpT10_ENKUlT_T0_E_clISt17integral_constantIbLb0EES1P_EEDaS1K_S1L_EUlS1K_E_NS1_11comp_targetILNS1_3genE8ELNS1_11target_archE1030ELNS1_3gpuE2ELNS1_3repE0EEENS1_30default_config_static_selectorELNS0_4arch9wavefront6targetE0EEEvSY_,comdat
	.globl	_ZN7rocprim17ROCPRIM_400000_NS6detail17trampoline_kernelINS0_13select_configILj256ELj13ELNS0_17block_load_methodE3ELS4_3ELS4_3ELNS0_20block_scan_algorithmE0ELj4294967295EEENS1_25partition_config_selectorILNS1_17partition_subalgoE3EjNS0_10empty_typeEbEEZZNS1_14partition_implILS8_3ELb0ES6_jNS0_17counting_iteratorIjlEEPS9_SE_NS0_5tupleIJPjSE_EEENSF_IJSE_SE_EEES9_SG_JZNS1_25segmented_radix_sort_implINS0_14default_configELb0EPKdPdPKlPlN2at6native12_GLOBAL__N_18offset_tEEE10hipError_tPvRmT1_PNSt15iterator_traitsISY_E10value_typeET2_T3_PNSZ_IS14_E10value_typeET4_jRbjT5_S1A_jjP12ihipStream_tbEUljE_EEESV_SW_SX_S14_S18_S1A_T6_T7_T9_mT8_S1C_bDpT10_ENKUlT_T0_E_clISt17integral_constantIbLb0EES1P_EEDaS1K_S1L_EUlS1K_E_NS1_11comp_targetILNS1_3genE8ELNS1_11target_archE1030ELNS1_3gpuE2ELNS1_3repE0EEENS1_30default_config_static_selectorELNS0_4arch9wavefront6targetE0EEEvSY_ ; -- Begin function _ZN7rocprim17ROCPRIM_400000_NS6detail17trampoline_kernelINS0_13select_configILj256ELj13ELNS0_17block_load_methodE3ELS4_3ELS4_3ELNS0_20block_scan_algorithmE0ELj4294967295EEENS1_25partition_config_selectorILNS1_17partition_subalgoE3EjNS0_10empty_typeEbEEZZNS1_14partition_implILS8_3ELb0ES6_jNS0_17counting_iteratorIjlEEPS9_SE_NS0_5tupleIJPjSE_EEENSF_IJSE_SE_EEES9_SG_JZNS1_25segmented_radix_sort_implINS0_14default_configELb0EPKdPdPKlPlN2at6native12_GLOBAL__N_18offset_tEEE10hipError_tPvRmT1_PNSt15iterator_traitsISY_E10value_typeET2_T3_PNSZ_IS14_E10value_typeET4_jRbjT5_S1A_jjP12ihipStream_tbEUljE_EEESV_SW_SX_S14_S18_S1A_T6_T7_T9_mT8_S1C_bDpT10_ENKUlT_T0_E_clISt17integral_constantIbLb0EES1P_EEDaS1K_S1L_EUlS1K_E_NS1_11comp_targetILNS1_3genE8ELNS1_11target_archE1030ELNS1_3gpuE2ELNS1_3repE0EEENS1_30default_config_static_selectorELNS0_4arch9wavefront6targetE0EEEvSY_
	.p2align	8
	.type	_ZN7rocprim17ROCPRIM_400000_NS6detail17trampoline_kernelINS0_13select_configILj256ELj13ELNS0_17block_load_methodE3ELS4_3ELS4_3ELNS0_20block_scan_algorithmE0ELj4294967295EEENS1_25partition_config_selectorILNS1_17partition_subalgoE3EjNS0_10empty_typeEbEEZZNS1_14partition_implILS8_3ELb0ES6_jNS0_17counting_iteratorIjlEEPS9_SE_NS0_5tupleIJPjSE_EEENSF_IJSE_SE_EEES9_SG_JZNS1_25segmented_radix_sort_implINS0_14default_configELb0EPKdPdPKlPlN2at6native12_GLOBAL__N_18offset_tEEE10hipError_tPvRmT1_PNSt15iterator_traitsISY_E10value_typeET2_T3_PNSZ_IS14_E10value_typeET4_jRbjT5_S1A_jjP12ihipStream_tbEUljE_EEESV_SW_SX_S14_S18_S1A_T6_T7_T9_mT8_S1C_bDpT10_ENKUlT_T0_E_clISt17integral_constantIbLb0EES1P_EEDaS1K_S1L_EUlS1K_E_NS1_11comp_targetILNS1_3genE8ELNS1_11target_archE1030ELNS1_3gpuE2ELNS1_3repE0EEENS1_30default_config_static_selectorELNS0_4arch9wavefront6targetE0EEEvSY_,@function
_ZN7rocprim17ROCPRIM_400000_NS6detail17trampoline_kernelINS0_13select_configILj256ELj13ELNS0_17block_load_methodE3ELS4_3ELS4_3ELNS0_20block_scan_algorithmE0ELj4294967295EEENS1_25partition_config_selectorILNS1_17partition_subalgoE3EjNS0_10empty_typeEbEEZZNS1_14partition_implILS8_3ELb0ES6_jNS0_17counting_iteratorIjlEEPS9_SE_NS0_5tupleIJPjSE_EEENSF_IJSE_SE_EEES9_SG_JZNS1_25segmented_radix_sort_implINS0_14default_configELb0EPKdPdPKlPlN2at6native12_GLOBAL__N_18offset_tEEE10hipError_tPvRmT1_PNSt15iterator_traitsISY_E10value_typeET2_T3_PNSZ_IS14_E10value_typeET4_jRbjT5_S1A_jjP12ihipStream_tbEUljE_EEESV_SW_SX_S14_S18_S1A_T6_T7_T9_mT8_S1C_bDpT10_ENKUlT_T0_E_clISt17integral_constantIbLb0EES1P_EEDaS1K_S1L_EUlS1K_E_NS1_11comp_targetILNS1_3genE8ELNS1_11target_archE1030ELNS1_3gpuE2ELNS1_3repE0EEENS1_30default_config_static_selectorELNS0_4arch9wavefront6targetE0EEEvSY_: ; @_ZN7rocprim17ROCPRIM_400000_NS6detail17trampoline_kernelINS0_13select_configILj256ELj13ELNS0_17block_load_methodE3ELS4_3ELS4_3ELNS0_20block_scan_algorithmE0ELj4294967295EEENS1_25partition_config_selectorILNS1_17partition_subalgoE3EjNS0_10empty_typeEbEEZZNS1_14partition_implILS8_3ELb0ES6_jNS0_17counting_iteratorIjlEEPS9_SE_NS0_5tupleIJPjSE_EEENSF_IJSE_SE_EEES9_SG_JZNS1_25segmented_radix_sort_implINS0_14default_configELb0EPKdPdPKlPlN2at6native12_GLOBAL__N_18offset_tEEE10hipError_tPvRmT1_PNSt15iterator_traitsISY_E10value_typeET2_T3_PNSZ_IS14_E10value_typeET4_jRbjT5_S1A_jjP12ihipStream_tbEUljE_EEESV_SW_SX_S14_S18_S1A_T6_T7_T9_mT8_S1C_bDpT10_ENKUlT_T0_E_clISt17integral_constantIbLb0EES1P_EEDaS1K_S1L_EUlS1K_E_NS1_11comp_targetILNS1_3genE8ELNS1_11target_archE1030ELNS1_3gpuE2ELNS1_3repE0EEENS1_30default_config_static_selectorELNS0_4arch9wavefront6targetE0EEEvSY_
; %bb.0:
	.section	.rodata,"a",@progbits
	.p2align	6, 0x0
	.amdhsa_kernel _ZN7rocprim17ROCPRIM_400000_NS6detail17trampoline_kernelINS0_13select_configILj256ELj13ELNS0_17block_load_methodE3ELS4_3ELS4_3ELNS0_20block_scan_algorithmE0ELj4294967295EEENS1_25partition_config_selectorILNS1_17partition_subalgoE3EjNS0_10empty_typeEbEEZZNS1_14partition_implILS8_3ELb0ES6_jNS0_17counting_iteratorIjlEEPS9_SE_NS0_5tupleIJPjSE_EEENSF_IJSE_SE_EEES9_SG_JZNS1_25segmented_radix_sort_implINS0_14default_configELb0EPKdPdPKlPlN2at6native12_GLOBAL__N_18offset_tEEE10hipError_tPvRmT1_PNSt15iterator_traitsISY_E10value_typeET2_T3_PNSZ_IS14_E10value_typeET4_jRbjT5_S1A_jjP12ihipStream_tbEUljE_EEESV_SW_SX_S14_S18_S1A_T6_T7_T9_mT8_S1C_bDpT10_ENKUlT_T0_E_clISt17integral_constantIbLb0EES1P_EEDaS1K_S1L_EUlS1K_E_NS1_11comp_targetILNS1_3genE8ELNS1_11target_archE1030ELNS1_3gpuE2ELNS1_3repE0EEENS1_30default_config_static_selectorELNS0_4arch9wavefront6targetE0EEEvSY_
		.amdhsa_group_segment_fixed_size 0
		.amdhsa_private_segment_fixed_size 0
		.amdhsa_kernarg_size 144
		.amdhsa_user_sgpr_count 2
		.amdhsa_user_sgpr_dispatch_ptr 0
		.amdhsa_user_sgpr_queue_ptr 0
		.amdhsa_user_sgpr_kernarg_segment_ptr 1
		.amdhsa_user_sgpr_dispatch_id 0
		.amdhsa_user_sgpr_kernarg_preload_length 0
		.amdhsa_user_sgpr_kernarg_preload_offset 0
		.amdhsa_user_sgpr_private_segment_size 0
		.amdhsa_wavefront_size32 1
		.amdhsa_uses_dynamic_stack 0
		.amdhsa_enable_private_segment 0
		.amdhsa_system_sgpr_workgroup_id_x 1
		.amdhsa_system_sgpr_workgroup_id_y 0
		.amdhsa_system_sgpr_workgroup_id_z 0
		.amdhsa_system_sgpr_workgroup_info 0
		.amdhsa_system_vgpr_workitem_id 0
		.amdhsa_next_free_vgpr 1
		.amdhsa_next_free_sgpr 1
		.amdhsa_named_barrier_count 0
		.amdhsa_reserve_vcc 0
		.amdhsa_float_round_mode_32 0
		.amdhsa_float_round_mode_16_64 0
		.amdhsa_float_denorm_mode_32 3
		.amdhsa_float_denorm_mode_16_64 3
		.amdhsa_fp16_overflow 0
		.amdhsa_memory_ordered 1
		.amdhsa_forward_progress 1
		.amdhsa_inst_pref_size 0
		.amdhsa_round_robin_scheduling 0
		.amdhsa_exception_fp_ieee_invalid_op 0
		.amdhsa_exception_fp_denorm_src 0
		.amdhsa_exception_fp_ieee_div_zero 0
		.amdhsa_exception_fp_ieee_overflow 0
		.amdhsa_exception_fp_ieee_underflow 0
		.amdhsa_exception_fp_ieee_inexact 0
		.amdhsa_exception_int_div_zero 0
	.end_amdhsa_kernel
	.section	.text._ZN7rocprim17ROCPRIM_400000_NS6detail17trampoline_kernelINS0_13select_configILj256ELj13ELNS0_17block_load_methodE3ELS4_3ELS4_3ELNS0_20block_scan_algorithmE0ELj4294967295EEENS1_25partition_config_selectorILNS1_17partition_subalgoE3EjNS0_10empty_typeEbEEZZNS1_14partition_implILS8_3ELb0ES6_jNS0_17counting_iteratorIjlEEPS9_SE_NS0_5tupleIJPjSE_EEENSF_IJSE_SE_EEES9_SG_JZNS1_25segmented_radix_sort_implINS0_14default_configELb0EPKdPdPKlPlN2at6native12_GLOBAL__N_18offset_tEEE10hipError_tPvRmT1_PNSt15iterator_traitsISY_E10value_typeET2_T3_PNSZ_IS14_E10value_typeET4_jRbjT5_S1A_jjP12ihipStream_tbEUljE_EEESV_SW_SX_S14_S18_S1A_T6_T7_T9_mT8_S1C_bDpT10_ENKUlT_T0_E_clISt17integral_constantIbLb0EES1P_EEDaS1K_S1L_EUlS1K_E_NS1_11comp_targetILNS1_3genE8ELNS1_11target_archE1030ELNS1_3gpuE2ELNS1_3repE0EEENS1_30default_config_static_selectorELNS0_4arch9wavefront6targetE0EEEvSY_,"axG",@progbits,_ZN7rocprim17ROCPRIM_400000_NS6detail17trampoline_kernelINS0_13select_configILj256ELj13ELNS0_17block_load_methodE3ELS4_3ELS4_3ELNS0_20block_scan_algorithmE0ELj4294967295EEENS1_25partition_config_selectorILNS1_17partition_subalgoE3EjNS0_10empty_typeEbEEZZNS1_14partition_implILS8_3ELb0ES6_jNS0_17counting_iteratorIjlEEPS9_SE_NS0_5tupleIJPjSE_EEENSF_IJSE_SE_EEES9_SG_JZNS1_25segmented_radix_sort_implINS0_14default_configELb0EPKdPdPKlPlN2at6native12_GLOBAL__N_18offset_tEEE10hipError_tPvRmT1_PNSt15iterator_traitsISY_E10value_typeET2_T3_PNSZ_IS14_E10value_typeET4_jRbjT5_S1A_jjP12ihipStream_tbEUljE_EEESV_SW_SX_S14_S18_S1A_T6_T7_T9_mT8_S1C_bDpT10_ENKUlT_T0_E_clISt17integral_constantIbLb0EES1P_EEDaS1K_S1L_EUlS1K_E_NS1_11comp_targetILNS1_3genE8ELNS1_11target_archE1030ELNS1_3gpuE2ELNS1_3repE0EEENS1_30default_config_static_selectorELNS0_4arch9wavefront6targetE0EEEvSY_,comdat
.Lfunc_end1190:
	.size	_ZN7rocprim17ROCPRIM_400000_NS6detail17trampoline_kernelINS0_13select_configILj256ELj13ELNS0_17block_load_methodE3ELS4_3ELS4_3ELNS0_20block_scan_algorithmE0ELj4294967295EEENS1_25partition_config_selectorILNS1_17partition_subalgoE3EjNS0_10empty_typeEbEEZZNS1_14partition_implILS8_3ELb0ES6_jNS0_17counting_iteratorIjlEEPS9_SE_NS0_5tupleIJPjSE_EEENSF_IJSE_SE_EEES9_SG_JZNS1_25segmented_radix_sort_implINS0_14default_configELb0EPKdPdPKlPlN2at6native12_GLOBAL__N_18offset_tEEE10hipError_tPvRmT1_PNSt15iterator_traitsISY_E10value_typeET2_T3_PNSZ_IS14_E10value_typeET4_jRbjT5_S1A_jjP12ihipStream_tbEUljE_EEESV_SW_SX_S14_S18_S1A_T6_T7_T9_mT8_S1C_bDpT10_ENKUlT_T0_E_clISt17integral_constantIbLb0EES1P_EEDaS1K_S1L_EUlS1K_E_NS1_11comp_targetILNS1_3genE8ELNS1_11target_archE1030ELNS1_3gpuE2ELNS1_3repE0EEENS1_30default_config_static_selectorELNS0_4arch9wavefront6targetE0EEEvSY_, .Lfunc_end1190-_ZN7rocprim17ROCPRIM_400000_NS6detail17trampoline_kernelINS0_13select_configILj256ELj13ELNS0_17block_load_methodE3ELS4_3ELS4_3ELNS0_20block_scan_algorithmE0ELj4294967295EEENS1_25partition_config_selectorILNS1_17partition_subalgoE3EjNS0_10empty_typeEbEEZZNS1_14partition_implILS8_3ELb0ES6_jNS0_17counting_iteratorIjlEEPS9_SE_NS0_5tupleIJPjSE_EEENSF_IJSE_SE_EEES9_SG_JZNS1_25segmented_radix_sort_implINS0_14default_configELb0EPKdPdPKlPlN2at6native12_GLOBAL__N_18offset_tEEE10hipError_tPvRmT1_PNSt15iterator_traitsISY_E10value_typeET2_T3_PNSZ_IS14_E10value_typeET4_jRbjT5_S1A_jjP12ihipStream_tbEUljE_EEESV_SW_SX_S14_S18_S1A_T6_T7_T9_mT8_S1C_bDpT10_ENKUlT_T0_E_clISt17integral_constantIbLb0EES1P_EEDaS1K_S1L_EUlS1K_E_NS1_11comp_targetILNS1_3genE8ELNS1_11target_archE1030ELNS1_3gpuE2ELNS1_3repE0EEENS1_30default_config_static_selectorELNS0_4arch9wavefront6targetE0EEEvSY_
                                        ; -- End function
	.set _ZN7rocprim17ROCPRIM_400000_NS6detail17trampoline_kernelINS0_13select_configILj256ELj13ELNS0_17block_load_methodE3ELS4_3ELS4_3ELNS0_20block_scan_algorithmE0ELj4294967295EEENS1_25partition_config_selectorILNS1_17partition_subalgoE3EjNS0_10empty_typeEbEEZZNS1_14partition_implILS8_3ELb0ES6_jNS0_17counting_iteratorIjlEEPS9_SE_NS0_5tupleIJPjSE_EEENSF_IJSE_SE_EEES9_SG_JZNS1_25segmented_radix_sort_implINS0_14default_configELb0EPKdPdPKlPlN2at6native12_GLOBAL__N_18offset_tEEE10hipError_tPvRmT1_PNSt15iterator_traitsISY_E10value_typeET2_T3_PNSZ_IS14_E10value_typeET4_jRbjT5_S1A_jjP12ihipStream_tbEUljE_EEESV_SW_SX_S14_S18_S1A_T6_T7_T9_mT8_S1C_bDpT10_ENKUlT_T0_E_clISt17integral_constantIbLb0EES1P_EEDaS1K_S1L_EUlS1K_E_NS1_11comp_targetILNS1_3genE8ELNS1_11target_archE1030ELNS1_3gpuE2ELNS1_3repE0EEENS1_30default_config_static_selectorELNS0_4arch9wavefront6targetE0EEEvSY_.num_vgpr, 0
	.set _ZN7rocprim17ROCPRIM_400000_NS6detail17trampoline_kernelINS0_13select_configILj256ELj13ELNS0_17block_load_methodE3ELS4_3ELS4_3ELNS0_20block_scan_algorithmE0ELj4294967295EEENS1_25partition_config_selectorILNS1_17partition_subalgoE3EjNS0_10empty_typeEbEEZZNS1_14partition_implILS8_3ELb0ES6_jNS0_17counting_iteratorIjlEEPS9_SE_NS0_5tupleIJPjSE_EEENSF_IJSE_SE_EEES9_SG_JZNS1_25segmented_radix_sort_implINS0_14default_configELb0EPKdPdPKlPlN2at6native12_GLOBAL__N_18offset_tEEE10hipError_tPvRmT1_PNSt15iterator_traitsISY_E10value_typeET2_T3_PNSZ_IS14_E10value_typeET4_jRbjT5_S1A_jjP12ihipStream_tbEUljE_EEESV_SW_SX_S14_S18_S1A_T6_T7_T9_mT8_S1C_bDpT10_ENKUlT_T0_E_clISt17integral_constantIbLb0EES1P_EEDaS1K_S1L_EUlS1K_E_NS1_11comp_targetILNS1_3genE8ELNS1_11target_archE1030ELNS1_3gpuE2ELNS1_3repE0EEENS1_30default_config_static_selectorELNS0_4arch9wavefront6targetE0EEEvSY_.num_agpr, 0
	.set _ZN7rocprim17ROCPRIM_400000_NS6detail17trampoline_kernelINS0_13select_configILj256ELj13ELNS0_17block_load_methodE3ELS4_3ELS4_3ELNS0_20block_scan_algorithmE0ELj4294967295EEENS1_25partition_config_selectorILNS1_17partition_subalgoE3EjNS0_10empty_typeEbEEZZNS1_14partition_implILS8_3ELb0ES6_jNS0_17counting_iteratorIjlEEPS9_SE_NS0_5tupleIJPjSE_EEENSF_IJSE_SE_EEES9_SG_JZNS1_25segmented_radix_sort_implINS0_14default_configELb0EPKdPdPKlPlN2at6native12_GLOBAL__N_18offset_tEEE10hipError_tPvRmT1_PNSt15iterator_traitsISY_E10value_typeET2_T3_PNSZ_IS14_E10value_typeET4_jRbjT5_S1A_jjP12ihipStream_tbEUljE_EEESV_SW_SX_S14_S18_S1A_T6_T7_T9_mT8_S1C_bDpT10_ENKUlT_T0_E_clISt17integral_constantIbLb0EES1P_EEDaS1K_S1L_EUlS1K_E_NS1_11comp_targetILNS1_3genE8ELNS1_11target_archE1030ELNS1_3gpuE2ELNS1_3repE0EEENS1_30default_config_static_selectorELNS0_4arch9wavefront6targetE0EEEvSY_.numbered_sgpr, 0
	.set _ZN7rocprim17ROCPRIM_400000_NS6detail17trampoline_kernelINS0_13select_configILj256ELj13ELNS0_17block_load_methodE3ELS4_3ELS4_3ELNS0_20block_scan_algorithmE0ELj4294967295EEENS1_25partition_config_selectorILNS1_17partition_subalgoE3EjNS0_10empty_typeEbEEZZNS1_14partition_implILS8_3ELb0ES6_jNS0_17counting_iteratorIjlEEPS9_SE_NS0_5tupleIJPjSE_EEENSF_IJSE_SE_EEES9_SG_JZNS1_25segmented_radix_sort_implINS0_14default_configELb0EPKdPdPKlPlN2at6native12_GLOBAL__N_18offset_tEEE10hipError_tPvRmT1_PNSt15iterator_traitsISY_E10value_typeET2_T3_PNSZ_IS14_E10value_typeET4_jRbjT5_S1A_jjP12ihipStream_tbEUljE_EEESV_SW_SX_S14_S18_S1A_T6_T7_T9_mT8_S1C_bDpT10_ENKUlT_T0_E_clISt17integral_constantIbLb0EES1P_EEDaS1K_S1L_EUlS1K_E_NS1_11comp_targetILNS1_3genE8ELNS1_11target_archE1030ELNS1_3gpuE2ELNS1_3repE0EEENS1_30default_config_static_selectorELNS0_4arch9wavefront6targetE0EEEvSY_.num_named_barrier, 0
	.set _ZN7rocprim17ROCPRIM_400000_NS6detail17trampoline_kernelINS0_13select_configILj256ELj13ELNS0_17block_load_methodE3ELS4_3ELS4_3ELNS0_20block_scan_algorithmE0ELj4294967295EEENS1_25partition_config_selectorILNS1_17partition_subalgoE3EjNS0_10empty_typeEbEEZZNS1_14partition_implILS8_3ELb0ES6_jNS0_17counting_iteratorIjlEEPS9_SE_NS0_5tupleIJPjSE_EEENSF_IJSE_SE_EEES9_SG_JZNS1_25segmented_radix_sort_implINS0_14default_configELb0EPKdPdPKlPlN2at6native12_GLOBAL__N_18offset_tEEE10hipError_tPvRmT1_PNSt15iterator_traitsISY_E10value_typeET2_T3_PNSZ_IS14_E10value_typeET4_jRbjT5_S1A_jjP12ihipStream_tbEUljE_EEESV_SW_SX_S14_S18_S1A_T6_T7_T9_mT8_S1C_bDpT10_ENKUlT_T0_E_clISt17integral_constantIbLb0EES1P_EEDaS1K_S1L_EUlS1K_E_NS1_11comp_targetILNS1_3genE8ELNS1_11target_archE1030ELNS1_3gpuE2ELNS1_3repE0EEENS1_30default_config_static_selectorELNS0_4arch9wavefront6targetE0EEEvSY_.private_seg_size, 0
	.set _ZN7rocprim17ROCPRIM_400000_NS6detail17trampoline_kernelINS0_13select_configILj256ELj13ELNS0_17block_load_methodE3ELS4_3ELS4_3ELNS0_20block_scan_algorithmE0ELj4294967295EEENS1_25partition_config_selectorILNS1_17partition_subalgoE3EjNS0_10empty_typeEbEEZZNS1_14partition_implILS8_3ELb0ES6_jNS0_17counting_iteratorIjlEEPS9_SE_NS0_5tupleIJPjSE_EEENSF_IJSE_SE_EEES9_SG_JZNS1_25segmented_radix_sort_implINS0_14default_configELb0EPKdPdPKlPlN2at6native12_GLOBAL__N_18offset_tEEE10hipError_tPvRmT1_PNSt15iterator_traitsISY_E10value_typeET2_T3_PNSZ_IS14_E10value_typeET4_jRbjT5_S1A_jjP12ihipStream_tbEUljE_EEESV_SW_SX_S14_S18_S1A_T6_T7_T9_mT8_S1C_bDpT10_ENKUlT_T0_E_clISt17integral_constantIbLb0EES1P_EEDaS1K_S1L_EUlS1K_E_NS1_11comp_targetILNS1_3genE8ELNS1_11target_archE1030ELNS1_3gpuE2ELNS1_3repE0EEENS1_30default_config_static_selectorELNS0_4arch9wavefront6targetE0EEEvSY_.uses_vcc, 0
	.set _ZN7rocprim17ROCPRIM_400000_NS6detail17trampoline_kernelINS0_13select_configILj256ELj13ELNS0_17block_load_methodE3ELS4_3ELS4_3ELNS0_20block_scan_algorithmE0ELj4294967295EEENS1_25partition_config_selectorILNS1_17partition_subalgoE3EjNS0_10empty_typeEbEEZZNS1_14partition_implILS8_3ELb0ES6_jNS0_17counting_iteratorIjlEEPS9_SE_NS0_5tupleIJPjSE_EEENSF_IJSE_SE_EEES9_SG_JZNS1_25segmented_radix_sort_implINS0_14default_configELb0EPKdPdPKlPlN2at6native12_GLOBAL__N_18offset_tEEE10hipError_tPvRmT1_PNSt15iterator_traitsISY_E10value_typeET2_T3_PNSZ_IS14_E10value_typeET4_jRbjT5_S1A_jjP12ihipStream_tbEUljE_EEESV_SW_SX_S14_S18_S1A_T6_T7_T9_mT8_S1C_bDpT10_ENKUlT_T0_E_clISt17integral_constantIbLb0EES1P_EEDaS1K_S1L_EUlS1K_E_NS1_11comp_targetILNS1_3genE8ELNS1_11target_archE1030ELNS1_3gpuE2ELNS1_3repE0EEENS1_30default_config_static_selectorELNS0_4arch9wavefront6targetE0EEEvSY_.uses_flat_scratch, 0
	.set _ZN7rocprim17ROCPRIM_400000_NS6detail17trampoline_kernelINS0_13select_configILj256ELj13ELNS0_17block_load_methodE3ELS4_3ELS4_3ELNS0_20block_scan_algorithmE0ELj4294967295EEENS1_25partition_config_selectorILNS1_17partition_subalgoE3EjNS0_10empty_typeEbEEZZNS1_14partition_implILS8_3ELb0ES6_jNS0_17counting_iteratorIjlEEPS9_SE_NS0_5tupleIJPjSE_EEENSF_IJSE_SE_EEES9_SG_JZNS1_25segmented_radix_sort_implINS0_14default_configELb0EPKdPdPKlPlN2at6native12_GLOBAL__N_18offset_tEEE10hipError_tPvRmT1_PNSt15iterator_traitsISY_E10value_typeET2_T3_PNSZ_IS14_E10value_typeET4_jRbjT5_S1A_jjP12ihipStream_tbEUljE_EEESV_SW_SX_S14_S18_S1A_T6_T7_T9_mT8_S1C_bDpT10_ENKUlT_T0_E_clISt17integral_constantIbLb0EES1P_EEDaS1K_S1L_EUlS1K_E_NS1_11comp_targetILNS1_3genE8ELNS1_11target_archE1030ELNS1_3gpuE2ELNS1_3repE0EEENS1_30default_config_static_selectorELNS0_4arch9wavefront6targetE0EEEvSY_.has_dyn_sized_stack, 0
	.set _ZN7rocprim17ROCPRIM_400000_NS6detail17trampoline_kernelINS0_13select_configILj256ELj13ELNS0_17block_load_methodE3ELS4_3ELS4_3ELNS0_20block_scan_algorithmE0ELj4294967295EEENS1_25partition_config_selectorILNS1_17partition_subalgoE3EjNS0_10empty_typeEbEEZZNS1_14partition_implILS8_3ELb0ES6_jNS0_17counting_iteratorIjlEEPS9_SE_NS0_5tupleIJPjSE_EEENSF_IJSE_SE_EEES9_SG_JZNS1_25segmented_radix_sort_implINS0_14default_configELb0EPKdPdPKlPlN2at6native12_GLOBAL__N_18offset_tEEE10hipError_tPvRmT1_PNSt15iterator_traitsISY_E10value_typeET2_T3_PNSZ_IS14_E10value_typeET4_jRbjT5_S1A_jjP12ihipStream_tbEUljE_EEESV_SW_SX_S14_S18_S1A_T6_T7_T9_mT8_S1C_bDpT10_ENKUlT_T0_E_clISt17integral_constantIbLb0EES1P_EEDaS1K_S1L_EUlS1K_E_NS1_11comp_targetILNS1_3genE8ELNS1_11target_archE1030ELNS1_3gpuE2ELNS1_3repE0EEENS1_30default_config_static_selectorELNS0_4arch9wavefront6targetE0EEEvSY_.has_recursion, 0
	.set _ZN7rocprim17ROCPRIM_400000_NS6detail17trampoline_kernelINS0_13select_configILj256ELj13ELNS0_17block_load_methodE3ELS4_3ELS4_3ELNS0_20block_scan_algorithmE0ELj4294967295EEENS1_25partition_config_selectorILNS1_17partition_subalgoE3EjNS0_10empty_typeEbEEZZNS1_14partition_implILS8_3ELb0ES6_jNS0_17counting_iteratorIjlEEPS9_SE_NS0_5tupleIJPjSE_EEENSF_IJSE_SE_EEES9_SG_JZNS1_25segmented_radix_sort_implINS0_14default_configELb0EPKdPdPKlPlN2at6native12_GLOBAL__N_18offset_tEEE10hipError_tPvRmT1_PNSt15iterator_traitsISY_E10value_typeET2_T3_PNSZ_IS14_E10value_typeET4_jRbjT5_S1A_jjP12ihipStream_tbEUljE_EEESV_SW_SX_S14_S18_S1A_T6_T7_T9_mT8_S1C_bDpT10_ENKUlT_T0_E_clISt17integral_constantIbLb0EES1P_EEDaS1K_S1L_EUlS1K_E_NS1_11comp_targetILNS1_3genE8ELNS1_11target_archE1030ELNS1_3gpuE2ELNS1_3repE0EEENS1_30default_config_static_selectorELNS0_4arch9wavefront6targetE0EEEvSY_.has_indirect_call, 0
	.section	.AMDGPU.csdata,"",@progbits
; Kernel info:
; codeLenInByte = 0
; TotalNumSgprs: 0
; NumVgprs: 0
; ScratchSize: 0
; MemoryBound: 0
; FloatMode: 240
; IeeeMode: 1
; LDSByteSize: 0 bytes/workgroup (compile time only)
; SGPRBlocks: 0
; VGPRBlocks: 0
; NumSGPRsForWavesPerEU: 1
; NumVGPRsForWavesPerEU: 1
; NamedBarCnt: 0
; Occupancy: 16
; WaveLimiterHint : 0
; COMPUTE_PGM_RSRC2:SCRATCH_EN: 0
; COMPUTE_PGM_RSRC2:USER_SGPR: 2
; COMPUTE_PGM_RSRC2:TRAP_HANDLER: 0
; COMPUTE_PGM_RSRC2:TGID_X_EN: 1
; COMPUTE_PGM_RSRC2:TGID_Y_EN: 0
; COMPUTE_PGM_RSRC2:TGID_Z_EN: 0
; COMPUTE_PGM_RSRC2:TIDIG_COMP_CNT: 0
	.section	.text._ZN7rocprim17ROCPRIM_400000_NS6detail17trampoline_kernelINS0_13select_configILj256ELj13ELNS0_17block_load_methodE3ELS4_3ELS4_3ELNS0_20block_scan_algorithmE0ELj4294967295EEENS1_25partition_config_selectorILNS1_17partition_subalgoE3EjNS0_10empty_typeEbEEZZNS1_14partition_implILS8_3ELb0ES6_jNS0_17counting_iteratorIjlEEPS9_SE_NS0_5tupleIJPjSE_EEENSF_IJSE_SE_EEES9_SG_JZNS1_25segmented_radix_sort_implINS0_14default_configELb0EPKdPdPKlPlN2at6native12_GLOBAL__N_18offset_tEEE10hipError_tPvRmT1_PNSt15iterator_traitsISY_E10value_typeET2_T3_PNSZ_IS14_E10value_typeET4_jRbjT5_S1A_jjP12ihipStream_tbEUljE_EEESV_SW_SX_S14_S18_S1A_T6_T7_T9_mT8_S1C_bDpT10_ENKUlT_T0_E_clISt17integral_constantIbLb1EES1P_EEDaS1K_S1L_EUlS1K_E_NS1_11comp_targetILNS1_3genE0ELNS1_11target_archE4294967295ELNS1_3gpuE0ELNS1_3repE0EEENS1_30default_config_static_selectorELNS0_4arch9wavefront6targetE0EEEvSY_,"axG",@progbits,_ZN7rocprim17ROCPRIM_400000_NS6detail17trampoline_kernelINS0_13select_configILj256ELj13ELNS0_17block_load_methodE3ELS4_3ELS4_3ELNS0_20block_scan_algorithmE0ELj4294967295EEENS1_25partition_config_selectorILNS1_17partition_subalgoE3EjNS0_10empty_typeEbEEZZNS1_14partition_implILS8_3ELb0ES6_jNS0_17counting_iteratorIjlEEPS9_SE_NS0_5tupleIJPjSE_EEENSF_IJSE_SE_EEES9_SG_JZNS1_25segmented_radix_sort_implINS0_14default_configELb0EPKdPdPKlPlN2at6native12_GLOBAL__N_18offset_tEEE10hipError_tPvRmT1_PNSt15iterator_traitsISY_E10value_typeET2_T3_PNSZ_IS14_E10value_typeET4_jRbjT5_S1A_jjP12ihipStream_tbEUljE_EEESV_SW_SX_S14_S18_S1A_T6_T7_T9_mT8_S1C_bDpT10_ENKUlT_T0_E_clISt17integral_constantIbLb1EES1P_EEDaS1K_S1L_EUlS1K_E_NS1_11comp_targetILNS1_3genE0ELNS1_11target_archE4294967295ELNS1_3gpuE0ELNS1_3repE0EEENS1_30default_config_static_selectorELNS0_4arch9wavefront6targetE0EEEvSY_,comdat
	.globl	_ZN7rocprim17ROCPRIM_400000_NS6detail17trampoline_kernelINS0_13select_configILj256ELj13ELNS0_17block_load_methodE3ELS4_3ELS4_3ELNS0_20block_scan_algorithmE0ELj4294967295EEENS1_25partition_config_selectorILNS1_17partition_subalgoE3EjNS0_10empty_typeEbEEZZNS1_14partition_implILS8_3ELb0ES6_jNS0_17counting_iteratorIjlEEPS9_SE_NS0_5tupleIJPjSE_EEENSF_IJSE_SE_EEES9_SG_JZNS1_25segmented_radix_sort_implINS0_14default_configELb0EPKdPdPKlPlN2at6native12_GLOBAL__N_18offset_tEEE10hipError_tPvRmT1_PNSt15iterator_traitsISY_E10value_typeET2_T3_PNSZ_IS14_E10value_typeET4_jRbjT5_S1A_jjP12ihipStream_tbEUljE_EEESV_SW_SX_S14_S18_S1A_T6_T7_T9_mT8_S1C_bDpT10_ENKUlT_T0_E_clISt17integral_constantIbLb1EES1P_EEDaS1K_S1L_EUlS1K_E_NS1_11comp_targetILNS1_3genE0ELNS1_11target_archE4294967295ELNS1_3gpuE0ELNS1_3repE0EEENS1_30default_config_static_selectorELNS0_4arch9wavefront6targetE0EEEvSY_ ; -- Begin function _ZN7rocprim17ROCPRIM_400000_NS6detail17trampoline_kernelINS0_13select_configILj256ELj13ELNS0_17block_load_methodE3ELS4_3ELS4_3ELNS0_20block_scan_algorithmE0ELj4294967295EEENS1_25partition_config_selectorILNS1_17partition_subalgoE3EjNS0_10empty_typeEbEEZZNS1_14partition_implILS8_3ELb0ES6_jNS0_17counting_iteratorIjlEEPS9_SE_NS0_5tupleIJPjSE_EEENSF_IJSE_SE_EEES9_SG_JZNS1_25segmented_radix_sort_implINS0_14default_configELb0EPKdPdPKlPlN2at6native12_GLOBAL__N_18offset_tEEE10hipError_tPvRmT1_PNSt15iterator_traitsISY_E10value_typeET2_T3_PNSZ_IS14_E10value_typeET4_jRbjT5_S1A_jjP12ihipStream_tbEUljE_EEESV_SW_SX_S14_S18_S1A_T6_T7_T9_mT8_S1C_bDpT10_ENKUlT_T0_E_clISt17integral_constantIbLb1EES1P_EEDaS1K_S1L_EUlS1K_E_NS1_11comp_targetILNS1_3genE0ELNS1_11target_archE4294967295ELNS1_3gpuE0ELNS1_3repE0EEENS1_30default_config_static_selectorELNS0_4arch9wavefront6targetE0EEEvSY_
	.p2align	8
	.type	_ZN7rocprim17ROCPRIM_400000_NS6detail17trampoline_kernelINS0_13select_configILj256ELj13ELNS0_17block_load_methodE3ELS4_3ELS4_3ELNS0_20block_scan_algorithmE0ELj4294967295EEENS1_25partition_config_selectorILNS1_17partition_subalgoE3EjNS0_10empty_typeEbEEZZNS1_14partition_implILS8_3ELb0ES6_jNS0_17counting_iteratorIjlEEPS9_SE_NS0_5tupleIJPjSE_EEENSF_IJSE_SE_EEES9_SG_JZNS1_25segmented_radix_sort_implINS0_14default_configELb0EPKdPdPKlPlN2at6native12_GLOBAL__N_18offset_tEEE10hipError_tPvRmT1_PNSt15iterator_traitsISY_E10value_typeET2_T3_PNSZ_IS14_E10value_typeET4_jRbjT5_S1A_jjP12ihipStream_tbEUljE_EEESV_SW_SX_S14_S18_S1A_T6_T7_T9_mT8_S1C_bDpT10_ENKUlT_T0_E_clISt17integral_constantIbLb1EES1P_EEDaS1K_S1L_EUlS1K_E_NS1_11comp_targetILNS1_3genE0ELNS1_11target_archE4294967295ELNS1_3gpuE0ELNS1_3repE0EEENS1_30default_config_static_selectorELNS0_4arch9wavefront6targetE0EEEvSY_,@function
_ZN7rocprim17ROCPRIM_400000_NS6detail17trampoline_kernelINS0_13select_configILj256ELj13ELNS0_17block_load_methodE3ELS4_3ELS4_3ELNS0_20block_scan_algorithmE0ELj4294967295EEENS1_25partition_config_selectorILNS1_17partition_subalgoE3EjNS0_10empty_typeEbEEZZNS1_14partition_implILS8_3ELb0ES6_jNS0_17counting_iteratorIjlEEPS9_SE_NS0_5tupleIJPjSE_EEENSF_IJSE_SE_EEES9_SG_JZNS1_25segmented_radix_sort_implINS0_14default_configELb0EPKdPdPKlPlN2at6native12_GLOBAL__N_18offset_tEEE10hipError_tPvRmT1_PNSt15iterator_traitsISY_E10value_typeET2_T3_PNSZ_IS14_E10value_typeET4_jRbjT5_S1A_jjP12ihipStream_tbEUljE_EEESV_SW_SX_S14_S18_S1A_T6_T7_T9_mT8_S1C_bDpT10_ENKUlT_T0_E_clISt17integral_constantIbLb1EES1P_EEDaS1K_S1L_EUlS1K_E_NS1_11comp_targetILNS1_3genE0ELNS1_11target_archE4294967295ELNS1_3gpuE0ELNS1_3repE0EEENS1_30default_config_static_selectorELNS0_4arch9wavefront6targetE0EEEvSY_: ; @_ZN7rocprim17ROCPRIM_400000_NS6detail17trampoline_kernelINS0_13select_configILj256ELj13ELNS0_17block_load_methodE3ELS4_3ELS4_3ELNS0_20block_scan_algorithmE0ELj4294967295EEENS1_25partition_config_selectorILNS1_17partition_subalgoE3EjNS0_10empty_typeEbEEZZNS1_14partition_implILS8_3ELb0ES6_jNS0_17counting_iteratorIjlEEPS9_SE_NS0_5tupleIJPjSE_EEENSF_IJSE_SE_EEES9_SG_JZNS1_25segmented_radix_sort_implINS0_14default_configELb0EPKdPdPKlPlN2at6native12_GLOBAL__N_18offset_tEEE10hipError_tPvRmT1_PNSt15iterator_traitsISY_E10value_typeET2_T3_PNSZ_IS14_E10value_typeET4_jRbjT5_S1A_jjP12ihipStream_tbEUljE_EEESV_SW_SX_S14_S18_S1A_T6_T7_T9_mT8_S1C_bDpT10_ENKUlT_T0_E_clISt17integral_constantIbLb1EES1P_EEDaS1K_S1L_EUlS1K_E_NS1_11comp_targetILNS1_3genE0ELNS1_11target_archE4294967295ELNS1_3gpuE0ELNS1_3repE0EEENS1_30default_config_static_selectorELNS0_4arch9wavefront6targetE0EEEvSY_
; %bb.0:
	s_endpgm
	.section	.rodata,"a",@progbits
	.p2align	6, 0x0
	.amdhsa_kernel _ZN7rocprim17ROCPRIM_400000_NS6detail17trampoline_kernelINS0_13select_configILj256ELj13ELNS0_17block_load_methodE3ELS4_3ELS4_3ELNS0_20block_scan_algorithmE0ELj4294967295EEENS1_25partition_config_selectorILNS1_17partition_subalgoE3EjNS0_10empty_typeEbEEZZNS1_14partition_implILS8_3ELb0ES6_jNS0_17counting_iteratorIjlEEPS9_SE_NS0_5tupleIJPjSE_EEENSF_IJSE_SE_EEES9_SG_JZNS1_25segmented_radix_sort_implINS0_14default_configELb0EPKdPdPKlPlN2at6native12_GLOBAL__N_18offset_tEEE10hipError_tPvRmT1_PNSt15iterator_traitsISY_E10value_typeET2_T3_PNSZ_IS14_E10value_typeET4_jRbjT5_S1A_jjP12ihipStream_tbEUljE_EEESV_SW_SX_S14_S18_S1A_T6_T7_T9_mT8_S1C_bDpT10_ENKUlT_T0_E_clISt17integral_constantIbLb1EES1P_EEDaS1K_S1L_EUlS1K_E_NS1_11comp_targetILNS1_3genE0ELNS1_11target_archE4294967295ELNS1_3gpuE0ELNS1_3repE0EEENS1_30default_config_static_selectorELNS0_4arch9wavefront6targetE0EEEvSY_
		.amdhsa_group_segment_fixed_size 0
		.amdhsa_private_segment_fixed_size 0
		.amdhsa_kernarg_size 152
		.amdhsa_user_sgpr_count 2
		.amdhsa_user_sgpr_dispatch_ptr 0
		.amdhsa_user_sgpr_queue_ptr 0
		.amdhsa_user_sgpr_kernarg_segment_ptr 1
		.amdhsa_user_sgpr_dispatch_id 0
		.amdhsa_user_sgpr_kernarg_preload_length 0
		.amdhsa_user_sgpr_kernarg_preload_offset 0
		.amdhsa_user_sgpr_private_segment_size 0
		.amdhsa_wavefront_size32 1
		.amdhsa_uses_dynamic_stack 0
		.amdhsa_enable_private_segment 0
		.amdhsa_system_sgpr_workgroup_id_x 1
		.amdhsa_system_sgpr_workgroup_id_y 0
		.amdhsa_system_sgpr_workgroup_id_z 0
		.amdhsa_system_sgpr_workgroup_info 0
		.amdhsa_system_vgpr_workitem_id 0
		.amdhsa_next_free_vgpr 1
		.amdhsa_next_free_sgpr 1
		.amdhsa_named_barrier_count 0
		.amdhsa_reserve_vcc 0
		.amdhsa_float_round_mode_32 0
		.amdhsa_float_round_mode_16_64 0
		.amdhsa_float_denorm_mode_32 3
		.amdhsa_float_denorm_mode_16_64 3
		.amdhsa_fp16_overflow 0
		.amdhsa_memory_ordered 1
		.amdhsa_forward_progress 1
		.amdhsa_inst_pref_size 1
		.amdhsa_round_robin_scheduling 0
		.amdhsa_exception_fp_ieee_invalid_op 0
		.amdhsa_exception_fp_denorm_src 0
		.amdhsa_exception_fp_ieee_div_zero 0
		.amdhsa_exception_fp_ieee_overflow 0
		.amdhsa_exception_fp_ieee_underflow 0
		.amdhsa_exception_fp_ieee_inexact 0
		.amdhsa_exception_int_div_zero 0
	.end_amdhsa_kernel
	.section	.text._ZN7rocprim17ROCPRIM_400000_NS6detail17trampoline_kernelINS0_13select_configILj256ELj13ELNS0_17block_load_methodE3ELS4_3ELS4_3ELNS0_20block_scan_algorithmE0ELj4294967295EEENS1_25partition_config_selectorILNS1_17partition_subalgoE3EjNS0_10empty_typeEbEEZZNS1_14partition_implILS8_3ELb0ES6_jNS0_17counting_iteratorIjlEEPS9_SE_NS0_5tupleIJPjSE_EEENSF_IJSE_SE_EEES9_SG_JZNS1_25segmented_radix_sort_implINS0_14default_configELb0EPKdPdPKlPlN2at6native12_GLOBAL__N_18offset_tEEE10hipError_tPvRmT1_PNSt15iterator_traitsISY_E10value_typeET2_T3_PNSZ_IS14_E10value_typeET4_jRbjT5_S1A_jjP12ihipStream_tbEUljE_EEESV_SW_SX_S14_S18_S1A_T6_T7_T9_mT8_S1C_bDpT10_ENKUlT_T0_E_clISt17integral_constantIbLb1EES1P_EEDaS1K_S1L_EUlS1K_E_NS1_11comp_targetILNS1_3genE0ELNS1_11target_archE4294967295ELNS1_3gpuE0ELNS1_3repE0EEENS1_30default_config_static_selectorELNS0_4arch9wavefront6targetE0EEEvSY_,"axG",@progbits,_ZN7rocprim17ROCPRIM_400000_NS6detail17trampoline_kernelINS0_13select_configILj256ELj13ELNS0_17block_load_methodE3ELS4_3ELS4_3ELNS0_20block_scan_algorithmE0ELj4294967295EEENS1_25partition_config_selectorILNS1_17partition_subalgoE3EjNS0_10empty_typeEbEEZZNS1_14partition_implILS8_3ELb0ES6_jNS0_17counting_iteratorIjlEEPS9_SE_NS0_5tupleIJPjSE_EEENSF_IJSE_SE_EEES9_SG_JZNS1_25segmented_radix_sort_implINS0_14default_configELb0EPKdPdPKlPlN2at6native12_GLOBAL__N_18offset_tEEE10hipError_tPvRmT1_PNSt15iterator_traitsISY_E10value_typeET2_T3_PNSZ_IS14_E10value_typeET4_jRbjT5_S1A_jjP12ihipStream_tbEUljE_EEESV_SW_SX_S14_S18_S1A_T6_T7_T9_mT8_S1C_bDpT10_ENKUlT_T0_E_clISt17integral_constantIbLb1EES1P_EEDaS1K_S1L_EUlS1K_E_NS1_11comp_targetILNS1_3genE0ELNS1_11target_archE4294967295ELNS1_3gpuE0ELNS1_3repE0EEENS1_30default_config_static_selectorELNS0_4arch9wavefront6targetE0EEEvSY_,comdat
.Lfunc_end1191:
	.size	_ZN7rocprim17ROCPRIM_400000_NS6detail17trampoline_kernelINS0_13select_configILj256ELj13ELNS0_17block_load_methodE3ELS4_3ELS4_3ELNS0_20block_scan_algorithmE0ELj4294967295EEENS1_25partition_config_selectorILNS1_17partition_subalgoE3EjNS0_10empty_typeEbEEZZNS1_14partition_implILS8_3ELb0ES6_jNS0_17counting_iteratorIjlEEPS9_SE_NS0_5tupleIJPjSE_EEENSF_IJSE_SE_EEES9_SG_JZNS1_25segmented_radix_sort_implINS0_14default_configELb0EPKdPdPKlPlN2at6native12_GLOBAL__N_18offset_tEEE10hipError_tPvRmT1_PNSt15iterator_traitsISY_E10value_typeET2_T3_PNSZ_IS14_E10value_typeET4_jRbjT5_S1A_jjP12ihipStream_tbEUljE_EEESV_SW_SX_S14_S18_S1A_T6_T7_T9_mT8_S1C_bDpT10_ENKUlT_T0_E_clISt17integral_constantIbLb1EES1P_EEDaS1K_S1L_EUlS1K_E_NS1_11comp_targetILNS1_3genE0ELNS1_11target_archE4294967295ELNS1_3gpuE0ELNS1_3repE0EEENS1_30default_config_static_selectorELNS0_4arch9wavefront6targetE0EEEvSY_, .Lfunc_end1191-_ZN7rocprim17ROCPRIM_400000_NS6detail17trampoline_kernelINS0_13select_configILj256ELj13ELNS0_17block_load_methodE3ELS4_3ELS4_3ELNS0_20block_scan_algorithmE0ELj4294967295EEENS1_25partition_config_selectorILNS1_17partition_subalgoE3EjNS0_10empty_typeEbEEZZNS1_14partition_implILS8_3ELb0ES6_jNS0_17counting_iteratorIjlEEPS9_SE_NS0_5tupleIJPjSE_EEENSF_IJSE_SE_EEES9_SG_JZNS1_25segmented_radix_sort_implINS0_14default_configELb0EPKdPdPKlPlN2at6native12_GLOBAL__N_18offset_tEEE10hipError_tPvRmT1_PNSt15iterator_traitsISY_E10value_typeET2_T3_PNSZ_IS14_E10value_typeET4_jRbjT5_S1A_jjP12ihipStream_tbEUljE_EEESV_SW_SX_S14_S18_S1A_T6_T7_T9_mT8_S1C_bDpT10_ENKUlT_T0_E_clISt17integral_constantIbLb1EES1P_EEDaS1K_S1L_EUlS1K_E_NS1_11comp_targetILNS1_3genE0ELNS1_11target_archE4294967295ELNS1_3gpuE0ELNS1_3repE0EEENS1_30default_config_static_selectorELNS0_4arch9wavefront6targetE0EEEvSY_
                                        ; -- End function
	.set _ZN7rocprim17ROCPRIM_400000_NS6detail17trampoline_kernelINS0_13select_configILj256ELj13ELNS0_17block_load_methodE3ELS4_3ELS4_3ELNS0_20block_scan_algorithmE0ELj4294967295EEENS1_25partition_config_selectorILNS1_17partition_subalgoE3EjNS0_10empty_typeEbEEZZNS1_14partition_implILS8_3ELb0ES6_jNS0_17counting_iteratorIjlEEPS9_SE_NS0_5tupleIJPjSE_EEENSF_IJSE_SE_EEES9_SG_JZNS1_25segmented_radix_sort_implINS0_14default_configELb0EPKdPdPKlPlN2at6native12_GLOBAL__N_18offset_tEEE10hipError_tPvRmT1_PNSt15iterator_traitsISY_E10value_typeET2_T3_PNSZ_IS14_E10value_typeET4_jRbjT5_S1A_jjP12ihipStream_tbEUljE_EEESV_SW_SX_S14_S18_S1A_T6_T7_T9_mT8_S1C_bDpT10_ENKUlT_T0_E_clISt17integral_constantIbLb1EES1P_EEDaS1K_S1L_EUlS1K_E_NS1_11comp_targetILNS1_3genE0ELNS1_11target_archE4294967295ELNS1_3gpuE0ELNS1_3repE0EEENS1_30default_config_static_selectorELNS0_4arch9wavefront6targetE0EEEvSY_.num_vgpr, 0
	.set _ZN7rocprim17ROCPRIM_400000_NS6detail17trampoline_kernelINS0_13select_configILj256ELj13ELNS0_17block_load_methodE3ELS4_3ELS4_3ELNS0_20block_scan_algorithmE0ELj4294967295EEENS1_25partition_config_selectorILNS1_17partition_subalgoE3EjNS0_10empty_typeEbEEZZNS1_14partition_implILS8_3ELb0ES6_jNS0_17counting_iteratorIjlEEPS9_SE_NS0_5tupleIJPjSE_EEENSF_IJSE_SE_EEES9_SG_JZNS1_25segmented_radix_sort_implINS0_14default_configELb0EPKdPdPKlPlN2at6native12_GLOBAL__N_18offset_tEEE10hipError_tPvRmT1_PNSt15iterator_traitsISY_E10value_typeET2_T3_PNSZ_IS14_E10value_typeET4_jRbjT5_S1A_jjP12ihipStream_tbEUljE_EEESV_SW_SX_S14_S18_S1A_T6_T7_T9_mT8_S1C_bDpT10_ENKUlT_T0_E_clISt17integral_constantIbLb1EES1P_EEDaS1K_S1L_EUlS1K_E_NS1_11comp_targetILNS1_3genE0ELNS1_11target_archE4294967295ELNS1_3gpuE0ELNS1_3repE0EEENS1_30default_config_static_selectorELNS0_4arch9wavefront6targetE0EEEvSY_.num_agpr, 0
	.set _ZN7rocprim17ROCPRIM_400000_NS6detail17trampoline_kernelINS0_13select_configILj256ELj13ELNS0_17block_load_methodE3ELS4_3ELS4_3ELNS0_20block_scan_algorithmE0ELj4294967295EEENS1_25partition_config_selectorILNS1_17partition_subalgoE3EjNS0_10empty_typeEbEEZZNS1_14partition_implILS8_3ELb0ES6_jNS0_17counting_iteratorIjlEEPS9_SE_NS0_5tupleIJPjSE_EEENSF_IJSE_SE_EEES9_SG_JZNS1_25segmented_radix_sort_implINS0_14default_configELb0EPKdPdPKlPlN2at6native12_GLOBAL__N_18offset_tEEE10hipError_tPvRmT1_PNSt15iterator_traitsISY_E10value_typeET2_T3_PNSZ_IS14_E10value_typeET4_jRbjT5_S1A_jjP12ihipStream_tbEUljE_EEESV_SW_SX_S14_S18_S1A_T6_T7_T9_mT8_S1C_bDpT10_ENKUlT_T0_E_clISt17integral_constantIbLb1EES1P_EEDaS1K_S1L_EUlS1K_E_NS1_11comp_targetILNS1_3genE0ELNS1_11target_archE4294967295ELNS1_3gpuE0ELNS1_3repE0EEENS1_30default_config_static_selectorELNS0_4arch9wavefront6targetE0EEEvSY_.numbered_sgpr, 0
	.set _ZN7rocprim17ROCPRIM_400000_NS6detail17trampoline_kernelINS0_13select_configILj256ELj13ELNS0_17block_load_methodE3ELS4_3ELS4_3ELNS0_20block_scan_algorithmE0ELj4294967295EEENS1_25partition_config_selectorILNS1_17partition_subalgoE3EjNS0_10empty_typeEbEEZZNS1_14partition_implILS8_3ELb0ES6_jNS0_17counting_iteratorIjlEEPS9_SE_NS0_5tupleIJPjSE_EEENSF_IJSE_SE_EEES9_SG_JZNS1_25segmented_radix_sort_implINS0_14default_configELb0EPKdPdPKlPlN2at6native12_GLOBAL__N_18offset_tEEE10hipError_tPvRmT1_PNSt15iterator_traitsISY_E10value_typeET2_T3_PNSZ_IS14_E10value_typeET4_jRbjT5_S1A_jjP12ihipStream_tbEUljE_EEESV_SW_SX_S14_S18_S1A_T6_T7_T9_mT8_S1C_bDpT10_ENKUlT_T0_E_clISt17integral_constantIbLb1EES1P_EEDaS1K_S1L_EUlS1K_E_NS1_11comp_targetILNS1_3genE0ELNS1_11target_archE4294967295ELNS1_3gpuE0ELNS1_3repE0EEENS1_30default_config_static_selectorELNS0_4arch9wavefront6targetE0EEEvSY_.num_named_barrier, 0
	.set _ZN7rocprim17ROCPRIM_400000_NS6detail17trampoline_kernelINS0_13select_configILj256ELj13ELNS0_17block_load_methodE3ELS4_3ELS4_3ELNS0_20block_scan_algorithmE0ELj4294967295EEENS1_25partition_config_selectorILNS1_17partition_subalgoE3EjNS0_10empty_typeEbEEZZNS1_14partition_implILS8_3ELb0ES6_jNS0_17counting_iteratorIjlEEPS9_SE_NS0_5tupleIJPjSE_EEENSF_IJSE_SE_EEES9_SG_JZNS1_25segmented_radix_sort_implINS0_14default_configELb0EPKdPdPKlPlN2at6native12_GLOBAL__N_18offset_tEEE10hipError_tPvRmT1_PNSt15iterator_traitsISY_E10value_typeET2_T3_PNSZ_IS14_E10value_typeET4_jRbjT5_S1A_jjP12ihipStream_tbEUljE_EEESV_SW_SX_S14_S18_S1A_T6_T7_T9_mT8_S1C_bDpT10_ENKUlT_T0_E_clISt17integral_constantIbLb1EES1P_EEDaS1K_S1L_EUlS1K_E_NS1_11comp_targetILNS1_3genE0ELNS1_11target_archE4294967295ELNS1_3gpuE0ELNS1_3repE0EEENS1_30default_config_static_selectorELNS0_4arch9wavefront6targetE0EEEvSY_.private_seg_size, 0
	.set _ZN7rocprim17ROCPRIM_400000_NS6detail17trampoline_kernelINS0_13select_configILj256ELj13ELNS0_17block_load_methodE3ELS4_3ELS4_3ELNS0_20block_scan_algorithmE0ELj4294967295EEENS1_25partition_config_selectorILNS1_17partition_subalgoE3EjNS0_10empty_typeEbEEZZNS1_14partition_implILS8_3ELb0ES6_jNS0_17counting_iteratorIjlEEPS9_SE_NS0_5tupleIJPjSE_EEENSF_IJSE_SE_EEES9_SG_JZNS1_25segmented_radix_sort_implINS0_14default_configELb0EPKdPdPKlPlN2at6native12_GLOBAL__N_18offset_tEEE10hipError_tPvRmT1_PNSt15iterator_traitsISY_E10value_typeET2_T3_PNSZ_IS14_E10value_typeET4_jRbjT5_S1A_jjP12ihipStream_tbEUljE_EEESV_SW_SX_S14_S18_S1A_T6_T7_T9_mT8_S1C_bDpT10_ENKUlT_T0_E_clISt17integral_constantIbLb1EES1P_EEDaS1K_S1L_EUlS1K_E_NS1_11comp_targetILNS1_3genE0ELNS1_11target_archE4294967295ELNS1_3gpuE0ELNS1_3repE0EEENS1_30default_config_static_selectorELNS0_4arch9wavefront6targetE0EEEvSY_.uses_vcc, 0
	.set _ZN7rocprim17ROCPRIM_400000_NS6detail17trampoline_kernelINS0_13select_configILj256ELj13ELNS0_17block_load_methodE3ELS4_3ELS4_3ELNS0_20block_scan_algorithmE0ELj4294967295EEENS1_25partition_config_selectorILNS1_17partition_subalgoE3EjNS0_10empty_typeEbEEZZNS1_14partition_implILS8_3ELb0ES6_jNS0_17counting_iteratorIjlEEPS9_SE_NS0_5tupleIJPjSE_EEENSF_IJSE_SE_EEES9_SG_JZNS1_25segmented_radix_sort_implINS0_14default_configELb0EPKdPdPKlPlN2at6native12_GLOBAL__N_18offset_tEEE10hipError_tPvRmT1_PNSt15iterator_traitsISY_E10value_typeET2_T3_PNSZ_IS14_E10value_typeET4_jRbjT5_S1A_jjP12ihipStream_tbEUljE_EEESV_SW_SX_S14_S18_S1A_T6_T7_T9_mT8_S1C_bDpT10_ENKUlT_T0_E_clISt17integral_constantIbLb1EES1P_EEDaS1K_S1L_EUlS1K_E_NS1_11comp_targetILNS1_3genE0ELNS1_11target_archE4294967295ELNS1_3gpuE0ELNS1_3repE0EEENS1_30default_config_static_selectorELNS0_4arch9wavefront6targetE0EEEvSY_.uses_flat_scratch, 0
	.set _ZN7rocprim17ROCPRIM_400000_NS6detail17trampoline_kernelINS0_13select_configILj256ELj13ELNS0_17block_load_methodE3ELS4_3ELS4_3ELNS0_20block_scan_algorithmE0ELj4294967295EEENS1_25partition_config_selectorILNS1_17partition_subalgoE3EjNS0_10empty_typeEbEEZZNS1_14partition_implILS8_3ELb0ES6_jNS0_17counting_iteratorIjlEEPS9_SE_NS0_5tupleIJPjSE_EEENSF_IJSE_SE_EEES9_SG_JZNS1_25segmented_radix_sort_implINS0_14default_configELb0EPKdPdPKlPlN2at6native12_GLOBAL__N_18offset_tEEE10hipError_tPvRmT1_PNSt15iterator_traitsISY_E10value_typeET2_T3_PNSZ_IS14_E10value_typeET4_jRbjT5_S1A_jjP12ihipStream_tbEUljE_EEESV_SW_SX_S14_S18_S1A_T6_T7_T9_mT8_S1C_bDpT10_ENKUlT_T0_E_clISt17integral_constantIbLb1EES1P_EEDaS1K_S1L_EUlS1K_E_NS1_11comp_targetILNS1_3genE0ELNS1_11target_archE4294967295ELNS1_3gpuE0ELNS1_3repE0EEENS1_30default_config_static_selectorELNS0_4arch9wavefront6targetE0EEEvSY_.has_dyn_sized_stack, 0
	.set _ZN7rocprim17ROCPRIM_400000_NS6detail17trampoline_kernelINS0_13select_configILj256ELj13ELNS0_17block_load_methodE3ELS4_3ELS4_3ELNS0_20block_scan_algorithmE0ELj4294967295EEENS1_25partition_config_selectorILNS1_17partition_subalgoE3EjNS0_10empty_typeEbEEZZNS1_14partition_implILS8_3ELb0ES6_jNS0_17counting_iteratorIjlEEPS9_SE_NS0_5tupleIJPjSE_EEENSF_IJSE_SE_EEES9_SG_JZNS1_25segmented_radix_sort_implINS0_14default_configELb0EPKdPdPKlPlN2at6native12_GLOBAL__N_18offset_tEEE10hipError_tPvRmT1_PNSt15iterator_traitsISY_E10value_typeET2_T3_PNSZ_IS14_E10value_typeET4_jRbjT5_S1A_jjP12ihipStream_tbEUljE_EEESV_SW_SX_S14_S18_S1A_T6_T7_T9_mT8_S1C_bDpT10_ENKUlT_T0_E_clISt17integral_constantIbLb1EES1P_EEDaS1K_S1L_EUlS1K_E_NS1_11comp_targetILNS1_3genE0ELNS1_11target_archE4294967295ELNS1_3gpuE0ELNS1_3repE0EEENS1_30default_config_static_selectorELNS0_4arch9wavefront6targetE0EEEvSY_.has_recursion, 0
	.set _ZN7rocprim17ROCPRIM_400000_NS6detail17trampoline_kernelINS0_13select_configILj256ELj13ELNS0_17block_load_methodE3ELS4_3ELS4_3ELNS0_20block_scan_algorithmE0ELj4294967295EEENS1_25partition_config_selectorILNS1_17partition_subalgoE3EjNS0_10empty_typeEbEEZZNS1_14partition_implILS8_3ELb0ES6_jNS0_17counting_iteratorIjlEEPS9_SE_NS0_5tupleIJPjSE_EEENSF_IJSE_SE_EEES9_SG_JZNS1_25segmented_radix_sort_implINS0_14default_configELb0EPKdPdPKlPlN2at6native12_GLOBAL__N_18offset_tEEE10hipError_tPvRmT1_PNSt15iterator_traitsISY_E10value_typeET2_T3_PNSZ_IS14_E10value_typeET4_jRbjT5_S1A_jjP12ihipStream_tbEUljE_EEESV_SW_SX_S14_S18_S1A_T6_T7_T9_mT8_S1C_bDpT10_ENKUlT_T0_E_clISt17integral_constantIbLb1EES1P_EEDaS1K_S1L_EUlS1K_E_NS1_11comp_targetILNS1_3genE0ELNS1_11target_archE4294967295ELNS1_3gpuE0ELNS1_3repE0EEENS1_30default_config_static_selectorELNS0_4arch9wavefront6targetE0EEEvSY_.has_indirect_call, 0
	.section	.AMDGPU.csdata,"",@progbits
; Kernel info:
; codeLenInByte = 4
; TotalNumSgprs: 0
; NumVgprs: 0
; ScratchSize: 0
; MemoryBound: 0
; FloatMode: 240
; IeeeMode: 1
; LDSByteSize: 0 bytes/workgroup (compile time only)
; SGPRBlocks: 0
; VGPRBlocks: 0
; NumSGPRsForWavesPerEU: 1
; NumVGPRsForWavesPerEU: 1
; NamedBarCnt: 0
; Occupancy: 16
; WaveLimiterHint : 0
; COMPUTE_PGM_RSRC2:SCRATCH_EN: 0
; COMPUTE_PGM_RSRC2:USER_SGPR: 2
; COMPUTE_PGM_RSRC2:TRAP_HANDLER: 0
; COMPUTE_PGM_RSRC2:TGID_X_EN: 1
; COMPUTE_PGM_RSRC2:TGID_Y_EN: 0
; COMPUTE_PGM_RSRC2:TGID_Z_EN: 0
; COMPUTE_PGM_RSRC2:TIDIG_COMP_CNT: 0
	.section	.text._ZN7rocprim17ROCPRIM_400000_NS6detail17trampoline_kernelINS0_13select_configILj256ELj13ELNS0_17block_load_methodE3ELS4_3ELS4_3ELNS0_20block_scan_algorithmE0ELj4294967295EEENS1_25partition_config_selectorILNS1_17partition_subalgoE3EjNS0_10empty_typeEbEEZZNS1_14partition_implILS8_3ELb0ES6_jNS0_17counting_iteratorIjlEEPS9_SE_NS0_5tupleIJPjSE_EEENSF_IJSE_SE_EEES9_SG_JZNS1_25segmented_radix_sort_implINS0_14default_configELb0EPKdPdPKlPlN2at6native12_GLOBAL__N_18offset_tEEE10hipError_tPvRmT1_PNSt15iterator_traitsISY_E10value_typeET2_T3_PNSZ_IS14_E10value_typeET4_jRbjT5_S1A_jjP12ihipStream_tbEUljE_EEESV_SW_SX_S14_S18_S1A_T6_T7_T9_mT8_S1C_bDpT10_ENKUlT_T0_E_clISt17integral_constantIbLb1EES1P_EEDaS1K_S1L_EUlS1K_E_NS1_11comp_targetILNS1_3genE5ELNS1_11target_archE942ELNS1_3gpuE9ELNS1_3repE0EEENS1_30default_config_static_selectorELNS0_4arch9wavefront6targetE0EEEvSY_,"axG",@progbits,_ZN7rocprim17ROCPRIM_400000_NS6detail17trampoline_kernelINS0_13select_configILj256ELj13ELNS0_17block_load_methodE3ELS4_3ELS4_3ELNS0_20block_scan_algorithmE0ELj4294967295EEENS1_25partition_config_selectorILNS1_17partition_subalgoE3EjNS0_10empty_typeEbEEZZNS1_14partition_implILS8_3ELb0ES6_jNS0_17counting_iteratorIjlEEPS9_SE_NS0_5tupleIJPjSE_EEENSF_IJSE_SE_EEES9_SG_JZNS1_25segmented_radix_sort_implINS0_14default_configELb0EPKdPdPKlPlN2at6native12_GLOBAL__N_18offset_tEEE10hipError_tPvRmT1_PNSt15iterator_traitsISY_E10value_typeET2_T3_PNSZ_IS14_E10value_typeET4_jRbjT5_S1A_jjP12ihipStream_tbEUljE_EEESV_SW_SX_S14_S18_S1A_T6_T7_T9_mT8_S1C_bDpT10_ENKUlT_T0_E_clISt17integral_constantIbLb1EES1P_EEDaS1K_S1L_EUlS1K_E_NS1_11comp_targetILNS1_3genE5ELNS1_11target_archE942ELNS1_3gpuE9ELNS1_3repE0EEENS1_30default_config_static_selectorELNS0_4arch9wavefront6targetE0EEEvSY_,comdat
	.globl	_ZN7rocprim17ROCPRIM_400000_NS6detail17trampoline_kernelINS0_13select_configILj256ELj13ELNS0_17block_load_methodE3ELS4_3ELS4_3ELNS0_20block_scan_algorithmE0ELj4294967295EEENS1_25partition_config_selectorILNS1_17partition_subalgoE3EjNS0_10empty_typeEbEEZZNS1_14partition_implILS8_3ELb0ES6_jNS0_17counting_iteratorIjlEEPS9_SE_NS0_5tupleIJPjSE_EEENSF_IJSE_SE_EEES9_SG_JZNS1_25segmented_radix_sort_implINS0_14default_configELb0EPKdPdPKlPlN2at6native12_GLOBAL__N_18offset_tEEE10hipError_tPvRmT1_PNSt15iterator_traitsISY_E10value_typeET2_T3_PNSZ_IS14_E10value_typeET4_jRbjT5_S1A_jjP12ihipStream_tbEUljE_EEESV_SW_SX_S14_S18_S1A_T6_T7_T9_mT8_S1C_bDpT10_ENKUlT_T0_E_clISt17integral_constantIbLb1EES1P_EEDaS1K_S1L_EUlS1K_E_NS1_11comp_targetILNS1_3genE5ELNS1_11target_archE942ELNS1_3gpuE9ELNS1_3repE0EEENS1_30default_config_static_selectorELNS0_4arch9wavefront6targetE0EEEvSY_ ; -- Begin function _ZN7rocprim17ROCPRIM_400000_NS6detail17trampoline_kernelINS0_13select_configILj256ELj13ELNS0_17block_load_methodE3ELS4_3ELS4_3ELNS0_20block_scan_algorithmE0ELj4294967295EEENS1_25partition_config_selectorILNS1_17partition_subalgoE3EjNS0_10empty_typeEbEEZZNS1_14partition_implILS8_3ELb0ES6_jNS0_17counting_iteratorIjlEEPS9_SE_NS0_5tupleIJPjSE_EEENSF_IJSE_SE_EEES9_SG_JZNS1_25segmented_radix_sort_implINS0_14default_configELb0EPKdPdPKlPlN2at6native12_GLOBAL__N_18offset_tEEE10hipError_tPvRmT1_PNSt15iterator_traitsISY_E10value_typeET2_T3_PNSZ_IS14_E10value_typeET4_jRbjT5_S1A_jjP12ihipStream_tbEUljE_EEESV_SW_SX_S14_S18_S1A_T6_T7_T9_mT8_S1C_bDpT10_ENKUlT_T0_E_clISt17integral_constantIbLb1EES1P_EEDaS1K_S1L_EUlS1K_E_NS1_11comp_targetILNS1_3genE5ELNS1_11target_archE942ELNS1_3gpuE9ELNS1_3repE0EEENS1_30default_config_static_selectorELNS0_4arch9wavefront6targetE0EEEvSY_
	.p2align	8
	.type	_ZN7rocprim17ROCPRIM_400000_NS6detail17trampoline_kernelINS0_13select_configILj256ELj13ELNS0_17block_load_methodE3ELS4_3ELS4_3ELNS0_20block_scan_algorithmE0ELj4294967295EEENS1_25partition_config_selectorILNS1_17partition_subalgoE3EjNS0_10empty_typeEbEEZZNS1_14partition_implILS8_3ELb0ES6_jNS0_17counting_iteratorIjlEEPS9_SE_NS0_5tupleIJPjSE_EEENSF_IJSE_SE_EEES9_SG_JZNS1_25segmented_radix_sort_implINS0_14default_configELb0EPKdPdPKlPlN2at6native12_GLOBAL__N_18offset_tEEE10hipError_tPvRmT1_PNSt15iterator_traitsISY_E10value_typeET2_T3_PNSZ_IS14_E10value_typeET4_jRbjT5_S1A_jjP12ihipStream_tbEUljE_EEESV_SW_SX_S14_S18_S1A_T6_T7_T9_mT8_S1C_bDpT10_ENKUlT_T0_E_clISt17integral_constantIbLb1EES1P_EEDaS1K_S1L_EUlS1K_E_NS1_11comp_targetILNS1_3genE5ELNS1_11target_archE942ELNS1_3gpuE9ELNS1_3repE0EEENS1_30default_config_static_selectorELNS0_4arch9wavefront6targetE0EEEvSY_,@function
_ZN7rocprim17ROCPRIM_400000_NS6detail17trampoline_kernelINS0_13select_configILj256ELj13ELNS0_17block_load_methodE3ELS4_3ELS4_3ELNS0_20block_scan_algorithmE0ELj4294967295EEENS1_25partition_config_selectorILNS1_17partition_subalgoE3EjNS0_10empty_typeEbEEZZNS1_14partition_implILS8_3ELb0ES6_jNS0_17counting_iteratorIjlEEPS9_SE_NS0_5tupleIJPjSE_EEENSF_IJSE_SE_EEES9_SG_JZNS1_25segmented_radix_sort_implINS0_14default_configELb0EPKdPdPKlPlN2at6native12_GLOBAL__N_18offset_tEEE10hipError_tPvRmT1_PNSt15iterator_traitsISY_E10value_typeET2_T3_PNSZ_IS14_E10value_typeET4_jRbjT5_S1A_jjP12ihipStream_tbEUljE_EEESV_SW_SX_S14_S18_S1A_T6_T7_T9_mT8_S1C_bDpT10_ENKUlT_T0_E_clISt17integral_constantIbLb1EES1P_EEDaS1K_S1L_EUlS1K_E_NS1_11comp_targetILNS1_3genE5ELNS1_11target_archE942ELNS1_3gpuE9ELNS1_3repE0EEENS1_30default_config_static_selectorELNS0_4arch9wavefront6targetE0EEEvSY_: ; @_ZN7rocprim17ROCPRIM_400000_NS6detail17trampoline_kernelINS0_13select_configILj256ELj13ELNS0_17block_load_methodE3ELS4_3ELS4_3ELNS0_20block_scan_algorithmE0ELj4294967295EEENS1_25partition_config_selectorILNS1_17partition_subalgoE3EjNS0_10empty_typeEbEEZZNS1_14partition_implILS8_3ELb0ES6_jNS0_17counting_iteratorIjlEEPS9_SE_NS0_5tupleIJPjSE_EEENSF_IJSE_SE_EEES9_SG_JZNS1_25segmented_radix_sort_implINS0_14default_configELb0EPKdPdPKlPlN2at6native12_GLOBAL__N_18offset_tEEE10hipError_tPvRmT1_PNSt15iterator_traitsISY_E10value_typeET2_T3_PNSZ_IS14_E10value_typeET4_jRbjT5_S1A_jjP12ihipStream_tbEUljE_EEESV_SW_SX_S14_S18_S1A_T6_T7_T9_mT8_S1C_bDpT10_ENKUlT_T0_E_clISt17integral_constantIbLb1EES1P_EEDaS1K_S1L_EUlS1K_E_NS1_11comp_targetILNS1_3genE5ELNS1_11target_archE942ELNS1_3gpuE9ELNS1_3repE0EEENS1_30default_config_static_selectorELNS0_4arch9wavefront6targetE0EEEvSY_
; %bb.0:
	.section	.rodata,"a",@progbits
	.p2align	6, 0x0
	.amdhsa_kernel _ZN7rocprim17ROCPRIM_400000_NS6detail17trampoline_kernelINS0_13select_configILj256ELj13ELNS0_17block_load_methodE3ELS4_3ELS4_3ELNS0_20block_scan_algorithmE0ELj4294967295EEENS1_25partition_config_selectorILNS1_17partition_subalgoE3EjNS0_10empty_typeEbEEZZNS1_14partition_implILS8_3ELb0ES6_jNS0_17counting_iteratorIjlEEPS9_SE_NS0_5tupleIJPjSE_EEENSF_IJSE_SE_EEES9_SG_JZNS1_25segmented_radix_sort_implINS0_14default_configELb0EPKdPdPKlPlN2at6native12_GLOBAL__N_18offset_tEEE10hipError_tPvRmT1_PNSt15iterator_traitsISY_E10value_typeET2_T3_PNSZ_IS14_E10value_typeET4_jRbjT5_S1A_jjP12ihipStream_tbEUljE_EEESV_SW_SX_S14_S18_S1A_T6_T7_T9_mT8_S1C_bDpT10_ENKUlT_T0_E_clISt17integral_constantIbLb1EES1P_EEDaS1K_S1L_EUlS1K_E_NS1_11comp_targetILNS1_3genE5ELNS1_11target_archE942ELNS1_3gpuE9ELNS1_3repE0EEENS1_30default_config_static_selectorELNS0_4arch9wavefront6targetE0EEEvSY_
		.amdhsa_group_segment_fixed_size 0
		.amdhsa_private_segment_fixed_size 0
		.amdhsa_kernarg_size 152
		.amdhsa_user_sgpr_count 2
		.amdhsa_user_sgpr_dispatch_ptr 0
		.amdhsa_user_sgpr_queue_ptr 0
		.amdhsa_user_sgpr_kernarg_segment_ptr 1
		.amdhsa_user_sgpr_dispatch_id 0
		.amdhsa_user_sgpr_kernarg_preload_length 0
		.amdhsa_user_sgpr_kernarg_preload_offset 0
		.amdhsa_user_sgpr_private_segment_size 0
		.amdhsa_wavefront_size32 1
		.amdhsa_uses_dynamic_stack 0
		.amdhsa_enable_private_segment 0
		.amdhsa_system_sgpr_workgroup_id_x 1
		.amdhsa_system_sgpr_workgroup_id_y 0
		.amdhsa_system_sgpr_workgroup_id_z 0
		.amdhsa_system_sgpr_workgroup_info 0
		.amdhsa_system_vgpr_workitem_id 0
		.amdhsa_next_free_vgpr 1
		.amdhsa_next_free_sgpr 1
		.amdhsa_named_barrier_count 0
		.amdhsa_reserve_vcc 0
		.amdhsa_float_round_mode_32 0
		.amdhsa_float_round_mode_16_64 0
		.amdhsa_float_denorm_mode_32 3
		.amdhsa_float_denorm_mode_16_64 3
		.amdhsa_fp16_overflow 0
		.amdhsa_memory_ordered 1
		.amdhsa_forward_progress 1
		.amdhsa_inst_pref_size 0
		.amdhsa_round_robin_scheduling 0
		.amdhsa_exception_fp_ieee_invalid_op 0
		.amdhsa_exception_fp_denorm_src 0
		.amdhsa_exception_fp_ieee_div_zero 0
		.amdhsa_exception_fp_ieee_overflow 0
		.amdhsa_exception_fp_ieee_underflow 0
		.amdhsa_exception_fp_ieee_inexact 0
		.amdhsa_exception_int_div_zero 0
	.end_amdhsa_kernel
	.section	.text._ZN7rocprim17ROCPRIM_400000_NS6detail17trampoline_kernelINS0_13select_configILj256ELj13ELNS0_17block_load_methodE3ELS4_3ELS4_3ELNS0_20block_scan_algorithmE0ELj4294967295EEENS1_25partition_config_selectorILNS1_17partition_subalgoE3EjNS0_10empty_typeEbEEZZNS1_14partition_implILS8_3ELb0ES6_jNS0_17counting_iteratorIjlEEPS9_SE_NS0_5tupleIJPjSE_EEENSF_IJSE_SE_EEES9_SG_JZNS1_25segmented_radix_sort_implINS0_14default_configELb0EPKdPdPKlPlN2at6native12_GLOBAL__N_18offset_tEEE10hipError_tPvRmT1_PNSt15iterator_traitsISY_E10value_typeET2_T3_PNSZ_IS14_E10value_typeET4_jRbjT5_S1A_jjP12ihipStream_tbEUljE_EEESV_SW_SX_S14_S18_S1A_T6_T7_T9_mT8_S1C_bDpT10_ENKUlT_T0_E_clISt17integral_constantIbLb1EES1P_EEDaS1K_S1L_EUlS1K_E_NS1_11comp_targetILNS1_3genE5ELNS1_11target_archE942ELNS1_3gpuE9ELNS1_3repE0EEENS1_30default_config_static_selectorELNS0_4arch9wavefront6targetE0EEEvSY_,"axG",@progbits,_ZN7rocprim17ROCPRIM_400000_NS6detail17trampoline_kernelINS0_13select_configILj256ELj13ELNS0_17block_load_methodE3ELS4_3ELS4_3ELNS0_20block_scan_algorithmE0ELj4294967295EEENS1_25partition_config_selectorILNS1_17partition_subalgoE3EjNS0_10empty_typeEbEEZZNS1_14partition_implILS8_3ELb0ES6_jNS0_17counting_iteratorIjlEEPS9_SE_NS0_5tupleIJPjSE_EEENSF_IJSE_SE_EEES9_SG_JZNS1_25segmented_radix_sort_implINS0_14default_configELb0EPKdPdPKlPlN2at6native12_GLOBAL__N_18offset_tEEE10hipError_tPvRmT1_PNSt15iterator_traitsISY_E10value_typeET2_T3_PNSZ_IS14_E10value_typeET4_jRbjT5_S1A_jjP12ihipStream_tbEUljE_EEESV_SW_SX_S14_S18_S1A_T6_T7_T9_mT8_S1C_bDpT10_ENKUlT_T0_E_clISt17integral_constantIbLb1EES1P_EEDaS1K_S1L_EUlS1K_E_NS1_11comp_targetILNS1_3genE5ELNS1_11target_archE942ELNS1_3gpuE9ELNS1_3repE0EEENS1_30default_config_static_selectorELNS0_4arch9wavefront6targetE0EEEvSY_,comdat
.Lfunc_end1192:
	.size	_ZN7rocprim17ROCPRIM_400000_NS6detail17trampoline_kernelINS0_13select_configILj256ELj13ELNS0_17block_load_methodE3ELS4_3ELS4_3ELNS0_20block_scan_algorithmE0ELj4294967295EEENS1_25partition_config_selectorILNS1_17partition_subalgoE3EjNS0_10empty_typeEbEEZZNS1_14partition_implILS8_3ELb0ES6_jNS0_17counting_iteratorIjlEEPS9_SE_NS0_5tupleIJPjSE_EEENSF_IJSE_SE_EEES9_SG_JZNS1_25segmented_radix_sort_implINS0_14default_configELb0EPKdPdPKlPlN2at6native12_GLOBAL__N_18offset_tEEE10hipError_tPvRmT1_PNSt15iterator_traitsISY_E10value_typeET2_T3_PNSZ_IS14_E10value_typeET4_jRbjT5_S1A_jjP12ihipStream_tbEUljE_EEESV_SW_SX_S14_S18_S1A_T6_T7_T9_mT8_S1C_bDpT10_ENKUlT_T0_E_clISt17integral_constantIbLb1EES1P_EEDaS1K_S1L_EUlS1K_E_NS1_11comp_targetILNS1_3genE5ELNS1_11target_archE942ELNS1_3gpuE9ELNS1_3repE0EEENS1_30default_config_static_selectorELNS0_4arch9wavefront6targetE0EEEvSY_, .Lfunc_end1192-_ZN7rocprim17ROCPRIM_400000_NS6detail17trampoline_kernelINS0_13select_configILj256ELj13ELNS0_17block_load_methodE3ELS4_3ELS4_3ELNS0_20block_scan_algorithmE0ELj4294967295EEENS1_25partition_config_selectorILNS1_17partition_subalgoE3EjNS0_10empty_typeEbEEZZNS1_14partition_implILS8_3ELb0ES6_jNS0_17counting_iteratorIjlEEPS9_SE_NS0_5tupleIJPjSE_EEENSF_IJSE_SE_EEES9_SG_JZNS1_25segmented_radix_sort_implINS0_14default_configELb0EPKdPdPKlPlN2at6native12_GLOBAL__N_18offset_tEEE10hipError_tPvRmT1_PNSt15iterator_traitsISY_E10value_typeET2_T3_PNSZ_IS14_E10value_typeET4_jRbjT5_S1A_jjP12ihipStream_tbEUljE_EEESV_SW_SX_S14_S18_S1A_T6_T7_T9_mT8_S1C_bDpT10_ENKUlT_T0_E_clISt17integral_constantIbLb1EES1P_EEDaS1K_S1L_EUlS1K_E_NS1_11comp_targetILNS1_3genE5ELNS1_11target_archE942ELNS1_3gpuE9ELNS1_3repE0EEENS1_30default_config_static_selectorELNS0_4arch9wavefront6targetE0EEEvSY_
                                        ; -- End function
	.set _ZN7rocprim17ROCPRIM_400000_NS6detail17trampoline_kernelINS0_13select_configILj256ELj13ELNS0_17block_load_methodE3ELS4_3ELS4_3ELNS0_20block_scan_algorithmE0ELj4294967295EEENS1_25partition_config_selectorILNS1_17partition_subalgoE3EjNS0_10empty_typeEbEEZZNS1_14partition_implILS8_3ELb0ES6_jNS0_17counting_iteratorIjlEEPS9_SE_NS0_5tupleIJPjSE_EEENSF_IJSE_SE_EEES9_SG_JZNS1_25segmented_radix_sort_implINS0_14default_configELb0EPKdPdPKlPlN2at6native12_GLOBAL__N_18offset_tEEE10hipError_tPvRmT1_PNSt15iterator_traitsISY_E10value_typeET2_T3_PNSZ_IS14_E10value_typeET4_jRbjT5_S1A_jjP12ihipStream_tbEUljE_EEESV_SW_SX_S14_S18_S1A_T6_T7_T9_mT8_S1C_bDpT10_ENKUlT_T0_E_clISt17integral_constantIbLb1EES1P_EEDaS1K_S1L_EUlS1K_E_NS1_11comp_targetILNS1_3genE5ELNS1_11target_archE942ELNS1_3gpuE9ELNS1_3repE0EEENS1_30default_config_static_selectorELNS0_4arch9wavefront6targetE0EEEvSY_.num_vgpr, 0
	.set _ZN7rocprim17ROCPRIM_400000_NS6detail17trampoline_kernelINS0_13select_configILj256ELj13ELNS0_17block_load_methodE3ELS4_3ELS4_3ELNS0_20block_scan_algorithmE0ELj4294967295EEENS1_25partition_config_selectorILNS1_17partition_subalgoE3EjNS0_10empty_typeEbEEZZNS1_14partition_implILS8_3ELb0ES6_jNS0_17counting_iteratorIjlEEPS9_SE_NS0_5tupleIJPjSE_EEENSF_IJSE_SE_EEES9_SG_JZNS1_25segmented_radix_sort_implINS0_14default_configELb0EPKdPdPKlPlN2at6native12_GLOBAL__N_18offset_tEEE10hipError_tPvRmT1_PNSt15iterator_traitsISY_E10value_typeET2_T3_PNSZ_IS14_E10value_typeET4_jRbjT5_S1A_jjP12ihipStream_tbEUljE_EEESV_SW_SX_S14_S18_S1A_T6_T7_T9_mT8_S1C_bDpT10_ENKUlT_T0_E_clISt17integral_constantIbLb1EES1P_EEDaS1K_S1L_EUlS1K_E_NS1_11comp_targetILNS1_3genE5ELNS1_11target_archE942ELNS1_3gpuE9ELNS1_3repE0EEENS1_30default_config_static_selectorELNS0_4arch9wavefront6targetE0EEEvSY_.num_agpr, 0
	.set _ZN7rocprim17ROCPRIM_400000_NS6detail17trampoline_kernelINS0_13select_configILj256ELj13ELNS0_17block_load_methodE3ELS4_3ELS4_3ELNS0_20block_scan_algorithmE0ELj4294967295EEENS1_25partition_config_selectorILNS1_17partition_subalgoE3EjNS0_10empty_typeEbEEZZNS1_14partition_implILS8_3ELb0ES6_jNS0_17counting_iteratorIjlEEPS9_SE_NS0_5tupleIJPjSE_EEENSF_IJSE_SE_EEES9_SG_JZNS1_25segmented_radix_sort_implINS0_14default_configELb0EPKdPdPKlPlN2at6native12_GLOBAL__N_18offset_tEEE10hipError_tPvRmT1_PNSt15iterator_traitsISY_E10value_typeET2_T3_PNSZ_IS14_E10value_typeET4_jRbjT5_S1A_jjP12ihipStream_tbEUljE_EEESV_SW_SX_S14_S18_S1A_T6_T7_T9_mT8_S1C_bDpT10_ENKUlT_T0_E_clISt17integral_constantIbLb1EES1P_EEDaS1K_S1L_EUlS1K_E_NS1_11comp_targetILNS1_3genE5ELNS1_11target_archE942ELNS1_3gpuE9ELNS1_3repE0EEENS1_30default_config_static_selectorELNS0_4arch9wavefront6targetE0EEEvSY_.numbered_sgpr, 0
	.set _ZN7rocprim17ROCPRIM_400000_NS6detail17trampoline_kernelINS0_13select_configILj256ELj13ELNS0_17block_load_methodE3ELS4_3ELS4_3ELNS0_20block_scan_algorithmE0ELj4294967295EEENS1_25partition_config_selectorILNS1_17partition_subalgoE3EjNS0_10empty_typeEbEEZZNS1_14partition_implILS8_3ELb0ES6_jNS0_17counting_iteratorIjlEEPS9_SE_NS0_5tupleIJPjSE_EEENSF_IJSE_SE_EEES9_SG_JZNS1_25segmented_radix_sort_implINS0_14default_configELb0EPKdPdPKlPlN2at6native12_GLOBAL__N_18offset_tEEE10hipError_tPvRmT1_PNSt15iterator_traitsISY_E10value_typeET2_T3_PNSZ_IS14_E10value_typeET4_jRbjT5_S1A_jjP12ihipStream_tbEUljE_EEESV_SW_SX_S14_S18_S1A_T6_T7_T9_mT8_S1C_bDpT10_ENKUlT_T0_E_clISt17integral_constantIbLb1EES1P_EEDaS1K_S1L_EUlS1K_E_NS1_11comp_targetILNS1_3genE5ELNS1_11target_archE942ELNS1_3gpuE9ELNS1_3repE0EEENS1_30default_config_static_selectorELNS0_4arch9wavefront6targetE0EEEvSY_.num_named_barrier, 0
	.set _ZN7rocprim17ROCPRIM_400000_NS6detail17trampoline_kernelINS0_13select_configILj256ELj13ELNS0_17block_load_methodE3ELS4_3ELS4_3ELNS0_20block_scan_algorithmE0ELj4294967295EEENS1_25partition_config_selectorILNS1_17partition_subalgoE3EjNS0_10empty_typeEbEEZZNS1_14partition_implILS8_3ELb0ES6_jNS0_17counting_iteratorIjlEEPS9_SE_NS0_5tupleIJPjSE_EEENSF_IJSE_SE_EEES9_SG_JZNS1_25segmented_radix_sort_implINS0_14default_configELb0EPKdPdPKlPlN2at6native12_GLOBAL__N_18offset_tEEE10hipError_tPvRmT1_PNSt15iterator_traitsISY_E10value_typeET2_T3_PNSZ_IS14_E10value_typeET4_jRbjT5_S1A_jjP12ihipStream_tbEUljE_EEESV_SW_SX_S14_S18_S1A_T6_T7_T9_mT8_S1C_bDpT10_ENKUlT_T0_E_clISt17integral_constantIbLb1EES1P_EEDaS1K_S1L_EUlS1K_E_NS1_11comp_targetILNS1_3genE5ELNS1_11target_archE942ELNS1_3gpuE9ELNS1_3repE0EEENS1_30default_config_static_selectorELNS0_4arch9wavefront6targetE0EEEvSY_.private_seg_size, 0
	.set _ZN7rocprim17ROCPRIM_400000_NS6detail17trampoline_kernelINS0_13select_configILj256ELj13ELNS0_17block_load_methodE3ELS4_3ELS4_3ELNS0_20block_scan_algorithmE0ELj4294967295EEENS1_25partition_config_selectorILNS1_17partition_subalgoE3EjNS0_10empty_typeEbEEZZNS1_14partition_implILS8_3ELb0ES6_jNS0_17counting_iteratorIjlEEPS9_SE_NS0_5tupleIJPjSE_EEENSF_IJSE_SE_EEES9_SG_JZNS1_25segmented_radix_sort_implINS0_14default_configELb0EPKdPdPKlPlN2at6native12_GLOBAL__N_18offset_tEEE10hipError_tPvRmT1_PNSt15iterator_traitsISY_E10value_typeET2_T3_PNSZ_IS14_E10value_typeET4_jRbjT5_S1A_jjP12ihipStream_tbEUljE_EEESV_SW_SX_S14_S18_S1A_T6_T7_T9_mT8_S1C_bDpT10_ENKUlT_T0_E_clISt17integral_constantIbLb1EES1P_EEDaS1K_S1L_EUlS1K_E_NS1_11comp_targetILNS1_3genE5ELNS1_11target_archE942ELNS1_3gpuE9ELNS1_3repE0EEENS1_30default_config_static_selectorELNS0_4arch9wavefront6targetE0EEEvSY_.uses_vcc, 0
	.set _ZN7rocprim17ROCPRIM_400000_NS6detail17trampoline_kernelINS0_13select_configILj256ELj13ELNS0_17block_load_methodE3ELS4_3ELS4_3ELNS0_20block_scan_algorithmE0ELj4294967295EEENS1_25partition_config_selectorILNS1_17partition_subalgoE3EjNS0_10empty_typeEbEEZZNS1_14partition_implILS8_3ELb0ES6_jNS0_17counting_iteratorIjlEEPS9_SE_NS0_5tupleIJPjSE_EEENSF_IJSE_SE_EEES9_SG_JZNS1_25segmented_radix_sort_implINS0_14default_configELb0EPKdPdPKlPlN2at6native12_GLOBAL__N_18offset_tEEE10hipError_tPvRmT1_PNSt15iterator_traitsISY_E10value_typeET2_T3_PNSZ_IS14_E10value_typeET4_jRbjT5_S1A_jjP12ihipStream_tbEUljE_EEESV_SW_SX_S14_S18_S1A_T6_T7_T9_mT8_S1C_bDpT10_ENKUlT_T0_E_clISt17integral_constantIbLb1EES1P_EEDaS1K_S1L_EUlS1K_E_NS1_11comp_targetILNS1_3genE5ELNS1_11target_archE942ELNS1_3gpuE9ELNS1_3repE0EEENS1_30default_config_static_selectorELNS0_4arch9wavefront6targetE0EEEvSY_.uses_flat_scratch, 0
	.set _ZN7rocprim17ROCPRIM_400000_NS6detail17trampoline_kernelINS0_13select_configILj256ELj13ELNS0_17block_load_methodE3ELS4_3ELS4_3ELNS0_20block_scan_algorithmE0ELj4294967295EEENS1_25partition_config_selectorILNS1_17partition_subalgoE3EjNS0_10empty_typeEbEEZZNS1_14partition_implILS8_3ELb0ES6_jNS0_17counting_iteratorIjlEEPS9_SE_NS0_5tupleIJPjSE_EEENSF_IJSE_SE_EEES9_SG_JZNS1_25segmented_radix_sort_implINS0_14default_configELb0EPKdPdPKlPlN2at6native12_GLOBAL__N_18offset_tEEE10hipError_tPvRmT1_PNSt15iterator_traitsISY_E10value_typeET2_T3_PNSZ_IS14_E10value_typeET4_jRbjT5_S1A_jjP12ihipStream_tbEUljE_EEESV_SW_SX_S14_S18_S1A_T6_T7_T9_mT8_S1C_bDpT10_ENKUlT_T0_E_clISt17integral_constantIbLb1EES1P_EEDaS1K_S1L_EUlS1K_E_NS1_11comp_targetILNS1_3genE5ELNS1_11target_archE942ELNS1_3gpuE9ELNS1_3repE0EEENS1_30default_config_static_selectorELNS0_4arch9wavefront6targetE0EEEvSY_.has_dyn_sized_stack, 0
	.set _ZN7rocprim17ROCPRIM_400000_NS6detail17trampoline_kernelINS0_13select_configILj256ELj13ELNS0_17block_load_methodE3ELS4_3ELS4_3ELNS0_20block_scan_algorithmE0ELj4294967295EEENS1_25partition_config_selectorILNS1_17partition_subalgoE3EjNS0_10empty_typeEbEEZZNS1_14partition_implILS8_3ELb0ES6_jNS0_17counting_iteratorIjlEEPS9_SE_NS0_5tupleIJPjSE_EEENSF_IJSE_SE_EEES9_SG_JZNS1_25segmented_radix_sort_implINS0_14default_configELb0EPKdPdPKlPlN2at6native12_GLOBAL__N_18offset_tEEE10hipError_tPvRmT1_PNSt15iterator_traitsISY_E10value_typeET2_T3_PNSZ_IS14_E10value_typeET4_jRbjT5_S1A_jjP12ihipStream_tbEUljE_EEESV_SW_SX_S14_S18_S1A_T6_T7_T9_mT8_S1C_bDpT10_ENKUlT_T0_E_clISt17integral_constantIbLb1EES1P_EEDaS1K_S1L_EUlS1K_E_NS1_11comp_targetILNS1_3genE5ELNS1_11target_archE942ELNS1_3gpuE9ELNS1_3repE0EEENS1_30default_config_static_selectorELNS0_4arch9wavefront6targetE0EEEvSY_.has_recursion, 0
	.set _ZN7rocprim17ROCPRIM_400000_NS6detail17trampoline_kernelINS0_13select_configILj256ELj13ELNS0_17block_load_methodE3ELS4_3ELS4_3ELNS0_20block_scan_algorithmE0ELj4294967295EEENS1_25partition_config_selectorILNS1_17partition_subalgoE3EjNS0_10empty_typeEbEEZZNS1_14partition_implILS8_3ELb0ES6_jNS0_17counting_iteratorIjlEEPS9_SE_NS0_5tupleIJPjSE_EEENSF_IJSE_SE_EEES9_SG_JZNS1_25segmented_radix_sort_implINS0_14default_configELb0EPKdPdPKlPlN2at6native12_GLOBAL__N_18offset_tEEE10hipError_tPvRmT1_PNSt15iterator_traitsISY_E10value_typeET2_T3_PNSZ_IS14_E10value_typeET4_jRbjT5_S1A_jjP12ihipStream_tbEUljE_EEESV_SW_SX_S14_S18_S1A_T6_T7_T9_mT8_S1C_bDpT10_ENKUlT_T0_E_clISt17integral_constantIbLb1EES1P_EEDaS1K_S1L_EUlS1K_E_NS1_11comp_targetILNS1_3genE5ELNS1_11target_archE942ELNS1_3gpuE9ELNS1_3repE0EEENS1_30default_config_static_selectorELNS0_4arch9wavefront6targetE0EEEvSY_.has_indirect_call, 0
	.section	.AMDGPU.csdata,"",@progbits
; Kernel info:
; codeLenInByte = 0
; TotalNumSgprs: 0
; NumVgprs: 0
; ScratchSize: 0
; MemoryBound: 0
; FloatMode: 240
; IeeeMode: 1
; LDSByteSize: 0 bytes/workgroup (compile time only)
; SGPRBlocks: 0
; VGPRBlocks: 0
; NumSGPRsForWavesPerEU: 1
; NumVGPRsForWavesPerEU: 1
; NamedBarCnt: 0
; Occupancy: 16
; WaveLimiterHint : 0
; COMPUTE_PGM_RSRC2:SCRATCH_EN: 0
; COMPUTE_PGM_RSRC2:USER_SGPR: 2
; COMPUTE_PGM_RSRC2:TRAP_HANDLER: 0
; COMPUTE_PGM_RSRC2:TGID_X_EN: 1
; COMPUTE_PGM_RSRC2:TGID_Y_EN: 0
; COMPUTE_PGM_RSRC2:TGID_Z_EN: 0
; COMPUTE_PGM_RSRC2:TIDIG_COMP_CNT: 0
	.section	.text._ZN7rocprim17ROCPRIM_400000_NS6detail17trampoline_kernelINS0_13select_configILj256ELj13ELNS0_17block_load_methodE3ELS4_3ELS4_3ELNS0_20block_scan_algorithmE0ELj4294967295EEENS1_25partition_config_selectorILNS1_17partition_subalgoE3EjNS0_10empty_typeEbEEZZNS1_14partition_implILS8_3ELb0ES6_jNS0_17counting_iteratorIjlEEPS9_SE_NS0_5tupleIJPjSE_EEENSF_IJSE_SE_EEES9_SG_JZNS1_25segmented_radix_sort_implINS0_14default_configELb0EPKdPdPKlPlN2at6native12_GLOBAL__N_18offset_tEEE10hipError_tPvRmT1_PNSt15iterator_traitsISY_E10value_typeET2_T3_PNSZ_IS14_E10value_typeET4_jRbjT5_S1A_jjP12ihipStream_tbEUljE_EEESV_SW_SX_S14_S18_S1A_T6_T7_T9_mT8_S1C_bDpT10_ENKUlT_T0_E_clISt17integral_constantIbLb1EES1P_EEDaS1K_S1L_EUlS1K_E_NS1_11comp_targetILNS1_3genE4ELNS1_11target_archE910ELNS1_3gpuE8ELNS1_3repE0EEENS1_30default_config_static_selectorELNS0_4arch9wavefront6targetE0EEEvSY_,"axG",@progbits,_ZN7rocprim17ROCPRIM_400000_NS6detail17trampoline_kernelINS0_13select_configILj256ELj13ELNS0_17block_load_methodE3ELS4_3ELS4_3ELNS0_20block_scan_algorithmE0ELj4294967295EEENS1_25partition_config_selectorILNS1_17partition_subalgoE3EjNS0_10empty_typeEbEEZZNS1_14partition_implILS8_3ELb0ES6_jNS0_17counting_iteratorIjlEEPS9_SE_NS0_5tupleIJPjSE_EEENSF_IJSE_SE_EEES9_SG_JZNS1_25segmented_radix_sort_implINS0_14default_configELb0EPKdPdPKlPlN2at6native12_GLOBAL__N_18offset_tEEE10hipError_tPvRmT1_PNSt15iterator_traitsISY_E10value_typeET2_T3_PNSZ_IS14_E10value_typeET4_jRbjT5_S1A_jjP12ihipStream_tbEUljE_EEESV_SW_SX_S14_S18_S1A_T6_T7_T9_mT8_S1C_bDpT10_ENKUlT_T0_E_clISt17integral_constantIbLb1EES1P_EEDaS1K_S1L_EUlS1K_E_NS1_11comp_targetILNS1_3genE4ELNS1_11target_archE910ELNS1_3gpuE8ELNS1_3repE0EEENS1_30default_config_static_selectorELNS0_4arch9wavefront6targetE0EEEvSY_,comdat
	.globl	_ZN7rocprim17ROCPRIM_400000_NS6detail17trampoline_kernelINS0_13select_configILj256ELj13ELNS0_17block_load_methodE3ELS4_3ELS4_3ELNS0_20block_scan_algorithmE0ELj4294967295EEENS1_25partition_config_selectorILNS1_17partition_subalgoE3EjNS0_10empty_typeEbEEZZNS1_14partition_implILS8_3ELb0ES6_jNS0_17counting_iteratorIjlEEPS9_SE_NS0_5tupleIJPjSE_EEENSF_IJSE_SE_EEES9_SG_JZNS1_25segmented_radix_sort_implINS0_14default_configELb0EPKdPdPKlPlN2at6native12_GLOBAL__N_18offset_tEEE10hipError_tPvRmT1_PNSt15iterator_traitsISY_E10value_typeET2_T3_PNSZ_IS14_E10value_typeET4_jRbjT5_S1A_jjP12ihipStream_tbEUljE_EEESV_SW_SX_S14_S18_S1A_T6_T7_T9_mT8_S1C_bDpT10_ENKUlT_T0_E_clISt17integral_constantIbLb1EES1P_EEDaS1K_S1L_EUlS1K_E_NS1_11comp_targetILNS1_3genE4ELNS1_11target_archE910ELNS1_3gpuE8ELNS1_3repE0EEENS1_30default_config_static_selectorELNS0_4arch9wavefront6targetE0EEEvSY_ ; -- Begin function _ZN7rocprim17ROCPRIM_400000_NS6detail17trampoline_kernelINS0_13select_configILj256ELj13ELNS0_17block_load_methodE3ELS4_3ELS4_3ELNS0_20block_scan_algorithmE0ELj4294967295EEENS1_25partition_config_selectorILNS1_17partition_subalgoE3EjNS0_10empty_typeEbEEZZNS1_14partition_implILS8_3ELb0ES6_jNS0_17counting_iteratorIjlEEPS9_SE_NS0_5tupleIJPjSE_EEENSF_IJSE_SE_EEES9_SG_JZNS1_25segmented_radix_sort_implINS0_14default_configELb0EPKdPdPKlPlN2at6native12_GLOBAL__N_18offset_tEEE10hipError_tPvRmT1_PNSt15iterator_traitsISY_E10value_typeET2_T3_PNSZ_IS14_E10value_typeET4_jRbjT5_S1A_jjP12ihipStream_tbEUljE_EEESV_SW_SX_S14_S18_S1A_T6_T7_T9_mT8_S1C_bDpT10_ENKUlT_T0_E_clISt17integral_constantIbLb1EES1P_EEDaS1K_S1L_EUlS1K_E_NS1_11comp_targetILNS1_3genE4ELNS1_11target_archE910ELNS1_3gpuE8ELNS1_3repE0EEENS1_30default_config_static_selectorELNS0_4arch9wavefront6targetE0EEEvSY_
	.p2align	8
	.type	_ZN7rocprim17ROCPRIM_400000_NS6detail17trampoline_kernelINS0_13select_configILj256ELj13ELNS0_17block_load_methodE3ELS4_3ELS4_3ELNS0_20block_scan_algorithmE0ELj4294967295EEENS1_25partition_config_selectorILNS1_17partition_subalgoE3EjNS0_10empty_typeEbEEZZNS1_14partition_implILS8_3ELb0ES6_jNS0_17counting_iteratorIjlEEPS9_SE_NS0_5tupleIJPjSE_EEENSF_IJSE_SE_EEES9_SG_JZNS1_25segmented_radix_sort_implINS0_14default_configELb0EPKdPdPKlPlN2at6native12_GLOBAL__N_18offset_tEEE10hipError_tPvRmT1_PNSt15iterator_traitsISY_E10value_typeET2_T3_PNSZ_IS14_E10value_typeET4_jRbjT5_S1A_jjP12ihipStream_tbEUljE_EEESV_SW_SX_S14_S18_S1A_T6_T7_T9_mT8_S1C_bDpT10_ENKUlT_T0_E_clISt17integral_constantIbLb1EES1P_EEDaS1K_S1L_EUlS1K_E_NS1_11comp_targetILNS1_3genE4ELNS1_11target_archE910ELNS1_3gpuE8ELNS1_3repE0EEENS1_30default_config_static_selectorELNS0_4arch9wavefront6targetE0EEEvSY_,@function
_ZN7rocprim17ROCPRIM_400000_NS6detail17trampoline_kernelINS0_13select_configILj256ELj13ELNS0_17block_load_methodE3ELS4_3ELS4_3ELNS0_20block_scan_algorithmE0ELj4294967295EEENS1_25partition_config_selectorILNS1_17partition_subalgoE3EjNS0_10empty_typeEbEEZZNS1_14partition_implILS8_3ELb0ES6_jNS0_17counting_iteratorIjlEEPS9_SE_NS0_5tupleIJPjSE_EEENSF_IJSE_SE_EEES9_SG_JZNS1_25segmented_radix_sort_implINS0_14default_configELb0EPKdPdPKlPlN2at6native12_GLOBAL__N_18offset_tEEE10hipError_tPvRmT1_PNSt15iterator_traitsISY_E10value_typeET2_T3_PNSZ_IS14_E10value_typeET4_jRbjT5_S1A_jjP12ihipStream_tbEUljE_EEESV_SW_SX_S14_S18_S1A_T6_T7_T9_mT8_S1C_bDpT10_ENKUlT_T0_E_clISt17integral_constantIbLb1EES1P_EEDaS1K_S1L_EUlS1K_E_NS1_11comp_targetILNS1_3genE4ELNS1_11target_archE910ELNS1_3gpuE8ELNS1_3repE0EEENS1_30default_config_static_selectorELNS0_4arch9wavefront6targetE0EEEvSY_: ; @_ZN7rocprim17ROCPRIM_400000_NS6detail17trampoline_kernelINS0_13select_configILj256ELj13ELNS0_17block_load_methodE3ELS4_3ELS4_3ELNS0_20block_scan_algorithmE0ELj4294967295EEENS1_25partition_config_selectorILNS1_17partition_subalgoE3EjNS0_10empty_typeEbEEZZNS1_14partition_implILS8_3ELb0ES6_jNS0_17counting_iteratorIjlEEPS9_SE_NS0_5tupleIJPjSE_EEENSF_IJSE_SE_EEES9_SG_JZNS1_25segmented_radix_sort_implINS0_14default_configELb0EPKdPdPKlPlN2at6native12_GLOBAL__N_18offset_tEEE10hipError_tPvRmT1_PNSt15iterator_traitsISY_E10value_typeET2_T3_PNSZ_IS14_E10value_typeET4_jRbjT5_S1A_jjP12ihipStream_tbEUljE_EEESV_SW_SX_S14_S18_S1A_T6_T7_T9_mT8_S1C_bDpT10_ENKUlT_T0_E_clISt17integral_constantIbLb1EES1P_EEDaS1K_S1L_EUlS1K_E_NS1_11comp_targetILNS1_3genE4ELNS1_11target_archE910ELNS1_3gpuE8ELNS1_3repE0EEENS1_30default_config_static_selectorELNS0_4arch9wavefront6targetE0EEEvSY_
; %bb.0:
	.section	.rodata,"a",@progbits
	.p2align	6, 0x0
	.amdhsa_kernel _ZN7rocprim17ROCPRIM_400000_NS6detail17trampoline_kernelINS0_13select_configILj256ELj13ELNS0_17block_load_methodE3ELS4_3ELS4_3ELNS0_20block_scan_algorithmE0ELj4294967295EEENS1_25partition_config_selectorILNS1_17partition_subalgoE3EjNS0_10empty_typeEbEEZZNS1_14partition_implILS8_3ELb0ES6_jNS0_17counting_iteratorIjlEEPS9_SE_NS0_5tupleIJPjSE_EEENSF_IJSE_SE_EEES9_SG_JZNS1_25segmented_radix_sort_implINS0_14default_configELb0EPKdPdPKlPlN2at6native12_GLOBAL__N_18offset_tEEE10hipError_tPvRmT1_PNSt15iterator_traitsISY_E10value_typeET2_T3_PNSZ_IS14_E10value_typeET4_jRbjT5_S1A_jjP12ihipStream_tbEUljE_EEESV_SW_SX_S14_S18_S1A_T6_T7_T9_mT8_S1C_bDpT10_ENKUlT_T0_E_clISt17integral_constantIbLb1EES1P_EEDaS1K_S1L_EUlS1K_E_NS1_11comp_targetILNS1_3genE4ELNS1_11target_archE910ELNS1_3gpuE8ELNS1_3repE0EEENS1_30default_config_static_selectorELNS0_4arch9wavefront6targetE0EEEvSY_
		.amdhsa_group_segment_fixed_size 0
		.amdhsa_private_segment_fixed_size 0
		.amdhsa_kernarg_size 152
		.amdhsa_user_sgpr_count 2
		.amdhsa_user_sgpr_dispatch_ptr 0
		.amdhsa_user_sgpr_queue_ptr 0
		.amdhsa_user_sgpr_kernarg_segment_ptr 1
		.amdhsa_user_sgpr_dispatch_id 0
		.amdhsa_user_sgpr_kernarg_preload_length 0
		.amdhsa_user_sgpr_kernarg_preload_offset 0
		.amdhsa_user_sgpr_private_segment_size 0
		.amdhsa_wavefront_size32 1
		.amdhsa_uses_dynamic_stack 0
		.amdhsa_enable_private_segment 0
		.amdhsa_system_sgpr_workgroup_id_x 1
		.amdhsa_system_sgpr_workgroup_id_y 0
		.amdhsa_system_sgpr_workgroup_id_z 0
		.amdhsa_system_sgpr_workgroup_info 0
		.amdhsa_system_vgpr_workitem_id 0
		.amdhsa_next_free_vgpr 1
		.amdhsa_next_free_sgpr 1
		.amdhsa_named_barrier_count 0
		.amdhsa_reserve_vcc 0
		.amdhsa_float_round_mode_32 0
		.amdhsa_float_round_mode_16_64 0
		.amdhsa_float_denorm_mode_32 3
		.amdhsa_float_denorm_mode_16_64 3
		.amdhsa_fp16_overflow 0
		.amdhsa_memory_ordered 1
		.amdhsa_forward_progress 1
		.amdhsa_inst_pref_size 0
		.amdhsa_round_robin_scheduling 0
		.amdhsa_exception_fp_ieee_invalid_op 0
		.amdhsa_exception_fp_denorm_src 0
		.amdhsa_exception_fp_ieee_div_zero 0
		.amdhsa_exception_fp_ieee_overflow 0
		.amdhsa_exception_fp_ieee_underflow 0
		.amdhsa_exception_fp_ieee_inexact 0
		.amdhsa_exception_int_div_zero 0
	.end_amdhsa_kernel
	.section	.text._ZN7rocprim17ROCPRIM_400000_NS6detail17trampoline_kernelINS0_13select_configILj256ELj13ELNS0_17block_load_methodE3ELS4_3ELS4_3ELNS0_20block_scan_algorithmE0ELj4294967295EEENS1_25partition_config_selectorILNS1_17partition_subalgoE3EjNS0_10empty_typeEbEEZZNS1_14partition_implILS8_3ELb0ES6_jNS0_17counting_iteratorIjlEEPS9_SE_NS0_5tupleIJPjSE_EEENSF_IJSE_SE_EEES9_SG_JZNS1_25segmented_radix_sort_implINS0_14default_configELb0EPKdPdPKlPlN2at6native12_GLOBAL__N_18offset_tEEE10hipError_tPvRmT1_PNSt15iterator_traitsISY_E10value_typeET2_T3_PNSZ_IS14_E10value_typeET4_jRbjT5_S1A_jjP12ihipStream_tbEUljE_EEESV_SW_SX_S14_S18_S1A_T6_T7_T9_mT8_S1C_bDpT10_ENKUlT_T0_E_clISt17integral_constantIbLb1EES1P_EEDaS1K_S1L_EUlS1K_E_NS1_11comp_targetILNS1_3genE4ELNS1_11target_archE910ELNS1_3gpuE8ELNS1_3repE0EEENS1_30default_config_static_selectorELNS0_4arch9wavefront6targetE0EEEvSY_,"axG",@progbits,_ZN7rocprim17ROCPRIM_400000_NS6detail17trampoline_kernelINS0_13select_configILj256ELj13ELNS0_17block_load_methodE3ELS4_3ELS4_3ELNS0_20block_scan_algorithmE0ELj4294967295EEENS1_25partition_config_selectorILNS1_17partition_subalgoE3EjNS0_10empty_typeEbEEZZNS1_14partition_implILS8_3ELb0ES6_jNS0_17counting_iteratorIjlEEPS9_SE_NS0_5tupleIJPjSE_EEENSF_IJSE_SE_EEES9_SG_JZNS1_25segmented_radix_sort_implINS0_14default_configELb0EPKdPdPKlPlN2at6native12_GLOBAL__N_18offset_tEEE10hipError_tPvRmT1_PNSt15iterator_traitsISY_E10value_typeET2_T3_PNSZ_IS14_E10value_typeET4_jRbjT5_S1A_jjP12ihipStream_tbEUljE_EEESV_SW_SX_S14_S18_S1A_T6_T7_T9_mT8_S1C_bDpT10_ENKUlT_T0_E_clISt17integral_constantIbLb1EES1P_EEDaS1K_S1L_EUlS1K_E_NS1_11comp_targetILNS1_3genE4ELNS1_11target_archE910ELNS1_3gpuE8ELNS1_3repE0EEENS1_30default_config_static_selectorELNS0_4arch9wavefront6targetE0EEEvSY_,comdat
.Lfunc_end1193:
	.size	_ZN7rocprim17ROCPRIM_400000_NS6detail17trampoline_kernelINS0_13select_configILj256ELj13ELNS0_17block_load_methodE3ELS4_3ELS4_3ELNS0_20block_scan_algorithmE0ELj4294967295EEENS1_25partition_config_selectorILNS1_17partition_subalgoE3EjNS0_10empty_typeEbEEZZNS1_14partition_implILS8_3ELb0ES6_jNS0_17counting_iteratorIjlEEPS9_SE_NS0_5tupleIJPjSE_EEENSF_IJSE_SE_EEES9_SG_JZNS1_25segmented_radix_sort_implINS0_14default_configELb0EPKdPdPKlPlN2at6native12_GLOBAL__N_18offset_tEEE10hipError_tPvRmT1_PNSt15iterator_traitsISY_E10value_typeET2_T3_PNSZ_IS14_E10value_typeET4_jRbjT5_S1A_jjP12ihipStream_tbEUljE_EEESV_SW_SX_S14_S18_S1A_T6_T7_T9_mT8_S1C_bDpT10_ENKUlT_T0_E_clISt17integral_constantIbLb1EES1P_EEDaS1K_S1L_EUlS1K_E_NS1_11comp_targetILNS1_3genE4ELNS1_11target_archE910ELNS1_3gpuE8ELNS1_3repE0EEENS1_30default_config_static_selectorELNS0_4arch9wavefront6targetE0EEEvSY_, .Lfunc_end1193-_ZN7rocprim17ROCPRIM_400000_NS6detail17trampoline_kernelINS0_13select_configILj256ELj13ELNS0_17block_load_methodE3ELS4_3ELS4_3ELNS0_20block_scan_algorithmE0ELj4294967295EEENS1_25partition_config_selectorILNS1_17partition_subalgoE3EjNS0_10empty_typeEbEEZZNS1_14partition_implILS8_3ELb0ES6_jNS0_17counting_iteratorIjlEEPS9_SE_NS0_5tupleIJPjSE_EEENSF_IJSE_SE_EEES9_SG_JZNS1_25segmented_radix_sort_implINS0_14default_configELb0EPKdPdPKlPlN2at6native12_GLOBAL__N_18offset_tEEE10hipError_tPvRmT1_PNSt15iterator_traitsISY_E10value_typeET2_T3_PNSZ_IS14_E10value_typeET4_jRbjT5_S1A_jjP12ihipStream_tbEUljE_EEESV_SW_SX_S14_S18_S1A_T6_T7_T9_mT8_S1C_bDpT10_ENKUlT_T0_E_clISt17integral_constantIbLb1EES1P_EEDaS1K_S1L_EUlS1K_E_NS1_11comp_targetILNS1_3genE4ELNS1_11target_archE910ELNS1_3gpuE8ELNS1_3repE0EEENS1_30default_config_static_selectorELNS0_4arch9wavefront6targetE0EEEvSY_
                                        ; -- End function
	.set _ZN7rocprim17ROCPRIM_400000_NS6detail17trampoline_kernelINS0_13select_configILj256ELj13ELNS0_17block_load_methodE3ELS4_3ELS4_3ELNS0_20block_scan_algorithmE0ELj4294967295EEENS1_25partition_config_selectorILNS1_17partition_subalgoE3EjNS0_10empty_typeEbEEZZNS1_14partition_implILS8_3ELb0ES6_jNS0_17counting_iteratorIjlEEPS9_SE_NS0_5tupleIJPjSE_EEENSF_IJSE_SE_EEES9_SG_JZNS1_25segmented_radix_sort_implINS0_14default_configELb0EPKdPdPKlPlN2at6native12_GLOBAL__N_18offset_tEEE10hipError_tPvRmT1_PNSt15iterator_traitsISY_E10value_typeET2_T3_PNSZ_IS14_E10value_typeET4_jRbjT5_S1A_jjP12ihipStream_tbEUljE_EEESV_SW_SX_S14_S18_S1A_T6_T7_T9_mT8_S1C_bDpT10_ENKUlT_T0_E_clISt17integral_constantIbLb1EES1P_EEDaS1K_S1L_EUlS1K_E_NS1_11comp_targetILNS1_3genE4ELNS1_11target_archE910ELNS1_3gpuE8ELNS1_3repE0EEENS1_30default_config_static_selectorELNS0_4arch9wavefront6targetE0EEEvSY_.num_vgpr, 0
	.set _ZN7rocprim17ROCPRIM_400000_NS6detail17trampoline_kernelINS0_13select_configILj256ELj13ELNS0_17block_load_methodE3ELS4_3ELS4_3ELNS0_20block_scan_algorithmE0ELj4294967295EEENS1_25partition_config_selectorILNS1_17partition_subalgoE3EjNS0_10empty_typeEbEEZZNS1_14partition_implILS8_3ELb0ES6_jNS0_17counting_iteratorIjlEEPS9_SE_NS0_5tupleIJPjSE_EEENSF_IJSE_SE_EEES9_SG_JZNS1_25segmented_radix_sort_implINS0_14default_configELb0EPKdPdPKlPlN2at6native12_GLOBAL__N_18offset_tEEE10hipError_tPvRmT1_PNSt15iterator_traitsISY_E10value_typeET2_T3_PNSZ_IS14_E10value_typeET4_jRbjT5_S1A_jjP12ihipStream_tbEUljE_EEESV_SW_SX_S14_S18_S1A_T6_T7_T9_mT8_S1C_bDpT10_ENKUlT_T0_E_clISt17integral_constantIbLb1EES1P_EEDaS1K_S1L_EUlS1K_E_NS1_11comp_targetILNS1_3genE4ELNS1_11target_archE910ELNS1_3gpuE8ELNS1_3repE0EEENS1_30default_config_static_selectorELNS0_4arch9wavefront6targetE0EEEvSY_.num_agpr, 0
	.set _ZN7rocprim17ROCPRIM_400000_NS6detail17trampoline_kernelINS0_13select_configILj256ELj13ELNS0_17block_load_methodE3ELS4_3ELS4_3ELNS0_20block_scan_algorithmE0ELj4294967295EEENS1_25partition_config_selectorILNS1_17partition_subalgoE3EjNS0_10empty_typeEbEEZZNS1_14partition_implILS8_3ELb0ES6_jNS0_17counting_iteratorIjlEEPS9_SE_NS0_5tupleIJPjSE_EEENSF_IJSE_SE_EEES9_SG_JZNS1_25segmented_radix_sort_implINS0_14default_configELb0EPKdPdPKlPlN2at6native12_GLOBAL__N_18offset_tEEE10hipError_tPvRmT1_PNSt15iterator_traitsISY_E10value_typeET2_T3_PNSZ_IS14_E10value_typeET4_jRbjT5_S1A_jjP12ihipStream_tbEUljE_EEESV_SW_SX_S14_S18_S1A_T6_T7_T9_mT8_S1C_bDpT10_ENKUlT_T0_E_clISt17integral_constantIbLb1EES1P_EEDaS1K_S1L_EUlS1K_E_NS1_11comp_targetILNS1_3genE4ELNS1_11target_archE910ELNS1_3gpuE8ELNS1_3repE0EEENS1_30default_config_static_selectorELNS0_4arch9wavefront6targetE0EEEvSY_.numbered_sgpr, 0
	.set _ZN7rocprim17ROCPRIM_400000_NS6detail17trampoline_kernelINS0_13select_configILj256ELj13ELNS0_17block_load_methodE3ELS4_3ELS4_3ELNS0_20block_scan_algorithmE0ELj4294967295EEENS1_25partition_config_selectorILNS1_17partition_subalgoE3EjNS0_10empty_typeEbEEZZNS1_14partition_implILS8_3ELb0ES6_jNS0_17counting_iteratorIjlEEPS9_SE_NS0_5tupleIJPjSE_EEENSF_IJSE_SE_EEES9_SG_JZNS1_25segmented_radix_sort_implINS0_14default_configELb0EPKdPdPKlPlN2at6native12_GLOBAL__N_18offset_tEEE10hipError_tPvRmT1_PNSt15iterator_traitsISY_E10value_typeET2_T3_PNSZ_IS14_E10value_typeET4_jRbjT5_S1A_jjP12ihipStream_tbEUljE_EEESV_SW_SX_S14_S18_S1A_T6_T7_T9_mT8_S1C_bDpT10_ENKUlT_T0_E_clISt17integral_constantIbLb1EES1P_EEDaS1K_S1L_EUlS1K_E_NS1_11comp_targetILNS1_3genE4ELNS1_11target_archE910ELNS1_3gpuE8ELNS1_3repE0EEENS1_30default_config_static_selectorELNS0_4arch9wavefront6targetE0EEEvSY_.num_named_barrier, 0
	.set _ZN7rocprim17ROCPRIM_400000_NS6detail17trampoline_kernelINS0_13select_configILj256ELj13ELNS0_17block_load_methodE3ELS4_3ELS4_3ELNS0_20block_scan_algorithmE0ELj4294967295EEENS1_25partition_config_selectorILNS1_17partition_subalgoE3EjNS0_10empty_typeEbEEZZNS1_14partition_implILS8_3ELb0ES6_jNS0_17counting_iteratorIjlEEPS9_SE_NS0_5tupleIJPjSE_EEENSF_IJSE_SE_EEES9_SG_JZNS1_25segmented_radix_sort_implINS0_14default_configELb0EPKdPdPKlPlN2at6native12_GLOBAL__N_18offset_tEEE10hipError_tPvRmT1_PNSt15iterator_traitsISY_E10value_typeET2_T3_PNSZ_IS14_E10value_typeET4_jRbjT5_S1A_jjP12ihipStream_tbEUljE_EEESV_SW_SX_S14_S18_S1A_T6_T7_T9_mT8_S1C_bDpT10_ENKUlT_T0_E_clISt17integral_constantIbLb1EES1P_EEDaS1K_S1L_EUlS1K_E_NS1_11comp_targetILNS1_3genE4ELNS1_11target_archE910ELNS1_3gpuE8ELNS1_3repE0EEENS1_30default_config_static_selectorELNS0_4arch9wavefront6targetE0EEEvSY_.private_seg_size, 0
	.set _ZN7rocprim17ROCPRIM_400000_NS6detail17trampoline_kernelINS0_13select_configILj256ELj13ELNS0_17block_load_methodE3ELS4_3ELS4_3ELNS0_20block_scan_algorithmE0ELj4294967295EEENS1_25partition_config_selectorILNS1_17partition_subalgoE3EjNS0_10empty_typeEbEEZZNS1_14partition_implILS8_3ELb0ES6_jNS0_17counting_iteratorIjlEEPS9_SE_NS0_5tupleIJPjSE_EEENSF_IJSE_SE_EEES9_SG_JZNS1_25segmented_radix_sort_implINS0_14default_configELb0EPKdPdPKlPlN2at6native12_GLOBAL__N_18offset_tEEE10hipError_tPvRmT1_PNSt15iterator_traitsISY_E10value_typeET2_T3_PNSZ_IS14_E10value_typeET4_jRbjT5_S1A_jjP12ihipStream_tbEUljE_EEESV_SW_SX_S14_S18_S1A_T6_T7_T9_mT8_S1C_bDpT10_ENKUlT_T0_E_clISt17integral_constantIbLb1EES1P_EEDaS1K_S1L_EUlS1K_E_NS1_11comp_targetILNS1_3genE4ELNS1_11target_archE910ELNS1_3gpuE8ELNS1_3repE0EEENS1_30default_config_static_selectorELNS0_4arch9wavefront6targetE0EEEvSY_.uses_vcc, 0
	.set _ZN7rocprim17ROCPRIM_400000_NS6detail17trampoline_kernelINS0_13select_configILj256ELj13ELNS0_17block_load_methodE3ELS4_3ELS4_3ELNS0_20block_scan_algorithmE0ELj4294967295EEENS1_25partition_config_selectorILNS1_17partition_subalgoE3EjNS0_10empty_typeEbEEZZNS1_14partition_implILS8_3ELb0ES6_jNS0_17counting_iteratorIjlEEPS9_SE_NS0_5tupleIJPjSE_EEENSF_IJSE_SE_EEES9_SG_JZNS1_25segmented_radix_sort_implINS0_14default_configELb0EPKdPdPKlPlN2at6native12_GLOBAL__N_18offset_tEEE10hipError_tPvRmT1_PNSt15iterator_traitsISY_E10value_typeET2_T3_PNSZ_IS14_E10value_typeET4_jRbjT5_S1A_jjP12ihipStream_tbEUljE_EEESV_SW_SX_S14_S18_S1A_T6_T7_T9_mT8_S1C_bDpT10_ENKUlT_T0_E_clISt17integral_constantIbLb1EES1P_EEDaS1K_S1L_EUlS1K_E_NS1_11comp_targetILNS1_3genE4ELNS1_11target_archE910ELNS1_3gpuE8ELNS1_3repE0EEENS1_30default_config_static_selectorELNS0_4arch9wavefront6targetE0EEEvSY_.uses_flat_scratch, 0
	.set _ZN7rocprim17ROCPRIM_400000_NS6detail17trampoline_kernelINS0_13select_configILj256ELj13ELNS0_17block_load_methodE3ELS4_3ELS4_3ELNS0_20block_scan_algorithmE0ELj4294967295EEENS1_25partition_config_selectorILNS1_17partition_subalgoE3EjNS0_10empty_typeEbEEZZNS1_14partition_implILS8_3ELb0ES6_jNS0_17counting_iteratorIjlEEPS9_SE_NS0_5tupleIJPjSE_EEENSF_IJSE_SE_EEES9_SG_JZNS1_25segmented_radix_sort_implINS0_14default_configELb0EPKdPdPKlPlN2at6native12_GLOBAL__N_18offset_tEEE10hipError_tPvRmT1_PNSt15iterator_traitsISY_E10value_typeET2_T3_PNSZ_IS14_E10value_typeET4_jRbjT5_S1A_jjP12ihipStream_tbEUljE_EEESV_SW_SX_S14_S18_S1A_T6_T7_T9_mT8_S1C_bDpT10_ENKUlT_T0_E_clISt17integral_constantIbLb1EES1P_EEDaS1K_S1L_EUlS1K_E_NS1_11comp_targetILNS1_3genE4ELNS1_11target_archE910ELNS1_3gpuE8ELNS1_3repE0EEENS1_30default_config_static_selectorELNS0_4arch9wavefront6targetE0EEEvSY_.has_dyn_sized_stack, 0
	.set _ZN7rocprim17ROCPRIM_400000_NS6detail17trampoline_kernelINS0_13select_configILj256ELj13ELNS0_17block_load_methodE3ELS4_3ELS4_3ELNS0_20block_scan_algorithmE0ELj4294967295EEENS1_25partition_config_selectorILNS1_17partition_subalgoE3EjNS0_10empty_typeEbEEZZNS1_14partition_implILS8_3ELb0ES6_jNS0_17counting_iteratorIjlEEPS9_SE_NS0_5tupleIJPjSE_EEENSF_IJSE_SE_EEES9_SG_JZNS1_25segmented_radix_sort_implINS0_14default_configELb0EPKdPdPKlPlN2at6native12_GLOBAL__N_18offset_tEEE10hipError_tPvRmT1_PNSt15iterator_traitsISY_E10value_typeET2_T3_PNSZ_IS14_E10value_typeET4_jRbjT5_S1A_jjP12ihipStream_tbEUljE_EEESV_SW_SX_S14_S18_S1A_T6_T7_T9_mT8_S1C_bDpT10_ENKUlT_T0_E_clISt17integral_constantIbLb1EES1P_EEDaS1K_S1L_EUlS1K_E_NS1_11comp_targetILNS1_3genE4ELNS1_11target_archE910ELNS1_3gpuE8ELNS1_3repE0EEENS1_30default_config_static_selectorELNS0_4arch9wavefront6targetE0EEEvSY_.has_recursion, 0
	.set _ZN7rocprim17ROCPRIM_400000_NS6detail17trampoline_kernelINS0_13select_configILj256ELj13ELNS0_17block_load_methodE3ELS4_3ELS4_3ELNS0_20block_scan_algorithmE0ELj4294967295EEENS1_25partition_config_selectorILNS1_17partition_subalgoE3EjNS0_10empty_typeEbEEZZNS1_14partition_implILS8_3ELb0ES6_jNS0_17counting_iteratorIjlEEPS9_SE_NS0_5tupleIJPjSE_EEENSF_IJSE_SE_EEES9_SG_JZNS1_25segmented_radix_sort_implINS0_14default_configELb0EPKdPdPKlPlN2at6native12_GLOBAL__N_18offset_tEEE10hipError_tPvRmT1_PNSt15iterator_traitsISY_E10value_typeET2_T3_PNSZ_IS14_E10value_typeET4_jRbjT5_S1A_jjP12ihipStream_tbEUljE_EEESV_SW_SX_S14_S18_S1A_T6_T7_T9_mT8_S1C_bDpT10_ENKUlT_T0_E_clISt17integral_constantIbLb1EES1P_EEDaS1K_S1L_EUlS1K_E_NS1_11comp_targetILNS1_3genE4ELNS1_11target_archE910ELNS1_3gpuE8ELNS1_3repE0EEENS1_30default_config_static_selectorELNS0_4arch9wavefront6targetE0EEEvSY_.has_indirect_call, 0
	.section	.AMDGPU.csdata,"",@progbits
; Kernel info:
; codeLenInByte = 0
; TotalNumSgprs: 0
; NumVgprs: 0
; ScratchSize: 0
; MemoryBound: 0
; FloatMode: 240
; IeeeMode: 1
; LDSByteSize: 0 bytes/workgroup (compile time only)
; SGPRBlocks: 0
; VGPRBlocks: 0
; NumSGPRsForWavesPerEU: 1
; NumVGPRsForWavesPerEU: 1
; NamedBarCnt: 0
; Occupancy: 16
; WaveLimiterHint : 0
; COMPUTE_PGM_RSRC2:SCRATCH_EN: 0
; COMPUTE_PGM_RSRC2:USER_SGPR: 2
; COMPUTE_PGM_RSRC2:TRAP_HANDLER: 0
; COMPUTE_PGM_RSRC2:TGID_X_EN: 1
; COMPUTE_PGM_RSRC2:TGID_Y_EN: 0
; COMPUTE_PGM_RSRC2:TGID_Z_EN: 0
; COMPUTE_PGM_RSRC2:TIDIG_COMP_CNT: 0
	.section	.text._ZN7rocprim17ROCPRIM_400000_NS6detail17trampoline_kernelINS0_13select_configILj256ELj13ELNS0_17block_load_methodE3ELS4_3ELS4_3ELNS0_20block_scan_algorithmE0ELj4294967295EEENS1_25partition_config_selectorILNS1_17partition_subalgoE3EjNS0_10empty_typeEbEEZZNS1_14partition_implILS8_3ELb0ES6_jNS0_17counting_iteratorIjlEEPS9_SE_NS0_5tupleIJPjSE_EEENSF_IJSE_SE_EEES9_SG_JZNS1_25segmented_radix_sort_implINS0_14default_configELb0EPKdPdPKlPlN2at6native12_GLOBAL__N_18offset_tEEE10hipError_tPvRmT1_PNSt15iterator_traitsISY_E10value_typeET2_T3_PNSZ_IS14_E10value_typeET4_jRbjT5_S1A_jjP12ihipStream_tbEUljE_EEESV_SW_SX_S14_S18_S1A_T6_T7_T9_mT8_S1C_bDpT10_ENKUlT_T0_E_clISt17integral_constantIbLb1EES1P_EEDaS1K_S1L_EUlS1K_E_NS1_11comp_targetILNS1_3genE3ELNS1_11target_archE908ELNS1_3gpuE7ELNS1_3repE0EEENS1_30default_config_static_selectorELNS0_4arch9wavefront6targetE0EEEvSY_,"axG",@progbits,_ZN7rocprim17ROCPRIM_400000_NS6detail17trampoline_kernelINS0_13select_configILj256ELj13ELNS0_17block_load_methodE3ELS4_3ELS4_3ELNS0_20block_scan_algorithmE0ELj4294967295EEENS1_25partition_config_selectorILNS1_17partition_subalgoE3EjNS0_10empty_typeEbEEZZNS1_14partition_implILS8_3ELb0ES6_jNS0_17counting_iteratorIjlEEPS9_SE_NS0_5tupleIJPjSE_EEENSF_IJSE_SE_EEES9_SG_JZNS1_25segmented_radix_sort_implINS0_14default_configELb0EPKdPdPKlPlN2at6native12_GLOBAL__N_18offset_tEEE10hipError_tPvRmT1_PNSt15iterator_traitsISY_E10value_typeET2_T3_PNSZ_IS14_E10value_typeET4_jRbjT5_S1A_jjP12ihipStream_tbEUljE_EEESV_SW_SX_S14_S18_S1A_T6_T7_T9_mT8_S1C_bDpT10_ENKUlT_T0_E_clISt17integral_constantIbLb1EES1P_EEDaS1K_S1L_EUlS1K_E_NS1_11comp_targetILNS1_3genE3ELNS1_11target_archE908ELNS1_3gpuE7ELNS1_3repE0EEENS1_30default_config_static_selectorELNS0_4arch9wavefront6targetE0EEEvSY_,comdat
	.globl	_ZN7rocprim17ROCPRIM_400000_NS6detail17trampoline_kernelINS0_13select_configILj256ELj13ELNS0_17block_load_methodE3ELS4_3ELS4_3ELNS0_20block_scan_algorithmE0ELj4294967295EEENS1_25partition_config_selectorILNS1_17partition_subalgoE3EjNS0_10empty_typeEbEEZZNS1_14partition_implILS8_3ELb0ES6_jNS0_17counting_iteratorIjlEEPS9_SE_NS0_5tupleIJPjSE_EEENSF_IJSE_SE_EEES9_SG_JZNS1_25segmented_radix_sort_implINS0_14default_configELb0EPKdPdPKlPlN2at6native12_GLOBAL__N_18offset_tEEE10hipError_tPvRmT1_PNSt15iterator_traitsISY_E10value_typeET2_T3_PNSZ_IS14_E10value_typeET4_jRbjT5_S1A_jjP12ihipStream_tbEUljE_EEESV_SW_SX_S14_S18_S1A_T6_T7_T9_mT8_S1C_bDpT10_ENKUlT_T0_E_clISt17integral_constantIbLb1EES1P_EEDaS1K_S1L_EUlS1K_E_NS1_11comp_targetILNS1_3genE3ELNS1_11target_archE908ELNS1_3gpuE7ELNS1_3repE0EEENS1_30default_config_static_selectorELNS0_4arch9wavefront6targetE0EEEvSY_ ; -- Begin function _ZN7rocprim17ROCPRIM_400000_NS6detail17trampoline_kernelINS0_13select_configILj256ELj13ELNS0_17block_load_methodE3ELS4_3ELS4_3ELNS0_20block_scan_algorithmE0ELj4294967295EEENS1_25partition_config_selectorILNS1_17partition_subalgoE3EjNS0_10empty_typeEbEEZZNS1_14partition_implILS8_3ELb0ES6_jNS0_17counting_iteratorIjlEEPS9_SE_NS0_5tupleIJPjSE_EEENSF_IJSE_SE_EEES9_SG_JZNS1_25segmented_radix_sort_implINS0_14default_configELb0EPKdPdPKlPlN2at6native12_GLOBAL__N_18offset_tEEE10hipError_tPvRmT1_PNSt15iterator_traitsISY_E10value_typeET2_T3_PNSZ_IS14_E10value_typeET4_jRbjT5_S1A_jjP12ihipStream_tbEUljE_EEESV_SW_SX_S14_S18_S1A_T6_T7_T9_mT8_S1C_bDpT10_ENKUlT_T0_E_clISt17integral_constantIbLb1EES1P_EEDaS1K_S1L_EUlS1K_E_NS1_11comp_targetILNS1_3genE3ELNS1_11target_archE908ELNS1_3gpuE7ELNS1_3repE0EEENS1_30default_config_static_selectorELNS0_4arch9wavefront6targetE0EEEvSY_
	.p2align	8
	.type	_ZN7rocprim17ROCPRIM_400000_NS6detail17trampoline_kernelINS0_13select_configILj256ELj13ELNS0_17block_load_methodE3ELS4_3ELS4_3ELNS0_20block_scan_algorithmE0ELj4294967295EEENS1_25partition_config_selectorILNS1_17partition_subalgoE3EjNS0_10empty_typeEbEEZZNS1_14partition_implILS8_3ELb0ES6_jNS0_17counting_iteratorIjlEEPS9_SE_NS0_5tupleIJPjSE_EEENSF_IJSE_SE_EEES9_SG_JZNS1_25segmented_radix_sort_implINS0_14default_configELb0EPKdPdPKlPlN2at6native12_GLOBAL__N_18offset_tEEE10hipError_tPvRmT1_PNSt15iterator_traitsISY_E10value_typeET2_T3_PNSZ_IS14_E10value_typeET4_jRbjT5_S1A_jjP12ihipStream_tbEUljE_EEESV_SW_SX_S14_S18_S1A_T6_T7_T9_mT8_S1C_bDpT10_ENKUlT_T0_E_clISt17integral_constantIbLb1EES1P_EEDaS1K_S1L_EUlS1K_E_NS1_11comp_targetILNS1_3genE3ELNS1_11target_archE908ELNS1_3gpuE7ELNS1_3repE0EEENS1_30default_config_static_selectorELNS0_4arch9wavefront6targetE0EEEvSY_,@function
_ZN7rocprim17ROCPRIM_400000_NS6detail17trampoline_kernelINS0_13select_configILj256ELj13ELNS0_17block_load_methodE3ELS4_3ELS4_3ELNS0_20block_scan_algorithmE0ELj4294967295EEENS1_25partition_config_selectorILNS1_17partition_subalgoE3EjNS0_10empty_typeEbEEZZNS1_14partition_implILS8_3ELb0ES6_jNS0_17counting_iteratorIjlEEPS9_SE_NS0_5tupleIJPjSE_EEENSF_IJSE_SE_EEES9_SG_JZNS1_25segmented_radix_sort_implINS0_14default_configELb0EPKdPdPKlPlN2at6native12_GLOBAL__N_18offset_tEEE10hipError_tPvRmT1_PNSt15iterator_traitsISY_E10value_typeET2_T3_PNSZ_IS14_E10value_typeET4_jRbjT5_S1A_jjP12ihipStream_tbEUljE_EEESV_SW_SX_S14_S18_S1A_T6_T7_T9_mT8_S1C_bDpT10_ENKUlT_T0_E_clISt17integral_constantIbLb1EES1P_EEDaS1K_S1L_EUlS1K_E_NS1_11comp_targetILNS1_3genE3ELNS1_11target_archE908ELNS1_3gpuE7ELNS1_3repE0EEENS1_30default_config_static_selectorELNS0_4arch9wavefront6targetE0EEEvSY_: ; @_ZN7rocprim17ROCPRIM_400000_NS6detail17trampoline_kernelINS0_13select_configILj256ELj13ELNS0_17block_load_methodE3ELS4_3ELS4_3ELNS0_20block_scan_algorithmE0ELj4294967295EEENS1_25partition_config_selectorILNS1_17partition_subalgoE3EjNS0_10empty_typeEbEEZZNS1_14partition_implILS8_3ELb0ES6_jNS0_17counting_iteratorIjlEEPS9_SE_NS0_5tupleIJPjSE_EEENSF_IJSE_SE_EEES9_SG_JZNS1_25segmented_radix_sort_implINS0_14default_configELb0EPKdPdPKlPlN2at6native12_GLOBAL__N_18offset_tEEE10hipError_tPvRmT1_PNSt15iterator_traitsISY_E10value_typeET2_T3_PNSZ_IS14_E10value_typeET4_jRbjT5_S1A_jjP12ihipStream_tbEUljE_EEESV_SW_SX_S14_S18_S1A_T6_T7_T9_mT8_S1C_bDpT10_ENKUlT_T0_E_clISt17integral_constantIbLb1EES1P_EEDaS1K_S1L_EUlS1K_E_NS1_11comp_targetILNS1_3genE3ELNS1_11target_archE908ELNS1_3gpuE7ELNS1_3repE0EEENS1_30default_config_static_selectorELNS0_4arch9wavefront6targetE0EEEvSY_
; %bb.0:
	.section	.rodata,"a",@progbits
	.p2align	6, 0x0
	.amdhsa_kernel _ZN7rocprim17ROCPRIM_400000_NS6detail17trampoline_kernelINS0_13select_configILj256ELj13ELNS0_17block_load_methodE3ELS4_3ELS4_3ELNS0_20block_scan_algorithmE0ELj4294967295EEENS1_25partition_config_selectorILNS1_17partition_subalgoE3EjNS0_10empty_typeEbEEZZNS1_14partition_implILS8_3ELb0ES6_jNS0_17counting_iteratorIjlEEPS9_SE_NS0_5tupleIJPjSE_EEENSF_IJSE_SE_EEES9_SG_JZNS1_25segmented_radix_sort_implINS0_14default_configELb0EPKdPdPKlPlN2at6native12_GLOBAL__N_18offset_tEEE10hipError_tPvRmT1_PNSt15iterator_traitsISY_E10value_typeET2_T3_PNSZ_IS14_E10value_typeET4_jRbjT5_S1A_jjP12ihipStream_tbEUljE_EEESV_SW_SX_S14_S18_S1A_T6_T7_T9_mT8_S1C_bDpT10_ENKUlT_T0_E_clISt17integral_constantIbLb1EES1P_EEDaS1K_S1L_EUlS1K_E_NS1_11comp_targetILNS1_3genE3ELNS1_11target_archE908ELNS1_3gpuE7ELNS1_3repE0EEENS1_30default_config_static_selectorELNS0_4arch9wavefront6targetE0EEEvSY_
		.amdhsa_group_segment_fixed_size 0
		.amdhsa_private_segment_fixed_size 0
		.amdhsa_kernarg_size 152
		.amdhsa_user_sgpr_count 2
		.amdhsa_user_sgpr_dispatch_ptr 0
		.amdhsa_user_sgpr_queue_ptr 0
		.amdhsa_user_sgpr_kernarg_segment_ptr 1
		.amdhsa_user_sgpr_dispatch_id 0
		.amdhsa_user_sgpr_kernarg_preload_length 0
		.amdhsa_user_sgpr_kernarg_preload_offset 0
		.amdhsa_user_sgpr_private_segment_size 0
		.amdhsa_wavefront_size32 1
		.amdhsa_uses_dynamic_stack 0
		.amdhsa_enable_private_segment 0
		.amdhsa_system_sgpr_workgroup_id_x 1
		.amdhsa_system_sgpr_workgroup_id_y 0
		.amdhsa_system_sgpr_workgroup_id_z 0
		.amdhsa_system_sgpr_workgroup_info 0
		.amdhsa_system_vgpr_workitem_id 0
		.amdhsa_next_free_vgpr 1
		.amdhsa_next_free_sgpr 1
		.amdhsa_named_barrier_count 0
		.amdhsa_reserve_vcc 0
		.amdhsa_float_round_mode_32 0
		.amdhsa_float_round_mode_16_64 0
		.amdhsa_float_denorm_mode_32 3
		.amdhsa_float_denorm_mode_16_64 3
		.amdhsa_fp16_overflow 0
		.amdhsa_memory_ordered 1
		.amdhsa_forward_progress 1
		.amdhsa_inst_pref_size 0
		.amdhsa_round_robin_scheduling 0
		.amdhsa_exception_fp_ieee_invalid_op 0
		.amdhsa_exception_fp_denorm_src 0
		.amdhsa_exception_fp_ieee_div_zero 0
		.amdhsa_exception_fp_ieee_overflow 0
		.amdhsa_exception_fp_ieee_underflow 0
		.amdhsa_exception_fp_ieee_inexact 0
		.amdhsa_exception_int_div_zero 0
	.end_amdhsa_kernel
	.section	.text._ZN7rocprim17ROCPRIM_400000_NS6detail17trampoline_kernelINS0_13select_configILj256ELj13ELNS0_17block_load_methodE3ELS4_3ELS4_3ELNS0_20block_scan_algorithmE0ELj4294967295EEENS1_25partition_config_selectorILNS1_17partition_subalgoE3EjNS0_10empty_typeEbEEZZNS1_14partition_implILS8_3ELb0ES6_jNS0_17counting_iteratorIjlEEPS9_SE_NS0_5tupleIJPjSE_EEENSF_IJSE_SE_EEES9_SG_JZNS1_25segmented_radix_sort_implINS0_14default_configELb0EPKdPdPKlPlN2at6native12_GLOBAL__N_18offset_tEEE10hipError_tPvRmT1_PNSt15iterator_traitsISY_E10value_typeET2_T3_PNSZ_IS14_E10value_typeET4_jRbjT5_S1A_jjP12ihipStream_tbEUljE_EEESV_SW_SX_S14_S18_S1A_T6_T7_T9_mT8_S1C_bDpT10_ENKUlT_T0_E_clISt17integral_constantIbLb1EES1P_EEDaS1K_S1L_EUlS1K_E_NS1_11comp_targetILNS1_3genE3ELNS1_11target_archE908ELNS1_3gpuE7ELNS1_3repE0EEENS1_30default_config_static_selectorELNS0_4arch9wavefront6targetE0EEEvSY_,"axG",@progbits,_ZN7rocprim17ROCPRIM_400000_NS6detail17trampoline_kernelINS0_13select_configILj256ELj13ELNS0_17block_load_methodE3ELS4_3ELS4_3ELNS0_20block_scan_algorithmE0ELj4294967295EEENS1_25partition_config_selectorILNS1_17partition_subalgoE3EjNS0_10empty_typeEbEEZZNS1_14partition_implILS8_3ELb0ES6_jNS0_17counting_iteratorIjlEEPS9_SE_NS0_5tupleIJPjSE_EEENSF_IJSE_SE_EEES9_SG_JZNS1_25segmented_radix_sort_implINS0_14default_configELb0EPKdPdPKlPlN2at6native12_GLOBAL__N_18offset_tEEE10hipError_tPvRmT1_PNSt15iterator_traitsISY_E10value_typeET2_T3_PNSZ_IS14_E10value_typeET4_jRbjT5_S1A_jjP12ihipStream_tbEUljE_EEESV_SW_SX_S14_S18_S1A_T6_T7_T9_mT8_S1C_bDpT10_ENKUlT_T0_E_clISt17integral_constantIbLb1EES1P_EEDaS1K_S1L_EUlS1K_E_NS1_11comp_targetILNS1_3genE3ELNS1_11target_archE908ELNS1_3gpuE7ELNS1_3repE0EEENS1_30default_config_static_selectorELNS0_4arch9wavefront6targetE0EEEvSY_,comdat
.Lfunc_end1194:
	.size	_ZN7rocprim17ROCPRIM_400000_NS6detail17trampoline_kernelINS0_13select_configILj256ELj13ELNS0_17block_load_methodE3ELS4_3ELS4_3ELNS0_20block_scan_algorithmE0ELj4294967295EEENS1_25partition_config_selectorILNS1_17partition_subalgoE3EjNS0_10empty_typeEbEEZZNS1_14partition_implILS8_3ELb0ES6_jNS0_17counting_iteratorIjlEEPS9_SE_NS0_5tupleIJPjSE_EEENSF_IJSE_SE_EEES9_SG_JZNS1_25segmented_radix_sort_implINS0_14default_configELb0EPKdPdPKlPlN2at6native12_GLOBAL__N_18offset_tEEE10hipError_tPvRmT1_PNSt15iterator_traitsISY_E10value_typeET2_T3_PNSZ_IS14_E10value_typeET4_jRbjT5_S1A_jjP12ihipStream_tbEUljE_EEESV_SW_SX_S14_S18_S1A_T6_T7_T9_mT8_S1C_bDpT10_ENKUlT_T0_E_clISt17integral_constantIbLb1EES1P_EEDaS1K_S1L_EUlS1K_E_NS1_11comp_targetILNS1_3genE3ELNS1_11target_archE908ELNS1_3gpuE7ELNS1_3repE0EEENS1_30default_config_static_selectorELNS0_4arch9wavefront6targetE0EEEvSY_, .Lfunc_end1194-_ZN7rocprim17ROCPRIM_400000_NS6detail17trampoline_kernelINS0_13select_configILj256ELj13ELNS0_17block_load_methodE3ELS4_3ELS4_3ELNS0_20block_scan_algorithmE0ELj4294967295EEENS1_25partition_config_selectorILNS1_17partition_subalgoE3EjNS0_10empty_typeEbEEZZNS1_14partition_implILS8_3ELb0ES6_jNS0_17counting_iteratorIjlEEPS9_SE_NS0_5tupleIJPjSE_EEENSF_IJSE_SE_EEES9_SG_JZNS1_25segmented_radix_sort_implINS0_14default_configELb0EPKdPdPKlPlN2at6native12_GLOBAL__N_18offset_tEEE10hipError_tPvRmT1_PNSt15iterator_traitsISY_E10value_typeET2_T3_PNSZ_IS14_E10value_typeET4_jRbjT5_S1A_jjP12ihipStream_tbEUljE_EEESV_SW_SX_S14_S18_S1A_T6_T7_T9_mT8_S1C_bDpT10_ENKUlT_T0_E_clISt17integral_constantIbLb1EES1P_EEDaS1K_S1L_EUlS1K_E_NS1_11comp_targetILNS1_3genE3ELNS1_11target_archE908ELNS1_3gpuE7ELNS1_3repE0EEENS1_30default_config_static_selectorELNS0_4arch9wavefront6targetE0EEEvSY_
                                        ; -- End function
	.set _ZN7rocprim17ROCPRIM_400000_NS6detail17trampoline_kernelINS0_13select_configILj256ELj13ELNS0_17block_load_methodE3ELS4_3ELS4_3ELNS0_20block_scan_algorithmE0ELj4294967295EEENS1_25partition_config_selectorILNS1_17partition_subalgoE3EjNS0_10empty_typeEbEEZZNS1_14partition_implILS8_3ELb0ES6_jNS0_17counting_iteratorIjlEEPS9_SE_NS0_5tupleIJPjSE_EEENSF_IJSE_SE_EEES9_SG_JZNS1_25segmented_radix_sort_implINS0_14default_configELb0EPKdPdPKlPlN2at6native12_GLOBAL__N_18offset_tEEE10hipError_tPvRmT1_PNSt15iterator_traitsISY_E10value_typeET2_T3_PNSZ_IS14_E10value_typeET4_jRbjT5_S1A_jjP12ihipStream_tbEUljE_EEESV_SW_SX_S14_S18_S1A_T6_T7_T9_mT8_S1C_bDpT10_ENKUlT_T0_E_clISt17integral_constantIbLb1EES1P_EEDaS1K_S1L_EUlS1K_E_NS1_11comp_targetILNS1_3genE3ELNS1_11target_archE908ELNS1_3gpuE7ELNS1_3repE0EEENS1_30default_config_static_selectorELNS0_4arch9wavefront6targetE0EEEvSY_.num_vgpr, 0
	.set _ZN7rocprim17ROCPRIM_400000_NS6detail17trampoline_kernelINS0_13select_configILj256ELj13ELNS0_17block_load_methodE3ELS4_3ELS4_3ELNS0_20block_scan_algorithmE0ELj4294967295EEENS1_25partition_config_selectorILNS1_17partition_subalgoE3EjNS0_10empty_typeEbEEZZNS1_14partition_implILS8_3ELb0ES6_jNS0_17counting_iteratorIjlEEPS9_SE_NS0_5tupleIJPjSE_EEENSF_IJSE_SE_EEES9_SG_JZNS1_25segmented_radix_sort_implINS0_14default_configELb0EPKdPdPKlPlN2at6native12_GLOBAL__N_18offset_tEEE10hipError_tPvRmT1_PNSt15iterator_traitsISY_E10value_typeET2_T3_PNSZ_IS14_E10value_typeET4_jRbjT5_S1A_jjP12ihipStream_tbEUljE_EEESV_SW_SX_S14_S18_S1A_T6_T7_T9_mT8_S1C_bDpT10_ENKUlT_T0_E_clISt17integral_constantIbLb1EES1P_EEDaS1K_S1L_EUlS1K_E_NS1_11comp_targetILNS1_3genE3ELNS1_11target_archE908ELNS1_3gpuE7ELNS1_3repE0EEENS1_30default_config_static_selectorELNS0_4arch9wavefront6targetE0EEEvSY_.num_agpr, 0
	.set _ZN7rocprim17ROCPRIM_400000_NS6detail17trampoline_kernelINS0_13select_configILj256ELj13ELNS0_17block_load_methodE3ELS4_3ELS4_3ELNS0_20block_scan_algorithmE0ELj4294967295EEENS1_25partition_config_selectorILNS1_17partition_subalgoE3EjNS0_10empty_typeEbEEZZNS1_14partition_implILS8_3ELb0ES6_jNS0_17counting_iteratorIjlEEPS9_SE_NS0_5tupleIJPjSE_EEENSF_IJSE_SE_EEES9_SG_JZNS1_25segmented_radix_sort_implINS0_14default_configELb0EPKdPdPKlPlN2at6native12_GLOBAL__N_18offset_tEEE10hipError_tPvRmT1_PNSt15iterator_traitsISY_E10value_typeET2_T3_PNSZ_IS14_E10value_typeET4_jRbjT5_S1A_jjP12ihipStream_tbEUljE_EEESV_SW_SX_S14_S18_S1A_T6_T7_T9_mT8_S1C_bDpT10_ENKUlT_T0_E_clISt17integral_constantIbLb1EES1P_EEDaS1K_S1L_EUlS1K_E_NS1_11comp_targetILNS1_3genE3ELNS1_11target_archE908ELNS1_3gpuE7ELNS1_3repE0EEENS1_30default_config_static_selectorELNS0_4arch9wavefront6targetE0EEEvSY_.numbered_sgpr, 0
	.set _ZN7rocprim17ROCPRIM_400000_NS6detail17trampoline_kernelINS0_13select_configILj256ELj13ELNS0_17block_load_methodE3ELS4_3ELS4_3ELNS0_20block_scan_algorithmE0ELj4294967295EEENS1_25partition_config_selectorILNS1_17partition_subalgoE3EjNS0_10empty_typeEbEEZZNS1_14partition_implILS8_3ELb0ES6_jNS0_17counting_iteratorIjlEEPS9_SE_NS0_5tupleIJPjSE_EEENSF_IJSE_SE_EEES9_SG_JZNS1_25segmented_radix_sort_implINS0_14default_configELb0EPKdPdPKlPlN2at6native12_GLOBAL__N_18offset_tEEE10hipError_tPvRmT1_PNSt15iterator_traitsISY_E10value_typeET2_T3_PNSZ_IS14_E10value_typeET4_jRbjT5_S1A_jjP12ihipStream_tbEUljE_EEESV_SW_SX_S14_S18_S1A_T6_T7_T9_mT8_S1C_bDpT10_ENKUlT_T0_E_clISt17integral_constantIbLb1EES1P_EEDaS1K_S1L_EUlS1K_E_NS1_11comp_targetILNS1_3genE3ELNS1_11target_archE908ELNS1_3gpuE7ELNS1_3repE0EEENS1_30default_config_static_selectorELNS0_4arch9wavefront6targetE0EEEvSY_.num_named_barrier, 0
	.set _ZN7rocprim17ROCPRIM_400000_NS6detail17trampoline_kernelINS0_13select_configILj256ELj13ELNS0_17block_load_methodE3ELS4_3ELS4_3ELNS0_20block_scan_algorithmE0ELj4294967295EEENS1_25partition_config_selectorILNS1_17partition_subalgoE3EjNS0_10empty_typeEbEEZZNS1_14partition_implILS8_3ELb0ES6_jNS0_17counting_iteratorIjlEEPS9_SE_NS0_5tupleIJPjSE_EEENSF_IJSE_SE_EEES9_SG_JZNS1_25segmented_radix_sort_implINS0_14default_configELb0EPKdPdPKlPlN2at6native12_GLOBAL__N_18offset_tEEE10hipError_tPvRmT1_PNSt15iterator_traitsISY_E10value_typeET2_T3_PNSZ_IS14_E10value_typeET4_jRbjT5_S1A_jjP12ihipStream_tbEUljE_EEESV_SW_SX_S14_S18_S1A_T6_T7_T9_mT8_S1C_bDpT10_ENKUlT_T0_E_clISt17integral_constantIbLb1EES1P_EEDaS1K_S1L_EUlS1K_E_NS1_11comp_targetILNS1_3genE3ELNS1_11target_archE908ELNS1_3gpuE7ELNS1_3repE0EEENS1_30default_config_static_selectorELNS0_4arch9wavefront6targetE0EEEvSY_.private_seg_size, 0
	.set _ZN7rocprim17ROCPRIM_400000_NS6detail17trampoline_kernelINS0_13select_configILj256ELj13ELNS0_17block_load_methodE3ELS4_3ELS4_3ELNS0_20block_scan_algorithmE0ELj4294967295EEENS1_25partition_config_selectorILNS1_17partition_subalgoE3EjNS0_10empty_typeEbEEZZNS1_14partition_implILS8_3ELb0ES6_jNS0_17counting_iteratorIjlEEPS9_SE_NS0_5tupleIJPjSE_EEENSF_IJSE_SE_EEES9_SG_JZNS1_25segmented_radix_sort_implINS0_14default_configELb0EPKdPdPKlPlN2at6native12_GLOBAL__N_18offset_tEEE10hipError_tPvRmT1_PNSt15iterator_traitsISY_E10value_typeET2_T3_PNSZ_IS14_E10value_typeET4_jRbjT5_S1A_jjP12ihipStream_tbEUljE_EEESV_SW_SX_S14_S18_S1A_T6_T7_T9_mT8_S1C_bDpT10_ENKUlT_T0_E_clISt17integral_constantIbLb1EES1P_EEDaS1K_S1L_EUlS1K_E_NS1_11comp_targetILNS1_3genE3ELNS1_11target_archE908ELNS1_3gpuE7ELNS1_3repE0EEENS1_30default_config_static_selectorELNS0_4arch9wavefront6targetE0EEEvSY_.uses_vcc, 0
	.set _ZN7rocprim17ROCPRIM_400000_NS6detail17trampoline_kernelINS0_13select_configILj256ELj13ELNS0_17block_load_methodE3ELS4_3ELS4_3ELNS0_20block_scan_algorithmE0ELj4294967295EEENS1_25partition_config_selectorILNS1_17partition_subalgoE3EjNS0_10empty_typeEbEEZZNS1_14partition_implILS8_3ELb0ES6_jNS0_17counting_iteratorIjlEEPS9_SE_NS0_5tupleIJPjSE_EEENSF_IJSE_SE_EEES9_SG_JZNS1_25segmented_radix_sort_implINS0_14default_configELb0EPKdPdPKlPlN2at6native12_GLOBAL__N_18offset_tEEE10hipError_tPvRmT1_PNSt15iterator_traitsISY_E10value_typeET2_T3_PNSZ_IS14_E10value_typeET4_jRbjT5_S1A_jjP12ihipStream_tbEUljE_EEESV_SW_SX_S14_S18_S1A_T6_T7_T9_mT8_S1C_bDpT10_ENKUlT_T0_E_clISt17integral_constantIbLb1EES1P_EEDaS1K_S1L_EUlS1K_E_NS1_11comp_targetILNS1_3genE3ELNS1_11target_archE908ELNS1_3gpuE7ELNS1_3repE0EEENS1_30default_config_static_selectorELNS0_4arch9wavefront6targetE0EEEvSY_.uses_flat_scratch, 0
	.set _ZN7rocprim17ROCPRIM_400000_NS6detail17trampoline_kernelINS0_13select_configILj256ELj13ELNS0_17block_load_methodE3ELS4_3ELS4_3ELNS0_20block_scan_algorithmE0ELj4294967295EEENS1_25partition_config_selectorILNS1_17partition_subalgoE3EjNS0_10empty_typeEbEEZZNS1_14partition_implILS8_3ELb0ES6_jNS0_17counting_iteratorIjlEEPS9_SE_NS0_5tupleIJPjSE_EEENSF_IJSE_SE_EEES9_SG_JZNS1_25segmented_radix_sort_implINS0_14default_configELb0EPKdPdPKlPlN2at6native12_GLOBAL__N_18offset_tEEE10hipError_tPvRmT1_PNSt15iterator_traitsISY_E10value_typeET2_T3_PNSZ_IS14_E10value_typeET4_jRbjT5_S1A_jjP12ihipStream_tbEUljE_EEESV_SW_SX_S14_S18_S1A_T6_T7_T9_mT8_S1C_bDpT10_ENKUlT_T0_E_clISt17integral_constantIbLb1EES1P_EEDaS1K_S1L_EUlS1K_E_NS1_11comp_targetILNS1_3genE3ELNS1_11target_archE908ELNS1_3gpuE7ELNS1_3repE0EEENS1_30default_config_static_selectorELNS0_4arch9wavefront6targetE0EEEvSY_.has_dyn_sized_stack, 0
	.set _ZN7rocprim17ROCPRIM_400000_NS6detail17trampoline_kernelINS0_13select_configILj256ELj13ELNS0_17block_load_methodE3ELS4_3ELS4_3ELNS0_20block_scan_algorithmE0ELj4294967295EEENS1_25partition_config_selectorILNS1_17partition_subalgoE3EjNS0_10empty_typeEbEEZZNS1_14partition_implILS8_3ELb0ES6_jNS0_17counting_iteratorIjlEEPS9_SE_NS0_5tupleIJPjSE_EEENSF_IJSE_SE_EEES9_SG_JZNS1_25segmented_radix_sort_implINS0_14default_configELb0EPKdPdPKlPlN2at6native12_GLOBAL__N_18offset_tEEE10hipError_tPvRmT1_PNSt15iterator_traitsISY_E10value_typeET2_T3_PNSZ_IS14_E10value_typeET4_jRbjT5_S1A_jjP12ihipStream_tbEUljE_EEESV_SW_SX_S14_S18_S1A_T6_T7_T9_mT8_S1C_bDpT10_ENKUlT_T0_E_clISt17integral_constantIbLb1EES1P_EEDaS1K_S1L_EUlS1K_E_NS1_11comp_targetILNS1_3genE3ELNS1_11target_archE908ELNS1_3gpuE7ELNS1_3repE0EEENS1_30default_config_static_selectorELNS0_4arch9wavefront6targetE0EEEvSY_.has_recursion, 0
	.set _ZN7rocprim17ROCPRIM_400000_NS6detail17trampoline_kernelINS0_13select_configILj256ELj13ELNS0_17block_load_methodE3ELS4_3ELS4_3ELNS0_20block_scan_algorithmE0ELj4294967295EEENS1_25partition_config_selectorILNS1_17partition_subalgoE3EjNS0_10empty_typeEbEEZZNS1_14partition_implILS8_3ELb0ES6_jNS0_17counting_iteratorIjlEEPS9_SE_NS0_5tupleIJPjSE_EEENSF_IJSE_SE_EEES9_SG_JZNS1_25segmented_radix_sort_implINS0_14default_configELb0EPKdPdPKlPlN2at6native12_GLOBAL__N_18offset_tEEE10hipError_tPvRmT1_PNSt15iterator_traitsISY_E10value_typeET2_T3_PNSZ_IS14_E10value_typeET4_jRbjT5_S1A_jjP12ihipStream_tbEUljE_EEESV_SW_SX_S14_S18_S1A_T6_T7_T9_mT8_S1C_bDpT10_ENKUlT_T0_E_clISt17integral_constantIbLb1EES1P_EEDaS1K_S1L_EUlS1K_E_NS1_11comp_targetILNS1_3genE3ELNS1_11target_archE908ELNS1_3gpuE7ELNS1_3repE0EEENS1_30default_config_static_selectorELNS0_4arch9wavefront6targetE0EEEvSY_.has_indirect_call, 0
	.section	.AMDGPU.csdata,"",@progbits
; Kernel info:
; codeLenInByte = 0
; TotalNumSgprs: 0
; NumVgprs: 0
; ScratchSize: 0
; MemoryBound: 0
; FloatMode: 240
; IeeeMode: 1
; LDSByteSize: 0 bytes/workgroup (compile time only)
; SGPRBlocks: 0
; VGPRBlocks: 0
; NumSGPRsForWavesPerEU: 1
; NumVGPRsForWavesPerEU: 1
; NamedBarCnt: 0
; Occupancy: 16
; WaveLimiterHint : 0
; COMPUTE_PGM_RSRC2:SCRATCH_EN: 0
; COMPUTE_PGM_RSRC2:USER_SGPR: 2
; COMPUTE_PGM_RSRC2:TRAP_HANDLER: 0
; COMPUTE_PGM_RSRC2:TGID_X_EN: 1
; COMPUTE_PGM_RSRC2:TGID_Y_EN: 0
; COMPUTE_PGM_RSRC2:TGID_Z_EN: 0
; COMPUTE_PGM_RSRC2:TIDIG_COMP_CNT: 0
	.section	.text._ZN7rocprim17ROCPRIM_400000_NS6detail17trampoline_kernelINS0_13select_configILj256ELj13ELNS0_17block_load_methodE3ELS4_3ELS4_3ELNS0_20block_scan_algorithmE0ELj4294967295EEENS1_25partition_config_selectorILNS1_17partition_subalgoE3EjNS0_10empty_typeEbEEZZNS1_14partition_implILS8_3ELb0ES6_jNS0_17counting_iteratorIjlEEPS9_SE_NS0_5tupleIJPjSE_EEENSF_IJSE_SE_EEES9_SG_JZNS1_25segmented_radix_sort_implINS0_14default_configELb0EPKdPdPKlPlN2at6native12_GLOBAL__N_18offset_tEEE10hipError_tPvRmT1_PNSt15iterator_traitsISY_E10value_typeET2_T3_PNSZ_IS14_E10value_typeET4_jRbjT5_S1A_jjP12ihipStream_tbEUljE_EEESV_SW_SX_S14_S18_S1A_T6_T7_T9_mT8_S1C_bDpT10_ENKUlT_T0_E_clISt17integral_constantIbLb1EES1P_EEDaS1K_S1L_EUlS1K_E_NS1_11comp_targetILNS1_3genE2ELNS1_11target_archE906ELNS1_3gpuE6ELNS1_3repE0EEENS1_30default_config_static_selectorELNS0_4arch9wavefront6targetE0EEEvSY_,"axG",@progbits,_ZN7rocprim17ROCPRIM_400000_NS6detail17trampoline_kernelINS0_13select_configILj256ELj13ELNS0_17block_load_methodE3ELS4_3ELS4_3ELNS0_20block_scan_algorithmE0ELj4294967295EEENS1_25partition_config_selectorILNS1_17partition_subalgoE3EjNS0_10empty_typeEbEEZZNS1_14partition_implILS8_3ELb0ES6_jNS0_17counting_iteratorIjlEEPS9_SE_NS0_5tupleIJPjSE_EEENSF_IJSE_SE_EEES9_SG_JZNS1_25segmented_radix_sort_implINS0_14default_configELb0EPKdPdPKlPlN2at6native12_GLOBAL__N_18offset_tEEE10hipError_tPvRmT1_PNSt15iterator_traitsISY_E10value_typeET2_T3_PNSZ_IS14_E10value_typeET4_jRbjT5_S1A_jjP12ihipStream_tbEUljE_EEESV_SW_SX_S14_S18_S1A_T6_T7_T9_mT8_S1C_bDpT10_ENKUlT_T0_E_clISt17integral_constantIbLb1EES1P_EEDaS1K_S1L_EUlS1K_E_NS1_11comp_targetILNS1_3genE2ELNS1_11target_archE906ELNS1_3gpuE6ELNS1_3repE0EEENS1_30default_config_static_selectorELNS0_4arch9wavefront6targetE0EEEvSY_,comdat
	.globl	_ZN7rocprim17ROCPRIM_400000_NS6detail17trampoline_kernelINS0_13select_configILj256ELj13ELNS0_17block_load_methodE3ELS4_3ELS4_3ELNS0_20block_scan_algorithmE0ELj4294967295EEENS1_25partition_config_selectorILNS1_17partition_subalgoE3EjNS0_10empty_typeEbEEZZNS1_14partition_implILS8_3ELb0ES6_jNS0_17counting_iteratorIjlEEPS9_SE_NS0_5tupleIJPjSE_EEENSF_IJSE_SE_EEES9_SG_JZNS1_25segmented_radix_sort_implINS0_14default_configELb0EPKdPdPKlPlN2at6native12_GLOBAL__N_18offset_tEEE10hipError_tPvRmT1_PNSt15iterator_traitsISY_E10value_typeET2_T3_PNSZ_IS14_E10value_typeET4_jRbjT5_S1A_jjP12ihipStream_tbEUljE_EEESV_SW_SX_S14_S18_S1A_T6_T7_T9_mT8_S1C_bDpT10_ENKUlT_T0_E_clISt17integral_constantIbLb1EES1P_EEDaS1K_S1L_EUlS1K_E_NS1_11comp_targetILNS1_3genE2ELNS1_11target_archE906ELNS1_3gpuE6ELNS1_3repE0EEENS1_30default_config_static_selectorELNS0_4arch9wavefront6targetE0EEEvSY_ ; -- Begin function _ZN7rocprim17ROCPRIM_400000_NS6detail17trampoline_kernelINS0_13select_configILj256ELj13ELNS0_17block_load_methodE3ELS4_3ELS4_3ELNS0_20block_scan_algorithmE0ELj4294967295EEENS1_25partition_config_selectorILNS1_17partition_subalgoE3EjNS0_10empty_typeEbEEZZNS1_14partition_implILS8_3ELb0ES6_jNS0_17counting_iteratorIjlEEPS9_SE_NS0_5tupleIJPjSE_EEENSF_IJSE_SE_EEES9_SG_JZNS1_25segmented_radix_sort_implINS0_14default_configELb0EPKdPdPKlPlN2at6native12_GLOBAL__N_18offset_tEEE10hipError_tPvRmT1_PNSt15iterator_traitsISY_E10value_typeET2_T3_PNSZ_IS14_E10value_typeET4_jRbjT5_S1A_jjP12ihipStream_tbEUljE_EEESV_SW_SX_S14_S18_S1A_T6_T7_T9_mT8_S1C_bDpT10_ENKUlT_T0_E_clISt17integral_constantIbLb1EES1P_EEDaS1K_S1L_EUlS1K_E_NS1_11comp_targetILNS1_3genE2ELNS1_11target_archE906ELNS1_3gpuE6ELNS1_3repE0EEENS1_30default_config_static_selectorELNS0_4arch9wavefront6targetE0EEEvSY_
	.p2align	8
	.type	_ZN7rocprim17ROCPRIM_400000_NS6detail17trampoline_kernelINS0_13select_configILj256ELj13ELNS0_17block_load_methodE3ELS4_3ELS4_3ELNS0_20block_scan_algorithmE0ELj4294967295EEENS1_25partition_config_selectorILNS1_17partition_subalgoE3EjNS0_10empty_typeEbEEZZNS1_14partition_implILS8_3ELb0ES6_jNS0_17counting_iteratorIjlEEPS9_SE_NS0_5tupleIJPjSE_EEENSF_IJSE_SE_EEES9_SG_JZNS1_25segmented_radix_sort_implINS0_14default_configELb0EPKdPdPKlPlN2at6native12_GLOBAL__N_18offset_tEEE10hipError_tPvRmT1_PNSt15iterator_traitsISY_E10value_typeET2_T3_PNSZ_IS14_E10value_typeET4_jRbjT5_S1A_jjP12ihipStream_tbEUljE_EEESV_SW_SX_S14_S18_S1A_T6_T7_T9_mT8_S1C_bDpT10_ENKUlT_T0_E_clISt17integral_constantIbLb1EES1P_EEDaS1K_S1L_EUlS1K_E_NS1_11comp_targetILNS1_3genE2ELNS1_11target_archE906ELNS1_3gpuE6ELNS1_3repE0EEENS1_30default_config_static_selectorELNS0_4arch9wavefront6targetE0EEEvSY_,@function
_ZN7rocprim17ROCPRIM_400000_NS6detail17trampoline_kernelINS0_13select_configILj256ELj13ELNS0_17block_load_methodE3ELS4_3ELS4_3ELNS0_20block_scan_algorithmE0ELj4294967295EEENS1_25partition_config_selectorILNS1_17partition_subalgoE3EjNS0_10empty_typeEbEEZZNS1_14partition_implILS8_3ELb0ES6_jNS0_17counting_iteratorIjlEEPS9_SE_NS0_5tupleIJPjSE_EEENSF_IJSE_SE_EEES9_SG_JZNS1_25segmented_radix_sort_implINS0_14default_configELb0EPKdPdPKlPlN2at6native12_GLOBAL__N_18offset_tEEE10hipError_tPvRmT1_PNSt15iterator_traitsISY_E10value_typeET2_T3_PNSZ_IS14_E10value_typeET4_jRbjT5_S1A_jjP12ihipStream_tbEUljE_EEESV_SW_SX_S14_S18_S1A_T6_T7_T9_mT8_S1C_bDpT10_ENKUlT_T0_E_clISt17integral_constantIbLb1EES1P_EEDaS1K_S1L_EUlS1K_E_NS1_11comp_targetILNS1_3genE2ELNS1_11target_archE906ELNS1_3gpuE6ELNS1_3repE0EEENS1_30default_config_static_selectorELNS0_4arch9wavefront6targetE0EEEvSY_: ; @_ZN7rocprim17ROCPRIM_400000_NS6detail17trampoline_kernelINS0_13select_configILj256ELj13ELNS0_17block_load_methodE3ELS4_3ELS4_3ELNS0_20block_scan_algorithmE0ELj4294967295EEENS1_25partition_config_selectorILNS1_17partition_subalgoE3EjNS0_10empty_typeEbEEZZNS1_14partition_implILS8_3ELb0ES6_jNS0_17counting_iteratorIjlEEPS9_SE_NS0_5tupleIJPjSE_EEENSF_IJSE_SE_EEES9_SG_JZNS1_25segmented_radix_sort_implINS0_14default_configELb0EPKdPdPKlPlN2at6native12_GLOBAL__N_18offset_tEEE10hipError_tPvRmT1_PNSt15iterator_traitsISY_E10value_typeET2_T3_PNSZ_IS14_E10value_typeET4_jRbjT5_S1A_jjP12ihipStream_tbEUljE_EEESV_SW_SX_S14_S18_S1A_T6_T7_T9_mT8_S1C_bDpT10_ENKUlT_T0_E_clISt17integral_constantIbLb1EES1P_EEDaS1K_S1L_EUlS1K_E_NS1_11comp_targetILNS1_3genE2ELNS1_11target_archE906ELNS1_3gpuE6ELNS1_3repE0EEENS1_30default_config_static_selectorELNS0_4arch9wavefront6targetE0EEEvSY_
; %bb.0:
	.section	.rodata,"a",@progbits
	.p2align	6, 0x0
	.amdhsa_kernel _ZN7rocprim17ROCPRIM_400000_NS6detail17trampoline_kernelINS0_13select_configILj256ELj13ELNS0_17block_load_methodE3ELS4_3ELS4_3ELNS0_20block_scan_algorithmE0ELj4294967295EEENS1_25partition_config_selectorILNS1_17partition_subalgoE3EjNS0_10empty_typeEbEEZZNS1_14partition_implILS8_3ELb0ES6_jNS0_17counting_iteratorIjlEEPS9_SE_NS0_5tupleIJPjSE_EEENSF_IJSE_SE_EEES9_SG_JZNS1_25segmented_radix_sort_implINS0_14default_configELb0EPKdPdPKlPlN2at6native12_GLOBAL__N_18offset_tEEE10hipError_tPvRmT1_PNSt15iterator_traitsISY_E10value_typeET2_T3_PNSZ_IS14_E10value_typeET4_jRbjT5_S1A_jjP12ihipStream_tbEUljE_EEESV_SW_SX_S14_S18_S1A_T6_T7_T9_mT8_S1C_bDpT10_ENKUlT_T0_E_clISt17integral_constantIbLb1EES1P_EEDaS1K_S1L_EUlS1K_E_NS1_11comp_targetILNS1_3genE2ELNS1_11target_archE906ELNS1_3gpuE6ELNS1_3repE0EEENS1_30default_config_static_selectorELNS0_4arch9wavefront6targetE0EEEvSY_
		.amdhsa_group_segment_fixed_size 0
		.amdhsa_private_segment_fixed_size 0
		.amdhsa_kernarg_size 152
		.amdhsa_user_sgpr_count 2
		.amdhsa_user_sgpr_dispatch_ptr 0
		.amdhsa_user_sgpr_queue_ptr 0
		.amdhsa_user_sgpr_kernarg_segment_ptr 1
		.amdhsa_user_sgpr_dispatch_id 0
		.amdhsa_user_sgpr_kernarg_preload_length 0
		.amdhsa_user_sgpr_kernarg_preload_offset 0
		.amdhsa_user_sgpr_private_segment_size 0
		.amdhsa_wavefront_size32 1
		.amdhsa_uses_dynamic_stack 0
		.amdhsa_enable_private_segment 0
		.amdhsa_system_sgpr_workgroup_id_x 1
		.amdhsa_system_sgpr_workgroup_id_y 0
		.amdhsa_system_sgpr_workgroup_id_z 0
		.amdhsa_system_sgpr_workgroup_info 0
		.amdhsa_system_vgpr_workitem_id 0
		.amdhsa_next_free_vgpr 1
		.amdhsa_next_free_sgpr 1
		.amdhsa_named_barrier_count 0
		.amdhsa_reserve_vcc 0
		.amdhsa_float_round_mode_32 0
		.amdhsa_float_round_mode_16_64 0
		.amdhsa_float_denorm_mode_32 3
		.amdhsa_float_denorm_mode_16_64 3
		.amdhsa_fp16_overflow 0
		.amdhsa_memory_ordered 1
		.amdhsa_forward_progress 1
		.amdhsa_inst_pref_size 0
		.amdhsa_round_robin_scheduling 0
		.amdhsa_exception_fp_ieee_invalid_op 0
		.amdhsa_exception_fp_denorm_src 0
		.amdhsa_exception_fp_ieee_div_zero 0
		.amdhsa_exception_fp_ieee_overflow 0
		.amdhsa_exception_fp_ieee_underflow 0
		.amdhsa_exception_fp_ieee_inexact 0
		.amdhsa_exception_int_div_zero 0
	.end_amdhsa_kernel
	.section	.text._ZN7rocprim17ROCPRIM_400000_NS6detail17trampoline_kernelINS0_13select_configILj256ELj13ELNS0_17block_load_methodE3ELS4_3ELS4_3ELNS0_20block_scan_algorithmE0ELj4294967295EEENS1_25partition_config_selectorILNS1_17partition_subalgoE3EjNS0_10empty_typeEbEEZZNS1_14partition_implILS8_3ELb0ES6_jNS0_17counting_iteratorIjlEEPS9_SE_NS0_5tupleIJPjSE_EEENSF_IJSE_SE_EEES9_SG_JZNS1_25segmented_radix_sort_implINS0_14default_configELb0EPKdPdPKlPlN2at6native12_GLOBAL__N_18offset_tEEE10hipError_tPvRmT1_PNSt15iterator_traitsISY_E10value_typeET2_T3_PNSZ_IS14_E10value_typeET4_jRbjT5_S1A_jjP12ihipStream_tbEUljE_EEESV_SW_SX_S14_S18_S1A_T6_T7_T9_mT8_S1C_bDpT10_ENKUlT_T0_E_clISt17integral_constantIbLb1EES1P_EEDaS1K_S1L_EUlS1K_E_NS1_11comp_targetILNS1_3genE2ELNS1_11target_archE906ELNS1_3gpuE6ELNS1_3repE0EEENS1_30default_config_static_selectorELNS0_4arch9wavefront6targetE0EEEvSY_,"axG",@progbits,_ZN7rocprim17ROCPRIM_400000_NS6detail17trampoline_kernelINS0_13select_configILj256ELj13ELNS0_17block_load_methodE3ELS4_3ELS4_3ELNS0_20block_scan_algorithmE0ELj4294967295EEENS1_25partition_config_selectorILNS1_17partition_subalgoE3EjNS0_10empty_typeEbEEZZNS1_14partition_implILS8_3ELb0ES6_jNS0_17counting_iteratorIjlEEPS9_SE_NS0_5tupleIJPjSE_EEENSF_IJSE_SE_EEES9_SG_JZNS1_25segmented_radix_sort_implINS0_14default_configELb0EPKdPdPKlPlN2at6native12_GLOBAL__N_18offset_tEEE10hipError_tPvRmT1_PNSt15iterator_traitsISY_E10value_typeET2_T3_PNSZ_IS14_E10value_typeET4_jRbjT5_S1A_jjP12ihipStream_tbEUljE_EEESV_SW_SX_S14_S18_S1A_T6_T7_T9_mT8_S1C_bDpT10_ENKUlT_T0_E_clISt17integral_constantIbLb1EES1P_EEDaS1K_S1L_EUlS1K_E_NS1_11comp_targetILNS1_3genE2ELNS1_11target_archE906ELNS1_3gpuE6ELNS1_3repE0EEENS1_30default_config_static_selectorELNS0_4arch9wavefront6targetE0EEEvSY_,comdat
.Lfunc_end1195:
	.size	_ZN7rocprim17ROCPRIM_400000_NS6detail17trampoline_kernelINS0_13select_configILj256ELj13ELNS0_17block_load_methodE3ELS4_3ELS4_3ELNS0_20block_scan_algorithmE0ELj4294967295EEENS1_25partition_config_selectorILNS1_17partition_subalgoE3EjNS0_10empty_typeEbEEZZNS1_14partition_implILS8_3ELb0ES6_jNS0_17counting_iteratorIjlEEPS9_SE_NS0_5tupleIJPjSE_EEENSF_IJSE_SE_EEES9_SG_JZNS1_25segmented_radix_sort_implINS0_14default_configELb0EPKdPdPKlPlN2at6native12_GLOBAL__N_18offset_tEEE10hipError_tPvRmT1_PNSt15iterator_traitsISY_E10value_typeET2_T3_PNSZ_IS14_E10value_typeET4_jRbjT5_S1A_jjP12ihipStream_tbEUljE_EEESV_SW_SX_S14_S18_S1A_T6_T7_T9_mT8_S1C_bDpT10_ENKUlT_T0_E_clISt17integral_constantIbLb1EES1P_EEDaS1K_S1L_EUlS1K_E_NS1_11comp_targetILNS1_3genE2ELNS1_11target_archE906ELNS1_3gpuE6ELNS1_3repE0EEENS1_30default_config_static_selectorELNS0_4arch9wavefront6targetE0EEEvSY_, .Lfunc_end1195-_ZN7rocprim17ROCPRIM_400000_NS6detail17trampoline_kernelINS0_13select_configILj256ELj13ELNS0_17block_load_methodE3ELS4_3ELS4_3ELNS0_20block_scan_algorithmE0ELj4294967295EEENS1_25partition_config_selectorILNS1_17partition_subalgoE3EjNS0_10empty_typeEbEEZZNS1_14partition_implILS8_3ELb0ES6_jNS0_17counting_iteratorIjlEEPS9_SE_NS0_5tupleIJPjSE_EEENSF_IJSE_SE_EEES9_SG_JZNS1_25segmented_radix_sort_implINS0_14default_configELb0EPKdPdPKlPlN2at6native12_GLOBAL__N_18offset_tEEE10hipError_tPvRmT1_PNSt15iterator_traitsISY_E10value_typeET2_T3_PNSZ_IS14_E10value_typeET4_jRbjT5_S1A_jjP12ihipStream_tbEUljE_EEESV_SW_SX_S14_S18_S1A_T6_T7_T9_mT8_S1C_bDpT10_ENKUlT_T0_E_clISt17integral_constantIbLb1EES1P_EEDaS1K_S1L_EUlS1K_E_NS1_11comp_targetILNS1_3genE2ELNS1_11target_archE906ELNS1_3gpuE6ELNS1_3repE0EEENS1_30default_config_static_selectorELNS0_4arch9wavefront6targetE0EEEvSY_
                                        ; -- End function
	.set _ZN7rocprim17ROCPRIM_400000_NS6detail17trampoline_kernelINS0_13select_configILj256ELj13ELNS0_17block_load_methodE3ELS4_3ELS4_3ELNS0_20block_scan_algorithmE0ELj4294967295EEENS1_25partition_config_selectorILNS1_17partition_subalgoE3EjNS0_10empty_typeEbEEZZNS1_14partition_implILS8_3ELb0ES6_jNS0_17counting_iteratorIjlEEPS9_SE_NS0_5tupleIJPjSE_EEENSF_IJSE_SE_EEES9_SG_JZNS1_25segmented_radix_sort_implINS0_14default_configELb0EPKdPdPKlPlN2at6native12_GLOBAL__N_18offset_tEEE10hipError_tPvRmT1_PNSt15iterator_traitsISY_E10value_typeET2_T3_PNSZ_IS14_E10value_typeET4_jRbjT5_S1A_jjP12ihipStream_tbEUljE_EEESV_SW_SX_S14_S18_S1A_T6_T7_T9_mT8_S1C_bDpT10_ENKUlT_T0_E_clISt17integral_constantIbLb1EES1P_EEDaS1K_S1L_EUlS1K_E_NS1_11comp_targetILNS1_3genE2ELNS1_11target_archE906ELNS1_3gpuE6ELNS1_3repE0EEENS1_30default_config_static_selectorELNS0_4arch9wavefront6targetE0EEEvSY_.num_vgpr, 0
	.set _ZN7rocprim17ROCPRIM_400000_NS6detail17trampoline_kernelINS0_13select_configILj256ELj13ELNS0_17block_load_methodE3ELS4_3ELS4_3ELNS0_20block_scan_algorithmE0ELj4294967295EEENS1_25partition_config_selectorILNS1_17partition_subalgoE3EjNS0_10empty_typeEbEEZZNS1_14partition_implILS8_3ELb0ES6_jNS0_17counting_iteratorIjlEEPS9_SE_NS0_5tupleIJPjSE_EEENSF_IJSE_SE_EEES9_SG_JZNS1_25segmented_radix_sort_implINS0_14default_configELb0EPKdPdPKlPlN2at6native12_GLOBAL__N_18offset_tEEE10hipError_tPvRmT1_PNSt15iterator_traitsISY_E10value_typeET2_T3_PNSZ_IS14_E10value_typeET4_jRbjT5_S1A_jjP12ihipStream_tbEUljE_EEESV_SW_SX_S14_S18_S1A_T6_T7_T9_mT8_S1C_bDpT10_ENKUlT_T0_E_clISt17integral_constantIbLb1EES1P_EEDaS1K_S1L_EUlS1K_E_NS1_11comp_targetILNS1_3genE2ELNS1_11target_archE906ELNS1_3gpuE6ELNS1_3repE0EEENS1_30default_config_static_selectorELNS0_4arch9wavefront6targetE0EEEvSY_.num_agpr, 0
	.set _ZN7rocprim17ROCPRIM_400000_NS6detail17trampoline_kernelINS0_13select_configILj256ELj13ELNS0_17block_load_methodE3ELS4_3ELS4_3ELNS0_20block_scan_algorithmE0ELj4294967295EEENS1_25partition_config_selectorILNS1_17partition_subalgoE3EjNS0_10empty_typeEbEEZZNS1_14partition_implILS8_3ELb0ES6_jNS0_17counting_iteratorIjlEEPS9_SE_NS0_5tupleIJPjSE_EEENSF_IJSE_SE_EEES9_SG_JZNS1_25segmented_radix_sort_implINS0_14default_configELb0EPKdPdPKlPlN2at6native12_GLOBAL__N_18offset_tEEE10hipError_tPvRmT1_PNSt15iterator_traitsISY_E10value_typeET2_T3_PNSZ_IS14_E10value_typeET4_jRbjT5_S1A_jjP12ihipStream_tbEUljE_EEESV_SW_SX_S14_S18_S1A_T6_T7_T9_mT8_S1C_bDpT10_ENKUlT_T0_E_clISt17integral_constantIbLb1EES1P_EEDaS1K_S1L_EUlS1K_E_NS1_11comp_targetILNS1_3genE2ELNS1_11target_archE906ELNS1_3gpuE6ELNS1_3repE0EEENS1_30default_config_static_selectorELNS0_4arch9wavefront6targetE0EEEvSY_.numbered_sgpr, 0
	.set _ZN7rocprim17ROCPRIM_400000_NS6detail17trampoline_kernelINS0_13select_configILj256ELj13ELNS0_17block_load_methodE3ELS4_3ELS4_3ELNS0_20block_scan_algorithmE0ELj4294967295EEENS1_25partition_config_selectorILNS1_17partition_subalgoE3EjNS0_10empty_typeEbEEZZNS1_14partition_implILS8_3ELb0ES6_jNS0_17counting_iteratorIjlEEPS9_SE_NS0_5tupleIJPjSE_EEENSF_IJSE_SE_EEES9_SG_JZNS1_25segmented_radix_sort_implINS0_14default_configELb0EPKdPdPKlPlN2at6native12_GLOBAL__N_18offset_tEEE10hipError_tPvRmT1_PNSt15iterator_traitsISY_E10value_typeET2_T3_PNSZ_IS14_E10value_typeET4_jRbjT5_S1A_jjP12ihipStream_tbEUljE_EEESV_SW_SX_S14_S18_S1A_T6_T7_T9_mT8_S1C_bDpT10_ENKUlT_T0_E_clISt17integral_constantIbLb1EES1P_EEDaS1K_S1L_EUlS1K_E_NS1_11comp_targetILNS1_3genE2ELNS1_11target_archE906ELNS1_3gpuE6ELNS1_3repE0EEENS1_30default_config_static_selectorELNS0_4arch9wavefront6targetE0EEEvSY_.num_named_barrier, 0
	.set _ZN7rocprim17ROCPRIM_400000_NS6detail17trampoline_kernelINS0_13select_configILj256ELj13ELNS0_17block_load_methodE3ELS4_3ELS4_3ELNS0_20block_scan_algorithmE0ELj4294967295EEENS1_25partition_config_selectorILNS1_17partition_subalgoE3EjNS0_10empty_typeEbEEZZNS1_14partition_implILS8_3ELb0ES6_jNS0_17counting_iteratorIjlEEPS9_SE_NS0_5tupleIJPjSE_EEENSF_IJSE_SE_EEES9_SG_JZNS1_25segmented_radix_sort_implINS0_14default_configELb0EPKdPdPKlPlN2at6native12_GLOBAL__N_18offset_tEEE10hipError_tPvRmT1_PNSt15iterator_traitsISY_E10value_typeET2_T3_PNSZ_IS14_E10value_typeET4_jRbjT5_S1A_jjP12ihipStream_tbEUljE_EEESV_SW_SX_S14_S18_S1A_T6_T7_T9_mT8_S1C_bDpT10_ENKUlT_T0_E_clISt17integral_constantIbLb1EES1P_EEDaS1K_S1L_EUlS1K_E_NS1_11comp_targetILNS1_3genE2ELNS1_11target_archE906ELNS1_3gpuE6ELNS1_3repE0EEENS1_30default_config_static_selectorELNS0_4arch9wavefront6targetE0EEEvSY_.private_seg_size, 0
	.set _ZN7rocprim17ROCPRIM_400000_NS6detail17trampoline_kernelINS0_13select_configILj256ELj13ELNS0_17block_load_methodE3ELS4_3ELS4_3ELNS0_20block_scan_algorithmE0ELj4294967295EEENS1_25partition_config_selectorILNS1_17partition_subalgoE3EjNS0_10empty_typeEbEEZZNS1_14partition_implILS8_3ELb0ES6_jNS0_17counting_iteratorIjlEEPS9_SE_NS0_5tupleIJPjSE_EEENSF_IJSE_SE_EEES9_SG_JZNS1_25segmented_radix_sort_implINS0_14default_configELb0EPKdPdPKlPlN2at6native12_GLOBAL__N_18offset_tEEE10hipError_tPvRmT1_PNSt15iterator_traitsISY_E10value_typeET2_T3_PNSZ_IS14_E10value_typeET4_jRbjT5_S1A_jjP12ihipStream_tbEUljE_EEESV_SW_SX_S14_S18_S1A_T6_T7_T9_mT8_S1C_bDpT10_ENKUlT_T0_E_clISt17integral_constantIbLb1EES1P_EEDaS1K_S1L_EUlS1K_E_NS1_11comp_targetILNS1_3genE2ELNS1_11target_archE906ELNS1_3gpuE6ELNS1_3repE0EEENS1_30default_config_static_selectorELNS0_4arch9wavefront6targetE0EEEvSY_.uses_vcc, 0
	.set _ZN7rocprim17ROCPRIM_400000_NS6detail17trampoline_kernelINS0_13select_configILj256ELj13ELNS0_17block_load_methodE3ELS4_3ELS4_3ELNS0_20block_scan_algorithmE0ELj4294967295EEENS1_25partition_config_selectorILNS1_17partition_subalgoE3EjNS0_10empty_typeEbEEZZNS1_14partition_implILS8_3ELb0ES6_jNS0_17counting_iteratorIjlEEPS9_SE_NS0_5tupleIJPjSE_EEENSF_IJSE_SE_EEES9_SG_JZNS1_25segmented_radix_sort_implINS0_14default_configELb0EPKdPdPKlPlN2at6native12_GLOBAL__N_18offset_tEEE10hipError_tPvRmT1_PNSt15iterator_traitsISY_E10value_typeET2_T3_PNSZ_IS14_E10value_typeET4_jRbjT5_S1A_jjP12ihipStream_tbEUljE_EEESV_SW_SX_S14_S18_S1A_T6_T7_T9_mT8_S1C_bDpT10_ENKUlT_T0_E_clISt17integral_constantIbLb1EES1P_EEDaS1K_S1L_EUlS1K_E_NS1_11comp_targetILNS1_3genE2ELNS1_11target_archE906ELNS1_3gpuE6ELNS1_3repE0EEENS1_30default_config_static_selectorELNS0_4arch9wavefront6targetE0EEEvSY_.uses_flat_scratch, 0
	.set _ZN7rocprim17ROCPRIM_400000_NS6detail17trampoline_kernelINS0_13select_configILj256ELj13ELNS0_17block_load_methodE3ELS4_3ELS4_3ELNS0_20block_scan_algorithmE0ELj4294967295EEENS1_25partition_config_selectorILNS1_17partition_subalgoE3EjNS0_10empty_typeEbEEZZNS1_14partition_implILS8_3ELb0ES6_jNS0_17counting_iteratorIjlEEPS9_SE_NS0_5tupleIJPjSE_EEENSF_IJSE_SE_EEES9_SG_JZNS1_25segmented_radix_sort_implINS0_14default_configELb0EPKdPdPKlPlN2at6native12_GLOBAL__N_18offset_tEEE10hipError_tPvRmT1_PNSt15iterator_traitsISY_E10value_typeET2_T3_PNSZ_IS14_E10value_typeET4_jRbjT5_S1A_jjP12ihipStream_tbEUljE_EEESV_SW_SX_S14_S18_S1A_T6_T7_T9_mT8_S1C_bDpT10_ENKUlT_T0_E_clISt17integral_constantIbLb1EES1P_EEDaS1K_S1L_EUlS1K_E_NS1_11comp_targetILNS1_3genE2ELNS1_11target_archE906ELNS1_3gpuE6ELNS1_3repE0EEENS1_30default_config_static_selectorELNS0_4arch9wavefront6targetE0EEEvSY_.has_dyn_sized_stack, 0
	.set _ZN7rocprim17ROCPRIM_400000_NS6detail17trampoline_kernelINS0_13select_configILj256ELj13ELNS0_17block_load_methodE3ELS4_3ELS4_3ELNS0_20block_scan_algorithmE0ELj4294967295EEENS1_25partition_config_selectorILNS1_17partition_subalgoE3EjNS0_10empty_typeEbEEZZNS1_14partition_implILS8_3ELb0ES6_jNS0_17counting_iteratorIjlEEPS9_SE_NS0_5tupleIJPjSE_EEENSF_IJSE_SE_EEES9_SG_JZNS1_25segmented_radix_sort_implINS0_14default_configELb0EPKdPdPKlPlN2at6native12_GLOBAL__N_18offset_tEEE10hipError_tPvRmT1_PNSt15iterator_traitsISY_E10value_typeET2_T3_PNSZ_IS14_E10value_typeET4_jRbjT5_S1A_jjP12ihipStream_tbEUljE_EEESV_SW_SX_S14_S18_S1A_T6_T7_T9_mT8_S1C_bDpT10_ENKUlT_T0_E_clISt17integral_constantIbLb1EES1P_EEDaS1K_S1L_EUlS1K_E_NS1_11comp_targetILNS1_3genE2ELNS1_11target_archE906ELNS1_3gpuE6ELNS1_3repE0EEENS1_30default_config_static_selectorELNS0_4arch9wavefront6targetE0EEEvSY_.has_recursion, 0
	.set _ZN7rocprim17ROCPRIM_400000_NS6detail17trampoline_kernelINS0_13select_configILj256ELj13ELNS0_17block_load_methodE3ELS4_3ELS4_3ELNS0_20block_scan_algorithmE0ELj4294967295EEENS1_25partition_config_selectorILNS1_17partition_subalgoE3EjNS0_10empty_typeEbEEZZNS1_14partition_implILS8_3ELb0ES6_jNS0_17counting_iteratorIjlEEPS9_SE_NS0_5tupleIJPjSE_EEENSF_IJSE_SE_EEES9_SG_JZNS1_25segmented_radix_sort_implINS0_14default_configELb0EPKdPdPKlPlN2at6native12_GLOBAL__N_18offset_tEEE10hipError_tPvRmT1_PNSt15iterator_traitsISY_E10value_typeET2_T3_PNSZ_IS14_E10value_typeET4_jRbjT5_S1A_jjP12ihipStream_tbEUljE_EEESV_SW_SX_S14_S18_S1A_T6_T7_T9_mT8_S1C_bDpT10_ENKUlT_T0_E_clISt17integral_constantIbLb1EES1P_EEDaS1K_S1L_EUlS1K_E_NS1_11comp_targetILNS1_3genE2ELNS1_11target_archE906ELNS1_3gpuE6ELNS1_3repE0EEENS1_30default_config_static_selectorELNS0_4arch9wavefront6targetE0EEEvSY_.has_indirect_call, 0
	.section	.AMDGPU.csdata,"",@progbits
; Kernel info:
; codeLenInByte = 0
; TotalNumSgprs: 0
; NumVgprs: 0
; ScratchSize: 0
; MemoryBound: 0
; FloatMode: 240
; IeeeMode: 1
; LDSByteSize: 0 bytes/workgroup (compile time only)
; SGPRBlocks: 0
; VGPRBlocks: 0
; NumSGPRsForWavesPerEU: 1
; NumVGPRsForWavesPerEU: 1
; NamedBarCnt: 0
; Occupancy: 16
; WaveLimiterHint : 0
; COMPUTE_PGM_RSRC2:SCRATCH_EN: 0
; COMPUTE_PGM_RSRC2:USER_SGPR: 2
; COMPUTE_PGM_RSRC2:TRAP_HANDLER: 0
; COMPUTE_PGM_RSRC2:TGID_X_EN: 1
; COMPUTE_PGM_RSRC2:TGID_Y_EN: 0
; COMPUTE_PGM_RSRC2:TGID_Z_EN: 0
; COMPUTE_PGM_RSRC2:TIDIG_COMP_CNT: 0
	.section	.text._ZN7rocprim17ROCPRIM_400000_NS6detail17trampoline_kernelINS0_13select_configILj256ELj13ELNS0_17block_load_methodE3ELS4_3ELS4_3ELNS0_20block_scan_algorithmE0ELj4294967295EEENS1_25partition_config_selectorILNS1_17partition_subalgoE3EjNS0_10empty_typeEbEEZZNS1_14partition_implILS8_3ELb0ES6_jNS0_17counting_iteratorIjlEEPS9_SE_NS0_5tupleIJPjSE_EEENSF_IJSE_SE_EEES9_SG_JZNS1_25segmented_radix_sort_implINS0_14default_configELb0EPKdPdPKlPlN2at6native12_GLOBAL__N_18offset_tEEE10hipError_tPvRmT1_PNSt15iterator_traitsISY_E10value_typeET2_T3_PNSZ_IS14_E10value_typeET4_jRbjT5_S1A_jjP12ihipStream_tbEUljE_EEESV_SW_SX_S14_S18_S1A_T6_T7_T9_mT8_S1C_bDpT10_ENKUlT_T0_E_clISt17integral_constantIbLb1EES1P_EEDaS1K_S1L_EUlS1K_E_NS1_11comp_targetILNS1_3genE10ELNS1_11target_archE1200ELNS1_3gpuE4ELNS1_3repE0EEENS1_30default_config_static_selectorELNS0_4arch9wavefront6targetE0EEEvSY_,"axG",@progbits,_ZN7rocprim17ROCPRIM_400000_NS6detail17trampoline_kernelINS0_13select_configILj256ELj13ELNS0_17block_load_methodE3ELS4_3ELS4_3ELNS0_20block_scan_algorithmE0ELj4294967295EEENS1_25partition_config_selectorILNS1_17partition_subalgoE3EjNS0_10empty_typeEbEEZZNS1_14partition_implILS8_3ELb0ES6_jNS0_17counting_iteratorIjlEEPS9_SE_NS0_5tupleIJPjSE_EEENSF_IJSE_SE_EEES9_SG_JZNS1_25segmented_radix_sort_implINS0_14default_configELb0EPKdPdPKlPlN2at6native12_GLOBAL__N_18offset_tEEE10hipError_tPvRmT1_PNSt15iterator_traitsISY_E10value_typeET2_T3_PNSZ_IS14_E10value_typeET4_jRbjT5_S1A_jjP12ihipStream_tbEUljE_EEESV_SW_SX_S14_S18_S1A_T6_T7_T9_mT8_S1C_bDpT10_ENKUlT_T0_E_clISt17integral_constantIbLb1EES1P_EEDaS1K_S1L_EUlS1K_E_NS1_11comp_targetILNS1_3genE10ELNS1_11target_archE1200ELNS1_3gpuE4ELNS1_3repE0EEENS1_30default_config_static_selectorELNS0_4arch9wavefront6targetE0EEEvSY_,comdat
	.globl	_ZN7rocprim17ROCPRIM_400000_NS6detail17trampoline_kernelINS0_13select_configILj256ELj13ELNS0_17block_load_methodE3ELS4_3ELS4_3ELNS0_20block_scan_algorithmE0ELj4294967295EEENS1_25partition_config_selectorILNS1_17partition_subalgoE3EjNS0_10empty_typeEbEEZZNS1_14partition_implILS8_3ELb0ES6_jNS0_17counting_iteratorIjlEEPS9_SE_NS0_5tupleIJPjSE_EEENSF_IJSE_SE_EEES9_SG_JZNS1_25segmented_radix_sort_implINS0_14default_configELb0EPKdPdPKlPlN2at6native12_GLOBAL__N_18offset_tEEE10hipError_tPvRmT1_PNSt15iterator_traitsISY_E10value_typeET2_T3_PNSZ_IS14_E10value_typeET4_jRbjT5_S1A_jjP12ihipStream_tbEUljE_EEESV_SW_SX_S14_S18_S1A_T6_T7_T9_mT8_S1C_bDpT10_ENKUlT_T0_E_clISt17integral_constantIbLb1EES1P_EEDaS1K_S1L_EUlS1K_E_NS1_11comp_targetILNS1_3genE10ELNS1_11target_archE1200ELNS1_3gpuE4ELNS1_3repE0EEENS1_30default_config_static_selectorELNS0_4arch9wavefront6targetE0EEEvSY_ ; -- Begin function _ZN7rocprim17ROCPRIM_400000_NS6detail17trampoline_kernelINS0_13select_configILj256ELj13ELNS0_17block_load_methodE3ELS4_3ELS4_3ELNS0_20block_scan_algorithmE0ELj4294967295EEENS1_25partition_config_selectorILNS1_17partition_subalgoE3EjNS0_10empty_typeEbEEZZNS1_14partition_implILS8_3ELb0ES6_jNS0_17counting_iteratorIjlEEPS9_SE_NS0_5tupleIJPjSE_EEENSF_IJSE_SE_EEES9_SG_JZNS1_25segmented_radix_sort_implINS0_14default_configELb0EPKdPdPKlPlN2at6native12_GLOBAL__N_18offset_tEEE10hipError_tPvRmT1_PNSt15iterator_traitsISY_E10value_typeET2_T3_PNSZ_IS14_E10value_typeET4_jRbjT5_S1A_jjP12ihipStream_tbEUljE_EEESV_SW_SX_S14_S18_S1A_T6_T7_T9_mT8_S1C_bDpT10_ENKUlT_T0_E_clISt17integral_constantIbLb1EES1P_EEDaS1K_S1L_EUlS1K_E_NS1_11comp_targetILNS1_3genE10ELNS1_11target_archE1200ELNS1_3gpuE4ELNS1_3repE0EEENS1_30default_config_static_selectorELNS0_4arch9wavefront6targetE0EEEvSY_
	.p2align	8
	.type	_ZN7rocprim17ROCPRIM_400000_NS6detail17trampoline_kernelINS0_13select_configILj256ELj13ELNS0_17block_load_methodE3ELS4_3ELS4_3ELNS0_20block_scan_algorithmE0ELj4294967295EEENS1_25partition_config_selectorILNS1_17partition_subalgoE3EjNS0_10empty_typeEbEEZZNS1_14partition_implILS8_3ELb0ES6_jNS0_17counting_iteratorIjlEEPS9_SE_NS0_5tupleIJPjSE_EEENSF_IJSE_SE_EEES9_SG_JZNS1_25segmented_radix_sort_implINS0_14default_configELb0EPKdPdPKlPlN2at6native12_GLOBAL__N_18offset_tEEE10hipError_tPvRmT1_PNSt15iterator_traitsISY_E10value_typeET2_T3_PNSZ_IS14_E10value_typeET4_jRbjT5_S1A_jjP12ihipStream_tbEUljE_EEESV_SW_SX_S14_S18_S1A_T6_T7_T9_mT8_S1C_bDpT10_ENKUlT_T0_E_clISt17integral_constantIbLb1EES1P_EEDaS1K_S1L_EUlS1K_E_NS1_11comp_targetILNS1_3genE10ELNS1_11target_archE1200ELNS1_3gpuE4ELNS1_3repE0EEENS1_30default_config_static_selectorELNS0_4arch9wavefront6targetE0EEEvSY_,@function
_ZN7rocprim17ROCPRIM_400000_NS6detail17trampoline_kernelINS0_13select_configILj256ELj13ELNS0_17block_load_methodE3ELS4_3ELS4_3ELNS0_20block_scan_algorithmE0ELj4294967295EEENS1_25partition_config_selectorILNS1_17partition_subalgoE3EjNS0_10empty_typeEbEEZZNS1_14partition_implILS8_3ELb0ES6_jNS0_17counting_iteratorIjlEEPS9_SE_NS0_5tupleIJPjSE_EEENSF_IJSE_SE_EEES9_SG_JZNS1_25segmented_radix_sort_implINS0_14default_configELb0EPKdPdPKlPlN2at6native12_GLOBAL__N_18offset_tEEE10hipError_tPvRmT1_PNSt15iterator_traitsISY_E10value_typeET2_T3_PNSZ_IS14_E10value_typeET4_jRbjT5_S1A_jjP12ihipStream_tbEUljE_EEESV_SW_SX_S14_S18_S1A_T6_T7_T9_mT8_S1C_bDpT10_ENKUlT_T0_E_clISt17integral_constantIbLb1EES1P_EEDaS1K_S1L_EUlS1K_E_NS1_11comp_targetILNS1_3genE10ELNS1_11target_archE1200ELNS1_3gpuE4ELNS1_3repE0EEENS1_30default_config_static_selectorELNS0_4arch9wavefront6targetE0EEEvSY_: ; @_ZN7rocprim17ROCPRIM_400000_NS6detail17trampoline_kernelINS0_13select_configILj256ELj13ELNS0_17block_load_methodE3ELS4_3ELS4_3ELNS0_20block_scan_algorithmE0ELj4294967295EEENS1_25partition_config_selectorILNS1_17partition_subalgoE3EjNS0_10empty_typeEbEEZZNS1_14partition_implILS8_3ELb0ES6_jNS0_17counting_iteratorIjlEEPS9_SE_NS0_5tupleIJPjSE_EEENSF_IJSE_SE_EEES9_SG_JZNS1_25segmented_radix_sort_implINS0_14default_configELb0EPKdPdPKlPlN2at6native12_GLOBAL__N_18offset_tEEE10hipError_tPvRmT1_PNSt15iterator_traitsISY_E10value_typeET2_T3_PNSZ_IS14_E10value_typeET4_jRbjT5_S1A_jjP12ihipStream_tbEUljE_EEESV_SW_SX_S14_S18_S1A_T6_T7_T9_mT8_S1C_bDpT10_ENKUlT_T0_E_clISt17integral_constantIbLb1EES1P_EEDaS1K_S1L_EUlS1K_E_NS1_11comp_targetILNS1_3genE10ELNS1_11target_archE1200ELNS1_3gpuE4ELNS1_3repE0EEENS1_30default_config_static_selectorELNS0_4arch9wavefront6targetE0EEEvSY_
; %bb.0:
	.section	.rodata,"a",@progbits
	.p2align	6, 0x0
	.amdhsa_kernel _ZN7rocprim17ROCPRIM_400000_NS6detail17trampoline_kernelINS0_13select_configILj256ELj13ELNS0_17block_load_methodE3ELS4_3ELS4_3ELNS0_20block_scan_algorithmE0ELj4294967295EEENS1_25partition_config_selectorILNS1_17partition_subalgoE3EjNS0_10empty_typeEbEEZZNS1_14partition_implILS8_3ELb0ES6_jNS0_17counting_iteratorIjlEEPS9_SE_NS0_5tupleIJPjSE_EEENSF_IJSE_SE_EEES9_SG_JZNS1_25segmented_radix_sort_implINS0_14default_configELb0EPKdPdPKlPlN2at6native12_GLOBAL__N_18offset_tEEE10hipError_tPvRmT1_PNSt15iterator_traitsISY_E10value_typeET2_T3_PNSZ_IS14_E10value_typeET4_jRbjT5_S1A_jjP12ihipStream_tbEUljE_EEESV_SW_SX_S14_S18_S1A_T6_T7_T9_mT8_S1C_bDpT10_ENKUlT_T0_E_clISt17integral_constantIbLb1EES1P_EEDaS1K_S1L_EUlS1K_E_NS1_11comp_targetILNS1_3genE10ELNS1_11target_archE1200ELNS1_3gpuE4ELNS1_3repE0EEENS1_30default_config_static_selectorELNS0_4arch9wavefront6targetE0EEEvSY_
		.amdhsa_group_segment_fixed_size 0
		.amdhsa_private_segment_fixed_size 0
		.amdhsa_kernarg_size 152
		.amdhsa_user_sgpr_count 2
		.amdhsa_user_sgpr_dispatch_ptr 0
		.amdhsa_user_sgpr_queue_ptr 0
		.amdhsa_user_sgpr_kernarg_segment_ptr 1
		.amdhsa_user_sgpr_dispatch_id 0
		.amdhsa_user_sgpr_kernarg_preload_length 0
		.amdhsa_user_sgpr_kernarg_preload_offset 0
		.amdhsa_user_sgpr_private_segment_size 0
		.amdhsa_wavefront_size32 1
		.amdhsa_uses_dynamic_stack 0
		.amdhsa_enable_private_segment 0
		.amdhsa_system_sgpr_workgroup_id_x 1
		.amdhsa_system_sgpr_workgroup_id_y 0
		.amdhsa_system_sgpr_workgroup_id_z 0
		.amdhsa_system_sgpr_workgroup_info 0
		.amdhsa_system_vgpr_workitem_id 0
		.amdhsa_next_free_vgpr 1
		.amdhsa_next_free_sgpr 1
		.amdhsa_named_barrier_count 0
		.amdhsa_reserve_vcc 0
		.amdhsa_float_round_mode_32 0
		.amdhsa_float_round_mode_16_64 0
		.amdhsa_float_denorm_mode_32 3
		.amdhsa_float_denorm_mode_16_64 3
		.amdhsa_fp16_overflow 0
		.amdhsa_memory_ordered 1
		.amdhsa_forward_progress 1
		.amdhsa_inst_pref_size 0
		.amdhsa_round_robin_scheduling 0
		.amdhsa_exception_fp_ieee_invalid_op 0
		.amdhsa_exception_fp_denorm_src 0
		.amdhsa_exception_fp_ieee_div_zero 0
		.amdhsa_exception_fp_ieee_overflow 0
		.amdhsa_exception_fp_ieee_underflow 0
		.amdhsa_exception_fp_ieee_inexact 0
		.amdhsa_exception_int_div_zero 0
	.end_amdhsa_kernel
	.section	.text._ZN7rocprim17ROCPRIM_400000_NS6detail17trampoline_kernelINS0_13select_configILj256ELj13ELNS0_17block_load_methodE3ELS4_3ELS4_3ELNS0_20block_scan_algorithmE0ELj4294967295EEENS1_25partition_config_selectorILNS1_17partition_subalgoE3EjNS0_10empty_typeEbEEZZNS1_14partition_implILS8_3ELb0ES6_jNS0_17counting_iteratorIjlEEPS9_SE_NS0_5tupleIJPjSE_EEENSF_IJSE_SE_EEES9_SG_JZNS1_25segmented_radix_sort_implINS0_14default_configELb0EPKdPdPKlPlN2at6native12_GLOBAL__N_18offset_tEEE10hipError_tPvRmT1_PNSt15iterator_traitsISY_E10value_typeET2_T3_PNSZ_IS14_E10value_typeET4_jRbjT5_S1A_jjP12ihipStream_tbEUljE_EEESV_SW_SX_S14_S18_S1A_T6_T7_T9_mT8_S1C_bDpT10_ENKUlT_T0_E_clISt17integral_constantIbLb1EES1P_EEDaS1K_S1L_EUlS1K_E_NS1_11comp_targetILNS1_3genE10ELNS1_11target_archE1200ELNS1_3gpuE4ELNS1_3repE0EEENS1_30default_config_static_selectorELNS0_4arch9wavefront6targetE0EEEvSY_,"axG",@progbits,_ZN7rocprim17ROCPRIM_400000_NS6detail17trampoline_kernelINS0_13select_configILj256ELj13ELNS0_17block_load_methodE3ELS4_3ELS4_3ELNS0_20block_scan_algorithmE0ELj4294967295EEENS1_25partition_config_selectorILNS1_17partition_subalgoE3EjNS0_10empty_typeEbEEZZNS1_14partition_implILS8_3ELb0ES6_jNS0_17counting_iteratorIjlEEPS9_SE_NS0_5tupleIJPjSE_EEENSF_IJSE_SE_EEES9_SG_JZNS1_25segmented_radix_sort_implINS0_14default_configELb0EPKdPdPKlPlN2at6native12_GLOBAL__N_18offset_tEEE10hipError_tPvRmT1_PNSt15iterator_traitsISY_E10value_typeET2_T3_PNSZ_IS14_E10value_typeET4_jRbjT5_S1A_jjP12ihipStream_tbEUljE_EEESV_SW_SX_S14_S18_S1A_T6_T7_T9_mT8_S1C_bDpT10_ENKUlT_T0_E_clISt17integral_constantIbLb1EES1P_EEDaS1K_S1L_EUlS1K_E_NS1_11comp_targetILNS1_3genE10ELNS1_11target_archE1200ELNS1_3gpuE4ELNS1_3repE0EEENS1_30default_config_static_selectorELNS0_4arch9wavefront6targetE0EEEvSY_,comdat
.Lfunc_end1196:
	.size	_ZN7rocprim17ROCPRIM_400000_NS6detail17trampoline_kernelINS0_13select_configILj256ELj13ELNS0_17block_load_methodE3ELS4_3ELS4_3ELNS0_20block_scan_algorithmE0ELj4294967295EEENS1_25partition_config_selectorILNS1_17partition_subalgoE3EjNS0_10empty_typeEbEEZZNS1_14partition_implILS8_3ELb0ES6_jNS0_17counting_iteratorIjlEEPS9_SE_NS0_5tupleIJPjSE_EEENSF_IJSE_SE_EEES9_SG_JZNS1_25segmented_radix_sort_implINS0_14default_configELb0EPKdPdPKlPlN2at6native12_GLOBAL__N_18offset_tEEE10hipError_tPvRmT1_PNSt15iterator_traitsISY_E10value_typeET2_T3_PNSZ_IS14_E10value_typeET4_jRbjT5_S1A_jjP12ihipStream_tbEUljE_EEESV_SW_SX_S14_S18_S1A_T6_T7_T9_mT8_S1C_bDpT10_ENKUlT_T0_E_clISt17integral_constantIbLb1EES1P_EEDaS1K_S1L_EUlS1K_E_NS1_11comp_targetILNS1_3genE10ELNS1_11target_archE1200ELNS1_3gpuE4ELNS1_3repE0EEENS1_30default_config_static_selectorELNS0_4arch9wavefront6targetE0EEEvSY_, .Lfunc_end1196-_ZN7rocprim17ROCPRIM_400000_NS6detail17trampoline_kernelINS0_13select_configILj256ELj13ELNS0_17block_load_methodE3ELS4_3ELS4_3ELNS0_20block_scan_algorithmE0ELj4294967295EEENS1_25partition_config_selectorILNS1_17partition_subalgoE3EjNS0_10empty_typeEbEEZZNS1_14partition_implILS8_3ELb0ES6_jNS0_17counting_iteratorIjlEEPS9_SE_NS0_5tupleIJPjSE_EEENSF_IJSE_SE_EEES9_SG_JZNS1_25segmented_radix_sort_implINS0_14default_configELb0EPKdPdPKlPlN2at6native12_GLOBAL__N_18offset_tEEE10hipError_tPvRmT1_PNSt15iterator_traitsISY_E10value_typeET2_T3_PNSZ_IS14_E10value_typeET4_jRbjT5_S1A_jjP12ihipStream_tbEUljE_EEESV_SW_SX_S14_S18_S1A_T6_T7_T9_mT8_S1C_bDpT10_ENKUlT_T0_E_clISt17integral_constantIbLb1EES1P_EEDaS1K_S1L_EUlS1K_E_NS1_11comp_targetILNS1_3genE10ELNS1_11target_archE1200ELNS1_3gpuE4ELNS1_3repE0EEENS1_30default_config_static_selectorELNS0_4arch9wavefront6targetE0EEEvSY_
                                        ; -- End function
	.set _ZN7rocprim17ROCPRIM_400000_NS6detail17trampoline_kernelINS0_13select_configILj256ELj13ELNS0_17block_load_methodE3ELS4_3ELS4_3ELNS0_20block_scan_algorithmE0ELj4294967295EEENS1_25partition_config_selectorILNS1_17partition_subalgoE3EjNS0_10empty_typeEbEEZZNS1_14partition_implILS8_3ELb0ES6_jNS0_17counting_iteratorIjlEEPS9_SE_NS0_5tupleIJPjSE_EEENSF_IJSE_SE_EEES9_SG_JZNS1_25segmented_radix_sort_implINS0_14default_configELb0EPKdPdPKlPlN2at6native12_GLOBAL__N_18offset_tEEE10hipError_tPvRmT1_PNSt15iterator_traitsISY_E10value_typeET2_T3_PNSZ_IS14_E10value_typeET4_jRbjT5_S1A_jjP12ihipStream_tbEUljE_EEESV_SW_SX_S14_S18_S1A_T6_T7_T9_mT8_S1C_bDpT10_ENKUlT_T0_E_clISt17integral_constantIbLb1EES1P_EEDaS1K_S1L_EUlS1K_E_NS1_11comp_targetILNS1_3genE10ELNS1_11target_archE1200ELNS1_3gpuE4ELNS1_3repE0EEENS1_30default_config_static_selectorELNS0_4arch9wavefront6targetE0EEEvSY_.num_vgpr, 0
	.set _ZN7rocprim17ROCPRIM_400000_NS6detail17trampoline_kernelINS0_13select_configILj256ELj13ELNS0_17block_load_methodE3ELS4_3ELS4_3ELNS0_20block_scan_algorithmE0ELj4294967295EEENS1_25partition_config_selectorILNS1_17partition_subalgoE3EjNS0_10empty_typeEbEEZZNS1_14partition_implILS8_3ELb0ES6_jNS0_17counting_iteratorIjlEEPS9_SE_NS0_5tupleIJPjSE_EEENSF_IJSE_SE_EEES9_SG_JZNS1_25segmented_radix_sort_implINS0_14default_configELb0EPKdPdPKlPlN2at6native12_GLOBAL__N_18offset_tEEE10hipError_tPvRmT1_PNSt15iterator_traitsISY_E10value_typeET2_T3_PNSZ_IS14_E10value_typeET4_jRbjT5_S1A_jjP12ihipStream_tbEUljE_EEESV_SW_SX_S14_S18_S1A_T6_T7_T9_mT8_S1C_bDpT10_ENKUlT_T0_E_clISt17integral_constantIbLb1EES1P_EEDaS1K_S1L_EUlS1K_E_NS1_11comp_targetILNS1_3genE10ELNS1_11target_archE1200ELNS1_3gpuE4ELNS1_3repE0EEENS1_30default_config_static_selectorELNS0_4arch9wavefront6targetE0EEEvSY_.num_agpr, 0
	.set _ZN7rocprim17ROCPRIM_400000_NS6detail17trampoline_kernelINS0_13select_configILj256ELj13ELNS0_17block_load_methodE3ELS4_3ELS4_3ELNS0_20block_scan_algorithmE0ELj4294967295EEENS1_25partition_config_selectorILNS1_17partition_subalgoE3EjNS0_10empty_typeEbEEZZNS1_14partition_implILS8_3ELb0ES6_jNS0_17counting_iteratorIjlEEPS9_SE_NS0_5tupleIJPjSE_EEENSF_IJSE_SE_EEES9_SG_JZNS1_25segmented_radix_sort_implINS0_14default_configELb0EPKdPdPKlPlN2at6native12_GLOBAL__N_18offset_tEEE10hipError_tPvRmT1_PNSt15iterator_traitsISY_E10value_typeET2_T3_PNSZ_IS14_E10value_typeET4_jRbjT5_S1A_jjP12ihipStream_tbEUljE_EEESV_SW_SX_S14_S18_S1A_T6_T7_T9_mT8_S1C_bDpT10_ENKUlT_T0_E_clISt17integral_constantIbLb1EES1P_EEDaS1K_S1L_EUlS1K_E_NS1_11comp_targetILNS1_3genE10ELNS1_11target_archE1200ELNS1_3gpuE4ELNS1_3repE0EEENS1_30default_config_static_selectorELNS0_4arch9wavefront6targetE0EEEvSY_.numbered_sgpr, 0
	.set _ZN7rocprim17ROCPRIM_400000_NS6detail17trampoline_kernelINS0_13select_configILj256ELj13ELNS0_17block_load_methodE3ELS4_3ELS4_3ELNS0_20block_scan_algorithmE0ELj4294967295EEENS1_25partition_config_selectorILNS1_17partition_subalgoE3EjNS0_10empty_typeEbEEZZNS1_14partition_implILS8_3ELb0ES6_jNS0_17counting_iteratorIjlEEPS9_SE_NS0_5tupleIJPjSE_EEENSF_IJSE_SE_EEES9_SG_JZNS1_25segmented_radix_sort_implINS0_14default_configELb0EPKdPdPKlPlN2at6native12_GLOBAL__N_18offset_tEEE10hipError_tPvRmT1_PNSt15iterator_traitsISY_E10value_typeET2_T3_PNSZ_IS14_E10value_typeET4_jRbjT5_S1A_jjP12ihipStream_tbEUljE_EEESV_SW_SX_S14_S18_S1A_T6_T7_T9_mT8_S1C_bDpT10_ENKUlT_T0_E_clISt17integral_constantIbLb1EES1P_EEDaS1K_S1L_EUlS1K_E_NS1_11comp_targetILNS1_3genE10ELNS1_11target_archE1200ELNS1_3gpuE4ELNS1_3repE0EEENS1_30default_config_static_selectorELNS0_4arch9wavefront6targetE0EEEvSY_.num_named_barrier, 0
	.set _ZN7rocprim17ROCPRIM_400000_NS6detail17trampoline_kernelINS0_13select_configILj256ELj13ELNS0_17block_load_methodE3ELS4_3ELS4_3ELNS0_20block_scan_algorithmE0ELj4294967295EEENS1_25partition_config_selectorILNS1_17partition_subalgoE3EjNS0_10empty_typeEbEEZZNS1_14partition_implILS8_3ELb0ES6_jNS0_17counting_iteratorIjlEEPS9_SE_NS0_5tupleIJPjSE_EEENSF_IJSE_SE_EEES9_SG_JZNS1_25segmented_radix_sort_implINS0_14default_configELb0EPKdPdPKlPlN2at6native12_GLOBAL__N_18offset_tEEE10hipError_tPvRmT1_PNSt15iterator_traitsISY_E10value_typeET2_T3_PNSZ_IS14_E10value_typeET4_jRbjT5_S1A_jjP12ihipStream_tbEUljE_EEESV_SW_SX_S14_S18_S1A_T6_T7_T9_mT8_S1C_bDpT10_ENKUlT_T0_E_clISt17integral_constantIbLb1EES1P_EEDaS1K_S1L_EUlS1K_E_NS1_11comp_targetILNS1_3genE10ELNS1_11target_archE1200ELNS1_3gpuE4ELNS1_3repE0EEENS1_30default_config_static_selectorELNS0_4arch9wavefront6targetE0EEEvSY_.private_seg_size, 0
	.set _ZN7rocprim17ROCPRIM_400000_NS6detail17trampoline_kernelINS0_13select_configILj256ELj13ELNS0_17block_load_methodE3ELS4_3ELS4_3ELNS0_20block_scan_algorithmE0ELj4294967295EEENS1_25partition_config_selectorILNS1_17partition_subalgoE3EjNS0_10empty_typeEbEEZZNS1_14partition_implILS8_3ELb0ES6_jNS0_17counting_iteratorIjlEEPS9_SE_NS0_5tupleIJPjSE_EEENSF_IJSE_SE_EEES9_SG_JZNS1_25segmented_radix_sort_implINS0_14default_configELb0EPKdPdPKlPlN2at6native12_GLOBAL__N_18offset_tEEE10hipError_tPvRmT1_PNSt15iterator_traitsISY_E10value_typeET2_T3_PNSZ_IS14_E10value_typeET4_jRbjT5_S1A_jjP12ihipStream_tbEUljE_EEESV_SW_SX_S14_S18_S1A_T6_T7_T9_mT8_S1C_bDpT10_ENKUlT_T0_E_clISt17integral_constantIbLb1EES1P_EEDaS1K_S1L_EUlS1K_E_NS1_11comp_targetILNS1_3genE10ELNS1_11target_archE1200ELNS1_3gpuE4ELNS1_3repE0EEENS1_30default_config_static_selectorELNS0_4arch9wavefront6targetE0EEEvSY_.uses_vcc, 0
	.set _ZN7rocprim17ROCPRIM_400000_NS6detail17trampoline_kernelINS0_13select_configILj256ELj13ELNS0_17block_load_methodE3ELS4_3ELS4_3ELNS0_20block_scan_algorithmE0ELj4294967295EEENS1_25partition_config_selectorILNS1_17partition_subalgoE3EjNS0_10empty_typeEbEEZZNS1_14partition_implILS8_3ELb0ES6_jNS0_17counting_iteratorIjlEEPS9_SE_NS0_5tupleIJPjSE_EEENSF_IJSE_SE_EEES9_SG_JZNS1_25segmented_radix_sort_implINS0_14default_configELb0EPKdPdPKlPlN2at6native12_GLOBAL__N_18offset_tEEE10hipError_tPvRmT1_PNSt15iterator_traitsISY_E10value_typeET2_T3_PNSZ_IS14_E10value_typeET4_jRbjT5_S1A_jjP12ihipStream_tbEUljE_EEESV_SW_SX_S14_S18_S1A_T6_T7_T9_mT8_S1C_bDpT10_ENKUlT_T0_E_clISt17integral_constantIbLb1EES1P_EEDaS1K_S1L_EUlS1K_E_NS1_11comp_targetILNS1_3genE10ELNS1_11target_archE1200ELNS1_3gpuE4ELNS1_3repE0EEENS1_30default_config_static_selectorELNS0_4arch9wavefront6targetE0EEEvSY_.uses_flat_scratch, 0
	.set _ZN7rocprim17ROCPRIM_400000_NS6detail17trampoline_kernelINS0_13select_configILj256ELj13ELNS0_17block_load_methodE3ELS4_3ELS4_3ELNS0_20block_scan_algorithmE0ELj4294967295EEENS1_25partition_config_selectorILNS1_17partition_subalgoE3EjNS0_10empty_typeEbEEZZNS1_14partition_implILS8_3ELb0ES6_jNS0_17counting_iteratorIjlEEPS9_SE_NS0_5tupleIJPjSE_EEENSF_IJSE_SE_EEES9_SG_JZNS1_25segmented_radix_sort_implINS0_14default_configELb0EPKdPdPKlPlN2at6native12_GLOBAL__N_18offset_tEEE10hipError_tPvRmT1_PNSt15iterator_traitsISY_E10value_typeET2_T3_PNSZ_IS14_E10value_typeET4_jRbjT5_S1A_jjP12ihipStream_tbEUljE_EEESV_SW_SX_S14_S18_S1A_T6_T7_T9_mT8_S1C_bDpT10_ENKUlT_T0_E_clISt17integral_constantIbLb1EES1P_EEDaS1K_S1L_EUlS1K_E_NS1_11comp_targetILNS1_3genE10ELNS1_11target_archE1200ELNS1_3gpuE4ELNS1_3repE0EEENS1_30default_config_static_selectorELNS0_4arch9wavefront6targetE0EEEvSY_.has_dyn_sized_stack, 0
	.set _ZN7rocprim17ROCPRIM_400000_NS6detail17trampoline_kernelINS0_13select_configILj256ELj13ELNS0_17block_load_methodE3ELS4_3ELS4_3ELNS0_20block_scan_algorithmE0ELj4294967295EEENS1_25partition_config_selectorILNS1_17partition_subalgoE3EjNS0_10empty_typeEbEEZZNS1_14partition_implILS8_3ELb0ES6_jNS0_17counting_iteratorIjlEEPS9_SE_NS0_5tupleIJPjSE_EEENSF_IJSE_SE_EEES9_SG_JZNS1_25segmented_radix_sort_implINS0_14default_configELb0EPKdPdPKlPlN2at6native12_GLOBAL__N_18offset_tEEE10hipError_tPvRmT1_PNSt15iterator_traitsISY_E10value_typeET2_T3_PNSZ_IS14_E10value_typeET4_jRbjT5_S1A_jjP12ihipStream_tbEUljE_EEESV_SW_SX_S14_S18_S1A_T6_T7_T9_mT8_S1C_bDpT10_ENKUlT_T0_E_clISt17integral_constantIbLb1EES1P_EEDaS1K_S1L_EUlS1K_E_NS1_11comp_targetILNS1_3genE10ELNS1_11target_archE1200ELNS1_3gpuE4ELNS1_3repE0EEENS1_30default_config_static_selectorELNS0_4arch9wavefront6targetE0EEEvSY_.has_recursion, 0
	.set _ZN7rocprim17ROCPRIM_400000_NS6detail17trampoline_kernelINS0_13select_configILj256ELj13ELNS0_17block_load_methodE3ELS4_3ELS4_3ELNS0_20block_scan_algorithmE0ELj4294967295EEENS1_25partition_config_selectorILNS1_17partition_subalgoE3EjNS0_10empty_typeEbEEZZNS1_14partition_implILS8_3ELb0ES6_jNS0_17counting_iteratorIjlEEPS9_SE_NS0_5tupleIJPjSE_EEENSF_IJSE_SE_EEES9_SG_JZNS1_25segmented_radix_sort_implINS0_14default_configELb0EPKdPdPKlPlN2at6native12_GLOBAL__N_18offset_tEEE10hipError_tPvRmT1_PNSt15iterator_traitsISY_E10value_typeET2_T3_PNSZ_IS14_E10value_typeET4_jRbjT5_S1A_jjP12ihipStream_tbEUljE_EEESV_SW_SX_S14_S18_S1A_T6_T7_T9_mT8_S1C_bDpT10_ENKUlT_T0_E_clISt17integral_constantIbLb1EES1P_EEDaS1K_S1L_EUlS1K_E_NS1_11comp_targetILNS1_3genE10ELNS1_11target_archE1200ELNS1_3gpuE4ELNS1_3repE0EEENS1_30default_config_static_selectorELNS0_4arch9wavefront6targetE0EEEvSY_.has_indirect_call, 0
	.section	.AMDGPU.csdata,"",@progbits
; Kernel info:
; codeLenInByte = 0
; TotalNumSgprs: 0
; NumVgprs: 0
; ScratchSize: 0
; MemoryBound: 0
; FloatMode: 240
; IeeeMode: 1
; LDSByteSize: 0 bytes/workgroup (compile time only)
; SGPRBlocks: 0
; VGPRBlocks: 0
; NumSGPRsForWavesPerEU: 1
; NumVGPRsForWavesPerEU: 1
; NamedBarCnt: 0
; Occupancy: 16
; WaveLimiterHint : 0
; COMPUTE_PGM_RSRC2:SCRATCH_EN: 0
; COMPUTE_PGM_RSRC2:USER_SGPR: 2
; COMPUTE_PGM_RSRC2:TRAP_HANDLER: 0
; COMPUTE_PGM_RSRC2:TGID_X_EN: 1
; COMPUTE_PGM_RSRC2:TGID_Y_EN: 0
; COMPUTE_PGM_RSRC2:TGID_Z_EN: 0
; COMPUTE_PGM_RSRC2:TIDIG_COMP_CNT: 0
	.section	.text._ZN7rocprim17ROCPRIM_400000_NS6detail17trampoline_kernelINS0_13select_configILj256ELj13ELNS0_17block_load_methodE3ELS4_3ELS4_3ELNS0_20block_scan_algorithmE0ELj4294967295EEENS1_25partition_config_selectorILNS1_17partition_subalgoE3EjNS0_10empty_typeEbEEZZNS1_14partition_implILS8_3ELb0ES6_jNS0_17counting_iteratorIjlEEPS9_SE_NS0_5tupleIJPjSE_EEENSF_IJSE_SE_EEES9_SG_JZNS1_25segmented_radix_sort_implINS0_14default_configELb0EPKdPdPKlPlN2at6native12_GLOBAL__N_18offset_tEEE10hipError_tPvRmT1_PNSt15iterator_traitsISY_E10value_typeET2_T3_PNSZ_IS14_E10value_typeET4_jRbjT5_S1A_jjP12ihipStream_tbEUljE_EEESV_SW_SX_S14_S18_S1A_T6_T7_T9_mT8_S1C_bDpT10_ENKUlT_T0_E_clISt17integral_constantIbLb1EES1P_EEDaS1K_S1L_EUlS1K_E_NS1_11comp_targetILNS1_3genE9ELNS1_11target_archE1100ELNS1_3gpuE3ELNS1_3repE0EEENS1_30default_config_static_selectorELNS0_4arch9wavefront6targetE0EEEvSY_,"axG",@progbits,_ZN7rocprim17ROCPRIM_400000_NS6detail17trampoline_kernelINS0_13select_configILj256ELj13ELNS0_17block_load_methodE3ELS4_3ELS4_3ELNS0_20block_scan_algorithmE0ELj4294967295EEENS1_25partition_config_selectorILNS1_17partition_subalgoE3EjNS0_10empty_typeEbEEZZNS1_14partition_implILS8_3ELb0ES6_jNS0_17counting_iteratorIjlEEPS9_SE_NS0_5tupleIJPjSE_EEENSF_IJSE_SE_EEES9_SG_JZNS1_25segmented_radix_sort_implINS0_14default_configELb0EPKdPdPKlPlN2at6native12_GLOBAL__N_18offset_tEEE10hipError_tPvRmT1_PNSt15iterator_traitsISY_E10value_typeET2_T3_PNSZ_IS14_E10value_typeET4_jRbjT5_S1A_jjP12ihipStream_tbEUljE_EEESV_SW_SX_S14_S18_S1A_T6_T7_T9_mT8_S1C_bDpT10_ENKUlT_T0_E_clISt17integral_constantIbLb1EES1P_EEDaS1K_S1L_EUlS1K_E_NS1_11comp_targetILNS1_3genE9ELNS1_11target_archE1100ELNS1_3gpuE3ELNS1_3repE0EEENS1_30default_config_static_selectorELNS0_4arch9wavefront6targetE0EEEvSY_,comdat
	.globl	_ZN7rocprim17ROCPRIM_400000_NS6detail17trampoline_kernelINS0_13select_configILj256ELj13ELNS0_17block_load_methodE3ELS4_3ELS4_3ELNS0_20block_scan_algorithmE0ELj4294967295EEENS1_25partition_config_selectorILNS1_17partition_subalgoE3EjNS0_10empty_typeEbEEZZNS1_14partition_implILS8_3ELb0ES6_jNS0_17counting_iteratorIjlEEPS9_SE_NS0_5tupleIJPjSE_EEENSF_IJSE_SE_EEES9_SG_JZNS1_25segmented_radix_sort_implINS0_14default_configELb0EPKdPdPKlPlN2at6native12_GLOBAL__N_18offset_tEEE10hipError_tPvRmT1_PNSt15iterator_traitsISY_E10value_typeET2_T3_PNSZ_IS14_E10value_typeET4_jRbjT5_S1A_jjP12ihipStream_tbEUljE_EEESV_SW_SX_S14_S18_S1A_T6_T7_T9_mT8_S1C_bDpT10_ENKUlT_T0_E_clISt17integral_constantIbLb1EES1P_EEDaS1K_S1L_EUlS1K_E_NS1_11comp_targetILNS1_3genE9ELNS1_11target_archE1100ELNS1_3gpuE3ELNS1_3repE0EEENS1_30default_config_static_selectorELNS0_4arch9wavefront6targetE0EEEvSY_ ; -- Begin function _ZN7rocprim17ROCPRIM_400000_NS6detail17trampoline_kernelINS0_13select_configILj256ELj13ELNS0_17block_load_methodE3ELS4_3ELS4_3ELNS0_20block_scan_algorithmE0ELj4294967295EEENS1_25partition_config_selectorILNS1_17partition_subalgoE3EjNS0_10empty_typeEbEEZZNS1_14partition_implILS8_3ELb0ES6_jNS0_17counting_iteratorIjlEEPS9_SE_NS0_5tupleIJPjSE_EEENSF_IJSE_SE_EEES9_SG_JZNS1_25segmented_radix_sort_implINS0_14default_configELb0EPKdPdPKlPlN2at6native12_GLOBAL__N_18offset_tEEE10hipError_tPvRmT1_PNSt15iterator_traitsISY_E10value_typeET2_T3_PNSZ_IS14_E10value_typeET4_jRbjT5_S1A_jjP12ihipStream_tbEUljE_EEESV_SW_SX_S14_S18_S1A_T6_T7_T9_mT8_S1C_bDpT10_ENKUlT_T0_E_clISt17integral_constantIbLb1EES1P_EEDaS1K_S1L_EUlS1K_E_NS1_11comp_targetILNS1_3genE9ELNS1_11target_archE1100ELNS1_3gpuE3ELNS1_3repE0EEENS1_30default_config_static_selectorELNS0_4arch9wavefront6targetE0EEEvSY_
	.p2align	8
	.type	_ZN7rocprim17ROCPRIM_400000_NS6detail17trampoline_kernelINS0_13select_configILj256ELj13ELNS0_17block_load_methodE3ELS4_3ELS4_3ELNS0_20block_scan_algorithmE0ELj4294967295EEENS1_25partition_config_selectorILNS1_17partition_subalgoE3EjNS0_10empty_typeEbEEZZNS1_14partition_implILS8_3ELb0ES6_jNS0_17counting_iteratorIjlEEPS9_SE_NS0_5tupleIJPjSE_EEENSF_IJSE_SE_EEES9_SG_JZNS1_25segmented_radix_sort_implINS0_14default_configELb0EPKdPdPKlPlN2at6native12_GLOBAL__N_18offset_tEEE10hipError_tPvRmT1_PNSt15iterator_traitsISY_E10value_typeET2_T3_PNSZ_IS14_E10value_typeET4_jRbjT5_S1A_jjP12ihipStream_tbEUljE_EEESV_SW_SX_S14_S18_S1A_T6_T7_T9_mT8_S1C_bDpT10_ENKUlT_T0_E_clISt17integral_constantIbLb1EES1P_EEDaS1K_S1L_EUlS1K_E_NS1_11comp_targetILNS1_3genE9ELNS1_11target_archE1100ELNS1_3gpuE3ELNS1_3repE0EEENS1_30default_config_static_selectorELNS0_4arch9wavefront6targetE0EEEvSY_,@function
_ZN7rocprim17ROCPRIM_400000_NS6detail17trampoline_kernelINS0_13select_configILj256ELj13ELNS0_17block_load_methodE3ELS4_3ELS4_3ELNS0_20block_scan_algorithmE0ELj4294967295EEENS1_25partition_config_selectorILNS1_17partition_subalgoE3EjNS0_10empty_typeEbEEZZNS1_14partition_implILS8_3ELb0ES6_jNS0_17counting_iteratorIjlEEPS9_SE_NS0_5tupleIJPjSE_EEENSF_IJSE_SE_EEES9_SG_JZNS1_25segmented_radix_sort_implINS0_14default_configELb0EPKdPdPKlPlN2at6native12_GLOBAL__N_18offset_tEEE10hipError_tPvRmT1_PNSt15iterator_traitsISY_E10value_typeET2_T3_PNSZ_IS14_E10value_typeET4_jRbjT5_S1A_jjP12ihipStream_tbEUljE_EEESV_SW_SX_S14_S18_S1A_T6_T7_T9_mT8_S1C_bDpT10_ENKUlT_T0_E_clISt17integral_constantIbLb1EES1P_EEDaS1K_S1L_EUlS1K_E_NS1_11comp_targetILNS1_3genE9ELNS1_11target_archE1100ELNS1_3gpuE3ELNS1_3repE0EEENS1_30default_config_static_selectorELNS0_4arch9wavefront6targetE0EEEvSY_: ; @_ZN7rocprim17ROCPRIM_400000_NS6detail17trampoline_kernelINS0_13select_configILj256ELj13ELNS0_17block_load_methodE3ELS4_3ELS4_3ELNS0_20block_scan_algorithmE0ELj4294967295EEENS1_25partition_config_selectorILNS1_17partition_subalgoE3EjNS0_10empty_typeEbEEZZNS1_14partition_implILS8_3ELb0ES6_jNS0_17counting_iteratorIjlEEPS9_SE_NS0_5tupleIJPjSE_EEENSF_IJSE_SE_EEES9_SG_JZNS1_25segmented_radix_sort_implINS0_14default_configELb0EPKdPdPKlPlN2at6native12_GLOBAL__N_18offset_tEEE10hipError_tPvRmT1_PNSt15iterator_traitsISY_E10value_typeET2_T3_PNSZ_IS14_E10value_typeET4_jRbjT5_S1A_jjP12ihipStream_tbEUljE_EEESV_SW_SX_S14_S18_S1A_T6_T7_T9_mT8_S1C_bDpT10_ENKUlT_T0_E_clISt17integral_constantIbLb1EES1P_EEDaS1K_S1L_EUlS1K_E_NS1_11comp_targetILNS1_3genE9ELNS1_11target_archE1100ELNS1_3gpuE3ELNS1_3repE0EEENS1_30default_config_static_selectorELNS0_4arch9wavefront6targetE0EEEvSY_
; %bb.0:
	.section	.rodata,"a",@progbits
	.p2align	6, 0x0
	.amdhsa_kernel _ZN7rocprim17ROCPRIM_400000_NS6detail17trampoline_kernelINS0_13select_configILj256ELj13ELNS0_17block_load_methodE3ELS4_3ELS4_3ELNS0_20block_scan_algorithmE0ELj4294967295EEENS1_25partition_config_selectorILNS1_17partition_subalgoE3EjNS0_10empty_typeEbEEZZNS1_14partition_implILS8_3ELb0ES6_jNS0_17counting_iteratorIjlEEPS9_SE_NS0_5tupleIJPjSE_EEENSF_IJSE_SE_EEES9_SG_JZNS1_25segmented_radix_sort_implINS0_14default_configELb0EPKdPdPKlPlN2at6native12_GLOBAL__N_18offset_tEEE10hipError_tPvRmT1_PNSt15iterator_traitsISY_E10value_typeET2_T3_PNSZ_IS14_E10value_typeET4_jRbjT5_S1A_jjP12ihipStream_tbEUljE_EEESV_SW_SX_S14_S18_S1A_T6_T7_T9_mT8_S1C_bDpT10_ENKUlT_T0_E_clISt17integral_constantIbLb1EES1P_EEDaS1K_S1L_EUlS1K_E_NS1_11comp_targetILNS1_3genE9ELNS1_11target_archE1100ELNS1_3gpuE3ELNS1_3repE0EEENS1_30default_config_static_selectorELNS0_4arch9wavefront6targetE0EEEvSY_
		.amdhsa_group_segment_fixed_size 0
		.amdhsa_private_segment_fixed_size 0
		.amdhsa_kernarg_size 152
		.amdhsa_user_sgpr_count 2
		.amdhsa_user_sgpr_dispatch_ptr 0
		.amdhsa_user_sgpr_queue_ptr 0
		.amdhsa_user_sgpr_kernarg_segment_ptr 1
		.amdhsa_user_sgpr_dispatch_id 0
		.amdhsa_user_sgpr_kernarg_preload_length 0
		.amdhsa_user_sgpr_kernarg_preload_offset 0
		.amdhsa_user_sgpr_private_segment_size 0
		.amdhsa_wavefront_size32 1
		.amdhsa_uses_dynamic_stack 0
		.amdhsa_enable_private_segment 0
		.amdhsa_system_sgpr_workgroup_id_x 1
		.amdhsa_system_sgpr_workgroup_id_y 0
		.amdhsa_system_sgpr_workgroup_id_z 0
		.amdhsa_system_sgpr_workgroup_info 0
		.amdhsa_system_vgpr_workitem_id 0
		.amdhsa_next_free_vgpr 1
		.amdhsa_next_free_sgpr 1
		.amdhsa_named_barrier_count 0
		.amdhsa_reserve_vcc 0
		.amdhsa_float_round_mode_32 0
		.amdhsa_float_round_mode_16_64 0
		.amdhsa_float_denorm_mode_32 3
		.amdhsa_float_denorm_mode_16_64 3
		.amdhsa_fp16_overflow 0
		.amdhsa_memory_ordered 1
		.amdhsa_forward_progress 1
		.amdhsa_inst_pref_size 0
		.amdhsa_round_robin_scheduling 0
		.amdhsa_exception_fp_ieee_invalid_op 0
		.amdhsa_exception_fp_denorm_src 0
		.amdhsa_exception_fp_ieee_div_zero 0
		.amdhsa_exception_fp_ieee_overflow 0
		.amdhsa_exception_fp_ieee_underflow 0
		.amdhsa_exception_fp_ieee_inexact 0
		.amdhsa_exception_int_div_zero 0
	.end_amdhsa_kernel
	.section	.text._ZN7rocprim17ROCPRIM_400000_NS6detail17trampoline_kernelINS0_13select_configILj256ELj13ELNS0_17block_load_methodE3ELS4_3ELS4_3ELNS0_20block_scan_algorithmE0ELj4294967295EEENS1_25partition_config_selectorILNS1_17partition_subalgoE3EjNS0_10empty_typeEbEEZZNS1_14partition_implILS8_3ELb0ES6_jNS0_17counting_iteratorIjlEEPS9_SE_NS0_5tupleIJPjSE_EEENSF_IJSE_SE_EEES9_SG_JZNS1_25segmented_radix_sort_implINS0_14default_configELb0EPKdPdPKlPlN2at6native12_GLOBAL__N_18offset_tEEE10hipError_tPvRmT1_PNSt15iterator_traitsISY_E10value_typeET2_T3_PNSZ_IS14_E10value_typeET4_jRbjT5_S1A_jjP12ihipStream_tbEUljE_EEESV_SW_SX_S14_S18_S1A_T6_T7_T9_mT8_S1C_bDpT10_ENKUlT_T0_E_clISt17integral_constantIbLb1EES1P_EEDaS1K_S1L_EUlS1K_E_NS1_11comp_targetILNS1_3genE9ELNS1_11target_archE1100ELNS1_3gpuE3ELNS1_3repE0EEENS1_30default_config_static_selectorELNS0_4arch9wavefront6targetE0EEEvSY_,"axG",@progbits,_ZN7rocprim17ROCPRIM_400000_NS6detail17trampoline_kernelINS0_13select_configILj256ELj13ELNS0_17block_load_methodE3ELS4_3ELS4_3ELNS0_20block_scan_algorithmE0ELj4294967295EEENS1_25partition_config_selectorILNS1_17partition_subalgoE3EjNS0_10empty_typeEbEEZZNS1_14partition_implILS8_3ELb0ES6_jNS0_17counting_iteratorIjlEEPS9_SE_NS0_5tupleIJPjSE_EEENSF_IJSE_SE_EEES9_SG_JZNS1_25segmented_radix_sort_implINS0_14default_configELb0EPKdPdPKlPlN2at6native12_GLOBAL__N_18offset_tEEE10hipError_tPvRmT1_PNSt15iterator_traitsISY_E10value_typeET2_T3_PNSZ_IS14_E10value_typeET4_jRbjT5_S1A_jjP12ihipStream_tbEUljE_EEESV_SW_SX_S14_S18_S1A_T6_T7_T9_mT8_S1C_bDpT10_ENKUlT_T0_E_clISt17integral_constantIbLb1EES1P_EEDaS1K_S1L_EUlS1K_E_NS1_11comp_targetILNS1_3genE9ELNS1_11target_archE1100ELNS1_3gpuE3ELNS1_3repE0EEENS1_30default_config_static_selectorELNS0_4arch9wavefront6targetE0EEEvSY_,comdat
.Lfunc_end1197:
	.size	_ZN7rocprim17ROCPRIM_400000_NS6detail17trampoline_kernelINS0_13select_configILj256ELj13ELNS0_17block_load_methodE3ELS4_3ELS4_3ELNS0_20block_scan_algorithmE0ELj4294967295EEENS1_25partition_config_selectorILNS1_17partition_subalgoE3EjNS0_10empty_typeEbEEZZNS1_14partition_implILS8_3ELb0ES6_jNS0_17counting_iteratorIjlEEPS9_SE_NS0_5tupleIJPjSE_EEENSF_IJSE_SE_EEES9_SG_JZNS1_25segmented_radix_sort_implINS0_14default_configELb0EPKdPdPKlPlN2at6native12_GLOBAL__N_18offset_tEEE10hipError_tPvRmT1_PNSt15iterator_traitsISY_E10value_typeET2_T3_PNSZ_IS14_E10value_typeET4_jRbjT5_S1A_jjP12ihipStream_tbEUljE_EEESV_SW_SX_S14_S18_S1A_T6_T7_T9_mT8_S1C_bDpT10_ENKUlT_T0_E_clISt17integral_constantIbLb1EES1P_EEDaS1K_S1L_EUlS1K_E_NS1_11comp_targetILNS1_3genE9ELNS1_11target_archE1100ELNS1_3gpuE3ELNS1_3repE0EEENS1_30default_config_static_selectorELNS0_4arch9wavefront6targetE0EEEvSY_, .Lfunc_end1197-_ZN7rocprim17ROCPRIM_400000_NS6detail17trampoline_kernelINS0_13select_configILj256ELj13ELNS0_17block_load_methodE3ELS4_3ELS4_3ELNS0_20block_scan_algorithmE0ELj4294967295EEENS1_25partition_config_selectorILNS1_17partition_subalgoE3EjNS0_10empty_typeEbEEZZNS1_14partition_implILS8_3ELb0ES6_jNS0_17counting_iteratorIjlEEPS9_SE_NS0_5tupleIJPjSE_EEENSF_IJSE_SE_EEES9_SG_JZNS1_25segmented_radix_sort_implINS0_14default_configELb0EPKdPdPKlPlN2at6native12_GLOBAL__N_18offset_tEEE10hipError_tPvRmT1_PNSt15iterator_traitsISY_E10value_typeET2_T3_PNSZ_IS14_E10value_typeET4_jRbjT5_S1A_jjP12ihipStream_tbEUljE_EEESV_SW_SX_S14_S18_S1A_T6_T7_T9_mT8_S1C_bDpT10_ENKUlT_T0_E_clISt17integral_constantIbLb1EES1P_EEDaS1K_S1L_EUlS1K_E_NS1_11comp_targetILNS1_3genE9ELNS1_11target_archE1100ELNS1_3gpuE3ELNS1_3repE0EEENS1_30default_config_static_selectorELNS0_4arch9wavefront6targetE0EEEvSY_
                                        ; -- End function
	.set _ZN7rocprim17ROCPRIM_400000_NS6detail17trampoline_kernelINS0_13select_configILj256ELj13ELNS0_17block_load_methodE3ELS4_3ELS4_3ELNS0_20block_scan_algorithmE0ELj4294967295EEENS1_25partition_config_selectorILNS1_17partition_subalgoE3EjNS0_10empty_typeEbEEZZNS1_14partition_implILS8_3ELb0ES6_jNS0_17counting_iteratorIjlEEPS9_SE_NS0_5tupleIJPjSE_EEENSF_IJSE_SE_EEES9_SG_JZNS1_25segmented_radix_sort_implINS0_14default_configELb0EPKdPdPKlPlN2at6native12_GLOBAL__N_18offset_tEEE10hipError_tPvRmT1_PNSt15iterator_traitsISY_E10value_typeET2_T3_PNSZ_IS14_E10value_typeET4_jRbjT5_S1A_jjP12ihipStream_tbEUljE_EEESV_SW_SX_S14_S18_S1A_T6_T7_T9_mT8_S1C_bDpT10_ENKUlT_T0_E_clISt17integral_constantIbLb1EES1P_EEDaS1K_S1L_EUlS1K_E_NS1_11comp_targetILNS1_3genE9ELNS1_11target_archE1100ELNS1_3gpuE3ELNS1_3repE0EEENS1_30default_config_static_selectorELNS0_4arch9wavefront6targetE0EEEvSY_.num_vgpr, 0
	.set _ZN7rocprim17ROCPRIM_400000_NS6detail17trampoline_kernelINS0_13select_configILj256ELj13ELNS0_17block_load_methodE3ELS4_3ELS4_3ELNS0_20block_scan_algorithmE0ELj4294967295EEENS1_25partition_config_selectorILNS1_17partition_subalgoE3EjNS0_10empty_typeEbEEZZNS1_14partition_implILS8_3ELb0ES6_jNS0_17counting_iteratorIjlEEPS9_SE_NS0_5tupleIJPjSE_EEENSF_IJSE_SE_EEES9_SG_JZNS1_25segmented_radix_sort_implINS0_14default_configELb0EPKdPdPKlPlN2at6native12_GLOBAL__N_18offset_tEEE10hipError_tPvRmT1_PNSt15iterator_traitsISY_E10value_typeET2_T3_PNSZ_IS14_E10value_typeET4_jRbjT5_S1A_jjP12ihipStream_tbEUljE_EEESV_SW_SX_S14_S18_S1A_T6_T7_T9_mT8_S1C_bDpT10_ENKUlT_T0_E_clISt17integral_constantIbLb1EES1P_EEDaS1K_S1L_EUlS1K_E_NS1_11comp_targetILNS1_3genE9ELNS1_11target_archE1100ELNS1_3gpuE3ELNS1_3repE0EEENS1_30default_config_static_selectorELNS0_4arch9wavefront6targetE0EEEvSY_.num_agpr, 0
	.set _ZN7rocprim17ROCPRIM_400000_NS6detail17trampoline_kernelINS0_13select_configILj256ELj13ELNS0_17block_load_methodE3ELS4_3ELS4_3ELNS0_20block_scan_algorithmE0ELj4294967295EEENS1_25partition_config_selectorILNS1_17partition_subalgoE3EjNS0_10empty_typeEbEEZZNS1_14partition_implILS8_3ELb0ES6_jNS0_17counting_iteratorIjlEEPS9_SE_NS0_5tupleIJPjSE_EEENSF_IJSE_SE_EEES9_SG_JZNS1_25segmented_radix_sort_implINS0_14default_configELb0EPKdPdPKlPlN2at6native12_GLOBAL__N_18offset_tEEE10hipError_tPvRmT1_PNSt15iterator_traitsISY_E10value_typeET2_T3_PNSZ_IS14_E10value_typeET4_jRbjT5_S1A_jjP12ihipStream_tbEUljE_EEESV_SW_SX_S14_S18_S1A_T6_T7_T9_mT8_S1C_bDpT10_ENKUlT_T0_E_clISt17integral_constantIbLb1EES1P_EEDaS1K_S1L_EUlS1K_E_NS1_11comp_targetILNS1_3genE9ELNS1_11target_archE1100ELNS1_3gpuE3ELNS1_3repE0EEENS1_30default_config_static_selectorELNS0_4arch9wavefront6targetE0EEEvSY_.numbered_sgpr, 0
	.set _ZN7rocprim17ROCPRIM_400000_NS6detail17trampoline_kernelINS0_13select_configILj256ELj13ELNS0_17block_load_methodE3ELS4_3ELS4_3ELNS0_20block_scan_algorithmE0ELj4294967295EEENS1_25partition_config_selectorILNS1_17partition_subalgoE3EjNS0_10empty_typeEbEEZZNS1_14partition_implILS8_3ELb0ES6_jNS0_17counting_iteratorIjlEEPS9_SE_NS0_5tupleIJPjSE_EEENSF_IJSE_SE_EEES9_SG_JZNS1_25segmented_radix_sort_implINS0_14default_configELb0EPKdPdPKlPlN2at6native12_GLOBAL__N_18offset_tEEE10hipError_tPvRmT1_PNSt15iterator_traitsISY_E10value_typeET2_T3_PNSZ_IS14_E10value_typeET4_jRbjT5_S1A_jjP12ihipStream_tbEUljE_EEESV_SW_SX_S14_S18_S1A_T6_T7_T9_mT8_S1C_bDpT10_ENKUlT_T0_E_clISt17integral_constantIbLb1EES1P_EEDaS1K_S1L_EUlS1K_E_NS1_11comp_targetILNS1_3genE9ELNS1_11target_archE1100ELNS1_3gpuE3ELNS1_3repE0EEENS1_30default_config_static_selectorELNS0_4arch9wavefront6targetE0EEEvSY_.num_named_barrier, 0
	.set _ZN7rocprim17ROCPRIM_400000_NS6detail17trampoline_kernelINS0_13select_configILj256ELj13ELNS0_17block_load_methodE3ELS4_3ELS4_3ELNS0_20block_scan_algorithmE0ELj4294967295EEENS1_25partition_config_selectorILNS1_17partition_subalgoE3EjNS0_10empty_typeEbEEZZNS1_14partition_implILS8_3ELb0ES6_jNS0_17counting_iteratorIjlEEPS9_SE_NS0_5tupleIJPjSE_EEENSF_IJSE_SE_EEES9_SG_JZNS1_25segmented_radix_sort_implINS0_14default_configELb0EPKdPdPKlPlN2at6native12_GLOBAL__N_18offset_tEEE10hipError_tPvRmT1_PNSt15iterator_traitsISY_E10value_typeET2_T3_PNSZ_IS14_E10value_typeET4_jRbjT5_S1A_jjP12ihipStream_tbEUljE_EEESV_SW_SX_S14_S18_S1A_T6_T7_T9_mT8_S1C_bDpT10_ENKUlT_T0_E_clISt17integral_constantIbLb1EES1P_EEDaS1K_S1L_EUlS1K_E_NS1_11comp_targetILNS1_3genE9ELNS1_11target_archE1100ELNS1_3gpuE3ELNS1_3repE0EEENS1_30default_config_static_selectorELNS0_4arch9wavefront6targetE0EEEvSY_.private_seg_size, 0
	.set _ZN7rocprim17ROCPRIM_400000_NS6detail17trampoline_kernelINS0_13select_configILj256ELj13ELNS0_17block_load_methodE3ELS4_3ELS4_3ELNS0_20block_scan_algorithmE0ELj4294967295EEENS1_25partition_config_selectorILNS1_17partition_subalgoE3EjNS0_10empty_typeEbEEZZNS1_14partition_implILS8_3ELb0ES6_jNS0_17counting_iteratorIjlEEPS9_SE_NS0_5tupleIJPjSE_EEENSF_IJSE_SE_EEES9_SG_JZNS1_25segmented_radix_sort_implINS0_14default_configELb0EPKdPdPKlPlN2at6native12_GLOBAL__N_18offset_tEEE10hipError_tPvRmT1_PNSt15iterator_traitsISY_E10value_typeET2_T3_PNSZ_IS14_E10value_typeET4_jRbjT5_S1A_jjP12ihipStream_tbEUljE_EEESV_SW_SX_S14_S18_S1A_T6_T7_T9_mT8_S1C_bDpT10_ENKUlT_T0_E_clISt17integral_constantIbLb1EES1P_EEDaS1K_S1L_EUlS1K_E_NS1_11comp_targetILNS1_3genE9ELNS1_11target_archE1100ELNS1_3gpuE3ELNS1_3repE0EEENS1_30default_config_static_selectorELNS0_4arch9wavefront6targetE0EEEvSY_.uses_vcc, 0
	.set _ZN7rocprim17ROCPRIM_400000_NS6detail17trampoline_kernelINS0_13select_configILj256ELj13ELNS0_17block_load_methodE3ELS4_3ELS4_3ELNS0_20block_scan_algorithmE0ELj4294967295EEENS1_25partition_config_selectorILNS1_17partition_subalgoE3EjNS0_10empty_typeEbEEZZNS1_14partition_implILS8_3ELb0ES6_jNS0_17counting_iteratorIjlEEPS9_SE_NS0_5tupleIJPjSE_EEENSF_IJSE_SE_EEES9_SG_JZNS1_25segmented_radix_sort_implINS0_14default_configELb0EPKdPdPKlPlN2at6native12_GLOBAL__N_18offset_tEEE10hipError_tPvRmT1_PNSt15iterator_traitsISY_E10value_typeET2_T3_PNSZ_IS14_E10value_typeET4_jRbjT5_S1A_jjP12ihipStream_tbEUljE_EEESV_SW_SX_S14_S18_S1A_T6_T7_T9_mT8_S1C_bDpT10_ENKUlT_T0_E_clISt17integral_constantIbLb1EES1P_EEDaS1K_S1L_EUlS1K_E_NS1_11comp_targetILNS1_3genE9ELNS1_11target_archE1100ELNS1_3gpuE3ELNS1_3repE0EEENS1_30default_config_static_selectorELNS0_4arch9wavefront6targetE0EEEvSY_.uses_flat_scratch, 0
	.set _ZN7rocprim17ROCPRIM_400000_NS6detail17trampoline_kernelINS0_13select_configILj256ELj13ELNS0_17block_load_methodE3ELS4_3ELS4_3ELNS0_20block_scan_algorithmE0ELj4294967295EEENS1_25partition_config_selectorILNS1_17partition_subalgoE3EjNS0_10empty_typeEbEEZZNS1_14partition_implILS8_3ELb0ES6_jNS0_17counting_iteratorIjlEEPS9_SE_NS0_5tupleIJPjSE_EEENSF_IJSE_SE_EEES9_SG_JZNS1_25segmented_radix_sort_implINS0_14default_configELb0EPKdPdPKlPlN2at6native12_GLOBAL__N_18offset_tEEE10hipError_tPvRmT1_PNSt15iterator_traitsISY_E10value_typeET2_T3_PNSZ_IS14_E10value_typeET4_jRbjT5_S1A_jjP12ihipStream_tbEUljE_EEESV_SW_SX_S14_S18_S1A_T6_T7_T9_mT8_S1C_bDpT10_ENKUlT_T0_E_clISt17integral_constantIbLb1EES1P_EEDaS1K_S1L_EUlS1K_E_NS1_11comp_targetILNS1_3genE9ELNS1_11target_archE1100ELNS1_3gpuE3ELNS1_3repE0EEENS1_30default_config_static_selectorELNS0_4arch9wavefront6targetE0EEEvSY_.has_dyn_sized_stack, 0
	.set _ZN7rocprim17ROCPRIM_400000_NS6detail17trampoline_kernelINS0_13select_configILj256ELj13ELNS0_17block_load_methodE3ELS4_3ELS4_3ELNS0_20block_scan_algorithmE0ELj4294967295EEENS1_25partition_config_selectorILNS1_17partition_subalgoE3EjNS0_10empty_typeEbEEZZNS1_14partition_implILS8_3ELb0ES6_jNS0_17counting_iteratorIjlEEPS9_SE_NS0_5tupleIJPjSE_EEENSF_IJSE_SE_EEES9_SG_JZNS1_25segmented_radix_sort_implINS0_14default_configELb0EPKdPdPKlPlN2at6native12_GLOBAL__N_18offset_tEEE10hipError_tPvRmT1_PNSt15iterator_traitsISY_E10value_typeET2_T3_PNSZ_IS14_E10value_typeET4_jRbjT5_S1A_jjP12ihipStream_tbEUljE_EEESV_SW_SX_S14_S18_S1A_T6_T7_T9_mT8_S1C_bDpT10_ENKUlT_T0_E_clISt17integral_constantIbLb1EES1P_EEDaS1K_S1L_EUlS1K_E_NS1_11comp_targetILNS1_3genE9ELNS1_11target_archE1100ELNS1_3gpuE3ELNS1_3repE0EEENS1_30default_config_static_selectorELNS0_4arch9wavefront6targetE0EEEvSY_.has_recursion, 0
	.set _ZN7rocprim17ROCPRIM_400000_NS6detail17trampoline_kernelINS0_13select_configILj256ELj13ELNS0_17block_load_methodE3ELS4_3ELS4_3ELNS0_20block_scan_algorithmE0ELj4294967295EEENS1_25partition_config_selectorILNS1_17partition_subalgoE3EjNS0_10empty_typeEbEEZZNS1_14partition_implILS8_3ELb0ES6_jNS0_17counting_iteratorIjlEEPS9_SE_NS0_5tupleIJPjSE_EEENSF_IJSE_SE_EEES9_SG_JZNS1_25segmented_radix_sort_implINS0_14default_configELb0EPKdPdPKlPlN2at6native12_GLOBAL__N_18offset_tEEE10hipError_tPvRmT1_PNSt15iterator_traitsISY_E10value_typeET2_T3_PNSZ_IS14_E10value_typeET4_jRbjT5_S1A_jjP12ihipStream_tbEUljE_EEESV_SW_SX_S14_S18_S1A_T6_T7_T9_mT8_S1C_bDpT10_ENKUlT_T0_E_clISt17integral_constantIbLb1EES1P_EEDaS1K_S1L_EUlS1K_E_NS1_11comp_targetILNS1_3genE9ELNS1_11target_archE1100ELNS1_3gpuE3ELNS1_3repE0EEENS1_30default_config_static_selectorELNS0_4arch9wavefront6targetE0EEEvSY_.has_indirect_call, 0
	.section	.AMDGPU.csdata,"",@progbits
; Kernel info:
; codeLenInByte = 0
; TotalNumSgprs: 0
; NumVgprs: 0
; ScratchSize: 0
; MemoryBound: 0
; FloatMode: 240
; IeeeMode: 1
; LDSByteSize: 0 bytes/workgroup (compile time only)
; SGPRBlocks: 0
; VGPRBlocks: 0
; NumSGPRsForWavesPerEU: 1
; NumVGPRsForWavesPerEU: 1
; NamedBarCnt: 0
; Occupancy: 16
; WaveLimiterHint : 0
; COMPUTE_PGM_RSRC2:SCRATCH_EN: 0
; COMPUTE_PGM_RSRC2:USER_SGPR: 2
; COMPUTE_PGM_RSRC2:TRAP_HANDLER: 0
; COMPUTE_PGM_RSRC2:TGID_X_EN: 1
; COMPUTE_PGM_RSRC2:TGID_Y_EN: 0
; COMPUTE_PGM_RSRC2:TGID_Z_EN: 0
; COMPUTE_PGM_RSRC2:TIDIG_COMP_CNT: 0
	.section	.text._ZN7rocprim17ROCPRIM_400000_NS6detail17trampoline_kernelINS0_13select_configILj256ELj13ELNS0_17block_load_methodE3ELS4_3ELS4_3ELNS0_20block_scan_algorithmE0ELj4294967295EEENS1_25partition_config_selectorILNS1_17partition_subalgoE3EjNS0_10empty_typeEbEEZZNS1_14partition_implILS8_3ELb0ES6_jNS0_17counting_iteratorIjlEEPS9_SE_NS0_5tupleIJPjSE_EEENSF_IJSE_SE_EEES9_SG_JZNS1_25segmented_radix_sort_implINS0_14default_configELb0EPKdPdPKlPlN2at6native12_GLOBAL__N_18offset_tEEE10hipError_tPvRmT1_PNSt15iterator_traitsISY_E10value_typeET2_T3_PNSZ_IS14_E10value_typeET4_jRbjT5_S1A_jjP12ihipStream_tbEUljE_EEESV_SW_SX_S14_S18_S1A_T6_T7_T9_mT8_S1C_bDpT10_ENKUlT_T0_E_clISt17integral_constantIbLb1EES1P_EEDaS1K_S1L_EUlS1K_E_NS1_11comp_targetILNS1_3genE8ELNS1_11target_archE1030ELNS1_3gpuE2ELNS1_3repE0EEENS1_30default_config_static_selectorELNS0_4arch9wavefront6targetE0EEEvSY_,"axG",@progbits,_ZN7rocprim17ROCPRIM_400000_NS6detail17trampoline_kernelINS0_13select_configILj256ELj13ELNS0_17block_load_methodE3ELS4_3ELS4_3ELNS0_20block_scan_algorithmE0ELj4294967295EEENS1_25partition_config_selectorILNS1_17partition_subalgoE3EjNS0_10empty_typeEbEEZZNS1_14partition_implILS8_3ELb0ES6_jNS0_17counting_iteratorIjlEEPS9_SE_NS0_5tupleIJPjSE_EEENSF_IJSE_SE_EEES9_SG_JZNS1_25segmented_radix_sort_implINS0_14default_configELb0EPKdPdPKlPlN2at6native12_GLOBAL__N_18offset_tEEE10hipError_tPvRmT1_PNSt15iterator_traitsISY_E10value_typeET2_T3_PNSZ_IS14_E10value_typeET4_jRbjT5_S1A_jjP12ihipStream_tbEUljE_EEESV_SW_SX_S14_S18_S1A_T6_T7_T9_mT8_S1C_bDpT10_ENKUlT_T0_E_clISt17integral_constantIbLb1EES1P_EEDaS1K_S1L_EUlS1K_E_NS1_11comp_targetILNS1_3genE8ELNS1_11target_archE1030ELNS1_3gpuE2ELNS1_3repE0EEENS1_30default_config_static_selectorELNS0_4arch9wavefront6targetE0EEEvSY_,comdat
	.globl	_ZN7rocprim17ROCPRIM_400000_NS6detail17trampoline_kernelINS0_13select_configILj256ELj13ELNS0_17block_load_methodE3ELS4_3ELS4_3ELNS0_20block_scan_algorithmE0ELj4294967295EEENS1_25partition_config_selectorILNS1_17partition_subalgoE3EjNS0_10empty_typeEbEEZZNS1_14partition_implILS8_3ELb0ES6_jNS0_17counting_iteratorIjlEEPS9_SE_NS0_5tupleIJPjSE_EEENSF_IJSE_SE_EEES9_SG_JZNS1_25segmented_radix_sort_implINS0_14default_configELb0EPKdPdPKlPlN2at6native12_GLOBAL__N_18offset_tEEE10hipError_tPvRmT1_PNSt15iterator_traitsISY_E10value_typeET2_T3_PNSZ_IS14_E10value_typeET4_jRbjT5_S1A_jjP12ihipStream_tbEUljE_EEESV_SW_SX_S14_S18_S1A_T6_T7_T9_mT8_S1C_bDpT10_ENKUlT_T0_E_clISt17integral_constantIbLb1EES1P_EEDaS1K_S1L_EUlS1K_E_NS1_11comp_targetILNS1_3genE8ELNS1_11target_archE1030ELNS1_3gpuE2ELNS1_3repE0EEENS1_30default_config_static_selectorELNS0_4arch9wavefront6targetE0EEEvSY_ ; -- Begin function _ZN7rocprim17ROCPRIM_400000_NS6detail17trampoline_kernelINS0_13select_configILj256ELj13ELNS0_17block_load_methodE3ELS4_3ELS4_3ELNS0_20block_scan_algorithmE0ELj4294967295EEENS1_25partition_config_selectorILNS1_17partition_subalgoE3EjNS0_10empty_typeEbEEZZNS1_14partition_implILS8_3ELb0ES6_jNS0_17counting_iteratorIjlEEPS9_SE_NS0_5tupleIJPjSE_EEENSF_IJSE_SE_EEES9_SG_JZNS1_25segmented_radix_sort_implINS0_14default_configELb0EPKdPdPKlPlN2at6native12_GLOBAL__N_18offset_tEEE10hipError_tPvRmT1_PNSt15iterator_traitsISY_E10value_typeET2_T3_PNSZ_IS14_E10value_typeET4_jRbjT5_S1A_jjP12ihipStream_tbEUljE_EEESV_SW_SX_S14_S18_S1A_T6_T7_T9_mT8_S1C_bDpT10_ENKUlT_T0_E_clISt17integral_constantIbLb1EES1P_EEDaS1K_S1L_EUlS1K_E_NS1_11comp_targetILNS1_3genE8ELNS1_11target_archE1030ELNS1_3gpuE2ELNS1_3repE0EEENS1_30default_config_static_selectorELNS0_4arch9wavefront6targetE0EEEvSY_
	.p2align	8
	.type	_ZN7rocprim17ROCPRIM_400000_NS6detail17trampoline_kernelINS0_13select_configILj256ELj13ELNS0_17block_load_methodE3ELS4_3ELS4_3ELNS0_20block_scan_algorithmE0ELj4294967295EEENS1_25partition_config_selectorILNS1_17partition_subalgoE3EjNS0_10empty_typeEbEEZZNS1_14partition_implILS8_3ELb0ES6_jNS0_17counting_iteratorIjlEEPS9_SE_NS0_5tupleIJPjSE_EEENSF_IJSE_SE_EEES9_SG_JZNS1_25segmented_radix_sort_implINS0_14default_configELb0EPKdPdPKlPlN2at6native12_GLOBAL__N_18offset_tEEE10hipError_tPvRmT1_PNSt15iterator_traitsISY_E10value_typeET2_T3_PNSZ_IS14_E10value_typeET4_jRbjT5_S1A_jjP12ihipStream_tbEUljE_EEESV_SW_SX_S14_S18_S1A_T6_T7_T9_mT8_S1C_bDpT10_ENKUlT_T0_E_clISt17integral_constantIbLb1EES1P_EEDaS1K_S1L_EUlS1K_E_NS1_11comp_targetILNS1_3genE8ELNS1_11target_archE1030ELNS1_3gpuE2ELNS1_3repE0EEENS1_30default_config_static_selectorELNS0_4arch9wavefront6targetE0EEEvSY_,@function
_ZN7rocprim17ROCPRIM_400000_NS6detail17trampoline_kernelINS0_13select_configILj256ELj13ELNS0_17block_load_methodE3ELS4_3ELS4_3ELNS0_20block_scan_algorithmE0ELj4294967295EEENS1_25partition_config_selectorILNS1_17partition_subalgoE3EjNS0_10empty_typeEbEEZZNS1_14partition_implILS8_3ELb0ES6_jNS0_17counting_iteratorIjlEEPS9_SE_NS0_5tupleIJPjSE_EEENSF_IJSE_SE_EEES9_SG_JZNS1_25segmented_radix_sort_implINS0_14default_configELb0EPKdPdPKlPlN2at6native12_GLOBAL__N_18offset_tEEE10hipError_tPvRmT1_PNSt15iterator_traitsISY_E10value_typeET2_T3_PNSZ_IS14_E10value_typeET4_jRbjT5_S1A_jjP12ihipStream_tbEUljE_EEESV_SW_SX_S14_S18_S1A_T6_T7_T9_mT8_S1C_bDpT10_ENKUlT_T0_E_clISt17integral_constantIbLb1EES1P_EEDaS1K_S1L_EUlS1K_E_NS1_11comp_targetILNS1_3genE8ELNS1_11target_archE1030ELNS1_3gpuE2ELNS1_3repE0EEENS1_30default_config_static_selectorELNS0_4arch9wavefront6targetE0EEEvSY_: ; @_ZN7rocprim17ROCPRIM_400000_NS6detail17trampoline_kernelINS0_13select_configILj256ELj13ELNS0_17block_load_methodE3ELS4_3ELS4_3ELNS0_20block_scan_algorithmE0ELj4294967295EEENS1_25partition_config_selectorILNS1_17partition_subalgoE3EjNS0_10empty_typeEbEEZZNS1_14partition_implILS8_3ELb0ES6_jNS0_17counting_iteratorIjlEEPS9_SE_NS0_5tupleIJPjSE_EEENSF_IJSE_SE_EEES9_SG_JZNS1_25segmented_radix_sort_implINS0_14default_configELb0EPKdPdPKlPlN2at6native12_GLOBAL__N_18offset_tEEE10hipError_tPvRmT1_PNSt15iterator_traitsISY_E10value_typeET2_T3_PNSZ_IS14_E10value_typeET4_jRbjT5_S1A_jjP12ihipStream_tbEUljE_EEESV_SW_SX_S14_S18_S1A_T6_T7_T9_mT8_S1C_bDpT10_ENKUlT_T0_E_clISt17integral_constantIbLb1EES1P_EEDaS1K_S1L_EUlS1K_E_NS1_11comp_targetILNS1_3genE8ELNS1_11target_archE1030ELNS1_3gpuE2ELNS1_3repE0EEENS1_30default_config_static_selectorELNS0_4arch9wavefront6targetE0EEEvSY_
; %bb.0:
	.section	.rodata,"a",@progbits
	.p2align	6, 0x0
	.amdhsa_kernel _ZN7rocprim17ROCPRIM_400000_NS6detail17trampoline_kernelINS0_13select_configILj256ELj13ELNS0_17block_load_methodE3ELS4_3ELS4_3ELNS0_20block_scan_algorithmE0ELj4294967295EEENS1_25partition_config_selectorILNS1_17partition_subalgoE3EjNS0_10empty_typeEbEEZZNS1_14partition_implILS8_3ELb0ES6_jNS0_17counting_iteratorIjlEEPS9_SE_NS0_5tupleIJPjSE_EEENSF_IJSE_SE_EEES9_SG_JZNS1_25segmented_radix_sort_implINS0_14default_configELb0EPKdPdPKlPlN2at6native12_GLOBAL__N_18offset_tEEE10hipError_tPvRmT1_PNSt15iterator_traitsISY_E10value_typeET2_T3_PNSZ_IS14_E10value_typeET4_jRbjT5_S1A_jjP12ihipStream_tbEUljE_EEESV_SW_SX_S14_S18_S1A_T6_T7_T9_mT8_S1C_bDpT10_ENKUlT_T0_E_clISt17integral_constantIbLb1EES1P_EEDaS1K_S1L_EUlS1K_E_NS1_11comp_targetILNS1_3genE8ELNS1_11target_archE1030ELNS1_3gpuE2ELNS1_3repE0EEENS1_30default_config_static_selectorELNS0_4arch9wavefront6targetE0EEEvSY_
		.amdhsa_group_segment_fixed_size 0
		.amdhsa_private_segment_fixed_size 0
		.amdhsa_kernarg_size 152
		.amdhsa_user_sgpr_count 2
		.amdhsa_user_sgpr_dispatch_ptr 0
		.amdhsa_user_sgpr_queue_ptr 0
		.amdhsa_user_sgpr_kernarg_segment_ptr 1
		.amdhsa_user_sgpr_dispatch_id 0
		.amdhsa_user_sgpr_kernarg_preload_length 0
		.amdhsa_user_sgpr_kernarg_preload_offset 0
		.amdhsa_user_sgpr_private_segment_size 0
		.amdhsa_wavefront_size32 1
		.amdhsa_uses_dynamic_stack 0
		.amdhsa_enable_private_segment 0
		.amdhsa_system_sgpr_workgroup_id_x 1
		.amdhsa_system_sgpr_workgroup_id_y 0
		.amdhsa_system_sgpr_workgroup_id_z 0
		.amdhsa_system_sgpr_workgroup_info 0
		.amdhsa_system_vgpr_workitem_id 0
		.amdhsa_next_free_vgpr 1
		.amdhsa_next_free_sgpr 1
		.amdhsa_named_barrier_count 0
		.amdhsa_reserve_vcc 0
		.amdhsa_float_round_mode_32 0
		.amdhsa_float_round_mode_16_64 0
		.amdhsa_float_denorm_mode_32 3
		.amdhsa_float_denorm_mode_16_64 3
		.amdhsa_fp16_overflow 0
		.amdhsa_memory_ordered 1
		.amdhsa_forward_progress 1
		.amdhsa_inst_pref_size 0
		.amdhsa_round_robin_scheduling 0
		.amdhsa_exception_fp_ieee_invalid_op 0
		.amdhsa_exception_fp_denorm_src 0
		.amdhsa_exception_fp_ieee_div_zero 0
		.amdhsa_exception_fp_ieee_overflow 0
		.amdhsa_exception_fp_ieee_underflow 0
		.amdhsa_exception_fp_ieee_inexact 0
		.amdhsa_exception_int_div_zero 0
	.end_amdhsa_kernel
	.section	.text._ZN7rocprim17ROCPRIM_400000_NS6detail17trampoline_kernelINS0_13select_configILj256ELj13ELNS0_17block_load_methodE3ELS4_3ELS4_3ELNS0_20block_scan_algorithmE0ELj4294967295EEENS1_25partition_config_selectorILNS1_17partition_subalgoE3EjNS0_10empty_typeEbEEZZNS1_14partition_implILS8_3ELb0ES6_jNS0_17counting_iteratorIjlEEPS9_SE_NS0_5tupleIJPjSE_EEENSF_IJSE_SE_EEES9_SG_JZNS1_25segmented_radix_sort_implINS0_14default_configELb0EPKdPdPKlPlN2at6native12_GLOBAL__N_18offset_tEEE10hipError_tPvRmT1_PNSt15iterator_traitsISY_E10value_typeET2_T3_PNSZ_IS14_E10value_typeET4_jRbjT5_S1A_jjP12ihipStream_tbEUljE_EEESV_SW_SX_S14_S18_S1A_T6_T7_T9_mT8_S1C_bDpT10_ENKUlT_T0_E_clISt17integral_constantIbLb1EES1P_EEDaS1K_S1L_EUlS1K_E_NS1_11comp_targetILNS1_3genE8ELNS1_11target_archE1030ELNS1_3gpuE2ELNS1_3repE0EEENS1_30default_config_static_selectorELNS0_4arch9wavefront6targetE0EEEvSY_,"axG",@progbits,_ZN7rocprim17ROCPRIM_400000_NS6detail17trampoline_kernelINS0_13select_configILj256ELj13ELNS0_17block_load_methodE3ELS4_3ELS4_3ELNS0_20block_scan_algorithmE0ELj4294967295EEENS1_25partition_config_selectorILNS1_17partition_subalgoE3EjNS0_10empty_typeEbEEZZNS1_14partition_implILS8_3ELb0ES6_jNS0_17counting_iteratorIjlEEPS9_SE_NS0_5tupleIJPjSE_EEENSF_IJSE_SE_EEES9_SG_JZNS1_25segmented_radix_sort_implINS0_14default_configELb0EPKdPdPKlPlN2at6native12_GLOBAL__N_18offset_tEEE10hipError_tPvRmT1_PNSt15iterator_traitsISY_E10value_typeET2_T3_PNSZ_IS14_E10value_typeET4_jRbjT5_S1A_jjP12ihipStream_tbEUljE_EEESV_SW_SX_S14_S18_S1A_T6_T7_T9_mT8_S1C_bDpT10_ENKUlT_T0_E_clISt17integral_constantIbLb1EES1P_EEDaS1K_S1L_EUlS1K_E_NS1_11comp_targetILNS1_3genE8ELNS1_11target_archE1030ELNS1_3gpuE2ELNS1_3repE0EEENS1_30default_config_static_selectorELNS0_4arch9wavefront6targetE0EEEvSY_,comdat
.Lfunc_end1198:
	.size	_ZN7rocprim17ROCPRIM_400000_NS6detail17trampoline_kernelINS0_13select_configILj256ELj13ELNS0_17block_load_methodE3ELS4_3ELS4_3ELNS0_20block_scan_algorithmE0ELj4294967295EEENS1_25partition_config_selectorILNS1_17partition_subalgoE3EjNS0_10empty_typeEbEEZZNS1_14partition_implILS8_3ELb0ES6_jNS0_17counting_iteratorIjlEEPS9_SE_NS0_5tupleIJPjSE_EEENSF_IJSE_SE_EEES9_SG_JZNS1_25segmented_radix_sort_implINS0_14default_configELb0EPKdPdPKlPlN2at6native12_GLOBAL__N_18offset_tEEE10hipError_tPvRmT1_PNSt15iterator_traitsISY_E10value_typeET2_T3_PNSZ_IS14_E10value_typeET4_jRbjT5_S1A_jjP12ihipStream_tbEUljE_EEESV_SW_SX_S14_S18_S1A_T6_T7_T9_mT8_S1C_bDpT10_ENKUlT_T0_E_clISt17integral_constantIbLb1EES1P_EEDaS1K_S1L_EUlS1K_E_NS1_11comp_targetILNS1_3genE8ELNS1_11target_archE1030ELNS1_3gpuE2ELNS1_3repE0EEENS1_30default_config_static_selectorELNS0_4arch9wavefront6targetE0EEEvSY_, .Lfunc_end1198-_ZN7rocprim17ROCPRIM_400000_NS6detail17trampoline_kernelINS0_13select_configILj256ELj13ELNS0_17block_load_methodE3ELS4_3ELS4_3ELNS0_20block_scan_algorithmE0ELj4294967295EEENS1_25partition_config_selectorILNS1_17partition_subalgoE3EjNS0_10empty_typeEbEEZZNS1_14partition_implILS8_3ELb0ES6_jNS0_17counting_iteratorIjlEEPS9_SE_NS0_5tupleIJPjSE_EEENSF_IJSE_SE_EEES9_SG_JZNS1_25segmented_radix_sort_implINS0_14default_configELb0EPKdPdPKlPlN2at6native12_GLOBAL__N_18offset_tEEE10hipError_tPvRmT1_PNSt15iterator_traitsISY_E10value_typeET2_T3_PNSZ_IS14_E10value_typeET4_jRbjT5_S1A_jjP12ihipStream_tbEUljE_EEESV_SW_SX_S14_S18_S1A_T6_T7_T9_mT8_S1C_bDpT10_ENKUlT_T0_E_clISt17integral_constantIbLb1EES1P_EEDaS1K_S1L_EUlS1K_E_NS1_11comp_targetILNS1_3genE8ELNS1_11target_archE1030ELNS1_3gpuE2ELNS1_3repE0EEENS1_30default_config_static_selectorELNS0_4arch9wavefront6targetE0EEEvSY_
                                        ; -- End function
	.set _ZN7rocprim17ROCPRIM_400000_NS6detail17trampoline_kernelINS0_13select_configILj256ELj13ELNS0_17block_load_methodE3ELS4_3ELS4_3ELNS0_20block_scan_algorithmE0ELj4294967295EEENS1_25partition_config_selectorILNS1_17partition_subalgoE3EjNS0_10empty_typeEbEEZZNS1_14partition_implILS8_3ELb0ES6_jNS0_17counting_iteratorIjlEEPS9_SE_NS0_5tupleIJPjSE_EEENSF_IJSE_SE_EEES9_SG_JZNS1_25segmented_radix_sort_implINS0_14default_configELb0EPKdPdPKlPlN2at6native12_GLOBAL__N_18offset_tEEE10hipError_tPvRmT1_PNSt15iterator_traitsISY_E10value_typeET2_T3_PNSZ_IS14_E10value_typeET4_jRbjT5_S1A_jjP12ihipStream_tbEUljE_EEESV_SW_SX_S14_S18_S1A_T6_T7_T9_mT8_S1C_bDpT10_ENKUlT_T0_E_clISt17integral_constantIbLb1EES1P_EEDaS1K_S1L_EUlS1K_E_NS1_11comp_targetILNS1_3genE8ELNS1_11target_archE1030ELNS1_3gpuE2ELNS1_3repE0EEENS1_30default_config_static_selectorELNS0_4arch9wavefront6targetE0EEEvSY_.num_vgpr, 0
	.set _ZN7rocprim17ROCPRIM_400000_NS6detail17trampoline_kernelINS0_13select_configILj256ELj13ELNS0_17block_load_methodE3ELS4_3ELS4_3ELNS0_20block_scan_algorithmE0ELj4294967295EEENS1_25partition_config_selectorILNS1_17partition_subalgoE3EjNS0_10empty_typeEbEEZZNS1_14partition_implILS8_3ELb0ES6_jNS0_17counting_iteratorIjlEEPS9_SE_NS0_5tupleIJPjSE_EEENSF_IJSE_SE_EEES9_SG_JZNS1_25segmented_radix_sort_implINS0_14default_configELb0EPKdPdPKlPlN2at6native12_GLOBAL__N_18offset_tEEE10hipError_tPvRmT1_PNSt15iterator_traitsISY_E10value_typeET2_T3_PNSZ_IS14_E10value_typeET4_jRbjT5_S1A_jjP12ihipStream_tbEUljE_EEESV_SW_SX_S14_S18_S1A_T6_T7_T9_mT8_S1C_bDpT10_ENKUlT_T0_E_clISt17integral_constantIbLb1EES1P_EEDaS1K_S1L_EUlS1K_E_NS1_11comp_targetILNS1_3genE8ELNS1_11target_archE1030ELNS1_3gpuE2ELNS1_3repE0EEENS1_30default_config_static_selectorELNS0_4arch9wavefront6targetE0EEEvSY_.num_agpr, 0
	.set _ZN7rocprim17ROCPRIM_400000_NS6detail17trampoline_kernelINS0_13select_configILj256ELj13ELNS0_17block_load_methodE3ELS4_3ELS4_3ELNS0_20block_scan_algorithmE0ELj4294967295EEENS1_25partition_config_selectorILNS1_17partition_subalgoE3EjNS0_10empty_typeEbEEZZNS1_14partition_implILS8_3ELb0ES6_jNS0_17counting_iteratorIjlEEPS9_SE_NS0_5tupleIJPjSE_EEENSF_IJSE_SE_EEES9_SG_JZNS1_25segmented_radix_sort_implINS0_14default_configELb0EPKdPdPKlPlN2at6native12_GLOBAL__N_18offset_tEEE10hipError_tPvRmT1_PNSt15iterator_traitsISY_E10value_typeET2_T3_PNSZ_IS14_E10value_typeET4_jRbjT5_S1A_jjP12ihipStream_tbEUljE_EEESV_SW_SX_S14_S18_S1A_T6_T7_T9_mT8_S1C_bDpT10_ENKUlT_T0_E_clISt17integral_constantIbLb1EES1P_EEDaS1K_S1L_EUlS1K_E_NS1_11comp_targetILNS1_3genE8ELNS1_11target_archE1030ELNS1_3gpuE2ELNS1_3repE0EEENS1_30default_config_static_selectorELNS0_4arch9wavefront6targetE0EEEvSY_.numbered_sgpr, 0
	.set _ZN7rocprim17ROCPRIM_400000_NS6detail17trampoline_kernelINS0_13select_configILj256ELj13ELNS0_17block_load_methodE3ELS4_3ELS4_3ELNS0_20block_scan_algorithmE0ELj4294967295EEENS1_25partition_config_selectorILNS1_17partition_subalgoE3EjNS0_10empty_typeEbEEZZNS1_14partition_implILS8_3ELb0ES6_jNS0_17counting_iteratorIjlEEPS9_SE_NS0_5tupleIJPjSE_EEENSF_IJSE_SE_EEES9_SG_JZNS1_25segmented_radix_sort_implINS0_14default_configELb0EPKdPdPKlPlN2at6native12_GLOBAL__N_18offset_tEEE10hipError_tPvRmT1_PNSt15iterator_traitsISY_E10value_typeET2_T3_PNSZ_IS14_E10value_typeET4_jRbjT5_S1A_jjP12ihipStream_tbEUljE_EEESV_SW_SX_S14_S18_S1A_T6_T7_T9_mT8_S1C_bDpT10_ENKUlT_T0_E_clISt17integral_constantIbLb1EES1P_EEDaS1K_S1L_EUlS1K_E_NS1_11comp_targetILNS1_3genE8ELNS1_11target_archE1030ELNS1_3gpuE2ELNS1_3repE0EEENS1_30default_config_static_selectorELNS0_4arch9wavefront6targetE0EEEvSY_.num_named_barrier, 0
	.set _ZN7rocprim17ROCPRIM_400000_NS6detail17trampoline_kernelINS0_13select_configILj256ELj13ELNS0_17block_load_methodE3ELS4_3ELS4_3ELNS0_20block_scan_algorithmE0ELj4294967295EEENS1_25partition_config_selectorILNS1_17partition_subalgoE3EjNS0_10empty_typeEbEEZZNS1_14partition_implILS8_3ELb0ES6_jNS0_17counting_iteratorIjlEEPS9_SE_NS0_5tupleIJPjSE_EEENSF_IJSE_SE_EEES9_SG_JZNS1_25segmented_radix_sort_implINS0_14default_configELb0EPKdPdPKlPlN2at6native12_GLOBAL__N_18offset_tEEE10hipError_tPvRmT1_PNSt15iterator_traitsISY_E10value_typeET2_T3_PNSZ_IS14_E10value_typeET4_jRbjT5_S1A_jjP12ihipStream_tbEUljE_EEESV_SW_SX_S14_S18_S1A_T6_T7_T9_mT8_S1C_bDpT10_ENKUlT_T0_E_clISt17integral_constantIbLb1EES1P_EEDaS1K_S1L_EUlS1K_E_NS1_11comp_targetILNS1_3genE8ELNS1_11target_archE1030ELNS1_3gpuE2ELNS1_3repE0EEENS1_30default_config_static_selectorELNS0_4arch9wavefront6targetE0EEEvSY_.private_seg_size, 0
	.set _ZN7rocprim17ROCPRIM_400000_NS6detail17trampoline_kernelINS0_13select_configILj256ELj13ELNS0_17block_load_methodE3ELS4_3ELS4_3ELNS0_20block_scan_algorithmE0ELj4294967295EEENS1_25partition_config_selectorILNS1_17partition_subalgoE3EjNS0_10empty_typeEbEEZZNS1_14partition_implILS8_3ELb0ES6_jNS0_17counting_iteratorIjlEEPS9_SE_NS0_5tupleIJPjSE_EEENSF_IJSE_SE_EEES9_SG_JZNS1_25segmented_radix_sort_implINS0_14default_configELb0EPKdPdPKlPlN2at6native12_GLOBAL__N_18offset_tEEE10hipError_tPvRmT1_PNSt15iterator_traitsISY_E10value_typeET2_T3_PNSZ_IS14_E10value_typeET4_jRbjT5_S1A_jjP12ihipStream_tbEUljE_EEESV_SW_SX_S14_S18_S1A_T6_T7_T9_mT8_S1C_bDpT10_ENKUlT_T0_E_clISt17integral_constantIbLb1EES1P_EEDaS1K_S1L_EUlS1K_E_NS1_11comp_targetILNS1_3genE8ELNS1_11target_archE1030ELNS1_3gpuE2ELNS1_3repE0EEENS1_30default_config_static_selectorELNS0_4arch9wavefront6targetE0EEEvSY_.uses_vcc, 0
	.set _ZN7rocprim17ROCPRIM_400000_NS6detail17trampoline_kernelINS0_13select_configILj256ELj13ELNS0_17block_load_methodE3ELS4_3ELS4_3ELNS0_20block_scan_algorithmE0ELj4294967295EEENS1_25partition_config_selectorILNS1_17partition_subalgoE3EjNS0_10empty_typeEbEEZZNS1_14partition_implILS8_3ELb0ES6_jNS0_17counting_iteratorIjlEEPS9_SE_NS0_5tupleIJPjSE_EEENSF_IJSE_SE_EEES9_SG_JZNS1_25segmented_radix_sort_implINS0_14default_configELb0EPKdPdPKlPlN2at6native12_GLOBAL__N_18offset_tEEE10hipError_tPvRmT1_PNSt15iterator_traitsISY_E10value_typeET2_T3_PNSZ_IS14_E10value_typeET4_jRbjT5_S1A_jjP12ihipStream_tbEUljE_EEESV_SW_SX_S14_S18_S1A_T6_T7_T9_mT8_S1C_bDpT10_ENKUlT_T0_E_clISt17integral_constantIbLb1EES1P_EEDaS1K_S1L_EUlS1K_E_NS1_11comp_targetILNS1_3genE8ELNS1_11target_archE1030ELNS1_3gpuE2ELNS1_3repE0EEENS1_30default_config_static_selectorELNS0_4arch9wavefront6targetE0EEEvSY_.uses_flat_scratch, 0
	.set _ZN7rocprim17ROCPRIM_400000_NS6detail17trampoline_kernelINS0_13select_configILj256ELj13ELNS0_17block_load_methodE3ELS4_3ELS4_3ELNS0_20block_scan_algorithmE0ELj4294967295EEENS1_25partition_config_selectorILNS1_17partition_subalgoE3EjNS0_10empty_typeEbEEZZNS1_14partition_implILS8_3ELb0ES6_jNS0_17counting_iteratorIjlEEPS9_SE_NS0_5tupleIJPjSE_EEENSF_IJSE_SE_EEES9_SG_JZNS1_25segmented_radix_sort_implINS0_14default_configELb0EPKdPdPKlPlN2at6native12_GLOBAL__N_18offset_tEEE10hipError_tPvRmT1_PNSt15iterator_traitsISY_E10value_typeET2_T3_PNSZ_IS14_E10value_typeET4_jRbjT5_S1A_jjP12ihipStream_tbEUljE_EEESV_SW_SX_S14_S18_S1A_T6_T7_T9_mT8_S1C_bDpT10_ENKUlT_T0_E_clISt17integral_constantIbLb1EES1P_EEDaS1K_S1L_EUlS1K_E_NS1_11comp_targetILNS1_3genE8ELNS1_11target_archE1030ELNS1_3gpuE2ELNS1_3repE0EEENS1_30default_config_static_selectorELNS0_4arch9wavefront6targetE0EEEvSY_.has_dyn_sized_stack, 0
	.set _ZN7rocprim17ROCPRIM_400000_NS6detail17trampoline_kernelINS0_13select_configILj256ELj13ELNS0_17block_load_methodE3ELS4_3ELS4_3ELNS0_20block_scan_algorithmE0ELj4294967295EEENS1_25partition_config_selectorILNS1_17partition_subalgoE3EjNS0_10empty_typeEbEEZZNS1_14partition_implILS8_3ELb0ES6_jNS0_17counting_iteratorIjlEEPS9_SE_NS0_5tupleIJPjSE_EEENSF_IJSE_SE_EEES9_SG_JZNS1_25segmented_radix_sort_implINS0_14default_configELb0EPKdPdPKlPlN2at6native12_GLOBAL__N_18offset_tEEE10hipError_tPvRmT1_PNSt15iterator_traitsISY_E10value_typeET2_T3_PNSZ_IS14_E10value_typeET4_jRbjT5_S1A_jjP12ihipStream_tbEUljE_EEESV_SW_SX_S14_S18_S1A_T6_T7_T9_mT8_S1C_bDpT10_ENKUlT_T0_E_clISt17integral_constantIbLb1EES1P_EEDaS1K_S1L_EUlS1K_E_NS1_11comp_targetILNS1_3genE8ELNS1_11target_archE1030ELNS1_3gpuE2ELNS1_3repE0EEENS1_30default_config_static_selectorELNS0_4arch9wavefront6targetE0EEEvSY_.has_recursion, 0
	.set _ZN7rocprim17ROCPRIM_400000_NS6detail17trampoline_kernelINS0_13select_configILj256ELj13ELNS0_17block_load_methodE3ELS4_3ELS4_3ELNS0_20block_scan_algorithmE0ELj4294967295EEENS1_25partition_config_selectorILNS1_17partition_subalgoE3EjNS0_10empty_typeEbEEZZNS1_14partition_implILS8_3ELb0ES6_jNS0_17counting_iteratorIjlEEPS9_SE_NS0_5tupleIJPjSE_EEENSF_IJSE_SE_EEES9_SG_JZNS1_25segmented_radix_sort_implINS0_14default_configELb0EPKdPdPKlPlN2at6native12_GLOBAL__N_18offset_tEEE10hipError_tPvRmT1_PNSt15iterator_traitsISY_E10value_typeET2_T3_PNSZ_IS14_E10value_typeET4_jRbjT5_S1A_jjP12ihipStream_tbEUljE_EEESV_SW_SX_S14_S18_S1A_T6_T7_T9_mT8_S1C_bDpT10_ENKUlT_T0_E_clISt17integral_constantIbLb1EES1P_EEDaS1K_S1L_EUlS1K_E_NS1_11comp_targetILNS1_3genE8ELNS1_11target_archE1030ELNS1_3gpuE2ELNS1_3repE0EEENS1_30default_config_static_selectorELNS0_4arch9wavefront6targetE0EEEvSY_.has_indirect_call, 0
	.section	.AMDGPU.csdata,"",@progbits
; Kernel info:
; codeLenInByte = 0
; TotalNumSgprs: 0
; NumVgprs: 0
; ScratchSize: 0
; MemoryBound: 0
; FloatMode: 240
; IeeeMode: 1
; LDSByteSize: 0 bytes/workgroup (compile time only)
; SGPRBlocks: 0
; VGPRBlocks: 0
; NumSGPRsForWavesPerEU: 1
; NumVGPRsForWavesPerEU: 1
; NamedBarCnt: 0
; Occupancy: 16
; WaveLimiterHint : 0
; COMPUTE_PGM_RSRC2:SCRATCH_EN: 0
; COMPUTE_PGM_RSRC2:USER_SGPR: 2
; COMPUTE_PGM_RSRC2:TRAP_HANDLER: 0
; COMPUTE_PGM_RSRC2:TGID_X_EN: 1
; COMPUTE_PGM_RSRC2:TGID_Y_EN: 0
; COMPUTE_PGM_RSRC2:TGID_Z_EN: 0
; COMPUTE_PGM_RSRC2:TIDIG_COMP_CNT: 0
	.section	.text._ZN7rocprim17ROCPRIM_400000_NS6detail17trampoline_kernelINS0_13select_configILj256ELj13ELNS0_17block_load_methodE3ELS4_3ELS4_3ELNS0_20block_scan_algorithmE0ELj4294967295EEENS1_25partition_config_selectorILNS1_17partition_subalgoE3EjNS0_10empty_typeEbEEZZNS1_14partition_implILS8_3ELb0ES6_jNS0_17counting_iteratorIjlEEPS9_SE_NS0_5tupleIJPjSE_EEENSF_IJSE_SE_EEES9_SG_JZNS1_25segmented_radix_sort_implINS0_14default_configELb0EPKdPdPKlPlN2at6native12_GLOBAL__N_18offset_tEEE10hipError_tPvRmT1_PNSt15iterator_traitsISY_E10value_typeET2_T3_PNSZ_IS14_E10value_typeET4_jRbjT5_S1A_jjP12ihipStream_tbEUljE_EEESV_SW_SX_S14_S18_S1A_T6_T7_T9_mT8_S1C_bDpT10_ENKUlT_T0_E_clISt17integral_constantIbLb1EES1O_IbLb0EEEEDaS1K_S1L_EUlS1K_E_NS1_11comp_targetILNS1_3genE0ELNS1_11target_archE4294967295ELNS1_3gpuE0ELNS1_3repE0EEENS1_30default_config_static_selectorELNS0_4arch9wavefront6targetE0EEEvSY_,"axG",@progbits,_ZN7rocprim17ROCPRIM_400000_NS6detail17trampoline_kernelINS0_13select_configILj256ELj13ELNS0_17block_load_methodE3ELS4_3ELS4_3ELNS0_20block_scan_algorithmE0ELj4294967295EEENS1_25partition_config_selectorILNS1_17partition_subalgoE3EjNS0_10empty_typeEbEEZZNS1_14partition_implILS8_3ELb0ES6_jNS0_17counting_iteratorIjlEEPS9_SE_NS0_5tupleIJPjSE_EEENSF_IJSE_SE_EEES9_SG_JZNS1_25segmented_radix_sort_implINS0_14default_configELb0EPKdPdPKlPlN2at6native12_GLOBAL__N_18offset_tEEE10hipError_tPvRmT1_PNSt15iterator_traitsISY_E10value_typeET2_T3_PNSZ_IS14_E10value_typeET4_jRbjT5_S1A_jjP12ihipStream_tbEUljE_EEESV_SW_SX_S14_S18_S1A_T6_T7_T9_mT8_S1C_bDpT10_ENKUlT_T0_E_clISt17integral_constantIbLb1EES1O_IbLb0EEEEDaS1K_S1L_EUlS1K_E_NS1_11comp_targetILNS1_3genE0ELNS1_11target_archE4294967295ELNS1_3gpuE0ELNS1_3repE0EEENS1_30default_config_static_selectorELNS0_4arch9wavefront6targetE0EEEvSY_,comdat
	.globl	_ZN7rocprim17ROCPRIM_400000_NS6detail17trampoline_kernelINS0_13select_configILj256ELj13ELNS0_17block_load_methodE3ELS4_3ELS4_3ELNS0_20block_scan_algorithmE0ELj4294967295EEENS1_25partition_config_selectorILNS1_17partition_subalgoE3EjNS0_10empty_typeEbEEZZNS1_14partition_implILS8_3ELb0ES6_jNS0_17counting_iteratorIjlEEPS9_SE_NS0_5tupleIJPjSE_EEENSF_IJSE_SE_EEES9_SG_JZNS1_25segmented_radix_sort_implINS0_14default_configELb0EPKdPdPKlPlN2at6native12_GLOBAL__N_18offset_tEEE10hipError_tPvRmT1_PNSt15iterator_traitsISY_E10value_typeET2_T3_PNSZ_IS14_E10value_typeET4_jRbjT5_S1A_jjP12ihipStream_tbEUljE_EEESV_SW_SX_S14_S18_S1A_T6_T7_T9_mT8_S1C_bDpT10_ENKUlT_T0_E_clISt17integral_constantIbLb1EES1O_IbLb0EEEEDaS1K_S1L_EUlS1K_E_NS1_11comp_targetILNS1_3genE0ELNS1_11target_archE4294967295ELNS1_3gpuE0ELNS1_3repE0EEENS1_30default_config_static_selectorELNS0_4arch9wavefront6targetE0EEEvSY_ ; -- Begin function _ZN7rocprim17ROCPRIM_400000_NS6detail17trampoline_kernelINS0_13select_configILj256ELj13ELNS0_17block_load_methodE3ELS4_3ELS4_3ELNS0_20block_scan_algorithmE0ELj4294967295EEENS1_25partition_config_selectorILNS1_17partition_subalgoE3EjNS0_10empty_typeEbEEZZNS1_14partition_implILS8_3ELb0ES6_jNS0_17counting_iteratorIjlEEPS9_SE_NS0_5tupleIJPjSE_EEENSF_IJSE_SE_EEES9_SG_JZNS1_25segmented_radix_sort_implINS0_14default_configELb0EPKdPdPKlPlN2at6native12_GLOBAL__N_18offset_tEEE10hipError_tPvRmT1_PNSt15iterator_traitsISY_E10value_typeET2_T3_PNSZ_IS14_E10value_typeET4_jRbjT5_S1A_jjP12ihipStream_tbEUljE_EEESV_SW_SX_S14_S18_S1A_T6_T7_T9_mT8_S1C_bDpT10_ENKUlT_T0_E_clISt17integral_constantIbLb1EES1O_IbLb0EEEEDaS1K_S1L_EUlS1K_E_NS1_11comp_targetILNS1_3genE0ELNS1_11target_archE4294967295ELNS1_3gpuE0ELNS1_3repE0EEENS1_30default_config_static_selectorELNS0_4arch9wavefront6targetE0EEEvSY_
	.p2align	8
	.type	_ZN7rocprim17ROCPRIM_400000_NS6detail17trampoline_kernelINS0_13select_configILj256ELj13ELNS0_17block_load_methodE3ELS4_3ELS4_3ELNS0_20block_scan_algorithmE0ELj4294967295EEENS1_25partition_config_selectorILNS1_17partition_subalgoE3EjNS0_10empty_typeEbEEZZNS1_14partition_implILS8_3ELb0ES6_jNS0_17counting_iteratorIjlEEPS9_SE_NS0_5tupleIJPjSE_EEENSF_IJSE_SE_EEES9_SG_JZNS1_25segmented_radix_sort_implINS0_14default_configELb0EPKdPdPKlPlN2at6native12_GLOBAL__N_18offset_tEEE10hipError_tPvRmT1_PNSt15iterator_traitsISY_E10value_typeET2_T3_PNSZ_IS14_E10value_typeET4_jRbjT5_S1A_jjP12ihipStream_tbEUljE_EEESV_SW_SX_S14_S18_S1A_T6_T7_T9_mT8_S1C_bDpT10_ENKUlT_T0_E_clISt17integral_constantIbLb1EES1O_IbLb0EEEEDaS1K_S1L_EUlS1K_E_NS1_11comp_targetILNS1_3genE0ELNS1_11target_archE4294967295ELNS1_3gpuE0ELNS1_3repE0EEENS1_30default_config_static_selectorELNS0_4arch9wavefront6targetE0EEEvSY_,@function
_ZN7rocprim17ROCPRIM_400000_NS6detail17trampoline_kernelINS0_13select_configILj256ELj13ELNS0_17block_load_methodE3ELS4_3ELS4_3ELNS0_20block_scan_algorithmE0ELj4294967295EEENS1_25partition_config_selectorILNS1_17partition_subalgoE3EjNS0_10empty_typeEbEEZZNS1_14partition_implILS8_3ELb0ES6_jNS0_17counting_iteratorIjlEEPS9_SE_NS0_5tupleIJPjSE_EEENSF_IJSE_SE_EEES9_SG_JZNS1_25segmented_radix_sort_implINS0_14default_configELb0EPKdPdPKlPlN2at6native12_GLOBAL__N_18offset_tEEE10hipError_tPvRmT1_PNSt15iterator_traitsISY_E10value_typeET2_T3_PNSZ_IS14_E10value_typeET4_jRbjT5_S1A_jjP12ihipStream_tbEUljE_EEESV_SW_SX_S14_S18_S1A_T6_T7_T9_mT8_S1C_bDpT10_ENKUlT_T0_E_clISt17integral_constantIbLb1EES1O_IbLb0EEEEDaS1K_S1L_EUlS1K_E_NS1_11comp_targetILNS1_3genE0ELNS1_11target_archE4294967295ELNS1_3gpuE0ELNS1_3repE0EEENS1_30default_config_static_selectorELNS0_4arch9wavefront6targetE0EEEvSY_: ; @_ZN7rocprim17ROCPRIM_400000_NS6detail17trampoline_kernelINS0_13select_configILj256ELj13ELNS0_17block_load_methodE3ELS4_3ELS4_3ELNS0_20block_scan_algorithmE0ELj4294967295EEENS1_25partition_config_selectorILNS1_17partition_subalgoE3EjNS0_10empty_typeEbEEZZNS1_14partition_implILS8_3ELb0ES6_jNS0_17counting_iteratorIjlEEPS9_SE_NS0_5tupleIJPjSE_EEENSF_IJSE_SE_EEES9_SG_JZNS1_25segmented_radix_sort_implINS0_14default_configELb0EPKdPdPKlPlN2at6native12_GLOBAL__N_18offset_tEEE10hipError_tPvRmT1_PNSt15iterator_traitsISY_E10value_typeET2_T3_PNSZ_IS14_E10value_typeET4_jRbjT5_S1A_jjP12ihipStream_tbEUljE_EEESV_SW_SX_S14_S18_S1A_T6_T7_T9_mT8_S1C_bDpT10_ENKUlT_T0_E_clISt17integral_constantIbLb1EES1O_IbLb0EEEEDaS1K_S1L_EUlS1K_E_NS1_11comp_targetILNS1_3genE0ELNS1_11target_archE4294967295ELNS1_3gpuE0ELNS1_3repE0EEENS1_30default_config_static_selectorELNS0_4arch9wavefront6targetE0EEEvSY_
; %bb.0:
	s_endpgm
	.section	.rodata,"a",@progbits
	.p2align	6, 0x0
	.amdhsa_kernel _ZN7rocprim17ROCPRIM_400000_NS6detail17trampoline_kernelINS0_13select_configILj256ELj13ELNS0_17block_load_methodE3ELS4_3ELS4_3ELNS0_20block_scan_algorithmE0ELj4294967295EEENS1_25partition_config_selectorILNS1_17partition_subalgoE3EjNS0_10empty_typeEbEEZZNS1_14partition_implILS8_3ELb0ES6_jNS0_17counting_iteratorIjlEEPS9_SE_NS0_5tupleIJPjSE_EEENSF_IJSE_SE_EEES9_SG_JZNS1_25segmented_radix_sort_implINS0_14default_configELb0EPKdPdPKlPlN2at6native12_GLOBAL__N_18offset_tEEE10hipError_tPvRmT1_PNSt15iterator_traitsISY_E10value_typeET2_T3_PNSZ_IS14_E10value_typeET4_jRbjT5_S1A_jjP12ihipStream_tbEUljE_EEESV_SW_SX_S14_S18_S1A_T6_T7_T9_mT8_S1C_bDpT10_ENKUlT_T0_E_clISt17integral_constantIbLb1EES1O_IbLb0EEEEDaS1K_S1L_EUlS1K_E_NS1_11comp_targetILNS1_3genE0ELNS1_11target_archE4294967295ELNS1_3gpuE0ELNS1_3repE0EEENS1_30default_config_static_selectorELNS0_4arch9wavefront6targetE0EEEvSY_
		.amdhsa_group_segment_fixed_size 0
		.amdhsa_private_segment_fixed_size 0
		.amdhsa_kernarg_size 144
		.amdhsa_user_sgpr_count 2
		.amdhsa_user_sgpr_dispatch_ptr 0
		.amdhsa_user_sgpr_queue_ptr 0
		.amdhsa_user_sgpr_kernarg_segment_ptr 1
		.amdhsa_user_sgpr_dispatch_id 0
		.amdhsa_user_sgpr_kernarg_preload_length 0
		.amdhsa_user_sgpr_kernarg_preload_offset 0
		.amdhsa_user_sgpr_private_segment_size 0
		.amdhsa_wavefront_size32 1
		.amdhsa_uses_dynamic_stack 0
		.amdhsa_enable_private_segment 0
		.amdhsa_system_sgpr_workgroup_id_x 1
		.amdhsa_system_sgpr_workgroup_id_y 0
		.amdhsa_system_sgpr_workgroup_id_z 0
		.amdhsa_system_sgpr_workgroup_info 0
		.amdhsa_system_vgpr_workitem_id 0
		.amdhsa_next_free_vgpr 1
		.amdhsa_next_free_sgpr 1
		.amdhsa_named_barrier_count 0
		.amdhsa_reserve_vcc 0
		.amdhsa_float_round_mode_32 0
		.amdhsa_float_round_mode_16_64 0
		.amdhsa_float_denorm_mode_32 3
		.amdhsa_float_denorm_mode_16_64 3
		.amdhsa_fp16_overflow 0
		.amdhsa_memory_ordered 1
		.amdhsa_forward_progress 1
		.amdhsa_inst_pref_size 1
		.amdhsa_round_robin_scheduling 0
		.amdhsa_exception_fp_ieee_invalid_op 0
		.amdhsa_exception_fp_denorm_src 0
		.amdhsa_exception_fp_ieee_div_zero 0
		.amdhsa_exception_fp_ieee_overflow 0
		.amdhsa_exception_fp_ieee_underflow 0
		.amdhsa_exception_fp_ieee_inexact 0
		.amdhsa_exception_int_div_zero 0
	.end_amdhsa_kernel
	.section	.text._ZN7rocprim17ROCPRIM_400000_NS6detail17trampoline_kernelINS0_13select_configILj256ELj13ELNS0_17block_load_methodE3ELS4_3ELS4_3ELNS0_20block_scan_algorithmE0ELj4294967295EEENS1_25partition_config_selectorILNS1_17partition_subalgoE3EjNS0_10empty_typeEbEEZZNS1_14partition_implILS8_3ELb0ES6_jNS0_17counting_iteratorIjlEEPS9_SE_NS0_5tupleIJPjSE_EEENSF_IJSE_SE_EEES9_SG_JZNS1_25segmented_radix_sort_implINS0_14default_configELb0EPKdPdPKlPlN2at6native12_GLOBAL__N_18offset_tEEE10hipError_tPvRmT1_PNSt15iterator_traitsISY_E10value_typeET2_T3_PNSZ_IS14_E10value_typeET4_jRbjT5_S1A_jjP12ihipStream_tbEUljE_EEESV_SW_SX_S14_S18_S1A_T6_T7_T9_mT8_S1C_bDpT10_ENKUlT_T0_E_clISt17integral_constantIbLb1EES1O_IbLb0EEEEDaS1K_S1L_EUlS1K_E_NS1_11comp_targetILNS1_3genE0ELNS1_11target_archE4294967295ELNS1_3gpuE0ELNS1_3repE0EEENS1_30default_config_static_selectorELNS0_4arch9wavefront6targetE0EEEvSY_,"axG",@progbits,_ZN7rocprim17ROCPRIM_400000_NS6detail17trampoline_kernelINS0_13select_configILj256ELj13ELNS0_17block_load_methodE3ELS4_3ELS4_3ELNS0_20block_scan_algorithmE0ELj4294967295EEENS1_25partition_config_selectorILNS1_17partition_subalgoE3EjNS0_10empty_typeEbEEZZNS1_14partition_implILS8_3ELb0ES6_jNS0_17counting_iteratorIjlEEPS9_SE_NS0_5tupleIJPjSE_EEENSF_IJSE_SE_EEES9_SG_JZNS1_25segmented_radix_sort_implINS0_14default_configELb0EPKdPdPKlPlN2at6native12_GLOBAL__N_18offset_tEEE10hipError_tPvRmT1_PNSt15iterator_traitsISY_E10value_typeET2_T3_PNSZ_IS14_E10value_typeET4_jRbjT5_S1A_jjP12ihipStream_tbEUljE_EEESV_SW_SX_S14_S18_S1A_T6_T7_T9_mT8_S1C_bDpT10_ENKUlT_T0_E_clISt17integral_constantIbLb1EES1O_IbLb0EEEEDaS1K_S1L_EUlS1K_E_NS1_11comp_targetILNS1_3genE0ELNS1_11target_archE4294967295ELNS1_3gpuE0ELNS1_3repE0EEENS1_30default_config_static_selectorELNS0_4arch9wavefront6targetE0EEEvSY_,comdat
.Lfunc_end1199:
	.size	_ZN7rocprim17ROCPRIM_400000_NS6detail17trampoline_kernelINS0_13select_configILj256ELj13ELNS0_17block_load_methodE3ELS4_3ELS4_3ELNS0_20block_scan_algorithmE0ELj4294967295EEENS1_25partition_config_selectorILNS1_17partition_subalgoE3EjNS0_10empty_typeEbEEZZNS1_14partition_implILS8_3ELb0ES6_jNS0_17counting_iteratorIjlEEPS9_SE_NS0_5tupleIJPjSE_EEENSF_IJSE_SE_EEES9_SG_JZNS1_25segmented_radix_sort_implINS0_14default_configELb0EPKdPdPKlPlN2at6native12_GLOBAL__N_18offset_tEEE10hipError_tPvRmT1_PNSt15iterator_traitsISY_E10value_typeET2_T3_PNSZ_IS14_E10value_typeET4_jRbjT5_S1A_jjP12ihipStream_tbEUljE_EEESV_SW_SX_S14_S18_S1A_T6_T7_T9_mT8_S1C_bDpT10_ENKUlT_T0_E_clISt17integral_constantIbLb1EES1O_IbLb0EEEEDaS1K_S1L_EUlS1K_E_NS1_11comp_targetILNS1_3genE0ELNS1_11target_archE4294967295ELNS1_3gpuE0ELNS1_3repE0EEENS1_30default_config_static_selectorELNS0_4arch9wavefront6targetE0EEEvSY_, .Lfunc_end1199-_ZN7rocprim17ROCPRIM_400000_NS6detail17trampoline_kernelINS0_13select_configILj256ELj13ELNS0_17block_load_methodE3ELS4_3ELS4_3ELNS0_20block_scan_algorithmE0ELj4294967295EEENS1_25partition_config_selectorILNS1_17partition_subalgoE3EjNS0_10empty_typeEbEEZZNS1_14partition_implILS8_3ELb0ES6_jNS0_17counting_iteratorIjlEEPS9_SE_NS0_5tupleIJPjSE_EEENSF_IJSE_SE_EEES9_SG_JZNS1_25segmented_radix_sort_implINS0_14default_configELb0EPKdPdPKlPlN2at6native12_GLOBAL__N_18offset_tEEE10hipError_tPvRmT1_PNSt15iterator_traitsISY_E10value_typeET2_T3_PNSZ_IS14_E10value_typeET4_jRbjT5_S1A_jjP12ihipStream_tbEUljE_EEESV_SW_SX_S14_S18_S1A_T6_T7_T9_mT8_S1C_bDpT10_ENKUlT_T0_E_clISt17integral_constantIbLb1EES1O_IbLb0EEEEDaS1K_S1L_EUlS1K_E_NS1_11comp_targetILNS1_3genE0ELNS1_11target_archE4294967295ELNS1_3gpuE0ELNS1_3repE0EEENS1_30default_config_static_selectorELNS0_4arch9wavefront6targetE0EEEvSY_
                                        ; -- End function
	.set _ZN7rocprim17ROCPRIM_400000_NS6detail17trampoline_kernelINS0_13select_configILj256ELj13ELNS0_17block_load_methodE3ELS4_3ELS4_3ELNS0_20block_scan_algorithmE0ELj4294967295EEENS1_25partition_config_selectorILNS1_17partition_subalgoE3EjNS0_10empty_typeEbEEZZNS1_14partition_implILS8_3ELb0ES6_jNS0_17counting_iteratorIjlEEPS9_SE_NS0_5tupleIJPjSE_EEENSF_IJSE_SE_EEES9_SG_JZNS1_25segmented_radix_sort_implINS0_14default_configELb0EPKdPdPKlPlN2at6native12_GLOBAL__N_18offset_tEEE10hipError_tPvRmT1_PNSt15iterator_traitsISY_E10value_typeET2_T3_PNSZ_IS14_E10value_typeET4_jRbjT5_S1A_jjP12ihipStream_tbEUljE_EEESV_SW_SX_S14_S18_S1A_T6_T7_T9_mT8_S1C_bDpT10_ENKUlT_T0_E_clISt17integral_constantIbLb1EES1O_IbLb0EEEEDaS1K_S1L_EUlS1K_E_NS1_11comp_targetILNS1_3genE0ELNS1_11target_archE4294967295ELNS1_3gpuE0ELNS1_3repE0EEENS1_30default_config_static_selectorELNS0_4arch9wavefront6targetE0EEEvSY_.num_vgpr, 0
	.set _ZN7rocprim17ROCPRIM_400000_NS6detail17trampoline_kernelINS0_13select_configILj256ELj13ELNS0_17block_load_methodE3ELS4_3ELS4_3ELNS0_20block_scan_algorithmE0ELj4294967295EEENS1_25partition_config_selectorILNS1_17partition_subalgoE3EjNS0_10empty_typeEbEEZZNS1_14partition_implILS8_3ELb0ES6_jNS0_17counting_iteratorIjlEEPS9_SE_NS0_5tupleIJPjSE_EEENSF_IJSE_SE_EEES9_SG_JZNS1_25segmented_radix_sort_implINS0_14default_configELb0EPKdPdPKlPlN2at6native12_GLOBAL__N_18offset_tEEE10hipError_tPvRmT1_PNSt15iterator_traitsISY_E10value_typeET2_T3_PNSZ_IS14_E10value_typeET4_jRbjT5_S1A_jjP12ihipStream_tbEUljE_EEESV_SW_SX_S14_S18_S1A_T6_T7_T9_mT8_S1C_bDpT10_ENKUlT_T0_E_clISt17integral_constantIbLb1EES1O_IbLb0EEEEDaS1K_S1L_EUlS1K_E_NS1_11comp_targetILNS1_3genE0ELNS1_11target_archE4294967295ELNS1_3gpuE0ELNS1_3repE0EEENS1_30default_config_static_selectorELNS0_4arch9wavefront6targetE0EEEvSY_.num_agpr, 0
	.set _ZN7rocprim17ROCPRIM_400000_NS6detail17trampoline_kernelINS0_13select_configILj256ELj13ELNS0_17block_load_methodE3ELS4_3ELS4_3ELNS0_20block_scan_algorithmE0ELj4294967295EEENS1_25partition_config_selectorILNS1_17partition_subalgoE3EjNS0_10empty_typeEbEEZZNS1_14partition_implILS8_3ELb0ES6_jNS0_17counting_iteratorIjlEEPS9_SE_NS0_5tupleIJPjSE_EEENSF_IJSE_SE_EEES9_SG_JZNS1_25segmented_radix_sort_implINS0_14default_configELb0EPKdPdPKlPlN2at6native12_GLOBAL__N_18offset_tEEE10hipError_tPvRmT1_PNSt15iterator_traitsISY_E10value_typeET2_T3_PNSZ_IS14_E10value_typeET4_jRbjT5_S1A_jjP12ihipStream_tbEUljE_EEESV_SW_SX_S14_S18_S1A_T6_T7_T9_mT8_S1C_bDpT10_ENKUlT_T0_E_clISt17integral_constantIbLb1EES1O_IbLb0EEEEDaS1K_S1L_EUlS1K_E_NS1_11comp_targetILNS1_3genE0ELNS1_11target_archE4294967295ELNS1_3gpuE0ELNS1_3repE0EEENS1_30default_config_static_selectorELNS0_4arch9wavefront6targetE0EEEvSY_.numbered_sgpr, 0
	.set _ZN7rocprim17ROCPRIM_400000_NS6detail17trampoline_kernelINS0_13select_configILj256ELj13ELNS0_17block_load_methodE3ELS4_3ELS4_3ELNS0_20block_scan_algorithmE0ELj4294967295EEENS1_25partition_config_selectorILNS1_17partition_subalgoE3EjNS0_10empty_typeEbEEZZNS1_14partition_implILS8_3ELb0ES6_jNS0_17counting_iteratorIjlEEPS9_SE_NS0_5tupleIJPjSE_EEENSF_IJSE_SE_EEES9_SG_JZNS1_25segmented_radix_sort_implINS0_14default_configELb0EPKdPdPKlPlN2at6native12_GLOBAL__N_18offset_tEEE10hipError_tPvRmT1_PNSt15iterator_traitsISY_E10value_typeET2_T3_PNSZ_IS14_E10value_typeET4_jRbjT5_S1A_jjP12ihipStream_tbEUljE_EEESV_SW_SX_S14_S18_S1A_T6_T7_T9_mT8_S1C_bDpT10_ENKUlT_T0_E_clISt17integral_constantIbLb1EES1O_IbLb0EEEEDaS1K_S1L_EUlS1K_E_NS1_11comp_targetILNS1_3genE0ELNS1_11target_archE4294967295ELNS1_3gpuE0ELNS1_3repE0EEENS1_30default_config_static_selectorELNS0_4arch9wavefront6targetE0EEEvSY_.num_named_barrier, 0
	.set _ZN7rocprim17ROCPRIM_400000_NS6detail17trampoline_kernelINS0_13select_configILj256ELj13ELNS0_17block_load_methodE3ELS4_3ELS4_3ELNS0_20block_scan_algorithmE0ELj4294967295EEENS1_25partition_config_selectorILNS1_17partition_subalgoE3EjNS0_10empty_typeEbEEZZNS1_14partition_implILS8_3ELb0ES6_jNS0_17counting_iteratorIjlEEPS9_SE_NS0_5tupleIJPjSE_EEENSF_IJSE_SE_EEES9_SG_JZNS1_25segmented_radix_sort_implINS0_14default_configELb0EPKdPdPKlPlN2at6native12_GLOBAL__N_18offset_tEEE10hipError_tPvRmT1_PNSt15iterator_traitsISY_E10value_typeET2_T3_PNSZ_IS14_E10value_typeET4_jRbjT5_S1A_jjP12ihipStream_tbEUljE_EEESV_SW_SX_S14_S18_S1A_T6_T7_T9_mT8_S1C_bDpT10_ENKUlT_T0_E_clISt17integral_constantIbLb1EES1O_IbLb0EEEEDaS1K_S1L_EUlS1K_E_NS1_11comp_targetILNS1_3genE0ELNS1_11target_archE4294967295ELNS1_3gpuE0ELNS1_3repE0EEENS1_30default_config_static_selectorELNS0_4arch9wavefront6targetE0EEEvSY_.private_seg_size, 0
	.set _ZN7rocprim17ROCPRIM_400000_NS6detail17trampoline_kernelINS0_13select_configILj256ELj13ELNS0_17block_load_methodE3ELS4_3ELS4_3ELNS0_20block_scan_algorithmE0ELj4294967295EEENS1_25partition_config_selectorILNS1_17partition_subalgoE3EjNS0_10empty_typeEbEEZZNS1_14partition_implILS8_3ELb0ES6_jNS0_17counting_iteratorIjlEEPS9_SE_NS0_5tupleIJPjSE_EEENSF_IJSE_SE_EEES9_SG_JZNS1_25segmented_radix_sort_implINS0_14default_configELb0EPKdPdPKlPlN2at6native12_GLOBAL__N_18offset_tEEE10hipError_tPvRmT1_PNSt15iterator_traitsISY_E10value_typeET2_T3_PNSZ_IS14_E10value_typeET4_jRbjT5_S1A_jjP12ihipStream_tbEUljE_EEESV_SW_SX_S14_S18_S1A_T6_T7_T9_mT8_S1C_bDpT10_ENKUlT_T0_E_clISt17integral_constantIbLb1EES1O_IbLb0EEEEDaS1K_S1L_EUlS1K_E_NS1_11comp_targetILNS1_3genE0ELNS1_11target_archE4294967295ELNS1_3gpuE0ELNS1_3repE0EEENS1_30default_config_static_selectorELNS0_4arch9wavefront6targetE0EEEvSY_.uses_vcc, 0
	.set _ZN7rocprim17ROCPRIM_400000_NS6detail17trampoline_kernelINS0_13select_configILj256ELj13ELNS0_17block_load_methodE3ELS4_3ELS4_3ELNS0_20block_scan_algorithmE0ELj4294967295EEENS1_25partition_config_selectorILNS1_17partition_subalgoE3EjNS0_10empty_typeEbEEZZNS1_14partition_implILS8_3ELb0ES6_jNS0_17counting_iteratorIjlEEPS9_SE_NS0_5tupleIJPjSE_EEENSF_IJSE_SE_EEES9_SG_JZNS1_25segmented_radix_sort_implINS0_14default_configELb0EPKdPdPKlPlN2at6native12_GLOBAL__N_18offset_tEEE10hipError_tPvRmT1_PNSt15iterator_traitsISY_E10value_typeET2_T3_PNSZ_IS14_E10value_typeET4_jRbjT5_S1A_jjP12ihipStream_tbEUljE_EEESV_SW_SX_S14_S18_S1A_T6_T7_T9_mT8_S1C_bDpT10_ENKUlT_T0_E_clISt17integral_constantIbLb1EES1O_IbLb0EEEEDaS1K_S1L_EUlS1K_E_NS1_11comp_targetILNS1_3genE0ELNS1_11target_archE4294967295ELNS1_3gpuE0ELNS1_3repE0EEENS1_30default_config_static_selectorELNS0_4arch9wavefront6targetE0EEEvSY_.uses_flat_scratch, 0
	.set _ZN7rocprim17ROCPRIM_400000_NS6detail17trampoline_kernelINS0_13select_configILj256ELj13ELNS0_17block_load_methodE3ELS4_3ELS4_3ELNS0_20block_scan_algorithmE0ELj4294967295EEENS1_25partition_config_selectorILNS1_17partition_subalgoE3EjNS0_10empty_typeEbEEZZNS1_14partition_implILS8_3ELb0ES6_jNS0_17counting_iteratorIjlEEPS9_SE_NS0_5tupleIJPjSE_EEENSF_IJSE_SE_EEES9_SG_JZNS1_25segmented_radix_sort_implINS0_14default_configELb0EPKdPdPKlPlN2at6native12_GLOBAL__N_18offset_tEEE10hipError_tPvRmT1_PNSt15iterator_traitsISY_E10value_typeET2_T3_PNSZ_IS14_E10value_typeET4_jRbjT5_S1A_jjP12ihipStream_tbEUljE_EEESV_SW_SX_S14_S18_S1A_T6_T7_T9_mT8_S1C_bDpT10_ENKUlT_T0_E_clISt17integral_constantIbLb1EES1O_IbLb0EEEEDaS1K_S1L_EUlS1K_E_NS1_11comp_targetILNS1_3genE0ELNS1_11target_archE4294967295ELNS1_3gpuE0ELNS1_3repE0EEENS1_30default_config_static_selectorELNS0_4arch9wavefront6targetE0EEEvSY_.has_dyn_sized_stack, 0
	.set _ZN7rocprim17ROCPRIM_400000_NS6detail17trampoline_kernelINS0_13select_configILj256ELj13ELNS0_17block_load_methodE3ELS4_3ELS4_3ELNS0_20block_scan_algorithmE0ELj4294967295EEENS1_25partition_config_selectorILNS1_17partition_subalgoE3EjNS0_10empty_typeEbEEZZNS1_14partition_implILS8_3ELb0ES6_jNS0_17counting_iteratorIjlEEPS9_SE_NS0_5tupleIJPjSE_EEENSF_IJSE_SE_EEES9_SG_JZNS1_25segmented_radix_sort_implINS0_14default_configELb0EPKdPdPKlPlN2at6native12_GLOBAL__N_18offset_tEEE10hipError_tPvRmT1_PNSt15iterator_traitsISY_E10value_typeET2_T3_PNSZ_IS14_E10value_typeET4_jRbjT5_S1A_jjP12ihipStream_tbEUljE_EEESV_SW_SX_S14_S18_S1A_T6_T7_T9_mT8_S1C_bDpT10_ENKUlT_T0_E_clISt17integral_constantIbLb1EES1O_IbLb0EEEEDaS1K_S1L_EUlS1K_E_NS1_11comp_targetILNS1_3genE0ELNS1_11target_archE4294967295ELNS1_3gpuE0ELNS1_3repE0EEENS1_30default_config_static_selectorELNS0_4arch9wavefront6targetE0EEEvSY_.has_recursion, 0
	.set _ZN7rocprim17ROCPRIM_400000_NS6detail17trampoline_kernelINS0_13select_configILj256ELj13ELNS0_17block_load_methodE3ELS4_3ELS4_3ELNS0_20block_scan_algorithmE0ELj4294967295EEENS1_25partition_config_selectorILNS1_17partition_subalgoE3EjNS0_10empty_typeEbEEZZNS1_14partition_implILS8_3ELb0ES6_jNS0_17counting_iteratorIjlEEPS9_SE_NS0_5tupleIJPjSE_EEENSF_IJSE_SE_EEES9_SG_JZNS1_25segmented_radix_sort_implINS0_14default_configELb0EPKdPdPKlPlN2at6native12_GLOBAL__N_18offset_tEEE10hipError_tPvRmT1_PNSt15iterator_traitsISY_E10value_typeET2_T3_PNSZ_IS14_E10value_typeET4_jRbjT5_S1A_jjP12ihipStream_tbEUljE_EEESV_SW_SX_S14_S18_S1A_T6_T7_T9_mT8_S1C_bDpT10_ENKUlT_T0_E_clISt17integral_constantIbLb1EES1O_IbLb0EEEEDaS1K_S1L_EUlS1K_E_NS1_11comp_targetILNS1_3genE0ELNS1_11target_archE4294967295ELNS1_3gpuE0ELNS1_3repE0EEENS1_30default_config_static_selectorELNS0_4arch9wavefront6targetE0EEEvSY_.has_indirect_call, 0
	.section	.AMDGPU.csdata,"",@progbits
; Kernel info:
; codeLenInByte = 4
; TotalNumSgprs: 0
; NumVgprs: 0
; ScratchSize: 0
; MemoryBound: 0
; FloatMode: 240
; IeeeMode: 1
; LDSByteSize: 0 bytes/workgroup (compile time only)
; SGPRBlocks: 0
; VGPRBlocks: 0
; NumSGPRsForWavesPerEU: 1
; NumVGPRsForWavesPerEU: 1
; NamedBarCnt: 0
; Occupancy: 16
; WaveLimiterHint : 0
; COMPUTE_PGM_RSRC2:SCRATCH_EN: 0
; COMPUTE_PGM_RSRC2:USER_SGPR: 2
; COMPUTE_PGM_RSRC2:TRAP_HANDLER: 0
; COMPUTE_PGM_RSRC2:TGID_X_EN: 1
; COMPUTE_PGM_RSRC2:TGID_Y_EN: 0
; COMPUTE_PGM_RSRC2:TGID_Z_EN: 0
; COMPUTE_PGM_RSRC2:TIDIG_COMP_CNT: 0
	.section	.text._ZN7rocprim17ROCPRIM_400000_NS6detail17trampoline_kernelINS0_13select_configILj256ELj13ELNS0_17block_load_methodE3ELS4_3ELS4_3ELNS0_20block_scan_algorithmE0ELj4294967295EEENS1_25partition_config_selectorILNS1_17partition_subalgoE3EjNS0_10empty_typeEbEEZZNS1_14partition_implILS8_3ELb0ES6_jNS0_17counting_iteratorIjlEEPS9_SE_NS0_5tupleIJPjSE_EEENSF_IJSE_SE_EEES9_SG_JZNS1_25segmented_radix_sort_implINS0_14default_configELb0EPKdPdPKlPlN2at6native12_GLOBAL__N_18offset_tEEE10hipError_tPvRmT1_PNSt15iterator_traitsISY_E10value_typeET2_T3_PNSZ_IS14_E10value_typeET4_jRbjT5_S1A_jjP12ihipStream_tbEUljE_EEESV_SW_SX_S14_S18_S1A_T6_T7_T9_mT8_S1C_bDpT10_ENKUlT_T0_E_clISt17integral_constantIbLb1EES1O_IbLb0EEEEDaS1K_S1L_EUlS1K_E_NS1_11comp_targetILNS1_3genE5ELNS1_11target_archE942ELNS1_3gpuE9ELNS1_3repE0EEENS1_30default_config_static_selectorELNS0_4arch9wavefront6targetE0EEEvSY_,"axG",@progbits,_ZN7rocprim17ROCPRIM_400000_NS6detail17trampoline_kernelINS0_13select_configILj256ELj13ELNS0_17block_load_methodE3ELS4_3ELS4_3ELNS0_20block_scan_algorithmE0ELj4294967295EEENS1_25partition_config_selectorILNS1_17partition_subalgoE3EjNS0_10empty_typeEbEEZZNS1_14partition_implILS8_3ELb0ES6_jNS0_17counting_iteratorIjlEEPS9_SE_NS0_5tupleIJPjSE_EEENSF_IJSE_SE_EEES9_SG_JZNS1_25segmented_radix_sort_implINS0_14default_configELb0EPKdPdPKlPlN2at6native12_GLOBAL__N_18offset_tEEE10hipError_tPvRmT1_PNSt15iterator_traitsISY_E10value_typeET2_T3_PNSZ_IS14_E10value_typeET4_jRbjT5_S1A_jjP12ihipStream_tbEUljE_EEESV_SW_SX_S14_S18_S1A_T6_T7_T9_mT8_S1C_bDpT10_ENKUlT_T0_E_clISt17integral_constantIbLb1EES1O_IbLb0EEEEDaS1K_S1L_EUlS1K_E_NS1_11comp_targetILNS1_3genE5ELNS1_11target_archE942ELNS1_3gpuE9ELNS1_3repE0EEENS1_30default_config_static_selectorELNS0_4arch9wavefront6targetE0EEEvSY_,comdat
	.globl	_ZN7rocprim17ROCPRIM_400000_NS6detail17trampoline_kernelINS0_13select_configILj256ELj13ELNS0_17block_load_methodE3ELS4_3ELS4_3ELNS0_20block_scan_algorithmE0ELj4294967295EEENS1_25partition_config_selectorILNS1_17partition_subalgoE3EjNS0_10empty_typeEbEEZZNS1_14partition_implILS8_3ELb0ES6_jNS0_17counting_iteratorIjlEEPS9_SE_NS0_5tupleIJPjSE_EEENSF_IJSE_SE_EEES9_SG_JZNS1_25segmented_radix_sort_implINS0_14default_configELb0EPKdPdPKlPlN2at6native12_GLOBAL__N_18offset_tEEE10hipError_tPvRmT1_PNSt15iterator_traitsISY_E10value_typeET2_T3_PNSZ_IS14_E10value_typeET4_jRbjT5_S1A_jjP12ihipStream_tbEUljE_EEESV_SW_SX_S14_S18_S1A_T6_T7_T9_mT8_S1C_bDpT10_ENKUlT_T0_E_clISt17integral_constantIbLb1EES1O_IbLb0EEEEDaS1K_S1L_EUlS1K_E_NS1_11comp_targetILNS1_3genE5ELNS1_11target_archE942ELNS1_3gpuE9ELNS1_3repE0EEENS1_30default_config_static_selectorELNS0_4arch9wavefront6targetE0EEEvSY_ ; -- Begin function _ZN7rocprim17ROCPRIM_400000_NS6detail17trampoline_kernelINS0_13select_configILj256ELj13ELNS0_17block_load_methodE3ELS4_3ELS4_3ELNS0_20block_scan_algorithmE0ELj4294967295EEENS1_25partition_config_selectorILNS1_17partition_subalgoE3EjNS0_10empty_typeEbEEZZNS1_14partition_implILS8_3ELb0ES6_jNS0_17counting_iteratorIjlEEPS9_SE_NS0_5tupleIJPjSE_EEENSF_IJSE_SE_EEES9_SG_JZNS1_25segmented_radix_sort_implINS0_14default_configELb0EPKdPdPKlPlN2at6native12_GLOBAL__N_18offset_tEEE10hipError_tPvRmT1_PNSt15iterator_traitsISY_E10value_typeET2_T3_PNSZ_IS14_E10value_typeET4_jRbjT5_S1A_jjP12ihipStream_tbEUljE_EEESV_SW_SX_S14_S18_S1A_T6_T7_T9_mT8_S1C_bDpT10_ENKUlT_T0_E_clISt17integral_constantIbLb1EES1O_IbLb0EEEEDaS1K_S1L_EUlS1K_E_NS1_11comp_targetILNS1_3genE5ELNS1_11target_archE942ELNS1_3gpuE9ELNS1_3repE0EEENS1_30default_config_static_selectorELNS0_4arch9wavefront6targetE0EEEvSY_
	.p2align	8
	.type	_ZN7rocprim17ROCPRIM_400000_NS6detail17trampoline_kernelINS0_13select_configILj256ELj13ELNS0_17block_load_methodE3ELS4_3ELS4_3ELNS0_20block_scan_algorithmE0ELj4294967295EEENS1_25partition_config_selectorILNS1_17partition_subalgoE3EjNS0_10empty_typeEbEEZZNS1_14partition_implILS8_3ELb0ES6_jNS0_17counting_iteratorIjlEEPS9_SE_NS0_5tupleIJPjSE_EEENSF_IJSE_SE_EEES9_SG_JZNS1_25segmented_radix_sort_implINS0_14default_configELb0EPKdPdPKlPlN2at6native12_GLOBAL__N_18offset_tEEE10hipError_tPvRmT1_PNSt15iterator_traitsISY_E10value_typeET2_T3_PNSZ_IS14_E10value_typeET4_jRbjT5_S1A_jjP12ihipStream_tbEUljE_EEESV_SW_SX_S14_S18_S1A_T6_T7_T9_mT8_S1C_bDpT10_ENKUlT_T0_E_clISt17integral_constantIbLb1EES1O_IbLb0EEEEDaS1K_S1L_EUlS1K_E_NS1_11comp_targetILNS1_3genE5ELNS1_11target_archE942ELNS1_3gpuE9ELNS1_3repE0EEENS1_30default_config_static_selectorELNS0_4arch9wavefront6targetE0EEEvSY_,@function
_ZN7rocprim17ROCPRIM_400000_NS6detail17trampoline_kernelINS0_13select_configILj256ELj13ELNS0_17block_load_methodE3ELS4_3ELS4_3ELNS0_20block_scan_algorithmE0ELj4294967295EEENS1_25partition_config_selectorILNS1_17partition_subalgoE3EjNS0_10empty_typeEbEEZZNS1_14partition_implILS8_3ELb0ES6_jNS0_17counting_iteratorIjlEEPS9_SE_NS0_5tupleIJPjSE_EEENSF_IJSE_SE_EEES9_SG_JZNS1_25segmented_radix_sort_implINS0_14default_configELb0EPKdPdPKlPlN2at6native12_GLOBAL__N_18offset_tEEE10hipError_tPvRmT1_PNSt15iterator_traitsISY_E10value_typeET2_T3_PNSZ_IS14_E10value_typeET4_jRbjT5_S1A_jjP12ihipStream_tbEUljE_EEESV_SW_SX_S14_S18_S1A_T6_T7_T9_mT8_S1C_bDpT10_ENKUlT_T0_E_clISt17integral_constantIbLb1EES1O_IbLb0EEEEDaS1K_S1L_EUlS1K_E_NS1_11comp_targetILNS1_3genE5ELNS1_11target_archE942ELNS1_3gpuE9ELNS1_3repE0EEENS1_30default_config_static_selectorELNS0_4arch9wavefront6targetE0EEEvSY_: ; @_ZN7rocprim17ROCPRIM_400000_NS6detail17trampoline_kernelINS0_13select_configILj256ELj13ELNS0_17block_load_methodE3ELS4_3ELS4_3ELNS0_20block_scan_algorithmE0ELj4294967295EEENS1_25partition_config_selectorILNS1_17partition_subalgoE3EjNS0_10empty_typeEbEEZZNS1_14partition_implILS8_3ELb0ES6_jNS0_17counting_iteratorIjlEEPS9_SE_NS0_5tupleIJPjSE_EEENSF_IJSE_SE_EEES9_SG_JZNS1_25segmented_radix_sort_implINS0_14default_configELb0EPKdPdPKlPlN2at6native12_GLOBAL__N_18offset_tEEE10hipError_tPvRmT1_PNSt15iterator_traitsISY_E10value_typeET2_T3_PNSZ_IS14_E10value_typeET4_jRbjT5_S1A_jjP12ihipStream_tbEUljE_EEESV_SW_SX_S14_S18_S1A_T6_T7_T9_mT8_S1C_bDpT10_ENKUlT_T0_E_clISt17integral_constantIbLb1EES1O_IbLb0EEEEDaS1K_S1L_EUlS1K_E_NS1_11comp_targetILNS1_3genE5ELNS1_11target_archE942ELNS1_3gpuE9ELNS1_3repE0EEENS1_30default_config_static_selectorELNS0_4arch9wavefront6targetE0EEEvSY_
; %bb.0:
	.section	.rodata,"a",@progbits
	.p2align	6, 0x0
	.amdhsa_kernel _ZN7rocprim17ROCPRIM_400000_NS6detail17trampoline_kernelINS0_13select_configILj256ELj13ELNS0_17block_load_methodE3ELS4_3ELS4_3ELNS0_20block_scan_algorithmE0ELj4294967295EEENS1_25partition_config_selectorILNS1_17partition_subalgoE3EjNS0_10empty_typeEbEEZZNS1_14partition_implILS8_3ELb0ES6_jNS0_17counting_iteratorIjlEEPS9_SE_NS0_5tupleIJPjSE_EEENSF_IJSE_SE_EEES9_SG_JZNS1_25segmented_radix_sort_implINS0_14default_configELb0EPKdPdPKlPlN2at6native12_GLOBAL__N_18offset_tEEE10hipError_tPvRmT1_PNSt15iterator_traitsISY_E10value_typeET2_T3_PNSZ_IS14_E10value_typeET4_jRbjT5_S1A_jjP12ihipStream_tbEUljE_EEESV_SW_SX_S14_S18_S1A_T6_T7_T9_mT8_S1C_bDpT10_ENKUlT_T0_E_clISt17integral_constantIbLb1EES1O_IbLb0EEEEDaS1K_S1L_EUlS1K_E_NS1_11comp_targetILNS1_3genE5ELNS1_11target_archE942ELNS1_3gpuE9ELNS1_3repE0EEENS1_30default_config_static_selectorELNS0_4arch9wavefront6targetE0EEEvSY_
		.amdhsa_group_segment_fixed_size 0
		.amdhsa_private_segment_fixed_size 0
		.amdhsa_kernarg_size 144
		.amdhsa_user_sgpr_count 2
		.amdhsa_user_sgpr_dispatch_ptr 0
		.amdhsa_user_sgpr_queue_ptr 0
		.amdhsa_user_sgpr_kernarg_segment_ptr 1
		.amdhsa_user_sgpr_dispatch_id 0
		.amdhsa_user_sgpr_kernarg_preload_length 0
		.amdhsa_user_sgpr_kernarg_preload_offset 0
		.amdhsa_user_sgpr_private_segment_size 0
		.amdhsa_wavefront_size32 1
		.amdhsa_uses_dynamic_stack 0
		.amdhsa_enable_private_segment 0
		.amdhsa_system_sgpr_workgroup_id_x 1
		.amdhsa_system_sgpr_workgroup_id_y 0
		.amdhsa_system_sgpr_workgroup_id_z 0
		.amdhsa_system_sgpr_workgroup_info 0
		.amdhsa_system_vgpr_workitem_id 0
		.amdhsa_next_free_vgpr 1
		.amdhsa_next_free_sgpr 1
		.amdhsa_named_barrier_count 0
		.amdhsa_reserve_vcc 0
		.amdhsa_float_round_mode_32 0
		.amdhsa_float_round_mode_16_64 0
		.amdhsa_float_denorm_mode_32 3
		.amdhsa_float_denorm_mode_16_64 3
		.amdhsa_fp16_overflow 0
		.amdhsa_memory_ordered 1
		.amdhsa_forward_progress 1
		.amdhsa_inst_pref_size 0
		.amdhsa_round_robin_scheduling 0
		.amdhsa_exception_fp_ieee_invalid_op 0
		.amdhsa_exception_fp_denorm_src 0
		.amdhsa_exception_fp_ieee_div_zero 0
		.amdhsa_exception_fp_ieee_overflow 0
		.amdhsa_exception_fp_ieee_underflow 0
		.amdhsa_exception_fp_ieee_inexact 0
		.amdhsa_exception_int_div_zero 0
	.end_amdhsa_kernel
	.section	.text._ZN7rocprim17ROCPRIM_400000_NS6detail17trampoline_kernelINS0_13select_configILj256ELj13ELNS0_17block_load_methodE3ELS4_3ELS4_3ELNS0_20block_scan_algorithmE0ELj4294967295EEENS1_25partition_config_selectorILNS1_17partition_subalgoE3EjNS0_10empty_typeEbEEZZNS1_14partition_implILS8_3ELb0ES6_jNS0_17counting_iteratorIjlEEPS9_SE_NS0_5tupleIJPjSE_EEENSF_IJSE_SE_EEES9_SG_JZNS1_25segmented_radix_sort_implINS0_14default_configELb0EPKdPdPKlPlN2at6native12_GLOBAL__N_18offset_tEEE10hipError_tPvRmT1_PNSt15iterator_traitsISY_E10value_typeET2_T3_PNSZ_IS14_E10value_typeET4_jRbjT5_S1A_jjP12ihipStream_tbEUljE_EEESV_SW_SX_S14_S18_S1A_T6_T7_T9_mT8_S1C_bDpT10_ENKUlT_T0_E_clISt17integral_constantIbLb1EES1O_IbLb0EEEEDaS1K_S1L_EUlS1K_E_NS1_11comp_targetILNS1_3genE5ELNS1_11target_archE942ELNS1_3gpuE9ELNS1_3repE0EEENS1_30default_config_static_selectorELNS0_4arch9wavefront6targetE0EEEvSY_,"axG",@progbits,_ZN7rocprim17ROCPRIM_400000_NS6detail17trampoline_kernelINS0_13select_configILj256ELj13ELNS0_17block_load_methodE3ELS4_3ELS4_3ELNS0_20block_scan_algorithmE0ELj4294967295EEENS1_25partition_config_selectorILNS1_17partition_subalgoE3EjNS0_10empty_typeEbEEZZNS1_14partition_implILS8_3ELb0ES6_jNS0_17counting_iteratorIjlEEPS9_SE_NS0_5tupleIJPjSE_EEENSF_IJSE_SE_EEES9_SG_JZNS1_25segmented_radix_sort_implINS0_14default_configELb0EPKdPdPKlPlN2at6native12_GLOBAL__N_18offset_tEEE10hipError_tPvRmT1_PNSt15iterator_traitsISY_E10value_typeET2_T3_PNSZ_IS14_E10value_typeET4_jRbjT5_S1A_jjP12ihipStream_tbEUljE_EEESV_SW_SX_S14_S18_S1A_T6_T7_T9_mT8_S1C_bDpT10_ENKUlT_T0_E_clISt17integral_constantIbLb1EES1O_IbLb0EEEEDaS1K_S1L_EUlS1K_E_NS1_11comp_targetILNS1_3genE5ELNS1_11target_archE942ELNS1_3gpuE9ELNS1_3repE0EEENS1_30default_config_static_selectorELNS0_4arch9wavefront6targetE0EEEvSY_,comdat
.Lfunc_end1200:
	.size	_ZN7rocprim17ROCPRIM_400000_NS6detail17trampoline_kernelINS0_13select_configILj256ELj13ELNS0_17block_load_methodE3ELS4_3ELS4_3ELNS0_20block_scan_algorithmE0ELj4294967295EEENS1_25partition_config_selectorILNS1_17partition_subalgoE3EjNS0_10empty_typeEbEEZZNS1_14partition_implILS8_3ELb0ES6_jNS0_17counting_iteratorIjlEEPS9_SE_NS0_5tupleIJPjSE_EEENSF_IJSE_SE_EEES9_SG_JZNS1_25segmented_radix_sort_implINS0_14default_configELb0EPKdPdPKlPlN2at6native12_GLOBAL__N_18offset_tEEE10hipError_tPvRmT1_PNSt15iterator_traitsISY_E10value_typeET2_T3_PNSZ_IS14_E10value_typeET4_jRbjT5_S1A_jjP12ihipStream_tbEUljE_EEESV_SW_SX_S14_S18_S1A_T6_T7_T9_mT8_S1C_bDpT10_ENKUlT_T0_E_clISt17integral_constantIbLb1EES1O_IbLb0EEEEDaS1K_S1L_EUlS1K_E_NS1_11comp_targetILNS1_3genE5ELNS1_11target_archE942ELNS1_3gpuE9ELNS1_3repE0EEENS1_30default_config_static_selectorELNS0_4arch9wavefront6targetE0EEEvSY_, .Lfunc_end1200-_ZN7rocprim17ROCPRIM_400000_NS6detail17trampoline_kernelINS0_13select_configILj256ELj13ELNS0_17block_load_methodE3ELS4_3ELS4_3ELNS0_20block_scan_algorithmE0ELj4294967295EEENS1_25partition_config_selectorILNS1_17partition_subalgoE3EjNS0_10empty_typeEbEEZZNS1_14partition_implILS8_3ELb0ES6_jNS0_17counting_iteratorIjlEEPS9_SE_NS0_5tupleIJPjSE_EEENSF_IJSE_SE_EEES9_SG_JZNS1_25segmented_radix_sort_implINS0_14default_configELb0EPKdPdPKlPlN2at6native12_GLOBAL__N_18offset_tEEE10hipError_tPvRmT1_PNSt15iterator_traitsISY_E10value_typeET2_T3_PNSZ_IS14_E10value_typeET4_jRbjT5_S1A_jjP12ihipStream_tbEUljE_EEESV_SW_SX_S14_S18_S1A_T6_T7_T9_mT8_S1C_bDpT10_ENKUlT_T0_E_clISt17integral_constantIbLb1EES1O_IbLb0EEEEDaS1K_S1L_EUlS1K_E_NS1_11comp_targetILNS1_3genE5ELNS1_11target_archE942ELNS1_3gpuE9ELNS1_3repE0EEENS1_30default_config_static_selectorELNS0_4arch9wavefront6targetE0EEEvSY_
                                        ; -- End function
	.set _ZN7rocprim17ROCPRIM_400000_NS6detail17trampoline_kernelINS0_13select_configILj256ELj13ELNS0_17block_load_methodE3ELS4_3ELS4_3ELNS0_20block_scan_algorithmE0ELj4294967295EEENS1_25partition_config_selectorILNS1_17partition_subalgoE3EjNS0_10empty_typeEbEEZZNS1_14partition_implILS8_3ELb0ES6_jNS0_17counting_iteratorIjlEEPS9_SE_NS0_5tupleIJPjSE_EEENSF_IJSE_SE_EEES9_SG_JZNS1_25segmented_radix_sort_implINS0_14default_configELb0EPKdPdPKlPlN2at6native12_GLOBAL__N_18offset_tEEE10hipError_tPvRmT1_PNSt15iterator_traitsISY_E10value_typeET2_T3_PNSZ_IS14_E10value_typeET4_jRbjT5_S1A_jjP12ihipStream_tbEUljE_EEESV_SW_SX_S14_S18_S1A_T6_T7_T9_mT8_S1C_bDpT10_ENKUlT_T0_E_clISt17integral_constantIbLb1EES1O_IbLb0EEEEDaS1K_S1L_EUlS1K_E_NS1_11comp_targetILNS1_3genE5ELNS1_11target_archE942ELNS1_3gpuE9ELNS1_3repE0EEENS1_30default_config_static_selectorELNS0_4arch9wavefront6targetE0EEEvSY_.num_vgpr, 0
	.set _ZN7rocprim17ROCPRIM_400000_NS6detail17trampoline_kernelINS0_13select_configILj256ELj13ELNS0_17block_load_methodE3ELS4_3ELS4_3ELNS0_20block_scan_algorithmE0ELj4294967295EEENS1_25partition_config_selectorILNS1_17partition_subalgoE3EjNS0_10empty_typeEbEEZZNS1_14partition_implILS8_3ELb0ES6_jNS0_17counting_iteratorIjlEEPS9_SE_NS0_5tupleIJPjSE_EEENSF_IJSE_SE_EEES9_SG_JZNS1_25segmented_radix_sort_implINS0_14default_configELb0EPKdPdPKlPlN2at6native12_GLOBAL__N_18offset_tEEE10hipError_tPvRmT1_PNSt15iterator_traitsISY_E10value_typeET2_T3_PNSZ_IS14_E10value_typeET4_jRbjT5_S1A_jjP12ihipStream_tbEUljE_EEESV_SW_SX_S14_S18_S1A_T6_T7_T9_mT8_S1C_bDpT10_ENKUlT_T0_E_clISt17integral_constantIbLb1EES1O_IbLb0EEEEDaS1K_S1L_EUlS1K_E_NS1_11comp_targetILNS1_3genE5ELNS1_11target_archE942ELNS1_3gpuE9ELNS1_3repE0EEENS1_30default_config_static_selectorELNS0_4arch9wavefront6targetE0EEEvSY_.num_agpr, 0
	.set _ZN7rocprim17ROCPRIM_400000_NS6detail17trampoline_kernelINS0_13select_configILj256ELj13ELNS0_17block_load_methodE3ELS4_3ELS4_3ELNS0_20block_scan_algorithmE0ELj4294967295EEENS1_25partition_config_selectorILNS1_17partition_subalgoE3EjNS0_10empty_typeEbEEZZNS1_14partition_implILS8_3ELb0ES6_jNS0_17counting_iteratorIjlEEPS9_SE_NS0_5tupleIJPjSE_EEENSF_IJSE_SE_EEES9_SG_JZNS1_25segmented_radix_sort_implINS0_14default_configELb0EPKdPdPKlPlN2at6native12_GLOBAL__N_18offset_tEEE10hipError_tPvRmT1_PNSt15iterator_traitsISY_E10value_typeET2_T3_PNSZ_IS14_E10value_typeET4_jRbjT5_S1A_jjP12ihipStream_tbEUljE_EEESV_SW_SX_S14_S18_S1A_T6_T7_T9_mT8_S1C_bDpT10_ENKUlT_T0_E_clISt17integral_constantIbLb1EES1O_IbLb0EEEEDaS1K_S1L_EUlS1K_E_NS1_11comp_targetILNS1_3genE5ELNS1_11target_archE942ELNS1_3gpuE9ELNS1_3repE0EEENS1_30default_config_static_selectorELNS0_4arch9wavefront6targetE0EEEvSY_.numbered_sgpr, 0
	.set _ZN7rocprim17ROCPRIM_400000_NS6detail17trampoline_kernelINS0_13select_configILj256ELj13ELNS0_17block_load_methodE3ELS4_3ELS4_3ELNS0_20block_scan_algorithmE0ELj4294967295EEENS1_25partition_config_selectorILNS1_17partition_subalgoE3EjNS0_10empty_typeEbEEZZNS1_14partition_implILS8_3ELb0ES6_jNS0_17counting_iteratorIjlEEPS9_SE_NS0_5tupleIJPjSE_EEENSF_IJSE_SE_EEES9_SG_JZNS1_25segmented_radix_sort_implINS0_14default_configELb0EPKdPdPKlPlN2at6native12_GLOBAL__N_18offset_tEEE10hipError_tPvRmT1_PNSt15iterator_traitsISY_E10value_typeET2_T3_PNSZ_IS14_E10value_typeET4_jRbjT5_S1A_jjP12ihipStream_tbEUljE_EEESV_SW_SX_S14_S18_S1A_T6_T7_T9_mT8_S1C_bDpT10_ENKUlT_T0_E_clISt17integral_constantIbLb1EES1O_IbLb0EEEEDaS1K_S1L_EUlS1K_E_NS1_11comp_targetILNS1_3genE5ELNS1_11target_archE942ELNS1_3gpuE9ELNS1_3repE0EEENS1_30default_config_static_selectorELNS0_4arch9wavefront6targetE0EEEvSY_.num_named_barrier, 0
	.set _ZN7rocprim17ROCPRIM_400000_NS6detail17trampoline_kernelINS0_13select_configILj256ELj13ELNS0_17block_load_methodE3ELS4_3ELS4_3ELNS0_20block_scan_algorithmE0ELj4294967295EEENS1_25partition_config_selectorILNS1_17partition_subalgoE3EjNS0_10empty_typeEbEEZZNS1_14partition_implILS8_3ELb0ES6_jNS0_17counting_iteratorIjlEEPS9_SE_NS0_5tupleIJPjSE_EEENSF_IJSE_SE_EEES9_SG_JZNS1_25segmented_radix_sort_implINS0_14default_configELb0EPKdPdPKlPlN2at6native12_GLOBAL__N_18offset_tEEE10hipError_tPvRmT1_PNSt15iterator_traitsISY_E10value_typeET2_T3_PNSZ_IS14_E10value_typeET4_jRbjT5_S1A_jjP12ihipStream_tbEUljE_EEESV_SW_SX_S14_S18_S1A_T6_T7_T9_mT8_S1C_bDpT10_ENKUlT_T0_E_clISt17integral_constantIbLb1EES1O_IbLb0EEEEDaS1K_S1L_EUlS1K_E_NS1_11comp_targetILNS1_3genE5ELNS1_11target_archE942ELNS1_3gpuE9ELNS1_3repE0EEENS1_30default_config_static_selectorELNS0_4arch9wavefront6targetE0EEEvSY_.private_seg_size, 0
	.set _ZN7rocprim17ROCPRIM_400000_NS6detail17trampoline_kernelINS0_13select_configILj256ELj13ELNS0_17block_load_methodE3ELS4_3ELS4_3ELNS0_20block_scan_algorithmE0ELj4294967295EEENS1_25partition_config_selectorILNS1_17partition_subalgoE3EjNS0_10empty_typeEbEEZZNS1_14partition_implILS8_3ELb0ES6_jNS0_17counting_iteratorIjlEEPS9_SE_NS0_5tupleIJPjSE_EEENSF_IJSE_SE_EEES9_SG_JZNS1_25segmented_radix_sort_implINS0_14default_configELb0EPKdPdPKlPlN2at6native12_GLOBAL__N_18offset_tEEE10hipError_tPvRmT1_PNSt15iterator_traitsISY_E10value_typeET2_T3_PNSZ_IS14_E10value_typeET4_jRbjT5_S1A_jjP12ihipStream_tbEUljE_EEESV_SW_SX_S14_S18_S1A_T6_T7_T9_mT8_S1C_bDpT10_ENKUlT_T0_E_clISt17integral_constantIbLb1EES1O_IbLb0EEEEDaS1K_S1L_EUlS1K_E_NS1_11comp_targetILNS1_3genE5ELNS1_11target_archE942ELNS1_3gpuE9ELNS1_3repE0EEENS1_30default_config_static_selectorELNS0_4arch9wavefront6targetE0EEEvSY_.uses_vcc, 0
	.set _ZN7rocprim17ROCPRIM_400000_NS6detail17trampoline_kernelINS0_13select_configILj256ELj13ELNS0_17block_load_methodE3ELS4_3ELS4_3ELNS0_20block_scan_algorithmE0ELj4294967295EEENS1_25partition_config_selectorILNS1_17partition_subalgoE3EjNS0_10empty_typeEbEEZZNS1_14partition_implILS8_3ELb0ES6_jNS0_17counting_iteratorIjlEEPS9_SE_NS0_5tupleIJPjSE_EEENSF_IJSE_SE_EEES9_SG_JZNS1_25segmented_radix_sort_implINS0_14default_configELb0EPKdPdPKlPlN2at6native12_GLOBAL__N_18offset_tEEE10hipError_tPvRmT1_PNSt15iterator_traitsISY_E10value_typeET2_T3_PNSZ_IS14_E10value_typeET4_jRbjT5_S1A_jjP12ihipStream_tbEUljE_EEESV_SW_SX_S14_S18_S1A_T6_T7_T9_mT8_S1C_bDpT10_ENKUlT_T0_E_clISt17integral_constantIbLb1EES1O_IbLb0EEEEDaS1K_S1L_EUlS1K_E_NS1_11comp_targetILNS1_3genE5ELNS1_11target_archE942ELNS1_3gpuE9ELNS1_3repE0EEENS1_30default_config_static_selectorELNS0_4arch9wavefront6targetE0EEEvSY_.uses_flat_scratch, 0
	.set _ZN7rocprim17ROCPRIM_400000_NS6detail17trampoline_kernelINS0_13select_configILj256ELj13ELNS0_17block_load_methodE3ELS4_3ELS4_3ELNS0_20block_scan_algorithmE0ELj4294967295EEENS1_25partition_config_selectorILNS1_17partition_subalgoE3EjNS0_10empty_typeEbEEZZNS1_14partition_implILS8_3ELb0ES6_jNS0_17counting_iteratorIjlEEPS9_SE_NS0_5tupleIJPjSE_EEENSF_IJSE_SE_EEES9_SG_JZNS1_25segmented_radix_sort_implINS0_14default_configELb0EPKdPdPKlPlN2at6native12_GLOBAL__N_18offset_tEEE10hipError_tPvRmT1_PNSt15iterator_traitsISY_E10value_typeET2_T3_PNSZ_IS14_E10value_typeET4_jRbjT5_S1A_jjP12ihipStream_tbEUljE_EEESV_SW_SX_S14_S18_S1A_T6_T7_T9_mT8_S1C_bDpT10_ENKUlT_T0_E_clISt17integral_constantIbLb1EES1O_IbLb0EEEEDaS1K_S1L_EUlS1K_E_NS1_11comp_targetILNS1_3genE5ELNS1_11target_archE942ELNS1_3gpuE9ELNS1_3repE0EEENS1_30default_config_static_selectorELNS0_4arch9wavefront6targetE0EEEvSY_.has_dyn_sized_stack, 0
	.set _ZN7rocprim17ROCPRIM_400000_NS6detail17trampoline_kernelINS0_13select_configILj256ELj13ELNS0_17block_load_methodE3ELS4_3ELS4_3ELNS0_20block_scan_algorithmE0ELj4294967295EEENS1_25partition_config_selectorILNS1_17partition_subalgoE3EjNS0_10empty_typeEbEEZZNS1_14partition_implILS8_3ELb0ES6_jNS0_17counting_iteratorIjlEEPS9_SE_NS0_5tupleIJPjSE_EEENSF_IJSE_SE_EEES9_SG_JZNS1_25segmented_radix_sort_implINS0_14default_configELb0EPKdPdPKlPlN2at6native12_GLOBAL__N_18offset_tEEE10hipError_tPvRmT1_PNSt15iterator_traitsISY_E10value_typeET2_T3_PNSZ_IS14_E10value_typeET4_jRbjT5_S1A_jjP12ihipStream_tbEUljE_EEESV_SW_SX_S14_S18_S1A_T6_T7_T9_mT8_S1C_bDpT10_ENKUlT_T0_E_clISt17integral_constantIbLb1EES1O_IbLb0EEEEDaS1K_S1L_EUlS1K_E_NS1_11comp_targetILNS1_3genE5ELNS1_11target_archE942ELNS1_3gpuE9ELNS1_3repE0EEENS1_30default_config_static_selectorELNS0_4arch9wavefront6targetE0EEEvSY_.has_recursion, 0
	.set _ZN7rocprim17ROCPRIM_400000_NS6detail17trampoline_kernelINS0_13select_configILj256ELj13ELNS0_17block_load_methodE3ELS4_3ELS4_3ELNS0_20block_scan_algorithmE0ELj4294967295EEENS1_25partition_config_selectorILNS1_17partition_subalgoE3EjNS0_10empty_typeEbEEZZNS1_14partition_implILS8_3ELb0ES6_jNS0_17counting_iteratorIjlEEPS9_SE_NS0_5tupleIJPjSE_EEENSF_IJSE_SE_EEES9_SG_JZNS1_25segmented_radix_sort_implINS0_14default_configELb0EPKdPdPKlPlN2at6native12_GLOBAL__N_18offset_tEEE10hipError_tPvRmT1_PNSt15iterator_traitsISY_E10value_typeET2_T3_PNSZ_IS14_E10value_typeET4_jRbjT5_S1A_jjP12ihipStream_tbEUljE_EEESV_SW_SX_S14_S18_S1A_T6_T7_T9_mT8_S1C_bDpT10_ENKUlT_T0_E_clISt17integral_constantIbLb1EES1O_IbLb0EEEEDaS1K_S1L_EUlS1K_E_NS1_11comp_targetILNS1_3genE5ELNS1_11target_archE942ELNS1_3gpuE9ELNS1_3repE0EEENS1_30default_config_static_selectorELNS0_4arch9wavefront6targetE0EEEvSY_.has_indirect_call, 0
	.section	.AMDGPU.csdata,"",@progbits
; Kernel info:
; codeLenInByte = 0
; TotalNumSgprs: 0
; NumVgprs: 0
; ScratchSize: 0
; MemoryBound: 0
; FloatMode: 240
; IeeeMode: 1
; LDSByteSize: 0 bytes/workgroup (compile time only)
; SGPRBlocks: 0
; VGPRBlocks: 0
; NumSGPRsForWavesPerEU: 1
; NumVGPRsForWavesPerEU: 1
; NamedBarCnt: 0
; Occupancy: 16
; WaveLimiterHint : 0
; COMPUTE_PGM_RSRC2:SCRATCH_EN: 0
; COMPUTE_PGM_RSRC2:USER_SGPR: 2
; COMPUTE_PGM_RSRC2:TRAP_HANDLER: 0
; COMPUTE_PGM_RSRC2:TGID_X_EN: 1
; COMPUTE_PGM_RSRC2:TGID_Y_EN: 0
; COMPUTE_PGM_RSRC2:TGID_Z_EN: 0
; COMPUTE_PGM_RSRC2:TIDIG_COMP_CNT: 0
	.section	.text._ZN7rocprim17ROCPRIM_400000_NS6detail17trampoline_kernelINS0_13select_configILj256ELj13ELNS0_17block_load_methodE3ELS4_3ELS4_3ELNS0_20block_scan_algorithmE0ELj4294967295EEENS1_25partition_config_selectorILNS1_17partition_subalgoE3EjNS0_10empty_typeEbEEZZNS1_14partition_implILS8_3ELb0ES6_jNS0_17counting_iteratorIjlEEPS9_SE_NS0_5tupleIJPjSE_EEENSF_IJSE_SE_EEES9_SG_JZNS1_25segmented_radix_sort_implINS0_14default_configELb0EPKdPdPKlPlN2at6native12_GLOBAL__N_18offset_tEEE10hipError_tPvRmT1_PNSt15iterator_traitsISY_E10value_typeET2_T3_PNSZ_IS14_E10value_typeET4_jRbjT5_S1A_jjP12ihipStream_tbEUljE_EEESV_SW_SX_S14_S18_S1A_T6_T7_T9_mT8_S1C_bDpT10_ENKUlT_T0_E_clISt17integral_constantIbLb1EES1O_IbLb0EEEEDaS1K_S1L_EUlS1K_E_NS1_11comp_targetILNS1_3genE4ELNS1_11target_archE910ELNS1_3gpuE8ELNS1_3repE0EEENS1_30default_config_static_selectorELNS0_4arch9wavefront6targetE0EEEvSY_,"axG",@progbits,_ZN7rocprim17ROCPRIM_400000_NS6detail17trampoline_kernelINS0_13select_configILj256ELj13ELNS0_17block_load_methodE3ELS4_3ELS4_3ELNS0_20block_scan_algorithmE0ELj4294967295EEENS1_25partition_config_selectorILNS1_17partition_subalgoE3EjNS0_10empty_typeEbEEZZNS1_14partition_implILS8_3ELb0ES6_jNS0_17counting_iteratorIjlEEPS9_SE_NS0_5tupleIJPjSE_EEENSF_IJSE_SE_EEES9_SG_JZNS1_25segmented_radix_sort_implINS0_14default_configELb0EPKdPdPKlPlN2at6native12_GLOBAL__N_18offset_tEEE10hipError_tPvRmT1_PNSt15iterator_traitsISY_E10value_typeET2_T3_PNSZ_IS14_E10value_typeET4_jRbjT5_S1A_jjP12ihipStream_tbEUljE_EEESV_SW_SX_S14_S18_S1A_T6_T7_T9_mT8_S1C_bDpT10_ENKUlT_T0_E_clISt17integral_constantIbLb1EES1O_IbLb0EEEEDaS1K_S1L_EUlS1K_E_NS1_11comp_targetILNS1_3genE4ELNS1_11target_archE910ELNS1_3gpuE8ELNS1_3repE0EEENS1_30default_config_static_selectorELNS0_4arch9wavefront6targetE0EEEvSY_,comdat
	.globl	_ZN7rocprim17ROCPRIM_400000_NS6detail17trampoline_kernelINS0_13select_configILj256ELj13ELNS0_17block_load_methodE3ELS4_3ELS4_3ELNS0_20block_scan_algorithmE0ELj4294967295EEENS1_25partition_config_selectorILNS1_17partition_subalgoE3EjNS0_10empty_typeEbEEZZNS1_14partition_implILS8_3ELb0ES6_jNS0_17counting_iteratorIjlEEPS9_SE_NS0_5tupleIJPjSE_EEENSF_IJSE_SE_EEES9_SG_JZNS1_25segmented_radix_sort_implINS0_14default_configELb0EPKdPdPKlPlN2at6native12_GLOBAL__N_18offset_tEEE10hipError_tPvRmT1_PNSt15iterator_traitsISY_E10value_typeET2_T3_PNSZ_IS14_E10value_typeET4_jRbjT5_S1A_jjP12ihipStream_tbEUljE_EEESV_SW_SX_S14_S18_S1A_T6_T7_T9_mT8_S1C_bDpT10_ENKUlT_T0_E_clISt17integral_constantIbLb1EES1O_IbLb0EEEEDaS1K_S1L_EUlS1K_E_NS1_11comp_targetILNS1_3genE4ELNS1_11target_archE910ELNS1_3gpuE8ELNS1_3repE0EEENS1_30default_config_static_selectorELNS0_4arch9wavefront6targetE0EEEvSY_ ; -- Begin function _ZN7rocprim17ROCPRIM_400000_NS6detail17trampoline_kernelINS0_13select_configILj256ELj13ELNS0_17block_load_methodE3ELS4_3ELS4_3ELNS0_20block_scan_algorithmE0ELj4294967295EEENS1_25partition_config_selectorILNS1_17partition_subalgoE3EjNS0_10empty_typeEbEEZZNS1_14partition_implILS8_3ELb0ES6_jNS0_17counting_iteratorIjlEEPS9_SE_NS0_5tupleIJPjSE_EEENSF_IJSE_SE_EEES9_SG_JZNS1_25segmented_radix_sort_implINS0_14default_configELb0EPKdPdPKlPlN2at6native12_GLOBAL__N_18offset_tEEE10hipError_tPvRmT1_PNSt15iterator_traitsISY_E10value_typeET2_T3_PNSZ_IS14_E10value_typeET4_jRbjT5_S1A_jjP12ihipStream_tbEUljE_EEESV_SW_SX_S14_S18_S1A_T6_T7_T9_mT8_S1C_bDpT10_ENKUlT_T0_E_clISt17integral_constantIbLb1EES1O_IbLb0EEEEDaS1K_S1L_EUlS1K_E_NS1_11comp_targetILNS1_3genE4ELNS1_11target_archE910ELNS1_3gpuE8ELNS1_3repE0EEENS1_30default_config_static_selectorELNS0_4arch9wavefront6targetE0EEEvSY_
	.p2align	8
	.type	_ZN7rocprim17ROCPRIM_400000_NS6detail17trampoline_kernelINS0_13select_configILj256ELj13ELNS0_17block_load_methodE3ELS4_3ELS4_3ELNS0_20block_scan_algorithmE0ELj4294967295EEENS1_25partition_config_selectorILNS1_17partition_subalgoE3EjNS0_10empty_typeEbEEZZNS1_14partition_implILS8_3ELb0ES6_jNS0_17counting_iteratorIjlEEPS9_SE_NS0_5tupleIJPjSE_EEENSF_IJSE_SE_EEES9_SG_JZNS1_25segmented_radix_sort_implINS0_14default_configELb0EPKdPdPKlPlN2at6native12_GLOBAL__N_18offset_tEEE10hipError_tPvRmT1_PNSt15iterator_traitsISY_E10value_typeET2_T3_PNSZ_IS14_E10value_typeET4_jRbjT5_S1A_jjP12ihipStream_tbEUljE_EEESV_SW_SX_S14_S18_S1A_T6_T7_T9_mT8_S1C_bDpT10_ENKUlT_T0_E_clISt17integral_constantIbLb1EES1O_IbLb0EEEEDaS1K_S1L_EUlS1K_E_NS1_11comp_targetILNS1_3genE4ELNS1_11target_archE910ELNS1_3gpuE8ELNS1_3repE0EEENS1_30default_config_static_selectorELNS0_4arch9wavefront6targetE0EEEvSY_,@function
_ZN7rocprim17ROCPRIM_400000_NS6detail17trampoline_kernelINS0_13select_configILj256ELj13ELNS0_17block_load_methodE3ELS4_3ELS4_3ELNS0_20block_scan_algorithmE0ELj4294967295EEENS1_25partition_config_selectorILNS1_17partition_subalgoE3EjNS0_10empty_typeEbEEZZNS1_14partition_implILS8_3ELb0ES6_jNS0_17counting_iteratorIjlEEPS9_SE_NS0_5tupleIJPjSE_EEENSF_IJSE_SE_EEES9_SG_JZNS1_25segmented_radix_sort_implINS0_14default_configELb0EPKdPdPKlPlN2at6native12_GLOBAL__N_18offset_tEEE10hipError_tPvRmT1_PNSt15iterator_traitsISY_E10value_typeET2_T3_PNSZ_IS14_E10value_typeET4_jRbjT5_S1A_jjP12ihipStream_tbEUljE_EEESV_SW_SX_S14_S18_S1A_T6_T7_T9_mT8_S1C_bDpT10_ENKUlT_T0_E_clISt17integral_constantIbLb1EES1O_IbLb0EEEEDaS1K_S1L_EUlS1K_E_NS1_11comp_targetILNS1_3genE4ELNS1_11target_archE910ELNS1_3gpuE8ELNS1_3repE0EEENS1_30default_config_static_selectorELNS0_4arch9wavefront6targetE0EEEvSY_: ; @_ZN7rocprim17ROCPRIM_400000_NS6detail17trampoline_kernelINS0_13select_configILj256ELj13ELNS0_17block_load_methodE3ELS4_3ELS4_3ELNS0_20block_scan_algorithmE0ELj4294967295EEENS1_25partition_config_selectorILNS1_17partition_subalgoE3EjNS0_10empty_typeEbEEZZNS1_14partition_implILS8_3ELb0ES6_jNS0_17counting_iteratorIjlEEPS9_SE_NS0_5tupleIJPjSE_EEENSF_IJSE_SE_EEES9_SG_JZNS1_25segmented_radix_sort_implINS0_14default_configELb0EPKdPdPKlPlN2at6native12_GLOBAL__N_18offset_tEEE10hipError_tPvRmT1_PNSt15iterator_traitsISY_E10value_typeET2_T3_PNSZ_IS14_E10value_typeET4_jRbjT5_S1A_jjP12ihipStream_tbEUljE_EEESV_SW_SX_S14_S18_S1A_T6_T7_T9_mT8_S1C_bDpT10_ENKUlT_T0_E_clISt17integral_constantIbLb1EES1O_IbLb0EEEEDaS1K_S1L_EUlS1K_E_NS1_11comp_targetILNS1_3genE4ELNS1_11target_archE910ELNS1_3gpuE8ELNS1_3repE0EEENS1_30default_config_static_selectorELNS0_4arch9wavefront6targetE0EEEvSY_
; %bb.0:
	.section	.rodata,"a",@progbits
	.p2align	6, 0x0
	.amdhsa_kernel _ZN7rocprim17ROCPRIM_400000_NS6detail17trampoline_kernelINS0_13select_configILj256ELj13ELNS0_17block_load_methodE3ELS4_3ELS4_3ELNS0_20block_scan_algorithmE0ELj4294967295EEENS1_25partition_config_selectorILNS1_17partition_subalgoE3EjNS0_10empty_typeEbEEZZNS1_14partition_implILS8_3ELb0ES6_jNS0_17counting_iteratorIjlEEPS9_SE_NS0_5tupleIJPjSE_EEENSF_IJSE_SE_EEES9_SG_JZNS1_25segmented_radix_sort_implINS0_14default_configELb0EPKdPdPKlPlN2at6native12_GLOBAL__N_18offset_tEEE10hipError_tPvRmT1_PNSt15iterator_traitsISY_E10value_typeET2_T3_PNSZ_IS14_E10value_typeET4_jRbjT5_S1A_jjP12ihipStream_tbEUljE_EEESV_SW_SX_S14_S18_S1A_T6_T7_T9_mT8_S1C_bDpT10_ENKUlT_T0_E_clISt17integral_constantIbLb1EES1O_IbLb0EEEEDaS1K_S1L_EUlS1K_E_NS1_11comp_targetILNS1_3genE4ELNS1_11target_archE910ELNS1_3gpuE8ELNS1_3repE0EEENS1_30default_config_static_selectorELNS0_4arch9wavefront6targetE0EEEvSY_
		.amdhsa_group_segment_fixed_size 0
		.amdhsa_private_segment_fixed_size 0
		.amdhsa_kernarg_size 144
		.amdhsa_user_sgpr_count 2
		.amdhsa_user_sgpr_dispatch_ptr 0
		.amdhsa_user_sgpr_queue_ptr 0
		.amdhsa_user_sgpr_kernarg_segment_ptr 1
		.amdhsa_user_sgpr_dispatch_id 0
		.amdhsa_user_sgpr_kernarg_preload_length 0
		.amdhsa_user_sgpr_kernarg_preload_offset 0
		.amdhsa_user_sgpr_private_segment_size 0
		.amdhsa_wavefront_size32 1
		.amdhsa_uses_dynamic_stack 0
		.amdhsa_enable_private_segment 0
		.amdhsa_system_sgpr_workgroup_id_x 1
		.amdhsa_system_sgpr_workgroup_id_y 0
		.amdhsa_system_sgpr_workgroup_id_z 0
		.amdhsa_system_sgpr_workgroup_info 0
		.amdhsa_system_vgpr_workitem_id 0
		.amdhsa_next_free_vgpr 1
		.amdhsa_next_free_sgpr 1
		.amdhsa_named_barrier_count 0
		.amdhsa_reserve_vcc 0
		.amdhsa_float_round_mode_32 0
		.amdhsa_float_round_mode_16_64 0
		.amdhsa_float_denorm_mode_32 3
		.amdhsa_float_denorm_mode_16_64 3
		.amdhsa_fp16_overflow 0
		.amdhsa_memory_ordered 1
		.amdhsa_forward_progress 1
		.amdhsa_inst_pref_size 0
		.amdhsa_round_robin_scheduling 0
		.amdhsa_exception_fp_ieee_invalid_op 0
		.amdhsa_exception_fp_denorm_src 0
		.amdhsa_exception_fp_ieee_div_zero 0
		.amdhsa_exception_fp_ieee_overflow 0
		.amdhsa_exception_fp_ieee_underflow 0
		.amdhsa_exception_fp_ieee_inexact 0
		.amdhsa_exception_int_div_zero 0
	.end_amdhsa_kernel
	.section	.text._ZN7rocprim17ROCPRIM_400000_NS6detail17trampoline_kernelINS0_13select_configILj256ELj13ELNS0_17block_load_methodE3ELS4_3ELS4_3ELNS0_20block_scan_algorithmE0ELj4294967295EEENS1_25partition_config_selectorILNS1_17partition_subalgoE3EjNS0_10empty_typeEbEEZZNS1_14partition_implILS8_3ELb0ES6_jNS0_17counting_iteratorIjlEEPS9_SE_NS0_5tupleIJPjSE_EEENSF_IJSE_SE_EEES9_SG_JZNS1_25segmented_radix_sort_implINS0_14default_configELb0EPKdPdPKlPlN2at6native12_GLOBAL__N_18offset_tEEE10hipError_tPvRmT1_PNSt15iterator_traitsISY_E10value_typeET2_T3_PNSZ_IS14_E10value_typeET4_jRbjT5_S1A_jjP12ihipStream_tbEUljE_EEESV_SW_SX_S14_S18_S1A_T6_T7_T9_mT8_S1C_bDpT10_ENKUlT_T0_E_clISt17integral_constantIbLb1EES1O_IbLb0EEEEDaS1K_S1L_EUlS1K_E_NS1_11comp_targetILNS1_3genE4ELNS1_11target_archE910ELNS1_3gpuE8ELNS1_3repE0EEENS1_30default_config_static_selectorELNS0_4arch9wavefront6targetE0EEEvSY_,"axG",@progbits,_ZN7rocprim17ROCPRIM_400000_NS6detail17trampoline_kernelINS0_13select_configILj256ELj13ELNS0_17block_load_methodE3ELS4_3ELS4_3ELNS0_20block_scan_algorithmE0ELj4294967295EEENS1_25partition_config_selectorILNS1_17partition_subalgoE3EjNS0_10empty_typeEbEEZZNS1_14partition_implILS8_3ELb0ES6_jNS0_17counting_iteratorIjlEEPS9_SE_NS0_5tupleIJPjSE_EEENSF_IJSE_SE_EEES9_SG_JZNS1_25segmented_radix_sort_implINS0_14default_configELb0EPKdPdPKlPlN2at6native12_GLOBAL__N_18offset_tEEE10hipError_tPvRmT1_PNSt15iterator_traitsISY_E10value_typeET2_T3_PNSZ_IS14_E10value_typeET4_jRbjT5_S1A_jjP12ihipStream_tbEUljE_EEESV_SW_SX_S14_S18_S1A_T6_T7_T9_mT8_S1C_bDpT10_ENKUlT_T0_E_clISt17integral_constantIbLb1EES1O_IbLb0EEEEDaS1K_S1L_EUlS1K_E_NS1_11comp_targetILNS1_3genE4ELNS1_11target_archE910ELNS1_3gpuE8ELNS1_3repE0EEENS1_30default_config_static_selectorELNS0_4arch9wavefront6targetE0EEEvSY_,comdat
.Lfunc_end1201:
	.size	_ZN7rocprim17ROCPRIM_400000_NS6detail17trampoline_kernelINS0_13select_configILj256ELj13ELNS0_17block_load_methodE3ELS4_3ELS4_3ELNS0_20block_scan_algorithmE0ELj4294967295EEENS1_25partition_config_selectorILNS1_17partition_subalgoE3EjNS0_10empty_typeEbEEZZNS1_14partition_implILS8_3ELb0ES6_jNS0_17counting_iteratorIjlEEPS9_SE_NS0_5tupleIJPjSE_EEENSF_IJSE_SE_EEES9_SG_JZNS1_25segmented_radix_sort_implINS0_14default_configELb0EPKdPdPKlPlN2at6native12_GLOBAL__N_18offset_tEEE10hipError_tPvRmT1_PNSt15iterator_traitsISY_E10value_typeET2_T3_PNSZ_IS14_E10value_typeET4_jRbjT5_S1A_jjP12ihipStream_tbEUljE_EEESV_SW_SX_S14_S18_S1A_T6_T7_T9_mT8_S1C_bDpT10_ENKUlT_T0_E_clISt17integral_constantIbLb1EES1O_IbLb0EEEEDaS1K_S1L_EUlS1K_E_NS1_11comp_targetILNS1_3genE4ELNS1_11target_archE910ELNS1_3gpuE8ELNS1_3repE0EEENS1_30default_config_static_selectorELNS0_4arch9wavefront6targetE0EEEvSY_, .Lfunc_end1201-_ZN7rocprim17ROCPRIM_400000_NS6detail17trampoline_kernelINS0_13select_configILj256ELj13ELNS0_17block_load_methodE3ELS4_3ELS4_3ELNS0_20block_scan_algorithmE0ELj4294967295EEENS1_25partition_config_selectorILNS1_17partition_subalgoE3EjNS0_10empty_typeEbEEZZNS1_14partition_implILS8_3ELb0ES6_jNS0_17counting_iteratorIjlEEPS9_SE_NS0_5tupleIJPjSE_EEENSF_IJSE_SE_EEES9_SG_JZNS1_25segmented_radix_sort_implINS0_14default_configELb0EPKdPdPKlPlN2at6native12_GLOBAL__N_18offset_tEEE10hipError_tPvRmT1_PNSt15iterator_traitsISY_E10value_typeET2_T3_PNSZ_IS14_E10value_typeET4_jRbjT5_S1A_jjP12ihipStream_tbEUljE_EEESV_SW_SX_S14_S18_S1A_T6_T7_T9_mT8_S1C_bDpT10_ENKUlT_T0_E_clISt17integral_constantIbLb1EES1O_IbLb0EEEEDaS1K_S1L_EUlS1K_E_NS1_11comp_targetILNS1_3genE4ELNS1_11target_archE910ELNS1_3gpuE8ELNS1_3repE0EEENS1_30default_config_static_selectorELNS0_4arch9wavefront6targetE0EEEvSY_
                                        ; -- End function
	.set _ZN7rocprim17ROCPRIM_400000_NS6detail17trampoline_kernelINS0_13select_configILj256ELj13ELNS0_17block_load_methodE3ELS4_3ELS4_3ELNS0_20block_scan_algorithmE0ELj4294967295EEENS1_25partition_config_selectorILNS1_17partition_subalgoE3EjNS0_10empty_typeEbEEZZNS1_14partition_implILS8_3ELb0ES6_jNS0_17counting_iteratorIjlEEPS9_SE_NS0_5tupleIJPjSE_EEENSF_IJSE_SE_EEES9_SG_JZNS1_25segmented_radix_sort_implINS0_14default_configELb0EPKdPdPKlPlN2at6native12_GLOBAL__N_18offset_tEEE10hipError_tPvRmT1_PNSt15iterator_traitsISY_E10value_typeET2_T3_PNSZ_IS14_E10value_typeET4_jRbjT5_S1A_jjP12ihipStream_tbEUljE_EEESV_SW_SX_S14_S18_S1A_T6_T7_T9_mT8_S1C_bDpT10_ENKUlT_T0_E_clISt17integral_constantIbLb1EES1O_IbLb0EEEEDaS1K_S1L_EUlS1K_E_NS1_11comp_targetILNS1_3genE4ELNS1_11target_archE910ELNS1_3gpuE8ELNS1_3repE0EEENS1_30default_config_static_selectorELNS0_4arch9wavefront6targetE0EEEvSY_.num_vgpr, 0
	.set _ZN7rocprim17ROCPRIM_400000_NS6detail17trampoline_kernelINS0_13select_configILj256ELj13ELNS0_17block_load_methodE3ELS4_3ELS4_3ELNS0_20block_scan_algorithmE0ELj4294967295EEENS1_25partition_config_selectorILNS1_17partition_subalgoE3EjNS0_10empty_typeEbEEZZNS1_14partition_implILS8_3ELb0ES6_jNS0_17counting_iteratorIjlEEPS9_SE_NS0_5tupleIJPjSE_EEENSF_IJSE_SE_EEES9_SG_JZNS1_25segmented_radix_sort_implINS0_14default_configELb0EPKdPdPKlPlN2at6native12_GLOBAL__N_18offset_tEEE10hipError_tPvRmT1_PNSt15iterator_traitsISY_E10value_typeET2_T3_PNSZ_IS14_E10value_typeET4_jRbjT5_S1A_jjP12ihipStream_tbEUljE_EEESV_SW_SX_S14_S18_S1A_T6_T7_T9_mT8_S1C_bDpT10_ENKUlT_T0_E_clISt17integral_constantIbLb1EES1O_IbLb0EEEEDaS1K_S1L_EUlS1K_E_NS1_11comp_targetILNS1_3genE4ELNS1_11target_archE910ELNS1_3gpuE8ELNS1_3repE0EEENS1_30default_config_static_selectorELNS0_4arch9wavefront6targetE0EEEvSY_.num_agpr, 0
	.set _ZN7rocprim17ROCPRIM_400000_NS6detail17trampoline_kernelINS0_13select_configILj256ELj13ELNS0_17block_load_methodE3ELS4_3ELS4_3ELNS0_20block_scan_algorithmE0ELj4294967295EEENS1_25partition_config_selectorILNS1_17partition_subalgoE3EjNS0_10empty_typeEbEEZZNS1_14partition_implILS8_3ELb0ES6_jNS0_17counting_iteratorIjlEEPS9_SE_NS0_5tupleIJPjSE_EEENSF_IJSE_SE_EEES9_SG_JZNS1_25segmented_radix_sort_implINS0_14default_configELb0EPKdPdPKlPlN2at6native12_GLOBAL__N_18offset_tEEE10hipError_tPvRmT1_PNSt15iterator_traitsISY_E10value_typeET2_T3_PNSZ_IS14_E10value_typeET4_jRbjT5_S1A_jjP12ihipStream_tbEUljE_EEESV_SW_SX_S14_S18_S1A_T6_T7_T9_mT8_S1C_bDpT10_ENKUlT_T0_E_clISt17integral_constantIbLb1EES1O_IbLb0EEEEDaS1K_S1L_EUlS1K_E_NS1_11comp_targetILNS1_3genE4ELNS1_11target_archE910ELNS1_3gpuE8ELNS1_3repE0EEENS1_30default_config_static_selectorELNS0_4arch9wavefront6targetE0EEEvSY_.numbered_sgpr, 0
	.set _ZN7rocprim17ROCPRIM_400000_NS6detail17trampoline_kernelINS0_13select_configILj256ELj13ELNS0_17block_load_methodE3ELS4_3ELS4_3ELNS0_20block_scan_algorithmE0ELj4294967295EEENS1_25partition_config_selectorILNS1_17partition_subalgoE3EjNS0_10empty_typeEbEEZZNS1_14partition_implILS8_3ELb0ES6_jNS0_17counting_iteratorIjlEEPS9_SE_NS0_5tupleIJPjSE_EEENSF_IJSE_SE_EEES9_SG_JZNS1_25segmented_radix_sort_implINS0_14default_configELb0EPKdPdPKlPlN2at6native12_GLOBAL__N_18offset_tEEE10hipError_tPvRmT1_PNSt15iterator_traitsISY_E10value_typeET2_T3_PNSZ_IS14_E10value_typeET4_jRbjT5_S1A_jjP12ihipStream_tbEUljE_EEESV_SW_SX_S14_S18_S1A_T6_T7_T9_mT8_S1C_bDpT10_ENKUlT_T0_E_clISt17integral_constantIbLb1EES1O_IbLb0EEEEDaS1K_S1L_EUlS1K_E_NS1_11comp_targetILNS1_3genE4ELNS1_11target_archE910ELNS1_3gpuE8ELNS1_3repE0EEENS1_30default_config_static_selectorELNS0_4arch9wavefront6targetE0EEEvSY_.num_named_barrier, 0
	.set _ZN7rocprim17ROCPRIM_400000_NS6detail17trampoline_kernelINS0_13select_configILj256ELj13ELNS0_17block_load_methodE3ELS4_3ELS4_3ELNS0_20block_scan_algorithmE0ELj4294967295EEENS1_25partition_config_selectorILNS1_17partition_subalgoE3EjNS0_10empty_typeEbEEZZNS1_14partition_implILS8_3ELb0ES6_jNS0_17counting_iteratorIjlEEPS9_SE_NS0_5tupleIJPjSE_EEENSF_IJSE_SE_EEES9_SG_JZNS1_25segmented_radix_sort_implINS0_14default_configELb0EPKdPdPKlPlN2at6native12_GLOBAL__N_18offset_tEEE10hipError_tPvRmT1_PNSt15iterator_traitsISY_E10value_typeET2_T3_PNSZ_IS14_E10value_typeET4_jRbjT5_S1A_jjP12ihipStream_tbEUljE_EEESV_SW_SX_S14_S18_S1A_T6_T7_T9_mT8_S1C_bDpT10_ENKUlT_T0_E_clISt17integral_constantIbLb1EES1O_IbLb0EEEEDaS1K_S1L_EUlS1K_E_NS1_11comp_targetILNS1_3genE4ELNS1_11target_archE910ELNS1_3gpuE8ELNS1_3repE0EEENS1_30default_config_static_selectorELNS0_4arch9wavefront6targetE0EEEvSY_.private_seg_size, 0
	.set _ZN7rocprim17ROCPRIM_400000_NS6detail17trampoline_kernelINS0_13select_configILj256ELj13ELNS0_17block_load_methodE3ELS4_3ELS4_3ELNS0_20block_scan_algorithmE0ELj4294967295EEENS1_25partition_config_selectorILNS1_17partition_subalgoE3EjNS0_10empty_typeEbEEZZNS1_14partition_implILS8_3ELb0ES6_jNS0_17counting_iteratorIjlEEPS9_SE_NS0_5tupleIJPjSE_EEENSF_IJSE_SE_EEES9_SG_JZNS1_25segmented_radix_sort_implINS0_14default_configELb0EPKdPdPKlPlN2at6native12_GLOBAL__N_18offset_tEEE10hipError_tPvRmT1_PNSt15iterator_traitsISY_E10value_typeET2_T3_PNSZ_IS14_E10value_typeET4_jRbjT5_S1A_jjP12ihipStream_tbEUljE_EEESV_SW_SX_S14_S18_S1A_T6_T7_T9_mT8_S1C_bDpT10_ENKUlT_T0_E_clISt17integral_constantIbLb1EES1O_IbLb0EEEEDaS1K_S1L_EUlS1K_E_NS1_11comp_targetILNS1_3genE4ELNS1_11target_archE910ELNS1_3gpuE8ELNS1_3repE0EEENS1_30default_config_static_selectorELNS0_4arch9wavefront6targetE0EEEvSY_.uses_vcc, 0
	.set _ZN7rocprim17ROCPRIM_400000_NS6detail17trampoline_kernelINS0_13select_configILj256ELj13ELNS0_17block_load_methodE3ELS4_3ELS4_3ELNS0_20block_scan_algorithmE0ELj4294967295EEENS1_25partition_config_selectorILNS1_17partition_subalgoE3EjNS0_10empty_typeEbEEZZNS1_14partition_implILS8_3ELb0ES6_jNS0_17counting_iteratorIjlEEPS9_SE_NS0_5tupleIJPjSE_EEENSF_IJSE_SE_EEES9_SG_JZNS1_25segmented_radix_sort_implINS0_14default_configELb0EPKdPdPKlPlN2at6native12_GLOBAL__N_18offset_tEEE10hipError_tPvRmT1_PNSt15iterator_traitsISY_E10value_typeET2_T3_PNSZ_IS14_E10value_typeET4_jRbjT5_S1A_jjP12ihipStream_tbEUljE_EEESV_SW_SX_S14_S18_S1A_T6_T7_T9_mT8_S1C_bDpT10_ENKUlT_T0_E_clISt17integral_constantIbLb1EES1O_IbLb0EEEEDaS1K_S1L_EUlS1K_E_NS1_11comp_targetILNS1_3genE4ELNS1_11target_archE910ELNS1_3gpuE8ELNS1_3repE0EEENS1_30default_config_static_selectorELNS0_4arch9wavefront6targetE0EEEvSY_.uses_flat_scratch, 0
	.set _ZN7rocprim17ROCPRIM_400000_NS6detail17trampoline_kernelINS0_13select_configILj256ELj13ELNS0_17block_load_methodE3ELS4_3ELS4_3ELNS0_20block_scan_algorithmE0ELj4294967295EEENS1_25partition_config_selectorILNS1_17partition_subalgoE3EjNS0_10empty_typeEbEEZZNS1_14partition_implILS8_3ELb0ES6_jNS0_17counting_iteratorIjlEEPS9_SE_NS0_5tupleIJPjSE_EEENSF_IJSE_SE_EEES9_SG_JZNS1_25segmented_radix_sort_implINS0_14default_configELb0EPKdPdPKlPlN2at6native12_GLOBAL__N_18offset_tEEE10hipError_tPvRmT1_PNSt15iterator_traitsISY_E10value_typeET2_T3_PNSZ_IS14_E10value_typeET4_jRbjT5_S1A_jjP12ihipStream_tbEUljE_EEESV_SW_SX_S14_S18_S1A_T6_T7_T9_mT8_S1C_bDpT10_ENKUlT_T0_E_clISt17integral_constantIbLb1EES1O_IbLb0EEEEDaS1K_S1L_EUlS1K_E_NS1_11comp_targetILNS1_3genE4ELNS1_11target_archE910ELNS1_3gpuE8ELNS1_3repE0EEENS1_30default_config_static_selectorELNS0_4arch9wavefront6targetE0EEEvSY_.has_dyn_sized_stack, 0
	.set _ZN7rocprim17ROCPRIM_400000_NS6detail17trampoline_kernelINS0_13select_configILj256ELj13ELNS0_17block_load_methodE3ELS4_3ELS4_3ELNS0_20block_scan_algorithmE0ELj4294967295EEENS1_25partition_config_selectorILNS1_17partition_subalgoE3EjNS0_10empty_typeEbEEZZNS1_14partition_implILS8_3ELb0ES6_jNS0_17counting_iteratorIjlEEPS9_SE_NS0_5tupleIJPjSE_EEENSF_IJSE_SE_EEES9_SG_JZNS1_25segmented_radix_sort_implINS0_14default_configELb0EPKdPdPKlPlN2at6native12_GLOBAL__N_18offset_tEEE10hipError_tPvRmT1_PNSt15iterator_traitsISY_E10value_typeET2_T3_PNSZ_IS14_E10value_typeET4_jRbjT5_S1A_jjP12ihipStream_tbEUljE_EEESV_SW_SX_S14_S18_S1A_T6_T7_T9_mT8_S1C_bDpT10_ENKUlT_T0_E_clISt17integral_constantIbLb1EES1O_IbLb0EEEEDaS1K_S1L_EUlS1K_E_NS1_11comp_targetILNS1_3genE4ELNS1_11target_archE910ELNS1_3gpuE8ELNS1_3repE0EEENS1_30default_config_static_selectorELNS0_4arch9wavefront6targetE0EEEvSY_.has_recursion, 0
	.set _ZN7rocprim17ROCPRIM_400000_NS6detail17trampoline_kernelINS0_13select_configILj256ELj13ELNS0_17block_load_methodE3ELS4_3ELS4_3ELNS0_20block_scan_algorithmE0ELj4294967295EEENS1_25partition_config_selectorILNS1_17partition_subalgoE3EjNS0_10empty_typeEbEEZZNS1_14partition_implILS8_3ELb0ES6_jNS0_17counting_iteratorIjlEEPS9_SE_NS0_5tupleIJPjSE_EEENSF_IJSE_SE_EEES9_SG_JZNS1_25segmented_radix_sort_implINS0_14default_configELb0EPKdPdPKlPlN2at6native12_GLOBAL__N_18offset_tEEE10hipError_tPvRmT1_PNSt15iterator_traitsISY_E10value_typeET2_T3_PNSZ_IS14_E10value_typeET4_jRbjT5_S1A_jjP12ihipStream_tbEUljE_EEESV_SW_SX_S14_S18_S1A_T6_T7_T9_mT8_S1C_bDpT10_ENKUlT_T0_E_clISt17integral_constantIbLb1EES1O_IbLb0EEEEDaS1K_S1L_EUlS1K_E_NS1_11comp_targetILNS1_3genE4ELNS1_11target_archE910ELNS1_3gpuE8ELNS1_3repE0EEENS1_30default_config_static_selectorELNS0_4arch9wavefront6targetE0EEEvSY_.has_indirect_call, 0
	.section	.AMDGPU.csdata,"",@progbits
; Kernel info:
; codeLenInByte = 0
; TotalNumSgprs: 0
; NumVgprs: 0
; ScratchSize: 0
; MemoryBound: 0
; FloatMode: 240
; IeeeMode: 1
; LDSByteSize: 0 bytes/workgroup (compile time only)
; SGPRBlocks: 0
; VGPRBlocks: 0
; NumSGPRsForWavesPerEU: 1
; NumVGPRsForWavesPerEU: 1
; NamedBarCnt: 0
; Occupancy: 16
; WaveLimiterHint : 0
; COMPUTE_PGM_RSRC2:SCRATCH_EN: 0
; COMPUTE_PGM_RSRC2:USER_SGPR: 2
; COMPUTE_PGM_RSRC2:TRAP_HANDLER: 0
; COMPUTE_PGM_RSRC2:TGID_X_EN: 1
; COMPUTE_PGM_RSRC2:TGID_Y_EN: 0
; COMPUTE_PGM_RSRC2:TGID_Z_EN: 0
; COMPUTE_PGM_RSRC2:TIDIG_COMP_CNT: 0
	.section	.text._ZN7rocprim17ROCPRIM_400000_NS6detail17trampoline_kernelINS0_13select_configILj256ELj13ELNS0_17block_load_methodE3ELS4_3ELS4_3ELNS0_20block_scan_algorithmE0ELj4294967295EEENS1_25partition_config_selectorILNS1_17partition_subalgoE3EjNS0_10empty_typeEbEEZZNS1_14partition_implILS8_3ELb0ES6_jNS0_17counting_iteratorIjlEEPS9_SE_NS0_5tupleIJPjSE_EEENSF_IJSE_SE_EEES9_SG_JZNS1_25segmented_radix_sort_implINS0_14default_configELb0EPKdPdPKlPlN2at6native12_GLOBAL__N_18offset_tEEE10hipError_tPvRmT1_PNSt15iterator_traitsISY_E10value_typeET2_T3_PNSZ_IS14_E10value_typeET4_jRbjT5_S1A_jjP12ihipStream_tbEUljE_EEESV_SW_SX_S14_S18_S1A_T6_T7_T9_mT8_S1C_bDpT10_ENKUlT_T0_E_clISt17integral_constantIbLb1EES1O_IbLb0EEEEDaS1K_S1L_EUlS1K_E_NS1_11comp_targetILNS1_3genE3ELNS1_11target_archE908ELNS1_3gpuE7ELNS1_3repE0EEENS1_30default_config_static_selectorELNS0_4arch9wavefront6targetE0EEEvSY_,"axG",@progbits,_ZN7rocprim17ROCPRIM_400000_NS6detail17trampoline_kernelINS0_13select_configILj256ELj13ELNS0_17block_load_methodE3ELS4_3ELS4_3ELNS0_20block_scan_algorithmE0ELj4294967295EEENS1_25partition_config_selectorILNS1_17partition_subalgoE3EjNS0_10empty_typeEbEEZZNS1_14partition_implILS8_3ELb0ES6_jNS0_17counting_iteratorIjlEEPS9_SE_NS0_5tupleIJPjSE_EEENSF_IJSE_SE_EEES9_SG_JZNS1_25segmented_radix_sort_implINS0_14default_configELb0EPKdPdPKlPlN2at6native12_GLOBAL__N_18offset_tEEE10hipError_tPvRmT1_PNSt15iterator_traitsISY_E10value_typeET2_T3_PNSZ_IS14_E10value_typeET4_jRbjT5_S1A_jjP12ihipStream_tbEUljE_EEESV_SW_SX_S14_S18_S1A_T6_T7_T9_mT8_S1C_bDpT10_ENKUlT_T0_E_clISt17integral_constantIbLb1EES1O_IbLb0EEEEDaS1K_S1L_EUlS1K_E_NS1_11comp_targetILNS1_3genE3ELNS1_11target_archE908ELNS1_3gpuE7ELNS1_3repE0EEENS1_30default_config_static_selectorELNS0_4arch9wavefront6targetE0EEEvSY_,comdat
	.globl	_ZN7rocprim17ROCPRIM_400000_NS6detail17trampoline_kernelINS0_13select_configILj256ELj13ELNS0_17block_load_methodE3ELS4_3ELS4_3ELNS0_20block_scan_algorithmE0ELj4294967295EEENS1_25partition_config_selectorILNS1_17partition_subalgoE3EjNS0_10empty_typeEbEEZZNS1_14partition_implILS8_3ELb0ES6_jNS0_17counting_iteratorIjlEEPS9_SE_NS0_5tupleIJPjSE_EEENSF_IJSE_SE_EEES9_SG_JZNS1_25segmented_radix_sort_implINS0_14default_configELb0EPKdPdPKlPlN2at6native12_GLOBAL__N_18offset_tEEE10hipError_tPvRmT1_PNSt15iterator_traitsISY_E10value_typeET2_T3_PNSZ_IS14_E10value_typeET4_jRbjT5_S1A_jjP12ihipStream_tbEUljE_EEESV_SW_SX_S14_S18_S1A_T6_T7_T9_mT8_S1C_bDpT10_ENKUlT_T0_E_clISt17integral_constantIbLb1EES1O_IbLb0EEEEDaS1K_S1L_EUlS1K_E_NS1_11comp_targetILNS1_3genE3ELNS1_11target_archE908ELNS1_3gpuE7ELNS1_3repE0EEENS1_30default_config_static_selectorELNS0_4arch9wavefront6targetE0EEEvSY_ ; -- Begin function _ZN7rocprim17ROCPRIM_400000_NS6detail17trampoline_kernelINS0_13select_configILj256ELj13ELNS0_17block_load_methodE3ELS4_3ELS4_3ELNS0_20block_scan_algorithmE0ELj4294967295EEENS1_25partition_config_selectorILNS1_17partition_subalgoE3EjNS0_10empty_typeEbEEZZNS1_14partition_implILS8_3ELb0ES6_jNS0_17counting_iteratorIjlEEPS9_SE_NS0_5tupleIJPjSE_EEENSF_IJSE_SE_EEES9_SG_JZNS1_25segmented_radix_sort_implINS0_14default_configELb0EPKdPdPKlPlN2at6native12_GLOBAL__N_18offset_tEEE10hipError_tPvRmT1_PNSt15iterator_traitsISY_E10value_typeET2_T3_PNSZ_IS14_E10value_typeET4_jRbjT5_S1A_jjP12ihipStream_tbEUljE_EEESV_SW_SX_S14_S18_S1A_T6_T7_T9_mT8_S1C_bDpT10_ENKUlT_T0_E_clISt17integral_constantIbLb1EES1O_IbLb0EEEEDaS1K_S1L_EUlS1K_E_NS1_11comp_targetILNS1_3genE3ELNS1_11target_archE908ELNS1_3gpuE7ELNS1_3repE0EEENS1_30default_config_static_selectorELNS0_4arch9wavefront6targetE0EEEvSY_
	.p2align	8
	.type	_ZN7rocprim17ROCPRIM_400000_NS6detail17trampoline_kernelINS0_13select_configILj256ELj13ELNS0_17block_load_methodE3ELS4_3ELS4_3ELNS0_20block_scan_algorithmE0ELj4294967295EEENS1_25partition_config_selectorILNS1_17partition_subalgoE3EjNS0_10empty_typeEbEEZZNS1_14partition_implILS8_3ELb0ES6_jNS0_17counting_iteratorIjlEEPS9_SE_NS0_5tupleIJPjSE_EEENSF_IJSE_SE_EEES9_SG_JZNS1_25segmented_radix_sort_implINS0_14default_configELb0EPKdPdPKlPlN2at6native12_GLOBAL__N_18offset_tEEE10hipError_tPvRmT1_PNSt15iterator_traitsISY_E10value_typeET2_T3_PNSZ_IS14_E10value_typeET4_jRbjT5_S1A_jjP12ihipStream_tbEUljE_EEESV_SW_SX_S14_S18_S1A_T6_T7_T9_mT8_S1C_bDpT10_ENKUlT_T0_E_clISt17integral_constantIbLb1EES1O_IbLb0EEEEDaS1K_S1L_EUlS1K_E_NS1_11comp_targetILNS1_3genE3ELNS1_11target_archE908ELNS1_3gpuE7ELNS1_3repE0EEENS1_30default_config_static_selectorELNS0_4arch9wavefront6targetE0EEEvSY_,@function
_ZN7rocprim17ROCPRIM_400000_NS6detail17trampoline_kernelINS0_13select_configILj256ELj13ELNS0_17block_load_methodE3ELS4_3ELS4_3ELNS0_20block_scan_algorithmE0ELj4294967295EEENS1_25partition_config_selectorILNS1_17partition_subalgoE3EjNS0_10empty_typeEbEEZZNS1_14partition_implILS8_3ELb0ES6_jNS0_17counting_iteratorIjlEEPS9_SE_NS0_5tupleIJPjSE_EEENSF_IJSE_SE_EEES9_SG_JZNS1_25segmented_radix_sort_implINS0_14default_configELb0EPKdPdPKlPlN2at6native12_GLOBAL__N_18offset_tEEE10hipError_tPvRmT1_PNSt15iterator_traitsISY_E10value_typeET2_T3_PNSZ_IS14_E10value_typeET4_jRbjT5_S1A_jjP12ihipStream_tbEUljE_EEESV_SW_SX_S14_S18_S1A_T6_T7_T9_mT8_S1C_bDpT10_ENKUlT_T0_E_clISt17integral_constantIbLb1EES1O_IbLb0EEEEDaS1K_S1L_EUlS1K_E_NS1_11comp_targetILNS1_3genE3ELNS1_11target_archE908ELNS1_3gpuE7ELNS1_3repE0EEENS1_30default_config_static_selectorELNS0_4arch9wavefront6targetE0EEEvSY_: ; @_ZN7rocprim17ROCPRIM_400000_NS6detail17trampoline_kernelINS0_13select_configILj256ELj13ELNS0_17block_load_methodE3ELS4_3ELS4_3ELNS0_20block_scan_algorithmE0ELj4294967295EEENS1_25partition_config_selectorILNS1_17partition_subalgoE3EjNS0_10empty_typeEbEEZZNS1_14partition_implILS8_3ELb0ES6_jNS0_17counting_iteratorIjlEEPS9_SE_NS0_5tupleIJPjSE_EEENSF_IJSE_SE_EEES9_SG_JZNS1_25segmented_radix_sort_implINS0_14default_configELb0EPKdPdPKlPlN2at6native12_GLOBAL__N_18offset_tEEE10hipError_tPvRmT1_PNSt15iterator_traitsISY_E10value_typeET2_T3_PNSZ_IS14_E10value_typeET4_jRbjT5_S1A_jjP12ihipStream_tbEUljE_EEESV_SW_SX_S14_S18_S1A_T6_T7_T9_mT8_S1C_bDpT10_ENKUlT_T0_E_clISt17integral_constantIbLb1EES1O_IbLb0EEEEDaS1K_S1L_EUlS1K_E_NS1_11comp_targetILNS1_3genE3ELNS1_11target_archE908ELNS1_3gpuE7ELNS1_3repE0EEENS1_30default_config_static_selectorELNS0_4arch9wavefront6targetE0EEEvSY_
; %bb.0:
	.section	.rodata,"a",@progbits
	.p2align	6, 0x0
	.amdhsa_kernel _ZN7rocprim17ROCPRIM_400000_NS6detail17trampoline_kernelINS0_13select_configILj256ELj13ELNS0_17block_load_methodE3ELS4_3ELS4_3ELNS0_20block_scan_algorithmE0ELj4294967295EEENS1_25partition_config_selectorILNS1_17partition_subalgoE3EjNS0_10empty_typeEbEEZZNS1_14partition_implILS8_3ELb0ES6_jNS0_17counting_iteratorIjlEEPS9_SE_NS0_5tupleIJPjSE_EEENSF_IJSE_SE_EEES9_SG_JZNS1_25segmented_radix_sort_implINS0_14default_configELb0EPKdPdPKlPlN2at6native12_GLOBAL__N_18offset_tEEE10hipError_tPvRmT1_PNSt15iterator_traitsISY_E10value_typeET2_T3_PNSZ_IS14_E10value_typeET4_jRbjT5_S1A_jjP12ihipStream_tbEUljE_EEESV_SW_SX_S14_S18_S1A_T6_T7_T9_mT8_S1C_bDpT10_ENKUlT_T0_E_clISt17integral_constantIbLb1EES1O_IbLb0EEEEDaS1K_S1L_EUlS1K_E_NS1_11comp_targetILNS1_3genE3ELNS1_11target_archE908ELNS1_3gpuE7ELNS1_3repE0EEENS1_30default_config_static_selectorELNS0_4arch9wavefront6targetE0EEEvSY_
		.amdhsa_group_segment_fixed_size 0
		.amdhsa_private_segment_fixed_size 0
		.amdhsa_kernarg_size 144
		.amdhsa_user_sgpr_count 2
		.amdhsa_user_sgpr_dispatch_ptr 0
		.amdhsa_user_sgpr_queue_ptr 0
		.amdhsa_user_sgpr_kernarg_segment_ptr 1
		.amdhsa_user_sgpr_dispatch_id 0
		.amdhsa_user_sgpr_kernarg_preload_length 0
		.amdhsa_user_sgpr_kernarg_preload_offset 0
		.amdhsa_user_sgpr_private_segment_size 0
		.amdhsa_wavefront_size32 1
		.amdhsa_uses_dynamic_stack 0
		.amdhsa_enable_private_segment 0
		.amdhsa_system_sgpr_workgroup_id_x 1
		.amdhsa_system_sgpr_workgroup_id_y 0
		.amdhsa_system_sgpr_workgroup_id_z 0
		.amdhsa_system_sgpr_workgroup_info 0
		.amdhsa_system_vgpr_workitem_id 0
		.amdhsa_next_free_vgpr 1
		.amdhsa_next_free_sgpr 1
		.amdhsa_named_barrier_count 0
		.amdhsa_reserve_vcc 0
		.amdhsa_float_round_mode_32 0
		.amdhsa_float_round_mode_16_64 0
		.amdhsa_float_denorm_mode_32 3
		.amdhsa_float_denorm_mode_16_64 3
		.amdhsa_fp16_overflow 0
		.amdhsa_memory_ordered 1
		.amdhsa_forward_progress 1
		.amdhsa_inst_pref_size 0
		.amdhsa_round_robin_scheduling 0
		.amdhsa_exception_fp_ieee_invalid_op 0
		.amdhsa_exception_fp_denorm_src 0
		.amdhsa_exception_fp_ieee_div_zero 0
		.amdhsa_exception_fp_ieee_overflow 0
		.amdhsa_exception_fp_ieee_underflow 0
		.amdhsa_exception_fp_ieee_inexact 0
		.amdhsa_exception_int_div_zero 0
	.end_amdhsa_kernel
	.section	.text._ZN7rocprim17ROCPRIM_400000_NS6detail17trampoline_kernelINS0_13select_configILj256ELj13ELNS0_17block_load_methodE3ELS4_3ELS4_3ELNS0_20block_scan_algorithmE0ELj4294967295EEENS1_25partition_config_selectorILNS1_17partition_subalgoE3EjNS0_10empty_typeEbEEZZNS1_14partition_implILS8_3ELb0ES6_jNS0_17counting_iteratorIjlEEPS9_SE_NS0_5tupleIJPjSE_EEENSF_IJSE_SE_EEES9_SG_JZNS1_25segmented_radix_sort_implINS0_14default_configELb0EPKdPdPKlPlN2at6native12_GLOBAL__N_18offset_tEEE10hipError_tPvRmT1_PNSt15iterator_traitsISY_E10value_typeET2_T3_PNSZ_IS14_E10value_typeET4_jRbjT5_S1A_jjP12ihipStream_tbEUljE_EEESV_SW_SX_S14_S18_S1A_T6_T7_T9_mT8_S1C_bDpT10_ENKUlT_T0_E_clISt17integral_constantIbLb1EES1O_IbLb0EEEEDaS1K_S1L_EUlS1K_E_NS1_11comp_targetILNS1_3genE3ELNS1_11target_archE908ELNS1_3gpuE7ELNS1_3repE0EEENS1_30default_config_static_selectorELNS0_4arch9wavefront6targetE0EEEvSY_,"axG",@progbits,_ZN7rocprim17ROCPRIM_400000_NS6detail17trampoline_kernelINS0_13select_configILj256ELj13ELNS0_17block_load_methodE3ELS4_3ELS4_3ELNS0_20block_scan_algorithmE0ELj4294967295EEENS1_25partition_config_selectorILNS1_17partition_subalgoE3EjNS0_10empty_typeEbEEZZNS1_14partition_implILS8_3ELb0ES6_jNS0_17counting_iteratorIjlEEPS9_SE_NS0_5tupleIJPjSE_EEENSF_IJSE_SE_EEES9_SG_JZNS1_25segmented_radix_sort_implINS0_14default_configELb0EPKdPdPKlPlN2at6native12_GLOBAL__N_18offset_tEEE10hipError_tPvRmT1_PNSt15iterator_traitsISY_E10value_typeET2_T3_PNSZ_IS14_E10value_typeET4_jRbjT5_S1A_jjP12ihipStream_tbEUljE_EEESV_SW_SX_S14_S18_S1A_T6_T7_T9_mT8_S1C_bDpT10_ENKUlT_T0_E_clISt17integral_constantIbLb1EES1O_IbLb0EEEEDaS1K_S1L_EUlS1K_E_NS1_11comp_targetILNS1_3genE3ELNS1_11target_archE908ELNS1_3gpuE7ELNS1_3repE0EEENS1_30default_config_static_selectorELNS0_4arch9wavefront6targetE0EEEvSY_,comdat
.Lfunc_end1202:
	.size	_ZN7rocprim17ROCPRIM_400000_NS6detail17trampoline_kernelINS0_13select_configILj256ELj13ELNS0_17block_load_methodE3ELS4_3ELS4_3ELNS0_20block_scan_algorithmE0ELj4294967295EEENS1_25partition_config_selectorILNS1_17partition_subalgoE3EjNS0_10empty_typeEbEEZZNS1_14partition_implILS8_3ELb0ES6_jNS0_17counting_iteratorIjlEEPS9_SE_NS0_5tupleIJPjSE_EEENSF_IJSE_SE_EEES9_SG_JZNS1_25segmented_radix_sort_implINS0_14default_configELb0EPKdPdPKlPlN2at6native12_GLOBAL__N_18offset_tEEE10hipError_tPvRmT1_PNSt15iterator_traitsISY_E10value_typeET2_T3_PNSZ_IS14_E10value_typeET4_jRbjT5_S1A_jjP12ihipStream_tbEUljE_EEESV_SW_SX_S14_S18_S1A_T6_T7_T9_mT8_S1C_bDpT10_ENKUlT_T0_E_clISt17integral_constantIbLb1EES1O_IbLb0EEEEDaS1K_S1L_EUlS1K_E_NS1_11comp_targetILNS1_3genE3ELNS1_11target_archE908ELNS1_3gpuE7ELNS1_3repE0EEENS1_30default_config_static_selectorELNS0_4arch9wavefront6targetE0EEEvSY_, .Lfunc_end1202-_ZN7rocprim17ROCPRIM_400000_NS6detail17trampoline_kernelINS0_13select_configILj256ELj13ELNS0_17block_load_methodE3ELS4_3ELS4_3ELNS0_20block_scan_algorithmE0ELj4294967295EEENS1_25partition_config_selectorILNS1_17partition_subalgoE3EjNS0_10empty_typeEbEEZZNS1_14partition_implILS8_3ELb0ES6_jNS0_17counting_iteratorIjlEEPS9_SE_NS0_5tupleIJPjSE_EEENSF_IJSE_SE_EEES9_SG_JZNS1_25segmented_radix_sort_implINS0_14default_configELb0EPKdPdPKlPlN2at6native12_GLOBAL__N_18offset_tEEE10hipError_tPvRmT1_PNSt15iterator_traitsISY_E10value_typeET2_T3_PNSZ_IS14_E10value_typeET4_jRbjT5_S1A_jjP12ihipStream_tbEUljE_EEESV_SW_SX_S14_S18_S1A_T6_T7_T9_mT8_S1C_bDpT10_ENKUlT_T0_E_clISt17integral_constantIbLb1EES1O_IbLb0EEEEDaS1K_S1L_EUlS1K_E_NS1_11comp_targetILNS1_3genE3ELNS1_11target_archE908ELNS1_3gpuE7ELNS1_3repE0EEENS1_30default_config_static_selectorELNS0_4arch9wavefront6targetE0EEEvSY_
                                        ; -- End function
	.set _ZN7rocprim17ROCPRIM_400000_NS6detail17trampoline_kernelINS0_13select_configILj256ELj13ELNS0_17block_load_methodE3ELS4_3ELS4_3ELNS0_20block_scan_algorithmE0ELj4294967295EEENS1_25partition_config_selectorILNS1_17partition_subalgoE3EjNS0_10empty_typeEbEEZZNS1_14partition_implILS8_3ELb0ES6_jNS0_17counting_iteratorIjlEEPS9_SE_NS0_5tupleIJPjSE_EEENSF_IJSE_SE_EEES9_SG_JZNS1_25segmented_radix_sort_implINS0_14default_configELb0EPKdPdPKlPlN2at6native12_GLOBAL__N_18offset_tEEE10hipError_tPvRmT1_PNSt15iterator_traitsISY_E10value_typeET2_T3_PNSZ_IS14_E10value_typeET4_jRbjT5_S1A_jjP12ihipStream_tbEUljE_EEESV_SW_SX_S14_S18_S1A_T6_T7_T9_mT8_S1C_bDpT10_ENKUlT_T0_E_clISt17integral_constantIbLb1EES1O_IbLb0EEEEDaS1K_S1L_EUlS1K_E_NS1_11comp_targetILNS1_3genE3ELNS1_11target_archE908ELNS1_3gpuE7ELNS1_3repE0EEENS1_30default_config_static_selectorELNS0_4arch9wavefront6targetE0EEEvSY_.num_vgpr, 0
	.set _ZN7rocprim17ROCPRIM_400000_NS6detail17trampoline_kernelINS0_13select_configILj256ELj13ELNS0_17block_load_methodE3ELS4_3ELS4_3ELNS0_20block_scan_algorithmE0ELj4294967295EEENS1_25partition_config_selectorILNS1_17partition_subalgoE3EjNS0_10empty_typeEbEEZZNS1_14partition_implILS8_3ELb0ES6_jNS0_17counting_iteratorIjlEEPS9_SE_NS0_5tupleIJPjSE_EEENSF_IJSE_SE_EEES9_SG_JZNS1_25segmented_radix_sort_implINS0_14default_configELb0EPKdPdPKlPlN2at6native12_GLOBAL__N_18offset_tEEE10hipError_tPvRmT1_PNSt15iterator_traitsISY_E10value_typeET2_T3_PNSZ_IS14_E10value_typeET4_jRbjT5_S1A_jjP12ihipStream_tbEUljE_EEESV_SW_SX_S14_S18_S1A_T6_T7_T9_mT8_S1C_bDpT10_ENKUlT_T0_E_clISt17integral_constantIbLb1EES1O_IbLb0EEEEDaS1K_S1L_EUlS1K_E_NS1_11comp_targetILNS1_3genE3ELNS1_11target_archE908ELNS1_3gpuE7ELNS1_3repE0EEENS1_30default_config_static_selectorELNS0_4arch9wavefront6targetE0EEEvSY_.num_agpr, 0
	.set _ZN7rocprim17ROCPRIM_400000_NS6detail17trampoline_kernelINS0_13select_configILj256ELj13ELNS0_17block_load_methodE3ELS4_3ELS4_3ELNS0_20block_scan_algorithmE0ELj4294967295EEENS1_25partition_config_selectorILNS1_17partition_subalgoE3EjNS0_10empty_typeEbEEZZNS1_14partition_implILS8_3ELb0ES6_jNS0_17counting_iteratorIjlEEPS9_SE_NS0_5tupleIJPjSE_EEENSF_IJSE_SE_EEES9_SG_JZNS1_25segmented_radix_sort_implINS0_14default_configELb0EPKdPdPKlPlN2at6native12_GLOBAL__N_18offset_tEEE10hipError_tPvRmT1_PNSt15iterator_traitsISY_E10value_typeET2_T3_PNSZ_IS14_E10value_typeET4_jRbjT5_S1A_jjP12ihipStream_tbEUljE_EEESV_SW_SX_S14_S18_S1A_T6_T7_T9_mT8_S1C_bDpT10_ENKUlT_T0_E_clISt17integral_constantIbLb1EES1O_IbLb0EEEEDaS1K_S1L_EUlS1K_E_NS1_11comp_targetILNS1_3genE3ELNS1_11target_archE908ELNS1_3gpuE7ELNS1_3repE0EEENS1_30default_config_static_selectorELNS0_4arch9wavefront6targetE0EEEvSY_.numbered_sgpr, 0
	.set _ZN7rocprim17ROCPRIM_400000_NS6detail17trampoline_kernelINS0_13select_configILj256ELj13ELNS0_17block_load_methodE3ELS4_3ELS4_3ELNS0_20block_scan_algorithmE0ELj4294967295EEENS1_25partition_config_selectorILNS1_17partition_subalgoE3EjNS0_10empty_typeEbEEZZNS1_14partition_implILS8_3ELb0ES6_jNS0_17counting_iteratorIjlEEPS9_SE_NS0_5tupleIJPjSE_EEENSF_IJSE_SE_EEES9_SG_JZNS1_25segmented_radix_sort_implINS0_14default_configELb0EPKdPdPKlPlN2at6native12_GLOBAL__N_18offset_tEEE10hipError_tPvRmT1_PNSt15iterator_traitsISY_E10value_typeET2_T3_PNSZ_IS14_E10value_typeET4_jRbjT5_S1A_jjP12ihipStream_tbEUljE_EEESV_SW_SX_S14_S18_S1A_T6_T7_T9_mT8_S1C_bDpT10_ENKUlT_T0_E_clISt17integral_constantIbLb1EES1O_IbLb0EEEEDaS1K_S1L_EUlS1K_E_NS1_11comp_targetILNS1_3genE3ELNS1_11target_archE908ELNS1_3gpuE7ELNS1_3repE0EEENS1_30default_config_static_selectorELNS0_4arch9wavefront6targetE0EEEvSY_.num_named_barrier, 0
	.set _ZN7rocprim17ROCPRIM_400000_NS6detail17trampoline_kernelINS0_13select_configILj256ELj13ELNS0_17block_load_methodE3ELS4_3ELS4_3ELNS0_20block_scan_algorithmE0ELj4294967295EEENS1_25partition_config_selectorILNS1_17partition_subalgoE3EjNS0_10empty_typeEbEEZZNS1_14partition_implILS8_3ELb0ES6_jNS0_17counting_iteratorIjlEEPS9_SE_NS0_5tupleIJPjSE_EEENSF_IJSE_SE_EEES9_SG_JZNS1_25segmented_radix_sort_implINS0_14default_configELb0EPKdPdPKlPlN2at6native12_GLOBAL__N_18offset_tEEE10hipError_tPvRmT1_PNSt15iterator_traitsISY_E10value_typeET2_T3_PNSZ_IS14_E10value_typeET4_jRbjT5_S1A_jjP12ihipStream_tbEUljE_EEESV_SW_SX_S14_S18_S1A_T6_T7_T9_mT8_S1C_bDpT10_ENKUlT_T0_E_clISt17integral_constantIbLb1EES1O_IbLb0EEEEDaS1K_S1L_EUlS1K_E_NS1_11comp_targetILNS1_3genE3ELNS1_11target_archE908ELNS1_3gpuE7ELNS1_3repE0EEENS1_30default_config_static_selectorELNS0_4arch9wavefront6targetE0EEEvSY_.private_seg_size, 0
	.set _ZN7rocprim17ROCPRIM_400000_NS6detail17trampoline_kernelINS0_13select_configILj256ELj13ELNS0_17block_load_methodE3ELS4_3ELS4_3ELNS0_20block_scan_algorithmE0ELj4294967295EEENS1_25partition_config_selectorILNS1_17partition_subalgoE3EjNS0_10empty_typeEbEEZZNS1_14partition_implILS8_3ELb0ES6_jNS0_17counting_iteratorIjlEEPS9_SE_NS0_5tupleIJPjSE_EEENSF_IJSE_SE_EEES9_SG_JZNS1_25segmented_radix_sort_implINS0_14default_configELb0EPKdPdPKlPlN2at6native12_GLOBAL__N_18offset_tEEE10hipError_tPvRmT1_PNSt15iterator_traitsISY_E10value_typeET2_T3_PNSZ_IS14_E10value_typeET4_jRbjT5_S1A_jjP12ihipStream_tbEUljE_EEESV_SW_SX_S14_S18_S1A_T6_T7_T9_mT8_S1C_bDpT10_ENKUlT_T0_E_clISt17integral_constantIbLb1EES1O_IbLb0EEEEDaS1K_S1L_EUlS1K_E_NS1_11comp_targetILNS1_3genE3ELNS1_11target_archE908ELNS1_3gpuE7ELNS1_3repE0EEENS1_30default_config_static_selectorELNS0_4arch9wavefront6targetE0EEEvSY_.uses_vcc, 0
	.set _ZN7rocprim17ROCPRIM_400000_NS6detail17trampoline_kernelINS0_13select_configILj256ELj13ELNS0_17block_load_methodE3ELS4_3ELS4_3ELNS0_20block_scan_algorithmE0ELj4294967295EEENS1_25partition_config_selectorILNS1_17partition_subalgoE3EjNS0_10empty_typeEbEEZZNS1_14partition_implILS8_3ELb0ES6_jNS0_17counting_iteratorIjlEEPS9_SE_NS0_5tupleIJPjSE_EEENSF_IJSE_SE_EEES9_SG_JZNS1_25segmented_radix_sort_implINS0_14default_configELb0EPKdPdPKlPlN2at6native12_GLOBAL__N_18offset_tEEE10hipError_tPvRmT1_PNSt15iterator_traitsISY_E10value_typeET2_T3_PNSZ_IS14_E10value_typeET4_jRbjT5_S1A_jjP12ihipStream_tbEUljE_EEESV_SW_SX_S14_S18_S1A_T6_T7_T9_mT8_S1C_bDpT10_ENKUlT_T0_E_clISt17integral_constantIbLb1EES1O_IbLb0EEEEDaS1K_S1L_EUlS1K_E_NS1_11comp_targetILNS1_3genE3ELNS1_11target_archE908ELNS1_3gpuE7ELNS1_3repE0EEENS1_30default_config_static_selectorELNS0_4arch9wavefront6targetE0EEEvSY_.uses_flat_scratch, 0
	.set _ZN7rocprim17ROCPRIM_400000_NS6detail17trampoline_kernelINS0_13select_configILj256ELj13ELNS0_17block_load_methodE3ELS4_3ELS4_3ELNS0_20block_scan_algorithmE0ELj4294967295EEENS1_25partition_config_selectorILNS1_17partition_subalgoE3EjNS0_10empty_typeEbEEZZNS1_14partition_implILS8_3ELb0ES6_jNS0_17counting_iteratorIjlEEPS9_SE_NS0_5tupleIJPjSE_EEENSF_IJSE_SE_EEES9_SG_JZNS1_25segmented_radix_sort_implINS0_14default_configELb0EPKdPdPKlPlN2at6native12_GLOBAL__N_18offset_tEEE10hipError_tPvRmT1_PNSt15iterator_traitsISY_E10value_typeET2_T3_PNSZ_IS14_E10value_typeET4_jRbjT5_S1A_jjP12ihipStream_tbEUljE_EEESV_SW_SX_S14_S18_S1A_T6_T7_T9_mT8_S1C_bDpT10_ENKUlT_T0_E_clISt17integral_constantIbLb1EES1O_IbLb0EEEEDaS1K_S1L_EUlS1K_E_NS1_11comp_targetILNS1_3genE3ELNS1_11target_archE908ELNS1_3gpuE7ELNS1_3repE0EEENS1_30default_config_static_selectorELNS0_4arch9wavefront6targetE0EEEvSY_.has_dyn_sized_stack, 0
	.set _ZN7rocprim17ROCPRIM_400000_NS6detail17trampoline_kernelINS0_13select_configILj256ELj13ELNS0_17block_load_methodE3ELS4_3ELS4_3ELNS0_20block_scan_algorithmE0ELj4294967295EEENS1_25partition_config_selectorILNS1_17partition_subalgoE3EjNS0_10empty_typeEbEEZZNS1_14partition_implILS8_3ELb0ES6_jNS0_17counting_iteratorIjlEEPS9_SE_NS0_5tupleIJPjSE_EEENSF_IJSE_SE_EEES9_SG_JZNS1_25segmented_radix_sort_implINS0_14default_configELb0EPKdPdPKlPlN2at6native12_GLOBAL__N_18offset_tEEE10hipError_tPvRmT1_PNSt15iterator_traitsISY_E10value_typeET2_T3_PNSZ_IS14_E10value_typeET4_jRbjT5_S1A_jjP12ihipStream_tbEUljE_EEESV_SW_SX_S14_S18_S1A_T6_T7_T9_mT8_S1C_bDpT10_ENKUlT_T0_E_clISt17integral_constantIbLb1EES1O_IbLb0EEEEDaS1K_S1L_EUlS1K_E_NS1_11comp_targetILNS1_3genE3ELNS1_11target_archE908ELNS1_3gpuE7ELNS1_3repE0EEENS1_30default_config_static_selectorELNS0_4arch9wavefront6targetE0EEEvSY_.has_recursion, 0
	.set _ZN7rocprim17ROCPRIM_400000_NS6detail17trampoline_kernelINS0_13select_configILj256ELj13ELNS0_17block_load_methodE3ELS4_3ELS4_3ELNS0_20block_scan_algorithmE0ELj4294967295EEENS1_25partition_config_selectorILNS1_17partition_subalgoE3EjNS0_10empty_typeEbEEZZNS1_14partition_implILS8_3ELb0ES6_jNS0_17counting_iteratorIjlEEPS9_SE_NS0_5tupleIJPjSE_EEENSF_IJSE_SE_EEES9_SG_JZNS1_25segmented_radix_sort_implINS0_14default_configELb0EPKdPdPKlPlN2at6native12_GLOBAL__N_18offset_tEEE10hipError_tPvRmT1_PNSt15iterator_traitsISY_E10value_typeET2_T3_PNSZ_IS14_E10value_typeET4_jRbjT5_S1A_jjP12ihipStream_tbEUljE_EEESV_SW_SX_S14_S18_S1A_T6_T7_T9_mT8_S1C_bDpT10_ENKUlT_T0_E_clISt17integral_constantIbLb1EES1O_IbLb0EEEEDaS1K_S1L_EUlS1K_E_NS1_11comp_targetILNS1_3genE3ELNS1_11target_archE908ELNS1_3gpuE7ELNS1_3repE0EEENS1_30default_config_static_selectorELNS0_4arch9wavefront6targetE0EEEvSY_.has_indirect_call, 0
	.section	.AMDGPU.csdata,"",@progbits
; Kernel info:
; codeLenInByte = 0
; TotalNumSgprs: 0
; NumVgprs: 0
; ScratchSize: 0
; MemoryBound: 0
; FloatMode: 240
; IeeeMode: 1
; LDSByteSize: 0 bytes/workgroup (compile time only)
; SGPRBlocks: 0
; VGPRBlocks: 0
; NumSGPRsForWavesPerEU: 1
; NumVGPRsForWavesPerEU: 1
; NamedBarCnt: 0
; Occupancy: 16
; WaveLimiterHint : 0
; COMPUTE_PGM_RSRC2:SCRATCH_EN: 0
; COMPUTE_PGM_RSRC2:USER_SGPR: 2
; COMPUTE_PGM_RSRC2:TRAP_HANDLER: 0
; COMPUTE_PGM_RSRC2:TGID_X_EN: 1
; COMPUTE_PGM_RSRC2:TGID_Y_EN: 0
; COMPUTE_PGM_RSRC2:TGID_Z_EN: 0
; COMPUTE_PGM_RSRC2:TIDIG_COMP_CNT: 0
	.section	.text._ZN7rocprim17ROCPRIM_400000_NS6detail17trampoline_kernelINS0_13select_configILj256ELj13ELNS0_17block_load_methodE3ELS4_3ELS4_3ELNS0_20block_scan_algorithmE0ELj4294967295EEENS1_25partition_config_selectorILNS1_17partition_subalgoE3EjNS0_10empty_typeEbEEZZNS1_14partition_implILS8_3ELb0ES6_jNS0_17counting_iteratorIjlEEPS9_SE_NS0_5tupleIJPjSE_EEENSF_IJSE_SE_EEES9_SG_JZNS1_25segmented_radix_sort_implINS0_14default_configELb0EPKdPdPKlPlN2at6native12_GLOBAL__N_18offset_tEEE10hipError_tPvRmT1_PNSt15iterator_traitsISY_E10value_typeET2_T3_PNSZ_IS14_E10value_typeET4_jRbjT5_S1A_jjP12ihipStream_tbEUljE_EEESV_SW_SX_S14_S18_S1A_T6_T7_T9_mT8_S1C_bDpT10_ENKUlT_T0_E_clISt17integral_constantIbLb1EES1O_IbLb0EEEEDaS1K_S1L_EUlS1K_E_NS1_11comp_targetILNS1_3genE2ELNS1_11target_archE906ELNS1_3gpuE6ELNS1_3repE0EEENS1_30default_config_static_selectorELNS0_4arch9wavefront6targetE0EEEvSY_,"axG",@progbits,_ZN7rocprim17ROCPRIM_400000_NS6detail17trampoline_kernelINS0_13select_configILj256ELj13ELNS0_17block_load_methodE3ELS4_3ELS4_3ELNS0_20block_scan_algorithmE0ELj4294967295EEENS1_25partition_config_selectorILNS1_17partition_subalgoE3EjNS0_10empty_typeEbEEZZNS1_14partition_implILS8_3ELb0ES6_jNS0_17counting_iteratorIjlEEPS9_SE_NS0_5tupleIJPjSE_EEENSF_IJSE_SE_EEES9_SG_JZNS1_25segmented_radix_sort_implINS0_14default_configELb0EPKdPdPKlPlN2at6native12_GLOBAL__N_18offset_tEEE10hipError_tPvRmT1_PNSt15iterator_traitsISY_E10value_typeET2_T3_PNSZ_IS14_E10value_typeET4_jRbjT5_S1A_jjP12ihipStream_tbEUljE_EEESV_SW_SX_S14_S18_S1A_T6_T7_T9_mT8_S1C_bDpT10_ENKUlT_T0_E_clISt17integral_constantIbLb1EES1O_IbLb0EEEEDaS1K_S1L_EUlS1K_E_NS1_11comp_targetILNS1_3genE2ELNS1_11target_archE906ELNS1_3gpuE6ELNS1_3repE0EEENS1_30default_config_static_selectorELNS0_4arch9wavefront6targetE0EEEvSY_,comdat
	.globl	_ZN7rocprim17ROCPRIM_400000_NS6detail17trampoline_kernelINS0_13select_configILj256ELj13ELNS0_17block_load_methodE3ELS4_3ELS4_3ELNS0_20block_scan_algorithmE0ELj4294967295EEENS1_25partition_config_selectorILNS1_17partition_subalgoE3EjNS0_10empty_typeEbEEZZNS1_14partition_implILS8_3ELb0ES6_jNS0_17counting_iteratorIjlEEPS9_SE_NS0_5tupleIJPjSE_EEENSF_IJSE_SE_EEES9_SG_JZNS1_25segmented_radix_sort_implINS0_14default_configELb0EPKdPdPKlPlN2at6native12_GLOBAL__N_18offset_tEEE10hipError_tPvRmT1_PNSt15iterator_traitsISY_E10value_typeET2_T3_PNSZ_IS14_E10value_typeET4_jRbjT5_S1A_jjP12ihipStream_tbEUljE_EEESV_SW_SX_S14_S18_S1A_T6_T7_T9_mT8_S1C_bDpT10_ENKUlT_T0_E_clISt17integral_constantIbLb1EES1O_IbLb0EEEEDaS1K_S1L_EUlS1K_E_NS1_11comp_targetILNS1_3genE2ELNS1_11target_archE906ELNS1_3gpuE6ELNS1_3repE0EEENS1_30default_config_static_selectorELNS0_4arch9wavefront6targetE0EEEvSY_ ; -- Begin function _ZN7rocprim17ROCPRIM_400000_NS6detail17trampoline_kernelINS0_13select_configILj256ELj13ELNS0_17block_load_methodE3ELS4_3ELS4_3ELNS0_20block_scan_algorithmE0ELj4294967295EEENS1_25partition_config_selectorILNS1_17partition_subalgoE3EjNS0_10empty_typeEbEEZZNS1_14partition_implILS8_3ELb0ES6_jNS0_17counting_iteratorIjlEEPS9_SE_NS0_5tupleIJPjSE_EEENSF_IJSE_SE_EEES9_SG_JZNS1_25segmented_radix_sort_implINS0_14default_configELb0EPKdPdPKlPlN2at6native12_GLOBAL__N_18offset_tEEE10hipError_tPvRmT1_PNSt15iterator_traitsISY_E10value_typeET2_T3_PNSZ_IS14_E10value_typeET4_jRbjT5_S1A_jjP12ihipStream_tbEUljE_EEESV_SW_SX_S14_S18_S1A_T6_T7_T9_mT8_S1C_bDpT10_ENKUlT_T0_E_clISt17integral_constantIbLb1EES1O_IbLb0EEEEDaS1K_S1L_EUlS1K_E_NS1_11comp_targetILNS1_3genE2ELNS1_11target_archE906ELNS1_3gpuE6ELNS1_3repE0EEENS1_30default_config_static_selectorELNS0_4arch9wavefront6targetE0EEEvSY_
	.p2align	8
	.type	_ZN7rocprim17ROCPRIM_400000_NS6detail17trampoline_kernelINS0_13select_configILj256ELj13ELNS0_17block_load_methodE3ELS4_3ELS4_3ELNS0_20block_scan_algorithmE0ELj4294967295EEENS1_25partition_config_selectorILNS1_17partition_subalgoE3EjNS0_10empty_typeEbEEZZNS1_14partition_implILS8_3ELb0ES6_jNS0_17counting_iteratorIjlEEPS9_SE_NS0_5tupleIJPjSE_EEENSF_IJSE_SE_EEES9_SG_JZNS1_25segmented_radix_sort_implINS0_14default_configELb0EPKdPdPKlPlN2at6native12_GLOBAL__N_18offset_tEEE10hipError_tPvRmT1_PNSt15iterator_traitsISY_E10value_typeET2_T3_PNSZ_IS14_E10value_typeET4_jRbjT5_S1A_jjP12ihipStream_tbEUljE_EEESV_SW_SX_S14_S18_S1A_T6_T7_T9_mT8_S1C_bDpT10_ENKUlT_T0_E_clISt17integral_constantIbLb1EES1O_IbLb0EEEEDaS1K_S1L_EUlS1K_E_NS1_11comp_targetILNS1_3genE2ELNS1_11target_archE906ELNS1_3gpuE6ELNS1_3repE0EEENS1_30default_config_static_selectorELNS0_4arch9wavefront6targetE0EEEvSY_,@function
_ZN7rocprim17ROCPRIM_400000_NS6detail17trampoline_kernelINS0_13select_configILj256ELj13ELNS0_17block_load_methodE3ELS4_3ELS4_3ELNS0_20block_scan_algorithmE0ELj4294967295EEENS1_25partition_config_selectorILNS1_17partition_subalgoE3EjNS0_10empty_typeEbEEZZNS1_14partition_implILS8_3ELb0ES6_jNS0_17counting_iteratorIjlEEPS9_SE_NS0_5tupleIJPjSE_EEENSF_IJSE_SE_EEES9_SG_JZNS1_25segmented_radix_sort_implINS0_14default_configELb0EPKdPdPKlPlN2at6native12_GLOBAL__N_18offset_tEEE10hipError_tPvRmT1_PNSt15iterator_traitsISY_E10value_typeET2_T3_PNSZ_IS14_E10value_typeET4_jRbjT5_S1A_jjP12ihipStream_tbEUljE_EEESV_SW_SX_S14_S18_S1A_T6_T7_T9_mT8_S1C_bDpT10_ENKUlT_T0_E_clISt17integral_constantIbLb1EES1O_IbLb0EEEEDaS1K_S1L_EUlS1K_E_NS1_11comp_targetILNS1_3genE2ELNS1_11target_archE906ELNS1_3gpuE6ELNS1_3repE0EEENS1_30default_config_static_selectorELNS0_4arch9wavefront6targetE0EEEvSY_: ; @_ZN7rocprim17ROCPRIM_400000_NS6detail17trampoline_kernelINS0_13select_configILj256ELj13ELNS0_17block_load_methodE3ELS4_3ELS4_3ELNS0_20block_scan_algorithmE0ELj4294967295EEENS1_25partition_config_selectorILNS1_17partition_subalgoE3EjNS0_10empty_typeEbEEZZNS1_14partition_implILS8_3ELb0ES6_jNS0_17counting_iteratorIjlEEPS9_SE_NS0_5tupleIJPjSE_EEENSF_IJSE_SE_EEES9_SG_JZNS1_25segmented_radix_sort_implINS0_14default_configELb0EPKdPdPKlPlN2at6native12_GLOBAL__N_18offset_tEEE10hipError_tPvRmT1_PNSt15iterator_traitsISY_E10value_typeET2_T3_PNSZ_IS14_E10value_typeET4_jRbjT5_S1A_jjP12ihipStream_tbEUljE_EEESV_SW_SX_S14_S18_S1A_T6_T7_T9_mT8_S1C_bDpT10_ENKUlT_T0_E_clISt17integral_constantIbLb1EES1O_IbLb0EEEEDaS1K_S1L_EUlS1K_E_NS1_11comp_targetILNS1_3genE2ELNS1_11target_archE906ELNS1_3gpuE6ELNS1_3repE0EEENS1_30default_config_static_selectorELNS0_4arch9wavefront6targetE0EEEvSY_
; %bb.0:
	.section	.rodata,"a",@progbits
	.p2align	6, 0x0
	.amdhsa_kernel _ZN7rocprim17ROCPRIM_400000_NS6detail17trampoline_kernelINS0_13select_configILj256ELj13ELNS0_17block_load_methodE3ELS4_3ELS4_3ELNS0_20block_scan_algorithmE0ELj4294967295EEENS1_25partition_config_selectorILNS1_17partition_subalgoE3EjNS0_10empty_typeEbEEZZNS1_14partition_implILS8_3ELb0ES6_jNS0_17counting_iteratorIjlEEPS9_SE_NS0_5tupleIJPjSE_EEENSF_IJSE_SE_EEES9_SG_JZNS1_25segmented_radix_sort_implINS0_14default_configELb0EPKdPdPKlPlN2at6native12_GLOBAL__N_18offset_tEEE10hipError_tPvRmT1_PNSt15iterator_traitsISY_E10value_typeET2_T3_PNSZ_IS14_E10value_typeET4_jRbjT5_S1A_jjP12ihipStream_tbEUljE_EEESV_SW_SX_S14_S18_S1A_T6_T7_T9_mT8_S1C_bDpT10_ENKUlT_T0_E_clISt17integral_constantIbLb1EES1O_IbLb0EEEEDaS1K_S1L_EUlS1K_E_NS1_11comp_targetILNS1_3genE2ELNS1_11target_archE906ELNS1_3gpuE6ELNS1_3repE0EEENS1_30default_config_static_selectorELNS0_4arch9wavefront6targetE0EEEvSY_
		.amdhsa_group_segment_fixed_size 0
		.amdhsa_private_segment_fixed_size 0
		.amdhsa_kernarg_size 144
		.amdhsa_user_sgpr_count 2
		.amdhsa_user_sgpr_dispatch_ptr 0
		.amdhsa_user_sgpr_queue_ptr 0
		.amdhsa_user_sgpr_kernarg_segment_ptr 1
		.amdhsa_user_sgpr_dispatch_id 0
		.amdhsa_user_sgpr_kernarg_preload_length 0
		.amdhsa_user_sgpr_kernarg_preload_offset 0
		.amdhsa_user_sgpr_private_segment_size 0
		.amdhsa_wavefront_size32 1
		.amdhsa_uses_dynamic_stack 0
		.amdhsa_enable_private_segment 0
		.amdhsa_system_sgpr_workgroup_id_x 1
		.amdhsa_system_sgpr_workgroup_id_y 0
		.amdhsa_system_sgpr_workgroup_id_z 0
		.amdhsa_system_sgpr_workgroup_info 0
		.amdhsa_system_vgpr_workitem_id 0
		.amdhsa_next_free_vgpr 1
		.amdhsa_next_free_sgpr 1
		.amdhsa_named_barrier_count 0
		.amdhsa_reserve_vcc 0
		.amdhsa_float_round_mode_32 0
		.amdhsa_float_round_mode_16_64 0
		.amdhsa_float_denorm_mode_32 3
		.amdhsa_float_denorm_mode_16_64 3
		.amdhsa_fp16_overflow 0
		.amdhsa_memory_ordered 1
		.amdhsa_forward_progress 1
		.amdhsa_inst_pref_size 0
		.amdhsa_round_robin_scheduling 0
		.amdhsa_exception_fp_ieee_invalid_op 0
		.amdhsa_exception_fp_denorm_src 0
		.amdhsa_exception_fp_ieee_div_zero 0
		.amdhsa_exception_fp_ieee_overflow 0
		.amdhsa_exception_fp_ieee_underflow 0
		.amdhsa_exception_fp_ieee_inexact 0
		.amdhsa_exception_int_div_zero 0
	.end_amdhsa_kernel
	.section	.text._ZN7rocprim17ROCPRIM_400000_NS6detail17trampoline_kernelINS0_13select_configILj256ELj13ELNS0_17block_load_methodE3ELS4_3ELS4_3ELNS0_20block_scan_algorithmE0ELj4294967295EEENS1_25partition_config_selectorILNS1_17partition_subalgoE3EjNS0_10empty_typeEbEEZZNS1_14partition_implILS8_3ELb0ES6_jNS0_17counting_iteratorIjlEEPS9_SE_NS0_5tupleIJPjSE_EEENSF_IJSE_SE_EEES9_SG_JZNS1_25segmented_radix_sort_implINS0_14default_configELb0EPKdPdPKlPlN2at6native12_GLOBAL__N_18offset_tEEE10hipError_tPvRmT1_PNSt15iterator_traitsISY_E10value_typeET2_T3_PNSZ_IS14_E10value_typeET4_jRbjT5_S1A_jjP12ihipStream_tbEUljE_EEESV_SW_SX_S14_S18_S1A_T6_T7_T9_mT8_S1C_bDpT10_ENKUlT_T0_E_clISt17integral_constantIbLb1EES1O_IbLb0EEEEDaS1K_S1L_EUlS1K_E_NS1_11comp_targetILNS1_3genE2ELNS1_11target_archE906ELNS1_3gpuE6ELNS1_3repE0EEENS1_30default_config_static_selectorELNS0_4arch9wavefront6targetE0EEEvSY_,"axG",@progbits,_ZN7rocprim17ROCPRIM_400000_NS6detail17trampoline_kernelINS0_13select_configILj256ELj13ELNS0_17block_load_methodE3ELS4_3ELS4_3ELNS0_20block_scan_algorithmE0ELj4294967295EEENS1_25partition_config_selectorILNS1_17partition_subalgoE3EjNS0_10empty_typeEbEEZZNS1_14partition_implILS8_3ELb0ES6_jNS0_17counting_iteratorIjlEEPS9_SE_NS0_5tupleIJPjSE_EEENSF_IJSE_SE_EEES9_SG_JZNS1_25segmented_radix_sort_implINS0_14default_configELb0EPKdPdPKlPlN2at6native12_GLOBAL__N_18offset_tEEE10hipError_tPvRmT1_PNSt15iterator_traitsISY_E10value_typeET2_T3_PNSZ_IS14_E10value_typeET4_jRbjT5_S1A_jjP12ihipStream_tbEUljE_EEESV_SW_SX_S14_S18_S1A_T6_T7_T9_mT8_S1C_bDpT10_ENKUlT_T0_E_clISt17integral_constantIbLb1EES1O_IbLb0EEEEDaS1K_S1L_EUlS1K_E_NS1_11comp_targetILNS1_3genE2ELNS1_11target_archE906ELNS1_3gpuE6ELNS1_3repE0EEENS1_30default_config_static_selectorELNS0_4arch9wavefront6targetE0EEEvSY_,comdat
.Lfunc_end1203:
	.size	_ZN7rocprim17ROCPRIM_400000_NS6detail17trampoline_kernelINS0_13select_configILj256ELj13ELNS0_17block_load_methodE3ELS4_3ELS4_3ELNS0_20block_scan_algorithmE0ELj4294967295EEENS1_25partition_config_selectorILNS1_17partition_subalgoE3EjNS0_10empty_typeEbEEZZNS1_14partition_implILS8_3ELb0ES6_jNS0_17counting_iteratorIjlEEPS9_SE_NS0_5tupleIJPjSE_EEENSF_IJSE_SE_EEES9_SG_JZNS1_25segmented_radix_sort_implINS0_14default_configELb0EPKdPdPKlPlN2at6native12_GLOBAL__N_18offset_tEEE10hipError_tPvRmT1_PNSt15iterator_traitsISY_E10value_typeET2_T3_PNSZ_IS14_E10value_typeET4_jRbjT5_S1A_jjP12ihipStream_tbEUljE_EEESV_SW_SX_S14_S18_S1A_T6_T7_T9_mT8_S1C_bDpT10_ENKUlT_T0_E_clISt17integral_constantIbLb1EES1O_IbLb0EEEEDaS1K_S1L_EUlS1K_E_NS1_11comp_targetILNS1_3genE2ELNS1_11target_archE906ELNS1_3gpuE6ELNS1_3repE0EEENS1_30default_config_static_selectorELNS0_4arch9wavefront6targetE0EEEvSY_, .Lfunc_end1203-_ZN7rocprim17ROCPRIM_400000_NS6detail17trampoline_kernelINS0_13select_configILj256ELj13ELNS0_17block_load_methodE3ELS4_3ELS4_3ELNS0_20block_scan_algorithmE0ELj4294967295EEENS1_25partition_config_selectorILNS1_17partition_subalgoE3EjNS0_10empty_typeEbEEZZNS1_14partition_implILS8_3ELb0ES6_jNS0_17counting_iteratorIjlEEPS9_SE_NS0_5tupleIJPjSE_EEENSF_IJSE_SE_EEES9_SG_JZNS1_25segmented_radix_sort_implINS0_14default_configELb0EPKdPdPKlPlN2at6native12_GLOBAL__N_18offset_tEEE10hipError_tPvRmT1_PNSt15iterator_traitsISY_E10value_typeET2_T3_PNSZ_IS14_E10value_typeET4_jRbjT5_S1A_jjP12ihipStream_tbEUljE_EEESV_SW_SX_S14_S18_S1A_T6_T7_T9_mT8_S1C_bDpT10_ENKUlT_T0_E_clISt17integral_constantIbLb1EES1O_IbLb0EEEEDaS1K_S1L_EUlS1K_E_NS1_11comp_targetILNS1_3genE2ELNS1_11target_archE906ELNS1_3gpuE6ELNS1_3repE0EEENS1_30default_config_static_selectorELNS0_4arch9wavefront6targetE0EEEvSY_
                                        ; -- End function
	.set _ZN7rocprim17ROCPRIM_400000_NS6detail17trampoline_kernelINS0_13select_configILj256ELj13ELNS0_17block_load_methodE3ELS4_3ELS4_3ELNS0_20block_scan_algorithmE0ELj4294967295EEENS1_25partition_config_selectorILNS1_17partition_subalgoE3EjNS0_10empty_typeEbEEZZNS1_14partition_implILS8_3ELb0ES6_jNS0_17counting_iteratorIjlEEPS9_SE_NS0_5tupleIJPjSE_EEENSF_IJSE_SE_EEES9_SG_JZNS1_25segmented_radix_sort_implINS0_14default_configELb0EPKdPdPKlPlN2at6native12_GLOBAL__N_18offset_tEEE10hipError_tPvRmT1_PNSt15iterator_traitsISY_E10value_typeET2_T3_PNSZ_IS14_E10value_typeET4_jRbjT5_S1A_jjP12ihipStream_tbEUljE_EEESV_SW_SX_S14_S18_S1A_T6_T7_T9_mT8_S1C_bDpT10_ENKUlT_T0_E_clISt17integral_constantIbLb1EES1O_IbLb0EEEEDaS1K_S1L_EUlS1K_E_NS1_11comp_targetILNS1_3genE2ELNS1_11target_archE906ELNS1_3gpuE6ELNS1_3repE0EEENS1_30default_config_static_selectorELNS0_4arch9wavefront6targetE0EEEvSY_.num_vgpr, 0
	.set _ZN7rocprim17ROCPRIM_400000_NS6detail17trampoline_kernelINS0_13select_configILj256ELj13ELNS0_17block_load_methodE3ELS4_3ELS4_3ELNS0_20block_scan_algorithmE0ELj4294967295EEENS1_25partition_config_selectorILNS1_17partition_subalgoE3EjNS0_10empty_typeEbEEZZNS1_14partition_implILS8_3ELb0ES6_jNS0_17counting_iteratorIjlEEPS9_SE_NS0_5tupleIJPjSE_EEENSF_IJSE_SE_EEES9_SG_JZNS1_25segmented_radix_sort_implINS0_14default_configELb0EPKdPdPKlPlN2at6native12_GLOBAL__N_18offset_tEEE10hipError_tPvRmT1_PNSt15iterator_traitsISY_E10value_typeET2_T3_PNSZ_IS14_E10value_typeET4_jRbjT5_S1A_jjP12ihipStream_tbEUljE_EEESV_SW_SX_S14_S18_S1A_T6_T7_T9_mT8_S1C_bDpT10_ENKUlT_T0_E_clISt17integral_constantIbLb1EES1O_IbLb0EEEEDaS1K_S1L_EUlS1K_E_NS1_11comp_targetILNS1_3genE2ELNS1_11target_archE906ELNS1_3gpuE6ELNS1_3repE0EEENS1_30default_config_static_selectorELNS0_4arch9wavefront6targetE0EEEvSY_.num_agpr, 0
	.set _ZN7rocprim17ROCPRIM_400000_NS6detail17trampoline_kernelINS0_13select_configILj256ELj13ELNS0_17block_load_methodE3ELS4_3ELS4_3ELNS0_20block_scan_algorithmE0ELj4294967295EEENS1_25partition_config_selectorILNS1_17partition_subalgoE3EjNS0_10empty_typeEbEEZZNS1_14partition_implILS8_3ELb0ES6_jNS0_17counting_iteratorIjlEEPS9_SE_NS0_5tupleIJPjSE_EEENSF_IJSE_SE_EEES9_SG_JZNS1_25segmented_radix_sort_implINS0_14default_configELb0EPKdPdPKlPlN2at6native12_GLOBAL__N_18offset_tEEE10hipError_tPvRmT1_PNSt15iterator_traitsISY_E10value_typeET2_T3_PNSZ_IS14_E10value_typeET4_jRbjT5_S1A_jjP12ihipStream_tbEUljE_EEESV_SW_SX_S14_S18_S1A_T6_T7_T9_mT8_S1C_bDpT10_ENKUlT_T0_E_clISt17integral_constantIbLb1EES1O_IbLb0EEEEDaS1K_S1L_EUlS1K_E_NS1_11comp_targetILNS1_3genE2ELNS1_11target_archE906ELNS1_3gpuE6ELNS1_3repE0EEENS1_30default_config_static_selectorELNS0_4arch9wavefront6targetE0EEEvSY_.numbered_sgpr, 0
	.set _ZN7rocprim17ROCPRIM_400000_NS6detail17trampoline_kernelINS0_13select_configILj256ELj13ELNS0_17block_load_methodE3ELS4_3ELS4_3ELNS0_20block_scan_algorithmE0ELj4294967295EEENS1_25partition_config_selectorILNS1_17partition_subalgoE3EjNS0_10empty_typeEbEEZZNS1_14partition_implILS8_3ELb0ES6_jNS0_17counting_iteratorIjlEEPS9_SE_NS0_5tupleIJPjSE_EEENSF_IJSE_SE_EEES9_SG_JZNS1_25segmented_radix_sort_implINS0_14default_configELb0EPKdPdPKlPlN2at6native12_GLOBAL__N_18offset_tEEE10hipError_tPvRmT1_PNSt15iterator_traitsISY_E10value_typeET2_T3_PNSZ_IS14_E10value_typeET4_jRbjT5_S1A_jjP12ihipStream_tbEUljE_EEESV_SW_SX_S14_S18_S1A_T6_T7_T9_mT8_S1C_bDpT10_ENKUlT_T0_E_clISt17integral_constantIbLb1EES1O_IbLb0EEEEDaS1K_S1L_EUlS1K_E_NS1_11comp_targetILNS1_3genE2ELNS1_11target_archE906ELNS1_3gpuE6ELNS1_3repE0EEENS1_30default_config_static_selectorELNS0_4arch9wavefront6targetE0EEEvSY_.num_named_barrier, 0
	.set _ZN7rocprim17ROCPRIM_400000_NS6detail17trampoline_kernelINS0_13select_configILj256ELj13ELNS0_17block_load_methodE3ELS4_3ELS4_3ELNS0_20block_scan_algorithmE0ELj4294967295EEENS1_25partition_config_selectorILNS1_17partition_subalgoE3EjNS0_10empty_typeEbEEZZNS1_14partition_implILS8_3ELb0ES6_jNS0_17counting_iteratorIjlEEPS9_SE_NS0_5tupleIJPjSE_EEENSF_IJSE_SE_EEES9_SG_JZNS1_25segmented_radix_sort_implINS0_14default_configELb0EPKdPdPKlPlN2at6native12_GLOBAL__N_18offset_tEEE10hipError_tPvRmT1_PNSt15iterator_traitsISY_E10value_typeET2_T3_PNSZ_IS14_E10value_typeET4_jRbjT5_S1A_jjP12ihipStream_tbEUljE_EEESV_SW_SX_S14_S18_S1A_T6_T7_T9_mT8_S1C_bDpT10_ENKUlT_T0_E_clISt17integral_constantIbLb1EES1O_IbLb0EEEEDaS1K_S1L_EUlS1K_E_NS1_11comp_targetILNS1_3genE2ELNS1_11target_archE906ELNS1_3gpuE6ELNS1_3repE0EEENS1_30default_config_static_selectorELNS0_4arch9wavefront6targetE0EEEvSY_.private_seg_size, 0
	.set _ZN7rocprim17ROCPRIM_400000_NS6detail17trampoline_kernelINS0_13select_configILj256ELj13ELNS0_17block_load_methodE3ELS4_3ELS4_3ELNS0_20block_scan_algorithmE0ELj4294967295EEENS1_25partition_config_selectorILNS1_17partition_subalgoE3EjNS0_10empty_typeEbEEZZNS1_14partition_implILS8_3ELb0ES6_jNS0_17counting_iteratorIjlEEPS9_SE_NS0_5tupleIJPjSE_EEENSF_IJSE_SE_EEES9_SG_JZNS1_25segmented_radix_sort_implINS0_14default_configELb0EPKdPdPKlPlN2at6native12_GLOBAL__N_18offset_tEEE10hipError_tPvRmT1_PNSt15iterator_traitsISY_E10value_typeET2_T3_PNSZ_IS14_E10value_typeET4_jRbjT5_S1A_jjP12ihipStream_tbEUljE_EEESV_SW_SX_S14_S18_S1A_T6_T7_T9_mT8_S1C_bDpT10_ENKUlT_T0_E_clISt17integral_constantIbLb1EES1O_IbLb0EEEEDaS1K_S1L_EUlS1K_E_NS1_11comp_targetILNS1_3genE2ELNS1_11target_archE906ELNS1_3gpuE6ELNS1_3repE0EEENS1_30default_config_static_selectorELNS0_4arch9wavefront6targetE0EEEvSY_.uses_vcc, 0
	.set _ZN7rocprim17ROCPRIM_400000_NS6detail17trampoline_kernelINS0_13select_configILj256ELj13ELNS0_17block_load_methodE3ELS4_3ELS4_3ELNS0_20block_scan_algorithmE0ELj4294967295EEENS1_25partition_config_selectorILNS1_17partition_subalgoE3EjNS0_10empty_typeEbEEZZNS1_14partition_implILS8_3ELb0ES6_jNS0_17counting_iteratorIjlEEPS9_SE_NS0_5tupleIJPjSE_EEENSF_IJSE_SE_EEES9_SG_JZNS1_25segmented_radix_sort_implINS0_14default_configELb0EPKdPdPKlPlN2at6native12_GLOBAL__N_18offset_tEEE10hipError_tPvRmT1_PNSt15iterator_traitsISY_E10value_typeET2_T3_PNSZ_IS14_E10value_typeET4_jRbjT5_S1A_jjP12ihipStream_tbEUljE_EEESV_SW_SX_S14_S18_S1A_T6_T7_T9_mT8_S1C_bDpT10_ENKUlT_T0_E_clISt17integral_constantIbLb1EES1O_IbLb0EEEEDaS1K_S1L_EUlS1K_E_NS1_11comp_targetILNS1_3genE2ELNS1_11target_archE906ELNS1_3gpuE6ELNS1_3repE0EEENS1_30default_config_static_selectorELNS0_4arch9wavefront6targetE0EEEvSY_.uses_flat_scratch, 0
	.set _ZN7rocprim17ROCPRIM_400000_NS6detail17trampoline_kernelINS0_13select_configILj256ELj13ELNS0_17block_load_methodE3ELS4_3ELS4_3ELNS0_20block_scan_algorithmE0ELj4294967295EEENS1_25partition_config_selectorILNS1_17partition_subalgoE3EjNS0_10empty_typeEbEEZZNS1_14partition_implILS8_3ELb0ES6_jNS0_17counting_iteratorIjlEEPS9_SE_NS0_5tupleIJPjSE_EEENSF_IJSE_SE_EEES9_SG_JZNS1_25segmented_radix_sort_implINS0_14default_configELb0EPKdPdPKlPlN2at6native12_GLOBAL__N_18offset_tEEE10hipError_tPvRmT1_PNSt15iterator_traitsISY_E10value_typeET2_T3_PNSZ_IS14_E10value_typeET4_jRbjT5_S1A_jjP12ihipStream_tbEUljE_EEESV_SW_SX_S14_S18_S1A_T6_T7_T9_mT8_S1C_bDpT10_ENKUlT_T0_E_clISt17integral_constantIbLb1EES1O_IbLb0EEEEDaS1K_S1L_EUlS1K_E_NS1_11comp_targetILNS1_3genE2ELNS1_11target_archE906ELNS1_3gpuE6ELNS1_3repE0EEENS1_30default_config_static_selectorELNS0_4arch9wavefront6targetE0EEEvSY_.has_dyn_sized_stack, 0
	.set _ZN7rocprim17ROCPRIM_400000_NS6detail17trampoline_kernelINS0_13select_configILj256ELj13ELNS0_17block_load_methodE3ELS4_3ELS4_3ELNS0_20block_scan_algorithmE0ELj4294967295EEENS1_25partition_config_selectorILNS1_17partition_subalgoE3EjNS0_10empty_typeEbEEZZNS1_14partition_implILS8_3ELb0ES6_jNS0_17counting_iteratorIjlEEPS9_SE_NS0_5tupleIJPjSE_EEENSF_IJSE_SE_EEES9_SG_JZNS1_25segmented_radix_sort_implINS0_14default_configELb0EPKdPdPKlPlN2at6native12_GLOBAL__N_18offset_tEEE10hipError_tPvRmT1_PNSt15iterator_traitsISY_E10value_typeET2_T3_PNSZ_IS14_E10value_typeET4_jRbjT5_S1A_jjP12ihipStream_tbEUljE_EEESV_SW_SX_S14_S18_S1A_T6_T7_T9_mT8_S1C_bDpT10_ENKUlT_T0_E_clISt17integral_constantIbLb1EES1O_IbLb0EEEEDaS1K_S1L_EUlS1K_E_NS1_11comp_targetILNS1_3genE2ELNS1_11target_archE906ELNS1_3gpuE6ELNS1_3repE0EEENS1_30default_config_static_selectorELNS0_4arch9wavefront6targetE0EEEvSY_.has_recursion, 0
	.set _ZN7rocprim17ROCPRIM_400000_NS6detail17trampoline_kernelINS0_13select_configILj256ELj13ELNS0_17block_load_methodE3ELS4_3ELS4_3ELNS0_20block_scan_algorithmE0ELj4294967295EEENS1_25partition_config_selectorILNS1_17partition_subalgoE3EjNS0_10empty_typeEbEEZZNS1_14partition_implILS8_3ELb0ES6_jNS0_17counting_iteratorIjlEEPS9_SE_NS0_5tupleIJPjSE_EEENSF_IJSE_SE_EEES9_SG_JZNS1_25segmented_radix_sort_implINS0_14default_configELb0EPKdPdPKlPlN2at6native12_GLOBAL__N_18offset_tEEE10hipError_tPvRmT1_PNSt15iterator_traitsISY_E10value_typeET2_T3_PNSZ_IS14_E10value_typeET4_jRbjT5_S1A_jjP12ihipStream_tbEUljE_EEESV_SW_SX_S14_S18_S1A_T6_T7_T9_mT8_S1C_bDpT10_ENKUlT_T0_E_clISt17integral_constantIbLb1EES1O_IbLb0EEEEDaS1K_S1L_EUlS1K_E_NS1_11comp_targetILNS1_3genE2ELNS1_11target_archE906ELNS1_3gpuE6ELNS1_3repE0EEENS1_30default_config_static_selectorELNS0_4arch9wavefront6targetE0EEEvSY_.has_indirect_call, 0
	.section	.AMDGPU.csdata,"",@progbits
; Kernel info:
; codeLenInByte = 0
; TotalNumSgprs: 0
; NumVgprs: 0
; ScratchSize: 0
; MemoryBound: 0
; FloatMode: 240
; IeeeMode: 1
; LDSByteSize: 0 bytes/workgroup (compile time only)
; SGPRBlocks: 0
; VGPRBlocks: 0
; NumSGPRsForWavesPerEU: 1
; NumVGPRsForWavesPerEU: 1
; NamedBarCnt: 0
; Occupancy: 16
; WaveLimiterHint : 0
; COMPUTE_PGM_RSRC2:SCRATCH_EN: 0
; COMPUTE_PGM_RSRC2:USER_SGPR: 2
; COMPUTE_PGM_RSRC2:TRAP_HANDLER: 0
; COMPUTE_PGM_RSRC2:TGID_X_EN: 1
; COMPUTE_PGM_RSRC2:TGID_Y_EN: 0
; COMPUTE_PGM_RSRC2:TGID_Z_EN: 0
; COMPUTE_PGM_RSRC2:TIDIG_COMP_CNT: 0
	.section	.text._ZN7rocprim17ROCPRIM_400000_NS6detail17trampoline_kernelINS0_13select_configILj256ELj13ELNS0_17block_load_methodE3ELS4_3ELS4_3ELNS0_20block_scan_algorithmE0ELj4294967295EEENS1_25partition_config_selectorILNS1_17partition_subalgoE3EjNS0_10empty_typeEbEEZZNS1_14partition_implILS8_3ELb0ES6_jNS0_17counting_iteratorIjlEEPS9_SE_NS0_5tupleIJPjSE_EEENSF_IJSE_SE_EEES9_SG_JZNS1_25segmented_radix_sort_implINS0_14default_configELb0EPKdPdPKlPlN2at6native12_GLOBAL__N_18offset_tEEE10hipError_tPvRmT1_PNSt15iterator_traitsISY_E10value_typeET2_T3_PNSZ_IS14_E10value_typeET4_jRbjT5_S1A_jjP12ihipStream_tbEUljE_EEESV_SW_SX_S14_S18_S1A_T6_T7_T9_mT8_S1C_bDpT10_ENKUlT_T0_E_clISt17integral_constantIbLb1EES1O_IbLb0EEEEDaS1K_S1L_EUlS1K_E_NS1_11comp_targetILNS1_3genE10ELNS1_11target_archE1200ELNS1_3gpuE4ELNS1_3repE0EEENS1_30default_config_static_selectorELNS0_4arch9wavefront6targetE0EEEvSY_,"axG",@progbits,_ZN7rocprim17ROCPRIM_400000_NS6detail17trampoline_kernelINS0_13select_configILj256ELj13ELNS0_17block_load_methodE3ELS4_3ELS4_3ELNS0_20block_scan_algorithmE0ELj4294967295EEENS1_25partition_config_selectorILNS1_17partition_subalgoE3EjNS0_10empty_typeEbEEZZNS1_14partition_implILS8_3ELb0ES6_jNS0_17counting_iteratorIjlEEPS9_SE_NS0_5tupleIJPjSE_EEENSF_IJSE_SE_EEES9_SG_JZNS1_25segmented_radix_sort_implINS0_14default_configELb0EPKdPdPKlPlN2at6native12_GLOBAL__N_18offset_tEEE10hipError_tPvRmT1_PNSt15iterator_traitsISY_E10value_typeET2_T3_PNSZ_IS14_E10value_typeET4_jRbjT5_S1A_jjP12ihipStream_tbEUljE_EEESV_SW_SX_S14_S18_S1A_T6_T7_T9_mT8_S1C_bDpT10_ENKUlT_T0_E_clISt17integral_constantIbLb1EES1O_IbLb0EEEEDaS1K_S1L_EUlS1K_E_NS1_11comp_targetILNS1_3genE10ELNS1_11target_archE1200ELNS1_3gpuE4ELNS1_3repE0EEENS1_30default_config_static_selectorELNS0_4arch9wavefront6targetE0EEEvSY_,comdat
	.globl	_ZN7rocprim17ROCPRIM_400000_NS6detail17trampoline_kernelINS0_13select_configILj256ELj13ELNS0_17block_load_methodE3ELS4_3ELS4_3ELNS0_20block_scan_algorithmE0ELj4294967295EEENS1_25partition_config_selectorILNS1_17partition_subalgoE3EjNS0_10empty_typeEbEEZZNS1_14partition_implILS8_3ELb0ES6_jNS0_17counting_iteratorIjlEEPS9_SE_NS0_5tupleIJPjSE_EEENSF_IJSE_SE_EEES9_SG_JZNS1_25segmented_radix_sort_implINS0_14default_configELb0EPKdPdPKlPlN2at6native12_GLOBAL__N_18offset_tEEE10hipError_tPvRmT1_PNSt15iterator_traitsISY_E10value_typeET2_T3_PNSZ_IS14_E10value_typeET4_jRbjT5_S1A_jjP12ihipStream_tbEUljE_EEESV_SW_SX_S14_S18_S1A_T6_T7_T9_mT8_S1C_bDpT10_ENKUlT_T0_E_clISt17integral_constantIbLb1EES1O_IbLb0EEEEDaS1K_S1L_EUlS1K_E_NS1_11comp_targetILNS1_3genE10ELNS1_11target_archE1200ELNS1_3gpuE4ELNS1_3repE0EEENS1_30default_config_static_selectorELNS0_4arch9wavefront6targetE0EEEvSY_ ; -- Begin function _ZN7rocprim17ROCPRIM_400000_NS6detail17trampoline_kernelINS0_13select_configILj256ELj13ELNS0_17block_load_methodE3ELS4_3ELS4_3ELNS0_20block_scan_algorithmE0ELj4294967295EEENS1_25partition_config_selectorILNS1_17partition_subalgoE3EjNS0_10empty_typeEbEEZZNS1_14partition_implILS8_3ELb0ES6_jNS0_17counting_iteratorIjlEEPS9_SE_NS0_5tupleIJPjSE_EEENSF_IJSE_SE_EEES9_SG_JZNS1_25segmented_radix_sort_implINS0_14default_configELb0EPKdPdPKlPlN2at6native12_GLOBAL__N_18offset_tEEE10hipError_tPvRmT1_PNSt15iterator_traitsISY_E10value_typeET2_T3_PNSZ_IS14_E10value_typeET4_jRbjT5_S1A_jjP12ihipStream_tbEUljE_EEESV_SW_SX_S14_S18_S1A_T6_T7_T9_mT8_S1C_bDpT10_ENKUlT_T0_E_clISt17integral_constantIbLb1EES1O_IbLb0EEEEDaS1K_S1L_EUlS1K_E_NS1_11comp_targetILNS1_3genE10ELNS1_11target_archE1200ELNS1_3gpuE4ELNS1_3repE0EEENS1_30default_config_static_selectorELNS0_4arch9wavefront6targetE0EEEvSY_
	.p2align	8
	.type	_ZN7rocprim17ROCPRIM_400000_NS6detail17trampoline_kernelINS0_13select_configILj256ELj13ELNS0_17block_load_methodE3ELS4_3ELS4_3ELNS0_20block_scan_algorithmE0ELj4294967295EEENS1_25partition_config_selectorILNS1_17partition_subalgoE3EjNS0_10empty_typeEbEEZZNS1_14partition_implILS8_3ELb0ES6_jNS0_17counting_iteratorIjlEEPS9_SE_NS0_5tupleIJPjSE_EEENSF_IJSE_SE_EEES9_SG_JZNS1_25segmented_radix_sort_implINS0_14default_configELb0EPKdPdPKlPlN2at6native12_GLOBAL__N_18offset_tEEE10hipError_tPvRmT1_PNSt15iterator_traitsISY_E10value_typeET2_T3_PNSZ_IS14_E10value_typeET4_jRbjT5_S1A_jjP12ihipStream_tbEUljE_EEESV_SW_SX_S14_S18_S1A_T6_T7_T9_mT8_S1C_bDpT10_ENKUlT_T0_E_clISt17integral_constantIbLb1EES1O_IbLb0EEEEDaS1K_S1L_EUlS1K_E_NS1_11comp_targetILNS1_3genE10ELNS1_11target_archE1200ELNS1_3gpuE4ELNS1_3repE0EEENS1_30default_config_static_selectorELNS0_4arch9wavefront6targetE0EEEvSY_,@function
_ZN7rocprim17ROCPRIM_400000_NS6detail17trampoline_kernelINS0_13select_configILj256ELj13ELNS0_17block_load_methodE3ELS4_3ELS4_3ELNS0_20block_scan_algorithmE0ELj4294967295EEENS1_25partition_config_selectorILNS1_17partition_subalgoE3EjNS0_10empty_typeEbEEZZNS1_14partition_implILS8_3ELb0ES6_jNS0_17counting_iteratorIjlEEPS9_SE_NS0_5tupleIJPjSE_EEENSF_IJSE_SE_EEES9_SG_JZNS1_25segmented_radix_sort_implINS0_14default_configELb0EPKdPdPKlPlN2at6native12_GLOBAL__N_18offset_tEEE10hipError_tPvRmT1_PNSt15iterator_traitsISY_E10value_typeET2_T3_PNSZ_IS14_E10value_typeET4_jRbjT5_S1A_jjP12ihipStream_tbEUljE_EEESV_SW_SX_S14_S18_S1A_T6_T7_T9_mT8_S1C_bDpT10_ENKUlT_T0_E_clISt17integral_constantIbLb1EES1O_IbLb0EEEEDaS1K_S1L_EUlS1K_E_NS1_11comp_targetILNS1_3genE10ELNS1_11target_archE1200ELNS1_3gpuE4ELNS1_3repE0EEENS1_30default_config_static_selectorELNS0_4arch9wavefront6targetE0EEEvSY_: ; @_ZN7rocprim17ROCPRIM_400000_NS6detail17trampoline_kernelINS0_13select_configILj256ELj13ELNS0_17block_load_methodE3ELS4_3ELS4_3ELNS0_20block_scan_algorithmE0ELj4294967295EEENS1_25partition_config_selectorILNS1_17partition_subalgoE3EjNS0_10empty_typeEbEEZZNS1_14partition_implILS8_3ELb0ES6_jNS0_17counting_iteratorIjlEEPS9_SE_NS0_5tupleIJPjSE_EEENSF_IJSE_SE_EEES9_SG_JZNS1_25segmented_radix_sort_implINS0_14default_configELb0EPKdPdPKlPlN2at6native12_GLOBAL__N_18offset_tEEE10hipError_tPvRmT1_PNSt15iterator_traitsISY_E10value_typeET2_T3_PNSZ_IS14_E10value_typeET4_jRbjT5_S1A_jjP12ihipStream_tbEUljE_EEESV_SW_SX_S14_S18_S1A_T6_T7_T9_mT8_S1C_bDpT10_ENKUlT_T0_E_clISt17integral_constantIbLb1EES1O_IbLb0EEEEDaS1K_S1L_EUlS1K_E_NS1_11comp_targetILNS1_3genE10ELNS1_11target_archE1200ELNS1_3gpuE4ELNS1_3repE0EEENS1_30default_config_static_selectorELNS0_4arch9wavefront6targetE0EEEvSY_
; %bb.0:
	.section	.rodata,"a",@progbits
	.p2align	6, 0x0
	.amdhsa_kernel _ZN7rocprim17ROCPRIM_400000_NS6detail17trampoline_kernelINS0_13select_configILj256ELj13ELNS0_17block_load_methodE3ELS4_3ELS4_3ELNS0_20block_scan_algorithmE0ELj4294967295EEENS1_25partition_config_selectorILNS1_17partition_subalgoE3EjNS0_10empty_typeEbEEZZNS1_14partition_implILS8_3ELb0ES6_jNS0_17counting_iteratorIjlEEPS9_SE_NS0_5tupleIJPjSE_EEENSF_IJSE_SE_EEES9_SG_JZNS1_25segmented_radix_sort_implINS0_14default_configELb0EPKdPdPKlPlN2at6native12_GLOBAL__N_18offset_tEEE10hipError_tPvRmT1_PNSt15iterator_traitsISY_E10value_typeET2_T3_PNSZ_IS14_E10value_typeET4_jRbjT5_S1A_jjP12ihipStream_tbEUljE_EEESV_SW_SX_S14_S18_S1A_T6_T7_T9_mT8_S1C_bDpT10_ENKUlT_T0_E_clISt17integral_constantIbLb1EES1O_IbLb0EEEEDaS1K_S1L_EUlS1K_E_NS1_11comp_targetILNS1_3genE10ELNS1_11target_archE1200ELNS1_3gpuE4ELNS1_3repE0EEENS1_30default_config_static_selectorELNS0_4arch9wavefront6targetE0EEEvSY_
		.amdhsa_group_segment_fixed_size 0
		.amdhsa_private_segment_fixed_size 0
		.amdhsa_kernarg_size 144
		.amdhsa_user_sgpr_count 2
		.amdhsa_user_sgpr_dispatch_ptr 0
		.amdhsa_user_sgpr_queue_ptr 0
		.amdhsa_user_sgpr_kernarg_segment_ptr 1
		.amdhsa_user_sgpr_dispatch_id 0
		.amdhsa_user_sgpr_kernarg_preload_length 0
		.amdhsa_user_sgpr_kernarg_preload_offset 0
		.amdhsa_user_sgpr_private_segment_size 0
		.amdhsa_wavefront_size32 1
		.amdhsa_uses_dynamic_stack 0
		.amdhsa_enable_private_segment 0
		.amdhsa_system_sgpr_workgroup_id_x 1
		.amdhsa_system_sgpr_workgroup_id_y 0
		.amdhsa_system_sgpr_workgroup_id_z 0
		.amdhsa_system_sgpr_workgroup_info 0
		.amdhsa_system_vgpr_workitem_id 0
		.amdhsa_next_free_vgpr 1
		.amdhsa_next_free_sgpr 1
		.amdhsa_named_barrier_count 0
		.amdhsa_reserve_vcc 0
		.amdhsa_float_round_mode_32 0
		.amdhsa_float_round_mode_16_64 0
		.amdhsa_float_denorm_mode_32 3
		.amdhsa_float_denorm_mode_16_64 3
		.amdhsa_fp16_overflow 0
		.amdhsa_memory_ordered 1
		.amdhsa_forward_progress 1
		.amdhsa_inst_pref_size 0
		.amdhsa_round_robin_scheduling 0
		.amdhsa_exception_fp_ieee_invalid_op 0
		.amdhsa_exception_fp_denorm_src 0
		.amdhsa_exception_fp_ieee_div_zero 0
		.amdhsa_exception_fp_ieee_overflow 0
		.amdhsa_exception_fp_ieee_underflow 0
		.amdhsa_exception_fp_ieee_inexact 0
		.amdhsa_exception_int_div_zero 0
	.end_amdhsa_kernel
	.section	.text._ZN7rocprim17ROCPRIM_400000_NS6detail17trampoline_kernelINS0_13select_configILj256ELj13ELNS0_17block_load_methodE3ELS4_3ELS4_3ELNS0_20block_scan_algorithmE0ELj4294967295EEENS1_25partition_config_selectorILNS1_17partition_subalgoE3EjNS0_10empty_typeEbEEZZNS1_14partition_implILS8_3ELb0ES6_jNS0_17counting_iteratorIjlEEPS9_SE_NS0_5tupleIJPjSE_EEENSF_IJSE_SE_EEES9_SG_JZNS1_25segmented_radix_sort_implINS0_14default_configELb0EPKdPdPKlPlN2at6native12_GLOBAL__N_18offset_tEEE10hipError_tPvRmT1_PNSt15iterator_traitsISY_E10value_typeET2_T3_PNSZ_IS14_E10value_typeET4_jRbjT5_S1A_jjP12ihipStream_tbEUljE_EEESV_SW_SX_S14_S18_S1A_T6_T7_T9_mT8_S1C_bDpT10_ENKUlT_T0_E_clISt17integral_constantIbLb1EES1O_IbLb0EEEEDaS1K_S1L_EUlS1K_E_NS1_11comp_targetILNS1_3genE10ELNS1_11target_archE1200ELNS1_3gpuE4ELNS1_3repE0EEENS1_30default_config_static_selectorELNS0_4arch9wavefront6targetE0EEEvSY_,"axG",@progbits,_ZN7rocprim17ROCPRIM_400000_NS6detail17trampoline_kernelINS0_13select_configILj256ELj13ELNS0_17block_load_methodE3ELS4_3ELS4_3ELNS0_20block_scan_algorithmE0ELj4294967295EEENS1_25partition_config_selectorILNS1_17partition_subalgoE3EjNS0_10empty_typeEbEEZZNS1_14partition_implILS8_3ELb0ES6_jNS0_17counting_iteratorIjlEEPS9_SE_NS0_5tupleIJPjSE_EEENSF_IJSE_SE_EEES9_SG_JZNS1_25segmented_radix_sort_implINS0_14default_configELb0EPKdPdPKlPlN2at6native12_GLOBAL__N_18offset_tEEE10hipError_tPvRmT1_PNSt15iterator_traitsISY_E10value_typeET2_T3_PNSZ_IS14_E10value_typeET4_jRbjT5_S1A_jjP12ihipStream_tbEUljE_EEESV_SW_SX_S14_S18_S1A_T6_T7_T9_mT8_S1C_bDpT10_ENKUlT_T0_E_clISt17integral_constantIbLb1EES1O_IbLb0EEEEDaS1K_S1L_EUlS1K_E_NS1_11comp_targetILNS1_3genE10ELNS1_11target_archE1200ELNS1_3gpuE4ELNS1_3repE0EEENS1_30default_config_static_selectorELNS0_4arch9wavefront6targetE0EEEvSY_,comdat
.Lfunc_end1204:
	.size	_ZN7rocprim17ROCPRIM_400000_NS6detail17trampoline_kernelINS0_13select_configILj256ELj13ELNS0_17block_load_methodE3ELS4_3ELS4_3ELNS0_20block_scan_algorithmE0ELj4294967295EEENS1_25partition_config_selectorILNS1_17partition_subalgoE3EjNS0_10empty_typeEbEEZZNS1_14partition_implILS8_3ELb0ES6_jNS0_17counting_iteratorIjlEEPS9_SE_NS0_5tupleIJPjSE_EEENSF_IJSE_SE_EEES9_SG_JZNS1_25segmented_radix_sort_implINS0_14default_configELb0EPKdPdPKlPlN2at6native12_GLOBAL__N_18offset_tEEE10hipError_tPvRmT1_PNSt15iterator_traitsISY_E10value_typeET2_T3_PNSZ_IS14_E10value_typeET4_jRbjT5_S1A_jjP12ihipStream_tbEUljE_EEESV_SW_SX_S14_S18_S1A_T6_T7_T9_mT8_S1C_bDpT10_ENKUlT_T0_E_clISt17integral_constantIbLb1EES1O_IbLb0EEEEDaS1K_S1L_EUlS1K_E_NS1_11comp_targetILNS1_3genE10ELNS1_11target_archE1200ELNS1_3gpuE4ELNS1_3repE0EEENS1_30default_config_static_selectorELNS0_4arch9wavefront6targetE0EEEvSY_, .Lfunc_end1204-_ZN7rocprim17ROCPRIM_400000_NS6detail17trampoline_kernelINS0_13select_configILj256ELj13ELNS0_17block_load_methodE3ELS4_3ELS4_3ELNS0_20block_scan_algorithmE0ELj4294967295EEENS1_25partition_config_selectorILNS1_17partition_subalgoE3EjNS0_10empty_typeEbEEZZNS1_14partition_implILS8_3ELb0ES6_jNS0_17counting_iteratorIjlEEPS9_SE_NS0_5tupleIJPjSE_EEENSF_IJSE_SE_EEES9_SG_JZNS1_25segmented_radix_sort_implINS0_14default_configELb0EPKdPdPKlPlN2at6native12_GLOBAL__N_18offset_tEEE10hipError_tPvRmT1_PNSt15iterator_traitsISY_E10value_typeET2_T3_PNSZ_IS14_E10value_typeET4_jRbjT5_S1A_jjP12ihipStream_tbEUljE_EEESV_SW_SX_S14_S18_S1A_T6_T7_T9_mT8_S1C_bDpT10_ENKUlT_T0_E_clISt17integral_constantIbLb1EES1O_IbLb0EEEEDaS1K_S1L_EUlS1K_E_NS1_11comp_targetILNS1_3genE10ELNS1_11target_archE1200ELNS1_3gpuE4ELNS1_3repE0EEENS1_30default_config_static_selectorELNS0_4arch9wavefront6targetE0EEEvSY_
                                        ; -- End function
	.set _ZN7rocprim17ROCPRIM_400000_NS6detail17trampoline_kernelINS0_13select_configILj256ELj13ELNS0_17block_load_methodE3ELS4_3ELS4_3ELNS0_20block_scan_algorithmE0ELj4294967295EEENS1_25partition_config_selectorILNS1_17partition_subalgoE3EjNS0_10empty_typeEbEEZZNS1_14partition_implILS8_3ELb0ES6_jNS0_17counting_iteratorIjlEEPS9_SE_NS0_5tupleIJPjSE_EEENSF_IJSE_SE_EEES9_SG_JZNS1_25segmented_radix_sort_implINS0_14default_configELb0EPKdPdPKlPlN2at6native12_GLOBAL__N_18offset_tEEE10hipError_tPvRmT1_PNSt15iterator_traitsISY_E10value_typeET2_T3_PNSZ_IS14_E10value_typeET4_jRbjT5_S1A_jjP12ihipStream_tbEUljE_EEESV_SW_SX_S14_S18_S1A_T6_T7_T9_mT8_S1C_bDpT10_ENKUlT_T0_E_clISt17integral_constantIbLb1EES1O_IbLb0EEEEDaS1K_S1L_EUlS1K_E_NS1_11comp_targetILNS1_3genE10ELNS1_11target_archE1200ELNS1_3gpuE4ELNS1_3repE0EEENS1_30default_config_static_selectorELNS0_4arch9wavefront6targetE0EEEvSY_.num_vgpr, 0
	.set _ZN7rocprim17ROCPRIM_400000_NS6detail17trampoline_kernelINS0_13select_configILj256ELj13ELNS0_17block_load_methodE3ELS4_3ELS4_3ELNS0_20block_scan_algorithmE0ELj4294967295EEENS1_25partition_config_selectorILNS1_17partition_subalgoE3EjNS0_10empty_typeEbEEZZNS1_14partition_implILS8_3ELb0ES6_jNS0_17counting_iteratorIjlEEPS9_SE_NS0_5tupleIJPjSE_EEENSF_IJSE_SE_EEES9_SG_JZNS1_25segmented_radix_sort_implINS0_14default_configELb0EPKdPdPKlPlN2at6native12_GLOBAL__N_18offset_tEEE10hipError_tPvRmT1_PNSt15iterator_traitsISY_E10value_typeET2_T3_PNSZ_IS14_E10value_typeET4_jRbjT5_S1A_jjP12ihipStream_tbEUljE_EEESV_SW_SX_S14_S18_S1A_T6_T7_T9_mT8_S1C_bDpT10_ENKUlT_T0_E_clISt17integral_constantIbLb1EES1O_IbLb0EEEEDaS1K_S1L_EUlS1K_E_NS1_11comp_targetILNS1_3genE10ELNS1_11target_archE1200ELNS1_3gpuE4ELNS1_3repE0EEENS1_30default_config_static_selectorELNS0_4arch9wavefront6targetE0EEEvSY_.num_agpr, 0
	.set _ZN7rocprim17ROCPRIM_400000_NS6detail17trampoline_kernelINS0_13select_configILj256ELj13ELNS0_17block_load_methodE3ELS4_3ELS4_3ELNS0_20block_scan_algorithmE0ELj4294967295EEENS1_25partition_config_selectorILNS1_17partition_subalgoE3EjNS0_10empty_typeEbEEZZNS1_14partition_implILS8_3ELb0ES6_jNS0_17counting_iteratorIjlEEPS9_SE_NS0_5tupleIJPjSE_EEENSF_IJSE_SE_EEES9_SG_JZNS1_25segmented_radix_sort_implINS0_14default_configELb0EPKdPdPKlPlN2at6native12_GLOBAL__N_18offset_tEEE10hipError_tPvRmT1_PNSt15iterator_traitsISY_E10value_typeET2_T3_PNSZ_IS14_E10value_typeET4_jRbjT5_S1A_jjP12ihipStream_tbEUljE_EEESV_SW_SX_S14_S18_S1A_T6_T7_T9_mT8_S1C_bDpT10_ENKUlT_T0_E_clISt17integral_constantIbLb1EES1O_IbLb0EEEEDaS1K_S1L_EUlS1K_E_NS1_11comp_targetILNS1_3genE10ELNS1_11target_archE1200ELNS1_3gpuE4ELNS1_3repE0EEENS1_30default_config_static_selectorELNS0_4arch9wavefront6targetE0EEEvSY_.numbered_sgpr, 0
	.set _ZN7rocprim17ROCPRIM_400000_NS6detail17trampoline_kernelINS0_13select_configILj256ELj13ELNS0_17block_load_methodE3ELS4_3ELS4_3ELNS0_20block_scan_algorithmE0ELj4294967295EEENS1_25partition_config_selectorILNS1_17partition_subalgoE3EjNS0_10empty_typeEbEEZZNS1_14partition_implILS8_3ELb0ES6_jNS0_17counting_iteratorIjlEEPS9_SE_NS0_5tupleIJPjSE_EEENSF_IJSE_SE_EEES9_SG_JZNS1_25segmented_radix_sort_implINS0_14default_configELb0EPKdPdPKlPlN2at6native12_GLOBAL__N_18offset_tEEE10hipError_tPvRmT1_PNSt15iterator_traitsISY_E10value_typeET2_T3_PNSZ_IS14_E10value_typeET4_jRbjT5_S1A_jjP12ihipStream_tbEUljE_EEESV_SW_SX_S14_S18_S1A_T6_T7_T9_mT8_S1C_bDpT10_ENKUlT_T0_E_clISt17integral_constantIbLb1EES1O_IbLb0EEEEDaS1K_S1L_EUlS1K_E_NS1_11comp_targetILNS1_3genE10ELNS1_11target_archE1200ELNS1_3gpuE4ELNS1_3repE0EEENS1_30default_config_static_selectorELNS0_4arch9wavefront6targetE0EEEvSY_.num_named_barrier, 0
	.set _ZN7rocprim17ROCPRIM_400000_NS6detail17trampoline_kernelINS0_13select_configILj256ELj13ELNS0_17block_load_methodE3ELS4_3ELS4_3ELNS0_20block_scan_algorithmE0ELj4294967295EEENS1_25partition_config_selectorILNS1_17partition_subalgoE3EjNS0_10empty_typeEbEEZZNS1_14partition_implILS8_3ELb0ES6_jNS0_17counting_iteratorIjlEEPS9_SE_NS0_5tupleIJPjSE_EEENSF_IJSE_SE_EEES9_SG_JZNS1_25segmented_radix_sort_implINS0_14default_configELb0EPKdPdPKlPlN2at6native12_GLOBAL__N_18offset_tEEE10hipError_tPvRmT1_PNSt15iterator_traitsISY_E10value_typeET2_T3_PNSZ_IS14_E10value_typeET4_jRbjT5_S1A_jjP12ihipStream_tbEUljE_EEESV_SW_SX_S14_S18_S1A_T6_T7_T9_mT8_S1C_bDpT10_ENKUlT_T0_E_clISt17integral_constantIbLb1EES1O_IbLb0EEEEDaS1K_S1L_EUlS1K_E_NS1_11comp_targetILNS1_3genE10ELNS1_11target_archE1200ELNS1_3gpuE4ELNS1_3repE0EEENS1_30default_config_static_selectorELNS0_4arch9wavefront6targetE0EEEvSY_.private_seg_size, 0
	.set _ZN7rocprim17ROCPRIM_400000_NS6detail17trampoline_kernelINS0_13select_configILj256ELj13ELNS0_17block_load_methodE3ELS4_3ELS4_3ELNS0_20block_scan_algorithmE0ELj4294967295EEENS1_25partition_config_selectorILNS1_17partition_subalgoE3EjNS0_10empty_typeEbEEZZNS1_14partition_implILS8_3ELb0ES6_jNS0_17counting_iteratorIjlEEPS9_SE_NS0_5tupleIJPjSE_EEENSF_IJSE_SE_EEES9_SG_JZNS1_25segmented_radix_sort_implINS0_14default_configELb0EPKdPdPKlPlN2at6native12_GLOBAL__N_18offset_tEEE10hipError_tPvRmT1_PNSt15iterator_traitsISY_E10value_typeET2_T3_PNSZ_IS14_E10value_typeET4_jRbjT5_S1A_jjP12ihipStream_tbEUljE_EEESV_SW_SX_S14_S18_S1A_T6_T7_T9_mT8_S1C_bDpT10_ENKUlT_T0_E_clISt17integral_constantIbLb1EES1O_IbLb0EEEEDaS1K_S1L_EUlS1K_E_NS1_11comp_targetILNS1_3genE10ELNS1_11target_archE1200ELNS1_3gpuE4ELNS1_3repE0EEENS1_30default_config_static_selectorELNS0_4arch9wavefront6targetE0EEEvSY_.uses_vcc, 0
	.set _ZN7rocprim17ROCPRIM_400000_NS6detail17trampoline_kernelINS0_13select_configILj256ELj13ELNS0_17block_load_methodE3ELS4_3ELS4_3ELNS0_20block_scan_algorithmE0ELj4294967295EEENS1_25partition_config_selectorILNS1_17partition_subalgoE3EjNS0_10empty_typeEbEEZZNS1_14partition_implILS8_3ELb0ES6_jNS0_17counting_iteratorIjlEEPS9_SE_NS0_5tupleIJPjSE_EEENSF_IJSE_SE_EEES9_SG_JZNS1_25segmented_radix_sort_implINS0_14default_configELb0EPKdPdPKlPlN2at6native12_GLOBAL__N_18offset_tEEE10hipError_tPvRmT1_PNSt15iterator_traitsISY_E10value_typeET2_T3_PNSZ_IS14_E10value_typeET4_jRbjT5_S1A_jjP12ihipStream_tbEUljE_EEESV_SW_SX_S14_S18_S1A_T6_T7_T9_mT8_S1C_bDpT10_ENKUlT_T0_E_clISt17integral_constantIbLb1EES1O_IbLb0EEEEDaS1K_S1L_EUlS1K_E_NS1_11comp_targetILNS1_3genE10ELNS1_11target_archE1200ELNS1_3gpuE4ELNS1_3repE0EEENS1_30default_config_static_selectorELNS0_4arch9wavefront6targetE0EEEvSY_.uses_flat_scratch, 0
	.set _ZN7rocprim17ROCPRIM_400000_NS6detail17trampoline_kernelINS0_13select_configILj256ELj13ELNS0_17block_load_methodE3ELS4_3ELS4_3ELNS0_20block_scan_algorithmE0ELj4294967295EEENS1_25partition_config_selectorILNS1_17partition_subalgoE3EjNS0_10empty_typeEbEEZZNS1_14partition_implILS8_3ELb0ES6_jNS0_17counting_iteratorIjlEEPS9_SE_NS0_5tupleIJPjSE_EEENSF_IJSE_SE_EEES9_SG_JZNS1_25segmented_radix_sort_implINS0_14default_configELb0EPKdPdPKlPlN2at6native12_GLOBAL__N_18offset_tEEE10hipError_tPvRmT1_PNSt15iterator_traitsISY_E10value_typeET2_T3_PNSZ_IS14_E10value_typeET4_jRbjT5_S1A_jjP12ihipStream_tbEUljE_EEESV_SW_SX_S14_S18_S1A_T6_T7_T9_mT8_S1C_bDpT10_ENKUlT_T0_E_clISt17integral_constantIbLb1EES1O_IbLb0EEEEDaS1K_S1L_EUlS1K_E_NS1_11comp_targetILNS1_3genE10ELNS1_11target_archE1200ELNS1_3gpuE4ELNS1_3repE0EEENS1_30default_config_static_selectorELNS0_4arch9wavefront6targetE0EEEvSY_.has_dyn_sized_stack, 0
	.set _ZN7rocprim17ROCPRIM_400000_NS6detail17trampoline_kernelINS0_13select_configILj256ELj13ELNS0_17block_load_methodE3ELS4_3ELS4_3ELNS0_20block_scan_algorithmE0ELj4294967295EEENS1_25partition_config_selectorILNS1_17partition_subalgoE3EjNS0_10empty_typeEbEEZZNS1_14partition_implILS8_3ELb0ES6_jNS0_17counting_iteratorIjlEEPS9_SE_NS0_5tupleIJPjSE_EEENSF_IJSE_SE_EEES9_SG_JZNS1_25segmented_radix_sort_implINS0_14default_configELb0EPKdPdPKlPlN2at6native12_GLOBAL__N_18offset_tEEE10hipError_tPvRmT1_PNSt15iterator_traitsISY_E10value_typeET2_T3_PNSZ_IS14_E10value_typeET4_jRbjT5_S1A_jjP12ihipStream_tbEUljE_EEESV_SW_SX_S14_S18_S1A_T6_T7_T9_mT8_S1C_bDpT10_ENKUlT_T0_E_clISt17integral_constantIbLb1EES1O_IbLb0EEEEDaS1K_S1L_EUlS1K_E_NS1_11comp_targetILNS1_3genE10ELNS1_11target_archE1200ELNS1_3gpuE4ELNS1_3repE0EEENS1_30default_config_static_selectorELNS0_4arch9wavefront6targetE0EEEvSY_.has_recursion, 0
	.set _ZN7rocprim17ROCPRIM_400000_NS6detail17trampoline_kernelINS0_13select_configILj256ELj13ELNS0_17block_load_methodE3ELS4_3ELS4_3ELNS0_20block_scan_algorithmE0ELj4294967295EEENS1_25partition_config_selectorILNS1_17partition_subalgoE3EjNS0_10empty_typeEbEEZZNS1_14partition_implILS8_3ELb0ES6_jNS0_17counting_iteratorIjlEEPS9_SE_NS0_5tupleIJPjSE_EEENSF_IJSE_SE_EEES9_SG_JZNS1_25segmented_radix_sort_implINS0_14default_configELb0EPKdPdPKlPlN2at6native12_GLOBAL__N_18offset_tEEE10hipError_tPvRmT1_PNSt15iterator_traitsISY_E10value_typeET2_T3_PNSZ_IS14_E10value_typeET4_jRbjT5_S1A_jjP12ihipStream_tbEUljE_EEESV_SW_SX_S14_S18_S1A_T6_T7_T9_mT8_S1C_bDpT10_ENKUlT_T0_E_clISt17integral_constantIbLb1EES1O_IbLb0EEEEDaS1K_S1L_EUlS1K_E_NS1_11comp_targetILNS1_3genE10ELNS1_11target_archE1200ELNS1_3gpuE4ELNS1_3repE0EEENS1_30default_config_static_selectorELNS0_4arch9wavefront6targetE0EEEvSY_.has_indirect_call, 0
	.section	.AMDGPU.csdata,"",@progbits
; Kernel info:
; codeLenInByte = 0
; TotalNumSgprs: 0
; NumVgprs: 0
; ScratchSize: 0
; MemoryBound: 0
; FloatMode: 240
; IeeeMode: 1
; LDSByteSize: 0 bytes/workgroup (compile time only)
; SGPRBlocks: 0
; VGPRBlocks: 0
; NumSGPRsForWavesPerEU: 1
; NumVGPRsForWavesPerEU: 1
; NamedBarCnt: 0
; Occupancy: 16
; WaveLimiterHint : 0
; COMPUTE_PGM_RSRC2:SCRATCH_EN: 0
; COMPUTE_PGM_RSRC2:USER_SGPR: 2
; COMPUTE_PGM_RSRC2:TRAP_HANDLER: 0
; COMPUTE_PGM_RSRC2:TGID_X_EN: 1
; COMPUTE_PGM_RSRC2:TGID_Y_EN: 0
; COMPUTE_PGM_RSRC2:TGID_Z_EN: 0
; COMPUTE_PGM_RSRC2:TIDIG_COMP_CNT: 0
	.section	.text._ZN7rocprim17ROCPRIM_400000_NS6detail17trampoline_kernelINS0_13select_configILj256ELj13ELNS0_17block_load_methodE3ELS4_3ELS4_3ELNS0_20block_scan_algorithmE0ELj4294967295EEENS1_25partition_config_selectorILNS1_17partition_subalgoE3EjNS0_10empty_typeEbEEZZNS1_14partition_implILS8_3ELb0ES6_jNS0_17counting_iteratorIjlEEPS9_SE_NS0_5tupleIJPjSE_EEENSF_IJSE_SE_EEES9_SG_JZNS1_25segmented_radix_sort_implINS0_14default_configELb0EPKdPdPKlPlN2at6native12_GLOBAL__N_18offset_tEEE10hipError_tPvRmT1_PNSt15iterator_traitsISY_E10value_typeET2_T3_PNSZ_IS14_E10value_typeET4_jRbjT5_S1A_jjP12ihipStream_tbEUljE_EEESV_SW_SX_S14_S18_S1A_T6_T7_T9_mT8_S1C_bDpT10_ENKUlT_T0_E_clISt17integral_constantIbLb1EES1O_IbLb0EEEEDaS1K_S1L_EUlS1K_E_NS1_11comp_targetILNS1_3genE9ELNS1_11target_archE1100ELNS1_3gpuE3ELNS1_3repE0EEENS1_30default_config_static_selectorELNS0_4arch9wavefront6targetE0EEEvSY_,"axG",@progbits,_ZN7rocprim17ROCPRIM_400000_NS6detail17trampoline_kernelINS0_13select_configILj256ELj13ELNS0_17block_load_methodE3ELS4_3ELS4_3ELNS0_20block_scan_algorithmE0ELj4294967295EEENS1_25partition_config_selectorILNS1_17partition_subalgoE3EjNS0_10empty_typeEbEEZZNS1_14partition_implILS8_3ELb0ES6_jNS0_17counting_iteratorIjlEEPS9_SE_NS0_5tupleIJPjSE_EEENSF_IJSE_SE_EEES9_SG_JZNS1_25segmented_radix_sort_implINS0_14default_configELb0EPKdPdPKlPlN2at6native12_GLOBAL__N_18offset_tEEE10hipError_tPvRmT1_PNSt15iterator_traitsISY_E10value_typeET2_T3_PNSZ_IS14_E10value_typeET4_jRbjT5_S1A_jjP12ihipStream_tbEUljE_EEESV_SW_SX_S14_S18_S1A_T6_T7_T9_mT8_S1C_bDpT10_ENKUlT_T0_E_clISt17integral_constantIbLb1EES1O_IbLb0EEEEDaS1K_S1L_EUlS1K_E_NS1_11comp_targetILNS1_3genE9ELNS1_11target_archE1100ELNS1_3gpuE3ELNS1_3repE0EEENS1_30default_config_static_selectorELNS0_4arch9wavefront6targetE0EEEvSY_,comdat
	.globl	_ZN7rocprim17ROCPRIM_400000_NS6detail17trampoline_kernelINS0_13select_configILj256ELj13ELNS0_17block_load_methodE3ELS4_3ELS4_3ELNS0_20block_scan_algorithmE0ELj4294967295EEENS1_25partition_config_selectorILNS1_17partition_subalgoE3EjNS0_10empty_typeEbEEZZNS1_14partition_implILS8_3ELb0ES6_jNS0_17counting_iteratorIjlEEPS9_SE_NS0_5tupleIJPjSE_EEENSF_IJSE_SE_EEES9_SG_JZNS1_25segmented_radix_sort_implINS0_14default_configELb0EPKdPdPKlPlN2at6native12_GLOBAL__N_18offset_tEEE10hipError_tPvRmT1_PNSt15iterator_traitsISY_E10value_typeET2_T3_PNSZ_IS14_E10value_typeET4_jRbjT5_S1A_jjP12ihipStream_tbEUljE_EEESV_SW_SX_S14_S18_S1A_T6_T7_T9_mT8_S1C_bDpT10_ENKUlT_T0_E_clISt17integral_constantIbLb1EES1O_IbLb0EEEEDaS1K_S1L_EUlS1K_E_NS1_11comp_targetILNS1_3genE9ELNS1_11target_archE1100ELNS1_3gpuE3ELNS1_3repE0EEENS1_30default_config_static_selectorELNS0_4arch9wavefront6targetE0EEEvSY_ ; -- Begin function _ZN7rocprim17ROCPRIM_400000_NS6detail17trampoline_kernelINS0_13select_configILj256ELj13ELNS0_17block_load_methodE3ELS4_3ELS4_3ELNS0_20block_scan_algorithmE0ELj4294967295EEENS1_25partition_config_selectorILNS1_17partition_subalgoE3EjNS0_10empty_typeEbEEZZNS1_14partition_implILS8_3ELb0ES6_jNS0_17counting_iteratorIjlEEPS9_SE_NS0_5tupleIJPjSE_EEENSF_IJSE_SE_EEES9_SG_JZNS1_25segmented_radix_sort_implINS0_14default_configELb0EPKdPdPKlPlN2at6native12_GLOBAL__N_18offset_tEEE10hipError_tPvRmT1_PNSt15iterator_traitsISY_E10value_typeET2_T3_PNSZ_IS14_E10value_typeET4_jRbjT5_S1A_jjP12ihipStream_tbEUljE_EEESV_SW_SX_S14_S18_S1A_T6_T7_T9_mT8_S1C_bDpT10_ENKUlT_T0_E_clISt17integral_constantIbLb1EES1O_IbLb0EEEEDaS1K_S1L_EUlS1K_E_NS1_11comp_targetILNS1_3genE9ELNS1_11target_archE1100ELNS1_3gpuE3ELNS1_3repE0EEENS1_30default_config_static_selectorELNS0_4arch9wavefront6targetE0EEEvSY_
	.p2align	8
	.type	_ZN7rocprim17ROCPRIM_400000_NS6detail17trampoline_kernelINS0_13select_configILj256ELj13ELNS0_17block_load_methodE3ELS4_3ELS4_3ELNS0_20block_scan_algorithmE0ELj4294967295EEENS1_25partition_config_selectorILNS1_17partition_subalgoE3EjNS0_10empty_typeEbEEZZNS1_14partition_implILS8_3ELb0ES6_jNS0_17counting_iteratorIjlEEPS9_SE_NS0_5tupleIJPjSE_EEENSF_IJSE_SE_EEES9_SG_JZNS1_25segmented_radix_sort_implINS0_14default_configELb0EPKdPdPKlPlN2at6native12_GLOBAL__N_18offset_tEEE10hipError_tPvRmT1_PNSt15iterator_traitsISY_E10value_typeET2_T3_PNSZ_IS14_E10value_typeET4_jRbjT5_S1A_jjP12ihipStream_tbEUljE_EEESV_SW_SX_S14_S18_S1A_T6_T7_T9_mT8_S1C_bDpT10_ENKUlT_T0_E_clISt17integral_constantIbLb1EES1O_IbLb0EEEEDaS1K_S1L_EUlS1K_E_NS1_11comp_targetILNS1_3genE9ELNS1_11target_archE1100ELNS1_3gpuE3ELNS1_3repE0EEENS1_30default_config_static_selectorELNS0_4arch9wavefront6targetE0EEEvSY_,@function
_ZN7rocprim17ROCPRIM_400000_NS6detail17trampoline_kernelINS0_13select_configILj256ELj13ELNS0_17block_load_methodE3ELS4_3ELS4_3ELNS0_20block_scan_algorithmE0ELj4294967295EEENS1_25partition_config_selectorILNS1_17partition_subalgoE3EjNS0_10empty_typeEbEEZZNS1_14partition_implILS8_3ELb0ES6_jNS0_17counting_iteratorIjlEEPS9_SE_NS0_5tupleIJPjSE_EEENSF_IJSE_SE_EEES9_SG_JZNS1_25segmented_radix_sort_implINS0_14default_configELb0EPKdPdPKlPlN2at6native12_GLOBAL__N_18offset_tEEE10hipError_tPvRmT1_PNSt15iterator_traitsISY_E10value_typeET2_T3_PNSZ_IS14_E10value_typeET4_jRbjT5_S1A_jjP12ihipStream_tbEUljE_EEESV_SW_SX_S14_S18_S1A_T6_T7_T9_mT8_S1C_bDpT10_ENKUlT_T0_E_clISt17integral_constantIbLb1EES1O_IbLb0EEEEDaS1K_S1L_EUlS1K_E_NS1_11comp_targetILNS1_3genE9ELNS1_11target_archE1100ELNS1_3gpuE3ELNS1_3repE0EEENS1_30default_config_static_selectorELNS0_4arch9wavefront6targetE0EEEvSY_: ; @_ZN7rocprim17ROCPRIM_400000_NS6detail17trampoline_kernelINS0_13select_configILj256ELj13ELNS0_17block_load_methodE3ELS4_3ELS4_3ELNS0_20block_scan_algorithmE0ELj4294967295EEENS1_25partition_config_selectorILNS1_17partition_subalgoE3EjNS0_10empty_typeEbEEZZNS1_14partition_implILS8_3ELb0ES6_jNS0_17counting_iteratorIjlEEPS9_SE_NS0_5tupleIJPjSE_EEENSF_IJSE_SE_EEES9_SG_JZNS1_25segmented_radix_sort_implINS0_14default_configELb0EPKdPdPKlPlN2at6native12_GLOBAL__N_18offset_tEEE10hipError_tPvRmT1_PNSt15iterator_traitsISY_E10value_typeET2_T3_PNSZ_IS14_E10value_typeET4_jRbjT5_S1A_jjP12ihipStream_tbEUljE_EEESV_SW_SX_S14_S18_S1A_T6_T7_T9_mT8_S1C_bDpT10_ENKUlT_T0_E_clISt17integral_constantIbLb1EES1O_IbLb0EEEEDaS1K_S1L_EUlS1K_E_NS1_11comp_targetILNS1_3genE9ELNS1_11target_archE1100ELNS1_3gpuE3ELNS1_3repE0EEENS1_30default_config_static_selectorELNS0_4arch9wavefront6targetE0EEEvSY_
; %bb.0:
	.section	.rodata,"a",@progbits
	.p2align	6, 0x0
	.amdhsa_kernel _ZN7rocprim17ROCPRIM_400000_NS6detail17trampoline_kernelINS0_13select_configILj256ELj13ELNS0_17block_load_methodE3ELS4_3ELS4_3ELNS0_20block_scan_algorithmE0ELj4294967295EEENS1_25partition_config_selectorILNS1_17partition_subalgoE3EjNS0_10empty_typeEbEEZZNS1_14partition_implILS8_3ELb0ES6_jNS0_17counting_iteratorIjlEEPS9_SE_NS0_5tupleIJPjSE_EEENSF_IJSE_SE_EEES9_SG_JZNS1_25segmented_radix_sort_implINS0_14default_configELb0EPKdPdPKlPlN2at6native12_GLOBAL__N_18offset_tEEE10hipError_tPvRmT1_PNSt15iterator_traitsISY_E10value_typeET2_T3_PNSZ_IS14_E10value_typeET4_jRbjT5_S1A_jjP12ihipStream_tbEUljE_EEESV_SW_SX_S14_S18_S1A_T6_T7_T9_mT8_S1C_bDpT10_ENKUlT_T0_E_clISt17integral_constantIbLb1EES1O_IbLb0EEEEDaS1K_S1L_EUlS1K_E_NS1_11comp_targetILNS1_3genE9ELNS1_11target_archE1100ELNS1_3gpuE3ELNS1_3repE0EEENS1_30default_config_static_selectorELNS0_4arch9wavefront6targetE0EEEvSY_
		.amdhsa_group_segment_fixed_size 0
		.amdhsa_private_segment_fixed_size 0
		.amdhsa_kernarg_size 144
		.amdhsa_user_sgpr_count 2
		.amdhsa_user_sgpr_dispatch_ptr 0
		.amdhsa_user_sgpr_queue_ptr 0
		.amdhsa_user_sgpr_kernarg_segment_ptr 1
		.amdhsa_user_sgpr_dispatch_id 0
		.amdhsa_user_sgpr_kernarg_preload_length 0
		.amdhsa_user_sgpr_kernarg_preload_offset 0
		.amdhsa_user_sgpr_private_segment_size 0
		.amdhsa_wavefront_size32 1
		.amdhsa_uses_dynamic_stack 0
		.amdhsa_enable_private_segment 0
		.amdhsa_system_sgpr_workgroup_id_x 1
		.amdhsa_system_sgpr_workgroup_id_y 0
		.amdhsa_system_sgpr_workgroup_id_z 0
		.amdhsa_system_sgpr_workgroup_info 0
		.amdhsa_system_vgpr_workitem_id 0
		.amdhsa_next_free_vgpr 1
		.amdhsa_next_free_sgpr 1
		.amdhsa_named_barrier_count 0
		.amdhsa_reserve_vcc 0
		.amdhsa_float_round_mode_32 0
		.amdhsa_float_round_mode_16_64 0
		.amdhsa_float_denorm_mode_32 3
		.amdhsa_float_denorm_mode_16_64 3
		.amdhsa_fp16_overflow 0
		.amdhsa_memory_ordered 1
		.amdhsa_forward_progress 1
		.amdhsa_inst_pref_size 0
		.amdhsa_round_robin_scheduling 0
		.amdhsa_exception_fp_ieee_invalid_op 0
		.amdhsa_exception_fp_denorm_src 0
		.amdhsa_exception_fp_ieee_div_zero 0
		.amdhsa_exception_fp_ieee_overflow 0
		.amdhsa_exception_fp_ieee_underflow 0
		.amdhsa_exception_fp_ieee_inexact 0
		.amdhsa_exception_int_div_zero 0
	.end_amdhsa_kernel
	.section	.text._ZN7rocprim17ROCPRIM_400000_NS6detail17trampoline_kernelINS0_13select_configILj256ELj13ELNS0_17block_load_methodE3ELS4_3ELS4_3ELNS0_20block_scan_algorithmE0ELj4294967295EEENS1_25partition_config_selectorILNS1_17partition_subalgoE3EjNS0_10empty_typeEbEEZZNS1_14partition_implILS8_3ELb0ES6_jNS0_17counting_iteratorIjlEEPS9_SE_NS0_5tupleIJPjSE_EEENSF_IJSE_SE_EEES9_SG_JZNS1_25segmented_radix_sort_implINS0_14default_configELb0EPKdPdPKlPlN2at6native12_GLOBAL__N_18offset_tEEE10hipError_tPvRmT1_PNSt15iterator_traitsISY_E10value_typeET2_T3_PNSZ_IS14_E10value_typeET4_jRbjT5_S1A_jjP12ihipStream_tbEUljE_EEESV_SW_SX_S14_S18_S1A_T6_T7_T9_mT8_S1C_bDpT10_ENKUlT_T0_E_clISt17integral_constantIbLb1EES1O_IbLb0EEEEDaS1K_S1L_EUlS1K_E_NS1_11comp_targetILNS1_3genE9ELNS1_11target_archE1100ELNS1_3gpuE3ELNS1_3repE0EEENS1_30default_config_static_selectorELNS0_4arch9wavefront6targetE0EEEvSY_,"axG",@progbits,_ZN7rocprim17ROCPRIM_400000_NS6detail17trampoline_kernelINS0_13select_configILj256ELj13ELNS0_17block_load_methodE3ELS4_3ELS4_3ELNS0_20block_scan_algorithmE0ELj4294967295EEENS1_25partition_config_selectorILNS1_17partition_subalgoE3EjNS0_10empty_typeEbEEZZNS1_14partition_implILS8_3ELb0ES6_jNS0_17counting_iteratorIjlEEPS9_SE_NS0_5tupleIJPjSE_EEENSF_IJSE_SE_EEES9_SG_JZNS1_25segmented_radix_sort_implINS0_14default_configELb0EPKdPdPKlPlN2at6native12_GLOBAL__N_18offset_tEEE10hipError_tPvRmT1_PNSt15iterator_traitsISY_E10value_typeET2_T3_PNSZ_IS14_E10value_typeET4_jRbjT5_S1A_jjP12ihipStream_tbEUljE_EEESV_SW_SX_S14_S18_S1A_T6_T7_T9_mT8_S1C_bDpT10_ENKUlT_T0_E_clISt17integral_constantIbLb1EES1O_IbLb0EEEEDaS1K_S1L_EUlS1K_E_NS1_11comp_targetILNS1_3genE9ELNS1_11target_archE1100ELNS1_3gpuE3ELNS1_3repE0EEENS1_30default_config_static_selectorELNS0_4arch9wavefront6targetE0EEEvSY_,comdat
.Lfunc_end1205:
	.size	_ZN7rocprim17ROCPRIM_400000_NS6detail17trampoline_kernelINS0_13select_configILj256ELj13ELNS0_17block_load_methodE3ELS4_3ELS4_3ELNS0_20block_scan_algorithmE0ELj4294967295EEENS1_25partition_config_selectorILNS1_17partition_subalgoE3EjNS0_10empty_typeEbEEZZNS1_14partition_implILS8_3ELb0ES6_jNS0_17counting_iteratorIjlEEPS9_SE_NS0_5tupleIJPjSE_EEENSF_IJSE_SE_EEES9_SG_JZNS1_25segmented_radix_sort_implINS0_14default_configELb0EPKdPdPKlPlN2at6native12_GLOBAL__N_18offset_tEEE10hipError_tPvRmT1_PNSt15iterator_traitsISY_E10value_typeET2_T3_PNSZ_IS14_E10value_typeET4_jRbjT5_S1A_jjP12ihipStream_tbEUljE_EEESV_SW_SX_S14_S18_S1A_T6_T7_T9_mT8_S1C_bDpT10_ENKUlT_T0_E_clISt17integral_constantIbLb1EES1O_IbLb0EEEEDaS1K_S1L_EUlS1K_E_NS1_11comp_targetILNS1_3genE9ELNS1_11target_archE1100ELNS1_3gpuE3ELNS1_3repE0EEENS1_30default_config_static_selectorELNS0_4arch9wavefront6targetE0EEEvSY_, .Lfunc_end1205-_ZN7rocprim17ROCPRIM_400000_NS6detail17trampoline_kernelINS0_13select_configILj256ELj13ELNS0_17block_load_methodE3ELS4_3ELS4_3ELNS0_20block_scan_algorithmE0ELj4294967295EEENS1_25partition_config_selectorILNS1_17partition_subalgoE3EjNS0_10empty_typeEbEEZZNS1_14partition_implILS8_3ELb0ES6_jNS0_17counting_iteratorIjlEEPS9_SE_NS0_5tupleIJPjSE_EEENSF_IJSE_SE_EEES9_SG_JZNS1_25segmented_radix_sort_implINS0_14default_configELb0EPKdPdPKlPlN2at6native12_GLOBAL__N_18offset_tEEE10hipError_tPvRmT1_PNSt15iterator_traitsISY_E10value_typeET2_T3_PNSZ_IS14_E10value_typeET4_jRbjT5_S1A_jjP12ihipStream_tbEUljE_EEESV_SW_SX_S14_S18_S1A_T6_T7_T9_mT8_S1C_bDpT10_ENKUlT_T0_E_clISt17integral_constantIbLb1EES1O_IbLb0EEEEDaS1K_S1L_EUlS1K_E_NS1_11comp_targetILNS1_3genE9ELNS1_11target_archE1100ELNS1_3gpuE3ELNS1_3repE0EEENS1_30default_config_static_selectorELNS0_4arch9wavefront6targetE0EEEvSY_
                                        ; -- End function
	.set _ZN7rocprim17ROCPRIM_400000_NS6detail17trampoline_kernelINS0_13select_configILj256ELj13ELNS0_17block_load_methodE3ELS4_3ELS4_3ELNS0_20block_scan_algorithmE0ELj4294967295EEENS1_25partition_config_selectorILNS1_17partition_subalgoE3EjNS0_10empty_typeEbEEZZNS1_14partition_implILS8_3ELb0ES6_jNS0_17counting_iteratorIjlEEPS9_SE_NS0_5tupleIJPjSE_EEENSF_IJSE_SE_EEES9_SG_JZNS1_25segmented_radix_sort_implINS0_14default_configELb0EPKdPdPKlPlN2at6native12_GLOBAL__N_18offset_tEEE10hipError_tPvRmT1_PNSt15iterator_traitsISY_E10value_typeET2_T3_PNSZ_IS14_E10value_typeET4_jRbjT5_S1A_jjP12ihipStream_tbEUljE_EEESV_SW_SX_S14_S18_S1A_T6_T7_T9_mT8_S1C_bDpT10_ENKUlT_T0_E_clISt17integral_constantIbLb1EES1O_IbLb0EEEEDaS1K_S1L_EUlS1K_E_NS1_11comp_targetILNS1_3genE9ELNS1_11target_archE1100ELNS1_3gpuE3ELNS1_3repE0EEENS1_30default_config_static_selectorELNS0_4arch9wavefront6targetE0EEEvSY_.num_vgpr, 0
	.set _ZN7rocprim17ROCPRIM_400000_NS6detail17trampoline_kernelINS0_13select_configILj256ELj13ELNS0_17block_load_methodE3ELS4_3ELS4_3ELNS0_20block_scan_algorithmE0ELj4294967295EEENS1_25partition_config_selectorILNS1_17partition_subalgoE3EjNS0_10empty_typeEbEEZZNS1_14partition_implILS8_3ELb0ES6_jNS0_17counting_iteratorIjlEEPS9_SE_NS0_5tupleIJPjSE_EEENSF_IJSE_SE_EEES9_SG_JZNS1_25segmented_radix_sort_implINS0_14default_configELb0EPKdPdPKlPlN2at6native12_GLOBAL__N_18offset_tEEE10hipError_tPvRmT1_PNSt15iterator_traitsISY_E10value_typeET2_T3_PNSZ_IS14_E10value_typeET4_jRbjT5_S1A_jjP12ihipStream_tbEUljE_EEESV_SW_SX_S14_S18_S1A_T6_T7_T9_mT8_S1C_bDpT10_ENKUlT_T0_E_clISt17integral_constantIbLb1EES1O_IbLb0EEEEDaS1K_S1L_EUlS1K_E_NS1_11comp_targetILNS1_3genE9ELNS1_11target_archE1100ELNS1_3gpuE3ELNS1_3repE0EEENS1_30default_config_static_selectorELNS0_4arch9wavefront6targetE0EEEvSY_.num_agpr, 0
	.set _ZN7rocprim17ROCPRIM_400000_NS6detail17trampoline_kernelINS0_13select_configILj256ELj13ELNS0_17block_load_methodE3ELS4_3ELS4_3ELNS0_20block_scan_algorithmE0ELj4294967295EEENS1_25partition_config_selectorILNS1_17partition_subalgoE3EjNS0_10empty_typeEbEEZZNS1_14partition_implILS8_3ELb0ES6_jNS0_17counting_iteratorIjlEEPS9_SE_NS0_5tupleIJPjSE_EEENSF_IJSE_SE_EEES9_SG_JZNS1_25segmented_radix_sort_implINS0_14default_configELb0EPKdPdPKlPlN2at6native12_GLOBAL__N_18offset_tEEE10hipError_tPvRmT1_PNSt15iterator_traitsISY_E10value_typeET2_T3_PNSZ_IS14_E10value_typeET4_jRbjT5_S1A_jjP12ihipStream_tbEUljE_EEESV_SW_SX_S14_S18_S1A_T6_T7_T9_mT8_S1C_bDpT10_ENKUlT_T0_E_clISt17integral_constantIbLb1EES1O_IbLb0EEEEDaS1K_S1L_EUlS1K_E_NS1_11comp_targetILNS1_3genE9ELNS1_11target_archE1100ELNS1_3gpuE3ELNS1_3repE0EEENS1_30default_config_static_selectorELNS0_4arch9wavefront6targetE0EEEvSY_.numbered_sgpr, 0
	.set _ZN7rocprim17ROCPRIM_400000_NS6detail17trampoline_kernelINS0_13select_configILj256ELj13ELNS0_17block_load_methodE3ELS4_3ELS4_3ELNS0_20block_scan_algorithmE0ELj4294967295EEENS1_25partition_config_selectorILNS1_17partition_subalgoE3EjNS0_10empty_typeEbEEZZNS1_14partition_implILS8_3ELb0ES6_jNS0_17counting_iteratorIjlEEPS9_SE_NS0_5tupleIJPjSE_EEENSF_IJSE_SE_EEES9_SG_JZNS1_25segmented_radix_sort_implINS0_14default_configELb0EPKdPdPKlPlN2at6native12_GLOBAL__N_18offset_tEEE10hipError_tPvRmT1_PNSt15iterator_traitsISY_E10value_typeET2_T3_PNSZ_IS14_E10value_typeET4_jRbjT5_S1A_jjP12ihipStream_tbEUljE_EEESV_SW_SX_S14_S18_S1A_T6_T7_T9_mT8_S1C_bDpT10_ENKUlT_T0_E_clISt17integral_constantIbLb1EES1O_IbLb0EEEEDaS1K_S1L_EUlS1K_E_NS1_11comp_targetILNS1_3genE9ELNS1_11target_archE1100ELNS1_3gpuE3ELNS1_3repE0EEENS1_30default_config_static_selectorELNS0_4arch9wavefront6targetE0EEEvSY_.num_named_barrier, 0
	.set _ZN7rocprim17ROCPRIM_400000_NS6detail17trampoline_kernelINS0_13select_configILj256ELj13ELNS0_17block_load_methodE3ELS4_3ELS4_3ELNS0_20block_scan_algorithmE0ELj4294967295EEENS1_25partition_config_selectorILNS1_17partition_subalgoE3EjNS0_10empty_typeEbEEZZNS1_14partition_implILS8_3ELb0ES6_jNS0_17counting_iteratorIjlEEPS9_SE_NS0_5tupleIJPjSE_EEENSF_IJSE_SE_EEES9_SG_JZNS1_25segmented_radix_sort_implINS0_14default_configELb0EPKdPdPKlPlN2at6native12_GLOBAL__N_18offset_tEEE10hipError_tPvRmT1_PNSt15iterator_traitsISY_E10value_typeET2_T3_PNSZ_IS14_E10value_typeET4_jRbjT5_S1A_jjP12ihipStream_tbEUljE_EEESV_SW_SX_S14_S18_S1A_T6_T7_T9_mT8_S1C_bDpT10_ENKUlT_T0_E_clISt17integral_constantIbLb1EES1O_IbLb0EEEEDaS1K_S1L_EUlS1K_E_NS1_11comp_targetILNS1_3genE9ELNS1_11target_archE1100ELNS1_3gpuE3ELNS1_3repE0EEENS1_30default_config_static_selectorELNS0_4arch9wavefront6targetE0EEEvSY_.private_seg_size, 0
	.set _ZN7rocprim17ROCPRIM_400000_NS6detail17trampoline_kernelINS0_13select_configILj256ELj13ELNS0_17block_load_methodE3ELS4_3ELS4_3ELNS0_20block_scan_algorithmE0ELj4294967295EEENS1_25partition_config_selectorILNS1_17partition_subalgoE3EjNS0_10empty_typeEbEEZZNS1_14partition_implILS8_3ELb0ES6_jNS0_17counting_iteratorIjlEEPS9_SE_NS0_5tupleIJPjSE_EEENSF_IJSE_SE_EEES9_SG_JZNS1_25segmented_radix_sort_implINS0_14default_configELb0EPKdPdPKlPlN2at6native12_GLOBAL__N_18offset_tEEE10hipError_tPvRmT1_PNSt15iterator_traitsISY_E10value_typeET2_T3_PNSZ_IS14_E10value_typeET4_jRbjT5_S1A_jjP12ihipStream_tbEUljE_EEESV_SW_SX_S14_S18_S1A_T6_T7_T9_mT8_S1C_bDpT10_ENKUlT_T0_E_clISt17integral_constantIbLb1EES1O_IbLb0EEEEDaS1K_S1L_EUlS1K_E_NS1_11comp_targetILNS1_3genE9ELNS1_11target_archE1100ELNS1_3gpuE3ELNS1_3repE0EEENS1_30default_config_static_selectorELNS0_4arch9wavefront6targetE0EEEvSY_.uses_vcc, 0
	.set _ZN7rocprim17ROCPRIM_400000_NS6detail17trampoline_kernelINS0_13select_configILj256ELj13ELNS0_17block_load_methodE3ELS4_3ELS4_3ELNS0_20block_scan_algorithmE0ELj4294967295EEENS1_25partition_config_selectorILNS1_17partition_subalgoE3EjNS0_10empty_typeEbEEZZNS1_14partition_implILS8_3ELb0ES6_jNS0_17counting_iteratorIjlEEPS9_SE_NS0_5tupleIJPjSE_EEENSF_IJSE_SE_EEES9_SG_JZNS1_25segmented_radix_sort_implINS0_14default_configELb0EPKdPdPKlPlN2at6native12_GLOBAL__N_18offset_tEEE10hipError_tPvRmT1_PNSt15iterator_traitsISY_E10value_typeET2_T3_PNSZ_IS14_E10value_typeET4_jRbjT5_S1A_jjP12ihipStream_tbEUljE_EEESV_SW_SX_S14_S18_S1A_T6_T7_T9_mT8_S1C_bDpT10_ENKUlT_T0_E_clISt17integral_constantIbLb1EES1O_IbLb0EEEEDaS1K_S1L_EUlS1K_E_NS1_11comp_targetILNS1_3genE9ELNS1_11target_archE1100ELNS1_3gpuE3ELNS1_3repE0EEENS1_30default_config_static_selectorELNS0_4arch9wavefront6targetE0EEEvSY_.uses_flat_scratch, 0
	.set _ZN7rocprim17ROCPRIM_400000_NS6detail17trampoline_kernelINS0_13select_configILj256ELj13ELNS0_17block_load_methodE3ELS4_3ELS4_3ELNS0_20block_scan_algorithmE0ELj4294967295EEENS1_25partition_config_selectorILNS1_17partition_subalgoE3EjNS0_10empty_typeEbEEZZNS1_14partition_implILS8_3ELb0ES6_jNS0_17counting_iteratorIjlEEPS9_SE_NS0_5tupleIJPjSE_EEENSF_IJSE_SE_EEES9_SG_JZNS1_25segmented_radix_sort_implINS0_14default_configELb0EPKdPdPKlPlN2at6native12_GLOBAL__N_18offset_tEEE10hipError_tPvRmT1_PNSt15iterator_traitsISY_E10value_typeET2_T3_PNSZ_IS14_E10value_typeET4_jRbjT5_S1A_jjP12ihipStream_tbEUljE_EEESV_SW_SX_S14_S18_S1A_T6_T7_T9_mT8_S1C_bDpT10_ENKUlT_T0_E_clISt17integral_constantIbLb1EES1O_IbLb0EEEEDaS1K_S1L_EUlS1K_E_NS1_11comp_targetILNS1_3genE9ELNS1_11target_archE1100ELNS1_3gpuE3ELNS1_3repE0EEENS1_30default_config_static_selectorELNS0_4arch9wavefront6targetE0EEEvSY_.has_dyn_sized_stack, 0
	.set _ZN7rocprim17ROCPRIM_400000_NS6detail17trampoline_kernelINS0_13select_configILj256ELj13ELNS0_17block_load_methodE3ELS4_3ELS4_3ELNS0_20block_scan_algorithmE0ELj4294967295EEENS1_25partition_config_selectorILNS1_17partition_subalgoE3EjNS0_10empty_typeEbEEZZNS1_14partition_implILS8_3ELb0ES6_jNS0_17counting_iteratorIjlEEPS9_SE_NS0_5tupleIJPjSE_EEENSF_IJSE_SE_EEES9_SG_JZNS1_25segmented_radix_sort_implINS0_14default_configELb0EPKdPdPKlPlN2at6native12_GLOBAL__N_18offset_tEEE10hipError_tPvRmT1_PNSt15iterator_traitsISY_E10value_typeET2_T3_PNSZ_IS14_E10value_typeET4_jRbjT5_S1A_jjP12ihipStream_tbEUljE_EEESV_SW_SX_S14_S18_S1A_T6_T7_T9_mT8_S1C_bDpT10_ENKUlT_T0_E_clISt17integral_constantIbLb1EES1O_IbLb0EEEEDaS1K_S1L_EUlS1K_E_NS1_11comp_targetILNS1_3genE9ELNS1_11target_archE1100ELNS1_3gpuE3ELNS1_3repE0EEENS1_30default_config_static_selectorELNS0_4arch9wavefront6targetE0EEEvSY_.has_recursion, 0
	.set _ZN7rocprim17ROCPRIM_400000_NS6detail17trampoline_kernelINS0_13select_configILj256ELj13ELNS0_17block_load_methodE3ELS4_3ELS4_3ELNS0_20block_scan_algorithmE0ELj4294967295EEENS1_25partition_config_selectorILNS1_17partition_subalgoE3EjNS0_10empty_typeEbEEZZNS1_14partition_implILS8_3ELb0ES6_jNS0_17counting_iteratorIjlEEPS9_SE_NS0_5tupleIJPjSE_EEENSF_IJSE_SE_EEES9_SG_JZNS1_25segmented_radix_sort_implINS0_14default_configELb0EPKdPdPKlPlN2at6native12_GLOBAL__N_18offset_tEEE10hipError_tPvRmT1_PNSt15iterator_traitsISY_E10value_typeET2_T3_PNSZ_IS14_E10value_typeET4_jRbjT5_S1A_jjP12ihipStream_tbEUljE_EEESV_SW_SX_S14_S18_S1A_T6_T7_T9_mT8_S1C_bDpT10_ENKUlT_T0_E_clISt17integral_constantIbLb1EES1O_IbLb0EEEEDaS1K_S1L_EUlS1K_E_NS1_11comp_targetILNS1_3genE9ELNS1_11target_archE1100ELNS1_3gpuE3ELNS1_3repE0EEENS1_30default_config_static_selectorELNS0_4arch9wavefront6targetE0EEEvSY_.has_indirect_call, 0
	.section	.AMDGPU.csdata,"",@progbits
; Kernel info:
; codeLenInByte = 0
; TotalNumSgprs: 0
; NumVgprs: 0
; ScratchSize: 0
; MemoryBound: 0
; FloatMode: 240
; IeeeMode: 1
; LDSByteSize: 0 bytes/workgroup (compile time only)
; SGPRBlocks: 0
; VGPRBlocks: 0
; NumSGPRsForWavesPerEU: 1
; NumVGPRsForWavesPerEU: 1
; NamedBarCnt: 0
; Occupancy: 16
; WaveLimiterHint : 0
; COMPUTE_PGM_RSRC2:SCRATCH_EN: 0
; COMPUTE_PGM_RSRC2:USER_SGPR: 2
; COMPUTE_PGM_RSRC2:TRAP_HANDLER: 0
; COMPUTE_PGM_RSRC2:TGID_X_EN: 1
; COMPUTE_PGM_RSRC2:TGID_Y_EN: 0
; COMPUTE_PGM_RSRC2:TGID_Z_EN: 0
; COMPUTE_PGM_RSRC2:TIDIG_COMP_CNT: 0
	.section	.text._ZN7rocprim17ROCPRIM_400000_NS6detail17trampoline_kernelINS0_13select_configILj256ELj13ELNS0_17block_load_methodE3ELS4_3ELS4_3ELNS0_20block_scan_algorithmE0ELj4294967295EEENS1_25partition_config_selectorILNS1_17partition_subalgoE3EjNS0_10empty_typeEbEEZZNS1_14partition_implILS8_3ELb0ES6_jNS0_17counting_iteratorIjlEEPS9_SE_NS0_5tupleIJPjSE_EEENSF_IJSE_SE_EEES9_SG_JZNS1_25segmented_radix_sort_implINS0_14default_configELb0EPKdPdPKlPlN2at6native12_GLOBAL__N_18offset_tEEE10hipError_tPvRmT1_PNSt15iterator_traitsISY_E10value_typeET2_T3_PNSZ_IS14_E10value_typeET4_jRbjT5_S1A_jjP12ihipStream_tbEUljE_EEESV_SW_SX_S14_S18_S1A_T6_T7_T9_mT8_S1C_bDpT10_ENKUlT_T0_E_clISt17integral_constantIbLb1EES1O_IbLb0EEEEDaS1K_S1L_EUlS1K_E_NS1_11comp_targetILNS1_3genE8ELNS1_11target_archE1030ELNS1_3gpuE2ELNS1_3repE0EEENS1_30default_config_static_selectorELNS0_4arch9wavefront6targetE0EEEvSY_,"axG",@progbits,_ZN7rocprim17ROCPRIM_400000_NS6detail17trampoline_kernelINS0_13select_configILj256ELj13ELNS0_17block_load_methodE3ELS4_3ELS4_3ELNS0_20block_scan_algorithmE0ELj4294967295EEENS1_25partition_config_selectorILNS1_17partition_subalgoE3EjNS0_10empty_typeEbEEZZNS1_14partition_implILS8_3ELb0ES6_jNS0_17counting_iteratorIjlEEPS9_SE_NS0_5tupleIJPjSE_EEENSF_IJSE_SE_EEES9_SG_JZNS1_25segmented_radix_sort_implINS0_14default_configELb0EPKdPdPKlPlN2at6native12_GLOBAL__N_18offset_tEEE10hipError_tPvRmT1_PNSt15iterator_traitsISY_E10value_typeET2_T3_PNSZ_IS14_E10value_typeET4_jRbjT5_S1A_jjP12ihipStream_tbEUljE_EEESV_SW_SX_S14_S18_S1A_T6_T7_T9_mT8_S1C_bDpT10_ENKUlT_T0_E_clISt17integral_constantIbLb1EES1O_IbLb0EEEEDaS1K_S1L_EUlS1K_E_NS1_11comp_targetILNS1_3genE8ELNS1_11target_archE1030ELNS1_3gpuE2ELNS1_3repE0EEENS1_30default_config_static_selectorELNS0_4arch9wavefront6targetE0EEEvSY_,comdat
	.globl	_ZN7rocprim17ROCPRIM_400000_NS6detail17trampoline_kernelINS0_13select_configILj256ELj13ELNS0_17block_load_methodE3ELS4_3ELS4_3ELNS0_20block_scan_algorithmE0ELj4294967295EEENS1_25partition_config_selectorILNS1_17partition_subalgoE3EjNS0_10empty_typeEbEEZZNS1_14partition_implILS8_3ELb0ES6_jNS0_17counting_iteratorIjlEEPS9_SE_NS0_5tupleIJPjSE_EEENSF_IJSE_SE_EEES9_SG_JZNS1_25segmented_radix_sort_implINS0_14default_configELb0EPKdPdPKlPlN2at6native12_GLOBAL__N_18offset_tEEE10hipError_tPvRmT1_PNSt15iterator_traitsISY_E10value_typeET2_T3_PNSZ_IS14_E10value_typeET4_jRbjT5_S1A_jjP12ihipStream_tbEUljE_EEESV_SW_SX_S14_S18_S1A_T6_T7_T9_mT8_S1C_bDpT10_ENKUlT_T0_E_clISt17integral_constantIbLb1EES1O_IbLb0EEEEDaS1K_S1L_EUlS1K_E_NS1_11comp_targetILNS1_3genE8ELNS1_11target_archE1030ELNS1_3gpuE2ELNS1_3repE0EEENS1_30default_config_static_selectorELNS0_4arch9wavefront6targetE0EEEvSY_ ; -- Begin function _ZN7rocprim17ROCPRIM_400000_NS6detail17trampoline_kernelINS0_13select_configILj256ELj13ELNS0_17block_load_methodE3ELS4_3ELS4_3ELNS0_20block_scan_algorithmE0ELj4294967295EEENS1_25partition_config_selectorILNS1_17partition_subalgoE3EjNS0_10empty_typeEbEEZZNS1_14partition_implILS8_3ELb0ES6_jNS0_17counting_iteratorIjlEEPS9_SE_NS0_5tupleIJPjSE_EEENSF_IJSE_SE_EEES9_SG_JZNS1_25segmented_radix_sort_implINS0_14default_configELb0EPKdPdPKlPlN2at6native12_GLOBAL__N_18offset_tEEE10hipError_tPvRmT1_PNSt15iterator_traitsISY_E10value_typeET2_T3_PNSZ_IS14_E10value_typeET4_jRbjT5_S1A_jjP12ihipStream_tbEUljE_EEESV_SW_SX_S14_S18_S1A_T6_T7_T9_mT8_S1C_bDpT10_ENKUlT_T0_E_clISt17integral_constantIbLb1EES1O_IbLb0EEEEDaS1K_S1L_EUlS1K_E_NS1_11comp_targetILNS1_3genE8ELNS1_11target_archE1030ELNS1_3gpuE2ELNS1_3repE0EEENS1_30default_config_static_selectorELNS0_4arch9wavefront6targetE0EEEvSY_
	.p2align	8
	.type	_ZN7rocprim17ROCPRIM_400000_NS6detail17trampoline_kernelINS0_13select_configILj256ELj13ELNS0_17block_load_methodE3ELS4_3ELS4_3ELNS0_20block_scan_algorithmE0ELj4294967295EEENS1_25partition_config_selectorILNS1_17partition_subalgoE3EjNS0_10empty_typeEbEEZZNS1_14partition_implILS8_3ELb0ES6_jNS0_17counting_iteratorIjlEEPS9_SE_NS0_5tupleIJPjSE_EEENSF_IJSE_SE_EEES9_SG_JZNS1_25segmented_radix_sort_implINS0_14default_configELb0EPKdPdPKlPlN2at6native12_GLOBAL__N_18offset_tEEE10hipError_tPvRmT1_PNSt15iterator_traitsISY_E10value_typeET2_T3_PNSZ_IS14_E10value_typeET4_jRbjT5_S1A_jjP12ihipStream_tbEUljE_EEESV_SW_SX_S14_S18_S1A_T6_T7_T9_mT8_S1C_bDpT10_ENKUlT_T0_E_clISt17integral_constantIbLb1EES1O_IbLb0EEEEDaS1K_S1L_EUlS1K_E_NS1_11comp_targetILNS1_3genE8ELNS1_11target_archE1030ELNS1_3gpuE2ELNS1_3repE0EEENS1_30default_config_static_selectorELNS0_4arch9wavefront6targetE0EEEvSY_,@function
_ZN7rocprim17ROCPRIM_400000_NS6detail17trampoline_kernelINS0_13select_configILj256ELj13ELNS0_17block_load_methodE3ELS4_3ELS4_3ELNS0_20block_scan_algorithmE0ELj4294967295EEENS1_25partition_config_selectorILNS1_17partition_subalgoE3EjNS0_10empty_typeEbEEZZNS1_14partition_implILS8_3ELb0ES6_jNS0_17counting_iteratorIjlEEPS9_SE_NS0_5tupleIJPjSE_EEENSF_IJSE_SE_EEES9_SG_JZNS1_25segmented_radix_sort_implINS0_14default_configELb0EPKdPdPKlPlN2at6native12_GLOBAL__N_18offset_tEEE10hipError_tPvRmT1_PNSt15iterator_traitsISY_E10value_typeET2_T3_PNSZ_IS14_E10value_typeET4_jRbjT5_S1A_jjP12ihipStream_tbEUljE_EEESV_SW_SX_S14_S18_S1A_T6_T7_T9_mT8_S1C_bDpT10_ENKUlT_T0_E_clISt17integral_constantIbLb1EES1O_IbLb0EEEEDaS1K_S1L_EUlS1K_E_NS1_11comp_targetILNS1_3genE8ELNS1_11target_archE1030ELNS1_3gpuE2ELNS1_3repE0EEENS1_30default_config_static_selectorELNS0_4arch9wavefront6targetE0EEEvSY_: ; @_ZN7rocprim17ROCPRIM_400000_NS6detail17trampoline_kernelINS0_13select_configILj256ELj13ELNS0_17block_load_methodE3ELS4_3ELS4_3ELNS0_20block_scan_algorithmE0ELj4294967295EEENS1_25partition_config_selectorILNS1_17partition_subalgoE3EjNS0_10empty_typeEbEEZZNS1_14partition_implILS8_3ELb0ES6_jNS0_17counting_iteratorIjlEEPS9_SE_NS0_5tupleIJPjSE_EEENSF_IJSE_SE_EEES9_SG_JZNS1_25segmented_radix_sort_implINS0_14default_configELb0EPKdPdPKlPlN2at6native12_GLOBAL__N_18offset_tEEE10hipError_tPvRmT1_PNSt15iterator_traitsISY_E10value_typeET2_T3_PNSZ_IS14_E10value_typeET4_jRbjT5_S1A_jjP12ihipStream_tbEUljE_EEESV_SW_SX_S14_S18_S1A_T6_T7_T9_mT8_S1C_bDpT10_ENKUlT_T0_E_clISt17integral_constantIbLb1EES1O_IbLb0EEEEDaS1K_S1L_EUlS1K_E_NS1_11comp_targetILNS1_3genE8ELNS1_11target_archE1030ELNS1_3gpuE2ELNS1_3repE0EEENS1_30default_config_static_selectorELNS0_4arch9wavefront6targetE0EEEvSY_
; %bb.0:
	.section	.rodata,"a",@progbits
	.p2align	6, 0x0
	.amdhsa_kernel _ZN7rocprim17ROCPRIM_400000_NS6detail17trampoline_kernelINS0_13select_configILj256ELj13ELNS0_17block_load_methodE3ELS4_3ELS4_3ELNS0_20block_scan_algorithmE0ELj4294967295EEENS1_25partition_config_selectorILNS1_17partition_subalgoE3EjNS0_10empty_typeEbEEZZNS1_14partition_implILS8_3ELb0ES6_jNS0_17counting_iteratorIjlEEPS9_SE_NS0_5tupleIJPjSE_EEENSF_IJSE_SE_EEES9_SG_JZNS1_25segmented_radix_sort_implINS0_14default_configELb0EPKdPdPKlPlN2at6native12_GLOBAL__N_18offset_tEEE10hipError_tPvRmT1_PNSt15iterator_traitsISY_E10value_typeET2_T3_PNSZ_IS14_E10value_typeET4_jRbjT5_S1A_jjP12ihipStream_tbEUljE_EEESV_SW_SX_S14_S18_S1A_T6_T7_T9_mT8_S1C_bDpT10_ENKUlT_T0_E_clISt17integral_constantIbLb1EES1O_IbLb0EEEEDaS1K_S1L_EUlS1K_E_NS1_11comp_targetILNS1_3genE8ELNS1_11target_archE1030ELNS1_3gpuE2ELNS1_3repE0EEENS1_30default_config_static_selectorELNS0_4arch9wavefront6targetE0EEEvSY_
		.amdhsa_group_segment_fixed_size 0
		.amdhsa_private_segment_fixed_size 0
		.amdhsa_kernarg_size 144
		.amdhsa_user_sgpr_count 2
		.amdhsa_user_sgpr_dispatch_ptr 0
		.amdhsa_user_sgpr_queue_ptr 0
		.amdhsa_user_sgpr_kernarg_segment_ptr 1
		.amdhsa_user_sgpr_dispatch_id 0
		.amdhsa_user_sgpr_kernarg_preload_length 0
		.amdhsa_user_sgpr_kernarg_preload_offset 0
		.amdhsa_user_sgpr_private_segment_size 0
		.amdhsa_wavefront_size32 1
		.amdhsa_uses_dynamic_stack 0
		.amdhsa_enable_private_segment 0
		.amdhsa_system_sgpr_workgroup_id_x 1
		.amdhsa_system_sgpr_workgroup_id_y 0
		.amdhsa_system_sgpr_workgroup_id_z 0
		.amdhsa_system_sgpr_workgroup_info 0
		.amdhsa_system_vgpr_workitem_id 0
		.amdhsa_next_free_vgpr 1
		.amdhsa_next_free_sgpr 1
		.amdhsa_named_barrier_count 0
		.amdhsa_reserve_vcc 0
		.amdhsa_float_round_mode_32 0
		.amdhsa_float_round_mode_16_64 0
		.amdhsa_float_denorm_mode_32 3
		.amdhsa_float_denorm_mode_16_64 3
		.amdhsa_fp16_overflow 0
		.amdhsa_memory_ordered 1
		.amdhsa_forward_progress 1
		.amdhsa_inst_pref_size 0
		.amdhsa_round_robin_scheduling 0
		.amdhsa_exception_fp_ieee_invalid_op 0
		.amdhsa_exception_fp_denorm_src 0
		.amdhsa_exception_fp_ieee_div_zero 0
		.amdhsa_exception_fp_ieee_overflow 0
		.amdhsa_exception_fp_ieee_underflow 0
		.amdhsa_exception_fp_ieee_inexact 0
		.amdhsa_exception_int_div_zero 0
	.end_amdhsa_kernel
	.section	.text._ZN7rocprim17ROCPRIM_400000_NS6detail17trampoline_kernelINS0_13select_configILj256ELj13ELNS0_17block_load_methodE3ELS4_3ELS4_3ELNS0_20block_scan_algorithmE0ELj4294967295EEENS1_25partition_config_selectorILNS1_17partition_subalgoE3EjNS0_10empty_typeEbEEZZNS1_14partition_implILS8_3ELb0ES6_jNS0_17counting_iteratorIjlEEPS9_SE_NS0_5tupleIJPjSE_EEENSF_IJSE_SE_EEES9_SG_JZNS1_25segmented_radix_sort_implINS0_14default_configELb0EPKdPdPKlPlN2at6native12_GLOBAL__N_18offset_tEEE10hipError_tPvRmT1_PNSt15iterator_traitsISY_E10value_typeET2_T3_PNSZ_IS14_E10value_typeET4_jRbjT5_S1A_jjP12ihipStream_tbEUljE_EEESV_SW_SX_S14_S18_S1A_T6_T7_T9_mT8_S1C_bDpT10_ENKUlT_T0_E_clISt17integral_constantIbLb1EES1O_IbLb0EEEEDaS1K_S1L_EUlS1K_E_NS1_11comp_targetILNS1_3genE8ELNS1_11target_archE1030ELNS1_3gpuE2ELNS1_3repE0EEENS1_30default_config_static_selectorELNS0_4arch9wavefront6targetE0EEEvSY_,"axG",@progbits,_ZN7rocprim17ROCPRIM_400000_NS6detail17trampoline_kernelINS0_13select_configILj256ELj13ELNS0_17block_load_methodE3ELS4_3ELS4_3ELNS0_20block_scan_algorithmE0ELj4294967295EEENS1_25partition_config_selectorILNS1_17partition_subalgoE3EjNS0_10empty_typeEbEEZZNS1_14partition_implILS8_3ELb0ES6_jNS0_17counting_iteratorIjlEEPS9_SE_NS0_5tupleIJPjSE_EEENSF_IJSE_SE_EEES9_SG_JZNS1_25segmented_radix_sort_implINS0_14default_configELb0EPKdPdPKlPlN2at6native12_GLOBAL__N_18offset_tEEE10hipError_tPvRmT1_PNSt15iterator_traitsISY_E10value_typeET2_T3_PNSZ_IS14_E10value_typeET4_jRbjT5_S1A_jjP12ihipStream_tbEUljE_EEESV_SW_SX_S14_S18_S1A_T6_T7_T9_mT8_S1C_bDpT10_ENKUlT_T0_E_clISt17integral_constantIbLb1EES1O_IbLb0EEEEDaS1K_S1L_EUlS1K_E_NS1_11comp_targetILNS1_3genE8ELNS1_11target_archE1030ELNS1_3gpuE2ELNS1_3repE0EEENS1_30default_config_static_selectorELNS0_4arch9wavefront6targetE0EEEvSY_,comdat
.Lfunc_end1206:
	.size	_ZN7rocprim17ROCPRIM_400000_NS6detail17trampoline_kernelINS0_13select_configILj256ELj13ELNS0_17block_load_methodE3ELS4_3ELS4_3ELNS0_20block_scan_algorithmE0ELj4294967295EEENS1_25partition_config_selectorILNS1_17partition_subalgoE3EjNS0_10empty_typeEbEEZZNS1_14partition_implILS8_3ELb0ES6_jNS0_17counting_iteratorIjlEEPS9_SE_NS0_5tupleIJPjSE_EEENSF_IJSE_SE_EEES9_SG_JZNS1_25segmented_radix_sort_implINS0_14default_configELb0EPKdPdPKlPlN2at6native12_GLOBAL__N_18offset_tEEE10hipError_tPvRmT1_PNSt15iterator_traitsISY_E10value_typeET2_T3_PNSZ_IS14_E10value_typeET4_jRbjT5_S1A_jjP12ihipStream_tbEUljE_EEESV_SW_SX_S14_S18_S1A_T6_T7_T9_mT8_S1C_bDpT10_ENKUlT_T0_E_clISt17integral_constantIbLb1EES1O_IbLb0EEEEDaS1K_S1L_EUlS1K_E_NS1_11comp_targetILNS1_3genE8ELNS1_11target_archE1030ELNS1_3gpuE2ELNS1_3repE0EEENS1_30default_config_static_selectorELNS0_4arch9wavefront6targetE0EEEvSY_, .Lfunc_end1206-_ZN7rocprim17ROCPRIM_400000_NS6detail17trampoline_kernelINS0_13select_configILj256ELj13ELNS0_17block_load_methodE3ELS4_3ELS4_3ELNS0_20block_scan_algorithmE0ELj4294967295EEENS1_25partition_config_selectorILNS1_17partition_subalgoE3EjNS0_10empty_typeEbEEZZNS1_14partition_implILS8_3ELb0ES6_jNS0_17counting_iteratorIjlEEPS9_SE_NS0_5tupleIJPjSE_EEENSF_IJSE_SE_EEES9_SG_JZNS1_25segmented_radix_sort_implINS0_14default_configELb0EPKdPdPKlPlN2at6native12_GLOBAL__N_18offset_tEEE10hipError_tPvRmT1_PNSt15iterator_traitsISY_E10value_typeET2_T3_PNSZ_IS14_E10value_typeET4_jRbjT5_S1A_jjP12ihipStream_tbEUljE_EEESV_SW_SX_S14_S18_S1A_T6_T7_T9_mT8_S1C_bDpT10_ENKUlT_T0_E_clISt17integral_constantIbLb1EES1O_IbLb0EEEEDaS1K_S1L_EUlS1K_E_NS1_11comp_targetILNS1_3genE8ELNS1_11target_archE1030ELNS1_3gpuE2ELNS1_3repE0EEENS1_30default_config_static_selectorELNS0_4arch9wavefront6targetE0EEEvSY_
                                        ; -- End function
	.set _ZN7rocprim17ROCPRIM_400000_NS6detail17trampoline_kernelINS0_13select_configILj256ELj13ELNS0_17block_load_methodE3ELS4_3ELS4_3ELNS0_20block_scan_algorithmE0ELj4294967295EEENS1_25partition_config_selectorILNS1_17partition_subalgoE3EjNS0_10empty_typeEbEEZZNS1_14partition_implILS8_3ELb0ES6_jNS0_17counting_iteratorIjlEEPS9_SE_NS0_5tupleIJPjSE_EEENSF_IJSE_SE_EEES9_SG_JZNS1_25segmented_radix_sort_implINS0_14default_configELb0EPKdPdPKlPlN2at6native12_GLOBAL__N_18offset_tEEE10hipError_tPvRmT1_PNSt15iterator_traitsISY_E10value_typeET2_T3_PNSZ_IS14_E10value_typeET4_jRbjT5_S1A_jjP12ihipStream_tbEUljE_EEESV_SW_SX_S14_S18_S1A_T6_T7_T9_mT8_S1C_bDpT10_ENKUlT_T0_E_clISt17integral_constantIbLb1EES1O_IbLb0EEEEDaS1K_S1L_EUlS1K_E_NS1_11comp_targetILNS1_3genE8ELNS1_11target_archE1030ELNS1_3gpuE2ELNS1_3repE0EEENS1_30default_config_static_selectorELNS0_4arch9wavefront6targetE0EEEvSY_.num_vgpr, 0
	.set _ZN7rocprim17ROCPRIM_400000_NS6detail17trampoline_kernelINS0_13select_configILj256ELj13ELNS0_17block_load_methodE3ELS4_3ELS4_3ELNS0_20block_scan_algorithmE0ELj4294967295EEENS1_25partition_config_selectorILNS1_17partition_subalgoE3EjNS0_10empty_typeEbEEZZNS1_14partition_implILS8_3ELb0ES6_jNS0_17counting_iteratorIjlEEPS9_SE_NS0_5tupleIJPjSE_EEENSF_IJSE_SE_EEES9_SG_JZNS1_25segmented_radix_sort_implINS0_14default_configELb0EPKdPdPKlPlN2at6native12_GLOBAL__N_18offset_tEEE10hipError_tPvRmT1_PNSt15iterator_traitsISY_E10value_typeET2_T3_PNSZ_IS14_E10value_typeET4_jRbjT5_S1A_jjP12ihipStream_tbEUljE_EEESV_SW_SX_S14_S18_S1A_T6_T7_T9_mT8_S1C_bDpT10_ENKUlT_T0_E_clISt17integral_constantIbLb1EES1O_IbLb0EEEEDaS1K_S1L_EUlS1K_E_NS1_11comp_targetILNS1_3genE8ELNS1_11target_archE1030ELNS1_3gpuE2ELNS1_3repE0EEENS1_30default_config_static_selectorELNS0_4arch9wavefront6targetE0EEEvSY_.num_agpr, 0
	.set _ZN7rocprim17ROCPRIM_400000_NS6detail17trampoline_kernelINS0_13select_configILj256ELj13ELNS0_17block_load_methodE3ELS4_3ELS4_3ELNS0_20block_scan_algorithmE0ELj4294967295EEENS1_25partition_config_selectorILNS1_17partition_subalgoE3EjNS0_10empty_typeEbEEZZNS1_14partition_implILS8_3ELb0ES6_jNS0_17counting_iteratorIjlEEPS9_SE_NS0_5tupleIJPjSE_EEENSF_IJSE_SE_EEES9_SG_JZNS1_25segmented_radix_sort_implINS0_14default_configELb0EPKdPdPKlPlN2at6native12_GLOBAL__N_18offset_tEEE10hipError_tPvRmT1_PNSt15iterator_traitsISY_E10value_typeET2_T3_PNSZ_IS14_E10value_typeET4_jRbjT5_S1A_jjP12ihipStream_tbEUljE_EEESV_SW_SX_S14_S18_S1A_T6_T7_T9_mT8_S1C_bDpT10_ENKUlT_T0_E_clISt17integral_constantIbLb1EES1O_IbLb0EEEEDaS1K_S1L_EUlS1K_E_NS1_11comp_targetILNS1_3genE8ELNS1_11target_archE1030ELNS1_3gpuE2ELNS1_3repE0EEENS1_30default_config_static_selectorELNS0_4arch9wavefront6targetE0EEEvSY_.numbered_sgpr, 0
	.set _ZN7rocprim17ROCPRIM_400000_NS6detail17trampoline_kernelINS0_13select_configILj256ELj13ELNS0_17block_load_methodE3ELS4_3ELS4_3ELNS0_20block_scan_algorithmE0ELj4294967295EEENS1_25partition_config_selectorILNS1_17partition_subalgoE3EjNS0_10empty_typeEbEEZZNS1_14partition_implILS8_3ELb0ES6_jNS0_17counting_iteratorIjlEEPS9_SE_NS0_5tupleIJPjSE_EEENSF_IJSE_SE_EEES9_SG_JZNS1_25segmented_radix_sort_implINS0_14default_configELb0EPKdPdPKlPlN2at6native12_GLOBAL__N_18offset_tEEE10hipError_tPvRmT1_PNSt15iterator_traitsISY_E10value_typeET2_T3_PNSZ_IS14_E10value_typeET4_jRbjT5_S1A_jjP12ihipStream_tbEUljE_EEESV_SW_SX_S14_S18_S1A_T6_T7_T9_mT8_S1C_bDpT10_ENKUlT_T0_E_clISt17integral_constantIbLb1EES1O_IbLb0EEEEDaS1K_S1L_EUlS1K_E_NS1_11comp_targetILNS1_3genE8ELNS1_11target_archE1030ELNS1_3gpuE2ELNS1_3repE0EEENS1_30default_config_static_selectorELNS0_4arch9wavefront6targetE0EEEvSY_.num_named_barrier, 0
	.set _ZN7rocprim17ROCPRIM_400000_NS6detail17trampoline_kernelINS0_13select_configILj256ELj13ELNS0_17block_load_methodE3ELS4_3ELS4_3ELNS0_20block_scan_algorithmE0ELj4294967295EEENS1_25partition_config_selectorILNS1_17partition_subalgoE3EjNS0_10empty_typeEbEEZZNS1_14partition_implILS8_3ELb0ES6_jNS0_17counting_iteratorIjlEEPS9_SE_NS0_5tupleIJPjSE_EEENSF_IJSE_SE_EEES9_SG_JZNS1_25segmented_radix_sort_implINS0_14default_configELb0EPKdPdPKlPlN2at6native12_GLOBAL__N_18offset_tEEE10hipError_tPvRmT1_PNSt15iterator_traitsISY_E10value_typeET2_T3_PNSZ_IS14_E10value_typeET4_jRbjT5_S1A_jjP12ihipStream_tbEUljE_EEESV_SW_SX_S14_S18_S1A_T6_T7_T9_mT8_S1C_bDpT10_ENKUlT_T0_E_clISt17integral_constantIbLb1EES1O_IbLb0EEEEDaS1K_S1L_EUlS1K_E_NS1_11comp_targetILNS1_3genE8ELNS1_11target_archE1030ELNS1_3gpuE2ELNS1_3repE0EEENS1_30default_config_static_selectorELNS0_4arch9wavefront6targetE0EEEvSY_.private_seg_size, 0
	.set _ZN7rocprim17ROCPRIM_400000_NS6detail17trampoline_kernelINS0_13select_configILj256ELj13ELNS0_17block_load_methodE3ELS4_3ELS4_3ELNS0_20block_scan_algorithmE0ELj4294967295EEENS1_25partition_config_selectorILNS1_17partition_subalgoE3EjNS0_10empty_typeEbEEZZNS1_14partition_implILS8_3ELb0ES6_jNS0_17counting_iteratorIjlEEPS9_SE_NS0_5tupleIJPjSE_EEENSF_IJSE_SE_EEES9_SG_JZNS1_25segmented_radix_sort_implINS0_14default_configELb0EPKdPdPKlPlN2at6native12_GLOBAL__N_18offset_tEEE10hipError_tPvRmT1_PNSt15iterator_traitsISY_E10value_typeET2_T3_PNSZ_IS14_E10value_typeET4_jRbjT5_S1A_jjP12ihipStream_tbEUljE_EEESV_SW_SX_S14_S18_S1A_T6_T7_T9_mT8_S1C_bDpT10_ENKUlT_T0_E_clISt17integral_constantIbLb1EES1O_IbLb0EEEEDaS1K_S1L_EUlS1K_E_NS1_11comp_targetILNS1_3genE8ELNS1_11target_archE1030ELNS1_3gpuE2ELNS1_3repE0EEENS1_30default_config_static_selectorELNS0_4arch9wavefront6targetE0EEEvSY_.uses_vcc, 0
	.set _ZN7rocprim17ROCPRIM_400000_NS6detail17trampoline_kernelINS0_13select_configILj256ELj13ELNS0_17block_load_methodE3ELS4_3ELS4_3ELNS0_20block_scan_algorithmE0ELj4294967295EEENS1_25partition_config_selectorILNS1_17partition_subalgoE3EjNS0_10empty_typeEbEEZZNS1_14partition_implILS8_3ELb0ES6_jNS0_17counting_iteratorIjlEEPS9_SE_NS0_5tupleIJPjSE_EEENSF_IJSE_SE_EEES9_SG_JZNS1_25segmented_radix_sort_implINS0_14default_configELb0EPKdPdPKlPlN2at6native12_GLOBAL__N_18offset_tEEE10hipError_tPvRmT1_PNSt15iterator_traitsISY_E10value_typeET2_T3_PNSZ_IS14_E10value_typeET4_jRbjT5_S1A_jjP12ihipStream_tbEUljE_EEESV_SW_SX_S14_S18_S1A_T6_T7_T9_mT8_S1C_bDpT10_ENKUlT_T0_E_clISt17integral_constantIbLb1EES1O_IbLb0EEEEDaS1K_S1L_EUlS1K_E_NS1_11comp_targetILNS1_3genE8ELNS1_11target_archE1030ELNS1_3gpuE2ELNS1_3repE0EEENS1_30default_config_static_selectorELNS0_4arch9wavefront6targetE0EEEvSY_.uses_flat_scratch, 0
	.set _ZN7rocprim17ROCPRIM_400000_NS6detail17trampoline_kernelINS0_13select_configILj256ELj13ELNS0_17block_load_methodE3ELS4_3ELS4_3ELNS0_20block_scan_algorithmE0ELj4294967295EEENS1_25partition_config_selectorILNS1_17partition_subalgoE3EjNS0_10empty_typeEbEEZZNS1_14partition_implILS8_3ELb0ES6_jNS0_17counting_iteratorIjlEEPS9_SE_NS0_5tupleIJPjSE_EEENSF_IJSE_SE_EEES9_SG_JZNS1_25segmented_radix_sort_implINS0_14default_configELb0EPKdPdPKlPlN2at6native12_GLOBAL__N_18offset_tEEE10hipError_tPvRmT1_PNSt15iterator_traitsISY_E10value_typeET2_T3_PNSZ_IS14_E10value_typeET4_jRbjT5_S1A_jjP12ihipStream_tbEUljE_EEESV_SW_SX_S14_S18_S1A_T6_T7_T9_mT8_S1C_bDpT10_ENKUlT_T0_E_clISt17integral_constantIbLb1EES1O_IbLb0EEEEDaS1K_S1L_EUlS1K_E_NS1_11comp_targetILNS1_3genE8ELNS1_11target_archE1030ELNS1_3gpuE2ELNS1_3repE0EEENS1_30default_config_static_selectorELNS0_4arch9wavefront6targetE0EEEvSY_.has_dyn_sized_stack, 0
	.set _ZN7rocprim17ROCPRIM_400000_NS6detail17trampoline_kernelINS0_13select_configILj256ELj13ELNS0_17block_load_methodE3ELS4_3ELS4_3ELNS0_20block_scan_algorithmE0ELj4294967295EEENS1_25partition_config_selectorILNS1_17partition_subalgoE3EjNS0_10empty_typeEbEEZZNS1_14partition_implILS8_3ELb0ES6_jNS0_17counting_iteratorIjlEEPS9_SE_NS0_5tupleIJPjSE_EEENSF_IJSE_SE_EEES9_SG_JZNS1_25segmented_radix_sort_implINS0_14default_configELb0EPKdPdPKlPlN2at6native12_GLOBAL__N_18offset_tEEE10hipError_tPvRmT1_PNSt15iterator_traitsISY_E10value_typeET2_T3_PNSZ_IS14_E10value_typeET4_jRbjT5_S1A_jjP12ihipStream_tbEUljE_EEESV_SW_SX_S14_S18_S1A_T6_T7_T9_mT8_S1C_bDpT10_ENKUlT_T0_E_clISt17integral_constantIbLb1EES1O_IbLb0EEEEDaS1K_S1L_EUlS1K_E_NS1_11comp_targetILNS1_3genE8ELNS1_11target_archE1030ELNS1_3gpuE2ELNS1_3repE0EEENS1_30default_config_static_selectorELNS0_4arch9wavefront6targetE0EEEvSY_.has_recursion, 0
	.set _ZN7rocprim17ROCPRIM_400000_NS6detail17trampoline_kernelINS0_13select_configILj256ELj13ELNS0_17block_load_methodE3ELS4_3ELS4_3ELNS0_20block_scan_algorithmE0ELj4294967295EEENS1_25partition_config_selectorILNS1_17partition_subalgoE3EjNS0_10empty_typeEbEEZZNS1_14partition_implILS8_3ELb0ES6_jNS0_17counting_iteratorIjlEEPS9_SE_NS0_5tupleIJPjSE_EEENSF_IJSE_SE_EEES9_SG_JZNS1_25segmented_radix_sort_implINS0_14default_configELb0EPKdPdPKlPlN2at6native12_GLOBAL__N_18offset_tEEE10hipError_tPvRmT1_PNSt15iterator_traitsISY_E10value_typeET2_T3_PNSZ_IS14_E10value_typeET4_jRbjT5_S1A_jjP12ihipStream_tbEUljE_EEESV_SW_SX_S14_S18_S1A_T6_T7_T9_mT8_S1C_bDpT10_ENKUlT_T0_E_clISt17integral_constantIbLb1EES1O_IbLb0EEEEDaS1K_S1L_EUlS1K_E_NS1_11comp_targetILNS1_3genE8ELNS1_11target_archE1030ELNS1_3gpuE2ELNS1_3repE0EEENS1_30default_config_static_selectorELNS0_4arch9wavefront6targetE0EEEvSY_.has_indirect_call, 0
	.section	.AMDGPU.csdata,"",@progbits
; Kernel info:
; codeLenInByte = 0
; TotalNumSgprs: 0
; NumVgprs: 0
; ScratchSize: 0
; MemoryBound: 0
; FloatMode: 240
; IeeeMode: 1
; LDSByteSize: 0 bytes/workgroup (compile time only)
; SGPRBlocks: 0
; VGPRBlocks: 0
; NumSGPRsForWavesPerEU: 1
; NumVGPRsForWavesPerEU: 1
; NamedBarCnt: 0
; Occupancy: 16
; WaveLimiterHint : 0
; COMPUTE_PGM_RSRC2:SCRATCH_EN: 0
; COMPUTE_PGM_RSRC2:USER_SGPR: 2
; COMPUTE_PGM_RSRC2:TRAP_HANDLER: 0
; COMPUTE_PGM_RSRC2:TGID_X_EN: 1
; COMPUTE_PGM_RSRC2:TGID_Y_EN: 0
; COMPUTE_PGM_RSRC2:TGID_Z_EN: 0
; COMPUTE_PGM_RSRC2:TIDIG_COMP_CNT: 0
	.section	.text._ZN7rocprim17ROCPRIM_400000_NS6detail17trampoline_kernelINS0_13select_configILj256ELj13ELNS0_17block_load_methodE3ELS4_3ELS4_3ELNS0_20block_scan_algorithmE0ELj4294967295EEENS1_25partition_config_selectorILNS1_17partition_subalgoE3EjNS0_10empty_typeEbEEZZNS1_14partition_implILS8_3ELb0ES6_jNS0_17counting_iteratorIjlEEPS9_SE_NS0_5tupleIJPjSE_EEENSF_IJSE_SE_EEES9_SG_JZNS1_25segmented_radix_sort_implINS0_14default_configELb0EPKdPdPKlPlN2at6native12_GLOBAL__N_18offset_tEEE10hipError_tPvRmT1_PNSt15iterator_traitsISY_E10value_typeET2_T3_PNSZ_IS14_E10value_typeET4_jRbjT5_S1A_jjP12ihipStream_tbEUljE_EEESV_SW_SX_S14_S18_S1A_T6_T7_T9_mT8_S1C_bDpT10_ENKUlT_T0_E_clISt17integral_constantIbLb0EES1O_IbLb1EEEEDaS1K_S1L_EUlS1K_E_NS1_11comp_targetILNS1_3genE0ELNS1_11target_archE4294967295ELNS1_3gpuE0ELNS1_3repE0EEENS1_30default_config_static_selectorELNS0_4arch9wavefront6targetE0EEEvSY_,"axG",@progbits,_ZN7rocprim17ROCPRIM_400000_NS6detail17trampoline_kernelINS0_13select_configILj256ELj13ELNS0_17block_load_methodE3ELS4_3ELS4_3ELNS0_20block_scan_algorithmE0ELj4294967295EEENS1_25partition_config_selectorILNS1_17partition_subalgoE3EjNS0_10empty_typeEbEEZZNS1_14partition_implILS8_3ELb0ES6_jNS0_17counting_iteratorIjlEEPS9_SE_NS0_5tupleIJPjSE_EEENSF_IJSE_SE_EEES9_SG_JZNS1_25segmented_radix_sort_implINS0_14default_configELb0EPKdPdPKlPlN2at6native12_GLOBAL__N_18offset_tEEE10hipError_tPvRmT1_PNSt15iterator_traitsISY_E10value_typeET2_T3_PNSZ_IS14_E10value_typeET4_jRbjT5_S1A_jjP12ihipStream_tbEUljE_EEESV_SW_SX_S14_S18_S1A_T6_T7_T9_mT8_S1C_bDpT10_ENKUlT_T0_E_clISt17integral_constantIbLb0EES1O_IbLb1EEEEDaS1K_S1L_EUlS1K_E_NS1_11comp_targetILNS1_3genE0ELNS1_11target_archE4294967295ELNS1_3gpuE0ELNS1_3repE0EEENS1_30default_config_static_selectorELNS0_4arch9wavefront6targetE0EEEvSY_,comdat
	.globl	_ZN7rocprim17ROCPRIM_400000_NS6detail17trampoline_kernelINS0_13select_configILj256ELj13ELNS0_17block_load_methodE3ELS4_3ELS4_3ELNS0_20block_scan_algorithmE0ELj4294967295EEENS1_25partition_config_selectorILNS1_17partition_subalgoE3EjNS0_10empty_typeEbEEZZNS1_14partition_implILS8_3ELb0ES6_jNS0_17counting_iteratorIjlEEPS9_SE_NS0_5tupleIJPjSE_EEENSF_IJSE_SE_EEES9_SG_JZNS1_25segmented_radix_sort_implINS0_14default_configELb0EPKdPdPKlPlN2at6native12_GLOBAL__N_18offset_tEEE10hipError_tPvRmT1_PNSt15iterator_traitsISY_E10value_typeET2_T3_PNSZ_IS14_E10value_typeET4_jRbjT5_S1A_jjP12ihipStream_tbEUljE_EEESV_SW_SX_S14_S18_S1A_T6_T7_T9_mT8_S1C_bDpT10_ENKUlT_T0_E_clISt17integral_constantIbLb0EES1O_IbLb1EEEEDaS1K_S1L_EUlS1K_E_NS1_11comp_targetILNS1_3genE0ELNS1_11target_archE4294967295ELNS1_3gpuE0ELNS1_3repE0EEENS1_30default_config_static_selectorELNS0_4arch9wavefront6targetE0EEEvSY_ ; -- Begin function _ZN7rocprim17ROCPRIM_400000_NS6detail17trampoline_kernelINS0_13select_configILj256ELj13ELNS0_17block_load_methodE3ELS4_3ELS4_3ELNS0_20block_scan_algorithmE0ELj4294967295EEENS1_25partition_config_selectorILNS1_17partition_subalgoE3EjNS0_10empty_typeEbEEZZNS1_14partition_implILS8_3ELb0ES6_jNS0_17counting_iteratorIjlEEPS9_SE_NS0_5tupleIJPjSE_EEENSF_IJSE_SE_EEES9_SG_JZNS1_25segmented_radix_sort_implINS0_14default_configELb0EPKdPdPKlPlN2at6native12_GLOBAL__N_18offset_tEEE10hipError_tPvRmT1_PNSt15iterator_traitsISY_E10value_typeET2_T3_PNSZ_IS14_E10value_typeET4_jRbjT5_S1A_jjP12ihipStream_tbEUljE_EEESV_SW_SX_S14_S18_S1A_T6_T7_T9_mT8_S1C_bDpT10_ENKUlT_T0_E_clISt17integral_constantIbLb0EES1O_IbLb1EEEEDaS1K_S1L_EUlS1K_E_NS1_11comp_targetILNS1_3genE0ELNS1_11target_archE4294967295ELNS1_3gpuE0ELNS1_3repE0EEENS1_30default_config_static_selectorELNS0_4arch9wavefront6targetE0EEEvSY_
	.p2align	8
	.type	_ZN7rocprim17ROCPRIM_400000_NS6detail17trampoline_kernelINS0_13select_configILj256ELj13ELNS0_17block_load_methodE3ELS4_3ELS4_3ELNS0_20block_scan_algorithmE0ELj4294967295EEENS1_25partition_config_selectorILNS1_17partition_subalgoE3EjNS0_10empty_typeEbEEZZNS1_14partition_implILS8_3ELb0ES6_jNS0_17counting_iteratorIjlEEPS9_SE_NS0_5tupleIJPjSE_EEENSF_IJSE_SE_EEES9_SG_JZNS1_25segmented_radix_sort_implINS0_14default_configELb0EPKdPdPKlPlN2at6native12_GLOBAL__N_18offset_tEEE10hipError_tPvRmT1_PNSt15iterator_traitsISY_E10value_typeET2_T3_PNSZ_IS14_E10value_typeET4_jRbjT5_S1A_jjP12ihipStream_tbEUljE_EEESV_SW_SX_S14_S18_S1A_T6_T7_T9_mT8_S1C_bDpT10_ENKUlT_T0_E_clISt17integral_constantIbLb0EES1O_IbLb1EEEEDaS1K_S1L_EUlS1K_E_NS1_11comp_targetILNS1_3genE0ELNS1_11target_archE4294967295ELNS1_3gpuE0ELNS1_3repE0EEENS1_30default_config_static_selectorELNS0_4arch9wavefront6targetE0EEEvSY_,@function
_ZN7rocprim17ROCPRIM_400000_NS6detail17trampoline_kernelINS0_13select_configILj256ELj13ELNS0_17block_load_methodE3ELS4_3ELS4_3ELNS0_20block_scan_algorithmE0ELj4294967295EEENS1_25partition_config_selectorILNS1_17partition_subalgoE3EjNS0_10empty_typeEbEEZZNS1_14partition_implILS8_3ELb0ES6_jNS0_17counting_iteratorIjlEEPS9_SE_NS0_5tupleIJPjSE_EEENSF_IJSE_SE_EEES9_SG_JZNS1_25segmented_radix_sort_implINS0_14default_configELb0EPKdPdPKlPlN2at6native12_GLOBAL__N_18offset_tEEE10hipError_tPvRmT1_PNSt15iterator_traitsISY_E10value_typeET2_T3_PNSZ_IS14_E10value_typeET4_jRbjT5_S1A_jjP12ihipStream_tbEUljE_EEESV_SW_SX_S14_S18_S1A_T6_T7_T9_mT8_S1C_bDpT10_ENKUlT_T0_E_clISt17integral_constantIbLb0EES1O_IbLb1EEEEDaS1K_S1L_EUlS1K_E_NS1_11comp_targetILNS1_3genE0ELNS1_11target_archE4294967295ELNS1_3gpuE0ELNS1_3repE0EEENS1_30default_config_static_selectorELNS0_4arch9wavefront6targetE0EEEvSY_: ; @_ZN7rocprim17ROCPRIM_400000_NS6detail17trampoline_kernelINS0_13select_configILj256ELj13ELNS0_17block_load_methodE3ELS4_3ELS4_3ELNS0_20block_scan_algorithmE0ELj4294967295EEENS1_25partition_config_selectorILNS1_17partition_subalgoE3EjNS0_10empty_typeEbEEZZNS1_14partition_implILS8_3ELb0ES6_jNS0_17counting_iteratorIjlEEPS9_SE_NS0_5tupleIJPjSE_EEENSF_IJSE_SE_EEES9_SG_JZNS1_25segmented_radix_sort_implINS0_14default_configELb0EPKdPdPKlPlN2at6native12_GLOBAL__N_18offset_tEEE10hipError_tPvRmT1_PNSt15iterator_traitsISY_E10value_typeET2_T3_PNSZ_IS14_E10value_typeET4_jRbjT5_S1A_jjP12ihipStream_tbEUljE_EEESV_SW_SX_S14_S18_S1A_T6_T7_T9_mT8_S1C_bDpT10_ENKUlT_T0_E_clISt17integral_constantIbLb0EES1O_IbLb1EEEEDaS1K_S1L_EUlS1K_E_NS1_11comp_targetILNS1_3genE0ELNS1_11target_archE4294967295ELNS1_3gpuE0ELNS1_3repE0EEENS1_30default_config_static_selectorELNS0_4arch9wavefront6targetE0EEEvSY_
; %bb.0:
	s_clause 0x5
	s_load_b64 s[16:17], s[0:1], 0x10
	s_load_b128 s[12:15], s[0:1], 0x48
	s_load_b64 s[18:19], s[0:1], 0x58
	s_load_b64 s[20:21], s[0:1], 0x68
	s_load_b32 s3, s[0:1], 0x90
	s_load_b128 s[4:7], s[0:1], 0x80
	v_cmp_eq_u32_e64 s2, 0, v0
	s_and_saveexec_b32 s8, s2
	s_cbranch_execz .LBB1207_4
; %bb.1:
	s_mov_b32 s10, exec_lo
	s_mov_b32 s9, exec_lo
	v_mbcnt_lo_u32_b32 v1, s10, 0
                                        ; implicit-def: $vgpr2
	s_delay_alu instid0(VALU_DEP_1)
	v_cmpx_eq_u32_e32 0, v1
	s_cbranch_execz .LBB1207_3
; %bb.2:
	s_load_b64 s[22:23], s[0:1], 0x78
	s_bcnt1_i32_b32 s10, s10
	s_delay_alu instid0(SALU_CYCLE_1)
	v_dual_mov_b32 v2, 0 :: v_dual_mov_b32 v3, s10
	s_wait_xcnt 0x0
	s_wait_kmcnt 0x0
	global_atomic_add_u32 v2, v2, v3, s[22:23] th:TH_ATOMIC_RETURN scope:SCOPE_DEV
.LBB1207_3:
	s_wait_xcnt 0x0
	s_or_b32 exec_lo, exec_lo, s9
	s_wait_loadcnt 0x0
	v_readfirstlane_b32 s9, v2
	s_delay_alu instid0(VALU_DEP_1)
	v_dual_mov_b32 v2, 0 :: v_dual_add_nc_u32 v1, s9, v1
	ds_store_b32 v2, v1
.LBB1207_4:
	s_or_b32 exec_lo, exec_lo, s8
	v_dual_mov_b32 v1, 0 :: v_dual_lshlrev_b32 v19, 2, v0
	s_clause 0x2
	s_load_b32 s8, s[0:1], 0x8
	s_load_b64 s[10:11], s[0:1], 0x28
	s_load_b32 s9, s[0:1], 0x70
	s_wait_dscnt 0x0
	s_barrier_signal -1
	s_barrier_wait -1
	ds_load_b32 v4, v1
	s_wait_dscnt 0x0
	s_barrier_signal -1
	s_barrier_wait -1
	s_wait_kmcnt 0x0
	global_load_b64 v[42:43], v1, s[14:15]
	s_mov_b32 s1, 0
	s_add_co_i32 s8, s8, s16
	s_mul_i32 s0, s9, 0xd00
	s_add_co_i32 s9, s9, -1
	s_wait_xcnt 0x0
	s_add_nc_u64 s[14:15], s[16:17], s[0:1]
	s_add_co_i32 s0, s0, s16
	v_cmp_gt_u64_e64 s1, s[18:19], s[14:15]
	v_readfirstlane_b32 s23, v4
	s_sub_co_i32 s22, s18, s0
	v_cmp_ne_u32_e32 vcc_lo, s9, v4
	s_addk_co_i32 s22, 0xd00
	s_mov_b32 s15, -1
	s_cmp_eq_u32 s23, s9
	s_mul_i32 s14, s23, 0xd00
	s_cselect_b32 s9, -1, 0
	s_or_b32 s1, s1, vcc_lo
	s_delay_alu instid0(SALU_CYCLE_1)
	s_and_b32 vcc_lo, exec_lo, s1
	s_cbranch_vccz .LBB1207_6
; %bb.5:
	v_add3_u32 v1, s14, s8, v0
	s_mov_b32 s15, 0
	s_delay_alu instid0(VALU_DEP_1)
	v_add_nc_u32_e32 v2, 0x100, v1
	v_add_nc_u32_e32 v3, 0x200, v1
	;; [unrolled: 1-line block ×12, first 2 shown]
	ds_store_2addr_stride64_b32 v19, v1, v2 offset1:4
	ds_store_2addr_stride64_b32 v19, v3, v5 offset0:8 offset1:12
	ds_store_2addr_stride64_b32 v19, v6, v7 offset0:16 offset1:20
	;; [unrolled: 1-line block ×5, first 2 shown]
	ds_store_b32 v19, v14 offset:12288
	s_wait_loadcnt_dscnt 0x0
	s_barrier_signal -1
	s_barrier_wait -1
.LBB1207_6:
	v_cmp_gt_u32_e64 s0, s22, v0
	v_or_b32_e32 v40, 0x100, v0
	v_or_b32_e32 v38, 0x200, v0
	;; [unrolled: 1-line block ×12, first 2 shown]
	s_and_not1_b32 vcc_lo, exec_lo, s15
	s_cbranch_vccnz .LBB1207_8
; %bb.7:
	s_add_co_i32 s8, s14, s8
	v_cmp_gt_u32_e32 vcc_lo, s22, v40
	v_dual_add_nc_u32 v1, s8, v0 :: v_dual_add_nc_u32 v3, s8, v38
	v_dual_add_nc_u32 v2, s8, v40 :: v_dual_add_nc_u32 v8, s8, v30
	s_delay_alu instid0(VALU_DEP_2) | instskip(NEXT) | instid1(VALU_DEP_2)
	v_dual_add_nc_u32 v9, s8, v28 :: v_dual_cndmask_b32 v1, 0, v1, s0
	v_dual_cndmask_b32 v2, 0, v2 :: v_dual_add_nc_u32 v5, s8, v36
	v_cmp_gt_u32_e32 vcc_lo, s22, v38
	v_dual_add_nc_u32 v12, s8, v22 :: v_dual_add_nc_u32 v13, s8, v20
	v_dual_add_nc_u32 v6, s8, v34 :: v_dual_add_nc_u32 v7, s8, v32
	v_cndmask_b32_e32 v3, 0, v3, vcc_lo
	v_cmp_gt_u32_e32 vcc_lo, s22, v36
	v_dual_add_nc_u32 v10, s8, v26 :: v_dual_add_nc_u32 v11, s8, v24
	v_cndmask_b32_e32 v5, 0, v5, vcc_lo
	v_cmp_gt_u32_e32 vcc_lo, s22, v34
	v_cndmask_b32_e32 v6, 0, v6, vcc_lo
	v_cmp_gt_u32_e32 vcc_lo, s22, v32
	;; [unrolled: 2-line block ×7, first 2 shown]
	v_dual_add_nc_u32 v14, s8, v18 :: v_dual_cndmask_b32 v12, 0, v12, vcc_lo
	v_cmp_gt_u32_e32 vcc_lo, s22, v20
	v_cndmask_b32_e32 v13, 0, v13, vcc_lo
	v_cmp_gt_u32_e32 vcc_lo, s22, v18
	s_delay_alu instid0(VALU_DEP_4)
	v_cndmask_b32_e32 v14, 0, v14, vcc_lo
	ds_store_2addr_stride64_b32 v19, v1, v2 offset1:4
	ds_store_2addr_stride64_b32 v19, v3, v5 offset0:8 offset1:12
	ds_store_2addr_stride64_b32 v19, v6, v7 offset0:16 offset1:20
	;; [unrolled: 1-line block ×5, first 2 shown]
	ds_store_b32 v19, v14 offset:12288
	s_wait_loadcnt_dscnt 0x0
	s_barrier_signal -1
	s_barrier_wait -1
.LBB1207_8:
	v_mul_u32_u24_e32 v23, 13, v0
	s_wait_loadcnt 0x0
	v_cndmask_b32_e64 v21, 0, 1, s1
	s_and_not1_b32 vcc_lo, exec_lo, s1
	s_delay_alu instid0(VALU_DEP_2)
	v_lshlrev_b32_e32 v2, 2, v23
	ds_load_2addr_b32 v[52:53], v2 offset0:2 offset1:3
	ds_load_2addr_b32 v[48:49], v2 offset0:6 offset1:7
	;; [unrolled: 1-line block ×3, first 2 shown]
	ds_load_2addr_b32 v[54:55], v2 offset1:1
	ds_load_2addr_b32 v[44:45], v2 offset0:10 offset1:11
	ds_load_b32 v1, v2 offset:48
	ds_load_2addr_b32 v[46:47], v2 offset0:8 offset1:9
	s_wait_dscnt 0x0
	s_barrier_signal -1
	s_barrier_wait -1
	s_cbranch_vccnz .LBB1207_10
; %bb.9:
	v_dual_add_nc_u32 v2, s5, v53 :: v_dual_add_nc_u32 v3, s5, v55
	v_dual_add_nc_u32 v5, s5, v54 :: v_dual_add_nc_u32 v6, s5, v52
	;; [unrolled: 1-line block ×4, first 2 shown]
	s_delay_alu instid0(VALU_DEP_3) | instskip(NEXT) | instid1(VALU_DEP_4)
	v_mul_lo_u32 v6, v6, s4
	v_mul_lo_u32 v5, v5, s4
	;; [unrolled: 1-line block ×8, first 2 shown]
	v_dual_add_nc_u32 v11, s5, v50 :: v_dual_add_nc_u32 v12, s7, v50
	v_dual_add_nc_u32 v13, s5, v48 :: v_dual_add_nc_u32 v15, s7, v45
	v_add_nc_u32_e32 v16, s5, v44
	s_delay_alu instid0(VALU_DEP_3) | instskip(NEXT) | instid1(VALU_DEP_4)
	v_mul_lo_u32 v11, v11, s4
	v_mul_lo_u32 v12, v12, s6
	v_dual_sub_nc_u32 v2, v2, v7 :: v_dual_sub_nc_u32 v3, v3, v8
	v_dual_sub_nc_u32 v5, v5, v9 :: v_dual_sub_nc_u32 v6, v6, v10
	v_dual_add_nc_u32 v7, s5, v51 :: v_dual_add_nc_u32 v8, s7, v51
	v_dual_add_nc_u32 v9, s5, v49 :: v_dual_add_nc_u32 v10, s7, v49
	s_delay_alu instid0(VALU_DEP_4) | instskip(NEXT) | instid1(VALU_DEP_3)
	v_cmp_lt_u32_e32 vcc_lo, s3, v2
	v_mul_lo_u32 v7, v7, s4
	s_delay_alu instid0(VALU_DEP_4) | instskip(NEXT) | instid1(VALU_DEP_4)
	v_mul_lo_u32 v8, v8, s6
	v_mul_lo_u32 v9, v9, s4
	;; [unrolled: 1-line block ×3, first 2 shown]
	v_cndmask_b32_e64 v2, 0, 1, vcc_lo
	v_cmp_lt_u32_e32 vcc_lo, s3, v3
	v_dual_add_nc_u32 v17, s7, v47 :: v_dual_add_nc_u32 v25, s7, v46
	v_mul_lo_u32 v15, v15, s6
	v_add_nc_u32_e32 v14, s5, v46
	v_cndmask_b32_e64 v3, 0, 1, vcc_lo
	s_delay_alu instid0(VALU_DEP_4) | instskip(SKIP_4) | instid1(VALU_DEP_3)
	v_mul_lo_u32 v17, v17, s6
	v_sub_nc_u32_e32 v7, v7, v8
	v_dual_add_nc_u32 v8, s7, v48 :: v_dual_sub_nc_u32 v9, v9, v10
	v_dual_sub_nc_u32 v10, v11, v12 :: v_dual_add_nc_u32 v11, s5, v45
	v_mul_lo_u32 v13, v13, s4
	v_mul_lo_u32 v8, v8, s6
	v_add_nc_u32_e32 v12, s5, v47
	v_cmp_lt_u32_e32 vcc_lo, s3, v7
	v_mul_lo_u32 v11, v11, s4
	v_lshlrev_b16 v3, 8, v3
	v_mul_lo_u32 v14, v14, s4
	v_mul_lo_u32 v12, v12, s4
	v_cndmask_b32_e64 v7, 0, 1, vcc_lo
	v_cmp_lt_u32_e32 vcc_lo, s3, v9
	v_lshrrev_b32_e32 v3, 8, v3
	v_mul_lo_u32 v25, v25, s6
	v_sub_nc_u32_e32 v8, v13, v8
	v_lshlrev_b16 v7, 8, v7
	v_cndmask_b32_e64 v9, 0, 1, vcc_lo
	v_sub_nc_u32_e32 v11, v11, v15
	v_cmp_lt_u32_e32 vcc_lo, s3, v5
	s_delay_alu instid0(VALU_DEP_4)
	v_dual_add_nc_u32 v27, s7, v44 :: v_dual_lshrrev_b32 v7, 8, v7
	v_sub_nc_u32_e32 v12, v12, v17
	v_mul_lo_u32 v13, v16, s4
	v_cndmask_b32_e64 v5, 0, 1, vcc_lo
	v_cmp_lt_u32_e32 vcc_lo, s3, v11
	v_mul_lo_u32 v16, v27, s6
	v_dual_add_nc_u32 v15, s5, v1 :: v_dual_add_nc_u32 v27, s7, v1
	v_lshlrev_b16 v2, 8, v2
	v_cndmask_b32_e64 v11, 0, 1, vcc_lo
	v_cmp_lt_u32_e32 vcc_lo, s3, v12
	s_delay_alu instid0(VALU_DEP_4)
	v_mul_lo_u32 v15, v15, s4
	v_mul_lo_u32 v17, v27, s6
	v_sub_nc_u32_e32 v14, v14, v25
	v_lshlrev_b16 v3, 8, v3
	v_cndmask_b32_e64 v12, 0, 1, vcc_lo
	v_cmp_lt_u32_e32 vcc_lo, s3, v6
	v_dual_sub_nc_u32 v13, v13, v16 :: v_dual_lshrrev_b32 v2, 8, v2
	s_delay_alu instid0(VALU_DEP_4)
	v_or_b32_e32 v3, v5, v3
	v_lshlrev_b16 v5, 8, v11
	v_cndmask_b32_e64 v6, 0, 1, vcc_lo
	v_cmp_lt_u32_e32 vcc_lo, s3, v10
	v_lshlrev_b16 v11, 8, v12
	v_lshlrev_b16 v9, 8, v9
	v_sub_nc_u32_e32 v12, v15, v17
	v_lshlrev_b16 v2, 8, v2
	v_cndmask_b32_e64 v10, 0, 1, vcc_lo
	v_cmp_lt_u32_e32 vcc_lo, s3, v8
	v_lshlrev_b16 v7, 8, v7
	v_dual_lshrrev_b32 v11, 8, v11 :: v_dual_lshrrev_b32 v5, 8, v5
	v_or_b32_e32 v2, v6, v2
	v_cndmask_b32_e64 v8, 0, 1, vcc_lo
	v_cmp_lt_u32_e32 vcc_lo, s3, v14
	s_delay_alu instid0(VALU_DEP_4)
	v_lshlrev_b16 v11, 8, v11
	v_lshlrev_b16 v5, 8, v5
	v_dual_lshlrev_b32 v2, 16, v2 :: v_dual_bitop2_b32 v6, v10, v7 bitop3:0x54
	v_cndmask_b32_e64 v14, 0, 1, vcc_lo
	v_cmp_lt_u32_e32 vcc_lo, s3, v13
	v_or_b32_e32 v7, v8, v9
	v_and_b32_e32 v3, 0xffff, v3
	v_and_b32_e32 v6, 0xffff, v6
	v_cndmask_b32_e64 v13, 0, 1, vcc_lo
	s_delay_alu instid0(VALU_DEP_4) | instskip(SKIP_2) | instid1(VALU_DEP_4)
	v_lshlrev_b32_e32 v7, 16, v7
	v_cmp_lt_u32_e32 vcc_lo, s3, v12
	v_or_b32_e32 v35, v3, v2
	v_or_b32_e32 v5, v13, v5
	;; [unrolled: 1-line block ×3, first 2 shown]
	v_cndmask_b32_e64 v25, 0, 1, vcc_lo
	s_delay_alu instid0(VALU_DEP_3) | instskip(NEXT) | instid1(VALU_DEP_3)
	v_dual_lshlrev_b32 v5, 16, v5 :: v_dual_bitop2_b32 v31, v6, v7 bitop3:0x54
	v_and_b32_e32 v8, 0xffff, v8
	s_delay_alu instid0(VALU_DEP_1)
	v_or_b32_e32 v27, v8, v5
	s_cbranch_execz .LBB1207_11
	s_branch .LBB1207_38
.LBB1207_10:
                                        ; implicit-def: $vgpr25
                                        ; implicit-def: $vgpr27
                                        ; implicit-def: $vgpr31
                                        ; implicit-def: $vgpr35
.LBB1207_11:
	v_dual_mov_b32 v3, 0 :: v_dual_mov_b32 v2, 0
	s_mov_b32 s0, exec_lo
	v_cmpx_gt_u32_e64 s22, v23
	s_cbranch_execz .LBB1207_13
; %bb.12:
	v_dual_add_nc_u32 v2, s5, v54 :: v_dual_add_nc_u32 v5, s7, v54
	s_delay_alu instid0(VALU_DEP_1) | instskip(NEXT) | instid1(VALU_DEP_2)
	v_mul_lo_u32 v2, v2, s4
	v_mul_lo_u32 v5, v5, s6
	s_delay_alu instid0(VALU_DEP_1) | instskip(NEXT) | instid1(VALU_DEP_1)
	v_sub_nc_u32_e32 v2, v2, v5
	v_cmp_lt_u32_e32 vcc_lo, s3, v2
	v_cndmask_b32_e64 v2, 0, 1, vcc_lo
.LBB1207_13:
	s_or_b32 exec_lo, exec_lo, s0
	v_add_nc_u32_e32 v5, 1, v23
	s_mov_b32 s0, exec_lo
	s_delay_alu instid0(VALU_DEP_1)
	v_cmpx_gt_u32_e64 s22, v5
	s_cbranch_execz .LBB1207_15
; %bb.14:
	v_dual_add_nc_u32 v3, s5, v55 :: v_dual_add_nc_u32 v5, s7, v55
	s_delay_alu instid0(VALU_DEP_1) | instskip(NEXT) | instid1(VALU_DEP_2)
	v_mul_lo_u32 v3, v3, s4
	v_mul_lo_u32 v5, v5, s6
	s_delay_alu instid0(VALU_DEP_1) | instskip(NEXT) | instid1(VALU_DEP_1)
	v_sub_nc_u32_e32 v3, v3, v5
	v_cmp_lt_u32_e32 vcc_lo, s3, v3
	v_cndmask_b32_e64 v3, 0, 1, vcc_lo
.LBB1207_15:
	s_or_b32 exec_lo, exec_lo, s0
	v_dual_mov_b32 v6, 0 :: v_dual_add_nc_u32 v5, 2, v23
	s_delay_alu instid0(VALU_DEP_1)
	v_cmp_gt_u32_e32 vcc_lo, s22, v5
	v_mov_b32_e32 v5, 0
	s_and_saveexec_b32 s0, vcc_lo
	s_cbranch_execz .LBB1207_17
; %bb.16:
	v_dual_add_nc_u32 v5, s5, v52 :: v_dual_add_nc_u32 v7, s7, v52
	s_delay_alu instid0(VALU_DEP_1) | instskip(NEXT) | instid1(VALU_DEP_2)
	v_mul_lo_u32 v5, v5, s4
	v_mul_lo_u32 v7, v7, s6
	s_delay_alu instid0(VALU_DEP_1) | instskip(NEXT) | instid1(VALU_DEP_1)
	v_sub_nc_u32_e32 v5, v5, v7
	v_cmp_lt_u32_e32 vcc_lo, s3, v5
	v_cndmask_b32_e64 v5, 0, 1, vcc_lo
.LBB1207_17:
	s_or_b32 exec_lo, exec_lo, s0
	v_add_nc_u32_e32 v7, 3, v23
	s_mov_b32 s0, exec_lo
	s_delay_alu instid0(VALU_DEP_1)
	v_cmpx_gt_u32_e64 s22, v7
	s_cbranch_execz .LBB1207_19
; %bb.18:
	v_dual_add_nc_u32 v6, s5, v53 :: v_dual_add_nc_u32 v7, s7, v53
	s_delay_alu instid0(VALU_DEP_1) | instskip(NEXT) | instid1(VALU_DEP_2)
	v_mul_lo_u32 v6, v6, s4
	v_mul_lo_u32 v7, v7, s6
	s_delay_alu instid0(VALU_DEP_1) | instskip(NEXT) | instid1(VALU_DEP_1)
	v_sub_nc_u32_e32 v6, v6, v7
	v_cmp_lt_u32_e32 vcc_lo, s3, v6
	v_cndmask_b32_e64 v6, 0, 1, vcc_lo
.LBB1207_19:
	s_or_b32 exec_lo, exec_lo, s0
	v_dual_mov_b32 v8, 0 :: v_dual_add_nc_u32 v7, 4, v23
	s_delay_alu instid0(VALU_DEP_1)
	v_cmp_gt_u32_e32 vcc_lo, s22, v7
	v_mov_b32_e32 v7, 0
	s_and_saveexec_b32 s0, vcc_lo
	s_cbranch_execz .LBB1207_21
; %bb.20:
	v_dual_add_nc_u32 v7, s5, v50 :: v_dual_add_nc_u32 v9, s7, v50
	s_delay_alu instid0(VALU_DEP_1) | instskip(NEXT) | instid1(VALU_DEP_2)
	v_mul_lo_u32 v7, v7, s4
	v_mul_lo_u32 v9, v9, s6
	s_delay_alu instid0(VALU_DEP_1) | instskip(NEXT) | instid1(VALU_DEP_1)
	v_sub_nc_u32_e32 v7, v7, v9
	v_cmp_lt_u32_e32 vcc_lo, s3, v7
	v_cndmask_b32_e64 v7, 0, 1, vcc_lo
.LBB1207_21:
	s_or_b32 exec_lo, exec_lo, s0
	v_add_nc_u32_e32 v9, 5, v23
	s_mov_b32 s0, exec_lo
	s_delay_alu instid0(VALU_DEP_1)
	v_cmpx_gt_u32_e64 s22, v9
	s_cbranch_execz .LBB1207_23
; %bb.22:
	v_dual_add_nc_u32 v8, s5, v51 :: v_dual_add_nc_u32 v9, s7, v51
	s_delay_alu instid0(VALU_DEP_1) | instskip(NEXT) | instid1(VALU_DEP_2)
	v_mul_lo_u32 v8, v8, s4
	v_mul_lo_u32 v9, v9, s6
	s_delay_alu instid0(VALU_DEP_1) | instskip(NEXT) | instid1(VALU_DEP_1)
	v_sub_nc_u32_e32 v8, v8, v9
	v_cmp_lt_u32_e32 vcc_lo, s3, v8
	v_cndmask_b32_e64 v8, 0, 1, vcc_lo
.LBB1207_23:
	s_or_b32 exec_lo, exec_lo, s0
	v_dual_mov_b32 v10, 0 :: v_dual_add_nc_u32 v9, 6, v23
	s_delay_alu instid0(VALU_DEP_1)
	v_cmp_gt_u32_e32 vcc_lo, s22, v9
	v_mov_b32_e32 v9, 0
	s_and_saveexec_b32 s0, vcc_lo
	s_cbranch_execz .LBB1207_25
; %bb.24:
	v_dual_add_nc_u32 v9, s5, v48 :: v_dual_add_nc_u32 v11, s7, v48
	s_delay_alu instid0(VALU_DEP_1) | instskip(NEXT) | instid1(VALU_DEP_2)
	v_mul_lo_u32 v9, v9, s4
	v_mul_lo_u32 v11, v11, s6
	s_delay_alu instid0(VALU_DEP_1) | instskip(NEXT) | instid1(VALU_DEP_1)
	v_sub_nc_u32_e32 v9, v9, v11
	v_cmp_lt_u32_e32 vcc_lo, s3, v9
	v_cndmask_b32_e64 v9, 0, 1, vcc_lo
.LBB1207_25:
	s_or_b32 exec_lo, exec_lo, s0
	v_add_nc_u32_e32 v11, 7, v23
	s_mov_b32 s0, exec_lo
	s_delay_alu instid0(VALU_DEP_1)
	v_cmpx_gt_u32_e64 s22, v11
	s_cbranch_execz .LBB1207_27
; %bb.26:
	v_dual_add_nc_u32 v10, s5, v49 :: v_dual_add_nc_u32 v11, s7, v49
	s_delay_alu instid0(VALU_DEP_1) | instskip(NEXT) | instid1(VALU_DEP_2)
	v_mul_lo_u32 v10, v10, s4
	v_mul_lo_u32 v11, v11, s6
	s_delay_alu instid0(VALU_DEP_1) | instskip(NEXT) | instid1(VALU_DEP_1)
	v_sub_nc_u32_e32 v10, v10, v11
	v_cmp_lt_u32_e32 vcc_lo, s3, v10
	v_cndmask_b32_e64 v10, 0, 1, vcc_lo
.LBB1207_27:
	s_or_b32 exec_lo, exec_lo, s0
	v_dual_mov_b32 v12, 0 :: v_dual_add_nc_u32 v11, 8, v23
	s_delay_alu instid0(VALU_DEP_1)
	v_cmp_gt_u32_e32 vcc_lo, s22, v11
	v_mov_b32_e32 v11, 0
	s_and_saveexec_b32 s0, vcc_lo
	s_cbranch_execz .LBB1207_29
; %bb.28:
	v_dual_add_nc_u32 v11, s5, v46 :: v_dual_add_nc_u32 v13, s7, v46
	s_delay_alu instid0(VALU_DEP_1) | instskip(NEXT) | instid1(VALU_DEP_2)
	v_mul_lo_u32 v11, v11, s4
	v_mul_lo_u32 v13, v13, s6
	s_delay_alu instid0(VALU_DEP_1) | instskip(NEXT) | instid1(VALU_DEP_1)
	v_sub_nc_u32_e32 v11, v11, v13
	v_cmp_lt_u32_e32 vcc_lo, s3, v11
	v_cndmask_b32_e64 v11, 0, 1, vcc_lo
.LBB1207_29:
	s_or_b32 exec_lo, exec_lo, s0
	v_add_nc_u32_e32 v13, 9, v23
	s_mov_b32 s0, exec_lo
	s_delay_alu instid0(VALU_DEP_1)
	v_cmpx_gt_u32_e64 s22, v13
	s_cbranch_execz .LBB1207_31
; %bb.30:
	v_dual_add_nc_u32 v12, s5, v47 :: v_dual_add_nc_u32 v13, s7, v47
	s_delay_alu instid0(VALU_DEP_1) | instskip(NEXT) | instid1(VALU_DEP_2)
	v_mul_lo_u32 v12, v12, s4
	v_mul_lo_u32 v13, v13, s6
	s_delay_alu instid0(VALU_DEP_1) | instskip(NEXT) | instid1(VALU_DEP_1)
	v_sub_nc_u32_e32 v12, v12, v13
	v_cmp_lt_u32_e32 vcc_lo, s3, v12
	v_cndmask_b32_e64 v12, 0, 1, vcc_lo
.LBB1207_31:
	s_or_b32 exec_lo, exec_lo, s0
	v_dual_mov_b32 v14, 0 :: v_dual_add_nc_u32 v13, 10, v23
	s_delay_alu instid0(VALU_DEP_1)
	v_cmp_gt_u32_e32 vcc_lo, s22, v13
	v_mov_b32_e32 v13, 0
	s_and_saveexec_b32 s0, vcc_lo
	s_cbranch_execz .LBB1207_33
; %bb.32:
	v_dual_add_nc_u32 v13, s5, v44 :: v_dual_add_nc_u32 v15, s7, v44
	s_delay_alu instid0(VALU_DEP_1) | instskip(NEXT) | instid1(VALU_DEP_2)
	v_mul_lo_u32 v13, v13, s4
	v_mul_lo_u32 v15, v15, s6
	s_delay_alu instid0(VALU_DEP_1) | instskip(NEXT) | instid1(VALU_DEP_1)
	v_sub_nc_u32_e32 v13, v13, v15
	v_cmp_lt_u32_e32 vcc_lo, s3, v13
	v_cndmask_b32_e64 v13, 0, 1, vcc_lo
.LBB1207_33:
	s_or_b32 exec_lo, exec_lo, s0
	v_add_nc_u32_e32 v15, 11, v23
	s_mov_b32 s0, exec_lo
	s_delay_alu instid0(VALU_DEP_1)
	v_cmpx_gt_u32_e64 s22, v15
	s_cbranch_execz .LBB1207_35
; %bb.34:
	v_dual_add_nc_u32 v14, s5, v45 :: v_dual_add_nc_u32 v15, s7, v45
	s_delay_alu instid0(VALU_DEP_1) | instskip(NEXT) | instid1(VALU_DEP_2)
	v_mul_lo_u32 v14, v14, s4
	v_mul_lo_u32 v15, v15, s6
	s_delay_alu instid0(VALU_DEP_1) | instskip(NEXT) | instid1(VALU_DEP_1)
	v_sub_nc_u32_e32 v14, v14, v15
	v_cmp_lt_u32_e32 vcc_lo, s3, v14
	v_cndmask_b32_e64 v14, 0, 1, vcc_lo
.LBB1207_35:
	s_or_b32 exec_lo, exec_lo, s0
	v_dual_add_nc_u32 v15, 12, v23 :: v_dual_mov_b32 v25, 0
	s_mov_b32 s0, exec_lo
	s_delay_alu instid0(VALU_DEP_1)
	v_cmpx_gt_u32_e64 s22, v15
	s_cbranch_execz .LBB1207_37
; %bb.36:
	v_dual_add_nc_u32 v15, s7, v1 :: v_dual_add_nc_u32 v16, s5, v1
	s_delay_alu instid0(VALU_DEP_1) | instskip(NEXT) | instid1(VALU_DEP_2)
	v_mul_lo_u32 v15, v15, s6
	v_mul_lo_u32 v16, v16, s4
	s_delay_alu instid0(VALU_DEP_1) | instskip(NEXT) | instid1(VALU_DEP_1)
	v_sub_nc_u32_e32 v15, v16, v15
	v_cmp_lt_u32_e32 vcc_lo, s3, v15
	v_cndmask_b32_e64 v25, 0, 1, vcc_lo
.LBB1207_37:
	s_or_b32 exec_lo, exec_lo, s0
	v_lshlrev_b16 v6, 8, v6
	v_lshlrev_b16 v8, 8, v8
	;; [unrolled: 1-line block ×5, first 2 shown]
	v_or_b32_e32 v5, v5, v6
	v_or_b32_e32 v6, v7, v8
	;; [unrolled: 1-line block ×3, first 2 shown]
	s_delay_alu instid0(VALU_DEP_1) | instskip(NEXT) | instid1(VALU_DEP_4)
	v_dual_lshlrev_b32 v7, 16, v7 :: v_dual_bitop2_b32 v8, v11, v12 bitop3:0x54
	v_dual_lshlrev_b32 v5, 16, v5 :: v_dual_bitop2_b32 v2, v2, v3 bitop3:0x54
	v_lshlrev_b16 v3, 8, v14
	s_delay_alu instid0(VALU_DEP_3) | instskip(NEXT) | instid1(VALU_DEP_3)
	v_and_b32_e32 v8, 0xffff, v8
	v_and_b32_e32 v2, 0xffff, v2
	s_delay_alu instid0(VALU_DEP_3) | instskip(NEXT) | instid1(VALU_DEP_1)
	v_or_b32_e32 v3, v13, v3
	v_dual_lshlrev_b32 v3, 16, v3 :: v_dual_bitop2_b32 v35, v2, v5 bitop3:0x54
	v_and_b32_e32 v6, 0xffff, v6
	s_delay_alu instid0(VALU_DEP_2) | instskip(NEXT) | instid1(VALU_DEP_2)
	v_or_b32_e32 v27, v8, v3
	v_or_b32_e32 v31, v6, v7
.LBB1207_38:
	s_delay_alu instid0(VALU_DEP_4) | instskip(SKIP_2) | instid1(VALU_DEP_4)
	v_bfe_u32 v39, v35, 16, 8
	v_bfe_u32 v41, v35, 8, 8
	v_and_b32_e32 v57, 0xff, v35
	v_and_b32_e32 v58, 0xff, v31
	v_mbcnt_lo_u32_b32 v64, -1, 0
	v_lshrrev_b32_e32 v37, 24, v35
	v_bfe_u32 v59, v31, 16, 8
	v_add3_u32 v2, v41, v57, v39
	v_bfe_u32 v60, v31, 8, 8
	v_dual_lshrrev_b32 v33, 24, v31 :: v_dual_bitop2_b32 v5, 15, v64 bitop3:0x40
	v_lshrrev_b32_e32 v65, 5, v0
	s_delay_alu instid0(VALU_DEP_4)
	v_add3_u32 v2, v2, v37, v58
	v_and_b32_e32 v61, 0xff, v27
	v_bfe_u32 v62, v27, 16, 8
	v_bfe_u32 v63, v27, 8, 8
	v_dual_lshrrev_b32 v29, 24, v27 :: v_dual_bitop2_b32 v6, 31, v0 bitop3:0x54
	v_add3_u32 v2, v2, v60, v59
	v_and_b32_e32 v3, 0xff, v25
	v_and_b32_e32 v7, 16, v64
	v_cmp_ne_u32_e32 vcc_lo, 0, v4
	v_cmp_eq_u32_e64 s6, 0, v5
	v_add3_u32 v2, v2, v33, v61
	v_cmp_lt_u32_e64 s5, 1, v5
	v_cmp_lt_u32_e64 s4, 3, v5
	;; [unrolled: 1-line block ×3, first 2 shown]
	v_cmp_eq_u32_e64 s1, 0, v7
	v_add3_u32 v2, v2, v63, v62
	v_cmp_eq_u32_e64 s0, v0, v6
	s_mov_b32 s7, -1
	v_add3_u32 v66, v2, v29, v3
	s_cbranch_vccz .LBB1207_60
; %bb.39:
	s_delay_alu instid0(VALU_DEP_1) | instskip(NEXT) | instid1(VALU_DEP_1)
	v_mov_b32_dpp v2, v66 row_shr:1 row_mask:0xf bank_mask:0xf
	v_cndmask_b32_e64 v2, v2, 0, s6
	s_delay_alu instid0(VALU_DEP_1) | instskip(NEXT) | instid1(VALU_DEP_1)
	v_add_nc_u32_e32 v2, v2, v66
	v_mov_b32_dpp v3, v2 row_shr:2 row_mask:0xf bank_mask:0xf
	s_delay_alu instid0(VALU_DEP_1) | instskip(NEXT) | instid1(VALU_DEP_1)
	v_cndmask_b32_e64 v3, 0, v3, s5
	v_add_nc_u32_e32 v2, v2, v3
	s_delay_alu instid0(VALU_DEP_1) | instskip(NEXT) | instid1(VALU_DEP_1)
	v_mov_b32_dpp v3, v2 row_shr:4 row_mask:0xf bank_mask:0xf
	v_cndmask_b32_e64 v3, 0, v3, s4
	s_delay_alu instid0(VALU_DEP_1) | instskip(NEXT) | instid1(VALU_DEP_1)
	v_add_nc_u32_e32 v2, v2, v3
	v_mov_b32_dpp v3, v2 row_shr:8 row_mask:0xf bank_mask:0xf
	s_delay_alu instid0(VALU_DEP_1) | instskip(NEXT) | instid1(VALU_DEP_1)
	v_cndmask_b32_e64 v3, 0, v3, s3
	v_add_nc_u32_e32 v2, v2, v3
	ds_swizzle_b32 v3, v2 offset:swizzle(BROADCAST,32,15)
	s_wait_dscnt 0x0
	v_cndmask_b32_e64 v3, v3, 0, s1
	s_delay_alu instid0(VALU_DEP_1)
	v_add_nc_u32_e32 v2, v2, v3
	s_and_saveexec_b32 s7, s0
; %bb.40:
	v_lshlrev_b32_e32 v3, 2, v65
	ds_store_b32 v3, v2
; %bb.41:
	s_or_b32 exec_lo, exec_lo, s7
	s_delay_alu instid0(SALU_CYCLE_1)
	s_mov_b32 s7, exec_lo
	s_wait_dscnt 0x0
	s_barrier_signal -1
	s_barrier_wait -1
	v_cmpx_gt_u32_e32 8, v0
	s_cbranch_execz .LBB1207_43
; %bb.42:
	ds_load_b32 v3, v19
	s_wait_dscnt 0x0
	v_mov_b32_dpp v6, v3 row_shr:1 row_mask:0xf bank_mask:0xf
	v_and_b32_e32 v5, 7, v64
	s_delay_alu instid0(VALU_DEP_1) | instskip(NEXT) | instid1(VALU_DEP_3)
	v_cmp_ne_u32_e32 vcc_lo, 0, v5
	v_cndmask_b32_e32 v6, 0, v6, vcc_lo
	v_cmp_lt_u32_e32 vcc_lo, 1, v5
	s_delay_alu instid0(VALU_DEP_2) | instskip(NEXT) | instid1(VALU_DEP_1)
	v_add_nc_u32_e32 v3, v6, v3
	v_mov_b32_dpp v6, v3 row_shr:2 row_mask:0xf bank_mask:0xf
	s_delay_alu instid0(VALU_DEP_1) | instskip(SKIP_1) | instid1(VALU_DEP_2)
	v_cndmask_b32_e32 v6, 0, v6, vcc_lo
	v_cmp_lt_u32_e32 vcc_lo, 3, v5
	v_add_nc_u32_e32 v3, v3, v6
	s_delay_alu instid0(VALU_DEP_1) | instskip(NEXT) | instid1(VALU_DEP_1)
	v_mov_b32_dpp v6, v3 row_shr:4 row_mask:0xf bank_mask:0xf
	v_cndmask_b32_e32 v5, 0, v6, vcc_lo
	s_delay_alu instid0(VALU_DEP_1)
	v_add_nc_u32_e32 v3, v3, v5
	ds_store_b32 v19, v3
.LBB1207_43:
	s_or_b32 exec_lo, exec_lo, s7
	s_delay_alu instid0(SALU_CYCLE_1)
	s_mov_b32 s8, exec_lo
	v_cmp_gt_u32_e32 vcc_lo, 32, v0
	s_wait_dscnt 0x0
	s_barrier_signal -1
	s_barrier_wait -1
                                        ; implicit-def: $vgpr10
	v_cmpx_lt_u32_e32 31, v0
	s_cbranch_execz .LBB1207_45
; %bb.44:
	v_lshl_add_u32 v3, v65, 2, -4
	ds_load_b32 v10, v3
	s_wait_dscnt 0x0
	v_add_nc_u32_e32 v2, v10, v2
.LBB1207_45:
	s_or_b32 exec_lo, exec_lo, s8
	v_sub_co_u32 v3, s7, v64, 1
	s_delay_alu instid0(VALU_DEP_1) | instskip(NEXT) | instid1(VALU_DEP_1)
	v_cmp_gt_i32_e64 s8, 0, v3
	v_cndmask_b32_e64 v3, v3, v64, s8
	s_delay_alu instid0(VALU_DEP_1)
	v_lshlrev_b32_e32 v3, 2, v3
	ds_bpermute_b32 v11, v3, v2
	s_and_saveexec_b32 s8, vcc_lo
	s_cbranch_execz .LBB1207_65
; %bb.46:
	v_dual_mov_b32 v9, 0 :: v_dual_add_nc_u32 v12, 32, v4
	ds_load_b32 v2, v9 offset:28
	s_and_saveexec_b32 s15, s7
	s_cbranch_execz .LBB1207_48
; %bb.47:
	v_mov_b32_e32 v3, 1
	s_wait_dscnt 0x0
	global_store_b64 v12, v[2:3], s[20:21] scale_offset scope:SCOPE_DEV
.LBB1207_48:
	s_wait_xcnt 0x0
	s_or_b32 exec_lo, exec_lo, s15
	v_xad_u32 v4, v64, -1, v4
	s_mov_b32 s23, 0
	s_mov_b32 s15, exec_lo
	s_delay_alu instid0(VALU_DEP_1) | instskip(SKIP_4) | instid1(VALU_DEP_1)
	v_add_nc_u32_e32 v8, 32, v4
	global_load_b64 v[6:7], v8, s[20:21] scale_offset scope:SCOPE_DEV
	s_wait_loadcnt 0x0
	v_and_b32_e32 v3, 0xff, v7
	s_wait_xcnt 0x0
	v_cmpx_eq_u16_e32 0, v3
	s_cbranch_execz .LBB1207_52
; %bb.49:
	v_lshl_add_u64 v[8:9], v[8:9], 3, s[20:21]
.LBB1207_50:                            ; =>This Inner Loop Header: Depth=1
	global_load_b64 v[6:7], v[8:9], off scope:SCOPE_DEV
	s_wait_loadcnt 0x0
	v_and_b32_e32 v3, 0xff, v7
	s_delay_alu instid0(VALU_DEP_1)
	v_cmp_ne_u16_e32 vcc_lo, 0, v3
	s_or_b32 s23, vcc_lo, s23
	s_wait_xcnt 0x0
	s_and_not1_b32 exec_lo, exec_lo, s23
	s_cbranch_execnz .LBB1207_50
; %bb.51:
	s_or_b32 exec_lo, exec_lo, s23
.LBB1207_52:
	s_delay_alu instid0(SALU_CYCLE_1)
	s_or_b32 exec_lo, exec_lo, s15
	v_cmp_ne_u32_e32 vcc_lo, 31, v64
	v_lshlrev_b32_e64 v14, v64, -1
	v_lshl_or_b32 v69, v64, 2, 64
	v_dual_add_nc_u32 v16, 2, v64 :: v_dual_add_nc_u32 v56, 4, v64
	v_add_co_ci_u32_e64 v3, null, 0, v64, vcc_lo
	v_dual_add_nc_u32 v68, 8, v64 :: v_dual_add_nc_u32 v70, 16, v64
	s_delay_alu instid0(VALU_DEP_2)
	v_lshlrev_b32_e32 v13, 2, v3
	v_and_b32_e32 v3, 0xff, v7
	ds_bpermute_b32 v5, v13, v6
	v_cmp_eq_u16_e32 vcc_lo, 2, v3
	v_and_or_b32 v3, vcc_lo, v14, 0x80000000
	v_cmp_gt_u32_e32 vcc_lo, 30, v64
	s_delay_alu instid0(VALU_DEP_2) | instskip(SKIP_1) | instid1(VALU_DEP_2)
	v_ctz_i32_b32_e32 v3, v3
	v_cndmask_b32_e64 v8, 0, 2, vcc_lo
	v_cmp_lt_u32_e32 vcc_lo, v64, v3
	s_delay_alu instid0(VALU_DEP_2) | instskip(SKIP_3) | instid1(VALU_DEP_2)
	v_add_lshl_u32 v15, v8, v64, 2
	s_wait_dscnt 0x0
	v_cndmask_b32_e32 v5, 0, v5, vcc_lo
	v_cmp_gt_u32_e32 vcc_lo, 28, v64
	v_add_nc_u32_e32 v5, v5, v6
	v_cndmask_b32_e64 v8, 0, 4, vcc_lo
	v_cmp_le_u32_e32 vcc_lo, v16, v3
	ds_bpermute_b32 v6, v15, v5
	v_add_lshl_u32 v17, v8, v64, 2
	s_wait_dscnt 0x0
	v_cndmask_b32_e32 v6, 0, v6, vcc_lo
	v_cmp_gt_u32_e32 vcc_lo, 24, v64
	v_cndmask_b32_e64 v8, 0, 8, vcc_lo
	v_cmp_le_u32_e32 vcc_lo, v56, v3
	s_delay_alu instid0(VALU_DEP_4) | instskip(NEXT) | instid1(VALU_DEP_3)
	v_add_nc_u32_e32 v5, v5, v6
	v_add_lshl_u32 v67, v8, v64, 2
	ds_bpermute_b32 v6, v17, v5
	s_wait_dscnt 0x0
	v_cndmask_b32_e32 v6, 0, v6, vcc_lo
	v_cmp_le_u32_e32 vcc_lo, v68, v3
	s_delay_alu instid0(VALU_DEP_2) | instskip(SKIP_4) | instid1(VALU_DEP_2)
	v_add_nc_u32_e32 v5, v5, v6
	ds_bpermute_b32 v6, v67, v5
	s_wait_dscnt 0x0
	v_cndmask_b32_e32 v6, 0, v6, vcc_lo
	v_cmp_le_u32_e32 vcc_lo, v70, v3
	v_add_nc_u32_e32 v5, v5, v6
	ds_bpermute_b32 v6, v69, v5
	s_wait_dscnt 0x0
	v_cndmask_b32_e32 v3, 0, v6, vcc_lo
	s_delay_alu instid0(VALU_DEP_1)
	v_dual_mov_b32 v5, 0 :: v_dual_add_nc_u32 v6, v5, v3
	s_branch .LBB1207_56
.LBB1207_53:                            ;   in Loop: Header=BB1207_56 Depth=1
	s_or_b32 exec_lo, exec_lo, s23
.LBB1207_54:                            ;   in Loop: Header=BB1207_56 Depth=1
	s_delay_alu instid0(SALU_CYCLE_1)
	s_or_b32 exec_lo, exec_lo, s15
	v_and_b32_e32 v8, 0xff, v7
	ds_bpermute_b32 v9, v13, v6
	v_subrev_nc_u32_e32 v4, 32, v4
	s_mov_b32 s15, 0
	v_cmp_eq_u16_e32 vcc_lo, 2, v8
	v_and_or_b32 v8, vcc_lo, v14, 0x80000000
	s_delay_alu instid0(VALU_DEP_1) | instskip(NEXT) | instid1(VALU_DEP_1)
	v_ctz_i32_b32_e32 v8, v8
	v_cmp_lt_u32_e32 vcc_lo, v64, v8
	s_wait_dscnt 0x0
	v_cndmask_b32_e32 v9, 0, v9, vcc_lo
	v_cmp_le_u32_e32 vcc_lo, v16, v8
	s_delay_alu instid0(VALU_DEP_2) | instskip(SKIP_4) | instid1(VALU_DEP_2)
	v_add_nc_u32_e32 v6, v9, v6
	ds_bpermute_b32 v9, v15, v6
	s_wait_dscnt 0x0
	v_cndmask_b32_e32 v9, 0, v9, vcc_lo
	v_cmp_le_u32_e32 vcc_lo, v56, v8
	v_add_nc_u32_e32 v6, v6, v9
	ds_bpermute_b32 v9, v17, v6
	s_wait_dscnt 0x0
	v_cndmask_b32_e32 v9, 0, v9, vcc_lo
	v_cmp_le_u32_e32 vcc_lo, v68, v8
	s_delay_alu instid0(VALU_DEP_2) | instskip(SKIP_4) | instid1(VALU_DEP_2)
	v_add_nc_u32_e32 v6, v6, v9
	ds_bpermute_b32 v9, v67, v6
	s_wait_dscnt 0x0
	v_cndmask_b32_e32 v9, 0, v9, vcc_lo
	v_cmp_le_u32_e32 vcc_lo, v70, v8
	v_add_nc_u32_e32 v6, v6, v9
	ds_bpermute_b32 v9, v69, v6
	s_wait_dscnt 0x0
	v_cndmask_b32_e32 v8, 0, v9, vcc_lo
	s_delay_alu instid0(VALU_DEP_1)
	v_add3_u32 v6, v8, v3, v6
.LBB1207_55:                            ;   in Loop: Header=BB1207_56 Depth=1
	s_and_b32 vcc_lo, exec_lo, s15
	s_cbranch_vccnz .LBB1207_61
.LBB1207_56:                            ; =>This Loop Header: Depth=1
                                        ;     Child Loop BB1207_59 Depth 2
	v_and_b32_e32 v3, 0xff, v7
	s_mov_b32 s15, -1
                                        ; implicit-def: $vgpr7
	s_delay_alu instid0(VALU_DEP_1)
	v_cmp_ne_u16_e32 vcc_lo, 2, v3
	v_mov_b32_e32 v3, v6
                                        ; implicit-def: $vgpr6
	s_cmp_lg_u32 vcc_lo, exec_lo
	s_cbranch_scc1 .LBB1207_55
; %bb.57:                               ;   in Loop: Header=BB1207_56 Depth=1
	global_load_b64 v[6:7], v4, s[20:21] scale_offset scope:SCOPE_DEV
	s_mov_b32 s15, exec_lo
	s_wait_loadcnt 0x0
	v_and_b32_e32 v8, 0xff, v7
	s_wait_xcnt 0x0
	s_delay_alu instid0(VALU_DEP_1)
	v_cmpx_eq_u16_e32 0, v8
	s_cbranch_execz .LBB1207_54
; %bb.58:                               ;   in Loop: Header=BB1207_56 Depth=1
	v_lshl_add_u64 v[8:9], v[4:5], 3, s[20:21]
	s_mov_b32 s23, 0
.LBB1207_59:                            ;   Parent Loop BB1207_56 Depth=1
                                        ; =>  This Inner Loop Header: Depth=2
	global_load_b64 v[6:7], v[8:9], off scope:SCOPE_DEV
	s_wait_loadcnt 0x0
	v_and_b32_e32 v71, 0xff, v7
	s_delay_alu instid0(VALU_DEP_1)
	v_cmp_ne_u16_e32 vcc_lo, 0, v71
	s_or_b32 s23, vcc_lo, s23
	s_wait_xcnt 0x0
	s_and_not1_b32 exec_lo, exec_lo, s23
	s_cbranch_execnz .LBB1207_59
	s_branch .LBB1207_53
.LBB1207_60:
                                        ; implicit-def: $vgpr2_vgpr3_vgpr4_vgpr5_vgpr6_vgpr7_vgpr8_vgpr9_vgpr10_vgpr11_vgpr12_vgpr13_vgpr14_vgpr15_vgpr16_vgpr17
                                        ; implicit-def: $vgpr56
                                        ; implicit-def: $vgpr16
	s_and_b32 vcc_lo, exec_lo, s7
	s_cbranch_vccnz .LBB1207_66
	s_branch .LBB1207_75
.LBB1207_61:
	s_and_saveexec_b32 s15, s7
	s_cbranch_execz .LBB1207_63
; %bb.62:
	v_dual_mov_b32 v5, 2 :: v_dual_add_nc_u32 v4, v3, v2
	v_mov_b32_e32 v6, 0
	global_store_b64 v12, v[4:5], s[20:21] scale_offset scope:SCOPE_DEV
	ds_store_b64 v6, v[2:3] offset:13312
.LBB1207_63:
	s_wait_xcnt 0x0
	s_or_b32 exec_lo, exec_lo, s15
	s_delay_alu instid0(SALU_CYCLE_1)
	s_and_b32 exec_lo, exec_lo, s2
; %bb.64:
	v_mov_b32_e32 v2, 0
	ds_store_b32 v2, v3 offset:28
.LBB1207_65:
	s_or_b32 exec_lo, exec_lo, s8
	s_wait_dscnt 0x0
	v_dual_mov_b32 v12, 0 :: v_dual_cndmask_b32 v3, v11, v10, s7
	s_wait_storecnt 0x0
	s_barrier_signal -1
	s_barrier_wait -1
	ds_load_b32 v2, v12 offset:28
	v_cndmask_b32_e64 v3, v3, 0, s2
	s_wait_dscnt 0x0
	s_barrier_signal -1
	s_barrier_wait -1
	ds_load_b64 v[16:17], v12 offset:13312
	v_add_nc_u32_e32 v2, v2, v3
	s_wait_dscnt 0x0
	s_delay_alu instid0(VALU_DEP_1) | instskip(NEXT) | instid1(VALU_DEP_1)
	v_dual_mov_b32 v56, v17 :: v_dual_add_nc_u32 v3, v2, v57
	v_add_nc_u32_e32 v4, v3, v41
	s_delay_alu instid0(VALU_DEP_1) | instskip(NEXT) | instid1(VALU_DEP_1)
	v_add_nc_u32_e32 v5, v4, v39
	v_add_nc_u32_e32 v6, v5, v37
	s_delay_alu instid0(VALU_DEP_1) | instskip(NEXT) | instid1(VALU_DEP_1)
	v_add_nc_u32_e32 v7, v6, v58
	;; [unrolled: 3-line block ×5, first 2 shown]
	v_add_nc_u32_e32 v14, v13, v29
	s_branch .LBB1207_75
.LBB1207_66:
	v_mov_b32_dpp v2, v66 row_shr:1 row_mask:0xf bank_mask:0xf
	s_delay_alu instid0(VALU_DEP_1) | instskip(NEXT) | instid1(VALU_DEP_1)
	v_cndmask_b32_e64 v2, v2, 0, s6
	v_add_nc_u32_e32 v2, v2, v66
	s_delay_alu instid0(VALU_DEP_1) | instskip(NEXT) | instid1(VALU_DEP_1)
	v_mov_b32_dpp v3, v2 row_shr:2 row_mask:0xf bank_mask:0xf
	v_cndmask_b32_e64 v3, 0, v3, s5
	s_delay_alu instid0(VALU_DEP_1) | instskip(NEXT) | instid1(VALU_DEP_1)
	v_add_nc_u32_e32 v2, v2, v3
	v_mov_b32_dpp v3, v2 row_shr:4 row_mask:0xf bank_mask:0xf
	s_delay_alu instid0(VALU_DEP_1) | instskip(NEXT) | instid1(VALU_DEP_1)
	v_cndmask_b32_e64 v3, 0, v3, s4
	v_add_nc_u32_e32 v2, v2, v3
	s_delay_alu instid0(VALU_DEP_1) | instskip(NEXT) | instid1(VALU_DEP_1)
	v_mov_b32_dpp v3, v2 row_shr:8 row_mask:0xf bank_mask:0xf
	v_cndmask_b32_e64 v3, 0, v3, s3
	s_delay_alu instid0(VALU_DEP_1) | instskip(SKIP_3) | instid1(VALU_DEP_1)
	v_add_nc_u32_e32 v2, v2, v3
	ds_swizzle_b32 v3, v2 offset:swizzle(BROADCAST,32,15)
	s_wait_dscnt 0x0
	v_cndmask_b32_e64 v3, v3, 0, s1
	v_add_nc_u32_e32 v2, v2, v3
	s_and_saveexec_b32 s1, s0
; %bb.67:
	v_lshlrev_b32_e32 v3, 2, v65
	ds_store_b32 v3, v2
; %bb.68:
	s_or_b32 exec_lo, exec_lo, s1
	s_delay_alu instid0(SALU_CYCLE_1)
	s_mov_b32 s0, exec_lo
	s_wait_dscnt 0x0
	s_barrier_signal -1
	s_barrier_wait -1
	v_cmpx_gt_u32_e32 8, v0
	s_cbranch_execz .LBB1207_70
; %bb.69:
	ds_load_b32 v3, v19
	s_wait_dscnt 0x0
	v_mov_b32_dpp v5, v3 row_shr:1 row_mask:0xf bank_mask:0xf
	v_and_b32_e32 v4, 7, v64
	s_delay_alu instid0(VALU_DEP_1) | instskip(NEXT) | instid1(VALU_DEP_3)
	v_cmp_ne_u32_e32 vcc_lo, 0, v4
	v_cndmask_b32_e32 v5, 0, v5, vcc_lo
	v_cmp_lt_u32_e32 vcc_lo, 1, v4
	s_delay_alu instid0(VALU_DEP_2) | instskip(NEXT) | instid1(VALU_DEP_1)
	v_add_nc_u32_e32 v3, v5, v3
	v_mov_b32_dpp v5, v3 row_shr:2 row_mask:0xf bank_mask:0xf
	s_delay_alu instid0(VALU_DEP_1) | instskip(SKIP_1) | instid1(VALU_DEP_2)
	v_cndmask_b32_e32 v5, 0, v5, vcc_lo
	v_cmp_lt_u32_e32 vcc_lo, 3, v4
	v_add_nc_u32_e32 v3, v3, v5
	s_delay_alu instid0(VALU_DEP_1) | instskip(NEXT) | instid1(VALU_DEP_1)
	v_mov_b32_dpp v5, v3 row_shr:4 row_mask:0xf bank_mask:0xf
	v_cndmask_b32_e32 v4, 0, v5, vcc_lo
	s_delay_alu instid0(VALU_DEP_1)
	v_add_nc_u32_e32 v3, v3, v4
	ds_store_b32 v19, v3
.LBB1207_70:
	s_or_b32 exec_lo, exec_lo, s0
	v_dual_mov_b32 v4, 0 :: v_dual_mov_b32 v3, 0
	s_mov_b32 s0, exec_lo
	s_wait_dscnt 0x0
	s_barrier_signal -1
	s_barrier_wait -1
	v_cmpx_lt_u32_e32 31, v0
; %bb.71:
	v_lshl_add_u32 v3, v65, 2, -4
	ds_load_b32 v3, v3
; %bb.72:
	s_or_b32 exec_lo, exec_lo, s0
	v_sub_co_u32 v5, vcc_lo, v64, 1
	ds_load_b32 v16, v4 offset:28
	s_wait_dscnt 0x1
	v_add_nc_u32_e32 v2, v3, v2
	v_cmp_gt_i32_e64 s0, 0, v5
	s_delay_alu instid0(VALU_DEP_1) | instskip(NEXT) | instid1(VALU_DEP_1)
	v_cndmask_b32_e64 v5, v5, v64, s0
	v_lshlrev_b32_e32 v5, 2, v5
	ds_bpermute_b32 v2, v5, v2
	s_and_saveexec_b32 s0, s2
	s_cbranch_execz .LBB1207_74
; %bb.73:
	v_dual_mov_b32 v4, 0 :: v_dual_mov_b32 v17, 2
	s_wait_dscnt 0x1
	global_store_b64 v4, v[16:17], s[20:21] offset:256 scope:SCOPE_DEV
.LBB1207_74:
	s_wait_xcnt 0x0
	s_or_b32 exec_lo, exec_lo, s0
	s_wait_dscnt 0x0
	v_cndmask_b32_e32 v2, v2, v3, vcc_lo
	s_wait_storecnt 0x0
	s_barrier_signal -1
	s_barrier_wait -1
	s_delay_alu instid0(VALU_DEP_1) | instskip(NEXT) | instid1(VALU_DEP_1)
	v_cndmask_b32_e64 v2, v2, 0, s2
	v_dual_mov_b32 v56, 0 :: v_dual_add_nc_u32 v3, v2, v57
	s_delay_alu instid0(VALU_DEP_1) | instskip(NEXT) | instid1(VALU_DEP_1)
	v_add_nc_u32_e32 v4, v3, v41
	v_add_nc_u32_e32 v5, v4, v39
	s_delay_alu instid0(VALU_DEP_1) | instskip(NEXT) | instid1(VALU_DEP_1)
	v_add_nc_u32_e32 v6, v5, v37
	v_add_nc_u32_e32 v7, v6, v58
	;; [unrolled: 3-line block ×5, first 2 shown]
	s_delay_alu instid0(VALU_DEP_1)
	v_add_nc_u32_e32 v14, v13, v29
.LBB1207_75:
	v_dual_lshrrev_b32 v57, 16, v35 :: v_dual_lshrrev_b32 v58, 8, v35
	v_dual_add_nc_u32 v23, v16, v23 :: v_dual_sub_nc_u32 v3, v3, v56
	v_dual_sub_nc_u32 v2, v2, v56 :: v_dual_bitop2_b32 v35, 1, v35 bitop3:0x40
	s_delay_alu instid0(VALU_DEP_3) | instskip(NEXT) | instid1(VALU_DEP_3)
	v_dual_sub_nc_u32 v4, v4, v56 :: v_dual_bitop2_b32 v58, 1, v58 bitop3:0x40
	v_dual_sub_nc_u32 v59, v23, v3 :: v_dual_bitop2_b32 v57, 1, v57 bitop3:0x40
	s_delay_alu instid0(VALU_DEP_3) | instskip(NEXT) | instid1(VALU_DEP_4)
	v_dual_sub_nc_u32 v60, v23, v2 :: v_dual_sub_nc_u32 v5, v5, v56
	v_cmp_eq_u32_e32 vcc_lo, 1, v35
	s_delay_alu instid0(VALU_DEP_3) | instskip(SKIP_1) | instid1(VALU_DEP_4)
	v_dual_sub_nc_u32 v61, v23, v4 :: v_dual_add_nc_u32 v59, 1, v59
	v_dual_lshrrev_b32 v41, 8, v31 :: v_dual_lshrrev_b32 v39, 16, v31
	v_cndmask_b32_e32 v2, v60, v2, vcc_lo
	v_cmp_eq_u32_e32 vcc_lo, 1, v58
	v_dual_lshrrev_b32 v15, 16, v27 :: v_dual_lshrrev_b32 v17, 8, v27
	v_cndmask_b32_e32 v3, v59, v3, vcc_lo
	s_delay_alu instid0(VALU_DEP_4)
	v_dual_sub_nc_u32 v35, v23, v5 :: v_dual_lshlrev_b32 v2, 2, v2
	v_and_b32_e32 v37, 1, v37
	v_add_nc_u32_e32 v58, 2, v61
	v_cmp_eq_u32_e32 vcc_lo, 1, v57
	v_lshlrev_b32_e32 v3, 2, v3
	v_add_nc_u32_e32 v35, 3, v35
	ds_store_b32 v2, v54
	ds_store_b32 v3, v55
	v_cndmask_b32_e32 v4, v58, v4, vcc_lo
	v_cmp_eq_u32_e32 vcc_lo, 1, v37
	v_dual_cndmask_b32 v5, v35, v5 :: v_dual_sub_nc_u32 v6, v6, v56
	s_delay_alu instid0(VALU_DEP_1) | instskip(NEXT) | instid1(VALU_DEP_2)
	v_dual_lshlrev_b32 v3, 2, v4 :: v_dual_lshlrev_b32 v4, 2, v5
	v_sub_nc_u32_e32 v2, v23, v6
	v_dual_sub_nc_u32 v5, v7, v56 :: v_dual_bitop2_b32 v7, 1, v31 bitop3:0x40
	s_delay_alu instid0(VALU_DEP_2)
	v_add_nc_u32_e32 v2, 4, v2
	ds_store_b32 v3, v52
	ds_store_b32 v4, v53
	v_cmp_eq_u32_e32 vcc_lo, 1, v7
	v_dual_sub_nc_u32 v4, v8, v56 :: v_dual_cndmask_b32 v2, v2, v6, vcc_lo
	v_sub_nc_u32_e32 v3, v23, v5
	v_dual_sub_nc_u32 v7, v9, v56 :: v_dual_bitop2_b32 v6, 1, v41 bitop3:0x40
	s_delay_alu instid0(VALU_DEP_2) | instskip(NEXT) | instid1(VALU_DEP_2)
	v_dual_lshlrev_b32 v2, 2, v2 :: v_dual_add_nc_u32 v3, 5, v3
	v_cmp_eq_u32_e32 vcc_lo, 1, v6
	v_dual_sub_nc_u32 v8, v23, v4 :: v_dual_bitop2_b32 v6, 1, v39 bitop3:0x40
	ds_store_b32 v2, v50
	v_and_b32_e32 v2, 1, v33
	v_cndmask_b32_e32 v3, v3, v5, vcc_lo
	v_dual_sub_nc_u32 v5, v23, v7 :: v_dual_add_nc_u32 v8, 6, v8
	v_cmp_eq_u32_e32 vcc_lo, 1, v6
	s_delay_alu instid0(VALU_DEP_3) | instskip(NEXT) | instid1(VALU_DEP_3)
	v_dual_sub_nc_u32 v6, v11, v56 :: v_dual_lshlrev_b32 v3, 2, v3
	v_dual_cndmask_b32 v4, v8, v4 :: v_dual_add_nc_u32 v5, 7, v5
	v_cmp_eq_u32_e32 vcc_lo, 1, v2
	ds_store_b32 v3, v51
	v_dual_sub_nc_u32 v3, v23, v6 :: v_dual_sub_nc_u32 v8, v14, v56
	v_dual_lshlrev_b32 v4, 2, v4 :: v_dual_cndmask_b32 v2, v5, v7, vcc_lo
	v_dual_sub_nc_u32 v5, v10, v56 :: v_dual_bitop2_b32 v7, 1, v17 bitop3:0x40
	s_delay_alu instid0(VALU_DEP_3)
	v_add_nc_u32_e32 v3, 9, v3
	ds_store_b32 v4, v48
	v_dual_lshlrev_b32 v2, 2, v2 :: v_dual_sub_nc_u32 v4, v23, v5
	v_cmp_eq_u32_e32 vcc_lo, 1, v7
	v_sub_nc_u32_e32 v7, v12, v56
	v_sub_nc_u32_e32 v9, v23, v8
	ds_store_b32 v2, v49
	v_dual_add_nc_u32 v4, 8, v4 :: v_dual_bitop2_b32 v2, 1, v27 bitop3:0x40
	v_dual_cndmask_b32 v3, v3, v6 :: v_dual_sub_nc_u32 v6, v13, v56
	s_delay_alu instid0(VALU_DEP_2) | instskip(NEXT) | instid1(VALU_DEP_2)
	v_cmp_eq_u32_e32 vcc_lo, 1, v2
	v_dual_cndmask_b32 v2, v4, v5, vcc_lo :: v_dual_sub_nc_u32 v4, v23, v6
	v_and_b32_e32 v10, 1, v15
	v_dual_sub_nc_u32 v5, v23, v7 :: v_dual_bitop2_b32 v12, 1, v25 bitop3:0x40
	s_delay_alu instid0(VALU_DEP_3) | instskip(SKIP_1) | instid1(VALU_DEP_1)
	v_dual_lshlrev_b32 v2, 2, v2 :: v_dual_add_nc_u32 v4, 11, v4
	v_and_b32_e32 v11, 1, v29
	v_cmp_eq_u32_e32 vcc_lo, 1, v11
	s_delay_alu instid0(VALU_DEP_3) | instskip(SKIP_3) | instid1(VALU_DEP_1)
	v_cndmask_b32_e32 v4, v4, v6, vcc_lo
	v_cmp_eq_u32_e32 vcc_lo, 1, v10
	v_add_nc_u32_e32 v9, 12, v9
	v_add_nc_u32_e32 v5, 10, v5
	v_cndmask_b32_e32 v5, v5, v7, vcc_lo
	v_cmp_eq_u32_e32 vcc_lo, 1, v12
	s_delay_alu instid0(VALU_DEP_2) | instskip(SKIP_3) | instid1(VALU_DEP_3)
	v_dual_lshlrev_b32 v3, 2, v3 :: v_dual_lshlrev_b32 v5, 2, v5
	v_cndmask_b32_e32 v6, v9, v8, vcc_lo
	v_lshlrev_b32_e32 v4, 2, v4
	v_cmp_ne_u32_e32 vcc_lo, 1, v21
	v_lshlrev_b32_e32 v6, 2, v6
	ds_store_b32 v2, v46
	ds_store_b32 v3, v47
	;; [unrolled: 1-line block ×5, first 2 shown]
	s_wait_dscnt 0x0
	s_barrier_signal -1
	s_barrier_wait -1
	ds_load_2addr_stride64_b32 v[14:15], v19 offset1:4
	ds_load_2addr_stride64_b32 v[12:13], v19 offset0:8 offset1:12
	ds_load_2addr_stride64_b32 v[10:11], v19 offset0:16 offset1:20
	;; [unrolled: 1-line block ×5, first 2 shown]
	ds_load_b32 v46, v19 offset:12288
	v_mov_b32_e32 v1, 0
	s_and_b32 vcc_lo, exec_lo, vcc_lo
	s_delay_alu instid0(VALU_DEP_1) | instskip(SKIP_2) | instid1(VALU_DEP_3)
	v_dual_mov_b32 v29, v1 :: v_dual_mov_b32 v57, v1
	v_dual_mov_b32 v41, v1 :: v_dual_mov_b32 v39, v1
	;; [unrolled: 1-line block ×3, first 2 shown]
	v_add_nc_u64_e32 v[2:3], v[42:43], v[56:57]
	v_dual_mov_b32 v33, v1 :: v_dual_mov_b32 v31, v1
	v_dual_mov_b32 v27, v1 :: v_dual_mov_b32 v25, v1
	;; [unrolled: 1-line block ×3, first 2 shown]
	v_mov_b32_e32 v19, v1
	s_cbranch_vccnz .LBB1207_132
; %bb.76:
	v_mov_b32_e32 v17, v1
	s_mov_b32 s15, 0
	v_sub_nc_u64_e64 v[42:43], v[2:3], s[16:17]
	s_sub_nc_u64 s[0:1], s[18:19], s[14:15]
	s_delay_alu instid0(VALU_DEP_2) | instid1(SALU_CYCLE_1)
	v_add_nc_u64_e32 v[44:45], s[0:1], v[16:17]
	s_mov_b32 s0, exec_lo
	s_delay_alu instid0(VALU_DEP_1)
	v_add_nc_u64_e32 v[42:43], v[44:45], v[42:43]
                                        ; implicit-def: $vgpr44_vgpr45
	v_cmpx_ge_u32_e64 v0, v16
	s_xor_b32 s0, exec_lo, s0
; %bb.77:
	v_not_b32_e32 v44, v0
	s_delay_alu instid0(VALU_DEP_1) | instskip(NEXT) | instid1(VALU_DEP_1)
	v_ashrrev_i32_e32 v45, 31, v44
	v_add_nc_u64_e32 v[44:45], v[42:43], v[44:45]
; %bb.78:
	s_and_not1_saveexec_b32 s0, s0
; %bb.79:
	v_add_nc_u64_e32 v[44:45], v[2:3], v[0:1]
; %bb.80:
	s_or_b32 exec_lo, exec_lo, s0
	s_delay_alu instid0(VALU_DEP_1)
	v_lshl_add_u64 v[44:45], v[44:45], 2, s[10:11]
	s_mov_b32 s0, exec_lo
	s_wait_dscnt 0x6
	global_store_b32 v[44:45], v14, off
                                        ; implicit-def: $vgpr44_vgpr45
	s_wait_xcnt 0x0
	v_cmpx_ge_u32_e64 v40, v16
	s_xor_b32 s0, exec_lo, s0
; %bb.81:
	v_xor_b32_e32 v44, 0xfffffeff, v0
	s_delay_alu instid0(VALU_DEP_1) | instskip(NEXT) | instid1(VALU_DEP_1)
	v_ashrrev_i32_e32 v45, 31, v44
	v_add_nc_u64_e32 v[44:45], v[42:43], v[44:45]
; %bb.82:
	s_and_not1_saveexec_b32 s0, s0
; %bb.83:
	v_add_nc_u64_e32 v[44:45], v[2:3], v[40:41]
; %bb.84:
	s_or_b32 exec_lo, exec_lo, s0
	s_delay_alu instid0(VALU_DEP_1)
	v_lshl_add_u64 v[44:45], v[44:45], 2, s[10:11]
	s_mov_b32 s0, exec_lo
	global_store_b32 v[44:45], v15, off
                                        ; implicit-def: $vgpr44_vgpr45
	s_wait_xcnt 0x0
	v_cmpx_ge_u32_e64 v38, v16
	s_xor_b32 s0, exec_lo, s0
; %bb.85:
	v_xor_b32_e32 v44, 0xfffffdff, v0
	s_delay_alu instid0(VALU_DEP_1) | instskip(NEXT) | instid1(VALU_DEP_1)
	v_ashrrev_i32_e32 v45, 31, v44
	v_add_nc_u64_e32 v[44:45], v[42:43], v[44:45]
; %bb.86:
	s_and_not1_saveexec_b32 s0, s0
; %bb.87:
	v_add_nc_u64_e32 v[44:45], v[2:3], v[38:39]
; %bb.88:
	s_or_b32 exec_lo, exec_lo, s0
	s_delay_alu instid0(VALU_DEP_1)
	v_lshl_add_u64 v[44:45], v[44:45], 2, s[10:11]
	s_mov_b32 s0, exec_lo
	s_wait_dscnt 0x5
	global_store_b32 v[44:45], v12, off
                                        ; implicit-def: $vgpr44_vgpr45
	s_wait_xcnt 0x0
	v_cmpx_ge_u32_e64 v36, v16
	s_xor_b32 s0, exec_lo, s0
; %bb.89:
	v_xor_b32_e32 v44, 0xfffffcff, v0
	s_delay_alu instid0(VALU_DEP_1) | instskip(NEXT) | instid1(VALU_DEP_1)
	v_ashrrev_i32_e32 v45, 31, v44
	v_add_nc_u64_e32 v[44:45], v[42:43], v[44:45]
; %bb.90:
	s_and_not1_saveexec_b32 s0, s0
; %bb.91:
	v_add_nc_u64_e32 v[44:45], v[2:3], v[36:37]
; %bb.92:
	s_or_b32 exec_lo, exec_lo, s0
	s_delay_alu instid0(VALU_DEP_1)
	v_lshl_add_u64 v[44:45], v[44:45], 2, s[10:11]
	s_mov_b32 s0, exec_lo
	global_store_b32 v[44:45], v13, off
                                        ; implicit-def: $vgpr44_vgpr45
	s_wait_xcnt 0x0
	v_cmpx_ge_u32_e64 v34, v16
	s_xor_b32 s0, exec_lo, s0
; %bb.93:
	v_xor_b32_e32 v44, 0xfffffbff, v0
	;; [unrolled: 39-line block ×6, first 2 shown]
	s_delay_alu instid0(VALU_DEP_1) | instskip(NEXT) | instid1(VALU_DEP_1)
	v_ashrrev_i32_e32 v45, 31, v44
	v_add_nc_u64_e32 v[44:45], v[42:43], v[44:45]
; %bb.126:
	s_and_not1_saveexec_b32 s0, s0
; %bb.127:
	v_add_nc_u64_e32 v[44:45], v[2:3], v[18:19]
; %bb.128:
	s_or_b32 exec_lo, exec_lo, s0
	s_mov_b32 s0, -1
.LBB1207_129:
	s_delay_alu instid0(SALU_CYCLE_1)
	s_and_saveexec_b32 s1, s0
	s_cbranch_execz .LBB1207_212
.LBB1207_130:
	s_delay_alu instid0(VALU_DEP_1)
	v_lshl_add_u64 v[0:1], v[44:45], 2, s[10:11]
	s_wait_dscnt 0x0
	global_store_b32 v[0:1], v46, off
	s_wait_xcnt 0x0
	s_or_b32 exec_lo, exec_lo, s1
	s_and_b32 s0, s2, s9
	s_delay_alu instid0(SALU_CYCLE_1)
	s_and_saveexec_b32 s1, s0
	s_cbranch_execnz .LBB1207_213
.LBB1207_131:
	s_sendmsg sendmsg(MSG_DEALLOC_VGPRS)
	s_endpgm
.LBB1207_132:
	s_mov_b32 s0, 0
                                        ; implicit-def: $vgpr44_vgpr45
	s_cbranch_execz .LBB1207_129
; %bb.133:
	s_mov_b32 s15, 0
	v_mov_b32_e32 v17, 0
	s_add_nc_u64 s[4:5], s[16:17], s[14:15]
	s_mov_b32 s1, exec_lo
	s_sub_nc_u64 s[4:5], s[18:19], s[4:5]
	s_delay_alu instid0(VALU_DEP_1) | instid1(SALU_CYCLE_1)
	v_add_nc_u64_e32 v[42:43], s[4:5], v[16:17]
	s_delay_alu instid0(VALU_DEP_1)
	v_add_nc_u64_e32 v[42:43], v[42:43], v[2:3]
	v_cmpx_gt_u32_e64 s22, v0
	s_cbranch_execz .LBB1207_169
; %bb.134:
	s_mov_b32 s3, exec_lo
                                        ; implicit-def: $vgpr44_vgpr45
	v_cmpx_ge_u32_e64 v0, v16
	s_xor_b32 s3, exec_lo, s3
; %bb.135:
	v_not_b32_e32 v44, v0
	s_delay_alu instid0(VALU_DEP_1) | instskip(NEXT) | instid1(VALU_DEP_1)
	v_ashrrev_i32_e32 v45, 31, v44
	v_add_nc_u64_e32 v[44:45], v[42:43], v[44:45]
; %bb.136:
	s_and_not1_saveexec_b32 s3, s3
; %bb.137:
	v_add_nc_u64_e32 v[44:45], v[2:3], v[0:1]
; %bb.138:
	s_or_b32 exec_lo, exec_lo, s3
	s_delay_alu instid0(VALU_DEP_1) | instskip(SKIP_4) | instid1(SALU_CYCLE_1)
	v_lshl_add_u64 v[44:45], v[44:45], 2, s[10:11]
	s_wait_dscnt 0x6
	global_store_b32 v[44:45], v14, off
	s_wait_xcnt 0x0
	s_or_b32 exec_lo, exec_lo, s1
	s_mov_b32 s1, exec_lo
	v_cmpx_gt_u32_e64 s22, v40
	s_cbranch_execnz .LBB1207_170
.LBB1207_139:
	s_or_b32 exec_lo, exec_lo, s1
	s_delay_alu instid0(SALU_CYCLE_1)
	s_mov_b32 s1, exec_lo
	v_cmpx_gt_u32_e64 s22, v38
	s_cbranch_execz .LBB1207_175
.LBB1207_140:
	s_mov_b32 s3, exec_lo
                                        ; implicit-def: $vgpr14_vgpr15
	v_cmpx_ge_u32_e64 v38, v16
	s_xor_b32 s3, exec_lo, s3
	s_cbranch_execz .LBB1207_142
; %bb.141:
	s_wait_dscnt 0x6
	v_xor_b32_e32 v14, 0xfffffdff, v0
                                        ; implicit-def: $vgpr38_vgpr39
	s_delay_alu instid0(VALU_DEP_1) | instskip(NEXT) | instid1(VALU_DEP_1)
	v_ashrrev_i32_e32 v15, 31, v14
	v_add_nc_u64_e32 v[14:15], v[42:43], v[14:15]
.LBB1207_142:
	s_and_not1_saveexec_b32 s3, s3
	s_cbranch_execz .LBB1207_144
; %bb.143:
	s_wait_dscnt 0x6
	v_add_nc_u64_e32 v[14:15], v[2:3], v[38:39]
.LBB1207_144:
	s_or_b32 exec_lo, exec_lo, s3
	s_wait_dscnt 0x6
	s_delay_alu instid0(VALU_DEP_1) | instskip(SKIP_4) | instid1(SALU_CYCLE_1)
	v_lshl_add_u64 v[14:15], v[14:15], 2, s[10:11]
	s_wait_dscnt 0x5
	global_store_b32 v[14:15], v12, off
	s_wait_xcnt 0x0
	s_or_b32 exec_lo, exec_lo, s1
	s_mov_b32 s1, exec_lo
	v_cmpx_gt_u32_e64 s22, v36
	s_cbranch_execnz .LBB1207_176
.LBB1207_145:
	s_or_b32 exec_lo, exec_lo, s1
	s_delay_alu instid0(SALU_CYCLE_1)
	s_mov_b32 s1, exec_lo
	v_cmpx_gt_u32_e64 s22, v34
	s_cbranch_execz .LBB1207_181
.LBB1207_146:
	s_mov_b32 s3, exec_lo
                                        ; implicit-def: $vgpr12_vgpr13
	v_cmpx_ge_u32_e64 v34, v16
	s_xor_b32 s3, exec_lo, s3
	s_cbranch_execz .LBB1207_148
; %bb.147:
	s_wait_dscnt 0x5
	v_xor_b32_e32 v12, 0xfffffbff, v0
                                        ; implicit-def: $vgpr34_vgpr35
	s_delay_alu instid0(VALU_DEP_1) | instskip(NEXT) | instid1(VALU_DEP_1)
	v_ashrrev_i32_e32 v13, 31, v12
	v_add_nc_u64_e32 v[12:13], v[42:43], v[12:13]
.LBB1207_148:
	s_and_not1_saveexec_b32 s3, s3
	s_cbranch_execz .LBB1207_150
; %bb.149:
	s_wait_dscnt 0x5
	v_add_nc_u64_e32 v[12:13], v[2:3], v[34:35]
.LBB1207_150:
	s_or_b32 exec_lo, exec_lo, s3
	s_wait_dscnt 0x5
	s_delay_alu instid0(VALU_DEP_1) | instskip(SKIP_4) | instid1(SALU_CYCLE_1)
	v_lshl_add_u64 v[12:13], v[12:13], 2, s[10:11]
	s_wait_dscnt 0x4
	global_store_b32 v[12:13], v10, off
	s_wait_xcnt 0x0
	s_or_b32 exec_lo, exec_lo, s1
	s_mov_b32 s1, exec_lo
	v_cmpx_gt_u32_e64 s22, v32
	s_cbranch_execnz .LBB1207_182
.LBB1207_151:
	s_or_b32 exec_lo, exec_lo, s1
	s_delay_alu instid0(SALU_CYCLE_1)
	s_mov_b32 s1, exec_lo
	v_cmpx_gt_u32_e64 s22, v30
	s_cbranch_execz .LBB1207_187
.LBB1207_152:
	s_mov_b32 s3, exec_lo
                                        ; implicit-def: $vgpr10_vgpr11
	v_cmpx_ge_u32_e64 v30, v16
	s_xor_b32 s3, exec_lo, s3
	s_cbranch_execz .LBB1207_154
; %bb.153:
	s_wait_dscnt 0x4
	v_xor_b32_e32 v10, 0xfffff9ff, v0
                                        ; implicit-def: $vgpr30_vgpr31
	s_delay_alu instid0(VALU_DEP_1) | instskip(NEXT) | instid1(VALU_DEP_1)
	v_ashrrev_i32_e32 v11, 31, v10
	v_add_nc_u64_e32 v[10:11], v[42:43], v[10:11]
.LBB1207_154:
	s_and_not1_saveexec_b32 s3, s3
	s_cbranch_execz .LBB1207_156
; %bb.155:
	s_wait_dscnt 0x4
	v_add_nc_u64_e32 v[10:11], v[2:3], v[30:31]
.LBB1207_156:
	s_or_b32 exec_lo, exec_lo, s3
	s_wait_dscnt 0x4
	s_delay_alu instid0(VALU_DEP_1) | instskip(SKIP_4) | instid1(SALU_CYCLE_1)
	v_lshl_add_u64 v[10:11], v[10:11], 2, s[10:11]
	s_wait_dscnt 0x3
	global_store_b32 v[10:11], v8, off
	s_wait_xcnt 0x0
	s_or_b32 exec_lo, exec_lo, s1
	s_mov_b32 s1, exec_lo
	v_cmpx_gt_u32_e64 s22, v28
	s_cbranch_execnz .LBB1207_188
.LBB1207_157:
	s_or_b32 exec_lo, exec_lo, s1
	s_delay_alu instid0(SALU_CYCLE_1)
	s_mov_b32 s1, exec_lo
	v_cmpx_gt_u32_e64 s22, v26
	s_cbranch_execz .LBB1207_193
.LBB1207_158:
	s_mov_b32 s3, exec_lo
                                        ; implicit-def: $vgpr8_vgpr9
	v_cmpx_ge_u32_e64 v26, v16
	s_xor_b32 s3, exec_lo, s3
	s_cbranch_execz .LBB1207_160
; %bb.159:
	s_wait_dscnt 0x3
	v_xor_b32_e32 v8, 0xfffff7ff, v0
                                        ; implicit-def: $vgpr26_vgpr27
	s_delay_alu instid0(VALU_DEP_1) | instskip(NEXT) | instid1(VALU_DEP_1)
	v_ashrrev_i32_e32 v9, 31, v8
	v_add_nc_u64_e32 v[8:9], v[42:43], v[8:9]
.LBB1207_160:
	s_and_not1_saveexec_b32 s3, s3
	s_cbranch_execz .LBB1207_162
; %bb.161:
	s_wait_dscnt 0x3
	v_add_nc_u64_e32 v[8:9], v[2:3], v[26:27]
.LBB1207_162:
	s_or_b32 exec_lo, exec_lo, s3
	s_wait_dscnt 0x3
	s_delay_alu instid0(VALU_DEP_1) | instskip(SKIP_4) | instid1(SALU_CYCLE_1)
	v_lshl_add_u64 v[8:9], v[8:9], 2, s[10:11]
	s_wait_dscnt 0x2
	global_store_b32 v[8:9], v6, off
	s_wait_xcnt 0x0
	s_or_b32 exec_lo, exec_lo, s1
	s_mov_b32 s1, exec_lo
	v_cmpx_gt_u32_e64 s22, v24
	s_cbranch_execnz .LBB1207_194
.LBB1207_163:
	s_or_b32 exec_lo, exec_lo, s1
	s_delay_alu instid0(SALU_CYCLE_1)
	s_mov_b32 s1, exec_lo
	v_cmpx_gt_u32_e64 s22, v22
	s_cbranch_execz .LBB1207_199
.LBB1207_164:
	s_mov_b32 s3, exec_lo
                                        ; implicit-def: $vgpr6_vgpr7
	v_cmpx_ge_u32_e64 v22, v16
	s_xor_b32 s3, exec_lo, s3
	s_cbranch_execz .LBB1207_166
; %bb.165:
	s_wait_dscnt 0x2
	v_xor_b32_e32 v6, 0xfffff5ff, v0
                                        ; implicit-def: $vgpr22_vgpr23
	s_delay_alu instid0(VALU_DEP_1) | instskip(NEXT) | instid1(VALU_DEP_1)
	v_ashrrev_i32_e32 v7, 31, v6
	v_add_nc_u64_e32 v[6:7], v[42:43], v[6:7]
.LBB1207_166:
	s_and_not1_saveexec_b32 s3, s3
	s_cbranch_execz .LBB1207_168
; %bb.167:
	s_wait_dscnt 0x2
	v_add_nc_u64_e32 v[6:7], v[2:3], v[22:23]
.LBB1207_168:
	s_or_b32 exec_lo, exec_lo, s3
	s_wait_dscnt 0x2
	s_delay_alu instid0(VALU_DEP_1) | instskip(SKIP_4) | instid1(SALU_CYCLE_1)
	v_lshl_add_u64 v[6:7], v[6:7], 2, s[10:11]
	s_wait_dscnt 0x1
	global_store_b32 v[6:7], v4, off
	s_wait_xcnt 0x0
	s_or_b32 exec_lo, exec_lo, s1
	s_mov_b32 s1, exec_lo
	v_cmpx_gt_u32_e64 s22, v20
	s_cbranch_execz .LBB1207_205
	s_branch .LBB1207_200
.LBB1207_169:
	s_or_b32 exec_lo, exec_lo, s1
	s_delay_alu instid0(SALU_CYCLE_1)
	s_mov_b32 s1, exec_lo
	v_cmpx_gt_u32_e64 s22, v40
	s_cbranch_execz .LBB1207_139
.LBB1207_170:
	s_mov_b32 s3, exec_lo
                                        ; implicit-def: $vgpr44_vgpr45
	v_cmpx_ge_u32_e64 v40, v16
	s_xor_b32 s3, exec_lo, s3
; %bb.171:
	v_xor_b32_e32 v40, 0xfffffeff, v0
	s_delay_alu instid0(VALU_DEP_1) | instskip(NEXT) | instid1(VALU_DEP_1)
	v_ashrrev_i32_e32 v41, 31, v40
	v_add_nc_u64_e32 v[44:45], v[42:43], v[40:41]
                                        ; implicit-def: $vgpr40_vgpr41
; %bb.172:
	s_and_not1_saveexec_b32 s3, s3
; %bb.173:
	v_add_nc_u64_e32 v[44:45], v[2:3], v[40:41]
; %bb.174:
	s_or_b32 exec_lo, exec_lo, s3
	s_delay_alu instid0(VALU_DEP_1) | instskip(SKIP_4) | instid1(SALU_CYCLE_1)
	v_lshl_add_u64 v[40:41], v[44:45], 2, s[10:11]
	s_wait_dscnt 0x6
	global_store_b32 v[40:41], v15, off
	s_wait_xcnt 0x0
	s_or_b32 exec_lo, exec_lo, s1
	s_mov_b32 s1, exec_lo
	v_cmpx_gt_u32_e64 s22, v38
	s_cbranch_execnz .LBB1207_140
.LBB1207_175:
	s_or_b32 exec_lo, exec_lo, s1
	s_delay_alu instid0(SALU_CYCLE_1)
	s_mov_b32 s1, exec_lo
	v_cmpx_gt_u32_e64 s22, v36
	s_cbranch_execz .LBB1207_145
.LBB1207_176:
	s_mov_b32 s3, exec_lo
                                        ; implicit-def: $vgpr14_vgpr15
	v_cmpx_ge_u32_e64 v36, v16
	s_xor_b32 s3, exec_lo, s3
	s_cbranch_execz .LBB1207_178
; %bb.177:
	s_wait_dscnt 0x6
	v_xor_b32_e32 v14, 0xfffffcff, v0
                                        ; implicit-def: $vgpr36_vgpr37
	s_delay_alu instid0(VALU_DEP_1) | instskip(NEXT) | instid1(VALU_DEP_1)
	v_ashrrev_i32_e32 v15, 31, v14
	v_add_nc_u64_e32 v[14:15], v[42:43], v[14:15]
.LBB1207_178:
	s_and_not1_saveexec_b32 s3, s3
	s_cbranch_execz .LBB1207_180
; %bb.179:
	s_wait_dscnt 0x6
	v_add_nc_u64_e32 v[14:15], v[2:3], v[36:37]
.LBB1207_180:
	s_or_b32 exec_lo, exec_lo, s3
	s_wait_dscnt 0x6
	s_delay_alu instid0(VALU_DEP_1) | instskip(SKIP_4) | instid1(SALU_CYCLE_1)
	v_lshl_add_u64 v[14:15], v[14:15], 2, s[10:11]
	s_wait_dscnt 0x5
	global_store_b32 v[14:15], v13, off
	s_wait_xcnt 0x0
	s_or_b32 exec_lo, exec_lo, s1
	s_mov_b32 s1, exec_lo
	v_cmpx_gt_u32_e64 s22, v34
	s_cbranch_execnz .LBB1207_146
.LBB1207_181:
	s_or_b32 exec_lo, exec_lo, s1
	s_delay_alu instid0(SALU_CYCLE_1)
	s_mov_b32 s1, exec_lo
	v_cmpx_gt_u32_e64 s22, v32
	s_cbranch_execz .LBB1207_151
.LBB1207_182:
	s_mov_b32 s3, exec_lo
                                        ; implicit-def: $vgpr12_vgpr13
	v_cmpx_ge_u32_e64 v32, v16
	s_xor_b32 s3, exec_lo, s3
	s_cbranch_execz .LBB1207_184
; %bb.183:
	s_wait_dscnt 0x5
	v_xor_b32_e32 v12, 0xfffffaff, v0
                                        ; implicit-def: $vgpr32_vgpr33
	s_delay_alu instid0(VALU_DEP_1) | instskip(NEXT) | instid1(VALU_DEP_1)
	v_ashrrev_i32_e32 v13, 31, v12
	v_add_nc_u64_e32 v[12:13], v[42:43], v[12:13]
.LBB1207_184:
	s_and_not1_saveexec_b32 s3, s3
	s_cbranch_execz .LBB1207_186
; %bb.185:
	s_wait_dscnt 0x5
	v_add_nc_u64_e32 v[12:13], v[2:3], v[32:33]
.LBB1207_186:
	s_or_b32 exec_lo, exec_lo, s3
	s_wait_dscnt 0x5
	s_delay_alu instid0(VALU_DEP_1) | instskip(SKIP_4) | instid1(SALU_CYCLE_1)
	v_lshl_add_u64 v[12:13], v[12:13], 2, s[10:11]
	s_wait_dscnt 0x4
	global_store_b32 v[12:13], v11, off
	s_wait_xcnt 0x0
	s_or_b32 exec_lo, exec_lo, s1
	s_mov_b32 s1, exec_lo
	v_cmpx_gt_u32_e64 s22, v30
	s_cbranch_execnz .LBB1207_152
.LBB1207_187:
	s_or_b32 exec_lo, exec_lo, s1
	s_delay_alu instid0(SALU_CYCLE_1)
	s_mov_b32 s1, exec_lo
	v_cmpx_gt_u32_e64 s22, v28
	s_cbranch_execz .LBB1207_157
.LBB1207_188:
	s_mov_b32 s3, exec_lo
                                        ; implicit-def: $vgpr10_vgpr11
	v_cmpx_ge_u32_e64 v28, v16
	s_xor_b32 s3, exec_lo, s3
	s_cbranch_execz .LBB1207_190
; %bb.189:
	s_wait_dscnt 0x4
	v_xor_b32_e32 v10, 0xfffff8ff, v0
                                        ; implicit-def: $vgpr28_vgpr29
	s_delay_alu instid0(VALU_DEP_1) | instskip(NEXT) | instid1(VALU_DEP_1)
	v_ashrrev_i32_e32 v11, 31, v10
	v_add_nc_u64_e32 v[10:11], v[42:43], v[10:11]
.LBB1207_190:
	s_and_not1_saveexec_b32 s3, s3
	s_cbranch_execz .LBB1207_192
; %bb.191:
	s_wait_dscnt 0x4
	v_add_nc_u64_e32 v[10:11], v[2:3], v[28:29]
.LBB1207_192:
	s_or_b32 exec_lo, exec_lo, s3
	s_wait_dscnt 0x4
	s_delay_alu instid0(VALU_DEP_1) | instskip(SKIP_4) | instid1(SALU_CYCLE_1)
	v_lshl_add_u64 v[10:11], v[10:11], 2, s[10:11]
	s_wait_dscnt 0x3
	global_store_b32 v[10:11], v9, off
	s_wait_xcnt 0x0
	s_or_b32 exec_lo, exec_lo, s1
	s_mov_b32 s1, exec_lo
	v_cmpx_gt_u32_e64 s22, v26
	s_cbranch_execnz .LBB1207_158
.LBB1207_193:
	s_or_b32 exec_lo, exec_lo, s1
	s_delay_alu instid0(SALU_CYCLE_1)
	s_mov_b32 s1, exec_lo
	v_cmpx_gt_u32_e64 s22, v24
	s_cbranch_execz .LBB1207_163
.LBB1207_194:
	s_mov_b32 s3, exec_lo
                                        ; implicit-def: $vgpr8_vgpr9
	v_cmpx_ge_u32_e64 v24, v16
	s_xor_b32 s3, exec_lo, s3
	s_cbranch_execz .LBB1207_196
; %bb.195:
	s_wait_dscnt 0x3
	v_xor_b32_e32 v8, 0xfffff6ff, v0
                                        ; implicit-def: $vgpr24_vgpr25
	s_delay_alu instid0(VALU_DEP_1) | instskip(NEXT) | instid1(VALU_DEP_1)
	v_ashrrev_i32_e32 v9, 31, v8
	v_add_nc_u64_e32 v[8:9], v[42:43], v[8:9]
.LBB1207_196:
	s_and_not1_saveexec_b32 s3, s3
	s_cbranch_execz .LBB1207_198
; %bb.197:
	s_wait_dscnt 0x3
	v_add_nc_u64_e32 v[8:9], v[2:3], v[24:25]
.LBB1207_198:
	s_or_b32 exec_lo, exec_lo, s3
	s_wait_dscnt 0x3
	s_delay_alu instid0(VALU_DEP_1) | instskip(SKIP_4) | instid1(SALU_CYCLE_1)
	v_lshl_add_u64 v[8:9], v[8:9], 2, s[10:11]
	s_wait_dscnt 0x2
	global_store_b32 v[8:9], v7, off
	s_wait_xcnt 0x0
	s_or_b32 exec_lo, exec_lo, s1
	s_mov_b32 s1, exec_lo
	v_cmpx_gt_u32_e64 s22, v22
	s_cbranch_execnz .LBB1207_164
.LBB1207_199:
	s_or_b32 exec_lo, exec_lo, s1
	s_delay_alu instid0(SALU_CYCLE_1)
	s_mov_b32 s1, exec_lo
	v_cmpx_gt_u32_e64 s22, v20
	s_cbranch_execz .LBB1207_205
.LBB1207_200:
	s_mov_b32 s3, exec_lo
                                        ; implicit-def: $vgpr6_vgpr7
	v_cmpx_ge_u32_e64 v20, v16
	s_xor_b32 s3, exec_lo, s3
	s_cbranch_execz .LBB1207_202
; %bb.201:
	s_wait_dscnt 0x2
	v_xor_b32_e32 v6, 0xfffff4ff, v0
                                        ; implicit-def: $vgpr20_vgpr21
	s_delay_alu instid0(VALU_DEP_1) | instskip(NEXT) | instid1(VALU_DEP_1)
	v_ashrrev_i32_e32 v7, 31, v6
	v_add_nc_u64_e32 v[6:7], v[42:43], v[6:7]
.LBB1207_202:
	s_and_not1_saveexec_b32 s3, s3
	s_cbranch_execz .LBB1207_204
; %bb.203:
	s_wait_dscnt 0x2
	v_add_nc_u64_e32 v[6:7], v[2:3], v[20:21]
.LBB1207_204:
	s_or_b32 exec_lo, exec_lo, s3
	s_wait_dscnt 0x2
	s_delay_alu instid0(VALU_DEP_1)
	v_lshl_add_u64 v[6:7], v[6:7], 2, s[10:11]
	s_wait_dscnt 0x1
	global_store_b32 v[6:7], v5, off
.LBB1207_205:
	s_wait_xcnt 0x0
	s_or_b32 exec_lo, exec_lo, s1
	s_delay_alu instid0(SALU_CYCLE_1)
	s_mov_b32 s1, exec_lo
                                        ; implicit-def: $vgpr44_vgpr45
	v_cmpx_gt_u32_e64 s22, v18
	s_cbranch_execz .LBB1207_211
; %bb.206:
	s_mov_b32 s3, exec_lo
                                        ; implicit-def: $vgpr44_vgpr45
	v_cmpx_ge_u32_e64 v18, v16
	s_xor_b32 s3, exec_lo, s3
; %bb.207:
	v_xor_b32_e32 v0, 0xfffff3ff, v0
                                        ; implicit-def: $vgpr18_vgpr19
	s_delay_alu instid0(VALU_DEP_1) | instskip(NEXT) | instid1(VALU_DEP_1)
	v_ashrrev_i32_e32 v1, 31, v0
	v_add_nc_u64_e32 v[44:45], v[42:43], v[0:1]
; %bb.208:
	s_and_not1_saveexec_b32 s3, s3
; %bb.209:
	v_add_nc_u64_e32 v[44:45], v[2:3], v[18:19]
; %bb.210:
	s_or_b32 exec_lo, exec_lo, s3
	s_delay_alu instid0(SALU_CYCLE_1)
	s_or_b32 s0, s0, exec_lo
.LBB1207_211:
	s_or_b32 exec_lo, exec_lo, s1
	s_and_saveexec_b32 s1, s0
	s_cbranch_execnz .LBB1207_130
.LBB1207_212:
	s_or_b32 exec_lo, exec_lo, s1
	s_and_b32 s0, s2, s9
	s_delay_alu instid0(SALU_CYCLE_1)
	s_and_saveexec_b32 s1, s0
	s_cbranch_execz .LBB1207_131
.LBB1207_213:
	v_mov_b32_e32 v17, 0
	s_delay_alu instid0(VALU_DEP_1)
	v_add_nc_u64_e32 v[0:1], v[2:3], v[16:17]
	global_store_b64 v17, v[0:1], s[12:13]
	s_sendmsg sendmsg(MSG_DEALLOC_VGPRS)
	s_endpgm
	.section	.rodata,"a",@progbits
	.p2align	6, 0x0
	.amdhsa_kernel _ZN7rocprim17ROCPRIM_400000_NS6detail17trampoline_kernelINS0_13select_configILj256ELj13ELNS0_17block_load_methodE3ELS4_3ELS4_3ELNS0_20block_scan_algorithmE0ELj4294967295EEENS1_25partition_config_selectorILNS1_17partition_subalgoE3EjNS0_10empty_typeEbEEZZNS1_14partition_implILS8_3ELb0ES6_jNS0_17counting_iteratorIjlEEPS9_SE_NS0_5tupleIJPjSE_EEENSF_IJSE_SE_EEES9_SG_JZNS1_25segmented_radix_sort_implINS0_14default_configELb0EPKdPdPKlPlN2at6native12_GLOBAL__N_18offset_tEEE10hipError_tPvRmT1_PNSt15iterator_traitsISY_E10value_typeET2_T3_PNSZ_IS14_E10value_typeET4_jRbjT5_S1A_jjP12ihipStream_tbEUljE_EEESV_SW_SX_S14_S18_S1A_T6_T7_T9_mT8_S1C_bDpT10_ENKUlT_T0_E_clISt17integral_constantIbLb0EES1O_IbLb1EEEEDaS1K_S1L_EUlS1K_E_NS1_11comp_targetILNS1_3genE0ELNS1_11target_archE4294967295ELNS1_3gpuE0ELNS1_3repE0EEENS1_30default_config_static_selectorELNS0_4arch9wavefront6targetE0EEEvSY_
		.amdhsa_group_segment_fixed_size 13320
		.amdhsa_private_segment_fixed_size 0
		.amdhsa_kernarg_size 152
		.amdhsa_user_sgpr_count 2
		.amdhsa_user_sgpr_dispatch_ptr 0
		.amdhsa_user_sgpr_queue_ptr 0
		.amdhsa_user_sgpr_kernarg_segment_ptr 1
		.amdhsa_user_sgpr_dispatch_id 0
		.amdhsa_user_sgpr_kernarg_preload_length 0
		.amdhsa_user_sgpr_kernarg_preload_offset 0
		.amdhsa_user_sgpr_private_segment_size 0
		.amdhsa_wavefront_size32 1
		.amdhsa_uses_dynamic_stack 0
		.amdhsa_enable_private_segment 0
		.amdhsa_system_sgpr_workgroup_id_x 1
		.amdhsa_system_sgpr_workgroup_id_y 0
		.amdhsa_system_sgpr_workgroup_id_z 0
		.amdhsa_system_sgpr_workgroup_info 0
		.amdhsa_system_vgpr_workitem_id 0
		.amdhsa_next_free_vgpr 72
		.amdhsa_next_free_sgpr 24
		.amdhsa_named_barrier_count 0
		.amdhsa_reserve_vcc 1
		.amdhsa_float_round_mode_32 0
		.amdhsa_float_round_mode_16_64 0
		.amdhsa_float_denorm_mode_32 3
		.amdhsa_float_denorm_mode_16_64 3
		.amdhsa_fp16_overflow 0
		.amdhsa_memory_ordered 1
		.amdhsa_forward_progress 1
		.amdhsa_inst_pref_size 71
		.amdhsa_round_robin_scheduling 0
		.amdhsa_exception_fp_ieee_invalid_op 0
		.amdhsa_exception_fp_denorm_src 0
		.amdhsa_exception_fp_ieee_div_zero 0
		.amdhsa_exception_fp_ieee_overflow 0
		.amdhsa_exception_fp_ieee_underflow 0
		.amdhsa_exception_fp_ieee_inexact 0
		.amdhsa_exception_int_div_zero 0
	.end_amdhsa_kernel
	.section	.text._ZN7rocprim17ROCPRIM_400000_NS6detail17trampoline_kernelINS0_13select_configILj256ELj13ELNS0_17block_load_methodE3ELS4_3ELS4_3ELNS0_20block_scan_algorithmE0ELj4294967295EEENS1_25partition_config_selectorILNS1_17partition_subalgoE3EjNS0_10empty_typeEbEEZZNS1_14partition_implILS8_3ELb0ES6_jNS0_17counting_iteratorIjlEEPS9_SE_NS0_5tupleIJPjSE_EEENSF_IJSE_SE_EEES9_SG_JZNS1_25segmented_radix_sort_implINS0_14default_configELb0EPKdPdPKlPlN2at6native12_GLOBAL__N_18offset_tEEE10hipError_tPvRmT1_PNSt15iterator_traitsISY_E10value_typeET2_T3_PNSZ_IS14_E10value_typeET4_jRbjT5_S1A_jjP12ihipStream_tbEUljE_EEESV_SW_SX_S14_S18_S1A_T6_T7_T9_mT8_S1C_bDpT10_ENKUlT_T0_E_clISt17integral_constantIbLb0EES1O_IbLb1EEEEDaS1K_S1L_EUlS1K_E_NS1_11comp_targetILNS1_3genE0ELNS1_11target_archE4294967295ELNS1_3gpuE0ELNS1_3repE0EEENS1_30default_config_static_selectorELNS0_4arch9wavefront6targetE0EEEvSY_,"axG",@progbits,_ZN7rocprim17ROCPRIM_400000_NS6detail17trampoline_kernelINS0_13select_configILj256ELj13ELNS0_17block_load_methodE3ELS4_3ELS4_3ELNS0_20block_scan_algorithmE0ELj4294967295EEENS1_25partition_config_selectorILNS1_17partition_subalgoE3EjNS0_10empty_typeEbEEZZNS1_14partition_implILS8_3ELb0ES6_jNS0_17counting_iteratorIjlEEPS9_SE_NS0_5tupleIJPjSE_EEENSF_IJSE_SE_EEES9_SG_JZNS1_25segmented_radix_sort_implINS0_14default_configELb0EPKdPdPKlPlN2at6native12_GLOBAL__N_18offset_tEEE10hipError_tPvRmT1_PNSt15iterator_traitsISY_E10value_typeET2_T3_PNSZ_IS14_E10value_typeET4_jRbjT5_S1A_jjP12ihipStream_tbEUljE_EEESV_SW_SX_S14_S18_S1A_T6_T7_T9_mT8_S1C_bDpT10_ENKUlT_T0_E_clISt17integral_constantIbLb0EES1O_IbLb1EEEEDaS1K_S1L_EUlS1K_E_NS1_11comp_targetILNS1_3genE0ELNS1_11target_archE4294967295ELNS1_3gpuE0ELNS1_3repE0EEENS1_30default_config_static_selectorELNS0_4arch9wavefront6targetE0EEEvSY_,comdat
.Lfunc_end1207:
	.size	_ZN7rocprim17ROCPRIM_400000_NS6detail17trampoline_kernelINS0_13select_configILj256ELj13ELNS0_17block_load_methodE3ELS4_3ELS4_3ELNS0_20block_scan_algorithmE0ELj4294967295EEENS1_25partition_config_selectorILNS1_17partition_subalgoE3EjNS0_10empty_typeEbEEZZNS1_14partition_implILS8_3ELb0ES6_jNS0_17counting_iteratorIjlEEPS9_SE_NS0_5tupleIJPjSE_EEENSF_IJSE_SE_EEES9_SG_JZNS1_25segmented_radix_sort_implINS0_14default_configELb0EPKdPdPKlPlN2at6native12_GLOBAL__N_18offset_tEEE10hipError_tPvRmT1_PNSt15iterator_traitsISY_E10value_typeET2_T3_PNSZ_IS14_E10value_typeET4_jRbjT5_S1A_jjP12ihipStream_tbEUljE_EEESV_SW_SX_S14_S18_S1A_T6_T7_T9_mT8_S1C_bDpT10_ENKUlT_T0_E_clISt17integral_constantIbLb0EES1O_IbLb1EEEEDaS1K_S1L_EUlS1K_E_NS1_11comp_targetILNS1_3genE0ELNS1_11target_archE4294967295ELNS1_3gpuE0ELNS1_3repE0EEENS1_30default_config_static_selectorELNS0_4arch9wavefront6targetE0EEEvSY_, .Lfunc_end1207-_ZN7rocprim17ROCPRIM_400000_NS6detail17trampoline_kernelINS0_13select_configILj256ELj13ELNS0_17block_load_methodE3ELS4_3ELS4_3ELNS0_20block_scan_algorithmE0ELj4294967295EEENS1_25partition_config_selectorILNS1_17partition_subalgoE3EjNS0_10empty_typeEbEEZZNS1_14partition_implILS8_3ELb0ES6_jNS0_17counting_iteratorIjlEEPS9_SE_NS0_5tupleIJPjSE_EEENSF_IJSE_SE_EEES9_SG_JZNS1_25segmented_radix_sort_implINS0_14default_configELb0EPKdPdPKlPlN2at6native12_GLOBAL__N_18offset_tEEE10hipError_tPvRmT1_PNSt15iterator_traitsISY_E10value_typeET2_T3_PNSZ_IS14_E10value_typeET4_jRbjT5_S1A_jjP12ihipStream_tbEUljE_EEESV_SW_SX_S14_S18_S1A_T6_T7_T9_mT8_S1C_bDpT10_ENKUlT_T0_E_clISt17integral_constantIbLb0EES1O_IbLb1EEEEDaS1K_S1L_EUlS1K_E_NS1_11comp_targetILNS1_3genE0ELNS1_11target_archE4294967295ELNS1_3gpuE0ELNS1_3repE0EEENS1_30default_config_static_selectorELNS0_4arch9wavefront6targetE0EEEvSY_
                                        ; -- End function
	.set _ZN7rocprim17ROCPRIM_400000_NS6detail17trampoline_kernelINS0_13select_configILj256ELj13ELNS0_17block_load_methodE3ELS4_3ELS4_3ELNS0_20block_scan_algorithmE0ELj4294967295EEENS1_25partition_config_selectorILNS1_17partition_subalgoE3EjNS0_10empty_typeEbEEZZNS1_14partition_implILS8_3ELb0ES6_jNS0_17counting_iteratorIjlEEPS9_SE_NS0_5tupleIJPjSE_EEENSF_IJSE_SE_EEES9_SG_JZNS1_25segmented_radix_sort_implINS0_14default_configELb0EPKdPdPKlPlN2at6native12_GLOBAL__N_18offset_tEEE10hipError_tPvRmT1_PNSt15iterator_traitsISY_E10value_typeET2_T3_PNSZ_IS14_E10value_typeET4_jRbjT5_S1A_jjP12ihipStream_tbEUljE_EEESV_SW_SX_S14_S18_S1A_T6_T7_T9_mT8_S1C_bDpT10_ENKUlT_T0_E_clISt17integral_constantIbLb0EES1O_IbLb1EEEEDaS1K_S1L_EUlS1K_E_NS1_11comp_targetILNS1_3genE0ELNS1_11target_archE4294967295ELNS1_3gpuE0ELNS1_3repE0EEENS1_30default_config_static_selectorELNS0_4arch9wavefront6targetE0EEEvSY_.num_vgpr, 72
	.set _ZN7rocprim17ROCPRIM_400000_NS6detail17trampoline_kernelINS0_13select_configILj256ELj13ELNS0_17block_load_methodE3ELS4_3ELS4_3ELNS0_20block_scan_algorithmE0ELj4294967295EEENS1_25partition_config_selectorILNS1_17partition_subalgoE3EjNS0_10empty_typeEbEEZZNS1_14partition_implILS8_3ELb0ES6_jNS0_17counting_iteratorIjlEEPS9_SE_NS0_5tupleIJPjSE_EEENSF_IJSE_SE_EEES9_SG_JZNS1_25segmented_radix_sort_implINS0_14default_configELb0EPKdPdPKlPlN2at6native12_GLOBAL__N_18offset_tEEE10hipError_tPvRmT1_PNSt15iterator_traitsISY_E10value_typeET2_T3_PNSZ_IS14_E10value_typeET4_jRbjT5_S1A_jjP12ihipStream_tbEUljE_EEESV_SW_SX_S14_S18_S1A_T6_T7_T9_mT8_S1C_bDpT10_ENKUlT_T0_E_clISt17integral_constantIbLb0EES1O_IbLb1EEEEDaS1K_S1L_EUlS1K_E_NS1_11comp_targetILNS1_3genE0ELNS1_11target_archE4294967295ELNS1_3gpuE0ELNS1_3repE0EEENS1_30default_config_static_selectorELNS0_4arch9wavefront6targetE0EEEvSY_.num_agpr, 0
	.set _ZN7rocprim17ROCPRIM_400000_NS6detail17trampoline_kernelINS0_13select_configILj256ELj13ELNS0_17block_load_methodE3ELS4_3ELS4_3ELNS0_20block_scan_algorithmE0ELj4294967295EEENS1_25partition_config_selectorILNS1_17partition_subalgoE3EjNS0_10empty_typeEbEEZZNS1_14partition_implILS8_3ELb0ES6_jNS0_17counting_iteratorIjlEEPS9_SE_NS0_5tupleIJPjSE_EEENSF_IJSE_SE_EEES9_SG_JZNS1_25segmented_radix_sort_implINS0_14default_configELb0EPKdPdPKlPlN2at6native12_GLOBAL__N_18offset_tEEE10hipError_tPvRmT1_PNSt15iterator_traitsISY_E10value_typeET2_T3_PNSZ_IS14_E10value_typeET4_jRbjT5_S1A_jjP12ihipStream_tbEUljE_EEESV_SW_SX_S14_S18_S1A_T6_T7_T9_mT8_S1C_bDpT10_ENKUlT_T0_E_clISt17integral_constantIbLb0EES1O_IbLb1EEEEDaS1K_S1L_EUlS1K_E_NS1_11comp_targetILNS1_3genE0ELNS1_11target_archE4294967295ELNS1_3gpuE0ELNS1_3repE0EEENS1_30default_config_static_selectorELNS0_4arch9wavefront6targetE0EEEvSY_.numbered_sgpr, 24
	.set _ZN7rocprim17ROCPRIM_400000_NS6detail17trampoline_kernelINS0_13select_configILj256ELj13ELNS0_17block_load_methodE3ELS4_3ELS4_3ELNS0_20block_scan_algorithmE0ELj4294967295EEENS1_25partition_config_selectorILNS1_17partition_subalgoE3EjNS0_10empty_typeEbEEZZNS1_14partition_implILS8_3ELb0ES6_jNS0_17counting_iteratorIjlEEPS9_SE_NS0_5tupleIJPjSE_EEENSF_IJSE_SE_EEES9_SG_JZNS1_25segmented_radix_sort_implINS0_14default_configELb0EPKdPdPKlPlN2at6native12_GLOBAL__N_18offset_tEEE10hipError_tPvRmT1_PNSt15iterator_traitsISY_E10value_typeET2_T3_PNSZ_IS14_E10value_typeET4_jRbjT5_S1A_jjP12ihipStream_tbEUljE_EEESV_SW_SX_S14_S18_S1A_T6_T7_T9_mT8_S1C_bDpT10_ENKUlT_T0_E_clISt17integral_constantIbLb0EES1O_IbLb1EEEEDaS1K_S1L_EUlS1K_E_NS1_11comp_targetILNS1_3genE0ELNS1_11target_archE4294967295ELNS1_3gpuE0ELNS1_3repE0EEENS1_30default_config_static_selectorELNS0_4arch9wavefront6targetE0EEEvSY_.num_named_barrier, 0
	.set _ZN7rocprim17ROCPRIM_400000_NS6detail17trampoline_kernelINS0_13select_configILj256ELj13ELNS0_17block_load_methodE3ELS4_3ELS4_3ELNS0_20block_scan_algorithmE0ELj4294967295EEENS1_25partition_config_selectorILNS1_17partition_subalgoE3EjNS0_10empty_typeEbEEZZNS1_14partition_implILS8_3ELb0ES6_jNS0_17counting_iteratorIjlEEPS9_SE_NS0_5tupleIJPjSE_EEENSF_IJSE_SE_EEES9_SG_JZNS1_25segmented_radix_sort_implINS0_14default_configELb0EPKdPdPKlPlN2at6native12_GLOBAL__N_18offset_tEEE10hipError_tPvRmT1_PNSt15iterator_traitsISY_E10value_typeET2_T3_PNSZ_IS14_E10value_typeET4_jRbjT5_S1A_jjP12ihipStream_tbEUljE_EEESV_SW_SX_S14_S18_S1A_T6_T7_T9_mT8_S1C_bDpT10_ENKUlT_T0_E_clISt17integral_constantIbLb0EES1O_IbLb1EEEEDaS1K_S1L_EUlS1K_E_NS1_11comp_targetILNS1_3genE0ELNS1_11target_archE4294967295ELNS1_3gpuE0ELNS1_3repE0EEENS1_30default_config_static_selectorELNS0_4arch9wavefront6targetE0EEEvSY_.private_seg_size, 0
	.set _ZN7rocprim17ROCPRIM_400000_NS6detail17trampoline_kernelINS0_13select_configILj256ELj13ELNS0_17block_load_methodE3ELS4_3ELS4_3ELNS0_20block_scan_algorithmE0ELj4294967295EEENS1_25partition_config_selectorILNS1_17partition_subalgoE3EjNS0_10empty_typeEbEEZZNS1_14partition_implILS8_3ELb0ES6_jNS0_17counting_iteratorIjlEEPS9_SE_NS0_5tupleIJPjSE_EEENSF_IJSE_SE_EEES9_SG_JZNS1_25segmented_radix_sort_implINS0_14default_configELb0EPKdPdPKlPlN2at6native12_GLOBAL__N_18offset_tEEE10hipError_tPvRmT1_PNSt15iterator_traitsISY_E10value_typeET2_T3_PNSZ_IS14_E10value_typeET4_jRbjT5_S1A_jjP12ihipStream_tbEUljE_EEESV_SW_SX_S14_S18_S1A_T6_T7_T9_mT8_S1C_bDpT10_ENKUlT_T0_E_clISt17integral_constantIbLb0EES1O_IbLb1EEEEDaS1K_S1L_EUlS1K_E_NS1_11comp_targetILNS1_3genE0ELNS1_11target_archE4294967295ELNS1_3gpuE0ELNS1_3repE0EEENS1_30default_config_static_selectorELNS0_4arch9wavefront6targetE0EEEvSY_.uses_vcc, 1
	.set _ZN7rocprim17ROCPRIM_400000_NS6detail17trampoline_kernelINS0_13select_configILj256ELj13ELNS0_17block_load_methodE3ELS4_3ELS4_3ELNS0_20block_scan_algorithmE0ELj4294967295EEENS1_25partition_config_selectorILNS1_17partition_subalgoE3EjNS0_10empty_typeEbEEZZNS1_14partition_implILS8_3ELb0ES6_jNS0_17counting_iteratorIjlEEPS9_SE_NS0_5tupleIJPjSE_EEENSF_IJSE_SE_EEES9_SG_JZNS1_25segmented_radix_sort_implINS0_14default_configELb0EPKdPdPKlPlN2at6native12_GLOBAL__N_18offset_tEEE10hipError_tPvRmT1_PNSt15iterator_traitsISY_E10value_typeET2_T3_PNSZ_IS14_E10value_typeET4_jRbjT5_S1A_jjP12ihipStream_tbEUljE_EEESV_SW_SX_S14_S18_S1A_T6_T7_T9_mT8_S1C_bDpT10_ENKUlT_T0_E_clISt17integral_constantIbLb0EES1O_IbLb1EEEEDaS1K_S1L_EUlS1K_E_NS1_11comp_targetILNS1_3genE0ELNS1_11target_archE4294967295ELNS1_3gpuE0ELNS1_3repE0EEENS1_30default_config_static_selectorELNS0_4arch9wavefront6targetE0EEEvSY_.uses_flat_scratch, 0
	.set _ZN7rocprim17ROCPRIM_400000_NS6detail17trampoline_kernelINS0_13select_configILj256ELj13ELNS0_17block_load_methodE3ELS4_3ELS4_3ELNS0_20block_scan_algorithmE0ELj4294967295EEENS1_25partition_config_selectorILNS1_17partition_subalgoE3EjNS0_10empty_typeEbEEZZNS1_14partition_implILS8_3ELb0ES6_jNS0_17counting_iteratorIjlEEPS9_SE_NS0_5tupleIJPjSE_EEENSF_IJSE_SE_EEES9_SG_JZNS1_25segmented_radix_sort_implINS0_14default_configELb0EPKdPdPKlPlN2at6native12_GLOBAL__N_18offset_tEEE10hipError_tPvRmT1_PNSt15iterator_traitsISY_E10value_typeET2_T3_PNSZ_IS14_E10value_typeET4_jRbjT5_S1A_jjP12ihipStream_tbEUljE_EEESV_SW_SX_S14_S18_S1A_T6_T7_T9_mT8_S1C_bDpT10_ENKUlT_T0_E_clISt17integral_constantIbLb0EES1O_IbLb1EEEEDaS1K_S1L_EUlS1K_E_NS1_11comp_targetILNS1_3genE0ELNS1_11target_archE4294967295ELNS1_3gpuE0ELNS1_3repE0EEENS1_30default_config_static_selectorELNS0_4arch9wavefront6targetE0EEEvSY_.has_dyn_sized_stack, 0
	.set _ZN7rocprim17ROCPRIM_400000_NS6detail17trampoline_kernelINS0_13select_configILj256ELj13ELNS0_17block_load_methodE3ELS4_3ELS4_3ELNS0_20block_scan_algorithmE0ELj4294967295EEENS1_25partition_config_selectorILNS1_17partition_subalgoE3EjNS0_10empty_typeEbEEZZNS1_14partition_implILS8_3ELb0ES6_jNS0_17counting_iteratorIjlEEPS9_SE_NS0_5tupleIJPjSE_EEENSF_IJSE_SE_EEES9_SG_JZNS1_25segmented_radix_sort_implINS0_14default_configELb0EPKdPdPKlPlN2at6native12_GLOBAL__N_18offset_tEEE10hipError_tPvRmT1_PNSt15iterator_traitsISY_E10value_typeET2_T3_PNSZ_IS14_E10value_typeET4_jRbjT5_S1A_jjP12ihipStream_tbEUljE_EEESV_SW_SX_S14_S18_S1A_T6_T7_T9_mT8_S1C_bDpT10_ENKUlT_T0_E_clISt17integral_constantIbLb0EES1O_IbLb1EEEEDaS1K_S1L_EUlS1K_E_NS1_11comp_targetILNS1_3genE0ELNS1_11target_archE4294967295ELNS1_3gpuE0ELNS1_3repE0EEENS1_30default_config_static_selectorELNS0_4arch9wavefront6targetE0EEEvSY_.has_recursion, 0
	.set _ZN7rocprim17ROCPRIM_400000_NS6detail17trampoline_kernelINS0_13select_configILj256ELj13ELNS0_17block_load_methodE3ELS4_3ELS4_3ELNS0_20block_scan_algorithmE0ELj4294967295EEENS1_25partition_config_selectorILNS1_17partition_subalgoE3EjNS0_10empty_typeEbEEZZNS1_14partition_implILS8_3ELb0ES6_jNS0_17counting_iteratorIjlEEPS9_SE_NS0_5tupleIJPjSE_EEENSF_IJSE_SE_EEES9_SG_JZNS1_25segmented_radix_sort_implINS0_14default_configELb0EPKdPdPKlPlN2at6native12_GLOBAL__N_18offset_tEEE10hipError_tPvRmT1_PNSt15iterator_traitsISY_E10value_typeET2_T3_PNSZ_IS14_E10value_typeET4_jRbjT5_S1A_jjP12ihipStream_tbEUljE_EEESV_SW_SX_S14_S18_S1A_T6_T7_T9_mT8_S1C_bDpT10_ENKUlT_T0_E_clISt17integral_constantIbLb0EES1O_IbLb1EEEEDaS1K_S1L_EUlS1K_E_NS1_11comp_targetILNS1_3genE0ELNS1_11target_archE4294967295ELNS1_3gpuE0ELNS1_3repE0EEENS1_30default_config_static_selectorELNS0_4arch9wavefront6targetE0EEEvSY_.has_indirect_call, 0
	.section	.AMDGPU.csdata,"",@progbits
; Kernel info:
; codeLenInByte = 9040
; TotalNumSgprs: 26
; NumVgprs: 72
; ScratchSize: 0
; MemoryBound: 0
; FloatMode: 240
; IeeeMode: 1
; LDSByteSize: 13320 bytes/workgroup (compile time only)
; SGPRBlocks: 0
; VGPRBlocks: 4
; NumSGPRsForWavesPerEU: 26
; NumVGPRsForWavesPerEU: 72
; NamedBarCnt: 0
; Occupancy: 12
; WaveLimiterHint : 0
; COMPUTE_PGM_RSRC2:SCRATCH_EN: 0
; COMPUTE_PGM_RSRC2:USER_SGPR: 2
; COMPUTE_PGM_RSRC2:TRAP_HANDLER: 0
; COMPUTE_PGM_RSRC2:TGID_X_EN: 1
; COMPUTE_PGM_RSRC2:TGID_Y_EN: 0
; COMPUTE_PGM_RSRC2:TGID_Z_EN: 0
; COMPUTE_PGM_RSRC2:TIDIG_COMP_CNT: 0
	.section	.text._ZN7rocprim17ROCPRIM_400000_NS6detail17trampoline_kernelINS0_13select_configILj256ELj13ELNS0_17block_load_methodE3ELS4_3ELS4_3ELNS0_20block_scan_algorithmE0ELj4294967295EEENS1_25partition_config_selectorILNS1_17partition_subalgoE3EjNS0_10empty_typeEbEEZZNS1_14partition_implILS8_3ELb0ES6_jNS0_17counting_iteratorIjlEEPS9_SE_NS0_5tupleIJPjSE_EEENSF_IJSE_SE_EEES9_SG_JZNS1_25segmented_radix_sort_implINS0_14default_configELb0EPKdPdPKlPlN2at6native12_GLOBAL__N_18offset_tEEE10hipError_tPvRmT1_PNSt15iterator_traitsISY_E10value_typeET2_T3_PNSZ_IS14_E10value_typeET4_jRbjT5_S1A_jjP12ihipStream_tbEUljE_EEESV_SW_SX_S14_S18_S1A_T6_T7_T9_mT8_S1C_bDpT10_ENKUlT_T0_E_clISt17integral_constantIbLb0EES1O_IbLb1EEEEDaS1K_S1L_EUlS1K_E_NS1_11comp_targetILNS1_3genE5ELNS1_11target_archE942ELNS1_3gpuE9ELNS1_3repE0EEENS1_30default_config_static_selectorELNS0_4arch9wavefront6targetE0EEEvSY_,"axG",@progbits,_ZN7rocprim17ROCPRIM_400000_NS6detail17trampoline_kernelINS0_13select_configILj256ELj13ELNS0_17block_load_methodE3ELS4_3ELS4_3ELNS0_20block_scan_algorithmE0ELj4294967295EEENS1_25partition_config_selectorILNS1_17partition_subalgoE3EjNS0_10empty_typeEbEEZZNS1_14partition_implILS8_3ELb0ES6_jNS0_17counting_iteratorIjlEEPS9_SE_NS0_5tupleIJPjSE_EEENSF_IJSE_SE_EEES9_SG_JZNS1_25segmented_radix_sort_implINS0_14default_configELb0EPKdPdPKlPlN2at6native12_GLOBAL__N_18offset_tEEE10hipError_tPvRmT1_PNSt15iterator_traitsISY_E10value_typeET2_T3_PNSZ_IS14_E10value_typeET4_jRbjT5_S1A_jjP12ihipStream_tbEUljE_EEESV_SW_SX_S14_S18_S1A_T6_T7_T9_mT8_S1C_bDpT10_ENKUlT_T0_E_clISt17integral_constantIbLb0EES1O_IbLb1EEEEDaS1K_S1L_EUlS1K_E_NS1_11comp_targetILNS1_3genE5ELNS1_11target_archE942ELNS1_3gpuE9ELNS1_3repE0EEENS1_30default_config_static_selectorELNS0_4arch9wavefront6targetE0EEEvSY_,comdat
	.globl	_ZN7rocprim17ROCPRIM_400000_NS6detail17trampoline_kernelINS0_13select_configILj256ELj13ELNS0_17block_load_methodE3ELS4_3ELS4_3ELNS0_20block_scan_algorithmE0ELj4294967295EEENS1_25partition_config_selectorILNS1_17partition_subalgoE3EjNS0_10empty_typeEbEEZZNS1_14partition_implILS8_3ELb0ES6_jNS0_17counting_iteratorIjlEEPS9_SE_NS0_5tupleIJPjSE_EEENSF_IJSE_SE_EEES9_SG_JZNS1_25segmented_radix_sort_implINS0_14default_configELb0EPKdPdPKlPlN2at6native12_GLOBAL__N_18offset_tEEE10hipError_tPvRmT1_PNSt15iterator_traitsISY_E10value_typeET2_T3_PNSZ_IS14_E10value_typeET4_jRbjT5_S1A_jjP12ihipStream_tbEUljE_EEESV_SW_SX_S14_S18_S1A_T6_T7_T9_mT8_S1C_bDpT10_ENKUlT_T0_E_clISt17integral_constantIbLb0EES1O_IbLb1EEEEDaS1K_S1L_EUlS1K_E_NS1_11comp_targetILNS1_3genE5ELNS1_11target_archE942ELNS1_3gpuE9ELNS1_3repE0EEENS1_30default_config_static_selectorELNS0_4arch9wavefront6targetE0EEEvSY_ ; -- Begin function _ZN7rocprim17ROCPRIM_400000_NS6detail17trampoline_kernelINS0_13select_configILj256ELj13ELNS0_17block_load_methodE3ELS4_3ELS4_3ELNS0_20block_scan_algorithmE0ELj4294967295EEENS1_25partition_config_selectorILNS1_17partition_subalgoE3EjNS0_10empty_typeEbEEZZNS1_14partition_implILS8_3ELb0ES6_jNS0_17counting_iteratorIjlEEPS9_SE_NS0_5tupleIJPjSE_EEENSF_IJSE_SE_EEES9_SG_JZNS1_25segmented_radix_sort_implINS0_14default_configELb0EPKdPdPKlPlN2at6native12_GLOBAL__N_18offset_tEEE10hipError_tPvRmT1_PNSt15iterator_traitsISY_E10value_typeET2_T3_PNSZ_IS14_E10value_typeET4_jRbjT5_S1A_jjP12ihipStream_tbEUljE_EEESV_SW_SX_S14_S18_S1A_T6_T7_T9_mT8_S1C_bDpT10_ENKUlT_T0_E_clISt17integral_constantIbLb0EES1O_IbLb1EEEEDaS1K_S1L_EUlS1K_E_NS1_11comp_targetILNS1_3genE5ELNS1_11target_archE942ELNS1_3gpuE9ELNS1_3repE0EEENS1_30default_config_static_selectorELNS0_4arch9wavefront6targetE0EEEvSY_
	.p2align	8
	.type	_ZN7rocprim17ROCPRIM_400000_NS6detail17trampoline_kernelINS0_13select_configILj256ELj13ELNS0_17block_load_methodE3ELS4_3ELS4_3ELNS0_20block_scan_algorithmE0ELj4294967295EEENS1_25partition_config_selectorILNS1_17partition_subalgoE3EjNS0_10empty_typeEbEEZZNS1_14partition_implILS8_3ELb0ES6_jNS0_17counting_iteratorIjlEEPS9_SE_NS0_5tupleIJPjSE_EEENSF_IJSE_SE_EEES9_SG_JZNS1_25segmented_radix_sort_implINS0_14default_configELb0EPKdPdPKlPlN2at6native12_GLOBAL__N_18offset_tEEE10hipError_tPvRmT1_PNSt15iterator_traitsISY_E10value_typeET2_T3_PNSZ_IS14_E10value_typeET4_jRbjT5_S1A_jjP12ihipStream_tbEUljE_EEESV_SW_SX_S14_S18_S1A_T6_T7_T9_mT8_S1C_bDpT10_ENKUlT_T0_E_clISt17integral_constantIbLb0EES1O_IbLb1EEEEDaS1K_S1L_EUlS1K_E_NS1_11comp_targetILNS1_3genE5ELNS1_11target_archE942ELNS1_3gpuE9ELNS1_3repE0EEENS1_30default_config_static_selectorELNS0_4arch9wavefront6targetE0EEEvSY_,@function
_ZN7rocprim17ROCPRIM_400000_NS6detail17trampoline_kernelINS0_13select_configILj256ELj13ELNS0_17block_load_methodE3ELS4_3ELS4_3ELNS0_20block_scan_algorithmE0ELj4294967295EEENS1_25partition_config_selectorILNS1_17partition_subalgoE3EjNS0_10empty_typeEbEEZZNS1_14partition_implILS8_3ELb0ES6_jNS0_17counting_iteratorIjlEEPS9_SE_NS0_5tupleIJPjSE_EEENSF_IJSE_SE_EEES9_SG_JZNS1_25segmented_radix_sort_implINS0_14default_configELb0EPKdPdPKlPlN2at6native12_GLOBAL__N_18offset_tEEE10hipError_tPvRmT1_PNSt15iterator_traitsISY_E10value_typeET2_T3_PNSZ_IS14_E10value_typeET4_jRbjT5_S1A_jjP12ihipStream_tbEUljE_EEESV_SW_SX_S14_S18_S1A_T6_T7_T9_mT8_S1C_bDpT10_ENKUlT_T0_E_clISt17integral_constantIbLb0EES1O_IbLb1EEEEDaS1K_S1L_EUlS1K_E_NS1_11comp_targetILNS1_3genE5ELNS1_11target_archE942ELNS1_3gpuE9ELNS1_3repE0EEENS1_30default_config_static_selectorELNS0_4arch9wavefront6targetE0EEEvSY_: ; @_ZN7rocprim17ROCPRIM_400000_NS6detail17trampoline_kernelINS0_13select_configILj256ELj13ELNS0_17block_load_methodE3ELS4_3ELS4_3ELNS0_20block_scan_algorithmE0ELj4294967295EEENS1_25partition_config_selectorILNS1_17partition_subalgoE3EjNS0_10empty_typeEbEEZZNS1_14partition_implILS8_3ELb0ES6_jNS0_17counting_iteratorIjlEEPS9_SE_NS0_5tupleIJPjSE_EEENSF_IJSE_SE_EEES9_SG_JZNS1_25segmented_radix_sort_implINS0_14default_configELb0EPKdPdPKlPlN2at6native12_GLOBAL__N_18offset_tEEE10hipError_tPvRmT1_PNSt15iterator_traitsISY_E10value_typeET2_T3_PNSZ_IS14_E10value_typeET4_jRbjT5_S1A_jjP12ihipStream_tbEUljE_EEESV_SW_SX_S14_S18_S1A_T6_T7_T9_mT8_S1C_bDpT10_ENKUlT_T0_E_clISt17integral_constantIbLb0EES1O_IbLb1EEEEDaS1K_S1L_EUlS1K_E_NS1_11comp_targetILNS1_3genE5ELNS1_11target_archE942ELNS1_3gpuE9ELNS1_3repE0EEENS1_30default_config_static_selectorELNS0_4arch9wavefront6targetE0EEEvSY_
; %bb.0:
	.section	.rodata,"a",@progbits
	.p2align	6, 0x0
	.amdhsa_kernel _ZN7rocprim17ROCPRIM_400000_NS6detail17trampoline_kernelINS0_13select_configILj256ELj13ELNS0_17block_load_methodE3ELS4_3ELS4_3ELNS0_20block_scan_algorithmE0ELj4294967295EEENS1_25partition_config_selectorILNS1_17partition_subalgoE3EjNS0_10empty_typeEbEEZZNS1_14partition_implILS8_3ELb0ES6_jNS0_17counting_iteratorIjlEEPS9_SE_NS0_5tupleIJPjSE_EEENSF_IJSE_SE_EEES9_SG_JZNS1_25segmented_radix_sort_implINS0_14default_configELb0EPKdPdPKlPlN2at6native12_GLOBAL__N_18offset_tEEE10hipError_tPvRmT1_PNSt15iterator_traitsISY_E10value_typeET2_T3_PNSZ_IS14_E10value_typeET4_jRbjT5_S1A_jjP12ihipStream_tbEUljE_EEESV_SW_SX_S14_S18_S1A_T6_T7_T9_mT8_S1C_bDpT10_ENKUlT_T0_E_clISt17integral_constantIbLb0EES1O_IbLb1EEEEDaS1K_S1L_EUlS1K_E_NS1_11comp_targetILNS1_3genE5ELNS1_11target_archE942ELNS1_3gpuE9ELNS1_3repE0EEENS1_30default_config_static_selectorELNS0_4arch9wavefront6targetE0EEEvSY_
		.amdhsa_group_segment_fixed_size 0
		.amdhsa_private_segment_fixed_size 0
		.amdhsa_kernarg_size 152
		.amdhsa_user_sgpr_count 2
		.amdhsa_user_sgpr_dispatch_ptr 0
		.amdhsa_user_sgpr_queue_ptr 0
		.amdhsa_user_sgpr_kernarg_segment_ptr 1
		.amdhsa_user_sgpr_dispatch_id 0
		.amdhsa_user_sgpr_kernarg_preload_length 0
		.amdhsa_user_sgpr_kernarg_preload_offset 0
		.amdhsa_user_sgpr_private_segment_size 0
		.amdhsa_wavefront_size32 1
		.amdhsa_uses_dynamic_stack 0
		.amdhsa_enable_private_segment 0
		.amdhsa_system_sgpr_workgroup_id_x 1
		.amdhsa_system_sgpr_workgroup_id_y 0
		.amdhsa_system_sgpr_workgroup_id_z 0
		.amdhsa_system_sgpr_workgroup_info 0
		.amdhsa_system_vgpr_workitem_id 0
		.amdhsa_next_free_vgpr 1
		.amdhsa_next_free_sgpr 1
		.amdhsa_named_barrier_count 0
		.amdhsa_reserve_vcc 0
		.amdhsa_float_round_mode_32 0
		.amdhsa_float_round_mode_16_64 0
		.amdhsa_float_denorm_mode_32 3
		.amdhsa_float_denorm_mode_16_64 3
		.amdhsa_fp16_overflow 0
		.amdhsa_memory_ordered 1
		.amdhsa_forward_progress 1
		.amdhsa_inst_pref_size 0
		.amdhsa_round_robin_scheduling 0
		.amdhsa_exception_fp_ieee_invalid_op 0
		.amdhsa_exception_fp_denorm_src 0
		.amdhsa_exception_fp_ieee_div_zero 0
		.amdhsa_exception_fp_ieee_overflow 0
		.amdhsa_exception_fp_ieee_underflow 0
		.amdhsa_exception_fp_ieee_inexact 0
		.amdhsa_exception_int_div_zero 0
	.end_amdhsa_kernel
	.section	.text._ZN7rocprim17ROCPRIM_400000_NS6detail17trampoline_kernelINS0_13select_configILj256ELj13ELNS0_17block_load_methodE3ELS4_3ELS4_3ELNS0_20block_scan_algorithmE0ELj4294967295EEENS1_25partition_config_selectorILNS1_17partition_subalgoE3EjNS0_10empty_typeEbEEZZNS1_14partition_implILS8_3ELb0ES6_jNS0_17counting_iteratorIjlEEPS9_SE_NS0_5tupleIJPjSE_EEENSF_IJSE_SE_EEES9_SG_JZNS1_25segmented_radix_sort_implINS0_14default_configELb0EPKdPdPKlPlN2at6native12_GLOBAL__N_18offset_tEEE10hipError_tPvRmT1_PNSt15iterator_traitsISY_E10value_typeET2_T3_PNSZ_IS14_E10value_typeET4_jRbjT5_S1A_jjP12ihipStream_tbEUljE_EEESV_SW_SX_S14_S18_S1A_T6_T7_T9_mT8_S1C_bDpT10_ENKUlT_T0_E_clISt17integral_constantIbLb0EES1O_IbLb1EEEEDaS1K_S1L_EUlS1K_E_NS1_11comp_targetILNS1_3genE5ELNS1_11target_archE942ELNS1_3gpuE9ELNS1_3repE0EEENS1_30default_config_static_selectorELNS0_4arch9wavefront6targetE0EEEvSY_,"axG",@progbits,_ZN7rocprim17ROCPRIM_400000_NS6detail17trampoline_kernelINS0_13select_configILj256ELj13ELNS0_17block_load_methodE3ELS4_3ELS4_3ELNS0_20block_scan_algorithmE0ELj4294967295EEENS1_25partition_config_selectorILNS1_17partition_subalgoE3EjNS0_10empty_typeEbEEZZNS1_14partition_implILS8_3ELb0ES6_jNS0_17counting_iteratorIjlEEPS9_SE_NS0_5tupleIJPjSE_EEENSF_IJSE_SE_EEES9_SG_JZNS1_25segmented_radix_sort_implINS0_14default_configELb0EPKdPdPKlPlN2at6native12_GLOBAL__N_18offset_tEEE10hipError_tPvRmT1_PNSt15iterator_traitsISY_E10value_typeET2_T3_PNSZ_IS14_E10value_typeET4_jRbjT5_S1A_jjP12ihipStream_tbEUljE_EEESV_SW_SX_S14_S18_S1A_T6_T7_T9_mT8_S1C_bDpT10_ENKUlT_T0_E_clISt17integral_constantIbLb0EES1O_IbLb1EEEEDaS1K_S1L_EUlS1K_E_NS1_11comp_targetILNS1_3genE5ELNS1_11target_archE942ELNS1_3gpuE9ELNS1_3repE0EEENS1_30default_config_static_selectorELNS0_4arch9wavefront6targetE0EEEvSY_,comdat
.Lfunc_end1208:
	.size	_ZN7rocprim17ROCPRIM_400000_NS6detail17trampoline_kernelINS0_13select_configILj256ELj13ELNS0_17block_load_methodE3ELS4_3ELS4_3ELNS0_20block_scan_algorithmE0ELj4294967295EEENS1_25partition_config_selectorILNS1_17partition_subalgoE3EjNS0_10empty_typeEbEEZZNS1_14partition_implILS8_3ELb0ES6_jNS0_17counting_iteratorIjlEEPS9_SE_NS0_5tupleIJPjSE_EEENSF_IJSE_SE_EEES9_SG_JZNS1_25segmented_radix_sort_implINS0_14default_configELb0EPKdPdPKlPlN2at6native12_GLOBAL__N_18offset_tEEE10hipError_tPvRmT1_PNSt15iterator_traitsISY_E10value_typeET2_T3_PNSZ_IS14_E10value_typeET4_jRbjT5_S1A_jjP12ihipStream_tbEUljE_EEESV_SW_SX_S14_S18_S1A_T6_T7_T9_mT8_S1C_bDpT10_ENKUlT_T0_E_clISt17integral_constantIbLb0EES1O_IbLb1EEEEDaS1K_S1L_EUlS1K_E_NS1_11comp_targetILNS1_3genE5ELNS1_11target_archE942ELNS1_3gpuE9ELNS1_3repE0EEENS1_30default_config_static_selectorELNS0_4arch9wavefront6targetE0EEEvSY_, .Lfunc_end1208-_ZN7rocprim17ROCPRIM_400000_NS6detail17trampoline_kernelINS0_13select_configILj256ELj13ELNS0_17block_load_methodE3ELS4_3ELS4_3ELNS0_20block_scan_algorithmE0ELj4294967295EEENS1_25partition_config_selectorILNS1_17partition_subalgoE3EjNS0_10empty_typeEbEEZZNS1_14partition_implILS8_3ELb0ES6_jNS0_17counting_iteratorIjlEEPS9_SE_NS0_5tupleIJPjSE_EEENSF_IJSE_SE_EEES9_SG_JZNS1_25segmented_radix_sort_implINS0_14default_configELb0EPKdPdPKlPlN2at6native12_GLOBAL__N_18offset_tEEE10hipError_tPvRmT1_PNSt15iterator_traitsISY_E10value_typeET2_T3_PNSZ_IS14_E10value_typeET4_jRbjT5_S1A_jjP12ihipStream_tbEUljE_EEESV_SW_SX_S14_S18_S1A_T6_T7_T9_mT8_S1C_bDpT10_ENKUlT_T0_E_clISt17integral_constantIbLb0EES1O_IbLb1EEEEDaS1K_S1L_EUlS1K_E_NS1_11comp_targetILNS1_3genE5ELNS1_11target_archE942ELNS1_3gpuE9ELNS1_3repE0EEENS1_30default_config_static_selectorELNS0_4arch9wavefront6targetE0EEEvSY_
                                        ; -- End function
	.set _ZN7rocprim17ROCPRIM_400000_NS6detail17trampoline_kernelINS0_13select_configILj256ELj13ELNS0_17block_load_methodE3ELS4_3ELS4_3ELNS0_20block_scan_algorithmE0ELj4294967295EEENS1_25partition_config_selectorILNS1_17partition_subalgoE3EjNS0_10empty_typeEbEEZZNS1_14partition_implILS8_3ELb0ES6_jNS0_17counting_iteratorIjlEEPS9_SE_NS0_5tupleIJPjSE_EEENSF_IJSE_SE_EEES9_SG_JZNS1_25segmented_radix_sort_implINS0_14default_configELb0EPKdPdPKlPlN2at6native12_GLOBAL__N_18offset_tEEE10hipError_tPvRmT1_PNSt15iterator_traitsISY_E10value_typeET2_T3_PNSZ_IS14_E10value_typeET4_jRbjT5_S1A_jjP12ihipStream_tbEUljE_EEESV_SW_SX_S14_S18_S1A_T6_T7_T9_mT8_S1C_bDpT10_ENKUlT_T0_E_clISt17integral_constantIbLb0EES1O_IbLb1EEEEDaS1K_S1L_EUlS1K_E_NS1_11comp_targetILNS1_3genE5ELNS1_11target_archE942ELNS1_3gpuE9ELNS1_3repE0EEENS1_30default_config_static_selectorELNS0_4arch9wavefront6targetE0EEEvSY_.num_vgpr, 0
	.set _ZN7rocprim17ROCPRIM_400000_NS6detail17trampoline_kernelINS0_13select_configILj256ELj13ELNS0_17block_load_methodE3ELS4_3ELS4_3ELNS0_20block_scan_algorithmE0ELj4294967295EEENS1_25partition_config_selectorILNS1_17partition_subalgoE3EjNS0_10empty_typeEbEEZZNS1_14partition_implILS8_3ELb0ES6_jNS0_17counting_iteratorIjlEEPS9_SE_NS0_5tupleIJPjSE_EEENSF_IJSE_SE_EEES9_SG_JZNS1_25segmented_radix_sort_implINS0_14default_configELb0EPKdPdPKlPlN2at6native12_GLOBAL__N_18offset_tEEE10hipError_tPvRmT1_PNSt15iterator_traitsISY_E10value_typeET2_T3_PNSZ_IS14_E10value_typeET4_jRbjT5_S1A_jjP12ihipStream_tbEUljE_EEESV_SW_SX_S14_S18_S1A_T6_T7_T9_mT8_S1C_bDpT10_ENKUlT_T0_E_clISt17integral_constantIbLb0EES1O_IbLb1EEEEDaS1K_S1L_EUlS1K_E_NS1_11comp_targetILNS1_3genE5ELNS1_11target_archE942ELNS1_3gpuE9ELNS1_3repE0EEENS1_30default_config_static_selectorELNS0_4arch9wavefront6targetE0EEEvSY_.num_agpr, 0
	.set _ZN7rocprim17ROCPRIM_400000_NS6detail17trampoline_kernelINS0_13select_configILj256ELj13ELNS0_17block_load_methodE3ELS4_3ELS4_3ELNS0_20block_scan_algorithmE0ELj4294967295EEENS1_25partition_config_selectorILNS1_17partition_subalgoE3EjNS0_10empty_typeEbEEZZNS1_14partition_implILS8_3ELb0ES6_jNS0_17counting_iteratorIjlEEPS9_SE_NS0_5tupleIJPjSE_EEENSF_IJSE_SE_EEES9_SG_JZNS1_25segmented_radix_sort_implINS0_14default_configELb0EPKdPdPKlPlN2at6native12_GLOBAL__N_18offset_tEEE10hipError_tPvRmT1_PNSt15iterator_traitsISY_E10value_typeET2_T3_PNSZ_IS14_E10value_typeET4_jRbjT5_S1A_jjP12ihipStream_tbEUljE_EEESV_SW_SX_S14_S18_S1A_T6_T7_T9_mT8_S1C_bDpT10_ENKUlT_T0_E_clISt17integral_constantIbLb0EES1O_IbLb1EEEEDaS1K_S1L_EUlS1K_E_NS1_11comp_targetILNS1_3genE5ELNS1_11target_archE942ELNS1_3gpuE9ELNS1_3repE0EEENS1_30default_config_static_selectorELNS0_4arch9wavefront6targetE0EEEvSY_.numbered_sgpr, 0
	.set _ZN7rocprim17ROCPRIM_400000_NS6detail17trampoline_kernelINS0_13select_configILj256ELj13ELNS0_17block_load_methodE3ELS4_3ELS4_3ELNS0_20block_scan_algorithmE0ELj4294967295EEENS1_25partition_config_selectorILNS1_17partition_subalgoE3EjNS0_10empty_typeEbEEZZNS1_14partition_implILS8_3ELb0ES6_jNS0_17counting_iteratorIjlEEPS9_SE_NS0_5tupleIJPjSE_EEENSF_IJSE_SE_EEES9_SG_JZNS1_25segmented_radix_sort_implINS0_14default_configELb0EPKdPdPKlPlN2at6native12_GLOBAL__N_18offset_tEEE10hipError_tPvRmT1_PNSt15iterator_traitsISY_E10value_typeET2_T3_PNSZ_IS14_E10value_typeET4_jRbjT5_S1A_jjP12ihipStream_tbEUljE_EEESV_SW_SX_S14_S18_S1A_T6_T7_T9_mT8_S1C_bDpT10_ENKUlT_T0_E_clISt17integral_constantIbLb0EES1O_IbLb1EEEEDaS1K_S1L_EUlS1K_E_NS1_11comp_targetILNS1_3genE5ELNS1_11target_archE942ELNS1_3gpuE9ELNS1_3repE0EEENS1_30default_config_static_selectorELNS0_4arch9wavefront6targetE0EEEvSY_.num_named_barrier, 0
	.set _ZN7rocprim17ROCPRIM_400000_NS6detail17trampoline_kernelINS0_13select_configILj256ELj13ELNS0_17block_load_methodE3ELS4_3ELS4_3ELNS0_20block_scan_algorithmE0ELj4294967295EEENS1_25partition_config_selectorILNS1_17partition_subalgoE3EjNS0_10empty_typeEbEEZZNS1_14partition_implILS8_3ELb0ES6_jNS0_17counting_iteratorIjlEEPS9_SE_NS0_5tupleIJPjSE_EEENSF_IJSE_SE_EEES9_SG_JZNS1_25segmented_radix_sort_implINS0_14default_configELb0EPKdPdPKlPlN2at6native12_GLOBAL__N_18offset_tEEE10hipError_tPvRmT1_PNSt15iterator_traitsISY_E10value_typeET2_T3_PNSZ_IS14_E10value_typeET4_jRbjT5_S1A_jjP12ihipStream_tbEUljE_EEESV_SW_SX_S14_S18_S1A_T6_T7_T9_mT8_S1C_bDpT10_ENKUlT_T0_E_clISt17integral_constantIbLb0EES1O_IbLb1EEEEDaS1K_S1L_EUlS1K_E_NS1_11comp_targetILNS1_3genE5ELNS1_11target_archE942ELNS1_3gpuE9ELNS1_3repE0EEENS1_30default_config_static_selectorELNS0_4arch9wavefront6targetE0EEEvSY_.private_seg_size, 0
	.set _ZN7rocprim17ROCPRIM_400000_NS6detail17trampoline_kernelINS0_13select_configILj256ELj13ELNS0_17block_load_methodE3ELS4_3ELS4_3ELNS0_20block_scan_algorithmE0ELj4294967295EEENS1_25partition_config_selectorILNS1_17partition_subalgoE3EjNS0_10empty_typeEbEEZZNS1_14partition_implILS8_3ELb0ES6_jNS0_17counting_iteratorIjlEEPS9_SE_NS0_5tupleIJPjSE_EEENSF_IJSE_SE_EEES9_SG_JZNS1_25segmented_radix_sort_implINS0_14default_configELb0EPKdPdPKlPlN2at6native12_GLOBAL__N_18offset_tEEE10hipError_tPvRmT1_PNSt15iterator_traitsISY_E10value_typeET2_T3_PNSZ_IS14_E10value_typeET4_jRbjT5_S1A_jjP12ihipStream_tbEUljE_EEESV_SW_SX_S14_S18_S1A_T6_T7_T9_mT8_S1C_bDpT10_ENKUlT_T0_E_clISt17integral_constantIbLb0EES1O_IbLb1EEEEDaS1K_S1L_EUlS1K_E_NS1_11comp_targetILNS1_3genE5ELNS1_11target_archE942ELNS1_3gpuE9ELNS1_3repE0EEENS1_30default_config_static_selectorELNS0_4arch9wavefront6targetE0EEEvSY_.uses_vcc, 0
	.set _ZN7rocprim17ROCPRIM_400000_NS6detail17trampoline_kernelINS0_13select_configILj256ELj13ELNS0_17block_load_methodE3ELS4_3ELS4_3ELNS0_20block_scan_algorithmE0ELj4294967295EEENS1_25partition_config_selectorILNS1_17partition_subalgoE3EjNS0_10empty_typeEbEEZZNS1_14partition_implILS8_3ELb0ES6_jNS0_17counting_iteratorIjlEEPS9_SE_NS0_5tupleIJPjSE_EEENSF_IJSE_SE_EEES9_SG_JZNS1_25segmented_radix_sort_implINS0_14default_configELb0EPKdPdPKlPlN2at6native12_GLOBAL__N_18offset_tEEE10hipError_tPvRmT1_PNSt15iterator_traitsISY_E10value_typeET2_T3_PNSZ_IS14_E10value_typeET4_jRbjT5_S1A_jjP12ihipStream_tbEUljE_EEESV_SW_SX_S14_S18_S1A_T6_T7_T9_mT8_S1C_bDpT10_ENKUlT_T0_E_clISt17integral_constantIbLb0EES1O_IbLb1EEEEDaS1K_S1L_EUlS1K_E_NS1_11comp_targetILNS1_3genE5ELNS1_11target_archE942ELNS1_3gpuE9ELNS1_3repE0EEENS1_30default_config_static_selectorELNS0_4arch9wavefront6targetE0EEEvSY_.uses_flat_scratch, 0
	.set _ZN7rocprim17ROCPRIM_400000_NS6detail17trampoline_kernelINS0_13select_configILj256ELj13ELNS0_17block_load_methodE3ELS4_3ELS4_3ELNS0_20block_scan_algorithmE0ELj4294967295EEENS1_25partition_config_selectorILNS1_17partition_subalgoE3EjNS0_10empty_typeEbEEZZNS1_14partition_implILS8_3ELb0ES6_jNS0_17counting_iteratorIjlEEPS9_SE_NS0_5tupleIJPjSE_EEENSF_IJSE_SE_EEES9_SG_JZNS1_25segmented_radix_sort_implINS0_14default_configELb0EPKdPdPKlPlN2at6native12_GLOBAL__N_18offset_tEEE10hipError_tPvRmT1_PNSt15iterator_traitsISY_E10value_typeET2_T3_PNSZ_IS14_E10value_typeET4_jRbjT5_S1A_jjP12ihipStream_tbEUljE_EEESV_SW_SX_S14_S18_S1A_T6_T7_T9_mT8_S1C_bDpT10_ENKUlT_T0_E_clISt17integral_constantIbLb0EES1O_IbLb1EEEEDaS1K_S1L_EUlS1K_E_NS1_11comp_targetILNS1_3genE5ELNS1_11target_archE942ELNS1_3gpuE9ELNS1_3repE0EEENS1_30default_config_static_selectorELNS0_4arch9wavefront6targetE0EEEvSY_.has_dyn_sized_stack, 0
	.set _ZN7rocprim17ROCPRIM_400000_NS6detail17trampoline_kernelINS0_13select_configILj256ELj13ELNS0_17block_load_methodE3ELS4_3ELS4_3ELNS0_20block_scan_algorithmE0ELj4294967295EEENS1_25partition_config_selectorILNS1_17partition_subalgoE3EjNS0_10empty_typeEbEEZZNS1_14partition_implILS8_3ELb0ES6_jNS0_17counting_iteratorIjlEEPS9_SE_NS0_5tupleIJPjSE_EEENSF_IJSE_SE_EEES9_SG_JZNS1_25segmented_radix_sort_implINS0_14default_configELb0EPKdPdPKlPlN2at6native12_GLOBAL__N_18offset_tEEE10hipError_tPvRmT1_PNSt15iterator_traitsISY_E10value_typeET2_T3_PNSZ_IS14_E10value_typeET4_jRbjT5_S1A_jjP12ihipStream_tbEUljE_EEESV_SW_SX_S14_S18_S1A_T6_T7_T9_mT8_S1C_bDpT10_ENKUlT_T0_E_clISt17integral_constantIbLb0EES1O_IbLb1EEEEDaS1K_S1L_EUlS1K_E_NS1_11comp_targetILNS1_3genE5ELNS1_11target_archE942ELNS1_3gpuE9ELNS1_3repE0EEENS1_30default_config_static_selectorELNS0_4arch9wavefront6targetE0EEEvSY_.has_recursion, 0
	.set _ZN7rocprim17ROCPRIM_400000_NS6detail17trampoline_kernelINS0_13select_configILj256ELj13ELNS0_17block_load_methodE3ELS4_3ELS4_3ELNS0_20block_scan_algorithmE0ELj4294967295EEENS1_25partition_config_selectorILNS1_17partition_subalgoE3EjNS0_10empty_typeEbEEZZNS1_14partition_implILS8_3ELb0ES6_jNS0_17counting_iteratorIjlEEPS9_SE_NS0_5tupleIJPjSE_EEENSF_IJSE_SE_EEES9_SG_JZNS1_25segmented_radix_sort_implINS0_14default_configELb0EPKdPdPKlPlN2at6native12_GLOBAL__N_18offset_tEEE10hipError_tPvRmT1_PNSt15iterator_traitsISY_E10value_typeET2_T3_PNSZ_IS14_E10value_typeET4_jRbjT5_S1A_jjP12ihipStream_tbEUljE_EEESV_SW_SX_S14_S18_S1A_T6_T7_T9_mT8_S1C_bDpT10_ENKUlT_T0_E_clISt17integral_constantIbLb0EES1O_IbLb1EEEEDaS1K_S1L_EUlS1K_E_NS1_11comp_targetILNS1_3genE5ELNS1_11target_archE942ELNS1_3gpuE9ELNS1_3repE0EEENS1_30default_config_static_selectorELNS0_4arch9wavefront6targetE0EEEvSY_.has_indirect_call, 0
	.section	.AMDGPU.csdata,"",@progbits
; Kernel info:
; codeLenInByte = 0
; TotalNumSgprs: 0
; NumVgprs: 0
; ScratchSize: 0
; MemoryBound: 0
; FloatMode: 240
; IeeeMode: 1
; LDSByteSize: 0 bytes/workgroup (compile time only)
; SGPRBlocks: 0
; VGPRBlocks: 0
; NumSGPRsForWavesPerEU: 1
; NumVGPRsForWavesPerEU: 1
; NamedBarCnt: 0
; Occupancy: 16
; WaveLimiterHint : 0
; COMPUTE_PGM_RSRC2:SCRATCH_EN: 0
; COMPUTE_PGM_RSRC2:USER_SGPR: 2
; COMPUTE_PGM_RSRC2:TRAP_HANDLER: 0
; COMPUTE_PGM_RSRC2:TGID_X_EN: 1
; COMPUTE_PGM_RSRC2:TGID_Y_EN: 0
; COMPUTE_PGM_RSRC2:TGID_Z_EN: 0
; COMPUTE_PGM_RSRC2:TIDIG_COMP_CNT: 0
	.section	.text._ZN7rocprim17ROCPRIM_400000_NS6detail17trampoline_kernelINS0_13select_configILj256ELj13ELNS0_17block_load_methodE3ELS4_3ELS4_3ELNS0_20block_scan_algorithmE0ELj4294967295EEENS1_25partition_config_selectorILNS1_17partition_subalgoE3EjNS0_10empty_typeEbEEZZNS1_14partition_implILS8_3ELb0ES6_jNS0_17counting_iteratorIjlEEPS9_SE_NS0_5tupleIJPjSE_EEENSF_IJSE_SE_EEES9_SG_JZNS1_25segmented_radix_sort_implINS0_14default_configELb0EPKdPdPKlPlN2at6native12_GLOBAL__N_18offset_tEEE10hipError_tPvRmT1_PNSt15iterator_traitsISY_E10value_typeET2_T3_PNSZ_IS14_E10value_typeET4_jRbjT5_S1A_jjP12ihipStream_tbEUljE_EEESV_SW_SX_S14_S18_S1A_T6_T7_T9_mT8_S1C_bDpT10_ENKUlT_T0_E_clISt17integral_constantIbLb0EES1O_IbLb1EEEEDaS1K_S1L_EUlS1K_E_NS1_11comp_targetILNS1_3genE4ELNS1_11target_archE910ELNS1_3gpuE8ELNS1_3repE0EEENS1_30default_config_static_selectorELNS0_4arch9wavefront6targetE0EEEvSY_,"axG",@progbits,_ZN7rocprim17ROCPRIM_400000_NS6detail17trampoline_kernelINS0_13select_configILj256ELj13ELNS0_17block_load_methodE3ELS4_3ELS4_3ELNS0_20block_scan_algorithmE0ELj4294967295EEENS1_25partition_config_selectorILNS1_17partition_subalgoE3EjNS0_10empty_typeEbEEZZNS1_14partition_implILS8_3ELb0ES6_jNS0_17counting_iteratorIjlEEPS9_SE_NS0_5tupleIJPjSE_EEENSF_IJSE_SE_EEES9_SG_JZNS1_25segmented_radix_sort_implINS0_14default_configELb0EPKdPdPKlPlN2at6native12_GLOBAL__N_18offset_tEEE10hipError_tPvRmT1_PNSt15iterator_traitsISY_E10value_typeET2_T3_PNSZ_IS14_E10value_typeET4_jRbjT5_S1A_jjP12ihipStream_tbEUljE_EEESV_SW_SX_S14_S18_S1A_T6_T7_T9_mT8_S1C_bDpT10_ENKUlT_T0_E_clISt17integral_constantIbLb0EES1O_IbLb1EEEEDaS1K_S1L_EUlS1K_E_NS1_11comp_targetILNS1_3genE4ELNS1_11target_archE910ELNS1_3gpuE8ELNS1_3repE0EEENS1_30default_config_static_selectorELNS0_4arch9wavefront6targetE0EEEvSY_,comdat
	.globl	_ZN7rocprim17ROCPRIM_400000_NS6detail17trampoline_kernelINS0_13select_configILj256ELj13ELNS0_17block_load_methodE3ELS4_3ELS4_3ELNS0_20block_scan_algorithmE0ELj4294967295EEENS1_25partition_config_selectorILNS1_17partition_subalgoE3EjNS0_10empty_typeEbEEZZNS1_14partition_implILS8_3ELb0ES6_jNS0_17counting_iteratorIjlEEPS9_SE_NS0_5tupleIJPjSE_EEENSF_IJSE_SE_EEES9_SG_JZNS1_25segmented_radix_sort_implINS0_14default_configELb0EPKdPdPKlPlN2at6native12_GLOBAL__N_18offset_tEEE10hipError_tPvRmT1_PNSt15iterator_traitsISY_E10value_typeET2_T3_PNSZ_IS14_E10value_typeET4_jRbjT5_S1A_jjP12ihipStream_tbEUljE_EEESV_SW_SX_S14_S18_S1A_T6_T7_T9_mT8_S1C_bDpT10_ENKUlT_T0_E_clISt17integral_constantIbLb0EES1O_IbLb1EEEEDaS1K_S1L_EUlS1K_E_NS1_11comp_targetILNS1_3genE4ELNS1_11target_archE910ELNS1_3gpuE8ELNS1_3repE0EEENS1_30default_config_static_selectorELNS0_4arch9wavefront6targetE0EEEvSY_ ; -- Begin function _ZN7rocprim17ROCPRIM_400000_NS6detail17trampoline_kernelINS0_13select_configILj256ELj13ELNS0_17block_load_methodE3ELS4_3ELS4_3ELNS0_20block_scan_algorithmE0ELj4294967295EEENS1_25partition_config_selectorILNS1_17partition_subalgoE3EjNS0_10empty_typeEbEEZZNS1_14partition_implILS8_3ELb0ES6_jNS0_17counting_iteratorIjlEEPS9_SE_NS0_5tupleIJPjSE_EEENSF_IJSE_SE_EEES9_SG_JZNS1_25segmented_radix_sort_implINS0_14default_configELb0EPKdPdPKlPlN2at6native12_GLOBAL__N_18offset_tEEE10hipError_tPvRmT1_PNSt15iterator_traitsISY_E10value_typeET2_T3_PNSZ_IS14_E10value_typeET4_jRbjT5_S1A_jjP12ihipStream_tbEUljE_EEESV_SW_SX_S14_S18_S1A_T6_T7_T9_mT8_S1C_bDpT10_ENKUlT_T0_E_clISt17integral_constantIbLb0EES1O_IbLb1EEEEDaS1K_S1L_EUlS1K_E_NS1_11comp_targetILNS1_3genE4ELNS1_11target_archE910ELNS1_3gpuE8ELNS1_3repE0EEENS1_30default_config_static_selectorELNS0_4arch9wavefront6targetE0EEEvSY_
	.p2align	8
	.type	_ZN7rocprim17ROCPRIM_400000_NS6detail17trampoline_kernelINS0_13select_configILj256ELj13ELNS0_17block_load_methodE3ELS4_3ELS4_3ELNS0_20block_scan_algorithmE0ELj4294967295EEENS1_25partition_config_selectorILNS1_17partition_subalgoE3EjNS0_10empty_typeEbEEZZNS1_14partition_implILS8_3ELb0ES6_jNS0_17counting_iteratorIjlEEPS9_SE_NS0_5tupleIJPjSE_EEENSF_IJSE_SE_EEES9_SG_JZNS1_25segmented_radix_sort_implINS0_14default_configELb0EPKdPdPKlPlN2at6native12_GLOBAL__N_18offset_tEEE10hipError_tPvRmT1_PNSt15iterator_traitsISY_E10value_typeET2_T3_PNSZ_IS14_E10value_typeET4_jRbjT5_S1A_jjP12ihipStream_tbEUljE_EEESV_SW_SX_S14_S18_S1A_T6_T7_T9_mT8_S1C_bDpT10_ENKUlT_T0_E_clISt17integral_constantIbLb0EES1O_IbLb1EEEEDaS1K_S1L_EUlS1K_E_NS1_11comp_targetILNS1_3genE4ELNS1_11target_archE910ELNS1_3gpuE8ELNS1_3repE0EEENS1_30default_config_static_selectorELNS0_4arch9wavefront6targetE0EEEvSY_,@function
_ZN7rocprim17ROCPRIM_400000_NS6detail17trampoline_kernelINS0_13select_configILj256ELj13ELNS0_17block_load_methodE3ELS4_3ELS4_3ELNS0_20block_scan_algorithmE0ELj4294967295EEENS1_25partition_config_selectorILNS1_17partition_subalgoE3EjNS0_10empty_typeEbEEZZNS1_14partition_implILS8_3ELb0ES6_jNS0_17counting_iteratorIjlEEPS9_SE_NS0_5tupleIJPjSE_EEENSF_IJSE_SE_EEES9_SG_JZNS1_25segmented_radix_sort_implINS0_14default_configELb0EPKdPdPKlPlN2at6native12_GLOBAL__N_18offset_tEEE10hipError_tPvRmT1_PNSt15iterator_traitsISY_E10value_typeET2_T3_PNSZ_IS14_E10value_typeET4_jRbjT5_S1A_jjP12ihipStream_tbEUljE_EEESV_SW_SX_S14_S18_S1A_T6_T7_T9_mT8_S1C_bDpT10_ENKUlT_T0_E_clISt17integral_constantIbLb0EES1O_IbLb1EEEEDaS1K_S1L_EUlS1K_E_NS1_11comp_targetILNS1_3genE4ELNS1_11target_archE910ELNS1_3gpuE8ELNS1_3repE0EEENS1_30default_config_static_selectorELNS0_4arch9wavefront6targetE0EEEvSY_: ; @_ZN7rocprim17ROCPRIM_400000_NS6detail17trampoline_kernelINS0_13select_configILj256ELj13ELNS0_17block_load_methodE3ELS4_3ELS4_3ELNS0_20block_scan_algorithmE0ELj4294967295EEENS1_25partition_config_selectorILNS1_17partition_subalgoE3EjNS0_10empty_typeEbEEZZNS1_14partition_implILS8_3ELb0ES6_jNS0_17counting_iteratorIjlEEPS9_SE_NS0_5tupleIJPjSE_EEENSF_IJSE_SE_EEES9_SG_JZNS1_25segmented_radix_sort_implINS0_14default_configELb0EPKdPdPKlPlN2at6native12_GLOBAL__N_18offset_tEEE10hipError_tPvRmT1_PNSt15iterator_traitsISY_E10value_typeET2_T3_PNSZ_IS14_E10value_typeET4_jRbjT5_S1A_jjP12ihipStream_tbEUljE_EEESV_SW_SX_S14_S18_S1A_T6_T7_T9_mT8_S1C_bDpT10_ENKUlT_T0_E_clISt17integral_constantIbLb0EES1O_IbLb1EEEEDaS1K_S1L_EUlS1K_E_NS1_11comp_targetILNS1_3genE4ELNS1_11target_archE910ELNS1_3gpuE8ELNS1_3repE0EEENS1_30default_config_static_selectorELNS0_4arch9wavefront6targetE0EEEvSY_
; %bb.0:
	.section	.rodata,"a",@progbits
	.p2align	6, 0x0
	.amdhsa_kernel _ZN7rocprim17ROCPRIM_400000_NS6detail17trampoline_kernelINS0_13select_configILj256ELj13ELNS0_17block_load_methodE3ELS4_3ELS4_3ELNS0_20block_scan_algorithmE0ELj4294967295EEENS1_25partition_config_selectorILNS1_17partition_subalgoE3EjNS0_10empty_typeEbEEZZNS1_14partition_implILS8_3ELb0ES6_jNS0_17counting_iteratorIjlEEPS9_SE_NS0_5tupleIJPjSE_EEENSF_IJSE_SE_EEES9_SG_JZNS1_25segmented_radix_sort_implINS0_14default_configELb0EPKdPdPKlPlN2at6native12_GLOBAL__N_18offset_tEEE10hipError_tPvRmT1_PNSt15iterator_traitsISY_E10value_typeET2_T3_PNSZ_IS14_E10value_typeET4_jRbjT5_S1A_jjP12ihipStream_tbEUljE_EEESV_SW_SX_S14_S18_S1A_T6_T7_T9_mT8_S1C_bDpT10_ENKUlT_T0_E_clISt17integral_constantIbLb0EES1O_IbLb1EEEEDaS1K_S1L_EUlS1K_E_NS1_11comp_targetILNS1_3genE4ELNS1_11target_archE910ELNS1_3gpuE8ELNS1_3repE0EEENS1_30default_config_static_selectorELNS0_4arch9wavefront6targetE0EEEvSY_
		.amdhsa_group_segment_fixed_size 0
		.amdhsa_private_segment_fixed_size 0
		.amdhsa_kernarg_size 152
		.amdhsa_user_sgpr_count 2
		.amdhsa_user_sgpr_dispatch_ptr 0
		.amdhsa_user_sgpr_queue_ptr 0
		.amdhsa_user_sgpr_kernarg_segment_ptr 1
		.amdhsa_user_sgpr_dispatch_id 0
		.amdhsa_user_sgpr_kernarg_preload_length 0
		.amdhsa_user_sgpr_kernarg_preload_offset 0
		.amdhsa_user_sgpr_private_segment_size 0
		.amdhsa_wavefront_size32 1
		.amdhsa_uses_dynamic_stack 0
		.amdhsa_enable_private_segment 0
		.amdhsa_system_sgpr_workgroup_id_x 1
		.amdhsa_system_sgpr_workgroup_id_y 0
		.amdhsa_system_sgpr_workgroup_id_z 0
		.amdhsa_system_sgpr_workgroup_info 0
		.amdhsa_system_vgpr_workitem_id 0
		.amdhsa_next_free_vgpr 1
		.amdhsa_next_free_sgpr 1
		.amdhsa_named_barrier_count 0
		.amdhsa_reserve_vcc 0
		.amdhsa_float_round_mode_32 0
		.amdhsa_float_round_mode_16_64 0
		.amdhsa_float_denorm_mode_32 3
		.amdhsa_float_denorm_mode_16_64 3
		.amdhsa_fp16_overflow 0
		.amdhsa_memory_ordered 1
		.amdhsa_forward_progress 1
		.amdhsa_inst_pref_size 0
		.amdhsa_round_robin_scheduling 0
		.amdhsa_exception_fp_ieee_invalid_op 0
		.amdhsa_exception_fp_denorm_src 0
		.amdhsa_exception_fp_ieee_div_zero 0
		.amdhsa_exception_fp_ieee_overflow 0
		.amdhsa_exception_fp_ieee_underflow 0
		.amdhsa_exception_fp_ieee_inexact 0
		.amdhsa_exception_int_div_zero 0
	.end_amdhsa_kernel
	.section	.text._ZN7rocprim17ROCPRIM_400000_NS6detail17trampoline_kernelINS0_13select_configILj256ELj13ELNS0_17block_load_methodE3ELS4_3ELS4_3ELNS0_20block_scan_algorithmE0ELj4294967295EEENS1_25partition_config_selectorILNS1_17partition_subalgoE3EjNS0_10empty_typeEbEEZZNS1_14partition_implILS8_3ELb0ES6_jNS0_17counting_iteratorIjlEEPS9_SE_NS0_5tupleIJPjSE_EEENSF_IJSE_SE_EEES9_SG_JZNS1_25segmented_radix_sort_implINS0_14default_configELb0EPKdPdPKlPlN2at6native12_GLOBAL__N_18offset_tEEE10hipError_tPvRmT1_PNSt15iterator_traitsISY_E10value_typeET2_T3_PNSZ_IS14_E10value_typeET4_jRbjT5_S1A_jjP12ihipStream_tbEUljE_EEESV_SW_SX_S14_S18_S1A_T6_T7_T9_mT8_S1C_bDpT10_ENKUlT_T0_E_clISt17integral_constantIbLb0EES1O_IbLb1EEEEDaS1K_S1L_EUlS1K_E_NS1_11comp_targetILNS1_3genE4ELNS1_11target_archE910ELNS1_3gpuE8ELNS1_3repE0EEENS1_30default_config_static_selectorELNS0_4arch9wavefront6targetE0EEEvSY_,"axG",@progbits,_ZN7rocprim17ROCPRIM_400000_NS6detail17trampoline_kernelINS0_13select_configILj256ELj13ELNS0_17block_load_methodE3ELS4_3ELS4_3ELNS0_20block_scan_algorithmE0ELj4294967295EEENS1_25partition_config_selectorILNS1_17partition_subalgoE3EjNS0_10empty_typeEbEEZZNS1_14partition_implILS8_3ELb0ES6_jNS0_17counting_iteratorIjlEEPS9_SE_NS0_5tupleIJPjSE_EEENSF_IJSE_SE_EEES9_SG_JZNS1_25segmented_radix_sort_implINS0_14default_configELb0EPKdPdPKlPlN2at6native12_GLOBAL__N_18offset_tEEE10hipError_tPvRmT1_PNSt15iterator_traitsISY_E10value_typeET2_T3_PNSZ_IS14_E10value_typeET4_jRbjT5_S1A_jjP12ihipStream_tbEUljE_EEESV_SW_SX_S14_S18_S1A_T6_T7_T9_mT8_S1C_bDpT10_ENKUlT_T0_E_clISt17integral_constantIbLb0EES1O_IbLb1EEEEDaS1K_S1L_EUlS1K_E_NS1_11comp_targetILNS1_3genE4ELNS1_11target_archE910ELNS1_3gpuE8ELNS1_3repE0EEENS1_30default_config_static_selectorELNS0_4arch9wavefront6targetE0EEEvSY_,comdat
.Lfunc_end1209:
	.size	_ZN7rocprim17ROCPRIM_400000_NS6detail17trampoline_kernelINS0_13select_configILj256ELj13ELNS0_17block_load_methodE3ELS4_3ELS4_3ELNS0_20block_scan_algorithmE0ELj4294967295EEENS1_25partition_config_selectorILNS1_17partition_subalgoE3EjNS0_10empty_typeEbEEZZNS1_14partition_implILS8_3ELb0ES6_jNS0_17counting_iteratorIjlEEPS9_SE_NS0_5tupleIJPjSE_EEENSF_IJSE_SE_EEES9_SG_JZNS1_25segmented_radix_sort_implINS0_14default_configELb0EPKdPdPKlPlN2at6native12_GLOBAL__N_18offset_tEEE10hipError_tPvRmT1_PNSt15iterator_traitsISY_E10value_typeET2_T3_PNSZ_IS14_E10value_typeET4_jRbjT5_S1A_jjP12ihipStream_tbEUljE_EEESV_SW_SX_S14_S18_S1A_T6_T7_T9_mT8_S1C_bDpT10_ENKUlT_T0_E_clISt17integral_constantIbLb0EES1O_IbLb1EEEEDaS1K_S1L_EUlS1K_E_NS1_11comp_targetILNS1_3genE4ELNS1_11target_archE910ELNS1_3gpuE8ELNS1_3repE0EEENS1_30default_config_static_selectorELNS0_4arch9wavefront6targetE0EEEvSY_, .Lfunc_end1209-_ZN7rocprim17ROCPRIM_400000_NS6detail17trampoline_kernelINS0_13select_configILj256ELj13ELNS0_17block_load_methodE3ELS4_3ELS4_3ELNS0_20block_scan_algorithmE0ELj4294967295EEENS1_25partition_config_selectorILNS1_17partition_subalgoE3EjNS0_10empty_typeEbEEZZNS1_14partition_implILS8_3ELb0ES6_jNS0_17counting_iteratorIjlEEPS9_SE_NS0_5tupleIJPjSE_EEENSF_IJSE_SE_EEES9_SG_JZNS1_25segmented_radix_sort_implINS0_14default_configELb0EPKdPdPKlPlN2at6native12_GLOBAL__N_18offset_tEEE10hipError_tPvRmT1_PNSt15iterator_traitsISY_E10value_typeET2_T3_PNSZ_IS14_E10value_typeET4_jRbjT5_S1A_jjP12ihipStream_tbEUljE_EEESV_SW_SX_S14_S18_S1A_T6_T7_T9_mT8_S1C_bDpT10_ENKUlT_T0_E_clISt17integral_constantIbLb0EES1O_IbLb1EEEEDaS1K_S1L_EUlS1K_E_NS1_11comp_targetILNS1_3genE4ELNS1_11target_archE910ELNS1_3gpuE8ELNS1_3repE0EEENS1_30default_config_static_selectorELNS0_4arch9wavefront6targetE0EEEvSY_
                                        ; -- End function
	.set _ZN7rocprim17ROCPRIM_400000_NS6detail17trampoline_kernelINS0_13select_configILj256ELj13ELNS0_17block_load_methodE3ELS4_3ELS4_3ELNS0_20block_scan_algorithmE0ELj4294967295EEENS1_25partition_config_selectorILNS1_17partition_subalgoE3EjNS0_10empty_typeEbEEZZNS1_14partition_implILS8_3ELb0ES6_jNS0_17counting_iteratorIjlEEPS9_SE_NS0_5tupleIJPjSE_EEENSF_IJSE_SE_EEES9_SG_JZNS1_25segmented_radix_sort_implINS0_14default_configELb0EPKdPdPKlPlN2at6native12_GLOBAL__N_18offset_tEEE10hipError_tPvRmT1_PNSt15iterator_traitsISY_E10value_typeET2_T3_PNSZ_IS14_E10value_typeET4_jRbjT5_S1A_jjP12ihipStream_tbEUljE_EEESV_SW_SX_S14_S18_S1A_T6_T7_T9_mT8_S1C_bDpT10_ENKUlT_T0_E_clISt17integral_constantIbLb0EES1O_IbLb1EEEEDaS1K_S1L_EUlS1K_E_NS1_11comp_targetILNS1_3genE4ELNS1_11target_archE910ELNS1_3gpuE8ELNS1_3repE0EEENS1_30default_config_static_selectorELNS0_4arch9wavefront6targetE0EEEvSY_.num_vgpr, 0
	.set _ZN7rocprim17ROCPRIM_400000_NS6detail17trampoline_kernelINS0_13select_configILj256ELj13ELNS0_17block_load_methodE3ELS4_3ELS4_3ELNS0_20block_scan_algorithmE0ELj4294967295EEENS1_25partition_config_selectorILNS1_17partition_subalgoE3EjNS0_10empty_typeEbEEZZNS1_14partition_implILS8_3ELb0ES6_jNS0_17counting_iteratorIjlEEPS9_SE_NS0_5tupleIJPjSE_EEENSF_IJSE_SE_EEES9_SG_JZNS1_25segmented_radix_sort_implINS0_14default_configELb0EPKdPdPKlPlN2at6native12_GLOBAL__N_18offset_tEEE10hipError_tPvRmT1_PNSt15iterator_traitsISY_E10value_typeET2_T3_PNSZ_IS14_E10value_typeET4_jRbjT5_S1A_jjP12ihipStream_tbEUljE_EEESV_SW_SX_S14_S18_S1A_T6_T7_T9_mT8_S1C_bDpT10_ENKUlT_T0_E_clISt17integral_constantIbLb0EES1O_IbLb1EEEEDaS1K_S1L_EUlS1K_E_NS1_11comp_targetILNS1_3genE4ELNS1_11target_archE910ELNS1_3gpuE8ELNS1_3repE0EEENS1_30default_config_static_selectorELNS0_4arch9wavefront6targetE0EEEvSY_.num_agpr, 0
	.set _ZN7rocprim17ROCPRIM_400000_NS6detail17trampoline_kernelINS0_13select_configILj256ELj13ELNS0_17block_load_methodE3ELS4_3ELS4_3ELNS0_20block_scan_algorithmE0ELj4294967295EEENS1_25partition_config_selectorILNS1_17partition_subalgoE3EjNS0_10empty_typeEbEEZZNS1_14partition_implILS8_3ELb0ES6_jNS0_17counting_iteratorIjlEEPS9_SE_NS0_5tupleIJPjSE_EEENSF_IJSE_SE_EEES9_SG_JZNS1_25segmented_radix_sort_implINS0_14default_configELb0EPKdPdPKlPlN2at6native12_GLOBAL__N_18offset_tEEE10hipError_tPvRmT1_PNSt15iterator_traitsISY_E10value_typeET2_T3_PNSZ_IS14_E10value_typeET4_jRbjT5_S1A_jjP12ihipStream_tbEUljE_EEESV_SW_SX_S14_S18_S1A_T6_T7_T9_mT8_S1C_bDpT10_ENKUlT_T0_E_clISt17integral_constantIbLb0EES1O_IbLb1EEEEDaS1K_S1L_EUlS1K_E_NS1_11comp_targetILNS1_3genE4ELNS1_11target_archE910ELNS1_3gpuE8ELNS1_3repE0EEENS1_30default_config_static_selectorELNS0_4arch9wavefront6targetE0EEEvSY_.numbered_sgpr, 0
	.set _ZN7rocprim17ROCPRIM_400000_NS6detail17trampoline_kernelINS0_13select_configILj256ELj13ELNS0_17block_load_methodE3ELS4_3ELS4_3ELNS0_20block_scan_algorithmE0ELj4294967295EEENS1_25partition_config_selectorILNS1_17partition_subalgoE3EjNS0_10empty_typeEbEEZZNS1_14partition_implILS8_3ELb0ES6_jNS0_17counting_iteratorIjlEEPS9_SE_NS0_5tupleIJPjSE_EEENSF_IJSE_SE_EEES9_SG_JZNS1_25segmented_radix_sort_implINS0_14default_configELb0EPKdPdPKlPlN2at6native12_GLOBAL__N_18offset_tEEE10hipError_tPvRmT1_PNSt15iterator_traitsISY_E10value_typeET2_T3_PNSZ_IS14_E10value_typeET4_jRbjT5_S1A_jjP12ihipStream_tbEUljE_EEESV_SW_SX_S14_S18_S1A_T6_T7_T9_mT8_S1C_bDpT10_ENKUlT_T0_E_clISt17integral_constantIbLb0EES1O_IbLb1EEEEDaS1K_S1L_EUlS1K_E_NS1_11comp_targetILNS1_3genE4ELNS1_11target_archE910ELNS1_3gpuE8ELNS1_3repE0EEENS1_30default_config_static_selectorELNS0_4arch9wavefront6targetE0EEEvSY_.num_named_barrier, 0
	.set _ZN7rocprim17ROCPRIM_400000_NS6detail17trampoline_kernelINS0_13select_configILj256ELj13ELNS0_17block_load_methodE3ELS4_3ELS4_3ELNS0_20block_scan_algorithmE0ELj4294967295EEENS1_25partition_config_selectorILNS1_17partition_subalgoE3EjNS0_10empty_typeEbEEZZNS1_14partition_implILS8_3ELb0ES6_jNS0_17counting_iteratorIjlEEPS9_SE_NS0_5tupleIJPjSE_EEENSF_IJSE_SE_EEES9_SG_JZNS1_25segmented_radix_sort_implINS0_14default_configELb0EPKdPdPKlPlN2at6native12_GLOBAL__N_18offset_tEEE10hipError_tPvRmT1_PNSt15iterator_traitsISY_E10value_typeET2_T3_PNSZ_IS14_E10value_typeET4_jRbjT5_S1A_jjP12ihipStream_tbEUljE_EEESV_SW_SX_S14_S18_S1A_T6_T7_T9_mT8_S1C_bDpT10_ENKUlT_T0_E_clISt17integral_constantIbLb0EES1O_IbLb1EEEEDaS1K_S1L_EUlS1K_E_NS1_11comp_targetILNS1_3genE4ELNS1_11target_archE910ELNS1_3gpuE8ELNS1_3repE0EEENS1_30default_config_static_selectorELNS0_4arch9wavefront6targetE0EEEvSY_.private_seg_size, 0
	.set _ZN7rocprim17ROCPRIM_400000_NS6detail17trampoline_kernelINS0_13select_configILj256ELj13ELNS0_17block_load_methodE3ELS4_3ELS4_3ELNS0_20block_scan_algorithmE0ELj4294967295EEENS1_25partition_config_selectorILNS1_17partition_subalgoE3EjNS0_10empty_typeEbEEZZNS1_14partition_implILS8_3ELb0ES6_jNS0_17counting_iteratorIjlEEPS9_SE_NS0_5tupleIJPjSE_EEENSF_IJSE_SE_EEES9_SG_JZNS1_25segmented_radix_sort_implINS0_14default_configELb0EPKdPdPKlPlN2at6native12_GLOBAL__N_18offset_tEEE10hipError_tPvRmT1_PNSt15iterator_traitsISY_E10value_typeET2_T3_PNSZ_IS14_E10value_typeET4_jRbjT5_S1A_jjP12ihipStream_tbEUljE_EEESV_SW_SX_S14_S18_S1A_T6_T7_T9_mT8_S1C_bDpT10_ENKUlT_T0_E_clISt17integral_constantIbLb0EES1O_IbLb1EEEEDaS1K_S1L_EUlS1K_E_NS1_11comp_targetILNS1_3genE4ELNS1_11target_archE910ELNS1_3gpuE8ELNS1_3repE0EEENS1_30default_config_static_selectorELNS0_4arch9wavefront6targetE0EEEvSY_.uses_vcc, 0
	.set _ZN7rocprim17ROCPRIM_400000_NS6detail17trampoline_kernelINS0_13select_configILj256ELj13ELNS0_17block_load_methodE3ELS4_3ELS4_3ELNS0_20block_scan_algorithmE0ELj4294967295EEENS1_25partition_config_selectorILNS1_17partition_subalgoE3EjNS0_10empty_typeEbEEZZNS1_14partition_implILS8_3ELb0ES6_jNS0_17counting_iteratorIjlEEPS9_SE_NS0_5tupleIJPjSE_EEENSF_IJSE_SE_EEES9_SG_JZNS1_25segmented_radix_sort_implINS0_14default_configELb0EPKdPdPKlPlN2at6native12_GLOBAL__N_18offset_tEEE10hipError_tPvRmT1_PNSt15iterator_traitsISY_E10value_typeET2_T3_PNSZ_IS14_E10value_typeET4_jRbjT5_S1A_jjP12ihipStream_tbEUljE_EEESV_SW_SX_S14_S18_S1A_T6_T7_T9_mT8_S1C_bDpT10_ENKUlT_T0_E_clISt17integral_constantIbLb0EES1O_IbLb1EEEEDaS1K_S1L_EUlS1K_E_NS1_11comp_targetILNS1_3genE4ELNS1_11target_archE910ELNS1_3gpuE8ELNS1_3repE0EEENS1_30default_config_static_selectorELNS0_4arch9wavefront6targetE0EEEvSY_.uses_flat_scratch, 0
	.set _ZN7rocprim17ROCPRIM_400000_NS6detail17trampoline_kernelINS0_13select_configILj256ELj13ELNS0_17block_load_methodE3ELS4_3ELS4_3ELNS0_20block_scan_algorithmE0ELj4294967295EEENS1_25partition_config_selectorILNS1_17partition_subalgoE3EjNS0_10empty_typeEbEEZZNS1_14partition_implILS8_3ELb0ES6_jNS0_17counting_iteratorIjlEEPS9_SE_NS0_5tupleIJPjSE_EEENSF_IJSE_SE_EEES9_SG_JZNS1_25segmented_radix_sort_implINS0_14default_configELb0EPKdPdPKlPlN2at6native12_GLOBAL__N_18offset_tEEE10hipError_tPvRmT1_PNSt15iterator_traitsISY_E10value_typeET2_T3_PNSZ_IS14_E10value_typeET4_jRbjT5_S1A_jjP12ihipStream_tbEUljE_EEESV_SW_SX_S14_S18_S1A_T6_T7_T9_mT8_S1C_bDpT10_ENKUlT_T0_E_clISt17integral_constantIbLb0EES1O_IbLb1EEEEDaS1K_S1L_EUlS1K_E_NS1_11comp_targetILNS1_3genE4ELNS1_11target_archE910ELNS1_3gpuE8ELNS1_3repE0EEENS1_30default_config_static_selectorELNS0_4arch9wavefront6targetE0EEEvSY_.has_dyn_sized_stack, 0
	.set _ZN7rocprim17ROCPRIM_400000_NS6detail17trampoline_kernelINS0_13select_configILj256ELj13ELNS0_17block_load_methodE3ELS4_3ELS4_3ELNS0_20block_scan_algorithmE0ELj4294967295EEENS1_25partition_config_selectorILNS1_17partition_subalgoE3EjNS0_10empty_typeEbEEZZNS1_14partition_implILS8_3ELb0ES6_jNS0_17counting_iteratorIjlEEPS9_SE_NS0_5tupleIJPjSE_EEENSF_IJSE_SE_EEES9_SG_JZNS1_25segmented_radix_sort_implINS0_14default_configELb0EPKdPdPKlPlN2at6native12_GLOBAL__N_18offset_tEEE10hipError_tPvRmT1_PNSt15iterator_traitsISY_E10value_typeET2_T3_PNSZ_IS14_E10value_typeET4_jRbjT5_S1A_jjP12ihipStream_tbEUljE_EEESV_SW_SX_S14_S18_S1A_T6_T7_T9_mT8_S1C_bDpT10_ENKUlT_T0_E_clISt17integral_constantIbLb0EES1O_IbLb1EEEEDaS1K_S1L_EUlS1K_E_NS1_11comp_targetILNS1_3genE4ELNS1_11target_archE910ELNS1_3gpuE8ELNS1_3repE0EEENS1_30default_config_static_selectorELNS0_4arch9wavefront6targetE0EEEvSY_.has_recursion, 0
	.set _ZN7rocprim17ROCPRIM_400000_NS6detail17trampoline_kernelINS0_13select_configILj256ELj13ELNS0_17block_load_methodE3ELS4_3ELS4_3ELNS0_20block_scan_algorithmE0ELj4294967295EEENS1_25partition_config_selectorILNS1_17partition_subalgoE3EjNS0_10empty_typeEbEEZZNS1_14partition_implILS8_3ELb0ES6_jNS0_17counting_iteratorIjlEEPS9_SE_NS0_5tupleIJPjSE_EEENSF_IJSE_SE_EEES9_SG_JZNS1_25segmented_radix_sort_implINS0_14default_configELb0EPKdPdPKlPlN2at6native12_GLOBAL__N_18offset_tEEE10hipError_tPvRmT1_PNSt15iterator_traitsISY_E10value_typeET2_T3_PNSZ_IS14_E10value_typeET4_jRbjT5_S1A_jjP12ihipStream_tbEUljE_EEESV_SW_SX_S14_S18_S1A_T6_T7_T9_mT8_S1C_bDpT10_ENKUlT_T0_E_clISt17integral_constantIbLb0EES1O_IbLb1EEEEDaS1K_S1L_EUlS1K_E_NS1_11comp_targetILNS1_3genE4ELNS1_11target_archE910ELNS1_3gpuE8ELNS1_3repE0EEENS1_30default_config_static_selectorELNS0_4arch9wavefront6targetE0EEEvSY_.has_indirect_call, 0
	.section	.AMDGPU.csdata,"",@progbits
; Kernel info:
; codeLenInByte = 0
; TotalNumSgprs: 0
; NumVgprs: 0
; ScratchSize: 0
; MemoryBound: 0
; FloatMode: 240
; IeeeMode: 1
; LDSByteSize: 0 bytes/workgroup (compile time only)
; SGPRBlocks: 0
; VGPRBlocks: 0
; NumSGPRsForWavesPerEU: 1
; NumVGPRsForWavesPerEU: 1
; NamedBarCnt: 0
; Occupancy: 16
; WaveLimiterHint : 0
; COMPUTE_PGM_RSRC2:SCRATCH_EN: 0
; COMPUTE_PGM_RSRC2:USER_SGPR: 2
; COMPUTE_PGM_RSRC2:TRAP_HANDLER: 0
; COMPUTE_PGM_RSRC2:TGID_X_EN: 1
; COMPUTE_PGM_RSRC2:TGID_Y_EN: 0
; COMPUTE_PGM_RSRC2:TGID_Z_EN: 0
; COMPUTE_PGM_RSRC2:TIDIG_COMP_CNT: 0
	.section	.text._ZN7rocprim17ROCPRIM_400000_NS6detail17trampoline_kernelINS0_13select_configILj256ELj13ELNS0_17block_load_methodE3ELS4_3ELS4_3ELNS0_20block_scan_algorithmE0ELj4294967295EEENS1_25partition_config_selectorILNS1_17partition_subalgoE3EjNS0_10empty_typeEbEEZZNS1_14partition_implILS8_3ELb0ES6_jNS0_17counting_iteratorIjlEEPS9_SE_NS0_5tupleIJPjSE_EEENSF_IJSE_SE_EEES9_SG_JZNS1_25segmented_radix_sort_implINS0_14default_configELb0EPKdPdPKlPlN2at6native12_GLOBAL__N_18offset_tEEE10hipError_tPvRmT1_PNSt15iterator_traitsISY_E10value_typeET2_T3_PNSZ_IS14_E10value_typeET4_jRbjT5_S1A_jjP12ihipStream_tbEUljE_EEESV_SW_SX_S14_S18_S1A_T6_T7_T9_mT8_S1C_bDpT10_ENKUlT_T0_E_clISt17integral_constantIbLb0EES1O_IbLb1EEEEDaS1K_S1L_EUlS1K_E_NS1_11comp_targetILNS1_3genE3ELNS1_11target_archE908ELNS1_3gpuE7ELNS1_3repE0EEENS1_30default_config_static_selectorELNS0_4arch9wavefront6targetE0EEEvSY_,"axG",@progbits,_ZN7rocprim17ROCPRIM_400000_NS6detail17trampoline_kernelINS0_13select_configILj256ELj13ELNS0_17block_load_methodE3ELS4_3ELS4_3ELNS0_20block_scan_algorithmE0ELj4294967295EEENS1_25partition_config_selectorILNS1_17partition_subalgoE3EjNS0_10empty_typeEbEEZZNS1_14partition_implILS8_3ELb0ES6_jNS0_17counting_iteratorIjlEEPS9_SE_NS0_5tupleIJPjSE_EEENSF_IJSE_SE_EEES9_SG_JZNS1_25segmented_radix_sort_implINS0_14default_configELb0EPKdPdPKlPlN2at6native12_GLOBAL__N_18offset_tEEE10hipError_tPvRmT1_PNSt15iterator_traitsISY_E10value_typeET2_T3_PNSZ_IS14_E10value_typeET4_jRbjT5_S1A_jjP12ihipStream_tbEUljE_EEESV_SW_SX_S14_S18_S1A_T6_T7_T9_mT8_S1C_bDpT10_ENKUlT_T0_E_clISt17integral_constantIbLb0EES1O_IbLb1EEEEDaS1K_S1L_EUlS1K_E_NS1_11comp_targetILNS1_3genE3ELNS1_11target_archE908ELNS1_3gpuE7ELNS1_3repE0EEENS1_30default_config_static_selectorELNS0_4arch9wavefront6targetE0EEEvSY_,comdat
	.globl	_ZN7rocprim17ROCPRIM_400000_NS6detail17trampoline_kernelINS0_13select_configILj256ELj13ELNS0_17block_load_methodE3ELS4_3ELS4_3ELNS0_20block_scan_algorithmE0ELj4294967295EEENS1_25partition_config_selectorILNS1_17partition_subalgoE3EjNS0_10empty_typeEbEEZZNS1_14partition_implILS8_3ELb0ES6_jNS0_17counting_iteratorIjlEEPS9_SE_NS0_5tupleIJPjSE_EEENSF_IJSE_SE_EEES9_SG_JZNS1_25segmented_radix_sort_implINS0_14default_configELb0EPKdPdPKlPlN2at6native12_GLOBAL__N_18offset_tEEE10hipError_tPvRmT1_PNSt15iterator_traitsISY_E10value_typeET2_T3_PNSZ_IS14_E10value_typeET4_jRbjT5_S1A_jjP12ihipStream_tbEUljE_EEESV_SW_SX_S14_S18_S1A_T6_T7_T9_mT8_S1C_bDpT10_ENKUlT_T0_E_clISt17integral_constantIbLb0EES1O_IbLb1EEEEDaS1K_S1L_EUlS1K_E_NS1_11comp_targetILNS1_3genE3ELNS1_11target_archE908ELNS1_3gpuE7ELNS1_3repE0EEENS1_30default_config_static_selectorELNS0_4arch9wavefront6targetE0EEEvSY_ ; -- Begin function _ZN7rocprim17ROCPRIM_400000_NS6detail17trampoline_kernelINS0_13select_configILj256ELj13ELNS0_17block_load_methodE3ELS4_3ELS4_3ELNS0_20block_scan_algorithmE0ELj4294967295EEENS1_25partition_config_selectorILNS1_17partition_subalgoE3EjNS0_10empty_typeEbEEZZNS1_14partition_implILS8_3ELb0ES6_jNS0_17counting_iteratorIjlEEPS9_SE_NS0_5tupleIJPjSE_EEENSF_IJSE_SE_EEES9_SG_JZNS1_25segmented_radix_sort_implINS0_14default_configELb0EPKdPdPKlPlN2at6native12_GLOBAL__N_18offset_tEEE10hipError_tPvRmT1_PNSt15iterator_traitsISY_E10value_typeET2_T3_PNSZ_IS14_E10value_typeET4_jRbjT5_S1A_jjP12ihipStream_tbEUljE_EEESV_SW_SX_S14_S18_S1A_T6_T7_T9_mT8_S1C_bDpT10_ENKUlT_T0_E_clISt17integral_constantIbLb0EES1O_IbLb1EEEEDaS1K_S1L_EUlS1K_E_NS1_11comp_targetILNS1_3genE3ELNS1_11target_archE908ELNS1_3gpuE7ELNS1_3repE0EEENS1_30default_config_static_selectorELNS0_4arch9wavefront6targetE0EEEvSY_
	.p2align	8
	.type	_ZN7rocprim17ROCPRIM_400000_NS6detail17trampoline_kernelINS0_13select_configILj256ELj13ELNS0_17block_load_methodE3ELS4_3ELS4_3ELNS0_20block_scan_algorithmE0ELj4294967295EEENS1_25partition_config_selectorILNS1_17partition_subalgoE3EjNS0_10empty_typeEbEEZZNS1_14partition_implILS8_3ELb0ES6_jNS0_17counting_iteratorIjlEEPS9_SE_NS0_5tupleIJPjSE_EEENSF_IJSE_SE_EEES9_SG_JZNS1_25segmented_radix_sort_implINS0_14default_configELb0EPKdPdPKlPlN2at6native12_GLOBAL__N_18offset_tEEE10hipError_tPvRmT1_PNSt15iterator_traitsISY_E10value_typeET2_T3_PNSZ_IS14_E10value_typeET4_jRbjT5_S1A_jjP12ihipStream_tbEUljE_EEESV_SW_SX_S14_S18_S1A_T6_T7_T9_mT8_S1C_bDpT10_ENKUlT_T0_E_clISt17integral_constantIbLb0EES1O_IbLb1EEEEDaS1K_S1L_EUlS1K_E_NS1_11comp_targetILNS1_3genE3ELNS1_11target_archE908ELNS1_3gpuE7ELNS1_3repE0EEENS1_30default_config_static_selectorELNS0_4arch9wavefront6targetE0EEEvSY_,@function
_ZN7rocprim17ROCPRIM_400000_NS6detail17trampoline_kernelINS0_13select_configILj256ELj13ELNS0_17block_load_methodE3ELS4_3ELS4_3ELNS0_20block_scan_algorithmE0ELj4294967295EEENS1_25partition_config_selectorILNS1_17partition_subalgoE3EjNS0_10empty_typeEbEEZZNS1_14partition_implILS8_3ELb0ES6_jNS0_17counting_iteratorIjlEEPS9_SE_NS0_5tupleIJPjSE_EEENSF_IJSE_SE_EEES9_SG_JZNS1_25segmented_radix_sort_implINS0_14default_configELb0EPKdPdPKlPlN2at6native12_GLOBAL__N_18offset_tEEE10hipError_tPvRmT1_PNSt15iterator_traitsISY_E10value_typeET2_T3_PNSZ_IS14_E10value_typeET4_jRbjT5_S1A_jjP12ihipStream_tbEUljE_EEESV_SW_SX_S14_S18_S1A_T6_T7_T9_mT8_S1C_bDpT10_ENKUlT_T0_E_clISt17integral_constantIbLb0EES1O_IbLb1EEEEDaS1K_S1L_EUlS1K_E_NS1_11comp_targetILNS1_3genE3ELNS1_11target_archE908ELNS1_3gpuE7ELNS1_3repE0EEENS1_30default_config_static_selectorELNS0_4arch9wavefront6targetE0EEEvSY_: ; @_ZN7rocprim17ROCPRIM_400000_NS6detail17trampoline_kernelINS0_13select_configILj256ELj13ELNS0_17block_load_methodE3ELS4_3ELS4_3ELNS0_20block_scan_algorithmE0ELj4294967295EEENS1_25partition_config_selectorILNS1_17partition_subalgoE3EjNS0_10empty_typeEbEEZZNS1_14partition_implILS8_3ELb0ES6_jNS0_17counting_iteratorIjlEEPS9_SE_NS0_5tupleIJPjSE_EEENSF_IJSE_SE_EEES9_SG_JZNS1_25segmented_radix_sort_implINS0_14default_configELb0EPKdPdPKlPlN2at6native12_GLOBAL__N_18offset_tEEE10hipError_tPvRmT1_PNSt15iterator_traitsISY_E10value_typeET2_T3_PNSZ_IS14_E10value_typeET4_jRbjT5_S1A_jjP12ihipStream_tbEUljE_EEESV_SW_SX_S14_S18_S1A_T6_T7_T9_mT8_S1C_bDpT10_ENKUlT_T0_E_clISt17integral_constantIbLb0EES1O_IbLb1EEEEDaS1K_S1L_EUlS1K_E_NS1_11comp_targetILNS1_3genE3ELNS1_11target_archE908ELNS1_3gpuE7ELNS1_3repE0EEENS1_30default_config_static_selectorELNS0_4arch9wavefront6targetE0EEEvSY_
; %bb.0:
	.section	.rodata,"a",@progbits
	.p2align	6, 0x0
	.amdhsa_kernel _ZN7rocprim17ROCPRIM_400000_NS6detail17trampoline_kernelINS0_13select_configILj256ELj13ELNS0_17block_load_methodE3ELS4_3ELS4_3ELNS0_20block_scan_algorithmE0ELj4294967295EEENS1_25partition_config_selectorILNS1_17partition_subalgoE3EjNS0_10empty_typeEbEEZZNS1_14partition_implILS8_3ELb0ES6_jNS0_17counting_iteratorIjlEEPS9_SE_NS0_5tupleIJPjSE_EEENSF_IJSE_SE_EEES9_SG_JZNS1_25segmented_radix_sort_implINS0_14default_configELb0EPKdPdPKlPlN2at6native12_GLOBAL__N_18offset_tEEE10hipError_tPvRmT1_PNSt15iterator_traitsISY_E10value_typeET2_T3_PNSZ_IS14_E10value_typeET4_jRbjT5_S1A_jjP12ihipStream_tbEUljE_EEESV_SW_SX_S14_S18_S1A_T6_T7_T9_mT8_S1C_bDpT10_ENKUlT_T0_E_clISt17integral_constantIbLb0EES1O_IbLb1EEEEDaS1K_S1L_EUlS1K_E_NS1_11comp_targetILNS1_3genE3ELNS1_11target_archE908ELNS1_3gpuE7ELNS1_3repE0EEENS1_30default_config_static_selectorELNS0_4arch9wavefront6targetE0EEEvSY_
		.amdhsa_group_segment_fixed_size 0
		.amdhsa_private_segment_fixed_size 0
		.amdhsa_kernarg_size 152
		.amdhsa_user_sgpr_count 2
		.amdhsa_user_sgpr_dispatch_ptr 0
		.amdhsa_user_sgpr_queue_ptr 0
		.amdhsa_user_sgpr_kernarg_segment_ptr 1
		.amdhsa_user_sgpr_dispatch_id 0
		.amdhsa_user_sgpr_kernarg_preload_length 0
		.amdhsa_user_sgpr_kernarg_preload_offset 0
		.amdhsa_user_sgpr_private_segment_size 0
		.amdhsa_wavefront_size32 1
		.amdhsa_uses_dynamic_stack 0
		.amdhsa_enable_private_segment 0
		.amdhsa_system_sgpr_workgroup_id_x 1
		.amdhsa_system_sgpr_workgroup_id_y 0
		.amdhsa_system_sgpr_workgroup_id_z 0
		.amdhsa_system_sgpr_workgroup_info 0
		.amdhsa_system_vgpr_workitem_id 0
		.amdhsa_next_free_vgpr 1
		.amdhsa_next_free_sgpr 1
		.amdhsa_named_barrier_count 0
		.amdhsa_reserve_vcc 0
		.amdhsa_float_round_mode_32 0
		.amdhsa_float_round_mode_16_64 0
		.amdhsa_float_denorm_mode_32 3
		.amdhsa_float_denorm_mode_16_64 3
		.amdhsa_fp16_overflow 0
		.amdhsa_memory_ordered 1
		.amdhsa_forward_progress 1
		.amdhsa_inst_pref_size 0
		.amdhsa_round_robin_scheduling 0
		.amdhsa_exception_fp_ieee_invalid_op 0
		.amdhsa_exception_fp_denorm_src 0
		.amdhsa_exception_fp_ieee_div_zero 0
		.amdhsa_exception_fp_ieee_overflow 0
		.amdhsa_exception_fp_ieee_underflow 0
		.amdhsa_exception_fp_ieee_inexact 0
		.amdhsa_exception_int_div_zero 0
	.end_amdhsa_kernel
	.section	.text._ZN7rocprim17ROCPRIM_400000_NS6detail17trampoline_kernelINS0_13select_configILj256ELj13ELNS0_17block_load_methodE3ELS4_3ELS4_3ELNS0_20block_scan_algorithmE0ELj4294967295EEENS1_25partition_config_selectorILNS1_17partition_subalgoE3EjNS0_10empty_typeEbEEZZNS1_14partition_implILS8_3ELb0ES6_jNS0_17counting_iteratorIjlEEPS9_SE_NS0_5tupleIJPjSE_EEENSF_IJSE_SE_EEES9_SG_JZNS1_25segmented_radix_sort_implINS0_14default_configELb0EPKdPdPKlPlN2at6native12_GLOBAL__N_18offset_tEEE10hipError_tPvRmT1_PNSt15iterator_traitsISY_E10value_typeET2_T3_PNSZ_IS14_E10value_typeET4_jRbjT5_S1A_jjP12ihipStream_tbEUljE_EEESV_SW_SX_S14_S18_S1A_T6_T7_T9_mT8_S1C_bDpT10_ENKUlT_T0_E_clISt17integral_constantIbLb0EES1O_IbLb1EEEEDaS1K_S1L_EUlS1K_E_NS1_11comp_targetILNS1_3genE3ELNS1_11target_archE908ELNS1_3gpuE7ELNS1_3repE0EEENS1_30default_config_static_selectorELNS0_4arch9wavefront6targetE0EEEvSY_,"axG",@progbits,_ZN7rocprim17ROCPRIM_400000_NS6detail17trampoline_kernelINS0_13select_configILj256ELj13ELNS0_17block_load_methodE3ELS4_3ELS4_3ELNS0_20block_scan_algorithmE0ELj4294967295EEENS1_25partition_config_selectorILNS1_17partition_subalgoE3EjNS0_10empty_typeEbEEZZNS1_14partition_implILS8_3ELb0ES6_jNS0_17counting_iteratorIjlEEPS9_SE_NS0_5tupleIJPjSE_EEENSF_IJSE_SE_EEES9_SG_JZNS1_25segmented_radix_sort_implINS0_14default_configELb0EPKdPdPKlPlN2at6native12_GLOBAL__N_18offset_tEEE10hipError_tPvRmT1_PNSt15iterator_traitsISY_E10value_typeET2_T3_PNSZ_IS14_E10value_typeET4_jRbjT5_S1A_jjP12ihipStream_tbEUljE_EEESV_SW_SX_S14_S18_S1A_T6_T7_T9_mT8_S1C_bDpT10_ENKUlT_T0_E_clISt17integral_constantIbLb0EES1O_IbLb1EEEEDaS1K_S1L_EUlS1K_E_NS1_11comp_targetILNS1_3genE3ELNS1_11target_archE908ELNS1_3gpuE7ELNS1_3repE0EEENS1_30default_config_static_selectorELNS0_4arch9wavefront6targetE0EEEvSY_,comdat
.Lfunc_end1210:
	.size	_ZN7rocprim17ROCPRIM_400000_NS6detail17trampoline_kernelINS0_13select_configILj256ELj13ELNS0_17block_load_methodE3ELS4_3ELS4_3ELNS0_20block_scan_algorithmE0ELj4294967295EEENS1_25partition_config_selectorILNS1_17partition_subalgoE3EjNS0_10empty_typeEbEEZZNS1_14partition_implILS8_3ELb0ES6_jNS0_17counting_iteratorIjlEEPS9_SE_NS0_5tupleIJPjSE_EEENSF_IJSE_SE_EEES9_SG_JZNS1_25segmented_radix_sort_implINS0_14default_configELb0EPKdPdPKlPlN2at6native12_GLOBAL__N_18offset_tEEE10hipError_tPvRmT1_PNSt15iterator_traitsISY_E10value_typeET2_T3_PNSZ_IS14_E10value_typeET4_jRbjT5_S1A_jjP12ihipStream_tbEUljE_EEESV_SW_SX_S14_S18_S1A_T6_T7_T9_mT8_S1C_bDpT10_ENKUlT_T0_E_clISt17integral_constantIbLb0EES1O_IbLb1EEEEDaS1K_S1L_EUlS1K_E_NS1_11comp_targetILNS1_3genE3ELNS1_11target_archE908ELNS1_3gpuE7ELNS1_3repE0EEENS1_30default_config_static_selectorELNS0_4arch9wavefront6targetE0EEEvSY_, .Lfunc_end1210-_ZN7rocprim17ROCPRIM_400000_NS6detail17trampoline_kernelINS0_13select_configILj256ELj13ELNS0_17block_load_methodE3ELS4_3ELS4_3ELNS0_20block_scan_algorithmE0ELj4294967295EEENS1_25partition_config_selectorILNS1_17partition_subalgoE3EjNS0_10empty_typeEbEEZZNS1_14partition_implILS8_3ELb0ES6_jNS0_17counting_iteratorIjlEEPS9_SE_NS0_5tupleIJPjSE_EEENSF_IJSE_SE_EEES9_SG_JZNS1_25segmented_radix_sort_implINS0_14default_configELb0EPKdPdPKlPlN2at6native12_GLOBAL__N_18offset_tEEE10hipError_tPvRmT1_PNSt15iterator_traitsISY_E10value_typeET2_T3_PNSZ_IS14_E10value_typeET4_jRbjT5_S1A_jjP12ihipStream_tbEUljE_EEESV_SW_SX_S14_S18_S1A_T6_T7_T9_mT8_S1C_bDpT10_ENKUlT_T0_E_clISt17integral_constantIbLb0EES1O_IbLb1EEEEDaS1K_S1L_EUlS1K_E_NS1_11comp_targetILNS1_3genE3ELNS1_11target_archE908ELNS1_3gpuE7ELNS1_3repE0EEENS1_30default_config_static_selectorELNS0_4arch9wavefront6targetE0EEEvSY_
                                        ; -- End function
	.set _ZN7rocprim17ROCPRIM_400000_NS6detail17trampoline_kernelINS0_13select_configILj256ELj13ELNS0_17block_load_methodE3ELS4_3ELS4_3ELNS0_20block_scan_algorithmE0ELj4294967295EEENS1_25partition_config_selectorILNS1_17partition_subalgoE3EjNS0_10empty_typeEbEEZZNS1_14partition_implILS8_3ELb0ES6_jNS0_17counting_iteratorIjlEEPS9_SE_NS0_5tupleIJPjSE_EEENSF_IJSE_SE_EEES9_SG_JZNS1_25segmented_radix_sort_implINS0_14default_configELb0EPKdPdPKlPlN2at6native12_GLOBAL__N_18offset_tEEE10hipError_tPvRmT1_PNSt15iterator_traitsISY_E10value_typeET2_T3_PNSZ_IS14_E10value_typeET4_jRbjT5_S1A_jjP12ihipStream_tbEUljE_EEESV_SW_SX_S14_S18_S1A_T6_T7_T9_mT8_S1C_bDpT10_ENKUlT_T0_E_clISt17integral_constantIbLb0EES1O_IbLb1EEEEDaS1K_S1L_EUlS1K_E_NS1_11comp_targetILNS1_3genE3ELNS1_11target_archE908ELNS1_3gpuE7ELNS1_3repE0EEENS1_30default_config_static_selectorELNS0_4arch9wavefront6targetE0EEEvSY_.num_vgpr, 0
	.set _ZN7rocprim17ROCPRIM_400000_NS6detail17trampoline_kernelINS0_13select_configILj256ELj13ELNS0_17block_load_methodE3ELS4_3ELS4_3ELNS0_20block_scan_algorithmE0ELj4294967295EEENS1_25partition_config_selectorILNS1_17partition_subalgoE3EjNS0_10empty_typeEbEEZZNS1_14partition_implILS8_3ELb0ES6_jNS0_17counting_iteratorIjlEEPS9_SE_NS0_5tupleIJPjSE_EEENSF_IJSE_SE_EEES9_SG_JZNS1_25segmented_radix_sort_implINS0_14default_configELb0EPKdPdPKlPlN2at6native12_GLOBAL__N_18offset_tEEE10hipError_tPvRmT1_PNSt15iterator_traitsISY_E10value_typeET2_T3_PNSZ_IS14_E10value_typeET4_jRbjT5_S1A_jjP12ihipStream_tbEUljE_EEESV_SW_SX_S14_S18_S1A_T6_T7_T9_mT8_S1C_bDpT10_ENKUlT_T0_E_clISt17integral_constantIbLb0EES1O_IbLb1EEEEDaS1K_S1L_EUlS1K_E_NS1_11comp_targetILNS1_3genE3ELNS1_11target_archE908ELNS1_3gpuE7ELNS1_3repE0EEENS1_30default_config_static_selectorELNS0_4arch9wavefront6targetE0EEEvSY_.num_agpr, 0
	.set _ZN7rocprim17ROCPRIM_400000_NS6detail17trampoline_kernelINS0_13select_configILj256ELj13ELNS0_17block_load_methodE3ELS4_3ELS4_3ELNS0_20block_scan_algorithmE0ELj4294967295EEENS1_25partition_config_selectorILNS1_17partition_subalgoE3EjNS0_10empty_typeEbEEZZNS1_14partition_implILS8_3ELb0ES6_jNS0_17counting_iteratorIjlEEPS9_SE_NS0_5tupleIJPjSE_EEENSF_IJSE_SE_EEES9_SG_JZNS1_25segmented_radix_sort_implINS0_14default_configELb0EPKdPdPKlPlN2at6native12_GLOBAL__N_18offset_tEEE10hipError_tPvRmT1_PNSt15iterator_traitsISY_E10value_typeET2_T3_PNSZ_IS14_E10value_typeET4_jRbjT5_S1A_jjP12ihipStream_tbEUljE_EEESV_SW_SX_S14_S18_S1A_T6_T7_T9_mT8_S1C_bDpT10_ENKUlT_T0_E_clISt17integral_constantIbLb0EES1O_IbLb1EEEEDaS1K_S1L_EUlS1K_E_NS1_11comp_targetILNS1_3genE3ELNS1_11target_archE908ELNS1_3gpuE7ELNS1_3repE0EEENS1_30default_config_static_selectorELNS0_4arch9wavefront6targetE0EEEvSY_.numbered_sgpr, 0
	.set _ZN7rocprim17ROCPRIM_400000_NS6detail17trampoline_kernelINS0_13select_configILj256ELj13ELNS0_17block_load_methodE3ELS4_3ELS4_3ELNS0_20block_scan_algorithmE0ELj4294967295EEENS1_25partition_config_selectorILNS1_17partition_subalgoE3EjNS0_10empty_typeEbEEZZNS1_14partition_implILS8_3ELb0ES6_jNS0_17counting_iteratorIjlEEPS9_SE_NS0_5tupleIJPjSE_EEENSF_IJSE_SE_EEES9_SG_JZNS1_25segmented_radix_sort_implINS0_14default_configELb0EPKdPdPKlPlN2at6native12_GLOBAL__N_18offset_tEEE10hipError_tPvRmT1_PNSt15iterator_traitsISY_E10value_typeET2_T3_PNSZ_IS14_E10value_typeET4_jRbjT5_S1A_jjP12ihipStream_tbEUljE_EEESV_SW_SX_S14_S18_S1A_T6_T7_T9_mT8_S1C_bDpT10_ENKUlT_T0_E_clISt17integral_constantIbLb0EES1O_IbLb1EEEEDaS1K_S1L_EUlS1K_E_NS1_11comp_targetILNS1_3genE3ELNS1_11target_archE908ELNS1_3gpuE7ELNS1_3repE0EEENS1_30default_config_static_selectorELNS0_4arch9wavefront6targetE0EEEvSY_.num_named_barrier, 0
	.set _ZN7rocprim17ROCPRIM_400000_NS6detail17trampoline_kernelINS0_13select_configILj256ELj13ELNS0_17block_load_methodE3ELS4_3ELS4_3ELNS0_20block_scan_algorithmE0ELj4294967295EEENS1_25partition_config_selectorILNS1_17partition_subalgoE3EjNS0_10empty_typeEbEEZZNS1_14partition_implILS8_3ELb0ES6_jNS0_17counting_iteratorIjlEEPS9_SE_NS0_5tupleIJPjSE_EEENSF_IJSE_SE_EEES9_SG_JZNS1_25segmented_radix_sort_implINS0_14default_configELb0EPKdPdPKlPlN2at6native12_GLOBAL__N_18offset_tEEE10hipError_tPvRmT1_PNSt15iterator_traitsISY_E10value_typeET2_T3_PNSZ_IS14_E10value_typeET4_jRbjT5_S1A_jjP12ihipStream_tbEUljE_EEESV_SW_SX_S14_S18_S1A_T6_T7_T9_mT8_S1C_bDpT10_ENKUlT_T0_E_clISt17integral_constantIbLb0EES1O_IbLb1EEEEDaS1K_S1L_EUlS1K_E_NS1_11comp_targetILNS1_3genE3ELNS1_11target_archE908ELNS1_3gpuE7ELNS1_3repE0EEENS1_30default_config_static_selectorELNS0_4arch9wavefront6targetE0EEEvSY_.private_seg_size, 0
	.set _ZN7rocprim17ROCPRIM_400000_NS6detail17trampoline_kernelINS0_13select_configILj256ELj13ELNS0_17block_load_methodE3ELS4_3ELS4_3ELNS0_20block_scan_algorithmE0ELj4294967295EEENS1_25partition_config_selectorILNS1_17partition_subalgoE3EjNS0_10empty_typeEbEEZZNS1_14partition_implILS8_3ELb0ES6_jNS0_17counting_iteratorIjlEEPS9_SE_NS0_5tupleIJPjSE_EEENSF_IJSE_SE_EEES9_SG_JZNS1_25segmented_radix_sort_implINS0_14default_configELb0EPKdPdPKlPlN2at6native12_GLOBAL__N_18offset_tEEE10hipError_tPvRmT1_PNSt15iterator_traitsISY_E10value_typeET2_T3_PNSZ_IS14_E10value_typeET4_jRbjT5_S1A_jjP12ihipStream_tbEUljE_EEESV_SW_SX_S14_S18_S1A_T6_T7_T9_mT8_S1C_bDpT10_ENKUlT_T0_E_clISt17integral_constantIbLb0EES1O_IbLb1EEEEDaS1K_S1L_EUlS1K_E_NS1_11comp_targetILNS1_3genE3ELNS1_11target_archE908ELNS1_3gpuE7ELNS1_3repE0EEENS1_30default_config_static_selectorELNS0_4arch9wavefront6targetE0EEEvSY_.uses_vcc, 0
	.set _ZN7rocprim17ROCPRIM_400000_NS6detail17trampoline_kernelINS0_13select_configILj256ELj13ELNS0_17block_load_methodE3ELS4_3ELS4_3ELNS0_20block_scan_algorithmE0ELj4294967295EEENS1_25partition_config_selectorILNS1_17partition_subalgoE3EjNS0_10empty_typeEbEEZZNS1_14partition_implILS8_3ELb0ES6_jNS0_17counting_iteratorIjlEEPS9_SE_NS0_5tupleIJPjSE_EEENSF_IJSE_SE_EEES9_SG_JZNS1_25segmented_radix_sort_implINS0_14default_configELb0EPKdPdPKlPlN2at6native12_GLOBAL__N_18offset_tEEE10hipError_tPvRmT1_PNSt15iterator_traitsISY_E10value_typeET2_T3_PNSZ_IS14_E10value_typeET4_jRbjT5_S1A_jjP12ihipStream_tbEUljE_EEESV_SW_SX_S14_S18_S1A_T6_T7_T9_mT8_S1C_bDpT10_ENKUlT_T0_E_clISt17integral_constantIbLb0EES1O_IbLb1EEEEDaS1K_S1L_EUlS1K_E_NS1_11comp_targetILNS1_3genE3ELNS1_11target_archE908ELNS1_3gpuE7ELNS1_3repE0EEENS1_30default_config_static_selectorELNS0_4arch9wavefront6targetE0EEEvSY_.uses_flat_scratch, 0
	.set _ZN7rocprim17ROCPRIM_400000_NS6detail17trampoline_kernelINS0_13select_configILj256ELj13ELNS0_17block_load_methodE3ELS4_3ELS4_3ELNS0_20block_scan_algorithmE0ELj4294967295EEENS1_25partition_config_selectorILNS1_17partition_subalgoE3EjNS0_10empty_typeEbEEZZNS1_14partition_implILS8_3ELb0ES6_jNS0_17counting_iteratorIjlEEPS9_SE_NS0_5tupleIJPjSE_EEENSF_IJSE_SE_EEES9_SG_JZNS1_25segmented_radix_sort_implINS0_14default_configELb0EPKdPdPKlPlN2at6native12_GLOBAL__N_18offset_tEEE10hipError_tPvRmT1_PNSt15iterator_traitsISY_E10value_typeET2_T3_PNSZ_IS14_E10value_typeET4_jRbjT5_S1A_jjP12ihipStream_tbEUljE_EEESV_SW_SX_S14_S18_S1A_T6_T7_T9_mT8_S1C_bDpT10_ENKUlT_T0_E_clISt17integral_constantIbLb0EES1O_IbLb1EEEEDaS1K_S1L_EUlS1K_E_NS1_11comp_targetILNS1_3genE3ELNS1_11target_archE908ELNS1_3gpuE7ELNS1_3repE0EEENS1_30default_config_static_selectorELNS0_4arch9wavefront6targetE0EEEvSY_.has_dyn_sized_stack, 0
	.set _ZN7rocprim17ROCPRIM_400000_NS6detail17trampoline_kernelINS0_13select_configILj256ELj13ELNS0_17block_load_methodE3ELS4_3ELS4_3ELNS0_20block_scan_algorithmE0ELj4294967295EEENS1_25partition_config_selectorILNS1_17partition_subalgoE3EjNS0_10empty_typeEbEEZZNS1_14partition_implILS8_3ELb0ES6_jNS0_17counting_iteratorIjlEEPS9_SE_NS0_5tupleIJPjSE_EEENSF_IJSE_SE_EEES9_SG_JZNS1_25segmented_radix_sort_implINS0_14default_configELb0EPKdPdPKlPlN2at6native12_GLOBAL__N_18offset_tEEE10hipError_tPvRmT1_PNSt15iterator_traitsISY_E10value_typeET2_T3_PNSZ_IS14_E10value_typeET4_jRbjT5_S1A_jjP12ihipStream_tbEUljE_EEESV_SW_SX_S14_S18_S1A_T6_T7_T9_mT8_S1C_bDpT10_ENKUlT_T0_E_clISt17integral_constantIbLb0EES1O_IbLb1EEEEDaS1K_S1L_EUlS1K_E_NS1_11comp_targetILNS1_3genE3ELNS1_11target_archE908ELNS1_3gpuE7ELNS1_3repE0EEENS1_30default_config_static_selectorELNS0_4arch9wavefront6targetE0EEEvSY_.has_recursion, 0
	.set _ZN7rocprim17ROCPRIM_400000_NS6detail17trampoline_kernelINS0_13select_configILj256ELj13ELNS0_17block_load_methodE3ELS4_3ELS4_3ELNS0_20block_scan_algorithmE0ELj4294967295EEENS1_25partition_config_selectorILNS1_17partition_subalgoE3EjNS0_10empty_typeEbEEZZNS1_14partition_implILS8_3ELb0ES6_jNS0_17counting_iteratorIjlEEPS9_SE_NS0_5tupleIJPjSE_EEENSF_IJSE_SE_EEES9_SG_JZNS1_25segmented_radix_sort_implINS0_14default_configELb0EPKdPdPKlPlN2at6native12_GLOBAL__N_18offset_tEEE10hipError_tPvRmT1_PNSt15iterator_traitsISY_E10value_typeET2_T3_PNSZ_IS14_E10value_typeET4_jRbjT5_S1A_jjP12ihipStream_tbEUljE_EEESV_SW_SX_S14_S18_S1A_T6_T7_T9_mT8_S1C_bDpT10_ENKUlT_T0_E_clISt17integral_constantIbLb0EES1O_IbLb1EEEEDaS1K_S1L_EUlS1K_E_NS1_11comp_targetILNS1_3genE3ELNS1_11target_archE908ELNS1_3gpuE7ELNS1_3repE0EEENS1_30default_config_static_selectorELNS0_4arch9wavefront6targetE0EEEvSY_.has_indirect_call, 0
	.section	.AMDGPU.csdata,"",@progbits
; Kernel info:
; codeLenInByte = 0
; TotalNumSgprs: 0
; NumVgprs: 0
; ScratchSize: 0
; MemoryBound: 0
; FloatMode: 240
; IeeeMode: 1
; LDSByteSize: 0 bytes/workgroup (compile time only)
; SGPRBlocks: 0
; VGPRBlocks: 0
; NumSGPRsForWavesPerEU: 1
; NumVGPRsForWavesPerEU: 1
; NamedBarCnt: 0
; Occupancy: 16
; WaveLimiterHint : 0
; COMPUTE_PGM_RSRC2:SCRATCH_EN: 0
; COMPUTE_PGM_RSRC2:USER_SGPR: 2
; COMPUTE_PGM_RSRC2:TRAP_HANDLER: 0
; COMPUTE_PGM_RSRC2:TGID_X_EN: 1
; COMPUTE_PGM_RSRC2:TGID_Y_EN: 0
; COMPUTE_PGM_RSRC2:TGID_Z_EN: 0
; COMPUTE_PGM_RSRC2:TIDIG_COMP_CNT: 0
	.section	.text._ZN7rocprim17ROCPRIM_400000_NS6detail17trampoline_kernelINS0_13select_configILj256ELj13ELNS0_17block_load_methodE3ELS4_3ELS4_3ELNS0_20block_scan_algorithmE0ELj4294967295EEENS1_25partition_config_selectorILNS1_17partition_subalgoE3EjNS0_10empty_typeEbEEZZNS1_14partition_implILS8_3ELb0ES6_jNS0_17counting_iteratorIjlEEPS9_SE_NS0_5tupleIJPjSE_EEENSF_IJSE_SE_EEES9_SG_JZNS1_25segmented_radix_sort_implINS0_14default_configELb0EPKdPdPKlPlN2at6native12_GLOBAL__N_18offset_tEEE10hipError_tPvRmT1_PNSt15iterator_traitsISY_E10value_typeET2_T3_PNSZ_IS14_E10value_typeET4_jRbjT5_S1A_jjP12ihipStream_tbEUljE_EEESV_SW_SX_S14_S18_S1A_T6_T7_T9_mT8_S1C_bDpT10_ENKUlT_T0_E_clISt17integral_constantIbLb0EES1O_IbLb1EEEEDaS1K_S1L_EUlS1K_E_NS1_11comp_targetILNS1_3genE2ELNS1_11target_archE906ELNS1_3gpuE6ELNS1_3repE0EEENS1_30default_config_static_selectorELNS0_4arch9wavefront6targetE0EEEvSY_,"axG",@progbits,_ZN7rocprim17ROCPRIM_400000_NS6detail17trampoline_kernelINS0_13select_configILj256ELj13ELNS0_17block_load_methodE3ELS4_3ELS4_3ELNS0_20block_scan_algorithmE0ELj4294967295EEENS1_25partition_config_selectorILNS1_17partition_subalgoE3EjNS0_10empty_typeEbEEZZNS1_14partition_implILS8_3ELb0ES6_jNS0_17counting_iteratorIjlEEPS9_SE_NS0_5tupleIJPjSE_EEENSF_IJSE_SE_EEES9_SG_JZNS1_25segmented_radix_sort_implINS0_14default_configELb0EPKdPdPKlPlN2at6native12_GLOBAL__N_18offset_tEEE10hipError_tPvRmT1_PNSt15iterator_traitsISY_E10value_typeET2_T3_PNSZ_IS14_E10value_typeET4_jRbjT5_S1A_jjP12ihipStream_tbEUljE_EEESV_SW_SX_S14_S18_S1A_T6_T7_T9_mT8_S1C_bDpT10_ENKUlT_T0_E_clISt17integral_constantIbLb0EES1O_IbLb1EEEEDaS1K_S1L_EUlS1K_E_NS1_11comp_targetILNS1_3genE2ELNS1_11target_archE906ELNS1_3gpuE6ELNS1_3repE0EEENS1_30default_config_static_selectorELNS0_4arch9wavefront6targetE0EEEvSY_,comdat
	.globl	_ZN7rocprim17ROCPRIM_400000_NS6detail17trampoline_kernelINS0_13select_configILj256ELj13ELNS0_17block_load_methodE3ELS4_3ELS4_3ELNS0_20block_scan_algorithmE0ELj4294967295EEENS1_25partition_config_selectorILNS1_17partition_subalgoE3EjNS0_10empty_typeEbEEZZNS1_14partition_implILS8_3ELb0ES6_jNS0_17counting_iteratorIjlEEPS9_SE_NS0_5tupleIJPjSE_EEENSF_IJSE_SE_EEES9_SG_JZNS1_25segmented_radix_sort_implINS0_14default_configELb0EPKdPdPKlPlN2at6native12_GLOBAL__N_18offset_tEEE10hipError_tPvRmT1_PNSt15iterator_traitsISY_E10value_typeET2_T3_PNSZ_IS14_E10value_typeET4_jRbjT5_S1A_jjP12ihipStream_tbEUljE_EEESV_SW_SX_S14_S18_S1A_T6_T7_T9_mT8_S1C_bDpT10_ENKUlT_T0_E_clISt17integral_constantIbLb0EES1O_IbLb1EEEEDaS1K_S1L_EUlS1K_E_NS1_11comp_targetILNS1_3genE2ELNS1_11target_archE906ELNS1_3gpuE6ELNS1_3repE0EEENS1_30default_config_static_selectorELNS0_4arch9wavefront6targetE0EEEvSY_ ; -- Begin function _ZN7rocprim17ROCPRIM_400000_NS6detail17trampoline_kernelINS0_13select_configILj256ELj13ELNS0_17block_load_methodE3ELS4_3ELS4_3ELNS0_20block_scan_algorithmE0ELj4294967295EEENS1_25partition_config_selectorILNS1_17partition_subalgoE3EjNS0_10empty_typeEbEEZZNS1_14partition_implILS8_3ELb0ES6_jNS0_17counting_iteratorIjlEEPS9_SE_NS0_5tupleIJPjSE_EEENSF_IJSE_SE_EEES9_SG_JZNS1_25segmented_radix_sort_implINS0_14default_configELb0EPKdPdPKlPlN2at6native12_GLOBAL__N_18offset_tEEE10hipError_tPvRmT1_PNSt15iterator_traitsISY_E10value_typeET2_T3_PNSZ_IS14_E10value_typeET4_jRbjT5_S1A_jjP12ihipStream_tbEUljE_EEESV_SW_SX_S14_S18_S1A_T6_T7_T9_mT8_S1C_bDpT10_ENKUlT_T0_E_clISt17integral_constantIbLb0EES1O_IbLb1EEEEDaS1K_S1L_EUlS1K_E_NS1_11comp_targetILNS1_3genE2ELNS1_11target_archE906ELNS1_3gpuE6ELNS1_3repE0EEENS1_30default_config_static_selectorELNS0_4arch9wavefront6targetE0EEEvSY_
	.p2align	8
	.type	_ZN7rocprim17ROCPRIM_400000_NS6detail17trampoline_kernelINS0_13select_configILj256ELj13ELNS0_17block_load_methodE3ELS4_3ELS4_3ELNS0_20block_scan_algorithmE0ELj4294967295EEENS1_25partition_config_selectorILNS1_17partition_subalgoE3EjNS0_10empty_typeEbEEZZNS1_14partition_implILS8_3ELb0ES6_jNS0_17counting_iteratorIjlEEPS9_SE_NS0_5tupleIJPjSE_EEENSF_IJSE_SE_EEES9_SG_JZNS1_25segmented_radix_sort_implINS0_14default_configELb0EPKdPdPKlPlN2at6native12_GLOBAL__N_18offset_tEEE10hipError_tPvRmT1_PNSt15iterator_traitsISY_E10value_typeET2_T3_PNSZ_IS14_E10value_typeET4_jRbjT5_S1A_jjP12ihipStream_tbEUljE_EEESV_SW_SX_S14_S18_S1A_T6_T7_T9_mT8_S1C_bDpT10_ENKUlT_T0_E_clISt17integral_constantIbLb0EES1O_IbLb1EEEEDaS1K_S1L_EUlS1K_E_NS1_11comp_targetILNS1_3genE2ELNS1_11target_archE906ELNS1_3gpuE6ELNS1_3repE0EEENS1_30default_config_static_selectorELNS0_4arch9wavefront6targetE0EEEvSY_,@function
_ZN7rocprim17ROCPRIM_400000_NS6detail17trampoline_kernelINS0_13select_configILj256ELj13ELNS0_17block_load_methodE3ELS4_3ELS4_3ELNS0_20block_scan_algorithmE0ELj4294967295EEENS1_25partition_config_selectorILNS1_17partition_subalgoE3EjNS0_10empty_typeEbEEZZNS1_14partition_implILS8_3ELb0ES6_jNS0_17counting_iteratorIjlEEPS9_SE_NS0_5tupleIJPjSE_EEENSF_IJSE_SE_EEES9_SG_JZNS1_25segmented_radix_sort_implINS0_14default_configELb0EPKdPdPKlPlN2at6native12_GLOBAL__N_18offset_tEEE10hipError_tPvRmT1_PNSt15iterator_traitsISY_E10value_typeET2_T3_PNSZ_IS14_E10value_typeET4_jRbjT5_S1A_jjP12ihipStream_tbEUljE_EEESV_SW_SX_S14_S18_S1A_T6_T7_T9_mT8_S1C_bDpT10_ENKUlT_T0_E_clISt17integral_constantIbLb0EES1O_IbLb1EEEEDaS1K_S1L_EUlS1K_E_NS1_11comp_targetILNS1_3genE2ELNS1_11target_archE906ELNS1_3gpuE6ELNS1_3repE0EEENS1_30default_config_static_selectorELNS0_4arch9wavefront6targetE0EEEvSY_: ; @_ZN7rocprim17ROCPRIM_400000_NS6detail17trampoline_kernelINS0_13select_configILj256ELj13ELNS0_17block_load_methodE3ELS4_3ELS4_3ELNS0_20block_scan_algorithmE0ELj4294967295EEENS1_25partition_config_selectorILNS1_17partition_subalgoE3EjNS0_10empty_typeEbEEZZNS1_14partition_implILS8_3ELb0ES6_jNS0_17counting_iteratorIjlEEPS9_SE_NS0_5tupleIJPjSE_EEENSF_IJSE_SE_EEES9_SG_JZNS1_25segmented_radix_sort_implINS0_14default_configELb0EPKdPdPKlPlN2at6native12_GLOBAL__N_18offset_tEEE10hipError_tPvRmT1_PNSt15iterator_traitsISY_E10value_typeET2_T3_PNSZ_IS14_E10value_typeET4_jRbjT5_S1A_jjP12ihipStream_tbEUljE_EEESV_SW_SX_S14_S18_S1A_T6_T7_T9_mT8_S1C_bDpT10_ENKUlT_T0_E_clISt17integral_constantIbLb0EES1O_IbLb1EEEEDaS1K_S1L_EUlS1K_E_NS1_11comp_targetILNS1_3genE2ELNS1_11target_archE906ELNS1_3gpuE6ELNS1_3repE0EEENS1_30default_config_static_selectorELNS0_4arch9wavefront6targetE0EEEvSY_
; %bb.0:
	.section	.rodata,"a",@progbits
	.p2align	6, 0x0
	.amdhsa_kernel _ZN7rocprim17ROCPRIM_400000_NS6detail17trampoline_kernelINS0_13select_configILj256ELj13ELNS0_17block_load_methodE3ELS4_3ELS4_3ELNS0_20block_scan_algorithmE0ELj4294967295EEENS1_25partition_config_selectorILNS1_17partition_subalgoE3EjNS0_10empty_typeEbEEZZNS1_14partition_implILS8_3ELb0ES6_jNS0_17counting_iteratorIjlEEPS9_SE_NS0_5tupleIJPjSE_EEENSF_IJSE_SE_EEES9_SG_JZNS1_25segmented_radix_sort_implINS0_14default_configELb0EPKdPdPKlPlN2at6native12_GLOBAL__N_18offset_tEEE10hipError_tPvRmT1_PNSt15iterator_traitsISY_E10value_typeET2_T3_PNSZ_IS14_E10value_typeET4_jRbjT5_S1A_jjP12ihipStream_tbEUljE_EEESV_SW_SX_S14_S18_S1A_T6_T7_T9_mT8_S1C_bDpT10_ENKUlT_T0_E_clISt17integral_constantIbLb0EES1O_IbLb1EEEEDaS1K_S1L_EUlS1K_E_NS1_11comp_targetILNS1_3genE2ELNS1_11target_archE906ELNS1_3gpuE6ELNS1_3repE0EEENS1_30default_config_static_selectorELNS0_4arch9wavefront6targetE0EEEvSY_
		.amdhsa_group_segment_fixed_size 0
		.amdhsa_private_segment_fixed_size 0
		.amdhsa_kernarg_size 152
		.amdhsa_user_sgpr_count 2
		.amdhsa_user_sgpr_dispatch_ptr 0
		.amdhsa_user_sgpr_queue_ptr 0
		.amdhsa_user_sgpr_kernarg_segment_ptr 1
		.amdhsa_user_sgpr_dispatch_id 0
		.amdhsa_user_sgpr_kernarg_preload_length 0
		.amdhsa_user_sgpr_kernarg_preload_offset 0
		.amdhsa_user_sgpr_private_segment_size 0
		.amdhsa_wavefront_size32 1
		.amdhsa_uses_dynamic_stack 0
		.amdhsa_enable_private_segment 0
		.amdhsa_system_sgpr_workgroup_id_x 1
		.amdhsa_system_sgpr_workgroup_id_y 0
		.amdhsa_system_sgpr_workgroup_id_z 0
		.amdhsa_system_sgpr_workgroup_info 0
		.amdhsa_system_vgpr_workitem_id 0
		.amdhsa_next_free_vgpr 1
		.amdhsa_next_free_sgpr 1
		.amdhsa_named_barrier_count 0
		.amdhsa_reserve_vcc 0
		.amdhsa_float_round_mode_32 0
		.amdhsa_float_round_mode_16_64 0
		.amdhsa_float_denorm_mode_32 3
		.amdhsa_float_denorm_mode_16_64 3
		.amdhsa_fp16_overflow 0
		.amdhsa_memory_ordered 1
		.amdhsa_forward_progress 1
		.amdhsa_inst_pref_size 0
		.amdhsa_round_robin_scheduling 0
		.amdhsa_exception_fp_ieee_invalid_op 0
		.amdhsa_exception_fp_denorm_src 0
		.amdhsa_exception_fp_ieee_div_zero 0
		.amdhsa_exception_fp_ieee_overflow 0
		.amdhsa_exception_fp_ieee_underflow 0
		.amdhsa_exception_fp_ieee_inexact 0
		.amdhsa_exception_int_div_zero 0
	.end_amdhsa_kernel
	.section	.text._ZN7rocprim17ROCPRIM_400000_NS6detail17trampoline_kernelINS0_13select_configILj256ELj13ELNS0_17block_load_methodE3ELS4_3ELS4_3ELNS0_20block_scan_algorithmE0ELj4294967295EEENS1_25partition_config_selectorILNS1_17partition_subalgoE3EjNS0_10empty_typeEbEEZZNS1_14partition_implILS8_3ELb0ES6_jNS0_17counting_iteratorIjlEEPS9_SE_NS0_5tupleIJPjSE_EEENSF_IJSE_SE_EEES9_SG_JZNS1_25segmented_radix_sort_implINS0_14default_configELb0EPKdPdPKlPlN2at6native12_GLOBAL__N_18offset_tEEE10hipError_tPvRmT1_PNSt15iterator_traitsISY_E10value_typeET2_T3_PNSZ_IS14_E10value_typeET4_jRbjT5_S1A_jjP12ihipStream_tbEUljE_EEESV_SW_SX_S14_S18_S1A_T6_T7_T9_mT8_S1C_bDpT10_ENKUlT_T0_E_clISt17integral_constantIbLb0EES1O_IbLb1EEEEDaS1K_S1L_EUlS1K_E_NS1_11comp_targetILNS1_3genE2ELNS1_11target_archE906ELNS1_3gpuE6ELNS1_3repE0EEENS1_30default_config_static_selectorELNS0_4arch9wavefront6targetE0EEEvSY_,"axG",@progbits,_ZN7rocprim17ROCPRIM_400000_NS6detail17trampoline_kernelINS0_13select_configILj256ELj13ELNS0_17block_load_methodE3ELS4_3ELS4_3ELNS0_20block_scan_algorithmE0ELj4294967295EEENS1_25partition_config_selectorILNS1_17partition_subalgoE3EjNS0_10empty_typeEbEEZZNS1_14partition_implILS8_3ELb0ES6_jNS0_17counting_iteratorIjlEEPS9_SE_NS0_5tupleIJPjSE_EEENSF_IJSE_SE_EEES9_SG_JZNS1_25segmented_radix_sort_implINS0_14default_configELb0EPKdPdPKlPlN2at6native12_GLOBAL__N_18offset_tEEE10hipError_tPvRmT1_PNSt15iterator_traitsISY_E10value_typeET2_T3_PNSZ_IS14_E10value_typeET4_jRbjT5_S1A_jjP12ihipStream_tbEUljE_EEESV_SW_SX_S14_S18_S1A_T6_T7_T9_mT8_S1C_bDpT10_ENKUlT_T0_E_clISt17integral_constantIbLb0EES1O_IbLb1EEEEDaS1K_S1L_EUlS1K_E_NS1_11comp_targetILNS1_3genE2ELNS1_11target_archE906ELNS1_3gpuE6ELNS1_3repE0EEENS1_30default_config_static_selectorELNS0_4arch9wavefront6targetE0EEEvSY_,comdat
.Lfunc_end1211:
	.size	_ZN7rocprim17ROCPRIM_400000_NS6detail17trampoline_kernelINS0_13select_configILj256ELj13ELNS0_17block_load_methodE3ELS4_3ELS4_3ELNS0_20block_scan_algorithmE0ELj4294967295EEENS1_25partition_config_selectorILNS1_17partition_subalgoE3EjNS0_10empty_typeEbEEZZNS1_14partition_implILS8_3ELb0ES6_jNS0_17counting_iteratorIjlEEPS9_SE_NS0_5tupleIJPjSE_EEENSF_IJSE_SE_EEES9_SG_JZNS1_25segmented_radix_sort_implINS0_14default_configELb0EPKdPdPKlPlN2at6native12_GLOBAL__N_18offset_tEEE10hipError_tPvRmT1_PNSt15iterator_traitsISY_E10value_typeET2_T3_PNSZ_IS14_E10value_typeET4_jRbjT5_S1A_jjP12ihipStream_tbEUljE_EEESV_SW_SX_S14_S18_S1A_T6_T7_T9_mT8_S1C_bDpT10_ENKUlT_T0_E_clISt17integral_constantIbLb0EES1O_IbLb1EEEEDaS1K_S1L_EUlS1K_E_NS1_11comp_targetILNS1_3genE2ELNS1_11target_archE906ELNS1_3gpuE6ELNS1_3repE0EEENS1_30default_config_static_selectorELNS0_4arch9wavefront6targetE0EEEvSY_, .Lfunc_end1211-_ZN7rocprim17ROCPRIM_400000_NS6detail17trampoline_kernelINS0_13select_configILj256ELj13ELNS0_17block_load_methodE3ELS4_3ELS4_3ELNS0_20block_scan_algorithmE0ELj4294967295EEENS1_25partition_config_selectorILNS1_17partition_subalgoE3EjNS0_10empty_typeEbEEZZNS1_14partition_implILS8_3ELb0ES6_jNS0_17counting_iteratorIjlEEPS9_SE_NS0_5tupleIJPjSE_EEENSF_IJSE_SE_EEES9_SG_JZNS1_25segmented_radix_sort_implINS0_14default_configELb0EPKdPdPKlPlN2at6native12_GLOBAL__N_18offset_tEEE10hipError_tPvRmT1_PNSt15iterator_traitsISY_E10value_typeET2_T3_PNSZ_IS14_E10value_typeET4_jRbjT5_S1A_jjP12ihipStream_tbEUljE_EEESV_SW_SX_S14_S18_S1A_T6_T7_T9_mT8_S1C_bDpT10_ENKUlT_T0_E_clISt17integral_constantIbLb0EES1O_IbLb1EEEEDaS1K_S1L_EUlS1K_E_NS1_11comp_targetILNS1_3genE2ELNS1_11target_archE906ELNS1_3gpuE6ELNS1_3repE0EEENS1_30default_config_static_selectorELNS0_4arch9wavefront6targetE0EEEvSY_
                                        ; -- End function
	.set _ZN7rocprim17ROCPRIM_400000_NS6detail17trampoline_kernelINS0_13select_configILj256ELj13ELNS0_17block_load_methodE3ELS4_3ELS4_3ELNS0_20block_scan_algorithmE0ELj4294967295EEENS1_25partition_config_selectorILNS1_17partition_subalgoE3EjNS0_10empty_typeEbEEZZNS1_14partition_implILS8_3ELb0ES6_jNS0_17counting_iteratorIjlEEPS9_SE_NS0_5tupleIJPjSE_EEENSF_IJSE_SE_EEES9_SG_JZNS1_25segmented_radix_sort_implINS0_14default_configELb0EPKdPdPKlPlN2at6native12_GLOBAL__N_18offset_tEEE10hipError_tPvRmT1_PNSt15iterator_traitsISY_E10value_typeET2_T3_PNSZ_IS14_E10value_typeET4_jRbjT5_S1A_jjP12ihipStream_tbEUljE_EEESV_SW_SX_S14_S18_S1A_T6_T7_T9_mT8_S1C_bDpT10_ENKUlT_T0_E_clISt17integral_constantIbLb0EES1O_IbLb1EEEEDaS1K_S1L_EUlS1K_E_NS1_11comp_targetILNS1_3genE2ELNS1_11target_archE906ELNS1_3gpuE6ELNS1_3repE0EEENS1_30default_config_static_selectorELNS0_4arch9wavefront6targetE0EEEvSY_.num_vgpr, 0
	.set _ZN7rocprim17ROCPRIM_400000_NS6detail17trampoline_kernelINS0_13select_configILj256ELj13ELNS0_17block_load_methodE3ELS4_3ELS4_3ELNS0_20block_scan_algorithmE0ELj4294967295EEENS1_25partition_config_selectorILNS1_17partition_subalgoE3EjNS0_10empty_typeEbEEZZNS1_14partition_implILS8_3ELb0ES6_jNS0_17counting_iteratorIjlEEPS9_SE_NS0_5tupleIJPjSE_EEENSF_IJSE_SE_EEES9_SG_JZNS1_25segmented_radix_sort_implINS0_14default_configELb0EPKdPdPKlPlN2at6native12_GLOBAL__N_18offset_tEEE10hipError_tPvRmT1_PNSt15iterator_traitsISY_E10value_typeET2_T3_PNSZ_IS14_E10value_typeET4_jRbjT5_S1A_jjP12ihipStream_tbEUljE_EEESV_SW_SX_S14_S18_S1A_T6_T7_T9_mT8_S1C_bDpT10_ENKUlT_T0_E_clISt17integral_constantIbLb0EES1O_IbLb1EEEEDaS1K_S1L_EUlS1K_E_NS1_11comp_targetILNS1_3genE2ELNS1_11target_archE906ELNS1_3gpuE6ELNS1_3repE0EEENS1_30default_config_static_selectorELNS0_4arch9wavefront6targetE0EEEvSY_.num_agpr, 0
	.set _ZN7rocprim17ROCPRIM_400000_NS6detail17trampoline_kernelINS0_13select_configILj256ELj13ELNS0_17block_load_methodE3ELS4_3ELS4_3ELNS0_20block_scan_algorithmE0ELj4294967295EEENS1_25partition_config_selectorILNS1_17partition_subalgoE3EjNS0_10empty_typeEbEEZZNS1_14partition_implILS8_3ELb0ES6_jNS0_17counting_iteratorIjlEEPS9_SE_NS0_5tupleIJPjSE_EEENSF_IJSE_SE_EEES9_SG_JZNS1_25segmented_radix_sort_implINS0_14default_configELb0EPKdPdPKlPlN2at6native12_GLOBAL__N_18offset_tEEE10hipError_tPvRmT1_PNSt15iterator_traitsISY_E10value_typeET2_T3_PNSZ_IS14_E10value_typeET4_jRbjT5_S1A_jjP12ihipStream_tbEUljE_EEESV_SW_SX_S14_S18_S1A_T6_T7_T9_mT8_S1C_bDpT10_ENKUlT_T0_E_clISt17integral_constantIbLb0EES1O_IbLb1EEEEDaS1K_S1L_EUlS1K_E_NS1_11comp_targetILNS1_3genE2ELNS1_11target_archE906ELNS1_3gpuE6ELNS1_3repE0EEENS1_30default_config_static_selectorELNS0_4arch9wavefront6targetE0EEEvSY_.numbered_sgpr, 0
	.set _ZN7rocprim17ROCPRIM_400000_NS6detail17trampoline_kernelINS0_13select_configILj256ELj13ELNS0_17block_load_methodE3ELS4_3ELS4_3ELNS0_20block_scan_algorithmE0ELj4294967295EEENS1_25partition_config_selectorILNS1_17partition_subalgoE3EjNS0_10empty_typeEbEEZZNS1_14partition_implILS8_3ELb0ES6_jNS0_17counting_iteratorIjlEEPS9_SE_NS0_5tupleIJPjSE_EEENSF_IJSE_SE_EEES9_SG_JZNS1_25segmented_radix_sort_implINS0_14default_configELb0EPKdPdPKlPlN2at6native12_GLOBAL__N_18offset_tEEE10hipError_tPvRmT1_PNSt15iterator_traitsISY_E10value_typeET2_T3_PNSZ_IS14_E10value_typeET4_jRbjT5_S1A_jjP12ihipStream_tbEUljE_EEESV_SW_SX_S14_S18_S1A_T6_T7_T9_mT8_S1C_bDpT10_ENKUlT_T0_E_clISt17integral_constantIbLb0EES1O_IbLb1EEEEDaS1K_S1L_EUlS1K_E_NS1_11comp_targetILNS1_3genE2ELNS1_11target_archE906ELNS1_3gpuE6ELNS1_3repE0EEENS1_30default_config_static_selectorELNS0_4arch9wavefront6targetE0EEEvSY_.num_named_barrier, 0
	.set _ZN7rocprim17ROCPRIM_400000_NS6detail17trampoline_kernelINS0_13select_configILj256ELj13ELNS0_17block_load_methodE3ELS4_3ELS4_3ELNS0_20block_scan_algorithmE0ELj4294967295EEENS1_25partition_config_selectorILNS1_17partition_subalgoE3EjNS0_10empty_typeEbEEZZNS1_14partition_implILS8_3ELb0ES6_jNS0_17counting_iteratorIjlEEPS9_SE_NS0_5tupleIJPjSE_EEENSF_IJSE_SE_EEES9_SG_JZNS1_25segmented_radix_sort_implINS0_14default_configELb0EPKdPdPKlPlN2at6native12_GLOBAL__N_18offset_tEEE10hipError_tPvRmT1_PNSt15iterator_traitsISY_E10value_typeET2_T3_PNSZ_IS14_E10value_typeET4_jRbjT5_S1A_jjP12ihipStream_tbEUljE_EEESV_SW_SX_S14_S18_S1A_T6_T7_T9_mT8_S1C_bDpT10_ENKUlT_T0_E_clISt17integral_constantIbLb0EES1O_IbLb1EEEEDaS1K_S1L_EUlS1K_E_NS1_11comp_targetILNS1_3genE2ELNS1_11target_archE906ELNS1_3gpuE6ELNS1_3repE0EEENS1_30default_config_static_selectorELNS0_4arch9wavefront6targetE0EEEvSY_.private_seg_size, 0
	.set _ZN7rocprim17ROCPRIM_400000_NS6detail17trampoline_kernelINS0_13select_configILj256ELj13ELNS0_17block_load_methodE3ELS4_3ELS4_3ELNS0_20block_scan_algorithmE0ELj4294967295EEENS1_25partition_config_selectorILNS1_17partition_subalgoE3EjNS0_10empty_typeEbEEZZNS1_14partition_implILS8_3ELb0ES6_jNS0_17counting_iteratorIjlEEPS9_SE_NS0_5tupleIJPjSE_EEENSF_IJSE_SE_EEES9_SG_JZNS1_25segmented_radix_sort_implINS0_14default_configELb0EPKdPdPKlPlN2at6native12_GLOBAL__N_18offset_tEEE10hipError_tPvRmT1_PNSt15iterator_traitsISY_E10value_typeET2_T3_PNSZ_IS14_E10value_typeET4_jRbjT5_S1A_jjP12ihipStream_tbEUljE_EEESV_SW_SX_S14_S18_S1A_T6_T7_T9_mT8_S1C_bDpT10_ENKUlT_T0_E_clISt17integral_constantIbLb0EES1O_IbLb1EEEEDaS1K_S1L_EUlS1K_E_NS1_11comp_targetILNS1_3genE2ELNS1_11target_archE906ELNS1_3gpuE6ELNS1_3repE0EEENS1_30default_config_static_selectorELNS0_4arch9wavefront6targetE0EEEvSY_.uses_vcc, 0
	.set _ZN7rocprim17ROCPRIM_400000_NS6detail17trampoline_kernelINS0_13select_configILj256ELj13ELNS0_17block_load_methodE3ELS4_3ELS4_3ELNS0_20block_scan_algorithmE0ELj4294967295EEENS1_25partition_config_selectorILNS1_17partition_subalgoE3EjNS0_10empty_typeEbEEZZNS1_14partition_implILS8_3ELb0ES6_jNS0_17counting_iteratorIjlEEPS9_SE_NS0_5tupleIJPjSE_EEENSF_IJSE_SE_EEES9_SG_JZNS1_25segmented_radix_sort_implINS0_14default_configELb0EPKdPdPKlPlN2at6native12_GLOBAL__N_18offset_tEEE10hipError_tPvRmT1_PNSt15iterator_traitsISY_E10value_typeET2_T3_PNSZ_IS14_E10value_typeET4_jRbjT5_S1A_jjP12ihipStream_tbEUljE_EEESV_SW_SX_S14_S18_S1A_T6_T7_T9_mT8_S1C_bDpT10_ENKUlT_T0_E_clISt17integral_constantIbLb0EES1O_IbLb1EEEEDaS1K_S1L_EUlS1K_E_NS1_11comp_targetILNS1_3genE2ELNS1_11target_archE906ELNS1_3gpuE6ELNS1_3repE0EEENS1_30default_config_static_selectorELNS0_4arch9wavefront6targetE0EEEvSY_.uses_flat_scratch, 0
	.set _ZN7rocprim17ROCPRIM_400000_NS6detail17trampoline_kernelINS0_13select_configILj256ELj13ELNS0_17block_load_methodE3ELS4_3ELS4_3ELNS0_20block_scan_algorithmE0ELj4294967295EEENS1_25partition_config_selectorILNS1_17partition_subalgoE3EjNS0_10empty_typeEbEEZZNS1_14partition_implILS8_3ELb0ES6_jNS0_17counting_iteratorIjlEEPS9_SE_NS0_5tupleIJPjSE_EEENSF_IJSE_SE_EEES9_SG_JZNS1_25segmented_radix_sort_implINS0_14default_configELb0EPKdPdPKlPlN2at6native12_GLOBAL__N_18offset_tEEE10hipError_tPvRmT1_PNSt15iterator_traitsISY_E10value_typeET2_T3_PNSZ_IS14_E10value_typeET4_jRbjT5_S1A_jjP12ihipStream_tbEUljE_EEESV_SW_SX_S14_S18_S1A_T6_T7_T9_mT8_S1C_bDpT10_ENKUlT_T0_E_clISt17integral_constantIbLb0EES1O_IbLb1EEEEDaS1K_S1L_EUlS1K_E_NS1_11comp_targetILNS1_3genE2ELNS1_11target_archE906ELNS1_3gpuE6ELNS1_3repE0EEENS1_30default_config_static_selectorELNS0_4arch9wavefront6targetE0EEEvSY_.has_dyn_sized_stack, 0
	.set _ZN7rocprim17ROCPRIM_400000_NS6detail17trampoline_kernelINS0_13select_configILj256ELj13ELNS0_17block_load_methodE3ELS4_3ELS4_3ELNS0_20block_scan_algorithmE0ELj4294967295EEENS1_25partition_config_selectorILNS1_17partition_subalgoE3EjNS0_10empty_typeEbEEZZNS1_14partition_implILS8_3ELb0ES6_jNS0_17counting_iteratorIjlEEPS9_SE_NS0_5tupleIJPjSE_EEENSF_IJSE_SE_EEES9_SG_JZNS1_25segmented_radix_sort_implINS0_14default_configELb0EPKdPdPKlPlN2at6native12_GLOBAL__N_18offset_tEEE10hipError_tPvRmT1_PNSt15iterator_traitsISY_E10value_typeET2_T3_PNSZ_IS14_E10value_typeET4_jRbjT5_S1A_jjP12ihipStream_tbEUljE_EEESV_SW_SX_S14_S18_S1A_T6_T7_T9_mT8_S1C_bDpT10_ENKUlT_T0_E_clISt17integral_constantIbLb0EES1O_IbLb1EEEEDaS1K_S1L_EUlS1K_E_NS1_11comp_targetILNS1_3genE2ELNS1_11target_archE906ELNS1_3gpuE6ELNS1_3repE0EEENS1_30default_config_static_selectorELNS0_4arch9wavefront6targetE0EEEvSY_.has_recursion, 0
	.set _ZN7rocprim17ROCPRIM_400000_NS6detail17trampoline_kernelINS0_13select_configILj256ELj13ELNS0_17block_load_methodE3ELS4_3ELS4_3ELNS0_20block_scan_algorithmE0ELj4294967295EEENS1_25partition_config_selectorILNS1_17partition_subalgoE3EjNS0_10empty_typeEbEEZZNS1_14partition_implILS8_3ELb0ES6_jNS0_17counting_iteratorIjlEEPS9_SE_NS0_5tupleIJPjSE_EEENSF_IJSE_SE_EEES9_SG_JZNS1_25segmented_radix_sort_implINS0_14default_configELb0EPKdPdPKlPlN2at6native12_GLOBAL__N_18offset_tEEE10hipError_tPvRmT1_PNSt15iterator_traitsISY_E10value_typeET2_T3_PNSZ_IS14_E10value_typeET4_jRbjT5_S1A_jjP12ihipStream_tbEUljE_EEESV_SW_SX_S14_S18_S1A_T6_T7_T9_mT8_S1C_bDpT10_ENKUlT_T0_E_clISt17integral_constantIbLb0EES1O_IbLb1EEEEDaS1K_S1L_EUlS1K_E_NS1_11comp_targetILNS1_3genE2ELNS1_11target_archE906ELNS1_3gpuE6ELNS1_3repE0EEENS1_30default_config_static_selectorELNS0_4arch9wavefront6targetE0EEEvSY_.has_indirect_call, 0
	.section	.AMDGPU.csdata,"",@progbits
; Kernel info:
; codeLenInByte = 0
; TotalNumSgprs: 0
; NumVgprs: 0
; ScratchSize: 0
; MemoryBound: 0
; FloatMode: 240
; IeeeMode: 1
; LDSByteSize: 0 bytes/workgroup (compile time only)
; SGPRBlocks: 0
; VGPRBlocks: 0
; NumSGPRsForWavesPerEU: 1
; NumVGPRsForWavesPerEU: 1
; NamedBarCnt: 0
; Occupancy: 16
; WaveLimiterHint : 0
; COMPUTE_PGM_RSRC2:SCRATCH_EN: 0
; COMPUTE_PGM_RSRC2:USER_SGPR: 2
; COMPUTE_PGM_RSRC2:TRAP_HANDLER: 0
; COMPUTE_PGM_RSRC2:TGID_X_EN: 1
; COMPUTE_PGM_RSRC2:TGID_Y_EN: 0
; COMPUTE_PGM_RSRC2:TGID_Z_EN: 0
; COMPUTE_PGM_RSRC2:TIDIG_COMP_CNT: 0
	.section	.text._ZN7rocprim17ROCPRIM_400000_NS6detail17trampoline_kernelINS0_13select_configILj256ELj13ELNS0_17block_load_methodE3ELS4_3ELS4_3ELNS0_20block_scan_algorithmE0ELj4294967295EEENS1_25partition_config_selectorILNS1_17partition_subalgoE3EjNS0_10empty_typeEbEEZZNS1_14partition_implILS8_3ELb0ES6_jNS0_17counting_iteratorIjlEEPS9_SE_NS0_5tupleIJPjSE_EEENSF_IJSE_SE_EEES9_SG_JZNS1_25segmented_radix_sort_implINS0_14default_configELb0EPKdPdPKlPlN2at6native12_GLOBAL__N_18offset_tEEE10hipError_tPvRmT1_PNSt15iterator_traitsISY_E10value_typeET2_T3_PNSZ_IS14_E10value_typeET4_jRbjT5_S1A_jjP12ihipStream_tbEUljE_EEESV_SW_SX_S14_S18_S1A_T6_T7_T9_mT8_S1C_bDpT10_ENKUlT_T0_E_clISt17integral_constantIbLb0EES1O_IbLb1EEEEDaS1K_S1L_EUlS1K_E_NS1_11comp_targetILNS1_3genE10ELNS1_11target_archE1200ELNS1_3gpuE4ELNS1_3repE0EEENS1_30default_config_static_selectorELNS0_4arch9wavefront6targetE0EEEvSY_,"axG",@progbits,_ZN7rocprim17ROCPRIM_400000_NS6detail17trampoline_kernelINS0_13select_configILj256ELj13ELNS0_17block_load_methodE3ELS4_3ELS4_3ELNS0_20block_scan_algorithmE0ELj4294967295EEENS1_25partition_config_selectorILNS1_17partition_subalgoE3EjNS0_10empty_typeEbEEZZNS1_14partition_implILS8_3ELb0ES6_jNS0_17counting_iteratorIjlEEPS9_SE_NS0_5tupleIJPjSE_EEENSF_IJSE_SE_EEES9_SG_JZNS1_25segmented_radix_sort_implINS0_14default_configELb0EPKdPdPKlPlN2at6native12_GLOBAL__N_18offset_tEEE10hipError_tPvRmT1_PNSt15iterator_traitsISY_E10value_typeET2_T3_PNSZ_IS14_E10value_typeET4_jRbjT5_S1A_jjP12ihipStream_tbEUljE_EEESV_SW_SX_S14_S18_S1A_T6_T7_T9_mT8_S1C_bDpT10_ENKUlT_T0_E_clISt17integral_constantIbLb0EES1O_IbLb1EEEEDaS1K_S1L_EUlS1K_E_NS1_11comp_targetILNS1_3genE10ELNS1_11target_archE1200ELNS1_3gpuE4ELNS1_3repE0EEENS1_30default_config_static_selectorELNS0_4arch9wavefront6targetE0EEEvSY_,comdat
	.globl	_ZN7rocprim17ROCPRIM_400000_NS6detail17trampoline_kernelINS0_13select_configILj256ELj13ELNS0_17block_load_methodE3ELS4_3ELS4_3ELNS0_20block_scan_algorithmE0ELj4294967295EEENS1_25partition_config_selectorILNS1_17partition_subalgoE3EjNS0_10empty_typeEbEEZZNS1_14partition_implILS8_3ELb0ES6_jNS0_17counting_iteratorIjlEEPS9_SE_NS0_5tupleIJPjSE_EEENSF_IJSE_SE_EEES9_SG_JZNS1_25segmented_radix_sort_implINS0_14default_configELb0EPKdPdPKlPlN2at6native12_GLOBAL__N_18offset_tEEE10hipError_tPvRmT1_PNSt15iterator_traitsISY_E10value_typeET2_T3_PNSZ_IS14_E10value_typeET4_jRbjT5_S1A_jjP12ihipStream_tbEUljE_EEESV_SW_SX_S14_S18_S1A_T6_T7_T9_mT8_S1C_bDpT10_ENKUlT_T0_E_clISt17integral_constantIbLb0EES1O_IbLb1EEEEDaS1K_S1L_EUlS1K_E_NS1_11comp_targetILNS1_3genE10ELNS1_11target_archE1200ELNS1_3gpuE4ELNS1_3repE0EEENS1_30default_config_static_selectorELNS0_4arch9wavefront6targetE0EEEvSY_ ; -- Begin function _ZN7rocprim17ROCPRIM_400000_NS6detail17trampoline_kernelINS0_13select_configILj256ELj13ELNS0_17block_load_methodE3ELS4_3ELS4_3ELNS0_20block_scan_algorithmE0ELj4294967295EEENS1_25partition_config_selectorILNS1_17partition_subalgoE3EjNS0_10empty_typeEbEEZZNS1_14partition_implILS8_3ELb0ES6_jNS0_17counting_iteratorIjlEEPS9_SE_NS0_5tupleIJPjSE_EEENSF_IJSE_SE_EEES9_SG_JZNS1_25segmented_radix_sort_implINS0_14default_configELb0EPKdPdPKlPlN2at6native12_GLOBAL__N_18offset_tEEE10hipError_tPvRmT1_PNSt15iterator_traitsISY_E10value_typeET2_T3_PNSZ_IS14_E10value_typeET4_jRbjT5_S1A_jjP12ihipStream_tbEUljE_EEESV_SW_SX_S14_S18_S1A_T6_T7_T9_mT8_S1C_bDpT10_ENKUlT_T0_E_clISt17integral_constantIbLb0EES1O_IbLb1EEEEDaS1K_S1L_EUlS1K_E_NS1_11comp_targetILNS1_3genE10ELNS1_11target_archE1200ELNS1_3gpuE4ELNS1_3repE0EEENS1_30default_config_static_selectorELNS0_4arch9wavefront6targetE0EEEvSY_
	.p2align	8
	.type	_ZN7rocprim17ROCPRIM_400000_NS6detail17trampoline_kernelINS0_13select_configILj256ELj13ELNS0_17block_load_methodE3ELS4_3ELS4_3ELNS0_20block_scan_algorithmE0ELj4294967295EEENS1_25partition_config_selectorILNS1_17partition_subalgoE3EjNS0_10empty_typeEbEEZZNS1_14partition_implILS8_3ELb0ES6_jNS0_17counting_iteratorIjlEEPS9_SE_NS0_5tupleIJPjSE_EEENSF_IJSE_SE_EEES9_SG_JZNS1_25segmented_radix_sort_implINS0_14default_configELb0EPKdPdPKlPlN2at6native12_GLOBAL__N_18offset_tEEE10hipError_tPvRmT1_PNSt15iterator_traitsISY_E10value_typeET2_T3_PNSZ_IS14_E10value_typeET4_jRbjT5_S1A_jjP12ihipStream_tbEUljE_EEESV_SW_SX_S14_S18_S1A_T6_T7_T9_mT8_S1C_bDpT10_ENKUlT_T0_E_clISt17integral_constantIbLb0EES1O_IbLb1EEEEDaS1K_S1L_EUlS1K_E_NS1_11comp_targetILNS1_3genE10ELNS1_11target_archE1200ELNS1_3gpuE4ELNS1_3repE0EEENS1_30default_config_static_selectorELNS0_4arch9wavefront6targetE0EEEvSY_,@function
_ZN7rocprim17ROCPRIM_400000_NS6detail17trampoline_kernelINS0_13select_configILj256ELj13ELNS0_17block_load_methodE3ELS4_3ELS4_3ELNS0_20block_scan_algorithmE0ELj4294967295EEENS1_25partition_config_selectorILNS1_17partition_subalgoE3EjNS0_10empty_typeEbEEZZNS1_14partition_implILS8_3ELb0ES6_jNS0_17counting_iteratorIjlEEPS9_SE_NS0_5tupleIJPjSE_EEENSF_IJSE_SE_EEES9_SG_JZNS1_25segmented_radix_sort_implINS0_14default_configELb0EPKdPdPKlPlN2at6native12_GLOBAL__N_18offset_tEEE10hipError_tPvRmT1_PNSt15iterator_traitsISY_E10value_typeET2_T3_PNSZ_IS14_E10value_typeET4_jRbjT5_S1A_jjP12ihipStream_tbEUljE_EEESV_SW_SX_S14_S18_S1A_T6_T7_T9_mT8_S1C_bDpT10_ENKUlT_T0_E_clISt17integral_constantIbLb0EES1O_IbLb1EEEEDaS1K_S1L_EUlS1K_E_NS1_11comp_targetILNS1_3genE10ELNS1_11target_archE1200ELNS1_3gpuE4ELNS1_3repE0EEENS1_30default_config_static_selectorELNS0_4arch9wavefront6targetE0EEEvSY_: ; @_ZN7rocprim17ROCPRIM_400000_NS6detail17trampoline_kernelINS0_13select_configILj256ELj13ELNS0_17block_load_methodE3ELS4_3ELS4_3ELNS0_20block_scan_algorithmE0ELj4294967295EEENS1_25partition_config_selectorILNS1_17partition_subalgoE3EjNS0_10empty_typeEbEEZZNS1_14partition_implILS8_3ELb0ES6_jNS0_17counting_iteratorIjlEEPS9_SE_NS0_5tupleIJPjSE_EEENSF_IJSE_SE_EEES9_SG_JZNS1_25segmented_radix_sort_implINS0_14default_configELb0EPKdPdPKlPlN2at6native12_GLOBAL__N_18offset_tEEE10hipError_tPvRmT1_PNSt15iterator_traitsISY_E10value_typeET2_T3_PNSZ_IS14_E10value_typeET4_jRbjT5_S1A_jjP12ihipStream_tbEUljE_EEESV_SW_SX_S14_S18_S1A_T6_T7_T9_mT8_S1C_bDpT10_ENKUlT_T0_E_clISt17integral_constantIbLb0EES1O_IbLb1EEEEDaS1K_S1L_EUlS1K_E_NS1_11comp_targetILNS1_3genE10ELNS1_11target_archE1200ELNS1_3gpuE4ELNS1_3repE0EEENS1_30default_config_static_selectorELNS0_4arch9wavefront6targetE0EEEvSY_
; %bb.0:
	.section	.rodata,"a",@progbits
	.p2align	6, 0x0
	.amdhsa_kernel _ZN7rocprim17ROCPRIM_400000_NS6detail17trampoline_kernelINS0_13select_configILj256ELj13ELNS0_17block_load_methodE3ELS4_3ELS4_3ELNS0_20block_scan_algorithmE0ELj4294967295EEENS1_25partition_config_selectorILNS1_17partition_subalgoE3EjNS0_10empty_typeEbEEZZNS1_14partition_implILS8_3ELb0ES6_jNS0_17counting_iteratorIjlEEPS9_SE_NS0_5tupleIJPjSE_EEENSF_IJSE_SE_EEES9_SG_JZNS1_25segmented_radix_sort_implINS0_14default_configELb0EPKdPdPKlPlN2at6native12_GLOBAL__N_18offset_tEEE10hipError_tPvRmT1_PNSt15iterator_traitsISY_E10value_typeET2_T3_PNSZ_IS14_E10value_typeET4_jRbjT5_S1A_jjP12ihipStream_tbEUljE_EEESV_SW_SX_S14_S18_S1A_T6_T7_T9_mT8_S1C_bDpT10_ENKUlT_T0_E_clISt17integral_constantIbLb0EES1O_IbLb1EEEEDaS1K_S1L_EUlS1K_E_NS1_11comp_targetILNS1_3genE10ELNS1_11target_archE1200ELNS1_3gpuE4ELNS1_3repE0EEENS1_30default_config_static_selectorELNS0_4arch9wavefront6targetE0EEEvSY_
		.amdhsa_group_segment_fixed_size 0
		.amdhsa_private_segment_fixed_size 0
		.amdhsa_kernarg_size 152
		.amdhsa_user_sgpr_count 2
		.amdhsa_user_sgpr_dispatch_ptr 0
		.amdhsa_user_sgpr_queue_ptr 0
		.amdhsa_user_sgpr_kernarg_segment_ptr 1
		.amdhsa_user_sgpr_dispatch_id 0
		.amdhsa_user_sgpr_kernarg_preload_length 0
		.amdhsa_user_sgpr_kernarg_preload_offset 0
		.amdhsa_user_sgpr_private_segment_size 0
		.amdhsa_wavefront_size32 1
		.amdhsa_uses_dynamic_stack 0
		.amdhsa_enable_private_segment 0
		.amdhsa_system_sgpr_workgroup_id_x 1
		.amdhsa_system_sgpr_workgroup_id_y 0
		.amdhsa_system_sgpr_workgroup_id_z 0
		.amdhsa_system_sgpr_workgroup_info 0
		.amdhsa_system_vgpr_workitem_id 0
		.amdhsa_next_free_vgpr 1
		.amdhsa_next_free_sgpr 1
		.amdhsa_named_barrier_count 0
		.amdhsa_reserve_vcc 0
		.amdhsa_float_round_mode_32 0
		.amdhsa_float_round_mode_16_64 0
		.amdhsa_float_denorm_mode_32 3
		.amdhsa_float_denorm_mode_16_64 3
		.amdhsa_fp16_overflow 0
		.amdhsa_memory_ordered 1
		.amdhsa_forward_progress 1
		.amdhsa_inst_pref_size 0
		.amdhsa_round_robin_scheduling 0
		.amdhsa_exception_fp_ieee_invalid_op 0
		.amdhsa_exception_fp_denorm_src 0
		.amdhsa_exception_fp_ieee_div_zero 0
		.amdhsa_exception_fp_ieee_overflow 0
		.amdhsa_exception_fp_ieee_underflow 0
		.amdhsa_exception_fp_ieee_inexact 0
		.amdhsa_exception_int_div_zero 0
	.end_amdhsa_kernel
	.section	.text._ZN7rocprim17ROCPRIM_400000_NS6detail17trampoline_kernelINS0_13select_configILj256ELj13ELNS0_17block_load_methodE3ELS4_3ELS4_3ELNS0_20block_scan_algorithmE0ELj4294967295EEENS1_25partition_config_selectorILNS1_17partition_subalgoE3EjNS0_10empty_typeEbEEZZNS1_14partition_implILS8_3ELb0ES6_jNS0_17counting_iteratorIjlEEPS9_SE_NS0_5tupleIJPjSE_EEENSF_IJSE_SE_EEES9_SG_JZNS1_25segmented_radix_sort_implINS0_14default_configELb0EPKdPdPKlPlN2at6native12_GLOBAL__N_18offset_tEEE10hipError_tPvRmT1_PNSt15iterator_traitsISY_E10value_typeET2_T3_PNSZ_IS14_E10value_typeET4_jRbjT5_S1A_jjP12ihipStream_tbEUljE_EEESV_SW_SX_S14_S18_S1A_T6_T7_T9_mT8_S1C_bDpT10_ENKUlT_T0_E_clISt17integral_constantIbLb0EES1O_IbLb1EEEEDaS1K_S1L_EUlS1K_E_NS1_11comp_targetILNS1_3genE10ELNS1_11target_archE1200ELNS1_3gpuE4ELNS1_3repE0EEENS1_30default_config_static_selectorELNS0_4arch9wavefront6targetE0EEEvSY_,"axG",@progbits,_ZN7rocprim17ROCPRIM_400000_NS6detail17trampoline_kernelINS0_13select_configILj256ELj13ELNS0_17block_load_methodE3ELS4_3ELS4_3ELNS0_20block_scan_algorithmE0ELj4294967295EEENS1_25partition_config_selectorILNS1_17partition_subalgoE3EjNS0_10empty_typeEbEEZZNS1_14partition_implILS8_3ELb0ES6_jNS0_17counting_iteratorIjlEEPS9_SE_NS0_5tupleIJPjSE_EEENSF_IJSE_SE_EEES9_SG_JZNS1_25segmented_radix_sort_implINS0_14default_configELb0EPKdPdPKlPlN2at6native12_GLOBAL__N_18offset_tEEE10hipError_tPvRmT1_PNSt15iterator_traitsISY_E10value_typeET2_T3_PNSZ_IS14_E10value_typeET4_jRbjT5_S1A_jjP12ihipStream_tbEUljE_EEESV_SW_SX_S14_S18_S1A_T6_T7_T9_mT8_S1C_bDpT10_ENKUlT_T0_E_clISt17integral_constantIbLb0EES1O_IbLb1EEEEDaS1K_S1L_EUlS1K_E_NS1_11comp_targetILNS1_3genE10ELNS1_11target_archE1200ELNS1_3gpuE4ELNS1_3repE0EEENS1_30default_config_static_selectorELNS0_4arch9wavefront6targetE0EEEvSY_,comdat
.Lfunc_end1212:
	.size	_ZN7rocprim17ROCPRIM_400000_NS6detail17trampoline_kernelINS0_13select_configILj256ELj13ELNS0_17block_load_methodE3ELS4_3ELS4_3ELNS0_20block_scan_algorithmE0ELj4294967295EEENS1_25partition_config_selectorILNS1_17partition_subalgoE3EjNS0_10empty_typeEbEEZZNS1_14partition_implILS8_3ELb0ES6_jNS0_17counting_iteratorIjlEEPS9_SE_NS0_5tupleIJPjSE_EEENSF_IJSE_SE_EEES9_SG_JZNS1_25segmented_radix_sort_implINS0_14default_configELb0EPKdPdPKlPlN2at6native12_GLOBAL__N_18offset_tEEE10hipError_tPvRmT1_PNSt15iterator_traitsISY_E10value_typeET2_T3_PNSZ_IS14_E10value_typeET4_jRbjT5_S1A_jjP12ihipStream_tbEUljE_EEESV_SW_SX_S14_S18_S1A_T6_T7_T9_mT8_S1C_bDpT10_ENKUlT_T0_E_clISt17integral_constantIbLb0EES1O_IbLb1EEEEDaS1K_S1L_EUlS1K_E_NS1_11comp_targetILNS1_3genE10ELNS1_11target_archE1200ELNS1_3gpuE4ELNS1_3repE0EEENS1_30default_config_static_selectorELNS0_4arch9wavefront6targetE0EEEvSY_, .Lfunc_end1212-_ZN7rocprim17ROCPRIM_400000_NS6detail17trampoline_kernelINS0_13select_configILj256ELj13ELNS0_17block_load_methodE3ELS4_3ELS4_3ELNS0_20block_scan_algorithmE0ELj4294967295EEENS1_25partition_config_selectorILNS1_17partition_subalgoE3EjNS0_10empty_typeEbEEZZNS1_14partition_implILS8_3ELb0ES6_jNS0_17counting_iteratorIjlEEPS9_SE_NS0_5tupleIJPjSE_EEENSF_IJSE_SE_EEES9_SG_JZNS1_25segmented_radix_sort_implINS0_14default_configELb0EPKdPdPKlPlN2at6native12_GLOBAL__N_18offset_tEEE10hipError_tPvRmT1_PNSt15iterator_traitsISY_E10value_typeET2_T3_PNSZ_IS14_E10value_typeET4_jRbjT5_S1A_jjP12ihipStream_tbEUljE_EEESV_SW_SX_S14_S18_S1A_T6_T7_T9_mT8_S1C_bDpT10_ENKUlT_T0_E_clISt17integral_constantIbLb0EES1O_IbLb1EEEEDaS1K_S1L_EUlS1K_E_NS1_11comp_targetILNS1_3genE10ELNS1_11target_archE1200ELNS1_3gpuE4ELNS1_3repE0EEENS1_30default_config_static_selectorELNS0_4arch9wavefront6targetE0EEEvSY_
                                        ; -- End function
	.set _ZN7rocprim17ROCPRIM_400000_NS6detail17trampoline_kernelINS0_13select_configILj256ELj13ELNS0_17block_load_methodE3ELS4_3ELS4_3ELNS0_20block_scan_algorithmE0ELj4294967295EEENS1_25partition_config_selectorILNS1_17partition_subalgoE3EjNS0_10empty_typeEbEEZZNS1_14partition_implILS8_3ELb0ES6_jNS0_17counting_iteratorIjlEEPS9_SE_NS0_5tupleIJPjSE_EEENSF_IJSE_SE_EEES9_SG_JZNS1_25segmented_radix_sort_implINS0_14default_configELb0EPKdPdPKlPlN2at6native12_GLOBAL__N_18offset_tEEE10hipError_tPvRmT1_PNSt15iterator_traitsISY_E10value_typeET2_T3_PNSZ_IS14_E10value_typeET4_jRbjT5_S1A_jjP12ihipStream_tbEUljE_EEESV_SW_SX_S14_S18_S1A_T6_T7_T9_mT8_S1C_bDpT10_ENKUlT_T0_E_clISt17integral_constantIbLb0EES1O_IbLb1EEEEDaS1K_S1L_EUlS1K_E_NS1_11comp_targetILNS1_3genE10ELNS1_11target_archE1200ELNS1_3gpuE4ELNS1_3repE0EEENS1_30default_config_static_selectorELNS0_4arch9wavefront6targetE0EEEvSY_.num_vgpr, 0
	.set _ZN7rocprim17ROCPRIM_400000_NS6detail17trampoline_kernelINS0_13select_configILj256ELj13ELNS0_17block_load_methodE3ELS4_3ELS4_3ELNS0_20block_scan_algorithmE0ELj4294967295EEENS1_25partition_config_selectorILNS1_17partition_subalgoE3EjNS0_10empty_typeEbEEZZNS1_14partition_implILS8_3ELb0ES6_jNS0_17counting_iteratorIjlEEPS9_SE_NS0_5tupleIJPjSE_EEENSF_IJSE_SE_EEES9_SG_JZNS1_25segmented_radix_sort_implINS0_14default_configELb0EPKdPdPKlPlN2at6native12_GLOBAL__N_18offset_tEEE10hipError_tPvRmT1_PNSt15iterator_traitsISY_E10value_typeET2_T3_PNSZ_IS14_E10value_typeET4_jRbjT5_S1A_jjP12ihipStream_tbEUljE_EEESV_SW_SX_S14_S18_S1A_T6_T7_T9_mT8_S1C_bDpT10_ENKUlT_T0_E_clISt17integral_constantIbLb0EES1O_IbLb1EEEEDaS1K_S1L_EUlS1K_E_NS1_11comp_targetILNS1_3genE10ELNS1_11target_archE1200ELNS1_3gpuE4ELNS1_3repE0EEENS1_30default_config_static_selectorELNS0_4arch9wavefront6targetE0EEEvSY_.num_agpr, 0
	.set _ZN7rocprim17ROCPRIM_400000_NS6detail17trampoline_kernelINS0_13select_configILj256ELj13ELNS0_17block_load_methodE3ELS4_3ELS4_3ELNS0_20block_scan_algorithmE0ELj4294967295EEENS1_25partition_config_selectorILNS1_17partition_subalgoE3EjNS0_10empty_typeEbEEZZNS1_14partition_implILS8_3ELb0ES6_jNS0_17counting_iteratorIjlEEPS9_SE_NS0_5tupleIJPjSE_EEENSF_IJSE_SE_EEES9_SG_JZNS1_25segmented_radix_sort_implINS0_14default_configELb0EPKdPdPKlPlN2at6native12_GLOBAL__N_18offset_tEEE10hipError_tPvRmT1_PNSt15iterator_traitsISY_E10value_typeET2_T3_PNSZ_IS14_E10value_typeET4_jRbjT5_S1A_jjP12ihipStream_tbEUljE_EEESV_SW_SX_S14_S18_S1A_T6_T7_T9_mT8_S1C_bDpT10_ENKUlT_T0_E_clISt17integral_constantIbLb0EES1O_IbLb1EEEEDaS1K_S1L_EUlS1K_E_NS1_11comp_targetILNS1_3genE10ELNS1_11target_archE1200ELNS1_3gpuE4ELNS1_3repE0EEENS1_30default_config_static_selectorELNS0_4arch9wavefront6targetE0EEEvSY_.numbered_sgpr, 0
	.set _ZN7rocprim17ROCPRIM_400000_NS6detail17trampoline_kernelINS0_13select_configILj256ELj13ELNS0_17block_load_methodE3ELS4_3ELS4_3ELNS0_20block_scan_algorithmE0ELj4294967295EEENS1_25partition_config_selectorILNS1_17partition_subalgoE3EjNS0_10empty_typeEbEEZZNS1_14partition_implILS8_3ELb0ES6_jNS0_17counting_iteratorIjlEEPS9_SE_NS0_5tupleIJPjSE_EEENSF_IJSE_SE_EEES9_SG_JZNS1_25segmented_radix_sort_implINS0_14default_configELb0EPKdPdPKlPlN2at6native12_GLOBAL__N_18offset_tEEE10hipError_tPvRmT1_PNSt15iterator_traitsISY_E10value_typeET2_T3_PNSZ_IS14_E10value_typeET4_jRbjT5_S1A_jjP12ihipStream_tbEUljE_EEESV_SW_SX_S14_S18_S1A_T6_T7_T9_mT8_S1C_bDpT10_ENKUlT_T0_E_clISt17integral_constantIbLb0EES1O_IbLb1EEEEDaS1K_S1L_EUlS1K_E_NS1_11comp_targetILNS1_3genE10ELNS1_11target_archE1200ELNS1_3gpuE4ELNS1_3repE0EEENS1_30default_config_static_selectorELNS0_4arch9wavefront6targetE0EEEvSY_.num_named_barrier, 0
	.set _ZN7rocprim17ROCPRIM_400000_NS6detail17trampoline_kernelINS0_13select_configILj256ELj13ELNS0_17block_load_methodE3ELS4_3ELS4_3ELNS0_20block_scan_algorithmE0ELj4294967295EEENS1_25partition_config_selectorILNS1_17partition_subalgoE3EjNS0_10empty_typeEbEEZZNS1_14partition_implILS8_3ELb0ES6_jNS0_17counting_iteratorIjlEEPS9_SE_NS0_5tupleIJPjSE_EEENSF_IJSE_SE_EEES9_SG_JZNS1_25segmented_radix_sort_implINS0_14default_configELb0EPKdPdPKlPlN2at6native12_GLOBAL__N_18offset_tEEE10hipError_tPvRmT1_PNSt15iterator_traitsISY_E10value_typeET2_T3_PNSZ_IS14_E10value_typeET4_jRbjT5_S1A_jjP12ihipStream_tbEUljE_EEESV_SW_SX_S14_S18_S1A_T6_T7_T9_mT8_S1C_bDpT10_ENKUlT_T0_E_clISt17integral_constantIbLb0EES1O_IbLb1EEEEDaS1K_S1L_EUlS1K_E_NS1_11comp_targetILNS1_3genE10ELNS1_11target_archE1200ELNS1_3gpuE4ELNS1_3repE0EEENS1_30default_config_static_selectorELNS0_4arch9wavefront6targetE0EEEvSY_.private_seg_size, 0
	.set _ZN7rocprim17ROCPRIM_400000_NS6detail17trampoline_kernelINS0_13select_configILj256ELj13ELNS0_17block_load_methodE3ELS4_3ELS4_3ELNS0_20block_scan_algorithmE0ELj4294967295EEENS1_25partition_config_selectorILNS1_17partition_subalgoE3EjNS0_10empty_typeEbEEZZNS1_14partition_implILS8_3ELb0ES6_jNS0_17counting_iteratorIjlEEPS9_SE_NS0_5tupleIJPjSE_EEENSF_IJSE_SE_EEES9_SG_JZNS1_25segmented_radix_sort_implINS0_14default_configELb0EPKdPdPKlPlN2at6native12_GLOBAL__N_18offset_tEEE10hipError_tPvRmT1_PNSt15iterator_traitsISY_E10value_typeET2_T3_PNSZ_IS14_E10value_typeET4_jRbjT5_S1A_jjP12ihipStream_tbEUljE_EEESV_SW_SX_S14_S18_S1A_T6_T7_T9_mT8_S1C_bDpT10_ENKUlT_T0_E_clISt17integral_constantIbLb0EES1O_IbLb1EEEEDaS1K_S1L_EUlS1K_E_NS1_11comp_targetILNS1_3genE10ELNS1_11target_archE1200ELNS1_3gpuE4ELNS1_3repE0EEENS1_30default_config_static_selectorELNS0_4arch9wavefront6targetE0EEEvSY_.uses_vcc, 0
	.set _ZN7rocprim17ROCPRIM_400000_NS6detail17trampoline_kernelINS0_13select_configILj256ELj13ELNS0_17block_load_methodE3ELS4_3ELS4_3ELNS0_20block_scan_algorithmE0ELj4294967295EEENS1_25partition_config_selectorILNS1_17partition_subalgoE3EjNS0_10empty_typeEbEEZZNS1_14partition_implILS8_3ELb0ES6_jNS0_17counting_iteratorIjlEEPS9_SE_NS0_5tupleIJPjSE_EEENSF_IJSE_SE_EEES9_SG_JZNS1_25segmented_radix_sort_implINS0_14default_configELb0EPKdPdPKlPlN2at6native12_GLOBAL__N_18offset_tEEE10hipError_tPvRmT1_PNSt15iterator_traitsISY_E10value_typeET2_T3_PNSZ_IS14_E10value_typeET4_jRbjT5_S1A_jjP12ihipStream_tbEUljE_EEESV_SW_SX_S14_S18_S1A_T6_T7_T9_mT8_S1C_bDpT10_ENKUlT_T0_E_clISt17integral_constantIbLb0EES1O_IbLb1EEEEDaS1K_S1L_EUlS1K_E_NS1_11comp_targetILNS1_3genE10ELNS1_11target_archE1200ELNS1_3gpuE4ELNS1_3repE0EEENS1_30default_config_static_selectorELNS0_4arch9wavefront6targetE0EEEvSY_.uses_flat_scratch, 0
	.set _ZN7rocprim17ROCPRIM_400000_NS6detail17trampoline_kernelINS0_13select_configILj256ELj13ELNS0_17block_load_methodE3ELS4_3ELS4_3ELNS0_20block_scan_algorithmE0ELj4294967295EEENS1_25partition_config_selectorILNS1_17partition_subalgoE3EjNS0_10empty_typeEbEEZZNS1_14partition_implILS8_3ELb0ES6_jNS0_17counting_iteratorIjlEEPS9_SE_NS0_5tupleIJPjSE_EEENSF_IJSE_SE_EEES9_SG_JZNS1_25segmented_radix_sort_implINS0_14default_configELb0EPKdPdPKlPlN2at6native12_GLOBAL__N_18offset_tEEE10hipError_tPvRmT1_PNSt15iterator_traitsISY_E10value_typeET2_T3_PNSZ_IS14_E10value_typeET4_jRbjT5_S1A_jjP12ihipStream_tbEUljE_EEESV_SW_SX_S14_S18_S1A_T6_T7_T9_mT8_S1C_bDpT10_ENKUlT_T0_E_clISt17integral_constantIbLb0EES1O_IbLb1EEEEDaS1K_S1L_EUlS1K_E_NS1_11comp_targetILNS1_3genE10ELNS1_11target_archE1200ELNS1_3gpuE4ELNS1_3repE0EEENS1_30default_config_static_selectorELNS0_4arch9wavefront6targetE0EEEvSY_.has_dyn_sized_stack, 0
	.set _ZN7rocprim17ROCPRIM_400000_NS6detail17trampoline_kernelINS0_13select_configILj256ELj13ELNS0_17block_load_methodE3ELS4_3ELS4_3ELNS0_20block_scan_algorithmE0ELj4294967295EEENS1_25partition_config_selectorILNS1_17partition_subalgoE3EjNS0_10empty_typeEbEEZZNS1_14partition_implILS8_3ELb0ES6_jNS0_17counting_iteratorIjlEEPS9_SE_NS0_5tupleIJPjSE_EEENSF_IJSE_SE_EEES9_SG_JZNS1_25segmented_radix_sort_implINS0_14default_configELb0EPKdPdPKlPlN2at6native12_GLOBAL__N_18offset_tEEE10hipError_tPvRmT1_PNSt15iterator_traitsISY_E10value_typeET2_T3_PNSZ_IS14_E10value_typeET4_jRbjT5_S1A_jjP12ihipStream_tbEUljE_EEESV_SW_SX_S14_S18_S1A_T6_T7_T9_mT8_S1C_bDpT10_ENKUlT_T0_E_clISt17integral_constantIbLb0EES1O_IbLb1EEEEDaS1K_S1L_EUlS1K_E_NS1_11comp_targetILNS1_3genE10ELNS1_11target_archE1200ELNS1_3gpuE4ELNS1_3repE0EEENS1_30default_config_static_selectorELNS0_4arch9wavefront6targetE0EEEvSY_.has_recursion, 0
	.set _ZN7rocprim17ROCPRIM_400000_NS6detail17trampoline_kernelINS0_13select_configILj256ELj13ELNS0_17block_load_methodE3ELS4_3ELS4_3ELNS0_20block_scan_algorithmE0ELj4294967295EEENS1_25partition_config_selectorILNS1_17partition_subalgoE3EjNS0_10empty_typeEbEEZZNS1_14partition_implILS8_3ELb0ES6_jNS0_17counting_iteratorIjlEEPS9_SE_NS0_5tupleIJPjSE_EEENSF_IJSE_SE_EEES9_SG_JZNS1_25segmented_radix_sort_implINS0_14default_configELb0EPKdPdPKlPlN2at6native12_GLOBAL__N_18offset_tEEE10hipError_tPvRmT1_PNSt15iterator_traitsISY_E10value_typeET2_T3_PNSZ_IS14_E10value_typeET4_jRbjT5_S1A_jjP12ihipStream_tbEUljE_EEESV_SW_SX_S14_S18_S1A_T6_T7_T9_mT8_S1C_bDpT10_ENKUlT_T0_E_clISt17integral_constantIbLb0EES1O_IbLb1EEEEDaS1K_S1L_EUlS1K_E_NS1_11comp_targetILNS1_3genE10ELNS1_11target_archE1200ELNS1_3gpuE4ELNS1_3repE0EEENS1_30default_config_static_selectorELNS0_4arch9wavefront6targetE0EEEvSY_.has_indirect_call, 0
	.section	.AMDGPU.csdata,"",@progbits
; Kernel info:
; codeLenInByte = 0
; TotalNumSgprs: 0
; NumVgprs: 0
; ScratchSize: 0
; MemoryBound: 0
; FloatMode: 240
; IeeeMode: 1
; LDSByteSize: 0 bytes/workgroup (compile time only)
; SGPRBlocks: 0
; VGPRBlocks: 0
; NumSGPRsForWavesPerEU: 1
; NumVGPRsForWavesPerEU: 1
; NamedBarCnt: 0
; Occupancy: 16
; WaveLimiterHint : 0
; COMPUTE_PGM_RSRC2:SCRATCH_EN: 0
; COMPUTE_PGM_RSRC2:USER_SGPR: 2
; COMPUTE_PGM_RSRC2:TRAP_HANDLER: 0
; COMPUTE_PGM_RSRC2:TGID_X_EN: 1
; COMPUTE_PGM_RSRC2:TGID_Y_EN: 0
; COMPUTE_PGM_RSRC2:TGID_Z_EN: 0
; COMPUTE_PGM_RSRC2:TIDIG_COMP_CNT: 0
	.section	.text._ZN7rocprim17ROCPRIM_400000_NS6detail17trampoline_kernelINS0_13select_configILj256ELj13ELNS0_17block_load_methodE3ELS4_3ELS4_3ELNS0_20block_scan_algorithmE0ELj4294967295EEENS1_25partition_config_selectorILNS1_17partition_subalgoE3EjNS0_10empty_typeEbEEZZNS1_14partition_implILS8_3ELb0ES6_jNS0_17counting_iteratorIjlEEPS9_SE_NS0_5tupleIJPjSE_EEENSF_IJSE_SE_EEES9_SG_JZNS1_25segmented_radix_sort_implINS0_14default_configELb0EPKdPdPKlPlN2at6native12_GLOBAL__N_18offset_tEEE10hipError_tPvRmT1_PNSt15iterator_traitsISY_E10value_typeET2_T3_PNSZ_IS14_E10value_typeET4_jRbjT5_S1A_jjP12ihipStream_tbEUljE_EEESV_SW_SX_S14_S18_S1A_T6_T7_T9_mT8_S1C_bDpT10_ENKUlT_T0_E_clISt17integral_constantIbLb0EES1O_IbLb1EEEEDaS1K_S1L_EUlS1K_E_NS1_11comp_targetILNS1_3genE9ELNS1_11target_archE1100ELNS1_3gpuE3ELNS1_3repE0EEENS1_30default_config_static_selectorELNS0_4arch9wavefront6targetE0EEEvSY_,"axG",@progbits,_ZN7rocprim17ROCPRIM_400000_NS6detail17trampoline_kernelINS0_13select_configILj256ELj13ELNS0_17block_load_methodE3ELS4_3ELS4_3ELNS0_20block_scan_algorithmE0ELj4294967295EEENS1_25partition_config_selectorILNS1_17partition_subalgoE3EjNS0_10empty_typeEbEEZZNS1_14partition_implILS8_3ELb0ES6_jNS0_17counting_iteratorIjlEEPS9_SE_NS0_5tupleIJPjSE_EEENSF_IJSE_SE_EEES9_SG_JZNS1_25segmented_radix_sort_implINS0_14default_configELb0EPKdPdPKlPlN2at6native12_GLOBAL__N_18offset_tEEE10hipError_tPvRmT1_PNSt15iterator_traitsISY_E10value_typeET2_T3_PNSZ_IS14_E10value_typeET4_jRbjT5_S1A_jjP12ihipStream_tbEUljE_EEESV_SW_SX_S14_S18_S1A_T6_T7_T9_mT8_S1C_bDpT10_ENKUlT_T0_E_clISt17integral_constantIbLb0EES1O_IbLb1EEEEDaS1K_S1L_EUlS1K_E_NS1_11comp_targetILNS1_3genE9ELNS1_11target_archE1100ELNS1_3gpuE3ELNS1_3repE0EEENS1_30default_config_static_selectorELNS0_4arch9wavefront6targetE0EEEvSY_,comdat
	.globl	_ZN7rocprim17ROCPRIM_400000_NS6detail17trampoline_kernelINS0_13select_configILj256ELj13ELNS0_17block_load_methodE3ELS4_3ELS4_3ELNS0_20block_scan_algorithmE0ELj4294967295EEENS1_25partition_config_selectorILNS1_17partition_subalgoE3EjNS0_10empty_typeEbEEZZNS1_14partition_implILS8_3ELb0ES6_jNS0_17counting_iteratorIjlEEPS9_SE_NS0_5tupleIJPjSE_EEENSF_IJSE_SE_EEES9_SG_JZNS1_25segmented_radix_sort_implINS0_14default_configELb0EPKdPdPKlPlN2at6native12_GLOBAL__N_18offset_tEEE10hipError_tPvRmT1_PNSt15iterator_traitsISY_E10value_typeET2_T3_PNSZ_IS14_E10value_typeET4_jRbjT5_S1A_jjP12ihipStream_tbEUljE_EEESV_SW_SX_S14_S18_S1A_T6_T7_T9_mT8_S1C_bDpT10_ENKUlT_T0_E_clISt17integral_constantIbLb0EES1O_IbLb1EEEEDaS1K_S1L_EUlS1K_E_NS1_11comp_targetILNS1_3genE9ELNS1_11target_archE1100ELNS1_3gpuE3ELNS1_3repE0EEENS1_30default_config_static_selectorELNS0_4arch9wavefront6targetE0EEEvSY_ ; -- Begin function _ZN7rocprim17ROCPRIM_400000_NS6detail17trampoline_kernelINS0_13select_configILj256ELj13ELNS0_17block_load_methodE3ELS4_3ELS4_3ELNS0_20block_scan_algorithmE0ELj4294967295EEENS1_25partition_config_selectorILNS1_17partition_subalgoE3EjNS0_10empty_typeEbEEZZNS1_14partition_implILS8_3ELb0ES6_jNS0_17counting_iteratorIjlEEPS9_SE_NS0_5tupleIJPjSE_EEENSF_IJSE_SE_EEES9_SG_JZNS1_25segmented_radix_sort_implINS0_14default_configELb0EPKdPdPKlPlN2at6native12_GLOBAL__N_18offset_tEEE10hipError_tPvRmT1_PNSt15iterator_traitsISY_E10value_typeET2_T3_PNSZ_IS14_E10value_typeET4_jRbjT5_S1A_jjP12ihipStream_tbEUljE_EEESV_SW_SX_S14_S18_S1A_T6_T7_T9_mT8_S1C_bDpT10_ENKUlT_T0_E_clISt17integral_constantIbLb0EES1O_IbLb1EEEEDaS1K_S1L_EUlS1K_E_NS1_11comp_targetILNS1_3genE9ELNS1_11target_archE1100ELNS1_3gpuE3ELNS1_3repE0EEENS1_30default_config_static_selectorELNS0_4arch9wavefront6targetE0EEEvSY_
	.p2align	8
	.type	_ZN7rocprim17ROCPRIM_400000_NS6detail17trampoline_kernelINS0_13select_configILj256ELj13ELNS0_17block_load_methodE3ELS4_3ELS4_3ELNS0_20block_scan_algorithmE0ELj4294967295EEENS1_25partition_config_selectorILNS1_17partition_subalgoE3EjNS0_10empty_typeEbEEZZNS1_14partition_implILS8_3ELb0ES6_jNS0_17counting_iteratorIjlEEPS9_SE_NS0_5tupleIJPjSE_EEENSF_IJSE_SE_EEES9_SG_JZNS1_25segmented_radix_sort_implINS0_14default_configELb0EPKdPdPKlPlN2at6native12_GLOBAL__N_18offset_tEEE10hipError_tPvRmT1_PNSt15iterator_traitsISY_E10value_typeET2_T3_PNSZ_IS14_E10value_typeET4_jRbjT5_S1A_jjP12ihipStream_tbEUljE_EEESV_SW_SX_S14_S18_S1A_T6_T7_T9_mT8_S1C_bDpT10_ENKUlT_T0_E_clISt17integral_constantIbLb0EES1O_IbLb1EEEEDaS1K_S1L_EUlS1K_E_NS1_11comp_targetILNS1_3genE9ELNS1_11target_archE1100ELNS1_3gpuE3ELNS1_3repE0EEENS1_30default_config_static_selectorELNS0_4arch9wavefront6targetE0EEEvSY_,@function
_ZN7rocprim17ROCPRIM_400000_NS6detail17trampoline_kernelINS0_13select_configILj256ELj13ELNS0_17block_load_methodE3ELS4_3ELS4_3ELNS0_20block_scan_algorithmE0ELj4294967295EEENS1_25partition_config_selectorILNS1_17partition_subalgoE3EjNS0_10empty_typeEbEEZZNS1_14partition_implILS8_3ELb0ES6_jNS0_17counting_iteratorIjlEEPS9_SE_NS0_5tupleIJPjSE_EEENSF_IJSE_SE_EEES9_SG_JZNS1_25segmented_radix_sort_implINS0_14default_configELb0EPKdPdPKlPlN2at6native12_GLOBAL__N_18offset_tEEE10hipError_tPvRmT1_PNSt15iterator_traitsISY_E10value_typeET2_T3_PNSZ_IS14_E10value_typeET4_jRbjT5_S1A_jjP12ihipStream_tbEUljE_EEESV_SW_SX_S14_S18_S1A_T6_T7_T9_mT8_S1C_bDpT10_ENKUlT_T0_E_clISt17integral_constantIbLb0EES1O_IbLb1EEEEDaS1K_S1L_EUlS1K_E_NS1_11comp_targetILNS1_3genE9ELNS1_11target_archE1100ELNS1_3gpuE3ELNS1_3repE0EEENS1_30default_config_static_selectorELNS0_4arch9wavefront6targetE0EEEvSY_: ; @_ZN7rocprim17ROCPRIM_400000_NS6detail17trampoline_kernelINS0_13select_configILj256ELj13ELNS0_17block_load_methodE3ELS4_3ELS4_3ELNS0_20block_scan_algorithmE0ELj4294967295EEENS1_25partition_config_selectorILNS1_17partition_subalgoE3EjNS0_10empty_typeEbEEZZNS1_14partition_implILS8_3ELb0ES6_jNS0_17counting_iteratorIjlEEPS9_SE_NS0_5tupleIJPjSE_EEENSF_IJSE_SE_EEES9_SG_JZNS1_25segmented_radix_sort_implINS0_14default_configELb0EPKdPdPKlPlN2at6native12_GLOBAL__N_18offset_tEEE10hipError_tPvRmT1_PNSt15iterator_traitsISY_E10value_typeET2_T3_PNSZ_IS14_E10value_typeET4_jRbjT5_S1A_jjP12ihipStream_tbEUljE_EEESV_SW_SX_S14_S18_S1A_T6_T7_T9_mT8_S1C_bDpT10_ENKUlT_T0_E_clISt17integral_constantIbLb0EES1O_IbLb1EEEEDaS1K_S1L_EUlS1K_E_NS1_11comp_targetILNS1_3genE9ELNS1_11target_archE1100ELNS1_3gpuE3ELNS1_3repE0EEENS1_30default_config_static_selectorELNS0_4arch9wavefront6targetE0EEEvSY_
; %bb.0:
	.section	.rodata,"a",@progbits
	.p2align	6, 0x0
	.amdhsa_kernel _ZN7rocprim17ROCPRIM_400000_NS6detail17trampoline_kernelINS0_13select_configILj256ELj13ELNS0_17block_load_methodE3ELS4_3ELS4_3ELNS0_20block_scan_algorithmE0ELj4294967295EEENS1_25partition_config_selectorILNS1_17partition_subalgoE3EjNS0_10empty_typeEbEEZZNS1_14partition_implILS8_3ELb0ES6_jNS0_17counting_iteratorIjlEEPS9_SE_NS0_5tupleIJPjSE_EEENSF_IJSE_SE_EEES9_SG_JZNS1_25segmented_radix_sort_implINS0_14default_configELb0EPKdPdPKlPlN2at6native12_GLOBAL__N_18offset_tEEE10hipError_tPvRmT1_PNSt15iterator_traitsISY_E10value_typeET2_T3_PNSZ_IS14_E10value_typeET4_jRbjT5_S1A_jjP12ihipStream_tbEUljE_EEESV_SW_SX_S14_S18_S1A_T6_T7_T9_mT8_S1C_bDpT10_ENKUlT_T0_E_clISt17integral_constantIbLb0EES1O_IbLb1EEEEDaS1K_S1L_EUlS1K_E_NS1_11comp_targetILNS1_3genE9ELNS1_11target_archE1100ELNS1_3gpuE3ELNS1_3repE0EEENS1_30default_config_static_selectorELNS0_4arch9wavefront6targetE0EEEvSY_
		.amdhsa_group_segment_fixed_size 0
		.amdhsa_private_segment_fixed_size 0
		.amdhsa_kernarg_size 152
		.amdhsa_user_sgpr_count 2
		.amdhsa_user_sgpr_dispatch_ptr 0
		.amdhsa_user_sgpr_queue_ptr 0
		.amdhsa_user_sgpr_kernarg_segment_ptr 1
		.amdhsa_user_sgpr_dispatch_id 0
		.amdhsa_user_sgpr_kernarg_preload_length 0
		.amdhsa_user_sgpr_kernarg_preload_offset 0
		.amdhsa_user_sgpr_private_segment_size 0
		.amdhsa_wavefront_size32 1
		.amdhsa_uses_dynamic_stack 0
		.amdhsa_enable_private_segment 0
		.amdhsa_system_sgpr_workgroup_id_x 1
		.amdhsa_system_sgpr_workgroup_id_y 0
		.amdhsa_system_sgpr_workgroup_id_z 0
		.amdhsa_system_sgpr_workgroup_info 0
		.amdhsa_system_vgpr_workitem_id 0
		.amdhsa_next_free_vgpr 1
		.amdhsa_next_free_sgpr 1
		.amdhsa_named_barrier_count 0
		.amdhsa_reserve_vcc 0
		.amdhsa_float_round_mode_32 0
		.amdhsa_float_round_mode_16_64 0
		.amdhsa_float_denorm_mode_32 3
		.amdhsa_float_denorm_mode_16_64 3
		.amdhsa_fp16_overflow 0
		.amdhsa_memory_ordered 1
		.amdhsa_forward_progress 1
		.amdhsa_inst_pref_size 0
		.amdhsa_round_robin_scheduling 0
		.amdhsa_exception_fp_ieee_invalid_op 0
		.amdhsa_exception_fp_denorm_src 0
		.amdhsa_exception_fp_ieee_div_zero 0
		.amdhsa_exception_fp_ieee_overflow 0
		.amdhsa_exception_fp_ieee_underflow 0
		.amdhsa_exception_fp_ieee_inexact 0
		.amdhsa_exception_int_div_zero 0
	.end_amdhsa_kernel
	.section	.text._ZN7rocprim17ROCPRIM_400000_NS6detail17trampoline_kernelINS0_13select_configILj256ELj13ELNS0_17block_load_methodE3ELS4_3ELS4_3ELNS0_20block_scan_algorithmE0ELj4294967295EEENS1_25partition_config_selectorILNS1_17partition_subalgoE3EjNS0_10empty_typeEbEEZZNS1_14partition_implILS8_3ELb0ES6_jNS0_17counting_iteratorIjlEEPS9_SE_NS0_5tupleIJPjSE_EEENSF_IJSE_SE_EEES9_SG_JZNS1_25segmented_radix_sort_implINS0_14default_configELb0EPKdPdPKlPlN2at6native12_GLOBAL__N_18offset_tEEE10hipError_tPvRmT1_PNSt15iterator_traitsISY_E10value_typeET2_T3_PNSZ_IS14_E10value_typeET4_jRbjT5_S1A_jjP12ihipStream_tbEUljE_EEESV_SW_SX_S14_S18_S1A_T6_T7_T9_mT8_S1C_bDpT10_ENKUlT_T0_E_clISt17integral_constantIbLb0EES1O_IbLb1EEEEDaS1K_S1L_EUlS1K_E_NS1_11comp_targetILNS1_3genE9ELNS1_11target_archE1100ELNS1_3gpuE3ELNS1_3repE0EEENS1_30default_config_static_selectorELNS0_4arch9wavefront6targetE0EEEvSY_,"axG",@progbits,_ZN7rocprim17ROCPRIM_400000_NS6detail17trampoline_kernelINS0_13select_configILj256ELj13ELNS0_17block_load_methodE3ELS4_3ELS4_3ELNS0_20block_scan_algorithmE0ELj4294967295EEENS1_25partition_config_selectorILNS1_17partition_subalgoE3EjNS0_10empty_typeEbEEZZNS1_14partition_implILS8_3ELb0ES6_jNS0_17counting_iteratorIjlEEPS9_SE_NS0_5tupleIJPjSE_EEENSF_IJSE_SE_EEES9_SG_JZNS1_25segmented_radix_sort_implINS0_14default_configELb0EPKdPdPKlPlN2at6native12_GLOBAL__N_18offset_tEEE10hipError_tPvRmT1_PNSt15iterator_traitsISY_E10value_typeET2_T3_PNSZ_IS14_E10value_typeET4_jRbjT5_S1A_jjP12ihipStream_tbEUljE_EEESV_SW_SX_S14_S18_S1A_T6_T7_T9_mT8_S1C_bDpT10_ENKUlT_T0_E_clISt17integral_constantIbLb0EES1O_IbLb1EEEEDaS1K_S1L_EUlS1K_E_NS1_11comp_targetILNS1_3genE9ELNS1_11target_archE1100ELNS1_3gpuE3ELNS1_3repE0EEENS1_30default_config_static_selectorELNS0_4arch9wavefront6targetE0EEEvSY_,comdat
.Lfunc_end1213:
	.size	_ZN7rocprim17ROCPRIM_400000_NS6detail17trampoline_kernelINS0_13select_configILj256ELj13ELNS0_17block_load_methodE3ELS4_3ELS4_3ELNS0_20block_scan_algorithmE0ELj4294967295EEENS1_25partition_config_selectorILNS1_17partition_subalgoE3EjNS0_10empty_typeEbEEZZNS1_14partition_implILS8_3ELb0ES6_jNS0_17counting_iteratorIjlEEPS9_SE_NS0_5tupleIJPjSE_EEENSF_IJSE_SE_EEES9_SG_JZNS1_25segmented_radix_sort_implINS0_14default_configELb0EPKdPdPKlPlN2at6native12_GLOBAL__N_18offset_tEEE10hipError_tPvRmT1_PNSt15iterator_traitsISY_E10value_typeET2_T3_PNSZ_IS14_E10value_typeET4_jRbjT5_S1A_jjP12ihipStream_tbEUljE_EEESV_SW_SX_S14_S18_S1A_T6_T7_T9_mT8_S1C_bDpT10_ENKUlT_T0_E_clISt17integral_constantIbLb0EES1O_IbLb1EEEEDaS1K_S1L_EUlS1K_E_NS1_11comp_targetILNS1_3genE9ELNS1_11target_archE1100ELNS1_3gpuE3ELNS1_3repE0EEENS1_30default_config_static_selectorELNS0_4arch9wavefront6targetE0EEEvSY_, .Lfunc_end1213-_ZN7rocprim17ROCPRIM_400000_NS6detail17trampoline_kernelINS0_13select_configILj256ELj13ELNS0_17block_load_methodE3ELS4_3ELS4_3ELNS0_20block_scan_algorithmE0ELj4294967295EEENS1_25partition_config_selectorILNS1_17partition_subalgoE3EjNS0_10empty_typeEbEEZZNS1_14partition_implILS8_3ELb0ES6_jNS0_17counting_iteratorIjlEEPS9_SE_NS0_5tupleIJPjSE_EEENSF_IJSE_SE_EEES9_SG_JZNS1_25segmented_radix_sort_implINS0_14default_configELb0EPKdPdPKlPlN2at6native12_GLOBAL__N_18offset_tEEE10hipError_tPvRmT1_PNSt15iterator_traitsISY_E10value_typeET2_T3_PNSZ_IS14_E10value_typeET4_jRbjT5_S1A_jjP12ihipStream_tbEUljE_EEESV_SW_SX_S14_S18_S1A_T6_T7_T9_mT8_S1C_bDpT10_ENKUlT_T0_E_clISt17integral_constantIbLb0EES1O_IbLb1EEEEDaS1K_S1L_EUlS1K_E_NS1_11comp_targetILNS1_3genE9ELNS1_11target_archE1100ELNS1_3gpuE3ELNS1_3repE0EEENS1_30default_config_static_selectorELNS0_4arch9wavefront6targetE0EEEvSY_
                                        ; -- End function
	.set _ZN7rocprim17ROCPRIM_400000_NS6detail17trampoline_kernelINS0_13select_configILj256ELj13ELNS0_17block_load_methodE3ELS4_3ELS4_3ELNS0_20block_scan_algorithmE0ELj4294967295EEENS1_25partition_config_selectorILNS1_17partition_subalgoE3EjNS0_10empty_typeEbEEZZNS1_14partition_implILS8_3ELb0ES6_jNS0_17counting_iteratorIjlEEPS9_SE_NS0_5tupleIJPjSE_EEENSF_IJSE_SE_EEES9_SG_JZNS1_25segmented_radix_sort_implINS0_14default_configELb0EPKdPdPKlPlN2at6native12_GLOBAL__N_18offset_tEEE10hipError_tPvRmT1_PNSt15iterator_traitsISY_E10value_typeET2_T3_PNSZ_IS14_E10value_typeET4_jRbjT5_S1A_jjP12ihipStream_tbEUljE_EEESV_SW_SX_S14_S18_S1A_T6_T7_T9_mT8_S1C_bDpT10_ENKUlT_T0_E_clISt17integral_constantIbLb0EES1O_IbLb1EEEEDaS1K_S1L_EUlS1K_E_NS1_11comp_targetILNS1_3genE9ELNS1_11target_archE1100ELNS1_3gpuE3ELNS1_3repE0EEENS1_30default_config_static_selectorELNS0_4arch9wavefront6targetE0EEEvSY_.num_vgpr, 0
	.set _ZN7rocprim17ROCPRIM_400000_NS6detail17trampoline_kernelINS0_13select_configILj256ELj13ELNS0_17block_load_methodE3ELS4_3ELS4_3ELNS0_20block_scan_algorithmE0ELj4294967295EEENS1_25partition_config_selectorILNS1_17partition_subalgoE3EjNS0_10empty_typeEbEEZZNS1_14partition_implILS8_3ELb0ES6_jNS0_17counting_iteratorIjlEEPS9_SE_NS0_5tupleIJPjSE_EEENSF_IJSE_SE_EEES9_SG_JZNS1_25segmented_radix_sort_implINS0_14default_configELb0EPKdPdPKlPlN2at6native12_GLOBAL__N_18offset_tEEE10hipError_tPvRmT1_PNSt15iterator_traitsISY_E10value_typeET2_T3_PNSZ_IS14_E10value_typeET4_jRbjT5_S1A_jjP12ihipStream_tbEUljE_EEESV_SW_SX_S14_S18_S1A_T6_T7_T9_mT8_S1C_bDpT10_ENKUlT_T0_E_clISt17integral_constantIbLb0EES1O_IbLb1EEEEDaS1K_S1L_EUlS1K_E_NS1_11comp_targetILNS1_3genE9ELNS1_11target_archE1100ELNS1_3gpuE3ELNS1_3repE0EEENS1_30default_config_static_selectorELNS0_4arch9wavefront6targetE0EEEvSY_.num_agpr, 0
	.set _ZN7rocprim17ROCPRIM_400000_NS6detail17trampoline_kernelINS0_13select_configILj256ELj13ELNS0_17block_load_methodE3ELS4_3ELS4_3ELNS0_20block_scan_algorithmE0ELj4294967295EEENS1_25partition_config_selectorILNS1_17partition_subalgoE3EjNS0_10empty_typeEbEEZZNS1_14partition_implILS8_3ELb0ES6_jNS0_17counting_iteratorIjlEEPS9_SE_NS0_5tupleIJPjSE_EEENSF_IJSE_SE_EEES9_SG_JZNS1_25segmented_radix_sort_implINS0_14default_configELb0EPKdPdPKlPlN2at6native12_GLOBAL__N_18offset_tEEE10hipError_tPvRmT1_PNSt15iterator_traitsISY_E10value_typeET2_T3_PNSZ_IS14_E10value_typeET4_jRbjT5_S1A_jjP12ihipStream_tbEUljE_EEESV_SW_SX_S14_S18_S1A_T6_T7_T9_mT8_S1C_bDpT10_ENKUlT_T0_E_clISt17integral_constantIbLb0EES1O_IbLb1EEEEDaS1K_S1L_EUlS1K_E_NS1_11comp_targetILNS1_3genE9ELNS1_11target_archE1100ELNS1_3gpuE3ELNS1_3repE0EEENS1_30default_config_static_selectorELNS0_4arch9wavefront6targetE0EEEvSY_.numbered_sgpr, 0
	.set _ZN7rocprim17ROCPRIM_400000_NS6detail17trampoline_kernelINS0_13select_configILj256ELj13ELNS0_17block_load_methodE3ELS4_3ELS4_3ELNS0_20block_scan_algorithmE0ELj4294967295EEENS1_25partition_config_selectorILNS1_17partition_subalgoE3EjNS0_10empty_typeEbEEZZNS1_14partition_implILS8_3ELb0ES6_jNS0_17counting_iteratorIjlEEPS9_SE_NS0_5tupleIJPjSE_EEENSF_IJSE_SE_EEES9_SG_JZNS1_25segmented_radix_sort_implINS0_14default_configELb0EPKdPdPKlPlN2at6native12_GLOBAL__N_18offset_tEEE10hipError_tPvRmT1_PNSt15iterator_traitsISY_E10value_typeET2_T3_PNSZ_IS14_E10value_typeET4_jRbjT5_S1A_jjP12ihipStream_tbEUljE_EEESV_SW_SX_S14_S18_S1A_T6_T7_T9_mT8_S1C_bDpT10_ENKUlT_T0_E_clISt17integral_constantIbLb0EES1O_IbLb1EEEEDaS1K_S1L_EUlS1K_E_NS1_11comp_targetILNS1_3genE9ELNS1_11target_archE1100ELNS1_3gpuE3ELNS1_3repE0EEENS1_30default_config_static_selectorELNS0_4arch9wavefront6targetE0EEEvSY_.num_named_barrier, 0
	.set _ZN7rocprim17ROCPRIM_400000_NS6detail17trampoline_kernelINS0_13select_configILj256ELj13ELNS0_17block_load_methodE3ELS4_3ELS4_3ELNS0_20block_scan_algorithmE0ELj4294967295EEENS1_25partition_config_selectorILNS1_17partition_subalgoE3EjNS0_10empty_typeEbEEZZNS1_14partition_implILS8_3ELb0ES6_jNS0_17counting_iteratorIjlEEPS9_SE_NS0_5tupleIJPjSE_EEENSF_IJSE_SE_EEES9_SG_JZNS1_25segmented_radix_sort_implINS0_14default_configELb0EPKdPdPKlPlN2at6native12_GLOBAL__N_18offset_tEEE10hipError_tPvRmT1_PNSt15iterator_traitsISY_E10value_typeET2_T3_PNSZ_IS14_E10value_typeET4_jRbjT5_S1A_jjP12ihipStream_tbEUljE_EEESV_SW_SX_S14_S18_S1A_T6_T7_T9_mT8_S1C_bDpT10_ENKUlT_T0_E_clISt17integral_constantIbLb0EES1O_IbLb1EEEEDaS1K_S1L_EUlS1K_E_NS1_11comp_targetILNS1_3genE9ELNS1_11target_archE1100ELNS1_3gpuE3ELNS1_3repE0EEENS1_30default_config_static_selectorELNS0_4arch9wavefront6targetE0EEEvSY_.private_seg_size, 0
	.set _ZN7rocprim17ROCPRIM_400000_NS6detail17trampoline_kernelINS0_13select_configILj256ELj13ELNS0_17block_load_methodE3ELS4_3ELS4_3ELNS0_20block_scan_algorithmE0ELj4294967295EEENS1_25partition_config_selectorILNS1_17partition_subalgoE3EjNS0_10empty_typeEbEEZZNS1_14partition_implILS8_3ELb0ES6_jNS0_17counting_iteratorIjlEEPS9_SE_NS0_5tupleIJPjSE_EEENSF_IJSE_SE_EEES9_SG_JZNS1_25segmented_radix_sort_implINS0_14default_configELb0EPKdPdPKlPlN2at6native12_GLOBAL__N_18offset_tEEE10hipError_tPvRmT1_PNSt15iterator_traitsISY_E10value_typeET2_T3_PNSZ_IS14_E10value_typeET4_jRbjT5_S1A_jjP12ihipStream_tbEUljE_EEESV_SW_SX_S14_S18_S1A_T6_T7_T9_mT8_S1C_bDpT10_ENKUlT_T0_E_clISt17integral_constantIbLb0EES1O_IbLb1EEEEDaS1K_S1L_EUlS1K_E_NS1_11comp_targetILNS1_3genE9ELNS1_11target_archE1100ELNS1_3gpuE3ELNS1_3repE0EEENS1_30default_config_static_selectorELNS0_4arch9wavefront6targetE0EEEvSY_.uses_vcc, 0
	.set _ZN7rocprim17ROCPRIM_400000_NS6detail17trampoline_kernelINS0_13select_configILj256ELj13ELNS0_17block_load_methodE3ELS4_3ELS4_3ELNS0_20block_scan_algorithmE0ELj4294967295EEENS1_25partition_config_selectorILNS1_17partition_subalgoE3EjNS0_10empty_typeEbEEZZNS1_14partition_implILS8_3ELb0ES6_jNS0_17counting_iteratorIjlEEPS9_SE_NS0_5tupleIJPjSE_EEENSF_IJSE_SE_EEES9_SG_JZNS1_25segmented_radix_sort_implINS0_14default_configELb0EPKdPdPKlPlN2at6native12_GLOBAL__N_18offset_tEEE10hipError_tPvRmT1_PNSt15iterator_traitsISY_E10value_typeET2_T3_PNSZ_IS14_E10value_typeET4_jRbjT5_S1A_jjP12ihipStream_tbEUljE_EEESV_SW_SX_S14_S18_S1A_T6_T7_T9_mT8_S1C_bDpT10_ENKUlT_T0_E_clISt17integral_constantIbLb0EES1O_IbLb1EEEEDaS1K_S1L_EUlS1K_E_NS1_11comp_targetILNS1_3genE9ELNS1_11target_archE1100ELNS1_3gpuE3ELNS1_3repE0EEENS1_30default_config_static_selectorELNS0_4arch9wavefront6targetE0EEEvSY_.uses_flat_scratch, 0
	.set _ZN7rocprim17ROCPRIM_400000_NS6detail17trampoline_kernelINS0_13select_configILj256ELj13ELNS0_17block_load_methodE3ELS4_3ELS4_3ELNS0_20block_scan_algorithmE0ELj4294967295EEENS1_25partition_config_selectorILNS1_17partition_subalgoE3EjNS0_10empty_typeEbEEZZNS1_14partition_implILS8_3ELb0ES6_jNS0_17counting_iteratorIjlEEPS9_SE_NS0_5tupleIJPjSE_EEENSF_IJSE_SE_EEES9_SG_JZNS1_25segmented_radix_sort_implINS0_14default_configELb0EPKdPdPKlPlN2at6native12_GLOBAL__N_18offset_tEEE10hipError_tPvRmT1_PNSt15iterator_traitsISY_E10value_typeET2_T3_PNSZ_IS14_E10value_typeET4_jRbjT5_S1A_jjP12ihipStream_tbEUljE_EEESV_SW_SX_S14_S18_S1A_T6_T7_T9_mT8_S1C_bDpT10_ENKUlT_T0_E_clISt17integral_constantIbLb0EES1O_IbLb1EEEEDaS1K_S1L_EUlS1K_E_NS1_11comp_targetILNS1_3genE9ELNS1_11target_archE1100ELNS1_3gpuE3ELNS1_3repE0EEENS1_30default_config_static_selectorELNS0_4arch9wavefront6targetE0EEEvSY_.has_dyn_sized_stack, 0
	.set _ZN7rocprim17ROCPRIM_400000_NS6detail17trampoline_kernelINS0_13select_configILj256ELj13ELNS0_17block_load_methodE3ELS4_3ELS4_3ELNS0_20block_scan_algorithmE0ELj4294967295EEENS1_25partition_config_selectorILNS1_17partition_subalgoE3EjNS0_10empty_typeEbEEZZNS1_14partition_implILS8_3ELb0ES6_jNS0_17counting_iteratorIjlEEPS9_SE_NS0_5tupleIJPjSE_EEENSF_IJSE_SE_EEES9_SG_JZNS1_25segmented_radix_sort_implINS0_14default_configELb0EPKdPdPKlPlN2at6native12_GLOBAL__N_18offset_tEEE10hipError_tPvRmT1_PNSt15iterator_traitsISY_E10value_typeET2_T3_PNSZ_IS14_E10value_typeET4_jRbjT5_S1A_jjP12ihipStream_tbEUljE_EEESV_SW_SX_S14_S18_S1A_T6_T7_T9_mT8_S1C_bDpT10_ENKUlT_T0_E_clISt17integral_constantIbLb0EES1O_IbLb1EEEEDaS1K_S1L_EUlS1K_E_NS1_11comp_targetILNS1_3genE9ELNS1_11target_archE1100ELNS1_3gpuE3ELNS1_3repE0EEENS1_30default_config_static_selectorELNS0_4arch9wavefront6targetE0EEEvSY_.has_recursion, 0
	.set _ZN7rocprim17ROCPRIM_400000_NS6detail17trampoline_kernelINS0_13select_configILj256ELj13ELNS0_17block_load_methodE3ELS4_3ELS4_3ELNS0_20block_scan_algorithmE0ELj4294967295EEENS1_25partition_config_selectorILNS1_17partition_subalgoE3EjNS0_10empty_typeEbEEZZNS1_14partition_implILS8_3ELb0ES6_jNS0_17counting_iteratorIjlEEPS9_SE_NS0_5tupleIJPjSE_EEENSF_IJSE_SE_EEES9_SG_JZNS1_25segmented_radix_sort_implINS0_14default_configELb0EPKdPdPKlPlN2at6native12_GLOBAL__N_18offset_tEEE10hipError_tPvRmT1_PNSt15iterator_traitsISY_E10value_typeET2_T3_PNSZ_IS14_E10value_typeET4_jRbjT5_S1A_jjP12ihipStream_tbEUljE_EEESV_SW_SX_S14_S18_S1A_T6_T7_T9_mT8_S1C_bDpT10_ENKUlT_T0_E_clISt17integral_constantIbLb0EES1O_IbLb1EEEEDaS1K_S1L_EUlS1K_E_NS1_11comp_targetILNS1_3genE9ELNS1_11target_archE1100ELNS1_3gpuE3ELNS1_3repE0EEENS1_30default_config_static_selectorELNS0_4arch9wavefront6targetE0EEEvSY_.has_indirect_call, 0
	.section	.AMDGPU.csdata,"",@progbits
; Kernel info:
; codeLenInByte = 0
; TotalNumSgprs: 0
; NumVgprs: 0
; ScratchSize: 0
; MemoryBound: 0
; FloatMode: 240
; IeeeMode: 1
; LDSByteSize: 0 bytes/workgroup (compile time only)
; SGPRBlocks: 0
; VGPRBlocks: 0
; NumSGPRsForWavesPerEU: 1
; NumVGPRsForWavesPerEU: 1
; NamedBarCnt: 0
; Occupancy: 16
; WaveLimiterHint : 0
; COMPUTE_PGM_RSRC2:SCRATCH_EN: 0
; COMPUTE_PGM_RSRC2:USER_SGPR: 2
; COMPUTE_PGM_RSRC2:TRAP_HANDLER: 0
; COMPUTE_PGM_RSRC2:TGID_X_EN: 1
; COMPUTE_PGM_RSRC2:TGID_Y_EN: 0
; COMPUTE_PGM_RSRC2:TGID_Z_EN: 0
; COMPUTE_PGM_RSRC2:TIDIG_COMP_CNT: 0
	.section	.text._ZN7rocprim17ROCPRIM_400000_NS6detail17trampoline_kernelINS0_13select_configILj256ELj13ELNS0_17block_load_methodE3ELS4_3ELS4_3ELNS0_20block_scan_algorithmE0ELj4294967295EEENS1_25partition_config_selectorILNS1_17partition_subalgoE3EjNS0_10empty_typeEbEEZZNS1_14partition_implILS8_3ELb0ES6_jNS0_17counting_iteratorIjlEEPS9_SE_NS0_5tupleIJPjSE_EEENSF_IJSE_SE_EEES9_SG_JZNS1_25segmented_radix_sort_implINS0_14default_configELb0EPKdPdPKlPlN2at6native12_GLOBAL__N_18offset_tEEE10hipError_tPvRmT1_PNSt15iterator_traitsISY_E10value_typeET2_T3_PNSZ_IS14_E10value_typeET4_jRbjT5_S1A_jjP12ihipStream_tbEUljE_EEESV_SW_SX_S14_S18_S1A_T6_T7_T9_mT8_S1C_bDpT10_ENKUlT_T0_E_clISt17integral_constantIbLb0EES1O_IbLb1EEEEDaS1K_S1L_EUlS1K_E_NS1_11comp_targetILNS1_3genE8ELNS1_11target_archE1030ELNS1_3gpuE2ELNS1_3repE0EEENS1_30default_config_static_selectorELNS0_4arch9wavefront6targetE0EEEvSY_,"axG",@progbits,_ZN7rocprim17ROCPRIM_400000_NS6detail17trampoline_kernelINS0_13select_configILj256ELj13ELNS0_17block_load_methodE3ELS4_3ELS4_3ELNS0_20block_scan_algorithmE0ELj4294967295EEENS1_25partition_config_selectorILNS1_17partition_subalgoE3EjNS0_10empty_typeEbEEZZNS1_14partition_implILS8_3ELb0ES6_jNS0_17counting_iteratorIjlEEPS9_SE_NS0_5tupleIJPjSE_EEENSF_IJSE_SE_EEES9_SG_JZNS1_25segmented_radix_sort_implINS0_14default_configELb0EPKdPdPKlPlN2at6native12_GLOBAL__N_18offset_tEEE10hipError_tPvRmT1_PNSt15iterator_traitsISY_E10value_typeET2_T3_PNSZ_IS14_E10value_typeET4_jRbjT5_S1A_jjP12ihipStream_tbEUljE_EEESV_SW_SX_S14_S18_S1A_T6_T7_T9_mT8_S1C_bDpT10_ENKUlT_T0_E_clISt17integral_constantIbLb0EES1O_IbLb1EEEEDaS1K_S1L_EUlS1K_E_NS1_11comp_targetILNS1_3genE8ELNS1_11target_archE1030ELNS1_3gpuE2ELNS1_3repE0EEENS1_30default_config_static_selectorELNS0_4arch9wavefront6targetE0EEEvSY_,comdat
	.globl	_ZN7rocprim17ROCPRIM_400000_NS6detail17trampoline_kernelINS0_13select_configILj256ELj13ELNS0_17block_load_methodE3ELS4_3ELS4_3ELNS0_20block_scan_algorithmE0ELj4294967295EEENS1_25partition_config_selectorILNS1_17partition_subalgoE3EjNS0_10empty_typeEbEEZZNS1_14partition_implILS8_3ELb0ES6_jNS0_17counting_iteratorIjlEEPS9_SE_NS0_5tupleIJPjSE_EEENSF_IJSE_SE_EEES9_SG_JZNS1_25segmented_radix_sort_implINS0_14default_configELb0EPKdPdPKlPlN2at6native12_GLOBAL__N_18offset_tEEE10hipError_tPvRmT1_PNSt15iterator_traitsISY_E10value_typeET2_T3_PNSZ_IS14_E10value_typeET4_jRbjT5_S1A_jjP12ihipStream_tbEUljE_EEESV_SW_SX_S14_S18_S1A_T6_T7_T9_mT8_S1C_bDpT10_ENKUlT_T0_E_clISt17integral_constantIbLb0EES1O_IbLb1EEEEDaS1K_S1L_EUlS1K_E_NS1_11comp_targetILNS1_3genE8ELNS1_11target_archE1030ELNS1_3gpuE2ELNS1_3repE0EEENS1_30default_config_static_selectorELNS0_4arch9wavefront6targetE0EEEvSY_ ; -- Begin function _ZN7rocprim17ROCPRIM_400000_NS6detail17trampoline_kernelINS0_13select_configILj256ELj13ELNS0_17block_load_methodE3ELS4_3ELS4_3ELNS0_20block_scan_algorithmE0ELj4294967295EEENS1_25partition_config_selectorILNS1_17partition_subalgoE3EjNS0_10empty_typeEbEEZZNS1_14partition_implILS8_3ELb0ES6_jNS0_17counting_iteratorIjlEEPS9_SE_NS0_5tupleIJPjSE_EEENSF_IJSE_SE_EEES9_SG_JZNS1_25segmented_radix_sort_implINS0_14default_configELb0EPKdPdPKlPlN2at6native12_GLOBAL__N_18offset_tEEE10hipError_tPvRmT1_PNSt15iterator_traitsISY_E10value_typeET2_T3_PNSZ_IS14_E10value_typeET4_jRbjT5_S1A_jjP12ihipStream_tbEUljE_EEESV_SW_SX_S14_S18_S1A_T6_T7_T9_mT8_S1C_bDpT10_ENKUlT_T0_E_clISt17integral_constantIbLb0EES1O_IbLb1EEEEDaS1K_S1L_EUlS1K_E_NS1_11comp_targetILNS1_3genE8ELNS1_11target_archE1030ELNS1_3gpuE2ELNS1_3repE0EEENS1_30default_config_static_selectorELNS0_4arch9wavefront6targetE0EEEvSY_
	.p2align	8
	.type	_ZN7rocprim17ROCPRIM_400000_NS6detail17trampoline_kernelINS0_13select_configILj256ELj13ELNS0_17block_load_methodE3ELS4_3ELS4_3ELNS0_20block_scan_algorithmE0ELj4294967295EEENS1_25partition_config_selectorILNS1_17partition_subalgoE3EjNS0_10empty_typeEbEEZZNS1_14partition_implILS8_3ELb0ES6_jNS0_17counting_iteratorIjlEEPS9_SE_NS0_5tupleIJPjSE_EEENSF_IJSE_SE_EEES9_SG_JZNS1_25segmented_radix_sort_implINS0_14default_configELb0EPKdPdPKlPlN2at6native12_GLOBAL__N_18offset_tEEE10hipError_tPvRmT1_PNSt15iterator_traitsISY_E10value_typeET2_T3_PNSZ_IS14_E10value_typeET4_jRbjT5_S1A_jjP12ihipStream_tbEUljE_EEESV_SW_SX_S14_S18_S1A_T6_T7_T9_mT8_S1C_bDpT10_ENKUlT_T0_E_clISt17integral_constantIbLb0EES1O_IbLb1EEEEDaS1K_S1L_EUlS1K_E_NS1_11comp_targetILNS1_3genE8ELNS1_11target_archE1030ELNS1_3gpuE2ELNS1_3repE0EEENS1_30default_config_static_selectorELNS0_4arch9wavefront6targetE0EEEvSY_,@function
_ZN7rocprim17ROCPRIM_400000_NS6detail17trampoline_kernelINS0_13select_configILj256ELj13ELNS0_17block_load_methodE3ELS4_3ELS4_3ELNS0_20block_scan_algorithmE0ELj4294967295EEENS1_25partition_config_selectorILNS1_17partition_subalgoE3EjNS0_10empty_typeEbEEZZNS1_14partition_implILS8_3ELb0ES6_jNS0_17counting_iteratorIjlEEPS9_SE_NS0_5tupleIJPjSE_EEENSF_IJSE_SE_EEES9_SG_JZNS1_25segmented_radix_sort_implINS0_14default_configELb0EPKdPdPKlPlN2at6native12_GLOBAL__N_18offset_tEEE10hipError_tPvRmT1_PNSt15iterator_traitsISY_E10value_typeET2_T3_PNSZ_IS14_E10value_typeET4_jRbjT5_S1A_jjP12ihipStream_tbEUljE_EEESV_SW_SX_S14_S18_S1A_T6_T7_T9_mT8_S1C_bDpT10_ENKUlT_T0_E_clISt17integral_constantIbLb0EES1O_IbLb1EEEEDaS1K_S1L_EUlS1K_E_NS1_11comp_targetILNS1_3genE8ELNS1_11target_archE1030ELNS1_3gpuE2ELNS1_3repE0EEENS1_30default_config_static_selectorELNS0_4arch9wavefront6targetE0EEEvSY_: ; @_ZN7rocprim17ROCPRIM_400000_NS6detail17trampoline_kernelINS0_13select_configILj256ELj13ELNS0_17block_load_methodE3ELS4_3ELS4_3ELNS0_20block_scan_algorithmE0ELj4294967295EEENS1_25partition_config_selectorILNS1_17partition_subalgoE3EjNS0_10empty_typeEbEEZZNS1_14partition_implILS8_3ELb0ES6_jNS0_17counting_iteratorIjlEEPS9_SE_NS0_5tupleIJPjSE_EEENSF_IJSE_SE_EEES9_SG_JZNS1_25segmented_radix_sort_implINS0_14default_configELb0EPKdPdPKlPlN2at6native12_GLOBAL__N_18offset_tEEE10hipError_tPvRmT1_PNSt15iterator_traitsISY_E10value_typeET2_T3_PNSZ_IS14_E10value_typeET4_jRbjT5_S1A_jjP12ihipStream_tbEUljE_EEESV_SW_SX_S14_S18_S1A_T6_T7_T9_mT8_S1C_bDpT10_ENKUlT_T0_E_clISt17integral_constantIbLb0EES1O_IbLb1EEEEDaS1K_S1L_EUlS1K_E_NS1_11comp_targetILNS1_3genE8ELNS1_11target_archE1030ELNS1_3gpuE2ELNS1_3repE0EEENS1_30default_config_static_selectorELNS0_4arch9wavefront6targetE0EEEvSY_
; %bb.0:
	.section	.rodata,"a",@progbits
	.p2align	6, 0x0
	.amdhsa_kernel _ZN7rocprim17ROCPRIM_400000_NS6detail17trampoline_kernelINS0_13select_configILj256ELj13ELNS0_17block_load_methodE3ELS4_3ELS4_3ELNS0_20block_scan_algorithmE0ELj4294967295EEENS1_25partition_config_selectorILNS1_17partition_subalgoE3EjNS0_10empty_typeEbEEZZNS1_14partition_implILS8_3ELb0ES6_jNS0_17counting_iteratorIjlEEPS9_SE_NS0_5tupleIJPjSE_EEENSF_IJSE_SE_EEES9_SG_JZNS1_25segmented_radix_sort_implINS0_14default_configELb0EPKdPdPKlPlN2at6native12_GLOBAL__N_18offset_tEEE10hipError_tPvRmT1_PNSt15iterator_traitsISY_E10value_typeET2_T3_PNSZ_IS14_E10value_typeET4_jRbjT5_S1A_jjP12ihipStream_tbEUljE_EEESV_SW_SX_S14_S18_S1A_T6_T7_T9_mT8_S1C_bDpT10_ENKUlT_T0_E_clISt17integral_constantIbLb0EES1O_IbLb1EEEEDaS1K_S1L_EUlS1K_E_NS1_11comp_targetILNS1_3genE8ELNS1_11target_archE1030ELNS1_3gpuE2ELNS1_3repE0EEENS1_30default_config_static_selectorELNS0_4arch9wavefront6targetE0EEEvSY_
		.amdhsa_group_segment_fixed_size 0
		.amdhsa_private_segment_fixed_size 0
		.amdhsa_kernarg_size 152
		.amdhsa_user_sgpr_count 2
		.amdhsa_user_sgpr_dispatch_ptr 0
		.amdhsa_user_sgpr_queue_ptr 0
		.amdhsa_user_sgpr_kernarg_segment_ptr 1
		.amdhsa_user_sgpr_dispatch_id 0
		.amdhsa_user_sgpr_kernarg_preload_length 0
		.amdhsa_user_sgpr_kernarg_preload_offset 0
		.amdhsa_user_sgpr_private_segment_size 0
		.amdhsa_wavefront_size32 1
		.amdhsa_uses_dynamic_stack 0
		.amdhsa_enable_private_segment 0
		.amdhsa_system_sgpr_workgroup_id_x 1
		.amdhsa_system_sgpr_workgroup_id_y 0
		.amdhsa_system_sgpr_workgroup_id_z 0
		.amdhsa_system_sgpr_workgroup_info 0
		.amdhsa_system_vgpr_workitem_id 0
		.amdhsa_next_free_vgpr 1
		.amdhsa_next_free_sgpr 1
		.amdhsa_named_barrier_count 0
		.amdhsa_reserve_vcc 0
		.amdhsa_float_round_mode_32 0
		.amdhsa_float_round_mode_16_64 0
		.amdhsa_float_denorm_mode_32 3
		.amdhsa_float_denorm_mode_16_64 3
		.amdhsa_fp16_overflow 0
		.amdhsa_memory_ordered 1
		.amdhsa_forward_progress 1
		.amdhsa_inst_pref_size 0
		.amdhsa_round_robin_scheduling 0
		.amdhsa_exception_fp_ieee_invalid_op 0
		.amdhsa_exception_fp_denorm_src 0
		.amdhsa_exception_fp_ieee_div_zero 0
		.amdhsa_exception_fp_ieee_overflow 0
		.amdhsa_exception_fp_ieee_underflow 0
		.amdhsa_exception_fp_ieee_inexact 0
		.amdhsa_exception_int_div_zero 0
	.end_amdhsa_kernel
	.section	.text._ZN7rocprim17ROCPRIM_400000_NS6detail17trampoline_kernelINS0_13select_configILj256ELj13ELNS0_17block_load_methodE3ELS4_3ELS4_3ELNS0_20block_scan_algorithmE0ELj4294967295EEENS1_25partition_config_selectorILNS1_17partition_subalgoE3EjNS0_10empty_typeEbEEZZNS1_14partition_implILS8_3ELb0ES6_jNS0_17counting_iteratorIjlEEPS9_SE_NS0_5tupleIJPjSE_EEENSF_IJSE_SE_EEES9_SG_JZNS1_25segmented_radix_sort_implINS0_14default_configELb0EPKdPdPKlPlN2at6native12_GLOBAL__N_18offset_tEEE10hipError_tPvRmT1_PNSt15iterator_traitsISY_E10value_typeET2_T3_PNSZ_IS14_E10value_typeET4_jRbjT5_S1A_jjP12ihipStream_tbEUljE_EEESV_SW_SX_S14_S18_S1A_T6_T7_T9_mT8_S1C_bDpT10_ENKUlT_T0_E_clISt17integral_constantIbLb0EES1O_IbLb1EEEEDaS1K_S1L_EUlS1K_E_NS1_11comp_targetILNS1_3genE8ELNS1_11target_archE1030ELNS1_3gpuE2ELNS1_3repE0EEENS1_30default_config_static_selectorELNS0_4arch9wavefront6targetE0EEEvSY_,"axG",@progbits,_ZN7rocprim17ROCPRIM_400000_NS6detail17trampoline_kernelINS0_13select_configILj256ELj13ELNS0_17block_load_methodE3ELS4_3ELS4_3ELNS0_20block_scan_algorithmE0ELj4294967295EEENS1_25partition_config_selectorILNS1_17partition_subalgoE3EjNS0_10empty_typeEbEEZZNS1_14partition_implILS8_3ELb0ES6_jNS0_17counting_iteratorIjlEEPS9_SE_NS0_5tupleIJPjSE_EEENSF_IJSE_SE_EEES9_SG_JZNS1_25segmented_radix_sort_implINS0_14default_configELb0EPKdPdPKlPlN2at6native12_GLOBAL__N_18offset_tEEE10hipError_tPvRmT1_PNSt15iterator_traitsISY_E10value_typeET2_T3_PNSZ_IS14_E10value_typeET4_jRbjT5_S1A_jjP12ihipStream_tbEUljE_EEESV_SW_SX_S14_S18_S1A_T6_T7_T9_mT8_S1C_bDpT10_ENKUlT_T0_E_clISt17integral_constantIbLb0EES1O_IbLb1EEEEDaS1K_S1L_EUlS1K_E_NS1_11comp_targetILNS1_3genE8ELNS1_11target_archE1030ELNS1_3gpuE2ELNS1_3repE0EEENS1_30default_config_static_selectorELNS0_4arch9wavefront6targetE0EEEvSY_,comdat
.Lfunc_end1214:
	.size	_ZN7rocprim17ROCPRIM_400000_NS6detail17trampoline_kernelINS0_13select_configILj256ELj13ELNS0_17block_load_methodE3ELS4_3ELS4_3ELNS0_20block_scan_algorithmE0ELj4294967295EEENS1_25partition_config_selectorILNS1_17partition_subalgoE3EjNS0_10empty_typeEbEEZZNS1_14partition_implILS8_3ELb0ES6_jNS0_17counting_iteratorIjlEEPS9_SE_NS0_5tupleIJPjSE_EEENSF_IJSE_SE_EEES9_SG_JZNS1_25segmented_radix_sort_implINS0_14default_configELb0EPKdPdPKlPlN2at6native12_GLOBAL__N_18offset_tEEE10hipError_tPvRmT1_PNSt15iterator_traitsISY_E10value_typeET2_T3_PNSZ_IS14_E10value_typeET4_jRbjT5_S1A_jjP12ihipStream_tbEUljE_EEESV_SW_SX_S14_S18_S1A_T6_T7_T9_mT8_S1C_bDpT10_ENKUlT_T0_E_clISt17integral_constantIbLb0EES1O_IbLb1EEEEDaS1K_S1L_EUlS1K_E_NS1_11comp_targetILNS1_3genE8ELNS1_11target_archE1030ELNS1_3gpuE2ELNS1_3repE0EEENS1_30default_config_static_selectorELNS0_4arch9wavefront6targetE0EEEvSY_, .Lfunc_end1214-_ZN7rocprim17ROCPRIM_400000_NS6detail17trampoline_kernelINS0_13select_configILj256ELj13ELNS0_17block_load_methodE3ELS4_3ELS4_3ELNS0_20block_scan_algorithmE0ELj4294967295EEENS1_25partition_config_selectorILNS1_17partition_subalgoE3EjNS0_10empty_typeEbEEZZNS1_14partition_implILS8_3ELb0ES6_jNS0_17counting_iteratorIjlEEPS9_SE_NS0_5tupleIJPjSE_EEENSF_IJSE_SE_EEES9_SG_JZNS1_25segmented_radix_sort_implINS0_14default_configELb0EPKdPdPKlPlN2at6native12_GLOBAL__N_18offset_tEEE10hipError_tPvRmT1_PNSt15iterator_traitsISY_E10value_typeET2_T3_PNSZ_IS14_E10value_typeET4_jRbjT5_S1A_jjP12ihipStream_tbEUljE_EEESV_SW_SX_S14_S18_S1A_T6_T7_T9_mT8_S1C_bDpT10_ENKUlT_T0_E_clISt17integral_constantIbLb0EES1O_IbLb1EEEEDaS1K_S1L_EUlS1K_E_NS1_11comp_targetILNS1_3genE8ELNS1_11target_archE1030ELNS1_3gpuE2ELNS1_3repE0EEENS1_30default_config_static_selectorELNS0_4arch9wavefront6targetE0EEEvSY_
                                        ; -- End function
	.set _ZN7rocprim17ROCPRIM_400000_NS6detail17trampoline_kernelINS0_13select_configILj256ELj13ELNS0_17block_load_methodE3ELS4_3ELS4_3ELNS0_20block_scan_algorithmE0ELj4294967295EEENS1_25partition_config_selectorILNS1_17partition_subalgoE3EjNS0_10empty_typeEbEEZZNS1_14partition_implILS8_3ELb0ES6_jNS0_17counting_iteratorIjlEEPS9_SE_NS0_5tupleIJPjSE_EEENSF_IJSE_SE_EEES9_SG_JZNS1_25segmented_radix_sort_implINS0_14default_configELb0EPKdPdPKlPlN2at6native12_GLOBAL__N_18offset_tEEE10hipError_tPvRmT1_PNSt15iterator_traitsISY_E10value_typeET2_T3_PNSZ_IS14_E10value_typeET4_jRbjT5_S1A_jjP12ihipStream_tbEUljE_EEESV_SW_SX_S14_S18_S1A_T6_T7_T9_mT8_S1C_bDpT10_ENKUlT_T0_E_clISt17integral_constantIbLb0EES1O_IbLb1EEEEDaS1K_S1L_EUlS1K_E_NS1_11comp_targetILNS1_3genE8ELNS1_11target_archE1030ELNS1_3gpuE2ELNS1_3repE0EEENS1_30default_config_static_selectorELNS0_4arch9wavefront6targetE0EEEvSY_.num_vgpr, 0
	.set _ZN7rocprim17ROCPRIM_400000_NS6detail17trampoline_kernelINS0_13select_configILj256ELj13ELNS0_17block_load_methodE3ELS4_3ELS4_3ELNS0_20block_scan_algorithmE0ELj4294967295EEENS1_25partition_config_selectorILNS1_17partition_subalgoE3EjNS0_10empty_typeEbEEZZNS1_14partition_implILS8_3ELb0ES6_jNS0_17counting_iteratorIjlEEPS9_SE_NS0_5tupleIJPjSE_EEENSF_IJSE_SE_EEES9_SG_JZNS1_25segmented_radix_sort_implINS0_14default_configELb0EPKdPdPKlPlN2at6native12_GLOBAL__N_18offset_tEEE10hipError_tPvRmT1_PNSt15iterator_traitsISY_E10value_typeET2_T3_PNSZ_IS14_E10value_typeET4_jRbjT5_S1A_jjP12ihipStream_tbEUljE_EEESV_SW_SX_S14_S18_S1A_T6_T7_T9_mT8_S1C_bDpT10_ENKUlT_T0_E_clISt17integral_constantIbLb0EES1O_IbLb1EEEEDaS1K_S1L_EUlS1K_E_NS1_11comp_targetILNS1_3genE8ELNS1_11target_archE1030ELNS1_3gpuE2ELNS1_3repE0EEENS1_30default_config_static_selectorELNS0_4arch9wavefront6targetE0EEEvSY_.num_agpr, 0
	.set _ZN7rocprim17ROCPRIM_400000_NS6detail17trampoline_kernelINS0_13select_configILj256ELj13ELNS0_17block_load_methodE3ELS4_3ELS4_3ELNS0_20block_scan_algorithmE0ELj4294967295EEENS1_25partition_config_selectorILNS1_17partition_subalgoE3EjNS0_10empty_typeEbEEZZNS1_14partition_implILS8_3ELb0ES6_jNS0_17counting_iteratorIjlEEPS9_SE_NS0_5tupleIJPjSE_EEENSF_IJSE_SE_EEES9_SG_JZNS1_25segmented_radix_sort_implINS0_14default_configELb0EPKdPdPKlPlN2at6native12_GLOBAL__N_18offset_tEEE10hipError_tPvRmT1_PNSt15iterator_traitsISY_E10value_typeET2_T3_PNSZ_IS14_E10value_typeET4_jRbjT5_S1A_jjP12ihipStream_tbEUljE_EEESV_SW_SX_S14_S18_S1A_T6_T7_T9_mT8_S1C_bDpT10_ENKUlT_T0_E_clISt17integral_constantIbLb0EES1O_IbLb1EEEEDaS1K_S1L_EUlS1K_E_NS1_11comp_targetILNS1_3genE8ELNS1_11target_archE1030ELNS1_3gpuE2ELNS1_3repE0EEENS1_30default_config_static_selectorELNS0_4arch9wavefront6targetE0EEEvSY_.numbered_sgpr, 0
	.set _ZN7rocprim17ROCPRIM_400000_NS6detail17trampoline_kernelINS0_13select_configILj256ELj13ELNS0_17block_load_methodE3ELS4_3ELS4_3ELNS0_20block_scan_algorithmE0ELj4294967295EEENS1_25partition_config_selectorILNS1_17partition_subalgoE3EjNS0_10empty_typeEbEEZZNS1_14partition_implILS8_3ELb0ES6_jNS0_17counting_iteratorIjlEEPS9_SE_NS0_5tupleIJPjSE_EEENSF_IJSE_SE_EEES9_SG_JZNS1_25segmented_radix_sort_implINS0_14default_configELb0EPKdPdPKlPlN2at6native12_GLOBAL__N_18offset_tEEE10hipError_tPvRmT1_PNSt15iterator_traitsISY_E10value_typeET2_T3_PNSZ_IS14_E10value_typeET4_jRbjT5_S1A_jjP12ihipStream_tbEUljE_EEESV_SW_SX_S14_S18_S1A_T6_T7_T9_mT8_S1C_bDpT10_ENKUlT_T0_E_clISt17integral_constantIbLb0EES1O_IbLb1EEEEDaS1K_S1L_EUlS1K_E_NS1_11comp_targetILNS1_3genE8ELNS1_11target_archE1030ELNS1_3gpuE2ELNS1_3repE0EEENS1_30default_config_static_selectorELNS0_4arch9wavefront6targetE0EEEvSY_.num_named_barrier, 0
	.set _ZN7rocprim17ROCPRIM_400000_NS6detail17trampoline_kernelINS0_13select_configILj256ELj13ELNS0_17block_load_methodE3ELS4_3ELS4_3ELNS0_20block_scan_algorithmE0ELj4294967295EEENS1_25partition_config_selectorILNS1_17partition_subalgoE3EjNS0_10empty_typeEbEEZZNS1_14partition_implILS8_3ELb0ES6_jNS0_17counting_iteratorIjlEEPS9_SE_NS0_5tupleIJPjSE_EEENSF_IJSE_SE_EEES9_SG_JZNS1_25segmented_radix_sort_implINS0_14default_configELb0EPKdPdPKlPlN2at6native12_GLOBAL__N_18offset_tEEE10hipError_tPvRmT1_PNSt15iterator_traitsISY_E10value_typeET2_T3_PNSZ_IS14_E10value_typeET4_jRbjT5_S1A_jjP12ihipStream_tbEUljE_EEESV_SW_SX_S14_S18_S1A_T6_T7_T9_mT8_S1C_bDpT10_ENKUlT_T0_E_clISt17integral_constantIbLb0EES1O_IbLb1EEEEDaS1K_S1L_EUlS1K_E_NS1_11comp_targetILNS1_3genE8ELNS1_11target_archE1030ELNS1_3gpuE2ELNS1_3repE0EEENS1_30default_config_static_selectorELNS0_4arch9wavefront6targetE0EEEvSY_.private_seg_size, 0
	.set _ZN7rocprim17ROCPRIM_400000_NS6detail17trampoline_kernelINS0_13select_configILj256ELj13ELNS0_17block_load_methodE3ELS4_3ELS4_3ELNS0_20block_scan_algorithmE0ELj4294967295EEENS1_25partition_config_selectorILNS1_17partition_subalgoE3EjNS0_10empty_typeEbEEZZNS1_14partition_implILS8_3ELb0ES6_jNS0_17counting_iteratorIjlEEPS9_SE_NS0_5tupleIJPjSE_EEENSF_IJSE_SE_EEES9_SG_JZNS1_25segmented_radix_sort_implINS0_14default_configELb0EPKdPdPKlPlN2at6native12_GLOBAL__N_18offset_tEEE10hipError_tPvRmT1_PNSt15iterator_traitsISY_E10value_typeET2_T3_PNSZ_IS14_E10value_typeET4_jRbjT5_S1A_jjP12ihipStream_tbEUljE_EEESV_SW_SX_S14_S18_S1A_T6_T7_T9_mT8_S1C_bDpT10_ENKUlT_T0_E_clISt17integral_constantIbLb0EES1O_IbLb1EEEEDaS1K_S1L_EUlS1K_E_NS1_11comp_targetILNS1_3genE8ELNS1_11target_archE1030ELNS1_3gpuE2ELNS1_3repE0EEENS1_30default_config_static_selectorELNS0_4arch9wavefront6targetE0EEEvSY_.uses_vcc, 0
	.set _ZN7rocprim17ROCPRIM_400000_NS6detail17trampoline_kernelINS0_13select_configILj256ELj13ELNS0_17block_load_methodE3ELS4_3ELS4_3ELNS0_20block_scan_algorithmE0ELj4294967295EEENS1_25partition_config_selectorILNS1_17partition_subalgoE3EjNS0_10empty_typeEbEEZZNS1_14partition_implILS8_3ELb0ES6_jNS0_17counting_iteratorIjlEEPS9_SE_NS0_5tupleIJPjSE_EEENSF_IJSE_SE_EEES9_SG_JZNS1_25segmented_radix_sort_implINS0_14default_configELb0EPKdPdPKlPlN2at6native12_GLOBAL__N_18offset_tEEE10hipError_tPvRmT1_PNSt15iterator_traitsISY_E10value_typeET2_T3_PNSZ_IS14_E10value_typeET4_jRbjT5_S1A_jjP12ihipStream_tbEUljE_EEESV_SW_SX_S14_S18_S1A_T6_T7_T9_mT8_S1C_bDpT10_ENKUlT_T0_E_clISt17integral_constantIbLb0EES1O_IbLb1EEEEDaS1K_S1L_EUlS1K_E_NS1_11comp_targetILNS1_3genE8ELNS1_11target_archE1030ELNS1_3gpuE2ELNS1_3repE0EEENS1_30default_config_static_selectorELNS0_4arch9wavefront6targetE0EEEvSY_.uses_flat_scratch, 0
	.set _ZN7rocprim17ROCPRIM_400000_NS6detail17trampoline_kernelINS0_13select_configILj256ELj13ELNS0_17block_load_methodE3ELS4_3ELS4_3ELNS0_20block_scan_algorithmE0ELj4294967295EEENS1_25partition_config_selectorILNS1_17partition_subalgoE3EjNS0_10empty_typeEbEEZZNS1_14partition_implILS8_3ELb0ES6_jNS0_17counting_iteratorIjlEEPS9_SE_NS0_5tupleIJPjSE_EEENSF_IJSE_SE_EEES9_SG_JZNS1_25segmented_radix_sort_implINS0_14default_configELb0EPKdPdPKlPlN2at6native12_GLOBAL__N_18offset_tEEE10hipError_tPvRmT1_PNSt15iterator_traitsISY_E10value_typeET2_T3_PNSZ_IS14_E10value_typeET4_jRbjT5_S1A_jjP12ihipStream_tbEUljE_EEESV_SW_SX_S14_S18_S1A_T6_T7_T9_mT8_S1C_bDpT10_ENKUlT_T0_E_clISt17integral_constantIbLb0EES1O_IbLb1EEEEDaS1K_S1L_EUlS1K_E_NS1_11comp_targetILNS1_3genE8ELNS1_11target_archE1030ELNS1_3gpuE2ELNS1_3repE0EEENS1_30default_config_static_selectorELNS0_4arch9wavefront6targetE0EEEvSY_.has_dyn_sized_stack, 0
	.set _ZN7rocprim17ROCPRIM_400000_NS6detail17trampoline_kernelINS0_13select_configILj256ELj13ELNS0_17block_load_methodE3ELS4_3ELS4_3ELNS0_20block_scan_algorithmE0ELj4294967295EEENS1_25partition_config_selectorILNS1_17partition_subalgoE3EjNS0_10empty_typeEbEEZZNS1_14partition_implILS8_3ELb0ES6_jNS0_17counting_iteratorIjlEEPS9_SE_NS0_5tupleIJPjSE_EEENSF_IJSE_SE_EEES9_SG_JZNS1_25segmented_radix_sort_implINS0_14default_configELb0EPKdPdPKlPlN2at6native12_GLOBAL__N_18offset_tEEE10hipError_tPvRmT1_PNSt15iterator_traitsISY_E10value_typeET2_T3_PNSZ_IS14_E10value_typeET4_jRbjT5_S1A_jjP12ihipStream_tbEUljE_EEESV_SW_SX_S14_S18_S1A_T6_T7_T9_mT8_S1C_bDpT10_ENKUlT_T0_E_clISt17integral_constantIbLb0EES1O_IbLb1EEEEDaS1K_S1L_EUlS1K_E_NS1_11comp_targetILNS1_3genE8ELNS1_11target_archE1030ELNS1_3gpuE2ELNS1_3repE0EEENS1_30default_config_static_selectorELNS0_4arch9wavefront6targetE0EEEvSY_.has_recursion, 0
	.set _ZN7rocprim17ROCPRIM_400000_NS6detail17trampoline_kernelINS0_13select_configILj256ELj13ELNS0_17block_load_methodE3ELS4_3ELS4_3ELNS0_20block_scan_algorithmE0ELj4294967295EEENS1_25partition_config_selectorILNS1_17partition_subalgoE3EjNS0_10empty_typeEbEEZZNS1_14partition_implILS8_3ELb0ES6_jNS0_17counting_iteratorIjlEEPS9_SE_NS0_5tupleIJPjSE_EEENSF_IJSE_SE_EEES9_SG_JZNS1_25segmented_radix_sort_implINS0_14default_configELb0EPKdPdPKlPlN2at6native12_GLOBAL__N_18offset_tEEE10hipError_tPvRmT1_PNSt15iterator_traitsISY_E10value_typeET2_T3_PNSZ_IS14_E10value_typeET4_jRbjT5_S1A_jjP12ihipStream_tbEUljE_EEESV_SW_SX_S14_S18_S1A_T6_T7_T9_mT8_S1C_bDpT10_ENKUlT_T0_E_clISt17integral_constantIbLb0EES1O_IbLb1EEEEDaS1K_S1L_EUlS1K_E_NS1_11comp_targetILNS1_3genE8ELNS1_11target_archE1030ELNS1_3gpuE2ELNS1_3repE0EEENS1_30default_config_static_selectorELNS0_4arch9wavefront6targetE0EEEvSY_.has_indirect_call, 0
	.section	.AMDGPU.csdata,"",@progbits
; Kernel info:
; codeLenInByte = 0
; TotalNumSgprs: 0
; NumVgprs: 0
; ScratchSize: 0
; MemoryBound: 0
; FloatMode: 240
; IeeeMode: 1
; LDSByteSize: 0 bytes/workgroup (compile time only)
; SGPRBlocks: 0
; VGPRBlocks: 0
; NumSGPRsForWavesPerEU: 1
; NumVGPRsForWavesPerEU: 1
; NamedBarCnt: 0
; Occupancy: 16
; WaveLimiterHint : 0
; COMPUTE_PGM_RSRC2:SCRATCH_EN: 0
; COMPUTE_PGM_RSRC2:USER_SGPR: 2
; COMPUTE_PGM_RSRC2:TRAP_HANDLER: 0
; COMPUTE_PGM_RSRC2:TGID_X_EN: 1
; COMPUTE_PGM_RSRC2:TGID_Y_EN: 0
; COMPUTE_PGM_RSRC2:TGID_Z_EN: 0
; COMPUTE_PGM_RSRC2:TIDIG_COMP_CNT: 0
	.text
	.p2align	2                               ; -- Begin function _ZN7rocprim17ROCPRIM_400000_NS6detail40segmented_radix_sort_single_block_helperIdlLj256ELj16ELb0EE4sortIPKdPdPKlPlEEbT_T0_T1_T2_jjjjRNS3_12storage_typeE
	.type	_ZN7rocprim17ROCPRIM_400000_NS6detail40segmented_radix_sort_single_block_helperIdlLj256ELj16ELb0EE4sortIPKdPdPKlPlEEbT_T0_T1_T2_jjjjRNS3_12storage_typeE,@function
_ZN7rocprim17ROCPRIM_400000_NS6detail40segmented_radix_sort_single_block_helperIdlLj256ELj16ELb0EE4sortIPKdPdPKlPlEEbT_T0_T1_T2_jjjjRNS3_12storage_typeE: ; @_ZN7rocprim17ROCPRIM_400000_NS6detail40segmented_radix_sort_single_block_helperIdlLj256ELj16ELb0EE4sortIPKdPdPKlPlEEbT_T0_T1_T2_jjjjRNS3_12storage_typeE
; %bb.0:
	s_wait_loadcnt_dscnt 0x0
	s_wait_kmcnt 0x0
	s_set_vgpr_msb 64                       ;  msbs: dst=1 src0=0 src1=0 src2=0
	v_sub_nc_u32_e32 v34 /*v290*/, v9, v8
	s_mov_b32 s24, exec_lo
	s_set_vgpr_msb 4                        ;  msbs: dst=0 src0=0 src1=1 src2=0
	s_delay_alu instid0(VALU_DEP_1)
	v_cmpx_gt_u32_e32 0x1001, v34 /*v290*/
	s_set_vgpr_msb 0                        ;  msbs: dst=0 src0=0 src1=0 src2=0
	s_cbranch_execz .LBB1215_372
; %bb.1:
	v_bfe_u32 v9, v31, 10, 10
	v_bfe_u32 v14, v31, 20, 10
	v_and_b32_e32 v22, 0x3ff, v31
	s_set_vgpr_msb 64                       ;  msbs: dst=1 src0=0 src1=0 src2=0
	v_mbcnt_lo_u32_b32 v2 /*v258*/, -1, 0
	s_getreg_b32 s25, hwreg(HW_REG_IB_STS2, 6, 4)
	s_mov_b32 s0, exec_lo
	s_set_vgpr_msb 4                        ;  msbs: dst=0 src0=0 src1=1 src2=0
	v_cmpx_lt_u32_e32 0x800, v34 /*v290*/
	s_xor_b32 s26, exec_lo, s0
	s_set_vgpr_msb 0                        ;  msbs: dst=0 src0=0 src1=0 src2=0
	s_cbranch_execz .LBB1215_143
; %bb.2:
	s_load_b64 s[0:1], s[8:9], 0x0
	s_bfe_u32 s3, ttmp6, 0x4000c
	s_bfe_u32 s5, ttmp6, 0x40010
	s_and_b32 s4, ttmp7, 0xffff
	s_add_co_i32 s3, s3, 1
	s_add_co_i32 s5, s5, 1
	s_and_b32 s2, ttmp6, 15
	s_bfe_u32 s6, ttmp6, 0x40004
	s_mul_i32 s3, ttmp9, s3
	s_mul_i32 s5, s4, s5
	s_add_co_i32 s2, s2, s3
	s_add_co_i32 s6, s6, s5
	s_cmp_eq_u32 s25, 0
	s_cselect_b32 s2, ttmp9, s2
	s_cselect_b32 s3, s4, s6
	s_wait_kmcnt 0x0
	s_cmp_lt_u32 s2, s0
	s_cselect_b32 s0, 12, 18
	s_cmp_lt_u32 s3, s1
	s_mov_b32 s1, 0
	s_cselect_b32 s2, 14, 20
	s_mov_b32 s3, s1
	s_add_nc_u64 s[0:1], s[8:9], s[0:1]
	s_add_nc_u64 s[2:3], s[8:9], s[2:3]
	s_clause 0x1
	s_load_u16 s0, s[0:1], 0x0
	s_nop 0
	s_load_u16 s2, s[2:3], 0x0
	s_wait_kmcnt 0x0
	v_mad_u32_u24 v9, v14, s2, v9
	s_delay_alu instid0(VALU_DEP_1) | instskip(NEXT) | instid1(VALU_DEP_1)
	v_mad_u32 v38, v9, s0, v22
	v_dual_mov_b32 v9, 0 :: v_dual_lshlrev_b32 v14, 4, v38
	s_delay_alu instid0(VALU_DEP_1)
	v_lshl_add_u64 v[0:1], v[8:9], 3, v[0:1]
	s_set_vgpr_msb 4                        ;  msbs: dst=0 src0=0 src1=1 src2=0
	v_dual_mov_b32 v65, v9 :: v_dual_lshlrev_b32 v64, 3, v2 /*v258*/
	s_set_vgpr_msb 0                        ;  msbs: dst=0 src0=0 src1=0 src2=0
	v_and_b32_e32 v66, 0xfffffe00, v14
	v_mov_b32_e32 v67, v9
	v_mov_b64_e32 v[14:15], 0x7fffffffffffffff
	v_add_nc_u64_e32 v[16:17], v[0:1], v[64:65]
	v_mov_b64_e32 v[0:1], 0x7fffffffffffffff
	s_set_vgpr_msb 4                        ;  msbs: dst=0 src0=0 src1=1 src2=0
	v_or_b32_e32 v23, v66, v2 /*v258*/
	s_delay_alu instid0(VALU_DEP_3) | instskip(NEXT) | instid1(VALU_DEP_2)
	v_lshl_add_u64 v[68:69], v[66:67], 3, v[16:17]
	v_cmp_lt_u32_e32 vcc_lo, v23, v34 /*v290*/
	s_and_saveexec_b32 s0, vcc_lo
	s_set_vgpr_msb 0                        ;  msbs: dst=0 src0=0 src1=0 src2=0
	s_cbranch_execz .LBB1215_4
; %bb.3:
	flat_load_b64 v[14:15], v[68:69]
.LBB1215_4:
	s_wait_xcnt 0x0
	s_or_b32 exec_lo, exec_lo, s0
	v_or_b32_e32 v16, 32, v23
	s_set_vgpr_msb 4                        ;  msbs: dst=0 src0=0 src1=1 src2=0
	s_delay_alu instid0(VALU_DEP_1)
	v_cmp_lt_u32_e64 s0, v16, v34 /*v290*/
	s_and_saveexec_b32 s1, s0
	s_set_vgpr_msb 0                        ;  msbs: dst=0 src0=0 src1=0 src2=0
	s_cbranch_execz .LBB1215_6
; %bb.5:
	flat_load_b64 v[0:1], v[68:69] offset:256
.LBB1215_6:
	s_wait_xcnt 0x0
	s_or_b32 exec_lo, exec_lo, s1
	v_or_b32_e32 v20, 64, v23
	v_mov_b64_e32 v[16:17], 0x7fffffffffffffff
	v_mov_b64_e32 v[18:19], 0x7fffffffffffffff
	s_set_vgpr_msb 4                        ;  msbs: dst=0 src0=0 src1=1 src2=0
	s_delay_alu instid0(VALU_DEP_3)
	v_cmp_lt_u32_e64 s1, v20, v34 /*v290*/
	s_and_saveexec_b32 s2, s1
	s_set_vgpr_msb 0                        ;  msbs: dst=0 src0=0 src1=0 src2=0
	s_cbranch_execz .LBB1215_8
; %bb.7:
	flat_load_b64 v[18:19], v[68:69] offset:512
.LBB1215_8:
	s_wait_xcnt 0x0
	s_or_b32 exec_lo, exec_lo, s2
	v_or_b32_e32 v20, 0x60, v23
	s_set_vgpr_msb 4                        ;  msbs: dst=0 src0=0 src1=1 src2=0
	s_delay_alu instid0(VALU_DEP_1)
	v_cmp_lt_u32_e64 s2, v20, v34 /*v290*/
	s_and_saveexec_b32 s3, s2
	s_set_vgpr_msb 0                        ;  msbs: dst=0 src0=0 src1=0 src2=0
	s_cbranch_execz .LBB1215_10
; %bb.9:
	flat_load_b64 v[16:17], v[68:69] offset:768
.LBB1215_10:
	s_wait_xcnt 0x0
	s_or_b32 exec_lo, exec_lo, s3
	v_or_b32_e32 v26, 0x80, v23
	v_mov_b64_e32 v[20:21], 0x7fffffffffffffff
	v_mov_b64_e32 v[24:25], 0x7fffffffffffffff
	s_set_vgpr_msb 4                        ;  msbs: dst=0 src0=0 src1=1 src2=0
	s_delay_alu instid0(VALU_DEP_3)
	v_cmp_lt_u32_e64 s3, v26, v34 /*v290*/
	s_and_saveexec_b32 s4, s3
	s_set_vgpr_msb 0                        ;  msbs: dst=0 src0=0 src1=0 src2=0
	s_cbranch_execz .LBB1215_12
; %bb.11:
	flat_load_b64 v[24:25], v[68:69] offset:1024
.LBB1215_12:
	;; [unrolled: 26-line block ×7, first 2 shown]
	s_wait_xcnt 0x0
	s_or_b32 exec_lo, exec_lo, s16
	v_or_b32_e32 v23, 0x1e0, v23
	s_set_vgpr_msb 4                        ;  msbs: dst=0 src0=0 src1=1 src2=0
	s_delay_alu instid0(VALU_DEP_1)
	v_cmp_lt_u32_e64 s16, v23, v34 /*v290*/
	s_and_saveexec_b32 s17, s16
	s_set_vgpr_msb 0                        ;  msbs: dst=0 src0=0 src1=0 src2=0
	s_cbranch_execz .LBB1215_34
; %bb.33:
	flat_load_b64 v[52:53], v[68:69] offset:3840
.LBB1215_34:
	s_wait_xcnt 0x0
	s_or_b32 exec_lo, exec_lo, s17
	v_lshl_add_u64 v[4:5], v[8:9], 3, v[4:5]
	v_mov_b32_e32 v65, 0
                                        ; implicit-def: $vgpr132_vgpr133
	s_delay_alu instid0(VALU_DEP_1) | instskip(NEXT) | instid1(VALU_DEP_1)
	v_add_nc_u64_e32 v[4:5], v[4:5], v[64:65]
	v_lshl_add_u64 v[4:5], v[66:67], 3, v[4:5]
	s_and_saveexec_b32 s17, vcc_lo
	s_cbranch_execnz .LBB1215_196
; %bb.35:
	s_or_b32 exec_lo, exec_lo, s17
                                        ; implicit-def: $vgpr130_vgpr131
	s_and_saveexec_b32 s17, s0
	s_cbranch_execnz .LBB1215_197
.LBB1215_36:
	s_or_b32 exec_lo, exec_lo, s17
                                        ; implicit-def: $vgpr134_vgpr135
	s_and_saveexec_b32 s0, s1
	s_cbranch_execnz .LBB1215_198
.LBB1215_37:
	s_or_b32 exec_lo, exec_lo, s0
                                        ; implicit-def: $vgpr146_vgpr147
	s_and_saveexec_b32 s0, s2
	s_cbranch_execnz .LBB1215_199
.LBB1215_38:
	s_or_b32 exec_lo, exec_lo, s0
                                        ; implicit-def: $vgpr150_vgpr151
	s_and_saveexec_b32 s0, s3
	s_cbranch_execnz .LBB1215_200
.LBB1215_39:
	s_or_b32 exec_lo, exec_lo, s0
                                        ; implicit-def: $vgpr144_vgpr145
	s_and_saveexec_b32 s0, s4
	s_cbranch_execnz .LBB1215_201
.LBB1215_40:
	s_or_b32 exec_lo, exec_lo, s0
                                        ; implicit-def: $vgpr148_vgpr149
	s_and_saveexec_b32 s0, s5
	s_cbranch_execnz .LBB1215_202
.LBB1215_41:
	s_or_b32 exec_lo, exec_lo, s0
                                        ; implicit-def: $vgpr160_vgpr161
	s_and_saveexec_b32 s0, s6
	s_cbranch_execnz .LBB1215_203
.LBB1215_42:
	s_or_b32 exec_lo, exec_lo, s0
                                        ; implicit-def: $vgpr162_vgpr163
	s_and_saveexec_b32 s0, s7
	s_cbranch_execnz .LBB1215_204
.LBB1215_43:
	s_or_b32 exec_lo, exec_lo, s0
                                        ; implicit-def: $vgpr164_vgpr165
	s_and_saveexec_b32 s0, s10
	s_cbranch_execnz .LBB1215_205
.LBB1215_44:
	s_or_b32 exec_lo, exec_lo, s0
                                        ; implicit-def: $vgpr166_vgpr167
	s_and_saveexec_b32 s0, s11
	s_cbranch_execnz .LBB1215_206
.LBB1215_45:
	s_or_b32 exec_lo, exec_lo, s0
                                        ; implicit-def: $vgpr176_vgpr177
	s_and_saveexec_b32 s0, s12
	s_cbranch_execnz .LBB1215_207
.LBB1215_46:
	s_or_b32 exec_lo, exec_lo, s0
                                        ; implicit-def: $vgpr178_vgpr179
	s_and_saveexec_b32 s0, s13
	s_cbranch_execnz .LBB1215_208
.LBB1215_47:
	s_or_b32 exec_lo, exec_lo, s0
                                        ; implicit-def: $vgpr180_vgpr181
	s_and_saveexec_b32 s0, s14
	s_cbranch_execnz .LBB1215_209
.LBB1215_48:
	s_or_b32 exec_lo, exec_lo, s0
                                        ; implicit-def: $vgpr194_vgpr195
	s_and_saveexec_b32 s0, s15
	s_cbranch_execnz .LBB1215_210
.LBB1215_49:
	s_or_b32 exec_lo, exec_lo, s0
                                        ; implicit-def: $vgpr208_vgpr209
	s_and_saveexec_b32 s0, s16
	s_cbranch_execz .LBB1215_51
.LBB1215_50:
	flat_load_b64 v[208:209], v[4:5] offset:3840
.LBB1215_51:
	s_wait_xcnt 0x0
	s_or_b32 exec_lo, exec_lo, s0
	s_wait_loadcnt_dscnt 0x0
	v_cmp_lt_i64_e32 vcc_lo, -1, v[14:15]
	s_get_pc_i64 s[0:1]
	s_add_nc_u64 s[0:1], s[0:1], _ZN7rocprim17ROCPRIM_400000_NS16block_radix_sortIdLj256ELj16ElLj1ELj1ELj8ELNS0_26block_radix_rank_algorithmE2ELNS0_18block_padding_hintE2ELNS0_4arch9wavefront6targetE0EE19radix_bits_per_passE@rel64+4
	v_cmp_lt_u32_e64 s7, 31, v22
	s_load_b32 s27, s[0:1], 0x0
	v_cmp_eq_u32_e64 s10, 0, v22
	s_set_vgpr_msb 64                       ;  msbs: dst=1 src0=0 src1=0 src2=0
	v_lshl_add_u32 v44 /*v300*/, v22, 2, v12
	s_mov_b64 s[22:23], 0x7fffffffffffffff
	s_set_vgpr_msb 0                        ;  msbs: dst=0 src0=0 src1=0 src2=0
	v_cndmask_b32_e64 v4, -1, 0x80000000, vcc_lo
	v_cmp_lt_i64_e32 vcc_lo, -1, v[0:1]
	v_ashrrev_i32_e32 v5, 31, v15
	s_mov_b32 s28, 0
	s_wait_storecnt 0x0
	v_dual_ashrrev_i32 v15, 31, v1 :: v_dual_bitop2_b32 v229, v4, v15 bitop3:0x14
	s_delay_alu instid0(VALU_DEP_2) | instskip(SKIP_4) | instid1(VALU_DEP_3)
	v_xor_b32_e32 v228, v5, v14
	v_cndmask_b32_e64 v4, -1, 0x80000000, vcc_lo
	v_cmp_lt_i64_e32 vcc_lo, -1, v[18:19]
	s_barrier_signal -1
	v_dual_ashrrev_i32 v0, 31, v19 :: v_dual_bitop2_b32 v182, v15, v0 bitop3:0x14
	v_xor_b32_e32 v183, v4, v1
	v_ashrrev_i32_e32 v4, 31, v17
	v_mov_b64_e32 v[14:15], 0
	v_cndmask_b32_e64 v23, -1, 0x80000000, vcc_lo
	v_cmp_lt_i64_e32 vcc_lo, -1, v[16:17]
	v_dual_ashrrev_i32 v0, 31, v25 :: v_dual_bitop2_b32 v192, v0, v18 bitop3:0x14
	v_xor_b32_e32 v210, v4, v16
	s_delay_alu instid0(VALU_DEP_4)
	v_dual_ashrrev_i32 v4, 31, v21 :: v_dual_bitop2_b32 v193, v23, v19 bitop3:0x14
	s_barrier_wait -1
	v_cndmask_b32_e64 v1, -1, 0x80000000, vcc_lo
	v_cmp_lt_i64_e32 vcc_lo, -1, v[24:25]
	v_dual_ashrrev_i32 v0, 31, v29 :: v_dual_bitop2_b32 v198, v0, v24 bitop3:0x14
	v_xor_b32_e32 v226, v4, v20
	s_delay_alu instid0(VALU_DEP_4) | instskip(SKIP_3) | instid1(VALU_DEP_4)
	v_dual_ashrrev_i32 v4, 31, v27 :: v_dual_bitop2_b32 v211, v1, v17 bitop3:0x14
	v_cndmask_b32_e64 v5, -1, 0x80000000, vcc_lo
	v_cmp_lt_i64_e32 vcc_lo, -1, v[20:21]
	v_dual_ashrrev_i32 v0, 31, v33 :: v_dual_bitop2_b32 v224, v0, v28 bitop3:0x14
	v_xor_b32_e32 v240, v4, v26
	s_delay_alu instid0(VALU_DEP_4)
	v_dual_ashrrev_i32 v4, 31, v31 :: v_dual_bitop2_b32 v199, v5, v25 bitop3:0x14
	s_set_vgpr_msb 64                       ;  msbs: dst=1 src0=0 src1=0 src2=0
	v_lshrrev_b32_e32 v41 /*v297*/, 5, v38
	s_set_vgpr_msb 0                        ;  msbs: dst=0 src0=0 src1=0 src2=0
	v_cndmask_b32_e64 v1, -1, 0x80000000, vcc_lo
	v_cmp_lt_i64_e32 vcc_lo, -1, v[28:29]
	s_set_vgpr_msb 64                       ;  msbs: dst=1 src0=0 src1=0 src2=0
	v_sub_nc_u32_e32 v62 /*v318*/, v11, v10
	s_set_vgpr_msb 0                        ;  msbs: dst=0 src0=0 src1=0 src2=0
	v_dual_ashrrev_i32 v4, 31, v35 :: v_dual_bitop2_b32 v246, v4, v30 bitop3:0x14
	v_xor_b32_e32 v227, v1, v21
	v_cndmask_b32_e64 v5, -1, 0x80000000, vcc_lo
	v_cmp_lt_i64_e32 vcc_lo, -1, v[26:27]
	s_delay_alu instid0(VALU_DEP_4) | instskip(NEXT) | instid1(VALU_DEP_3)
	v_dual_ashrrev_i32 v4, 31, v49 :: v_dual_bitop2_b32 v212, v4, v34 bitop3:0x14
	v_xor_b32_e32 v225, v5, v29
	v_cndmask_b32_e64 v1, -1, 0x80000000, vcc_lo
	v_cmp_lt_i64_e32 vcc_lo, -1, v[32:33]
	s_delay_alu instid0(VALU_DEP_4) | instskip(NEXT) | instid1(VALU_DEP_3)
	v_dual_ashrrev_i32 v4, 31, v53 :: v_dual_bitop2_b32 v230, v4, v48 bitop3:0x14
	v_xor_b32_e32 v241, v1, v27
	v_cndmask_b32_e64 v5, -1, 0x80000000, vcc_lo
	v_cmp_lt_i64_e32 vcc_lo, -1, v[30:31]
	s_delay_alu instid0(VALU_DEP_2) | instskip(SKIP_2) | instid1(VALU_DEP_2)
	v_xor_b32_e32 v243, v5, v33
	v_cndmask_b32_e64 v1, -1, 0x80000000, vcc_lo
	v_cmp_lt_i64_e32 vcc_lo, -1, v[36:37]
	v_xor_b32_e32 v247, v1, v31
	v_cndmask_b32_e64 v5, -1, 0x80000000, vcc_lo
	v_cmp_lt_i64_e32 vcc_lo, -1, v[34:35]
	s_delay_alu instid0(VALU_DEP_2) | instskip(SKIP_2) | instid1(VALU_DEP_2)
	v_xor_b32_e32 v197, v5, v37
	v_cndmask_b32_e64 v1, -1, 0x80000000, vcc_lo
	v_cmp_lt_i64_e32 vcc_lo, -1, v[50:51]
	;; [unrolled: 7-line block ×3, first 2 shown]
	v_xor_b32_e32 v231, v1, v49
	v_cndmask_b32_e64 v5, -1, 0x80000000, vcc_lo
	v_cmp_lt_i64_e32 vcc_lo, -1, v[52:53]
	s_delay_alu instid0(VALU_DEP_2) | instskip(SKIP_4) | instid1(VALU_DEP_3)
	v_xor_b32_e32 v245, v5, v55
	v_lshl_add_u32 v5, v22, 5, v12
	v_dual_ashrrev_i32 v0, 31, v37 :: v_dual_bitop2_b32 v242, v0, v32 bitop3:0x14
	v_cndmask_b32_e64 v1, -1, 0x80000000, vcc_lo
	s_set_vgpr_msb 64                       ;  msbs: dst=1 src0=0 src1=0 src2=0
	v_dual_add_nc_u32 v35 /*v291*/, 40, v5 :: v_dual_bitop2_b32 v0 /*v256*/, v4, v52 bitop3:0x14
	s_set_vgpr_msb 0                        ;  msbs: dst=0 src0=0 src1=0 src2=0
	v_dual_add_nc_u32 v23, 32, v5 :: v_dual_bitop2_b32 v196, v0, v36 bitop3:0x14
	v_dual_ashrrev_i32 v0, 31, v51 :: v_dual_add_nc_u32 v39, 36, v5
	s_set_vgpr_msb 64                       ;  msbs: dst=1 src0=0 src1=0 src2=0
	v_dual_add_nc_u32 v36 /*v292*/, 44, v5 :: v_dual_add_nc_u32 v37 /*v293*/, 48, v5
	v_dual_add_nc_u32 v38 /*v294*/, 52, v5 :: v_dual_add_nc_u32 v39 /*v295*/, 56, v5
	s_set_vgpr_msb 0                        ;  msbs: dst=0 src0=0 src1=0 src2=0
	v_dual_ashrrev_i32 v0, 31, v55 :: v_dual_bitop2_b32 v214, v0, v50 bitop3:0x14
	s_set_vgpr_msb 64                       ;  msbs: dst=1 src0=0 src1=0 src2=0
	v_xor_b32_e32 v1 /*v257*/, v1, v53
	s_set_vgpr_msb 4                        ;  msbs: dst=0 src0=0 src1=1 src2=0
	v_and_b32_e32 v1, 15, v2 /*v258*/
	s_set_vgpr_msb 0                        ;  msbs: dst=0 src0=0 src1=0 src2=0
	v_xor_b32_e32 v244, v0, v54
	v_and_b32_e32 v0, 0x3e0, v22
	s_delay_alu instid0(VALU_DEP_3)
	v_cmp_eq_u32_e32 vcc_lo, 0, v1
	s_wait_xcnt 0x0
	v_cmp_lt_u32_e64 s0, 1, v1
	v_cmp_lt_u32_e64 s1, 3, v1
	;; [unrolled: 1-line block ×3, first 2 shown]
	v_min_u32_e32 v0, 0xe0, v0
	s_delay_alu instid0(VALU_DEP_1) | instskip(NEXT) | instid1(VALU_DEP_1)
	v_or_b32_e32 v0, 31, v0
	v_cmp_eq_u32_e64 s5, v22, v0
	v_lshrrev_b32_e32 v0, 3, v22
	s_delay_alu instid0(VALU_DEP_1)
	v_and_b32_e32 v0, 0x7c, v0
	s_set_vgpr_msb 64                       ;  msbs: dst=1 src0=0 src1=0 src2=0
	v_add_nc_u32_e32 v40 /*v296*/, 60, v5
	s_set_vgpr_msb 1                        ;  msbs: dst=0 src0=1 src1=0 src2=0
	v_sub_co_u32 v5, s2, v2 /*v258*/, 1
	s_set_vgpr_msb 64                       ;  msbs: dst=1 src0=0 src1=0 src2=0
	v_add_nc_u32_e32 v43 /*v299*/, v12, v0
	v_cmp_gt_i32_e64 s6, 0, v5
	s_set_vgpr_msb 4                        ;  msbs: dst=0 src0=0 src1=1 src2=0
	v_and_b32_e32 v4, 16, v2 /*v258*/
	s_set_vgpr_msb 0x44                     ;  msbs: dst=1 src0=0 src1=1 src2=0
	v_add_nc_u32_e32 v46 /*v302*/, -4, v43 /*v299*/
	s_set_vgpr_msb 4                        ;  msbs: dst=0 src0=0 src1=1 src2=0
	v_cndmask_b32_e64 v1, v5, v2 /*v258*/, s6
	s_set_vgpr_msb 0                        ;  msbs: dst=0 src0=0 src1=0 src2=0
	v_cmp_eq_u32_e64 s4, 0, v4
	v_lshlrev_b32_e32 v4, 4, v22
	s_set_vgpr_msb 4                        ;  msbs: dst=0 src0=0 src1=1 src2=0
	v_and_b32_e32 v5, 7, v2 /*v258*/
	s_set_vgpr_msb 64                       ;  msbs: dst=1 src0=0 src1=0 src2=0
	v_cmp_gt_u32_e64 s6, 8, v22
	v_lshlrev_b32_e32 v42 /*v298*/, 2, v1
	s_set_vgpr_msb 16                       ;  msbs: dst=0 src0=0 src1=0 src2=1
	v_mov_b32_e32 v1, 0
	v_and_or_b32 v4, 0x3e00, v4, v2 /*v258*/
	v_cmp_eq_u32_e64 s11, 0, v5
	v_cmp_lt_u32_e64 s12, 1, v5
	v_cmp_lt_u32_e64 s13, 3, v5
	s_set_vgpr_msb 0x44                     ;  msbs: dst=1 src0=0 src1=1 src2=0
	v_lshl_add_u32 v45 /*v301*/, v4, 3, v12
	s_delay_alu instid0(VALU_DEP_1)
	v_add_nc_u32_e32 v47 /*v303*/, 0x100, v45 /*v301*/
	v_add_nc_u32_e32 v48 /*v304*/, 0x200, v45 /*v301*/
	;; [unrolled: 1-line block ×15, first 2 shown]
	s_set_vgpr_msb 0                        ;  msbs: dst=0 src0=0 src1=0 src2=0
	s_branch .LBB1215_53
.LBB1215_52:                            ;   in Loop: Header=BB1215_53 Depth=1
	s_or_b32 exec_lo, exec_lo, s15
	s_delay_alu instid0(SALU_CYCLE_1) | instskip(NEXT) | instid1(SALU_CYCLE_1)
	s_and_b32 s14, exec_lo, s16
	s_or_b32 s28, s14, s28
	s_delay_alu instid0(SALU_CYCLE_1)
	s_and_not1_b32 exec_lo, exec_lo, s28
	s_cbranch_execz .LBB1215_93
.LBB1215_53:                            ; =>This Inner Loop Header: Depth=1
	v_mov_b64_e32 v[48:49], v[228:229]
	s_wait_kmcnt 0x0
	s_set_vgpr_msb 4                        ;  msbs: dst=0 src0=0 src1=1 src2=0
	v_min_u32_e32 v0, s27, v62 /*v318*/
	v_mov_b64_e32 v[4:5], v[132:133]
	v_mov_b64_e32 v[24:25], v[130:131]
	;; [unrolled: 1-line block ×4, first 2 shown]
	v_lshlrev_b32_e64 v132, v0, -1
	s_set_vgpr_msb 0                        ;  msbs: dst=0 src0=0 src1=0 src2=0
	v_cmp_ne_u64_e64 s14, s[22:23], v[48:49]
	v_mov_b64_e32 v[16:17], v[150:151]
	v_mov_b64_e32 v[34:35], v[144:145]
	;; [unrolled: 1-line block ×6, first 2 shown]
	v_cndmask_b32_e64 v51, 0x80000000, v49, s14
	v_cndmask_b32_e64 v50, 0, v48, s14
	v_mov_b64_e32 v[36:37], v[166:167]
	v_mov_b64_e32 v[54:55], v[176:177]
	;; [unrolled: 1-line block ×4, first 2 shown]
	v_lshrrev_b64 v[68:69], v10, v[50:51]
	v_mov_b64_e32 v[128:129], v[194:195]
	v_mov_b64_e32 v[118:119], v[208:209]
	;; [unrolled: 1-line block ×6, first 2 shown]
	v_bitop3_b32 v0, v68, v132, v68 bitop3:0x30
	v_bitop3_b32 v80, v68, 1, v132 bitop3:0x40
	v_mov_b64_e32 v[68:69], v[226:227]
	v_mov_b64_e32 v[82:83], v[224:225]
	v_mov_b64_e32 v[84:85], v[242:243]
	v_dual_lshlrev_b32 v86, 30, v0 :: v_dual_lshlrev_b32 v98, 29, v0
	v_add_co_u32 v96, s14, v80, -1
	s_delay_alu instid0(VALU_DEP_1) | instskip(NEXT) | instid1(VALU_DEP_3)
	v_cndmask_b32_e64 v87, 0, 1, s14
	v_not_b32_e32 v97, v86
	v_cmp_gt_i32_e64 s15, 0, v86
	v_not_b32_e32 v100, v98
	v_lshlrev_b32_e32 v102, 25, v0
	v_cmp_ne_u32_e64 s14, 0, v87
	v_dual_ashrrev_i32 v97, 31, v97 :: v_dual_lshlrev_b32 v99, 28, v0
	v_mov_b64_e32 v[80:81], v[240:241]
	v_mov_b64_e32 v[86:87], v[246:247]
	ds_store_b64 v23, v[14:15]
	s_set_vgpr_msb 1                        ;  msbs: dst=0 src0=1 src1=0 src2=0
	ds_store_b64 v35 /*v291*/, v[14:15]
	v_xor_b32_e32 v97, s15, v97
	s_set_vgpr_msb 0                        ;  msbs: dst=0 src0=0 src1=0 src2=0
	v_not_b32_e32 v101, v99
	v_xor_b32_e32 v96, s14, v96
	v_cmp_gt_i32_e64 s14, 0, v98
	v_cmp_gt_i32_e64 s15, 0, v99
	s_set_vgpr_msb 1                        ;  msbs: dst=0 src0=1 src1=0 src2=0
	ds_store_b64 v37 /*v293*/, v[14:15]
	ds_store_b64 v39 /*v295*/, v[14:15]
	v_dual_ashrrev_i32 v99, 31, v101 :: v_dual_ashrrev_i32 v98, 31, v100
	v_lshlrev_b32_e32 v100, 27, v0
	s_set_vgpr_msb 0                        ;  msbs: dst=0 src0=0 src1=0 src2=0
	v_bitop3_b32 v96, v96, v97, exec_lo bitop3:0x80
	s_delay_alu instid0(VALU_DEP_3)
	v_dual_lshlrev_b32 v97, 26, v0 :: v_dual_bitop2_b32 v99, s15, v99 bitop3:0x14
	s_wait_dscnt 0x0
	v_not_b32_e32 v101, v100
	v_xor_b32_e32 v98, s14, v98
	v_cmp_gt_i32_e64 s14, 0, v100
	v_not_b32_e32 v100, v97
	v_cmp_gt_i32_e64 s15, 0, v97
	v_dual_lshlrev_b32 v97, 24, v0 :: v_dual_ashrrev_i32 v101, 31, v101
	v_bitop3_b32 v103, v96, v99, v98 bitop3:0x80
	s_delay_alu instid0(VALU_DEP_4) | instskip(SKIP_1) | instid1(VALU_DEP_4)
	v_ashrrev_i32_e32 v100, 31, v100
	v_not_b32_e32 v96, v102
	v_not_b32_e32 v98, v97
	v_xor_b32_e32 v101, s14, v101
	v_cmp_gt_i32_e64 s14, 0, v102
	v_xor_b32_e32 v100, s15, v100
	v_ashrrev_i32_e32 v102, 31, v96
	v_cmp_gt_i32_e64 s15, 0, v97
	v_ashrrev_i32_e32 v112, 31, v98
	s_set_vgpr_msb 16                       ;  msbs: dst=0 src0=0 src1=0 src2=1
	v_lshl_add_u32 v0, v0, 3, v41 /*v297*/
	s_set_vgpr_msb 0                        ;  msbs: dst=0 src0=0 src1=0 src2=0
	v_bitop3_b32 v114, v103, v100, v101 bitop3:0x80
	v_xor_b32_e32 v115, s14, v102
	v_mov_b64_e32 v[98:99], v[196:197]
	v_xor_b32_e32 v130, s15, v112
	v_mov_b64_e32 v[96:97], v[212:213]
	v_mov_b64_e32 v[112:113], v[214:215]
	;; [unrolled: 1-line block ×4, first 2 shown]
	v_bitop3_b32 v133, v114, v130, v115 bitop3:0x80
	v_lshl_add_u64 v[130:131], v[0:1], 2, v[12:13]
	s_set_vgpr_msb 1                        ;  msbs: dst=0 src0=1 src1=0 src2=0
	v_mov_b64_e32 v[114:115], v[0:1] /*v[256:257]*/
	s_barrier_signal -1
	s_barrier_wait -1
	s_set_vgpr_msb 0                        ;  msbs: dst=0 src0=0 src1=0 src2=0
	v_mbcnt_lo_u32_b32 v0, v133, 0
	v_add_nc_u64_e32 v[130:131], 32, v[130:131]
	v_cmp_ne_u32_e64 s15, 0, v133
	s_delay_alu instid0(VALU_DEP_3) | instskip(SKIP_1) | instid1(SALU_CYCLE_1)
	v_cmp_eq_u32_e64 s14, 0, v0
	; wave barrier
	s_and_b32 s15, s15, s14
	s_and_saveexec_b32 s14, s15
; %bb.54:                               ;   in Loop: Header=BB1215_53 Depth=1
	v_bcnt_u32_b32 v131, v133, 0
	ds_store_b32 v130, v131
; %bb.55:                               ;   in Loop: Header=BB1215_53 Depth=1
	s_or_b32 exec_lo, exec_lo, s14
	v_cmp_ne_u64_e64 s14, s[22:23], v[64:65]
	v_not_b32_e32 v147, v132
	; wave barrier
	s_delay_alu instid0(VALU_DEP_2) | instskip(SKIP_1) | instid1(VALU_DEP_1)
	v_cndmask_b32_e64 v135, 0x80000000, v65, s14
	v_cndmask_b32_e64 v134, 0, v64, s14
	v_lshrrev_b64 v[134:135], v10, v[134:135]
	s_delay_alu instid0(VALU_DEP_1) | instskip(SKIP_1) | instid1(VALU_DEP_2)
	v_bitop3_b32 v132, v134, 1, v147 bitop3:0x80
	v_and_b32_e32 v131, v134, v147
	v_add_co_u32 v132, s14, v132, -1
	s_delay_alu instid0(VALU_DEP_1) | instskip(NEXT) | instid1(VALU_DEP_3)
	v_cndmask_b32_e64 v134, 0, 1, s14
	v_lshlrev_b32_e32 v135, 30, v131
	s_delay_alu instid0(VALU_DEP_2) | instskip(NEXT) | instid1(VALU_DEP_2)
	v_cmp_ne_u32_e64 s14, 0, v134
	v_not_b32_e32 v134, v135
	v_cmp_gt_i32_e64 s15, 0, v135
	s_delay_alu instid0(VALU_DEP_2)
	v_dual_ashrrev_i32 v134, 31, v134 :: v_dual_lshlrev_b32 v144, 29, v131
	v_dual_lshlrev_b32 v145, 28, v131 :: v_dual_lshlrev_b32 v146, 27, v131
	v_lshlrev_b32_e32 v148, 26, v131
	s_set_vgpr_msb 16                       ;  msbs: dst=0 src0=0 src1=0 src2=1
	v_lshl_add_u32 v133, v131, 3, v41 /*v297*/
	v_cmp_gt_i32_e64 s16, 0, v144
	v_not_b32_e32 v135, v144
	v_not_b32_e32 v144, v145
	v_dual_lshlrev_b32 v149, 25, v131 :: v_dual_lshlrev_b32 v131, 24, v131
	v_cmp_gt_i32_e64 s17, 0, v145
	v_cmp_gt_i32_e64 s18, 0, v146
	v_not_b32_e32 v145, v146
	v_not_b32_e32 v146, v148
	v_dual_ashrrev_i32 v135, 31, v135 :: v_dual_bitop2_b32 v132, s14, v132 bitop3:0x14
	v_dual_ashrrev_i32 v144, 31, v144 :: v_dual_bitop2_b32 v134, s15, v134 bitop3:0x14
	v_cmp_gt_i32_e64 s19, 0, v148
	v_not_b32_e32 v148, v149
	v_cmp_gt_i32_e64 s21, 0, v131
	v_not_b32_e32 v131, v131
	v_dual_ashrrev_i32 v145, 31, v145 :: v_dual_ashrrev_i32 v146, 31, v146
	v_xor_b32_e32 v135, s16, v135
	s_delay_alu instid0(VALU_DEP_3)
	v_dual_ashrrev_i32 v131, 31, v131 :: v_dual_bitop2_b32 v144, s17, v144 bitop3:0x14
	v_bitop3_b32 v132, v132, v134, exec_lo bitop3:0x80
	v_cmp_gt_i32_e64 s20, 0, v149
	v_dual_ashrrev_i32 v134, 31, v148 :: v_dual_bitop2_b32 v145, s18, v145 bitop3:0x14
	s_set_vgpr_msb 0                        ;  msbs: dst=0 src0=0 src1=0 src2=0
	v_lshl_add_u32 v133, v133, 2, v12
	v_xor_b32_e32 v146, s19, v146
	v_bitop3_b32 v132, v132, v144, v135 bitop3:0x80
	v_xor_b32_e32 v134, s20, v134
	v_xor_b32_e32 v135, s21, v131
	ds_load_b32 v131, v133 offset:32
	v_add_nc_u32_e32 v133, 32, v133
	v_bitop3_b32 v132, v132, v146, v145 bitop3:0x80
	; wave barrier
	s_delay_alu instid0(VALU_DEP_1) | instskip(NEXT) | instid1(VALU_DEP_1)
	v_bitop3_b32 v134, v132, v135, v134 bitop3:0x80
	v_mbcnt_lo_u32_b32 v132, v134, 0
	v_cmp_ne_u32_e64 s15, 0, v134
	s_delay_alu instid0(VALU_DEP_2) | instskip(SKIP_1) | instid1(SALU_CYCLE_1)
	v_cmp_eq_u32_e64 s14, 0, v132
	s_and_b32 s15, s15, s14
	s_and_saveexec_b32 s14, s15
	s_cbranch_execz .LBB1215_57
; %bb.56:                               ;   in Loop: Header=BB1215_53 Depth=1
	s_wait_dscnt 0x0
	v_bcnt_u32_b32 v134, v134, v131
	ds_store_b32 v133, v134
.LBB1215_57:                            ;   in Loop: Header=BB1215_53 Depth=1
	s_or_b32 exec_lo, exec_lo, s14
	v_cmp_ne_u64_e64 s14, s[22:23], v[50:51]
	; wave barrier
	s_delay_alu instid0(VALU_DEP_1) | instskip(SKIP_1) | instid1(VALU_DEP_1)
	v_cndmask_b32_e64 v135, 0x80000000, v51, s14
	v_cndmask_b32_e64 v134, 0, v50, s14
	v_lshrrev_b64 v[134:135], v10, v[134:135]
	s_delay_alu instid0(VALU_DEP_1) | instskip(SKIP_1) | instid1(VALU_DEP_2)
	v_and_b32_e32 v135, v134, v147
	v_bitop3_b32 v134, v134, 1, v147 bitop3:0x80
	v_lshlrev_b32_e32 v146, 30, v135
	s_delay_alu instid0(VALU_DEP_2) | instskip(NEXT) | instid1(VALU_DEP_1)
	v_add_co_u32 v134, s14, v134, -1
	v_cndmask_b32_e64 v145, 0, 1, s14
	s_delay_alu instid0(VALU_DEP_3) | instskip(NEXT) | instid1(VALU_DEP_2)
	v_cmp_gt_i32_e64 s15, 0, v146
	v_cmp_ne_u32_e64 s14, 0, v145
	v_not_b32_e32 v145, v146
	s_delay_alu instid0(VALU_DEP_1)
	v_dual_ashrrev_i32 v145, 31, v145 :: v_dual_lshlrev_b32 v148, 29, v135
	v_dual_lshlrev_b32 v149, 28, v135 :: v_dual_lshlrev_b32 v150, 27, v135
	v_lshlrev_b32_e32 v151, 26, v135
	s_set_vgpr_msb 16                       ;  msbs: dst=0 src0=0 src1=0 src2=1
	v_lshl_add_u32 v144, v135, 3, v41 /*v297*/
	v_cmp_gt_i32_e64 s16, 0, v148
	v_not_b32_e32 v146, v148
	v_not_b32_e32 v148, v149
	v_dual_lshlrev_b32 v160, 25, v135 :: v_dual_lshlrev_b32 v135, 24, v135
	v_cmp_gt_i32_e64 s17, 0, v149
	v_cmp_gt_i32_e64 s18, 0, v150
	v_not_b32_e32 v149, v150
	v_not_b32_e32 v150, v151
	v_dual_ashrrev_i32 v148, 31, v148 :: v_dual_bitop2_b32 v134, s14, v134 bitop3:0x14
	v_dual_ashrrev_i32 v146, 31, v146 :: v_dual_bitop2_b32 v145, s15, v145 bitop3:0x14
	v_cmp_gt_i32_e64 s19, 0, v151
	v_not_b32_e32 v151, v160
	v_cmp_gt_i32_e64 s21, 0, v135
	v_not_b32_e32 v135, v135
	v_dual_ashrrev_i32 v149, 31, v149 :: v_dual_ashrrev_i32 v150, 31, v150
	v_xor_b32_e32 v146, s16, v146
	s_delay_alu instid0(VALU_DEP_3)
	v_dual_ashrrev_i32 v135, 31, v135 :: v_dual_bitop2_b32 v148, s17, v148 bitop3:0x14
	v_bitop3_b32 v134, v134, v145, exec_lo bitop3:0x80
	v_cmp_gt_i32_e64 s20, 0, v160
	v_dual_ashrrev_i32 v145, 31, v151 :: v_dual_bitop2_b32 v150, s19, v150 bitop3:0x14
	s_set_vgpr_msb 0                        ;  msbs: dst=0 src0=0 src1=0 src2=0
	v_lshl_add_u32 v144, v144, 2, v12
	v_xor_b32_e32 v149, s18, v149
	v_bitop3_b32 v134, v134, v148, v146 bitop3:0x80
	v_xor_b32_e32 v145, s20, v145
	v_xor_b32_e32 v135, s21, v135
	s_delay_alu instid0(VALU_DEP_3) | instskip(SKIP_3) | instid1(VALU_DEP_1)
	v_bitop3_b32 v146, v134, v150, v149 bitop3:0x80
	ds_load_b32 v134, v144 offset:32
	v_add_nc_u32_e32 v144, 32, v144
	; wave barrier
	v_bitop3_b32 v145, v146, v135, v145 bitop3:0x80
	v_mbcnt_lo_u32_b32 v135, v145, 0
	v_cmp_ne_u32_e64 s15, 0, v145
	s_delay_alu instid0(VALU_DEP_2) | instskip(SKIP_1) | instid1(SALU_CYCLE_1)
	v_cmp_eq_u32_e64 s14, 0, v135
	s_and_b32 s15, s15, s14
	s_and_saveexec_b32 s14, s15
	s_cbranch_execz .LBB1215_59
; %bb.58:                               ;   in Loop: Header=BB1215_53 Depth=1
	s_wait_dscnt 0x0
	v_bcnt_u32_b32 v145, v145, v134
	ds_store_b32 v144, v145
.LBB1215_59:                            ;   in Loop: Header=BB1215_53 Depth=1
	s_or_b32 exec_lo, exec_lo, s14
	v_cmp_ne_u64_e64 s14, s[22:23], v[66:67]
	; wave barrier
	s_delay_alu instid0(VALU_DEP_1) | instskip(SKIP_1) | instid1(VALU_DEP_1)
	v_cndmask_b32_e64 v149, 0x80000000, v67, s14
	v_cndmask_b32_e64 v148, 0, v66, s14
	v_lshrrev_b64 v[148:149], v10, v[148:149]
	s_delay_alu instid0(VALU_DEP_1) | instskip(SKIP_1) | instid1(VALU_DEP_2)
	v_bitop3_b32 v146, v148, 1, v147 bitop3:0x80
	v_and_b32_e32 v145, v148, v147
	v_add_co_u32 v146, s14, v146, -1
	s_delay_alu instid0(VALU_DEP_1) | instskip(NEXT) | instid1(VALU_DEP_3)
	v_cndmask_b32_e64 v149, 0, 1, s14
	v_lshlrev_b32_e32 v150, 30, v145
	s_delay_alu instid0(VALU_DEP_2) | instskip(NEXT) | instid1(VALU_DEP_2)
	v_cmp_ne_u32_e64 s14, 0, v149
	v_not_b32_e32 v149, v150
	v_cmp_gt_i32_e64 s15, 0, v150
	s_delay_alu instid0(VALU_DEP_2) | instskip(SKIP_4) | instid1(VALU_DEP_3)
	v_ashrrev_i32_e32 v149, 31, v149
	v_dual_lshlrev_b32 v151, 29, v145 :: v_dual_lshlrev_b32 v160, 28, v145
	v_dual_lshlrev_b32 v161, 27, v145 :: v_dual_lshlrev_b32 v162, 26, v145
	s_set_vgpr_msb 16                       ;  msbs: dst=0 src0=0 src1=0 src2=1
	v_lshl_add_u32 v148, v145, 3, v41 /*v297*/
	v_cmp_gt_i32_e64 s16, 0, v151
	v_not_b32_e32 v150, v151
	v_not_b32_e32 v151, v160
	v_dual_lshlrev_b32 v163, 25, v145 :: v_dual_lshlrev_b32 v145, 24, v145
	v_cmp_gt_i32_e64 s17, 0, v160
	v_cmp_gt_i32_e64 s18, 0, v161
	v_not_b32_e32 v160, v161
	v_not_b32_e32 v161, v162
	v_dual_ashrrev_i32 v151, 31, v151 :: v_dual_bitop2_b32 v146, s14, v146 bitop3:0x14
	v_dual_ashrrev_i32 v150, 31, v150 :: v_dual_bitop2_b32 v149, s15, v149 bitop3:0x14
	v_cmp_gt_i32_e64 s19, 0, v162
	v_not_b32_e32 v162, v163
	v_cmp_gt_i32_e64 s21, 0, v145
	v_not_b32_e32 v145, v145
	v_dual_ashrrev_i32 v160, 31, v160 :: v_dual_ashrrev_i32 v161, 31, v161
	v_xor_b32_e32 v150, s16, v150
	v_xor_b32_e32 v151, s17, v151
	v_bitop3_b32 v146, v146, v149, exec_lo bitop3:0x80
	v_cmp_gt_i32_e64 s20, 0, v163
	v_dual_ashrrev_i32 v149, 31, v162 :: v_dual_ashrrev_i32 v145, 31, v145
	v_xor_b32_e32 v160, s18, v160
	s_set_vgpr_msb 0                        ;  msbs: dst=0 src0=0 src1=0 src2=0
	v_bitop3_b32 v146, v146, v151, v150 bitop3:0x80
	v_lshl_add_u32 v148, v148, 2, v12
	v_xor_b32_e32 v161, s19, v161
	v_xor_b32_e32 v149, s20, v149
	;; [unrolled: 1-line block ×3, first 2 shown]
	ds_load_b32 v145, v148 offset:32
	v_add_nc_u32_e32 v148, 32, v148
	v_bitop3_b32 v146, v146, v161, v160 bitop3:0x80
	; wave barrier
	s_delay_alu instid0(VALU_DEP_1) | instskip(NEXT) | instid1(VALU_DEP_1)
	v_bitop3_b32 v149, v146, v150, v149 bitop3:0x80
	v_mbcnt_lo_u32_b32 v146, v149, 0
	v_cmp_ne_u32_e64 s15, 0, v149
	s_delay_alu instid0(VALU_DEP_2) | instskip(SKIP_1) | instid1(SALU_CYCLE_1)
	v_cmp_eq_u32_e64 s14, 0, v146
	s_and_b32 s15, s15, s14
	s_and_saveexec_b32 s14, s15
	s_cbranch_execz .LBB1215_61
; %bb.60:                               ;   in Loop: Header=BB1215_53 Depth=1
	s_wait_dscnt 0x0
	v_bcnt_u32_b32 v149, v149, v145
	ds_store_b32 v148, v149
.LBB1215_61:                            ;   in Loop: Header=BB1215_53 Depth=1
	s_or_b32 exec_lo, exec_lo, s14
	v_cmp_ne_u64_e64 s14, s[22:23], v[70:71]
	; wave barrier
	s_delay_alu instid0(VALU_DEP_1) | instskip(SKIP_1) | instid1(VALU_DEP_1)
	v_cndmask_b32_e64 v151, 0x80000000, v71, s14
	v_cndmask_b32_e64 v150, 0, v70, s14
	v_lshrrev_b64 v[150:151], v10, v[150:151]
	s_delay_alu instid0(VALU_DEP_1) | instskip(SKIP_1) | instid1(VALU_DEP_2)
	v_and_b32_e32 v149, v150, v147
	v_bitop3_b32 v150, v150, 1, v147 bitop3:0x80
	v_lshlrev_b32_e32 v161, 30, v149
	s_delay_alu instid0(VALU_DEP_2) | instskip(NEXT) | instid1(VALU_DEP_1)
	v_add_co_u32 v150, s14, v150, -1
	v_cndmask_b32_e64 v160, 0, 1, s14
	s_delay_alu instid0(VALU_DEP_3) | instskip(NEXT) | instid1(VALU_DEP_2)
	v_cmp_gt_i32_e64 s15, 0, v161
	v_cmp_ne_u32_e64 s14, 0, v160
	v_not_b32_e32 v160, v161
	s_delay_alu instid0(VALU_DEP_1)
	v_dual_ashrrev_i32 v160, 31, v160 :: v_dual_lshlrev_b32 v162, 29, v149
	v_dual_lshlrev_b32 v163, 28, v149 :: v_dual_lshlrev_b32 v164, 27, v149
	v_lshlrev_b32_e32 v165, 26, v149
	s_set_vgpr_msb 16                       ;  msbs: dst=0 src0=0 src1=0 src2=1
	v_lshl_add_u32 v151, v149, 3, v41 /*v297*/
	v_cmp_gt_i32_e64 s16, 0, v162
	v_not_b32_e32 v161, v162
	v_not_b32_e32 v162, v163
	v_dual_lshlrev_b32 v166, 25, v149 :: v_dual_lshlrev_b32 v149, 24, v149
	v_cmp_gt_i32_e64 s17, 0, v163
	v_cmp_gt_i32_e64 s18, 0, v164
	v_not_b32_e32 v163, v164
	v_not_b32_e32 v164, v165
	v_dual_ashrrev_i32 v161, 31, v161 :: v_dual_bitop2_b32 v150, s14, v150 bitop3:0x14
	v_dual_ashrrev_i32 v162, 31, v162 :: v_dual_bitop2_b32 v160, s15, v160 bitop3:0x14
	v_cmp_gt_i32_e64 s19, 0, v165
	v_not_b32_e32 v165, v166
	v_cmp_gt_i32_e64 s21, 0, v149
	v_not_b32_e32 v149, v149
	v_dual_ashrrev_i32 v163, 31, v163 :: v_dual_ashrrev_i32 v164, 31, v164
	v_xor_b32_e32 v162, s17, v162
	v_bitop3_b32 v150, v150, v160, exec_lo bitop3:0x80
	s_set_vgpr_msb 0                        ;  msbs: dst=0 src0=0 src1=0 src2=0
	v_lshl_add_u32 v151, v151, 2, v12
	v_xor_b32_e32 v161, s16, v161
	v_cmp_gt_i32_e64 s20, 0, v166
	v_ashrrev_i32_e32 v160, 31, v165
	v_dual_ashrrev_i32 v149, 31, v149 :: v_dual_bitop2_b32 v163, s18, v163 bitop3:0x14
	v_xor_b32_e32 v164, s19, v164
	v_bitop3_b32 v150, v150, v162, v161 bitop3:0x80
	s_delay_alu instid0(VALU_DEP_4) | instskip(NEXT) | instid1(VALU_DEP_4)
	v_xor_b32_e32 v160, s20, v160
	v_xor_b32_e32 v161, s21, v149
	ds_load_b32 v149, v151 offset:32
	v_add_nc_u32_e32 v151, 32, v151
	v_bitop3_b32 v150, v150, v164, v163 bitop3:0x80
	; wave barrier
	s_delay_alu instid0(VALU_DEP_1) | instskip(NEXT) | instid1(VALU_DEP_1)
	v_bitop3_b32 v160, v150, v161, v160 bitop3:0x80
	v_mbcnt_lo_u32_b32 v150, v160, 0
	v_cmp_ne_u32_e64 s15, 0, v160
	s_delay_alu instid0(VALU_DEP_2) | instskip(SKIP_1) | instid1(SALU_CYCLE_1)
	v_cmp_eq_u32_e64 s14, 0, v150
	s_and_b32 s15, s15, s14
	s_and_saveexec_b32 s14, s15
	s_cbranch_execz .LBB1215_63
; %bb.62:                               ;   in Loop: Header=BB1215_53 Depth=1
	s_wait_dscnt 0x0
	v_bcnt_u32_b32 v160, v160, v149
	ds_store_b32 v151, v160
.LBB1215_63:                            ;   in Loop: Header=BB1215_53 Depth=1
	s_or_b32 exec_lo, exec_lo, s14
	v_cmp_ne_u64_e64 s14, s[22:23], v[68:69]
	; wave barrier
	s_delay_alu instid0(VALU_DEP_1) | instskip(SKIP_1) | instid1(VALU_DEP_1)
	v_cndmask_b32_e64 v161, 0x80000000, v69, s14
	v_cndmask_b32_e64 v160, 0, v68, s14
	v_lshrrev_b64 v[160:161], v10, v[160:161]
	s_delay_alu instid0(VALU_DEP_1) | instskip(SKIP_1) | instid1(VALU_DEP_2)
	v_and_b32_e32 v161, v160, v147
	v_bitop3_b32 v160, v160, 1, v147 bitop3:0x80
	v_lshlrev_b32_e32 v164, 30, v161
	s_delay_alu instid0(VALU_DEP_2) | instskip(NEXT) | instid1(VALU_DEP_1)
	v_add_co_u32 v160, s14, v160, -1
	v_cndmask_b32_e64 v163, 0, 1, s14
	v_lshlrev_b32_e32 v165, 29, v161
	s_delay_alu instid0(VALU_DEP_4) | instskip(NEXT) | instid1(VALU_DEP_3)
	v_cmp_gt_i32_e64 s15, 0, v164
	v_cmp_ne_u32_e64 s14, 0, v163
	v_not_b32_e32 v163, v164
	s_delay_alu instid0(VALU_DEP_4) | instskip(NEXT) | instid1(VALU_DEP_2)
	v_not_b32_e32 v164, v165
	v_dual_ashrrev_i32 v163, 31, v163 :: v_dual_bitop2_b32 v160, s14, v160 bitop3:0x14
	s_delay_alu instid0(VALU_DEP_2)
	v_dual_ashrrev_i32 v164, 31, v164 :: v_dual_lshlrev_b32 v166, 28, v161
	v_dual_lshlrev_b32 v167, 27, v161 :: v_dual_lshlrev_b32 v176, 26, v161
	v_cmp_gt_i32_e64 s16, 0, v165
	s_set_vgpr_msb 16                       ;  msbs: dst=0 src0=0 src1=0 src2=1
	v_lshl_add_u32 v162, v161, 3, v41 /*v297*/
	v_not_b32_e32 v165, v166
	v_dual_lshlrev_b32 v177, 25, v161 :: v_dual_lshlrev_b32 v161, 24, v161
	v_cmp_gt_i32_e64 s17, 0, v166
	v_cmp_gt_i32_e64 s18, 0, v167
	v_not_b32_e32 v166, v167
	v_not_b32_e32 v167, v176
	v_dual_ashrrev_i32 v165, 31, v165 :: v_dual_bitop2_b32 v163, s15, v163 bitop3:0x14
	v_cmp_gt_i32_e64 s19, 0, v176
	v_not_b32_e32 v176, v177
	v_cmp_gt_i32_e64 s21, 0, v161
	v_not_b32_e32 v161, v161
	v_dual_ashrrev_i32 v166, 31, v166 :: v_dual_ashrrev_i32 v167, 31, v167
	v_xor_b32_e32 v164, s16, v164
	v_xor_b32_e32 v165, s17, v165
	v_bitop3_b32 v160, v160, v163, exec_lo bitop3:0x80
	v_cmp_gt_i32_e64 s20, 0, v177
	v_dual_ashrrev_i32 v163, 31, v176 :: v_dual_ashrrev_i32 v161, 31, v161
	v_xor_b32_e32 v166, s18, v166
	s_set_vgpr_msb 0                        ;  msbs: dst=0 src0=0 src1=0 src2=0
	v_bitop3_b32 v160, v160, v165, v164 bitop3:0x80
	v_lshl_add_u32 v162, v162, 2, v12
	v_xor_b32_e32 v167, s19, v167
	v_xor_b32_e32 v163, s20, v163
	v_xor_b32_e32 v161, s21, v161
	s_delay_alu instid0(VALU_DEP_3) | instskip(SKIP_3) | instid1(VALU_DEP_1)
	v_bitop3_b32 v164, v160, v167, v166 bitop3:0x80
	ds_load_b32 v160, v162 offset:32
	v_add_nc_u32_e32 v162, 32, v162
	; wave barrier
	v_bitop3_b32 v163, v164, v161, v163 bitop3:0x80
	v_mbcnt_lo_u32_b32 v161, v163, 0
	v_cmp_ne_u32_e64 s15, 0, v163
	s_delay_alu instid0(VALU_DEP_2) | instskip(SKIP_1) | instid1(SALU_CYCLE_1)
	v_cmp_eq_u32_e64 s14, 0, v161
	s_and_b32 s15, s15, s14
	s_and_saveexec_b32 s14, s15
	s_cbranch_execz .LBB1215_65
; %bb.64:                               ;   in Loop: Header=BB1215_53 Depth=1
	s_wait_dscnt 0x0
	v_bcnt_u32_b32 v163, v163, v160
	ds_store_b32 v162, v163
.LBB1215_65:                            ;   in Loop: Header=BB1215_53 Depth=1
	s_or_b32 exec_lo, exec_lo, s14
	v_cmp_ne_u64_e64 s14, s[22:23], v[82:83]
	; wave barrier
	s_delay_alu instid0(VALU_DEP_1) | instskip(SKIP_1) | instid1(VALU_DEP_1)
	v_cndmask_b32_e64 v165, 0x80000000, v83, s14
	v_cndmask_b32_e64 v164, 0, v82, s14
	v_lshrrev_b64 v[164:165], v10, v[164:165]
	s_delay_alu instid0(VALU_DEP_1) | instskip(SKIP_1) | instid1(VALU_DEP_2)
	v_and_b32_e32 v163, v164, v147
	v_bitop3_b32 v164, v164, 1, v147 bitop3:0x80
	v_lshlrev_b32_e32 v167, 30, v163
	s_delay_alu instid0(VALU_DEP_2) | instskip(NEXT) | instid1(VALU_DEP_1)
	v_add_co_u32 v164, s14, v164, -1
	v_cndmask_b32_e64 v166, 0, 1, s14
	s_delay_alu instid0(VALU_DEP_3) | instskip(NEXT) | instid1(VALU_DEP_2)
	v_cmp_gt_i32_e64 s15, 0, v167
	v_cmp_ne_u32_e64 s14, 0, v166
	v_not_b32_e32 v166, v167
	s_delay_alu instid0(VALU_DEP_1)
	v_dual_ashrrev_i32 v166, 31, v166 :: v_dual_lshlrev_b32 v176, 29, v163
	v_dual_lshlrev_b32 v177, 28, v163 :: v_dual_lshlrev_b32 v178, 27, v163
	v_lshlrev_b32_e32 v179, 26, v163
	s_set_vgpr_msb 16                       ;  msbs: dst=0 src0=0 src1=0 src2=1
	v_lshl_add_u32 v165, v163, 3, v41 /*v297*/
	v_cmp_gt_i32_e64 s16, 0, v176
	v_not_b32_e32 v167, v176
	v_not_b32_e32 v176, v177
	v_dual_lshlrev_b32 v180, 25, v163 :: v_dual_lshlrev_b32 v163, 24, v163
	v_cmp_gt_i32_e64 s17, 0, v177
	v_cmp_gt_i32_e64 s18, 0, v178
	v_not_b32_e32 v177, v178
	v_not_b32_e32 v178, v179
	v_dual_ashrrev_i32 v167, 31, v167 :: v_dual_bitop2_b32 v164, s14, v164 bitop3:0x14
	v_dual_ashrrev_i32 v176, 31, v176 :: v_dual_bitop2_b32 v166, s15, v166 bitop3:0x14
	v_cmp_gt_i32_e64 s19, 0, v179
	v_not_b32_e32 v179, v180
	v_cmp_gt_i32_e64 s21, 0, v163
	v_not_b32_e32 v163, v163
	v_dual_ashrrev_i32 v177, 31, v177 :: v_dual_ashrrev_i32 v178, 31, v178
	v_xor_b32_e32 v176, s17, v176
	v_bitop3_b32 v164, v164, v166, exec_lo bitop3:0x80
	s_set_vgpr_msb 0                        ;  msbs: dst=0 src0=0 src1=0 src2=0
	v_lshl_add_u32 v165, v165, 2, v12
	v_xor_b32_e32 v167, s16, v167
	v_cmp_gt_i32_e64 s20, 0, v180
	v_ashrrev_i32_e32 v166, 31, v179
	v_dual_ashrrev_i32 v163, 31, v163 :: v_dual_bitop2_b32 v177, s18, v177 bitop3:0x14
	v_xor_b32_e32 v178, s19, v178
	v_bitop3_b32 v164, v164, v176, v167 bitop3:0x80
	s_delay_alu instid0(VALU_DEP_4) | instskip(NEXT) | instid1(VALU_DEP_4)
	v_xor_b32_e32 v166, s20, v166
	v_xor_b32_e32 v167, s21, v163
	ds_load_b32 v163, v165 offset:32
	v_add_nc_u32_e32 v165, 32, v165
	v_bitop3_b32 v164, v164, v178, v177 bitop3:0x80
	; wave barrier
	s_delay_alu instid0(VALU_DEP_1) | instskip(NEXT) | instid1(VALU_DEP_1)
	v_bitop3_b32 v166, v164, v167, v166 bitop3:0x80
	v_mbcnt_lo_u32_b32 v164, v166, 0
	v_cmp_ne_u32_e64 s15, 0, v166
	s_delay_alu instid0(VALU_DEP_2) | instskip(SKIP_1) | instid1(SALU_CYCLE_1)
	v_cmp_eq_u32_e64 s14, 0, v164
	s_and_b32 s15, s15, s14
	s_and_saveexec_b32 s14, s15
	s_cbranch_execz .LBB1215_67
; %bb.66:                               ;   in Loop: Header=BB1215_53 Depth=1
	s_wait_dscnt 0x0
	v_bcnt_u32_b32 v166, v166, v163
	ds_store_b32 v165, v166
.LBB1215_67:                            ;   in Loop: Header=BB1215_53 Depth=1
	s_or_b32 exec_lo, exec_lo, s14
	v_cmp_ne_u64_e64 s14, s[22:23], v[80:81]
	; wave barrier
	s_delay_alu instid0(VALU_DEP_1) | instskip(SKIP_1) | instid1(VALU_DEP_1)
	v_cndmask_b32_e64 v167, 0x80000000, v81, s14
	v_cndmask_b32_e64 v166, 0, v80, s14
	v_lshrrev_b64 v[166:167], v10, v[166:167]
	s_delay_alu instid0(VALU_DEP_1) | instskip(SKIP_1) | instid1(VALU_DEP_2)
	v_and_b32_e32 v167, v166, v147
	v_bitop3_b32 v166, v166, 1, v147 bitop3:0x80
	v_lshlrev_b32_e32 v178, 30, v167
	s_delay_alu instid0(VALU_DEP_2) | instskip(NEXT) | instid1(VALU_DEP_1)
	v_add_co_u32 v166, s14, v166, -1
	v_cndmask_b32_e64 v177, 0, 1, s14
	s_delay_alu instid0(VALU_DEP_3) | instskip(NEXT) | instid1(VALU_DEP_2)
	v_cmp_gt_i32_e64 s15, 0, v178
	v_cmp_ne_u32_e64 s14, 0, v177
	v_not_b32_e32 v177, v178
	s_delay_alu instid0(VALU_DEP_1)
	v_dual_ashrrev_i32 v177, 31, v177 :: v_dual_lshlrev_b32 v179, 29, v167
	v_dual_lshlrev_b32 v180, 28, v167 :: v_dual_lshlrev_b32 v181, 27, v167
	v_lshlrev_b32_e32 v182, 26, v167
	s_set_vgpr_msb 16                       ;  msbs: dst=0 src0=0 src1=0 src2=1
	v_lshl_add_u32 v176, v167, 3, v41 /*v297*/
	v_cmp_gt_i32_e64 s16, 0, v179
	v_not_b32_e32 v178, v179
	v_not_b32_e32 v179, v180
	v_dual_lshlrev_b32 v183, 25, v167 :: v_dual_lshlrev_b32 v167, 24, v167
	v_cmp_gt_i32_e64 s17, 0, v180
	v_cmp_gt_i32_e64 s18, 0, v181
	v_not_b32_e32 v180, v181
	v_not_b32_e32 v181, v182
	v_dual_ashrrev_i32 v179, 31, v179 :: v_dual_bitop2_b32 v166, s14, v166 bitop3:0x14
	v_dual_ashrrev_i32 v178, 31, v178 :: v_dual_bitop2_b32 v177, s15, v177 bitop3:0x14
	v_cmp_gt_i32_e64 s19, 0, v182
	v_not_b32_e32 v182, v183
	v_cmp_gt_i32_e64 s21, 0, v167
	v_not_b32_e32 v167, v167
	v_dual_ashrrev_i32 v180, 31, v180 :: v_dual_ashrrev_i32 v181, 31, v181
	v_xor_b32_e32 v178, s16, v178
	v_xor_b32_e32 v179, s17, v179
	v_bitop3_b32 v166, v166, v177, exec_lo bitop3:0x80
	v_cmp_gt_i32_e64 s20, 0, v183
	v_dual_ashrrev_i32 v177, 31, v182 :: v_dual_ashrrev_i32 v167, 31, v167
	v_xor_b32_e32 v180, s18, v180
	s_set_vgpr_msb 0                        ;  msbs: dst=0 src0=0 src1=0 src2=0
	v_bitop3_b32 v166, v166, v179, v178 bitop3:0x80
	v_lshl_add_u32 v176, v176, 2, v12
	v_xor_b32_e32 v181, s19, v181
	v_xor_b32_e32 v177, s20, v177
	;; [unrolled: 1-line block ×3, first 2 shown]
	s_delay_alu instid0(VALU_DEP_3) | instskip(SKIP_3) | instid1(VALU_DEP_1)
	v_bitop3_b32 v178, v166, v181, v180 bitop3:0x80
	ds_load_b32 v166, v176 offset:32
	v_add_nc_u32_e32 v176, 32, v176
	; wave barrier
	v_bitop3_b32 v177, v178, v167, v177 bitop3:0x80
	v_mbcnt_lo_u32_b32 v167, v177, 0
	v_cmp_ne_u32_e64 s15, 0, v177
	s_delay_alu instid0(VALU_DEP_2) | instskip(SKIP_1) | instid1(SALU_CYCLE_1)
	v_cmp_eq_u32_e64 s14, 0, v167
	s_and_b32 s15, s15, s14
	s_and_saveexec_b32 s14, s15
	s_cbranch_execz .LBB1215_69
; %bb.68:                               ;   in Loop: Header=BB1215_53 Depth=1
	s_wait_dscnt 0x0
	v_bcnt_u32_b32 v177, v177, v166
	ds_store_b32 v176, v177
.LBB1215_69:                            ;   in Loop: Header=BB1215_53 Depth=1
	s_or_b32 exec_lo, exec_lo, s14
	v_cmp_ne_u64_e64 s14, s[22:23], v[84:85]
	; wave barrier
	s_delay_alu instid0(VALU_DEP_1) | instskip(SKIP_1) | instid1(VALU_DEP_1)
	v_cndmask_b32_e64 v179, 0x80000000, v85, s14
	v_cndmask_b32_e64 v178, 0, v84, s14
	v_lshrrev_b64 v[178:179], v10, v[178:179]
	s_delay_alu instid0(VALU_DEP_1) | instskip(SKIP_1) | instid1(VALU_DEP_2)
	v_and_b32_e32 v177, v178, v147
	v_bitop3_b32 v178, v178, 1, v147 bitop3:0x80
	v_lshlrev_b32_e32 v181, 30, v177
	s_delay_alu instid0(VALU_DEP_2) | instskip(NEXT) | instid1(VALU_DEP_1)
	v_add_co_u32 v178, s14, v178, -1
	v_cndmask_b32_e64 v180, 0, 1, s14
	s_delay_alu instid0(VALU_DEP_3) | instskip(NEXT) | instid1(VALU_DEP_2)
	v_cmp_gt_i32_e64 s15, 0, v181
	v_cmp_ne_u32_e64 s14, 0, v180
	v_not_b32_e32 v180, v181
	s_delay_alu instid0(VALU_DEP_1)
	v_dual_ashrrev_i32 v180, 31, v180 :: v_dual_lshlrev_b32 v182, 29, v177
	v_dual_lshlrev_b32 v183, 28, v177 :: v_dual_lshlrev_b32 v192, 27, v177
	v_lshlrev_b32_e32 v193, 26, v177
	s_set_vgpr_msb 16                       ;  msbs: dst=0 src0=0 src1=0 src2=1
	v_lshl_add_u32 v179, v177, 3, v41 /*v297*/
	v_cmp_gt_i32_e64 s16, 0, v182
	v_not_b32_e32 v181, v182
	v_not_b32_e32 v182, v183
	v_dual_lshlrev_b32 v194, 25, v177 :: v_dual_lshlrev_b32 v177, 24, v177
	v_cmp_gt_i32_e64 s17, 0, v183
	v_cmp_gt_i32_e64 s18, 0, v192
	v_not_b32_e32 v183, v192
	v_not_b32_e32 v192, v193
	v_dual_ashrrev_i32 v181, 31, v181 :: v_dual_bitop2_b32 v178, s14, v178 bitop3:0x14
	v_dual_ashrrev_i32 v182, 31, v182 :: v_dual_bitop2_b32 v180, s15, v180 bitop3:0x14
	v_cmp_gt_i32_e64 s19, 0, v193
	v_not_b32_e32 v193, v194
	v_cmp_gt_i32_e64 s21, 0, v177
	v_not_b32_e32 v177, v177
	v_dual_ashrrev_i32 v183, 31, v183 :: v_dual_ashrrev_i32 v192, 31, v192
	v_xor_b32_e32 v182, s17, v182
	v_bitop3_b32 v178, v178, v180, exec_lo bitop3:0x80
	s_set_vgpr_msb 0                        ;  msbs: dst=0 src0=0 src1=0 src2=0
	v_lshl_add_u32 v179, v179, 2, v12
	v_xor_b32_e32 v181, s16, v181
	v_cmp_gt_i32_e64 s20, 0, v194
	v_ashrrev_i32_e32 v180, 31, v193
	v_dual_ashrrev_i32 v177, 31, v177 :: v_dual_bitop2_b32 v183, s18, v183 bitop3:0x14
	v_xor_b32_e32 v192, s19, v192
	v_bitop3_b32 v178, v178, v182, v181 bitop3:0x80
	s_delay_alu instid0(VALU_DEP_4) | instskip(NEXT) | instid1(VALU_DEP_4)
	v_xor_b32_e32 v180, s20, v180
	v_xor_b32_e32 v181, s21, v177
	ds_load_b32 v177, v179 offset:32
	v_add_nc_u32_e32 v179, 32, v179
	v_bitop3_b32 v178, v178, v192, v183 bitop3:0x80
	; wave barrier
	s_delay_alu instid0(VALU_DEP_1) | instskip(NEXT) | instid1(VALU_DEP_1)
	v_bitop3_b32 v180, v178, v181, v180 bitop3:0x80
	v_mbcnt_lo_u32_b32 v178, v180, 0
	v_cmp_ne_u32_e64 s15, 0, v180
	s_delay_alu instid0(VALU_DEP_2) | instskip(SKIP_1) | instid1(SALU_CYCLE_1)
	v_cmp_eq_u32_e64 s14, 0, v178
	s_and_b32 s15, s15, s14
	s_and_saveexec_b32 s14, s15
	s_cbranch_execz .LBB1215_71
; %bb.70:                               ;   in Loop: Header=BB1215_53 Depth=1
	s_wait_dscnt 0x0
	v_bcnt_u32_b32 v180, v180, v177
	ds_store_b32 v179, v180
.LBB1215_71:                            ;   in Loop: Header=BB1215_53 Depth=1
	s_or_b32 exec_lo, exec_lo, s14
	v_cmp_ne_u64_e64 s14, s[22:23], v[86:87]
	; wave barrier
	s_delay_alu instid0(VALU_DEP_1) | instskip(SKIP_1) | instid1(VALU_DEP_1)
	v_cndmask_b32_e64 v181, 0x80000000, v87, s14
	v_cndmask_b32_e64 v180, 0, v86, s14
	v_lshrrev_b64 v[180:181], v10, v[180:181]
	s_delay_alu instid0(VALU_DEP_1) | instskip(SKIP_1) | instid1(VALU_DEP_2)
	v_and_b32_e32 v181, v180, v147
	v_bitop3_b32 v180, v180, 1, v147 bitop3:0x80
	v_lshlrev_b32_e32 v192, 30, v181
	s_delay_alu instid0(VALU_DEP_2) | instskip(NEXT) | instid1(VALU_DEP_1)
	v_add_co_u32 v180, s14, v180, -1
	v_cndmask_b32_e64 v183, 0, 1, s14
	v_lshlrev_b32_e32 v193, 29, v181
	s_delay_alu instid0(VALU_DEP_4) | instskip(NEXT) | instid1(VALU_DEP_3)
	v_cmp_gt_i32_e64 s15, 0, v192
	v_cmp_ne_u32_e64 s14, 0, v183
	v_not_b32_e32 v183, v192
	s_delay_alu instid0(VALU_DEP_4) | instskip(NEXT) | instid1(VALU_DEP_2)
	v_not_b32_e32 v192, v193
	v_dual_ashrrev_i32 v183, 31, v183 :: v_dual_bitop2_b32 v180, s14, v180 bitop3:0x14
	s_delay_alu instid0(VALU_DEP_2)
	v_dual_ashrrev_i32 v192, 31, v192 :: v_dual_lshlrev_b32 v194, 28, v181
	v_dual_lshlrev_b32 v195, 27, v181 :: v_dual_lshlrev_b32 v196, 26, v181
	v_cmp_gt_i32_e64 s16, 0, v193
	s_set_vgpr_msb 16                       ;  msbs: dst=0 src0=0 src1=0 src2=1
	v_lshl_add_u32 v182, v181, 3, v41 /*v297*/
	v_not_b32_e32 v193, v194
	v_dual_lshlrev_b32 v197, 25, v181 :: v_dual_lshlrev_b32 v181, 24, v181
	v_cmp_gt_i32_e64 s17, 0, v194
	v_cmp_gt_i32_e64 s18, 0, v195
	v_not_b32_e32 v194, v195
	v_not_b32_e32 v195, v196
	v_dual_ashrrev_i32 v193, 31, v193 :: v_dual_bitop2_b32 v183, s15, v183 bitop3:0x14
	v_cmp_gt_i32_e64 s19, 0, v196
	v_not_b32_e32 v196, v197
	v_cmp_gt_i32_e64 s21, 0, v181
	v_not_b32_e32 v181, v181
	v_dual_ashrrev_i32 v194, 31, v194 :: v_dual_ashrrev_i32 v195, 31, v195
	v_xor_b32_e32 v192, s16, v192
	v_xor_b32_e32 v193, s17, v193
	v_bitop3_b32 v180, v180, v183, exec_lo bitop3:0x80
	v_cmp_gt_i32_e64 s20, 0, v197
	v_dual_ashrrev_i32 v183, 31, v196 :: v_dual_ashrrev_i32 v181, 31, v181
	v_xor_b32_e32 v194, s18, v194
	s_set_vgpr_msb 0                        ;  msbs: dst=0 src0=0 src1=0 src2=0
	v_bitop3_b32 v180, v180, v193, v192 bitop3:0x80
	v_lshl_add_u32 v182, v182, 2, v12
	v_xor_b32_e32 v195, s19, v195
	v_xor_b32_e32 v183, s20, v183
	;; [unrolled: 1-line block ×3, first 2 shown]
	s_delay_alu instid0(VALU_DEP_3) | instskip(SKIP_3) | instid1(VALU_DEP_1)
	v_bitop3_b32 v192, v180, v195, v194 bitop3:0x80
	ds_load_b32 v180, v182 offset:32
	v_add_nc_u32_e32 v182, 32, v182
	; wave barrier
	v_bitop3_b32 v183, v192, v181, v183 bitop3:0x80
	v_mbcnt_lo_u32_b32 v181, v183, 0
	v_cmp_ne_u32_e64 s15, 0, v183
	s_delay_alu instid0(VALU_DEP_2) | instskip(SKIP_1) | instid1(SALU_CYCLE_1)
	v_cmp_eq_u32_e64 s14, 0, v181
	s_and_b32 s15, s15, s14
	s_and_saveexec_b32 s14, s15
	s_cbranch_execz .LBB1215_73
; %bb.72:                               ;   in Loop: Header=BB1215_53 Depth=1
	s_wait_dscnt 0x0
	v_bcnt_u32_b32 v183, v183, v180
	ds_store_b32 v182, v183
.LBB1215_73:                            ;   in Loop: Header=BB1215_53 Depth=1
	s_or_b32 exec_lo, exec_lo, s14
	v_cmp_ne_u64_e64 s14, s[22:23], v[98:99]
	; wave barrier
	s_delay_alu instid0(VALU_DEP_1) | instskip(SKIP_1) | instid1(VALU_DEP_1)
	v_cndmask_b32_e64 v193, 0x80000000, v99, s14
	v_cndmask_b32_e64 v192, 0, v98, s14
	v_lshrrev_b64 v[192:193], v10, v[192:193]
	s_delay_alu instid0(VALU_DEP_1) | instskip(SKIP_1) | instid1(VALU_DEP_2)
	v_and_b32_e32 v183, v192, v147
	v_bitop3_b32 v192, v192, 1, v147 bitop3:0x80
	v_lshlrev_b32_e32 v195, 30, v183
	s_delay_alu instid0(VALU_DEP_2) | instskip(NEXT) | instid1(VALU_DEP_1)
	v_add_co_u32 v192, s14, v192, -1
	v_cndmask_b32_e64 v194, 0, 1, s14
	s_delay_alu instid0(VALU_DEP_3) | instskip(NEXT) | instid1(VALU_DEP_2)
	v_cmp_gt_i32_e64 s15, 0, v195
	v_cmp_ne_u32_e64 s14, 0, v194
	v_not_b32_e32 v194, v195
	s_delay_alu instid0(VALU_DEP_1)
	v_dual_ashrrev_i32 v194, 31, v194 :: v_dual_lshlrev_b32 v196, 29, v183
	v_dual_lshlrev_b32 v197, 28, v183 :: v_dual_lshlrev_b32 v198, 27, v183
	v_lshlrev_b32_e32 v199, 26, v183
	s_set_vgpr_msb 16                       ;  msbs: dst=0 src0=0 src1=0 src2=1
	v_lshl_add_u32 v193, v183, 3, v41 /*v297*/
	v_cmp_gt_i32_e64 s16, 0, v196
	v_not_b32_e32 v195, v196
	v_not_b32_e32 v196, v197
	v_dual_lshlrev_b32 v208, 25, v183 :: v_dual_lshlrev_b32 v183, 24, v183
	v_cmp_gt_i32_e64 s17, 0, v197
	v_cmp_gt_i32_e64 s18, 0, v198
	v_not_b32_e32 v197, v198
	v_not_b32_e32 v198, v199
	v_dual_ashrrev_i32 v195, 31, v195 :: v_dual_bitop2_b32 v192, s14, v192 bitop3:0x14
	v_dual_ashrrev_i32 v196, 31, v196 :: v_dual_bitop2_b32 v194, s15, v194 bitop3:0x14
	v_cmp_gt_i32_e64 s19, 0, v199
	v_not_b32_e32 v199, v208
	v_cmp_gt_i32_e64 s21, 0, v183
	v_not_b32_e32 v183, v183
	v_dual_ashrrev_i32 v197, 31, v197 :: v_dual_ashrrev_i32 v198, 31, v198
	v_xor_b32_e32 v196, s17, v196
	v_bitop3_b32 v192, v192, v194, exec_lo bitop3:0x80
	s_set_vgpr_msb 0                        ;  msbs: dst=0 src0=0 src1=0 src2=0
	v_lshl_add_u32 v193, v193, 2, v12
	v_xor_b32_e32 v195, s16, v195
	v_cmp_gt_i32_e64 s20, 0, v208
	v_ashrrev_i32_e32 v194, 31, v199
	v_dual_ashrrev_i32 v183, 31, v183 :: v_dual_bitop2_b32 v197, s18, v197 bitop3:0x14
	v_xor_b32_e32 v198, s19, v198
	v_bitop3_b32 v192, v192, v196, v195 bitop3:0x80
	s_delay_alu instid0(VALU_DEP_4) | instskip(NEXT) | instid1(VALU_DEP_4)
	v_xor_b32_e32 v194, s20, v194
	v_xor_b32_e32 v195, s21, v183
	ds_load_b32 v183, v193 offset:32
	v_add_nc_u32_e32 v193, 32, v193
	v_bitop3_b32 v192, v192, v198, v197 bitop3:0x80
	; wave barrier
	s_delay_alu instid0(VALU_DEP_1) | instskip(NEXT) | instid1(VALU_DEP_1)
	v_bitop3_b32 v194, v192, v195, v194 bitop3:0x80
	v_mbcnt_lo_u32_b32 v192, v194, 0
	v_cmp_ne_u32_e64 s15, 0, v194
	s_delay_alu instid0(VALU_DEP_2) | instskip(SKIP_1) | instid1(SALU_CYCLE_1)
	v_cmp_eq_u32_e64 s14, 0, v192
	s_and_b32 s15, s15, s14
	s_and_saveexec_b32 s14, s15
	s_cbranch_execz .LBB1215_75
; %bb.74:                               ;   in Loop: Header=BB1215_53 Depth=1
	s_wait_dscnt 0x0
	v_bcnt_u32_b32 v194, v194, v183
	ds_store_b32 v193, v194
.LBB1215_75:                            ;   in Loop: Header=BB1215_53 Depth=1
	s_or_b32 exec_lo, exec_lo, s14
	v_cmp_ne_u64_e64 s14, s[22:23], v[96:97]
	; wave barrier
	s_delay_alu instid0(VALU_DEP_1) | instskip(SKIP_1) | instid1(VALU_DEP_1)
	v_cndmask_b32_e64 v195, 0x80000000, v97, s14
	v_cndmask_b32_e64 v194, 0, v96, s14
	v_lshrrev_b64 v[194:195], v10, v[194:195]
	s_delay_alu instid0(VALU_DEP_1) | instskip(SKIP_1) | instid1(VALU_DEP_2)
	v_and_b32_e32 v195, v194, v147
	v_bitop3_b32 v194, v194, 1, v147 bitop3:0x80
	v_lshlrev_b32_e32 v198, 30, v195
	s_delay_alu instid0(VALU_DEP_2) | instskip(NEXT) | instid1(VALU_DEP_1)
	v_add_co_u32 v194, s14, v194, -1
	v_cndmask_b32_e64 v197, 0, 1, s14
	s_delay_alu instid0(VALU_DEP_3) | instskip(NEXT) | instid1(VALU_DEP_2)
	v_cmp_gt_i32_e64 s15, 0, v198
	v_cmp_ne_u32_e64 s14, 0, v197
	v_not_b32_e32 v197, v198
	s_delay_alu instid0(VALU_DEP_1)
	v_dual_ashrrev_i32 v197, 31, v197 :: v_dual_lshlrev_b32 v199, 29, v195
	v_dual_lshlrev_b32 v208, 28, v195 :: v_dual_lshlrev_b32 v209, 27, v195
	v_lshlrev_b32_e32 v210, 26, v195
	s_set_vgpr_msb 16                       ;  msbs: dst=0 src0=0 src1=0 src2=1
	v_lshl_add_u32 v196, v195, 3, v41 /*v297*/
	v_cmp_gt_i32_e64 s16, 0, v199
	v_not_b32_e32 v198, v199
	v_not_b32_e32 v199, v208
	v_dual_lshlrev_b32 v211, 25, v195 :: v_dual_lshlrev_b32 v195, 24, v195
	v_cmp_gt_i32_e64 s17, 0, v208
	v_cmp_gt_i32_e64 s18, 0, v209
	v_not_b32_e32 v208, v209
	v_not_b32_e32 v209, v210
	v_dual_ashrrev_i32 v199, 31, v199 :: v_dual_bitop2_b32 v194, s14, v194 bitop3:0x14
	v_dual_ashrrev_i32 v198, 31, v198 :: v_dual_bitop2_b32 v197, s15, v197 bitop3:0x14
	v_cmp_gt_i32_e64 s19, 0, v210
	v_not_b32_e32 v210, v211
	v_cmp_gt_i32_e64 s21, 0, v195
	v_not_b32_e32 v195, v195
	v_dual_ashrrev_i32 v208, 31, v208 :: v_dual_ashrrev_i32 v209, 31, v209
	v_xor_b32_e32 v198, s16, v198
	v_xor_b32_e32 v199, s17, v199
	v_bitop3_b32 v194, v194, v197, exec_lo bitop3:0x80
	v_cmp_gt_i32_e64 s20, 0, v211
	v_dual_ashrrev_i32 v197, 31, v210 :: v_dual_ashrrev_i32 v195, 31, v195
	v_xor_b32_e32 v208, s18, v208
	s_set_vgpr_msb 0                        ;  msbs: dst=0 src0=0 src1=0 src2=0
	v_bitop3_b32 v194, v194, v199, v198 bitop3:0x80
	v_lshl_add_u32 v196, v196, 2, v12
	v_xor_b32_e32 v209, s19, v209
	v_xor_b32_e32 v197, s20, v197
	;; [unrolled: 1-line block ×3, first 2 shown]
	s_delay_alu instid0(VALU_DEP_3) | instskip(SKIP_3) | instid1(VALU_DEP_1)
	v_bitop3_b32 v198, v194, v209, v208 bitop3:0x80
	ds_load_b32 v194, v196 offset:32
	v_add_nc_u32_e32 v196, 32, v196
	; wave barrier
	v_bitop3_b32 v197, v198, v195, v197 bitop3:0x80
	v_mbcnt_lo_u32_b32 v195, v197, 0
	v_cmp_ne_u32_e64 s15, 0, v197
	s_delay_alu instid0(VALU_DEP_2) | instskip(SKIP_1) | instid1(SALU_CYCLE_1)
	v_cmp_eq_u32_e64 s14, 0, v195
	s_and_b32 s15, s15, s14
	s_and_saveexec_b32 s14, s15
	s_cbranch_execz .LBB1215_77
; %bb.76:                               ;   in Loop: Header=BB1215_53 Depth=1
	s_wait_dscnt 0x0
	v_bcnt_u32_b32 v197, v197, v194
	ds_store_b32 v196, v197
.LBB1215_77:                            ;   in Loop: Header=BB1215_53 Depth=1
	s_or_b32 exec_lo, exec_lo, s14
	v_cmp_ne_u64_e64 s14, s[22:23], v[112:113]
	; wave barrier
	s_delay_alu instid0(VALU_DEP_1) | instskip(SKIP_1) | instid1(VALU_DEP_1)
	v_cndmask_b32_e64 v199, 0x80000000, v113, s14
	v_cndmask_b32_e64 v198, 0, v112, s14
	v_lshrrev_b64 v[198:199], v10, v[198:199]
	s_delay_alu instid0(VALU_DEP_1) | instskip(SKIP_1) | instid1(VALU_DEP_2)
	v_and_b32_e32 v197, v198, v147
	v_bitop3_b32 v198, v198, 1, v147 bitop3:0x80
	v_lshlrev_b32_e32 v209, 30, v197
	s_delay_alu instid0(VALU_DEP_2) | instskip(NEXT) | instid1(VALU_DEP_1)
	v_add_co_u32 v198, s14, v198, -1
	v_cndmask_b32_e64 v208, 0, 1, s14
	s_delay_alu instid0(VALU_DEP_3) | instskip(NEXT) | instid1(VALU_DEP_2)
	v_cmp_gt_i32_e64 s15, 0, v209
	v_cmp_ne_u32_e64 s14, 0, v208
	v_not_b32_e32 v208, v209
	s_delay_alu instid0(VALU_DEP_1)
	v_dual_ashrrev_i32 v208, 31, v208 :: v_dual_lshlrev_b32 v210, 29, v197
	v_dual_lshlrev_b32 v211, 28, v197 :: v_dual_lshlrev_b32 v212, 27, v197
	v_lshlrev_b32_e32 v213, 26, v197
	s_set_vgpr_msb 16                       ;  msbs: dst=0 src0=0 src1=0 src2=1
	v_lshl_add_u32 v199, v197, 3, v41 /*v297*/
	v_cmp_gt_i32_e64 s16, 0, v210
	v_not_b32_e32 v209, v210
	v_not_b32_e32 v210, v211
	v_dual_lshlrev_b32 v214, 25, v197 :: v_dual_lshlrev_b32 v197, 24, v197
	v_cmp_gt_i32_e64 s17, 0, v211
	v_cmp_gt_i32_e64 s18, 0, v212
	v_not_b32_e32 v211, v212
	v_not_b32_e32 v212, v213
	v_dual_ashrrev_i32 v209, 31, v209 :: v_dual_bitop2_b32 v198, s14, v198 bitop3:0x14
	v_dual_ashrrev_i32 v210, 31, v210 :: v_dual_bitop2_b32 v208, s15, v208 bitop3:0x14
	v_cmp_gt_i32_e64 s19, 0, v213
	v_not_b32_e32 v213, v214
	v_cmp_gt_i32_e64 s21, 0, v197
	v_not_b32_e32 v197, v197
	v_dual_ashrrev_i32 v211, 31, v211 :: v_dual_ashrrev_i32 v212, 31, v212
	v_xor_b32_e32 v210, s17, v210
	v_bitop3_b32 v198, v198, v208, exec_lo bitop3:0x80
	s_set_vgpr_msb 0                        ;  msbs: dst=0 src0=0 src1=0 src2=0
	v_lshl_add_u32 v199, v199, 2, v12
	v_xor_b32_e32 v209, s16, v209
	v_cmp_gt_i32_e64 s20, 0, v214
	v_ashrrev_i32_e32 v208, 31, v213
	v_dual_ashrrev_i32 v197, 31, v197 :: v_dual_bitop2_b32 v211, s18, v211 bitop3:0x14
	v_xor_b32_e32 v212, s19, v212
	v_bitop3_b32 v198, v198, v210, v209 bitop3:0x80
	s_delay_alu instid0(VALU_DEP_4) | instskip(NEXT) | instid1(VALU_DEP_4)
	v_xor_b32_e32 v208, s20, v208
	v_xor_b32_e32 v209, s21, v197
	ds_load_b32 v197, v199 offset:32
	v_add_nc_u32_e32 v199, 32, v199
	v_bitop3_b32 v198, v198, v212, v211 bitop3:0x80
	; wave barrier
	s_delay_alu instid0(VALU_DEP_1) | instskip(NEXT) | instid1(VALU_DEP_1)
	v_bitop3_b32 v208, v198, v209, v208 bitop3:0x80
	v_mbcnt_lo_u32_b32 v198, v208, 0
	v_cmp_ne_u32_e64 s15, 0, v208
	s_delay_alu instid0(VALU_DEP_2) | instskip(SKIP_1) | instid1(SALU_CYCLE_1)
	v_cmp_eq_u32_e64 s14, 0, v198
	s_and_b32 s15, s15, s14
	s_and_saveexec_b32 s14, s15
	s_cbranch_execz .LBB1215_79
; %bb.78:                               ;   in Loop: Header=BB1215_53 Depth=1
	s_wait_dscnt 0x0
	v_bcnt_u32_b32 v208, v208, v197
	ds_store_b32 v199, v208
.LBB1215_79:                            ;   in Loop: Header=BB1215_53 Depth=1
	s_or_b32 exec_lo, exec_lo, s14
	v_cmp_ne_u64_e64 s14, s[22:23], v[102:103]
	; wave barrier
	s_delay_alu instid0(VALU_DEP_1) | instskip(SKIP_1) | instid1(VALU_DEP_1)
	v_cndmask_b32_e64 v209, 0x80000000, v103, s14
	v_cndmask_b32_e64 v208, 0, v102, s14
	v_lshrrev_b64 v[208:209], v10, v[208:209]
	s_delay_alu instid0(VALU_DEP_1) | instskip(SKIP_1) | instid1(VALU_DEP_2)
	v_and_b32_e32 v209, v208, v147
	v_bitop3_b32 v208, v208, 1, v147 bitop3:0x80
	v_lshlrev_b32_e32 v212, 30, v209
	s_delay_alu instid0(VALU_DEP_2) | instskip(NEXT) | instid1(VALU_DEP_1)
	v_add_co_u32 v208, s14, v208, -1
	v_cndmask_b32_e64 v211, 0, 1, s14
	v_lshlrev_b32_e32 v213, 29, v209
	s_delay_alu instid0(VALU_DEP_4) | instskip(NEXT) | instid1(VALU_DEP_3)
	v_cmp_gt_i32_e64 s15, 0, v212
	v_cmp_ne_u32_e64 s14, 0, v211
	v_not_b32_e32 v211, v212
	s_delay_alu instid0(VALU_DEP_4) | instskip(NEXT) | instid1(VALU_DEP_2)
	v_not_b32_e32 v212, v213
	v_dual_ashrrev_i32 v211, 31, v211 :: v_dual_bitop2_b32 v208, s14, v208 bitop3:0x14
	s_delay_alu instid0(VALU_DEP_2)
	v_dual_ashrrev_i32 v212, 31, v212 :: v_dual_lshlrev_b32 v214, 28, v209
	v_dual_lshlrev_b32 v215, 27, v209 :: v_dual_lshlrev_b32 v224, 26, v209
	v_cmp_gt_i32_e64 s16, 0, v213
	s_set_vgpr_msb 16                       ;  msbs: dst=0 src0=0 src1=0 src2=1
	v_lshl_add_u32 v210, v209, 3, v41 /*v297*/
	v_not_b32_e32 v213, v214
	v_dual_lshlrev_b32 v225, 25, v209 :: v_dual_lshlrev_b32 v209, 24, v209
	v_cmp_gt_i32_e64 s17, 0, v214
	v_cmp_gt_i32_e64 s18, 0, v215
	v_not_b32_e32 v214, v215
	v_not_b32_e32 v215, v224
	v_dual_ashrrev_i32 v213, 31, v213 :: v_dual_bitop2_b32 v211, s15, v211 bitop3:0x14
	v_cmp_gt_i32_e64 s19, 0, v224
	v_not_b32_e32 v224, v225
	v_cmp_gt_i32_e64 s21, 0, v209
	v_not_b32_e32 v209, v209
	v_dual_ashrrev_i32 v214, 31, v214 :: v_dual_ashrrev_i32 v215, 31, v215
	v_xor_b32_e32 v212, s16, v212
	v_xor_b32_e32 v213, s17, v213
	v_bitop3_b32 v208, v208, v211, exec_lo bitop3:0x80
	v_cmp_gt_i32_e64 s20, 0, v225
	v_dual_ashrrev_i32 v211, 31, v224 :: v_dual_ashrrev_i32 v209, 31, v209
	v_xor_b32_e32 v214, s18, v214
	s_set_vgpr_msb 0                        ;  msbs: dst=0 src0=0 src1=0 src2=0
	v_bitop3_b32 v208, v208, v213, v212 bitop3:0x80
	v_lshl_add_u32 v210, v210, 2, v12
	v_xor_b32_e32 v215, s19, v215
	v_xor_b32_e32 v211, s20, v211
	v_xor_b32_e32 v209, s21, v209
	s_delay_alu instid0(VALU_DEP_3) | instskip(SKIP_3) | instid1(VALU_DEP_1)
	v_bitop3_b32 v212, v208, v215, v214 bitop3:0x80
	ds_load_b32 v208, v210 offset:32
	v_add_nc_u32_e32 v210, 32, v210
	; wave barrier
	v_bitop3_b32 v211, v212, v209, v211 bitop3:0x80
	v_mbcnt_lo_u32_b32 v209, v211, 0
	v_cmp_ne_u32_e64 s15, 0, v211
	s_delay_alu instid0(VALU_DEP_2) | instskip(SKIP_1) | instid1(SALU_CYCLE_1)
	v_cmp_eq_u32_e64 s14, 0, v209
	s_and_b32 s15, s15, s14
	s_and_saveexec_b32 s14, s15
	s_cbranch_execz .LBB1215_81
; %bb.80:                               ;   in Loop: Header=BB1215_53 Depth=1
	s_wait_dscnt 0x0
	v_bcnt_u32_b32 v211, v211, v208
	ds_store_b32 v210, v211
.LBB1215_81:                            ;   in Loop: Header=BB1215_53 Depth=1
	s_or_b32 exec_lo, exec_lo, s14
	v_cmp_ne_u64_e64 s14, s[22:23], v[100:101]
	; wave barrier
	s_delay_alu instid0(VALU_DEP_1) | instskip(SKIP_1) | instid1(VALU_DEP_1)
	v_cndmask_b32_e64 v213, 0x80000000, v101, s14
	v_cndmask_b32_e64 v212, 0, v100, s14
	v_lshrrev_b64 v[212:213], v10, v[212:213]
	s_delay_alu instid0(VALU_DEP_1) | instskip(SKIP_1) | instid1(VALU_DEP_2)
	v_and_b32_e32 v211, v212, v147
	v_bitop3_b32 v212, v212, 1, v147 bitop3:0x80
	v_lshlrev_b32_e32 v215, 30, v211
	s_delay_alu instid0(VALU_DEP_2) | instskip(NEXT) | instid1(VALU_DEP_1)
	v_add_co_u32 v212, s14, v212, -1
	v_cndmask_b32_e64 v214, 0, 1, s14
	s_delay_alu instid0(VALU_DEP_3) | instskip(NEXT) | instid1(VALU_DEP_2)
	v_cmp_gt_i32_e64 s15, 0, v215
	v_cmp_ne_u32_e64 s14, 0, v214
	v_not_b32_e32 v214, v215
	s_delay_alu instid0(VALU_DEP_1)
	v_dual_ashrrev_i32 v214, 31, v214 :: v_dual_lshlrev_b32 v224, 29, v211
	v_dual_lshlrev_b32 v225, 28, v211 :: v_dual_lshlrev_b32 v226, 27, v211
	v_lshlrev_b32_e32 v227, 26, v211
	s_set_vgpr_msb 16                       ;  msbs: dst=0 src0=0 src1=0 src2=1
	v_lshl_add_u32 v213, v211, 3, v41 /*v297*/
	v_cmp_gt_i32_e64 s16, 0, v224
	v_not_b32_e32 v215, v224
	v_not_b32_e32 v224, v225
	v_dual_lshlrev_b32 v228, 25, v211 :: v_dual_lshlrev_b32 v211, 24, v211
	v_cmp_gt_i32_e64 s17, 0, v225
	v_cmp_gt_i32_e64 s18, 0, v226
	v_not_b32_e32 v225, v226
	v_not_b32_e32 v226, v227
	v_dual_ashrrev_i32 v215, 31, v215 :: v_dual_bitop2_b32 v212, s14, v212 bitop3:0x14
	v_dual_ashrrev_i32 v224, 31, v224 :: v_dual_bitop2_b32 v214, s15, v214 bitop3:0x14
	v_cmp_gt_i32_e64 s19, 0, v227
	v_not_b32_e32 v227, v228
	v_cmp_gt_i32_e64 s21, 0, v211
	v_not_b32_e32 v211, v211
	v_dual_ashrrev_i32 v225, 31, v225 :: v_dual_ashrrev_i32 v226, 31, v226
	v_xor_b32_e32 v224, s17, v224
	v_bitop3_b32 v212, v212, v214, exec_lo bitop3:0x80
	s_set_vgpr_msb 0                        ;  msbs: dst=0 src0=0 src1=0 src2=0
	v_lshl_add_u32 v213, v213, 2, v12
	v_xor_b32_e32 v215, s16, v215
	v_cmp_gt_i32_e64 s20, 0, v228
	v_ashrrev_i32_e32 v214, 31, v227
	v_dual_ashrrev_i32 v211, 31, v211 :: v_dual_bitop2_b32 v225, s18, v225 bitop3:0x14
	v_xor_b32_e32 v226, s19, v226
	v_bitop3_b32 v212, v212, v224, v215 bitop3:0x80
	s_delay_alu instid0(VALU_DEP_4) | instskip(NEXT) | instid1(VALU_DEP_4)
	v_xor_b32_e32 v214, s20, v214
	v_xor_b32_e32 v215, s21, v211
	ds_load_b32 v211, v213 offset:32
	v_add_nc_u32_e32 v213, 32, v213
	v_bitop3_b32 v212, v212, v226, v225 bitop3:0x80
	; wave barrier
	s_delay_alu instid0(VALU_DEP_1) | instskip(NEXT) | instid1(VALU_DEP_1)
	v_bitop3_b32 v214, v212, v215, v214 bitop3:0x80
	v_mbcnt_lo_u32_b32 v212, v214, 0
	v_cmp_ne_u32_e64 s15, 0, v214
	s_delay_alu instid0(VALU_DEP_2) | instskip(SKIP_1) | instid1(SALU_CYCLE_1)
	v_cmp_eq_u32_e64 s14, 0, v212
	s_and_b32 s15, s15, s14
	s_and_saveexec_b32 s14, s15
	s_cbranch_execz .LBB1215_83
; %bb.82:                               ;   in Loop: Header=BB1215_53 Depth=1
	s_wait_dscnt 0x0
	v_bcnt_u32_b32 v214, v214, v211
	ds_store_b32 v213, v214
.LBB1215_83:                            ;   in Loop: Header=BB1215_53 Depth=1
	s_or_b32 exec_lo, exec_lo, s14
	v_cmp_ne_u64_e64 s14, s[22:23], v[114:115]
	; wave barrier
	s_delay_alu instid0(VALU_DEP_1) | instskip(SKIP_1) | instid1(VALU_DEP_1)
	v_cndmask_b32_e64 v215, 0x80000000, v115, s14
	v_cndmask_b32_e64 v214, 0, v114, s14
	v_lshrrev_b64 v[214:215], v10, v[214:215]
	s_delay_alu instid0(VALU_DEP_1) | instskip(SKIP_1) | instid1(VALU_DEP_2)
	v_and_b32_e32 v215, v214, v147
	v_bitop3_b32 v147, v214, 1, v147 bitop3:0x80
	v_lshlrev_b32_e32 v225, 30, v215
	s_delay_alu instid0(VALU_DEP_2) | instskip(NEXT) | instid1(VALU_DEP_1)
	v_add_co_u32 v147, s14, v147, -1
	v_cndmask_b32_e64 v224, 0, 1, s14
	s_delay_alu instid0(VALU_DEP_3) | instskip(NEXT) | instid1(VALU_DEP_2)
	v_cmp_gt_i32_e64 s15, 0, v225
	v_cmp_ne_u32_e64 s14, 0, v224
	v_not_b32_e32 v224, v225
	s_delay_alu instid0(VALU_DEP_1)
	v_dual_ashrrev_i32 v224, 31, v224 :: v_dual_lshlrev_b32 v226, 29, v215
	v_dual_lshlrev_b32 v227, 28, v215 :: v_dual_lshlrev_b32 v228, 27, v215
	v_lshlrev_b32_e32 v229, 26, v215
	s_set_vgpr_msb 16                       ;  msbs: dst=0 src0=0 src1=0 src2=1
	v_lshl_add_u32 v214, v215, 3, v41 /*v297*/
	v_cmp_gt_i32_e64 s16, 0, v226
	v_not_b32_e32 v225, v226
	v_not_b32_e32 v226, v227
	v_dual_lshlrev_b32 v230, 25, v215 :: v_dual_lshlrev_b32 v215, 24, v215
	v_cmp_gt_i32_e64 s17, 0, v227
	v_cmp_gt_i32_e64 s18, 0, v228
	v_not_b32_e32 v227, v228
	v_not_b32_e32 v228, v229
	v_dual_ashrrev_i32 v225, 31, v225 :: v_dual_bitop2_b32 v147, s14, v147 bitop3:0x14
	v_dual_ashrrev_i32 v226, 31, v226 :: v_dual_bitop2_b32 v224, s15, v224 bitop3:0x14
	v_cmp_gt_i32_e64 s19, 0, v229
	v_not_b32_e32 v229, v230
	v_cmp_gt_i32_e64 s21, 0, v215
	v_not_b32_e32 v215, v215
	v_dual_ashrrev_i32 v227, 31, v227 :: v_dual_ashrrev_i32 v228, 31, v228
	v_xor_b32_e32 v225, s16, v225
	v_xor_b32_e32 v226, s17, v226
	v_bitop3_b32 v147, v147, v224, exec_lo bitop3:0x80
	v_cmp_gt_i32_e64 s20, 0, v230
	v_dual_ashrrev_i32 v224, 31, v229 :: v_dual_ashrrev_i32 v215, 31, v215
	v_xor_b32_e32 v228, s19, v228
	s_set_vgpr_msb 0                        ;  msbs: dst=0 src0=0 src1=0 src2=0
	v_bitop3_b32 v147, v147, v226, v225 bitop3:0x80
	v_lshl_add_u32 v225, v214, 2, v12
	v_xor_b32_e32 v227, s18, v227
	v_xor_b32_e32 v214, s20, v224
	;; [unrolled: 1-line block ×3, first 2 shown]
	s_delay_alu instid0(VALU_DEP_3) | instskip(SKIP_3) | instid1(VALU_DEP_2)
	v_bitop3_b32 v224, v147, v228, v227 bitop3:0x80
	ds_load_b32 v147, v225 offset:32
	; wave barrier
	v_bitop3_b32 v224, v224, v215, v214 bitop3:0x80
	v_add_nc_u32_e32 v215, 32, v225
	v_mbcnt_lo_u32_b32 v214, v224, 0
	v_cmp_ne_u32_e64 s15, 0, v224
	s_delay_alu instid0(VALU_DEP_2) | instskip(SKIP_1) | instid1(SALU_CYCLE_1)
	v_cmp_eq_u32_e64 s14, 0, v214
	s_and_b32 s15, s15, s14
	s_and_saveexec_b32 s14, s15
	s_cbranch_execz .LBB1215_85
; %bb.84:                               ;   in Loop: Header=BB1215_53 Depth=1
	s_wait_dscnt 0x0
	v_bcnt_u32_b32 v224, v224, v147
	ds_store_b32 v215, v224
.LBB1215_85:                            ;   in Loop: Header=BB1215_53 Depth=1
	s_or_b32 exec_lo, exec_lo, s14
	; wave barrier
	s_wait_dscnt 0x0
	s_barrier_signal -1
	s_barrier_wait -1
	ds_load_b32 v228, v23
	ds_load_b32 v229, v39
	s_set_vgpr_msb 1                        ;  msbs: dst=0 src0=1 src1=0 src2=0
	ds_load_b32 v230, v35 /*v291*/
	ds_load_b32 v227, v36 /*v292*/
	ds_load_b32 v226, v37 /*v293*/
	ds_load_b32 v225, v38 /*v294*/
	ds_load_b32 v224, v39 /*v295*/
	ds_load_b32 v231, v40 /*v296*/
	s_wait_dscnt 0x6
	s_set_vgpr_msb 0                        ;  msbs: dst=0 src0=0 src1=0 src2=0
	v_add_nc_u32_e32 v240, v229, v228
	s_wait_dscnt 0x4
	s_delay_alu instid0(VALU_DEP_1) | instskip(SKIP_1) | instid1(VALU_DEP_1)
	v_add3_u32 v240, v240, v230, v227
	s_wait_dscnt 0x2
	v_add3_u32 v240, v240, v226, v225
	s_wait_dscnt 0x0
	s_delay_alu instid0(VALU_DEP_1) | instskip(NEXT) | instid1(VALU_DEP_1)
	v_add3_u32 v231, v240, v224, v231
	v_mov_b32_dpp v240, v231 row_shr:1 row_mask:0xf bank_mask:0xf
	s_delay_alu instid0(VALU_DEP_1) | instskip(NEXT) | instid1(VALU_DEP_1)
	v_cndmask_b32_e64 v240, v240, 0, vcc_lo
	v_add_nc_u32_e32 v231, v240, v231
	s_delay_alu instid0(VALU_DEP_1) | instskip(NEXT) | instid1(VALU_DEP_1)
	v_mov_b32_dpp v240, v231 row_shr:2 row_mask:0xf bank_mask:0xf
	v_cndmask_b32_e64 v240, 0, v240, s0
	s_delay_alu instid0(VALU_DEP_1) | instskip(NEXT) | instid1(VALU_DEP_1)
	v_add_nc_u32_e32 v231, v231, v240
	v_mov_b32_dpp v240, v231 row_shr:4 row_mask:0xf bank_mask:0xf
	s_delay_alu instid0(VALU_DEP_1) | instskip(NEXT) | instid1(VALU_DEP_1)
	v_cndmask_b32_e64 v240, 0, v240, s1
	v_add_nc_u32_e32 v231, v231, v240
	s_delay_alu instid0(VALU_DEP_1) | instskip(NEXT) | instid1(VALU_DEP_1)
	v_mov_b32_dpp v240, v231 row_shr:8 row_mask:0xf bank_mask:0xf
	v_cndmask_b32_e64 v240, 0, v240, s3
	s_delay_alu instid0(VALU_DEP_1) | instskip(SKIP_3) | instid1(VALU_DEP_1)
	v_add_nc_u32_e32 v231, v231, v240
	ds_swizzle_b32 v240, v231 offset:swizzle(BROADCAST,32,15)
	s_wait_dscnt 0x0
	v_cndmask_b32_e64 v240, v240, 0, s4
	v_add_nc_u32_e32 v231, v231, v240
	s_and_saveexec_b32 s14, s5
; %bb.86:                               ;   in Loop: Header=BB1215_53 Depth=1
	s_set_vgpr_msb 1                        ;  msbs: dst=0 src0=1 src1=0 src2=0
	ds_store_b32 v43 /*v299*/, v231
; %bb.87:                               ;   in Loop: Header=BB1215_53 Depth=1
	s_or_b32 exec_lo, exec_lo, s14
	s_wait_dscnt 0x0
	s_barrier_signal -1
	s_barrier_wait -1
	s_and_saveexec_b32 s14, s6
	s_set_vgpr_msb 0                        ;  msbs: dst=0 src0=0 src1=0 src2=0
	s_cbranch_execz .LBB1215_89
; %bb.88:                               ;   in Loop: Header=BB1215_53 Depth=1
	s_set_vgpr_msb 1                        ;  msbs: dst=0 src0=1 src1=0 src2=0
	ds_load_b32 v240, v44 /*v300*/
	s_wait_dscnt 0x0
	s_set_vgpr_msb 0                        ;  msbs: dst=0 src0=0 src1=0 src2=0
	v_mov_b32_dpp v241, v240 row_shr:1 row_mask:0xf bank_mask:0xf
	s_delay_alu instid0(VALU_DEP_1) | instskip(NEXT) | instid1(VALU_DEP_1)
	v_cndmask_b32_e64 v241, v241, 0, s11
	v_add_nc_u32_e32 v240, v241, v240
	s_delay_alu instid0(VALU_DEP_1) | instskip(NEXT) | instid1(VALU_DEP_1)
	v_mov_b32_dpp v241, v240 row_shr:2 row_mask:0xf bank_mask:0xf
	v_cndmask_b32_e64 v241, 0, v241, s12
	s_delay_alu instid0(VALU_DEP_1) | instskip(NEXT) | instid1(VALU_DEP_1)
	v_add_nc_u32_e32 v240, v240, v241
	v_mov_b32_dpp v241, v240 row_shr:4 row_mask:0xf bank_mask:0xf
	s_delay_alu instid0(VALU_DEP_1) | instskip(NEXT) | instid1(VALU_DEP_1)
	v_cndmask_b32_e64 v241, 0, v241, s13
	v_add_nc_u32_e32 v240, v240, v241
	s_set_vgpr_msb 1                        ;  msbs: dst=0 src0=1 src1=0 src2=0
	ds_store_b32 v44 /*v300*/, v240
.LBB1215_89:                            ;   in Loop: Header=BB1215_53 Depth=1
	s_or_b32 exec_lo, exec_lo, s14
	s_set_vgpr_msb 0                        ;  msbs: dst=0 src0=0 src1=0 src2=0
	v_mov_b32_e32 v240, 0
	s_wait_dscnt 0x0
	s_barrier_signal -1
	s_barrier_wait -1
	s_and_saveexec_b32 s14, s7
; %bb.90:                               ;   in Loop: Header=BB1215_53 Depth=1
	s_set_vgpr_msb 1                        ;  msbs: dst=0 src0=1 src1=0 src2=0
	ds_load_b32 v240, v46 /*v302*/
; %bb.91:                               ;   in Loop: Header=BB1215_53 Depth=1
	s_or_b32 exec_lo, exec_lo, s14
	s_wait_dscnt 0x0
	s_set_vgpr_msb 0                        ;  msbs: dst=0 src0=0 src1=0 src2=0
	v_dual_add_nc_u32 v231, v240, v231 :: v_dual_add_nc_u32 v10, 8, v10
	v_dual_mov_b32 v245, v1 :: v_dual_mov_b32 v247, v1
	s_set_vgpr_msb 64                       ;  msbs: dst=1 src0=0 src1=0 src2=0
	v_dual_mov_b32 v1 /*v257*/, v1 :: v_dual_mov_b32 v21 /*v277*/, v1
	s_set_vgpr_msb 1                        ;  msbs: dst=0 src0=1 src1=0 src2=0
	ds_bpermute_b32 v231, v42 /*v298*/, v231
	s_set_vgpr_msb 64                       ;  msbs: dst=1 src0=0 src1=0 src2=0
	v_dual_mov_b32 v23 /*v279*/, v1 :: v_dual_mov_b32 v25 /*v281*/, v1
	s_mov_b32 s16, -1
	s_wait_dscnt 0x0
	s_set_vgpr_msb 0                        ;  msbs: dst=0 src0=0 src1=0 src2=0
	v_dual_mov_b32 v243, v1 :: v_dual_cndmask_b32 v231, v231, v240, s2
	s_delay_alu instid0(VALU_DEP_1) | instskip(SKIP_2) | instid1(VALU_DEP_3)
	v_cndmask_b32_e64 v240, v231, 0, s10
	v_mov_b32_e32 v231, v1
	v_cmp_lt_u32_e64 s14, v10, v11
	v_add_nc_u32_e32 v228, v240, v228
	s_delay_alu instid0(VALU_DEP_1)
	v_dual_mov_b32 v229, v1 :: v_dual_add_nc_u32 v242, v228, v229
	ds_store_b32 v23, v240
	ds_store_b32 v39, v228
	s_set_vgpr_msb 1                        ;  msbs: dst=0 src0=1 src1=0 src2=0
	ds_store_b32 v35 /*v291*/, v242
	s_set_vgpr_msb 0                        ;  msbs: dst=0 src0=0 src1=0 src2=0
	v_dual_mov_b32 v241, v1 :: v_dual_add_nc_u32 v230, v242, v230
	s_delay_alu instid0(VALU_DEP_1) | instskip(NEXT) | instid1(VALU_DEP_1)
	v_dual_mov_b32 v227, v1 :: v_dual_add_nc_u32 v244, v230, v227
	v_add_nc_u32_e32 v226, v244, v226
	s_delay_alu instid0(VALU_DEP_1) | instskip(NEXT) | instid1(VALU_DEP_1)
	v_dual_mov_b32 v225, v1 :: v_dual_add_nc_u32 v246, v226, v225
	v_add_nc_u32_e32 v224, v246, v224
	s_set_vgpr_msb 1                        ;  msbs: dst=0 src0=1 src1=0 src2=0
	ds_store_b32 v36 /*v292*/, v230
	ds_store_b32 v37 /*v293*/, v244
	ds_store_b32 v38 /*v294*/, v226
	ds_store_b32 v39 /*v295*/, v246
	ds_store_b32 v40 /*v296*/, v224
	s_wait_dscnt 0x0
	s_barrier_signal -1
	s_barrier_wait -1
	s_set_vgpr_msb 0                        ;  msbs: dst=0 src0=0 src1=0 src2=0
	ds_load_b32 v130, v130
	ds_load_b32 v224, v133
	;; [unrolled: 1-line block ×16, first 2 shown]
	v_dual_mov_b32 v133, v1 :: v_dual_mov_b32 v151, v1
	v_mov_b32_e32 v165, v1
	s_wait_dscnt 0x0
	v_add_nc_u32_e32 v0, v130, v0
	v_add3_u32 v228, v132, v131, v224
	v_add3_u32 v230, v135, v134, v144
	;; [unrolled: 1-line block ×7, first 2 shown]
	s_set_vgpr_msb 64                       ;  msbs: dst=1 src0=0 src1=0 src2=0
	v_add3_u32 v0 /*v256*/, v178, v177, v179
	v_add3_u32 v20 /*v276*/, v181, v180, v182
	;; [unrolled: 1-line block ×4, first 2 shown]
	s_set_vgpr_msb 0                        ;  msbs: dst=0 src0=0 src1=0 src2=0
	v_add3_u32 v224, v198, v197, v199
	v_add3_u32 v132, v209, v208, v210
	;; [unrolled: 1-line block ×4, first 2 shown]
	s_set_vgpr_msb 64                       ;  msbs: dst=1 src0=0 src1=0 src2=0
	v_lshl_add_u64 v[2:3] /*v[258:259]*/, v[0:1], 3, v[12:13]
	v_lshl_add_u64 v[4:5] /*v[260:261]*/, v[228:229], 3, v[12:13]
	;; [unrolled: 1-line block ×8, first 2 shown]
	s_set_vgpr_msb 0x41                     ;  msbs: dst=1 src0=1 src1=0 src2=0
	v_lshl_add_u64 v[18:19] /*v[274:275]*/, v[0:1] /*v[256:257]*/, 3, v[12:13]
	v_lshl_add_u64 v[20:21] /*v[276:277]*/, v[20:21] /*v[276:277]*/, 3, v[12:13]
	;; [unrolled: 1-line block ×4, first 2 shown]
	s_set_vgpr_msb 64                       ;  msbs: dst=1 src0=0 src1=0 src2=0
	v_lshl_add_u64 v[26:27] /*v[282:283]*/, v[224:225], 3, v[12:13]
	v_lshl_add_u64 v[28:29] /*v[284:285]*/, v[132:133], 3, v[12:13]
	;; [unrolled: 1-line block ×4, first 2 shown]
                                        ; implicit-def: $vgpr132_vgpr133
                                        ; implicit-def: $vgpr130_vgpr131
                                        ; implicit-def: $vgpr134_vgpr135
                                        ; implicit-def: $vgpr146_vgpr147
                                        ; implicit-def: $vgpr150_vgpr151
                                        ; implicit-def: $vgpr144_vgpr145
                                        ; implicit-def: $vgpr148_vgpr149
                                        ; implicit-def: $vgpr160_vgpr161
                                        ; implicit-def: $vgpr162_vgpr163
                                        ; implicit-def: $vgpr164_vgpr165
                                        ; implicit-def: $vgpr166_vgpr167
                                        ; implicit-def: $vgpr176_vgpr177
                                        ; implicit-def: $vgpr178_vgpr179
                                        ; implicit-def: $vgpr180_vgpr181
                                        ; implicit-def: $vgpr194_vgpr195
                                        ; implicit-def: $vgpr208_vgpr209
                                        ; implicit-def: $vgpr228_vgpr229
                                        ; implicit-def: $vgpr182_vgpr183
                                        ; implicit-def: $vgpr192_vgpr193
                                        ; implicit-def: $vgpr210_vgpr211
                                        ; implicit-def: $vgpr198_vgpr199
                                        ; implicit-def: $vgpr226_vgpr227
                                        ; implicit-def: $vgpr224_vgpr225
                                        ; implicit-def: $vgpr240_vgpr241
                                        ; implicit-def: $vgpr242_vgpr243
                                        ; implicit-def: $vgpr246_vgpr247
                                        ; implicit-def: $vgpr196_vgpr197
                                        ; implicit-def: $vgpr212_vgpr213
                                        ; implicit-def: $vgpr214_vgpr215
                                        ; implicit-def: $vgpr230_vgpr231
                                        ; implicit-def: $vgpr244_vgpr245
                                        ; implicit-def: $vgpr256_vgpr257
	s_and_saveexec_b32 s15, s14
	s_set_vgpr_msb 0                        ;  msbs: dst=0 src0=0 src1=0 src2=0
	s_cbranch_execz .LBB1215_52
; %bb.92:                               ;   in Loop: Header=BB1215_53 Depth=1
	s_barrier_signal -1
	s_barrier_wait -1
	s_set_vgpr_msb 1                        ;  msbs: dst=0 src0=1 src1=0 src2=0
	ds_store_b64 v2 /*v258*/, v[48:49]
	ds_store_b64 v4 /*v260*/, v[64:65]
	;; [unrolled: 1-line block ×16, first 2 shown]
	s_wait_dscnt 0x0
	s_barrier_signal -1
	s_barrier_wait -1
	ds_load_b64 v[228:229], v45 /*v301*/
	ds_load_b64 v[182:183], v47 /*v303*/
	;; [unrolled: 1-line block ×15, first 2 shown]
	s_set_vgpr_msb 0x41                     ;  msbs: dst=1 src0=1 src1=0 src2=0
	ds_load_b64 v[0:1] /*v[256:257]*/, v61 /*v317*/
	s_wait_dscnt 0x0
	s_barrier_signal -1
	s_barrier_wait -1
	ds_store_b64 v2 /*v258*/, v[4:5]
	ds_store_b64 v4 /*v260*/, v[24:25]
	;; [unrolled: 1-line block ×16, first 2 shown]
	s_wait_dscnt 0x0
	s_barrier_signal -1
	s_barrier_wait -1
	s_set_vgpr_msb 1                        ;  msbs: dst=0 src0=1 src1=0 src2=0
	ds_load_b64 v[132:133], v45 /*v301*/
	ds_load_b64 v[130:131], v47 /*v303*/
	;; [unrolled: 1-line block ×16, first 2 shown]
	s_set_vgpr_msb 0x44                     ;  msbs: dst=1 src0=0 src1=1 src2=0
	v_add_nc_u32_e32 v62 /*v318*/, -8, v62 /*v318*/
	s_xor_b32 s16, exec_lo, -1
	s_wait_dscnt 0x0
	s_barrier_signal -1
	s_barrier_wait -1
	s_set_vgpr_msb 0                        ;  msbs: dst=0 src0=0 src1=0 src2=0
	s_branch .LBB1215_52
.LBB1215_93:
	s_or_b32 exec_lo, exec_lo, s28
	v_lshl_add_u32 v0, v22, 3, v12
	s_barrier_signal -1
	s_barrier_wait -1
	s_set_vgpr_msb 1                        ;  msbs: dst=0 src0=1 src1=0 src2=0
	ds_store_b64 v2 /*v258*/, v[48:49]
	ds_store_b64 v4 /*v260*/, v[64:65]
	;; [unrolled: 1-line block ×16, first 2 shown]
	s_wait_dscnt 0x0
	s_barrier_signal -1
	s_barrier_wait -1
	s_set_vgpr_msb 0                        ;  msbs: dst=0 src0=0 src1=0 src2=0
	ds_load_2addr_stride64_b64 v[112:115], v0 offset1:4
	ds_load_2addr_stride64_b64 v[100:103], v0 offset0:8 offset1:12
	ds_load_2addr_stride64_b64 v[96:99], v0 offset0:16 offset1:20
	;; [unrolled: 1-line block ×7, first 2 shown]
	s_wait_dscnt 0x0
	s_barrier_signal -1
	s_barrier_wait -1
	s_set_vgpr_msb 1                        ;  msbs: dst=0 src0=1 src1=0 src2=0
	ds_store_b64 v2 /*v258*/, v[4:5]
	ds_store_b64 v4 /*v260*/, v[24:25]
	ds_store_b64 v6 /*v262*/, v[20:21]
	ds_store_b64 v8 /*v264*/, v[18:19]
	ds_store_b64 v10 /*v266*/, v[16:17]
	ds_store_b64 v12 /*v268*/, v[34:35]
	ds_store_b64 v14 /*v270*/, v[32:33]
	ds_store_b64 v16 /*v272*/, v[30:31]
	ds_store_b64 v18 /*v274*/, v[28:29]
	ds_store_b64 v20 /*v276*/, v[26:27]
	ds_store_b64 v22 /*v278*/, v[36:37]
	ds_store_b64 v24 /*v280*/, v[54:55]
	ds_store_b64 v26 /*v282*/, v[52:53]
	ds_store_b64 v28 /*v284*/, v[116:117]
	ds_store_b64 v30 /*v286*/, v[128:129]
	ds_store_b64 v32 /*v288*/, v[118:119]
	s_wait_dscnt 0x0
	s_barrier_signal -1
	s_barrier_wait -1
	s_set_vgpr_msb 4                        ;  msbs: dst=0 src0=0 src1=1 src2=0
	ds_load_2addr_stride64_b64 v[52:55], v0 offset1:4
	ds_load_2addr_stride64_b64 v[34:37], v0 offset0:8 offset1:12
	ds_load_2addr_stride64_b64 v[30:33], v0 offset0:16 offset1:20
	;; [unrolled: 1-line block ×7, first 2 shown]
	v_lshl_add_u64 v[0:1], v[8:9], 3, v[2:3]
	v_mov_b32_e32 v39, 0
	v_cmp_lt_u32_e32 vcc_lo, v38, v34 /*v290*/
	s_wait_dscnt 0x0
	s_barrier_signal -1
	s_barrier_wait -1
	v_lshl_add_u64 v[0:1], v[38:39], 3, v[0:1]
	s_and_saveexec_b32 s1, vcc_lo
	s_set_vgpr_msb 0                        ;  msbs: dst=0 src0=0 src1=0 src2=0
	s_cbranch_execz .LBB1215_95
; %bb.94:
	v_cmp_lt_i64_e64 s0, -1, v[112:113]
	s_delay_alu instid0(VALU_DEP_1) | instskip(NEXT) | instid1(VALU_DEP_1)
	v_cndmask_b32_e64 v3, 0x80000000, -1, s0
	v_dual_ashrrev_i32 v2, 31, v113 :: v_dual_bitop2_b32 v3, v3, v113 bitop3:0x14
	s_delay_alu instid0(VALU_DEP_1) | instskip(NEXT) | instid1(VALU_DEP_1)
	v_not_b32_e32 v2, v2
	v_xor_b32_e32 v2, v2, v112
	flat_store_b64 v[0:1], v[2:3]
.LBB1215_95:
	s_wait_xcnt 0x0
	s_or_b32 exec_lo, exec_lo, s1
	v_add_nc_u32_e32 v2, 0x100, v38
	s_set_vgpr_msb 4                        ;  msbs: dst=0 src0=0 src1=1 src2=0
	s_delay_alu instid0(VALU_DEP_1)
	v_cmp_lt_u32_e64 s0, v2, v34 /*v290*/
	s_and_saveexec_b32 s2, s0
	s_set_vgpr_msb 0                        ;  msbs: dst=0 src0=0 src1=0 src2=0
	s_cbranch_execz .LBB1215_97
; %bb.96:
	v_cmp_lt_i64_e64 s1, -1, v[114:115]
	s_delay_alu instid0(VALU_DEP_1) | instskip(NEXT) | instid1(VALU_DEP_1)
	v_cndmask_b32_e64 v3, 0x80000000, -1, s1
	v_dual_ashrrev_i32 v2, 31, v115 :: v_dual_bitop2_b32 v3, v3, v115 bitop3:0x14
	s_delay_alu instid0(VALU_DEP_1) | instskip(NEXT) | instid1(VALU_DEP_1)
	v_not_b32_e32 v2, v2
	v_xor_b32_e32 v2, v2, v114
	flat_store_b64 v[0:1], v[2:3] offset:2048
.LBB1215_97:
	s_wait_xcnt 0x0
	s_or_b32 exec_lo, exec_lo, s2
	v_add_nc_u32_e32 v2, 0x200, v38
	s_set_vgpr_msb 4                        ;  msbs: dst=0 src0=0 src1=1 src2=0
	s_delay_alu instid0(VALU_DEP_1)
	v_cmp_lt_u32_e64 s1, v2, v34 /*v290*/
	s_and_saveexec_b32 s3, s1
	s_set_vgpr_msb 0                        ;  msbs: dst=0 src0=0 src1=0 src2=0
	s_cbranch_execz .LBB1215_99
; %bb.98:
	v_cmp_lt_i64_e64 s2, -1, v[100:101]
	s_delay_alu instid0(VALU_DEP_1) | instskip(NEXT) | instid1(VALU_DEP_1)
	v_cndmask_b32_e64 v3, 0x80000000, -1, s2
	v_dual_ashrrev_i32 v2, 31, v101 :: v_dual_bitop2_b32 v3, v3, v101 bitop3:0x14
	s_delay_alu instid0(VALU_DEP_1) | instskip(NEXT) | instid1(VALU_DEP_1)
	v_not_b32_e32 v2, v2
	v_xor_b32_e32 v2, v2, v100
	flat_store_b64 v[0:1], v[2:3] offset:4096
.LBB1215_99:
	;; [unrolled: 19-line block ×15, first 2 shown]
	s_wait_xcnt 0x0
	s_or_b32 exec_lo, exec_lo, s18
	v_lshl_add_u64 v[0:1], v[8:9], 3, v[6:7]
	s_delay_alu instid0(VALU_DEP_1)
	v_lshl_add_u64 v[0:1], v[38:39], 3, v[0:1]
	s_and_saveexec_b32 s17, vcc_lo
	s_cbranch_execnz .LBB1215_211
; %bb.126:
	s_or_b32 exec_lo, exec_lo, s17
	s_and_saveexec_b32 s17, s0
	s_cbranch_execnz .LBB1215_212
.LBB1215_127:
	s_or_b32 exec_lo, exec_lo, s17
	s_and_saveexec_b32 s0, s1
	s_cbranch_execnz .LBB1215_213
.LBB1215_128:
	s_or_b32 exec_lo, exec_lo, s0
	s_and_saveexec_b32 s0, s2
	s_cbranch_execnz .LBB1215_214
.LBB1215_129:
	s_or_b32 exec_lo, exec_lo, s0
	s_and_saveexec_b32 s0, s3
	s_cbranch_execnz .LBB1215_215
.LBB1215_130:
	s_or_b32 exec_lo, exec_lo, s0
	s_and_saveexec_b32 s0, s4
	s_cbranch_execnz .LBB1215_216
.LBB1215_131:
	s_or_b32 exec_lo, exec_lo, s0
	s_and_saveexec_b32 s0, s5
	s_cbranch_execnz .LBB1215_217
.LBB1215_132:
	s_or_b32 exec_lo, exec_lo, s0
	s_and_saveexec_b32 s0, s6
	s_cbranch_execnz .LBB1215_218
.LBB1215_133:
	s_or_b32 exec_lo, exec_lo, s0
	s_and_saveexec_b32 s0, s7
	s_cbranch_execnz .LBB1215_219
.LBB1215_134:
	s_or_b32 exec_lo, exec_lo, s0
	s_and_saveexec_b32 s0, s10
	s_cbranch_execnz .LBB1215_220
.LBB1215_135:
	s_or_b32 exec_lo, exec_lo, s0
	s_and_saveexec_b32 s0, s11
	s_cbranch_execnz .LBB1215_221
.LBB1215_136:
	s_or_b32 exec_lo, exec_lo, s0
	s_and_saveexec_b32 s0, s12
	s_cbranch_execnz .LBB1215_222
.LBB1215_137:
	s_or_b32 exec_lo, exec_lo, s0
	s_and_saveexec_b32 s0, s13
	s_cbranch_execnz .LBB1215_223
.LBB1215_138:
	s_or_b32 exec_lo, exec_lo, s0
	s_and_saveexec_b32 s0, s14
	s_cbranch_execnz .LBB1215_224
.LBB1215_139:
	s_or_b32 exec_lo, exec_lo, s0
	s_and_saveexec_b32 s0, s15
	s_cbranch_execnz .LBB1215_225
.LBB1215_140:
	s_or_b32 exec_lo, exec_lo, s0
	s_and_saveexec_b32 s0, s16
	s_cbranch_execz .LBB1215_142
.LBB1215_141:
	flat_store_b64 v[0:1], v[12:13] offset:30720
.LBB1215_142:
	s_wait_xcnt 0x0
	s_or_b32 exec_lo, exec_lo, s0
                                        ; implicit-def: $vgpr290
                                        ; implicit-def: $vgpr8
                                        ; implicit-def: $vgpr10
                                        ; implicit-def: $vgpr11
                                        ; implicit-def: $vgpr0_vgpr1
                                        ; implicit-def: $vgpr2_vgpr3
                                        ; implicit-def: $vgpr4_vgpr5
                                        ; implicit-def: $vgpr6_vgpr7
                                        ; implicit-def: $vgpr12_vgpr13
                                        ; implicit-def: $vgpr9
                                        ; implicit-def: $vgpr14
                                        ; implicit-def: $vgpr22
                                        ; implicit-def: $vgpr258
.LBB1215_143:
	s_and_not1_saveexec_b32 s0, s26
	s_cbranch_execz .LBB1215_372
; %bb.144:
	s_mov_b32 s0, exec_lo
	s_set_vgpr_msb 4                        ;  msbs: dst=0 src0=0 src1=1 src2=0
	v_cmpx_lt_u32_e32 0x400, v34 /*v290*/
	s_xor_b32 s26, exec_lo, s0
	s_set_vgpr_msb 0                        ;  msbs: dst=0 src0=0 src1=0 src2=0
	s_cbranch_execz .LBB1215_252
; %bb.145:
	s_load_b64 s[0:1], s[8:9], 0x0
	s_bfe_u32 s3, ttmp6, 0x4000c
	s_bfe_u32 s5, ttmp6, 0x40010
	s_and_b32 s4, ttmp7, 0xffff
	s_add_co_i32 s3, s3, 1
	s_add_co_i32 s5, s5, 1
	s_and_b32 s2, ttmp6, 15
	s_bfe_u32 s6, ttmp6, 0x40004
	s_mul_i32 s3, ttmp9, s3
	s_mul_i32 s5, s4, s5
	s_add_co_i32 s2, s2, s3
	s_add_co_i32 s6, s6, s5
	s_cmp_eq_u32 s25, 0
	s_cselect_b32 s2, ttmp9, s2
	s_cselect_b32 s3, s4, s6
	s_wait_kmcnt 0x0
	s_cmp_lt_u32 s2, s0
	s_cselect_b32 s0, 12, 18
	s_cmp_lt_u32 s3, s1
	s_mov_b32 s1, 0
	s_cselect_b32 s2, 14, 20
	s_mov_b32 s3, s1
	s_add_nc_u64 s[0:1], s[8:9], s[0:1]
	s_add_nc_u64 s[2:3], s[8:9], s[2:3]
	s_clause 0x1
	s_load_u16 s0, s[0:1], 0x0
	s_nop 0
	s_load_u16 s2, s[2:3], 0x0
	s_wait_kmcnt 0x0
	v_mad_u32_u24 v9, v14, s2, v9
	s_delay_alu instid0(VALU_DEP_1) | instskip(NEXT) | instid1(VALU_DEP_1)
	v_mad_u32 v38, v9, s0, v22
	v_dual_mov_b32 v9, 0 :: v_dual_lshlrev_b32 v14, 3, v38
	s_delay_alu instid0(VALU_DEP_1)
	v_lshl_add_u64 v[0:1], v[8:9], 3, v[0:1]
	s_set_vgpr_msb 4                        ;  msbs: dst=0 src0=0 src1=1 src2=0
	v_dual_mov_b32 v31, v9 :: v_dual_lshlrev_b32 v30, 3, v2 /*v258*/
	s_set_vgpr_msb 0                        ;  msbs: dst=0 src0=0 src1=0 src2=0
	v_and_b32_e32 v32, 0xffffff00, v14
	v_mov_b32_e32 v33, v9
	v_mov_b64_e32 v[14:15], 0x7fffffffffffffff
	v_add_nc_u64_e32 v[16:17], v[0:1], v[30:31]
	v_mov_b64_e32 v[0:1], 0x7fffffffffffffff
	s_set_vgpr_msb 4                        ;  msbs: dst=0 src0=0 src1=1 src2=0
	v_or_b32_e32 v23, v32, v2 /*v258*/
	s_delay_alu instid0(VALU_DEP_3) | instskip(NEXT) | instid1(VALU_DEP_2)
	v_lshl_add_u64 v[34:35], v[32:33], 3, v[16:17]
	v_cmp_lt_u32_e32 vcc_lo, v23, v34 /*v290*/
	s_and_saveexec_b32 s0, vcc_lo
	s_set_vgpr_msb 0                        ;  msbs: dst=0 src0=0 src1=0 src2=0
	s_cbranch_execz .LBB1215_147
; %bb.146:
	flat_load_b64 v[14:15], v[34:35]
.LBB1215_147:
	s_wait_xcnt 0x0
	s_or_b32 exec_lo, exec_lo, s0
	v_or_b32_e32 v16, 32, v23
	s_set_vgpr_msb 4                        ;  msbs: dst=0 src0=0 src1=1 src2=0
	s_delay_alu instid0(VALU_DEP_1)
	v_cmp_lt_u32_e64 s0, v16, v34 /*v290*/
	s_and_saveexec_b32 s1, s0
	s_set_vgpr_msb 0                        ;  msbs: dst=0 src0=0 src1=0 src2=0
	s_cbranch_execz .LBB1215_149
; %bb.148:
	flat_load_b64 v[0:1], v[34:35] offset:256
.LBB1215_149:
	s_wait_xcnt 0x0
	s_or_b32 exec_lo, exec_lo, s1
	v_or_b32_e32 v20, 64, v23
	v_mov_b64_e32 v[16:17], 0x7fffffffffffffff
	v_mov_b64_e32 v[18:19], 0x7fffffffffffffff
	s_set_vgpr_msb 4                        ;  msbs: dst=0 src0=0 src1=1 src2=0
	s_delay_alu instid0(VALU_DEP_3)
	v_cmp_lt_u32_e64 s1, v20, v34 /*v290*/
	s_and_saveexec_b32 s2, s1
	s_set_vgpr_msb 0                        ;  msbs: dst=0 src0=0 src1=0 src2=0
	s_cbranch_execz .LBB1215_151
; %bb.150:
	flat_load_b64 v[18:19], v[34:35] offset:512
.LBB1215_151:
	s_wait_xcnt 0x0
	s_or_b32 exec_lo, exec_lo, s2
	v_or_b32_e32 v20, 0x60, v23
	s_set_vgpr_msb 4                        ;  msbs: dst=0 src0=0 src1=1 src2=0
	s_delay_alu instid0(VALU_DEP_1)
	v_cmp_lt_u32_e64 s2, v20, v34 /*v290*/
	s_and_saveexec_b32 s3, s2
	s_set_vgpr_msb 0                        ;  msbs: dst=0 src0=0 src1=0 src2=0
	s_cbranch_execz .LBB1215_153
; %bb.152:
	flat_load_b64 v[16:17], v[34:35] offset:768
.LBB1215_153:
	s_wait_xcnt 0x0
	s_or_b32 exec_lo, exec_lo, s3
	v_or_b32_e32 v26, 0x80, v23
	v_mov_b64_e32 v[20:21], 0x7fffffffffffffff
	v_mov_b64_e32 v[24:25], 0x7fffffffffffffff
	s_set_vgpr_msb 4                        ;  msbs: dst=0 src0=0 src1=1 src2=0
	s_delay_alu instid0(VALU_DEP_3)
	v_cmp_lt_u32_e64 s3, v26, v34 /*v290*/
	s_and_saveexec_b32 s4, s3
	s_set_vgpr_msb 0                        ;  msbs: dst=0 src0=0 src1=0 src2=0
	s_cbranch_execz .LBB1215_155
; %bb.154:
	flat_load_b64 v[24:25], v[34:35] offset:1024
.LBB1215_155:
	;; [unrolled: 26-line block ×3, first 2 shown]
	s_wait_xcnt 0x0
	s_or_b32 exec_lo, exec_lo, s6
	v_or_b32_e32 v23, 0xe0, v23
	s_set_vgpr_msb 4                        ;  msbs: dst=0 src0=0 src1=1 src2=0
	s_delay_alu instid0(VALU_DEP_1)
	v_cmp_lt_u32_e64 s6, v23, v34 /*v290*/
	s_and_saveexec_b32 s7, s6
	s_set_vgpr_msb 0                        ;  msbs: dst=0 src0=0 src1=0 src2=0
	s_cbranch_execz .LBB1215_161
; %bb.160:
	flat_load_b64 v[26:27], v[34:35] offset:1792
.LBB1215_161:
	s_wait_xcnt 0x0
	s_or_b32 exec_lo, exec_lo, s7
	v_lshl_add_u64 v[4:5], v[8:9], 3, v[4:5]
	v_mov_b32_e32 v31, 0
                                        ; implicit-def: $vgpr66_vgpr67
	s_delay_alu instid0(VALU_DEP_1) | instskip(NEXT) | instid1(VALU_DEP_1)
	v_add_nc_u64_e32 v[4:5], v[4:5], v[30:31]
	v_lshl_add_u64 v[4:5], v[32:33], 3, v[4:5]
	s_and_saveexec_b32 s7, vcc_lo
	s_cbranch_execnz .LBB1215_285
; %bb.162:
	s_or_b32 exec_lo, exec_lo, s7
                                        ; implicit-def: $vgpr68_vgpr69
	s_and_saveexec_b32 s7, s0
	s_cbranch_execnz .LBB1215_286
.LBB1215_163:
	s_or_b32 exec_lo, exec_lo, s7
                                        ; implicit-def: $vgpr80_vgpr81
	s_and_saveexec_b32 s0, s1
	s_cbranch_execnz .LBB1215_287
.LBB1215_164:
	s_or_b32 exec_lo, exec_lo, s0
                                        ; implicit-def: $vgpr82_vgpr83
	s_and_saveexec_b32 s0, s2
	s_cbranch_execnz .LBB1215_288
.LBB1215_165:
	s_or_b32 exec_lo, exec_lo, s0
                                        ; implicit-def: $vgpr96_vgpr97
	s_and_saveexec_b32 s0, s3
	s_cbranch_execnz .LBB1215_289
.LBB1215_166:
	s_or_b32 exec_lo, exec_lo, s0
                                        ; implicit-def: $vgpr102_vgpr103
	s_and_saveexec_b32 s0, s4
	s_cbranch_execnz .LBB1215_290
.LBB1215_167:
	s_or_b32 exec_lo, exec_lo, s0
                                        ; implicit-def: $vgpr112_vgpr113
	s_and_saveexec_b32 s0, s5
	s_cbranch_execnz .LBB1215_291
.LBB1215_168:
	s_or_b32 exec_lo, exec_lo, s0
                                        ; implicit-def: $vgpr116_vgpr117
	s_and_saveexec_b32 s0, s6
	s_cbranch_execz .LBB1215_170
.LBB1215_169:
	flat_load_b64 v[116:117], v[4:5] offset:1792
.LBB1215_170:
	s_wait_xcnt 0x0
	s_or_b32 exec_lo, exec_lo, s0
	s_wait_loadcnt_dscnt 0x0
	v_cmp_lt_i64_e32 vcc_lo, -1, v[14:15]
	s_get_pc_i64 s[0:1]
	s_add_nc_u64 s[0:1], s[0:1], _ZN7rocprim17ROCPRIM_400000_NS16block_radix_sortIdLj256ELj8ElLj1ELj1ELj8ELNS0_26block_radix_rank_algorithmE2ELNS0_18block_padding_hintE2ELNS0_4arch9wavefront6targetE0EE19radix_bits_per_passE@rel64+4
	v_cmp_gt_u32_e64 s6, 8, v22
	s_load_b32 s27, s[0:1], 0x0
	v_cmp_lt_u32_e64 s7, 31, v22
	v_cmp_eq_u32_e64 s10, 0, v22
	v_lshl_add_u32 v179, v22, 2, v12
	v_cndmask_b32_e64 v4, -1, 0x80000000, vcc_lo
	v_cmp_lt_i64_e32 vcc_lo, -1, v[0:1]
	v_ashrrev_i32_e32 v5, 31, v15
	s_mov_b64 s[22:23], 0x7fffffffffffffff
	s_mov_b32 s28, 0
	v_dual_ashrrev_i32 v15, 31, v1 :: v_dual_bitop2_b32 v129, v4, v15 bitop3:0x14
	s_delay_alu instid0(VALU_DEP_2)
	v_xor_b32_e32 v128, v5, v14
	v_cndmask_b32_e64 v4, -1, 0x80000000, vcc_lo
	v_cmp_lt_i64_e32 vcc_lo, -1, v[18:19]
	s_set_vgpr_msb 1                        ;  msbs: dst=0 src0=1 src1=0 src2=0
	v_sub_co_u32 v14, s2, v2 /*v258*/, 1
	s_set_vgpr_msb 0                        ;  msbs: dst=0 src0=0 src1=0 src2=0
	v_xor_b32_e32 v118, v15, v0
	v_dual_ashrrev_i32 v0, 31, v19 :: v_dual_bitop2_b32 v119, v4, v1 bitop3:0x14
	v_ashrrev_i32_e32 v4, 31, v17
	v_cndmask_b32_e64 v23, -1, 0x80000000, vcc_lo
	v_cmp_lt_i64_e32 vcc_lo, -1, v[16:17]
	v_cmp_gt_i32_e64 s5, 0, v14
	v_dual_ashrrev_i32 v0, 31, v25 :: v_dual_bitop2_b32 v70, v0, v18 bitop3:0x14
	s_delay_alu instid0(VALU_DEP_4)
	v_xor_b32_e32 v71, v23, v19
	v_dual_ashrrev_i32 v4, 31, v21 :: v_dual_bitop2_b32 v84, v4, v16 bitop3:0x14
	v_cndmask_b32_e64 v1, -1, 0x80000000, vcc_lo
	v_cmp_lt_i64_e32 vcc_lo, -1, v[24:25]
	v_dual_lshrrev_b32 v176, 5, v38 :: v_dual_bitop2_b32 v86, v0, v24 bitop3:0x14
	v_ashrrev_i32_e32 v0, 31, v29
	s_delay_alu instid0(VALU_DEP_4)
	v_xor_b32_e32 v85, v1, v17
	v_dual_ashrrev_i32 v4, 31, v27 :: v_dual_bitop2_b32 v98, v4, v20 bitop3:0x14
	v_cndmask_b32_e64 v5, -1, 0x80000000, vcc_lo
	v_cmp_lt_i64_e32 vcc_lo, -1, v[20:21]
	v_xor_b32_e32 v100, v0, v28
	v_lshl_add_u32 v0, v22, 5, v12
	v_xor_b32_e32 v114, v4, v26
	v_xor_b32_e32 v87, v5, v25
	s_set_vgpr_msb 4                        ;  msbs: dst=0 src0=0 src1=1 src2=0
	v_and_b32_e32 v4, 15, v2 /*v258*/
	s_wait_storecnt 0x0
	v_cndmask_b32_e64 v1, -1, 0x80000000, vcc_lo
	s_set_vgpr_msb 0                        ;  msbs: dst=0 src0=0 src1=0 src2=0
	v_cmp_lt_i64_e32 vcc_lo, -1, v[28:29]
	v_dual_add_nc_u32 v23, 32, v0 :: v_dual_add_nc_u32 v163, 44, v0
	v_dual_add_nc_u32 v164, 48, v0 :: v_dual_add_nc_u32 v165, 52, v0
	v_dual_add_nc_u32 v39, 36, v0 :: v_dual_bitop2_b32 v99, v1, v21 bitop3:0x14
	v_cndmask_b32_e64 v5, -1, 0x80000000, vcc_lo
	v_cmp_lt_i64_e32 vcc_lo, -1, v[26:27]
	v_dual_add_nc_u32 v166, 56, v0 :: v_dual_add_nc_u32 v167, 60, v0
	s_barrier_signal -1
	s_delay_alu instid0(VALU_DEP_3)
	v_dual_add_nc_u32 v162, 40, v0 :: v_dual_bitop2_b32 v101, v5, v29 bitop3:0x14
	v_and_b32_e32 v0, 0x3e0, v22
	v_cndmask_b32_e64 v1, -1, 0x80000000, vcc_lo
	s_set_vgpr_msb 4                        ;  msbs: dst=0 src0=0 src1=1 src2=0
	v_and_b32_e32 v5, 16, v2 /*v258*/
	s_barrier_wait -1
	s_set_vgpr_msb 0                        ;  msbs: dst=0 src0=0 src1=0 src2=0
	v_min_u32_e32 v0, 0xe0, v0
	v_dual_lshlrev_b32 v1, 3, v22 :: v_dual_bitop2_b32 v115, v1, v27 bitop3:0x14
	v_cmp_eq_u32_e64 s4, 0, v5
	s_set_vgpr_msb 4                        ;  msbs: dst=0 src0=0 src1=1 src2=0
	v_cndmask_b32_e64 v5, v14, v2 /*v258*/, s5
	s_set_vgpr_msb 0                        ;  msbs: dst=0 src0=0 src1=0 src2=0
	v_cmp_eq_u32_e32 vcc_lo, 0, v4
	s_wait_xcnt 0x0
	v_cmp_lt_u32_e64 s0, 1, v4
	v_cmp_lt_u32_e64 s1, 3, v4
	;; [unrolled: 1-line block ×3, first 2 shown]
	v_dual_lshrrev_b32 v4, 3, v22 :: v_dual_bitop2_b32 v0, 31, v0 bitop3:0x54
	v_lshlrev_b32_e32 v177, 2, v5
	s_set_vgpr_msb 4                        ;  msbs: dst=0 src0=0 src1=1 src2=0
	v_and_b32_e32 v5, 7, v2 /*v258*/
	s_set_vgpr_msb 16                       ;  msbs: dst=0 src0=0 src1=0 src2=1
	v_sub_nc_u32_e32 v197, v11, v10
	v_cmp_eq_u32_e64 s5, v22, v0
	v_and_b32_e32 v0, 0x7c, v4
	v_and_or_b32 v4, 0x1f00, v1, v2 /*v258*/
	v_cmp_eq_u32_e64 s11, 0, v5
	v_cmp_lt_u32_e64 s12, 1, v5
	v_cmp_lt_u32_e64 s13, 3, v5
	v_add_nc_u32_e32 v178, v12, v0
	s_set_vgpr_msb 0                        ;  msbs: dst=0 src0=0 src1=0 src2=0
	v_lshl_add_u32 v180, v4, 3, v12
	v_mov_b64_e32 v[4:5], 0
	s_delay_alu instid0(VALU_DEP_3) | instskip(NEXT) | instid1(VALU_DEP_3)
	v_dual_mov_b32 v1, 0 :: v_dual_add_nc_u32 v181, -4, v178
	v_add_nc_u32_e32 v182, 0x100, v180
	v_add_nc_u32_e32 v183, 0x200, v180
	;; [unrolled: 1-line block ×7, first 2 shown]
	s_branch .LBB1215_172
.LBB1215_171:                           ;   in Loop: Header=BB1215_172 Depth=1
	s_or_b32 exec_lo, exec_lo, s15
	s_delay_alu instid0(SALU_CYCLE_1) | instskip(NEXT) | instid1(SALU_CYCLE_1)
	s_and_b32 s14, exec_lo, s16
	s_or_b32 s28, s14, s28
	s_delay_alu instid0(SALU_CYCLE_1)
	s_and_not1_b32 exec_lo, exec_lo, s28
	s_cbranch_execz .LBB1215_226
.LBB1215_172:                           ; =>This Inner Loop Header: Depth=1
	v_mov_b64_e32 v[26:27], v[128:129]
	s_wait_kmcnt 0x0
	v_min_u32_e32 v0, s27, v197
	v_mov_b64_e32 v[14:15], v[68:69]
	v_mov_b64_e32 v[16:17], v[66:67]
	;; [unrolled: 1-line block ×4, first 2 shown]
	v_lshlrev_b32_e64 v68, v0, -1
	v_cmp_ne_u64_e64 s14, s[22:23], v[26:27]
	v_mov_b64_e32 v[24:25], v[102:103]
	v_mov_b64_e32 v[20:21], v[112:113]
	;; [unrolled: 1-line block ×3, first 2 shown]
	ds_store_b64 v23, v[4:5]
	ds_store_b64 v162, v[4:5]
	;; [unrolled: 1-line block ×4, first 2 shown]
	s_wait_dscnt 0x0
	v_cndmask_b32_e64 v19, 0x80000000, v27, s14
	v_cndmask_b32_e64 v18, 0, v26, s14
	s_barrier_signal -1
	s_barrier_wait -1
	s_delay_alu instid0(VALU_DEP_1) | instskip(SKIP_1) | instid1(VALU_DEP_2)
	v_lshrrev_b64 v[28:29], v10, v[18:19]
	v_mov_b64_e32 v[18:19], v[80:81]
	; wave barrier
	v_bitop3_b32 v0, v28, 1, v68 bitop3:0x40
	v_bitop3_b32 v50, v28, v68, v28 bitop3:0x30
	v_mov_b64_e32 v[28:29], v[118:119]
	s_delay_alu instid0(VALU_DEP_3) | instskip(NEXT) | instid1(VALU_DEP_1)
	v_add_co_u32 v0, s14, v0, -1
	v_cndmask_b32_e64 v30, 0, 1, s14
	s_delay_alu instid0(VALU_DEP_4) | instskip(SKIP_1) | instid1(VALU_DEP_3)
	v_dual_lshlrev_b32 v31, 30, v50 :: v_dual_lshlrev_b32 v32, 29, v50
	v_dual_lshlrev_b32 v33, 28, v50 :: v_dual_lshlrev_b32 v34, 27, v50
	v_cmp_ne_u32_e64 s14, 0, v30
	s_delay_alu instid0(VALU_DEP_3)
	v_not_b32_e32 v30, v31
	v_dual_lshlrev_b32 v35, 26, v50 :: v_dual_lshlrev_b32 v36, 25, v50
	v_cmp_gt_i32_e64 s15, 0, v31
	v_cmp_gt_i32_e64 s16, 0, v32
	v_not_b32_e32 v31, v32
	v_not_b32_e32 v32, v33
	v_ashrrev_i32_e32 v30, 31, v30
	v_lshlrev_b32_e32 v37, 24, v50
	v_cmp_gt_i32_e64 s17, 0, v33
	v_cmp_gt_i32_e64 s18, 0, v34
	v_not_b32_e32 v33, v34
	v_not_b32_e32 v34, v35
	v_dual_ashrrev_i32 v31, 31, v31 :: v_dual_bitop2_b32 v0, s14, v0 bitop3:0x14
	v_dual_ashrrev_i32 v32, 31, v32 :: v_dual_bitop2_b32 v30, s15, v30 bitop3:0x14
	s_delay_alu instid0(VALU_DEP_4) | instskip(SKIP_1) | instid1(VALU_DEP_4)
	v_ashrrev_i32_e32 v33, 31, v33
	v_cmp_gt_i32_e64 s19, 0, v35
	v_dual_ashrrev_i32 v34, 31, v34 :: v_dual_bitop2_b32 v31, s16, v31 bitop3:0x14
	s_delay_alu instid0(VALU_DEP_4)
	v_bitop3_b32 v0, v0, v30, exec_lo bitop3:0x80
	v_not_b32_e32 v30, v36
	v_xor_b32_e32 v32, s17, v32
	v_not_b32_e32 v35, v37
	v_cmp_gt_i32_e64 s20, 0, v36
	v_xor_b32_e32 v36, s18, v33
	v_xor_b32_e32 v34, s19, v34
	v_ashrrev_i32_e32 v48, 31, v30
	v_bitop3_b32 v0, v0, v32, v31 bitop3:0x80
	v_cmp_gt_i32_e64 s14, 0, v37
	v_ashrrev_i32_e32 v35, 31, v35
	v_mov_b64_e32 v[32:33], v[70:71]
	v_xor_b32_e32 v66, s20, v48
	v_bitop3_b32 v51, v0, v34, v36 bitop3:0x80
	v_lshl_add_u32 v0, v50, 3, v176
	v_xor_b32_e32 v67, s14, v35
	v_mov_b64_e32 v[30:31], v[84:85]
	v_mov_b64_e32 v[48:49], v[86:87]
	;; [unrolled: 1-line block ×4, first 2 shown]
	v_bitop3_b32 v69, v51, v67, v66 bitop3:0x80
	v_lshl_add_u64 v[66:67], v[0:1], 2, v[12:13]
	v_mov_b64_e32 v[50:51], v[114:115]
	s_delay_alu instid0(VALU_DEP_3) | instskip(NEXT) | instid1(VALU_DEP_3)
	v_mbcnt_lo_u32_b32 v0, v69, 0
	v_add_nc_u64_e32 v[66:67], 32, v[66:67]
	v_cmp_ne_u32_e64 s15, 0, v69
	s_delay_alu instid0(VALU_DEP_3) | instskip(SKIP_1) | instid1(SALU_CYCLE_1)
	v_cmp_eq_u32_e64 s14, 0, v0
	s_and_b32 s15, s15, s14
	s_and_saveexec_b32 s14, s15
; %bb.173:                              ;   in Loop: Header=BB1215_172 Depth=1
	v_bcnt_u32_b32 v67, v69, 0
	ds_store_b32 v66, v67
; %bb.174:                              ;   in Loop: Header=BB1215_172 Depth=1
	s_or_b32 exec_lo, exec_lo, s14
	v_cmp_ne_u64_e64 s14, s[22:23], v[28:29]
	v_not_b32_e32 v81, v68
	; wave barrier
	s_delay_alu instid0(VALU_DEP_2) | instskip(SKIP_1) | instid1(VALU_DEP_1)
	v_cndmask_b32_e64 v71, 0x80000000, v29, s14
	v_cndmask_b32_e64 v70, 0, v28, s14
	v_lshrrev_b64 v[70:71], v10, v[70:71]
	s_delay_alu instid0(VALU_DEP_1) | instskip(SKIP_1) | instid1(VALU_DEP_2)
	v_bitop3_b32 v68, v70, 1, v81 bitop3:0x80
	v_and_b32_e32 v67, v70, v81
	v_add_co_u32 v68, s14, v68, -1
	s_delay_alu instid0(VALU_DEP_1) | instskip(NEXT) | instid1(VALU_DEP_3)
	v_cndmask_b32_e64 v70, 0, 1, s14
	v_lshlrev_b32_e32 v71, 30, v67
	s_delay_alu instid0(VALU_DEP_2) | instskip(NEXT) | instid1(VALU_DEP_2)
	v_cmp_ne_u32_e64 s14, 0, v70
	v_not_b32_e32 v70, v71
	v_cmp_gt_i32_e64 s15, 0, v71
	s_delay_alu instid0(VALU_DEP_2) | instskip(SKIP_3) | instid1(VALU_DEP_4)
	v_dual_ashrrev_i32 v70, 31, v70 :: v_dual_lshlrev_b32 v80, 29, v67
	v_dual_lshlrev_b32 v82, 28, v67 :: v_dual_lshlrev_b32 v83, 27, v67
	v_lshlrev_b32_e32 v84, 26, v67
	v_lshl_add_u32 v69, v67, 3, v176
	v_cmp_gt_i32_e64 s16, 0, v80
	v_not_b32_e32 v71, v80
	v_not_b32_e32 v80, v82
	v_dual_lshlrev_b32 v85, 25, v67 :: v_dual_lshlrev_b32 v67, 24, v67
	v_cmp_gt_i32_e64 s17, 0, v82
	v_cmp_gt_i32_e64 s18, 0, v83
	v_not_b32_e32 v82, v83
	v_not_b32_e32 v83, v84
	v_dual_ashrrev_i32 v71, 31, v71 :: v_dual_bitop2_b32 v68, s14, v68 bitop3:0x14
	v_dual_ashrrev_i32 v80, 31, v80 :: v_dual_bitop2_b32 v70, s15, v70 bitop3:0x14
	v_cmp_gt_i32_e64 s19, 0, v84
	v_not_b32_e32 v84, v85
	v_cmp_gt_i32_e64 s21, 0, v67
	v_not_b32_e32 v67, v67
	v_dual_ashrrev_i32 v82, 31, v82 :: v_dual_ashrrev_i32 v83, 31, v83
	v_xor_b32_e32 v71, s16, v71
	s_delay_alu instid0(VALU_DEP_3)
	v_dual_ashrrev_i32 v67, 31, v67 :: v_dual_bitop2_b32 v80, s17, v80 bitop3:0x14
	v_bitop3_b32 v68, v68, v70, exec_lo bitop3:0x80
	v_cmp_gt_i32_e64 s20, 0, v85
	v_dual_ashrrev_i32 v70, 31, v84 :: v_dual_bitop2_b32 v83, s19, v83 bitop3:0x14
	v_lshl_add_u32 v69, v69, 2, v12
	v_xor_b32_e32 v82, s18, v82
	v_bitop3_b32 v68, v68, v80, v71 bitop3:0x80
	s_delay_alu instid0(VALU_DEP_4) | instskip(SKIP_4) | instid1(VALU_DEP_1)
	v_xor_b32_e32 v70, s20, v70
	v_xor_b32_e32 v71, s21, v67
	ds_load_b32 v67, v69 offset:32
	v_add_nc_u32_e32 v69, 32, v69
	v_bitop3_b32 v68, v68, v83, v82 bitop3:0x80
	; wave barrier
	v_bitop3_b32 v70, v68, v71, v70 bitop3:0x80
	s_delay_alu instid0(VALU_DEP_1) | instskip(SKIP_1) | instid1(VALU_DEP_2)
	v_mbcnt_lo_u32_b32 v68, v70, 0
	v_cmp_ne_u32_e64 s15, 0, v70
	v_cmp_eq_u32_e64 s14, 0, v68
	s_and_b32 s15, s15, s14
	s_delay_alu instid0(SALU_CYCLE_1)
	s_and_saveexec_b32 s14, s15
	s_cbranch_execz .LBB1215_176
; %bb.175:                              ;   in Loop: Header=BB1215_172 Depth=1
	s_wait_dscnt 0x0
	v_bcnt_u32_b32 v70, v70, v67
	ds_store_b32 v69, v70
.LBB1215_176:                           ;   in Loop: Header=BB1215_172 Depth=1
	s_or_b32 exec_lo, exec_lo, s14
	v_cmp_ne_u64_e64 s14, s[22:23], v[32:33]
	; wave barrier
	s_delay_alu instid0(VALU_DEP_1) | instskip(SKIP_1) | instid1(VALU_DEP_1)
	v_cndmask_b32_e64 v71, 0x80000000, v33, s14
	v_cndmask_b32_e64 v70, 0, v32, s14
	v_lshrrev_b64 v[70:71], v10, v[70:71]
	s_delay_alu instid0(VALU_DEP_1) | instskip(SKIP_1) | instid1(VALU_DEP_2)
	v_and_b32_e32 v71, v70, v81
	v_bitop3_b32 v70, v70, 1, v81 bitop3:0x80
	v_lshlrev_b32_e32 v83, 30, v71
	s_delay_alu instid0(VALU_DEP_2) | instskip(NEXT) | instid1(VALU_DEP_1)
	v_add_co_u32 v70, s14, v70, -1
	v_cndmask_b32_e64 v82, 0, 1, s14
	s_delay_alu instid0(VALU_DEP_3) | instskip(NEXT) | instid1(VALU_DEP_2)
	v_cmp_gt_i32_e64 s15, 0, v83
	v_cmp_ne_u32_e64 s14, 0, v82
	v_not_b32_e32 v82, v83
	s_delay_alu instid0(VALU_DEP_1) | instskip(SKIP_3) | instid1(VALU_DEP_4)
	v_dual_ashrrev_i32 v82, 31, v82 :: v_dual_lshlrev_b32 v84, 29, v71
	v_dual_lshlrev_b32 v85, 28, v71 :: v_dual_lshlrev_b32 v86, 27, v71
	v_lshlrev_b32_e32 v87, 26, v71
	v_lshl_add_u32 v80, v71, 3, v176
	v_cmp_gt_i32_e64 s16, 0, v84
	v_not_b32_e32 v83, v84
	v_not_b32_e32 v84, v85
	v_dual_lshlrev_b32 v96, 25, v71 :: v_dual_lshlrev_b32 v71, 24, v71
	v_cmp_gt_i32_e64 s17, 0, v85
	v_cmp_gt_i32_e64 s18, 0, v86
	v_not_b32_e32 v85, v86
	v_not_b32_e32 v86, v87
	v_dual_ashrrev_i32 v83, 31, v83 :: v_dual_bitop2_b32 v70, s14, v70 bitop3:0x14
	v_dual_ashrrev_i32 v84, 31, v84 :: v_dual_bitop2_b32 v82, s15, v82 bitop3:0x14
	v_cmp_gt_i32_e64 s19, 0, v87
	v_not_b32_e32 v87, v96
	v_cmp_gt_i32_e64 s21, 0, v71
	v_not_b32_e32 v71, v71
	v_dual_ashrrev_i32 v85, 31, v85 :: v_dual_ashrrev_i32 v86, 31, v86
	v_xor_b32_e32 v84, s17, v84
	v_bitop3_b32 v70, v70, v82, exec_lo bitop3:0x80
	v_lshl_add_u32 v80, v80, 2, v12
	v_xor_b32_e32 v83, s16, v83
	v_cmp_gt_i32_e64 s20, 0, v96
	v_ashrrev_i32_e32 v82, 31, v87
	v_dual_ashrrev_i32 v71, 31, v71 :: v_dual_bitop2_b32 v85, s18, v85 bitop3:0x14
	v_xor_b32_e32 v86, s19, v86
	v_bitop3_b32 v70, v70, v84, v83 bitop3:0x80
	s_delay_alu instid0(VALU_DEP_4) | instskip(NEXT) | instid1(VALU_DEP_4)
	v_xor_b32_e32 v82, s20, v82
	v_xor_b32_e32 v71, s21, v71
	s_delay_alu instid0(VALU_DEP_3) | instskip(SKIP_3) | instid1(VALU_DEP_1)
	v_bitop3_b32 v83, v70, v86, v85 bitop3:0x80
	ds_load_b32 v70, v80 offset:32
	v_add_nc_u32_e32 v80, 32, v80
	; wave barrier
	v_bitop3_b32 v82, v83, v71, v82 bitop3:0x80
	v_mbcnt_lo_u32_b32 v71, v82, 0
	v_cmp_ne_u32_e64 s15, 0, v82
	s_delay_alu instid0(VALU_DEP_2) | instskip(SKIP_1) | instid1(SALU_CYCLE_1)
	v_cmp_eq_u32_e64 s14, 0, v71
	s_and_b32 s15, s15, s14
	s_and_saveexec_b32 s14, s15
	s_cbranch_execz .LBB1215_178
; %bb.177:                              ;   in Loop: Header=BB1215_172 Depth=1
	s_wait_dscnt 0x0
	v_bcnt_u32_b32 v82, v82, v70
	ds_store_b32 v80, v82
.LBB1215_178:                           ;   in Loop: Header=BB1215_172 Depth=1
	s_or_b32 exec_lo, exec_lo, s14
	v_cmp_ne_u64_e64 s14, s[22:23], v[30:31]
	; wave barrier
	s_delay_alu instid0(VALU_DEP_1) | instskip(SKIP_1) | instid1(VALU_DEP_1)
	v_cndmask_b32_e64 v83, 0x80000000, v31, s14
	v_cndmask_b32_e64 v82, 0, v30, s14
	v_lshrrev_b64 v[82:83], v10, v[82:83]
	s_delay_alu instid0(VALU_DEP_1) | instskip(SKIP_1) | instid1(VALU_DEP_2)
	v_and_b32_e32 v83, v82, v81
	v_bitop3_b32 v82, v82, 1, v81 bitop3:0x80
	v_lshlrev_b32_e32 v86, 30, v83
	s_delay_alu instid0(VALU_DEP_2) | instskip(NEXT) | instid1(VALU_DEP_1)
	v_add_co_u32 v82, s14, v82, -1
	v_cndmask_b32_e64 v85, 0, 1, s14
	v_lshlrev_b32_e32 v87, 29, v83
	s_delay_alu instid0(VALU_DEP_4) | instskip(NEXT) | instid1(VALU_DEP_3)
	v_cmp_gt_i32_e64 s15, 0, v86
	v_cmp_ne_u32_e64 s14, 0, v85
	v_not_b32_e32 v85, v86
	s_delay_alu instid0(VALU_DEP_4) | instskip(NEXT) | instid1(VALU_DEP_2)
	v_not_b32_e32 v86, v87
	v_dual_ashrrev_i32 v85, 31, v85 :: v_dual_bitop2_b32 v82, s14, v82 bitop3:0x14
	s_delay_alu instid0(VALU_DEP_2) | instskip(SKIP_3) | instid1(VALU_DEP_4)
	v_dual_ashrrev_i32 v86, 31, v86 :: v_dual_lshlrev_b32 v96, 28, v83
	v_dual_lshlrev_b32 v97, 27, v83 :: v_dual_lshlrev_b32 v98, 26, v83
	v_cmp_gt_i32_e64 s16, 0, v87
	v_lshl_add_u32 v84, v83, 3, v176
	v_not_b32_e32 v87, v96
	v_dual_lshlrev_b32 v99, 25, v83 :: v_dual_lshlrev_b32 v83, 24, v83
	v_cmp_gt_i32_e64 s17, 0, v96
	v_cmp_gt_i32_e64 s18, 0, v97
	v_not_b32_e32 v96, v97
	v_not_b32_e32 v97, v98
	v_dual_ashrrev_i32 v87, 31, v87 :: v_dual_bitop2_b32 v85, s15, v85 bitop3:0x14
	v_cmp_gt_i32_e64 s19, 0, v98
	v_not_b32_e32 v98, v99
	v_cmp_gt_i32_e64 s21, 0, v83
	v_not_b32_e32 v83, v83
	v_dual_ashrrev_i32 v96, 31, v96 :: v_dual_ashrrev_i32 v97, 31, v97
	v_xor_b32_e32 v86, s16, v86
	v_xor_b32_e32 v87, s17, v87
	v_bitop3_b32 v82, v82, v85, exec_lo bitop3:0x80
	v_cmp_gt_i32_e64 s20, 0, v99
	v_dual_ashrrev_i32 v85, 31, v98 :: v_dual_ashrrev_i32 v83, 31, v83
	v_xor_b32_e32 v96, s18, v96
	s_delay_alu instid0(VALU_DEP_4) | instskip(SKIP_4) | instid1(VALU_DEP_3)
	v_bitop3_b32 v82, v82, v87, v86 bitop3:0x80
	v_lshl_add_u32 v84, v84, 2, v12
	v_xor_b32_e32 v97, s19, v97
	v_xor_b32_e32 v85, s20, v85
	;; [unrolled: 1-line block ×3, first 2 shown]
	v_bitop3_b32 v86, v82, v97, v96 bitop3:0x80
	ds_load_b32 v82, v84 offset:32
	v_add_nc_u32_e32 v84, 32, v84
	; wave barrier
	v_bitop3_b32 v85, v86, v83, v85 bitop3:0x80
	s_delay_alu instid0(VALU_DEP_1) | instskip(SKIP_1) | instid1(VALU_DEP_2)
	v_mbcnt_lo_u32_b32 v83, v85, 0
	v_cmp_ne_u32_e64 s15, 0, v85
	v_cmp_eq_u32_e64 s14, 0, v83
	s_and_b32 s15, s15, s14
	s_delay_alu instid0(SALU_CYCLE_1)
	s_and_saveexec_b32 s14, s15
	s_cbranch_execz .LBB1215_180
; %bb.179:                              ;   in Loop: Header=BB1215_172 Depth=1
	s_wait_dscnt 0x0
	v_bcnt_u32_b32 v85, v85, v82
	ds_store_b32 v84, v85
.LBB1215_180:                           ;   in Loop: Header=BB1215_172 Depth=1
	s_or_b32 exec_lo, exec_lo, s14
	v_cmp_ne_u64_e64 s14, s[22:23], v[48:49]
	; wave barrier
	s_delay_alu instid0(VALU_DEP_1) | instskip(SKIP_1) | instid1(VALU_DEP_1)
	v_cndmask_b32_e64 v87, 0x80000000, v49, s14
	v_cndmask_b32_e64 v86, 0, v48, s14
	v_lshrrev_b64 v[86:87], v10, v[86:87]
	s_delay_alu instid0(VALU_DEP_1) | instskip(SKIP_1) | instid1(VALU_DEP_2)
	v_and_b32_e32 v85, v86, v81
	v_bitop3_b32 v86, v86, 1, v81 bitop3:0x80
	v_lshlrev_b32_e32 v97, 30, v85
	s_delay_alu instid0(VALU_DEP_2) | instskip(NEXT) | instid1(VALU_DEP_1)
	v_add_co_u32 v86, s14, v86, -1
	v_cndmask_b32_e64 v96, 0, 1, s14
	s_delay_alu instid0(VALU_DEP_3) | instskip(NEXT) | instid1(VALU_DEP_2)
	v_cmp_gt_i32_e64 s15, 0, v97
	v_cmp_ne_u32_e64 s14, 0, v96
	v_not_b32_e32 v96, v97
	s_delay_alu instid0(VALU_DEP_1) | instskip(SKIP_3) | instid1(VALU_DEP_4)
	v_dual_ashrrev_i32 v96, 31, v96 :: v_dual_lshlrev_b32 v98, 29, v85
	v_dual_lshlrev_b32 v99, 28, v85 :: v_dual_lshlrev_b32 v100, 27, v85
	v_lshlrev_b32_e32 v101, 26, v85
	v_lshl_add_u32 v87, v85, 3, v176
	v_cmp_gt_i32_e64 s16, 0, v98
	v_not_b32_e32 v97, v98
	v_not_b32_e32 v98, v99
	v_dual_lshlrev_b32 v102, 25, v85 :: v_dual_lshlrev_b32 v85, 24, v85
	v_cmp_gt_i32_e64 s17, 0, v99
	v_cmp_gt_i32_e64 s18, 0, v100
	v_not_b32_e32 v99, v100
	v_not_b32_e32 v100, v101
	v_dual_ashrrev_i32 v97, 31, v97 :: v_dual_bitop2_b32 v86, s14, v86 bitop3:0x14
	v_dual_ashrrev_i32 v98, 31, v98 :: v_dual_bitop2_b32 v96, s15, v96 bitop3:0x14
	v_cmp_gt_i32_e64 s19, 0, v101
	v_not_b32_e32 v101, v102
	v_cmp_gt_i32_e64 s21, 0, v85
	v_not_b32_e32 v85, v85
	v_dual_ashrrev_i32 v99, 31, v99 :: v_dual_ashrrev_i32 v100, 31, v100
	v_xor_b32_e32 v98, s17, v98
	v_bitop3_b32 v86, v86, v96, exec_lo bitop3:0x80
	v_lshl_add_u32 v87, v87, 2, v12
	v_xor_b32_e32 v97, s16, v97
	v_cmp_gt_i32_e64 s20, 0, v102
	v_ashrrev_i32_e32 v96, 31, v101
	v_dual_ashrrev_i32 v85, 31, v85 :: v_dual_bitop2_b32 v99, s18, v99 bitop3:0x14
	v_xor_b32_e32 v100, s19, v100
	v_bitop3_b32 v86, v86, v98, v97 bitop3:0x80
	s_delay_alu instid0(VALU_DEP_4) | instskip(NEXT) | instid1(VALU_DEP_4)
	v_xor_b32_e32 v96, s20, v96
	v_xor_b32_e32 v97, s21, v85
	ds_load_b32 v85, v87 offset:32
	v_add_nc_u32_e32 v87, 32, v87
	v_bitop3_b32 v86, v86, v100, v99 bitop3:0x80
	; wave barrier
	s_delay_alu instid0(VALU_DEP_1) | instskip(NEXT) | instid1(VALU_DEP_1)
	v_bitop3_b32 v96, v86, v97, v96 bitop3:0x80
	v_mbcnt_lo_u32_b32 v86, v96, 0
	v_cmp_ne_u32_e64 s15, 0, v96
	s_delay_alu instid0(VALU_DEP_2) | instskip(SKIP_1) | instid1(SALU_CYCLE_1)
	v_cmp_eq_u32_e64 s14, 0, v86
	s_and_b32 s15, s15, s14
	s_and_saveexec_b32 s14, s15
	s_cbranch_execz .LBB1215_182
; %bb.181:                              ;   in Loop: Header=BB1215_172 Depth=1
	s_wait_dscnt 0x0
	v_bcnt_u32_b32 v96, v96, v85
	ds_store_b32 v87, v96
.LBB1215_182:                           ;   in Loop: Header=BB1215_172 Depth=1
	s_or_b32 exec_lo, exec_lo, s14
	v_cmp_ne_u64_e64 s14, s[22:23], v[36:37]
	; wave barrier
	s_delay_alu instid0(VALU_DEP_1) | instskip(SKIP_1) | instid1(VALU_DEP_1)
	v_cndmask_b32_e64 v97, 0x80000000, v37, s14
	v_cndmask_b32_e64 v96, 0, v36, s14
	v_lshrrev_b64 v[96:97], v10, v[96:97]
	s_delay_alu instid0(VALU_DEP_1) | instskip(SKIP_1) | instid1(VALU_DEP_2)
	v_and_b32_e32 v97, v96, v81
	v_bitop3_b32 v96, v96, 1, v81 bitop3:0x80
	v_lshlrev_b32_e32 v100, 30, v97
	s_delay_alu instid0(VALU_DEP_2) | instskip(NEXT) | instid1(VALU_DEP_1)
	v_add_co_u32 v96, s14, v96, -1
	v_cndmask_b32_e64 v99, 0, 1, s14
	s_delay_alu instid0(VALU_DEP_3) | instskip(NEXT) | instid1(VALU_DEP_2)
	v_cmp_gt_i32_e64 s15, 0, v100
	v_cmp_ne_u32_e64 s14, 0, v99
	v_not_b32_e32 v99, v100
	s_delay_alu instid0(VALU_DEP_1) | instskip(SKIP_3) | instid1(VALU_DEP_4)
	v_dual_ashrrev_i32 v99, 31, v99 :: v_dual_lshlrev_b32 v101, 29, v97
	v_dual_lshlrev_b32 v102, 28, v97 :: v_dual_lshlrev_b32 v103, 27, v97
	v_lshlrev_b32_e32 v112, 26, v97
	v_lshl_add_u32 v98, v97, 3, v176
	v_cmp_gt_i32_e64 s16, 0, v101
	v_not_b32_e32 v100, v101
	v_not_b32_e32 v101, v102
	v_dual_lshlrev_b32 v113, 25, v97 :: v_dual_lshlrev_b32 v97, 24, v97
	v_cmp_gt_i32_e64 s17, 0, v102
	v_cmp_gt_i32_e64 s18, 0, v103
	v_not_b32_e32 v102, v103
	v_not_b32_e32 v103, v112
	v_dual_ashrrev_i32 v101, 31, v101 :: v_dual_bitop2_b32 v96, s14, v96 bitop3:0x14
	v_dual_ashrrev_i32 v100, 31, v100 :: v_dual_bitop2_b32 v99, s15, v99 bitop3:0x14
	v_cmp_gt_i32_e64 s19, 0, v112
	v_not_b32_e32 v112, v113
	v_cmp_gt_i32_e64 s21, 0, v97
	v_not_b32_e32 v97, v97
	v_dual_ashrrev_i32 v102, 31, v102 :: v_dual_ashrrev_i32 v103, 31, v103
	v_xor_b32_e32 v100, s16, v100
	v_xor_b32_e32 v101, s17, v101
	v_bitop3_b32 v96, v96, v99, exec_lo bitop3:0x80
	v_cmp_gt_i32_e64 s20, 0, v113
	v_dual_ashrrev_i32 v99, 31, v112 :: v_dual_ashrrev_i32 v97, 31, v97
	v_xor_b32_e32 v102, s18, v102
	s_delay_alu instid0(VALU_DEP_4) | instskip(SKIP_4) | instid1(VALU_DEP_3)
	v_bitop3_b32 v96, v96, v101, v100 bitop3:0x80
	v_lshl_add_u32 v98, v98, 2, v12
	v_xor_b32_e32 v103, s19, v103
	v_xor_b32_e32 v99, s20, v99
	;; [unrolled: 1-line block ×3, first 2 shown]
	v_bitop3_b32 v100, v96, v103, v102 bitop3:0x80
	ds_load_b32 v96, v98 offset:32
	v_add_nc_u32_e32 v98, 32, v98
	; wave barrier
	v_bitop3_b32 v99, v100, v97, v99 bitop3:0x80
	s_delay_alu instid0(VALU_DEP_1) | instskip(SKIP_1) | instid1(VALU_DEP_2)
	v_mbcnt_lo_u32_b32 v97, v99, 0
	v_cmp_ne_u32_e64 s15, 0, v99
	v_cmp_eq_u32_e64 s14, 0, v97
	s_and_b32 s15, s15, s14
	s_delay_alu instid0(SALU_CYCLE_1)
	s_and_saveexec_b32 s14, s15
	s_cbranch_execz .LBB1215_184
; %bb.183:                              ;   in Loop: Header=BB1215_172 Depth=1
	s_wait_dscnt 0x0
	v_bcnt_u32_b32 v99, v99, v96
	ds_store_b32 v98, v99
.LBB1215_184:                           ;   in Loop: Header=BB1215_172 Depth=1
	s_or_b32 exec_lo, exec_lo, s14
	v_cmp_ne_u64_e64 s14, s[22:23], v[34:35]
	; wave barrier
	s_delay_alu instid0(VALU_DEP_1) | instskip(SKIP_1) | instid1(VALU_DEP_1)
	v_cndmask_b32_e64 v101, 0x80000000, v35, s14
	v_cndmask_b32_e64 v100, 0, v34, s14
	v_lshrrev_b64 v[100:101], v10, v[100:101]
	s_delay_alu instid0(VALU_DEP_1) | instskip(SKIP_1) | instid1(VALU_DEP_2)
	v_and_b32_e32 v99, v100, v81
	v_bitop3_b32 v100, v100, 1, v81 bitop3:0x80
	v_lshlrev_b32_e32 v103, 30, v99
	s_delay_alu instid0(VALU_DEP_2) | instskip(NEXT) | instid1(VALU_DEP_1)
	v_add_co_u32 v100, s14, v100, -1
	v_cndmask_b32_e64 v102, 0, 1, s14
	s_delay_alu instid0(VALU_DEP_3) | instskip(NEXT) | instid1(VALU_DEP_2)
	v_cmp_gt_i32_e64 s15, 0, v103
	v_cmp_ne_u32_e64 s14, 0, v102
	v_not_b32_e32 v102, v103
	s_delay_alu instid0(VALU_DEP_1) | instskip(SKIP_3) | instid1(VALU_DEP_4)
	v_dual_ashrrev_i32 v102, 31, v102 :: v_dual_lshlrev_b32 v112, 29, v99
	v_dual_lshlrev_b32 v113, 28, v99 :: v_dual_lshlrev_b32 v114, 27, v99
	v_lshlrev_b32_e32 v115, 26, v99
	v_lshl_add_u32 v101, v99, 3, v176
	v_cmp_gt_i32_e64 s16, 0, v112
	v_not_b32_e32 v103, v112
	v_not_b32_e32 v112, v113
	v_dual_lshlrev_b32 v116, 25, v99 :: v_dual_lshlrev_b32 v99, 24, v99
	v_cmp_gt_i32_e64 s17, 0, v113
	v_cmp_gt_i32_e64 s18, 0, v114
	v_not_b32_e32 v113, v114
	v_not_b32_e32 v114, v115
	v_dual_ashrrev_i32 v103, 31, v103 :: v_dual_bitop2_b32 v100, s14, v100 bitop3:0x14
	v_dual_ashrrev_i32 v112, 31, v112 :: v_dual_bitop2_b32 v102, s15, v102 bitop3:0x14
	v_cmp_gt_i32_e64 s19, 0, v115
	v_not_b32_e32 v115, v116
	v_cmp_gt_i32_e64 s21, 0, v99
	v_not_b32_e32 v99, v99
	v_dual_ashrrev_i32 v113, 31, v113 :: v_dual_ashrrev_i32 v114, 31, v114
	v_xor_b32_e32 v112, s17, v112
	v_bitop3_b32 v100, v100, v102, exec_lo bitop3:0x80
	v_lshl_add_u32 v101, v101, 2, v12
	v_xor_b32_e32 v103, s16, v103
	v_cmp_gt_i32_e64 s20, 0, v116
	v_ashrrev_i32_e32 v102, 31, v115
	v_dual_ashrrev_i32 v99, 31, v99 :: v_dual_bitop2_b32 v113, s18, v113 bitop3:0x14
	v_xor_b32_e32 v114, s19, v114
	v_bitop3_b32 v100, v100, v112, v103 bitop3:0x80
	s_delay_alu instid0(VALU_DEP_4) | instskip(NEXT) | instid1(VALU_DEP_4)
	v_xor_b32_e32 v102, s20, v102
	v_xor_b32_e32 v103, s21, v99
	ds_load_b32 v99, v101 offset:32
	v_add_nc_u32_e32 v101, 32, v101
	v_bitop3_b32 v100, v100, v114, v113 bitop3:0x80
	; wave barrier
	s_delay_alu instid0(VALU_DEP_1) | instskip(NEXT) | instid1(VALU_DEP_1)
	v_bitop3_b32 v102, v100, v103, v102 bitop3:0x80
	v_mbcnt_lo_u32_b32 v100, v102, 0
	v_cmp_ne_u32_e64 s15, 0, v102
	s_delay_alu instid0(VALU_DEP_2) | instskip(SKIP_1) | instid1(SALU_CYCLE_1)
	v_cmp_eq_u32_e64 s14, 0, v100
	s_and_b32 s15, s15, s14
	s_and_saveexec_b32 s14, s15
	s_cbranch_execz .LBB1215_186
; %bb.185:                              ;   in Loop: Header=BB1215_172 Depth=1
	s_wait_dscnt 0x0
	v_bcnt_u32_b32 v102, v102, v99
	ds_store_b32 v101, v102
.LBB1215_186:                           ;   in Loop: Header=BB1215_172 Depth=1
	s_or_b32 exec_lo, exec_lo, s14
	v_cmp_ne_u64_e64 s14, s[22:23], v[50:51]
	; wave barrier
	s_delay_alu instid0(VALU_DEP_1) | instskip(SKIP_1) | instid1(VALU_DEP_1)
	v_cndmask_b32_e64 v103, 0x80000000, v51, s14
	v_cndmask_b32_e64 v102, 0, v50, s14
	v_lshrrev_b64 v[102:103], v10, v[102:103]
	s_delay_alu instid0(VALU_DEP_1) | instskip(SKIP_1) | instid1(VALU_DEP_2)
	v_and_b32_e32 v103, v102, v81
	v_bitop3_b32 v81, v102, 1, v81 bitop3:0x80
	v_lshlrev_b32_e32 v113, 30, v103
	s_delay_alu instid0(VALU_DEP_2) | instskip(NEXT) | instid1(VALU_DEP_1)
	v_add_co_u32 v81, s14, v81, -1
	v_cndmask_b32_e64 v112, 0, 1, s14
	s_delay_alu instid0(VALU_DEP_3) | instskip(NEXT) | instid1(VALU_DEP_2)
	v_cmp_gt_i32_e64 s15, 0, v113
	v_cmp_ne_u32_e64 s14, 0, v112
	v_not_b32_e32 v112, v113
	s_delay_alu instid0(VALU_DEP_1) | instskip(SKIP_3) | instid1(VALU_DEP_4)
	v_dual_ashrrev_i32 v112, 31, v112 :: v_dual_lshlrev_b32 v114, 29, v103
	v_dual_lshlrev_b32 v115, 28, v103 :: v_dual_lshlrev_b32 v116, 27, v103
	v_lshlrev_b32_e32 v117, 26, v103
	v_lshl_add_u32 v102, v103, 3, v176
	v_cmp_gt_i32_e64 s16, 0, v114
	v_not_b32_e32 v113, v114
	v_not_b32_e32 v114, v115
	v_dual_lshlrev_b32 v118, 25, v103 :: v_dual_lshlrev_b32 v103, 24, v103
	v_cmp_gt_i32_e64 s17, 0, v115
	v_cmp_gt_i32_e64 s18, 0, v116
	v_not_b32_e32 v115, v116
	v_not_b32_e32 v116, v117
	v_dual_ashrrev_i32 v114, 31, v114 :: v_dual_bitop2_b32 v81, s14, v81 bitop3:0x14
	v_dual_ashrrev_i32 v113, 31, v113 :: v_dual_bitop2_b32 v112, s15, v112 bitop3:0x14
	v_cmp_gt_i32_e64 s19, 0, v117
	v_not_b32_e32 v117, v118
	v_cmp_gt_i32_e64 s21, 0, v103
	v_not_b32_e32 v103, v103
	v_dual_ashrrev_i32 v115, 31, v115 :: v_dual_ashrrev_i32 v116, 31, v116
	v_xor_b32_e32 v113, s16, v113
	v_xor_b32_e32 v114, s17, v114
	v_bitop3_b32 v81, v81, v112, exec_lo bitop3:0x80
	v_cmp_gt_i32_e64 s20, 0, v118
	v_dual_ashrrev_i32 v112, 31, v117 :: v_dual_ashrrev_i32 v103, 31, v103
	v_xor_b32_e32 v116, s19, v116
	s_delay_alu instid0(VALU_DEP_4) | instskip(SKIP_4) | instid1(VALU_DEP_3)
	v_bitop3_b32 v81, v81, v114, v113 bitop3:0x80
	v_lshl_add_u32 v113, v102, 2, v12
	v_xor_b32_e32 v115, s18, v115
	v_xor_b32_e32 v102, s20, v112
	;; [unrolled: 1-line block ×3, first 2 shown]
	v_bitop3_b32 v112, v81, v116, v115 bitop3:0x80
	ds_load_b32 v81, v113 offset:32
	; wave barrier
	v_bitop3_b32 v112, v112, v103, v102 bitop3:0x80
	v_add_nc_u32_e32 v103, 32, v113
	s_delay_alu instid0(VALU_DEP_2) | instskip(SKIP_1) | instid1(VALU_DEP_2)
	v_mbcnt_lo_u32_b32 v102, v112, 0
	v_cmp_ne_u32_e64 s15, 0, v112
	v_cmp_eq_u32_e64 s14, 0, v102
	s_and_b32 s15, s15, s14
	s_delay_alu instid0(SALU_CYCLE_1)
	s_and_saveexec_b32 s14, s15
	s_cbranch_execz .LBB1215_188
; %bb.187:                              ;   in Loop: Header=BB1215_172 Depth=1
	s_wait_dscnt 0x0
	v_bcnt_u32_b32 v112, v112, v81
	ds_store_b32 v103, v112
.LBB1215_188:                           ;   in Loop: Header=BB1215_172 Depth=1
	s_or_b32 exec_lo, exec_lo, s14
	; wave barrier
	s_wait_dscnt 0x0
	s_barrier_signal -1
	s_barrier_wait -1
	ds_load_b32 v113, v23
	ds_load_b32 v114, v39
	;; [unrolled: 1-line block ×8, first 2 shown]
	s_wait_dscnt 0x6
	v_add_nc_u32_e32 v128, v114, v113
	s_wait_dscnt 0x4
	s_delay_alu instid0(VALU_DEP_1) | instskip(SKIP_1) | instid1(VALU_DEP_1)
	v_add3_u32 v128, v128, v115, v116
	s_wait_dscnt 0x2
	v_add3_u32 v128, v128, v117, v118
	s_wait_dscnt 0x0
	s_delay_alu instid0(VALU_DEP_1) | instskip(NEXT) | instid1(VALU_DEP_1)
	v_add3_u32 v119, v128, v112, v119
	v_mov_b32_dpp v128, v119 row_shr:1 row_mask:0xf bank_mask:0xf
	s_delay_alu instid0(VALU_DEP_1) | instskip(NEXT) | instid1(VALU_DEP_1)
	v_cndmask_b32_e64 v128, v128, 0, vcc_lo
	v_add_nc_u32_e32 v119, v128, v119
	s_delay_alu instid0(VALU_DEP_1) | instskip(NEXT) | instid1(VALU_DEP_1)
	v_mov_b32_dpp v128, v119 row_shr:2 row_mask:0xf bank_mask:0xf
	v_cndmask_b32_e64 v128, 0, v128, s0
	s_delay_alu instid0(VALU_DEP_1) | instskip(NEXT) | instid1(VALU_DEP_1)
	v_add_nc_u32_e32 v119, v119, v128
	v_mov_b32_dpp v128, v119 row_shr:4 row_mask:0xf bank_mask:0xf
	s_delay_alu instid0(VALU_DEP_1) | instskip(NEXT) | instid1(VALU_DEP_1)
	v_cndmask_b32_e64 v128, 0, v128, s1
	v_add_nc_u32_e32 v119, v119, v128
	s_delay_alu instid0(VALU_DEP_1) | instskip(NEXT) | instid1(VALU_DEP_1)
	v_mov_b32_dpp v128, v119 row_shr:8 row_mask:0xf bank_mask:0xf
	v_cndmask_b32_e64 v128, 0, v128, s3
	s_delay_alu instid0(VALU_DEP_1) | instskip(SKIP_3) | instid1(VALU_DEP_1)
	v_add_nc_u32_e32 v119, v119, v128
	ds_swizzle_b32 v128, v119 offset:swizzle(BROADCAST,32,15)
	s_wait_dscnt 0x0
	v_cndmask_b32_e64 v128, v128, 0, s4
	v_add_nc_u32_e32 v119, v119, v128
	s_and_saveexec_b32 s14, s5
; %bb.189:                              ;   in Loop: Header=BB1215_172 Depth=1
	ds_store_b32 v178, v119
; %bb.190:                              ;   in Loop: Header=BB1215_172 Depth=1
	s_or_b32 exec_lo, exec_lo, s14
	s_wait_dscnt 0x0
	s_barrier_signal -1
	s_barrier_wait -1
	s_and_saveexec_b32 s14, s6
	s_cbranch_execz .LBB1215_192
; %bb.191:                              ;   in Loop: Header=BB1215_172 Depth=1
	ds_load_b32 v128, v179
	s_wait_dscnt 0x0
	v_mov_b32_dpp v129, v128 row_shr:1 row_mask:0xf bank_mask:0xf
	s_delay_alu instid0(VALU_DEP_1) | instskip(NEXT) | instid1(VALU_DEP_1)
	v_cndmask_b32_e64 v129, v129, 0, s11
	v_add_nc_u32_e32 v128, v129, v128
	s_delay_alu instid0(VALU_DEP_1) | instskip(NEXT) | instid1(VALU_DEP_1)
	v_mov_b32_dpp v129, v128 row_shr:2 row_mask:0xf bank_mask:0xf
	v_cndmask_b32_e64 v129, 0, v129, s12
	s_delay_alu instid0(VALU_DEP_1) | instskip(NEXT) | instid1(VALU_DEP_1)
	v_add_nc_u32_e32 v128, v128, v129
	v_mov_b32_dpp v129, v128 row_shr:4 row_mask:0xf bank_mask:0xf
	s_delay_alu instid0(VALU_DEP_1) | instskip(NEXT) | instid1(VALU_DEP_1)
	v_cndmask_b32_e64 v129, 0, v129, s13
	v_add_nc_u32_e32 v128, v128, v129
	ds_store_b32 v179, v128
.LBB1215_192:                           ;   in Loop: Header=BB1215_172 Depth=1
	s_or_b32 exec_lo, exec_lo, s14
	v_mov_b32_e32 v128, 0
	s_wait_dscnt 0x0
	s_barrier_signal -1
	s_barrier_wait -1
	s_and_saveexec_b32 s14, s7
; %bb.193:                              ;   in Loop: Header=BB1215_172 Depth=1
	ds_load_b32 v128, v181
; %bb.194:                              ;   in Loop: Header=BB1215_172 Depth=1
	s_or_b32 exec_lo, exec_lo, s14
	s_wait_dscnt 0x0
	v_add_nc_u32_e32 v119, v128, v119
	s_mov_b32 s16, -1
	v_add_nc_u32_e32 v10, 8, v10
	ds_bpermute_b32 v119, v177, v119
	v_cmp_lt_u32_e64 s14, v10, v11
	s_wait_dscnt 0x0
	v_cndmask_b32_e64 v119, v119, v128, s2
                                        ; implicit-def: $vgpr128_vgpr129
	s_delay_alu instid0(VALU_DEP_1) | instskip(NEXT) | instid1(VALU_DEP_1)
	v_cndmask_b32_e64 v119, v119, 0, s10
	v_add_nc_u32_e32 v113, v119, v113
	s_delay_alu instid0(VALU_DEP_1) | instskip(NEXT) | instid1(VALU_DEP_1)
	v_add_nc_u32_e32 v114, v113, v114
	v_add_nc_u32_e32 v115, v114, v115
	s_delay_alu instid0(VALU_DEP_1) | instskip(NEXT) | instid1(VALU_DEP_1)
	v_add_nc_u32_e32 v116, v115, v116
	v_add_nc_u32_e32 v117, v116, v117
	s_delay_alu instid0(VALU_DEP_1)
	v_add_nc_u32_e32 v118, v117, v118
	ds_store_b32 v23, v119
	ds_store_b32 v39, v113
	;; [unrolled: 1-line block ×3, first 2 shown]
	v_dual_mov_b32 v113, v1 :: v_dual_add_nc_u32 v112, v118, v112
	ds_store_b32 v163, v115
	ds_store_b32 v164, v116
	ds_store_b32 v165, v117
	ds_store_b32 v166, v118
	ds_store_b32 v167, v112
	s_wait_dscnt 0x0
	s_barrier_signal -1
	s_barrier_wait -1
	ds_load_b32 v66, v66
	ds_load_b32 v112, v69
	;; [unrolled: 1-line block ×8, first 2 shown]
	v_dual_mov_b32 v69, v1 :: v_dual_mov_b32 v115, v1
	v_dual_mov_b32 v87, v1 :: v_dual_mov_b32 v117, v1
	;; [unrolled: 1-line block ×3, first 2 shown]
	s_wait_dscnt 0x0
	v_add_nc_u32_e32 v0, v66, v0
	v_add3_u32 v68, v68, v67, v112
	v_add3_u32 v112, v71, v70, v80
	;; [unrolled: 1-line block ×7, first 2 shown]
	v_lshl_add_u64 v[130:131], v[0:1], 3, v[12:13]
	v_lshl_add_u64 v[132:133], v[68:69], 3, v[12:13]
	;; [unrolled: 1-line block ×8, first 2 shown]
                                        ; implicit-def: $vgpr66_vgpr67
                                        ; implicit-def: $vgpr68_vgpr69
                                        ; implicit-def: $vgpr80_vgpr81
                                        ; implicit-def: $vgpr82_vgpr83
                                        ; implicit-def: $vgpr96_vgpr97
                                        ; implicit-def: $vgpr102_vgpr103
                                        ; implicit-def: $vgpr112_vgpr113
                                        ; implicit-def: $vgpr116_vgpr117
                                        ; implicit-def: $vgpr118_vgpr119
                                        ; implicit-def: $vgpr70_vgpr71
                                        ; implicit-def: $vgpr84_vgpr85
                                        ; implicit-def: $vgpr86_vgpr87
                                        ; implicit-def: $vgpr98_vgpr99
                                        ; implicit-def: $vgpr100_vgpr101
                                        ; implicit-def: $vgpr114_vgpr115
	s_and_saveexec_b32 s15, s14
	s_cbranch_execz .LBB1215_171
; %bb.195:                              ;   in Loop: Header=BB1215_172 Depth=1
	s_barrier_signal -1
	s_barrier_wait -1
	ds_store_b64 v130, v[26:27]
	ds_store_b64 v132, v[28:29]
	;; [unrolled: 1-line block ×8, first 2 shown]
	s_wait_dscnt 0x0
	s_barrier_signal -1
	s_barrier_wait -1
	ds_load_b64 v[128:129], v180
	ds_load_b64 v[118:119], v182
	;; [unrolled: 1-line block ×8, first 2 shown]
	s_wait_dscnt 0x0
	s_barrier_signal -1
	s_barrier_wait -1
	ds_store_b64 v130, v[16:17]
	ds_store_b64 v132, v[14:15]
	ds_store_b64 v134, v[18:19]
	ds_store_b64 v144, v[54:55]
	ds_store_b64 v146, v[52:53]
	ds_store_b64 v148, v[24:25]
	ds_store_b64 v150, v[20:21]
	ds_store_b64 v160, v[64:65]
	s_wait_dscnt 0x0
	s_barrier_signal -1
	s_barrier_wait -1
	ds_load_b64 v[66:67], v180
	ds_load_b64 v[68:69], v182
	;; [unrolled: 1-line block ×8, first 2 shown]
	v_add_nc_u32_e32 v197, -8, v197
	s_xor_b32 s16, exec_lo, -1
	s_wait_dscnt 0x0
	s_barrier_signal -1
	s_barrier_wait -1
	s_branch .LBB1215_171
.LBB1215_196:
	flat_load_b64 v[132:133], v[4:5]
	s_wait_xcnt 0x0
	s_or_b32 exec_lo, exec_lo, s17
                                        ; implicit-def: $vgpr130_vgpr131
	s_and_saveexec_b32 s17, s0
	s_cbranch_execz .LBB1215_36
.LBB1215_197:
	flat_load_b64 v[130:131], v[4:5] offset:256
	s_wait_xcnt 0x0
	s_or_b32 exec_lo, exec_lo, s17
                                        ; implicit-def: $vgpr134_vgpr135
	s_and_saveexec_b32 s0, s1
	s_cbranch_execz .LBB1215_37
.LBB1215_198:
	flat_load_b64 v[134:135], v[4:5] offset:512
	s_wait_xcnt 0x0
	s_or_b32 exec_lo, exec_lo, s0
                                        ; implicit-def: $vgpr146_vgpr147
	s_and_saveexec_b32 s0, s2
	s_cbranch_execz .LBB1215_38
.LBB1215_199:
	flat_load_b64 v[146:147], v[4:5] offset:768
	s_wait_xcnt 0x0
	s_or_b32 exec_lo, exec_lo, s0
                                        ; implicit-def: $vgpr150_vgpr151
	s_and_saveexec_b32 s0, s3
	s_cbranch_execz .LBB1215_39
.LBB1215_200:
	flat_load_b64 v[150:151], v[4:5] offset:1024
	s_wait_xcnt 0x0
	s_or_b32 exec_lo, exec_lo, s0
                                        ; implicit-def: $vgpr144_vgpr145
	s_and_saveexec_b32 s0, s4
	s_cbranch_execz .LBB1215_40
.LBB1215_201:
	flat_load_b64 v[144:145], v[4:5] offset:1280
	s_wait_xcnt 0x0
	s_or_b32 exec_lo, exec_lo, s0
                                        ; implicit-def: $vgpr148_vgpr149
	s_and_saveexec_b32 s0, s5
	s_cbranch_execz .LBB1215_41
.LBB1215_202:
	flat_load_b64 v[148:149], v[4:5] offset:1536
	s_wait_xcnt 0x0
	s_or_b32 exec_lo, exec_lo, s0
                                        ; implicit-def: $vgpr160_vgpr161
	s_and_saveexec_b32 s0, s6
	s_cbranch_execz .LBB1215_42
.LBB1215_203:
	flat_load_b64 v[160:161], v[4:5] offset:1792
	s_wait_xcnt 0x0
	s_or_b32 exec_lo, exec_lo, s0
                                        ; implicit-def: $vgpr162_vgpr163
	s_and_saveexec_b32 s0, s7
	s_cbranch_execz .LBB1215_43
.LBB1215_204:
	flat_load_b64 v[162:163], v[4:5] offset:2048
	s_wait_xcnt 0x0
	s_or_b32 exec_lo, exec_lo, s0
                                        ; implicit-def: $vgpr164_vgpr165
	s_and_saveexec_b32 s0, s10
	s_cbranch_execz .LBB1215_44
.LBB1215_205:
	flat_load_b64 v[164:165], v[4:5] offset:2304
	s_wait_xcnt 0x0
	s_or_b32 exec_lo, exec_lo, s0
                                        ; implicit-def: $vgpr166_vgpr167
	s_and_saveexec_b32 s0, s11
	s_cbranch_execz .LBB1215_45
.LBB1215_206:
	flat_load_b64 v[166:167], v[4:5] offset:2560
	s_wait_xcnt 0x0
	s_or_b32 exec_lo, exec_lo, s0
                                        ; implicit-def: $vgpr176_vgpr177
	s_and_saveexec_b32 s0, s12
	s_cbranch_execz .LBB1215_46
.LBB1215_207:
	flat_load_b64 v[176:177], v[4:5] offset:2816
	s_wait_xcnt 0x0
	s_or_b32 exec_lo, exec_lo, s0
                                        ; implicit-def: $vgpr178_vgpr179
	s_and_saveexec_b32 s0, s13
	s_cbranch_execz .LBB1215_47
.LBB1215_208:
	flat_load_b64 v[178:179], v[4:5] offset:3072
	s_wait_xcnt 0x0
	s_or_b32 exec_lo, exec_lo, s0
                                        ; implicit-def: $vgpr180_vgpr181
	s_and_saveexec_b32 s0, s14
	s_cbranch_execz .LBB1215_48
.LBB1215_209:
	flat_load_b64 v[180:181], v[4:5] offset:3328
	s_wait_xcnt 0x0
	s_or_b32 exec_lo, exec_lo, s0
                                        ; implicit-def: $vgpr194_vgpr195
	s_and_saveexec_b32 s0, s15
	s_cbranch_execz .LBB1215_49
.LBB1215_210:
	flat_load_b64 v[194:195], v[4:5] offset:3584
	s_wait_xcnt 0x0
	s_or_b32 exec_lo, exec_lo, s0
                                        ; implicit-def: $vgpr208_vgpr209
	s_and_saveexec_b32 s0, s16
	s_cbranch_execnz .LBB1215_50
	s_branch .LBB1215_51
.LBB1215_211:
	flat_store_b64 v[0:1], v[52:53]
	s_wait_xcnt 0x0
	s_or_b32 exec_lo, exec_lo, s17
	s_and_saveexec_b32 s17, s0
	s_cbranch_execz .LBB1215_127
.LBB1215_212:
	flat_store_b64 v[0:1], v[54:55] offset:2048
	s_wait_xcnt 0x0
	s_or_b32 exec_lo, exec_lo, s17
	s_and_saveexec_b32 s0, s1
	s_cbranch_execz .LBB1215_128
.LBB1215_213:
	flat_store_b64 v[0:1], v[34:35] offset:4096
	s_wait_xcnt 0x0
	s_or_b32 exec_lo, exec_lo, s0
	s_and_saveexec_b32 s0, s2
	s_cbranch_execz .LBB1215_129
.LBB1215_214:
	flat_store_b64 v[0:1], v[36:37] offset:6144
	s_wait_xcnt 0x0
	s_or_b32 exec_lo, exec_lo, s0
	s_and_saveexec_b32 s0, s3
	s_cbranch_execz .LBB1215_130
.LBB1215_215:
	flat_store_b64 v[0:1], v[30:31] offset:8192
	s_wait_xcnt 0x0
	s_or_b32 exec_lo, exec_lo, s0
	s_and_saveexec_b32 s0, s4
	s_cbranch_execz .LBB1215_131
.LBB1215_216:
	flat_store_b64 v[0:1], v[32:33] offset:10240
	s_wait_xcnt 0x0
	s_or_b32 exec_lo, exec_lo, s0
	s_and_saveexec_b32 s0, s5
	s_cbranch_execz .LBB1215_132
.LBB1215_217:
	flat_store_b64 v[0:1], v[26:27] offset:12288
	s_wait_xcnt 0x0
	s_or_b32 exec_lo, exec_lo, s0
	s_and_saveexec_b32 s0, s6
	s_cbranch_execz .LBB1215_133
.LBB1215_218:
	flat_store_b64 v[0:1], v[28:29] offset:14336
	s_wait_xcnt 0x0
	s_or_b32 exec_lo, exec_lo, s0
	s_and_saveexec_b32 s0, s7
	s_cbranch_execz .LBB1215_134
.LBB1215_219:
	flat_store_b64 v[0:1], v[22:23] offset:16384
	s_wait_xcnt 0x0
	s_or_b32 exec_lo, exec_lo, s0
	s_and_saveexec_b32 s0, s10
	s_cbranch_execz .LBB1215_135
.LBB1215_220:
	flat_store_b64 v[0:1], v[24:25] offset:18432
	s_wait_xcnt 0x0
	s_or_b32 exec_lo, exec_lo, s0
	s_and_saveexec_b32 s0, s11
	s_cbranch_execz .LBB1215_136
.LBB1215_221:
	flat_store_b64 v[0:1], v[18:19] offset:20480
	s_wait_xcnt 0x0
	s_or_b32 exec_lo, exec_lo, s0
	s_and_saveexec_b32 s0, s12
	s_cbranch_execz .LBB1215_137
.LBB1215_222:
	flat_store_b64 v[0:1], v[20:21] offset:22528
	s_wait_xcnt 0x0
	s_or_b32 exec_lo, exec_lo, s0
	s_and_saveexec_b32 s0, s13
	s_cbranch_execz .LBB1215_138
.LBB1215_223:
	flat_store_b64 v[0:1], v[14:15] offset:24576
	s_wait_xcnt 0x0
	s_or_b32 exec_lo, exec_lo, s0
	s_and_saveexec_b32 s0, s14
	s_cbranch_execz .LBB1215_139
.LBB1215_224:
	flat_store_b64 v[0:1], v[16:17] offset:26624
	s_wait_xcnt 0x0
	s_or_b32 exec_lo, exec_lo, s0
	s_and_saveexec_b32 s0, s15
	s_cbranch_execz .LBB1215_140
.LBB1215_225:
	flat_store_b64 v[0:1], v[10:11] offset:28672
	s_wait_xcnt 0x0
	s_or_b32 exec_lo, exec_lo, s0
	s_and_saveexec_b32 s0, s16
	s_cbranch_execnz .LBB1215_141
	s_branch .LBB1215_142
.LBB1215_226:
	s_or_b32 exec_lo, exec_lo, s28
	v_lshl_add_u32 v0, v22, 3, v12
	s_barrier_signal -1
	s_barrier_wait -1
	ds_store_b64 v130, v[26:27]
	ds_store_b64 v132, v[28:29]
	;; [unrolled: 1-line block ×8, first 2 shown]
	s_wait_dscnt 0x0
	s_barrier_signal -1
	s_barrier_wait -1
	ds_load_2addr_stride64_b64 v[48:51], v0 offset1:4
	ds_load_2addr_stride64_b64 v[34:37], v0 offset0:8 offset1:12
	ds_load_2addr_stride64_b64 v[30:33], v0 offset0:16 offset1:20
	;; [unrolled: 1-line block ×3, first 2 shown]
	s_wait_dscnt 0x0
	s_barrier_signal -1
	s_barrier_wait -1
	ds_store_b64 v130, v[16:17]
	ds_store_b64 v132, v[14:15]
	;; [unrolled: 1-line block ×8, first 2 shown]
	s_wait_dscnt 0x0
	s_barrier_signal -1
	s_barrier_wait -1
	ds_load_2addr_stride64_b64 v[22:25], v0 offset1:4
	ds_load_2addr_stride64_b64 v[18:21], v0 offset0:8 offset1:12
	ds_load_2addr_stride64_b64 v[14:17], v0 offset0:16 offset1:20
	;; [unrolled: 1-line block ×3, first 2 shown]
	v_lshl_add_u64 v[0:1], v[8:9], 3, v[2:3]
	v_mov_b32_e32 v39, 0
	s_set_vgpr_msb 4                        ;  msbs: dst=0 src0=0 src1=1 src2=0
	v_cmp_lt_u32_e32 vcc_lo, v38, v34 /*v290*/
	s_wait_dscnt 0x0
	s_barrier_signal -1
	s_barrier_wait -1
	v_lshl_add_u64 v[0:1], v[38:39], 3, v[0:1]
	s_and_saveexec_b32 s1, vcc_lo
	s_set_vgpr_msb 0                        ;  msbs: dst=0 src0=0 src1=0 src2=0
	s_cbranch_execz .LBB1215_228
; %bb.227:
	v_cmp_lt_i64_e64 s0, -1, v[48:49]
	s_delay_alu instid0(VALU_DEP_1) | instskip(NEXT) | instid1(VALU_DEP_1)
	v_cndmask_b32_e64 v3, 0x80000000, -1, s0
	v_dual_ashrrev_i32 v2, 31, v49 :: v_dual_bitop2_b32 v3, v3, v49 bitop3:0x14
	s_delay_alu instid0(VALU_DEP_1) | instskip(NEXT) | instid1(VALU_DEP_1)
	v_not_b32_e32 v2, v2
	v_xor_b32_e32 v2, v2, v48
	flat_store_b64 v[0:1], v[2:3]
.LBB1215_228:
	s_wait_xcnt 0x0
	s_or_b32 exec_lo, exec_lo, s1
	v_add_nc_u32_e32 v2, 0x100, v38
	s_set_vgpr_msb 4                        ;  msbs: dst=0 src0=0 src1=1 src2=0
	s_delay_alu instid0(VALU_DEP_1)
	v_cmp_lt_u32_e64 s0, v2, v34 /*v290*/
	s_and_saveexec_b32 s2, s0
	s_set_vgpr_msb 0                        ;  msbs: dst=0 src0=0 src1=0 src2=0
	s_cbranch_execz .LBB1215_230
; %bb.229:
	v_cmp_lt_i64_e64 s1, -1, v[50:51]
	s_delay_alu instid0(VALU_DEP_1) | instskip(NEXT) | instid1(VALU_DEP_1)
	v_cndmask_b32_e64 v3, 0x80000000, -1, s1
	v_dual_ashrrev_i32 v2, 31, v51 :: v_dual_bitop2_b32 v3, v3, v51 bitop3:0x14
	s_delay_alu instid0(VALU_DEP_1) | instskip(NEXT) | instid1(VALU_DEP_1)
	v_not_b32_e32 v2, v2
	v_xor_b32_e32 v2, v2, v50
	flat_store_b64 v[0:1], v[2:3] offset:2048
.LBB1215_230:
	s_wait_xcnt 0x0
	s_or_b32 exec_lo, exec_lo, s2
	v_add_nc_u32_e32 v2, 0x200, v38
	s_set_vgpr_msb 4                        ;  msbs: dst=0 src0=0 src1=1 src2=0
	s_delay_alu instid0(VALU_DEP_1)
	v_cmp_lt_u32_e64 s1, v2, v34 /*v290*/
	s_and_saveexec_b32 s3, s1
	s_set_vgpr_msb 0                        ;  msbs: dst=0 src0=0 src1=0 src2=0
	s_cbranch_execz .LBB1215_232
; %bb.231:
	v_cmp_lt_i64_e64 s2, -1, v[34:35]
	s_delay_alu instid0(VALU_DEP_1) | instskip(NEXT) | instid1(VALU_DEP_1)
	v_cndmask_b32_e64 v3, 0x80000000, -1, s2
	v_dual_ashrrev_i32 v2, 31, v35 :: v_dual_bitop2_b32 v3, v3, v35 bitop3:0x14
	s_delay_alu instid0(VALU_DEP_1) | instskip(NEXT) | instid1(VALU_DEP_1)
	v_not_b32_e32 v2, v2
	v_xor_b32_e32 v2, v2, v34
	flat_store_b64 v[0:1], v[2:3] offset:4096
.LBB1215_232:
	;; [unrolled: 19-line block ×7, first 2 shown]
	s_wait_xcnt 0x0
	s_or_b32 exec_lo, exec_lo, s10
	v_lshl_add_u64 v[0:1], v[8:9], 3, v[6:7]
	s_delay_alu instid0(VALU_DEP_1)
	v_lshl_add_u64 v[0:1], v[38:39], 3, v[0:1]
	s_and_saveexec_b32 s7, vcc_lo
	s_cbranch_execnz .LBB1215_292
; %bb.243:
	s_or_b32 exec_lo, exec_lo, s7
	s_and_saveexec_b32 s7, s0
	s_cbranch_execnz .LBB1215_293
.LBB1215_244:
	s_or_b32 exec_lo, exec_lo, s7
	s_and_saveexec_b32 s0, s1
	s_cbranch_execnz .LBB1215_294
.LBB1215_245:
	s_or_b32 exec_lo, exec_lo, s0
	s_and_saveexec_b32 s0, s2
	s_cbranch_execnz .LBB1215_295
.LBB1215_246:
	s_or_b32 exec_lo, exec_lo, s0
	s_and_saveexec_b32 s0, s3
	s_cbranch_execnz .LBB1215_296
.LBB1215_247:
	s_or_b32 exec_lo, exec_lo, s0
	s_and_saveexec_b32 s0, s4
	s_cbranch_execnz .LBB1215_297
.LBB1215_248:
	s_or_b32 exec_lo, exec_lo, s0
	s_and_saveexec_b32 s0, s5
	s_cbranch_execnz .LBB1215_298
.LBB1215_249:
	s_or_b32 exec_lo, exec_lo, s0
	s_and_saveexec_b32 s0, s6
	s_cbranch_execz .LBB1215_251
.LBB1215_250:
	flat_store_b64 v[0:1], v[12:13] offset:14336
.LBB1215_251:
	s_wait_xcnt 0x0
	s_or_b32 exec_lo, exec_lo, s0
                                        ; implicit-def: $vgpr290
                                        ; implicit-def: $vgpr8
                                        ; implicit-def: $vgpr10
                                        ; implicit-def: $vgpr11
                                        ; implicit-def: $vgpr0_vgpr1
                                        ; implicit-def: $vgpr2_vgpr3
                                        ; implicit-def: $vgpr4_vgpr5
                                        ; implicit-def: $vgpr6_vgpr7
                                        ; implicit-def: $vgpr12_vgpr13
                                        ; implicit-def: $vgpr9
                                        ; implicit-def: $vgpr14
                                        ; implicit-def: $vgpr22
                                        ; implicit-def: $vgpr258
.LBB1215_252:
	s_and_not1_saveexec_b32 s0, s26
	s_cbranch_execz .LBB1215_372
; %bb.253:
	s_mov_b32 s0, exec_lo
	s_set_vgpr_msb 4                        ;  msbs: dst=0 src0=0 src1=1 src2=0
	v_cmpx_lt_u32_e32 0x200, v34 /*v290*/
	s_xor_b32 s26, exec_lo, s0
	s_set_vgpr_msb 0                        ;  msbs: dst=0 src0=0 src1=0 src2=0
	s_cbranch_execz .LBB1215_313
; %bb.254:
	s_load_b64 s[0:1], s[8:9], 0x0
	s_bfe_u32 s3, ttmp6, 0x4000c
	s_bfe_u32 s5, ttmp6, 0x40010
	s_and_b32 s4, ttmp7, 0xffff
	s_add_co_i32 s3, s3, 1
	s_add_co_i32 s5, s5, 1
	s_and_b32 s2, ttmp6, 15
	s_bfe_u32 s6, ttmp6, 0x40004
	s_mul_i32 s3, ttmp9, s3
	s_mul_i32 s5, s4, s5
	s_add_co_i32 s2, s2, s3
	s_add_co_i32 s6, s6, s5
	s_cmp_eq_u32 s25, 0
	s_mov_b32 s3, 0
	s_cselect_b32 s2, ttmp9, s2
	s_cselect_b32 s4, s4, s6
	v_bfrev_b32_e32 v15, -2
	s_set_vgpr_msb 4                        ;  msbs: dst=0 src0=0 src1=1 src2=0
	v_lshlrev_b32_e32 v24, 3, v2 /*v258*/
	s_wait_kmcnt 0x0
	s_cmp_lt_u32 s2, s0
	v_mov_b32_e32 v21, v15
	s_cselect_b32 s2, 12, 18
	s_cmp_lt_u32 s4, s1
	s_mov_b32 s1, s3
	s_cselect_b32 s0, 14, 20
	s_delay_alu instid0(SALU_CYCLE_1)
	s_add_nc_u64 s[0:1], s[8:9], s[0:1]
	s_load_u16 s4, s[0:1], 0x0
	s_wait_xcnt 0x0
	s_add_nc_u64 s[0:1], s[8:9], s[2:3]
	s_load_u16 s0, s[0:1], 0x0
	s_wait_kmcnt 0x0
	v_mad_u32_u24 v9, v14, s4, v9
	s_delay_alu instid0(VALU_DEP_1) | instskip(SKIP_1) | instid1(VALU_DEP_1)
	v_mad_u32 v26, v9, s0, v22
	v_dual_mov_b32 v9, 0 :: v_dual_mov_b32 v14, -1
	v_lshl_add_u64 v[16:17], v[8:9], 3, v[0:1]
	v_dual_mov_b32 v1, v9 :: v_dual_mov_b32 v19, v15
	s_delay_alu instid0(VALU_DEP_3) | instskip(SKIP_2) | instid1(VALU_DEP_2)
	v_dual_mov_b32 v20, v14 :: v_dual_mov_b32 v25, v9
	s_set_vgpr_msb 0                        ;  msbs: dst=0 src0=0 src1=0 src2=0
	v_lshlrev_b32_e32 v18, 2, v26
	v_add_nc_u64_e32 v[28:29], v[16:17], v[24:25]
	s_delay_alu instid0(VALU_DEP_2) | instskip(SKIP_2) | instid1(VALU_DEP_2)
	v_and_b32_e32 v0, 0xffffff80, v18
	v_dual_mov_b32 v16, v14 :: v_dual_mov_b32 v17, v15
	s_set_vgpr_msb 4                        ;  msbs: dst=0 src0=0 src1=1 src2=0
	v_dual_mov_b32 v18, v14 :: v_dual_bitop2_b32 v23, v0, v2 /*v258*/ bitop3:0x54
	s_delay_alu instid0(VALU_DEP_4) | instskip(NEXT) | instid1(VALU_DEP_2)
	v_lshl_add_u64 v[28:29], v[0:1], 3, v[28:29]
	v_cmp_lt_u32_e32 vcc_lo, v23, v34 /*v290*/
	s_and_saveexec_b32 s0, vcc_lo
	s_set_vgpr_msb 0                        ;  msbs: dst=0 src0=0 src1=0 src2=0
	s_cbranch_execz .LBB1215_256
; %bb.255:
	flat_load_b64 v[30:31], v[28:29]
	v_dual_mov_b32 v32, v14 :: v_dual_mov_b32 v33, v15
	v_dual_mov_b32 v34, v14 :: v_dual_mov_b32 v35, v15
	;; [unrolled: 1-line block ×3, first 2 shown]
	s_wait_loadcnt_dscnt 0x0
	v_mov_b64_e32 v[14:15], v[30:31]
	v_mov_b64_e32 v[16:17], v[32:33]
	;; [unrolled: 1-line block ×4, first 2 shown]
.LBB1215_256:
	s_wait_xcnt 0x0
	s_or_b32 exec_lo, exec_lo, s0
	v_or_b32_e32 v25, 32, v23
	s_set_vgpr_msb 4                        ;  msbs: dst=0 src0=0 src1=1 src2=0
	s_delay_alu instid0(VALU_DEP_1)
	v_cmp_lt_u32_e64 s0, v25, v34 /*v290*/
	s_and_saveexec_b32 s1, s0
	s_set_vgpr_msb 0                        ;  msbs: dst=0 src0=0 src1=0 src2=0
	s_cbranch_execz .LBB1215_258
; %bb.257:
	flat_load_b64 v[16:17], v[28:29] offset:256
.LBB1215_258:
	s_wait_xcnt 0x0
	s_or_b32 exec_lo, exec_lo, s1
	v_or_b32_e32 v25, 64, v23
	s_set_vgpr_msb 4                        ;  msbs: dst=0 src0=0 src1=1 src2=0
	s_delay_alu instid0(VALU_DEP_1)
	v_cmp_lt_u32_e64 s1, v25, v34 /*v290*/
	s_and_saveexec_b32 s2, s1
	s_set_vgpr_msb 0                        ;  msbs: dst=0 src0=0 src1=0 src2=0
	s_cbranch_execz .LBB1215_260
; %bb.259:
	flat_load_b64 v[18:19], v[28:29] offset:512
.LBB1215_260:
	s_wait_xcnt 0x0
	s_or_b32 exec_lo, exec_lo, s2
	v_or_b32_e32 v23, 0x60, v23
	s_set_vgpr_msb 4                        ;  msbs: dst=0 src0=0 src1=1 src2=0
	s_delay_alu instid0(VALU_DEP_1)
	v_cmp_lt_u32_e64 s2, v23, v34 /*v290*/
	s_and_saveexec_b32 s3, s2
	s_set_vgpr_msb 0                        ;  msbs: dst=0 src0=0 src1=0 src2=0
	s_cbranch_execz .LBB1215_262
; %bb.261:
	flat_load_b64 v[20:21], v[28:29] offset:768
.LBB1215_262:
	s_wait_xcnt 0x0
	s_or_b32 exec_lo, exec_lo, s3
	v_lshl_add_u64 v[4:5], v[8:9], 3, v[4:5]
	v_mov_b32_e32 v25, 0
	s_delay_alu instid0(VALU_DEP_1) | instskip(NEXT) | instid1(VALU_DEP_1)
	v_add_nc_u64_e32 v[4:5], v[4:5], v[24:25]
                                        ; implicit-def: $vgpr24_vgpr25
	v_lshl_add_u64 v[0:1], v[0:1], 3, v[4:5]
	s_and_saveexec_b32 s3, vcc_lo
	s_cbranch_execnz .LBB1215_337
; %bb.263:
	s_or_b32 exec_lo, exec_lo, s3
                                        ; implicit-def: $vgpr36_vgpr37
	s_and_saveexec_b32 s3, s0
	s_cbranch_execnz .LBB1215_338
.LBB1215_264:
	s_or_b32 exec_lo, exec_lo, s3
                                        ; implicit-def: $vgpr38_vgpr39
	s_and_saveexec_b32 s0, s1
	s_cbranch_execnz .LBB1215_339
.LBB1215_265:
	s_or_b32 exec_lo, exec_lo, s0
                                        ; implicit-def: $vgpr48_vgpr49
	s_and_saveexec_b32 s0, s2
	s_cbranch_execz .LBB1215_267
.LBB1215_266:
	flat_load_b64 v[48:49], v[0:1] offset:768
.LBB1215_267:
	s_wait_xcnt 0x0
	s_or_b32 exec_lo, exec_lo, s0
	v_cmp_lt_i64_e32 vcc_lo, -1, v[14:15]
	s_get_pc_i64 s[0:1]
	s_add_nc_u64 s[0:1], s[0:1], _ZN7rocprim17ROCPRIM_400000_NS16block_radix_sortIdLj256ELj4ElLj1ELj1ELj8ELNS0_26block_radix_rank_algorithmE2ELNS0_18block_padding_hintE2ELNS0_4arch9wavefront6targetE0EE19radix_bits_per_passE@rel64+4
	v_cmp_lt_u32_e64 s7, 31, v22
	s_load_b32 s27, s[0:1], 0x0
	v_cmp_eq_u32_e64 s10, 0, v22
	v_sub_nc_u32_e32 v113, v11, v10
	s_mov_b64 s[22:23], 0x7fffffffffffffff
	v_cndmask_b32_e64 v0, -1, 0x80000000, vcc_lo
	s_wait_loadcnt_dscnt 0x0
	v_cmp_lt_i64_e32 vcc_lo, -1, v[16:17]
	v_ashrrev_i32_e32 v1, 31, v15
	s_mov_b32 s28, 0
	s_wait_storecnt 0x0
	v_dual_ashrrev_i32 v4, 31, v17 :: v_dual_bitop2_b32 v55, v0, v15 bitop3:0x14
	s_delay_alu instid0(VALU_DEP_2)
	v_xor_b32_e32 v54, v1, v14
	v_cndmask_b32_e64 v0, -1, 0x80000000, vcc_lo
	v_cmp_lt_i64_e32 vcc_lo, -1, v[18:19]
	s_set_vgpr_msb 4                        ;  msbs: dst=0 src0=0 src1=1 src2=0
	v_and_b32_e32 v14, 7, v2 /*v258*/
	s_set_vgpr_msb 0                        ;  msbs: dst=0 src0=0 src1=0 src2=0
	v_dual_ashrrev_i32 v4, 31, v21 :: v_dual_bitop2_b32 v50, v4, v16 bitop3:0x14
	v_dual_ashrrev_i32 v0, 31, v19 :: v_dual_bitop2_b32 v51, v0, v17 bitop3:0x14
	s_barrier_signal -1
	v_cndmask_b32_e64 v5, -1, 0x80000000, vcc_lo
	v_cmp_lt_i64_e32 vcc_lo, -1, v[20:21]
	s_barrier_wait -1
	s_delay_alu instid0(VALU_DEP_2) | instskip(SKIP_4) | instid1(VALU_DEP_4)
	v_dual_lshrrev_b32 v96, 5, v26 :: v_dual_bitop2_b32 v53, v5, v19 bitop3:0x14
	v_lshl_add_u32 v5, v22, 5, v12
	v_xor_b32_e32 v52, v0, v18
	v_and_b32_e32 v0, 0x3e0, v22
	v_cndmask_b32_e64 v1, -1, 0x80000000, vcc_lo
	v_dual_add_nc_u32 v82, 40, v5 :: v_dual_bitop2_b32 v64, v4, v20 bitop3:0x14
	v_dual_add_nc_u32 v23, 32, v5 :: v_dual_add_nc_u32 v27, 36, v5
	v_dual_add_nc_u32 v83, 44, v5 :: v_dual_add_nc_u32 v84, 48, v5
	;; [unrolled: 1-line block ×3, first 2 shown]
	v_min_u32_e32 v0, 0xe0, v0
	v_add_nc_u32_e32 v87, 60, v5
	s_set_vgpr_msb 1                        ;  msbs: dst=0 src0=1 src1=0 src2=0
	v_sub_co_u32 v5, s2, v2 /*v258*/, 1
	s_set_vgpr_msb 0                        ;  msbs: dst=0 src0=0 src1=0 src2=0
	v_xor_b32_e32 v65, v1, v21
	s_set_vgpr_msb 4                        ;  msbs: dst=0 src0=0 src1=1 src2=0
	v_and_b32_e32 v1, 15, v2 /*v258*/
	s_set_vgpr_msb 0                        ;  msbs: dst=0 src0=0 src1=0 src2=0
	v_or_b32_e32 v0, 31, v0
	v_cmp_gt_i32_e64 s6, 0, v5
	s_set_vgpr_msb 4                        ;  msbs: dst=0 src0=0 src1=1 src2=0
	v_and_b32_e32 v4, 16, v2 /*v258*/
	s_set_vgpr_msb 0                        ;  msbs: dst=0 src0=0 src1=0 src2=0
	v_cmp_eq_u32_e32 vcc_lo, 0, v1
	s_wait_xcnt 0x0
	v_cmp_lt_u32_e64 s0, 1, v1
	v_cmp_lt_u32_e64 s1, 3, v1
	;; [unrolled: 1-line block ×3, first 2 shown]
	v_cmp_eq_u32_e64 s5, v22, v0
	v_lshrrev_b32_e32 v0, 3, v22
	s_set_vgpr_msb 4                        ;  msbs: dst=0 src0=0 src1=1 src2=0
	v_cndmask_b32_e64 v1, v5, v2 /*v258*/, s6
	s_set_vgpr_msb 16                       ;  msbs: dst=0 src0=0 src1=0 src2=1
	v_cmp_eq_u32_e64 s4, 0, v4
	v_lshlrev_b32_e32 v4, 2, v22
	v_cmp_gt_u32_e64 s6, 8, v22
	v_and_b32_e32 v0, 0x7c, v0
	v_dual_lshlrev_b32 v97, 2, v1 :: v_dual_mov_b32 v1, 0
	s_delay_alu instid0(VALU_DEP_4) | instskip(SKIP_1) | instid1(VALU_DEP_4)
	v_and_or_b32 v5, 0xf80, v4, v2 /*v258*/
	v_cmp_eq_u32_e64 s11, 0, v14
	v_add_nc_u32_e32 v98, v12, v0
	v_add_nc_u32_e32 v99, v12, v4
	v_cmp_lt_u32_e64 s12, 1, v14
	s_set_vgpr_msb 0                        ;  msbs: dst=0 src0=0 src1=0 src2=0
	v_lshl_add_u32 v100, v5, 3, v12
	v_mov_b64_e32 v[4:5], 0
	v_cmp_lt_u32_e64 s13, 3, v14
	v_add_nc_u32_e32 v101, -4, v98
	s_delay_alu instid0(VALU_DEP_4)
	v_add_nc_u32_e32 v102, 0x100, v100
	v_add_nc_u32_e32 v103, 0x200, v100
	;; [unrolled: 1-line block ×3, first 2 shown]
	s_branch .LBB1215_269
.LBB1215_268:                           ;   in Loop: Header=BB1215_269 Depth=1
	s_or_b32 exec_lo, exec_lo, s15
	s_delay_alu instid0(SALU_CYCLE_1) | instskip(NEXT) | instid1(SALU_CYCLE_1)
	s_and_b32 s14, exec_lo, s16
	s_or_b32 s28, s14, s28
	s_delay_alu instid0(SALU_CYCLE_1)
	s_and_not1_b32 exec_lo, exec_lo, s28
	s_cbranch_execz .LBB1215_299
.LBB1215_269:                           ; =>This Inner Loop Header: Depth=1
	v_mov_b64_e32 v[14:15], v[54:55]
	s_wait_kmcnt 0x0
	v_min_u32_e32 v0, s27, v113
	v_mov_b64_e32 v[32:33], v[24:25]
	ds_store_b64 v23, v[4:5]
	ds_store_b64 v82, v[4:5]
	;; [unrolled: 1-line block ×4, first 2 shown]
	s_wait_dscnt 0x0
	v_lshlrev_b32_e64 v54, v0, -1
	v_cmp_ne_u64_e64 s14, s[22:23], v[14:15]
	s_barrier_signal -1
	s_barrier_wait -1
	; wave barrier
	s_delay_alu instid0(VALU_DEP_1) | instskip(SKIP_1) | instid1(VALU_DEP_1)
	v_cndmask_b32_e64 v17, 0x80000000, v15, s14
	v_cndmask_b32_e64 v16, 0, v14, s14
	v_lshrrev_b64 v[16:17], v10, v[16:17]
	s_delay_alu instid0(VALU_DEP_1) | instskip(SKIP_2) | instid1(VALU_DEP_3)
	v_bitop3_b32 v0, v16, 1, v54 bitop3:0x40
	v_bitop3_b32 v34, v16, v54, v16 bitop3:0x30
	v_mov_b64_e32 v[16:17], v[64:65]
	v_add_co_u32 v0, s14, v0, -1
	s_delay_alu instid0(VALU_DEP_1) | instskip(NEXT) | instid1(VALU_DEP_4)
	v_cndmask_b32_e64 v18, 0, 1, s14
	v_dual_lshlrev_b32 v19, 30, v34 :: v_dual_lshlrev_b32 v20, 29, v34
	v_dual_lshlrev_b32 v21, 28, v34 :: v_dual_lshlrev_b32 v28, 27, v34
	s_delay_alu instid0(VALU_DEP_3) | instskip(NEXT) | instid1(VALU_DEP_3)
	v_cmp_ne_u32_e64 s14, 0, v18
	v_not_b32_e32 v18, v19
	v_dual_lshlrev_b32 v29, 26, v34 :: v_dual_lshlrev_b32 v30, 25, v34
	v_cmp_gt_i32_e64 s15, 0, v19
	v_cmp_gt_i32_e64 s16, 0, v20
	v_not_b32_e32 v19, v20
	v_not_b32_e32 v20, v21
	v_ashrrev_i32_e32 v18, 31, v18
	v_lshlrev_b32_e32 v31, 24, v34
	v_cmp_gt_i32_e64 s17, 0, v21
	v_cmp_gt_i32_e64 s18, 0, v28
	v_not_b32_e32 v21, v28
	v_not_b32_e32 v28, v29
	v_dual_ashrrev_i32 v19, 31, v19 :: v_dual_bitop2_b32 v0, s14, v0 bitop3:0x14
	v_dual_ashrrev_i32 v20, 31, v20 :: v_dual_bitop2_b32 v18, s15, v18 bitop3:0x14
	s_delay_alu instid0(VALU_DEP_4)
	v_ashrrev_i32_e32 v21, 31, v21
	v_cmp_gt_i32_e64 s19, 0, v29
	v_cmp_gt_i32_e64 s20, 0, v30
	v_not_b32_e32 v29, v30
	v_not_b32_e32 v30, v31
	v_dual_ashrrev_i32 v28, 31, v28 :: v_dual_bitop2_b32 v19, s16, v19 bitop3:0x14
	s_delay_alu instid0(VALU_DEP_3) | instskip(SKIP_4) | instid1(VALU_DEP_4)
	v_dual_ashrrev_i32 v29, 31, v29 :: v_dual_bitop2_b32 v20, s17, v20 bitop3:0x14
	v_bitop3_b32 v0, v0, v18, exec_lo bitop3:0x80
	v_cmp_gt_i32_e64 s21, 0, v31
	v_dual_ashrrev_i32 v30, 31, v30 :: v_dual_bitop2_b32 v31, s18, v21 bitop3:0x14
	v_xor_b32_e32 v28, s19, v28
	v_bitop3_b32 v0, v0, v20, v19 bitop3:0x80
	v_mov_b64_e32 v[20:21], v[50:51]
	v_xor_b32_e32 v35, s20, v29
	v_xor_b32_e32 v50, s21, v30
	v_mov_b64_e32 v[18:19], v[52:53]
	v_bitop3_b32 v51, v0, v28, v31 bitop3:0x80
	v_mov_b64_e32 v[30:31], v[36:37]
	v_lshl_add_u32 v0, v34, 3, v96
	v_mov_b64_e32 v[28:29], v[38:39]
	s_delay_alu instid0(VALU_DEP_4) | instskip(SKIP_1) | instid1(VALU_DEP_4)
	v_bitop3_b32 v36, v51, v50, v35 bitop3:0x80
	v_mov_b64_e32 v[34:35], v[48:49]
	v_lshl_add_u64 v[24:25], v[0:1], 2, v[12:13]
	s_delay_alu instid0(VALU_DEP_3) | instskip(SKIP_1) | instid1(VALU_DEP_3)
	v_mbcnt_lo_u32_b32 v0, v36, 0
	v_cmp_ne_u32_e64 s15, 0, v36
	v_add_nc_u64_e32 v[24:25], 32, v[24:25]
	s_delay_alu instid0(VALU_DEP_3) | instskip(SKIP_1) | instid1(SALU_CYCLE_1)
	v_cmp_eq_u32_e64 s14, 0, v0
	s_and_b32 s15, s15, s14
	s_and_saveexec_b32 s14, s15
; %bb.270:                              ;   in Loop: Header=BB1215_269 Depth=1
	v_bcnt_u32_b32 v25, v36, 0
	ds_store_b32 v24, v25
; %bb.271:                              ;   in Loop: Header=BB1215_269 Depth=1
	s_or_b32 exec_lo, exec_lo, s14
	v_cmp_ne_u64_e64 s14, s[22:23], v[20:21]
	v_not_b32_e32 v49, v54
	; wave barrier
	s_delay_alu instid0(VALU_DEP_2) | instskip(SKIP_1) | instid1(VALU_DEP_1)
	v_cndmask_b32_e64 v37, 0x80000000, v21, s14
	v_cndmask_b32_e64 v36, 0, v20, s14
	v_lshrrev_b64 v[36:37], v10, v[36:37]
	s_delay_alu instid0(VALU_DEP_1) | instskip(SKIP_1) | instid1(VALU_DEP_2)
	v_and_b32_e32 v25, v36, v49
	v_bitop3_b32 v36, v36, 1, v49 bitop3:0x80
	v_lshlrev_b32_e32 v39, 30, v25
	s_delay_alu instid0(VALU_DEP_2) | instskip(NEXT) | instid1(VALU_DEP_1)
	v_add_co_u32 v36, s14, v36, -1
	v_cndmask_b32_e64 v38, 0, 1, s14
	s_delay_alu instid0(VALU_DEP_3) | instskip(NEXT) | instid1(VALU_DEP_2)
	v_cmp_gt_i32_e64 s15, 0, v39
	v_cmp_ne_u32_e64 s14, 0, v38
	v_not_b32_e32 v38, v39
	s_delay_alu instid0(VALU_DEP_1) | instskip(SKIP_3) | instid1(VALU_DEP_4)
	v_dual_ashrrev_i32 v38, 31, v38 :: v_dual_lshlrev_b32 v48, 29, v25
	v_dual_lshlrev_b32 v50, 28, v25 :: v_dual_lshlrev_b32 v51, 27, v25
	v_lshlrev_b32_e32 v52, 26, v25
	v_lshl_add_u32 v37, v25, 3, v96
	v_cmp_gt_i32_e64 s16, 0, v48
	v_not_b32_e32 v39, v48
	v_not_b32_e32 v48, v50
	v_dual_lshlrev_b32 v53, 25, v25 :: v_dual_lshlrev_b32 v25, 24, v25
	v_cmp_gt_i32_e64 s17, 0, v50
	v_cmp_gt_i32_e64 s18, 0, v51
	v_not_b32_e32 v50, v51
	v_not_b32_e32 v51, v52
	v_dual_ashrrev_i32 v39, 31, v39 :: v_dual_bitop2_b32 v36, s14, v36 bitop3:0x14
	v_dual_ashrrev_i32 v48, 31, v48 :: v_dual_bitop2_b32 v38, s15, v38 bitop3:0x14
	v_cmp_gt_i32_e64 s19, 0, v52
	v_not_b32_e32 v52, v53
	v_cmp_gt_i32_e64 s21, 0, v25
	v_not_b32_e32 v25, v25
	v_dual_ashrrev_i32 v50, 31, v50 :: v_dual_ashrrev_i32 v51, 31, v51
	v_xor_b32_e32 v39, s16, v39
	s_delay_alu instid0(VALU_DEP_3)
	v_dual_ashrrev_i32 v25, 31, v25 :: v_dual_bitop2_b32 v48, s17, v48 bitop3:0x14
	v_bitop3_b32 v36, v36, v38, exec_lo bitop3:0x80
	v_cmp_gt_i32_e64 s20, 0, v53
	v_dual_ashrrev_i32 v38, 31, v52 :: v_dual_bitop2_b32 v51, s19, v51 bitop3:0x14
	v_lshl_add_u32 v37, v37, 2, v12
	v_xor_b32_e32 v50, s18, v50
	v_bitop3_b32 v36, v36, v48, v39 bitop3:0x80
	s_delay_alu instid0(VALU_DEP_4) | instskip(SKIP_4) | instid1(VALU_DEP_1)
	v_xor_b32_e32 v38, s20, v38
	v_xor_b32_e32 v39, s21, v25
	ds_load_b32 v25, v37 offset:32
	v_add_nc_u32_e32 v37, 32, v37
	v_bitop3_b32 v36, v36, v51, v50 bitop3:0x80
	; wave barrier
	v_bitop3_b32 v38, v36, v39, v38 bitop3:0x80
	s_delay_alu instid0(VALU_DEP_1) | instskip(SKIP_1) | instid1(VALU_DEP_2)
	v_mbcnt_lo_u32_b32 v36, v38, 0
	v_cmp_ne_u32_e64 s15, 0, v38
	v_cmp_eq_u32_e64 s14, 0, v36
	s_and_b32 s15, s15, s14
	s_delay_alu instid0(SALU_CYCLE_1)
	s_and_saveexec_b32 s14, s15
	s_cbranch_execz .LBB1215_273
; %bb.272:                              ;   in Loop: Header=BB1215_269 Depth=1
	s_wait_dscnt 0x0
	v_bcnt_u32_b32 v38, v38, v25
	ds_store_b32 v37, v38
.LBB1215_273:                           ;   in Loop: Header=BB1215_269 Depth=1
	s_or_b32 exec_lo, exec_lo, s14
	v_cmp_ne_u64_e64 s14, s[22:23], v[18:19]
	; wave barrier
	s_delay_alu instid0(VALU_DEP_1) | instskip(SKIP_1) | instid1(VALU_DEP_1)
	v_cndmask_b32_e64 v39, 0x80000000, v19, s14
	v_cndmask_b32_e64 v38, 0, v18, s14
	v_lshrrev_b64 v[38:39], v10, v[38:39]
	s_delay_alu instid0(VALU_DEP_1) | instskip(SKIP_1) | instid1(VALU_DEP_2)
	v_and_b32_e32 v39, v38, v49
	v_bitop3_b32 v38, v38, 1, v49 bitop3:0x80
	v_lshlrev_b32_e32 v51, 30, v39
	s_delay_alu instid0(VALU_DEP_2) | instskip(NEXT) | instid1(VALU_DEP_1)
	v_add_co_u32 v38, s14, v38, -1
	v_cndmask_b32_e64 v50, 0, 1, s14
	s_delay_alu instid0(VALU_DEP_3) | instskip(NEXT) | instid1(VALU_DEP_2)
	v_cmp_gt_i32_e64 s15, 0, v51
	v_cmp_ne_u32_e64 s14, 0, v50
	v_not_b32_e32 v50, v51
	s_delay_alu instid0(VALU_DEP_1) | instskip(SKIP_3) | instid1(VALU_DEP_4)
	v_dual_ashrrev_i32 v50, 31, v50 :: v_dual_lshlrev_b32 v52, 29, v39
	v_dual_lshlrev_b32 v53, 28, v39 :: v_dual_lshlrev_b32 v54, 27, v39
	v_lshlrev_b32_e32 v55, 26, v39
	v_lshl_add_u32 v48, v39, 3, v96
	v_cmp_gt_i32_e64 s16, 0, v52
	v_not_b32_e32 v51, v52
	v_not_b32_e32 v52, v53
	v_dual_lshlrev_b32 v64, 25, v39 :: v_dual_lshlrev_b32 v39, 24, v39
	v_cmp_gt_i32_e64 s17, 0, v53
	v_cmp_gt_i32_e64 s18, 0, v54
	v_not_b32_e32 v53, v54
	v_not_b32_e32 v54, v55
	v_dual_ashrrev_i32 v51, 31, v51 :: v_dual_bitop2_b32 v38, s14, v38 bitop3:0x14
	v_dual_ashrrev_i32 v52, 31, v52 :: v_dual_bitop2_b32 v50, s15, v50 bitop3:0x14
	v_cmp_gt_i32_e64 s19, 0, v55
	v_not_b32_e32 v55, v64
	v_cmp_gt_i32_e64 s21, 0, v39
	v_not_b32_e32 v39, v39
	v_dual_ashrrev_i32 v53, 31, v53 :: v_dual_ashrrev_i32 v54, 31, v54
	v_xor_b32_e32 v52, s17, v52
	v_bitop3_b32 v38, v38, v50, exec_lo bitop3:0x80
	v_lshl_add_u32 v48, v48, 2, v12
	v_xor_b32_e32 v51, s16, v51
	v_cmp_gt_i32_e64 s20, 0, v64
	v_ashrrev_i32_e32 v50, 31, v55
	v_dual_ashrrev_i32 v39, 31, v39 :: v_dual_bitop2_b32 v53, s18, v53 bitop3:0x14
	v_xor_b32_e32 v54, s19, v54
	v_bitop3_b32 v38, v38, v52, v51 bitop3:0x80
	s_delay_alu instid0(VALU_DEP_4) | instskip(NEXT) | instid1(VALU_DEP_4)
	v_xor_b32_e32 v50, s20, v50
	v_xor_b32_e32 v39, s21, v39
	s_delay_alu instid0(VALU_DEP_3) | instskip(SKIP_3) | instid1(VALU_DEP_1)
	v_bitop3_b32 v51, v38, v54, v53 bitop3:0x80
	ds_load_b32 v38, v48 offset:32
	v_add_nc_u32_e32 v48, 32, v48
	; wave barrier
	v_bitop3_b32 v50, v51, v39, v50 bitop3:0x80
	v_mbcnt_lo_u32_b32 v39, v50, 0
	v_cmp_ne_u32_e64 s15, 0, v50
	s_delay_alu instid0(VALU_DEP_2) | instskip(SKIP_1) | instid1(SALU_CYCLE_1)
	v_cmp_eq_u32_e64 s14, 0, v39
	s_and_b32 s15, s15, s14
	s_and_saveexec_b32 s14, s15
	s_cbranch_execz .LBB1215_275
; %bb.274:                              ;   in Loop: Header=BB1215_269 Depth=1
	s_wait_dscnt 0x0
	v_bcnt_u32_b32 v50, v50, v38
	ds_store_b32 v48, v50
.LBB1215_275:                           ;   in Loop: Header=BB1215_269 Depth=1
	s_or_b32 exec_lo, exec_lo, s14
	v_cmp_ne_u64_e64 s14, s[22:23], v[16:17]
	; wave barrier
	s_delay_alu instid0(VALU_DEP_1) | instskip(SKIP_1) | instid1(VALU_DEP_1)
	v_cndmask_b32_e64 v51, 0x80000000, v17, s14
	v_cndmask_b32_e64 v50, 0, v16, s14
	v_lshrrev_b64 v[50:51], v10, v[50:51]
	s_delay_alu instid0(VALU_DEP_1) | instskip(SKIP_1) | instid1(VALU_DEP_2)
	v_and_b32_e32 v51, v50, v49
	v_bitop3_b32 v49, v50, 1, v49 bitop3:0x80
	v_lshlrev_b32_e32 v53, 30, v51
	s_delay_alu instid0(VALU_DEP_2) | instskip(NEXT) | instid1(VALU_DEP_1)
	v_add_co_u32 v49, s14, v49, -1
	v_cndmask_b32_e64 v52, 0, 1, s14
	s_delay_alu instid0(VALU_DEP_3) | instskip(NEXT) | instid1(VALU_DEP_2)
	v_cmp_gt_i32_e64 s15, 0, v53
	v_cmp_ne_u32_e64 s14, 0, v52
	v_not_b32_e32 v52, v53
	s_delay_alu instid0(VALU_DEP_1) | instskip(SKIP_3) | instid1(VALU_DEP_4)
	v_dual_ashrrev_i32 v52, 31, v52 :: v_dual_lshlrev_b32 v54, 29, v51
	v_dual_lshlrev_b32 v55, 28, v51 :: v_dual_lshlrev_b32 v64, 27, v51
	v_lshlrev_b32_e32 v65, 26, v51
	v_lshl_add_u32 v50, v51, 3, v96
	v_cmp_gt_i32_e64 s16, 0, v54
	v_not_b32_e32 v53, v54
	v_not_b32_e32 v54, v55
	v_dual_lshlrev_b32 v66, 25, v51 :: v_dual_lshlrev_b32 v51, 24, v51
	v_cmp_gt_i32_e64 s17, 0, v55
	v_cmp_gt_i32_e64 s18, 0, v64
	v_not_b32_e32 v55, v64
	v_not_b32_e32 v64, v65
	v_dual_ashrrev_i32 v54, 31, v54 :: v_dual_bitop2_b32 v49, s14, v49 bitop3:0x14
	v_dual_ashrrev_i32 v53, 31, v53 :: v_dual_bitop2_b32 v52, s15, v52 bitop3:0x14
	v_cmp_gt_i32_e64 s19, 0, v65
	v_not_b32_e32 v65, v66
	v_cmp_gt_i32_e64 s21, 0, v51
	v_not_b32_e32 v51, v51
	v_dual_ashrrev_i32 v55, 31, v55 :: v_dual_ashrrev_i32 v64, 31, v64
	v_xor_b32_e32 v53, s16, v53
	v_xor_b32_e32 v54, s17, v54
	v_bitop3_b32 v49, v49, v52, exec_lo bitop3:0x80
	v_cmp_gt_i32_e64 s20, 0, v66
	v_dual_ashrrev_i32 v52, 31, v65 :: v_dual_ashrrev_i32 v51, 31, v51
	v_xor_b32_e32 v64, s19, v64
	s_delay_alu instid0(VALU_DEP_4) | instskip(SKIP_4) | instid1(VALU_DEP_3)
	v_bitop3_b32 v49, v49, v54, v53 bitop3:0x80
	v_lshl_add_u32 v53, v50, 2, v12
	v_xor_b32_e32 v55, s18, v55
	v_xor_b32_e32 v50, s20, v52
	;; [unrolled: 1-line block ×3, first 2 shown]
	v_bitop3_b32 v52, v49, v64, v55 bitop3:0x80
	ds_load_b32 v49, v53 offset:32
	; wave barrier
	v_bitop3_b32 v52, v52, v51, v50 bitop3:0x80
	v_add_nc_u32_e32 v51, 32, v53
	s_delay_alu instid0(VALU_DEP_2) | instskip(SKIP_1) | instid1(VALU_DEP_2)
	v_mbcnt_lo_u32_b32 v50, v52, 0
	v_cmp_ne_u32_e64 s15, 0, v52
	v_cmp_eq_u32_e64 s14, 0, v50
	s_and_b32 s15, s15, s14
	s_delay_alu instid0(SALU_CYCLE_1)
	s_and_saveexec_b32 s14, s15
	s_cbranch_execz .LBB1215_277
; %bb.276:                              ;   in Loop: Header=BB1215_269 Depth=1
	s_wait_dscnt 0x0
	v_bcnt_u32_b32 v52, v52, v49
	ds_store_b32 v51, v52
.LBB1215_277:                           ;   in Loop: Header=BB1215_269 Depth=1
	s_or_b32 exec_lo, exec_lo, s14
	; wave barrier
	s_wait_dscnt 0x0
	s_barrier_signal -1
	s_barrier_wait -1
	ds_load_b32 v53, v23
	ds_load_b32 v54, v27
	;; [unrolled: 1-line block ×8, first 2 shown]
	s_wait_dscnt 0x6
	v_add_nc_u32_e32 v68, v54, v53
	s_wait_dscnt 0x4
	s_delay_alu instid0(VALU_DEP_1) | instskip(SKIP_1) | instid1(VALU_DEP_1)
	v_add3_u32 v68, v68, v55, v64
	s_wait_dscnt 0x2
	v_add3_u32 v68, v68, v65, v66
	s_wait_dscnt 0x0
	s_delay_alu instid0(VALU_DEP_1) | instskip(NEXT) | instid1(VALU_DEP_1)
	v_add3_u32 v67, v68, v52, v67
	v_mov_b32_dpp v68, v67 row_shr:1 row_mask:0xf bank_mask:0xf
	s_delay_alu instid0(VALU_DEP_1) | instskip(NEXT) | instid1(VALU_DEP_1)
	v_cndmask_b32_e64 v68, v68, 0, vcc_lo
	v_add_nc_u32_e32 v67, v68, v67
	s_delay_alu instid0(VALU_DEP_1) | instskip(NEXT) | instid1(VALU_DEP_1)
	v_mov_b32_dpp v68, v67 row_shr:2 row_mask:0xf bank_mask:0xf
	v_cndmask_b32_e64 v68, 0, v68, s0
	s_delay_alu instid0(VALU_DEP_1) | instskip(NEXT) | instid1(VALU_DEP_1)
	v_add_nc_u32_e32 v67, v67, v68
	v_mov_b32_dpp v68, v67 row_shr:4 row_mask:0xf bank_mask:0xf
	s_delay_alu instid0(VALU_DEP_1) | instskip(NEXT) | instid1(VALU_DEP_1)
	v_cndmask_b32_e64 v68, 0, v68, s1
	v_add_nc_u32_e32 v67, v67, v68
	s_delay_alu instid0(VALU_DEP_1) | instskip(NEXT) | instid1(VALU_DEP_1)
	v_mov_b32_dpp v68, v67 row_shr:8 row_mask:0xf bank_mask:0xf
	v_cndmask_b32_e64 v68, 0, v68, s3
	s_delay_alu instid0(VALU_DEP_1) | instskip(SKIP_3) | instid1(VALU_DEP_1)
	v_add_nc_u32_e32 v67, v67, v68
	ds_swizzle_b32 v68, v67 offset:swizzle(BROADCAST,32,15)
	s_wait_dscnt 0x0
	v_cndmask_b32_e64 v68, v68, 0, s4
	v_add_nc_u32_e32 v67, v67, v68
	s_and_saveexec_b32 s14, s5
; %bb.278:                              ;   in Loop: Header=BB1215_269 Depth=1
	ds_store_b32 v98, v67
; %bb.279:                              ;   in Loop: Header=BB1215_269 Depth=1
	s_or_b32 exec_lo, exec_lo, s14
	s_wait_dscnt 0x0
	s_barrier_signal -1
	s_barrier_wait -1
	s_and_saveexec_b32 s14, s6
	s_cbranch_execz .LBB1215_281
; %bb.280:                              ;   in Loop: Header=BB1215_269 Depth=1
	ds_load_b32 v68, v99
	s_wait_dscnt 0x0
	v_mov_b32_dpp v69, v68 row_shr:1 row_mask:0xf bank_mask:0xf
	s_delay_alu instid0(VALU_DEP_1) | instskip(NEXT) | instid1(VALU_DEP_1)
	v_cndmask_b32_e64 v69, v69, 0, s11
	v_add_nc_u32_e32 v68, v69, v68
	s_delay_alu instid0(VALU_DEP_1) | instskip(NEXT) | instid1(VALU_DEP_1)
	v_mov_b32_dpp v69, v68 row_shr:2 row_mask:0xf bank_mask:0xf
	v_cndmask_b32_e64 v69, 0, v69, s12
	s_delay_alu instid0(VALU_DEP_1) | instskip(NEXT) | instid1(VALU_DEP_1)
	v_add_nc_u32_e32 v68, v68, v69
	v_mov_b32_dpp v69, v68 row_shr:4 row_mask:0xf bank_mask:0xf
	s_delay_alu instid0(VALU_DEP_1) | instskip(NEXT) | instid1(VALU_DEP_1)
	v_cndmask_b32_e64 v69, 0, v69, s13
	v_add_nc_u32_e32 v68, v68, v69
	ds_store_b32 v99, v68
.LBB1215_281:                           ;   in Loop: Header=BB1215_269 Depth=1
	s_or_b32 exec_lo, exec_lo, s14
	v_mov_b32_e32 v68, 0
	s_wait_dscnt 0x0
	s_barrier_signal -1
	s_barrier_wait -1
	s_and_saveexec_b32 s14, s7
; %bb.282:                              ;   in Loop: Header=BB1215_269 Depth=1
	ds_load_b32 v68, v101
; %bb.283:                              ;   in Loop: Header=BB1215_269 Depth=1
	s_or_b32 exec_lo, exec_lo, s14
	s_wait_dscnt 0x0
	v_add_nc_u32_e32 v67, v68, v67
	s_mov_b32 s16, -1
	s_mov_b32 s15, exec_lo
	v_add_nc_u32_e32 v10, 8, v10
	ds_bpermute_b32 v67, v97, v67
	s_wait_dscnt 0x0
	v_cndmask_b32_e64 v67, v67, v68, s2
	s_delay_alu instid0(VALU_DEP_1) | instskip(NEXT) | instid1(VALU_DEP_1)
	v_cndmask_b32_e64 v67, v67, 0, s10
	v_add_nc_u32_e32 v53, v67, v53
	s_delay_alu instid0(VALU_DEP_1) | instskip(NEXT) | instid1(VALU_DEP_1)
	v_add_nc_u32_e32 v54, v53, v54
	v_add_nc_u32_e32 v55, v54, v55
	s_delay_alu instid0(VALU_DEP_1) | instskip(NEXT) | instid1(VALU_DEP_1)
	v_add_nc_u32_e32 v64, v55, v64
	v_add_nc_u32_e32 v65, v64, v65
	s_delay_alu instid0(VALU_DEP_1)
	v_add_nc_u32_e32 v66, v65, v66
	ds_store_b32 v23, v67
	ds_store_b32 v27, v53
	;; [unrolled: 1-line block ×3, first 2 shown]
	v_dual_mov_b32 v53, v1 :: v_dual_add_nc_u32 v52, v66, v52
	ds_store_b32 v83, v55
	ds_store_b32 v84, v64
	;; [unrolled: 1-line block ×5, first 2 shown]
	s_wait_dscnt 0x0
	s_barrier_signal -1
	s_barrier_wait -1
	ds_load_b32 v24, v24
	ds_load_b32 v52, v37
	;; [unrolled: 1-line block ×4, first 2 shown]
	v_dual_mov_b32 v37, v1 :: v_dual_mov_b32 v51, v1
	s_wait_dscnt 0x0
                                        ; implicit-def: $vgpr64_vgpr65
	v_add_nc_u32_e32 v0, v24, v0
	v_add3_u32 v36, v36, v25, v52
	v_add3_u32 v52, v39, v38, v48
	v_add3_u32 v50, v50, v49, v54
                                        ; implicit-def: $vgpr54_vgpr55
                                        ; implicit-def: $vgpr24_vgpr25
                                        ; implicit-def: $vgpr38_vgpr39
                                        ; implicit-def: $vgpr48_vgpr49
	s_delay_alu instid0(VALU_DEP_4) | instskip(NEXT) | instid1(VALU_DEP_4)
	v_lshl_add_u64 v[66:67], v[0:1], 3, v[12:13]
	v_lshl_add_u64 v[68:69], v[36:37], 3, v[12:13]
	s_delay_alu instid0(VALU_DEP_4) | instskip(NEXT) | instid1(VALU_DEP_4)
	v_lshl_add_u64 v[70:71], v[52:53], 3, v[12:13]
	v_lshl_add_u64 v[80:81], v[50:51], 3, v[12:13]
                                        ; implicit-def: $vgpr52_vgpr53
                                        ; implicit-def: $vgpr50_vgpr51
                                        ; implicit-def: $vgpr36_vgpr37
	v_cmpx_lt_u32_e64 v10, v11
	s_cbranch_execz .LBB1215_268
; %bb.284:                              ;   in Loop: Header=BB1215_269 Depth=1
	s_barrier_signal -1
	s_barrier_wait -1
	ds_store_b64 v66, v[14:15]
	ds_store_b64 v68, v[20:21]
	;; [unrolled: 1-line block ×4, first 2 shown]
	s_wait_dscnt 0x0
	s_barrier_signal -1
	s_barrier_wait -1
	ds_load_b64 v[54:55], v100
	ds_load_b64 v[50:51], v102
	;; [unrolled: 1-line block ×4, first 2 shown]
	s_wait_dscnt 0x0
	s_barrier_signal -1
	s_barrier_wait -1
	ds_store_b64 v66, v[32:33]
	ds_store_b64 v68, v[30:31]
	;; [unrolled: 1-line block ×4, first 2 shown]
	s_wait_dscnt 0x0
	s_barrier_signal -1
	s_barrier_wait -1
	ds_load_b64 v[24:25], v100
	ds_load_b64 v[36:37], v102
	;; [unrolled: 1-line block ×4, first 2 shown]
	v_add_nc_u32_e32 v113, -8, v113
	s_xor_b32 s16, exec_lo, -1
	s_wait_dscnt 0x0
	s_barrier_signal -1
	s_barrier_wait -1
	s_branch .LBB1215_268
.LBB1215_285:
	flat_load_b64 v[66:67], v[4:5]
	s_wait_xcnt 0x0
	s_or_b32 exec_lo, exec_lo, s7
                                        ; implicit-def: $vgpr68_vgpr69
	s_and_saveexec_b32 s7, s0
	s_cbranch_execz .LBB1215_163
.LBB1215_286:
	flat_load_b64 v[68:69], v[4:5] offset:256
	s_wait_xcnt 0x0
	s_or_b32 exec_lo, exec_lo, s7
                                        ; implicit-def: $vgpr80_vgpr81
	s_and_saveexec_b32 s0, s1
	s_cbranch_execz .LBB1215_164
.LBB1215_287:
	flat_load_b64 v[80:81], v[4:5] offset:512
	s_wait_xcnt 0x0
	s_or_b32 exec_lo, exec_lo, s0
                                        ; implicit-def: $vgpr82_vgpr83
	s_and_saveexec_b32 s0, s2
	s_cbranch_execz .LBB1215_165
.LBB1215_288:
	flat_load_b64 v[82:83], v[4:5] offset:768
	s_wait_xcnt 0x0
	s_or_b32 exec_lo, exec_lo, s0
                                        ; implicit-def: $vgpr96_vgpr97
	s_and_saveexec_b32 s0, s3
	s_cbranch_execz .LBB1215_166
.LBB1215_289:
	flat_load_b64 v[96:97], v[4:5] offset:1024
	s_wait_xcnt 0x0
	s_or_b32 exec_lo, exec_lo, s0
                                        ; implicit-def: $vgpr102_vgpr103
	s_and_saveexec_b32 s0, s4
	s_cbranch_execz .LBB1215_167
.LBB1215_290:
	flat_load_b64 v[102:103], v[4:5] offset:1280
	s_wait_xcnt 0x0
	s_or_b32 exec_lo, exec_lo, s0
                                        ; implicit-def: $vgpr112_vgpr113
	s_and_saveexec_b32 s0, s5
	s_cbranch_execz .LBB1215_168
.LBB1215_291:
	flat_load_b64 v[112:113], v[4:5] offset:1536
	s_wait_xcnt 0x0
	s_or_b32 exec_lo, exec_lo, s0
                                        ; implicit-def: $vgpr116_vgpr117
	s_and_saveexec_b32 s0, s6
	s_cbranch_execnz .LBB1215_169
	s_branch .LBB1215_170
.LBB1215_292:
	flat_store_b64 v[0:1], v[22:23]
	s_wait_xcnt 0x0
	s_or_b32 exec_lo, exec_lo, s7
	s_and_saveexec_b32 s7, s0
	s_cbranch_execz .LBB1215_244
.LBB1215_293:
	flat_store_b64 v[0:1], v[24:25] offset:2048
	s_wait_xcnt 0x0
	s_or_b32 exec_lo, exec_lo, s7
	s_and_saveexec_b32 s0, s1
	s_cbranch_execz .LBB1215_245
.LBB1215_294:
	flat_store_b64 v[0:1], v[18:19] offset:4096
	s_wait_xcnt 0x0
	s_or_b32 exec_lo, exec_lo, s0
	s_and_saveexec_b32 s0, s2
	s_cbranch_execz .LBB1215_246
.LBB1215_295:
	flat_store_b64 v[0:1], v[20:21] offset:6144
	s_wait_xcnt 0x0
	s_or_b32 exec_lo, exec_lo, s0
	s_and_saveexec_b32 s0, s3
	s_cbranch_execz .LBB1215_247
.LBB1215_296:
	flat_store_b64 v[0:1], v[14:15] offset:8192
	s_wait_xcnt 0x0
	s_or_b32 exec_lo, exec_lo, s0
	s_and_saveexec_b32 s0, s4
	s_cbranch_execz .LBB1215_248
.LBB1215_297:
	flat_store_b64 v[0:1], v[16:17] offset:10240
	s_wait_xcnt 0x0
	s_or_b32 exec_lo, exec_lo, s0
	s_and_saveexec_b32 s0, s5
	s_cbranch_execz .LBB1215_249
.LBB1215_298:
	flat_store_b64 v[0:1], v[10:11] offset:12288
	s_wait_xcnt 0x0
	s_or_b32 exec_lo, exec_lo, s0
	s_and_saveexec_b32 s0, s6
	s_cbranch_execnz .LBB1215_250
	s_branch .LBB1215_251
.LBB1215_299:
	s_or_b32 exec_lo, exec_lo, s28
	v_lshl_add_u32 v0, v22, 3, v12
	s_barrier_signal -1
	s_barrier_wait -1
	ds_store_b64 v66, v[14:15]
	ds_store_b64 v68, v[20:21]
	;; [unrolled: 1-line block ×4, first 2 shown]
	s_wait_dscnt 0x0
	s_barrier_signal -1
	s_barrier_wait -1
	ds_load_2addr_stride64_b64 v[22:25], v0 offset1:4
	ds_load_2addr_stride64_b64 v[18:21], v0 offset0:8 offset1:12
	s_wait_dscnt 0x0
	s_barrier_signal -1
	s_barrier_wait -1
	ds_store_b64 v66, v[32:33]
	ds_store_b64 v68, v[30:31]
	ds_store_b64 v70, v[28:29]
	ds_store_b64 v80, v[34:35]
	s_wait_dscnt 0x0
	s_barrier_signal -1
	s_barrier_wait -1
	ds_load_2addr_stride64_b64 v[14:17], v0 offset1:4
	ds_load_2addr_stride64_b64 v[10:13], v0 offset0:8 offset1:12
	v_lshl_add_u64 v[0:1], v[8:9], 3, v[2:3]
	v_mov_b32_e32 v27, 0
	s_set_vgpr_msb 4                        ;  msbs: dst=0 src0=0 src1=1 src2=0
	v_cmp_lt_u32_e32 vcc_lo, v26, v34 /*v290*/
	s_wait_dscnt 0x0
	s_barrier_signal -1
	s_barrier_wait -1
	v_lshl_add_u64 v[0:1], v[26:27], 3, v[0:1]
	s_and_saveexec_b32 s1, vcc_lo
	s_set_vgpr_msb 0                        ;  msbs: dst=0 src0=0 src1=0 src2=0
	s_cbranch_execz .LBB1215_301
; %bb.300:
	v_cmp_lt_i64_e64 s0, -1, v[22:23]
	s_delay_alu instid0(VALU_DEP_1) | instskip(NEXT) | instid1(VALU_DEP_1)
	v_cndmask_b32_e64 v3, 0x80000000, -1, s0
	v_dual_ashrrev_i32 v2, 31, v23 :: v_dual_bitop2_b32 v3, v3, v23 bitop3:0x14
	s_delay_alu instid0(VALU_DEP_1) | instskip(NEXT) | instid1(VALU_DEP_1)
	v_not_b32_e32 v2, v2
	v_xor_b32_e32 v2, v2, v22
	flat_store_b64 v[0:1], v[2:3]
.LBB1215_301:
	s_wait_xcnt 0x0
	s_or_b32 exec_lo, exec_lo, s1
	v_add_nc_u32_e32 v2, 0x100, v26
	s_set_vgpr_msb 4                        ;  msbs: dst=0 src0=0 src1=1 src2=0
	s_delay_alu instid0(VALU_DEP_1)
	v_cmp_lt_u32_e64 s0, v2, v34 /*v290*/
	s_and_saveexec_b32 s2, s0
	s_set_vgpr_msb 0                        ;  msbs: dst=0 src0=0 src1=0 src2=0
	s_cbranch_execz .LBB1215_303
; %bb.302:
	v_cmp_lt_i64_e64 s1, -1, v[24:25]
	s_delay_alu instid0(VALU_DEP_1) | instskip(NEXT) | instid1(VALU_DEP_1)
	v_cndmask_b32_e64 v3, 0x80000000, -1, s1
	v_dual_ashrrev_i32 v2, 31, v25 :: v_dual_bitop2_b32 v3, v3, v25 bitop3:0x14
	s_delay_alu instid0(VALU_DEP_1) | instskip(NEXT) | instid1(VALU_DEP_1)
	v_not_b32_e32 v2, v2
	v_xor_b32_e32 v2, v2, v24
	flat_store_b64 v[0:1], v[2:3] offset:2048
.LBB1215_303:
	s_wait_xcnt 0x0
	s_or_b32 exec_lo, exec_lo, s2
	v_add_nc_u32_e32 v2, 0x200, v26
	s_set_vgpr_msb 4                        ;  msbs: dst=0 src0=0 src1=1 src2=0
	s_delay_alu instid0(VALU_DEP_1)
	v_cmp_lt_u32_e64 s1, v2, v34 /*v290*/
	s_and_saveexec_b32 s3, s1
	s_set_vgpr_msb 0                        ;  msbs: dst=0 src0=0 src1=0 src2=0
	s_cbranch_execz .LBB1215_305
; %bb.304:
	v_cmp_lt_i64_e64 s2, -1, v[18:19]
	s_delay_alu instid0(VALU_DEP_1) | instskip(NEXT) | instid1(VALU_DEP_1)
	v_cndmask_b32_e64 v3, 0x80000000, -1, s2
	v_dual_ashrrev_i32 v2, 31, v19 :: v_dual_bitop2_b32 v3, v3, v19 bitop3:0x14
	s_delay_alu instid0(VALU_DEP_1) | instskip(NEXT) | instid1(VALU_DEP_1)
	v_not_b32_e32 v2, v2
	v_xor_b32_e32 v2, v2, v18
	flat_store_b64 v[0:1], v[2:3] offset:4096
.LBB1215_305:
	;; [unrolled: 19-line block ×3, first 2 shown]
	s_wait_xcnt 0x0
	s_or_b32 exec_lo, exec_lo, s4
	v_lshl_add_u64 v[0:1], v[8:9], 3, v[6:7]
	s_delay_alu instid0(VALU_DEP_1)
	v_lshl_add_u64 v[0:1], v[26:27], 3, v[0:1]
	s_and_saveexec_b32 s3, vcc_lo
	s_cbranch_execnz .LBB1215_340
; %bb.308:
	s_or_b32 exec_lo, exec_lo, s3
	s_and_saveexec_b32 s3, s0
	s_cbranch_execnz .LBB1215_341
.LBB1215_309:
	s_or_b32 exec_lo, exec_lo, s3
	s_and_saveexec_b32 s0, s1
	s_cbranch_execnz .LBB1215_342
.LBB1215_310:
	s_or_b32 exec_lo, exec_lo, s0
	s_and_saveexec_b32 s0, s2
	s_cbranch_execz .LBB1215_312
.LBB1215_311:
	flat_store_b64 v[0:1], v[12:13] offset:6144
.LBB1215_312:
	s_wait_xcnt 0x0
	s_or_b32 exec_lo, exec_lo, s0
                                        ; implicit-def: $vgpr290
                                        ; implicit-def: $vgpr8
                                        ; implicit-def: $vgpr10
                                        ; implicit-def: $vgpr11
                                        ; implicit-def: $vgpr0_vgpr1
                                        ; implicit-def: $vgpr2_vgpr3
                                        ; implicit-def: $vgpr4_vgpr5
                                        ; implicit-def: $vgpr6_vgpr7
                                        ; implicit-def: $vgpr12_vgpr13
                                        ; implicit-def: $vgpr9
                                        ; implicit-def: $vgpr14
                                        ; implicit-def: $vgpr22
                                        ; implicit-def: $vgpr258
.LBB1215_313:
	s_and_not1_saveexec_b32 s0, s26
	s_cbranch_execz .LBB1215_372
; %bb.314:
	s_load_b64 s[0:1], s[8:9], 0x0
	s_bfe_u32 s3, ttmp6, 0x4000c
	s_bfe_u32 s5, ttmp6, 0x40010
	s_and_b32 s4, ttmp7, 0xffff
	s_add_co_i32 s3, s3, 1
	s_add_co_i32 s5, s5, 1
	s_and_b32 s2, ttmp6, 15
	s_bfe_u32 s6, ttmp6, 0x40004
	s_mul_i32 s3, ttmp9, s3
	s_mul_i32 s5, s4, s5
	s_add_co_i32 s2, s2, s3
	s_add_co_i32 s6, s6, s5
	s_cmp_eq_u32 s25, 0
	s_cselect_b32 s2, ttmp9, s2
	s_cselect_b32 s3, s4, s6
	s_wait_kmcnt 0x0
	s_cmp_lt_u32 s2, s0
	s_cselect_b32 s0, 12, 18
	s_cmp_lt_u32 s3, s1
	s_mov_b32 s1, 0
	s_cselect_b32 s2, 14, 20
	s_mov_b32 s3, s1
	s_add_nc_u64 s[0:1], s[8:9], s[0:1]
	s_add_nc_u64 s[2:3], s[8:9], s[2:3]
	s_clause 0x1
	s_load_u16 s0, s[0:1], 0x0
	s_nop 0
	s_load_u16 s2, s[2:3], 0x0
	s_wait_kmcnt 0x0
	v_mad_u32_u24 v9, v14, s2, v9
	s_delay_alu instid0(VALU_DEP_1)
	v_mad_u32 v18, v9, s0, v22
	v_mov_b32_e32 v9, 0
	s_mov_b32 s0, exec_lo
	s_set_vgpr_msb 4                        ;  msbs: dst=0 src0=0 src1=1 src2=0
	v_cmpx_lt_u32_e32 0x100, v34 /*v290*/
	s_xor_b32 s22, exec_lo, s0
	s_set_vgpr_msb 0                        ;  msbs: dst=0 src0=0 src1=0 src2=0
	s_cbranch_execz .LBB1215_352
; %bb.315:
	v_lshl_add_u64 v[14:15], v[8:9], 3, v[0:1]
	s_delay_alu instid0(VALU_DEP_4) | instskip(SKIP_3) | instid1(VALU_DEP_2)
	v_dual_mov_b32 v21, v9 :: v_dual_lshlrev_b32 v0, 1, v18
	s_set_vgpr_msb 4                        ;  msbs: dst=0 src0=0 src1=1 src2=0
	v_lshlrev_b32_e32 v20, 3, v2 /*v258*/
	s_set_vgpr_msb 0                        ;  msbs: dst=0 src0=0 src1=0 src2=0
	v_and_b32_e32 v0, 0xffffffc0, v0
	s_delay_alu instid0(VALU_DEP_2) | instskip(SKIP_2) | instid1(VALU_DEP_3)
	v_add_nc_u64_e32 v[24:25], v[14:15], v[20:21]
	v_dual_mov_b32 v14, -1 :: v_dual_mov_b32 v1, v9
	s_set_vgpr_msb 1                        ;  msbs: dst=0 src0=1 src1=0 src2=0
	v_or_b32_e32 v19, v2 /*v258*/, v0
	v_bfrev_b32_e32 v15, -2
	s_set_vgpr_msb 4                        ;  msbs: dst=0 src0=0 src1=1 src2=0
	v_mov_b32_e32 v16, v14
	v_lshl_add_u64 v[24:25], v[0:1], 3, v[24:25]
	v_cmp_lt_u32_e32 vcc_lo, v19, v34 /*v290*/
	v_mov_b32_e32 v17, v15
	s_and_saveexec_b32 s0, vcc_lo
	s_set_vgpr_msb 0                        ;  msbs: dst=0 src0=0 src1=0 src2=0
	s_cbranch_execz .LBB1215_317
; %bb.316:
	flat_load_b64 v[26:27], v[24:25]
	v_dual_mov_b32 v28, v14 :: v_dual_mov_b32 v29, v15
	s_wait_loadcnt_dscnt 0x0
	v_mov_b64_e32 v[14:15], v[26:27]
	s_delay_alu instid0(VALU_DEP_2)
	v_mov_b64_e32 v[16:17], v[28:29]
.LBB1215_317:
	s_wait_xcnt 0x0
	s_or_b32 exec_lo, exec_lo, s0
	v_or_b32_e32 v19, 32, v19
	s_set_vgpr_msb 4                        ;  msbs: dst=0 src0=0 src1=1 src2=0
	s_delay_alu instid0(VALU_DEP_1)
	v_cmp_lt_u32_e64 s0, v19, v34 /*v290*/
	s_and_saveexec_b32 s1, s0
	s_set_vgpr_msb 0                        ;  msbs: dst=0 src0=0 src1=0 src2=0
	s_cbranch_execz .LBB1215_319
; %bb.318:
	flat_load_b64 v[16:17], v[24:25] offset:256
.LBB1215_319:
	s_wait_xcnt 0x0
	s_or_b32 exec_lo, exec_lo, s1
	v_lshl_add_u64 v[4:5], v[8:9], 3, v[4:5]
	v_mov_b32_e32 v21, 0
	v_mov_b64_e32 v[28:29], 0
	v_mov_b64_e32 v[26:27], 0
	s_delay_alu instid0(VALU_DEP_3) | instskip(NEXT) | instid1(VALU_DEP_1)
	v_add_nc_u64_e32 v[4:5], v[4:5], v[20:21]
	v_lshl_add_u64 v[0:1], v[0:1], 3, v[4:5]
	s_and_saveexec_b32 s1, vcc_lo
	s_cbranch_execz .LBB1215_321
; %bb.320:
	flat_load_b64 v[26:27], v[0:1]
.LBB1215_321:
	s_wait_xcnt 0x0
	s_or_b32 exec_lo, exec_lo, s1
	s_and_saveexec_b32 s1, s0
	s_cbranch_execz .LBB1215_323
; %bb.322:
	flat_load_b64 v[28:29], v[0:1] offset:256
.LBB1215_323:
	s_wait_xcnt 0x0
	s_or_b32 exec_lo, exec_lo, s1
	v_cmp_lt_i64_e32 vcc_lo, -1, v[14:15]
	v_lshl_add_u32 v5, v22, 5, v12
	s_get_pc_i64 s[0:1]
	s_add_nc_u64 s[0:1], s[0:1], _ZN7rocprim17ROCPRIM_400000_NS16block_radix_sortIdLj256ELj2ElLj1ELj1ELj8ELNS0_26block_radix_rank_algorithmE2ELNS0_18block_padding_hintE2ELNS0_4arch9wavefront6targetE0EE19radix_bits_per_passE@rel64+4
	v_cmp_gt_u32_e64 s6, 8, v22
	s_load_b32 s23, s[0:1], 0x0
	v_cmp_lt_u32_e64 s7, 31, v22
	v_dual_add_nc_u32 v23, 36, v5 :: v_dual_add_nc_u32 v38, 40, v5
	v_cndmask_b32_e64 v0, -1, 0x80000000, vcc_lo
	s_wait_loadcnt_dscnt 0x0
	v_cmp_lt_i64_e32 vcc_lo, -1, v[16:17]
	v_dual_ashrrev_i32 v1, 31, v15 :: v_dual_add_nc_u32 v39, 44, v5
	s_delay_alu instid0(VALU_DEP_3) | instskip(NEXT) | instid1(VALU_DEP_2)
	v_dual_add_nc_u32 v48, 48, v5 :: v_dual_bitop2_b32 v33, v0, v15 bitop3:0x14
	v_dual_ashrrev_i32 v4, 31, v17 :: v_dual_bitop2_b32 v32, v1, v14 bitop3:0x14
	v_cndmask_b32_e64 v0, -1, 0x80000000, vcc_lo
	v_dual_add_nc_u32 v19, 32, v5 :: v_dual_add_nc_u32 v49, 52, v5
	s_delay_alu instid0(VALU_DEP_3)
	v_dual_add_nc_u32 v50, 56, v5 :: v_dual_bitop2_b32 v30, v4, v16 bitop3:0x14
	v_add_nc_u32_e32 v51, 60, v5
	v_and_b32_e32 v1, 0x3e0, v22
	s_set_vgpr_msb 1                        ;  msbs: dst=0 src0=1 src1=0 src2=0
	v_sub_co_u32 v5, s2, v2 /*v258*/, 1
	s_set_vgpr_msb 0                        ;  msbs: dst=0 src0=0 src1=0 src2=0
	v_dual_lshrrev_b32 v52, 5, v18 :: v_dual_bitop2_b32 v31, v0, v17 bitop3:0x14
	v_min_u32_e32 v1, 0xe0, v1
	s_set_vgpr_msb 4                        ;  msbs: dst=0 src0=0 src1=1 src2=0
	v_and_b32_e32 v4, 16, v2 /*v258*/
	s_set_vgpr_msb 0                        ;  msbs: dst=0 src0=0 src1=0 src2=0
	v_cmp_gt_i32_e64 s5, 0, v5
	s_set_vgpr_msb 4                        ;  msbs: dst=0 src0=0 src1=1 src2=0
	v_and_b32_e32 v0, 15, v2 /*v258*/
	s_set_vgpr_msb 0                        ;  msbs: dst=0 src0=0 src1=0 src2=0
	v_cmp_eq_u32_e64 s8, 0, v22
	v_lshl_add_u32 v55, v22, 2, v12
	v_cmp_eq_u32_e64 s4, 0, v4
	s_set_vgpr_msb 4                        ;  msbs: dst=0 src0=0 src1=1 src2=0
	v_cndmask_b32_e64 v4, v5, v2 /*v258*/, s5
	s_set_vgpr_msb 0                        ;  msbs: dst=0 src0=0 src1=0 src2=0
	v_cmp_eq_u32_e32 vcc_lo, 0, v0
	s_wait_xcnt 0x0
	v_cmp_lt_u32_e64 s0, 1, v0
	v_cmp_lt_u32_e64 s1, 3, v0
	;; [unrolled: 1-line block ×3, first 2 shown]
	v_dual_lshlrev_b32 v53, 2, v4 :: v_dual_bitop2_b32 v0, 31, v1 bitop3:0x54
	v_lshrrev_b32_e32 v1, 3, v22
	s_set_vgpr_msb 4                        ;  msbs: dst=0 src0=0 src1=1 src2=0
	v_and_b32_e32 v5, 7, v2 /*v258*/
	s_set_vgpr_msb 16                       ;  msbs: dst=0 src0=0 src1=0 src2=1
	v_sub_nc_u32_e32 v67, v11, v10
	v_cmp_eq_u32_e64 s5, v22, v0
	s_mov_b64 s[20:21], 0x7fffffffffffffff
	v_and_b32_e32 v0, 0x7c, v1
	v_lshlrev_b32_e32 v4, 1, v22
	v_cmp_eq_u32_e64 s9, 0, v5
	v_cmp_lt_u32_e64 s10, 1, v5
	v_cmp_lt_u32_e64 s11, 3, v5
	v_add_nc_u32_e32 v54, v12, v0
	v_and_or_b32 v0, 0x7c0, v4, v2 /*v258*/
	v_mov_b64_e32 v[4:5], 0
	v_mov_b32_e32 v1, 0
	s_mov_b32 s25, 0
	v_add_nc_u32_e32 v65, -4, v54
	s_set_vgpr_msb 0                        ;  msbs: dst=0 src0=0 src1=0 src2=0
	v_lshl_add_u32 v64, v0, 3, v12
	s_wait_storecnt 0x0
	s_barrier_signal -1
	s_barrier_wait -1
	s_delay_alu instid0(VALU_DEP_1)
	v_add_nc_u32_e32 v66, 0x100, v64
	s_branch .LBB1215_325
.LBB1215_324:                           ;   in Loop: Header=BB1215_325 Depth=1
	s_or_b32 exec_lo, exec_lo, s13
	s_delay_alu instid0(SALU_CYCLE_1) | instskip(NEXT) | instid1(SALU_CYCLE_1)
	s_and_b32 s12, exec_lo, s14
	s_or_b32 s25, s12, s25
	s_delay_alu instid0(SALU_CYCLE_1)
	s_and_not1_b32 exec_lo, exec_lo, s25
	s_cbranch_execz .LBB1215_343
.LBB1215_325:                           ; =>This Inner Loop Header: Depth=1
	v_mov_b64_e32 v[14:15], v[32:33]
	s_wait_kmcnt 0x0
	v_min_u32_e32 v0, s23, v67
	ds_store_b64 v19, v[4:5]
	ds_store_b64 v38, v[4:5]
	;; [unrolled: 1-line block ×4, first 2 shown]
	s_wait_dscnt 0x0
	s_barrier_signal -1
	v_lshlrev_b32_e64 v32, v0, -1
	v_cmp_ne_u64_e64 s12, s[20:21], v[14:15]
	s_barrier_wait -1
	; wave barrier
	s_delay_alu instid0(VALU_DEP_1) | instskip(SKIP_1) | instid1(VALU_DEP_1)
	v_cndmask_b32_e64 v17, 0x80000000, v15, s12
	v_cndmask_b32_e64 v16, 0, v14, s12
	v_lshrrev_b64 v[16:17], v10, v[16:17]
	s_delay_alu instid0(VALU_DEP_1) | instskip(SKIP_1) | instid1(VALU_DEP_2)
	v_bitop3_b32 v0, v16, 1, v32 bitop3:0x40
	v_bitop3_b32 v24, v16, v32, v16 bitop3:0x30
	v_add_co_u32 v0, s12, v0, -1
	s_delay_alu instid0(VALU_DEP_1) | instskip(NEXT) | instid1(VALU_DEP_3)
	v_cndmask_b32_e64 v16, 0, 1, s12
	v_dual_lshlrev_b32 v17, 30, v24 :: v_dual_lshlrev_b32 v20, 29, v24
	v_dual_lshlrev_b32 v21, 28, v24 :: v_dual_lshlrev_b32 v25, 27, v24
	v_lshlrev_b32_e32 v33, 26, v24
	s_delay_alu instid0(VALU_DEP_4) | instskip(NEXT) | instid1(VALU_DEP_4)
	v_cmp_ne_u32_e64 s12, 0, v16
	v_not_b32_e32 v16, v17
	v_dual_lshlrev_b32 v34, 25, v24 :: v_dual_lshlrev_b32 v35, 24, v24
	v_cmp_gt_i32_e64 s13, 0, v17
	v_cmp_gt_i32_e64 s14, 0, v20
	v_not_b32_e32 v17, v20
	v_not_b32_e32 v20, v21
	v_ashrrev_i32_e32 v16, 31, v16
	v_cmp_gt_i32_e64 s15, 0, v21
	v_cmp_gt_i32_e64 s16, 0, v25
	v_not_b32_e32 v21, v25
	v_cmp_gt_i32_e64 s17, 0, v33
	v_not_b32_e32 v25, v33
	;; [unrolled: 2-line block ×3, first 2 shown]
	v_not_b32_e32 v34, v35
	v_dual_ashrrev_i32 v21, 31, v21 :: v_dual_bitop2_b32 v0, s12, v0 bitop3:0x14
	v_dual_ashrrev_i32 v17, 31, v17 :: v_dual_ashrrev_i32 v20, 31, v20
	v_dual_ashrrev_i32 v25, 31, v25 :: v_dual_bitop2_b32 v16, s13, v16 bitop3:0x14
	v_cmp_gt_i32_e64 s19, 0, v35
	s_delay_alu instid0(VALU_DEP_3) | instskip(NEXT) | instid1(VALU_DEP_4)
	v_xor_b32_e32 v17, s14, v17
	v_xor_b32_e32 v20, s15, v20
	v_xor_b32_e32 v21, s16, v21
	v_bitop3_b32 v0, v0, v16, exec_lo bitop3:0x80
	v_dual_ashrrev_i32 v16, 31, v33 :: v_dual_ashrrev_i32 v33, 31, v34
	v_xor_b32_e32 v25, s17, v25
	s_delay_alu instid0(VALU_DEP_3) | instskip(NEXT) | instid1(VALU_DEP_3)
	v_bitop3_b32 v0, v0, v20, v17 bitop3:0x80
	v_xor_b32_e32 v34, s18, v16
	s_delay_alu instid0(VALU_DEP_4) | instskip(SKIP_1) | instid1(VALU_DEP_4)
	v_xor_b32_e32 v33, s19, v33
	v_mov_b64_e32 v[16:17], v[30:31]
	v_bitop3_b32 v25, v0, v25, v21 bitop3:0x80
	v_mov_b64_e32 v[20:21], v[28:29]
	v_lshl_add_u32 v0, v24, 3, v52
	s_delay_alu instid0(VALU_DEP_3) | instskip(SKIP_1) | instid1(VALU_DEP_3)
	v_bitop3_b32 v28, v25, v33, v34 bitop3:0x80
	v_mov_b64_e32 v[24:25], v[26:27]
	v_lshl_add_u64 v[26:27], v[0:1], 2, v[12:13]
	s_delay_alu instid0(VALU_DEP_3) | instskip(SKIP_1) | instid1(VALU_DEP_3)
	v_mbcnt_lo_u32_b32 v0, v28, 0
	v_cmp_ne_u32_e64 s13, 0, v28
	v_add_nc_u64_e32 v[26:27], 32, v[26:27]
	s_delay_alu instid0(VALU_DEP_3) | instskip(SKIP_1) | instid1(SALU_CYCLE_1)
	v_cmp_eq_u32_e64 s12, 0, v0
	s_and_b32 s13, s13, s12
	s_and_saveexec_b32 s12, s13
; %bb.326:                              ;   in Loop: Header=BB1215_325 Depth=1
	v_bcnt_u32_b32 v27, v28, 0
	ds_store_b32 v26, v27
; %bb.327:                              ;   in Loop: Header=BB1215_325 Depth=1
	s_or_b32 exec_lo, exec_lo, s12
	v_cmp_ne_u64_e64 s12, s[20:21], v[16:17]
	v_not_b32_e32 v27, v32
	; wave barrier
	s_delay_alu instid0(VALU_DEP_2) | instskip(SKIP_1) | instid1(VALU_DEP_1)
	v_cndmask_b32_e64 v29, 0x80000000, v17, s12
	v_cndmask_b32_e64 v28, 0, v16, s12
	v_lshrrev_b64 v[28:29], v10, v[28:29]
	s_delay_alu instid0(VALU_DEP_1) | instskip(SKIP_1) | instid1(VALU_DEP_2)
	v_and_b32_e32 v29, v28, v27
	v_bitop3_b32 v27, v28, 1, v27 bitop3:0x80
	v_lshlrev_b32_e32 v31, 30, v29
	s_delay_alu instid0(VALU_DEP_2) | instskip(NEXT) | instid1(VALU_DEP_1)
	v_add_co_u32 v27, s12, v27, -1
	v_cndmask_b32_e64 v30, 0, 1, s12
	s_delay_alu instid0(VALU_DEP_3) | instskip(NEXT) | instid1(VALU_DEP_2)
	v_cmp_gt_i32_e64 s13, 0, v31
	v_cmp_ne_u32_e64 s12, 0, v30
	v_not_b32_e32 v30, v31
	s_delay_alu instid0(VALU_DEP_1) | instskip(SKIP_3) | instid1(VALU_DEP_4)
	v_dual_ashrrev_i32 v30, 31, v30 :: v_dual_lshlrev_b32 v32, 29, v29
	v_dual_lshlrev_b32 v33, 28, v29 :: v_dual_lshlrev_b32 v34, 27, v29
	v_lshlrev_b32_e32 v35, 26, v29
	v_lshl_add_u32 v28, v29, 3, v52
	v_cmp_gt_i32_e64 s14, 0, v32
	v_not_b32_e32 v31, v32
	v_not_b32_e32 v32, v33
	v_dual_lshlrev_b32 v36, 25, v29 :: v_dual_lshlrev_b32 v29, 24, v29
	v_cmp_gt_i32_e64 s15, 0, v33
	v_cmp_gt_i32_e64 s16, 0, v34
	v_not_b32_e32 v33, v34
	v_not_b32_e32 v34, v35
	v_dual_ashrrev_i32 v32, 31, v32 :: v_dual_bitop2_b32 v27, s12, v27 bitop3:0x14
	v_dual_ashrrev_i32 v31, 31, v31 :: v_dual_bitop2_b32 v30, s13, v30 bitop3:0x14
	v_cmp_gt_i32_e64 s17, 0, v35
	v_not_b32_e32 v35, v36
	v_cmp_gt_i32_e64 s19, 0, v29
	v_not_b32_e32 v29, v29
	v_dual_ashrrev_i32 v33, 31, v33 :: v_dual_ashrrev_i32 v34, 31, v34
	v_xor_b32_e32 v31, s14, v31
	v_xor_b32_e32 v32, s15, v32
	v_bitop3_b32 v27, v27, v30, exec_lo bitop3:0x80
	v_cmp_gt_i32_e64 s18, 0, v36
	v_dual_ashrrev_i32 v30, 31, v35 :: v_dual_ashrrev_i32 v29, 31, v29
	v_xor_b32_e32 v34, s17, v34
	s_delay_alu instid0(VALU_DEP_4) | instskip(SKIP_4) | instid1(VALU_DEP_3)
	v_bitop3_b32 v27, v27, v32, v31 bitop3:0x80
	v_lshl_add_u32 v31, v28, 2, v12
	v_xor_b32_e32 v33, s16, v33
	v_xor_b32_e32 v28, s18, v30
	;; [unrolled: 1-line block ×3, first 2 shown]
	v_bitop3_b32 v30, v27, v34, v33 bitop3:0x80
	ds_load_b32 v27, v31 offset:32
	; wave barrier
	v_bitop3_b32 v30, v30, v29, v28 bitop3:0x80
	v_add_nc_u32_e32 v29, 32, v31
	s_delay_alu instid0(VALU_DEP_2) | instskip(SKIP_1) | instid1(VALU_DEP_2)
	v_mbcnt_lo_u32_b32 v28, v30, 0
	v_cmp_ne_u32_e64 s13, 0, v30
	v_cmp_eq_u32_e64 s12, 0, v28
	s_and_b32 s13, s13, s12
	s_delay_alu instid0(SALU_CYCLE_1)
	s_and_saveexec_b32 s12, s13
	s_cbranch_execz .LBB1215_329
; %bb.328:                              ;   in Loop: Header=BB1215_325 Depth=1
	s_wait_dscnt 0x0
	v_bcnt_u32_b32 v30, v30, v27
	ds_store_b32 v29, v30
.LBB1215_329:                           ;   in Loop: Header=BB1215_325 Depth=1
	s_or_b32 exec_lo, exec_lo, s12
	; wave barrier
	s_wait_dscnt 0x0
	s_barrier_signal -1
	s_barrier_wait -1
	ds_load_b32 v31, v19
	ds_load_b32 v32, v23
	;; [unrolled: 1-line block ×8, first 2 shown]
	s_wait_dscnt 0x6
	v_add_nc_u32_e32 v68, v32, v31
	s_wait_dscnt 0x4
	s_delay_alu instid0(VALU_DEP_1) | instskip(SKIP_1) | instid1(VALU_DEP_1)
	v_add3_u32 v68, v68, v33, v34
	s_wait_dscnt 0x2
	v_add3_u32 v68, v68, v35, v36
	s_wait_dscnt 0x0
	s_delay_alu instid0(VALU_DEP_1) | instskip(NEXT) | instid1(VALU_DEP_1)
	v_add3_u32 v37, v68, v30, v37
	v_mov_b32_dpp v68, v37 row_shr:1 row_mask:0xf bank_mask:0xf
	s_delay_alu instid0(VALU_DEP_1) | instskip(NEXT) | instid1(VALU_DEP_1)
	v_cndmask_b32_e64 v68, v68, 0, vcc_lo
	v_add_nc_u32_e32 v37, v68, v37
	s_delay_alu instid0(VALU_DEP_1) | instskip(NEXT) | instid1(VALU_DEP_1)
	v_mov_b32_dpp v68, v37 row_shr:2 row_mask:0xf bank_mask:0xf
	v_cndmask_b32_e64 v68, 0, v68, s0
	s_delay_alu instid0(VALU_DEP_1) | instskip(NEXT) | instid1(VALU_DEP_1)
	v_add_nc_u32_e32 v37, v37, v68
	v_mov_b32_dpp v68, v37 row_shr:4 row_mask:0xf bank_mask:0xf
	s_delay_alu instid0(VALU_DEP_1) | instskip(NEXT) | instid1(VALU_DEP_1)
	v_cndmask_b32_e64 v68, 0, v68, s1
	v_add_nc_u32_e32 v37, v37, v68
	s_delay_alu instid0(VALU_DEP_1) | instskip(NEXT) | instid1(VALU_DEP_1)
	v_mov_b32_dpp v68, v37 row_shr:8 row_mask:0xf bank_mask:0xf
	v_cndmask_b32_e64 v68, 0, v68, s3
	s_delay_alu instid0(VALU_DEP_1) | instskip(SKIP_3) | instid1(VALU_DEP_1)
	v_add_nc_u32_e32 v37, v37, v68
	ds_swizzle_b32 v68, v37 offset:swizzle(BROADCAST,32,15)
	s_wait_dscnt 0x0
	v_cndmask_b32_e64 v68, v68, 0, s4
	v_add_nc_u32_e32 v37, v37, v68
	s_and_saveexec_b32 s12, s5
; %bb.330:                              ;   in Loop: Header=BB1215_325 Depth=1
	ds_store_b32 v54, v37
; %bb.331:                              ;   in Loop: Header=BB1215_325 Depth=1
	s_or_b32 exec_lo, exec_lo, s12
	s_wait_dscnt 0x0
	s_barrier_signal -1
	s_barrier_wait -1
	s_and_saveexec_b32 s12, s6
	s_cbranch_execz .LBB1215_333
; %bb.332:                              ;   in Loop: Header=BB1215_325 Depth=1
	ds_load_b32 v68, v55
	s_wait_dscnt 0x0
	v_mov_b32_dpp v69, v68 row_shr:1 row_mask:0xf bank_mask:0xf
	s_delay_alu instid0(VALU_DEP_1) | instskip(NEXT) | instid1(VALU_DEP_1)
	v_cndmask_b32_e64 v69, v69, 0, s9
	v_add_nc_u32_e32 v68, v69, v68
	s_delay_alu instid0(VALU_DEP_1) | instskip(NEXT) | instid1(VALU_DEP_1)
	v_mov_b32_dpp v69, v68 row_shr:2 row_mask:0xf bank_mask:0xf
	v_cndmask_b32_e64 v69, 0, v69, s10
	s_delay_alu instid0(VALU_DEP_1) | instskip(NEXT) | instid1(VALU_DEP_1)
	v_add_nc_u32_e32 v68, v68, v69
	v_mov_b32_dpp v69, v68 row_shr:4 row_mask:0xf bank_mask:0xf
	s_delay_alu instid0(VALU_DEP_1) | instskip(NEXT) | instid1(VALU_DEP_1)
	v_cndmask_b32_e64 v69, 0, v69, s11
	v_add_nc_u32_e32 v68, v68, v69
	ds_store_b32 v55, v68
.LBB1215_333:                           ;   in Loop: Header=BB1215_325 Depth=1
	s_or_b32 exec_lo, exec_lo, s12
	v_mov_b32_e32 v68, 0
	s_wait_dscnt 0x0
	s_barrier_signal -1
	s_barrier_wait -1
	s_and_saveexec_b32 s12, s7
; %bb.334:                              ;   in Loop: Header=BB1215_325 Depth=1
	ds_load_b32 v68, v65
; %bb.335:                              ;   in Loop: Header=BB1215_325 Depth=1
	s_or_b32 exec_lo, exec_lo, s12
	s_wait_dscnt 0x0
	v_dual_add_nc_u32 v37, v68, v37 :: v_dual_add_nc_u32 v10, 8, v10
	s_mov_b32 s14, -1
	s_mov_b32 s13, exec_lo
	ds_bpermute_b32 v37, v53, v37
	s_wait_dscnt 0x0
	v_cndmask_b32_e64 v37, v37, v68, s2
	s_delay_alu instid0(VALU_DEP_1) | instskip(NEXT) | instid1(VALU_DEP_1)
	v_cndmask_b32_e64 v37, v37, 0, s8
	v_add_nc_u32_e32 v31, v37, v31
	s_delay_alu instid0(VALU_DEP_1) | instskip(NEXT) | instid1(VALU_DEP_1)
	v_add_nc_u32_e32 v32, v31, v32
	v_add_nc_u32_e32 v33, v32, v33
	s_delay_alu instid0(VALU_DEP_1) | instskip(NEXT) | instid1(VALU_DEP_1)
	v_add_nc_u32_e32 v34, v33, v34
	v_add_nc_u32_e32 v35, v34, v35
	s_delay_alu instid0(VALU_DEP_1)
	v_add_nc_u32_e32 v36, v35, v36
	ds_store_b32 v19, v37
	ds_store_b32 v23, v31
	;; [unrolled: 1-line block ×3, first 2 shown]
	v_add_nc_u32_e32 v30, v36, v30
	ds_store_b32 v39, v33
	ds_store_b32 v48, v34
	;; [unrolled: 1-line block ×5, first 2 shown]
	s_wait_dscnt 0x0
	s_barrier_signal -1
	s_barrier_wait -1
	ds_load_b32 v26, v26
	ds_load_b32 v30, v29
	v_mov_b32_e32 v29, v1
	s_wait_dscnt 0x0
                                        ; implicit-def: $vgpr32_vgpr33
	v_add_nc_u32_e32 v0, v26, v0
	v_add3_u32 v28, v28, v27, v30
                                        ; implicit-def: $vgpr30_vgpr31
                                        ; implicit-def: $vgpr26_vgpr27
	s_delay_alu instid0(VALU_DEP_2) | instskip(NEXT) | instid1(VALU_DEP_2)
	v_lshl_add_u64 v[34:35], v[0:1], 3, v[12:13]
	v_lshl_add_u64 v[36:37], v[28:29], 3, v[12:13]
                                        ; implicit-def: $vgpr28_vgpr29
	v_cmpx_lt_u32_e64 v10, v11
	s_cbranch_execz .LBB1215_324
; %bb.336:                              ;   in Loop: Header=BB1215_325 Depth=1
	s_barrier_signal -1
	s_barrier_wait -1
	ds_store_b64 v34, v[14:15]
	ds_store_b64 v36, v[16:17]
	s_wait_dscnt 0x0
	s_barrier_signal -1
	s_barrier_wait -1
	ds_load_b64 v[32:33], v64
	ds_load_b64 v[30:31], v66
	s_wait_dscnt 0x0
	s_barrier_signal -1
	s_barrier_wait -1
	ds_store_b64 v34, v[24:25]
	ds_store_b64 v36, v[20:21]
	s_wait_dscnt 0x0
	s_barrier_signal -1
	s_barrier_wait -1
	ds_load_b64 v[26:27], v64
	ds_load_b64 v[28:29], v66
	v_add_nc_u32_e32 v67, -8, v67
	s_xor_b32 s14, exec_lo, -1
	s_wait_dscnt 0x0
	s_barrier_signal -1
	s_barrier_wait -1
	s_branch .LBB1215_324
.LBB1215_337:
	flat_load_b64 v[24:25], v[0:1]
	s_wait_xcnt 0x0
	s_or_b32 exec_lo, exec_lo, s3
                                        ; implicit-def: $vgpr36_vgpr37
	s_and_saveexec_b32 s3, s0
	s_cbranch_execz .LBB1215_264
.LBB1215_338:
	flat_load_b64 v[36:37], v[0:1] offset:256
	s_wait_xcnt 0x0
	s_or_b32 exec_lo, exec_lo, s3
                                        ; implicit-def: $vgpr38_vgpr39
	s_and_saveexec_b32 s0, s1
	s_cbranch_execz .LBB1215_265
.LBB1215_339:
	flat_load_b64 v[38:39], v[0:1] offset:512
	s_wait_xcnt 0x0
	s_or_b32 exec_lo, exec_lo, s0
                                        ; implicit-def: $vgpr48_vgpr49
	s_and_saveexec_b32 s0, s2
	s_cbranch_execnz .LBB1215_266
	s_branch .LBB1215_267
.LBB1215_340:
	flat_store_b64 v[0:1], v[14:15]
	s_wait_xcnt 0x0
	s_or_b32 exec_lo, exec_lo, s3
	s_and_saveexec_b32 s3, s0
	s_cbranch_execz .LBB1215_309
.LBB1215_341:
	flat_store_b64 v[0:1], v[16:17] offset:2048
	s_wait_xcnt 0x0
	s_or_b32 exec_lo, exec_lo, s3
	s_and_saveexec_b32 s0, s1
	s_cbranch_execz .LBB1215_310
.LBB1215_342:
	flat_store_b64 v[0:1], v[10:11] offset:4096
	s_wait_xcnt 0x0
	s_or_b32 exec_lo, exec_lo, s0
	s_and_saveexec_b32 s0, s2
	s_cbranch_execnz .LBB1215_311
	s_branch .LBB1215_312
.LBB1215_343:
	s_or_b32 exec_lo, exec_lo, s25
	v_lshl_add_u32 v0, v22, 3, v12
	s_barrier_signal -1
	s_barrier_wait -1
	ds_store_b64 v34, v[14:15]
	ds_store_b64 v36, v[16:17]
	s_wait_dscnt 0x0
	s_barrier_signal -1
	s_barrier_wait -1
	ds_load_2addr_stride64_b64 v[14:17], v0 offset1:4
	s_wait_dscnt 0x0
	s_barrier_signal -1
	s_barrier_wait -1
	ds_store_b64 v34, v[24:25]
	ds_store_b64 v36, v[20:21]
	s_wait_dscnt 0x0
	s_barrier_signal -1
	s_barrier_wait -1
	ds_load_2addr_stride64_b64 v[10:13], v0 offset1:4
	v_lshl_add_u64 v[0:1], v[8:9], 3, v[2:3]
	v_mov_b32_e32 v19, 0
	s_set_vgpr_msb 4                        ;  msbs: dst=0 src0=0 src1=1 src2=0
	v_cmp_lt_u32_e32 vcc_lo, v18, v34 /*v290*/
	s_wait_dscnt 0x0
	s_barrier_signal -1
	s_barrier_wait -1
	v_lshl_add_u64 v[0:1], v[18:19], 3, v[0:1]
	s_and_saveexec_b32 s1, vcc_lo
	s_set_vgpr_msb 0                        ;  msbs: dst=0 src0=0 src1=0 src2=0
	s_cbranch_execz .LBB1215_345
; %bb.344:
	v_cmp_lt_i64_e64 s0, -1, v[14:15]
	s_delay_alu instid0(VALU_DEP_1) | instskip(NEXT) | instid1(VALU_DEP_1)
	v_cndmask_b32_e64 v3, 0x80000000, -1, s0
	v_dual_ashrrev_i32 v2, 31, v15 :: v_dual_bitop2_b32 v3, v3, v15 bitop3:0x14
	s_delay_alu instid0(VALU_DEP_1) | instskip(NEXT) | instid1(VALU_DEP_1)
	v_not_b32_e32 v2, v2
	v_xor_b32_e32 v2, v2, v14
	flat_store_b64 v[0:1], v[2:3]
.LBB1215_345:
	s_wait_xcnt 0x0
	s_or_b32 exec_lo, exec_lo, s1
	v_add_nc_u32_e32 v2, 0x100, v18
	s_set_vgpr_msb 4                        ;  msbs: dst=0 src0=0 src1=1 src2=0
	s_delay_alu instid0(VALU_DEP_1)
	v_cmp_lt_u32_e64 s0, v2, v34 /*v290*/
	s_and_saveexec_b32 s2, s0
	s_set_vgpr_msb 0                        ;  msbs: dst=0 src0=0 src1=0 src2=0
	s_cbranch_execz .LBB1215_347
; %bb.346:
	v_cmp_lt_i64_e64 s1, -1, v[16:17]
	s_delay_alu instid0(VALU_DEP_1) | instskip(NEXT) | instid1(VALU_DEP_1)
	v_cndmask_b32_e64 v3, 0x80000000, -1, s1
	v_dual_ashrrev_i32 v2, 31, v17 :: v_dual_bitop2_b32 v3, v3, v17 bitop3:0x14
	s_delay_alu instid0(VALU_DEP_1) | instskip(NEXT) | instid1(VALU_DEP_1)
	v_not_b32_e32 v2, v2
	v_xor_b32_e32 v2, v2, v16
	flat_store_b64 v[0:1], v[2:3] offset:2048
.LBB1215_347:
	s_wait_xcnt 0x0
	s_or_b32 exec_lo, exec_lo, s2
	v_lshl_add_u64 v[0:1], v[8:9], 3, v[6:7]
	s_delay_alu instid0(VALU_DEP_1)
	v_lshl_add_u64 v[0:1], v[18:19], 3, v[0:1]
	s_and_saveexec_b32 s1, vcc_lo
	s_cbranch_execz .LBB1215_349
; %bb.348:
	flat_store_b64 v[0:1], v[10:11]
.LBB1215_349:
	s_wait_xcnt 0x0
	s_or_b32 exec_lo, exec_lo, s1
	s_and_saveexec_b32 s1, s0
	s_cbranch_execz .LBB1215_351
; %bb.350:
	flat_store_b64 v[0:1], v[12:13] offset:2048
.LBB1215_351:
	s_wait_xcnt 0x0
	s_or_b32 exec_lo, exec_lo, s1
                                        ; implicit-def: $vgpr18
                                        ; implicit-def: $vgpr8_vgpr9
                                        ; implicit-def: $vgpr290
                                        ; implicit-def: $vgpr10
                                        ; implicit-def: $vgpr11
                                        ; implicit-def: $vgpr0_vgpr1
                                        ; implicit-def: $vgpr2_vgpr3
                                        ; implicit-def: $vgpr4_vgpr5
                                        ; implicit-def: $vgpr6_vgpr7
                                        ; implicit-def: $vgpr12_vgpr13
                                        ; implicit-def: $vgpr22
                                        ; implicit-def: $vgpr258
.LBB1215_352:
	s_and_not1_saveexec_b32 s0, s22
	s_cbranch_execz .LBB1215_372
; %bb.353:
	s_delay_alu instid0(VALU_DEP_3)
	v_and_b32_e32 v20, 0xffffffe0, v18
	v_mov_b64_e32 v[14:15], 0x7fffffffffffffff
	s_set_vgpr_msb 4                        ;  msbs: dst=0 src0=0 src1=1 src2=0
	v_lshlrev_b32_e32 v24, 3, v2 /*v258*/
	s_set_vgpr_msb 1                        ;  msbs: dst=0 src0=1 src1=0 src2=0
	v_or_b32_e32 v16, v2 /*v258*/, v20
	s_set_vgpr_msb 4                        ;  msbs: dst=0 src0=0 src1=1 src2=0
	s_delay_alu instid0(VALU_DEP_1)
	v_cmp_lt_u32_e32 vcc_lo, v16, v34 /*v290*/
	s_and_saveexec_b32 s0, vcc_lo
	s_set_vgpr_msb 0                        ;  msbs: dst=0 src0=0 src1=0 src2=0
	s_cbranch_execz .LBB1215_355
; %bb.354:
	v_lshl_add_u64 v[0:1], v[8:9], 3, v[0:1]
	v_mov_b32_e32 v25, 0
	s_delay_alu instid0(VALU_DEP_1) | instskip(SKIP_1) | instid1(VALU_DEP_1)
	v_add_nc_u64_e32 v[0:1], v[0:1], v[24:25]
	v_mov_b32_e32 v21, v25
	v_lshl_add_u64 v[0:1], v[20:21], 3, v[0:1]
	flat_load_b64 v[14:15], v[0:1]
.LBB1215_355:
	s_wait_xcnt 0x0
	s_or_b32 exec_lo, exec_lo, s0
                                        ; implicit-def: $vgpr16_vgpr17
	s_and_saveexec_b32 s0, vcc_lo
	s_cbranch_execz .LBB1215_357
; %bb.356:
	v_lshl_add_u64 v[0:1], v[8:9], 3, v[4:5]
	v_mov_b32_e32 v25, 0
	s_delay_alu instid0(VALU_DEP_1) | instskip(SKIP_1) | instid1(VALU_DEP_1)
	v_add_nc_u64_e32 v[0:1], v[0:1], v[24:25]
	v_mov_b32_e32 v21, v25
	v_lshl_add_u64 v[0:1], v[20:21], 3, v[0:1]
	flat_load_b64 v[16:17], v[0:1]
.LBB1215_357:
	s_wait_xcnt 0x0
	s_or_b32 exec_lo, exec_lo, s0
	s_wait_loadcnt_dscnt 0x0
	v_cmp_lt_i64_e32 vcc_lo, -1, v[14:15]
	v_lshl_add_u32 v4, v22, 5, v12
	s_set_vgpr_msb 4                        ;  msbs: dst=0 src0=0 src1=1 src2=0
	v_and_b32_e32 v5, 16, v2 /*v258*/
	s_get_pc_i64 s[0:1]
	s_add_nc_u64 s[0:1], s[0:1], _ZN7rocprim17ROCPRIM_400000_NS16block_radix_sortIdLj256ELj1ElLj1ELj1ELj8ELNS0_26block_radix_rank_algorithmE2ELNS0_18block_padding_hintE2ELNS0_4arch9wavefront6targetE0EE19radix_bits_per_passE@rel64+4
	s_set_vgpr_msb 0                        ;  msbs: dst=0 src0=0 src1=0 src2=0
	v_cmp_gt_u32_e64 s6, 8, v22
	s_load_b32 s22, s[0:1], 0x0
	v_dual_add_nc_u32 v23, 36, v4 :: v_dual_add_nc_u32 v28, 40, v4
	v_cndmask_b32_e64 v0, -1, 0x80000000, vcc_lo
	v_dual_ashrrev_i32 v1, 31, v15 :: v_dual_add_nc_u32 v29, 44, v4
	v_dual_add_nc_u32 v30, 48, v4 :: v_dual_add_nc_u32 v19, 32, v4
	s_delay_alu instid0(VALU_DEP_3) | instskip(NEXT) | instid1(VALU_DEP_3)
	v_xor_b32_e32 v25, v0, v15
	v_dual_add_nc_u32 v31, 52, v4 :: v_dual_bitop2_b32 v24, v1, v14 bitop3:0x14
	v_dual_add_nc_u32 v32, 56, v4 :: v_dual_add_nc_u32 v33, 60, v4
	v_lshrrev_b32_e32 v34, 5, v18
	v_and_b32_e32 v4, 0x3e0, v22
	s_set_vgpr_msb 1                        ;  msbs: dst=0 src0=1 src1=0 src2=0
	v_sub_co_u32 v14, s2, v2 /*v258*/, 1
	v_cmp_eq_u32_e64 s4, 0, v5
	v_cmp_lt_u32_e64 s7, 31, v22
	v_min_u32_e32 v1, 0xe0, v4
	s_delay_alu instid0(VALU_DEP_4)
	v_cmp_gt_i32_e64 s5, 0, v14
	s_set_vgpr_msb 4                        ;  msbs: dst=0 src0=0 src1=1 src2=0
	v_and_b32_e32 v0, 15, v2 /*v258*/
	s_set_vgpr_msb 0                        ;  msbs: dst=0 src0=0 src1=0 src2=0
	v_cmp_eq_u32_e64 s8, 0, v22
	v_lshl_add_u32 v37, v22, 2, v12
	s_mov_b64 s[20:21], 0x7fffffffffffffff
	s_set_vgpr_msb 4                        ;  msbs: dst=0 src0=0 src1=1 src2=0
	v_cndmask_b32_e64 v5, v14, v2 /*v258*/, s5
	s_set_vgpr_msb 0                        ;  msbs: dst=0 src0=0 src1=0 src2=0
	v_cmp_eq_u32_e32 vcc_lo, 0, v0
	s_wait_xcnt 0x0
	v_cmp_lt_u32_e64 s0, 1, v0
	v_cmp_lt_u32_e64 s1, 3, v0
	;; [unrolled: 1-line block ×3, first 2 shown]
	v_dual_lshrrev_b32 v1, 3, v22 :: v_dual_bitop2_b32 v0, 31, v1 bitop3:0x54
	v_sub_nc_u32_e32 v48, v11, v10
	s_mov_b32 s23, 0
	s_wait_storecnt 0x0
	s_delay_alu instid0(VALU_DEP_2)
	v_cmp_eq_u32_e64 s5, v22, v0
	v_and_b32_e32 v0, 0x7c, v1
	v_lshlrev_b32_e32 v35, 2, v5
	s_set_vgpr_msb 4                        ;  msbs: dst=0 src0=0 src1=1 src2=0
	v_dual_mov_b32 v1, 0 :: v_dual_bitop2_b32 v5, 7, v2 /*v258*/ bitop3:0x40
	s_barrier_signal -1
	s_set_vgpr_msb 0                        ;  msbs: dst=0 src0=0 src1=0 src2=0
	v_add_nc_u32_e32 v36, v12, v0
	s_set_vgpr_msb 1                        ;  msbs: dst=0 src0=1 src1=0 src2=0
	v_or_b32_e32 v0, v2 /*v258*/, v4
	v_cmp_eq_u32_e64 s9, 0, v5
	v_cmp_lt_u32_e64 s10, 1, v5
	v_cmp_lt_u32_e64 s11, 3, v5
	v_mov_b64_e32 v[4:5], 0
	v_add_nc_u32_e32 v38, -4, v36
	s_set_vgpr_msb 0                        ;  msbs: dst=0 src0=0 src1=0 src2=0
	v_lshl_add_u32 v39, v0, 3, v12
	s_barrier_wait -1
	s_branch .LBB1215_359
.LBB1215_358:                           ;   in Loop: Header=BB1215_359 Depth=1
	s_or_b32 exec_lo, exec_lo, s13
	s_delay_alu instid0(SALU_CYCLE_1) | instskip(NEXT) | instid1(SALU_CYCLE_1)
	s_and_b32 s12, exec_lo, s14
	s_or_b32 s23, s12, s23
	s_delay_alu instid0(SALU_CYCLE_1)
	s_and_not1_b32 exec_lo, exec_lo, s23
	s_cbranch_execz .LBB1215_369
.LBB1215_359:                           ; =>This Inner Loop Header: Depth=1
	v_mov_b64_e32 v[14:15], v[24:25]
	s_wait_kmcnt 0x0
	v_min_u32_e32 v0, s22, v48
	ds_store_b64 v19, v[4:5]
	ds_store_b64 v28, v[4:5]
	;; [unrolled: 1-line block ×4, first 2 shown]
	s_wait_dscnt 0x0
	s_barrier_signal -1
	v_lshlrev_b32_e64 v0, v0, -1
	v_cmp_ne_u64_e64 s12, s[20:21], v[14:15]
	s_barrier_wait -1
	; wave barrier
	s_delay_alu instid0(VALU_DEP_1) | instskip(SKIP_1) | instid1(VALU_DEP_1)
	v_cndmask_b32_e64 v21, 0x80000000, v15, s12
	v_cndmask_b32_e64 v20, 0, v14, s12
	v_lshrrev_b64 v[20:21], v10, v[20:21]
	s_delay_alu instid0(VALU_DEP_1) | instskip(SKIP_1) | instid1(VALU_DEP_2)
	v_bitop3_b32 v21, v20, 1, v0 bitop3:0x40
	v_bitop3_b32 v0, v20, v0, v20 bitop3:0x30
	v_add_co_u32 v20, s12, v21, -1
	s_delay_alu instid0(VALU_DEP_1) | instskip(NEXT) | instid1(VALU_DEP_3)
	v_cndmask_b32_e64 v21, 0, 1, s12
	v_dual_lshlrev_b32 v24, 30, v0 :: v_dual_lshlrev_b32 v25, 29, v0
	v_dual_lshlrev_b32 v26, 28, v0 :: v_dual_lshlrev_b32 v27, 27, v0
	v_lshlrev_b32_e32 v49, 26, v0
	s_delay_alu instid0(VALU_DEP_4) | instskip(NEXT) | instid1(VALU_DEP_4)
	v_cmp_ne_u32_e64 s12, 0, v21
	v_not_b32_e32 v21, v24
	v_cmp_gt_i32_e64 s13, 0, v24
	v_cmp_gt_i32_e64 s14, 0, v25
	v_not_b32_e32 v24, v25
	v_not_b32_e32 v25, v26
	v_dual_ashrrev_i32 v21, 31, v21 :: v_dual_bitop2_b32 v20, s12, v20 bitop3:0x14
	v_dual_lshlrev_b32 v50, 25, v0 :: v_dual_lshlrev_b32 v51, 24, v0
	v_cmp_gt_i32_e64 s15, 0, v26
	v_cmp_gt_i32_e64 s16, 0, v27
	v_not_b32_e32 v26, v27
	v_not_b32_e32 v27, v49
	v_dual_ashrrev_i32 v24, 31, v24 :: v_dual_ashrrev_i32 v25, 31, v25
	s_delay_alu instid0(VALU_DEP_3)
	v_dual_ashrrev_i32 v26, 31, v26 :: v_dual_bitop2_b32 v21, s13, v21 bitop3:0x14
	v_cmp_gt_i32_e64 s17, 0, v49
	v_cmp_gt_i32_e64 s18, 0, v50
	v_not_b32_e32 v49, v50
	v_not_b32_e32 v50, v51
	v_dual_ashrrev_i32 v27, 31, v27 :: v_dual_bitop2_b32 v24, s14, v24 bitop3:0x14
	v_xor_b32_e32 v25, s15, v25
	v_bitop3_b32 v20, v20, v21, exec_lo bitop3:0x80
	v_cmp_gt_i32_e64 s19, 0, v51
	v_dual_ashrrev_i32 v21, 31, v49 :: v_dual_bitop2_b32 v26, s16, v26 bitop3:0x14
	v_dual_ashrrev_i32 v49, 31, v50 :: v_dual_bitop2_b32 v27, s17, v27 bitop3:0x14
	s_delay_alu instid0(VALU_DEP_4) | instskip(NEXT) | instid1(VALU_DEP_3)
	v_bitop3_b32 v20, v20, v25, v24 bitop3:0x80
	v_xor_b32_e32 v21, s18, v21
	v_lshl_add_u32 v0, v0, 3, v34
	s_delay_alu instid0(VALU_DEP_4) | instskip(NEXT) | instid1(VALU_DEP_4)
	v_xor_b32_e32 v24, s19, v49
	v_bitop3_b32 v20, v20, v27, v26 bitop3:0x80
	s_delay_alu instid0(VALU_DEP_1) | instskip(SKIP_2) | instid1(VALU_DEP_3)
	v_bitop3_b32 v24, v20, v24, v21 bitop3:0x80
	v_mov_b64_e32 v[20:21], v[16:17]
	v_lshl_add_u64 v[16:17], v[0:1], 2, v[12:13]
	v_mbcnt_lo_u32_b32 v0, v24, 0
	v_cmp_ne_u32_e64 s13, 0, v24
	s_delay_alu instid0(VALU_DEP_3) | instskip(NEXT) | instid1(VALU_DEP_3)
	v_add_nc_u64_e32 v[16:17], 32, v[16:17]
	v_cmp_eq_u32_e64 s12, 0, v0
	s_and_b32 s13, s13, s12
	s_delay_alu instid0(SALU_CYCLE_1)
	s_and_saveexec_b32 s12, s13
; %bb.360:                              ;   in Loop: Header=BB1215_359 Depth=1
	v_bcnt_u32_b32 v17, v24, 0
	ds_store_b32 v16, v17
; %bb.361:                              ;   in Loop: Header=BB1215_359 Depth=1
	s_or_b32 exec_lo, exec_lo, s12
	; wave barrier
	s_wait_dscnt 0x0
	s_barrier_signal -1
	s_barrier_wait -1
	ds_load_b32 v24, v19
	ds_load_b32 v25, v23
	;; [unrolled: 1-line block ×8, first 2 shown]
	s_wait_dscnt 0x6
	v_add_nc_u32_e32 v52, v25, v24
	s_wait_dscnt 0x4
	s_delay_alu instid0(VALU_DEP_1) | instskip(SKIP_1) | instid1(VALU_DEP_1)
	v_add3_u32 v52, v52, v26, v27
	s_wait_dscnt 0x2
	v_add3_u32 v52, v52, v49, v50
	s_wait_dscnt 0x0
	s_delay_alu instid0(VALU_DEP_1) | instskip(NEXT) | instid1(VALU_DEP_1)
	v_add3_u32 v51, v52, v17, v51
	v_mov_b32_dpp v52, v51 row_shr:1 row_mask:0xf bank_mask:0xf
	s_delay_alu instid0(VALU_DEP_1) | instskip(NEXT) | instid1(VALU_DEP_1)
	v_cndmask_b32_e64 v52, v52, 0, vcc_lo
	v_add_nc_u32_e32 v51, v52, v51
	s_delay_alu instid0(VALU_DEP_1) | instskip(NEXT) | instid1(VALU_DEP_1)
	v_mov_b32_dpp v52, v51 row_shr:2 row_mask:0xf bank_mask:0xf
	v_cndmask_b32_e64 v52, 0, v52, s0
	s_delay_alu instid0(VALU_DEP_1) | instskip(NEXT) | instid1(VALU_DEP_1)
	v_add_nc_u32_e32 v51, v51, v52
	v_mov_b32_dpp v52, v51 row_shr:4 row_mask:0xf bank_mask:0xf
	s_delay_alu instid0(VALU_DEP_1) | instskip(NEXT) | instid1(VALU_DEP_1)
	v_cndmask_b32_e64 v52, 0, v52, s1
	v_add_nc_u32_e32 v51, v51, v52
	s_delay_alu instid0(VALU_DEP_1) | instskip(NEXT) | instid1(VALU_DEP_1)
	v_mov_b32_dpp v52, v51 row_shr:8 row_mask:0xf bank_mask:0xf
	v_cndmask_b32_e64 v52, 0, v52, s3
	s_delay_alu instid0(VALU_DEP_1) | instskip(SKIP_3) | instid1(VALU_DEP_1)
	v_add_nc_u32_e32 v51, v51, v52
	ds_swizzle_b32 v52, v51 offset:swizzle(BROADCAST,32,15)
	s_wait_dscnt 0x0
	v_cndmask_b32_e64 v52, v52, 0, s4
	v_add_nc_u32_e32 v51, v51, v52
	s_and_saveexec_b32 s12, s5
; %bb.362:                              ;   in Loop: Header=BB1215_359 Depth=1
	ds_store_b32 v36, v51
; %bb.363:                              ;   in Loop: Header=BB1215_359 Depth=1
	s_or_b32 exec_lo, exec_lo, s12
	s_wait_dscnt 0x0
	s_barrier_signal -1
	s_barrier_wait -1
	s_and_saveexec_b32 s12, s6
	s_cbranch_execz .LBB1215_365
; %bb.364:                              ;   in Loop: Header=BB1215_359 Depth=1
	ds_load_b32 v52, v37
	s_wait_dscnt 0x0
	v_mov_b32_dpp v53, v52 row_shr:1 row_mask:0xf bank_mask:0xf
	s_delay_alu instid0(VALU_DEP_1) | instskip(NEXT) | instid1(VALU_DEP_1)
	v_cndmask_b32_e64 v53, v53, 0, s9
	v_add_nc_u32_e32 v52, v53, v52
	s_delay_alu instid0(VALU_DEP_1) | instskip(NEXT) | instid1(VALU_DEP_1)
	v_mov_b32_dpp v53, v52 row_shr:2 row_mask:0xf bank_mask:0xf
	v_cndmask_b32_e64 v53, 0, v53, s10
	s_delay_alu instid0(VALU_DEP_1) | instskip(NEXT) | instid1(VALU_DEP_1)
	v_add_nc_u32_e32 v52, v52, v53
	v_mov_b32_dpp v53, v52 row_shr:4 row_mask:0xf bank_mask:0xf
	s_delay_alu instid0(VALU_DEP_1) | instskip(NEXT) | instid1(VALU_DEP_1)
	v_cndmask_b32_e64 v53, 0, v53, s11
	v_add_nc_u32_e32 v52, v52, v53
	ds_store_b32 v37, v52
.LBB1215_365:                           ;   in Loop: Header=BB1215_359 Depth=1
	s_or_b32 exec_lo, exec_lo, s12
	v_mov_b32_e32 v52, 0
	s_wait_dscnt 0x0
	s_barrier_signal -1
	s_barrier_wait -1
	s_and_saveexec_b32 s12, s7
; %bb.366:                              ;   in Loop: Header=BB1215_359 Depth=1
	ds_load_b32 v52, v38
; %bb.367:                              ;   in Loop: Header=BB1215_359 Depth=1
	s_or_b32 exec_lo, exec_lo, s12
	s_wait_dscnt 0x0
	v_add_nc_u32_e32 v51, v52, v51
	s_mov_b32 s14, -1
	s_mov_b32 s13, exec_lo
	v_add_nc_u32_e32 v10, 8, v10
	ds_bpermute_b32 v51, v35, v51
	s_wait_dscnt 0x0
	v_cndmask_b32_e64 v51, v51, v52, s2
	s_delay_alu instid0(VALU_DEP_1) | instskip(NEXT) | instid1(VALU_DEP_1)
	v_cndmask_b32_e64 v51, v51, 0, s8
	v_add_nc_u32_e32 v24, v51, v24
	s_delay_alu instid0(VALU_DEP_1) | instskip(NEXT) | instid1(VALU_DEP_1)
	v_add_nc_u32_e32 v25, v24, v25
	v_add_nc_u32_e32 v26, v25, v26
	s_delay_alu instid0(VALU_DEP_1) | instskip(SKIP_4) | instid1(VALU_DEP_1)
	v_add_nc_u32_e32 v27, v26, v27
	ds_store_b32 v19, v51
	ds_store_b32 v23, v24
	;; [unrolled: 1-line block ×3, first 2 shown]
                                        ; implicit-def: $vgpr24_vgpr25
	v_add_nc_u32_e32 v49, v27, v49
	v_add_nc_u32_e32 v50, v49, v50
	s_delay_alu instid0(VALU_DEP_1)
	v_add_nc_u32_e32 v17, v50, v17
	ds_store_b32 v29, v26
	ds_store_b32 v30, v27
	;; [unrolled: 1-line block ×5, first 2 shown]
	s_wait_dscnt 0x0
	s_barrier_signal -1
	s_barrier_wait -1
	ds_load_b32 v16, v16
	s_wait_dscnt 0x0
	v_add_nc_u32_e32 v0, v16, v0
                                        ; implicit-def: $vgpr16_vgpr17
	s_delay_alu instid0(VALU_DEP_1)
	v_lshl_add_u64 v[26:27], v[0:1], 3, v[12:13]
	v_cmpx_lt_u32_e64 v10, v11
	s_cbranch_execz .LBB1215_358
; %bb.368:                              ;   in Loop: Header=BB1215_359 Depth=1
	s_barrier_signal -1
	s_barrier_wait -1
	ds_store_b64 v26, v[14:15]
	s_wait_dscnt 0x0
	s_barrier_signal -1
	s_barrier_wait -1
	ds_load_b64 v[24:25], v39
	s_wait_dscnt 0x0
	s_barrier_signal -1
	s_barrier_wait -1
	ds_store_b64 v26, v[20:21]
	s_wait_dscnt 0x0
	s_barrier_signal -1
	s_barrier_wait -1
	ds_load_b64 v[16:17], v39
	v_add_nc_u32_e32 v48, -8, v48
	s_xor_b32 s14, exec_lo, -1
	s_wait_dscnt 0x0
	s_barrier_signal -1
	s_barrier_wait -1
	s_branch .LBB1215_358
.LBB1215_369:
	s_or_b32 exec_lo, exec_lo, s23
	v_lshl_add_u32 v4, v22, 3, v12
	s_barrier_signal -1
	s_barrier_wait -1
	ds_store_b64 v26, v[14:15]
	s_wait_dscnt 0x0
	s_barrier_signal -1
	s_barrier_wait -1
	ds_load_b64 v[0:1], v4
	s_wait_dscnt 0x0
	s_barrier_signal -1
	s_barrier_wait -1
	ds_store_b64 v26, v[20:21]
	s_wait_dscnt 0x0
	s_barrier_signal -1
	s_barrier_wait -1
	ds_load_b64 v[4:5], v4
	s_mov_b32 s0, exec_lo
	s_wait_dscnt 0x0
	s_barrier_signal -1
	s_barrier_wait -1
	s_set_vgpr_msb 4                        ;  msbs: dst=0 src0=0 src1=1 src2=0
	v_cmpx_lt_u32_e64 v18, v34 /*v290*/
	s_set_vgpr_msb 0                        ;  msbs: dst=0 src0=0 src1=0 src2=0
	s_cbranch_execz .LBB1215_371
; %bb.370:
	v_lshlrev_b64_e32 v[8:9], 3, v[8:9]
	v_dual_mov_b32 v19, 0 :: v_dual_ashrrev_i32 v12, 31, v1
	v_cmp_lt_i64_e32 vcc_lo, -1, v[0:1]
	s_delay_alu instid0(VALU_DEP_2) | instskip(NEXT) | instid1(VALU_DEP_4)
	v_lshlrev_b64_e32 v[10:11], 3, v[18:19]
	v_add_nc_u64_e32 v[2:3], v[2:3], v[8:9]
	v_add_nc_u64_e32 v[6:7], v[6:7], v[8:9]
	v_not_b32_e32 v9, v12
	v_cndmask_b32_e64 v8, 0x80000000, -1, vcc_lo
	s_delay_alu instid0(VALU_DEP_2) | instskip(SKIP_2) | instid1(VALU_DEP_4)
	v_xor_b32_e32 v0, v9, v0
	v_add_nc_u64_e32 v[2:3], v[2:3], v[10:11]
	v_add_nc_u64_e32 v[6:7], v[6:7], v[10:11]
	v_xor_b32_e32 v1, v8, v1
	flat_store_b64 v[2:3], v[0:1]
	flat_store_b64 v[6:7], v[4:5]
.LBB1215_371:
	s_wait_xcnt 0x0
	s_or_b32 exec_lo, exec_lo, s0
.LBB1215_372:
	s_delay_alu instid0(SALU_CYCLE_1)
	s_or_b32 exec_lo, exec_lo, s24
	s_wait_dscnt 0x0
	s_set_pc_i64 s[30:31]
.Lfunc_end1215:
	.size	_ZN7rocprim17ROCPRIM_400000_NS6detail40segmented_radix_sort_single_block_helperIdlLj256ELj16ELb0EE4sortIPKdPdPKlPlEEbT_T0_T1_T2_jjjjRNS3_12storage_typeE, .Lfunc_end1215-_ZN7rocprim17ROCPRIM_400000_NS6detail40segmented_radix_sort_single_block_helperIdlLj256ELj16ELb0EE4sortIPKdPdPKlPlEEbT_T0_T1_T2_jjjjRNS3_12storage_typeE
                                        ; -- End function
	.set .L_ZN7rocprim17ROCPRIM_400000_NS6detail40segmented_radix_sort_single_block_helperIdlLj256ELj16ELb0EE4sortIPKdPdPKlPlEEbT_T0_T1_T2_jjjjRNS3_12storage_typeE.num_vgpr, 319
	.set .L_ZN7rocprim17ROCPRIM_400000_NS6detail40segmented_radix_sort_single_block_helperIdlLj256ELj16ELb0EE4sortIPKdPdPKlPlEEbT_T0_T1_T2_jjjjRNS3_12storage_typeE.num_agpr, 0
	.set .L_ZN7rocprim17ROCPRIM_400000_NS6detail40segmented_radix_sort_single_block_helperIdlLj256ELj16ELb0EE4sortIPKdPdPKlPlEEbT_T0_T1_T2_jjjjRNS3_12storage_typeE.numbered_sgpr, 32
	.set .L_ZN7rocprim17ROCPRIM_400000_NS6detail40segmented_radix_sort_single_block_helperIdlLj256ELj16ELb0EE4sortIPKdPdPKlPlEEbT_T0_T1_T2_jjjjRNS3_12storage_typeE.num_named_barrier, 0
	.set .L_ZN7rocprim17ROCPRIM_400000_NS6detail40segmented_radix_sort_single_block_helperIdlLj256ELj16ELb0EE4sortIPKdPdPKlPlEEbT_T0_T1_T2_jjjjRNS3_12storage_typeE.private_seg_size, 0
	.set .L_ZN7rocprim17ROCPRIM_400000_NS6detail40segmented_radix_sort_single_block_helperIdlLj256ELj16ELb0EE4sortIPKdPdPKlPlEEbT_T0_T1_T2_jjjjRNS3_12storage_typeE.uses_vcc, 1
	.set .L_ZN7rocprim17ROCPRIM_400000_NS6detail40segmented_radix_sort_single_block_helperIdlLj256ELj16ELb0EE4sortIPKdPdPKlPlEEbT_T0_T1_T2_jjjjRNS3_12storage_typeE.uses_flat_scratch, 0
	.set .L_ZN7rocprim17ROCPRIM_400000_NS6detail40segmented_radix_sort_single_block_helperIdlLj256ELj16ELb0EE4sortIPKdPdPKlPlEEbT_T0_T1_T2_jjjjRNS3_12storage_typeE.has_dyn_sized_stack, 0
	.set .L_ZN7rocprim17ROCPRIM_400000_NS6detail40segmented_radix_sort_single_block_helperIdlLj256ELj16ELb0EE4sortIPKdPdPKlPlEEbT_T0_T1_T2_jjjjRNS3_12storage_typeE.has_recursion, 0
	.set .L_ZN7rocprim17ROCPRIM_400000_NS6detail40segmented_radix_sort_single_block_helperIdlLj256ELj16ELb0EE4sortIPKdPdPKlPlEEbT_T0_T1_T2_jjjjRNS3_12storage_typeE.has_indirect_call, 0
	.section	.AMDGPU.csdata,"",@progbits
; Function info:
; codeLenInByte = 32856
; TotalNumSgprs: 34
; NumVgprs: 319
; ScratchSize: 0
; MemoryBound: 1
	.section	.text._ZN7rocprim17ROCPRIM_400000_NS6detail17trampoline_kernelINS0_14default_configENS1_36segmented_radix_sort_config_selectorIdlEEZNS1_25segmented_radix_sort_implIS3_Lb0EPKdPdPKlPlN2at6native12_GLOBAL__N_18offset_tEEE10hipError_tPvRmT1_PNSt15iterator_traitsISK_E10value_typeET2_T3_PNSL_ISQ_E10value_typeET4_jRbjT5_SW_jjP12ihipStream_tbEUlT_E_NS1_11comp_targetILNS1_3genE0ELNS1_11target_archE4294967295ELNS1_3gpuE0ELNS1_3repE0EEENS1_30default_config_static_selectorELNS0_4arch9wavefront6targetE0EEEvSK_,"axG",@progbits,_ZN7rocprim17ROCPRIM_400000_NS6detail17trampoline_kernelINS0_14default_configENS1_36segmented_radix_sort_config_selectorIdlEEZNS1_25segmented_radix_sort_implIS3_Lb0EPKdPdPKlPlN2at6native12_GLOBAL__N_18offset_tEEE10hipError_tPvRmT1_PNSt15iterator_traitsISK_E10value_typeET2_T3_PNSL_ISQ_E10value_typeET4_jRbjT5_SW_jjP12ihipStream_tbEUlT_E_NS1_11comp_targetILNS1_3genE0ELNS1_11target_archE4294967295ELNS1_3gpuE0ELNS1_3repE0EEENS1_30default_config_static_selectorELNS0_4arch9wavefront6targetE0EEEvSK_,comdat
	.globl	_ZN7rocprim17ROCPRIM_400000_NS6detail17trampoline_kernelINS0_14default_configENS1_36segmented_radix_sort_config_selectorIdlEEZNS1_25segmented_radix_sort_implIS3_Lb0EPKdPdPKlPlN2at6native12_GLOBAL__N_18offset_tEEE10hipError_tPvRmT1_PNSt15iterator_traitsISK_E10value_typeET2_T3_PNSL_ISQ_E10value_typeET4_jRbjT5_SW_jjP12ihipStream_tbEUlT_E_NS1_11comp_targetILNS1_3genE0ELNS1_11target_archE4294967295ELNS1_3gpuE0ELNS1_3repE0EEENS1_30default_config_static_selectorELNS0_4arch9wavefront6targetE0EEEvSK_ ; -- Begin function _ZN7rocprim17ROCPRIM_400000_NS6detail17trampoline_kernelINS0_14default_configENS1_36segmented_radix_sort_config_selectorIdlEEZNS1_25segmented_radix_sort_implIS3_Lb0EPKdPdPKlPlN2at6native12_GLOBAL__N_18offset_tEEE10hipError_tPvRmT1_PNSt15iterator_traitsISK_E10value_typeET2_T3_PNSL_ISQ_E10value_typeET4_jRbjT5_SW_jjP12ihipStream_tbEUlT_E_NS1_11comp_targetILNS1_3genE0ELNS1_11target_archE4294967295ELNS1_3gpuE0ELNS1_3repE0EEENS1_30default_config_static_selectorELNS0_4arch9wavefront6targetE0EEEvSK_
	.p2align	8
	.type	_ZN7rocprim17ROCPRIM_400000_NS6detail17trampoline_kernelINS0_14default_configENS1_36segmented_radix_sort_config_selectorIdlEEZNS1_25segmented_radix_sort_implIS3_Lb0EPKdPdPKlPlN2at6native12_GLOBAL__N_18offset_tEEE10hipError_tPvRmT1_PNSt15iterator_traitsISK_E10value_typeET2_T3_PNSL_ISQ_E10value_typeET4_jRbjT5_SW_jjP12ihipStream_tbEUlT_E_NS1_11comp_targetILNS1_3genE0ELNS1_11target_archE4294967295ELNS1_3gpuE0ELNS1_3repE0EEENS1_30default_config_static_selectorELNS0_4arch9wavefront6targetE0EEEvSK_,@function
_ZN7rocprim17ROCPRIM_400000_NS6detail17trampoline_kernelINS0_14default_configENS1_36segmented_radix_sort_config_selectorIdlEEZNS1_25segmented_radix_sort_implIS3_Lb0EPKdPdPKlPlN2at6native12_GLOBAL__N_18offset_tEEE10hipError_tPvRmT1_PNSt15iterator_traitsISK_E10value_typeET2_T3_PNSL_ISQ_E10value_typeET4_jRbjT5_SW_jjP12ihipStream_tbEUlT_E_NS1_11comp_targetILNS1_3genE0ELNS1_11target_archE4294967295ELNS1_3gpuE0ELNS1_3repE0EEENS1_30default_config_static_selectorELNS0_4arch9wavefront6targetE0EEEvSK_: ; @_ZN7rocprim17ROCPRIM_400000_NS6detail17trampoline_kernelINS0_14default_configENS1_36segmented_radix_sort_config_selectorIdlEEZNS1_25segmented_radix_sort_implIS3_Lb0EPKdPdPKlPlN2at6native12_GLOBAL__N_18offset_tEEE10hipError_tPvRmT1_PNSt15iterator_traitsISK_E10value_typeET2_T3_PNSL_ISQ_E10value_typeET4_jRbjT5_SW_jjP12ihipStream_tbEUlT_E_NS1_11comp_targetILNS1_3genE0ELNS1_11target_archE4294967295ELNS1_3gpuE0ELNS1_3repE0EEENS1_30default_config_static_selectorELNS0_4arch9wavefront6targetE0EEEvSK_
; %bb.0:
	s_load_b64 s[8:9], s[2:3], 0x38
	s_bfe_u32 s4, ttmp6, 0x4000c
	s_and_b32 s5, ttmp6, 15
	s_add_co_i32 s4, s4, 1
	s_getreg_b32 s29, hwreg(HW_REG_IB_STS2, 6, 4)
	s_mul_i32 s4, ttmp9, s4
	s_mov_b32 s32, 0
	s_add_co_i32 s5, s5, s4
	s_cmp_eq_u32 s29, 0
	s_cselect_b32 s33, ttmp9, s5
	s_load_b128 s[4:7], s[2:3], 0x40
	s_wait_kmcnt 0x0
	s_load_b32 s10, s[8:9], s33 offset:0x0 scale_offset
	s_wait_kmcnt 0x0
	s_add_co_i32 s51, s10, s7
	s_add_co_i32 s56, s10, s5
	s_mul_i32 s51, s51, s6
	s_mul_i32 s56, s56, s4
	s_delay_alu instid0(SALU_CYCLE_1)
	s_cmp_le_u32 s51, s56
	s_cbranch_scc1 .LBB1216_1182
; %bb.1:
	s_clause 0x3
	s_load_b32 s4, s[2:3], 0x30
	s_load_b128 s[44:47], s[2:3], 0x20
	s_load_b96 s[48:50], s[2:3], 0x50
	s_load_b256 s[36:43], s[2:3], 0x0
	s_wait_kmcnt 0x0
	s_bitcmp1_b32 s4, 0
	s_mov_b32 s4, -1
	s_cselect_b32 s57, -1, 0
	s_sub_co_i32 s58, s51, s56
	s_delay_alu instid0(SALU_CYCLE_1)
	s_cmp_lt_u32 s58, 0x1001
	s_cbranch_scc0 .LBB1216_7
; %bb.2:
	v_cndmask_b32_e64 v1, 0, 1, s57
	s_and_b32 s4, s48, 1
	s_get_pc_i64 s[34:35]
	s_add_nc_u64 s[34:35], s[34:35], _ZN7rocprim17ROCPRIM_400000_NS6detail40segmented_radix_sort_single_block_helperIdlLj256ELj16ELb0EE4sortIPKdPdPKlPlEEbT_T0_T1_T2_jjjjRNS3_12storage_typeE@rel64+4
	s_delay_alu instid0(VALU_DEP_1)
	v_cmp_ne_u32_e32 vcc_lo, s4, v1
	s_mov_b32 s4, -1
	s_cbranch_vccnz .LBB1216_4
; %bb.3:
	s_mov_b64 s[4:5], src_shared_base
	v_dual_mov_b32 v31, v0 :: v_dual_mov_b32 v40, v0
	v_dual_mov_b32 v0, s36 :: v_dual_mov_b32 v1, s37
	;; [unrolled: 1-line block ×8, first 2 shown]
	s_add_nc_u64 s[8:9], s[2:3], 0x60
	s_mov_b64 s[6:7], s[0:1]
	s_mov_b64 s[52:53], s[2:3]
	s_mov_b64 s[54:55], s[0:1]
	s_swap_pc_i64 s[30:31], s[34:35]
	v_mov_b32_e32 v0, v40
	s_mov_b64 s[0:1], s[54:55]
	s_mov_b64 s[2:3], s[52:53]
	s_mov_b32 s4, 0
.LBB1216_4:
	s_delay_alu instid0(SALU_CYCLE_1)
	s_and_not1_b32 vcc_lo, exec_lo, s4
	s_cbranch_vccnz .LBB1216_6
; %bb.5:
	s_mov_b64 s[4:5], src_shared_base
	v_dual_mov_b32 v31, v0 :: v_dual_mov_b32 v40, v0
	v_dual_mov_b32 v0, s36 :: v_dual_mov_b32 v1, s37
	;; [unrolled: 1-line block ×8, first 2 shown]
	s_add_nc_u64 s[8:9], s[2:3], 0x60
	s_mov_b64 s[6:7], s[0:1]
	s_mov_b64 s[52:53], s[2:3]
	s_swap_pc_i64 s[30:31], s[34:35]
	v_mov_b32_e32 v0, v40
	s_mov_b64 s[2:3], s[52:53]
.LBB1216_6:
	s_mov_b32 s4, 0
.LBB1216_7:
	s_delay_alu instid0(SALU_CYCLE_1)
	s_and_not1_b32 vcc_lo, exec_lo, s4
	s_cbranch_vccnz .LBB1216_1182
; %bb.8:
	s_cmp_ge_u32 s49, s50
	s_cbranch_scc1 .LBB1216_1182
; %bb.9:
	v_and_b32_e32 v2, 0x3ff, v0
	v_dual_mov_b32 v5, 0 :: v_dual_bitop2_b32 v1, 3, v0 bitop3:0x40
	v_lshrrev_b32_e32 v8, 3, v0
	v_mbcnt_lo_u32_b32 v124, -1, 0
	s_delay_alu instid0(VALU_DEP_4) | instskip(NEXT) | instid1(VALU_DEP_4)
	v_dual_lshlrev_b32 v3, 2, v2 :: v_dual_lshlrev_b32 v4, 3, v2
	v_dual_lshlrev_b32 v113, 2, v1 :: v_dual_bitop2_b32 v1, 31, v2 bitop3:0x54
	s_delay_alu instid0(VALU_DEP_4) | instskip(NEXT) | instid1(VALU_DEP_3)
	v_dual_lshlrev_b32 v8, 4, v2 :: v_dual_bitop2_b32 v114, 28, v8 bitop3:0x40
	v_mad_u32_u24 v115, v2, 12, v3
	v_mov_b32_e32 v21, v5
	s_delay_alu instid0(VALU_DEP_4)
	v_cmp_eq_u32_e64 s1, v2, v1
	v_lshlrev_b32_e32 v1, 5, v2
	v_and_b32_e32 v22, 0xe00, v8
	v_mad_u32_u24 v120, v2, 20, v115
	v_add_nc_u32_e32 v118, 0x83fc, v114
	s_bfe_u32 s6, ttmp6, 0x40010
	v_add_nc_u64_e32 v[6:7], s[40:41], v[4:5]
	s_delay_alu instid0(VALU_DEP_3)
	v_dual_lshlrev_b32 v20, 3, v22 :: v_dual_sub_nc_u32 v122, v120, v1
	v_or_b32_e32 v129, v124, v22
	s_add_co_i32 s6, s6, 1
	v_bfe_u32 v119, v0, 20, 10
	s_mul_i32 s6, ttmp7, s6
	s_bfe_u32 s7, ttmp6, 0x40004
	v_bfe_u32 v121, v0, 10, 10
	v_add_nc_u64_e32 v[0:1], s[46:47], v[20:21]
	v_add_nc_u64_e32 v[8:9], s[40:41], v[20:21]
	;; [unrolled: 1-line block ×8, first 2 shown]
	v_or_b32_e32 v98, 0x100, v2
	v_or_b32_e32 v99, 0x200, v2
	v_or_b32_e32 v100, 0x300, v2
	v_or_b32_e32 v101, 0x400, v2
	v_or_b32_e32 v102, 0x500, v2
	v_or_b32_e32 v103, 0x600, v2
	v_or_b32_e32 v104, 0x700, v2
	v_or_b32_e32 v105, 0x800, v2
	v_or_b32_e32 v106, 0x900, v2
	v_or_b32_e32 v107, 0xa00, v2
	v_or_b32_e32 v108, 0xb00, v2
	v_or_b32_e32 v109, 0xc00, v2
	v_or_b32_e32 v110, 0xd00, v2
	v_or_b32_e32 v111, 0xe00, v2
	v_or_b32_e32 v112, 0xf00, v2
	v_cmp_gt_u32_e64 s0, 0x100, v2
	v_or_b32_e32 v116, 0x8400, v114
	v_cmp_gt_u32_e64 s4, 8, v2
	v_add_nc_u32_e32 v117, 0x8400, v3
	v_cmp_lt_u32_e64 s5, 31, v2
	s_add_nc_u64 s[52:53], s[2:3], 0x60
	s_add_co_i32 s7, s7, s6
	v_cmp_eq_u32_e64 s2, 0, v2
	v_cmp_ne_u32_e64 s3, 0xff, v2
	v_dual_add_nc_u32 v123, v122, v3 :: v_dual_mov_b32 v125, 1
	v_dual_lshlrev_b32 v4, 3, v124 :: v_dual_bitop2_b32 v126, 15, v124 bitop3:0x40
	v_bfe_i32 v127, v124, 4, 1
	v_and_b32_e32 v128, 16, v124
	v_and_b32_e32 v130, 7, v124
	v_sub_co_u32 v131, s6, v124, 1
	v_or_b32_e32 v132, 32, v129
	v_or_b32_e32 v133, 64, v129
	;; [unrolled: 1-line block ×15, first 2 shown]
	s_cmp_eq_u32 s29, 0
	s_mov_b32 s35, 0
	s_mov_b64 s[42:43], 0x7fffffffffffffff
	s_cselect_b32 s31, ttmp7, s7
	s_mov_b32 s48, s49
	s_mov_b32 s54, s49
	s_branch .LBB1216_12
.LBB1216_10:                            ;   in Loop: Header=BB1216_12 Depth=1
	s_wait_dscnt 0x0
	s_barrier_signal -1
	s_barrier_wait -1
.LBB1216_11:                            ;   in Loop: Header=BB1216_12 Depth=1
	s_add_co_i32 s54, s54, 8
	s_delay_alu instid0(SALU_CYCLE_1)
	s_cmp_ge_u32 s54, s50
	s_cbranch_scc1 .LBB1216_1182
.LBB1216_12:                            ; =>This Loop Header: Depth=1
                                        ;     Child Loop BB1216_16 Depth 2
                                        ;     Child Loop BB1216_96 Depth 2
	;; [unrolled: 1-line block ×8, first 2 shown]
	s_sub_co_i32 s7, s50, s54
	s_xor_b32 s57, s57, -1
	s_min_u32 s55, s7, 8
	s_cmp_lg_u32 s54, s49
	s_mov_b32 s7, -1
	ds_store_2addr_stride64_b32 v3, v5, v5 offset1:4
	ds_store_2addr_stride64_b32 v3, v5, v5 offset0:8 offset1:12
	s_wait_storecnt_dscnt 0x0
	s_cbranch_scc0 .LBB1216_598
; %bb.13:                               ;   in Loop: Header=BB1216_12 Depth=1
	s_lshl_b32 s7, -1, s55
	s_and_b32 vcc_lo, exec_lo, s57
	s_not_b32 s59, s7
	s_mov_b32 s7, -1
	s_cbranch_vccz .LBB1216_305
; %bb.14:                               ;   in Loop: Header=BB1216_12 Depth=1
	s_mov_b32 s7, s58
	s_mov_b32 s34, s56
	s_barrier_signal -1
	s_barrier_wait -1
                                        ; implicit-def: $vgpr22_vgpr23
                                        ; implicit-def: $vgpr24_vgpr25
                                        ; implicit-def: $vgpr26_vgpr27
                                        ; implicit-def: $vgpr28_vgpr29
                                        ; implicit-def: $vgpr30_vgpr31
                                        ; implicit-def: $vgpr32_vgpr33
                                        ; implicit-def: $vgpr34_vgpr35
                                        ; implicit-def: $vgpr36_vgpr37
                                        ; implicit-def: $vgpr38_vgpr39
                                        ; implicit-def: $vgpr40_vgpr41
                                        ; implicit-def: $vgpr42_vgpr43
                                        ; implicit-def: $vgpr44_vgpr45
                                        ; implicit-def: $vgpr46_vgpr47
                                        ; implicit-def: $vgpr48_vgpr49
                                        ; implicit-def: $vgpr50_vgpr51
                                        ; implicit-def: $vgpr52_vgpr53
	s_branch .LBB1216_16
.LBB1216_15:                            ;   in Loop: Header=BB1216_16 Depth=2
	s_or_b32 exec_lo, exec_lo, s8
	s_addk_co_i32 s7, 0xf000
	s_cmp_ge_u32 s10, s51
	s_mov_b32 s34, s10
	s_cbranch_scc1 .LBB1216_84
.LBB1216_16:                            ;   Parent Loop BB1216_12 Depth=1
                                        ; =>  This Inner Loop Header: Depth=2
	s_add_co_i32 s10, s34, 0x1000
	s_mov_b32 s8, -1
	s_cmp_gt_u32 s10, s51
                                        ; implicit-def: $vgpr54_vgpr55
                                        ; implicit-def: $vgpr56_vgpr57
                                        ; implicit-def: $vgpr58_vgpr59
                                        ; implicit-def: $vgpr60_vgpr61
                                        ; implicit-def: $vgpr62_vgpr63
                                        ; implicit-def: $vgpr64_vgpr65
                                        ; implicit-def: $vgpr66_vgpr67
                                        ; implicit-def: $vgpr68_vgpr69
                                        ; implicit-def: $vgpr70_vgpr71
                                        ; implicit-def: $vgpr72_vgpr73
                                        ; implicit-def: $vgpr74_vgpr75
                                        ; implicit-def: $vgpr76_vgpr77
                                        ; implicit-def: $vgpr78_vgpr79
                                        ; implicit-def: $vgpr80_vgpr81
                                        ; implicit-def: $vgpr82_vgpr83
                                        ; implicit-def: $vgpr84_vgpr85
	s_cbranch_scc1 .LBB1216_18
; %bb.17:                               ;   in Loop: Header=BB1216_16 Depth=2
	v_lshl_add_u64 v[84:85], s[34:35], 3, v[6:7]
	s_mov_b32 s8, 0
	s_clause 0xf
	global_load_b64 v[54:55], v[84:85], off
	global_load_b64 v[56:57], v[84:85], off offset:2048
	global_load_b64 v[58:59], v[84:85], off offset:4096
	;; [unrolled: 1-line block ×15, first 2 shown]
.LBB1216_18:                            ;   in Loop: Header=BB1216_16 Depth=2
	s_and_not1_b32 vcc_lo, exec_lo, s8
	s_movk_i32 s8, 0x1000
	s_cbranch_vccnz .LBB1216_37
; %bb.19:                               ;   in Loop: Header=BB1216_16 Depth=2
	s_lshl_b64 s[8:9], s[34:35], 3
	s_mov_b32 s11, exec_lo
	s_add_nc_u64 s[8:9], s[40:41], s[8:9]
	s_wait_xcnt 0x0
	v_cmpx_gt_u32_e64 s7, v2
	s_cbranch_execnz .LBB1216_69
; %bb.20:                               ;   in Loop: Header=BB1216_16 Depth=2
	s_or_b32 exec_lo, exec_lo, s11
	s_delay_alu instid0(SALU_CYCLE_1)
	s_mov_b32 s11, exec_lo
	v_cmpx_gt_u32_e64 s7, v98
	s_cbranch_execnz .LBB1216_70
.LBB1216_21:                            ;   in Loop: Header=BB1216_16 Depth=2
	s_or_b32 exec_lo, exec_lo, s11
	s_delay_alu instid0(SALU_CYCLE_1)
	s_mov_b32 s11, exec_lo
	v_cmpx_gt_u32_e64 s7, v99
	s_cbranch_execnz .LBB1216_71
.LBB1216_22:                            ;   in Loop: Header=BB1216_16 Depth=2
	s_or_b32 exec_lo, exec_lo, s11
	s_delay_alu instid0(SALU_CYCLE_1)
	s_mov_b32 s11, exec_lo
	v_cmpx_gt_u32_e64 s7, v100
	s_cbranch_execnz .LBB1216_72
.LBB1216_23:                            ;   in Loop: Header=BB1216_16 Depth=2
	s_or_b32 exec_lo, exec_lo, s11
	s_delay_alu instid0(SALU_CYCLE_1)
	s_mov_b32 s11, exec_lo
	v_cmpx_gt_u32_e64 s7, v101
	s_cbranch_execnz .LBB1216_73
.LBB1216_24:                            ;   in Loop: Header=BB1216_16 Depth=2
	s_or_b32 exec_lo, exec_lo, s11
	s_delay_alu instid0(SALU_CYCLE_1)
	s_mov_b32 s11, exec_lo
	v_cmpx_gt_u32_e64 s7, v102
	s_cbranch_execnz .LBB1216_74
.LBB1216_25:                            ;   in Loop: Header=BB1216_16 Depth=2
	s_or_b32 exec_lo, exec_lo, s11
	s_delay_alu instid0(SALU_CYCLE_1)
	s_mov_b32 s11, exec_lo
	v_cmpx_gt_u32_e64 s7, v103
	s_cbranch_execnz .LBB1216_75
.LBB1216_26:                            ;   in Loop: Header=BB1216_16 Depth=2
	s_or_b32 exec_lo, exec_lo, s11
	s_delay_alu instid0(SALU_CYCLE_1)
	s_mov_b32 s11, exec_lo
	v_cmpx_gt_u32_e64 s7, v104
	s_cbranch_execnz .LBB1216_76
.LBB1216_27:                            ;   in Loop: Header=BB1216_16 Depth=2
	s_or_b32 exec_lo, exec_lo, s11
	s_delay_alu instid0(SALU_CYCLE_1)
	s_mov_b32 s11, exec_lo
	v_cmpx_gt_u32_e64 s7, v105
	s_cbranch_execnz .LBB1216_77
.LBB1216_28:                            ;   in Loop: Header=BB1216_16 Depth=2
	s_or_b32 exec_lo, exec_lo, s11
	s_delay_alu instid0(SALU_CYCLE_1)
	s_mov_b32 s11, exec_lo
	v_cmpx_gt_u32_e64 s7, v106
	s_cbranch_execnz .LBB1216_78
.LBB1216_29:                            ;   in Loop: Header=BB1216_16 Depth=2
	s_or_b32 exec_lo, exec_lo, s11
	s_delay_alu instid0(SALU_CYCLE_1)
	s_mov_b32 s11, exec_lo
	v_cmpx_gt_u32_e64 s7, v107
	s_cbranch_execnz .LBB1216_79
.LBB1216_30:                            ;   in Loop: Header=BB1216_16 Depth=2
	s_or_b32 exec_lo, exec_lo, s11
	s_delay_alu instid0(SALU_CYCLE_1)
	s_mov_b32 s11, exec_lo
	v_cmpx_gt_u32_e64 s7, v108
	s_cbranch_execnz .LBB1216_80
.LBB1216_31:                            ;   in Loop: Header=BB1216_16 Depth=2
	s_or_b32 exec_lo, exec_lo, s11
	s_delay_alu instid0(SALU_CYCLE_1)
	s_mov_b32 s11, exec_lo
	v_cmpx_gt_u32_e64 s7, v109
	s_cbranch_execnz .LBB1216_81
.LBB1216_32:                            ;   in Loop: Header=BB1216_16 Depth=2
	s_or_b32 exec_lo, exec_lo, s11
	s_delay_alu instid0(SALU_CYCLE_1)
	s_mov_b32 s11, exec_lo
	v_cmpx_gt_u32_e64 s7, v110
	s_cbranch_execnz .LBB1216_82
.LBB1216_33:                            ;   in Loop: Header=BB1216_16 Depth=2
	s_or_b32 exec_lo, exec_lo, s11
	s_delay_alu instid0(SALU_CYCLE_1)
	s_mov_b32 s11, exec_lo
	v_cmpx_gt_u32_e64 s7, v111
	s_cbranch_execnz .LBB1216_83
.LBB1216_34:                            ;   in Loop: Header=BB1216_16 Depth=2
	s_or_b32 exec_lo, exec_lo, s11
	s_delay_alu instid0(SALU_CYCLE_1)
	s_mov_b32 s11, exec_lo
	v_cmpx_gt_u32_e64 s7, v112
	s_cbranch_execz .LBB1216_36
.LBB1216_35:                            ;   in Loop: Header=BB1216_16 Depth=2
	global_load_b64 v[22:23], v2, s[8:9] offset:30720 scale_offset
.LBB1216_36:                            ;   in Loop: Header=BB1216_16 Depth=2
	s_wait_xcnt 0x0
	s_or_b32 exec_lo, exec_lo, s11
	s_wait_loadcnt 0x0
	v_mov_b64_e32 v[54:55], v[52:53]
	v_mov_b64_e32 v[56:57], v[50:51]
	;; [unrolled: 1-line block ×16, first 2 shown]
	s_mov_b32 s8, s7
.LBB1216_37:                            ;   in Loop: Header=BB1216_16 Depth=2
	s_wait_loadcnt 0x0
	s_delay_alu instid0(VALU_DEP_1) | instskip(NEXT) | instid1(VALU_DEP_3)
	v_mov_b64_e32 v[22:23], v[84:85]
	v_mov_b64_e32 v[24:25], v[82:83]
	;; [unrolled: 1-line block ×16, first 2 shown]
	s_mov_b32 s9, exec_lo
	s_wait_xcnt 0x0
	v_cmpx_gt_u32_e64 s8, v2
	s_cbranch_execnz .LBB1216_53
; %bb.38:                               ;   in Loop: Header=BB1216_16 Depth=2
	s_or_b32 exec_lo, exec_lo, s9
	s_delay_alu instid0(SALU_CYCLE_1)
	s_mov_b32 s9, exec_lo
	v_cmpx_gt_u32_e64 s8, v98
	s_cbranch_execnz .LBB1216_54
.LBB1216_39:                            ;   in Loop: Header=BB1216_16 Depth=2
	s_or_b32 exec_lo, exec_lo, s9
	s_delay_alu instid0(SALU_CYCLE_1)
	s_mov_b32 s9, exec_lo
	v_cmpx_gt_u32_e64 s8, v99
	s_cbranch_execnz .LBB1216_55
.LBB1216_40:                            ;   in Loop: Header=BB1216_16 Depth=2
	s_or_b32 exec_lo, exec_lo, s9
	s_delay_alu instid0(SALU_CYCLE_1)
	s_mov_b32 s9, exec_lo
	v_cmpx_gt_u32_e64 s8, v100
	s_cbranch_execnz .LBB1216_56
.LBB1216_41:                            ;   in Loop: Header=BB1216_16 Depth=2
	s_or_b32 exec_lo, exec_lo, s9
	s_delay_alu instid0(SALU_CYCLE_1)
	s_mov_b32 s9, exec_lo
	v_cmpx_gt_u32_e64 s8, v101
	s_cbranch_execnz .LBB1216_57
.LBB1216_42:                            ;   in Loop: Header=BB1216_16 Depth=2
	s_or_b32 exec_lo, exec_lo, s9
	s_delay_alu instid0(SALU_CYCLE_1)
	s_mov_b32 s9, exec_lo
	v_cmpx_gt_u32_e64 s8, v102
	s_cbranch_execnz .LBB1216_58
.LBB1216_43:                            ;   in Loop: Header=BB1216_16 Depth=2
	s_or_b32 exec_lo, exec_lo, s9
	s_delay_alu instid0(SALU_CYCLE_1)
	s_mov_b32 s9, exec_lo
	v_cmpx_gt_u32_e64 s8, v103
	s_cbranch_execnz .LBB1216_59
.LBB1216_44:                            ;   in Loop: Header=BB1216_16 Depth=2
	s_or_b32 exec_lo, exec_lo, s9
	s_delay_alu instid0(SALU_CYCLE_1)
	s_mov_b32 s9, exec_lo
	v_cmpx_gt_u32_e64 s8, v104
	s_cbranch_execnz .LBB1216_60
.LBB1216_45:                            ;   in Loop: Header=BB1216_16 Depth=2
	s_or_b32 exec_lo, exec_lo, s9
	s_delay_alu instid0(SALU_CYCLE_1)
	s_mov_b32 s9, exec_lo
	v_cmpx_gt_u32_e64 s8, v105
	s_cbranch_execnz .LBB1216_61
.LBB1216_46:                            ;   in Loop: Header=BB1216_16 Depth=2
	s_or_b32 exec_lo, exec_lo, s9
	s_delay_alu instid0(SALU_CYCLE_1)
	s_mov_b32 s9, exec_lo
	v_cmpx_gt_u32_e64 s8, v106
	s_cbranch_execnz .LBB1216_62
.LBB1216_47:                            ;   in Loop: Header=BB1216_16 Depth=2
	s_or_b32 exec_lo, exec_lo, s9
	s_delay_alu instid0(SALU_CYCLE_1)
	s_mov_b32 s9, exec_lo
	v_cmpx_gt_u32_e64 s8, v107
	s_cbranch_execnz .LBB1216_63
.LBB1216_48:                            ;   in Loop: Header=BB1216_16 Depth=2
	s_or_b32 exec_lo, exec_lo, s9
	s_delay_alu instid0(SALU_CYCLE_1)
	s_mov_b32 s9, exec_lo
	v_cmpx_gt_u32_e64 s8, v108
	s_cbranch_execnz .LBB1216_64
.LBB1216_49:                            ;   in Loop: Header=BB1216_16 Depth=2
	s_or_b32 exec_lo, exec_lo, s9
	s_delay_alu instid0(SALU_CYCLE_1)
	s_mov_b32 s9, exec_lo
	v_cmpx_gt_u32_e64 s8, v109
	s_cbranch_execnz .LBB1216_65
.LBB1216_50:                            ;   in Loop: Header=BB1216_16 Depth=2
	s_or_b32 exec_lo, exec_lo, s9
	s_delay_alu instid0(SALU_CYCLE_1)
	s_mov_b32 s9, exec_lo
	v_cmpx_gt_u32_e64 s8, v110
	s_cbranch_execnz .LBB1216_66
.LBB1216_51:                            ;   in Loop: Header=BB1216_16 Depth=2
	s_or_b32 exec_lo, exec_lo, s9
	s_delay_alu instid0(SALU_CYCLE_1)
	s_mov_b32 s9, exec_lo
	v_cmpx_gt_u32_e64 s8, v111
	s_cbranch_execnz .LBB1216_67
.LBB1216_52:                            ;   in Loop: Header=BB1216_16 Depth=2
	s_or_b32 exec_lo, exec_lo, s9
	v_cmp_gt_u32_e32 vcc_lo, s8, v112
	s_and_saveexec_b32 s8, vcc_lo
	s_cbranch_execz .LBB1216_15
	s_branch .LBB1216_68
.LBB1216_53:                            ;   in Loop: Header=BB1216_16 Depth=2
	s_delay_alu instid0(VALU_DEP_2) | instskip(SKIP_1) | instid1(VALU_DEP_1)
	v_cmp_lt_i64_e32 vcc_lo, -1, v[52:53]
	v_cndmask_b32_e64 v54, -1, 0x80000000, vcc_lo
	v_dual_ashrrev_i32 v56, 31, v53 :: v_dual_bitop2_b32 v55, v54, v53 bitop3:0x14
	s_delay_alu instid0(VALU_DEP_1) | instskip(NEXT) | instid1(VALU_DEP_1)
	v_xor_b32_e32 v54, v56, v52
	v_cmp_ne_u64_e32 vcc_lo, s[42:43], v[54:55]
	v_cndmask_b32_e32 v55, 0x80000000, v55, vcc_lo
	v_cndmask_b32_e32 v54, 0, v54, vcc_lo
	s_delay_alu instid0(VALU_DEP_1) | instskip(NEXT) | instid1(VALU_DEP_1)
	v_lshrrev_b64 v[54:55], s54, v[54:55]
	v_and_b32_e32 v54, s59, v54
	s_delay_alu instid0(VALU_DEP_1) | instskip(SKIP_2) | instid1(SALU_CYCLE_1)
	v_lshl_or_b32 v54, v54, 4, v113
	ds_add_u32 v54, v125
	s_or_b32 exec_lo, exec_lo, s9
	s_mov_b32 s9, exec_lo
	v_cmpx_gt_u32_e64 s8, v98
	s_cbranch_execz .LBB1216_39
.LBB1216_54:                            ;   in Loop: Header=BB1216_16 Depth=2
	v_cmp_lt_i64_e32 vcc_lo, -1, v[50:51]
	v_cndmask_b32_e64 v54, -1, 0x80000000, vcc_lo
	s_delay_alu instid0(VALU_DEP_1) | instskip(NEXT) | instid1(VALU_DEP_1)
	v_dual_ashrrev_i32 v56, 31, v51 :: v_dual_bitop2_b32 v55, v54, v51 bitop3:0x14
	v_xor_b32_e32 v54, v56, v50
	s_delay_alu instid0(VALU_DEP_1) | instskip(SKIP_2) | instid1(VALU_DEP_1)
	v_cmp_ne_u64_e32 vcc_lo, s[42:43], v[54:55]
	v_cndmask_b32_e32 v55, 0x80000000, v55, vcc_lo
	v_cndmask_b32_e32 v54, 0, v54, vcc_lo
	v_lshrrev_b64 v[54:55], s54, v[54:55]
	s_delay_alu instid0(VALU_DEP_1) | instskip(NEXT) | instid1(VALU_DEP_1)
	v_and_b32_e32 v54, s59, v54
	v_lshl_or_b32 v54, v54, 4, v113
	ds_add_u32 v54, v125
	s_or_b32 exec_lo, exec_lo, s9
	s_delay_alu instid0(SALU_CYCLE_1)
	s_mov_b32 s9, exec_lo
	v_cmpx_gt_u32_e64 s8, v99
	s_cbranch_execz .LBB1216_40
.LBB1216_55:                            ;   in Loop: Header=BB1216_16 Depth=2
	v_cmp_lt_i64_e32 vcc_lo, -1, v[48:49]
	v_cndmask_b32_e64 v54, -1, 0x80000000, vcc_lo
	s_delay_alu instid0(VALU_DEP_1) | instskip(NEXT) | instid1(VALU_DEP_1)
	v_dual_ashrrev_i32 v56, 31, v49 :: v_dual_bitop2_b32 v55, v54, v49 bitop3:0x14
	v_xor_b32_e32 v54, v56, v48
	s_delay_alu instid0(VALU_DEP_1) | instskip(SKIP_2) | instid1(VALU_DEP_1)
	v_cmp_ne_u64_e32 vcc_lo, s[42:43], v[54:55]
	v_cndmask_b32_e32 v55, 0x80000000, v55, vcc_lo
	v_cndmask_b32_e32 v54, 0, v54, vcc_lo
	v_lshrrev_b64 v[54:55], s54, v[54:55]
	s_delay_alu instid0(VALU_DEP_1) | instskip(NEXT) | instid1(VALU_DEP_1)
	v_and_b32_e32 v54, s59, v54
	v_lshl_or_b32 v54, v54, 4, v113
	ds_add_u32 v54, v125
	s_or_b32 exec_lo, exec_lo, s9
	s_delay_alu instid0(SALU_CYCLE_1)
	s_mov_b32 s9, exec_lo
	v_cmpx_gt_u32_e64 s8, v100
	s_cbranch_execz .LBB1216_41
.LBB1216_56:                            ;   in Loop: Header=BB1216_16 Depth=2
	v_cmp_lt_i64_e32 vcc_lo, -1, v[46:47]
	v_cndmask_b32_e64 v54, -1, 0x80000000, vcc_lo
	s_delay_alu instid0(VALU_DEP_1) | instskip(NEXT) | instid1(VALU_DEP_1)
	v_dual_ashrrev_i32 v56, 31, v47 :: v_dual_bitop2_b32 v55, v54, v47 bitop3:0x14
	v_xor_b32_e32 v54, v56, v46
	s_delay_alu instid0(VALU_DEP_1) | instskip(SKIP_2) | instid1(VALU_DEP_1)
	v_cmp_ne_u64_e32 vcc_lo, s[42:43], v[54:55]
	v_cndmask_b32_e32 v55, 0x80000000, v55, vcc_lo
	v_cndmask_b32_e32 v54, 0, v54, vcc_lo
	v_lshrrev_b64 v[54:55], s54, v[54:55]
	s_delay_alu instid0(VALU_DEP_1) | instskip(NEXT) | instid1(VALU_DEP_1)
	v_and_b32_e32 v54, s59, v54
	v_lshl_or_b32 v54, v54, 4, v113
	ds_add_u32 v54, v125
	s_or_b32 exec_lo, exec_lo, s9
	s_delay_alu instid0(SALU_CYCLE_1)
	s_mov_b32 s9, exec_lo
	v_cmpx_gt_u32_e64 s8, v101
	s_cbranch_execz .LBB1216_42
.LBB1216_57:                            ;   in Loop: Header=BB1216_16 Depth=2
	v_cmp_lt_i64_e32 vcc_lo, -1, v[44:45]
	v_cndmask_b32_e64 v54, -1, 0x80000000, vcc_lo
	s_delay_alu instid0(VALU_DEP_1) | instskip(NEXT) | instid1(VALU_DEP_1)
	v_dual_ashrrev_i32 v56, 31, v45 :: v_dual_bitop2_b32 v55, v54, v45 bitop3:0x14
	v_xor_b32_e32 v54, v56, v44
	s_delay_alu instid0(VALU_DEP_1) | instskip(SKIP_2) | instid1(VALU_DEP_1)
	v_cmp_ne_u64_e32 vcc_lo, s[42:43], v[54:55]
	v_cndmask_b32_e32 v55, 0x80000000, v55, vcc_lo
	v_cndmask_b32_e32 v54, 0, v54, vcc_lo
	v_lshrrev_b64 v[54:55], s54, v[54:55]
	s_delay_alu instid0(VALU_DEP_1) | instskip(NEXT) | instid1(VALU_DEP_1)
	v_and_b32_e32 v54, s59, v54
	v_lshl_or_b32 v54, v54, 4, v113
	ds_add_u32 v54, v125
	s_or_b32 exec_lo, exec_lo, s9
	s_delay_alu instid0(SALU_CYCLE_1)
	s_mov_b32 s9, exec_lo
	v_cmpx_gt_u32_e64 s8, v102
	s_cbranch_execz .LBB1216_43
.LBB1216_58:                            ;   in Loop: Header=BB1216_16 Depth=2
	v_cmp_lt_i64_e32 vcc_lo, -1, v[42:43]
	v_cndmask_b32_e64 v54, -1, 0x80000000, vcc_lo
	s_delay_alu instid0(VALU_DEP_1) | instskip(NEXT) | instid1(VALU_DEP_1)
	v_dual_ashrrev_i32 v56, 31, v43 :: v_dual_bitop2_b32 v55, v54, v43 bitop3:0x14
	v_xor_b32_e32 v54, v56, v42
	s_delay_alu instid0(VALU_DEP_1) | instskip(SKIP_2) | instid1(VALU_DEP_1)
	v_cmp_ne_u64_e32 vcc_lo, s[42:43], v[54:55]
	v_cndmask_b32_e32 v55, 0x80000000, v55, vcc_lo
	v_cndmask_b32_e32 v54, 0, v54, vcc_lo
	v_lshrrev_b64 v[54:55], s54, v[54:55]
	s_delay_alu instid0(VALU_DEP_1) | instskip(NEXT) | instid1(VALU_DEP_1)
	v_and_b32_e32 v54, s59, v54
	v_lshl_or_b32 v54, v54, 4, v113
	ds_add_u32 v54, v125
	s_or_b32 exec_lo, exec_lo, s9
	s_delay_alu instid0(SALU_CYCLE_1)
	s_mov_b32 s9, exec_lo
	v_cmpx_gt_u32_e64 s8, v103
	s_cbranch_execz .LBB1216_44
.LBB1216_59:                            ;   in Loop: Header=BB1216_16 Depth=2
	v_cmp_lt_i64_e32 vcc_lo, -1, v[40:41]
	v_cndmask_b32_e64 v54, -1, 0x80000000, vcc_lo
	s_delay_alu instid0(VALU_DEP_1) | instskip(NEXT) | instid1(VALU_DEP_1)
	v_dual_ashrrev_i32 v56, 31, v41 :: v_dual_bitop2_b32 v55, v54, v41 bitop3:0x14
	v_xor_b32_e32 v54, v56, v40
	s_delay_alu instid0(VALU_DEP_1) | instskip(SKIP_2) | instid1(VALU_DEP_1)
	v_cmp_ne_u64_e32 vcc_lo, s[42:43], v[54:55]
	v_cndmask_b32_e32 v55, 0x80000000, v55, vcc_lo
	v_cndmask_b32_e32 v54, 0, v54, vcc_lo
	v_lshrrev_b64 v[54:55], s54, v[54:55]
	s_delay_alu instid0(VALU_DEP_1) | instskip(NEXT) | instid1(VALU_DEP_1)
	v_and_b32_e32 v54, s59, v54
	v_lshl_or_b32 v54, v54, 4, v113
	ds_add_u32 v54, v125
	s_or_b32 exec_lo, exec_lo, s9
	s_delay_alu instid0(SALU_CYCLE_1)
	s_mov_b32 s9, exec_lo
	v_cmpx_gt_u32_e64 s8, v104
	s_cbranch_execz .LBB1216_45
.LBB1216_60:                            ;   in Loop: Header=BB1216_16 Depth=2
	v_cmp_lt_i64_e32 vcc_lo, -1, v[38:39]
	v_cndmask_b32_e64 v54, -1, 0x80000000, vcc_lo
	s_delay_alu instid0(VALU_DEP_1) | instskip(NEXT) | instid1(VALU_DEP_1)
	v_dual_ashrrev_i32 v56, 31, v39 :: v_dual_bitop2_b32 v55, v54, v39 bitop3:0x14
	v_xor_b32_e32 v54, v56, v38
	s_delay_alu instid0(VALU_DEP_1) | instskip(SKIP_2) | instid1(VALU_DEP_1)
	v_cmp_ne_u64_e32 vcc_lo, s[42:43], v[54:55]
	v_cndmask_b32_e32 v55, 0x80000000, v55, vcc_lo
	v_cndmask_b32_e32 v54, 0, v54, vcc_lo
	v_lshrrev_b64 v[54:55], s54, v[54:55]
	s_delay_alu instid0(VALU_DEP_1) | instskip(NEXT) | instid1(VALU_DEP_1)
	v_and_b32_e32 v54, s59, v54
	v_lshl_or_b32 v54, v54, 4, v113
	ds_add_u32 v54, v125
	s_or_b32 exec_lo, exec_lo, s9
	s_delay_alu instid0(SALU_CYCLE_1)
	s_mov_b32 s9, exec_lo
	v_cmpx_gt_u32_e64 s8, v105
	s_cbranch_execz .LBB1216_46
.LBB1216_61:                            ;   in Loop: Header=BB1216_16 Depth=2
	v_cmp_lt_i64_e32 vcc_lo, -1, v[36:37]
	v_cndmask_b32_e64 v54, -1, 0x80000000, vcc_lo
	s_delay_alu instid0(VALU_DEP_1) | instskip(NEXT) | instid1(VALU_DEP_1)
	v_dual_ashrrev_i32 v56, 31, v37 :: v_dual_bitop2_b32 v55, v54, v37 bitop3:0x14
	v_xor_b32_e32 v54, v56, v36
	s_delay_alu instid0(VALU_DEP_1) | instskip(SKIP_2) | instid1(VALU_DEP_1)
	v_cmp_ne_u64_e32 vcc_lo, s[42:43], v[54:55]
	v_cndmask_b32_e32 v55, 0x80000000, v55, vcc_lo
	v_cndmask_b32_e32 v54, 0, v54, vcc_lo
	v_lshrrev_b64 v[54:55], s54, v[54:55]
	s_delay_alu instid0(VALU_DEP_1) | instskip(NEXT) | instid1(VALU_DEP_1)
	v_and_b32_e32 v54, s59, v54
	v_lshl_or_b32 v54, v54, 4, v113
	ds_add_u32 v54, v125
	s_or_b32 exec_lo, exec_lo, s9
	s_delay_alu instid0(SALU_CYCLE_1)
	s_mov_b32 s9, exec_lo
	v_cmpx_gt_u32_e64 s8, v106
	s_cbranch_execz .LBB1216_47
.LBB1216_62:                            ;   in Loop: Header=BB1216_16 Depth=2
	v_cmp_lt_i64_e32 vcc_lo, -1, v[34:35]
	v_cndmask_b32_e64 v54, -1, 0x80000000, vcc_lo
	s_delay_alu instid0(VALU_DEP_1) | instskip(NEXT) | instid1(VALU_DEP_1)
	v_dual_ashrrev_i32 v56, 31, v35 :: v_dual_bitop2_b32 v55, v54, v35 bitop3:0x14
	v_xor_b32_e32 v54, v56, v34
	s_delay_alu instid0(VALU_DEP_1) | instskip(SKIP_2) | instid1(VALU_DEP_1)
	v_cmp_ne_u64_e32 vcc_lo, s[42:43], v[54:55]
	v_cndmask_b32_e32 v55, 0x80000000, v55, vcc_lo
	v_cndmask_b32_e32 v54, 0, v54, vcc_lo
	v_lshrrev_b64 v[54:55], s54, v[54:55]
	s_delay_alu instid0(VALU_DEP_1) | instskip(NEXT) | instid1(VALU_DEP_1)
	v_and_b32_e32 v54, s59, v54
	v_lshl_or_b32 v54, v54, 4, v113
	ds_add_u32 v54, v125
	s_or_b32 exec_lo, exec_lo, s9
	s_delay_alu instid0(SALU_CYCLE_1)
	s_mov_b32 s9, exec_lo
	v_cmpx_gt_u32_e64 s8, v107
	s_cbranch_execz .LBB1216_48
.LBB1216_63:                            ;   in Loop: Header=BB1216_16 Depth=2
	v_cmp_lt_i64_e32 vcc_lo, -1, v[32:33]
	v_cndmask_b32_e64 v54, -1, 0x80000000, vcc_lo
	s_delay_alu instid0(VALU_DEP_1) | instskip(NEXT) | instid1(VALU_DEP_1)
	v_dual_ashrrev_i32 v56, 31, v33 :: v_dual_bitop2_b32 v55, v54, v33 bitop3:0x14
	v_xor_b32_e32 v54, v56, v32
	s_delay_alu instid0(VALU_DEP_1) | instskip(SKIP_2) | instid1(VALU_DEP_1)
	v_cmp_ne_u64_e32 vcc_lo, s[42:43], v[54:55]
	v_cndmask_b32_e32 v55, 0x80000000, v55, vcc_lo
	v_cndmask_b32_e32 v54, 0, v54, vcc_lo
	v_lshrrev_b64 v[54:55], s54, v[54:55]
	s_delay_alu instid0(VALU_DEP_1) | instskip(NEXT) | instid1(VALU_DEP_1)
	v_and_b32_e32 v54, s59, v54
	v_lshl_or_b32 v54, v54, 4, v113
	ds_add_u32 v54, v125
	s_or_b32 exec_lo, exec_lo, s9
	s_delay_alu instid0(SALU_CYCLE_1)
	s_mov_b32 s9, exec_lo
	v_cmpx_gt_u32_e64 s8, v108
	s_cbranch_execz .LBB1216_49
.LBB1216_64:                            ;   in Loop: Header=BB1216_16 Depth=2
	v_cmp_lt_i64_e32 vcc_lo, -1, v[30:31]
	v_cndmask_b32_e64 v54, -1, 0x80000000, vcc_lo
	s_delay_alu instid0(VALU_DEP_1) | instskip(NEXT) | instid1(VALU_DEP_1)
	v_dual_ashrrev_i32 v56, 31, v31 :: v_dual_bitop2_b32 v55, v54, v31 bitop3:0x14
	v_xor_b32_e32 v54, v56, v30
	s_delay_alu instid0(VALU_DEP_1) | instskip(SKIP_2) | instid1(VALU_DEP_1)
	v_cmp_ne_u64_e32 vcc_lo, s[42:43], v[54:55]
	v_cndmask_b32_e32 v55, 0x80000000, v55, vcc_lo
	v_cndmask_b32_e32 v54, 0, v54, vcc_lo
	v_lshrrev_b64 v[54:55], s54, v[54:55]
	s_delay_alu instid0(VALU_DEP_1) | instskip(NEXT) | instid1(VALU_DEP_1)
	v_and_b32_e32 v54, s59, v54
	v_lshl_or_b32 v54, v54, 4, v113
	ds_add_u32 v54, v125
	s_or_b32 exec_lo, exec_lo, s9
	s_delay_alu instid0(SALU_CYCLE_1)
	s_mov_b32 s9, exec_lo
	v_cmpx_gt_u32_e64 s8, v109
	s_cbranch_execz .LBB1216_50
.LBB1216_65:                            ;   in Loop: Header=BB1216_16 Depth=2
	v_cmp_lt_i64_e32 vcc_lo, -1, v[28:29]
	v_cndmask_b32_e64 v54, -1, 0x80000000, vcc_lo
	s_delay_alu instid0(VALU_DEP_1) | instskip(NEXT) | instid1(VALU_DEP_1)
	v_dual_ashrrev_i32 v56, 31, v29 :: v_dual_bitop2_b32 v55, v54, v29 bitop3:0x14
	v_xor_b32_e32 v54, v56, v28
	s_delay_alu instid0(VALU_DEP_1) | instskip(SKIP_2) | instid1(VALU_DEP_1)
	v_cmp_ne_u64_e32 vcc_lo, s[42:43], v[54:55]
	v_cndmask_b32_e32 v55, 0x80000000, v55, vcc_lo
	v_cndmask_b32_e32 v54, 0, v54, vcc_lo
	v_lshrrev_b64 v[54:55], s54, v[54:55]
	s_delay_alu instid0(VALU_DEP_1) | instskip(NEXT) | instid1(VALU_DEP_1)
	v_and_b32_e32 v54, s59, v54
	v_lshl_or_b32 v54, v54, 4, v113
	ds_add_u32 v54, v125
	s_or_b32 exec_lo, exec_lo, s9
	s_delay_alu instid0(SALU_CYCLE_1)
	s_mov_b32 s9, exec_lo
	v_cmpx_gt_u32_e64 s8, v110
	s_cbranch_execz .LBB1216_51
.LBB1216_66:                            ;   in Loop: Header=BB1216_16 Depth=2
	v_cmp_lt_i64_e32 vcc_lo, -1, v[26:27]
	v_cndmask_b32_e64 v54, -1, 0x80000000, vcc_lo
	s_delay_alu instid0(VALU_DEP_1) | instskip(NEXT) | instid1(VALU_DEP_1)
	v_dual_ashrrev_i32 v56, 31, v27 :: v_dual_bitop2_b32 v55, v54, v27 bitop3:0x14
	v_xor_b32_e32 v54, v56, v26
	s_delay_alu instid0(VALU_DEP_1) | instskip(SKIP_2) | instid1(VALU_DEP_1)
	v_cmp_ne_u64_e32 vcc_lo, s[42:43], v[54:55]
	v_cndmask_b32_e32 v55, 0x80000000, v55, vcc_lo
	v_cndmask_b32_e32 v54, 0, v54, vcc_lo
	v_lshrrev_b64 v[54:55], s54, v[54:55]
	s_delay_alu instid0(VALU_DEP_1) | instskip(NEXT) | instid1(VALU_DEP_1)
	v_and_b32_e32 v54, s59, v54
	v_lshl_or_b32 v54, v54, 4, v113
	ds_add_u32 v54, v125
	s_or_b32 exec_lo, exec_lo, s9
	s_delay_alu instid0(SALU_CYCLE_1)
	s_mov_b32 s9, exec_lo
	v_cmpx_gt_u32_e64 s8, v111
	s_cbranch_execz .LBB1216_52
.LBB1216_67:                            ;   in Loop: Header=BB1216_16 Depth=2
	v_cmp_lt_i64_e32 vcc_lo, -1, v[24:25]
	v_cndmask_b32_e64 v54, -1, 0x80000000, vcc_lo
	s_delay_alu instid0(VALU_DEP_1) | instskip(NEXT) | instid1(VALU_DEP_1)
	v_dual_ashrrev_i32 v56, 31, v25 :: v_dual_bitop2_b32 v55, v54, v25 bitop3:0x14
	v_xor_b32_e32 v54, v56, v24
	s_delay_alu instid0(VALU_DEP_1) | instskip(SKIP_2) | instid1(VALU_DEP_1)
	v_cmp_ne_u64_e32 vcc_lo, s[42:43], v[54:55]
	v_cndmask_b32_e32 v55, 0x80000000, v55, vcc_lo
	v_cndmask_b32_e32 v54, 0, v54, vcc_lo
	v_lshrrev_b64 v[54:55], s54, v[54:55]
	s_delay_alu instid0(VALU_DEP_1) | instskip(NEXT) | instid1(VALU_DEP_1)
	v_and_b32_e32 v54, s59, v54
	v_lshl_or_b32 v54, v54, 4, v113
	ds_add_u32 v54, v125
	s_or_b32 exec_lo, exec_lo, s9
	v_cmp_gt_u32_e32 vcc_lo, s8, v112
	s_and_saveexec_b32 s8, vcc_lo
	s_cbranch_execz .LBB1216_15
.LBB1216_68:                            ;   in Loop: Header=BB1216_16 Depth=2
	v_cmp_lt_i64_e32 vcc_lo, -1, v[22:23]
	v_cndmask_b32_e64 v54, -1, 0x80000000, vcc_lo
	s_delay_alu instid0(VALU_DEP_1) | instskip(NEXT) | instid1(VALU_DEP_1)
	v_dual_ashrrev_i32 v56, 31, v23 :: v_dual_bitop2_b32 v55, v54, v23 bitop3:0x14
	v_xor_b32_e32 v54, v56, v22
	s_delay_alu instid0(VALU_DEP_1) | instskip(SKIP_2) | instid1(VALU_DEP_1)
	v_cmp_ne_u64_e32 vcc_lo, s[42:43], v[54:55]
	v_cndmask_b32_e32 v55, 0x80000000, v55, vcc_lo
	v_cndmask_b32_e32 v54, 0, v54, vcc_lo
	v_lshrrev_b64 v[54:55], s54, v[54:55]
	s_delay_alu instid0(VALU_DEP_1) | instskip(NEXT) | instid1(VALU_DEP_1)
	v_and_b32_e32 v54, s59, v54
	v_lshl_or_b32 v54, v54, 4, v113
	ds_add_u32 v54, v125
	s_branch .LBB1216_15
.LBB1216_69:                            ;   in Loop: Header=BB1216_16 Depth=2
	global_load_b64 v[52:53], v2, s[8:9] scale_offset
	s_wait_xcnt 0x0
	s_or_b32 exec_lo, exec_lo, s11
	s_delay_alu instid0(SALU_CYCLE_1)
	s_mov_b32 s11, exec_lo
	v_cmpx_gt_u32_e64 s7, v98
	s_cbranch_execz .LBB1216_21
.LBB1216_70:                            ;   in Loop: Header=BB1216_16 Depth=2
	global_load_b64 v[50:51], v2, s[8:9] offset:2048 scale_offset
	s_wait_xcnt 0x0
	s_or_b32 exec_lo, exec_lo, s11
	s_delay_alu instid0(SALU_CYCLE_1)
	s_mov_b32 s11, exec_lo
	v_cmpx_gt_u32_e64 s7, v99
	s_cbranch_execz .LBB1216_22
.LBB1216_71:                            ;   in Loop: Header=BB1216_16 Depth=2
	global_load_b64 v[48:49], v2, s[8:9] offset:4096 scale_offset
	s_wait_xcnt 0x0
	s_or_b32 exec_lo, exec_lo, s11
	s_delay_alu instid0(SALU_CYCLE_1)
	s_mov_b32 s11, exec_lo
	v_cmpx_gt_u32_e64 s7, v100
	s_cbranch_execz .LBB1216_23
.LBB1216_72:                            ;   in Loop: Header=BB1216_16 Depth=2
	global_load_b64 v[46:47], v2, s[8:9] offset:6144 scale_offset
	s_wait_xcnt 0x0
	s_or_b32 exec_lo, exec_lo, s11
	s_delay_alu instid0(SALU_CYCLE_1)
	s_mov_b32 s11, exec_lo
	v_cmpx_gt_u32_e64 s7, v101
	s_cbranch_execz .LBB1216_24
.LBB1216_73:                            ;   in Loop: Header=BB1216_16 Depth=2
	global_load_b64 v[44:45], v2, s[8:9] offset:8192 scale_offset
	s_wait_xcnt 0x0
	s_or_b32 exec_lo, exec_lo, s11
	s_delay_alu instid0(SALU_CYCLE_1)
	s_mov_b32 s11, exec_lo
	v_cmpx_gt_u32_e64 s7, v102
	s_cbranch_execz .LBB1216_25
.LBB1216_74:                            ;   in Loop: Header=BB1216_16 Depth=2
	global_load_b64 v[42:43], v2, s[8:9] offset:10240 scale_offset
	s_wait_xcnt 0x0
	s_or_b32 exec_lo, exec_lo, s11
	s_delay_alu instid0(SALU_CYCLE_1)
	s_mov_b32 s11, exec_lo
	v_cmpx_gt_u32_e64 s7, v103
	s_cbranch_execz .LBB1216_26
.LBB1216_75:                            ;   in Loop: Header=BB1216_16 Depth=2
	global_load_b64 v[40:41], v2, s[8:9] offset:12288 scale_offset
	s_wait_xcnt 0x0
	s_or_b32 exec_lo, exec_lo, s11
	s_delay_alu instid0(SALU_CYCLE_1)
	s_mov_b32 s11, exec_lo
	v_cmpx_gt_u32_e64 s7, v104
	s_cbranch_execz .LBB1216_27
.LBB1216_76:                            ;   in Loop: Header=BB1216_16 Depth=2
	global_load_b64 v[38:39], v2, s[8:9] offset:14336 scale_offset
	s_wait_xcnt 0x0
	s_or_b32 exec_lo, exec_lo, s11
	s_delay_alu instid0(SALU_CYCLE_1)
	s_mov_b32 s11, exec_lo
	v_cmpx_gt_u32_e64 s7, v105
	s_cbranch_execz .LBB1216_28
.LBB1216_77:                            ;   in Loop: Header=BB1216_16 Depth=2
	global_load_b64 v[36:37], v2, s[8:9] offset:16384 scale_offset
	s_wait_xcnt 0x0
	s_or_b32 exec_lo, exec_lo, s11
	s_delay_alu instid0(SALU_CYCLE_1)
	s_mov_b32 s11, exec_lo
	v_cmpx_gt_u32_e64 s7, v106
	s_cbranch_execz .LBB1216_29
.LBB1216_78:                            ;   in Loop: Header=BB1216_16 Depth=2
	global_load_b64 v[34:35], v2, s[8:9] offset:18432 scale_offset
	s_wait_xcnt 0x0
	s_or_b32 exec_lo, exec_lo, s11
	s_delay_alu instid0(SALU_CYCLE_1)
	s_mov_b32 s11, exec_lo
	v_cmpx_gt_u32_e64 s7, v107
	s_cbranch_execz .LBB1216_30
.LBB1216_79:                            ;   in Loop: Header=BB1216_16 Depth=2
	global_load_b64 v[32:33], v2, s[8:9] offset:20480 scale_offset
	s_wait_xcnt 0x0
	s_or_b32 exec_lo, exec_lo, s11
	s_delay_alu instid0(SALU_CYCLE_1)
	s_mov_b32 s11, exec_lo
	v_cmpx_gt_u32_e64 s7, v108
	s_cbranch_execz .LBB1216_31
.LBB1216_80:                            ;   in Loop: Header=BB1216_16 Depth=2
	global_load_b64 v[30:31], v2, s[8:9] offset:22528 scale_offset
	s_wait_xcnt 0x0
	s_or_b32 exec_lo, exec_lo, s11
	s_delay_alu instid0(SALU_CYCLE_1)
	s_mov_b32 s11, exec_lo
	v_cmpx_gt_u32_e64 s7, v109
	s_cbranch_execz .LBB1216_32
.LBB1216_81:                            ;   in Loop: Header=BB1216_16 Depth=2
	global_load_b64 v[28:29], v2, s[8:9] offset:24576 scale_offset
	s_wait_xcnt 0x0
	s_or_b32 exec_lo, exec_lo, s11
	s_delay_alu instid0(SALU_CYCLE_1)
	s_mov_b32 s11, exec_lo
	v_cmpx_gt_u32_e64 s7, v110
	s_cbranch_execz .LBB1216_33
.LBB1216_82:                            ;   in Loop: Header=BB1216_16 Depth=2
	global_load_b64 v[26:27], v2, s[8:9] offset:26624 scale_offset
	s_wait_xcnt 0x0
	s_or_b32 exec_lo, exec_lo, s11
	s_delay_alu instid0(SALU_CYCLE_1)
	s_mov_b32 s11, exec_lo
	v_cmpx_gt_u32_e64 s7, v111
	s_cbranch_execz .LBB1216_34
.LBB1216_83:                            ;   in Loop: Header=BB1216_16 Depth=2
	global_load_b64 v[24:25], v2, s[8:9] offset:28672 scale_offset
	s_wait_xcnt 0x0
	s_or_b32 exec_lo, exec_lo, s11
	s_delay_alu instid0(SALU_CYCLE_1)
	s_mov_b32 s11, exec_lo
	v_cmpx_gt_u32_e64 s7, v112
	s_cbranch_execnz .LBB1216_35
	s_branch .LBB1216_36
.LBB1216_84:                            ;   in Loop: Header=BB1216_12 Depth=1
	v_mov_b32_e32 v22, 0
	s_wait_dscnt 0x0
	s_barrier_signal -1
	s_barrier_wait -1
	s_and_saveexec_b32 s7, s0
	s_cbranch_execz .LBB1216_86
; %bb.85:                               ;   in Loop: Header=BB1216_12 Depth=1
	ds_load_2addr_b64 v[22:25], v115 offset1:1
	s_wait_dscnt 0x0
	v_add_nc_u32_e32 v22, v23, v22
	s_delay_alu instid0(VALU_DEP_1)
	v_add3_u32 v22, v22, v24, v25
.LBB1216_86:                            ;   in Loop: Header=BB1216_12 Depth=1
	s_or_b32 exec_lo, exec_lo, s7
	s_delay_alu instid0(VALU_DEP_1)
	v_mov_b32_dpp v23, v22 row_shr:1 row_mask:0xf bank_mask:0xf
	v_cmp_eq_u32_e64 s7, 0, v126
	v_cmp_lt_u32_e64 s8, 1, v126
	v_cmp_lt_u32_e64 s9, 3, v126
	;; [unrolled: 1-line block ×3, first 2 shown]
	v_cmp_eq_u32_e64 s11, 0, v128
	v_cndmask_b32_e64 v23, v23, 0, s7
	s_delay_alu instid0(VALU_DEP_1) | instskip(NEXT) | instid1(VALU_DEP_1)
	v_add_nc_u32_e32 v22, v23, v22
	v_mov_b32_dpp v23, v22 row_shr:2 row_mask:0xf bank_mask:0xf
	s_delay_alu instid0(VALU_DEP_1) | instskip(NEXT) | instid1(VALU_DEP_1)
	v_cndmask_b32_e64 v23, 0, v23, s8
	v_add_nc_u32_e32 v22, v22, v23
	s_delay_alu instid0(VALU_DEP_1) | instskip(NEXT) | instid1(VALU_DEP_1)
	v_mov_b32_dpp v23, v22 row_shr:4 row_mask:0xf bank_mask:0xf
	v_cndmask_b32_e64 v23, 0, v23, s9
	s_delay_alu instid0(VALU_DEP_1) | instskip(NEXT) | instid1(VALU_DEP_1)
	v_add_nc_u32_e32 v22, v22, v23
	v_mov_b32_dpp v23, v22 row_shr:8 row_mask:0xf bank_mask:0xf
	s_delay_alu instid0(VALU_DEP_1) | instskip(NEXT) | instid1(VALU_DEP_1)
	v_cndmask_b32_e64 v23, 0, v23, s10
	v_add_nc_u32_e32 v22, v22, v23
	ds_swizzle_b32 v23, v22 offset:swizzle(BROADCAST,32,15)
	s_wait_dscnt 0x0
	v_and_b32_e32 v23, v127, v23
	s_delay_alu instid0(VALU_DEP_1)
	v_add_nc_u32_e32 v22, v22, v23
	s_and_saveexec_b32 s12, s1
; %bb.87:                               ;   in Loop: Header=BB1216_12 Depth=1
	ds_store_b32 v116, v22
; %bb.88:                               ;   in Loop: Header=BB1216_12 Depth=1
	s_or_b32 exec_lo, exec_lo, s12
	s_wait_dscnt 0x0
	s_barrier_signal -1
	s_barrier_wait -1
	s_and_saveexec_b32 s12, s4
	s_cbranch_execz .LBB1216_90
; %bb.89:                               ;   in Loop: Header=BB1216_12 Depth=1
	ds_load_b32 v23, v117
	v_cmp_ne_u32_e32 vcc_lo, 0, v130
	s_wait_dscnt 0x0
	v_mov_b32_dpp v24, v23 row_shr:1 row_mask:0xf bank_mask:0xf
	s_delay_alu instid0(VALU_DEP_1) | instskip(SKIP_1) | instid1(VALU_DEP_2)
	v_cndmask_b32_e32 v24, 0, v24, vcc_lo
	v_cmp_lt_u32_e32 vcc_lo, 1, v130
	v_add_nc_u32_e32 v23, v24, v23
	s_delay_alu instid0(VALU_DEP_1) | instskip(NEXT) | instid1(VALU_DEP_1)
	v_mov_b32_dpp v24, v23 row_shr:2 row_mask:0xf bank_mask:0xf
	v_cndmask_b32_e32 v24, 0, v24, vcc_lo
	v_cmp_lt_u32_e32 vcc_lo, 3, v130
	s_delay_alu instid0(VALU_DEP_2) | instskip(NEXT) | instid1(VALU_DEP_1)
	v_add_nc_u32_e32 v23, v23, v24
	v_mov_b32_dpp v24, v23 row_shr:4 row_mask:0xf bank_mask:0xf
	s_delay_alu instid0(VALU_DEP_1) | instskip(NEXT) | instid1(VALU_DEP_1)
	v_cndmask_b32_e32 v24, 0, v24, vcc_lo
	v_add_nc_u32_e32 v23, v23, v24
	ds_store_b32 v117, v23
.LBB1216_90:                            ;   in Loop: Header=BB1216_12 Depth=1
	s_or_b32 exec_lo, exec_lo, s12
	v_mov_b32_e32 v23, 0
	s_wait_dscnt 0x0
	s_barrier_signal -1
	s_barrier_wait -1
	s_and_saveexec_b32 s12, s5
; %bb.91:                               ;   in Loop: Header=BB1216_12 Depth=1
	ds_load_b32 v23, v118
; %bb.92:                               ;   in Loop: Header=BB1216_12 Depth=1
	s_or_b32 exec_lo, exec_lo, s12
	v_cmp_gt_i32_e32 vcc_lo, 0, v131
	s_wait_dscnt 0x0
	s_barrier_signal -1
	s_barrier_wait -1
	v_cndmask_b32_e32 v24, v131, v124, vcc_lo
	s_delay_alu instid0(VALU_DEP_1)
	v_dual_add_nc_u32 v22, v23, v22 :: v_dual_lshlrev_b32 v147, 2, v24
	ds_bpermute_b32 v22, v147, v22
	s_and_saveexec_b32 s12, s0
	s_cbranch_execz .LBB1216_94
; %bb.93:                               ;   in Loop: Header=BB1216_12 Depth=1
	s_wait_dscnt 0x0
	v_cndmask_b32_e64 v22, v22, v23, s6
	s_delay_alu instid0(VALU_DEP_1)
	v_add_nc_u32_e32 v22, s56, v22
	ds_store_b32 v3, v22
.LBB1216_94:                            ;   in Loop: Header=BB1216_12 Depth=1
	s_or_b32 exec_lo, exec_lo, s12
	s_clause 0x1
	s_load_b32 s12, s[52:53], 0x4
	s_load_b32 s14, s[52:53], 0xc
	v_add_nc_u64_e32 v[24:25], v[8:9], v[4:5]
	s_mov_b32 s60, s58
                                        ; implicit-def: $vgpr28_vgpr29
                                        ; implicit-def: $vgpr30_vgpr31
                                        ; implicit-def: $vgpr32_vgpr33
                                        ; implicit-def: $vgpr34_vgpr35
                                        ; implicit-def: $vgpr36_vgpr37
                                        ; implicit-def: $vgpr38_vgpr39
                                        ; implicit-def: $vgpr40_vgpr41
                                        ; implicit-def: $vgpr42_vgpr43
                                        ; implicit-def: $vgpr44_vgpr45
                                        ; implicit-def: $vgpr46_vgpr47
                                        ; implicit-def: $vgpr48_vgpr49
                                        ; implicit-def: $vgpr50_vgpr51
                                        ; implicit-def: $vgpr52_vgpr53
                                        ; implicit-def: $vgpr54_vgpr55
                                        ; implicit-def: $vgpr56_vgpr57
                                        ; implicit-def: $vgpr149
                                        ; implicit-def: $vgpr150
                                        ; implicit-def: $vgpr151
                                        ; implicit-def: $vgpr152
                                        ; implicit-def: $vgpr153
                                        ; implicit-def: $vgpr154
                                        ; implicit-def: $vgpr155
                                        ; implicit-def: $vgpr156
                                        ; implicit-def: $vgpr157
                                        ; implicit-def: $vgpr158
                                        ; implicit-def: $vgpr159
                                        ; implicit-def: $vgpr160
                                        ; implicit-def: $vgpr161
                                        ; implicit-def: $vgpr162
                                        ; implicit-def: $vgpr163
                                        ; implicit-def: $vgpr164
	s_wait_kmcnt 0x0
	s_cmp_lt_u32 s31, s12
	s_cselect_b32 s34, 14, 20
	s_delay_alu instid0(SALU_CYCLE_1)
	s_add_nc_u64 s[12:13], s[52:53], s[34:35]
	s_mov_b32 s34, s56
	s_load_u16 s12, s[12:13], 0x0
	s_wait_xcnt 0x0
	v_cmp_lt_u32_e64 s13, 1, v130
	s_wait_dscnt 0x0
	s_wait_kmcnt 0x0
	v_mad_u32_u24 v22, v119, s12, v121
	s_and_b32 s12, s14, 0xffff
	v_cmp_lt_u32_e64 s14, 3, v130
	s_delay_alu instid0(VALU_DEP_2) | instskip(SKIP_1) | instid1(VALU_DEP_2)
	v_mad_u32 v22, v22, s12, v2
	v_cmp_eq_u32_e64 s12, 0, v130
	v_lshrrev_b32_e32 v26, 3, v22
	v_add_nc_u64_e32 v[22:23], v[0:1], v[4:5]
	s_delay_alu instid0(VALU_DEP_2)
	v_and_b32_e32 v148, 0x1ffffffc, v26
                                        ; implicit-def: $vgpr26_vgpr27
	s_branch .LBB1216_96
.LBB1216_95:                            ;   in Loop: Header=BB1216_96 Depth=2
	s_or_b32 exec_lo, exec_lo, s15
	s_addk_co_i32 s60, 0xf000
	s_cmp_lt_u32 s61, s51
	s_mov_b32 s34, s61
	s_cbranch_scc0 .LBB1216_304
.LBB1216_96:                            ;   Parent Loop BB1216_12 Depth=1
                                        ; =>  This Inner Loop Header: Depth=2
	s_add_co_i32 s61, s34, 0x1000
	s_delay_alu instid0(SALU_CYCLE_1)
	s_cmp_gt_u32 s61, s51
	s_cbranch_scc1 .LBB1216_98
; %bb.97:                               ;   in Loop: Header=BB1216_96 Depth=2
	v_lshl_add_u64 v[66:67], s[34:35], 3, v[24:25]
	s_mov_b32 s15, -1
	s_clause 0xe
	global_load_b64 v[58:59], v[66:67], off
	global_load_b64 v[60:61], v[66:67], off offset:256
	global_load_b64 v[62:63], v[66:67], off offset:512
	;; [unrolled: 1-line block ×14, first 2 shown]
	s_movk_i32 s16, 0x1000
	s_cbranch_execz .LBB1216_99
	s_branch .LBB1216_130
.LBB1216_98:                            ;   in Loop: Header=BB1216_96 Depth=2
	s_mov_b32 s15, 0
                                        ; implicit-def: $vgpr58_vgpr59
                                        ; implicit-def: $vgpr60_vgpr61
                                        ; implicit-def: $vgpr62_vgpr63
                                        ; implicit-def: $vgpr70_vgpr71
                                        ; implicit-def: $vgpr74_vgpr75
                                        ; implicit-def: $vgpr78_vgpr79
                                        ; implicit-def: $vgpr82_vgpr83
                                        ; implicit-def: $vgpr86_vgpr87
                                        ; implicit-def: $vgpr88_vgpr89
                                        ; implicit-def: $vgpr84_vgpr85
                                        ; implicit-def: $vgpr80_vgpr81
                                        ; implicit-def: $vgpr76_vgpr77
                                        ; implicit-def: $vgpr72_vgpr73
                                        ; implicit-def: $vgpr68_vgpr69
                                        ; implicit-def: $vgpr64_vgpr65
	s_movk_i32 s16, 0x1000
.LBB1216_99:                            ;   in Loop: Header=BB1216_96 Depth=2
	s_wait_loadcnt 0xd
	v_mov_b64_e32 v[60:61], 0x7fffffffffffffff
	v_mov_b64_e32 v[58:59], 0x7fffffffffffffff
	s_wait_xcnt 0x0
	v_lshl_add_u64 v[66:67], s[34:35], 3, v[24:25]
	s_mov_b32 s15, exec_lo
	v_cmpx_gt_u32_e64 s60, v129
	s_cbranch_execz .LBB1216_101
; %bb.100:                              ;   in Loop: Header=BB1216_96 Depth=2
	global_load_b64 v[58:59], v[66:67], off
.LBB1216_101:                           ;   in Loop: Header=BB1216_96 Depth=2
	s_wait_xcnt 0x0
	s_or_b32 exec_lo, exec_lo, s15
	s_delay_alu instid0(SALU_CYCLE_1)
	s_mov_b32 s15, exec_lo
	v_cmpx_gt_u32_e64 s60, v132
	s_cbranch_execz .LBB1216_103
; %bb.102:                              ;   in Loop: Header=BB1216_96 Depth=2
	global_load_b64 v[60:61], v[66:67], off offset:256
.LBB1216_103:                           ;   in Loop: Header=BB1216_96 Depth=2
	s_wait_xcnt 0x0
	s_or_b32 exec_lo, exec_lo, s15
	s_wait_loadcnt 0xb
	v_mov_b64_e32 v[70:71], 0x7fffffffffffffff
	v_mov_b64_e32 v[62:63], 0x7fffffffffffffff
	s_mov_b32 s15, exec_lo
	v_cmpx_gt_u32_e64 s60, v133
	s_cbranch_execz .LBB1216_105
; %bb.104:                              ;   in Loop: Header=BB1216_96 Depth=2
	global_load_b64 v[62:63], v[66:67], off offset:512
.LBB1216_105:                           ;   in Loop: Header=BB1216_96 Depth=2
	s_wait_xcnt 0x0
	s_or_b32 exec_lo, exec_lo, s15
	s_delay_alu instid0(SALU_CYCLE_1)
	s_mov_b32 s15, exec_lo
	v_cmpx_gt_u32_e64 s60, v134
	s_cbranch_execz .LBB1216_107
; %bb.106:                              ;   in Loop: Header=BB1216_96 Depth=2
	global_load_b64 v[70:71], v[66:67], off offset:768
.LBB1216_107:                           ;   in Loop: Header=BB1216_96 Depth=2
	s_wait_xcnt 0x0
	s_or_b32 exec_lo, exec_lo, s15
	s_wait_loadcnt 0x9
	v_mov_b64_e32 v[78:79], 0x7fffffffffffffff
	v_mov_b64_e32 v[74:75], 0x7fffffffffffffff
	s_mov_b32 s15, exec_lo
	v_cmpx_gt_u32_e64 s60, v135
	s_cbranch_execz .LBB1216_109
; %bb.108:                              ;   in Loop: Header=BB1216_96 Depth=2
	global_load_b64 v[74:75], v[66:67], off offset:1024
.LBB1216_109:                           ;   in Loop: Header=BB1216_96 Depth=2
	;; [unrolled: 20-line block ×6, first 2 shown]
	s_wait_xcnt 0x0
	s_or_b32 exec_lo, exec_lo, s15
	s_delay_alu instid0(SALU_CYCLE_1)
	s_mov_b32 s15, exec_lo
	v_cmpx_gt_u32_e64 s60, v144
	s_cbranch_execz .LBB1216_127
; %bb.126:                              ;   in Loop: Header=BB1216_96 Depth=2
	global_load_b64 v[68:69], v[66:67], off offset:3328
.LBB1216_127:                           ;   in Loop: Header=BB1216_96 Depth=2
	s_wait_xcnt 0x0
	s_or_b32 exec_lo, exec_lo, s15
	s_wait_loadcnt 0x0
	v_mov_b64_e32 v[64:65], 0x7fffffffffffffff
	s_mov_b32 s15, exec_lo
	v_cmpx_gt_u32_e64 s60, v145
	s_cbranch_execz .LBB1216_129
; %bb.128:                              ;   in Loop: Header=BB1216_96 Depth=2
	global_load_b64 v[64:65], v[66:67], off offset:3584
.LBB1216_129:                           ;   in Loop: Header=BB1216_96 Depth=2
	s_wait_xcnt 0x0
	s_or_b32 exec_lo, exec_lo, s15
	v_cmp_gt_u32_e64 s15, s60, v146
	s_sub_co_i32 s16, s51, s34
.LBB1216_130:                           ;   in Loop: Header=BB1216_96 Depth=2
	s_wait_xcnt 0x0
	v_mov_b64_e32 v[66:67], 0x7fffffffffffffff
	v_mov_b32_e32 v165, s60
	s_and_saveexec_b32 s17, s15
	s_cbranch_execz .LBB1216_132
; %bb.131:                              ;   in Loop: Header=BB1216_96 Depth=2
	v_lshl_add_u64 v[66:67], s[34:35], 3, v[24:25]
	v_mov_b32_e32 v165, s16
	global_load_b64 v[66:67], v[66:67], off offset:3840
.LBB1216_132:                           ;   in Loop: Header=BB1216_96 Depth=2
	s_wait_xcnt 0x0
	s_or_b32 exec_lo, exec_lo, s17
	s_wait_loadcnt 0xe
	v_cmp_lt_i64_e32 vcc_lo, -1, v[58:59]
	v_add_nc_u32_e32 v168, 0x420, v120
	v_add_nc_u32_e32 v169, 0x428, v120
	;; [unrolled: 1-line block ×3, first 2 shown]
	v_cndmask_b32_e64 v90, -1, 0x80000000, vcc_lo
	s_delay_alu instid0(VALU_DEP_1) | instskip(NEXT) | instid1(VALU_DEP_1)
	v_dual_ashrrev_i32 v91, 31, v59 :: v_dual_bitop2_b32 v59, v90, v59 bitop3:0x14
	v_xor_b32_e32 v58, v91, v58
	s_delay_alu instid0(VALU_DEP_1) | instskip(SKIP_2) | instid1(VALU_DEP_1)
	v_cmp_ne_u64_e32 vcc_lo, s[42:43], v[58:59]
	v_cndmask_b32_e32 v91, 0x80000000, v59, vcc_lo
	v_cndmask_b32_e32 v90, 0, v58, vcc_lo
	v_lshrrev_b64 v[90:91], s54, v[90:91]
	s_delay_alu instid0(VALU_DEP_1) | instskip(SKIP_1) | instid1(VALU_DEP_2)
	v_bitop3_b32 v91, v90, 1, s59 bitop3:0x80
	v_and_b32_e32 v92, s59, v90
	v_add_co_u32 v90, s15, v91, -1
	s_delay_alu instid0(VALU_DEP_1) | instskip(NEXT) | instid1(VALU_DEP_3)
	v_cndmask_b32_e64 v91, 0, 1, s15
	v_lshlrev_b32_e32 v93, 30, v92
	s_delay_alu instid0(VALU_DEP_2) | instskip(NEXT) | instid1(VALU_DEP_2)
	v_cmp_ne_u32_e32 vcc_lo, 0, v91
	v_not_b32_e32 v91, v93
	v_cmp_gt_i32_e64 s15, 0, v93
	s_delay_alu instid0(VALU_DEP_2) | instskip(SKIP_3) | instid1(VALU_DEP_4)
	v_dual_ashrrev_i32 v91, 31, v91 :: v_dual_lshlrev_b32 v94, 29, v92
	v_dual_lshlrev_b32 v95, 28, v92 :: v_dual_lshlrev_b32 v96, 27, v92
	v_dual_lshlrev_b32 v97, 26, v92 :: v_dual_lshlrev_b32 v166, 25, v92
	v_lshlrev_b32_e32 v167, 24, v92
	v_cmp_gt_i32_e64 s16, 0, v94
	v_not_b32_e32 v93, v94
	v_not_b32_e32 v94, v95
	v_cmp_gt_i32_e64 s17, 0, v95
	v_cmp_gt_i32_e64 s18, 0, v96
	v_not_b32_e32 v95, v96
	v_not_b32_e32 v96, v97
	v_dual_ashrrev_i32 v93, 31, v93 :: v_dual_bitop2_b32 v90, vcc_lo, v90 bitop3:0x14
	v_dual_ashrrev_i32 v94, 31, v94 :: v_dual_bitop2_b32 v91, s15, v91 bitop3:0x14
	v_cmp_gt_i32_e64 s19, 0, v97
	v_cmp_gt_i32_e64 s20, 0, v166
	v_not_b32_e32 v97, v166
	v_not_b32_e32 v166, v167
	v_dual_ashrrev_i32 v95, 31, v95 :: v_dual_ashrrev_i32 v96, 31, v96
	v_xor_b32_e32 v93, s16, v93
	v_xor_b32_e32 v94, s17, v94
	v_bitop3_b32 v90, v90, v91, exec_lo bitop3:0x80
	v_cmp_gt_i32_e64 s21, 0, v167
	v_dual_ashrrev_i32 v91, 31, v97 :: v_dual_ashrrev_i32 v97, 31, v166
	v_xor_b32_e32 v95, s18, v95
	v_xor_b32_e32 v96, s19, v96
	v_bitop3_b32 v90, v90, v94, v93 bitop3:0x80
	s_delay_alu instid0(VALU_DEP_4) | instskip(SKIP_2) | instid1(VALU_DEP_4)
	v_xor_b32_e32 v91, s20, v91
	v_xor_b32_e32 v93, s21, v97
	v_add_nc_u32_e32 v167, 0x438, v120
	v_bitop3_b32 v90, v90, v96, v95 bitop3:0x80
	ds_store_2addr_b32 v167, v5, v5 offset1:1
	ds_store_2addr_b32 v168, v5, v5 offset1:1
	;; [unrolled: 1-line block ×4, first 2 shown]
	ds_store_b32 v120, v5 offset:1088
	v_bitop3_b32 v90, v90, v93, v91 bitop3:0x80
	v_mul_u32_u24_e32 v91, 36, v92
	s_wait_loadcnt_dscnt 0x0
	s_barrier_signal -1
	s_barrier_wait -1
	v_mbcnt_lo_u32_b32 v166, v90, 0
	v_cmp_ne_u32_e64 s15, 0, v90
	v_add_nc_u32_e32 v171, v148, v91
	s_delay_alu instid0(VALU_DEP_3) | instskip(SKIP_1) | instid1(SALU_CYCLE_1)
	v_cmp_eq_u32_e32 vcc_lo, 0, v166
	; wave barrier
	s_and_b32 s16, s15, vcc_lo
	s_and_saveexec_b32 s15, s16
; %bb.133:                              ;   in Loop: Header=BB1216_96 Depth=2
	v_bcnt_u32_b32 v90, v90, 0
	ds_store_b32 v171, v90 offset:1056
; %bb.134:                              ;   in Loop: Header=BB1216_96 Depth=2
	s_or_b32 exec_lo, exec_lo, s15
	v_cmp_lt_i64_e32 vcc_lo, -1, v[60:61]
	; wave barrier
	v_cndmask_b32_e64 v90, -1, 0x80000000, vcc_lo
	s_delay_alu instid0(VALU_DEP_1) | instskip(NEXT) | instid1(VALU_DEP_1)
	v_dual_ashrrev_i32 v91, 31, v61 :: v_dual_bitop2_b32 v61, v90, v61 bitop3:0x14
	v_xor_b32_e32 v60, v91, v60
	s_delay_alu instid0(VALU_DEP_1) | instskip(SKIP_2) | instid1(VALU_DEP_1)
	v_cmp_ne_u64_e32 vcc_lo, s[42:43], v[60:61]
	v_cndmask_b32_e32 v91, 0x80000000, v61, vcc_lo
	v_cndmask_b32_e32 v90, 0, v60, vcc_lo
	v_lshrrev_b64 v[90:91], s54, v[90:91]
	s_delay_alu instid0(VALU_DEP_1) | instskip(SKIP_1) | instid1(VALU_DEP_2)
	v_bitop3_b32 v91, v90, 1, s59 bitop3:0x80
	v_and_b32_e32 v92, s59, v90
	v_add_co_u32 v90, s15, v91, -1
	s_delay_alu instid0(VALU_DEP_1) | instskip(NEXT) | instid1(VALU_DEP_3)
	v_cndmask_b32_e64 v91, 0, 1, s15
	v_dual_lshlrev_b32 v93, 30, v92 :: v_dual_lshlrev_b32 v95, 28, v92
	v_dual_lshlrev_b32 v94, 29, v92 :: v_dual_lshlrev_b32 v96, 27, v92
	s_delay_alu instid0(VALU_DEP_3) | instskip(NEXT) | instid1(VALU_DEP_3)
	v_cmp_ne_u32_e32 vcc_lo, 0, v91
	v_cmp_gt_i32_e64 s15, 0, v93
	v_not_b32_e32 v91, v93
	s_delay_alu instid0(VALU_DEP_4) | instskip(SKIP_4) | instid1(VALU_DEP_4)
	v_cmp_gt_i32_e64 s16, 0, v94
	v_not_b32_e32 v93, v94
	v_cmp_gt_i32_e64 s17, 0, v95
	v_not_b32_e32 v94, v95
	v_not_b32_e32 v95, v96
	v_dual_ashrrev_i32 v91, 31, v91 :: v_dual_ashrrev_i32 v93, 31, v93
	s_delay_alu instid0(VALU_DEP_2) | instskip(SKIP_4) | instid1(VALU_DEP_4)
	v_dual_ashrrev_i32 v94, 31, v94 :: v_dual_ashrrev_i32 v95, 31, v95
	v_dual_lshlrev_b32 v97, 26, v92 :: v_dual_lshlrev_b32 v172, 25, v92
	v_lshlrev_b32_e32 v173, 24, v92
	v_cmp_gt_i32_e64 s18, 0, v96
	v_xor_b32_e32 v91, s15, v91
	v_not_b32_e32 v96, v97
	v_xor_b32_e32 v90, vcc_lo, v90
	v_cmp_gt_i32_e64 s19, 0, v97
	v_cmp_gt_i32_e64 s20, 0, v172
	v_not_b32_e32 v97, v172
	v_not_b32_e32 v172, v173
	v_dual_ashrrev_i32 v96, 31, v96 :: v_dual_bitop2_b32 v93, s16, v93 bitop3:0x14
	v_xor_b32_e32 v94, s17, v94
	v_bitop3_b32 v90, v90, v91, exec_lo bitop3:0x80
	v_cmp_gt_i32_e64 s21, 0, v173
	v_dual_ashrrev_i32 v91, 31, v97 :: v_dual_ashrrev_i32 v97, 31, v172
	v_xor_b32_e32 v95, s18, v95
	v_xor_b32_e32 v96, s19, v96
	v_bitop3_b32 v90, v90, v94, v93 bitop3:0x80
	v_mad_u32_u24 v93, v92, 36, v148
	v_xor_b32_e32 v91, s20, v91
	v_xor_b32_e32 v94, s21, v97
	s_delay_alu instid0(VALU_DEP_4) | instskip(SKIP_3) | instid1(VALU_DEP_2)
	v_bitop3_b32 v90, v90, v96, v95 bitop3:0x80
	ds_load_b32 v172, v93 offset:1056
	; wave barrier
	v_bitop3_b32 v90, v90, v94, v91 bitop3:0x80
	v_mul_u32_u24_e32 v91, 36, v92
	v_mbcnt_lo_u32_b32 v173, v90, 0
	v_cmp_ne_u32_e64 s15, 0, v90
	s_delay_alu instid0(VALU_DEP_3) | instskip(NEXT) | instid1(VALU_DEP_3)
	v_add_nc_u32_e32 v174, v148, v91
	v_cmp_eq_u32_e32 vcc_lo, 0, v173
	s_and_b32 s16, s15, vcc_lo
	s_delay_alu instid0(SALU_CYCLE_1)
	s_and_saveexec_b32 s15, s16
	s_cbranch_execz .LBB1216_136
; %bb.135:                              ;   in Loop: Header=BB1216_96 Depth=2
	s_wait_dscnt 0x0
	v_bcnt_u32_b32 v90, v90, v172
	ds_store_b32 v174, v90 offset:1056
.LBB1216_136:                           ;   in Loop: Header=BB1216_96 Depth=2
	s_or_b32 exec_lo, exec_lo, s15
	v_cmp_lt_i64_e32 vcc_lo, -1, v[62:63]
	; wave barrier
	v_cndmask_b32_e64 v90, -1, 0x80000000, vcc_lo
	s_delay_alu instid0(VALU_DEP_1) | instskip(NEXT) | instid1(VALU_DEP_1)
	v_dual_ashrrev_i32 v91, 31, v63 :: v_dual_bitop2_b32 v63, v90, v63 bitop3:0x14
	v_xor_b32_e32 v62, v91, v62
	s_delay_alu instid0(VALU_DEP_1) | instskip(SKIP_2) | instid1(VALU_DEP_1)
	v_cmp_ne_u64_e32 vcc_lo, s[42:43], v[62:63]
	v_cndmask_b32_e32 v91, 0x80000000, v63, vcc_lo
	v_cndmask_b32_e32 v90, 0, v62, vcc_lo
	v_lshrrev_b64 v[90:91], s54, v[90:91]
	s_delay_alu instid0(VALU_DEP_1) | instskip(SKIP_1) | instid1(VALU_DEP_2)
	v_bitop3_b32 v91, v90, 1, s59 bitop3:0x80
	v_and_b32_e32 v92, s59, v90
	v_add_co_u32 v90, s15, v91, -1
	s_delay_alu instid0(VALU_DEP_1) | instskip(NEXT) | instid1(VALU_DEP_3)
	v_cndmask_b32_e64 v91, 0, 1, s15
	v_lshlrev_b32_e32 v93, 30, v92
	s_delay_alu instid0(VALU_DEP_2) | instskip(NEXT) | instid1(VALU_DEP_2)
	v_cmp_ne_u32_e32 vcc_lo, 0, v91
	v_not_b32_e32 v91, v93
	v_cmp_gt_i32_e64 s15, 0, v93
	s_delay_alu instid0(VALU_DEP_2) | instskip(SKIP_3) | instid1(VALU_DEP_4)
	v_dual_ashrrev_i32 v91, 31, v91 :: v_dual_lshlrev_b32 v94, 29, v92
	v_dual_lshlrev_b32 v95, 28, v92 :: v_dual_lshlrev_b32 v96, 27, v92
	v_dual_lshlrev_b32 v97, 26, v92 :: v_dual_lshlrev_b32 v175, 25, v92
	v_lshlrev_b32_e32 v176, 24, v92
	v_cmp_gt_i32_e64 s16, 0, v94
	v_not_b32_e32 v93, v94
	v_not_b32_e32 v94, v95
	v_cmp_gt_i32_e64 s17, 0, v95
	v_cmp_gt_i32_e64 s18, 0, v96
	v_not_b32_e32 v95, v96
	v_not_b32_e32 v96, v97
	v_dual_ashrrev_i32 v93, 31, v93 :: v_dual_bitop2_b32 v90, vcc_lo, v90 bitop3:0x14
	v_dual_ashrrev_i32 v94, 31, v94 :: v_dual_bitop2_b32 v91, s15, v91 bitop3:0x14
	v_cmp_gt_i32_e64 s19, 0, v97
	v_cmp_gt_i32_e64 s20, 0, v175
	v_not_b32_e32 v97, v175
	v_not_b32_e32 v175, v176
	v_dual_ashrrev_i32 v95, 31, v95 :: v_dual_ashrrev_i32 v96, 31, v96
	v_xor_b32_e32 v93, s16, v93
	v_xor_b32_e32 v94, s17, v94
	v_bitop3_b32 v90, v90, v91, exec_lo bitop3:0x80
	v_cmp_gt_i32_e64 s21, 0, v176
	v_dual_ashrrev_i32 v91, 31, v97 :: v_dual_ashrrev_i32 v97, 31, v175
	v_xor_b32_e32 v95, s18, v95
	v_xor_b32_e32 v96, s19, v96
	v_bitop3_b32 v90, v90, v94, v93 bitop3:0x80
	v_mad_u32_u24 v93, v92, 36, v148
	v_xor_b32_e32 v91, s20, v91
	v_xor_b32_e32 v94, s21, v97
	s_delay_alu instid0(VALU_DEP_4) | instskip(SKIP_3) | instid1(VALU_DEP_2)
	v_bitop3_b32 v90, v90, v96, v95 bitop3:0x80
	ds_load_b32 v175, v93 offset:1056
	; wave barrier
	v_bitop3_b32 v90, v90, v94, v91 bitop3:0x80
	v_mul_u32_u24_e32 v91, 36, v92
	v_mbcnt_lo_u32_b32 v176, v90, 0
	v_cmp_ne_u32_e64 s15, 0, v90
	s_delay_alu instid0(VALU_DEP_3) | instskip(NEXT) | instid1(VALU_DEP_3)
	v_add_nc_u32_e32 v177, v148, v91
	v_cmp_eq_u32_e32 vcc_lo, 0, v176
	s_and_b32 s16, s15, vcc_lo
	s_delay_alu instid0(SALU_CYCLE_1)
	s_and_saveexec_b32 s15, s16
	s_cbranch_execz .LBB1216_138
; %bb.137:                              ;   in Loop: Header=BB1216_96 Depth=2
	s_wait_dscnt 0x0
	v_bcnt_u32_b32 v90, v90, v175
	ds_store_b32 v177, v90 offset:1056
.LBB1216_138:                           ;   in Loop: Header=BB1216_96 Depth=2
	s_or_b32 exec_lo, exec_lo, s15
	v_cmp_lt_i64_e32 vcc_lo, -1, v[70:71]
	; wave barrier
	v_cndmask_b32_e64 v90, -1, 0x80000000, vcc_lo
	s_delay_alu instid0(VALU_DEP_1) | instskip(NEXT) | instid1(VALU_DEP_1)
	v_dual_ashrrev_i32 v91, 31, v71 :: v_dual_bitop2_b32 v71, v90, v71 bitop3:0x14
	v_xor_b32_e32 v70, v91, v70
	s_delay_alu instid0(VALU_DEP_1) | instskip(SKIP_2) | instid1(VALU_DEP_1)
	v_cmp_ne_u64_e32 vcc_lo, s[42:43], v[70:71]
	v_cndmask_b32_e32 v91, 0x80000000, v71, vcc_lo
	v_cndmask_b32_e32 v90, 0, v70, vcc_lo
	v_lshrrev_b64 v[90:91], s54, v[90:91]
	s_delay_alu instid0(VALU_DEP_1) | instskip(SKIP_1) | instid1(VALU_DEP_2)
	v_bitop3_b32 v91, v90, 1, s59 bitop3:0x80
	v_and_b32_e32 v92, s59, v90
	v_add_co_u32 v90, s15, v91, -1
	s_delay_alu instid0(VALU_DEP_1) | instskip(NEXT) | instid1(VALU_DEP_3)
	v_cndmask_b32_e64 v91, 0, 1, s15
	v_lshlrev_b32_e32 v93, 30, v92
	s_delay_alu instid0(VALU_DEP_2) | instskip(NEXT) | instid1(VALU_DEP_2)
	v_cmp_ne_u32_e32 vcc_lo, 0, v91
	v_not_b32_e32 v91, v93
	v_cmp_gt_i32_e64 s15, 0, v93
	s_delay_alu instid0(VALU_DEP_2) | instskip(SKIP_3) | instid1(VALU_DEP_4)
	v_dual_ashrrev_i32 v91, 31, v91 :: v_dual_lshlrev_b32 v94, 29, v92
	v_dual_lshlrev_b32 v95, 28, v92 :: v_dual_lshlrev_b32 v96, 27, v92
	v_dual_lshlrev_b32 v97, 26, v92 :: v_dual_lshlrev_b32 v178, 25, v92
	v_lshlrev_b32_e32 v179, 24, v92
	v_cmp_gt_i32_e64 s16, 0, v94
	v_not_b32_e32 v93, v94
	v_not_b32_e32 v94, v95
	v_cmp_gt_i32_e64 s17, 0, v95
	v_cmp_gt_i32_e64 s18, 0, v96
	v_not_b32_e32 v95, v96
	v_not_b32_e32 v96, v97
	v_dual_ashrrev_i32 v93, 31, v93 :: v_dual_bitop2_b32 v90, vcc_lo, v90 bitop3:0x14
	v_dual_ashrrev_i32 v94, 31, v94 :: v_dual_bitop2_b32 v91, s15, v91 bitop3:0x14
	v_cmp_gt_i32_e64 s19, 0, v97
	v_cmp_gt_i32_e64 s20, 0, v178
	v_not_b32_e32 v97, v178
	v_not_b32_e32 v178, v179
	v_dual_ashrrev_i32 v95, 31, v95 :: v_dual_ashrrev_i32 v96, 31, v96
	v_xor_b32_e32 v93, s16, v93
	v_xor_b32_e32 v94, s17, v94
	v_bitop3_b32 v90, v90, v91, exec_lo bitop3:0x80
	v_cmp_gt_i32_e64 s21, 0, v179
	v_dual_ashrrev_i32 v91, 31, v97 :: v_dual_ashrrev_i32 v97, 31, v178
	v_xor_b32_e32 v95, s18, v95
	v_xor_b32_e32 v96, s19, v96
	v_bitop3_b32 v90, v90, v94, v93 bitop3:0x80
	v_mad_u32_u24 v93, v92, 36, v148
	v_xor_b32_e32 v91, s20, v91
	v_xor_b32_e32 v94, s21, v97
	s_delay_alu instid0(VALU_DEP_4) | instskip(SKIP_3) | instid1(VALU_DEP_2)
	v_bitop3_b32 v90, v90, v96, v95 bitop3:0x80
	ds_load_b32 v178, v93 offset:1056
	; wave barrier
	v_bitop3_b32 v90, v90, v94, v91 bitop3:0x80
	v_mul_u32_u24_e32 v91, 36, v92
	v_mbcnt_lo_u32_b32 v179, v90, 0
	v_cmp_ne_u32_e64 s15, 0, v90
	s_delay_alu instid0(VALU_DEP_3) | instskip(NEXT) | instid1(VALU_DEP_3)
	v_add_nc_u32_e32 v180, v148, v91
	v_cmp_eq_u32_e32 vcc_lo, 0, v179
	s_and_b32 s16, s15, vcc_lo
	s_delay_alu instid0(SALU_CYCLE_1)
	s_and_saveexec_b32 s15, s16
	s_cbranch_execz .LBB1216_140
; %bb.139:                              ;   in Loop: Header=BB1216_96 Depth=2
	s_wait_dscnt 0x0
	v_bcnt_u32_b32 v90, v90, v178
	ds_store_b32 v180, v90 offset:1056
.LBB1216_140:                           ;   in Loop: Header=BB1216_96 Depth=2
	s_or_b32 exec_lo, exec_lo, s15
	v_cmp_lt_i64_e32 vcc_lo, -1, v[74:75]
	; wave barrier
	v_cndmask_b32_e64 v90, -1, 0x80000000, vcc_lo
	s_delay_alu instid0(VALU_DEP_1) | instskip(NEXT) | instid1(VALU_DEP_1)
	v_dual_ashrrev_i32 v91, 31, v75 :: v_dual_bitop2_b32 v75, v90, v75 bitop3:0x14
	v_xor_b32_e32 v74, v91, v74
	s_delay_alu instid0(VALU_DEP_1) | instskip(SKIP_2) | instid1(VALU_DEP_1)
	v_cmp_ne_u64_e32 vcc_lo, s[42:43], v[74:75]
	v_cndmask_b32_e32 v91, 0x80000000, v75, vcc_lo
	v_cndmask_b32_e32 v90, 0, v74, vcc_lo
	v_lshrrev_b64 v[90:91], s54, v[90:91]
	s_delay_alu instid0(VALU_DEP_1) | instskip(SKIP_1) | instid1(VALU_DEP_2)
	v_bitop3_b32 v91, v90, 1, s59 bitop3:0x80
	v_and_b32_e32 v92, s59, v90
	v_add_co_u32 v90, s15, v91, -1
	s_delay_alu instid0(VALU_DEP_1) | instskip(NEXT) | instid1(VALU_DEP_3)
	v_cndmask_b32_e64 v91, 0, 1, s15
	v_lshlrev_b32_e32 v93, 30, v92
	s_delay_alu instid0(VALU_DEP_2) | instskip(NEXT) | instid1(VALU_DEP_2)
	v_cmp_ne_u32_e32 vcc_lo, 0, v91
	v_not_b32_e32 v91, v93
	v_cmp_gt_i32_e64 s15, 0, v93
	s_delay_alu instid0(VALU_DEP_2) | instskip(SKIP_3) | instid1(VALU_DEP_4)
	v_dual_ashrrev_i32 v91, 31, v91 :: v_dual_lshlrev_b32 v94, 29, v92
	v_dual_lshlrev_b32 v95, 28, v92 :: v_dual_lshlrev_b32 v96, 27, v92
	v_dual_lshlrev_b32 v97, 26, v92 :: v_dual_lshlrev_b32 v181, 25, v92
	v_lshlrev_b32_e32 v182, 24, v92
	v_cmp_gt_i32_e64 s16, 0, v94
	v_not_b32_e32 v93, v94
	v_not_b32_e32 v94, v95
	v_cmp_gt_i32_e64 s17, 0, v95
	v_cmp_gt_i32_e64 s18, 0, v96
	v_not_b32_e32 v95, v96
	v_not_b32_e32 v96, v97
	v_dual_ashrrev_i32 v93, 31, v93 :: v_dual_bitop2_b32 v90, vcc_lo, v90 bitop3:0x14
	v_dual_ashrrev_i32 v94, 31, v94 :: v_dual_bitop2_b32 v91, s15, v91 bitop3:0x14
	v_cmp_gt_i32_e64 s19, 0, v97
	v_cmp_gt_i32_e64 s20, 0, v181
	v_not_b32_e32 v97, v181
	v_not_b32_e32 v181, v182
	v_dual_ashrrev_i32 v95, 31, v95 :: v_dual_ashrrev_i32 v96, 31, v96
	v_xor_b32_e32 v93, s16, v93
	v_xor_b32_e32 v94, s17, v94
	v_bitop3_b32 v90, v90, v91, exec_lo bitop3:0x80
	v_cmp_gt_i32_e64 s21, 0, v182
	v_ashrrev_i32_e32 v91, 31, v97
	v_dual_ashrrev_i32 v97, 31, v181 :: v_dual_bitop2_b32 v95, s18, v95 bitop3:0x14
	v_xor_b32_e32 v96, s19, v96
	v_bitop3_b32 v90, v90, v94, v93 bitop3:0x80
	v_mad_u32_u24 v93, v92, 36, v148
	v_xor_b32_e32 v91, s20, v91
	v_xor_b32_e32 v94, s21, v97
	s_delay_alu instid0(VALU_DEP_4) | instskip(SKIP_3) | instid1(VALU_DEP_2)
	v_bitop3_b32 v90, v90, v96, v95 bitop3:0x80
	ds_load_b32 v181, v93 offset:1056
	; wave barrier
	v_bitop3_b32 v90, v90, v94, v91 bitop3:0x80
	v_mul_u32_u24_e32 v91, 36, v92
	v_mbcnt_lo_u32_b32 v182, v90, 0
	v_cmp_ne_u32_e64 s15, 0, v90
	s_delay_alu instid0(VALU_DEP_3) | instskip(NEXT) | instid1(VALU_DEP_3)
	v_add_nc_u32_e32 v183, v148, v91
	v_cmp_eq_u32_e32 vcc_lo, 0, v182
	s_and_b32 s16, s15, vcc_lo
	s_delay_alu instid0(SALU_CYCLE_1)
	s_and_saveexec_b32 s15, s16
	s_cbranch_execz .LBB1216_142
; %bb.141:                              ;   in Loop: Header=BB1216_96 Depth=2
	s_wait_dscnt 0x0
	v_bcnt_u32_b32 v90, v90, v181
	ds_store_b32 v183, v90 offset:1056
.LBB1216_142:                           ;   in Loop: Header=BB1216_96 Depth=2
	s_or_b32 exec_lo, exec_lo, s15
	v_cmp_lt_i64_e32 vcc_lo, -1, v[78:79]
	; wave barrier
	v_cndmask_b32_e64 v90, -1, 0x80000000, vcc_lo
	s_delay_alu instid0(VALU_DEP_1) | instskip(NEXT) | instid1(VALU_DEP_1)
	v_dual_ashrrev_i32 v91, 31, v79 :: v_dual_bitop2_b32 v79, v90, v79 bitop3:0x14
	v_xor_b32_e32 v78, v91, v78
	s_delay_alu instid0(VALU_DEP_1) | instskip(SKIP_2) | instid1(VALU_DEP_1)
	v_cmp_ne_u64_e32 vcc_lo, s[42:43], v[78:79]
	v_cndmask_b32_e32 v91, 0x80000000, v79, vcc_lo
	v_cndmask_b32_e32 v90, 0, v78, vcc_lo
	v_lshrrev_b64 v[90:91], s54, v[90:91]
	s_delay_alu instid0(VALU_DEP_1) | instskip(SKIP_1) | instid1(VALU_DEP_2)
	v_bitop3_b32 v91, v90, 1, s59 bitop3:0x80
	v_and_b32_e32 v92, s59, v90
	v_add_co_u32 v90, s15, v91, -1
	s_delay_alu instid0(VALU_DEP_1) | instskip(NEXT) | instid1(VALU_DEP_3)
	v_cndmask_b32_e64 v91, 0, 1, s15
	v_lshlrev_b32_e32 v93, 30, v92
	s_delay_alu instid0(VALU_DEP_2) | instskip(NEXT) | instid1(VALU_DEP_2)
	v_cmp_ne_u32_e32 vcc_lo, 0, v91
	v_not_b32_e32 v91, v93
	v_cmp_gt_i32_e64 s15, 0, v93
	s_delay_alu instid0(VALU_DEP_2) | instskip(SKIP_3) | instid1(VALU_DEP_4)
	v_dual_ashrrev_i32 v91, 31, v91 :: v_dual_lshlrev_b32 v94, 29, v92
	v_dual_lshlrev_b32 v95, 28, v92 :: v_dual_lshlrev_b32 v96, 27, v92
	v_dual_lshlrev_b32 v97, 26, v92 :: v_dual_lshlrev_b32 v184, 25, v92
	v_lshlrev_b32_e32 v185, 24, v92
	v_cmp_gt_i32_e64 s16, 0, v94
	v_not_b32_e32 v93, v94
	v_not_b32_e32 v94, v95
	v_cmp_gt_i32_e64 s17, 0, v95
	v_cmp_gt_i32_e64 s18, 0, v96
	v_not_b32_e32 v95, v96
	v_not_b32_e32 v96, v97
	v_dual_ashrrev_i32 v93, 31, v93 :: v_dual_bitop2_b32 v90, vcc_lo, v90 bitop3:0x14
	v_dual_ashrrev_i32 v94, 31, v94 :: v_dual_bitop2_b32 v91, s15, v91 bitop3:0x14
	v_cmp_gt_i32_e64 s19, 0, v97
	v_cmp_gt_i32_e64 s20, 0, v184
	v_not_b32_e32 v97, v184
	v_not_b32_e32 v184, v185
	v_dual_ashrrev_i32 v95, 31, v95 :: v_dual_ashrrev_i32 v96, 31, v96
	v_xor_b32_e32 v93, s16, v93
	v_xor_b32_e32 v94, s17, v94
	v_bitop3_b32 v90, v90, v91, exec_lo bitop3:0x80
	v_cmp_gt_i32_e64 s21, 0, v185
	v_dual_ashrrev_i32 v91, 31, v97 :: v_dual_ashrrev_i32 v97, 31, v184
	v_xor_b32_e32 v95, s18, v95
	v_xor_b32_e32 v96, s19, v96
	v_bitop3_b32 v90, v90, v94, v93 bitop3:0x80
	v_mad_u32_u24 v93, v92, 36, v148
	v_xor_b32_e32 v91, s20, v91
	v_xor_b32_e32 v94, s21, v97
	s_delay_alu instid0(VALU_DEP_4) | instskip(SKIP_3) | instid1(VALU_DEP_2)
	v_bitop3_b32 v90, v90, v96, v95 bitop3:0x80
	ds_load_b32 v184, v93 offset:1056
	; wave barrier
	v_bitop3_b32 v90, v90, v94, v91 bitop3:0x80
	v_mul_u32_u24_e32 v91, 36, v92
	v_mbcnt_lo_u32_b32 v185, v90, 0
	v_cmp_ne_u32_e64 s15, 0, v90
	s_delay_alu instid0(VALU_DEP_3) | instskip(NEXT) | instid1(VALU_DEP_3)
	v_add_nc_u32_e32 v186, v148, v91
	v_cmp_eq_u32_e32 vcc_lo, 0, v185
	s_and_b32 s16, s15, vcc_lo
	s_delay_alu instid0(SALU_CYCLE_1)
	s_and_saveexec_b32 s15, s16
	s_cbranch_execz .LBB1216_144
; %bb.143:                              ;   in Loop: Header=BB1216_96 Depth=2
	s_wait_dscnt 0x0
	v_bcnt_u32_b32 v90, v90, v184
	ds_store_b32 v186, v90 offset:1056
.LBB1216_144:                           ;   in Loop: Header=BB1216_96 Depth=2
	s_or_b32 exec_lo, exec_lo, s15
	v_cmp_lt_i64_e32 vcc_lo, -1, v[82:83]
	; wave barrier
	v_cndmask_b32_e64 v90, -1, 0x80000000, vcc_lo
	s_delay_alu instid0(VALU_DEP_1) | instskip(NEXT) | instid1(VALU_DEP_1)
	v_dual_ashrrev_i32 v91, 31, v83 :: v_dual_bitop2_b32 v83, v90, v83 bitop3:0x14
	v_xor_b32_e32 v82, v91, v82
	s_delay_alu instid0(VALU_DEP_1) | instskip(SKIP_2) | instid1(VALU_DEP_1)
	v_cmp_ne_u64_e32 vcc_lo, s[42:43], v[82:83]
	v_cndmask_b32_e32 v91, 0x80000000, v83, vcc_lo
	v_cndmask_b32_e32 v90, 0, v82, vcc_lo
	v_lshrrev_b64 v[90:91], s54, v[90:91]
	s_delay_alu instid0(VALU_DEP_1) | instskip(SKIP_1) | instid1(VALU_DEP_2)
	v_bitop3_b32 v91, v90, 1, s59 bitop3:0x80
	v_and_b32_e32 v92, s59, v90
	v_add_co_u32 v90, s15, v91, -1
	s_delay_alu instid0(VALU_DEP_1) | instskip(NEXT) | instid1(VALU_DEP_3)
	v_cndmask_b32_e64 v91, 0, 1, s15
	v_lshlrev_b32_e32 v93, 30, v92
	s_delay_alu instid0(VALU_DEP_2) | instskip(NEXT) | instid1(VALU_DEP_2)
	v_cmp_ne_u32_e32 vcc_lo, 0, v91
	v_not_b32_e32 v91, v93
	v_cmp_gt_i32_e64 s15, 0, v93
	s_delay_alu instid0(VALU_DEP_2) | instskip(SKIP_3) | instid1(VALU_DEP_4)
	v_dual_ashrrev_i32 v91, 31, v91 :: v_dual_lshlrev_b32 v94, 29, v92
	v_dual_lshlrev_b32 v95, 28, v92 :: v_dual_lshlrev_b32 v96, 27, v92
	v_dual_lshlrev_b32 v97, 26, v92 :: v_dual_lshlrev_b32 v187, 25, v92
	v_lshlrev_b32_e32 v188, 24, v92
	v_cmp_gt_i32_e64 s16, 0, v94
	v_not_b32_e32 v93, v94
	v_not_b32_e32 v94, v95
	v_cmp_gt_i32_e64 s17, 0, v95
	v_cmp_gt_i32_e64 s18, 0, v96
	v_not_b32_e32 v95, v96
	v_not_b32_e32 v96, v97
	v_dual_ashrrev_i32 v93, 31, v93 :: v_dual_bitop2_b32 v90, vcc_lo, v90 bitop3:0x14
	v_dual_ashrrev_i32 v94, 31, v94 :: v_dual_bitop2_b32 v91, s15, v91 bitop3:0x14
	v_cmp_gt_i32_e64 s19, 0, v97
	v_cmp_gt_i32_e64 s20, 0, v187
	v_not_b32_e32 v97, v187
	v_not_b32_e32 v187, v188
	v_dual_ashrrev_i32 v95, 31, v95 :: v_dual_ashrrev_i32 v96, 31, v96
	v_xor_b32_e32 v93, s16, v93
	v_xor_b32_e32 v94, s17, v94
	v_bitop3_b32 v90, v90, v91, exec_lo bitop3:0x80
	v_cmp_gt_i32_e64 s21, 0, v188
	v_dual_ashrrev_i32 v91, 31, v97 :: v_dual_ashrrev_i32 v97, 31, v187
	v_xor_b32_e32 v95, s18, v95
	v_xor_b32_e32 v96, s19, v96
	v_bitop3_b32 v90, v90, v94, v93 bitop3:0x80
	v_mad_u32_u24 v93, v92, 36, v148
	v_xor_b32_e32 v91, s20, v91
	v_xor_b32_e32 v94, s21, v97
	s_delay_alu instid0(VALU_DEP_4) | instskip(SKIP_3) | instid1(VALU_DEP_2)
	v_bitop3_b32 v90, v90, v96, v95 bitop3:0x80
	ds_load_b32 v187, v93 offset:1056
	; wave barrier
	v_bitop3_b32 v90, v90, v94, v91 bitop3:0x80
	v_mul_u32_u24_e32 v91, 36, v92
	v_mbcnt_lo_u32_b32 v188, v90, 0
	v_cmp_ne_u32_e64 s15, 0, v90
	s_delay_alu instid0(VALU_DEP_3) | instskip(NEXT) | instid1(VALU_DEP_3)
	v_add_nc_u32_e32 v189, v148, v91
	v_cmp_eq_u32_e32 vcc_lo, 0, v188
	s_and_b32 s16, s15, vcc_lo
	s_delay_alu instid0(SALU_CYCLE_1)
	s_and_saveexec_b32 s15, s16
	s_cbranch_execz .LBB1216_146
; %bb.145:                              ;   in Loop: Header=BB1216_96 Depth=2
	s_wait_dscnt 0x0
	v_bcnt_u32_b32 v90, v90, v187
	ds_store_b32 v189, v90 offset:1056
.LBB1216_146:                           ;   in Loop: Header=BB1216_96 Depth=2
	s_or_b32 exec_lo, exec_lo, s15
	v_cmp_lt_i64_e32 vcc_lo, -1, v[86:87]
	; wave barrier
	v_cndmask_b32_e64 v90, -1, 0x80000000, vcc_lo
	s_delay_alu instid0(VALU_DEP_1) | instskip(NEXT) | instid1(VALU_DEP_1)
	v_dual_ashrrev_i32 v91, 31, v87 :: v_dual_bitop2_b32 v87, v90, v87 bitop3:0x14
	v_xor_b32_e32 v86, v91, v86
	s_delay_alu instid0(VALU_DEP_1) | instskip(SKIP_2) | instid1(VALU_DEP_1)
	v_cmp_ne_u64_e32 vcc_lo, s[42:43], v[86:87]
	v_cndmask_b32_e32 v91, 0x80000000, v87, vcc_lo
	v_cndmask_b32_e32 v90, 0, v86, vcc_lo
	v_lshrrev_b64 v[90:91], s54, v[90:91]
	s_delay_alu instid0(VALU_DEP_1) | instskip(SKIP_1) | instid1(VALU_DEP_2)
	v_bitop3_b32 v91, v90, 1, s59 bitop3:0x80
	v_and_b32_e32 v92, s59, v90
	v_add_co_u32 v90, s15, v91, -1
	s_delay_alu instid0(VALU_DEP_1) | instskip(NEXT) | instid1(VALU_DEP_3)
	v_cndmask_b32_e64 v91, 0, 1, s15
	v_lshlrev_b32_e32 v93, 30, v92
	s_delay_alu instid0(VALU_DEP_2) | instskip(NEXT) | instid1(VALU_DEP_2)
	v_cmp_ne_u32_e32 vcc_lo, 0, v91
	v_not_b32_e32 v91, v93
	v_cmp_gt_i32_e64 s15, 0, v93
	s_delay_alu instid0(VALU_DEP_2) | instskip(SKIP_3) | instid1(VALU_DEP_4)
	v_dual_ashrrev_i32 v91, 31, v91 :: v_dual_lshlrev_b32 v94, 29, v92
	v_dual_lshlrev_b32 v95, 28, v92 :: v_dual_lshlrev_b32 v96, 27, v92
	v_dual_lshlrev_b32 v97, 26, v92 :: v_dual_lshlrev_b32 v190, 25, v92
	v_lshlrev_b32_e32 v191, 24, v92
	v_cmp_gt_i32_e64 s16, 0, v94
	v_not_b32_e32 v93, v94
	v_not_b32_e32 v94, v95
	v_cmp_gt_i32_e64 s17, 0, v95
	v_cmp_gt_i32_e64 s18, 0, v96
	v_not_b32_e32 v95, v96
	v_not_b32_e32 v96, v97
	v_dual_ashrrev_i32 v93, 31, v93 :: v_dual_bitop2_b32 v90, vcc_lo, v90 bitop3:0x14
	v_dual_ashrrev_i32 v94, 31, v94 :: v_dual_bitop2_b32 v91, s15, v91 bitop3:0x14
	v_cmp_gt_i32_e64 s19, 0, v97
	v_cmp_gt_i32_e64 s20, 0, v190
	v_not_b32_e32 v97, v190
	v_not_b32_e32 v190, v191
	v_dual_ashrrev_i32 v95, 31, v95 :: v_dual_ashrrev_i32 v96, 31, v96
	v_xor_b32_e32 v93, s16, v93
	v_xor_b32_e32 v94, s17, v94
	v_bitop3_b32 v90, v90, v91, exec_lo bitop3:0x80
	v_cmp_gt_i32_e64 s21, 0, v191
	v_dual_ashrrev_i32 v91, 31, v97 :: v_dual_ashrrev_i32 v97, 31, v190
	v_xor_b32_e32 v95, s18, v95
	v_xor_b32_e32 v96, s19, v96
	v_bitop3_b32 v90, v90, v94, v93 bitop3:0x80
	v_mad_u32_u24 v93, v92, 36, v148
	v_xor_b32_e32 v91, s20, v91
	v_xor_b32_e32 v94, s21, v97
	s_delay_alu instid0(VALU_DEP_4) | instskip(SKIP_3) | instid1(VALU_DEP_2)
	v_bitop3_b32 v90, v90, v96, v95 bitop3:0x80
	ds_load_b32 v190, v93 offset:1056
	; wave barrier
	v_bitop3_b32 v90, v90, v94, v91 bitop3:0x80
	v_mul_u32_u24_e32 v91, 36, v92
	v_mbcnt_lo_u32_b32 v191, v90, 0
	v_cmp_ne_u32_e64 s15, 0, v90
	s_delay_alu instid0(VALU_DEP_3) | instskip(NEXT) | instid1(VALU_DEP_3)
	v_add_nc_u32_e32 v192, v148, v91
	v_cmp_eq_u32_e32 vcc_lo, 0, v191
	s_and_b32 s16, s15, vcc_lo
	s_delay_alu instid0(SALU_CYCLE_1)
	s_and_saveexec_b32 s15, s16
	s_cbranch_execz .LBB1216_148
; %bb.147:                              ;   in Loop: Header=BB1216_96 Depth=2
	s_wait_dscnt 0x0
	v_bcnt_u32_b32 v90, v90, v190
	ds_store_b32 v192, v90 offset:1056
.LBB1216_148:                           ;   in Loop: Header=BB1216_96 Depth=2
	s_or_b32 exec_lo, exec_lo, s15
	v_cmp_lt_i64_e32 vcc_lo, -1, v[88:89]
	; wave barrier
	v_cndmask_b32_e64 v90, -1, 0x80000000, vcc_lo
	s_delay_alu instid0(VALU_DEP_1) | instskip(NEXT) | instid1(VALU_DEP_1)
	v_dual_ashrrev_i32 v91, 31, v89 :: v_dual_bitop2_b32 v89, v90, v89 bitop3:0x14
	v_xor_b32_e32 v88, v91, v88
	s_delay_alu instid0(VALU_DEP_1) | instskip(SKIP_2) | instid1(VALU_DEP_1)
	v_cmp_ne_u64_e32 vcc_lo, s[42:43], v[88:89]
	v_cndmask_b32_e32 v91, 0x80000000, v89, vcc_lo
	v_cndmask_b32_e32 v90, 0, v88, vcc_lo
	v_lshrrev_b64 v[90:91], s54, v[90:91]
	s_delay_alu instid0(VALU_DEP_1) | instskip(SKIP_1) | instid1(VALU_DEP_2)
	v_bitop3_b32 v91, v90, 1, s59 bitop3:0x80
	v_and_b32_e32 v92, s59, v90
	v_add_co_u32 v90, s15, v91, -1
	s_delay_alu instid0(VALU_DEP_1) | instskip(NEXT) | instid1(VALU_DEP_3)
	v_cndmask_b32_e64 v91, 0, 1, s15
	v_dual_lshlrev_b32 v93, 30, v92 :: v_dual_lshlrev_b32 v95, 28, v92
	v_dual_lshlrev_b32 v94, 29, v92 :: v_dual_lshlrev_b32 v96, 27, v92
	s_delay_alu instid0(VALU_DEP_3) | instskip(NEXT) | instid1(VALU_DEP_3)
	v_cmp_ne_u32_e32 vcc_lo, 0, v91
	v_cmp_gt_i32_e64 s15, 0, v93
	v_not_b32_e32 v91, v93
	s_delay_alu instid0(VALU_DEP_4) | instskip(SKIP_4) | instid1(VALU_DEP_4)
	v_cmp_gt_i32_e64 s16, 0, v94
	v_not_b32_e32 v93, v94
	v_cmp_gt_i32_e64 s17, 0, v95
	v_not_b32_e32 v94, v95
	v_not_b32_e32 v95, v96
	v_dual_ashrrev_i32 v91, 31, v91 :: v_dual_ashrrev_i32 v93, 31, v93
	s_delay_alu instid0(VALU_DEP_2) | instskip(SKIP_4) | instid1(VALU_DEP_4)
	v_dual_ashrrev_i32 v94, 31, v94 :: v_dual_ashrrev_i32 v95, 31, v95
	v_dual_lshlrev_b32 v97, 26, v92 :: v_dual_lshlrev_b32 v193, 25, v92
	v_lshlrev_b32_e32 v194, 24, v92
	v_cmp_gt_i32_e64 s18, 0, v96
	v_xor_b32_e32 v91, s15, v91
	v_not_b32_e32 v96, v97
	v_xor_b32_e32 v90, vcc_lo, v90
	v_cmp_gt_i32_e64 s19, 0, v97
	v_cmp_gt_i32_e64 s20, 0, v193
	v_not_b32_e32 v97, v193
	v_not_b32_e32 v193, v194
	v_dual_ashrrev_i32 v96, 31, v96 :: v_dual_bitop2_b32 v93, s16, v93 bitop3:0x14
	v_xor_b32_e32 v94, s17, v94
	v_bitop3_b32 v90, v90, v91, exec_lo bitop3:0x80
	v_cmp_gt_i32_e64 s21, 0, v194
	v_ashrrev_i32_e32 v91, 31, v97
	v_dual_ashrrev_i32 v97, 31, v193 :: v_dual_bitop2_b32 v95, s18, v95 bitop3:0x14
	v_xor_b32_e32 v96, s19, v96
	v_bitop3_b32 v90, v90, v94, v93 bitop3:0x80
	v_mad_u32_u24 v93, v92, 36, v148
	v_xor_b32_e32 v91, s20, v91
	v_xor_b32_e32 v94, s21, v97
	s_delay_alu instid0(VALU_DEP_4) | instskip(SKIP_3) | instid1(VALU_DEP_2)
	v_bitop3_b32 v90, v90, v96, v95 bitop3:0x80
	ds_load_b32 v193, v93 offset:1056
	; wave barrier
	v_bitop3_b32 v90, v90, v94, v91 bitop3:0x80
	v_mul_u32_u24_e32 v91, 36, v92
	v_mbcnt_lo_u32_b32 v194, v90, 0
	v_cmp_ne_u32_e64 s15, 0, v90
	s_delay_alu instid0(VALU_DEP_3) | instskip(NEXT) | instid1(VALU_DEP_3)
	v_add_nc_u32_e32 v195, v148, v91
	v_cmp_eq_u32_e32 vcc_lo, 0, v194
	s_and_b32 s16, s15, vcc_lo
	s_delay_alu instid0(SALU_CYCLE_1)
	s_and_saveexec_b32 s15, s16
	s_cbranch_execz .LBB1216_150
; %bb.149:                              ;   in Loop: Header=BB1216_96 Depth=2
	s_wait_dscnt 0x0
	v_bcnt_u32_b32 v90, v90, v193
	ds_store_b32 v195, v90 offset:1056
.LBB1216_150:                           ;   in Loop: Header=BB1216_96 Depth=2
	s_or_b32 exec_lo, exec_lo, s15
	v_cmp_lt_i64_e32 vcc_lo, -1, v[84:85]
	; wave barrier
	v_cndmask_b32_e64 v90, -1, 0x80000000, vcc_lo
	s_delay_alu instid0(VALU_DEP_1) | instskip(NEXT) | instid1(VALU_DEP_1)
	v_dual_ashrrev_i32 v91, 31, v85 :: v_dual_bitop2_b32 v85, v90, v85 bitop3:0x14
	v_xor_b32_e32 v84, v91, v84
	s_delay_alu instid0(VALU_DEP_1) | instskip(SKIP_2) | instid1(VALU_DEP_1)
	v_cmp_ne_u64_e32 vcc_lo, s[42:43], v[84:85]
	v_cndmask_b32_e32 v91, 0x80000000, v85, vcc_lo
	v_cndmask_b32_e32 v90, 0, v84, vcc_lo
	v_lshrrev_b64 v[90:91], s54, v[90:91]
	s_delay_alu instid0(VALU_DEP_1) | instskip(SKIP_1) | instid1(VALU_DEP_2)
	v_bitop3_b32 v91, v90, 1, s59 bitop3:0x80
	v_and_b32_e32 v92, s59, v90
	v_add_co_u32 v90, s15, v91, -1
	s_delay_alu instid0(VALU_DEP_1) | instskip(NEXT) | instid1(VALU_DEP_3)
	v_cndmask_b32_e64 v91, 0, 1, s15
	v_dual_lshlrev_b32 v93, 30, v92 :: v_dual_lshlrev_b32 v95, 28, v92
	v_dual_lshlrev_b32 v94, 29, v92 :: v_dual_lshlrev_b32 v96, 27, v92
	s_delay_alu instid0(VALU_DEP_3) | instskip(NEXT) | instid1(VALU_DEP_3)
	v_cmp_ne_u32_e32 vcc_lo, 0, v91
	v_cmp_gt_i32_e64 s15, 0, v93
	v_not_b32_e32 v91, v93
	s_delay_alu instid0(VALU_DEP_4) | instskip(SKIP_4) | instid1(VALU_DEP_4)
	v_cmp_gt_i32_e64 s16, 0, v94
	v_not_b32_e32 v93, v94
	v_cmp_gt_i32_e64 s17, 0, v95
	v_not_b32_e32 v94, v95
	v_not_b32_e32 v95, v96
	v_dual_ashrrev_i32 v91, 31, v91 :: v_dual_ashrrev_i32 v93, 31, v93
	s_delay_alu instid0(VALU_DEP_2) | instskip(SKIP_4) | instid1(VALU_DEP_4)
	v_dual_ashrrev_i32 v94, 31, v94 :: v_dual_ashrrev_i32 v95, 31, v95
	v_dual_lshlrev_b32 v97, 26, v92 :: v_dual_lshlrev_b32 v196, 25, v92
	v_lshlrev_b32_e32 v197, 24, v92
	v_cmp_gt_i32_e64 s18, 0, v96
	v_xor_b32_e32 v91, s15, v91
	v_not_b32_e32 v96, v97
	v_xor_b32_e32 v90, vcc_lo, v90
	v_cmp_gt_i32_e64 s19, 0, v97
	v_cmp_gt_i32_e64 s20, 0, v196
	v_not_b32_e32 v97, v196
	v_not_b32_e32 v196, v197
	v_dual_ashrrev_i32 v96, 31, v96 :: v_dual_bitop2_b32 v93, s16, v93 bitop3:0x14
	v_xor_b32_e32 v94, s17, v94
	v_bitop3_b32 v90, v90, v91, exec_lo bitop3:0x80
	v_cmp_gt_i32_e64 s21, 0, v197
	v_dual_ashrrev_i32 v91, 31, v97 :: v_dual_ashrrev_i32 v97, 31, v196
	v_xor_b32_e32 v95, s18, v95
	v_xor_b32_e32 v96, s19, v96
	v_bitop3_b32 v90, v90, v94, v93 bitop3:0x80
	v_mad_u32_u24 v93, v92, 36, v148
	v_xor_b32_e32 v91, s20, v91
	v_xor_b32_e32 v94, s21, v97
	s_delay_alu instid0(VALU_DEP_4) | instskip(SKIP_3) | instid1(VALU_DEP_2)
	v_bitop3_b32 v90, v90, v96, v95 bitop3:0x80
	ds_load_b32 v196, v93 offset:1056
	; wave barrier
	v_bitop3_b32 v90, v90, v94, v91 bitop3:0x80
	v_mul_u32_u24_e32 v91, 36, v92
	v_mbcnt_lo_u32_b32 v197, v90, 0
	v_cmp_ne_u32_e64 s15, 0, v90
	s_delay_alu instid0(VALU_DEP_3) | instskip(NEXT) | instid1(VALU_DEP_3)
	v_add_nc_u32_e32 v198, v148, v91
	v_cmp_eq_u32_e32 vcc_lo, 0, v197
	s_and_b32 s16, s15, vcc_lo
	s_delay_alu instid0(SALU_CYCLE_1)
	s_and_saveexec_b32 s15, s16
	s_cbranch_execz .LBB1216_152
; %bb.151:                              ;   in Loop: Header=BB1216_96 Depth=2
	s_wait_dscnt 0x0
	v_bcnt_u32_b32 v90, v90, v196
	ds_store_b32 v198, v90 offset:1056
.LBB1216_152:                           ;   in Loop: Header=BB1216_96 Depth=2
	s_or_b32 exec_lo, exec_lo, s15
	v_cmp_lt_i64_e32 vcc_lo, -1, v[80:81]
	; wave barrier
	v_cndmask_b32_e64 v90, -1, 0x80000000, vcc_lo
	s_delay_alu instid0(VALU_DEP_1) | instskip(NEXT) | instid1(VALU_DEP_1)
	v_dual_ashrrev_i32 v91, 31, v81 :: v_dual_bitop2_b32 v81, v90, v81 bitop3:0x14
	v_xor_b32_e32 v80, v91, v80
	s_delay_alu instid0(VALU_DEP_1) | instskip(SKIP_2) | instid1(VALU_DEP_1)
	v_cmp_ne_u64_e32 vcc_lo, s[42:43], v[80:81]
	v_cndmask_b32_e32 v91, 0x80000000, v81, vcc_lo
	v_cndmask_b32_e32 v90, 0, v80, vcc_lo
	v_lshrrev_b64 v[90:91], s54, v[90:91]
	s_delay_alu instid0(VALU_DEP_1) | instskip(SKIP_1) | instid1(VALU_DEP_2)
	v_bitop3_b32 v91, v90, 1, s59 bitop3:0x80
	v_and_b32_e32 v92, s59, v90
	v_add_co_u32 v90, s15, v91, -1
	s_delay_alu instid0(VALU_DEP_1) | instskip(NEXT) | instid1(VALU_DEP_3)
	v_cndmask_b32_e64 v91, 0, 1, s15
	v_dual_lshlrev_b32 v93, 30, v92 :: v_dual_lshlrev_b32 v95, 28, v92
	v_dual_lshlrev_b32 v94, 29, v92 :: v_dual_lshlrev_b32 v96, 27, v92
	s_delay_alu instid0(VALU_DEP_3) | instskip(NEXT) | instid1(VALU_DEP_3)
	v_cmp_ne_u32_e32 vcc_lo, 0, v91
	v_cmp_gt_i32_e64 s15, 0, v93
	v_not_b32_e32 v91, v93
	s_delay_alu instid0(VALU_DEP_4) | instskip(SKIP_4) | instid1(VALU_DEP_4)
	v_cmp_gt_i32_e64 s16, 0, v94
	v_not_b32_e32 v93, v94
	v_cmp_gt_i32_e64 s17, 0, v95
	v_not_b32_e32 v94, v95
	v_not_b32_e32 v95, v96
	v_dual_ashrrev_i32 v91, 31, v91 :: v_dual_ashrrev_i32 v93, 31, v93
	s_delay_alu instid0(VALU_DEP_2) | instskip(SKIP_4) | instid1(VALU_DEP_4)
	v_dual_ashrrev_i32 v94, 31, v94 :: v_dual_ashrrev_i32 v95, 31, v95
	v_dual_lshlrev_b32 v97, 26, v92 :: v_dual_lshlrev_b32 v199, 25, v92
	v_lshlrev_b32_e32 v200, 24, v92
	v_cmp_gt_i32_e64 s18, 0, v96
	v_xor_b32_e32 v91, s15, v91
	v_not_b32_e32 v96, v97
	v_xor_b32_e32 v90, vcc_lo, v90
	v_cmp_gt_i32_e64 s19, 0, v97
	v_cmp_gt_i32_e64 s20, 0, v199
	v_not_b32_e32 v97, v199
	v_not_b32_e32 v199, v200
	v_dual_ashrrev_i32 v96, 31, v96 :: v_dual_bitop2_b32 v93, s16, v93 bitop3:0x14
	v_xor_b32_e32 v94, s17, v94
	v_bitop3_b32 v90, v90, v91, exec_lo bitop3:0x80
	v_cmp_gt_i32_e64 s21, 0, v200
	v_dual_ashrrev_i32 v91, 31, v97 :: v_dual_ashrrev_i32 v97, 31, v199
	v_xor_b32_e32 v95, s18, v95
	v_xor_b32_e32 v96, s19, v96
	v_bitop3_b32 v90, v90, v94, v93 bitop3:0x80
	v_mad_u32_u24 v93, v92, 36, v148
	v_xor_b32_e32 v91, s20, v91
	v_xor_b32_e32 v94, s21, v97
	s_delay_alu instid0(VALU_DEP_4) | instskip(SKIP_3) | instid1(VALU_DEP_2)
	v_bitop3_b32 v90, v90, v96, v95 bitop3:0x80
	ds_load_b32 v199, v93 offset:1056
	; wave barrier
	v_bitop3_b32 v90, v90, v94, v91 bitop3:0x80
	v_mul_u32_u24_e32 v91, 36, v92
	v_mbcnt_lo_u32_b32 v200, v90, 0
	v_cmp_ne_u32_e64 s15, 0, v90
	s_delay_alu instid0(VALU_DEP_3) | instskip(NEXT) | instid1(VALU_DEP_3)
	v_add_nc_u32_e32 v201, v148, v91
	v_cmp_eq_u32_e32 vcc_lo, 0, v200
	s_and_b32 s16, s15, vcc_lo
	s_delay_alu instid0(SALU_CYCLE_1)
	s_and_saveexec_b32 s15, s16
	s_cbranch_execz .LBB1216_154
; %bb.153:                              ;   in Loop: Header=BB1216_96 Depth=2
	s_wait_dscnt 0x0
	v_bcnt_u32_b32 v90, v90, v199
	ds_store_b32 v201, v90 offset:1056
.LBB1216_154:                           ;   in Loop: Header=BB1216_96 Depth=2
	s_or_b32 exec_lo, exec_lo, s15
	v_cmp_lt_i64_e32 vcc_lo, -1, v[76:77]
	; wave barrier
	v_cndmask_b32_e64 v90, -1, 0x80000000, vcc_lo
	s_delay_alu instid0(VALU_DEP_1) | instskip(NEXT) | instid1(VALU_DEP_1)
	v_dual_ashrrev_i32 v91, 31, v77 :: v_dual_bitop2_b32 v77, v90, v77 bitop3:0x14
	v_xor_b32_e32 v76, v91, v76
	s_delay_alu instid0(VALU_DEP_1) | instskip(SKIP_2) | instid1(VALU_DEP_1)
	v_cmp_ne_u64_e32 vcc_lo, s[42:43], v[76:77]
	v_cndmask_b32_e32 v91, 0x80000000, v77, vcc_lo
	v_cndmask_b32_e32 v90, 0, v76, vcc_lo
	v_lshrrev_b64 v[90:91], s54, v[90:91]
	s_delay_alu instid0(VALU_DEP_1) | instskip(SKIP_1) | instid1(VALU_DEP_2)
	v_bitop3_b32 v91, v90, 1, s59 bitop3:0x80
	v_and_b32_e32 v92, s59, v90
	v_add_co_u32 v90, s15, v91, -1
	s_delay_alu instid0(VALU_DEP_1) | instskip(NEXT) | instid1(VALU_DEP_3)
	v_cndmask_b32_e64 v91, 0, 1, s15
	v_dual_lshlrev_b32 v93, 30, v92 :: v_dual_lshlrev_b32 v95, 28, v92
	v_dual_lshlrev_b32 v94, 29, v92 :: v_dual_lshlrev_b32 v96, 27, v92
	s_delay_alu instid0(VALU_DEP_3) | instskip(NEXT) | instid1(VALU_DEP_3)
	v_cmp_ne_u32_e32 vcc_lo, 0, v91
	v_cmp_gt_i32_e64 s15, 0, v93
	v_not_b32_e32 v91, v93
	s_delay_alu instid0(VALU_DEP_4) | instskip(SKIP_4) | instid1(VALU_DEP_4)
	v_cmp_gt_i32_e64 s16, 0, v94
	v_not_b32_e32 v93, v94
	v_cmp_gt_i32_e64 s17, 0, v95
	v_not_b32_e32 v94, v95
	v_not_b32_e32 v95, v96
	v_dual_ashrrev_i32 v91, 31, v91 :: v_dual_ashrrev_i32 v93, 31, v93
	s_delay_alu instid0(VALU_DEP_2) | instskip(SKIP_4) | instid1(VALU_DEP_4)
	v_dual_ashrrev_i32 v94, 31, v94 :: v_dual_ashrrev_i32 v95, 31, v95
	v_dual_lshlrev_b32 v97, 26, v92 :: v_dual_lshlrev_b32 v202, 25, v92
	v_lshlrev_b32_e32 v203, 24, v92
	v_cmp_gt_i32_e64 s18, 0, v96
	v_xor_b32_e32 v91, s15, v91
	v_not_b32_e32 v96, v97
	v_xor_b32_e32 v90, vcc_lo, v90
	v_cmp_gt_i32_e64 s19, 0, v97
	v_cmp_gt_i32_e64 s20, 0, v202
	v_not_b32_e32 v97, v202
	v_not_b32_e32 v202, v203
	v_dual_ashrrev_i32 v96, 31, v96 :: v_dual_bitop2_b32 v93, s16, v93 bitop3:0x14
	v_xor_b32_e32 v94, s17, v94
	v_bitop3_b32 v90, v90, v91, exec_lo bitop3:0x80
	v_cmp_gt_i32_e64 s21, 0, v203
	v_dual_ashrrev_i32 v91, 31, v97 :: v_dual_ashrrev_i32 v97, 31, v202
	v_xor_b32_e32 v95, s18, v95
	v_xor_b32_e32 v96, s19, v96
	v_bitop3_b32 v90, v90, v94, v93 bitop3:0x80
	v_mad_u32_u24 v93, v92, 36, v148
	v_xor_b32_e32 v91, s20, v91
	v_xor_b32_e32 v94, s21, v97
	s_delay_alu instid0(VALU_DEP_4) | instskip(SKIP_3) | instid1(VALU_DEP_2)
	v_bitop3_b32 v90, v90, v96, v95 bitop3:0x80
	ds_load_b32 v202, v93 offset:1056
	; wave barrier
	v_bitop3_b32 v90, v90, v94, v91 bitop3:0x80
	v_mul_u32_u24_e32 v91, 36, v92
	v_mbcnt_lo_u32_b32 v203, v90, 0
	v_cmp_ne_u32_e64 s15, 0, v90
	s_delay_alu instid0(VALU_DEP_3) | instskip(NEXT) | instid1(VALU_DEP_3)
	v_add_nc_u32_e32 v204, v148, v91
	v_cmp_eq_u32_e32 vcc_lo, 0, v203
	s_and_b32 s16, s15, vcc_lo
	s_delay_alu instid0(SALU_CYCLE_1)
	s_and_saveexec_b32 s15, s16
	s_cbranch_execz .LBB1216_156
; %bb.155:                              ;   in Loop: Header=BB1216_96 Depth=2
	s_wait_dscnt 0x0
	v_bcnt_u32_b32 v90, v90, v202
	ds_store_b32 v204, v90 offset:1056
.LBB1216_156:                           ;   in Loop: Header=BB1216_96 Depth=2
	s_or_b32 exec_lo, exec_lo, s15
	v_cmp_lt_i64_e32 vcc_lo, -1, v[72:73]
	; wave barrier
	v_cndmask_b32_e64 v90, -1, 0x80000000, vcc_lo
	s_delay_alu instid0(VALU_DEP_1) | instskip(NEXT) | instid1(VALU_DEP_1)
	v_dual_ashrrev_i32 v91, 31, v73 :: v_dual_bitop2_b32 v73, v90, v73 bitop3:0x14
	v_xor_b32_e32 v72, v91, v72
	s_delay_alu instid0(VALU_DEP_1) | instskip(SKIP_2) | instid1(VALU_DEP_1)
	v_cmp_ne_u64_e32 vcc_lo, s[42:43], v[72:73]
	v_cndmask_b32_e32 v91, 0x80000000, v73, vcc_lo
	v_cndmask_b32_e32 v90, 0, v72, vcc_lo
	v_lshrrev_b64 v[90:91], s54, v[90:91]
	s_delay_alu instid0(VALU_DEP_1) | instskip(SKIP_1) | instid1(VALU_DEP_2)
	v_bitop3_b32 v91, v90, 1, s59 bitop3:0x80
	v_and_b32_e32 v92, s59, v90
	v_add_co_u32 v90, s15, v91, -1
	s_delay_alu instid0(VALU_DEP_1) | instskip(NEXT) | instid1(VALU_DEP_3)
	v_cndmask_b32_e64 v91, 0, 1, s15
	v_dual_lshlrev_b32 v93, 30, v92 :: v_dual_lshlrev_b32 v95, 28, v92
	v_dual_lshlrev_b32 v94, 29, v92 :: v_dual_lshlrev_b32 v96, 27, v92
	s_delay_alu instid0(VALU_DEP_3) | instskip(NEXT) | instid1(VALU_DEP_3)
	v_cmp_ne_u32_e32 vcc_lo, 0, v91
	v_cmp_gt_i32_e64 s15, 0, v93
	v_not_b32_e32 v91, v93
	s_delay_alu instid0(VALU_DEP_4) | instskip(SKIP_4) | instid1(VALU_DEP_4)
	v_cmp_gt_i32_e64 s16, 0, v94
	v_not_b32_e32 v93, v94
	v_cmp_gt_i32_e64 s17, 0, v95
	v_not_b32_e32 v94, v95
	v_not_b32_e32 v95, v96
	v_dual_ashrrev_i32 v91, 31, v91 :: v_dual_ashrrev_i32 v93, 31, v93
	s_delay_alu instid0(VALU_DEP_2) | instskip(SKIP_4) | instid1(VALU_DEP_4)
	v_dual_ashrrev_i32 v94, 31, v94 :: v_dual_ashrrev_i32 v95, 31, v95
	v_dual_lshlrev_b32 v97, 26, v92 :: v_dual_lshlrev_b32 v205, 25, v92
	v_lshlrev_b32_e32 v206, 24, v92
	v_cmp_gt_i32_e64 s18, 0, v96
	v_xor_b32_e32 v91, s15, v91
	v_not_b32_e32 v96, v97
	v_xor_b32_e32 v90, vcc_lo, v90
	v_cmp_gt_i32_e64 s19, 0, v97
	v_cmp_gt_i32_e64 s20, 0, v205
	v_not_b32_e32 v97, v205
	v_not_b32_e32 v205, v206
	v_dual_ashrrev_i32 v96, 31, v96 :: v_dual_bitop2_b32 v93, s16, v93 bitop3:0x14
	v_xor_b32_e32 v94, s17, v94
	v_bitop3_b32 v90, v90, v91, exec_lo bitop3:0x80
	v_cmp_gt_i32_e64 s21, 0, v206
	v_ashrrev_i32_e32 v91, 31, v97
	v_dual_ashrrev_i32 v97, 31, v205 :: v_dual_bitop2_b32 v95, s18, v95 bitop3:0x14
	v_xor_b32_e32 v96, s19, v96
	v_bitop3_b32 v90, v90, v94, v93 bitop3:0x80
	v_mad_u32_u24 v93, v92, 36, v148
	v_xor_b32_e32 v91, s20, v91
	v_xor_b32_e32 v94, s21, v97
	s_delay_alu instid0(VALU_DEP_4) | instskip(SKIP_3) | instid1(VALU_DEP_2)
	v_bitop3_b32 v90, v90, v96, v95 bitop3:0x80
	ds_load_b32 v205, v93 offset:1056
	; wave barrier
	v_bitop3_b32 v90, v90, v94, v91 bitop3:0x80
	v_mul_u32_u24_e32 v91, 36, v92
	v_mbcnt_lo_u32_b32 v206, v90, 0
	v_cmp_ne_u32_e64 s15, 0, v90
	s_delay_alu instid0(VALU_DEP_3) | instskip(NEXT) | instid1(VALU_DEP_3)
	v_add_nc_u32_e32 v208, v148, v91
	v_cmp_eq_u32_e32 vcc_lo, 0, v206
	s_and_b32 s16, s15, vcc_lo
	s_delay_alu instid0(SALU_CYCLE_1)
	s_and_saveexec_b32 s15, s16
	s_cbranch_execz .LBB1216_158
; %bb.157:                              ;   in Loop: Header=BB1216_96 Depth=2
	s_wait_dscnt 0x0
	v_bcnt_u32_b32 v90, v90, v205
	ds_store_b32 v208, v90 offset:1056
.LBB1216_158:                           ;   in Loop: Header=BB1216_96 Depth=2
	s_or_b32 exec_lo, exec_lo, s15
	v_cmp_lt_i64_e32 vcc_lo, -1, v[68:69]
	; wave barrier
	v_cndmask_b32_e64 v90, -1, 0x80000000, vcc_lo
	s_delay_alu instid0(VALU_DEP_1) | instskip(NEXT) | instid1(VALU_DEP_1)
	v_dual_ashrrev_i32 v91, 31, v69 :: v_dual_bitop2_b32 v69, v90, v69 bitop3:0x14
	v_xor_b32_e32 v68, v91, v68
	s_delay_alu instid0(VALU_DEP_1) | instskip(SKIP_2) | instid1(VALU_DEP_1)
	v_cmp_ne_u64_e32 vcc_lo, s[42:43], v[68:69]
	v_cndmask_b32_e32 v91, 0x80000000, v69, vcc_lo
	v_cndmask_b32_e32 v90, 0, v68, vcc_lo
	v_lshrrev_b64 v[90:91], s54, v[90:91]
	s_delay_alu instid0(VALU_DEP_1) | instskip(SKIP_1) | instid1(VALU_DEP_2)
	v_bitop3_b32 v91, v90, 1, s59 bitop3:0x80
	v_and_b32_e32 v92, s59, v90
	v_add_co_u32 v90, s15, v91, -1
	s_delay_alu instid0(VALU_DEP_1) | instskip(NEXT) | instid1(VALU_DEP_3)
	v_cndmask_b32_e64 v91, 0, 1, s15
	v_dual_lshlrev_b32 v93, 30, v92 :: v_dual_lshlrev_b32 v95, 28, v92
	v_dual_lshlrev_b32 v94, 29, v92 :: v_dual_lshlrev_b32 v96, 27, v92
	s_delay_alu instid0(VALU_DEP_3) | instskip(NEXT) | instid1(VALU_DEP_3)
	v_cmp_ne_u32_e32 vcc_lo, 0, v91
	v_cmp_gt_i32_e64 s15, 0, v93
	v_not_b32_e32 v91, v93
	s_delay_alu instid0(VALU_DEP_4) | instskip(SKIP_4) | instid1(VALU_DEP_4)
	v_cmp_gt_i32_e64 s16, 0, v94
	v_not_b32_e32 v93, v94
	v_cmp_gt_i32_e64 s17, 0, v95
	v_not_b32_e32 v94, v95
	v_not_b32_e32 v95, v96
	v_dual_ashrrev_i32 v91, 31, v91 :: v_dual_ashrrev_i32 v93, 31, v93
	s_delay_alu instid0(VALU_DEP_2) | instskip(SKIP_4) | instid1(VALU_DEP_4)
	v_dual_ashrrev_i32 v94, 31, v94 :: v_dual_ashrrev_i32 v95, 31, v95
	v_dual_lshlrev_b32 v97, 26, v92 :: v_dual_lshlrev_b32 v207, 25, v92
	v_lshlrev_b32_e32 v209, 24, v92
	v_cmp_gt_i32_e64 s18, 0, v96
	v_xor_b32_e32 v91, s15, v91
	v_not_b32_e32 v96, v97
	v_xor_b32_e32 v90, vcc_lo, v90
	v_cmp_gt_i32_e64 s19, 0, v97
	v_cmp_gt_i32_e64 s20, 0, v207
	v_not_b32_e32 v97, v207
	v_not_b32_e32 v207, v209
	v_dual_ashrrev_i32 v96, 31, v96 :: v_dual_bitop2_b32 v93, s16, v93 bitop3:0x14
	v_xor_b32_e32 v94, s17, v94
	v_bitop3_b32 v90, v90, v91, exec_lo bitop3:0x80
	v_cmp_gt_i32_e64 s21, 0, v209
	v_dual_ashrrev_i32 v91, 31, v97 :: v_dual_ashrrev_i32 v97, 31, v207
	v_xor_b32_e32 v95, s18, v95
	v_xor_b32_e32 v96, s19, v96
	v_bitop3_b32 v90, v90, v94, v93 bitop3:0x80
	v_mad_u32_u24 v93, v92, 36, v148
	v_xor_b32_e32 v91, s20, v91
	v_xor_b32_e32 v94, s21, v97
	s_delay_alu instid0(VALU_DEP_4) | instskip(SKIP_3) | instid1(VALU_DEP_2)
	v_bitop3_b32 v90, v90, v96, v95 bitop3:0x80
	ds_load_b32 v207, v93 offset:1056
	; wave barrier
	v_bitop3_b32 v90, v90, v94, v91 bitop3:0x80
	v_mul_u32_u24_e32 v91, 36, v92
	v_mbcnt_lo_u32_b32 v209, v90, 0
	v_cmp_ne_u32_e64 s15, 0, v90
	s_delay_alu instid0(VALU_DEP_3) | instskip(NEXT) | instid1(VALU_DEP_3)
	v_add_nc_u32_e32 v212, v148, v91
	v_cmp_eq_u32_e32 vcc_lo, 0, v209
	s_and_b32 s16, s15, vcc_lo
	s_delay_alu instid0(SALU_CYCLE_1)
	s_and_saveexec_b32 s15, s16
	s_cbranch_execz .LBB1216_160
; %bb.159:                              ;   in Loop: Header=BB1216_96 Depth=2
	s_wait_dscnt 0x0
	v_bcnt_u32_b32 v90, v90, v207
	ds_store_b32 v212, v90 offset:1056
.LBB1216_160:                           ;   in Loop: Header=BB1216_96 Depth=2
	s_or_b32 exec_lo, exec_lo, s15
	v_cmp_lt_i64_e32 vcc_lo, -1, v[64:65]
	; wave barrier
	v_cndmask_b32_e64 v90, -1, 0x80000000, vcc_lo
	s_delay_alu instid0(VALU_DEP_1) | instskip(NEXT) | instid1(VALU_DEP_1)
	v_dual_ashrrev_i32 v91, 31, v65 :: v_dual_bitop2_b32 v65, v90, v65 bitop3:0x14
	v_xor_b32_e32 v64, v91, v64
	s_delay_alu instid0(VALU_DEP_1) | instskip(SKIP_2) | instid1(VALU_DEP_1)
	v_cmp_ne_u64_e32 vcc_lo, s[42:43], v[64:65]
	v_cndmask_b32_e32 v91, 0x80000000, v65, vcc_lo
	v_cndmask_b32_e32 v90, 0, v64, vcc_lo
	v_lshrrev_b64 v[90:91], s54, v[90:91]
	s_delay_alu instid0(VALU_DEP_1) | instskip(SKIP_1) | instid1(VALU_DEP_2)
	v_bitop3_b32 v91, v90, 1, s59 bitop3:0x80
	v_and_b32_e32 v92, s59, v90
	v_add_co_u32 v90, s15, v91, -1
	s_delay_alu instid0(VALU_DEP_1) | instskip(NEXT) | instid1(VALU_DEP_3)
	v_cndmask_b32_e64 v91, 0, 1, s15
	v_dual_lshlrev_b32 v93, 30, v92 :: v_dual_lshlrev_b32 v95, 28, v92
	v_dual_lshlrev_b32 v94, 29, v92 :: v_dual_lshlrev_b32 v96, 27, v92
	s_delay_alu instid0(VALU_DEP_3) | instskip(NEXT) | instid1(VALU_DEP_3)
	v_cmp_ne_u32_e32 vcc_lo, 0, v91
	v_cmp_gt_i32_e64 s15, 0, v93
	v_not_b32_e32 v91, v93
	s_delay_alu instid0(VALU_DEP_4) | instskip(SKIP_4) | instid1(VALU_DEP_4)
	v_cmp_gt_i32_e64 s16, 0, v94
	v_not_b32_e32 v93, v94
	v_cmp_gt_i32_e64 s17, 0, v95
	v_not_b32_e32 v94, v95
	v_not_b32_e32 v95, v96
	v_dual_ashrrev_i32 v91, 31, v91 :: v_dual_ashrrev_i32 v93, 31, v93
	s_delay_alu instid0(VALU_DEP_2) | instskip(SKIP_4) | instid1(VALU_DEP_4)
	v_dual_ashrrev_i32 v94, 31, v94 :: v_dual_ashrrev_i32 v95, 31, v95
	v_dual_lshlrev_b32 v97, 26, v92 :: v_dual_lshlrev_b32 v210, 25, v92
	v_lshlrev_b32_e32 v211, 24, v92
	v_cmp_gt_i32_e64 s18, 0, v96
	v_xor_b32_e32 v91, s15, v91
	v_not_b32_e32 v96, v97
	v_xor_b32_e32 v90, vcc_lo, v90
	v_cmp_gt_i32_e64 s19, 0, v97
	v_cmp_gt_i32_e64 s20, 0, v210
	v_not_b32_e32 v97, v210
	v_not_b32_e32 v210, v211
	v_dual_ashrrev_i32 v96, 31, v96 :: v_dual_bitop2_b32 v93, s16, v93 bitop3:0x14
	v_xor_b32_e32 v94, s17, v94
	v_bitop3_b32 v90, v90, v91, exec_lo bitop3:0x80
	v_cmp_gt_i32_e64 s21, 0, v211
	v_dual_ashrrev_i32 v91, 31, v97 :: v_dual_ashrrev_i32 v97, 31, v210
	v_xor_b32_e32 v95, s18, v95
	v_xor_b32_e32 v96, s19, v96
	v_bitop3_b32 v90, v90, v94, v93 bitop3:0x80
	v_mad_u32_u24 v93, v92, 36, v148
	v_xor_b32_e32 v91, s20, v91
	v_xor_b32_e32 v94, s21, v97
	s_delay_alu instid0(VALU_DEP_4) | instskip(SKIP_3) | instid1(VALU_DEP_2)
	v_bitop3_b32 v90, v90, v96, v95 bitop3:0x80
	ds_load_b32 v210, v93 offset:1056
	; wave barrier
	v_bitop3_b32 v90, v90, v94, v91 bitop3:0x80
	v_mul_u32_u24_e32 v91, 36, v92
	v_mbcnt_lo_u32_b32 v211, v90, 0
	v_cmp_ne_u32_e64 s15, 0, v90
	s_delay_alu instid0(VALU_DEP_3) | instskip(NEXT) | instid1(VALU_DEP_3)
	v_add_nc_u32_e32 v215, v148, v91
	v_cmp_eq_u32_e32 vcc_lo, 0, v211
	s_and_b32 s16, s15, vcc_lo
	s_delay_alu instid0(SALU_CYCLE_1)
	s_and_saveexec_b32 s15, s16
	s_cbranch_execz .LBB1216_162
; %bb.161:                              ;   in Loop: Header=BB1216_96 Depth=2
	s_wait_dscnt 0x0
	v_bcnt_u32_b32 v90, v90, v210
	ds_store_b32 v215, v90 offset:1056
.LBB1216_162:                           ;   in Loop: Header=BB1216_96 Depth=2
	s_or_b32 exec_lo, exec_lo, s15
	v_cmp_lt_i64_e32 vcc_lo, -1, v[66:67]
	; wave barrier
	v_cndmask_b32_e64 v90, -1, 0x80000000, vcc_lo
	s_delay_alu instid0(VALU_DEP_1) | instskip(NEXT) | instid1(VALU_DEP_1)
	v_dual_ashrrev_i32 v91, 31, v67 :: v_dual_bitop2_b32 v67, v90, v67 bitop3:0x14
	v_xor_b32_e32 v66, v91, v66
	s_delay_alu instid0(VALU_DEP_1) | instskip(SKIP_2) | instid1(VALU_DEP_1)
	v_cmp_ne_u64_e32 vcc_lo, s[42:43], v[66:67]
	v_cndmask_b32_e32 v91, 0x80000000, v67, vcc_lo
	v_cndmask_b32_e32 v90, 0, v66, vcc_lo
	v_lshrrev_b64 v[90:91], s54, v[90:91]
	s_delay_alu instid0(VALU_DEP_1) | instskip(SKIP_1) | instid1(VALU_DEP_2)
	v_bitop3_b32 v91, v90, 1, s59 bitop3:0x80
	v_and_b32_e32 v92, s59, v90
	v_add_co_u32 v90, s15, v91, -1
	s_delay_alu instid0(VALU_DEP_1) | instskip(NEXT) | instid1(VALU_DEP_3)
	v_cndmask_b32_e64 v91, 0, 1, s15
	v_lshlrev_b32_e32 v93, 30, v92
	s_delay_alu instid0(VALU_DEP_2) | instskip(NEXT) | instid1(VALU_DEP_2)
	v_cmp_ne_u32_e32 vcc_lo, 0, v91
	v_not_b32_e32 v91, v93
	v_cmp_gt_i32_e64 s15, 0, v93
	s_delay_alu instid0(VALU_DEP_2) | instskip(SKIP_3) | instid1(VALU_DEP_4)
	v_dual_ashrrev_i32 v91, 31, v91 :: v_dual_lshlrev_b32 v94, 29, v92
	v_dual_lshlrev_b32 v95, 28, v92 :: v_dual_lshlrev_b32 v96, 27, v92
	v_dual_lshlrev_b32 v97, 26, v92 :: v_dual_lshlrev_b32 v213, 25, v92
	v_lshlrev_b32_e32 v214, 24, v92
	v_cmp_gt_i32_e64 s16, 0, v94
	v_not_b32_e32 v93, v94
	v_not_b32_e32 v94, v95
	v_cmp_gt_i32_e64 s17, 0, v95
	v_cmp_gt_i32_e64 s18, 0, v96
	v_not_b32_e32 v95, v96
	v_not_b32_e32 v96, v97
	v_dual_ashrrev_i32 v93, 31, v93 :: v_dual_bitop2_b32 v90, vcc_lo, v90 bitop3:0x14
	v_dual_ashrrev_i32 v94, 31, v94 :: v_dual_bitop2_b32 v91, s15, v91 bitop3:0x14
	v_cmp_gt_i32_e64 s19, 0, v97
	v_cmp_gt_i32_e64 s20, 0, v213
	v_not_b32_e32 v97, v213
	v_not_b32_e32 v213, v214
	v_dual_ashrrev_i32 v95, 31, v95 :: v_dual_ashrrev_i32 v96, 31, v96
	v_xor_b32_e32 v93, s16, v93
	v_xor_b32_e32 v94, s17, v94
	v_bitop3_b32 v90, v90, v91, exec_lo bitop3:0x80
	v_cmp_gt_i32_e64 s21, 0, v214
	v_ashrrev_i32_e32 v91, 31, v97
	v_dual_ashrrev_i32 v97, 31, v213 :: v_dual_bitop2_b32 v95, s18, v95 bitop3:0x14
	v_xor_b32_e32 v96, s19, v96
	v_bitop3_b32 v90, v90, v94, v93 bitop3:0x80
	v_mad_u32_u24 v93, v92, 36, v148
	v_xor_b32_e32 v91, s20, v91
	v_xor_b32_e32 v94, s21, v97
	s_delay_alu instid0(VALU_DEP_4) | instskip(SKIP_3) | instid1(VALU_DEP_2)
	v_bitop3_b32 v90, v90, v96, v95 bitop3:0x80
	ds_load_b32 v213, v93 offset:1056
	; wave barrier
	v_bitop3_b32 v90, v90, v94, v91 bitop3:0x80
	v_mul_u32_u24_e32 v91, 36, v92
	v_mbcnt_lo_u32_b32 v214, v90, 0
	v_cmp_ne_u32_e64 s15, 0, v90
	s_delay_alu instid0(VALU_DEP_3) | instskip(NEXT) | instid1(VALU_DEP_3)
	v_add_nc_u32_e32 v216, v148, v91
	v_cmp_eq_u32_e32 vcc_lo, 0, v214
	s_and_b32 s16, s15, vcc_lo
	s_delay_alu instid0(SALU_CYCLE_1)
	s_and_saveexec_b32 s15, s16
	s_cbranch_execz .LBB1216_164
; %bb.163:                              ;   in Loop: Header=BB1216_96 Depth=2
	s_wait_dscnt 0x0
	v_bcnt_u32_b32 v90, v90, v213
	ds_store_b32 v216, v90 offset:1056
.LBB1216_164:                           ;   in Loop: Header=BB1216_96 Depth=2
	s_or_b32 exec_lo, exec_lo, s15
	; wave barrier
	s_wait_dscnt 0x0
	s_barrier_signal -1
	s_barrier_wait -1
	ds_load_2addr_b32 v[96:97], v168 offset1:1
	ds_load_2addr_b32 v[94:95], v169 offset1:1
	;; [unrolled: 1-line block ×4, first 2 shown]
	ds_load_b32 v217, v120 offset:1088
	s_wait_dscnt 0x3
	v_add3_u32 v218, v97, v96, v94
	s_wait_dscnt 0x2
	s_delay_alu instid0(VALU_DEP_1) | instskip(SKIP_1) | instid1(VALU_DEP_1)
	v_add3_u32 v218, v218, v95, v92
	s_wait_dscnt 0x1
	v_add3_u32 v218, v218, v93, v90
	s_wait_dscnt 0x0
	s_delay_alu instid0(VALU_DEP_1) | instskip(NEXT) | instid1(VALU_DEP_1)
	v_add3_u32 v217, v218, v91, v217
	v_mov_b32_dpp v218, v217 row_shr:1 row_mask:0xf bank_mask:0xf
	s_delay_alu instid0(VALU_DEP_1) | instskip(NEXT) | instid1(VALU_DEP_1)
	v_cndmask_b32_e64 v218, v218, 0, s7
	v_add_nc_u32_e32 v217, v218, v217
	s_delay_alu instid0(VALU_DEP_1) | instskip(NEXT) | instid1(VALU_DEP_1)
	v_mov_b32_dpp v218, v217 row_shr:2 row_mask:0xf bank_mask:0xf
	v_cndmask_b32_e64 v218, 0, v218, s8
	s_delay_alu instid0(VALU_DEP_1) | instskip(NEXT) | instid1(VALU_DEP_1)
	v_add_nc_u32_e32 v217, v217, v218
	v_mov_b32_dpp v218, v217 row_shr:4 row_mask:0xf bank_mask:0xf
	s_delay_alu instid0(VALU_DEP_1) | instskip(NEXT) | instid1(VALU_DEP_1)
	v_cndmask_b32_e64 v218, 0, v218, s9
	v_add_nc_u32_e32 v217, v217, v218
	s_delay_alu instid0(VALU_DEP_1) | instskip(NEXT) | instid1(VALU_DEP_1)
	v_mov_b32_dpp v218, v217 row_shr:8 row_mask:0xf bank_mask:0xf
	v_cndmask_b32_e64 v218, 0, v218, s10
	s_delay_alu instid0(VALU_DEP_1) | instskip(SKIP_3) | instid1(VALU_DEP_1)
	v_add_nc_u32_e32 v217, v217, v218
	ds_swizzle_b32 v218, v217 offset:swizzle(BROADCAST,32,15)
	s_wait_dscnt 0x0
	v_cndmask_b32_e64 v218, v218, 0, s11
	v_add_nc_u32_e32 v217, v217, v218
	s_and_saveexec_b32 s15, s1
; %bb.165:                              ;   in Loop: Header=BB1216_96 Depth=2
	ds_store_b32 v114, v217 offset:1024
; %bb.166:                              ;   in Loop: Header=BB1216_96 Depth=2
	s_or_b32 exec_lo, exec_lo, s15
	s_wait_dscnt 0x0
	s_barrier_signal -1
	s_barrier_wait -1
	s_and_saveexec_b32 s15, s4
	s_cbranch_execz .LBB1216_168
; %bb.167:                              ;   in Loop: Header=BB1216_96 Depth=2
	ds_load_b32 v218, v122 offset:1024
	s_wait_dscnt 0x0
	v_mov_b32_dpp v219, v218 row_shr:1 row_mask:0xf bank_mask:0xf
	s_delay_alu instid0(VALU_DEP_1) | instskip(NEXT) | instid1(VALU_DEP_1)
	v_cndmask_b32_e64 v219, v219, 0, s12
	v_add_nc_u32_e32 v218, v219, v218
	s_delay_alu instid0(VALU_DEP_1) | instskip(NEXT) | instid1(VALU_DEP_1)
	v_mov_b32_dpp v219, v218 row_shr:2 row_mask:0xf bank_mask:0xf
	v_cndmask_b32_e64 v219, 0, v219, s13
	s_delay_alu instid0(VALU_DEP_1) | instskip(NEXT) | instid1(VALU_DEP_1)
	v_add_nc_u32_e32 v218, v218, v219
	v_mov_b32_dpp v219, v218 row_shr:4 row_mask:0xf bank_mask:0xf
	s_delay_alu instid0(VALU_DEP_1) | instskip(NEXT) | instid1(VALU_DEP_1)
	v_cndmask_b32_e64 v219, 0, v219, s14
	v_add_nc_u32_e32 v218, v218, v219
	ds_store_b32 v122, v218 offset:1024
.LBB1216_168:                           ;   in Loop: Header=BB1216_96 Depth=2
	s_or_b32 exec_lo, exec_lo, s15
	v_mov_b32_e32 v218, 0
	s_wait_dscnt 0x0
	s_barrier_signal -1
	s_barrier_wait -1
	s_and_saveexec_b32 s15, s5
; %bb.169:                              ;   in Loop: Header=BB1216_96 Depth=2
	ds_load_b32 v218, v114 offset:1020
; %bb.170:                              ;   in Loop: Header=BB1216_96 Depth=2
	s_or_b32 exec_lo, exec_lo, s15
	s_wait_dscnt 0x0
	v_add_nc_u32_e32 v217, v218, v217
	ds_bpermute_b32 v217, v147, v217
	s_wait_dscnt 0x0
	v_cndmask_b32_e64 v217, v217, v218, s6
	s_delay_alu instid0(VALU_DEP_1) | instskip(NEXT) | instid1(VALU_DEP_1)
	v_cndmask_b32_e64 v217, v217, 0, s2
	v_add_nc_u32_e32 v96, v217, v96
	s_delay_alu instid0(VALU_DEP_1) | instskip(NEXT) | instid1(VALU_DEP_1)
	v_add_nc_u32_e32 v97, v96, v97
	v_add_nc_u32_e32 v94, v97, v94
	s_delay_alu instid0(VALU_DEP_1) | instskip(NEXT) | instid1(VALU_DEP_1)
	v_add_nc_u32_e32 v95, v94, v95
	;; [unrolled: 3-line block ×3, first 2 shown]
	v_add_nc_u32_e32 v90, v93, v90
	s_delay_alu instid0(VALU_DEP_1)
	v_add_nc_u32_e32 v91, v90, v91
	ds_store_2addr_b32 v167, v93, v90 offset1:1
	ds_store_2addr_b32 v168, v217, v96 offset1:1
	;; [unrolled: 1-line block ×4, first 2 shown]
	ds_store_b32 v120, v91 offset:1088
	s_wait_dscnt 0x0
	s_barrier_signal -1
	s_barrier_wait -1
	ds_load_b32 v91, v171 offset:1056
	ds_load_b32 v96, v174 offset:1056
	;; [unrolled: 1-line block ×17, first 2 shown]
	v_mov_b32_e32 v90, 0x1000
	s_and_saveexec_b32 s15, s3
; %bb.171:                              ;   in Loop: Header=BB1216_96 Depth=2
	ds_load_b32 v90, v120 offset:1092
; %bb.172:                              ;   in Loop: Header=BB1216_96 Depth=2
	s_or_b32 exec_lo, exec_lo, s15
	s_wait_dscnt 0x0
	s_barrier_signal -1
	s_barrier_wait -1
	s_and_saveexec_b32 s15, s0
	s_cbranch_execz .LBB1216_174
; %bb.173:                              ;   in Loop: Header=BB1216_96 Depth=2
	ds_load_b32 v189, v3
	s_wait_dscnt 0x0
	v_sub_nc_u32_e32 v186, v189, v186
	ds_store_b32 v3, v186
.LBB1216_174:                           ;   in Loop: Header=BB1216_96 Depth=2
	s_or_b32 exec_lo, exec_lo, s15
	v_dual_lshlrev_b32 v166, 3, v166 :: v_dual_lshlrev_b32 v173, 3, v173
	v_lshlrev_b32_e32 v172, 3, v172
	v_dual_lshlrev_b32 v96, 3, v96 :: v_dual_lshlrev_b32 v95, 3, v95
	s_delay_alu instid0(VALU_DEP_3)
	v_lshl_add_u32 v91, v91, 3, v166
	v_dual_lshlrev_b32 v176, 3, v176 :: v_dual_lshlrev_b32 v166, 3, v175
	v_dual_lshlrev_b32 v175, 3, v179 :: v_dual_lshlrev_b32 v178, 3, v178
	v_lshlrev_b32_e32 v179, 3, v181
	ds_store_b64 v91, v[58:59] offset:1024
	v_dual_lshlrev_b32 v58, 3, v94 :: v_dual_lshlrev_b32 v181, 3, v93
	v_dual_lshlrev_b32 v59, 3, v182 :: v_dual_lshlrev_b32 v182, 3, v185
	v_lshlrev_b32_e32 v184, 3, v184
	v_lshlrev_b32_e32 v185, 3, v92
	v_add3_u32 v92, v173, v172, v96
	v_add3_u32 v93, v176, v166, v95
	;; [unrolled: 1-line block ×4, first 2 shown]
	v_lshlrev_b32_e32 v59, 3, v187
	v_add3_u32 v96, v182, v184, v185
	ds_store_b64 v92, v[60:61] offset:1024
	ds_store_b64 v93, v[62:63] offset:1024
	;; [unrolled: 1-line block ×5, first 2 shown]
	v_dual_lshlrev_b32 v58, 3, v188 :: v_dual_lshlrev_b32 v61, 3, v191
	v_dual_lshlrev_b32 v60, 3, v183 :: v_dual_lshlrev_b32 v62, 3, v190
	;; [unrolled: 1-line block ×3, first 2 shown]
	v_lshlrev_b32_e32 v71, 3, v193
	v_dual_lshlrev_b32 v74, 3, v177 :: v_dual_lshlrev_b32 v78, 3, v196
	v_dual_lshlrev_b32 v75, 3, v197 :: v_dual_lshlrev_b32 v79, 3, v174
	;; [unrolled: 1-line block ×3, first 2 shown]
	v_lshlrev_b32_e32 v171, 3, v171
	v_add3_u32 v60, v58, v59, v60
	v_add3_u32 v61, v61, v62, v63
	;; [unrolled: 1-line block ×4, first 2 shown]
	v_lshlrev_b32_e32 v59, 3, v202
	v_add3_u32 v70, v166, v172, v171
	ds_store_b64 v60, v[82:83] offset:1024
	ds_store_b64 v61, v[86:87] offset:1024
	;; [unrolled: 1-line block ×5, first 2 shown]
	v_dual_lshlrev_b32 v58, 3, v203 :: v_dual_lshlrev_b32 v71, 3, v170
	v_dual_lshlrev_b32 v74, 3, v206 :: v_dual_lshlrev_b32 v75, 3, v205
	;; [unrolled: 1-line block ×6, first 2 shown]
	v_lshlrev_b32_e32 v86, 3, v213
	v_lshlrev_b32_e32 v87, 3, v97
	v_add3_u32 v71, v58, v59, v71
	v_add3_u32 v74, v74, v75, v78
	;; [unrolled: 1-line block ×5, first 2 shown]
	v_cmp_lt_u32_e32 vcc_lo, v2, v165
	ds_store_b64 v71, v[76:77] offset:1024
	ds_store_b64 v74, v[72:73] offset:1024
	;; [unrolled: 1-line block ×5, first 2 shown]
	s_wait_dscnt 0x0
	s_barrier_signal -1
	s_barrier_wait -1
	s_and_saveexec_b32 s16, vcc_lo
	s_cbranch_execnz .LBB1216_243
; %bb.175:                              ;   in Loop: Header=BB1216_96 Depth=2
	s_or_b32 exec_lo, exec_lo, s16
	v_cmp_lt_u32_e64 s15, v98, v165
	s_and_saveexec_b32 s17, s15
	s_cbranch_execnz .LBB1216_244
.LBB1216_176:                           ;   in Loop: Header=BB1216_96 Depth=2
	s_or_b32 exec_lo, exec_lo, s17
	v_cmp_lt_u32_e64 s16, v99, v165
	s_and_saveexec_b32 s18, s16
	s_cbranch_execnz .LBB1216_245
.LBB1216_177:                           ;   in Loop: Header=BB1216_96 Depth=2
	s_or_b32 exec_lo, exec_lo, s18
	v_cmp_lt_u32_e64 s17, v100, v165
	s_and_saveexec_b32 s19, s17
	s_cbranch_execnz .LBB1216_246
.LBB1216_178:                           ;   in Loop: Header=BB1216_96 Depth=2
	s_or_b32 exec_lo, exec_lo, s19
	v_cmp_lt_u32_e64 s18, v101, v165
	s_and_saveexec_b32 s20, s18
	s_cbranch_execnz .LBB1216_247
.LBB1216_179:                           ;   in Loop: Header=BB1216_96 Depth=2
	s_or_b32 exec_lo, exec_lo, s20
	v_cmp_lt_u32_e64 s19, v102, v165
	s_and_saveexec_b32 s21, s19
	s_cbranch_execnz .LBB1216_248
.LBB1216_180:                           ;   in Loop: Header=BB1216_96 Depth=2
	s_or_b32 exec_lo, exec_lo, s21
	v_cmp_lt_u32_e64 s20, v103, v165
	s_and_saveexec_b32 s22, s20
	s_cbranch_execnz .LBB1216_249
.LBB1216_181:                           ;   in Loop: Header=BB1216_96 Depth=2
	s_or_b32 exec_lo, exec_lo, s22
	v_cmp_lt_u32_e64 s21, v104, v165
	s_and_saveexec_b32 s23, s21
	s_cbranch_execnz .LBB1216_250
.LBB1216_182:                           ;   in Loop: Header=BB1216_96 Depth=2
	s_or_b32 exec_lo, exec_lo, s23
	v_cmp_lt_u32_e64 s22, v105, v165
	s_and_saveexec_b32 s24, s22
	s_cbranch_execnz .LBB1216_251
.LBB1216_183:                           ;   in Loop: Header=BB1216_96 Depth=2
	s_or_b32 exec_lo, exec_lo, s24
	v_cmp_lt_u32_e64 s23, v106, v165
	s_and_saveexec_b32 s25, s23
	s_cbranch_execnz .LBB1216_252
.LBB1216_184:                           ;   in Loop: Header=BB1216_96 Depth=2
	s_or_b32 exec_lo, exec_lo, s25
	v_cmp_lt_u32_e64 s24, v107, v165
	s_and_saveexec_b32 s26, s24
	s_cbranch_execnz .LBB1216_253
.LBB1216_185:                           ;   in Loop: Header=BB1216_96 Depth=2
	s_or_b32 exec_lo, exec_lo, s26
	v_cmp_lt_u32_e64 s25, v108, v165
	s_and_saveexec_b32 s27, s25
	s_cbranch_execnz .LBB1216_254
.LBB1216_186:                           ;   in Loop: Header=BB1216_96 Depth=2
	s_or_b32 exec_lo, exec_lo, s27
	v_cmp_lt_u32_e64 s26, v109, v165
	s_and_saveexec_b32 s28, s26
	s_cbranch_execnz .LBB1216_255
.LBB1216_187:                           ;   in Loop: Header=BB1216_96 Depth=2
	s_or_b32 exec_lo, exec_lo, s28
	v_cmp_lt_u32_e64 s27, v110, v165
	s_and_saveexec_b32 s29, s27
	s_cbranch_execnz .LBB1216_256
.LBB1216_188:                           ;   in Loop: Header=BB1216_96 Depth=2
	s_or_b32 exec_lo, exec_lo, s29
	v_cmp_lt_u32_e64 s28, v111, v165
	s_and_saveexec_b32 s30, s28
	s_cbranch_execnz .LBB1216_257
.LBB1216_189:                           ;   in Loop: Header=BB1216_96 Depth=2
	s_or_b32 exec_lo, exec_lo, s30
	v_cmp_lt_u32_e64 s29, v112, v165
	s_and_saveexec_b32 s62, s29
	s_cbranch_execz .LBB1216_191
.LBB1216_190:                           ;   in Loop: Header=BB1216_96 Depth=2
	ds_load_b64 v[58:59], v123 offset:31744
	s_wait_dscnt 0x0
	v_cmp_ne_u64_e64 s30, s[42:43], v[58:59]
	s_delay_alu instid0(VALU_DEP_1) | instskip(SKIP_2) | instid1(VALU_DEP_2)
	v_cndmask_b32_e64 v65, 0x80000000, v59, s30
	v_cndmask_b32_e64 v64, 0, v58, s30
	v_cmp_lt_i64_e64 s30, -1, v[58:59]
	v_lshrrev_b64 v[64:65], s54, v[64:65]
	v_ashrrev_i32_e32 v65, 31, v59
	s_delay_alu instid0(VALU_DEP_3) | instskip(NEXT) | instid1(VALU_DEP_2)
	v_cndmask_b32_e64 v66, 0x80000000, -1, s30
	v_not_b32_e32 v65, v65
	s_delay_alu instid0(VALU_DEP_4) | instskip(NEXT) | instid1(VALU_DEP_1)
	v_and_b32_e32 v64, s59, v64
	v_dual_lshlrev_b32 v64, 2, v64 :: v_dual_bitop2_b32 v59, v66, v59 bitop3:0x14
	ds_load_b32 v64, v64
	s_wait_dscnt 0x0
	v_dual_add_nc_u32 v64, v64, v112 :: v_dual_bitop2_b32 v58, v65, v58 bitop3:0x14
	global_store_b64 v64, v[58:59], s[38:39] scale_offset
.LBB1216_191:                           ;   in Loop: Header=BB1216_96 Depth=2
	s_wait_xcnt 0x0
	s_or_b32 exec_lo, exec_lo, s62
	v_lshl_add_u64 v[58:59], s[34:35], 3, v[22:23]
	v_cmp_lt_u32_e64 s30, v129, v165
	s_and_saveexec_b32 s34, s30
	s_delay_alu instid0(SALU_CYCLE_1)
	s_xor_b32 s30, exec_lo, s34
	s_cbranch_execnz .LBB1216_258
; %bb.192:                              ;   in Loop: Header=BB1216_96 Depth=2
	s_or_b32 exec_lo, exec_lo, s30
	s_delay_alu instid0(SALU_CYCLE_1)
	s_mov_b32 s34, exec_lo
	v_cmpx_lt_u32_e64 v132, v165
	s_cbranch_execnz .LBB1216_259
.LBB1216_193:                           ;   in Loop: Header=BB1216_96 Depth=2
	s_or_b32 exec_lo, exec_lo, s34
	s_delay_alu instid0(SALU_CYCLE_1)
	s_mov_b32 s34, exec_lo
	v_cmpx_lt_u32_e64 v133, v165
	s_cbranch_execnz .LBB1216_260
.LBB1216_194:                           ;   in Loop: Header=BB1216_96 Depth=2
	s_or_b32 exec_lo, exec_lo, s34
	s_delay_alu instid0(SALU_CYCLE_1)
	s_mov_b32 s34, exec_lo
	v_cmpx_lt_u32_e64 v134, v165
	s_cbranch_execnz .LBB1216_261
.LBB1216_195:                           ;   in Loop: Header=BB1216_96 Depth=2
	s_or_b32 exec_lo, exec_lo, s34
	s_delay_alu instid0(SALU_CYCLE_1)
	s_mov_b32 s34, exec_lo
	v_cmpx_lt_u32_e64 v135, v165
	s_cbranch_execnz .LBB1216_262
.LBB1216_196:                           ;   in Loop: Header=BB1216_96 Depth=2
	s_or_b32 exec_lo, exec_lo, s34
	s_delay_alu instid0(SALU_CYCLE_1)
	s_mov_b32 s34, exec_lo
	v_cmpx_lt_u32_e64 v136, v165
	s_cbranch_execnz .LBB1216_263
.LBB1216_197:                           ;   in Loop: Header=BB1216_96 Depth=2
	s_or_b32 exec_lo, exec_lo, s34
	s_delay_alu instid0(SALU_CYCLE_1)
	s_mov_b32 s34, exec_lo
	v_cmpx_lt_u32_e64 v137, v165
	s_cbranch_execnz .LBB1216_264
.LBB1216_198:                           ;   in Loop: Header=BB1216_96 Depth=2
	s_or_b32 exec_lo, exec_lo, s34
	s_delay_alu instid0(SALU_CYCLE_1)
	s_mov_b32 s34, exec_lo
	v_cmpx_lt_u32_e64 v138, v165
	s_cbranch_execnz .LBB1216_265
.LBB1216_199:                           ;   in Loop: Header=BB1216_96 Depth=2
	s_or_b32 exec_lo, exec_lo, s34
	s_delay_alu instid0(SALU_CYCLE_1)
	s_mov_b32 s34, exec_lo
	v_cmpx_lt_u32_e64 v139, v165
	s_cbranch_execnz .LBB1216_266
.LBB1216_200:                           ;   in Loop: Header=BB1216_96 Depth=2
	s_or_b32 exec_lo, exec_lo, s34
	s_delay_alu instid0(SALU_CYCLE_1)
	s_mov_b32 s34, exec_lo
	v_cmpx_lt_u32_e64 v140, v165
	s_cbranch_execnz .LBB1216_267
.LBB1216_201:                           ;   in Loop: Header=BB1216_96 Depth=2
	s_or_b32 exec_lo, exec_lo, s34
	s_delay_alu instid0(SALU_CYCLE_1)
	s_mov_b32 s34, exec_lo
	v_cmpx_lt_u32_e64 v141, v165
	s_cbranch_execnz .LBB1216_268
.LBB1216_202:                           ;   in Loop: Header=BB1216_96 Depth=2
	s_or_b32 exec_lo, exec_lo, s34
	s_delay_alu instid0(SALU_CYCLE_1)
	s_mov_b32 s34, exec_lo
	v_cmpx_lt_u32_e64 v142, v165
	s_cbranch_execnz .LBB1216_269
.LBB1216_203:                           ;   in Loop: Header=BB1216_96 Depth=2
	s_or_b32 exec_lo, exec_lo, s34
	s_delay_alu instid0(SALU_CYCLE_1)
	s_mov_b32 s34, exec_lo
	v_cmpx_lt_u32_e64 v143, v165
	s_cbranch_execnz .LBB1216_270
.LBB1216_204:                           ;   in Loop: Header=BB1216_96 Depth=2
	s_or_b32 exec_lo, exec_lo, s34
	s_delay_alu instid0(SALU_CYCLE_1)
	s_mov_b32 s34, exec_lo
	v_cmpx_lt_u32_e64 v144, v165
	s_cbranch_execnz .LBB1216_271
.LBB1216_205:                           ;   in Loop: Header=BB1216_96 Depth=2
	s_or_b32 exec_lo, exec_lo, s34
	s_delay_alu instid0(SALU_CYCLE_1)
	s_mov_b32 s34, exec_lo
	v_cmpx_lt_u32_e64 v145, v165
	s_cbranch_execnz .LBB1216_272
.LBB1216_206:                           ;   in Loop: Header=BB1216_96 Depth=2
	s_or_b32 exec_lo, exec_lo, s34
	s_delay_alu instid0(SALU_CYCLE_1)
	s_mov_b32 s34, exec_lo
	v_cmpx_lt_u32_e64 v146, v165
	s_cbranch_execnz .LBB1216_273
.LBB1216_207:                           ;   in Loop: Header=BB1216_96 Depth=2
	s_or_b32 exec_lo, exec_lo, s34
	s_and_saveexec_b32 s34, vcc_lo
	s_cbranch_execnz .LBB1216_274
.LBB1216_208:                           ;   in Loop: Header=BB1216_96 Depth=2
	s_or_b32 exec_lo, exec_lo, s34
	s_and_saveexec_b32 s34, s15
	s_cbranch_execnz .LBB1216_275
.LBB1216_209:                           ;   in Loop: Header=BB1216_96 Depth=2
	s_or_b32 exec_lo, exec_lo, s34
	s_and_saveexec_b32 s34, s16
	s_cbranch_execnz .LBB1216_276
.LBB1216_210:                           ;   in Loop: Header=BB1216_96 Depth=2
	s_or_b32 exec_lo, exec_lo, s34
	s_and_saveexec_b32 s34, s17
	s_cbranch_execnz .LBB1216_277
.LBB1216_211:                           ;   in Loop: Header=BB1216_96 Depth=2
	s_or_b32 exec_lo, exec_lo, s34
	s_and_saveexec_b32 s34, s18
	s_cbranch_execnz .LBB1216_278
.LBB1216_212:                           ;   in Loop: Header=BB1216_96 Depth=2
	s_or_b32 exec_lo, exec_lo, s34
	s_and_saveexec_b32 s34, s19
	s_cbranch_execnz .LBB1216_279
.LBB1216_213:                           ;   in Loop: Header=BB1216_96 Depth=2
	s_or_b32 exec_lo, exec_lo, s34
	s_and_saveexec_b32 s34, s20
	s_cbranch_execnz .LBB1216_280
.LBB1216_214:                           ;   in Loop: Header=BB1216_96 Depth=2
	s_or_b32 exec_lo, exec_lo, s34
	s_and_saveexec_b32 s34, s21
	s_cbranch_execnz .LBB1216_281
.LBB1216_215:                           ;   in Loop: Header=BB1216_96 Depth=2
	s_or_b32 exec_lo, exec_lo, s34
	s_and_saveexec_b32 s34, s22
	s_cbranch_execnz .LBB1216_282
.LBB1216_216:                           ;   in Loop: Header=BB1216_96 Depth=2
	s_or_b32 exec_lo, exec_lo, s34
	s_and_saveexec_b32 s34, s23
	s_cbranch_execnz .LBB1216_283
.LBB1216_217:                           ;   in Loop: Header=BB1216_96 Depth=2
	s_or_b32 exec_lo, exec_lo, s34
	s_and_saveexec_b32 s34, s24
	s_cbranch_execnz .LBB1216_284
.LBB1216_218:                           ;   in Loop: Header=BB1216_96 Depth=2
	s_or_b32 exec_lo, exec_lo, s34
	s_and_saveexec_b32 s34, s25
	s_cbranch_execnz .LBB1216_285
.LBB1216_219:                           ;   in Loop: Header=BB1216_96 Depth=2
	s_or_b32 exec_lo, exec_lo, s34
	s_and_saveexec_b32 s34, s26
	s_cbranch_execnz .LBB1216_286
.LBB1216_220:                           ;   in Loop: Header=BB1216_96 Depth=2
	s_or_b32 exec_lo, exec_lo, s34
	s_and_saveexec_b32 s34, s27
	s_cbranch_execnz .LBB1216_287
.LBB1216_221:                           ;   in Loop: Header=BB1216_96 Depth=2
	s_or_b32 exec_lo, exec_lo, s34
	s_and_saveexec_b32 s34, s28
	s_cbranch_execnz .LBB1216_288
.LBB1216_222:                           ;   in Loop: Header=BB1216_96 Depth=2
	s_or_b32 exec_lo, exec_lo, s34
	s_and_saveexec_b32 s34, s29
	s_cbranch_execz .LBB1216_224
.LBB1216_223:                           ;   in Loop: Header=BB1216_96 Depth=2
	ds_load_b64 v[58:59], v123 offset:31744
	s_wait_dscnt 0x0
	v_cmp_ne_u64_e64 s30, s[42:43], v[58:59]
	s_delay_alu instid0(VALU_DEP_1) | instskip(SKIP_1) | instid1(VALU_DEP_1)
	v_cndmask_b32_e64 v59, 0x80000000, v59, s30
	v_cndmask_b32_e64 v58, 0, v58, s30
	v_lshrrev_b64 v[58:59], s54, v[58:59]
	s_delay_alu instid0(VALU_DEP_1)
	v_and_b32_e32 v149, s59, v58
.LBB1216_224:                           ;   in Loop: Header=BB1216_96 Depth=2
	s_or_b32 exec_lo, exec_lo, s34
	s_wait_loadcnt 0x0
	s_wait_storecnt 0x0
	s_barrier_signal -1
	s_barrier_wait -1
	ds_store_b64 v91, v[56:57] offset:1024
	ds_store_b64 v92, v[54:55] offset:1024
	;; [unrolled: 1-line block ×16, first 2 shown]
	s_wait_dscnt 0x0
	s_barrier_signal -1
	s_barrier_wait -1
	s_and_saveexec_b32 s30, vcc_lo
	s_cbranch_execnz .LBB1216_289
; %bb.225:                              ;   in Loop: Header=BB1216_96 Depth=2
	s_or_b32 exec_lo, exec_lo, s30
	s_and_saveexec_b32 s30, s15
	s_cbranch_execnz .LBB1216_290
.LBB1216_226:                           ;   in Loop: Header=BB1216_96 Depth=2
	s_or_b32 exec_lo, exec_lo, s30
	s_and_saveexec_b32 s15, s16
	s_cbranch_execnz .LBB1216_291
.LBB1216_227:                           ;   in Loop: Header=BB1216_96 Depth=2
	s_or_b32 exec_lo, exec_lo, s15
	s_and_saveexec_b32 s15, s17
	s_cbranch_execnz .LBB1216_292
.LBB1216_228:                           ;   in Loop: Header=BB1216_96 Depth=2
	s_or_b32 exec_lo, exec_lo, s15
	s_and_saveexec_b32 s15, s18
	s_cbranch_execnz .LBB1216_293
.LBB1216_229:                           ;   in Loop: Header=BB1216_96 Depth=2
	s_or_b32 exec_lo, exec_lo, s15
	s_and_saveexec_b32 s15, s19
	s_cbranch_execnz .LBB1216_294
.LBB1216_230:                           ;   in Loop: Header=BB1216_96 Depth=2
	s_or_b32 exec_lo, exec_lo, s15
	s_and_saveexec_b32 s15, s20
	s_cbranch_execnz .LBB1216_295
.LBB1216_231:                           ;   in Loop: Header=BB1216_96 Depth=2
	s_or_b32 exec_lo, exec_lo, s15
	s_and_saveexec_b32 s15, s21
	s_cbranch_execnz .LBB1216_296
.LBB1216_232:                           ;   in Loop: Header=BB1216_96 Depth=2
	s_or_b32 exec_lo, exec_lo, s15
	s_and_saveexec_b32 s15, s22
	s_cbranch_execnz .LBB1216_297
.LBB1216_233:                           ;   in Loop: Header=BB1216_96 Depth=2
	s_or_b32 exec_lo, exec_lo, s15
	s_and_saveexec_b32 s15, s23
	s_cbranch_execnz .LBB1216_298
.LBB1216_234:                           ;   in Loop: Header=BB1216_96 Depth=2
	s_or_b32 exec_lo, exec_lo, s15
	s_and_saveexec_b32 s15, s24
	s_cbranch_execnz .LBB1216_299
.LBB1216_235:                           ;   in Loop: Header=BB1216_96 Depth=2
	s_or_b32 exec_lo, exec_lo, s15
	s_and_saveexec_b32 s15, s25
	s_cbranch_execnz .LBB1216_300
.LBB1216_236:                           ;   in Loop: Header=BB1216_96 Depth=2
	s_or_b32 exec_lo, exec_lo, s15
	s_and_saveexec_b32 s15, s26
	s_cbranch_execnz .LBB1216_301
.LBB1216_237:                           ;   in Loop: Header=BB1216_96 Depth=2
	s_or_b32 exec_lo, exec_lo, s15
	s_and_saveexec_b32 s15, s27
	s_cbranch_execnz .LBB1216_302
.LBB1216_238:                           ;   in Loop: Header=BB1216_96 Depth=2
	s_or_b32 exec_lo, exec_lo, s15
	s_and_saveexec_b32 s15, s28
	s_cbranch_execnz .LBB1216_303
.LBB1216_239:                           ;   in Loop: Header=BB1216_96 Depth=2
	s_or_b32 exec_lo, exec_lo, s15
	s_and_saveexec_b32 s15, s29
	s_cbranch_execz .LBB1216_241
.LBB1216_240:                           ;   in Loop: Header=BB1216_96 Depth=2
	v_lshlrev_b32_e32 v58, 2, v149
	ds_load_b32 v60, v58
	ds_load_b64 v[58:59], v123 offset:31744
	s_wait_dscnt 0x1
	v_add_nc_u32_e32 v60, v60, v112
	s_wait_dscnt 0x0
	global_store_b64 v60, v[58:59], s[44:45] scale_offset
.LBB1216_241:                           ;   in Loop: Header=BB1216_96 Depth=2
	s_wait_xcnt 0x0
	s_or_b32 exec_lo, exec_lo, s15
	s_wait_storecnt 0x0
	s_barrier_signal -1
	s_barrier_wait -1
	s_and_saveexec_b32 s15, s0
	s_cbranch_execz .LBB1216_95
; %bb.242:                              ;   in Loop: Header=BB1216_96 Depth=2
	ds_load_b32 v58, v3
	s_wait_dscnt 0x0
	v_add_nc_u32_e32 v58, v58, v90
	ds_store_b32 v3, v58
	s_branch .LBB1216_95
.LBB1216_243:                           ;   in Loop: Header=BB1216_96 Depth=2
	ds_load_b64 v[58:59], v123 offset:1024
	s_wait_dscnt 0x0
	v_cmp_ne_u64_e64 s15, s[42:43], v[58:59]
	s_delay_alu instid0(VALU_DEP_1) | instskip(SKIP_2) | instid1(VALU_DEP_2)
	v_cndmask_b32_e64 v65, 0x80000000, v59, s15
	v_cndmask_b32_e64 v64, 0, v58, s15
	v_cmp_lt_i64_e64 s15, -1, v[58:59]
	v_lshrrev_b64 v[64:65], s54, v[64:65]
	v_ashrrev_i32_e32 v65, 31, v59
	s_delay_alu instid0(VALU_DEP_3) | instskip(NEXT) | instid1(VALU_DEP_2)
	v_cndmask_b32_e64 v66, 0x80000000, -1, s15
	v_not_b32_e32 v65, v65
	s_delay_alu instid0(VALU_DEP_4) | instskip(NEXT) | instid1(VALU_DEP_3)
	v_and_b32_e32 v64, s59, v64
	v_xor_b32_e32 v59, v66, v59
	s_delay_alu instid0(VALU_DEP_2)
	v_dual_lshlrev_b32 v64, 2, v64 :: v_dual_bitop2_b32 v58, v65, v58 bitop3:0x14
	ds_load_b32 v64, v64
	s_wait_dscnt 0x0
	v_add_nc_u32_e32 v64, v64, v2
	global_store_b64 v64, v[58:59], s[38:39] scale_offset
	s_wait_xcnt 0x0
	s_or_b32 exec_lo, exec_lo, s16
	v_cmp_lt_u32_e64 s15, v98, v165
	s_and_saveexec_b32 s17, s15
	s_cbranch_execz .LBB1216_176
.LBB1216_244:                           ;   in Loop: Header=BB1216_96 Depth=2
	ds_load_b64 v[58:59], v123 offset:3072
	s_wait_dscnt 0x0
	v_cmp_ne_u64_e64 s16, s[42:43], v[58:59]
	s_delay_alu instid0(VALU_DEP_1) | instskip(SKIP_2) | instid1(VALU_DEP_2)
	v_cndmask_b32_e64 v65, 0x80000000, v59, s16
	v_cndmask_b32_e64 v64, 0, v58, s16
	v_cmp_lt_i64_e64 s16, -1, v[58:59]
	v_lshrrev_b64 v[64:65], s54, v[64:65]
	v_ashrrev_i32_e32 v65, 31, v59
	s_delay_alu instid0(VALU_DEP_3) | instskip(NEXT) | instid1(VALU_DEP_2)
	v_cndmask_b32_e64 v66, 0x80000000, -1, s16
	v_not_b32_e32 v65, v65
	s_delay_alu instid0(VALU_DEP_4) | instskip(NEXT) | instid1(VALU_DEP_3)
	v_and_b32_e32 v64, s59, v64
	v_xor_b32_e32 v59, v66, v59
	s_delay_alu instid0(VALU_DEP_2)
	v_dual_lshlrev_b32 v64, 2, v64 :: v_dual_bitop2_b32 v58, v65, v58 bitop3:0x14
	ds_load_b32 v64, v64
	s_wait_dscnt 0x0
	v_add_nc_u32_e32 v64, v64, v98
	global_store_b64 v64, v[58:59], s[38:39] scale_offset
	s_wait_xcnt 0x0
	s_or_b32 exec_lo, exec_lo, s17
	v_cmp_lt_u32_e64 s16, v99, v165
	s_and_saveexec_b32 s18, s16
	s_cbranch_execz .LBB1216_177
.LBB1216_245:                           ;   in Loop: Header=BB1216_96 Depth=2
	ds_load_b64 v[58:59], v123 offset:5120
	s_wait_dscnt 0x0
	v_cmp_ne_u64_e64 s17, s[42:43], v[58:59]
	s_delay_alu instid0(VALU_DEP_1) | instskip(SKIP_2) | instid1(VALU_DEP_2)
	v_cndmask_b32_e64 v65, 0x80000000, v59, s17
	v_cndmask_b32_e64 v64, 0, v58, s17
	v_cmp_lt_i64_e64 s17, -1, v[58:59]
	v_lshrrev_b64 v[64:65], s54, v[64:65]
	v_ashrrev_i32_e32 v65, 31, v59
	s_delay_alu instid0(VALU_DEP_3) | instskip(NEXT) | instid1(VALU_DEP_2)
	v_cndmask_b32_e64 v66, 0x80000000, -1, s17
	v_not_b32_e32 v65, v65
	s_delay_alu instid0(VALU_DEP_4) | instskip(NEXT) | instid1(VALU_DEP_1)
	v_and_b32_e32 v64, s59, v64
	v_dual_lshlrev_b32 v64, 2, v64 :: v_dual_bitop2_b32 v59, v66, v59 bitop3:0x14
	ds_load_b32 v64, v64
	s_wait_dscnt 0x0
	v_dual_add_nc_u32 v64, v64, v99 :: v_dual_bitop2_b32 v58, v65, v58 bitop3:0x14
	global_store_b64 v64, v[58:59], s[38:39] scale_offset
	s_wait_xcnt 0x0
	s_or_b32 exec_lo, exec_lo, s18
	v_cmp_lt_u32_e64 s17, v100, v165
	s_and_saveexec_b32 s19, s17
	s_cbranch_execz .LBB1216_178
.LBB1216_246:                           ;   in Loop: Header=BB1216_96 Depth=2
	ds_load_b64 v[58:59], v123 offset:7168
	s_wait_dscnt 0x0
	v_cmp_ne_u64_e64 s18, s[42:43], v[58:59]
	s_delay_alu instid0(VALU_DEP_1) | instskip(SKIP_2) | instid1(VALU_DEP_2)
	v_cndmask_b32_e64 v65, 0x80000000, v59, s18
	v_cndmask_b32_e64 v64, 0, v58, s18
	v_cmp_lt_i64_e64 s18, -1, v[58:59]
	v_lshrrev_b64 v[64:65], s54, v[64:65]
	v_ashrrev_i32_e32 v65, 31, v59
	s_delay_alu instid0(VALU_DEP_3) | instskip(NEXT) | instid1(VALU_DEP_2)
	v_cndmask_b32_e64 v66, 0x80000000, -1, s18
	v_not_b32_e32 v65, v65
	s_delay_alu instid0(VALU_DEP_4) | instskip(NEXT) | instid1(VALU_DEP_1)
	v_and_b32_e32 v64, s59, v64
	v_dual_lshlrev_b32 v64, 2, v64 :: v_dual_bitop2_b32 v59, v66, v59 bitop3:0x14
	ds_load_b32 v64, v64
	s_wait_dscnt 0x0
	v_dual_add_nc_u32 v64, v64, v100 :: v_dual_bitop2_b32 v58, v65, v58 bitop3:0x14
	global_store_b64 v64, v[58:59], s[38:39] scale_offset
	s_wait_xcnt 0x0
	s_or_b32 exec_lo, exec_lo, s19
	v_cmp_lt_u32_e64 s18, v101, v165
	s_and_saveexec_b32 s20, s18
	s_cbranch_execz .LBB1216_179
.LBB1216_247:                           ;   in Loop: Header=BB1216_96 Depth=2
	ds_load_b64 v[58:59], v123 offset:9216
	s_wait_dscnt 0x0
	v_cmp_ne_u64_e64 s19, s[42:43], v[58:59]
	s_delay_alu instid0(VALU_DEP_1) | instskip(SKIP_2) | instid1(VALU_DEP_2)
	v_cndmask_b32_e64 v65, 0x80000000, v59, s19
	v_cndmask_b32_e64 v64, 0, v58, s19
	v_cmp_lt_i64_e64 s19, -1, v[58:59]
	v_lshrrev_b64 v[64:65], s54, v[64:65]
	v_ashrrev_i32_e32 v65, 31, v59
	s_delay_alu instid0(VALU_DEP_3) | instskip(NEXT) | instid1(VALU_DEP_2)
	v_cndmask_b32_e64 v66, 0x80000000, -1, s19
	v_not_b32_e32 v65, v65
	s_delay_alu instid0(VALU_DEP_4) | instskip(NEXT) | instid1(VALU_DEP_1)
	v_and_b32_e32 v64, s59, v64
	v_dual_lshlrev_b32 v64, 2, v64 :: v_dual_bitop2_b32 v59, v66, v59 bitop3:0x14
	ds_load_b32 v64, v64
	s_wait_dscnt 0x0
	v_dual_add_nc_u32 v64, v64, v101 :: v_dual_bitop2_b32 v58, v65, v58 bitop3:0x14
	global_store_b64 v64, v[58:59], s[38:39] scale_offset
	s_wait_xcnt 0x0
	s_or_b32 exec_lo, exec_lo, s20
	v_cmp_lt_u32_e64 s19, v102, v165
	s_and_saveexec_b32 s21, s19
	s_cbranch_execz .LBB1216_180
.LBB1216_248:                           ;   in Loop: Header=BB1216_96 Depth=2
	ds_load_b64 v[58:59], v123 offset:11264
	s_wait_dscnt 0x0
	v_cmp_ne_u64_e64 s20, s[42:43], v[58:59]
	s_delay_alu instid0(VALU_DEP_1) | instskip(SKIP_2) | instid1(VALU_DEP_2)
	v_cndmask_b32_e64 v65, 0x80000000, v59, s20
	v_cndmask_b32_e64 v64, 0, v58, s20
	v_cmp_lt_i64_e64 s20, -1, v[58:59]
	v_lshrrev_b64 v[64:65], s54, v[64:65]
	v_ashrrev_i32_e32 v65, 31, v59
	s_delay_alu instid0(VALU_DEP_3) | instskip(NEXT) | instid1(VALU_DEP_2)
	v_cndmask_b32_e64 v66, 0x80000000, -1, s20
	v_not_b32_e32 v65, v65
	s_delay_alu instid0(VALU_DEP_4) | instskip(NEXT) | instid1(VALU_DEP_3)
	v_and_b32_e32 v64, s59, v64
	v_xor_b32_e32 v59, v66, v59
	s_delay_alu instid0(VALU_DEP_2)
	v_dual_lshlrev_b32 v64, 2, v64 :: v_dual_bitop2_b32 v58, v65, v58 bitop3:0x14
	ds_load_b32 v64, v64
	s_wait_dscnt 0x0
	v_add_nc_u32_e32 v64, v64, v102
	global_store_b64 v64, v[58:59], s[38:39] scale_offset
	s_wait_xcnt 0x0
	s_or_b32 exec_lo, exec_lo, s21
	v_cmp_lt_u32_e64 s20, v103, v165
	s_and_saveexec_b32 s22, s20
	s_cbranch_execz .LBB1216_181
.LBB1216_249:                           ;   in Loop: Header=BB1216_96 Depth=2
	ds_load_b64 v[58:59], v123 offset:13312
	s_wait_dscnt 0x0
	v_cmp_ne_u64_e64 s21, s[42:43], v[58:59]
	s_delay_alu instid0(VALU_DEP_1) | instskip(SKIP_2) | instid1(VALU_DEP_2)
	v_cndmask_b32_e64 v65, 0x80000000, v59, s21
	v_cndmask_b32_e64 v64, 0, v58, s21
	v_cmp_lt_i64_e64 s21, -1, v[58:59]
	v_lshrrev_b64 v[64:65], s54, v[64:65]
	v_ashrrev_i32_e32 v65, 31, v59
	s_delay_alu instid0(VALU_DEP_3) | instskip(NEXT) | instid1(VALU_DEP_2)
	v_cndmask_b32_e64 v66, 0x80000000, -1, s21
	v_not_b32_e32 v65, v65
	s_delay_alu instid0(VALU_DEP_4) | instskip(NEXT) | instid1(VALU_DEP_1)
	v_and_b32_e32 v64, s59, v64
	v_dual_lshlrev_b32 v64, 2, v64 :: v_dual_bitop2_b32 v59, v66, v59 bitop3:0x14
	ds_load_b32 v64, v64
	s_wait_dscnt 0x0
	v_dual_add_nc_u32 v64, v64, v103 :: v_dual_bitop2_b32 v58, v65, v58 bitop3:0x14
	global_store_b64 v64, v[58:59], s[38:39] scale_offset
	s_wait_xcnt 0x0
	s_or_b32 exec_lo, exec_lo, s22
	v_cmp_lt_u32_e64 s21, v104, v165
	s_and_saveexec_b32 s23, s21
	s_cbranch_execz .LBB1216_182
.LBB1216_250:                           ;   in Loop: Header=BB1216_96 Depth=2
	ds_load_b64 v[58:59], v123 offset:15360
	s_wait_dscnt 0x0
	v_cmp_ne_u64_e64 s22, s[42:43], v[58:59]
	s_delay_alu instid0(VALU_DEP_1) | instskip(SKIP_2) | instid1(VALU_DEP_2)
	v_cndmask_b32_e64 v65, 0x80000000, v59, s22
	v_cndmask_b32_e64 v64, 0, v58, s22
	v_cmp_lt_i64_e64 s22, -1, v[58:59]
	v_lshrrev_b64 v[64:65], s54, v[64:65]
	v_ashrrev_i32_e32 v65, 31, v59
	s_delay_alu instid0(VALU_DEP_3) | instskip(NEXT) | instid1(VALU_DEP_2)
	v_cndmask_b32_e64 v66, 0x80000000, -1, s22
	v_not_b32_e32 v65, v65
	s_delay_alu instid0(VALU_DEP_4) | instskip(NEXT) | instid1(VALU_DEP_1)
	v_and_b32_e32 v64, s59, v64
	v_dual_lshlrev_b32 v64, 2, v64 :: v_dual_bitop2_b32 v59, v66, v59 bitop3:0x14
	ds_load_b32 v64, v64
	s_wait_dscnt 0x0
	v_dual_add_nc_u32 v64, v64, v104 :: v_dual_bitop2_b32 v58, v65, v58 bitop3:0x14
	global_store_b64 v64, v[58:59], s[38:39] scale_offset
	s_wait_xcnt 0x0
	s_or_b32 exec_lo, exec_lo, s23
	v_cmp_lt_u32_e64 s22, v105, v165
	s_and_saveexec_b32 s24, s22
	s_cbranch_execz .LBB1216_183
.LBB1216_251:                           ;   in Loop: Header=BB1216_96 Depth=2
	ds_load_b64 v[58:59], v123 offset:17408
	s_wait_dscnt 0x0
	v_cmp_ne_u64_e64 s23, s[42:43], v[58:59]
	s_delay_alu instid0(VALU_DEP_1) | instskip(SKIP_2) | instid1(VALU_DEP_2)
	v_cndmask_b32_e64 v65, 0x80000000, v59, s23
	v_cndmask_b32_e64 v64, 0, v58, s23
	v_cmp_lt_i64_e64 s23, -1, v[58:59]
	v_lshrrev_b64 v[64:65], s54, v[64:65]
	v_ashrrev_i32_e32 v65, 31, v59
	s_delay_alu instid0(VALU_DEP_3) | instskip(NEXT) | instid1(VALU_DEP_2)
	v_cndmask_b32_e64 v66, 0x80000000, -1, s23
	v_not_b32_e32 v65, v65
	s_delay_alu instid0(VALU_DEP_4) | instskip(NEXT) | instid1(VALU_DEP_1)
	v_and_b32_e32 v64, s59, v64
	v_dual_lshlrev_b32 v64, 2, v64 :: v_dual_bitop2_b32 v59, v66, v59 bitop3:0x14
	ds_load_b32 v64, v64
	s_wait_dscnt 0x0
	v_dual_add_nc_u32 v64, v64, v105 :: v_dual_bitop2_b32 v58, v65, v58 bitop3:0x14
	global_store_b64 v64, v[58:59], s[38:39] scale_offset
	s_wait_xcnt 0x0
	s_or_b32 exec_lo, exec_lo, s24
	v_cmp_lt_u32_e64 s23, v106, v165
	s_and_saveexec_b32 s25, s23
	s_cbranch_execz .LBB1216_184
.LBB1216_252:                           ;   in Loop: Header=BB1216_96 Depth=2
	ds_load_b64 v[58:59], v123 offset:19456
	s_wait_dscnt 0x0
	v_cmp_ne_u64_e64 s24, s[42:43], v[58:59]
	s_delay_alu instid0(VALU_DEP_1) | instskip(SKIP_2) | instid1(VALU_DEP_2)
	v_cndmask_b32_e64 v65, 0x80000000, v59, s24
	v_cndmask_b32_e64 v64, 0, v58, s24
	v_cmp_lt_i64_e64 s24, -1, v[58:59]
	v_lshrrev_b64 v[64:65], s54, v[64:65]
	v_ashrrev_i32_e32 v65, 31, v59
	s_delay_alu instid0(VALU_DEP_3) | instskip(NEXT) | instid1(VALU_DEP_2)
	v_cndmask_b32_e64 v66, 0x80000000, -1, s24
	v_not_b32_e32 v65, v65
	s_delay_alu instid0(VALU_DEP_4) | instskip(NEXT) | instid1(VALU_DEP_3)
	v_and_b32_e32 v64, s59, v64
	v_xor_b32_e32 v59, v66, v59
	s_delay_alu instid0(VALU_DEP_2)
	v_dual_lshlrev_b32 v64, 2, v64 :: v_dual_bitop2_b32 v58, v65, v58 bitop3:0x14
	ds_load_b32 v64, v64
	s_wait_dscnt 0x0
	v_add_nc_u32_e32 v64, v64, v106
	global_store_b64 v64, v[58:59], s[38:39] scale_offset
	s_wait_xcnt 0x0
	s_or_b32 exec_lo, exec_lo, s25
	v_cmp_lt_u32_e64 s24, v107, v165
	s_and_saveexec_b32 s26, s24
	s_cbranch_execz .LBB1216_185
.LBB1216_253:                           ;   in Loop: Header=BB1216_96 Depth=2
	ds_load_b64 v[58:59], v123 offset:21504
	s_wait_dscnt 0x0
	v_cmp_ne_u64_e64 s25, s[42:43], v[58:59]
	s_delay_alu instid0(VALU_DEP_1) | instskip(SKIP_2) | instid1(VALU_DEP_2)
	v_cndmask_b32_e64 v65, 0x80000000, v59, s25
	v_cndmask_b32_e64 v64, 0, v58, s25
	v_cmp_lt_i64_e64 s25, -1, v[58:59]
	v_lshrrev_b64 v[64:65], s54, v[64:65]
	v_ashrrev_i32_e32 v65, 31, v59
	s_delay_alu instid0(VALU_DEP_3) | instskip(NEXT) | instid1(VALU_DEP_2)
	v_cndmask_b32_e64 v66, 0x80000000, -1, s25
	v_not_b32_e32 v65, v65
	s_delay_alu instid0(VALU_DEP_4) | instskip(NEXT) | instid1(VALU_DEP_1)
	v_and_b32_e32 v64, s59, v64
	v_dual_lshlrev_b32 v64, 2, v64 :: v_dual_bitop2_b32 v59, v66, v59 bitop3:0x14
	ds_load_b32 v64, v64
	s_wait_dscnt 0x0
	v_dual_add_nc_u32 v64, v64, v107 :: v_dual_bitop2_b32 v58, v65, v58 bitop3:0x14
	global_store_b64 v64, v[58:59], s[38:39] scale_offset
	s_wait_xcnt 0x0
	s_or_b32 exec_lo, exec_lo, s26
	v_cmp_lt_u32_e64 s25, v108, v165
	s_and_saveexec_b32 s27, s25
	s_cbranch_execz .LBB1216_186
.LBB1216_254:                           ;   in Loop: Header=BB1216_96 Depth=2
	ds_load_b64 v[58:59], v123 offset:23552
	s_wait_dscnt 0x0
	v_cmp_ne_u64_e64 s26, s[42:43], v[58:59]
	s_delay_alu instid0(VALU_DEP_1) | instskip(SKIP_2) | instid1(VALU_DEP_2)
	v_cndmask_b32_e64 v65, 0x80000000, v59, s26
	v_cndmask_b32_e64 v64, 0, v58, s26
	v_cmp_lt_i64_e64 s26, -1, v[58:59]
	v_lshrrev_b64 v[64:65], s54, v[64:65]
	v_ashrrev_i32_e32 v65, 31, v59
	s_delay_alu instid0(VALU_DEP_3) | instskip(NEXT) | instid1(VALU_DEP_2)
	v_cndmask_b32_e64 v66, 0x80000000, -1, s26
	v_not_b32_e32 v65, v65
	s_delay_alu instid0(VALU_DEP_4) | instskip(NEXT) | instid1(VALU_DEP_1)
	v_and_b32_e32 v64, s59, v64
	v_dual_lshlrev_b32 v64, 2, v64 :: v_dual_bitop2_b32 v59, v66, v59 bitop3:0x14
	ds_load_b32 v64, v64
	s_wait_dscnt 0x0
	v_dual_add_nc_u32 v64, v64, v108 :: v_dual_bitop2_b32 v58, v65, v58 bitop3:0x14
	global_store_b64 v64, v[58:59], s[38:39] scale_offset
	s_wait_xcnt 0x0
	s_or_b32 exec_lo, exec_lo, s27
	v_cmp_lt_u32_e64 s26, v109, v165
	s_and_saveexec_b32 s28, s26
	s_cbranch_execz .LBB1216_187
.LBB1216_255:                           ;   in Loop: Header=BB1216_96 Depth=2
	ds_load_b64 v[58:59], v123 offset:25600
	s_wait_dscnt 0x0
	v_cmp_ne_u64_e64 s27, s[42:43], v[58:59]
	s_delay_alu instid0(VALU_DEP_1) | instskip(SKIP_2) | instid1(VALU_DEP_2)
	v_cndmask_b32_e64 v65, 0x80000000, v59, s27
	v_cndmask_b32_e64 v64, 0, v58, s27
	v_cmp_lt_i64_e64 s27, -1, v[58:59]
	v_lshrrev_b64 v[64:65], s54, v[64:65]
	v_ashrrev_i32_e32 v65, 31, v59
	s_delay_alu instid0(VALU_DEP_3) | instskip(NEXT) | instid1(VALU_DEP_2)
	v_cndmask_b32_e64 v66, 0x80000000, -1, s27
	v_not_b32_e32 v65, v65
	s_delay_alu instid0(VALU_DEP_4) | instskip(NEXT) | instid1(VALU_DEP_1)
	v_and_b32_e32 v64, s59, v64
	v_dual_lshlrev_b32 v64, 2, v64 :: v_dual_bitop2_b32 v59, v66, v59 bitop3:0x14
	ds_load_b32 v64, v64
	s_wait_dscnt 0x0
	v_dual_add_nc_u32 v64, v64, v109 :: v_dual_bitop2_b32 v58, v65, v58 bitop3:0x14
	global_store_b64 v64, v[58:59], s[38:39] scale_offset
	s_wait_xcnt 0x0
	s_or_b32 exec_lo, exec_lo, s28
	v_cmp_lt_u32_e64 s27, v110, v165
	s_and_saveexec_b32 s29, s27
	s_cbranch_execz .LBB1216_188
.LBB1216_256:                           ;   in Loop: Header=BB1216_96 Depth=2
	ds_load_b64 v[58:59], v123 offset:27648
	s_wait_dscnt 0x0
	v_cmp_ne_u64_e64 s28, s[42:43], v[58:59]
	s_delay_alu instid0(VALU_DEP_1) | instskip(SKIP_2) | instid1(VALU_DEP_2)
	v_cndmask_b32_e64 v65, 0x80000000, v59, s28
	v_cndmask_b32_e64 v64, 0, v58, s28
	v_cmp_lt_i64_e64 s28, -1, v[58:59]
	v_lshrrev_b64 v[64:65], s54, v[64:65]
	v_ashrrev_i32_e32 v65, 31, v59
	s_delay_alu instid0(VALU_DEP_3) | instskip(NEXT) | instid1(VALU_DEP_2)
	v_cndmask_b32_e64 v66, 0x80000000, -1, s28
	v_not_b32_e32 v65, v65
	s_delay_alu instid0(VALU_DEP_4) | instskip(NEXT) | instid1(VALU_DEP_3)
	v_and_b32_e32 v64, s59, v64
	v_xor_b32_e32 v59, v66, v59
	s_delay_alu instid0(VALU_DEP_2)
	v_dual_lshlrev_b32 v64, 2, v64 :: v_dual_bitop2_b32 v58, v65, v58 bitop3:0x14
	ds_load_b32 v64, v64
	s_wait_dscnt 0x0
	v_add_nc_u32_e32 v64, v64, v110
	global_store_b64 v64, v[58:59], s[38:39] scale_offset
	s_wait_xcnt 0x0
	s_or_b32 exec_lo, exec_lo, s29
	v_cmp_lt_u32_e64 s28, v111, v165
	s_and_saveexec_b32 s30, s28
	s_cbranch_execz .LBB1216_189
.LBB1216_257:                           ;   in Loop: Header=BB1216_96 Depth=2
	ds_load_b64 v[58:59], v123 offset:29696
	s_wait_dscnt 0x0
	v_cmp_ne_u64_e64 s29, s[42:43], v[58:59]
	s_delay_alu instid0(VALU_DEP_1) | instskip(SKIP_2) | instid1(VALU_DEP_2)
	v_cndmask_b32_e64 v65, 0x80000000, v59, s29
	v_cndmask_b32_e64 v64, 0, v58, s29
	v_cmp_lt_i64_e64 s29, -1, v[58:59]
	v_lshrrev_b64 v[64:65], s54, v[64:65]
	v_ashrrev_i32_e32 v65, 31, v59
	s_delay_alu instid0(VALU_DEP_3) | instskip(NEXT) | instid1(VALU_DEP_2)
	v_cndmask_b32_e64 v66, 0x80000000, -1, s29
	v_not_b32_e32 v65, v65
	s_delay_alu instid0(VALU_DEP_4) | instskip(NEXT) | instid1(VALU_DEP_1)
	v_and_b32_e32 v64, s59, v64
	v_dual_lshlrev_b32 v64, 2, v64 :: v_dual_bitop2_b32 v59, v66, v59 bitop3:0x14
	ds_load_b32 v64, v64
	s_wait_dscnt 0x0
	v_dual_add_nc_u32 v64, v64, v111 :: v_dual_bitop2_b32 v58, v65, v58 bitop3:0x14
	global_store_b64 v64, v[58:59], s[38:39] scale_offset
	s_wait_xcnt 0x0
	s_or_b32 exec_lo, exec_lo, s30
	v_cmp_lt_u32_e64 s29, v112, v165
	s_and_saveexec_b32 s62, s29
	s_cbranch_execnz .LBB1216_190
	s_branch .LBB1216_191
.LBB1216_258:                           ;   in Loop: Header=BB1216_96 Depth=2
	global_load_b64 v[56:57], v[58:59], off
	s_wait_xcnt 0x0
	s_or_b32 exec_lo, exec_lo, s30
	s_delay_alu instid0(SALU_CYCLE_1)
	s_mov_b32 s34, exec_lo
	v_cmpx_lt_u32_e64 v132, v165
	s_cbranch_execz .LBB1216_193
.LBB1216_259:                           ;   in Loop: Header=BB1216_96 Depth=2
	global_load_b64 v[54:55], v[58:59], off offset:256
	s_wait_xcnt 0x0
	s_or_b32 exec_lo, exec_lo, s34
	s_delay_alu instid0(SALU_CYCLE_1)
	s_mov_b32 s34, exec_lo
	v_cmpx_lt_u32_e64 v133, v165
	s_cbranch_execz .LBB1216_194
.LBB1216_260:                           ;   in Loop: Header=BB1216_96 Depth=2
	global_load_b64 v[52:53], v[58:59], off offset:512
	s_wait_xcnt 0x0
	s_or_b32 exec_lo, exec_lo, s34
	s_delay_alu instid0(SALU_CYCLE_1)
	s_mov_b32 s34, exec_lo
	v_cmpx_lt_u32_e64 v134, v165
	s_cbranch_execz .LBB1216_195
.LBB1216_261:                           ;   in Loop: Header=BB1216_96 Depth=2
	global_load_b64 v[50:51], v[58:59], off offset:768
	s_wait_xcnt 0x0
	s_or_b32 exec_lo, exec_lo, s34
	s_delay_alu instid0(SALU_CYCLE_1)
	s_mov_b32 s34, exec_lo
	v_cmpx_lt_u32_e64 v135, v165
	s_cbranch_execz .LBB1216_196
.LBB1216_262:                           ;   in Loop: Header=BB1216_96 Depth=2
	global_load_b64 v[48:49], v[58:59], off offset:1024
	s_wait_xcnt 0x0
	s_or_b32 exec_lo, exec_lo, s34
	s_delay_alu instid0(SALU_CYCLE_1)
	s_mov_b32 s34, exec_lo
	v_cmpx_lt_u32_e64 v136, v165
	s_cbranch_execz .LBB1216_197
.LBB1216_263:                           ;   in Loop: Header=BB1216_96 Depth=2
	global_load_b64 v[46:47], v[58:59], off offset:1280
	s_wait_xcnt 0x0
	s_or_b32 exec_lo, exec_lo, s34
	s_delay_alu instid0(SALU_CYCLE_1)
	s_mov_b32 s34, exec_lo
	v_cmpx_lt_u32_e64 v137, v165
	s_cbranch_execz .LBB1216_198
.LBB1216_264:                           ;   in Loop: Header=BB1216_96 Depth=2
	global_load_b64 v[44:45], v[58:59], off offset:1536
	s_wait_xcnt 0x0
	s_or_b32 exec_lo, exec_lo, s34
	s_delay_alu instid0(SALU_CYCLE_1)
	s_mov_b32 s34, exec_lo
	v_cmpx_lt_u32_e64 v138, v165
	s_cbranch_execz .LBB1216_199
.LBB1216_265:                           ;   in Loop: Header=BB1216_96 Depth=2
	global_load_b64 v[42:43], v[58:59], off offset:1792
	s_wait_xcnt 0x0
	s_or_b32 exec_lo, exec_lo, s34
	s_delay_alu instid0(SALU_CYCLE_1)
	s_mov_b32 s34, exec_lo
	v_cmpx_lt_u32_e64 v139, v165
	s_cbranch_execz .LBB1216_200
.LBB1216_266:                           ;   in Loop: Header=BB1216_96 Depth=2
	global_load_b64 v[40:41], v[58:59], off offset:2048
	s_wait_xcnt 0x0
	s_or_b32 exec_lo, exec_lo, s34
	s_delay_alu instid0(SALU_CYCLE_1)
	s_mov_b32 s34, exec_lo
	v_cmpx_lt_u32_e64 v140, v165
	s_cbranch_execz .LBB1216_201
.LBB1216_267:                           ;   in Loop: Header=BB1216_96 Depth=2
	global_load_b64 v[38:39], v[58:59], off offset:2304
	s_wait_xcnt 0x0
	s_or_b32 exec_lo, exec_lo, s34
	s_delay_alu instid0(SALU_CYCLE_1)
	s_mov_b32 s34, exec_lo
	v_cmpx_lt_u32_e64 v141, v165
	s_cbranch_execz .LBB1216_202
.LBB1216_268:                           ;   in Loop: Header=BB1216_96 Depth=2
	global_load_b64 v[36:37], v[58:59], off offset:2560
	s_wait_xcnt 0x0
	s_or_b32 exec_lo, exec_lo, s34
	s_delay_alu instid0(SALU_CYCLE_1)
	s_mov_b32 s34, exec_lo
	v_cmpx_lt_u32_e64 v142, v165
	s_cbranch_execz .LBB1216_203
.LBB1216_269:                           ;   in Loop: Header=BB1216_96 Depth=2
	global_load_b64 v[34:35], v[58:59], off offset:2816
	s_wait_xcnt 0x0
	s_or_b32 exec_lo, exec_lo, s34
	s_delay_alu instid0(SALU_CYCLE_1)
	s_mov_b32 s34, exec_lo
	v_cmpx_lt_u32_e64 v143, v165
	s_cbranch_execz .LBB1216_204
.LBB1216_270:                           ;   in Loop: Header=BB1216_96 Depth=2
	global_load_b64 v[32:33], v[58:59], off offset:3072
	s_wait_xcnt 0x0
	s_or_b32 exec_lo, exec_lo, s34
	s_delay_alu instid0(SALU_CYCLE_1)
	s_mov_b32 s34, exec_lo
	v_cmpx_lt_u32_e64 v144, v165
	s_cbranch_execz .LBB1216_205
.LBB1216_271:                           ;   in Loop: Header=BB1216_96 Depth=2
	global_load_b64 v[30:31], v[58:59], off offset:3328
	s_wait_xcnt 0x0
	s_or_b32 exec_lo, exec_lo, s34
	s_delay_alu instid0(SALU_CYCLE_1)
	s_mov_b32 s34, exec_lo
	v_cmpx_lt_u32_e64 v145, v165
	s_cbranch_execz .LBB1216_206
.LBB1216_272:                           ;   in Loop: Header=BB1216_96 Depth=2
	global_load_b64 v[28:29], v[58:59], off offset:3584
	s_wait_xcnt 0x0
	s_or_b32 exec_lo, exec_lo, s34
	s_delay_alu instid0(SALU_CYCLE_1)
	s_mov_b32 s34, exec_lo
	v_cmpx_lt_u32_e64 v146, v165
	s_cbranch_execz .LBB1216_207
.LBB1216_273:                           ;   in Loop: Header=BB1216_96 Depth=2
	global_load_b64 v[26:27], v[58:59], off offset:3840
	s_wait_xcnt 0x0
	s_or_b32 exec_lo, exec_lo, s34
	s_and_saveexec_b32 s34, vcc_lo
	s_cbranch_execz .LBB1216_208
.LBB1216_274:                           ;   in Loop: Header=BB1216_96 Depth=2
	ds_load_b64 v[58:59], v123 offset:1024
	s_wait_dscnt 0x0
	v_cmp_ne_u64_e64 s30, s[42:43], v[58:59]
	s_delay_alu instid0(VALU_DEP_1) | instskip(SKIP_1) | instid1(VALU_DEP_1)
	v_cndmask_b32_e64 v59, 0x80000000, v59, s30
	v_cndmask_b32_e64 v58, 0, v58, s30
	v_lshrrev_b64 v[58:59], s54, v[58:59]
	s_delay_alu instid0(VALU_DEP_1)
	v_and_b32_e32 v164, s59, v58
	s_or_b32 exec_lo, exec_lo, s34
	s_and_saveexec_b32 s34, s15
	s_cbranch_execz .LBB1216_209
.LBB1216_275:                           ;   in Loop: Header=BB1216_96 Depth=2
	ds_load_b64 v[58:59], v123 offset:3072
	s_wait_dscnt 0x0
	v_cmp_ne_u64_e64 s30, s[42:43], v[58:59]
	s_delay_alu instid0(VALU_DEP_1) | instskip(SKIP_1) | instid1(VALU_DEP_1)
	v_cndmask_b32_e64 v59, 0x80000000, v59, s30
	v_cndmask_b32_e64 v58, 0, v58, s30
	v_lshrrev_b64 v[58:59], s54, v[58:59]
	s_delay_alu instid0(VALU_DEP_1)
	v_and_b32_e32 v163, s59, v58
	s_or_b32 exec_lo, exec_lo, s34
	s_and_saveexec_b32 s34, s16
	s_cbranch_execz .LBB1216_210
.LBB1216_276:                           ;   in Loop: Header=BB1216_96 Depth=2
	ds_load_b64 v[58:59], v123 offset:5120
	s_wait_dscnt 0x0
	v_cmp_ne_u64_e64 s30, s[42:43], v[58:59]
	s_delay_alu instid0(VALU_DEP_1) | instskip(SKIP_1) | instid1(VALU_DEP_1)
	v_cndmask_b32_e64 v59, 0x80000000, v59, s30
	v_cndmask_b32_e64 v58, 0, v58, s30
	v_lshrrev_b64 v[58:59], s54, v[58:59]
	s_delay_alu instid0(VALU_DEP_1)
	v_and_b32_e32 v162, s59, v58
	s_or_b32 exec_lo, exec_lo, s34
	s_and_saveexec_b32 s34, s17
	s_cbranch_execz .LBB1216_211
.LBB1216_277:                           ;   in Loop: Header=BB1216_96 Depth=2
	ds_load_b64 v[58:59], v123 offset:7168
	s_wait_dscnt 0x0
	v_cmp_ne_u64_e64 s30, s[42:43], v[58:59]
	s_delay_alu instid0(VALU_DEP_1) | instskip(SKIP_1) | instid1(VALU_DEP_1)
	v_cndmask_b32_e64 v59, 0x80000000, v59, s30
	v_cndmask_b32_e64 v58, 0, v58, s30
	v_lshrrev_b64 v[58:59], s54, v[58:59]
	s_delay_alu instid0(VALU_DEP_1)
	v_and_b32_e32 v161, s59, v58
	s_or_b32 exec_lo, exec_lo, s34
	s_and_saveexec_b32 s34, s18
	s_cbranch_execz .LBB1216_212
.LBB1216_278:                           ;   in Loop: Header=BB1216_96 Depth=2
	ds_load_b64 v[58:59], v123 offset:9216
	s_wait_dscnt 0x0
	v_cmp_ne_u64_e64 s30, s[42:43], v[58:59]
	s_delay_alu instid0(VALU_DEP_1) | instskip(SKIP_1) | instid1(VALU_DEP_1)
	v_cndmask_b32_e64 v59, 0x80000000, v59, s30
	v_cndmask_b32_e64 v58, 0, v58, s30
	v_lshrrev_b64 v[58:59], s54, v[58:59]
	s_delay_alu instid0(VALU_DEP_1)
	v_and_b32_e32 v160, s59, v58
	s_or_b32 exec_lo, exec_lo, s34
	s_and_saveexec_b32 s34, s19
	s_cbranch_execz .LBB1216_213
.LBB1216_279:                           ;   in Loop: Header=BB1216_96 Depth=2
	ds_load_b64 v[58:59], v123 offset:11264
	s_wait_dscnt 0x0
	v_cmp_ne_u64_e64 s30, s[42:43], v[58:59]
	s_delay_alu instid0(VALU_DEP_1) | instskip(SKIP_1) | instid1(VALU_DEP_1)
	v_cndmask_b32_e64 v59, 0x80000000, v59, s30
	v_cndmask_b32_e64 v58, 0, v58, s30
	v_lshrrev_b64 v[58:59], s54, v[58:59]
	s_delay_alu instid0(VALU_DEP_1)
	v_and_b32_e32 v159, s59, v58
	s_or_b32 exec_lo, exec_lo, s34
	s_and_saveexec_b32 s34, s20
	s_cbranch_execz .LBB1216_214
.LBB1216_280:                           ;   in Loop: Header=BB1216_96 Depth=2
	ds_load_b64 v[58:59], v123 offset:13312
	s_wait_dscnt 0x0
	v_cmp_ne_u64_e64 s30, s[42:43], v[58:59]
	s_delay_alu instid0(VALU_DEP_1) | instskip(SKIP_1) | instid1(VALU_DEP_1)
	v_cndmask_b32_e64 v59, 0x80000000, v59, s30
	v_cndmask_b32_e64 v58, 0, v58, s30
	v_lshrrev_b64 v[58:59], s54, v[58:59]
	s_delay_alu instid0(VALU_DEP_1)
	v_and_b32_e32 v158, s59, v58
	s_or_b32 exec_lo, exec_lo, s34
	s_and_saveexec_b32 s34, s21
	s_cbranch_execz .LBB1216_215
.LBB1216_281:                           ;   in Loop: Header=BB1216_96 Depth=2
	ds_load_b64 v[58:59], v123 offset:15360
	s_wait_dscnt 0x0
	v_cmp_ne_u64_e64 s30, s[42:43], v[58:59]
	s_delay_alu instid0(VALU_DEP_1) | instskip(SKIP_1) | instid1(VALU_DEP_1)
	v_cndmask_b32_e64 v59, 0x80000000, v59, s30
	v_cndmask_b32_e64 v58, 0, v58, s30
	v_lshrrev_b64 v[58:59], s54, v[58:59]
	s_delay_alu instid0(VALU_DEP_1)
	v_and_b32_e32 v157, s59, v58
	s_or_b32 exec_lo, exec_lo, s34
	s_and_saveexec_b32 s34, s22
	s_cbranch_execz .LBB1216_216
.LBB1216_282:                           ;   in Loop: Header=BB1216_96 Depth=2
	ds_load_b64 v[58:59], v123 offset:17408
	s_wait_dscnt 0x0
	v_cmp_ne_u64_e64 s30, s[42:43], v[58:59]
	s_delay_alu instid0(VALU_DEP_1) | instskip(SKIP_1) | instid1(VALU_DEP_1)
	v_cndmask_b32_e64 v59, 0x80000000, v59, s30
	v_cndmask_b32_e64 v58, 0, v58, s30
	v_lshrrev_b64 v[58:59], s54, v[58:59]
	s_delay_alu instid0(VALU_DEP_1)
	v_and_b32_e32 v156, s59, v58
	s_or_b32 exec_lo, exec_lo, s34
	s_and_saveexec_b32 s34, s23
	s_cbranch_execz .LBB1216_217
.LBB1216_283:                           ;   in Loop: Header=BB1216_96 Depth=2
	ds_load_b64 v[58:59], v123 offset:19456
	s_wait_dscnt 0x0
	v_cmp_ne_u64_e64 s30, s[42:43], v[58:59]
	s_delay_alu instid0(VALU_DEP_1) | instskip(SKIP_1) | instid1(VALU_DEP_1)
	v_cndmask_b32_e64 v59, 0x80000000, v59, s30
	v_cndmask_b32_e64 v58, 0, v58, s30
	v_lshrrev_b64 v[58:59], s54, v[58:59]
	s_delay_alu instid0(VALU_DEP_1)
	v_and_b32_e32 v155, s59, v58
	s_or_b32 exec_lo, exec_lo, s34
	s_and_saveexec_b32 s34, s24
	s_cbranch_execz .LBB1216_218
.LBB1216_284:                           ;   in Loop: Header=BB1216_96 Depth=2
	ds_load_b64 v[58:59], v123 offset:21504
	s_wait_dscnt 0x0
	v_cmp_ne_u64_e64 s30, s[42:43], v[58:59]
	s_delay_alu instid0(VALU_DEP_1) | instskip(SKIP_1) | instid1(VALU_DEP_1)
	v_cndmask_b32_e64 v59, 0x80000000, v59, s30
	v_cndmask_b32_e64 v58, 0, v58, s30
	v_lshrrev_b64 v[58:59], s54, v[58:59]
	s_delay_alu instid0(VALU_DEP_1)
	v_and_b32_e32 v154, s59, v58
	s_or_b32 exec_lo, exec_lo, s34
	s_and_saveexec_b32 s34, s25
	s_cbranch_execz .LBB1216_219
.LBB1216_285:                           ;   in Loop: Header=BB1216_96 Depth=2
	ds_load_b64 v[58:59], v123 offset:23552
	s_wait_dscnt 0x0
	v_cmp_ne_u64_e64 s30, s[42:43], v[58:59]
	s_delay_alu instid0(VALU_DEP_1) | instskip(SKIP_1) | instid1(VALU_DEP_1)
	v_cndmask_b32_e64 v59, 0x80000000, v59, s30
	v_cndmask_b32_e64 v58, 0, v58, s30
	v_lshrrev_b64 v[58:59], s54, v[58:59]
	s_delay_alu instid0(VALU_DEP_1)
	v_and_b32_e32 v153, s59, v58
	s_or_b32 exec_lo, exec_lo, s34
	s_and_saveexec_b32 s34, s26
	s_cbranch_execz .LBB1216_220
.LBB1216_286:                           ;   in Loop: Header=BB1216_96 Depth=2
	ds_load_b64 v[58:59], v123 offset:25600
	s_wait_dscnt 0x0
	v_cmp_ne_u64_e64 s30, s[42:43], v[58:59]
	s_delay_alu instid0(VALU_DEP_1) | instskip(SKIP_1) | instid1(VALU_DEP_1)
	v_cndmask_b32_e64 v59, 0x80000000, v59, s30
	v_cndmask_b32_e64 v58, 0, v58, s30
	v_lshrrev_b64 v[58:59], s54, v[58:59]
	s_delay_alu instid0(VALU_DEP_1)
	v_and_b32_e32 v152, s59, v58
	s_or_b32 exec_lo, exec_lo, s34
	s_and_saveexec_b32 s34, s27
	s_cbranch_execz .LBB1216_221
.LBB1216_287:                           ;   in Loop: Header=BB1216_96 Depth=2
	ds_load_b64 v[58:59], v123 offset:27648
	s_wait_dscnt 0x0
	v_cmp_ne_u64_e64 s30, s[42:43], v[58:59]
	s_delay_alu instid0(VALU_DEP_1) | instskip(SKIP_1) | instid1(VALU_DEP_1)
	v_cndmask_b32_e64 v59, 0x80000000, v59, s30
	v_cndmask_b32_e64 v58, 0, v58, s30
	v_lshrrev_b64 v[58:59], s54, v[58:59]
	s_delay_alu instid0(VALU_DEP_1)
	v_and_b32_e32 v151, s59, v58
	s_or_b32 exec_lo, exec_lo, s34
	s_and_saveexec_b32 s34, s28
	s_cbranch_execz .LBB1216_222
.LBB1216_288:                           ;   in Loop: Header=BB1216_96 Depth=2
	ds_load_b64 v[58:59], v123 offset:29696
	s_wait_dscnt 0x0
	v_cmp_ne_u64_e64 s30, s[42:43], v[58:59]
	s_delay_alu instid0(VALU_DEP_1) | instskip(SKIP_1) | instid1(VALU_DEP_1)
	v_cndmask_b32_e64 v59, 0x80000000, v59, s30
	v_cndmask_b32_e64 v58, 0, v58, s30
	v_lshrrev_b64 v[58:59], s54, v[58:59]
	s_delay_alu instid0(VALU_DEP_1)
	v_and_b32_e32 v150, s59, v58
	s_or_b32 exec_lo, exec_lo, s34
	s_and_saveexec_b32 s34, s29
	s_cbranch_execnz .LBB1216_223
	s_branch .LBB1216_224
.LBB1216_289:                           ;   in Loop: Header=BB1216_96 Depth=2
	v_lshlrev_b32_e32 v58, 2, v164
	ds_load_b32 v60, v58
	ds_load_b64 v[58:59], v123 offset:1024
	s_wait_dscnt 0x1
	v_add_nc_u32_e32 v60, v60, v2
	s_wait_dscnt 0x0
	global_store_b64 v60, v[58:59], s[44:45] scale_offset
	s_wait_xcnt 0x0
	s_or_b32 exec_lo, exec_lo, s30
	s_and_saveexec_b32 s30, s15
	s_cbranch_execz .LBB1216_226
.LBB1216_290:                           ;   in Loop: Header=BB1216_96 Depth=2
	v_lshlrev_b32_e32 v58, 2, v163
	ds_load_b32 v60, v58
	ds_load_b64 v[58:59], v123 offset:3072
	s_wait_dscnt 0x1
	v_add_nc_u32_e32 v60, v60, v98
	s_wait_dscnt 0x0
	global_store_b64 v60, v[58:59], s[44:45] scale_offset
	s_wait_xcnt 0x0
	s_or_b32 exec_lo, exec_lo, s30
	s_and_saveexec_b32 s15, s16
	s_cbranch_execz .LBB1216_227
.LBB1216_291:                           ;   in Loop: Header=BB1216_96 Depth=2
	v_lshlrev_b32_e32 v58, 2, v162
	ds_load_b32 v60, v58
	ds_load_b64 v[58:59], v123 offset:5120
	s_wait_dscnt 0x1
	v_add_nc_u32_e32 v60, v60, v99
	s_wait_dscnt 0x0
	global_store_b64 v60, v[58:59], s[44:45] scale_offset
	s_wait_xcnt 0x0
	s_or_b32 exec_lo, exec_lo, s15
	s_and_saveexec_b32 s15, s17
	s_cbranch_execz .LBB1216_228
.LBB1216_292:                           ;   in Loop: Header=BB1216_96 Depth=2
	v_lshlrev_b32_e32 v58, 2, v161
	ds_load_b32 v60, v58
	ds_load_b64 v[58:59], v123 offset:7168
	s_wait_dscnt 0x1
	v_add_nc_u32_e32 v60, v60, v100
	s_wait_dscnt 0x0
	global_store_b64 v60, v[58:59], s[44:45] scale_offset
	s_wait_xcnt 0x0
	s_or_b32 exec_lo, exec_lo, s15
	s_and_saveexec_b32 s15, s18
	s_cbranch_execz .LBB1216_229
.LBB1216_293:                           ;   in Loop: Header=BB1216_96 Depth=2
	v_lshlrev_b32_e32 v58, 2, v160
	ds_load_b32 v60, v58
	ds_load_b64 v[58:59], v123 offset:9216
	s_wait_dscnt 0x1
	v_add_nc_u32_e32 v60, v60, v101
	s_wait_dscnt 0x0
	global_store_b64 v60, v[58:59], s[44:45] scale_offset
	s_wait_xcnt 0x0
	s_or_b32 exec_lo, exec_lo, s15
	s_and_saveexec_b32 s15, s19
	s_cbranch_execz .LBB1216_230
.LBB1216_294:                           ;   in Loop: Header=BB1216_96 Depth=2
	v_lshlrev_b32_e32 v58, 2, v159
	ds_load_b32 v60, v58
	ds_load_b64 v[58:59], v123 offset:11264
	s_wait_dscnt 0x1
	v_add_nc_u32_e32 v60, v60, v102
	s_wait_dscnt 0x0
	global_store_b64 v60, v[58:59], s[44:45] scale_offset
	s_wait_xcnt 0x0
	s_or_b32 exec_lo, exec_lo, s15
	s_and_saveexec_b32 s15, s20
	s_cbranch_execz .LBB1216_231
.LBB1216_295:                           ;   in Loop: Header=BB1216_96 Depth=2
	v_lshlrev_b32_e32 v58, 2, v158
	ds_load_b32 v60, v58
	ds_load_b64 v[58:59], v123 offset:13312
	s_wait_dscnt 0x1
	v_add_nc_u32_e32 v60, v60, v103
	s_wait_dscnt 0x0
	global_store_b64 v60, v[58:59], s[44:45] scale_offset
	s_wait_xcnt 0x0
	s_or_b32 exec_lo, exec_lo, s15
	s_and_saveexec_b32 s15, s21
	s_cbranch_execz .LBB1216_232
.LBB1216_296:                           ;   in Loop: Header=BB1216_96 Depth=2
	v_lshlrev_b32_e32 v58, 2, v157
	ds_load_b32 v60, v58
	ds_load_b64 v[58:59], v123 offset:15360
	s_wait_dscnt 0x1
	v_add_nc_u32_e32 v60, v60, v104
	s_wait_dscnt 0x0
	global_store_b64 v60, v[58:59], s[44:45] scale_offset
	s_wait_xcnt 0x0
	s_or_b32 exec_lo, exec_lo, s15
	s_and_saveexec_b32 s15, s22
	s_cbranch_execz .LBB1216_233
.LBB1216_297:                           ;   in Loop: Header=BB1216_96 Depth=2
	v_lshlrev_b32_e32 v58, 2, v156
	ds_load_b32 v60, v58
	ds_load_b64 v[58:59], v123 offset:17408
	s_wait_dscnt 0x1
	v_add_nc_u32_e32 v60, v60, v105
	s_wait_dscnt 0x0
	global_store_b64 v60, v[58:59], s[44:45] scale_offset
	s_wait_xcnt 0x0
	s_or_b32 exec_lo, exec_lo, s15
	s_and_saveexec_b32 s15, s23
	s_cbranch_execz .LBB1216_234
.LBB1216_298:                           ;   in Loop: Header=BB1216_96 Depth=2
	v_lshlrev_b32_e32 v58, 2, v155
	ds_load_b32 v60, v58
	ds_load_b64 v[58:59], v123 offset:19456
	s_wait_dscnt 0x1
	v_add_nc_u32_e32 v60, v60, v106
	s_wait_dscnt 0x0
	global_store_b64 v60, v[58:59], s[44:45] scale_offset
	s_wait_xcnt 0x0
	s_or_b32 exec_lo, exec_lo, s15
	s_and_saveexec_b32 s15, s24
	s_cbranch_execz .LBB1216_235
.LBB1216_299:                           ;   in Loop: Header=BB1216_96 Depth=2
	v_lshlrev_b32_e32 v58, 2, v154
	ds_load_b32 v60, v58
	ds_load_b64 v[58:59], v123 offset:21504
	s_wait_dscnt 0x1
	v_add_nc_u32_e32 v60, v60, v107
	s_wait_dscnt 0x0
	global_store_b64 v60, v[58:59], s[44:45] scale_offset
	s_wait_xcnt 0x0
	s_or_b32 exec_lo, exec_lo, s15
	s_and_saveexec_b32 s15, s25
	s_cbranch_execz .LBB1216_236
.LBB1216_300:                           ;   in Loop: Header=BB1216_96 Depth=2
	v_lshlrev_b32_e32 v58, 2, v153
	ds_load_b32 v60, v58
	ds_load_b64 v[58:59], v123 offset:23552
	s_wait_dscnt 0x1
	v_add_nc_u32_e32 v60, v60, v108
	s_wait_dscnt 0x0
	global_store_b64 v60, v[58:59], s[44:45] scale_offset
	s_wait_xcnt 0x0
	s_or_b32 exec_lo, exec_lo, s15
	s_and_saveexec_b32 s15, s26
	s_cbranch_execz .LBB1216_237
.LBB1216_301:                           ;   in Loop: Header=BB1216_96 Depth=2
	v_lshlrev_b32_e32 v58, 2, v152
	ds_load_b32 v60, v58
	ds_load_b64 v[58:59], v123 offset:25600
	s_wait_dscnt 0x1
	v_add_nc_u32_e32 v60, v60, v109
	s_wait_dscnt 0x0
	global_store_b64 v60, v[58:59], s[44:45] scale_offset
	s_wait_xcnt 0x0
	s_or_b32 exec_lo, exec_lo, s15
	s_and_saveexec_b32 s15, s27
	s_cbranch_execz .LBB1216_238
.LBB1216_302:                           ;   in Loop: Header=BB1216_96 Depth=2
	v_lshlrev_b32_e32 v58, 2, v151
	ds_load_b32 v60, v58
	ds_load_b64 v[58:59], v123 offset:27648
	s_wait_dscnt 0x1
	v_add_nc_u32_e32 v60, v60, v110
	s_wait_dscnt 0x0
	global_store_b64 v60, v[58:59], s[44:45] scale_offset
	s_wait_xcnt 0x0
	s_or_b32 exec_lo, exec_lo, s15
	s_and_saveexec_b32 s15, s28
	s_cbranch_execz .LBB1216_239
.LBB1216_303:                           ;   in Loop: Header=BB1216_96 Depth=2
	v_lshlrev_b32_e32 v58, 2, v150
	ds_load_b32 v60, v58
	ds_load_b64 v[58:59], v123 offset:29696
	s_wait_dscnt 0x1
	v_add_nc_u32_e32 v60, v60, v111
	s_wait_dscnt 0x0
	global_store_b64 v60, v[58:59], s[44:45] scale_offset
	s_wait_xcnt 0x0
	s_or_b32 exec_lo, exec_lo, s15
	s_and_saveexec_b32 s15, s29
	s_cbranch_execnz .LBB1216_240
	s_branch .LBB1216_241
.LBB1216_304:                           ;   in Loop: Header=BB1216_12 Depth=1
	s_wait_dscnt 0x0
	s_barrier_signal -1
	s_mov_b32 s7, 0
	s_barrier_wait -1
.LBB1216_305:                           ;   in Loop: Header=BB1216_12 Depth=1
	s_and_b32 vcc_lo, exec_lo, s7
	s_cbranch_vccz .LBB1216_597
; %bb.306:                              ;   in Loop: Header=BB1216_12 Depth=1
	s_mov_b32 s7, s58
	s_mov_b32 s34, s56
	s_barrier_signal -1
	s_barrier_wait -1
                                        ; implicit-def: $vgpr22_vgpr23
                                        ; implicit-def: $vgpr24_vgpr25
                                        ; implicit-def: $vgpr26_vgpr27
                                        ; implicit-def: $vgpr28_vgpr29
                                        ; implicit-def: $vgpr30_vgpr31
                                        ; implicit-def: $vgpr32_vgpr33
                                        ; implicit-def: $vgpr34_vgpr35
                                        ; implicit-def: $vgpr36_vgpr37
                                        ; implicit-def: $vgpr38_vgpr39
                                        ; implicit-def: $vgpr40_vgpr41
                                        ; implicit-def: $vgpr42_vgpr43
                                        ; implicit-def: $vgpr44_vgpr45
                                        ; implicit-def: $vgpr46_vgpr47
                                        ; implicit-def: $vgpr48_vgpr49
                                        ; implicit-def: $vgpr50_vgpr51
                                        ; implicit-def: $vgpr52_vgpr53
	s_branch .LBB1216_308
.LBB1216_307:                           ;   in Loop: Header=BB1216_308 Depth=2
	s_or_b32 exec_lo, exec_lo, s8
	s_addk_co_i32 s7, 0xf000
	s_cmp_ge_u32 s10, s51
	s_mov_b32 s34, s10
	s_cbranch_scc1 .LBB1216_376
.LBB1216_308:                           ;   Parent Loop BB1216_12 Depth=1
                                        ; =>  This Inner Loop Header: Depth=2
	s_add_co_i32 s10, s34, 0x1000
	s_mov_b32 s8, -1
	s_cmp_gt_u32 s10, s51
                                        ; implicit-def: $vgpr54_vgpr55
                                        ; implicit-def: $vgpr56_vgpr57
                                        ; implicit-def: $vgpr58_vgpr59
                                        ; implicit-def: $vgpr60_vgpr61
                                        ; implicit-def: $vgpr62_vgpr63
                                        ; implicit-def: $vgpr64_vgpr65
                                        ; implicit-def: $vgpr66_vgpr67
                                        ; implicit-def: $vgpr68_vgpr69
                                        ; implicit-def: $vgpr70_vgpr71
                                        ; implicit-def: $vgpr72_vgpr73
                                        ; implicit-def: $vgpr74_vgpr75
                                        ; implicit-def: $vgpr76_vgpr77
                                        ; implicit-def: $vgpr78_vgpr79
                                        ; implicit-def: $vgpr80_vgpr81
                                        ; implicit-def: $vgpr82_vgpr83
                                        ; implicit-def: $vgpr84_vgpr85
	s_cbranch_scc1 .LBB1216_310
; %bb.309:                              ;   in Loop: Header=BB1216_308 Depth=2
	v_lshl_add_u64 v[84:85], s[34:35], 3, v[10:11]
	s_mov_b32 s8, 0
	s_clause 0xf
	global_load_b64 v[54:55], v[84:85], off
	global_load_b64 v[56:57], v[84:85], off offset:2048
	global_load_b64 v[58:59], v[84:85], off offset:4096
	;; [unrolled: 1-line block ×15, first 2 shown]
.LBB1216_310:                           ;   in Loop: Header=BB1216_308 Depth=2
	s_and_not1_b32 vcc_lo, exec_lo, s8
	s_movk_i32 s8, 0x1000
	s_cbranch_vccnz .LBB1216_329
; %bb.311:                              ;   in Loop: Header=BB1216_308 Depth=2
	s_lshl_b64 s[8:9], s[34:35], 3
	s_mov_b32 s11, exec_lo
	s_add_nc_u64 s[8:9], s[38:39], s[8:9]
	s_wait_xcnt 0x0
	v_cmpx_gt_u32_e64 s7, v2
	s_cbranch_execnz .LBB1216_361
; %bb.312:                              ;   in Loop: Header=BB1216_308 Depth=2
	s_or_b32 exec_lo, exec_lo, s11
	s_delay_alu instid0(SALU_CYCLE_1)
	s_mov_b32 s11, exec_lo
	v_cmpx_gt_u32_e64 s7, v98
	s_cbranch_execnz .LBB1216_362
.LBB1216_313:                           ;   in Loop: Header=BB1216_308 Depth=2
	s_or_b32 exec_lo, exec_lo, s11
	s_delay_alu instid0(SALU_CYCLE_1)
	s_mov_b32 s11, exec_lo
	v_cmpx_gt_u32_e64 s7, v99
	s_cbranch_execnz .LBB1216_363
.LBB1216_314:                           ;   in Loop: Header=BB1216_308 Depth=2
	s_or_b32 exec_lo, exec_lo, s11
	s_delay_alu instid0(SALU_CYCLE_1)
	s_mov_b32 s11, exec_lo
	v_cmpx_gt_u32_e64 s7, v100
	s_cbranch_execnz .LBB1216_364
.LBB1216_315:                           ;   in Loop: Header=BB1216_308 Depth=2
	s_or_b32 exec_lo, exec_lo, s11
	s_delay_alu instid0(SALU_CYCLE_1)
	s_mov_b32 s11, exec_lo
	v_cmpx_gt_u32_e64 s7, v101
	s_cbranch_execnz .LBB1216_365
.LBB1216_316:                           ;   in Loop: Header=BB1216_308 Depth=2
	s_or_b32 exec_lo, exec_lo, s11
	s_delay_alu instid0(SALU_CYCLE_1)
	s_mov_b32 s11, exec_lo
	v_cmpx_gt_u32_e64 s7, v102
	s_cbranch_execnz .LBB1216_366
.LBB1216_317:                           ;   in Loop: Header=BB1216_308 Depth=2
	s_or_b32 exec_lo, exec_lo, s11
	s_delay_alu instid0(SALU_CYCLE_1)
	s_mov_b32 s11, exec_lo
	v_cmpx_gt_u32_e64 s7, v103
	s_cbranch_execnz .LBB1216_367
.LBB1216_318:                           ;   in Loop: Header=BB1216_308 Depth=2
	s_or_b32 exec_lo, exec_lo, s11
	s_delay_alu instid0(SALU_CYCLE_1)
	s_mov_b32 s11, exec_lo
	v_cmpx_gt_u32_e64 s7, v104
	s_cbranch_execnz .LBB1216_368
.LBB1216_319:                           ;   in Loop: Header=BB1216_308 Depth=2
	s_or_b32 exec_lo, exec_lo, s11
	s_delay_alu instid0(SALU_CYCLE_1)
	s_mov_b32 s11, exec_lo
	v_cmpx_gt_u32_e64 s7, v105
	s_cbranch_execnz .LBB1216_369
.LBB1216_320:                           ;   in Loop: Header=BB1216_308 Depth=2
	s_or_b32 exec_lo, exec_lo, s11
	s_delay_alu instid0(SALU_CYCLE_1)
	s_mov_b32 s11, exec_lo
	v_cmpx_gt_u32_e64 s7, v106
	s_cbranch_execnz .LBB1216_370
.LBB1216_321:                           ;   in Loop: Header=BB1216_308 Depth=2
	s_or_b32 exec_lo, exec_lo, s11
	s_delay_alu instid0(SALU_CYCLE_1)
	s_mov_b32 s11, exec_lo
	v_cmpx_gt_u32_e64 s7, v107
	s_cbranch_execnz .LBB1216_371
.LBB1216_322:                           ;   in Loop: Header=BB1216_308 Depth=2
	s_or_b32 exec_lo, exec_lo, s11
	s_delay_alu instid0(SALU_CYCLE_1)
	s_mov_b32 s11, exec_lo
	v_cmpx_gt_u32_e64 s7, v108
	s_cbranch_execnz .LBB1216_372
.LBB1216_323:                           ;   in Loop: Header=BB1216_308 Depth=2
	s_or_b32 exec_lo, exec_lo, s11
	s_delay_alu instid0(SALU_CYCLE_1)
	s_mov_b32 s11, exec_lo
	v_cmpx_gt_u32_e64 s7, v109
	s_cbranch_execnz .LBB1216_373
.LBB1216_324:                           ;   in Loop: Header=BB1216_308 Depth=2
	s_or_b32 exec_lo, exec_lo, s11
	s_delay_alu instid0(SALU_CYCLE_1)
	s_mov_b32 s11, exec_lo
	v_cmpx_gt_u32_e64 s7, v110
	s_cbranch_execnz .LBB1216_374
.LBB1216_325:                           ;   in Loop: Header=BB1216_308 Depth=2
	s_or_b32 exec_lo, exec_lo, s11
	s_delay_alu instid0(SALU_CYCLE_1)
	s_mov_b32 s11, exec_lo
	v_cmpx_gt_u32_e64 s7, v111
	s_cbranch_execnz .LBB1216_375
.LBB1216_326:                           ;   in Loop: Header=BB1216_308 Depth=2
	s_or_b32 exec_lo, exec_lo, s11
	s_delay_alu instid0(SALU_CYCLE_1)
	s_mov_b32 s11, exec_lo
	v_cmpx_gt_u32_e64 s7, v112
	s_cbranch_execz .LBB1216_328
.LBB1216_327:                           ;   in Loop: Header=BB1216_308 Depth=2
	global_load_b64 v[22:23], v2, s[8:9] offset:30720 scale_offset
.LBB1216_328:                           ;   in Loop: Header=BB1216_308 Depth=2
	s_wait_xcnt 0x0
	s_or_b32 exec_lo, exec_lo, s11
	s_wait_loadcnt 0x0
	v_mov_b64_e32 v[54:55], v[52:53]
	v_mov_b64_e32 v[56:57], v[50:51]
	;; [unrolled: 1-line block ×16, first 2 shown]
	s_mov_b32 s8, s7
.LBB1216_329:                           ;   in Loop: Header=BB1216_308 Depth=2
	s_wait_loadcnt 0x0
	s_delay_alu instid0(VALU_DEP_1) | instskip(NEXT) | instid1(VALU_DEP_3)
	v_mov_b64_e32 v[22:23], v[84:85]
	v_mov_b64_e32 v[24:25], v[82:83]
	;; [unrolled: 1-line block ×16, first 2 shown]
	s_mov_b32 s9, exec_lo
	s_wait_xcnt 0x0
	v_cmpx_gt_u32_e64 s8, v2
	s_cbranch_execnz .LBB1216_345
; %bb.330:                              ;   in Loop: Header=BB1216_308 Depth=2
	s_or_b32 exec_lo, exec_lo, s9
	s_delay_alu instid0(SALU_CYCLE_1)
	s_mov_b32 s9, exec_lo
	v_cmpx_gt_u32_e64 s8, v98
	s_cbranch_execnz .LBB1216_346
.LBB1216_331:                           ;   in Loop: Header=BB1216_308 Depth=2
	s_or_b32 exec_lo, exec_lo, s9
	s_delay_alu instid0(SALU_CYCLE_1)
	s_mov_b32 s9, exec_lo
	v_cmpx_gt_u32_e64 s8, v99
	s_cbranch_execnz .LBB1216_347
.LBB1216_332:                           ;   in Loop: Header=BB1216_308 Depth=2
	s_or_b32 exec_lo, exec_lo, s9
	s_delay_alu instid0(SALU_CYCLE_1)
	s_mov_b32 s9, exec_lo
	v_cmpx_gt_u32_e64 s8, v100
	s_cbranch_execnz .LBB1216_348
.LBB1216_333:                           ;   in Loop: Header=BB1216_308 Depth=2
	s_or_b32 exec_lo, exec_lo, s9
	s_delay_alu instid0(SALU_CYCLE_1)
	s_mov_b32 s9, exec_lo
	v_cmpx_gt_u32_e64 s8, v101
	s_cbranch_execnz .LBB1216_349
.LBB1216_334:                           ;   in Loop: Header=BB1216_308 Depth=2
	s_or_b32 exec_lo, exec_lo, s9
	s_delay_alu instid0(SALU_CYCLE_1)
	s_mov_b32 s9, exec_lo
	v_cmpx_gt_u32_e64 s8, v102
	s_cbranch_execnz .LBB1216_350
.LBB1216_335:                           ;   in Loop: Header=BB1216_308 Depth=2
	s_or_b32 exec_lo, exec_lo, s9
	s_delay_alu instid0(SALU_CYCLE_1)
	s_mov_b32 s9, exec_lo
	v_cmpx_gt_u32_e64 s8, v103
	s_cbranch_execnz .LBB1216_351
.LBB1216_336:                           ;   in Loop: Header=BB1216_308 Depth=2
	s_or_b32 exec_lo, exec_lo, s9
	s_delay_alu instid0(SALU_CYCLE_1)
	s_mov_b32 s9, exec_lo
	v_cmpx_gt_u32_e64 s8, v104
	s_cbranch_execnz .LBB1216_352
.LBB1216_337:                           ;   in Loop: Header=BB1216_308 Depth=2
	s_or_b32 exec_lo, exec_lo, s9
	s_delay_alu instid0(SALU_CYCLE_1)
	s_mov_b32 s9, exec_lo
	v_cmpx_gt_u32_e64 s8, v105
	s_cbranch_execnz .LBB1216_353
.LBB1216_338:                           ;   in Loop: Header=BB1216_308 Depth=2
	s_or_b32 exec_lo, exec_lo, s9
	s_delay_alu instid0(SALU_CYCLE_1)
	s_mov_b32 s9, exec_lo
	v_cmpx_gt_u32_e64 s8, v106
	s_cbranch_execnz .LBB1216_354
.LBB1216_339:                           ;   in Loop: Header=BB1216_308 Depth=2
	s_or_b32 exec_lo, exec_lo, s9
	s_delay_alu instid0(SALU_CYCLE_1)
	s_mov_b32 s9, exec_lo
	v_cmpx_gt_u32_e64 s8, v107
	s_cbranch_execnz .LBB1216_355
.LBB1216_340:                           ;   in Loop: Header=BB1216_308 Depth=2
	s_or_b32 exec_lo, exec_lo, s9
	s_delay_alu instid0(SALU_CYCLE_1)
	s_mov_b32 s9, exec_lo
	v_cmpx_gt_u32_e64 s8, v108
	s_cbranch_execnz .LBB1216_356
.LBB1216_341:                           ;   in Loop: Header=BB1216_308 Depth=2
	s_or_b32 exec_lo, exec_lo, s9
	s_delay_alu instid0(SALU_CYCLE_1)
	s_mov_b32 s9, exec_lo
	v_cmpx_gt_u32_e64 s8, v109
	s_cbranch_execnz .LBB1216_357
.LBB1216_342:                           ;   in Loop: Header=BB1216_308 Depth=2
	s_or_b32 exec_lo, exec_lo, s9
	s_delay_alu instid0(SALU_CYCLE_1)
	s_mov_b32 s9, exec_lo
	v_cmpx_gt_u32_e64 s8, v110
	s_cbranch_execnz .LBB1216_358
.LBB1216_343:                           ;   in Loop: Header=BB1216_308 Depth=2
	s_or_b32 exec_lo, exec_lo, s9
	s_delay_alu instid0(SALU_CYCLE_1)
	s_mov_b32 s9, exec_lo
	v_cmpx_gt_u32_e64 s8, v111
	s_cbranch_execnz .LBB1216_359
.LBB1216_344:                           ;   in Loop: Header=BB1216_308 Depth=2
	s_or_b32 exec_lo, exec_lo, s9
	v_cmp_gt_u32_e32 vcc_lo, s8, v112
	s_and_saveexec_b32 s8, vcc_lo
	s_cbranch_execz .LBB1216_307
	s_branch .LBB1216_360
.LBB1216_345:                           ;   in Loop: Header=BB1216_308 Depth=2
	s_delay_alu instid0(VALU_DEP_2) | instskip(SKIP_1) | instid1(VALU_DEP_1)
	v_cmp_lt_i64_e32 vcc_lo, -1, v[52:53]
	v_cndmask_b32_e64 v54, -1, 0x80000000, vcc_lo
	v_dual_ashrrev_i32 v56, 31, v53 :: v_dual_bitop2_b32 v55, v54, v53 bitop3:0x14
	s_delay_alu instid0(VALU_DEP_1) | instskip(NEXT) | instid1(VALU_DEP_1)
	v_xor_b32_e32 v54, v56, v52
	v_cmp_ne_u64_e32 vcc_lo, s[42:43], v[54:55]
	v_cndmask_b32_e32 v55, 0x80000000, v55, vcc_lo
	v_cndmask_b32_e32 v54, 0, v54, vcc_lo
	s_delay_alu instid0(VALU_DEP_1) | instskip(NEXT) | instid1(VALU_DEP_1)
	v_lshrrev_b64 v[54:55], s54, v[54:55]
	v_and_b32_e32 v54, s59, v54
	s_delay_alu instid0(VALU_DEP_1) | instskip(SKIP_2) | instid1(SALU_CYCLE_1)
	v_lshl_or_b32 v54, v54, 4, v113
	ds_add_u32 v54, v125
	s_or_b32 exec_lo, exec_lo, s9
	s_mov_b32 s9, exec_lo
	v_cmpx_gt_u32_e64 s8, v98
	s_cbranch_execz .LBB1216_331
.LBB1216_346:                           ;   in Loop: Header=BB1216_308 Depth=2
	v_cmp_lt_i64_e32 vcc_lo, -1, v[50:51]
	v_cndmask_b32_e64 v54, -1, 0x80000000, vcc_lo
	s_delay_alu instid0(VALU_DEP_1) | instskip(NEXT) | instid1(VALU_DEP_1)
	v_dual_ashrrev_i32 v56, 31, v51 :: v_dual_bitop2_b32 v55, v54, v51 bitop3:0x14
	v_xor_b32_e32 v54, v56, v50
	s_delay_alu instid0(VALU_DEP_1) | instskip(SKIP_2) | instid1(VALU_DEP_1)
	v_cmp_ne_u64_e32 vcc_lo, s[42:43], v[54:55]
	v_cndmask_b32_e32 v55, 0x80000000, v55, vcc_lo
	v_cndmask_b32_e32 v54, 0, v54, vcc_lo
	v_lshrrev_b64 v[54:55], s54, v[54:55]
	s_delay_alu instid0(VALU_DEP_1) | instskip(NEXT) | instid1(VALU_DEP_1)
	v_and_b32_e32 v54, s59, v54
	v_lshl_or_b32 v54, v54, 4, v113
	ds_add_u32 v54, v125
	s_or_b32 exec_lo, exec_lo, s9
	s_delay_alu instid0(SALU_CYCLE_1)
	s_mov_b32 s9, exec_lo
	v_cmpx_gt_u32_e64 s8, v99
	s_cbranch_execz .LBB1216_332
.LBB1216_347:                           ;   in Loop: Header=BB1216_308 Depth=2
	v_cmp_lt_i64_e32 vcc_lo, -1, v[48:49]
	v_cndmask_b32_e64 v54, -1, 0x80000000, vcc_lo
	s_delay_alu instid0(VALU_DEP_1) | instskip(NEXT) | instid1(VALU_DEP_1)
	v_dual_ashrrev_i32 v56, 31, v49 :: v_dual_bitop2_b32 v55, v54, v49 bitop3:0x14
	v_xor_b32_e32 v54, v56, v48
	s_delay_alu instid0(VALU_DEP_1) | instskip(SKIP_2) | instid1(VALU_DEP_1)
	v_cmp_ne_u64_e32 vcc_lo, s[42:43], v[54:55]
	v_cndmask_b32_e32 v55, 0x80000000, v55, vcc_lo
	v_cndmask_b32_e32 v54, 0, v54, vcc_lo
	v_lshrrev_b64 v[54:55], s54, v[54:55]
	s_delay_alu instid0(VALU_DEP_1) | instskip(NEXT) | instid1(VALU_DEP_1)
	v_and_b32_e32 v54, s59, v54
	v_lshl_or_b32 v54, v54, 4, v113
	ds_add_u32 v54, v125
	s_or_b32 exec_lo, exec_lo, s9
	s_delay_alu instid0(SALU_CYCLE_1)
	s_mov_b32 s9, exec_lo
	v_cmpx_gt_u32_e64 s8, v100
	s_cbranch_execz .LBB1216_333
.LBB1216_348:                           ;   in Loop: Header=BB1216_308 Depth=2
	v_cmp_lt_i64_e32 vcc_lo, -1, v[46:47]
	v_cndmask_b32_e64 v54, -1, 0x80000000, vcc_lo
	s_delay_alu instid0(VALU_DEP_1) | instskip(NEXT) | instid1(VALU_DEP_1)
	v_dual_ashrrev_i32 v56, 31, v47 :: v_dual_bitop2_b32 v55, v54, v47 bitop3:0x14
	v_xor_b32_e32 v54, v56, v46
	s_delay_alu instid0(VALU_DEP_1) | instskip(SKIP_2) | instid1(VALU_DEP_1)
	v_cmp_ne_u64_e32 vcc_lo, s[42:43], v[54:55]
	v_cndmask_b32_e32 v55, 0x80000000, v55, vcc_lo
	v_cndmask_b32_e32 v54, 0, v54, vcc_lo
	v_lshrrev_b64 v[54:55], s54, v[54:55]
	s_delay_alu instid0(VALU_DEP_1) | instskip(NEXT) | instid1(VALU_DEP_1)
	v_and_b32_e32 v54, s59, v54
	v_lshl_or_b32 v54, v54, 4, v113
	ds_add_u32 v54, v125
	s_or_b32 exec_lo, exec_lo, s9
	s_delay_alu instid0(SALU_CYCLE_1)
	s_mov_b32 s9, exec_lo
	v_cmpx_gt_u32_e64 s8, v101
	s_cbranch_execz .LBB1216_334
.LBB1216_349:                           ;   in Loop: Header=BB1216_308 Depth=2
	v_cmp_lt_i64_e32 vcc_lo, -1, v[44:45]
	v_cndmask_b32_e64 v54, -1, 0x80000000, vcc_lo
	s_delay_alu instid0(VALU_DEP_1) | instskip(NEXT) | instid1(VALU_DEP_1)
	v_dual_ashrrev_i32 v56, 31, v45 :: v_dual_bitop2_b32 v55, v54, v45 bitop3:0x14
	v_xor_b32_e32 v54, v56, v44
	s_delay_alu instid0(VALU_DEP_1) | instskip(SKIP_2) | instid1(VALU_DEP_1)
	v_cmp_ne_u64_e32 vcc_lo, s[42:43], v[54:55]
	v_cndmask_b32_e32 v55, 0x80000000, v55, vcc_lo
	v_cndmask_b32_e32 v54, 0, v54, vcc_lo
	v_lshrrev_b64 v[54:55], s54, v[54:55]
	s_delay_alu instid0(VALU_DEP_1) | instskip(NEXT) | instid1(VALU_DEP_1)
	v_and_b32_e32 v54, s59, v54
	v_lshl_or_b32 v54, v54, 4, v113
	ds_add_u32 v54, v125
	s_or_b32 exec_lo, exec_lo, s9
	s_delay_alu instid0(SALU_CYCLE_1)
	s_mov_b32 s9, exec_lo
	v_cmpx_gt_u32_e64 s8, v102
	s_cbranch_execz .LBB1216_335
.LBB1216_350:                           ;   in Loop: Header=BB1216_308 Depth=2
	v_cmp_lt_i64_e32 vcc_lo, -1, v[42:43]
	v_cndmask_b32_e64 v54, -1, 0x80000000, vcc_lo
	s_delay_alu instid0(VALU_DEP_1) | instskip(NEXT) | instid1(VALU_DEP_1)
	v_dual_ashrrev_i32 v56, 31, v43 :: v_dual_bitop2_b32 v55, v54, v43 bitop3:0x14
	v_xor_b32_e32 v54, v56, v42
	s_delay_alu instid0(VALU_DEP_1) | instskip(SKIP_2) | instid1(VALU_DEP_1)
	v_cmp_ne_u64_e32 vcc_lo, s[42:43], v[54:55]
	v_cndmask_b32_e32 v55, 0x80000000, v55, vcc_lo
	v_cndmask_b32_e32 v54, 0, v54, vcc_lo
	v_lshrrev_b64 v[54:55], s54, v[54:55]
	s_delay_alu instid0(VALU_DEP_1) | instskip(NEXT) | instid1(VALU_DEP_1)
	v_and_b32_e32 v54, s59, v54
	v_lshl_or_b32 v54, v54, 4, v113
	ds_add_u32 v54, v125
	s_or_b32 exec_lo, exec_lo, s9
	s_delay_alu instid0(SALU_CYCLE_1)
	s_mov_b32 s9, exec_lo
	v_cmpx_gt_u32_e64 s8, v103
	s_cbranch_execz .LBB1216_336
.LBB1216_351:                           ;   in Loop: Header=BB1216_308 Depth=2
	v_cmp_lt_i64_e32 vcc_lo, -1, v[40:41]
	v_cndmask_b32_e64 v54, -1, 0x80000000, vcc_lo
	s_delay_alu instid0(VALU_DEP_1) | instskip(NEXT) | instid1(VALU_DEP_1)
	v_dual_ashrrev_i32 v56, 31, v41 :: v_dual_bitop2_b32 v55, v54, v41 bitop3:0x14
	v_xor_b32_e32 v54, v56, v40
	s_delay_alu instid0(VALU_DEP_1) | instskip(SKIP_2) | instid1(VALU_DEP_1)
	v_cmp_ne_u64_e32 vcc_lo, s[42:43], v[54:55]
	v_cndmask_b32_e32 v55, 0x80000000, v55, vcc_lo
	v_cndmask_b32_e32 v54, 0, v54, vcc_lo
	v_lshrrev_b64 v[54:55], s54, v[54:55]
	s_delay_alu instid0(VALU_DEP_1) | instskip(NEXT) | instid1(VALU_DEP_1)
	v_and_b32_e32 v54, s59, v54
	v_lshl_or_b32 v54, v54, 4, v113
	ds_add_u32 v54, v125
	s_or_b32 exec_lo, exec_lo, s9
	s_delay_alu instid0(SALU_CYCLE_1)
	s_mov_b32 s9, exec_lo
	v_cmpx_gt_u32_e64 s8, v104
	s_cbranch_execz .LBB1216_337
.LBB1216_352:                           ;   in Loop: Header=BB1216_308 Depth=2
	v_cmp_lt_i64_e32 vcc_lo, -1, v[38:39]
	v_cndmask_b32_e64 v54, -1, 0x80000000, vcc_lo
	s_delay_alu instid0(VALU_DEP_1) | instskip(NEXT) | instid1(VALU_DEP_1)
	v_dual_ashrrev_i32 v56, 31, v39 :: v_dual_bitop2_b32 v55, v54, v39 bitop3:0x14
	v_xor_b32_e32 v54, v56, v38
	s_delay_alu instid0(VALU_DEP_1) | instskip(SKIP_2) | instid1(VALU_DEP_1)
	v_cmp_ne_u64_e32 vcc_lo, s[42:43], v[54:55]
	v_cndmask_b32_e32 v55, 0x80000000, v55, vcc_lo
	v_cndmask_b32_e32 v54, 0, v54, vcc_lo
	v_lshrrev_b64 v[54:55], s54, v[54:55]
	s_delay_alu instid0(VALU_DEP_1) | instskip(NEXT) | instid1(VALU_DEP_1)
	v_and_b32_e32 v54, s59, v54
	v_lshl_or_b32 v54, v54, 4, v113
	ds_add_u32 v54, v125
	s_or_b32 exec_lo, exec_lo, s9
	s_delay_alu instid0(SALU_CYCLE_1)
	s_mov_b32 s9, exec_lo
	v_cmpx_gt_u32_e64 s8, v105
	s_cbranch_execz .LBB1216_338
.LBB1216_353:                           ;   in Loop: Header=BB1216_308 Depth=2
	v_cmp_lt_i64_e32 vcc_lo, -1, v[36:37]
	v_cndmask_b32_e64 v54, -1, 0x80000000, vcc_lo
	s_delay_alu instid0(VALU_DEP_1) | instskip(NEXT) | instid1(VALU_DEP_1)
	v_dual_ashrrev_i32 v56, 31, v37 :: v_dual_bitop2_b32 v55, v54, v37 bitop3:0x14
	v_xor_b32_e32 v54, v56, v36
	s_delay_alu instid0(VALU_DEP_1) | instskip(SKIP_2) | instid1(VALU_DEP_1)
	v_cmp_ne_u64_e32 vcc_lo, s[42:43], v[54:55]
	v_cndmask_b32_e32 v55, 0x80000000, v55, vcc_lo
	v_cndmask_b32_e32 v54, 0, v54, vcc_lo
	v_lshrrev_b64 v[54:55], s54, v[54:55]
	s_delay_alu instid0(VALU_DEP_1) | instskip(NEXT) | instid1(VALU_DEP_1)
	v_and_b32_e32 v54, s59, v54
	v_lshl_or_b32 v54, v54, 4, v113
	ds_add_u32 v54, v125
	s_or_b32 exec_lo, exec_lo, s9
	s_delay_alu instid0(SALU_CYCLE_1)
	s_mov_b32 s9, exec_lo
	v_cmpx_gt_u32_e64 s8, v106
	s_cbranch_execz .LBB1216_339
.LBB1216_354:                           ;   in Loop: Header=BB1216_308 Depth=2
	v_cmp_lt_i64_e32 vcc_lo, -1, v[34:35]
	v_cndmask_b32_e64 v54, -1, 0x80000000, vcc_lo
	s_delay_alu instid0(VALU_DEP_1) | instskip(NEXT) | instid1(VALU_DEP_1)
	v_dual_ashrrev_i32 v56, 31, v35 :: v_dual_bitop2_b32 v55, v54, v35 bitop3:0x14
	v_xor_b32_e32 v54, v56, v34
	s_delay_alu instid0(VALU_DEP_1) | instskip(SKIP_2) | instid1(VALU_DEP_1)
	v_cmp_ne_u64_e32 vcc_lo, s[42:43], v[54:55]
	v_cndmask_b32_e32 v55, 0x80000000, v55, vcc_lo
	v_cndmask_b32_e32 v54, 0, v54, vcc_lo
	v_lshrrev_b64 v[54:55], s54, v[54:55]
	s_delay_alu instid0(VALU_DEP_1) | instskip(NEXT) | instid1(VALU_DEP_1)
	v_and_b32_e32 v54, s59, v54
	v_lshl_or_b32 v54, v54, 4, v113
	ds_add_u32 v54, v125
	s_or_b32 exec_lo, exec_lo, s9
	s_delay_alu instid0(SALU_CYCLE_1)
	s_mov_b32 s9, exec_lo
	v_cmpx_gt_u32_e64 s8, v107
	s_cbranch_execz .LBB1216_340
.LBB1216_355:                           ;   in Loop: Header=BB1216_308 Depth=2
	v_cmp_lt_i64_e32 vcc_lo, -1, v[32:33]
	v_cndmask_b32_e64 v54, -1, 0x80000000, vcc_lo
	s_delay_alu instid0(VALU_DEP_1) | instskip(NEXT) | instid1(VALU_DEP_1)
	v_dual_ashrrev_i32 v56, 31, v33 :: v_dual_bitop2_b32 v55, v54, v33 bitop3:0x14
	v_xor_b32_e32 v54, v56, v32
	s_delay_alu instid0(VALU_DEP_1) | instskip(SKIP_2) | instid1(VALU_DEP_1)
	v_cmp_ne_u64_e32 vcc_lo, s[42:43], v[54:55]
	v_cndmask_b32_e32 v55, 0x80000000, v55, vcc_lo
	v_cndmask_b32_e32 v54, 0, v54, vcc_lo
	v_lshrrev_b64 v[54:55], s54, v[54:55]
	s_delay_alu instid0(VALU_DEP_1) | instskip(NEXT) | instid1(VALU_DEP_1)
	v_and_b32_e32 v54, s59, v54
	v_lshl_or_b32 v54, v54, 4, v113
	ds_add_u32 v54, v125
	s_or_b32 exec_lo, exec_lo, s9
	s_delay_alu instid0(SALU_CYCLE_1)
	s_mov_b32 s9, exec_lo
	v_cmpx_gt_u32_e64 s8, v108
	s_cbranch_execz .LBB1216_341
.LBB1216_356:                           ;   in Loop: Header=BB1216_308 Depth=2
	v_cmp_lt_i64_e32 vcc_lo, -1, v[30:31]
	v_cndmask_b32_e64 v54, -1, 0x80000000, vcc_lo
	s_delay_alu instid0(VALU_DEP_1) | instskip(NEXT) | instid1(VALU_DEP_1)
	v_dual_ashrrev_i32 v56, 31, v31 :: v_dual_bitop2_b32 v55, v54, v31 bitop3:0x14
	v_xor_b32_e32 v54, v56, v30
	s_delay_alu instid0(VALU_DEP_1) | instskip(SKIP_2) | instid1(VALU_DEP_1)
	v_cmp_ne_u64_e32 vcc_lo, s[42:43], v[54:55]
	v_cndmask_b32_e32 v55, 0x80000000, v55, vcc_lo
	v_cndmask_b32_e32 v54, 0, v54, vcc_lo
	v_lshrrev_b64 v[54:55], s54, v[54:55]
	s_delay_alu instid0(VALU_DEP_1) | instskip(NEXT) | instid1(VALU_DEP_1)
	v_and_b32_e32 v54, s59, v54
	v_lshl_or_b32 v54, v54, 4, v113
	ds_add_u32 v54, v125
	s_or_b32 exec_lo, exec_lo, s9
	s_delay_alu instid0(SALU_CYCLE_1)
	s_mov_b32 s9, exec_lo
	v_cmpx_gt_u32_e64 s8, v109
	s_cbranch_execz .LBB1216_342
.LBB1216_357:                           ;   in Loop: Header=BB1216_308 Depth=2
	v_cmp_lt_i64_e32 vcc_lo, -1, v[28:29]
	v_cndmask_b32_e64 v54, -1, 0x80000000, vcc_lo
	s_delay_alu instid0(VALU_DEP_1) | instskip(NEXT) | instid1(VALU_DEP_1)
	v_dual_ashrrev_i32 v56, 31, v29 :: v_dual_bitop2_b32 v55, v54, v29 bitop3:0x14
	v_xor_b32_e32 v54, v56, v28
	s_delay_alu instid0(VALU_DEP_1) | instskip(SKIP_2) | instid1(VALU_DEP_1)
	v_cmp_ne_u64_e32 vcc_lo, s[42:43], v[54:55]
	v_cndmask_b32_e32 v55, 0x80000000, v55, vcc_lo
	v_cndmask_b32_e32 v54, 0, v54, vcc_lo
	v_lshrrev_b64 v[54:55], s54, v[54:55]
	s_delay_alu instid0(VALU_DEP_1) | instskip(NEXT) | instid1(VALU_DEP_1)
	v_and_b32_e32 v54, s59, v54
	v_lshl_or_b32 v54, v54, 4, v113
	ds_add_u32 v54, v125
	s_or_b32 exec_lo, exec_lo, s9
	s_delay_alu instid0(SALU_CYCLE_1)
	s_mov_b32 s9, exec_lo
	v_cmpx_gt_u32_e64 s8, v110
	s_cbranch_execz .LBB1216_343
.LBB1216_358:                           ;   in Loop: Header=BB1216_308 Depth=2
	v_cmp_lt_i64_e32 vcc_lo, -1, v[26:27]
	v_cndmask_b32_e64 v54, -1, 0x80000000, vcc_lo
	s_delay_alu instid0(VALU_DEP_1) | instskip(NEXT) | instid1(VALU_DEP_1)
	v_dual_ashrrev_i32 v56, 31, v27 :: v_dual_bitop2_b32 v55, v54, v27 bitop3:0x14
	v_xor_b32_e32 v54, v56, v26
	s_delay_alu instid0(VALU_DEP_1) | instskip(SKIP_2) | instid1(VALU_DEP_1)
	v_cmp_ne_u64_e32 vcc_lo, s[42:43], v[54:55]
	v_cndmask_b32_e32 v55, 0x80000000, v55, vcc_lo
	v_cndmask_b32_e32 v54, 0, v54, vcc_lo
	v_lshrrev_b64 v[54:55], s54, v[54:55]
	s_delay_alu instid0(VALU_DEP_1) | instskip(NEXT) | instid1(VALU_DEP_1)
	v_and_b32_e32 v54, s59, v54
	v_lshl_or_b32 v54, v54, 4, v113
	ds_add_u32 v54, v125
	s_or_b32 exec_lo, exec_lo, s9
	s_delay_alu instid0(SALU_CYCLE_1)
	s_mov_b32 s9, exec_lo
	v_cmpx_gt_u32_e64 s8, v111
	s_cbranch_execz .LBB1216_344
.LBB1216_359:                           ;   in Loop: Header=BB1216_308 Depth=2
	v_cmp_lt_i64_e32 vcc_lo, -1, v[24:25]
	v_cndmask_b32_e64 v54, -1, 0x80000000, vcc_lo
	s_delay_alu instid0(VALU_DEP_1) | instskip(NEXT) | instid1(VALU_DEP_1)
	v_dual_ashrrev_i32 v56, 31, v25 :: v_dual_bitop2_b32 v55, v54, v25 bitop3:0x14
	v_xor_b32_e32 v54, v56, v24
	s_delay_alu instid0(VALU_DEP_1) | instskip(SKIP_2) | instid1(VALU_DEP_1)
	v_cmp_ne_u64_e32 vcc_lo, s[42:43], v[54:55]
	v_cndmask_b32_e32 v55, 0x80000000, v55, vcc_lo
	v_cndmask_b32_e32 v54, 0, v54, vcc_lo
	v_lshrrev_b64 v[54:55], s54, v[54:55]
	s_delay_alu instid0(VALU_DEP_1) | instskip(NEXT) | instid1(VALU_DEP_1)
	v_and_b32_e32 v54, s59, v54
	v_lshl_or_b32 v54, v54, 4, v113
	ds_add_u32 v54, v125
	s_or_b32 exec_lo, exec_lo, s9
	v_cmp_gt_u32_e32 vcc_lo, s8, v112
	s_and_saveexec_b32 s8, vcc_lo
	s_cbranch_execz .LBB1216_307
.LBB1216_360:                           ;   in Loop: Header=BB1216_308 Depth=2
	v_cmp_lt_i64_e32 vcc_lo, -1, v[22:23]
	v_cndmask_b32_e64 v54, -1, 0x80000000, vcc_lo
	s_delay_alu instid0(VALU_DEP_1) | instskip(NEXT) | instid1(VALU_DEP_1)
	v_dual_ashrrev_i32 v56, 31, v23 :: v_dual_bitop2_b32 v55, v54, v23 bitop3:0x14
	v_xor_b32_e32 v54, v56, v22
	s_delay_alu instid0(VALU_DEP_1) | instskip(SKIP_2) | instid1(VALU_DEP_1)
	v_cmp_ne_u64_e32 vcc_lo, s[42:43], v[54:55]
	v_cndmask_b32_e32 v55, 0x80000000, v55, vcc_lo
	v_cndmask_b32_e32 v54, 0, v54, vcc_lo
	v_lshrrev_b64 v[54:55], s54, v[54:55]
	s_delay_alu instid0(VALU_DEP_1) | instskip(NEXT) | instid1(VALU_DEP_1)
	v_and_b32_e32 v54, s59, v54
	v_lshl_or_b32 v54, v54, 4, v113
	ds_add_u32 v54, v125
	s_branch .LBB1216_307
.LBB1216_361:                           ;   in Loop: Header=BB1216_308 Depth=2
	global_load_b64 v[52:53], v2, s[8:9] scale_offset
	s_wait_xcnt 0x0
	s_or_b32 exec_lo, exec_lo, s11
	s_delay_alu instid0(SALU_CYCLE_1)
	s_mov_b32 s11, exec_lo
	v_cmpx_gt_u32_e64 s7, v98
	s_cbranch_execz .LBB1216_313
.LBB1216_362:                           ;   in Loop: Header=BB1216_308 Depth=2
	global_load_b64 v[50:51], v2, s[8:9] offset:2048 scale_offset
	s_wait_xcnt 0x0
	s_or_b32 exec_lo, exec_lo, s11
	s_delay_alu instid0(SALU_CYCLE_1)
	s_mov_b32 s11, exec_lo
	v_cmpx_gt_u32_e64 s7, v99
	s_cbranch_execz .LBB1216_314
.LBB1216_363:                           ;   in Loop: Header=BB1216_308 Depth=2
	global_load_b64 v[48:49], v2, s[8:9] offset:4096 scale_offset
	s_wait_xcnt 0x0
	s_or_b32 exec_lo, exec_lo, s11
	s_delay_alu instid0(SALU_CYCLE_1)
	s_mov_b32 s11, exec_lo
	v_cmpx_gt_u32_e64 s7, v100
	s_cbranch_execz .LBB1216_315
.LBB1216_364:                           ;   in Loop: Header=BB1216_308 Depth=2
	global_load_b64 v[46:47], v2, s[8:9] offset:6144 scale_offset
	s_wait_xcnt 0x0
	s_or_b32 exec_lo, exec_lo, s11
	s_delay_alu instid0(SALU_CYCLE_1)
	s_mov_b32 s11, exec_lo
	v_cmpx_gt_u32_e64 s7, v101
	s_cbranch_execz .LBB1216_316
.LBB1216_365:                           ;   in Loop: Header=BB1216_308 Depth=2
	global_load_b64 v[44:45], v2, s[8:9] offset:8192 scale_offset
	s_wait_xcnt 0x0
	s_or_b32 exec_lo, exec_lo, s11
	s_delay_alu instid0(SALU_CYCLE_1)
	s_mov_b32 s11, exec_lo
	v_cmpx_gt_u32_e64 s7, v102
	s_cbranch_execz .LBB1216_317
.LBB1216_366:                           ;   in Loop: Header=BB1216_308 Depth=2
	global_load_b64 v[42:43], v2, s[8:9] offset:10240 scale_offset
	s_wait_xcnt 0x0
	s_or_b32 exec_lo, exec_lo, s11
	s_delay_alu instid0(SALU_CYCLE_1)
	s_mov_b32 s11, exec_lo
	v_cmpx_gt_u32_e64 s7, v103
	s_cbranch_execz .LBB1216_318
.LBB1216_367:                           ;   in Loop: Header=BB1216_308 Depth=2
	global_load_b64 v[40:41], v2, s[8:9] offset:12288 scale_offset
	s_wait_xcnt 0x0
	s_or_b32 exec_lo, exec_lo, s11
	s_delay_alu instid0(SALU_CYCLE_1)
	s_mov_b32 s11, exec_lo
	v_cmpx_gt_u32_e64 s7, v104
	s_cbranch_execz .LBB1216_319
.LBB1216_368:                           ;   in Loop: Header=BB1216_308 Depth=2
	global_load_b64 v[38:39], v2, s[8:9] offset:14336 scale_offset
	s_wait_xcnt 0x0
	s_or_b32 exec_lo, exec_lo, s11
	s_delay_alu instid0(SALU_CYCLE_1)
	s_mov_b32 s11, exec_lo
	v_cmpx_gt_u32_e64 s7, v105
	s_cbranch_execz .LBB1216_320
.LBB1216_369:                           ;   in Loop: Header=BB1216_308 Depth=2
	global_load_b64 v[36:37], v2, s[8:9] offset:16384 scale_offset
	s_wait_xcnt 0x0
	s_or_b32 exec_lo, exec_lo, s11
	s_delay_alu instid0(SALU_CYCLE_1)
	s_mov_b32 s11, exec_lo
	v_cmpx_gt_u32_e64 s7, v106
	s_cbranch_execz .LBB1216_321
.LBB1216_370:                           ;   in Loop: Header=BB1216_308 Depth=2
	global_load_b64 v[34:35], v2, s[8:9] offset:18432 scale_offset
	s_wait_xcnt 0x0
	s_or_b32 exec_lo, exec_lo, s11
	s_delay_alu instid0(SALU_CYCLE_1)
	s_mov_b32 s11, exec_lo
	v_cmpx_gt_u32_e64 s7, v107
	s_cbranch_execz .LBB1216_322
.LBB1216_371:                           ;   in Loop: Header=BB1216_308 Depth=2
	global_load_b64 v[32:33], v2, s[8:9] offset:20480 scale_offset
	s_wait_xcnt 0x0
	s_or_b32 exec_lo, exec_lo, s11
	s_delay_alu instid0(SALU_CYCLE_1)
	s_mov_b32 s11, exec_lo
	v_cmpx_gt_u32_e64 s7, v108
	s_cbranch_execz .LBB1216_323
.LBB1216_372:                           ;   in Loop: Header=BB1216_308 Depth=2
	global_load_b64 v[30:31], v2, s[8:9] offset:22528 scale_offset
	s_wait_xcnt 0x0
	s_or_b32 exec_lo, exec_lo, s11
	s_delay_alu instid0(SALU_CYCLE_1)
	s_mov_b32 s11, exec_lo
	v_cmpx_gt_u32_e64 s7, v109
	s_cbranch_execz .LBB1216_324
.LBB1216_373:                           ;   in Loop: Header=BB1216_308 Depth=2
	global_load_b64 v[28:29], v2, s[8:9] offset:24576 scale_offset
	s_wait_xcnt 0x0
	s_or_b32 exec_lo, exec_lo, s11
	s_delay_alu instid0(SALU_CYCLE_1)
	s_mov_b32 s11, exec_lo
	v_cmpx_gt_u32_e64 s7, v110
	s_cbranch_execz .LBB1216_325
.LBB1216_374:                           ;   in Loop: Header=BB1216_308 Depth=2
	global_load_b64 v[26:27], v2, s[8:9] offset:26624 scale_offset
	s_wait_xcnt 0x0
	s_or_b32 exec_lo, exec_lo, s11
	s_delay_alu instid0(SALU_CYCLE_1)
	s_mov_b32 s11, exec_lo
	v_cmpx_gt_u32_e64 s7, v111
	s_cbranch_execz .LBB1216_326
.LBB1216_375:                           ;   in Loop: Header=BB1216_308 Depth=2
	global_load_b64 v[24:25], v2, s[8:9] offset:28672 scale_offset
	s_wait_xcnt 0x0
	s_or_b32 exec_lo, exec_lo, s11
	s_delay_alu instid0(SALU_CYCLE_1)
	s_mov_b32 s11, exec_lo
	v_cmpx_gt_u32_e64 s7, v112
	s_cbranch_execnz .LBB1216_327
	s_branch .LBB1216_328
.LBB1216_376:                           ;   in Loop: Header=BB1216_12 Depth=1
	v_mov_b32_e32 v22, 0
	s_wait_dscnt 0x0
	s_barrier_signal -1
	s_barrier_wait -1
	s_and_saveexec_b32 s7, s0
	s_cbranch_execz .LBB1216_378
; %bb.377:                              ;   in Loop: Header=BB1216_12 Depth=1
	ds_load_2addr_b64 v[22:25], v115 offset1:1
	s_wait_dscnt 0x0
	v_add_nc_u32_e32 v22, v23, v22
	s_delay_alu instid0(VALU_DEP_1)
	v_add3_u32 v22, v22, v24, v25
.LBB1216_378:                           ;   in Loop: Header=BB1216_12 Depth=1
	s_or_b32 exec_lo, exec_lo, s7
	s_delay_alu instid0(VALU_DEP_1)
	v_mov_b32_dpp v23, v22 row_shr:1 row_mask:0xf bank_mask:0xf
	v_cmp_eq_u32_e64 s7, 0, v126
	v_cmp_lt_u32_e64 s8, 1, v126
	v_cmp_lt_u32_e64 s9, 3, v126
	v_cmp_lt_u32_e64 s10, 7, v126
	v_cmp_eq_u32_e64 s11, 0, v128
	v_cndmask_b32_e64 v23, v23, 0, s7
	s_delay_alu instid0(VALU_DEP_1) | instskip(NEXT) | instid1(VALU_DEP_1)
	v_add_nc_u32_e32 v22, v23, v22
	v_mov_b32_dpp v23, v22 row_shr:2 row_mask:0xf bank_mask:0xf
	s_delay_alu instid0(VALU_DEP_1) | instskip(NEXT) | instid1(VALU_DEP_1)
	v_cndmask_b32_e64 v23, 0, v23, s8
	v_add_nc_u32_e32 v22, v22, v23
	s_delay_alu instid0(VALU_DEP_1) | instskip(NEXT) | instid1(VALU_DEP_1)
	v_mov_b32_dpp v23, v22 row_shr:4 row_mask:0xf bank_mask:0xf
	v_cndmask_b32_e64 v23, 0, v23, s9
	s_delay_alu instid0(VALU_DEP_1) | instskip(NEXT) | instid1(VALU_DEP_1)
	v_add_nc_u32_e32 v22, v22, v23
	v_mov_b32_dpp v23, v22 row_shr:8 row_mask:0xf bank_mask:0xf
	s_delay_alu instid0(VALU_DEP_1) | instskip(NEXT) | instid1(VALU_DEP_1)
	v_cndmask_b32_e64 v23, 0, v23, s10
	v_add_nc_u32_e32 v22, v22, v23
	ds_swizzle_b32 v23, v22 offset:swizzle(BROADCAST,32,15)
	s_wait_dscnt 0x0
	v_and_b32_e32 v23, v127, v23
	s_delay_alu instid0(VALU_DEP_1)
	v_add_nc_u32_e32 v22, v22, v23
	s_and_saveexec_b32 s12, s1
; %bb.379:                              ;   in Loop: Header=BB1216_12 Depth=1
	ds_store_b32 v116, v22
; %bb.380:                              ;   in Loop: Header=BB1216_12 Depth=1
	s_or_b32 exec_lo, exec_lo, s12
	s_wait_dscnt 0x0
	s_barrier_signal -1
	s_barrier_wait -1
	s_and_saveexec_b32 s12, s4
	s_cbranch_execz .LBB1216_382
; %bb.381:                              ;   in Loop: Header=BB1216_12 Depth=1
	ds_load_b32 v23, v117
	v_cmp_ne_u32_e32 vcc_lo, 0, v130
	s_wait_dscnt 0x0
	v_mov_b32_dpp v24, v23 row_shr:1 row_mask:0xf bank_mask:0xf
	s_delay_alu instid0(VALU_DEP_1) | instskip(SKIP_1) | instid1(VALU_DEP_2)
	v_cndmask_b32_e32 v24, 0, v24, vcc_lo
	v_cmp_lt_u32_e32 vcc_lo, 1, v130
	v_add_nc_u32_e32 v23, v24, v23
	s_delay_alu instid0(VALU_DEP_1) | instskip(NEXT) | instid1(VALU_DEP_1)
	v_mov_b32_dpp v24, v23 row_shr:2 row_mask:0xf bank_mask:0xf
	v_cndmask_b32_e32 v24, 0, v24, vcc_lo
	v_cmp_lt_u32_e32 vcc_lo, 3, v130
	s_delay_alu instid0(VALU_DEP_2) | instskip(NEXT) | instid1(VALU_DEP_1)
	v_add_nc_u32_e32 v23, v23, v24
	v_mov_b32_dpp v24, v23 row_shr:4 row_mask:0xf bank_mask:0xf
	s_delay_alu instid0(VALU_DEP_1) | instskip(NEXT) | instid1(VALU_DEP_1)
	v_cndmask_b32_e32 v24, 0, v24, vcc_lo
	v_add_nc_u32_e32 v23, v23, v24
	ds_store_b32 v117, v23
.LBB1216_382:                           ;   in Loop: Header=BB1216_12 Depth=1
	s_or_b32 exec_lo, exec_lo, s12
	v_mov_b32_e32 v23, 0
	s_wait_dscnt 0x0
	s_barrier_signal -1
	s_barrier_wait -1
	s_and_saveexec_b32 s12, s5
; %bb.383:                              ;   in Loop: Header=BB1216_12 Depth=1
	ds_load_b32 v23, v118
; %bb.384:                              ;   in Loop: Header=BB1216_12 Depth=1
	s_or_b32 exec_lo, exec_lo, s12
	v_cmp_gt_i32_e32 vcc_lo, 0, v131
	s_wait_dscnt 0x0
	s_barrier_signal -1
	s_barrier_wait -1
	v_cndmask_b32_e32 v24, v131, v124, vcc_lo
	s_delay_alu instid0(VALU_DEP_1)
	v_dual_add_nc_u32 v22, v23, v22 :: v_dual_lshlrev_b32 v147, 2, v24
	ds_bpermute_b32 v22, v147, v22
	s_and_saveexec_b32 s12, s0
	s_cbranch_execz .LBB1216_386
; %bb.385:                              ;   in Loop: Header=BB1216_12 Depth=1
	s_wait_dscnt 0x0
	v_cndmask_b32_e64 v22, v22, v23, s6
	s_delay_alu instid0(VALU_DEP_1)
	v_add_nc_u32_e32 v22, s56, v22
	ds_store_b32 v3, v22
.LBB1216_386:                           ;   in Loop: Header=BB1216_12 Depth=1
	s_or_b32 exec_lo, exec_lo, s12
	s_load_b64 s[12:13], s[52:53], 0x0
	v_add_nc_u64_e32 v[24:25], v[14:15], v[4:5]
	s_mov_b32 s60, s58
                                        ; implicit-def: $vgpr28_vgpr29
                                        ; implicit-def: $vgpr30_vgpr31
                                        ; implicit-def: $vgpr32_vgpr33
                                        ; implicit-def: $vgpr34_vgpr35
                                        ; implicit-def: $vgpr36_vgpr37
                                        ; implicit-def: $vgpr38_vgpr39
                                        ; implicit-def: $vgpr40_vgpr41
                                        ; implicit-def: $vgpr42_vgpr43
                                        ; implicit-def: $vgpr44_vgpr45
                                        ; implicit-def: $vgpr46_vgpr47
                                        ; implicit-def: $vgpr48_vgpr49
                                        ; implicit-def: $vgpr50_vgpr51
                                        ; implicit-def: $vgpr52_vgpr53
                                        ; implicit-def: $vgpr54_vgpr55
                                        ; implicit-def: $vgpr56_vgpr57
                                        ; implicit-def: $vgpr149
                                        ; implicit-def: $vgpr150
                                        ; implicit-def: $vgpr151
                                        ; implicit-def: $vgpr152
                                        ; implicit-def: $vgpr153
                                        ; implicit-def: $vgpr154
                                        ; implicit-def: $vgpr155
                                        ; implicit-def: $vgpr156
                                        ; implicit-def: $vgpr157
                                        ; implicit-def: $vgpr158
                                        ; implicit-def: $vgpr159
                                        ; implicit-def: $vgpr160
                                        ; implicit-def: $vgpr161
                                        ; implicit-def: $vgpr162
                                        ; implicit-def: $vgpr163
                                        ; implicit-def: $vgpr164
	s_wait_kmcnt 0x0
	s_cmp_lt_u32 s33, s12
	s_cselect_b32 s34, 12, 18
	s_cmp_lt_u32 s31, s13
	s_mov_b32 s13, s35
	s_cselect_b32 s12, 14, 20
	s_delay_alu instid0(SALU_CYCLE_1)
	s_add_nc_u64 s[12:13], s[52:53], s[12:13]
	s_load_u16 s14, s[12:13], 0x0
	s_wait_xcnt 0x0
	s_add_nc_u64 s[12:13], s[52:53], s[34:35]
	s_mov_b32 s34, s56
	s_load_u16 s12, s[12:13], 0x0
	s_wait_xcnt 0x0
	v_cmp_lt_u32_e64 s13, 1, v130
	s_wait_dscnt 0x0
	s_wait_kmcnt 0x0
	v_mad_u32_u24 v22, v119, s14, v121
	v_cmp_lt_u32_e64 s14, 3, v130
	s_delay_alu instid0(VALU_DEP_2) | instskip(SKIP_1) | instid1(VALU_DEP_2)
	v_mad_u32 v22, v22, s12, v2
	v_cmp_eq_u32_e64 s12, 0, v130
	v_lshrrev_b32_e32 v26, 3, v22
	v_add_nc_u64_e32 v[22:23], v[12:13], v[4:5]
	s_delay_alu instid0(VALU_DEP_2)
	v_and_b32_e32 v148, 0x1ffffffc, v26
                                        ; implicit-def: $vgpr26_vgpr27
	s_branch .LBB1216_388
.LBB1216_387:                           ;   in Loop: Header=BB1216_388 Depth=2
	s_or_b32 exec_lo, exec_lo, s15
	s_addk_co_i32 s60, 0xf000
	s_cmp_lt_u32 s61, s51
	s_mov_b32 s34, s61
	s_cbranch_scc0 .LBB1216_596
.LBB1216_388:                           ;   Parent Loop BB1216_12 Depth=1
                                        ; =>  This Inner Loop Header: Depth=2
	s_add_co_i32 s61, s34, 0x1000
	s_delay_alu instid0(SALU_CYCLE_1)
	s_cmp_gt_u32 s61, s51
	s_cbranch_scc1 .LBB1216_390
; %bb.389:                              ;   in Loop: Header=BB1216_388 Depth=2
	v_lshl_add_u64 v[66:67], s[34:35], 3, v[24:25]
	s_mov_b32 s15, -1
	s_clause 0xe
	global_load_b64 v[58:59], v[66:67], off
	global_load_b64 v[60:61], v[66:67], off offset:256
	global_load_b64 v[62:63], v[66:67], off offset:512
	;; [unrolled: 1-line block ×14, first 2 shown]
	s_movk_i32 s16, 0x1000
	s_cbranch_execz .LBB1216_391
	s_branch .LBB1216_422
.LBB1216_390:                           ;   in Loop: Header=BB1216_388 Depth=2
	s_mov_b32 s15, 0
                                        ; implicit-def: $vgpr58_vgpr59
                                        ; implicit-def: $vgpr60_vgpr61
                                        ; implicit-def: $vgpr62_vgpr63
                                        ; implicit-def: $vgpr70_vgpr71
                                        ; implicit-def: $vgpr74_vgpr75
                                        ; implicit-def: $vgpr78_vgpr79
                                        ; implicit-def: $vgpr82_vgpr83
                                        ; implicit-def: $vgpr86_vgpr87
                                        ; implicit-def: $vgpr88_vgpr89
                                        ; implicit-def: $vgpr84_vgpr85
                                        ; implicit-def: $vgpr80_vgpr81
                                        ; implicit-def: $vgpr76_vgpr77
                                        ; implicit-def: $vgpr72_vgpr73
                                        ; implicit-def: $vgpr68_vgpr69
                                        ; implicit-def: $vgpr64_vgpr65
	s_movk_i32 s16, 0x1000
.LBB1216_391:                           ;   in Loop: Header=BB1216_388 Depth=2
	s_wait_loadcnt 0xd
	v_mov_b64_e32 v[60:61], 0x7fffffffffffffff
	v_mov_b64_e32 v[58:59], 0x7fffffffffffffff
	s_wait_xcnt 0x0
	v_lshl_add_u64 v[66:67], s[34:35], 3, v[24:25]
	s_mov_b32 s15, exec_lo
	v_cmpx_gt_u32_e64 s60, v129
	s_cbranch_execz .LBB1216_393
; %bb.392:                              ;   in Loop: Header=BB1216_388 Depth=2
	global_load_b64 v[58:59], v[66:67], off
.LBB1216_393:                           ;   in Loop: Header=BB1216_388 Depth=2
	s_wait_xcnt 0x0
	s_or_b32 exec_lo, exec_lo, s15
	s_delay_alu instid0(SALU_CYCLE_1)
	s_mov_b32 s15, exec_lo
	v_cmpx_gt_u32_e64 s60, v132
	s_cbranch_execz .LBB1216_395
; %bb.394:                              ;   in Loop: Header=BB1216_388 Depth=2
	global_load_b64 v[60:61], v[66:67], off offset:256
.LBB1216_395:                           ;   in Loop: Header=BB1216_388 Depth=2
	s_wait_xcnt 0x0
	s_or_b32 exec_lo, exec_lo, s15
	s_wait_loadcnt 0xb
	v_mov_b64_e32 v[70:71], 0x7fffffffffffffff
	v_mov_b64_e32 v[62:63], 0x7fffffffffffffff
	s_mov_b32 s15, exec_lo
	v_cmpx_gt_u32_e64 s60, v133
	s_cbranch_execz .LBB1216_397
; %bb.396:                              ;   in Loop: Header=BB1216_388 Depth=2
	global_load_b64 v[62:63], v[66:67], off offset:512
.LBB1216_397:                           ;   in Loop: Header=BB1216_388 Depth=2
	s_wait_xcnt 0x0
	s_or_b32 exec_lo, exec_lo, s15
	s_delay_alu instid0(SALU_CYCLE_1)
	s_mov_b32 s15, exec_lo
	v_cmpx_gt_u32_e64 s60, v134
	s_cbranch_execz .LBB1216_399
; %bb.398:                              ;   in Loop: Header=BB1216_388 Depth=2
	global_load_b64 v[70:71], v[66:67], off offset:768
.LBB1216_399:                           ;   in Loop: Header=BB1216_388 Depth=2
	s_wait_xcnt 0x0
	s_or_b32 exec_lo, exec_lo, s15
	s_wait_loadcnt 0x9
	v_mov_b64_e32 v[78:79], 0x7fffffffffffffff
	v_mov_b64_e32 v[74:75], 0x7fffffffffffffff
	s_mov_b32 s15, exec_lo
	v_cmpx_gt_u32_e64 s60, v135
	s_cbranch_execz .LBB1216_401
; %bb.400:                              ;   in Loop: Header=BB1216_388 Depth=2
	global_load_b64 v[74:75], v[66:67], off offset:1024
.LBB1216_401:                           ;   in Loop: Header=BB1216_388 Depth=2
	;; [unrolled: 20-line block ×6, first 2 shown]
	s_wait_xcnt 0x0
	s_or_b32 exec_lo, exec_lo, s15
	s_delay_alu instid0(SALU_CYCLE_1)
	s_mov_b32 s15, exec_lo
	v_cmpx_gt_u32_e64 s60, v144
	s_cbranch_execz .LBB1216_419
; %bb.418:                              ;   in Loop: Header=BB1216_388 Depth=2
	global_load_b64 v[68:69], v[66:67], off offset:3328
.LBB1216_419:                           ;   in Loop: Header=BB1216_388 Depth=2
	s_wait_xcnt 0x0
	s_or_b32 exec_lo, exec_lo, s15
	s_wait_loadcnt 0x0
	v_mov_b64_e32 v[64:65], 0x7fffffffffffffff
	s_mov_b32 s15, exec_lo
	v_cmpx_gt_u32_e64 s60, v145
	s_cbranch_execz .LBB1216_421
; %bb.420:                              ;   in Loop: Header=BB1216_388 Depth=2
	global_load_b64 v[64:65], v[66:67], off offset:3584
.LBB1216_421:                           ;   in Loop: Header=BB1216_388 Depth=2
	s_wait_xcnt 0x0
	s_or_b32 exec_lo, exec_lo, s15
	v_cmp_gt_u32_e64 s15, s60, v146
	s_sub_co_i32 s16, s51, s34
.LBB1216_422:                           ;   in Loop: Header=BB1216_388 Depth=2
	s_wait_xcnt 0x0
	v_mov_b64_e32 v[66:67], 0x7fffffffffffffff
	v_mov_b32_e32 v165, s60
	s_and_saveexec_b32 s17, s15
	s_cbranch_execz .LBB1216_424
; %bb.423:                              ;   in Loop: Header=BB1216_388 Depth=2
	v_lshl_add_u64 v[66:67], s[34:35], 3, v[24:25]
	v_mov_b32_e32 v165, s16
	global_load_b64 v[66:67], v[66:67], off offset:3840
.LBB1216_424:                           ;   in Loop: Header=BB1216_388 Depth=2
	s_wait_xcnt 0x0
	s_or_b32 exec_lo, exec_lo, s17
	s_wait_loadcnt 0xe
	v_cmp_lt_i64_e32 vcc_lo, -1, v[58:59]
	v_add_nc_u32_e32 v168, 0x420, v120
	v_add_nc_u32_e32 v169, 0x428, v120
	;; [unrolled: 1-line block ×3, first 2 shown]
	v_cndmask_b32_e64 v90, -1, 0x80000000, vcc_lo
	s_delay_alu instid0(VALU_DEP_1) | instskip(NEXT) | instid1(VALU_DEP_1)
	v_dual_ashrrev_i32 v91, 31, v59 :: v_dual_bitop2_b32 v59, v90, v59 bitop3:0x14
	v_xor_b32_e32 v58, v91, v58
	s_delay_alu instid0(VALU_DEP_1) | instskip(SKIP_2) | instid1(VALU_DEP_1)
	v_cmp_ne_u64_e32 vcc_lo, s[42:43], v[58:59]
	v_cndmask_b32_e32 v91, 0x80000000, v59, vcc_lo
	v_cndmask_b32_e32 v90, 0, v58, vcc_lo
	v_lshrrev_b64 v[90:91], s54, v[90:91]
	s_delay_alu instid0(VALU_DEP_1) | instskip(SKIP_1) | instid1(VALU_DEP_2)
	v_bitop3_b32 v91, v90, 1, s59 bitop3:0x80
	v_and_b32_e32 v92, s59, v90
	v_add_co_u32 v90, s15, v91, -1
	s_delay_alu instid0(VALU_DEP_1) | instskip(NEXT) | instid1(VALU_DEP_3)
	v_cndmask_b32_e64 v91, 0, 1, s15
	v_lshlrev_b32_e32 v93, 30, v92
	s_delay_alu instid0(VALU_DEP_2) | instskip(NEXT) | instid1(VALU_DEP_2)
	v_cmp_ne_u32_e32 vcc_lo, 0, v91
	v_not_b32_e32 v91, v93
	v_cmp_gt_i32_e64 s15, 0, v93
	s_delay_alu instid0(VALU_DEP_2) | instskip(SKIP_3) | instid1(VALU_DEP_4)
	v_dual_ashrrev_i32 v91, 31, v91 :: v_dual_lshlrev_b32 v94, 29, v92
	v_dual_lshlrev_b32 v95, 28, v92 :: v_dual_lshlrev_b32 v96, 27, v92
	v_dual_lshlrev_b32 v97, 26, v92 :: v_dual_lshlrev_b32 v166, 25, v92
	v_lshlrev_b32_e32 v167, 24, v92
	v_cmp_gt_i32_e64 s16, 0, v94
	v_not_b32_e32 v93, v94
	v_not_b32_e32 v94, v95
	v_cmp_gt_i32_e64 s17, 0, v95
	v_cmp_gt_i32_e64 s18, 0, v96
	v_not_b32_e32 v95, v96
	v_not_b32_e32 v96, v97
	v_dual_ashrrev_i32 v93, 31, v93 :: v_dual_bitop2_b32 v90, vcc_lo, v90 bitop3:0x14
	v_dual_ashrrev_i32 v94, 31, v94 :: v_dual_bitop2_b32 v91, s15, v91 bitop3:0x14
	v_cmp_gt_i32_e64 s19, 0, v97
	v_cmp_gt_i32_e64 s20, 0, v166
	v_not_b32_e32 v97, v166
	v_not_b32_e32 v166, v167
	v_dual_ashrrev_i32 v95, 31, v95 :: v_dual_ashrrev_i32 v96, 31, v96
	v_xor_b32_e32 v93, s16, v93
	v_xor_b32_e32 v94, s17, v94
	v_bitop3_b32 v90, v90, v91, exec_lo bitop3:0x80
	v_cmp_gt_i32_e64 s21, 0, v167
	v_dual_ashrrev_i32 v91, 31, v97 :: v_dual_ashrrev_i32 v97, 31, v166
	v_xor_b32_e32 v95, s18, v95
	v_xor_b32_e32 v96, s19, v96
	v_bitop3_b32 v90, v90, v94, v93 bitop3:0x80
	s_delay_alu instid0(VALU_DEP_4) | instskip(SKIP_2) | instid1(VALU_DEP_4)
	v_xor_b32_e32 v91, s20, v91
	v_xor_b32_e32 v93, s21, v97
	v_add_nc_u32_e32 v167, 0x438, v120
	v_bitop3_b32 v90, v90, v96, v95 bitop3:0x80
	ds_store_2addr_b32 v167, v5, v5 offset1:1
	ds_store_2addr_b32 v168, v5, v5 offset1:1
	;; [unrolled: 1-line block ×4, first 2 shown]
	ds_store_b32 v120, v5 offset:1088
	v_bitop3_b32 v90, v90, v93, v91 bitop3:0x80
	v_mul_u32_u24_e32 v91, 36, v92
	s_wait_loadcnt_dscnt 0x0
	s_barrier_signal -1
	s_barrier_wait -1
	v_mbcnt_lo_u32_b32 v166, v90, 0
	v_cmp_ne_u32_e64 s15, 0, v90
	v_add_nc_u32_e32 v171, v148, v91
	s_delay_alu instid0(VALU_DEP_3) | instskip(SKIP_1) | instid1(SALU_CYCLE_1)
	v_cmp_eq_u32_e32 vcc_lo, 0, v166
	; wave barrier
	s_and_b32 s16, s15, vcc_lo
	s_and_saveexec_b32 s15, s16
; %bb.425:                              ;   in Loop: Header=BB1216_388 Depth=2
	v_bcnt_u32_b32 v90, v90, 0
	ds_store_b32 v171, v90 offset:1056
; %bb.426:                              ;   in Loop: Header=BB1216_388 Depth=2
	s_or_b32 exec_lo, exec_lo, s15
	v_cmp_lt_i64_e32 vcc_lo, -1, v[60:61]
	; wave barrier
	v_cndmask_b32_e64 v90, -1, 0x80000000, vcc_lo
	s_delay_alu instid0(VALU_DEP_1) | instskip(NEXT) | instid1(VALU_DEP_1)
	v_dual_ashrrev_i32 v91, 31, v61 :: v_dual_bitop2_b32 v61, v90, v61 bitop3:0x14
	v_xor_b32_e32 v60, v91, v60
	s_delay_alu instid0(VALU_DEP_1) | instskip(SKIP_2) | instid1(VALU_DEP_1)
	v_cmp_ne_u64_e32 vcc_lo, s[42:43], v[60:61]
	v_cndmask_b32_e32 v91, 0x80000000, v61, vcc_lo
	v_cndmask_b32_e32 v90, 0, v60, vcc_lo
	v_lshrrev_b64 v[90:91], s54, v[90:91]
	s_delay_alu instid0(VALU_DEP_1) | instskip(SKIP_1) | instid1(VALU_DEP_2)
	v_bitop3_b32 v91, v90, 1, s59 bitop3:0x80
	v_and_b32_e32 v92, s59, v90
	v_add_co_u32 v90, s15, v91, -1
	s_delay_alu instid0(VALU_DEP_1) | instskip(NEXT) | instid1(VALU_DEP_3)
	v_cndmask_b32_e64 v91, 0, 1, s15
	v_dual_lshlrev_b32 v93, 30, v92 :: v_dual_lshlrev_b32 v95, 28, v92
	v_dual_lshlrev_b32 v94, 29, v92 :: v_dual_lshlrev_b32 v96, 27, v92
	s_delay_alu instid0(VALU_DEP_3) | instskip(NEXT) | instid1(VALU_DEP_3)
	v_cmp_ne_u32_e32 vcc_lo, 0, v91
	v_cmp_gt_i32_e64 s15, 0, v93
	v_not_b32_e32 v91, v93
	s_delay_alu instid0(VALU_DEP_4) | instskip(SKIP_4) | instid1(VALU_DEP_4)
	v_cmp_gt_i32_e64 s16, 0, v94
	v_not_b32_e32 v93, v94
	v_cmp_gt_i32_e64 s17, 0, v95
	v_not_b32_e32 v94, v95
	v_not_b32_e32 v95, v96
	v_dual_ashrrev_i32 v91, 31, v91 :: v_dual_ashrrev_i32 v93, 31, v93
	s_delay_alu instid0(VALU_DEP_2) | instskip(SKIP_4) | instid1(VALU_DEP_4)
	v_dual_ashrrev_i32 v94, 31, v94 :: v_dual_ashrrev_i32 v95, 31, v95
	v_dual_lshlrev_b32 v97, 26, v92 :: v_dual_lshlrev_b32 v172, 25, v92
	v_lshlrev_b32_e32 v173, 24, v92
	v_cmp_gt_i32_e64 s18, 0, v96
	v_xor_b32_e32 v91, s15, v91
	v_not_b32_e32 v96, v97
	v_xor_b32_e32 v90, vcc_lo, v90
	v_cmp_gt_i32_e64 s19, 0, v97
	v_cmp_gt_i32_e64 s20, 0, v172
	v_not_b32_e32 v97, v172
	v_not_b32_e32 v172, v173
	v_dual_ashrrev_i32 v96, 31, v96 :: v_dual_bitop2_b32 v93, s16, v93 bitop3:0x14
	v_xor_b32_e32 v94, s17, v94
	v_bitop3_b32 v90, v90, v91, exec_lo bitop3:0x80
	v_cmp_gt_i32_e64 s21, 0, v173
	v_dual_ashrrev_i32 v91, 31, v97 :: v_dual_ashrrev_i32 v97, 31, v172
	v_xor_b32_e32 v95, s18, v95
	v_xor_b32_e32 v96, s19, v96
	v_bitop3_b32 v90, v90, v94, v93 bitop3:0x80
	v_mad_u32_u24 v93, v92, 36, v148
	v_xor_b32_e32 v91, s20, v91
	v_xor_b32_e32 v94, s21, v97
	s_delay_alu instid0(VALU_DEP_4) | instskip(SKIP_3) | instid1(VALU_DEP_2)
	v_bitop3_b32 v90, v90, v96, v95 bitop3:0x80
	ds_load_b32 v172, v93 offset:1056
	; wave barrier
	v_bitop3_b32 v90, v90, v94, v91 bitop3:0x80
	v_mul_u32_u24_e32 v91, 36, v92
	v_mbcnt_lo_u32_b32 v173, v90, 0
	v_cmp_ne_u32_e64 s15, 0, v90
	s_delay_alu instid0(VALU_DEP_3) | instskip(NEXT) | instid1(VALU_DEP_3)
	v_add_nc_u32_e32 v174, v148, v91
	v_cmp_eq_u32_e32 vcc_lo, 0, v173
	s_and_b32 s16, s15, vcc_lo
	s_delay_alu instid0(SALU_CYCLE_1)
	s_and_saveexec_b32 s15, s16
	s_cbranch_execz .LBB1216_428
; %bb.427:                              ;   in Loop: Header=BB1216_388 Depth=2
	s_wait_dscnt 0x0
	v_bcnt_u32_b32 v90, v90, v172
	ds_store_b32 v174, v90 offset:1056
.LBB1216_428:                           ;   in Loop: Header=BB1216_388 Depth=2
	s_or_b32 exec_lo, exec_lo, s15
	v_cmp_lt_i64_e32 vcc_lo, -1, v[62:63]
	; wave barrier
	v_cndmask_b32_e64 v90, -1, 0x80000000, vcc_lo
	s_delay_alu instid0(VALU_DEP_1) | instskip(NEXT) | instid1(VALU_DEP_1)
	v_dual_ashrrev_i32 v91, 31, v63 :: v_dual_bitop2_b32 v63, v90, v63 bitop3:0x14
	v_xor_b32_e32 v62, v91, v62
	s_delay_alu instid0(VALU_DEP_1) | instskip(SKIP_2) | instid1(VALU_DEP_1)
	v_cmp_ne_u64_e32 vcc_lo, s[42:43], v[62:63]
	v_cndmask_b32_e32 v91, 0x80000000, v63, vcc_lo
	v_cndmask_b32_e32 v90, 0, v62, vcc_lo
	v_lshrrev_b64 v[90:91], s54, v[90:91]
	s_delay_alu instid0(VALU_DEP_1) | instskip(SKIP_1) | instid1(VALU_DEP_2)
	v_bitop3_b32 v91, v90, 1, s59 bitop3:0x80
	v_and_b32_e32 v92, s59, v90
	v_add_co_u32 v90, s15, v91, -1
	s_delay_alu instid0(VALU_DEP_1) | instskip(NEXT) | instid1(VALU_DEP_3)
	v_cndmask_b32_e64 v91, 0, 1, s15
	v_lshlrev_b32_e32 v93, 30, v92
	s_delay_alu instid0(VALU_DEP_2) | instskip(NEXT) | instid1(VALU_DEP_2)
	v_cmp_ne_u32_e32 vcc_lo, 0, v91
	v_not_b32_e32 v91, v93
	v_cmp_gt_i32_e64 s15, 0, v93
	s_delay_alu instid0(VALU_DEP_2) | instskip(SKIP_3) | instid1(VALU_DEP_4)
	v_dual_ashrrev_i32 v91, 31, v91 :: v_dual_lshlrev_b32 v94, 29, v92
	v_dual_lshlrev_b32 v95, 28, v92 :: v_dual_lshlrev_b32 v96, 27, v92
	v_dual_lshlrev_b32 v97, 26, v92 :: v_dual_lshlrev_b32 v175, 25, v92
	v_lshlrev_b32_e32 v176, 24, v92
	v_cmp_gt_i32_e64 s16, 0, v94
	v_not_b32_e32 v93, v94
	v_not_b32_e32 v94, v95
	v_cmp_gt_i32_e64 s17, 0, v95
	v_cmp_gt_i32_e64 s18, 0, v96
	v_not_b32_e32 v95, v96
	v_not_b32_e32 v96, v97
	v_dual_ashrrev_i32 v93, 31, v93 :: v_dual_bitop2_b32 v90, vcc_lo, v90 bitop3:0x14
	v_dual_ashrrev_i32 v94, 31, v94 :: v_dual_bitop2_b32 v91, s15, v91 bitop3:0x14
	v_cmp_gt_i32_e64 s19, 0, v97
	v_cmp_gt_i32_e64 s20, 0, v175
	v_not_b32_e32 v97, v175
	v_not_b32_e32 v175, v176
	v_dual_ashrrev_i32 v95, 31, v95 :: v_dual_ashrrev_i32 v96, 31, v96
	v_xor_b32_e32 v93, s16, v93
	v_xor_b32_e32 v94, s17, v94
	v_bitop3_b32 v90, v90, v91, exec_lo bitop3:0x80
	v_cmp_gt_i32_e64 s21, 0, v176
	v_dual_ashrrev_i32 v91, 31, v97 :: v_dual_ashrrev_i32 v97, 31, v175
	v_xor_b32_e32 v95, s18, v95
	v_xor_b32_e32 v96, s19, v96
	v_bitop3_b32 v90, v90, v94, v93 bitop3:0x80
	v_mad_u32_u24 v93, v92, 36, v148
	v_xor_b32_e32 v91, s20, v91
	v_xor_b32_e32 v94, s21, v97
	s_delay_alu instid0(VALU_DEP_4) | instskip(SKIP_3) | instid1(VALU_DEP_2)
	v_bitop3_b32 v90, v90, v96, v95 bitop3:0x80
	ds_load_b32 v175, v93 offset:1056
	; wave barrier
	v_bitop3_b32 v90, v90, v94, v91 bitop3:0x80
	v_mul_u32_u24_e32 v91, 36, v92
	v_mbcnt_lo_u32_b32 v176, v90, 0
	v_cmp_ne_u32_e64 s15, 0, v90
	s_delay_alu instid0(VALU_DEP_3) | instskip(NEXT) | instid1(VALU_DEP_3)
	v_add_nc_u32_e32 v177, v148, v91
	v_cmp_eq_u32_e32 vcc_lo, 0, v176
	s_and_b32 s16, s15, vcc_lo
	s_delay_alu instid0(SALU_CYCLE_1)
	s_and_saveexec_b32 s15, s16
	s_cbranch_execz .LBB1216_430
; %bb.429:                              ;   in Loop: Header=BB1216_388 Depth=2
	s_wait_dscnt 0x0
	v_bcnt_u32_b32 v90, v90, v175
	ds_store_b32 v177, v90 offset:1056
.LBB1216_430:                           ;   in Loop: Header=BB1216_388 Depth=2
	s_or_b32 exec_lo, exec_lo, s15
	v_cmp_lt_i64_e32 vcc_lo, -1, v[70:71]
	; wave barrier
	v_cndmask_b32_e64 v90, -1, 0x80000000, vcc_lo
	s_delay_alu instid0(VALU_DEP_1) | instskip(NEXT) | instid1(VALU_DEP_1)
	v_dual_ashrrev_i32 v91, 31, v71 :: v_dual_bitop2_b32 v71, v90, v71 bitop3:0x14
	v_xor_b32_e32 v70, v91, v70
	s_delay_alu instid0(VALU_DEP_1) | instskip(SKIP_2) | instid1(VALU_DEP_1)
	v_cmp_ne_u64_e32 vcc_lo, s[42:43], v[70:71]
	v_cndmask_b32_e32 v91, 0x80000000, v71, vcc_lo
	v_cndmask_b32_e32 v90, 0, v70, vcc_lo
	v_lshrrev_b64 v[90:91], s54, v[90:91]
	s_delay_alu instid0(VALU_DEP_1) | instskip(SKIP_1) | instid1(VALU_DEP_2)
	v_bitop3_b32 v91, v90, 1, s59 bitop3:0x80
	v_and_b32_e32 v92, s59, v90
	v_add_co_u32 v90, s15, v91, -1
	s_delay_alu instid0(VALU_DEP_1) | instskip(NEXT) | instid1(VALU_DEP_3)
	v_cndmask_b32_e64 v91, 0, 1, s15
	v_lshlrev_b32_e32 v93, 30, v92
	s_delay_alu instid0(VALU_DEP_2) | instskip(NEXT) | instid1(VALU_DEP_2)
	v_cmp_ne_u32_e32 vcc_lo, 0, v91
	v_not_b32_e32 v91, v93
	v_cmp_gt_i32_e64 s15, 0, v93
	s_delay_alu instid0(VALU_DEP_2) | instskip(SKIP_3) | instid1(VALU_DEP_4)
	v_dual_ashrrev_i32 v91, 31, v91 :: v_dual_lshlrev_b32 v94, 29, v92
	v_dual_lshlrev_b32 v95, 28, v92 :: v_dual_lshlrev_b32 v96, 27, v92
	v_dual_lshlrev_b32 v97, 26, v92 :: v_dual_lshlrev_b32 v178, 25, v92
	v_lshlrev_b32_e32 v179, 24, v92
	v_cmp_gt_i32_e64 s16, 0, v94
	v_not_b32_e32 v93, v94
	v_not_b32_e32 v94, v95
	v_cmp_gt_i32_e64 s17, 0, v95
	v_cmp_gt_i32_e64 s18, 0, v96
	v_not_b32_e32 v95, v96
	v_not_b32_e32 v96, v97
	v_dual_ashrrev_i32 v93, 31, v93 :: v_dual_bitop2_b32 v90, vcc_lo, v90 bitop3:0x14
	v_dual_ashrrev_i32 v94, 31, v94 :: v_dual_bitop2_b32 v91, s15, v91 bitop3:0x14
	v_cmp_gt_i32_e64 s19, 0, v97
	v_cmp_gt_i32_e64 s20, 0, v178
	v_not_b32_e32 v97, v178
	v_not_b32_e32 v178, v179
	v_dual_ashrrev_i32 v95, 31, v95 :: v_dual_ashrrev_i32 v96, 31, v96
	v_xor_b32_e32 v93, s16, v93
	v_xor_b32_e32 v94, s17, v94
	v_bitop3_b32 v90, v90, v91, exec_lo bitop3:0x80
	v_cmp_gt_i32_e64 s21, 0, v179
	v_dual_ashrrev_i32 v91, 31, v97 :: v_dual_ashrrev_i32 v97, 31, v178
	v_xor_b32_e32 v95, s18, v95
	v_xor_b32_e32 v96, s19, v96
	v_bitop3_b32 v90, v90, v94, v93 bitop3:0x80
	v_mad_u32_u24 v93, v92, 36, v148
	v_xor_b32_e32 v91, s20, v91
	v_xor_b32_e32 v94, s21, v97
	s_delay_alu instid0(VALU_DEP_4) | instskip(SKIP_3) | instid1(VALU_DEP_2)
	v_bitop3_b32 v90, v90, v96, v95 bitop3:0x80
	ds_load_b32 v178, v93 offset:1056
	; wave barrier
	v_bitop3_b32 v90, v90, v94, v91 bitop3:0x80
	v_mul_u32_u24_e32 v91, 36, v92
	v_mbcnt_lo_u32_b32 v179, v90, 0
	v_cmp_ne_u32_e64 s15, 0, v90
	s_delay_alu instid0(VALU_DEP_3) | instskip(NEXT) | instid1(VALU_DEP_3)
	v_add_nc_u32_e32 v180, v148, v91
	v_cmp_eq_u32_e32 vcc_lo, 0, v179
	s_and_b32 s16, s15, vcc_lo
	s_delay_alu instid0(SALU_CYCLE_1)
	s_and_saveexec_b32 s15, s16
	s_cbranch_execz .LBB1216_432
; %bb.431:                              ;   in Loop: Header=BB1216_388 Depth=2
	s_wait_dscnt 0x0
	v_bcnt_u32_b32 v90, v90, v178
	ds_store_b32 v180, v90 offset:1056
.LBB1216_432:                           ;   in Loop: Header=BB1216_388 Depth=2
	s_or_b32 exec_lo, exec_lo, s15
	v_cmp_lt_i64_e32 vcc_lo, -1, v[74:75]
	; wave barrier
	v_cndmask_b32_e64 v90, -1, 0x80000000, vcc_lo
	s_delay_alu instid0(VALU_DEP_1) | instskip(NEXT) | instid1(VALU_DEP_1)
	v_dual_ashrrev_i32 v91, 31, v75 :: v_dual_bitop2_b32 v75, v90, v75 bitop3:0x14
	v_xor_b32_e32 v74, v91, v74
	s_delay_alu instid0(VALU_DEP_1) | instskip(SKIP_2) | instid1(VALU_DEP_1)
	v_cmp_ne_u64_e32 vcc_lo, s[42:43], v[74:75]
	v_cndmask_b32_e32 v91, 0x80000000, v75, vcc_lo
	v_cndmask_b32_e32 v90, 0, v74, vcc_lo
	v_lshrrev_b64 v[90:91], s54, v[90:91]
	s_delay_alu instid0(VALU_DEP_1) | instskip(SKIP_1) | instid1(VALU_DEP_2)
	v_bitop3_b32 v91, v90, 1, s59 bitop3:0x80
	v_and_b32_e32 v92, s59, v90
	v_add_co_u32 v90, s15, v91, -1
	s_delay_alu instid0(VALU_DEP_1) | instskip(NEXT) | instid1(VALU_DEP_3)
	v_cndmask_b32_e64 v91, 0, 1, s15
	v_lshlrev_b32_e32 v93, 30, v92
	s_delay_alu instid0(VALU_DEP_2) | instskip(NEXT) | instid1(VALU_DEP_2)
	v_cmp_ne_u32_e32 vcc_lo, 0, v91
	v_not_b32_e32 v91, v93
	v_cmp_gt_i32_e64 s15, 0, v93
	s_delay_alu instid0(VALU_DEP_2) | instskip(SKIP_3) | instid1(VALU_DEP_4)
	v_dual_ashrrev_i32 v91, 31, v91 :: v_dual_lshlrev_b32 v94, 29, v92
	v_dual_lshlrev_b32 v95, 28, v92 :: v_dual_lshlrev_b32 v96, 27, v92
	v_dual_lshlrev_b32 v97, 26, v92 :: v_dual_lshlrev_b32 v181, 25, v92
	v_lshlrev_b32_e32 v182, 24, v92
	v_cmp_gt_i32_e64 s16, 0, v94
	v_not_b32_e32 v93, v94
	v_not_b32_e32 v94, v95
	v_cmp_gt_i32_e64 s17, 0, v95
	v_cmp_gt_i32_e64 s18, 0, v96
	v_not_b32_e32 v95, v96
	v_not_b32_e32 v96, v97
	v_dual_ashrrev_i32 v93, 31, v93 :: v_dual_bitop2_b32 v90, vcc_lo, v90 bitop3:0x14
	v_dual_ashrrev_i32 v94, 31, v94 :: v_dual_bitop2_b32 v91, s15, v91 bitop3:0x14
	v_cmp_gt_i32_e64 s19, 0, v97
	v_cmp_gt_i32_e64 s20, 0, v181
	v_not_b32_e32 v97, v181
	v_not_b32_e32 v181, v182
	v_dual_ashrrev_i32 v95, 31, v95 :: v_dual_ashrrev_i32 v96, 31, v96
	v_xor_b32_e32 v93, s16, v93
	v_xor_b32_e32 v94, s17, v94
	v_bitop3_b32 v90, v90, v91, exec_lo bitop3:0x80
	v_cmp_gt_i32_e64 s21, 0, v182
	v_ashrrev_i32_e32 v91, 31, v97
	v_dual_ashrrev_i32 v97, 31, v181 :: v_dual_bitop2_b32 v95, s18, v95 bitop3:0x14
	v_xor_b32_e32 v96, s19, v96
	v_bitop3_b32 v90, v90, v94, v93 bitop3:0x80
	v_mad_u32_u24 v93, v92, 36, v148
	v_xor_b32_e32 v91, s20, v91
	v_xor_b32_e32 v94, s21, v97
	s_delay_alu instid0(VALU_DEP_4) | instskip(SKIP_3) | instid1(VALU_DEP_2)
	v_bitop3_b32 v90, v90, v96, v95 bitop3:0x80
	ds_load_b32 v181, v93 offset:1056
	; wave barrier
	v_bitop3_b32 v90, v90, v94, v91 bitop3:0x80
	v_mul_u32_u24_e32 v91, 36, v92
	v_mbcnt_lo_u32_b32 v182, v90, 0
	v_cmp_ne_u32_e64 s15, 0, v90
	s_delay_alu instid0(VALU_DEP_3) | instskip(NEXT) | instid1(VALU_DEP_3)
	v_add_nc_u32_e32 v183, v148, v91
	v_cmp_eq_u32_e32 vcc_lo, 0, v182
	s_and_b32 s16, s15, vcc_lo
	s_delay_alu instid0(SALU_CYCLE_1)
	s_and_saveexec_b32 s15, s16
	s_cbranch_execz .LBB1216_434
; %bb.433:                              ;   in Loop: Header=BB1216_388 Depth=2
	s_wait_dscnt 0x0
	v_bcnt_u32_b32 v90, v90, v181
	ds_store_b32 v183, v90 offset:1056
.LBB1216_434:                           ;   in Loop: Header=BB1216_388 Depth=2
	s_or_b32 exec_lo, exec_lo, s15
	v_cmp_lt_i64_e32 vcc_lo, -1, v[78:79]
	; wave barrier
	v_cndmask_b32_e64 v90, -1, 0x80000000, vcc_lo
	s_delay_alu instid0(VALU_DEP_1) | instskip(NEXT) | instid1(VALU_DEP_1)
	v_dual_ashrrev_i32 v91, 31, v79 :: v_dual_bitop2_b32 v79, v90, v79 bitop3:0x14
	v_xor_b32_e32 v78, v91, v78
	s_delay_alu instid0(VALU_DEP_1) | instskip(SKIP_2) | instid1(VALU_DEP_1)
	v_cmp_ne_u64_e32 vcc_lo, s[42:43], v[78:79]
	v_cndmask_b32_e32 v91, 0x80000000, v79, vcc_lo
	v_cndmask_b32_e32 v90, 0, v78, vcc_lo
	v_lshrrev_b64 v[90:91], s54, v[90:91]
	s_delay_alu instid0(VALU_DEP_1) | instskip(SKIP_1) | instid1(VALU_DEP_2)
	v_bitop3_b32 v91, v90, 1, s59 bitop3:0x80
	v_and_b32_e32 v92, s59, v90
	v_add_co_u32 v90, s15, v91, -1
	s_delay_alu instid0(VALU_DEP_1) | instskip(NEXT) | instid1(VALU_DEP_3)
	v_cndmask_b32_e64 v91, 0, 1, s15
	v_lshlrev_b32_e32 v93, 30, v92
	s_delay_alu instid0(VALU_DEP_2) | instskip(NEXT) | instid1(VALU_DEP_2)
	v_cmp_ne_u32_e32 vcc_lo, 0, v91
	v_not_b32_e32 v91, v93
	v_cmp_gt_i32_e64 s15, 0, v93
	s_delay_alu instid0(VALU_DEP_2) | instskip(SKIP_3) | instid1(VALU_DEP_4)
	v_dual_ashrrev_i32 v91, 31, v91 :: v_dual_lshlrev_b32 v94, 29, v92
	v_dual_lshlrev_b32 v95, 28, v92 :: v_dual_lshlrev_b32 v96, 27, v92
	v_dual_lshlrev_b32 v97, 26, v92 :: v_dual_lshlrev_b32 v184, 25, v92
	v_lshlrev_b32_e32 v185, 24, v92
	v_cmp_gt_i32_e64 s16, 0, v94
	v_not_b32_e32 v93, v94
	v_not_b32_e32 v94, v95
	v_cmp_gt_i32_e64 s17, 0, v95
	v_cmp_gt_i32_e64 s18, 0, v96
	v_not_b32_e32 v95, v96
	v_not_b32_e32 v96, v97
	v_dual_ashrrev_i32 v93, 31, v93 :: v_dual_bitop2_b32 v90, vcc_lo, v90 bitop3:0x14
	v_dual_ashrrev_i32 v94, 31, v94 :: v_dual_bitop2_b32 v91, s15, v91 bitop3:0x14
	v_cmp_gt_i32_e64 s19, 0, v97
	v_cmp_gt_i32_e64 s20, 0, v184
	v_not_b32_e32 v97, v184
	v_not_b32_e32 v184, v185
	v_dual_ashrrev_i32 v95, 31, v95 :: v_dual_ashrrev_i32 v96, 31, v96
	v_xor_b32_e32 v93, s16, v93
	v_xor_b32_e32 v94, s17, v94
	v_bitop3_b32 v90, v90, v91, exec_lo bitop3:0x80
	v_cmp_gt_i32_e64 s21, 0, v185
	v_dual_ashrrev_i32 v91, 31, v97 :: v_dual_ashrrev_i32 v97, 31, v184
	v_xor_b32_e32 v95, s18, v95
	v_xor_b32_e32 v96, s19, v96
	v_bitop3_b32 v90, v90, v94, v93 bitop3:0x80
	v_mad_u32_u24 v93, v92, 36, v148
	v_xor_b32_e32 v91, s20, v91
	v_xor_b32_e32 v94, s21, v97
	s_delay_alu instid0(VALU_DEP_4) | instskip(SKIP_3) | instid1(VALU_DEP_2)
	v_bitop3_b32 v90, v90, v96, v95 bitop3:0x80
	ds_load_b32 v184, v93 offset:1056
	; wave barrier
	v_bitop3_b32 v90, v90, v94, v91 bitop3:0x80
	v_mul_u32_u24_e32 v91, 36, v92
	v_mbcnt_lo_u32_b32 v185, v90, 0
	v_cmp_ne_u32_e64 s15, 0, v90
	s_delay_alu instid0(VALU_DEP_3) | instskip(NEXT) | instid1(VALU_DEP_3)
	v_add_nc_u32_e32 v186, v148, v91
	v_cmp_eq_u32_e32 vcc_lo, 0, v185
	s_and_b32 s16, s15, vcc_lo
	s_delay_alu instid0(SALU_CYCLE_1)
	s_and_saveexec_b32 s15, s16
	s_cbranch_execz .LBB1216_436
; %bb.435:                              ;   in Loop: Header=BB1216_388 Depth=2
	s_wait_dscnt 0x0
	v_bcnt_u32_b32 v90, v90, v184
	ds_store_b32 v186, v90 offset:1056
.LBB1216_436:                           ;   in Loop: Header=BB1216_388 Depth=2
	s_or_b32 exec_lo, exec_lo, s15
	v_cmp_lt_i64_e32 vcc_lo, -1, v[82:83]
	; wave barrier
	v_cndmask_b32_e64 v90, -1, 0x80000000, vcc_lo
	s_delay_alu instid0(VALU_DEP_1) | instskip(NEXT) | instid1(VALU_DEP_1)
	v_dual_ashrrev_i32 v91, 31, v83 :: v_dual_bitop2_b32 v83, v90, v83 bitop3:0x14
	v_xor_b32_e32 v82, v91, v82
	s_delay_alu instid0(VALU_DEP_1) | instskip(SKIP_2) | instid1(VALU_DEP_1)
	v_cmp_ne_u64_e32 vcc_lo, s[42:43], v[82:83]
	v_cndmask_b32_e32 v91, 0x80000000, v83, vcc_lo
	v_cndmask_b32_e32 v90, 0, v82, vcc_lo
	v_lshrrev_b64 v[90:91], s54, v[90:91]
	s_delay_alu instid0(VALU_DEP_1) | instskip(SKIP_1) | instid1(VALU_DEP_2)
	v_bitop3_b32 v91, v90, 1, s59 bitop3:0x80
	v_and_b32_e32 v92, s59, v90
	v_add_co_u32 v90, s15, v91, -1
	s_delay_alu instid0(VALU_DEP_1) | instskip(NEXT) | instid1(VALU_DEP_3)
	v_cndmask_b32_e64 v91, 0, 1, s15
	v_lshlrev_b32_e32 v93, 30, v92
	s_delay_alu instid0(VALU_DEP_2) | instskip(NEXT) | instid1(VALU_DEP_2)
	v_cmp_ne_u32_e32 vcc_lo, 0, v91
	v_not_b32_e32 v91, v93
	v_cmp_gt_i32_e64 s15, 0, v93
	s_delay_alu instid0(VALU_DEP_2) | instskip(SKIP_3) | instid1(VALU_DEP_4)
	v_dual_ashrrev_i32 v91, 31, v91 :: v_dual_lshlrev_b32 v94, 29, v92
	v_dual_lshlrev_b32 v95, 28, v92 :: v_dual_lshlrev_b32 v96, 27, v92
	v_dual_lshlrev_b32 v97, 26, v92 :: v_dual_lshlrev_b32 v187, 25, v92
	v_lshlrev_b32_e32 v188, 24, v92
	v_cmp_gt_i32_e64 s16, 0, v94
	v_not_b32_e32 v93, v94
	v_not_b32_e32 v94, v95
	v_cmp_gt_i32_e64 s17, 0, v95
	v_cmp_gt_i32_e64 s18, 0, v96
	v_not_b32_e32 v95, v96
	v_not_b32_e32 v96, v97
	v_dual_ashrrev_i32 v93, 31, v93 :: v_dual_bitop2_b32 v90, vcc_lo, v90 bitop3:0x14
	v_dual_ashrrev_i32 v94, 31, v94 :: v_dual_bitop2_b32 v91, s15, v91 bitop3:0x14
	v_cmp_gt_i32_e64 s19, 0, v97
	v_cmp_gt_i32_e64 s20, 0, v187
	v_not_b32_e32 v97, v187
	v_not_b32_e32 v187, v188
	v_dual_ashrrev_i32 v95, 31, v95 :: v_dual_ashrrev_i32 v96, 31, v96
	v_xor_b32_e32 v93, s16, v93
	v_xor_b32_e32 v94, s17, v94
	v_bitop3_b32 v90, v90, v91, exec_lo bitop3:0x80
	v_cmp_gt_i32_e64 s21, 0, v188
	v_dual_ashrrev_i32 v91, 31, v97 :: v_dual_ashrrev_i32 v97, 31, v187
	v_xor_b32_e32 v95, s18, v95
	v_xor_b32_e32 v96, s19, v96
	v_bitop3_b32 v90, v90, v94, v93 bitop3:0x80
	v_mad_u32_u24 v93, v92, 36, v148
	v_xor_b32_e32 v91, s20, v91
	v_xor_b32_e32 v94, s21, v97
	s_delay_alu instid0(VALU_DEP_4) | instskip(SKIP_3) | instid1(VALU_DEP_2)
	v_bitop3_b32 v90, v90, v96, v95 bitop3:0x80
	ds_load_b32 v187, v93 offset:1056
	; wave barrier
	v_bitop3_b32 v90, v90, v94, v91 bitop3:0x80
	v_mul_u32_u24_e32 v91, 36, v92
	v_mbcnt_lo_u32_b32 v188, v90, 0
	v_cmp_ne_u32_e64 s15, 0, v90
	s_delay_alu instid0(VALU_DEP_3) | instskip(NEXT) | instid1(VALU_DEP_3)
	v_add_nc_u32_e32 v189, v148, v91
	v_cmp_eq_u32_e32 vcc_lo, 0, v188
	s_and_b32 s16, s15, vcc_lo
	s_delay_alu instid0(SALU_CYCLE_1)
	s_and_saveexec_b32 s15, s16
	s_cbranch_execz .LBB1216_438
; %bb.437:                              ;   in Loop: Header=BB1216_388 Depth=2
	s_wait_dscnt 0x0
	v_bcnt_u32_b32 v90, v90, v187
	ds_store_b32 v189, v90 offset:1056
.LBB1216_438:                           ;   in Loop: Header=BB1216_388 Depth=2
	s_or_b32 exec_lo, exec_lo, s15
	v_cmp_lt_i64_e32 vcc_lo, -1, v[86:87]
	; wave barrier
	v_cndmask_b32_e64 v90, -1, 0x80000000, vcc_lo
	s_delay_alu instid0(VALU_DEP_1) | instskip(NEXT) | instid1(VALU_DEP_1)
	v_dual_ashrrev_i32 v91, 31, v87 :: v_dual_bitop2_b32 v87, v90, v87 bitop3:0x14
	v_xor_b32_e32 v86, v91, v86
	s_delay_alu instid0(VALU_DEP_1) | instskip(SKIP_2) | instid1(VALU_DEP_1)
	v_cmp_ne_u64_e32 vcc_lo, s[42:43], v[86:87]
	v_cndmask_b32_e32 v91, 0x80000000, v87, vcc_lo
	v_cndmask_b32_e32 v90, 0, v86, vcc_lo
	v_lshrrev_b64 v[90:91], s54, v[90:91]
	s_delay_alu instid0(VALU_DEP_1) | instskip(SKIP_1) | instid1(VALU_DEP_2)
	v_bitop3_b32 v91, v90, 1, s59 bitop3:0x80
	v_and_b32_e32 v92, s59, v90
	v_add_co_u32 v90, s15, v91, -1
	s_delay_alu instid0(VALU_DEP_1) | instskip(NEXT) | instid1(VALU_DEP_3)
	v_cndmask_b32_e64 v91, 0, 1, s15
	v_lshlrev_b32_e32 v93, 30, v92
	s_delay_alu instid0(VALU_DEP_2) | instskip(NEXT) | instid1(VALU_DEP_2)
	v_cmp_ne_u32_e32 vcc_lo, 0, v91
	v_not_b32_e32 v91, v93
	v_cmp_gt_i32_e64 s15, 0, v93
	s_delay_alu instid0(VALU_DEP_2) | instskip(SKIP_3) | instid1(VALU_DEP_4)
	v_dual_ashrrev_i32 v91, 31, v91 :: v_dual_lshlrev_b32 v94, 29, v92
	v_dual_lshlrev_b32 v95, 28, v92 :: v_dual_lshlrev_b32 v96, 27, v92
	v_dual_lshlrev_b32 v97, 26, v92 :: v_dual_lshlrev_b32 v190, 25, v92
	v_lshlrev_b32_e32 v191, 24, v92
	v_cmp_gt_i32_e64 s16, 0, v94
	v_not_b32_e32 v93, v94
	v_not_b32_e32 v94, v95
	v_cmp_gt_i32_e64 s17, 0, v95
	v_cmp_gt_i32_e64 s18, 0, v96
	v_not_b32_e32 v95, v96
	v_not_b32_e32 v96, v97
	v_dual_ashrrev_i32 v93, 31, v93 :: v_dual_bitop2_b32 v90, vcc_lo, v90 bitop3:0x14
	v_dual_ashrrev_i32 v94, 31, v94 :: v_dual_bitop2_b32 v91, s15, v91 bitop3:0x14
	v_cmp_gt_i32_e64 s19, 0, v97
	v_cmp_gt_i32_e64 s20, 0, v190
	v_not_b32_e32 v97, v190
	v_not_b32_e32 v190, v191
	v_dual_ashrrev_i32 v95, 31, v95 :: v_dual_ashrrev_i32 v96, 31, v96
	v_xor_b32_e32 v93, s16, v93
	v_xor_b32_e32 v94, s17, v94
	v_bitop3_b32 v90, v90, v91, exec_lo bitop3:0x80
	v_cmp_gt_i32_e64 s21, 0, v191
	v_dual_ashrrev_i32 v91, 31, v97 :: v_dual_ashrrev_i32 v97, 31, v190
	v_xor_b32_e32 v95, s18, v95
	v_xor_b32_e32 v96, s19, v96
	v_bitop3_b32 v90, v90, v94, v93 bitop3:0x80
	v_mad_u32_u24 v93, v92, 36, v148
	v_xor_b32_e32 v91, s20, v91
	v_xor_b32_e32 v94, s21, v97
	s_delay_alu instid0(VALU_DEP_4) | instskip(SKIP_3) | instid1(VALU_DEP_2)
	v_bitop3_b32 v90, v90, v96, v95 bitop3:0x80
	ds_load_b32 v190, v93 offset:1056
	; wave barrier
	v_bitop3_b32 v90, v90, v94, v91 bitop3:0x80
	v_mul_u32_u24_e32 v91, 36, v92
	v_mbcnt_lo_u32_b32 v191, v90, 0
	v_cmp_ne_u32_e64 s15, 0, v90
	s_delay_alu instid0(VALU_DEP_3) | instskip(NEXT) | instid1(VALU_DEP_3)
	v_add_nc_u32_e32 v192, v148, v91
	v_cmp_eq_u32_e32 vcc_lo, 0, v191
	s_and_b32 s16, s15, vcc_lo
	s_delay_alu instid0(SALU_CYCLE_1)
	s_and_saveexec_b32 s15, s16
	s_cbranch_execz .LBB1216_440
; %bb.439:                              ;   in Loop: Header=BB1216_388 Depth=2
	s_wait_dscnt 0x0
	v_bcnt_u32_b32 v90, v90, v190
	ds_store_b32 v192, v90 offset:1056
.LBB1216_440:                           ;   in Loop: Header=BB1216_388 Depth=2
	s_or_b32 exec_lo, exec_lo, s15
	v_cmp_lt_i64_e32 vcc_lo, -1, v[88:89]
	; wave barrier
	v_cndmask_b32_e64 v90, -1, 0x80000000, vcc_lo
	s_delay_alu instid0(VALU_DEP_1) | instskip(NEXT) | instid1(VALU_DEP_1)
	v_dual_ashrrev_i32 v91, 31, v89 :: v_dual_bitop2_b32 v89, v90, v89 bitop3:0x14
	v_xor_b32_e32 v88, v91, v88
	s_delay_alu instid0(VALU_DEP_1) | instskip(SKIP_2) | instid1(VALU_DEP_1)
	v_cmp_ne_u64_e32 vcc_lo, s[42:43], v[88:89]
	v_cndmask_b32_e32 v91, 0x80000000, v89, vcc_lo
	v_cndmask_b32_e32 v90, 0, v88, vcc_lo
	v_lshrrev_b64 v[90:91], s54, v[90:91]
	s_delay_alu instid0(VALU_DEP_1) | instskip(SKIP_1) | instid1(VALU_DEP_2)
	v_bitop3_b32 v91, v90, 1, s59 bitop3:0x80
	v_and_b32_e32 v92, s59, v90
	v_add_co_u32 v90, s15, v91, -1
	s_delay_alu instid0(VALU_DEP_1) | instskip(NEXT) | instid1(VALU_DEP_3)
	v_cndmask_b32_e64 v91, 0, 1, s15
	v_dual_lshlrev_b32 v93, 30, v92 :: v_dual_lshlrev_b32 v95, 28, v92
	v_dual_lshlrev_b32 v94, 29, v92 :: v_dual_lshlrev_b32 v96, 27, v92
	s_delay_alu instid0(VALU_DEP_3) | instskip(NEXT) | instid1(VALU_DEP_3)
	v_cmp_ne_u32_e32 vcc_lo, 0, v91
	v_cmp_gt_i32_e64 s15, 0, v93
	v_not_b32_e32 v91, v93
	s_delay_alu instid0(VALU_DEP_4) | instskip(SKIP_4) | instid1(VALU_DEP_4)
	v_cmp_gt_i32_e64 s16, 0, v94
	v_not_b32_e32 v93, v94
	v_cmp_gt_i32_e64 s17, 0, v95
	v_not_b32_e32 v94, v95
	v_not_b32_e32 v95, v96
	v_dual_ashrrev_i32 v91, 31, v91 :: v_dual_ashrrev_i32 v93, 31, v93
	s_delay_alu instid0(VALU_DEP_2) | instskip(SKIP_4) | instid1(VALU_DEP_4)
	v_dual_ashrrev_i32 v94, 31, v94 :: v_dual_ashrrev_i32 v95, 31, v95
	v_dual_lshlrev_b32 v97, 26, v92 :: v_dual_lshlrev_b32 v193, 25, v92
	v_lshlrev_b32_e32 v194, 24, v92
	v_cmp_gt_i32_e64 s18, 0, v96
	v_xor_b32_e32 v91, s15, v91
	v_not_b32_e32 v96, v97
	v_xor_b32_e32 v90, vcc_lo, v90
	v_cmp_gt_i32_e64 s19, 0, v97
	v_cmp_gt_i32_e64 s20, 0, v193
	v_not_b32_e32 v97, v193
	v_not_b32_e32 v193, v194
	v_dual_ashrrev_i32 v96, 31, v96 :: v_dual_bitop2_b32 v93, s16, v93 bitop3:0x14
	v_xor_b32_e32 v94, s17, v94
	v_bitop3_b32 v90, v90, v91, exec_lo bitop3:0x80
	v_cmp_gt_i32_e64 s21, 0, v194
	v_ashrrev_i32_e32 v91, 31, v97
	v_dual_ashrrev_i32 v97, 31, v193 :: v_dual_bitop2_b32 v95, s18, v95 bitop3:0x14
	v_xor_b32_e32 v96, s19, v96
	v_bitop3_b32 v90, v90, v94, v93 bitop3:0x80
	v_mad_u32_u24 v93, v92, 36, v148
	v_xor_b32_e32 v91, s20, v91
	v_xor_b32_e32 v94, s21, v97
	s_delay_alu instid0(VALU_DEP_4) | instskip(SKIP_3) | instid1(VALU_DEP_2)
	v_bitop3_b32 v90, v90, v96, v95 bitop3:0x80
	ds_load_b32 v193, v93 offset:1056
	; wave barrier
	v_bitop3_b32 v90, v90, v94, v91 bitop3:0x80
	v_mul_u32_u24_e32 v91, 36, v92
	v_mbcnt_lo_u32_b32 v194, v90, 0
	v_cmp_ne_u32_e64 s15, 0, v90
	s_delay_alu instid0(VALU_DEP_3) | instskip(NEXT) | instid1(VALU_DEP_3)
	v_add_nc_u32_e32 v195, v148, v91
	v_cmp_eq_u32_e32 vcc_lo, 0, v194
	s_and_b32 s16, s15, vcc_lo
	s_delay_alu instid0(SALU_CYCLE_1)
	s_and_saveexec_b32 s15, s16
	s_cbranch_execz .LBB1216_442
; %bb.441:                              ;   in Loop: Header=BB1216_388 Depth=2
	s_wait_dscnt 0x0
	v_bcnt_u32_b32 v90, v90, v193
	ds_store_b32 v195, v90 offset:1056
.LBB1216_442:                           ;   in Loop: Header=BB1216_388 Depth=2
	s_or_b32 exec_lo, exec_lo, s15
	v_cmp_lt_i64_e32 vcc_lo, -1, v[84:85]
	; wave barrier
	v_cndmask_b32_e64 v90, -1, 0x80000000, vcc_lo
	s_delay_alu instid0(VALU_DEP_1) | instskip(NEXT) | instid1(VALU_DEP_1)
	v_dual_ashrrev_i32 v91, 31, v85 :: v_dual_bitop2_b32 v85, v90, v85 bitop3:0x14
	v_xor_b32_e32 v84, v91, v84
	s_delay_alu instid0(VALU_DEP_1) | instskip(SKIP_2) | instid1(VALU_DEP_1)
	v_cmp_ne_u64_e32 vcc_lo, s[42:43], v[84:85]
	v_cndmask_b32_e32 v91, 0x80000000, v85, vcc_lo
	v_cndmask_b32_e32 v90, 0, v84, vcc_lo
	v_lshrrev_b64 v[90:91], s54, v[90:91]
	s_delay_alu instid0(VALU_DEP_1) | instskip(SKIP_1) | instid1(VALU_DEP_2)
	v_bitop3_b32 v91, v90, 1, s59 bitop3:0x80
	v_and_b32_e32 v92, s59, v90
	v_add_co_u32 v90, s15, v91, -1
	s_delay_alu instid0(VALU_DEP_1) | instskip(NEXT) | instid1(VALU_DEP_3)
	v_cndmask_b32_e64 v91, 0, 1, s15
	v_dual_lshlrev_b32 v93, 30, v92 :: v_dual_lshlrev_b32 v95, 28, v92
	v_dual_lshlrev_b32 v94, 29, v92 :: v_dual_lshlrev_b32 v96, 27, v92
	s_delay_alu instid0(VALU_DEP_3) | instskip(NEXT) | instid1(VALU_DEP_3)
	v_cmp_ne_u32_e32 vcc_lo, 0, v91
	v_cmp_gt_i32_e64 s15, 0, v93
	v_not_b32_e32 v91, v93
	s_delay_alu instid0(VALU_DEP_4) | instskip(SKIP_4) | instid1(VALU_DEP_4)
	v_cmp_gt_i32_e64 s16, 0, v94
	v_not_b32_e32 v93, v94
	v_cmp_gt_i32_e64 s17, 0, v95
	v_not_b32_e32 v94, v95
	v_not_b32_e32 v95, v96
	v_dual_ashrrev_i32 v91, 31, v91 :: v_dual_ashrrev_i32 v93, 31, v93
	s_delay_alu instid0(VALU_DEP_2) | instskip(SKIP_4) | instid1(VALU_DEP_4)
	v_dual_ashrrev_i32 v94, 31, v94 :: v_dual_ashrrev_i32 v95, 31, v95
	v_dual_lshlrev_b32 v97, 26, v92 :: v_dual_lshlrev_b32 v196, 25, v92
	v_lshlrev_b32_e32 v197, 24, v92
	v_cmp_gt_i32_e64 s18, 0, v96
	v_xor_b32_e32 v91, s15, v91
	v_not_b32_e32 v96, v97
	v_xor_b32_e32 v90, vcc_lo, v90
	v_cmp_gt_i32_e64 s19, 0, v97
	v_cmp_gt_i32_e64 s20, 0, v196
	v_not_b32_e32 v97, v196
	v_not_b32_e32 v196, v197
	v_dual_ashrrev_i32 v96, 31, v96 :: v_dual_bitop2_b32 v93, s16, v93 bitop3:0x14
	v_xor_b32_e32 v94, s17, v94
	v_bitop3_b32 v90, v90, v91, exec_lo bitop3:0x80
	v_cmp_gt_i32_e64 s21, 0, v197
	v_dual_ashrrev_i32 v91, 31, v97 :: v_dual_ashrrev_i32 v97, 31, v196
	v_xor_b32_e32 v95, s18, v95
	v_xor_b32_e32 v96, s19, v96
	v_bitop3_b32 v90, v90, v94, v93 bitop3:0x80
	v_mad_u32_u24 v93, v92, 36, v148
	v_xor_b32_e32 v91, s20, v91
	v_xor_b32_e32 v94, s21, v97
	s_delay_alu instid0(VALU_DEP_4) | instskip(SKIP_3) | instid1(VALU_DEP_2)
	v_bitop3_b32 v90, v90, v96, v95 bitop3:0x80
	ds_load_b32 v196, v93 offset:1056
	; wave barrier
	v_bitop3_b32 v90, v90, v94, v91 bitop3:0x80
	v_mul_u32_u24_e32 v91, 36, v92
	v_mbcnt_lo_u32_b32 v197, v90, 0
	v_cmp_ne_u32_e64 s15, 0, v90
	s_delay_alu instid0(VALU_DEP_3) | instskip(NEXT) | instid1(VALU_DEP_3)
	v_add_nc_u32_e32 v198, v148, v91
	v_cmp_eq_u32_e32 vcc_lo, 0, v197
	s_and_b32 s16, s15, vcc_lo
	s_delay_alu instid0(SALU_CYCLE_1)
	s_and_saveexec_b32 s15, s16
	s_cbranch_execz .LBB1216_444
; %bb.443:                              ;   in Loop: Header=BB1216_388 Depth=2
	s_wait_dscnt 0x0
	v_bcnt_u32_b32 v90, v90, v196
	ds_store_b32 v198, v90 offset:1056
.LBB1216_444:                           ;   in Loop: Header=BB1216_388 Depth=2
	s_or_b32 exec_lo, exec_lo, s15
	v_cmp_lt_i64_e32 vcc_lo, -1, v[80:81]
	; wave barrier
	v_cndmask_b32_e64 v90, -1, 0x80000000, vcc_lo
	s_delay_alu instid0(VALU_DEP_1) | instskip(NEXT) | instid1(VALU_DEP_1)
	v_dual_ashrrev_i32 v91, 31, v81 :: v_dual_bitop2_b32 v81, v90, v81 bitop3:0x14
	v_xor_b32_e32 v80, v91, v80
	s_delay_alu instid0(VALU_DEP_1) | instskip(SKIP_2) | instid1(VALU_DEP_1)
	v_cmp_ne_u64_e32 vcc_lo, s[42:43], v[80:81]
	v_cndmask_b32_e32 v91, 0x80000000, v81, vcc_lo
	v_cndmask_b32_e32 v90, 0, v80, vcc_lo
	v_lshrrev_b64 v[90:91], s54, v[90:91]
	s_delay_alu instid0(VALU_DEP_1) | instskip(SKIP_1) | instid1(VALU_DEP_2)
	v_bitop3_b32 v91, v90, 1, s59 bitop3:0x80
	v_and_b32_e32 v92, s59, v90
	v_add_co_u32 v90, s15, v91, -1
	s_delay_alu instid0(VALU_DEP_1) | instskip(NEXT) | instid1(VALU_DEP_3)
	v_cndmask_b32_e64 v91, 0, 1, s15
	v_dual_lshlrev_b32 v93, 30, v92 :: v_dual_lshlrev_b32 v95, 28, v92
	v_dual_lshlrev_b32 v94, 29, v92 :: v_dual_lshlrev_b32 v96, 27, v92
	s_delay_alu instid0(VALU_DEP_3) | instskip(NEXT) | instid1(VALU_DEP_3)
	v_cmp_ne_u32_e32 vcc_lo, 0, v91
	v_cmp_gt_i32_e64 s15, 0, v93
	v_not_b32_e32 v91, v93
	s_delay_alu instid0(VALU_DEP_4) | instskip(SKIP_4) | instid1(VALU_DEP_4)
	v_cmp_gt_i32_e64 s16, 0, v94
	v_not_b32_e32 v93, v94
	v_cmp_gt_i32_e64 s17, 0, v95
	v_not_b32_e32 v94, v95
	v_not_b32_e32 v95, v96
	v_dual_ashrrev_i32 v91, 31, v91 :: v_dual_ashrrev_i32 v93, 31, v93
	s_delay_alu instid0(VALU_DEP_2) | instskip(SKIP_4) | instid1(VALU_DEP_4)
	v_dual_ashrrev_i32 v94, 31, v94 :: v_dual_ashrrev_i32 v95, 31, v95
	v_dual_lshlrev_b32 v97, 26, v92 :: v_dual_lshlrev_b32 v199, 25, v92
	v_lshlrev_b32_e32 v200, 24, v92
	v_cmp_gt_i32_e64 s18, 0, v96
	v_xor_b32_e32 v91, s15, v91
	v_not_b32_e32 v96, v97
	v_xor_b32_e32 v90, vcc_lo, v90
	v_cmp_gt_i32_e64 s19, 0, v97
	v_cmp_gt_i32_e64 s20, 0, v199
	v_not_b32_e32 v97, v199
	v_not_b32_e32 v199, v200
	v_dual_ashrrev_i32 v96, 31, v96 :: v_dual_bitop2_b32 v93, s16, v93 bitop3:0x14
	v_xor_b32_e32 v94, s17, v94
	v_bitop3_b32 v90, v90, v91, exec_lo bitop3:0x80
	v_cmp_gt_i32_e64 s21, 0, v200
	v_dual_ashrrev_i32 v91, 31, v97 :: v_dual_ashrrev_i32 v97, 31, v199
	v_xor_b32_e32 v95, s18, v95
	v_xor_b32_e32 v96, s19, v96
	v_bitop3_b32 v90, v90, v94, v93 bitop3:0x80
	v_mad_u32_u24 v93, v92, 36, v148
	v_xor_b32_e32 v91, s20, v91
	v_xor_b32_e32 v94, s21, v97
	s_delay_alu instid0(VALU_DEP_4) | instskip(SKIP_3) | instid1(VALU_DEP_2)
	v_bitop3_b32 v90, v90, v96, v95 bitop3:0x80
	ds_load_b32 v199, v93 offset:1056
	; wave barrier
	v_bitop3_b32 v90, v90, v94, v91 bitop3:0x80
	v_mul_u32_u24_e32 v91, 36, v92
	v_mbcnt_lo_u32_b32 v200, v90, 0
	v_cmp_ne_u32_e64 s15, 0, v90
	s_delay_alu instid0(VALU_DEP_3) | instskip(NEXT) | instid1(VALU_DEP_3)
	v_add_nc_u32_e32 v201, v148, v91
	v_cmp_eq_u32_e32 vcc_lo, 0, v200
	s_and_b32 s16, s15, vcc_lo
	s_delay_alu instid0(SALU_CYCLE_1)
	s_and_saveexec_b32 s15, s16
	s_cbranch_execz .LBB1216_446
; %bb.445:                              ;   in Loop: Header=BB1216_388 Depth=2
	s_wait_dscnt 0x0
	v_bcnt_u32_b32 v90, v90, v199
	ds_store_b32 v201, v90 offset:1056
.LBB1216_446:                           ;   in Loop: Header=BB1216_388 Depth=2
	s_or_b32 exec_lo, exec_lo, s15
	v_cmp_lt_i64_e32 vcc_lo, -1, v[76:77]
	; wave barrier
	v_cndmask_b32_e64 v90, -1, 0x80000000, vcc_lo
	s_delay_alu instid0(VALU_DEP_1) | instskip(NEXT) | instid1(VALU_DEP_1)
	v_dual_ashrrev_i32 v91, 31, v77 :: v_dual_bitop2_b32 v77, v90, v77 bitop3:0x14
	v_xor_b32_e32 v76, v91, v76
	s_delay_alu instid0(VALU_DEP_1) | instskip(SKIP_2) | instid1(VALU_DEP_1)
	v_cmp_ne_u64_e32 vcc_lo, s[42:43], v[76:77]
	v_cndmask_b32_e32 v91, 0x80000000, v77, vcc_lo
	v_cndmask_b32_e32 v90, 0, v76, vcc_lo
	v_lshrrev_b64 v[90:91], s54, v[90:91]
	s_delay_alu instid0(VALU_DEP_1) | instskip(SKIP_1) | instid1(VALU_DEP_2)
	v_bitop3_b32 v91, v90, 1, s59 bitop3:0x80
	v_and_b32_e32 v92, s59, v90
	v_add_co_u32 v90, s15, v91, -1
	s_delay_alu instid0(VALU_DEP_1) | instskip(NEXT) | instid1(VALU_DEP_3)
	v_cndmask_b32_e64 v91, 0, 1, s15
	v_dual_lshlrev_b32 v93, 30, v92 :: v_dual_lshlrev_b32 v95, 28, v92
	v_dual_lshlrev_b32 v94, 29, v92 :: v_dual_lshlrev_b32 v96, 27, v92
	s_delay_alu instid0(VALU_DEP_3) | instskip(NEXT) | instid1(VALU_DEP_3)
	v_cmp_ne_u32_e32 vcc_lo, 0, v91
	v_cmp_gt_i32_e64 s15, 0, v93
	v_not_b32_e32 v91, v93
	s_delay_alu instid0(VALU_DEP_4) | instskip(SKIP_4) | instid1(VALU_DEP_4)
	v_cmp_gt_i32_e64 s16, 0, v94
	v_not_b32_e32 v93, v94
	v_cmp_gt_i32_e64 s17, 0, v95
	v_not_b32_e32 v94, v95
	v_not_b32_e32 v95, v96
	v_dual_ashrrev_i32 v91, 31, v91 :: v_dual_ashrrev_i32 v93, 31, v93
	s_delay_alu instid0(VALU_DEP_2) | instskip(SKIP_4) | instid1(VALU_DEP_4)
	v_dual_ashrrev_i32 v94, 31, v94 :: v_dual_ashrrev_i32 v95, 31, v95
	v_dual_lshlrev_b32 v97, 26, v92 :: v_dual_lshlrev_b32 v202, 25, v92
	v_lshlrev_b32_e32 v203, 24, v92
	v_cmp_gt_i32_e64 s18, 0, v96
	v_xor_b32_e32 v91, s15, v91
	v_not_b32_e32 v96, v97
	v_xor_b32_e32 v90, vcc_lo, v90
	v_cmp_gt_i32_e64 s19, 0, v97
	v_cmp_gt_i32_e64 s20, 0, v202
	v_not_b32_e32 v97, v202
	v_not_b32_e32 v202, v203
	v_dual_ashrrev_i32 v96, 31, v96 :: v_dual_bitop2_b32 v93, s16, v93 bitop3:0x14
	v_xor_b32_e32 v94, s17, v94
	v_bitop3_b32 v90, v90, v91, exec_lo bitop3:0x80
	v_cmp_gt_i32_e64 s21, 0, v203
	v_dual_ashrrev_i32 v91, 31, v97 :: v_dual_ashrrev_i32 v97, 31, v202
	v_xor_b32_e32 v95, s18, v95
	v_xor_b32_e32 v96, s19, v96
	v_bitop3_b32 v90, v90, v94, v93 bitop3:0x80
	v_mad_u32_u24 v93, v92, 36, v148
	v_xor_b32_e32 v91, s20, v91
	v_xor_b32_e32 v94, s21, v97
	s_delay_alu instid0(VALU_DEP_4) | instskip(SKIP_3) | instid1(VALU_DEP_2)
	v_bitop3_b32 v90, v90, v96, v95 bitop3:0x80
	ds_load_b32 v202, v93 offset:1056
	; wave barrier
	v_bitop3_b32 v90, v90, v94, v91 bitop3:0x80
	v_mul_u32_u24_e32 v91, 36, v92
	v_mbcnt_lo_u32_b32 v203, v90, 0
	v_cmp_ne_u32_e64 s15, 0, v90
	s_delay_alu instid0(VALU_DEP_3) | instskip(NEXT) | instid1(VALU_DEP_3)
	v_add_nc_u32_e32 v204, v148, v91
	v_cmp_eq_u32_e32 vcc_lo, 0, v203
	s_and_b32 s16, s15, vcc_lo
	s_delay_alu instid0(SALU_CYCLE_1)
	s_and_saveexec_b32 s15, s16
	s_cbranch_execz .LBB1216_448
; %bb.447:                              ;   in Loop: Header=BB1216_388 Depth=2
	s_wait_dscnt 0x0
	v_bcnt_u32_b32 v90, v90, v202
	ds_store_b32 v204, v90 offset:1056
.LBB1216_448:                           ;   in Loop: Header=BB1216_388 Depth=2
	s_or_b32 exec_lo, exec_lo, s15
	v_cmp_lt_i64_e32 vcc_lo, -1, v[72:73]
	; wave barrier
	v_cndmask_b32_e64 v90, -1, 0x80000000, vcc_lo
	s_delay_alu instid0(VALU_DEP_1) | instskip(NEXT) | instid1(VALU_DEP_1)
	v_dual_ashrrev_i32 v91, 31, v73 :: v_dual_bitop2_b32 v73, v90, v73 bitop3:0x14
	v_xor_b32_e32 v72, v91, v72
	s_delay_alu instid0(VALU_DEP_1) | instskip(SKIP_2) | instid1(VALU_DEP_1)
	v_cmp_ne_u64_e32 vcc_lo, s[42:43], v[72:73]
	v_cndmask_b32_e32 v91, 0x80000000, v73, vcc_lo
	v_cndmask_b32_e32 v90, 0, v72, vcc_lo
	v_lshrrev_b64 v[90:91], s54, v[90:91]
	s_delay_alu instid0(VALU_DEP_1) | instskip(SKIP_1) | instid1(VALU_DEP_2)
	v_bitop3_b32 v91, v90, 1, s59 bitop3:0x80
	v_and_b32_e32 v92, s59, v90
	v_add_co_u32 v90, s15, v91, -1
	s_delay_alu instid0(VALU_DEP_1) | instskip(NEXT) | instid1(VALU_DEP_3)
	v_cndmask_b32_e64 v91, 0, 1, s15
	v_dual_lshlrev_b32 v93, 30, v92 :: v_dual_lshlrev_b32 v95, 28, v92
	v_dual_lshlrev_b32 v94, 29, v92 :: v_dual_lshlrev_b32 v96, 27, v92
	s_delay_alu instid0(VALU_DEP_3) | instskip(NEXT) | instid1(VALU_DEP_3)
	v_cmp_ne_u32_e32 vcc_lo, 0, v91
	v_cmp_gt_i32_e64 s15, 0, v93
	v_not_b32_e32 v91, v93
	s_delay_alu instid0(VALU_DEP_4) | instskip(SKIP_4) | instid1(VALU_DEP_4)
	v_cmp_gt_i32_e64 s16, 0, v94
	v_not_b32_e32 v93, v94
	v_cmp_gt_i32_e64 s17, 0, v95
	v_not_b32_e32 v94, v95
	v_not_b32_e32 v95, v96
	v_dual_ashrrev_i32 v91, 31, v91 :: v_dual_ashrrev_i32 v93, 31, v93
	s_delay_alu instid0(VALU_DEP_2) | instskip(SKIP_4) | instid1(VALU_DEP_4)
	v_dual_ashrrev_i32 v94, 31, v94 :: v_dual_ashrrev_i32 v95, 31, v95
	v_dual_lshlrev_b32 v97, 26, v92 :: v_dual_lshlrev_b32 v205, 25, v92
	v_lshlrev_b32_e32 v206, 24, v92
	v_cmp_gt_i32_e64 s18, 0, v96
	v_xor_b32_e32 v91, s15, v91
	v_not_b32_e32 v96, v97
	v_xor_b32_e32 v90, vcc_lo, v90
	v_cmp_gt_i32_e64 s19, 0, v97
	v_cmp_gt_i32_e64 s20, 0, v205
	v_not_b32_e32 v97, v205
	v_not_b32_e32 v205, v206
	v_dual_ashrrev_i32 v96, 31, v96 :: v_dual_bitop2_b32 v93, s16, v93 bitop3:0x14
	v_xor_b32_e32 v94, s17, v94
	v_bitop3_b32 v90, v90, v91, exec_lo bitop3:0x80
	v_cmp_gt_i32_e64 s21, 0, v206
	v_ashrrev_i32_e32 v91, 31, v97
	v_dual_ashrrev_i32 v97, 31, v205 :: v_dual_bitop2_b32 v95, s18, v95 bitop3:0x14
	v_xor_b32_e32 v96, s19, v96
	v_bitop3_b32 v90, v90, v94, v93 bitop3:0x80
	v_mad_u32_u24 v93, v92, 36, v148
	v_xor_b32_e32 v91, s20, v91
	v_xor_b32_e32 v94, s21, v97
	s_delay_alu instid0(VALU_DEP_4) | instskip(SKIP_3) | instid1(VALU_DEP_2)
	v_bitop3_b32 v90, v90, v96, v95 bitop3:0x80
	ds_load_b32 v205, v93 offset:1056
	; wave barrier
	v_bitop3_b32 v90, v90, v94, v91 bitop3:0x80
	v_mul_u32_u24_e32 v91, 36, v92
	v_mbcnt_lo_u32_b32 v206, v90, 0
	v_cmp_ne_u32_e64 s15, 0, v90
	s_delay_alu instid0(VALU_DEP_3) | instskip(NEXT) | instid1(VALU_DEP_3)
	v_add_nc_u32_e32 v208, v148, v91
	v_cmp_eq_u32_e32 vcc_lo, 0, v206
	s_and_b32 s16, s15, vcc_lo
	s_delay_alu instid0(SALU_CYCLE_1)
	s_and_saveexec_b32 s15, s16
	s_cbranch_execz .LBB1216_450
; %bb.449:                              ;   in Loop: Header=BB1216_388 Depth=2
	s_wait_dscnt 0x0
	v_bcnt_u32_b32 v90, v90, v205
	ds_store_b32 v208, v90 offset:1056
.LBB1216_450:                           ;   in Loop: Header=BB1216_388 Depth=2
	s_or_b32 exec_lo, exec_lo, s15
	v_cmp_lt_i64_e32 vcc_lo, -1, v[68:69]
	; wave barrier
	v_cndmask_b32_e64 v90, -1, 0x80000000, vcc_lo
	s_delay_alu instid0(VALU_DEP_1) | instskip(NEXT) | instid1(VALU_DEP_1)
	v_dual_ashrrev_i32 v91, 31, v69 :: v_dual_bitop2_b32 v69, v90, v69 bitop3:0x14
	v_xor_b32_e32 v68, v91, v68
	s_delay_alu instid0(VALU_DEP_1) | instskip(SKIP_2) | instid1(VALU_DEP_1)
	v_cmp_ne_u64_e32 vcc_lo, s[42:43], v[68:69]
	v_cndmask_b32_e32 v91, 0x80000000, v69, vcc_lo
	v_cndmask_b32_e32 v90, 0, v68, vcc_lo
	v_lshrrev_b64 v[90:91], s54, v[90:91]
	s_delay_alu instid0(VALU_DEP_1) | instskip(SKIP_1) | instid1(VALU_DEP_2)
	v_bitop3_b32 v91, v90, 1, s59 bitop3:0x80
	v_and_b32_e32 v92, s59, v90
	v_add_co_u32 v90, s15, v91, -1
	s_delay_alu instid0(VALU_DEP_1) | instskip(NEXT) | instid1(VALU_DEP_3)
	v_cndmask_b32_e64 v91, 0, 1, s15
	v_dual_lshlrev_b32 v93, 30, v92 :: v_dual_lshlrev_b32 v95, 28, v92
	v_dual_lshlrev_b32 v94, 29, v92 :: v_dual_lshlrev_b32 v96, 27, v92
	s_delay_alu instid0(VALU_DEP_3) | instskip(NEXT) | instid1(VALU_DEP_3)
	v_cmp_ne_u32_e32 vcc_lo, 0, v91
	v_cmp_gt_i32_e64 s15, 0, v93
	v_not_b32_e32 v91, v93
	s_delay_alu instid0(VALU_DEP_4) | instskip(SKIP_4) | instid1(VALU_DEP_4)
	v_cmp_gt_i32_e64 s16, 0, v94
	v_not_b32_e32 v93, v94
	v_cmp_gt_i32_e64 s17, 0, v95
	v_not_b32_e32 v94, v95
	v_not_b32_e32 v95, v96
	v_dual_ashrrev_i32 v91, 31, v91 :: v_dual_ashrrev_i32 v93, 31, v93
	s_delay_alu instid0(VALU_DEP_2) | instskip(SKIP_4) | instid1(VALU_DEP_4)
	v_dual_ashrrev_i32 v94, 31, v94 :: v_dual_ashrrev_i32 v95, 31, v95
	v_dual_lshlrev_b32 v97, 26, v92 :: v_dual_lshlrev_b32 v207, 25, v92
	v_lshlrev_b32_e32 v209, 24, v92
	v_cmp_gt_i32_e64 s18, 0, v96
	v_xor_b32_e32 v91, s15, v91
	v_not_b32_e32 v96, v97
	v_xor_b32_e32 v90, vcc_lo, v90
	v_cmp_gt_i32_e64 s19, 0, v97
	v_cmp_gt_i32_e64 s20, 0, v207
	v_not_b32_e32 v97, v207
	v_not_b32_e32 v207, v209
	v_dual_ashrrev_i32 v96, 31, v96 :: v_dual_bitop2_b32 v93, s16, v93 bitop3:0x14
	v_xor_b32_e32 v94, s17, v94
	v_bitop3_b32 v90, v90, v91, exec_lo bitop3:0x80
	v_cmp_gt_i32_e64 s21, 0, v209
	v_dual_ashrrev_i32 v91, 31, v97 :: v_dual_ashrrev_i32 v97, 31, v207
	v_xor_b32_e32 v95, s18, v95
	v_xor_b32_e32 v96, s19, v96
	v_bitop3_b32 v90, v90, v94, v93 bitop3:0x80
	v_mad_u32_u24 v93, v92, 36, v148
	v_xor_b32_e32 v91, s20, v91
	v_xor_b32_e32 v94, s21, v97
	s_delay_alu instid0(VALU_DEP_4) | instskip(SKIP_3) | instid1(VALU_DEP_2)
	v_bitop3_b32 v90, v90, v96, v95 bitop3:0x80
	ds_load_b32 v207, v93 offset:1056
	; wave barrier
	v_bitop3_b32 v90, v90, v94, v91 bitop3:0x80
	v_mul_u32_u24_e32 v91, 36, v92
	v_mbcnt_lo_u32_b32 v209, v90, 0
	v_cmp_ne_u32_e64 s15, 0, v90
	s_delay_alu instid0(VALU_DEP_3) | instskip(NEXT) | instid1(VALU_DEP_3)
	v_add_nc_u32_e32 v212, v148, v91
	v_cmp_eq_u32_e32 vcc_lo, 0, v209
	s_and_b32 s16, s15, vcc_lo
	s_delay_alu instid0(SALU_CYCLE_1)
	s_and_saveexec_b32 s15, s16
	s_cbranch_execz .LBB1216_452
; %bb.451:                              ;   in Loop: Header=BB1216_388 Depth=2
	s_wait_dscnt 0x0
	v_bcnt_u32_b32 v90, v90, v207
	ds_store_b32 v212, v90 offset:1056
.LBB1216_452:                           ;   in Loop: Header=BB1216_388 Depth=2
	s_or_b32 exec_lo, exec_lo, s15
	v_cmp_lt_i64_e32 vcc_lo, -1, v[64:65]
	; wave barrier
	v_cndmask_b32_e64 v90, -1, 0x80000000, vcc_lo
	s_delay_alu instid0(VALU_DEP_1) | instskip(NEXT) | instid1(VALU_DEP_1)
	v_dual_ashrrev_i32 v91, 31, v65 :: v_dual_bitop2_b32 v65, v90, v65 bitop3:0x14
	v_xor_b32_e32 v64, v91, v64
	s_delay_alu instid0(VALU_DEP_1) | instskip(SKIP_2) | instid1(VALU_DEP_1)
	v_cmp_ne_u64_e32 vcc_lo, s[42:43], v[64:65]
	v_cndmask_b32_e32 v91, 0x80000000, v65, vcc_lo
	v_cndmask_b32_e32 v90, 0, v64, vcc_lo
	v_lshrrev_b64 v[90:91], s54, v[90:91]
	s_delay_alu instid0(VALU_DEP_1) | instskip(SKIP_1) | instid1(VALU_DEP_2)
	v_bitop3_b32 v91, v90, 1, s59 bitop3:0x80
	v_and_b32_e32 v92, s59, v90
	v_add_co_u32 v90, s15, v91, -1
	s_delay_alu instid0(VALU_DEP_1) | instskip(NEXT) | instid1(VALU_DEP_3)
	v_cndmask_b32_e64 v91, 0, 1, s15
	v_dual_lshlrev_b32 v93, 30, v92 :: v_dual_lshlrev_b32 v95, 28, v92
	v_dual_lshlrev_b32 v94, 29, v92 :: v_dual_lshlrev_b32 v96, 27, v92
	s_delay_alu instid0(VALU_DEP_3) | instskip(NEXT) | instid1(VALU_DEP_3)
	v_cmp_ne_u32_e32 vcc_lo, 0, v91
	v_cmp_gt_i32_e64 s15, 0, v93
	v_not_b32_e32 v91, v93
	s_delay_alu instid0(VALU_DEP_4) | instskip(SKIP_4) | instid1(VALU_DEP_4)
	v_cmp_gt_i32_e64 s16, 0, v94
	v_not_b32_e32 v93, v94
	v_cmp_gt_i32_e64 s17, 0, v95
	v_not_b32_e32 v94, v95
	v_not_b32_e32 v95, v96
	v_dual_ashrrev_i32 v91, 31, v91 :: v_dual_ashrrev_i32 v93, 31, v93
	s_delay_alu instid0(VALU_DEP_2) | instskip(SKIP_4) | instid1(VALU_DEP_4)
	v_dual_ashrrev_i32 v94, 31, v94 :: v_dual_ashrrev_i32 v95, 31, v95
	v_dual_lshlrev_b32 v97, 26, v92 :: v_dual_lshlrev_b32 v210, 25, v92
	v_lshlrev_b32_e32 v211, 24, v92
	v_cmp_gt_i32_e64 s18, 0, v96
	v_xor_b32_e32 v91, s15, v91
	v_not_b32_e32 v96, v97
	v_xor_b32_e32 v90, vcc_lo, v90
	v_cmp_gt_i32_e64 s19, 0, v97
	v_cmp_gt_i32_e64 s20, 0, v210
	v_not_b32_e32 v97, v210
	v_not_b32_e32 v210, v211
	v_dual_ashrrev_i32 v96, 31, v96 :: v_dual_bitop2_b32 v93, s16, v93 bitop3:0x14
	v_xor_b32_e32 v94, s17, v94
	v_bitop3_b32 v90, v90, v91, exec_lo bitop3:0x80
	v_cmp_gt_i32_e64 s21, 0, v211
	v_dual_ashrrev_i32 v91, 31, v97 :: v_dual_ashrrev_i32 v97, 31, v210
	v_xor_b32_e32 v95, s18, v95
	v_xor_b32_e32 v96, s19, v96
	v_bitop3_b32 v90, v90, v94, v93 bitop3:0x80
	v_mad_u32_u24 v93, v92, 36, v148
	v_xor_b32_e32 v91, s20, v91
	v_xor_b32_e32 v94, s21, v97
	s_delay_alu instid0(VALU_DEP_4) | instskip(SKIP_3) | instid1(VALU_DEP_2)
	v_bitop3_b32 v90, v90, v96, v95 bitop3:0x80
	ds_load_b32 v210, v93 offset:1056
	; wave barrier
	v_bitop3_b32 v90, v90, v94, v91 bitop3:0x80
	v_mul_u32_u24_e32 v91, 36, v92
	v_mbcnt_lo_u32_b32 v211, v90, 0
	v_cmp_ne_u32_e64 s15, 0, v90
	s_delay_alu instid0(VALU_DEP_3) | instskip(NEXT) | instid1(VALU_DEP_3)
	v_add_nc_u32_e32 v215, v148, v91
	v_cmp_eq_u32_e32 vcc_lo, 0, v211
	s_and_b32 s16, s15, vcc_lo
	s_delay_alu instid0(SALU_CYCLE_1)
	s_and_saveexec_b32 s15, s16
	s_cbranch_execz .LBB1216_454
; %bb.453:                              ;   in Loop: Header=BB1216_388 Depth=2
	s_wait_dscnt 0x0
	v_bcnt_u32_b32 v90, v90, v210
	ds_store_b32 v215, v90 offset:1056
.LBB1216_454:                           ;   in Loop: Header=BB1216_388 Depth=2
	s_or_b32 exec_lo, exec_lo, s15
	v_cmp_lt_i64_e32 vcc_lo, -1, v[66:67]
	; wave barrier
	v_cndmask_b32_e64 v90, -1, 0x80000000, vcc_lo
	s_delay_alu instid0(VALU_DEP_1) | instskip(NEXT) | instid1(VALU_DEP_1)
	v_dual_ashrrev_i32 v91, 31, v67 :: v_dual_bitop2_b32 v67, v90, v67 bitop3:0x14
	v_xor_b32_e32 v66, v91, v66
	s_delay_alu instid0(VALU_DEP_1) | instskip(SKIP_2) | instid1(VALU_DEP_1)
	v_cmp_ne_u64_e32 vcc_lo, s[42:43], v[66:67]
	v_cndmask_b32_e32 v91, 0x80000000, v67, vcc_lo
	v_cndmask_b32_e32 v90, 0, v66, vcc_lo
	v_lshrrev_b64 v[90:91], s54, v[90:91]
	s_delay_alu instid0(VALU_DEP_1) | instskip(SKIP_1) | instid1(VALU_DEP_2)
	v_bitop3_b32 v91, v90, 1, s59 bitop3:0x80
	v_and_b32_e32 v92, s59, v90
	v_add_co_u32 v90, s15, v91, -1
	s_delay_alu instid0(VALU_DEP_1) | instskip(NEXT) | instid1(VALU_DEP_3)
	v_cndmask_b32_e64 v91, 0, 1, s15
	v_lshlrev_b32_e32 v93, 30, v92
	s_delay_alu instid0(VALU_DEP_2) | instskip(NEXT) | instid1(VALU_DEP_2)
	v_cmp_ne_u32_e32 vcc_lo, 0, v91
	v_not_b32_e32 v91, v93
	v_cmp_gt_i32_e64 s15, 0, v93
	s_delay_alu instid0(VALU_DEP_2) | instskip(SKIP_3) | instid1(VALU_DEP_4)
	v_dual_ashrrev_i32 v91, 31, v91 :: v_dual_lshlrev_b32 v94, 29, v92
	v_dual_lshlrev_b32 v95, 28, v92 :: v_dual_lshlrev_b32 v96, 27, v92
	v_dual_lshlrev_b32 v97, 26, v92 :: v_dual_lshlrev_b32 v213, 25, v92
	v_lshlrev_b32_e32 v214, 24, v92
	v_cmp_gt_i32_e64 s16, 0, v94
	v_not_b32_e32 v93, v94
	v_not_b32_e32 v94, v95
	v_cmp_gt_i32_e64 s17, 0, v95
	v_cmp_gt_i32_e64 s18, 0, v96
	v_not_b32_e32 v95, v96
	v_not_b32_e32 v96, v97
	v_dual_ashrrev_i32 v93, 31, v93 :: v_dual_bitop2_b32 v90, vcc_lo, v90 bitop3:0x14
	v_dual_ashrrev_i32 v94, 31, v94 :: v_dual_bitop2_b32 v91, s15, v91 bitop3:0x14
	v_cmp_gt_i32_e64 s19, 0, v97
	v_cmp_gt_i32_e64 s20, 0, v213
	v_not_b32_e32 v97, v213
	v_not_b32_e32 v213, v214
	v_dual_ashrrev_i32 v95, 31, v95 :: v_dual_ashrrev_i32 v96, 31, v96
	v_xor_b32_e32 v93, s16, v93
	v_xor_b32_e32 v94, s17, v94
	v_bitop3_b32 v90, v90, v91, exec_lo bitop3:0x80
	v_cmp_gt_i32_e64 s21, 0, v214
	v_ashrrev_i32_e32 v91, 31, v97
	v_dual_ashrrev_i32 v97, 31, v213 :: v_dual_bitop2_b32 v95, s18, v95 bitop3:0x14
	v_xor_b32_e32 v96, s19, v96
	v_bitop3_b32 v90, v90, v94, v93 bitop3:0x80
	v_mad_u32_u24 v93, v92, 36, v148
	v_xor_b32_e32 v91, s20, v91
	v_xor_b32_e32 v94, s21, v97
	s_delay_alu instid0(VALU_DEP_4) | instskip(SKIP_3) | instid1(VALU_DEP_2)
	v_bitop3_b32 v90, v90, v96, v95 bitop3:0x80
	ds_load_b32 v213, v93 offset:1056
	; wave barrier
	v_bitop3_b32 v90, v90, v94, v91 bitop3:0x80
	v_mul_u32_u24_e32 v91, 36, v92
	v_mbcnt_lo_u32_b32 v214, v90, 0
	v_cmp_ne_u32_e64 s15, 0, v90
	s_delay_alu instid0(VALU_DEP_3) | instskip(NEXT) | instid1(VALU_DEP_3)
	v_add_nc_u32_e32 v216, v148, v91
	v_cmp_eq_u32_e32 vcc_lo, 0, v214
	s_and_b32 s16, s15, vcc_lo
	s_delay_alu instid0(SALU_CYCLE_1)
	s_and_saveexec_b32 s15, s16
	s_cbranch_execz .LBB1216_456
; %bb.455:                              ;   in Loop: Header=BB1216_388 Depth=2
	s_wait_dscnt 0x0
	v_bcnt_u32_b32 v90, v90, v213
	ds_store_b32 v216, v90 offset:1056
.LBB1216_456:                           ;   in Loop: Header=BB1216_388 Depth=2
	s_or_b32 exec_lo, exec_lo, s15
	; wave barrier
	s_wait_dscnt 0x0
	s_barrier_signal -1
	s_barrier_wait -1
	ds_load_2addr_b32 v[96:97], v168 offset1:1
	ds_load_2addr_b32 v[94:95], v169 offset1:1
	;; [unrolled: 1-line block ×4, first 2 shown]
	ds_load_b32 v217, v120 offset:1088
	s_wait_dscnt 0x3
	v_add3_u32 v218, v97, v96, v94
	s_wait_dscnt 0x2
	s_delay_alu instid0(VALU_DEP_1) | instskip(SKIP_1) | instid1(VALU_DEP_1)
	v_add3_u32 v218, v218, v95, v92
	s_wait_dscnt 0x1
	v_add3_u32 v218, v218, v93, v90
	s_wait_dscnt 0x0
	s_delay_alu instid0(VALU_DEP_1) | instskip(NEXT) | instid1(VALU_DEP_1)
	v_add3_u32 v217, v218, v91, v217
	v_mov_b32_dpp v218, v217 row_shr:1 row_mask:0xf bank_mask:0xf
	s_delay_alu instid0(VALU_DEP_1) | instskip(NEXT) | instid1(VALU_DEP_1)
	v_cndmask_b32_e64 v218, v218, 0, s7
	v_add_nc_u32_e32 v217, v218, v217
	s_delay_alu instid0(VALU_DEP_1) | instskip(NEXT) | instid1(VALU_DEP_1)
	v_mov_b32_dpp v218, v217 row_shr:2 row_mask:0xf bank_mask:0xf
	v_cndmask_b32_e64 v218, 0, v218, s8
	s_delay_alu instid0(VALU_DEP_1) | instskip(NEXT) | instid1(VALU_DEP_1)
	v_add_nc_u32_e32 v217, v217, v218
	v_mov_b32_dpp v218, v217 row_shr:4 row_mask:0xf bank_mask:0xf
	s_delay_alu instid0(VALU_DEP_1) | instskip(NEXT) | instid1(VALU_DEP_1)
	v_cndmask_b32_e64 v218, 0, v218, s9
	v_add_nc_u32_e32 v217, v217, v218
	s_delay_alu instid0(VALU_DEP_1) | instskip(NEXT) | instid1(VALU_DEP_1)
	v_mov_b32_dpp v218, v217 row_shr:8 row_mask:0xf bank_mask:0xf
	v_cndmask_b32_e64 v218, 0, v218, s10
	s_delay_alu instid0(VALU_DEP_1) | instskip(SKIP_3) | instid1(VALU_DEP_1)
	v_add_nc_u32_e32 v217, v217, v218
	ds_swizzle_b32 v218, v217 offset:swizzle(BROADCAST,32,15)
	s_wait_dscnt 0x0
	v_cndmask_b32_e64 v218, v218, 0, s11
	v_add_nc_u32_e32 v217, v217, v218
	s_and_saveexec_b32 s15, s1
; %bb.457:                              ;   in Loop: Header=BB1216_388 Depth=2
	ds_store_b32 v114, v217 offset:1024
; %bb.458:                              ;   in Loop: Header=BB1216_388 Depth=2
	s_or_b32 exec_lo, exec_lo, s15
	s_wait_dscnt 0x0
	s_barrier_signal -1
	s_barrier_wait -1
	s_and_saveexec_b32 s15, s4
	s_cbranch_execz .LBB1216_460
; %bb.459:                              ;   in Loop: Header=BB1216_388 Depth=2
	ds_load_b32 v218, v122 offset:1024
	s_wait_dscnt 0x0
	v_mov_b32_dpp v219, v218 row_shr:1 row_mask:0xf bank_mask:0xf
	s_delay_alu instid0(VALU_DEP_1) | instskip(NEXT) | instid1(VALU_DEP_1)
	v_cndmask_b32_e64 v219, v219, 0, s12
	v_add_nc_u32_e32 v218, v219, v218
	s_delay_alu instid0(VALU_DEP_1) | instskip(NEXT) | instid1(VALU_DEP_1)
	v_mov_b32_dpp v219, v218 row_shr:2 row_mask:0xf bank_mask:0xf
	v_cndmask_b32_e64 v219, 0, v219, s13
	s_delay_alu instid0(VALU_DEP_1) | instskip(NEXT) | instid1(VALU_DEP_1)
	v_add_nc_u32_e32 v218, v218, v219
	v_mov_b32_dpp v219, v218 row_shr:4 row_mask:0xf bank_mask:0xf
	s_delay_alu instid0(VALU_DEP_1) | instskip(NEXT) | instid1(VALU_DEP_1)
	v_cndmask_b32_e64 v219, 0, v219, s14
	v_add_nc_u32_e32 v218, v218, v219
	ds_store_b32 v122, v218 offset:1024
.LBB1216_460:                           ;   in Loop: Header=BB1216_388 Depth=2
	s_or_b32 exec_lo, exec_lo, s15
	v_mov_b32_e32 v218, 0
	s_wait_dscnt 0x0
	s_barrier_signal -1
	s_barrier_wait -1
	s_and_saveexec_b32 s15, s5
; %bb.461:                              ;   in Loop: Header=BB1216_388 Depth=2
	ds_load_b32 v218, v114 offset:1020
; %bb.462:                              ;   in Loop: Header=BB1216_388 Depth=2
	s_or_b32 exec_lo, exec_lo, s15
	s_wait_dscnt 0x0
	v_add_nc_u32_e32 v217, v218, v217
	ds_bpermute_b32 v217, v147, v217
	s_wait_dscnt 0x0
	v_cndmask_b32_e64 v217, v217, v218, s6
	s_delay_alu instid0(VALU_DEP_1) | instskip(NEXT) | instid1(VALU_DEP_1)
	v_cndmask_b32_e64 v217, v217, 0, s2
	v_add_nc_u32_e32 v96, v217, v96
	s_delay_alu instid0(VALU_DEP_1) | instskip(NEXT) | instid1(VALU_DEP_1)
	v_add_nc_u32_e32 v97, v96, v97
	v_add_nc_u32_e32 v94, v97, v94
	s_delay_alu instid0(VALU_DEP_1) | instskip(NEXT) | instid1(VALU_DEP_1)
	v_add_nc_u32_e32 v95, v94, v95
	;; [unrolled: 3-line block ×3, first 2 shown]
	v_add_nc_u32_e32 v90, v93, v90
	s_delay_alu instid0(VALU_DEP_1)
	v_add_nc_u32_e32 v91, v90, v91
	ds_store_2addr_b32 v167, v93, v90 offset1:1
	ds_store_2addr_b32 v168, v217, v96 offset1:1
	;; [unrolled: 1-line block ×4, first 2 shown]
	ds_store_b32 v120, v91 offset:1088
	s_wait_dscnt 0x0
	s_barrier_signal -1
	s_barrier_wait -1
	ds_load_b32 v91, v171 offset:1056
	ds_load_b32 v96, v174 offset:1056
	ds_load_b32 v95, v177 offset:1056
	ds_load_b32 v94, v180 offset:1056
	ds_load_b32 v93, v183 offset:1056
	ds_load_b32 v92, v186 offset:1056
	ds_load_b32 v183, v189 offset:1056
	ds_load_b32 v180, v192 offset:1056
	ds_load_b32 v177, v195 offset:1056
	ds_load_b32 v174, v198 offset:1056
	ds_load_b32 v171, v201 offset:1056
	ds_load_b32 v170, v204 offset:1056
	ds_load_b32 v169, v208 offset:1056
	ds_load_b32 v168, v212 offset:1056
	ds_load_b32 v167, v215 offset:1056
	ds_load_b32 v97, v216 offset:1056
	ds_load_b32 v186, v120 offset:1056
	v_mov_b32_e32 v90, 0x1000
	s_and_saveexec_b32 s15, s3
; %bb.463:                              ;   in Loop: Header=BB1216_388 Depth=2
	ds_load_b32 v90, v120 offset:1092
; %bb.464:                              ;   in Loop: Header=BB1216_388 Depth=2
	s_or_b32 exec_lo, exec_lo, s15
	s_wait_dscnt 0x0
	s_barrier_signal -1
	s_barrier_wait -1
	s_and_saveexec_b32 s15, s0
	s_cbranch_execz .LBB1216_466
; %bb.465:                              ;   in Loop: Header=BB1216_388 Depth=2
	ds_load_b32 v189, v3
	s_wait_dscnt 0x0
	v_sub_nc_u32_e32 v186, v189, v186
	ds_store_b32 v3, v186
.LBB1216_466:                           ;   in Loop: Header=BB1216_388 Depth=2
	s_or_b32 exec_lo, exec_lo, s15
	v_dual_lshlrev_b32 v166, 3, v166 :: v_dual_lshlrev_b32 v173, 3, v173
	v_lshlrev_b32_e32 v172, 3, v172
	v_dual_lshlrev_b32 v96, 3, v96 :: v_dual_lshlrev_b32 v95, 3, v95
	s_delay_alu instid0(VALU_DEP_3)
	v_lshl_add_u32 v91, v91, 3, v166
	v_dual_lshlrev_b32 v176, 3, v176 :: v_dual_lshlrev_b32 v166, 3, v175
	v_dual_lshlrev_b32 v175, 3, v179 :: v_dual_lshlrev_b32 v178, 3, v178
	v_lshlrev_b32_e32 v179, 3, v181
	ds_store_b64 v91, v[58:59] offset:1024
	v_dual_lshlrev_b32 v58, 3, v94 :: v_dual_lshlrev_b32 v181, 3, v93
	v_dual_lshlrev_b32 v59, 3, v182 :: v_dual_lshlrev_b32 v182, 3, v185
	v_lshlrev_b32_e32 v184, 3, v184
	v_lshlrev_b32_e32 v185, 3, v92
	v_add3_u32 v92, v173, v172, v96
	v_add3_u32 v93, v176, v166, v95
	;; [unrolled: 1-line block ×4, first 2 shown]
	v_lshlrev_b32_e32 v59, 3, v187
	v_add3_u32 v96, v182, v184, v185
	ds_store_b64 v92, v[60:61] offset:1024
	ds_store_b64 v93, v[62:63] offset:1024
	;; [unrolled: 1-line block ×5, first 2 shown]
	v_dual_lshlrev_b32 v58, 3, v188 :: v_dual_lshlrev_b32 v61, 3, v191
	v_dual_lshlrev_b32 v60, 3, v183 :: v_dual_lshlrev_b32 v62, 3, v190
	;; [unrolled: 1-line block ×3, first 2 shown]
	v_lshlrev_b32_e32 v71, 3, v193
	v_dual_lshlrev_b32 v74, 3, v177 :: v_dual_lshlrev_b32 v78, 3, v196
	v_dual_lshlrev_b32 v75, 3, v197 :: v_dual_lshlrev_b32 v79, 3, v174
	;; [unrolled: 1-line block ×3, first 2 shown]
	v_lshlrev_b32_e32 v171, 3, v171
	v_add3_u32 v60, v58, v59, v60
	v_add3_u32 v61, v61, v62, v63
	;; [unrolled: 1-line block ×4, first 2 shown]
	v_lshlrev_b32_e32 v59, 3, v202
	v_add3_u32 v70, v166, v172, v171
	ds_store_b64 v60, v[82:83] offset:1024
	ds_store_b64 v61, v[86:87] offset:1024
	;; [unrolled: 1-line block ×5, first 2 shown]
	v_dual_lshlrev_b32 v58, 3, v203 :: v_dual_lshlrev_b32 v71, 3, v170
	v_dual_lshlrev_b32 v74, 3, v206 :: v_dual_lshlrev_b32 v75, 3, v205
	;; [unrolled: 1-line block ×6, first 2 shown]
	v_lshlrev_b32_e32 v86, 3, v213
	v_lshlrev_b32_e32 v87, 3, v97
	v_add3_u32 v71, v58, v59, v71
	v_add3_u32 v74, v74, v75, v78
	;; [unrolled: 1-line block ×5, first 2 shown]
	v_cmp_lt_u32_e32 vcc_lo, v2, v165
	ds_store_b64 v71, v[76:77] offset:1024
	ds_store_b64 v74, v[72:73] offset:1024
	;; [unrolled: 1-line block ×5, first 2 shown]
	s_wait_dscnt 0x0
	s_barrier_signal -1
	s_barrier_wait -1
	s_and_saveexec_b32 s16, vcc_lo
	s_cbranch_execnz .LBB1216_535
; %bb.467:                              ;   in Loop: Header=BB1216_388 Depth=2
	s_or_b32 exec_lo, exec_lo, s16
	v_cmp_lt_u32_e64 s15, v98, v165
	s_and_saveexec_b32 s17, s15
	s_cbranch_execnz .LBB1216_536
.LBB1216_468:                           ;   in Loop: Header=BB1216_388 Depth=2
	s_or_b32 exec_lo, exec_lo, s17
	v_cmp_lt_u32_e64 s16, v99, v165
	s_and_saveexec_b32 s18, s16
	s_cbranch_execnz .LBB1216_537
.LBB1216_469:                           ;   in Loop: Header=BB1216_388 Depth=2
	s_or_b32 exec_lo, exec_lo, s18
	v_cmp_lt_u32_e64 s17, v100, v165
	s_and_saveexec_b32 s19, s17
	s_cbranch_execnz .LBB1216_538
.LBB1216_470:                           ;   in Loop: Header=BB1216_388 Depth=2
	s_or_b32 exec_lo, exec_lo, s19
	v_cmp_lt_u32_e64 s18, v101, v165
	s_and_saveexec_b32 s20, s18
	s_cbranch_execnz .LBB1216_539
.LBB1216_471:                           ;   in Loop: Header=BB1216_388 Depth=2
	s_or_b32 exec_lo, exec_lo, s20
	v_cmp_lt_u32_e64 s19, v102, v165
	s_and_saveexec_b32 s21, s19
	s_cbranch_execnz .LBB1216_540
.LBB1216_472:                           ;   in Loop: Header=BB1216_388 Depth=2
	s_or_b32 exec_lo, exec_lo, s21
	v_cmp_lt_u32_e64 s20, v103, v165
	s_and_saveexec_b32 s22, s20
	s_cbranch_execnz .LBB1216_541
.LBB1216_473:                           ;   in Loop: Header=BB1216_388 Depth=2
	s_or_b32 exec_lo, exec_lo, s22
	v_cmp_lt_u32_e64 s21, v104, v165
	s_and_saveexec_b32 s23, s21
	s_cbranch_execnz .LBB1216_542
.LBB1216_474:                           ;   in Loop: Header=BB1216_388 Depth=2
	s_or_b32 exec_lo, exec_lo, s23
	v_cmp_lt_u32_e64 s22, v105, v165
	s_and_saveexec_b32 s24, s22
	s_cbranch_execnz .LBB1216_543
.LBB1216_475:                           ;   in Loop: Header=BB1216_388 Depth=2
	s_or_b32 exec_lo, exec_lo, s24
	v_cmp_lt_u32_e64 s23, v106, v165
	s_and_saveexec_b32 s25, s23
	s_cbranch_execnz .LBB1216_544
.LBB1216_476:                           ;   in Loop: Header=BB1216_388 Depth=2
	s_or_b32 exec_lo, exec_lo, s25
	v_cmp_lt_u32_e64 s24, v107, v165
	s_and_saveexec_b32 s26, s24
	s_cbranch_execnz .LBB1216_545
.LBB1216_477:                           ;   in Loop: Header=BB1216_388 Depth=2
	s_or_b32 exec_lo, exec_lo, s26
	v_cmp_lt_u32_e64 s25, v108, v165
	s_and_saveexec_b32 s27, s25
	s_cbranch_execnz .LBB1216_546
.LBB1216_478:                           ;   in Loop: Header=BB1216_388 Depth=2
	s_or_b32 exec_lo, exec_lo, s27
	v_cmp_lt_u32_e64 s26, v109, v165
	s_and_saveexec_b32 s28, s26
	s_cbranch_execnz .LBB1216_547
.LBB1216_479:                           ;   in Loop: Header=BB1216_388 Depth=2
	s_or_b32 exec_lo, exec_lo, s28
	v_cmp_lt_u32_e64 s27, v110, v165
	s_and_saveexec_b32 s29, s27
	s_cbranch_execnz .LBB1216_548
.LBB1216_480:                           ;   in Loop: Header=BB1216_388 Depth=2
	s_or_b32 exec_lo, exec_lo, s29
	v_cmp_lt_u32_e64 s28, v111, v165
	s_and_saveexec_b32 s30, s28
	s_cbranch_execnz .LBB1216_549
.LBB1216_481:                           ;   in Loop: Header=BB1216_388 Depth=2
	s_or_b32 exec_lo, exec_lo, s30
	v_cmp_lt_u32_e64 s29, v112, v165
	s_and_saveexec_b32 s62, s29
	s_cbranch_execz .LBB1216_483
.LBB1216_482:                           ;   in Loop: Header=BB1216_388 Depth=2
	ds_load_b64 v[58:59], v123 offset:31744
	s_wait_dscnt 0x0
	v_cmp_ne_u64_e64 s30, s[42:43], v[58:59]
	s_delay_alu instid0(VALU_DEP_1) | instskip(SKIP_2) | instid1(VALU_DEP_2)
	v_cndmask_b32_e64 v65, 0x80000000, v59, s30
	v_cndmask_b32_e64 v64, 0, v58, s30
	v_cmp_lt_i64_e64 s30, -1, v[58:59]
	v_lshrrev_b64 v[64:65], s54, v[64:65]
	v_ashrrev_i32_e32 v65, 31, v59
	s_delay_alu instid0(VALU_DEP_3) | instskip(NEXT) | instid1(VALU_DEP_2)
	v_cndmask_b32_e64 v66, 0x80000000, -1, s30
	v_not_b32_e32 v65, v65
	s_delay_alu instid0(VALU_DEP_4) | instskip(NEXT) | instid1(VALU_DEP_1)
	v_and_b32_e32 v64, s59, v64
	v_dual_lshlrev_b32 v64, 2, v64 :: v_dual_bitop2_b32 v59, v66, v59 bitop3:0x14
	ds_load_b32 v64, v64
	s_wait_dscnt 0x0
	v_dual_add_nc_u32 v64, v64, v112 :: v_dual_bitop2_b32 v58, v65, v58 bitop3:0x14
	global_store_b64 v64, v[58:59], s[40:41] scale_offset
.LBB1216_483:                           ;   in Loop: Header=BB1216_388 Depth=2
	s_wait_xcnt 0x0
	s_or_b32 exec_lo, exec_lo, s62
	v_lshl_add_u64 v[58:59], s[34:35], 3, v[22:23]
	v_cmp_lt_u32_e64 s30, v129, v165
	s_and_saveexec_b32 s34, s30
	s_delay_alu instid0(SALU_CYCLE_1)
	s_xor_b32 s30, exec_lo, s34
	s_cbranch_execnz .LBB1216_550
; %bb.484:                              ;   in Loop: Header=BB1216_388 Depth=2
	s_or_b32 exec_lo, exec_lo, s30
	s_delay_alu instid0(SALU_CYCLE_1)
	s_mov_b32 s34, exec_lo
	v_cmpx_lt_u32_e64 v132, v165
	s_cbranch_execnz .LBB1216_551
.LBB1216_485:                           ;   in Loop: Header=BB1216_388 Depth=2
	s_or_b32 exec_lo, exec_lo, s34
	s_delay_alu instid0(SALU_CYCLE_1)
	s_mov_b32 s34, exec_lo
	v_cmpx_lt_u32_e64 v133, v165
	s_cbranch_execnz .LBB1216_552
.LBB1216_486:                           ;   in Loop: Header=BB1216_388 Depth=2
	s_or_b32 exec_lo, exec_lo, s34
	s_delay_alu instid0(SALU_CYCLE_1)
	s_mov_b32 s34, exec_lo
	v_cmpx_lt_u32_e64 v134, v165
	s_cbranch_execnz .LBB1216_553
.LBB1216_487:                           ;   in Loop: Header=BB1216_388 Depth=2
	s_or_b32 exec_lo, exec_lo, s34
	s_delay_alu instid0(SALU_CYCLE_1)
	s_mov_b32 s34, exec_lo
	v_cmpx_lt_u32_e64 v135, v165
	s_cbranch_execnz .LBB1216_554
.LBB1216_488:                           ;   in Loop: Header=BB1216_388 Depth=2
	s_or_b32 exec_lo, exec_lo, s34
	s_delay_alu instid0(SALU_CYCLE_1)
	s_mov_b32 s34, exec_lo
	v_cmpx_lt_u32_e64 v136, v165
	s_cbranch_execnz .LBB1216_555
.LBB1216_489:                           ;   in Loop: Header=BB1216_388 Depth=2
	s_or_b32 exec_lo, exec_lo, s34
	s_delay_alu instid0(SALU_CYCLE_1)
	s_mov_b32 s34, exec_lo
	v_cmpx_lt_u32_e64 v137, v165
	s_cbranch_execnz .LBB1216_556
.LBB1216_490:                           ;   in Loop: Header=BB1216_388 Depth=2
	s_or_b32 exec_lo, exec_lo, s34
	s_delay_alu instid0(SALU_CYCLE_1)
	s_mov_b32 s34, exec_lo
	v_cmpx_lt_u32_e64 v138, v165
	s_cbranch_execnz .LBB1216_557
.LBB1216_491:                           ;   in Loop: Header=BB1216_388 Depth=2
	s_or_b32 exec_lo, exec_lo, s34
	s_delay_alu instid0(SALU_CYCLE_1)
	s_mov_b32 s34, exec_lo
	v_cmpx_lt_u32_e64 v139, v165
	s_cbranch_execnz .LBB1216_558
.LBB1216_492:                           ;   in Loop: Header=BB1216_388 Depth=2
	s_or_b32 exec_lo, exec_lo, s34
	s_delay_alu instid0(SALU_CYCLE_1)
	s_mov_b32 s34, exec_lo
	v_cmpx_lt_u32_e64 v140, v165
	s_cbranch_execnz .LBB1216_559
.LBB1216_493:                           ;   in Loop: Header=BB1216_388 Depth=2
	s_or_b32 exec_lo, exec_lo, s34
	s_delay_alu instid0(SALU_CYCLE_1)
	s_mov_b32 s34, exec_lo
	v_cmpx_lt_u32_e64 v141, v165
	s_cbranch_execnz .LBB1216_560
.LBB1216_494:                           ;   in Loop: Header=BB1216_388 Depth=2
	s_or_b32 exec_lo, exec_lo, s34
	s_delay_alu instid0(SALU_CYCLE_1)
	s_mov_b32 s34, exec_lo
	v_cmpx_lt_u32_e64 v142, v165
	s_cbranch_execnz .LBB1216_561
.LBB1216_495:                           ;   in Loop: Header=BB1216_388 Depth=2
	s_or_b32 exec_lo, exec_lo, s34
	s_delay_alu instid0(SALU_CYCLE_1)
	s_mov_b32 s34, exec_lo
	v_cmpx_lt_u32_e64 v143, v165
	s_cbranch_execnz .LBB1216_562
.LBB1216_496:                           ;   in Loop: Header=BB1216_388 Depth=2
	s_or_b32 exec_lo, exec_lo, s34
	s_delay_alu instid0(SALU_CYCLE_1)
	s_mov_b32 s34, exec_lo
	v_cmpx_lt_u32_e64 v144, v165
	s_cbranch_execnz .LBB1216_563
.LBB1216_497:                           ;   in Loop: Header=BB1216_388 Depth=2
	s_or_b32 exec_lo, exec_lo, s34
	s_delay_alu instid0(SALU_CYCLE_1)
	s_mov_b32 s34, exec_lo
	v_cmpx_lt_u32_e64 v145, v165
	s_cbranch_execnz .LBB1216_564
.LBB1216_498:                           ;   in Loop: Header=BB1216_388 Depth=2
	s_or_b32 exec_lo, exec_lo, s34
	s_delay_alu instid0(SALU_CYCLE_1)
	s_mov_b32 s34, exec_lo
	v_cmpx_lt_u32_e64 v146, v165
	s_cbranch_execnz .LBB1216_565
.LBB1216_499:                           ;   in Loop: Header=BB1216_388 Depth=2
	s_or_b32 exec_lo, exec_lo, s34
	s_and_saveexec_b32 s34, vcc_lo
	s_cbranch_execnz .LBB1216_566
.LBB1216_500:                           ;   in Loop: Header=BB1216_388 Depth=2
	s_or_b32 exec_lo, exec_lo, s34
	s_and_saveexec_b32 s34, s15
	s_cbranch_execnz .LBB1216_567
.LBB1216_501:                           ;   in Loop: Header=BB1216_388 Depth=2
	s_or_b32 exec_lo, exec_lo, s34
	s_and_saveexec_b32 s34, s16
	s_cbranch_execnz .LBB1216_568
.LBB1216_502:                           ;   in Loop: Header=BB1216_388 Depth=2
	s_or_b32 exec_lo, exec_lo, s34
	s_and_saveexec_b32 s34, s17
	s_cbranch_execnz .LBB1216_569
.LBB1216_503:                           ;   in Loop: Header=BB1216_388 Depth=2
	s_or_b32 exec_lo, exec_lo, s34
	s_and_saveexec_b32 s34, s18
	s_cbranch_execnz .LBB1216_570
.LBB1216_504:                           ;   in Loop: Header=BB1216_388 Depth=2
	s_or_b32 exec_lo, exec_lo, s34
	s_and_saveexec_b32 s34, s19
	s_cbranch_execnz .LBB1216_571
.LBB1216_505:                           ;   in Loop: Header=BB1216_388 Depth=2
	s_or_b32 exec_lo, exec_lo, s34
	s_and_saveexec_b32 s34, s20
	s_cbranch_execnz .LBB1216_572
.LBB1216_506:                           ;   in Loop: Header=BB1216_388 Depth=2
	s_or_b32 exec_lo, exec_lo, s34
	s_and_saveexec_b32 s34, s21
	s_cbranch_execnz .LBB1216_573
.LBB1216_507:                           ;   in Loop: Header=BB1216_388 Depth=2
	s_or_b32 exec_lo, exec_lo, s34
	s_and_saveexec_b32 s34, s22
	s_cbranch_execnz .LBB1216_574
.LBB1216_508:                           ;   in Loop: Header=BB1216_388 Depth=2
	s_or_b32 exec_lo, exec_lo, s34
	s_and_saveexec_b32 s34, s23
	s_cbranch_execnz .LBB1216_575
.LBB1216_509:                           ;   in Loop: Header=BB1216_388 Depth=2
	s_or_b32 exec_lo, exec_lo, s34
	s_and_saveexec_b32 s34, s24
	s_cbranch_execnz .LBB1216_576
.LBB1216_510:                           ;   in Loop: Header=BB1216_388 Depth=2
	s_or_b32 exec_lo, exec_lo, s34
	s_and_saveexec_b32 s34, s25
	s_cbranch_execnz .LBB1216_577
.LBB1216_511:                           ;   in Loop: Header=BB1216_388 Depth=2
	s_or_b32 exec_lo, exec_lo, s34
	s_and_saveexec_b32 s34, s26
	s_cbranch_execnz .LBB1216_578
.LBB1216_512:                           ;   in Loop: Header=BB1216_388 Depth=2
	s_or_b32 exec_lo, exec_lo, s34
	s_and_saveexec_b32 s34, s27
	s_cbranch_execnz .LBB1216_579
.LBB1216_513:                           ;   in Loop: Header=BB1216_388 Depth=2
	s_or_b32 exec_lo, exec_lo, s34
	s_and_saveexec_b32 s34, s28
	s_cbranch_execnz .LBB1216_580
.LBB1216_514:                           ;   in Loop: Header=BB1216_388 Depth=2
	s_or_b32 exec_lo, exec_lo, s34
	s_and_saveexec_b32 s34, s29
	s_cbranch_execz .LBB1216_516
.LBB1216_515:                           ;   in Loop: Header=BB1216_388 Depth=2
	ds_load_b64 v[58:59], v123 offset:31744
	s_wait_dscnt 0x0
	v_cmp_ne_u64_e64 s30, s[42:43], v[58:59]
	s_delay_alu instid0(VALU_DEP_1) | instskip(SKIP_1) | instid1(VALU_DEP_1)
	v_cndmask_b32_e64 v59, 0x80000000, v59, s30
	v_cndmask_b32_e64 v58, 0, v58, s30
	v_lshrrev_b64 v[58:59], s54, v[58:59]
	s_delay_alu instid0(VALU_DEP_1)
	v_and_b32_e32 v149, s59, v58
.LBB1216_516:                           ;   in Loop: Header=BB1216_388 Depth=2
	s_or_b32 exec_lo, exec_lo, s34
	s_wait_loadcnt 0x0
	s_wait_storecnt 0x0
	s_barrier_signal -1
	s_barrier_wait -1
	ds_store_b64 v91, v[56:57] offset:1024
	ds_store_b64 v92, v[54:55] offset:1024
	;; [unrolled: 1-line block ×16, first 2 shown]
	s_wait_dscnt 0x0
	s_barrier_signal -1
	s_barrier_wait -1
	s_and_saveexec_b32 s30, vcc_lo
	s_cbranch_execnz .LBB1216_581
; %bb.517:                              ;   in Loop: Header=BB1216_388 Depth=2
	s_or_b32 exec_lo, exec_lo, s30
	s_and_saveexec_b32 s30, s15
	s_cbranch_execnz .LBB1216_582
.LBB1216_518:                           ;   in Loop: Header=BB1216_388 Depth=2
	s_or_b32 exec_lo, exec_lo, s30
	s_and_saveexec_b32 s15, s16
	s_cbranch_execnz .LBB1216_583
.LBB1216_519:                           ;   in Loop: Header=BB1216_388 Depth=2
	s_or_b32 exec_lo, exec_lo, s15
	s_and_saveexec_b32 s15, s17
	s_cbranch_execnz .LBB1216_584
.LBB1216_520:                           ;   in Loop: Header=BB1216_388 Depth=2
	s_or_b32 exec_lo, exec_lo, s15
	s_and_saveexec_b32 s15, s18
	s_cbranch_execnz .LBB1216_585
.LBB1216_521:                           ;   in Loop: Header=BB1216_388 Depth=2
	s_or_b32 exec_lo, exec_lo, s15
	s_and_saveexec_b32 s15, s19
	s_cbranch_execnz .LBB1216_586
.LBB1216_522:                           ;   in Loop: Header=BB1216_388 Depth=2
	s_or_b32 exec_lo, exec_lo, s15
	s_and_saveexec_b32 s15, s20
	s_cbranch_execnz .LBB1216_587
.LBB1216_523:                           ;   in Loop: Header=BB1216_388 Depth=2
	s_or_b32 exec_lo, exec_lo, s15
	s_and_saveexec_b32 s15, s21
	s_cbranch_execnz .LBB1216_588
.LBB1216_524:                           ;   in Loop: Header=BB1216_388 Depth=2
	s_or_b32 exec_lo, exec_lo, s15
	s_and_saveexec_b32 s15, s22
	s_cbranch_execnz .LBB1216_589
.LBB1216_525:                           ;   in Loop: Header=BB1216_388 Depth=2
	s_or_b32 exec_lo, exec_lo, s15
	s_and_saveexec_b32 s15, s23
	s_cbranch_execnz .LBB1216_590
.LBB1216_526:                           ;   in Loop: Header=BB1216_388 Depth=2
	s_or_b32 exec_lo, exec_lo, s15
	s_and_saveexec_b32 s15, s24
	s_cbranch_execnz .LBB1216_591
.LBB1216_527:                           ;   in Loop: Header=BB1216_388 Depth=2
	s_or_b32 exec_lo, exec_lo, s15
	s_and_saveexec_b32 s15, s25
	s_cbranch_execnz .LBB1216_592
.LBB1216_528:                           ;   in Loop: Header=BB1216_388 Depth=2
	s_or_b32 exec_lo, exec_lo, s15
	s_and_saveexec_b32 s15, s26
	s_cbranch_execnz .LBB1216_593
.LBB1216_529:                           ;   in Loop: Header=BB1216_388 Depth=2
	s_or_b32 exec_lo, exec_lo, s15
	s_and_saveexec_b32 s15, s27
	s_cbranch_execnz .LBB1216_594
.LBB1216_530:                           ;   in Loop: Header=BB1216_388 Depth=2
	s_or_b32 exec_lo, exec_lo, s15
	s_and_saveexec_b32 s15, s28
	s_cbranch_execnz .LBB1216_595
.LBB1216_531:                           ;   in Loop: Header=BB1216_388 Depth=2
	s_or_b32 exec_lo, exec_lo, s15
	s_and_saveexec_b32 s15, s29
	s_cbranch_execz .LBB1216_533
.LBB1216_532:                           ;   in Loop: Header=BB1216_388 Depth=2
	v_lshlrev_b32_e32 v58, 2, v149
	ds_load_b32 v60, v58
	ds_load_b64 v[58:59], v123 offset:31744
	s_wait_dscnt 0x1
	v_add_nc_u32_e32 v60, v60, v112
	s_wait_dscnt 0x0
	global_store_b64 v60, v[58:59], s[46:47] scale_offset
.LBB1216_533:                           ;   in Loop: Header=BB1216_388 Depth=2
	s_wait_xcnt 0x0
	s_or_b32 exec_lo, exec_lo, s15
	s_wait_storecnt 0x0
	s_barrier_signal -1
	s_barrier_wait -1
	s_and_saveexec_b32 s15, s0
	s_cbranch_execz .LBB1216_387
; %bb.534:                              ;   in Loop: Header=BB1216_388 Depth=2
	ds_load_b32 v58, v3
	s_wait_dscnt 0x0
	v_add_nc_u32_e32 v58, v58, v90
	ds_store_b32 v3, v58
	s_branch .LBB1216_387
.LBB1216_535:                           ;   in Loop: Header=BB1216_388 Depth=2
	ds_load_b64 v[58:59], v123 offset:1024
	s_wait_dscnt 0x0
	v_cmp_ne_u64_e64 s15, s[42:43], v[58:59]
	s_delay_alu instid0(VALU_DEP_1) | instskip(SKIP_2) | instid1(VALU_DEP_2)
	v_cndmask_b32_e64 v65, 0x80000000, v59, s15
	v_cndmask_b32_e64 v64, 0, v58, s15
	v_cmp_lt_i64_e64 s15, -1, v[58:59]
	v_lshrrev_b64 v[64:65], s54, v[64:65]
	v_ashrrev_i32_e32 v65, 31, v59
	s_delay_alu instid0(VALU_DEP_3) | instskip(NEXT) | instid1(VALU_DEP_2)
	v_cndmask_b32_e64 v66, 0x80000000, -1, s15
	v_not_b32_e32 v65, v65
	s_delay_alu instid0(VALU_DEP_4) | instskip(NEXT) | instid1(VALU_DEP_3)
	v_and_b32_e32 v64, s59, v64
	v_xor_b32_e32 v59, v66, v59
	s_delay_alu instid0(VALU_DEP_2)
	v_dual_lshlrev_b32 v64, 2, v64 :: v_dual_bitop2_b32 v58, v65, v58 bitop3:0x14
	ds_load_b32 v64, v64
	s_wait_dscnt 0x0
	v_add_nc_u32_e32 v64, v64, v2
	global_store_b64 v64, v[58:59], s[40:41] scale_offset
	s_wait_xcnt 0x0
	s_or_b32 exec_lo, exec_lo, s16
	v_cmp_lt_u32_e64 s15, v98, v165
	s_and_saveexec_b32 s17, s15
	s_cbranch_execz .LBB1216_468
.LBB1216_536:                           ;   in Loop: Header=BB1216_388 Depth=2
	ds_load_b64 v[58:59], v123 offset:3072
	s_wait_dscnt 0x0
	v_cmp_ne_u64_e64 s16, s[42:43], v[58:59]
	s_delay_alu instid0(VALU_DEP_1) | instskip(SKIP_2) | instid1(VALU_DEP_2)
	v_cndmask_b32_e64 v65, 0x80000000, v59, s16
	v_cndmask_b32_e64 v64, 0, v58, s16
	v_cmp_lt_i64_e64 s16, -1, v[58:59]
	v_lshrrev_b64 v[64:65], s54, v[64:65]
	v_ashrrev_i32_e32 v65, 31, v59
	s_delay_alu instid0(VALU_DEP_3) | instskip(NEXT) | instid1(VALU_DEP_2)
	v_cndmask_b32_e64 v66, 0x80000000, -1, s16
	v_not_b32_e32 v65, v65
	s_delay_alu instid0(VALU_DEP_4) | instskip(NEXT) | instid1(VALU_DEP_3)
	v_and_b32_e32 v64, s59, v64
	v_xor_b32_e32 v59, v66, v59
	s_delay_alu instid0(VALU_DEP_2)
	v_dual_lshlrev_b32 v64, 2, v64 :: v_dual_bitop2_b32 v58, v65, v58 bitop3:0x14
	ds_load_b32 v64, v64
	s_wait_dscnt 0x0
	v_add_nc_u32_e32 v64, v64, v98
	global_store_b64 v64, v[58:59], s[40:41] scale_offset
	s_wait_xcnt 0x0
	s_or_b32 exec_lo, exec_lo, s17
	v_cmp_lt_u32_e64 s16, v99, v165
	s_and_saveexec_b32 s18, s16
	s_cbranch_execz .LBB1216_469
.LBB1216_537:                           ;   in Loop: Header=BB1216_388 Depth=2
	ds_load_b64 v[58:59], v123 offset:5120
	s_wait_dscnt 0x0
	v_cmp_ne_u64_e64 s17, s[42:43], v[58:59]
	s_delay_alu instid0(VALU_DEP_1) | instskip(SKIP_2) | instid1(VALU_DEP_2)
	v_cndmask_b32_e64 v65, 0x80000000, v59, s17
	v_cndmask_b32_e64 v64, 0, v58, s17
	v_cmp_lt_i64_e64 s17, -1, v[58:59]
	v_lshrrev_b64 v[64:65], s54, v[64:65]
	v_ashrrev_i32_e32 v65, 31, v59
	s_delay_alu instid0(VALU_DEP_3) | instskip(NEXT) | instid1(VALU_DEP_2)
	v_cndmask_b32_e64 v66, 0x80000000, -1, s17
	v_not_b32_e32 v65, v65
	s_delay_alu instid0(VALU_DEP_4) | instskip(NEXT) | instid1(VALU_DEP_1)
	v_and_b32_e32 v64, s59, v64
	v_dual_lshlrev_b32 v64, 2, v64 :: v_dual_bitop2_b32 v59, v66, v59 bitop3:0x14
	ds_load_b32 v64, v64
	s_wait_dscnt 0x0
	v_dual_add_nc_u32 v64, v64, v99 :: v_dual_bitop2_b32 v58, v65, v58 bitop3:0x14
	global_store_b64 v64, v[58:59], s[40:41] scale_offset
	s_wait_xcnt 0x0
	s_or_b32 exec_lo, exec_lo, s18
	v_cmp_lt_u32_e64 s17, v100, v165
	s_and_saveexec_b32 s19, s17
	s_cbranch_execz .LBB1216_470
.LBB1216_538:                           ;   in Loop: Header=BB1216_388 Depth=2
	ds_load_b64 v[58:59], v123 offset:7168
	s_wait_dscnt 0x0
	v_cmp_ne_u64_e64 s18, s[42:43], v[58:59]
	s_delay_alu instid0(VALU_DEP_1) | instskip(SKIP_2) | instid1(VALU_DEP_2)
	v_cndmask_b32_e64 v65, 0x80000000, v59, s18
	v_cndmask_b32_e64 v64, 0, v58, s18
	v_cmp_lt_i64_e64 s18, -1, v[58:59]
	v_lshrrev_b64 v[64:65], s54, v[64:65]
	v_ashrrev_i32_e32 v65, 31, v59
	s_delay_alu instid0(VALU_DEP_3) | instskip(NEXT) | instid1(VALU_DEP_2)
	v_cndmask_b32_e64 v66, 0x80000000, -1, s18
	v_not_b32_e32 v65, v65
	s_delay_alu instid0(VALU_DEP_4) | instskip(NEXT) | instid1(VALU_DEP_1)
	v_and_b32_e32 v64, s59, v64
	v_dual_lshlrev_b32 v64, 2, v64 :: v_dual_bitop2_b32 v59, v66, v59 bitop3:0x14
	ds_load_b32 v64, v64
	s_wait_dscnt 0x0
	v_dual_add_nc_u32 v64, v64, v100 :: v_dual_bitop2_b32 v58, v65, v58 bitop3:0x14
	global_store_b64 v64, v[58:59], s[40:41] scale_offset
	s_wait_xcnt 0x0
	s_or_b32 exec_lo, exec_lo, s19
	v_cmp_lt_u32_e64 s18, v101, v165
	s_and_saveexec_b32 s20, s18
	s_cbranch_execz .LBB1216_471
.LBB1216_539:                           ;   in Loop: Header=BB1216_388 Depth=2
	ds_load_b64 v[58:59], v123 offset:9216
	s_wait_dscnt 0x0
	v_cmp_ne_u64_e64 s19, s[42:43], v[58:59]
	s_delay_alu instid0(VALU_DEP_1) | instskip(SKIP_2) | instid1(VALU_DEP_2)
	v_cndmask_b32_e64 v65, 0x80000000, v59, s19
	v_cndmask_b32_e64 v64, 0, v58, s19
	v_cmp_lt_i64_e64 s19, -1, v[58:59]
	v_lshrrev_b64 v[64:65], s54, v[64:65]
	v_ashrrev_i32_e32 v65, 31, v59
	s_delay_alu instid0(VALU_DEP_3) | instskip(NEXT) | instid1(VALU_DEP_2)
	v_cndmask_b32_e64 v66, 0x80000000, -1, s19
	v_not_b32_e32 v65, v65
	s_delay_alu instid0(VALU_DEP_4) | instskip(NEXT) | instid1(VALU_DEP_1)
	v_and_b32_e32 v64, s59, v64
	v_dual_lshlrev_b32 v64, 2, v64 :: v_dual_bitop2_b32 v59, v66, v59 bitop3:0x14
	ds_load_b32 v64, v64
	s_wait_dscnt 0x0
	v_dual_add_nc_u32 v64, v64, v101 :: v_dual_bitop2_b32 v58, v65, v58 bitop3:0x14
	global_store_b64 v64, v[58:59], s[40:41] scale_offset
	s_wait_xcnt 0x0
	s_or_b32 exec_lo, exec_lo, s20
	v_cmp_lt_u32_e64 s19, v102, v165
	s_and_saveexec_b32 s21, s19
	s_cbranch_execz .LBB1216_472
.LBB1216_540:                           ;   in Loop: Header=BB1216_388 Depth=2
	ds_load_b64 v[58:59], v123 offset:11264
	s_wait_dscnt 0x0
	v_cmp_ne_u64_e64 s20, s[42:43], v[58:59]
	s_delay_alu instid0(VALU_DEP_1) | instskip(SKIP_2) | instid1(VALU_DEP_2)
	v_cndmask_b32_e64 v65, 0x80000000, v59, s20
	v_cndmask_b32_e64 v64, 0, v58, s20
	v_cmp_lt_i64_e64 s20, -1, v[58:59]
	v_lshrrev_b64 v[64:65], s54, v[64:65]
	v_ashrrev_i32_e32 v65, 31, v59
	s_delay_alu instid0(VALU_DEP_3) | instskip(NEXT) | instid1(VALU_DEP_2)
	v_cndmask_b32_e64 v66, 0x80000000, -1, s20
	v_not_b32_e32 v65, v65
	s_delay_alu instid0(VALU_DEP_4) | instskip(NEXT) | instid1(VALU_DEP_3)
	v_and_b32_e32 v64, s59, v64
	v_xor_b32_e32 v59, v66, v59
	s_delay_alu instid0(VALU_DEP_2)
	v_dual_lshlrev_b32 v64, 2, v64 :: v_dual_bitop2_b32 v58, v65, v58 bitop3:0x14
	ds_load_b32 v64, v64
	s_wait_dscnt 0x0
	v_add_nc_u32_e32 v64, v64, v102
	global_store_b64 v64, v[58:59], s[40:41] scale_offset
	s_wait_xcnt 0x0
	s_or_b32 exec_lo, exec_lo, s21
	v_cmp_lt_u32_e64 s20, v103, v165
	s_and_saveexec_b32 s22, s20
	s_cbranch_execz .LBB1216_473
.LBB1216_541:                           ;   in Loop: Header=BB1216_388 Depth=2
	ds_load_b64 v[58:59], v123 offset:13312
	s_wait_dscnt 0x0
	v_cmp_ne_u64_e64 s21, s[42:43], v[58:59]
	s_delay_alu instid0(VALU_DEP_1) | instskip(SKIP_2) | instid1(VALU_DEP_2)
	v_cndmask_b32_e64 v65, 0x80000000, v59, s21
	v_cndmask_b32_e64 v64, 0, v58, s21
	v_cmp_lt_i64_e64 s21, -1, v[58:59]
	v_lshrrev_b64 v[64:65], s54, v[64:65]
	v_ashrrev_i32_e32 v65, 31, v59
	s_delay_alu instid0(VALU_DEP_3) | instskip(NEXT) | instid1(VALU_DEP_2)
	v_cndmask_b32_e64 v66, 0x80000000, -1, s21
	v_not_b32_e32 v65, v65
	s_delay_alu instid0(VALU_DEP_4) | instskip(NEXT) | instid1(VALU_DEP_1)
	v_and_b32_e32 v64, s59, v64
	v_dual_lshlrev_b32 v64, 2, v64 :: v_dual_bitop2_b32 v59, v66, v59 bitop3:0x14
	ds_load_b32 v64, v64
	s_wait_dscnt 0x0
	v_dual_add_nc_u32 v64, v64, v103 :: v_dual_bitop2_b32 v58, v65, v58 bitop3:0x14
	global_store_b64 v64, v[58:59], s[40:41] scale_offset
	s_wait_xcnt 0x0
	s_or_b32 exec_lo, exec_lo, s22
	v_cmp_lt_u32_e64 s21, v104, v165
	s_and_saveexec_b32 s23, s21
	s_cbranch_execz .LBB1216_474
.LBB1216_542:                           ;   in Loop: Header=BB1216_388 Depth=2
	ds_load_b64 v[58:59], v123 offset:15360
	s_wait_dscnt 0x0
	v_cmp_ne_u64_e64 s22, s[42:43], v[58:59]
	s_delay_alu instid0(VALU_DEP_1) | instskip(SKIP_2) | instid1(VALU_DEP_2)
	v_cndmask_b32_e64 v65, 0x80000000, v59, s22
	v_cndmask_b32_e64 v64, 0, v58, s22
	v_cmp_lt_i64_e64 s22, -1, v[58:59]
	v_lshrrev_b64 v[64:65], s54, v[64:65]
	v_ashrrev_i32_e32 v65, 31, v59
	s_delay_alu instid0(VALU_DEP_3) | instskip(NEXT) | instid1(VALU_DEP_2)
	v_cndmask_b32_e64 v66, 0x80000000, -1, s22
	v_not_b32_e32 v65, v65
	s_delay_alu instid0(VALU_DEP_4) | instskip(NEXT) | instid1(VALU_DEP_1)
	v_and_b32_e32 v64, s59, v64
	v_dual_lshlrev_b32 v64, 2, v64 :: v_dual_bitop2_b32 v59, v66, v59 bitop3:0x14
	ds_load_b32 v64, v64
	s_wait_dscnt 0x0
	v_dual_add_nc_u32 v64, v64, v104 :: v_dual_bitop2_b32 v58, v65, v58 bitop3:0x14
	global_store_b64 v64, v[58:59], s[40:41] scale_offset
	s_wait_xcnt 0x0
	s_or_b32 exec_lo, exec_lo, s23
	v_cmp_lt_u32_e64 s22, v105, v165
	s_and_saveexec_b32 s24, s22
	s_cbranch_execz .LBB1216_475
.LBB1216_543:                           ;   in Loop: Header=BB1216_388 Depth=2
	ds_load_b64 v[58:59], v123 offset:17408
	s_wait_dscnt 0x0
	v_cmp_ne_u64_e64 s23, s[42:43], v[58:59]
	s_delay_alu instid0(VALU_DEP_1) | instskip(SKIP_2) | instid1(VALU_DEP_2)
	v_cndmask_b32_e64 v65, 0x80000000, v59, s23
	v_cndmask_b32_e64 v64, 0, v58, s23
	v_cmp_lt_i64_e64 s23, -1, v[58:59]
	v_lshrrev_b64 v[64:65], s54, v[64:65]
	v_ashrrev_i32_e32 v65, 31, v59
	s_delay_alu instid0(VALU_DEP_3) | instskip(NEXT) | instid1(VALU_DEP_2)
	v_cndmask_b32_e64 v66, 0x80000000, -1, s23
	v_not_b32_e32 v65, v65
	s_delay_alu instid0(VALU_DEP_4) | instskip(NEXT) | instid1(VALU_DEP_1)
	v_and_b32_e32 v64, s59, v64
	v_dual_lshlrev_b32 v64, 2, v64 :: v_dual_bitop2_b32 v59, v66, v59 bitop3:0x14
	ds_load_b32 v64, v64
	s_wait_dscnt 0x0
	v_dual_add_nc_u32 v64, v64, v105 :: v_dual_bitop2_b32 v58, v65, v58 bitop3:0x14
	global_store_b64 v64, v[58:59], s[40:41] scale_offset
	s_wait_xcnt 0x0
	s_or_b32 exec_lo, exec_lo, s24
	v_cmp_lt_u32_e64 s23, v106, v165
	s_and_saveexec_b32 s25, s23
	s_cbranch_execz .LBB1216_476
.LBB1216_544:                           ;   in Loop: Header=BB1216_388 Depth=2
	ds_load_b64 v[58:59], v123 offset:19456
	s_wait_dscnt 0x0
	v_cmp_ne_u64_e64 s24, s[42:43], v[58:59]
	s_delay_alu instid0(VALU_DEP_1) | instskip(SKIP_2) | instid1(VALU_DEP_2)
	v_cndmask_b32_e64 v65, 0x80000000, v59, s24
	v_cndmask_b32_e64 v64, 0, v58, s24
	v_cmp_lt_i64_e64 s24, -1, v[58:59]
	v_lshrrev_b64 v[64:65], s54, v[64:65]
	v_ashrrev_i32_e32 v65, 31, v59
	s_delay_alu instid0(VALU_DEP_3) | instskip(NEXT) | instid1(VALU_DEP_2)
	v_cndmask_b32_e64 v66, 0x80000000, -1, s24
	v_not_b32_e32 v65, v65
	s_delay_alu instid0(VALU_DEP_4) | instskip(NEXT) | instid1(VALU_DEP_3)
	v_and_b32_e32 v64, s59, v64
	v_xor_b32_e32 v59, v66, v59
	s_delay_alu instid0(VALU_DEP_2)
	v_dual_lshlrev_b32 v64, 2, v64 :: v_dual_bitop2_b32 v58, v65, v58 bitop3:0x14
	ds_load_b32 v64, v64
	s_wait_dscnt 0x0
	v_add_nc_u32_e32 v64, v64, v106
	global_store_b64 v64, v[58:59], s[40:41] scale_offset
	s_wait_xcnt 0x0
	s_or_b32 exec_lo, exec_lo, s25
	v_cmp_lt_u32_e64 s24, v107, v165
	s_and_saveexec_b32 s26, s24
	s_cbranch_execz .LBB1216_477
.LBB1216_545:                           ;   in Loop: Header=BB1216_388 Depth=2
	ds_load_b64 v[58:59], v123 offset:21504
	s_wait_dscnt 0x0
	v_cmp_ne_u64_e64 s25, s[42:43], v[58:59]
	s_delay_alu instid0(VALU_DEP_1) | instskip(SKIP_2) | instid1(VALU_DEP_2)
	v_cndmask_b32_e64 v65, 0x80000000, v59, s25
	v_cndmask_b32_e64 v64, 0, v58, s25
	v_cmp_lt_i64_e64 s25, -1, v[58:59]
	v_lshrrev_b64 v[64:65], s54, v[64:65]
	v_ashrrev_i32_e32 v65, 31, v59
	s_delay_alu instid0(VALU_DEP_3) | instskip(NEXT) | instid1(VALU_DEP_2)
	v_cndmask_b32_e64 v66, 0x80000000, -1, s25
	v_not_b32_e32 v65, v65
	s_delay_alu instid0(VALU_DEP_4) | instskip(NEXT) | instid1(VALU_DEP_1)
	v_and_b32_e32 v64, s59, v64
	v_dual_lshlrev_b32 v64, 2, v64 :: v_dual_bitop2_b32 v59, v66, v59 bitop3:0x14
	ds_load_b32 v64, v64
	s_wait_dscnt 0x0
	v_dual_add_nc_u32 v64, v64, v107 :: v_dual_bitop2_b32 v58, v65, v58 bitop3:0x14
	global_store_b64 v64, v[58:59], s[40:41] scale_offset
	s_wait_xcnt 0x0
	s_or_b32 exec_lo, exec_lo, s26
	v_cmp_lt_u32_e64 s25, v108, v165
	s_and_saveexec_b32 s27, s25
	s_cbranch_execz .LBB1216_478
.LBB1216_546:                           ;   in Loop: Header=BB1216_388 Depth=2
	ds_load_b64 v[58:59], v123 offset:23552
	s_wait_dscnt 0x0
	v_cmp_ne_u64_e64 s26, s[42:43], v[58:59]
	s_delay_alu instid0(VALU_DEP_1) | instskip(SKIP_2) | instid1(VALU_DEP_2)
	v_cndmask_b32_e64 v65, 0x80000000, v59, s26
	v_cndmask_b32_e64 v64, 0, v58, s26
	v_cmp_lt_i64_e64 s26, -1, v[58:59]
	v_lshrrev_b64 v[64:65], s54, v[64:65]
	v_ashrrev_i32_e32 v65, 31, v59
	s_delay_alu instid0(VALU_DEP_3) | instskip(NEXT) | instid1(VALU_DEP_2)
	v_cndmask_b32_e64 v66, 0x80000000, -1, s26
	v_not_b32_e32 v65, v65
	s_delay_alu instid0(VALU_DEP_4) | instskip(NEXT) | instid1(VALU_DEP_1)
	v_and_b32_e32 v64, s59, v64
	v_dual_lshlrev_b32 v64, 2, v64 :: v_dual_bitop2_b32 v59, v66, v59 bitop3:0x14
	ds_load_b32 v64, v64
	s_wait_dscnt 0x0
	v_dual_add_nc_u32 v64, v64, v108 :: v_dual_bitop2_b32 v58, v65, v58 bitop3:0x14
	global_store_b64 v64, v[58:59], s[40:41] scale_offset
	s_wait_xcnt 0x0
	s_or_b32 exec_lo, exec_lo, s27
	v_cmp_lt_u32_e64 s26, v109, v165
	s_and_saveexec_b32 s28, s26
	s_cbranch_execz .LBB1216_479
.LBB1216_547:                           ;   in Loop: Header=BB1216_388 Depth=2
	ds_load_b64 v[58:59], v123 offset:25600
	s_wait_dscnt 0x0
	v_cmp_ne_u64_e64 s27, s[42:43], v[58:59]
	s_delay_alu instid0(VALU_DEP_1) | instskip(SKIP_2) | instid1(VALU_DEP_2)
	v_cndmask_b32_e64 v65, 0x80000000, v59, s27
	v_cndmask_b32_e64 v64, 0, v58, s27
	v_cmp_lt_i64_e64 s27, -1, v[58:59]
	v_lshrrev_b64 v[64:65], s54, v[64:65]
	v_ashrrev_i32_e32 v65, 31, v59
	s_delay_alu instid0(VALU_DEP_3) | instskip(NEXT) | instid1(VALU_DEP_2)
	v_cndmask_b32_e64 v66, 0x80000000, -1, s27
	v_not_b32_e32 v65, v65
	s_delay_alu instid0(VALU_DEP_4) | instskip(NEXT) | instid1(VALU_DEP_1)
	v_and_b32_e32 v64, s59, v64
	v_dual_lshlrev_b32 v64, 2, v64 :: v_dual_bitop2_b32 v59, v66, v59 bitop3:0x14
	ds_load_b32 v64, v64
	s_wait_dscnt 0x0
	v_dual_add_nc_u32 v64, v64, v109 :: v_dual_bitop2_b32 v58, v65, v58 bitop3:0x14
	global_store_b64 v64, v[58:59], s[40:41] scale_offset
	s_wait_xcnt 0x0
	s_or_b32 exec_lo, exec_lo, s28
	v_cmp_lt_u32_e64 s27, v110, v165
	s_and_saveexec_b32 s29, s27
	s_cbranch_execz .LBB1216_480
.LBB1216_548:                           ;   in Loop: Header=BB1216_388 Depth=2
	ds_load_b64 v[58:59], v123 offset:27648
	s_wait_dscnt 0x0
	v_cmp_ne_u64_e64 s28, s[42:43], v[58:59]
	s_delay_alu instid0(VALU_DEP_1) | instskip(SKIP_2) | instid1(VALU_DEP_2)
	v_cndmask_b32_e64 v65, 0x80000000, v59, s28
	v_cndmask_b32_e64 v64, 0, v58, s28
	v_cmp_lt_i64_e64 s28, -1, v[58:59]
	v_lshrrev_b64 v[64:65], s54, v[64:65]
	v_ashrrev_i32_e32 v65, 31, v59
	s_delay_alu instid0(VALU_DEP_3) | instskip(NEXT) | instid1(VALU_DEP_2)
	v_cndmask_b32_e64 v66, 0x80000000, -1, s28
	v_not_b32_e32 v65, v65
	s_delay_alu instid0(VALU_DEP_4) | instskip(NEXT) | instid1(VALU_DEP_3)
	v_and_b32_e32 v64, s59, v64
	v_xor_b32_e32 v59, v66, v59
	s_delay_alu instid0(VALU_DEP_2)
	v_dual_lshlrev_b32 v64, 2, v64 :: v_dual_bitop2_b32 v58, v65, v58 bitop3:0x14
	ds_load_b32 v64, v64
	s_wait_dscnt 0x0
	v_add_nc_u32_e32 v64, v64, v110
	global_store_b64 v64, v[58:59], s[40:41] scale_offset
	s_wait_xcnt 0x0
	s_or_b32 exec_lo, exec_lo, s29
	v_cmp_lt_u32_e64 s28, v111, v165
	s_and_saveexec_b32 s30, s28
	s_cbranch_execz .LBB1216_481
.LBB1216_549:                           ;   in Loop: Header=BB1216_388 Depth=2
	ds_load_b64 v[58:59], v123 offset:29696
	s_wait_dscnt 0x0
	v_cmp_ne_u64_e64 s29, s[42:43], v[58:59]
	s_delay_alu instid0(VALU_DEP_1) | instskip(SKIP_2) | instid1(VALU_DEP_2)
	v_cndmask_b32_e64 v65, 0x80000000, v59, s29
	v_cndmask_b32_e64 v64, 0, v58, s29
	v_cmp_lt_i64_e64 s29, -1, v[58:59]
	v_lshrrev_b64 v[64:65], s54, v[64:65]
	v_ashrrev_i32_e32 v65, 31, v59
	s_delay_alu instid0(VALU_DEP_3) | instskip(NEXT) | instid1(VALU_DEP_2)
	v_cndmask_b32_e64 v66, 0x80000000, -1, s29
	v_not_b32_e32 v65, v65
	s_delay_alu instid0(VALU_DEP_4) | instskip(NEXT) | instid1(VALU_DEP_1)
	v_and_b32_e32 v64, s59, v64
	v_dual_lshlrev_b32 v64, 2, v64 :: v_dual_bitop2_b32 v59, v66, v59 bitop3:0x14
	ds_load_b32 v64, v64
	s_wait_dscnt 0x0
	v_dual_add_nc_u32 v64, v64, v111 :: v_dual_bitop2_b32 v58, v65, v58 bitop3:0x14
	global_store_b64 v64, v[58:59], s[40:41] scale_offset
	s_wait_xcnt 0x0
	s_or_b32 exec_lo, exec_lo, s30
	v_cmp_lt_u32_e64 s29, v112, v165
	s_and_saveexec_b32 s62, s29
	s_cbranch_execnz .LBB1216_482
	s_branch .LBB1216_483
.LBB1216_550:                           ;   in Loop: Header=BB1216_388 Depth=2
	global_load_b64 v[56:57], v[58:59], off
	s_wait_xcnt 0x0
	s_or_b32 exec_lo, exec_lo, s30
	s_delay_alu instid0(SALU_CYCLE_1)
	s_mov_b32 s34, exec_lo
	v_cmpx_lt_u32_e64 v132, v165
	s_cbranch_execz .LBB1216_485
.LBB1216_551:                           ;   in Loop: Header=BB1216_388 Depth=2
	global_load_b64 v[54:55], v[58:59], off offset:256
	s_wait_xcnt 0x0
	s_or_b32 exec_lo, exec_lo, s34
	s_delay_alu instid0(SALU_CYCLE_1)
	s_mov_b32 s34, exec_lo
	v_cmpx_lt_u32_e64 v133, v165
	s_cbranch_execz .LBB1216_486
.LBB1216_552:                           ;   in Loop: Header=BB1216_388 Depth=2
	global_load_b64 v[52:53], v[58:59], off offset:512
	s_wait_xcnt 0x0
	s_or_b32 exec_lo, exec_lo, s34
	s_delay_alu instid0(SALU_CYCLE_1)
	s_mov_b32 s34, exec_lo
	v_cmpx_lt_u32_e64 v134, v165
	s_cbranch_execz .LBB1216_487
.LBB1216_553:                           ;   in Loop: Header=BB1216_388 Depth=2
	global_load_b64 v[50:51], v[58:59], off offset:768
	s_wait_xcnt 0x0
	s_or_b32 exec_lo, exec_lo, s34
	s_delay_alu instid0(SALU_CYCLE_1)
	s_mov_b32 s34, exec_lo
	v_cmpx_lt_u32_e64 v135, v165
	s_cbranch_execz .LBB1216_488
.LBB1216_554:                           ;   in Loop: Header=BB1216_388 Depth=2
	global_load_b64 v[48:49], v[58:59], off offset:1024
	s_wait_xcnt 0x0
	s_or_b32 exec_lo, exec_lo, s34
	s_delay_alu instid0(SALU_CYCLE_1)
	s_mov_b32 s34, exec_lo
	v_cmpx_lt_u32_e64 v136, v165
	s_cbranch_execz .LBB1216_489
.LBB1216_555:                           ;   in Loop: Header=BB1216_388 Depth=2
	global_load_b64 v[46:47], v[58:59], off offset:1280
	s_wait_xcnt 0x0
	s_or_b32 exec_lo, exec_lo, s34
	s_delay_alu instid0(SALU_CYCLE_1)
	s_mov_b32 s34, exec_lo
	v_cmpx_lt_u32_e64 v137, v165
	s_cbranch_execz .LBB1216_490
.LBB1216_556:                           ;   in Loop: Header=BB1216_388 Depth=2
	global_load_b64 v[44:45], v[58:59], off offset:1536
	s_wait_xcnt 0x0
	s_or_b32 exec_lo, exec_lo, s34
	s_delay_alu instid0(SALU_CYCLE_1)
	s_mov_b32 s34, exec_lo
	v_cmpx_lt_u32_e64 v138, v165
	s_cbranch_execz .LBB1216_491
.LBB1216_557:                           ;   in Loop: Header=BB1216_388 Depth=2
	global_load_b64 v[42:43], v[58:59], off offset:1792
	s_wait_xcnt 0x0
	s_or_b32 exec_lo, exec_lo, s34
	s_delay_alu instid0(SALU_CYCLE_1)
	s_mov_b32 s34, exec_lo
	v_cmpx_lt_u32_e64 v139, v165
	s_cbranch_execz .LBB1216_492
.LBB1216_558:                           ;   in Loop: Header=BB1216_388 Depth=2
	global_load_b64 v[40:41], v[58:59], off offset:2048
	s_wait_xcnt 0x0
	s_or_b32 exec_lo, exec_lo, s34
	s_delay_alu instid0(SALU_CYCLE_1)
	s_mov_b32 s34, exec_lo
	v_cmpx_lt_u32_e64 v140, v165
	s_cbranch_execz .LBB1216_493
.LBB1216_559:                           ;   in Loop: Header=BB1216_388 Depth=2
	global_load_b64 v[38:39], v[58:59], off offset:2304
	s_wait_xcnt 0x0
	s_or_b32 exec_lo, exec_lo, s34
	s_delay_alu instid0(SALU_CYCLE_1)
	s_mov_b32 s34, exec_lo
	v_cmpx_lt_u32_e64 v141, v165
	s_cbranch_execz .LBB1216_494
.LBB1216_560:                           ;   in Loop: Header=BB1216_388 Depth=2
	global_load_b64 v[36:37], v[58:59], off offset:2560
	s_wait_xcnt 0x0
	s_or_b32 exec_lo, exec_lo, s34
	s_delay_alu instid0(SALU_CYCLE_1)
	s_mov_b32 s34, exec_lo
	v_cmpx_lt_u32_e64 v142, v165
	s_cbranch_execz .LBB1216_495
.LBB1216_561:                           ;   in Loop: Header=BB1216_388 Depth=2
	global_load_b64 v[34:35], v[58:59], off offset:2816
	s_wait_xcnt 0x0
	s_or_b32 exec_lo, exec_lo, s34
	s_delay_alu instid0(SALU_CYCLE_1)
	s_mov_b32 s34, exec_lo
	v_cmpx_lt_u32_e64 v143, v165
	s_cbranch_execz .LBB1216_496
.LBB1216_562:                           ;   in Loop: Header=BB1216_388 Depth=2
	global_load_b64 v[32:33], v[58:59], off offset:3072
	s_wait_xcnt 0x0
	s_or_b32 exec_lo, exec_lo, s34
	s_delay_alu instid0(SALU_CYCLE_1)
	s_mov_b32 s34, exec_lo
	v_cmpx_lt_u32_e64 v144, v165
	s_cbranch_execz .LBB1216_497
.LBB1216_563:                           ;   in Loop: Header=BB1216_388 Depth=2
	global_load_b64 v[30:31], v[58:59], off offset:3328
	s_wait_xcnt 0x0
	s_or_b32 exec_lo, exec_lo, s34
	s_delay_alu instid0(SALU_CYCLE_1)
	s_mov_b32 s34, exec_lo
	v_cmpx_lt_u32_e64 v145, v165
	s_cbranch_execz .LBB1216_498
.LBB1216_564:                           ;   in Loop: Header=BB1216_388 Depth=2
	global_load_b64 v[28:29], v[58:59], off offset:3584
	s_wait_xcnt 0x0
	s_or_b32 exec_lo, exec_lo, s34
	s_delay_alu instid0(SALU_CYCLE_1)
	s_mov_b32 s34, exec_lo
	v_cmpx_lt_u32_e64 v146, v165
	s_cbranch_execz .LBB1216_499
.LBB1216_565:                           ;   in Loop: Header=BB1216_388 Depth=2
	global_load_b64 v[26:27], v[58:59], off offset:3840
	s_wait_xcnt 0x0
	s_or_b32 exec_lo, exec_lo, s34
	s_and_saveexec_b32 s34, vcc_lo
	s_cbranch_execz .LBB1216_500
.LBB1216_566:                           ;   in Loop: Header=BB1216_388 Depth=2
	ds_load_b64 v[58:59], v123 offset:1024
	s_wait_dscnt 0x0
	v_cmp_ne_u64_e64 s30, s[42:43], v[58:59]
	s_delay_alu instid0(VALU_DEP_1) | instskip(SKIP_1) | instid1(VALU_DEP_1)
	v_cndmask_b32_e64 v59, 0x80000000, v59, s30
	v_cndmask_b32_e64 v58, 0, v58, s30
	v_lshrrev_b64 v[58:59], s54, v[58:59]
	s_delay_alu instid0(VALU_DEP_1)
	v_and_b32_e32 v164, s59, v58
	s_or_b32 exec_lo, exec_lo, s34
	s_and_saveexec_b32 s34, s15
	s_cbranch_execz .LBB1216_501
.LBB1216_567:                           ;   in Loop: Header=BB1216_388 Depth=2
	ds_load_b64 v[58:59], v123 offset:3072
	s_wait_dscnt 0x0
	v_cmp_ne_u64_e64 s30, s[42:43], v[58:59]
	s_delay_alu instid0(VALU_DEP_1) | instskip(SKIP_1) | instid1(VALU_DEP_1)
	v_cndmask_b32_e64 v59, 0x80000000, v59, s30
	v_cndmask_b32_e64 v58, 0, v58, s30
	v_lshrrev_b64 v[58:59], s54, v[58:59]
	s_delay_alu instid0(VALU_DEP_1)
	v_and_b32_e32 v163, s59, v58
	s_or_b32 exec_lo, exec_lo, s34
	s_and_saveexec_b32 s34, s16
	s_cbranch_execz .LBB1216_502
.LBB1216_568:                           ;   in Loop: Header=BB1216_388 Depth=2
	ds_load_b64 v[58:59], v123 offset:5120
	s_wait_dscnt 0x0
	v_cmp_ne_u64_e64 s30, s[42:43], v[58:59]
	s_delay_alu instid0(VALU_DEP_1) | instskip(SKIP_1) | instid1(VALU_DEP_1)
	v_cndmask_b32_e64 v59, 0x80000000, v59, s30
	v_cndmask_b32_e64 v58, 0, v58, s30
	v_lshrrev_b64 v[58:59], s54, v[58:59]
	s_delay_alu instid0(VALU_DEP_1)
	v_and_b32_e32 v162, s59, v58
	s_or_b32 exec_lo, exec_lo, s34
	s_and_saveexec_b32 s34, s17
	s_cbranch_execz .LBB1216_503
.LBB1216_569:                           ;   in Loop: Header=BB1216_388 Depth=2
	ds_load_b64 v[58:59], v123 offset:7168
	s_wait_dscnt 0x0
	v_cmp_ne_u64_e64 s30, s[42:43], v[58:59]
	s_delay_alu instid0(VALU_DEP_1) | instskip(SKIP_1) | instid1(VALU_DEP_1)
	v_cndmask_b32_e64 v59, 0x80000000, v59, s30
	v_cndmask_b32_e64 v58, 0, v58, s30
	v_lshrrev_b64 v[58:59], s54, v[58:59]
	s_delay_alu instid0(VALU_DEP_1)
	v_and_b32_e32 v161, s59, v58
	s_or_b32 exec_lo, exec_lo, s34
	s_and_saveexec_b32 s34, s18
	s_cbranch_execz .LBB1216_504
.LBB1216_570:                           ;   in Loop: Header=BB1216_388 Depth=2
	ds_load_b64 v[58:59], v123 offset:9216
	s_wait_dscnt 0x0
	v_cmp_ne_u64_e64 s30, s[42:43], v[58:59]
	s_delay_alu instid0(VALU_DEP_1) | instskip(SKIP_1) | instid1(VALU_DEP_1)
	v_cndmask_b32_e64 v59, 0x80000000, v59, s30
	v_cndmask_b32_e64 v58, 0, v58, s30
	v_lshrrev_b64 v[58:59], s54, v[58:59]
	s_delay_alu instid0(VALU_DEP_1)
	v_and_b32_e32 v160, s59, v58
	s_or_b32 exec_lo, exec_lo, s34
	s_and_saveexec_b32 s34, s19
	s_cbranch_execz .LBB1216_505
.LBB1216_571:                           ;   in Loop: Header=BB1216_388 Depth=2
	ds_load_b64 v[58:59], v123 offset:11264
	s_wait_dscnt 0x0
	v_cmp_ne_u64_e64 s30, s[42:43], v[58:59]
	s_delay_alu instid0(VALU_DEP_1) | instskip(SKIP_1) | instid1(VALU_DEP_1)
	v_cndmask_b32_e64 v59, 0x80000000, v59, s30
	v_cndmask_b32_e64 v58, 0, v58, s30
	v_lshrrev_b64 v[58:59], s54, v[58:59]
	s_delay_alu instid0(VALU_DEP_1)
	v_and_b32_e32 v159, s59, v58
	s_or_b32 exec_lo, exec_lo, s34
	s_and_saveexec_b32 s34, s20
	s_cbranch_execz .LBB1216_506
.LBB1216_572:                           ;   in Loop: Header=BB1216_388 Depth=2
	ds_load_b64 v[58:59], v123 offset:13312
	s_wait_dscnt 0x0
	v_cmp_ne_u64_e64 s30, s[42:43], v[58:59]
	s_delay_alu instid0(VALU_DEP_1) | instskip(SKIP_1) | instid1(VALU_DEP_1)
	v_cndmask_b32_e64 v59, 0x80000000, v59, s30
	v_cndmask_b32_e64 v58, 0, v58, s30
	v_lshrrev_b64 v[58:59], s54, v[58:59]
	s_delay_alu instid0(VALU_DEP_1)
	v_and_b32_e32 v158, s59, v58
	s_or_b32 exec_lo, exec_lo, s34
	s_and_saveexec_b32 s34, s21
	s_cbranch_execz .LBB1216_507
.LBB1216_573:                           ;   in Loop: Header=BB1216_388 Depth=2
	ds_load_b64 v[58:59], v123 offset:15360
	s_wait_dscnt 0x0
	v_cmp_ne_u64_e64 s30, s[42:43], v[58:59]
	s_delay_alu instid0(VALU_DEP_1) | instskip(SKIP_1) | instid1(VALU_DEP_1)
	v_cndmask_b32_e64 v59, 0x80000000, v59, s30
	v_cndmask_b32_e64 v58, 0, v58, s30
	v_lshrrev_b64 v[58:59], s54, v[58:59]
	s_delay_alu instid0(VALU_DEP_1)
	v_and_b32_e32 v157, s59, v58
	s_or_b32 exec_lo, exec_lo, s34
	s_and_saveexec_b32 s34, s22
	s_cbranch_execz .LBB1216_508
.LBB1216_574:                           ;   in Loop: Header=BB1216_388 Depth=2
	ds_load_b64 v[58:59], v123 offset:17408
	s_wait_dscnt 0x0
	v_cmp_ne_u64_e64 s30, s[42:43], v[58:59]
	s_delay_alu instid0(VALU_DEP_1) | instskip(SKIP_1) | instid1(VALU_DEP_1)
	v_cndmask_b32_e64 v59, 0x80000000, v59, s30
	v_cndmask_b32_e64 v58, 0, v58, s30
	v_lshrrev_b64 v[58:59], s54, v[58:59]
	s_delay_alu instid0(VALU_DEP_1)
	v_and_b32_e32 v156, s59, v58
	s_or_b32 exec_lo, exec_lo, s34
	s_and_saveexec_b32 s34, s23
	s_cbranch_execz .LBB1216_509
.LBB1216_575:                           ;   in Loop: Header=BB1216_388 Depth=2
	ds_load_b64 v[58:59], v123 offset:19456
	s_wait_dscnt 0x0
	v_cmp_ne_u64_e64 s30, s[42:43], v[58:59]
	s_delay_alu instid0(VALU_DEP_1) | instskip(SKIP_1) | instid1(VALU_DEP_1)
	v_cndmask_b32_e64 v59, 0x80000000, v59, s30
	v_cndmask_b32_e64 v58, 0, v58, s30
	v_lshrrev_b64 v[58:59], s54, v[58:59]
	s_delay_alu instid0(VALU_DEP_1)
	v_and_b32_e32 v155, s59, v58
	s_or_b32 exec_lo, exec_lo, s34
	s_and_saveexec_b32 s34, s24
	s_cbranch_execz .LBB1216_510
.LBB1216_576:                           ;   in Loop: Header=BB1216_388 Depth=2
	ds_load_b64 v[58:59], v123 offset:21504
	s_wait_dscnt 0x0
	v_cmp_ne_u64_e64 s30, s[42:43], v[58:59]
	s_delay_alu instid0(VALU_DEP_1) | instskip(SKIP_1) | instid1(VALU_DEP_1)
	v_cndmask_b32_e64 v59, 0x80000000, v59, s30
	v_cndmask_b32_e64 v58, 0, v58, s30
	v_lshrrev_b64 v[58:59], s54, v[58:59]
	s_delay_alu instid0(VALU_DEP_1)
	v_and_b32_e32 v154, s59, v58
	s_or_b32 exec_lo, exec_lo, s34
	s_and_saveexec_b32 s34, s25
	s_cbranch_execz .LBB1216_511
.LBB1216_577:                           ;   in Loop: Header=BB1216_388 Depth=2
	ds_load_b64 v[58:59], v123 offset:23552
	s_wait_dscnt 0x0
	v_cmp_ne_u64_e64 s30, s[42:43], v[58:59]
	s_delay_alu instid0(VALU_DEP_1) | instskip(SKIP_1) | instid1(VALU_DEP_1)
	v_cndmask_b32_e64 v59, 0x80000000, v59, s30
	v_cndmask_b32_e64 v58, 0, v58, s30
	v_lshrrev_b64 v[58:59], s54, v[58:59]
	s_delay_alu instid0(VALU_DEP_1)
	v_and_b32_e32 v153, s59, v58
	s_or_b32 exec_lo, exec_lo, s34
	s_and_saveexec_b32 s34, s26
	s_cbranch_execz .LBB1216_512
.LBB1216_578:                           ;   in Loop: Header=BB1216_388 Depth=2
	ds_load_b64 v[58:59], v123 offset:25600
	s_wait_dscnt 0x0
	v_cmp_ne_u64_e64 s30, s[42:43], v[58:59]
	s_delay_alu instid0(VALU_DEP_1) | instskip(SKIP_1) | instid1(VALU_DEP_1)
	v_cndmask_b32_e64 v59, 0x80000000, v59, s30
	v_cndmask_b32_e64 v58, 0, v58, s30
	v_lshrrev_b64 v[58:59], s54, v[58:59]
	s_delay_alu instid0(VALU_DEP_1)
	v_and_b32_e32 v152, s59, v58
	s_or_b32 exec_lo, exec_lo, s34
	s_and_saveexec_b32 s34, s27
	s_cbranch_execz .LBB1216_513
.LBB1216_579:                           ;   in Loop: Header=BB1216_388 Depth=2
	ds_load_b64 v[58:59], v123 offset:27648
	s_wait_dscnt 0x0
	v_cmp_ne_u64_e64 s30, s[42:43], v[58:59]
	s_delay_alu instid0(VALU_DEP_1) | instskip(SKIP_1) | instid1(VALU_DEP_1)
	v_cndmask_b32_e64 v59, 0x80000000, v59, s30
	v_cndmask_b32_e64 v58, 0, v58, s30
	v_lshrrev_b64 v[58:59], s54, v[58:59]
	s_delay_alu instid0(VALU_DEP_1)
	v_and_b32_e32 v151, s59, v58
	s_or_b32 exec_lo, exec_lo, s34
	s_and_saveexec_b32 s34, s28
	s_cbranch_execz .LBB1216_514
.LBB1216_580:                           ;   in Loop: Header=BB1216_388 Depth=2
	ds_load_b64 v[58:59], v123 offset:29696
	s_wait_dscnt 0x0
	v_cmp_ne_u64_e64 s30, s[42:43], v[58:59]
	s_delay_alu instid0(VALU_DEP_1) | instskip(SKIP_1) | instid1(VALU_DEP_1)
	v_cndmask_b32_e64 v59, 0x80000000, v59, s30
	v_cndmask_b32_e64 v58, 0, v58, s30
	v_lshrrev_b64 v[58:59], s54, v[58:59]
	s_delay_alu instid0(VALU_DEP_1)
	v_and_b32_e32 v150, s59, v58
	s_or_b32 exec_lo, exec_lo, s34
	s_and_saveexec_b32 s34, s29
	s_cbranch_execnz .LBB1216_515
	s_branch .LBB1216_516
.LBB1216_581:                           ;   in Loop: Header=BB1216_388 Depth=2
	v_lshlrev_b32_e32 v58, 2, v164
	ds_load_b32 v60, v58
	ds_load_b64 v[58:59], v123 offset:1024
	s_wait_dscnt 0x1
	v_add_nc_u32_e32 v60, v60, v2
	s_wait_dscnt 0x0
	global_store_b64 v60, v[58:59], s[46:47] scale_offset
	s_wait_xcnt 0x0
	s_or_b32 exec_lo, exec_lo, s30
	s_and_saveexec_b32 s30, s15
	s_cbranch_execz .LBB1216_518
.LBB1216_582:                           ;   in Loop: Header=BB1216_388 Depth=2
	v_lshlrev_b32_e32 v58, 2, v163
	ds_load_b32 v60, v58
	ds_load_b64 v[58:59], v123 offset:3072
	s_wait_dscnt 0x1
	v_add_nc_u32_e32 v60, v60, v98
	s_wait_dscnt 0x0
	global_store_b64 v60, v[58:59], s[46:47] scale_offset
	s_wait_xcnt 0x0
	s_or_b32 exec_lo, exec_lo, s30
	s_and_saveexec_b32 s15, s16
	s_cbranch_execz .LBB1216_519
.LBB1216_583:                           ;   in Loop: Header=BB1216_388 Depth=2
	v_lshlrev_b32_e32 v58, 2, v162
	ds_load_b32 v60, v58
	ds_load_b64 v[58:59], v123 offset:5120
	s_wait_dscnt 0x1
	v_add_nc_u32_e32 v60, v60, v99
	s_wait_dscnt 0x0
	global_store_b64 v60, v[58:59], s[46:47] scale_offset
	s_wait_xcnt 0x0
	s_or_b32 exec_lo, exec_lo, s15
	s_and_saveexec_b32 s15, s17
	s_cbranch_execz .LBB1216_520
.LBB1216_584:                           ;   in Loop: Header=BB1216_388 Depth=2
	v_lshlrev_b32_e32 v58, 2, v161
	ds_load_b32 v60, v58
	ds_load_b64 v[58:59], v123 offset:7168
	s_wait_dscnt 0x1
	v_add_nc_u32_e32 v60, v60, v100
	s_wait_dscnt 0x0
	global_store_b64 v60, v[58:59], s[46:47] scale_offset
	s_wait_xcnt 0x0
	s_or_b32 exec_lo, exec_lo, s15
	s_and_saveexec_b32 s15, s18
	s_cbranch_execz .LBB1216_521
.LBB1216_585:                           ;   in Loop: Header=BB1216_388 Depth=2
	v_lshlrev_b32_e32 v58, 2, v160
	ds_load_b32 v60, v58
	ds_load_b64 v[58:59], v123 offset:9216
	s_wait_dscnt 0x1
	v_add_nc_u32_e32 v60, v60, v101
	s_wait_dscnt 0x0
	global_store_b64 v60, v[58:59], s[46:47] scale_offset
	s_wait_xcnt 0x0
	s_or_b32 exec_lo, exec_lo, s15
	s_and_saveexec_b32 s15, s19
	s_cbranch_execz .LBB1216_522
.LBB1216_586:                           ;   in Loop: Header=BB1216_388 Depth=2
	v_lshlrev_b32_e32 v58, 2, v159
	ds_load_b32 v60, v58
	ds_load_b64 v[58:59], v123 offset:11264
	s_wait_dscnt 0x1
	v_add_nc_u32_e32 v60, v60, v102
	s_wait_dscnt 0x0
	global_store_b64 v60, v[58:59], s[46:47] scale_offset
	s_wait_xcnt 0x0
	s_or_b32 exec_lo, exec_lo, s15
	s_and_saveexec_b32 s15, s20
	s_cbranch_execz .LBB1216_523
.LBB1216_587:                           ;   in Loop: Header=BB1216_388 Depth=2
	v_lshlrev_b32_e32 v58, 2, v158
	ds_load_b32 v60, v58
	ds_load_b64 v[58:59], v123 offset:13312
	s_wait_dscnt 0x1
	v_add_nc_u32_e32 v60, v60, v103
	s_wait_dscnt 0x0
	global_store_b64 v60, v[58:59], s[46:47] scale_offset
	s_wait_xcnt 0x0
	s_or_b32 exec_lo, exec_lo, s15
	s_and_saveexec_b32 s15, s21
	s_cbranch_execz .LBB1216_524
.LBB1216_588:                           ;   in Loop: Header=BB1216_388 Depth=2
	v_lshlrev_b32_e32 v58, 2, v157
	ds_load_b32 v60, v58
	ds_load_b64 v[58:59], v123 offset:15360
	s_wait_dscnt 0x1
	v_add_nc_u32_e32 v60, v60, v104
	s_wait_dscnt 0x0
	global_store_b64 v60, v[58:59], s[46:47] scale_offset
	s_wait_xcnt 0x0
	s_or_b32 exec_lo, exec_lo, s15
	s_and_saveexec_b32 s15, s22
	s_cbranch_execz .LBB1216_525
.LBB1216_589:                           ;   in Loop: Header=BB1216_388 Depth=2
	v_lshlrev_b32_e32 v58, 2, v156
	ds_load_b32 v60, v58
	ds_load_b64 v[58:59], v123 offset:17408
	s_wait_dscnt 0x1
	v_add_nc_u32_e32 v60, v60, v105
	s_wait_dscnt 0x0
	global_store_b64 v60, v[58:59], s[46:47] scale_offset
	s_wait_xcnt 0x0
	s_or_b32 exec_lo, exec_lo, s15
	s_and_saveexec_b32 s15, s23
	s_cbranch_execz .LBB1216_526
.LBB1216_590:                           ;   in Loop: Header=BB1216_388 Depth=2
	v_lshlrev_b32_e32 v58, 2, v155
	ds_load_b32 v60, v58
	ds_load_b64 v[58:59], v123 offset:19456
	s_wait_dscnt 0x1
	v_add_nc_u32_e32 v60, v60, v106
	s_wait_dscnt 0x0
	global_store_b64 v60, v[58:59], s[46:47] scale_offset
	s_wait_xcnt 0x0
	s_or_b32 exec_lo, exec_lo, s15
	s_and_saveexec_b32 s15, s24
	s_cbranch_execz .LBB1216_527
.LBB1216_591:                           ;   in Loop: Header=BB1216_388 Depth=2
	v_lshlrev_b32_e32 v58, 2, v154
	ds_load_b32 v60, v58
	ds_load_b64 v[58:59], v123 offset:21504
	s_wait_dscnt 0x1
	v_add_nc_u32_e32 v60, v60, v107
	s_wait_dscnt 0x0
	global_store_b64 v60, v[58:59], s[46:47] scale_offset
	s_wait_xcnt 0x0
	s_or_b32 exec_lo, exec_lo, s15
	s_and_saveexec_b32 s15, s25
	s_cbranch_execz .LBB1216_528
.LBB1216_592:                           ;   in Loop: Header=BB1216_388 Depth=2
	v_lshlrev_b32_e32 v58, 2, v153
	ds_load_b32 v60, v58
	ds_load_b64 v[58:59], v123 offset:23552
	s_wait_dscnt 0x1
	v_add_nc_u32_e32 v60, v60, v108
	s_wait_dscnt 0x0
	global_store_b64 v60, v[58:59], s[46:47] scale_offset
	s_wait_xcnt 0x0
	s_or_b32 exec_lo, exec_lo, s15
	s_and_saveexec_b32 s15, s26
	s_cbranch_execz .LBB1216_529
.LBB1216_593:                           ;   in Loop: Header=BB1216_388 Depth=2
	v_lshlrev_b32_e32 v58, 2, v152
	ds_load_b32 v60, v58
	ds_load_b64 v[58:59], v123 offset:25600
	s_wait_dscnt 0x1
	v_add_nc_u32_e32 v60, v60, v109
	s_wait_dscnt 0x0
	global_store_b64 v60, v[58:59], s[46:47] scale_offset
	s_wait_xcnt 0x0
	s_or_b32 exec_lo, exec_lo, s15
	s_and_saveexec_b32 s15, s27
	s_cbranch_execz .LBB1216_530
.LBB1216_594:                           ;   in Loop: Header=BB1216_388 Depth=2
	v_lshlrev_b32_e32 v58, 2, v151
	ds_load_b32 v60, v58
	ds_load_b64 v[58:59], v123 offset:27648
	s_wait_dscnt 0x1
	v_add_nc_u32_e32 v60, v60, v110
	s_wait_dscnt 0x0
	global_store_b64 v60, v[58:59], s[46:47] scale_offset
	s_wait_xcnt 0x0
	s_or_b32 exec_lo, exec_lo, s15
	s_and_saveexec_b32 s15, s28
	s_cbranch_execz .LBB1216_531
.LBB1216_595:                           ;   in Loop: Header=BB1216_388 Depth=2
	v_lshlrev_b32_e32 v58, 2, v150
	ds_load_b32 v60, v58
	ds_load_b64 v[58:59], v123 offset:29696
	s_wait_dscnt 0x1
	v_add_nc_u32_e32 v60, v60, v111
	s_wait_dscnt 0x0
	global_store_b64 v60, v[58:59], s[46:47] scale_offset
	s_wait_xcnt 0x0
	s_or_b32 exec_lo, exec_lo, s15
	s_and_saveexec_b32 s15, s29
	s_cbranch_execnz .LBB1216_532
	s_branch .LBB1216_533
.LBB1216_596:                           ;   in Loop: Header=BB1216_12 Depth=1
	s_wait_dscnt 0x0
	s_barrier_signal -1
	s_barrier_wait -1
.LBB1216_597:                           ;   in Loop: Header=BB1216_12 Depth=1
	s_mov_b32 s7, 0
.LBB1216_598:                           ;   in Loop: Header=BB1216_12 Depth=1
	s_delay_alu instid0(SALU_CYCLE_1)
	s_and_not1_b32 vcc_lo, exec_lo, s7
	s_cbranch_vccnz .LBB1216_11
; %bb.599:                              ;   in Loop: Header=BB1216_12 Depth=1
	s_lshl_b32 s7, -1, s55
	s_and_b32 vcc_lo, exec_lo, s57
	s_not_b32 s55, s7
	s_mov_b32 s7, -1
	s_cbranch_vccz .LBB1216_891
; %bb.600:                              ;   in Loop: Header=BB1216_12 Depth=1
	s_mov_b32 s7, s58
	s_mov_b32 s34, s56
	s_barrier_signal -1
	s_barrier_wait -1
                                        ; implicit-def: $vgpr22_vgpr23
                                        ; implicit-def: $vgpr24_vgpr25
                                        ; implicit-def: $vgpr26_vgpr27
                                        ; implicit-def: $vgpr28_vgpr29
                                        ; implicit-def: $vgpr30_vgpr31
                                        ; implicit-def: $vgpr32_vgpr33
                                        ; implicit-def: $vgpr34_vgpr35
                                        ; implicit-def: $vgpr36_vgpr37
                                        ; implicit-def: $vgpr38_vgpr39
                                        ; implicit-def: $vgpr40_vgpr41
                                        ; implicit-def: $vgpr42_vgpr43
                                        ; implicit-def: $vgpr44_vgpr45
                                        ; implicit-def: $vgpr46_vgpr47
                                        ; implicit-def: $vgpr48_vgpr49
                                        ; implicit-def: $vgpr50_vgpr51
                                        ; implicit-def: $vgpr52_vgpr53
	s_branch .LBB1216_602
.LBB1216_601:                           ;   in Loop: Header=BB1216_602 Depth=2
	s_or_b32 exec_lo, exec_lo, s8
	s_addk_co_i32 s7, 0xf000
	s_cmp_ge_u32 s10, s51
	s_mov_b32 s34, s10
	s_cbranch_scc1 .LBB1216_670
.LBB1216_602:                           ;   Parent Loop BB1216_12 Depth=1
                                        ; =>  This Inner Loop Header: Depth=2
	s_add_co_i32 s10, s34, 0x1000
	s_mov_b32 s8, -1
	s_cmp_gt_u32 s10, s51
                                        ; implicit-def: $vgpr54_vgpr55
                                        ; implicit-def: $vgpr56_vgpr57
                                        ; implicit-def: $vgpr58_vgpr59
                                        ; implicit-def: $vgpr60_vgpr61
                                        ; implicit-def: $vgpr62_vgpr63
                                        ; implicit-def: $vgpr64_vgpr65
                                        ; implicit-def: $vgpr66_vgpr67
                                        ; implicit-def: $vgpr68_vgpr69
                                        ; implicit-def: $vgpr70_vgpr71
                                        ; implicit-def: $vgpr72_vgpr73
                                        ; implicit-def: $vgpr74_vgpr75
                                        ; implicit-def: $vgpr76_vgpr77
                                        ; implicit-def: $vgpr78_vgpr79
                                        ; implicit-def: $vgpr80_vgpr81
                                        ; implicit-def: $vgpr82_vgpr83
                                        ; implicit-def: $vgpr84_vgpr85
	s_cbranch_scc1 .LBB1216_604
; %bb.603:                              ;   in Loop: Header=BB1216_602 Depth=2
	v_lshl_add_u64 v[84:85], s[34:35], 3, v[16:17]
	s_mov_b32 s8, 0
	s_clause 0xf
	global_load_b64 v[54:55], v[84:85], off
	global_load_b64 v[56:57], v[84:85], off offset:2048
	global_load_b64 v[58:59], v[84:85], off offset:4096
	;; [unrolled: 1-line block ×15, first 2 shown]
.LBB1216_604:                           ;   in Loop: Header=BB1216_602 Depth=2
	s_and_not1_b32 vcc_lo, exec_lo, s8
	s_movk_i32 s8, 0x1000
	s_cbranch_vccnz .LBB1216_623
; %bb.605:                              ;   in Loop: Header=BB1216_602 Depth=2
	s_lshl_b64 s[8:9], s[34:35], 3
	s_mov_b32 s11, exec_lo
	s_add_nc_u64 s[8:9], s[36:37], s[8:9]
	s_wait_xcnt 0x0
	v_cmpx_gt_u32_e64 s7, v2
	s_cbranch_execnz .LBB1216_655
; %bb.606:                              ;   in Loop: Header=BB1216_602 Depth=2
	s_or_b32 exec_lo, exec_lo, s11
	s_delay_alu instid0(SALU_CYCLE_1)
	s_mov_b32 s11, exec_lo
	v_cmpx_gt_u32_e64 s7, v98
	s_cbranch_execnz .LBB1216_656
.LBB1216_607:                           ;   in Loop: Header=BB1216_602 Depth=2
	s_or_b32 exec_lo, exec_lo, s11
	s_delay_alu instid0(SALU_CYCLE_1)
	s_mov_b32 s11, exec_lo
	v_cmpx_gt_u32_e64 s7, v99
	s_cbranch_execnz .LBB1216_657
.LBB1216_608:                           ;   in Loop: Header=BB1216_602 Depth=2
	s_or_b32 exec_lo, exec_lo, s11
	s_delay_alu instid0(SALU_CYCLE_1)
	s_mov_b32 s11, exec_lo
	v_cmpx_gt_u32_e64 s7, v100
	s_cbranch_execnz .LBB1216_658
.LBB1216_609:                           ;   in Loop: Header=BB1216_602 Depth=2
	s_or_b32 exec_lo, exec_lo, s11
	s_delay_alu instid0(SALU_CYCLE_1)
	s_mov_b32 s11, exec_lo
	v_cmpx_gt_u32_e64 s7, v101
	s_cbranch_execnz .LBB1216_659
.LBB1216_610:                           ;   in Loop: Header=BB1216_602 Depth=2
	s_or_b32 exec_lo, exec_lo, s11
	s_delay_alu instid0(SALU_CYCLE_1)
	s_mov_b32 s11, exec_lo
	v_cmpx_gt_u32_e64 s7, v102
	s_cbranch_execnz .LBB1216_660
.LBB1216_611:                           ;   in Loop: Header=BB1216_602 Depth=2
	s_or_b32 exec_lo, exec_lo, s11
	s_delay_alu instid0(SALU_CYCLE_1)
	s_mov_b32 s11, exec_lo
	v_cmpx_gt_u32_e64 s7, v103
	s_cbranch_execnz .LBB1216_661
.LBB1216_612:                           ;   in Loop: Header=BB1216_602 Depth=2
	s_or_b32 exec_lo, exec_lo, s11
	s_delay_alu instid0(SALU_CYCLE_1)
	s_mov_b32 s11, exec_lo
	v_cmpx_gt_u32_e64 s7, v104
	s_cbranch_execnz .LBB1216_662
.LBB1216_613:                           ;   in Loop: Header=BB1216_602 Depth=2
	s_or_b32 exec_lo, exec_lo, s11
	s_delay_alu instid0(SALU_CYCLE_1)
	s_mov_b32 s11, exec_lo
	v_cmpx_gt_u32_e64 s7, v105
	s_cbranch_execnz .LBB1216_663
.LBB1216_614:                           ;   in Loop: Header=BB1216_602 Depth=2
	s_or_b32 exec_lo, exec_lo, s11
	s_delay_alu instid0(SALU_CYCLE_1)
	s_mov_b32 s11, exec_lo
	v_cmpx_gt_u32_e64 s7, v106
	s_cbranch_execnz .LBB1216_664
.LBB1216_615:                           ;   in Loop: Header=BB1216_602 Depth=2
	s_or_b32 exec_lo, exec_lo, s11
	s_delay_alu instid0(SALU_CYCLE_1)
	s_mov_b32 s11, exec_lo
	v_cmpx_gt_u32_e64 s7, v107
	s_cbranch_execnz .LBB1216_665
.LBB1216_616:                           ;   in Loop: Header=BB1216_602 Depth=2
	s_or_b32 exec_lo, exec_lo, s11
	s_delay_alu instid0(SALU_CYCLE_1)
	s_mov_b32 s11, exec_lo
	v_cmpx_gt_u32_e64 s7, v108
	s_cbranch_execnz .LBB1216_666
.LBB1216_617:                           ;   in Loop: Header=BB1216_602 Depth=2
	s_or_b32 exec_lo, exec_lo, s11
	s_delay_alu instid0(SALU_CYCLE_1)
	s_mov_b32 s11, exec_lo
	v_cmpx_gt_u32_e64 s7, v109
	s_cbranch_execnz .LBB1216_667
.LBB1216_618:                           ;   in Loop: Header=BB1216_602 Depth=2
	s_or_b32 exec_lo, exec_lo, s11
	s_delay_alu instid0(SALU_CYCLE_1)
	s_mov_b32 s11, exec_lo
	v_cmpx_gt_u32_e64 s7, v110
	s_cbranch_execnz .LBB1216_668
.LBB1216_619:                           ;   in Loop: Header=BB1216_602 Depth=2
	s_or_b32 exec_lo, exec_lo, s11
	s_delay_alu instid0(SALU_CYCLE_1)
	s_mov_b32 s11, exec_lo
	v_cmpx_gt_u32_e64 s7, v111
	s_cbranch_execnz .LBB1216_669
.LBB1216_620:                           ;   in Loop: Header=BB1216_602 Depth=2
	s_or_b32 exec_lo, exec_lo, s11
	s_delay_alu instid0(SALU_CYCLE_1)
	s_mov_b32 s11, exec_lo
	v_cmpx_gt_u32_e64 s7, v112
	s_cbranch_execz .LBB1216_622
.LBB1216_621:                           ;   in Loop: Header=BB1216_602 Depth=2
	global_load_b64 v[22:23], v2, s[8:9] offset:30720 scale_offset
.LBB1216_622:                           ;   in Loop: Header=BB1216_602 Depth=2
	s_wait_xcnt 0x0
	s_or_b32 exec_lo, exec_lo, s11
	s_wait_loadcnt 0x0
	v_mov_b64_e32 v[54:55], v[52:53]
	v_mov_b64_e32 v[56:57], v[50:51]
	;; [unrolled: 1-line block ×16, first 2 shown]
	s_mov_b32 s8, s7
.LBB1216_623:                           ;   in Loop: Header=BB1216_602 Depth=2
	s_wait_loadcnt 0x0
	s_delay_alu instid0(VALU_DEP_1) | instskip(NEXT) | instid1(VALU_DEP_3)
	v_mov_b64_e32 v[22:23], v[84:85]
	v_mov_b64_e32 v[24:25], v[82:83]
	v_mov_b64_e32 v[26:27], v[80:81]
	v_mov_b64_e32 v[28:29], v[78:79]
	v_mov_b64_e32 v[30:31], v[76:77]
	v_mov_b64_e32 v[32:33], v[74:75]
	v_mov_b64_e32 v[34:35], v[72:73]
	v_mov_b64_e32 v[36:37], v[70:71]
	v_mov_b64_e32 v[38:39], v[68:69]
	v_mov_b64_e32 v[40:41], v[66:67]
	v_mov_b64_e32 v[42:43], v[64:65]
	v_mov_b64_e32 v[44:45], v[62:63]
	v_mov_b64_e32 v[46:47], v[60:61]
	v_mov_b64_e32 v[48:49], v[58:59]
	v_mov_b64_e32 v[50:51], v[56:57]
	v_mov_b64_e32 v[52:53], v[54:55]
	s_mov_b32 s9, exec_lo
	s_wait_xcnt 0x0
	v_cmpx_gt_u32_e64 s8, v2
	s_cbranch_execnz .LBB1216_639
; %bb.624:                              ;   in Loop: Header=BB1216_602 Depth=2
	s_or_b32 exec_lo, exec_lo, s9
	s_delay_alu instid0(SALU_CYCLE_1)
	s_mov_b32 s9, exec_lo
	v_cmpx_gt_u32_e64 s8, v98
	s_cbranch_execnz .LBB1216_640
.LBB1216_625:                           ;   in Loop: Header=BB1216_602 Depth=2
	s_or_b32 exec_lo, exec_lo, s9
	s_delay_alu instid0(SALU_CYCLE_1)
	s_mov_b32 s9, exec_lo
	v_cmpx_gt_u32_e64 s8, v99
	s_cbranch_execnz .LBB1216_641
.LBB1216_626:                           ;   in Loop: Header=BB1216_602 Depth=2
	s_or_b32 exec_lo, exec_lo, s9
	s_delay_alu instid0(SALU_CYCLE_1)
	s_mov_b32 s9, exec_lo
	v_cmpx_gt_u32_e64 s8, v100
	s_cbranch_execnz .LBB1216_642
.LBB1216_627:                           ;   in Loop: Header=BB1216_602 Depth=2
	s_or_b32 exec_lo, exec_lo, s9
	s_delay_alu instid0(SALU_CYCLE_1)
	s_mov_b32 s9, exec_lo
	v_cmpx_gt_u32_e64 s8, v101
	s_cbranch_execnz .LBB1216_643
.LBB1216_628:                           ;   in Loop: Header=BB1216_602 Depth=2
	s_or_b32 exec_lo, exec_lo, s9
	s_delay_alu instid0(SALU_CYCLE_1)
	s_mov_b32 s9, exec_lo
	v_cmpx_gt_u32_e64 s8, v102
	s_cbranch_execnz .LBB1216_644
.LBB1216_629:                           ;   in Loop: Header=BB1216_602 Depth=2
	s_or_b32 exec_lo, exec_lo, s9
	s_delay_alu instid0(SALU_CYCLE_1)
	s_mov_b32 s9, exec_lo
	v_cmpx_gt_u32_e64 s8, v103
	s_cbranch_execnz .LBB1216_645
.LBB1216_630:                           ;   in Loop: Header=BB1216_602 Depth=2
	s_or_b32 exec_lo, exec_lo, s9
	s_delay_alu instid0(SALU_CYCLE_1)
	s_mov_b32 s9, exec_lo
	v_cmpx_gt_u32_e64 s8, v104
	s_cbranch_execnz .LBB1216_646
.LBB1216_631:                           ;   in Loop: Header=BB1216_602 Depth=2
	s_or_b32 exec_lo, exec_lo, s9
	s_delay_alu instid0(SALU_CYCLE_1)
	s_mov_b32 s9, exec_lo
	v_cmpx_gt_u32_e64 s8, v105
	s_cbranch_execnz .LBB1216_647
.LBB1216_632:                           ;   in Loop: Header=BB1216_602 Depth=2
	s_or_b32 exec_lo, exec_lo, s9
	s_delay_alu instid0(SALU_CYCLE_1)
	s_mov_b32 s9, exec_lo
	v_cmpx_gt_u32_e64 s8, v106
	s_cbranch_execnz .LBB1216_648
.LBB1216_633:                           ;   in Loop: Header=BB1216_602 Depth=2
	s_or_b32 exec_lo, exec_lo, s9
	s_delay_alu instid0(SALU_CYCLE_1)
	s_mov_b32 s9, exec_lo
	v_cmpx_gt_u32_e64 s8, v107
	s_cbranch_execnz .LBB1216_649
.LBB1216_634:                           ;   in Loop: Header=BB1216_602 Depth=2
	s_or_b32 exec_lo, exec_lo, s9
	s_delay_alu instid0(SALU_CYCLE_1)
	s_mov_b32 s9, exec_lo
	v_cmpx_gt_u32_e64 s8, v108
	s_cbranch_execnz .LBB1216_650
.LBB1216_635:                           ;   in Loop: Header=BB1216_602 Depth=2
	s_or_b32 exec_lo, exec_lo, s9
	s_delay_alu instid0(SALU_CYCLE_1)
	s_mov_b32 s9, exec_lo
	v_cmpx_gt_u32_e64 s8, v109
	s_cbranch_execnz .LBB1216_651
.LBB1216_636:                           ;   in Loop: Header=BB1216_602 Depth=2
	s_or_b32 exec_lo, exec_lo, s9
	s_delay_alu instid0(SALU_CYCLE_1)
	s_mov_b32 s9, exec_lo
	v_cmpx_gt_u32_e64 s8, v110
	s_cbranch_execnz .LBB1216_652
.LBB1216_637:                           ;   in Loop: Header=BB1216_602 Depth=2
	s_or_b32 exec_lo, exec_lo, s9
	s_delay_alu instid0(SALU_CYCLE_1)
	s_mov_b32 s9, exec_lo
	v_cmpx_gt_u32_e64 s8, v111
	s_cbranch_execnz .LBB1216_653
.LBB1216_638:                           ;   in Loop: Header=BB1216_602 Depth=2
	s_or_b32 exec_lo, exec_lo, s9
	v_cmp_gt_u32_e32 vcc_lo, s8, v112
	s_and_saveexec_b32 s8, vcc_lo
	s_cbranch_execz .LBB1216_601
	s_branch .LBB1216_654
.LBB1216_639:                           ;   in Loop: Header=BB1216_602 Depth=2
	s_delay_alu instid0(VALU_DEP_2) | instskip(SKIP_1) | instid1(VALU_DEP_1)
	v_cmp_lt_i64_e32 vcc_lo, -1, v[52:53]
	v_cndmask_b32_e64 v54, -1, 0x80000000, vcc_lo
	v_dual_ashrrev_i32 v56, 31, v53 :: v_dual_bitop2_b32 v55, v54, v53 bitop3:0x14
	s_delay_alu instid0(VALU_DEP_1) | instskip(NEXT) | instid1(VALU_DEP_1)
	v_xor_b32_e32 v54, v56, v52
	v_cmp_ne_u64_e32 vcc_lo, s[42:43], v[54:55]
	v_cndmask_b32_e32 v55, 0x80000000, v55, vcc_lo
	v_cndmask_b32_e32 v54, 0, v54, vcc_lo
	s_delay_alu instid0(VALU_DEP_1) | instskip(NEXT) | instid1(VALU_DEP_1)
	v_lshrrev_b64 v[54:55], s48, v[54:55]
	v_and_b32_e32 v54, s55, v54
	s_delay_alu instid0(VALU_DEP_1) | instskip(SKIP_2) | instid1(SALU_CYCLE_1)
	v_lshl_or_b32 v54, v54, 4, v113
	ds_add_u32 v54, v125
	s_or_b32 exec_lo, exec_lo, s9
	s_mov_b32 s9, exec_lo
	v_cmpx_gt_u32_e64 s8, v98
	s_cbranch_execz .LBB1216_625
.LBB1216_640:                           ;   in Loop: Header=BB1216_602 Depth=2
	v_cmp_lt_i64_e32 vcc_lo, -1, v[50:51]
	v_cndmask_b32_e64 v54, -1, 0x80000000, vcc_lo
	s_delay_alu instid0(VALU_DEP_1) | instskip(NEXT) | instid1(VALU_DEP_1)
	v_dual_ashrrev_i32 v56, 31, v51 :: v_dual_bitop2_b32 v55, v54, v51 bitop3:0x14
	v_xor_b32_e32 v54, v56, v50
	s_delay_alu instid0(VALU_DEP_1) | instskip(SKIP_2) | instid1(VALU_DEP_1)
	v_cmp_ne_u64_e32 vcc_lo, s[42:43], v[54:55]
	v_cndmask_b32_e32 v55, 0x80000000, v55, vcc_lo
	v_cndmask_b32_e32 v54, 0, v54, vcc_lo
	v_lshrrev_b64 v[54:55], s48, v[54:55]
	s_delay_alu instid0(VALU_DEP_1) | instskip(NEXT) | instid1(VALU_DEP_1)
	v_and_b32_e32 v54, s55, v54
	v_lshl_or_b32 v54, v54, 4, v113
	ds_add_u32 v54, v125
	s_or_b32 exec_lo, exec_lo, s9
	s_delay_alu instid0(SALU_CYCLE_1)
	s_mov_b32 s9, exec_lo
	v_cmpx_gt_u32_e64 s8, v99
	s_cbranch_execz .LBB1216_626
.LBB1216_641:                           ;   in Loop: Header=BB1216_602 Depth=2
	v_cmp_lt_i64_e32 vcc_lo, -1, v[48:49]
	v_cndmask_b32_e64 v54, -1, 0x80000000, vcc_lo
	s_delay_alu instid0(VALU_DEP_1) | instskip(NEXT) | instid1(VALU_DEP_1)
	v_dual_ashrrev_i32 v56, 31, v49 :: v_dual_bitop2_b32 v55, v54, v49 bitop3:0x14
	v_xor_b32_e32 v54, v56, v48
	s_delay_alu instid0(VALU_DEP_1) | instskip(SKIP_2) | instid1(VALU_DEP_1)
	v_cmp_ne_u64_e32 vcc_lo, s[42:43], v[54:55]
	v_cndmask_b32_e32 v55, 0x80000000, v55, vcc_lo
	v_cndmask_b32_e32 v54, 0, v54, vcc_lo
	v_lshrrev_b64 v[54:55], s48, v[54:55]
	s_delay_alu instid0(VALU_DEP_1) | instskip(NEXT) | instid1(VALU_DEP_1)
	v_and_b32_e32 v54, s55, v54
	v_lshl_or_b32 v54, v54, 4, v113
	ds_add_u32 v54, v125
	s_or_b32 exec_lo, exec_lo, s9
	s_delay_alu instid0(SALU_CYCLE_1)
	s_mov_b32 s9, exec_lo
	v_cmpx_gt_u32_e64 s8, v100
	s_cbranch_execz .LBB1216_627
.LBB1216_642:                           ;   in Loop: Header=BB1216_602 Depth=2
	v_cmp_lt_i64_e32 vcc_lo, -1, v[46:47]
	v_cndmask_b32_e64 v54, -1, 0x80000000, vcc_lo
	s_delay_alu instid0(VALU_DEP_1) | instskip(NEXT) | instid1(VALU_DEP_1)
	v_dual_ashrrev_i32 v56, 31, v47 :: v_dual_bitop2_b32 v55, v54, v47 bitop3:0x14
	v_xor_b32_e32 v54, v56, v46
	s_delay_alu instid0(VALU_DEP_1) | instskip(SKIP_2) | instid1(VALU_DEP_1)
	v_cmp_ne_u64_e32 vcc_lo, s[42:43], v[54:55]
	v_cndmask_b32_e32 v55, 0x80000000, v55, vcc_lo
	v_cndmask_b32_e32 v54, 0, v54, vcc_lo
	v_lshrrev_b64 v[54:55], s48, v[54:55]
	s_delay_alu instid0(VALU_DEP_1) | instskip(NEXT) | instid1(VALU_DEP_1)
	v_and_b32_e32 v54, s55, v54
	v_lshl_or_b32 v54, v54, 4, v113
	ds_add_u32 v54, v125
	s_or_b32 exec_lo, exec_lo, s9
	s_delay_alu instid0(SALU_CYCLE_1)
	s_mov_b32 s9, exec_lo
	v_cmpx_gt_u32_e64 s8, v101
	s_cbranch_execz .LBB1216_628
.LBB1216_643:                           ;   in Loop: Header=BB1216_602 Depth=2
	v_cmp_lt_i64_e32 vcc_lo, -1, v[44:45]
	v_cndmask_b32_e64 v54, -1, 0x80000000, vcc_lo
	s_delay_alu instid0(VALU_DEP_1) | instskip(NEXT) | instid1(VALU_DEP_1)
	v_dual_ashrrev_i32 v56, 31, v45 :: v_dual_bitop2_b32 v55, v54, v45 bitop3:0x14
	v_xor_b32_e32 v54, v56, v44
	s_delay_alu instid0(VALU_DEP_1) | instskip(SKIP_2) | instid1(VALU_DEP_1)
	v_cmp_ne_u64_e32 vcc_lo, s[42:43], v[54:55]
	v_cndmask_b32_e32 v55, 0x80000000, v55, vcc_lo
	v_cndmask_b32_e32 v54, 0, v54, vcc_lo
	v_lshrrev_b64 v[54:55], s48, v[54:55]
	s_delay_alu instid0(VALU_DEP_1) | instskip(NEXT) | instid1(VALU_DEP_1)
	v_and_b32_e32 v54, s55, v54
	v_lshl_or_b32 v54, v54, 4, v113
	ds_add_u32 v54, v125
	s_or_b32 exec_lo, exec_lo, s9
	s_delay_alu instid0(SALU_CYCLE_1)
	s_mov_b32 s9, exec_lo
	v_cmpx_gt_u32_e64 s8, v102
	s_cbranch_execz .LBB1216_629
.LBB1216_644:                           ;   in Loop: Header=BB1216_602 Depth=2
	v_cmp_lt_i64_e32 vcc_lo, -1, v[42:43]
	v_cndmask_b32_e64 v54, -1, 0x80000000, vcc_lo
	s_delay_alu instid0(VALU_DEP_1) | instskip(NEXT) | instid1(VALU_DEP_1)
	v_dual_ashrrev_i32 v56, 31, v43 :: v_dual_bitop2_b32 v55, v54, v43 bitop3:0x14
	v_xor_b32_e32 v54, v56, v42
	s_delay_alu instid0(VALU_DEP_1) | instskip(SKIP_2) | instid1(VALU_DEP_1)
	v_cmp_ne_u64_e32 vcc_lo, s[42:43], v[54:55]
	v_cndmask_b32_e32 v55, 0x80000000, v55, vcc_lo
	v_cndmask_b32_e32 v54, 0, v54, vcc_lo
	v_lshrrev_b64 v[54:55], s48, v[54:55]
	s_delay_alu instid0(VALU_DEP_1) | instskip(NEXT) | instid1(VALU_DEP_1)
	v_and_b32_e32 v54, s55, v54
	v_lshl_or_b32 v54, v54, 4, v113
	ds_add_u32 v54, v125
	s_or_b32 exec_lo, exec_lo, s9
	s_delay_alu instid0(SALU_CYCLE_1)
	s_mov_b32 s9, exec_lo
	v_cmpx_gt_u32_e64 s8, v103
	s_cbranch_execz .LBB1216_630
.LBB1216_645:                           ;   in Loop: Header=BB1216_602 Depth=2
	v_cmp_lt_i64_e32 vcc_lo, -1, v[40:41]
	v_cndmask_b32_e64 v54, -1, 0x80000000, vcc_lo
	s_delay_alu instid0(VALU_DEP_1) | instskip(NEXT) | instid1(VALU_DEP_1)
	v_dual_ashrrev_i32 v56, 31, v41 :: v_dual_bitop2_b32 v55, v54, v41 bitop3:0x14
	v_xor_b32_e32 v54, v56, v40
	s_delay_alu instid0(VALU_DEP_1) | instskip(SKIP_2) | instid1(VALU_DEP_1)
	v_cmp_ne_u64_e32 vcc_lo, s[42:43], v[54:55]
	v_cndmask_b32_e32 v55, 0x80000000, v55, vcc_lo
	v_cndmask_b32_e32 v54, 0, v54, vcc_lo
	v_lshrrev_b64 v[54:55], s48, v[54:55]
	s_delay_alu instid0(VALU_DEP_1) | instskip(NEXT) | instid1(VALU_DEP_1)
	v_and_b32_e32 v54, s55, v54
	v_lshl_or_b32 v54, v54, 4, v113
	ds_add_u32 v54, v125
	s_or_b32 exec_lo, exec_lo, s9
	s_delay_alu instid0(SALU_CYCLE_1)
	s_mov_b32 s9, exec_lo
	v_cmpx_gt_u32_e64 s8, v104
	s_cbranch_execz .LBB1216_631
.LBB1216_646:                           ;   in Loop: Header=BB1216_602 Depth=2
	v_cmp_lt_i64_e32 vcc_lo, -1, v[38:39]
	v_cndmask_b32_e64 v54, -1, 0x80000000, vcc_lo
	s_delay_alu instid0(VALU_DEP_1) | instskip(NEXT) | instid1(VALU_DEP_1)
	v_dual_ashrrev_i32 v56, 31, v39 :: v_dual_bitop2_b32 v55, v54, v39 bitop3:0x14
	v_xor_b32_e32 v54, v56, v38
	s_delay_alu instid0(VALU_DEP_1) | instskip(SKIP_2) | instid1(VALU_DEP_1)
	v_cmp_ne_u64_e32 vcc_lo, s[42:43], v[54:55]
	v_cndmask_b32_e32 v55, 0x80000000, v55, vcc_lo
	v_cndmask_b32_e32 v54, 0, v54, vcc_lo
	v_lshrrev_b64 v[54:55], s48, v[54:55]
	s_delay_alu instid0(VALU_DEP_1) | instskip(NEXT) | instid1(VALU_DEP_1)
	v_and_b32_e32 v54, s55, v54
	v_lshl_or_b32 v54, v54, 4, v113
	ds_add_u32 v54, v125
	s_or_b32 exec_lo, exec_lo, s9
	s_delay_alu instid0(SALU_CYCLE_1)
	s_mov_b32 s9, exec_lo
	v_cmpx_gt_u32_e64 s8, v105
	s_cbranch_execz .LBB1216_632
.LBB1216_647:                           ;   in Loop: Header=BB1216_602 Depth=2
	v_cmp_lt_i64_e32 vcc_lo, -1, v[36:37]
	v_cndmask_b32_e64 v54, -1, 0x80000000, vcc_lo
	s_delay_alu instid0(VALU_DEP_1) | instskip(NEXT) | instid1(VALU_DEP_1)
	v_dual_ashrrev_i32 v56, 31, v37 :: v_dual_bitop2_b32 v55, v54, v37 bitop3:0x14
	v_xor_b32_e32 v54, v56, v36
	s_delay_alu instid0(VALU_DEP_1) | instskip(SKIP_2) | instid1(VALU_DEP_1)
	v_cmp_ne_u64_e32 vcc_lo, s[42:43], v[54:55]
	v_cndmask_b32_e32 v55, 0x80000000, v55, vcc_lo
	v_cndmask_b32_e32 v54, 0, v54, vcc_lo
	v_lshrrev_b64 v[54:55], s48, v[54:55]
	s_delay_alu instid0(VALU_DEP_1) | instskip(NEXT) | instid1(VALU_DEP_1)
	v_and_b32_e32 v54, s55, v54
	v_lshl_or_b32 v54, v54, 4, v113
	ds_add_u32 v54, v125
	s_or_b32 exec_lo, exec_lo, s9
	s_delay_alu instid0(SALU_CYCLE_1)
	s_mov_b32 s9, exec_lo
	v_cmpx_gt_u32_e64 s8, v106
	s_cbranch_execz .LBB1216_633
.LBB1216_648:                           ;   in Loop: Header=BB1216_602 Depth=2
	v_cmp_lt_i64_e32 vcc_lo, -1, v[34:35]
	v_cndmask_b32_e64 v54, -1, 0x80000000, vcc_lo
	s_delay_alu instid0(VALU_DEP_1) | instskip(NEXT) | instid1(VALU_DEP_1)
	v_dual_ashrrev_i32 v56, 31, v35 :: v_dual_bitop2_b32 v55, v54, v35 bitop3:0x14
	v_xor_b32_e32 v54, v56, v34
	s_delay_alu instid0(VALU_DEP_1) | instskip(SKIP_2) | instid1(VALU_DEP_1)
	v_cmp_ne_u64_e32 vcc_lo, s[42:43], v[54:55]
	v_cndmask_b32_e32 v55, 0x80000000, v55, vcc_lo
	v_cndmask_b32_e32 v54, 0, v54, vcc_lo
	v_lshrrev_b64 v[54:55], s48, v[54:55]
	s_delay_alu instid0(VALU_DEP_1) | instskip(NEXT) | instid1(VALU_DEP_1)
	v_and_b32_e32 v54, s55, v54
	v_lshl_or_b32 v54, v54, 4, v113
	ds_add_u32 v54, v125
	s_or_b32 exec_lo, exec_lo, s9
	s_delay_alu instid0(SALU_CYCLE_1)
	s_mov_b32 s9, exec_lo
	v_cmpx_gt_u32_e64 s8, v107
	s_cbranch_execz .LBB1216_634
.LBB1216_649:                           ;   in Loop: Header=BB1216_602 Depth=2
	v_cmp_lt_i64_e32 vcc_lo, -1, v[32:33]
	v_cndmask_b32_e64 v54, -1, 0x80000000, vcc_lo
	s_delay_alu instid0(VALU_DEP_1) | instskip(NEXT) | instid1(VALU_DEP_1)
	v_dual_ashrrev_i32 v56, 31, v33 :: v_dual_bitop2_b32 v55, v54, v33 bitop3:0x14
	v_xor_b32_e32 v54, v56, v32
	s_delay_alu instid0(VALU_DEP_1) | instskip(SKIP_2) | instid1(VALU_DEP_1)
	v_cmp_ne_u64_e32 vcc_lo, s[42:43], v[54:55]
	v_cndmask_b32_e32 v55, 0x80000000, v55, vcc_lo
	v_cndmask_b32_e32 v54, 0, v54, vcc_lo
	v_lshrrev_b64 v[54:55], s48, v[54:55]
	s_delay_alu instid0(VALU_DEP_1) | instskip(NEXT) | instid1(VALU_DEP_1)
	v_and_b32_e32 v54, s55, v54
	v_lshl_or_b32 v54, v54, 4, v113
	ds_add_u32 v54, v125
	s_or_b32 exec_lo, exec_lo, s9
	s_delay_alu instid0(SALU_CYCLE_1)
	s_mov_b32 s9, exec_lo
	v_cmpx_gt_u32_e64 s8, v108
	s_cbranch_execz .LBB1216_635
.LBB1216_650:                           ;   in Loop: Header=BB1216_602 Depth=2
	v_cmp_lt_i64_e32 vcc_lo, -1, v[30:31]
	v_cndmask_b32_e64 v54, -1, 0x80000000, vcc_lo
	s_delay_alu instid0(VALU_DEP_1) | instskip(NEXT) | instid1(VALU_DEP_1)
	v_dual_ashrrev_i32 v56, 31, v31 :: v_dual_bitop2_b32 v55, v54, v31 bitop3:0x14
	v_xor_b32_e32 v54, v56, v30
	s_delay_alu instid0(VALU_DEP_1) | instskip(SKIP_2) | instid1(VALU_DEP_1)
	v_cmp_ne_u64_e32 vcc_lo, s[42:43], v[54:55]
	v_cndmask_b32_e32 v55, 0x80000000, v55, vcc_lo
	v_cndmask_b32_e32 v54, 0, v54, vcc_lo
	v_lshrrev_b64 v[54:55], s48, v[54:55]
	s_delay_alu instid0(VALU_DEP_1) | instskip(NEXT) | instid1(VALU_DEP_1)
	v_and_b32_e32 v54, s55, v54
	v_lshl_or_b32 v54, v54, 4, v113
	ds_add_u32 v54, v125
	s_or_b32 exec_lo, exec_lo, s9
	s_delay_alu instid0(SALU_CYCLE_1)
	s_mov_b32 s9, exec_lo
	v_cmpx_gt_u32_e64 s8, v109
	s_cbranch_execz .LBB1216_636
.LBB1216_651:                           ;   in Loop: Header=BB1216_602 Depth=2
	v_cmp_lt_i64_e32 vcc_lo, -1, v[28:29]
	v_cndmask_b32_e64 v54, -1, 0x80000000, vcc_lo
	s_delay_alu instid0(VALU_DEP_1) | instskip(NEXT) | instid1(VALU_DEP_1)
	v_dual_ashrrev_i32 v56, 31, v29 :: v_dual_bitop2_b32 v55, v54, v29 bitop3:0x14
	v_xor_b32_e32 v54, v56, v28
	s_delay_alu instid0(VALU_DEP_1) | instskip(SKIP_2) | instid1(VALU_DEP_1)
	v_cmp_ne_u64_e32 vcc_lo, s[42:43], v[54:55]
	v_cndmask_b32_e32 v55, 0x80000000, v55, vcc_lo
	v_cndmask_b32_e32 v54, 0, v54, vcc_lo
	v_lshrrev_b64 v[54:55], s48, v[54:55]
	s_delay_alu instid0(VALU_DEP_1) | instskip(NEXT) | instid1(VALU_DEP_1)
	v_and_b32_e32 v54, s55, v54
	v_lshl_or_b32 v54, v54, 4, v113
	ds_add_u32 v54, v125
	s_or_b32 exec_lo, exec_lo, s9
	s_delay_alu instid0(SALU_CYCLE_1)
	s_mov_b32 s9, exec_lo
	v_cmpx_gt_u32_e64 s8, v110
	s_cbranch_execz .LBB1216_637
.LBB1216_652:                           ;   in Loop: Header=BB1216_602 Depth=2
	v_cmp_lt_i64_e32 vcc_lo, -1, v[26:27]
	v_cndmask_b32_e64 v54, -1, 0x80000000, vcc_lo
	s_delay_alu instid0(VALU_DEP_1) | instskip(NEXT) | instid1(VALU_DEP_1)
	v_dual_ashrrev_i32 v56, 31, v27 :: v_dual_bitop2_b32 v55, v54, v27 bitop3:0x14
	v_xor_b32_e32 v54, v56, v26
	s_delay_alu instid0(VALU_DEP_1) | instskip(SKIP_2) | instid1(VALU_DEP_1)
	v_cmp_ne_u64_e32 vcc_lo, s[42:43], v[54:55]
	v_cndmask_b32_e32 v55, 0x80000000, v55, vcc_lo
	v_cndmask_b32_e32 v54, 0, v54, vcc_lo
	v_lshrrev_b64 v[54:55], s48, v[54:55]
	s_delay_alu instid0(VALU_DEP_1) | instskip(NEXT) | instid1(VALU_DEP_1)
	v_and_b32_e32 v54, s55, v54
	v_lshl_or_b32 v54, v54, 4, v113
	ds_add_u32 v54, v125
	s_or_b32 exec_lo, exec_lo, s9
	s_delay_alu instid0(SALU_CYCLE_1)
	s_mov_b32 s9, exec_lo
	v_cmpx_gt_u32_e64 s8, v111
	s_cbranch_execz .LBB1216_638
.LBB1216_653:                           ;   in Loop: Header=BB1216_602 Depth=2
	v_cmp_lt_i64_e32 vcc_lo, -1, v[24:25]
	v_cndmask_b32_e64 v54, -1, 0x80000000, vcc_lo
	s_delay_alu instid0(VALU_DEP_1) | instskip(NEXT) | instid1(VALU_DEP_1)
	v_dual_ashrrev_i32 v56, 31, v25 :: v_dual_bitop2_b32 v55, v54, v25 bitop3:0x14
	v_xor_b32_e32 v54, v56, v24
	s_delay_alu instid0(VALU_DEP_1) | instskip(SKIP_2) | instid1(VALU_DEP_1)
	v_cmp_ne_u64_e32 vcc_lo, s[42:43], v[54:55]
	v_cndmask_b32_e32 v55, 0x80000000, v55, vcc_lo
	v_cndmask_b32_e32 v54, 0, v54, vcc_lo
	v_lshrrev_b64 v[54:55], s48, v[54:55]
	s_delay_alu instid0(VALU_DEP_1) | instskip(NEXT) | instid1(VALU_DEP_1)
	v_and_b32_e32 v54, s55, v54
	v_lshl_or_b32 v54, v54, 4, v113
	ds_add_u32 v54, v125
	s_or_b32 exec_lo, exec_lo, s9
	v_cmp_gt_u32_e32 vcc_lo, s8, v112
	s_and_saveexec_b32 s8, vcc_lo
	s_cbranch_execz .LBB1216_601
.LBB1216_654:                           ;   in Loop: Header=BB1216_602 Depth=2
	v_cmp_lt_i64_e32 vcc_lo, -1, v[22:23]
	v_cndmask_b32_e64 v54, -1, 0x80000000, vcc_lo
	s_delay_alu instid0(VALU_DEP_1) | instskip(NEXT) | instid1(VALU_DEP_1)
	v_dual_ashrrev_i32 v56, 31, v23 :: v_dual_bitop2_b32 v55, v54, v23 bitop3:0x14
	v_xor_b32_e32 v54, v56, v22
	s_delay_alu instid0(VALU_DEP_1) | instskip(SKIP_2) | instid1(VALU_DEP_1)
	v_cmp_ne_u64_e32 vcc_lo, s[42:43], v[54:55]
	v_cndmask_b32_e32 v55, 0x80000000, v55, vcc_lo
	v_cndmask_b32_e32 v54, 0, v54, vcc_lo
	v_lshrrev_b64 v[54:55], s48, v[54:55]
	s_delay_alu instid0(VALU_DEP_1) | instskip(NEXT) | instid1(VALU_DEP_1)
	v_and_b32_e32 v54, s55, v54
	v_lshl_or_b32 v54, v54, 4, v113
	ds_add_u32 v54, v125
	s_branch .LBB1216_601
.LBB1216_655:                           ;   in Loop: Header=BB1216_602 Depth=2
	global_load_b64 v[52:53], v2, s[8:9] scale_offset
	s_wait_xcnt 0x0
	s_or_b32 exec_lo, exec_lo, s11
	s_delay_alu instid0(SALU_CYCLE_1)
	s_mov_b32 s11, exec_lo
	v_cmpx_gt_u32_e64 s7, v98
	s_cbranch_execz .LBB1216_607
.LBB1216_656:                           ;   in Loop: Header=BB1216_602 Depth=2
	global_load_b64 v[50:51], v2, s[8:9] offset:2048 scale_offset
	s_wait_xcnt 0x0
	s_or_b32 exec_lo, exec_lo, s11
	s_delay_alu instid0(SALU_CYCLE_1)
	s_mov_b32 s11, exec_lo
	v_cmpx_gt_u32_e64 s7, v99
	s_cbranch_execz .LBB1216_608
.LBB1216_657:                           ;   in Loop: Header=BB1216_602 Depth=2
	global_load_b64 v[48:49], v2, s[8:9] offset:4096 scale_offset
	s_wait_xcnt 0x0
	s_or_b32 exec_lo, exec_lo, s11
	s_delay_alu instid0(SALU_CYCLE_1)
	s_mov_b32 s11, exec_lo
	v_cmpx_gt_u32_e64 s7, v100
	s_cbranch_execz .LBB1216_609
.LBB1216_658:                           ;   in Loop: Header=BB1216_602 Depth=2
	global_load_b64 v[46:47], v2, s[8:9] offset:6144 scale_offset
	s_wait_xcnt 0x0
	s_or_b32 exec_lo, exec_lo, s11
	s_delay_alu instid0(SALU_CYCLE_1)
	s_mov_b32 s11, exec_lo
	v_cmpx_gt_u32_e64 s7, v101
	s_cbranch_execz .LBB1216_610
.LBB1216_659:                           ;   in Loop: Header=BB1216_602 Depth=2
	global_load_b64 v[44:45], v2, s[8:9] offset:8192 scale_offset
	s_wait_xcnt 0x0
	s_or_b32 exec_lo, exec_lo, s11
	s_delay_alu instid0(SALU_CYCLE_1)
	s_mov_b32 s11, exec_lo
	v_cmpx_gt_u32_e64 s7, v102
	s_cbranch_execz .LBB1216_611
.LBB1216_660:                           ;   in Loop: Header=BB1216_602 Depth=2
	global_load_b64 v[42:43], v2, s[8:9] offset:10240 scale_offset
	s_wait_xcnt 0x0
	s_or_b32 exec_lo, exec_lo, s11
	s_delay_alu instid0(SALU_CYCLE_1)
	s_mov_b32 s11, exec_lo
	v_cmpx_gt_u32_e64 s7, v103
	s_cbranch_execz .LBB1216_612
.LBB1216_661:                           ;   in Loop: Header=BB1216_602 Depth=2
	global_load_b64 v[40:41], v2, s[8:9] offset:12288 scale_offset
	s_wait_xcnt 0x0
	s_or_b32 exec_lo, exec_lo, s11
	s_delay_alu instid0(SALU_CYCLE_1)
	s_mov_b32 s11, exec_lo
	v_cmpx_gt_u32_e64 s7, v104
	s_cbranch_execz .LBB1216_613
.LBB1216_662:                           ;   in Loop: Header=BB1216_602 Depth=2
	global_load_b64 v[38:39], v2, s[8:9] offset:14336 scale_offset
	s_wait_xcnt 0x0
	s_or_b32 exec_lo, exec_lo, s11
	s_delay_alu instid0(SALU_CYCLE_1)
	s_mov_b32 s11, exec_lo
	v_cmpx_gt_u32_e64 s7, v105
	s_cbranch_execz .LBB1216_614
.LBB1216_663:                           ;   in Loop: Header=BB1216_602 Depth=2
	global_load_b64 v[36:37], v2, s[8:9] offset:16384 scale_offset
	s_wait_xcnt 0x0
	s_or_b32 exec_lo, exec_lo, s11
	s_delay_alu instid0(SALU_CYCLE_1)
	s_mov_b32 s11, exec_lo
	v_cmpx_gt_u32_e64 s7, v106
	s_cbranch_execz .LBB1216_615
.LBB1216_664:                           ;   in Loop: Header=BB1216_602 Depth=2
	global_load_b64 v[34:35], v2, s[8:9] offset:18432 scale_offset
	s_wait_xcnt 0x0
	s_or_b32 exec_lo, exec_lo, s11
	s_delay_alu instid0(SALU_CYCLE_1)
	s_mov_b32 s11, exec_lo
	v_cmpx_gt_u32_e64 s7, v107
	s_cbranch_execz .LBB1216_616
.LBB1216_665:                           ;   in Loop: Header=BB1216_602 Depth=2
	global_load_b64 v[32:33], v2, s[8:9] offset:20480 scale_offset
	s_wait_xcnt 0x0
	s_or_b32 exec_lo, exec_lo, s11
	s_delay_alu instid0(SALU_CYCLE_1)
	s_mov_b32 s11, exec_lo
	v_cmpx_gt_u32_e64 s7, v108
	s_cbranch_execz .LBB1216_617
.LBB1216_666:                           ;   in Loop: Header=BB1216_602 Depth=2
	global_load_b64 v[30:31], v2, s[8:9] offset:22528 scale_offset
	s_wait_xcnt 0x0
	s_or_b32 exec_lo, exec_lo, s11
	s_delay_alu instid0(SALU_CYCLE_1)
	s_mov_b32 s11, exec_lo
	v_cmpx_gt_u32_e64 s7, v109
	s_cbranch_execz .LBB1216_618
.LBB1216_667:                           ;   in Loop: Header=BB1216_602 Depth=2
	global_load_b64 v[28:29], v2, s[8:9] offset:24576 scale_offset
	s_wait_xcnt 0x0
	s_or_b32 exec_lo, exec_lo, s11
	s_delay_alu instid0(SALU_CYCLE_1)
	s_mov_b32 s11, exec_lo
	v_cmpx_gt_u32_e64 s7, v110
	s_cbranch_execz .LBB1216_619
.LBB1216_668:                           ;   in Loop: Header=BB1216_602 Depth=2
	global_load_b64 v[26:27], v2, s[8:9] offset:26624 scale_offset
	s_wait_xcnt 0x0
	s_or_b32 exec_lo, exec_lo, s11
	s_delay_alu instid0(SALU_CYCLE_1)
	s_mov_b32 s11, exec_lo
	v_cmpx_gt_u32_e64 s7, v111
	s_cbranch_execz .LBB1216_620
.LBB1216_669:                           ;   in Loop: Header=BB1216_602 Depth=2
	global_load_b64 v[24:25], v2, s[8:9] offset:28672 scale_offset
	s_wait_xcnt 0x0
	s_or_b32 exec_lo, exec_lo, s11
	s_delay_alu instid0(SALU_CYCLE_1)
	s_mov_b32 s11, exec_lo
	v_cmpx_gt_u32_e64 s7, v112
	s_cbranch_execnz .LBB1216_621
	s_branch .LBB1216_622
.LBB1216_670:                           ;   in Loop: Header=BB1216_12 Depth=1
	v_mov_b32_e32 v22, 0
	s_wait_dscnt 0x0
	s_barrier_signal -1
	s_barrier_wait -1
	s_and_saveexec_b32 s7, s0
	s_cbranch_execz .LBB1216_672
; %bb.671:                              ;   in Loop: Header=BB1216_12 Depth=1
	ds_load_2addr_b64 v[22:25], v115 offset1:1
	s_wait_dscnt 0x0
	v_add_nc_u32_e32 v22, v23, v22
	s_delay_alu instid0(VALU_DEP_1)
	v_add3_u32 v22, v22, v24, v25
.LBB1216_672:                           ;   in Loop: Header=BB1216_12 Depth=1
	s_or_b32 exec_lo, exec_lo, s7
	s_delay_alu instid0(VALU_DEP_1)
	v_mov_b32_dpp v23, v22 row_shr:1 row_mask:0xf bank_mask:0xf
	v_cmp_eq_u32_e64 s7, 0, v126
	v_cmp_lt_u32_e64 s8, 1, v126
	v_cmp_lt_u32_e64 s9, 3, v126
	;; [unrolled: 1-line block ×3, first 2 shown]
	v_cmp_eq_u32_e64 s11, 0, v128
	v_cndmask_b32_e64 v23, v23, 0, s7
	s_delay_alu instid0(VALU_DEP_1) | instskip(NEXT) | instid1(VALU_DEP_1)
	v_add_nc_u32_e32 v22, v23, v22
	v_mov_b32_dpp v23, v22 row_shr:2 row_mask:0xf bank_mask:0xf
	s_delay_alu instid0(VALU_DEP_1) | instskip(NEXT) | instid1(VALU_DEP_1)
	v_cndmask_b32_e64 v23, 0, v23, s8
	v_add_nc_u32_e32 v22, v22, v23
	s_delay_alu instid0(VALU_DEP_1) | instskip(NEXT) | instid1(VALU_DEP_1)
	v_mov_b32_dpp v23, v22 row_shr:4 row_mask:0xf bank_mask:0xf
	v_cndmask_b32_e64 v23, 0, v23, s9
	s_delay_alu instid0(VALU_DEP_1) | instskip(NEXT) | instid1(VALU_DEP_1)
	v_add_nc_u32_e32 v22, v22, v23
	v_mov_b32_dpp v23, v22 row_shr:8 row_mask:0xf bank_mask:0xf
	s_delay_alu instid0(VALU_DEP_1) | instskip(NEXT) | instid1(VALU_DEP_1)
	v_cndmask_b32_e64 v23, 0, v23, s10
	v_add_nc_u32_e32 v22, v22, v23
	ds_swizzle_b32 v23, v22 offset:swizzle(BROADCAST,32,15)
	s_wait_dscnt 0x0
	v_and_b32_e32 v23, v127, v23
	s_delay_alu instid0(VALU_DEP_1)
	v_add_nc_u32_e32 v22, v22, v23
	s_and_saveexec_b32 s12, s1
; %bb.673:                              ;   in Loop: Header=BB1216_12 Depth=1
	ds_store_b32 v116, v22
; %bb.674:                              ;   in Loop: Header=BB1216_12 Depth=1
	s_or_b32 exec_lo, exec_lo, s12
	s_wait_dscnt 0x0
	s_barrier_signal -1
	s_barrier_wait -1
	s_and_saveexec_b32 s12, s4
	s_cbranch_execz .LBB1216_676
; %bb.675:                              ;   in Loop: Header=BB1216_12 Depth=1
	ds_load_b32 v23, v117
	v_cmp_ne_u32_e32 vcc_lo, 0, v130
	s_wait_dscnt 0x0
	v_mov_b32_dpp v24, v23 row_shr:1 row_mask:0xf bank_mask:0xf
	s_delay_alu instid0(VALU_DEP_1) | instskip(SKIP_1) | instid1(VALU_DEP_2)
	v_cndmask_b32_e32 v24, 0, v24, vcc_lo
	v_cmp_lt_u32_e32 vcc_lo, 1, v130
	v_add_nc_u32_e32 v23, v24, v23
	s_delay_alu instid0(VALU_DEP_1) | instskip(NEXT) | instid1(VALU_DEP_1)
	v_mov_b32_dpp v24, v23 row_shr:2 row_mask:0xf bank_mask:0xf
	v_cndmask_b32_e32 v24, 0, v24, vcc_lo
	v_cmp_lt_u32_e32 vcc_lo, 3, v130
	s_delay_alu instid0(VALU_DEP_2) | instskip(NEXT) | instid1(VALU_DEP_1)
	v_add_nc_u32_e32 v23, v23, v24
	v_mov_b32_dpp v24, v23 row_shr:4 row_mask:0xf bank_mask:0xf
	s_delay_alu instid0(VALU_DEP_1) | instskip(NEXT) | instid1(VALU_DEP_1)
	v_cndmask_b32_e32 v24, 0, v24, vcc_lo
	v_add_nc_u32_e32 v23, v23, v24
	ds_store_b32 v117, v23
.LBB1216_676:                           ;   in Loop: Header=BB1216_12 Depth=1
	s_or_b32 exec_lo, exec_lo, s12
	v_mov_b32_e32 v23, 0
	s_wait_dscnt 0x0
	s_barrier_signal -1
	s_barrier_wait -1
	s_and_saveexec_b32 s12, s5
; %bb.677:                              ;   in Loop: Header=BB1216_12 Depth=1
	ds_load_b32 v23, v118
; %bb.678:                              ;   in Loop: Header=BB1216_12 Depth=1
	s_or_b32 exec_lo, exec_lo, s12
	v_cmp_gt_i32_e32 vcc_lo, 0, v131
	s_wait_dscnt 0x0
	s_barrier_signal -1
	s_barrier_wait -1
	v_cndmask_b32_e32 v24, v131, v124, vcc_lo
	s_delay_alu instid0(VALU_DEP_1)
	v_dual_add_nc_u32 v22, v23, v22 :: v_dual_lshlrev_b32 v147, 2, v24
	ds_bpermute_b32 v22, v147, v22
	s_and_saveexec_b32 s12, s0
	s_cbranch_execz .LBB1216_680
; %bb.679:                              ;   in Loop: Header=BB1216_12 Depth=1
	s_wait_dscnt 0x0
	v_cndmask_b32_e64 v22, v22, v23, s6
	s_delay_alu instid0(VALU_DEP_1)
	v_add_nc_u32_e32 v22, s56, v22
	ds_store_b32 v3, v22
.LBB1216_680:                           ;   in Loop: Header=BB1216_12 Depth=1
	s_or_b32 exec_lo, exec_lo, s12
	s_load_b64 s[12:13], s[52:53], 0x0
	v_add_nc_u64_e32 v[24:25], v[20:21], v[4:5]
	s_mov_b32 s59, s58
                                        ; implicit-def: $vgpr28_vgpr29
                                        ; implicit-def: $vgpr30_vgpr31
                                        ; implicit-def: $vgpr32_vgpr33
                                        ; implicit-def: $vgpr34_vgpr35
                                        ; implicit-def: $vgpr36_vgpr37
                                        ; implicit-def: $vgpr38_vgpr39
                                        ; implicit-def: $vgpr40_vgpr41
                                        ; implicit-def: $vgpr42_vgpr43
                                        ; implicit-def: $vgpr44_vgpr45
                                        ; implicit-def: $vgpr46_vgpr47
                                        ; implicit-def: $vgpr48_vgpr49
                                        ; implicit-def: $vgpr50_vgpr51
                                        ; implicit-def: $vgpr52_vgpr53
                                        ; implicit-def: $vgpr54_vgpr55
                                        ; implicit-def: $vgpr56_vgpr57
                                        ; implicit-def: $vgpr149
                                        ; implicit-def: $vgpr150
                                        ; implicit-def: $vgpr151
                                        ; implicit-def: $vgpr152
                                        ; implicit-def: $vgpr153
                                        ; implicit-def: $vgpr154
                                        ; implicit-def: $vgpr155
                                        ; implicit-def: $vgpr156
                                        ; implicit-def: $vgpr157
                                        ; implicit-def: $vgpr158
                                        ; implicit-def: $vgpr159
                                        ; implicit-def: $vgpr160
                                        ; implicit-def: $vgpr161
                                        ; implicit-def: $vgpr162
                                        ; implicit-def: $vgpr163
                                        ; implicit-def: $vgpr164
	s_wait_kmcnt 0x0
	s_cmp_lt_u32 s33, s12
	s_cselect_b32 s34, 12, 18
	s_cmp_lt_u32 s31, s13
	s_mov_b32 s13, s35
	s_cselect_b32 s12, 14, 20
	s_delay_alu instid0(SALU_CYCLE_1)
	s_add_nc_u64 s[12:13], s[52:53], s[12:13]
	s_load_u16 s14, s[12:13], 0x0
	s_wait_xcnt 0x0
	s_add_nc_u64 s[12:13], s[52:53], s[34:35]
	s_mov_b32 s34, s56
	s_load_u16 s12, s[12:13], 0x0
	s_wait_xcnt 0x0
	v_cmp_lt_u32_e64 s13, 1, v130
	s_wait_dscnt 0x0
	s_wait_kmcnt 0x0
	v_mad_u32_u24 v22, v119, s14, v121
	v_cmp_lt_u32_e64 s14, 3, v130
	s_delay_alu instid0(VALU_DEP_2) | instskip(SKIP_1) | instid1(VALU_DEP_2)
	v_mad_u32 v22, v22, s12, v2
	v_cmp_eq_u32_e64 s12, 0, v130
	v_lshrrev_b32_e32 v26, 3, v22
	v_add_nc_u64_e32 v[22:23], v[18:19], v[4:5]
	s_delay_alu instid0(VALU_DEP_2)
	v_and_b32_e32 v148, 0x1ffffffc, v26
                                        ; implicit-def: $vgpr26_vgpr27
	s_branch .LBB1216_682
.LBB1216_681:                           ;   in Loop: Header=BB1216_682 Depth=2
	s_or_b32 exec_lo, exec_lo, s15
	s_addk_co_i32 s59, 0xf000
	s_cmp_lt_u32 s60, s51
	s_mov_b32 s34, s60
	s_cbranch_scc0 .LBB1216_890
.LBB1216_682:                           ;   Parent Loop BB1216_12 Depth=1
                                        ; =>  This Inner Loop Header: Depth=2
	s_add_co_i32 s60, s34, 0x1000
	s_delay_alu instid0(SALU_CYCLE_1)
	s_cmp_gt_u32 s60, s51
	s_cbranch_scc1 .LBB1216_684
; %bb.683:                              ;   in Loop: Header=BB1216_682 Depth=2
	v_lshl_add_u64 v[66:67], s[34:35], 3, v[24:25]
	s_mov_b32 s15, -1
	s_clause 0xe
	global_load_b64 v[58:59], v[66:67], off
	global_load_b64 v[60:61], v[66:67], off offset:256
	global_load_b64 v[62:63], v[66:67], off offset:512
	;; [unrolled: 1-line block ×14, first 2 shown]
	s_movk_i32 s16, 0x1000
	s_cbranch_execz .LBB1216_685
	s_branch .LBB1216_716
.LBB1216_684:                           ;   in Loop: Header=BB1216_682 Depth=2
	s_mov_b32 s15, 0
                                        ; implicit-def: $vgpr58_vgpr59
                                        ; implicit-def: $vgpr60_vgpr61
                                        ; implicit-def: $vgpr62_vgpr63
                                        ; implicit-def: $vgpr70_vgpr71
                                        ; implicit-def: $vgpr74_vgpr75
                                        ; implicit-def: $vgpr78_vgpr79
                                        ; implicit-def: $vgpr82_vgpr83
                                        ; implicit-def: $vgpr86_vgpr87
                                        ; implicit-def: $vgpr88_vgpr89
                                        ; implicit-def: $vgpr84_vgpr85
                                        ; implicit-def: $vgpr80_vgpr81
                                        ; implicit-def: $vgpr76_vgpr77
                                        ; implicit-def: $vgpr72_vgpr73
                                        ; implicit-def: $vgpr68_vgpr69
                                        ; implicit-def: $vgpr64_vgpr65
	s_movk_i32 s16, 0x1000
.LBB1216_685:                           ;   in Loop: Header=BB1216_682 Depth=2
	s_wait_loadcnt 0xd
	v_mov_b64_e32 v[60:61], 0x7fffffffffffffff
	v_mov_b64_e32 v[58:59], 0x7fffffffffffffff
	s_wait_xcnt 0x0
	v_lshl_add_u64 v[66:67], s[34:35], 3, v[24:25]
	s_mov_b32 s15, exec_lo
	v_cmpx_gt_u32_e64 s59, v129
	s_cbranch_execz .LBB1216_687
; %bb.686:                              ;   in Loop: Header=BB1216_682 Depth=2
	global_load_b64 v[58:59], v[66:67], off
.LBB1216_687:                           ;   in Loop: Header=BB1216_682 Depth=2
	s_wait_xcnt 0x0
	s_or_b32 exec_lo, exec_lo, s15
	s_delay_alu instid0(SALU_CYCLE_1)
	s_mov_b32 s15, exec_lo
	v_cmpx_gt_u32_e64 s59, v132
	s_cbranch_execz .LBB1216_689
; %bb.688:                              ;   in Loop: Header=BB1216_682 Depth=2
	global_load_b64 v[60:61], v[66:67], off offset:256
.LBB1216_689:                           ;   in Loop: Header=BB1216_682 Depth=2
	s_wait_xcnt 0x0
	s_or_b32 exec_lo, exec_lo, s15
	s_wait_loadcnt 0xb
	v_mov_b64_e32 v[70:71], 0x7fffffffffffffff
	v_mov_b64_e32 v[62:63], 0x7fffffffffffffff
	s_mov_b32 s15, exec_lo
	v_cmpx_gt_u32_e64 s59, v133
	s_cbranch_execz .LBB1216_691
; %bb.690:                              ;   in Loop: Header=BB1216_682 Depth=2
	global_load_b64 v[62:63], v[66:67], off offset:512
.LBB1216_691:                           ;   in Loop: Header=BB1216_682 Depth=2
	s_wait_xcnt 0x0
	s_or_b32 exec_lo, exec_lo, s15
	s_delay_alu instid0(SALU_CYCLE_1)
	s_mov_b32 s15, exec_lo
	v_cmpx_gt_u32_e64 s59, v134
	s_cbranch_execz .LBB1216_693
; %bb.692:                              ;   in Loop: Header=BB1216_682 Depth=2
	global_load_b64 v[70:71], v[66:67], off offset:768
.LBB1216_693:                           ;   in Loop: Header=BB1216_682 Depth=2
	s_wait_xcnt 0x0
	s_or_b32 exec_lo, exec_lo, s15
	s_wait_loadcnt 0x9
	v_mov_b64_e32 v[78:79], 0x7fffffffffffffff
	v_mov_b64_e32 v[74:75], 0x7fffffffffffffff
	s_mov_b32 s15, exec_lo
	v_cmpx_gt_u32_e64 s59, v135
	s_cbranch_execz .LBB1216_695
; %bb.694:                              ;   in Loop: Header=BB1216_682 Depth=2
	global_load_b64 v[74:75], v[66:67], off offset:1024
.LBB1216_695:                           ;   in Loop: Header=BB1216_682 Depth=2
	;; [unrolled: 20-line block ×6, first 2 shown]
	s_wait_xcnt 0x0
	s_or_b32 exec_lo, exec_lo, s15
	s_delay_alu instid0(SALU_CYCLE_1)
	s_mov_b32 s15, exec_lo
	v_cmpx_gt_u32_e64 s59, v144
	s_cbranch_execz .LBB1216_713
; %bb.712:                              ;   in Loop: Header=BB1216_682 Depth=2
	global_load_b64 v[68:69], v[66:67], off offset:3328
.LBB1216_713:                           ;   in Loop: Header=BB1216_682 Depth=2
	s_wait_xcnt 0x0
	s_or_b32 exec_lo, exec_lo, s15
	s_wait_loadcnt 0x0
	v_mov_b64_e32 v[64:65], 0x7fffffffffffffff
	s_mov_b32 s15, exec_lo
	v_cmpx_gt_u32_e64 s59, v145
	s_cbranch_execz .LBB1216_715
; %bb.714:                              ;   in Loop: Header=BB1216_682 Depth=2
	global_load_b64 v[64:65], v[66:67], off offset:3584
.LBB1216_715:                           ;   in Loop: Header=BB1216_682 Depth=2
	s_wait_xcnt 0x0
	s_or_b32 exec_lo, exec_lo, s15
	v_cmp_gt_u32_e64 s15, s59, v146
	s_sub_co_i32 s16, s51, s34
.LBB1216_716:                           ;   in Loop: Header=BB1216_682 Depth=2
	s_wait_xcnt 0x0
	v_mov_b64_e32 v[66:67], 0x7fffffffffffffff
	v_mov_b32_e32 v165, s59
	s_and_saveexec_b32 s17, s15
	s_cbranch_execz .LBB1216_718
; %bb.717:                              ;   in Loop: Header=BB1216_682 Depth=2
	v_lshl_add_u64 v[66:67], s[34:35], 3, v[24:25]
	v_mov_b32_e32 v165, s16
	global_load_b64 v[66:67], v[66:67], off offset:3840
.LBB1216_718:                           ;   in Loop: Header=BB1216_682 Depth=2
	s_wait_xcnt 0x0
	s_or_b32 exec_lo, exec_lo, s17
	s_wait_loadcnt 0xe
	v_cmp_lt_i64_e32 vcc_lo, -1, v[58:59]
	v_add_nc_u32_e32 v168, 0x420, v120
	v_add_nc_u32_e32 v169, 0x428, v120
	;; [unrolled: 1-line block ×3, first 2 shown]
	v_cndmask_b32_e64 v90, -1, 0x80000000, vcc_lo
	s_delay_alu instid0(VALU_DEP_1) | instskip(NEXT) | instid1(VALU_DEP_1)
	v_dual_ashrrev_i32 v91, 31, v59 :: v_dual_bitop2_b32 v59, v90, v59 bitop3:0x14
	v_xor_b32_e32 v58, v91, v58
	s_delay_alu instid0(VALU_DEP_1) | instskip(SKIP_2) | instid1(VALU_DEP_1)
	v_cmp_ne_u64_e32 vcc_lo, s[42:43], v[58:59]
	v_cndmask_b32_e32 v91, 0x80000000, v59, vcc_lo
	v_cndmask_b32_e32 v90, 0, v58, vcc_lo
	v_lshrrev_b64 v[90:91], s48, v[90:91]
	s_delay_alu instid0(VALU_DEP_1) | instskip(SKIP_1) | instid1(VALU_DEP_2)
	v_bitop3_b32 v91, v90, 1, s55 bitop3:0x80
	v_and_b32_e32 v92, s55, v90
	v_add_co_u32 v90, s15, v91, -1
	s_delay_alu instid0(VALU_DEP_1) | instskip(NEXT) | instid1(VALU_DEP_3)
	v_cndmask_b32_e64 v91, 0, 1, s15
	v_lshlrev_b32_e32 v93, 30, v92
	s_delay_alu instid0(VALU_DEP_2) | instskip(NEXT) | instid1(VALU_DEP_2)
	v_cmp_ne_u32_e32 vcc_lo, 0, v91
	v_not_b32_e32 v91, v93
	v_cmp_gt_i32_e64 s15, 0, v93
	s_delay_alu instid0(VALU_DEP_2) | instskip(SKIP_3) | instid1(VALU_DEP_4)
	v_dual_ashrrev_i32 v91, 31, v91 :: v_dual_lshlrev_b32 v94, 29, v92
	v_dual_lshlrev_b32 v95, 28, v92 :: v_dual_lshlrev_b32 v96, 27, v92
	v_dual_lshlrev_b32 v97, 26, v92 :: v_dual_lshlrev_b32 v166, 25, v92
	v_lshlrev_b32_e32 v167, 24, v92
	v_cmp_gt_i32_e64 s16, 0, v94
	v_not_b32_e32 v93, v94
	v_not_b32_e32 v94, v95
	v_cmp_gt_i32_e64 s17, 0, v95
	v_cmp_gt_i32_e64 s18, 0, v96
	v_not_b32_e32 v95, v96
	v_not_b32_e32 v96, v97
	v_dual_ashrrev_i32 v93, 31, v93 :: v_dual_bitop2_b32 v90, vcc_lo, v90 bitop3:0x14
	v_dual_ashrrev_i32 v94, 31, v94 :: v_dual_bitop2_b32 v91, s15, v91 bitop3:0x14
	v_cmp_gt_i32_e64 s19, 0, v97
	v_cmp_gt_i32_e64 s20, 0, v166
	v_not_b32_e32 v97, v166
	v_not_b32_e32 v166, v167
	v_dual_ashrrev_i32 v95, 31, v95 :: v_dual_ashrrev_i32 v96, 31, v96
	v_xor_b32_e32 v93, s16, v93
	v_xor_b32_e32 v94, s17, v94
	v_bitop3_b32 v90, v90, v91, exec_lo bitop3:0x80
	v_cmp_gt_i32_e64 s21, 0, v167
	v_dual_ashrrev_i32 v91, 31, v97 :: v_dual_ashrrev_i32 v97, 31, v166
	v_xor_b32_e32 v95, s18, v95
	v_xor_b32_e32 v96, s19, v96
	v_bitop3_b32 v90, v90, v94, v93 bitop3:0x80
	s_delay_alu instid0(VALU_DEP_4) | instskip(SKIP_2) | instid1(VALU_DEP_4)
	v_xor_b32_e32 v91, s20, v91
	v_xor_b32_e32 v93, s21, v97
	v_add_nc_u32_e32 v167, 0x438, v120
	v_bitop3_b32 v90, v90, v96, v95 bitop3:0x80
	ds_store_2addr_b32 v167, v5, v5 offset1:1
	ds_store_2addr_b32 v168, v5, v5 offset1:1
	;; [unrolled: 1-line block ×4, first 2 shown]
	ds_store_b32 v120, v5 offset:1088
	v_bitop3_b32 v90, v90, v93, v91 bitop3:0x80
	v_mul_u32_u24_e32 v91, 36, v92
	s_wait_loadcnt_dscnt 0x0
	s_barrier_signal -1
	s_barrier_wait -1
	v_mbcnt_lo_u32_b32 v166, v90, 0
	v_cmp_ne_u32_e64 s15, 0, v90
	v_add_nc_u32_e32 v171, v148, v91
	s_delay_alu instid0(VALU_DEP_3) | instskip(SKIP_1) | instid1(SALU_CYCLE_1)
	v_cmp_eq_u32_e32 vcc_lo, 0, v166
	; wave barrier
	s_and_b32 s16, s15, vcc_lo
	s_and_saveexec_b32 s15, s16
; %bb.719:                              ;   in Loop: Header=BB1216_682 Depth=2
	v_bcnt_u32_b32 v90, v90, 0
	ds_store_b32 v171, v90 offset:1056
; %bb.720:                              ;   in Loop: Header=BB1216_682 Depth=2
	s_or_b32 exec_lo, exec_lo, s15
	v_cmp_lt_i64_e32 vcc_lo, -1, v[60:61]
	; wave barrier
	v_cndmask_b32_e64 v90, -1, 0x80000000, vcc_lo
	s_delay_alu instid0(VALU_DEP_1) | instskip(NEXT) | instid1(VALU_DEP_1)
	v_dual_ashrrev_i32 v91, 31, v61 :: v_dual_bitop2_b32 v61, v90, v61 bitop3:0x14
	v_xor_b32_e32 v60, v91, v60
	s_delay_alu instid0(VALU_DEP_1) | instskip(SKIP_2) | instid1(VALU_DEP_1)
	v_cmp_ne_u64_e32 vcc_lo, s[42:43], v[60:61]
	v_cndmask_b32_e32 v91, 0x80000000, v61, vcc_lo
	v_cndmask_b32_e32 v90, 0, v60, vcc_lo
	v_lshrrev_b64 v[90:91], s48, v[90:91]
	s_delay_alu instid0(VALU_DEP_1) | instskip(SKIP_1) | instid1(VALU_DEP_2)
	v_bitop3_b32 v91, v90, 1, s55 bitop3:0x80
	v_and_b32_e32 v92, s55, v90
	v_add_co_u32 v90, s15, v91, -1
	s_delay_alu instid0(VALU_DEP_1) | instskip(NEXT) | instid1(VALU_DEP_3)
	v_cndmask_b32_e64 v91, 0, 1, s15
	v_dual_lshlrev_b32 v93, 30, v92 :: v_dual_lshlrev_b32 v95, 28, v92
	v_dual_lshlrev_b32 v94, 29, v92 :: v_dual_lshlrev_b32 v96, 27, v92
	s_delay_alu instid0(VALU_DEP_3) | instskip(NEXT) | instid1(VALU_DEP_3)
	v_cmp_ne_u32_e32 vcc_lo, 0, v91
	v_cmp_gt_i32_e64 s15, 0, v93
	v_not_b32_e32 v91, v93
	s_delay_alu instid0(VALU_DEP_4) | instskip(SKIP_4) | instid1(VALU_DEP_4)
	v_cmp_gt_i32_e64 s16, 0, v94
	v_not_b32_e32 v93, v94
	v_cmp_gt_i32_e64 s17, 0, v95
	v_not_b32_e32 v94, v95
	v_not_b32_e32 v95, v96
	v_dual_ashrrev_i32 v91, 31, v91 :: v_dual_ashrrev_i32 v93, 31, v93
	s_delay_alu instid0(VALU_DEP_2) | instskip(SKIP_4) | instid1(VALU_DEP_4)
	v_dual_ashrrev_i32 v94, 31, v94 :: v_dual_ashrrev_i32 v95, 31, v95
	v_dual_lshlrev_b32 v97, 26, v92 :: v_dual_lshlrev_b32 v172, 25, v92
	v_lshlrev_b32_e32 v173, 24, v92
	v_cmp_gt_i32_e64 s18, 0, v96
	v_xor_b32_e32 v91, s15, v91
	v_not_b32_e32 v96, v97
	v_xor_b32_e32 v90, vcc_lo, v90
	v_cmp_gt_i32_e64 s19, 0, v97
	v_cmp_gt_i32_e64 s20, 0, v172
	v_not_b32_e32 v97, v172
	v_not_b32_e32 v172, v173
	v_dual_ashrrev_i32 v96, 31, v96 :: v_dual_bitop2_b32 v93, s16, v93 bitop3:0x14
	v_xor_b32_e32 v94, s17, v94
	v_bitop3_b32 v90, v90, v91, exec_lo bitop3:0x80
	v_cmp_gt_i32_e64 s21, 0, v173
	v_dual_ashrrev_i32 v91, 31, v97 :: v_dual_ashrrev_i32 v97, 31, v172
	v_xor_b32_e32 v95, s18, v95
	v_xor_b32_e32 v96, s19, v96
	v_bitop3_b32 v90, v90, v94, v93 bitop3:0x80
	v_mad_u32_u24 v93, v92, 36, v148
	v_xor_b32_e32 v91, s20, v91
	v_xor_b32_e32 v94, s21, v97
	s_delay_alu instid0(VALU_DEP_4) | instskip(SKIP_3) | instid1(VALU_DEP_2)
	v_bitop3_b32 v90, v90, v96, v95 bitop3:0x80
	ds_load_b32 v172, v93 offset:1056
	; wave barrier
	v_bitop3_b32 v90, v90, v94, v91 bitop3:0x80
	v_mul_u32_u24_e32 v91, 36, v92
	v_mbcnt_lo_u32_b32 v173, v90, 0
	v_cmp_ne_u32_e64 s15, 0, v90
	s_delay_alu instid0(VALU_DEP_3) | instskip(NEXT) | instid1(VALU_DEP_3)
	v_add_nc_u32_e32 v174, v148, v91
	v_cmp_eq_u32_e32 vcc_lo, 0, v173
	s_and_b32 s16, s15, vcc_lo
	s_delay_alu instid0(SALU_CYCLE_1)
	s_and_saveexec_b32 s15, s16
	s_cbranch_execz .LBB1216_722
; %bb.721:                              ;   in Loop: Header=BB1216_682 Depth=2
	s_wait_dscnt 0x0
	v_bcnt_u32_b32 v90, v90, v172
	ds_store_b32 v174, v90 offset:1056
.LBB1216_722:                           ;   in Loop: Header=BB1216_682 Depth=2
	s_or_b32 exec_lo, exec_lo, s15
	v_cmp_lt_i64_e32 vcc_lo, -1, v[62:63]
	; wave barrier
	v_cndmask_b32_e64 v90, -1, 0x80000000, vcc_lo
	s_delay_alu instid0(VALU_DEP_1) | instskip(NEXT) | instid1(VALU_DEP_1)
	v_dual_ashrrev_i32 v91, 31, v63 :: v_dual_bitop2_b32 v63, v90, v63 bitop3:0x14
	v_xor_b32_e32 v62, v91, v62
	s_delay_alu instid0(VALU_DEP_1) | instskip(SKIP_2) | instid1(VALU_DEP_1)
	v_cmp_ne_u64_e32 vcc_lo, s[42:43], v[62:63]
	v_cndmask_b32_e32 v91, 0x80000000, v63, vcc_lo
	v_cndmask_b32_e32 v90, 0, v62, vcc_lo
	v_lshrrev_b64 v[90:91], s48, v[90:91]
	s_delay_alu instid0(VALU_DEP_1) | instskip(SKIP_1) | instid1(VALU_DEP_2)
	v_bitop3_b32 v91, v90, 1, s55 bitop3:0x80
	v_and_b32_e32 v92, s55, v90
	v_add_co_u32 v90, s15, v91, -1
	s_delay_alu instid0(VALU_DEP_1) | instskip(NEXT) | instid1(VALU_DEP_3)
	v_cndmask_b32_e64 v91, 0, 1, s15
	v_lshlrev_b32_e32 v93, 30, v92
	s_delay_alu instid0(VALU_DEP_2) | instskip(NEXT) | instid1(VALU_DEP_2)
	v_cmp_ne_u32_e32 vcc_lo, 0, v91
	v_not_b32_e32 v91, v93
	v_cmp_gt_i32_e64 s15, 0, v93
	s_delay_alu instid0(VALU_DEP_2) | instskip(SKIP_3) | instid1(VALU_DEP_4)
	v_dual_ashrrev_i32 v91, 31, v91 :: v_dual_lshlrev_b32 v94, 29, v92
	v_dual_lshlrev_b32 v95, 28, v92 :: v_dual_lshlrev_b32 v96, 27, v92
	v_dual_lshlrev_b32 v97, 26, v92 :: v_dual_lshlrev_b32 v175, 25, v92
	v_lshlrev_b32_e32 v176, 24, v92
	v_cmp_gt_i32_e64 s16, 0, v94
	v_not_b32_e32 v93, v94
	v_not_b32_e32 v94, v95
	v_cmp_gt_i32_e64 s17, 0, v95
	v_cmp_gt_i32_e64 s18, 0, v96
	v_not_b32_e32 v95, v96
	v_not_b32_e32 v96, v97
	v_dual_ashrrev_i32 v93, 31, v93 :: v_dual_bitop2_b32 v90, vcc_lo, v90 bitop3:0x14
	v_dual_ashrrev_i32 v94, 31, v94 :: v_dual_bitop2_b32 v91, s15, v91 bitop3:0x14
	v_cmp_gt_i32_e64 s19, 0, v97
	v_cmp_gt_i32_e64 s20, 0, v175
	v_not_b32_e32 v97, v175
	v_not_b32_e32 v175, v176
	v_dual_ashrrev_i32 v95, 31, v95 :: v_dual_ashrrev_i32 v96, 31, v96
	v_xor_b32_e32 v93, s16, v93
	v_xor_b32_e32 v94, s17, v94
	v_bitop3_b32 v90, v90, v91, exec_lo bitop3:0x80
	v_cmp_gt_i32_e64 s21, 0, v176
	v_dual_ashrrev_i32 v91, 31, v97 :: v_dual_ashrrev_i32 v97, 31, v175
	v_xor_b32_e32 v95, s18, v95
	v_xor_b32_e32 v96, s19, v96
	v_bitop3_b32 v90, v90, v94, v93 bitop3:0x80
	v_mad_u32_u24 v93, v92, 36, v148
	v_xor_b32_e32 v91, s20, v91
	v_xor_b32_e32 v94, s21, v97
	s_delay_alu instid0(VALU_DEP_4) | instskip(SKIP_3) | instid1(VALU_DEP_2)
	v_bitop3_b32 v90, v90, v96, v95 bitop3:0x80
	ds_load_b32 v175, v93 offset:1056
	; wave barrier
	v_bitop3_b32 v90, v90, v94, v91 bitop3:0x80
	v_mul_u32_u24_e32 v91, 36, v92
	v_mbcnt_lo_u32_b32 v176, v90, 0
	v_cmp_ne_u32_e64 s15, 0, v90
	s_delay_alu instid0(VALU_DEP_3) | instskip(NEXT) | instid1(VALU_DEP_3)
	v_add_nc_u32_e32 v177, v148, v91
	v_cmp_eq_u32_e32 vcc_lo, 0, v176
	s_and_b32 s16, s15, vcc_lo
	s_delay_alu instid0(SALU_CYCLE_1)
	s_and_saveexec_b32 s15, s16
	s_cbranch_execz .LBB1216_724
; %bb.723:                              ;   in Loop: Header=BB1216_682 Depth=2
	s_wait_dscnt 0x0
	v_bcnt_u32_b32 v90, v90, v175
	ds_store_b32 v177, v90 offset:1056
.LBB1216_724:                           ;   in Loop: Header=BB1216_682 Depth=2
	s_or_b32 exec_lo, exec_lo, s15
	v_cmp_lt_i64_e32 vcc_lo, -1, v[70:71]
	; wave barrier
	v_cndmask_b32_e64 v90, -1, 0x80000000, vcc_lo
	s_delay_alu instid0(VALU_DEP_1) | instskip(NEXT) | instid1(VALU_DEP_1)
	v_dual_ashrrev_i32 v91, 31, v71 :: v_dual_bitop2_b32 v71, v90, v71 bitop3:0x14
	v_xor_b32_e32 v70, v91, v70
	s_delay_alu instid0(VALU_DEP_1) | instskip(SKIP_2) | instid1(VALU_DEP_1)
	v_cmp_ne_u64_e32 vcc_lo, s[42:43], v[70:71]
	v_cndmask_b32_e32 v91, 0x80000000, v71, vcc_lo
	v_cndmask_b32_e32 v90, 0, v70, vcc_lo
	v_lshrrev_b64 v[90:91], s48, v[90:91]
	s_delay_alu instid0(VALU_DEP_1) | instskip(SKIP_1) | instid1(VALU_DEP_2)
	v_bitop3_b32 v91, v90, 1, s55 bitop3:0x80
	v_and_b32_e32 v92, s55, v90
	v_add_co_u32 v90, s15, v91, -1
	s_delay_alu instid0(VALU_DEP_1) | instskip(NEXT) | instid1(VALU_DEP_3)
	v_cndmask_b32_e64 v91, 0, 1, s15
	v_lshlrev_b32_e32 v93, 30, v92
	s_delay_alu instid0(VALU_DEP_2) | instskip(NEXT) | instid1(VALU_DEP_2)
	v_cmp_ne_u32_e32 vcc_lo, 0, v91
	v_not_b32_e32 v91, v93
	v_cmp_gt_i32_e64 s15, 0, v93
	s_delay_alu instid0(VALU_DEP_2) | instskip(SKIP_3) | instid1(VALU_DEP_4)
	v_dual_ashrrev_i32 v91, 31, v91 :: v_dual_lshlrev_b32 v94, 29, v92
	v_dual_lshlrev_b32 v95, 28, v92 :: v_dual_lshlrev_b32 v96, 27, v92
	v_dual_lshlrev_b32 v97, 26, v92 :: v_dual_lshlrev_b32 v178, 25, v92
	v_lshlrev_b32_e32 v179, 24, v92
	v_cmp_gt_i32_e64 s16, 0, v94
	v_not_b32_e32 v93, v94
	v_not_b32_e32 v94, v95
	v_cmp_gt_i32_e64 s17, 0, v95
	v_cmp_gt_i32_e64 s18, 0, v96
	v_not_b32_e32 v95, v96
	v_not_b32_e32 v96, v97
	v_dual_ashrrev_i32 v93, 31, v93 :: v_dual_bitop2_b32 v90, vcc_lo, v90 bitop3:0x14
	v_dual_ashrrev_i32 v94, 31, v94 :: v_dual_bitop2_b32 v91, s15, v91 bitop3:0x14
	v_cmp_gt_i32_e64 s19, 0, v97
	v_cmp_gt_i32_e64 s20, 0, v178
	v_not_b32_e32 v97, v178
	v_not_b32_e32 v178, v179
	v_dual_ashrrev_i32 v95, 31, v95 :: v_dual_ashrrev_i32 v96, 31, v96
	v_xor_b32_e32 v93, s16, v93
	v_xor_b32_e32 v94, s17, v94
	v_bitop3_b32 v90, v90, v91, exec_lo bitop3:0x80
	v_cmp_gt_i32_e64 s21, 0, v179
	v_dual_ashrrev_i32 v91, 31, v97 :: v_dual_ashrrev_i32 v97, 31, v178
	v_xor_b32_e32 v95, s18, v95
	v_xor_b32_e32 v96, s19, v96
	v_bitop3_b32 v90, v90, v94, v93 bitop3:0x80
	v_mad_u32_u24 v93, v92, 36, v148
	v_xor_b32_e32 v91, s20, v91
	v_xor_b32_e32 v94, s21, v97
	s_delay_alu instid0(VALU_DEP_4) | instskip(SKIP_3) | instid1(VALU_DEP_2)
	v_bitop3_b32 v90, v90, v96, v95 bitop3:0x80
	ds_load_b32 v178, v93 offset:1056
	; wave barrier
	v_bitop3_b32 v90, v90, v94, v91 bitop3:0x80
	v_mul_u32_u24_e32 v91, 36, v92
	v_mbcnt_lo_u32_b32 v179, v90, 0
	v_cmp_ne_u32_e64 s15, 0, v90
	s_delay_alu instid0(VALU_DEP_3) | instskip(NEXT) | instid1(VALU_DEP_3)
	v_add_nc_u32_e32 v180, v148, v91
	v_cmp_eq_u32_e32 vcc_lo, 0, v179
	s_and_b32 s16, s15, vcc_lo
	s_delay_alu instid0(SALU_CYCLE_1)
	s_and_saveexec_b32 s15, s16
	s_cbranch_execz .LBB1216_726
; %bb.725:                              ;   in Loop: Header=BB1216_682 Depth=2
	s_wait_dscnt 0x0
	v_bcnt_u32_b32 v90, v90, v178
	ds_store_b32 v180, v90 offset:1056
.LBB1216_726:                           ;   in Loop: Header=BB1216_682 Depth=2
	s_or_b32 exec_lo, exec_lo, s15
	v_cmp_lt_i64_e32 vcc_lo, -1, v[74:75]
	; wave barrier
	v_cndmask_b32_e64 v90, -1, 0x80000000, vcc_lo
	s_delay_alu instid0(VALU_DEP_1) | instskip(NEXT) | instid1(VALU_DEP_1)
	v_dual_ashrrev_i32 v91, 31, v75 :: v_dual_bitop2_b32 v75, v90, v75 bitop3:0x14
	v_xor_b32_e32 v74, v91, v74
	s_delay_alu instid0(VALU_DEP_1) | instskip(SKIP_2) | instid1(VALU_DEP_1)
	v_cmp_ne_u64_e32 vcc_lo, s[42:43], v[74:75]
	v_cndmask_b32_e32 v91, 0x80000000, v75, vcc_lo
	v_cndmask_b32_e32 v90, 0, v74, vcc_lo
	v_lshrrev_b64 v[90:91], s48, v[90:91]
	s_delay_alu instid0(VALU_DEP_1) | instskip(SKIP_1) | instid1(VALU_DEP_2)
	v_bitop3_b32 v91, v90, 1, s55 bitop3:0x80
	v_and_b32_e32 v92, s55, v90
	v_add_co_u32 v90, s15, v91, -1
	s_delay_alu instid0(VALU_DEP_1) | instskip(NEXT) | instid1(VALU_DEP_3)
	v_cndmask_b32_e64 v91, 0, 1, s15
	v_lshlrev_b32_e32 v93, 30, v92
	s_delay_alu instid0(VALU_DEP_2) | instskip(NEXT) | instid1(VALU_DEP_2)
	v_cmp_ne_u32_e32 vcc_lo, 0, v91
	v_not_b32_e32 v91, v93
	v_cmp_gt_i32_e64 s15, 0, v93
	s_delay_alu instid0(VALU_DEP_2) | instskip(SKIP_3) | instid1(VALU_DEP_4)
	v_dual_ashrrev_i32 v91, 31, v91 :: v_dual_lshlrev_b32 v94, 29, v92
	v_dual_lshlrev_b32 v95, 28, v92 :: v_dual_lshlrev_b32 v96, 27, v92
	v_dual_lshlrev_b32 v97, 26, v92 :: v_dual_lshlrev_b32 v181, 25, v92
	v_lshlrev_b32_e32 v182, 24, v92
	v_cmp_gt_i32_e64 s16, 0, v94
	v_not_b32_e32 v93, v94
	v_not_b32_e32 v94, v95
	v_cmp_gt_i32_e64 s17, 0, v95
	v_cmp_gt_i32_e64 s18, 0, v96
	v_not_b32_e32 v95, v96
	v_not_b32_e32 v96, v97
	v_dual_ashrrev_i32 v93, 31, v93 :: v_dual_bitop2_b32 v90, vcc_lo, v90 bitop3:0x14
	v_dual_ashrrev_i32 v94, 31, v94 :: v_dual_bitop2_b32 v91, s15, v91 bitop3:0x14
	v_cmp_gt_i32_e64 s19, 0, v97
	v_cmp_gt_i32_e64 s20, 0, v181
	v_not_b32_e32 v97, v181
	v_not_b32_e32 v181, v182
	v_dual_ashrrev_i32 v95, 31, v95 :: v_dual_ashrrev_i32 v96, 31, v96
	v_xor_b32_e32 v93, s16, v93
	v_xor_b32_e32 v94, s17, v94
	v_bitop3_b32 v90, v90, v91, exec_lo bitop3:0x80
	v_cmp_gt_i32_e64 s21, 0, v182
	v_ashrrev_i32_e32 v91, 31, v97
	v_dual_ashrrev_i32 v97, 31, v181 :: v_dual_bitop2_b32 v95, s18, v95 bitop3:0x14
	v_xor_b32_e32 v96, s19, v96
	v_bitop3_b32 v90, v90, v94, v93 bitop3:0x80
	v_mad_u32_u24 v93, v92, 36, v148
	v_xor_b32_e32 v91, s20, v91
	v_xor_b32_e32 v94, s21, v97
	s_delay_alu instid0(VALU_DEP_4) | instskip(SKIP_3) | instid1(VALU_DEP_2)
	v_bitop3_b32 v90, v90, v96, v95 bitop3:0x80
	ds_load_b32 v181, v93 offset:1056
	; wave barrier
	v_bitop3_b32 v90, v90, v94, v91 bitop3:0x80
	v_mul_u32_u24_e32 v91, 36, v92
	v_mbcnt_lo_u32_b32 v182, v90, 0
	v_cmp_ne_u32_e64 s15, 0, v90
	s_delay_alu instid0(VALU_DEP_3) | instskip(NEXT) | instid1(VALU_DEP_3)
	v_add_nc_u32_e32 v183, v148, v91
	v_cmp_eq_u32_e32 vcc_lo, 0, v182
	s_and_b32 s16, s15, vcc_lo
	s_delay_alu instid0(SALU_CYCLE_1)
	s_and_saveexec_b32 s15, s16
	s_cbranch_execz .LBB1216_728
; %bb.727:                              ;   in Loop: Header=BB1216_682 Depth=2
	s_wait_dscnt 0x0
	v_bcnt_u32_b32 v90, v90, v181
	ds_store_b32 v183, v90 offset:1056
.LBB1216_728:                           ;   in Loop: Header=BB1216_682 Depth=2
	s_or_b32 exec_lo, exec_lo, s15
	v_cmp_lt_i64_e32 vcc_lo, -1, v[78:79]
	; wave barrier
	v_cndmask_b32_e64 v90, -1, 0x80000000, vcc_lo
	s_delay_alu instid0(VALU_DEP_1) | instskip(NEXT) | instid1(VALU_DEP_1)
	v_dual_ashrrev_i32 v91, 31, v79 :: v_dual_bitop2_b32 v79, v90, v79 bitop3:0x14
	v_xor_b32_e32 v78, v91, v78
	s_delay_alu instid0(VALU_DEP_1) | instskip(SKIP_2) | instid1(VALU_DEP_1)
	v_cmp_ne_u64_e32 vcc_lo, s[42:43], v[78:79]
	v_cndmask_b32_e32 v91, 0x80000000, v79, vcc_lo
	v_cndmask_b32_e32 v90, 0, v78, vcc_lo
	v_lshrrev_b64 v[90:91], s48, v[90:91]
	s_delay_alu instid0(VALU_DEP_1) | instskip(SKIP_1) | instid1(VALU_DEP_2)
	v_bitop3_b32 v91, v90, 1, s55 bitop3:0x80
	v_and_b32_e32 v92, s55, v90
	v_add_co_u32 v90, s15, v91, -1
	s_delay_alu instid0(VALU_DEP_1) | instskip(NEXT) | instid1(VALU_DEP_3)
	v_cndmask_b32_e64 v91, 0, 1, s15
	v_lshlrev_b32_e32 v93, 30, v92
	s_delay_alu instid0(VALU_DEP_2) | instskip(NEXT) | instid1(VALU_DEP_2)
	v_cmp_ne_u32_e32 vcc_lo, 0, v91
	v_not_b32_e32 v91, v93
	v_cmp_gt_i32_e64 s15, 0, v93
	s_delay_alu instid0(VALU_DEP_2) | instskip(SKIP_3) | instid1(VALU_DEP_4)
	v_dual_ashrrev_i32 v91, 31, v91 :: v_dual_lshlrev_b32 v94, 29, v92
	v_dual_lshlrev_b32 v95, 28, v92 :: v_dual_lshlrev_b32 v96, 27, v92
	v_dual_lshlrev_b32 v97, 26, v92 :: v_dual_lshlrev_b32 v184, 25, v92
	v_lshlrev_b32_e32 v185, 24, v92
	v_cmp_gt_i32_e64 s16, 0, v94
	v_not_b32_e32 v93, v94
	v_not_b32_e32 v94, v95
	v_cmp_gt_i32_e64 s17, 0, v95
	v_cmp_gt_i32_e64 s18, 0, v96
	v_not_b32_e32 v95, v96
	v_not_b32_e32 v96, v97
	v_dual_ashrrev_i32 v93, 31, v93 :: v_dual_bitop2_b32 v90, vcc_lo, v90 bitop3:0x14
	v_dual_ashrrev_i32 v94, 31, v94 :: v_dual_bitop2_b32 v91, s15, v91 bitop3:0x14
	v_cmp_gt_i32_e64 s19, 0, v97
	v_cmp_gt_i32_e64 s20, 0, v184
	v_not_b32_e32 v97, v184
	v_not_b32_e32 v184, v185
	v_dual_ashrrev_i32 v95, 31, v95 :: v_dual_ashrrev_i32 v96, 31, v96
	v_xor_b32_e32 v93, s16, v93
	v_xor_b32_e32 v94, s17, v94
	v_bitop3_b32 v90, v90, v91, exec_lo bitop3:0x80
	v_cmp_gt_i32_e64 s21, 0, v185
	v_dual_ashrrev_i32 v91, 31, v97 :: v_dual_ashrrev_i32 v97, 31, v184
	v_xor_b32_e32 v95, s18, v95
	v_xor_b32_e32 v96, s19, v96
	v_bitop3_b32 v90, v90, v94, v93 bitop3:0x80
	v_mad_u32_u24 v93, v92, 36, v148
	v_xor_b32_e32 v91, s20, v91
	v_xor_b32_e32 v94, s21, v97
	s_delay_alu instid0(VALU_DEP_4) | instskip(SKIP_3) | instid1(VALU_DEP_2)
	v_bitop3_b32 v90, v90, v96, v95 bitop3:0x80
	ds_load_b32 v184, v93 offset:1056
	; wave barrier
	v_bitop3_b32 v90, v90, v94, v91 bitop3:0x80
	v_mul_u32_u24_e32 v91, 36, v92
	v_mbcnt_lo_u32_b32 v185, v90, 0
	v_cmp_ne_u32_e64 s15, 0, v90
	s_delay_alu instid0(VALU_DEP_3) | instskip(NEXT) | instid1(VALU_DEP_3)
	v_add_nc_u32_e32 v186, v148, v91
	v_cmp_eq_u32_e32 vcc_lo, 0, v185
	s_and_b32 s16, s15, vcc_lo
	s_delay_alu instid0(SALU_CYCLE_1)
	s_and_saveexec_b32 s15, s16
	s_cbranch_execz .LBB1216_730
; %bb.729:                              ;   in Loop: Header=BB1216_682 Depth=2
	s_wait_dscnt 0x0
	v_bcnt_u32_b32 v90, v90, v184
	ds_store_b32 v186, v90 offset:1056
.LBB1216_730:                           ;   in Loop: Header=BB1216_682 Depth=2
	s_or_b32 exec_lo, exec_lo, s15
	v_cmp_lt_i64_e32 vcc_lo, -1, v[82:83]
	; wave barrier
	v_cndmask_b32_e64 v90, -1, 0x80000000, vcc_lo
	s_delay_alu instid0(VALU_DEP_1) | instskip(NEXT) | instid1(VALU_DEP_1)
	v_dual_ashrrev_i32 v91, 31, v83 :: v_dual_bitop2_b32 v83, v90, v83 bitop3:0x14
	v_xor_b32_e32 v82, v91, v82
	s_delay_alu instid0(VALU_DEP_1) | instskip(SKIP_2) | instid1(VALU_DEP_1)
	v_cmp_ne_u64_e32 vcc_lo, s[42:43], v[82:83]
	v_cndmask_b32_e32 v91, 0x80000000, v83, vcc_lo
	v_cndmask_b32_e32 v90, 0, v82, vcc_lo
	v_lshrrev_b64 v[90:91], s48, v[90:91]
	s_delay_alu instid0(VALU_DEP_1) | instskip(SKIP_1) | instid1(VALU_DEP_2)
	v_bitop3_b32 v91, v90, 1, s55 bitop3:0x80
	v_and_b32_e32 v92, s55, v90
	v_add_co_u32 v90, s15, v91, -1
	s_delay_alu instid0(VALU_DEP_1) | instskip(NEXT) | instid1(VALU_DEP_3)
	v_cndmask_b32_e64 v91, 0, 1, s15
	v_lshlrev_b32_e32 v93, 30, v92
	s_delay_alu instid0(VALU_DEP_2) | instskip(NEXT) | instid1(VALU_DEP_2)
	v_cmp_ne_u32_e32 vcc_lo, 0, v91
	v_not_b32_e32 v91, v93
	v_cmp_gt_i32_e64 s15, 0, v93
	s_delay_alu instid0(VALU_DEP_2) | instskip(SKIP_3) | instid1(VALU_DEP_4)
	v_dual_ashrrev_i32 v91, 31, v91 :: v_dual_lshlrev_b32 v94, 29, v92
	v_dual_lshlrev_b32 v95, 28, v92 :: v_dual_lshlrev_b32 v96, 27, v92
	v_dual_lshlrev_b32 v97, 26, v92 :: v_dual_lshlrev_b32 v187, 25, v92
	v_lshlrev_b32_e32 v188, 24, v92
	v_cmp_gt_i32_e64 s16, 0, v94
	v_not_b32_e32 v93, v94
	v_not_b32_e32 v94, v95
	v_cmp_gt_i32_e64 s17, 0, v95
	v_cmp_gt_i32_e64 s18, 0, v96
	v_not_b32_e32 v95, v96
	v_not_b32_e32 v96, v97
	v_dual_ashrrev_i32 v93, 31, v93 :: v_dual_bitop2_b32 v90, vcc_lo, v90 bitop3:0x14
	v_dual_ashrrev_i32 v94, 31, v94 :: v_dual_bitop2_b32 v91, s15, v91 bitop3:0x14
	v_cmp_gt_i32_e64 s19, 0, v97
	v_cmp_gt_i32_e64 s20, 0, v187
	v_not_b32_e32 v97, v187
	v_not_b32_e32 v187, v188
	v_dual_ashrrev_i32 v95, 31, v95 :: v_dual_ashrrev_i32 v96, 31, v96
	v_xor_b32_e32 v93, s16, v93
	v_xor_b32_e32 v94, s17, v94
	v_bitop3_b32 v90, v90, v91, exec_lo bitop3:0x80
	v_cmp_gt_i32_e64 s21, 0, v188
	v_dual_ashrrev_i32 v91, 31, v97 :: v_dual_ashrrev_i32 v97, 31, v187
	v_xor_b32_e32 v95, s18, v95
	v_xor_b32_e32 v96, s19, v96
	v_bitop3_b32 v90, v90, v94, v93 bitop3:0x80
	v_mad_u32_u24 v93, v92, 36, v148
	v_xor_b32_e32 v91, s20, v91
	v_xor_b32_e32 v94, s21, v97
	s_delay_alu instid0(VALU_DEP_4) | instskip(SKIP_3) | instid1(VALU_DEP_2)
	v_bitop3_b32 v90, v90, v96, v95 bitop3:0x80
	ds_load_b32 v187, v93 offset:1056
	; wave barrier
	v_bitop3_b32 v90, v90, v94, v91 bitop3:0x80
	v_mul_u32_u24_e32 v91, 36, v92
	v_mbcnt_lo_u32_b32 v188, v90, 0
	v_cmp_ne_u32_e64 s15, 0, v90
	s_delay_alu instid0(VALU_DEP_3) | instskip(NEXT) | instid1(VALU_DEP_3)
	v_add_nc_u32_e32 v189, v148, v91
	v_cmp_eq_u32_e32 vcc_lo, 0, v188
	s_and_b32 s16, s15, vcc_lo
	s_delay_alu instid0(SALU_CYCLE_1)
	s_and_saveexec_b32 s15, s16
	s_cbranch_execz .LBB1216_732
; %bb.731:                              ;   in Loop: Header=BB1216_682 Depth=2
	s_wait_dscnt 0x0
	v_bcnt_u32_b32 v90, v90, v187
	ds_store_b32 v189, v90 offset:1056
.LBB1216_732:                           ;   in Loop: Header=BB1216_682 Depth=2
	s_or_b32 exec_lo, exec_lo, s15
	v_cmp_lt_i64_e32 vcc_lo, -1, v[86:87]
	; wave barrier
	v_cndmask_b32_e64 v90, -1, 0x80000000, vcc_lo
	s_delay_alu instid0(VALU_DEP_1) | instskip(NEXT) | instid1(VALU_DEP_1)
	v_dual_ashrrev_i32 v91, 31, v87 :: v_dual_bitop2_b32 v87, v90, v87 bitop3:0x14
	v_xor_b32_e32 v86, v91, v86
	s_delay_alu instid0(VALU_DEP_1) | instskip(SKIP_2) | instid1(VALU_DEP_1)
	v_cmp_ne_u64_e32 vcc_lo, s[42:43], v[86:87]
	v_cndmask_b32_e32 v91, 0x80000000, v87, vcc_lo
	v_cndmask_b32_e32 v90, 0, v86, vcc_lo
	v_lshrrev_b64 v[90:91], s48, v[90:91]
	s_delay_alu instid0(VALU_DEP_1) | instskip(SKIP_1) | instid1(VALU_DEP_2)
	v_bitop3_b32 v91, v90, 1, s55 bitop3:0x80
	v_and_b32_e32 v92, s55, v90
	v_add_co_u32 v90, s15, v91, -1
	s_delay_alu instid0(VALU_DEP_1) | instskip(NEXT) | instid1(VALU_DEP_3)
	v_cndmask_b32_e64 v91, 0, 1, s15
	v_lshlrev_b32_e32 v93, 30, v92
	s_delay_alu instid0(VALU_DEP_2) | instskip(NEXT) | instid1(VALU_DEP_2)
	v_cmp_ne_u32_e32 vcc_lo, 0, v91
	v_not_b32_e32 v91, v93
	v_cmp_gt_i32_e64 s15, 0, v93
	s_delay_alu instid0(VALU_DEP_2) | instskip(SKIP_3) | instid1(VALU_DEP_4)
	v_dual_ashrrev_i32 v91, 31, v91 :: v_dual_lshlrev_b32 v94, 29, v92
	v_dual_lshlrev_b32 v95, 28, v92 :: v_dual_lshlrev_b32 v96, 27, v92
	v_dual_lshlrev_b32 v97, 26, v92 :: v_dual_lshlrev_b32 v190, 25, v92
	v_lshlrev_b32_e32 v191, 24, v92
	v_cmp_gt_i32_e64 s16, 0, v94
	v_not_b32_e32 v93, v94
	v_not_b32_e32 v94, v95
	v_cmp_gt_i32_e64 s17, 0, v95
	v_cmp_gt_i32_e64 s18, 0, v96
	v_not_b32_e32 v95, v96
	v_not_b32_e32 v96, v97
	v_dual_ashrrev_i32 v93, 31, v93 :: v_dual_bitop2_b32 v90, vcc_lo, v90 bitop3:0x14
	v_dual_ashrrev_i32 v94, 31, v94 :: v_dual_bitop2_b32 v91, s15, v91 bitop3:0x14
	v_cmp_gt_i32_e64 s19, 0, v97
	v_cmp_gt_i32_e64 s20, 0, v190
	v_not_b32_e32 v97, v190
	v_not_b32_e32 v190, v191
	v_dual_ashrrev_i32 v95, 31, v95 :: v_dual_ashrrev_i32 v96, 31, v96
	v_xor_b32_e32 v93, s16, v93
	v_xor_b32_e32 v94, s17, v94
	v_bitop3_b32 v90, v90, v91, exec_lo bitop3:0x80
	v_cmp_gt_i32_e64 s21, 0, v191
	v_dual_ashrrev_i32 v91, 31, v97 :: v_dual_ashrrev_i32 v97, 31, v190
	v_xor_b32_e32 v95, s18, v95
	v_xor_b32_e32 v96, s19, v96
	v_bitop3_b32 v90, v90, v94, v93 bitop3:0x80
	v_mad_u32_u24 v93, v92, 36, v148
	v_xor_b32_e32 v91, s20, v91
	v_xor_b32_e32 v94, s21, v97
	s_delay_alu instid0(VALU_DEP_4) | instskip(SKIP_3) | instid1(VALU_DEP_2)
	v_bitop3_b32 v90, v90, v96, v95 bitop3:0x80
	ds_load_b32 v190, v93 offset:1056
	; wave barrier
	v_bitop3_b32 v90, v90, v94, v91 bitop3:0x80
	v_mul_u32_u24_e32 v91, 36, v92
	v_mbcnt_lo_u32_b32 v191, v90, 0
	v_cmp_ne_u32_e64 s15, 0, v90
	s_delay_alu instid0(VALU_DEP_3) | instskip(NEXT) | instid1(VALU_DEP_3)
	v_add_nc_u32_e32 v192, v148, v91
	v_cmp_eq_u32_e32 vcc_lo, 0, v191
	s_and_b32 s16, s15, vcc_lo
	s_delay_alu instid0(SALU_CYCLE_1)
	s_and_saveexec_b32 s15, s16
	s_cbranch_execz .LBB1216_734
; %bb.733:                              ;   in Loop: Header=BB1216_682 Depth=2
	s_wait_dscnt 0x0
	v_bcnt_u32_b32 v90, v90, v190
	ds_store_b32 v192, v90 offset:1056
.LBB1216_734:                           ;   in Loop: Header=BB1216_682 Depth=2
	s_or_b32 exec_lo, exec_lo, s15
	v_cmp_lt_i64_e32 vcc_lo, -1, v[88:89]
	; wave barrier
	v_cndmask_b32_e64 v90, -1, 0x80000000, vcc_lo
	s_delay_alu instid0(VALU_DEP_1) | instskip(NEXT) | instid1(VALU_DEP_1)
	v_dual_ashrrev_i32 v91, 31, v89 :: v_dual_bitop2_b32 v89, v90, v89 bitop3:0x14
	v_xor_b32_e32 v88, v91, v88
	s_delay_alu instid0(VALU_DEP_1) | instskip(SKIP_2) | instid1(VALU_DEP_1)
	v_cmp_ne_u64_e32 vcc_lo, s[42:43], v[88:89]
	v_cndmask_b32_e32 v91, 0x80000000, v89, vcc_lo
	v_cndmask_b32_e32 v90, 0, v88, vcc_lo
	v_lshrrev_b64 v[90:91], s48, v[90:91]
	s_delay_alu instid0(VALU_DEP_1) | instskip(SKIP_1) | instid1(VALU_DEP_2)
	v_bitop3_b32 v91, v90, 1, s55 bitop3:0x80
	v_and_b32_e32 v92, s55, v90
	v_add_co_u32 v90, s15, v91, -1
	s_delay_alu instid0(VALU_DEP_1) | instskip(NEXT) | instid1(VALU_DEP_3)
	v_cndmask_b32_e64 v91, 0, 1, s15
	v_dual_lshlrev_b32 v93, 30, v92 :: v_dual_lshlrev_b32 v95, 28, v92
	v_dual_lshlrev_b32 v94, 29, v92 :: v_dual_lshlrev_b32 v96, 27, v92
	s_delay_alu instid0(VALU_DEP_3) | instskip(NEXT) | instid1(VALU_DEP_3)
	v_cmp_ne_u32_e32 vcc_lo, 0, v91
	v_cmp_gt_i32_e64 s15, 0, v93
	v_not_b32_e32 v91, v93
	s_delay_alu instid0(VALU_DEP_4) | instskip(SKIP_4) | instid1(VALU_DEP_4)
	v_cmp_gt_i32_e64 s16, 0, v94
	v_not_b32_e32 v93, v94
	v_cmp_gt_i32_e64 s17, 0, v95
	v_not_b32_e32 v94, v95
	v_not_b32_e32 v95, v96
	v_dual_ashrrev_i32 v91, 31, v91 :: v_dual_ashrrev_i32 v93, 31, v93
	s_delay_alu instid0(VALU_DEP_2) | instskip(SKIP_4) | instid1(VALU_DEP_4)
	v_dual_ashrrev_i32 v94, 31, v94 :: v_dual_ashrrev_i32 v95, 31, v95
	v_dual_lshlrev_b32 v97, 26, v92 :: v_dual_lshlrev_b32 v193, 25, v92
	v_lshlrev_b32_e32 v194, 24, v92
	v_cmp_gt_i32_e64 s18, 0, v96
	v_xor_b32_e32 v91, s15, v91
	v_not_b32_e32 v96, v97
	v_xor_b32_e32 v90, vcc_lo, v90
	v_cmp_gt_i32_e64 s19, 0, v97
	v_cmp_gt_i32_e64 s20, 0, v193
	v_not_b32_e32 v97, v193
	v_not_b32_e32 v193, v194
	v_dual_ashrrev_i32 v96, 31, v96 :: v_dual_bitop2_b32 v93, s16, v93 bitop3:0x14
	v_xor_b32_e32 v94, s17, v94
	v_bitop3_b32 v90, v90, v91, exec_lo bitop3:0x80
	v_cmp_gt_i32_e64 s21, 0, v194
	v_ashrrev_i32_e32 v91, 31, v97
	v_dual_ashrrev_i32 v97, 31, v193 :: v_dual_bitop2_b32 v95, s18, v95 bitop3:0x14
	v_xor_b32_e32 v96, s19, v96
	v_bitop3_b32 v90, v90, v94, v93 bitop3:0x80
	v_mad_u32_u24 v93, v92, 36, v148
	v_xor_b32_e32 v91, s20, v91
	v_xor_b32_e32 v94, s21, v97
	s_delay_alu instid0(VALU_DEP_4) | instskip(SKIP_3) | instid1(VALU_DEP_2)
	v_bitop3_b32 v90, v90, v96, v95 bitop3:0x80
	ds_load_b32 v193, v93 offset:1056
	; wave barrier
	v_bitop3_b32 v90, v90, v94, v91 bitop3:0x80
	v_mul_u32_u24_e32 v91, 36, v92
	v_mbcnt_lo_u32_b32 v194, v90, 0
	v_cmp_ne_u32_e64 s15, 0, v90
	s_delay_alu instid0(VALU_DEP_3) | instskip(NEXT) | instid1(VALU_DEP_3)
	v_add_nc_u32_e32 v195, v148, v91
	v_cmp_eq_u32_e32 vcc_lo, 0, v194
	s_and_b32 s16, s15, vcc_lo
	s_delay_alu instid0(SALU_CYCLE_1)
	s_and_saveexec_b32 s15, s16
	s_cbranch_execz .LBB1216_736
; %bb.735:                              ;   in Loop: Header=BB1216_682 Depth=2
	s_wait_dscnt 0x0
	v_bcnt_u32_b32 v90, v90, v193
	ds_store_b32 v195, v90 offset:1056
.LBB1216_736:                           ;   in Loop: Header=BB1216_682 Depth=2
	s_or_b32 exec_lo, exec_lo, s15
	v_cmp_lt_i64_e32 vcc_lo, -1, v[84:85]
	; wave barrier
	v_cndmask_b32_e64 v90, -1, 0x80000000, vcc_lo
	s_delay_alu instid0(VALU_DEP_1) | instskip(NEXT) | instid1(VALU_DEP_1)
	v_dual_ashrrev_i32 v91, 31, v85 :: v_dual_bitop2_b32 v85, v90, v85 bitop3:0x14
	v_xor_b32_e32 v84, v91, v84
	s_delay_alu instid0(VALU_DEP_1) | instskip(SKIP_2) | instid1(VALU_DEP_1)
	v_cmp_ne_u64_e32 vcc_lo, s[42:43], v[84:85]
	v_cndmask_b32_e32 v91, 0x80000000, v85, vcc_lo
	v_cndmask_b32_e32 v90, 0, v84, vcc_lo
	v_lshrrev_b64 v[90:91], s48, v[90:91]
	s_delay_alu instid0(VALU_DEP_1) | instskip(SKIP_1) | instid1(VALU_DEP_2)
	v_bitop3_b32 v91, v90, 1, s55 bitop3:0x80
	v_and_b32_e32 v92, s55, v90
	v_add_co_u32 v90, s15, v91, -1
	s_delay_alu instid0(VALU_DEP_1) | instskip(NEXT) | instid1(VALU_DEP_3)
	v_cndmask_b32_e64 v91, 0, 1, s15
	v_dual_lshlrev_b32 v93, 30, v92 :: v_dual_lshlrev_b32 v95, 28, v92
	v_dual_lshlrev_b32 v94, 29, v92 :: v_dual_lshlrev_b32 v96, 27, v92
	s_delay_alu instid0(VALU_DEP_3) | instskip(NEXT) | instid1(VALU_DEP_3)
	v_cmp_ne_u32_e32 vcc_lo, 0, v91
	v_cmp_gt_i32_e64 s15, 0, v93
	v_not_b32_e32 v91, v93
	s_delay_alu instid0(VALU_DEP_4) | instskip(SKIP_4) | instid1(VALU_DEP_4)
	v_cmp_gt_i32_e64 s16, 0, v94
	v_not_b32_e32 v93, v94
	v_cmp_gt_i32_e64 s17, 0, v95
	v_not_b32_e32 v94, v95
	v_not_b32_e32 v95, v96
	v_dual_ashrrev_i32 v91, 31, v91 :: v_dual_ashrrev_i32 v93, 31, v93
	s_delay_alu instid0(VALU_DEP_2) | instskip(SKIP_4) | instid1(VALU_DEP_4)
	v_dual_ashrrev_i32 v94, 31, v94 :: v_dual_ashrrev_i32 v95, 31, v95
	v_dual_lshlrev_b32 v97, 26, v92 :: v_dual_lshlrev_b32 v196, 25, v92
	v_lshlrev_b32_e32 v197, 24, v92
	v_cmp_gt_i32_e64 s18, 0, v96
	v_xor_b32_e32 v91, s15, v91
	v_not_b32_e32 v96, v97
	v_xor_b32_e32 v90, vcc_lo, v90
	v_cmp_gt_i32_e64 s19, 0, v97
	v_cmp_gt_i32_e64 s20, 0, v196
	v_not_b32_e32 v97, v196
	v_not_b32_e32 v196, v197
	v_dual_ashrrev_i32 v96, 31, v96 :: v_dual_bitop2_b32 v93, s16, v93 bitop3:0x14
	v_xor_b32_e32 v94, s17, v94
	v_bitop3_b32 v90, v90, v91, exec_lo bitop3:0x80
	v_cmp_gt_i32_e64 s21, 0, v197
	v_dual_ashrrev_i32 v91, 31, v97 :: v_dual_ashrrev_i32 v97, 31, v196
	v_xor_b32_e32 v95, s18, v95
	v_xor_b32_e32 v96, s19, v96
	v_bitop3_b32 v90, v90, v94, v93 bitop3:0x80
	v_mad_u32_u24 v93, v92, 36, v148
	v_xor_b32_e32 v91, s20, v91
	v_xor_b32_e32 v94, s21, v97
	s_delay_alu instid0(VALU_DEP_4) | instskip(SKIP_3) | instid1(VALU_DEP_2)
	v_bitop3_b32 v90, v90, v96, v95 bitop3:0x80
	ds_load_b32 v196, v93 offset:1056
	; wave barrier
	v_bitop3_b32 v90, v90, v94, v91 bitop3:0x80
	v_mul_u32_u24_e32 v91, 36, v92
	v_mbcnt_lo_u32_b32 v197, v90, 0
	v_cmp_ne_u32_e64 s15, 0, v90
	s_delay_alu instid0(VALU_DEP_3) | instskip(NEXT) | instid1(VALU_DEP_3)
	v_add_nc_u32_e32 v198, v148, v91
	v_cmp_eq_u32_e32 vcc_lo, 0, v197
	s_and_b32 s16, s15, vcc_lo
	s_delay_alu instid0(SALU_CYCLE_1)
	s_and_saveexec_b32 s15, s16
	s_cbranch_execz .LBB1216_738
; %bb.737:                              ;   in Loop: Header=BB1216_682 Depth=2
	s_wait_dscnt 0x0
	v_bcnt_u32_b32 v90, v90, v196
	ds_store_b32 v198, v90 offset:1056
.LBB1216_738:                           ;   in Loop: Header=BB1216_682 Depth=2
	s_or_b32 exec_lo, exec_lo, s15
	v_cmp_lt_i64_e32 vcc_lo, -1, v[80:81]
	; wave barrier
	v_cndmask_b32_e64 v90, -1, 0x80000000, vcc_lo
	s_delay_alu instid0(VALU_DEP_1) | instskip(NEXT) | instid1(VALU_DEP_1)
	v_dual_ashrrev_i32 v91, 31, v81 :: v_dual_bitop2_b32 v81, v90, v81 bitop3:0x14
	v_xor_b32_e32 v80, v91, v80
	s_delay_alu instid0(VALU_DEP_1) | instskip(SKIP_2) | instid1(VALU_DEP_1)
	v_cmp_ne_u64_e32 vcc_lo, s[42:43], v[80:81]
	v_cndmask_b32_e32 v91, 0x80000000, v81, vcc_lo
	v_cndmask_b32_e32 v90, 0, v80, vcc_lo
	v_lshrrev_b64 v[90:91], s48, v[90:91]
	s_delay_alu instid0(VALU_DEP_1) | instskip(SKIP_1) | instid1(VALU_DEP_2)
	v_bitop3_b32 v91, v90, 1, s55 bitop3:0x80
	v_and_b32_e32 v92, s55, v90
	v_add_co_u32 v90, s15, v91, -1
	s_delay_alu instid0(VALU_DEP_1) | instskip(NEXT) | instid1(VALU_DEP_3)
	v_cndmask_b32_e64 v91, 0, 1, s15
	v_dual_lshlrev_b32 v93, 30, v92 :: v_dual_lshlrev_b32 v95, 28, v92
	v_dual_lshlrev_b32 v94, 29, v92 :: v_dual_lshlrev_b32 v96, 27, v92
	s_delay_alu instid0(VALU_DEP_3) | instskip(NEXT) | instid1(VALU_DEP_3)
	v_cmp_ne_u32_e32 vcc_lo, 0, v91
	v_cmp_gt_i32_e64 s15, 0, v93
	v_not_b32_e32 v91, v93
	s_delay_alu instid0(VALU_DEP_4) | instskip(SKIP_4) | instid1(VALU_DEP_4)
	v_cmp_gt_i32_e64 s16, 0, v94
	v_not_b32_e32 v93, v94
	v_cmp_gt_i32_e64 s17, 0, v95
	v_not_b32_e32 v94, v95
	v_not_b32_e32 v95, v96
	v_dual_ashrrev_i32 v91, 31, v91 :: v_dual_ashrrev_i32 v93, 31, v93
	s_delay_alu instid0(VALU_DEP_2) | instskip(SKIP_4) | instid1(VALU_DEP_4)
	v_dual_ashrrev_i32 v94, 31, v94 :: v_dual_ashrrev_i32 v95, 31, v95
	v_dual_lshlrev_b32 v97, 26, v92 :: v_dual_lshlrev_b32 v199, 25, v92
	v_lshlrev_b32_e32 v200, 24, v92
	v_cmp_gt_i32_e64 s18, 0, v96
	v_xor_b32_e32 v91, s15, v91
	v_not_b32_e32 v96, v97
	v_xor_b32_e32 v90, vcc_lo, v90
	v_cmp_gt_i32_e64 s19, 0, v97
	v_cmp_gt_i32_e64 s20, 0, v199
	v_not_b32_e32 v97, v199
	v_not_b32_e32 v199, v200
	v_dual_ashrrev_i32 v96, 31, v96 :: v_dual_bitop2_b32 v93, s16, v93 bitop3:0x14
	v_xor_b32_e32 v94, s17, v94
	v_bitop3_b32 v90, v90, v91, exec_lo bitop3:0x80
	v_cmp_gt_i32_e64 s21, 0, v200
	v_dual_ashrrev_i32 v91, 31, v97 :: v_dual_ashrrev_i32 v97, 31, v199
	v_xor_b32_e32 v95, s18, v95
	v_xor_b32_e32 v96, s19, v96
	v_bitop3_b32 v90, v90, v94, v93 bitop3:0x80
	v_mad_u32_u24 v93, v92, 36, v148
	v_xor_b32_e32 v91, s20, v91
	v_xor_b32_e32 v94, s21, v97
	s_delay_alu instid0(VALU_DEP_4) | instskip(SKIP_3) | instid1(VALU_DEP_2)
	v_bitop3_b32 v90, v90, v96, v95 bitop3:0x80
	ds_load_b32 v199, v93 offset:1056
	; wave barrier
	v_bitop3_b32 v90, v90, v94, v91 bitop3:0x80
	v_mul_u32_u24_e32 v91, 36, v92
	v_mbcnt_lo_u32_b32 v200, v90, 0
	v_cmp_ne_u32_e64 s15, 0, v90
	s_delay_alu instid0(VALU_DEP_3) | instskip(NEXT) | instid1(VALU_DEP_3)
	v_add_nc_u32_e32 v201, v148, v91
	v_cmp_eq_u32_e32 vcc_lo, 0, v200
	s_and_b32 s16, s15, vcc_lo
	s_delay_alu instid0(SALU_CYCLE_1)
	s_and_saveexec_b32 s15, s16
	s_cbranch_execz .LBB1216_740
; %bb.739:                              ;   in Loop: Header=BB1216_682 Depth=2
	s_wait_dscnt 0x0
	v_bcnt_u32_b32 v90, v90, v199
	ds_store_b32 v201, v90 offset:1056
.LBB1216_740:                           ;   in Loop: Header=BB1216_682 Depth=2
	s_or_b32 exec_lo, exec_lo, s15
	v_cmp_lt_i64_e32 vcc_lo, -1, v[76:77]
	; wave barrier
	v_cndmask_b32_e64 v90, -1, 0x80000000, vcc_lo
	s_delay_alu instid0(VALU_DEP_1) | instskip(NEXT) | instid1(VALU_DEP_1)
	v_dual_ashrrev_i32 v91, 31, v77 :: v_dual_bitop2_b32 v77, v90, v77 bitop3:0x14
	v_xor_b32_e32 v76, v91, v76
	s_delay_alu instid0(VALU_DEP_1) | instskip(SKIP_2) | instid1(VALU_DEP_1)
	v_cmp_ne_u64_e32 vcc_lo, s[42:43], v[76:77]
	v_cndmask_b32_e32 v91, 0x80000000, v77, vcc_lo
	v_cndmask_b32_e32 v90, 0, v76, vcc_lo
	v_lshrrev_b64 v[90:91], s48, v[90:91]
	s_delay_alu instid0(VALU_DEP_1) | instskip(SKIP_1) | instid1(VALU_DEP_2)
	v_bitop3_b32 v91, v90, 1, s55 bitop3:0x80
	v_and_b32_e32 v92, s55, v90
	v_add_co_u32 v90, s15, v91, -1
	s_delay_alu instid0(VALU_DEP_1) | instskip(NEXT) | instid1(VALU_DEP_3)
	v_cndmask_b32_e64 v91, 0, 1, s15
	v_dual_lshlrev_b32 v93, 30, v92 :: v_dual_lshlrev_b32 v95, 28, v92
	v_dual_lshlrev_b32 v94, 29, v92 :: v_dual_lshlrev_b32 v96, 27, v92
	s_delay_alu instid0(VALU_DEP_3) | instskip(NEXT) | instid1(VALU_DEP_3)
	v_cmp_ne_u32_e32 vcc_lo, 0, v91
	v_cmp_gt_i32_e64 s15, 0, v93
	v_not_b32_e32 v91, v93
	s_delay_alu instid0(VALU_DEP_4) | instskip(SKIP_4) | instid1(VALU_DEP_4)
	v_cmp_gt_i32_e64 s16, 0, v94
	v_not_b32_e32 v93, v94
	v_cmp_gt_i32_e64 s17, 0, v95
	v_not_b32_e32 v94, v95
	v_not_b32_e32 v95, v96
	v_dual_ashrrev_i32 v91, 31, v91 :: v_dual_ashrrev_i32 v93, 31, v93
	s_delay_alu instid0(VALU_DEP_2) | instskip(SKIP_4) | instid1(VALU_DEP_4)
	v_dual_ashrrev_i32 v94, 31, v94 :: v_dual_ashrrev_i32 v95, 31, v95
	v_dual_lshlrev_b32 v97, 26, v92 :: v_dual_lshlrev_b32 v202, 25, v92
	v_lshlrev_b32_e32 v203, 24, v92
	v_cmp_gt_i32_e64 s18, 0, v96
	v_xor_b32_e32 v91, s15, v91
	v_not_b32_e32 v96, v97
	v_xor_b32_e32 v90, vcc_lo, v90
	v_cmp_gt_i32_e64 s19, 0, v97
	v_cmp_gt_i32_e64 s20, 0, v202
	v_not_b32_e32 v97, v202
	v_not_b32_e32 v202, v203
	v_dual_ashrrev_i32 v96, 31, v96 :: v_dual_bitop2_b32 v93, s16, v93 bitop3:0x14
	v_xor_b32_e32 v94, s17, v94
	v_bitop3_b32 v90, v90, v91, exec_lo bitop3:0x80
	v_cmp_gt_i32_e64 s21, 0, v203
	v_dual_ashrrev_i32 v91, 31, v97 :: v_dual_ashrrev_i32 v97, 31, v202
	v_xor_b32_e32 v95, s18, v95
	v_xor_b32_e32 v96, s19, v96
	v_bitop3_b32 v90, v90, v94, v93 bitop3:0x80
	v_mad_u32_u24 v93, v92, 36, v148
	v_xor_b32_e32 v91, s20, v91
	v_xor_b32_e32 v94, s21, v97
	s_delay_alu instid0(VALU_DEP_4) | instskip(SKIP_3) | instid1(VALU_DEP_2)
	v_bitop3_b32 v90, v90, v96, v95 bitop3:0x80
	ds_load_b32 v202, v93 offset:1056
	; wave barrier
	v_bitop3_b32 v90, v90, v94, v91 bitop3:0x80
	v_mul_u32_u24_e32 v91, 36, v92
	v_mbcnt_lo_u32_b32 v203, v90, 0
	v_cmp_ne_u32_e64 s15, 0, v90
	s_delay_alu instid0(VALU_DEP_3) | instskip(NEXT) | instid1(VALU_DEP_3)
	v_add_nc_u32_e32 v204, v148, v91
	v_cmp_eq_u32_e32 vcc_lo, 0, v203
	s_and_b32 s16, s15, vcc_lo
	s_delay_alu instid0(SALU_CYCLE_1)
	s_and_saveexec_b32 s15, s16
	s_cbranch_execz .LBB1216_742
; %bb.741:                              ;   in Loop: Header=BB1216_682 Depth=2
	s_wait_dscnt 0x0
	v_bcnt_u32_b32 v90, v90, v202
	ds_store_b32 v204, v90 offset:1056
.LBB1216_742:                           ;   in Loop: Header=BB1216_682 Depth=2
	s_or_b32 exec_lo, exec_lo, s15
	v_cmp_lt_i64_e32 vcc_lo, -1, v[72:73]
	; wave barrier
	v_cndmask_b32_e64 v90, -1, 0x80000000, vcc_lo
	s_delay_alu instid0(VALU_DEP_1) | instskip(NEXT) | instid1(VALU_DEP_1)
	v_dual_ashrrev_i32 v91, 31, v73 :: v_dual_bitop2_b32 v73, v90, v73 bitop3:0x14
	v_xor_b32_e32 v72, v91, v72
	s_delay_alu instid0(VALU_DEP_1) | instskip(SKIP_2) | instid1(VALU_DEP_1)
	v_cmp_ne_u64_e32 vcc_lo, s[42:43], v[72:73]
	v_cndmask_b32_e32 v91, 0x80000000, v73, vcc_lo
	v_cndmask_b32_e32 v90, 0, v72, vcc_lo
	v_lshrrev_b64 v[90:91], s48, v[90:91]
	s_delay_alu instid0(VALU_DEP_1) | instskip(SKIP_1) | instid1(VALU_DEP_2)
	v_bitop3_b32 v91, v90, 1, s55 bitop3:0x80
	v_and_b32_e32 v92, s55, v90
	v_add_co_u32 v90, s15, v91, -1
	s_delay_alu instid0(VALU_DEP_1) | instskip(NEXT) | instid1(VALU_DEP_3)
	v_cndmask_b32_e64 v91, 0, 1, s15
	v_dual_lshlrev_b32 v93, 30, v92 :: v_dual_lshlrev_b32 v95, 28, v92
	v_dual_lshlrev_b32 v94, 29, v92 :: v_dual_lshlrev_b32 v96, 27, v92
	s_delay_alu instid0(VALU_DEP_3) | instskip(NEXT) | instid1(VALU_DEP_3)
	v_cmp_ne_u32_e32 vcc_lo, 0, v91
	v_cmp_gt_i32_e64 s15, 0, v93
	v_not_b32_e32 v91, v93
	s_delay_alu instid0(VALU_DEP_4) | instskip(SKIP_4) | instid1(VALU_DEP_4)
	v_cmp_gt_i32_e64 s16, 0, v94
	v_not_b32_e32 v93, v94
	v_cmp_gt_i32_e64 s17, 0, v95
	v_not_b32_e32 v94, v95
	v_not_b32_e32 v95, v96
	v_dual_ashrrev_i32 v91, 31, v91 :: v_dual_ashrrev_i32 v93, 31, v93
	s_delay_alu instid0(VALU_DEP_2) | instskip(SKIP_4) | instid1(VALU_DEP_4)
	v_dual_ashrrev_i32 v94, 31, v94 :: v_dual_ashrrev_i32 v95, 31, v95
	v_dual_lshlrev_b32 v97, 26, v92 :: v_dual_lshlrev_b32 v205, 25, v92
	v_lshlrev_b32_e32 v206, 24, v92
	v_cmp_gt_i32_e64 s18, 0, v96
	v_xor_b32_e32 v91, s15, v91
	v_not_b32_e32 v96, v97
	v_xor_b32_e32 v90, vcc_lo, v90
	v_cmp_gt_i32_e64 s19, 0, v97
	v_cmp_gt_i32_e64 s20, 0, v205
	v_not_b32_e32 v97, v205
	v_not_b32_e32 v205, v206
	v_dual_ashrrev_i32 v96, 31, v96 :: v_dual_bitop2_b32 v93, s16, v93 bitop3:0x14
	v_xor_b32_e32 v94, s17, v94
	v_bitop3_b32 v90, v90, v91, exec_lo bitop3:0x80
	v_cmp_gt_i32_e64 s21, 0, v206
	v_ashrrev_i32_e32 v91, 31, v97
	v_dual_ashrrev_i32 v97, 31, v205 :: v_dual_bitop2_b32 v95, s18, v95 bitop3:0x14
	v_xor_b32_e32 v96, s19, v96
	v_bitop3_b32 v90, v90, v94, v93 bitop3:0x80
	v_mad_u32_u24 v93, v92, 36, v148
	v_xor_b32_e32 v91, s20, v91
	v_xor_b32_e32 v94, s21, v97
	s_delay_alu instid0(VALU_DEP_4) | instskip(SKIP_3) | instid1(VALU_DEP_2)
	v_bitop3_b32 v90, v90, v96, v95 bitop3:0x80
	ds_load_b32 v205, v93 offset:1056
	; wave barrier
	v_bitop3_b32 v90, v90, v94, v91 bitop3:0x80
	v_mul_u32_u24_e32 v91, 36, v92
	v_mbcnt_lo_u32_b32 v206, v90, 0
	v_cmp_ne_u32_e64 s15, 0, v90
	s_delay_alu instid0(VALU_DEP_3) | instskip(NEXT) | instid1(VALU_DEP_3)
	v_add_nc_u32_e32 v208, v148, v91
	v_cmp_eq_u32_e32 vcc_lo, 0, v206
	s_and_b32 s16, s15, vcc_lo
	s_delay_alu instid0(SALU_CYCLE_1)
	s_and_saveexec_b32 s15, s16
	s_cbranch_execz .LBB1216_744
; %bb.743:                              ;   in Loop: Header=BB1216_682 Depth=2
	s_wait_dscnt 0x0
	v_bcnt_u32_b32 v90, v90, v205
	ds_store_b32 v208, v90 offset:1056
.LBB1216_744:                           ;   in Loop: Header=BB1216_682 Depth=2
	s_or_b32 exec_lo, exec_lo, s15
	v_cmp_lt_i64_e32 vcc_lo, -1, v[68:69]
	; wave barrier
	v_cndmask_b32_e64 v90, -1, 0x80000000, vcc_lo
	s_delay_alu instid0(VALU_DEP_1) | instskip(NEXT) | instid1(VALU_DEP_1)
	v_dual_ashrrev_i32 v91, 31, v69 :: v_dual_bitop2_b32 v69, v90, v69 bitop3:0x14
	v_xor_b32_e32 v68, v91, v68
	s_delay_alu instid0(VALU_DEP_1) | instskip(SKIP_2) | instid1(VALU_DEP_1)
	v_cmp_ne_u64_e32 vcc_lo, s[42:43], v[68:69]
	v_cndmask_b32_e32 v91, 0x80000000, v69, vcc_lo
	v_cndmask_b32_e32 v90, 0, v68, vcc_lo
	v_lshrrev_b64 v[90:91], s48, v[90:91]
	s_delay_alu instid0(VALU_DEP_1) | instskip(SKIP_1) | instid1(VALU_DEP_2)
	v_bitop3_b32 v91, v90, 1, s55 bitop3:0x80
	v_and_b32_e32 v92, s55, v90
	v_add_co_u32 v90, s15, v91, -1
	s_delay_alu instid0(VALU_DEP_1) | instskip(NEXT) | instid1(VALU_DEP_3)
	v_cndmask_b32_e64 v91, 0, 1, s15
	v_dual_lshlrev_b32 v93, 30, v92 :: v_dual_lshlrev_b32 v95, 28, v92
	v_dual_lshlrev_b32 v94, 29, v92 :: v_dual_lshlrev_b32 v96, 27, v92
	s_delay_alu instid0(VALU_DEP_3) | instskip(NEXT) | instid1(VALU_DEP_3)
	v_cmp_ne_u32_e32 vcc_lo, 0, v91
	v_cmp_gt_i32_e64 s15, 0, v93
	v_not_b32_e32 v91, v93
	s_delay_alu instid0(VALU_DEP_4) | instskip(SKIP_4) | instid1(VALU_DEP_4)
	v_cmp_gt_i32_e64 s16, 0, v94
	v_not_b32_e32 v93, v94
	v_cmp_gt_i32_e64 s17, 0, v95
	v_not_b32_e32 v94, v95
	v_not_b32_e32 v95, v96
	v_dual_ashrrev_i32 v91, 31, v91 :: v_dual_ashrrev_i32 v93, 31, v93
	s_delay_alu instid0(VALU_DEP_2) | instskip(SKIP_4) | instid1(VALU_DEP_4)
	v_dual_ashrrev_i32 v94, 31, v94 :: v_dual_ashrrev_i32 v95, 31, v95
	v_dual_lshlrev_b32 v97, 26, v92 :: v_dual_lshlrev_b32 v207, 25, v92
	v_lshlrev_b32_e32 v209, 24, v92
	v_cmp_gt_i32_e64 s18, 0, v96
	v_xor_b32_e32 v91, s15, v91
	v_not_b32_e32 v96, v97
	v_xor_b32_e32 v90, vcc_lo, v90
	v_cmp_gt_i32_e64 s19, 0, v97
	v_cmp_gt_i32_e64 s20, 0, v207
	v_not_b32_e32 v97, v207
	v_not_b32_e32 v207, v209
	v_dual_ashrrev_i32 v96, 31, v96 :: v_dual_bitop2_b32 v93, s16, v93 bitop3:0x14
	v_xor_b32_e32 v94, s17, v94
	v_bitop3_b32 v90, v90, v91, exec_lo bitop3:0x80
	v_cmp_gt_i32_e64 s21, 0, v209
	v_dual_ashrrev_i32 v91, 31, v97 :: v_dual_ashrrev_i32 v97, 31, v207
	v_xor_b32_e32 v95, s18, v95
	v_xor_b32_e32 v96, s19, v96
	v_bitop3_b32 v90, v90, v94, v93 bitop3:0x80
	v_mad_u32_u24 v93, v92, 36, v148
	v_xor_b32_e32 v91, s20, v91
	v_xor_b32_e32 v94, s21, v97
	s_delay_alu instid0(VALU_DEP_4) | instskip(SKIP_3) | instid1(VALU_DEP_2)
	v_bitop3_b32 v90, v90, v96, v95 bitop3:0x80
	ds_load_b32 v207, v93 offset:1056
	; wave barrier
	v_bitop3_b32 v90, v90, v94, v91 bitop3:0x80
	v_mul_u32_u24_e32 v91, 36, v92
	v_mbcnt_lo_u32_b32 v209, v90, 0
	v_cmp_ne_u32_e64 s15, 0, v90
	s_delay_alu instid0(VALU_DEP_3) | instskip(NEXT) | instid1(VALU_DEP_3)
	v_add_nc_u32_e32 v212, v148, v91
	v_cmp_eq_u32_e32 vcc_lo, 0, v209
	s_and_b32 s16, s15, vcc_lo
	s_delay_alu instid0(SALU_CYCLE_1)
	s_and_saveexec_b32 s15, s16
	s_cbranch_execz .LBB1216_746
; %bb.745:                              ;   in Loop: Header=BB1216_682 Depth=2
	s_wait_dscnt 0x0
	v_bcnt_u32_b32 v90, v90, v207
	ds_store_b32 v212, v90 offset:1056
.LBB1216_746:                           ;   in Loop: Header=BB1216_682 Depth=2
	s_or_b32 exec_lo, exec_lo, s15
	v_cmp_lt_i64_e32 vcc_lo, -1, v[64:65]
	; wave barrier
	v_cndmask_b32_e64 v90, -1, 0x80000000, vcc_lo
	s_delay_alu instid0(VALU_DEP_1) | instskip(NEXT) | instid1(VALU_DEP_1)
	v_dual_ashrrev_i32 v91, 31, v65 :: v_dual_bitop2_b32 v65, v90, v65 bitop3:0x14
	v_xor_b32_e32 v64, v91, v64
	s_delay_alu instid0(VALU_DEP_1) | instskip(SKIP_2) | instid1(VALU_DEP_1)
	v_cmp_ne_u64_e32 vcc_lo, s[42:43], v[64:65]
	v_cndmask_b32_e32 v91, 0x80000000, v65, vcc_lo
	v_cndmask_b32_e32 v90, 0, v64, vcc_lo
	v_lshrrev_b64 v[90:91], s48, v[90:91]
	s_delay_alu instid0(VALU_DEP_1) | instskip(SKIP_1) | instid1(VALU_DEP_2)
	v_bitop3_b32 v91, v90, 1, s55 bitop3:0x80
	v_and_b32_e32 v92, s55, v90
	v_add_co_u32 v90, s15, v91, -1
	s_delay_alu instid0(VALU_DEP_1) | instskip(NEXT) | instid1(VALU_DEP_3)
	v_cndmask_b32_e64 v91, 0, 1, s15
	v_dual_lshlrev_b32 v93, 30, v92 :: v_dual_lshlrev_b32 v95, 28, v92
	v_dual_lshlrev_b32 v94, 29, v92 :: v_dual_lshlrev_b32 v96, 27, v92
	s_delay_alu instid0(VALU_DEP_3) | instskip(NEXT) | instid1(VALU_DEP_3)
	v_cmp_ne_u32_e32 vcc_lo, 0, v91
	v_cmp_gt_i32_e64 s15, 0, v93
	v_not_b32_e32 v91, v93
	s_delay_alu instid0(VALU_DEP_4) | instskip(SKIP_4) | instid1(VALU_DEP_4)
	v_cmp_gt_i32_e64 s16, 0, v94
	v_not_b32_e32 v93, v94
	v_cmp_gt_i32_e64 s17, 0, v95
	v_not_b32_e32 v94, v95
	v_not_b32_e32 v95, v96
	v_dual_ashrrev_i32 v91, 31, v91 :: v_dual_ashrrev_i32 v93, 31, v93
	s_delay_alu instid0(VALU_DEP_2) | instskip(SKIP_4) | instid1(VALU_DEP_4)
	v_dual_ashrrev_i32 v94, 31, v94 :: v_dual_ashrrev_i32 v95, 31, v95
	v_dual_lshlrev_b32 v97, 26, v92 :: v_dual_lshlrev_b32 v210, 25, v92
	v_lshlrev_b32_e32 v211, 24, v92
	v_cmp_gt_i32_e64 s18, 0, v96
	v_xor_b32_e32 v91, s15, v91
	v_not_b32_e32 v96, v97
	v_xor_b32_e32 v90, vcc_lo, v90
	v_cmp_gt_i32_e64 s19, 0, v97
	v_cmp_gt_i32_e64 s20, 0, v210
	v_not_b32_e32 v97, v210
	v_not_b32_e32 v210, v211
	v_dual_ashrrev_i32 v96, 31, v96 :: v_dual_bitop2_b32 v93, s16, v93 bitop3:0x14
	v_xor_b32_e32 v94, s17, v94
	v_bitop3_b32 v90, v90, v91, exec_lo bitop3:0x80
	v_cmp_gt_i32_e64 s21, 0, v211
	v_dual_ashrrev_i32 v91, 31, v97 :: v_dual_ashrrev_i32 v97, 31, v210
	v_xor_b32_e32 v95, s18, v95
	v_xor_b32_e32 v96, s19, v96
	v_bitop3_b32 v90, v90, v94, v93 bitop3:0x80
	v_mad_u32_u24 v93, v92, 36, v148
	v_xor_b32_e32 v91, s20, v91
	v_xor_b32_e32 v94, s21, v97
	s_delay_alu instid0(VALU_DEP_4) | instskip(SKIP_3) | instid1(VALU_DEP_2)
	v_bitop3_b32 v90, v90, v96, v95 bitop3:0x80
	ds_load_b32 v210, v93 offset:1056
	; wave barrier
	v_bitop3_b32 v90, v90, v94, v91 bitop3:0x80
	v_mul_u32_u24_e32 v91, 36, v92
	v_mbcnt_lo_u32_b32 v211, v90, 0
	v_cmp_ne_u32_e64 s15, 0, v90
	s_delay_alu instid0(VALU_DEP_3) | instskip(NEXT) | instid1(VALU_DEP_3)
	v_add_nc_u32_e32 v215, v148, v91
	v_cmp_eq_u32_e32 vcc_lo, 0, v211
	s_and_b32 s16, s15, vcc_lo
	s_delay_alu instid0(SALU_CYCLE_1)
	s_and_saveexec_b32 s15, s16
	s_cbranch_execz .LBB1216_748
; %bb.747:                              ;   in Loop: Header=BB1216_682 Depth=2
	s_wait_dscnt 0x0
	v_bcnt_u32_b32 v90, v90, v210
	ds_store_b32 v215, v90 offset:1056
.LBB1216_748:                           ;   in Loop: Header=BB1216_682 Depth=2
	s_or_b32 exec_lo, exec_lo, s15
	v_cmp_lt_i64_e32 vcc_lo, -1, v[66:67]
	; wave barrier
	v_cndmask_b32_e64 v90, -1, 0x80000000, vcc_lo
	s_delay_alu instid0(VALU_DEP_1) | instskip(NEXT) | instid1(VALU_DEP_1)
	v_dual_ashrrev_i32 v91, 31, v67 :: v_dual_bitop2_b32 v67, v90, v67 bitop3:0x14
	v_xor_b32_e32 v66, v91, v66
	s_delay_alu instid0(VALU_DEP_1) | instskip(SKIP_2) | instid1(VALU_DEP_1)
	v_cmp_ne_u64_e32 vcc_lo, s[42:43], v[66:67]
	v_cndmask_b32_e32 v91, 0x80000000, v67, vcc_lo
	v_cndmask_b32_e32 v90, 0, v66, vcc_lo
	v_lshrrev_b64 v[90:91], s48, v[90:91]
	s_delay_alu instid0(VALU_DEP_1) | instskip(SKIP_1) | instid1(VALU_DEP_2)
	v_bitop3_b32 v91, v90, 1, s55 bitop3:0x80
	v_and_b32_e32 v92, s55, v90
	v_add_co_u32 v90, s15, v91, -1
	s_delay_alu instid0(VALU_DEP_1) | instskip(NEXT) | instid1(VALU_DEP_3)
	v_cndmask_b32_e64 v91, 0, 1, s15
	v_lshlrev_b32_e32 v93, 30, v92
	s_delay_alu instid0(VALU_DEP_2) | instskip(NEXT) | instid1(VALU_DEP_2)
	v_cmp_ne_u32_e32 vcc_lo, 0, v91
	v_not_b32_e32 v91, v93
	v_cmp_gt_i32_e64 s15, 0, v93
	s_delay_alu instid0(VALU_DEP_2) | instskip(SKIP_3) | instid1(VALU_DEP_4)
	v_dual_ashrrev_i32 v91, 31, v91 :: v_dual_lshlrev_b32 v94, 29, v92
	v_dual_lshlrev_b32 v95, 28, v92 :: v_dual_lshlrev_b32 v96, 27, v92
	v_dual_lshlrev_b32 v97, 26, v92 :: v_dual_lshlrev_b32 v213, 25, v92
	v_lshlrev_b32_e32 v214, 24, v92
	v_cmp_gt_i32_e64 s16, 0, v94
	v_not_b32_e32 v93, v94
	v_not_b32_e32 v94, v95
	v_cmp_gt_i32_e64 s17, 0, v95
	v_cmp_gt_i32_e64 s18, 0, v96
	v_not_b32_e32 v95, v96
	v_not_b32_e32 v96, v97
	v_dual_ashrrev_i32 v93, 31, v93 :: v_dual_bitop2_b32 v90, vcc_lo, v90 bitop3:0x14
	v_dual_ashrrev_i32 v94, 31, v94 :: v_dual_bitop2_b32 v91, s15, v91 bitop3:0x14
	v_cmp_gt_i32_e64 s19, 0, v97
	v_cmp_gt_i32_e64 s20, 0, v213
	v_not_b32_e32 v97, v213
	v_not_b32_e32 v213, v214
	v_dual_ashrrev_i32 v95, 31, v95 :: v_dual_ashrrev_i32 v96, 31, v96
	v_xor_b32_e32 v93, s16, v93
	v_xor_b32_e32 v94, s17, v94
	v_bitop3_b32 v90, v90, v91, exec_lo bitop3:0x80
	v_cmp_gt_i32_e64 s21, 0, v214
	v_ashrrev_i32_e32 v91, 31, v97
	v_dual_ashrrev_i32 v97, 31, v213 :: v_dual_bitop2_b32 v95, s18, v95 bitop3:0x14
	v_xor_b32_e32 v96, s19, v96
	v_bitop3_b32 v90, v90, v94, v93 bitop3:0x80
	v_mad_u32_u24 v93, v92, 36, v148
	v_xor_b32_e32 v91, s20, v91
	v_xor_b32_e32 v94, s21, v97
	s_delay_alu instid0(VALU_DEP_4) | instskip(SKIP_3) | instid1(VALU_DEP_2)
	v_bitop3_b32 v90, v90, v96, v95 bitop3:0x80
	ds_load_b32 v213, v93 offset:1056
	; wave barrier
	v_bitop3_b32 v90, v90, v94, v91 bitop3:0x80
	v_mul_u32_u24_e32 v91, 36, v92
	v_mbcnt_lo_u32_b32 v214, v90, 0
	v_cmp_ne_u32_e64 s15, 0, v90
	s_delay_alu instid0(VALU_DEP_3) | instskip(NEXT) | instid1(VALU_DEP_3)
	v_add_nc_u32_e32 v216, v148, v91
	v_cmp_eq_u32_e32 vcc_lo, 0, v214
	s_and_b32 s16, s15, vcc_lo
	s_delay_alu instid0(SALU_CYCLE_1)
	s_and_saveexec_b32 s15, s16
	s_cbranch_execz .LBB1216_750
; %bb.749:                              ;   in Loop: Header=BB1216_682 Depth=2
	s_wait_dscnt 0x0
	v_bcnt_u32_b32 v90, v90, v213
	ds_store_b32 v216, v90 offset:1056
.LBB1216_750:                           ;   in Loop: Header=BB1216_682 Depth=2
	s_or_b32 exec_lo, exec_lo, s15
	; wave barrier
	s_wait_dscnt 0x0
	s_barrier_signal -1
	s_barrier_wait -1
	ds_load_2addr_b32 v[96:97], v168 offset1:1
	ds_load_2addr_b32 v[94:95], v169 offset1:1
	;; [unrolled: 1-line block ×4, first 2 shown]
	ds_load_b32 v217, v120 offset:1088
	s_wait_dscnt 0x3
	v_add3_u32 v218, v97, v96, v94
	s_wait_dscnt 0x2
	s_delay_alu instid0(VALU_DEP_1) | instskip(SKIP_1) | instid1(VALU_DEP_1)
	v_add3_u32 v218, v218, v95, v92
	s_wait_dscnt 0x1
	v_add3_u32 v218, v218, v93, v90
	s_wait_dscnt 0x0
	s_delay_alu instid0(VALU_DEP_1) | instskip(NEXT) | instid1(VALU_DEP_1)
	v_add3_u32 v217, v218, v91, v217
	v_mov_b32_dpp v218, v217 row_shr:1 row_mask:0xf bank_mask:0xf
	s_delay_alu instid0(VALU_DEP_1) | instskip(NEXT) | instid1(VALU_DEP_1)
	v_cndmask_b32_e64 v218, v218, 0, s7
	v_add_nc_u32_e32 v217, v218, v217
	s_delay_alu instid0(VALU_DEP_1) | instskip(NEXT) | instid1(VALU_DEP_1)
	v_mov_b32_dpp v218, v217 row_shr:2 row_mask:0xf bank_mask:0xf
	v_cndmask_b32_e64 v218, 0, v218, s8
	s_delay_alu instid0(VALU_DEP_1) | instskip(NEXT) | instid1(VALU_DEP_1)
	v_add_nc_u32_e32 v217, v217, v218
	v_mov_b32_dpp v218, v217 row_shr:4 row_mask:0xf bank_mask:0xf
	s_delay_alu instid0(VALU_DEP_1) | instskip(NEXT) | instid1(VALU_DEP_1)
	v_cndmask_b32_e64 v218, 0, v218, s9
	v_add_nc_u32_e32 v217, v217, v218
	s_delay_alu instid0(VALU_DEP_1) | instskip(NEXT) | instid1(VALU_DEP_1)
	v_mov_b32_dpp v218, v217 row_shr:8 row_mask:0xf bank_mask:0xf
	v_cndmask_b32_e64 v218, 0, v218, s10
	s_delay_alu instid0(VALU_DEP_1) | instskip(SKIP_3) | instid1(VALU_DEP_1)
	v_add_nc_u32_e32 v217, v217, v218
	ds_swizzle_b32 v218, v217 offset:swizzle(BROADCAST,32,15)
	s_wait_dscnt 0x0
	v_cndmask_b32_e64 v218, v218, 0, s11
	v_add_nc_u32_e32 v217, v217, v218
	s_and_saveexec_b32 s15, s1
; %bb.751:                              ;   in Loop: Header=BB1216_682 Depth=2
	ds_store_b32 v114, v217 offset:1024
; %bb.752:                              ;   in Loop: Header=BB1216_682 Depth=2
	s_or_b32 exec_lo, exec_lo, s15
	s_wait_dscnt 0x0
	s_barrier_signal -1
	s_barrier_wait -1
	s_and_saveexec_b32 s15, s4
	s_cbranch_execz .LBB1216_754
; %bb.753:                              ;   in Loop: Header=BB1216_682 Depth=2
	ds_load_b32 v218, v122 offset:1024
	s_wait_dscnt 0x0
	v_mov_b32_dpp v219, v218 row_shr:1 row_mask:0xf bank_mask:0xf
	s_delay_alu instid0(VALU_DEP_1) | instskip(NEXT) | instid1(VALU_DEP_1)
	v_cndmask_b32_e64 v219, v219, 0, s12
	v_add_nc_u32_e32 v218, v219, v218
	s_delay_alu instid0(VALU_DEP_1) | instskip(NEXT) | instid1(VALU_DEP_1)
	v_mov_b32_dpp v219, v218 row_shr:2 row_mask:0xf bank_mask:0xf
	v_cndmask_b32_e64 v219, 0, v219, s13
	s_delay_alu instid0(VALU_DEP_1) | instskip(NEXT) | instid1(VALU_DEP_1)
	v_add_nc_u32_e32 v218, v218, v219
	v_mov_b32_dpp v219, v218 row_shr:4 row_mask:0xf bank_mask:0xf
	s_delay_alu instid0(VALU_DEP_1) | instskip(NEXT) | instid1(VALU_DEP_1)
	v_cndmask_b32_e64 v219, 0, v219, s14
	v_add_nc_u32_e32 v218, v218, v219
	ds_store_b32 v122, v218 offset:1024
.LBB1216_754:                           ;   in Loop: Header=BB1216_682 Depth=2
	s_or_b32 exec_lo, exec_lo, s15
	v_mov_b32_e32 v218, 0
	s_wait_dscnt 0x0
	s_barrier_signal -1
	s_barrier_wait -1
	s_and_saveexec_b32 s15, s5
; %bb.755:                              ;   in Loop: Header=BB1216_682 Depth=2
	ds_load_b32 v218, v114 offset:1020
; %bb.756:                              ;   in Loop: Header=BB1216_682 Depth=2
	s_or_b32 exec_lo, exec_lo, s15
	s_wait_dscnt 0x0
	v_add_nc_u32_e32 v217, v218, v217
	ds_bpermute_b32 v217, v147, v217
	s_wait_dscnt 0x0
	v_cndmask_b32_e64 v217, v217, v218, s6
	s_delay_alu instid0(VALU_DEP_1) | instskip(NEXT) | instid1(VALU_DEP_1)
	v_cndmask_b32_e64 v217, v217, 0, s2
	v_add_nc_u32_e32 v96, v217, v96
	s_delay_alu instid0(VALU_DEP_1) | instskip(NEXT) | instid1(VALU_DEP_1)
	v_add_nc_u32_e32 v97, v96, v97
	v_add_nc_u32_e32 v94, v97, v94
	s_delay_alu instid0(VALU_DEP_1) | instskip(NEXT) | instid1(VALU_DEP_1)
	v_add_nc_u32_e32 v95, v94, v95
	;; [unrolled: 3-line block ×3, first 2 shown]
	v_add_nc_u32_e32 v90, v93, v90
	s_delay_alu instid0(VALU_DEP_1)
	v_add_nc_u32_e32 v91, v90, v91
	ds_store_2addr_b32 v167, v93, v90 offset1:1
	ds_store_2addr_b32 v168, v217, v96 offset1:1
	;; [unrolled: 1-line block ×4, first 2 shown]
	ds_store_b32 v120, v91 offset:1088
	s_wait_dscnt 0x0
	s_barrier_signal -1
	s_barrier_wait -1
	ds_load_b32 v91, v171 offset:1056
	ds_load_b32 v96, v174 offset:1056
	ds_load_b32 v95, v177 offset:1056
	ds_load_b32 v94, v180 offset:1056
	ds_load_b32 v93, v183 offset:1056
	ds_load_b32 v92, v186 offset:1056
	ds_load_b32 v183, v189 offset:1056
	ds_load_b32 v180, v192 offset:1056
	ds_load_b32 v177, v195 offset:1056
	ds_load_b32 v174, v198 offset:1056
	ds_load_b32 v171, v201 offset:1056
	ds_load_b32 v170, v204 offset:1056
	ds_load_b32 v169, v208 offset:1056
	ds_load_b32 v168, v212 offset:1056
	ds_load_b32 v167, v215 offset:1056
	ds_load_b32 v97, v216 offset:1056
	ds_load_b32 v186, v120 offset:1056
	v_mov_b32_e32 v90, 0x1000
	s_and_saveexec_b32 s15, s3
; %bb.757:                              ;   in Loop: Header=BB1216_682 Depth=2
	ds_load_b32 v90, v120 offset:1092
; %bb.758:                              ;   in Loop: Header=BB1216_682 Depth=2
	s_or_b32 exec_lo, exec_lo, s15
	s_wait_dscnt 0x0
	s_barrier_signal -1
	s_barrier_wait -1
	s_and_saveexec_b32 s15, s0
	s_cbranch_execz .LBB1216_760
; %bb.759:                              ;   in Loop: Header=BB1216_682 Depth=2
	ds_load_b32 v189, v3
	s_wait_dscnt 0x0
	v_sub_nc_u32_e32 v186, v189, v186
	ds_store_b32 v3, v186
.LBB1216_760:                           ;   in Loop: Header=BB1216_682 Depth=2
	s_or_b32 exec_lo, exec_lo, s15
	v_dual_lshlrev_b32 v166, 3, v166 :: v_dual_lshlrev_b32 v173, 3, v173
	v_lshlrev_b32_e32 v172, 3, v172
	v_dual_lshlrev_b32 v96, 3, v96 :: v_dual_lshlrev_b32 v95, 3, v95
	s_delay_alu instid0(VALU_DEP_3)
	v_lshl_add_u32 v91, v91, 3, v166
	v_dual_lshlrev_b32 v176, 3, v176 :: v_dual_lshlrev_b32 v166, 3, v175
	v_dual_lshlrev_b32 v175, 3, v179 :: v_dual_lshlrev_b32 v178, 3, v178
	v_lshlrev_b32_e32 v179, 3, v181
	ds_store_b64 v91, v[58:59] offset:1024
	v_dual_lshlrev_b32 v58, 3, v94 :: v_dual_lshlrev_b32 v181, 3, v93
	v_dual_lshlrev_b32 v59, 3, v182 :: v_dual_lshlrev_b32 v182, 3, v185
	v_lshlrev_b32_e32 v184, 3, v184
	v_lshlrev_b32_e32 v185, 3, v92
	v_add3_u32 v92, v173, v172, v96
	v_add3_u32 v93, v176, v166, v95
	;; [unrolled: 1-line block ×4, first 2 shown]
	v_lshlrev_b32_e32 v59, 3, v187
	v_add3_u32 v96, v182, v184, v185
	ds_store_b64 v92, v[60:61] offset:1024
	ds_store_b64 v93, v[62:63] offset:1024
	;; [unrolled: 1-line block ×5, first 2 shown]
	v_dual_lshlrev_b32 v58, 3, v188 :: v_dual_lshlrev_b32 v61, 3, v191
	v_dual_lshlrev_b32 v60, 3, v183 :: v_dual_lshlrev_b32 v62, 3, v190
	;; [unrolled: 1-line block ×3, first 2 shown]
	v_lshlrev_b32_e32 v71, 3, v193
	v_dual_lshlrev_b32 v74, 3, v177 :: v_dual_lshlrev_b32 v78, 3, v196
	v_dual_lshlrev_b32 v75, 3, v197 :: v_dual_lshlrev_b32 v79, 3, v174
	;; [unrolled: 1-line block ×3, first 2 shown]
	v_lshlrev_b32_e32 v171, 3, v171
	v_add3_u32 v60, v58, v59, v60
	v_add3_u32 v61, v61, v62, v63
	;; [unrolled: 1-line block ×4, first 2 shown]
	v_lshlrev_b32_e32 v59, 3, v202
	v_add3_u32 v70, v166, v172, v171
	ds_store_b64 v60, v[82:83] offset:1024
	ds_store_b64 v61, v[86:87] offset:1024
	;; [unrolled: 1-line block ×5, first 2 shown]
	v_dual_lshlrev_b32 v58, 3, v203 :: v_dual_lshlrev_b32 v71, 3, v170
	v_dual_lshlrev_b32 v74, 3, v206 :: v_dual_lshlrev_b32 v75, 3, v205
	;; [unrolled: 1-line block ×6, first 2 shown]
	v_lshlrev_b32_e32 v86, 3, v213
	v_lshlrev_b32_e32 v87, 3, v97
	v_add3_u32 v71, v58, v59, v71
	v_add3_u32 v74, v74, v75, v78
	;; [unrolled: 1-line block ×5, first 2 shown]
	v_cmp_lt_u32_e32 vcc_lo, v2, v165
	ds_store_b64 v71, v[76:77] offset:1024
	ds_store_b64 v74, v[72:73] offset:1024
	;; [unrolled: 1-line block ×5, first 2 shown]
	s_wait_dscnt 0x0
	s_barrier_signal -1
	s_barrier_wait -1
	s_and_saveexec_b32 s16, vcc_lo
	s_cbranch_execnz .LBB1216_829
; %bb.761:                              ;   in Loop: Header=BB1216_682 Depth=2
	s_or_b32 exec_lo, exec_lo, s16
	v_cmp_lt_u32_e64 s15, v98, v165
	s_and_saveexec_b32 s17, s15
	s_cbranch_execnz .LBB1216_830
.LBB1216_762:                           ;   in Loop: Header=BB1216_682 Depth=2
	s_or_b32 exec_lo, exec_lo, s17
	v_cmp_lt_u32_e64 s16, v99, v165
	s_and_saveexec_b32 s18, s16
	s_cbranch_execnz .LBB1216_831
.LBB1216_763:                           ;   in Loop: Header=BB1216_682 Depth=2
	s_or_b32 exec_lo, exec_lo, s18
	v_cmp_lt_u32_e64 s17, v100, v165
	s_and_saveexec_b32 s19, s17
	s_cbranch_execnz .LBB1216_832
.LBB1216_764:                           ;   in Loop: Header=BB1216_682 Depth=2
	s_or_b32 exec_lo, exec_lo, s19
	v_cmp_lt_u32_e64 s18, v101, v165
	s_and_saveexec_b32 s20, s18
	s_cbranch_execnz .LBB1216_833
.LBB1216_765:                           ;   in Loop: Header=BB1216_682 Depth=2
	s_or_b32 exec_lo, exec_lo, s20
	v_cmp_lt_u32_e64 s19, v102, v165
	s_and_saveexec_b32 s21, s19
	s_cbranch_execnz .LBB1216_834
.LBB1216_766:                           ;   in Loop: Header=BB1216_682 Depth=2
	s_or_b32 exec_lo, exec_lo, s21
	v_cmp_lt_u32_e64 s20, v103, v165
	s_and_saveexec_b32 s22, s20
	s_cbranch_execnz .LBB1216_835
.LBB1216_767:                           ;   in Loop: Header=BB1216_682 Depth=2
	s_or_b32 exec_lo, exec_lo, s22
	v_cmp_lt_u32_e64 s21, v104, v165
	s_and_saveexec_b32 s23, s21
	s_cbranch_execnz .LBB1216_836
.LBB1216_768:                           ;   in Loop: Header=BB1216_682 Depth=2
	s_or_b32 exec_lo, exec_lo, s23
	v_cmp_lt_u32_e64 s22, v105, v165
	s_and_saveexec_b32 s24, s22
	s_cbranch_execnz .LBB1216_837
.LBB1216_769:                           ;   in Loop: Header=BB1216_682 Depth=2
	s_or_b32 exec_lo, exec_lo, s24
	v_cmp_lt_u32_e64 s23, v106, v165
	s_and_saveexec_b32 s25, s23
	s_cbranch_execnz .LBB1216_838
.LBB1216_770:                           ;   in Loop: Header=BB1216_682 Depth=2
	s_or_b32 exec_lo, exec_lo, s25
	v_cmp_lt_u32_e64 s24, v107, v165
	s_and_saveexec_b32 s26, s24
	s_cbranch_execnz .LBB1216_839
.LBB1216_771:                           ;   in Loop: Header=BB1216_682 Depth=2
	s_or_b32 exec_lo, exec_lo, s26
	v_cmp_lt_u32_e64 s25, v108, v165
	s_and_saveexec_b32 s27, s25
	s_cbranch_execnz .LBB1216_840
.LBB1216_772:                           ;   in Loop: Header=BB1216_682 Depth=2
	s_or_b32 exec_lo, exec_lo, s27
	v_cmp_lt_u32_e64 s26, v109, v165
	s_and_saveexec_b32 s28, s26
	s_cbranch_execnz .LBB1216_841
.LBB1216_773:                           ;   in Loop: Header=BB1216_682 Depth=2
	s_or_b32 exec_lo, exec_lo, s28
	v_cmp_lt_u32_e64 s27, v110, v165
	s_and_saveexec_b32 s29, s27
	s_cbranch_execnz .LBB1216_842
.LBB1216_774:                           ;   in Loop: Header=BB1216_682 Depth=2
	s_or_b32 exec_lo, exec_lo, s29
	v_cmp_lt_u32_e64 s28, v111, v165
	s_and_saveexec_b32 s30, s28
	s_cbranch_execnz .LBB1216_843
.LBB1216_775:                           ;   in Loop: Header=BB1216_682 Depth=2
	s_or_b32 exec_lo, exec_lo, s30
	v_cmp_lt_u32_e64 s29, v112, v165
	s_and_saveexec_b32 s61, s29
	s_cbranch_execz .LBB1216_777
.LBB1216_776:                           ;   in Loop: Header=BB1216_682 Depth=2
	ds_load_b64 v[58:59], v123 offset:31744
	s_wait_dscnt 0x0
	v_cmp_ne_u64_e64 s30, s[42:43], v[58:59]
	s_delay_alu instid0(VALU_DEP_1) | instskip(SKIP_2) | instid1(VALU_DEP_2)
	v_cndmask_b32_e64 v65, 0x80000000, v59, s30
	v_cndmask_b32_e64 v64, 0, v58, s30
	v_cmp_lt_i64_e64 s30, -1, v[58:59]
	v_lshrrev_b64 v[64:65], s48, v[64:65]
	v_ashrrev_i32_e32 v65, 31, v59
	s_delay_alu instid0(VALU_DEP_3) | instskip(NEXT) | instid1(VALU_DEP_2)
	v_cndmask_b32_e64 v66, 0x80000000, -1, s30
	v_not_b32_e32 v65, v65
	s_delay_alu instid0(VALU_DEP_4) | instskip(NEXT) | instid1(VALU_DEP_1)
	v_and_b32_e32 v64, s55, v64
	v_dual_lshlrev_b32 v64, 2, v64 :: v_dual_bitop2_b32 v59, v66, v59 bitop3:0x14
	ds_load_b32 v64, v64
	s_wait_dscnt 0x0
	v_dual_add_nc_u32 v64, v64, v112 :: v_dual_bitop2_b32 v58, v65, v58 bitop3:0x14
	global_store_b64 v64, v[58:59], s[38:39] scale_offset
.LBB1216_777:                           ;   in Loop: Header=BB1216_682 Depth=2
	s_wait_xcnt 0x0
	s_or_b32 exec_lo, exec_lo, s61
	v_lshl_add_u64 v[58:59], s[34:35], 3, v[22:23]
	v_cmp_lt_u32_e64 s30, v129, v165
	s_and_saveexec_b32 s34, s30
	s_delay_alu instid0(SALU_CYCLE_1)
	s_xor_b32 s30, exec_lo, s34
	s_cbranch_execnz .LBB1216_844
; %bb.778:                              ;   in Loop: Header=BB1216_682 Depth=2
	s_or_b32 exec_lo, exec_lo, s30
	s_delay_alu instid0(SALU_CYCLE_1)
	s_mov_b32 s34, exec_lo
	v_cmpx_lt_u32_e64 v132, v165
	s_cbranch_execnz .LBB1216_845
.LBB1216_779:                           ;   in Loop: Header=BB1216_682 Depth=2
	s_or_b32 exec_lo, exec_lo, s34
	s_delay_alu instid0(SALU_CYCLE_1)
	s_mov_b32 s34, exec_lo
	v_cmpx_lt_u32_e64 v133, v165
	s_cbranch_execnz .LBB1216_846
.LBB1216_780:                           ;   in Loop: Header=BB1216_682 Depth=2
	s_or_b32 exec_lo, exec_lo, s34
	s_delay_alu instid0(SALU_CYCLE_1)
	s_mov_b32 s34, exec_lo
	v_cmpx_lt_u32_e64 v134, v165
	s_cbranch_execnz .LBB1216_847
.LBB1216_781:                           ;   in Loop: Header=BB1216_682 Depth=2
	s_or_b32 exec_lo, exec_lo, s34
	s_delay_alu instid0(SALU_CYCLE_1)
	s_mov_b32 s34, exec_lo
	v_cmpx_lt_u32_e64 v135, v165
	s_cbranch_execnz .LBB1216_848
.LBB1216_782:                           ;   in Loop: Header=BB1216_682 Depth=2
	s_or_b32 exec_lo, exec_lo, s34
	s_delay_alu instid0(SALU_CYCLE_1)
	s_mov_b32 s34, exec_lo
	v_cmpx_lt_u32_e64 v136, v165
	s_cbranch_execnz .LBB1216_849
.LBB1216_783:                           ;   in Loop: Header=BB1216_682 Depth=2
	s_or_b32 exec_lo, exec_lo, s34
	s_delay_alu instid0(SALU_CYCLE_1)
	s_mov_b32 s34, exec_lo
	v_cmpx_lt_u32_e64 v137, v165
	s_cbranch_execnz .LBB1216_850
.LBB1216_784:                           ;   in Loop: Header=BB1216_682 Depth=2
	s_or_b32 exec_lo, exec_lo, s34
	s_delay_alu instid0(SALU_CYCLE_1)
	s_mov_b32 s34, exec_lo
	v_cmpx_lt_u32_e64 v138, v165
	s_cbranch_execnz .LBB1216_851
.LBB1216_785:                           ;   in Loop: Header=BB1216_682 Depth=2
	s_or_b32 exec_lo, exec_lo, s34
	s_delay_alu instid0(SALU_CYCLE_1)
	s_mov_b32 s34, exec_lo
	v_cmpx_lt_u32_e64 v139, v165
	s_cbranch_execnz .LBB1216_852
.LBB1216_786:                           ;   in Loop: Header=BB1216_682 Depth=2
	s_or_b32 exec_lo, exec_lo, s34
	s_delay_alu instid0(SALU_CYCLE_1)
	s_mov_b32 s34, exec_lo
	v_cmpx_lt_u32_e64 v140, v165
	s_cbranch_execnz .LBB1216_853
.LBB1216_787:                           ;   in Loop: Header=BB1216_682 Depth=2
	s_or_b32 exec_lo, exec_lo, s34
	s_delay_alu instid0(SALU_CYCLE_1)
	s_mov_b32 s34, exec_lo
	v_cmpx_lt_u32_e64 v141, v165
	s_cbranch_execnz .LBB1216_854
.LBB1216_788:                           ;   in Loop: Header=BB1216_682 Depth=2
	s_or_b32 exec_lo, exec_lo, s34
	s_delay_alu instid0(SALU_CYCLE_1)
	s_mov_b32 s34, exec_lo
	v_cmpx_lt_u32_e64 v142, v165
	s_cbranch_execnz .LBB1216_855
.LBB1216_789:                           ;   in Loop: Header=BB1216_682 Depth=2
	s_or_b32 exec_lo, exec_lo, s34
	s_delay_alu instid0(SALU_CYCLE_1)
	s_mov_b32 s34, exec_lo
	v_cmpx_lt_u32_e64 v143, v165
	s_cbranch_execnz .LBB1216_856
.LBB1216_790:                           ;   in Loop: Header=BB1216_682 Depth=2
	s_or_b32 exec_lo, exec_lo, s34
	s_delay_alu instid0(SALU_CYCLE_1)
	s_mov_b32 s34, exec_lo
	v_cmpx_lt_u32_e64 v144, v165
	s_cbranch_execnz .LBB1216_857
.LBB1216_791:                           ;   in Loop: Header=BB1216_682 Depth=2
	s_or_b32 exec_lo, exec_lo, s34
	s_delay_alu instid0(SALU_CYCLE_1)
	s_mov_b32 s34, exec_lo
	v_cmpx_lt_u32_e64 v145, v165
	s_cbranch_execnz .LBB1216_858
.LBB1216_792:                           ;   in Loop: Header=BB1216_682 Depth=2
	s_or_b32 exec_lo, exec_lo, s34
	s_delay_alu instid0(SALU_CYCLE_1)
	s_mov_b32 s34, exec_lo
	v_cmpx_lt_u32_e64 v146, v165
	s_cbranch_execnz .LBB1216_859
.LBB1216_793:                           ;   in Loop: Header=BB1216_682 Depth=2
	s_or_b32 exec_lo, exec_lo, s34
	s_and_saveexec_b32 s34, vcc_lo
	s_cbranch_execnz .LBB1216_860
.LBB1216_794:                           ;   in Loop: Header=BB1216_682 Depth=2
	s_or_b32 exec_lo, exec_lo, s34
	s_and_saveexec_b32 s34, s15
	s_cbranch_execnz .LBB1216_861
.LBB1216_795:                           ;   in Loop: Header=BB1216_682 Depth=2
	s_or_b32 exec_lo, exec_lo, s34
	s_and_saveexec_b32 s34, s16
	s_cbranch_execnz .LBB1216_862
.LBB1216_796:                           ;   in Loop: Header=BB1216_682 Depth=2
	s_or_b32 exec_lo, exec_lo, s34
	s_and_saveexec_b32 s34, s17
	s_cbranch_execnz .LBB1216_863
.LBB1216_797:                           ;   in Loop: Header=BB1216_682 Depth=2
	s_or_b32 exec_lo, exec_lo, s34
	s_and_saveexec_b32 s34, s18
	s_cbranch_execnz .LBB1216_864
.LBB1216_798:                           ;   in Loop: Header=BB1216_682 Depth=2
	s_or_b32 exec_lo, exec_lo, s34
	s_and_saveexec_b32 s34, s19
	s_cbranch_execnz .LBB1216_865
.LBB1216_799:                           ;   in Loop: Header=BB1216_682 Depth=2
	s_or_b32 exec_lo, exec_lo, s34
	s_and_saveexec_b32 s34, s20
	s_cbranch_execnz .LBB1216_866
.LBB1216_800:                           ;   in Loop: Header=BB1216_682 Depth=2
	s_or_b32 exec_lo, exec_lo, s34
	s_and_saveexec_b32 s34, s21
	s_cbranch_execnz .LBB1216_867
.LBB1216_801:                           ;   in Loop: Header=BB1216_682 Depth=2
	s_or_b32 exec_lo, exec_lo, s34
	s_and_saveexec_b32 s34, s22
	s_cbranch_execnz .LBB1216_868
.LBB1216_802:                           ;   in Loop: Header=BB1216_682 Depth=2
	s_or_b32 exec_lo, exec_lo, s34
	s_and_saveexec_b32 s34, s23
	s_cbranch_execnz .LBB1216_869
.LBB1216_803:                           ;   in Loop: Header=BB1216_682 Depth=2
	s_or_b32 exec_lo, exec_lo, s34
	s_and_saveexec_b32 s34, s24
	s_cbranch_execnz .LBB1216_870
.LBB1216_804:                           ;   in Loop: Header=BB1216_682 Depth=2
	s_or_b32 exec_lo, exec_lo, s34
	s_and_saveexec_b32 s34, s25
	s_cbranch_execnz .LBB1216_871
.LBB1216_805:                           ;   in Loop: Header=BB1216_682 Depth=2
	s_or_b32 exec_lo, exec_lo, s34
	s_and_saveexec_b32 s34, s26
	s_cbranch_execnz .LBB1216_872
.LBB1216_806:                           ;   in Loop: Header=BB1216_682 Depth=2
	s_or_b32 exec_lo, exec_lo, s34
	s_and_saveexec_b32 s34, s27
	s_cbranch_execnz .LBB1216_873
.LBB1216_807:                           ;   in Loop: Header=BB1216_682 Depth=2
	s_or_b32 exec_lo, exec_lo, s34
	s_and_saveexec_b32 s34, s28
	s_cbranch_execnz .LBB1216_874
.LBB1216_808:                           ;   in Loop: Header=BB1216_682 Depth=2
	s_or_b32 exec_lo, exec_lo, s34
	s_and_saveexec_b32 s34, s29
	s_cbranch_execz .LBB1216_810
.LBB1216_809:                           ;   in Loop: Header=BB1216_682 Depth=2
	ds_load_b64 v[58:59], v123 offset:31744
	s_wait_dscnt 0x0
	v_cmp_ne_u64_e64 s30, s[42:43], v[58:59]
	s_delay_alu instid0(VALU_DEP_1) | instskip(SKIP_1) | instid1(VALU_DEP_1)
	v_cndmask_b32_e64 v59, 0x80000000, v59, s30
	v_cndmask_b32_e64 v58, 0, v58, s30
	v_lshrrev_b64 v[58:59], s48, v[58:59]
	s_delay_alu instid0(VALU_DEP_1)
	v_and_b32_e32 v149, s55, v58
.LBB1216_810:                           ;   in Loop: Header=BB1216_682 Depth=2
	s_or_b32 exec_lo, exec_lo, s34
	s_wait_loadcnt 0x0
	s_wait_storecnt 0x0
	s_barrier_signal -1
	s_barrier_wait -1
	ds_store_b64 v91, v[56:57] offset:1024
	ds_store_b64 v92, v[54:55] offset:1024
	;; [unrolled: 1-line block ×16, first 2 shown]
	s_wait_dscnt 0x0
	s_barrier_signal -1
	s_barrier_wait -1
	s_and_saveexec_b32 s30, vcc_lo
	s_cbranch_execnz .LBB1216_875
; %bb.811:                              ;   in Loop: Header=BB1216_682 Depth=2
	s_or_b32 exec_lo, exec_lo, s30
	s_and_saveexec_b32 s30, s15
	s_cbranch_execnz .LBB1216_876
.LBB1216_812:                           ;   in Loop: Header=BB1216_682 Depth=2
	s_or_b32 exec_lo, exec_lo, s30
	s_and_saveexec_b32 s15, s16
	s_cbranch_execnz .LBB1216_877
.LBB1216_813:                           ;   in Loop: Header=BB1216_682 Depth=2
	s_or_b32 exec_lo, exec_lo, s15
	s_and_saveexec_b32 s15, s17
	s_cbranch_execnz .LBB1216_878
.LBB1216_814:                           ;   in Loop: Header=BB1216_682 Depth=2
	s_or_b32 exec_lo, exec_lo, s15
	s_and_saveexec_b32 s15, s18
	s_cbranch_execnz .LBB1216_879
.LBB1216_815:                           ;   in Loop: Header=BB1216_682 Depth=2
	s_or_b32 exec_lo, exec_lo, s15
	s_and_saveexec_b32 s15, s19
	s_cbranch_execnz .LBB1216_880
.LBB1216_816:                           ;   in Loop: Header=BB1216_682 Depth=2
	s_or_b32 exec_lo, exec_lo, s15
	s_and_saveexec_b32 s15, s20
	s_cbranch_execnz .LBB1216_881
.LBB1216_817:                           ;   in Loop: Header=BB1216_682 Depth=2
	s_or_b32 exec_lo, exec_lo, s15
	s_and_saveexec_b32 s15, s21
	s_cbranch_execnz .LBB1216_882
.LBB1216_818:                           ;   in Loop: Header=BB1216_682 Depth=2
	s_or_b32 exec_lo, exec_lo, s15
	s_and_saveexec_b32 s15, s22
	s_cbranch_execnz .LBB1216_883
.LBB1216_819:                           ;   in Loop: Header=BB1216_682 Depth=2
	s_or_b32 exec_lo, exec_lo, s15
	s_and_saveexec_b32 s15, s23
	s_cbranch_execnz .LBB1216_884
.LBB1216_820:                           ;   in Loop: Header=BB1216_682 Depth=2
	s_or_b32 exec_lo, exec_lo, s15
	s_and_saveexec_b32 s15, s24
	s_cbranch_execnz .LBB1216_885
.LBB1216_821:                           ;   in Loop: Header=BB1216_682 Depth=2
	s_or_b32 exec_lo, exec_lo, s15
	s_and_saveexec_b32 s15, s25
	s_cbranch_execnz .LBB1216_886
.LBB1216_822:                           ;   in Loop: Header=BB1216_682 Depth=2
	s_or_b32 exec_lo, exec_lo, s15
	s_and_saveexec_b32 s15, s26
	s_cbranch_execnz .LBB1216_887
.LBB1216_823:                           ;   in Loop: Header=BB1216_682 Depth=2
	s_or_b32 exec_lo, exec_lo, s15
	s_and_saveexec_b32 s15, s27
	s_cbranch_execnz .LBB1216_888
.LBB1216_824:                           ;   in Loop: Header=BB1216_682 Depth=2
	s_or_b32 exec_lo, exec_lo, s15
	s_and_saveexec_b32 s15, s28
	s_cbranch_execnz .LBB1216_889
.LBB1216_825:                           ;   in Loop: Header=BB1216_682 Depth=2
	s_or_b32 exec_lo, exec_lo, s15
	s_and_saveexec_b32 s15, s29
	s_cbranch_execz .LBB1216_827
.LBB1216_826:                           ;   in Loop: Header=BB1216_682 Depth=2
	v_lshlrev_b32_e32 v58, 2, v149
	ds_load_b32 v60, v58
	ds_load_b64 v[58:59], v123 offset:31744
	s_wait_dscnt 0x1
	v_add_nc_u32_e32 v60, v60, v112
	s_wait_dscnt 0x0
	global_store_b64 v60, v[58:59], s[44:45] scale_offset
.LBB1216_827:                           ;   in Loop: Header=BB1216_682 Depth=2
	s_wait_xcnt 0x0
	s_or_b32 exec_lo, exec_lo, s15
	s_wait_storecnt 0x0
	s_barrier_signal -1
	s_barrier_wait -1
	s_and_saveexec_b32 s15, s0
	s_cbranch_execz .LBB1216_681
; %bb.828:                              ;   in Loop: Header=BB1216_682 Depth=2
	ds_load_b32 v58, v3
	s_wait_dscnt 0x0
	v_add_nc_u32_e32 v58, v58, v90
	ds_store_b32 v3, v58
	s_branch .LBB1216_681
.LBB1216_829:                           ;   in Loop: Header=BB1216_682 Depth=2
	ds_load_b64 v[58:59], v123 offset:1024
	s_wait_dscnt 0x0
	v_cmp_ne_u64_e64 s15, s[42:43], v[58:59]
	s_delay_alu instid0(VALU_DEP_1) | instskip(SKIP_2) | instid1(VALU_DEP_2)
	v_cndmask_b32_e64 v65, 0x80000000, v59, s15
	v_cndmask_b32_e64 v64, 0, v58, s15
	v_cmp_lt_i64_e64 s15, -1, v[58:59]
	v_lshrrev_b64 v[64:65], s48, v[64:65]
	v_ashrrev_i32_e32 v65, 31, v59
	s_delay_alu instid0(VALU_DEP_3) | instskip(NEXT) | instid1(VALU_DEP_2)
	v_cndmask_b32_e64 v66, 0x80000000, -1, s15
	v_not_b32_e32 v65, v65
	s_delay_alu instid0(VALU_DEP_4) | instskip(NEXT) | instid1(VALU_DEP_3)
	v_and_b32_e32 v64, s55, v64
	v_xor_b32_e32 v59, v66, v59
	s_delay_alu instid0(VALU_DEP_2)
	v_dual_lshlrev_b32 v64, 2, v64 :: v_dual_bitop2_b32 v58, v65, v58 bitop3:0x14
	ds_load_b32 v64, v64
	s_wait_dscnt 0x0
	v_add_nc_u32_e32 v64, v64, v2
	global_store_b64 v64, v[58:59], s[38:39] scale_offset
	s_wait_xcnt 0x0
	s_or_b32 exec_lo, exec_lo, s16
	v_cmp_lt_u32_e64 s15, v98, v165
	s_and_saveexec_b32 s17, s15
	s_cbranch_execz .LBB1216_762
.LBB1216_830:                           ;   in Loop: Header=BB1216_682 Depth=2
	ds_load_b64 v[58:59], v123 offset:3072
	s_wait_dscnt 0x0
	v_cmp_ne_u64_e64 s16, s[42:43], v[58:59]
	s_delay_alu instid0(VALU_DEP_1) | instskip(SKIP_2) | instid1(VALU_DEP_2)
	v_cndmask_b32_e64 v65, 0x80000000, v59, s16
	v_cndmask_b32_e64 v64, 0, v58, s16
	v_cmp_lt_i64_e64 s16, -1, v[58:59]
	v_lshrrev_b64 v[64:65], s48, v[64:65]
	v_ashrrev_i32_e32 v65, 31, v59
	s_delay_alu instid0(VALU_DEP_3) | instskip(NEXT) | instid1(VALU_DEP_2)
	v_cndmask_b32_e64 v66, 0x80000000, -1, s16
	v_not_b32_e32 v65, v65
	s_delay_alu instid0(VALU_DEP_4) | instskip(NEXT) | instid1(VALU_DEP_3)
	v_and_b32_e32 v64, s55, v64
	v_xor_b32_e32 v59, v66, v59
	s_delay_alu instid0(VALU_DEP_2)
	v_dual_lshlrev_b32 v64, 2, v64 :: v_dual_bitop2_b32 v58, v65, v58 bitop3:0x14
	ds_load_b32 v64, v64
	s_wait_dscnt 0x0
	v_add_nc_u32_e32 v64, v64, v98
	global_store_b64 v64, v[58:59], s[38:39] scale_offset
	s_wait_xcnt 0x0
	s_or_b32 exec_lo, exec_lo, s17
	v_cmp_lt_u32_e64 s16, v99, v165
	s_and_saveexec_b32 s18, s16
	s_cbranch_execz .LBB1216_763
.LBB1216_831:                           ;   in Loop: Header=BB1216_682 Depth=2
	ds_load_b64 v[58:59], v123 offset:5120
	s_wait_dscnt 0x0
	v_cmp_ne_u64_e64 s17, s[42:43], v[58:59]
	s_delay_alu instid0(VALU_DEP_1) | instskip(SKIP_2) | instid1(VALU_DEP_2)
	v_cndmask_b32_e64 v65, 0x80000000, v59, s17
	v_cndmask_b32_e64 v64, 0, v58, s17
	v_cmp_lt_i64_e64 s17, -1, v[58:59]
	v_lshrrev_b64 v[64:65], s48, v[64:65]
	v_ashrrev_i32_e32 v65, 31, v59
	s_delay_alu instid0(VALU_DEP_3) | instskip(NEXT) | instid1(VALU_DEP_2)
	v_cndmask_b32_e64 v66, 0x80000000, -1, s17
	v_not_b32_e32 v65, v65
	s_delay_alu instid0(VALU_DEP_4) | instskip(NEXT) | instid1(VALU_DEP_1)
	v_and_b32_e32 v64, s55, v64
	v_dual_lshlrev_b32 v64, 2, v64 :: v_dual_bitop2_b32 v59, v66, v59 bitop3:0x14
	ds_load_b32 v64, v64
	s_wait_dscnt 0x0
	v_dual_add_nc_u32 v64, v64, v99 :: v_dual_bitop2_b32 v58, v65, v58 bitop3:0x14
	global_store_b64 v64, v[58:59], s[38:39] scale_offset
	s_wait_xcnt 0x0
	s_or_b32 exec_lo, exec_lo, s18
	v_cmp_lt_u32_e64 s17, v100, v165
	s_and_saveexec_b32 s19, s17
	s_cbranch_execz .LBB1216_764
.LBB1216_832:                           ;   in Loop: Header=BB1216_682 Depth=2
	ds_load_b64 v[58:59], v123 offset:7168
	s_wait_dscnt 0x0
	v_cmp_ne_u64_e64 s18, s[42:43], v[58:59]
	s_delay_alu instid0(VALU_DEP_1) | instskip(SKIP_2) | instid1(VALU_DEP_2)
	v_cndmask_b32_e64 v65, 0x80000000, v59, s18
	v_cndmask_b32_e64 v64, 0, v58, s18
	v_cmp_lt_i64_e64 s18, -1, v[58:59]
	v_lshrrev_b64 v[64:65], s48, v[64:65]
	v_ashrrev_i32_e32 v65, 31, v59
	s_delay_alu instid0(VALU_DEP_3) | instskip(NEXT) | instid1(VALU_DEP_2)
	v_cndmask_b32_e64 v66, 0x80000000, -1, s18
	v_not_b32_e32 v65, v65
	s_delay_alu instid0(VALU_DEP_4) | instskip(NEXT) | instid1(VALU_DEP_1)
	v_and_b32_e32 v64, s55, v64
	v_dual_lshlrev_b32 v64, 2, v64 :: v_dual_bitop2_b32 v59, v66, v59 bitop3:0x14
	ds_load_b32 v64, v64
	s_wait_dscnt 0x0
	v_dual_add_nc_u32 v64, v64, v100 :: v_dual_bitop2_b32 v58, v65, v58 bitop3:0x14
	global_store_b64 v64, v[58:59], s[38:39] scale_offset
	s_wait_xcnt 0x0
	s_or_b32 exec_lo, exec_lo, s19
	v_cmp_lt_u32_e64 s18, v101, v165
	s_and_saveexec_b32 s20, s18
	s_cbranch_execz .LBB1216_765
.LBB1216_833:                           ;   in Loop: Header=BB1216_682 Depth=2
	ds_load_b64 v[58:59], v123 offset:9216
	s_wait_dscnt 0x0
	v_cmp_ne_u64_e64 s19, s[42:43], v[58:59]
	s_delay_alu instid0(VALU_DEP_1) | instskip(SKIP_2) | instid1(VALU_DEP_2)
	v_cndmask_b32_e64 v65, 0x80000000, v59, s19
	v_cndmask_b32_e64 v64, 0, v58, s19
	v_cmp_lt_i64_e64 s19, -1, v[58:59]
	v_lshrrev_b64 v[64:65], s48, v[64:65]
	v_ashrrev_i32_e32 v65, 31, v59
	s_delay_alu instid0(VALU_DEP_3) | instskip(NEXT) | instid1(VALU_DEP_2)
	v_cndmask_b32_e64 v66, 0x80000000, -1, s19
	v_not_b32_e32 v65, v65
	s_delay_alu instid0(VALU_DEP_4) | instskip(NEXT) | instid1(VALU_DEP_1)
	v_and_b32_e32 v64, s55, v64
	v_dual_lshlrev_b32 v64, 2, v64 :: v_dual_bitop2_b32 v59, v66, v59 bitop3:0x14
	ds_load_b32 v64, v64
	s_wait_dscnt 0x0
	v_dual_add_nc_u32 v64, v64, v101 :: v_dual_bitop2_b32 v58, v65, v58 bitop3:0x14
	global_store_b64 v64, v[58:59], s[38:39] scale_offset
	s_wait_xcnt 0x0
	s_or_b32 exec_lo, exec_lo, s20
	v_cmp_lt_u32_e64 s19, v102, v165
	s_and_saveexec_b32 s21, s19
	s_cbranch_execz .LBB1216_766
.LBB1216_834:                           ;   in Loop: Header=BB1216_682 Depth=2
	ds_load_b64 v[58:59], v123 offset:11264
	s_wait_dscnt 0x0
	v_cmp_ne_u64_e64 s20, s[42:43], v[58:59]
	s_delay_alu instid0(VALU_DEP_1) | instskip(SKIP_2) | instid1(VALU_DEP_2)
	v_cndmask_b32_e64 v65, 0x80000000, v59, s20
	v_cndmask_b32_e64 v64, 0, v58, s20
	v_cmp_lt_i64_e64 s20, -1, v[58:59]
	v_lshrrev_b64 v[64:65], s48, v[64:65]
	v_ashrrev_i32_e32 v65, 31, v59
	s_delay_alu instid0(VALU_DEP_3) | instskip(NEXT) | instid1(VALU_DEP_2)
	v_cndmask_b32_e64 v66, 0x80000000, -1, s20
	v_not_b32_e32 v65, v65
	s_delay_alu instid0(VALU_DEP_4) | instskip(NEXT) | instid1(VALU_DEP_3)
	v_and_b32_e32 v64, s55, v64
	v_xor_b32_e32 v59, v66, v59
	s_delay_alu instid0(VALU_DEP_2)
	v_dual_lshlrev_b32 v64, 2, v64 :: v_dual_bitop2_b32 v58, v65, v58 bitop3:0x14
	ds_load_b32 v64, v64
	s_wait_dscnt 0x0
	v_add_nc_u32_e32 v64, v64, v102
	global_store_b64 v64, v[58:59], s[38:39] scale_offset
	s_wait_xcnt 0x0
	s_or_b32 exec_lo, exec_lo, s21
	v_cmp_lt_u32_e64 s20, v103, v165
	s_and_saveexec_b32 s22, s20
	s_cbranch_execz .LBB1216_767
.LBB1216_835:                           ;   in Loop: Header=BB1216_682 Depth=2
	ds_load_b64 v[58:59], v123 offset:13312
	s_wait_dscnt 0x0
	v_cmp_ne_u64_e64 s21, s[42:43], v[58:59]
	s_delay_alu instid0(VALU_DEP_1) | instskip(SKIP_2) | instid1(VALU_DEP_2)
	v_cndmask_b32_e64 v65, 0x80000000, v59, s21
	v_cndmask_b32_e64 v64, 0, v58, s21
	v_cmp_lt_i64_e64 s21, -1, v[58:59]
	v_lshrrev_b64 v[64:65], s48, v[64:65]
	v_ashrrev_i32_e32 v65, 31, v59
	s_delay_alu instid0(VALU_DEP_3) | instskip(NEXT) | instid1(VALU_DEP_2)
	v_cndmask_b32_e64 v66, 0x80000000, -1, s21
	v_not_b32_e32 v65, v65
	s_delay_alu instid0(VALU_DEP_4) | instskip(NEXT) | instid1(VALU_DEP_1)
	v_and_b32_e32 v64, s55, v64
	v_dual_lshlrev_b32 v64, 2, v64 :: v_dual_bitop2_b32 v59, v66, v59 bitop3:0x14
	ds_load_b32 v64, v64
	s_wait_dscnt 0x0
	v_dual_add_nc_u32 v64, v64, v103 :: v_dual_bitop2_b32 v58, v65, v58 bitop3:0x14
	global_store_b64 v64, v[58:59], s[38:39] scale_offset
	s_wait_xcnt 0x0
	s_or_b32 exec_lo, exec_lo, s22
	v_cmp_lt_u32_e64 s21, v104, v165
	s_and_saveexec_b32 s23, s21
	s_cbranch_execz .LBB1216_768
.LBB1216_836:                           ;   in Loop: Header=BB1216_682 Depth=2
	ds_load_b64 v[58:59], v123 offset:15360
	s_wait_dscnt 0x0
	v_cmp_ne_u64_e64 s22, s[42:43], v[58:59]
	s_delay_alu instid0(VALU_DEP_1) | instskip(SKIP_2) | instid1(VALU_DEP_2)
	v_cndmask_b32_e64 v65, 0x80000000, v59, s22
	v_cndmask_b32_e64 v64, 0, v58, s22
	v_cmp_lt_i64_e64 s22, -1, v[58:59]
	v_lshrrev_b64 v[64:65], s48, v[64:65]
	v_ashrrev_i32_e32 v65, 31, v59
	s_delay_alu instid0(VALU_DEP_3) | instskip(NEXT) | instid1(VALU_DEP_2)
	v_cndmask_b32_e64 v66, 0x80000000, -1, s22
	v_not_b32_e32 v65, v65
	s_delay_alu instid0(VALU_DEP_4) | instskip(NEXT) | instid1(VALU_DEP_1)
	v_and_b32_e32 v64, s55, v64
	v_dual_lshlrev_b32 v64, 2, v64 :: v_dual_bitop2_b32 v59, v66, v59 bitop3:0x14
	ds_load_b32 v64, v64
	s_wait_dscnt 0x0
	v_dual_add_nc_u32 v64, v64, v104 :: v_dual_bitop2_b32 v58, v65, v58 bitop3:0x14
	global_store_b64 v64, v[58:59], s[38:39] scale_offset
	s_wait_xcnt 0x0
	s_or_b32 exec_lo, exec_lo, s23
	v_cmp_lt_u32_e64 s22, v105, v165
	s_and_saveexec_b32 s24, s22
	s_cbranch_execz .LBB1216_769
.LBB1216_837:                           ;   in Loop: Header=BB1216_682 Depth=2
	ds_load_b64 v[58:59], v123 offset:17408
	s_wait_dscnt 0x0
	v_cmp_ne_u64_e64 s23, s[42:43], v[58:59]
	s_delay_alu instid0(VALU_DEP_1) | instskip(SKIP_2) | instid1(VALU_DEP_2)
	v_cndmask_b32_e64 v65, 0x80000000, v59, s23
	v_cndmask_b32_e64 v64, 0, v58, s23
	v_cmp_lt_i64_e64 s23, -1, v[58:59]
	v_lshrrev_b64 v[64:65], s48, v[64:65]
	v_ashrrev_i32_e32 v65, 31, v59
	s_delay_alu instid0(VALU_DEP_3) | instskip(NEXT) | instid1(VALU_DEP_2)
	v_cndmask_b32_e64 v66, 0x80000000, -1, s23
	v_not_b32_e32 v65, v65
	s_delay_alu instid0(VALU_DEP_4) | instskip(NEXT) | instid1(VALU_DEP_1)
	v_and_b32_e32 v64, s55, v64
	v_dual_lshlrev_b32 v64, 2, v64 :: v_dual_bitop2_b32 v59, v66, v59 bitop3:0x14
	ds_load_b32 v64, v64
	s_wait_dscnt 0x0
	v_dual_add_nc_u32 v64, v64, v105 :: v_dual_bitop2_b32 v58, v65, v58 bitop3:0x14
	global_store_b64 v64, v[58:59], s[38:39] scale_offset
	s_wait_xcnt 0x0
	s_or_b32 exec_lo, exec_lo, s24
	v_cmp_lt_u32_e64 s23, v106, v165
	s_and_saveexec_b32 s25, s23
	s_cbranch_execz .LBB1216_770
.LBB1216_838:                           ;   in Loop: Header=BB1216_682 Depth=2
	ds_load_b64 v[58:59], v123 offset:19456
	s_wait_dscnt 0x0
	v_cmp_ne_u64_e64 s24, s[42:43], v[58:59]
	s_delay_alu instid0(VALU_DEP_1) | instskip(SKIP_2) | instid1(VALU_DEP_2)
	v_cndmask_b32_e64 v65, 0x80000000, v59, s24
	v_cndmask_b32_e64 v64, 0, v58, s24
	v_cmp_lt_i64_e64 s24, -1, v[58:59]
	v_lshrrev_b64 v[64:65], s48, v[64:65]
	v_ashrrev_i32_e32 v65, 31, v59
	s_delay_alu instid0(VALU_DEP_3) | instskip(NEXT) | instid1(VALU_DEP_2)
	v_cndmask_b32_e64 v66, 0x80000000, -1, s24
	v_not_b32_e32 v65, v65
	s_delay_alu instid0(VALU_DEP_4) | instskip(NEXT) | instid1(VALU_DEP_3)
	v_and_b32_e32 v64, s55, v64
	v_xor_b32_e32 v59, v66, v59
	s_delay_alu instid0(VALU_DEP_2)
	v_dual_lshlrev_b32 v64, 2, v64 :: v_dual_bitop2_b32 v58, v65, v58 bitop3:0x14
	ds_load_b32 v64, v64
	s_wait_dscnt 0x0
	v_add_nc_u32_e32 v64, v64, v106
	global_store_b64 v64, v[58:59], s[38:39] scale_offset
	s_wait_xcnt 0x0
	s_or_b32 exec_lo, exec_lo, s25
	v_cmp_lt_u32_e64 s24, v107, v165
	s_and_saveexec_b32 s26, s24
	s_cbranch_execz .LBB1216_771
.LBB1216_839:                           ;   in Loop: Header=BB1216_682 Depth=2
	ds_load_b64 v[58:59], v123 offset:21504
	s_wait_dscnt 0x0
	v_cmp_ne_u64_e64 s25, s[42:43], v[58:59]
	s_delay_alu instid0(VALU_DEP_1) | instskip(SKIP_2) | instid1(VALU_DEP_2)
	v_cndmask_b32_e64 v65, 0x80000000, v59, s25
	v_cndmask_b32_e64 v64, 0, v58, s25
	v_cmp_lt_i64_e64 s25, -1, v[58:59]
	v_lshrrev_b64 v[64:65], s48, v[64:65]
	v_ashrrev_i32_e32 v65, 31, v59
	s_delay_alu instid0(VALU_DEP_3) | instskip(NEXT) | instid1(VALU_DEP_2)
	v_cndmask_b32_e64 v66, 0x80000000, -1, s25
	v_not_b32_e32 v65, v65
	s_delay_alu instid0(VALU_DEP_4) | instskip(NEXT) | instid1(VALU_DEP_1)
	v_and_b32_e32 v64, s55, v64
	v_dual_lshlrev_b32 v64, 2, v64 :: v_dual_bitop2_b32 v59, v66, v59 bitop3:0x14
	ds_load_b32 v64, v64
	s_wait_dscnt 0x0
	v_dual_add_nc_u32 v64, v64, v107 :: v_dual_bitop2_b32 v58, v65, v58 bitop3:0x14
	global_store_b64 v64, v[58:59], s[38:39] scale_offset
	s_wait_xcnt 0x0
	s_or_b32 exec_lo, exec_lo, s26
	v_cmp_lt_u32_e64 s25, v108, v165
	s_and_saveexec_b32 s27, s25
	s_cbranch_execz .LBB1216_772
.LBB1216_840:                           ;   in Loop: Header=BB1216_682 Depth=2
	ds_load_b64 v[58:59], v123 offset:23552
	s_wait_dscnt 0x0
	v_cmp_ne_u64_e64 s26, s[42:43], v[58:59]
	s_delay_alu instid0(VALU_DEP_1) | instskip(SKIP_2) | instid1(VALU_DEP_2)
	v_cndmask_b32_e64 v65, 0x80000000, v59, s26
	v_cndmask_b32_e64 v64, 0, v58, s26
	v_cmp_lt_i64_e64 s26, -1, v[58:59]
	v_lshrrev_b64 v[64:65], s48, v[64:65]
	v_ashrrev_i32_e32 v65, 31, v59
	s_delay_alu instid0(VALU_DEP_3) | instskip(NEXT) | instid1(VALU_DEP_2)
	v_cndmask_b32_e64 v66, 0x80000000, -1, s26
	v_not_b32_e32 v65, v65
	s_delay_alu instid0(VALU_DEP_4) | instskip(NEXT) | instid1(VALU_DEP_1)
	v_and_b32_e32 v64, s55, v64
	v_dual_lshlrev_b32 v64, 2, v64 :: v_dual_bitop2_b32 v59, v66, v59 bitop3:0x14
	ds_load_b32 v64, v64
	s_wait_dscnt 0x0
	v_dual_add_nc_u32 v64, v64, v108 :: v_dual_bitop2_b32 v58, v65, v58 bitop3:0x14
	global_store_b64 v64, v[58:59], s[38:39] scale_offset
	s_wait_xcnt 0x0
	s_or_b32 exec_lo, exec_lo, s27
	v_cmp_lt_u32_e64 s26, v109, v165
	s_and_saveexec_b32 s28, s26
	s_cbranch_execz .LBB1216_773
.LBB1216_841:                           ;   in Loop: Header=BB1216_682 Depth=2
	ds_load_b64 v[58:59], v123 offset:25600
	s_wait_dscnt 0x0
	v_cmp_ne_u64_e64 s27, s[42:43], v[58:59]
	s_delay_alu instid0(VALU_DEP_1) | instskip(SKIP_2) | instid1(VALU_DEP_2)
	v_cndmask_b32_e64 v65, 0x80000000, v59, s27
	v_cndmask_b32_e64 v64, 0, v58, s27
	v_cmp_lt_i64_e64 s27, -1, v[58:59]
	v_lshrrev_b64 v[64:65], s48, v[64:65]
	v_ashrrev_i32_e32 v65, 31, v59
	s_delay_alu instid0(VALU_DEP_3) | instskip(NEXT) | instid1(VALU_DEP_2)
	v_cndmask_b32_e64 v66, 0x80000000, -1, s27
	v_not_b32_e32 v65, v65
	s_delay_alu instid0(VALU_DEP_4) | instskip(NEXT) | instid1(VALU_DEP_1)
	v_and_b32_e32 v64, s55, v64
	v_dual_lshlrev_b32 v64, 2, v64 :: v_dual_bitop2_b32 v59, v66, v59 bitop3:0x14
	ds_load_b32 v64, v64
	s_wait_dscnt 0x0
	v_dual_add_nc_u32 v64, v64, v109 :: v_dual_bitop2_b32 v58, v65, v58 bitop3:0x14
	global_store_b64 v64, v[58:59], s[38:39] scale_offset
	s_wait_xcnt 0x0
	s_or_b32 exec_lo, exec_lo, s28
	v_cmp_lt_u32_e64 s27, v110, v165
	s_and_saveexec_b32 s29, s27
	s_cbranch_execz .LBB1216_774
.LBB1216_842:                           ;   in Loop: Header=BB1216_682 Depth=2
	ds_load_b64 v[58:59], v123 offset:27648
	s_wait_dscnt 0x0
	v_cmp_ne_u64_e64 s28, s[42:43], v[58:59]
	s_delay_alu instid0(VALU_DEP_1) | instskip(SKIP_2) | instid1(VALU_DEP_2)
	v_cndmask_b32_e64 v65, 0x80000000, v59, s28
	v_cndmask_b32_e64 v64, 0, v58, s28
	v_cmp_lt_i64_e64 s28, -1, v[58:59]
	v_lshrrev_b64 v[64:65], s48, v[64:65]
	v_ashrrev_i32_e32 v65, 31, v59
	s_delay_alu instid0(VALU_DEP_3) | instskip(NEXT) | instid1(VALU_DEP_2)
	v_cndmask_b32_e64 v66, 0x80000000, -1, s28
	v_not_b32_e32 v65, v65
	s_delay_alu instid0(VALU_DEP_4) | instskip(NEXT) | instid1(VALU_DEP_3)
	v_and_b32_e32 v64, s55, v64
	v_xor_b32_e32 v59, v66, v59
	s_delay_alu instid0(VALU_DEP_2)
	v_dual_lshlrev_b32 v64, 2, v64 :: v_dual_bitop2_b32 v58, v65, v58 bitop3:0x14
	ds_load_b32 v64, v64
	s_wait_dscnt 0x0
	v_add_nc_u32_e32 v64, v64, v110
	global_store_b64 v64, v[58:59], s[38:39] scale_offset
	s_wait_xcnt 0x0
	s_or_b32 exec_lo, exec_lo, s29
	v_cmp_lt_u32_e64 s28, v111, v165
	s_and_saveexec_b32 s30, s28
	s_cbranch_execz .LBB1216_775
.LBB1216_843:                           ;   in Loop: Header=BB1216_682 Depth=2
	ds_load_b64 v[58:59], v123 offset:29696
	s_wait_dscnt 0x0
	v_cmp_ne_u64_e64 s29, s[42:43], v[58:59]
	s_delay_alu instid0(VALU_DEP_1) | instskip(SKIP_2) | instid1(VALU_DEP_2)
	v_cndmask_b32_e64 v65, 0x80000000, v59, s29
	v_cndmask_b32_e64 v64, 0, v58, s29
	v_cmp_lt_i64_e64 s29, -1, v[58:59]
	v_lshrrev_b64 v[64:65], s48, v[64:65]
	v_ashrrev_i32_e32 v65, 31, v59
	s_delay_alu instid0(VALU_DEP_3) | instskip(NEXT) | instid1(VALU_DEP_2)
	v_cndmask_b32_e64 v66, 0x80000000, -1, s29
	v_not_b32_e32 v65, v65
	s_delay_alu instid0(VALU_DEP_4) | instskip(NEXT) | instid1(VALU_DEP_1)
	v_and_b32_e32 v64, s55, v64
	v_dual_lshlrev_b32 v64, 2, v64 :: v_dual_bitop2_b32 v59, v66, v59 bitop3:0x14
	ds_load_b32 v64, v64
	s_wait_dscnt 0x0
	v_dual_add_nc_u32 v64, v64, v111 :: v_dual_bitop2_b32 v58, v65, v58 bitop3:0x14
	global_store_b64 v64, v[58:59], s[38:39] scale_offset
	s_wait_xcnt 0x0
	s_or_b32 exec_lo, exec_lo, s30
	v_cmp_lt_u32_e64 s29, v112, v165
	s_and_saveexec_b32 s61, s29
	s_cbranch_execnz .LBB1216_776
	s_branch .LBB1216_777
.LBB1216_844:                           ;   in Loop: Header=BB1216_682 Depth=2
	global_load_b64 v[56:57], v[58:59], off
	s_wait_xcnt 0x0
	s_or_b32 exec_lo, exec_lo, s30
	s_delay_alu instid0(SALU_CYCLE_1)
	s_mov_b32 s34, exec_lo
	v_cmpx_lt_u32_e64 v132, v165
	s_cbranch_execz .LBB1216_779
.LBB1216_845:                           ;   in Loop: Header=BB1216_682 Depth=2
	global_load_b64 v[54:55], v[58:59], off offset:256
	s_wait_xcnt 0x0
	s_or_b32 exec_lo, exec_lo, s34
	s_delay_alu instid0(SALU_CYCLE_1)
	s_mov_b32 s34, exec_lo
	v_cmpx_lt_u32_e64 v133, v165
	s_cbranch_execz .LBB1216_780
.LBB1216_846:                           ;   in Loop: Header=BB1216_682 Depth=2
	global_load_b64 v[52:53], v[58:59], off offset:512
	s_wait_xcnt 0x0
	s_or_b32 exec_lo, exec_lo, s34
	s_delay_alu instid0(SALU_CYCLE_1)
	s_mov_b32 s34, exec_lo
	v_cmpx_lt_u32_e64 v134, v165
	s_cbranch_execz .LBB1216_781
.LBB1216_847:                           ;   in Loop: Header=BB1216_682 Depth=2
	global_load_b64 v[50:51], v[58:59], off offset:768
	s_wait_xcnt 0x0
	s_or_b32 exec_lo, exec_lo, s34
	s_delay_alu instid0(SALU_CYCLE_1)
	s_mov_b32 s34, exec_lo
	v_cmpx_lt_u32_e64 v135, v165
	s_cbranch_execz .LBB1216_782
.LBB1216_848:                           ;   in Loop: Header=BB1216_682 Depth=2
	global_load_b64 v[48:49], v[58:59], off offset:1024
	s_wait_xcnt 0x0
	s_or_b32 exec_lo, exec_lo, s34
	s_delay_alu instid0(SALU_CYCLE_1)
	s_mov_b32 s34, exec_lo
	v_cmpx_lt_u32_e64 v136, v165
	s_cbranch_execz .LBB1216_783
.LBB1216_849:                           ;   in Loop: Header=BB1216_682 Depth=2
	global_load_b64 v[46:47], v[58:59], off offset:1280
	s_wait_xcnt 0x0
	s_or_b32 exec_lo, exec_lo, s34
	s_delay_alu instid0(SALU_CYCLE_1)
	s_mov_b32 s34, exec_lo
	v_cmpx_lt_u32_e64 v137, v165
	s_cbranch_execz .LBB1216_784
.LBB1216_850:                           ;   in Loop: Header=BB1216_682 Depth=2
	global_load_b64 v[44:45], v[58:59], off offset:1536
	s_wait_xcnt 0x0
	s_or_b32 exec_lo, exec_lo, s34
	s_delay_alu instid0(SALU_CYCLE_1)
	s_mov_b32 s34, exec_lo
	v_cmpx_lt_u32_e64 v138, v165
	s_cbranch_execz .LBB1216_785
.LBB1216_851:                           ;   in Loop: Header=BB1216_682 Depth=2
	global_load_b64 v[42:43], v[58:59], off offset:1792
	s_wait_xcnt 0x0
	s_or_b32 exec_lo, exec_lo, s34
	s_delay_alu instid0(SALU_CYCLE_1)
	s_mov_b32 s34, exec_lo
	v_cmpx_lt_u32_e64 v139, v165
	s_cbranch_execz .LBB1216_786
.LBB1216_852:                           ;   in Loop: Header=BB1216_682 Depth=2
	global_load_b64 v[40:41], v[58:59], off offset:2048
	s_wait_xcnt 0x0
	s_or_b32 exec_lo, exec_lo, s34
	s_delay_alu instid0(SALU_CYCLE_1)
	s_mov_b32 s34, exec_lo
	v_cmpx_lt_u32_e64 v140, v165
	s_cbranch_execz .LBB1216_787
.LBB1216_853:                           ;   in Loop: Header=BB1216_682 Depth=2
	global_load_b64 v[38:39], v[58:59], off offset:2304
	s_wait_xcnt 0x0
	s_or_b32 exec_lo, exec_lo, s34
	s_delay_alu instid0(SALU_CYCLE_1)
	s_mov_b32 s34, exec_lo
	v_cmpx_lt_u32_e64 v141, v165
	s_cbranch_execz .LBB1216_788
.LBB1216_854:                           ;   in Loop: Header=BB1216_682 Depth=2
	global_load_b64 v[36:37], v[58:59], off offset:2560
	s_wait_xcnt 0x0
	s_or_b32 exec_lo, exec_lo, s34
	s_delay_alu instid0(SALU_CYCLE_1)
	s_mov_b32 s34, exec_lo
	v_cmpx_lt_u32_e64 v142, v165
	s_cbranch_execz .LBB1216_789
.LBB1216_855:                           ;   in Loop: Header=BB1216_682 Depth=2
	global_load_b64 v[34:35], v[58:59], off offset:2816
	s_wait_xcnt 0x0
	s_or_b32 exec_lo, exec_lo, s34
	s_delay_alu instid0(SALU_CYCLE_1)
	s_mov_b32 s34, exec_lo
	v_cmpx_lt_u32_e64 v143, v165
	s_cbranch_execz .LBB1216_790
.LBB1216_856:                           ;   in Loop: Header=BB1216_682 Depth=2
	global_load_b64 v[32:33], v[58:59], off offset:3072
	s_wait_xcnt 0x0
	s_or_b32 exec_lo, exec_lo, s34
	s_delay_alu instid0(SALU_CYCLE_1)
	s_mov_b32 s34, exec_lo
	v_cmpx_lt_u32_e64 v144, v165
	s_cbranch_execz .LBB1216_791
.LBB1216_857:                           ;   in Loop: Header=BB1216_682 Depth=2
	global_load_b64 v[30:31], v[58:59], off offset:3328
	s_wait_xcnt 0x0
	s_or_b32 exec_lo, exec_lo, s34
	s_delay_alu instid0(SALU_CYCLE_1)
	s_mov_b32 s34, exec_lo
	v_cmpx_lt_u32_e64 v145, v165
	s_cbranch_execz .LBB1216_792
.LBB1216_858:                           ;   in Loop: Header=BB1216_682 Depth=2
	global_load_b64 v[28:29], v[58:59], off offset:3584
	s_wait_xcnt 0x0
	s_or_b32 exec_lo, exec_lo, s34
	s_delay_alu instid0(SALU_CYCLE_1)
	s_mov_b32 s34, exec_lo
	v_cmpx_lt_u32_e64 v146, v165
	s_cbranch_execz .LBB1216_793
.LBB1216_859:                           ;   in Loop: Header=BB1216_682 Depth=2
	global_load_b64 v[26:27], v[58:59], off offset:3840
	s_wait_xcnt 0x0
	s_or_b32 exec_lo, exec_lo, s34
	s_and_saveexec_b32 s34, vcc_lo
	s_cbranch_execz .LBB1216_794
.LBB1216_860:                           ;   in Loop: Header=BB1216_682 Depth=2
	ds_load_b64 v[58:59], v123 offset:1024
	s_wait_dscnt 0x0
	v_cmp_ne_u64_e64 s30, s[42:43], v[58:59]
	s_delay_alu instid0(VALU_DEP_1) | instskip(SKIP_1) | instid1(VALU_DEP_1)
	v_cndmask_b32_e64 v59, 0x80000000, v59, s30
	v_cndmask_b32_e64 v58, 0, v58, s30
	v_lshrrev_b64 v[58:59], s48, v[58:59]
	s_delay_alu instid0(VALU_DEP_1)
	v_and_b32_e32 v164, s55, v58
	s_or_b32 exec_lo, exec_lo, s34
	s_and_saveexec_b32 s34, s15
	s_cbranch_execz .LBB1216_795
.LBB1216_861:                           ;   in Loop: Header=BB1216_682 Depth=2
	ds_load_b64 v[58:59], v123 offset:3072
	s_wait_dscnt 0x0
	v_cmp_ne_u64_e64 s30, s[42:43], v[58:59]
	s_delay_alu instid0(VALU_DEP_1) | instskip(SKIP_1) | instid1(VALU_DEP_1)
	v_cndmask_b32_e64 v59, 0x80000000, v59, s30
	v_cndmask_b32_e64 v58, 0, v58, s30
	v_lshrrev_b64 v[58:59], s48, v[58:59]
	s_delay_alu instid0(VALU_DEP_1)
	v_and_b32_e32 v163, s55, v58
	s_or_b32 exec_lo, exec_lo, s34
	s_and_saveexec_b32 s34, s16
	s_cbranch_execz .LBB1216_796
.LBB1216_862:                           ;   in Loop: Header=BB1216_682 Depth=2
	ds_load_b64 v[58:59], v123 offset:5120
	s_wait_dscnt 0x0
	v_cmp_ne_u64_e64 s30, s[42:43], v[58:59]
	s_delay_alu instid0(VALU_DEP_1) | instskip(SKIP_1) | instid1(VALU_DEP_1)
	v_cndmask_b32_e64 v59, 0x80000000, v59, s30
	v_cndmask_b32_e64 v58, 0, v58, s30
	v_lshrrev_b64 v[58:59], s48, v[58:59]
	s_delay_alu instid0(VALU_DEP_1)
	v_and_b32_e32 v162, s55, v58
	s_or_b32 exec_lo, exec_lo, s34
	s_and_saveexec_b32 s34, s17
	s_cbranch_execz .LBB1216_797
.LBB1216_863:                           ;   in Loop: Header=BB1216_682 Depth=2
	ds_load_b64 v[58:59], v123 offset:7168
	s_wait_dscnt 0x0
	v_cmp_ne_u64_e64 s30, s[42:43], v[58:59]
	s_delay_alu instid0(VALU_DEP_1) | instskip(SKIP_1) | instid1(VALU_DEP_1)
	v_cndmask_b32_e64 v59, 0x80000000, v59, s30
	v_cndmask_b32_e64 v58, 0, v58, s30
	v_lshrrev_b64 v[58:59], s48, v[58:59]
	s_delay_alu instid0(VALU_DEP_1)
	v_and_b32_e32 v161, s55, v58
	s_or_b32 exec_lo, exec_lo, s34
	s_and_saveexec_b32 s34, s18
	s_cbranch_execz .LBB1216_798
.LBB1216_864:                           ;   in Loop: Header=BB1216_682 Depth=2
	ds_load_b64 v[58:59], v123 offset:9216
	s_wait_dscnt 0x0
	v_cmp_ne_u64_e64 s30, s[42:43], v[58:59]
	s_delay_alu instid0(VALU_DEP_1) | instskip(SKIP_1) | instid1(VALU_DEP_1)
	v_cndmask_b32_e64 v59, 0x80000000, v59, s30
	v_cndmask_b32_e64 v58, 0, v58, s30
	v_lshrrev_b64 v[58:59], s48, v[58:59]
	s_delay_alu instid0(VALU_DEP_1)
	v_and_b32_e32 v160, s55, v58
	s_or_b32 exec_lo, exec_lo, s34
	s_and_saveexec_b32 s34, s19
	s_cbranch_execz .LBB1216_799
.LBB1216_865:                           ;   in Loop: Header=BB1216_682 Depth=2
	ds_load_b64 v[58:59], v123 offset:11264
	s_wait_dscnt 0x0
	v_cmp_ne_u64_e64 s30, s[42:43], v[58:59]
	s_delay_alu instid0(VALU_DEP_1) | instskip(SKIP_1) | instid1(VALU_DEP_1)
	v_cndmask_b32_e64 v59, 0x80000000, v59, s30
	v_cndmask_b32_e64 v58, 0, v58, s30
	v_lshrrev_b64 v[58:59], s48, v[58:59]
	s_delay_alu instid0(VALU_DEP_1)
	v_and_b32_e32 v159, s55, v58
	s_or_b32 exec_lo, exec_lo, s34
	s_and_saveexec_b32 s34, s20
	s_cbranch_execz .LBB1216_800
.LBB1216_866:                           ;   in Loop: Header=BB1216_682 Depth=2
	ds_load_b64 v[58:59], v123 offset:13312
	s_wait_dscnt 0x0
	v_cmp_ne_u64_e64 s30, s[42:43], v[58:59]
	s_delay_alu instid0(VALU_DEP_1) | instskip(SKIP_1) | instid1(VALU_DEP_1)
	v_cndmask_b32_e64 v59, 0x80000000, v59, s30
	v_cndmask_b32_e64 v58, 0, v58, s30
	v_lshrrev_b64 v[58:59], s48, v[58:59]
	s_delay_alu instid0(VALU_DEP_1)
	v_and_b32_e32 v158, s55, v58
	s_or_b32 exec_lo, exec_lo, s34
	s_and_saveexec_b32 s34, s21
	s_cbranch_execz .LBB1216_801
.LBB1216_867:                           ;   in Loop: Header=BB1216_682 Depth=2
	ds_load_b64 v[58:59], v123 offset:15360
	s_wait_dscnt 0x0
	v_cmp_ne_u64_e64 s30, s[42:43], v[58:59]
	s_delay_alu instid0(VALU_DEP_1) | instskip(SKIP_1) | instid1(VALU_DEP_1)
	v_cndmask_b32_e64 v59, 0x80000000, v59, s30
	v_cndmask_b32_e64 v58, 0, v58, s30
	v_lshrrev_b64 v[58:59], s48, v[58:59]
	s_delay_alu instid0(VALU_DEP_1)
	v_and_b32_e32 v157, s55, v58
	s_or_b32 exec_lo, exec_lo, s34
	s_and_saveexec_b32 s34, s22
	s_cbranch_execz .LBB1216_802
.LBB1216_868:                           ;   in Loop: Header=BB1216_682 Depth=2
	ds_load_b64 v[58:59], v123 offset:17408
	s_wait_dscnt 0x0
	v_cmp_ne_u64_e64 s30, s[42:43], v[58:59]
	s_delay_alu instid0(VALU_DEP_1) | instskip(SKIP_1) | instid1(VALU_DEP_1)
	v_cndmask_b32_e64 v59, 0x80000000, v59, s30
	v_cndmask_b32_e64 v58, 0, v58, s30
	v_lshrrev_b64 v[58:59], s48, v[58:59]
	s_delay_alu instid0(VALU_DEP_1)
	v_and_b32_e32 v156, s55, v58
	s_or_b32 exec_lo, exec_lo, s34
	s_and_saveexec_b32 s34, s23
	s_cbranch_execz .LBB1216_803
.LBB1216_869:                           ;   in Loop: Header=BB1216_682 Depth=2
	ds_load_b64 v[58:59], v123 offset:19456
	s_wait_dscnt 0x0
	v_cmp_ne_u64_e64 s30, s[42:43], v[58:59]
	s_delay_alu instid0(VALU_DEP_1) | instskip(SKIP_1) | instid1(VALU_DEP_1)
	v_cndmask_b32_e64 v59, 0x80000000, v59, s30
	v_cndmask_b32_e64 v58, 0, v58, s30
	v_lshrrev_b64 v[58:59], s48, v[58:59]
	s_delay_alu instid0(VALU_DEP_1)
	v_and_b32_e32 v155, s55, v58
	s_or_b32 exec_lo, exec_lo, s34
	s_and_saveexec_b32 s34, s24
	s_cbranch_execz .LBB1216_804
.LBB1216_870:                           ;   in Loop: Header=BB1216_682 Depth=2
	ds_load_b64 v[58:59], v123 offset:21504
	s_wait_dscnt 0x0
	v_cmp_ne_u64_e64 s30, s[42:43], v[58:59]
	s_delay_alu instid0(VALU_DEP_1) | instskip(SKIP_1) | instid1(VALU_DEP_1)
	v_cndmask_b32_e64 v59, 0x80000000, v59, s30
	v_cndmask_b32_e64 v58, 0, v58, s30
	v_lshrrev_b64 v[58:59], s48, v[58:59]
	s_delay_alu instid0(VALU_DEP_1)
	v_and_b32_e32 v154, s55, v58
	s_or_b32 exec_lo, exec_lo, s34
	s_and_saveexec_b32 s34, s25
	s_cbranch_execz .LBB1216_805
.LBB1216_871:                           ;   in Loop: Header=BB1216_682 Depth=2
	ds_load_b64 v[58:59], v123 offset:23552
	s_wait_dscnt 0x0
	v_cmp_ne_u64_e64 s30, s[42:43], v[58:59]
	s_delay_alu instid0(VALU_DEP_1) | instskip(SKIP_1) | instid1(VALU_DEP_1)
	v_cndmask_b32_e64 v59, 0x80000000, v59, s30
	v_cndmask_b32_e64 v58, 0, v58, s30
	v_lshrrev_b64 v[58:59], s48, v[58:59]
	s_delay_alu instid0(VALU_DEP_1)
	v_and_b32_e32 v153, s55, v58
	s_or_b32 exec_lo, exec_lo, s34
	s_and_saveexec_b32 s34, s26
	s_cbranch_execz .LBB1216_806
.LBB1216_872:                           ;   in Loop: Header=BB1216_682 Depth=2
	ds_load_b64 v[58:59], v123 offset:25600
	s_wait_dscnt 0x0
	v_cmp_ne_u64_e64 s30, s[42:43], v[58:59]
	s_delay_alu instid0(VALU_DEP_1) | instskip(SKIP_1) | instid1(VALU_DEP_1)
	v_cndmask_b32_e64 v59, 0x80000000, v59, s30
	v_cndmask_b32_e64 v58, 0, v58, s30
	v_lshrrev_b64 v[58:59], s48, v[58:59]
	s_delay_alu instid0(VALU_DEP_1)
	v_and_b32_e32 v152, s55, v58
	s_or_b32 exec_lo, exec_lo, s34
	s_and_saveexec_b32 s34, s27
	s_cbranch_execz .LBB1216_807
.LBB1216_873:                           ;   in Loop: Header=BB1216_682 Depth=2
	ds_load_b64 v[58:59], v123 offset:27648
	s_wait_dscnt 0x0
	v_cmp_ne_u64_e64 s30, s[42:43], v[58:59]
	s_delay_alu instid0(VALU_DEP_1) | instskip(SKIP_1) | instid1(VALU_DEP_1)
	v_cndmask_b32_e64 v59, 0x80000000, v59, s30
	v_cndmask_b32_e64 v58, 0, v58, s30
	v_lshrrev_b64 v[58:59], s48, v[58:59]
	s_delay_alu instid0(VALU_DEP_1)
	v_and_b32_e32 v151, s55, v58
	s_or_b32 exec_lo, exec_lo, s34
	s_and_saveexec_b32 s34, s28
	s_cbranch_execz .LBB1216_808
.LBB1216_874:                           ;   in Loop: Header=BB1216_682 Depth=2
	ds_load_b64 v[58:59], v123 offset:29696
	s_wait_dscnt 0x0
	v_cmp_ne_u64_e64 s30, s[42:43], v[58:59]
	s_delay_alu instid0(VALU_DEP_1) | instskip(SKIP_1) | instid1(VALU_DEP_1)
	v_cndmask_b32_e64 v59, 0x80000000, v59, s30
	v_cndmask_b32_e64 v58, 0, v58, s30
	v_lshrrev_b64 v[58:59], s48, v[58:59]
	s_delay_alu instid0(VALU_DEP_1)
	v_and_b32_e32 v150, s55, v58
	s_or_b32 exec_lo, exec_lo, s34
	s_and_saveexec_b32 s34, s29
	s_cbranch_execnz .LBB1216_809
	s_branch .LBB1216_810
.LBB1216_875:                           ;   in Loop: Header=BB1216_682 Depth=2
	v_lshlrev_b32_e32 v58, 2, v164
	ds_load_b32 v60, v58
	ds_load_b64 v[58:59], v123 offset:1024
	s_wait_dscnt 0x1
	v_add_nc_u32_e32 v60, v60, v2
	s_wait_dscnt 0x0
	global_store_b64 v60, v[58:59], s[44:45] scale_offset
	s_wait_xcnt 0x0
	s_or_b32 exec_lo, exec_lo, s30
	s_and_saveexec_b32 s30, s15
	s_cbranch_execz .LBB1216_812
.LBB1216_876:                           ;   in Loop: Header=BB1216_682 Depth=2
	v_lshlrev_b32_e32 v58, 2, v163
	ds_load_b32 v60, v58
	ds_load_b64 v[58:59], v123 offset:3072
	s_wait_dscnt 0x1
	v_add_nc_u32_e32 v60, v60, v98
	s_wait_dscnt 0x0
	global_store_b64 v60, v[58:59], s[44:45] scale_offset
	s_wait_xcnt 0x0
	s_or_b32 exec_lo, exec_lo, s30
	s_and_saveexec_b32 s15, s16
	s_cbranch_execz .LBB1216_813
.LBB1216_877:                           ;   in Loop: Header=BB1216_682 Depth=2
	v_lshlrev_b32_e32 v58, 2, v162
	ds_load_b32 v60, v58
	ds_load_b64 v[58:59], v123 offset:5120
	s_wait_dscnt 0x1
	v_add_nc_u32_e32 v60, v60, v99
	s_wait_dscnt 0x0
	global_store_b64 v60, v[58:59], s[44:45] scale_offset
	s_wait_xcnt 0x0
	s_or_b32 exec_lo, exec_lo, s15
	s_and_saveexec_b32 s15, s17
	s_cbranch_execz .LBB1216_814
.LBB1216_878:                           ;   in Loop: Header=BB1216_682 Depth=2
	v_lshlrev_b32_e32 v58, 2, v161
	ds_load_b32 v60, v58
	ds_load_b64 v[58:59], v123 offset:7168
	s_wait_dscnt 0x1
	v_add_nc_u32_e32 v60, v60, v100
	s_wait_dscnt 0x0
	global_store_b64 v60, v[58:59], s[44:45] scale_offset
	s_wait_xcnt 0x0
	s_or_b32 exec_lo, exec_lo, s15
	s_and_saveexec_b32 s15, s18
	s_cbranch_execz .LBB1216_815
.LBB1216_879:                           ;   in Loop: Header=BB1216_682 Depth=2
	v_lshlrev_b32_e32 v58, 2, v160
	ds_load_b32 v60, v58
	ds_load_b64 v[58:59], v123 offset:9216
	s_wait_dscnt 0x1
	v_add_nc_u32_e32 v60, v60, v101
	s_wait_dscnt 0x0
	global_store_b64 v60, v[58:59], s[44:45] scale_offset
	s_wait_xcnt 0x0
	s_or_b32 exec_lo, exec_lo, s15
	s_and_saveexec_b32 s15, s19
	s_cbranch_execz .LBB1216_816
.LBB1216_880:                           ;   in Loop: Header=BB1216_682 Depth=2
	v_lshlrev_b32_e32 v58, 2, v159
	ds_load_b32 v60, v58
	ds_load_b64 v[58:59], v123 offset:11264
	s_wait_dscnt 0x1
	v_add_nc_u32_e32 v60, v60, v102
	s_wait_dscnt 0x0
	global_store_b64 v60, v[58:59], s[44:45] scale_offset
	s_wait_xcnt 0x0
	s_or_b32 exec_lo, exec_lo, s15
	s_and_saveexec_b32 s15, s20
	s_cbranch_execz .LBB1216_817
.LBB1216_881:                           ;   in Loop: Header=BB1216_682 Depth=2
	v_lshlrev_b32_e32 v58, 2, v158
	ds_load_b32 v60, v58
	ds_load_b64 v[58:59], v123 offset:13312
	s_wait_dscnt 0x1
	v_add_nc_u32_e32 v60, v60, v103
	s_wait_dscnt 0x0
	global_store_b64 v60, v[58:59], s[44:45] scale_offset
	s_wait_xcnt 0x0
	s_or_b32 exec_lo, exec_lo, s15
	s_and_saveexec_b32 s15, s21
	s_cbranch_execz .LBB1216_818
.LBB1216_882:                           ;   in Loop: Header=BB1216_682 Depth=2
	v_lshlrev_b32_e32 v58, 2, v157
	ds_load_b32 v60, v58
	ds_load_b64 v[58:59], v123 offset:15360
	s_wait_dscnt 0x1
	v_add_nc_u32_e32 v60, v60, v104
	s_wait_dscnt 0x0
	global_store_b64 v60, v[58:59], s[44:45] scale_offset
	s_wait_xcnt 0x0
	s_or_b32 exec_lo, exec_lo, s15
	s_and_saveexec_b32 s15, s22
	s_cbranch_execz .LBB1216_819
.LBB1216_883:                           ;   in Loop: Header=BB1216_682 Depth=2
	v_lshlrev_b32_e32 v58, 2, v156
	ds_load_b32 v60, v58
	ds_load_b64 v[58:59], v123 offset:17408
	s_wait_dscnt 0x1
	v_add_nc_u32_e32 v60, v60, v105
	s_wait_dscnt 0x0
	global_store_b64 v60, v[58:59], s[44:45] scale_offset
	s_wait_xcnt 0x0
	s_or_b32 exec_lo, exec_lo, s15
	s_and_saveexec_b32 s15, s23
	s_cbranch_execz .LBB1216_820
.LBB1216_884:                           ;   in Loop: Header=BB1216_682 Depth=2
	v_lshlrev_b32_e32 v58, 2, v155
	ds_load_b32 v60, v58
	ds_load_b64 v[58:59], v123 offset:19456
	s_wait_dscnt 0x1
	v_add_nc_u32_e32 v60, v60, v106
	s_wait_dscnt 0x0
	global_store_b64 v60, v[58:59], s[44:45] scale_offset
	s_wait_xcnt 0x0
	s_or_b32 exec_lo, exec_lo, s15
	s_and_saveexec_b32 s15, s24
	s_cbranch_execz .LBB1216_821
.LBB1216_885:                           ;   in Loop: Header=BB1216_682 Depth=2
	v_lshlrev_b32_e32 v58, 2, v154
	ds_load_b32 v60, v58
	ds_load_b64 v[58:59], v123 offset:21504
	s_wait_dscnt 0x1
	v_add_nc_u32_e32 v60, v60, v107
	s_wait_dscnt 0x0
	global_store_b64 v60, v[58:59], s[44:45] scale_offset
	s_wait_xcnt 0x0
	s_or_b32 exec_lo, exec_lo, s15
	s_and_saveexec_b32 s15, s25
	s_cbranch_execz .LBB1216_822
.LBB1216_886:                           ;   in Loop: Header=BB1216_682 Depth=2
	v_lshlrev_b32_e32 v58, 2, v153
	ds_load_b32 v60, v58
	ds_load_b64 v[58:59], v123 offset:23552
	s_wait_dscnt 0x1
	v_add_nc_u32_e32 v60, v60, v108
	s_wait_dscnt 0x0
	global_store_b64 v60, v[58:59], s[44:45] scale_offset
	s_wait_xcnt 0x0
	s_or_b32 exec_lo, exec_lo, s15
	s_and_saveexec_b32 s15, s26
	s_cbranch_execz .LBB1216_823
.LBB1216_887:                           ;   in Loop: Header=BB1216_682 Depth=2
	v_lshlrev_b32_e32 v58, 2, v152
	ds_load_b32 v60, v58
	ds_load_b64 v[58:59], v123 offset:25600
	s_wait_dscnt 0x1
	v_add_nc_u32_e32 v60, v60, v109
	s_wait_dscnt 0x0
	global_store_b64 v60, v[58:59], s[44:45] scale_offset
	s_wait_xcnt 0x0
	s_or_b32 exec_lo, exec_lo, s15
	s_and_saveexec_b32 s15, s27
	s_cbranch_execz .LBB1216_824
.LBB1216_888:                           ;   in Loop: Header=BB1216_682 Depth=2
	v_lshlrev_b32_e32 v58, 2, v151
	ds_load_b32 v60, v58
	ds_load_b64 v[58:59], v123 offset:27648
	s_wait_dscnt 0x1
	v_add_nc_u32_e32 v60, v60, v110
	s_wait_dscnt 0x0
	global_store_b64 v60, v[58:59], s[44:45] scale_offset
	s_wait_xcnt 0x0
	s_or_b32 exec_lo, exec_lo, s15
	s_and_saveexec_b32 s15, s28
	s_cbranch_execz .LBB1216_825
.LBB1216_889:                           ;   in Loop: Header=BB1216_682 Depth=2
	v_lshlrev_b32_e32 v58, 2, v150
	ds_load_b32 v60, v58
	ds_load_b64 v[58:59], v123 offset:29696
	s_wait_dscnt 0x1
	v_add_nc_u32_e32 v60, v60, v111
	s_wait_dscnt 0x0
	global_store_b64 v60, v[58:59], s[44:45] scale_offset
	s_wait_xcnt 0x0
	s_or_b32 exec_lo, exec_lo, s15
	s_and_saveexec_b32 s15, s29
	s_cbranch_execnz .LBB1216_826
	s_branch .LBB1216_827
.LBB1216_890:                           ;   in Loop: Header=BB1216_12 Depth=1
	s_wait_dscnt 0x0
	s_barrier_signal -1
	s_mov_b32 s7, 0
	s_barrier_wait -1
.LBB1216_891:                           ;   in Loop: Header=BB1216_12 Depth=1
	s_and_b32 vcc_lo, exec_lo, s7
	s_cbranch_vccz .LBB1216_11
; %bb.892:                              ;   in Loop: Header=BB1216_12 Depth=1
	s_mov_b32 s7, s58
	s_mov_b32 s34, s56
	s_barrier_signal -1
	s_barrier_wait -1
                                        ; implicit-def: $vgpr22_vgpr23
                                        ; implicit-def: $vgpr24_vgpr25
                                        ; implicit-def: $vgpr26_vgpr27
                                        ; implicit-def: $vgpr28_vgpr29
                                        ; implicit-def: $vgpr30_vgpr31
                                        ; implicit-def: $vgpr32_vgpr33
                                        ; implicit-def: $vgpr34_vgpr35
                                        ; implicit-def: $vgpr36_vgpr37
                                        ; implicit-def: $vgpr38_vgpr39
                                        ; implicit-def: $vgpr40_vgpr41
                                        ; implicit-def: $vgpr42_vgpr43
                                        ; implicit-def: $vgpr44_vgpr45
                                        ; implicit-def: $vgpr46_vgpr47
                                        ; implicit-def: $vgpr48_vgpr49
                                        ; implicit-def: $vgpr50_vgpr51
                                        ; implicit-def: $vgpr52_vgpr53
	s_branch .LBB1216_894
.LBB1216_893:                           ;   in Loop: Header=BB1216_894 Depth=2
	s_or_b32 exec_lo, exec_lo, s8
	s_addk_co_i32 s7, 0xf000
	s_cmp_ge_u32 s10, s51
	s_mov_b32 s34, s10
	s_cbranch_scc1 .LBB1216_962
.LBB1216_894:                           ;   Parent Loop BB1216_12 Depth=1
                                        ; =>  This Inner Loop Header: Depth=2
	s_add_co_i32 s10, s34, 0x1000
	s_mov_b32 s8, -1
	s_cmp_gt_u32 s10, s51
                                        ; implicit-def: $vgpr54_vgpr55
                                        ; implicit-def: $vgpr56_vgpr57
                                        ; implicit-def: $vgpr58_vgpr59
                                        ; implicit-def: $vgpr60_vgpr61
                                        ; implicit-def: $vgpr62_vgpr63
                                        ; implicit-def: $vgpr64_vgpr65
                                        ; implicit-def: $vgpr66_vgpr67
                                        ; implicit-def: $vgpr68_vgpr69
                                        ; implicit-def: $vgpr70_vgpr71
                                        ; implicit-def: $vgpr72_vgpr73
                                        ; implicit-def: $vgpr74_vgpr75
                                        ; implicit-def: $vgpr76_vgpr77
                                        ; implicit-def: $vgpr78_vgpr79
                                        ; implicit-def: $vgpr80_vgpr81
                                        ; implicit-def: $vgpr82_vgpr83
                                        ; implicit-def: $vgpr84_vgpr85
	s_cbranch_scc1 .LBB1216_896
; %bb.895:                              ;   in Loop: Header=BB1216_894 Depth=2
	v_lshl_add_u64 v[84:85], s[34:35], 3, v[16:17]
	s_mov_b32 s8, 0
	s_clause 0xf
	global_load_b64 v[54:55], v[84:85], off
	global_load_b64 v[56:57], v[84:85], off offset:2048
	global_load_b64 v[58:59], v[84:85], off offset:4096
	;; [unrolled: 1-line block ×15, first 2 shown]
.LBB1216_896:                           ;   in Loop: Header=BB1216_894 Depth=2
	s_and_not1_b32 vcc_lo, exec_lo, s8
	s_movk_i32 s8, 0x1000
	s_cbranch_vccnz .LBB1216_915
; %bb.897:                              ;   in Loop: Header=BB1216_894 Depth=2
	s_lshl_b64 s[8:9], s[34:35], 3
	s_mov_b32 s11, exec_lo
	s_add_nc_u64 s[8:9], s[36:37], s[8:9]
	s_wait_xcnt 0x0
	v_cmpx_gt_u32_e64 s7, v2
	s_cbranch_execnz .LBB1216_947
; %bb.898:                              ;   in Loop: Header=BB1216_894 Depth=2
	s_or_b32 exec_lo, exec_lo, s11
	s_delay_alu instid0(SALU_CYCLE_1)
	s_mov_b32 s11, exec_lo
	v_cmpx_gt_u32_e64 s7, v98
	s_cbranch_execnz .LBB1216_948
.LBB1216_899:                           ;   in Loop: Header=BB1216_894 Depth=2
	s_or_b32 exec_lo, exec_lo, s11
	s_delay_alu instid0(SALU_CYCLE_1)
	s_mov_b32 s11, exec_lo
	v_cmpx_gt_u32_e64 s7, v99
	s_cbranch_execnz .LBB1216_949
.LBB1216_900:                           ;   in Loop: Header=BB1216_894 Depth=2
	s_or_b32 exec_lo, exec_lo, s11
	s_delay_alu instid0(SALU_CYCLE_1)
	s_mov_b32 s11, exec_lo
	v_cmpx_gt_u32_e64 s7, v100
	s_cbranch_execnz .LBB1216_950
.LBB1216_901:                           ;   in Loop: Header=BB1216_894 Depth=2
	s_or_b32 exec_lo, exec_lo, s11
	s_delay_alu instid0(SALU_CYCLE_1)
	s_mov_b32 s11, exec_lo
	v_cmpx_gt_u32_e64 s7, v101
	s_cbranch_execnz .LBB1216_951
.LBB1216_902:                           ;   in Loop: Header=BB1216_894 Depth=2
	s_or_b32 exec_lo, exec_lo, s11
	s_delay_alu instid0(SALU_CYCLE_1)
	s_mov_b32 s11, exec_lo
	v_cmpx_gt_u32_e64 s7, v102
	s_cbranch_execnz .LBB1216_952
.LBB1216_903:                           ;   in Loop: Header=BB1216_894 Depth=2
	s_or_b32 exec_lo, exec_lo, s11
	s_delay_alu instid0(SALU_CYCLE_1)
	s_mov_b32 s11, exec_lo
	v_cmpx_gt_u32_e64 s7, v103
	s_cbranch_execnz .LBB1216_953
.LBB1216_904:                           ;   in Loop: Header=BB1216_894 Depth=2
	s_or_b32 exec_lo, exec_lo, s11
	s_delay_alu instid0(SALU_CYCLE_1)
	s_mov_b32 s11, exec_lo
	v_cmpx_gt_u32_e64 s7, v104
	s_cbranch_execnz .LBB1216_954
.LBB1216_905:                           ;   in Loop: Header=BB1216_894 Depth=2
	s_or_b32 exec_lo, exec_lo, s11
	s_delay_alu instid0(SALU_CYCLE_1)
	s_mov_b32 s11, exec_lo
	v_cmpx_gt_u32_e64 s7, v105
	s_cbranch_execnz .LBB1216_955
.LBB1216_906:                           ;   in Loop: Header=BB1216_894 Depth=2
	s_or_b32 exec_lo, exec_lo, s11
	s_delay_alu instid0(SALU_CYCLE_1)
	s_mov_b32 s11, exec_lo
	v_cmpx_gt_u32_e64 s7, v106
	s_cbranch_execnz .LBB1216_956
.LBB1216_907:                           ;   in Loop: Header=BB1216_894 Depth=2
	s_or_b32 exec_lo, exec_lo, s11
	s_delay_alu instid0(SALU_CYCLE_1)
	s_mov_b32 s11, exec_lo
	v_cmpx_gt_u32_e64 s7, v107
	s_cbranch_execnz .LBB1216_957
.LBB1216_908:                           ;   in Loop: Header=BB1216_894 Depth=2
	s_or_b32 exec_lo, exec_lo, s11
	s_delay_alu instid0(SALU_CYCLE_1)
	s_mov_b32 s11, exec_lo
	v_cmpx_gt_u32_e64 s7, v108
	s_cbranch_execnz .LBB1216_958
.LBB1216_909:                           ;   in Loop: Header=BB1216_894 Depth=2
	s_or_b32 exec_lo, exec_lo, s11
	s_delay_alu instid0(SALU_CYCLE_1)
	s_mov_b32 s11, exec_lo
	v_cmpx_gt_u32_e64 s7, v109
	s_cbranch_execnz .LBB1216_959
.LBB1216_910:                           ;   in Loop: Header=BB1216_894 Depth=2
	s_or_b32 exec_lo, exec_lo, s11
	s_delay_alu instid0(SALU_CYCLE_1)
	s_mov_b32 s11, exec_lo
	v_cmpx_gt_u32_e64 s7, v110
	s_cbranch_execnz .LBB1216_960
.LBB1216_911:                           ;   in Loop: Header=BB1216_894 Depth=2
	s_or_b32 exec_lo, exec_lo, s11
	s_delay_alu instid0(SALU_CYCLE_1)
	s_mov_b32 s11, exec_lo
	v_cmpx_gt_u32_e64 s7, v111
	s_cbranch_execnz .LBB1216_961
.LBB1216_912:                           ;   in Loop: Header=BB1216_894 Depth=2
	s_or_b32 exec_lo, exec_lo, s11
	s_delay_alu instid0(SALU_CYCLE_1)
	s_mov_b32 s11, exec_lo
	v_cmpx_gt_u32_e64 s7, v112
	s_cbranch_execz .LBB1216_914
.LBB1216_913:                           ;   in Loop: Header=BB1216_894 Depth=2
	global_load_b64 v[22:23], v2, s[8:9] offset:30720 scale_offset
.LBB1216_914:                           ;   in Loop: Header=BB1216_894 Depth=2
	s_wait_xcnt 0x0
	s_or_b32 exec_lo, exec_lo, s11
	s_wait_loadcnt 0x0
	v_mov_b64_e32 v[54:55], v[52:53]
	v_mov_b64_e32 v[56:57], v[50:51]
	;; [unrolled: 1-line block ×16, first 2 shown]
	s_mov_b32 s8, s7
.LBB1216_915:                           ;   in Loop: Header=BB1216_894 Depth=2
	s_wait_loadcnt 0x0
	s_delay_alu instid0(VALU_DEP_1) | instskip(NEXT) | instid1(VALU_DEP_3)
	v_mov_b64_e32 v[22:23], v[84:85]
	v_mov_b64_e32 v[24:25], v[82:83]
	;; [unrolled: 1-line block ×16, first 2 shown]
	s_mov_b32 s9, exec_lo
	s_wait_xcnt 0x0
	v_cmpx_gt_u32_e64 s8, v2
	s_cbranch_execnz .LBB1216_931
; %bb.916:                              ;   in Loop: Header=BB1216_894 Depth=2
	s_or_b32 exec_lo, exec_lo, s9
	s_delay_alu instid0(SALU_CYCLE_1)
	s_mov_b32 s9, exec_lo
	v_cmpx_gt_u32_e64 s8, v98
	s_cbranch_execnz .LBB1216_932
.LBB1216_917:                           ;   in Loop: Header=BB1216_894 Depth=2
	s_or_b32 exec_lo, exec_lo, s9
	s_delay_alu instid0(SALU_CYCLE_1)
	s_mov_b32 s9, exec_lo
	v_cmpx_gt_u32_e64 s8, v99
	s_cbranch_execnz .LBB1216_933
.LBB1216_918:                           ;   in Loop: Header=BB1216_894 Depth=2
	s_or_b32 exec_lo, exec_lo, s9
	s_delay_alu instid0(SALU_CYCLE_1)
	s_mov_b32 s9, exec_lo
	v_cmpx_gt_u32_e64 s8, v100
	s_cbranch_execnz .LBB1216_934
.LBB1216_919:                           ;   in Loop: Header=BB1216_894 Depth=2
	s_or_b32 exec_lo, exec_lo, s9
	s_delay_alu instid0(SALU_CYCLE_1)
	s_mov_b32 s9, exec_lo
	v_cmpx_gt_u32_e64 s8, v101
	s_cbranch_execnz .LBB1216_935
.LBB1216_920:                           ;   in Loop: Header=BB1216_894 Depth=2
	s_or_b32 exec_lo, exec_lo, s9
	s_delay_alu instid0(SALU_CYCLE_1)
	s_mov_b32 s9, exec_lo
	v_cmpx_gt_u32_e64 s8, v102
	s_cbranch_execnz .LBB1216_936
.LBB1216_921:                           ;   in Loop: Header=BB1216_894 Depth=2
	s_or_b32 exec_lo, exec_lo, s9
	s_delay_alu instid0(SALU_CYCLE_1)
	s_mov_b32 s9, exec_lo
	v_cmpx_gt_u32_e64 s8, v103
	s_cbranch_execnz .LBB1216_937
.LBB1216_922:                           ;   in Loop: Header=BB1216_894 Depth=2
	s_or_b32 exec_lo, exec_lo, s9
	s_delay_alu instid0(SALU_CYCLE_1)
	s_mov_b32 s9, exec_lo
	v_cmpx_gt_u32_e64 s8, v104
	s_cbranch_execnz .LBB1216_938
.LBB1216_923:                           ;   in Loop: Header=BB1216_894 Depth=2
	s_or_b32 exec_lo, exec_lo, s9
	s_delay_alu instid0(SALU_CYCLE_1)
	s_mov_b32 s9, exec_lo
	v_cmpx_gt_u32_e64 s8, v105
	s_cbranch_execnz .LBB1216_939
.LBB1216_924:                           ;   in Loop: Header=BB1216_894 Depth=2
	s_or_b32 exec_lo, exec_lo, s9
	s_delay_alu instid0(SALU_CYCLE_1)
	s_mov_b32 s9, exec_lo
	v_cmpx_gt_u32_e64 s8, v106
	s_cbranch_execnz .LBB1216_940
.LBB1216_925:                           ;   in Loop: Header=BB1216_894 Depth=2
	s_or_b32 exec_lo, exec_lo, s9
	s_delay_alu instid0(SALU_CYCLE_1)
	s_mov_b32 s9, exec_lo
	v_cmpx_gt_u32_e64 s8, v107
	s_cbranch_execnz .LBB1216_941
.LBB1216_926:                           ;   in Loop: Header=BB1216_894 Depth=2
	s_or_b32 exec_lo, exec_lo, s9
	s_delay_alu instid0(SALU_CYCLE_1)
	s_mov_b32 s9, exec_lo
	v_cmpx_gt_u32_e64 s8, v108
	s_cbranch_execnz .LBB1216_942
.LBB1216_927:                           ;   in Loop: Header=BB1216_894 Depth=2
	s_or_b32 exec_lo, exec_lo, s9
	s_delay_alu instid0(SALU_CYCLE_1)
	s_mov_b32 s9, exec_lo
	v_cmpx_gt_u32_e64 s8, v109
	s_cbranch_execnz .LBB1216_943
.LBB1216_928:                           ;   in Loop: Header=BB1216_894 Depth=2
	s_or_b32 exec_lo, exec_lo, s9
	s_delay_alu instid0(SALU_CYCLE_1)
	s_mov_b32 s9, exec_lo
	v_cmpx_gt_u32_e64 s8, v110
	s_cbranch_execnz .LBB1216_944
.LBB1216_929:                           ;   in Loop: Header=BB1216_894 Depth=2
	s_or_b32 exec_lo, exec_lo, s9
	s_delay_alu instid0(SALU_CYCLE_1)
	s_mov_b32 s9, exec_lo
	v_cmpx_gt_u32_e64 s8, v111
	s_cbranch_execnz .LBB1216_945
.LBB1216_930:                           ;   in Loop: Header=BB1216_894 Depth=2
	s_or_b32 exec_lo, exec_lo, s9
	v_cmp_gt_u32_e32 vcc_lo, s8, v112
	s_and_saveexec_b32 s8, vcc_lo
	s_cbranch_execz .LBB1216_893
	s_branch .LBB1216_946
.LBB1216_931:                           ;   in Loop: Header=BB1216_894 Depth=2
	s_delay_alu instid0(VALU_DEP_2) | instskip(SKIP_1) | instid1(VALU_DEP_1)
	v_cmp_lt_i64_e32 vcc_lo, -1, v[52:53]
	v_cndmask_b32_e64 v54, -1, 0x80000000, vcc_lo
	v_dual_ashrrev_i32 v56, 31, v53 :: v_dual_bitop2_b32 v55, v54, v53 bitop3:0x14
	s_delay_alu instid0(VALU_DEP_1) | instskip(NEXT) | instid1(VALU_DEP_1)
	v_xor_b32_e32 v54, v56, v52
	v_cmp_ne_u64_e32 vcc_lo, s[42:43], v[54:55]
	v_cndmask_b32_e32 v55, 0x80000000, v55, vcc_lo
	v_cndmask_b32_e32 v54, 0, v54, vcc_lo
	s_delay_alu instid0(VALU_DEP_1) | instskip(NEXT) | instid1(VALU_DEP_1)
	v_lshrrev_b64 v[54:55], s48, v[54:55]
	v_and_b32_e32 v54, s55, v54
	s_delay_alu instid0(VALU_DEP_1) | instskip(SKIP_2) | instid1(SALU_CYCLE_1)
	v_lshl_or_b32 v54, v54, 4, v113
	ds_add_u32 v54, v125
	s_or_b32 exec_lo, exec_lo, s9
	s_mov_b32 s9, exec_lo
	v_cmpx_gt_u32_e64 s8, v98
	s_cbranch_execz .LBB1216_917
.LBB1216_932:                           ;   in Loop: Header=BB1216_894 Depth=2
	v_cmp_lt_i64_e32 vcc_lo, -1, v[50:51]
	v_cndmask_b32_e64 v54, -1, 0x80000000, vcc_lo
	s_delay_alu instid0(VALU_DEP_1) | instskip(NEXT) | instid1(VALU_DEP_1)
	v_dual_ashrrev_i32 v56, 31, v51 :: v_dual_bitop2_b32 v55, v54, v51 bitop3:0x14
	v_xor_b32_e32 v54, v56, v50
	s_delay_alu instid0(VALU_DEP_1) | instskip(SKIP_2) | instid1(VALU_DEP_1)
	v_cmp_ne_u64_e32 vcc_lo, s[42:43], v[54:55]
	v_cndmask_b32_e32 v55, 0x80000000, v55, vcc_lo
	v_cndmask_b32_e32 v54, 0, v54, vcc_lo
	v_lshrrev_b64 v[54:55], s48, v[54:55]
	s_delay_alu instid0(VALU_DEP_1) | instskip(NEXT) | instid1(VALU_DEP_1)
	v_and_b32_e32 v54, s55, v54
	v_lshl_or_b32 v54, v54, 4, v113
	ds_add_u32 v54, v125
	s_or_b32 exec_lo, exec_lo, s9
	s_delay_alu instid0(SALU_CYCLE_1)
	s_mov_b32 s9, exec_lo
	v_cmpx_gt_u32_e64 s8, v99
	s_cbranch_execz .LBB1216_918
.LBB1216_933:                           ;   in Loop: Header=BB1216_894 Depth=2
	v_cmp_lt_i64_e32 vcc_lo, -1, v[48:49]
	v_cndmask_b32_e64 v54, -1, 0x80000000, vcc_lo
	s_delay_alu instid0(VALU_DEP_1) | instskip(NEXT) | instid1(VALU_DEP_1)
	v_dual_ashrrev_i32 v56, 31, v49 :: v_dual_bitop2_b32 v55, v54, v49 bitop3:0x14
	v_xor_b32_e32 v54, v56, v48
	s_delay_alu instid0(VALU_DEP_1) | instskip(SKIP_2) | instid1(VALU_DEP_1)
	v_cmp_ne_u64_e32 vcc_lo, s[42:43], v[54:55]
	v_cndmask_b32_e32 v55, 0x80000000, v55, vcc_lo
	v_cndmask_b32_e32 v54, 0, v54, vcc_lo
	v_lshrrev_b64 v[54:55], s48, v[54:55]
	s_delay_alu instid0(VALU_DEP_1) | instskip(NEXT) | instid1(VALU_DEP_1)
	v_and_b32_e32 v54, s55, v54
	v_lshl_or_b32 v54, v54, 4, v113
	ds_add_u32 v54, v125
	s_or_b32 exec_lo, exec_lo, s9
	s_delay_alu instid0(SALU_CYCLE_1)
	s_mov_b32 s9, exec_lo
	v_cmpx_gt_u32_e64 s8, v100
	s_cbranch_execz .LBB1216_919
.LBB1216_934:                           ;   in Loop: Header=BB1216_894 Depth=2
	v_cmp_lt_i64_e32 vcc_lo, -1, v[46:47]
	v_cndmask_b32_e64 v54, -1, 0x80000000, vcc_lo
	s_delay_alu instid0(VALU_DEP_1) | instskip(NEXT) | instid1(VALU_DEP_1)
	v_dual_ashrrev_i32 v56, 31, v47 :: v_dual_bitop2_b32 v55, v54, v47 bitop3:0x14
	v_xor_b32_e32 v54, v56, v46
	s_delay_alu instid0(VALU_DEP_1) | instskip(SKIP_2) | instid1(VALU_DEP_1)
	v_cmp_ne_u64_e32 vcc_lo, s[42:43], v[54:55]
	v_cndmask_b32_e32 v55, 0x80000000, v55, vcc_lo
	v_cndmask_b32_e32 v54, 0, v54, vcc_lo
	v_lshrrev_b64 v[54:55], s48, v[54:55]
	s_delay_alu instid0(VALU_DEP_1) | instskip(NEXT) | instid1(VALU_DEP_1)
	v_and_b32_e32 v54, s55, v54
	v_lshl_or_b32 v54, v54, 4, v113
	ds_add_u32 v54, v125
	s_or_b32 exec_lo, exec_lo, s9
	s_delay_alu instid0(SALU_CYCLE_1)
	s_mov_b32 s9, exec_lo
	v_cmpx_gt_u32_e64 s8, v101
	s_cbranch_execz .LBB1216_920
.LBB1216_935:                           ;   in Loop: Header=BB1216_894 Depth=2
	v_cmp_lt_i64_e32 vcc_lo, -1, v[44:45]
	v_cndmask_b32_e64 v54, -1, 0x80000000, vcc_lo
	s_delay_alu instid0(VALU_DEP_1) | instskip(NEXT) | instid1(VALU_DEP_1)
	v_dual_ashrrev_i32 v56, 31, v45 :: v_dual_bitop2_b32 v55, v54, v45 bitop3:0x14
	v_xor_b32_e32 v54, v56, v44
	s_delay_alu instid0(VALU_DEP_1) | instskip(SKIP_2) | instid1(VALU_DEP_1)
	v_cmp_ne_u64_e32 vcc_lo, s[42:43], v[54:55]
	v_cndmask_b32_e32 v55, 0x80000000, v55, vcc_lo
	v_cndmask_b32_e32 v54, 0, v54, vcc_lo
	v_lshrrev_b64 v[54:55], s48, v[54:55]
	s_delay_alu instid0(VALU_DEP_1) | instskip(NEXT) | instid1(VALU_DEP_1)
	v_and_b32_e32 v54, s55, v54
	v_lshl_or_b32 v54, v54, 4, v113
	ds_add_u32 v54, v125
	s_or_b32 exec_lo, exec_lo, s9
	s_delay_alu instid0(SALU_CYCLE_1)
	s_mov_b32 s9, exec_lo
	v_cmpx_gt_u32_e64 s8, v102
	s_cbranch_execz .LBB1216_921
.LBB1216_936:                           ;   in Loop: Header=BB1216_894 Depth=2
	v_cmp_lt_i64_e32 vcc_lo, -1, v[42:43]
	v_cndmask_b32_e64 v54, -1, 0x80000000, vcc_lo
	s_delay_alu instid0(VALU_DEP_1) | instskip(NEXT) | instid1(VALU_DEP_1)
	v_dual_ashrrev_i32 v56, 31, v43 :: v_dual_bitop2_b32 v55, v54, v43 bitop3:0x14
	v_xor_b32_e32 v54, v56, v42
	s_delay_alu instid0(VALU_DEP_1) | instskip(SKIP_2) | instid1(VALU_DEP_1)
	v_cmp_ne_u64_e32 vcc_lo, s[42:43], v[54:55]
	v_cndmask_b32_e32 v55, 0x80000000, v55, vcc_lo
	v_cndmask_b32_e32 v54, 0, v54, vcc_lo
	v_lshrrev_b64 v[54:55], s48, v[54:55]
	s_delay_alu instid0(VALU_DEP_1) | instskip(NEXT) | instid1(VALU_DEP_1)
	v_and_b32_e32 v54, s55, v54
	v_lshl_or_b32 v54, v54, 4, v113
	ds_add_u32 v54, v125
	s_or_b32 exec_lo, exec_lo, s9
	s_delay_alu instid0(SALU_CYCLE_1)
	s_mov_b32 s9, exec_lo
	v_cmpx_gt_u32_e64 s8, v103
	s_cbranch_execz .LBB1216_922
.LBB1216_937:                           ;   in Loop: Header=BB1216_894 Depth=2
	v_cmp_lt_i64_e32 vcc_lo, -1, v[40:41]
	v_cndmask_b32_e64 v54, -1, 0x80000000, vcc_lo
	s_delay_alu instid0(VALU_DEP_1) | instskip(NEXT) | instid1(VALU_DEP_1)
	v_dual_ashrrev_i32 v56, 31, v41 :: v_dual_bitop2_b32 v55, v54, v41 bitop3:0x14
	v_xor_b32_e32 v54, v56, v40
	s_delay_alu instid0(VALU_DEP_1) | instskip(SKIP_2) | instid1(VALU_DEP_1)
	v_cmp_ne_u64_e32 vcc_lo, s[42:43], v[54:55]
	v_cndmask_b32_e32 v55, 0x80000000, v55, vcc_lo
	v_cndmask_b32_e32 v54, 0, v54, vcc_lo
	v_lshrrev_b64 v[54:55], s48, v[54:55]
	s_delay_alu instid0(VALU_DEP_1) | instskip(NEXT) | instid1(VALU_DEP_1)
	v_and_b32_e32 v54, s55, v54
	v_lshl_or_b32 v54, v54, 4, v113
	ds_add_u32 v54, v125
	s_or_b32 exec_lo, exec_lo, s9
	s_delay_alu instid0(SALU_CYCLE_1)
	s_mov_b32 s9, exec_lo
	v_cmpx_gt_u32_e64 s8, v104
	s_cbranch_execz .LBB1216_923
.LBB1216_938:                           ;   in Loop: Header=BB1216_894 Depth=2
	v_cmp_lt_i64_e32 vcc_lo, -1, v[38:39]
	v_cndmask_b32_e64 v54, -1, 0x80000000, vcc_lo
	s_delay_alu instid0(VALU_DEP_1) | instskip(NEXT) | instid1(VALU_DEP_1)
	v_dual_ashrrev_i32 v56, 31, v39 :: v_dual_bitop2_b32 v55, v54, v39 bitop3:0x14
	v_xor_b32_e32 v54, v56, v38
	s_delay_alu instid0(VALU_DEP_1) | instskip(SKIP_2) | instid1(VALU_DEP_1)
	v_cmp_ne_u64_e32 vcc_lo, s[42:43], v[54:55]
	v_cndmask_b32_e32 v55, 0x80000000, v55, vcc_lo
	v_cndmask_b32_e32 v54, 0, v54, vcc_lo
	v_lshrrev_b64 v[54:55], s48, v[54:55]
	s_delay_alu instid0(VALU_DEP_1) | instskip(NEXT) | instid1(VALU_DEP_1)
	v_and_b32_e32 v54, s55, v54
	v_lshl_or_b32 v54, v54, 4, v113
	ds_add_u32 v54, v125
	s_or_b32 exec_lo, exec_lo, s9
	s_delay_alu instid0(SALU_CYCLE_1)
	s_mov_b32 s9, exec_lo
	v_cmpx_gt_u32_e64 s8, v105
	s_cbranch_execz .LBB1216_924
.LBB1216_939:                           ;   in Loop: Header=BB1216_894 Depth=2
	v_cmp_lt_i64_e32 vcc_lo, -1, v[36:37]
	v_cndmask_b32_e64 v54, -1, 0x80000000, vcc_lo
	s_delay_alu instid0(VALU_DEP_1) | instskip(NEXT) | instid1(VALU_DEP_1)
	v_dual_ashrrev_i32 v56, 31, v37 :: v_dual_bitop2_b32 v55, v54, v37 bitop3:0x14
	v_xor_b32_e32 v54, v56, v36
	s_delay_alu instid0(VALU_DEP_1) | instskip(SKIP_2) | instid1(VALU_DEP_1)
	v_cmp_ne_u64_e32 vcc_lo, s[42:43], v[54:55]
	v_cndmask_b32_e32 v55, 0x80000000, v55, vcc_lo
	v_cndmask_b32_e32 v54, 0, v54, vcc_lo
	v_lshrrev_b64 v[54:55], s48, v[54:55]
	s_delay_alu instid0(VALU_DEP_1) | instskip(NEXT) | instid1(VALU_DEP_1)
	v_and_b32_e32 v54, s55, v54
	v_lshl_or_b32 v54, v54, 4, v113
	ds_add_u32 v54, v125
	s_or_b32 exec_lo, exec_lo, s9
	s_delay_alu instid0(SALU_CYCLE_1)
	s_mov_b32 s9, exec_lo
	v_cmpx_gt_u32_e64 s8, v106
	s_cbranch_execz .LBB1216_925
.LBB1216_940:                           ;   in Loop: Header=BB1216_894 Depth=2
	v_cmp_lt_i64_e32 vcc_lo, -1, v[34:35]
	v_cndmask_b32_e64 v54, -1, 0x80000000, vcc_lo
	s_delay_alu instid0(VALU_DEP_1) | instskip(NEXT) | instid1(VALU_DEP_1)
	v_dual_ashrrev_i32 v56, 31, v35 :: v_dual_bitop2_b32 v55, v54, v35 bitop3:0x14
	v_xor_b32_e32 v54, v56, v34
	s_delay_alu instid0(VALU_DEP_1) | instskip(SKIP_2) | instid1(VALU_DEP_1)
	v_cmp_ne_u64_e32 vcc_lo, s[42:43], v[54:55]
	v_cndmask_b32_e32 v55, 0x80000000, v55, vcc_lo
	v_cndmask_b32_e32 v54, 0, v54, vcc_lo
	v_lshrrev_b64 v[54:55], s48, v[54:55]
	s_delay_alu instid0(VALU_DEP_1) | instskip(NEXT) | instid1(VALU_DEP_1)
	v_and_b32_e32 v54, s55, v54
	v_lshl_or_b32 v54, v54, 4, v113
	ds_add_u32 v54, v125
	s_or_b32 exec_lo, exec_lo, s9
	s_delay_alu instid0(SALU_CYCLE_1)
	s_mov_b32 s9, exec_lo
	v_cmpx_gt_u32_e64 s8, v107
	s_cbranch_execz .LBB1216_926
.LBB1216_941:                           ;   in Loop: Header=BB1216_894 Depth=2
	v_cmp_lt_i64_e32 vcc_lo, -1, v[32:33]
	v_cndmask_b32_e64 v54, -1, 0x80000000, vcc_lo
	s_delay_alu instid0(VALU_DEP_1) | instskip(NEXT) | instid1(VALU_DEP_1)
	v_dual_ashrrev_i32 v56, 31, v33 :: v_dual_bitop2_b32 v55, v54, v33 bitop3:0x14
	v_xor_b32_e32 v54, v56, v32
	s_delay_alu instid0(VALU_DEP_1) | instskip(SKIP_2) | instid1(VALU_DEP_1)
	v_cmp_ne_u64_e32 vcc_lo, s[42:43], v[54:55]
	v_cndmask_b32_e32 v55, 0x80000000, v55, vcc_lo
	v_cndmask_b32_e32 v54, 0, v54, vcc_lo
	v_lshrrev_b64 v[54:55], s48, v[54:55]
	s_delay_alu instid0(VALU_DEP_1) | instskip(NEXT) | instid1(VALU_DEP_1)
	v_and_b32_e32 v54, s55, v54
	v_lshl_or_b32 v54, v54, 4, v113
	ds_add_u32 v54, v125
	s_or_b32 exec_lo, exec_lo, s9
	s_delay_alu instid0(SALU_CYCLE_1)
	s_mov_b32 s9, exec_lo
	v_cmpx_gt_u32_e64 s8, v108
	s_cbranch_execz .LBB1216_927
.LBB1216_942:                           ;   in Loop: Header=BB1216_894 Depth=2
	v_cmp_lt_i64_e32 vcc_lo, -1, v[30:31]
	v_cndmask_b32_e64 v54, -1, 0x80000000, vcc_lo
	s_delay_alu instid0(VALU_DEP_1) | instskip(NEXT) | instid1(VALU_DEP_1)
	v_dual_ashrrev_i32 v56, 31, v31 :: v_dual_bitop2_b32 v55, v54, v31 bitop3:0x14
	v_xor_b32_e32 v54, v56, v30
	s_delay_alu instid0(VALU_DEP_1) | instskip(SKIP_2) | instid1(VALU_DEP_1)
	v_cmp_ne_u64_e32 vcc_lo, s[42:43], v[54:55]
	v_cndmask_b32_e32 v55, 0x80000000, v55, vcc_lo
	v_cndmask_b32_e32 v54, 0, v54, vcc_lo
	v_lshrrev_b64 v[54:55], s48, v[54:55]
	s_delay_alu instid0(VALU_DEP_1) | instskip(NEXT) | instid1(VALU_DEP_1)
	v_and_b32_e32 v54, s55, v54
	v_lshl_or_b32 v54, v54, 4, v113
	ds_add_u32 v54, v125
	s_or_b32 exec_lo, exec_lo, s9
	s_delay_alu instid0(SALU_CYCLE_1)
	s_mov_b32 s9, exec_lo
	v_cmpx_gt_u32_e64 s8, v109
	s_cbranch_execz .LBB1216_928
.LBB1216_943:                           ;   in Loop: Header=BB1216_894 Depth=2
	v_cmp_lt_i64_e32 vcc_lo, -1, v[28:29]
	v_cndmask_b32_e64 v54, -1, 0x80000000, vcc_lo
	s_delay_alu instid0(VALU_DEP_1) | instskip(NEXT) | instid1(VALU_DEP_1)
	v_dual_ashrrev_i32 v56, 31, v29 :: v_dual_bitop2_b32 v55, v54, v29 bitop3:0x14
	v_xor_b32_e32 v54, v56, v28
	s_delay_alu instid0(VALU_DEP_1) | instskip(SKIP_2) | instid1(VALU_DEP_1)
	v_cmp_ne_u64_e32 vcc_lo, s[42:43], v[54:55]
	v_cndmask_b32_e32 v55, 0x80000000, v55, vcc_lo
	v_cndmask_b32_e32 v54, 0, v54, vcc_lo
	v_lshrrev_b64 v[54:55], s48, v[54:55]
	s_delay_alu instid0(VALU_DEP_1) | instskip(NEXT) | instid1(VALU_DEP_1)
	v_and_b32_e32 v54, s55, v54
	v_lshl_or_b32 v54, v54, 4, v113
	ds_add_u32 v54, v125
	s_or_b32 exec_lo, exec_lo, s9
	s_delay_alu instid0(SALU_CYCLE_1)
	s_mov_b32 s9, exec_lo
	v_cmpx_gt_u32_e64 s8, v110
	s_cbranch_execz .LBB1216_929
.LBB1216_944:                           ;   in Loop: Header=BB1216_894 Depth=2
	v_cmp_lt_i64_e32 vcc_lo, -1, v[26:27]
	v_cndmask_b32_e64 v54, -1, 0x80000000, vcc_lo
	s_delay_alu instid0(VALU_DEP_1) | instskip(NEXT) | instid1(VALU_DEP_1)
	v_dual_ashrrev_i32 v56, 31, v27 :: v_dual_bitop2_b32 v55, v54, v27 bitop3:0x14
	v_xor_b32_e32 v54, v56, v26
	s_delay_alu instid0(VALU_DEP_1) | instskip(SKIP_2) | instid1(VALU_DEP_1)
	v_cmp_ne_u64_e32 vcc_lo, s[42:43], v[54:55]
	v_cndmask_b32_e32 v55, 0x80000000, v55, vcc_lo
	v_cndmask_b32_e32 v54, 0, v54, vcc_lo
	v_lshrrev_b64 v[54:55], s48, v[54:55]
	s_delay_alu instid0(VALU_DEP_1) | instskip(NEXT) | instid1(VALU_DEP_1)
	v_and_b32_e32 v54, s55, v54
	v_lshl_or_b32 v54, v54, 4, v113
	ds_add_u32 v54, v125
	s_or_b32 exec_lo, exec_lo, s9
	s_delay_alu instid0(SALU_CYCLE_1)
	s_mov_b32 s9, exec_lo
	v_cmpx_gt_u32_e64 s8, v111
	s_cbranch_execz .LBB1216_930
.LBB1216_945:                           ;   in Loop: Header=BB1216_894 Depth=2
	v_cmp_lt_i64_e32 vcc_lo, -1, v[24:25]
	v_cndmask_b32_e64 v54, -1, 0x80000000, vcc_lo
	s_delay_alu instid0(VALU_DEP_1) | instskip(NEXT) | instid1(VALU_DEP_1)
	v_dual_ashrrev_i32 v56, 31, v25 :: v_dual_bitop2_b32 v55, v54, v25 bitop3:0x14
	v_xor_b32_e32 v54, v56, v24
	s_delay_alu instid0(VALU_DEP_1) | instskip(SKIP_2) | instid1(VALU_DEP_1)
	v_cmp_ne_u64_e32 vcc_lo, s[42:43], v[54:55]
	v_cndmask_b32_e32 v55, 0x80000000, v55, vcc_lo
	v_cndmask_b32_e32 v54, 0, v54, vcc_lo
	v_lshrrev_b64 v[54:55], s48, v[54:55]
	s_delay_alu instid0(VALU_DEP_1) | instskip(NEXT) | instid1(VALU_DEP_1)
	v_and_b32_e32 v54, s55, v54
	v_lshl_or_b32 v54, v54, 4, v113
	ds_add_u32 v54, v125
	s_or_b32 exec_lo, exec_lo, s9
	v_cmp_gt_u32_e32 vcc_lo, s8, v112
	s_and_saveexec_b32 s8, vcc_lo
	s_cbranch_execz .LBB1216_893
.LBB1216_946:                           ;   in Loop: Header=BB1216_894 Depth=2
	v_cmp_lt_i64_e32 vcc_lo, -1, v[22:23]
	v_cndmask_b32_e64 v54, -1, 0x80000000, vcc_lo
	s_delay_alu instid0(VALU_DEP_1) | instskip(NEXT) | instid1(VALU_DEP_1)
	v_dual_ashrrev_i32 v56, 31, v23 :: v_dual_bitop2_b32 v55, v54, v23 bitop3:0x14
	v_xor_b32_e32 v54, v56, v22
	s_delay_alu instid0(VALU_DEP_1) | instskip(SKIP_2) | instid1(VALU_DEP_1)
	v_cmp_ne_u64_e32 vcc_lo, s[42:43], v[54:55]
	v_cndmask_b32_e32 v55, 0x80000000, v55, vcc_lo
	v_cndmask_b32_e32 v54, 0, v54, vcc_lo
	v_lshrrev_b64 v[54:55], s48, v[54:55]
	s_delay_alu instid0(VALU_DEP_1) | instskip(NEXT) | instid1(VALU_DEP_1)
	v_and_b32_e32 v54, s55, v54
	v_lshl_or_b32 v54, v54, 4, v113
	ds_add_u32 v54, v125
	s_branch .LBB1216_893
.LBB1216_947:                           ;   in Loop: Header=BB1216_894 Depth=2
	global_load_b64 v[52:53], v2, s[8:9] scale_offset
	s_wait_xcnt 0x0
	s_or_b32 exec_lo, exec_lo, s11
	s_delay_alu instid0(SALU_CYCLE_1)
	s_mov_b32 s11, exec_lo
	v_cmpx_gt_u32_e64 s7, v98
	s_cbranch_execz .LBB1216_899
.LBB1216_948:                           ;   in Loop: Header=BB1216_894 Depth=2
	global_load_b64 v[50:51], v2, s[8:9] offset:2048 scale_offset
	s_wait_xcnt 0x0
	s_or_b32 exec_lo, exec_lo, s11
	s_delay_alu instid0(SALU_CYCLE_1)
	s_mov_b32 s11, exec_lo
	v_cmpx_gt_u32_e64 s7, v99
	s_cbranch_execz .LBB1216_900
.LBB1216_949:                           ;   in Loop: Header=BB1216_894 Depth=2
	global_load_b64 v[48:49], v2, s[8:9] offset:4096 scale_offset
	s_wait_xcnt 0x0
	s_or_b32 exec_lo, exec_lo, s11
	s_delay_alu instid0(SALU_CYCLE_1)
	s_mov_b32 s11, exec_lo
	v_cmpx_gt_u32_e64 s7, v100
	s_cbranch_execz .LBB1216_901
.LBB1216_950:                           ;   in Loop: Header=BB1216_894 Depth=2
	global_load_b64 v[46:47], v2, s[8:9] offset:6144 scale_offset
	s_wait_xcnt 0x0
	s_or_b32 exec_lo, exec_lo, s11
	s_delay_alu instid0(SALU_CYCLE_1)
	s_mov_b32 s11, exec_lo
	v_cmpx_gt_u32_e64 s7, v101
	s_cbranch_execz .LBB1216_902
.LBB1216_951:                           ;   in Loop: Header=BB1216_894 Depth=2
	global_load_b64 v[44:45], v2, s[8:9] offset:8192 scale_offset
	s_wait_xcnt 0x0
	s_or_b32 exec_lo, exec_lo, s11
	s_delay_alu instid0(SALU_CYCLE_1)
	s_mov_b32 s11, exec_lo
	v_cmpx_gt_u32_e64 s7, v102
	s_cbranch_execz .LBB1216_903
.LBB1216_952:                           ;   in Loop: Header=BB1216_894 Depth=2
	global_load_b64 v[42:43], v2, s[8:9] offset:10240 scale_offset
	s_wait_xcnt 0x0
	s_or_b32 exec_lo, exec_lo, s11
	s_delay_alu instid0(SALU_CYCLE_1)
	s_mov_b32 s11, exec_lo
	v_cmpx_gt_u32_e64 s7, v103
	s_cbranch_execz .LBB1216_904
.LBB1216_953:                           ;   in Loop: Header=BB1216_894 Depth=2
	global_load_b64 v[40:41], v2, s[8:9] offset:12288 scale_offset
	s_wait_xcnt 0x0
	s_or_b32 exec_lo, exec_lo, s11
	s_delay_alu instid0(SALU_CYCLE_1)
	s_mov_b32 s11, exec_lo
	v_cmpx_gt_u32_e64 s7, v104
	s_cbranch_execz .LBB1216_905
.LBB1216_954:                           ;   in Loop: Header=BB1216_894 Depth=2
	global_load_b64 v[38:39], v2, s[8:9] offset:14336 scale_offset
	s_wait_xcnt 0x0
	s_or_b32 exec_lo, exec_lo, s11
	s_delay_alu instid0(SALU_CYCLE_1)
	s_mov_b32 s11, exec_lo
	v_cmpx_gt_u32_e64 s7, v105
	s_cbranch_execz .LBB1216_906
.LBB1216_955:                           ;   in Loop: Header=BB1216_894 Depth=2
	global_load_b64 v[36:37], v2, s[8:9] offset:16384 scale_offset
	s_wait_xcnt 0x0
	s_or_b32 exec_lo, exec_lo, s11
	s_delay_alu instid0(SALU_CYCLE_1)
	s_mov_b32 s11, exec_lo
	v_cmpx_gt_u32_e64 s7, v106
	s_cbranch_execz .LBB1216_907
.LBB1216_956:                           ;   in Loop: Header=BB1216_894 Depth=2
	global_load_b64 v[34:35], v2, s[8:9] offset:18432 scale_offset
	s_wait_xcnt 0x0
	s_or_b32 exec_lo, exec_lo, s11
	s_delay_alu instid0(SALU_CYCLE_1)
	s_mov_b32 s11, exec_lo
	v_cmpx_gt_u32_e64 s7, v107
	s_cbranch_execz .LBB1216_908
.LBB1216_957:                           ;   in Loop: Header=BB1216_894 Depth=2
	global_load_b64 v[32:33], v2, s[8:9] offset:20480 scale_offset
	s_wait_xcnt 0x0
	s_or_b32 exec_lo, exec_lo, s11
	s_delay_alu instid0(SALU_CYCLE_1)
	s_mov_b32 s11, exec_lo
	v_cmpx_gt_u32_e64 s7, v108
	s_cbranch_execz .LBB1216_909
.LBB1216_958:                           ;   in Loop: Header=BB1216_894 Depth=2
	global_load_b64 v[30:31], v2, s[8:9] offset:22528 scale_offset
	s_wait_xcnt 0x0
	s_or_b32 exec_lo, exec_lo, s11
	s_delay_alu instid0(SALU_CYCLE_1)
	s_mov_b32 s11, exec_lo
	v_cmpx_gt_u32_e64 s7, v109
	s_cbranch_execz .LBB1216_910
.LBB1216_959:                           ;   in Loop: Header=BB1216_894 Depth=2
	global_load_b64 v[28:29], v2, s[8:9] offset:24576 scale_offset
	s_wait_xcnt 0x0
	s_or_b32 exec_lo, exec_lo, s11
	s_delay_alu instid0(SALU_CYCLE_1)
	s_mov_b32 s11, exec_lo
	v_cmpx_gt_u32_e64 s7, v110
	s_cbranch_execz .LBB1216_911
.LBB1216_960:                           ;   in Loop: Header=BB1216_894 Depth=2
	global_load_b64 v[26:27], v2, s[8:9] offset:26624 scale_offset
	s_wait_xcnt 0x0
	s_or_b32 exec_lo, exec_lo, s11
	s_delay_alu instid0(SALU_CYCLE_1)
	s_mov_b32 s11, exec_lo
	v_cmpx_gt_u32_e64 s7, v111
	s_cbranch_execz .LBB1216_912
.LBB1216_961:                           ;   in Loop: Header=BB1216_894 Depth=2
	global_load_b64 v[24:25], v2, s[8:9] offset:28672 scale_offset
	s_wait_xcnt 0x0
	s_or_b32 exec_lo, exec_lo, s11
	s_delay_alu instid0(SALU_CYCLE_1)
	s_mov_b32 s11, exec_lo
	v_cmpx_gt_u32_e64 s7, v112
	s_cbranch_execnz .LBB1216_913
	s_branch .LBB1216_914
.LBB1216_962:                           ;   in Loop: Header=BB1216_12 Depth=1
	v_mov_b32_e32 v22, 0
	s_wait_dscnt 0x0
	s_barrier_signal -1
	s_barrier_wait -1
	s_and_saveexec_b32 s7, s0
	s_cbranch_execz .LBB1216_964
; %bb.963:                              ;   in Loop: Header=BB1216_12 Depth=1
	ds_load_2addr_b64 v[22:25], v115 offset1:1
	s_wait_dscnt 0x0
	v_add_nc_u32_e32 v22, v23, v22
	s_delay_alu instid0(VALU_DEP_1)
	v_add3_u32 v22, v22, v24, v25
.LBB1216_964:                           ;   in Loop: Header=BB1216_12 Depth=1
	s_or_b32 exec_lo, exec_lo, s7
	s_delay_alu instid0(VALU_DEP_1)
	v_mov_b32_dpp v23, v22 row_shr:1 row_mask:0xf bank_mask:0xf
	v_cmp_eq_u32_e64 s7, 0, v126
	v_cmp_lt_u32_e64 s8, 1, v126
	v_cmp_lt_u32_e64 s9, 3, v126
	;; [unrolled: 1-line block ×3, first 2 shown]
	v_cmp_eq_u32_e64 s11, 0, v128
	v_cndmask_b32_e64 v23, v23, 0, s7
	s_delay_alu instid0(VALU_DEP_1) | instskip(NEXT) | instid1(VALU_DEP_1)
	v_add_nc_u32_e32 v22, v23, v22
	v_mov_b32_dpp v23, v22 row_shr:2 row_mask:0xf bank_mask:0xf
	s_delay_alu instid0(VALU_DEP_1) | instskip(NEXT) | instid1(VALU_DEP_1)
	v_cndmask_b32_e64 v23, 0, v23, s8
	v_add_nc_u32_e32 v22, v22, v23
	s_delay_alu instid0(VALU_DEP_1) | instskip(NEXT) | instid1(VALU_DEP_1)
	v_mov_b32_dpp v23, v22 row_shr:4 row_mask:0xf bank_mask:0xf
	v_cndmask_b32_e64 v23, 0, v23, s9
	s_delay_alu instid0(VALU_DEP_1) | instskip(NEXT) | instid1(VALU_DEP_1)
	v_add_nc_u32_e32 v22, v22, v23
	v_mov_b32_dpp v23, v22 row_shr:8 row_mask:0xf bank_mask:0xf
	s_delay_alu instid0(VALU_DEP_1) | instskip(NEXT) | instid1(VALU_DEP_1)
	v_cndmask_b32_e64 v23, 0, v23, s10
	v_add_nc_u32_e32 v22, v22, v23
	ds_swizzle_b32 v23, v22 offset:swizzle(BROADCAST,32,15)
	s_wait_dscnt 0x0
	v_and_b32_e32 v23, v127, v23
	s_delay_alu instid0(VALU_DEP_1)
	v_add_nc_u32_e32 v22, v22, v23
	s_and_saveexec_b32 s12, s1
; %bb.965:                              ;   in Loop: Header=BB1216_12 Depth=1
	ds_store_b32 v116, v22
; %bb.966:                              ;   in Loop: Header=BB1216_12 Depth=1
	s_or_b32 exec_lo, exec_lo, s12
	s_wait_dscnt 0x0
	s_barrier_signal -1
	s_barrier_wait -1
	s_and_saveexec_b32 s12, s4
	s_cbranch_execz .LBB1216_968
; %bb.967:                              ;   in Loop: Header=BB1216_12 Depth=1
	ds_load_b32 v23, v117
	v_cmp_ne_u32_e32 vcc_lo, 0, v130
	s_wait_dscnt 0x0
	v_mov_b32_dpp v24, v23 row_shr:1 row_mask:0xf bank_mask:0xf
	s_delay_alu instid0(VALU_DEP_1) | instskip(SKIP_1) | instid1(VALU_DEP_2)
	v_cndmask_b32_e32 v24, 0, v24, vcc_lo
	v_cmp_lt_u32_e32 vcc_lo, 1, v130
	v_add_nc_u32_e32 v23, v24, v23
	s_delay_alu instid0(VALU_DEP_1) | instskip(NEXT) | instid1(VALU_DEP_1)
	v_mov_b32_dpp v24, v23 row_shr:2 row_mask:0xf bank_mask:0xf
	v_cndmask_b32_e32 v24, 0, v24, vcc_lo
	v_cmp_lt_u32_e32 vcc_lo, 3, v130
	s_delay_alu instid0(VALU_DEP_2) | instskip(NEXT) | instid1(VALU_DEP_1)
	v_add_nc_u32_e32 v23, v23, v24
	v_mov_b32_dpp v24, v23 row_shr:4 row_mask:0xf bank_mask:0xf
	s_delay_alu instid0(VALU_DEP_1) | instskip(NEXT) | instid1(VALU_DEP_1)
	v_cndmask_b32_e32 v24, 0, v24, vcc_lo
	v_add_nc_u32_e32 v23, v23, v24
	ds_store_b32 v117, v23
.LBB1216_968:                           ;   in Loop: Header=BB1216_12 Depth=1
	s_or_b32 exec_lo, exec_lo, s12
	v_mov_b32_e32 v23, 0
	s_wait_dscnt 0x0
	s_barrier_signal -1
	s_barrier_wait -1
	s_and_saveexec_b32 s12, s5
; %bb.969:                              ;   in Loop: Header=BB1216_12 Depth=1
	ds_load_b32 v23, v118
; %bb.970:                              ;   in Loop: Header=BB1216_12 Depth=1
	s_or_b32 exec_lo, exec_lo, s12
	v_cmp_gt_i32_e32 vcc_lo, 0, v131
	s_wait_dscnt 0x0
	s_barrier_signal -1
	s_barrier_wait -1
	v_cndmask_b32_e32 v24, v131, v124, vcc_lo
	s_delay_alu instid0(VALU_DEP_1)
	v_dual_add_nc_u32 v22, v23, v22 :: v_dual_lshlrev_b32 v147, 2, v24
	ds_bpermute_b32 v22, v147, v22
	s_and_saveexec_b32 s12, s0
	s_cbranch_execz .LBB1216_972
; %bb.971:                              ;   in Loop: Header=BB1216_12 Depth=1
	s_wait_dscnt 0x0
	v_cndmask_b32_e64 v22, v22, v23, s6
	s_delay_alu instid0(VALU_DEP_1)
	v_add_nc_u32_e32 v22, s56, v22
	ds_store_b32 v3, v22
.LBB1216_972:                           ;   in Loop: Header=BB1216_12 Depth=1
	s_or_b32 exec_lo, exec_lo, s12
	s_load_b64 s[12:13], s[52:53], 0x0
	v_add_nc_u64_e32 v[24:25], v[20:21], v[4:5]
	s_mov_b32 s59, s58
                                        ; implicit-def: $vgpr28_vgpr29
                                        ; implicit-def: $vgpr30_vgpr31
                                        ; implicit-def: $vgpr32_vgpr33
                                        ; implicit-def: $vgpr34_vgpr35
                                        ; implicit-def: $vgpr36_vgpr37
                                        ; implicit-def: $vgpr38_vgpr39
                                        ; implicit-def: $vgpr40_vgpr41
                                        ; implicit-def: $vgpr42_vgpr43
                                        ; implicit-def: $vgpr44_vgpr45
                                        ; implicit-def: $vgpr46_vgpr47
                                        ; implicit-def: $vgpr48_vgpr49
                                        ; implicit-def: $vgpr50_vgpr51
                                        ; implicit-def: $vgpr52_vgpr53
                                        ; implicit-def: $vgpr54_vgpr55
                                        ; implicit-def: $vgpr56_vgpr57
                                        ; implicit-def: $vgpr149
                                        ; implicit-def: $vgpr150
                                        ; implicit-def: $vgpr151
                                        ; implicit-def: $vgpr152
                                        ; implicit-def: $vgpr153
                                        ; implicit-def: $vgpr154
                                        ; implicit-def: $vgpr155
                                        ; implicit-def: $vgpr156
                                        ; implicit-def: $vgpr157
                                        ; implicit-def: $vgpr158
                                        ; implicit-def: $vgpr159
                                        ; implicit-def: $vgpr160
                                        ; implicit-def: $vgpr161
                                        ; implicit-def: $vgpr162
                                        ; implicit-def: $vgpr163
                                        ; implicit-def: $vgpr164
	s_wait_kmcnt 0x0
	s_cmp_lt_u32 s33, s12
	s_cselect_b32 s34, 12, 18
	s_cmp_lt_u32 s31, s13
	s_mov_b32 s13, s35
	s_cselect_b32 s12, 14, 20
	s_delay_alu instid0(SALU_CYCLE_1)
	s_add_nc_u64 s[12:13], s[52:53], s[12:13]
	s_load_u16 s14, s[12:13], 0x0
	s_wait_xcnt 0x0
	s_add_nc_u64 s[12:13], s[52:53], s[34:35]
	s_mov_b32 s34, s56
	s_load_u16 s12, s[12:13], 0x0
	s_wait_xcnt 0x0
	v_cmp_lt_u32_e64 s13, 1, v130
	s_wait_dscnt 0x0
	s_wait_kmcnt 0x0
	v_mad_u32_u24 v22, v119, s14, v121
	v_cmp_lt_u32_e64 s14, 3, v130
	s_delay_alu instid0(VALU_DEP_2) | instskip(SKIP_1) | instid1(VALU_DEP_2)
	v_mad_u32 v22, v22, s12, v2
	v_cmp_eq_u32_e64 s12, 0, v130
	v_lshrrev_b32_e32 v26, 3, v22
	v_add_nc_u64_e32 v[22:23], v[18:19], v[4:5]
	s_delay_alu instid0(VALU_DEP_2)
	v_and_b32_e32 v148, 0x1ffffffc, v26
                                        ; implicit-def: $vgpr26_vgpr27
	s_branch .LBB1216_974
.LBB1216_973:                           ;   in Loop: Header=BB1216_974 Depth=2
	s_or_b32 exec_lo, exec_lo, s15
	s_addk_co_i32 s59, 0xf000
	s_cmp_lt_u32 s60, s51
	s_mov_b32 s34, s60
	s_cbranch_scc0 .LBB1216_10
.LBB1216_974:                           ;   Parent Loop BB1216_12 Depth=1
                                        ; =>  This Inner Loop Header: Depth=2
	s_add_co_i32 s60, s34, 0x1000
	s_delay_alu instid0(SALU_CYCLE_1)
	s_cmp_gt_u32 s60, s51
	s_cbranch_scc1 .LBB1216_976
; %bb.975:                              ;   in Loop: Header=BB1216_974 Depth=2
	v_lshl_add_u64 v[66:67], s[34:35], 3, v[24:25]
	s_mov_b32 s15, -1
	s_clause 0xe
	global_load_b64 v[58:59], v[66:67], off
	global_load_b64 v[60:61], v[66:67], off offset:256
	global_load_b64 v[62:63], v[66:67], off offset:512
	;; [unrolled: 1-line block ×14, first 2 shown]
	s_movk_i32 s16, 0x1000
	s_cbranch_execz .LBB1216_977
	s_branch .LBB1216_1008
.LBB1216_976:                           ;   in Loop: Header=BB1216_974 Depth=2
	s_mov_b32 s15, 0
                                        ; implicit-def: $vgpr58_vgpr59
                                        ; implicit-def: $vgpr60_vgpr61
                                        ; implicit-def: $vgpr62_vgpr63
                                        ; implicit-def: $vgpr70_vgpr71
                                        ; implicit-def: $vgpr74_vgpr75
                                        ; implicit-def: $vgpr78_vgpr79
                                        ; implicit-def: $vgpr82_vgpr83
                                        ; implicit-def: $vgpr86_vgpr87
                                        ; implicit-def: $vgpr88_vgpr89
                                        ; implicit-def: $vgpr84_vgpr85
                                        ; implicit-def: $vgpr80_vgpr81
                                        ; implicit-def: $vgpr76_vgpr77
                                        ; implicit-def: $vgpr72_vgpr73
                                        ; implicit-def: $vgpr68_vgpr69
                                        ; implicit-def: $vgpr64_vgpr65
	s_movk_i32 s16, 0x1000
.LBB1216_977:                           ;   in Loop: Header=BB1216_974 Depth=2
	s_wait_loadcnt 0xd
	v_mov_b64_e32 v[60:61], 0x7fffffffffffffff
	v_mov_b64_e32 v[58:59], 0x7fffffffffffffff
	s_wait_xcnt 0x0
	v_lshl_add_u64 v[66:67], s[34:35], 3, v[24:25]
	s_mov_b32 s15, exec_lo
	v_cmpx_gt_u32_e64 s59, v129
	s_cbranch_execz .LBB1216_979
; %bb.978:                              ;   in Loop: Header=BB1216_974 Depth=2
	global_load_b64 v[58:59], v[66:67], off
.LBB1216_979:                           ;   in Loop: Header=BB1216_974 Depth=2
	s_wait_xcnt 0x0
	s_or_b32 exec_lo, exec_lo, s15
	s_delay_alu instid0(SALU_CYCLE_1)
	s_mov_b32 s15, exec_lo
	v_cmpx_gt_u32_e64 s59, v132
	s_cbranch_execz .LBB1216_981
; %bb.980:                              ;   in Loop: Header=BB1216_974 Depth=2
	global_load_b64 v[60:61], v[66:67], off offset:256
.LBB1216_981:                           ;   in Loop: Header=BB1216_974 Depth=2
	s_wait_xcnt 0x0
	s_or_b32 exec_lo, exec_lo, s15
	s_wait_loadcnt 0xb
	v_mov_b64_e32 v[70:71], 0x7fffffffffffffff
	v_mov_b64_e32 v[62:63], 0x7fffffffffffffff
	s_mov_b32 s15, exec_lo
	v_cmpx_gt_u32_e64 s59, v133
	s_cbranch_execz .LBB1216_983
; %bb.982:                              ;   in Loop: Header=BB1216_974 Depth=2
	global_load_b64 v[62:63], v[66:67], off offset:512
.LBB1216_983:                           ;   in Loop: Header=BB1216_974 Depth=2
	s_wait_xcnt 0x0
	s_or_b32 exec_lo, exec_lo, s15
	s_delay_alu instid0(SALU_CYCLE_1)
	s_mov_b32 s15, exec_lo
	v_cmpx_gt_u32_e64 s59, v134
	s_cbranch_execz .LBB1216_985
; %bb.984:                              ;   in Loop: Header=BB1216_974 Depth=2
	global_load_b64 v[70:71], v[66:67], off offset:768
.LBB1216_985:                           ;   in Loop: Header=BB1216_974 Depth=2
	s_wait_xcnt 0x0
	s_or_b32 exec_lo, exec_lo, s15
	s_wait_loadcnt 0x9
	v_mov_b64_e32 v[78:79], 0x7fffffffffffffff
	v_mov_b64_e32 v[74:75], 0x7fffffffffffffff
	s_mov_b32 s15, exec_lo
	v_cmpx_gt_u32_e64 s59, v135
	s_cbranch_execz .LBB1216_987
; %bb.986:                              ;   in Loop: Header=BB1216_974 Depth=2
	global_load_b64 v[74:75], v[66:67], off offset:1024
.LBB1216_987:                           ;   in Loop: Header=BB1216_974 Depth=2
	;; [unrolled: 20-line block ×5, first 2 shown]
	s_wait_xcnt 0x0
	s_or_b32 exec_lo, exec_lo, s15
	s_delay_alu instid0(SALU_CYCLE_1)
	s_mov_b32 s15, exec_lo
	v_cmpx_gt_u32_e64 s59, v142
	s_cbranch_execz .LBB1216_1001
; %bb.1000:                             ;   in Loop: Header=BB1216_974 Depth=2
	global_load_b64 v[76:77], v[66:67], off offset:2816
.LBB1216_1001:                          ;   in Loop: Header=BB1216_974 Depth=2
	s_wait_xcnt 0x0
	s_or_b32 exec_lo, exec_lo, s15
	s_wait_loadcnt 0x1
	v_mov_b64_e32 v[68:69], 0x7fffffffffffffff
	v_mov_b64_e32 v[72:73], 0x7fffffffffffffff
	s_mov_b32 s15, exec_lo
	v_cmpx_gt_u32_e64 s59, v143
	s_cbranch_execz .LBB1216_1003
; %bb.1002:                             ;   in Loop: Header=BB1216_974 Depth=2
	global_load_b64 v[72:73], v[66:67], off offset:3072
.LBB1216_1003:                          ;   in Loop: Header=BB1216_974 Depth=2
	s_wait_xcnt 0x0
	s_or_b32 exec_lo, exec_lo, s15
	s_delay_alu instid0(SALU_CYCLE_1)
	s_mov_b32 s15, exec_lo
	v_cmpx_gt_u32_e64 s59, v144
	s_cbranch_execz .LBB1216_1005
; %bb.1004:                             ;   in Loop: Header=BB1216_974 Depth=2
	global_load_b64 v[68:69], v[66:67], off offset:3328
.LBB1216_1005:                          ;   in Loop: Header=BB1216_974 Depth=2
	s_wait_xcnt 0x0
	s_or_b32 exec_lo, exec_lo, s15
	s_wait_loadcnt 0x0
	v_mov_b64_e32 v[64:65], 0x7fffffffffffffff
	s_mov_b32 s15, exec_lo
	v_cmpx_gt_u32_e64 s59, v145
	s_cbranch_execz .LBB1216_1007
; %bb.1006:                             ;   in Loop: Header=BB1216_974 Depth=2
	global_load_b64 v[64:65], v[66:67], off offset:3584
.LBB1216_1007:                          ;   in Loop: Header=BB1216_974 Depth=2
	s_wait_xcnt 0x0
	s_or_b32 exec_lo, exec_lo, s15
	v_cmp_gt_u32_e64 s15, s59, v146
	s_sub_co_i32 s16, s51, s34
.LBB1216_1008:                          ;   in Loop: Header=BB1216_974 Depth=2
	s_wait_xcnt 0x0
	v_mov_b64_e32 v[66:67], 0x7fffffffffffffff
	v_mov_b32_e32 v165, s59
	s_and_saveexec_b32 s17, s15
	s_cbranch_execz .LBB1216_1010
; %bb.1009:                             ;   in Loop: Header=BB1216_974 Depth=2
	v_lshl_add_u64 v[66:67], s[34:35], 3, v[24:25]
	v_mov_b32_e32 v165, s16
	global_load_b64 v[66:67], v[66:67], off offset:3840
.LBB1216_1010:                          ;   in Loop: Header=BB1216_974 Depth=2
	s_wait_xcnt 0x0
	s_or_b32 exec_lo, exec_lo, s17
	s_wait_loadcnt 0xe
	v_cmp_lt_i64_e32 vcc_lo, -1, v[58:59]
	v_add_nc_u32_e32 v168, 0x420, v120
	v_add_nc_u32_e32 v169, 0x428, v120
	;; [unrolled: 1-line block ×3, first 2 shown]
	v_cndmask_b32_e64 v90, -1, 0x80000000, vcc_lo
	s_delay_alu instid0(VALU_DEP_1) | instskip(NEXT) | instid1(VALU_DEP_1)
	v_dual_ashrrev_i32 v91, 31, v59 :: v_dual_bitop2_b32 v59, v90, v59 bitop3:0x14
	v_xor_b32_e32 v58, v91, v58
	s_delay_alu instid0(VALU_DEP_1) | instskip(SKIP_2) | instid1(VALU_DEP_1)
	v_cmp_ne_u64_e32 vcc_lo, s[42:43], v[58:59]
	v_cndmask_b32_e32 v91, 0x80000000, v59, vcc_lo
	v_cndmask_b32_e32 v90, 0, v58, vcc_lo
	v_lshrrev_b64 v[90:91], s48, v[90:91]
	s_delay_alu instid0(VALU_DEP_1) | instskip(SKIP_1) | instid1(VALU_DEP_2)
	v_bitop3_b32 v91, v90, 1, s55 bitop3:0x80
	v_and_b32_e32 v92, s55, v90
	v_add_co_u32 v90, s15, v91, -1
	s_delay_alu instid0(VALU_DEP_1) | instskip(NEXT) | instid1(VALU_DEP_3)
	v_cndmask_b32_e64 v91, 0, 1, s15
	v_lshlrev_b32_e32 v93, 30, v92
	s_delay_alu instid0(VALU_DEP_2) | instskip(NEXT) | instid1(VALU_DEP_2)
	v_cmp_ne_u32_e32 vcc_lo, 0, v91
	v_not_b32_e32 v91, v93
	v_cmp_gt_i32_e64 s15, 0, v93
	s_delay_alu instid0(VALU_DEP_2) | instskip(SKIP_3) | instid1(VALU_DEP_4)
	v_dual_ashrrev_i32 v91, 31, v91 :: v_dual_lshlrev_b32 v94, 29, v92
	v_dual_lshlrev_b32 v95, 28, v92 :: v_dual_lshlrev_b32 v96, 27, v92
	v_dual_lshlrev_b32 v97, 26, v92 :: v_dual_lshlrev_b32 v166, 25, v92
	v_lshlrev_b32_e32 v167, 24, v92
	v_cmp_gt_i32_e64 s16, 0, v94
	v_not_b32_e32 v93, v94
	v_not_b32_e32 v94, v95
	v_cmp_gt_i32_e64 s17, 0, v95
	v_cmp_gt_i32_e64 s18, 0, v96
	v_not_b32_e32 v95, v96
	v_not_b32_e32 v96, v97
	v_dual_ashrrev_i32 v93, 31, v93 :: v_dual_bitop2_b32 v90, vcc_lo, v90 bitop3:0x14
	v_dual_ashrrev_i32 v94, 31, v94 :: v_dual_bitop2_b32 v91, s15, v91 bitop3:0x14
	v_cmp_gt_i32_e64 s19, 0, v97
	v_cmp_gt_i32_e64 s20, 0, v166
	v_not_b32_e32 v97, v166
	v_not_b32_e32 v166, v167
	v_dual_ashrrev_i32 v95, 31, v95 :: v_dual_ashrrev_i32 v96, 31, v96
	v_xor_b32_e32 v93, s16, v93
	v_xor_b32_e32 v94, s17, v94
	v_bitop3_b32 v90, v90, v91, exec_lo bitop3:0x80
	v_cmp_gt_i32_e64 s21, 0, v167
	v_dual_ashrrev_i32 v91, 31, v97 :: v_dual_ashrrev_i32 v97, 31, v166
	v_xor_b32_e32 v95, s18, v95
	v_xor_b32_e32 v96, s19, v96
	v_bitop3_b32 v90, v90, v94, v93 bitop3:0x80
	s_delay_alu instid0(VALU_DEP_4) | instskip(SKIP_2) | instid1(VALU_DEP_4)
	v_xor_b32_e32 v91, s20, v91
	v_xor_b32_e32 v93, s21, v97
	v_add_nc_u32_e32 v167, 0x438, v120
	v_bitop3_b32 v90, v90, v96, v95 bitop3:0x80
	ds_store_2addr_b32 v167, v5, v5 offset1:1
	ds_store_2addr_b32 v168, v5, v5 offset1:1
	;; [unrolled: 1-line block ×4, first 2 shown]
	ds_store_b32 v120, v5 offset:1088
	v_bitop3_b32 v90, v90, v93, v91 bitop3:0x80
	v_mul_u32_u24_e32 v91, 36, v92
	s_wait_loadcnt_dscnt 0x0
	s_barrier_signal -1
	s_barrier_wait -1
	v_mbcnt_lo_u32_b32 v166, v90, 0
	v_cmp_ne_u32_e64 s15, 0, v90
	v_add_nc_u32_e32 v171, v148, v91
	s_delay_alu instid0(VALU_DEP_3) | instskip(SKIP_1) | instid1(SALU_CYCLE_1)
	v_cmp_eq_u32_e32 vcc_lo, 0, v166
	; wave barrier
	s_and_b32 s16, s15, vcc_lo
	s_and_saveexec_b32 s15, s16
; %bb.1011:                             ;   in Loop: Header=BB1216_974 Depth=2
	v_bcnt_u32_b32 v90, v90, 0
	ds_store_b32 v171, v90 offset:1056
; %bb.1012:                             ;   in Loop: Header=BB1216_974 Depth=2
	s_or_b32 exec_lo, exec_lo, s15
	v_cmp_lt_i64_e32 vcc_lo, -1, v[60:61]
	; wave barrier
	v_cndmask_b32_e64 v90, -1, 0x80000000, vcc_lo
	s_delay_alu instid0(VALU_DEP_1) | instskip(NEXT) | instid1(VALU_DEP_1)
	v_dual_ashrrev_i32 v91, 31, v61 :: v_dual_bitop2_b32 v61, v90, v61 bitop3:0x14
	v_xor_b32_e32 v60, v91, v60
	s_delay_alu instid0(VALU_DEP_1) | instskip(SKIP_2) | instid1(VALU_DEP_1)
	v_cmp_ne_u64_e32 vcc_lo, s[42:43], v[60:61]
	v_cndmask_b32_e32 v91, 0x80000000, v61, vcc_lo
	v_cndmask_b32_e32 v90, 0, v60, vcc_lo
	v_lshrrev_b64 v[90:91], s48, v[90:91]
	s_delay_alu instid0(VALU_DEP_1) | instskip(SKIP_1) | instid1(VALU_DEP_2)
	v_bitop3_b32 v91, v90, 1, s55 bitop3:0x80
	v_and_b32_e32 v92, s55, v90
	v_add_co_u32 v90, s15, v91, -1
	s_delay_alu instid0(VALU_DEP_1) | instskip(NEXT) | instid1(VALU_DEP_3)
	v_cndmask_b32_e64 v91, 0, 1, s15
	v_dual_lshlrev_b32 v93, 30, v92 :: v_dual_lshlrev_b32 v95, 28, v92
	v_dual_lshlrev_b32 v94, 29, v92 :: v_dual_lshlrev_b32 v96, 27, v92
	s_delay_alu instid0(VALU_DEP_3) | instskip(NEXT) | instid1(VALU_DEP_3)
	v_cmp_ne_u32_e32 vcc_lo, 0, v91
	v_cmp_gt_i32_e64 s15, 0, v93
	v_not_b32_e32 v91, v93
	s_delay_alu instid0(VALU_DEP_4) | instskip(SKIP_4) | instid1(VALU_DEP_4)
	v_cmp_gt_i32_e64 s16, 0, v94
	v_not_b32_e32 v93, v94
	v_cmp_gt_i32_e64 s17, 0, v95
	v_not_b32_e32 v94, v95
	v_not_b32_e32 v95, v96
	v_dual_ashrrev_i32 v91, 31, v91 :: v_dual_ashrrev_i32 v93, 31, v93
	s_delay_alu instid0(VALU_DEP_2) | instskip(SKIP_4) | instid1(VALU_DEP_4)
	v_dual_ashrrev_i32 v94, 31, v94 :: v_dual_ashrrev_i32 v95, 31, v95
	v_dual_lshlrev_b32 v97, 26, v92 :: v_dual_lshlrev_b32 v172, 25, v92
	v_lshlrev_b32_e32 v173, 24, v92
	v_cmp_gt_i32_e64 s18, 0, v96
	v_xor_b32_e32 v91, s15, v91
	v_not_b32_e32 v96, v97
	v_xor_b32_e32 v90, vcc_lo, v90
	v_cmp_gt_i32_e64 s19, 0, v97
	v_cmp_gt_i32_e64 s20, 0, v172
	v_not_b32_e32 v97, v172
	v_not_b32_e32 v172, v173
	v_dual_ashrrev_i32 v96, 31, v96 :: v_dual_bitop2_b32 v93, s16, v93 bitop3:0x14
	v_xor_b32_e32 v94, s17, v94
	v_bitop3_b32 v90, v90, v91, exec_lo bitop3:0x80
	v_cmp_gt_i32_e64 s21, 0, v173
	v_dual_ashrrev_i32 v91, 31, v97 :: v_dual_ashrrev_i32 v97, 31, v172
	v_xor_b32_e32 v95, s18, v95
	v_xor_b32_e32 v96, s19, v96
	v_bitop3_b32 v90, v90, v94, v93 bitop3:0x80
	v_mad_u32_u24 v93, v92, 36, v148
	v_xor_b32_e32 v91, s20, v91
	v_xor_b32_e32 v94, s21, v97
	s_delay_alu instid0(VALU_DEP_4) | instskip(SKIP_3) | instid1(VALU_DEP_2)
	v_bitop3_b32 v90, v90, v96, v95 bitop3:0x80
	ds_load_b32 v172, v93 offset:1056
	; wave barrier
	v_bitop3_b32 v90, v90, v94, v91 bitop3:0x80
	v_mul_u32_u24_e32 v91, 36, v92
	v_mbcnt_lo_u32_b32 v173, v90, 0
	v_cmp_ne_u32_e64 s15, 0, v90
	s_delay_alu instid0(VALU_DEP_3) | instskip(NEXT) | instid1(VALU_DEP_3)
	v_add_nc_u32_e32 v174, v148, v91
	v_cmp_eq_u32_e32 vcc_lo, 0, v173
	s_and_b32 s16, s15, vcc_lo
	s_delay_alu instid0(SALU_CYCLE_1)
	s_and_saveexec_b32 s15, s16
	s_cbranch_execz .LBB1216_1014
; %bb.1013:                             ;   in Loop: Header=BB1216_974 Depth=2
	s_wait_dscnt 0x0
	v_bcnt_u32_b32 v90, v90, v172
	ds_store_b32 v174, v90 offset:1056
.LBB1216_1014:                          ;   in Loop: Header=BB1216_974 Depth=2
	s_or_b32 exec_lo, exec_lo, s15
	v_cmp_lt_i64_e32 vcc_lo, -1, v[62:63]
	; wave barrier
	v_cndmask_b32_e64 v90, -1, 0x80000000, vcc_lo
	s_delay_alu instid0(VALU_DEP_1) | instskip(NEXT) | instid1(VALU_DEP_1)
	v_dual_ashrrev_i32 v91, 31, v63 :: v_dual_bitop2_b32 v63, v90, v63 bitop3:0x14
	v_xor_b32_e32 v62, v91, v62
	s_delay_alu instid0(VALU_DEP_1) | instskip(SKIP_2) | instid1(VALU_DEP_1)
	v_cmp_ne_u64_e32 vcc_lo, s[42:43], v[62:63]
	v_cndmask_b32_e32 v91, 0x80000000, v63, vcc_lo
	v_cndmask_b32_e32 v90, 0, v62, vcc_lo
	v_lshrrev_b64 v[90:91], s48, v[90:91]
	s_delay_alu instid0(VALU_DEP_1) | instskip(SKIP_1) | instid1(VALU_DEP_2)
	v_bitop3_b32 v91, v90, 1, s55 bitop3:0x80
	v_and_b32_e32 v92, s55, v90
	v_add_co_u32 v90, s15, v91, -1
	s_delay_alu instid0(VALU_DEP_1) | instskip(NEXT) | instid1(VALU_DEP_3)
	v_cndmask_b32_e64 v91, 0, 1, s15
	v_lshlrev_b32_e32 v93, 30, v92
	s_delay_alu instid0(VALU_DEP_2) | instskip(NEXT) | instid1(VALU_DEP_2)
	v_cmp_ne_u32_e32 vcc_lo, 0, v91
	v_not_b32_e32 v91, v93
	v_cmp_gt_i32_e64 s15, 0, v93
	s_delay_alu instid0(VALU_DEP_2) | instskip(SKIP_3) | instid1(VALU_DEP_4)
	v_dual_ashrrev_i32 v91, 31, v91 :: v_dual_lshlrev_b32 v94, 29, v92
	v_dual_lshlrev_b32 v95, 28, v92 :: v_dual_lshlrev_b32 v96, 27, v92
	v_dual_lshlrev_b32 v97, 26, v92 :: v_dual_lshlrev_b32 v175, 25, v92
	v_lshlrev_b32_e32 v176, 24, v92
	v_cmp_gt_i32_e64 s16, 0, v94
	v_not_b32_e32 v93, v94
	v_not_b32_e32 v94, v95
	v_cmp_gt_i32_e64 s17, 0, v95
	v_cmp_gt_i32_e64 s18, 0, v96
	v_not_b32_e32 v95, v96
	v_not_b32_e32 v96, v97
	v_dual_ashrrev_i32 v93, 31, v93 :: v_dual_bitop2_b32 v90, vcc_lo, v90 bitop3:0x14
	v_dual_ashrrev_i32 v94, 31, v94 :: v_dual_bitop2_b32 v91, s15, v91 bitop3:0x14
	v_cmp_gt_i32_e64 s19, 0, v97
	v_cmp_gt_i32_e64 s20, 0, v175
	v_not_b32_e32 v97, v175
	v_not_b32_e32 v175, v176
	v_dual_ashrrev_i32 v95, 31, v95 :: v_dual_ashrrev_i32 v96, 31, v96
	v_xor_b32_e32 v93, s16, v93
	v_xor_b32_e32 v94, s17, v94
	v_bitop3_b32 v90, v90, v91, exec_lo bitop3:0x80
	v_cmp_gt_i32_e64 s21, 0, v176
	v_dual_ashrrev_i32 v91, 31, v97 :: v_dual_ashrrev_i32 v97, 31, v175
	v_xor_b32_e32 v95, s18, v95
	v_xor_b32_e32 v96, s19, v96
	v_bitop3_b32 v90, v90, v94, v93 bitop3:0x80
	v_mad_u32_u24 v93, v92, 36, v148
	v_xor_b32_e32 v91, s20, v91
	v_xor_b32_e32 v94, s21, v97
	s_delay_alu instid0(VALU_DEP_4) | instskip(SKIP_3) | instid1(VALU_DEP_2)
	v_bitop3_b32 v90, v90, v96, v95 bitop3:0x80
	ds_load_b32 v175, v93 offset:1056
	; wave barrier
	v_bitop3_b32 v90, v90, v94, v91 bitop3:0x80
	v_mul_u32_u24_e32 v91, 36, v92
	v_mbcnt_lo_u32_b32 v176, v90, 0
	v_cmp_ne_u32_e64 s15, 0, v90
	s_delay_alu instid0(VALU_DEP_3) | instskip(NEXT) | instid1(VALU_DEP_3)
	v_add_nc_u32_e32 v177, v148, v91
	v_cmp_eq_u32_e32 vcc_lo, 0, v176
	s_and_b32 s16, s15, vcc_lo
	s_delay_alu instid0(SALU_CYCLE_1)
	s_and_saveexec_b32 s15, s16
	s_cbranch_execz .LBB1216_1016
; %bb.1015:                             ;   in Loop: Header=BB1216_974 Depth=2
	s_wait_dscnt 0x0
	v_bcnt_u32_b32 v90, v90, v175
	ds_store_b32 v177, v90 offset:1056
.LBB1216_1016:                          ;   in Loop: Header=BB1216_974 Depth=2
	s_or_b32 exec_lo, exec_lo, s15
	v_cmp_lt_i64_e32 vcc_lo, -1, v[70:71]
	; wave barrier
	v_cndmask_b32_e64 v90, -1, 0x80000000, vcc_lo
	s_delay_alu instid0(VALU_DEP_1) | instskip(NEXT) | instid1(VALU_DEP_1)
	v_dual_ashrrev_i32 v91, 31, v71 :: v_dual_bitop2_b32 v71, v90, v71 bitop3:0x14
	v_xor_b32_e32 v70, v91, v70
	s_delay_alu instid0(VALU_DEP_1) | instskip(SKIP_2) | instid1(VALU_DEP_1)
	v_cmp_ne_u64_e32 vcc_lo, s[42:43], v[70:71]
	v_cndmask_b32_e32 v91, 0x80000000, v71, vcc_lo
	v_cndmask_b32_e32 v90, 0, v70, vcc_lo
	v_lshrrev_b64 v[90:91], s48, v[90:91]
	s_delay_alu instid0(VALU_DEP_1) | instskip(SKIP_1) | instid1(VALU_DEP_2)
	v_bitop3_b32 v91, v90, 1, s55 bitop3:0x80
	v_and_b32_e32 v92, s55, v90
	v_add_co_u32 v90, s15, v91, -1
	s_delay_alu instid0(VALU_DEP_1) | instskip(NEXT) | instid1(VALU_DEP_3)
	v_cndmask_b32_e64 v91, 0, 1, s15
	v_lshlrev_b32_e32 v93, 30, v92
	s_delay_alu instid0(VALU_DEP_2) | instskip(NEXT) | instid1(VALU_DEP_2)
	v_cmp_ne_u32_e32 vcc_lo, 0, v91
	v_not_b32_e32 v91, v93
	v_cmp_gt_i32_e64 s15, 0, v93
	s_delay_alu instid0(VALU_DEP_2) | instskip(SKIP_3) | instid1(VALU_DEP_4)
	v_dual_ashrrev_i32 v91, 31, v91 :: v_dual_lshlrev_b32 v94, 29, v92
	v_dual_lshlrev_b32 v95, 28, v92 :: v_dual_lshlrev_b32 v96, 27, v92
	v_dual_lshlrev_b32 v97, 26, v92 :: v_dual_lshlrev_b32 v178, 25, v92
	v_lshlrev_b32_e32 v179, 24, v92
	v_cmp_gt_i32_e64 s16, 0, v94
	v_not_b32_e32 v93, v94
	v_not_b32_e32 v94, v95
	v_cmp_gt_i32_e64 s17, 0, v95
	v_cmp_gt_i32_e64 s18, 0, v96
	v_not_b32_e32 v95, v96
	v_not_b32_e32 v96, v97
	v_dual_ashrrev_i32 v93, 31, v93 :: v_dual_bitop2_b32 v90, vcc_lo, v90 bitop3:0x14
	v_dual_ashrrev_i32 v94, 31, v94 :: v_dual_bitop2_b32 v91, s15, v91 bitop3:0x14
	v_cmp_gt_i32_e64 s19, 0, v97
	v_cmp_gt_i32_e64 s20, 0, v178
	v_not_b32_e32 v97, v178
	v_not_b32_e32 v178, v179
	v_dual_ashrrev_i32 v95, 31, v95 :: v_dual_ashrrev_i32 v96, 31, v96
	v_xor_b32_e32 v93, s16, v93
	v_xor_b32_e32 v94, s17, v94
	v_bitop3_b32 v90, v90, v91, exec_lo bitop3:0x80
	v_cmp_gt_i32_e64 s21, 0, v179
	v_dual_ashrrev_i32 v91, 31, v97 :: v_dual_ashrrev_i32 v97, 31, v178
	v_xor_b32_e32 v95, s18, v95
	v_xor_b32_e32 v96, s19, v96
	v_bitop3_b32 v90, v90, v94, v93 bitop3:0x80
	v_mad_u32_u24 v93, v92, 36, v148
	v_xor_b32_e32 v91, s20, v91
	v_xor_b32_e32 v94, s21, v97
	s_delay_alu instid0(VALU_DEP_4) | instskip(SKIP_3) | instid1(VALU_DEP_2)
	v_bitop3_b32 v90, v90, v96, v95 bitop3:0x80
	ds_load_b32 v178, v93 offset:1056
	; wave barrier
	v_bitop3_b32 v90, v90, v94, v91 bitop3:0x80
	v_mul_u32_u24_e32 v91, 36, v92
	v_mbcnt_lo_u32_b32 v179, v90, 0
	v_cmp_ne_u32_e64 s15, 0, v90
	s_delay_alu instid0(VALU_DEP_3) | instskip(NEXT) | instid1(VALU_DEP_3)
	v_add_nc_u32_e32 v180, v148, v91
	v_cmp_eq_u32_e32 vcc_lo, 0, v179
	s_and_b32 s16, s15, vcc_lo
	s_delay_alu instid0(SALU_CYCLE_1)
	s_and_saveexec_b32 s15, s16
	s_cbranch_execz .LBB1216_1018
; %bb.1017:                             ;   in Loop: Header=BB1216_974 Depth=2
	s_wait_dscnt 0x0
	v_bcnt_u32_b32 v90, v90, v178
	ds_store_b32 v180, v90 offset:1056
.LBB1216_1018:                          ;   in Loop: Header=BB1216_974 Depth=2
	s_or_b32 exec_lo, exec_lo, s15
	v_cmp_lt_i64_e32 vcc_lo, -1, v[74:75]
	; wave barrier
	v_cndmask_b32_e64 v90, -1, 0x80000000, vcc_lo
	s_delay_alu instid0(VALU_DEP_1) | instskip(NEXT) | instid1(VALU_DEP_1)
	v_dual_ashrrev_i32 v91, 31, v75 :: v_dual_bitop2_b32 v75, v90, v75 bitop3:0x14
	v_xor_b32_e32 v74, v91, v74
	s_delay_alu instid0(VALU_DEP_1) | instskip(SKIP_2) | instid1(VALU_DEP_1)
	v_cmp_ne_u64_e32 vcc_lo, s[42:43], v[74:75]
	v_cndmask_b32_e32 v91, 0x80000000, v75, vcc_lo
	v_cndmask_b32_e32 v90, 0, v74, vcc_lo
	v_lshrrev_b64 v[90:91], s48, v[90:91]
	s_delay_alu instid0(VALU_DEP_1) | instskip(SKIP_1) | instid1(VALU_DEP_2)
	v_bitop3_b32 v91, v90, 1, s55 bitop3:0x80
	v_and_b32_e32 v92, s55, v90
	v_add_co_u32 v90, s15, v91, -1
	s_delay_alu instid0(VALU_DEP_1) | instskip(NEXT) | instid1(VALU_DEP_3)
	v_cndmask_b32_e64 v91, 0, 1, s15
	v_lshlrev_b32_e32 v93, 30, v92
	s_delay_alu instid0(VALU_DEP_2) | instskip(NEXT) | instid1(VALU_DEP_2)
	v_cmp_ne_u32_e32 vcc_lo, 0, v91
	v_not_b32_e32 v91, v93
	v_cmp_gt_i32_e64 s15, 0, v93
	s_delay_alu instid0(VALU_DEP_2) | instskip(SKIP_3) | instid1(VALU_DEP_4)
	v_dual_ashrrev_i32 v91, 31, v91 :: v_dual_lshlrev_b32 v94, 29, v92
	v_dual_lshlrev_b32 v95, 28, v92 :: v_dual_lshlrev_b32 v96, 27, v92
	v_dual_lshlrev_b32 v97, 26, v92 :: v_dual_lshlrev_b32 v181, 25, v92
	v_lshlrev_b32_e32 v182, 24, v92
	v_cmp_gt_i32_e64 s16, 0, v94
	v_not_b32_e32 v93, v94
	v_not_b32_e32 v94, v95
	v_cmp_gt_i32_e64 s17, 0, v95
	v_cmp_gt_i32_e64 s18, 0, v96
	v_not_b32_e32 v95, v96
	v_not_b32_e32 v96, v97
	v_dual_ashrrev_i32 v93, 31, v93 :: v_dual_bitop2_b32 v90, vcc_lo, v90 bitop3:0x14
	v_dual_ashrrev_i32 v94, 31, v94 :: v_dual_bitop2_b32 v91, s15, v91 bitop3:0x14
	v_cmp_gt_i32_e64 s19, 0, v97
	v_cmp_gt_i32_e64 s20, 0, v181
	v_not_b32_e32 v97, v181
	v_not_b32_e32 v181, v182
	v_dual_ashrrev_i32 v95, 31, v95 :: v_dual_ashrrev_i32 v96, 31, v96
	v_xor_b32_e32 v93, s16, v93
	v_xor_b32_e32 v94, s17, v94
	v_bitop3_b32 v90, v90, v91, exec_lo bitop3:0x80
	v_cmp_gt_i32_e64 s21, 0, v182
	v_ashrrev_i32_e32 v91, 31, v97
	v_dual_ashrrev_i32 v97, 31, v181 :: v_dual_bitop2_b32 v95, s18, v95 bitop3:0x14
	v_xor_b32_e32 v96, s19, v96
	v_bitop3_b32 v90, v90, v94, v93 bitop3:0x80
	v_mad_u32_u24 v93, v92, 36, v148
	v_xor_b32_e32 v91, s20, v91
	v_xor_b32_e32 v94, s21, v97
	s_delay_alu instid0(VALU_DEP_4) | instskip(SKIP_3) | instid1(VALU_DEP_2)
	v_bitop3_b32 v90, v90, v96, v95 bitop3:0x80
	ds_load_b32 v181, v93 offset:1056
	; wave barrier
	v_bitop3_b32 v90, v90, v94, v91 bitop3:0x80
	v_mul_u32_u24_e32 v91, 36, v92
	v_mbcnt_lo_u32_b32 v182, v90, 0
	v_cmp_ne_u32_e64 s15, 0, v90
	s_delay_alu instid0(VALU_DEP_3) | instskip(NEXT) | instid1(VALU_DEP_3)
	v_add_nc_u32_e32 v183, v148, v91
	v_cmp_eq_u32_e32 vcc_lo, 0, v182
	s_and_b32 s16, s15, vcc_lo
	s_delay_alu instid0(SALU_CYCLE_1)
	s_and_saveexec_b32 s15, s16
	s_cbranch_execz .LBB1216_1020
; %bb.1019:                             ;   in Loop: Header=BB1216_974 Depth=2
	s_wait_dscnt 0x0
	v_bcnt_u32_b32 v90, v90, v181
	ds_store_b32 v183, v90 offset:1056
.LBB1216_1020:                          ;   in Loop: Header=BB1216_974 Depth=2
	s_or_b32 exec_lo, exec_lo, s15
	v_cmp_lt_i64_e32 vcc_lo, -1, v[78:79]
	; wave barrier
	v_cndmask_b32_e64 v90, -1, 0x80000000, vcc_lo
	s_delay_alu instid0(VALU_DEP_1) | instskip(NEXT) | instid1(VALU_DEP_1)
	v_dual_ashrrev_i32 v91, 31, v79 :: v_dual_bitop2_b32 v79, v90, v79 bitop3:0x14
	v_xor_b32_e32 v78, v91, v78
	s_delay_alu instid0(VALU_DEP_1) | instskip(SKIP_2) | instid1(VALU_DEP_1)
	v_cmp_ne_u64_e32 vcc_lo, s[42:43], v[78:79]
	v_cndmask_b32_e32 v91, 0x80000000, v79, vcc_lo
	v_cndmask_b32_e32 v90, 0, v78, vcc_lo
	v_lshrrev_b64 v[90:91], s48, v[90:91]
	s_delay_alu instid0(VALU_DEP_1) | instskip(SKIP_1) | instid1(VALU_DEP_2)
	v_bitop3_b32 v91, v90, 1, s55 bitop3:0x80
	v_and_b32_e32 v92, s55, v90
	v_add_co_u32 v90, s15, v91, -1
	s_delay_alu instid0(VALU_DEP_1) | instskip(NEXT) | instid1(VALU_DEP_3)
	v_cndmask_b32_e64 v91, 0, 1, s15
	v_lshlrev_b32_e32 v93, 30, v92
	s_delay_alu instid0(VALU_DEP_2) | instskip(NEXT) | instid1(VALU_DEP_2)
	v_cmp_ne_u32_e32 vcc_lo, 0, v91
	v_not_b32_e32 v91, v93
	v_cmp_gt_i32_e64 s15, 0, v93
	s_delay_alu instid0(VALU_DEP_2) | instskip(SKIP_3) | instid1(VALU_DEP_4)
	v_dual_ashrrev_i32 v91, 31, v91 :: v_dual_lshlrev_b32 v94, 29, v92
	v_dual_lshlrev_b32 v95, 28, v92 :: v_dual_lshlrev_b32 v96, 27, v92
	v_dual_lshlrev_b32 v97, 26, v92 :: v_dual_lshlrev_b32 v184, 25, v92
	v_lshlrev_b32_e32 v185, 24, v92
	v_cmp_gt_i32_e64 s16, 0, v94
	v_not_b32_e32 v93, v94
	v_not_b32_e32 v94, v95
	v_cmp_gt_i32_e64 s17, 0, v95
	v_cmp_gt_i32_e64 s18, 0, v96
	v_not_b32_e32 v95, v96
	v_not_b32_e32 v96, v97
	v_dual_ashrrev_i32 v93, 31, v93 :: v_dual_bitop2_b32 v90, vcc_lo, v90 bitop3:0x14
	v_dual_ashrrev_i32 v94, 31, v94 :: v_dual_bitop2_b32 v91, s15, v91 bitop3:0x14
	v_cmp_gt_i32_e64 s19, 0, v97
	v_cmp_gt_i32_e64 s20, 0, v184
	v_not_b32_e32 v97, v184
	v_not_b32_e32 v184, v185
	v_dual_ashrrev_i32 v95, 31, v95 :: v_dual_ashrrev_i32 v96, 31, v96
	v_xor_b32_e32 v93, s16, v93
	v_xor_b32_e32 v94, s17, v94
	v_bitop3_b32 v90, v90, v91, exec_lo bitop3:0x80
	v_cmp_gt_i32_e64 s21, 0, v185
	v_dual_ashrrev_i32 v91, 31, v97 :: v_dual_ashrrev_i32 v97, 31, v184
	v_xor_b32_e32 v95, s18, v95
	v_xor_b32_e32 v96, s19, v96
	v_bitop3_b32 v90, v90, v94, v93 bitop3:0x80
	v_mad_u32_u24 v93, v92, 36, v148
	v_xor_b32_e32 v91, s20, v91
	v_xor_b32_e32 v94, s21, v97
	s_delay_alu instid0(VALU_DEP_4) | instskip(SKIP_3) | instid1(VALU_DEP_2)
	v_bitop3_b32 v90, v90, v96, v95 bitop3:0x80
	ds_load_b32 v184, v93 offset:1056
	; wave barrier
	v_bitop3_b32 v90, v90, v94, v91 bitop3:0x80
	v_mul_u32_u24_e32 v91, 36, v92
	v_mbcnt_lo_u32_b32 v185, v90, 0
	v_cmp_ne_u32_e64 s15, 0, v90
	s_delay_alu instid0(VALU_DEP_3) | instskip(NEXT) | instid1(VALU_DEP_3)
	v_add_nc_u32_e32 v186, v148, v91
	v_cmp_eq_u32_e32 vcc_lo, 0, v185
	s_and_b32 s16, s15, vcc_lo
	s_delay_alu instid0(SALU_CYCLE_1)
	s_and_saveexec_b32 s15, s16
	s_cbranch_execz .LBB1216_1022
; %bb.1021:                             ;   in Loop: Header=BB1216_974 Depth=2
	s_wait_dscnt 0x0
	v_bcnt_u32_b32 v90, v90, v184
	ds_store_b32 v186, v90 offset:1056
.LBB1216_1022:                          ;   in Loop: Header=BB1216_974 Depth=2
	s_or_b32 exec_lo, exec_lo, s15
	v_cmp_lt_i64_e32 vcc_lo, -1, v[82:83]
	; wave barrier
	v_cndmask_b32_e64 v90, -1, 0x80000000, vcc_lo
	s_delay_alu instid0(VALU_DEP_1) | instskip(NEXT) | instid1(VALU_DEP_1)
	v_dual_ashrrev_i32 v91, 31, v83 :: v_dual_bitop2_b32 v83, v90, v83 bitop3:0x14
	v_xor_b32_e32 v82, v91, v82
	s_delay_alu instid0(VALU_DEP_1) | instskip(SKIP_2) | instid1(VALU_DEP_1)
	v_cmp_ne_u64_e32 vcc_lo, s[42:43], v[82:83]
	v_cndmask_b32_e32 v91, 0x80000000, v83, vcc_lo
	v_cndmask_b32_e32 v90, 0, v82, vcc_lo
	v_lshrrev_b64 v[90:91], s48, v[90:91]
	s_delay_alu instid0(VALU_DEP_1) | instskip(SKIP_1) | instid1(VALU_DEP_2)
	v_bitop3_b32 v91, v90, 1, s55 bitop3:0x80
	v_and_b32_e32 v92, s55, v90
	v_add_co_u32 v90, s15, v91, -1
	s_delay_alu instid0(VALU_DEP_1) | instskip(NEXT) | instid1(VALU_DEP_3)
	v_cndmask_b32_e64 v91, 0, 1, s15
	v_lshlrev_b32_e32 v93, 30, v92
	s_delay_alu instid0(VALU_DEP_2) | instskip(NEXT) | instid1(VALU_DEP_2)
	v_cmp_ne_u32_e32 vcc_lo, 0, v91
	v_not_b32_e32 v91, v93
	v_cmp_gt_i32_e64 s15, 0, v93
	s_delay_alu instid0(VALU_DEP_2) | instskip(SKIP_3) | instid1(VALU_DEP_4)
	v_dual_ashrrev_i32 v91, 31, v91 :: v_dual_lshlrev_b32 v94, 29, v92
	v_dual_lshlrev_b32 v95, 28, v92 :: v_dual_lshlrev_b32 v96, 27, v92
	v_dual_lshlrev_b32 v97, 26, v92 :: v_dual_lshlrev_b32 v187, 25, v92
	v_lshlrev_b32_e32 v188, 24, v92
	v_cmp_gt_i32_e64 s16, 0, v94
	v_not_b32_e32 v93, v94
	v_not_b32_e32 v94, v95
	v_cmp_gt_i32_e64 s17, 0, v95
	v_cmp_gt_i32_e64 s18, 0, v96
	v_not_b32_e32 v95, v96
	v_not_b32_e32 v96, v97
	v_dual_ashrrev_i32 v93, 31, v93 :: v_dual_bitop2_b32 v90, vcc_lo, v90 bitop3:0x14
	v_dual_ashrrev_i32 v94, 31, v94 :: v_dual_bitop2_b32 v91, s15, v91 bitop3:0x14
	v_cmp_gt_i32_e64 s19, 0, v97
	v_cmp_gt_i32_e64 s20, 0, v187
	v_not_b32_e32 v97, v187
	v_not_b32_e32 v187, v188
	v_dual_ashrrev_i32 v95, 31, v95 :: v_dual_ashrrev_i32 v96, 31, v96
	v_xor_b32_e32 v93, s16, v93
	v_xor_b32_e32 v94, s17, v94
	v_bitop3_b32 v90, v90, v91, exec_lo bitop3:0x80
	v_cmp_gt_i32_e64 s21, 0, v188
	v_dual_ashrrev_i32 v91, 31, v97 :: v_dual_ashrrev_i32 v97, 31, v187
	v_xor_b32_e32 v95, s18, v95
	v_xor_b32_e32 v96, s19, v96
	v_bitop3_b32 v90, v90, v94, v93 bitop3:0x80
	v_mad_u32_u24 v93, v92, 36, v148
	v_xor_b32_e32 v91, s20, v91
	v_xor_b32_e32 v94, s21, v97
	s_delay_alu instid0(VALU_DEP_4) | instskip(SKIP_3) | instid1(VALU_DEP_2)
	v_bitop3_b32 v90, v90, v96, v95 bitop3:0x80
	ds_load_b32 v187, v93 offset:1056
	; wave barrier
	v_bitop3_b32 v90, v90, v94, v91 bitop3:0x80
	v_mul_u32_u24_e32 v91, 36, v92
	v_mbcnt_lo_u32_b32 v188, v90, 0
	v_cmp_ne_u32_e64 s15, 0, v90
	s_delay_alu instid0(VALU_DEP_3) | instskip(NEXT) | instid1(VALU_DEP_3)
	v_add_nc_u32_e32 v189, v148, v91
	v_cmp_eq_u32_e32 vcc_lo, 0, v188
	s_and_b32 s16, s15, vcc_lo
	s_delay_alu instid0(SALU_CYCLE_1)
	s_and_saveexec_b32 s15, s16
	s_cbranch_execz .LBB1216_1024
; %bb.1023:                             ;   in Loop: Header=BB1216_974 Depth=2
	s_wait_dscnt 0x0
	v_bcnt_u32_b32 v90, v90, v187
	ds_store_b32 v189, v90 offset:1056
.LBB1216_1024:                          ;   in Loop: Header=BB1216_974 Depth=2
	s_or_b32 exec_lo, exec_lo, s15
	v_cmp_lt_i64_e32 vcc_lo, -1, v[86:87]
	; wave barrier
	v_cndmask_b32_e64 v90, -1, 0x80000000, vcc_lo
	s_delay_alu instid0(VALU_DEP_1) | instskip(NEXT) | instid1(VALU_DEP_1)
	v_dual_ashrrev_i32 v91, 31, v87 :: v_dual_bitop2_b32 v87, v90, v87 bitop3:0x14
	v_xor_b32_e32 v86, v91, v86
	s_delay_alu instid0(VALU_DEP_1) | instskip(SKIP_2) | instid1(VALU_DEP_1)
	v_cmp_ne_u64_e32 vcc_lo, s[42:43], v[86:87]
	v_cndmask_b32_e32 v91, 0x80000000, v87, vcc_lo
	v_cndmask_b32_e32 v90, 0, v86, vcc_lo
	v_lshrrev_b64 v[90:91], s48, v[90:91]
	s_delay_alu instid0(VALU_DEP_1) | instskip(SKIP_1) | instid1(VALU_DEP_2)
	v_bitop3_b32 v91, v90, 1, s55 bitop3:0x80
	v_and_b32_e32 v92, s55, v90
	v_add_co_u32 v90, s15, v91, -1
	s_delay_alu instid0(VALU_DEP_1) | instskip(NEXT) | instid1(VALU_DEP_3)
	v_cndmask_b32_e64 v91, 0, 1, s15
	v_lshlrev_b32_e32 v93, 30, v92
	s_delay_alu instid0(VALU_DEP_2) | instskip(NEXT) | instid1(VALU_DEP_2)
	v_cmp_ne_u32_e32 vcc_lo, 0, v91
	v_not_b32_e32 v91, v93
	v_cmp_gt_i32_e64 s15, 0, v93
	s_delay_alu instid0(VALU_DEP_2) | instskip(SKIP_3) | instid1(VALU_DEP_4)
	v_dual_ashrrev_i32 v91, 31, v91 :: v_dual_lshlrev_b32 v94, 29, v92
	v_dual_lshlrev_b32 v95, 28, v92 :: v_dual_lshlrev_b32 v96, 27, v92
	v_dual_lshlrev_b32 v97, 26, v92 :: v_dual_lshlrev_b32 v190, 25, v92
	v_lshlrev_b32_e32 v191, 24, v92
	v_cmp_gt_i32_e64 s16, 0, v94
	v_not_b32_e32 v93, v94
	v_not_b32_e32 v94, v95
	v_cmp_gt_i32_e64 s17, 0, v95
	v_cmp_gt_i32_e64 s18, 0, v96
	v_not_b32_e32 v95, v96
	v_not_b32_e32 v96, v97
	v_dual_ashrrev_i32 v93, 31, v93 :: v_dual_bitop2_b32 v90, vcc_lo, v90 bitop3:0x14
	v_dual_ashrrev_i32 v94, 31, v94 :: v_dual_bitop2_b32 v91, s15, v91 bitop3:0x14
	v_cmp_gt_i32_e64 s19, 0, v97
	v_cmp_gt_i32_e64 s20, 0, v190
	v_not_b32_e32 v97, v190
	v_not_b32_e32 v190, v191
	v_dual_ashrrev_i32 v95, 31, v95 :: v_dual_ashrrev_i32 v96, 31, v96
	v_xor_b32_e32 v93, s16, v93
	v_xor_b32_e32 v94, s17, v94
	v_bitop3_b32 v90, v90, v91, exec_lo bitop3:0x80
	v_cmp_gt_i32_e64 s21, 0, v191
	v_dual_ashrrev_i32 v91, 31, v97 :: v_dual_ashrrev_i32 v97, 31, v190
	v_xor_b32_e32 v95, s18, v95
	v_xor_b32_e32 v96, s19, v96
	v_bitop3_b32 v90, v90, v94, v93 bitop3:0x80
	v_mad_u32_u24 v93, v92, 36, v148
	v_xor_b32_e32 v91, s20, v91
	v_xor_b32_e32 v94, s21, v97
	s_delay_alu instid0(VALU_DEP_4) | instskip(SKIP_3) | instid1(VALU_DEP_2)
	v_bitop3_b32 v90, v90, v96, v95 bitop3:0x80
	ds_load_b32 v190, v93 offset:1056
	; wave barrier
	v_bitop3_b32 v90, v90, v94, v91 bitop3:0x80
	v_mul_u32_u24_e32 v91, 36, v92
	v_mbcnt_lo_u32_b32 v191, v90, 0
	v_cmp_ne_u32_e64 s15, 0, v90
	s_delay_alu instid0(VALU_DEP_3) | instskip(NEXT) | instid1(VALU_DEP_3)
	v_add_nc_u32_e32 v192, v148, v91
	v_cmp_eq_u32_e32 vcc_lo, 0, v191
	s_and_b32 s16, s15, vcc_lo
	s_delay_alu instid0(SALU_CYCLE_1)
	s_and_saveexec_b32 s15, s16
	s_cbranch_execz .LBB1216_1026
; %bb.1025:                             ;   in Loop: Header=BB1216_974 Depth=2
	s_wait_dscnt 0x0
	v_bcnt_u32_b32 v90, v90, v190
	ds_store_b32 v192, v90 offset:1056
.LBB1216_1026:                          ;   in Loop: Header=BB1216_974 Depth=2
	s_or_b32 exec_lo, exec_lo, s15
	v_cmp_lt_i64_e32 vcc_lo, -1, v[88:89]
	; wave barrier
	v_cndmask_b32_e64 v91, -1, 0x80000000, vcc_lo
	s_delay_alu instid0(VALU_DEP_1) | instskip(NEXT) | instid1(VALU_DEP_1)
	v_dual_ashrrev_i32 v90, 31, v89 :: v_dual_bitop2_b32 v89, v91, v89 bitop3:0x14
	v_xor_b32_e32 v88, v90, v88
	s_delay_alu instid0(VALU_DEP_1) | instskip(SKIP_2) | instid1(VALU_DEP_1)
	v_cmp_ne_u64_e32 vcc_lo, s[42:43], v[88:89]
	v_cndmask_b32_e32 v91, 0x80000000, v89, vcc_lo
	v_cndmask_b32_e32 v90, 0, v88, vcc_lo
	v_lshrrev_b64 v[90:91], s48, v[90:91]
	s_delay_alu instid0(VALU_DEP_1) | instskip(SKIP_1) | instid1(VALU_DEP_2)
	v_and_b32_e32 v92, s55, v90
	v_bitop3_b32 v91, v90, 1, s55 bitop3:0x80
	v_lshlrev_b32_e32 v95, 27, v92
	s_delay_alu instid0(VALU_DEP_2) | instskip(NEXT) | instid1(VALU_DEP_1)
	v_add_co_u32 v90, s15, v91, -1
	v_cndmask_b32_e64 v194, 0, 1, s15
	s_delay_alu instid0(VALU_DEP_3) | instskip(SKIP_1) | instid1(VALU_DEP_3)
	v_cmp_gt_i32_e64 s17, 0, v95
	v_not_b32_e32 v95, v95
	v_cmp_ne_u32_e64 s21, 0, v194
	s_delay_alu instid0(VALU_DEP_2) | instskip(SKIP_3) | instid1(VALU_DEP_4)
	v_dual_ashrrev_i32 v95, 31, v95 :: v_dual_lshlrev_b32 v91, 30, v92
	v_dual_lshlrev_b32 v93, 29, v92 :: v_dual_lshlrev_b32 v94, 28, v92
	v_dual_lshlrev_b32 v96, 26, v92 :: v_dual_lshlrev_b32 v97, 25, v92
	v_lshlrev_b32_e32 v193, 24, v92
	v_cmp_gt_i32_e32 vcc_lo, 0, v91
	v_not_b32_e32 v91, v91
	v_cmp_gt_i32_e64 s15, 0, v93
	v_not_b32_e32 v93, v93
	v_cmp_gt_i32_e64 s16, 0, v94
	v_not_b32_e32 v94, v94
	v_ashrrev_i32_e32 v91, 31, v91
	v_cmp_gt_i32_e64 s18, 0, v96
	v_not_b32_e32 v96, v96
	s_delay_alu instid0(VALU_DEP_4) | instskip(NEXT) | instid1(VALU_DEP_4)
	v_dual_ashrrev_i32 v93, 31, v93 :: v_dual_ashrrev_i32 v94, 31, v94
	v_xor_b32_e32 v91, vcc_lo, v91
	s_delay_alu instid0(VALU_DEP_3)
	v_dual_ashrrev_i32 v96, 31, v96 :: v_dual_bitop2_b32 v90, s21, v90 bitop3:0x14
	v_cmp_gt_i32_e64 s19, 0, v97
	v_not_b32_e32 v97, v97
	v_cmp_gt_i32_e64 s20, 0, v193
	v_not_b32_e32 v193, v193
	v_xor_b32_e32 v93, s15, v93
	v_xor_b32_e32 v94, s16, v94
	v_bitop3_b32 v90, v90, v91, exec_lo bitop3:0x80
	v_ashrrev_i32_e32 v91, 31, v97
	v_dual_ashrrev_i32 v97, 31, v193 :: v_dual_bitop2_b32 v95, s17, v95 bitop3:0x14
	v_xor_b32_e32 v96, s18, v96
	s_delay_alu instid0(VALU_DEP_4) | instskip(SKIP_3) | instid1(VALU_DEP_4)
	v_bitop3_b32 v90, v90, v94, v93 bitop3:0x80
	v_mad_u32_u24 v93, v92, 36, v148
	v_xor_b32_e32 v91, s19, v91
	v_xor_b32_e32 v94, s20, v97
	v_bitop3_b32 v90, v90, v96, v95 bitop3:0x80
	ds_load_b32 v193, v93 offset:1056
	; wave barrier
	v_bitop3_b32 v90, v90, v94, v91 bitop3:0x80
	v_mul_u32_u24_e32 v91, 36, v92
	s_delay_alu instid0(VALU_DEP_2) | instskip(SKIP_1) | instid1(VALU_DEP_3)
	v_mbcnt_lo_u32_b32 v194, v90, 0
	v_cmp_ne_u32_e64 s15, 0, v90
	v_add_nc_u32_e32 v195, v148, v91
	s_delay_alu instid0(VALU_DEP_3) | instskip(SKIP_1) | instid1(SALU_CYCLE_1)
	v_cmp_eq_u32_e32 vcc_lo, 0, v194
	s_and_b32 s16, s15, vcc_lo
	s_and_saveexec_b32 s15, s16
	s_cbranch_execz .LBB1216_1028
; %bb.1027:                             ;   in Loop: Header=BB1216_974 Depth=2
	s_wait_dscnt 0x0
	v_bcnt_u32_b32 v90, v90, v193
	ds_store_b32 v195, v90 offset:1056
.LBB1216_1028:                          ;   in Loop: Header=BB1216_974 Depth=2
	s_or_b32 exec_lo, exec_lo, s15
	v_cmp_lt_i64_e32 vcc_lo, -1, v[84:85]
	; wave barrier
	v_cndmask_b32_e64 v90, -1, 0x80000000, vcc_lo
	s_delay_alu instid0(VALU_DEP_1) | instskip(NEXT) | instid1(VALU_DEP_1)
	v_dual_ashrrev_i32 v91, 31, v85 :: v_dual_bitop2_b32 v85, v90, v85 bitop3:0x14
	v_xor_b32_e32 v84, v91, v84
	s_delay_alu instid0(VALU_DEP_1) | instskip(SKIP_2) | instid1(VALU_DEP_1)
	v_cmp_ne_u64_e32 vcc_lo, s[42:43], v[84:85]
	v_cndmask_b32_e32 v91, 0x80000000, v85, vcc_lo
	v_cndmask_b32_e32 v90, 0, v84, vcc_lo
	v_lshrrev_b64 v[90:91], s48, v[90:91]
	s_delay_alu instid0(VALU_DEP_1) | instskip(SKIP_1) | instid1(VALU_DEP_2)
	v_bitop3_b32 v91, v90, 1, s55 bitop3:0x80
	v_and_b32_e32 v92, s55, v90
	v_add_co_u32 v90, s15, v91, -1
	s_delay_alu instid0(VALU_DEP_1) | instskip(NEXT) | instid1(VALU_DEP_3)
	v_cndmask_b32_e64 v91, 0, 1, s15
	v_dual_lshlrev_b32 v93, 30, v92 :: v_dual_lshlrev_b32 v95, 28, v92
	v_dual_lshlrev_b32 v94, 29, v92 :: v_dual_lshlrev_b32 v96, 27, v92
	s_delay_alu instid0(VALU_DEP_3) | instskip(NEXT) | instid1(VALU_DEP_3)
	v_cmp_ne_u32_e32 vcc_lo, 0, v91
	v_cmp_gt_i32_e64 s15, 0, v93
	v_not_b32_e32 v91, v93
	s_delay_alu instid0(VALU_DEP_4) | instskip(SKIP_4) | instid1(VALU_DEP_4)
	v_cmp_gt_i32_e64 s16, 0, v94
	v_not_b32_e32 v93, v94
	v_cmp_gt_i32_e64 s17, 0, v95
	v_not_b32_e32 v94, v95
	v_not_b32_e32 v95, v96
	v_dual_ashrrev_i32 v91, 31, v91 :: v_dual_ashrrev_i32 v93, 31, v93
	s_delay_alu instid0(VALU_DEP_2) | instskip(SKIP_4) | instid1(VALU_DEP_4)
	v_dual_ashrrev_i32 v94, 31, v94 :: v_dual_ashrrev_i32 v95, 31, v95
	v_dual_lshlrev_b32 v97, 26, v92 :: v_dual_lshlrev_b32 v196, 25, v92
	v_lshlrev_b32_e32 v197, 24, v92
	v_cmp_gt_i32_e64 s18, 0, v96
	v_xor_b32_e32 v91, s15, v91
	v_not_b32_e32 v96, v97
	v_xor_b32_e32 v90, vcc_lo, v90
	v_cmp_gt_i32_e64 s19, 0, v97
	v_cmp_gt_i32_e64 s20, 0, v196
	v_not_b32_e32 v97, v196
	v_not_b32_e32 v196, v197
	v_dual_ashrrev_i32 v96, 31, v96 :: v_dual_bitop2_b32 v93, s16, v93 bitop3:0x14
	v_xor_b32_e32 v94, s17, v94
	v_bitop3_b32 v90, v90, v91, exec_lo bitop3:0x80
	v_cmp_gt_i32_e64 s21, 0, v197
	v_dual_ashrrev_i32 v91, 31, v97 :: v_dual_ashrrev_i32 v97, 31, v196
	v_xor_b32_e32 v95, s18, v95
	v_xor_b32_e32 v96, s19, v96
	v_bitop3_b32 v90, v90, v94, v93 bitop3:0x80
	v_mad_u32_u24 v93, v92, 36, v148
	v_xor_b32_e32 v91, s20, v91
	v_xor_b32_e32 v94, s21, v97
	s_delay_alu instid0(VALU_DEP_4) | instskip(SKIP_3) | instid1(VALU_DEP_2)
	v_bitop3_b32 v90, v90, v96, v95 bitop3:0x80
	ds_load_b32 v196, v93 offset:1056
	; wave barrier
	v_bitop3_b32 v90, v90, v94, v91 bitop3:0x80
	v_mul_u32_u24_e32 v91, 36, v92
	v_mbcnt_lo_u32_b32 v197, v90, 0
	v_cmp_ne_u32_e64 s15, 0, v90
	s_delay_alu instid0(VALU_DEP_3) | instskip(NEXT) | instid1(VALU_DEP_3)
	v_add_nc_u32_e32 v198, v148, v91
	v_cmp_eq_u32_e32 vcc_lo, 0, v197
	s_and_b32 s16, s15, vcc_lo
	s_delay_alu instid0(SALU_CYCLE_1)
	s_and_saveexec_b32 s15, s16
	s_cbranch_execz .LBB1216_1030
; %bb.1029:                             ;   in Loop: Header=BB1216_974 Depth=2
	s_wait_dscnt 0x0
	v_bcnt_u32_b32 v90, v90, v196
	ds_store_b32 v198, v90 offset:1056
.LBB1216_1030:                          ;   in Loop: Header=BB1216_974 Depth=2
	s_or_b32 exec_lo, exec_lo, s15
	v_cmp_lt_i64_e32 vcc_lo, -1, v[80:81]
	; wave barrier
	v_cndmask_b32_e64 v90, -1, 0x80000000, vcc_lo
	s_delay_alu instid0(VALU_DEP_1) | instskip(NEXT) | instid1(VALU_DEP_1)
	v_dual_ashrrev_i32 v91, 31, v81 :: v_dual_bitop2_b32 v81, v90, v81 bitop3:0x14
	v_xor_b32_e32 v80, v91, v80
	s_delay_alu instid0(VALU_DEP_1) | instskip(SKIP_2) | instid1(VALU_DEP_1)
	v_cmp_ne_u64_e32 vcc_lo, s[42:43], v[80:81]
	v_cndmask_b32_e32 v91, 0x80000000, v81, vcc_lo
	v_cndmask_b32_e32 v90, 0, v80, vcc_lo
	v_lshrrev_b64 v[90:91], s48, v[90:91]
	s_delay_alu instid0(VALU_DEP_1) | instskip(SKIP_1) | instid1(VALU_DEP_2)
	v_bitop3_b32 v91, v90, 1, s55 bitop3:0x80
	v_and_b32_e32 v92, s55, v90
	v_add_co_u32 v90, s15, v91, -1
	s_delay_alu instid0(VALU_DEP_1) | instskip(NEXT) | instid1(VALU_DEP_3)
	v_cndmask_b32_e64 v91, 0, 1, s15
	v_dual_lshlrev_b32 v93, 30, v92 :: v_dual_lshlrev_b32 v95, 28, v92
	v_dual_lshlrev_b32 v94, 29, v92 :: v_dual_lshlrev_b32 v96, 27, v92
	s_delay_alu instid0(VALU_DEP_3) | instskip(NEXT) | instid1(VALU_DEP_3)
	v_cmp_ne_u32_e32 vcc_lo, 0, v91
	v_cmp_gt_i32_e64 s15, 0, v93
	v_not_b32_e32 v91, v93
	s_delay_alu instid0(VALU_DEP_4) | instskip(SKIP_4) | instid1(VALU_DEP_4)
	v_cmp_gt_i32_e64 s16, 0, v94
	v_not_b32_e32 v93, v94
	v_cmp_gt_i32_e64 s17, 0, v95
	v_not_b32_e32 v94, v95
	v_not_b32_e32 v95, v96
	v_dual_ashrrev_i32 v91, 31, v91 :: v_dual_ashrrev_i32 v93, 31, v93
	s_delay_alu instid0(VALU_DEP_2) | instskip(SKIP_4) | instid1(VALU_DEP_4)
	v_dual_ashrrev_i32 v94, 31, v94 :: v_dual_ashrrev_i32 v95, 31, v95
	v_dual_lshlrev_b32 v97, 26, v92 :: v_dual_lshlrev_b32 v199, 25, v92
	v_lshlrev_b32_e32 v200, 24, v92
	v_cmp_gt_i32_e64 s18, 0, v96
	v_xor_b32_e32 v91, s15, v91
	v_not_b32_e32 v96, v97
	v_xor_b32_e32 v90, vcc_lo, v90
	v_cmp_gt_i32_e64 s19, 0, v97
	v_cmp_gt_i32_e64 s20, 0, v199
	v_not_b32_e32 v97, v199
	v_not_b32_e32 v199, v200
	v_dual_ashrrev_i32 v96, 31, v96 :: v_dual_bitop2_b32 v93, s16, v93 bitop3:0x14
	v_xor_b32_e32 v94, s17, v94
	v_bitop3_b32 v90, v90, v91, exec_lo bitop3:0x80
	v_cmp_gt_i32_e64 s21, 0, v200
	v_dual_ashrrev_i32 v91, 31, v97 :: v_dual_ashrrev_i32 v97, 31, v199
	v_xor_b32_e32 v95, s18, v95
	v_xor_b32_e32 v96, s19, v96
	v_bitop3_b32 v90, v90, v94, v93 bitop3:0x80
	v_mad_u32_u24 v93, v92, 36, v148
	v_xor_b32_e32 v91, s20, v91
	v_xor_b32_e32 v94, s21, v97
	s_delay_alu instid0(VALU_DEP_4) | instskip(SKIP_3) | instid1(VALU_DEP_2)
	v_bitop3_b32 v90, v90, v96, v95 bitop3:0x80
	ds_load_b32 v199, v93 offset:1056
	; wave barrier
	v_bitop3_b32 v90, v90, v94, v91 bitop3:0x80
	v_mul_u32_u24_e32 v91, 36, v92
	v_mbcnt_lo_u32_b32 v200, v90, 0
	v_cmp_ne_u32_e64 s15, 0, v90
	s_delay_alu instid0(VALU_DEP_3) | instskip(NEXT) | instid1(VALU_DEP_3)
	v_add_nc_u32_e32 v201, v148, v91
	v_cmp_eq_u32_e32 vcc_lo, 0, v200
	s_and_b32 s16, s15, vcc_lo
	s_delay_alu instid0(SALU_CYCLE_1)
	s_and_saveexec_b32 s15, s16
	s_cbranch_execz .LBB1216_1032
; %bb.1031:                             ;   in Loop: Header=BB1216_974 Depth=2
	s_wait_dscnt 0x0
	v_bcnt_u32_b32 v90, v90, v199
	ds_store_b32 v201, v90 offset:1056
.LBB1216_1032:                          ;   in Loop: Header=BB1216_974 Depth=2
	s_or_b32 exec_lo, exec_lo, s15
	v_cmp_lt_i64_e32 vcc_lo, -1, v[76:77]
	; wave barrier
	v_cndmask_b32_e64 v90, -1, 0x80000000, vcc_lo
	s_delay_alu instid0(VALU_DEP_1) | instskip(NEXT) | instid1(VALU_DEP_1)
	v_dual_ashrrev_i32 v91, 31, v77 :: v_dual_bitop2_b32 v77, v90, v77 bitop3:0x14
	v_xor_b32_e32 v76, v91, v76
	s_delay_alu instid0(VALU_DEP_1) | instskip(SKIP_2) | instid1(VALU_DEP_1)
	v_cmp_ne_u64_e32 vcc_lo, s[42:43], v[76:77]
	v_cndmask_b32_e32 v91, 0x80000000, v77, vcc_lo
	v_cndmask_b32_e32 v90, 0, v76, vcc_lo
	v_lshrrev_b64 v[90:91], s48, v[90:91]
	s_delay_alu instid0(VALU_DEP_1) | instskip(SKIP_1) | instid1(VALU_DEP_2)
	v_bitop3_b32 v91, v90, 1, s55 bitop3:0x80
	v_and_b32_e32 v92, s55, v90
	v_add_co_u32 v90, s15, v91, -1
	s_delay_alu instid0(VALU_DEP_1) | instskip(NEXT) | instid1(VALU_DEP_3)
	v_cndmask_b32_e64 v91, 0, 1, s15
	v_dual_lshlrev_b32 v93, 30, v92 :: v_dual_lshlrev_b32 v95, 28, v92
	v_dual_lshlrev_b32 v94, 29, v92 :: v_dual_lshlrev_b32 v96, 27, v92
	s_delay_alu instid0(VALU_DEP_3) | instskip(NEXT) | instid1(VALU_DEP_3)
	v_cmp_ne_u32_e32 vcc_lo, 0, v91
	v_cmp_gt_i32_e64 s15, 0, v93
	v_not_b32_e32 v91, v93
	s_delay_alu instid0(VALU_DEP_4) | instskip(SKIP_4) | instid1(VALU_DEP_4)
	v_cmp_gt_i32_e64 s16, 0, v94
	v_not_b32_e32 v93, v94
	v_cmp_gt_i32_e64 s17, 0, v95
	v_not_b32_e32 v94, v95
	v_not_b32_e32 v95, v96
	v_dual_ashrrev_i32 v91, 31, v91 :: v_dual_ashrrev_i32 v93, 31, v93
	s_delay_alu instid0(VALU_DEP_2) | instskip(SKIP_4) | instid1(VALU_DEP_4)
	v_dual_ashrrev_i32 v94, 31, v94 :: v_dual_ashrrev_i32 v95, 31, v95
	v_dual_lshlrev_b32 v97, 26, v92 :: v_dual_lshlrev_b32 v202, 25, v92
	v_lshlrev_b32_e32 v203, 24, v92
	v_cmp_gt_i32_e64 s18, 0, v96
	v_xor_b32_e32 v91, s15, v91
	v_not_b32_e32 v96, v97
	v_xor_b32_e32 v90, vcc_lo, v90
	v_cmp_gt_i32_e64 s19, 0, v97
	v_cmp_gt_i32_e64 s20, 0, v202
	v_not_b32_e32 v97, v202
	v_not_b32_e32 v202, v203
	v_dual_ashrrev_i32 v96, 31, v96 :: v_dual_bitop2_b32 v93, s16, v93 bitop3:0x14
	v_xor_b32_e32 v94, s17, v94
	v_bitop3_b32 v90, v90, v91, exec_lo bitop3:0x80
	v_cmp_gt_i32_e64 s21, 0, v203
	v_dual_ashrrev_i32 v91, 31, v97 :: v_dual_ashrrev_i32 v97, 31, v202
	v_xor_b32_e32 v95, s18, v95
	v_xor_b32_e32 v96, s19, v96
	v_bitop3_b32 v90, v90, v94, v93 bitop3:0x80
	v_mad_u32_u24 v93, v92, 36, v148
	v_xor_b32_e32 v91, s20, v91
	v_xor_b32_e32 v94, s21, v97
	s_delay_alu instid0(VALU_DEP_4) | instskip(SKIP_3) | instid1(VALU_DEP_2)
	v_bitop3_b32 v90, v90, v96, v95 bitop3:0x80
	ds_load_b32 v202, v93 offset:1056
	; wave barrier
	v_bitop3_b32 v90, v90, v94, v91 bitop3:0x80
	v_mul_u32_u24_e32 v91, 36, v92
	v_mbcnt_lo_u32_b32 v203, v90, 0
	v_cmp_ne_u32_e64 s15, 0, v90
	s_delay_alu instid0(VALU_DEP_3) | instskip(NEXT) | instid1(VALU_DEP_3)
	v_add_nc_u32_e32 v204, v148, v91
	v_cmp_eq_u32_e32 vcc_lo, 0, v203
	s_and_b32 s16, s15, vcc_lo
	s_delay_alu instid0(SALU_CYCLE_1)
	s_and_saveexec_b32 s15, s16
	s_cbranch_execz .LBB1216_1034
; %bb.1033:                             ;   in Loop: Header=BB1216_974 Depth=2
	s_wait_dscnt 0x0
	v_bcnt_u32_b32 v90, v90, v202
	ds_store_b32 v204, v90 offset:1056
.LBB1216_1034:                          ;   in Loop: Header=BB1216_974 Depth=2
	s_or_b32 exec_lo, exec_lo, s15
	v_cmp_lt_i64_e32 vcc_lo, -1, v[72:73]
	; wave barrier
	v_cndmask_b32_e64 v90, -1, 0x80000000, vcc_lo
	s_delay_alu instid0(VALU_DEP_1) | instskip(NEXT) | instid1(VALU_DEP_1)
	v_dual_ashrrev_i32 v91, 31, v73 :: v_dual_bitop2_b32 v73, v90, v73 bitop3:0x14
	v_xor_b32_e32 v72, v91, v72
	s_delay_alu instid0(VALU_DEP_1) | instskip(SKIP_2) | instid1(VALU_DEP_1)
	v_cmp_ne_u64_e32 vcc_lo, s[42:43], v[72:73]
	v_cndmask_b32_e32 v91, 0x80000000, v73, vcc_lo
	v_cndmask_b32_e32 v90, 0, v72, vcc_lo
	v_lshrrev_b64 v[90:91], s48, v[90:91]
	s_delay_alu instid0(VALU_DEP_1) | instskip(SKIP_1) | instid1(VALU_DEP_2)
	v_bitop3_b32 v91, v90, 1, s55 bitop3:0x80
	v_and_b32_e32 v92, s55, v90
	v_add_co_u32 v90, s15, v91, -1
	s_delay_alu instid0(VALU_DEP_1) | instskip(NEXT) | instid1(VALU_DEP_3)
	v_cndmask_b32_e64 v91, 0, 1, s15
	v_dual_lshlrev_b32 v93, 30, v92 :: v_dual_lshlrev_b32 v95, 28, v92
	v_dual_lshlrev_b32 v94, 29, v92 :: v_dual_lshlrev_b32 v96, 27, v92
	s_delay_alu instid0(VALU_DEP_3) | instskip(NEXT) | instid1(VALU_DEP_3)
	v_cmp_ne_u32_e32 vcc_lo, 0, v91
	v_cmp_gt_i32_e64 s15, 0, v93
	v_not_b32_e32 v91, v93
	s_delay_alu instid0(VALU_DEP_4) | instskip(SKIP_4) | instid1(VALU_DEP_4)
	v_cmp_gt_i32_e64 s16, 0, v94
	v_not_b32_e32 v93, v94
	v_cmp_gt_i32_e64 s17, 0, v95
	v_not_b32_e32 v94, v95
	v_not_b32_e32 v95, v96
	v_dual_ashrrev_i32 v91, 31, v91 :: v_dual_ashrrev_i32 v93, 31, v93
	s_delay_alu instid0(VALU_DEP_2) | instskip(SKIP_4) | instid1(VALU_DEP_4)
	v_dual_ashrrev_i32 v94, 31, v94 :: v_dual_ashrrev_i32 v95, 31, v95
	v_dual_lshlrev_b32 v97, 26, v92 :: v_dual_lshlrev_b32 v205, 25, v92
	v_lshlrev_b32_e32 v206, 24, v92
	v_cmp_gt_i32_e64 s18, 0, v96
	v_xor_b32_e32 v91, s15, v91
	v_not_b32_e32 v96, v97
	v_xor_b32_e32 v90, vcc_lo, v90
	v_cmp_gt_i32_e64 s19, 0, v97
	v_cmp_gt_i32_e64 s20, 0, v205
	v_not_b32_e32 v97, v205
	v_not_b32_e32 v205, v206
	v_dual_ashrrev_i32 v96, 31, v96 :: v_dual_bitop2_b32 v93, s16, v93 bitop3:0x14
	v_xor_b32_e32 v94, s17, v94
	v_bitop3_b32 v90, v90, v91, exec_lo bitop3:0x80
	v_cmp_gt_i32_e64 s21, 0, v206
	v_ashrrev_i32_e32 v91, 31, v97
	v_dual_ashrrev_i32 v97, 31, v205 :: v_dual_bitop2_b32 v95, s18, v95 bitop3:0x14
	v_xor_b32_e32 v96, s19, v96
	v_bitop3_b32 v90, v90, v94, v93 bitop3:0x80
	v_mad_u32_u24 v93, v92, 36, v148
	v_xor_b32_e32 v91, s20, v91
	v_xor_b32_e32 v94, s21, v97
	s_delay_alu instid0(VALU_DEP_4) | instskip(SKIP_3) | instid1(VALU_DEP_2)
	v_bitop3_b32 v90, v90, v96, v95 bitop3:0x80
	ds_load_b32 v205, v93 offset:1056
	; wave barrier
	v_bitop3_b32 v90, v90, v94, v91 bitop3:0x80
	v_mul_u32_u24_e32 v91, 36, v92
	v_mbcnt_lo_u32_b32 v206, v90, 0
	v_cmp_ne_u32_e64 s15, 0, v90
	s_delay_alu instid0(VALU_DEP_3) | instskip(NEXT) | instid1(VALU_DEP_3)
	v_add_nc_u32_e32 v208, v148, v91
	v_cmp_eq_u32_e32 vcc_lo, 0, v206
	s_and_b32 s16, s15, vcc_lo
	s_delay_alu instid0(SALU_CYCLE_1)
	s_and_saveexec_b32 s15, s16
	s_cbranch_execz .LBB1216_1036
; %bb.1035:                             ;   in Loop: Header=BB1216_974 Depth=2
	s_wait_dscnt 0x0
	v_bcnt_u32_b32 v90, v90, v205
	ds_store_b32 v208, v90 offset:1056
.LBB1216_1036:                          ;   in Loop: Header=BB1216_974 Depth=2
	s_or_b32 exec_lo, exec_lo, s15
	v_cmp_lt_i64_e32 vcc_lo, -1, v[68:69]
	; wave barrier
	v_cndmask_b32_e64 v90, -1, 0x80000000, vcc_lo
	s_delay_alu instid0(VALU_DEP_1) | instskip(NEXT) | instid1(VALU_DEP_1)
	v_dual_ashrrev_i32 v91, 31, v69 :: v_dual_bitop2_b32 v69, v90, v69 bitop3:0x14
	v_xor_b32_e32 v68, v91, v68
	s_delay_alu instid0(VALU_DEP_1) | instskip(SKIP_2) | instid1(VALU_DEP_1)
	v_cmp_ne_u64_e32 vcc_lo, s[42:43], v[68:69]
	v_cndmask_b32_e32 v91, 0x80000000, v69, vcc_lo
	v_cndmask_b32_e32 v90, 0, v68, vcc_lo
	v_lshrrev_b64 v[90:91], s48, v[90:91]
	s_delay_alu instid0(VALU_DEP_1) | instskip(SKIP_1) | instid1(VALU_DEP_2)
	v_bitop3_b32 v91, v90, 1, s55 bitop3:0x80
	v_and_b32_e32 v92, s55, v90
	v_add_co_u32 v90, s15, v91, -1
	s_delay_alu instid0(VALU_DEP_1) | instskip(NEXT) | instid1(VALU_DEP_3)
	v_cndmask_b32_e64 v91, 0, 1, s15
	v_dual_lshlrev_b32 v93, 30, v92 :: v_dual_lshlrev_b32 v95, 28, v92
	v_dual_lshlrev_b32 v94, 29, v92 :: v_dual_lshlrev_b32 v96, 27, v92
	s_delay_alu instid0(VALU_DEP_3) | instskip(NEXT) | instid1(VALU_DEP_3)
	v_cmp_ne_u32_e32 vcc_lo, 0, v91
	v_cmp_gt_i32_e64 s15, 0, v93
	v_not_b32_e32 v91, v93
	s_delay_alu instid0(VALU_DEP_4) | instskip(SKIP_4) | instid1(VALU_DEP_4)
	v_cmp_gt_i32_e64 s16, 0, v94
	v_not_b32_e32 v93, v94
	v_cmp_gt_i32_e64 s17, 0, v95
	v_not_b32_e32 v94, v95
	v_not_b32_e32 v95, v96
	v_dual_ashrrev_i32 v91, 31, v91 :: v_dual_ashrrev_i32 v93, 31, v93
	s_delay_alu instid0(VALU_DEP_2) | instskip(SKIP_4) | instid1(VALU_DEP_4)
	v_dual_ashrrev_i32 v94, 31, v94 :: v_dual_ashrrev_i32 v95, 31, v95
	v_dual_lshlrev_b32 v97, 26, v92 :: v_dual_lshlrev_b32 v207, 25, v92
	v_lshlrev_b32_e32 v209, 24, v92
	v_cmp_gt_i32_e64 s18, 0, v96
	v_xor_b32_e32 v91, s15, v91
	v_not_b32_e32 v96, v97
	v_xor_b32_e32 v90, vcc_lo, v90
	v_cmp_gt_i32_e64 s19, 0, v97
	v_cmp_gt_i32_e64 s20, 0, v207
	v_not_b32_e32 v97, v207
	v_not_b32_e32 v207, v209
	v_dual_ashrrev_i32 v96, 31, v96 :: v_dual_bitop2_b32 v93, s16, v93 bitop3:0x14
	v_xor_b32_e32 v94, s17, v94
	v_bitop3_b32 v90, v90, v91, exec_lo bitop3:0x80
	v_cmp_gt_i32_e64 s21, 0, v209
	v_dual_ashrrev_i32 v91, 31, v97 :: v_dual_ashrrev_i32 v97, 31, v207
	v_xor_b32_e32 v95, s18, v95
	v_xor_b32_e32 v96, s19, v96
	v_bitop3_b32 v90, v90, v94, v93 bitop3:0x80
	v_mad_u32_u24 v93, v92, 36, v148
	v_xor_b32_e32 v91, s20, v91
	v_xor_b32_e32 v94, s21, v97
	s_delay_alu instid0(VALU_DEP_4) | instskip(SKIP_3) | instid1(VALU_DEP_2)
	v_bitop3_b32 v90, v90, v96, v95 bitop3:0x80
	ds_load_b32 v207, v93 offset:1056
	; wave barrier
	v_bitop3_b32 v90, v90, v94, v91 bitop3:0x80
	v_mul_u32_u24_e32 v91, 36, v92
	v_mbcnt_lo_u32_b32 v209, v90, 0
	v_cmp_ne_u32_e64 s15, 0, v90
	s_delay_alu instid0(VALU_DEP_3) | instskip(NEXT) | instid1(VALU_DEP_3)
	v_add_nc_u32_e32 v212, v148, v91
	v_cmp_eq_u32_e32 vcc_lo, 0, v209
	s_and_b32 s16, s15, vcc_lo
	s_delay_alu instid0(SALU_CYCLE_1)
	s_and_saveexec_b32 s15, s16
	s_cbranch_execz .LBB1216_1038
; %bb.1037:                             ;   in Loop: Header=BB1216_974 Depth=2
	s_wait_dscnt 0x0
	v_bcnt_u32_b32 v90, v90, v207
	ds_store_b32 v212, v90 offset:1056
.LBB1216_1038:                          ;   in Loop: Header=BB1216_974 Depth=2
	s_or_b32 exec_lo, exec_lo, s15
	v_cmp_lt_i64_e32 vcc_lo, -1, v[64:65]
	; wave barrier
	v_cndmask_b32_e64 v90, -1, 0x80000000, vcc_lo
	s_delay_alu instid0(VALU_DEP_1) | instskip(NEXT) | instid1(VALU_DEP_1)
	v_dual_ashrrev_i32 v91, 31, v65 :: v_dual_bitop2_b32 v65, v90, v65 bitop3:0x14
	v_xor_b32_e32 v64, v91, v64
	s_delay_alu instid0(VALU_DEP_1) | instskip(SKIP_2) | instid1(VALU_DEP_1)
	v_cmp_ne_u64_e32 vcc_lo, s[42:43], v[64:65]
	v_cndmask_b32_e32 v91, 0x80000000, v65, vcc_lo
	v_cndmask_b32_e32 v90, 0, v64, vcc_lo
	v_lshrrev_b64 v[90:91], s48, v[90:91]
	s_delay_alu instid0(VALU_DEP_1) | instskip(SKIP_1) | instid1(VALU_DEP_2)
	v_bitop3_b32 v91, v90, 1, s55 bitop3:0x80
	v_and_b32_e32 v92, s55, v90
	v_add_co_u32 v90, s15, v91, -1
	s_delay_alu instid0(VALU_DEP_1) | instskip(NEXT) | instid1(VALU_DEP_3)
	v_cndmask_b32_e64 v91, 0, 1, s15
	v_dual_lshlrev_b32 v93, 30, v92 :: v_dual_lshlrev_b32 v95, 28, v92
	v_dual_lshlrev_b32 v94, 29, v92 :: v_dual_lshlrev_b32 v96, 27, v92
	s_delay_alu instid0(VALU_DEP_3) | instskip(NEXT) | instid1(VALU_DEP_3)
	v_cmp_ne_u32_e32 vcc_lo, 0, v91
	v_cmp_gt_i32_e64 s15, 0, v93
	v_not_b32_e32 v91, v93
	s_delay_alu instid0(VALU_DEP_4) | instskip(SKIP_4) | instid1(VALU_DEP_4)
	v_cmp_gt_i32_e64 s16, 0, v94
	v_not_b32_e32 v93, v94
	v_cmp_gt_i32_e64 s17, 0, v95
	v_not_b32_e32 v94, v95
	v_not_b32_e32 v95, v96
	v_dual_ashrrev_i32 v91, 31, v91 :: v_dual_ashrrev_i32 v93, 31, v93
	s_delay_alu instid0(VALU_DEP_2) | instskip(SKIP_4) | instid1(VALU_DEP_4)
	v_dual_ashrrev_i32 v94, 31, v94 :: v_dual_ashrrev_i32 v95, 31, v95
	v_dual_lshlrev_b32 v97, 26, v92 :: v_dual_lshlrev_b32 v210, 25, v92
	v_lshlrev_b32_e32 v211, 24, v92
	v_cmp_gt_i32_e64 s18, 0, v96
	v_xor_b32_e32 v91, s15, v91
	v_not_b32_e32 v96, v97
	v_xor_b32_e32 v90, vcc_lo, v90
	v_cmp_gt_i32_e64 s19, 0, v97
	v_cmp_gt_i32_e64 s20, 0, v210
	v_not_b32_e32 v97, v210
	v_not_b32_e32 v210, v211
	v_dual_ashrrev_i32 v96, 31, v96 :: v_dual_bitop2_b32 v93, s16, v93 bitop3:0x14
	v_xor_b32_e32 v94, s17, v94
	v_bitop3_b32 v90, v90, v91, exec_lo bitop3:0x80
	v_cmp_gt_i32_e64 s21, 0, v211
	v_dual_ashrrev_i32 v91, 31, v97 :: v_dual_ashrrev_i32 v97, 31, v210
	v_xor_b32_e32 v95, s18, v95
	v_xor_b32_e32 v96, s19, v96
	v_bitop3_b32 v90, v90, v94, v93 bitop3:0x80
	v_mad_u32_u24 v93, v92, 36, v148
	v_xor_b32_e32 v91, s20, v91
	v_xor_b32_e32 v94, s21, v97
	s_delay_alu instid0(VALU_DEP_4) | instskip(SKIP_3) | instid1(VALU_DEP_2)
	v_bitop3_b32 v90, v90, v96, v95 bitop3:0x80
	ds_load_b32 v210, v93 offset:1056
	; wave barrier
	v_bitop3_b32 v90, v90, v94, v91 bitop3:0x80
	v_mul_u32_u24_e32 v91, 36, v92
	v_mbcnt_lo_u32_b32 v211, v90, 0
	v_cmp_ne_u32_e64 s15, 0, v90
	s_delay_alu instid0(VALU_DEP_3) | instskip(NEXT) | instid1(VALU_DEP_3)
	v_add_nc_u32_e32 v215, v148, v91
	v_cmp_eq_u32_e32 vcc_lo, 0, v211
	s_and_b32 s16, s15, vcc_lo
	s_delay_alu instid0(SALU_CYCLE_1)
	s_and_saveexec_b32 s15, s16
	s_cbranch_execz .LBB1216_1040
; %bb.1039:                             ;   in Loop: Header=BB1216_974 Depth=2
	s_wait_dscnt 0x0
	v_bcnt_u32_b32 v90, v90, v210
	ds_store_b32 v215, v90 offset:1056
.LBB1216_1040:                          ;   in Loop: Header=BB1216_974 Depth=2
	s_or_b32 exec_lo, exec_lo, s15
	v_cmp_lt_i64_e32 vcc_lo, -1, v[66:67]
	; wave barrier
	v_cndmask_b32_e64 v90, -1, 0x80000000, vcc_lo
	s_delay_alu instid0(VALU_DEP_1) | instskip(NEXT) | instid1(VALU_DEP_1)
	v_dual_ashrrev_i32 v91, 31, v67 :: v_dual_bitop2_b32 v67, v90, v67 bitop3:0x14
	v_xor_b32_e32 v66, v91, v66
	s_delay_alu instid0(VALU_DEP_1) | instskip(SKIP_2) | instid1(VALU_DEP_1)
	v_cmp_ne_u64_e32 vcc_lo, s[42:43], v[66:67]
	v_cndmask_b32_e32 v91, 0x80000000, v67, vcc_lo
	v_cndmask_b32_e32 v90, 0, v66, vcc_lo
	v_lshrrev_b64 v[90:91], s48, v[90:91]
	s_delay_alu instid0(VALU_DEP_1) | instskip(SKIP_1) | instid1(VALU_DEP_2)
	v_bitop3_b32 v91, v90, 1, s55 bitop3:0x80
	v_and_b32_e32 v92, s55, v90
	v_add_co_u32 v90, s15, v91, -1
	s_delay_alu instid0(VALU_DEP_1) | instskip(NEXT) | instid1(VALU_DEP_3)
	v_cndmask_b32_e64 v91, 0, 1, s15
	v_lshlrev_b32_e32 v93, 30, v92
	s_delay_alu instid0(VALU_DEP_2) | instskip(NEXT) | instid1(VALU_DEP_2)
	v_cmp_ne_u32_e32 vcc_lo, 0, v91
	v_not_b32_e32 v91, v93
	v_cmp_gt_i32_e64 s15, 0, v93
	s_delay_alu instid0(VALU_DEP_2) | instskip(SKIP_3) | instid1(VALU_DEP_4)
	v_dual_ashrrev_i32 v91, 31, v91 :: v_dual_lshlrev_b32 v94, 29, v92
	v_dual_lshlrev_b32 v95, 28, v92 :: v_dual_lshlrev_b32 v96, 27, v92
	v_dual_lshlrev_b32 v97, 26, v92 :: v_dual_lshlrev_b32 v213, 25, v92
	v_lshlrev_b32_e32 v214, 24, v92
	v_cmp_gt_i32_e64 s16, 0, v94
	v_not_b32_e32 v93, v94
	v_not_b32_e32 v94, v95
	v_cmp_gt_i32_e64 s17, 0, v95
	v_cmp_gt_i32_e64 s18, 0, v96
	v_not_b32_e32 v95, v96
	v_not_b32_e32 v96, v97
	v_dual_ashrrev_i32 v93, 31, v93 :: v_dual_bitop2_b32 v90, vcc_lo, v90 bitop3:0x14
	v_dual_ashrrev_i32 v94, 31, v94 :: v_dual_bitop2_b32 v91, s15, v91 bitop3:0x14
	v_cmp_gt_i32_e64 s19, 0, v97
	v_cmp_gt_i32_e64 s20, 0, v213
	v_not_b32_e32 v97, v213
	v_not_b32_e32 v213, v214
	v_dual_ashrrev_i32 v95, 31, v95 :: v_dual_ashrrev_i32 v96, 31, v96
	v_xor_b32_e32 v93, s16, v93
	v_xor_b32_e32 v94, s17, v94
	v_bitop3_b32 v90, v90, v91, exec_lo bitop3:0x80
	v_cmp_gt_i32_e64 s21, 0, v214
	v_ashrrev_i32_e32 v91, 31, v97
	v_dual_ashrrev_i32 v97, 31, v213 :: v_dual_bitop2_b32 v95, s18, v95 bitop3:0x14
	v_xor_b32_e32 v96, s19, v96
	v_bitop3_b32 v90, v90, v94, v93 bitop3:0x80
	v_mad_u32_u24 v93, v92, 36, v148
	v_xor_b32_e32 v91, s20, v91
	v_xor_b32_e32 v94, s21, v97
	s_delay_alu instid0(VALU_DEP_4) | instskip(SKIP_3) | instid1(VALU_DEP_2)
	v_bitop3_b32 v90, v90, v96, v95 bitop3:0x80
	ds_load_b32 v213, v93 offset:1056
	; wave barrier
	v_bitop3_b32 v90, v90, v94, v91 bitop3:0x80
	v_mul_u32_u24_e32 v91, 36, v92
	v_mbcnt_lo_u32_b32 v214, v90, 0
	v_cmp_ne_u32_e64 s15, 0, v90
	s_delay_alu instid0(VALU_DEP_3) | instskip(NEXT) | instid1(VALU_DEP_3)
	v_add_nc_u32_e32 v216, v148, v91
	v_cmp_eq_u32_e32 vcc_lo, 0, v214
	s_and_b32 s16, s15, vcc_lo
	s_delay_alu instid0(SALU_CYCLE_1)
	s_and_saveexec_b32 s15, s16
	s_cbranch_execz .LBB1216_1042
; %bb.1041:                             ;   in Loop: Header=BB1216_974 Depth=2
	s_wait_dscnt 0x0
	v_bcnt_u32_b32 v90, v90, v213
	ds_store_b32 v216, v90 offset:1056
.LBB1216_1042:                          ;   in Loop: Header=BB1216_974 Depth=2
	s_or_b32 exec_lo, exec_lo, s15
	; wave barrier
	s_wait_dscnt 0x0
	s_barrier_signal -1
	s_barrier_wait -1
	ds_load_2addr_b32 v[96:97], v168 offset1:1
	ds_load_2addr_b32 v[94:95], v169 offset1:1
	;; [unrolled: 1-line block ×4, first 2 shown]
	ds_load_b32 v217, v120 offset:1088
	s_wait_dscnt 0x3
	v_add3_u32 v218, v97, v96, v94
	s_wait_dscnt 0x2
	s_delay_alu instid0(VALU_DEP_1) | instskip(SKIP_1) | instid1(VALU_DEP_1)
	v_add3_u32 v218, v218, v95, v92
	s_wait_dscnt 0x1
	v_add3_u32 v218, v218, v93, v90
	s_wait_dscnt 0x0
	s_delay_alu instid0(VALU_DEP_1) | instskip(NEXT) | instid1(VALU_DEP_1)
	v_add3_u32 v217, v218, v91, v217
	v_mov_b32_dpp v218, v217 row_shr:1 row_mask:0xf bank_mask:0xf
	s_delay_alu instid0(VALU_DEP_1) | instskip(NEXT) | instid1(VALU_DEP_1)
	v_cndmask_b32_e64 v218, v218, 0, s7
	v_add_nc_u32_e32 v217, v218, v217
	s_delay_alu instid0(VALU_DEP_1) | instskip(NEXT) | instid1(VALU_DEP_1)
	v_mov_b32_dpp v218, v217 row_shr:2 row_mask:0xf bank_mask:0xf
	v_cndmask_b32_e64 v218, 0, v218, s8
	s_delay_alu instid0(VALU_DEP_1) | instskip(NEXT) | instid1(VALU_DEP_1)
	v_add_nc_u32_e32 v217, v217, v218
	v_mov_b32_dpp v218, v217 row_shr:4 row_mask:0xf bank_mask:0xf
	s_delay_alu instid0(VALU_DEP_1) | instskip(NEXT) | instid1(VALU_DEP_1)
	v_cndmask_b32_e64 v218, 0, v218, s9
	v_add_nc_u32_e32 v217, v217, v218
	s_delay_alu instid0(VALU_DEP_1) | instskip(NEXT) | instid1(VALU_DEP_1)
	v_mov_b32_dpp v218, v217 row_shr:8 row_mask:0xf bank_mask:0xf
	v_cndmask_b32_e64 v218, 0, v218, s10
	s_delay_alu instid0(VALU_DEP_1) | instskip(SKIP_3) | instid1(VALU_DEP_1)
	v_add_nc_u32_e32 v217, v217, v218
	ds_swizzle_b32 v218, v217 offset:swizzle(BROADCAST,32,15)
	s_wait_dscnt 0x0
	v_cndmask_b32_e64 v218, v218, 0, s11
	v_add_nc_u32_e32 v217, v217, v218
	s_and_saveexec_b32 s15, s1
; %bb.1043:                             ;   in Loop: Header=BB1216_974 Depth=2
	ds_store_b32 v114, v217 offset:1024
; %bb.1044:                             ;   in Loop: Header=BB1216_974 Depth=2
	s_or_b32 exec_lo, exec_lo, s15
	s_wait_dscnt 0x0
	s_barrier_signal -1
	s_barrier_wait -1
	s_and_saveexec_b32 s15, s4
	s_cbranch_execz .LBB1216_1046
; %bb.1045:                             ;   in Loop: Header=BB1216_974 Depth=2
	ds_load_b32 v218, v122 offset:1024
	s_wait_dscnt 0x0
	v_mov_b32_dpp v219, v218 row_shr:1 row_mask:0xf bank_mask:0xf
	s_delay_alu instid0(VALU_DEP_1) | instskip(NEXT) | instid1(VALU_DEP_1)
	v_cndmask_b32_e64 v219, v219, 0, s12
	v_add_nc_u32_e32 v218, v219, v218
	s_delay_alu instid0(VALU_DEP_1) | instskip(NEXT) | instid1(VALU_DEP_1)
	v_mov_b32_dpp v219, v218 row_shr:2 row_mask:0xf bank_mask:0xf
	v_cndmask_b32_e64 v219, 0, v219, s13
	s_delay_alu instid0(VALU_DEP_1) | instskip(NEXT) | instid1(VALU_DEP_1)
	v_add_nc_u32_e32 v218, v218, v219
	v_mov_b32_dpp v219, v218 row_shr:4 row_mask:0xf bank_mask:0xf
	s_delay_alu instid0(VALU_DEP_1) | instskip(NEXT) | instid1(VALU_DEP_1)
	v_cndmask_b32_e64 v219, 0, v219, s14
	v_add_nc_u32_e32 v218, v218, v219
	ds_store_b32 v122, v218 offset:1024
.LBB1216_1046:                          ;   in Loop: Header=BB1216_974 Depth=2
	s_or_b32 exec_lo, exec_lo, s15
	v_mov_b32_e32 v218, 0
	s_wait_dscnt 0x0
	s_barrier_signal -1
	s_barrier_wait -1
	s_and_saveexec_b32 s15, s5
; %bb.1047:                             ;   in Loop: Header=BB1216_974 Depth=2
	ds_load_b32 v218, v114 offset:1020
; %bb.1048:                             ;   in Loop: Header=BB1216_974 Depth=2
	s_or_b32 exec_lo, exec_lo, s15
	s_wait_dscnt 0x0
	v_add_nc_u32_e32 v217, v218, v217
	ds_bpermute_b32 v217, v147, v217
	s_wait_dscnt 0x0
	v_cndmask_b32_e64 v217, v217, v218, s6
	s_delay_alu instid0(VALU_DEP_1) | instskip(NEXT) | instid1(VALU_DEP_1)
	v_cndmask_b32_e64 v217, v217, 0, s2
	v_add_nc_u32_e32 v96, v217, v96
	s_delay_alu instid0(VALU_DEP_1) | instskip(NEXT) | instid1(VALU_DEP_1)
	v_add_nc_u32_e32 v97, v96, v97
	v_add_nc_u32_e32 v94, v97, v94
	s_delay_alu instid0(VALU_DEP_1) | instskip(NEXT) | instid1(VALU_DEP_1)
	v_add_nc_u32_e32 v95, v94, v95
	;; [unrolled: 3-line block ×3, first 2 shown]
	v_add_nc_u32_e32 v90, v93, v90
	s_delay_alu instid0(VALU_DEP_1)
	v_add_nc_u32_e32 v91, v90, v91
	ds_store_2addr_b32 v167, v93, v90 offset1:1
	ds_store_2addr_b32 v168, v217, v96 offset1:1
	;; [unrolled: 1-line block ×4, first 2 shown]
	ds_store_b32 v120, v91 offset:1088
	s_wait_dscnt 0x0
	s_barrier_signal -1
	s_barrier_wait -1
	ds_load_b32 v91, v171 offset:1056
	ds_load_b32 v96, v174 offset:1056
	;; [unrolled: 1-line block ×17, first 2 shown]
	v_mov_b32_e32 v90, 0x1000
	s_and_saveexec_b32 s15, s3
; %bb.1049:                             ;   in Loop: Header=BB1216_974 Depth=2
	ds_load_b32 v90, v120 offset:1092
; %bb.1050:                             ;   in Loop: Header=BB1216_974 Depth=2
	s_or_b32 exec_lo, exec_lo, s15
	s_wait_dscnt 0x0
	s_barrier_signal -1
	s_barrier_wait -1
	s_and_saveexec_b32 s15, s0
	s_cbranch_execz .LBB1216_1052
; %bb.1051:                             ;   in Loop: Header=BB1216_974 Depth=2
	ds_load_b32 v189, v3
	s_wait_dscnt 0x0
	v_sub_nc_u32_e32 v186, v189, v186
	ds_store_b32 v3, v186
.LBB1216_1052:                          ;   in Loop: Header=BB1216_974 Depth=2
	s_or_b32 exec_lo, exec_lo, s15
	v_dual_lshlrev_b32 v166, 3, v166 :: v_dual_lshlrev_b32 v173, 3, v173
	v_lshlrev_b32_e32 v172, 3, v172
	v_dual_lshlrev_b32 v96, 3, v96 :: v_dual_lshlrev_b32 v95, 3, v95
	s_delay_alu instid0(VALU_DEP_3)
	v_lshl_add_u32 v91, v91, 3, v166
	v_dual_lshlrev_b32 v176, 3, v176 :: v_dual_lshlrev_b32 v166, 3, v175
	v_dual_lshlrev_b32 v175, 3, v179 :: v_dual_lshlrev_b32 v178, 3, v178
	v_lshlrev_b32_e32 v179, 3, v181
	ds_store_b64 v91, v[58:59] offset:1024
	v_dual_lshlrev_b32 v58, 3, v94 :: v_dual_lshlrev_b32 v181, 3, v93
	v_dual_lshlrev_b32 v59, 3, v182 :: v_dual_lshlrev_b32 v182, 3, v185
	v_lshlrev_b32_e32 v184, 3, v184
	v_lshlrev_b32_e32 v185, 3, v92
	v_add3_u32 v92, v173, v172, v96
	v_add3_u32 v93, v176, v166, v95
	;; [unrolled: 1-line block ×4, first 2 shown]
	v_lshlrev_b32_e32 v59, 3, v187
	v_add3_u32 v96, v182, v184, v185
	ds_store_b64 v92, v[60:61] offset:1024
	ds_store_b64 v93, v[62:63] offset:1024
	;; [unrolled: 1-line block ×5, first 2 shown]
	v_dual_lshlrev_b32 v58, 3, v188 :: v_dual_lshlrev_b32 v61, 3, v191
	v_dual_lshlrev_b32 v60, 3, v183 :: v_dual_lshlrev_b32 v62, 3, v190
	;; [unrolled: 1-line block ×3, first 2 shown]
	v_lshlrev_b32_e32 v71, 3, v193
	v_dual_lshlrev_b32 v74, 3, v177 :: v_dual_lshlrev_b32 v78, 3, v196
	v_dual_lshlrev_b32 v75, 3, v197 :: v_dual_lshlrev_b32 v79, 3, v174
	;; [unrolled: 1-line block ×3, first 2 shown]
	v_lshlrev_b32_e32 v171, 3, v171
	v_add3_u32 v60, v58, v59, v60
	v_add3_u32 v61, v61, v62, v63
	;; [unrolled: 1-line block ×4, first 2 shown]
	v_lshlrev_b32_e32 v59, 3, v202
	v_add3_u32 v70, v166, v172, v171
	ds_store_b64 v60, v[82:83] offset:1024
	ds_store_b64 v61, v[86:87] offset:1024
	;; [unrolled: 1-line block ×5, first 2 shown]
	v_dual_lshlrev_b32 v58, 3, v203 :: v_dual_lshlrev_b32 v71, 3, v170
	v_dual_lshlrev_b32 v74, 3, v206 :: v_dual_lshlrev_b32 v75, 3, v205
	;; [unrolled: 1-line block ×6, first 2 shown]
	v_lshlrev_b32_e32 v86, 3, v213
	v_lshlrev_b32_e32 v87, 3, v97
	v_add3_u32 v71, v58, v59, v71
	v_add3_u32 v74, v74, v75, v78
	;; [unrolled: 1-line block ×5, first 2 shown]
	v_cmp_lt_u32_e32 vcc_lo, v2, v165
	ds_store_b64 v71, v[76:77] offset:1024
	ds_store_b64 v74, v[72:73] offset:1024
	;; [unrolled: 1-line block ×5, first 2 shown]
	s_wait_dscnt 0x0
	s_barrier_signal -1
	s_barrier_wait -1
	s_and_saveexec_b32 s16, vcc_lo
	s_cbranch_execnz .LBB1216_1121
; %bb.1053:                             ;   in Loop: Header=BB1216_974 Depth=2
	s_or_b32 exec_lo, exec_lo, s16
	v_cmp_lt_u32_e64 s15, v98, v165
	s_and_saveexec_b32 s17, s15
	s_cbranch_execnz .LBB1216_1122
.LBB1216_1054:                          ;   in Loop: Header=BB1216_974 Depth=2
	s_or_b32 exec_lo, exec_lo, s17
	v_cmp_lt_u32_e64 s16, v99, v165
	s_and_saveexec_b32 s18, s16
	s_cbranch_execnz .LBB1216_1123
.LBB1216_1055:                          ;   in Loop: Header=BB1216_974 Depth=2
	s_or_b32 exec_lo, exec_lo, s18
	v_cmp_lt_u32_e64 s17, v100, v165
	s_and_saveexec_b32 s19, s17
	s_cbranch_execnz .LBB1216_1124
.LBB1216_1056:                          ;   in Loop: Header=BB1216_974 Depth=2
	s_or_b32 exec_lo, exec_lo, s19
	v_cmp_lt_u32_e64 s18, v101, v165
	s_and_saveexec_b32 s20, s18
	s_cbranch_execnz .LBB1216_1125
.LBB1216_1057:                          ;   in Loop: Header=BB1216_974 Depth=2
	s_or_b32 exec_lo, exec_lo, s20
	v_cmp_lt_u32_e64 s19, v102, v165
	s_and_saveexec_b32 s21, s19
	s_cbranch_execnz .LBB1216_1126
.LBB1216_1058:                          ;   in Loop: Header=BB1216_974 Depth=2
	s_or_b32 exec_lo, exec_lo, s21
	v_cmp_lt_u32_e64 s20, v103, v165
	s_and_saveexec_b32 s22, s20
	s_cbranch_execnz .LBB1216_1127
.LBB1216_1059:                          ;   in Loop: Header=BB1216_974 Depth=2
	s_or_b32 exec_lo, exec_lo, s22
	v_cmp_lt_u32_e64 s21, v104, v165
	s_and_saveexec_b32 s23, s21
	s_cbranch_execnz .LBB1216_1128
.LBB1216_1060:                          ;   in Loop: Header=BB1216_974 Depth=2
	s_or_b32 exec_lo, exec_lo, s23
	v_cmp_lt_u32_e64 s22, v105, v165
	s_and_saveexec_b32 s24, s22
	s_cbranch_execnz .LBB1216_1129
.LBB1216_1061:                          ;   in Loop: Header=BB1216_974 Depth=2
	s_or_b32 exec_lo, exec_lo, s24
	v_cmp_lt_u32_e64 s23, v106, v165
	s_and_saveexec_b32 s25, s23
	s_cbranch_execnz .LBB1216_1130
.LBB1216_1062:                          ;   in Loop: Header=BB1216_974 Depth=2
	s_or_b32 exec_lo, exec_lo, s25
	v_cmp_lt_u32_e64 s24, v107, v165
	s_and_saveexec_b32 s26, s24
	s_cbranch_execnz .LBB1216_1131
.LBB1216_1063:                          ;   in Loop: Header=BB1216_974 Depth=2
	s_or_b32 exec_lo, exec_lo, s26
	v_cmp_lt_u32_e64 s25, v108, v165
	s_and_saveexec_b32 s27, s25
	s_cbranch_execnz .LBB1216_1132
.LBB1216_1064:                          ;   in Loop: Header=BB1216_974 Depth=2
	s_or_b32 exec_lo, exec_lo, s27
	v_cmp_lt_u32_e64 s26, v109, v165
	s_and_saveexec_b32 s28, s26
	s_cbranch_execnz .LBB1216_1133
.LBB1216_1065:                          ;   in Loop: Header=BB1216_974 Depth=2
	s_or_b32 exec_lo, exec_lo, s28
	v_cmp_lt_u32_e64 s27, v110, v165
	s_and_saveexec_b32 s29, s27
	s_cbranch_execnz .LBB1216_1134
.LBB1216_1066:                          ;   in Loop: Header=BB1216_974 Depth=2
	s_or_b32 exec_lo, exec_lo, s29
	v_cmp_lt_u32_e64 s28, v111, v165
	s_and_saveexec_b32 s30, s28
	s_cbranch_execnz .LBB1216_1135
.LBB1216_1067:                          ;   in Loop: Header=BB1216_974 Depth=2
	s_or_b32 exec_lo, exec_lo, s30
	v_cmp_lt_u32_e64 s29, v112, v165
	s_and_saveexec_b32 s61, s29
	s_cbranch_execz .LBB1216_1069
.LBB1216_1068:                          ;   in Loop: Header=BB1216_974 Depth=2
	ds_load_b64 v[58:59], v123 offset:31744
	s_wait_dscnt 0x0
	v_cmp_ne_u64_e64 s30, s[42:43], v[58:59]
	s_delay_alu instid0(VALU_DEP_1) | instskip(SKIP_2) | instid1(VALU_DEP_2)
	v_cndmask_b32_e64 v65, 0x80000000, v59, s30
	v_cndmask_b32_e64 v64, 0, v58, s30
	v_cmp_lt_i64_e64 s30, -1, v[58:59]
	v_lshrrev_b64 v[64:65], s48, v[64:65]
	v_ashrrev_i32_e32 v65, 31, v59
	s_delay_alu instid0(VALU_DEP_3) | instskip(NEXT) | instid1(VALU_DEP_2)
	v_cndmask_b32_e64 v66, 0x80000000, -1, s30
	v_not_b32_e32 v65, v65
	s_delay_alu instid0(VALU_DEP_4) | instskip(NEXT) | instid1(VALU_DEP_1)
	v_and_b32_e32 v64, s55, v64
	v_dual_lshlrev_b32 v64, 2, v64 :: v_dual_bitop2_b32 v59, v66, v59 bitop3:0x14
	ds_load_b32 v64, v64
	s_wait_dscnt 0x0
	v_dual_add_nc_u32 v64, v64, v112 :: v_dual_bitop2_b32 v58, v65, v58 bitop3:0x14
	global_store_b64 v64, v[58:59], s[40:41] scale_offset
.LBB1216_1069:                          ;   in Loop: Header=BB1216_974 Depth=2
	s_wait_xcnt 0x0
	s_or_b32 exec_lo, exec_lo, s61
	v_lshl_add_u64 v[58:59], s[34:35], 3, v[22:23]
	v_cmp_lt_u32_e64 s30, v129, v165
	s_and_saveexec_b32 s34, s30
	s_delay_alu instid0(SALU_CYCLE_1)
	s_xor_b32 s30, exec_lo, s34
	s_cbranch_execnz .LBB1216_1136
; %bb.1070:                             ;   in Loop: Header=BB1216_974 Depth=2
	s_or_b32 exec_lo, exec_lo, s30
	s_delay_alu instid0(SALU_CYCLE_1)
	s_mov_b32 s34, exec_lo
	v_cmpx_lt_u32_e64 v132, v165
	s_cbranch_execnz .LBB1216_1137
.LBB1216_1071:                          ;   in Loop: Header=BB1216_974 Depth=2
	s_or_b32 exec_lo, exec_lo, s34
	s_delay_alu instid0(SALU_CYCLE_1)
	s_mov_b32 s34, exec_lo
	v_cmpx_lt_u32_e64 v133, v165
	s_cbranch_execnz .LBB1216_1138
.LBB1216_1072:                          ;   in Loop: Header=BB1216_974 Depth=2
	s_or_b32 exec_lo, exec_lo, s34
	s_delay_alu instid0(SALU_CYCLE_1)
	s_mov_b32 s34, exec_lo
	v_cmpx_lt_u32_e64 v134, v165
	s_cbranch_execnz .LBB1216_1139
.LBB1216_1073:                          ;   in Loop: Header=BB1216_974 Depth=2
	s_or_b32 exec_lo, exec_lo, s34
	s_delay_alu instid0(SALU_CYCLE_1)
	s_mov_b32 s34, exec_lo
	v_cmpx_lt_u32_e64 v135, v165
	s_cbranch_execnz .LBB1216_1140
.LBB1216_1074:                          ;   in Loop: Header=BB1216_974 Depth=2
	s_or_b32 exec_lo, exec_lo, s34
	s_delay_alu instid0(SALU_CYCLE_1)
	s_mov_b32 s34, exec_lo
	v_cmpx_lt_u32_e64 v136, v165
	s_cbranch_execnz .LBB1216_1141
.LBB1216_1075:                          ;   in Loop: Header=BB1216_974 Depth=2
	s_or_b32 exec_lo, exec_lo, s34
	s_delay_alu instid0(SALU_CYCLE_1)
	s_mov_b32 s34, exec_lo
	v_cmpx_lt_u32_e64 v137, v165
	s_cbranch_execnz .LBB1216_1142
.LBB1216_1076:                          ;   in Loop: Header=BB1216_974 Depth=2
	s_or_b32 exec_lo, exec_lo, s34
	s_delay_alu instid0(SALU_CYCLE_1)
	s_mov_b32 s34, exec_lo
	v_cmpx_lt_u32_e64 v138, v165
	s_cbranch_execnz .LBB1216_1143
.LBB1216_1077:                          ;   in Loop: Header=BB1216_974 Depth=2
	s_or_b32 exec_lo, exec_lo, s34
	s_delay_alu instid0(SALU_CYCLE_1)
	s_mov_b32 s34, exec_lo
	v_cmpx_lt_u32_e64 v139, v165
	s_cbranch_execnz .LBB1216_1144
.LBB1216_1078:                          ;   in Loop: Header=BB1216_974 Depth=2
	s_or_b32 exec_lo, exec_lo, s34
	s_delay_alu instid0(SALU_CYCLE_1)
	s_mov_b32 s34, exec_lo
	v_cmpx_lt_u32_e64 v140, v165
	s_cbranch_execnz .LBB1216_1145
.LBB1216_1079:                          ;   in Loop: Header=BB1216_974 Depth=2
	s_or_b32 exec_lo, exec_lo, s34
	s_delay_alu instid0(SALU_CYCLE_1)
	s_mov_b32 s34, exec_lo
	v_cmpx_lt_u32_e64 v141, v165
	s_cbranch_execnz .LBB1216_1146
.LBB1216_1080:                          ;   in Loop: Header=BB1216_974 Depth=2
	s_or_b32 exec_lo, exec_lo, s34
	s_delay_alu instid0(SALU_CYCLE_1)
	s_mov_b32 s34, exec_lo
	v_cmpx_lt_u32_e64 v142, v165
	s_cbranch_execnz .LBB1216_1147
.LBB1216_1081:                          ;   in Loop: Header=BB1216_974 Depth=2
	s_or_b32 exec_lo, exec_lo, s34
	s_delay_alu instid0(SALU_CYCLE_1)
	s_mov_b32 s34, exec_lo
	v_cmpx_lt_u32_e64 v143, v165
	s_cbranch_execnz .LBB1216_1148
.LBB1216_1082:                          ;   in Loop: Header=BB1216_974 Depth=2
	s_or_b32 exec_lo, exec_lo, s34
	s_delay_alu instid0(SALU_CYCLE_1)
	s_mov_b32 s34, exec_lo
	v_cmpx_lt_u32_e64 v144, v165
	s_cbranch_execnz .LBB1216_1149
.LBB1216_1083:                          ;   in Loop: Header=BB1216_974 Depth=2
	s_or_b32 exec_lo, exec_lo, s34
	s_delay_alu instid0(SALU_CYCLE_1)
	s_mov_b32 s34, exec_lo
	v_cmpx_lt_u32_e64 v145, v165
	s_cbranch_execnz .LBB1216_1150
.LBB1216_1084:                          ;   in Loop: Header=BB1216_974 Depth=2
	s_or_b32 exec_lo, exec_lo, s34
	s_delay_alu instid0(SALU_CYCLE_1)
	s_mov_b32 s34, exec_lo
	v_cmpx_lt_u32_e64 v146, v165
	s_cbranch_execnz .LBB1216_1151
.LBB1216_1085:                          ;   in Loop: Header=BB1216_974 Depth=2
	s_or_b32 exec_lo, exec_lo, s34
	s_and_saveexec_b32 s34, vcc_lo
	s_cbranch_execnz .LBB1216_1152
.LBB1216_1086:                          ;   in Loop: Header=BB1216_974 Depth=2
	s_or_b32 exec_lo, exec_lo, s34
	s_and_saveexec_b32 s34, s15
	s_cbranch_execnz .LBB1216_1153
.LBB1216_1087:                          ;   in Loop: Header=BB1216_974 Depth=2
	s_or_b32 exec_lo, exec_lo, s34
	s_and_saveexec_b32 s34, s16
	s_cbranch_execnz .LBB1216_1154
.LBB1216_1088:                          ;   in Loop: Header=BB1216_974 Depth=2
	s_or_b32 exec_lo, exec_lo, s34
	s_and_saveexec_b32 s34, s17
	s_cbranch_execnz .LBB1216_1155
.LBB1216_1089:                          ;   in Loop: Header=BB1216_974 Depth=2
	s_or_b32 exec_lo, exec_lo, s34
	s_and_saveexec_b32 s34, s18
	s_cbranch_execnz .LBB1216_1156
.LBB1216_1090:                          ;   in Loop: Header=BB1216_974 Depth=2
	s_or_b32 exec_lo, exec_lo, s34
	s_and_saveexec_b32 s34, s19
	s_cbranch_execnz .LBB1216_1157
.LBB1216_1091:                          ;   in Loop: Header=BB1216_974 Depth=2
	s_or_b32 exec_lo, exec_lo, s34
	s_and_saveexec_b32 s34, s20
	s_cbranch_execnz .LBB1216_1158
.LBB1216_1092:                          ;   in Loop: Header=BB1216_974 Depth=2
	s_or_b32 exec_lo, exec_lo, s34
	s_and_saveexec_b32 s34, s21
	s_cbranch_execnz .LBB1216_1159
.LBB1216_1093:                          ;   in Loop: Header=BB1216_974 Depth=2
	s_or_b32 exec_lo, exec_lo, s34
	s_and_saveexec_b32 s34, s22
	s_cbranch_execnz .LBB1216_1160
.LBB1216_1094:                          ;   in Loop: Header=BB1216_974 Depth=2
	s_or_b32 exec_lo, exec_lo, s34
	s_and_saveexec_b32 s34, s23
	s_cbranch_execnz .LBB1216_1161
.LBB1216_1095:                          ;   in Loop: Header=BB1216_974 Depth=2
	s_or_b32 exec_lo, exec_lo, s34
	s_and_saveexec_b32 s34, s24
	s_cbranch_execnz .LBB1216_1162
.LBB1216_1096:                          ;   in Loop: Header=BB1216_974 Depth=2
	s_or_b32 exec_lo, exec_lo, s34
	s_and_saveexec_b32 s34, s25
	s_cbranch_execnz .LBB1216_1163
.LBB1216_1097:                          ;   in Loop: Header=BB1216_974 Depth=2
	s_or_b32 exec_lo, exec_lo, s34
	s_and_saveexec_b32 s34, s26
	s_cbranch_execnz .LBB1216_1164
.LBB1216_1098:                          ;   in Loop: Header=BB1216_974 Depth=2
	s_or_b32 exec_lo, exec_lo, s34
	s_and_saveexec_b32 s34, s27
	s_cbranch_execnz .LBB1216_1165
.LBB1216_1099:                          ;   in Loop: Header=BB1216_974 Depth=2
	s_or_b32 exec_lo, exec_lo, s34
	s_and_saveexec_b32 s34, s28
	s_cbranch_execnz .LBB1216_1166
.LBB1216_1100:                          ;   in Loop: Header=BB1216_974 Depth=2
	s_or_b32 exec_lo, exec_lo, s34
	s_and_saveexec_b32 s34, s29
	s_cbranch_execz .LBB1216_1102
.LBB1216_1101:                          ;   in Loop: Header=BB1216_974 Depth=2
	ds_load_b64 v[58:59], v123 offset:31744
	s_wait_dscnt 0x0
	v_cmp_ne_u64_e64 s30, s[42:43], v[58:59]
	s_delay_alu instid0(VALU_DEP_1) | instskip(SKIP_1) | instid1(VALU_DEP_1)
	v_cndmask_b32_e64 v59, 0x80000000, v59, s30
	v_cndmask_b32_e64 v58, 0, v58, s30
	v_lshrrev_b64 v[58:59], s48, v[58:59]
	s_delay_alu instid0(VALU_DEP_1)
	v_and_b32_e32 v149, s55, v58
.LBB1216_1102:                          ;   in Loop: Header=BB1216_974 Depth=2
	s_or_b32 exec_lo, exec_lo, s34
	s_wait_loadcnt 0x0
	s_wait_storecnt 0x0
	s_barrier_signal -1
	s_barrier_wait -1
	ds_store_b64 v91, v[56:57] offset:1024
	ds_store_b64 v92, v[54:55] offset:1024
	;; [unrolled: 1-line block ×16, first 2 shown]
	s_wait_dscnt 0x0
	s_barrier_signal -1
	s_barrier_wait -1
	s_and_saveexec_b32 s30, vcc_lo
	s_cbranch_execnz .LBB1216_1167
; %bb.1103:                             ;   in Loop: Header=BB1216_974 Depth=2
	s_or_b32 exec_lo, exec_lo, s30
	s_and_saveexec_b32 s30, s15
	s_cbranch_execnz .LBB1216_1168
.LBB1216_1104:                          ;   in Loop: Header=BB1216_974 Depth=2
	s_or_b32 exec_lo, exec_lo, s30
	s_and_saveexec_b32 s15, s16
	s_cbranch_execnz .LBB1216_1169
.LBB1216_1105:                          ;   in Loop: Header=BB1216_974 Depth=2
	s_or_b32 exec_lo, exec_lo, s15
	s_and_saveexec_b32 s15, s17
	s_cbranch_execnz .LBB1216_1170
.LBB1216_1106:                          ;   in Loop: Header=BB1216_974 Depth=2
	s_or_b32 exec_lo, exec_lo, s15
	s_and_saveexec_b32 s15, s18
	s_cbranch_execnz .LBB1216_1171
.LBB1216_1107:                          ;   in Loop: Header=BB1216_974 Depth=2
	s_or_b32 exec_lo, exec_lo, s15
	s_and_saveexec_b32 s15, s19
	s_cbranch_execnz .LBB1216_1172
.LBB1216_1108:                          ;   in Loop: Header=BB1216_974 Depth=2
	s_or_b32 exec_lo, exec_lo, s15
	s_and_saveexec_b32 s15, s20
	s_cbranch_execnz .LBB1216_1173
.LBB1216_1109:                          ;   in Loop: Header=BB1216_974 Depth=2
	s_or_b32 exec_lo, exec_lo, s15
	s_and_saveexec_b32 s15, s21
	s_cbranch_execnz .LBB1216_1174
.LBB1216_1110:                          ;   in Loop: Header=BB1216_974 Depth=2
	s_or_b32 exec_lo, exec_lo, s15
	s_and_saveexec_b32 s15, s22
	s_cbranch_execnz .LBB1216_1175
.LBB1216_1111:                          ;   in Loop: Header=BB1216_974 Depth=2
	s_or_b32 exec_lo, exec_lo, s15
	s_and_saveexec_b32 s15, s23
	s_cbranch_execnz .LBB1216_1176
.LBB1216_1112:                          ;   in Loop: Header=BB1216_974 Depth=2
	s_or_b32 exec_lo, exec_lo, s15
	s_and_saveexec_b32 s15, s24
	s_cbranch_execnz .LBB1216_1177
.LBB1216_1113:                          ;   in Loop: Header=BB1216_974 Depth=2
	s_or_b32 exec_lo, exec_lo, s15
	s_and_saveexec_b32 s15, s25
	s_cbranch_execnz .LBB1216_1178
.LBB1216_1114:                          ;   in Loop: Header=BB1216_974 Depth=2
	s_or_b32 exec_lo, exec_lo, s15
	s_and_saveexec_b32 s15, s26
	s_cbranch_execnz .LBB1216_1179
.LBB1216_1115:                          ;   in Loop: Header=BB1216_974 Depth=2
	s_or_b32 exec_lo, exec_lo, s15
	s_and_saveexec_b32 s15, s27
	s_cbranch_execnz .LBB1216_1180
.LBB1216_1116:                          ;   in Loop: Header=BB1216_974 Depth=2
	s_or_b32 exec_lo, exec_lo, s15
	s_and_saveexec_b32 s15, s28
	s_cbranch_execnz .LBB1216_1181
.LBB1216_1117:                          ;   in Loop: Header=BB1216_974 Depth=2
	s_or_b32 exec_lo, exec_lo, s15
	s_and_saveexec_b32 s15, s29
	s_cbranch_execz .LBB1216_1119
.LBB1216_1118:                          ;   in Loop: Header=BB1216_974 Depth=2
	v_lshlrev_b32_e32 v58, 2, v149
	ds_load_b32 v60, v58
	ds_load_b64 v[58:59], v123 offset:31744
	s_wait_dscnt 0x1
	v_add_nc_u32_e32 v60, v60, v112
	s_wait_dscnt 0x0
	global_store_b64 v60, v[58:59], s[46:47] scale_offset
.LBB1216_1119:                          ;   in Loop: Header=BB1216_974 Depth=2
	s_wait_xcnt 0x0
	s_or_b32 exec_lo, exec_lo, s15
	s_wait_storecnt 0x0
	s_barrier_signal -1
	s_barrier_wait -1
	s_and_saveexec_b32 s15, s0
	s_cbranch_execz .LBB1216_973
; %bb.1120:                             ;   in Loop: Header=BB1216_974 Depth=2
	ds_load_b32 v58, v3
	s_wait_dscnt 0x0
	v_add_nc_u32_e32 v58, v58, v90
	ds_store_b32 v3, v58
	s_branch .LBB1216_973
.LBB1216_1121:                          ;   in Loop: Header=BB1216_974 Depth=2
	ds_load_b64 v[58:59], v123 offset:1024
	s_wait_dscnt 0x0
	v_cmp_ne_u64_e64 s15, s[42:43], v[58:59]
	s_delay_alu instid0(VALU_DEP_1) | instskip(SKIP_2) | instid1(VALU_DEP_2)
	v_cndmask_b32_e64 v65, 0x80000000, v59, s15
	v_cndmask_b32_e64 v64, 0, v58, s15
	v_cmp_lt_i64_e64 s15, -1, v[58:59]
	v_lshrrev_b64 v[64:65], s48, v[64:65]
	v_ashrrev_i32_e32 v65, 31, v59
	s_delay_alu instid0(VALU_DEP_3) | instskip(NEXT) | instid1(VALU_DEP_2)
	v_cndmask_b32_e64 v66, 0x80000000, -1, s15
	v_not_b32_e32 v65, v65
	s_delay_alu instid0(VALU_DEP_4) | instskip(NEXT) | instid1(VALU_DEP_3)
	v_and_b32_e32 v64, s55, v64
	v_xor_b32_e32 v59, v66, v59
	s_delay_alu instid0(VALU_DEP_2)
	v_dual_lshlrev_b32 v64, 2, v64 :: v_dual_bitop2_b32 v58, v65, v58 bitop3:0x14
	ds_load_b32 v64, v64
	s_wait_dscnt 0x0
	v_add_nc_u32_e32 v64, v64, v2
	global_store_b64 v64, v[58:59], s[40:41] scale_offset
	s_wait_xcnt 0x0
	s_or_b32 exec_lo, exec_lo, s16
	v_cmp_lt_u32_e64 s15, v98, v165
	s_and_saveexec_b32 s17, s15
	s_cbranch_execz .LBB1216_1054
.LBB1216_1122:                          ;   in Loop: Header=BB1216_974 Depth=2
	ds_load_b64 v[58:59], v123 offset:3072
	s_wait_dscnt 0x0
	v_cmp_ne_u64_e64 s16, s[42:43], v[58:59]
	s_delay_alu instid0(VALU_DEP_1) | instskip(SKIP_2) | instid1(VALU_DEP_2)
	v_cndmask_b32_e64 v65, 0x80000000, v59, s16
	v_cndmask_b32_e64 v64, 0, v58, s16
	v_cmp_lt_i64_e64 s16, -1, v[58:59]
	v_lshrrev_b64 v[64:65], s48, v[64:65]
	v_ashrrev_i32_e32 v65, 31, v59
	s_delay_alu instid0(VALU_DEP_3) | instskip(NEXT) | instid1(VALU_DEP_2)
	v_cndmask_b32_e64 v66, 0x80000000, -1, s16
	v_not_b32_e32 v65, v65
	s_delay_alu instid0(VALU_DEP_4) | instskip(NEXT) | instid1(VALU_DEP_3)
	v_and_b32_e32 v64, s55, v64
	v_xor_b32_e32 v59, v66, v59
	s_delay_alu instid0(VALU_DEP_2)
	v_dual_lshlrev_b32 v64, 2, v64 :: v_dual_bitop2_b32 v58, v65, v58 bitop3:0x14
	ds_load_b32 v64, v64
	s_wait_dscnt 0x0
	v_add_nc_u32_e32 v64, v64, v98
	global_store_b64 v64, v[58:59], s[40:41] scale_offset
	s_wait_xcnt 0x0
	s_or_b32 exec_lo, exec_lo, s17
	v_cmp_lt_u32_e64 s16, v99, v165
	s_and_saveexec_b32 s18, s16
	s_cbranch_execz .LBB1216_1055
.LBB1216_1123:                          ;   in Loop: Header=BB1216_974 Depth=2
	ds_load_b64 v[58:59], v123 offset:5120
	s_wait_dscnt 0x0
	v_cmp_ne_u64_e64 s17, s[42:43], v[58:59]
	s_delay_alu instid0(VALU_DEP_1) | instskip(SKIP_2) | instid1(VALU_DEP_2)
	v_cndmask_b32_e64 v65, 0x80000000, v59, s17
	v_cndmask_b32_e64 v64, 0, v58, s17
	v_cmp_lt_i64_e64 s17, -1, v[58:59]
	v_lshrrev_b64 v[64:65], s48, v[64:65]
	v_ashrrev_i32_e32 v65, 31, v59
	s_delay_alu instid0(VALU_DEP_3) | instskip(NEXT) | instid1(VALU_DEP_2)
	v_cndmask_b32_e64 v66, 0x80000000, -1, s17
	v_not_b32_e32 v65, v65
	s_delay_alu instid0(VALU_DEP_4) | instskip(NEXT) | instid1(VALU_DEP_1)
	v_and_b32_e32 v64, s55, v64
	v_dual_lshlrev_b32 v64, 2, v64 :: v_dual_bitop2_b32 v59, v66, v59 bitop3:0x14
	ds_load_b32 v64, v64
	s_wait_dscnt 0x0
	v_dual_add_nc_u32 v64, v64, v99 :: v_dual_bitop2_b32 v58, v65, v58 bitop3:0x14
	global_store_b64 v64, v[58:59], s[40:41] scale_offset
	s_wait_xcnt 0x0
	s_or_b32 exec_lo, exec_lo, s18
	v_cmp_lt_u32_e64 s17, v100, v165
	s_and_saveexec_b32 s19, s17
	s_cbranch_execz .LBB1216_1056
.LBB1216_1124:                          ;   in Loop: Header=BB1216_974 Depth=2
	ds_load_b64 v[58:59], v123 offset:7168
	s_wait_dscnt 0x0
	v_cmp_ne_u64_e64 s18, s[42:43], v[58:59]
	s_delay_alu instid0(VALU_DEP_1) | instskip(SKIP_2) | instid1(VALU_DEP_2)
	v_cndmask_b32_e64 v65, 0x80000000, v59, s18
	v_cndmask_b32_e64 v64, 0, v58, s18
	v_cmp_lt_i64_e64 s18, -1, v[58:59]
	v_lshrrev_b64 v[64:65], s48, v[64:65]
	v_ashrrev_i32_e32 v65, 31, v59
	s_delay_alu instid0(VALU_DEP_3) | instskip(NEXT) | instid1(VALU_DEP_2)
	v_cndmask_b32_e64 v66, 0x80000000, -1, s18
	v_not_b32_e32 v65, v65
	s_delay_alu instid0(VALU_DEP_4) | instskip(NEXT) | instid1(VALU_DEP_1)
	v_and_b32_e32 v64, s55, v64
	v_dual_lshlrev_b32 v64, 2, v64 :: v_dual_bitop2_b32 v59, v66, v59 bitop3:0x14
	ds_load_b32 v64, v64
	s_wait_dscnt 0x0
	v_dual_add_nc_u32 v64, v64, v100 :: v_dual_bitop2_b32 v58, v65, v58 bitop3:0x14
	global_store_b64 v64, v[58:59], s[40:41] scale_offset
	s_wait_xcnt 0x0
	s_or_b32 exec_lo, exec_lo, s19
	v_cmp_lt_u32_e64 s18, v101, v165
	s_and_saveexec_b32 s20, s18
	s_cbranch_execz .LBB1216_1057
.LBB1216_1125:                          ;   in Loop: Header=BB1216_974 Depth=2
	ds_load_b64 v[58:59], v123 offset:9216
	s_wait_dscnt 0x0
	v_cmp_ne_u64_e64 s19, s[42:43], v[58:59]
	s_delay_alu instid0(VALU_DEP_1) | instskip(SKIP_2) | instid1(VALU_DEP_2)
	v_cndmask_b32_e64 v65, 0x80000000, v59, s19
	v_cndmask_b32_e64 v64, 0, v58, s19
	v_cmp_lt_i64_e64 s19, -1, v[58:59]
	v_lshrrev_b64 v[64:65], s48, v[64:65]
	v_ashrrev_i32_e32 v65, 31, v59
	s_delay_alu instid0(VALU_DEP_3) | instskip(NEXT) | instid1(VALU_DEP_2)
	v_cndmask_b32_e64 v66, 0x80000000, -1, s19
	v_not_b32_e32 v65, v65
	s_delay_alu instid0(VALU_DEP_4) | instskip(NEXT) | instid1(VALU_DEP_1)
	v_and_b32_e32 v64, s55, v64
	v_dual_lshlrev_b32 v64, 2, v64 :: v_dual_bitop2_b32 v59, v66, v59 bitop3:0x14
	ds_load_b32 v64, v64
	s_wait_dscnt 0x0
	v_dual_add_nc_u32 v64, v64, v101 :: v_dual_bitop2_b32 v58, v65, v58 bitop3:0x14
	global_store_b64 v64, v[58:59], s[40:41] scale_offset
	s_wait_xcnt 0x0
	s_or_b32 exec_lo, exec_lo, s20
	v_cmp_lt_u32_e64 s19, v102, v165
	s_and_saveexec_b32 s21, s19
	s_cbranch_execz .LBB1216_1058
.LBB1216_1126:                          ;   in Loop: Header=BB1216_974 Depth=2
	ds_load_b64 v[58:59], v123 offset:11264
	s_wait_dscnt 0x0
	v_cmp_ne_u64_e64 s20, s[42:43], v[58:59]
	s_delay_alu instid0(VALU_DEP_1) | instskip(SKIP_2) | instid1(VALU_DEP_2)
	v_cndmask_b32_e64 v65, 0x80000000, v59, s20
	v_cndmask_b32_e64 v64, 0, v58, s20
	v_cmp_lt_i64_e64 s20, -1, v[58:59]
	v_lshrrev_b64 v[64:65], s48, v[64:65]
	v_ashrrev_i32_e32 v65, 31, v59
	s_delay_alu instid0(VALU_DEP_3) | instskip(NEXT) | instid1(VALU_DEP_2)
	v_cndmask_b32_e64 v66, 0x80000000, -1, s20
	v_not_b32_e32 v65, v65
	s_delay_alu instid0(VALU_DEP_4) | instskip(NEXT) | instid1(VALU_DEP_3)
	v_and_b32_e32 v64, s55, v64
	v_xor_b32_e32 v59, v66, v59
	s_delay_alu instid0(VALU_DEP_2)
	v_dual_lshlrev_b32 v64, 2, v64 :: v_dual_bitop2_b32 v58, v65, v58 bitop3:0x14
	ds_load_b32 v64, v64
	s_wait_dscnt 0x0
	v_add_nc_u32_e32 v64, v64, v102
	global_store_b64 v64, v[58:59], s[40:41] scale_offset
	s_wait_xcnt 0x0
	s_or_b32 exec_lo, exec_lo, s21
	v_cmp_lt_u32_e64 s20, v103, v165
	s_and_saveexec_b32 s22, s20
	s_cbranch_execz .LBB1216_1059
.LBB1216_1127:                          ;   in Loop: Header=BB1216_974 Depth=2
	ds_load_b64 v[58:59], v123 offset:13312
	s_wait_dscnt 0x0
	v_cmp_ne_u64_e64 s21, s[42:43], v[58:59]
	s_delay_alu instid0(VALU_DEP_1) | instskip(SKIP_2) | instid1(VALU_DEP_2)
	v_cndmask_b32_e64 v65, 0x80000000, v59, s21
	v_cndmask_b32_e64 v64, 0, v58, s21
	v_cmp_lt_i64_e64 s21, -1, v[58:59]
	v_lshrrev_b64 v[64:65], s48, v[64:65]
	v_ashrrev_i32_e32 v65, 31, v59
	s_delay_alu instid0(VALU_DEP_3) | instskip(NEXT) | instid1(VALU_DEP_2)
	v_cndmask_b32_e64 v66, 0x80000000, -1, s21
	v_not_b32_e32 v65, v65
	s_delay_alu instid0(VALU_DEP_4) | instskip(NEXT) | instid1(VALU_DEP_1)
	v_and_b32_e32 v64, s55, v64
	v_dual_lshlrev_b32 v64, 2, v64 :: v_dual_bitop2_b32 v59, v66, v59 bitop3:0x14
	ds_load_b32 v64, v64
	s_wait_dscnt 0x0
	v_dual_add_nc_u32 v64, v64, v103 :: v_dual_bitop2_b32 v58, v65, v58 bitop3:0x14
	global_store_b64 v64, v[58:59], s[40:41] scale_offset
	s_wait_xcnt 0x0
	s_or_b32 exec_lo, exec_lo, s22
	v_cmp_lt_u32_e64 s21, v104, v165
	s_and_saveexec_b32 s23, s21
	s_cbranch_execz .LBB1216_1060
.LBB1216_1128:                          ;   in Loop: Header=BB1216_974 Depth=2
	ds_load_b64 v[58:59], v123 offset:15360
	s_wait_dscnt 0x0
	v_cmp_ne_u64_e64 s22, s[42:43], v[58:59]
	s_delay_alu instid0(VALU_DEP_1) | instskip(SKIP_2) | instid1(VALU_DEP_2)
	v_cndmask_b32_e64 v65, 0x80000000, v59, s22
	v_cndmask_b32_e64 v64, 0, v58, s22
	v_cmp_lt_i64_e64 s22, -1, v[58:59]
	v_lshrrev_b64 v[64:65], s48, v[64:65]
	v_ashrrev_i32_e32 v65, 31, v59
	s_delay_alu instid0(VALU_DEP_3) | instskip(NEXT) | instid1(VALU_DEP_2)
	v_cndmask_b32_e64 v66, 0x80000000, -1, s22
	v_not_b32_e32 v65, v65
	s_delay_alu instid0(VALU_DEP_4) | instskip(NEXT) | instid1(VALU_DEP_1)
	v_and_b32_e32 v64, s55, v64
	v_dual_lshlrev_b32 v64, 2, v64 :: v_dual_bitop2_b32 v59, v66, v59 bitop3:0x14
	ds_load_b32 v64, v64
	s_wait_dscnt 0x0
	v_dual_add_nc_u32 v64, v64, v104 :: v_dual_bitop2_b32 v58, v65, v58 bitop3:0x14
	global_store_b64 v64, v[58:59], s[40:41] scale_offset
	s_wait_xcnt 0x0
	s_or_b32 exec_lo, exec_lo, s23
	v_cmp_lt_u32_e64 s22, v105, v165
	s_and_saveexec_b32 s24, s22
	s_cbranch_execz .LBB1216_1061
.LBB1216_1129:                          ;   in Loop: Header=BB1216_974 Depth=2
	ds_load_b64 v[58:59], v123 offset:17408
	s_wait_dscnt 0x0
	v_cmp_ne_u64_e64 s23, s[42:43], v[58:59]
	s_delay_alu instid0(VALU_DEP_1) | instskip(SKIP_2) | instid1(VALU_DEP_2)
	v_cndmask_b32_e64 v65, 0x80000000, v59, s23
	v_cndmask_b32_e64 v64, 0, v58, s23
	v_cmp_lt_i64_e64 s23, -1, v[58:59]
	v_lshrrev_b64 v[64:65], s48, v[64:65]
	v_ashrrev_i32_e32 v65, 31, v59
	s_delay_alu instid0(VALU_DEP_3) | instskip(NEXT) | instid1(VALU_DEP_2)
	v_cndmask_b32_e64 v66, 0x80000000, -1, s23
	v_not_b32_e32 v65, v65
	s_delay_alu instid0(VALU_DEP_4) | instskip(NEXT) | instid1(VALU_DEP_1)
	v_and_b32_e32 v64, s55, v64
	v_dual_lshlrev_b32 v64, 2, v64 :: v_dual_bitop2_b32 v59, v66, v59 bitop3:0x14
	ds_load_b32 v64, v64
	s_wait_dscnt 0x0
	v_dual_add_nc_u32 v64, v64, v105 :: v_dual_bitop2_b32 v58, v65, v58 bitop3:0x14
	global_store_b64 v64, v[58:59], s[40:41] scale_offset
	s_wait_xcnt 0x0
	s_or_b32 exec_lo, exec_lo, s24
	v_cmp_lt_u32_e64 s23, v106, v165
	s_and_saveexec_b32 s25, s23
	s_cbranch_execz .LBB1216_1062
.LBB1216_1130:                          ;   in Loop: Header=BB1216_974 Depth=2
	ds_load_b64 v[58:59], v123 offset:19456
	s_wait_dscnt 0x0
	v_cmp_ne_u64_e64 s24, s[42:43], v[58:59]
	s_delay_alu instid0(VALU_DEP_1) | instskip(SKIP_2) | instid1(VALU_DEP_2)
	v_cndmask_b32_e64 v65, 0x80000000, v59, s24
	v_cndmask_b32_e64 v64, 0, v58, s24
	v_cmp_lt_i64_e64 s24, -1, v[58:59]
	v_lshrrev_b64 v[64:65], s48, v[64:65]
	v_ashrrev_i32_e32 v65, 31, v59
	s_delay_alu instid0(VALU_DEP_3) | instskip(NEXT) | instid1(VALU_DEP_2)
	v_cndmask_b32_e64 v66, 0x80000000, -1, s24
	v_not_b32_e32 v65, v65
	s_delay_alu instid0(VALU_DEP_4) | instskip(NEXT) | instid1(VALU_DEP_3)
	v_and_b32_e32 v64, s55, v64
	v_xor_b32_e32 v59, v66, v59
	s_delay_alu instid0(VALU_DEP_2)
	v_dual_lshlrev_b32 v64, 2, v64 :: v_dual_bitop2_b32 v58, v65, v58 bitop3:0x14
	ds_load_b32 v64, v64
	s_wait_dscnt 0x0
	v_add_nc_u32_e32 v64, v64, v106
	global_store_b64 v64, v[58:59], s[40:41] scale_offset
	s_wait_xcnt 0x0
	s_or_b32 exec_lo, exec_lo, s25
	v_cmp_lt_u32_e64 s24, v107, v165
	s_and_saveexec_b32 s26, s24
	s_cbranch_execz .LBB1216_1063
.LBB1216_1131:                          ;   in Loop: Header=BB1216_974 Depth=2
	ds_load_b64 v[58:59], v123 offset:21504
	s_wait_dscnt 0x0
	v_cmp_ne_u64_e64 s25, s[42:43], v[58:59]
	s_delay_alu instid0(VALU_DEP_1) | instskip(SKIP_2) | instid1(VALU_DEP_2)
	v_cndmask_b32_e64 v65, 0x80000000, v59, s25
	v_cndmask_b32_e64 v64, 0, v58, s25
	v_cmp_lt_i64_e64 s25, -1, v[58:59]
	v_lshrrev_b64 v[64:65], s48, v[64:65]
	v_ashrrev_i32_e32 v65, 31, v59
	s_delay_alu instid0(VALU_DEP_3) | instskip(NEXT) | instid1(VALU_DEP_2)
	v_cndmask_b32_e64 v66, 0x80000000, -1, s25
	v_not_b32_e32 v65, v65
	s_delay_alu instid0(VALU_DEP_4) | instskip(NEXT) | instid1(VALU_DEP_1)
	v_and_b32_e32 v64, s55, v64
	v_dual_lshlrev_b32 v64, 2, v64 :: v_dual_bitop2_b32 v59, v66, v59 bitop3:0x14
	ds_load_b32 v64, v64
	s_wait_dscnt 0x0
	v_dual_add_nc_u32 v64, v64, v107 :: v_dual_bitop2_b32 v58, v65, v58 bitop3:0x14
	global_store_b64 v64, v[58:59], s[40:41] scale_offset
	s_wait_xcnt 0x0
	s_or_b32 exec_lo, exec_lo, s26
	v_cmp_lt_u32_e64 s25, v108, v165
	s_and_saveexec_b32 s27, s25
	s_cbranch_execz .LBB1216_1064
.LBB1216_1132:                          ;   in Loop: Header=BB1216_974 Depth=2
	ds_load_b64 v[58:59], v123 offset:23552
	s_wait_dscnt 0x0
	v_cmp_ne_u64_e64 s26, s[42:43], v[58:59]
	s_delay_alu instid0(VALU_DEP_1) | instskip(SKIP_2) | instid1(VALU_DEP_2)
	v_cndmask_b32_e64 v65, 0x80000000, v59, s26
	v_cndmask_b32_e64 v64, 0, v58, s26
	v_cmp_lt_i64_e64 s26, -1, v[58:59]
	v_lshrrev_b64 v[64:65], s48, v[64:65]
	v_ashrrev_i32_e32 v65, 31, v59
	s_delay_alu instid0(VALU_DEP_3) | instskip(NEXT) | instid1(VALU_DEP_2)
	v_cndmask_b32_e64 v66, 0x80000000, -1, s26
	v_not_b32_e32 v65, v65
	s_delay_alu instid0(VALU_DEP_4) | instskip(NEXT) | instid1(VALU_DEP_1)
	v_and_b32_e32 v64, s55, v64
	v_dual_lshlrev_b32 v64, 2, v64 :: v_dual_bitop2_b32 v59, v66, v59 bitop3:0x14
	ds_load_b32 v64, v64
	s_wait_dscnt 0x0
	v_dual_add_nc_u32 v64, v64, v108 :: v_dual_bitop2_b32 v58, v65, v58 bitop3:0x14
	global_store_b64 v64, v[58:59], s[40:41] scale_offset
	s_wait_xcnt 0x0
	s_or_b32 exec_lo, exec_lo, s27
	v_cmp_lt_u32_e64 s26, v109, v165
	s_and_saveexec_b32 s28, s26
	s_cbranch_execz .LBB1216_1065
.LBB1216_1133:                          ;   in Loop: Header=BB1216_974 Depth=2
	ds_load_b64 v[58:59], v123 offset:25600
	s_wait_dscnt 0x0
	v_cmp_ne_u64_e64 s27, s[42:43], v[58:59]
	s_delay_alu instid0(VALU_DEP_1) | instskip(SKIP_2) | instid1(VALU_DEP_2)
	v_cndmask_b32_e64 v65, 0x80000000, v59, s27
	v_cndmask_b32_e64 v64, 0, v58, s27
	v_cmp_lt_i64_e64 s27, -1, v[58:59]
	v_lshrrev_b64 v[64:65], s48, v[64:65]
	v_ashrrev_i32_e32 v65, 31, v59
	s_delay_alu instid0(VALU_DEP_3) | instskip(NEXT) | instid1(VALU_DEP_2)
	v_cndmask_b32_e64 v66, 0x80000000, -1, s27
	v_not_b32_e32 v65, v65
	s_delay_alu instid0(VALU_DEP_4) | instskip(NEXT) | instid1(VALU_DEP_1)
	v_and_b32_e32 v64, s55, v64
	v_dual_lshlrev_b32 v64, 2, v64 :: v_dual_bitop2_b32 v59, v66, v59 bitop3:0x14
	ds_load_b32 v64, v64
	s_wait_dscnt 0x0
	v_dual_add_nc_u32 v64, v64, v109 :: v_dual_bitop2_b32 v58, v65, v58 bitop3:0x14
	global_store_b64 v64, v[58:59], s[40:41] scale_offset
	s_wait_xcnt 0x0
	s_or_b32 exec_lo, exec_lo, s28
	v_cmp_lt_u32_e64 s27, v110, v165
	s_and_saveexec_b32 s29, s27
	s_cbranch_execz .LBB1216_1066
.LBB1216_1134:                          ;   in Loop: Header=BB1216_974 Depth=2
	ds_load_b64 v[58:59], v123 offset:27648
	s_wait_dscnt 0x0
	v_cmp_ne_u64_e64 s28, s[42:43], v[58:59]
	s_delay_alu instid0(VALU_DEP_1) | instskip(SKIP_2) | instid1(VALU_DEP_2)
	v_cndmask_b32_e64 v65, 0x80000000, v59, s28
	v_cndmask_b32_e64 v64, 0, v58, s28
	v_cmp_lt_i64_e64 s28, -1, v[58:59]
	v_lshrrev_b64 v[64:65], s48, v[64:65]
	v_ashrrev_i32_e32 v65, 31, v59
	s_delay_alu instid0(VALU_DEP_3) | instskip(NEXT) | instid1(VALU_DEP_2)
	v_cndmask_b32_e64 v66, 0x80000000, -1, s28
	v_not_b32_e32 v65, v65
	s_delay_alu instid0(VALU_DEP_4) | instskip(NEXT) | instid1(VALU_DEP_3)
	v_and_b32_e32 v64, s55, v64
	v_xor_b32_e32 v59, v66, v59
	s_delay_alu instid0(VALU_DEP_2)
	v_dual_lshlrev_b32 v64, 2, v64 :: v_dual_bitop2_b32 v58, v65, v58 bitop3:0x14
	ds_load_b32 v64, v64
	s_wait_dscnt 0x0
	v_add_nc_u32_e32 v64, v64, v110
	global_store_b64 v64, v[58:59], s[40:41] scale_offset
	s_wait_xcnt 0x0
	s_or_b32 exec_lo, exec_lo, s29
	v_cmp_lt_u32_e64 s28, v111, v165
	s_and_saveexec_b32 s30, s28
	s_cbranch_execz .LBB1216_1067
.LBB1216_1135:                          ;   in Loop: Header=BB1216_974 Depth=2
	ds_load_b64 v[58:59], v123 offset:29696
	s_wait_dscnt 0x0
	v_cmp_ne_u64_e64 s29, s[42:43], v[58:59]
	s_delay_alu instid0(VALU_DEP_1) | instskip(SKIP_2) | instid1(VALU_DEP_2)
	v_cndmask_b32_e64 v65, 0x80000000, v59, s29
	v_cndmask_b32_e64 v64, 0, v58, s29
	v_cmp_lt_i64_e64 s29, -1, v[58:59]
	v_lshrrev_b64 v[64:65], s48, v[64:65]
	v_ashrrev_i32_e32 v65, 31, v59
	s_delay_alu instid0(VALU_DEP_3) | instskip(NEXT) | instid1(VALU_DEP_2)
	v_cndmask_b32_e64 v66, 0x80000000, -1, s29
	v_not_b32_e32 v65, v65
	s_delay_alu instid0(VALU_DEP_4) | instskip(NEXT) | instid1(VALU_DEP_1)
	v_and_b32_e32 v64, s55, v64
	v_dual_lshlrev_b32 v64, 2, v64 :: v_dual_bitop2_b32 v59, v66, v59 bitop3:0x14
	ds_load_b32 v64, v64
	s_wait_dscnt 0x0
	v_dual_add_nc_u32 v64, v64, v111 :: v_dual_bitop2_b32 v58, v65, v58 bitop3:0x14
	global_store_b64 v64, v[58:59], s[40:41] scale_offset
	s_wait_xcnt 0x0
	s_or_b32 exec_lo, exec_lo, s30
	v_cmp_lt_u32_e64 s29, v112, v165
	s_and_saveexec_b32 s61, s29
	s_cbranch_execnz .LBB1216_1068
	s_branch .LBB1216_1069
.LBB1216_1136:                          ;   in Loop: Header=BB1216_974 Depth=2
	global_load_b64 v[56:57], v[58:59], off
	s_wait_xcnt 0x0
	s_or_b32 exec_lo, exec_lo, s30
	s_delay_alu instid0(SALU_CYCLE_1)
	s_mov_b32 s34, exec_lo
	v_cmpx_lt_u32_e64 v132, v165
	s_cbranch_execz .LBB1216_1071
.LBB1216_1137:                          ;   in Loop: Header=BB1216_974 Depth=2
	global_load_b64 v[54:55], v[58:59], off offset:256
	s_wait_xcnt 0x0
	s_or_b32 exec_lo, exec_lo, s34
	s_delay_alu instid0(SALU_CYCLE_1)
	s_mov_b32 s34, exec_lo
	v_cmpx_lt_u32_e64 v133, v165
	s_cbranch_execz .LBB1216_1072
.LBB1216_1138:                          ;   in Loop: Header=BB1216_974 Depth=2
	global_load_b64 v[52:53], v[58:59], off offset:512
	s_wait_xcnt 0x0
	s_or_b32 exec_lo, exec_lo, s34
	s_delay_alu instid0(SALU_CYCLE_1)
	s_mov_b32 s34, exec_lo
	v_cmpx_lt_u32_e64 v134, v165
	s_cbranch_execz .LBB1216_1073
.LBB1216_1139:                          ;   in Loop: Header=BB1216_974 Depth=2
	global_load_b64 v[50:51], v[58:59], off offset:768
	s_wait_xcnt 0x0
	s_or_b32 exec_lo, exec_lo, s34
	s_delay_alu instid0(SALU_CYCLE_1)
	s_mov_b32 s34, exec_lo
	v_cmpx_lt_u32_e64 v135, v165
	s_cbranch_execz .LBB1216_1074
.LBB1216_1140:                          ;   in Loop: Header=BB1216_974 Depth=2
	global_load_b64 v[48:49], v[58:59], off offset:1024
	s_wait_xcnt 0x0
	s_or_b32 exec_lo, exec_lo, s34
	s_delay_alu instid0(SALU_CYCLE_1)
	s_mov_b32 s34, exec_lo
	v_cmpx_lt_u32_e64 v136, v165
	s_cbranch_execz .LBB1216_1075
.LBB1216_1141:                          ;   in Loop: Header=BB1216_974 Depth=2
	global_load_b64 v[46:47], v[58:59], off offset:1280
	s_wait_xcnt 0x0
	s_or_b32 exec_lo, exec_lo, s34
	s_delay_alu instid0(SALU_CYCLE_1)
	s_mov_b32 s34, exec_lo
	v_cmpx_lt_u32_e64 v137, v165
	s_cbranch_execz .LBB1216_1076
.LBB1216_1142:                          ;   in Loop: Header=BB1216_974 Depth=2
	global_load_b64 v[44:45], v[58:59], off offset:1536
	s_wait_xcnt 0x0
	s_or_b32 exec_lo, exec_lo, s34
	s_delay_alu instid0(SALU_CYCLE_1)
	s_mov_b32 s34, exec_lo
	v_cmpx_lt_u32_e64 v138, v165
	s_cbranch_execz .LBB1216_1077
.LBB1216_1143:                          ;   in Loop: Header=BB1216_974 Depth=2
	global_load_b64 v[42:43], v[58:59], off offset:1792
	s_wait_xcnt 0x0
	s_or_b32 exec_lo, exec_lo, s34
	s_delay_alu instid0(SALU_CYCLE_1)
	s_mov_b32 s34, exec_lo
	v_cmpx_lt_u32_e64 v139, v165
	s_cbranch_execz .LBB1216_1078
.LBB1216_1144:                          ;   in Loop: Header=BB1216_974 Depth=2
	global_load_b64 v[40:41], v[58:59], off offset:2048
	s_wait_xcnt 0x0
	s_or_b32 exec_lo, exec_lo, s34
	s_delay_alu instid0(SALU_CYCLE_1)
	s_mov_b32 s34, exec_lo
	v_cmpx_lt_u32_e64 v140, v165
	s_cbranch_execz .LBB1216_1079
.LBB1216_1145:                          ;   in Loop: Header=BB1216_974 Depth=2
	global_load_b64 v[38:39], v[58:59], off offset:2304
	s_wait_xcnt 0x0
	s_or_b32 exec_lo, exec_lo, s34
	s_delay_alu instid0(SALU_CYCLE_1)
	s_mov_b32 s34, exec_lo
	v_cmpx_lt_u32_e64 v141, v165
	s_cbranch_execz .LBB1216_1080
.LBB1216_1146:                          ;   in Loop: Header=BB1216_974 Depth=2
	global_load_b64 v[36:37], v[58:59], off offset:2560
	s_wait_xcnt 0x0
	s_or_b32 exec_lo, exec_lo, s34
	s_delay_alu instid0(SALU_CYCLE_1)
	s_mov_b32 s34, exec_lo
	v_cmpx_lt_u32_e64 v142, v165
	s_cbranch_execz .LBB1216_1081
.LBB1216_1147:                          ;   in Loop: Header=BB1216_974 Depth=2
	global_load_b64 v[34:35], v[58:59], off offset:2816
	s_wait_xcnt 0x0
	s_or_b32 exec_lo, exec_lo, s34
	s_delay_alu instid0(SALU_CYCLE_1)
	s_mov_b32 s34, exec_lo
	v_cmpx_lt_u32_e64 v143, v165
	s_cbranch_execz .LBB1216_1082
.LBB1216_1148:                          ;   in Loop: Header=BB1216_974 Depth=2
	global_load_b64 v[32:33], v[58:59], off offset:3072
	s_wait_xcnt 0x0
	s_or_b32 exec_lo, exec_lo, s34
	s_delay_alu instid0(SALU_CYCLE_1)
	s_mov_b32 s34, exec_lo
	v_cmpx_lt_u32_e64 v144, v165
	s_cbranch_execz .LBB1216_1083
.LBB1216_1149:                          ;   in Loop: Header=BB1216_974 Depth=2
	global_load_b64 v[30:31], v[58:59], off offset:3328
	s_wait_xcnt 0x0
	s_or_b32 exec_lo, exec_lo, s34
	s_delay_alu instid0(SALU_CYCLE_1)
	s_mov_b32 s34, exec_lo
	v_cmpx_lt_u32_e64 v145, v165
	s_cbranch_execz .LBB1216_1084
.LBB1216_1150:                          ;   in Loop: Header=BB1216_974 Depth=2
	global_load_b64 v[28:29], v[58:59], off offset:3584
	s_wait_xcnt 0x0
	s_or_b32 exec_lo, exec_lo, s34
	s_delay_alu instid0(SALU_CYCLE_1)
	s_mov_b32 s34, exec_lo
	v_cmpx_lt_u32_e64 v146, v165
	s_cbranch_execz .LBB1216_1085
.LBB1216_1151:                          ;   in Loop: Header=BB1216_974 Depth=2
	global_load_b64 v[26:27], v[58:59], off offset:3840
	s_wait_xcnt 0x0
	s_or_b32 exec_lo, exec_lo, s34
	s_and_saveexec_b32 s34, vcc_lo
	s_cbranch_execz .LBB1216_1086
.LBB1216_1152:                          ;   in Loop: Header=BB1216_974 Depth=2
	ds_load_b64 v[58:59], v123 offset:1024
	s_wait_dscnt 0x0
	v_cmp_ne_u64_e64 s30, s[42:43], v[58:59]
	s_delay_alu instid0(VALU_DEP_1) | instskip(SKIP_1) | instid1(VALU_DEP_1)
	v_cndmask_b32_e64 v59, 0x80000000, v59, s30
	v_cndmask_b32_e64 v58, 0, v58, s30
	v_lshrrev_b64 v[58:59], s48, v[58:59]
	s_delay_alu instid0(VALU_DEP_1)
	v_and_b32_e32 v164, s55, v58
	s_or_b32 exec_lo, exec_lo, s34
	s_and_saveexec_b32 s34, s15
	s_cbranch_execz .LBB1216_1087
.LBB1216_1153:                          ;   in Loop: Header=BB1216_974 Depth=2
	ds_load_b64 v[58:59], v123 offset:3072
	s_wait_dscnt 0x0
	v_cmp_ne_u64_e64 s30, s[42:43], v[58:59]
	s_delay_alu instid0(VALU_DEP_1) | instskip(SKIP_1) | instid1(VALU_DEP_1)
	v_cndmask_b32_e64 v59, 0x80000000, v59, s30
	v_cndmask_b32_e64 v58, 0, v58, s30
	v_lshrrev_b64 v[58:59], s48, v[58:59]
	s_delay_alu instid0(VALU_DEP_1)
	v_and_b32_e32 v163, s55, v58
	s_or_b32 exec_lo, exec_lo, s34
	s_and_saveexec_b32 s34, s16
	s_cbranch_execz .LBB1216_1088
.LBB1216_1154:                          ;   in Loop: Header=BB1216_974 Depth=2
	ds_load_b64 v[58:59], v123 offset:5120
	s_wait_dscnt 0x0
	v_cmp_ne_u64_e64 s30, s[42:43], v[58:59]
	s_delay_alu instid0(VALU_DEP_1) | instskip(SKIP_1) | instid1(VALU_DEP_1)
	v_cndmask_b32_e64 v59, 0x80000000, v59, s30
	v_cndmask_b32_e64 v58, 0, v58, s30
	v_lshrrev_b64 v[58:59], s48, v[58:59]
	s_delay_alu instid0(VALU_DEP_1)
	v_and_b32_e32 v162, s55, v58
	s_or_b32 exec_lo, exec_lo, s34
	s_and_saveexec_b32 s34, s17
	s_cbranch_execz .LBB1216_1089
.LBB1216_1155:                          ;   in Loop: Header=BB1216_974 Depth=2
	ds_load_b64 v[58:59], v123 offset:7168
	s_wait_dscnt 0x0
	v_cmp_ne_u64_e64 s30, s[42:43], v[58:59]
	s_delay_alu instid0(VALU_DEP_1) | instskip(SKIP_1) | instid1(VALU_DEP_1)
	v_cndmask_b32_e64 v59, 0x80000000, v59, s30
	v_cndmask_b32_e64 v58, 0, v58, s30
	v_lshrrev_b64 v[58:59], s48, v[58:59]
	s_delay_alu instid0(VALU_DEP_1)
	v_and_b32_e32 v161, s55, v58
	s_or_b32 exec_lo, exec_lo, s34
	s_and_saveexec_b32 s34, s18
	s_cbranch_execz .LBB1216_1090
.LBB1216_1156:                          ;   in Loop: Header=BB1216_974 Depth=2
	ds_load_b64 v[58:59], v123 offset:9216
	s_wait_dscnt 0x0
	v_cmp_ne_u64_e64 s30, s[42:43], v[58:59]
	s_delay_alu instid0(VALU_DEP_1) | instskip(SKIP_1) | instid1(VALU_DEP_1)
	v_cndmask_b32_e64 v59, 0x80000000, v59, s30
	v_cndmask_b32_e64 v58, 0, v58, s30
	v_lshrrev_b64 v[58:59], s48, v[58:59]
	s_delay_alu instid0(VALU_DEP_1)
	v_and_b32_e32 v160, s55, v58
	s_or_b32 exec_lo, exec_lo, s34
	s_and_saveexec_b32 s34, s19
	s_cbranch_execz .LBB1216_1091
.LBB1216_1157:                          ;   in Loop: Header=BB1216_974 Depth=2
	ds_load_b64 v[58:59], v123 offset:11264
	s_wait_dscnt 0x0
	v_cmp_ne_u64_e64 s30, s[42:43], v[58:59]
	s_delay_alu instid0(VALU_DEP_1) | instskip(SKIP_1) | instid1(VALU_DEP_1)
	v_cndmask_b32_e64 v59, 0x80000000, v59, s30
	v_cndmask_b32_e64 v58, 0, v58, s30
	v_lshrrev_b64 v[58:59], s48, v[58:59]
	s_delay_alu instid0(VALU_DEP_1)
	v_and_b32_e32 v159, s55, v58
	s_or_b32 exec_lo, exec_lo, s34
	s_and_saveexec_b32 s34, s20
	s_cbranch_execz .LBB1216_1092
.LBB1216_1158:                          ;   in Loop: Header=BB1216_974 Depth=2
	ds_load_b64 v[58:59], v123 offset:13312
	s_wait_dscnt 0x0
	v_cmp_ne_u64_e64 s30, s[42:43], v[58:59]
	s_delay_alu instid0(VALU_DEP_1) | instskip(SKIP_1) | instid1(VALU_DEP_1)
	v_cndmask_b32_e64 v59, 0x80000000, v59, s30
	v_cndmask_b32_e64 v58, 0, v58, s30
	v_lshrrev_b64 v[58:59], s48, v[58:59]
	s_delay_alu instid0(VALU_DEP_1)
	v_and_b32_e32 v158, s55, v58
	s_or_b32 exec_lo, exec_lo, s34
	s_and_saveexec_b32 s34, s21
	s_cbranch_execz .LBB1216_1093
.LBB1216_1159:                          ;   in Loop: Header=BB1216_974 Depth=2
	ds_load_b64 v[58:59], v123 offset:15360
	s_wait_dscnt 0x0
	v_cmp_ne_u64_e64 s30, s[42:43], v[58:59]
	s_delay_alu instid0(VALU_DEP_1) | instskip(SKIP_1) | instid1(VALU_DEP_1)
	v_cndmask_b32_e64 v59, 0x80000000, v59, s30
	v_cndmask_b32_e64 v58, 0, v58, s30
	v_lshrrev_b64 v[58:59], s48, v[58:59]
	s_delay_alu instid0(VALU_DEP_1)
	v_and_b32_e32 v157, s55, v58
	s_or_b32 exec_lo, exec_lo, s34
	s_and_saveexec_b32 s34, s22
	s_cbranch_execz .LBB1216_1094
.LBB1216_1160:                          ;   in Loop: Header=BB1216_974 Depth=2
	ds_load_b64 v[58:59], v123 offset:17408
	s_wait_dscnt 0x0
	v_cmp_ne_u64_e64 s30, s[42:43], v[58:59]
	s_delay_alu instid0(VALU_DEP_1) | instskip(SKIP_1) | instid1(VALU_DEP_1)
	v_cndmask_b32_e64 v59, 0x80000000, v59, s30
	v_cndmask_b32_e64 v58, 0, v58, s30
	v_lshrrev_b64 v[58:59], s48, v[58:59]
	s_delay_alu instid0(VALU_DEP_1)
	v_and_b32_e32 v156, s55, v58
	s_or_b32 exec_lo, exec_lo, s34
	s_and_saveexec_b32 s34, s23
	s_cbranch_execz .LBB1216_1095
.LBB1216_1161:                          ;   in Loop: Header=BB1216_974 Depth=2
	ds_load_b64 v[58:59], v123 offset:19456
	s_wait_dscnt 0x0
	v_cmp_ne_u64_e64 s30, s[42:43], v[58:59]
	s_delay_alu instid0(VALU_DEP_1) | instskip(SKIP_1) | instid1(VALU_DEP_1)
	v_cndmask_b32_e64 v59, 0x80000000, v59, s30
	v_cndmask_b32_e64 v58, 0, v58, s30
	v_lshrrev_b64 v[58:59], s48, v[58:59]
	s_delay_alu instid0(VALU_DEP_1)
	v_and_b32_e32 v155, s55, v58
	s_or_b32 exec_lo, exec_lo, s34
	s_and_saveexec_b32 s34, s24
	s_cbranch_execz .LBB1216_1096
.LBB1216_1162:                          ;   in Loop: Header=BB1216_974 Depth=2
	ds_load_b64 v[58:59], v123 offset:21504
	s_wait_dscnt 0x0
	v_cmp_ne_u64_e64 s30, s[42:43], v[58:59]
	s_delay_alu instid0(VALU_DEP_1) | instskip(SKIP_1) | instid1(VALU_DEP_1)
	v_cndmask_b32_e64 v59, 0x80000000, v59, s30
	v_cndmask_b32_e64 v58, 0, v58, s30
	v_lshrrev_b64 v[58:59], s48, v[58:59]
	s_delay_alu instid0(VALU_DEP_1)
	v_and_b32_e32 v154, s55, v58
	s_or_b32 exec_lo, exec_lo, s34
	s_and_saveexec_b32 s34, s25
	s_cbranch_execz .LBB1216_1097
.LBB1216_1163:                          ;   in Loop: Header=BB1216_974 Depth=2
	ds_load_b64 v[58:59], v123 offset:23552
	s_wait_dscnt 0x0
	v_cmp_ne_u64_e64 s30, s[42:43], v[58:59]
	s_delay_alu instid0(VALU_DEP_1) | instskip(SKIP_1) | instid1(VALU_DEP_1)
	v_cndmask_b32_e64 v59, 0x80000000, v59, s30
	v_cndmask_b32_e64 v58, 0, v58, s30
	v_lshrrev_b64 v[58:59], s48, v[58:59]
	s_delay_alu instid0(VALU_DEP_1)
	v_and_b32_e32 v153, s55, v58
	s_or_b32 exec_lo, exec_lo, s34
	s_and_saveexec_b32 s34, s26
	s_cbranch_execz .LBB1216_1098
.LBB1216_1164:                          ;   in Loop: Header=BB1216_974 Depth=2
	ds_load_b64 v[58:59], v123 offset:25600
	s_wait_dscnt 0x0
	v_cmp_ne_u64_e64 s30, s[42:43], v[58:59]
	s_delay_alu instid0(VALU_DEP_1) | instskip(SKIP_1) | instid1(VALU_DEP_1)
	v_cndmask_b32_e64 v59, 0x80000000, v59, s30
	v_cndmask_b32_e64 v58, 0, v58, s30
	v_lshrrev_b64 v[58:59], s48, v[58:59]
	s_delay_alu instid0(VALU_DEP_1)
	v_and_b32_e32 v152, s55, v58
	s_or_b32 exec_lo, exec_lo, s34
	s_and_saveexec_b32 s34, s27
	s_cbranch_execz .LBB1216_1099
.LBB1216_1165:                          ;   in Loop: Header=BB1216_974 Depth=2
	ds_load_b64 v[58:59], v123 offset:27648
	s_wait_dscnt 0x0
	v_cmp_ne_u64_e64 s30, s[42:43], v[58:59]
	s_delay_alu instid0(VALU_DEP_1) | instskip(SKIP_1) | instid1(VALU_DEP_1)
	v_cndmask_b32_e64 v59, 0x80000000, v59, s30
	v_cndmask_b32_e64 v58, 0, v58, s30
	v_lshrrev_b64 v[58:59], s48, v[58:59]
	s_delay_alu instid0(VALU_DEP_1)
	v_and_b32_e32 v151, s55, v58
	s_or_b32 exec_lo, exec_lo, s34
	s_and_saveexec_b32 s34, s28
	s_cbranch_execz .LBB1216_1100
.LBB1216_1166:                          ;   in Loop: Header=BB1216_974 Depth=2
	ds_load_b64 v[58:59], v123 offset:29696
	s_wait_dscnt 0x0
	v_cmp_ne_u64_e64 s30, s[42:43], v[58:59]
	s_delay_alu instid0(VALU_DEP_1) | instskip(SKIP_1) | instid1(VALU_DEP_1)
	v_cndmask_b32_e64 v59, 0x80000000, v59, s30
	v_cndmask_b32_e64 v58, 0, v58, s30
	v_lshrrev_b64 v[58:59], s48, v[58:59]
	s_delay_alu instid0(VALU_DEP_1)
	v_and_b32_e32 v150, s55, v58
	s_or_b32 exec_lo, exec_lo, s34
	s_and_saveexec_b32 s34, s29
	s_cbranch_execnz .LBB1216_1101
	s_branch .LBB1216_1102
.LBB1216_1167:                          ;   in Loop: Header=BB1216_974 Depth=2
	v_lshlrev_b32_e32 v58, 2, v164
	ds_load_b32 v60, v58
	ds_load_b64 v[58:59], v123 offset:1024
	s_wait_dscnt 0x1
	v_add_nc_u32_e32 v60, v60, v2
	s_wait_dscnt 0x0
	global_store_b64 v60, v[58:59], s[46:47] scale_offset
	s_wait_xcnt 0x0
	s_or_b32 exec_lo, exec_lo, s30
	s_and_saveexec_b32 s30, s15
	s_cbranch_execz .LBB1216_1104
.LBB1216_1168:                          ;   in Loop: Header=BB1216_974 Depth=2
	v_lshlrev_b32_e32 v58, 2, v163
	ds_load_b32 v60, v58
	ds_load_b64 v[58:59], v123 offset:3072
	s_wait_dscnt 0x1
	v_add_nc_u32_e32 v60, v60, v98
	s_wait_dscnt 0x0
	global_store_b64 v60, v[58:59], s[46:47] scale_offset
	s_wait_xcnt 0x0
	s_or_b32 exec_lo, exec_lo, s30
	s_and_saveexec_b32 s15, s16
	s_cbranch_execz .LBB1216_1105
.LBB1216_1169:                          ;   in Loop: Header=BB1216_974 Depth=2
	v_lshlrev_b32_e32 v58, 2, v162
	ds_load_b32 v60, v58
	ds_load_b64 v[58:59], v123 offset:5120
	s_wait_dscnt 0x1
	v_add_nc_u32_e32 v60, v60, v99
	s_wait_dscnt 0x0
	global_store_b64 v60, v[58:59], s[46:47] scale_offset
	s_wait_xcnt 0x0
	s_or_b32 exec_lo, exec_lo, s15
	s_and_saveexec_b32 s15, s17
	s_cbranch_execz .LBB1216_1106
.LBB1216_1170:                          ;   in Loop: Header=BB1216_974 Depth=2
	v_lshlrev_b32_e32 v58, 2, v161
	ds_load_b32 v60, v58
	ds_load_b64 v[58:59], v123 offset:7168
	s_wait_dscnt 0x1
	v_add_nc_u32_e32 v60, v60, v100
	s_wait_dscnt 0x0
	global_store_b64 v60, v[58:59], s[46:47] scale_offset
	s_wait_xcnt 0x0
	s_or_b32 exec_lo, exec_lo, s15
	s_and_saveexec_b32 s15, s18
	s_cbranch_execz .LBB1216_1107
.LBB1216_1171:                          ;   in Loop: Header=BB1216_974 Depth=2
	v_lshlrev_b32_e32 v58, 2, v160
	ds_load_b32 v60, v58
	ds_load_b64 v[58:59], v123 offset:9216
	s_wait_dscnt 0x1
	v_add_nc_u32_e32 v60, v60, v101
	s_wait_dscnt 0x0
	global_store_b64 v60, v[58:59], s[46:47] scale_offset
	s_wait_xcnt 0x0
	s_or_b32 exec_lo, exec_lo, s15
	s_and_saveexec_b32 s15, s19
	s_cbranch_execz .LBB1216_1108
.LBB1216_1172:                          ;   in Loop: Header=BB1216_974 Depth=2
	v_lshlrev_b32_e32 v58, 2, v159
	ds_load_b32 v60, v58
	ds_load_b64 v[58:59], v123 offset:11264
	s_wait_dscnt 0x1
	v_add_nc_u32_e32 v60, v60, v102
	s_wait_dscnt 0x0
	global_store_b64 v60, v[58:59], s[46:47] scale_offset
	s_wait_xcnt 0x0
	s_or_b32 exec_lo, exec_lo, s15
	s_and_saveexec_b32 s15, s20
	s_cbranch_execz .LBB1216_1109
.LBB1216_1173:                          ;   in Loop: Header=BB1216_974 Depth=2
	v_lshlrev_b32_e32 v58, 2, v158
	ds_load_b32 v60, v58
	ds_load_b64 v[58:59], v123 offset:13312
	s_wait_dscnt 0x1
	v_add_nc_u32_e32 v60, v60, v103
	s_wait_dscnt 0x0
	global_store_b64 v60, v[58:59], s[46:47] scale_offset
	s_wait_xcnt 0x0
	s_or_b32 exec_lo, exec_lo, s15
	s_and_saveexec_b32 s15, s21
	s_cbranch_execz .LBB1216_1110
.LBB1216_1174:                          ;   in Loop: Header=BB1216_974 Depth=2
	v_lshlrev_b32_e32 v58, 2, v157
	ds_load_b32 v60, v58
	ds_load_b64 v[58:59], v123 offset:15360
	s_wait_dscnt 0x1
	v_add_nc_u32_e32 v60, v60, v104
	s_wait_dscnt 0x0
	global_store_b64 v60, v[58:59], s[46:47] scale_offset
	s_wait_xcnt 0x0
	s_or_b32 exec_lo, exec_lo, s15
	s_and_saveexec_b32 s15, s22
	s_cbranch_execz .LBB1216_1111
.LBB1216_1175:                          ;   in Loop: Header=BB1216_974 Depth=2
	v_lshlrev_b32_e32 v58, 2, v156
	ds_load_b32 v60, v58
	ds_load_b64 v[58:59], v123 offset:17408
	s_wait_dscnt 0x1
	v_add_nc_u32_e32 v60, v60, v105
	s_wait_dscnt 0x0
	global_store_b64 v60, v[58:59], s[46:47] scale_offset
	s_wait_xcnt 0x0
	s_or_b32 exec_lo, exec_lo, s15
	s_and_saveexec_b32 s15, s23
	s_cbranch_execz .LBB1216_1112
.LBB1216_1176:                          ;   in Loop: Header=BB1216_974 Depth=2
	v_lshlrev_b32_e32 v58, 2, v155
	ds_load_b32 v60, v58
	ds_load_b64 v[58:59], v123 offset:19456
	s_wait_dscnt 0x1
	v_add_nc_u32_e32 v60, v60, v106
	s_wait_dscnt 0x0
	global_store_b64 v60, v[58:59], s[46:47] scale_offset
	s_wait_xcnt 0x0
	s_or_b32 exec_lo, exec_lo, s15
	s_and_saveexec_b32 s15, s24
	s_cbranch_execz .LBB1216_1113
.LBB1216_1177:                          ;   in Loop: Header=BB1216_974 Depth=2
	v_lshlrev_b32_e32 v58, 2, v154
	ds_load_b32 v60, v58
	ds_load_b64 v[58:59], v123 offset:21504
	s_wait_dscnt 0x1
	v_add_nc_u32_e32 v60, v60, v107
	s_wait_dscnt 0x0
	global_store_b64 v60, v[58:59], s[46:47] scale_offset
	s_wait_xcnt 0x0
	s_or_b32 exec_lo, exec_lo, s15
	s_and_saveexec_b32 s15, s25
	s_cbranch_execz .LBB1216_1114
.LBB1216_1178:                          ;   in Loop: Header=BB1216_974 Depth=2
	v_lshlrev_b32_e32 v58, 2, v153
	ds_load_b32 v60, v58
	ds_load_b64 v[58:59], v123 offset:23552
	s_wait_dscnt 0x1
	v_add_nc_u32_e32 v60, v60, v108
	s_wait_dscnt 0x0
	global_store_b64 v60, v[58:59], s[46:47] scale_offset
	s_wait_xcnt 0x0
	s_or_b32 exec_lo, exec_lo, s15
	s_and_saveexec_b32 s15, s26
	s_cbranch_execz .LBB1216_1115
.LBB1216_1179:                          ;   in Loop: Header=BB1216_974 Depth=2
	v_lshlrev_b32_e32 v58, 2, v152
	ds_load_b32 v60, v58
	ds_load_b64 v[58:59], v123 offset:25600
	s_wait_dscnt 0x1
	v_add_nc_u32_e32 v60, v60, v109
	s_wait_dscnt 0x0
	global_store_b64 v60, v[58:59], s[46:47] scale_offset
	s_wait_xcnt 0x0
	s_or_b32 exec_lo, exec_lo, s15
	s_and_saveexec_b32 s15, s27
	s_cbranch_execz .LBB1216_1116
.LBB1216_1180:                          ;   in Loop: Header=BB1216_974 Depth=2
	v_lshlrev_b32_e32 v58, 2, v151
	ds_load_b32 v60, v58
	ds_load_b64 v[58:59], v123 offset:27648
	s_wait_dscnt 0x1
	v_add_nc_u32_e32 v60, v60, v110
	s_wait_dscnt 0x0
	global_store_b64 v60, v[58:59], s[46:47] scale_offset
	s_wait_xcnt 0x0
	s_or_b32 exec_lo, exec_lo, s15
	s_and_saveexec_b32 s15, s28
	s_cbranch_execz .LBB1216_1117
.LBB1216_1181:                          ;   in Loop: Header=BB1216_974 Depth=2
	v_lshlrev_b32_e32 v58, 2, v150
	ds_load_b32 v60, v58
	ds_load_b64 v[58:59], v123 offset:29696
	s_wait_dscnt 0x1
	v_add_nc_u32_e32 v60, v60, v111
	s_wait_dscnt 0x0
	global_store_b64 v60, v[58:59], s[46:47] scale_offset
	s_wait_xcnt 0x0
	s_or_b32 exec_lo, exec_lo, s15
	s_and_saveexec_b32 s15, s29
	s_cbranch_execnz .LBB1216_1118
	s_branch .LBB1216_1119
.LBB1216_1182:
	s_endpgm
	.section	.rodata,"a",@progbits
	.p2align	6, 0x0
	.amdhsa_kernel _ZN7rocprim17ROCPRIM_400000_NS6detail17trampoline_kernelINS0_14default_configENS1_36segmented_radix_sort_config_selectorIdlEEZNS1_25segmented_radix_sort_implIS3_Lb0EPKdPdPKlPlN2at6native12_GLOBAL__N_18offset_tEEE10hipError_tPvRmT1_PNSt15iterator_traitsISK_E10value_typeET2_T3_PNSL_ISQ_E10value_typeET4_jRbjT5_SW_jjP12ihipStream_tbEUlT_E_NS1_11comp_targetILNS1_3genE0ELNS1_11target_archE4294967295ELNS1_3gpuE0ELNS1_3repE0EEENS1_30default_config_static_selectorELNS0_4arch9wavefront6targetE0EEEvSK_
		.amdhsa_group_segment_fixed_size 33824
		.amdhsa_private_segment_fixed_size 0
		.amdhsa_kernarg_size 352
		.amdhsa_user_sgpr_count 4
		.amdhsa_user_sgpr_dispatch_ptr 0
		.amdhsa_user_sgpr_queue_ptr 1
		.amdhsa_user_sgpr_kernarg_segment_ptr 1
		.amdhsa_user_sgpr_dispatch_id 0
		.amdhsa_user_sgpr_kernarg_preload_length 0
		.amdhsa_user_sgpr_kernarg_preload_offset 0
		.amdhsa_user_sgpr_private_segment_size 0
		.amdhsa_wavefront_size32 1
		.amdhsa_uses_dynamic_stack 0
		.amdhsa_enable_private_segment 0
		.amdhsa_system_sgpr_workgroup_id_x 1
		.amdhsa_system_sgpr_workgroup_id_y 1
		.amdhsa_system_sgpr_workgroup_id_z 0
		.amdhsa_system_sgpr_workgroup_info 0
		.amdhsa_system_vgpr_workitem_id 2
		.amdhsa_next_free_vgpr 319
		.amdhsa_next_free_sgpr 63
		.amdhsa_named_barrier_count 0
		.amdhsa_reserve_vcc 1
		.amdhsa_float_round_mode_32 0
		.amdhsa_float_round_mode_16_64 0
		.amdhsa_float_denorm_mode_32 3
		.amdhsa_float_denorm_mode_16_64 3
		.amdhsa_fp16_overflow 0
		.amdhsa_memory_ordered 1
		.amdhsa_forward_progress 1
		.amdhsa_inst_pref_size 255
		.amdhsa_round_robin_scheduling 0
		.amdhsa_exception_fp_ieee_invalid_op 0
		.amdhsa_exception_fp_denorm_src 0
		.amdhsa_exception_fp_ieee_div_zero 0
		.amdhsa_exception_fp_ieee_overflow 0
		.amdhsa_exception_fp_ieee_underflow 0
		.amdhsa_exception_fp_ieee_inexact 0
		.amdhsa_exception_int_div_zero 0
	.end_amdhsa_kernel
	.section	.text._ZN7rocprim17ROCPRIM_400000_NS6detail17trampoline_kernelINS0_14default_configENS1_36segmented_radix_sort_config_selectorIdlEEZNS1_25segmented_radix_sort_implIS3_Lb0EPKdPdPKlPlN2at6native12_GLOBAL__N_18offset_tEEE10hipError_tPvRmT1_PNSt15iterator_traitsISK_E10value_typeET2_T3_PNSL_ISQ_E10value_typeET4_jRbjT5_SW_jjP12ihipStream_tbEUlT_E_NS1_11comp_targetILNS1_3genE0ELNS1_11target_archE4294967295ELNS1_3gpuE0ELNS1_3repE0EEENS1_30default_config_static_selectorELNS0_4arch9wavefront6targetE0EEEvSK_,"axG",@progbits,_ZN7rocprim17ROCPRIM_400000_NS6detail17trampoline_kernelINS0_14default_configENS1_36segmented_radix_sort_config_selectorIdlEEZNS1_25segmented_radix_sort_implIS3_Lb0EPKdPdPKlPlN2at6native12_GLOBAL__N_18offset_tEEE10hipError_tPvRmT1_PNSt15iterator_traitsISK_E10value_typeET2_T3_PNSL_ISQ_E10value_typeET4_jRbjT5_SW_jjP12ihipStream_tbEUlT_E_NS1_11comp_targetILNS1_3genE0ELNS1_11target_archE4294967295ELNS1_3gpuE0ELNS1_3repE0EEENS1_30default_config_static_selectorELNS0_4arch9wavefront6targetE0EEEvSK_,comdat
.Lfunc_end1216:
	.size	_ZN7rocprim17ROCPRIM_400000_NS6detail17trampoline_kernelINS0_14default_configENS1_36segmented_radix_sort_config_selectorIdlEEZNS1_25segmented_radix_sort_implIS3_Lb0EPKdPdPKlPlN2at6native12_GLOBAL__N_18offset_tEEE10hipError_tPvRmT1_PNSt15iterator_traitsISK_E10value_typeET2_T3_PNSL_ISQ_E10value_typeET4_jRbjT5_SW_jjP12ihipStream_tbEUlT_E_NS1_11comp_targetILNS1_3genE0ELNS1_11target_archE4294967295ELNS1_3gpuE0ELNS1_3repE0EEENS1_30default_config_static_selectorELNS0_4arch9wavefront6targetE0EEEvSK_, .Lfunc_end1216-_ZN7rocprim17ROCPRIM_400000_NS6detail17trampoline_kernelINS0_14default_configENS1_36segmented_radix_sort_config_selectorIdlEEZNS1_25segmented_radix_sort_implIS3_Lb0EPKdPdPKlPlN2at6native12_GLOBAL__N_18offset_tEEE10hipError_tPvRmT1_PNSt15iterator_traitsISK_E10value_typeET2_T3_PNSL_ISQ_E10value_typeET4_jRbjT5_SW_jjP12ihipStream_tbEUlT_E_NS1_11comp_targetILNS1_3genE0ELNS1_11target_archE4294967295ELNS1_3gpuE0ELNS1_3repE0EEENS1_30default_config_static_selectorELNS0_4arch9wavefront6targetE0EEEvSK_
                                        ; -- End function
	.set _ZN7rocprim17ROCPRIM_400000_NS6detail17trampoline_kernelINS0_14default_configENS1_36segmented_radix_sort_config_selectorIdlEEZNS1_25segmented_radix_sort_implIS3_Lb0EPKdPdPKlPlN2at6native12_GLOBAL__N_18offset_tEEE10hipError_tPvRmT1_PNSt15iterator_traitsISK_E10value_typeET2_T3_PNSL_ISQ_E10value_typeET4_jRbjT5_SW_jjP12ihipStream_tbEUlT_E_NS1_11comp_targetILNS1_3genE0ELNS1_11target_archE4294967295ELNS1_3gpuE0ELNS1_3repE0EEENS1_30default_config_static_selectorELNS0_4arch9wavefront6targetE0EEEvSK_.num_vgpr, max(220, .L_ZN7rocprim17ROCPRIM_400000_NS6detail40segmented_radix_sort_single_block_helperIdlLj256ELj16ELb0EE4sortIPKdPdPKlPlEEbT_T0_T1_T2_jjjjRNS3_12storage_typeE.num_vgpr)
	.set _ZN7rocprim17ROCPRIM_400000_NS6detail17trampoline_kernelINS0_14default_configENS1_36segmented_radix_sort_config_selectorIdlEEZNS1_25segmented_radix_sort_implIS3_Lb0EPKdPdPKlPlN2at6native12_GLOBAL__N_18offset_tEEE10hipError_tPvRmT1_PNSt15iterator_traitsISK_E10value_typeET2_T3_PNSL_ISQ_E10value_typeET4_jRbjT5_SW_jjP12ihipStream_tbEUlT_E_NS1_11comp_targetILNS1_3genE0ELNS1_11target_archE4294967295ELNS1_3gpuE0ELNS1_3repE0EEENS1_30default_config_static_selectorELNS0_4arch9wavefront6targetE0EEEvSK_.num_agpr, max(0, .L_ZN7rocprim17ROCPRIM_400000_NS6detail40segmented_radix_sort_single_block_helperIdlLj256ELj16ELb0EE4sortIPKdPdPKlPlEEbT_T0_T1_T2_jjjjRNS3_12storage_typeE.num_agpr)
	.set _ZN7rocprim17ROCPRIM_400000_NS6detail17trampoline_kernelINS0_14default_configENS1_36segmented_radix_sort_config_selectorIdlEEZNS1_25segmented_radix_sort_implIS3_Lb0EPKdPdPKlPlN2at6native12_GLOBAL__N_18offset_tEEE10hipError_tPvRmT1_PNSt15iterator_traitsISK_E10value_typeET2_T3_PNSL_ISQ_E10value_typeET4_jRbjT5_SW_jjP12ihipStream_tbEUlT_E_NS1_11comp_targetILNS1_3genE0ELNS1_11target_archE4294967295ELNS1_3gpuE0ELNS1_3repE0EEENS1_30default_config_static_selectorELNS0_4arch9wavefront6targetE0EEEvSK_.numbered_sgpr, max(63, .L_ZN7rocprim17ROCPRIM_400000_NS6detail40segmented_radix_sort_single_block_helperIdlLj256ELj16ELb0EE4sortIPKdPdPKlPlEEbT_T0_T1_T2_jjjjRNS3_12storage_typeE.numbered_sgpr)
	.set _ZN7rocprim17ROCPRIM_400000_NS6detail17trampoline_kernelINS0_14default_configENS1_36segmented_radix_sort_config_selectorIdlEEZNS1_25segmented_radix_sort_implIS3_Lb0EPKdPdPKlPlN2at6native12_GLOBAL__N_18offset_tEEE10hipError_tPvRmT1_PNSt15iterator_traitsISK_E10value_typeET2_T3_PNSL_ISQ_E10value_typeET4_jRbjT5_SW_jjP12ihipStream_tbEUlT_E_NS1_11comp_targetILNS1_3genE0ELNS1_11target_archE4294967295ELNS1_3gpuE0ELNS1_3repE0EEENS1_30default_config_static_selectorELNS0_4arch9wavefront6targetE0EEEvSK_.num_named_barrier, max(0, .L_ZN7rocprim17ROCPRIM_400000_NS6detail40segmented_radix_sort_single_block_helperIdlLj256ELj16ELb0EE4sortIPKdPdPKlPlEEbT_T0_T1_T2_jjjjRNS3_12storage_typeE.num_named_barrier)
	.set _ZN7rocprim17ROCPRIM_400000_NS6detail17trampoline_kernelINS0_14default_configENS1_36segmented_radix_sort_config_selectorIdlEEZNS1_25segmented_radix_sort_implIS3_Lb0EPKdPdPKlPlN2at6native12_GLOBAL__N_18offset_tEEE10hipError_tPvRmT1_PNSt15iterator_traitsISK_E10value_typeET2_T3_PNSL_ISQ_E10value_typeET4_jRbjT5_SW_jjP12ihipStream_tbEUlT_E_NS1_11comp_targetILNS1_3genE0ELNS1_11target_archE4294967295ELNS1_3gpuE0ELNS1_3repE0EEENS1_30default_config_static_selectorELNS0_4arch9wavefront6targetE0EEEvSK_.private_seg_size, 0+max(.L_ZN7rocprim17ROCPRIM_400000_NS6detail40segmented_radix_sort_single_block_helperIdlLj256ELj16ELb0EE4sortIPKdPdPKlPlEEbT_T0_T1_T2_jjjjRNS3_12storage_typeE.private_seg_size)
	.set _ZN7rocprim17ROCPRIM_400000_NS6detail17trampoline_kernelINS0_14default_configENS1_36segmented_radix_sort_config_selectorIdlEEZNS1_25segmented_radix_sort_implIS3_Lb0EPKdPdPKlPlN2at6native12_GLOBAL__N_18offset_tEEE10hipError_tPvRmT1_PNSt15iterator_traitsISK_E10value_typeET2_T3_PNSL_ISQ_E10value_typeET4_jRbjT5_SW_jjP12ihipStream_tbEUlT_E_NS1_11comp_targetILNS1_3genE0ELNS1_11target_archE4294967295ELNS1_3gpuE0ELNS1_3repE0EEENS1_30default_config_static_selectorELNS0_4arch9wavefront6targetE0EEEvSK_.uses_vcc, or(1, .L_ZN7rocprim17ROCPRIM_400000_NS6detail40segmented_radix_sort_single_block_helperIdlLj256ELj16ELb0EE4sortIPKdPdPKlPlEEbT_T0_T1_T2_jjjjRNS3_12storage_typeE.uses_vcc)
	.set _ZN7rocprim17ROCPRIM_400000_NS6detail17trampoline_kernelINS0_14default_configENS1_36segmented_radix_sort_config_selectorIdlEEZNS1_25segmented_radix_sort_implIS3_Lb0EPKdPdPKlPlN2at6native12_GLOBAL__N_18offset_tEEE10hipError_tPvRmT1_PNSt15iterator_traitsISK_E10value_typeET2_T3_PNSL_ISQ_E10value_typeET4_jRbjT5_SW_jjP12ihipStream_tbEUlT_E_NS1_11comp_targetILNS1_3genE0ELNS1_11target_archE4294967295ELNS1_3gpuE0ELNS1_3repE0EEENS1_30default_config_static_selectorELNS0_4arch9wavefront6targetE0EEEvSK_.uses_flat_scratch, or(0, .L_ZN7rocprim17ROCPRIM_400000_NS6detail40segmented_radix_sort_single_block_helperIdlLj256ELj16ELb0EE4sortIPKdPdPKlPlEEbT_T0_T1_T2_jjjjRNS3_12storage_typeE.uses_flat_scratch)
	.set _ZN7rocprim17ROCPRIM_400000_NS6detail17trampoline_kernelINS0_14default_configENS1_36segmented_radix_sort_config_selectorIdlEEZNS1_25segmented_radix_sort_implIS3_Lb0EPKdPdPKlPlN2at6native12_GLOBAL__N_18offset_tEEE10hipError_tPvRmT1_PNSt15iterator_traitsISK_E10value_typeET2_T3_PNSL_ISQ_E10value_typeET4_jRbjT5_SW_jjP12ihipStream_tbEUlT_E_NS1_11comp_targetILNS1_3genE0ELNS1_11target_archE4294967295ELNS1_3gpuE0ELNS1_3repE0EEENS1_30default_config_static_selectorELNS0_4arch9wavefront6targetE0EEEvSK_.has_dyn_sized_stack, or(0, .L_ZN7rocprim17ROCPRIM_400000_NS6detail40segmented_radix_sort_single_block_helperIdlLj256ELj16ELb0EE4sortIPKdPdPKlPlEEbT_T0_T1_T2_jjjjRNS3_12storage_typeE.has_dyn_sized_stack)
	.set _ZN7rocprim17ROCPRIM_400000_NS6detail17trampoline_kernelINS0_14default_configENS1_36segmented_radix_sort_config_selectorIdlEEZNS1_25segmented_radix_sort_implIS3_Lb0EPKdPdPKlPlN2at6native12_GLOBAL__N_18offset_tEEE10hipError_tPvRmT1_PNSt15iterator_traitsISK_E10value_typeET2_T3_PNSL_ISQ_E10value_typeET4_jRbjT5_SW_jjP12ihipStream_tbEUlT_E_NS1_11comp_targetILNS1_3genE0ELNS1_11target_archE4294967295ELNS1_3gpuE0ELNS1_3repE0EEENS1_30default_config_static_selectorELNS0_4arch9wavefront6targetE0EEEvSK_.has_recursion, or(0, .L_ZN7rocprim17ROCPRIM_400000_NS6detail40segmented_radix_sort_single_block_helperIdlLj256ELj16ELb0EE4sortIPKdPdPKlPlEEbT_T0_T1_T2_jjjjRNS3_12storage_typeE.has_recursion)
	.set _ZN7rocprim17ROCPRIM_400000_NS6detail17trampoline_kernelINS0_14default_configENS1_36segmented_radix_sort_config_selectorIdlEEZNS1_25segmented_radix_sort_implIS3_Lb0EPKdPdPKlPlN2at6native12_GLOBAL__N_18offset_tEEE10hipError_tPvRmT1_PNSt15iterator_traitsISK_E10value_typeET2_T3_PNSL_ISQ_E10value_typeET4_jRbjT5_SW_jjP12ihipStream_tbEUlT_E_NS1_11comp_targetILNS1_3genE0ELNS1_11target_archE4294967295ELNS1_3gpuE0ELNS1_3repE0EEENS1_30default_config_static_selectorELNS0_4arch9wavefront6targetE0EEEvSK_.has_indirect_call, or(0, .L_ZN7rocprim17ROCPRIM_400000_NS6detail40segmented_radix_sort_single_block_helperIdlLj256ELj16ELb0EE4sortIPKdPdPKlPlEEbT_T0_T1_T2_jjjjRNS3_12storage_typeE.has_indirect_call)
	.section	.AMDGPU.csdata,"",@progbits
; Kernel info:
; codeLenInByte = 82488
; TotalNumSgprs: 65
; NumVgprs: 319
; ScratchSize: 0
; MemoryBound: 0
; FloatMode: 240
; IeeeMode: 1
; LDSByteSize: 33824 bytes/workgroup (compile time only)
; SGPRBlocks: 0
; VGPRBlocks: 19
; NumSGPRsForWavesPerEU: 65
; NumVGPRsForWavesPerEU: 319
; NamedBarCnt: 0
; Occupancy: 3
; WaveLimiterHint : 1
; COMPUTE_PGM_RSRC2:SCRATCH_EN: 0
; COMPUTE_PGM_RSRC2:USER_SGPR: 4
; COMPUTE_PGM_RSRC2:TRAP_HANDLER: 0
; COMPUTE_PGM_RSRC2:TGID_X_EN: 1
; COMPUTE_PGM_RSRC2:TGID_Y_EN: 1
; COMPUTE_PGM_RSRC2:TGID_Z_EN: 0
; COMPUTE_PGM_RSRC2:TIDIG_COMP_CNT: 2
	.section	.text._ZN7rocprim17ROCPRIM_400000_NS6detail17trampoline_kernelINS0_14default_configENS1_36segmented_radix_sort_config_selectorIdlEEZNS1_25segmented_radix_sort_implIS3_Lb0EPKdPdPKlPlN2at6native12_GLOBAL__N_18offset_tEEE10hipError_tPvRmT1_PNSt15iterator_traitsISK_E10value_typeET2_T3_PNSL_ISQ_E10value_typeET4_jRbjT5_SW_jjP12ihipStream_tbEUlT_E_NS1_11comp_targetILNS1_3genE5ELNS1_11target_archE942ELNS1_3gpuE9ELNS1_3repE0EEENS1_30default_config_static_selectorELNS0_4arch9wavefront6targetE0EEEvSK_,"axG",@progbits,_ZN7rocprim17ROCPRIM_400000_NS6detail17trampoline_kernelINS0_14default_configENS1_36segmented_radix_sort_config_selectorIdlEEZNS1_25segmented_radix_sort_implIS3_Lb0EPKdPdPKlPlN2at6native12_GLOBAL__N_18offset_tEEE10hipError_tPvRmT1_PNSt15iterator_traitsISK_E10value_typeET2_T3_PNSL_ISQ_E10value_typeET4_jRbjT5_SW_jjP12ihipStream_tbEUlT_E_NS1_11comp_targetILNS1_3genE5ELNS1_11target_archE942ELNS1_3gpuE9ELNS1_3repE0EEENS1_30default_config_static_selectorELNS0_4arch9wavefront6targetE0EEEvSK_,comdat
	.globl	_ZN7rocprim17ROCPRIM_400000_NS6detail17trampoline_kernelINS0_14default_configENS1_36segmented_radix_sort_config_selectorIdlEEZNS1_25segmented_radix_sort_implIS3_Lb0EPKdPdPKlPlN2at6native12_GLOBAL__N_18offset_tEEE10hipError_tPvRmT1_PNSt15iterator_traitsISK_E10value_typeET2_T3_PNSL_ISQ_E10value_typeET4_jRbjT5_SW_jjP12ihipStream_tbEUlT_E_NS1_11comp_targetILNS1_3genE5ELNS1_11target_archE942ELNS1_3gpuE9ELNS1_3repE0EEENS1_30default_config_static_selectorELNS0_4arch9wavefront6targetE0EEEvSK_ ; -- Begin function _ZN7rocprim17ROCPRIM_400000_NS6detail17trampoline_kernelINS0_14default_configENS1_36segmented_radix_sort_config_selectorIdlEEZNS1_25segmented_radix_sort_implIS3_Lb0EPKdPdPKlPlN2at6native12_GLOBAL__N_18offset_tEEE10hipError_tPvRmT1_PNSt15iterator_traitsISK_E10value_typeET2_T3_PNSL_ISQ_E10value_typeET4_jRbjT5_SW_jjP12ihipStream_tbEUlT_E_NS1_11comp_targetILNS1_3genE5ELNS1_11target_archE942ELNS1_3gpuE9ELNS1_3repE0EEENS1_30default_config_static_selectorELNS0_4arch9wavefront6targetE0EEEvSK_
	.p2align	8
	.type	_ZN7rocprim17ROCPRIM_400000_NS6detail17trampoline_kernelINS0_14default_configENS1_36segmented_radix_sort_config_selectorIdlEEZNS1_25segmented_radix_sort_implIS3_Lb0EPKdPdPKlPlN2at6native12_GLOBAL__N_18offset_tEEE10hipError_tPvRmT1_PNSt15iterator_traitsISK_E10value_typeET2_T3_PNSL_ISQ_E10value_typeET4_jRbjT5_SW_jjP12ihipStream_tbEUlT_E_NS1_11comp_targetILNS1_3genE5ELNS1_11target_archE942ELNS1_3gpuE9ELNS1_3repE0EEENS1_30default_config_static_selectorELNS0_4arch9wavefront6targetE0EEEvSK_,@function
_ZN7rocprim17ROCPRIM_400000_NS6detail17trampoline_kernelINS0_14default_configENS1_36segmented_radix_sort_config_selectorIdlEEZNS1_25segmented_radix_sort_implIS3_Lb0EPKdPdPKlPlN2at6native12_GLOBAL__N_18offset_tEEE10hipError_tPvRmT1_PNSt15iterator_traitsISK_E10value_typeET2_T3_PNSL_ISQ_E10value_typeET4_jRbjT5_SW_jjP12ihipStream_tbEUlT_E_NS1_11comp_targetILNS1_3genE5ELNS1_11target_archE942ELNS1_3gpuE9ELNS1_3repE0EEENS1_30default_config_static_selectorELNS0_4arch9wavefront6targetE0EEEvSK_: ; @_ZN7rocprim17ROCPRIM_400000_NS6detail17trampoline_kernelINS0_14default_configENS1_36segmented_radix_sort_config_selectorIdlEEZNS1_25segmented_radix_sort_implIS3_Lb0EPKdPdPKlPlN2at6native12_GLOBAL__N_18offset_tEEE10hipError_tPvRmT1_PNSt15iterator_traitsISK_E10value_typeET2_T3_PNSL_ISQ_E10value_typeET4_jRbjT5_SW_jjP12ihipStream_tbEUlT_E_NS1_11comp_targetILNS1_3genE5ELNS1_11target_archE942ELNS1_3gpuE9ELNS1_3repE0EEENS1_30default_config_static_selectorELNS0_4arch9wavefront6targetE0EEEvSK_
; %bb.0:
	.section	.rodata,"a",@progbits
	.p2align	6, 0x0
	.amdhsa_kernel _ZN7rocprim17ROCPRIM_400000_NS6detail17trampoline_kernelINS0_14default_configENS1_36segmented_radix_sort_config_selectorIdlEEZNS1_25segmented_radix_sort_implIS3_Lb0EPKdPdPKlPlN2at6native12_GLOBAL__N_18offset_tEEE10hipError_tPvRmT1_PNSt15iterator_traitsISK_E10value_typeET2_T3_PNSL_ISQ_E10value_typeET4_jRbjT5_SW_jjP12ihipStream_tbEUlT_E_NS1_11comp_targetILNS1_3genE5ELNS1_11target_archE942ELNS1_3gpuE9ELNS1_3repE0EEENS1_30default_config_static_selectorELNS0_4arch9wavefront6targetE0EEEvSK_
		.amdhsa_group_segment_fixed_size 0
		.amdhsa_private_segment_fixed_size 0
		.amdhsa_kernarg_size 96
		.amdhsa_user_sgpr_count 2
		.amdhsa_user_sgpr_dispatch_ptr 0
		.amdhsa_user_sgpr_queue_ptr 0
		.amdhsa_user_sgpr_kernarg_segment_ptr 1
		.amdhsa_user_sgpr_dispatch_id 0
		.amdhsa_user_sgpr_kernarg_preload_length 0
		.amdhsa_user_sgpr_kernarg_preload_offset 0
		.amdhsa_user_sgpr_private_segment_size 0
		.amdhsa_wavefront_size32 1
		.amdhsa_uses_dynamic_stack 0
		.amdhsa_enable_private_segment 0
		.amdhsa_system_sgpr_workgroup_id_x 1
		.amdhsa_system_sgpr_workgroup_id_y 0
		.amdhsa_system_sgpr_workgroup_id_z 0
		.amdhsa_system_sgpr_workgroup_info 0
		.amdhsa_system_vgpr_workitem_id 0
		.amdhsa_next_free_vgpr 1
		.amdhsa_next_free_sgpr 1
		.amdhsa_named_barrier_count 0
		.amdhsa_reserve_vcc 0
		.amdhsa_float_round_mode_32 0
		.amdhsa_float_round_mode_16_64 0
		.amdhsa_float_denorm_mode_32 3
		.amdhsa_float_denorm_mode_16_64 3
		.amdhsa_fp16_overflow 0
		.amdhsa_memory_ordered 1
		.amdhsa_forward_progress 1
		.amdhsa_inst_pref_size 0
		.amdhsa_round_robin_scheduling 0
		.amdhsa_exception_fp_ieee_invalid_op 0
		.amdhsa_exception_fp_denorm_src 0
		.amdhsa_exception_fp_ieee_div_zero 0
		.amdhsa_exception_fp_ieee_overflow 0
		.amdhsa_exception_fp_ieee_underflow 0
		.amdhsa_exception_fp_ieee_inexact 0
		.amdhsa_exception_int_div_zero 0
	.end_amdhsa_kernel
	.section	.text._ZN7rocprim17ROCPRIM_400000_NS6detail17trampoline_kernelINS0_14default_configENS1_36segmented_radix_sort_config_selectorIdlEEZNS1_25segmented_radix_sort_implIS3_Lb0EPKdPdPKlPlN2at6native12_GLOBAL__N_18offset_tEEE10hipError_tPvRmT1_PNSt15iterator_traitsISK_E10value_typeET2_T3_PNSL_ISQ_E10value_typeET4_jRbjT5_SW_jjP12ihipStream_tbEUlT_E_NS1_11comp_targetILNS1_3genE5ELNS1_11target_archE942ELNS1_3gpuE9ELNS1_3repE0EEENS1_30default_config_static_selectorELNS0_4arch9wavefront6targetE0EEEvSK_,"axG",@progbits,_ZN7rocprim17ROCPRIM_400000_NS6detail17trampoline_kernelINS0_14default_configENS1_36segmented_radix_sort_config_selectorIdlEEZNS1_25segmented_radix_sort_implIS3_Lb0EPKdPdPKlPlN2at6native12_GLOBAL__N_18offset_tEEE10hipError_tPvRmT1_PNSt15iterator_traitsISK_E10value_typeET2_T3_PNSL_ISQ_E10value_typeET4_jRbjT5_SW_jjP12ihipStream_tbEUlT_E_NS1_11comp_targetILNS1_3genE5ELNS1_11target_archE942ELNS1_3gpuE9ELNS1_3repE0EEENS1_30default_config_static_selectorELNS0_4arch9wavefront6targetE0EEEvSK_,comdat
.Lfunc_end1217:
	.size	_ZN7rocprim17ROCPRIM_400000_NS6detail17trampoline_kernelINS0_14default_configENS1_36segmented_radix_sort_config_selectorIdlEEZNS1_25segmented_radix_sort_implIS3_Lb0EPKdPdPKlPlN2at6native12_GLOBAL__N_18offset_tEEE10hipError_tPvRmT1_PNSt15iterator_traitsISK_E10value_typeET2_T3_PNSL_ISQ_E10value_typeET4_jRbjT5_SW_jjP12ihipStream_tbEUlT_E_NS1_11comp_targetILNS1_3genE5ELNS1_11target_archE942ELNS1_3gpuE9ELNS1_3repE0EEENS1_30default_config_static_selectorELNS0_4arch9wavefront6targetE0EEEvSK_, .Lfunc_end1217-_ZN7rocprim17ROCPRIM_400000_NS6detail17trampoline_kernelINS0_14default_configENS1_36segmented_radix_sort_config_selectorIdlEEZNS1_25segmented_radix_sort_implIS3_Lb0EPKdPdPKlPlN2at6native12_GLOBAL__N_18offset_tEEE10hipError_tPvRmT1_PNSt15iterator_traitsISK_E10value_typeET2_T3_PNSL_ISQ_E10value_typeET4_jRbjT5_SW_jjP12ihipStream_tbEUlT_E_NS1_11comp_targetILNS1_3genE5ELNS1_11target_archE942ELNS1_3gpuE9ELNS1_3repE0EEENS1_30default_config_static_selectorELNS0_4arch9wavefront6targetE0EEEvSK_
                                        ; -- End function
	.set _ZN7rocprim17ROCPRIM_400000_NS6detail17trampoline_kernelINS0_14default_configENS1_36segmented_radix_sort_config_selectorIdlEEZNS1_25segmented_radix_sort_implIS3_Lb0EPKdPdPKlPlN2at6native12_GLOBAL__N_18offset_tEEE10hipError_tPvRmT1_PNSt15iterator_traitsISK_E10value_typeET2_T3_PNSL_ISQ_E10value_typeET4_jRbjT5_SW_jjP12ihipStream_tbEUlT_E_NS1_11comp_targetILNS1_3genE5ELNS1_11target_archE942ELNS1_3gpuE9ELNS1_3repE0EEENS1_30default_config_static_selectorELNS0_4arch9wavefront6targetE0EEEvSK_.num_vgpr, 0
	.set _ZN7rocprim17ROCPRIM_400000_NS6detail17trampoline_kernelINS0_14default_configENS1_36segmented_radix_sort_config_selectorIdlEEZNS1_25segmented_radix_sort_implIS3_Lb0EPKdPdPKlPlN2at6native12_GLOBAL__N_18offset_tEEE10hipError_tPvRmT1_PNSt15iterator_traitsISK_E10value_typeET2_T3_PNSL_ISQ_E10value_typeET4_jRbjT5_SW_jjP12ihipStream_tbEUlT_E_NS1_11comp_targetILNS1_3genE5ELNS1_11target_archE942ELNS1_3gpuE9ELNS1_3repE0EEENS1_30default_config_static_selectorELNS0_4arch9wavefront6targetE0EEEvSK_.num_agpr, 0
	.set _ZN7rocprim17ROCPRIM_400000_NS6detail17trampoline_kernelINS0_14default_configENS1_36segmented_radix_sort_config_selectorIdlEEZNS1_25segmented_radix_sort_implIS3_Lb0EPKdPdPKlPlN2at6native12_GLOBAL__N_18offset_tEEE10hipError_tPvRmT1_PNSt15iterator_traitsISK_E10value_typeET2_T3_PNSL_ISQ_E10value_typeET4_jRbjT5_SW_jjP12ihipStream_tbEUlT_E_NS1_11comp_targetILNS1_3genE5ELNS1_11target_archE942ELNS1_3gpuE9ELNS1_3repE0EEENS1_30default_config_static_selectorELNS0_4arch9wavefront6targetE0EEEvSK_.numbered_sgpr, 0
	.set _ZN7rocprim17ROCPRIM_400000_NS6detail17trampoline_kernelINS0_14default_configENS1_36segmented_radix_sort_config_selectorIdlEEZNS1_25segmented_radix_sort_implIS3_Lb0EPKdPdPKlPlN2at6native12_GLOBAL__N_18offset_tEEE10hipError_tPvRmT1_PNSt15iterator_traitsISK_E10value_typeET2_T3_PNSL_ISQ_E10value_typeET4_jRbjT5_SW_jjP12ihipStream_tbEUlT_E_NS1_11comp_targetILNS1_3genE5ELNS1_11target_archE942ELNS1_3gpuE9ELNS1_3repE0EEENS1_30default_config_static_selectorELNS0_4arch9wavefront6targetE0EEEvSK_.num_named_barrier, 0
	.set _ZN7rocprim17ROCPRIM_400000_NS6detail17trampoline_kernelINS0_14default_configENS1_36segmented_radix_sort_config_selectorIdlEEZNS1_25segmented_radix_sort_implIS3_Lb0EPKdPdPKlPlN2at6native12_GLOBAL__N_18offset_tEEE10hipError_tPvRmT1_PNSt15iterator_traitsISK_E10value_typeET2_T3_PNSL_ISQ_E10value_typeET4_jRbjT5_SW_jjP12ihipStream_tbEUlT_E_NS1_11comp_targetILNS1_3genE5ELNS1_11target_archE942ELNS1_3gpuE9ELNS1_3repE0EEENS1_30default_config_static_selectorELNS0_4arch9wavefront6targetE0EEEvSK_.private_seg_size, 0
	.set _ZN7rocprim17ROCPRIM_400000_NS6detail17trampoline_kernelINS0_14default_configENS1_36segmented_radix_sort_config_selectorIdlEEZNS1_25segmented_radix_sort_implIS3_Lb0EPKdPdPKlPlN2at6native12_GLOBAL__N_18offset_tEEE10hipError_tPvRmT1_PNSt15iterator_traitsISK_E10value_typeET2_T3_PNSL_ISQ_E10value_typeET4_jRbjT5_SW_jjP12ihipStream_tbEUlT_E_NS1_11comp_targetILNS1_3genE5ELNS1_11target_archE942ELNS1_3gpuE9ELNS1_3repE0EEENS1_30default_config_static_selectorELNS0_4arch9wavefront6targetE0EEEvSK_.uses_vcc, 0
	.set _ZN7rocprim17ROCPRIM_400000_NS6detail17trampoline_kernelINS0_14default_configENS1_36segmented_radix_sort_config_selectorIdlEEZNS1_25segmented_radix_sort_implIS3_Lb0EPKdPdPKlPlN2at6native12_GLOBAL__N_18offset_tEEE10hipError_tPvRmT1_PNSt15iterator_traitsISK_E10value_typeET2_T3_PNSL_ISQ_E10value_typeET4_jRbjT5_SW_jjP12ihipStream_tbEUlT_E_NS1_11comp_targetILNS1_3genE5ELNS1_11target_archE942ELNS1_3gpuE9ELNS1_3repE0EEENS1_30default_config_static_selectorELNS0_4arch9wavefront6targetE0EEEvSK_.uses_flat_scratch, 0
	.set _ZN7rocprim17ROCPRIM_400000_NS6detail17trampoline_kernelINS0_14default_configENS1_36segmented_radix_sort_config_selectorIdlEEZNS1_25segmented_radix_sort_implIS3_Lb0EPKdPdPKlPlN2at6native12_GLOBAL__N_18offset_tEEE10hipError_tPvRmT1_PNSt15iterator_traitsISK_E10value_typeET2_T3_PNSL_ISQ_E10value_typeET4_jRbjT5_SW_jjP12ihipStream_tbEUlT_E_NS1_11comp_targetILNS1_3genE5ELNS1_11target_archE942ELNS1_3gpuE9ELNS1_3repE0EEENS1_30default_config_static_selectorELNS0_4arch9wavefront6targetE0EEEvSK_.has_dyn_sized_stack, 0
	.set _ZN7rocprim17ROCPRIM_400000_NS6detail17trampoline_kernelINS0_14default_configENS1_36segmented_radix_sort_config_selectorIdlEEZNS1_25segmented_radix_sort_implIS3_Lb0EPKdPdPKlPlN2at6native12_GLOBAL__N_18offset_tEEE10hipError_tPvRmT1_PNSt15iterator_traitsISK_E10value_typeET2_T3_PNSL_ISQ_E10value_typeET4_jRbjT5_SW_jjP12ihipStream_tbEUlT_E_NS1_11comp_targetILNS1_3genE5ELNS1_11target_archE942ELNS1_3gpuE9ELNS1_3repE0EEENS1_30default_config_static_selectorELNS0_4arch9wavefront6targetE0EEEvSK_.has_recursion, 0
	.set _ZN7rocprim17ROCPRIM_400000_NS6detail17trampoline_kernelINS0_14default_configENS1_36segmented_radix_sort_config_selectorIdlEEZNS1_25segmented_radix_sort_implIS3_Lb0EPKdPdPKlPlN2at6native12_GLOBAL__N_18offset_tEEE10hipError_tPvRmT1_PNSt15iterator_traitsISK_E10value_typeET2_T3_PNSL_ISQ_E10value_typeET4_jRbjT5_SW_jjP12ihipStream_tbEUlT_E_NS1_11comp_targetILNS1_3genE5ELNS1_11target_archE942ELNS1_3gpuE9ELNS1_3repE0EEENS1_30default_config_static_selectorELNS0_4arch9wavefront6targetE0EEEvSK_.has_indirect_call, 0
	.section	.AMDGPU.csdata,"",@progbits
; Kernel info:
; codeLenInByte = 0
; TotalNumSgprs: 0
; NumVgprs: 0
; ScratchSize: 0
; MemoryBound: 0
; FloatMode: 240
; IeeeMode: 1
; LDSByteSize: 0 bytes/workgroup (compile time only)
; SGPRBlocks: 0
; VGPRBlocks: 0
; NumSGPRsForWavesPerEU: 1
; NumVGPRsForWavesPerEU: 1
; NamedBarCnt: 0
; Occupancy: 16
; WaveLimiterHint : 0
; COMPUTE_PGM_RSRC2:SCRATCH_EN: 0
; COMPUTE_PGM_RSRC2:USER_SGPR: 2
; COMPUTE_PGM_RSRC2:TRAP_HANDLER: 0
; COMPUTE_PGM_RSRC2:TGID_X_EN: 1
; COMPUTE_PGM_RSRC2:TGID_Y_EN: 0
; COMPUTE_PGM_RSRC2:TGID_Z_EN: 0
; COMPUTE_PGM_RSRC2:TIDIG_COMP_CNT: 0
	.section	.text._ZN7rocprim17ROCPRIM_400000_NS6detail17trampoline_kernelINS0_14default_configENS1_36segmented_radix_sort_config_selectorIdlEEZNS1_25segmented_radix_sort_implIS3_Lb0EPKdPdPKlPlN2at6native12_GLOBAL__N_18offset_tEEE10hipError_tPvRmT1_PNSt15iterator_traitsISK_E10value_typeET2_T3_PNSL_ISQ_E10value_typeET4_jRbjT5_SW_jjP12ihipStream_tbEUlT_E_NS1_11comp_targetILNS1_3genE4ELNS1_11target_archE910ELNS1_3gpuE8ELNS1_3repE0EEENS1_30default_config_static_selectorELNS0_4arch9wavefront6targetE0EEEvSK_,"axG",@progbits,_ZN7rocprim17ROCPRIM_400000_NS6detail17trampoline_kernelINS0_14default_configENS1_36segmented_radix_sort_config_selectorIdlEEZNS1_25segmented_radix_sort_implIS3_Lb0EPKdPdPKlPlN2at6native12_GLOBAL__N_18offset_tEEE10hipError_tPvRmT1_PNSt15iterator_traitsISK_E10value_typeET2_T3_PNSL_ISQ_E10value_typeET4_jRbjT5_SW_jjP12ihipStream_tbEUlT_E_NS1_11comp_targetILNS1_3genE4ELNS1_11target_archE910ELNS1_3gpuE8ELNS1_3repE0EEENS1_30default_config_static_selectorELNS0_4arch9wavefront6targetE0EEEvSK_,comdat
	.globl	_ZN7rocprim17ROCPRIM_400000_NS6detail17trampoline_kernelINS0_14default_configENS1_36segmented_radix_sort_config_selectorIdlEEZNS1_25segmented_radix_sort_implIS3_Lb0EPKdPdPKlPlN2at6native12_GLOBAL__N_18offset_tEEE10hipError_tPvRmT1_PNSt15iterator_traitsISK_E10value_typeET2_T3_PNSL_ISQ_E10value_typeET4_jRbjT5_SW_jjP12ihipStream_tbEUlT_E_NS1_11comp_targetILNS1_3genE4ELNS1_11target_archE910ELNS1_3gpuE8ELNS1_3repE0EEENS1_30default_config_static_selectorELNS0_4arch9wavefront6targetE0EEEvSK_ ; -- Begin function _ZN7rocprim17ROCPRIM_400000_NS6detail17trampoline_kernelINS0_14default_configENS1_36segmented_radix_sort_config_selectorIdlEEZNS1_25segmented_radix_sort_implIS3_Lb0EPKdPdPKlPlN2at6native12_GLOBAL__N_18offset_tEEE10hipError_tPvRmT1_PNSt15iterator_traitsISK_E10value_typeET2_T3_PNSL_ISQ_E10value_typeET4_jRbjT5_SW_jjP12ihipStream_tbEUlT_E_NS1_11comp_targetILNS1_3genE4ELNS1_11target_archE910ELNS1_3gpuE8ELNS1_3repE0EEENS1_30default_config_static_selectorELNS0_4arch9wavefront6targetE0EEEvSK_
	.p2align	8
	.type	_ZN7rocprim17ROCPRIM_400000_NS6detail17trampoline_kernelINS0_14default_configENS1_36segmented_radix_sort_config_selectorIdlEEZNS1_25segmented_radix_sort_implIS3_Lb0EPKdPdPKlPlN2at6native12_GLOBAL__N_18offset_tEEE10hipError_tPvRmT1_PNSt15iterator_traitsISK_E10value_typeET2_T3_PNSL_ISQ_E10value_typeET4_jRbjT5_SW_jjP12ihipStream_tbEUlT_E_NS1_11comp_targetILNS1_3genE4ELNS1_11target_archE910ELNS1_3gpuE8ELNS1_3repE0EEENS1_30default_config_static_selectorELNS0_4arch9wavefront6targetE0EEEvSK_,@function
_ZN7rocprim17ROCPRIM_400000_NS6detail17trampoline_kernelINS0_14default_configENS1_36segmented_radix_sort_config_selectorIdlEEZNS1_25segmented_radix_sort_implIS3_Lb0EPKdPdPKlPlN2at6native12_GLOBAL__N_18offset_tEEE10hipError_tPvRmT1_PNSt15iterator_traitsISK_E10value_typeET2_T3_PNSL_ISQ_E10value_typeET4_jRbjT5_SW_jjP12ihipStream_tbEUlT_E_NS1_11comp_targetILNS1_3genE4ELNS1_11target_archE910ELNS1_3gpuE8ELNS1_3repE0EEENS1_30default_config_static_selectorELNS0_4arch9wavefront6targetE0EEEvSK_: ; @_ZN7rocprim17ROCPRIM_400000_NS6detail17trampoline_kernelINS0_14default_configENS1_36segmented_radix_sort_config_selectorIdlEEZNS1_25segmented_radix_sort_implIS3_Lb0EPKdPdPKlPlN2at6native12_GLOBAL__N_18offset_tEEE10hipError_tPvRmT1_PNSt15iterator_traitsISK_E10value_typeET2_T3_PNSL_ISQ_E10value_typeET4_jRbjT5_SW_jjP12ihipStream_tbEUlT_E_NS1_11comp_targetILNS1_3genE4ELNS1_11target_archE910ELNS1_3gpuE8ELNS1_3repE0EEENS1_30default_config_static_selectorELNS0_4arch9wavefront6targetE0EEEvSK_
; %bb.0:
	.section	.rodata,"a",@progbits
	.p2align	6, 0x0
	.amdhsa_kernel _ZN7rocprim17ROCPRIM_400000_NS6detail17trampoline_kernelINS0_14default_configENS1_36segmented_radix_sort_config_selectorIdlEEZNS1_25segmented_radix_sort_implIS3_Lb0EPKdPdPKlPlN2at6native12_GLOBAL__N_18offset_tEEE10hipError_tPvRmT1_PNSt15iterator_traitsISK_E10value_typeET2_T3_PNSL_ISQ_E10value_typeET4_jRbjT5_SW_jjP12ihipStream_tbEUlT_E_NS1_11comp_targetILNS1_3genE4ELNS1_11target_archE910ELNS1_3gpuE8ELNS1_3repE0EEENS1_30default_config_static_selectorELNS0_4arch9wavefront6targetE0EEEvSK_
		.amdhsa_group_segment_fixed_size 0
		.amdhsa_private_segment_fixed_size 0
		.amdhsa_kernarg_size 96
		.amdhsa_user_sgpr_count 2
		.amdhsa_user_sgpr_dispatch_ptr 0
		.amdhsa_user_sgpr_queue_ptr 0
		.amdhsa_user_sgpr_kernarg_segment_ptr 1
		.amdhsa_user_sgpr_dispatch_id 0
		.amdhsa_user_sgpr_kernarg_preload_length 0
		.amdhsa_user_sgpr_kernarg_preload_offset 0
		.amdhsa_user_sgpr_private_segment_size 0
		.amdhsa_wavefront_size32 1
		.amdhsa_uses_dynamic_stack 0
		.amdhsa_enable_private_segment 0
		.amdhsa_system_sgpr_workgroup_id_x 1
		.amdhsa_system_sgpr_workgroup_id_y 0
		.amdhsa_system_sgpr_workgroup_id_z 0
		.amdhsa_system_sgpr_workgroup_info 0
		.amdhsa_system_vgpr_workitem_id 0
		.amdhsa_next_free_vgpr 1
		.amdhsa_next_free_sgpr 1
		.amdhsa_named_barrier_count 0
		.amdhsa_reserve_vcc 0
		.amdhsa_float_round_mode_32 0
		.amdhsa_float_round_mode_16_64 0
		.amdhsa_float_denorm_mode_32 3
		.amdhsa_float_denorm_mode_16_64 3
		.amdhsa_fp16_overflow 0
		.amdhsa_memory_ordered 1
		.amdhsa_forward_progress 1
		.amdhsa_inst_pref_size 0
		.amdhsa_round_robin_scheduling 0
		.amdhsa_exception_fp_ieee_invalid_op 0
		.amdhsa_exception_fp_denorm_src 0
		.amdhsa_exception_fp_ieee_div_zero 0
		.amdhsa_exception_fp_ieee_overflow 0
		.amdhsa_exception_fp_ieee_underflow 0
		.amdhsa_exception_fp_ieee_inexact 0
		.amdhsa_exception_int_div_zero 0
	.end_amdhsa_kernel
	.section	.text._ZN7rocprim17ROCPRIM_400000_NS6detail17trampoline_kernelINS0_14default_configENS1_36segmented_radix_sort_config_selectorIdlEEZNS1_25segmented_radix_sort_implIS3_Lb0EPKdPdPKlPlN2at6native12_GLOBAL__N_18offset_tEEE10hipError_tPvRmT1_PNSt15iterator_traitsISK_E10value_typeET2_T3_PNSL_ISQ_E10value_typeET4_jRbjT5_SW_jjP12ihipStream_tbEUlT_E_NS1_11comp_targetILNS1_3genE4ELNS1_11target_archE910ELNS1_3gpuE8ELNS1_3repE0EEENS1_30default_config_static_selectorELNS0_4arch9wavefront6targetE0EEEvSK_,"axG",@progbits,_ZN7rocprim17ROCPRIM_400000_NS6detail17trampoline_kernelINS0_14default_configENS1_36segmented_radix_sort_config_selectorIdlEEZNS1_25segmented_radix_sort_implIS3_Lb0EPKdPdPKlPlN2at6native12_GLOBAL__N_18offset_tEEE10hipError_tPvRmT1_PNSt15iterator_traitsISK_E10value_typeET2_T3_PNSL_ISQ_E10value_typeET4_jRbjT5_SW_jjP12ihipStream_tbEUlT_E_NS1_11comp_targetILNS1_3genE4ELNS1_11target_archE910ELNS1_3gpuE8ELNS1_3repE0EEENS1_30default_config_static_selectorELNS0_4arch9wavefront6targetE0EEEvSK_,comdat
.Lfunc_end1218:
	.size	_ZN7rocprim17ROCPRIM_400000_NS6detail17trampoline_kernelINS0_14default_configENS1_36segmented_radix_sort_config_selectorIdlEEZNS1_25segmented_radix_sort_implIS3_Lb0EPKdPdPKlPlN2at6native12_GLOBAL__N_18offset_tEEE10hipError_tPvRmT1_PNSt15iterator_traitsISK_E10value_typeET2_T3_PNSL_ISQ_E10value_typeET4_jRbjT5_SW_jjP12ihipStream_tbEUlT_E_NS1_11comp_targetILNS1_3genE4ELNS1_11target_archE910ELNS1_3gpuE8ELNS1_3repE0EEENS1_30default_config_static_selectorELNS0_4arch9wavefront6targetE0EEEvSK_, .Lfunc_end1218-_ZN7rocprim17ROCPRIM_400000_NS6detail17trampoline_kernelINS0_14default_configENS1_36segmented_radix_sort_config_selectorIdlEEZNS1_25segmented_radix_sort_implIS3_Lb0EPKdPdPKlPlN2at6native12_GLOBAL__N_18offset_tEEE10hipError_tPvRmT1_PNSt15iterator_traitsISK_E10value_typeET2_T3_PNSL_ISQ_E10value_typeET4_jRbjT5_SW_jjP12ihipStream_tbEUlT_E_NS1_11comp_targetILNS1_3genE4ELNS1_11target_archE910ELNS1_3gpuE8ELNS1_3repE0EEENS1_30default_config_static_selectorELNS0_4arch9wavefront6targetE0EEEvSK_
                                        ; -- End function
	.set _ZN7rocprim17ROCPRIM_400000_NS6detail17trampoline_kernelINS0_14default_configENS1_36segmented_radix_sort_config_selectorIdlEEZNS1_25segmented_radix_sort_implIS3_Lb0EPKdPdPKlPlN2at6native12_GLOBAL__N_18offset_tEEE10hipError_tPvRmT1_PNSt15iterator_traitsISK_E10value_typeET2_T3_PNSL_ISQ_E10value_typeET4_jRbjT5_SW_jjP12ihipStream_tbEUlT_E_NS1_11comp_targetILNS1_3genE4ELNS1_11target_archE910ELNS1_3gpuE8ELNS1_3repE0EEENS1_30default_config_static_selectorELNS0_4arch9wavefront6targetE0EEEvSK_.num_vgpr, 0
	.set _ZN7rocprim17ROCPRIM_400000_NS6detail17trampoline_kernelINS0_14default_configENS1_36segmented_radix_sort_config_selectorIdlEEZNS1_25segmented_radix_sort_implIS3_Lb0EPKdPdPKlPlN2at6native12_GLOBAL__N_18offset_tEEE10hipError_tPvRmT1_PNSt15iterator_traitsISK_E10value_typeET2_T3_PNSL_ISQ_E10value_typeET4_jRbjT5_SW_jjP12ihipStream_tbEUlT_E_NS1_11comp_targetILNS1_3genE4ELNS1_11target_archE910ELNS1_3gpuE8ELNS1_3repE0EEENS1_30default_config_static_selectorELNS0_4arch9wavefront6targetE0EEEvSK_.num_agpr, 0
	.set _ZN7rocprim17ROCPRIM_400000_NS6detail17trampoline_kernelINS0_14default_configENS1_36segmented_radix_sort_config_selectorIdlEEZNS1_25segmented_radix_sort_implIS3_Lb0EPKdPdPKlPlN2at6native12_GLOBAL__N_18offset_tEEE10hipError_tPvRmT1_PNSt15iterator_traitsISK_E10value_typeET2_T3_PNSL_ISQ_E10value_typeET4_jRbjT5_SW_jjP12ihipStream_tbEUlT_E_NS1_11comp_targetILNS1_3genE4ELNS1_11target_archE910ELNS1_3gpuE8ELNS1_3repE0EEENS1_30default_config_static_selectorELNS0_4arch9wavefront6targetE0EEEvSK_.numbered_sgpr, 0
	.set _ZN7rocprim17ROCPRIM_400000_NS6detail17trampoline_kernelINS0_14default_configENS1_36segmented_radix_sort_config_selectorIdlEEZNS1_25segmented_radix_sort_implIS3_Lb0EPKdPdPKlPlN2at6native12_GLOBAL__N_18offset_tEEE10hipError_tPvRmT1_PNSt15iterator_traitsISK_E10value_typeET2_T3_PNSL_ISQ_E10value_typeET4_jRbjT5_SW_jjP12ihipStream_tbEUlT_E_NS1_11comp_targetILNS1_3genE4ELNS1_11target_archE910ELNS1_3gpuE8ELNS1_3repE0EEENS1_30default_config_static_selectorELNS0_4arch9wavefront6targetE0EEEvSK_.num_named_barrier, 0
	.set _ZN7rocprim17ROCPRIM_400000_NS6detail17trampoline_kernelINS0_14default_configENS1_36segmented_radix_sort_config_selectorIdlEEZNS1_25segmented_radix_sort_implIS3_Lb0EPKdPdPKlPlN2at6native12_GLOBAL__N_18offset_tEEE10hipError_tPvRmT1_PNSt15iterator_traitsISK_E10value_typeET2_T3_PNSL_ISQ_E10value_typeET4_jRbjT5_SW_jjP12ihipStream_tbEUlT_E_NS1_11comp_targetILNS1_3genE4ELNS1_11target_archE910ELNS1_3gpuE8ELNS1_3repE0EEENS1_30default_config_static_selectorELNS0_4arch9wavefront6targetE0EEEvSK_.private_seg_size, 0
	.set _ZN7rocprim17ROCPRIM_400000_NS6detail17trampoline_kernelINS0_14default_configENS1_36segmented_radix_sort_config_selectorIdlEEZNS1_25segmented_radix_sort_implIS3_Lb0EPKdPdPKlPlN2at6native12_GLOBAL__N_18offset_tEEE10hipError_tPvRmT1_PNSt15iterator_traitsISK_E10value_typeET2_T3_PNSL_ISQ_E10value_typeET4_jRbjT5_SW_jjP12ihipStream_tbEUlT_E_NS1_11comp_targetILNS1_3genE4ELNS1_11target_archE910ELNS1_3gpuE8ELNS1_3repE0EEENS1_30default_config_static_selectorELNS0_4arch9wavefront6targetE0EEEvSK_.uses_vcc, 0
	.set _ZN7rocprim17ROCPRIM_400000_NS6detail17trampoline_kernelINS0_14default_configENS1_36segmented_radix_sort_config_selectorIdlEEZNS1_25segmented_radix_sort_implIS3_Lb0EPKdPdPKlPlN2at6native12_GLOBAL__N_18offset_tEEE10hipError_tPvRmT1_PNSt15iterator_traitsISK_E10value_typeET2_T3_PNSL_ISQ_E10value_typeET4_jRbjT5_SW_jjP12ihipStream_tbEUlT_E_NS1_11comp_targetILNS1_3genE4ELNS1_11target_archE910ELNS1_3gpuE8ELNS1_3repE0EEENS1_30default_config_static_selectorELNS0_4arch9wavefront6targetE0EEEvSK_.uses_flat_scratch, 0
	.set _ZN7rocprim17ROCPRIM_400000_NS6detail17trampoline_kernelINS0_14default_configENS1_36segmented_radix_sort_config_selectorIdlEEZNS1_25segmented_radix_sort_implIS3_Lb0EPKdPdPKlPlN2at6native12_GLOBAL__N_18offset_tEEE10hipError_tPvRmT1_PNSt15iterator_traitsISK_E10value_typeET2_T3_PNSL_ISQ_E10value_typeET4_jRbjT5_SW_jjP12ihipStream_tbEUlT_E_NS1_11comp_targetILNS1_3genE4ELNS1_11target_archE910ELNS1_3gpuE8ELNS1_3repE0EEENS1_30default_config_static_selectorELNS0_4arch9wavefront6targetE0EEEvSK_.has_dyn_sized_stack, 0
	.set _ZN7rocprim17ROCPRIM_400000_NS6detail17trampoline_kernelINS0_14default_configENS1_36segmented_radix_sort_config_selectorIdlEEZNS1_25segmented_radix_sort_implIS3_Lb0EPKdPdPKlPlN2at6native12_GLOBAL__N_18offset_tEEE10hipError_tPvRmT1_PNSt15iterator_traitsISK_E10value_typeET2_T3_PNSL_ISQ_E10value_typeET4_jRbjT5_SW_jjP12ihipStream_tbEUlT_E_NS1_11comp_targetILNS1_3genE4ELNS1_11target_archE910ELNS1_3gpuE8ELNS1_3repE0EEENS1_30default_config_static_selectorELNS0_4arch9wavefront6targetE0EEEvSK_.has_recursion, 0
	.set _ZN7rocprim17ROCPRIM_400000_NS6detail17trampoline_kernelINS0_14default_configENS1_36segmented_radix_sort_config_selectorIdlEEZNS1_25segmented_radix_sort_implIS3_Lb0EPKdPdPKlPlN2at6native12_GLOBAL__N_18offset_tEEE10hipError_tPvRmT1_PNSt15iterator_traitsISK_E10value_typeET2_T3_PNSL_ISQ_E10value_typeET4_jRbjT5_SW_jjP12ihipStream_tbEUlT_E_NS1_11comp_targetILNS1_3genE4ELNS1_11target_archE910ELNS1_3gpuE8ELNS1_3repE0EEENS1_30default_config_static_selectorELNS0_4arch9wavefront6targetE0EEEvSK_.has_indirect_call, 0
	.section	.AMDGPU.csdata,"",@progbits
; Kernel info:
; codeLenInByte = 0
; TotalNumSgprs: 0
; NumVgprs: 0
; ScratchSize: 0
; MemoryBound: 0
; FloatMode: 240
; IeeeMode: 1
; LDSByteSize: 0 bytes/workgroup (compile time only)
; SGPRBlocks: 0
; VGPRBlocks: 0
; NumSGPRsForWavesPerEU: 1
; NumVGPRsForWavesPerEU: 1
; NamedBarCnt: 0
; Occupancy: 16
; WaveLimiterHint : 0
; COMPUTE_PGM_RSRC2:SCRATCH_EN: 0
; COMPUTE_PGM_RSRC2:USER_SGPR: 2
; COMPUTE_PGM_RSRC2:TRAP_HANDLER: 0
; COMPUTE_PGM_RSRC2:TGID_X_EN: 1
; COMPUTE_PGM_RSRC2:TGID_Y_EN: 0
; COMPUTE_PGM_RSRC2:TGID_Z_EN: 0
; COMPUTE_PGM_RSRC2:TIDIG_COMP_CNT: 0
	.section	.text._ZN7rocprim17ROCPRIM_400000_NS6detail17trampoline_kernelINS0_14default_configENS1_36segmented_radix_sort_config_selectorIdlEEZNS1_25segmented_radix_sort_implIS3_Lb0EPKdPdPKlPlN2at6native12_GLOBAL__N_18offset_tEEE10hipError_tPvRmT1_PNSt15iterator_traitsISK_E10value_typeET2_T3_PNSL_ISQ_E10value_typeET4_jRbjT5_SW_jjP12ihipStream_tbEUlT_E_NS1_11comp_targetILNS1_3genE3ELNS1_11target_archE908ELNS1_3gpuE7ELNS1_3repE0EEENS1_30default_config_static_selectorELNS0_4arch9wavefront6targetE0EEEvSK_,"axG",@progbits,_ZN7rocprim17ROCPRIM_400000_NS6detail17trampoline_kernelINS0_14default_configENS1_36segmented_radix_sort_config_selectorIdlEEZNS1_25segmented_radix_sort_implIS3_Lb0EPKdPdPKlPlN2at6native12_GLOBAL__N_18offset_tEEE10hipError_tPvRmT1_PNSt15iterator_traitsISK_E10value_typeET2_T3_PNSL_ISQ_E10value_typeET4_jRbjT5_SW_jjP12ihipStream_tbEUlT_E_NS1_11comp_targetILNS1_3genE3ELNS1_11target_archE908ELNS1_3gpuE7ELNS1_3repE0EEENS1_30default_config_static_selectorELNS0_4arch9wavefront6targetE0EEEvSK_,comdat
	.globl	_ZN7rocprim17ROCPRIM_400000_NS6detail17trampoline_kernelINS0_14default_configENS1_36segmented_radix_sort_config_selectorIdlEEZNS1_25segmented_radix_sort_implIS3_Lb0EPKdPdPKlPlN2at6native12_GLOBAL__N_18offset_tEEE10hipError_tPvRmT1_PNSt15iterator_traitsISK_E10value_typeET2_T3_PNSL_ISQ_E10value_typeET4_jRbjT5_SW_jjP12ihipStream_tbEUlT_E_NS1_11comp_targetILNS1_3genE3ELNS1_11target_archE908ELNS1_3gpuE7ELNS1_3repE0EEENS1_30default_config_static_selectorELNS0_4arch9wavefront6targetE0EEEvSK_ ; -- Begin function _ZN7rocprim17ROCPRIM_400000_NS6detail17trampoline_kernelINS0_14default_configENS1_36segmented_radix_sort_config_selectorIdlEEZNS1_25segmented_radix_sort_implIS3_Lb0EPKdPdPKlPlN2at6native12_GLOBAL__N_18offset_tEEE10hipError_tPvRmT1_PNSt15iterator_traitsISK_E10value_typeET2_T3_PNSL_ISQ_E10value_typeET4_jRbjT5_SW_jjP12ihipStream_tbEUlT_E_NS1_11comp_targetILNS1_3genE3ELNS1_11target_archE908ELNS1_3gpuE7ELNS1_3repE0EEENS1_30default_config_static_selectorELNS0_4arch9wavefront6targetE0EEEvSK_
	.p2align	8
	.type	_ZN7rocprim17ROCPRIM_400000_NS6detail17trampoline_kernelINS0_14default_configENS1_36segmented_radix_sort_config_selectorIdlEEZNS1_25segmented_radix_sort_implIS3_Lb0EPKdPdPKlPlN2at6native12_GLOBAL__N_18offset_tEEE10hipError_tPvRmT1_PNSt15iterator_traitsISK_E10value_typeET2_T3_PNSL_ISQ_E10value_typeET4_jRbjT5_SW_jjP12ihipStream_tbEUlT_E_NS1_11comp_targetILNS1_3genE3ELNS1_11target_archE908ELNS1_3gpuE7ELNS1_3repE0EEENS1_30default_config_static_selectorELNS0_4arch9wavefront6targetE0EEEvSK_,@function
_ZN7rocprim17ROCPRIM_400000_NS6detail17trampoline_kernelINS0_14default_configENS1_36segmented_radix_sort_config_selectorIdlEEZNS1_25segmented_radix_sort_implIS3_Lb0EPKdPdPKlPlN2at6native12_GLOBAL__N_18offset_tEEE10hipError_tPvRmT1_PNSt15iterator_traitsISK_E10value_typeET2_T3_PNSL_ISQ_E10value_typeET4_jRbjT5_SW_jjP12ihipStream_tbEUlT_E_NS1_11comp_targetILNS1_3genE3ELNS1_11target_archE908ELNS1_3gpuE7ELNS1_3repE0EEENS1_30default_config_static_selectorELNS0_4arch9wavefront6targetE0EEEvSK_: ; @_ZN7rocprim17ROCPRIM_400000_NS6detail17trampoline_kernelINS0_14default_configENS1_36segmented_radix_sort_config_selectorIdlEEZNS1_25segmented_radix_sort_implIS3_Lb0EPKdPdPKlPlN2at6native12_GLOBAL__N_18offset_tEEE10hipError_tPvRmT1_PNSt15iterator_traitsISK_E10value_typeET2_T3_PNSL_ISQ_E10value_typeET4_jRbjT5_SW_jjP12ihipStream_tbEUlT_E_NS1_11comp_targetILNS1_3genE3ELNS1_11target_archE908ELNS1_3gpuE7ELNS1_3repE0EEENS1_30default_config_static_selectorELNS0_4arch9wavefront6targetE0EEEvSK_
; %bb.0:
	.section	.rodata,"a",@progbits
	.p2align	6, 0x0
	.amdhsa_kernel _ZN7rocprim17ROCPRIM_400000_NS6detail17trampoline_kernelINS0_14default_configENS1_36segmented_radix_sort_config_selectorIdlEEZNS1_25segmented_radix_sort_implIS3_Lb0EPKdPdPKlPlN2at6native12_GLOBAL__N_18offset_tEEE10hipError_tPvRmT1_PNSt15iterator_traitsISK_E10value_typeET2_T3_PNSL_ISQ_E10value_typeET4_jRbjT5_SW_jjP12ihipStream_tbEUlT_E_NS1_11comp_targetILNS1_3genE3ELNS1_11target_archE908ELNS1_3gpuE7ELNS1_3repE0EEENS1_30default_config_static_selectorELNS0_4arch9wavefront6targetE0EEEvSK_
		.amdhsa_group_segment_fixed_size 0
		.amdhsa_private_segment_fixed_size 0
		.amdhsa_kernarg_size 96
		.amdhsa_user_sgpr_count 2
		.amdhsa_user_sgpr_dispatch_ptr 0
		.amdhsa_user_sgpr_queue_ptr 0
		.amdhsa_user_sgpr_kernarg_segment_ptr 1
		.amdhsa_user_sgpr_dispatch_id 0
		.amdhsa_user_sgpr_kernarg_preload_length 0
		.amdhsa_user_sgpr_kernarg_preload_offset 0
		.amdhsa_user_sgpr_private_segment_size 0
		.amdhsa_wavefront_size32 1
		.amdhsa_uses_dynamic_stack 0
		.amdhsa_enable_private_segment 0
		.amdhsa_system_sgpr_workgroup_id_x 1
		.amdhsa_system_sgpr_workgroup_id_y 0
		.amdhsa_system_sgpr_workgroup_id_z 0
		.amdhsa_system_sgpr_workgroup_info 0
		.amdhsa_system_vgpr_workitem_id 0
		.amdhsa_next_free_vgpr 1
		.amdhsa_next_free_sgpr 1
		.amdhsa_named_barrier_count 0
		.amdhsa_reserve_vcc 0
		.amdhsa_float_round_mode_32 0
		.amdhsa_float_round_mode_16_64 0
		.amdhsa_float_denorm_mode_32 3
		.amdhsa_float_denorm_mode_16_64 3
		.amdhsa_fp16_overflow 0
		.amdhsa_memory_ordered 1
		.amdhsa_forward_progress 1
		.amdhsa_inst_pref_size 0
		.amdhsa_round_robin_scheduling 0
		.amdhsa_exception_fp_ieee_invalid_op 0
		.amdhsa_exception_fp_denorm_src 0
		.amdhsa_exception_fp_ieee_div_zero 0
		.amdhsa_exception_fp_ieee_overflow 0
		.amdhsa_exception_fp_ieee_underflow 0
		.amdhsa_exception_fp_ieee_inexact 0
		.amdhsa_exception_int_div_zero 0
	.end_amdhsa_kernel
	.section	.text._ZN7rocprim17ROCPRIM_400000_NS6detail17trampoline_kernelINS0_14default_configENS1_36segmented_radix_sort_config_selectorIdlEEZNS1_25segmented_radix_sort_implIS3_Lb0EPKdPdPKlPlN2at6native12_GLOBAL__N_18offset_tEEE10hipError_tPvRmT1_PNSt15iterator_traitsISK_E10value_typeET2_T3_PNSL_ISQ_E10value_typeET4_jRbjT5_SW_jjP12ihipStream_tbEUlT_E_NS1_11comp_targetILNS1_3genE3ELNS1_11target_archE908ELNS1_3gpuE7ELNS1_3repE0EEENS1_30default_config_static_selectorELNS0_4arch9wavefront6targetE0EEEvSK_,"axG",@progbits,_ZN7rocprim17ROCPRIM_400000_NS6detail17trampoline_kernelINS0_14default_configENS1_36segmented_radix_sort_config_selectorIdlEEZNS1_25segmented_radix_sort_implIS3_Lb0EPKdPdPKlPlN2at6native12_GLOBAL__N_18offset_tEEE10hipError_tPvRmT1_PNSt15iterator_traitsISK_E10value_typeET2_T3_PNSL_ISQ_E10value_typeET4_jRbjT5_SW_jjP12ihipStream_tbEUlT_E_NS1_11comp_targetILNS1_3genE3ELNS1_11target_archE908ELNS1_3gpuE7ELNS1_3repE0EEENS1_30default_config_static_selectorELNS0_4arch9wavefront6targetE0EEEvSK_,comdat
.Lfunc_end1219:
	.size	_ZN7rocprim17ROCPRIM_400000_NS6detail17trampoline_kernelINS0_14default_configENS1_36segmented_radix_sort_config_selectorIdlEEZNS1_25segmented_radix_sort_implIS3_Lb0EPKdPdPKlPlN2at6native12_GLOBAL__N_18offset_tEEE10hipError_tPvRmT1_PNSt15iterator_traitsISK_E10value_typeET2_T3_PNSL_ISQ_E10value_typeET4_jRbjT5_SW_jjP12ihipStream_tbEUlT_E_NS1_11comp_targetILNS1_3genE3ELNS1_11target_archE908ELNS1_3gpuE7ELNS1_3repE0EEENS1_30default_config_static_selectorELNS0_4arch9wavefront6targetE0EEEvSK_, .Lfunc_end1219-_ZN7rocprim17ROCPRIM_400000_NS6detail17trampoline_kernelINS0_14default_configENS1_36segmented_radix_sort_config_selectorIdlEEZNS1_25segmented_radix_sort_implIS3_Lb0EPKdPdPKlPlN2at6native12_GLOBAL__N_18offset_tEEE10hipError_tPvRmT1_PNSt15iterator_traitsISK_E10value_typeET2_T3_PNSL_ISQ_E10value_typeET4_jRbjT5_SW_jjP12ihipStream_tbEUlT_E_NS1_11comp_targetILNS1_3genE3ELNS1_11target_archE908ELNS1_3gpuE7ELNS1_3repE0EEENS1_30default_config_static_selectorELNS0_4arch9wavefront6targetE0EEEvSK_
                                        ; -- End function
	.set _ZN7rocprim17ROCPRIM_400000_NS6detail17trampoline_kernelINS0_14default_configENS1_36segmented_radix_sort_config_selectorIdlEEZNS1_25segmented_radix_sort_implIS3_Lb0EPKdPdPKlPlN2at6native12_GLOBAL__N_18offset_tEEE10hipError_tPvRmT1_PNSt15iterator_traitsISK_E10value_typeET2_T3_PNSL_ISQ_E10value_typeET4_jRbjT5_SW_jjP12ihipStream_tbEUlT_E_NS1_11comp_targetILNS1_3genE3ELNS1_11target_archE908ELNS1_3gpuE7ELNS1_3repE0EEENS1_30default_config_static_selectorELNS0_4arch9wavefront6targetE0EEEvSK_.num_vgpr, 0
	.set _ZN7rocprim17ROCPRIM_400000_NS6detail17trampoline_kernelINS0_14default_configENS1_36segmented_radix_sort_config_selectorIdlEEZNS1_25segmented_radix_sort_implIS3_Lb0EPKdPdPKlPlN2at6native12_GLOBAL__N_18offset_tEEE10hipError_tPvRmT1_PNSt15iterator_traitsISK_E10value_typeET2_T3_PNSL_ISQ_E10value_typeET4_jRbjT5_SW_jjP12ihipStream_tbEUlT_E_NS1_11comp_targetILNS1_3genE3ELNS1_11target_archE908ELNS1_3gpuE7ELNS1_3repE0EEENS1_30default_config_static_selectorELNS0_4arch9wavefront6targetE0EEEvSK_.num_agpr, 0
	.set _ZN7rocprim17ROCPRIM_400000_NS6detail17trampoline_kernelINS0_14default_configENS1_36segmented_radix_sort_config_selectorIdlEEZNS1_25segmented_radix_sort_implIS3_Lb0EPKdPdPKlPlN2at6native12_GLOBAL__N_18offset_tEEE10hipError_tPvRmT1_PNSt15iterator_traitsISK_E10value_typeET2_T3_PNSL_ISQ_E10value_typeET4_jRbjT5_SW_jjP12ihipStream_tbEUlT_E_NS1_11comp_targetILNS1_3genE3ELNS1_11target_archE908ELNS1_3gpuE7ELNS1_3repE0EEENS1_30default_config_static_selectorELNS0_4arch9wavefront6targetE0EEEvSK_.numbered_sgpr, 0
	.set _ZN7rocprim17ROCPRIM_400000_NS6detail17trampoline_kernelINS0_14default_configENS1_36segmented_radix_sort_config_selectorIdlEEZNS1_25segmented_radix_sort_implIS3_Lb0EPKdPdPKlPlN2at6native12_GLOBAL__N_18offset_tEEE10hipError_tPvRmT1_PNSt15iterator_traitsISK_E10value_typeET2_T3_PNSL_ISQ_E10value_typeET4_jRbjT5_SW_jjP12ihipStream_tbEUlT_E_NS1_11comp_targetILNS1_3genE3ELNS1_11target_archE908ELNS1_3gpuE7ELNS1_3repE0EEENS1_30default_config_static_selectorELNS0_4arch9wavefront6targetE0EEEvSK_.num_named_barrier, 0
	.set _ZN7rocprim17ROCPRIM_400000_NS6detail17trampoline_kernelINS0_14default_configENS1_36segmented_radix_sort_config_selectorIdlEEZNS1_25segmented_radix_sort_implIS3_Lb0EPKdPdPKlPlN2at6native12_GLOBAL__N_18offset_tEEE10hipError_tPvRmT1_PNSt15iterator_traitsISK_E10value_typeET2_T3_PNSL_ISQ_E10value_typeET4_jRbjT5_SW_jjP12ihipStream_tbEUlT_E_NS1_11comp_targetILNS1_3genE3ELNS1_11target_archE908ELNS1_3gpuE7ELNS1_3repE0EEENS1_30default_config_static_selectorELNS0_4arch9wavefront6targetE0EEEvSK_.private_seg_size, 0
	.set _ZN7rocprim17ROCPRIM_400000_NS6detail17trampoline_kernelINS0_14default_configENS1_36segmented_radix_sort_config_selectorIdlEEZNS1_25segmented_radix_sort_implIS3_Lb0EPKdPdPKlPlN2at6native12_GLOBAL__N_18offset_tEEE10hipError_tPvRmT1_PNSt15iterator_traitsISK_E10value_typeET2_T3_PNSL_ISQ_E10value_typeET4_jRbjT5_SW_jjP12ihipStream_tbEUlT_E_NS1_11comp_targetILNS1_3genE3ELNS1_11target_archE908ELNS1_3gpuE7ELNS1_3repE0EEENS1_30default_config_static_selectorELNS0_4arch9wavefront6targetE0EEEvSK_.uses_vcc, 0
	.set _ZN7rocprim17ROCPRIM_400000_NS6detail17trampoline_kernelINS0_14default_configENS1_36segmented_radix_sort_config_selectorIdlEEZNS1_25segmented_radix_sort_implIS3_Lb0EPKdPdPKlPlN2at6native12_GLOBAL__N_18offset_tEEE10hipError_tPvRmT1_PNSt15iterator_traitsISK_E10value_typeET2_T3_PNSL_ISQ_E10value_typeET4_jRbjT5_SW_jjP12ihipStream_tbEUlT_E_NS1_11comp_targetILNS1_3genE3ELNS1_11target_archE908ELNS1_3gpuE7ELNS1_3repE0EEENS1_30default_config_static_selectorELNS0_4arch9wavefront6targetE0EEEvSK_.uses_flat_scratch, 0
	.set _ZN7rocprim17ROCPRIM_400000_NS6detail17trampoline_kernelINS0_14default_configENS1_36segmented_radix_sort_config_selectorIdlEEZNS1_25segmented_radix_sort_implIS3_Lb0EPKdPdPKlPlN2at6native12_GLOBAL__N_18offset_tEEE10hipError_tPvRmT1_PNSt15iterator_traitsISK_E10value_typeET2_T3_PNSL_ISQ_E10value_typeET4_jRbjT5_SW_jjP12ihipStream_tbEUlT_E_NS1_11comp_targetILNS1_3genE3ELNS1_11target_archE908ELNS1_3gpuE7ELNS1_3repE0EEENS1_30default_config_static_selectorELNS0_4arch9wavefront6targetE0EEEvSK_.has_dyn_sized_stack, 0
	.set _ZN7rocprim17ROCPRIM_400000_NS6detail17trampoline_kernelINS0_14default_configENS1_36segmented_radix_sort_config_selectorIdlEEZNS1_25segmented_radix_sort_implIS3_Lb0EPKdPdPKlPlN2at6native12_GLOBAL__N_18offset_tEEE10hipError_tPvRmT1_PNSt15iterator_traitsISK_E10value_typeET2_T3_PNSL_ISQ_E10value_typeET4_jRbjT5_SW_jjP12ihipStream_tbEUlT_E_NS1_11comp_targetILNS1_3genE3ELNS1_11target_archE908ELNS1_3gpuE7ELNS1_3repE0EEENS1_30default_config_static_selectorELNS0_4arch9wavefront6targetE0EEEvSK_.has_recursion, 0
	.set _ZN7rocprim17ROCPRIM_400000_NS6detail17trampoline_kernelINS0_14default_configENS1_36segmented_radix_sort_config_selectorIdlEEZNS1_25segmented_radix_sort_implIS3_Lb0EPKdPdPKlPlN2at6native12_GLOBAL__N_18offset_tEEE10hipError_tPvRmT1_PNSt15iterator_traitsISK_E10value_typeET2_T3_PNSL_ISQ_E10value_typeET4_jRbjT5_SW_jjP12ihipStream_tbEUlT_E_NS1_11comp_targetILNS1_3genE3ELNS1_11target_archE908ELNS1_3gpuE7ELNS1_3repE0EEENS1_30default_config_static_selectorELNS0_4arch9wavefront6targetE0EEEvSK_.has_indirect_call, 0
	.section	.AMDGPU.csdata,"",@progbits
; Kernel info:
; codeLenInByte = 0
; TotalNumSgprs: 0
; NumVgprs: 0
; ScratchSize: 0
; MemoryBound: 0
; FloatMode: 240
; IeeeMode: 1
; LDSByteSize: 0 bytes/workgroup (compile time only)
; SGPRBlocks: 0
; VGPRBlocks: 0
; NumSGPRsForWavesPerEU: 1
; NumVGPRsForWavesPerEU: 1
; NamedBarCnt: 0
; Occupancy: 16
; WaveLimiterHint : 0
; COMPUTE_PGM_RSRC2:SCRATCH_EN: 0
; COMPUTE_PGM_RSRC2:USER_SGPR: 2
; COMPUTE_PGM_RSRC2:TRAP_HANDLER: 0
; COMPUTE_PGM_RSRC2:TGID_X_EN: 1
; COMPUTE_PGM_RSRC2:TGID_Y_EN: 0
; COMPUTE_PGM_RSRC2:TGID_Z_EN: 0
; COMPUTE_PGM_RSRC2:TIDIG_COMP_CNT: 0
	.section	.text._ZN7rocprim17ROCPRIM_400000_NS6detail17trampoline_kernelINS0_14default_configENS1_36segmented_radix_sort_config_selectorIdlEEZNS1_25segmented_radix_sort_implIS3_Lb0EPKdPdPKlPlN2at6native12_GLOBAL__N_18offset_tEEE10hipError_tPvRmT1_PNSt15iterator_traitsISK_E10value_typeET2_T3_PNSL_ISQ_E10value_typeET4_jRbjT5_SW_jjP12ihipStream_tbEUlT_E_NS1_11comp_targetILNS1_3genE2ELNS1_11target_archE906ELNS1_3gpuE6ELNS1_3repE0EEENS1_30default_config_static_selectorELNS0_4arch9wavefront6targetE0EEEvSK_,"axG",@progbits,_ZN7rocprim17ROCPRIM_400000_NS6detail17trampoline_kernelINS0_14default_configENS1_36segmented_radix_sort_config_selectorIdlEEZNS1_25segmented_radix_sort_implIS3_Lb0EPKdPdPKlPlN2at6native12_GLOBAL__N_18offset_tEEE10hipError_tPvRmT1_PNSt15iterator_traitsISK_E10value_typeET2_T3_PNSL_ISQ_E10value_typeET4_jRbjT5_SW_jjP12ihipStream_tbEUlT_E_NS1_11comp_targetILNS1_3genE2ELNS1_11target_archE906ELNS1_3gpuE6ELNS1_3repE0EEENS1_30default_config_static_selectorELNS0_4arch9wavefront6targetE0EEEvSK_,comdat
	.globl	_ZN7rocprim17ROCPRIM_400000_NS6detail17trampoline_kernelINS0_14default_configENS1_36segmented_radix_sort_config_selectorIdlEEZNS1_25segmented_radix_sort_implIS3_Lb0EPKdPdPKlPlN2at6native12_GLOBAL__N_18offset_tEEE10hipError_tPvRmT1_PNSt15iterator_traitsISK_E10value_typeET2_T3_PNSL_ISQ_E10value_typeET4_jRbjT5_SW_jjP12ihipStream_tbEUlT_E_NS1_11comp_targetILNS1_3genE2ELNS1_11target_archE906ELNS1_3gpuE6ELNS1_3repE0EEENS1_30default_config_static_selectorELNS0_4arch9wavefront6targetE0EEEvSK_ ; -- Begin function _ZN7rocprim17ROCPRIM_400000_NS6detail17trampoline_kernelINS0_14default_configENS1_36segmented_radix_sort_config_selectorIdlEEZNS1_25segmented_radix_sort_implIS3_Lb0EPKdPdPKlPlN2at6native12_GLOBAL__N_18offset_tEEE10hipError_tPvRmT1_PNSt15iterator_traitsISK_E10value_typeET2_T3_PNSL_ISQ_E10value_typeET4_jRbjT5_SW_jjP12ihipStream_tbEUlT_E_NS1_11comp_targetILNS1_3genE2ELNS1_11target_archE906ELNS1_3gpuE6ELNS1_3repE0EEENS1_30default_config_static_selectorELNS0_4arch9wavefront6targetE0EEEvSK_
	.p2align	8
	.type	_ZN7rocprim17ROCPRIM_400000_NS6detail17trampoline_kernelINS0_14default_configENS1_36segmented_radix_sort_config_selectorIdlEEZNS1_25segmented_radix_sort_implIS3_Lb0EPKdPdPKlPlN2at6native12_GLOBAL__N_18offset_tEEE10hipError_tPvRmT1_PNSt15iterator_traitsISK_E10value_typeET2_T3_PNSL_ISQ_E10value_typeET4_jRbjT5_SW_jjP12ihipStream_tbEUlT_E_NS1_11comp_targetILNS1_3genE2ELNS1_11target_archE906ELNS1_3gpuE6ELNS1_3repE0EEENS1_30default_config_static_selectorELNS0_4arch9wavefront6targetE0EEEvSK_,@function
_ZN7rocprim17ROCPRIM_400000_NS6detail17trampoline_kernelINS0_14default_configENS1_36segmented_radix_sort_config_selectorIdlEEZNS1_25segmented_radix_sort_implIS3_Lb0EPKdPdPKlPlN2at6native12_GLOBAL__N_18offset_tEEE10hipError_tPvRmT1_PNSt15iterator_traitsISK_E10value_typeET2_T3_PNSL_ISQ_E10value_typeET4_jRbjT5_SW_jjP12ihipStream_tbEUlT_E_NS1_11comp_targetILNS1_3genE2ELNS1_11target_archE906ELNS1_3gpuE6ELNS1_3repE0EEENS1_30default_config_static_selectorELNS0_4arch9wavefront6targetE0EEEvSK_: ; @_ZN7rocprim17ROCPRIM_400000_NS6detail17trampoline_kernelINS0_14default_configENS1_36segmented_radix_sort_config_selectorIdlEEZNS1_25segmented_radix_sort_implIS3_Lb0EPKdPdPKlPlN2at6native12_GLOBAL__N_18offset_tEEE10hipError_tPvRmT1_PNSt15iterator_traitsISK_E10value_typeET2_T3_PNSL_ISQ_E10value_typeET4_jRbjT5_SW_jjP12ihipStream_tbEUlT_E_NS1_11comp_targetILNS1_3genE2ELNS1_11target_archE906ELNS1_3gpuE6ELNS1_3repE0EEENS1_30default_config_static_selectorELNS0_4arch9wavefront6targetE0EEEvSK_
; %bb.0:
	.section	.rodata,"a",@progbits
	.p2align	6, 0x0
	.amdhsa_kernel _ZN7rocprim17ROCPRIM_400000_NS6detail17trampoline_kernelINS0_14default_configENS1_36segmented_radix_sort_config_selectorIdlEEZNS1_25segmented_radix_sort_implIS3_Lb0EPKdPdPKlPlN2at6native12_GLOBAL__N_18offset_tEEE10hipError_tPvRmT1_PNSt15iterator_traitsISK_E10value_typeET2_T3_PNSL_ISQ_E10value_typeET4_jRbjT5_SW_jjP12ihipStream_tbEUlT_E_NS1_11comp_targetILNS1_3genE2ELNS1_11target_archE906ELNS1_3gpuE6ELNS1_3repE0EEENS1_30default_config_static_selectorELNS0_4arch9wavefront6targetE0EEEvSK_
		.amdhsa_group_segment_fixed_size 0
		.amdhsa_private_segment_fixed_size 0
		.amdhsa_kernarg_size 96
		.amdhsa_user_sgpr_count 2
		.amdhsa_user_sgpr_dispatch_ptr 0
		.amdhsa_user_sgpr_queue_ptr 0
		.amdhsa_user_sgpr_kernarg_segment_ptr 1
		.amdhsa_user_sgpr_dispatch_id 0
		.amdhsa_user_sgpr_kernarg_preload_length 0
		.amdhsa_user_sgpr_kernarg_preload_offset 0
		.amdhsa_user_sgpr_private_segment_size 0
		.amdhsa_wavefront_size32 1
		.amdhsa_uses_dynamic_stack 0
		.amdhsa_enable_private_segment 0
		.amdhsa_system_sgpr_workgroup_id_x 1
		.amdhsa_system_sgpr_workgroup_id_y 0
		.amdhsa_system_sgpr_workgroup_id_z 0
		.amdhsa_system_sgpr_workgroup_info 0
		.amdhsa_system_vgpr_workitem_id 0
		.amdhsa_next_free_vgpr 1
		.amdhsa_next_free_sgpr 1
		.amdhsa_named_barrier_count 0
		.amdhsa_reserve_vcc 0
		.amdhsa_float_round_mode_32 0
		.amdhsa_float_round_mode_16_64 0
		.amdhsa_float_denorm_mode_32 3
		.amdhsa_float_denorm_mode_16_64 3
		.amdhsa_fp16_overflow 0
		.amdhsa_memory_ordered 1
		.amdhsa_forward_progress 1
		.amdhsa_inst_pref_size 0
		.amdhsa_round_robin_scheduling 0
		.amdhsa_exception_fp_ieee_invalid_op 0
		.amdhsa_exception_fp_denorm_src 0
		.amdhsa_exception_fp_ieee_div_zero 0
		.amdhsa_exception_fp_ieee_overflow 0
		.amdhsa_exception_fp_ieee_underflow 0
		.amdhsa_exception_fp_ieee_inexact 0
		.amdhsa_exception_int_div_zero 0
	.end_amdhsa_kernel
	.section	.text._ZN7rocprim17ROCPRIM_400000_NS6detail17trampoline_kernelINS0_14default_configENS1_36segmented_radix_sort_config_selectorIdlEEZNS1_25segmented_radix_sort_implIS3_Lb0EPKdPdPKlPlN2at6native12_GLOBAL__N_18offset_tEEE10hipError_tPvRmT1_PNSt15iterator_traitsISK_E10value_typeET2_T3_PNSL_ISQ_E10value_typeET4_jRbjT5_SW_jjP12ihipStream_tbEUlT_E_NS1_11comp_targetILNS1_3genE2ELNS1_11target_archE906ELNS1_3gpuE6ELNS1_3repE0EEENS1_30default_config_static_selectorELNS0_4arch9wavefront6targetE0EEEvSK_,"axG",@progbits,_ZN7rocprim17ROCPRIM_400000_NS6detail17trampoline_kernelINS0_14default_configENS1_36segmented_radix_sort_config_selectorIdlEEZNS1_25segmented_radix_sort_implIS3_Lb0EPKdPdPKlPlN2at6native12_GLOBAL__N_18offset_tEEE10hipError_tPvRmT1_PNSt15iterator_traitsISK_E10value_typeET2_T3_PNSL_ISQ_E10value_typeET4_jRbjT5_SW_jjP12ihipStream_tbEUlT_E_NS1_11comp_targetILNS1_3genE2ELNS1_11target_archE906ELNS1_3gpuE6ELNS1_3repE0EEENS1_30default_config_static_selectorELNS0_4arch9wavefront6targetE0EEEvSK_,comdat
.Lfunc_end1220:
	.size	_ZN7rocprim17ROCPRIM_400000_NS6detail17trampoline_kernelINS0_14default_configENS1_36segmented_radix_sort_config_selectorIdlEEZNS1_25segmented_radix_sort_implIS3_Lb0EPKdPdPKlPlN2at6native12_GLOBAL__N_18offset_tEEE10hipError_tPvRmT1_PNSt15iterator_traitsISK_E10value_typeET2_T3_PNSL_ISQ_E10value_typeET4_jRbjT5_SW_jjP12ihipStream_tbEUlT_E_NS1_11comp_targetILNS1_3genE2ELNS1_11target_archE906ELNS1_3gpuE6ELNS1_3repE0EEENS1_30default_config_static_selectorELNS0_4arch9wavefront6targetE0EEEvSK_, .Lfunc_end1220-_ZN7rocprim17ROCPRIM_400000_NS6detail17trampoline_kernelINS0_14default_configENS1_36segmented_radix_sort_config_selectorIdlEEZNS1_25segmented_radix_sort_implIS3_Lb0EPKdPdPKlPlN2at6native12_GLOBAL__N_18offset_tEEE10hipError_tPvRmT1_PNSt15iterator_traitsISK_E10value_typeET2_T3_PNSL_ISQ_E10value_typeET4_jRbjT5_SW_jjP12ihipStream_tbEUlT_E_NS1_11comp_targetILNS1_3genE2ELNS1_11target_archE906ELNS1_3gpuE6ELNS1_3repE0EEENS1_30default_config_static_selectorELNS0_4arch9wavefront6targetE0EEEvSK_
                                        ; -- End function
	.set _ZN7rocprim17ROCPRIM_400000_NS6detail17trampoline_kernelINS0_14default_configENS1_36segmented_radix_sort_config_selectorIdlEEZNS1_25segmented_radix_sort_implIS3_Lb0EPKdPdPKlPlN2at6native12_GLOBAL__N_18offset_tEEE10hipError_tPvRmT1_PNSt15iterator_traitsISK_E10value_typeET2_T3_PNSL_ISQ_E10value_typeET4_jRbjT5_SW_jjP12ihipStream_tbEUlT_E_NS1_11comp_targetILNS1_3genE2ELNS1_11target_archE906ELNS1_3gpuE6ELNS1_3repE0EEENS1_30default_config_static_selectorELNS0_4arch9wavefront6targetE0EEEvSK_.num_vgpr, 0
	.set _ZN7rocprim17ROCPRIM_400000_NS6detail17trampoline_kernelINS0_14default_configENS1_36segmented_radix_sort_config_selectorIdlEEZNS1_25segmented_radix_sort_implIS3_Lb0EPKdPdPKlPlN2at6native12_GLOBAL__N_18offset_tEEE10hipError_tPvRmT1_PNSt15iterator_traitsISK_E10value_typeET2_T3_PNSL_ISQ_E10value_typeET4_jRbjT5_SW_jjP12ihipStream_tbEUlT_E_NS1_11comp_targetILNS1_3genE2ELNS1_11target_archE906ELNS1_3gpuE6ELNS1_3repE0EEENS1_30default_config_static_selectorELNS0_4arch9wavefront6targetE0EEEvSK_.num_agpr, 0
	.set _ZN7rocprim17ROCPRIM_400000_NS6detail17trampoline_kernelINS0_14default_configENS1_36segmented_radix_sort_config_selectorIdlEEZNS1_25segmented_radix_sort_implIS3_Lb0EPKdPdPKlPlN2at6native12_GLOBAL__N_18offset_tEEE10hipError_tPvRmT1_PNSt15iterator_traitsISK_E10value_typeET2_T3_PNSL_ISQ_E10value_typeET4_jRbjT5_SW_jjP12ihipStream_tbEUlT_E_NS1_11comp_targetILNS1_3genE2ELNS1_11target_archE906ELNS1_3gpuE6ELNS1_3repE0EEENS1_30default_config_static_selectorELNS0_4arch9wavefront6targetE0EEEvSK_.numbered_sgpr, 0
	.set _ZN7rocprim17ROCPRIM_400000_NS6detail17trampoline_kernelINS0_14default_configENS1_36segmented_radix_sort_config_selectorIdlEEZNS1_25segmented_radix_sort_implIS3_Lb0EPKdPdPKlPlN2at6native12_GLOBAL__N_18offset_tEEE10hipError_tPvRmT1_PNSt15iterator_traitsISK_E10value_typeET2_T3_PNSL_ISQ_E10value_typeET4_jRbjT5_SW_jjP12ihipStream_tbEUlT_E_NS1_11comp_targetILNS1_3genE2ELNS1_11target_archE906ELNS1_3gpuE6ELNS1_3repE0EEENS1_30default_config_static_selectorELNS0_4arch9wavefront6targetE0EEEvSK_.num_named_barrier, 0
	.set _ZN7rocprim17ROCPRIM_400000_NS6detail17trampoline_kernelINS0_14default_configENS1_36segmented_radix_sort_config_selectorIdlEEZNS1_25segmented_radix_sort_implIS3_Lb0EPKdPdPKlPlN2at6native12_GLOBAL__N_18offset_tEEE10hipError_tPvRmT1_PNSt15iterator_traitsISK_E10value_typeET2_T3_PNSL_ISQ_E10value_typeET4_jRbjT5_SW_jjP12ihipStream_tbEUlT_E_NS1_11comp_targetILNS1_3genE2ELNS1_11target_archE906ELNS1_3gpuE6ELNS1_3repE0EEENS1_30default_config_static_selectorELNS0_4arch9wavefront6targetE0EEEvSK_.private_seg_size, 0
	.set _ZN7rocprim17ROCPRIM_400000_NS6detail17trampoline_kernelINS0_14default_configENS1_36segmented_radix_sort_config_selectorIdlEEZNS1_25segmented_radix_sort_implIS3_Lb0EPKdPdPKlPlN2at6native12_GLOBAL__N_18offset_tEEE10hipError_tPvRmT1_PNSt15iterator_traitsISK_E10value_typeET2_T3_PNSL_ISQ_E10value_typeET4_jRbjT5_SW_jjP12ihipStream_tbEUlT_E_NS1_11comp_targetILNS1_3genE2ELNS1_11target_archE906ELNS1_3gpuE6ELNS1_3repE0EEENS1_30default_config_static_selectorELNS0_4arch9wavefront6targetE0EEEvSK_.uses_vcc, 0
	.set _ZN7rocprim17ROCPRIM_400000_NS6detail17trampoline_kernelINS0_14default_configENS1_36segmented_radix_sort_config_selectorIdlEEZNS1_25segmented_radix_sort_implIS3_Lb0EPKdPdPKlPlN2at6native12_GLOBAL__N_18offset_tEEE10hipError_tPvRmT1_PNSt15iterator_traitsISK_E10value_typeET2_T3_PNSL_ISQ_E10value_typeET4_jRbjT5_SW_jjP12ihipStream_tbEUlT_E_NS1_11comp_targetILNS1_3genE2ELNS1_11target_archE906ELNS1_3gpuE6ELNS1_3repE0EEENS1_30default_config_static_selectorELNS0_4arch9wavefront6targetE0EEEvSK_.uses_flat_scratch, 0
	.set _ZN7rocprim17ROCPRIM_400000_NS6detail17trampoline_kernelINS0_14default_configENS1_36segmented_radix_sort_config_selectorIdlEEZNS1_25segmented_radix_sort_implIS3_Lb0EPKdPdPKlPlN2at6native12_GLOBAL__N_18offset_tEEE10hipError_tPvRmT1_PNSt15iterator_traitsISK_E10value_typeET2_T3_PNSL_ISQ_E10value_typeET4_jRbjT5_SW_jjP12ihipStream_tbEUlT_E_NS1_11comp_targetILNS1_3genE2ELNS1_11target_archE906ELNS1_3gpuE6ELNS1_3repE0EEENS1_30default_config_static_selectorELNS0_4arch9wavefront6targetE0EEEvSK_.has_dyn_sized_stack, 0
	.set _ZN7rocprim17ROCPRIM_400000_NS6detail17trampoline_kernelINS0_14default_configENS1_36segmented_radix_sort_config_selectorIdlEEZNS1_25segmented_radix_sort_implIS3_Lb0EPKdPdPKlPlN2at6native12_GLOBAL__N_18offset_tEEE10hipError_tPvRmT1_PNSt15iterator_traitsISK_E10value_typeET2_T3_PNSL_ISQ_E10value_typeET4_jRbjT5_SW_jjP12ihipStream_tbEUlT_E_NS1_11comp_targetILNS1_3genE2ELNS1_11target_archE906ELNS1_3gpuE6ELNS1_3repE0EEENS1_30default_config_static_selectorELNS0_4arch9wavefront6targetE0EEEvSK_.has_recursion, 0
	.set _ZN7rocprim17ROCPRIM_400000_NS6detail17trampoline_kernelINS0_14default_configENS1_36segmented_radix_sort_config_selectorIdlEEZNS1_25segmented_radix_sort_implIS3_Lb0EPKdPdPKlPlN2at6native12_GLOBAL__N_18offset_tEEE10hipError_tPvRmT1_PNSt15iterator_traitsISK_E10value_typeET2_T3_PNSL_ISQ_E10value_typeET4_jRbjT5_SW_jjP12ihipStream_tbEUlT_E_NS1_11comp_targetILNS1_3genE2ELNS1_11target_archE906ELNS1_3gpuE6ELNS1_3repE0EEENS1_30default_config_static_selectorELNS0_4arch9wavefront6targetE0EEEvSK_.has_indirect_call, 0
	.section	.AMDGPU.csdata,"",@progbits
; Kernel info:
; codeLenInByte = 0
; TotalNumSgprs: 0
; NumVgprs: 0
; ScratchSize: 0
; MemoryBound: 0
; FloatMode: 240
; IeeeMode: 1
; LDSByteSize: 0 bytes/workgroup (compile time only)
; SGPRBlocks: 0
; VGPRBlocks: 0
; NumSGPRsForWavesPerEU: 1
; NumVGPRsForWavesPerEU: 1
; NamedBarCnt: 0
; Occupancy: 16
; WaveLimiterHint : 0
; COMPUTE_PGM_RSRC2:SCRATCH_EN: 0
; COMPUTE_PGM_RSRC2:USER_SGPR: 2
; COMPUTE_PGM_RSRC2:TRAP_HANDLER: 0
; COMPUTE_PGM_RSRC2:TGID_X_EN: 1
; COMPUTE_PGM_RSRC2:TGID_Y_EN: 0
; COMPUTE_PGM_RSRC2:TGID_Z_EN: 0
; COMPUTE_PGM_RSRC2:TIDIG_COMP_CNT: 0
	.section	.text._ZN7rocprim17ROCPRIM_400000_NS6detail17trampoline_kernelINS0_14default_configENS1_36segmented_radix_sort_config_selectorIdlEEZNS1_25segmented_radix_sort_implIS3_Lb0EPKdPdPKlPlN2at6native12_GLOBAL__N_18offset_tEEE10hipError_tPvRmT1_PNSt15iterator_traitsISK_E10value_typeET2_T3_PNSL_ISQ_E10value_typeET4_jRbjT5_SW_jjP12ihipStream_tbEUlT_E_NS1_11comp_targetILNS1_3genE10ELNS1_11target_archE1201ELNS1_3gpuE5ELNS1_3repE0EEENS1_30default_config_static_selectorELNS0_4arch9wavefront6targetE0EEEvSK_,"axG",@progbits,_ZN7rocprim17ROCPRIM_400000_NS6detail17trampoline_kernelINS0_14default_configENS1_36segmented_radix_sort_config_selectorIdlEEZNS1_25segmented_radix_sort_implIS3_Lb0EPKdPdPKlPlN2at6native12_GLOBAL__N_18offset_tEEE10hipError_tPvRmT1_PNSt15iterator_traitsISK_E10value_typeET2_T3_PNSL_ISQ_E10value_typeET4_jRbjT5_SW_jjP12ihipStream_tbEUlT_E_NS1_11comp_targetILNS1_3genE10ELNS1_11target_archE1201ELNS1_3gpuE5ELNS1_3repE0EEENS1_30default_config_static_selectorELNS0_4arch9wavefront6targetE0EEEvSK_,comdat
	.globl	_ZN7rocprim17ROCPRIM_400000_NS6detail17trampoline_kernelINS0_14default_configENS1_36segmented_radix_sort_config_selectorIdlEEZNS1_25segmented_radix_sort_implIS3_Lb0EPKdPdPKlPlN2at6native12_GLOBAL__N_18offset_tEEE10hipError_tPvRmT1_PNSt15iterator_traitsISK_E10value_typeET2_T3_PNSL_ISQ_E10value_typeET4_jRbjT5_SW_jjP12ihipStream_tbEUlT_E_NS1_11comp_targetILNS1_3genE10ELNS1_11target_archE1201ELNS1_3gpuE5ELNS1_3repE0EEENS1_30default_config_static_selectorELNS0_4arch9wavefront6targetE0EEEvSK_ ; -- Begin function _ZN7rocprim17ROCPRIM_400000_NS6detail17trampoline_kernelINS0_14default_configENS1_36segmented_radix_sort_config_selectorIdlEEZNS1_25segmented_radix_sort_implIS3_Lb0EPKdPdPKlPlN2at6native12_GLOBAL__N_18offset_tEEE10hipError_tPvRmT1_PNSt15iterator_traitsISK_E10value_typeET2_T3_PNSL_ISQ_E10value_typeET4_jRbjT5_SW_jjP12ihipStream_tbEUlT_E_NS1_11comp_targetILNS1_3genE10ELNS1_11target_archE1201ELNS1_3gpuE5ELNS1_3repE0EEENS1_30default_config_static_selectorELNS0_4arch9wavefront6targetE0EEEvSK_
	.p2align	8
	.type	_ZN7rocprim17ROCPRIM_400000_NS6detail17trampoline_kernelINS0_14default_configENS1_36segmented_radix_sort_config_selectorIdlEEZNS1_25segmented_radix_sort_implIS3_Lb0EPKdPdPKlPlN2at6native12_GLOBAL__N_18offset_tEEE10hipError_tPvRmT1_PNSt15iterator_traitsISK_E10value_typeET2_T3_PNSL_ISQ_E10value_typeET4_jRbjT5_SW_jjP12ihipStream_tbEUlT_E_NS1_11comp_targetILNS1_3genE10ELNS1_11target_archE1201ELNS1_3gpuE5ELNS1_3repE0EEENS1_30default_config_static_selectorELNS0_4arch9wavefront6targetE0EEEvSK_,@function
_ZN7rocprim17ROCPRIM_400000_NS6detail17trampoline_kernelINS0_14default_configENS1_36segmented_radix_sort_config_selectorIdlEEZNS1_25segmented_radix_sort_implIS3_Lb0EPKdPdPKlPlN2at6native12_GLOBAL__N_18offset_tEEE10hipError_tPvRmT1_PNSt15iterator_traitsISK_E10value_typeET2_T3_PNSL_ISQ_E10value_typeET4_jRbjT5_SW_jjP12ihipStream_tbEUlT_E_NS1_11comp_targetILNS1_3genE10ELNS1_11target_archE1201ELNS1_3gpuE5ELNS1_3repE0EEENS1_30default_config_static_selectorELNS0_4arch9wavefront6targetE0EEEvSK_: ; @_ZN7rocprim17ROCPRIM_400000_NS6detail17trampoline_kernelINS0_14default_configENS1_36segmented_radix_sort_config_selectorIdlEEZNS1_25segmented_radix_sort_implIS3_Lb0EPKdPdPKlPlN2at6native12_GLOBAL__N_18offset_tEEE10hipError_tPvRmT1_PNSt15iterator_traitsISK_E10value_typeET2_T3_PNSL_ISQ_E10value_typeET4_jRbjT5_SW_jjP12ihipStream_tbEUlT_E_NS1_11comp_targetILNS1_3genE10ELNS1_11target_archE1201ELNS1_3gpuE5ELNS1_3repE0EEENS1_30default_config_static_selectorELNS0_4arch9wavefront6targetE0EEEvSK_
; %bb.0:
	.section	.rodata,"a",@progbits
	.p2align	6, 0x0
	.amdhsa_kernel _ZN7rocprim17ROCPRIM_400000_NS6detail17trampoline_kernelINS0_14default_configENS1_36segmented_radix_sort_config_selectorIdlEEZNS1_25segmented_radix_sort_implIS3_Lb0EPKdPdPKlPlN2at6native12_GLOBAL__N_18offset_tEEE10hipError_tPvRmT1_PNSt15iterator_traitsISK_E10value_typeET2_T3_PNSL_ISQ_E10value_typeET4_jRbjT5_SW_jjP12ihipStream_tbEUlT_E_NS1_11comp_targetILNS1_3genE10ELNS1_11target_archE1201ELNS1_3gpuE5ELNS1_3repE0EEENS1_30default_config_static_selectorELNS0_4arch9wavefront6targetE0EEEvSK_
		.amdhsa_group_segment_fixed_size 0
		.amdhsa_private_segment_fixed_size 0
		.amdhsa_kernarg_size 96
		.amdhsa_user_sgpr_count 2
		.amdhsa_user_sgpr_dispatch_ptr 0
		.amdhsa_user_sgpr_queue_ptr 0
		.amdhsa_user_sgpr_kernarg_segment_ptr 1
		.amdhsa_user_sgpr_dispatch_id 0
		.amdhsa_user_sgpr_kernarg_preload_length 0
		.amdhsa_user_sgpr_kernarg_preload_offset 0
		.amdhsa_user_sgpr_private_segment_size 0
		.amdhsa_wavefront_size32 1
		.amdhsa_uses_dynamic_stack 0
		.amdhsa_enable_private_segment 0
		.amdhsa_system_sgpr_workgroup_id_x 1
		.amdhsa_system_sgpr_workgroup_id_y 0
		.amdhsa_system_sgpr_workgroup_id_z 0
		.amdhsa_system_sgpr_workgroup_info 0
		.amdhsa_system_vgpr_workitem_id 0
		.amdhsa_next_free_vgpr 1
		.amdhsa_next_free_sgpr 1
		.amdhsa_named_barrier_count 0
		.amdhsa_reserve_vcc 0
		.amdhsa_float_round_mode_32 0
		.amdhsa_float_round_mode_16_64 0
		.amdhsa_float_denorm_mode_32 3
		.amdhsa_float_denorm_mode_16_64 3
		.amdhsa_fp16_overflow 0
		.amdhsa_memory_ordered 1
		.amdhsa_forward_progress 1
		.amdhsa_inst_pref_size 0
		.amdhsa_round_robin_scheduling 0
		.amdhsa_exception_fp_ieee_invalid_op 0
		.amdhsa_exception_fp_denorm_src 0
		.amdhsa_exception_fp_ieee_div_zero 0
		.amdhsa_exception_fp_ieee_overflow 0
		.amdhsa_exception_fp_ieee_underflow 0
		.amdhsa_exception_fp_ieee_inexact 0
		.amdhsa_exception_int_div_zero 0
	.end_amdhsa_kernel
	.section	.text._ZN7rocprim17ROCPRIM_400000_NS6detail17trampoline_kernelINS0_14default_configENS1_36segmented_radix_sort_config_selectorIdlEEZNS1_25segmented_radix_sort_implIS3_Lb0EPKdPdPKlPlN2at6native12_GLOBAL__N_18offset_tEEE10hipError_tPvRmT1_PNSt15iterator_traitsISK_E10value_typeET2_T3_PNSL_ISQ_E10value_typeET4_jRbjT5_SW_jjP12ihipStream_tbEUlT_E_NS1_11comp_targetILNS1_3genE10ELNS1_11target_archE1201ELNS1_3gpuE5ELNS1_3repE0EEENS1_30default_config_static_selectorELNS0_4arch9wavefront6targetE0EEEvSK_,"axG",@progbits,_ZN7rocprim17ROCPRIM_400000_NS6detail17trampoline_kernelINS0_14default_configENS1_36segmented_radix_sort_config_selectorIdlEEZNS1_25segmented_radix_sort_implIS3_Lb0EPKdPdPKlPlN2at6native12_GLOBAL__N_18offset_tEEE10hipError_tPvRmT1_PNSt15iterator_traitsISK_E10value_typeET2_T3_PNSL_ISQ_E10value_typeET4_jRbjT5_SW_jjP12ihipStream_tbEUlT_E_NS1_11comp_targetILNS1_3genE10ELNS1_11target_archE1201ELNS1_3gpuE5ELNS1_3repE0EEENS1_30default_config_static_selectorELNS0_4arch9wavefront6targetE0EEEvSK_,comdat
.Lfunc_end1221:
	.size	_ZN7rocprim17ROCPRIM_400000_NS6detail17trampoline_kernelINS0_14default_configENS1_36segmented_radix_sort_config_selectorIdlEEZNS1_25segmented_radix_sort_implIS3_Lb0EPKdPdPKlPlN2at6native12_GLOBAL__N_18offset_tEEE10hipError_tPvRmT1_PNSt15iterator_traitsISK_E10value_typeET2_T3_PNSL_ISQ_E10value_typeET4_jRbjT5_SW_jjP12ihipStream_tbEUlT_E_NS1_11comp_targetILNS1_3genE10ELNS1_11target_archE1201ELNS1_3gpuE5ELNS1_3repE0EEENS1_30default_config_static_selectorELNS0_4arch9wavefront6targetE0EEEvSK_, .Lfunc_end1221-_ZN7rocprim17ROCPRIM_400000_NS6detail17trampoline_kernelINS0_14default_configENS1_36segmented_radix_sort_config_selectorIdlEEZNS1_25segmented_radix_sort_implIS3_Lb0EPKdPdPKlPlN2at6native12_GLOBAL__N_18offset_tEEE10hipError_tPvRmT1_PNSt15iterator_traitsISK_E10value_typeET2_T3_PNSL_ISQ_E10value_typeET4_jRbjT5_SW_jjP12ihipStream_tbEUlT_E_NS1_11comp_targetILNS1_3genE10ELNS1_11target_archE1201ELNS1_3gpuE5ELNS1_3repE0EEENS1_30default_config_static_selectorELNS0_4arch9wavefront6targetE0EEEvSK_
                                        ; -- End function
	.set _ZN7rocprim17ROCPRIM_400000_NS6detail17trampoline_kernelINS0_14default_configENS1_36segmented_radix_sort_config_selectorIdlEEZNS1_25segmented_radix_sort_implIS3_Lb0EPKdPdPKlPlN2at6native12_GLOBAL__N_18offset_tEEE10hipError_tPvRmT1_PNSt15iterator_traitsISK_E10value_typeET2_T3_PNSL_ISQ_E10value_typeET4_jRbjT5_SW_jjP12ihipStream_tbEUlT_E_NS1_11comp_targetILNS1_3genE10ELNS1_11target_archE1201ELNS1_3gpuE5ELNS1_3repE0EEENS1_30default_config_static_selectorELNS0_4arch9wavefront6targetE0EEEvSK_.num_vgpr, 0
	.set _ZN7rocprim17ROCPRIM_400000_NS6detail17trampoline_kernelINS0_14default_configENS1_36segmented_radix_sort_config_selectorIdlEEZNS1_25segmented_radix_sort_implIS3_Lb0EPKdPdPKlPlN2at6native12_GLOBAL__N_18offset_tEEE10hipError_tPvRmT1_PNSt15iterator_traitsISK_E10value_typeET2_T3_PNSL_ISQ_E10value_typeET4_jRbjT5_SW_jjP12ihipStream_tbEUlT_E_NS1_11comp_targetILNS1_3genE10ELNS1_11target_archE1201ELNS1_3gpuE5ELNS1_3repE0EEENS1_30default_config_static_selectorELNS0_4arch9wavefront6targetE0EEEvSK_.num_agpr, 0
	.set _ZN7rocprim17ROCPRIM_400000_NS6detail17trampoline_kernelINS0_14default_configENS1_36segmented_radix_sort_config_selectorIdlEEZNS1_25segmented_radix_sort_implIS3_Lb0EPKdPdPKlPlN2at6native12_GLOBAL__N_18offset_tEEE10hipError_tPvRmT1_PNSt15iterator_traitsISK_E10value_typeET2_T3_PNSL_ISQ_E10value_typeET4_jRbjT5_SW_jjP12ihipStream_tbEUlT_E_NS1_11comp_targetILNS1_3genE10ELNS1_11target_archE1201ELNS1_3gpuE5ELNS1_3repE0EEENS1_30default_config_static_selectorELNS0_4arch9wavefront6targetE0EEEvSK_.numbered_sgpr, 0
	.set _ZN7rocprim17ROCPRIM_400000_NS6detail17trampoline_kernelINS0_14default_configENS1_36segmented_radix_sort_config_selectorIdlEEZNS1_25segmented_radix_sort_implIS3_Lb0EPKdPdPKlPlN2at6native12_GLOBAL__N_18offset_tEEE10hipError_tPvRmT1_PNSt15iterator_traitsISK_E10value_typeET2_T3_PNSL_ISQ_E10value_typeET4_jRbjT5_SW_jjP12ihipStream_tbEUlT_E_NS1_11comp_targetILNS1_3genE10ELNS1_11target_archE1201ELNS1_3gpuE5ELNS1_3repE0EEENS1_30default_config_static_selectorELNS0_4arch9wavefront6targetE0EEEvSK_.num_named_barrier, 0
	.set _ZN7rocprim17ROCPRIM_400000_NS6detail17trampoline_kernelINS0_14default_configENS1_36segmented_radix_sort_config_selectorIdlEEZNS1_25segmented_radix_sort_implIS3_Lb0EPKdPdPKlPlN2at6native12_GLOBAL__N_18offset_tEEE10hipError_tPvRmT1_PNSt15iterator_traitsISK_E10value_typeET2_T3_PNSL_ISQ_E10value_typeET4_jRbjT5_SW_jjP12ihipStream_tbEUlT_E_NS1_11comp_targetILNS1_3genE10ELNS1_11target_archE1201ELNS1_3gpuE5ELNS1_3repE0EEENS1_30default_config_static_selectorELNS0_4arch9wavefront6targetE0EEEvSK_.private_seg_size, 0
	.set _ZN7rocprim17ROCPRIM_400000_NS6detail17trampoline_kernelINS0_14default_configENS1_36segmented_radix_sort_config_selectorIdlEEZNS1_25segmented_radix_sort_implIS3_Lb0EPKdPdPKlPlN2at6native12_GLOBAL__N_18offset_tEEE10hipError_tPvRmT1_PNSt15iterator_traitsISK_E10value_typeET2_T3_PNSL_ISQ_E10value_typeET4_jRbjT5_SW_jjP12ihipStream_tbEUlT_E_NS1_11comp_targetILNS1_3genE10ELNS1_11target_archE1201ELNS1_3gpuE5ELNS1_3repE0EEENS1_30default_config_static_selectorELNS0_4arch9wavefront6targetE0EEEvSK_.uses_vcc, 0
	.set _ZN7rocprim17ROCPRIM_400000_NS6detail17trampoline_kernelINS0_14default_configENS1_36segmented_radix_sort_config_selectorIdlEEZNS1_25segmented_radix_sort_implIS3_Lb0EPKdPdPKlPlN2at6native12_GLOBAL__N_18offset_tEEE10hipError_tPvRmT1_PNSt15iterator_traitsISK_E10value_typeET2_T3_PNSL_ISQ_E10value_typeET4_jRbjT5_SW_jjP12ihipStream_tbEUlT_E_NS1_11comp_targetILNS1_3genE10ELNS1_11target_archE1201ELNS1_3gpuE5ELNS1_3repE0EEENS1_30default_config_static_selectorELNS0_4arch9wavefront6targetE0EEEvSK_.uses_flat_scratch, 0
	.set _ZN7rocprim17ROCPRIM_400000_NS6detail17trampoline_kernelINS0_14default_configENS1_36segmented_radix_sort_config_selectorIdlEEZNS1_25segmented_radix_sort_implIS3_Lb0EPKdPdPKlPlN2at6native12_GLOBAL__N_18offset_tEEE10hipError_tPvRmT1_PNSt15iterator_traitsISK_E10value_typeET2_T3_PNSL_ISQ_E10value_typeET4_jRbjT5_SW_jjP12ihipStream_tbEUlT_E_NS1_11comp_targetILNS1_3genE10ELNS1_11target_archE1201ELNS1_3gpuE5ELNS1_3repE0EEENS1_30default_config_static_selectorELNS0_4arch9wavefront6targetE0EEEvSK_.has_dyn_sized_stack, 0
	.set _ZN7rocprim17ROCPRIM_400000_NS6detail17trampoline_kernelINS0_14default_configENS1_36segmented_radix_sort_config_selectorIdlEEZNS1_25segmented_radix_sort_implIS3_Lb0EPKdPdPKlPlN2at6native12_GLOBAL__N_18offset_tEEE10hipError_tPvRmT1_PNSt15iterator_traitsISK_E10value_typeET2_T3_PNSL_ISQ_E10value_typeET4_jRbjT5_SW_jjP12ihipStream_tbEUlT_E_NS1_11comp_targetILNS1_3genE10ELNS1_11target_archE1201ELNS1_3gpuE5ELNS1_3repE0EEENS1_30default_config_static_selectorELNS0_4arch9wavefront6targetE0EEEvSK_.has_recursion, 0
	.set _ZN7rocprim17ROCPRIM_400000_NS6detail17trampoline_kernelINS0_14default_configENS1_36segmented_radix_sort_config_selectorIdlEEZNS1_25segmented_radix_sort_implIS3_Lb0EPKdPdPKlPlN2at6native12_GLOBAL__N_18offset_tEEE10hipError_tPvRmT1_PNSt15iterator_traitsISK_E10value_typeET2_T3_PNSL_ISQ_E10value_typeET4_jRbjT5_SW_jjP12ihipStream_tbEUlT_E_NS1_11comp_targetILNS1_3genE10ELNS1_11target_archE1201ELNS1_3gpuE5ELNS1_3repE0EEENS1_30default_config_static_selectorELNS0_4arch9wavefront6targetE0EEEvSK_.has_indirect_call, 0
	.section	.AMDGPU.csdata,"",@progbits
; Kernel info:
; codeLenInByte = 0
; TotalNumSgprs: 0
; NumVgprs: 0
; ScratchSize: 0
; MemoryBound: 0
; FloatMode: 240
; IeeeMode: 1
; LDSByteSize: 0 bytes/workgroup (compile time only)
; SGPRBlocks: 0
; VGPRBlocks: 0
; NumSGPRsForWavesPerEU: 1
; NumVGPRsForWavesPerEU: 1
; NamedBarCnt: 0
; Occupancy: 16
; WaveLimiterHint : 0
; COMPUTE_PGM_RSRC2:SCRATCH_EN: 0
; COMPUTE_PGM_RSRC2:USER_SGPR: 2
; COMPUTE_PGM_RSRC2:TRAP_HANDLER: 0
; COMPUTE_PGM_RSRC2:TGID_X_EN: 1
; COMPUTE_PGM_RSRC2:TGID_Y_EN: 0
; COMPUTE_PGM_RSRC2:TGID_Z_EN: 0
; COMPUTE_PGM_RSRC2:TIDIG_COMP_CNT: 0
	.section	.text._ZN7rocprim17ROCPRIM_400000_NS6detail17trampoline_kernelINS0_14default_configENS1_36segmented_radix_sort_config_selectorIdlEEZNS1_25segmented_radix_sort_implIS3_Lb0EPKdPdPKlPlN2at6native12_GLOBAL__N_18offset_tEEE10hipError_tPvRmT1_PNSt15iterator_traitsISK_E10value_typeET2_T3_PNSL_ISQ_E10value_typeET4_jRbjT5_SW_jjP12ihipStream_tbEUlT_E_NS1_11comp_targetILNS1_3genE10ELNS1_11target_archE1200ELNS1_3gpuE4ELNS1_3repE0EEENS1_30default_config_static_selectorELNS0_4arch9wavefront6targetE0EEEvSK_,"axG",@progbits,_ZN7rocprim17ROCPRIM_400000_NS6detail17trampoline_kernelINS0_14default_configENS1_36segmented_radix_sort_config_selectorIdlEEZNS1_25segmented_radix_sort_implIS3_Lb0EPKdPdPKlPlN2at6native12_GLOBAL__N_18offset_tEEE10hipError_tPvRmT1_PNSt15iterator_traitsISK_E10value_typeET2_T3_PNSL_ISQ_E10value_typeET4_jRbjT5_SW_jjP12ihipStream_tbEUlT_E_NS1_11comp_targetILNS1_3genE10ELNS1_11target_archE1200ELNS1_3gpuE4ELNS1_3repE0EEENS1_30default_config_static_selectorELNS0_4arch9wavefront6targetE0EEEvSK_,comdat
	.globl	_ZN7rocprim17ROCPRIM_400000_NS6detail17trampoline_kernelINS0_14default_configENS1_36segmented_radix_sort_config_selectorIdlEEZNS1_25segmented_radix_sort_implIS3_Lb0EPKdPdPKlPlN2at6native12_GLOBAL__N_18offset_tEEE10hipError_tPvRmT1_PNSt15iterator_traitsISK_E10value_typeET2_T3_PNSL_ISQ_E10value_typeET4_jRbjT5_SW_jjP12ihipStream_tbEUlT_E_NS1_11comp_targetILNS1_3genE10ELNS1_11target_archE1200ELNS1_3gpuE4ELNS1_3repE0EEENS1_30default_config_static_selectorELNS0_4arch9wavefront6targetE0EEEvSK_ ; -- Begin function _ZN7rocprim17ROCPRIM_400000_NS6detail17trampoline_kernelINS0_14default_configENS1_36segmented_radix_sort_config_selectorIdlEEZNS1_25segmented_radix_sort_implIS3_Lb0EPKdPdPKlPlN2at6native12_GLOBAL__N_18offset_tEEE10hipError_tPvRmT1_PNSt15iterator_traitsISK_E10value_typeET2_T3_PNSL_ISQ_E10value_typeET4_jRbjT5_SW_jjP12ihipStream_tbEUlT_E_NS1_11comp_targetILNS1_3genE10ELNS1_11target_archE1200ELNS1_3gpuE4ELNS1_3repE0EEENS1_30default_config_static_selectorELNS0_4arch9wavefront6targetE0EEEvSK_
	.p2align	8
	.type	_ZN7rocprim17ROCPRIM_400000_NS6detail17trampoline_kernelINS0_14default_configENS1_36segmented_radix_sort_config_selectorIdlEEZNS1_25segmented_radix_sort_implIS3_Lb0EPKdPdPKlPlN2at6native12_GLOBAL__N_18offset_tEEE10hipError_tPvRmT1_PNSt15iterator_traitsISK_E10value_typeET2_T3_PNSL_ISQ_E10value_typeET4_jRbjT5_SW_jjP12ihipStream_tbEUlT_E_NS1_11comp_targetILNS1_3genE10ELNS1_11target_archE1200ELNS1_3gpuE4ELNS1_3repE0EEENS1_30default_config_static_selectorELNS0_4arch9wavefront6targetE0EEEvSK_,@function
_ZN7rocprim17ROCPRIM_400000_NS6detail17trampoline_kernelINS0_14default_configENS1_36segmented_radix_sort_config_selectorIdlEEZNS1_25segmented_radix_sort_implIS3_Lb0EPKdPdPKlPlN2at6native12_GLOBAL__N_18offset_tEEE10hipError_tPvRmT1_PNSt15iterator_traitsISK_E10value_typeET2_T3_PNSL_ISQ_E10value_typeET4_jRbjT5_SW_jjP12ihipStream_tbEUlT_E_NS1_11comp_targetILNS1_3genE10ELNS1_11target_archE1200ELNS1_3gpuE4ELNS1_3repE0EEENS1_30default_config_static_selectorELNS0_4arch9wavefront6targetE0EEEvSK_: ; @_ZN7rocprim17ROCPRIM_400000_NS6detail17trampoline_kernelINS0_14default_configENS1_36segmented_radix_sort_config_selectorIdlEEZNS1_25segmented_radix_sort_implIS3_Lb0EPKdPdPKlPlN2at6native12_GLOBAL__N_18offset_tEEE10hipError_tPvRmT1_PNSt15iterator_traitsISK_E10value_typeET2_T3_PNSL_ISQ_E10value_typeET4_jRbjT5_SW_jjP12ihipStream_tbEUlT_E_NS1_11comp_targetILNS1_3genE10ELNS1_11target_archE1200ELNS1_3gpuE4ELNS1_3repE0EEENS1_30default_config_static_selectorELNS0_4arch9wavefront6targetE0EEEvSK_
; %bb.0:
	.section	.rodata,"a",@progbits
	.p2align	6, 0x0
	.amdhsa_kernel _ZN7rocprim17ROCPRIM_400000_NS6detail17trampoline_kernelINS0_14default_configENS1_36segmented_radix_sort_config_selectorIdlEEZNS1_25segmented_radix_sort_implIS3_Lb0EPKdPdPKlPlN2at6native12_GLOBAL__N_18offset_tEEE10hipError_tPvRmT1_PNSt15iterator_traitsISK_E10value_typeET2_T3_PNSL_ISQ_E10value_typeET4_jRbjT5_SW_jjP12ihipStream_tbEUlT_E_NS1_11comp_targetILNS1_3genE10ELNS1_11target_archE1200ELNS1_3gpuE4ELNS1_3repE0EEENS1_30default_config_static_selectorELNS0_4arch9wavefront6targetE0EEEvSK_
		.amdhsa_group_segment_fixed_size 0
		.amdhsa_private_segment_fixed_size 0
		.amdhsa_kernarg_size 96
		.amdhsa_user_sgpr_count 2
		.amdhsa_user_sgpr_dispatch_ptr 0
		.amdhsa_user_sgpr_queue_ptr 0
		.amdhsa_user_sgpr_kernarg_segment_ptr 1
		.amdhsa_user_sgpr_dispatch_id 0
		.amdhsa_user_sgpr_kernarg_preload_length 0
		.amdhsa_user_sgpr_kernarg_preload_offset 0
		.amdhsa_user_sgpr_private_segment_size 0
		.amdhsa_wavefront_size32 1
		.amdhsa_uses_dynamic_stack 0
		.amdhsa_enable_private_segment 0
		.amdhsa_system_sgpr_workgroup_id_x 1
		.amdhsa_system_sgpr_workgroup_id_y 0
		.amdhsa_system_sgpr_workgroup_id_z 0
		.amdhsa_system_sgpr_workgroup_info 0
		.amdhsa_system_vgpr_workitem_id 0
		.amdhsa_next_free_vgpr 1
		.amdhsa_next_free_sgpr 1
		.amdhsa_named_barrier_count 0
		.amdhsa_reserve_vcc 0
		.amdhsa_float_round_mode_32 0
		.amdhsa_float_round_mode_16_64 0
		.amdhsa_float_denorm_mode_32 3
		.amdhsa_float_denorm_mode_16_64 3
		.amdhsa_fp16_overflow 0
		.amdhsa_memory_ordered 1
		.amdhsa_forward_progress 1
		.amdhsa_inst_pref_size 0
		.amdhsa_round_robin_scheduling 0
		.amdhsa_exception_fp_ieee_invalid_op 0
		.amdhsa_exception_fp_denorm_src 0
		.amdhsa_exception_fp_ieee_div_zero 0
		.amdhsa_exception_fp_ieee_overflow 0
		.amdhsa_exception_fp_ieee_underflow 0
		.amdhsa_exception_fp_ieee_inexact 0
		.amdhsa_exception_int_div_zero 0
	.end_amdhsa_kernel
	.section	.text._ZN7rocprim17ROCPRIM_400000_NS6detail17trampoline_kernelINS0_14default_configENS1_36segmented_radix_sort_config_selectorIdlEEZNS1_25segmented_radix_sort_implIS3_Lb0EPKdPdPKlPlN2at6native12_GLOBAL__N_18offset_tEEE10hipError_tPvRmT1_PNSt15iterator_traitsISK_E10value_typeET2_T3_PNSL_ISQ_E10value_typeET4_jRbjT5_SW_jjP12ihipStream_tbEUlT_E_NS1_11comp_targetILNS1_3genE10ELNS1_11target_archE1200ELNS1_3gpuE4ELNS1_3repE0EEENS1_30default_config_static_selectorELNS0_4arch9wavefront6targetE0EEEvSK_,"axG",@progbits,_ZN7rocprim17ROCPRIM_400000_NS6detail17trampoline_kernelINS0_14default_configENS1_36segmented_radix_sort_config_selectorIdlEEZNS1_25segmented_radix_sort_implIS3_Lb0EPKdPdPKlPlN2at6native12_GLOBAL__N_18offset_tEEE10hipError_tPvRmT1_PNSt15iterator_traitsISK_E10value_typeET2_T3_PNSL_ISQ_E10value_typeET4_jRbjT5_SW_jjP12ihipStream_tbEUlT_E_NS1_11comp_targetILNS1_3genE10ELNS1_11target_archE1200ELNS1_3gpuE4ELNS1_3repE0EEENS1_30default_config_static_selectorELNS0_4arch9wavefront6targetE0EEEvSK_,comdat
.Lfunc_end1222:
	.size	_ZN7rocprim17ROCPRIM_400000_NS6detail17trampoline_kernelINS0_14default_configENS1_36segmented_radix_sort_config_selectorIdlEEZNS1_25segmented_radix_sort_implIS3_Lb0EPKdPdPKlPlN2at6native12_GLOBAL__N_18offset_tEEE10hipError_tPvRmT1_PNSt15iterator_traitsISK_E10value_typeET2_T3_PNSL_ISQ_E10value_typeET4_jRbjT5_SW_jjP12ihipStream_tbEUlT_E_NS1_11comp_targetILNS1_3genE10ELNS1_11target_archE1200ELNS1_3gpuE4ELNS1_3repE0EEENS1_30default_config_static_selectorELNS0_4arch9wavefront6targetE0EEEvSK_, .Lfunc_end1222-_ZN7rocprim17ROCPRIM_400000_NS6detail17trampoline_kernelINS0_14default_configENS1_36segmented_radix_sort_config_selectorIdlEEZNS1_25segmented_radix_sort_implIS3_Lb0EPKdPdPKlPlN2at6native12_GLOBAL__N_18offset_tEEE10hipError_tPvRmT1_PNSt15iterator_traitsISK_E10value_typeET2_T3_PNSL_ISQ_E10value_typeET4_jRbjT5_SW_jjP12ihipStream_tbEUlT_E_NS1_11comp_targetILNS1_3genE10ELNS1_11target_archE1200ELNS1_3gpuE4ELNS1_3repE0EEENS1_30default_config_static_selectorELNS0_4arch9wavefront6targetE0EEEvSK_
                                        ; -- End function
	.set _ZN7rocprim17ROCPRIM_400000_NS6detail17trampoline_kernelINS0_14default_configENS1_36segmented_radix_sort_config_selectorIdlEEZNS1_25segmented_radix_sort_implIS3_Lb0EPKdPdPKlPlN2at6native12_GLOBAL__N_18offset_tEEE10hipError_tPvRmT1_PNSt15iterator_traitsISK_E10value_typeET2_T3_PNSL_ISQ_E10value_typeET4_jRbjT5_SW_jjP12ihipStream_tbEUlT_E_NS1_11comp_targetILNS1_3genE10ELNS1_11target_archE1200ELNS1_3gpuE4ELNS1_3repE0EEENS1_30default_config_static_selectorELNS0_4arch9wavefront6targetE0EEEvSK_.num_vgpr, 0
	.set _ZN7rocprim17ROCPRIM_400000_NS6detail17trampoline_kernelINS0_14default_configENS1_36segmented_radix_sort_config_selectorIdlEEZNS1_25segmented_radix_sort_implIS3_Lb0EPKdPdPKlPlN2at6native12_GLOBAL__N_18offset_tEEE10hipError_tPvRmT1_PNSt15iterator_traitsISK_E10value_typeET2_T3_PNSL_ISQ_E10value_typeET4_jRbjT5_SW_jjP12ihipStream_tbEUlT_E_NS1_11comp_targetILNS1_3genE10ELNS1_11target_archE1200ELNS1_3gpuE4ELNS1_3repE0EEENS1_30default_config_static_selectorELNS0_4arch9wavefront6targetE0EEEvSK_.num_agpr, 0
	.set _ZN7rocprim17ROCPRIM_400000_NS6detail17trampoline_kernelINS0_14default_configENS1_36segmented_radix_sort_config_selectorIdlEEZNS1_25segmented_radix_sort_implIS3_Lb0EPKdPdPKlPlN2at6native12_GLOBAL__N_18offset_tEEE10hipError_tPvRmT1_PNSt15iterator_traitsISK_E10value_typeET2_T3_PNSL_ISQ_E10value_typeET4_jRbjT5_SW_jjP12ihipStream_tbEUlT_E_NS1_11comp_targetILNS1_3genE10ELNS1_11target_archE1200ELNS1_3gpuE4ELNS1_3repE0EEENS1_30default_config_static_selectorELNS0_4arch9wavefront6targetE0EEEvSK_.numbered_sgpr, 0
	.set _ZN7rocprim17ROCPRIM_400000_NS6detail17trampoline_kernelINS0_14default_configENS1_36segmented_radix_sort_config_selectorIdlEEZNS1_25segmented_radix_sort_implIS3_Lb0EPKdPdPKlPlN2at6native12_GLOBAL__N_18offset_tEEE10hipError_tPvRmT1_PNSt15iterator_traitsISK_E10value_typeET2_T3_PNSL_ISQ_E10value_typeET4_jRbjT5_SW_jjP12ihipStream_tbEUlT_E_NS1_11comp_targetILNS1_3genE10ELNS1_11target_archE1200ELNS1_3gpuE4ELNS1_3repE0EEENS1_30default_config_static_selectorELNS0_4arch9wavefront6targetE0EEEvSK_.num_named_barrier, 0
	.set _ZN7rocprim17ROCPRIM_400000_NS6detail17trampoline_kernelINS0_14default_configENS1_36segmented_radix_sort_config_selectorIdlEEZNS1_25segmented_radix_sort_implIS3_Lb0EPKdPdPKlPlN2at6native12_GLOBAL__N_18offset_tEEE10hipError_tPvRmT1_PNSt15iterator_traitsISK_E10value_typeET2_T3_PNSL_ISQ_E10value_typeET4_jRbjT5_SW_jjP12ihipStream_tbEUlT_E_NS1_11comp_targetILNS1_3genE10ELNS1_11target_archE1200ELNS1_3gpuE4ELNS1_3repE0EEENS1_30default_config_static_selectorELNS0_4arch9wavefront6targetE0EEEvSK_.private_seg_size, 0
	.set _ZN7rocprim17ROCPRIM_400000_NS6detail17trampoline_kernelINS0_14default_configENS1_36segmented_radix_sort_config_selectorIdlEEZNS1_25segmented_radix_sort_implIS3_Lb0EPKdPdPKlPlN2at6native12_GLOBAL__N_18offset_tEEE10hipError_tPvRmT1_PNSt15iterator_traitsISK_E10value_typeET2_T3_PNSL_ISQ_E10value_typeET4_jRbjT5_SW_jjP12ihipStream_tbEUlT_E_NS1_11comp_targetILNS1_3genE10ELNS1_11target_archE1200ELNS1_3gpuE4ELNS1_3repE0EEENS1_30default_config_static_selectorELNS0_4arch9wavefront6targetE0EEEvSK_.uses_vcc, 0
	.set _ZN7rocprim17ROCPRIM_400000_NS6detail17trampoline_kernelINS0_14default_configENS1_36segmented_radix_sort_config_selectorIdlEEZNS1_25segmented_radix_sort_implIS3_Lb0EPKdPdPKlPlN2at6native12_GLOBAL__N_18offset_tEEE10hipError_tPvRmT1_PNSt15iterator_traitsISK_E10value_typeET2_T3_PNSL_ISQ_E10value_typeET4_jRbjT5_SW_jjP12ihipStream_tbEUlT_E_NS1_11comp_targetILNS1_3genE10ELNS1_11target_archE1200ELNS1_3gpuE4ELNS1_3repE0EEENS1_30default_config_static_selectorELNS0_4arch9wavefront6targetE0EEEvSK_.uses_flat_scratch, 0
	.set _ZN7rocprim17ROCPRIM_400000_NS6detail17trampoline_kernelINS0_14default_configENS1_36segmented_radix_sort_config_selectorIdlEEZNS1_25segmented_radix_sort_implIS3_Lb0EPKdPdPKlPlN2at6native12_GLOBAL__N_18offset_tEEE10hipError_tPvRmT1_PNSt15iterator_traitsISK_E10value_typeET2_T3_PNSL_ISQ_E10value_typeET4_jRbjT5_SW_jjP12ihipStream_tbEUlT_E_NS1_11comp_targetILNS1_3genE10ELNS1_11target_archE1200ELNS1_3gpuE4ELNS1_3repE0EEENS1_30default_config_static_selectorELNS0_4arch9wavefront6targetE0EEEvSK_.has_dyn_sized_stack, 0
	.set _ZN7rocprim17ROCPRIM_400000_NS6detail17trampoline_kernelINS0_14default_configENS1_36segmented_radix_sort_config_selectorIdlEEZNS1_25segmented_radix_sort_implIS3_Lb0EPKdPdPKlPlN2at6native12_GLOBAL__N_18offset_tEEE10hipError_tPvRmT1_PNSt15iterator_traitsISK_E10value_typeET2_T3_PNSL_ISQ_E10value_typeET4_jRbjT5_SW_jjP12ihipStream_tbEUlT_E_NS1_11comp_targetILNS1_3genE10ELNS1_11target_archE1200ELNS1_3gpuE4ELNS1_3repE0EEENS1_30default_config_static_selectorELNS0_4arch9wavefront6targetE0EEEvSK_.has_recursion, 0
	.set _ZN7rocprim17ROCPRIM_400000_NS6detail17trampoline_kernelINS0_14default_configENS1_36segmented_radix_sort_config_selectorIdlEEZNS1_25segmented_radix_sort_implIS3_Lb0EPKdPdPKlPlN2at6native12_GLOBAL__N_18offset_tEEE10hipError_tPvRmT1_PNSt15iterator_traitsISK_E10value_typeET2_T3_PNSL_ISQ_E10value_typeET4_jRbjT5_SW_jjP12ihipStream_tbEUlT_E_NS1_11comp_targetILNS1_3genE10ELNS1_11target_archE1200ELNS1_3gpuE4ELNS1_3repE0EEENS1_30default_config_static_selectorELNS0_4arch9wavefront6targetE0EEEvSK_.has_indirect_call, 0
	.section	.AMDGPU.csdata,"",@progbits
; Kernel info:
; codeLenInByte = 0
; TotalNumSgprs: 0
; NumVgprs: 0
; ScratchSize: 0
; MemoryBound: 0
; FloatMode: 240
; IeeeMode: 1
; LDSByteSize: 0 bytes/workgroup (compile time only)
; SGPRBlocks: 0
; VGPRBlocks: 0
; NumSGPRsForWavesPerEU: 1
; NumVGPRsForWavesPerEU: 1
; NamedBarCnt: 0
; Occupancy: 16
; WaveLimiterHint : 0
; COMPUTE_PGM_RSRC2:SCRATCH_EN: 0
; COMPUTE_PGM_RSRC2:USER_SGPR: 2
; COMPUTE_PGM_RSRC2:TRAP_HANDLER: 0
; COMPUTE_PGM_RSRC2:TGID_X_EN: 1
; COMPUTE_PGM_RSRC2:TGID_Y_EN: 0
; COMPUTE_PGM_RSRC2:TGID_Z_EN: 0
; COMPUTE_PGM_RSRC2:TIDIG_COMP_CNT: 0
	.section	.text._ZN7rocprim17ROCPRIM_400000_NS6detail17trampoline_kernelINS0_14default_configENS1_36segmented_radix_sort_config_selectorIdlEEZNS1_25segmented_radix_sort_implIS3_Lb0EPKdPdPKlPlN2at6native12_GLOBAL__N_18offset_tEEE10hipError_tPvRmT1_PNSt15iterator_traitsISK_E10value_typeET2_T3_PNSL_ISQ_E10value_typeET4_jRbjT5_SW_jjP12ihipStream_tbEUlT_E_NS1_11comp_targetILNS1_3genE9ELNS1_11target_archE1100ELNS1_3gpuE3ELNS1_3repE0EEENS1_30default_config_static_selectorELNS0_4arch9wavefront6targetE0EEEvSK_,"axG",@progbits,_ZN7rocprim17ROCPRIM_400000_NS6detail17trampoline_kernelINS0_14default_configENS1_36segmented_radix_sort_config_selectorIdlEEZNS1_25segmented_radix_sort_implIS3_Lb0EPKdPdPKlPlN2at6native12_GLOBAL__N_18offset_tEEE10hipError_tPvRmT1_PNSt15iterator_traitsISK_E10value_typeET2_T3_PNSL_ISQ_E10value_typeET4_jRbjT5_SW_jjP12ihipStream_tbEUlT_E_NS1_11comp_targetILNS1_3genE9ELNS1_11target_archE1100ELNS1_3gpuE3ELNS1_3repE0EEENS1_30default_config_static_selectorELNS0_4arch9wavefront6targetE0EEEvSK_,comdat
	.globl	_ZN7rocprim17ROCPRIM_400000_NS6detail17trampoline_kernelINS0_14default_configENS1_36segmented_radix_sort_config_selectorIdlEEZNS1_25segmented_radix_sort_implIS3_Lb0EPKdPdPKlPlN2at6native12_GLOBAL__N_18offset_tEEE10hipError_tPvRmT1_PNSt15iterator_traitsISK_E10value_typeET2_T3_PNSL_ISQ_E10value_typeET4_jRbjT5_SW_jjP12ihipStream_tbEUlT_E_NS1_11comp_targetILNS1_3genE9ELNS1_11target_archE1100ELNS1_3gpuE3ELNS1_3repE0EEENS1_30default_config_static_selectorELNS0_4arch9wavefront6targetE0EEEvSK_ ; -- Begin function _ZN7rocprim17ROCPRIM_400000_NS6detail17trampoline_kernelINS0_14default_configENS1_36segmented_radix_sort_config_selectorIdlEEZNS1_25segmented_radix_sort_implIS3_Lb0EPKdPdPKlPlN2at6native12_GLOBAL__N_18offset_tEEE10hipError_tPvRmT1_PNSt15iterator_traitsISK_E10value_typeET2_T3_PNSL_ISQ_E10value_typeET4_jRbjT5_SW_jjP12ihipStream_tbEUlT_E_NS1_11comp_targetILNS1_3genE9ELNS1_11target_archE1100ELNS1_3gpuE3ELNS1_3repE0EEENS1_30default_config_static_selectorELNS0_4arch9wavefront6targetE0EEEvSK_
	.p2align	8
	.type	_ZN7rocprim17ROCPRIM_400000_NS6detail17trampoline_kernelINS0_14default_configENS1_36segmented_radix_sort_config_selectorIdlEEZNS1_25segmented_radix_sort_implIS3_Lb0EPKdPdPKlPlN2at6native12_GLOBAL__N_18offset_tEEE10hipError_tPvRmT1_PNSt15iterator_traitsISK_E10value_typeET2_T3_PNSL_ISQ_E10value_typeET4_jRbjT5_SW_jjP12ihipStream_tbEUlT_E_NS1_11comp_targetILNS1_3genE9ELNS1_11target_archE1100ELNS1_3gpuE3ELNS1_3repE0EEENS1_30default_config_static_selectorELNS0_4arch9wavefront6targetE0EEEvSK_,@function
_ZN7rocprim17ROCPRIM_400000_NS6detail17trampoline_kernelINS0_14default_configENS1_36segmented_radix_sort_config_selectorIdlEEZNS1_25segmented_radix_sort_implIS3_Lb0EPKdPdPKlPlN2at6native12_GLOBAL__N_18offset_tEEE10hipError_tPvRmT1_PNSt15iterator_traitsISK_E10value_typeET2_T3_PNSL_ISQ_E10value_typeET4_jRbjT5_SW_jjP12ihipStream_tbEUlT_E_NS1_11comp_targetILNS1_3genE9ELNS1_11target_archE1100ELNS1_3gpuE3ELNS1_3repE0EEENS1_30default_config_static_selectorELNS0_4arch9wavefront6targetE0EEEvSK_: ; @_ZN7rocprim17ROCPRIM_400000_NS6detail17trampoline_kernelINS0_14default_configENS1_36segmented_radix_sort_config_selectorIdlEEZNS1_25segmented_radix_sort_implIS3_Lb0EPKdPdPKlPlN2at6native12_GLOBAL__N_18offset_tEEE10hipError_tPvRmT1_PNSt15iterator_traitsISK_E10value_typeET2_T3_PNSL_ISQ_E10value_typeET4_jRbjT5_SW_jjP12ihipStream_tbEUlT_E_NS1_11comp_targetILNS1_3genE9ELNS1_11target_archE1100ELNS1_3gpuE3ELNS1_3repE0EEENS1_30default_config_static_selectorELNS0_4arch9wavefront6targetE0EEEvSK_
; %bb.0:
	.section	.rodata,"a",@progbits
	.p2align	6, 0x0
	.amdhsa_kernel _ZN7rocprim17ROCPRIM_400000_NS6detail17trampoline_kernelINS0_14default_configENS1_36segmented_radix_sort_config_selectorIdlEEZNS1_25segmented_radix_sort_implIS3_Lb0EPKdPdPKlPlN2at6native12_GLOBAL__N_18offset_tEEE10hipError_tPvRmT1_PNSt15iterator_traitsISK_E10value_typeET2_T3_PNSL_ISQ_E10value_typeET4_jRbjT5_SW_jjP12ihipStream_tbEUlT_E_NS1_11comp_targetILNS1_3genE9ELNS1_11target_archE1100ELNS1_3gpuE3ELNS1_3repE0EEENS1_30default_config_static_selectorELNS0_4arch9wavefront6targetE0EEEvSK_
		.amdhsa_group_segment_fixed_size 0
		.amdhsa_private_segment_fixed_size 0
		.amdhsa_kernarg_size 96
		.amdhsa_user_sgpr_count 2
		.amdhsa_user_sgpr_dispatch_ptr 0
		.amdhsa_user_sgpr_queue_ptr 0
		.amdhsa_user_sgpr_kernarg_segment_ptr 1
		.amdhsa_user_sgpr_dispatch_id 0
		.amdhsa_user_sgpr_kernarg_preload_length 0
		.amdhsa_user_sgpr_kernarg_preload_offset 0
		.amdhsa_user_sgpr_private_segment_size 0
		.amdhsa_wavefront_size32 1
		.amdhsa_uses_dynamic_stack 0
		.amdhsa_enable_private_segment 0
		.amdhsa_system_sgpr_workgroup_id_x 1
		.amdhsa_system_sgpr_workgroup_id_y 0
		.amdhsa_system_sgpr_workgroup_id_z 0
		.amdhsa_system_sgpr_workgroup_info 0
		.amdhsa_system_vgpr_workitem_id 0
		.amdhsa_next_free_vgpr 1
		.amdhsa_next_free_sgpr 1
		.amdhsa_named_barrier_count 0
		.amdhsa_reserve_vcc 0
		.amdhsa_float_round_mode_32 0
		.amdhsa_float_round_mode_16_64 0
		.amdhsa_float_denorm_mode_32 3
		.amdhsa_float_denorm_mode_16_64 3
		.amdhsa_fp16_overflow 0
		.amdhsa_memory_ordered 1
		.amdhsa_forward_progress 1
		.amdhsa_inst_pref_size 0
		.amdhsa_round_robin_scheduling 0
		.amdhsa_exception_fp_ieee_invalid_op 0
		.amdhsa_exception_fp_denorm_src 0
		.amdhsa_exception_fp_ieee_div_zero 0
		.amdhsa_exception_fp_ieee_overflow 0
		.amdhsa_exception_fp_ieee_underflow 0
		.amdhsa_exception_fp_ieee_inexact 0
		.amdhsa_exception_int_div_zero 0
	.end_amdhsa_kernel
	.section	.text._ZN7rocprim17ROCPRIM_400000_NS6detail17trampoline_kernelINS0_14default_configENS1_36segmented_radix_sort_config_selectorIdlEEZNS1_25segmented_radix_sort_implIS3_Lb0EPKdPdPKlPlN2at6native12_GLOBAL__N_18offset_tEEE10hipError_tPvRmT1_PNSt15iterator_traitsISK_E10value_typeET2_T3_PNSL_ISQ_E10value_typeET4_jRbjT5_SW_jjP12ihipStream_tbEUlT_E_NS1_11comp_targetILNS1_3genE9ELNS1_11target_archE1100ELNS1_3gpuE3ELNS1_3repE0EEENS1_30default_config_static_selectorELNS0_4arch9wavefront6targetE0EEEvSK_,"axG",@progbits,_ZN7rocprim17ROCPRIM_400000_NS6detail17trampoline_kernelINS0_14default_configENS1_36segmented_radix_sort_config_selectorIdlEEZNS1_25segmented_radix_sort_implIS3_Lb0EPKdPdPKlPlN2at6native12_GLOBAL__N_18offset_tEEE10hipError_tPvRmT1_PNSt15iterator_traitsISK_E10value_typeET2_T3_PNSL_ISQ_E10value_typeET4_jRbjT5_SW_jjP12ihipStream_tbEUlT_E_NS1_11comp_targetILNS1_3genE9ELNS1_11target_archE1100ELNS1_3gpuE3ELNS1_3repE0EEENS1_30default_config_static_selectorELNS0_4arch9wavefront6targetE0EEEvSK_,comdat
.Lfunc_end1223:
	.size	_ZN7rocprim17ROCPRIM_400000_NS6detail17trampoline_kernelINS0_14default_configENS1_36segmented_radix_sort_config_selectorIdlEEZNS1_25segmented_radix_sort_implIS3_Lb0EPKdPdPKlPlN2at6native12_GLOBAL__N_18offset_tEEE10hipError_tPvRmT1_PNSt15iterator_traitsISK_E10value_typeET2_T3_PNSL_ISQ_E10value_typeET4_jRbjT5_SW_jjP12ihipStream_tbEUlT_E_NS1_11comp_targetILNS1_3genE9ELNS1_11target_archE1100ELNS1_3gpuE3ELNS1_3repE0EEENS1_30default_config_static_selectorELNS0_4arch9wavefront6targetE0EEEvSK_, .Lfunc_end1223-_ZN7rocprim17ROCPRIM_400000_NS6detail17trampoline_kernelINS0_14default_configENS1_36segmented_radix_sort_config_selectorIdlEEZNS1_25segmented_radix_sort_implIS3_Lb0EPKdPdPKlPlN2at6native12_GLOBAL__N_18offset_tEEE10hipError_tPvRmT1_PNSt15iterator_traitsISK_E10value_typeET2_T3_PNSL_ISQ_E10value_typeET4_jRbjT5_SW_jjP12ihipStream_tbEUlT_E_NS1_11comp_targetILNS1_3genE9ELNS1_11target_archE1100ELNS1_3gpuE3ELNS1_3repE0EEENS1_30default_config_static_selectorELNS0_4arch9wavefront6targetE0EEEvSK_
                                        ; -- End function
	.set _ZN7rocprim17ROCPRIM_400000_NS6detail17trampoline_kernelINS0_14default_configENS1_36segmented_radix_sort_config_selectorIdlEEZNS1_25segmented_radix_sort_implIS3_Lb0EPKdPdPKlPlN2at6native12_GLOBAL__N_18offset_tEEE10hipError_tPvRmT1_PNSt15iterator_traitsISK_E10value_typeET2_T3_PNSL_ISQ_E10value_typeET4_jRbjT5_SW_jjP12ihipStream_tbEUlT_E_NS1_11comp_targetILNS1_3genE9ELNS1_11target_archE1100ELNS1_3gpuE3ELNS1_3repE0EEENS1_30default_config_static_selectorELNS0_4arch9wavefront6targetE0EEEvSK_.num_vgpr, 0
	.set _ZN7rocprim17ROCPRIM_400000_NS6detail17trampoline_kernelINS0_14default_configENS1_36segmented_radix_sort_config_selectorIdlEEZNS1_25segmented_radix_sort_implIS3_Lb0EPKdPdPKlPlN2at6native12_GLOBAL__N_18offset_tEEE10hipError_tPvRmT1_PNSt15iterator_traitsISK_E10value_typeET2_T3_PNSL_ISQ_E10value_typeET4_jRbjT5_SW_jjP12ihipStream_tbEUlT_E_NS1_11comp_targetILNS1_3genE9ELNS1_11target_archE1100ELNS1_3gpuE3ELNS1_3repE0EEENS1_30default_config_static_selectorELNS0_4arch9wavefront6targetE0EEEvSK_.num_agpr, 0
	.set _ZN7rocprim17ROCPRIM_400000_NS6detail17trampoline_kernelINS0_14default_configENS1_36segmented_radix_sort_config_selectorIdlEEZNS1_25segmented_radix_sort_implIS3_Lb0EPKdPdPKlPlN2at6native12_GLOBAL__N_18offset_tEEE10hipError_tPvRmT1_PNSt15iterator_traitsISK_E10value_typeET2_T3_PNSL_ISQ_E10value_typeET4_jRbjT5_SW_jjP12ihipStream_tbEUlT_E_NS1_11comp_targetILNS1_3genE9ELNS1_11target_archE1100ELNS1_3gpuE3ELNS1_3repE0EEENS1_30default_config_static_selectorELNS0_4arch9wavefront6targetE0EEEvSK_.numbered_sgpr, 0
	.set _ZN7rocprim17ROCPRIM_400000_NS6detail17trampoline_kernelINS0_14default_configENS1_36segmented_radix_sort_config_selectorIdlEEZNS1_25segmented_radix_sort_implIS3_Lb0EPKdPdPKlPlN2at6native12_GLOBAL__N_18offset_tEEE10hipError_tPvRmT1_PNSt15iterator_traitsISK_E10value_typeET2_T3_PNSL_ISQ_E10value_typeET4_jRbjT5_SW_jjP12ihipStream_tbEUlT_E_NS1_11comp_targetILNS1_3genE9ELNS1_11target_archE1100ELNS1_3gpuE3ELNS1_3repE0EEENS1_30default_config_static_selectorELNS0_4arch9wavefront6targetE0EEEvSK_.num_named_barrier, 0
	.set _ZN7rocprim17ROCPRIM_400000_NS6detail17trampoline_kernelINS0_14default_configENS1_36segmented_radix_sort_config_selectorIdlEEZNS1_25segmented_radix_sort_implIS3_Lb0EPKdPdPKlPlN2at6native12_GLOBAL__N_18offset_tEEE10hipError_tPvRmT1_PNSt15iterator_traitsISK_E10value_typeET2_T3_PNSL_ISQ_E10value_typeET4_jRbjT5_SW_jjP12ihipStream_tbEUlT_E_NS1_11comp_targetILNS1_3genE9ELNS1_11target_archE1100ELNS1_3gpuE3ELNS1_3repE0EEENS1_30default_config_static_selectorELNS0_4arch9wavefront6targetE0EEEvSK_.private_seg_size, 0
	.set _ZN7rocprim17ROCPRIM_400000_NS6detail17trampoline_kernelINS0_14default_configENS1_36segmented_radix_sort_config_selectorIdlEEZNS1_25segmented_radix_sort_implIS3_Lb0EPKdPdPKlPlN2at6native12_GLOBAL__N_18offset_tEEE10hipError_tPvRmT1_PNSt15iterator_traitsISK_E10value_typeET2_T3_PNSL_ISQ_E10value_typeET4_jRbjT5_SW_jjP12ihipStream_tbEUlT_E_NS1_11comp_targetILNS1_3genE9ELNS1_11target_archE1100ELNS1_3gpuE3ELNS1_3repE0EEENS1_30default_config_static_selectorELNS0_4arch9wavefront6targetE0EEEvSK_.uses_vcc, 0
	.set _ZN7rocprim17ROCPRIM_400000_NS6detail17trampoline_kernelINS0_14default_configENS1_36segmented_radix_sort_config_selectorIdlEEZNS1_25segmented_radix_sort_implIS3_Lb0EPKdPdPKlPlN2at6native12_GLOBAL__N_18offset_tEEE10hipError_tPvRmT1_PNSt15iterator_traitsISK_E10value_typeET2_T3_PNSL_ISQ_E10value_typeET4_jRbjT5_SW_jjP12ihipStream_tbEUlT_E_NS1_11comp_targetILNS1_3genE9ELNS1_11target_archE1100ELNS1_3gpuE3ELNS1_3repE0EEENS1_30default_config_static_selectorELNS0_4arch9wavefront6targetE0EEEvSK_.uses_flat_scratch, 0
	.set _ZN7rocprim17ROCPRIM_400000_NS6detail17trampoline_kernelINS0_14default_configENS1_36segmented_radix_sort_config_selectorIdlEEZNS1_25segmented_radix_sort_implIS3_Lb0EPKdPdPKlPlN2at6native12_GLOBAL__N_18offset_tEEE10hipError_tPvRmT1_PNSt15iterator_traitsISK_E10value_typeET2_T3_PNSL_ISQ_E10value_typeET4_jRbjT5_SW_jjP12ihipStream_tbEUlT_E_NS1_11comp_targetILNS1_3genE9ELNS1_11target_archE1100ELNS1_3gpuE3ELNS1_3repE0EEENS1_30default_config_static_selectorELNS0_4arch9wavefront6targetE0EEEvSK_.has_dyn_sized_stack, 0
	.set _ZN7rocprim17ROCPRIM_400000_NS6detail17trampoline_kernelINS0_14default_configENS1_36segmented_radix_sort_config_selectorIdlEEZNS1_25segmented_radix_sort_implIS3_Lb0EPKdPdPKlPlN2at6native12_GLOBAL__N_18offset_tEEE10hipError_tPvRmT1_PNSt15iterator_traitsISK_E10value_typeET2_T3_PNSL_ISQ_E10value_typeET4_jRbjT5_SW_jjP12ihipStream_tbEUlT_E_NS1_11comp_targetILNS1_3genE9ELNS1_11target_archE1100ELNS1_3gpuE3ELNS1_3repE0EEENS1_30default_config_static_selectorELNS0_4arch9wavefront6targetE0EEEvSK_.has_recursion, 0
	.set _ZN7rocprim17ROCPRIM_400000_NS6detail17trampoline_kernelINS0_14default_configENS1_36segmented_radix_sort_config_selectorIdlEEZNS1_25segmented_radix_sort_implIS3_Lb0EPKdPdPKlPlN2at6native12_GLOBAL__N_18offset_tEEE10hipError_tPvRmT1_PNSt15iterator_traitsISK_E10value_typeET2_T3_PNSL_ISQ_E10value_typeET4_jRbjT5_SW_jjP12ihipStream_tbEUlT_E_NS1_11comp_targetILNS1_3genE9ELNS1_11target_archE1100ELNS1_3gpuE3ELNS1_3repE0EEENS1_30default_config_static_selectorELNS0_4arch9wavefront6targetE0EEEvSK_.has_indirect_call, 0
	.section	.AMDGPU.csdata,"",@progbits
; Kernel info:
; codeLenInByte = 0
; TotalNumSgprs: 0
; NumVgprs: 0
; ScratchSize: 0
; MemoryBound: 0
; FloatMode: 240
; IeeeMode: 1
; LDSByteSize: 0 bytes/workgroup (compile time only)
; SGPRBlocks: 0
; VGPRBlocks: 0
; NumSGPRsForWavesPerEU: 1
; NumVGPRsForWavesPerEU: 1
; NamedBarCnt: 0
; Occupancy: 16
; WaveLimiterHint : 0
; COMPUTE_PGM_RSRC2:SCRATCH_EN: 0
; COMPUTE_PGM_RSRC2:USER_SGPR: 2
; COMPUTE_PGM_RSRC2:TRAP_HANDLER: 0
; COMPUTE_PGM_RSRC2:TGID_X_EN: 1
; COMPUTE_PGM_RSRC2:TGID_Y_EN: 0
; COMPUTE_PGM_RSRC2:TGID_Z_EN: 0
; COMPUTE_PGM_RSRC2:TIDIG_COMP_CNT: 0
	.section	.text._ZN7rocprim17ROCPRIM_400000_NS6detail17trampoline_kernelINS0_14default_configENS1_36segmented_radix_sort_config_selectorIdlEEZNS1_25segmented_radix_sort_implIS3_Lb0EPKdPdPKlPlN2at6native12_GLOBAL__N_18offset_tEEE10hipError_tPvRmT1_PNSt15iterator_traitsISK_E10value_typeET2_T3_PNSL_ISQ_E10value_typeET4_jRbjT5_SW_jjP12ihipStream_tbEUlT_E_NS1_11comp_targetILNS1_3genE8ELNS1_11target_archE1030ELNS1_3gpuE2ELNS1_3repE0EEENS1_30default_config_static_selectorELNS0_4arch9wavefront6targetE0EEEvSK_,"axG",@progbits,_ZN7rocprim17ROCPRIM_400000_NS6detail17trampoline_kernelINS0_14default_configENS1_36segmented_radix_sort_config_selectorIdlEEZNS1_25segmented_radix_sort_implIS3_Lb0EPKdPdPKlPlN2at6native12_GLOBAL__N_18offset_tEEE10hipError_tPvRmT1_PNSt15iterator_traitsISK_E10value_typeET2_T3_PNSL_ISQ_E10value_typeET4_jRbjT5_SW_jjP12ihipStream_tbEUlT_E_NS1_11comp_targetILNS1_3genE8ELNS1_11target_archE1030ELNS1_3gpuE2ELNS1_3repE0EEENS1_30default_config_static_selectorELNS0_4arch9wavefront6targetE0EEEvSK_,comdat
	.globl	_ZN7rocprim17ROCPRIM_400000_NS6detail17trampoline_kernelINS0_14default_configENS1_36segmented_radix_sort_config_selectorIdlEEZNS1_25segmented_radix_sort_implIS3_Lb0EPKdPdPKlPlN2at6native12_GLOBAL__N_18offset_tEEE10hipError_tPvRmT1_PNSt15iterator_traitsISK_E10value_typeET2_T3_PNSL_ISQ_E10value_typeET4_jRbjT5_SW_jjP12ihipStream_tbEUlT_E_NS1_11comp_targetILNS1_3genE8ELNS1_11target_archE1030ELNS1_3gpuE2ELNS1_3repE0EEENS1_30default_config_static_selectorELNS0_4arch9wavefront6targetE0EEEvSK_ ; -- Begin function _ZN7rocprim17ROCPRIM_400000_NS6detail17trampoline_kernelINS0_14default_configENS1_36segmented_radix_sort_config_selectorIdlEEZNS1_25segmented_radix_sort_implIS3_Lb0EPKdPdPKlPlN2at6native12_GLOBAL__N_18offset_tEEE10hipError_tPvRmT1_PNSt15iterator_traitsISK_E10value_typeET2_T3_PNSL_ISQ_E10value_typeET4_jRbjT5_SW_jjP12ihipStream_tbEUlT_E_NS1_11comp_targetILNS1_3genE8ELNS1_11target_archE1030ELNS1_3gpuE2ELNS1_3repE0EEENS1_30default_config_static_selectorELNS0_4arch9wavefront6targetE0EEEvSK_
	.p2align	8
	.type	_ZN7rocprim17ROCPRIM_400000_NS6detail17trampoline_kernelINS0_14default_configENS1_36segmented_radix_sort_config_selectorIdlEEZNS1_25segmented_radix_sort_implIS3_Lb0EPKdPdPKlPlN2at6native12_GLOBAL__N_18offset_tEEE10hipError_tPvRmT1_PNSt15iterator_traitsISK_E10value_typeET2_T3_PNSL_ISQ_E10value_typeET4_jRbjT5_SW_jjP12ihipStream_tbEUlT_E_NS1_11comp_targetILNS1_3genE8ELNS1_11target_archE1030ELNS1_3gpuE2ELNS1_3repE0EEENS1_30default_config_static_selectorELNS0_4arch9wavefront6targetE0EEEvSK_,@function
_ZN7rocprim17ROCPRIM_400000_NS6detail17trampoline_kernelINS0_14default_configENS1_36segmented_radix_sort_config_selectorIdlEEZNS1_25segmented_radix_sort_implIS3_Lb0EPKdPdPKlPlN2at6native12_GLOBAL__N_18offset_tEEE10hipError_tPvRmT1_PNSt15iterator_traitsISK_E10value_typeET2_T3_PNSL_ISQ_E10value_typeET4_jRbjT5_SW_jjP12ihipStream_tbEUlT_E_NS1_11comp_targetILNS1_3genE8ELNS1_11target_archE1030ELNS1_3gpuE2ELNS1_3repE0EEENS1_30default_config_static_selectorELNS0_4arch9wavefront6targetE0EEEvSK_: ; @_ZN7rocprim17ROCPRIM_400000_NS6detail17trampoline_kernelINS0_14default_configENS1_36segmented_radix_sort_config_selectorIdlEEZNS1_25segmented_radix_sort_implIS3_Lb0EPKdPdPKlPlN2at6native12_GLOBAL__N_18offset_tEEE10hipError_tPvRmT1_PNSt15iterator_traitsISK_E10value_typeET2_T3_PNSL_ISQ_E10value_typeET4_jRbjT5_SW_jjP12ihipStream_tbEUlT_E_NS1_11comp_targetILNS1_3genE8ELNS1_11target_archE1030ELNS1_3gpuE2ELNS1_3repE0EEENS1_30default_config_static_selectorELNS0_4arch9wavefront6targetE0EEEvSK_
; %bb.0:
	.section	.rodata,"a",@progbits
	.p2align	6, 0x0
	.amdhsa_kernel _ZN7rocprim17ROCPRIM_400000_NS6detail17trampoline_kernelINS0_14default_configENS1_36segmented_radix_sort_config_selectorIdlEEZNS1_25segmented_radix_sort_implIS3_Lb0EPKdPdPKlPlN2at6native12_GLOBAL__N_18offset_tEEE10hipError_tPvRmT1_PNSt15iterator_traitsISK_E10value_typeET2_T3_PNSL_ISQ_E10value_typeET4_jRbjT5_SW_jjP12ihipStream_tbEUlT_E_NS1_11comp_targetILNS1_3genE8ELNS1_11target_archE1030ELNS1_3gpuE2ELNS1_3repE0EEENS1_30default_config_static_selectorELNS0_4arch9wavefront6targetE0EEEvSK_
		.amdhsa_group_segment_fixed_size 0
		.amdhsa_private_segment_fixed_size 0
		.amdhsa_kernarg_size 96
		.amdhsa_user_sgpr_count 2
		.amdhsa_user_sgpr_dispatch_ptr 0
		.amdhsa_user_sgpr_queue_ptr 0
		.amdhsa_user_sgpr_kernarg_segment_ptr 1
		.amdhsa_user_sgpr_dispatch_id 0
		.amdhsa_user_sgpr_kernarg_preload_length 0
		.amdhsa_user_sgpr_kernarg_preload_offset 0
		.amdhsa_user_sgpr_private_segment_size 0
		.amdhsa_wavefront_size32 1
		.amdhsa_uses_dynamic_stack 0
		.amdhsa_enable_private_segment 0
		.amdhsa_system_sgpr_workgroup_id_x 1
		.amdhsa_system_sgpr_workgroup_id_y 0
		.amdhsa_system_sgpr_workgroup_id_z 0
		.amdhsa_system_sgpr_workgroup_info 0
		.amdhsa_system_vgpr_workitem_id 0
		.amdhsa_next_free_vgpr 1
		.amdhsa_next_free_sgpr 1
		.amdhsa_named_barrier_count 0
		.amdhsa_reserve_vcc 0
		.amdhsa_float_round_mode_32 0
		.amdhsa_float_round_mode_16_64 0
		.amdhsa_float_denorm_mode_32 3
		.amdhsa_float_denorm_mode_16_64 3
		.amdhsa_fp16_overflow 0
		.amdhsa_memory_ordered 1
		.amdhsa_forward_progress 1
		.amdhsa_inst_pref_size 0
		.amdhsa_round_robin_scheduling 0
		.amdhsa_exception_fp_ieee_invalid_op 0
		.amdhsa_exception_fp_denorm_src 0
		.amdhsa_exception_fp_ieee_div_zero 0
		.amdhsa_exception_fp_ieee_overflow 0
		.amdhsa_exception_fp_ieee_underflow 0
		.amdhsa_exception_fp_ieee_inexact 0
		.amdhsa_exception_int_div_zero 0
	.end_amdhsa_kernel
	.section	.text._ZN7rocprim17ROCPRIM_400000_NS6detail17trampoline_kernelINS0_14default_configENS1_36segmented_radix_sort_config_selectorIdlEEZNS1_25segmented_radix_sort_implIS3_Lb0EPKdPdPKlPlN2at6native12_GLOBAL__N_18offset_tEEE10hipError_tPvRmT1_PNSt15iterator_traitsISK_E10value_typeET2_T3_PNSL_ISQ_E10value_typeET4_jRbjT5_SW_jjP12ihipStream_tbEUlT_E_NS1_11comp_targetILNS1_3genE8ELNS1_11target_archE1030ELNS1_3gpuE2ELNS1_3repE0EEENS1_30default_config_static_selectorELNS0_4arch9wavefront6targetE0EEEvSK_,"axG",@progbits,_ZN7rocprim17ROCPRIM_400000_NS6detail17trampoline_kernelINS0_14default_configENS1_36segmented_radix_sort_config_selectorIdlEEZNS1_25segmented_radix_sort_implIS3_Lb0EPKdPdPKlPlN2at6native12_GLOBAL__N_18offset_tEEE10hipError_tPvRmT1_PNSt15iterator_traitsISK_E10value_typeET2_T3_PNSL_ISQ_E10value_typeET4_jRbjT5_SW_jjP12ihipStream_tbEUlT_E_NS1_11comp_targetILNS1_3genE8ELNS1_11target_archE1030ELNS1_3gpuE2ELNS1_3repE0EEENS1_30default_config_static_selectorELNS0_4arch9wavefront6targetE0EEEvSK_,comdat
.Lfunc_end1224:
	.size	_ZN7rocprim17ROCPRIM_400000_NS6detail17trampoline_kernelINS0_14default_configENS1_36segmented_radix_sort_config_selectorIdlEEZNS1_25segmented_radix_sort_implIS3_Lb0EPKdPdPKlPlN2at6native12_GLOBAL__N_18offset_tEEE10hipError_tPvRmT1_PNSt15iterator_traitsISK_E10value_typeET2_T3_PNSL_ISQ_E10value_typeET4_jRbjT5_SW_jjP12ihipStream_tbEUlT_E_NS1_11comp_targetILNS1_3genE8ELNS1_11target_archE1030ELNS1_3gpuE2ELNS1_3repE0EEENS1_30default_config_static_selectorELNS0_4arch9wavefront6targetE0EEEvSK_, .Lfunc_end1224-_ZN7rocprim17ROCPRIM_400000_NS6detail17trampoline_kernelINS0_14default_configENS1_36segmented_radix_sort_config_selectorIdlEEZNS1_25segmented_radix_sort_implIS3_Lb0EPKdPdPKlPlN2at6native12_GLOBAL__N_18offset_tEEE10hipError_tPvRmT1_PNSt15iterator_traitsISK_E10value_typeET2_T3_PNSL_ISQ_E10value_typeET4_jRbjT5_SW_jjP12ihipStream_tbEUlT_E_NS1_11comp_targetILNS1_3genE8ELNS1_11target_archE1030ELNS1_3gpuE2ELNS1_3repE0EEENS1_30default_config_static_selectorELNS0_4arch9wavefront6targetE0EEEvSK_
                                        ; -- End function
	.set _ZN7rocprim17ROCPRIM_400000_NS6detail17trampoline_kernelINS0_14default_configENS1_36segmented_radix_sort_config_selectorIdlEEZNS1_25segmented_radix_sort_implIS3_Lb0EPKdPdPKlPlN2at6native12_GLOBAL__N_18offset_tEEE10hipError_tPvRmT1_PNSt15iterator_traitsISK_E10value_typeET2_T3_PNSL_ISQ_E10value_typeET4_jRbjT5_SW_jjP12ihipStream_tbEUlT_E_NS1_11comp_targetILNS1_3genE8ELNS1_11target_archE1030ELNS1_3gpuE2ELNS1_3repE0EEENS1_30default_config_static_selectorELNS0_4arch9wavefront6targetE0EEEvSK_.num_vgpr, 0
	.set _ZN7rocprim17ROCPRIM_400000_NS6detail17trampoline_kernelINS0_14default_configENS1_36segmented_radix_sort_config_selectorIdlEEZNS1_25segmented_radix_sort_implIS3_Lb0EPKdPdPKlPlN2at6native12_GLOBAL__N_18offset_tEEE10hipError_tPvRmT1_PNSt15iterator_traitsISK_E10value_typeET2_T3_PNSL_ISQ_E10value_typeET4_jRbjT5_SW_jjP12ihipStream_tbEUlT_E_NS1_11comp_targetILNS1_3genE8ELNS1_11target_archE1030ELNS1_3gpuE2ELNS1_3repE0EEENS1_30default_config_static_selectorELNS0_4arch9wavefront6targetE0EEEvSK_.num_agpr, 0
	.set _ZN7rocprim17ROCPRIM_400000_NS6detail17trampoline_kernelINS0_14default_configENS1_36segmented_radix_sort_config_selectorIdlEEZNS1_25segmented_radix_sort_implIS3_Lb0EPKdPdPKlPlN2at6native12_GLOBAL__N_18offset_tEEE10hipError_tPvRmT1_PNSt15iterator_traitsISK_E10value_typeET2_T3_PNSL_ISQ_E10value_typeET4_jRbjT5_SW_jjP12ihipStream_tbEUlT_E_NS1_11comp_targetILNS1_3genE8ELNS1_11target_archE1030ELNS1_3gpuE2ELNS1_3repE0EEENS1_30default_config_static_selectorELNS0_4arch9wavefront6targetE0EEEvSK_.numbered_sgpr, 0
	.set _ZN7rocprim17ROCPRIM_400000_NS6detail17trampoline_kernelINS0_14default_configENS1_36segmented_radix_sort_config_selectorIdlEEZNS1_25segmented_radix_sort_implIS3_Lb0EPKdPdPKlPlN2at6native12_GLOBAL__N_18offset_tEEE10hipError_tPvRmT1_PNSt15iterator_traitsISK_E10value_typeET2_T3_PNSL_ISQ_E10value_typeET4_jRbjT5_SW_jjP12ihipStream_tbEUlT_E_NS1_11comp_targetILNS1_3genE8ELNS1_11target_archE1030ELNS1_3gpuE2ELNS1_3repE0EEENS1_30default_config_static_selectorELNS0_4arch9wavefront6targetE0EEEvSK_.num_named_barrier, 0
	.set _ZN7rocprim17ROCPRIM_400000_NS6detail17trampoline_kernelINS0_14default_configENS1_36segmented_radix_sort_config_selectorIdlEEZNS1_25segmented_radix_sort_implIS3_Lb0EPKdPdPKlPlN2at6native12_GLOBAL__N_18offset_tEEE10hipError_tPvRmT1_PNSt15iterator_traitsISK_E10value_typeET2_T3_PNSL_ISQ_E10value_typeET4_jRbjT5_SW_jjP12ihipStream_tbEUlT_E_NS1_11comp_targetILNS1_3genE8ELNS1_11target_archE1030ELNS1_3gpuE2ELNS1_3repE0EEENS1_30default_config_static_selectorELNS0_4arch9wavefront6targetE0EEEvSK_.private_seg_size, 0
	.set _ZN7rocprim17ROCPRIM_400000_NS6detail17trampoline_kernelINS0_14default_configENS1_36segmented_radix_sort_config_selectorIdlEEZNS1_25segmented_radix_sort_implIS3_Lb0EPKdPdPKlPlN2at6native12_GLOBAL__N_18offset_tEEE10hipError_tPvRmT1_PNSt15iterator_traitsISK_E10value_typeET2_T3_PNSL_ISQ_E10value_typeET4_jRbjT5_SW_jjP12ihipStream_tbEUlT_E_NS1_11comp_targetILNS1_3genE8ELNS1_11target_archE1030ELNS1_3gpuE2ELNS1_3repE0EEENS1_30default_config_static_selectorELNS0_4arch9wavefront6targetE0EEEvSK_.uses_vcc, 0
	.set _ZN7rocprim17ROCPRIM_400000_NS6detail17trampoline_kernelINS0_14default_configENS1_36segmented_radix_sort_config_selectorIdlEEZNS1_25segmented_radix_sort_implIS3_Lb0EPKdPdPKlPlN2at6native12_GLOBAL__N_18offset_tEEE10hipError_tPvRmT1_PNSt15iterator_traitsISK_E10value_typeET2_T3_PNSL_ISQ_E10value_typeET4_jRbjT5_SW_jjP12ihipStream_tbEUlT_E_NS1_11comp_targetILNS1_3genE8ELNS1_11target_archE1030ELNS1_3gpuE2ELNS1_3repE0EEENS1_30default_config_static_selectorELNS0_4arch9wavefront6targetE0EEEvSK_.uses_flat_scratch, 0
	.set _ZN7rocprim17ROCPRIM_400000_NS6detail17trampoline_kernelINS0_14default_configENS1_36segmented_radix_sort_config_selectorIdlEEZNS1_25segmented_radix_sort_implIS3_Lb0EPKdPdPKlPlN2at6native12_GLOBAL__N_18offset_tEEE10hipError_tPvRmT1_PNSt15iterator_traitsISK_E10value_typeET2_T3_PNSL_ISQ_E10value_typeET4_jRbjT5_SW_jjP12ihipStream_tbEUlT_E_NS1_11comp_targetILNS1_3genE8ELNS1_11target_archE1030ELNS1_3gpuE2ELNS1_3repE0EEENS1_30default_config_static_selectorELNS0_4arch9wavefront6targetE0EEEvSK_.has_dyn_sized_stack, 0
	.set _ZN7rocprim17ROCPRIM_400000_NS6detail17trampoline_kernelINS0_14default_configENS1_36segmented_radix_sort_config_selectorIdlEEZNS1_25segmented_radix_sort_implIS3_Lb0EPKdPdPKlPlN2at6native12_GLOBAL__N_18offset_tEEE10hipError_tPvRmT1_PNSt15iterator_traitsISK_E10value_typeET2_T3_PNSL_ISQ_E10value_typeET4_jRbjT5_SW_jjP12ihipStream_tbEUlT_E_NS1_11comp_targetILNS1_3genE8ELNS1_11target_archE1030ELNS1_3gpuE2ELNS1_3repE0EEENS1_30default_config_static_selectorELNS0_4arch9wavefront6targetE0EEEvSK_.has_recursion, 0
	.set _ZN7rocprim17ROCPRIM_400000_NS6detail17trampoline_kernelINS0_14default_configENS1_36segmented_radix_sort_config_selectorIdlEEZNS1_25segmented_radix_sort_implIS3_Lb0EPKdPdPKlPlN2at6native12_GLOBAL__N_18offset_tEEE10hipError_tPvRmT1_PNSt15iterator_traitsISK_E10value_typeET2_T3_PNSL_ISQ_E10value_typeET4_jRbjT5_SW_jjP12ihipStream_tbEUlT_E_NS1_11comp_targetILNS1_3genE8ELNS1_11target_archE1030ELNS1_3gpuE2ELNS1_3repE0EEENS1_30default_config_static_selectorELNS0_4arch9wavefront6targetE0EEEvSK_.has_indirect_call, 0
	.section	.AMDGPU.csdata,"",@progbits
; Kernel info:
; codeLenInByte = 0
; TotalNumSgprs: 0
; NumVgprs: 0
; ScratchSize: 0
; MemoryBound: 0
; FloatMode: 240
; IeeeMode: 1
; LDSByteSize: 0 bytes/workgroup (compile time only)
; SGPRBlocks: 0
; VGPRBlocks: 0
; NumSGPRsForWavesPerEU: 1
; NumVGPRsForWavesPerEU: 1
; NamedBarCnt: 0
; Occupancy: 16
; WaveLimiterHint : 0
; COMPUTE_PGM_RSRC2:SCRATCH_EN: 0
; COMPUTE_PGM_RSRC2:USER_SGPR: 2
; COMPUTE_PGM_RSRC2:TRAP_HANDLER: 0
; COMPUTE_PGM_RSRC2:TGID_X_EN: 1
; COMPUTE_PGM_RSRC2:TGID_Y_EN: 0
; COMPUTE_PGM_RSRC2:TGID_Z_EN: 0
; COMPUTE_PGM_RSRC2:TIDIG_COMP_CNT: 0
	.text
	.p2align	2                               ; -- Begin function _ZN7rocprim17ROCPRIM_400000_NS6detail26segmented_warp_sort_helperINS1_20WarpSortHelperConfigILj16ELj8ELj256EEEdlLi256ELb0EvE4sortIPKdPdPKlPlEEvT_T0_T1_T2_jjjjRNS5_12storage_typeE
	.type	_ZN7rocprim17ROCPRIM_400000_NS6detail26segmented_warp_sort_helperINS1_20WarpSortHelperConfigILj16ELj8ELj256EEEdlLi256ELb0EvE4sortIPKdPdPKlPlEEvT_T0_T1_T2_jjjjRNS5_12storage_typeE,@function
_ZN7rocprim17ROCPRIM_400000_NS6detail26segmented_warp_sort_helperINS1_20WarpSortHelperConfigILj16ELj8ELj256EEEdlLi256ELb0EvE4sortIPKdPdPKlPlEEvT_T0_T1_T2_jjjjRNS5_12storage_typeE: ; @_ZN7rocprim17ROCPRIM_400000_NS6detail26segmented_warp_sort_helperINS1_20WarpSortHelperConfigILj16ELj8ELj256EEEdlLi256ELb0EvE4sortIPKdPdPKlPlEEvT_T0_T1_T2_jjjjRNS5_12storage_typeE
; %bb.0:
	s_wait_loadcnt_dscnt 0x0
	s_wait_kmcnt 0x0
	v_mov_b32_e32 v10, v9
	v_mbcnt_lo_u32_b32 v9, -1, 0
	v_mov_b64_e32 v[28:29], 0x7fffffffffffffff
	v_mov_b64_e32 v[18:19], 0x7fffffffffffffff
	s_delay_alu instid0(VALU_DEP_3) | instskip(NEXT) | instid1(VALU_DEP_1)
	v_dual_lshlrev_b32 v81, 3, v9 :: v_dual_sub_nc_u32 v12, v10, v8
	v_and_b32_e32 v80, 0x78, v81
	v_mov_b32_e32 v9, 0
	s_delay_alu instid0(VALU_DEP_2) | instskip(NEXT) | instid1(VALU_DEP_2)
	v_cmp_lt_u32_e32 vcc_lo, v80, v12
	v_lshl_add_u64 v[14:15], v[8:9], 3, v[0:1]
	v_dual_mov_b32 v1, v9 :: v_dual_lshlrev_b32 v0, 3, v80
	s_delay_alu instid0(VALU_DEP_1)
	v_add_nc_u64_e32 v[10:11], v[14:15], v[0:1]
	s_and_saveexec_b32 s0, vcc_lo
	s_cbranch_execz .LBB1225_2
; %bb.1:
	flat_load_b64 v[18:19], v[10:11]
.LBB1225_2:
	s_wait_xcnt 0x0
	s_or_b32 exec_lo, exec_lo, s0
	v_or_b32_e32 v1, 1, v80
	s_delay_alu instid0(VALU_DEP_1)
	v_cmp_lt_u32_e64 s0, v1, v12
	s_and_saveexec_b32 s1, s0
	s_cbranch_execz .LBB1225_4
; %bb.3:
	flat_load_b64 v[28:29], v[10:11] offset:8
.LBB1225_4:
	s_wait_xcnt 0x0
	s_or_b32 exec_lo, exec_lo, s1
	v_or_b32_e32 v1, 2, v80
	v_mov_b64_e32 v[48:49], 0x7fffffffffffffff
	v_mov_b64_e32 v[32:33], 0x7fffffffffffffff
	s_delay_alu instid0(VALU_DEP_3)
	v_cmp_lt_u32_e64 s1, v1, v12
	s_and_saveexec_b32 s2, s1
	s_cbranch_execz .LBB1225_6
; %bb.5:
	flat_load_b64 v[32:33], v[10:11] offset:16
.LBB1225_6:
	s_wait_xcnt 0x0
	s_or_b32 exec_lo, exec_lo, s2
	v_or_b32_e32 v1, 3, v80
	s_delay_alu instid0(VALU_DEP_1)
	v_cmp_lt_u32_e64 s2, v1, v12
	s_and_saveexec_b32 s3, s2
	s_cbranch_execz .LBB1225_8
; %bb.7:
	flat_load_b64 v[48:49], v[10:11] offset:24
.LBB1225_8:
	s_wait_xcnt 0x0
	s_or_b32 exec_lo, exec_lo, s3
	v_or_b32_e32 v1, 4, v80
	v_mov_b64_e32 v[26:27], 0x7fffffffffffffff
	v_mov_b64_e32 v[34:35], 0x7fffffffffffffff
	s_delay_alu instid0(VALU_DEP_3)
	v_cmp_lt_u32_e64 s3, v1, v12
	s_and_saveexec_b32 s4, s3
	s_cbranch_execz .LBB1225_10
; %bb.9:
	flat_load_b64 v[34:35], v[10:11] offset:32
.LBB1225_10:
	;; [unrolled: 22-line block ×3, first 2 shown]
	s_wait_xcnt 0x0
	s_or_b32 exec_lo, exec_lo, s6
	v_or_b32_e32 v1, 7, v80
	s_delay_alu instid0(VALU_DEP_1)
	v_cmp_lt_u32_e64 s6, v1, v12
	s_and_saveexec_b32 s7, s6
	s_cbranch_execz .LBB1225_16
; %bb.15:
	flat_load_b64 v[20:21], v[10:11] offset:56
.LBB1225_16:
	s_wait_xcnt 0x0
	s_or_b32 exec_lo, exec_lo, s7
	v_lshl_add_u64 v[4:5], v[8:9], 3, v[4:5]
	v_mov_b32_e32 v1, 0
	; wave barrier
	s_delay_alu instid0(VALU_DEP_1)
	v_add_nc_u64_e32 v[50:51], v[4:5], v[0:1]
                                        ; implicit-def: $vgpr4_vgpr5
	s_and_saveexec_b32 s7, vcc_lo
	s_cbranch_execnz .LBB1225_261
; %bb.17:
	s_or_b32 exec_lo, exec_lo, s7
	s_and_saveexec_b32 s7, s0
                                        ; implicit-def: $vgpr10_vgpr11
	s_cbranch_execnz .LBB1225_262
.LBB1225_18:
	s_or_b32 exec_lo, exec_lo, s7
                                        ; implicit-def: $vgpr12_vgpr13
	s_and_saveexec_b32 s7, s1
	s_cbranch_execnz .LBB1225_263
.LBB1225_19:
	s_or_b32 exec_lo, exec_lo, s7
	s_and_saveexec_b32 s7, s2
                                        ; implicit-def: $vgpr14_vgpr15
	s_cbranch_execnz .LBB1225_264
.LBB1225_20:
	s_or_b32 exec_lo, exec_lo, s7
                                        ; implicit-def: $vgpr16_vgpr17
	s_and_saveexec_b32 s7, s3
	s_cbranch_execnz .LBB1225_265
.LBB1225_21:
	s_or_b32 exec_lo, exec_lo, s7
	s_and_saveexec_b32 s7, s4
                                        ; implicit-def: $vgpr24_vgpr25
	s_cbranch_execnz .LBB1225_266
.LBB1225_22:
	s_or_b32 exec_lo, exec_lo, s7
                                        ; implicit-def: $vgpr22_vgpr23
	s_and_saveexec_b32 s7, s5
	s_cbranch_execnz .LBB1225_267
.LBB1225_23:
	s_or_b32 exec_lo, exec_lo, s7
	s_and_saveexec_b32 s7, s6
                                        ; implicit-def: $vgpr36_vgpr37
	s_cbranch_execz .LBB1225_25
.LBB1225_24:
	flat_load_b64 v[36:37], v[50:51] offset:56
.LBB1225_25:
	s_wait_xcnt 0x0
	s_or_b32 exec_lo, exec_lo, s7
	; wave barrier
	s_load_b64 s[10:11], s[8:9], 0x0
	s_bfe_u32 s12, ttmp6, 0x4000c
	s_bfe_u32 s14, ttmp6, 0x40010
	s_and_b32 s13, ttmp7, 0xffff
	s_add_co_i32 s12, s12, 1
	s_add_co_i32 s14, s14, 1
	s_and_b32 s7, ttmp6, 15
	s_bfe_u32 s15, ttmp6, 0x40004
	s_mul_i32 s12, ttmp9, s12
	s_mul_i32 s14, s13, s14
	s_getreg_b32 s16, hwreg(HW_REG_IB_STS2, 6, 4)
	s_add_co_i32 s7, s7, s12
	s_add_co_i32 s15, s15, s14
	s_cmp_eq_u32 s16, 0
	v_bfe_u32 v1, v31, 10, 10
	s_cselect_b32 s7, ttmp9, s7
	s_cselect_b32 s12, s13, s15
	v_bfe_u32 v30, v31, 20, 10
	s_wait_kmcnt 0x0
	s_cmp_lt_u32 s7, s10
	s_cselect_b32 s10, 12, 18
	s_cmp_lt_u32 s12, s11
	s_mov_b32 s11, 0
	s_cselect_b32 s12, 14, 20
	s_mov_b32 s13, s11
	s_delay_alu instid0(SALU_CYCLE_1)
	s_add_nc_u64 s[12:13], s[8:9], s[12:13]
	s_add_nc_u64 s[8:9], s[8:9], s[10:11]
	s_clause 0x1
	s_load_u16 s7, s[12:13], 0x0
	s_nop 0
	s_load_u16 s8, s[8:9], 0x0
	s_wait_kmcnt 0x0
	v_mad_u32_u24 v1, v30, s7, v1
	v_and_b32_e32 v30, 0x3ff, v31
	s_delay_alu instid0(VALU_DEP_2) | instskip(SKIP_1) | instid1(VALU_DEP_1)
	v_mul_lo_u32 v1, v1, s8
	s_mov_b32 s8, exec_lo
	v_add_lshl_u32 v1, v1, v30, 3
	s_delay_alu instid0(VALU_DEP_1)
	v_cmpx_gt_u32_e32 0x800, v1
	s_cbranch_execz .LBB1225_83
; %bb.26:
	s_wait_loadcnt_dscnt 0x0
	v_add_f64_e32 v[30:31], 0, v[18:19]
	s_delay_alu instid0(VALU_DEP_1) | instskip(NEXT) | instid1(VALU_DEP_1)
	v_dual_add_f64 v[50:51], 0, v[28:29] :: v_dual_ashrrev_i32 v52, 31, v31
	v_dual_ashrrev_i32 v53, 31, v51 :: v_dual_bitop2_b32 v30, v52, v30 bitop3:0x14
	v_or_b32_e32 v54, 0x80000000, v52
	s_delay_alu instid0(VALU_DEP_2) | instskip(NEXT) | instid1(VALU_DEP_4)
	v_or_b32_e32 v55, 0x80000000, v53
	v_xor_b32_e32 v50, v53, v50
	s_delay_alu instid0(VALU_DEP_3) | instskip(NEXT) | instid1(VALU_DEP_3)
	v_xor_b32_e32 v31, v54, v31
	v_xor_b32_e32 v51, v55, v51
	s_delay_alu instid0(VALU_DEP_1)
	v_cmp_gt_u64_e64 s7, v[30:31], v[50:51]
	v_mov_b64_e32 v[30:31], v[28:29]
	v_mov_b64_e32 v[50:51], v[10:11]
	s_and_saveexec_b32 s9, s7
; %bb.27:
	v_mov_b64_e32 v[30:31], v[18:19]
	v_mov_b64_e32 v[18:19], v[28:29]
	;; [unrolled: 1-line block ×4, first 2 shown]
; %bb.28:
	s_or_b32 exec_lo, exec_lo, s9
	v_add_f64_e32 v[10:11], 0, v[32:33]
	s_delay_alu instid0(VALU_DEP_1) | instskip(NEXT) | instid1(VALU_DEP_1)
	v_dual_add_f64 v[28:29], 0, v[48:49] :: v_dual_ashrrev_i32 v52, 31, v11
	v_dual_ashrrev_i32 v53, 31, v29 :: v_dual_bitop2_b32 v10, v52, v10 bitop3:0x14
	v_or_b32_e32 v54, 0x80000000, v52
	s_delay_alu instid0(VALU_DEP_2) | instskip(NEXT) | instid1(VALU_DEP_4)
	v_or_b32_e32 v55, 0x80000000, v53
	v_xor_b32_e32 v28, v53, v28
	s_delay_alu instid0(VALU_DEP_3) | instskip(NEXT) | instid1(VALU_DEP_3)
	v_xor_b32_e32 v11, v54, v11
	v_xor_b32_e32 v29, v55, v29
	v_mov_b64_e32 v[54:55], v[48:49]
	s_delay_alu instid0(VALU_DEP_2)
	v_cmp_gt_u64_e64 s7, v[10:11], v[28:29]
	v_mov_b64_e32 v[28:29], v[14:15]
	s_and_saveexec_b32 s9, s7
; %bb.29:
	v_mov_b64_e32 v[54:55], v[32:33]
	v_mov_b64_e32 v[32:33], v[48:49]
	;; [unrolled: 1-line block ×4, first 2 shown]
; %bb.30:
	s_or_b32 exec_lo, exec_lo, s9
	v_add_f64_e32 v[10:11], 0, v[34:35]
	v_add_f64_e32 v[14:15], 0, v[26:27]
	s_delay_alu instid0(VALU_DEP_2) | instskip(NEXT) | instid1(VALU_DEP_1)
	v_ashrrev_i32_e32 v48, 31, v11
	v_or_b32_e32 v52, 0x80000000, v48
	s_delay_alu instid0(VALU_DEP_1) | instskip(NEXT) | instid1(VALU_DEP_4)
	v_xor_b32_e32 v11, v52, v11
	v_dual_ashrrev_i32 v49, 31, v15 :: v_dual_bitop2_b32 v10, v48, v10 bitop3:0x14
	s_delay_alu instid0(VALU_DEP_1) | instskip(SKIP_1) | instid1(VALU_DEP_2)
	v_or_b32_e32 v53, 0x80000000, v49
	v_xor_b32_e32 v14, v49, v14
	v_xor_b32_e32 v15, v53, v15
	v_mov_b64_e32 v[52:53], v[34:35]
	s_delay_alu instid0(VALU_DEP_2)
	v_cmp_gt_u64_e64 s7, v[10:11], v[14:15]
	v_mov_b64_e32 v[14:15], v[24:25]
	s_and_saveexec_b32 s9, s7
; %bb.31:
	v_mov_b64_e32 v[14:15], v[16:17]
	v_mov_b64_e32 v[16:17], v[24:25]
	;; [unrolled: 1-line block ×4, first 2 shown]
; %bb.32:
	s_or_b32 exec_lo, exec_lo, s9
	v_add_f64_e32 v[24:25], 0, v[20:21]
	s_delay_alu instid0(VALU_DEP_1) | instskip(NEXT) | instid1(VALU_DEP_1)
	v_dual_add_f64 v[10:11], 0, v[38:39] :: v_dual_ashrrev_i32 v35, 31, v25
	v_ashrrev_i32_e32 v34, 31, v11
	s_delay_alu instid0(VALU_DEP_2) | instskip(NEXT) | instid1(VALU_DEP_2)
	v_or_b32_e32 v49, 0x80000000, v35
	v_or_b32_e32 v48, 0x80000000, v34
	s_delay_alu instid0(VALU_DEP_4) | instskip(SKIP_4) | instid1(VALU_DEP_1)
	v_xor_b32_e32 v10, v34, v10
	v_xor_b32_e32 v24, v35, v24
	v_mov_b64_e32 v[34:35], v[38:39]
	v_xor_b32_e32 v25, v49, v25
	v_xor_b32_e32 v11, v48, v11
	v_cmp_gt_u64_e64 s7, v[10:11], v[24:25]
	v_mov_b64_e32 v[10:11], v[36:37]
	s_and_saveexec_b32 s9, s7
; %bb.33:
	v_mov_b64_e32 v[10:11], v[22:23]
	v_mov_b64_e32 v[22:23], v[36:37]
	v_mov_b64_e32 v[34:35], v[20:21]
	v_mov_b64_e32 v[20:21], v[38:39]
; %bb.34:
	s_or_b32 exec_lo, exec_lo, s9
	v_add_f64_e32 v[36:37], 0, v[32:33]
	s_delay_alu instid0(VALU_DEP_1) | instskip(NEXT) | instid1(VALU_DEP_1)
	v_dual_add_f64 v[24:25], 0, v[30:31] :: v_dual_ashrrev_i32 v39, 31, v37
	v_ashrrev_i32_e32 v38, 31, v25
	s_delay_alu instid0(VALU_DEP_2) | instskip(NEXT) | instid1(VALU_DEP_2)
	v_or_b32_e32 v49, 0x80000000, v39
	v_or_b32_e32 v48, 0x80000000, v38
	v_xor_b32_e32 v36, v39, v36
	s_delay_alu instid0(VALU_DEP_3) | instskip(NEXT) | instid1(VALU_DEP_3)
	v_xor_b32_e32 v37, v49, v37
	v_xor_b32_e32 v25, v48, v25
	;; [unrolled: 1-line block ×3, first 2 shown]
	s_delay_alu instid0(VALU_DEP_1) | instskip(SKIP_3) | instid1(SALU_CYCLE_1)
	v_cmp_gt_u64_e64 s7, v[24:25], v[36:37]
	v_mov_b64_e32 v[24:25], v[32:33]
	v_mov_b64_e32 v[36:37], v[12:13]
	s_and_saveexec_b32 s9, s7
	s_xor_b32 s7, exec_lo, s9
; %bb.35:
	v_mov_b64_e32 v[24:25], v[30:31]
	v_mov_b64_e32 v[30:31], v[32:33]
	;; [unrolled: 1-line block ×4, first 2 shown]
; %bb.36:
	s_or_b32 exec_lo, exec_lo, s7
	v_add_f64_e32 v[32:33], 0, v[52:53]
	s_delay_alu instid0(VALU_DEP_1) | instskip(NEXT) | instid1(VALU_DEP_1)
	v_dual_add_f64 v[12:13], 0, v[54:55] :: v_dual_ashrrev_i32 v39, 31, v33
	v_ashrrev_i32_e32 v38, 31, v13
	s_delay_alu instid0(VALU_DEP_2) | instskip(NEXT) | instid1(VALU_DEP_2)
	v_or_b32_e32 v49, 0x80000000, v39
	v_or_b32_e32 v48, 0x80000000, v38
	v_xor_b32_e32 v32, v39, v32
	s_delay_alu instid0(VALU_DEP_3) | instskip(NEXT) | instid1(VALU_DEP_3)
	v_xor_b32_e32 v33, v49, v33
	v_xor_b32_e32 v13, v48, v13
	;; [unrolled: 1-line block ×3, first 2 shown]
	s_delay_alu instid0(VALU_DEP_1)
	v_cmp_gt_u64_e64 s7, v[12:13], v[32:33]
	v_mov_b64_e32 v[12:13], v[54:55]
	v_mov_b64_e32 v[32:33], v[16:17]
	s_and_saveexec_b32 s9, s7
; %bb.37:
	v_mov_b64_e32 v[12:13], v[52:53]
	v_mov_b64_e32 v[32:33], v[28:29]
	;; [unrolled: 1-line block ×4, first 2 shown]
; %bb.38:
	s_or_b32 exec_lo, exec_lo, s9
	v_add_f64_e32 v[16:17], 0, v[26:27]
	s_delay_alu instid0(VALU_DEP_1) | instskip(NEXT) | instid1(VALU_DEP_1)
	v_dual_add_f64 v[38:39], 0, v[34:35] :: v_dual_ashrrev_i32 v48, 31, v17
	v_dual_ashrrev_i32 v49, 31, v39 :: v_dual_bitop2_b32 v16, v48, v16 bitop3:0x14
	v_or_b32_e32 v54, 0x80000000, v48
	s_delay_alu instid0(VALU_DEP_2) | instskip(NEXT) | instid1(VALU_DEP_4)
	v_or_b32_e32 v55, 0x80000000, v49
	v_xor_b32_e32 v38, v49, v38
	s_delay_alu instid0(VALU_DEP_3) | instskip(NEXT) | instid1(VALU_DEP_3)
	v_xor_b32_e32 v17, v54, v17
	v_xor_b32_e32 v39, v55, v39
	s_delay_alu instid0(VALU_DEP_1)
	v_cmp_gt_u64_e64 s7, v[16:17], v[38:39]
	v_mov_b64_e32 v[16:17], v[22:23]
	v_mov_b64_e32 v[38:39], v[26:27]
	s_and_saveexec_b32 s9, s7
; %bb.39:
	v_mov_b64_e32 v[16:17], v[14:15]
	v_mov_b64_e32 v[14:15], v[22:23]
	;; [unrolled: 1-line block ×4, first 2 shown]
; %bb.40:
	s_or_b32 exec_lo, exec_lo, s9
	v_add_f64_e32 v[22:23], 0, v[18:19]
	v_add_f64_e32 v[26:27], 0, v[30:31]
	s_delay_alu instid0(VALU_DEP_2) | instskip(NEXT) | instid1(VALU_DEP_1)
	v_ashrrev_i32_e32 v48, 31, v23
	v_or_b32_e32 v54, 0x80000000, v48
	s_delay_alu instid0(VALU_DEP_1) | instskip(NEXT) | instid1(VALU_DEP_4)
	v_xor_b32_e32 v23, v54, v23
	v_dual_ashrrev_i32 v49, 31, v27 :: v_dual_bitop2_b32 v22, v48, v22 bitop3:0x14
	s_delay_alu instid0(VALU_DEP_1) | instskip(SKIP_2) | instid1(VALU_DEP_3)
	v_or_b32_e32 v55, 0x80000000, v49
	v_xor_b32_e32 v26, v49, v26
	v_mov_b64_e32 v[48:49], v[50:51]
	v_xor_b32_e32 v27, v55, v27
	s_delay_alu instid0(VALU_DEP_1)
	v_cmp_gt_u64_e64 s7, v[22:23], v[26:27]
	v_mov_b64_e32 v[22:23], v[30:31]
	s_and_saveexec_b32 s9, s7
; %bb.41:
	v_mov_b64_e32 v[22:23], v[18:19]
	v_mov_b64_e32 v[18:19], v[30:31]
	v_mov_b64_e32 v[48:49], v[4:5]
	v_mov_b64_e32 v[4:5], v[50:51]
; %bb.42:
	s_or_b32 exec_lo, exec_lo, s9
	v_add_f64_e32 v[30:31], 0, v[12:13]
	v_add_f64_e32 v[26:27], 0, v[24:25]
	v_mov_b64_e32 v[64:65], v[12:13]
	s_delay_alu instid0(VALU_DEP_3) | instskip(NEXT) | instid1(VALU_DEP_3)
	v_ashrrev_i32_e32 v51, 31, v31
	v_ashrrev_i32_e32 v50, 31, v27
	s_delay_alu instid0(VALU_DEP_2) | instskip(NEXT) | instid1(VALU_DEP_2)
	v_or_b32_e32 v55, 0x80000000, v51
	v_or_b32_e32 v54, 0x80000000, v50
	v_xor_b32_e32 v26, v50, v26
	v_xor_b32_e32 v30, v51, v30
	s_delay_alu instid0(VALU_DEP_4) | instskip(NEXT) | instid1(VALU_DEP_4)
	v_xor_b32_e32 v31, v55, v31
	v_xor_b32_e32 v27, v54, v27
	s_delay_alu instid0(VALU_DEP_1)
	v_cmp_gt_u64_e64 s7, v[26:27], v[30:31]
	v_mov_b64_e32 v[30:31], v[28:29]
	s_and_saveexec_b32 s9, s7
; %bb.43:
	v_mov_b64_e32 v[64:65], v[24:25]
	v_mov_b64_e32 v[24:25], v[12:13]
	;; [unrolled: 1-line block ×4, first 2 shown]
; %bb.44:
	s_or_b32 exec_lo, exec_lo, s9
	v_add_f64_e32 v[26:27], 0, v[38:39]
	v_add_f64_e32 v[12:13], 0, v[52:53]
	v_mov_b64_e32 v[54:55], v[52:53]
	s_delay_alu instid0(VALU_DEP_2) | instskip(NEXT) | instid1(VALU_DEP_1)
	v_dual_ashrrev_i32 v29, 31, v27 :: v_dual_ashrrev_i32 v28, 31, v13
	v_or_b32_e32 v51, 0x80000000, v29
	s_delay_alu instid0(VALU_DEP_2) | instskip(SKIP_2) | instid1(VALU_DEP_4)
	v_or_b32_e32 v50, 0x80000000, v28
	v_xor_b32_e32 v12, v28, v12
	v_xor_b32_e32 v26, v29, v26
	;; [unrolled: 1-line block ×3, first 2 shown]
	s_delay_alu instid0(VALU_DEP_4) | instskip(NEXT) | instid1(VALU_DEP_1)
	v_xor_b32_e32 v13, v50, v13
	v_cmp_gt_u64_e64 s7, v[12:13], v[26:27]
	v_mov_b64_e32 v[26:27], v[14:15]
	s_and_saveexec_b32 s9, s7
; %bb.45:
	v_mov_b64_e32 v[26:27], v[32:33]
	v_mov_b64_e32 v[32:33], v[14:15]
	;; [unrolled: 1-line block ×4, first 2 shown]
; %bb.46:
	s_or_b32 exec_lo, exec_lo, s9
	v_add_f64_e32 v[12:13], 0, v[34:35]
	v_add_f64_e32 v[14:15], 0, v[20:21]
	s_delay_alu instid0(VALU_DEP_1) | instskip(NEXT) | instid1(VALU_DEP_1)
	v_dual_ashrrev_i32 v28, 31, v13 :: v_dual_ashrrev_i32 v29, 31, v15
	v_or_b32_e32 v50, 0x80000000, v28
	s_delay_alu instid0(VALU_DEP_2) | instskip(SKIP_2) | instid1(VALU_DEP_4)
	v_or_b32_e32 v51, 0x80000000, v29
	v_xor_b32_e32 v12, v28, v12
	v_xor_b32_e32 v14, v29, v14
	v_xor_b32_e32 v13, v50, v13
	s_delay_alu instid0(VALU_DEP_4) | instskip(SKIP_1) | instid1(VALU_DEP_2)
	v_xor_b32_e32 v15, v51, v15
	v_mov_b64_e32 v[50:51], v[34:35]
	v_cmp_gt_u64_e64 s7, v[12:13], v[14:15]
	v_mov_b64_e32 v[12:13], v[10:11]
	s_and_saveexec_b32 s9, s7
; %bb.47:
	v_mov_b64_e32 v[12:13], v[16:17]
	v_mov_b64_e32 v[16:17], v[10:11]
	v_mov_b64_e32 v[50:51], v[20:21]
	v_mov_b64_e32 v[20:21], v[34:35]
; %bb.48:
	s_or_b32 exec_lo, exec_lo, s9
	v_add_f64_e32 v[10:11], 0, v[22:23]
	s_delay_alu instid0(VALU_DEP_1) | instskip(NEXT) | instid1(VALU_DEP_1)
	v_dual_add_f64 v[14:15], 0, v[24:25] :: v_dual_ashrrev_i32 v28, 31, v11
	v_dual_ashrrev_i32 v29, 31, v15 :: v_dual_bitop2_b32 v10, v28, v10 bitop3:0x14
	v_or_b32_e32 v34, 0x80000000, v28
	s_delay_alu instid0(VALU_DEP_2) | instskip(NEXT) | instid1(VALU_DEP_4)
	v_or_b32_e32 v35, 0x80000000, v29
	v_xor_b32_e32 v14, v29, v14
	s_delay_alu instid0(VALU_DEP_3) | instskip(NEXT) | instid1(VALU_DEP_3)
	v_xor_b32_e32 v11, v34, v11
	v_xor_b32_e32 v15, v35, v15
	v_mov_b64_e32 v[34:35], v[36:37]
	s_delay_alu instid0(VALU_DEP_2)
	v_cmp_gt_u64_e64 s7, v[10:11], v[14:15]
	v_mov_b64_e32 v[10:11], v[24:25]
	s_and_saveexec_b32 s9, s7
; %bb.49:
	v_mov_b64_e32 v[10:11], v[22:23]
	v_mov_b64_e32 v[22:23], v[24:25]
	;; [unrolled: 1-line block ×4, first 2 shown]
; %bb.50:
	s_or_b32 exec_lo, exec_lo, s9
	v_add_f64_e32 v[14:15], 0, v[64:65]
	v_add_f64_e32 v[24:25], 0, v[54:55]
	v_mov_b64_e32 v[52:53], v[64:65]
	s_mov_b32 s9, exec_lo
	s_delay_alu instid0(VALU_DEP_2) | instskip(NEXT) | instid1(VALU_DEP_1)
	v_dual_ashrrev_i32 v28, 31, v15 :: v_dual_ashrrev_i32 v29, 31, v25
	v_or_b32_e32 v36, 0x80000000, v28
	s_delay_alu instid0(VALU_DEP_2)
	v_or_b32_e32 v37, 0x80000000, v29
	v_xor_b32_e32 v14, v28, v14
	v_xor_b32_e32 v24, v29, v24
	v_mov_b64_e32 v[28:29], v[32:33]
	v_xor_b32_e32 v15, v36, v15
	v_xor_b32_e32 v25, v37, v25
	s_delay_alu instid0(VALU_DEP_1)
	v_cmpx_gt_u64_e64 v[14:15], v[24:25]
; %bb.51:
	v_mov_b64_e32 v[52:53], v[54:55]
	v_mov_b64_e32 v[28:29], v[30:31]
	;; [unrolled: 1-line block ×4, first 2 shown]
; %bb.52:
	s_or_b32 exec_lo, exec_lo, s9
	v_add_f64_e32 v[24:25], 0, v[50:51]
	s_delay_alu instid0(VALU_DEP_1) | instskip(NEXT) | instid1(VALU_DEP_1)
	v_dual_add_f64 v[14:15], 0, v[38:39] :: v_dual_ashrrev_i32 v33, 31, v25
	v_ashrrev_i32_e32 v32, 31, v15
	s_delay_alu instid0(VALU_DEP_2) | instskip(NEXT) | instid1(VALU_DEP_2)
	v_or_b32_e32 v37, 0x80000000, v33
	v_or_b32_e32 v36, 0x80000000, v32
	v_xor_b32_e32 v24, v33, v24
	s_delay_alu instid0(VALU_DEP_3) | instskip(NEXT) | instid1(VALU_DEP_3)
	v_xor_b32_e32 v25, v37, v25
	v_xor_b32_e32 v15, v36, v15
	;; [unrolled: 1-line block ×3, first 2 shown]
	v_mov_b64_e32 v[32:33], v[38:39]
	s_delay_alu instid0(VALU_DEP_2)
	v_cmp_gt_u64_e64 s7, v[14:15], v[24:25]
	v_mov_b64_e32 v[14:15], v[16:17]
	s_and_saveexec_b32 s9, s7
; %bb.53:
	v_mov_b64_e32 v[14:15], v[26:27]
	v_mov_b64_e32 v[26:27], v[16:17]
	;; [unrolled: 1-line block ×4, first 2 shown]
; %bb.54:
	s_or_b32 exec_lo, exec_lo, s9
	v_add_f64_e32 v[24:25], 0, v[22:23]
	s_delay_alu instid0(VALU_DEP_1) | instskip(NEXT) | instid1(VALU_DEP_1)
	v_dual_add_f64 v[16:17], 0, v[18:19] :: v_dual_ashrrev_i32 v37, 31, v25
	v_ashrrev_i32_e32 v36, 31, v17
	s_delay_alu instid0(VALU_DEP_2) | instskip(NEXT) | instid1(VALU_DEP_2)
	v_or_b32_e32 v39, 0x80000000, v37
	v_or_b32_e32 v38, 0x80000000, v36
	s_delay_alu instid0(VALU_DEP_4) | instskip(SKIP_4) | instid1(VALU_DEP_1)
	v_xor_b32_e32 v16, v36, v16
	v_xor_b32_e32 v24, v37, v24
	v_mov_b64_e32 v[36:37], v[48:49]
	v_xor_b32_e32 v25, v39, v25
	v_xor_b32_e32 v17, v38, v17
	v_cmp_gt_u64_e64 s7, v[16:17], v[24:25]
	v_mov_b64_e32 v[24:25], v[22:23]
	s_and_saveexec_b32 s9, s7
; %bb.55:
	v_mov_b64_e32 v[24:25], v[18:19]
	v_mov_b64_e32 v[18:19], v[22:23]
	;; [unrolled: 1-line block ×4, first 2 shown]
; %bb.56:
	s_or_b32 exec_lo, exec_lo, s9
	v_add_f64_e32 v[16:17], 0, v[10:11]
	v_add_f64_e32 v[22:23], 0, v[52:53]
	s_delay_alu instid0(VALU_DEP_1) | instskip(NEXT) | instid1(VALU_DEP_1)
	v_dual_ashrrev_i32 v38, 31, v17 :: v_dual_ashrrev_i32 v39, 31, v23
	v_or_b32_e32 v48, 0x80000000, v38
	s_delay_alu instid0(VALU_DEP_2) | instskip(SKIP_2) | instid1(VALU_DEP_4)
	v_or_b32_e32 v49, 0x80000000, v39
	v_xor_b32_e32 v16, v38, v16
	v_xor_b32_e32 v22, v39, v22
	;; [unrolled: 1-line block ×3, first 2 shown]
	s_delay_alu instid0(VALU_DEP_4) | instskip(SKIP_1) | instid1(VALU_DEP_2)
	v_xor_b32_e32 v23, v49, v23
	v_mov_b64_e32 v[48:49], v[30:31]
	v_cmp_gt_u64_e64 s7, v[16:17], v[22:23]
	v_mov_b64_e32 v[22:23], v[52:53]
	s_and_saveexec_b32 s9, s7
; %bb.57:
	v_mov_b64_e32 v[22:23], v[10:11]
	v_mov_b64_e32 v[10:11], v[52:53]
	;; [unrolled: 1-line block ×4, first 2 shown]
; %bb.58:
	s_or_b32 exec_lo, exec_lo, s9
	v_add_f64_e32 v[16:17], 0, v[54:55]
	v_add_f64_e32 v[30:31], 0, v[32:33]
	v_mov_b64_e32 v[64:65], v[54:55]
	s_delay_alu instid0(VALU_DEP_2) | instskip(NEXT) | instid1(VALU_DEP_1)
	v_dual_ashrrev_i32 v38, 31, v17 :: v_dual_ashrrev_i32 v39, 31, v31
	v_or_b32_e32 v52, 0x80000000, v38
	s_delay_alu instid0(VALU_DEP_2) | instskip(SKIP_2) | instid1(VALU_DEP_4)
	v_or_b32_e32 v53, 0x80000000, v39
	v_xor_b32_e32 v16, v38, v16
	v_xor_b32_e32 v30, v39, v30
	;; [unrolled: 1-line block ×3, first 2 shown]
	s_delay_alu instid0(VALU_DEP_4) | instskip(NEXT) | instid1(VALU_DEP_1)
	v_xor_b32_e32 v31, v53, v31
	v_cmp_gt_u64_e64 s7, v[16:17], v[30:31]
	v_mov_b64_e32 v[30:31], v[26:27]
	s_and_saveexec_b32 s9, s7
; %bb.59:
	v_mov_b64_e32 v[30:31], v[28:29]
	v_mov_b64_e32 v[28:29], v[26:27]
	;; [unrolled: 1-line block ×4, first 2 shown]
; %bb.60:
	s_or_b32 exec_lo, exec_lo, s9
	v_add_f64_e32 v[16:17], 0, v[50:51]
	v_add_f64_e32 v[26:27], 0, v[20:21]
	s_delay_alu instid0(VALU_DEP_1) | instskip(NEXT) | instid1(VALU_DEP_1)
	v_dual_ashrrev_i32 v38, 31, v17 :: v_dual_ashrrev_i32 v39, 31, v27
	v_or_b32_e32 v52, 0x80000000, v38
	s_delay_alu instid0(VALU_DEP_2) | instskip(SKIP_2) | instid1(VALU_DEP_4)
	v_or_b32_e32 v53, 0x80000000, v39
	v_xor_b32_e32 v16, v38, v16
	v_xor_b32_e32 v26, v39, v26
	;; [unrolled: 1-line block ×3, first 2 shown]
	s_delay_alu instid0(VALU_DEP_4) | instskip(SKIP_1) | instid1(VALU_DEP_2)
	v_xor_b32_e32 v27, v53, v27
	v_mov_b64_e32 v[52:53], v[50:51]
	v_cmp_gt_u64_e64 s7, v[16:17], v[26:27]
	v_mov_b64_e32 v[16:17], v[12:13]
	s_and_saveexec_b32 s9, s7
; %bb.61:
	v_mov_b64_e32 v[16:17], v[14:15]
	v_mov_b64_e32 v[14:15], v[12:13]
	;; [unrolled: 1-line block ×4, first 2 shown]
; %bb.62:
	s_or_b32 exec_lo, exec_lo, s9
	v_add_f64_e32 v[26:27], 0, v[10:11]
	v_add_f64_e32 v[12:13], 0, v[24:25]
	v_mov_b64_e32 v[54:55], v[34:35]
	s_mov_b32 s9, exec_lo
	s_delay_alu instid0(VALU_DEP_2) | instskip(NEXT) | instid1(VALU_DEP_1)
	v_dual_ashrrev_i32 v39, 31, v27 :: v_dual_ashrrev_i32 v38, 31, v13
	v_or_b32_e32 v51, 0x80000000, v39
	s_delay_alu instid0(VALU_DEP_2)
	v_or_b32_e32 v50, 0x80000000, v38
	v_xor_b32_e32 v12, v38, v12
	v_xor_b32_e32 v26, v39, v26
	v_mov_b64_e32 v[38:39], v[10:11]
	v_xor_b32_e32 v27, v51, v27
	v_xor_b32_e32 v13, v50, v13
	s_delay_alu instid0(VALU_DEP_1)
	v_cmpx_gt_u64_e64 v[12:13], v[26:27]
; %bb.63:
	v_mov_b64_e32 v[38:39], v[24:25]
	v_mov_b64_e32 v[24:25], v[10:11]
	v_mov_b64_e32 v[54:55], v[36:37]
	v_mov_b64_e32 v[36:37], v[34:35]
; %bb.64:
	s_or_b32 exec_lo, exec_lo, s9
	v_add_f64_e32 v[12:13], 0, v[64:65]
	v_add_f64_e32 v[10:11], 0, v[22:23]
	v_mov_b64_e32 v[50:51], v[28:29]
	s_delay_alu instid0(VALU_DEP_2) | instskip(NEXT) | instid1(VALU_DEP_1)
	v_dual_ashrrev_i32 v27, 31, v13 :: v_dual_ashrrev_i32 v26, 31, v11
	v_or_b32_e32 v35, 0x80000000, v27
	s_delay_alu instid0(VALU_DEP_2) | instskip(SKIP_2) | instid1(VALU_DEP_4)
	v_or_b32_e32 v34, 0x80000000, v26
	v_xor_b32_e32 v10, v26, v10
	v_xor_b32_e32 v12, v27, v12
	;; [unrolled: 1-line block ×3, first 2 shown]
	s_delay_alu instid0(VALU_DEP_4) | instskip(NEXT) | instid1(VALU_DEP_1)
	v_xor_b32_e32 v11, v34, v11
	v_cmp_gt_u64_e64 s7, v[10:11], v[12:13]
	v_mov_b64_e32 v[12:13], v[22:23]
	s_and_saveexec_b32 s9, s7
; %bb.65:
	v_mov_b64_e32 v[12:13], v[64:65]
	v_mov_b64_e32 v[50:51], v[48:49]
	;; [unrolled: 1-line block ×4, first 2 shown]
; %bb.66:
	s_or_b32 exec_lo, exec_lo, s9
	v_add_f64_e32 v[22:23], 0, v[52:53]
	s_delay_alu instid0(VALU_DEP_1) | instskip(NEXT) | instid1(VALU_DEP_1)
	v_dual_add_f64 v[10:11], 0, v[32:33] :: v_dual_ashrrev_i32 v27, 31, v23
	v_ashrrev_i32_e32 v26, 31, v11
	s_delay_alu instid0(VALU_DEP_2) | instskip(NEXT) | instid1(VALU_DEP_2)
	v_or_b32_e32 v29, 0x80000000, v27
	v_or_b32_e32 v28, 0x80000000, v26
	s_delay_alu instid0(VALU_DEP_4) | instskip(SKIP_4) | instid1(VALU_DEP_1)
	v_xor_b32_e32 v10, v26, v10
	v_xor_b32_e32 v22, v27, v22
	v_mov_b64_e32 v[26:27], v[32:33]
	v_xor_b32_e32 v23, v29, v23
	v_xor_b32_e32 v11, v28, v11
	v_cmp_gt_u64_e64 s7, v[10:11], v[22:23]
	v_mov_b64_e32 v[22:23], v[14:15]
	s_and_saveexec_b32 s9, s7
; %bb.67:
	v_mov_b64_e32 v[22:23], v[30:31]
	v_mov_b64_e32 v[30:31], v[14:15]
	;; [unrolled: 1-line block ×4, first 2 shown]
; %bb.68:
	s_or_b32 exec_lo, exec_lo, s9
	v_add_f64_e32 v[10:11], 0, v[18:19]
	s_delay_alu instid0(VALU_DEP_1) | instskip(NEXT) | instid1(VALU_DEP_1)
	v_dual_add_f64 v[14:15], 0, v[24:25] :: v_dual_ashrrev_i32 v28, 31, v11
	v_dual_ashrrev_i32 v29, 31, v15 :: v_dual_bitop2_b32 v10, v28, v10 bitop3:0x14
	v_or_b32_e32 v32, 0x80000000, v28
	s_delay_alu instid0(VALU_DEP_2) | instskip(NEXT) | instid1(VALU_DEP_4)
	v_or_b32_e32 v33, 0x80000000, v29
	v_xor_b32_e32 v14, v29, v14
	v_mov_b64_e32 v[28:29], v[24:25]
	s_delay_alu instid0(VALU_DEP_4) | instskip(NEXT) | instid1(VALU_DEP_4)
	v_xor_b32_e32 v11, v32, v11
	v_xor_b32_e32 v15, v33, v15
	s_delay_alu instid0(VALU_DEP_1)
	v_cmp_gt_u64_e64 s7, v[10:11], v[14:15]
	v_mov_b64_e32 v[10:11], v[36:37]
	s_and_saveexec_b32 s9, s7
; %bb.69:
	v_mov_b64_e32 v[28:29], v[18:19]
	v_mov_b64_e32 v[18:19], v[24:25]
	;; [unrolled: 1-line block ×4, first 2 shown]
; %bb.70:
	s_or_b32 exec_lo, exec_lo, s9
	v_add_f64_e32 v[24:25], 0, v[12:13]
	s_delay_alu instid0(VALU_DEP_1) | instskip(NEXT) | instid1(VALU_DEP_1)
	v_dual_add_f64 v[14:15], 0, v[38:39] :: v_dual_ashrrev_i32 v33, 31, v25
	v_ashrrev_i32_e32 v32, 31, v15
	s_delay_alu instid0(VALU_DEP_2) | instskip(NEXT) | instid1(VALU_DEP_2)
	v_or_b32_e32 v35, 0x80000000, v33
	v_or_b32_e32 v34, 0x80000000, v32
	s_delay_alu instid0(VALU_DEP_4) | instskip(SKIP_1) | instid1(VALU_DEP_4)
	v_xor_b32_e32 v14, v32, v14
	v_xor_b32_e32 v24, v33, v24
	v_xor_b32_e32 v25, v35, v25
	s_delay_alu instid0(VALU_DEP_4) | instskip(NEXT) | instid1(VALU_DEP_1)
	v_xor_b32_e32 v15, v34, v15
	v_cmp_gt_u64_e64 s7, v[14:15], v[24:25]
	v_mov_b64_e32 v[24:25], v[12:13]
	v_mov_b64_e32 v[14:15], v[48:49]
	s_and_saveexec_b32 s9, s7
; %bb.71:
	v_mov_b64_e32 v[24:25], v[38:39]
	v_mov_b64_e32 v[38:39], v[12:13]
	;; [unrolled: 1-line block ×4, first 2 shown]
; %bb.72:
	s_or_b32 exec_lo, exec_lo, s9
	v_add_f64_e32 v[12:13], 0, v[64:65]
	v_add_f64_e32 v[32:33], 0, v[26:27]
	v_mov_b64_e32 v[66:67], v[30:31]
	s_mov_b32 s9, exec_lo
	s_delay_alu instid0(VALU_DEP_3) | instskip(NEXT) | instid1(VALU_DEP_1)
	v_ashrrev_i32_e32 v34, 31, v13
	v_dual_ashrrev_i32 v35, 31, v33 :: v_dual_bitop2_b32 v12, v34, v12 bitop3:0x14
	v_or_b32_e32 v36, 0x80000000, v34
	s_delay_alu instid0(VALU_DEP_2) | instskip(SKIP_2) | instid1(VALU_DEP_4)
	v_or_b32_e32 v37, 0x80000000, v35
	v_xor_b32_e32 v32, v35, v32
	v_mov_b64_e32 v[34:35], v[64:65]
	v_xor_b32_e32 v13, v36, v13
	s_delay_alu instid0(VALU_DEP_4) | instskip(NEXT) | instid1(VALU_DEP_1)
	v_xor_b32_e32 v33, v37, v33
	v_cmpx_gt_u64_e64 v[12:13], v[32:33]
; %bb.73:
	v_mov_b64_e32 v[66:67], v[50:51]
	v_mov_b64_e32 v[50:51], v[30:31]
	;; [unrolled: 1-line block ×4, first 2 shown]
; %bb.74:
	s_or_b32 exec_lo, exec_lo, s9
	v_add_f64_e32 v[30:31], 0, v[20:21]
	s_delay_alu instid0(VALU_DEP_1) | instskip(NEXT) | instid1(VALU_DEP_1)
	v_dual_add_f64 v[12:13], 0, v[52:53] :: v_dual_ashrrev_i32 v33, 31, v31
	v_ashrrev_i32_e32 v32, 31, v13
	s_delay_alu instid0(VALU_DEP_2) | instskip(NEXT) | instid1(VALU_DEP_2)
	v_or_b32_e32 v37, 0x80000000, v33
	v_or_b32_e32 v36, 0x80000000, v32
	v_xor_b32_e32 v30, v33, v30
	s_delay_alu instid0(VALU_DEP_3) | instskip(NEXT) | instid1(VALU_DEP_3)
	v_xor_b32_e32 v31, v37, v31
	v_xor_b32_e32 v13, v36, v13
	;; [unrolled: 1-line block ×3, first 2 shown]
	v_mov_b64_e32 v[36:37], v[16:17]
	s_delay_alu instid0(VALU_DEP_2)
	v_cmp_gt_u64_e64 s7, v[12:13], v[30:31]
	v_mov_b64_e32 v[30:31], v[52:53]
	s_and_saveexec_b32 s9, s7
; %bb.75:
	v_mov_b64_e32 v[36:37], v[22:23]
	v_mov_b64_e32 v[22:23], v[16:17]
	v_mov_b64_e32 v[30:31], v[20:21]
	v_mov_b64_e32 v[20:21], v[52:53]
; %bb.76:
	s_or_b32 exec_lo, exec_lo, s9
	v_add_f64_e32 v[12:13], 0, v[28:29]
	s_delay_alu instid0(VALU_DEP_1) | instskip(NEXT) | instid1(VALU_DEP_1)
	v_dual_add_f64 v[16:17], 0, v[38:39] :: v_dual_ashrrev_i32 v32, 31, v13
	v_dual_ashrrev_i32 v33, 31, v17 :: v_dual_bitop2_b32 v12, v32, v12 bitop3:0x14
	v_or_b32_e32 v48, 0x80000000, v32
	s_delay_alu instid0(VALU_DEP_2) | instskip(NEXT) | instid1(VALU_DEP_4)
	v_or_b32_e32 v49, 0x80000000, v33
	v_xor_b32_e32 v16, v33, v16
	v_mov_b64_e32 v[32:33], v[38:39]
	s_delay_alu instid0(VALU_DEP_4) | instskip(NEXT) | instid1(VALU_DEP_4)
	v_xor_b32_e32 v13, v48, v13
	v_xor_b32_e32 v17, v49, v17
	s_delay_alu instid0(VALU_DEP_1)
	v_cmp_gt_u64_e64 s7, v[12:13], v[16:17]
	v_mov_b64_e32 v[12:13], v[54:55]
	s_and_saveexec_b32 s9, s7
; %bb.77:
	v_mov_b64_e32 v[32:33], v[28:29]
	v_mov_b64_e32 v[28:29], v[38:39]
	;; [unrolled: 1-line block ×4, first 2 shown]
; %bb.78:
	s_or_b32 exec_lo, exec_lo, s9
	v_add_f64_e32 v[38:39], 0, v[34:35]
	s_delay_alu instid0(VALU_DEP_1) | instskip(NEXT) | instid1(VALU_DEP_1)
	v_dual_add_f64 v[16:17], 0, v[24:25] :: v_dual_ashrrev_i32 v49, 31, v39
	v_ashrrev_i32_e32 v48, 31, v17
	s_delay_alu instid0(VALU_DEP_2) | instskip(NEXT) | instid1(VALU_DEP_2)
	v_or_b32_e32 v53, 0x80000000, v49
	v_or_b32_e32 v52, 0x80000000, v48
	s_delay_alu instid0(VALU_DEP_4) | instskip(SKIP_4) | instid1(VALU_DEP_1)
	v_xor_b32_e32 v16, v48, v16
	v_xor_b32_e32 v38, v49, v38
	v_mov_b64_e32 v[48:49], v[24:25]
	v_xor_b32_e32 v39, v53, v39
	v_xor_b32_e32 v17, v52, v17
	v_cmp_gt_u64_e64 s7, v[16:17], v[38:39]
	v_mov_b64_e32 v[16:17], v[50:51]
	s_and_saveexec_b32 s9, s7
; %bb.79:
	v_mov_b64_e32 v[48:49], v[34:35]
	v_mov_b64_e32 v[16:17], v[14:15]
	;; [unrolled: 1-line block ×4, first 2 shown]
; %bb.80:
	s_or_b32 exec_lo, exec_lo, s9
	v_add_f64_e32 v[24:25], 0, v[26:27]
	s_delay_alu instid0(VALU_DEP_1) | instskip(NEXT) | instid1(VALU_DEP_1)
	v_dual_add_f64 v[38:39], 0, v[30:31] :: v_dual_ashrrev_i32 v50, 31, v25
	v_dual_ashrrev_i32 v51, 31, v39 :: v_dual_bitop2_b32 v24, v50, v24 bitop3:0x14
	v_or_b32_e32 v52, 0x80000000, v50
	s_delay_alu instid0(VALU_DEP_2) | instskip(NEXT) | instid1(VALU_DEP_4)
	v_or_b32_e32 v53, 0x80000000, v51
	v_xor_b32_e32 v38, v51, v38
	s_delay_alu instid0(VALU_DEP_3) | instskip(NEXT) | instid1(VALU_DEP_3)
	v_xor_b32_e32 v25, v52, v25
	v_xor_b32_e32 v39, v53, v39
	s_delay_alu instid0(VALU_DEP_1)
	v_cmp_gt_u64_e64 s7, v[24:25], v[38:39]
	v_mov_b64_e32 v[38:39], v[30:31]
	v_mov_b64_e32 v[24:25], v[66:67]
	s_and_saveexec_b32 s9, s7
; %bb.81:
	v_mov_b64_e32 v[38:39], v[26:27]
	v_mov_b64_e32 v[26:27], v[30:31]
	;; [unrolled: 1-line block ×4, first 2 shown]
; %bb.82:
	s_or_b32 exec_lo, exec_lo, s9
.LBB1225_83:
	s_delay_alu instid0(SALU_CYCLE_1)
	s_or_b32 exec_lo, exec_lo, s8
	v_and_b32_e32 v1, 0xffffff00, v1
	v_and_b32_e32 v50, 0xf0, v81
	v_or_b32_e32 v30, 8, v81
	v_and_b32_e32 v31, 8, v81
	s_mov_b32 s8, exec_lo
	v_sub_nc_u32_e64 v83, 0x800, v1 clamp
	s_delay_alu instid0(VALU_DEP_1) | instskip(NEXT) | instid1(VALU_DEP_3)
	v_min_u32_e32 v96, v83, v30
	v_min_u32_e32 v51, v83, v31
	s_delay_alu instid0(VALU_DEP_2) | instskip(SKIP_1) | instid1(VALU_DEP_2)
	v_add_min_u32_e64 v97, v96, 8, v83
	v_dual_lshlrev_b32 v1, 3, v1 :: v_dual_sub_nc_u32 v31, v96, v50
	v_sub_nc_u32_e32 v30, v97, v96
	s_delay_alu instid0(VALU_DEP_2) | instskip(NEXT) | instid1(VALU_DEP_3)
	v_lshl_or_b32 v82, v81, 3, v1
	v_min_u32_e32 v52, v51, v31
	v_lshl_or_b32 v31, v50, 3, v1
	s_wait_loadcnt_dscnt 0x0
	ds_store_2addr_b64 v82, v[18:19], v[28:29] offset1:1
	ds_store_2addr_b64 v82, v[32:33], v[48:49] offset0:2 offset1:3
	v_add_nc_u32_e32 v84, 0x4000, v82
	v_add_nc_u32_e32 v85, 0x4010, v82
	v_add_nc_u32_e32 v86, 0x4020, v82
	v_sub_nc_u32_e64 v30, v51, v30 clamp
	v_add_nc_u32_e32 v87, 0x4030, v82
	ds_store_2addr_b64 v84, v[4:5], v[10:11] offset1:1
	ds_store_2addr_b64 v85, v[12:13], v[14:15] offset1:1
	ds_store_2addr_b64 v82, v[34:35], v[26:27] offset0:4 offset1:5
	ds_store_2addr_b64 v82, v[38:39], v[20:21] offset0:6 offset1:7
	ds_store_2addr_b64 v86, v[16:17], v[24:25] offset1:1
	ds_store_2addr_b64 v87, v[22:23], v[36:37] offset1:1
	; wave barrier
	v_cmpx_lt_u32_e64 v30, v52
	s_cbranch_execz .LBB1225_87
; %bb.84:
	v_dual_lshlrev_b32 v53, 3, v96 :: v_dual_lshlrev_b32 v54, 3, v51
	s_mov_b32 s9, 0
	s_delay_alu instid0(VALU_DEP_1)
	v_add3_u32 v53, v1, v53, v54
.LBB1225_85:                            ; =>This Inner Loop Header: Depth=1
	v_add_nc_u32_e32 v54, v52, v30
	s_delay_alu instid0(VALU_DEP_1) | instskip(NEXT) | instid1(VALU_DEP_1)
	v_lshrrev_b32_e32 v66, 1, v54
	v_not_b32_e32 v64, v66
	v_lshl_add_u32 v54, v66, 3, v31
	s_delay_alu instid0(VALU_DEP_2)
	v_lshl_add_u32 v64, v64, 3, v53
	ds_load_b64 v[54:55], v54
	ds_load_b64 v[64:65], v64
	s_wait_dscnt 0x0
	v_add_f64_e32 v[64:65], 0, v[64:65]
	v_add_f64_e32 v[54:55], 0, v[54:55]
	s_delay_alu instid0(VALU_DEP_1) | instskip(NEXT) | instid1(VALU_DEP_1)
	v_ashrrev_i32_e32 v67, 31, v55
	v_or_b32_e32 v68, 0x80000000, v67
	s_delay_alu instid0(VALU_DEP_3) | instskip(NEXT) | instid1(VALU_DEP_2)
	v_dual_ashrrev_i32 v67, 31, v65 :: v_dual_bitop2_b32 v54, v67, v54 bitop3:0x14
	v_xor_b32_e32 v55, v68, v55
	s_delay_alu instid0(VALU_DEP_2) | instskip(SKIP_1) | instid1(VALU_DEP_2)
	v_or_b32_e32 v68, 0x80000000, v67
	v_xor_b32_e32 v64, v67, v64
	v_xor_b32_e32 v65, v68, v65
	s_delay_alu instid0(VALU_DEP_1) | instskip(NEXT) | instid1(VALU_DEP_1)
	v_cmp_gt_u64_e64 s7, v[54:55], v[64:65]
	v_dual_add_nc_u32 v54, 1, v66 :: v_dual_cndmask_b32 v52, v52, v66, s7
	s_delay_alu instid0(VALU_DEP_1) | instskip(NEXT) | instid1(VALU_DEP_1)
	v_cndmask_b32_e64 v30, v54, v30, s7
	v_cmp_ge_u32_e64 s7, v30, v52
	s_or_b32 s9, s7, s9
	s_delay_alu instid0(SALU_CYCLE_1)
	s_and_not1_b32 exec_lo, exec_lo, s9
	s_cbranch_execnz .LBB1225_85
; %bb.86:
	s_or_b32 exec_lo, exec_lo, s9
.LBB1225_87:
	s_delay_alu instid0(SALU_CYCLE_1) | instskip(SKIP_1) | instid1(VALU_DEP_1)
	s_or_b32 exec_lo, exec_lo, s8
	v_dual_add_nc_u32 v51, v96, v51 :: v_dual_add_nc_u32 v50, v30, v50
	v_sub_nc_u32_e32 v51, v51, v30
	s_delay_alu instid0(VALU_DEP_2) | instskip(NEXT) | instid1(VALU_DEP_2)
	v_cmp_le_u32_e64 s7, v50, v96
	v_cmp_le_u32_e64 s8, v51, v97
	s_or_b32 s7, s7, s8
	s_delay_alu instid0(SALU_CYCLE_1)
	s_and_saveexec_b32 s9, s7
	s_cbranch_execz .LBB1225_123
; %bb.88:
	v_cmp_ge_u32_e64 s7, v50, v96
	s_mov_b32 s10, exec_lo
                                        ; implicit-def: $vgpr18_vgpr19
	v_cmpx_lt_u32_e64 v50, v96
; %bb.89:
	v_lshl_add_u32 v4, v30, 3, v31
	ds_load_b64 v[18:19], v4
; %bb.90:
	s_or_b32 exec_lo, exec_lo, s10
	v_cmp_ge_u32_e64 s10, v51, v97
	s_mov_b32 s11, exec_lo
                                        ; implicit-def: $vgpr20_vgpr21
	v_cmpx_lt_u32_e64 v51, v97
; %bb.91:
	v_lshl_add_u32 v4, v51, 3, v1
	ds_load_b64 v[20:21], v4
; %bb.92:
	s_or_b32 exec_lo, exec_lo, s11
	s_nor_b32 s7, s7, s10
	s_delay_alu instid0(SALU_CYCLE_1)
	s_and_saveexec_b32 s8, s7
	s_cbranch_execz .LBB1225_94
; %bb.93:
	s_wait_dscnt 0x0
	v_add_f64_e32 v[4:5], 0, v[18:19]
	v_add_f64_e32 v[10:11], 0, v[20:21]
	s_and_not1_b32 s10, s10, exec_lo
	s_delay_alu instid0(VALU_DEP_1) | instskip(NEXT) | instid1(VALU_DEP_1)
	v_dual_ashrrev_i32 v12, 31, v5 :: v_dual_ashrrev_i32 v13, 31, v11
	v_or_b32_e32 v14, 0x80000000, v12
	s_delay_alu instid0(VALU_DEP_2) | instskip(SKIP_2) | instid1(VALU_DEP_4)
	v_or_b32_e32 v15, 0x80000000, v13
	v_xor_b32_e32 v4, v12, v4
	v_xor_b32_e32 v10, v13, v10
	;; [unrolled: 1-line block ×3, first 2 shown]
	s_delay_alu instid0(VALU_DEP_4) | instskip(NEXT) | instid1(VALU_DEP_1)
	v_xor_b32_e32 v11, v15, v11
	v_cmp_le_u64_e64 s7, v[4:5], v[10:11]
	s_and_b32 s7, s7, exec_lo
	s_delay_alu instid0(SALU_CYCLE_1)
	s_or_b32 s10, s10, s7
.LBB1225_94:
	s_or_b32 exec_lo, exec_lo, s8
	v_dual_cndmask_b32 v4, v51, v50, s10 :: v_dual_cndmask_b32 v5, v97, v96, s10
	s_mov_b32 s11, -1
	s_mov_b32 s8, -1
	s_mov_b32 s12, exec_lo
	s_delay_alu instid0(VALU_DEP_1) | instskip(SKIP_1) | instid1(VALU_DEP_2)
	v_add_nc_u32_e32 v13, 1, v4
	v_lshl_add_u32 v4, v4, 3, v1
	v_add_min_u32_e64 v5, v5, -1, v13
	s_delay_alu instid0(VALU_DEP_1)
	v_lshl_add_u32 v5, v5, 3, v1
	ds_load_b64 v[10:11], v5
	ds_load_b64 v[4:5], v4 offset:16384
	s_wait_dscnt 0x1
	v_dual_cndmask_b32 v29, v11, v21, s10 :: v_dual_cndmask_b32 v12, v13, v51, s10
	v_cndmask_b32_e64 v13, v50, v13, s10
	v_dual_cndmask_b32 v28, v10, v20, s10 :: v_dual_cndmask_b32 v31, v19, v11, s10
	v_cndmask_b32_e64 v30, v18, v10, s10
	s_delay_alu instid0(VALU_DEP_4)
	v_cmpx_lt_u32_e64 v12, v97
	s_cbranch_execz .LBB1225_98
; %bb.95:
	s_mov_b32 s13, 0
	s_mov_b32 s8, exec_lo
	v_cmpx_lt_u32_e64 v13, v96
	s_cbranch_execz .LBB1225_97
; %bb.96:
	v_add_f64_e32 v[10:11], 0, v[30:31]
	s_delay_alu instid0(VALU_DEP_1) | instskip(NEXT) | instid1(VALU_DEP_1)
	v_dual_add_f64 v[14:15], 0, v[28:29] :: v_dual_ashrrev_i32 v16, 31, v11
	v_dual_ashrrev_i32 v17, 31, v15 :: v_dual_bitop2_b32 v10, v16, v10 bitop3:0x14
	v_or_b32_e32 v22, 0x80000000, v16
	s_delay_alu instid0(VALU_DEP_2) | instskip(NEXT) | instid1(VALU_DEP_4)
	v_or_b32_e32 v23, 0x80000000, v17
	v_xor_b32_e32 v14, v17, v14
	s_delay_alu instid0(VALU_DEP_3) | instskip(NEXT) | instid1(VALU_DEP_3)
	v_xor_b32_e32 v11, v22, v11
	v_xor_b32_e32 v15, v23, v15
	s_delay_alu instid0(VALU_DEP_1)
	v_cmp_le_u64_e64 s7, v[10:11], v[14:15]
	s_and_b32 s13, s7, exec_lo
.LBB1225_97:
	s_or_b32 exec_lo, exec_lo, s8
	s_delay_alu instid0(SALU_CYCLE_1)
	s_or_not1_b32 s8, s13, exec_lo
.LBB1225_98:
	s_or_b32 exec_lo, exec_lo, s12
	v_dual_cndmask_b32 v10, v12, v13, s8 :: v_dual_cndmask_b32 v11, v97, v96, s8
	s_mov_b32 s12, exec_lo
	s_delay_alu instid0(VALU_DEP_1) | instskip(SKIP_1) | instid1(VALU_DEP_2)
	v_add_nc_u32_e32 v15, 1, v10
	v_lshl_add_u32 v10, v10, 3, v1
	v_add_min_u32_e64 v11, v11, -1, v15
	s_delay_alu instid0(VALU_DEP_1)
	v_lshl_add_u32 v11, v11, 3, v1
	ds_load_b64 v[16:17], v11
	ds_load_b64 v[10:11], v10 offset:16384
	s_wait_dscnt 0x1
	v_dual_cndmask_b32 v33, v17, v29, s8 :: v_dual_cndmask_b32 v14, v15, v12, s8
	v_dual_cndmask_b32 v15, v13, v15, s8 :: v_dual_cndmask_b32 v32, v16, v28, s8
	;; [unrolled: 1-line block ×3, first 2 shown]
	s_delay_alu instid0(VALU_DEP_3)
	v_cmpx_lt_u32_e64 v14, v97
	s_cbranch_execz .LBB1225_102
; %bb.99:
	s_mov_b32 s13, 0
	s_mov_b32 s11, exec_lo
	v_cmpx_lt_u32_e64 v15, v96
	s_cbranch_execz .LBB1225_101
; %bb.100:
	v_add_f64_e32 v[16:17], 0, v[32:33]
	s_delay_alu instid0(VALU_DEP_1) | instskip(NEXT) | instid1(VALU_DEP_1)
	v_dual_add_f64 v[12:13], 0, v[50:51] :: v_dual_ashrrev_i32 v23, 31, v17
	v_ashrrev_i32_e32 v22, 31, v13
	s_delay_alu instid0(VALU_DEP_2) | instskip(NEXT) | instid1(VALU_DEP_2)
	v_or_b32_e32 v25, 0x80000000, v23
	v_or_b32_e32 v24, 0x80000000, v22
	v_xor_b32_e32 v16, v23, v16
	s_delay_alu instid0(VALU_DEP_3) | instskip(NEXT) | instid1(VALU_DEP_3)
	v_xor_b32_e32 v17, v25, v17
	v_xor_b32_e32 v13, v24, v13
	;; [unrolled: 1-line block ×3, first 2 shown]
	s_delay_alu instid0(VALU_DEP_1)
	v_cmp_le_u64_e64 s7, v[12:13], v[16:17]
	s_and_b32 s13, s7, exec_lo
.LBB1225_101:
	s_or_b32 exec_lo, exec_lo, s11
	s_delay_alu instid0(SALU_CYCLE_1)
	s_or_not1_b32 s11, s13, exec_lo
.LBB1225_102:
	s_or_b32 exec_lo, exec_lo, s12
	v_dual_cndmask_b32 v12, v14, v15, s11 :: v_dual_cndmask_b32 v13, v97, v96, s11
	s_mov_b32 s13, -1
	s_mov_b32 s12, -1
	s_mov_b32 s14, exec_lo
	s_delay_alu instid0(VALU_DEP_1) | instskip(SKIP_1) | instid1(VALU_DEP_2)
	v_add_nc_u32_e32 v17, 1, v12
	v_lshl_add_u32 v12, v12, 3, v1
	v_add_min_u32_e64 v13, v13, -1, v17
	s_delay_alu instid0(VALU_DEP_1)
	v_lshl_add_u32 v13, v13, 3, v1
	ds_load_b64 v[22:23], v13
	ds_load_b64 v[12:13], v12 offset:16384
	s_wait_dscnt 0x1
	v_dual_cndmask_b32 v49, v23, v33, s11 :: v_dual_cndmask_b32 v16, v17, v14, s11
	v_dual_cndmask_b32 v17, v15, v17, s11 :: v_dual_cndmask_b32 v48, v22, v32, s11
	;; [unrolled: 1-line block ×3, first 2 shown]
	s_delay_alu instid0(VALU_DEP_3)
	v_cmpx_lt_u32_e64 v16, v97
	s_cbranch_execz .LBB1225_106
; %bb.103:
	s_mov_b32 s15, 0
	s_mov_b32 s12, exec_lo
	v_cmpx_lt_u32_e64 v17, v96
	s_cbranch_execz .LBB1225_105
; %bb.104:
	v_add_f64_e32 v[22:23], 0, v[48:49]
	s_delay_alu instid0(VALU_DEP_1) | instskip(NEXT) | instid1(VALU_DEP_1)
	v_dual_add_f64 v[14:15], 0, v[52:53] :: v_dual_ashrrev_i32 v25, 31, v23
	v_ashrrev_i32_e32 v24, 31, v15
	s_delay_alu instid0(VALU_DEP_2) | instskip(NEXT) | instid1(VALU_DEP_2)
	v_or_b32_e32 v27, 0x80000000, v25
	v_or_b32_e32 v26, 0x80000000, v24
	s_delay_alu instid0(VALU_DEP_4) | instskip(SKIP_1) | instid1(VALU_DEP_4)
	v_xor_b32_e32 v14, v24, v14
	v_xor_b32_e32 v22, v25, v22
	;; [unrolled: 1-line block ×3, first 2 shown]
	s_delay_alu instid0(VALU_DEP_4) | instskip(NEXT) | instid1(VALU_DEP_1)
	v_xor_b32_e32 v15, v26, v15
	v_cmp_le_u64_e64 s7, v[14:15], v[22:23]
	s_and_b32 s15, s7, exec_lo
.LBB1225_105:
	s_or_b32 exec_lo, exec_lo, s12
	s_delay_alu instid0(SALU_CYCLE_1)
	s_or_not1_b32 s12, s15, exec_lo
.LBB1225_106:
	s_or_b32 exec_lo, exec_lo, s14
	v_dual_cndmask_b32 v14, v16, v17, s12 :: v_dual_cndmask_b32 v15, v97, v96, s12
	s_mov_b32 s14, exec_lo
	s_delay_alu instid0(VALU_DEP_1) | instskip(SKIP_1) | instid1(VALU_DEP_2)
	v_add_nc_u32_e32 v23, 1, v14
	v_lshl_add_u32 v14, v14, 3, v1
	v_add_min_u32_e64 v15, v15, -1, v23
	s_delay_alu instid0(VALU_DEP_1)
	v_lshl_add_u32 v15, v15, 3, v1
	ds_load_b64 v[24:25], v15
	ds_load_b64 v[14:15], v14 offset:16384
	s_wait_dscnt 0x1
	v_dual_cndmask_b32 v35, v25, v49, s12 :: v_dual_cndmask_b32 v22, v23, v16, s12
	v_dual_cndmask_b32 v23, v17, v23, s12 :: v_dual_cndmask_b32 v34, v24, v48, s12
	;; [unrolled: 1-line block ×3, first 2 shown]
	s_delay_alu instid0(VALU_DEP_3)
	v_cmpx_lt_u32_e64 v22, v97
	s_cbranch_execz .LBB1225_110
; %bb.107:
	s_mov_b32 s15, 0
	s_mov_b32 s13, exec_lo
	v_cmpx_lt_u32_e64 v23, v96
	s_cbranch_execz .LBB1225_109
; %bb.108:
	v_add_f64_e32 v[24:25], 0, v[34:35]
	s_delay_alu instid0(VALU_DEP_1) | instskip(NEXT) | instid1(VALU_DEP_1)
	v_dual_add_f64 v[16:17], 0, v[54:55] :: v_dual_ashrrev_i32 v27, 31, v25
	v_ashrrev_i32_e32 v26, 31, v17
	s_delay_alu instid0(VALU_DEP_2) | instskip(NEXT) | instid1(VALU_DEP_2)
	v_or_b32_e32 v37, 0x80000000, v27
	v_or_b32_e32 v36, 0x80000000, v26
	s_delay_alu instid0(VALU_DEP_4) | instskip(SKIP_1) | instid1(VALU_DEP_4)
	v_xor_b32_e32 v16, v26, v16
	v_xor_b32_e32 v24, v27, v24
	;; [unrolled: 1-line block ×3, first 2 shown]
	s_delay_alu instid0(VALU_DEP_4) | instskip(NEXT) | instid1(VALU_DEP_1)
	v_xor_b32_e32 v17, v36, v17
	v_cmp_le_u64_e64 s7, v[16:17], v[24:25]
	s_and_b32 s15, s7, exec_lo
.LBB1225_109:
	s_or_b32 exec_lo, exec_lo, s13
	s_delay_alu instid0(SALU_CYCLE_1)
	s_or_not1_b32 s13, s15, exec_lo
.LBB1225_110:
	s_or_b32 exec_lo, exec_lo, s14
	v_dual_cndmask_b32 v16, v22, v23, s13 :: v_dual_cndmask_b32 v17, v97, v96, s13
	s_mov_b32 s15, -1
	s_mov_b32 s14, -1
	s_mov_b32 s16, exec_lo
	s_delay_alu instid0(VALU_DEP_1) | instskip(SKIP_1) | instid1(VALU_DEP_2)
	v_add_nc_u32_e32 v26, 1, v16
	v_lshl_add_u32 v16, v16, 3, v1
	v_add_min_u32_e64 v17, v17, -1, v26
	s_delay_alu instid0(VALU_DEP_1)
	v_lshl_add_u32 v17, v17, 3, v1
	ds_load_b64 v[24:25], v17
	ds_load_b64 v[16:17], v16 offset:16384
	s_wait_dscnt 0x1
	v_dual_cndmask_b32 v27, v25, v35, s13 :: v_dual_cndmask_b32 v22, v26, v22, s13
	v_cndmask_b32_e64 v65, v55, v25, s13
	v_dual_cndmask_b32 v23, v23, v26, s13 :: v_dual_cndmask_b32 v64, v54, v24, s13
	v_cndmask_b32_e64 v26, v24, v34, s13
	s_delay_alu instid0(VALU_DEP_4)
	v_cmpx_lt_u32_e64 v22, v97
	s_cbranch_execz .LBB1225_114
; %bb.111:
	s_mov_b32 s17, 0
	s_mov_b32 s14, exec_lo
	v_cmpx_lt_u32_e64 v23, v96
	s_cbranch_execz .LBB1225_113
; %bb.112:
	v_add_f64_e32 v[24:25], 0, v[64:65]
	s_delay_alu instid0(VALU_DEP_1) | instskip(NEXT) | instid1(VALU_DEP_1)
	v_dual_add_f64 v[36:37], 0, v[26:27] :: v_dual_ashrrev_i32 v38, 31, v25
	v_dual_ashrrev_i32 v39, 31, v37 :: v_dual_bitop2_b32 v24, v38, v24 bitop3:0x14
	v_or_b32_e32 v66, 0x80000000, v38
	s_delay_alu instid0(VALU_DEP_2) | instskip(NEXT) | instid1(VALU_DEP_4)
	v_or_b32_e32 v67, 0x80000000, v39
	v_xor_b32_e32 v36, v39, v36
	s_delay_alu instid0(VALU_DEP_3) | instskip(NEXT) | instid1(VALU_DEP_3)
	v_xor_b32_e32 v25, v66, v25
	v_xor_b32_e32 v37, v67, v37
	s_delay_alu instid0(VALU_DEP_1)
	v_cmp_le_u64_e64 s7, v[24:25], v[36:37]
	s_and_b32 s17, s7, exec_lo
.LBB1225_113:
	s_or_b32 exec_lo, exec_lo, s14
	s_delay_alu instid0(SALU_CYCLE_1)
	s_or_not1_b32 s14, s17, exec_lo
.LBB1225_114:
	s_or_b32 exec_lo, exec_lo, s16
	v_dual_cndmask_b32 v24, v22, v23, s14 :: v_dual_cndmask_b32 v25, v97, v96, s14
	s_mov_b32 s16, exec_lo
	s_delay_alu instid0(VALU_DEP_1) | instskip(SKIP_1) | instid1(VALU_DEP_2)
	v_add_nc_u32_e32 v37, 1, v24
	v_lshl_add_u32 v24, v24, 3, v1
	v_add_min_u32_e64 v25, v25, -1, v37
	s_delay_alu instid0(VALU_DEP_1)
	v_lshl_add_u32 v25, v25, 3, v1
	ds_load_b64 v[66:67], v25
	ds_load_b64 v[24:25], v24 offset:16384
	s_wait_dscnt 0x1
	v_dual_cndmask_b32 v39, v67, v27, s14 :: v_dual_cndmask_b32 v36, v37, v22, s14
	v_dual_cndmask_b32 v37, v23, v37, s14 :: v_dual_cndmask_b32 v38, v66, v26, s14
	;; [unrolled: 1-line block ×3, first 2 shown]
	s_delay_alu instid0(VALU_DEP_3)
	v_cmpx_lt_u32_e64 v36, v97
	s_cbranch_execz .LBB1225_118
; %bb.115:
	s_mov_b32 s17, 0
	s_mov_b32 s15, exec_lo
	v_cmpx_lt_u32_e64 v37, v96
	s_cbranch_execz .LBB1225_117
; %bb.116:
	v_add_f64_e32 v[68:69], 0, v[38:39]
	s_delay_alu instid0(VALU_DEP_1) | instskip(NEXT) | instid1(VALU_DEP_1)
	v_dual_add_f64 v[22:23], 0, v[66:67] :: v_dual_ashrrev_i32 v71, 31, v69
	v_ashrrev_i32_e32 v70, 31, v23
	s_delay_alu instid0(VALU_DEP_2) | instskip(NEXT) | instid1(VALU_DEP_2)
	v_or_b32_e32 v99, 0x80000000, v71
	v_or_b32_e32 v98, 0x80000000, v70
	v_xor_b32_e32 v68, v71, v68
	s_delay_alu instid0(VALU_DEP_3) | instskip(NEXT) | instid1(VALU_DEP_3)
	v_xor_b32_e32 v69, v99, v69
	v_xor_b32_e32 v23, v98, v23
	;; [unrolled: 1-line block ×3, first 2 shown]
	s_delay_alu instid0(VALU_DEP_1)
	v_cmp_le_u64_e64 s7, v[22:23], v[68:69]
	s_and_b32 s17, s7, exec_lo
.LBB1225_117:
	s_or_b32 exec_lo, exec_lo, s15
	s_delay_alu instid0(SALU_CYCLE_1)
	s_or_not1_b32 s15, s17, exec_lo
.LBB1225_118:
	s_or_b32 exec_lo, exec_lo, s16
	v_dual_cndmask_b32 v22, v36, v37, s15 :: v_dual_cndmask_b32 v23, v97, v96, s15
	s_mov_b32 s16, -1
	s_mov_b32 s17, exec_lo
	s_delay_alu instid0(VALU_DEP_1) | instskip(SKIP_1) | instid1(VALU_DEP_2)
	v_add_nc_u32_e32 v68, 1, v22
	v_lshl_add_u32 v22, v22, 3, v1
	v_add_min_u32_e64 v23, v23, -1, v68
	s_delay_alu instid0(VALU_DEP_1)
	v_lshl_add_u32 v23, v23, 3, v1
	ds_load_b64 v[70:71], v23
	ds_load_b64 v[22:23], v22 offset:16384
	s_wait_dscnt 0x1
	v_dual_cndmask_b32 v69, v71, v39, s15 :: v_dual_cndmask_b32 v36, v68, v36, s15
	v_dual_cndmask_b32 v37, v37, v68, s15 :: v_dual_cndmask_b32 v71, v67, v71, s15
	v_cndmask_b32_e64 v68, v70, v38, s15
	v_cndmask_b32_e64 v70, v66, v70, s15
	s_delay_alu instid0(VALU_DEP_4)
	v_cmpx_lt_u32_e64 v36, v97
	s_cbranch_execz .LBB1225_122
; %bb.119:
	s_mov_b32 s18, 0
	s_mov_b32 s16, exec_lo
	v_cmpx_lt_u32_e64 v37, v96
	s_cbranch_execz .LBB1225_121
; %bb.120:
	v_add_f64_e32 v[96:97], 0, v[70:71]
	v_add_f64_e32 v[98:99], 0, v[68:69]
	s_delay_alu instid0(VALU_DEP_1) | instskip(NEXT) | instid1(VALU_DEP_1)
	v_dual_ashrrev_i32 v100, 31, v97 :: v_dual_ashrrev_i32 v101, 31, v99
	v_or_b32_e32 v102, 0x80000000, v100
	s_delay_alu instid0(VALU_DEP_2) | instskip(SKIP_2) | instid1(VALU_DEP_4)
	v_or_b32_e32 v103, 0x80000000, v101
	v_xor_b32_e32 v96, v100, v96
	v_xor_b32_e32 v98, v101, v98
	;; [unrolled: 1-line block ×3, first 2 shown]
	s_delay_alu instid0(VALU_DEP_4) | instskip(NEXT) | instid1(VALU_DEP_1)
	v_xor_b32_e32 v99, v103, v99
	v_cmp_le_u64_e64 s7, v[96:97], v[98:99]
	s_and_b32 s18, s7, exec_lo
.LBB1225_121:
	s_or_b32 exec_lo, exec_lo, s16
	s_delay_alu instid0(SALU_CYCLE_1)
	s_or_not1_b32 s16, s18, exec_lo
.LBB1225_122:
	s_or_b32 exec_lo, exec_lo, s17
	v_dual_cndmask_b32 v36, v36, v37, s16 :: v_dual_cndmask_b32 v39, v39, v67, s15
	v_dual_cndmask_b32 v38, v38, v66, s15 :: v_dual_cndmask_b32 v27, v27, v65, s14
	;; [unrolled: 1-line block ×3, first 2 shown]
	s_delay_alu instid0(VALU_DEP_3)
	v_lshl_add_u32 v36, v36, 3, v1
	v_dual_cndmask_b32 v34, v34, v54, s13 :: v_dual_cndmask_b32 v49, v49, v53, s12
	v_dual_cndmask_b32 v48, v48, v52, s12 :: v_dual_cndmask_b32 v33, v33, v51, s11
	ds_load_b64 v[36:37], v36 offset:16384
	v_dual_cndmask_b32 v32, v32, v50, s11 :: v_dual_cndmask_b32 v29, v29, v31, s8
	v_dual_cndmask_b32 v28, v28, v30, s8 :: v_dual_cndmask_b32 v19, v21, v19, s10
	;; [unrolled: 1-line block ×3, first 2 shown]
	v_cndmask_b32_e64 v20, v68, v70, s16
.LBB1225_123:
	s_or_b32 exec_lo, exec_lo, s9
	v_and_b32_e32 v50, 0xe0, v81
	s_mov_b32 s8, exec_lo
	; wave barrier
	ds_store_2addr_b64 v82, v[18:19], v[28:29] offset1:1
	ds_store_2addr_b64 v82, v[32:33], v[48:49] offset0:2 offset1:3
	v_or_b32_e32 v30, 16, v50
	ds_store_2addr_b64 v84, v[4:5], v[10:11] offset1:1
	ds_store_2addr_b64 v85, v[12:13], v[14:15] offset1:1
	ds_store_2addr_b64 v82, v[34:35], v[26:27] offset0:4 offset1:5
	ds_store_2addr_b64 v82, v[38:39], v[20:21] offset0:6 offset1:7
	ds_store_2addr_b64 v86, v[16:17], v[24:25] offset1:1
	s_wait_dscnt 0x7
	ds_store_2addr_b64 v87, v[22:23], v[36:37] offset1:1
	; wave barrier
	v_min_u32_e32 v96, v83, v30
	v_and_b32_e32 v30, 24, v81
	s_delay_alu instid0(VALU_DEP_2) | instskip(NEXT) | instid1(VALU_DEP_2)
	v_add_min_u32_e64 v97, v96, 16, v83
	v_min_u32_e32 v51, v83, v30
	s_delay_alu instid0(VALU_DEP_2) | instskip(NEXT) | instid1(VALU_DEP_1)
	v_dual_sub_nc_u32 v30, v96, v50 :: v_dual_sub_nc_u32 v31, v97, v96
	v_min_u32_e32 v52, v51, v30
	s_delay_alu instid0(VALU_DEP_2) | instskip(SKIP_1) | instid1(VALU_DEP_2)
	v_sub_nc_u32_e64 v30, v51, v31 clamp
	v_lshl_add_u32 v31, v50, 3, v1
	v_cmpx_lt_u32_e64 v30, v52
	s_cbranch_execz .LBB1225_127
; %bb.124:
	v_dual_lshlrev_b32 v53, 3, v96 :: v_dual_lshlrev_b32 v54, 3, v51
	s_mov_b32 s9, 0
	s_delay_alu instid0(VALU_DEP_1)
	v_add3_u32 v53, v1, v53, v54
.LBB1225_125:                           ; =>This Inner Loop Header: Depth=1
	v_add_nc_u32_e32 v54, v52, v30
	s_delay_alu instid0(VALU_DEP_1) | instskip(NEXT) | instid1(VALU_DEP_1)
	v_lshrrev_b32_e32 v66, 1, v54
	v_not_b32_e32 v54, v66
	v_lshl_add_u32 v55, v66, 3, v31
	s_delay_alu instid0(VALU_DEP_2) | instskip(SKIP_4) | instid1(VALU_DEP_1)
	v_lshl_add_u32 v64, v54, 3, v53
	ds_load_b64 v[54:55], v55
	ds_load_b64 v[64:65], v64
	s_wait_dscnt 0x0
	v_add_f64_e32 v[64:65], 0, v[64:65]
	v_dual_add_f64 v[54:55], 0, v[54:55] :: v_dual_ashrrev_i32 v68, 31, v65
	s_delay_alu instid0(VALU_DEP_1) | instskip(NEXT) | instid1(VALU_DEP_2)
	v_ashrrev_i32_e32 v67, 31, v55
	v_or_b32_e32 v70, 0x80000000, v68
	s_delay_alu instid0(VALU_DEP_2) | instskip(NEXT) | instid1(VALU_DEP_4)
	v_or_b32_e32 v69, 0x80000000, v67
	v_xor_b32_e32 v54, v67, v54
	v_xor_b32_e32 v64, v68, v64
	s_delay_alu instid0(VALU_DEP_4) | instskip(NEXT) | instid1(VALU_DEP_4)
	v_xor_b32_e32 v65, v70, v65
	v_xor_b32_e32 v55, v69, v55
	s_delay_alu instid0(VALU_DEP_1) | instskip(NEXT) | instid1(VALU_DEP_1)
	v_cmp_gt_u64_e64 s7, v[54:55], v[64:65]
	v_dual_add_nc_u32 v54, 1, v66 :: v_dual_cndmask_b32 v52, v52, v66, s7
	s_delay_alu instid0(VALU_DEP_1) | instskip(NEXT) | instid1(VALU_DEP_1)
	v_cndmask_b32_e64 v30, v54, v30, s7
	v_cmp_ge_u32_e64 s7, v30, v52
	s_or_b32 s9, s7, s9
	s_delay_alu instid0(SALU_CYCLE_1)
	s_and_not1_b32 exec_lo, exec_lo, s9
	s_cbranch_execnz .LBB1225_125
; %bb.126:
	s_or_b32 exec_lo, exec_lo, s9
.LBB1225_127:
	s_delay_alu instid0(SALU_CYCLE_1) | instskip(SKIP_1) | instid1(VALU_DEP_1)
	s_or_b32 exec_lo, exec_lo, s8
	v_dual_add_nc_u32 v51, v96, v51 :: v_dual_add_nc_u32 v50, v30, v50
	v_sub_nc_u32_e32 v51, v51, v30
	s_delay_alu instid0(VALU_DEP_2) | instskip(NEXT) | instid1(VALU_DEP_2)
	v_cmp_le_u32_e64 s7, v50, v96
	v_cmp_le_u32_e64 s8, v51, v97
	s_or_b32 s7, s7, s8
	s_delay_alu instid0(SALU_CYCLE_1)
	s_and_saveexec_b32 s9, s7
	s_cbranch_execz .LBB1225_163
; %bb.128:
	v_cmp_ge_u32_e64 s7, v50, v96
	s_mov_b32 s10, exec_lo
                                        ; implicit-def: $vgpr18_vgpr19
	v_cmpx_lt_u32_e64 v50, v96
; %bb.129:
	v_lshl_add_u32 v4, v30, 3, v31
	ds_load_b64 v[18:19], v4
; %bb.130:
	s_or_b32 exec_lo, exec_lo, s10
	v_cmp_ge_u32_e64 s10, v51, v97
	s_mov_b32 s11, exec_lo
                                        ; implicit-def: $vgpr20_vgpr21
	v_cmpx_lt_u32_e64 v51, v97
; %bb.131:
	v_lshl_add_u32 v4, v51, 3, v1
	ds_load_b64 v[20:21], v4
; %bb.132:
	s_or_b32 exec_lo, exec_lo, s11
	s_nor_b32 s7, s7, s10
	s_delay_alu instid0(SALU_CYCLE_1)
	s_and_saveexec_b32 s8, s7
	s_cbranch_execz .LBB1225_134
; %bb.133:
	s_wait_dscnt 0x0
	v_add_f64_e32 v[4:5], 0, v[18:19]
	v_add_f64_e32 v[10:11], 0, v[20:21]
	s_and_not1_b32 s10, s10, exec_lo
	s_delay_alu instid0(VALU_DEP_1) | instskip(NEXT) | instid1(VALU_DEP_1)
	v_dual_ashrrev_i32 v12, 31, v5 :: v_dual_ashrrev_i32 v13, 31, v11
	v_or_b32_e32 v14, 0x80000000, v12
	s_delay_alu instid0(VALU_DEP_2) | instskip(SKIP_2) | instid1(VALU_DEP_4)
	v_or_b32_e32 v15, 0x80000000, v13
	v_xor_b32_e32 v4, v12, v4
	v_xor_b32_e32 v10, v13, v10
	;; [unrolled: 1-line block ×3, first 2 shown]
	s_delay_alu instid0(VALU_DEP_4) | instskip(NEXT) | instid1(VALU_DEP_1)
	v_xor_b32_e32 v11, v15, v11
	v_cmp_le_u64_e64 s7, v[4:5], v[10:11]
	s_and_b32 s7, s7, exec_lo
	s_delay_alu instid0(SALU_CYCLE_1)
	s_or_b32 s10, s10, s7
.LBB1225_134:
	s_or_b32 exec_lo, exec_lo, s8
	v_dual_cndmask_b32 v4, v51, v50, s10 :: v_dual_cndmask_b32 v5, v97, v96, s10
	s_mov_b32 s11, -1
	s_mov_b32 s8, -1
	s_mov_b32 s12, exec_lo
	s_delay_alu instid0(VALU_DEP_1) | instskip(SKIP_1) | instid1(VALU_DEP_2)
	v_add_nc_u32_e32 v13, 1, v4
	v_lshl_add_u32 v4, v4, 3, v1
	v_add_min_u32_e64 v5, v5, -1, v13
	s_delay_alu instid0(VALU_DEP_1)
	v_lshl_add_u32 v5, v5, 3, v1
	ds_load_b64 v[10:11], v5
	ds_load_b64 v[4:5], v4 offset:16384
	s_wait_dscnt 0x1
	v_dual_cndmask_b32 v29, v11, v21, s10 :: v_dual_cndmask_b32 v12, v13, v51, s10
	v_cndmask_b32_e64 v13, v50, v13, s10
	v_dual_cndmask_b32 v28, v10, v20, s10 :: v_dual_cndmask_b32 v31, v19, v11, s10
	v_cndmask_b32_e64 v30, v18, v10, s10
	s_delay_alu instid0(VALU_DEP_4)
	v_cmpx_lt_u32_e64 v12, v97
	s_cbranch_execz .LBB1225_138
; %bb.135:
	s_mov_b32 s13, 0
	s_mov_b32 s8, exec_lo
	v_cmpx_lt_u32_e64 v13, v96
	s_cbranch_execz .LBB1225_137
; %bb.136:
	v_add_f64_e32 v[10:11], 0, v[30:31]
	s_delay_alu instid0(VALU_DEP_1) | instskip(NEXT) | instid1(VALU_DEP_1)
	v_dual_add_f64 v[14:15], 0, v[28:29] :: v_dual_ashrrev_i32 v16, 31, v11
	v_dual_ashrrev_i32 v17, 31, v15 :: v_dual_bitop2_b32 v10, v16, v10 bitop3:0x14
	v_or_b32_e32 v22, 0x80000000, v16
	s_delay_alu instid0(VALU_DEP_2) | instskip(NEXT) | instid1(VALU_DEP_4)
	v_or_b32_e32 v23, 0x80000000, v17
	v_xor_b32_e32 v14, v17, v14
	s_delay_alu instid0(VALU_DEP_3) | instskip(NEXT) | instid1(VALU_DEP_3)
	v_xor_b32_e32 v11, v22, v11
	v_xor_b32_e32 v15, v23, v15
	s_delay_alu instid0(VALU_DEP_1)
	v_cmp_le_u64_e64 s7, v[10:11], v[14:15]
	s_and_b32 s13, s7, exec_lo
.LBB1225_137:
	s_or_b32 exec_lo, exec_lo, s8
	s_delay_alu instid0(SALU_CYCLE_1)
	s_or_not1_b32 s8, s13, exec_lo
.LBB1225_138:
	s_or_b32 exec_lo, exec_lo, s12
	v_dual_cndmask_b32 v10, v12, v13, s8 :: v_dual_cndmask_b32 v11, v97, v96, s8
	s_mov_b32 s12, exec_lo
	s_delay_alu instid0(VALU_DEP_1) | instskip(SKIP_1) | instid1(VALU_DEP_2)
	v_add_nc_u32_e32 v15, 1, v10
	v_lshl_add_u32 v10, v10, 3, v1
	v_add_min_u32_e64 v11, v11, -1, v15
	s_delay_alu instid0(VALU_DEP_1)
	v_lshl_add_u32 v11, v11, 3, v1
	ds_load_b64 v[16:17], v11
	ds_load_b64 v[10:11], v10 offset:16384
	s_wait_dscnt 0x1
	v_dual_cndmask_b32 v33, v17, v29, s8 :: v_dual_cndmask_b32 v14, v15, v12, s8
	v_dual_cndmask_b32 v15, v13, v15, s8 :: v_dual_cndmask_b32 v32, v16, v28, s8
	;; [unrolled: 1-line block ×3, first 2 shown]
	s_delay_alu instid0(VALU_DEP_3)
	v_cmpx_lt_u32_e64 v14, v97
	s_cbranch_execz .LBB1225_142
; %bb.139:
	s_mov_b32 s13, 0
	s_mov_b32 s11, exec_lo
	v_cmpx_lt_u32_e64 v15, v96
	s_cbranch_execz .LBB1225_141
; %bb.140:
	v_add_f64_e32 v[16:17], 0, v[32:33]
	s_delay_alu instid0(VALU_DEP_1) | instskip(NEXT) | instid1(VALU_DEP_1)
	v_dual_add_f64 v[12:13], 0, v[50:51] :: v_dual_ashrrev_i32 v23, 31, v17
	v_ashrrev_i32_e32 v22, 31, v13
	s_delay_alu instid0(VALU_DEP_2) | instskip(NEXT) | instid1(VALU_DEP_2)
	v_or_b32_e32 v25, 0x80000000, v23
	v_or_b32_e32 v24, 0x80000000, v22
	v_xor_b32_e32 v16, v23, v16
	s_delay_alu instid0(VALU_DEP_3) | instskip(NEXT) | instid1(VALU_DEP_3)
	v_xor_b32_e32 v17, v25, v17
	v_xor_b32_e32 v13, v24, v13
	;; [unrolled: 1-line block ×3, first 2 shown]
	s_delay_alu instid0(VALU_DEP_1)
	v_cmp_le_u64_e64 s7, v[12:13], v[16:17]
	s_and_b32 s13, s7, exec_lo
.LBB1225_141:
	s_or_b32 exec_lo, exec_lo, s11
	s_delay_alu instid0(SALU_CYCLE_1)
	s_or_not1_b32 s11, s13, exec_lo
.LBB1225_142:
	s_or_b32 exec_lo, exec_lo, s12
	v_dual_cndmask_b32 v12, v14, v15, s11 :: v_dual_cndmask_b32 v13, v97, v96, s11
	s_mov_b32 s13, -1
	s_mov_b32 s12, -1
	s_mov_b32 s14, exec_lo
	s_delay_alu instid0(VALU_DEP_1) | instskip(SKIP_1) | instid1(VALU_DEP_2)
	v_add_nc_u32_e32 v17, 1, v12
	v_lshl_add_u32 v12, v12, 3, v1
	v_add_min_u32_e64 v13, v13, -1, v17
	s_delay_alu instid0(VALU_DEP_1)
	v_lshl_add_u32 v13, v13, 3, v1
	ds_load_b64 v[22:23], v13
	ds_load_b64 v[12:13], v12 offset:16384
	s_wait_dscnt 0x1
	v_dual_cndmask_b32 v49, v23, v33, s11 :: v_dual_cndmask_b32 v16, v17, v14, s11
	v_dual_cndmask_b32 v17, v15, v17, s11 :: v_dual_cndmask_b32 v48, v22, v32, s11
	;; [unrolled: 1-line block ×3, first 2 shown]
	s_delay_alu instid0(VALU_DEP_3)
	v_cmpx_lt_u32_e64 v16, v97
	s_cbranch_execz .LBB1225_146
; %bb.143:
	s_mov_b32 s15, 0
	s_mov_b32 s12, exec_lo
	v_cmpx_lt_u32_e64 v17, v96
	s_cbranch_execz .LBB1225_145
; %bb.144:
	v_add_f64_e32 v[22:23], 0, v[48:49]
	s_delay_alu instid0(VALU_DEP_1) | instskip(NEXT) | instid1(VALU_DEP_1)
	v_dual_add_f64 v[14:15], 0, v[52:53] :: v_dual_ashrrev_i32 v25, 31, v23
	v_ashrrev_i32_e32 v24, 31, v15
	s_delay_alu instid0(VALU_DEP_2) | instskip(NEXT) | instid1(VALU_DEP_2)
	v_or_b32_e32 v27, 0x80000000, v25
	v_or_b32_e32 v26, 0x80000000, v24
	s_delay_alu instid0(VALU_DEP_4) | instskip(SKIP_1) | instid1(VALU_DEP_4)
	v_xor_b32_e32 v14, v24, v14
	v_xor_b32_e32 v22, v25, v22
	v_xor_b32_e32 v23, v27, v23
	s_delay_alu instid0(VALU_DEP_4) | instskip(NEXT) | instid1(VALU_DEP_1)
	v_xor_b32_e32 v15, v26, v15
	v_cmp_le_u64_e64 s7, v[14:15], v[22:23]
	s_and_b32 s15, s7, exec_lo
.LBB1225_145:
	s_or_b32 exec_lo, exec_lo, s12
	s_delay_alu instid0(SALU_CYCLE_1)
	s_or_not1_b32 s12, s15, exec_lo
.LBB1225_146:
	s_or_b32 exec_lo, exec_lo, s14
	v_dual_cndmask_b32 v14, v16, v17, s12 :: v_dual_cndmask_b32 v15, v97, v96, s12
	s_mov_b32 s14, exec_lo
	s_delay_alu instid0(VALU_DEP_1) | instskip(SKIP_1) | instid1(VALU_DEP_2)
	v_add_nc_u32_e32 v23, 1, v14
	v_lshl_add_u32 v14, v14, 3, v1
	v_add_min_u32_e64 v15, v15, -1, v23
	s_delay_alu instid0(VALU_DEP_1)
	v_lshl_add_u32 v15, v15, 3, v1
	ds_load_b64 v[24:25], v15
	ds_load_b64 v[14:15], v14 offset:16384
	s_wait_dscnt 0x1
	v_dual_cndmask_b32 v35, v25, v49, s12 :: v_dual_cndmask_b32 v22, v23, v16, s12
	v_dual_cndmask_b32 v23, v17, v23, s12 :: v_dual_cndmask_b32 v34, v24, v48, s12
	;; [unrolled: 1-line block ×3, first 2 shown]
	s_delay_alu instid0(VALU_DEP_3)
	v_cmpx_lt_u32_e64 v22, v97
	s_cbranch_execz .LBB1225_150
; %bb.147:
	s_mov_b32 s15, 0
	s_mov_b32 s13, exec_lo
	v_cmpx_lt_u32_e64 v23, v96
	s_cbranch_execz .LBB1225_149
; %bb.148:
	v_add_f64_e32 v[24:25], 0, v[34:35]
	s_delay_alu instid0(VALU_DEP_1) | instskip(NEXT) | instid1(VALU_DEP_1)
	v_dual_add_f64 v[16:17], 0, v[54:55] :: v_dual_ashrrev_i32 v27, 31, v25
	v_ashrrev_i32_e32 v26, 31, v17
	s_delay_alu instid0(VALU_DEP_2) | instskip(NEXT) | instid1(VALU_DEP_2)
	v_or_b32_e32 v37, 0x80000000, v27
	v_or_b32_e32 v36, 0x80000000, v26
	s_delay_alu instid0(VALU_DEP_4) | instskip(SKIP_1) | instid1(VALU_DEP_4)
	v_xor_b32_e32 v16, v26, v16
	v_xor_b32_e32 v24, v27, v24
	;; [unrolled: 1-line block ×3, first 2 shown]
	s_delay_alu instid0(VALU_DEP_4) | instskip(NEXT) | instid1(VALU_DEP_1)
	v_xor_b32_e32 v17, v36, v17
	v_cmp_le_u64_e64 s7, v[16:17], v[24:25]
	s_and_b32 s15, s7, exec_lo
.LBB1225_149:
	s_or_b32 exec_lo, exec_lo, s13
	s_delay_alu instid0(SALU_CYCLE_1)
	s_or_not1_b32 s13, s15, exec_lo
.LBB1225_150:
	s_or_b32 exec_lo, exec_lo, s14
	v_dual_cndmask_b32 v16, v22, v23, s13 :: v_dual_cndmask_b32 v17, v97, v96, s13
	s_mov_b32 s15, -1
	s_mov_b32 s14, -1
	s_mov_b32 s16, exec_lo
	s_delay_alu instid0(VALU_DEP_1) | instskip(SKIP_1) | instid1(VALU_DEP_2)
	v_add_nc_u32_e32 v26, 1, v16
	v_lshl_add_u32 v16, v16, 3, v1
	v_add_min_u32_e64 v17, v17, -1, v26
	s_delay_alu instid0(VALU_DEP_1)
	v_lshl_add_u32 v17, v17, 3, v1
	ds_load_b64 v[24:25], v17
	ds_load_b64 v[16:17], v16 offset:16384
	s_wait_dscnt 0x1
	v_dual_cndmask_b32 v27, v25, v35, s13 :: v_dual_cndmask_b32 v22, v26, v22, s13
	v_cndmask_b32_e64 v65, v55, v25, s13
	v_dual_cndmask_b32 v23, v23, v26, s13 :: v_dual_cndmask_b32 v64, v54, v24, s13
	v_cndmask_b32_e64 v26, v24, v34, s13
	s_delay_alu instid0(VALU_DEP_4)
	v_cmpx_lt_u32_e64 v22, v97
	s_cbranch_execz .LBB1225_154
; %bb.151:
	s_mov_b32 s17, 0
	s_mov_b32 s14, exec_lo
	v_cmpx_lt_u32_e64 v23, v96
	s_cbranch_execz .LBB1225_153
; %bb.152:
	v_add_f64_e32 v[24:25], 0, v[64:65]
	s_delay_alu instid0(VALU_DEP_1) | instskip(NEXT) | instid1(VALU_DEP_1)
	v_dual_add_f64 v[36:37], 0, v[26:27] :: v_dual_ashrrev_i32 v38, 31, v25
	v_dual_ashrrev_i32 v39, 31, v37 :: v_dual_bitop2_b32 v24, v38, v24 bitop3:0x14
	v_or_b32_e32 v66, 0x80000000, v38
	s_delay_alu instid0(VALU_DEP_2) | instskip(NEXT) | instid1(VALU_DEP_4)
	v_or_b32_e32 v67, 0x80000000, v39
	v_xor_b32_e32 v36, v39, v36
	s_delay_alu instid0(VALU_DEP_3) | instskip(NEXT) | instid1(VALU_DEP_3)
	v_xor_b32_e32 v25, v66, v25
	v_xor_b32_e32 v37, v67, v37
	s_delay_alu instid0(VALU_DEP_1)
	v_cmp_le_u64_e64 s7, v[24:25], v[36:37]
	s_and_b32 s17, s7, exec_lo
.LBB1225_153:
	s_or_b32 exec_lo, exec_lo, s14
	s_delay_alu instid0(SALU_CYCLE_1)
	s_or_not1_b32 s14, s17, exec_lo
.LBB1225_154:
	s_or_b32 exec_lo, exec_lo, s16
	v_dual_cndmask_b32 v24, v22, v23, s14 :: v_dual_cndmask_b32 v25, v97, v96, s14
	s_mov_b32 s16, exec_lo
	s_delay_alu instid0(VALU_DEP_1) | instskip(SKIP_1) | instid1(VALU_DEP_2)
	v_add_nc_u32_e32 v37, 1, v24
	v_lshl_add_u32 v24, v24, 3, v1
	v_add_min_u32_e64 v25, v25, -1, v37
	s_delay_alu instid0(VALU_DEP_1)
	v_lshl_add_u32 v25, v25, 3, v1
	ds_load_b64 v[66:67], v25
	ds_load_b64 v[24:25], v24 offset:16384
	s_wait_dscnt 0x1
	v_dual_cndmask_b32 v39, v67, v27, s14 :: v_dual_cndmask_b32 v36, v37, v22, s14
	v_dual_cndmask_b32 v37, v23, v37, s14 :: v_dual_cndmask_b32 v38, v66, v26, s14
	;; [unrolled: 1-line block ×3, first 2 shown]
	s_delay_alu instid0(VALU_DEP_3)
	v_cmpx_lt_u32_e64 v36, v97
	s_cbranch_execz .LBB1225_158
; %bb.155:
	s_mov_b32 s17, 0
	s_mov_b32 s15, exec_lo
	v_cmpx_lt_u32_e64 v37, v96
	s_cbranch_execz .LBB1225_157
; %bb.156:
	v_add_f64_e32 v[68:69], 0, v[38:39]
	s_delay_alu instid0(VALU_DEP_1) | instskip(NEXT) | instid1(VALU_DEP_1)
	v_dual_add_f64 v[22:23], 0, v[66:67] :: v_dual_ashrrev_i32 v71, 31, v69
	v_ashrrev_i32_e32 v70, 31, v23
	s_delay_alu instid0(VALU_DEP_2) | instskip(NEXT) | instid1(VALU_DEP_2)
	v_or_b32_e32 v99, 0x80000000, v71
	v_or_b32_e32 v98, 0x80000000, v70
	v_xor_b32_e32 v68, v71, v68
	s_delay_alu instid0(VALU_DEP_3) | instskip(NEXT) | instid1(VALU_DEP_3)
	v_xor_b32_e32 v69, v99, v69
	v_xor_b32_e32 v23, v98, v23
	v_xor_b32_e32 v22, v70, v22
	s_delay_alu instid0(VALU_DEP_1)
	v_cmp_le_u64_e64 s7, v[22:23], v[68:69]
	s_and_b32 s17, s7, exec_lo
.LBB1225_157:
	s_or_b32 exec_lo, exec_lo, s15
	s_delay_alu instid0(SALU_CYCLE_1)
	s_or_not1_b32 s15, s17, exec_lo
.LBB1225_158:
	s_or_b32 exec_lo, exec_lo, s16
	v_dual_cndmask_b32 v22, v36, v37, s15 :: v_dual_cndmask_b32 v23, v97, v96, s15
	s_mov_b32 s16, -1
	s_mov_b32 s17, exec_lo
	s_delay_alu instid0(VALU_DEP_1) | instskip(SKIP_1) | instid1(VALU_DEP_2)
	v_add_nc_u32_e32 v68, 1, v22
	v_lshl_add_u32 v22, v22, 3, v1
	v_add_min_u32_e64 v23, v23, -1, v68
	s_delay_alu instid0(VALU_DEP_1)
	v_lshl_add_u32 v23, v23, 3, v1
	ds_load_b64 v[70:71], v23
	ds_load_b64 v[22:23], v22 offset:16384
	s_wait_dscnt 0x1
	v_dual_cndmask_b32 v69, v71, v39, s15 :: v_dual_cndmask_b32 v36, v68, v36, s15
	v_dual_cndmask_b32 v37, v37, v68, s15 :: v_dual_cndmask_b32 v71, v67, v71, s15
	v_cndmask_b32_e64 v68, v70, v38, s15
	v_cndmask_b32_e64 v70, v66, v70, s15
	s_delay_alu instid0(VALU_DEP_4)
	v_cmpx_lt_u32_e64 v36, v97
	s_cbranch_execz .LBB1225_162
; %bb.159:
	s_mov_b32 s18, 0
	s_mov_b32 s16, exec_lo
	v_cmpx_lt_u32_e64 v37, v96
	s_cbranch_execz .LBB1225_161
; %bb.160:
	v_add_f64_e32 v[96:97], 0, v[70:71]
	v_add_f64_e32 v[98:99], 0, v[68:69]
	s_delay_alu instid0(VALU_DEP_1) | instskip(NEXT) | instid1(VALU_DEP_1)
	v_dual_ashrrev_i32 v100, 31, v97 :: v_dual_ashrrev_i32 v101, 31, v99
	v_or_b32_e32 v102, 0x80000000, v100
	s_delay_alu instid0(VALU_DEP_2) | instskip(SKIP_2) | instid1(VALU_DEP_4)
	v_or_b32_e32 v103, 0x80000000, v101
	v_xor_b32_e32 v96, v100, v96
	v_xor_b32_e32 v98, v101, v98
	;; [unrolled: 1-line block ×3, first 2 shown]
	s_delay_alu instid0(VALU_DEP_4) | instskip(NEXT) | instid1(VALU_DEP_1)
	v_xor_b32_e32 v99, v103, v99
	v_cmp_le_u64_e64 s7, v[96:97], v[98:99]
	s_and_b32 s18, s7, exec_lo
.LBB1225_161:
	s_or_b32 exec_lo, exec_lo, s16
	s_delay_alu instid0(SALU_CYCLE_1)
	s_or_not1_b32 s16, s18, exec_lo
.LBB1225_162:
	s_or_b32 exec_lo, exec_lo, s17
	v_dual_cndmask_b32 v36, v36, v37, s16 :: v_dual_cndmask_b32 v39, v39, v67, s15
	v_dual_cndmask_b32 v38, v38, v66, s15 :: v_dual_cndmask_b32 v27, v27, v65, s14
	;; [unrolled: 1-line block ×3, first 2 shown]
	s_delay_alu instid0(VALU_DEP_3)
	v_lshl_add_u32 v36, v36, 3, v1
	v_dual_cndmask_b32 v34, v34, v54, s13 :: v_dual_cndmask_b32 v49, v49, v53, s12
	v_dual_cndmask_b32 v48, v48, v52, s12 :: v_dual_cndmask_b32 v33, v33, v51, s11
	ds_load_b64 v[36:37], v36 offset:16384
	v_dual_cndmask_b32 v32, v32, v50, s11 :: v_dual_cndmask_b32 v29, v29, v31, s8
	v_dual_cndmask_b32 v28, v28, v30, s8 :: v_dual_cndmask_b32 v19, v21, v19, s10
	;; [unrolled: 1-line block ×3, first 2 shown]
	v_cndmask_b32_e64 v20, v68, v70, s16
.LBB1225_163:
	s_or_b32 exec_lo, exec_lo, s9
	v_and_b32_e32 v50, 0xc0, v81
	s_mov_b32 s8, exec_lo
	; wave barrier
	ds_store_2addr_b64 v82, v[18:19], v[28:29] offset1:1
	ds_store_2addr_b64 v82, v[32:33], v[48:49] offset0:2 offset1:3
	v_or_b32_e32 v30, 32, v50
	ds_store_2addr_b64 v84, v[4:5], v[10:11] offset1:1
	ds_store_2addr_b64 v85, v[12:13], v[14:15] offset1:1
	ds_store_2addr_b64 v82, v[34:35], v[26:27] offset0:4 offset1:5
	ds_store_2addr_b64 v82, v[38:39], v[20:21] offset0:6 offset1:7
	ds_store_2addr_b64 v86, v[16:17], v[24:25] offset1:1
	s_wait_dscnt 0x7
	ds_store_2addr_b64 v87, v[22:23], v[36:37] offset1:1
	; wave barrier
	v_min_u32_e32 v96, v83, v30
	v_and_b32_e32 v30, 56, v81
	s_delay_alu instid0(VALU_DEP_2) | instskip(NEXT) | instid1(VALU_DEP_2)
	v_add_min_u32_e64 v97, v96, 32, v83
	v_min_u32_e32 v51, v83, v30
	s_delay_alu instid0(VALU_DEP_2) | instskip(NEXT) | instid1(VALU_DEP_1)
	v_dual_sub_nc_u32 v30, v96, v50 :: v_dual_sub_nc_u32 v31, v97, v96
	v_min_u32_e32 v52, v51, v30
	s_delay_alu instid0(VALU_DEP_2) | instskip(SKIP_1) | instid1(VALU_DEP_2)
	v_sub_nc_u32_e64 v30, v51, v31 clamp
	v_lshl_add_u32 v31, v50, 3, v1
	v_cmpx_lt_u32_e64 v30, v52
	s_cbranch_execz .LBB1225_167
; %bb.164:
	v_dual_lshlrev_b32 v53, 3, v96 :: v_dual_lshlrev_b32 v54, 3, v51
	s_mov_b32 s9, 0
	s_delay_alu instid0(VALU_DEP_1)
	v_add3_u32 v53, v1, v53, v54
.LBB1225_165:                           ; =>This Inner Loop Header: Depth=1
	v_add_nc_u32_e32 v54, v52, v30
	s_delay_alu instid0(VALU_DEP_1) | instskip(NEXT) | instid1(VALU_DEP_1)
	v_lshrrev_b32_e32 v66, 1, v54
	v_not_b32_e32 v54, v66
	v_lshl_add_u32 v55, v66, 3, v31
	s_delay_alu instid0(VALU_DEP_2) | instskip(SKIP_4) | instid1(VALU_DEP_1)
	v_lshl_add_u32 v64, v54, 3, v53
	ds_load_b64 v[54:55], v55
	ds_load_b64 v[64:65], v64
	s_wait_dscnt 0x0
	v_add_f64_e32 v[64:65], 0, v[64:65]
	v_dual_add_f64 v[54:55], 0, v[54:55] :: v_dual_ashrrev_i32 v68, 31, v65
	s_delay_alu instid0(VALU_DEP_1) | instskip(NEXT) | instid1(VALU_DEP_2)
	v_ashrrev_i32_e32 v67, 31, v55
	v_or_b32_e32 v70, 0x80000000, v68
	s_delay_alu instid0(VALU_DEP_2) | instskip(NEXT) | instid1(VALU_DEP_4)
	v_or_b32_e32 v69, 0x80000000, v67
	v_xor_b32_e32 v54, v67, v54
	v_xor_b32_e32 v64, v68, v64
	s_delay_alu instid0(VALU_DEP_4) | instskip(NEXT) | instid1(VALU_DEP_4)
	v_xor_b32_e32 v65, v70, v65
	v_xor_b32_e32 v55, v69, v55
	s_delay_alu instid0(VALU_DEP_1) | instskip(NEXT) | instid1(VALU_DEP_1)
	v_cmp_gt_u64_e64 s7, v[54:55], v[64:65]
	v_dual_add_nc_u32 v54, 1, v66 :: v_dual_cndmask_b32 v52, v52, v66, s7
	s_delay_alu instid0(VALU_DEP_1) | instskip(NEXT) | instid1(VALU_DEP_1)
	v_cndmask_b32_e64 v30, v54, v30, s7
	v_cmp_ge_u32_e64 s7, v30, v52
	s_or_b32 s9, s7, s9
	s_delay_alu instid0(SALU_CYCLE_1)
	s_and_not1_b32 exec_lo, exec_lo, s9
	s_cbranch_execnz .LBB1225_165
; %bb.166:
	s_or_b32 exec_lo, exec_lo, s9
.LBB1225_167:
	s_delay_alu instid0(SALU_CYCLE_1) | instskip(SKIP_1) | instid1(VALU_DEP_1)
	s_or_b32 exec_lo, exec_lo, s8
	v_dual_add_nc_u32 v51, v96, v51 :: v_dual_add_nc_u32 v50, v30, v50
	v_sub_nc_u32_e32 v51, v51, v30
	s_delay_alu instid0(VALU_DEP_2) | instskip(NEXT) | instid1(VALU_DEP_2)
	v_cmp_le_u32_e64 s7, v50, v96
	v_cmp_le_u32_e64 s8, v51, v97
	s_or_b32 s7, s7, s8
	s_delay_alu instid0(SALU_CYCLE_1)
	s_and_saveexec_b32 s9, s7
	s_cbranch_execz .LBB1225_203
; %bb.168:
	v_cmp_ge_u32_e64 s7, v50, v96
	s_mov_b32 s10, exec_lo
                                        ; implicit-def: $vgpr18_vgpr19
	v_cmpx_lt_u32_e64 v50, v96
; %bb.169:
	v_lshl_add_u32 v4, v30, 3, v31
	ds_load_b64 v[18:19], v4
; %bb.170:
	s_or_b32 exec_lo, exec_lo, s10
	v_cmp_ge_u32_e64 s10, v51, v97
	s_mov_b32 s11, exec_lo
                                        ; implicit-def: $vgpr20_vgpr21
	v_cmpx_lt_u32_e64 v51, v97
; %bb.171:
	v_lshl_add_u32 v4, v51, 3, v1
	ds_load_b64 v[20:21], v4
; %bb.172:
	s_or_b32 exec_lo, exec_lo, s11
	s_nor_b32 s7, s7, s10
	s_delay_alu instid0(SALU_CYCLE_1)
	s_and_saveexec_b32 s8, s7
	s_cbranch_execz .LBB1225_174
; %bb.173:
	s_wait_dscnt 0x0
	v_add_f64_e32 v[4:5], 0, v[18:19]
	v_add_f64_e32 v[10:11], 0, v[20:21]
	s_and_not1_b32 s10, s10, exec_lo
	s_delay_alu instid0(VALU_DEP_1) | instskip(NEXT) | instid1(VALU_DEP_1)
	v_dual_ashrrev_i32 v12, 31, v5 :: v_dual_ashrrev_i32 v13, 31, v11
	v_or_b32_e32 v14, 0x80000000, v12
	s_delay_alu instid0(VALU_DEP_2) | instskip(SKIP_2) | instid1(VALU_DEP_4)
	v_or_b32_e32 v15, 0x80000000, v13
	v_xor_b32_e32 v4, v12, v4
	v_xor_b32_e32 v10, v13, v10
	;; [unrolled: 1-line block ×3, first 2 shown]
	s_delay_alu instid0(VALU_DEP_4) | instskip(NEXT) | instid1(VALU_DEP_1)
	v_xor_b32_e32 v11, v15, v11
	v_cmp_le_u64_e64 s7, v[4:5], v[10:11]
	s_and_b32 s7, s7, exec_lo
	s_delay_alu instid0(SALU_CYCLE_1)
	s_or_b32 s10, s10, s7
.LBB1225_174:
	s_or_b32 exec_lo, exec_lo, s8
	v_dual_cndmask_b32 v4, v51, v50, s10 :: v_dual_cndmask_b32 v5, v97, v96, s10
	s_mov_b32 s11, -1
	s_mov_b32 s8, -1
	s_mov_b32 s12, exec_lo
	s_delay_alu instid0(VALU_DEP_1) | instskip(SKIP_1) | instid1(VALU_DEP_2)
	v_add_nc_u32_e32 v13, 1, v4
	v_lshl_add_u32 v4, v4, 3, v1
	v_add_min_u32_e64 v5, v5, -1, v13
	s_delay_alu instid0(VALU_DEP_1)
	v_lshl_add_u32 v5, v5, 3, v1
	ds_load_b64 v[10:11], v5
	ds_load_b64 v[4:5], v4 offset:16384
	s_wait_dscnt 0x1
	v_dual_cndmask_b32 v29, v11, v21, s10 :: v_dual_cndmask_b32 v12, v13, v51, s10
	v_cndmask_b32_e64 v13, v50, v13, s10
	v_dual_cndmask_b32 v28, v10, v20, s10 :: v_dual_cndmask_b32 v31, v19, v11, s10
	v_cndmask_b32_e64 v30, v18, v10, s10
	s_delay_alu instid0(VALU_DEP_4)
	v_cmpx_lt_u32_e64 v12, v97
	s_cbranch_execz .LBB1225_178
; %bb.175:
	s_mov_b32 s13, 0
	s_mov_b32 s8, exec_lo
	v_cmpx_lt_u32_e64 v13, v96
	s_cbranch_execz .LBB1225_177
; %bb.176:
	v_add_f64_e32 v[10:11], 0, v[30:31]
	s_delay_alu instid0(VALU_DEP_1) | instskip(NEXT) | instid1(VALU_DEP_1)
	v_dual_add_f64 v[14:15], 0, v[28:29] :: v_dual_ashrrev_i32 v16, 31, v11
	v_dual_ashrrev_i32 v17, 31, v15 :: v_dual_bitop2_b32 v10, v16, v10 bitop3:0x14
	v_or_b32_e32 v22, 0x80000000, v16
	s_delay_alu instid0(VALU_DEP_2) | instskip(NEXT) | instid1(VALU_DEP_4)
	v_or_b32_e32 v23, 0x80000000, v17
	v_xor_b32_e32 v14, v17, v14
	s_delay_alu instid0(VALU_DEP_3) | instskip(NEXT) | instid1(VALU_DEP_3)
	v_xor_b32_e32 v11, v22, v11
	v_xor_b32_e32 v15, v23, v15
	s_delay_alu instid0(VALU_DEP_1)
	v_cmp_le_u64_e64 s7, v[10:11], v[14:15]
	s_and_b32 s13, s7, exec_lo
.LBB1225_177:
	s_or_b32 exec_lo, exec_lo, s8
	s_delay_alu instid0(SALU_CYCLE_1)
	s_or_not1_b32 s8, s13, exec_lo
.LBB1225_178:
	s_or_b32 exec_lo, exec_lo, s12
	v_dual_cndmask_b32 v10, v12, v13, s8 :: v_dual_cndmask_b32 v11, v97, v96, s8
	s_mov_b32 s12, exec_lo
	s_delay_alu instid0(VALU_DEP_1) | instskip(SKIP_1) | instid1(VALU_DEP_2)
	v_add_nc_u32_e32 v15, 1, v10
	v_lshl_add_u32 v10, v10, 3, v1
	v_add_min_u32_e64 v11, v11, -1, v15
	s_delay_alu instid0(VALU_DEP_1)
	v_lshl_add_u32 v11, v11, 3, v1
	ds_load_b64 v[16:17], v11
	ds_load_b64 v[10:11], v10 offset:16384
	s_wait_dscnt 0x1
	v_dual_cndmask_b32 v33, v17, v29, s8 :: v_dual_cndmask_b32 v14, v15, v12, s8
	v_dual_cndmask_b32 v15, v13, v15, s8 :: v_dual_cndmask_b32 v32, v16, v28, s8
	;; [unrolled: 1-line block ×3, first 2 shown]
	s_delay_alu instid0(VALU_DEP_3)
	v_cmpx_lt_u32_e64 v14, v97
	s_cbranch_execz .LBB1225_182
; %bb.179:
	s_mov_b32 s13, 0
	s_mov_b32 s11, exec_lo
	v_cmpx_lt_u32_e64 v15, v96
	s_cbranch_execz .LBB1225_181
; %bb.180:
	v_add_f64_e32 v[16:17], 0, v[32:33]
	s_delay_alu instid0(VALU_DEP_1) | instskip(NEXT) | instid1(VALU_DEP_1)
	v_dual_add_f64 v[12:13], 0, v[50:51] :: v_dual_ashrrev_i32 v23, 31, v17
	v_ashrrev_i32_e32 v22, 31, v13
	s_delay_alu instid0(VALU_DEP_2) | instskip(NEXT) | instid1(VALU_DEP_2)
	v_or_b32_e32 v25, 0x80000000, v23
	v_or_b32_e32 v24, 0x80000000, v22
	v_xor_b32_e32 v16, v23, v16
	s_delay_alu instid0(VALU_DEP_3) | instskip(NEXT) | instid1(VALU_DEP_3)
	v_xor_b32_e32 v17, v25, v17
	v_xor_b32_e32 v13, v24, v13
	;; [unrolled: 1-line block ×3, first 2 shown]
	s_delay_alu instid0(VALU_DEP_1)
	v_cmp_le_u64_e64 s7, v[12:13], v[16:17]
	s_and_b32 s13, s7, exec_lo
.LBB1225_181:
	s_or_b32 exec_lo, exec_lo, s11
	s_delay_alu instid0(SALU_CYCLE_1)
	s_or_not1_b32 s11, s13, exec_lo
.LBB1225_182:
	s_or_b32 exec_lo, exec_lo, s12
	v_dual_cndmask_b32 v12, v14, v15, s11 :: v_dual_cndmask_b32 v13, v97, v96, s11
	s_mov_b32 s13, -1
	s_mov_b32 s12, -1
	s_mov_b32 s14, exec_lo
	s_delay_alu instid0(VALU_DEP_1) | instskip(SKIP_1) | instid1(VALU_DEP_2)
	v_add_nc_u32_e32 v17, 1, v12
	v_lshl_add_u32 v12, v12, 3, v1
	v_add_min_u32_e64 v13, v13, -1, v17
	s_delay_alu instid0(VALU_DEP_1)
	v_lshl_add_u32 v13, v13, 3, v1
	ds_load_b64 v[22:23], v13
	ds_load_b64 v[12:13], v12 offset:16384
	s_wait_dscnt 0x1
	v_dual_cndmask_b32 v49, v23, v33, s11 :: v_dual_cndmask_b32 v16, v17, v14, s11
	v_dual_cndmask_b32 v17, v15, v17, s11 :: v_dual_cndmask_b32 v48, v22, v32, s11
	;; [unrolled: 1-line block ×3, first 2 shown]
	s_delay_alu instid0(VALU_DEP_3)
	v_cmpx_lt_u32_e64 v16, v97
	s_cbranch_execz .LBB1225_186
; %bb.183:
	s_mov_b32 s15, 0
	s_mov_b32 s12, exec_lo
	v_cmpx_lt_u32_e64 v17, v96
	s_cbranch_execz .LBB1225_185
; %bb.184:
	v_add_f64_e32 v[22:23], 0, v[48:49]
	s_delay_alu instid0(VALU_DEP_1) | instskip(NEXT) | instid1(VALU_DEP_1)
	v_dual_add_f64 v[14:15], 0, v[52:53] :: v_dual_ashrrev_i32 v25, 31, v23
	v_ashrrev_i32_e32 v24, 31, v15
	s_delay_alu instid0(VALU_DEP_2) | instskip(NEXT) | instid1(VALU_DEP_2)
	v_or_b32_e32 v27, 0x80000000, v25
	v_or_b32_e32 v26, 0x80000000, v24
	s_delay_alu instid0(VALU_DEP_4) | instskip(SKIP_1) | instid1(VALU_DEP_4)
	v_xor_b32_e32 v14, v24, v14
	v_xor_b32_e32 v22, v25, v22
	;; [unrolled: 1-line block ×3, first 2 shown]
	s_delay_alu instid0(VALU_DEP_4) | instskip(NEXT) | instid1(VALU_DEP_1)
	v_xor_b32_e32 v15, v26, v15
	v_cmp_le_u64_e64 s7, v[14:15], v[22:23]
	s_and_b32 s15, s7, exec_lo
.LBB1225_185:
	s_or_b32 exec_lo, exec_lo, s12
	s_delay_alu instid0(SALU_CYCLE_1)
	s_or_not1_b32 s12, s15, exec_lo
.LBB1225_186:
	s_or_b32 exec_lo, exec_lo, s14
	v_dual_cndmask_b32 v14, v16, v17, s12 :: v_dual_cndmask_b32 v15, v97, v96, s12
	s_mov_b32 s14, exec_lo
	s_delay_alu instid0(VALU_DEP_1) | instskip(SKIP_1) | instid1(VALU_DEP_2)
	v_add_nc_u32_e32 v23, 1, v14
	v_lshl_add_u32 v14, v14, 3, v1
	v_add_min_u32_e64 v15, v15, -1, v23
	s_delay_alu instid0(VALU_DEP_1)
	v_lshl_add_u32 v15, v15, 3, v1
	ds_load_b64 v[24:25], v15
	ds_load_b64 v[14:15], v14 offset:16384
	s_wait_dscnt 0x1
	v_dual_cndmask_b32 v35, v25, v49, s12 :: v_dual_cndmask_b32 v22, v23, v16, s12
	v_dual_cndmask_b32 v23, v17, v23, s12 :: v_dual_cndmask_b32 v34, v24, v48, s12
	;; [unrolled: 1-line block ×3, first 2 shown]
	s_delay_alu instid0(VALU_DEP_3)
	v_cmpx_lt_u32_e64 v22, v97
	s_cbranch_execz .LBB1225_190
; %bb.187:
	s_mov_b32 s15, 0
	s_mov_b32 s13, exec_lo
	v_cmpx_lt_u32_e64 v23, v96
	s_cbranch_execz .LBB1225_189
; %bb.188:
	v_add_f64_e32 v[24:25], 0, v[34:35]
	s_delay_alu instid0(VALU_DEP_1) | instskip(NEXT) | instid1(VALU_DEP_1)
	v_dual_add_f64 v[16:17], 0, v[54:55] :: v_dual_ashrrev_i32 v27, 31, v25
	v_ashrrev_i32_e32 v26, 31, v17
	s_delay_alu instid0(VALU_DEP_2) | instskip(NEXT) | instid1(VALU_DEP_2)
	v_or_b32_e32 v37, 0x80000000, v27
	v_or_b32_e32 v36, 0x80000000, v26
	s_delay_alu instid0(VALU_DEP_4) | instskip(SKIP_1) | instid1(VALU_DEP_4)
	v_xor_b32_e32 v16, v26, v16
	v_xor_b32_e32 v24, v27, v24
	;; [unrolled: 1-line block ×3, first 2 shown]
	s_delay_alu instid0(VALU_DEP_4) | instskip(NEXT) | instid1(VALU_DEP_1)
	v_xor_b32_e32 v17, v36, v17
	v_cmp_le_u64_e64 s7, v[16:17], v[24:25]
	s_and_b32 s15, s7, exec_lo
.LBB1225_189:
	s_or_b32 exec_lo, exec_lo, s13
	s_delay_alu instid0(SALU_CYCLE_1)
	s_or_not1_b32 s13, s15, exec_lo
.LBB1225_190:
	s_or_b32 exec_lo, exec_lo, s14
	v_dual_cndmask_b32 v16, v22, v23, s13 :: v_dual_cndmask_b32 v17, v97, v96, s13
	s_mov_b32 s15, -1
	s_mov_b32 s14, -1
	s_mov_b32 s16, exec_lo
	s_delay_alu instid0(VALU_DEP_1) | instskip(SKIP_1) | instid1(VALU_DEP_2)
	v_add_nc_u32_e32 v26, 1, v16
	v_lshl_add_u32 v16, v16, 3, v1
	v_add_min_u32_e64 v17, v17, -1, v26
	s_delay_alu instid0(VALU_DEP_1)
	v_lshl_add_u32 v17, v17, 3, v1
	ds_load_b64 v[24:25], v17
	ds_load_b64 v[16:17], v16 offset:16384
	s_wait_dscnt 0x1
	v_dual_cndmask_b32 v27, v25, v35, s13 :: v_dual_cndmask_b32 v22, v26, v22, s13
	v_cndmask_b32_e64 v65, v55, v25, s13
	v_dual_cndmask_b32 v23, v23, v26, s13 :: v_dual_cndmask_b32 v64, v54, v24, s13
	v_cndmask_b32_e64 v26, v24, v34, s13
	s_delay_alu instid0(VALU_DEP_4)
	v_cmpx_lt_u32_e64 v22, v97
	s_cbranch_execz .LBB1225_194
; %bb.191:
	s_mov_b32 s17, 0
	s_mov_b32 s14, exec_lo
	v_cmpx_lt_u32_e64 v23, v96
	s_cbranch_execz .LBB1225_193
; %bb.192:
	v_add_f64_e32 v[24:25], 0, v[64:65]
	s_delay_alu instid0(VALU_DEP_1) | instskip(NEXT) | instid1(VALU_DEP_1)
	v_dual_add_f64 v[36:37], 0, v[26:27] :: v_dual_ashrrev_i32 v38, 31, v25
	v_dual_ashrrev_i32 v39, 31, v37 :: v_dual_bitop2_b32 v24, v38, v24 bitop3:0x14
	v_or_b32_e32 v66, 0x80000000, v38
	s_delay_alu instid0(VALU_DEP_2) | instskip(NEXT) | instid1(VALU_DEP_4)
	v_or_b32_e32 v67, 0x80000000, v39
	v_xor_b32_e32 v36, v39, v36
	s_delay_alu instid0(VALU_DEP_3) | instskip(NEXT) | instid1(VALU_DEP_3)
	v_xor_b32_e32 v25, v66, v25
	v_xor_b32_e32 v37, v67, v37
	s_delay_alu instid0(VALU_DEP_1)
	v_cmp_le_u64_e64 s7, v[24:25], v[36:37]
	s_and_b32 s17, s7, exec_lo
.LBB1225_193:
	s_or_b32 exec_lo, exec_lo, s14
	s_delay_alu instid0(SALU_CYCLE_1)
	s_or_not1_b32 s14, s17, exec_lo
.LBB1225_194:
	s_or_b32 exec_lo, exec_lo, s16
	v_dual_cndmask_b32 v24, v22, v23, s14 :: v_dual_cndmask_b32 v25, v97, v96, s14
	s_mov_b32 s16, exec_lo
	s_delay_alu instid0(VALU_DEP_1) | instskip(SKIP_1) | instid1(VALU_DEP_2)
	v_add_nc_u32_e32 v37, 1, v24
	v_lshl_add_u32 v24, v24, 3, v1
	v_add_min_u32_e64 v25, v25, -1, v37
	s_delay_alu instid0(VALU_DEP_1)
	v_lshl_add_u32 v25, v25, 3, v1
	ds_load_b64 v[66:67], v25
	ds_load_b64 v[24:25], v24 offset:16384
	s_wait_dscnt 0x1
	v_dual_cndmask_b32 v39, v67, v27, s14 :: v_dual_cndmask_b32 v36, v37, v22, s14
	v_dual_cndmask_b32 v37, v23, v37, s14 :: v_dual_cndmask_b32 v38, v66, v26, s14
	v_dual_cndmask_b32 v67, v65, v67, s14 :: v_dual_cndmask_b32 v66, v64, v66, s14
	s_delay_alu instid0(VALU_DEP_3)
	v_cmpx_lt_u32_e64 v36, v97
	s_cbranch_execz .LBB1225_198
; %bb.195:
	s_mov_b32 s17, 0
	s_mov_b32 s15, exec_lo
	v_cmpx_lt_u32_e64 v37, v96
	s_cbranch_execz .LBB1225_197
; %bb.196:
	v_add_f64_e32 v[68:69], 0, v[38:39]
	s_delay_alu instid0(VALU_DEP_1) | instskip(NEXT) | instid1(VALU_DEP_1)
	v_dual_add_f64 v[22:23], 0, v[66:67] :: v_dual_ashrrev_i32 v71, 31, v69
	v_ashrrev_i32_e32 v70, 31, v23
	s_delay_alu instid0(VALU_DEP_2) | instskip(NEXT) | instid1(VALU_DEP_2)
	v_or_b32_e32 v99, 0x80000000, v71
	v_or_b32_e32 v98, 0x80000000, v70
	v_xor_b32_e32 v68, v71, v68
	s_delay_alu instid0(VALU_DEP_3) | instskip(NEXT) | instid1(VALU_DEP_3)
	v_xor_b32_e32 v69, v99, v69
	v_xor_b32_e32 v23, v98, v23
	;; [unrolled: 1-line block ×3, first 2 shown]
	s_delay_alu instid0(VALU_DEP_1)
	v_cmp_le_u64_e64 s7, v[22:23], v[68:69]
	s_and_b32 s17, s7, exec_lo
.LBB1225_197:
	s_or_b32 exec_lo, exec_lo, s15
	s_delay_alu instid0(SALU_CYCLE_1)
	s_or_not1_b32 s15, s17, exec_lo
.LBB1225_198:
	s_or_b32 exec_lo, exec_lo, s16
	v_dual_cndmask_b32 v22, v36, v37, s15 :: v_dual_cndmask_b32 v23, v97, v96, s15
	s_mov_b32 s16, -1
	s_mov_b32 s17, exec_lo
	s_delay_alu instid0(VALU_DEP_1) | instskip(SKIP_1) | instid1(VALU_DEP_2)
	v_add_nc_u32_e32 v68, 1, v22
	v_lshl_add_u32 v22, v22, 3, v1
	v_add_min_u32_e64 v23, v23, -1, v68
	s_delay_alu instid0(VALU_DEP_1)
	v_lshl_add_u32 v23, v23, 3, v1
	ds_load_b64 v[70:71], v23
	ds_load_b64 v[22:23], v22 offset:16384
	s_wait_dscnt 0x1
	v_dual_cndmask_b32 v69, v71, v39, s15 :: v_dual_cndmask_b32 v36, v68, v36, s15
	v_dual_cndmask_b32 v37, v37, v68, s15 :: v_dual_cndmask_b32 v71, v67, v71, s15
	v_cndmask_b32_e64 v68, v70, v38, s15
	v_cndmask_b32_e64 v70, v66, v70, s15
	s_delay_alu instid0(VALU_DEP_4)
	v_cmpx_lt_u32_e64 v36, v97
	s_cbranch_execz .LBB1225_202
; %bb.199:
	s_mov_b32 s18, 0
	s_mov_b32 s16, exec_lo
	v_cmpx_lt_u32_e64 v37, v96
	s_cbranch_execz .LBB1225_201
; %bb.200:
	v_add_f64_e32 v[96:97], 0, v[70:71]
	v_add_f64_e32 v[98:99], 0, v[68:69]
	s_delay_alu instid0(VALU_DEP_1) | instskip(NEXT) | instid1(VALU_DEP_1)
	v_dual_ashrrev_i32 v100, 31, v97 :: v_dual_ashrrev_i32 v101, 31, v99
	v_or_b32_e32 v102, 0x80000000, v100
	s_delay_alu instid0(VALU_DEP_2) | instskip(SKIP_2) | instid1(VALU_DEP_4)
	v_or_b32_e32 v103, 0x80000000, v101
	v_xor_b32_e32 v96, v100, v96
	v_xor_b32_e32 v98, v101, v98
	;; [unrolled: 1-line block ×3, first 2 shown]
	s_delay_alu instid0(VALU_DEP_4) | instskip(NEXT) | instid1(VALU_DEP_1)
	v_xor_b32_e32 v99, v103, v99
	v_cmp_le_u64_e64 s7, v[96:97], v[98:99]
	s_and_b32 s18, s7, exec_lo
.LBB1225_201:
	s_or_b32 exec_lo, exec_lo, s16
	s_delay_alu instid0(SALU_CYCLE_1)
	s_or_not1_b32 s16, s18, exec_lo
.LBB1225_202:
	s_or_b32 exec_lo, exec_lo, s17
	v_dual_cndmask_b32 v36, v36, v37, s16 :: v_dual_cndmask_b32 v39, v39, v67, s15
	v_dual_cndmask_b32 v38, v38, v66, s15 :: v_dual_cndmask_b32 v27, v27, v65, s14
	;; [unrolled: 1-line block ×3, first 2 shown]
	s_delay_alu instid0(VALU_DEP_3)
	v_lshl_add_u32 v36, v36, 3, v1
	v_dual_cndmask_b32 v34, v34, v54, s13 :: v_dual_cndmask_b32 v49, v49, v53, s12
	v_dual_cndmask_b32 v48, v48, v52, s12 :: v_dual_cndmask_b32 v33, v33, v51, s11
	ds_load_b64 v[36:37], v36 offset:16384
	v_dual_cndmask_b32 v32, v32, v50, s11 :: v_dual_cndmask_b32 v29, v29, v31, s8
	v_dual_cndmask_b32 v28, v28, v30, s8 :: v_dual_cndmask_b32 v19, v21, v19, s10
	;; [unrolled: 1-line block ×3, first 2 shown]
	v_cndmask_b32_e64 v20, v68, v70, s16
.LBB1225_203:
	s_or_b32 exec_lo, exec_lo, s9
	v_and_b32_e32 v50, 0x80, v81
	v_min_u32_e32 v51, v83, v80
	s_mov_b32 s8, exec_lo
	; wave barrier
	s_delay_alu instid0(VALU_DEP_2)
	v_or_b32_e32 v30, 64, v50
	ds_store_2addr_b64 v82, v[18:19], v[28:29] offset1:1
	ds_store_2addr_b64 v82, v[32:33], v[48:49] offset0:2 offset1:3
	ds_store_2addr_b64 v84, v[4:5], v[10:11] offset1:1
	ds_store_2addr_b64 v85, v[12:13], v[14:15] offset1:1
	ds_store_2addr_b64 v82, v[34:35], v[26:27] offset0:4 offset1:5
	ds_store_2addr_b64 v82, v[38:39], v[20:21] offset0:6 offset1:7
	ds_store_2addr_b64 v86, v[16:17], v[24:25] offset1:1
	s_wait_dscnt 0x7
	ds_store_2addr_b64 v87, v[22:23], v[36:37] offset1:1
	v_min_u32_e32 v81, v83, v30
	; wave barrier
	s_delay_alu instid0(VALU_DEP_1) | instskip(NEXT) | instid1(VALU_DEP_1)
	v_add_min_u32_e64 v96, v81, 64, v83
	v_dual_sub_nc_u32 v30, v81, v50 :: v_dual_sub_nc_u32 v31, v96, v81
	s_delay_alu instid0(VALU_DEP_1) | instskip(NEXT) | instid1(VALU_DEP_2)
	v_min_u32_e32 v52, v51, v30
	v_sub_nc_u32_e64 v30, v51, v31 clamp
	v_lshl_add_u32 v31, v50, 3, v1
	s_delay_alu instid0(VALU_DEP_2)
	v_cmpx_lt_u32_e64 v30, v52
	s_cbranch_execz .LBB1225_207
; %bb.204:
	v_dual_lshlrev_b32 v53, 3, v81 :: v_dual_lshlrev_b32 v54, 3, v51
	s_mov_b32 s9, 0
	s_delay_alu instid0(VALU_DEP_1)
	v_add3_u32 v53, v1, v53, v54
.LBB1225_205:                           ; =>This Inner Loop Header: Depth=1
	v_add_nc_u32_e32 v54, v52, v30
	s_delay_alu instid0(VALU_DEP_1) | instskip(NEXT) | instid1(VALU_DEP_1)
	v_lshrrev_b32_e32 v66, 1, v54
	v_not_b32_e32 v54, v66
	v_lshl_add_u32 v55, v66, 3, v31
	s_delay_alu instid0(VALU_DEP_2) | instskip(SKIP_4) | instid1(VALU_DEP_1)
	v_lshl_add_u32 v64, v54, 3, v53
	ds_load_b64 v[54:55], v55
	ds_load_b64 v[64:65], v64
	s_wait_dscnt 0x0
	v_add_f64_e32 v[64:65], 0, v[64:65]
	v_dual_add_f64 v[54:55], 0, v[54:55] :: v_dual_ashrrev_i32 v68, 31, v65
	s_delay_alu instid0(VALU_DEP_1) | instskip(NEXT) | instid1(VALU_DEP_2)
	v_ashrrev_i32_e32 v67, 31, v55
	v_or_b32_e32 v70, 0x80000000, v68
	s_delay_alu instid0(VALU_DEP_2) | instskip(NEXT) | instid1(VALU_DEP_4)
	v_or_b32_e32 v69, 0x80000000, v67
	v_xor_b32_e32 v54, v67, v54
	v_xor_b32_e32 v64, v68, v64
	s_delay_alu instid0(VALU_DEP_4) | instskip(NEXT) | instid1(VALU_DEP_4)
	v_xor_b32_e32 v65, v70, v65
	v_xor_b32_e32 v55, v69, v55
	s_delay_alu instid0(VALU_DEP_1) | instskip(NEXT) | instid1(VALU_DEP_1)
	v_cmp_gt_u64_e64 s7, v[54:55], v[64:65]
	v_dual_add_nc_u32 v54, 1, v66 :: v_dual_cndmask_b32 v52, v52, v66, s7
	s_delay_alu instid0(VALU_DEP_1) | instskip(NEXT) | instid1(VALU_DEP_1)
	v_cndmask_b32_e64 v30, v54, v30, s7
	v_cmp_ge_u32_e64 s7, v30, v52
	s_or_b32 s9, s7, s9
	s_delay_alu instid0(SALU_CYCLE_1)
	s_and_not1_b32 exec_lo, exec_lo, s9
	s_cbranch_execnz .LBB1225_205
; %bb.206:
	s_or_b32 exec_lo, exec_lo, s9
.LBB1225_207:
	s_delay_alu instid0(SALU_CYCLE_1) | instskip(SKIP_1) | instid1(VALU_DEP_1)
	s_or_b32 exec_lo, exec_lo, s8
	v_dual_add_nc_u32 v51, v81, v51 :: v_dual_add_nc_u32 v50, v30, v50
	v_sub_nc_u32_e32 v51, v51, v30
	s_delay_alu instid0(VALU_DEP_2) | instskip(NEXT) | instid1(VALU_DEP_2)
	v_cmp_le_u32_e64 s7, v50, v81
	v_cmp_le_u32_e64 s8, v51, v96
	s_or_b32 s7, s7, s8
	s_delay_alu instid0(SALU_CYCLE_1)
	s_and_saveexec_b32 s9, s7
	s_cbranch_execz .LBB1225_243
; %bb.208:
	v_cmp_ge_u32_e64 s7, v50, v81
	s_mov_b32 s10, exec_lo
                                        ; implicit-def: $vgpr18_vgpr19
	v_cmpx_lt_u32_e64 v50, v81
; %bb.209:
	v_lshl_add_u32 v4, v30, 3, v31
	ds_load_b64 v[18:19], v4
; %bb.210:
	s_or_b32 exec_lo, exec_lo, s10
	v_cmp_ge_u32_e64 s10, v51, v96
	s_mov_b32 s11, exec_lo
                                        ; implicit-def: $vgpr20_vgpr21
	v_cmpx_lt_u32_e64 v51, v96
; %bb.211:
	v_lshl_add_u32 v4, v51, 3, v1
	ds_load_b64 v[20:21], v4
; %bb.212:
	s_or_b32 exec_lo, exec_lo, s11
	s_nor_b32 s7, s7, s10
	s_delay_alu instid0(SALU_CYCLE_1)
	s_and_saveexec_b32 s8, s7
	s_cbranch_execz .LBB1225_214
; %bb.213:
	s_wait_dscnt 0x0
	v_add_f64_e32 v[4:5], 0, v[18:19]
	v_add_f64_e32 v[10:11], 0, v[20:21]
	s_and_not1_b32 s10, s10, exec_lo
	s_delay_alu instid0(VALU_DEP_1) | instskip(NEXT) | instid1(VALU_DEP_1)
	v_dual_ashrrev_i32 v12, 31, v5 :: v_dual_ashrrev_i32 v13, 31, v11
	v_or_b32_e32 v14, 0x80000000, v12
	s_delay_alu instid0(VALU_DEP_2) | instskip(SKIP_2) | instid1(VALU_DEP_4)
	v_or_b32_e32 v15, 0x80000000, v13
	v_xor_b32_e32 v4, v12, v4
	v_xor_b32_e32 v10, v13, v10
	;; [unrolled: 1-line block ×3, first 2 shown]
	s_delay_alu instid0(VALU_DEP_4) | instskip(NEXT) | instid1(VALU_DEP_1)
	v_xor_b32_e32 v11, v15, v11
	v_cmp_le_u64_e64 s7, v[4:5], v[10:11]
	s_and_b32 s7, s7, exec_lo
	s_delay_alu instid0(SALU_CYCLE_1)
	s_or_b32 s10, s10, s7
.LBB1225_214:
	s_or_b32 exec_lo, exec_lo, s8
	v_dual_cndmask_b32 v4, v51, v50, s10 :: v_dual_cndmask_b32 v5, v96, v81, s10
	s_mov_b32 s11, -1
	s_mov_b32 s8, -1
	s_mov_b32 s12, exec_lo
	s_delay_alu instid0(VALU_DEP_1) | instskip(SKIP_1) | instid1(VALU_DEP_2)
	v_add_nc_u32_e32 v13, 1, v4
	v_lshl_add_u32 v4, v4, 3, v1
	v_add_min_u32_e64 v5, v5, -1, v13
	s_delay_alu instid0(VALU_DEP_1)
	v_lshl_add_u32 v5, v5, 3, v1
	ds_load_b64 v[10:11], v5
	ds_load_b64 v[4:5], v4 offset:16384
	s_wait_dscnt 0x1
	v_dual_cndmask_b32 v29, v11, v21, s10 :: v_dual_cndmask_b32 v12, v13, v51, s10
	v_cndmask_b32_e64 v13, v50, v13, s10
	v_dual_cndmask_b32 v28, v10, v20, s10 :: v_dual_cndmask_b32 v31, v19, v11, s10
	v_cndmask_b32_e64 v30, v18, v10, s10
	s_delay_alu instid0(VALU_DEP_4)
	v_cmpx_lt_u32_e64 v12, v96
	s_cbranch_execz .LBB1225_218
; %bb.215:
	s_mov_b32 s13, 0
	s_mov_b32 s8, exec_lo
	v_cmpx_lt_u32_e64 v13, v81
	s_cbranch_execz .LBB1225_217
; %bb.216:
	v_add_f64_e32 v[10:11], 0, v[30:31]
	s_delay_alu instid0(VALU_DEP_1) | instskip(NEXT) | instid1(VALU_DEP_1)
	v_dual_add_f64 v[14:15], 0, v[28:29] :: v_dual_ashrrev_i32 v16, 31, v11
	v_dual_ashrrev_i32 v17, 31, v15 :: v_dual_bitop2_b32 v10, v16, v10 bitop3:0x14
	v_or_b32_e32 v22, 0x80000000, v16
	s_delay_alu instid0(VALU_DEP_2) | instskip(NEXT) | instid1(VALU_DEP_4)
	v_or_b32_e32 v23, 0x80000000, v17
	v_xor_b32_e32 v14, v17, v14
	s_delay_alu instid0(VALU_DEP_3) | instskip(NEXT) | instid1(VALU_DEP_3)
	v_xor_b32_e32 v11, v22, v11
	v_xor_b32_e32 v15, v23, v15
	s_delay_alu instid0(VALU_DEP_1)
	v_cmp_le_u64_e64 s7, v[10:11], v[14:15]
	s_and_b32 s13, s7, exec_lo
.LBB1225_217:
	s_or_b32 exec_lo, exec_lo, s8
	s_delay_alu instid0(SALU_CYCLE_1)
	s_or_not1_b32 s8, s13, exec_lo
.LBB1225_218:
	s_or_b32 exec_lo, exec_lo, s12
	v_cndmask_b32_e64 v10, v12, v13, s8
	v_cndmask_b32_e64 v11, v96, v81, s8
	s_mov_b32 s12, exec_lo
	s_delay_alu instid0(VALU_DEP_2) | instskip(NEXT) | instid1(VALU_DEP_1)
	v_add_nc_u32_e32 v15, 1, v10
	v_add_min_u32_e64 v11, v11, -1, v15
	v_cndmask_b32_e64 v14, v15, v12, s8
	v_lshl_add_u32 v10, v10, 3, v1
	s_delay_alu instid0(VALU_DEP_3)
	v_lshl_add_u32 v11, v11, 3, v1
	ds_load_b64 v[16:17], v11
	ds_load_b64 v[10:11], v10 offset:16384
	s_wait_dscnt 0x1
	v_dual_cndmask_b32 v15, v13, v15, s8 :: v_dual_cndmask_b32 v32, v16, v28, s8
	v_dual_cndmask_b32 v33, v17, v29, s8 :: v_dual_cndmask_b32 v50, v30, v16, s8
	v_cndmask_b32_e64 v51, v31, v17, s8
	v_cmpx_lt_u32_e64 v14, v96
	s_cbranch_execz .LBB1225_222
; %bb.219:
	s_mov_b32 s13, 0
	s_mov_b32 s11, exec_lo
	v_cmpx_lt_u32_e64 v15, v81
	s_cbranch_execz .LBB1225_221
; %bb.220:
	v_add_f64_e32 v[16:17], 0, v[32:33]
	s_delay_alu instid0(VALU_DEP_1) | instskip(NEXT) | instid1(VALU_DEP_1)
	v_dual_add_f64 v[12:13], 0, v[50:51] :: v_dual_ashrrev_i32 v23, 31, v17
	v_ashrrev_i32_e32 v22, 31, v13
	s_delay_alu instid0(VALU_DEP_2) | instskip(NEXT) | instid1(VALU_DEP_2)
	v_or_b32_e32 v25, 0x80000000, v23
	v_or_b32_e32 v24, 0x80000000, v22
	v_xor_b32_e32 v16, v23, v16
	s_delay_alu instid0(VALU_DEP_3) | instskip(NEXT) | instid1(VALU_DEP_3)
	v_xor_b32_e32 v17, v25, v17
	v_xor_b32_e32 v13, v24, v13
	;; [unrolled: 1-line block ×3, first 2 shown]
	s_delay_alu instid0(VALU_DEP_1)
	v_cmp_le_u64_e64 s7, v[12:13], v[16:17]
	s_and_b32 s13, s7, exec_lo
.LBB1225_221:
	s_or_b32 exec_lo, exec_lo, s11
	s_delay_alu instid0(SALU_CYCLE_1)
	s_or_not1_b32 s11, s13, exec_lo
.LBB1225_222:
	s_or_b32 exec_lo, exec_lo, s12
	v_dual_cndmask_b32 v12, v14, v15, s11 :: v_dual_cndmask_b32 v13, v96, v81, s11
	s_mov_b32 s13, -1
	s_mov_b32 s12, -1
	s_mov_b32 s14, exec_lo
	s_delay_alu instid0(VALU_DEP_1) | instskip(SKIP_1) | instid1(VALU_DEP_2)
	v_add_nc_u32_e32 v17, 1, v12
	v_lshl_add_u32 v12, v12, 3, v1
	v_add_min_u32_e64 v13, v13, -1, v17
	s_delay_alu instid0(VALU_DEP_1)
	v_lshl_add_u32 v13, v13, 3, v1
	ds_load_b64 v[22:23], v13
	ds_load_b64 v[12:13], v12 offset:16384
	s_wait_dscnt 0x1
	v_dual_cndmask_b32 v49, v23, v33, s11 :: v_dual_cndmask_b32 v16, v17, v14, s11
	v_dual_cndmask_b32 v17, v15, v17, s11 :: v_dual_cndmask_b32 v48, v22, v32, s11
	;; [unrolled: 1-line block ×3, first 2 shown]
	s_delay_alu instid0(VALU_DEP_3)
	v_cmpx_lt_u32_e64 v16, v96
	s_cbranch_execz .LBB1225_226
; %bb.223:
	s_mov_b32 s15, 0
	s_mov_b32 s12, exec_lo
	v_cmpx_lt_u32_e64 v17, v81
	s_cbranch_execz .LBB1225_225
; %bb.224:
	v_add_f64_e32 v[22:23], 0, v[48:49]
	s_delay_alu instid0(VALU_DEP_1) | instskip(NEXT) | instid1(VALU_DEP_1)
	v_dual_add_f64 v[14:15], 0, v[52:53] :: v_dual_ashrrev_i32 v25, 31, v23
	v_ashrrev_i32_e32 v24, 31, v15
	s_delay_alu instid0(VALU_DEP_2) | instskip(NEXT) | instid1(VALU_DEP_2)
	v_or_b32_e32 v27, 0x80000000, v25
	v_or_b32_e32 v26, 0x80000000, v24
	s_delay_alu instid0(VALU_DEP_4) | instskip(SKIP_1) | instid1(VALU_DEP_4)
	v_xor_b32_e32 v14, v24, v14
	v_xor_b32_e32 v22, v25, v22
	v_xor_b32_e32 v23, v27, v23
	s_delay_alu instid0(VALU_DEP_4) | instskip(NEXT) | instid1(VALU_DEP_1)
	v_xor_b32_e32 v15, v26, v15
	v_cmp_le_u64_e64 s7, v[14:15], v[22:23]
	s_and_b32 s15, s7, exec_lo
.LBB1225_225:
	s_or_b32 exec_lo, exec_lo, s12
	s_delay_alu instid0(SALU_CYCLE_1)
	s_or_not1_b32 s12, s15, exec_lo
.LBB1225_226:
	s_or_b32 exec_lo, exec_lo, s14
	v_cndmask_b32_e64 v14, v16, v17, s12
	v_cndmask_b32_e64 v15, v96, v81, s12
	s_mov_b32 s14, exec_lo
	s_delay_alu instid0(VALU_DEP_2) | instskip(NEXT) | instid1(VALU_DEP_1)
	v_add_nc_u32_e32 v23, 1, v14
	v_add_min_u32_e64 v15, v15, -1, v23
	v_cndmask_b32_e64 v22, v23, v16, s12
	v_lshl_add_u32 v14, v14, 3, v1
	s_delay_alu instid0(VALU_DEP_3)
	v_lshl_add_u32 v15, v15, 3, v1
	ds_load_b64 v[24:25], v15
	ds_load_b64 v[14:15], v14 offset:16384
	s_wait_dscnt 0x1
	v_dual_cndmask_b32 v23, v17, v23, s12 :: v_dual_cndmask_b32 v34, v24, v48, s12
	v_dual_cndmask_b32 v35, v25, v49, s12 :: v_dual_cndmask_b32 v54, v52, v24, s12
	v_cndmask_b32_e64 v55, v53, v25, s12
	v_cmpx_lt_u32_e64 v22, v96
	s_cbranch_execz .LBB1225_230
; %bb.227:
	s_mov_b32 s15, 0
	s_mov_b32 s13, exec_lo
	v_cmpx_lt_u32_e64 v23, v81
	s_cbranch_execz .LBB1225_229
; %bb.228:
	v_add_f64_e32 v[24:25], 0, v[34:35]
	s_delay_alu instid0(VALU_DEP_1) | instskip(NEXT) | instid1(VALU_DEP_1)
	v_dual_add_f64 v[16:17], 0, v[54:55] :: v_dual_ashrrev_i32 v27, 31, v25
	v_ashrrev_i32_e32 v26, 31, v17
	s_delay_alu instid0(VALU_DEP_2) | instskip(NEXT) | instid1(VALU_DEP_2)
	v_or_b32_e32 v37, 0x80000000, v27
	v_or_b32_e32 v36, 0x80000000, v26
	s_delay_alu instid0(VALU_DEP_4) | instskip(SKIP_1) | instid1(VALU_DEP_4)
	v_xor_b32_e32 v16, v26, v16
	v_xor_b32_e32 v24, v27, v24
	;; [unrolled: 1-line block ×3, first 2 shown]
	s_delay_alu instid0(VALU_DEP_4) | instskip(NEXT) | instid1(VALU_DEP_1)
	v_xor_b32_e32 v17, v36, v17
	v_cmp_le_u64_e64 s7, v[16:17], v[24:25]
	s_and_b32 s15, s7, exec_lo
.LBB1225_229:
	s_or_b32 exec_lo, exec_lo, s13
	s_delay_alu instid0(SALU_CYCLE_1)
	s_or_not1_b32 s13, s15, exec_lo
.LBB1225_230:
	s_or_b32 exec_lo, exec_lo, s14
	v_dual_cndmask_b32 v16, v22, v23, s13 :: v_dual_cndmask_b32 v17, v96, v81, s13
	s_mov_b32 s15, -1
	s_mov_b32 s14, -1
	s_mov_b32 s16, exec_lo
	s_delay_alu instid0(VALU_DEP_1) | instskip(SKIP_1) | instid1(VALU_DEP_2)
	v_add_nc_u32_e32 v26, 1, v16
	v_lshl_add_u32 v16, v16, 3, v1
	v_add_min_u32_e64 v17, v17, -1, v26
	s_delay_alu instid0(VALU_DEP_1)
	v_lshl_add_u32 v17, v17, 3, v1
	ds_load_b64 v[24:25], v17
	ds_load_b64 v[16:17], v16 offset:16384
	s_wait_dscnt 0x1
	v_dual_cndmask_b32 v27, v25, v35, s13 :: v_dual_cndmask_b32 v22, v26, v22, s13
	v_cndmask_b32_e64 v65, v55, v25, s13
	v_dual_cndmask_b32 v23, v23, v26, s13 :: v_dual_cndmask_b32 v64, v54, v24, s13
	v_cndmask_b32_e64 v26, v24, v34, s13
	s_delay_alu instid0(VALU_DEP_4)
	v_cmpx_lt_u32_e64 v22, v96
	s_cbranch_execz .LBB1225_234
; %bb.231:
	s_mov_b32 s17, 0
	s_mov_b32 s14, exec_lo
	v_cmpx_lt_u32_e64 v23, v81
	s_cbranch_execz .LBB1225_233
; %bb.232:
	v_add_f64_e32 v[24:25], 0, v[64:65]
	s_delay_alu instid0(VALU_DEP_1) | instskip(NEXT) | instid1(VALU_DEP_1)
	v_dual_add_f64 v[36:37], 0, v[26:27] :: v_dual_ashrrev_i32 v38, 31, v25
	v_dual_ashrrev_i32 v39, 31, v37 :: v_dual_bitop2_b32 v24, v38, v24 bitop3:0x14
	v_or_b32_e32 v66, 0x80000000, v38
	s_delay_alu instid0(VALU_DEP_2) | instskip(NEXT) | instid1(VALU_DEP_4)
	v_or_b32_e32 v67, 0x80000000, v39
	v_xor_b32_e32 v36, v39, v36
	s_delay_alu instid0(VALU_DEP_3) | instskip(NEXT) | instid1(VALU_DEP_3)
	v_xor_b32_e32 v25, v66, v25
	v_xor_b32_e32 v37, v67, v37
	s_delay_alu instid0(VALU_DEP_1)
	v_cmp_le_u64_e64 s7, v[24:25], v[36:37]
	s_and_b32 s17, s7, exec_lo
.LBB1225_233:
	s_or_b32 exec_lo, exec_lo, s14
	s_delay_alu instid0(SALU_CYCLE_1)
	s_or_not1_b32 s14, s17, exec_lo
.LBB1225_234:
	s_or_b32 exec_lo, exec_lo, s16
	v_dual_cndmask_b32 v24, v22, v23, s14 :: v_dual_cndmask_b32 v25, v96, v81, s14
	s_mov_b32 s16, exec_lo
	s_delay_alu instid0(VALU_DEP_1) | instskip(SKIP_1) | instid1(VALU_DEP_2)
	v_add_nc_u32_e32 v37, 1, v24
	v_lshl_add_u32 v24, v24, 3, v1
	v_add_min_u32_e64 v25, v25, -1, v37
	s_delay_alu instid0(VALU_DEP_1)
	v_lshl_add_u32 v25, v25, 3, v1
	ds_load_b64 v[66:67], v25
	ds_load_b64 v[24:25], v24 offset:16384
	s_wait_dscnt 0x1
	v_dual_cndmask_b32 v39, v67, v27, s14 :: v_dual_cndmask_b32 v36, v37, v22, s14
	v_dual_cndmask_b32 v37, v23, v37, s14 :: v_dual_cndmask_b32 v38, v66, v26, s14
	v_dual_cndmask_b32 v67, v65, v67, s14 :: v_dual_cndmask_b32 v66, v64, v66, s14
	s_delay_alu instid0(VALU_DEP_3)
	v_cmpx_lt_u32_e64 v36, v96
	s_cbranch_execz .LBB1225_238
; %bb.235:
	s_mov_b32 s17, 0
	s_mov_b32 s15, exec_lo
	v_cmpx_lt_u32_e64 v37, v81
	s_cbranch_execz .LBB1225_237
; %bb.236:
	v_add_f64_e32 v[68:69], 0, v[38:39]
	s_delay_alu instid0(VALU_DEP_1) | instskip(NEXT) | instid1(VALU_DEP_1)
	v_dual_add_f64 v[22:23], 0, v[66:67] :: v_dual_ashrrev_i32 v71, 31, v69
	v_ashrrev_i32_e32 v70, 31, v23
	s_delay_alu instid0(VALU_DEP_2) | instskip(NEXT) | instid1(VALU_DEP_2)
	v_or_b32_e32 v82, 0x80000000, v71
	v_or_b32_e32 v80, 0x80000000, v70
	v_xor_b32_e32 v68, v71, v68
	s_delay_alu instid0(VALU_DEP_3) | instskip(NEXT) | instid1(VALU_DEP_3)
	v_xor_b32_e32 v69, v82, v69
	v_xor_b32_e32 v23, v80, v23
	;; [unrolled: 1-line block ×3, first 2 shown]
	s_delay_alu instid0(VALU_DEP_1)
	v_cmp_le_u64_e64 s7, v[22:23], v[68:69]
	s_and_b32 s17, s7, exec_lo
.LBB1225_237:
	s_or_b32 exec_lo, exec_lo, s15
	s_delay_alu instid0(SALU_CYCLE_1)
	s_or_not1_b32 s15, s17, exec_lo
.LBB1225_238:
	s_or_b32 exec_lo, exec_lo, s16
	v_cndmask_b32_e64 v22, v36, v37, s15
	v_cndmask_b32_e64 v23, v96, v81, s15
	s_mov_b32 s16, -1
	s_mov_b32 s17, exec_lo
	s_delay_alu instid0(VALU_DEP_2) | instskip(NEXT) | instid1(VALU_DEP_1)
	v_add_nc_u32_e32 v68, 1, v22
	v_add_min_u32_e64 v23, v23, -1, v68
	v_cndmask_b32_e64 v37, v37, v68, s15
	v_lshl_add_u32 v22, v22, 3, v1
	s_delay_alu instid0(VALU_DEP_3)
	v_lshl_add_u32 v23, v23, 3, v1
	ds_load_b64 v[70:71], v23
	ds_load_b64 v[22:23], v22 offset:16384
	s_wait_dscnt 0x1
	v_dual_cndmask_b32 v36, v68, v36, s15 :: v_dual_cndmask_b32 v69, v71, v39, s15
	v_dual_cndmask_b32 v68, v70, v38, s15 :: v_dual_cndmask_b32 v71, v67, v71, s15
	v_cndmask_b32_e64 v70, v66, v70, s15
	s_delay_alu instid0(VALU_DEP_3)
	v_cmpx_lt_u32_e64 v36, v96
	s_cbranch_execz .LBB1225_242
; %bb.239:
	s_mov_b32 s18, 0
	s_mov_b32 s16, exec_lo
	v_cmpx_lt_u32_e64 v37, v81
	s_cbranch_execz .LBB1225_241
; %bb.240:
	v_add_f64_e32 v[80:81], 0, v[70:71]
	v_add_f64_e32 v[82:83], 0, v[68:69]
	s_delay_alu instid0(VALU_DEP_1) | instskip(NEXT) | instid1(VALU_DEP_1)
	v_dual_ashrrev_i32 v84, 31, v81 :: v_dual_ashrrev_i32 v85, 31, v83
	v_or_b32_e32 v86, 0x80000000, v84
	s_delay_alu instid0(VALU_DEP_2) | instskip(SKIP_2) | instid1(VALU_DEP_4)
	v_or_b32_e32 v87, 0x80000000, v85
	v_xor_b32_e32 v80, v84, v80
	v_xor_b32_e32 v82, v85, v82
	;; [unrolled: 1-line block ×3, first 2 shown]
	s_delay_alu instid0(VALU_DEP_4) | instskip(NEXT) | instid1(VALU_DEP_1)
	v_xor_b32_e32 v83, v87, v83
	v_cmp_le_u64_e64 s7, v[80:81], v[82:83]
	s_and_b32 s18, s7, exec_lo
.LBB1225_241:
	s_or_b32 exec_lo, exec_lo, s16
	s_delay_alu instid0(SALU_CYCLE_1)
	s_or_not1_b32 s16, s18, exec_lo
.LBB1225_242:
	s_or_b32 exec_lo, exec_lo, s17
	v_dual_cndmask_b32 v36, v36, v37, s16 :: v_dual_cndmask_b32 v39, v39, v67, s15
	v_dual_cndmask_b32 v38, v38, v66, s15 :: v_dual_cndmask_b32 v27, v27, v65, s14
	;; [unrolled: 1-line block ×3, first 2 shown]
	s_delay_alu instid0(VALU_DEP_3)
	v_lshl_add_u32 v1, v36, 3, v1
	v_dual_cndmask_b32 v34, v34, v54, s13 :: v_dual_cndmask_b32 v49, v49, v53, s12
	v_dual_cndmask_b32 v48, v48, v52, s12 :: v_dual_cndmask_b32 v33, v33, v51, s11
	ds_load_b64 v[36:37], v1 offset:16384
	v_dual_cndmask_b32 v32, v32, v50, s11 :: v_dual_cndmask_b32 v29, v29, v31, s8
	v_dual_cndmask_b32 v28, v28, v30, s8 :: v_dual_cndmask_b32 v19, v21, v19, s10
	v_dual_cndmask_b32 v18, v20, v18, s10 :: v_dual_cndmask_b32 v21, v69, v71, s16
	v_cndmask_b32_e64 v20, v68, v70, s16
.LBB1225_243:
	s_or_b32 exec_lo, exec_lo, s9
	v_lshl_add_u64 v[2:3], v[8:9], 3, v[2:3]
	v_mov_b32_e32 v1, 0
	; wave barrier
	s_wait_storecnt_dscnt 0x0
	s_barrier_signal -1
	s_delay_alu instid0(VALU_DEP_1)
	v_add_nc_u64_e32 v[2:3], v[2:3], v[0:1]
	s_barrier_wait -1
	; wave barrier
	s_and_saveexec_b32 s7, vcc_lo
	s_cbranch_execnz .LBB1225_268
; %bb.244:
	s_or_b32 exec_lo, exec_lo, s7
	s_and_saveexec_b32 s7, s0
	s_cbranch_execnz .LBB1225_269
.LBB1225_245:
	s_or_b32 exec_lo, exec_lo, s7
	s_and_saveexec_b32 s7, s1
	s_cbranch_execnz .LBB1225_270
.LBB1225_246:
	s_or_b32 exec_lo, exec_lo, s7
	s_and_saveexec_b32 s7, s2
	s_cbranch_execnz .LBB1225_271
.LBB1225_247:
	s_or_b32 exec_lo, exec_lo, s7
	s_and_saveexec_b32 s7, s3
	s_cbranch_execnz .LBB1225_272
.LBB1225_248:
	s_or_b32 exec_lo, exec_lo, s7
	s_and_saveexec_b32 s7, s4
	s_cbranch_execnz .LBB1225_273
.LBB1225_249:
	s_or_b32 exec_lo, exec_lo, s7
	s_and_saveexec_b32 s7, s5
	s_cbranch_execnz .LBB1225_274
.LBB1225_250:
	s_or_b32 exec_lo, exec_lo, s7
	s_and_saveexec_b32 s7, s6
	s_cbranch_execz .LBB1225_252
.LBB1225_251:
	flat_store_b64 v[2:3], v[20:21] offset:56
.LBB1225_252:
	s_wait_xcnt 0x0
	s_or_b32 exec_lo, exec_lo, s7
	v_lshl_add_u64 v[2:3], v[8:9], 3, v[6:7]
	v_mov_b32_e32 v1, 0
	; wave barrier
	s_delay_alu instid0(VALU_DEP_1)
	v_add_nc_u64_e32 v[0:1], v[2:3], v[0:1]
	s_and_saveexec_b32 s7, vcc_lo
	s_cbranch_execnz .LBB1225_275
; %bb.253:
	s_or_b32 exec_lo, exec_lo, s7
	s_and_saveexec_b32 s7, s0
	s_cbranch_execnz .LBB1225_276
.LBB1225_254:
	s_or_b32 exec_lo, exec_lo, s7
	s_and_saveexec_b32 s0, s1
	s_cbranch_execnz .LBB1225_277
.LBB1225_255:
	s_or_b32 exec_lo, exec_lo, s0
	s_and_saveexec_b32 s0, s2
	s_cbranch_execnz .LBB1225_278
.LBB1225_256:
	s_or_b32 exec_lo, exec_lo, s0
	s_and_saveexec_b32 s0, s3
	s_cbranch_execnz .LBB1225_279
.LBB1225_257:
	s_or_b32 exec_lo, exec_lo, s0
	s_and_saveexec_b32 s0, s4
	s_cbranch_execnz .LBB1225_280
.LBB1225_258:
	s_or_b32 exec_lo, exec_lo, s0
	s_and_saveexec_b32 s0, s5
	s_cbranch_execnz .LBB1225_281
.LBB1225_259:
	s_or_b32 exec_lo, exec_lo, s0
	s_and_saveexec_b32 s0, s6
	s_cbranch_execnz .LBB1225_282
.LBB1225_260:
	s_or_b32 exec_lo, exec_lo, s0
	s_wait_dscnt 0x0
	s_set_pc_i64 s[30:31]
.LBB1225_261:
	flat_load_b64 v[4:5], v[50:51]
	s_wait_xcnt 0x0
	s_or_b32 exec_lo, exec_lo, s7
	s_and_saveexec_b32 s7, s0
                                        ; implicit-def: $vgpr10_vgpr11
	s_cbranch_execz .LBB1225_18
.LBB1225_262:
	flat_load_b64 v[10:11], v[50:51] offset:8
	s_wait_xcnt 0x0
	s_or_b32 exec_lo, exec_lo, s7
                                        ; implicit-def: $vgpr12_vgpr13
	s_and_saveexec_b32 s7, s1
	s_cbranch_execz .LBB1225_19
.LBB1225_263:
	flat_load_b64 v[12:13], v[50:51] offset:16
	s_wait_xcnt 0x0
	s_or_b32 exec_lo, exec_lo, s7
	s_and_saveexec_b32 s7, s2
                                        ; implicit-def: $vgpr14_vgpr15
	s_cbranch_execz .LBB1225_20
.LBB1225_264:
	flat_load_b64 v[14:15], v[50:51] offset:24
	s_wait_xcnt 0x0
	s_or_b32 exec_lo, exec_lo, s7
                                        ; implicit-def: $vgpr16_vgpr17
	s_and_saveexec_b32 s7, s3
	s_cbranch_execz .LBB1225_21
.LBB1225_265:
	flat_load_b64 v[16:17], v[50:51] offset:32
	s_wait_xcnt 0x0
	s_or_b32 exec_lo, exec_lo, s7
	s_and_saveexec_b32 s7, s4
                                        ; implicit-def: $vgpr24_vgpr25
	s_cbranch_execz .LBB1225_22
.LBB1225_266:
	flat_load_b64 v[24:25], v[50:51] offset:40
	s_wait_xcnt 0x0
	s_or_b32 exec_lo, exec_lo, s7
                                        ; implicit-def: $vgpr22_vgpr23
	s_and_saveexec_b32 s7, s5
	s_cbranch_execz .LBB1225_23
.LBB1225_267:
	flat_load_b64 v[22:23], v[50:51] offset:48
	s_wait_xcnt 0x0
	s_or_b32 exec_lo, exec_lo, s7
	s_and_saveexec_b32 s7, s6
                                        ; implicit-def: $vgpr36_vgpr37
	s_cbranch_execnz .LBB1225_24
	s_branch .LBB1225_25
.LBB1225_268:
	flat_store_b64 v[2:3], v[18:19]
	s_wait_xcnt 0x0
	s_or_b32 exec_lo, exec_lo, s7
	s_and_saveexec_b32 s7, s0
	s_cbranch_execz .LBB1225_245
.LBB1225_269:
	flat_store_b64 v[2:3], v[28:29] offset:8
	s_wait_xcnt 0x0
	s_or_b32 exec_lo, exec_lo, s7
	s_and_saveexec_b32 s7, s1
	s_cbranch_execz .LBB1225_246
.LBB1225_270:
	flat_store_b64 v[2:3], v[32:33] offset:16
	s_wait_xcnt 0x0
	s_or_b32 exec_lo, exec_lo, s7
	s_and_saveexec_b32 s7, s2
	s_cbranch_execz .LBB1225_247
.LBB1225_271:
	flat_store_b64 v[2:3], v[48:49] offset:24
	s_wait_xcnt 0x0
	s_or_b32 exec_lo, exec_lo, s7
	s_and_saveexec_b32 s7, s3
	s_cbranch_execz .LBB1225_248
.LBB1225_272:
	flat_store_b64 v[2:3], v[34:35] offset:32
	s_wait_xcnt 0x0
	s_or_b32 exec_lo, exec_lo, s7
	s_and_saveexec_b32 s7, s4
	s_cbranch_execz .LBB1225_249
.LBB1225_273:
	flat_store_b64 v[2:3], v[26:27] offset:40
	s_wait_xcnt 0x0
	s_or_b32 exec_lo, exec_lo, s7
	s_and_saveexec_b32 s7, s5
	s_cbranch_execz .LBB1225_250
.LBB1225_274:
	flat_store_b64 v[2:3], v[38:39] offset:48
	s_wait_xcnt 0x0
	s_or_b32 exec_lo, exec_lo, s7
	s_and_saveexec_b32 s7, s6
	s_cbranch_execnz .LBB1225_251
	s_branch .LBB1225_252
.LBB1225_275:
	flat_store_b64 v[0:1], v[4:5]
	s_wait_xcnt 0x0
	s_or_b32 exec_lo, exec_lo, s7
	s_and_saveexec_b32 s7, s0
	s_cbranch_execz .LBB1225_254
.LBB1225_276:
	flat_store_b64 v[0:1], v[10:11] offset:8
	s_wait_xcnt 0x0
	s_or_b32 exec_lo, exec_lo, s7
	s_and_saveexec_b32 s0, s1
	s_cbranch_execz .LBB1225_255
.LBB1225_277:
	flat_store_b64 v[0:1], v[12:13] offset:16
	s_wait_xcnt 0x0
	s_or_b32 exec_lo, exec_lo, s0
	s_and_saveexec_b32 s0, s2
	s_cbranch_execz .LBB1225_256
.LBB1225_278:
	flat_store_b64 v[0:1], v[14:15] offset:24
	s_wait_xcnt 0x0
	s_or_b32 exec_lo, exec_lo, s0
	s_and_saveexec_b32 s0, s3
	s_cbranch_execz .LBB1225_257
.LBB1225_279:
	flat_store_b64 v[0:1], v[16:17] offset:32
	s_wait_xcnt 0x0
	s_or_b32 exec_lo, exec_lo, s0
	s_and_saveexec_b32 s0, s4
	s_cbranch_execz .LBB1225_258
.LBB1225_280:
	flat_store_b64 v[0:1], v[24:25] offset:40
	s_wait_xcnt 0x0
	s_or_b32 exec_lo, exec_lo, s0
	s_and_saveexec_b32 s0, s5
	s_cbranch_execz .LBB1225_259
.LBB1225_281:
	flat_store_b64 v[0:1], v[22:23] offset:48
	s_wait_xcnt 0x0
	s_or_b32 exec_lo, exec_lo, s0
	s_and_saveexec_b32 s0, s6
	s_cbranch_execz .LBB1225_260
.LBB1225_282:
	flat_store_b64 v[0:1], v[36:37] offset:56
	s_wait_xcnt 0x0
	s_or_b32 exec_lo, exec_lo, s0
	s_wait_dscnt 0x0
	s_set_pc_i64 s[30:31]
.Lfunc_end1225:
	.size	_ZN7rocprim17ROCPRIM_400000_NS6detail26segmented_warp_sort_helperINS1_20WarpSortHelperConfigILj16ELj8ELj256EEEdlLi256ELb0EvE4sortIPKdPdPKlPlEEvT_T0_T1_T2_jjjjRNS5_12storage_typeE, .Lfunc_end1225-_ZN7rocprim17ROCPRIM_400000_NS6detail26segmented_warp_sort_helperINS1_20WarpSortHelperConfigILj16ELj8ELj256EEEdlLi256ELb0EvE4sortIPKdPdPKlPlEEvT_T0_T1_T2_jjjjRNS5_12storage_typeE
                                        ; -- End function
	.set .L_ZN7rocprim17ROCPRIM_400000_NS6detail26segmented_warp_sort_helperINS1_20WarpSortHelperConfigILj16ELj8ELj256EEEdlLi256ELb0EvE4sortIPKdPdPKlPlEEvT_T0_T1_T2_jjjjRNS5_12storage_typeE.num_vgpr, 104
	.set .L_ZN7rocprim17ROCPRIM_400000_NS6detail26segmented_warp_sort_helperINS1_20WarpSortHelperConfigILj16ELj8ELj256EEEdlLi256ELb0EvE4sortIPKdPdPKlPlEEvT_T0_T1_T2_jjjjRNS5_12storage_typeE.num_agpr, 0
	.set .L_ZN7rocprim17ROCPRIM_400000_NS6detail26segmented_warp_sort_helperINS1_20WarpSortHelperConfigILj16ELj8ELj256EEEdlLi256ELb0EvE4sortIPKdPdPKlPlEEvT_T0_T1_T2_jjjjRNS5_12storage_typeE.numbered_sgpr, 32
	.set .L_ZN7rocprim17ROCPRIM_400000_NS6detail26segmented_warp_sort_helperINS1_20WarpSortHelperConfigILj16ELj8ELj256EEEdlLi256ELb0EvE4sortIPKdPdPKlPlEEvT_T0_T1_T2_jjjjRNS5_12storage_typeE.num_named_barrier, 0
	.set .L_ZN7rocprim17ROCPRIM_400000_NS6detail26segmented_warp_sort_helperINS1_20WarpSortHelperConfigILj16ELj8ELj256EEEdlLi256ELb0EvE4sortIPKdPdPKlPlEEvT_T0_T1_T2_jjjjRNS5_12storage_typeE.private_seg_size, 0
	.set .L_ZN7rocprim17ROCPRIM_400000_NS6detail26segmented_warp_sort_helperINS1_20WarpSortHelperConfigILj16ELj8ELj256EEEdlLi256ELb0EvE4sortIPKdPdPKlPlEEvT_T0_T1_T2_jjjjRNS5_12storage_typeE.uses_vcc, 1
	.set .L_ZN7rocprim17ROCPRIM_400000_NS6detail26segmented_warp_sort_helperINS1_20WarpSortHelperConfigILj16ELj8ELj256EEEdlLi256ELb0EvE4sortIPKdPdPKlPlEEvT_T0_T1_T2_jjjjRNS5_12storage_typeE.uses_flat_scratch, 0
	.set .L_ZN7rocprim17ROCPRIM_400000_NS6detail26segmented_warp_sort_helperINS1_20WarpSortHelperConfigILj16ELj8ELj256EEEdlLi256ELb0EvE4sortIPKdPdPKlPlEEvT_T0_T1_T2_jjjjRNS5_12storage_typeE.has_dyn_sized_stack, 0
	.set .L_ZN7rocprim17ROCPRIM_400000_NS6detail26segmented_warp_sort_helperINS1_20WarpSortHelperConfigILj16ELj8ELj256EEEdlLi256ELb0EvE4sortIPKdPdPKlPlEEvT_T0_T1_T2_jjjjRNS5_12storage_typeE.has_recursion, 0
	.set .L_ZN7rocprim17ROCPRIM_400000_NS6detail26segmented_warp_sort_helperINS1_20WarpSortHelperConfigILj16ELj8ELj256EEEdlLi256ELb0EvE4sortIPKdPdPKlPlEEvT_T0_T1_T2_jjjjRNS5_12storage_typeE.has_indirect_call, 0
	.section	.AMDGPU.csdata,"",@progbits
; Function info:
; codeLenInByte = 14752
; TotalNumSgprs: 34
; NumVgprs: 104
; ScratchSize: 0
; MemoryBound: 0
	.section	.text._ZN7rocprim17ROCPRIM_400000_NS6detail17trampoline_kernelINS0_14default_configENS1_36segmented_radix_sort_config_selectorIdlEEZNS1_25segmented_radix_sort_implIS3_Lb0EPKdPdPKlPlN2at6native12_GLOBAL__N_18offset_tEEE10hipError_tPvRmT1_PNSt15iterator_traitsISK_E10value_typeET2_T3_PNSL_ISQ_E10value_typeET4_jRbjT5_SW_jjP12ihipStream_tbEUlT_E0_NS1_11comp_targetILNS1_3genE0ELNS1_11target_archE4294967295ELNS1_3gpuE0ELNS1_3repE0EEENS1_60segmented_radix_sort_warp_sort_medium_config_static_selectorELNS0_4arch9wavefront6targetE0EEEvSK_,"axG",@progbits,_ZN7rocprim17ROCPRIM_400000_NS6detail17trampoline_kernelINS0_14default_configENS1_36segmented_radix_sort_config_selectorIdlEEZNS1_25segmented_radix_sort_implIS3_Lb0EPKdPdPKlPlN2at6native12_GLOBAL__N_18offset_tEEE10hipError_tPvRmT1_PNSt15iterator_traitsISK_E10value_typeET2_T3_PNSL_ISQ_E10value_typeET4_jRbjT5_SW_jjP12ihipStream_tbEUlT_E0_NS1_11comp_targetILNS1_3genE0ELNS1_11target_archE4294967295ELNS1_3gpuE0ELNS1_3repE0EEENS1_60segmented_radix_sort_warp_sort_medium_config_static_selectorELNS0_4arch9wavefront6targetE0EEEvSK_,comdat
	.globl	_ZN7rocprim17ROCPRIM_400000_NS6detail17trampoline_kernelINS0_14default_configENS1_36segmented_radix_sort_config_selectorIdlEEZNS1_25segmented_radix_sort_implIS3_Lb0EPKdPdPKlPlN2at6native12_GLOBAL__N_18offset_tEEE10hipError_tPvRmT1_PNSt15iterator_traitsISK_E10value_typeET2_T3_PNSL_ISQ_E10value_typeET4_jRbjT5_SW_jjP12ihipStream_tbEUlT_E0_NS1_11comp_targetILNS1_3genE0ELNS1_11target_archE4294967295ELNS1_3gpuE0ELNS1_3repE0EEENS1_60segmented_radix_sort_warp_sort_medium_config_static_selectorELNS0_4arch9wavefront6targetE0EEEvSK_ ; -- Begin function _ZN7rocprim17ROCPRIM_400000_NS6detail17trampoline_kernelINS0_14default_configENS1_36segmented_radix_sort_config_selectorIdlEEZNS1_25segmented_radix_sort_implIS3_Lb0EPKdPdPKlPlN2at6native12_GLOBAL__N_18offset_tEEE10hipError_tPvRmT1_PNSt15iterator_traitsISK_E10value_typeET2_T3_PNSL_ISQ_E10value_typeET4_jRbjT5_SW_jjP12ihipStream_tbEUlT_E0_NS1_11comp_targetILNS1_3genE0ELNS1_11target_archE4294967295ELNS1_3gpuE0ELNS1_3repE0EEENS1_60segmented_radix_sort_warp_sort_medium_config_static_selectorELNS0_4arch9wavefront6targetE0EEEvSK_
	.p2align	8
	.type	_ZN7rocprim17ROCPRIM_400000_NS6detail17trampoline_kernelINS0_14default_configENS1_36segmented_radix_sort_config_selectorIdlEEZNS1_25segmented_radix_sort_implIS3_Lb0EPKdPdPKlPlN2at6native12_GLOBAL__N_18offset_tEEE10hipError_tPvRmT1_PNSt15iterator_traitsISK_E10value_typeET2_T3_PNSL_ISQ_E10value_typeET4_jRbjT5_SW_jjP12ihipStream_tbEUlT_E0_NS1_11comp_targetILNS1_3genE0ELNS1_11target_archE4294967295ELNS1_3gpuE0ELNS1_3repE0EEENS1_60segmented_radix_sort_warp_sort_medium_config_static_selectorELNS0_4arch9wavefront6targetE0EEEvSK_,@function
_ZN7rocprim17ROCPRIM_400000_NS6detail17trampoline_kernelINS0_14default_configENS1_36segmented_radix_sort_config_selectorIdlEEZNS1_25segmented_radix_sort_implIS3_Lb0EPKdPdPKlPlN2at6native12_GLOBAL__N_18offset_tEEE10hipError_tPvRmT1_PNSt15iterator_traitsISK_E10value_typeET2_T3_PNSL_ISQ_E10value_typeET4_jRbjT5_SW_jjP12ihipStream_tbEUlT_E0_NS1_11comp_targetILNS1_3genE0ELNS1_11target_archE4294967295ELNS1_3gpuE0ELNS1_3repE0EEENS1_60segmented_radix_sort_warp_sort_medium_config_static_selectorELNS0_4arch9wavefront6targetE0EEEvSK_: ; @_ZN7rocprim17ROCPRIM_400000_NS6detail17trampoline_kernelINS0_14default_configENS1_36segmented_radix_sort_config_selectorIdlEEZNS1_25segmented_radix_sort_implIS3_Lb0EPKdPdPKlPlN2at6native12_GLOBAL__N_18offset_tEEE10hipError_tPvRmT1_PNSt15iterator_traitsISK_E10value_typeET2_T3_PNSL_ISQ_E10value_typeET4_jRbjT5_SW_jjP12ihipStream_tbEUlT_E0_NS1_11comp_targetILNS1_3genE0ELNS1_11target_archE4294967295ELNS1_3gpuE0ELNS1_3repE0EEENS1_60segmented_radix_sort_warp_sort_medium_config_static_selectorELNS0_4arch9wavefront6targetE0EEEvSK_
; %bb.0:
	s_load_b32 s4, s[2:3], 0x64
	v_bfe_u32 v1, v0, 10, 10
	v_bfe_u32 v2, v0, 20, 10
	v_and_b32_e32 v3, 0x3ff, v0
	s_and_b32 s6, ttmp6, 15
	s_getreg_b32 s7, hwreg(HW_REG_IB_STS2, 6, 4)
	s_mov_b32 s32, 0
	s_wait_kmcnt 0x0
	s_lshr_b32 s5, s4, 16
	s_and_b32 s4, s4, 0xffff
	v_mad_u32_u24 v1, v2, s5, v1
	s_bfe_u32 s5, ttmp6, 0x4000c
	s_delay_alu instid0(SALU_CYCLE_1) | instskip(NEXT) | instid1(SALU_CYCLE_1)
	s_add_co_i32 s5, s5, 1
	s_mul_i32 s5, ttmp9, s5
	s_delay_alu instid0(VALU_DEP_1) | instskip(SKIP_4) | instid1(VALU_DEP_1)
	v_mad_u32 v1, v1, s4, v3
	s_load_b32 s4, s[2:3], 0x34
	s_add_co_i32 s6, s6, s5
	s_cmp_eq_u32 s7, 0
	s_cselect_b32 s5, ttmp9, s6
	v_lshrrev_b32_e32 v1, 4, v1
	s_delay_alu instid0(VALU_DEP_1) | instskip(SKIP_1) | instid1(VALU_DEP_1)
	v_lshl_add_u32 v1, s5, 4, v1
	s_wait_kmcnt 0x0
	v_cmp_gt_u32_e32 vcc_lo, s4, v1
	s_and_saveexec_b32 s4, vcc_lo
	s_cbranch_execz .LBB1226_6
; %bb.1:
	s_clause 0x1
	s_load_b64 s[8:9], s[2:3], 0x38
	s_load_b128 s[4:7], s[2:3], 0x40
	s_wait_kmcnt 0x0
	global_load_b32 v1, v1, s[8:9] scale_offset
	s_wait_loadcnt 0x0
	v_dual_add_nc_u32 v2, s5, v1 :: v_dual_add_nc_u32 v1, s7, v1
	s_delay_alu instid0(VALU_DEP_1) | instskip(NEXT) | instid1(VALU_DEP_2)
	v_mul_lo_u32 v8, v2, s4
	v_mul_lo_u32 v40, v1, s6
	s_delay_alu instid0(VALU_DEP_1)
	v_cmp_gt_u32_e32 vcc_lo, v40, v8
	s_and_b32 exec_lo, exec_lo, vcc_lo
	s_cbranch_execz .LBB1226_6
; %bb.2:
	s_clause 0x2
	s_load_b32 s4, s[2:3], 0x30
	s_load_b128 s[24:27], s[2:3], 0x20
	s_load_b256 s[36:43], s[2:3], 0x0
	s_add_nc_u64 s[20:21], s[2:3], 0x58
	s_get_pc_i64 s[22:23]
	s_add_nc_u64 s[22:23], s[22:23], _ZN7rocprim17ROCPRIM_400000_NS6detail26segmented_warp_sort_helperINS1_20WarpSortHelperConfigILj16ELj8ELj256EEEdlLi256ELb0EvE4sortIPKdPdPKlPlEEvT_T0_T1_T2_jjjjRNS5_12storage_typeE@rel64+4
	s_wait_kmcnt 0x0
	s_bitcmp0_b32 s4, 0
	s_mov_b32 s4, -1
	s_cbranch_scc0 .LBB1226_4
; %bb.3:
	v_dual_mov_b32 v31, v0 :: v_dual_mov_b32 v41, v0
	v_dual_mov_b32 v0, s36 :: v_dual_mov_b32 v1, s37
	;; [unrolled: 1-line block ×5, first 2 shown]
	v_mov_b32_e32 v9, v40
	s_mov_b64 s[6:7], s[0:1]
	s_mov_b64 s[8:9], s[20:21]
	;; [unrolled: 1-line block ×3, first 2 shown]
	s_swap_pc_i64 s[30:31], s[22:23]
	v_mov_b32_e32 v0, v41
	s_mov_b64 s[0:1], s[24:25]
	s_mov_b32 s4, 0
.LBB1226_4:
	s_delay_alu instid0(SALU_CYCLE_1)
	s_and_not1_b32 vcc_lo, exec_lo, s4
	s_cbranch_vccnz .LBB1226_6
; %bb.5:
	v_dual_mov_b32 v31, v0 :: v_dual_mov_b32 v0, s36
	v_dual_mov_b32 v1, s37 :: v_dual_mov_b32 v2, s40
	;; [unrolled: 1-line block ×5, first 2 shown]
	s_mov_b64 s[6:7], s[0:1]
	s_mov_b64 s[8:9], s[20:21]
	s_swap_pc_i64 s[30:31], s[22:23]
.LBB1226_6:
	s_endpgm
	.section	.rodata,"a",@progbits
	.p2align	6, 0x0
	.amdhsa_kernel _ZN7rocprim17ROCPRIM_400000_NS6detail17trampoline_kernelINS0_14default_configENS1_36segmented_radix_sort_config_selectorIdlEEZNS1_25segmented_radix_sort_implIS3_Lb0EPKdPdPKlPlN2at6native12_GLOBAL__N_18offset_tEEE10hipError_tPvRmT1_PNSt15iterator_traitsISK_E10value_typeET2_T3_PNSL_ISQ_E10value_typeET4_jRbjT5_SW_jjP12ihipStream_tbEUlT_E0_NS1_11comp_targetILNS1_3genE0ELNS1_11target_archE4294967295ELNS1_3gpuE0ELNS1_3repE0EEENS1_60segmented_radix_sort_warp_sort_medium_config_static_selectorELNS0_4arch9wavefront6targetE0EEEvSK_
		.amdhsa_group_segment_fixed_size 32768
		.amdhsa_private_segment_fixed_size 0
		.amdhsa_kernarg_size 344
		.amdhsa_user_sgpr_count 4
		.amdhsa_user_sgpr_dispatch_ptr 0
		.amdhsa_user_sgpr_queue_ptr 1
		.amdhsa_user_sgpr_kernarg_segment_ptr 1
		.amdhsa_user_sgpr_dispatch_id 0
		.amdhsa_user_sgpr_kernarg_preload_length 0
		.amdhsa_user_sgpr_kernarg_preload_offset 0
		.amdhsa_user_sgpr_private_segment_size 0
		.amdhsa_wavefront_size32 1
		.amdhsa_uses_dynamic_stack 0
		.amdhsa_enable_private_segment 0
		.amdhsa_system_sgpr_workgroup_id_x 1
		.amdhsa_system_sgpr_workgroup_id_y 1
		.amdhsa_system_sgpr_workgroup_id_z 0
		.amdhsa_system_sgpr_workgroup_info 0
		.amdhsa_system_vgpr_workitem_id 2
		.amdhsa_next_free_vgpr 104
		.amdhsa_next_free_sgpr 44
		.amdhsa_named_barrier_count 0
		.amdhsa_reserve_vcc 1
		.amdhsa_float_round_mode_32 0
		.amdhsa_float_round_mode_16_64 0
		.amdhsa_float_denorm_mode_32 3
		.amdhsa_float_denorm_mode_16_64 3
		.amdhsa_fp16_overflow 0
		.amdhsa_memory_ordered 1
		.amdhsa_forward_progress 1
		.amdhsa_inst_pref_size 4
		.amdhsa_round_robin_scheduling 0
		.amdhsa_exception_fp_ieee_invalid_op 0
		.amdhsa_exception_fp_denorm_src 0
		.amdhsa_exception_fp_ieee_div_zero 0
		.amdhsa_exception_fp_ieee_overflow 0
		.amdhsa_exception_fp_ieee_underflow 0
		.amdhsa_exception_fp_ieee_inexact 0
		.amdhsa_exception_int_div_zero 0
	.end_amdhsa_kernel
	.section	.text._ZN7rocprim17ROCPRIM_400000_NS6detail17trampoline_kernelINS0_14default_configENS1_36segmented_radix_sort_config_selectorIdlEEZNS1_25segmented_radix_sort_implIS3_Lb0EPKdPdPKlPlN2at6native12_GLOBAL__N_18offset_tEEE10hipError_tPvRmT1_PNSt15iterator_traitsISK_E10value_typeET2_T3_PNSL_ISQ_E10value_typeET4_jRbjT5_SW_jjP12ihipStream_tbEUlT_E0_NS1_11comp_targetILNS1_3genE0ELNS1_11target_archE4294967295ELNS1_3gpuE0ELNS1_3repE0EEENS1_60segmented_radix_sort_warp_sort_medium_config_static_selectorELNS0_4arch9wavefront6targetE0EEEvSK_,"axG",@progbits,_ZN7rocprim17ROCPRIM_400000_NS6detail17trampoline_kernelINS0_14default_configENS1_36segmented_radix_sort_config_selectorIdlEEZNS1_25segmented_radix_sort_implIS3_Lb0EPKdPdPKlPlN2at6native12_GLOBAL__N_18offset_tEEE10hipError_tPvRmT1_PNSt15iterator_traitsISK_E10value_typeET2_T3_PNSL_ISQ_E10value_typeET4_jRbjT5_SW_jjP12ihipStream_tbEUlT_E0_NS1_11comp_targetILNS1_3genE0ELNS1_11target_archE4294967295ELNS1_3gpuE0ELNS1_3repE0EEENS1_60segmented_radix_sort_warp_sort_medium_config_static_selectorELNS0_4arch9wavefront6targetE0EEEvSK_,comdat
.Lfunc_end1226:
	.size	_ZN7rocprim17ROCPRIM_400000_NS6detail17trampoline_kernelINS0_14default_configENS1_36segmented_radix_sort_config_selectorIdlEEZNS1_25segmented_radix_sort_implIS3_Lb0EPKdPdPKlPlN2at6native12_GLOBAL__N_18offset_tEEE10hipError_tPvRmT1_PNSt15iterator_traitsISK_E10value_typeET2_T3_PNSL_ISQ_E10value_typeET4_jRbjT5_SW_jjP12ihipStream_tbEUlT_E0_NS1_11comp_targetILNS1_3genE0ELNS1_11target_archE4294967295ELNS1_3gpuE0ELNS1_3repE0EEENS1_60segmented_radix_sort_warp_sort_medium_config_static_selectorELNS0_4arch9wavefront6targetE0EEEvSK_, .Lfunc_end1226-_ZN7rocprim17ROCPRIM_400000_NS6detail17trampoline_kernelINS0_14default_configENS1_36segmented_radix_sort_config_selectorIdlEEZNS1_25segmented_radix_sort_implIS3_Lb0EPKdPdPKlPlN2at6native12_GLOBAL__N_18offset_tEEE10hipError_tPvRmT1_PNSt15iterator_traitsISK_E10value_typeET2_T3_PNSL_ISQ_E10value_typeET4_jRbjT5_SW_jjP12ihipStream_tbEUlT_E0_NS1_11comp_targetILNS1_3genE0ELNS1_11target_archE4294967295ELNS1_3gpuE0ELNS1_3repE0EEENS1_60segmented_radix_sort_warp_sort_medium_config_static_selectorELNS0_4arch9wavefront6targetE0EEEvSK_
                                        ; -- End function
	.set _ZN7rocprim17ROCPRIM_400000_NS6detail17trampoline_kernelINS0_14default_configENS1_36segmented_radix_sort_config_selectorIdlEEZNS1_25segmented_radix_sort_implIS3_Lb0EPKdPdPKlPlN2at6native12_GLOBAL__N_18offset_tEEE10hipError_tPvRmT1_PNSt15iterator_traitsISK_E10value_typeET2_T3_PNSL_ISQ_E10value_typeET4_jRbjT5_SW_jjP12ihipStream_tbEUlT_E0_NS1_11comp_targetILNS1_3genE0ELNS1_11target_archE4294967295ELNS1_3gpuE0ELNS1_3repE0EEENS1_60segmented_radix_sort_warp_sort_medium_config_static_selectorELNS0_4arch9wavefront6targetE0EEEvSK_.num_vgpr, max(42, .L_ZN7rocprim17ROCPRIM_400000_NS6detail26segmented_warp_sort_helperINS1_20WarpSortHelperConfigILj16ELj8ELj256EEEdlLi256ELb0EvE4sortIPKdPdPKlPlEEvT_T0_T1_T2_jjjjRNS5_12storage_typeE.num_vgpr)
	.set _ZN7rocprim17ROCPRIM_400000_NS6detail17trampoline_kernelINS0_14default_configENS1_36segmented_radix_sort_config_selectorIdlEEZNS1_25segmented_radix_sort_implIS3_Lb0EPKdPdPKlPlN2at6native12_GLOBAL__N_18offset_tEEE10hipError_tPvRmT1_PNSt15iterator_traitsISK_E10value_typeET2_T3_PNSL_ISQ_E10value_typeET4_jRbjT5_SW_jjP12ihipStream_tbEUlT_E0_NS1_11comp_targetILNS1_3genE0ELNS1_11target_archE4294967295ELNS1_3gpuE0ELNS1_3repE0EEENS1_60segmented_radix_sort_warp_sort_medium_config_static_selectorELNS0_4arch9wavefront6targetE0EEEvSK_.num_agpr, max(0, .L_ZN7rocprim17ROCPRIM_400000_NS6detail26segmented_warp_sort_helperINS1_20WarpSortHelperConfigILj16ELj8ELj256EEEdlLi256ELb0EvE4sortIPKdPdPKlPlEEvT_T0_T1_T2_jjjjRNS5_12storage_typeE.num_agpr)
	.set _ZN7rocprim17ROCPRIM_400000_NS6detail17trampoline_kernelINS0_14default_configENS1_36segmented_radix_sort_config_selectorIdlEEZNS1_25segmented_radix_sort_implIS3_Lb0EPKdPdPKlPlN2at6native12_GLOBAL__N_18offset_tEEE10hipError_tPvRmT1_PNSt15iterator_traitsISK_E10value_typeET2_T3_PNSL_ISQ_E10value_typeET4_jRbjT5_SW_jjP12ihipStream_tbEUlT_E0_NS1_11comp_targetILNS1_3genE0ELNS1_11target_archE4294967295ELNS1_3gpuE0ELNS1_3repE0EEENS1_60segmented_radix_sort_warp_sort_medium_config_static_selectorELNS0_4arch9wavefront6targetE0EEEvSK_.numbered_sgpr, max(44, .L_ZN7rocprim17ROCPRIM_400000_NS6detail26segmented_warp_sort_helperINS1_20WarpSortHelperConfigILj16ELj8ELj256EEEdlLi256ELb0EvE4sortIPKdPdPKlPlEEvT_T0_T1_T2_jjjjRNS5_12storage_typeE.numbered_sgpr)
	.set _ZN7rocprim17ROCPRIM_400000_NS6detail17trampoline_kernelINS0_14default_configENS1_36segmented_radix_sort_config_selectorIdlEEZNS1_25segmented_radix_sort_implIS3_Lb0EPKdPdPKlPlN2at6native12_GLOBAL__N_18offset_tEEE10hipError_tPvRmT1_PNSt15iterator_traitsISK_E10value_typeET2_T3_PNSL_ISQ_E10value_typeET4_jRbjT5_SW_jjP12ihipStream_tbEUlT_E0_NS1_11comp_targetILNS1_3genE0ELNS1_11target_archE4294967295ELNS1_3gpuE0ELNS1_3repE0EEENS1_60segmented_radix_sort_warp_sort_medium_config_static_selectorELNS0_4arch9wavefront6targetE0EEEvSK_.num_named_barrier, max(0, .L_ZN7rocprim17ROCPRIM_400000_NS6detail26segmented_warp_sort_helperINS1_20WarpSortHelperConfigILj16ELj8ELj256EEEdlLi256ELb0EvE4sortIPKdPdPKlPlEEvT_T0_T1_T2_jjjjRNS5_12storage_typeE.num_named_barrier)
	.set _ZN7rocprim17ROCPRIM_400000_NS6detail17trampoline_kernelINS0_14default_configENS1_36segmented_radix_sort_config_selectorIdlEEZNS1_25segmented_radix_sort_implIS3_Lb0EPKdPdPKlPlN2at6native12_GLOBAL__N_18offset_tEEE10hipError_tPvRmT1_PNSt15iterator_traitsISK_E10value_typeET2_T3_PNSL_ISQ_E10value_typeET4_jRbjT5_SW_jjP12ihipStream_tbEUlT_E0_NS1_11comp_targetILNS1_3genE0ELNS1_11target_archE4294967295ELNS1_3gpuE0ELNS1_3repE0EEENS1_60segmented_radix_sort_warp_sort_medium_config_static_selectorELNS0_4arch9wavefront6targetE0EEEvSK_.private_seg_size, 0+max(.L_ZN7rocprim17ROCPRIM_400000_NS6detail26segmented_warp_sort_helperINS1_20WarpSortHelperConfigILj16ELj8ELj256EEEdlLi256ELb0EvE4sortIPKdPdPKlPlEEvT_T0_T1_T2_jjjjRNS5_12storage_typeE.private_seg_size)
	.set _ZN7rocprim17ROCPRIM_400000_NS6detail17trampoline_kernelINS0_14default_configENS1_36segmented_radix_sort_config_selectorIdlEEZNS1_25segmented_radix_sort_implIS3_Lb0EPKdPdPKlPlN2at6native12_GLOBAL__N_18offset_tEEE10hipError_tPvRmT1_PNSt15iterator_traitsISK_E10value_typeET2_T3_PNSL_ISQ_E10value_typeET4_jRbjT5_SW_jjP12ihipStream_tbEUlT_E0_NS1_11comp_targetILNS1_3genE0ELNS1_11target_archE4294967295ELNS1_3gpuE0ELNS1_3repE0EEENS1_60segmented_radix_sort_warp_sort_medium_config_static_selectorELNS0_4arch9wavefront6targetE0EEEvSK_.uses_vcc, or(1, .L_ZN7rocprim17ROCPRIM_400000_NS6detail26segmented_warp_sort_helperINS1_20WarpSortHelperConfigILj16ELj8ELj256EEEdlLi256ELb0EvE4sortIPKdPdPKlPlEEvT_T0_T1_T2_jjjjRNS5_12storage_typeE.uses_vcc)
	.set _ZN7rocprim17ROCPRIM_400000_NS6detail17trampoline_kernelINS0_14default_configENS1_36segmented_radix_sort_config_selectorIdlEEZNS1_25segmented_radix_sort_implIS3_Lb0EPKdPdPKlPlN2at6native12_GLOBAL__N_18offset_tEEE10hipError_tPvRmT1_PNSt15iterator_traitsISK_E10value_typeET2_T3_PNSL_ISQ_E10value_typeET4_jRbjT5_SW_jjP12ihipStream_tbEUlT_E0_NS1_11comp_targetILNS1_3genE0ELNS1_11target_archE4294967295ELNS1_3gpuE0ELNS1_3repE0EEENS1_60segmented_radix_sort_warp_sort_medium_config_static_selectorELNS0_4arch9wavefront6targetE0EEEvSK_.uses_flat_scratch, or(0, .L_ZN7rocprim17ROCPRIM_400000_NS6detail26segmented_warp_sort_helperINS1_20WarpSortHelperConfigILj16ELj8ELj256EEEdlLi256ELb0EvE4sortIPKdPdPKlPlEEvT_T0_T1_T2_jjjjRNS5_12storage_typeE.uses_flat_scratch)
	.set _ZN7rocprim17ROCPRIM_400000_NS6detail17trampoline_kernelINS0_14default_configENS1_36segmented_radix_sort_config_selectorIdlEEZNS1_25segmented_radix_sort_implIS3_Lb0EPKdPdPKlPlN2at6native12_GLOBAL__N_18offset_tEEE10hipError_tPvRmT1_PNSt15iterator_traitsISK_E10value_typeET2_T3_PNSL_ISQ_E10value_typeET4_jRbjT5_SW_jjP12ihipStream_tbEUlT_E0_NS1_11comp_targetILNS1_3genE0ELNS1_11target_archE4294967295ELNS1_3gpuE0ELNS1_3repE0EEENS1_60segmented_radix_sort_warp_sort_medium_config_static_selectorELNS0_4arch9wavefront6targetE0EEEvSK_.has_dyn_sized_stack, or(0, .L_ZN7rocprim17ROCPRIM_400000_NS6detail26segmented_warp_sort_helperINS1_20WarpSortHelperConfigILj16ELj8ELj256EEEdlLi256ELb0EvE4sortIPKdPdPKlPlEEvT_T0_T1_T2_jjjjRNS5_12storage_typeE.has_dyn_sized_stack)
	.set _ZN7rocprim17ROCPRIM_400000_NS6detail17trampoline_kernelINS0_14default_configENS1_36segmented_radix_sort_config_selectorIdlEEZNS1_25segmented_radix_sort_implIS3_Lb0EPKdPdPKlPlN2at6native12_GLOBAL__N_18offset_tEEE10hipError_tPvRmT1_PNSt15iterator_traitsISK_E10value_typeET2_T3_PNSL_ISQ_E10value_typeET4_jRbjT5_SW_jjP12ihipStream_tbEUlT_E0_NS1_11comp_targetILNS1_3genE0ELNS1_11target_archE4294967295ELNS1_3gpuE0ELNS1_3repE0EEENS1_60segmented_radix_sort_warp_sort_medium_config_static_selectorELNS0_4arch9wavefront6targetE0EEEvSK_.has_recursion, or(0, .L_ZN7rocprim17ROCPRIM_400000_NS6detail26segmented_warp_sort_helperINS1_20WarpSortHelperConfigILj16ELj8ELj256EEEdlLi256ELb0EvE4sortIPKdPdPKlPlEEvT_T0_T1_T2_jjjjRNS5_12storage_typeE.has_recursion)
	.set _ZN7rocprim17ROCPRIM_400000_NS6detail17trampoline_kernelINS0_14default_configENS1_36segmented_radix_sort_config_selectorIdlEEZNS1_25segmented_radix_sort_implIS3_Lb0EPKdPdPKlPlN2at6native12_GLOBAL__N_18offset_tEEE10hipError_tPvRmT1_PNSt15iterator_traitsISK_E10value_typeET2_T3_PNSL_ISQ_E10value_typeET4_jRbjT5_SW_jjP12ihipStream_tbEUlT_E0_NS1_11comp_targetILNS1_3genE0ELNS1_11target_archE4294967295ELNS1_3gpuE0ELNS1_3repE0EEENS1_60segmented_radix_sort_warp_sort_medium_config_static_selectorELNS0_4arch9wavefront6targetE0EEEvSK_.has_indirect_call, or(0, .L_ZN7rocprim17ROCPRIM_400000_NS6detail26segmented_warp_sort_helperINS1_20WarpSortHelperConfigILj16ELj8ELj256EEEdlLi256ELb0EvE4sortIPKdPdPKlPlEEvT_T0_T1_T2_jjjjRNS5_12storage_typeE.has_indirect_call)
	.section	.AMDGPU.csdata,"",@progbits
; Kernel info:
; codeLenInByte = 456
; TotalNumSgprs: 46
; NumVgprs: 104
; ScratchSize: 0
; MemoryBound: 0
; FloatMode: 240
; IeeeMode: 1
; LDSByteSize: 32768 bytes/workgroup (compile time only)
; SGPRBlocks: 0
; VGPRBlocks: 6
; NumSGPRsForWavesPerEU: 46
; NumVGPRsForWavesPerEU: 104
; NamedBarCnt: 0
; Occupancy: 9
; WaveLimiterHint : 0
; COMPUTE_PGM_RSRC2:SCRATCH_EN: 0
; COMPUTE_PGM_RSRC2:USER_SGPR: 4
; COMPUTE_PGM_RSRC2:TRAP_HANDLER: 0
; COMPUTE_PGM_RSRC2:TGID_X_EN: 1
; COMPUTE_PGM_RSRC2:TGID_Y_EN: 1
; COMPUTE_PGM_RSRC2:TGID_Z_EN: 0
; COMPUTE_PGM_RSRC2:TIDIG_COMP_CNT: 2
	.section	.text._ZN7rocprim17ROCPRIM_400000_NS6detail17trampoline_kernelINS0_14default_configENS1_36segmented_radix_sort_config_selectorIdlEEZNS1_25segmented_radix_sort_implIS3_Lb0EPKdPdPKlPlN2at6native12_GLOBAL__N_18offset_tEEE10hipError_tPvRmT1_PNSt15iterator_traitsISK_E10value_typeET2_T3_PNSL_ISQ_E10value_typeET4_jRbjT5_SW_jjP12ihipStream_tbEUlT_E0_NS1_11comp_targetILNS1_3genE5ELNS1_11target_archE942ELNS1_3gpuE9ELNS1_3repE0EEENS1_60segmented_radix_sort_warp_sort_medium_config_static_selectorELNS0_4arch9wavefront6targetE0EEEvSK_,"axG",@progbits,_ZN7rocprim17ROCPRIM_400000_NS6detail17trampoline_kernelINS0_14default_configENS1_36segmented_radix_sort_config_selectorIdlEEZNS1_25segmented_radix_sort_implIS3_Lb0EPKdPdPKlPlN2at6native12_GLOBAL__N_18offset_tEEE10hipError_tPvRmT1_PNSt15iterator_traitsISK_E10value_typeET2_T3_PNSL_ISQ_E10value_typeET4_jRbjT5_SW_jjP12ihipStream_tbEUlT_E0_NS1_11comp_targetILNS1_3genE5ELNS1_11target_archE942ELNS1_3gpuE9ELNS1_3repE0EEENS1_60segmented_radix_sort_warp_sort_medium_config_static_selectorELNS0_4arch9wavefront6targetE0EEEvSK_,comdat
	.globl	_ZN7rocprim17ROCPRIM_400000_NS6detail17trampoline_kernelINS0_14default_configENS1_36segmented_radix_sort_config_selectorIdlEEZNS1_25segmented_radix_sort_implIS3_Lb0EPKdPdPKlPlN2at6native12_GLOBAL__N_18offset_tEEE10hipError_tPvRmT1_PNSt15iterator_traitsISK_E10value_typeET2_T3_PNSL_ISQ_E10value_typeET4_jRbjT5_SW_jjP12ihipStream_tbEUlT_E0_NS1_11comp_targetILNS1_3genE5ELNS1_11target_archE942ELNS1_3gpuE9ELNS1_3repE0EEENS1_60segmented_radix_sort_warp_sort_medium_config_static_selectorELNS0_4arch9wavefront6targetE0EEEvSK_ ; -- Begin function _ZN7rocprim17ROCPRIM_400000_NS6detail17trampoline_kernelINS0_14default_configENS1_36segmented_radix_sort_config_selectorIdlEEZNS1_25segmented_radix_sort_implIS3_Lb0EPKdPdPKlPlN2at6native12_GLOBAL__N_18offset_tEEE10hipError_tPvRmT1_PNSt15iterator_traitsISK_E10value_typeET2_T3_PNSL_ISQ_E10value_typeET4_jRbjT5_SW_jjP12ihipStream_tbEUlT_E0_NS1_11comp_targetILNS1_3genE5ELNS1_11target_archE942ELNS1_3gpuE9ELNS1_3repE0EEENS1_60segmented_radix_sort_warp_sort_medium_config_static_selectorELNS0_4arch9wavefront6targetE0EEEvSK_
	.p2align	8
	.type	_ZN7rocprim17ROCPRIM_400000_NS6detail17trampoline_kernelINS0_14default_configENS1_36segmented_radix_sort_config_selectorIdlEEZNS1_25segmented_radix_sort_implIS3_Lb0EPKdPdPKlPlN2at6native12_GLOBAL__N_18offset_tEEE10hipError_tPvRmT1_PNSt15iterator_traitsISK_E10value_typeET2_T3_PNSL_ISQ_E10value_typeET4_jRbjT5_SW_jjP12ihipStream_tbEUlT_E0_NS1_11comp_targetILNS1_3genE5ELNS1_11target_archE942ELNS1_3gpuE9ELNS1_3repE0EEENS1_60segmented_radix_sort_warp_sort_medium_config_static_selectorELNS0_4arch9wavefront6targetE0EEEvSK_,@function
_ZN7rocprim17ROCPRIM_400000_NS6detail17trampoline_kernelINS0_14default_configENS1_36segmented_radix_sort_config_selectorIdlEEZNS1_25segmented_radix_sort_implIS3_Lb0EPKdPdPKlPlN2at6native12_GLOBAL__N_18offset_tEEE10hipError_tPvRmT1_PNSt15iterator_traitsISK_E10value_typeET2_T3_PNSL_ISQ_E10value_typeET4_jRbjT5_SW_jjP12ihipStream_tbEUlT_E0_NS1_11comp_targetILNS1_3genE5ELNS1_11target_archE942ELNS1_3gpuE9ELNS1_3repE0EEENS1_60segmented_radix_sort_warp_sort_medium_config_static_selectorELNS0_4arch9wavefront6targetE0EEEvSK_: ; @_ZN7rocprim17ROCPRIM_400000_NS6detail17trampoline_kernelINS0_14default_configENS1_36segmented_radix_sort_config_selectorIdlEEZNS1_25segmented_radix_sort_implIS3_Lb0EPKdPdPKlPlN2at6native12_GLOBAL__N_18offset_tEEE10hipError_tPvRmT1_PNSt15iterator_traitsISK_E10value_typeET2_T3_PNSL_ISQ_E10value_typeET4_jRbjT5_SW_jjP12ihipStream_tbEUlT_E0_NS1_11comp_targetILNS1_3genE5ELNS1_11target_archE942ELNS1_3gpuE9ELNS1_3repE0EEENS1_60segmented_radix_sort_warp_sort_medium_config_static_selectorELNS0_4arch9wavefront6targetE0EEEvSK_
; %bb.0:
	.section	.rodata,"a",@progbits
	.p2align	6, 0x0
	.amdhsa_kernel _ZN7rocprim17ROCPRIM_400000_NS6detail17trampoline_kernelINS0_14default_configENS1_36segmented_radix_sort_config_selectorIdlEEZNS1_25segmented_radix_sort_implIS3_Lb0EPKdPdPKlPlN2at6native12_GLOBAL__N_18offset_tEEE10hipError_tPvRmT1_PNSt15iterator_traitsISK_E10value_typeET2_T3_PNSL_ISQ_E10value_typeET4_jRbjT5_SW_jjP12ihipStream_tbEUlT_E0_NS1_11comp_targetILNS1_3genE5ELNS1_11target_archE942ELNS1_3gpuE9ELNS1_3repE0EEENS1_60segmented_radix_sort_warp_sort_medium_config_static_selectorELNS0_4arch9wavefront6targetE0EEEvSK_
		.amdhsa_group_segment_fixed_size 0
		.amdhsa_private_segment_fixed_size 0
		.amdhsa_kernarg_size 88
		.amdhsa_user_sgpr_count 2
		.amdhsa_user_sgpr_dispatch_ptr 0
		.amdhsa_user_sgpr_queue_ptr 0
		.amdhsa_user_sgpr_kernarg_segment_ptr 1
		.amdhsa_user_sgpr_dispatch_id 0
		.amdhsa_user_sgpr_kernarg_preload_length 0
		.amdhsa_user_sgpr_kernarg_preload_offset 0
		.amdhsa_user_sgpr_private_segment_size 0
		.amdhsa_wavefront_size32 1
		.amdhsa_uses_dynamic_stack 0
		.amdhsa_enable_private_segment 0
		.amdhsa_system_sgpr_workgroup_id_x 1
		.amdhsa_system_sgpr_workgroup_id_y 0
		.amdhsa_system_sgpr_workgroup_id_z 0
		.amdhsa_system_sgpr_workgroup_info 0
		.amdhsa_system_vgpr_workitem_id 0
		.amdhsa_next_free_vgpr 1
		.amdhsa_next_free_sgpr 1
		.amdhsa_named_barrier_count 0
		.amdhsa_reserve_vcc 0
		.amdhsa_float_round_mode_32 0
		.amdhsa_float_round_mode_16_64 0
		.amdhsa_float_denorm_mode_32 3
		.amdhsa_float_denorm_mode_16_64 3
		.amdhsa_fp16_overflow 0
		.amdhsa_memory_ordered 1
		.amdhsa_forward_progress 1
		.amdhsa_inst_pref_size 0
		.amdhsa_round_robin_scheduling 0
		.amdhsa_exception_fp_ieee_invalid_op 0
		.amdhsa_exception_fp_denorm_src 0
		.amdhsa_exception_fp_ieee_div_zero 0
		.amdhsa_exception_fp_ieee_overflow 0
		.amdhsa_exception_fp_ieee_underflow 0
		.amdhsa_exception_fp_ieee_inexact 0
		.amdhsa_exception_int_div_zero 0
	.end_amdhsa_kernel
	.section	.text._ZN7rocprim17ROCPRIM_400000_NS6detail17trampoline_kernelINS0_14default_configENS1_36segmented_radix_sort_config_selectorIdlEEZNS1_25segmented_radix_sort_implIS3_Lb0EPKdPdPKlPlN2at6native12_GLOBAL__N_18offset_tEEE10hipError_tPvRmT1_PNSt15iterator_traitsISK_E10value_typeET2_T3_PNSL_ISQ_E10value_typeET4_jRbjT5_SW_jjP12ihipStream_tbEUlT_E0_NS1_11comp_targetILNS1_3genE5ELNS1_11target_archE942ELNS1_3gpuE9ELNS1_3repE0EEENS1_60segmented_radix_sort_warp_sort_medium_config_static_selectorELNS0_4arch9wavefront6targetE0EEEvSK_,"axG",@progbits,_ZN7rocprim17ROCPRIM_400000_NS6detail17trampoline_kernelINS0_14default_configENS1_36segmented_radix_sort_config_selectorIdlEEZNS1_25segmented_radix_sort_implIS3_Lb0EPKdPdPKlPlN2at6native12_GLOBAL__N_18offset_tEEE10hipError_tPvRmT1_PNSt15iterator_traitsISK_E10value_typeET2_T3_PNSL_ISQ_E10value_typeET4_jRbjT5_SW_jjP12ihipStream_tbEUlT_E0_NS1_11comp_targetILNS1_3genE5ELNS1_11target_archE942ELNS1_3gpuE9ELNS1_3repE0EEENS1_60segmented_radix_sort_warp_sort_medium_config_static_selectorELNS0_4arch9wavefront6targetE0EEEvSK_,comdat
.Lfunc_end1227:
	.size	_ZN7rocprim17ROCPRIM_400000_NS6detail17trampoline_kernelINS0_14default_configENS1_36segmented_radix_sort_config_selectorIdlEEZNS1_25segmented_radix_sort_implIS3_Lb0EPKdPdPKlPlN2at6native12_GLOBAL__N_18offset_tEEE10hipError_tPvRmT1_PNSt15iterator_traitsISK_E10value_typeET2_T3_PNSL_ISQ_E10value_typeET4_jRbjT5_SW_jjP12ihipStream_tbEUlT_E0_NS1_11comp_targetILNS1_3genE5ELNS1_11target_archE942ELNS1_3gpuE9ELNS1_3repE0EEENS1_60segmented_radix_sort_warp_sort_medium_config_static_selectorELNS0_4arch9wavefront6targetE0EEEvSK_, .Lfunc_end1227-_ZN7rocprim17ROCPRIM_400000_NS6detail17trampoline_kernelINS0_14default_configENS1_36segmented_radix_sort_config_selectorIdlEEZNS1_25segmented_radix_sort_implIS3_Lb0EPKdPdPKlPlN2at6native12_GLOBAL__N_18offset_tEEE10hipError_tPvRmT1_PNSt15iterator_traitsISK_E10value_typeET2_T3_PNSL_ISQ_E10value_typeET4_jRbjT5_SW_jjP12ihipStream_tbEUlT_E0_NS1_11comp_targetILNS1_3genE5ELNS1_11target_archE942ELNS1_3gpuE9ELNS1_3repE0EEENS1_60segmented_radix_sort_warp_sort_medium_config_static_selectorELNS0_4arch9wavefront6targetE0EEEvSK_
                                        ; -- End function
	.set _ZN7rocprim17ROCPRIM_400000_NS6detail17trampoline_kernelINS0_14default_configENS1_36segmented_radix_sort_config_selectorIdlEEZNS1_25segmented_radix_sort_implIS3_Lb0EPKdPdPKlPlN2at6native12_GLOBAL__N_18offset_tEEE10hipError_tPvRmT1_PNSt15iterator_traitsISK_E10value_typeET2_T3_PNSL_ISQ_E10value_typeET4_jRbjT5_SW_jjP12ihipStream_tbEUlT_E0_NS1_11comp_targetILNS1_3genE5ELNS1_11target_archE942ELNS1_3gpuE9ELNS1_3repE0EEENS1_60segmented_radix_sort_warp_sort_medium_config_static_selectorELNS0_4arch9wavefront6targetE0EEEvSK_.num_vgpr, 0
	.set _ZN7rocprim17ROCPRIM_400000_NS6detail17trampoline_kernelINS0_14default_configENS1_36segmented_radix_sort_config_selectorIdlEEZNS1_25segmented_radix_sort_implIS3_Lb0EPKdPdPKlPlN2at6native12_GLOBAL__N_18offset_tEEE10hipError_tPvRmT1_PNSt15iterator_traitsISK_E10value_typeET2_T3_PNSL_ISQ_E10value_typeET4_jRbjT5_SW_jjP12ihipStream_tbEUlT_E0_NS1_11comp_targetILNS1_3genE5ELNS1_11target_archE942ELNS1_3gpuE9ELNS1_3repE0EEENS1_60segmented_radix_sort_warp_sort_medium_config_static_selectorELNS0_4arch9wavefront6targetE0EEEvSK_.num_agpr, 0
	.set _ZN7rocprim17ROCPRIM_400000_NS6detail17trampoline_kernelINS0_14default_configENS1_36segmented_radix_sort_config_selectorIdlEEZNS1_25segmented_radix_sort_implIS3_Lb0EPKdPdPKlPlN2at6native12_GLOBAL__N_18offset_tEEE10hipError_tPvRmT1_PNSt15iterator_traitsISK_E10value_typeET2_T3_PNSL_ISQ_E10value_typeET4_jRbjT5_SW_jjP12ihipStream_tbEUlT_E0_NS1_11comp_targetILNS1_3genE5ELNS1_11target_archE942ELNS1_3gpuE9ELNS1_3repE0EEENS1_60segmented_radix_sort_warp_sort_medium_config_static_selectorELNS0_4arch9wavefront6targetE0EEEvSK_.numbered_sgpr, 0
	.set _ZN7rocprim17ROCPRIM_400000_NS6detail17trampoline_kernelINS0_14default_configENS1_36segmented_radix_sort_config_selectorIdlEEZNS1_25segmented_radix_sort_implIS3_Lb0EPKdPdPKlPlN2at6native12_GLOBAL__N_18offset_tEEE10hipError_tPvRmT1_PNSt15iterator_traitsISK_E10value_typeET2_T3_PNSL_ISQ_E10value_typeET4_jRbjT5_SW_jjP12ihipStream_tbEUlT_E0_NS1_11comp_targetILNS1_3genE5ELNS1_11target_archE942ELNS1_3gpuE9ELNS1_3repE0EEENS1_60segmented_radix_sort_warp_sort_medium_config_static_selectorELNS0_4arch9wavefront6targetE0EEEvSK_.num_named_barrier, 0
	.set _ZN7rocprim17ROCPRIM_400000_NS6detail17trampoline_kernelINS0_14default_configENS1_36segmented_radix_sort_config_selectorIdlEEZNS1_25segmented_radix_sort_implIS3_Lb0EPKdPdPKlPlN2at6native12_GLOBAL__N_18offset_tEEE10hipError_tPvRmT1_PNSt15iterator_traitsISK_E10value_typeET2_T3_PNSL_ISQ_E10value_typeET4_jRbjT5_SW_jjP12ihipStream_tbEUlT_E0_NS1_11comp_targetILNS1_3genE5ELNS1_11target_archE942ELNS1_3gpuE9ELNS1_3repE0EEENS1_60segmented_radix_sort_warp_sort_medium_config_static_selectorELNS0_4arch9wavefront6targetE0EEEvSK_.private_seg_size, 0
	.set _ZN7rocprim17ROCPRIM_400000_NS6detail17trampoline_kernelINS0_14default_configENS1_36segmented_radix_sort_config_selectorIdlEEZNS1_25segmented_radix_sort_implIS3_Lb0EPKdPdPKlPlN2at6native12_GLOBAL__N_18offset_tEEE10hipError_tPvRmT1_PNSt15iterator_traitsISK_E10value_typeET2_T3_PNSL_ISQ_E10value_typeET4_jRbjT5_SW_jjP12ihipStream_tbEUlT_E0_NS1_11comp_targetILNS1_3genE5ELNS1_11target_archE942ELNS1_3gpuE9ELNS1_3repE0EEENS1_60segmented_radix_sort_warp_sort_medium_config_static_selectorELNS0_4arch9wavefront6targetE0EEEvSK_.uses_vcc, 0
	.set _ZN7rocprim17ROCPRIM_400000_NS6detail17trampoline_kernelINS0_14default_configENS1_36segmented_radix_sort_config_selectorIdlEEZNS1_25segmented_radix_sort_implIS3_Lb0EPKdPdPKlPlN2at6native12_GLOBAL__N_18offset_tEEE10hipError_tPvRmT1_PNSt15iterator_traitsISK_E10value_typeET2_T3_PNSL_ISQ_E10value_typeET4_jRbjT5_SW_jjP12ihipStream_tbEUlT_E0_NS1_11comp_targetILNS1_3genE5ELNS1_11target_archE942ELNS1_3gpuE9ELNS1_3repE0EEENS1_60segmented_radix_sort_warp_sort_medium_config_static_selectorELNS0_4arch9wavefront6targetE0EEEvSK_.uses_flat_scratch, 0
	.set _ZN7rocprim17ROCPRIM_400000_NS6detail17trampoline_kernelINS0_14default_configENS1_36segmented_radix_sort_config_selectorIdlEEZNS1_25segmented_radix_sort_implIS3_Lb0EPKdPdPKlPlN2at6native12_GLOBAL__N_18offset_tEEE10hipError_tPvRmT1_PNSt15iterator_traitsISK_E10value_typeET2_T3_PNSL_ISQ_E10value_typeET4_jRbjT5_SW_jjP12ihipStream_tbEUlT_E0_NS1_11comp_targetILNS1_3genE5ELNS1_11target_archE942ELNS1_3gpuE9ELNS1_3repE0EEENS1_60segmented_radix_sort_warp_sort_medium_config_static_selectorELNS0_4arch9wavefront6targetE0EEEvSK_.has_dyn_sized_stack, 0
	.set _ZN7rocprim17ROCPRIM_400000_NS6detail17trampoline_kernelINS0_14default_configENS1_36segmented_radix_sort_config_selectorIdlEEZNS1_25segmented_radix_sort_implIS3_Lb0EPKdPdPKlPlN2at6native12_GLOBAL__N_18offset_tEEE10hipError_tPvRmT1_PNSt15iterator_traitsISK_E10value_typeET2_T3_PNSL_ISQ_E10value_typeET4_jRbjT5_SW_jjP12ihipStream_tbEUlT_E0_NS1_11comp_targetILNS1_3genE5ELNS1_11target_archE942ELNS1_3gpuE9ELNS1_3repE0EEENS1_60segmented_radix_sort_warp_sort_medium_config_static_selectorELNS0_4arch9wavefront6targetE0EEEvSK_.has_recursion, 0
	.set _ZN7rocprim17ROCPRIM_400000_NS6detail17trampoline_kernelINS0_14default_configENS1_36segmented_radix_sort_config_selectorIdlEEZNS1_25segmented_radix_sort_implIS3_Lb0EPKdPdPKlPlN2at6native12_GLOBAL__N_18offset_tEEE10hipError_tPvRmT1_PNSt15iterator_traitsISK_E10value_typeET2_T3_PNSL_ISQ_E10value_typeET4_jRbjT5_SW_jjP12ihipStream_tbEUlT_E0_NS1_11comp_targetILNS1_3genE5ELNS1_11target_archE942ELNS1_3gpuE9ELNS1_3repE0EEENS1_60segmented_radix_sort_warp_sort_medium_config_static_selectorELNS0_4arch9wavefront6targetE0EEEvSK_.has_indirect_call, 0
	.section	.AMDGPU.csdata,"",@progbits
; Kernel info:
; codeLenInByte = 0
; TotalNumSgprs: 0
; NumVgprs: 0
; ScratchSize: 0
; MemoryBound: 0
; FloatMode: 240
; IeeeMode: 1
; LDSByteSize: 0 bytes/workgroup (compile time only)
; SGPRBlocks: 0
; VGPRBlocks: 0
; NumSGPRsForWavesPerEU: 1
; NumVGPRsForWavesPerEU: 1
; NamedBarCnt: 0
; Occupancy: 16
; WaveLimiterHint : 0
; COMPUTE_PGM_RSRC2:SCRATCH_EN: 0
; COMPUTE_PGM_RSRC2:USER_SGPR: 2
; COMPUTE_PGM_RSRC2:TRAP_HANDLER: 0
; COMPUTE_PGM_RSRC2:TGID_X_EN: 1
; COMPUTE_PGM_RSRC2:TGID_Y_EN: 0
; COMPUTE_PGM_RSRC2:TGID_Z_EN: 0
; COMPUTE_PGM_RSRC2:TIDIG_COMP_CNT: 0
	.section	.text._ZN7rocprim17ROCPRIM_400000_NS6detail17trampoline_kernelINS0_14default_configENS1_36segmented_radix_sort_config_selectorIdlEEZNS1_25segmented_radix_sort_implIS3_Lb0EPKdPdPKlPlN2at6native12_GLOBAL__N_18offset_tEEE10hipError_tPvRmT1_PNSt15iterator_traitsISK_E10value_typeET2_T3_PNSL_ISQ_E10value_typeET4_jRbjT5_SW_jjP12ihipStream_tbEUlT_E0_NS1_11comp_targetILNS1_3genE4ELNS1_11target_archE910ELNS1_3gpuE8ELNS1_3repE0EEENS1_60segmented_radix_sort_warp_sort_medium_config_static_selectorELNS0_4arch9wavefront6targetE0EEEvSK_,"axG",@progbits,_ZN7rocprim17ROCPRIM_400000_NS6detail17trampoline_kernelINS0_14default_configENS1_36segmented_radix_sort_config_selectorIdlEEZNS1_25segmented_radix_sort_implIS3_Lb0EPKdPdPKlPlN2at6native12_GLOBAL__N_18offset_tEEE10hipError_tPvRmT1_PNSt15iterator_traitsISK_E10value_typeET2_T3_PNSL_ISQ_E10value_typeET4_jRbjT5_SW_jjP12ihipStream_tbEUlT_E0_NS1_11comp_targetILNS1_3genE4ELNS1_11target_archE910ELNS1_3gpuE8ELNS1_3repE0EEENS1_60segmented_radix_sort_warp_sort_medium_config_static_selectorELNS0_4arch9wavefront6targetE0EEEvSK_,comdat
	.globl	_ZN7rocprim17ROCPRIM_400000_NS6detail17trampoline_kernelINS0_14default_configENS1_36segmented_radix_sort_config_selectorIdlEEZNS1_25segmented_radix_sort_implIS3_Lb0EPKdPdPKlPlN2at6native12_GLOBAL__N_18offset_tEEE10hipError_tPvRmT1_PNSt15iterator_traitsISK_E10value_typeET2_T3_PNSL_ISQ_E10value_typeET4_jRbjT5_SW_jjP12ihipStream_tbEUlT_E0_NS1_11comp_targetILNS1_3genE4ELNS1_11target_archE910ELNS1_3gpuE8ELNS1_3repE0EEENS1_60segmented_radix_sort_warp_sort_medium_config_static_selectorELNS0_4arch9wavefront6targetE0EEEvSK_ ; -- Begin function _ZN7rocprim17ROCPRIM_400000_NS6detail17trampoline_kernelINS0_14default_configENS1_36segmented_radix_sort_config_selectorIdlEEZNS1_25segmented_radix_sort_implIS3_Lb0EPKdPdPKlPlN2at6native12_GLOBAL__N_18offset_tEEE10hipError_tPvRmT1_PNSt15iterator_traitsISK_E10value_typeET2_T3_PNSL_ISQ_E10value_typeET4_jRbjT5_SW_jjP12ihipStream_tbEUlT_E0_NS1_11comp_targetILNS1_3genE4ELNS1_11target_archE910ELNS1_3gpuE8ELNS1_3repE0EEENS1_60segmented_radix_sort_warp_sort_medium_config_static_selectorELNS0_4arch9wavefront6targetE0EEEvSK_
	.p2align	8
	.type	_ZN7rocprim17ROCPRIM_400000_NS6detail17trampoline_kernelINS0_14default_configENS1_36segmented_radix_sort_config_selectorIdlEEZNS1_25segmented_radix_sort_implIS3_Lb0EPKdPdPKlPlN2at6native12_GLOBAL__N_18offset_tEEE10hipError_tPvRmT1_PNSt15iterator_traitsISK_E10value_typeET2_T3_PNSL_ISQ_E10value_typeET4_jRbjT5_SW_jjP12ihipStream_tbEUlT_E0_NS1_11comp_targetILNS1_3genE4ELNS1_11target_archE910ELNS1_3gpuE8ELNS1_3repE0EEENS1_60segmented_radix_sort_warp_sort_medium_config_static_selectorELNS0_4arch9wavefront6targetE0EEEvSK_,@function
_ZN7rocprim17ROCPRIM_400000_NS6detail17trampoline_kernelINS0_14default_configENS1_36segmented_radix_sort_config_selectorIdlEEZNS1_25segmented_radix_sort_implIS3_Lb0EPKdPdPKlPlN2at6native12_GLOBAL__N_18offset_tEEE10hipError_tPvRmT1_PNSt15iterator_traitsISK_E10value_typeET2_T3_PNSL_ISQ_E10value_typeET4_jRbjT5_SW_jjP12ihipStream_tbEUlT_E0_NS1_11comp_targetILNS1_3genE4ELNS1_11target_archE910ELNS1_3gpuE8ELNS1_3repE0EEENS1_60segmented_radix_sort_warp_sort_medium_config_static_selectorELNS0_4arch9wavefront6targetE0EEEvSK_: ; @_ZN7rocprim17ROCPRIM_400000_NS6detail17trampoline_kernelINS0_14default_configENS1_36segmented_radix_sort_config_selectorIdlEEZNS1_25segmented_radix_sort_implIS3_Lb0EPKdPdPKlPlN2at6native12_GLOBAL__N_18offset_tEEE10hipError_tPvRmT1_PNSt15iterator_traitsISK_E10value_typeET2_T3_PNSL_ISQ_E10value_typeET4_jRbjT5_SW_jjP12ihipStream_tbEUlT_E0_NS1_11comp_targetILNS1_3genE4ELNS1_11target_archE910ELNS1_3gpuE8ELNS1_3repE0EEENS1_60segmented_radix_sort_warp_sort_medium_config_static_selectorELNS0_4arch9wavefront6targetE0EEEvSK_
; %bb.0:
	.section	.rodata,"a",@progbits
	.p2align	6, 0x0
	.amdhsa_kernel _ZN7rocprim17ROCPRIM_400000_NS6detail17trampoline_kernelINS0_14default_configENS1_36segmented_radix_sort_config_selectorIdlEEZNS1_25segmented_radix_sort_implIS3_Lb0EPKdPdPKlPlN2at6native12_GLOBAL__N_18offset_tEEE10hipError_tPvRmT1_PNSt15iterator_traitsISK_E10value_typeET2_T3_PNSL_ISQ_E10value_typeET4_jRbjT5_SW_jjP12ihipStream_tbEUlT_E0_NS1_11comp_targetILNS1_3genE4ELNS1_11target_archE910ELNS1_3gpuE8ELNS1_3repE0EEENS1_60segmented_radix_sort_warp_sort_medium_config_static_selectorELNS0_4arch9wavefront6targetE0EEEvSK_
		.amdhsa_group_segment_fixed_size 0
		.amdhsa_private_segment_fixed_size 0
		.amdhsa_kernarg_size 88
		.amdhsa_user_sgpr_count 2
		.amdhsa_user_sgpr_dispatch_ptr 0
		.amdhsa_user_sgpr_queue_ptr 0
		.amdhsa_user_sgpr_kernarg_segment_ptr 1
		.amdhsa_user_sgpr_dispatch_id 0
		.amdhsa_user_sgpr_kernarg_preload_length 0
		.amdhsa_user_sgpr_kernarg_preload_offset 0
		.amdhsa_user_sgpr_private_segment_size 0
		.amdhsa_wavefront_size32 1
		.amdhsa_uses_dynamic_stack 0
		.amdhsa_enable_private_segment 0
		.amdhsa_system_sgpr_workgroup_id_x 1
		.amdhsa_system_sgpr_workgroup_id_y 0
		.amdhsa_system_sgpr_workgroup_id_z 0
		.amdhsa_system_sgpr_workgroup_info 0
		.amdhsa_system_vgpr_workitem_id 0
		.amdhsa_next_free_vgpr 1
		.amdhsa_next_free_sgpr 1
		.amdhsa_named_barrier_count 0
		.amdhsa_reserve_vcc 0
		.amdhsa_float_round_mode_32 0
		.amdhsa_float_round_mode_16_64 0
		.amdhsa_float_denorm_mode_32 3
		.amdhsa_float_denorm_mode_16_64 3
		.amdhsa_fp16_overflow 0
		.amdhsa_memory_ordered 1
		.amdhsa_forward_progress 1
		.amdhsa_inst_pref_size 0
		.amdhsa_round_robin_scheduling 0
		.amdhsa_exception_fp_ieee_invalid_op 0
		.amdhsa_exception_fp_denorm_src 0
		.amdhsa_exception_fp_ieee_div_zero 0
		.amdhsa_exception_fp_ieee_overflow 0
		.amdhsa_exception_fp_ieee_underflow 0
		.amdhsa_exception_fp_ieee_inexact 0
		.amdhsa_exception_int_div_zero 0
	.end_amdhsa_kernel
	.section	.text._ZN7rocprim17ROCPRIM_400000_NS6detail17trampoline_kernelINS0_14default_configENS1_36segmented_radix_sort_config_selectorIdlEEZNS1_25segmented_radix_sort_implIS3_Lb0EPKdPdPKlPlN2at6native12_GLOBAL__N_18offset_tEEE10hipError_tPvRmT1_PNSt15iterator_traitsISK_E10value_typeET2_T3_PNSL_ISQ_E10value_typeET4_jRbjT5_SW_jjP12ihipStream_tbEUlT_E0_NS1_11comp_targetILNS1_3genE4ELNS1_11target_archE910ELNS1_3gpuE8ELNS1_3repE0EEENS1_60segmented_radix_sort_warp_sort_medium_config_static_selectorELNS0_4arch9wavefront6targetE0EEEvSK_,"axG",@progbits,_ZN7rocprim17ROCPRIM_400000_NS6detail17trampoline_kernelINS0_14default_configENS1_36segmented_radix_sort_config_selectorIdlEEZNS1_25segmented_radix_sort_implIS3_Lb0EPKdPdPKlPlN2at6native12_GLOBAL__N_18offset_tEEE10hipError_tPvRmT1_PNSt15iterator_traitsISK_E10value_typeET2_T3_PNSL_ISQ_E10value_typeET4_jRbjT5_SW_jjP12ihipStream_tbEUlT_E0_NS1_11comp_targetILNS1_3genE4ELNS1_11target_archE910ELNS1_3gpuE8ELNS1_3repE0EEENS1_60segmented_radix_sort_warp_sort_medium_config_static_selectorELNS0_4arch9wavefront6targetE0EEEvSK_,comdat
.Lfunc_end1228:
	.size	_ZN7rocprim17ROCPRIM_400000_NS6detail17trampoline_kernelINS0_14default_configENS1_36segmented_radix_sort_config_selectorIdlEEZNS1_25segmented_radix_sort_implIS3_Lb0EPKdPdPKlPlN2at6native12_GLOBAL__N_18offset_tEEE10hipError_tPvRmT1_PNSt15iterator_traitsISK_E10value_typeET2_T3_PNSL_ISQ_E10value_typeET4_jRbjT5_SW_jjP12ihipStream_tbEUlT_E0_NS1_11comp_targetILNS1_3genE4ELNS1_11target_archE910ELNS1_3gpuE8ELNS1_3repE0EEENS1_60segmented_radix_sort_warp_sort_medium_config_static_selectorELNS0_4arch9wavefront6targetE0EEEvSK_, .Lfunc_end1228-_ZN7rocprim17ROCPRIM_400000_NS6detail17trampoline_kernelINS0_14default_configENS1_36segmented_radix_sort_config_selectorIdlEEZNS1_25segmented_radix_sort_implIS3_Lb0EPKdPdPKlPlN2at6native12_GLOBAL__N_18offset_tEEE10hipError_tPvRmT1_PNSt15iterator_traitsISK_E10value_typeET2_T3_PNSL_ISQ_E10value_typeET4_jRbjT5_SW_jjP12ihipStream_tbEUlT_E0_NS1_11comp_targetILNS1_3genE4ELNS1_11target_archE910ELNS1_3gpuE8ELNS1_3repE0EEENS1_60segmented_radix_sort_warp_sort_medium_config_static_selectorELNS0_4arch9wavefront6targetE0EEEvSK_
                                        ; -- End function
	.set _ZN7rocprim17ROCPRIM_400000_NS6detail17trampoline_kernelINS0_14default_configENS1_36segmented_radix_sort_config_selectorIdlEEZNS1_25segmented_radix_sort_implIS3_Lb0EPKdPdPKlPlN2at6native12_GLOBAL__N_18offset_tEEE10hipError_tPvRmT1_PNSt15iterator_traitsISK_E10value_typeET2_T3_PNSL_ISQ_E10value_typeET4_jRbjT5_SW_jjP12ihipStream_tbEUlT_E0_NS1_11comp_targetILNS1_3genE4ELNS1_11target_archE910ELNS1_3gpuE8ELNS1_3repE0EEENS1_60segmented_radix_sort_warp_sort_medium_config_static_selectorELNS0_4arch9wavefront6targetE0EEEvSK_.num_vgpr, 0
	.set _ZN7rocprim17ROCPRIM_400000_NS6detail17trampoline_kernelINS0_14default_configENS1_36segmented_radix_sort_config_selectorIdlEEZNS1_25segmented_radix_sort_implIS3_Lb0EPKdPdPKlPlN2at6native12_GLOBAL__N_18offset_tEEE10hipError_tPvRmT1_PNSt15iterator_traitsISK_E10value_typeET2_T3_PNSL_ISQ_E10value_typeET4_jRbjT5_SW_jjP12ihipStream_tbEUlT_E0_NS1_11comp_targetILNS1_3genE4ELNS1_11target_archE910ELNS1_3gpuE8ELNS1_3repE0EEENS1_60segmented_radix_sort_warp_sort_medium_config_static_selectorELNS0_4arch9wavefront6targetE0EEEvSK_.num_agpr, 0
	.set _ZN7rocprim17ROCPRIM_400000_NS6detail17trampoline_kernelINS0_14default_configENS1_36segmented_radix_sort_config_selectorIdlEEZNS1_25segmented_radix_sort_implIS3_Lb0EPKdPdPKlPlN2at6native12_GLOBAL__N_18offset_tEEE10hipError_tPvRmT1_PNSt15iterator_traitsISK_E10value_typeET2_T3_PNSL_ISQ_E10value_typeET4_jRbjT5_SW_jjP12ihipStream_tbEUlT_E0_NS1_11comp_targetILNS1_3genE4ELNS1_11target_archE910ELNS1_3gpuE8ELNS1_3repE0EEENS1_60segmented_radix_sort_warp_sort_medium_config_static_selectorELNS0_4arch9wavefront6targetE0EEEvSK_.numbered_sgpr, 0
	.set _ZN7rocprim17ROCPRIM_400000_NS6detail17trampoline_kernelINS0_14default_configENS1_36segmented_radix_sort_config_selectorIdlEEZNS1_25segmented_radix_sort_implIS3_Lb0EPKdPdPKlPlN2at6native12_GLOBAL__N_18offset_tEEE10hipError_tPvRmT1_PNSt15iterator_traitsISK_E10value_typeET2_T3_PNSL_ISQ_E10value_typeET4_jRbjT5_SW_jjP12ihipStream_tbEUlT_E0_NS1_11comp_targetILNS1_3genE4ELNS1_11target_archE910ELNS1_3gpuE8ELNS1_3repE0EEENS1_60segmented_radix_sort_warp_sort_medium_config_static_selectorELNS0_4arch9wavefront6targetE0EEEvSK_.num_named_barrier, 0
	.set _ZN7rocprim17ROCPRIM_400000_NS6detail17trampoline_kernelINS0_14default_configENS1_36segmented_radix_sort_config_selectorIdlEEZNS1_25segmented_radix_sort_implIS3_Lb0EPKdPdPKlPlN2at6native12_GLOBAL__N_18offset_tEEE10hipError_tPvRmT1_PNSt15iterator_traitsISK_E10value_typeET2_T3_PNSL_ISQ_E10value_typeET4_jRbjT5_SW_jjP12ihipStream_tbEUlT_E0_NS1_11comp_targetILNS1_3genE4ELNS1_11target_archE910ELNS1_3gpuE8ELNS1_3repE0EEENS1_60segmented_radix_sort_warp_sort_medium_config_static_selectorELNS0_4arch9wavefront6targetE0EEEvSK_.private_seg_size, 0
	.set _ZN7rocprim17ROCPRIM_400000_NS6detail17trampoline_kernelINS0_14default_configENS1_36segmented_radix_sort_config_selectorIdlEEZNS1_25segmented_radix_sort_implIS3_Lb0EPKdPdPKlPlN2at6native12_GLOBAL__N_18offset_tEEE10hipError_tPvRmT1_PNSt15iterator_traitsISK_E10value_typeET2_T3_PNSL_ISQ_E10value_typeET4_jRbjT5_SW_jjP12ihipStream_tbEUlT_E0_NS1_11comp_targetILNS1_3genE4ELNS1_11target_archE910ELNS1_3gpuE8ELNS1_3repE0EEENS1_60segmented_radix_sort_warp_sort_medium_config_static_selectorELNS0_4arch9wavefront6targetE0EEEvSK_.uses_vcc, 0
	.set _ZN7rocprim17ROCPRIM_400000_NS6detail17trampoline_kernelINS0_14default_configENS1_36segmented_radix_sort_config_selectorIdlEEZNS1_25segmented_radix_sort_implIS3_Lb0EPKdPdPKlPlN2at6native12_GLOBAL__N_18offset_tEEE10hipError_tPvRmT1_PNSt15iterator_traitsISK_E10value_typeET2_T3_PNSL_ISQ_E10value_typeET4_jRbjT5_SW_jjP12ihipStream_tbEUlT_E0_NS1_11comp_targetILNS1_3genE4ELNS1_11target_archE910ELNS1_3gpuE8ELNS1_3repE0EEENS1_60segmented_radix_sort_warp_sort_medium_config_static_selectorELNS0_4arch9wavefront6targetE0EEEvSK_.uses_flat_scratch, 0
	.set _ZN7rocprim17ROCPRIM_400000_NS6detail17trampoline_kernelINS0_14default_configENS1_36segmented_radix_sort_config_selectorIdlEEZNS1_25segmented_radix_sort_implIS3_Lb0EPKdPdPKlPlN2at6native12_GLOBAL__N_18offset_tEEE10hipError_tPvRmT1_PNSt15iterator_traitsISK_E10value_typeET2_T3_PNSL_ISQ_E10value_typeET4_jRbjT5_SW_jjP12ihipStream_tbEUlT_E0_NS1_11comp_targetILNS1_3genE4ELNS1_11target_archE910ELNS1_3gpuE8ELNS1_3repE0EEENS1_60segmented_radix_sort_warp_sort_medium_config_static_selectorELNS0_4arch9wavefront6targetE0EEEvSK_.has_dyn_sized_stack, 0
	.set _ZN7rocprim17ROCPRIM_400000_NS6detail17trampoline_kernelINS0_14default_configENS1_36segmented_radix_sort_config_selectorIdlEEZNS1_25segmented_radix_sort_implIS3_Lb0EPKdPdPKlPlN2at6native12_GLOBAL__N_18offset_tEEE10hipError_tPvRmT1_PNSt15iterator_traitsISK_E10value_typeET2_T3_PNSL_ISQ_E10value_typeET4_jRbjT5_SW_jjP12ihipStream_tbEUlT_E0_NS1_11comp_targetILNS1_3genE4ELNS1_11target_archE910ELNS1_3gpuE8ELNS1_3repE0EEENS1_60segmented_radix_sort_warp_sort_medium_config_static_selectorELNS0_4arch9wavefront6targetE0EEEvSK_.has_recursion, 0
	.set _ZN7rocprim17ROCPRIM_400000_NS6detail17trampoline_kernelINS0_14default_configENS1_36segmented_radix_sort_config_selectorIdlEEZNS1_25segmented_radix_sort_implIS3_Lb0EPKdPdPKlPlN2at6native12_GLOBAL__N_18offset_tEEE10hipError_tPvRmT1_PNSt15iterator_traitsISK_E10value_typeET2_T3_PNSL_ISQ_E10value_typeET4_jRbjT5_SW_jjP12ihipStream_tbEUlT_E0_NS1_11comp_targetILNS1_3genE4ELNS1_11target_archE910ELNS1_3gpuE8ELNS1_3repE0EEENS1_60segmented_radix_sort_warp_sort_medium_config_static_selectorELNS0_4arch9wavefront6targetE0EEEvSK_.has_indirect_call, 0
	.section	.AMDGPU.csdata,"",@progbits
; Kernel info:
; codeLenInByte = 0
; TotalNumSgprs: 0
; NumVgprs: 0
; ScratchSize: 0
; MemoryBound: 0
; FloatMode: 240
; IeeeMode: 1
; LDSByteSize: 0 bytes/workgroup (compile time only)
; SGPRBlocks: 0
; VGPRBlocks: 0
; NumSGPRsForWavesPerEU: 1
; NumVGPRsForWavesPerEU: 1
; NamedBarCnt: 0
; Occupancy: 16
; WaveLimiterHint : 0
; COMPUTE_PGM_RSRC2:SCRATCH_EN: 0
; COMPUTE_PGM_RSRC2:USER_SGPR: 2
; COMPUTE_PGM_RSRC2:TRAP_HANDLER: 0
; COMPUTE_PGM_RSRC2:TGID_X_EN: 1
; COMPUTE_PGM_RSRC2:TGID_Y_EN: 0
; COMPUTE_PGM_RSRC2:TGID_Z_EN: 0
; COMPUTE_PGM_RSRC2:TIDIG_COMP_CNT: 0
	.section	.text._ZN7rocprim17ROCPRIM_400000_NS6detail17trampoline_kernelINS0_14default_configENS1_36segmented_radix_sort_config_selectorIdlEEZNS1_25segmented_radix_sort_implIS3_Lb0EPKdPdPKlPlN2at6native12_GLOBAL__N_18offset_tEEE10hipError_tPvRmT1_PNSt15iterator_traitsISK_E10value_typeET2_T3_PNSL_ISQ_E10value_typeET4_jRbjT5_SW_jjP12ihipStream_tbEUlT_E0_NS1_11comp_targetILNS1_3genE3ELNS1_11target_archE908ELNS1_3gpuE7ELNS1_3repE0EEENS1_60segmented_radix_sort_warp_sort_medium_config_static_selectorELNS0_4arch9wavefront6targetE0EEEvSK_,"axG",@progbits,_ZN7rocprim17ROCPRIM_400000_NS6detail17trampoline_kernelINS0_14default_configENS1_36segmented_radix_sort_config_selectorIdlEEZNS1_25segmented_radix_sort_implIS3_Lb0EPKdPdPKlPlN2at6native12_GLOBAL__N_18offset_tEEE10hipError_tPvRmT1_PNSt15iterator_traitsISK_E10value_typeET2_T3_PNSL_ISQ_E10value_typeET4_jRbjT5_SW_jjP12ihipStream_tbEUlT_E0_NS1_11comp_targetILNS1_3genE3ELNS1_11target_archE908ELNS1_3gpuE7ELNS1_3repE0EEENS1_60segmented_radix_sort_warp_sort_medium_config_static_selectorELNS0_4arch9wavefront6targetE0EEEvSK_,comdat
	.globl	_ZN7rocprim17ROCPRIM_400000_NS6detail17trampoline_kernelINS0_14default_configENS1_36segmented_radix_sort_config_selectorIdlEEZNS1_25segmented_radix_sort_implIS3_Lb0EPKdPdPKlPlN2at6native12_GLOBAL__N_18offset_tEEE10hipError_tPvRmT1_PNSt15iterator_traitsISK_E10value_typeET2_T3_PNSL_ISQ_E10value_typeET4_jRbjT5_SW_jjP12ihipStream_tbEUlT_E0_NS1_11comp_targetILNS1_3genE3ELNS1_11target_archE908ELNS1_3gpuE7ELNS1_3repE0EEENS1_60segmented_radix_sort_warp_sort_medium_config_static_selectorELNS0_4arch9wavefront6targetE0EEEvSK_ ; -- Begin function _ZN7rocprim17ROCPRIM_400000_NS6detail17trampoline_kernelINS0_14default_configENS1_36segmented_radix_sort_config_selectorIdlEEZNS1_25segmented_radix_sort_implIS3_Lb0EPKdPdPKlPlN2at6native12_GLOBAL__N_18offset_tEEE10hipError_tPvRmT1_PNSt15iterator_traitsISK_E10value_typeET2_T3_PNSL_ISQ_E10value_typeET4_jRbjT5_SW_jjP12ihipStream_tbEUlT_E0_NS1_11comp_targetILNS1_3genE3ELNS1_11target_archE908ELNS1_3gpuE7ELNS1_3repE0EEENS1_60segmented_radix_sort_warp_sort_medium_config_static_selectorELNS0_4arch9wavefront6targetE0EEEvSK_
	.p2align	8
	.type	_ZN7rocprim17ROCPRIM_400000_NS6detail17trampoline_kernelINS0_14default_configENS1_36segmented_radix_sort_config_selectorIdlEEZNS1_25segmented_radix_sort_implIS3_Lb0EPKdPdPKlPlN2at6native12_GLOBAL__N_18offset_tEEE10hipError_tPvRmT1_PNSt15iterator_traitsISK_E10value_typeET2_T3_PNSL_ISQ_E10value_typeET4_jRbjT5_SW_jjP12ihipStream_tbEUlT_E0_NS1_11comp_targetILNS1_3genE3ELNS1_11target_archE908ELNS1_3gpuE7ELNS1_3repE0EEENS1_60segmented_radix_sort_warp_sort_medium_config_static_selectorELNS0_4arch9wavefront6targetE0EEEvSK_,@function
_ZN7rocprim17ROCPRIM_400000_NS6detail17trampoline_kernelINS0_14default_configENS1_36segmented_radix_sort_config_selectorIdlEEZNS1_25segmented_radix_sort_implIS3_Lb0EPKdPdPKlPlN2at6native12_GLOBAL__N_18offset_tEEE10hipError_tPvRmT1_PNSt15iterator_traitsISK_E10value_typeET2_T3_PNSL_ISQ_E10value_typeET4_jRbjT5_SW_jjP12ihipStream_tbEUlT_E0_NS1_11comp_targetILNS1_3genE3ELNS1_11target_archE908ELNS1_3gpuE7ELNS1_3repE0EEENS1_60segmented_radix_sort_warp_sort_medium_config_static_selectorELNS0_4arch9wavefront6targetE0EEEvSK_: ; @_ZN7rocprim17ROCPRIM_400000_NS6detail17trampoline_kernelINS0_14default_configENS1_36segmented_radix_sort_config_selectorIdlEEZNS1_25segmented_radix_sort_implIS3_Lb0EPKdPdPKlPlN2at6native12_GLOBAL__N_18offset_tEEE10hipError_tPvRmT1_PNSt15iterator_traitsISK_E10value_typeET2_T3_PNSL_ISQ_E10value_typeET4_jRbjT5_SW_jjP12ihipStream_tbEUlT_E0_NS1_11comp_targetILNS1_3genE3ELNS1_11target_archE908ELNS1_3gpuE7ELNS1_3repE0EEENS1_60segmented_radix_sort_warp_sort_medium_config_static_selectorELNS0_4arch9wavefront6targetE0EEEvSK_
; %bb.0:
	.section	.rodata,"a",@progbits
	.p2align	6, 0x0
	.amdhsa_kernel _ZN7rocprim17ROCPRIM_400000_NS6detail17trampoline_kernelINS0_14default_configENS1_36segmented_radix_sort_config_selectorIdlEEZNS1_25segmented_radix_sort_implIS3_Lb0EPKdPdPKlPlN2at6native12_GLOBAL__N_18offset_tEEE10hipError_tPvRmT1_PNSt15iterator_traitsISK_E10value_typeET2_T3_PNSL_ISQ_E10value_typeET4_jRbjT5_SW_jjP12ihipStream_tbEUlT_E0_NS1_11comp_targetILNS1_3genE3ELNS1_11target_archE908ELNS1_3gpuE7ELNS1_3repE0EEENS1_60segmented_radix_sort_warp_sort_medium_config_static_selectorELNS0_4arch9wavefront6targetE0EEEvSK_
		.amdhsa_group_segment_fixed_size 0
		.amdhsa_private_segment_fixed_size 0
		.amdhsa_kernarg_size 88
		.amdhsa_user_sgpr_count 2
		.amdhsa_user_sgpr_dispatch_ptr 0
		.amdhsa_user_sgpr_queue_ptr 0
		.amdhsa_user_sgpr_kernarg_segment_ptr 1
		.amdhsa_user_sgpr_dispatch_id 0
		.amdhsa_user_sgpr_kernarg_preload_length 0
		.amdhsa_user_sgpr_kernarg_preload_offset 0
		.amdhsa_user_sgpr_private_segment_size 0
		.amdhsa_wavefront_size32 1
		.amdhsa_uses_dynamic_stack 0
		.amdhsa_enable_private_segment 0
		.amdhsa_system_sgpr_workgroup_id_x 1
		.amdhsa_system_sgpr_workgroup_id_y 0
		.amdhsa_system_sgpr_workgroup_id_z 0
		.amdhsa_system_sgpr_workgroup_info 0
		.amdhsa_system_vgpr_workitem_id 0
		.amdhsa_next_free_vgpr 1
		.amdhsa_next_free_sgpr 1
		.amdhsa_named_barrier_count 0
		.amdhsa_reserve_vcc 0
		.amdhsa_float_round_mode_32 0
		.amdhsa_float_round_mode_16_64 0
		.amdhsa_float_denorm_mode_32 3
		.amdhsa_float_denorm_mode_16_64 3
		.amdhsa_fp16_overflow 0
		.amdhsa_memory_ordered 1
		.amdhsa_forward_progress 1
		.amdhsa_inst_pref_size 0
		.amdhsa_round_robin_scheduling 0
		.amdhsa_exception_fp_ieee_invalid_op 0
		.amdhsa_exception_fp_denorm_src 0
		.amdhsa_exception_fp_ieee_div_zero 0
		.amdhsa_exception_fp_ieee_overflow 0
		.amdhsa_exception_fp_ieee_underflow 0
		.amdhsa_exception_fp_ieee_inexact 0
		.amdhsa_exception_int_div_zero 0
	.end_amdhsa_kernel
	.section	.text._ZN7rocprim17ROCPRIM_400000_NS6detail17trampoline_kernelINS0_14default_configENS1_36segmented_radix_sort_config_selectorIdlEEZNS1_25segmented_radix_sort_implIS3_Lb0EPKdPdPKlPlN2at6native12_GLOBAL__N_18offset_tEEE10hipError_tPvRmT1_PNSt15iterator_traitsISK_E10value_typeET2_T3_PNSL_ISQ_E10value_typeET4_jRbjT5_SW_jjP12ihipStream_tbEUlT_E0_NS1_11comp_targetILNS1_3genE3ELNS1_11target_archE908ELNS1_3gpuE7ELNS1_3repE0EEENS1_60segmented_radix_sort_warp_sort_medium_config_static_selectorELNS0_4arch9wavefront6targetE0EEEvSK_,"axG",@progbits,_ZN7rocprim17ROCPRIM_400000_NS6detail17trampoline_kernelINS0_14default_configENS1_36segmented_radix_sort_config_selectorIdlEEZNS1_25segmented_radix_sort_implIS3_Lb0EPKdPdPKlPlN2at6native12_GLOBAL__N_18offset_tEEE10hipError_tPvRmT1_PNSt15iterator_traitsISK_E10value_typeET2_T3_PNSL_ISQ_E10value_typeET4_jRbjT5_SW_jjP12ihipStream_tbEUlT_E0_NS1_11comp_targetILNS1_3genE3ELNS1_11target_archE908ELNS1_3gpuE7ELNS1_3repE0EEENS1_60segmented_radix_sort_warp_sort_medium_config_static_selectorELNS0_4arch9wavefront6targetE0EEEvSK_,comdat
.Lfunc_end1229:
	.size	_ZN7rocprim17ROCPRIM_400000_NS6detail17trampoline_kernelINS0_14default_configENS1_36segmented_radix_sort_config_selectorIdlEEZNS1_25segmented_radix_sort_implIS3_Lb0EPKdPdPKlPlN2at6native12_GLOBAL__N_18offset_tEEE10hipError_tPvRmT1_PNSt15iterator_traitsISK_E10value_typeET2_T3_PNSL_ISQ_E10value_typeET4_jRbjT5_SW_jjP12ihipStream_tbEUlT_E0_NS1_11comp_targetILNS1_3genE3ELNS1_11target_archE908ELNS1_3gpuE7ELNS1_3repE0EEENS1_60segmented_radix_sort_warp_sort_medium_config_static_selectorELNS0_4arch9wavefront6targetE0EEEvSK_, .Lfunc_end1229-_ZN7rocprim17ROCPRIM_400000_NS6detail17trampoline_kernelINS0_14default_configENS1_36segmented_radix_sort_config_selectorIdlEEZNS1_25segmented_radix_sort_implIS3_Lb0EPKdPdPKlPlN2at6native12_GLOBAL__N_18offset_tEEE10hipError_tPvRmT1_PNSt15iterator_traitsISK_E10value_typeET2_T3_PNSL_ISQ_E10value_typeET4_jRbjT5_SW_jjP12ihipStream_tbEUlT_E0_NS1_11comp_targetILNS1_3genE3ELNS1_11target_archE908ELNS1_3gpuE7ELNS1_3repE0EEENS1_60segmented_radix_sort_warp_sort_medium_config_static_selectorELNS0_4arch9wavefront6targetE0EEEvSK_
                                        ; -- End function
	.set _ZN7rocprim17ROCPRIM_400000_NS6detail17trampoline_kernelINS0_14default_configENS1_36segmented_radix_sort_config_selectorIdlEEZNS1_25segmented_radix_sort_implIS3_Lb0EPKdPdPKlPlN2at6native12_GLOBAL__N_18offset_tEEE10hipError_tPvRmT1_PNSt15iterator_traitsISK_E10value_typeET2_T3_PNSL_ISQ_E10value_typeET4_jRbjT5_SW_jjP12ihipStream_tbEUlT_E0_NS1_11comp_targetILNS1_3genE3ELNS1_11target_archE908ELNS1_3gpuE7ELNS1_3repE0EEENS1_60segmented_radix_sort_warp_sort_medium_config_static_selectorELNS0_4arch9wavefront6targetE0EEEvSK_.num_vgpr, 0
	.set _ZN7rocprim17ROCPRIM_400000_NS6detail17trampoline_kernelINS0_14default_configENS1_36segmented_radix_sort_config_selectorIdlEEZNS1_25segmented_radix_sort_implIS3_Lb0EPKdPdPKlPlN2at6native12_GLOBAL__N_18offset_tEEE10hipError_tPvRmT1_PNSt15iterator_traitsISK_E10value_typeET2_T3_PNSL_ISQ_E10value_typeET4_jRbjT5_SW_jjP12ihipStream_tbEUlT_E0_NS1_11comp_targetILNS1_3genE3ELNS1_11target_archE908ELNS1_3gpuE7ELNS1_3repE0EEENS1_60segmented_radix_sort_warp_sort_medium_config_static_selectorELNS0_4arch9wavefront6targetE0EEEvSK_.num_agpr, 0
	.set _ZN7rocprim17ROCPRIM_400000_NS6detail17trampoline_kernelINS0_14default_configENS1_36segmented_radix_sort_config_selectorIdlEEZNS1_25segmented_radix_sort_implIS3_Lb0EPKdPdPKlPlN2at6native12_GLOBAL__N_18offset_tEEE10hipError_tPvRmT1_PNSt15iterator_traitsISK_E10value_typeET2_T3_PNSL_ISQ_E10value_typeET4_jRbjT5_SW_jjP12ihipStream_tbEUlT_E0_NS1_11comp_targetILNS1_3genE3ELNS1_11target_archE908ELNS1_3gpuE7ELNS1_3repE0EEENS1_60segmented_radix_sort_warp_sort_medium_config_static_selectorELNS0_4arch9wavefront6targetE0EEEvSK_.numbered_sgpr, 0
	.set _ZN7rocprim17ROCPRIM_400000_NS6detail17trampoline_kernelINS0_14default_configENS1_36segmented_radix_sort_config_selectorIdlEEZNS1_25segmented_radix_sort_implIS3_Lb0EPKdPdPKlPlN2at6native12_GLOBAL__N_18offset_tEEE10hipError_tPvRmT1_PNSt15iterator_traitsISK_E10value_typeET2_T3_PNSL_ISQ_E10value_typeET4_jRbjT5_SW_jjP12ihipStream_tbEUlT_E0_NS1_11comp_targetILNS1_3genE3ELNS1_11target_archE908ELNS1_3gpuE7ELNS1_3repE0EEENS1_60segmented_radix_sort_warp_sort_medium_config_static_selectorELNS0_4arch9wavefront6targetE0EEEvSK_.num_named_barrier, 0
	.set _ZN7rocprim17ROCPRIM_400000_NS6detail17trampoline_kernelINS0_14default_configENS1_36segmented_radix_sort_config_selectorIdlEEZNS1_25segmented_radix_sort_implIS3_Lb0EPKdPdPKlPlN2at6native12_GLOBAL__N_18offset_tEEE10hipError_tPvRmT1_PNSt15iterator_traitsISK_E10value_typeET2_T3_PNSL_ISQ_E10value_typeET4_jRbjT5_SW_jjP12ihipStream_tbEUlT_E0_NS1_11comp_targetILNS1_3genE3ELNS1_11target_archE908ELNS1_3gpuE7ELNS1_3repE0EEENS1_60segmented_radix_sort_warp_sort_medium_config_static_selectorELNS0_4arch9wavefront6targetE0EEEvSK_.private_seg_size, 0
	.set _ZN7rocprim17ROCPRIM_400000_NS6detail17trampoline_kernelINS0_14default_configENS1_36segmented_radix_sort_config_selectorIdlEEZNS1_25segmented_radix_sort_implIS3_Lb0EPKdPdPKlPlN2at6native12_GLOBAL__N_18offset_tEEE10hipError_tPvRmT1_PNSt15iterator_traitsISK_E10value_typeET2_T3_PNSL_ISQ_E10value_typeET4_jRbjT5_SW_jjP12ihipStream_tbEUlT_E0_NS1_11comp_targetILNS1_3genE3ELNS1_11target_archE908ELNS1_3gpuE7ELNS1_3repE0EEENS1_60segmented_radix_sort_warp_sort_medium_config_static_selectorELNS0_4arch9wavefront6targetE0EEEvSK_.uses_vcc, 0
	.set _ZN7rocprim17ROCPRIM_400000_NS6detail17trampoline_kernelINS0_14default_configENS1_36segmented_radix_sort_config_selectorIdlEEZNS1_25segmented_radix_sort_implIS3_Lb0EPKdPdPKlPlN2at6native12_GLOBAL__N_18offset_tEEE10hipError_tPvRmT1_PNSt15iterator_traitsISK_E10value_typeET2_T3_PNSL_ISQ_E10value_typeET4_jRbjT5_SW_jjP12ihipStream_tbEUlT_E0_NS1_11comp_targetILNS1_3genE3ELNS1_11target_archE908ELNS1_3gpuE7ELNS1_3repE0EEENS1_60segmented_radix_sort_warp_sort_medium_config_static_selectorELNS0_4arch9wavefront6targetE0EEEvSK_.uses_flat_scratch, 0
	.set _ZN7rocprim17ROCPRIM_400000_NS6detail17trampoline_kernelINS0_14default_configENS1_36segmented_radix_sort_config_selectorIdlEEZNS1_25segmented_radix_sort_implIS3_Lb0EPKdPdPKlPlN2at6native12_GLOBAL__N_18offset_tEEE10hipError_tPvRmT1_PNSt15iterator_traitsISK_E10value_typeET2_T3_PNSL_ISQ_E10value_typeET4_jRbjT5_SW_jjP12ihipStream_tbEUlT_E0_NS1_11comp_targetILNS1_3genE3ELNS1_11target_archE908ELNS1_3gpuE7ELNS1_3repE0EEENS1_60segmented_radix_sort_warp_sort_medium_config_static_selectorELNS0_4arch9wavefront6targetE0EEEvSK_.has_dyn_sized_stack, 0
	.set _ZN7rocprim17ROCPRIM_400000_NS6detail17trampoline_kernelINS0_14default_configENS1_36segmented_radix_sort_config_selectorIdlEEZNS1_25segmented_radix_sort_implIS3_Lb0EPKdPdPKlPlN2at6native12_GLOBAL__N_18offset_tEEE10hipError_tPvRmT1_PNSt15iterator_traitsISK_E10value_typeET2_T3_PNSL_ISQ_E10value_typeET4_jRbjT5_SW_jjP12ihipStream_tbEUlT_E0_NS1_11comp_targetILNS1_3genE3ELNS1_11target_archE908ELNS1_3gpuE7ELNS1_3repE0EEENS1_60segmented_radix_sort_warp_sort_medium_config_static_selectorELNS0_4arch9wavefront6targetE0EEEvSK_.has_recursion, 0
	.set _ZN7rocprim17ROCPRIM_400000_NS6detail17trampoline_kernelINS0_14default_configENS1_36segmented_radix_sort_config_selectorIdlEEZNS1_25segmented_radix_sort_implIS3_Lb0EPKdPdPKlPlN2at6native12_GLOBAL__N_18offset_tEEE10hipError_tPvRmT1_PNSt15iterator_traitsISK_E10value_typeET2_T3_PNSL_ISQ_E10value_typeET4_jRbjT5_SW_jjP12ihipStream_tbEUlT_E0_NS1_11comp_targetILNS1_3genE3ELNS1_11target_archE908ELNS1_3gpuE7ELNS1_3repE0EEENS1_60segmented_radix_sort_warp_sort_medium_config_static_selectorELNS0_4arch9wavefront6targetE0EEEvSK_.has_indirect_call, 0
	.section	.AMDGPU.csdata,"",@progbits
; Kernel info:
; codeLenInByte = 0
; TotalNumSgprs: 0
; NumVgprs: 0
; ScratchSize: 0
; MemoryBound: 0
; FloatMode: 240
; IeeeMode: 1
; LDSByteSize: 0 bytes/workgroup (compile time only)
; SGPRBlocks: 0
; VGPRBlocks: 0
; NumSGPRsForWavesPerEU: 1
; NumVGPRsForWavesPerEU: 1
; NamedBarCnt: 0
; Occupancy: 16
; WaveLimiterHint : 0
; COMPUTE_PGM_RSRC2:SCRATCH_EN: 0
; COMPUTE_PGM_RSRC2:USER_SGPR: 2
; COMPUTE_PGM_RSRC2:TRAP_HANDLER: 0
; COMPUTE_PGM_RSRC2:TGID_X_EN: 1
; COMPUTE_PGM_RSRC2:TGID_Y_EN: 0
; COMPUTE_PGM_RSRC2:TGID_Z_EN: 0
; COMPUTE_PGM_RSRC2:TIDIG_COMP_CNT: 0
	.section	.text._ZN7rocprim17ROCPRIM_400000_NS6detail17trampoline_kernelINS0_14default_configENS1_36segmented_radix_sort_config_selectorIdlEEZNS1_25segmented_radix_sort_implIS3_Lb0EPKdPdPKlPlN2at6native12_GLOBAL__N_18offset_tEEE10hipError_tPvRmT1_PNSt15iterator_traitsISK_E10value_typeET2_T3_PNSL_ISQ_E10value_typeET4_jRbjT5_SW_jjP12ihipStream_tbEUlT_E0_NS1_11comp_targetILNS1_3genE2ELNS1_11target_archE906ELNS1_3gpuE6ELNS1_3repE0EEENS1_60segmented_radix_sort_warp_sort_medium_config_static_selectorELNS0_4arch9wavefront6targetE0EEEvSK_,"axG",@progbits,_ZN7rocprim17ROCPRIM_400000_NS6detail17trampoline_kernelINS0_14default_configENS1_36segmented_radix_sort_config_selectorIdlEEZNS1_25segmented_radix_sort_implIS3_Lb0EPKdPdPKlPlN2at6native12_GLOBAL__N_18offset_tEEE10hipError_tPvRmT1_PNSt15iterator_traitsISK_E10value_typeET2_T3_PNSL_ISQ_E10value_typeET4_jRbjT5_SW_jjP12ihipStream_tbEUlT_E0_NS1_11comp_targetILNS1_3genE2ELNS1_11target_archE906ELNS1_3gpuE6ELNS1_3repE0EEENS1_60segmented_radix_sort_warp_sort_medium_config_static_selectorELNS0_4arch9wavefront6targetE0EEEvSK_,comdat
	.globl	_ZN7rocprim17ROCPRIM_400000_NS6detail17trampoline_kernelINS0_14default_configENS1_36segmented_radix_sort_config_selectorIdlEEZNS1_25segmented_radix_sort_implIS3_Lb0EPKdPdPKlPlN2at6native12_GLOBAL__N_18offset_tEEE10hipError_tPvRmT1_PNSt15iterator_traitsISK_E10value_typeET2_T3_PNSL_ISQ_E10value_typeET4_jRbjT5_SW_jjP12ihipStream_tbEUlT_E0_NS1_11comp_targetILNS1_3genE2ELNS1_11target_archE906ELNS1_3gpuE6ELNS1_3repE0EEENS1_60segmented_radix_sort_warp_sort_medium_config_static_selectorELNS0_4arch9wavefront6targetE0EEEvSK_ ; -- Begin function _ZN7rocprim17ROCPRIM_400000_NS6detail17trampoline_kernelINS0_14default_configENS1_36segmented_radix_sort_config_selectorIdlEEZNS1_25segmented_radix_sort_implIS3_Lb0EPKdPdPKlPlN2at6native12_GLOBAL__N_18offset_tEEE10hipError_tPvRmT1_PNSt15iterator_traitsISK_E10value_typeET2_T3_PNSL_ISQ_E10value_typeET4_jRbjT5_SW_jjP12ihipStream_tbEUlT_E0_NS1_11comp_targetILNS1_3genE2ELNS1_11target_archE906ELNS1_3gpuE6ELNS1_3repE0EEENS1_60segmented_radix_sort_warp_sort_medium_config_static_selectorELNS0_4arch9wavefront6targetE0EEEvSK_
	.p2align	8
	.type	_ZN7rocprim17ROCPRIM_400000_NS6detail17trampoline_kernelINS0_14default_configENS1_36segmented_radix_sort_config_selectorIdlEEZNS1_25segmented_radix_sort_implIS3_Lb0EPKdPdPKlPlN2at6native12_GLOBAL__N_18offset_tEEE10hipError_tPvRmT1_PNSt15iterator_traitsISK_E10value_typeET2_T3_PNSL_ISQ_E10value_typeET4_jRbjT5_SW_jjP12ihipStream_tbEUlT_E0_NS1_11comp_targetILNS1_3genE2ELNS1_11target_archE906ELNS1_3gpuE6ELNS1_3repE0EEENS1_60segmented_radix_sort_warp_sort_medium_config_static_selectorELNS0_4arch9wavefront6targetE0EEEvSK_,@function
_ZN7rocprim17ROCPRIM_400000_NS6detail17trampoline_kernelINS0_14default_configENS1_36segmented_radix_sort_config_selectorIdlEEZNS1_25segmented_radix_sort_implIS3_Lb0EPKdPdPKlPlN2at6native12_GLOBAL__N_18offset_tEEE10hipError_tPvRmT1_PNSt15iterator_traitsISK_E10value_typeET2_T3_PNSL_ISQ_E10value_typeET4_jRbjT5_SW_jjP12ihipStream_tbEUlT_E0_NS1_11comp_targetILNS1_3genE2ELNS1_11target_archE906ELNS1_3gpuE6ELNS1_3repE0EEENS1_60segmented_radix_sort_warp_sort_medium_config_static_selectorELNS0_4arch9wavefront6targetE0EEEvSK_: ; @_ZN7rocprim17ROCPRIM_400000_NS6detail17trampoline_kernelINS0_14default_configENS1_36segmented_radix_sort_config_selectorIdlEEZNS1_25segmented_radix_sort_implIS3_Lb0EPKdPdPKlPlN2at6native12_GLOBAL__N_18offset_tEEE10hipError_tPvRmT1_PNSt15iterator_traitsISK_E10value_typeET2_T3_PNSL_ISQ_E10value_typeET4_jRbjT5_SW_jjP12ihipStream_tbEUlT_E0_NS1_11comp_targetILNS1_3genE2ELNS1_11target_archE906ELNS1_3gpuE6ELNS1_3repE0EEENS1_60segmented_radix_sort_warp_sort_medium_config_static_selectorELNS0_4arch9wavefront6targetE0EEEvSK_
; %bb.0:
	.section	.rodata,"a",@progbits
	.p2align	6, 0x0
	.amdhsa_kernel _ZN7rocprim17ROCPRIM_400000_NS6detail17trampoline_kernelINS0_14default_configENS1_36segmented_radix_sort_config_selectorIdlEEZNS1_25segmented_radix_sort_implIS3_Lb0EPKdPdPKlPlN2at6native12_GLOBAL__N_18offset_tEEE10hipError_tPvRmT1_PNSt15iterator_traitsISK_E10value_typeET2_T3_PNSL_ISQ_E10value_typeET4_jRbjT5_SW_jjP12ihipStream_tbEUlT_E0_NS1_11comp_targetILNS1_3genE2ELNS1_11target_archE906ELNS1_3gpuE6ELNS1_3repE0EEENS1_60segmented_radix_sort_warp_sort_medium_config_static_selectorELNS0_4arch9wavefront6targetE0EEEvSK_
		.amdhsa_group_segment_fixed_size 0
		.amdhsa_private_segment_fixed_size 0
		.amdhsa_kernarg_size 88
		.amdhsa_user_sgpr_count 2
		.amdhsa_user_sgpr_dispatch_ptr 0
		.amdhsa_user_sgpr_queue_ptr 0
		.amdhsa_user_sgpr_kernarg_segment_ptr 1
		.amdhsa_user_sgpr_dispatch_id 0
		.amdhsa_user_sgpr_kernarg_preload_length 0
		.amdhsa_user_sgpr_kernarg_preload_offset 0
		.amdhsa_user_sgpr_private_segment_size 0
		.amdhsa_wavefront_size32 1
		.amdhsa_uses_dynamic_stack 0
		.amdhsa_enable_private_segment 0
		.amdhsa_system_sgpr_workgroup_id_x 1
		.amdhsa_system_sgpr_workgroup_id_y 0
		.amdhsa_system_sgpr_workgroup_id_z 0
		.amdhsa_system_sgpr_workgroup_info 0
		.amdhsa_system_vgpr_workitem_id 0
		.amdhsa_next_free_vgpr 1
		.amdhsa_next_free_sgpr 1
		.amdhsa_named_barrier_count 0
		.amdhsa_reserve_vcc 0
		.amdhsa_float_round_mode_32 0
		.amdhsa_float_round_mode_16_64 0
		.amdhsa_float_denorm_mode_32 3
		.amdhsa_float_denorm_mode_16_64 3
		.amdhsa_fp16_overflow 0
		.amdhsa_memory_ordered 1
		.amdhsa_forward_progress 1
		.amdhsa_inst_pref_size 0
		.amdhsa_round_robin_scheduling 0
		.amdhsa_exception_fp_ieee_invalid_op 0
		.amdhsa_exception_fp_denorm_src 0
		.amdhsa_exception_fp_ieee_div_zero 0
		.amdhsa_exception_fp_ieee_overflow 0
		.amdhsa_exception_fp_ieee_underflow 0
		.amdhsa_exception_fp_ieee_inexact 0
		.amdhsa_exception_int_div_zero 0
	.end_amdhsa_kernel
	.section	.text._ZN7rocprim17ROCPRIM_400000_NS6detail17trampoline_kernelINS0_14default_configENS1_36segmented_radix_sort_config_selectorIdlEEZNS1_25segmented_radix_sort_implIS3_Lb0EPKdPdPKlPlN2at6native12_GLOBAL__N_18offset_tEEE10hipError_tPvRmT1_PNSt15iterator_traitsISK_E10value_typeET2_T3_PNSL_ISQ_E10value_typeET4_jRbjT5_SW_jjP12ihipStream_tbEUlT_E0_NS1_11comp_targetILNS1_3genE2ELNS1_11target_archE906ELNS1_3gpuE6ELNS1_3repE0EEENS1_60segmented_radix_sort_warp_sort_medium_config_static_selectorELNS0_4arch9wavefront6targetE0EEEvSK_,"axG",@progbits,_ZN7rocprim17ROCPRIM_400000_NS6detail17trampoline_kernelINS0_14default_configENS1_36segmented_radix_sort_config_selectorIdlEEZNS1_25segmented_radix_sort_implIS3_Lb0EPKdPdPKlPlN2at6native12_GLOBAL__N_18offset_tEEE10hipError_tPvRmT1_PNSt15iterator_traitsISK_E10value_typeET2_T3_PNSL_ISQ_E10value_typeET4_jRbjT5_SW_jjP12ihipStream_tbEUlT_E0_NS1_11comp_targetILNS1_3genE2ELNS1_11target_archE906ELNS1_3gpuE6ELNS1_3repE0EEENS1_60segmented_radix_sort_warp_sort_medium_config_static_selectorELNS0_4arch9wavefront6targetE0EEEvSK_,comdat
.Lfunc_end1230:
	.size	_ZN7rocprim17ROCPRIM_400000_NS6detail17trampoline_kernelINS0_14default_configENS1_36segmented_radix_sort_config_selectorIdlEEZNS1_25segmented_radix_sort_implIS3_Lb0EPKdPdPKlPlN2at6native12_GLOBAL__N_18offset_tEEE10hipError_tPvRmT1_PNSt15iterator_traitsISK_E10value_typeET2_T3_PNSL_ISQ_E10value_typeET4_jRbjT5_SW_jjP12ihipStream_tbEUlT_E0_NS1_11comp_targetILNS1_3genE2ELNS1_11target_archE906ELNS1_3gpuE6ELNS1_3repE0EEENS1_60segmented_radix_sort_warp_sort_medium_config_static_selectorELNS0_4arch9wavefront6targetE0EEEvSK_, .Lfunc_end1230-_ZN7rocprim17ROCPRIM_400000_NS6detail17trampoline_kernelINS0_14default_configENS1_36segmented_radix_sort_config_selectorIdlEEZNS1_25segmented_radix_sort_implIS3_Lb0EPKdPdPKlPlN2at6native12_GLOBAL__N_18offset_tEEE10hipError_tPvRmT1_PNSt15iterator_traitsISK_E10value_typeET2_T3_PNSL_ISQ_E10value_typeET4_jRbjT5_SW_jjP12ihipStream_tbEUlT_E0_NS1_11comp_targetILNS1_3genE2ELNS1_11target_archE906ELNS1_3gpuE6ELNS1_3repE0EEENS1_60segmented_radix_sort_warp_sort_medium_config_static_selectorELNS0_4arch9wavefront6targetE0EEEvSK_
                                        ; -- End function
	.set _ZN7rocprim17ROCPRIM_400000_NS6detail17trampoline_kernelINS0_14default_configENS1_36segmented_radix_sort_config_selectorIdlEEZNS1_25segmented_radix_sort_implIS3_Lb0EPKdPdPKlPlN2at6native12_GLOBAL__N_18offset_tEEE10hipError_tPvRmT1_PNSt15iterator_traitsISK_E10value_typeET2_T3_PNSL_ISQ_E10value_typeET4_jRbjT5_SW_jjP12ihipStream_tbEUlT_E0_NS1_11comp_targetILNS1_3genE2ELNS1_11target_archE906ELNS1_3gpuE6ELNS1_3repE0EEENS1_60segmented_radix_sort_warp_sort_medium_config_static_selectorELNS0_4arch9wavefront6targetE0EEEvSK_.num_vgpr, 0
	.set _ZN7rocprim17ROCPRIM_400000_NS6detail17trampoline_kernelINS0_14default_configENS1_36segmented_radix_sort_config_selectorIdlEEZNS1_25segmented_radix_sort_implIS3_Lb0EPKdPdPKlPlN2at6native12_GLOBAL__N_18offset_tEEE10hipError_tPvRmT1_PNSt15iterator_traitsISK_E10value_typeET2_T3_PNSL_ISQ_E10value_typeET4_jRbjT5_SW_jjP12ihipStream_tbEUlT_E0_NS1_11comp_targetILNS1_3genE2ELNS1_11target_archE906ELNS1_3gpuE6ELNS1_3repE0EEENS1_60segmented_radix_sort_warp_sort_medium_config_static_selectorELNS0_4arch9wavefront6targetE0EEEvSK_.num_agpr, 0
	.set _ZN7rocprim17ROCPRIM_400000_NS6detail17trampoline_kernelINS0_14default_configENS1_36segmented_radix_sort_config_selectorIdlEEZNS1_25segmented_radix_sort_implIS3_Lb0EPKdPdPKlPlN2at6native12_GLOBAL__N_18offset_tEEE10hipError_tPvRmT1_PNSt15iterator_traitsISK_E10value_typeET2_T3_PNSL_ISQ_E10value_typeET4_jRbjT5_SW_jjP12ihipStream_tbEUlT_E0_NS1_11comp_targetILNS1_3genE2ELNS1_11target_archE906ELNS1_3gpuE6ELNS1_3repE0EEENS1_60segmented_radix_sort_warp_sort_medium_config_static_selectorELNS0_4arch9wavefront6targetE0EEEvSK_.numbered_sgpr, 0
	.set _ZN7rocprim17ROCPRIM_400000_NS6detail17trampoline_kernelINS0_14default_configENS1_36segmented_radix_sort_config_selectorIdlEEZNS1_25segmented_radix_sort_implIS3_Lb0EPKdPdPKlPlN2at6native12_GLOBAL__N_18offset_tEEE10hipError_tPvRmT1_PNSt15iterator_traitsISK_E10value_typeET2_T3_PNSL_ISQ_E10value_typeET4_jRbjT5_SW_jjP12ihipStream_tbEUlT_E0_NS1_11comp_targetILNS1_3genE2ELNS1_11target_archE906ELNS1_3gpuE6ELNS1_3repE0EEENS1_60segmented_radix_sort_warp_sort_medium_config_static_selectorELNS0_4arch9wavefront6targetE0EEEvSK_.num_named_barrier, 0
	.set _ZN7rocprim17ROCPRIM_400000_NS6detail17trampoline_kernelINS0_14default_configENS1_36segmented_radix_sort_config_selectorIdlEEZNS1_25segmented_radix_sort_implIS3_Lb0EPKdPdPKlPlN2at6native12_GLOBAL__N_18offset_tEEE10hipError_tPvRmT1_PNSt15iterator_traitsISK_E10value_typeET2_T3_PNSL_ISQ_E10value_typeET4_jRbjT5_SW_jjP12ihipStream_tbEUlT_E0_NS1_11comp_targetILNS1_3genE2ELNS1_11target_archE906ELNS1_3gpuE6ELNS1_3repE0EEENS1_60segmented_radix_sort_warp_sort_medium_config_static_selectorELNS0_4arch9wavefront6targetE0EEEvSK_.private_seg_size, 0
	.set _ZN7rocprim17ROCPRIM_400000_NS6detail17trampoline_kernelINS0_14default_configENS1_36segmented_radix_sort_config_selectorIdlEEZNS1_25segmented_radix_sort_implIS3_Lb0EPKdPdPKlPlN2at6native12_GLOBAL__N_18offset_tEEE10hipError_tPvRmT1_PNSt15iterator_traitsISK_E10value_typeET2_T3_PNSL_ISQ_E10value_typeET4_jRbjT5_SW_jjP12ihipStream_tbEUlT_E0_NS1_11comp_targetILNS1_3genE2ELNS1_11target_archE906ELNS1_3gpuE6ELNS1_3repE0EEENS1_60segmented_radix_sort_warp_sort_medium_config_static_selectorELNS0_4arch9wavefront6targetE0EEEvSK_.uses_vcc, 0
	.set _ZN7rocprim17ROCPRIM_400000_NS6detail17trampoline_kernelINS0_14default_configENS1_36segmented_radix_sort_config_selectorIdlEEZNS1_25segmented_radix_sort_implIS3_Lb0EPKdPdPKlPlN2at6native12_GLOBAL__N_18offset_tEEE10hipError_tPvRmT1_PNSt15iterator_traitsISK_E10value_typeET2_T3_PNSL_ISQ_E10value_typeET4_jRbjT5_SW_jjP12ihipStream_tbEUlT_E0_NS1_11comp_targetILNS1_3genE2ELNS1_11target_archE906ELNS1_3gpuE6ELNS1_3repE0EEENS1_60segmented_radix_sort_warp_sort_medium_config_static_selectorELNS0_4arch9wavefront6targetE0EEEvSK_.uses_flat_scratch, 0
	.set _ZN7rocprim17ROCPRIM_400000_NS6detail17trampoline_kernelINS0_14default_configENS1_36segmented_radix_sort_config_selectorIdlEEZNS1_25segmented_radix_sort_implIS3_Lb0EPKdPdPKlPlN2at6native12_GLOBAL__N_18offset_tEEE10hipError_tPvRmT1_PNSt15iterator_traitsISK_E10value_typeET2_T3_PNSL_ISQ_E10value_typeET4_jRbjT5_SW_jjP12ihipStream_tbEUlT_E0_NS1_11comp_targetILNS1_3genE2ELNS1_11target_archE906ELNS1_3gpuE6ELNS1_3repE0EEENS1_60segmented_radix_sort_warp_sort_medium_config_static_selectorELNS0_4arch9wavefront6targetE0EEEvSK_.has_dyn_sized_stack, 0
	.set _ZN7rocprim17ROCPRIM_400000_NS6detail17trampoline_kernelINS0_14default_configENS1_36segmented_radix_sort_config_selectorIdlEEZNS1_25segmented_radix_sort_implIS3_Lb0EPKdPdPKlPlN2at6native12_GLOBAL__N_18offset_tEEE10hipError_tPvRmT1_PNSt15iterator_traitsISK_E10value_typeET2_T3_PNSL_ISQ_E10value_typeET4_jRbjT5_SW_jjP12ihipStream_tbEUlT_E0_NS1_11comp_targetILNS1_3genE2ELNS1_11target_archE906ELNS1_3gpuE6ELNS1_3repE0EEENS1_60segmented_radix_sort_warp_sort_medium_config_static_selectorELNS0_4arch9wavefront6targetE0EEEvSK_.has_recursion, 0
	.set _ZN7rocprim17ROCPRIM_400000_NS6detail17trampoline_kernelINS0_14default_configENS1_36segmented_radix_sort_config_selectorIdlEEZNS1_25segmented_radix_sort_implIS3_Lb0EPKdPdPKlPlN2at6native12_GLOBAL__N_18offset_tEEE10hipError_tPvRmT1_PNSt15iterator_traitsISK_E10value_typeET2_T3_PNSL_ISQ_E10value_typeET4_jRbjT5_SW_jjP12ihipStream_tbEUlT_E0_NS1_11comp_targetILNS1_3genE2ELNS1_11target_archE906ELNS1_3gpuE6ELNS1_3repE0EEENS1_60segmented_radix_sort_warp_sort_medium_config_static_selectorELNS0_4arch9wavefront6targetE0EEEvSK_.has_indirect_call, 0
	.section	.AMDGPU.csdata,"",@progbits
; Kernel info:
; codeLenInByte = 0
; TotalNumSgprs: 0
; NumVgprs: 0
; ScratchSize: 0
; MemoryBound: 0
; FloatMode: 240
; IeeeMode: 1
; LDSByteSize: 0 bytes/workgroup (compile time only)
; SGPRBlocks: 0
; VGPRBlocks: 0
; NumSGPRsForWavesPerEU: 1
; NumVGPRsForWavesPerEU: 1
; NamedBarCnt: 0
; Occupancy: 16
; WaveLimiterHint : 0
; COMPUTE_PGM_RSRC2:SCRATCH_EN: 0
; COMPUTE_PGM_RSRC2:USER_SGPR: 2
; COMPUTE_PGM_RSRC2:TRAP_HANDLER: 0
; COMPUTE_PGM_RSRC2:TGID_X_EN: 1
; COMPUTE_PGM_RSRC2:TGID_Y_EN: 0
; COMPUTE_PGM_RSRC2:TGID_Z_EN: 0
; COMPUTE_PGM_RSRC2:TIDIG_COMP_CNT: 0
	.section	.text._ZN7rocprim17ROCPRIM_400000_NS6detail17trampoline_kernelINS0_14default_configENS1_36segmented_radix_sort_config_selectorIdlEEZNS1_25segmented_radix_sort_implIS3_Lb0EPKdPdPKlPlN2at6native12_GLOBAL__N_18offset_tEEE10hipError_tPvRmT1_PNSt15iterator_traitsISK_E10value_typeET2_T3_PNSL_ISQ_E10value_typeET4_jRbjT5_SW_jjP12ihipStream_tbEUlT_E0_NS1_11comp_targetILNS1_3genE10ELNS1_11target_archE1201ELNS1_3gpuE5ELNS1_3repE0EEENS1_60segmented_radix_sort_warp_sort_medium_config_static_selectorELNS0_4arch9wavefront6targetE0EEEvSK_,"axG",@progbits,_ZN7rocprim17ROCPRIM_400000_NS6detail17trampoline_kernelINS0_14default_configENS1_36segmented_radix_sort_config_selectorIdlEEZNS1_25segmented_radix_sort_implIS3_Lb0EPKdPdPKlPlN2at6native12_GLOBAL__N_18offset_tEEE10hipError_tPvRmT1_PNSt15iterator_traitsISK_E10value_typeET2_T3_PNSL_ISQ_E10value_typeET4_jRbjT5_SW_jjP12ihipStream_tbEUlT_E0_NS1_11comp_targetILNS1_3genE10ELNS1_11target_archE1201ELNS1_3gpuE5ELNS1_3repE0EEENS1_60segmented_radix_sort_warp_sort_medium_config_static_selectorELNS0_4arch9wavefront6targetE0EEEvSK_,comdat
	.globl	_ZN7rocprim17ROCPRIM_400000_NS6detail17trampoline_kernelINS0_14default_configENS1_36segmented_radix_sort_config_selectorIdlEEZNS1_25segmented_radix_sort_implIS3_Lb0EPKdPdPKlPlN2at6native12_GLOBAL__N_18offset_tEEE10hipError_tPvRmT1_PNSt15iterator_traitsISK_E10value_typeET2_T3_PNSL_ISQ_E10value_typeET4_jRbjT5_SW_jjP12ihipStream_tbEUlT_E0_NS1_11comp_targetILNS1_3genE10ELNS1_11target_archE1201ELNS1_3gpuE5ELNS1_3repE0EEENS1_60segmented_radix_sort_warp_sort_medium_config_static_selectorELNS0_4arch9wavefront6targetE0EEEvSK_ ; -- Begin function _ZN7rocprim17ROCPRIM_400000_NS6detail17trampoline_kernelINS0_14default_configENS1_36segmented_radix_sort_config_selectorIdlEEZNS1_25segmented_radix_sort_implIS3_Lb0EPKdPdPKlPlN2at6native12_GLOBAL__N_18offset_tEEE10hipError_tPvRmT1_PNSt15iterator_traitsISK_E10value_typeET2_T3_PNSL_ISQ_E10value_typeET4_jRbjT5_SW_jjP12ihipStream_tbEUlT_E0_NS1_11comp_targetILNS1_3genE10ELNS1_11target_archE1201ELNS1_3gpuE5ELNS1_3repE0EEENS1_60segmented_radix_sort_warp_sort_medium_config_static_selectorELNS0_4arch9wavefront6targetE0EEEvSK_
	.p2align	8
	.type	_ZN7rocprim17ROCPRIM_400000_NS6detail17trampoline_kernelINS0_14default_configENS1_36segmented_radix_sort_config_selectorIdlEEZNS1_25segmented_radix_sort_implIS3_Lb0EPKdPdPKlPlN2at6native12_GLOBAL__N_18offset_tEEE10hipError_tPvRmT1_PNSt15iterator_traitsISK_E10value_typeET2_T3_PNSL_ISQ_E10value_typeET4_jRbjT5_SW_jjP12ihipStream_tbEUlT_E0_NS1_11comp_targetILNS1_3genE10ELNS1_11target_archE1201ELNS1_3gpuE5ELNS1_3repE0EEENS1_60segmented_radix_sort_warp_sort_medium_config_static_selectorELNS0_4arch9wavefront6targetE0EEEvSK_,@function
_ZN7rocprim17ROCPRIM_400000_NS6detail17trampoline_kernelINS0_14default_configENS1_36segmented_radix_sort_config_selectorIdlEEZNS1_25segmented_radix_sort_implIS3_Lb0EPKdPdPKlPlN2at6native12_GLOBAL__N_18offset_tEEE10hipError_tPvRmT1_PNSt15iterator_traitsISK_E10value_typeET2_T3_PNSL_ISQ_E10value_typeET4_jRbjT5_SW_jjP12ihipStream_tbEUlT_E0_NS1_11comp_targetILNS1_3genE10ELNS1_11target_archE1201ELNS1_3gpuE5ELNS1_3repE0EEENS1_60segmented_radix_sort_warp_sort_medium_config_static_selectorELNS0_4arch9wavefront6targetE0EEEvSK_: ; @_ZN7rocprim17ROCPRIM_400000_NS6detail17trampoline_kernelINS0_14default_configENS1_36segmented_radix_sort_config_selectorIdlEEZNS1_25segmented_radix_sort_implIS3_Lb0EPKdPdPKlPlN2at6native12_GLOBAL__N_18offset_tEEE10hipError_tPvRmT1_PNSt15iterator_traitsISK_E10value_typeET2_T3_PNSL_ISQ_E10value_typeET4_jRbjT5_SW_jjP12ihipStream_tbEUlT_E0_NS1_11comp_targetILNS1_3genE10ELNS1_11target_archE1201ELNS1_3gpuE5ELNS1_3repE0EEENS1_60segmented_radix_sort_warp_sort_medium_config_static_selectorELNS0_4arch9wavefront6targetE0EEEvSK_
; %bb.0:
	.section	.rodata,"a",@progbits
	.p2align	6, 0x0
	.amdhsa_kernel _ZN7rocprim17ROCPRIM_400000_NS6detail17trampoline_kernelINS0_14default_configENS1_36segmented_radix_sort_config_selectorIdlEEZNS1_25segmented_radix_sort_implIS3_Lb0EPKdPdPKlPlN2at6native12_GLOBAL__N_18offset_tEEE10hipError_tPvRmT1_PNSt15iterator_traitsISK_E10value_typeET2_T3_PNSL_ISQ_E10value_typeET4_jRbjT5_SW_jjP12ihipStream_tbEUlT_E0_NS1_11comp_targetILNS1_3genE10ELNS1_11target_archE1201ELNS1_3gpuE5ELNS1_3repE0EEENS1_60segmented_radix_sort_warp_sort_medium_config_static_selectorELNS0_4arch9wavefront6targetE0EEEvSK_
		.amdhsa_group_segment_fixed_size 0
		.amdhsa_private_segment_fixed_size 0
		.amdhsa_kernarg_size 88
		.amdhsa_user_sgpr_count 2
		.amdhsa_user_sgpr_dispatch_ptr 0
		.amdhsa_user_sgpr_queue_ptr 0
		.amdhsa_user_sgpr_kernarg_segment_ptr 1
		.amdhsa_user_sgpr_dispatch_id 0
		.amdhsa_user_sgpr_kernarg_preload_length 0
		.amdhsa_user_sgpr_kernarg_preload_offset 0
		.amdhsa_user_sgpr_private_segment_size 0
		.amdhsa_wavefront_size32 1
		.amdhsa_uses_dynamic_stack 0
		.amdhsa_enable_private_segment 0
		.amdhsa_system_sgpr_workgroup_id_x 1
		.amdhsa_system_sgpr_workgroup_id_y 0
		.amdhsa_system_sgpr_workgroup_id_z 0
		.amdhsa_system_sgpr_workgroup_info 0
		.amdhsa_system_vgpr_workitem_id 0
		.amdhsa_next_free_vgpr 1
		.amdhsa_next_free_sgpr 1
		.amdhsa_named_barrier_count 0
		.amdhsa_reserve_vcc 0
		.amdhsa_float_round_mode_32 0
		.amdhsa_float_round_mode_16_64 0
		.amdhsa_float_denorm_mode_32 3
		.amdhsa_float_denorm_mode_16_64 3
		.amdhsa_fp16_overflow 0
		.amdhsa_memory_ordered 1
		.amdhsa_forward_progress 1
		.amdhsa_inst_pref_size 0
		.amdhsa_round_robin_scheduling 0
		.amdhsa_exception_fp_ieee_invalid_op 0
		.amdhsa_exception_fp_denorm_src 0
		.amdhsa_exception_fp_ieee_div_zero 0
		.amdhsa_exception_fp_ieee_overflow 0
		.amdhsa_exception_fp_ieee_underflow 0
		.amdhsa_exception_fp_ieee_inexact 0
		.amdhsa_exception_int_div_zero 0
	.end_amdhsa_kernel
	.section	.text._ZN7rocprim17ROCPRIM_400000_NS6detail17trampoline_kernelINS0_14default_configENS1_36segmented_radix_sort_config_selectorIdlEEZNS1_25segmented_radix_sort_implIS3_Lb0EPKdPdPKlPlN2at6native12_GLOBAL__N_18offset_tEEE10hipError_tPvRmT1_PNSt15iterator_traitsISK_E10value_typeET2_T3_PNSL_ISQ_E10value_typeET4_jRbjT5_SW_jjP12ihipStream_tbEUlT_E0_NS1_11comp_targetILNS1_3genE10ELNS1_11target_archE1201ELNS1_3gpuE5ELNS1_3repE0EEENS1_60segmented_radix_sort_warp_sort_medium_config_static_selectorELNS0_4arch9wavefront6targetE0EEEvSK_,"axG",@progbits,_ZN7rocprim17ROCPRIM_400000_NS6detail17trampoline_kernelINS0_14default_configENS1_36segmented_radix_sort_config_selectorIdlEEZNS1_25segmented_radix_sort_implIS3_Lb0EPKdPdPKlPlN2at6native12_GLOBAL__N_18offset_tEEE10hipError_tPvRmT1_PNSt15iterator_traitsISK_E10value_typeET2_T3_PNSL_ISQ_E10value_typeET4_jRbjT5_SW_jjP12ihipStream_tbEUlT_E0_NS1_11comp_targetILNS1_3genE10ELNS1_11target_archE1201ELNS1_3gpuE5ELNS1_3repE0EEENS1_60segmented_radix_sort_warp_sort_medium_config_static_selectorELNS0_4arch9wavefront6targetE0EEEvSK_,comdat
.Lfunc_end1231:
	.size	_ZN7rocprim17ROCPRIM_400000_NS6detail17trampoline_kernelINS0_14default_configENS1_36segmented_radix_sort_config_selectorIdlEEZNS1_25segmented_radix_sort_implIS3_Lb0EPKdPdPKlPlN2at6native12_GLOBAL__N_18offset_tEEE10hipError_tPvRmT1_PNSt15iterator_traitsISK_E10value_typeET2_T3_PNSL_ISQ_E10value_typeET4_jRbjT5_SW_jjP12ihipStream_tbEUlT_E0_NS1_11comp_targetILNS1_3genE10ELNS1_11target_archE1201ELNS1_3gpuE5ELNS1_3repE0EEENS1_60segmented_radix_sort_warp_sort_medium_config_static_selectorELNS0_4arch9wavefront6targetE0EEEvSK_, .Lfunc_end1231-_ZN7rocprim17ROCPRIM_400000_NS6detail17trampoline_kernelINS0_14default_configENS1_36segmented_radix_sort_config_selectorIdlEEZNS1_25segmented_radix_sort_implIS3_Lb0EPKdPdPKlPlN2at6native12_GLOBAL__N_18offset_tEEE10hipError_tPvRmT1_PNSt15iterator_traitsISK_E10value_typeET2_T3_PNSL_ISQ_E10value_typeET4_jRbjT5_SW_jjP12ihipStream_tbEUlT_E0_NS1_11comp_targetILNS1_3genE10ELNS1_11target_archE1201ELNS1_3gpuE5ELNS1_3repE0EEENS1_60segmented_radix_sort_warp_sort_medium_config_static_selectorELNS0_4arch9wavefront6targetE0EEEvSK_
                                        ; -- End function
	.set _ZN7rocprim17ROCPRIM_400000_NS6detail17trampoline_kernelINS0_14default_configENS1_36segmented_radix_sort_config_selectorIdlEEZNS1_25segmented_radix_sort_implIS3_Lb0EPKdPdPKlPlN2at6native12_GLOBAL__N_18offset_tEEE10hipError_tPvRmT1_PNSt15iterator_traitsISK_E10value_typeET2_T3_PNSL_ISQ_E10value_typeET4_jRbjT5_SW_jjP12ihipStream_tbEUlT_E0_NS1_11comp_targetILNS1_3genE10ELNS1_11target_archE1201ELNS1_3gpuE5ELNS1_3repE0EEENS1_60segmented_radix_sort_warp_sort_medium_config_static_selectorELNS0_4arch9wavefront6targetE0EEEvSK_.num_vgpr, 0
	.set _ZN7rocprim17ROCPRIM_400000_NS6detail17trampoline_kernelINS0_14default_configENS1_36segmented_radix_sort_config_selectorIdlEEZNS1_25segmented_radix_sort_implIS3_Lb0EPKdPdPKlPlN2at6native12_GLOBAL__N_18offset_tEEE10hipError_tPvRmT1_PNSt15iterator_traitsISK_E10value_typeET2_T3_PNSL_ISQ_E10value_typeET4_jRbjT5_SW_jjP12ihipStream_tbEUlT_E0_NS1_11comp_targetILNS1_3genE10ELNS1_11target_archE1201ELNS1_3gpuE5ELNS1_3repE0EEENS1_60segmented_radix_sort_warp_sort_medium_config_static_selectorELNS0_4arch9wavefront6targetE0EEEvSK_.num_agpr, 0
	.set _ZN7rocprim17ROCPRIM_400000_NS6detail17trampoline_kernelINS0_14default_configENS1_36segmented_radix_sort_config_selectorIdlEEZNS1_25segmented_radix_sort_implIS3_Lb0EPKdPdPKlPlN2at6native12_GLOBAL__N_18offset_tEEE10hipError_tPvRmT1_PNSt15iterator_traitsISK_E10value_typeET2_T3_PNSL_ISQ_E10value_typeET4_jRbjT5_SW_jjP12ihipStream_tbEUlT_E0_NS1_11comp_targetILNS1_3genE10ELNS1_11target_archE1201ELNS1_3gpuE5ELNS1_3repE0EEENS1_60segmented_radix_sort_warp_sort_medium_config_static_selectorELNS0_4arch9wavefront6targetE0EEEvSK_.numbered_sgpr, 0
	.set _ZN7rocprim17ROCPRIM_400000_NS6detail17trampoline_kernelINS0_14default_configENS1_36segmented_radix_sort_config_selectorIdlEEZNS1_25segmented_radix_sort_implIS3_Lb0EPKdPdPKlPlN2at6native12_GLOBAL__N_18offset_tEEE10hipError_tPvRmT1_PNSt15iterator_traitsISK_E10value_typeET2_T3_PNSL_ISQ_E10value_typeET4_jRbjT5_SW_jjP12ihipStream_tbEUlT_E0_NS1_11comp_targetILNS1_3genE10ELNS1_11target_archE1201ELNS1_3gpuE5ELNS1_3repE0EEENS1_60segmented_radix_sort_warp_sort_medium_config_static_selectorELNS0_4arch9wavefront6targetE0EEEvSK_.num_named_barrier, 0
	.set _ZN7rocprim17ROCPRIM_400000_NS6detail17trampoline_kernelINS0_14default_configENS1_36segmented_radix_sort_config_selectorIdlEEZNS1_25segmented_radix_sort_implIS3_Lb0EPKdPdPKlPlN2at6native12_GLOBAL__N_18offset_tEEE10hipError_tPvRmT1_PNSt15iterator_traitsISK_E10value_typeET2_T3_PNSL_ISQ_E10value_typeET4_jRbjT5_SW_jjP12ihipStream_tbEUlT_E0_NS1_11comp_targetILNS1_3genE10ELNS1_11target_archE1201ELNS1_3gpuE5ELNS1_3repE0EEENS1_60segmented_radix_sort_warp_sort_medium_config_static_selectorELNS0_4arch9wavefront6targetE0EEEvSK_.private_seg_size, 0
	.set _ZN7rocprim17ROCPRIM_400000_NS6detail17trampoline_kernelINS0_14default_configENS1_36segmented_radix_sort_config_selectorIdlEEZNS1_25segmented_radix_sort_implIS3_Lb0EPKdPdPKlPlN2at6native12_GLOBAL__N_18offset_tEEE10hipError_tPvRmT1_PNSt15iterator_traitsISK_E10value_typeET2_T3_PNSL_ISQ_E10value_typeET4_jRbjT5_SW_jjP12ihipStream_tbEUlT_E0_NS1_11comp_targetILNS1_3genE10ELNS1_11target_archE1201ELNS1_3gpuE5ELNS1_3repE0EEENS1_60segmented_radix_sort_warp_sort_medium_config_static_selectorELNS0_4arch9wavefront6targetE0EEEvSK_.uses_vcc, 0
	.set _ZN7rocprim17ROCPRIM_400000_NS6detail17trampoline_kernelINS0_14default_configENS1_36segmented_radix_sort_config_selectorIdlEEZNS1_25segmented_radix_sort_implIS3_Lb0EPKdPdPKlPlN2at6native12_GLOBAL__N_18offset_tEEE10hipError_tPvRmT1_PNSt15iterator_traitsISK_E10value_typeET2_T3_PNSL_ISQ_E10value_typeET4_jRbjT5_SW_jjP12ihipStream_tbEUlT_E0_NS1_11comp_targetILNS1_3genE10ELNS1_11target_archE1201ELNS1_3gpuE5ELNS1_3repE0EEENS1_60segmented_radix_sort_warp_sort_medium_config_static_selectorELNS0_4arch9wavefront6targetE0EEEvSK_.uses_flat_scratch, 0
	.set _ZN7rocprim17ROCPRIM_400000_NS6detail17trampoline_kernelINS0_14default_configENS1_36segmented_radix_sort_config_selectorIdlEEZNS1_25segmented_radix_sort_implIS3_Lb0EPKdPdPKlPlN2at6native12_GLOBAL__N_18offset_tEEE10hipError_tPvRmT1_PNSt15iterator_traitsISK_E10value_typeET2_T3_PNSL_ISQ_E10value_typeET4_jRbjT5_SW_jjP12ihipStream_tbEUlT_E0_NS1_11comp_targetILNS1_3genE10ELNS1_11target_archE1201ELNS1_3gpuE5ELNS1_3repE0EEENS1_60segmented_radix_sort_warp_sort_medium_config_static_selectorELNS0_4arch9wavefront6targetE0EEEvSK_.has_dyn_sized_stack, 0
	.set _ZN7rocprim17ROCPRIM_400000_NS6detail17trampoline_kernelINS0_14default_configENS1_36segmented_radix_sort_config_selectorIdlEEZNS1_25segmented_radix_sort_implIS3_Lb0EPKdPdPKlPlN2at6native12_GLOBAL__N_18offset_tEEE10hipError_tPvRmT1_PNSt15iterator_traitsISK_E10value_typeET2_T3_PNSL_ISQ_E10value_typeET4_jRbjT5_SW_jjP12ihipStream_tbEUlT_E0_NS1_11comp_targetILNS1_3genE10ELNS1_11target_archE1201ELNS1_3gpuE5ELNS1_3repE0EEENS1_60segmented_radix_sort_warp_sort_medium_config_static_selectorELNS0_4arch9wavefront6targetE0EEEvSK_.has_recursion, 0
	.set _ZN7rocprim17ROCPRIM_400000_NS6detail17trampoline_kernelINS0_14default_configENS1_36segmented_radix_sort_config_selectorIdlEEZNS1_25segmented_radix_sort_implIS3_Lb0EPKdPdPKlPlN2at6native12_GLOBAL__N_18offset_tEEE10hipError_tPvRmT1_PNSt15iterator_traitsISK_E10value_typeET2_T3_PNSL_ISQ_E10value_typeET4_jRbjT5_SW_jjP12ihipStream_tbEUlT_E0_NS1_11comp_targetILNS1_3genE10ELNS1_11target_archE1201ELNS1_3gpuE5ELNS1_3repE0EEENS1_60segmented_radix_sort_warp_sort_medium_config_static_selectorELNS0_4arch9wavefront6targetE0EEEvSK_.has_indirect_call, 0
	.section	.AMDGPU.csdata,"",@progbits
; Kernel info:
; codeLenInByte = 0
; TotalNumSgprs: 0
; NumVgprs: 0
; ScratchSize: 0
; MemoryBound: 0
; FloatMode: 240
; IeeeMode: 1
; LDSByteSize: 0 bytes/workgroup (compile time only)
; SGPRBlocks: 0
; VGPRBlocks: 0
; NumSGPRsForWavesPerEU: 1
; NumVGPRsForWavesPerEU: 1
; NamedBarCnt: 0
; Occupancy: 16
; WaveLimiterHint : 0
; COMPUTE_PGM_RSRC2:SCRATCH_EN: 0
; COMPUTE_PGM_RSRC2:USER_SGPR: 2
; COMPUTE_PGM_RSRC2:TRAP_HANDLER: 0
; COMPUTE_PGM_RSRC2:TGID_X_EN: 1
; COMPUTE_PGM_RSRC2:TGID_Y_EN: 0
; COMPUTE_PGM_RSRC2:TGID_Z_EN: 0
; COMPUTE_PGM_RSRC2:TIDIG_COMP_CNT: 0
	.section	.text._ZN7rocprim17ROCPRIM_400000_NS6detail17trampoline_kernelINS0_14default_configENS1_36segmented_radix_sort_config_selectorIdlEEZNS1_25segmented_radix_sort_implIS3_Lb0EPKdPdPKlPlN2at6native12_GLOBAL__N_18offset_tEEE10hipError_tPvRmT1_PNSt15iterator_traitsISK_E10value_typeET2_T3_PNSL_ISQ_E10value_typeET4_jRbjT5_SW_jjP12ihipStream_tbEUlT_E0_NS1_11comp_targetILNS1_3genE10ELNS1_11target_archE1200ELNS1_3gpuE4ELNS1_3repE0EEENS1_60segmented_radix_sort_warp_sort_medium_config_static_selectorELNS0_4arch9wavefront6targetE0EEEvSK_,"axG",@progbits,_ZN7rocprim17ROCPRIM_400000_NS6detail17trampoline_kernelINS0_14default_configENS1_36segmented_radix_sort_config_selectorIdlEEZNS1_25segmented_radix_sort_implIS3_Lb0EPKdPdPKlPlN2at6native12_GLOBAL__N_18offset_tEEE10hipError_tPvRmT1_PNSt15iterator_traitsISK_E10value_typeET2_T3_PNSL_ISQ_E10value_typeET4_jRbjT5_SW_jjP12ihipStream_tbEUlT_E0_NS1_11comp_targetILNS1_3genE10ELNS1_11target_archE1200ELNS1_3gpuE4ELNS1_3repE0EEENS1_60segmented_radix_sort_warp_sort_medium_config_static_selectorELNS0_4arch9wavefront6targetE0EEEvSK_,comdat
	.globl	_ZN7rocprim17ROCPRIM_400000_NS6detail17trampoline_kernelINS0_14default_configENS1_36segmented_radix_sort_config_selectorIdlEEZNS1_25segmented_radix_sort_implIS3_Lb0EPKdPdPKlPlN2at6native12_GLOBAL__N_18offset_tEEE10hipError_tPvRmT1_PNSt15iterator_traitsISK_E10value_typeET2_T3_PNSL_ISQ_E10value_typeET4_jRbjT5_SW_jjP12ihipStream_tbEUlT_E0_NS1_11comp_targetILNS1_3genE10ELNS1_11target_archE1200ELNS1_3gpuE4ELNS1_3repE0EEENS1_60segmented_radix_sort_warp_sort_medium_config_static_selectorELNS0_4arch9wavefront6targetE0EEEvSK_ ; -- Begin function _ZN7rocprim17ROCPRIM_400000_NS6detail17trampoline_kernelINS0_14default_configENS1_36segmented_radix_sort_config_selectorIdlEEZNS1_25segmented_radix_sort_implIS3_Lb0EPKdPdPKlPlN2at6native12_GLOBAL__N_18offset_tEEE10hipError_tPvRmT1_PNSt15iterator_traitsISK_E10value_typeET2_T3_PNSL_ISQ_E10value_typeET4_jRbjT5_SW_jjP12ihipStream_tbEUlT_E0_NS1_11comp_targetILNS1_3genE10ELNS1_11target_archE1200ELNS1_3gpuE4ELNS1_3repE0EEENS1_60segmented_radix_sort_warp_sort_medium_config_static_selectorELNS0_4arch9wavefront6targetE0EEEvSK_
	.p2align	8
	.type	_ZN7rocprim17ROCPRIM_400000_NS6detail17trampoline_kernelINS0_14default_configENS1_36segmented_radix_sort_config_selectorIdlEEZNS1_25segmented_radix_sort_implIS3_Lb0EPKdPdPKlPlN2at6native12_GLOBAL__N_18offset_tEEE10hipError_tPvRmT1_PNSt15iterator_traitsISK_E10value_typeET2_T3_PNSL_ISQ_E10value_typeET4_jRbjT5_SW_jjP12ihipStream_tbEUlT_E0_NS1_11comp_targetILNS1_3genE10ELNS1_11target_archE1200ELNS1_3gpuE4ELNS1_3repE0EEENS1_60segmented_radix_sort_warp_sort_medium_config_static_selectorELNS0_4arch9wavefront6targetE0EEEvSK_,@function
_ZN7rocprim17ROCPRIM_400000_NS6detail17trampoline_kernelINS0_14default_configENS1_36segmented_radix_sort_config_selectorIdlEEZNS1_25segmented_radix_sort_implIS3_Lb0EPKdPdPKlPlN2at6native12_GLOBAL__N_18offset_tEEE10hipError_tPvRmT1_PNSt15iterator_traitsISK_E10value_typeET2_T3_PNSL_ISQ_E10value_typeET4_jRbjT5_SW_jjP12ihipStream_tbEUlT_E0_NS1_11comp_targetILNS1_3genE10ELNS1_11target_archE1200ELNS1_3gpuE4ELNS1_3repE0EEENS1_60segmented_radix_sort_warp_sort_medium_config_static_selectorELNS0_4arch9wavefront6targetE0EEEvSK_: ; @_ZN7rocprim17ROCPRIM_400000_NS6detail17trampoline_kernelINS0_14default_configENS1_36segmented_radix_sort_config_selectorIdlEEZNS1_25segmented_radix_sort_implIS3_Lb0EPKdPdPKlPlN2at6native12_GLOBAL__N_18offset_tEEE10hipError_tPvRmT1_PNSt15iterator_traitsISK_E10value_typeET2_T3_PNSL_ISQ_E10value_typeET4_jRbjT5_SW_jjP12ihipStream_tbEUlT_E0_NS1_11comp_targetILNS1_3genE10ELNS1_11target_archE1200ELNS1_3gpuE4ELNS1_3repE0EEENS1_60segmented_radix_sort_warp_sort_medium_config_static_selectorELNS0_4arch9wavefront6targetE0EEEvSK_
; %bb.0:
	.section	.rodata,"a",@progbits
	.p2align	6, 0x0
	.amdhsa_kernel _ZN7rocprim17ROCPRIM_400000_NS6detail17trampoline_kernelINS0_14default_configENS1_36segmented_radix_sort_config_selectorIdlEEZNS1_25segmented_radix_sort_implIS3_Lb0EPKdPdPKlPlN2at6native12_GLOBAL__N_18offset_tEEE10hipError_tPvRmT1_PNSt15iterator_traitsISK_E10value_typeET2_T3_PNSL_ISQ_E10value_typeET4_jRbjT5_SW_jjP12ihipStream_tbEUlT_E0_NS1_11comp_targetILNS1_3genE10ELNS1_11target_archE1200ELNS1_3gpuE4ELNS1_3repE0EEENS1_60segmented_radix_sort_warp_sort_medium_config_static_selectorELNS0_4arch9wavefront6targetE0EEEvSK_
		.amdhsa_group_segment_fixed_size 0
		.amdhsa_private_segment_fixed_size 0
		.amdhsa_kernarg_size 88
		.amdhsa_user_sgpr_count 2
		.amdhsa_user_sgpr_dispatch_ptr 0
		.amdhsa_user_sgpr_queue_ptr 0
		.amdhsa_user_sgpr_kernarg_segment_ptr 1
		.amdhsa_user_sgpr_dispatch_id 0
		.amdhsa_user_sgpr_kernarg_preload_length 0
		.amdhsa_user_sgpr_kernarg_preload_offset 0
		.amdhsa_user_sgpr_private_segment_size 0
		.amdhsa_wavefront_size32 1
		.amdhsa_uses_dynamic_stack 0
		.amdhsa_enable_private_segment 0
		.amdhsa_system_sgpr_workgroup_id_x 1
		.amdhsa_system_sgpr_workgroup_id_y 0
		.amdhsa_system_sgpr_workgroup_id_z 0
		.amdhsa_system_sgpr_workgroup_info 0
		.amdhsa_system_vgpr_workitem_id 0
		.amdhsa_next_free_vgpr 1
		.amdhsa_next_free_sgpr 1
		.amdhsa_named_barrier_count 0
		.amdhsa_reserve_vcc 0
		.amdhsa_float_round_mode_32 0
		.amdhsa_float_round_mode_16_64 0
		.amdhsa_float_denorm_mode_32 3
		.amdhsa_float_denorm_mode_16_64 3
		.amdhsa_fp16_overflow 0
		.amdhsa_memory_ordered 1
		.amdhsa_forward_progress 1
		.amdhsa_inst_pref_size 0
		.amdhsa_round_robin_scheduling 0
		.amdhsa_exception_fp_ieee_invalid_op 0
		.amdhsa_exception_fp_denorm_src 0
		.amdhsa_exception_fp_ieee_div_zero 0
		.amdhsa_exception_fp_ieee_overflow 0
		.amdhsa_exception_fp_ieee_underflow 0
		.amdhsa_exception_fp_ieee_inexact 0
		.amdhsa_exception_int_div_zero 0
	.end_amdhsa_kernel
	.section	.text._ZN7rocprim17ROCPRIM_400000_NS6detail17trampoline_kernelINS0_14default_configENS1_36segmented_radix_sort_config_selectorIdlEEZNS1_25segmented_radix_sort_implIS3_Lb0EPKdPdPKlPlN2at6native12_GLOBAL__N_18offset_tEEE10hipError_tPvRmT1_PNSt15iterator_traitsISK_E10value_typeET2_T3_PNSL_ISQ_E10value_typeET4_jRbjT5_SW_jjP12ihipStream_tbEUlT_E0_NS1_11comp_targetILNS1_3genE10ELNS1_11target_archE1200ELNS1_3gpuE4ELNS1_3repE0EEENS1_60segmented_radix_sort_warp_sort_medium_config_static_selectorELNS0_4arch9wavefront6targetE0EEEvSK_,"axG",@progbits,_ZN7rocprim17ROCPRIM_400000_NS6detail17trampoline_kernelINS0_14default_configENS1_36segmented_radix_sort_config_selectorIdlEEZNS1_25segmented_radix_sort_implIS3_Lb0EPKdPdPKlPlN2at6native12_GLOBAL__N_18offset_tEEE10hipError_tPvRmT1_PNSt15iterator_traitsISK_E10value_typeET2_T3_PNSL_ISQ_E10value_typeET4_jRbjT5_SW_jjP12ihipStream_tbEUlT_E0_NS1_11comp_targetILNS1_3genE10ELNS1_11target_archE1200ELNS1_3gpuE4ELNS1_3repE0EEENS1_60segmented_radix_sort_warp_sort_medium_config_static_selectorELNS0_4arch9wavefront6targetE0EEEvSK_,comdat
.Lfunc_end1232:
	.size	_ZN7rocprim17ROCPRIM_400000_NS6detail17trampoline_kernelINS0_14default_configENS1_36segmented_radix_sort_config_selectorIdlEEZNS1_25segmented_radix_sort_implIS3_Lb0EPKdPdPKlPlN2at6native12_GLOBAL__N_18offset_tEEE10hipError_tPvRmT1_PNSt15iterator_traitsISK_E10value_typeET2_T3_PNSL_ISQ_E10value_typeET4_jRbjT5_SW_jjP12ihipStream_tbEUlT_E0_NS1_11comp_targetILNS1_3genE10ELNS1_11target_archE1200ELNS1_3gpuE4ELNS1_3repE0EEENS1_60segmented_radix_sort_warp_sort_medium_config_static_selectorELNS0_4arch9wavefront6targetE0EEEvSK_, .Lfunc_end1232-_ZN7rocprim17ROCPRIM_400000_NS6detail17trampoline_kernelINS0_14default_configENS1_36segmented_radix_sort_config_selectorIdlEEZNS1_25segmented_radix_sort_implIS3_Lb0EPKdPdPKlPlN2at6native12_GLOBAL__N_18offset_tEEE10hipError_tPvRmT1_PNSt15iterator_traitsISK_E10value_typeET2_T3_PNSL_ISQ_E10value_typeET4_jRbjT5_SW_jjP12ihipStream_tbEUlT_E0_NS1_11comp_targetILNS1_3genE10ELNS1_11target_archE1200ELNS1_3gpuE4ELNS1_3repE0EEENS1_60segmented_radix_sort_warp_sort_medium_config_static_selectorELNS0_4arch9wavefront6targetE0EEEvSK_
                                        ; -- End function
	.set _ZN7rocprim17ROCPRIM_400000_NS6detail17trampoline_kernelINS0_14default_configENS1_36segmented_radix_sort_config_selectorIdlEEZNS1_25segmented_radix_sort_implIS3_Lb0EPKdPdPKlPlN2at6native12_GLOBAL__N_18offset_tEEE10hipError_tPvRmT1_PNSt15iterator_traitsISK_E10value_typeET2_T3_PNSL_ISQ_E10value_typeET4_jRbjT5_SW_jjP12ihipStream_tbEUlT_E0_NS1_11comp_targetILNS1_3genE10ELNS1_11target_archE1200ELNS1_3gpuE4ELNS1_3repE0EEENS1_60segmented_radix_sort_warp_sort_medium_config_static_selectorELNS0_4arch9wavefront6targetE0EEEvSK_.num_vgpr, 0
	.set _ZN7rocprim17ROCPRIM_400000_NS6detail17trampoline_kernelINS0_14default_configENS1_36segmented_radix_sort_config_selectorIdlEEZNS1_25segmented_radix_sort_implIS3_Lb0EPKdPdPKlPlN2at6native12_GLOBAL__N_18offset_tEEE10hipError_tPvRmT1_PNSt15iterator_traitsISK_E10value_typeET2_T3_PNSL_ISQ_E10value_typeET4_jRbjT5_SW_jjP12ihipStream_tbEUlT_E0_NS1_11comp_targetILNS1_3genE10ELNS1_11target_archE1200ELNS1_3gpuE4ELNS1_3repE0EEENS1_60segmented_radix_sort_warp_sort_medium_config_static_selectorELNS0_4arch9wavefront6targetE0EEEvSK_.num_agpr, 0
	.set _ZN7rocprim17ROCPRIM_400000_NS6detail17trampoline_kernelINS0_14default_configENS1_36segmented_radix_sort_config_selectorIdlEEZNS1_25segmented_radix_sort_implIS3_Lb0EPKdPdPKlPlN2at6native12_GLOBAL__N_18offset_tEEE10hipError_tPvRmT1_PNSt15iterator_traitsISK_E10value_typeET2_T3_PNSL_ISQ_E10value_typeET4_jRbjT5_SW_jjP12ihipStream_tbEUlT_E0_NS1_11comp_targetILNS1_3genE10ELNS1_11target_archE1200ELNS1_3gpuE4ELNS1_3repE0EEENS1_60segmented_radix_sort_warp_sort_medium_config_static_selectorELNS0_4arch9wavefront6targetE0EEEvSK_.numbered_sgpr, 0
	.set _ZN7rocprim17ROCPRIM_400000_NS6detail17trampoline_kernelINS0_14default_configENS1_36segmented_radix_sort_config_selectorIdlEEZNS1_25segmented_radix_sort_implIS3_Lb0EPKdPdPKlPlN2at6native12_GLOBAL__N_18offset_tEEE10hipError_tPvRmT1_PNSt15iterator_traitsISK_E10value_typeET2_T3_PNSL_ISQ_E10value_typeET4_jRbjT5_SW_jjP12ihipStream_tbEUlT_E0_NS1_11comp_targetILNS1_3genE10ELNS1_11target_archE1200ELNS1_3gpuE4ELNS1_3repE0EEENS1_60segmented_radix_sort_warp_sort_medium_config_static_selectorELNS0_4arch9wavefront6targetE0EEEvSK_.num_named_barrier, 0
	.set _ZN7rocprim17ROCPRIM_400000_NS6detail17trampoline_kernelINS0_14default_configENS1_36segmented_radix_sort_config_selectorIdlEEZNS1_25segmented_radix_sort_implIS3_Lb0EPKdPdPKlPlN2at6native12_GLOBAL__N_18offset_tEEE10hipError_tPvRmT1_PNSt15iterator_traitsISK_E10value_typeET2_T3_PNSL_ISQ_E10value_typeET4_jRbjT5_SW_jjP12ihipStream_tbEUlT_E0_NS1_11comp_targetILNS1_3genE10ELNS1_11target_archE1200ELNS1_3gpuE4ELNS1_3repE0EEENS1_60segmented_radix_sort_warp_sort_medium_config_static_selectorELNS0_4arch9wavefront6targetE0EEEvSK_.private_seg_size, 0
	.set _ZN7rocprim17ROCPRIM_400000_NS6detail17trampoline_kernelINS0_14default_configENS1_36segmented_radix_sort_config_selectorIdlEEZNS1_25segmented_radix_sort_implIS3_Lb0EPKdPdPKlPlN2at6native12_GLOBAL__N_18offset_tEEE10hipError_tPvRmT1_PNSt15iterator_traitsISK_E10value_typeET2_T3_PNSL_ISQ_E10value_typeET4_jRbjT5_SW_jjP12ihipStream_tbEUlT_E0_NS1_11comp_targetILNS1_3genE10ELNS1_11target_archE1200ELNS1_3gpuE4ELNS1_3repE0EEENS1_60segmented_radix_sort_warp_sort_medium_config_static_selectorELNS0_4arch9wavefront6targetE0EEEvSK_.uses_vcc, 0
	.set _ZN7rocprim17ROCPRIM_400000_NS6detail17trampoline_kernelINS0_14default_configENS1_36segmented_radix_sort_config_selectorIdlEEZNS1_25segmented_radix_sort_implIS3_Lb0EPKdPdPKlPlN2at6native12_GLOBAL__N_18offset_tEEE10hipError_tPvRmT1_PNSt15iterator_traitsISK_E10value_typeET2_T3_PNSL_ISQ_E10value_typeET4_jRbjT5_SW_jjP12ihipStream_tbEUlT_E0_NS1_11comp_targetILNS1_3genE10ELNS1_11target_archE1200ELNS1_3gpuE4ELNS1_3repE0EEENS1_60segmented_radix_sort_warp_sort_medium_config_static_selectorELNS0_4arch9wavefront6targetE0EEEvSK_.uses_flat_scratch, 0
	.set _ZN7rocprim17ROCPRIM_400000_NS6detail17trampoline_kernelINS0_14default_configENS1_36segmented_radix_sort_config_selectorIdlEEZNS1_25segmented_radix_sort_implIS3_Lb0EPKdPdPKlPlN2at6native12_GLOBAL__N_18offset_tEEE10hipError_tPvRmT1_PNSt15iterator_traitsISK_E10value_typeET2_T3_PNSL_ISQ_E10value_typeET4_jRbjT5_SW_jjP12ihipStream_tbEUlT_E0_NS1_11comp_targetILNS1_3genE10ELNS1_11target_archE1200ELNS1_3gpuE4ELNS1_3repE0EEENS1_60segmented_radix_sort_warp_sort_medium_config_static_selectorELNS0_4arch9wavefront6targetE0EEEvSK_.has_dyn_sized_stack, 0
	.set _ZN7rocprim17ROCPRIM_400000_NS6detail17trampoline_kernelINS0_14default_configENS1_36segmented_radix_sort_config_selectorIdlEEZNS1_25segmented_radix_sort_implIS3_Lb0EPKdPdPKlPlN2at6native12_GLOBAL__N_18offset_tEEE10hipError_tPvRmT1_PNSt15iterator_traitsISK_E10value_typeET2_T3_PNSL_ISQ_E10value_typeET4_jRbjT5_SW_jjP12ihipStream_tbEUlT_E0_NS1_11comp_targetILNS1_3genE10ELNS1_11target_archE1200ELNS1_3gpuE4ELNS1_3repE0EEENS1_60segmented_radix_sort_warp_sort_medium_config_static_selectorELNS0_4arch9wavefront6targetE0EEEvSK_.has_recursion, 0
	.set _ZN7rocprim17ROCPRIM_400000_NS6detail17trampoline_kernelINS0_14default_configENS1_36segmented_radix_sort_config_selectorIdlEEZNS1_25segmented_radix_sort_implIS3_Lb0EPKdPdPKlPlN2at6native12_GLOBAL__N_18offset_tEEE10hipError_tPvRmT1_PNSt15iterator_traitsISK_E10value_typeET2_T3_PNSL_ISQ_E10value_typeET4_jRbjT5_SW_jjP12ihipStream_tbEUlT_E0_NS1_11comp_targetILNS1_3genE10ELNS1_11target_archE1200ELNS1_3gpuE4ELNS1_3repE0EEENS1_60segmented_radix_sort_warp_sort_medium_config_static_selectorELNS0_4arch9wavefront6targetE0EEEvSK_.has_indirect_call, 0
	.section	.AMDGPU.csdata,"",@progbits
; Kernel info:
; codeLenInByte = 0
; TotalNumSgprs: 0
; NumVgprs: 0
; ScratchSize: 0
; MemoryBound: 0
; FloatMode: 240
; IeeeMode: 1
; LDSByteSize: 0 bytes/workgroup (compile time only)
; SGPRBlocks: 0
; VGPRBlocks: 0
; NumSGPRsForWavesPerEU: 1
; NumVGPRsForWavesPerEU: 1
; NamedBarCnt: 0
; Occupancy: 16
; WaveLimiterHint : 0
; COMPUTE_PGM_RSRC2:SCRATCH_EN: 0
; COMPUTE_PGM_RSRC2:USER_SGPR: 2
; COMPUTE_PGM_RSRC2:TRAP_HANDLER: 0
; COMPUTE_PGM_RSRC2:TGID_X_EN: 1
; COMPUTE_PGM_RSRC2:TGID_Y_EN: 0
; COMPUTE_PGM_RSRC2:TGID_Z_EN: 0
; COMPUTE_PGM_RSRC2:TIDIG_COMP_CNT: 0
	.section	.text._ZN7rocprim17ROCPRIM_400000_NS6detail17trampoline_kernelINS0_14default_configENS1_36segmented_radix_sort_config_selectorIdlEEZNS1_25segmented_radix_sort_implIS3_Lb0EPKdPdPKlPlN2at6native12_GLOBAL__N_18offset_tEEE10hipError_tPvRmT1_PNSt15iterator_traitsISK_E10value_typeET2_T3_PNSL_ISQ_E10value_typeET4_jRbjT5_SW_jjP12ihipStream_tbEUlT_E0_NS1_11comp_targetILNS1_3genE9ELNS1_11target_archE1100ELNS1_3gpuE3ELNS1_3repE0EEENS1_60segmented_radix_sort_warp_sort_medium_config_static_selectorELNS0_4arch9wavefront6targetE0EEEvSK_,"axG",@progbits,_ZN7rocprim17ROCPRIM_400000_NS6detail17trampoline_kernelINS0_14default_configENS1_36segmented_radix_sort_config_selectorIdlEEZNS1_25segmented_radix_sort_implIS3_Lb0EPKdPdPKlPlN2at6native12_GLOBAL__N_18offset_tEEE10hipError_tPvRmT1_PNSt15iterator_traitsISK_E10value_typeET2_T3_PNSL_ISQ_E10value_typeET4_jRbjT5_SW_jjP12ihipStream_tbEUlT_E0_NS1_11comp_targetILNS1_3genE9ELNS1_11target_archE1100ELNS1_3gpuE3ELNS1_3repE0EEENS1_60segmented_radix_sort_warp_sort_medium_config_static_selectorELNS0_4arch9wavefront6targetE0EEEvSK_,comdat
	.globl	_ZN7rocprim17ROCPRIM_400000_NS6detail17trampoline_kernelINS0_14default_configENS1_36segmented_radix_sort_config_selectorIdlEEZNS1_25segmented_radix_sort_implIS3_Lb0EPKdPdPKlPlN2at6native12_GLOBAL__N_18offset_tEEE10hipError_tPvRmT1_PNSt15iterator_traitsISK_E10value_typeET2_T3_PNSL_ISQ_E10value_typeET4_jRbjT5_SW_jjP12ihipStream_tbEUlT_E0_NS1_11comp_targetILNS1_3genE9ELNS1_11target_archE1100ELNS1_3gpuE3ELNS1_3repE0EEENS1_60segmented_radix_sort_warp_sort_medium_config_static_selectorELNS0_4arch9wavefront6targetE0EEEvSK_ ; -- Begin function _ZN7rocprim17ROCPRIM_400000_NS6detail17trampoline_kernelINS0_14default_configENS1_36segmented_radix_sort_config_selectorIdlEEZNS1_25segmented_radix_sort_implIS3_Lb0EPKdPdPKlPlN2at6native12_GLOBAL__N_18offset_tEEE10hipError_tPvRmT1_PNSt15iterator_traitsISK_E10value_typeET2_T3_PNSL_ISQ_E10value_typeET4_jRbjT5_SW_jjP12ihipStream_tbEUlT_E0_NS1_11comp_targetILNS1_3genE9ELNS1_11target_archE1100ELNS1_3gpuE3ELNS1_3repE0EEENS1_60segmented_radix_sort_warp_sort_medium_config_static_selectorELNS0_4arch9wavefront6targetE0EEEvSK_
	.p2align	8
	.type	_ZN7rocprim17ROCPRIM_400000_NS6detail17trampoline_kernelINS0_14default_configENS1_36segmented_radix_sort_config_selectorIdlEEZNS1_25segmented_radix_sort_implIS3_Lb0EPKdPdPKlPlN2at6native12_GLOBAL__N_18offset_tEEE10hipError_tPvRmT1_PNSt15iterator_traitsISK_E10value_typeET2_T3_PNSL_ISQ_E10value_typeET4_jRbjT5_SW_jjP12ihipStream_tbEUlT_E0_NS1_11comp_targetILNS1_3genE9ELNS1_11target_archE1100ELNS1_3gpuE3ELNS1_3repE0EEENS1_60segmented_radix_sort_warp_sort_medium_config_static_selectorELNS0_4arch9wavefront6targetE0EEEvSK_,@function
_ZN7rocprim17ROCPRIM_400000_NS6detail17trampoline_kernelINS0_14default_configENS1_36segmented_radix_sort_config_selectorIdlEEZNS1_25segmented_radix_sort_implIS3_Lb0EPKdPdPKlPlN2at6native12_GLOBAL__N_18offset_tEEE10hipError_tPvRmT1_PNSt15iterator_traitsISK_E10value_typeET2_T3_PNSL_ISQ_E10value_typeET4_jRbjT5_SW_jjP12ihipStream_tbEUlT_E0_NS1_11comp_targetILNS1_3genE9ELNS1_11target_archE1100ELNS1_3gpuE3ELNS1_3repE0EEENS1_60segmented_radix_sort_warp_sort_medium_config_static_selectorELNS0_4arch9wavefront6targetE0EEEvSK_: ; @_ZN7rocprim17ROCPRIM_400000_NS6detail17trampoline_kernelINS0_14default_configENS1_36segmented_radix_sort_config_selectorIdlEEZNS1_25segmented_radix_sort_implIS3_Lb0EPKdPdPKlPlN2at6native12_GLOBAL__N_18offset_tEEE10hipError_tPvRmT1_PNSt15iterator_traitsISK_E10value_typeET2_T3_PNSL_ISQ_E10value_typeET4_jRbjT5_SW_jjP12ihipStream_tbEUlT_E0_NS1_11comp_targetILNS1_3genE9ELNS1_11target_archE1100ELNS1_3gpuE3ELNS1_3repE0EEENS1_60segmented_radix_sort_warp_sort_medium_config_static_selectorELNS0_4arch9wavefront6targetE0EEEvSK_
; %bb.0:
	.section	.rodata,"a",@progbits
	.p2align	6, 0x0
	.amdhsa_kernel _ZN7rocprim17ROCPRIM_400000_NS6detail17trampoline_kernelINS0_14default_configENS1_36segmented_radix_sort_config_selectorIdlEEZNS1_25segmented_radix_sort_implIS3_Lb0EPKdPdPKlPlN2at6native12_GLOBAL__N_18offset_tEEE10hipError_tPvRmT1_PNSt15iterator_traitsISK_E10value_typeET2_T3_PNSL_ISQ_E10value_typeET4_jRbjT5_SW_jjP12ihipStream_tbEUlT_E0_NS1_11comp_targetILNS1_3genE9ELNS1_11target_archE1100ELNS1_3gpuE3ELNS1_3repE0EEENS1_60segmented_radix_sort_warp_sort_medium_config_static_selectorELNS0_4arch9wavefront6targetE0EEEvSK_
		.amdhsa_group_segment_fixed_size 0
		.amdhsa_private_segment_fixed_size 0
		.amdhsa_kernarg_size 88
		.amdhsa_user_sgpr_count 2
		.amdhsa_user_sgpr_dispatch_ptr 0
		.amdhsa_user_sgpr_queue_ptr 0
		.amdhsa_user_sgpr_kernarg_segment_ptr 1
		.amdhsa_user_sgpr_dispatch_id 0
		.amdhsa_user_sgpr_kernarg_preload_length 0
		.amdhsa_user_sgpr_kernarg_preload_offset 0
		.amdhsa_user_sgpr_private_segment_size 0
		.amdhsa_wavefront_size32 1
		.amdhsa_uses_dynamic_stack 0
		.amdhsa_enable_private_segment 0
		.amdhsa_system_sgpr_workgroup_id_x 1
		.amdhsa_system_sgpr_workgroup_id_y 0
		.amdhsa_system_sgpr_workgroup_id_z 0
		.amdhsa_system_sgpr_workgroup_info 0
		.amdhsa_system_vgpr_workitem_id 0
		.amdhsa_next_free_vgpr 1
		.amdhsa_next_free_sgpr 1
		.amdhsa_named_barrier_count 0
		.amdhsa_reserve_vcc 0
		.amdhsa_float_round_mode_32 0
		.amdhsa_float_round_mode_16_64 0
		.amdhsa_float_denorm_mode_32 3
		.amdhsa_float_denorm_mode_16_64 3
		.amdhsa_fp16_overflow 0
		.amdhsa_memory_ordered 1
		.amdhsa_forward_progress 1
		.amdhsa_inst_pref_size 0
		.amdhsa_round_robin_scheduling 0
		.amdhsa_exception_fp_ieee_invalid_op 0
		.amdhsa_exception_fp_denorm_src 0
		.amdhsa_exception_fp_ieee_div_zero 0
		.amdhsa_exception_fp_ieee_overflow 0
		.amdhsa_exception_fp_ieee_underflow 0
		.amdhsa_exception_fp_ieee_inexact 0
		.amdhsa_exception_int_div_zero 0
	.end_amdhsa_kernel
	.section	.text._ZN7rocprim17ROCPRIM_400000_NS6detail17trampoline_kernelINS0_14default_configENS1_36segmented_radix_sort_config_selectorIdlEEZNS1_25segmented_radix_sort_implIS3_Lb0EPKdPdPKlPlN2at6native12_GLOBAL__N_18offset_tEEE10hipError_tPvRmT1_PNSt15iterator_traitsISK_E10value_typeET2_T3_PNSL_ISQ_E10value_typeET4_jRbjT5_SW_jjP12ihipStream_tbEUlT_E0_NS1_11comp_targetILNS1_3genE9ELNS1_11target_archE1100ELNS1_3gpuE3ELNS1_3repE0EEENS1_60segmented_radix_sort_warp_sort_medium_config_static_selectorELNS0_4arch9wavefront6targetE0EEEvSK_,"axG",@progbits,_ZN7rocprim17ROCPRIM_400000_NS6detail17trampoline_kernelINS0_14default_configENS1_36segmented_radix_sort_config_selectorIdlEEZNS1_25segmented_radix_sort_implIS3_Lb0EPKdPdPKlPlN2at6native12_GLOBAL__N_18offset_tEEE10hipError_tPvRmT1_PNSt15iterator_traitsISK_E10value_typeET2_T3_PNSL_ISQ_E10value_typeET4_jRbjT5_SW_jjP12ihipStream_tbEUlT_E0_NS1_11comp_targetILNS1_3genE9ELNS1_11target_archE1100ELNS1_3gpuE3ELNS1_3repE0EEENS1_60segmented_radix_sort_warp_sort_medium_config_static_selectorELNS0_4arch9wavefront6targetE0EEEvSK_,comdat
.Lfunc_end1233:
	.size	_ZN7rocprim17ROCPRIM_400000_NS6detail17trampoline_kernelINS0_14default_configENS1_36segmented_radix_sort_config_selectorIdlEEZNS1_25segmented_radix_sort_implIS3_Lb0EPKdPdPKlPlN2at6native12_GLOBAL__N_18offset_tEEE10hipError_tPvRmT1_PNSt15iterator_traitsISK_E10value_typeET2_T3_PNSL_ISQ_E10value_typeET4_jRbjT5_SW_jjP12ihipStream_tbEUlT_E0_NS1_11comp_targetILNS1_3genE9ELNS1_11target_archE1100ELNS1_3gpuE3ELNS1_3repE0EEENS1_60segmented_radix_sort_warp_sort_medium_config_static_selectorELNS0_4arch9wavefront6targetE0EEEvSK_, .Lfunc_end1233-_ZN7rocprim17ROCPRIM_400000_NS6detail17trampoline_kernelINS0_14default_configENS1_36segmented_radix_sort_config_selectorIdlEEZNS1_25segmented_radix_sort_implIS3_Lb0EPKdPdPKlPlN2at6native12_GLOBAL__N_18offset_tEEE10hipError_tPvRmT1_PNSt15iterator_traitsISK_E10value_typeET2_T3_PNSL_ISQ_E10value_typeET4_jRbjT5_SW_jjP12ihipStream_tbEUlT_E0_NS1_11comp_targetILNS1_3genE9ELNS1_11target_archE1100ELNS1_3gpuE3ELNS1_3repE0EEENS1_60segmented_radix_sort_warp_sort_medium_config_static_selectorELNS0_4arch9wavefront6targetE0EEEvSK_
                                        ; -- End function
	.set _ZN7rocprim17ROCPRIM_400000_NS6detail17trampoline_kernelINS0_14default_configENS1_36segmented_radix_sort_config_selectorIdlEEZNS1_25segmented_radix_sort_implIS3_Lb0EPKdPdPKlPlN2at6native12_GLOBAL__N_18offset_tEEE10hipError_tPvRmT1_PNSt15iterator_traitsISK_E10value_typeET2_T3_PNSL_ISQ_E10value_typeET4_jRbjT5_SW_jjP12ihipStream_tbEUlT_E0_NS1_11comp_targetILNS1_3genE9ELNS1_11target_archE1100ELNS1_3gpuE3ELNS1_3repE0EEENS1_60segmented_radix_sort_warp_sort_medium_config_static_selectorELNS0_4arch9wavefront6targetE0EEEvSK_.num_vgpr, 0
	.set _ZN7rocprim17ROCPRIM_400000_NS6detail17trampoline_kernelINS0_14default_configENS1_36segmented_radix_sort_config_selectorIdlEEZNS1_25segmented_radix_sort_implIS3_Lb0EPKdPdPKlPlN2at6native12_GLOBAL__N_18offset_tEEE10hipError_tPvRmT1_PNSt15iterator_traitsISK_E10value_typeET2_T3_PNSL_ISQ_E10value_typeET4_jRbjT5_SW_jjP12ihipStream_tbEUlT_E0_NS1_11comp_targetILNS1_3genE9ELNS1_11target_archE1100ELNS1_3gpuE3ELNS1_3repE0EEENS1_60segmented_radix_sort_warp_sort_medium_config_static_selectorELNS0_4arch9wavefront6targetE0EEEvSK_.num_agpr, 0
	.set _ZN7rocprim17ROCPRIM_400000_NS6detail17trampoline_kernelINS0_14default_configENS1_36segmented_radix_sort_config_selectorIdlEEZNS1_25segmented_radix_sort_implIS3_Lb0EPKdPdPKlPlN2at6native12_GLOBAL__N_18offset_tEEE10hipError_tPvRmT1_PNSt15iterator_traitsISK_E10value_typeET2_T3_PNSL_ISQ_E10value_typeET4_jRbjT5_SW_jjP12ihipStream_tbEUlT_E0_NS1_11comp_targetILNS1_3genE9ELNS1_11target_archE1100ELNS1_3gpuE3ELNS1_3repE0EEENS1_60segmented_radix_sort_warp_sort_medium_config_static_selectorELNS0_4arch9wavefront6targetE0EEEvSK_.numbered_sgpr, 0
	.set _ZN7rocprim17ROCPRIM_400000_NS6detail17trampoline_kernelINS0_14default_configENS1_36segmented_radix_sort_config_selectorIdlEEZNS1_25segmented_radix_sort_implIS3_Lb0EPKdPdPKlPlN2at6native12_GLOBAL__N_18offset_tEEE10hipError_tPvRmT1_PNSt15iterator_traitsISK_E10value_typeET2_T3_PNSL_ISQ_E10value_typeET4_jRbjT5_SW_jjP12ihipStream_tbEUlT_E0_NS1_11comp_targetILNS1_3genE9ELNS1_11target_archE1100ELNS1_3gpuE3ELNS1_3repE0EEENS1_60segmented_radix_sort_warp_sort_medium_config_static_selectorELNS0_4arch9wavefront6targetE0EEEvSK_.num_named_barrier, 0
	.set _ZN7rocprim17ROCPRIM_400000_NS6detail17trampoline_kernelINS0_14default_configENS1_36segmented_radix_sort_config_selectorIdlEEZNS1_25segmented_radix_sort_implIS3_Lb0EPKdPdPKlPlN2at6native12_GLOBAL__N_18offset_tEEE10hipError_tPvRmT1_PNSt15iterator_traitsISK_E10value_typeET2_T3_PNSL_ISQ_E10value_typeET4_jRbjT5_SW_jjP12ihipStream_tbEUlT_E0_NS1_11comp_targetILNS1_3genE9ELNS1_11target_archE1100ELNS1_3gpuE3ELNS1_3repE0EEENS1_60segmented_radix_sort_warp_sort_medium_config_static_selectorELNS0_4arch9wavefront6targetE0EEEvSK_.private_seg_size, 0
	.set _ZN7rocprim17ROCPRIM_400000_NS6detail17trampoline_kernelINS0_14default_configENS1_36segmented_radix_sort_config_selectorIdlEEZNS1_25segmented_radix_sort_implIS3_Lb0EPKdPdPKlPlN2at6native12_GLOBAL__N_18offset_tEEE10hipError_tPvRmT1_PNSt15iterator_traitsISK_E10value_typeET2_T3_PNSL_ISQ_E10value_typeET4_jRbjT5_SW_jjP12ihipStream_tbEUlT_E0_NS1_11comp_targetILNS1_3genE9ELNS1_11target_archE1100ELNS1_3gpuE3ELNS1_3repE0EEENS1_60segmented_radix_sort_warp_sort_medium_config_static_selectorELNS0_4arch9wavefront6targetE0EEEvSK_.uses_vcc, 0
	.set _ZN7rocprim17ROCPRIM_400000_NS6detail17trampoline_kernelINS0_14default_configENS1_36segmented_radix_sort_config_selectorIdlEEZNS1_25segmented_radix_sort_implIS3_Lb0EPKdPdPKlPlN2at6native12_GLOBAL__N_18offset_tEEE10hipError_tPvRmT1_PNSt15iterator_traitsISK_E10value_typeET2_T3_PNSL_ISQ_E10value_typeET4_jRbjT5_SW_jjP12ihipStream_tbEUlT_E0_NS1_11comp_targetILNS1_3genE9ELNS1_11target_archE1100ELNS1_3gpuE3ELNS1_3repE0EEENS1_60segmented_radix_sort_warp_sort_medium_config_static_selectorELNS0_4arch9wavefront6targetE0EEEvSK_.uses_flat_scratch, 0
	.set _ZN7rocprim17ROCPRIM_400000_NS6detail17trampoline_kernelINS0_14default_configENS1_36segmented_radix_sort_config_selectorIdlEEZNS1_25segmented_radix_sort_implIS3_Lb0EPKdPdPKlPlN2at6native12_GLOBAL__N_18offset_tEEE10hipError_tPvRmT1_PNSt15iterator_traitsISK_E10value_typeET2_T3_PNSL_ISQ_E10value_typeET4_jRbjT5_SW_jjP12ihipStream_tbEUlT_E0_NS1_11comp_targetILNS1_3genE9ELNS1_11target_archE1100ELNS1_3gpuE3ELNS1_3repE0EEENS1_60segmented_radix_sort_warp_sort_medium_config_static_selectorELNS0_4arch9wavefront6targetE0EEEvSK_.has_dyn_sized_stack, 0
	.set _ZN7rocprim17ROCPRIM_400000_NS6detail17trampoline_kernelINS0_14default_configENS1_36segmented_radix_sort_config_selectorIdlEEZNS1_25segmented_radix_sort_implIS3_Lb0EPKdPdPKlPlN2at6native12_GLOBAL__N_18offset_tEEE10hipError_tPvRmT1_PNSt15iterator_traitsISK_E10value_typeET2_T3_PNSL_ISQ_E10value_typeET4_jRbjT5_SW_jjP12ihipStream_tbEUlT_E0_NS1_11comp_targetILNS1_3genE9ELNS1_11target_archE1100ELNS1_3gpuE3ELNS1_3repE0EEENS1_60segmented_radix_sort_warp_sort_medium_config_static_selectorELNS0_4arch9wavefront6targetE0EEEvSK_.has_recursion, 0
	.set _ZN7rocprim17ROCPRIM_400000_NS6detail17trampoline_kernelINS0_14default_configENS1_36segmented_radix_sort_config_selectorIdlEEZNS1_25segmented_radix_sort_implIS3_Lb0EPKdPdPKlPlN2at6native12_GLOBAL__N_18offset_tEEE10hipError_tPvRmT1_PNSt15iterator_traitsISK_E10value_typeET2_T3_PNSL_ISQ_E10value_typeET4_jRbjT5_SW_jjP12ihipStream_tbEUlT_E0_NS1_11comp_targetILNS1_3genE9ELNS1_11target_archE1100ELNS1_3gpuE3ELNS1_3repE0EEENS1_60segmented_radix_sort_warp_sort_medium_config_static_selectorELNS0_4arch9wavefront6targetE0EEEvSK_.has_indirect_call, 0
	.section	.AMDGPU.csdata,"",@progbits
; Kernel info:
; codeLenInByte = 0
; TotalNumSgprs: 0
; NumVgprs: 0
; ScratchSize: 0
; MemoryBound: 0
; FloatMode: 240
; IeeeMode: 1
; LDSByteSize: 0 bytes/workgroup (compile time only)
; SGPRBlocks: 0
; VGPRBlocks: 0
; NumSGPRsForWavesPerEU: 1
; NumVGPRsForWavesPerEU: 1
; NamedBarCnt: 0
; Occupancy: 16
; WaveLimiterHint : 0
; COMPUTE_PGM_RSRC2:SCRATCH_EN: 0
; COMPUTE_PGM_RSRC2:USER_SGPR: 2
; COMPUTE_PGM_RSRC2:TRAP_HANDLER: 0
; COMPUTE_PGM_RSRC2:TGID_X_EN: 1
; COMPUTE_PGM_RSRC2:TGID_Y_EN: 0
; COMPUTE_PGM_RSRC2:TGID_Z_EN: 0
; COMPUTE_PGM_RSRC2:TIDIG_COMP_CNT: 0
	.section	.text._ZN7rocprim17ROCPRIM_400000_NS6detail17trampoline_kernelINS0_14default_configENS1_36segmented_radix_sort_config_selectorIdlEEZNS1_25segmented_radix_sort_implIS3_Lb0EPKdPdPKlPlN2at6native12_GLOBAL__N_18offset_tEEE10hipError_tPvRmT1_PNSt15iterator_traitsISK_E10value_typeET2_T3_PNSL_ISQ_E10value_typeET4_jRbjT5_SW_jjP12ihipStream_tbEUlT_E0_NS1_11comp_targetILNS1_3genE8ELNS1_11target_archE1030ELNS1_3gpuE2ELNS1_3repE0EEENS1_60segmented_radix_sort_warp_sort_medium_config_static_selectorELNS0_4arch9wavefront6targetE0EEEvSK_,"axG",@progbits,_ZN7rocprim17ROCPRIM_400000_NS6detail17trampoline_kernelINS0_14default_configENS1_36segmented_radix_sort_config_selectorIdlEEZNS1_25segmented_radix_sort_implIS3_Lb0EPKdPdPKlPlN2at6native12_GLOBAL__N_18offset_tEEE10hipError_tPvRmT1_PNSt15iterator_traitsISK_E10value_typeET2_T3_PNSL_ISQ_E10value_typeET4_jRbjT5_SW_jjP12ihipStream_tbEUlT_E0_NS1_11comp_targetILNS1_3genE8ELNS1_11target_archE1030ELNS1_3gpuE2ELNS1_3repE0EEENS1_60segmented_radix_sort_warp_sort_medium_config_static_selectorELNS0_4arch9wavefront6targetE0EEEvSK_,comdat
	.globl	_ZN7rocprim17ROCPRIM_400000_NS6detail17trampoline_kernelINS0_14default_configENS1_36segmented_radix_sort_config_selectorIdlEEZNS1_25segmented_radix_sort_implIS3_Lb0EPKdPdPKlPlN2at6native12_GLOBAL__N_18offset_tEEE10hipError_tPvRmT1_PNSt15iterator_traitsISK_E10value_typeET2_T3_PNSL_ISQ_E10value_typeET4_jRbjT5_SW_jjP12ihipStream_tbEUlT_E0_NS1_11comp_targetILNS1_3genE8ELNS1_11target_archE1030ELNS1_3gpuE2ELNS1_3repE0EEENS1_60segmented_radix_sort_warp_sort_medium_config_static_selectorELNS0_4arch9wavefront6targetE0EEEvSK_ ; -- Begin function _ZN7rocprim17ROCPRIM_400000_NS6detail17trampoline_kernelINS0_14default_configENS1_36segmented_radix_sort_config_selectorIdlEEZNS1_25segmented_radix_sort_implIS3_Lb0EPKdPdPKlPlN2at6native12_GLOBAL__N_18offset_tEEE10hipError_tPvRmT1_PNSt15iterator_traitsISK_E10value_typeET2_T3_PNSL_ISQ_E10value_typeET4_jRbjT5_SW_jjP12ihipStream_tbEUlT_E0_NS1_11comp_targetILNS1_3genE8ELNS1_11target_archE1030ELNS1_3gpuE2ELNS1_3repE0EEENS1_60segmented_radix_sort_warp_sort_medium_config_static_selectorELNS0_4arch9wavefront6targetE0EEEvSK_
	.p2align	8
	.type	_ZN7rocprim17ROCPRIM_400000_NS6detail17trampoline_kernelINS0_14default_configENS1_36segmented_radix_sort_config_selectorIdlEEZNS1_25segmented_radix_sort_implIS3_Lb0EPKdPdPKlPlN2at6native12_GLOBAL__N_18offset_tEEE10hipError_tPvRmT1_PNSt15iterator_traitsISK_E10value_typeET2_T3_PNSL_ISQ_E10value_typeET4_jRbjT5_SW_jjP12ihipStream_tbEUlT_E0_NS1_11comp_targetILNS1_3genE8ELNS1_11target_archE1030ELNS1_3gpuE2ELNS1_3repE0EEENS1_60segmented_radix_sort_warp_sort_medium_config_static_selectorELNS0_4arch9wavefront6targetE0EEEvSK_,@function
_ZN7rocprim17ROCPRIM_400000_NS6detail17trampoline_kernelINS0_14default_configENS1_36segmented_radix_sort_config_selectorIdlEEZNS1_25segmented_radix_sort_implIS3_Lb0EPKdPdPKlPlN2at6native12_GLOBAL__N_18offset_tEEE10hipError_tPvRmT1_PNSt15iterator_traitsISK_E10value_typeET2_T3_PNSL_ISQ_E10value_typeET4_jRbjT5_SW_jjP12ihipStream_tbEUlT_E0_NS1_11comp_targetILNS1_3genE8ELNS1_11target_archE1030ELNS1_3gpuE2ELNS1_3repE0EEENS1_60segmented_radix_sort_warp_sort_medium_config_static_selectorELNS0_4arch9wavefront6targetE0EEEvSK_: ; @_ZN7rocprim17ROCPRIM_400000_NS6detail17trampoline_kernelINS0_14default_configENS1_36segmented_radix_sort_config_selectorIdlEEZNS1_25segmented_radix_sort_implIS3_Lb0EPKdPdPKlPlN2at6native12_GLOBAL__N_18offset_tEEE10hipError_tPvRmT1_PNSt15iterator_traitsISK_E10value_typeET2_T3_PNSL_ISQ_E10value_typeET4_jRbjT5_SW_jjP12ihipStream_tbEUlT_E0_NS1_11comp_targetILNS1_3genE8ELNS1_11target_archE1030ELNS1_3gpuE2ELNS1_3repE0EEENS1_60segmented_radix_sort_warp_sort_medium_config_static_selectorELNS0_4arch9wavefront6targetE0EEEvSK_
; %bb.0:
	.section	.rodata,"a",@progbits
	.p2align	6, 0x0
	.amdhsa_kernel _ZN7rocprim17ROCPRIM_400000_NS6detail17trampoline_kernelINS0_14default_configENS1_36segmented_radix_sort_config_selectorIdlEEZNS1_25segmented_radix_sort_implIS3_Lb0EPKdPdPKlPlN2at6native12_GLOBAL__N_18offset_tEEE10hipError_tPvRmT1_PNSt15iterator_traitsISK_E10value_typeET2_T3_PNSL_ISQ_E10value_typeET4_jRbjT5_SW_jjP12ihipStream_tbEUlT_E0_NS1_11comp_targetILNS1_3genE8ELNS1_11target_archE1030ELNS1_3gpuE2ELNS1_3repE0EEENS1_60segmented_radix_sort_warp_sort_medium_config_static_selectorELNS0_4arch9wavefront6targetE0EEEvSK_
		.amdhsa_group_segment_fixed_size 0
		.amdhsa_private_segment_fixed_size 0
		.amdhsa_kernarg_size 88
		.amdhsa_user_sgpr_count 2
		.amdhsa_user_sgpr_dispatch_ptr 0
		.amdhsa_user_sgpr_queue_ptr 0
		.amdhsa_user_sgpr_kernarg_segment_ptr 1
		.amdhsa_user_sgpr_dispatch_id 0
		.amdhsa_user_sgpr_kernarg_preload_length 0
		.amdhsa_user_sgpr_kernarg_preload_offset 0
		.amdhsa_user_sgpr_private_segment_size 0
		.amdhsa_wavefront_size32 1
		.amdhsa_uses_dynamic_stack 0
		.amdhsa_enable_private_segment 0
		.amdhsa_system_sgpr_workgroup_id_x 1
		.amdhsa_system_sgpr_workgroup_id_y 0
		.amdhsa_system_sgpr_workgroup_id_z 0
		.amdhsa_system_sgpr_workgroup_info 0
		.amdhsa_system_vgpr_workitem_id 0
		.amdhsa_next_free_vgpr 1
		.amdhsa_next_free_sgpr 1
		.amdhsa_named_barrier_count 0
		.amdhsa_reserve_vcc 0
		.amdhsa_float_round_mode_32 0
		.amdhsa_float_round_mode_16_64 0
		.amdhsa_float_denorm_mode_32 3
		.amdhsa_float_denorm_mode_16_64 3
		.amdhsa_fp16_overflow 0
		.amdhsa_memory_ordered 1
		.amdhsa_forward_progress 1
		.amdhsa_inst_pref_size 0
		.amdhsa_round_robin_scheduling 0
		.amdhsa_exception_fp_ieee_invalid_op 0
		.amdhsa_exception_fp_denorm_src 0
		.amdhsa_exception_fp_ieee_div_zero 0
		.amdhsa_exception_fp_ieee_overflow 0
		.amdhsa_exception_fp_ieee_underflow 0
		.amdhsa_exception_fp_ieee_inexact 0
		.amdhsa_exception_int_div_zero 0
	.end_amdhsa_kernel
	.section	.text._ZN7rocprim17ROCPRIM_400000_NS6detail17trampoline_kernelINS0_14default_configENS1_36segmented_radix_sort_config_selectorIdlEEZNS1_25segmented_radix_sort_implIS3_Lb0EPKdPdPKlPlN2at6native12_GLOBAL__N_18offset_tEEE10hipError_tPvRmT1_PNSt15iterator_traitsISK_E10value_typeET2_T3_PNSL_ISQ_E10value_typeET4_jRbjT5_SW_jjP12ihipStream_tbEUlT_E0_NS1_11comp_targetILNS1_3genE8ELNS1_11target_archE1030ELNS1_3gpuE2ELNS1_3repE0EEENS1_60segmented_radix_sort_warp_sort_medium_config_static_selectorELNS0_4arch9wavefront6targetE0EEEvSK_,"axG",@progbits,_ZN7rocprim17ROCPRIM_400000_NS6detail17trampoline_kernelINS0_14default_configENS1_36segmented_radix_sort_config_selectorIdlEEZNS1_25segmented_radix_sort_implIS3_Lb0EPKdPdPKlPlN2at6native12_GLOBAL__N_18offset_tEEE10hipError_tPvRmT1_PNSt15iterator_traitsISK_E10value_typeET2_T3_PNSL_ISQ_E10value_typeET4_jRbjT5_SW_jjP12ihipStream_tbEUlT_E0_NS1_11comp_targetILNS1_3genE8ELNS1_11target_archE1030ELNS1_3gpuE2ELNS1_3repE0EEENS1_60segmented_radix_sort_warp_sort_medium_config_static_selectorELNS0_4arch9wavefront6targetE0EEEvSK_,comdat
.Lfunc_end1234:
	.size	_ZN7rocprim17ROCPRIM_400000_NS6detail17trampoline_kernelINS0_14default_configENS1_36segmented_radix_sort_config_selectorIdlEEZNS1_25segmented_radix_sort_implIS3_Lb0EPKdPdPKlPlN2at6native12_GLOBAL__N_18offset_tEEE10hipError_tPvRmT1_PNSt15iterator_traitsISK_E10value_typeET2_T3_PNSL_ISQ_E10value_typeET4_jRbjT5_SW_jjP12ihipStream_tbEUlT_E0_NS1_11comp_targetILNS1_3genE8ELNS1_11target_archE1030ELNS1_3gpuE2ELNS1_3repE0EEENS1_60segmented_radix_sort_warp_sort_medium_config_static_selectorELNS0_4arch9wavefront6targetE0EEEvSK_, .Lfunc_end1234-_ZN7rocprim17ROCPRIM_400000_NS6detail17trampoline_kernelINS0_14default_configENS1_36segmented_radix_sort_config_selectorIdlEEZNS1_25segmented_radix_sort_implIS3_Lb0EPKdPdPKlPlN2at6native12_GLOBAL__N_18offset_tEEE10hipError_tPvRmT1_PNSt15iterator_traitsISK_E10value_typeET2_T3_PNSL_ISQ_E10value_typeET4_jRbjT5_SW_jjP12ihipStream_tbEUlT_E0_NS1_11comp_targetILNS1_3genE8ELNS1_11target_archE1030ELNS1_3gpuE2ELNS1_3repE0EEENS1_60segmented_radix_sort_warp_sort_medium_config_static_selectorELNS0_4arch9wavefront6targetE0EEEvSK_
                                        ; -- End function
	.set _ZN7rocprim17ROCPRIM_400000_NS6detail17trampoline_kernelINS0_14default_configENS1_36segmented_radix_sort_config_selectorIdlEEZNS1_25segmented_radix_sort_implIS3_Lb0EPKdPdPKlPlN2at6native12_GLOBAL__N_18offset_tEEE10hipError_tPvRmT1_PNSt15iterator_traitsISK_E10value_typeET2_T3_PNSL_ISQ_E10value_typeET4_jRbjT5_SW_jjP12ihipStream_tbEUlT_E0_NS1_11comp_targetILNS1_3genE8ELNS1_11target_archE1030ELNS1_3gpuE2ELNS1_3repE0EEENS1_60segmented_radix_sort_warp_sort_medium_config_static_selectorELNS0_4arch9wavefront6targetE0EEEvSK_.num_vgpr, 0
	.set _ZN7rocprim17ROCPRIM_400000_NS6detail17trampoline_kernelINS0_14default_configENS1_36segmented_radix_sort_config_selectorIdlEEZNS1_25segmented_radix_sort_implIS3_Lb0EPKdPdPKlPlN2at6native12_GLOBAL__N_18offset_tEEE10hipError_tPvRmT1_PNSt15iterator_traitsISK_E10value_typeET2_T3_PNSL_ISQ_E10value_typeET4_jRbjT5_SW_jjP12ihipStream_tbEUlT_E0_NS1_11comp_targetILNS1_3genE8ELNS1_11target_archE1030ELNS1_3gpuE2ELNS1_3repE0EEENS1_60segmented_radix_sort_warp_sort_medium_config_static_selectorELNS0_4arch9wavefront6targetE0EEEvSK_.num_agpr, 0
	.set _ZN7rocprim17ROCPRIM_400000_NS6detail17trampoline_kernelINS0_14default_configENS1_36segmented_radix_sort_config_selectorIdlEEZNS1_25segmented_radix_sort_implIS3_Lb0EPKdPdPKlPlN2at6native12_GLOBAL__N_18offset_tEEE10hipError_tPvRmT1_PNSt15iterator_traitsISK_E10value_typeET2_T3_PNSL_ISQ_E10value_typeET4_jRbjT5_SW_jjP12ihipStream_tbEUlT_E0_NS1_11comp_targetILNS1_3genE8ELNS1_11target_archE1030ELNS1_3gpuE2ELNS1_3repE0EEENS1_60segmented_radix_sort_warp_sort_medium_config_static_selectorELNS0_4arch9wavefront6targetE0EEEvSK_.numbered_sgpr, 0
	.set _ZN7rocprim17ROCPRIM_400000_NS6detail17trampoline_kernelINS0_14default_configENS1_36segmented_radix_sort_config_selectorIdlEEZNS1_25segmented_radix_sort_implIS3_Lb0EPKdPdPKlPlN2at6native12_GLOBAL__N_18offset_tEEE10hipError_tPvRmT1_PNSt15iterator_traitsISK_E10value_typeET2_T3_PNSL_ISQ_E10value_typeET4_jRbjT5_SW_jjP12ihipStream_tbEUlT_E0_NS1_11comp_targetILNS1_3genE8ELNS1_11target_archE1030ELNS1_3gpuE2ELNS1_3repE0EEENS1_60segmented_radix_sort_warp_sort_medium_config_static_selectorELNS0_4arch9wavefront6targetE0EEEvSK_.num_named_barrier, 0
	.set _ZN7rocprim17ROCPRIM_400000_NS6detail17trampoline_kernelINS0_14default_configENS1_36segmented_radix_sort_config_selectorIdlEEZNS1_25segmented_radix_sort_implIS3_Lb0EPKdPdPKlPlN2at6native12_GLOBAL__N_18offset_tEEE10hipError_tPvRmT1_PNSt15iterator_traitsISK_E10value_typeET2_T3_PNSL_ISQ_E10value_typeET4_jRbjT5_SW_jjP12ihipStream_tbEUlT_E0_NS1_11comp_targetILNS1_3genE8ELNS1_11target_archE1030ELNS1_3gpuE2ELNS1_3repE0EEENS1_60segmented_radix_sort_warp_sort_medium_config_static_selectorELNS0_4arch9wavefront6targetE0EEEvSK_.private_seg_size, 0
	.set _ZN7rocprim17ROCPRIM_400000_NS6detail17trampoline_kernelINS0_14default_configENS1_36segmented_radix_sort_config_selectorIdlEEZNS1_25segmented_radix_sort_implIS3_Lb0EPKdPdPKlPlN2at6native12_GLOBAL__N_18offset_tEEE10hipError_tPvRmT1_PNSt15iterator_traitsISK_E10value_typeET2_T3_PNSL_ISQ_E10value_typeET4_jRbjT5_SW_jjP12ihipStream_tbEUlT_E0_NS1_11comp_targetILNS1_3genE8ELNS1_11target_archE1030ELNS1_3gpuE2ELNS1_3repE0EEENS1_60segmented_radix_sort_warp_sort_medium_config_static_selectorELNS0_4arch9wavefront6targetE0EEEvSK_.uses_vcc, 0
	.set _ZN7rocprim17ROCPRIM_400000_NS6detail17trampoline_kernelINS0_14default_configENS1_36segmented_radix_sort_config_selectorIdlEEZNS1_25segmented_radix_sort_implIS3_Lb0EPKdPdPKlPlN2at6native12_GLOBAL__N_18offset_tEEE10hipError_tPvRmT1_PNSt15iterator_traitsISK_E10value_typeET2_T3_PNSL_ISQ_E10value_typeET4_jRbjT5_SW_jjP12ihipStream_tbEUlT_E0_NS1_11comp_targetILNS1_3genE8ELNS1_11target_archE1030ELNS1_3gpuE2ELNS1_3repE0EEENS1_60segmented_radix_sort_warp_sort_medium_config_static_selectorELNS0_4arch9wavefront6targetE0EEEvSK_.uses_flat_scratch, 0
	.set _ZN7rocprim17ROCPRIM_400000_NS6detail17trampoline_kernelINS0_14default_configENS1_36segmented_radix_sort_config_selectorIdlEEZNS1_25segmented_radix_sort_implIS3_Lb0EPKdPdPKlPlN2at6native12_GLOBAL__N_18offset_tEEE10hipError_tPvRmT1_PNSt15iterator_traitsISK_E10value_typeET2_T3_PNSL_ISQ_E10value_typeET4_jRbjT5_SW_jjP12ihipStream_tbEUlT_E0_NS1_11comp_targetILNS1_3genE8ELNS1_11target_archE1030ELNS1_3gpuE2ELNS1_3repE0EEENS1_60segmented_radix_sort_warp_sort_medium_config_static_selectorELNS0_4arch9wavefront6targetE0EEEvSK_.has_dyn_sized_stack, 0
	.set _ZN7rocprim17ROCPRIM_400000_NS6detail17trampoline_kernelINS0_14default_configENS1_36segmented_radix_sort_config_selectorIdlEEZNS1_25segmented_radix_sort_implIS3_Lb0EPKdPdPKlPlN2at6native12_GLOBAL__N_18offset_tEEE10hipError_tPvRmT1_PNSt15iterator_traitsISK_E10value_typeET2_T3_PNSL_ISQ_E10value_typeET4_jRbjT5_SW_jjP12ihipStream_tbEUlT_E0_NS1_11comp_targetILNS1_3genE8ELNS1_11target_archE1030ELNS1_3gpuE2ELNS1_3repE0EEENS1_60segmented_radix_sort_warp_sort_medium_config_static_selectorELNS0_4arch9wavefront6targetE0EEEvSK_.has_recursion, 0
	.set _ZN7rocprim17ROCPRIM_400000_NS6detail17trampoline_kernelINS0_14default_configENS1_36segmented_radix_sort_config_selectorIdlEEZNS1_25segmented_radix_sort_implIS3_Lb0EPKdPdPKlPlN2at6native12_GLOBAL__N_18offset_tEEE10hipError_tPvRmT1_PNSt15iterator_traitsISK_E10value_typeET2_T3_PNSL_ISQ_E10value_typeET4_jRbjT5_SW_jjP12ihipStream_tbEUlT_E0_NS1_11comp_targetILNS1_3genE8ELNS1_11target_archE1030ELNS1_3gpuE2ELNS1_3repE0EEENS1_60segmented_radix_sort_warp_sort_medium_config_static_selectorELNS0_4arch9wavefront6targetE0EEEvSK_.has_indirect_call, 0
	.section	.AMDGPU.csdata,"",@progbits
; Kernel info:
; codeLenInByte = 0
; TotalNumSgprs: 0
; NumVgprs: 0
; ScratchSize: 0
; MemoryBound: 0
; FloatMode: 240
; IeeeMode: 1
; LDSByteSize: 0 bytes/workgroup (compile time only)
; SGPRBlocks: 0
; VGPRBlocks: 0
; NumSGPRsForWavesPerEU: 1
; NumVGPRsForWavesPerEU: 1
; NamedBarCnt: 0
; Occupancy: 16
; WaveLimiterHint : 0
; COMPUTE_PGM_RSRC2:SCRATCH_EN: 0
; COMPUTE_PGM_RSRC2:USER_SGPR: 2
; COMPUTE_PGM_RSRC2:TRAP_HANDLER: 0
; COMPUTE_PGM_RSRC2:TGID_X_EN: 1
; COMPUTE_PGM_RSRC2:TGID_Y_EN: 0
; COMPUTE_PGM_RSRC2:TGID_Z_EN: 0
; COMPUTE_PGM_RSRC2:TIDIG_COMP_CNT: 0
	.text
	.p2align	2                               ; -- Begin function _ZN7rocprim17ROCPRIM_400000_NS6detail26segmented_warp_sort_helperINS1_20WarpSortHelperConfigILj8ELj4ELj256EEEdlLi256ELb0EvE4sortIPKdPdPKlPlEEvT_S9_T0_T1_SC_T2_bjjjjRNS5_12storage_typeE
	.type	_ZN7rocprim17ROCPRIM_400000_NS6detail26segmented_warp_sort_helperINS1_20WarpSortHelperConfigILj8ELj4ELj256EEEdlLi256ELb0EvE4sortIPKdPdPKlPlEEvT_S9_T0_T1_SC_T2_bjjjjRNS5_12storage_typeE,@function
_ZN7rocprim17ROCPRIM_400000_NS6detail26segmented_warp_sort_helperINS1_20WarpSortHelperConfigILj8ELj4ELj256EEEdlLi256ELb0EvE4sortIPKdPdPKlPlEEvT_S9_T0_T1_SC_T2_bjjjjRNS5_12storage_typeE: ; @_ZN7rocprim17ROCPRIM_400000_NS6detail26segmented_warp_sort_helperINS1_20WarpSortHelperConfigILj8ELj4ELj256EEEdlLi256ELb0EvE4sortIPKdPdPKlPlEEvT_S9_T0_T1_SC_T2_bjjjjRNS5_12storage_typeE
; %bb.0:
	s_wait_loadcnt_dscnt 0x0
	s_wait_kmcnt 0x0
	v_mov_b32_e32 v36, v13
	v_mbcnt_lo_u32_b32 v13, -1, 0
	v_dual_mov_b32 v39, v16 :: v_dual_mov_b32 v38, v15
	v_and_b32_e32 v12, 1, v12
	s_mov_b32 s6, 0
	s_delay_alu instid0(VALU_DEP_3) | instskip(SKIP_1) | instid1(VALU_DEP_3)
	v_dual_lshlrev_b32 v55, 2, v13 :: v_dual_mov_b32 v37, 0
	v_sub_nc_u32_e32 v22, v14, v36
	v_cmp_ne_u32_e64 s0, 1, v12
	s_getreg_b32 s5, hwreg(HW_REG_IB_STS2, 6, 4)
	v_and_b32_e32 v54, 28, v55
	v_lshl_add_u64 v[16:17], v[36:37], 3, v[0:1]
	s_delay_alu instid0(VALU_DEP_2) | instskip(SKIP_1) | instid1(VALU_DEP_2)
	v_dual_mov_b32 v1, v37 :: v_dual_lshlrev_b32 v0, 3, v54
	v_cmp_lt_u32_e32 vcc_lo, v54, v22
	v_add_nc_u64_e32 v[20:21], v[16:17], v[0:1]
                                        ; implicit-def: $vgpr12_vgpr13_vgpr14_vgpr15_vgpr16_vgpr17_vgpr18_vgpr19
	s_and_saveexec_b32 s1, s0
	s_delay_alu instid0(SALU_CYCLE_1)
	s_xor_b32 s7, exec_lo, s1
	s_cbranch_execnz .LBB1235_4
; %bb.1:
	s_and_not1_saveexec_b32 s7, s7
	s_cbranch_execnz .LBB1235_111
.LBB1235_2:
	s_or_b32 exec_lo, exec_lo, s7
	s_and_saveexec_b32 s0, s6
	s_cbranch_execnz .LBB1235_218
.LBB1235_3:
	s_or_b32 exec_lo, exec_lo, s0
	s_wait_dscnt 0x0
	s_set_pc_i64 s[30:31]
.LBB1235_4:
	v_mov_b64_e32 v[32:33], 0x7fffffffffffffff
	v_mov_b64_e32 v[34:35], 0x7fffffffffffffff
	s_and_saveexec_b32 s0, vcc_lo
	s_cbranch_execz .LBB1235_6
; %bb.5:
	flat_load_b64 v[34:35], v[20:21]
.LBB1235_6:
	s_wait_xcnt 0x0
	s_or_b32 exec_lo, exec_lo, s0
	v_or_b32_e32 v1, 1, v54
	s_delay_alu instid0(VALU_DEP_1)
	v_cmp_lt_u32_e64 s0, v1, v22
	s_and_saveexec_b32 s1, s0
	s_cbranch_execz .LBB1235_8
; %bb.7:
	flat_load_b64 v[32:33], v[20:21] offset:8
.LBB1235_8:
	s_wait_xcnt 0x0
	s_or_b32 exec_lo, exec_lo, s1
	v_or_b32_e32 v1, 2, v54
	v_mov_b64_e32 v[28:29], 0x7fffffffffffffff
	v_mov_b64_e32 v[10:11], 0x7fffffffffffffff
	s_delay_alu instid0(VALU_DEP_3)
	v_cmp_lt_u32_e64 s1, v1, v22
	s_and_saveexec_b32 s2, s1
	s_cbranch_execz .LBB1235_10
; %bb.9:
	flat_load_b64 v[10:11], v[20:21] offset:16
.LBB1235_10:
	s_wait_xcnt 0x0
	s_or_b32 exec_lo, exec_lo, s2
	v_or_b32_e32 v1, 3, v54
	s_delay_alu instid0(VALU_DEP_1)
	v_cmp_lt_u32_e64 s2, v1, v22
	s_and_saveexec_b32 s3, s2
	s_cbranch_execz .LBB1235_12
; %bb.11:
	flat_load_b64 v[28:29], v[20:21] offset:24
.LBB1235_12:
	s_wait_xcnt 0x0
	s_or_b32 exec_lo, exec_lo, s3
	v_lshl_add_u64 v[4:5], v[36:37], 3, v[6:7]
	v_mov_b32_e32 v1, 0
	; wave barrier
	s_delay_alu instid0(VALU_DEP_1)
	v_add_nc_u64_e32 v[4:5], v[4:5], v[0:1]
	v_dual_mov_b32 v12, v1 :: v_dual_mov_b32 v13, v1
	v_dual_mov_b32 v14, v1 :: v_dual_mov_b32 v15, v1
	;; [unrolled: 1-line block ×4, first 2 shown]
	s_and_saveexec_b32 s3, vcc_lo
	s_cbranch_execnz .LBB1235_219
; %bb.13:
	s_or_b32 exec_lo, exec_lo, s3
	s_and_saveexec_b32 s3, s0
	s_cbranch_execnz .LBB1235_220
.LBB1235_14:
	s_or_b32 exec_lo, exec_lo, s3
	s_and_saveexec_b32 s3, s1
	s_cbranch_execnz .LBB1235_221
.LBB1235_15:
	s_or_b32 exec_lo, exec_lo, s3
	s_and_saveexec_b32 s3, s2
	s_cbranch_execz .LBB1235_17
.LBB1235_16:
	flat_load_b64 v[18:19], v[4:5] offset:24
.LBB1235_17:
	s_wait_xcnt 0x0
	s_or_b32 exec_lo, exec_lo, s3
	; wave barrier
	s_load_b64 s[10:11], s[8:9], 0x0
	s_bfe_u32 s4, ttmp6, 0x4000c
	s_bfe_u32 s12, ttmp6, 0x40010
	s_and_b32 s6, ttmp7, 0xffff
	s_add_co_i32 s4, s4, 1
	s_add_co_i32 s12, s12, 1
	s_and_b32 s3, ttmp6, 15
	s_bfe_u32 s13, ttmp6, 0x40004
	s_mul_i32 s4, ttmp9, s4
	s_mul_i32 s12, s6, s12
	s_add_co_i32 s3, s3, s4
	s_add_co_i32 s13, s13, s12
	s_cmp_eq_u32 s5, 0
	v_bfe_u32 v1, v31, 10, 10
	s_cselect_b32 s3, ttmp9, s3
	s_cselect_b32 s4, s6, s13
	v_bfe_u32 v4, v31, 20, 10
	s_mov_b32 s6, exec_lo
	s_wait_kmcnt 0x0
	s_cmp_lt_u32 s3, s10
	s_cselect_b32 s10, 12, 18
	s_cmp_lt_u32 s4, s11
	s_mov_b32 s11, 0
	s_cselect_b32 s12, 14, 20
	s_mov_b32 s13, s11
	s_add_nc_u64 s[10:11], s[8:9], s[10:11]
	s_add_nc_u64 s[12:13], s[8:9], s[12:13]
	s_clause 0x1
	s_load_u16 s4, s[10:11], 0x0
	s_load_u16 s3, s[12:13], 0x0
	s_wait_kmcnt 0x0
	v_mad_u32_u24 v1, v4, s3, v1
	v_and_b32_e32 v4, 0x3ff, v31
	s_delay_alu instid0(VALU_DEP_2) | instskip(NEXT) | instid1(VALU_DEP_1)
	v_mul_lo_u32 v1, v1, s4
	v_add_lshl_u32 v1, v1, v4, 2
	s_delay_alu instid0(VALU_DEP_1)
	v_cmpx_gt_u32_e32 0x400, v1
	s_cbranch_execz .LBB1235_29
; %bb.18:
	s_wait_loadcnt_dscnt 0x0
	v_add_f64_e32 v[20:21], 0, v[10:11]
	v_add_f64_e32 v[4:5], 0, v[34:35]
	;; [unrolled: 1-line block ×4, first 2 shown]
	s_mov_b32 s10, exec_lo
	s_delay_alu instid0(VALU_DEP_4) | instskip(NEXT) | instid1(VALU_DEP_3)
	v_ashrrev_i32_e32 v26, 31, v21
	v_dual_ashrrev_i32 v24, 31, v5 :: v_dual_ashrrev_i32 v27, 31, v23
	s_delay_alu instid0(VALU_DEP_3) | instskip(NEXT) | instid1(VALU_DEP_3)
	v_ashrrev_i32_e32 v25, 31, v7
	v_or_b32_e32 v48, 0x80000000, v26
	s_delay_alu instid0(VALU_DEP_3) | instskip(SKIP_1) | instid1(VALU_DEP_4)
	v_or_b32_e32 v30, 0x80000000, v24
	v_xor_b32_e32 v4, v24, v4
	v_or_b32_e32 v31, 0x80000000, v25
	v_xor_b32_e32 v24, v25, v6
	v_xor_b32_e32 v6, v27, v22
	;; [unrolled: 1-line block ×5, first 2 shown]
	v_or_b32_e32 v7, 0x80000000, v27
	v_xor_b32_e32 v31, v48, v21
	s_delay_alu instid0(VALU_DEP_3) | instskip(SKIP_3) | instid1(VALU_DEP_4)
	v_cmp_gt_u64_e64 s3, v[4:5], v[24:25]
	v_mov_b64_e32 v[4:5], v[10:11]
	v_mov_b64_e32 v[24:25], v[16:17]
	v_xor_b32_e32 v7, v7, v23
	v_dual_cndmask_b32 v23, v15, v13, s3 :: v_dual_cndmask_b32 v22, v14, v12, s3
	v_dual_cndmask_b32 v21, v13, v15, s3 :: v_dual_cndmask_b32 v20, v12, v14, s3
	s_delay_alu instid0(VALU_DEP_3)
	v_cmpx_gt_u64_e64 v[30:31], v[6:7]
	s_cbranch_execz .LBB1235_20
; %bb.19:
	v_mov_b64_e32 v[4:5], v[28:29]
	v_mov_b64_e32 v[28:29], v[10:11]
	;; [unrolled: 1-line block ×5, first 2 shown]
.LBB1235_20:
	s_or_b32 exec_lo, exec_lo, s10
	v_dual_cndmask_b32 v53, v33, v35, s3 :: v_dual_cndmask_b32 v52, v32, v34, s3
	s_delay_alu instid0(VALU_DEP_1) | instskip(NEXT) | instid1(VALU_DEP_1)
	v_dual_add_f64 v[6:7], 0, v[52:53] :: v_dual_mov_b32 v26, v18
	v_ashrrev_i32_e32 v10, 31, v7
	s_delay_alu instid0(VALU_DEP_1) | instskip(NEXT) | instid1(VALU_DEP_1)
	v_or_b32_e32 v11, 0x80000000, v10
	v_xor_b32_e32 v49, v11, v7
	s_delay_alu instid0(VALU_DEP_4)
	v_xor_b32_e32 v48, v10, v6
	v_mov_b64_e32 v[10:11], v[20:21]
	v_mov_b64_e32 v[12:13], v[22:23]
	;; [unrolled: 1-line block ×4, first 2 shown]
	v_cmp_le_u64_e64 s4, v[48:49], v[30:31]
                                        ; implicit-def: $vgpr6_vgpr7
	s_and_saveexec_b32 s10, s4
	s_delay_alu instid0(SALU_CYCLE_1)
	s_xor_b32 s4, exec_lo, s10
	s_cbranch_execz .LBB1235_22
; %bb.21:
	v_add_f64_e32 v[6:7], 0, v[4:5]
                                        ; implicit-def: $vgpr30_vgpr31
	s_delay_alu instid0(VALU_DEP_1) | instskip(NEXT) | instid1(VALU_DEP_1)
	v_ashrrev_i32_e32 v10, 31, v7
	v_or_b32_e32 v11, 0x80000000, v10
	s_delay_alu instid0(VALU_DEP_1) | instskip(NEXT) | instid1(VALU_DEP_4)
	v_xor_b32_e32 v7, v11, v7
	v_xor_b32_e32 v6, v10, v6
                                        ; implicit-def: $vgpr10_vgpr11_vgpr12_vgpr13_vgpr14_vgpr15_vgpr16_vgpr17
.LBB1235_22:
	s_or_saveexec_b32 s4, s4
	v_mov_b64_e32 v[50:51], v[52:53]
	v_mov_b32_e32 v27, v19
	s_xor_b32 exec_lo, exec_lo, s4
	s_cbranch_execz .LBB1235_24
; %bb.23:
	v_dual_mov_b32 v16, v18 :: v_dual_mov_b32 v17, v19
	v_dual_mov_b32 v12, v24 :: v_dual_mov_b32 v13, v25
	;; [unrolled: 1-line block ×3, first 2 shown]
	s_delay_alu instid0(VALU_DEP_3) | instskip(SKIP_1) | instid1(VALU_DEP_4)
	v_mov_b64_e32 v[26:27], v[16:17]
	v_mov_b64_e32 v[20:21], v[10:11]
	;; [unrolled: 1-line block ×8, first 2 shown]
.LBB1235_24:
	s_or_b32 exec_lo, exec_lo, s4
	v_dual_cndmask_b32 v11, v35, v33, s3 :: v_dual_cndmask_b32 v10, v34, v32, s3
	v_add_f64_e32 v[14:15], 0, v[28:29]
	s_mov_b32 s10, exec_lo
	s_delay_alu instid0(VALU_DEP_2) | instskip(NEXT) | instid1(VALU_DEP_1)
	v_add_f64_e32 v[12:13], 0, v[10:11]
	v_dual_ashrrev_i32 v17, 31, v15 :: v_dual_ashrrev_i32 v16, 31, v13
	s_delay_alu instid0(VALU_DEP_1) | instskip(NEXT) | instid1(VALU_DEP_4)
	v_or_b32_e32 v19, 0x80000000, v17
	v_xor_b32_e32 v30, v17, v14
	v_mov_b32_e32 v17, v25
	s_delay_alu instid0(VALU_DEP_4) | instskip(SKIP_2) | instid1(VALU_DEP_3)
	v_or_b32_e32 v18, 0x80000000, v16
	v_xor_b32_e32 v12, v16, v12
	v_dual_mov_b32 v16, v24 :: v_dual_bitop2_b32 v31, v19, v15 bitop3:0x14
	v_dual_mov_b32 v19, v27 :: v_dual_bitop2_b32 v13, v18, v13 bitop3:0x14
	v_mov_b32_e32 v18, v26
	s_delay_alu instid0(VALU_DEP_2) | instskip(NEXT) | instid1(VALU_DEP_1)
	v_cmp_gt_u64_e64 s3, v[12:13], v[48:49]
	v_dual_cndmask_b32 v15, v23, v21, s3 :: v_dual_cndmask_b32 v14, v22, v20, s3
	v_dual_cndmask_b32 v13, v21, v23, s3 :: v_dual_cndmask_b32 v12, v20, v22, s3
	v_mov_b64_e32 v[20:21], v[4:5]
	v_cmpx_gt_u64_e64 v[6:7], v[30:31]
; %bb.25:
	v_mov_b64_e32 v[20:21], v[28:29]
	v_mov_b64_e32 v[28:29], v[4:5]
	;; [unrolled: 1-line block ×3, first 2 shown]
	v_dual_mov_b32 v16, v26 :: v_dual_mov_b32 v17, v27
	v_dual_mov_b32 v18, v24 :: v_dual_mov_b32 v19, v25
; %bb.26:
	s_or_b32 exec_lo, exec_lo, s10
	v_dual_cndmask_b32 v33, v51, v11, s3 :: v_dual_cndmask_b32 v32, v50, v10, s3
	v_dual_cndmask_b32 v34, v10, v50, s3 :: v_dual_cndmask_b32 v35, v11, v51, s3
	v_mov_b64_e32 v[10:11], v[20:21]
	s_mov_b32 s3, exec_lo
	s_delay_alu instid0(VALU_DEP_3) | instskip(NEXT) | instid1(VALU_DEP_1)
	v_add_f64_e32 v[4:5], 0, v[32:33]
	v_ashrrev_i32_e32 v22, 31, v5
	s_delay_alu instid0(VALU_DEP_1) | instskip(NEXT) | instid1(VALU_DEP_1)
	v_or_b32_e32 v23, 0x80000000, v22
	v_xor_b32_e32 v5, v23, v5
	s_delay_alu instid0(VALU_DEP_4) | instskip(NEXT) | instid1(VALU_DEP_1)
	v_xor_b32_e32 v4, v22, v4
	v_cmpx_gt_u64_e64 v[4:5], v[6:7]
	s_cbranch_execz .LBB1235_28
; %bb.27:
	v_dual_mov_b32 v10, v12 :: v_dual_mov_b32 v11, v13
	v_dual_mov_b32 v12, v16 :: v_dual_mov_b32 v13, v17
	;; [unrolled: 1-line block ×3, first 2 shown]
	s_delay_alu instid0(VALU_DEP_1) | instskip(SKIP_1) | instid1(VALU_DEP_4)
	v_mov_b64_e32 v[18:19], v[16:17]
	v_mov_b64_e32 v[16:17], v[14:15]
	;; [unrolled: 1-line block ×6, first 2 shown]
.LBB1235_28:
	s_or_b32 exec_lo, exec_lo, s3
.LBB1235_29:
	s_delay_alu instid0(SALU_CYCLE_1) | instskip(SKIP_4) | instid1(VALU_DEP_3)
	s_or_b32 exec_lo, exec_lo, s6
	v_and_b32_e32 v6, 0xffffff80, v1
	v_dual_mov_b32 v7, 0 :: v_dual_bitop2_b32 v4, 4, v55 bitop3:0x54
	v_and_b32_e32 v22, 0x78, v55
	s_mov_b32 s4, exec_lo
	v_sub_nc_u32_e64 v1, 0x400, v6 clamp
	s_delay_alu instid0(VALU_DEP_1) | instskip(SKIP_1) | instid1(VALU_DEP_2)
	v_min_u32_e32 v64, v1, v4
	v_lshl_add_u64 v[4:5], v[6:7], 3, v[38:39]
	v_dual_sub_nc_u32 v20, v64, v22 :: v_dual_bitop2_b32 v6, 4, v55 bitop3:0x40
	v_add_min_u32_e64 v65, v64, 4, v1
	s_delay_alu instid0(VALU_DEP_2) | instskip(NEXT) | instid1(VALU_DEP_4)
	v_min_u32_e32 v23, v1, v6
	v_lshl_add_u32 v38, v55, 3, v4
	s_delay_alu instid0(VALU_DEP_3) | instskip(NEXT) | instid1(VALU_DEP_3)
	v_sub_nc_u32_e32 v6, v65, v64
	v_min_u32_e32 v25, v23, v20
	s_delay_alu instid0(VALU_DEP_3)
	v_add_nc_u32_e32 v21, 0x2000, v38
	s_wait_loadcnt_dscnt 0x0
	ds_store_2addr_b64 v38, v[34:35], v[32:33] offset1:1
	ds_store_2addr_b64 v21, v[12:13], v[14:15] offset1:1
	ds_store_2addr_b64 v38, v[10:11], v[28:29] offset0:2 offset1:3
	ds_store_2addr_b64 v21, v[16:17], v[18:19] offset0:2 offset1:3
	v_sub_nc_u32_e64 v24, v23, v6 clamp
	; wave barrier
	s_delay_alu instid0(VALU_DEP_1)
	v_cmpx_lt_u32_e64 v24, v25
	s_cbranch_execz .LBB1235_33
; %bb.30:
	v_lshlrev_b32_e32 v6, 3, v22
	s_mov_b32 s6, 0
	s_delay_alu instid0(VALU_DEP_1) | instskip(SKIP_1) | instid1(VALU_DEP_1)
	v_add_nc_u64_e32 v[20:21], v[4:5], v[6:7]
	v_lshlrev_b32_e32 v6, 3, v64
	v_add_nc_u64_e32 v[6:7], v[4:5], v[6:7]
.LBB1235_31:                            ; =>This Inner Loop Header: Depth=1
	v_add_nc_u32_e32 v7, v25, v24
	s_delay_alu instid0(VALU_DEP_1) | instskip(NEXT) | instid1(VALU_DEP_1)
	v_lshrrev_b32_e32 v7, 1, v7
	v_xad_u32 v21, v7, -1, v23
	v_lshl_add_u32 v26, v7, 3, v20
	s_delay_alu instid0(VALU_DEP_2) | instskip(SKIP_4) | instid1(VALU_DEP_1)
	v_lshl_add_u32 v21, v21, 3, v6
	ds_load_b64 v[26:27], v26
	ds_load_b64 v[30:31], v21
	s_wait_dscnt 0x1
	v_add_f64_e32 v[26:27], 0, v[26:27]
	v_ashrrev_i32_e32 v21, 31, v27
	s_delay_alu instid0(VALU_DEP_1) | instskip(NEXT) | instid1(VALU_DEP_1)
	v_or_b32_e32 v48, 0x80000000, v21
	v_xor_b32_e32 v27, v48, v27
	s_delay_alu instid0(VALU_DEP_4) | instskip(SKIP_2) | instid1(VALU_DEP_1)
	v_dual_add_nc_u32 v21, 1, v7 :: v_dual_bitop2_b32 v26, v21, v26 bitop3:0x14
	s_wait_dscnt 0x0
	v_add_f64_e32 v[30:31], 0, v[30:31]
	v_ashrrev_i32_e32 v39, 31, v31
	s_delay_alu instid0(VALU_DEP_1) | instskip(NEXT) | instid1(VALU_DEP_1)
	v_or_b32_e32 v49, 0x80000000, v39
	v_xor_b32_e32 v31, v49, v31
	s_delay_alu instid0(VALU_DEP_4) | instskip(NEXT) | instid1(VALU_DEP_1)
	v_xor_b32_e32 v30, v39, v30
	v_cmp_gt_u64_e64 s3, v[26:27], v[30:31]
	s_delay_alu instid0(VALU_DEP_1) | instskip(SKIP_1) | instid1(VALU_DEP_1)
	v_cndmask_b32_e64 v25, v25, v7, s3
	v_cndmask_b32_e64 v24, v21, v24, s3
	v_cmp_ge_u32_e64 s3, v24, v25
	s_or_b32 s6, s3, s6
	s_delay_alu instid0(SALU_CYCLE_1)
	s_and_not1_b32 exec_lo, exec_lo, s6
	s_cbranch_execnz .LBB1235_31
; %bb.32:
	s_or_b32 exec_lo, exec_lo, s6
.LBB1235_33:
	s_delay_alu instid0(SALU_CYCLE_1) | instskip(SKIP_4) | instid1(VALU_DEP_4)
	s_or_b32 exec_lo, exec_lo, s4
	v_dual_add_nc_u32 v50, 24, v38 :: v_dual_add_nc_u32 v6, v64, v23
	v_add_nc_u32_e32 v22, v24, v22
	v_add_nc_u32_e32 v51, 0x2000, v38
	v_dual_add_nc_u32 v39, 8, v38 :: v_dual_add_nc_u32 v49, 16, v38
	v_sub_nc_u32_e32 v23, v6, v24
	s_delay_alu instid0(VALU_DEP_4)
	v_cmp_le_u32_e64 s3, v22, v64
	v_add_nc_u32_e32 v48, 0x2008, v38
	v_add_nc_u32_e32 v52, 0x2010, v38
	;; [unrolled: 1-line block ×3, first 2 shown]
	v_cmp_le_u32_e64 s4, v23, v65
	s_or_b32 s3, s3, s4
	s_delay_alu instid0(SALU_CYCLE_1)
	s_and_saveexec_b32 s6, s3
	s_cbranch_execz .LBB1235_53
; %bb.34:
	v_cmp_ge_u32_e64 s3, v22, v64
	s_mov_b32 s10, exec_lo
                                        ; implicit-def: $vgpr6_vgpr7
	v_cmpx_lt_u32_e64 v22, v64
; %bb.35:
	v_lshl_add_u32 v6, v22, 3, v4
	ds_load_b64 v[6:7], v6
; %bb.36:
	s_or_b32 exec_lo, exec_lo, s10
	v_cmp_ge_u32_e64 s10, v23, v65
	s_mov_b32 s11, exec_lo
                                        ; implicit-def: $vgpr20_vgpr21
	v_cmpx_lt_u32_e64 v23, v65
; %bb.37:
	v_lshl_add_u32 v10, v23, 3, v4
	ds_load_b64 v[20:21], v10
; %bb.38:
	s_or_b32 exec_lo, exec_lo, s11
	s_nor_b32 s3, s3, s10
	s_delay_alu instid0(SALU_CYCLE_1)
	s_and_saveexec_b32 s4, s3
	s_cbranch_execz .LBB1235_40
; %bb.39:
	s_wait_dscnt 0x0
	v_add_f64_e32 v[12:13], 0, v[20:21]
	v_add_f64_e32 v[10:11], 0, v[6:7]
	s_and_not1_b32 s10, s10, exec_lo
	s_delay_alu instid0(VALU_DEP_1) | instskip(NEXT) | instid1(VALU_DEP_1)
	v_dual_ashrrev_i32 v15, 31, v13 :: v_dual_ashrrev_i32 v14, 31, v11
	v_or_b32_e32 v17, 0x80000000, v15
	s_delay_alu instid0(VALU_DEP_2) | instskip(NEXT) | instid1(VALU_DEP_4)
	v_or_b32_e32 v16, 0x80000000, v14
	v_xor_b32_e32 v10, v14, v10
	v_xor_b32_e32 v12, v15, v12
	s_delay_alu instid0(VALU_DEP_4) | instskip(NEXT) | instid1(VALU_DEP_4)
	v_xor_b32_e32 v13, v17, v13
	v_xor_b32_e32 v11, v16, v11
	s_delay_alu instid0(VALU_DEP_1) | instskip(SKIP_1) | instid1(SALU_CYCLE_1)
	v_cmp_le_u64_e64 s3, v[10:11], v[12:13]
	s_and_b32 s3, s3, exec_lo
	s_or_b32 s10, s10, s3
.LBB1235_40:
	s_or_b32 exec_lo, exec_lo, s4
	v_dual_cndmask_b32 v10, v23, v22, s10 :: v_dual_cndmask_b32 v11, v65, v64, s10
	s_mov_b32 s11, -1
	s_mov_b32 s4, -1
	s_mov_b32 s12, exec_lo
	s_delay_alu instid0(VALU_DEP_1) | instskip(SKIP_1) | instid1(VALU_DEP_2)
	v_add_nc_u32_e32 v16, 1, v10
	v_lshl_add_u32 v10, v10, 3, v4
	v_add_min_u32_e64 v11, v11, -1, v16
	ds_load_b64 v[12:13], v10 offset:8192
	v_cndmask_b32_e64 v10, v16, v23, s10
	v_lshl_add_u32 v11, v11, 3, v4
	ds_load_b64 v[14:15], v11
	s_wait_dscnt 0x0
	v_dual_cndmask_b32 v23, v15, v21, s10 :: v_dual_cndmask_b32 v11, v22, v16, s10
	v_dual_cndmask_b32 v22, v14, v20, s10 :: v_dual_cndmask_b32 v25, v7, v15, s10
	v_cndmask_b32_e64 v24, v6, v14, s10
	v_cmpx_lt_u32_e64 v10, v65
	s_cbranch_execz .LBB1235_44
; %bb.41:
	s_mov_b32 s13, 0
	s_mov_b32 s4, exec_lo
	v_cmpx_lt_u32_e64 v11, v64
	s_cbranch_execz .LBB1235_43
; %bb.42:
	v_add_f64_e32 v[14:15], 0, v[24:25]
	v_add_f64_e32 v[16:17], 0, v[22:23]
	s_delay_alu instid0(VALU_DEP_1) | instskip(NEXT) | instid1(VALU_DEP_1)
	v_dual_ashrrev_i32 v18, 31, v15 :: v_dual_ashrrev_i32 v19, 31, v17
	v_or_b32_e32 v26, 0x80000000, v18
	s_delay_alu instid0(VALU_DEP_2) | instskip(SKIP_2) | instid1(VALU_DEP_4)
	v_or_b32_e32 v27, 0x80000000, v19
	v_xor_b32_e32 v14, v18, v14
	v_xor_b32_e32 v16, v19, v16
	;; [unrolled: 1-line block ×3, first 2 shown]
	s_delay_alu instid0(VALU_DEP_4) | instskip(NEXT) | instid1(VALU_DEP_1)
	v_xor_b32_e32 v17, v27, v17
	v_cmp_le_u64_e64 s3, v[14:15], v[16:17]
	s_and_b32 s13, s3, exec_lo
.LBB1235_43:
	s_or_b32 exec_lo, exec_lo, s4
	s_delay_alu instid0(SALU_CYCLE_1)
	s_or_not1_b32 s4, s13, exec_lo
.LBB1235_44:
	s_or_b32 exec_lo, exec_lo, s12
	v_dual_cndmask_b32 v14, v10, v11, s4 :: v_dual_cndmask_b32 v15, v65, v64, s4
	s_mov_b32 s12, exec_lo
	s_delay_alu instid0(VALU_DEP_1) | instskip(SKIP_1) | instid1(VALU_DEP_2)
	v_add_nc_u32_e32 v19, 1, v14
	v_lshl_add_u32 v14, v14, 3, v4
	v_add_min_u32_e64 v15, v15, -1, v19
	s_delay_alu instid0(VALU_DEP_1)
	v_lshl_add_u32 v15, v15, 3, v4
	ds_load_b64 v[16:17], v15
	ds_load_b64 v[14:15], v14 offset:8192
	v_cndmask_b32_e64 v18, v19, v10, s4
	s_wait_dscnt 0x1
	v_dual_cndmask_b32 v19, v11, v19, s4 :: v_dual_cndmask_b32 v10, v16, v22, s4
	v_cndmask_b32_e64 v11, v17, v23, s4
	v_dual_cndmask_b32 v27, v25, v17, s4 :: v_dual_cndmask_b32 v26, v24, v16, s4
	v_cmpx_lt_u32_e64 v18, v65
	s_cbranch_execz .LBB1235_48
; %bb.45:
	s_mov_b32 s13, 0
	s_mov_b32 s11, exec_lo
	v_cmpx_lt_u32_e64 v19, v64
	s_cbranch_execz .LBB1235_47
; %bb.46:
	v_add_f64_e32 v[28:29], 0, v[10:11]
	s_delay_alu instid0(VALU_DEP_1) | instskip(NEXT) | instid1(VALU_DEP_1)
	v_dual_add_f64 v[16:17], 0, v[26:27] :: v_dual_ashrrev_i32 v31, 31, v29
	v_ashrrev_i32_e32 v30, 31, v17
	s_delay_alu instid0(VALU_DEP_2) | instskip(NEXT) | instid1(VALU_DEP_2)
	v_or_b32_e32 v33, 0x80000000, v31
	v_or_b32_e32 v32, 0x80000000, v30
	s_delay_alu instid0(VALU_DEP_4) | instskip(SKIP_1) | instid1(VALU_DEP_4)
	v_xor_b32_e32 v16, v30, v16
	v_xor_b32_e32 v28, v31, v28
	;; [unrolled: 1-line block ×3, first 2 shown]
	s_delay_alu instid0(VALU_DEP_4) | instskip(NEXT) | instid1(VALU_DEP_1)
	v_xor_b32_e32 v17, v32, v17
	v_cmp_le_u64_e64 s3, v[16:17], v[28:29]
	s_and_b32 s13, s3, exec_lo
.LBB1235_47:
	s_or_b32 exec_lo, exec_lo, s11
	s_delay_alu instid0(SALU_CYCLE_1)
	s_or_not1_b32 s11, s13, exec_lo
.LBB1235_48:
	s_or_b32 exec_lo, exec_lo, s12
	v_dual_cndmask_b32 v16, v18, v19, s11 :: v_dual_cndmask_b32 v17, v65, v64, s11
	s_mov_b32 s13, -1
	s_mov_b32 s12, exec_lo
	s_delay_alu instid0(VALU_DEP_1) | instskip(SKIP_1) | instid1(VALU_DEP_2)
	v_add_nc_u32_e32 v28, 1, v16
	v_lshl_add_u32 v16, v16, 3, v4
	v_add_min_u32_e64 v17, v17, -1, v28
	s_delay_alu instid0(VALU_DEP_1)
	v_lshl_add_u32 v17, v17, 3, v4
	ds_load_b64 v[30:31], v17
	ds_load_b64 v[16:17], v16 offset:8192
	s_wait_dscnt 0x1
	v_dual_cndmask_b32 v29, v31, v11, s11 :: v_dual_cndmask_b32 v18, v28, v18, s11
	v_dual_cndmask_b32 v19, v19, v28, s11 :: v_dual_cndmask_b32 v28, v30, v10, s11
	;; [unrolled: 1-line block ×3, first 2 shown]
	s_delay_alu instid0(VALU_DEP_3)
	v_cmpx_lt_u32_e64 v18, v65
	s_cbranch_execz .LBB1235_52
; %bb.49:
	s_mov_b32 s14, 0
	s_mov_b32 s13, exec_lo
	v_cmpx_lt_u32_e64 v19, v64
	s_cbranch_execz .LBB1235_51
; %bb.50:
	v_add_f64_e32 v[32:33], 0, v[30:31]
	v_add_f64_e32 v[34:35], 0, v[28:29]
	s_delay_alu instid0(VALU_DEP_1) | instskip(NEXT) | instid1(VALU_DEP_1)
	v_dual_ashrrev_i32 v64, 31, v33 :: v_dual_ashrrev_i32 v65, 31, v35
	v_or_b32_e32 v66, 0x80000000, v64
	s_delay_alu instid0(VALU_DEP_2) | instskip(SKIP_2) | instid1(VALU_DEP_4)
	v_or_b32_e32 v67, 0x80000000, v65
	v_xor_b32_e32 v32, v64, v32
	v_xor_b32_e32 v34, v65, v34
	;; [unrolled: 1-line block ×3, first 2 shown]
	s_delay_alu instid0(VALU_DEP_4) | instskip(NEXT) | instid1(VALU_DEP_1)
	v_xor_b32_e32 v35, v67, v35
	v_cmp_le_u64_e64 s3, v[32:33], v[34:35]
	s_and_b32 s14, s3, exec_lo
.LBB1235_51:
	s_or_b32 exec_lo, exec_lo, s13
	s_delay_alu instid0(SALU_CYCLE_1)
	s_or_not1_b32 s13, s14, exec_lo
.LBB1235_52:
	s_or_b32 exec_lo, exec_lo, s12
	v_dual_cndmask_b32 v18, v18, v19, s13 :: v_dual_cndmask_b32 v33, v23, v25, s4
	v_dual_cndmask_b32 v11, v11, v27, s11 :: v_dual_cndmask_b32 v10, v10, v26, s11
	;; [unrolled: 1-line block ×3, first 2 shown]
	s_delay_alu instid0(VALU_DEP_3)
	v_lshl_add_u32 v18, v18, 3, v4
	v_dual_cndmask_b32 v34, v20, v6, s10 :: v_dual_cndmask_b32 v29, v29, v31, s13
	v_cndmask_b32_e64 v28, v28, v30, s13
	ds_load_b64 v[18:19], v18 offset:8192
.LBB1235_53:
	s_or_b32 exec_lo, exec_lo, s6
	v_and_b32_e32 v22, 0x70, v55
	s_mov_b32 s4, exec_lo
	; wave barrier
	ds_store_b64 v38, v[34:35]
	ds_store_b64 v51, v[12:13]
	v_or_b32_e32 v6, 8, v22
	ds_store_b64 v39, v[32:33]
	ds_store_b64 v48, v[14:15]
	ds_store_b64 v49, v[10:11]
	s_wait_dscnt 0x6
	ds_store_b64 v52, v[16:17]
	ds_store_b64 v50, v[28:29]
	s_wait_dscnt 0x7
	ds_store_b64 v53, v[18:19]
	; wave barrier
	v_min_u32_e32 v64, v1, v6
	v_and_b32_e32 v6, 12, v55
	s_delay_alu instid0(VALU_DEP_2) | instskip(NEXT) | instid1(VALU_DEP_2)
	v_add_min_u32_e64 v65, v64, 8, v1
	v_min_u32_e32 v23, v1, v6
	s_delay_alu instid0(VALU_DEP_2) | instskip(NEXT) | instid1(VALU_DEP_1)
	v_dual_sub_nc_u32 v7, v64, v22 :: v_dual_sub_nc_u32 v6, v65, v64
	v_min_u32_e32 v25, v23, v7
	s_delay_alu instid0(VALU_DEP_2) | instskip(NEXT) | instid1(VALU_DEP_1)
	v_sub_nc_u32_e64 v24, v23, v6 clamp
	v_cmpx_lt_u32_e64 v24, v25
	s_cbranch_execz .LBB1235_57
; %bb.54:
	v_dual_mov_b32 v21, 0 :: v_dual_lshlrev_b32 v20, 3, v22
	s_mov_b32 s6, 0
	s_delay_alu instid0(VALU_DEP_1) | instskip(SKIP_1) | instid1(VALU_DEP_1)
	v_add_nc_u64_e32 v[6:7], v[4:5], v[20:21]
	v_lshlrev_b32_e32 v20, 3, v64
	v_add_nc_u64_e32 v[20:21], v[4:5], v[20:21]
.LBB1235_55:                            ; =>This Inner Loop Header: Depth=1
	v_add_nc_u32_e32 v7, v25, v24
	s_delay_alu instid0(VALU_DEP_1) | instskip(NEXT) | instid1(VALU_DEP_1)
	v_lshrrev_b32_e32 v7, 1, v7
	v_xad_u32 v21, v7, -1, v23
	v_lshl_add_u32 v26, v7, 3, v6
	s_delay_alu instid0(VALU_DEP_2) | instskip(SKIP_4) | instid1(VALU_DEP_1)
	v_lshl_add_u32 v21, v21, 3, v20
	ds_load_b64 v[26:27], v26
	ds_load_b64 v[30:31], v21
	s_wait_dscnt 0x1
	v_add_f64_e32 v[26:27], 0, v[26:27]
	v_ashrrev_i32_e32 v21, 31, v27
	s_delay_alu instid0(VALU_DEP_1) | instskip(NEXT) | instid1(VALU_DEP_1)
	v_or_b32_e32 v67, 0x80000000, v21
	v_xor_b32_e32 v27, v67, v27
	s_delay_alu instid0(VALU_DEP_4) | instskip(SKIP_2) | instid1(VALU_DEP_1)
	v_dual_add_nc_u32 v21, 1, v7 :: v_dual_bitop2_b32 v26, v21, v26 bitop3:0x14
	s_wait_dscnt 0x0
	v_add_f64_e32 v[30:31], 0, v[30:31]
	v_ashrrev_i32_e32 v66, 31, v31
	s_delay_alu instid0(VALU_DEP_1) | instskip(NEXT) | instid1(VALU_DEP_1)
	v_or_b32_e32 v68, 0x80000000, v66
	v_xor_b32_e32 v31, v68, v31
	s_delay_alu instid0(VALU_DEP_4) | instskip(NEXT) | instid1(VALU_DEP_1)
	v_xor_b32_e32 v30, v66, v30
	v_cmp_gt_u64_e64 s3, v[26:27], v[30:31]
	s_delay_alu instid0(VALU_DEP_1) | instskip(SKIP_1) | instid1(VALU_DEP_1)
	v_cndmask_b32_e64 v25, v25, v7, s3
	v_cndmask_b32_e64 v24, v21, v24, s3
	v_cmp_ge_u32_e64 s3, v24, v25
	s_or_b32 s6, s3, s6
	s_delay_alu instid0(SALU_CYCLE_1)
	s_and_not1_b32 exec_lo, exec_lo, s6
	s_cbranch_execnz .LBB1235_55
; %bb.56:
	s_or_b32 exec_lo, exec_lo, s6
.LBB1235_57:
	s_delay_alu instid0(SALU_CYCLE_1) | instskip(SKIP_1) | instid1(VALU_DEP_1)
	s_or_b32 exec_lo, exec_lo, s4
	v_add_nc_u32_e32 v6, v64, v23
	v_dual_add_nc_u32 v22, v24, v22 :: v_dual_sub_nc_u32 v23, v6, v24
	s_delay_alu instid0(VALU_DEP_1) | instskip(NEXT) | instid1(VALU_DEP_2)
	v_cmp_le_u32_e64 s3, v22, v64
	v_cmp_le_u32_e64 s4, v23, v65
	s_or_b32 s3, s3, s4
	s_delay_alu instid0(SALU_CYCLE_1)
	s_and_saveexec_b32 s6, s3
	s_cbranch_execz .LBB1235_77
; %bb.58:
	v_cmp_ge_u32_e64 s3, v22, v64
	s_mov_b32 s10, exec_lo
                                        ; implicit-def: $vgpr6_vgpr7
	v_cmpx_lt_u32_e64 v22, v64
; %bb.59:
	v_lshl_add_u32 v6, v22, 3, v4
	ds_load_b64 v[6:7], v6
; %bb.60:
	s_or_b32 exec_lo, exec_lo, s10
	v_cmp_ge_u32_e64 s10, v23, v65
	s_mov_b32 s11, exec_lo
                                        ; implicit-def: $vgpr20_vgpr21
	v_cmpx_lt_u32_e64 v23, v65
; %bb.61:
	v_lshl_add_u32 v10, v23, 3, v4
	ds_load_b64 v[20:21], v10
; %bb.62:
	s_or_b32 exec_lo, exec_lo, s11
	s_nor_b32 s3, s3, s10
	s_delay_alu instid0(SALU_CYCLE_1)
	s_and_saveexec_b32 s4, s3
	s_cbranch_execz .LBB1235_64
; %bb.63:
	s_wait_dscnt 0x0
	v_add_f64_e32 v[12:13], 0, v[20:21]
	v_add_f64_e32 v[10:11], 0, v[6:7]
	s_and_not1_b32 s10, s10, exec_lo
	s_delay_alu instid0(VALU_DEP_1) | instskip(NEXT) | instid1(VALU_DEP_1)
	v_dual_ashrrev_i32 v15, 31, v13 :: v_dual_ashrrev_i32 v14, 31, v11
	v_or_b32_e32 v17, 0x80000000, v15
	s_delay_alu instid0(VALU_DEP_2) | instskip(NEXT) | instid1(VALU_DEP_4)
	v_or_b32_e32 v16, 0x80000000, v14
	v_xor_b32_e32 v10, v14, v10
	v_xor_b32_e32 v12, v15, v12
	s_delay_alu instid0(VALU_DEP_4) | instskip(NEXT) | instid1(VALU_DEP_4)
	v_xor_b32_e32 v13, v17, v13
	v_xor_b32_e32 v11, v16, v11
	s_delay_alu instid0(VALU_DEP_1) | instskip(SKIP_1) | instid1(SALU_CYCLE_1)
	v_cmp_le_u64_e64 s3, v[10:11], v[12:13]
	s_and_b32 s3, s3, exec_lo
	s_or_b32 s10, s10, s3
.LBB1235_64:
	s_or_b32 exec_lo, exec_lo, s4
	v_dual_cndmask_b32 v10, v23, v22, s10 :: v_dual_cndmask_b32 v11, v65, v64, s10
	s_mov_b32 s11, -1
	s_mov_b32 s4, -1
	s_mov_b32 s12, exec_lo
	s_delay_alu instid0(VALU_DEP_1) | instskip(SKIP_1) | instid1(VALU_DEP_2)
	v_add_nc_u32_e32 v16, 1, v10
	v_lshl_add_u32 v10, v10, 3, v4
	v_add_min_u32_e64 v11, v11, -1, v16
	ds_load_b64 v[12:13], v10 offset:8192
	v_cndmask_b32_e64 v10, v16, v23, s10
	v_lshl_add_u32 v11, v11, 3, v4
	ds_load_b64 v[14:15], v11
	s_wait_dscnt 0x0
	v_dual_cndmask_b32 v23, v15, v21, s10 :: v_dual_cndmask_b32 v11, v22, v16, s10
	v_dual_cndmask_b32 v22, v14, v20, s10 :: v_dual_cndmask_b32 v25, v7, v15, s10
	v_cndmask_b32_e64 v24, v6, v14, s10
	v_cmpx_lt_u32_e64 v10, v65
	s_cbranch_execz .LBB1235_68
; %bb.65:
	s_mov_b32 s13, 0
	s_mov_b32 s4, exec_lo
	v_cmpx_lt_u32_e64 v11, v64
	s_cbranch_execz .LBB1235_67
; %bb.66:
	v_add_f64_e32 v[14:15], 0, v[24:25]
	v_add_f64_e32 v[16:17], 0, v[22:23]
	s_delay_alu instid0(VALU_DEP_1) | instskip(NEXT) | instid1(VALU_DEP_1)
	v_dual_ashrrev_i32 v18, 31, v15 :: v_dual_ashrrev_i32 v19, 31, v17
	v_or_b32_e32 v26, 0x80000000, v18
	s_delay_alu instid0(VALU_DEP_2) | instskip(SKIP_2) | instid1(VALU_DEP_4)
	v_or_b32_e32 v27, 0x80000000, v19
	v_xor_b32_e32 v14, v18, v14
	v_xor_b32_e32 v16, v19, v16
	;; [unrolled: 1-line block ×3, first 2 shown]
	s_delay_alu instid0(VALU_DEP_4) | instskip(NEXT) | instid1(VALU_DEP_1)
	v_xor_b32_e32 v17, v27, v17
	v_cmp_le_u64_e64 s3, v[14:15], v[16:17]
	s_and_b32 s13, s3, exec_lo
.LBB1235_67:
	s_or_b32 exec_lo, exec_lo, s4
	s_delay_alu instid0(SALU_CYCLE_1)
	s_or_not1_b32 s4, s13, exec_lo
.LBB1235_68:
	s_or_b32 exec_lo, exec_lo, s12
	v_dual_cndmask_b32 v14, v10, v11, s4 :: v_dual_cndmask_b32 v15, v65, v64, s4
	s_mov_b32 s12, exec_lo
	s_delay_alu instid0(VALU_DEP_1) | instskip(SKIP_1) | instid1(VALU_DEP_2)
	v_add_nc_u32_e32 v19, 1, v14
	v_lshl_add_u32 v14, v14, 3, v4
	v_add_min_u32_e64 v15, v15, -1, v19
	s_delay_alu instid0(VALU_DEP_1)
	v_lshl_add_u32 v15, v15, 3, v4
	ds_load_b64 v[16:17], v15
	ds_load_b64 v[14:15], v14 offset:8192
	v_cndmask_b32_e64 v18, v19, v10, s4
	s_wait_dscnt 0x1
	v_dual_cndmask_b32 v19, v11, v19, s4 :: v_dual_cndmask_b32 v10, v16, v22, s4
	v_cndmask_b32_e64 v11, v17, v23, s4
	v_dual_cndmask_b32 v27, v25, v17, s4 :: v_dual_cndmask_b32 v26, v24, v16, s4
	v_cmpx_lt_u32_e64 v18, v65
	s_cbranch_execz .LBB1235_72
; %bb.69:
	s_mov_b32 s13, 0
	s_mov_b32 s11, exec_lo
	v_cmpx_lt_u32_e64 v19, v64
	s_cbranch_execz .LBB1235_71
; %bb.70:
	v_add_f64_e32 v[28:29], 0, v[10:11]
	s_delay_alu instid0(VALU_DEP_1) | instskip(NEXT) | instid1(VALU_DEP_1)
	v_dual_add_f64 v[16:17], 0, v[26:27] :: v_dual_ashrrev_i32 v31, 31, v29
	v_ashrrev_i32_e32 v30, 31, v17
	s_delay_alu instid0(VALU_DEP_2) | instskip(NEXT) | instid1(VALU_DEP_2)
	v_or_b32_e32 v33, 0x80000000, v31
	v_or_b32_e32 v32, 0x80000000, v30
	s_delay_alu instid0(VALU_DEP_4) | instskip(SKIP_1) | instid1(VALU_DEP_4)
	v_xor_b32_e32 v16, v30, v16
	v_xor_b32_e32 v28, v31, v28
	;; [unrolled: 1-line block ×3, first 2 shown]
	s_delay_alu instid0(VALU_DEP_4) | instskip(NEXT) | instid1(VALU_DEP_1)
	v_xor_b32_e32 v17, v32, v17
	v_cmp_le_u64_e64 s3, v[16:17], v[28:29]
	s_and_b32 s13, s3, exec_lo
.LBB1235_71:
	s_or_b32 exec_lo, exec_lo, s11
	s_delay_alu instid0(SALU_CYCLE_1)
	s_or_not1_b32 s11, s13, exec_lo
.LBB1235_72:
	s_or_b32 exec_lo, exec_lo, s12
	v_dual_cndmask_b32 v16, v18, v19, s11 :: v_dual_cndmask_b32 v17, v65, v64, s11
	s_mov_b32 s13, -1
	s_mov_b32 s12, exec_lo
	s_delay_alu instid0(VALU_DEP_1) | instskip(SKIP_1) | instid1(VALU_DEP_2)
	v_add_nc_u32_e32 v28, 1, v16
	v_lshl_add_u32 v16, v16, 3, v4
	v_add_min_u32_e64 v17, v17, -1, v28
	s_delay_alu instid0(VALU_DEP_1)
	v_lshl_add_u32 v17, v17, 3, v4
	ds_load_b64 v[30:31], v17
	ds_load_b64 v[16:17], v16 offset:8192
	s_wait_dscnt 0x1
	v_dual_cndmask_b32 v29, v31, v11, s11 :: v_dual_cndmask_b32 v18, v28, v18, s11
	v_dual_cndmask_b32 v19, v19, v28, s11 :: v_dual_cndmask_b32 v28, v30, v10, s11
	;; [unrolled: 1-line block ×3, first 2 shown]
	s_delay_alu instid0(VALU_DEP_3)
	v_cmpx_lt_u32_e64 v18, v65
	s_cbranch_execz .LBB1235_76
; %bb.73:
	s_mov_b32 s14, 0
	s_mov_b32 s13, exec_lo
	v_cmpx_lt_u32_e64 v19, v64
	s_cbranch_execz .LBB1235_75
; %bb.74:
	v_add_f64_e32 v[32:33], 0, v[30:31]
	v_add_f64_e32 v[34:35], 0, v[28:29]
	s_delay_alu instid0(VALU_DEP_1) | instskip(NEXT) | instid1(VALU_DEP_1)
	v_dual_ashrrev_i32 v64, 31, v33 :: v_dual_ashrrev_i32 v65, 31, v35
	v_or_b32_e32 v66, 0x80000000, v64
	s_delay_alu instid0(VALU_DEP_2) | instskip(SKIP_2) | instid1(VALU_DEP_4)
	v_or_b32_e32 v67, 0x80000000, v65
	v_xor_b32_e32 v32, v64, v32
	v_xor_b32_e32 v34, v65, v34
	;; [unrolled: 1-line block ×3, first 2 shown]
	s_delay_alu instid0(VALU_DEP_4) | instskip(NEXT) | instid1(VALU_DEP_1)
	v_xor_b32_e32 v35, v67, v35
	v_cmp_le_u64_e64 s3, v[32:33], v[34:35]
	s_and_b32 s14, s3, exec_lo
.LBB1235_75:
	s_or_b32 exec_lo, exec_lo, s13
	s_delay_alu instid0(SALU_CYCLE_1)
	s_or_not1_b32 s13, s14, exec_lo
.LBB1235_76:
	s_or_b32 exec_lo, exec_lo, s12
	v_dual_cndmask_b32 v18, v18, v19, s13 :: v_dual_cndmask_b32 v33, v23, v25, s4
	v_dual_cndmask_b32 v11, v11, v27, s11 :: v_dual_cndmask_b32 v10, v10, v26, s11
	;; [unrolled: 1-line block ×3, first 2 shown]
	s_delay_alu instid0(VALU_DEP_3)
	v_lshl_add_u32 v18, v18, 3, v4
	v_dual_cndmask_b32 v34, v20, v6, s10 :: v_dual_cndmask_b32 v29, v29, v31, s13
	v_cndmask_b32_e64 v28, v28, v30, s13
	ds_load_b64 v[18:19], v18 offset:8192
.LBB1235_77:
	s_or_b32 exec_lo, exec_lo, s6
	v_and_b32_e32 v22, 0x60, v55
	s_mov_b32 s4, exec_lo
	; wave barrier
	ds_store_b64 v38, v[34:35]
	ds_store_b64 v51, v[12:13]
	v_or_b32_e32 v6, 16, v22
	ds_store_b64 v39, v[32:33]
	ds_store_b64 v48, v[14:15]
	ds_store_b64 v49, v[10:11]
	s_wait_dscnt 0x6
	ds_store_b64 v52, v[16:17]
	ds_store_b64 v50, v[28:29]
	s_wait_dscnt 0x7
	ds_store_b64 v53, v[18:19]
	; wave barrier
	v_min_u32_e32 v55, v1, v6
	s_delay_alu instid0(VALU_DEP_1) | instskip(SKIP_1) | instid1(VALU_DEP_2)
	v_add_min_u32_e64 v64, v55, 16, v1
	v_min_u32_e32 v1, v1, v54
	v_dual_sub_nc_u32 v7, v55, v22 :: v_dual_sub_nc_u32 v6, v64, v55
	s_delay_alu instid0(VALU_DEP_1) | instskip(NEXT) | instid1(VALU_DEP_2)
	v_min_u32_e32 v24, v1, v7
	v_sub_nc_u32_e64 v23, v1, v6 clamp
	s_delay_alu instid0(VALU_DEP_1)
	v_cmpx_lt_u32_e64 v23, v24
	s_cbranch_execz .LBB1235_81
; %bb.78:
	v_dual_mov_b32 v21, 0 :: v_dual_lshlrev_b32 v20, 3, v22
	s_mov_b32 s6, 0
	s_delay_alu instid0(VALU_DEP_1) | instskip(SKIP_1) | instid1(VALU_DEP_1)
	v_add_nc_u64_e32 v[6:7], v[4:5], v[20:21]
	v_lshlrev_b32_e32 v20, 3, v55
	v_add_nc_u64_e32 v[20:21], v[4:5], v[20:21]
.LBB1235_79:                            ; =>This Inner Loop Header: Depth=1
	v_add_nc_u32_e32 v5, v24, v23
	s_delay_alu instid0(VALU_DEP_1) | instskip(NEXT) | instid1(VALU_DEP_1)
	v_lshrrev_b32_e32 v5, 1, v5
	v_xad_u32 v7, v5, -1, v1
	v_lshl_add_u32 v21, v5, 3, v6
	s_delay_alu instid0(VALU_DEP_2)
	v_lshl_add_u32 v7, v7, 3, v20
	ds_load_b64 v[26:27], v21
	ds_load_b64 v[30:31], v7
	s_wait_dscnt 0x1
	v_add_f64_e32 v[26:27], 0, v[26:27]
	s_wait_dscnt 0x0
	v_add_f64_e32 v[30:31], 0, v[30:31]
	s_delay_alu instid0(VALU_DEP_2) | instskip(NEXT) | instid1(VALU_DEP_1)
	v_ashrrev_i32_e32 v7, 31, v27
	v_or_b32_e32 v25, 0x80000000, v7
	s_delay_alu instid0(VALU_DEP_1) | instskip(SKIP_2) | instid1(VALU_DEP_1)
	v_xor_b32_e32 v27, v25, v27
	v_dual_add_nc_u32 v7, 1, v5 :: v_dual_bitop2_b32 v26, v7, v26 bitop3:0x14
	v_ashrrev_i32_e32 v21, 31, v31
	v_or_b32_e32 v38, 0x80000000, v21
	s_delay_alu instid0(VALU_DEP_1) | instskip(SKIP_1) | instid1(VALU_DEP_1)
	v_xor_b32_e32 v31, v38, v31
	v_xor_b32_e32 v30, v21, v30
	v_cmp_gt_u64_e64 s3, v[26:27], v[30:31]
	s_delay_alu instid0(VALU_DEP_1) | instskip(NEXT) | instid1(VALU_DEP_1)
	v_dual_cndmask_b32 v24, v24, v5, s3 :: v_dual_cndmask_b32 v23, v7, v23, s3
	v_cmp_ge_u32_e64 s3, v23, v24
	s_or_b32 s6, s3, s6
	s_delay_alu instid0(SALU_CYCLE_1)
	s_and_not1_b32 exec_lo, exec_lo, s6
	s_cbranch_execnz .LBB1235_79
; %bb.80:
	s_or_b32 exec_lo, exec_lo, s6
.LBB1235_81:
	s_delay_alu instid0(SALU_CYCLE_1) | instskip(SKIP_1) | instid1(VALU_DEP_1)
	s_or_b32 exec_lo, exec_lo, s4
	v_add_nc_u32_e32 v5, v55, v1
	v_dual_add_nc_u32 v1, v23, v22 :: v_dual_sub_nc_u32 v5, v5, v23
	s_delay_alu instid0(VALU_DEP_1) | instskip(NEXT) | instid1(VALU_DEP_2)
	v_cmp_le_u32_e64 s3, v1, v55
	v_cmp_le_u32_e64 s4, v5, v64
	s_or_b32 s3, s3, s4
	s_delay_alu instid0(SALU_CYCLE_1)
	s_and_saveexec_b32 s6, s3
	s_cbranch_execz .LBB1235_101
; %bb.82:
	v_cmp_ge_u32_e64 s3, v1, v55
	s_mov_b32 s10, exec_lo
                                        ; implicit-def: $vgpr6_vgpr7
	v_cmpx_lt_u32_e64 v1, v55
; %bb.83:
	v_lshl_add_u32 v6, v1, 3, v4
	ds_load_b64 v[6:7], v6
; %bb.84:
	s_or_b32 exec_lo, exec_lo, s10
	v_cmp_ge_u32_e64 s10, v5, v64
	s_mov_b32 s11, exec_lo
                                        ; implicit-def: $vgpr20_vgpr21
	v_cmpx_lt_u32_e64 v5, v64
; %bb.85:
	v_lshl_add_u32 v10, v5, 3, v4
	ds_load_b64 v[20:21], v10
; %bb.86:
	s_or_b32 exec_lo, exec_lo, s11
	s_nor_b32 s3, s3, s10
	s_delay_alu instid0(SALU_CYCLE_1)
	s_and_saveexec_b32 s4, s3
	s_cbranch_execz .LBB1235_88
; %bb.87:
	s_wait_dscnt 0x0
	v_add_f64_e32 v[12:13], 0, v[20:21]
	v_add_f64_e32 v[10:11], 0, v[6:7]
	s_and_not1_b32 s10, s10, exec_lo
	s_delay_alu instid0(VALU_DEP_1) | instskip(NEXT) | instid1(VALU_DEP_1)
	v_dual_ashrrev_i32 v15, 31, v13 :: v_dual_ashrrev_i32 v14, 31, v11
	v_or_b32_e32 v17, 0x80000000, v15
	s_delay_alu instid0(VALU_DEP_2) | instskip(NEXT) | instid1(VALU_DEP_4)
	v_or_b32_e32 v16, 0x80000000, v14
	v_xor_b32_e32 v10, v14, v10
	v_xor_b32_e32 v12, v15, v12
	s_delay_alu instid0(VALU_DEP_4) | instskip(NEXT) | instid1(VALU_DEP_4)
	v_xor_b32_e32 v13, v17, v13
	v_xor_b32_e32 v11, v16, v11
	s_delay_alu instid0(VALU_DEP_1) | instskip(SKIP_1) | instid1(SALU_CYCLE_1)
	v_cmp_le_u64_e64 s3, v[10:11], v[12:13]
	s_and_b32 s3, s3, exec_lo
	s_or_b32 s10, s10, s3
.LBB1235_88:
	s_or_b32 exec_lo, exec_lo, s4
	v_dual_cndmask_b32 v12, v5, v1, s10 :: v_dual_cndmask_b32 v10, v64, v55, s10
	s_mov_b32 s11, -1
	s_mov_b32 s4, -1
	s_mov_b32 s12, exec_lo
	s_delay_alu instid0(VALU_DEP_1) | instskip(SKIP_1) | instid1(VALU_DEP_2)
	v_add_nc_u32_e32 v14, 1, v12
	v_lshl_add_u32 v12, v12, 3, v4
	v_add_min_u32_e64 v10, v10, -1, v14
	ds_load_b64 v[12:13], v12 offset:8192
	v_lshl_add_u32 v10, v10, 3, v4
	ds_load_b64 v[10:11], v10
	s_wait_dscnt 0x0
	v_cndmask_b32_e64 v23, v11, v21, s10
	v_dual_cndmask_b32 v5, v14, v5, s10 :: v_dual_cndmask_b32 v1, v1, v14, s10
	v_dual_cndmask_b32 v22, v10, v20, s10 :: v_dual_cndmask_b32 v25, v7, v11, s10
	v_cndmask_b32_e64 v24, v6, v10, s10
	s_delay_alu instid0(VALU_DEP_3)
	v_cmpx_lt_u32_e64 v5, v64
	s_cbranch_execz .LBB1235_92
; %bb.89:
	s_mov_b32 s13, 0
	s_mov_b32 s4, exec_lo
	v_cmpx_lt_u32_e64 v1, v55
	s_cbranch_execz .LBB1235_91
; %bb.90:
	v_add_f64_e32 v[14:15], 0, v[22:23]
	s_delay_alu instid0(VALU_DEP_1) | instskip(NEXT) | instid1(VALU_DEP_1)
	v_dual_add_f64 v[10:11], 0, v[24:25] :: v_dual_ashrrev_i32 v17, 31, v15
	v_ashrrev_i32_e32 v16, 31, v11
	s_delay_alu instid0(VALU_DEP_2) | instskip(NEXT) | instid1(VALU_DEP_2)
	v_or_b32_e32 v19, 0x80000000, v17
	v_or_b32_e32 v18, 0x80000000, v16
	v_xor_b32_e32 v14, v17, v14
	s_delay_alu instid0(VALU_DEP_3) | instskip(NEXT) | instid1(VALU_DEP_3)
	v_xor_b32_e32 v15, v19, v15
	v_xor_b32_e32 v11, v18, v11
	;; [unrolled: 1-line block ×3, first 2 shown]
	s_delay_alu instid0(VALU_DEP_1)
	v_cmp_le_u64_e64 s3, v[10:11], v[14:15]
	s_and_b32 s13, s3, exec_lo
.LBB1235_91:
	s_or_b32 exec_lo, exec_lo, s4
	s_delay_alu instid0(SALU_CYCLE_1)
	s_or_not1_b32 s4, s13, exec_lo
.LBB1235_92:
	s_or_b32 exec_lo, exec_lo, s12
	v_dual_cndmask_b32 v10, v5, v1, s4 :: v_dual_cndmask_b32 v11, v64, v55, s4
	s_mov_b32 s12, exec_lo
	s_delay_alu instid0(VALU_DEP_1) | instskip(SKIP_1) | instid1(VALU_DEP_2)
	v_add_nc_u32_e32 v18, 1, v10
	v_lshl_add_u32 v10, v10, 3, v4
	v_add_min_u32_e64 v11, v11, -1, v18
	ds_load_b64 v[14:15], v10 offset:8192
	v_lshl_add_u32 v11, v11, 3, v4
	ds_load_b64 v[16:17], v11
	s_wait_dscnt 0x0
	v_dual_cndmask_b32 v11, v17, v23, s4 :: v_dual_cndmask_b32 v5, v18, v5, s4
	v_cndmask_b32_e64 v1, v1, v18, s4
	v_dual_cndmask_b32 v10, v16, v22, s4 :: v_dual_cndmask_b32 v27, v25, v17, s4
	v_cndmask_b32_e64 v26, v24, v16, s4
	s_delay_alu instid0(VALU_DEP_4)
	v_cmpx_lt_u32_e64 v5, v64
	s_cbranch_execz .LBB1235_96
; %bb.93:
	s_mov_b32 s13, 0
	s_mov_b32 s11, exec_lo
	v_cmpx_lt_u32_e64 v1, v55
	s_cbranch_execz .LBB1235_95
; %bb.94:
	v_add_f64_e32 v[16:17], 0, v[26:27]
	s_delay_alu instid0(VALU_DEP_1) | instskip(NEXT) | instid1(VALU_DEP_1)
	v_dual_add_f64 v[18:19], 0, v[10:11] :: v_dual_ashrrev_i32 v28, 31, v17
	v_dual_ashrrev_i32 v29, 31, v19 :: v_dual_bitop2_b32 v16, v28, v16 bitop3:0x14
	v_or_b32_e32 v30, 0x80000000, v28
	s_delay_alu instid0(VALU_DEP_2) | instskip(NEXT) | instid1(VALU_DEP_4)
	v_or_b32_e32 v31, 0x80000000, v29
	v_xor_b32_e32 v18, v29, v18
	s_delay_alu instid0(VALU_DEP_3) | instskip(NEXT) | instid1(VALU_DEP_3)
	v_xor_b32_e32 v17, v30, v17
	v_xor_b32_e32 v19, v31, v19
	s_delay_alu instid0(VALU_DEP_1)
	v_cmp_le_u64_e64 s3, v[16:17], v[18:19]
	s_and_b32 s13, s3, exec_lo
.LBB1235_95:
	s_or_b32 exec_lo, exec_lo, s11
	s_delay_alu instid0(SALU_CYCLE_1)
	s_or_not1_b32 s11, s13, exec_lo
.LBB1235_96:
	s_or_b32 exec_lo, exec_lo, s12
	v_dual_cndmask_b32 v16, v5, v1, s11 :: v_dual_cndmask_b32 v17, v64, v55, s11
	s_mov_b32 s13, -1
	s_mov_b32 s12, exec_lo
	s_delay_alu instid0(VALU_DEP_1) | instskip(SKIP_1) | instid1(VALU_DEP_2)
	v_add_nc_u32_e32 v28, 1, v16
	v_lshl_add_u32 v16, v16, 3, v4
	v_add_min_u32_e64 v17, v17, -1, v28
	s_delay_alu instid0(VALU_DEP_1)
	v_lshl_add_u32 v17, v17, 3, v4
	ds_load_b64 v[18:19], v17
	ds_load_b64 v[16:17], v16 offset:8192
	s_wait_dscnt 0x1
	v_dual_cndmask_b32 v29, v19, v11, s11 :: v_dual_cndmask_b32 v5, v28, v5, s11
	v_dual_cndmask_b32 v1, v1, v28, s11 :: v_dual_cndmask_b32 v28, v18, v10, s11
	;; [unrolled: 1-line block ×3, first 2 shown]
	s_delay_alu instid0(VALU_DEP_3)
	v_cmpx_lt_u32_e64 v5, v64
	s_cbranch_execz .LBB1235_100
; %bb.97:
	s_mov_b32 s14, 0
	s_mov_b32 s13, exec_lo
	v_cmpx_lt_u32_e64 v1, v55
	s_cbranch_execz .LBB1235_99
; %bb.98:
	v_add_f64_e32 v[32:33], 0, v[28:29]
	s_delay_alu instid0(VALU_DEP_1) | instskip(NEXT) | instid1(VALU_DEP_1)
	v_dual_add_f64 v[18:19], 0, v[30:31] :: v_dual_ashrrev_i32 v35, 31, v33
	v_ashrrev_i32_e32 v34, 31, v19
	s_delay_alu instid0(VALU_DEP_2) | instskip(NEXT) | instid1(VALU_DEP_2)
	v_or_b32_e32 v39, 0x80000000, v35
	v_or_b32_e32 v38, 0x80000000, v34
	s_delay_alu instid0(VALU_DEP_4) | instskip(SKIP_1) | instid1(VALU_DEP_4)
	v_xor_b32_e32 v18, v34, v18
	v_xor_b32_e32 v32, v35, v32
	;; [unrolled: 1-line block ×3, first 2 shown]
	s_delay_alu instid0(VALU_DEP_4) | instskip(NEXT) | instid1(VALU_DEP_1)
	v_xor_b32_e32 v19, v38, v19
	v_cmp_le_u64_e64 s3, v[18:19], v[32:33]
	s_and_b32 s14, s3, exec_lo
.LBB1235_99:
	s_or_b32 exec_lo, exec_lo, s13
	s_delay_alu instid0(SALU_CYCLE_1)
	s_or_not1_b32 s13, s14, exec_lo
.LBB1235_100:
	s_or_b32 exec_lo, exec_lo, s12
	v_dual_cndmask_b32 v1, v5, v1, s13 :: v_dual_cndmask_b32 v11, v11, v27, s11
	v_dual_cndmask_b32 v10, v10, v26, s11 :: v_dual_cndmask_b32 v33, v23, v25, s4
	;; [unrolled: 1-line block ×3, first 2 shown]
	s_delay_alu instid0(VALU_DEP_3)
	v_lshl_add_u32 v1, v1, 3, v4
	v_dual_cndmask_b32 v34, v20, v6, s10 :: v_dual_cndmask_b32 v29, v29, v31, s13
	v_cndmask_b32_e64 v28, v28, v30, s13
	ds_load_b64 v[18:19], v1 offset:8192
.LBB1235_101:
	s_or_b32 exec_lo, exec_lo, s6
	v_lshl_add_u64 v[2:3], v[36:37], 3, v[2:3]
	v_mov_b32_e32 v1, 0
	; wave barrier
	s_wait_storecnt_dscnt 0x0
	s_barrier_signal -1
	s_delay_alu instid0(VALU_DEP_1)
	v_add_nc_u64_e32 v[2:3], v[2:3], v[0:1]
	s_barrier_wait -1
	; wave barrier
	s_and_saveexec_b32 s3, vcc_lo
	s_cbranch_execnz .LBB1235_222
; %bb.102:
	s_or_b32 exec_lo, exec_lo, s3
	s_and_saveexec_b32 s3, s0
	s_cbranch_execnz .LBB1235_223
.LBB1235_103:
	s_or_b32 exec_lo, exec_lo, s3
	s_and_saveexec_b32 s3, s1
	s_cbranch_execnz .LBB1235_224
.LBB1235_104:
	s_or_b32 exec_lo, exec_lo, s3
	s_and_saveexec_b32 s3, s2
	s_cbranch_execz .LBB1235_106
.LBB1235_105:
	flat_store_b64 v[2:3], v[28:29] offset:24
.LBB1235_106:
	s_wait_xcnt 0x0
	s_or_b32 exec_lo, exec_lo, s3
	v_lshl_add_u64 v[2:3], v[36:37], 3, v[8:9]
	v_mov_b32_e32 v1, 0
	; wave barrier
	s_delay_alu instid0(VALU_DEP_1)
	v_add_nc_u64_e32 v[2:3], v[2:3], v[0:1]
	s_and_saveexec_b32 s3, vcc_lo
	s_cbranch_execnz .LBB1235_225
; %bb.107:
	s_or_b32 exec_lo, exec_lo, s3
	s_and_saveexec_b32 s3, s0
	s_cbranch_execnz .LBB1235_226
.LBB1235_108:
	s_or_b32 exec_lo, exec_lo, s3
	s_and_saveexec_b32 s0, s1
	s_cbranch_execz .LBB1235_110
.LBB1235_109:
	flat_store_b64 v[2:3], v[16:17] offset:16
.LBB1235_110:
	s_wait_xcnt 0x0
	s_or_b32 exec_lo, exec_lo, s0
	s_delay_alu instid0(SALU_CYCLE_1)
	s_and_b32 s6, s2, exec_lo
                                        ; implicit-def: $vgpr22
                                        ; implicit-def: $vgpr55
                                        ; implicit-def: $vgpr20_vgpr21
                                        ; implicit-def: $vgpr4
                                        ; implicit-def: $vgpr10
                                        ; implicit-def: $vgpr54
                                        ; implicit-def: $vgpr31
                                        ; implicit-def: $vgpr6_vgpr7
                                        ; implicit-def: $vgpr38_vgpr39
	s_and_not1_saveexec_b32 s7, s7
	s_cbranch_execz .LBB1235_2
.LBB1235_111:
	v_mov_b64_e32 v[48:49], 0x7fffffffffffffff
	v_mov_b64_e32 v[50:51], 0x7fffffffffffffff
	s_and_saveexec_b32 s0, vcc_lo
	s_cbranch_execz .LBB1235_113
; %bb.112:
	flat_load_b64 v[50:51], v[20:21]
.LBB1235_113:
	s_wait_xcnt 0x0
	s_or_b32 exec_lo, exec_lo, s0
	v_or_b32_e32 v1, 1, v54
	s_delay_alu instid0(VALU_DEP_1)
	v_cmp_lt_u32_e64 s0, v1, v22
	s_and_saveexec_b32 s1, s0
	s_cbranch_execz .LBB1235_115
; %bb.114:
	flat_load_b64 v[48:49], v[20:21] offset:8
.LBB1235_115:
	s_wait_xcnt 0x0
	s_or_b32 exec_lo, exec_lo, s1
	v_or_b32_e32 v1, 2, v54
	v_mov_b64_e32 v[8:9], 0x7fffffffffffffff
	v_mov_b64_e32 v[26:27], 0x7fffffffffffffff
	s_delay_alu instid0(VALU_DEP_3)
	v_cmp_lt_u32_e64 s2, v1, v22
	s_and_saveexec_b32 s1, s2
	s_cbranch_execz .LBB1235_117
; %bb.116:
	flat_load_b64 v[26:27], v[20:21] offset:16
.LBB1235_117:
	s_wait_xcnt 0x0
	s_or_b32 exec_lo, exec_lo, s1
	v_or_b32_e32 v1, 3, v54
	s_delay_alu instid0(VALU_DEP_1)
	v_cmp_lt_u32_e64 s1, v1, v22
	s_and_saveexec_b32 s3, s1
	s_cbranch_execz .LBB1235_119
; %bb.118:
	flat_load_b64 v[8:9], v[20:21] offset:24
.LBB1235_119:
	s_wait_xcnt 0x0
	s_or_b32 exec_lo, exec_lo, s3
	v_lshl_add_u64 v[2:3], v[36:37], 3, v[6:7]
	v_mov_b32_e32 v1, 0
	; wave barrier
	s_delay_alu instid0(VALU_DEP_1)
	v_add_nc_u64_e32 v[2:3], v[2:3], v[0:1]
	v_dual_mov_b32 v12, v1 :: v_dual_mov_b32 v13, v1
	v_dual_mov_b32 v14, v1 :: v_dual_mov_b32 v15, v1
	;; [unrolled: 1-line block ×4, first 2 shown]
	s_and_saveexec_b32 s3, vcc_lo
	s_cbranch_execnz .LBB1235_227
; %bb.120:
	s_or_b32 exec_lo, exec_lo, s3
	s_and_saveexec_b32 s3, s0
	s_cbranch_execnz .LBB1235_228
.LBB1235_121:
	s_or_b32 exec_lo, exec_lo, s3
	s_and_saveexec_b32 s3, s2
	s_cbranch_execnz .LBB1235_229
.LBB1235_122:
	s_or_b32 exec_lo, exec_lo, s3
	s_and_saveexec_b32 s3, s1
	s_cbranch_execz .LBB1235_124
.LBB1235_123:
	flat_load_b64 v[18:19], v[2:3] offset:24
.LBB1235_124:
	s_wait_xcnt 0x0
	s_or_b32 exec_lo, exec_lo, s3
	; wave barrier
	s_load_b64 s[10:11], s[8:9], 0x0
	s_bfe_u32 s4, ttmp6, 0x4000c
	s_bfe_u32 s13, ttmp6, 0x40010
	s_and_b32 s12, ttmp7, 0xffff
	s_add_co_i32 s4, s4, 1
	s_add_co_i32 s13, s13, 1
	s_and_b32 s3, ttmp6, 15
	s_bfe_u32 s14, ttmp6, 0x40004
	s_mul_i32 s4, ttmp9, s4
	s_mul_i32 s13, s12, s13
	s_add_co_i32 s3, s3, s4
	s_add_co_i32 s14, s14, s13
	s_cmp_eq_u32 s5, 0
	v_bfe_u32 v1, v31, 10, 10
	s_cselect_b32 s3, ttmp9, s3
	s_cselect_b32 s5, s12, s14
	v_bfe_u32 v2, v31, 20, 10
	s_wait_kmcnt 0x0
	s_cmp_lt_u32 s3, s10
	s_cselect_b32 s4, 12, 18
	s_cmp_lt_u32 s5, s11
	s_mov_b32 s5, 0
	s_cselect_b32 s10, 14, 20
	s_mov_b32 s11, s5
	s_add_nc_u64 s[4:5], s[8:9], s[4:5]
	s_add_nc_u64 s[10:11], s[8:9], s[10:11]
	s_load_u16 s4, s[4:5], 0x0
	s_wait_xcnt 0x0
	s_mov_b32 s5, exec_lo
	s_load_u16 s3, s[10:11], 0x0
	s_wait_kmcnt 0x0
	v_mad_u32_u24 v1, v2, s3, v1
	v_and_b32_e32 v2, 0x3ff, v31
	s_delay_alu instid0(VALU_DEP_2) | instskip(NEXT) | instid1(VALU_DEP_1)
	v_mul_lo_u32 v1, v1, s4
	v_add_lshl_u32 v1, v1, v2, 2
	s_delay_alu instid0(VALU_DEP_1)
	v_cmpx_gt_u32_e32 0x400, v1
	s_cbranch_execz .LBB1235_136
; %bb.125:
	s_wait_loadcnt_dscnt 0x0
	v_add_f64_e32 v[20:21], 0, v[26:27]
	v_add_f64_e32 v[2:3], 0, v[50:51]
	s_mov_b32 s8, exec_lo
	s_delay_alu instid0(VALU_DEP_2) | instskip(NEXT) | instid1(VALU_DEP_2)
	v_ashrrev_i32_e32 v28, 31, v21
	v_dual_add_f64 v[6:7], 0, v[48:49] :: v_dual_ashrrev_i32 v24, 31, v3
	v_add_f64_e32 v[22:23], 0, v[8:9]
	s_delay_alu instid0(VALU_DEP_3) | instskip(NEXT) | instid1(VALU_DEP_3)
	v_or_b32_e32 v32, 0x80000000, v28
	v_or_b32_e32 v30, 0x80000000, v24
	v_xor_b32_e32 v2, v24, v2
	s_delay_alu instid0(VALU_DEP_2) | instskip(SKIP_2) | instid1(VALU_DEP_2)
	v_xor_b32_e32 v3, v30, v3
	v_ashrrev_i32_e32 v25, 31, v7
	v_ashrrev_i32_e32 v29, 31, v23
	v_or_b32_e32 v31, 0x80000000, v25
	v_xor_b32_e32 v24, v25, v6
	s_delay_alu instid0(VALU_DEP_3) | instskip(NEXT) | instid1(VALU_DEP_3)
	v_xor_b32_e32 v6, v29, v22
	v_xor_b32_e32 v25, v31, v7
	v_or_b32_e32 v7, 0x80000000, v29
	s_delay_alu instid0(VALU_DEP_2) | instskip(SKIP_2) | instid1(VALU_DEP_4)
	v_cmp_gt_u64_e64 s3, v[2:3], v[24:25]
	v_mov_b64_e32 v[2:3], v[26:27]
	v_mov_b64_e32 v[24:25], v[16:17]
	v_xor_b32_e32 v7, v7, v23
	s_delay_alu instid0(VALU_DEP_4) | instskip(SKIP_2) | instid1(VALU_DEP_2)
	v_dual_cndmask_b32 v23, v15, v13, s3 :: v_dual_bitop2_b32 v52, v28, v20 bitop3:0x14
	v_dual_cndmask_b32 v22, v14, v12, s3 :: v_dual_bitop2_b32 v53, v32, v21 bitop3:0x14
	v_dual_cndmask_b32 v21, v13, v15, s3 :: v_dual_cndmask_b32 v20, v12, v14, s3
	v_cmpx_gt_u64_e64 v[52:53], v[6:7]
	s_cbranch_execz .LBB1235_127
; %bb.126:
	v_mov_b64_e32 v[2:3], v[8:9]
	v_mov_b64_e32 v[8:9], v[26:27]
	;; [unrolled: 1-line block ×5, first 2 shown]
.LBB1235_127:
	s_or_b32 exec_lo, exec_lo, s8
	v_dual_cndmask_b32 v15, v49, v51, s3 :: v_dual_cndmask_b32 v14, v48, v50, s3
	s_delay_alu instid0(VALU_DEP_1) | instskip(NEXT) | instid1(VALU_DEP_1)
	v_dual_add_f64 v[6:7], 0, v[14:15] :: v_dual_mov_b32 v26, v18
	v_mov_b64_e32 v[34:35], v[26:27]
	v_mov_b64_e32 v[28:29], v[20:21]
	;; [unrolled: 1-line block ×4, first 2 shown]
	v_ashrrev_i32_e32 v12, 31, v7
	s_delay_alu instid0(VALU_DEP_1) | instskip(NEXT) | instid1(VALU_DEP_1)
	v_or_b32_e32 v13, 0x80000000, v12
	v_xor_b32_e32 v13, v13, v7
	v_xor_b32_e32 v12, v12, v6
                                        ; implicit-def: $vgpr6_vgpr7
	s_delay_alu instid0(VALU_DEP_1) | instskip(SKIP_1) | instid1(SALU_CYCLE_1)
	v_cmp_le_u64_e64 s4, v[12:13], v[52:53]
	s_and_saveexec_b32 s8, s4
	s_xor_b32 s4, exec_lo, s8
	s_cbranch_execz .LBB1235_129
; %bb.128:
	v_add_f64_e32 v[6:7], 0, v[2:3]
                                        ; implicit-def: $vgpr28_vgpr29_vgpr30_vgpr31_vgpr32_vgpr33_vgpr34_vgpr35
                                        ; implicit-def: $vgpr52_vgpr53
	s_delay_alu instid0(VALU_DEP_1) | instskip(NEXT) | instid1(VALU_DEP_1)
	v_ashrrev_i32_e32 v16, 31, v7
	v_or_b32_e32 v17, 0x80000000, v16
	s_delay_alu instid0(VALU_DEP_1) | instskip(NEXT) | instid1(VALU_DEP_4)
	v_xor_b32_e32 v7, v17, v7
	v_xor_b32_e32 v6, v16, v6
.LBB1235_129:
	s_or_saveexec_b32 s4, s4
	v_mov_b64_e32 v[30:31], v[14:15]
	v_mov_b32_e32 v27, v19
	s_xor_b32 exec_lo, exec_lo, s4
	s_cbranch_execz .LBB1235_131
; %bb.130:
	v_dual_mov_b32 v30, v24 :: v_dual_mov_b32 v31, v25
	v_dual_mov_b32 v32, v22 :: v_dual_mov_b32 v33, v23
	;; [unrolled: 1-line block ×3, first 2 shown]
	v_mov_b64_e32 v[20:21], v[28:29]
	s_delay_alu instid0(VALU_DEP_4) | instskip(NEXT) | instid1(VALU_DEP_4)
	v_mov_b64_e32 v[22:23], v[30:31]
	v_mov_b64_e32 v[24:25], v[32:33]
	;; [unrolled: 1-line block ×7, first 2 shown]
.LBB1235_131:
	s_or_b32 exec_lo, exec_lo, s4
	v_dual_cndmask_b32 v29, v51, v49, s3 :: v_dual_cndmask_b32 v28, v50, v48, s3
	s_mov_b32 s8, exec_lo
	s_delay_alu instid0(VALU_DEP_1) | instskip(NEXT) | instid1(VALU_DEP_1)
	v_add_f64_e32 v[14:15], 0, v[28:29]
	v_dual_add_f64 v[16:17], 0, v[8:9] :: v_dual_ashrrev_i32 v18, 31, v15
	s_delay_alu instid0(VALU_DEP_1) | instskip(NEXT) | instid1(VALU_DEP_2)
	v_ashrrev_i32_e32 v19, 31, v17
	v_or_b32_e32 v32, 0x80000000, v18
	s_delay_alu instid0(VALU_DEP_1) | instskip(NEXT) | instid1(VALU_DEP_3)
	v_xor_b32_e32 v15, v32, v15
	v_dual_mov_b32 v16, v24 :: v_dual_bitop2_b32 v32, v19, v16 bitop3:0x14
	v_xor_b32_e32 v14, v18, v14
	v_or_b32_e32 v33, 0x80000000, v19
	v_dual_mov_b32 v18, v26 :: v_dual_mov_b32 v19, v27
	s_delay_alu instid0(VALU_DEP_2) | instskip(SKIP_2) | instid1(VALU_DEP_1)
	v_xor_b32_e32 v33, v33, v17
	v_mov_b32_e32 v17, v25
	v_cmp_gt_u64_e64 s3, v[14:15], v[12:13]
	v_dual_cndmask_b32 v15, v23, v21, s3 :: v_dual_cndmask_b32 v14, v22, v20, s3
	v_dual_cndmask_b32 v13, v21, v23, s3 :: v_dual_cndmask_b32 v12, v20, v22, s3
	v_mov_b64_e32 v[20:21], v[2:3]
	v_cmpx_gt_u64_e64 v[6:7], v[32:33]
; %bb.132:
	v_mov_b64_e32 v[20:21], v[8:9]
	v_mov_b64_e32 v[8:9], v[2:3]
	;; [unrolled: 1-line block ×3, first 2 shown]
	v_dual_mov_b32 v16, v26 :: v_dual_mov_b32 v17, v27
	v_dual_mov_b32 v18, v24 :: v_dual_mov_b32 v19, v25
; %bb.133:
	s_or_b32 exec_lo, exec_lo, s8
	v_dual_cndmask_b32 v49, v31, v29, s3 :: v_dual_cndmask_b32 v48, v30, v28, s3
	v_mov_b64_e32 v[26:27], v[20:21]
	v_dual_cndmask_b32 v50, v28, v30, s3 :: v_dual_cndmask_b32 v51, v29, v31, s3
	s_mov_b32 s3, exec_lo
	s_delay_alu instid0(VALU_DEP_3) | instskip(NEXT) | instid1(VALU_DEP_1)
	v_add_f64_e32 v[2:3], 0, v[48:49]
	v_ashrrev_i32_e32 v22, 31, v3
	s_delay_alu instid0(VALU_DEP_1) | instskip(NEXT) | instid1(VALU_DEP_1)
	v_or_b32_e32 v23, 0x80000000, v22
	v_xor_b32_e32 v3, v23, v3
	s_delay_alu instid0(VALU_DEP_4) | instskip(NEXT) | instid1(VALU_DEP_1)
	v_xor_b32_e32 v2, v22, v2
	v_cmpx_gt_u64_e64 v[2:3], v[6:7]
	s_cbranch_execz .LBB1235_135
; %bb.134:
	v_dual_mov_b32 v22, v12 :: v_dual_mov_b32 v23, v13
	v_dual_mov_b32 v24, v16 :: v_dual_mov_b32 v25, v17
	;; [unrolled: 1-line block ×4, first 2 shown]
	s_delay_alu instid0(VALU_DEP_4) | instskip(NEXT) | instid1(VALU_DEP_4)
	v_mov_b64_e32 v[12:13], v[22:23]
	v_mov_b64_e32 v[14:15], v[24:25]
	s_delay_alu instid0(VALU_DEP_4) | instskip(NEXT) | instid1(VALU_DEP_4)
	v_mov_b64_e32 v[16:17], v[26:27]
	v_mov_b64_e32 v[18:19], v[28:29]
	;; [unrolled: 1-line block ×4, first 2 shown]
.LBB1235_135:
	s_or_b32 exec_lo, exec_lo, s3
.LBB1235_136:
	s_delay_alu instid0(SALU_CYCLE_1) | instskip(SKIP_4) | instid1(VALU_DEP_3)
	s_or_b32 exec_lo, exec_lo, s5
	v_and_b32_e32 v6, 0xffffff80, v1
	v_dual_mov_b32 v7, 0 :: v_dual_bitop2_b32 v2, 4, v55 bitop3:0x54
	v_and_b32_e32 v22, 0x78, v55
	s_mov_b32 s4, exec_lo
	v_sub_nc_u32_e64 v1, 0x400, v6 clamp
	s_delay_alu instid0(VALU_DEP_1) | instskip(SKIP_1) | instid1(VALU_DEP_2)
	v_min_u32_e32 v64, v1, v2
	v_lshl_add_u64 v[2:3], v[6:7], 3, v[38:39]
	v_dual_sub_nc_u32 v20, v64, v22 :: v_dual_bitop2_b32 v6, 4, v55 bitop3:0x40
	v_add_min_u32_e64 v65, v64, 4, v1
	s_delay_alu instid0(VALU_DEP_2) | instskip(NEXT) | instid1(VALU_DEP_4)
	v_min_u32_e32 v23, v1, v6
	v_lshl_add_u32 v32, v55, 3, v2
	s_delay_alu instid0(VALU_DEP_3) | instskip(NEXT) | instid1(VALU_DEP_3)
	v_sub_nc_u32_e32 v6, v65, v64
	v_min_u32_e32 v25, v23, v20
	s_delay_alu instid0(VALU_DEP_3)
	v_add_nc_u32_e32 v21, 0x2000, v32
	s_wait_loadcnt_dscnt 0x0
	ds_store_2addr_b64 v32, v[50:51], v[48:49] offset1:1
	ds_store_2addr_b64 v21, v[12:13], v[14:15] offset1:1
	ds_store_2addr_b64 v32, v[26:27], v[8:9] offset0:2 offset1:3
	ds_store_2addr_b64 v21, v[16:17], v[18:19] offset0:2 offset1:3
	v_sub_nc_u32_e64 v24, v23, v6 clamp
	; wave barrier
	s_delay_alu instid0(VALU_DEP_1)
	v_cmpx_lt_u32_e64 v24, v25
	s_cbranch_execz .LBB1235_140
; %bb.137:
	v_lshlrev_b32_e32 v6, 3, v22
	s_mov_b32 s5, 0
	s_delay_alu instid0(VALU_DEP_1) | instskip(SKIP_1) | instid1(VALU_DEP_1)
	v_add_nc_u64_e32 v[20:21], v[2:3], v[6:7]
	v_lshlrev_b32_e32 v6, 3, v64
	v_add_nc_u64_e32 v[6:7], v[2:3], v[6:7]
.LBB1235_138:                           ; =>This Inner Loop Header: Depth=1
	v_add_nc_u32_e32 v7, v25, v24
	s_delay_alu instid0(VALU_DEP_1) | instskip(NEXT) | instid1(VALU_DEP_1)
	v_lshrrev_b32_e32 v7, 1, v7
	v_xad_u32 v21, v7, -1, v23
	v_lshl_add_u32 v28, v7, 3, v20
	s_delay_alu instid0(VALU_DEP_2)
	v_lshl_add_u32 v21, v21, 3, v6
	ds_load_b64 v[28:29], v28
	ds_load_b64 v[30:31], v21
	s_wait_dscnt 0x1
	v_add_f64_e32 v[28:29], 0, v[28:29]
	s_wait_dscnt 0x0
	s_delay_alu instid0(VALU_DEP_1) | instskip(NEXT) | instid1(VALU_DEP_1)
	v_dual_add_f64 v[30:31], 0, v[30:31] :: v_dual_ashrrev_i32 v21, 31, v29
	v_ashrrev_i32_e32 v33, 31, v31
	s_delay_alu instid0(VALU_DEP_2) | instskip(NEXT) | instid1(VALU_DEP_2)
	v_or_b32_e32 v34, 0x80000000, v21
	v_or_b32_e32 v35, 0x80000000, v33
	v_dual_add_nc_u32 v21, 1, v7 :: v_dual_bitop2_b32 v28, v21, v28 bitop3:0x14
	v_xor_b32_e32 v30, v33, v30
	s_delay_alu instid0(VALU_DEP_4) | instskip(NEXT) | instid1(VALU_DEP_4)
	v_xor_b32_e32 v29, v34, v29
	v_xor_b32_e32 v31, v35, v31
	s_delay_alu instid0(VALU_DEP_1) | instskip(NEXT) | instid1(VALU_DEP_1)
	v_cmp_gt_u64_e64 s3, v[28:29], v[30:31]
	v_cndmask_b32_e64 v25, v25, v7, s3
	v_cndmask_b32_e64 v24, v21, v24, s3
	s_delay_alu instid0(VALU_DEP_1) | instskip(SKIP_1) | instid1(SALU_CYCLE_1)
	v_cmp_ge_u32_e64 s3, v24, v25
	s_or_b32 s5, s3, s5
	s_and_not1_b32 exec_lo, exec_lo, s5
	s_cbranch_execnz .LBB1235_138
; %bb.139:
	s_or_b32 exec_lo, exec_lo, s5
.LBB1235_140:
	s_delay_alu instid0(SALU_CYCLE_1) | instskip(SKIP_4) | instid1(VALU_DEP_4)
	s_or_b32 exec_lo, exec_lo, s4
	v_dual_add_nc_u32 v38, 24, v32 :: v_dual_add_nc_u32 v6, v64, v23
	v_add_nc_u32_e32 v20, v24, v22
	v_add_nc_u32_e32 v39, 0x2000, v32
	v_dual_add_nc_u32 v33, 8, v32 :: v_dual_add_nc_u32 v35, 16, v32
	v_sub_nc_u32_e32 v21, v6, v24
	s_delay_alu instid0(VALU_DEP_4)
	v_cmp_le_u32_e64 s3, v20, v64
	v_add_nc_u32_e32 v34, 0x2008, v32
	v_add_nc_u32_e32 v52, 0x2010, v32
	;; [unrolled: 1-line block ×3, first 2 shown]
	v_cmp_le_u32_e64 s4, v21, v65
	s_or_b32 s3, s3, s4
	s_delay_alu instid0(SALU_CYCLE_1)
	s_and_saveexec_b32 s5, s3
	s_cbranch_execz .LBB1235_160
; %bb.141:
	v_cmp_ge_u32_e64 s3, v20, v64
	s_mov_b32 s8, exec_lo
                                        ; implicit-def: $vgpr6_vgpr7
	v_cmpx_lt_u32_e64 v20, v64
; %bb.142:
	v_lshl_add_u32 v6, v20, 3, v2
	ds_load_b64 v[6:7], v6
; %bb.143:
	s_or_b32 exec_lo, exec_lo, s8
	v_cmp_ge_u32_e64 s8, v21, v65
	s_mov_b32 s9, exec_lo
                                        ; implicit-def: $vgpr8_vgpr9
	v_cmpx_lt_u32_e64 v21, v65
; %bb.144:
	v_lshl_add_u32 v8, v21, 3, v2
	ds_load_b64 v[8:9], v8
; %bb.145:
	s_or_b32 exec_lo, exec_lo, s9
	s_nor_b32 s3, s3, s8
	s_delay_alu instid0(SALU_CYCLE_1)
	s_and_saveexec_b32 s4, s3
	s_cbranch_execz .LBB1235_147
; %bb.146:
	s_wait_dscnt 0x0
	v_add_f64_e32 v[12:13], 0, v[6:7]
	v_add_f64_e32 v[14:15], 0, v[8:9]
	s_and_not1_b32 s8, s8, exec_lo
	s_delay_alu instid0(VALU_DEP_1) | instskip(NEXT) | instid1(VALU_DEP_1)
	v_dual_ashrrev_i32 v16, 31, v13 :: v_dual_ashrrev_i32 v17, 31, v15
	v_or_b32_e32 v18, 0x80000000, v16
	s_delay_alu instid0(VALU_DEP_2) | instskip(SKIP_2) | instid1(VALU_DEP_4)
	v_or_b32_e32 v19, 0x80000000, v17
	v_xor_b32_e32 v12, v16, v12
	v_xor_b32_e32 v14, v17, v14
	;; [unrolled: 1-line block ×3, first 2 shown]
	s_delay_alu instid0(VALU_DEP_4) | instskip(NEXT) | instid1(VALU_DEP_1)
	v_xor_b32_e32 v15, v19, v15
	v_cmp_le_u64_e64 s3, v[12:13], v[14:15]
	s_and_b32 s3, s3, exec_lo
	s_delay_alu instid0(SALU_CYCLE_1)
	s_or_b32 s8, s8, s3
.LBB1235_147:
	s_or_b32 exec_lo, exec_lo, s4
	v_cndmask_b32_e64 v12, v21, v20, s8
	v_cndmask_b32_e64 v13, v65, v64, s8
	s_mov_b32 s9, -1
	s_mov_b32 s4, -1
	s_mov_b32 s10, exec_lo
	v_add_nc_u32_e32 v17, 1, v12
	s_delay_alu instid0(VALU_DEP_1) | instskip(NEXT) | instid1(VALU_DEP_1)
	v_add_min_u32_e64 v13, v13, -1, v17
	v_lshl_add_u32 v13, v13, 3, v2
	ds_load_b64 v[14:15], v13
	s_wait_dscnt 0x0
	v_dual_cndmask_b32 v23, v7, v15, s8 :: v_dual_cndmask_b32 v16, v17, v21, s8
	v_cndmask_b32_e64 v17, v20, v17, s8
	v_lshl_add_u32 v12, v12, 3, v2
	v_dual_cndmask_b32 v21, v15, v9, s8 :: v_dual_cndmask_b32 v20, v14, v8, s8
	v_cndmask_b32_e64 v22, v6, v14, s8
	ds_load_b64 v[12:13], v12 offset:8192
	v_cmpx_lt_u32_e64 v16, v65
	s_cbranch_execz .LBB1235_151
; %bb.148:
	s_mov_b32 s11, 0
	s_mov_b32 s4, exec_lo
	v_cmpx_lt_u32_e64 v17, v64
	s_cbranch_execz .LBB1235_150
; %bb.149:
	v_add_f64_e32 v[14:15], 0, v[22:23]
	s_delay_alu instid0(VALU_DEP_1) | instskip(NEXT) | instid1(VALU_DEP_1)
	v_dual_add_f64 v[18:19], 0, v[20:21] :: v_dual_ashrrev_i32 v24, 31, v15
	v_dual_ashrrev_i32 v25, 31, v19 :: v_dual_bitop2_b32 v14, v24, v14 bitop3:0x14
	v_or_b32_e32 v26, 0x80000000, v24
	s_delay_alu instid0(VALU_DEP_2) | instskip(NEXT) | instid1(VALU_DEP_4)
	v_or_b32_e32 v27, 0x80000000, v25
	v_xor_b32_e32 v18, v25, v18
	s_delay_alu instid0(VALU_DEP_3) | instskip(NEXT) | instid1(VALU_DEP_3)
	v_xor_b32_e32 v15, v26, v15
	v_xor_b32_e32 v19, v27, v19
	s_delay_alu instid0(VALU_DEP_1)
	v_cmp_le_u64_e64 s3, v[14:15], v[18:19]
	s_and_b32 s11, s3, exec_lo
.LBB1235_150:
	s_or_b32 exec_lo, exec_lo, s4
	s_delay_alu instid0(SALU_CYCLE_1)
	s_or_not1_b32 s4, s11, exec_lo
.LBB1235_151:
	s_or_b32 exec_lo, exec_lo, s10
	v_dual_cndmask_b32 v14, v16, v17, s4 :: v_dual_cndmask_b32 v15, v65, v64, s4
	s_mov_b32 s10, exec_lo
	s_delay_alu instid0(VALU_DEP_1) | instskip(SKIP_1) | instid1(VALU_DEP_2)
	v_add_nc_u32_e32 v19, 1, v14
	v_lshl_add_u32 v14, v14, 3, v2
	v_add_min_u32_e64 v15, v15, -1, v19
	s_delay_alu instid0(VALU_DEP_1)
	v_lshl_add_u32 v15, v15, 3, v2
	ds_load_b64 v[26:27], v15
	ds_load_b64 v[14:15], v14 offset:8192
	s_wait_dscnt 0x1
	v_cndmask_b32_e64 v25, v27, v21, s4
	v_dual_cndmask_b32 v18, v19, v16, s4 :: v_dual_cndmask_b32 v19, v17, v19, s4
	v_dual_cndmask_b32 v24, v26, v20, s4 :: v_dual_cndmask_b32 v27, v23, v27, s4
	v_cndmask_b32_e64 v26, v22, v26, s4
	s_delay_alu instid0(VALU_DEP_3)
	v_cmpx_lt_u32_e64 v18, v65
	s_cbranch_execz .LBB1235_155
; %bb.152:
	s_mov_b32 s11, 0
	s_mov_b32 s9, exec_lo
	v_cmpx_lt_u32_e64 v19, v64
	s_cbranch_execz .LBB1235_154
; %bb.153:
	v_add_f64_e32 v[28:29], 0, v[24:25]
	s_delay_alu instid0(VALU_DEP_1) | instskip(NEXT) | instid1(VALU_DEP_1)
	v_dual_add_f64 v[16:17], 0, v[26:27] :: v_dual_ashrrev_i32 v31, 31, v29
	v_ashrrev_i32_e32 v30, 31, v17
	s_delay_alu instid0(VALU_DEP_2) | instskip(NEXT) | instid1(VALU_DEP_2)
	v_or_b32_e32 v49, 0x80000000, v31
	v_or_b32_e32 v48, 0x80000000, v30
	v_xor_b32_e32 v28, v31, v28
	s_delay_alu instid0(VALU_DEP_3) | instskip(NEXT) | instid1(VALU_DEP_3)
	v_xor_b32_e32 v29, v49, v29
	v_xor_b32_e32 v17, v48, v17
	;; [unrolled: 1-line block ×3, first 2 shown]
	s_delay_alu instid0(VALU_DEP_1)
	v_cmp_le_u64_e64 s3, v[16:17], v[28:29]
	s_and_b32 s11, s3, exec_lo
.LBB1235_154:
	s_or_b32 exec_lo, exec_lo, s9
	s_delay_alu instid0(SALU_CYCLE_1)
	s_or_not1_b32 s9, s11, exec_lo
.LBB1235_155:
	s_or_b32 exec_lo, exec_lo, s10
	v_dual_cndmask_b32 v16, v18, v19, s9 :: v_dual_cndmask_b32 v17, v65, v64, s9
	s_mov_b32 s11, -1
	s_mov_b32 s10, exec_lo
	s_delay_alu instid0(VALU_DEP_1) | instskip(SKIP_1) | instid1(VALU_DEP_2)
	v_add_nc_u32_e32 v28, 1, v16
	v_lshl_add_u32 v16, v16, 3, v2
	v_add_min_u32_e64 v17, v17, -1, v28
	s_delay_alu instid0(VALU_DEP_1)
	v_lshl_add_u32 v17, v17, 3, v2
	ds_load_b64 v[30:31], v17
	ds_load_b64 v[16:17], v16 offset:8192
	s_wait_dscnt 0x1
	v_dual_cndmask_b32 v29, v31, v25, s9 :: v_dual_cndmask_b32 v18, v28, v18, s9
	v_cndmask_b32_e64 v19, v19, v28, s9
	v_dual_cndmask_b32 v28, v30, v24, s9 :: v_dual_cndmask_b32 v31, v27, v31, s9
	v_cndmask_b32_e64 v30, v26, v30, s9
	s_delay_alu instid0(VALU_DEP_4)
	v_cmpx_lt_u32_e64 v18, v65
	s_cbranch_execz .LBB1235_159
; %bb.156:
	s_mov_b32 s12, 0
	s_mov_b32 s11, exec_lo
	v_cmpx_lt_u32_e64 v19, v64
	s_cbranch_execz .LBB1235_158
; %bb.157:
	v_add_f64_e32 v[48:49], 0, v[30:31]
	v_add_f64_e32 v[50:51], 0, v[28:29]
	s_delay_alu instid0(VALU_DEP_1) | instskip(NEXT) | instid1(VALU_DEP_1)
	v_dual_ashrrev_i32 v64, 31, v49 :: v_dual_ashrrev_i32 v65, 31, v51
	v_or_b32_e32 v66, 0x80000000, v64
	s_delay_alu instid0(VALU_DEP_2) | instskip(SKIP_2) | instid1(VALU_DEP_4)
	v_or_b32_e32 v67, 0x80000000, v65
	v_xor_b32_e32 v48, v64, v48
	v_xor_b32_e32 v50, v65, v50
	;; [unrolled: 1-line block ×3, first 2 shown]
	s_delay_alu instid0(VALU_DEP_4) | instskip(NEXT) | instid1(VALU_DEP_1)
	v_xor_b32_e32 v51, v67, v51
	v_cmp_le_u64_e64 s3, v[48:49], v[50:51]
	s_and_b32 s12, s3, exec_lo
.LBB1235_158:
	s_or_b32 exec_lo, exec_lo, s11
	s_delay_alu instid0(SALU_CYCLE_1)
	s_or_not1_b32 s11, s12, exec_lo
.LBB1235_159:
	s_or_b32 exec_lo, exec_lo, s10
	v_dual_cndmask_b32 v18, v18, v19, s11 :: v_dual_cndmask_b32 v26, v24, v26, s9
	v_dual_cndmask_b32 v27, v25, v27, s9 :: v_dual_cndmask_b32 v48, v20, v22, s4
	v_dual_cndmask_b32 v49, v21, v23, s4 :: v_dual_cndmask_b32 v50, v8, v6, s8
	s_delay_alu instid0(VALU_DEP_3)
	v_lshl_add_u32 v18, v18, 3, v2
	v_dual_cndmask_b32 v51, v9, v7, s8 :: v_dual_cndmask_b32 v8, v28, v30, s11
	v_cndmask_b32_e64 v9, v29, v31, s11
	ds_load_b64 v[18:19], v18 offset:8192
.LBB1235_160:
	s_or_b32 exec_lo, exec_lo, s5
	v_and_b32_e32 v22, 0x70, v55
	s_mov_b32 s4, exec_lo
	; wave barrier
	ds_store_b64 v32, v[50:51]
	ds_store_b64 v39, v[12:13]
	v_or_b32_e32 v6, 8, v22
	ds_store_b64 v33, v[48:49]
	ds_store_b64 v34, v[14:15]
	;; [unrolled: 1-line block ×3, first 2 shown]
	s_wait_dscnt 0x6
	ds_store_b64 v52, v[16:17]
	ds_store_b64 v38, v[8:9]
	s_wait_dscnt 0x7
	ds_store_b64 v53, v[18:19]
	; wave barrier
	v_min_u32_e32 v64, v1, v6
	v_and_b32_e32 v6, 12, v55
	s_delay_alu instid0(VALU_DEP_2) | instskip(NEXT) | instid1(VALU_DEP_2)
	v_add_min_u32_e64 v65, v64, 8, v1
	v_min_u32_e32 v23, v1, v6
	s_delay_alu instid0(VALU_DEP_2) | instskip(NEXT) | instid1(VALU_DEP_1)
	v_dual_sub_nc_u32 v7, v64, v22 :: v_dual_sub_nc_u32 v6, v65, v64
	v_min_u32_e32 v25, v23, v7
	s_delay_alu instid0(VALU_DEP_2) | instskip(NEXT) | instid1(VALU_DEP_1)
	v_sub_nc_u32_e64 v24, v23, v6 clamp
	v_cmpx_lt_u32_e64 v24, v25
	s_cbranch_execz .LBB1235_164
; %bb.161:
	v_dual_mov_b32 v21, 0 :: v_dual_lshlrev_b32 v20, 3, v22
	s_mov_b32 s5, 0
	s_delay_alu instid0(VALU_DEP_1) | instskip(SKIP_1) | instid1(VALU_DEP_1)
	v_add_nc_u64_e32 v[6:7], v[2:3], v[20:21]
	v_lshlrev_b32_e32 v20, 3, v64
	v_add_nc_u64_e32 v[20:21], v[2:3], v[20:21]
.LBB1235_162:                           ; =>This Inner Loop Header: Depth=1
	v_add_nc_u32_e32 v7, v25, v24
	s_delay_alu instid0(VALU_DEP_1) | instskip(NEXT) | instid1(VALU_DEP_1)
	v_lshrrev_b32_e32 v7, 1, v7
	v_xad_u32 v21, v7, -1, v23
	v_lshl_add_u32 v28, v7, 3, v6
	s_delay_alu instid0(VALU_DEP_2)
	v_lshl_add_u32 v21, v21, 3, v20
	ds_load_b64 v[28:29], v28
	ds_load_b64 v[30:31], v21
	s_wait_dscnt 0x1
	v_add_f64_e32 v[28:29], 0, v[28:29]
	s_wait_dscnt 0x0
	s_delay_alu instid0(VALU_DEP_1) | instskip(NEXT) | instid1(VALU_DEP_1)
	v_dual_add_f64 v[30:31], 0, v[30:31] :: v_dual_ashrrev_i32 v21, 31, v29
	v_ashrrev_i32_e32 v66, 31, v31
	s_delay_alu instid0(VALU_DEP_2) | instskip(NEXT) | instid1(VALU_DEP_2)
	v_or_b32_e32 v67, 0x80000000, v21
	v_or_b32_e32 v68, 0x80000000, v66
	v_dual_add_nc_u32 v21, 1, v7 :: v_dual_bitop2_b32 v28, v21, v28 bitop3:0x14
	v_xor_b32_e32 v30, v66, v30
	s_delay_alu instid0(VALU_DEP_4) | instskip(NEXT) | instid1(VALU_DEP_4)
	v_xor_b32_e32 v29, v67, v29
	v_xor_b32_e32 v31, v68, v31
	s_delay_alu instid0(VALU_DEP_1) | instskip(NEXT) | instid1(VALU_DEP_1)
	v_cmp_gt_u64_e64 s3, v[28:29], v[30:31]
	v_cndmask_b32_e64 v25, v25, v7, s3
	v_cndmask_b32_e64 v24, v21, v24, s3
	s_delay_alu instid0(VALU_DEP_1) | instskip(SKIP_1) | instid1(SALU_CYCLE_1)
	v_cmp_ge_u32_e64 s3, v24, v25
	s_or_b32 s5, s3, s5
	s_and_not1_b32 exec_lo, exec_lo, s5
	s_cbranch_execnz .LBB1235_162
; %bb.163:
	s_or_b32 exec_lo, exec_lo, s5
.LBB1235_164:
	s_delay_alu instid0(SALU_CYCLE_1) | instskip(SKIP_1) | instid1(VALU_DEP_1)
	s_or_b32 exec_lo, exec_lo, s4
	v_add_nc_u32_e32 v6, v64, v23
	v_dual_add_nc_u32 v20, v24, v22 :: v_dual_sub_nc_u32 v21, v6, v24
	s_delay_alu instid0(VALU_DEP_1) | instskip(NEXT) | instid1(VALU_DEP_2)
	v_cmp_le_u32_e64 s3, v20, v64
	v_cmp_le_u32_e64 s4, v21, v65
	s_or_b32 s3, s3, s4
	s_delay_alu instid0(SALU_CYCLE_1)
	s_and_saveexec_b32 s5, s3
	s_cbranch_execz .LBB1235_184
; %bb.165:
	v_cmp_ge_u32_e64 s3, v20, v64
	s_mov_b32 s8, exec_lo
                                        ; implicit-def: $vgpr6_vgpr7
	v_cmpx_lt_u32_e64 v20, v64
; %bb.166:
	v_lshl_add_u32 v6, v20, 3, v2
	ds_load_b64 v[6:7], v6
; %bb.167:
	s_or_b32 exec_lo, exec_lo, s8
	v_cmp_ge_u32_e64 s8, v21, v65
	s_mov_b32 s9, exec_lo
                                        ; implicit-def: $vgpr8_vgpr9
	v_cmpx_lt_u32_e64 v21, v65
; %bb.168:
	v_lshl_add_u32 v8, v21, 3, v2
	ds_load_b64 v[8:9], v8
; %bb.169:
	s_or_b32 exec_lo, exec_lo, s9
	s_nor_b32 s3, s3, s8
	s_delay_alu instid0(SALU_CYCLE_1)
	s_and_saveexec_b32 s4, s3
	s_cbranch_execz .LBB1235_171
; %bb.170:
	s_wait_dscnt 0x0
	v_add_f64_e32 v[12:13], 0, v[6:7]
	v_add_f64_e32 v[14:15], 0, v[8:9]
	s_and_not1_b32 s8, s8, exec_lo
	s_delay_alu instid0(VALU_DEP_1) | instskip(NEXT) | instid1(VALU_DEP_1)
	v_dual_ashrrev_i32 v16, 31, v13 :: v_dual_ashrrev_i32 v17, 31, v15
	v_or_b32_e32 v18, 0x80000000, v16
	s_delay_alu instid0(VALU_DEP_2) | instskip(SKIP_2) | instid1(VALU_DEP_4)
	v_or_b32_e32 v19, 0x80000000, v17
	v_xor_b32_e32 v12, v16, v12
	v_xor_b32_e32 v14, v17, v14
	;; [unrolled: 1-line block ×3, first 2 shown]
	s_delay_alu instid0(VALU_DEP_4) | instskip(NEXT) | instid1(VALU_DEP_1)
	v_xor_b32_e32 v15, v19, v15
	v_cmp_le_u64_e64 s3, v[12:13], v[14:15]
	s_and_b32 s3, s3, exec_lo
	s_delay_alu instid0(SALU_CYCLE_1)
	s_or_b32 s8, s8, s3
.LBB1235_171:
	s_or_b32 exec_lo, exec_lo, s4
	v_cndmask_b32_e64 v12, v21, v20, s8
	v_cndmask_b32_e64 v13, v65, v64, s8
	s_mov_b32 s9, -1
	s_mov_b32 s4, -1
	s_mov_b32 s10, exec_lo
	v_add_nc_u32_e32 v17, 1, v12
	s_delay_alu instid0(VALU_DEP_1) | instskip(NEXT) | instid1(VALU_DEP_1)
	v_add_min_u32_e64 v13, v13, -1, v17
	v_lshl_add_u32 v13, v13, 3, v2
	ds_load_b64 v[14:15], v13
	s_wait_dscnt 0x0
	v_dual_cndmask_b32 v23, v7, v15, s8 :: v_dual_cndmask_b32 v16, v17, v21, s8
	v_cndmask_b32_e64 v17, v20, v17, s8
	v_lshl_add_u32 v12, v12, 3, v2
	v_dual_cndmask_b32 v21, v15, v9, s8 :: v_dual_cndmask_b32 v20, v14, v8, s8
	v_cndmask_b32_e64 v22, v6, v14, s8
	ds_load_b64 v[12:13], v12 offset:8192
	v_cmpx_lt_u32_e64 v16, v65
	s_cbranch_execz .LBB1235_175
; %bb.172:
	s_mov_b32 s11, 0
	s_mov_b32 s4, exec_lo
	v_cmpx_lt_u32_e64 v17, v64
	s_cbranch_execz .LBB1235_174
; %bb.173:
	v_add_f64_e32 v[14:15], 0, v[22:23]
	s_delay_alu instid0(VALU_DEP_1) | instskip(NEXT) | instid1(VALU_DEP_1)
	v_dual_add_f64 v[18:19], 0, v[20:21] :: v_dual_ashrrev_i32 v24, 31, v15
	v_dual_ashrrev_i32 v25, 31, v19 :: v_dual_bitop2_b32 v14, v24, v14 bitop3:0x14
	v_or_b32_e32 v26, 0x80000000, v24
	s_delay_alu instid0(VALU_DEP_2) | instskip(NEXT) | instid1(VALU_DEP_4)
	v_or_b32_e32 v27, 0x80000000, v25
	v_xor_b32_e32 v18, v25, v18
	s_delay_alu instid0(VALU_DEP_3) | instskip(NEXT) | instid1(VALU_DEP_3)
	v_xor_b32_e32 v15, v26, v15
	v_xor_b32_e32 v19, v27, v19
	s_delay_alu instid0(VALU_DEP_1)
	v_cmp_le_u64_e64 s3, v[14:15], v[18:19]
	s_and_b32 s11, s3, exec_lo
.LBB1235_174:
	s_or_b32 exec_lo, exec_lo, s4
	s_delay_alu instid0(SALU_CYCLE_1)
	s_or_not1_b32 s4, s11, exec_lo
.LBB1235_175:
	s_or_b32 exec_lo, exec_lo, s10
	v_dual_cndmask_b32 v14, v16, v17, s4 :: v_dual_cndmask_b32 v15, v65, v64, s4
	s_mov_b32 s10, exec_lo
	s_delay_alu instid0(VALU_DEP_1) | instskip(SKIP_1) | instid1(VALU_DEP_2)
	v_add_nc_u32_e32 v19, 1, v14
	v_lshl_add_u32 v14, v14, 3, v2
	v_add_min_u32_e64 v15, v15, -1, v19
	s_delay_alu instid0(VALU_DEP_1)
	v_lshl_add_u32 v15, v15, 3, v2
	ds_load_b64 v[26:27], v15
	ds_load_b64 v[14:15], v14 offset:8192
	s_wait_dscnt 0x1
	v_cndmask_b32_e64 v25, v27, v21, s4
	v_dual_cndmask_b32 v18, v19, v16, s4 :: v_dual_cndmask_b32 v19, v17, v19, s4
	v_dual_cndmask_b32 v24, v26, v20, s4 :: v_dual_cndmask_b32 v27, v23, v27, s4
	v_cndmask_b32_e64 v26, v22, v26, s4
	s_delay_alu instid0(VALU_DEP_3)
	v_cmpx_lt_u32_e64 v18, v65
	s_cbranch_execz .LBB1235_179
; %bb.176:
	s_mov_b32 s11, 0
	s_mov_b32 s9, exec_lo
	v_cmpx_lt_u32_e64 v19, v64
	s_cbranch_execz .LBB1235_178
; %bb.177:
	v_add_f64_e32 v[28:29], 0, v[24:25]
	s_delay_alu instid0(VALU_DEP_1) | instskip(NEXT) | instid1(VALU_DEP_1)
	v_dual_add_f64 v[16:17], 0, v[26:27] :: v_dual_ashrrev_i32 v31, 31, v29
	v_ashrrev_i32_e32 v30, 31, v17
	s_delay_alu instid0(VALU_DEP_2) | instskip(NEXT) | instid1(VALU_DEP_2)
	v_or_b32_e32 v49, 0x80000000, v31
	v_or_b32_e32 v48, 0x80000000, v30
	v_xor_b32_e32 v28, v31, v28
	s_delay_alu instid0(VALU_DEP_3) | instskip(NEXT) | instid1(VALU_DEP_3)
	v_xor_b32_e32 v29, v49, v29
	v_xor_b32_e32 v17, v48, v17
	;; [unrolled: 1-line block ×3, first 2 shown]
	s_delay_alu instid0(VALU_DEP_1)
	v_cmp_le_u64_e64 s3, v[16:17], v[28:29]
	s_and_b32 s11, s3, exec_lo
.LBB1235_178:
	s_or_b32 exec_lo, exec_lo, s9
	s_delay_alu instid0(SALU_CYCLE_1)
	s_or_not1_b32 s9, s11, exec_lo
.LBB1235_179:
	s_or_b32 exec_lo, exec_lo, s10
	v_dual_cndmask_b32 v16, v18, v19, s9 :: v_dual_cndmask_b32 v17, v65, v64, s9
	s_mov_b32 s11, -1
	s_mov_b32 s10, exec_lo
	s_delay_alu instid0(VALU_DEP_1) | instskip(SKIP_1) | instid1(VALU_DEP_2)
	v_add_nc_u32_e32 v28, 1, v16
	v_lshl_add_u32 v16, v16, 3, v2
	v_add_min_u32_e64 v17, v17, -1, v28
	s_delay_alu instid0(VALU_DEP_1)
	v_lshl_add_u32 v17, v17, 3, v2
	ds_load_b64 v[30:31], v17
	ds_load_b64 v[16:17], v16 offset:8192
	s_wait_dscnt 0x1
	v_dual_cndmask_b32 v29, v31, v25, s9 :: v_dual_cndmask_b32 v18, v28, v18, s9
	v_cndmask_b32_e64 v19, v19, v28, s9
	v_dual_cndmask_b32 v28, v30, v24, s9 :: v_dual_cndmask_b32 v31, v27, v31, s9
	v_cndmask_b32_e64 v30, v26, v30, s9
	s_delay_alu instid0(VALU_DEP_4)
	v_cmpx_lt_u32_e64 v18, v65
	s_cbranch_execz .LBB1235_183
; %bb.180:
	s_mov_b32 s12, 0
	s_mov_b32 s11, exec_lo
	v_cmpx_lt_u32_e64 v19, v64
	s_cbranch_execz .LBB1235_182
; %bb.181:
	v_add_f64_e32 v[48:49], 0, v[30:31]
	v_add_f64_e32 v[50:51], 0, v[28:29]
	s_delay_alu instid0(VALU_DEP_1) | instskip(NEXT) | instid1(VALU_DEP_1)
	v_dual_ashrrev_i32 v64, 31, v49 :: v_dual_ashrrev_i32 v65, 31, v51
	v_or_b32_e32 v66, 0x80000000, v64
	s_delay_alu instid0(VALU_DEP_2) | instskip(SKIP_2) | instid1(VALU_DEP_4)
	v_or_b32_e32 v67, 0x80000000, v65
	v_xor_b32_e32 v48, v64, v48
	v_xor_b32_e32 v50, v65, v50
	;; [unrolled: 1-line block ×3, first 2 shown]
	s_delay_alu instid0(VALU_DEP_4) | instskip(NEXT) | instid1(VALU_DEP_1)
	v_xor_b32_e32 v51, v67, v51
	v_cmp_le_u64_e64 s3, v[48:49], v[50:51]
	s_and_b32 s12, s3, exec_lo
.LBB1235_182:
	s_or_b32 exec_lo, exec_lo, s11
	s_delay_alu instid0(SALU_CYCLE_1)
	s_or_not1_b32 s11, s12, exec_lo
.LBB1235_183:
	s_or_b32 exec_lo, exec_lo, s10
	v_dual_cndmask_b32 v18, v18, v19, s11 :: v_dual_cndmask_b32 v26, v24, v26, s9
	v_dual_cndmask_b32 v27, v25, v27, s9 :: v_dual_cndmask_b32 v48, v20, v22, s4
	v_dual_cndmask_b32 v49, v21, v23, s4 :: v_dual_cndmask_b32 v50, v8, v6, s8
	s_delay_alu instid0(VALU_DEP_3)
	v_lshl_add_u32 v18, v18, 3, v2
	v_dual_cndmask_b32 v51, v9, v7, s8 :: v_dual_cndmask_b32 v8, v28, v30, s11
	v_cndmask_b32_e64 v9, v29, v31, s11
	ds_load_b64 v[18:19], v18 offset:8192
.LBB1235_184:
	s_or_b32 exec_lo, exec_lo, s5
	v_and_b32_e32 v22, 0x60, v55
	s_mov_b32 s4, exec_lo
	; wave barrier
	ds_store_b64 v32, v[50:51]
	ds_store_b64 v39, v[12:13]
	v_or_b32_e32 v6, 16, v22
	ds_store_b64 v33, v[48:49]
	ds_store_b64 v34, v[14:15]
	;; [unrolled: 1-line block ×3, first 2 shown]
	s_wait_dscnt 0x6
	ds_store_b64 v52, v[16:17]
	ds_store_b64 v38, v[8:9]
	s_wait_dscnt 0x7
	ds_store_b64 v53, v[18:19]
	; wave barrier
	v_min_u32_e32 v55, v1, v6
	s_delay_alu instid0(VALU_DEP_1) | instskip(SKIP_1) | instid1(VALU_DEP_2)
	v_add_min_u32_e64 v64, v55, 16, v1
	v_min_u32_e32 v1, v1, v54
	v_dual_sub_nc_u32 v7, v55, v22 :: v_dual_sub_nc_u32 v6, v64, v55
	s_delay_alu instid0(VALU_DEP_1) | instskip(NEXT) | instid1(VALU_DEP_2)
	v_min_u32_e32 v24, v1, v7
	v_sub_nc_u32_e64 v23, v1, v6 clamp
	s_delay_alu instid0(VALU_DEP_1)
	v_cmpx_lt_u32_e64 v23, v24
	s_cbranch_execz .LBB1235_188
; %bb.185:
	v_dual_mov_b32 v21, 0 :: v_dual_lshlrev_b32 v20, 3, v22
	s_mov_b32 s5, 0
	s_delay_alu instid0(VALU_DEP_1) | instskip(SKIP_1) | instid1(VALU_DEP_1)
	v_add_nc_u64_e32 v[6:7], v[2:3], v[20:21]
	v_lshlrev_b32_e32 v20, 3, v55
	v_add_nc_u64_e32 v[20:21], v[2:3], v[20:21]
.LBB1235_186:                           ; =>This Inner Loop Header: Depth=1
	v_add_nc_u32_e32 v3, v24, v23
	s_delay_alu instid0(VALU_DEP_1) | instskip(NEXT) | instid1(VALU_DEP_1)
	v_lshrrev_b32_e32 v3, 1, v3
	v_xad_u32 v7, v3, -1, v1
	v_lshl_add_u32 v21, v3, 3, v6
	s_delay_alu instid0(VALU_DEP_2)
	v_lshl_add_u32 v7, v7, 3, v20
	ds_load_b64 v[28:29], v21
	ds_load_b64 v[30:31], v7
	s_wait_dscnt 0x1
	v_add_f64_e32 v[28:29], 0, v[28:29]
	s_wait_dscnt 0x0
	s_delay_alu instid0(VALU_DEP_1) | instskip(NEXT) | instid1(VALU_DEP_1)
	v_dual_add_f64 v[30:31], 0, v[30:31] :: v_dual_ashrrev_i32 v7, 31, v29
	v_xor_b32_e32 v28, v7, v28
	v_or_b32_e32 v25, 0x80000000, v7
	s_delay_alu instid0(VALU_DEP_1) | instskip(NEXT) | instid1(VALU_DEP_4)
	v_dual_add_nc_u32 v7, 1, v3 :: v_dual_bitop2_b32 v29, v25, v29 bitop3:0x14
	v_ashrrev_i32_e32 v21, 31, v31
	s_delay_alu instid0(VALU_DEP_1) | instskip(SKIP_1) | instid1(VALU_DEP_2)
	v_or_b32_e32 v32, 0x80000000, v21
	v_xor_b32_e32 v30, v21, v30
	v_xor_b32_e32 v31, v32, v31
	s_delay_alu instid0(VALU_DEP_1) | instskip(NEXT) | instid1(VALU_DEP_1)
	v_cmp_gt_u64_e64 s3, v[28:29], v[30:31]
	v_cndmask_b32_e64 v24, v24, v3, s3
	v_cndmask_b32_e64 v23, v7, v23, s3
	s_delay_alu instid0(VALU_DEP_1) | instskip(SKIP_1) | instid1(SALU_CYCLE_1)
	v_cmp_ge_u32_e64 s3, v23, v24
	s_or_b32 s5, s3, s5
	s_and_not1_b32 exec_lo, exec_lo, s5
	s_cbranch_execnz .LBB1235_186
; %bb.187:
	s_or_b32 exec_lo, exec_lo, s5
.LBB1235_188:
	s_delay_alu instid0(SALU_CYCLE_1) | instskip(SKIP_2) | instid1(VALU_DEP_2)
	s_or_b32 exec_lo, exec_lo, s4
	v_add_nc_u32_e32 v3, v55, v1
	v_add_nc_u32_e32 v1, v23, v22
	v_sub_nc_u32_e32 v3, v3, v23
	s_delay_alu instid0(VALU_DEP_2) | instskip(NEXT) | instid1(VALU_DEP_2)
	v_cmp_le_u32_e64 s3, v1, v55
	v_cmp_le_u32_e64 s4, v3, v64
	s_or_b32 s3, s3, s4
	s_delay_alu instid0(SALU_CYCLE_1)
	s_and_saveexec_b32 s5, s3
	s_cbranch_execz .LBB1235_208
; %bb.189:
	v_cmp_ge_u32_e64 s3, v1, v55
	s_mov_b32 s8, exec_lo
                                        ; implicit-def: $vgpr6_vgpr7
	v_cmpx_lt_u32_e64 v1, v55
; %bb.190:
	v_lshl_add_u32 v6, v1, 3, v2
	ds_load_b64 v[6:7], v6
; %bb.191:
	s_or_b32 exec_lo, exec_lo, s8
	v_cmp_ge_u32_e64 s8, v3, v64
	s_mov_b32 s9, exec_lo
                                        ; implicit-def: $vgpr8_vgpr9
	v_cmpx_lt_u32_e64 v3, v64
; %bb.192:
	v_lshl_add_u32 v8, v3, 3, v2
	ds_load_b64 v[8:9], v8
; %bb.193:
	s_or_b32 exec_lo, exec_lo, s9
	s_nor_b32 s3, s3, s8
	s_delay_alu instid0(SALU_CYCLE_1)
	s_and_saveexec_b32 s4, s3
	s_cbranch_execz .LBB1235_195
; %bb.194:
	s_wait_dscnt 0x0
	v_add_f64_e32 v[12:13], 0, v[6:7]
	v_add_f64_e32 v[14:15], 0, v[8:9]
	s_and_not1_b32 s8, s8, exec_lo
	s_delay_alu instid0(VALU_DEP_1) | instskip(NEXT) | instid1(VALU_DEP_1)
	v_dual_ashrrev_i32 v16, 31, v13 :: v_dual_ashrrev_i32 v17, 31, v15
	v_or_b32_e32 v18, 0x80000000, v16
	s_delay_alu instid0(VALU_DEP_2) | instskip(SKIP_2) | instid1(VALU_DEP_4)
	v_or_b32_e32 v19, 0x80000000, v17
	v_xor_b32_e32 v12, v16, v12
	v_xor_b32_e32 v14, v17, v14
	;; [unrolled: 1-line block ×3, first 2 shown]
	s_delay_alu instid0(VALU_DEP_4) | instskip(NEXT) | instid1(VALU_DEP_1)
	v_xor_b32_e32 v15, v19, v15
	v_cmp_le_u64_e64 s3, v[12:13], v[14:15]
	s_and_b32 s3, s3, exec_lo
	s_delay_alu instid0(SALU_CYCLE_1)
	s_or_b32 s8, s8, s3
.LBB1235_195:
	s_or_b32 exec_lo, exec_lo, s4
	v_dual_cndmask_b32 v12, v3, v1, s8 :: v_dual_cndmask_b32 v13, v64, v55, s8
	s_mov_b32 s9, -1
	s_mov_b32 s4, -1
	s_mov_b32 s10, exec_lo
	s_delay_alu instid0(VALU_DEP_1) | instskip(SKIP_1) | instid1(VALU_DEP_2)
	v_add_nc_u32_e32 v16, 1, v12
	v_lshl_add_u32 v12, v12, 3, v2
	v_add_min_u32_e64 v13, v13, -1, v16
	s_delay_alu instid0(VALU_DEP_1)
	v_lshl_add_u32 v13, v13, 3, v2
	ds_load_b64 v[14:15], v13
	ds_load_b64 v[12:13], v12 offset:8192
	s_wait_dscnt 0x1
	v_dual_cndmask_b32 v21, v15, v9, s8 :: v_dual_cndmask_b32 v3, v16, v3, s8
	v_cndmask_b32_e64 v1, v1, v16, s8
	v_dual_cndmask_b32 v20, v14, v8, s8 :: v_dual_cndmask_b32 v23, v7, v15, s8
	v_cndmask_b32_e64 v22, v6, v14, s8
	s_delay_alu instid0(VALU_DEP_4)
	v_cmpx_lt_u32_e64 v3, v64
	s_cbranch_execz .LBB1235_199
; %bb.196:
	s_mov_b32 s11, 0
	s_mov_b32 s4, exec_lo
	v_cmpx_lt_u32_e64 v1, v55
	s_cbranch_execz .LBB1235_198
; %bb.197:
	v_add_f64_e32 v[16:17], 0, v[20:21]
	s_delay_alu instid0(VALU_DEP_1) | instskip(NEXT) | instid1(VALU_DEP_1)
	v_dual_add_f64 v[14:15], 0, v[22:23] :: v_dual_ashrrev_i32 v19, 31, v17
	v_ashrrev_i32_e32 v18, 31, v15
	s_delay_alu instid0(VALU_DEP_2) | instskip(NEXT) | instid1(VALU_DEP_2)
	v_or_b32_e32 v25, 0x80000000, v19
	v_or_b32_e32 v24, 0x80000000, v18
	s_delay_alu instid0(VALU_DEP_4) | instskip(SKIP_1) | instid1(VALU_DEP_4)
	v_xor_b32_e32 v14, v18, v14
	v_xor_b32_e32 v16, v19, v16
	;; [unrolled: 1-line block ×3, first 2 shown]
	s_delay_alu instid0(VALU_DEP_4) | instskip(NEXT) | instid1(VALU_DEP_1)
	v_xor_b32_e32 v15, v24, v15
	v_cmp_le_u64_e64 s3, v[14:15], v[16:17]
	s_and_b32 s11, s3, exec_lo
.LBB1235_198:
	s_or_b32 exec_lo, exec_lo, s4
	s_delay_alu instid0(SALU_CYCLE_1)
	s_or_not1_b32 s4, s11, exec_lo
.LBB1235_199:
	s_or_b32 exec_lo, exec_lo, s10
	v_dual_cndmask_b32 v14, v3, v1, s4 :: v_dual_cndmask_b32 v15, v64, v55, s4
	s_mov_b32 s10, exec_lo
	s_delay_alu instid0(VALU_DEP_1) | instskip(SKIP_1) | instid1(VALU_DEP_2)
	v_add_nc_u32_e32 v18, 1, v14
	v_lshl_add_u32 v14, v14, 3, v2
	v_add_min_u32_e64 v15, v15, -1, v18
	s_delay_alu instid0(VALU_DEP_1)
	v_lshl_add_u32 v15, v15, 3, v2
	ds_load_b64 v[16:17], v15
	ds_load_b64 v[14:15], v14 offset:8192
	s_wait_dscnt 0x1
	v_dual_cndmask_b32 v25, v17, v21, s4 :: v_dual_cndmask_b32 v3, v18, v3, s4
	v_dual_cndmask_b32 v1, v1, v18, s4 :: v_dual_cndmask_b32 v24, v16, v20, s4
	;; [unrolled: 1-line block ×3, first 2 shown]
	s_delay_alu instid0(VALU_DEP_3)
	v_cmpx_lt_u32_e64 v3, v64
	s_cbranch_execz .LBB1235_203
; %bb.200:
	s_mov_b32 s11, 0
	s_mov_b32 s9, exec_lo
	v_cmpx_lt_u32_e64 v1, v55
	s_cbranch_execz .LBB1235_202
; %bb.201:
	v_add_f64_e32 v[16:17], 0, v[26:27]
	v_add_f64_e32 v[18:19], 0, v[24:25]
	s_delay_alu instid0(VALU_DEP_1) | instskip(NEXT) | instid1(VALU_DEP_1)
	v_dual_ashrrev_i32 v28, 31, v17 :: v_dual_ashrrev_i32 v29, 31, v19
	v_or_b32_e32 v30, 0x80000000, v28
	s_delay_alu instid0(VALU_DEP_2) | instskip(SKIP_2) | instid1(VALU_DEP_4)
	v_or_b32_e32 v31, 0x80000000, v29
	v_xor_b32_e32 v16, v28, v16
	v_xor_b32_e32 v18, v29, v18
	;; [unrolled: 1-line block ×3, first 2 shown]
	s_delay_alu instid0(VALU_DEP_4) | instskip(NEXT) | instid1(VALU_DEP_1)
	v_xor_b32_e32 v19, v31, v19
	v_cmp_le_u64_e64 s3, v[16:17], v[18:19]
	s_and_b32 s11, s3, exec_lo
.LBB1235_202:
	s_or_b32 exec_lo, exec_lo, s9
	s_delay_alu instid0(SALU_CYCLE_1)
	s_or_not1_b32 s9, s11, exec_lo
.LBB1235_203:
	s_or_b32 exec_lo, exec_lo, s10
	v_dual_cndmask_b32 v16, v3, v1, s9 :: v_dual_cndmask_b32 v17, v64, v55, s9
	s_mov_b32 s11, -1
	s_mov_b32 s10, exec_lo
	s_delay_alu instid0(VALU_DEP_1) | instskip(SKIP_1) | instid1(VALU_DEP_2)
	v_add_nc_u32_e32 v28, 1, v16
	v_lshl_add_u32 v16, v16, 3, v2
	v_add_min_u32_e64 v17, v17, -1, v28
	s_delay_alu instid0(VALU_DEP_1)
	v_lshl_add_u32 v17, v17, 3, v2
	ds_load_b64 v[18:19], v17
	ds_load_b64 v[16:17], v16 offset:8192
	s_wait_dscnt 0x1
	v_dual_cndmask_b32 v29, v19, v25, s9 :: v_dual_cndmask_b32 v3, v28, v3, s9
	v_cndmask_b32_e64 v1, v1, v28, s9
	v_dual_cndmask_b32 v28, v18, v24, s9 :: v_dual_cndmask_b32 v31, v27, v19, s9
	v_cndmask_b32_e64 v30, v26, v18, s9
	s_delay_alu instid0(VALU_DEP_4)
	v_cmpx_lt_u32_e64 v3, v64
	s_cbranch_execz .LBB1235_207
; %bb.204:
	s_mov_b32 s12, 0
	s_mov_b32 s11, exec_lo
	v_cmpx_lt_u32_e64 v1, v55
	s_cbranch_execz .LBB1235_206
; %bb.205:
	v_add_f64_e32 v[32:33], 0, v[28:29]
	s_delay_alu instid0(VALU_DEP_1) | instskip(NEXT) | instid1(VALU_DEP_1)
	v_dual_add_f64 v[18:19], 0, v[30:31] :: v_dual_ashrrev_i32 v35, 31, v33
	v_ashrrev_i32_e32 v34, 31, v19
	s_delay_alu instid0(VALU_DEP_2) | instskip(NEXT) | instid1(VALU_DEP_2)
	v_or_b32_e32 v39, 0x80000000, v35
	v_or_b32_e32 v38, 0x80000000, v34
	s_delay_alu instid0(VALU_DEP_4) | instskip(SKIP_1) | instid1(VALU_DEP_4)
	v_xor_b32_e32 v18, v34, v18
	v_xor_b32_e32 v32, v35, v32
	;; [unrolled: 1-line block ×3, first 2 shown]
	s_delay_alu instid0(VALU_DEP_4) | instskip(NEXT) | instid1(VALU_DEP_1)
	v_xor_b32_e32 v19, v38, v19
	v_cmp_le_u64_e64 s3, v[18:19], v[32:33]
	s_and_b32 s12, s3, exec_lo
.LBB1235_206:
	s_or_b32 exec_lo, exec_lo, s11
	s_delay_alu instid0(SALU_CYCLE_1)
	s_or_not1_b32 s11, s12, exec_lo
.LBB1235_207:
	s_or_b32 exec_lo, exec_lo, s10
	v_dual_cndmask_b32 v1, v3, v1, s11 :: v_dual_cndmask_b32 v27, v25, v27, s9
	v_dual_cndmask_b32 v26, v24, v26, s9 :: v_dual_cndmask_b32 v49, v21, v23, s4
	v_dual_cndmask_b32 v48, v20, v22, s4 :: v_dual_cndmask_b32 v51, v9, v7, s8
	s_delay_alu instid0(VALU_DEP_3)
	v_lshl_add_u32 v1, v1, 3, v2
	v_dual_cndmask_b32 v50, v8, v6, s8 :: v_dual_cndmask_b32 v9, v29, v31, s11
	v_cndmask_b32_e64 v8, v28, v30, s11
	ds_load_b64 v[18:19], v1 offset:8192
.LBB1235_208:
	s_or_b32 exec_lo, exec_lo, s5
	v_lshl_add_u64 v[2:3], v[36:37], 3, v[4:5]
	v_mov_b32_e32 v1, 0
	; wave barrier
	s_wait_storecnt_dscnt 0x0
	s_barrier_signal -1
	s_delay_alu instid0(VALU_DEP_1)
	v_add_nc_u64_e32 v[2:3], v[2:3], v[0:1]
	s_barrier_wait -1
	; wave barrier
	s_and_saveexec_b32 s3, vcc_lo
	s_cbranch_execnz .LBB1235_230
; %bb.209:
	s_or_b32 exec_lo, exec_lo, s3
	s_and_saveexec_b32 s3, s0
	s_cbranch_execnz .LBB1235_231
.LBB1235_210:
	s_or_b32 exec_lo, exec_lo, s3
	s_and_saveexec_b32 s3, s2
	s_cbranch_execnz .LBB1235_232
.LBB1235_211:
	s_or_b32 exec_lo, exec_lo, s3
	s_and_saveexec_b32 s3, s1
	s_cbranch_execz .LBB1235_213
.LBB1235_212:
	flat_store_b64 v[2:3], v[8:9] offset:24
.LBB1235_213:
	s_wait_xcnt 0x0
	s_or_b32 exec_lo, exec_lo, s3
	v_lshl_add_u64 v[2:3], v[36:37], 3, v[10:11]
	v_mov_b32_e32 v1, 0
	; wave barrier
	s_delay_alu instid0(VALU_DEP_1)
	v_add_nc_u64_e32 v[2:3], v[2:3], v[0:1]
	s_and_saveexec_b32 s3, vcc_lo
	s_cbranch_execnz .LBB1235_233
; %bb.214:
	s_or_b32 exec_lo, exec_lo, s3
	s_and_saveexec_b32 s3, s0
	s_cbranch_execnz .LBB1235_234
.LBB1235_215:
	s_or_b32 exec_lo, exec_lo, s3
	s_and_saveexec_b32 s0, s2
	s_cbranch_execz .LBB1235_217
.LBB1235_216:
	flat_store_b64 v[2:3], v[16:17] offset:16
.LBB1235_217:
	s_wait_xcnt 0x0
	s_or_b32 exec_lo, exec_lo, s0
	v_mov_b64_e32 v[8:9], v[10:11]
	s_and_not1_b32 s0, s6, exec_lo
	s_and_b32 s1, s1, exec_lo
	s_delay_alu instid0(SALU_CYCLE_1)
	s_or_b32 s6, s0, s1
	s_or_b32 exec_lo, exec_lo, s7
	s_and_saveexec_b32 s0, s6
	s_cbranch_execz .LBB1235_3
.LBB1235_218:
	v_lshl_add_u64 v[2:3], v[36:37], 3, v[8:9]
	v_mov_b32_e32 v1, 0
	s_delay_alu instid0(VALU_DEP_1)
	v_add_nc_u64_e32 v[0:1], v[2:3], v[0:1]
	flat_store_b64 v[0:1], v[18:19] offset:24
	s_wait_xcnt 0x0
	s_or_b32 exec_lo, exec_lo, s0
	s_wait_dscnt 0x0
	s_set_pc_i64 s[30:31]
.LBB1235_219:
	flat_load_b64 v[12:13], v[4:5]
	v_dual_mov_b32 v14, v1 :: v_dual_mov_b32 v15, v1
	v_dual_mov_b32 v16, v1 :: v_dual_mov_b32 v17, v1
	;; [unrolled: 1-line block ×3, first 2 shown]
	s_wait_xcnt 0x0
	s_or_b32 exec_lo, exec_lo, s3
	s_and_saveexec_b32 s3, s0
	s_cbranch_execz .LBB1235_14
.LBB1235_220:
	flat_load_b64 v[14:15], v[4:5] offset:8
	s_wait_xcnt 0x0
	s_or_b32 exec_lo, exec_lo, s3
	s_and_saveexec_b32 s3, s1
	s_cbranch_execz .LBB1235_15
.LBB1235_221:
	flat_load_b64 v[16:17], v[4:5] offset:16
	s_wait_xcnt 0x0
	s_or_b32 exec_lo, exec_lo, s3
	s_and_saveexec_b32 s3, s2
	s_cbranch_execnz .LBB1235_16
	s_branch .LBB1235_17
.LBB1235_222:
	flat_store_b64 v[2:3], v[34:35]
	s_wait_xcnt 0x0
	s_or_b32 exec_lo, exec_lo, s3
	s_and_saveexec_b32 s3, s0
	s_cbranch_execz .LBB1235_103
.LBB1235_223:
	flat_store_b64 v[2:3], v[32:33] offset:8
	s_wait_xcnt 0x0
	s_or_b32 exec_lo, exec_lo, s3
	s_and_saveexec_b32 s3, s1
	s_cbranch_execz .LBB1235_104
.LBB1235_224:
	flat_store_b64 v[2:3], v[10:11] offset:16
	s_wait_xcnt 0x0
	s_or_b32 exec_lo, exec_lo, s3
	s_and_saveexec_b32 s3, s2
	s_cbranch_execnz .LBB1235_105
	s_branch .LBB1235_106
.LBB1235_225:
	flat_store_b64 v[2:3], v[12:13]
	s_wait_xcnt 0x0
	s_or_b32 exec_lo, exec_lo, s3
	s_and_saveexec_b32 s3, s0
	s_cbranch_execz .LBB1235_108
.LBB1235_226:
	flat_store_b64 v[2:3], v[14:15] offset:8
	s_wait_xcnt 0x0
	s_or_b32 exec_lo, exec_lo, s3
	s_and_saveexec_b32 s0, s1
	s_cbranch_execnz .LBB1235_109
	s_branch .LBB1235_110
.LBB1235_227:
	flat_load_b64 v[12:13], v[2:3]
	v_dual_mov_b32 v14, v1 :: v_dual_mov_b32 v15, v1
	v_dual_mov_b32 v16, v1 :: v_dual_mov_b32 v17, v1
	v_dual_mov_b32 v18, v1 :: v_dual_mov_b32 v19, v1
	s_wait_xcnt 0x0
	s_or_b32 exec_lo, exec_lo, s3
	s_and_saveexec_b32 s3, s0
	s_cbranch_execz .LBB1235_121
.LBB1235_228:
	flat_load_b64 v[14:15], v[2:3] offset:8
	s_wait_xcnt 0x0
	s_or_b32 exec_lo, exec_lo, s3
	s_and_saveexec_b32 s3, s2
	s_cbranch_execz .LBB1235_122
.LBB1235_229:
	flat_load_b64 v[16:17], v[2:3] offset:16
	s_wait_xcnt 0x0
	s_or_b32 exec_lo, exec_lo, s3
	s_and_saveexec_b32 s3, s1
	s_cbranch_execnz .LBB1235_123
	s_branch .LBB1235_124
.LBB1235_230:
	flat_store_b64 v[2:3], v[50:51]
	s_wait_xcnt 0x0
	s_or_b32 exec_lo, exec_lo, s3
	s_and_saveexec_b32 s3, s0
	s_cbranch_execz .LBB1235_210
.LBB1235_231:
	flat_store_b64 v[2:3], v[48:49] offset:8
	s_wait_xcnt 0x0
	s_or_b32 exec_lo, exec_lo, s3
	s_and_saveexec_b32 s3, s2
	s_cbranch_execz .LBB1235_211
.LBB1235_232:
	flat_store_b64 v[2:3], v[26:27] offset:16
	s_wait_xcnt 0x0
	s_or_b32 exec_lo, exec_lo, s3
	s_and_saveexec_b32 s3, s1
	s_cbranch_execnz .LBB1235_212
	s_branch .LBB1235_213
.LBB1235_233:
	flat_store_b64 v[2:3], v[12:13]
	s_wait_xcnt 0x0
	s_or_b32 exec_lo, exec_lo, s3
	s_and_saveexec_b32 s3, s0
	s_cbranch_execz .LBB1235_215
.LBB1235_234:
	flat_store_b64 v[2:3], v[14:15] offset:8
	s_wait_xcnt 0x0
	s_or_b32 exec_lo, exec_lo, s3
	s_and_saveexec_b32 s0, s2
	s_cbranch_execnz .LBB1235_216
	s_branch .LBB1235_217
.Lfunc_end1235:
	.size	_ZN7rocprim17ROCPRIM_400000_NS6detail26segmented_warp_sort_helperINS1_20WarpSortHelperConfigILj8ELj4ELj256EEEdlLi256ELb0EvE4sortIPKdPdPKlPlEEvT_S9_T0_T1_SC_T2_bjjjjRNS5_12storage_typeE, .Lfunc_end1235-_ZN7rocprim17ROCPRIM_400000_NS6detail26segmented_warp_sort_helperINS1_20WarpSortHelperConfigILj8ELj4ELj256EEEdlLi256ELb0EvE4sortIPKdPdPKlPlEEvT_S9_T0_T1_SC_T2_bjjjjRNS5_12storage_typeE
                                        ; -- End function
	.set .L_ZN7rocprim17ROCPRIM_400000_NS6detail26segmented_warp_sort_helperINS1_20WarpSortHelperConfigILj8ELj4ELj256EEEdlLi256ELb0EvE4sortIPKdPdPKlPlEEvT_S9_T0_T1_SC_T2_bjjjjRNS5_12storage_typeE.num_vgpr, 69
	.set .L_ZN7rocprim17ROCPRIM_400000_NS6detail26segmented_warp_sort_helperINS1_20WarpSortHelperConfigILj8ELj4ELj256EEEdlLi256ELb0EvE4sortIPKdPdPKlPlEEvT_S9_T0_T1_SC_T2_bjjjjRNS5_12storage_typeE.num_agpr, 0
	.set .L_ZN7rocprim17ROCPRIM_400000_NS6detail26segmented_warp_sort_helperINS1_20WarpSortHelperConfigILj8ELj4ELj256EEEdlLi256ELb0EvE4sortIPKdPdPKlPlEEvT_S9_T0_T1_SC_T2_bjjjjRNS5_12storage_typeE.numbered_sgpr, 32
	.set .L_ZN7rocprim17ROCPRIM_400000_NS6detail26segmented_warp_sort_helperINS1_20WarpSortHelperConfigILj8ELj4ELj256EEEdlLi256ELb0EvE4sortIPKdPdPKlPlEEvT_S9_T0_T1_SC_T2_bjjjjRNS5_12storage_typeE.num_named_barrier, 0
	.set .L_ZN7rocprim17ROCPRIM_400000_NS6detail26segmented_warp_sort_helperINS1_20WarpSortHelperConfigILj8ELj4ELj256EEEdlLi256ELb0EvE4sortIPKdPdPKlPlEEvT_S9_T0_T1_SC_T2_bjjjjRNS5_12storage_typeE.private_seg_size, 0
	.set .L_ZN7rocprim17ROCPRIM_400000_NS6detail26segmented_warp_sort_helperINS1_20WarpSortHelperConfigILj8ELj4ELj256EEEdlLi256ELb0EvE4sortIPKdPdPKlPlEEvT_S9_T0_T1_SC_T2_bjjjjRNS5_12storage_typeE.uses_vcc, 1
	.set .L_ZN7rocprim17ROCPRIM_400000_NS6detail26segmented_warp_sort_helperINS1_20WarpSortHelperConfigILj8ELj4ELj256EEEdlLi256ELb0EvE4sortIPKdPdPKlPlEEvT_S9_T0_T1_SC_T2_bjjjjRNS5_12storage_typeE.uses_flat_scratch, 0
	.set .L_ZN7rocprim17ROCPRIM_400000_NS6detail26segmented_warp_sort_helperINS1_20WarpSortHelperConfigILj8ELj4ELj256EEEdlLi256ELb0EvE4sortIPKdPdPKlPlEEvT_S9_T0_T1_SC_T2_bjjjjRNS5_12storage_typeE.has_dyn_sized_stack, 0
	.set .L_ZN7rocprim17ROCPRIM_400000_NS6detail26segmented_warp_sort_helperINS1_20WarpSortHelperConfigILj8ELj4ELj256EEEdlLi256ELb0EvE4sortIPKdPdPKlPlEEvT_S9_T0_T1_SC_T2_bjjjjRNS5_12storage_typeE.has_recursion, 0
	.set .L_ZN7rocprim17ROCPRIM_400000_NS6detail26segmented_warp_sort_helperINS1_20WarpSortHelperConfigILj8ELj4ELj256EEEdlLi256ELb0EvE4sortIPKdPdPKlPlEEvT_S9_T0_T1_SC_T2_bjjjjRNS5_12storage_typeE.has_indirect_call, 0
	.section	.AMDGPU.csdata,"",@progbits
; Function info:
; codeLenInByte = 12428
; TotalNumSgprs: 34
; NumVgprs: 69
; ScratchSize: 0
; MemoryBound: 1
	.section	.text._ZN7rocprim17ROCPRIM_400000_NS6detail17trampoline_kernelINS0_14default_configENS1_36segmented_radix_sort_config_selectorIdlEEZNS1_25segmented_radix_sort_implIS3_Lb0EPKdPdPKlPlN2at6native12_GLOBAL__N_18offset_tEEE10hipError_tPvRmT1_PNSt15iterator_traitsISK_E10value_typeET2_T3_PNSL_ISQ_E10value_typeET4_jRbjT5_SW_jjP12ihipStream_tbEUlT_E1_NS1_11comp_targetILNS1_3genE0ELNS1_11target_archE4294967295ELNS1_3gpuE0ELNS1_3repE0EEENS1_59segmented_radix_sort_warp_sort_small_config_static_selectorELNS0_4arch9wavefront6targetE0EEEvSK_,"axG",@progbits,_ZN7rocprim17ROCPRIM_400000_NS6detail17trampoline_kernelINS0_14default_configENS1_36segmented_radix_sort_config_selectorIdlEEZNS1_25segmented_radix_sort_implIS3_Lb0EPKdPdPKlPlN2at6native12_GLOBAL__N_18offset_tEEE10hipError_tPvRmT1_PNSt15iterator_traitsISK_E10value_typeET2_T3_PNSL_ISQ_E10value_typeET4_jRbjT5_SW_jjP12ihipStream_tbEUlT_E1_NS1_11comp_targetILNS1_3genE0ELNS1_11target_archE4294967295ELNS1_3gpuE0ELNS1_3repE0EEENS1_59segmented_radix_sort_warp_sort_small_config_static_selectorELNS0_4arch9wavefront6targetE0EEEvSK_,comdat
	.globl	_ZN7rocprim17ROCPRIM_400000_NS6detail17trampoline_kernelINS0_14default_configENS1_36segmented_radix_sort_config_selectorIdlEEZNS1_25segmented_radix_sort_implIS3_Lb0EPKdPdPKlPlN2at6native12_GLOBAL__N_18offset_tEEE10hipError_tPvRmT1_PNSt15iterator_traitsISK_E10value_typeET2_T3_PNSL_ISQ_E10value_typeET4_jRbjT5_SW_jjP12ihipStream_tbEUlT_E1_NS1_11comp_targetILNS1_3genE0ELNS1_11target_archE4294967295ELNS1_3gpuE0ELNS1_3repE0EEENS1_59segmented_radix_sort_warp_sort_small_config_static_selectorELNS0_4arch9wavefront6targetE0EEEvSK_ ; -- Begin function _ZN7rocprim17ROCPRIM_400000_NS6detail17trampoline_kernelINS0_14default_configENS1_36segmented_radix_sort_config_selectorIdlEEZNS1_25segmented_radix_sort_implIS3_Lb0EPKdPdPKlPlN2at6native12_GLOBAL__N_18offset_tEEE10hipError_tPvRmT1_PNSt15iterator_traitsISK_E10value_typeET2_T3_PNSL_ISQ_E10value_typeET4_jRbjT5_SW_jjP12ihipStream_tbEUlT_E1_NS1_11comp_targetILNS1_3genE0ELNS1_11target_archE4294967295ELNS1_3gpuE0ELNS1_3repE0EEENS1_59segmented_radix_sort_warp_sort_small_config_static_selectorELNS0_4arch9wavefront6targetE0EEEvSK_
	.p2align	8
	.type	_ZN7rocprim17ROCPRIM_400000_NS6detail17trampoline_kernelINS0_14default_configENS1_36segmented_radix_sort_config_selectorIdlEEZNS1_25segmented_radix_sort_implIS3_Lb0EPKdPdPKlPlN2at6native12_GLOBAL__N_18offset_tEEE10hipError_tPvRmT1_PNSt15iterator_traitsISK_E10value_typeET2_T3_PNSL_ISQ_E10value_typeET4_jRbjT5_SW_jjP12ihipStream_tbEUlT_E1_NS1_11comp_targetILNS1_3genE0ELNS1_11target_archE4294967295ELNS1_3gpuE0ELNS1_3repE0EEENS1_59segmented_radix_sort_warp_sort_small_config_static_selectorELNS0_4arch9wavefront6targetE0EEEvSK_,@function
_ZN7rocprim17ROCPRIM_400000_NS6detail17trampoline_kernelINS0_14default_configENS1_36segmented_radix_sort_config_selectorIdlEEZNS1_25segmented_radix_sort_implIS3_Lb0EPKdPdPKlPlN2at6native12_GLOBAL__N_18offset_tEEE10hipError_tPvRmT1_PNSt15iterator_traitsISK_E10value_typeET2_T3_PNSL_ISQ_E10value_typeET4_jRbjT5_SW_jjP12ihipStream_tbEUlT_E1_NS1_11comp_targetILNS1_3genE0ELNS1_11target_archE4294967295ELNS1_3gpuE0ELNS1_3repE0EEENS1_59segmented_radix_sort_warp_sort_small_config_static_selectorELNS0_4arch9wavefront6targetE0EEEvSK_: ; @_ZN7rocprim17ROCPRIM_400000_NS6detail17trampoline_kernelINS0_14default_configENS1_36segmented_radix_sort_config_selectorIdlEEZNS1_25segmented_radix_sort_implIS3_Lb0EPKdPdPKlPlN2at6native12_GLOBAL__N_18offset_tEEE10hipError_tPvRmT1_PNSt15iterator_traitsISK_E10value_typeET2_T3_PNSL_ISQ_E10value_typeET4_jRbjT5_SW_jjP12ihipStream_tbEUlT_E1_NS1_11comp_targetILNS1_3genE0ELNS1_11target_archE4294967295ELNS1_3gpuE0ELNS1_3repE0EEENS1_59segmented_radix_sort_warp_sort_small_config_static_selectorELNS0_4arch9wavefront6targetE0EEEvSK_
; %bb.0:
	s_load_b32 s4, s[2:3], 0x64
	v_bfe_u32 v1, v0, 10, 10
	v_bfe_u32 v2, v0, 20, 10
	v_and_b32_e32 v3, 0x3ff, v0
	s_and_b32 s6, ttmp6, 15
	s_getreg_b32 s7, hwreg(HW_REG_IB_STS2, 6, 4)
	s_mov_b32 s32, 0
	s_wait_kmcnt 0x0
	s_lshr_b32 s5, s4, 16
	s_and_b32 s4, s4, 0xffff
	v_mad_u32_u24 v1, v2, s5, v1
	s_bfe_u32 s5, ttmp6, 0x4000c
	s_delay_alu instid0(SALU_CYCLE_1) | instskip(NEXT) | instid1(SALU_CYCLE_1)
	s_add_co_i32 s5, s5, 1
	s_mul_i32 s5, ttmp9, s5
	s_delay_alu instid0(VALU_DEP_1) | instskip(SKIP_4) | instid1(VALU_DEP_1)
	v_mad_u32 v1, v1, s4, v3
	s_load_b32 s4, s[2:3], 0x34
	s_add_co_i32 s6, s6, s5
	s_cmp_eq_u32 s7, 0
	s_cselect_b32 s5, ttmp9, s6
	v_lshrrev_b32_e32 v1, 3, v1
	s_delay_alu instid0(VALU_DEP_1) | instskip(SKIP_1) | instid1(VALU_DEP_1)
	v_lshl_add_u32 v2, s5, 5, v1
	s_wait_kmcnt 0x0
	v_cmp_gt_u32_e32 vcc_lo, s4, v2
	s_and_saveexec_b32 s4, vcc_lo
	s_cbranch_execz .LBB1236_3
; %bb.1:
	s_clause 0x1
	s_load_b64 s[8:9], s[2:3], 0x38
	s_load_b128 s[4:7], s[2:3], 0x40
	v_mov_b32_e32 v3, 0
	s_delay_alu instid0(VALU_DEP_1) | instskip(SKIP_1) | instid1(VALU_DEP_1)
	v_lshlrev_b64_e32 v[2:3], 2, v[2:3]
	s_wait_kmcnt 0x0
	v_sub_nc_u64_e32 v[2:3], s[8:9], v[2:3]
	global_load_b32 v1, v[2:3], off offset:-4
	s_wait_loadcnt 0x0
	v_dual_add_nc_u32 v2, s5, v1 :: v_dual_add_nc_u32 v1, s7, v1
	s_delay_alu instid0(VALU_DEP_1) | instskip(NEXT) | instid1(VALU_DEP_2)
	v_mul_lo_u32 v13, v2, s4
	v_mul_lo_u32 v14, v1, s6
	s_delay_alu instid0(VALU_DEP_1)
	v_cmp_gt_u32_e32 vcc_lo, v14, v13
	s_and_b32 exec_lo, exec_lo, vcc_lo
	s_cbranch_execz .LBB1236_3
; %bb.2:
	s_mov_b64 s[10:11], src_shared_base
	s_clause 0x2
	s_load_b32 s10, s[2:3], 0x30
	s_load_b256 s[12:19], s[2:3], 0x0
	s_load_b128 s[4:7], s[2:3], 0x20
	v_dual_mov_b32 v31, v0 :: v_dual_mov_b32 v15, 0
	v_mov_b32_e32 v16, s11
	s_add_nc_u64 s[8:9], s[2:3], 0x58
	s_wait_xcnt 0x0
	s_get_pc_i64 s[2:3]
	s_add_nc_u64 s[2:3], s[2:3], _ZN7rocprim17ROCPRIM_400000_NS6detail26segmented_warp_sort_helperINS1_20WarpSortHelperConfigILj8ELj4ELj256EEEdlLi256ELb0EvE4sortIPKdPdPKlPlEEvT_S9_T0_T1_SC_T2_bjjjjRNS5_12storage_typeE@rel64+4
	s_wait_kmcnt 0x0
	s_and_b32 s10, s10, 0xff
	v_dual_mov_b32 v0, s12 :: v_dual_mov_b32 v1, s13
	v_dual_mov_b32 v2, s14 :: v_dual_mov_b32 v3, s15
	;; [unrolled: 1-line block ×6, first 2 shown]
	v_mov_b32_e32 v12, s10
	s_mov_b64 s[6:7], s[0:1]
	s_swap_pc_i64 s[30:31], s[2:3]
.LBB1236_3:
	s_endpgm
	.section	.rodata,"a",@progbits
	.p2align	6, 0x0
	.amdhsa_kernel _ZN7rocprim17ROCPRIM_400000_NS6detail17trampoline_kernelINS0_14default_configENS1_36segmented_radix_sort_config_selectorIdlEEZNS1_25segmented_radix_sort_implIS3_Lb0EPKdPdPKlPlN2at6native12_GLOBAL__N_18offset_tEEE10hipError_tPvRmT1_PNSt15iterator_traitsISK_E10value_typeET2_T3_PNSL_ISQ_E10value_typeET4_jRbjT5_SW_jjP12ihipStream_tbEUlT_E1_NS1_11comp_targetILNS1_3genE0ELNS1_11target_archE4294967295ELNS1_3gpuE0ELNS1_3repE0EEENS1_59segmented_radix_sort_warp_sort_small_config_static_selectorELNS0_4arch9wavefront6targetE0EEEvSK_
		.amdhsa_group_segment_fixed_size 16384
		.amdhsa_private_segment_fixed_size 0
		.amdhsa_kernarg_size 344
		.amdhsa_user_sgpr_count 4
		.amdhsa_user_sgpr_dispatch_ptr 0
		.amdhsa_user_sgpr_queue_ptr 1
		.amdhsa_user_sgpr_kernarg_segment_ptr 1
		.amdhsa_user_sgpr_dispatch_id 0
		.amdhsa_user_sgpr_kernarg_preload_length 0
		.amdhsa_user_sgpr_kernarg_preload_offset 0
		.amdhsa_user_sgpr_private_segment_size 0
		.amdhsa_wavefront_size32 1
		.amdhsa_uses_dynamic_stack 0
		.amdhsa_enable_private_segment 0
		.amdhsa_system_sgpr_workgroup_id_x 1
		.amdhsa_system_sgpr_workgroup_id_y 1
		.amdhsa_system_sgpr_workgroup_id_z 0
		.amdhsa_system_sgpr_workgroup_info 0
		.amdhsa_system_vgpr_workitem_id 2
		.amdhsa_next_free_vgpr 69
		.amdhsa_next_free_sgpr 33
		.amdhsa_named_barrier_count 0
		.amdhsa_reserve_vcc 1
		.amdhsa_float_round_mode_32 0
		.amdhsa_float_round_mode_16_64 0
		.amdhsa_float_denorm_mode_32 3
		.amdhsa_float_denorm_mode_16_64 3
		.amdhsa_fp16_overflow 0
		.amdhsa_memory_ordered 1
		.amdhsa_forward_progress 1
		.amdhsa_inst_pref_size 4
		.amdhsa_round_robin_scheduling 0
		.amdhsa_exception_fp_ieee_invalid_op 0
		.amdhsa_exception_fp_denorm_src 0
		.amdhsa_exception_fp_ieee_div_zero 0
		.amdhsa_exception_fp_ieee_overflow 0
		.amdhsa_exception_fp_ieee_underflow 0
		.amdhsa_exception_fp_ieee_inexact 0
		.amdhsa_exception_int_div_zero 0
	.end_amdhsa_kernel
	.section	.text._ZN7rocprim17ROCPRIM_400000_NS6detail17trampoline_kernelINS0_14default_configENS1_36segmented_radix_sort_config_selectorIdlEEZNS1_25segmented_radix_sort_implIS3_Lb0EPKdPdPKlPlN2at6native12_GLOBAL__N_18offset_tEEE10hipError_tPvRmT1_PNSt15iterator_traitsISK_E10value_typeET2_T3_PNSL_ISQ_E10value_typeET4_jRbjT5_SW_jjP12ihipStream_tbEUlT_E1_NS1_11comp_targetILNS1_3genE0ELNS1_11target_archE4294967295ELNS1_3gpuE0ELNS1_3repE0EEENS1_59segmented_radix_sort_warp_sort_small_config_static_selectorELNS0_4arch9wavefront6targetE0EEEvSK_,"axG",@progbits,_ZN7rocprim17ROCPRIM_400000_NS6detail17trampoline_kernelINS0_14default_configENS1_36segmented_radix_sort_config_selectorIdlEEZNS1_25segmented_radix_sort_implIS3_Lb0EPKdPdPKlPlN2at6native12_GLOBAL__N_18offset_tEEE10hipError_tPvRmT1_PNSt15iterator_traitsISK_E10value_typeET2_T3_PNSL_ISQ_E10value_typeET4_jRbjT5_SW_jjP12ihipStream_tbEUlT_E1_NS1_11comp_targetILNS1_3genE0ELNS1_11target_archE4294967295ELNS1_3gpuE0ELNS1_3repE0EEENS1_59segmented_radix_sort_warp_sort_small_config_static_selectorELNS0_4arch9wavefront6targetE0EEEvSK_,comdat
.Lfunc_end1236:
	.size	_ZN7rocprim17ROCPRIM_400000_NS6detail17trampoline_kernelINS0_14default_configENS1_36segmented_radix_sort_config_selectorIdlEEZNS1_25segmented_radix_sort_implIS3_Lb0EPKdPdPKlPlN2at6native12_GLOBAL__N_18offset_tEEE10hipError_tPvRmT1_PNSt15iterator_traitsISK_E10value_typeET2_T3_PNSL_ISQ_E10value_typeET4_jRbjT5_SW_jjP12ihipStream_tbEUlT_E1_NS1_11comp_targetILNS1_3genE0ELNS1_11target_archE4294967295ELNS1_3gpuE0ELNS1_3repE0EEENS1_59segmented_radix_sort_warp_sort_small_config_static_selectorELNS0_4arch9wavefront6targetE0EEEvSK_, .Lfunc_end1236-_ZN7rocprim17ROCPRIM_400000_NS6detail17trampoline_kernelINS0_14default_configENS1_36segmented_radix_sort_config_selectorIdlEEZNS1_25segmented_radix_sort_implIS3_Lb0EPKdPdPKlPlN2at6native12_GLOBAL__N_18offset_tEEE10hipError_tPvRmT1_PNSt15iterator_traitsISK_E10value_typeET2_T3_PNSL_ISQ_E10value_typeET4_jRbjT5_SW_jjP12ihipStream_tbEUlT_E1_NS1_11comp_targetILNS1_3genE0ELNS1_11target_archE4294967295ELNS1_3gpuE0ELNS1_3repE0EEENS1_59segmented_radix_sort_warp_sort_small_config_static_selectorELNS0_4arch9wavefront6targetE0EEEvSK_
                                        ; -- End function
	.set _ZN7rocprim17ROCPRIM_400000_NS6detail17trampoline_kernelINS0_14default_configENS1_36segmented_radix_sort_config_selectorIdlEEZNS1_25segmented_radix_sort_implIS3_Lb0EPKdPdPKlPlN2at6native12_GLOBAL__N_18offset_tEEE10hipError_tPvRmT1_PNSt15iterator_traitsISK_E10value_typeET2_T3_PNSL_ISQ_E10value_typeET4_jRbjT5_SW_jjP12ihipStream_tbEUlT_E1_NS1_11comp_targetILNS1_3genE0ELNS1_11target_archE4294967295ELNS1_3gpuE0ELNS1_3repE0EEENS1_59segmented_radix_sort_warp_sort_small_config_static_selectorELNS0_4arch9wavefront6targetE0EEEvSK_.num_vgpr, max(32, .L_ZN7rocprim17ROCPRIM_400000_NS6detail26segmented_warp_sort_helperINS1_20WarpSortHelperConfigILj8ELj4ELj256EEEdlLi256ELb0EvE4sortIPKdPdPKlPlEEvT_S9_T0_T1_SC_T2_bjjjjRNS5_12storage_typeE.num_vgpr)
	.set _ZN7rocprim17ROCPRIM_400000_NS6detail17trampoline_kernelINS0_14default_configENS1_36segmented_radix_sort_config_selectorIdlEEZNS1_25segmented_radix_sort_implIS3_Lb0EPKdPdPKlPlN2at6native12_GLOBAL__N_18offset_tEEE10hipError_tPvRmT1_PNSt15iterator_traitsISK_E10value_typeET2_T3_PNSL_ISQ_E10value_typeET4_jRbjT5_SW_jjP12ihipStream_tbEUlT_E1_NS1_11comp_targetILNS1_3genE0ELNS1_11target_archE4294967295ELNS1_3gpuE0ELNS1_3repE0EEENS1_59segmented_radix_sort_warp_sort_small_config_static_selectorELNS0_4arch9wavefront6targetE0EEEvSK_.num_agpr, max(0, .L_ZN7rocprim17ROCPRIM_400000_NS6detail26segmented_warp_sort_helperINS1_20WarpSortHelperConfigILj8ELj4ELj256EEEdlLi256ELb0EvE4sortIPKdPdPKlPlEEvT_S9_T0_T1_SC_T2_bjjjjRNS5_12storage_typeE.num_agpr)
	.set _ZN7rocprim17ROCPRIM_400000_NS6detail17trampoline_kernelINS0_14default_configENS1_36segmented_radix_sort_config_selectorIdlEEZNS1_25segmented_radix_sort_implIS3_Lb0EPKdPdPKlPlN2at6native12_GLOBAL__N_18offset_tEEE10hipError_tPvRmT1_PNSt15iterator_traitsISK_E10value_typeET2_T3_PNSL_ISQ_E10value_typeET4_jRbjT5_SW_jjP12ihipStream_tbEUlT_E1_NS1_11comp_targetILNS1_3genE0ELNS1_11target_archE4294967295ELNS1_3gpuE0ELNS1_3repE0EEENS1_59segmented_radix_sort_warp_sort_small_config_static_selectorELNS0_4arch9wavefront6targetE0EEEvSK_.numbered_sgpr, max(33, .L_ZN7rocprim17ROCPRIM_400000_NS6detail26segmented_warp_sort_helperINS1_20WarpSortHelperConfigILj8ELj4ELj256EEEdlLi256ELb0EvE4sortIPKdPdPKlPlEEvT_S9_T0_T1_SC_T2_bjjjjRNS5_12storage_typeE.numbered_sgpr)
	.set _ZN7rocprim17ROCPRIM_400000_NS6detail17trampoline_kernelINS0_14default_configENS1_36segmented_radix_sort_config_selectorIdlEEZNS1_25segmented_radix_sort_implIS3_Lb0EPKdPdPKlPlN2at6native12_GLOBAL__N_18offset_tEEE10hipError_tPvRmT1_PNSt15iterator_traitsISK_E10value_typeET2_T3_PNSL_ISQ_E10value_typeET4_jRbjT5_SW_jjP12ihipStream_tbEUlT_E1_NS1_11comp_targetILNS1_3genE0ELNS1_11target_archE4294967295ELNS1_3gpuE0ELNS1_3repE0EEENS1_59segmented_radix_sort_warp_sort_small_config_static_selectorELNS0_4arch9wavefront6targetE0EEEvSK_.num_named_barrier, max(0, .L_ZN7rocprim17ROCPRIM_400000_NS6detail26segmented_warp_sort_helperINS1_20WarpSortHelperConfigILj8ELj4ELj256EEEdlLi256ELb0EvE4sortIPKdPdPKlPlEEvT_S9_T0_T1_SC_T2_bjjjjRNS5_12storage_typeE.num_named_barrier)
	.set _ZN7rocprim17ROCPRIM_400000_NS6detail17trampoline_kernelINS0_14default_configENS1_36segmented_radix_sort_config_selectorIdlEEZNS1_25segmented_radix_sort_implIS3_Lb0EPKdPdPKlPlN2at6native12_GLOBAL__N_18offset_tEEE10hipError_tPvRmT1_PNSt15iterator_traitsISK_E10value_typeET2_T3_PNSL_ISQ_E10value_typeET4_jRbjT5_SW_jjP12ihipStream_tbEUlT_E1_NS1_11comp_targetILNS1_3genE0ELNS1_11target_archE4294967295ELNS1_3gpuE0ELNS1_3repE0EEENS1_59segmented_radix_sort_warp_sort_small_config_static_selectorELNS0_4arch9wavefront6targetE0EEEvSK_.private_seg_size, 0+max(.L_ZN7rocprim17ROCPRIM_400000_NS6detail26segmented_warp_sort_helperINS1_20WarpSortHelperConfigILj8ELj4ELj256EEEdlLi256ELb0EvE4sortIPKdPdPKlPlEEvT_S9_T0_T1_SC_T2_bjjjjRNS5_12storage_typeE.private_seg_size)
	.set _ZN7rocprim17ROCPRIM_400000_NS6detail17trampoline_kernelINS0_14default_configENS1_36segmented_radix_sort_config_selectorIdlEEZNS1_25segmented_radix_sort_implIS3_Lb0EPKdPdPKlPlN2at6native12_GLOBAL__N_18offset_tEEE10hipError_tPvRmT1_PNSt15iterator_traitsISK_E10value_typeET2_T3_PNSL_ISQ_E10value_typeET4_jRbjT5_SW_jjP12ihipStream_tbEUlT_E1_NS1_11comp_targetILNS1_3genE0ELNS1_11target_archE4294967295ELNS1_3gpuE0ELNS1_3repE0EEENS1_59segmented_radix_sort_warp_sort_small_config_static_selectorELNS0_4arch9wavefront6targetE0EEEvSK_.uses_vcc, or(1, .L_ZN7rocprim17ROCPRIM_400000_NS6detail26segmented_warp_sort_helperINS1_20WarpSortHelperConfigILj8ELj4ELj256EEEdlLi256ELb0EvE4sortIPKdPdPKlPlEEvT_S9_T0_T1_SC_T2_bjjjjRNS5_12storage_typeE.uses_vcc)
	.set _ZN7rocprim17ROCPRIM_400000_NS6detail17trampoline_kernelINS0_14default_configENS1_36segmented_radix_sort_config_selectorIdlEEZNS1_25segmented_radix_sort_implIS3_Lb0EPKdPdPKlPlN2at6native12_GLOBAL__N_18offset_tEEE10hipError_tPvRmT1_PNSt15iterator_traitsISK_E10value_typeET2_T3_PNSL_ISQ_E10value_typeET4_jRbjT5_SW_jjP12ihipStream_tbEUlT_E1_NS1_11comp_targetILNS1_3genE0ELNS1_11target_archE4294967295ELNS1_3gpuE0ELNS1_3repE0EEENS1_59segmented_radix_sort_warp_sort_small_config_static_selectorELNS0_4arch9wavefront6targetE0EEEvSK_.uses_flat_scratch, or(0, .L_ZN7rocprim17ROCPRIM_400000_NS6detail26segmented_warp_sort_helperINS1_20WarpSortHelperConfigILj8ELj4ELj256EEEdlLi256ELb0EvE4sortIPKdPdPKlPlEEvT_S9_T0_T1_SC_T2_bjjjjRNS5_12storage_typeE.uses_flat_scratch)
	.set _ZN7rocprim17ROCPRIM_400000_NS6detail17trampoline_kernelINS0_14default_configENS1_36segmented_radix_sort_config_selectorIdlEEZNS1_25segmented_radix_sort_implIS3_Lb0EPKdPdPKlPlN2at6native12_GLOBAL__N_18offset_tEEE10hipError_tPvRmT1_PNSt15iterator_traitsISK_E10value_typeET2_T3_PNSL_ISQ_E10value_typeET4_jRbjT5_SW_jjP12ihipStream_tbEUlT_E1_NS1_11comp_targetILNS1_3genE0ELNS1_11target_archE4294967295ELNS1_3gpuE0ELNS1_3repE0EEENS1_59segmented_radix_sort_warp_sort_small_config_static_selectorELNS0_4arch9wavefront6targetE0EEEvSK_.has_dyn_sized_stack, or(0, .L_ZN7rocprim17ROCPRIM_400000_NS6detail26segmented_warp_sort_helperINS1_20WarpSortHelperConfigILj8ELj4ELj256EEEdlLi256ELb0EvE4sortIPKdPdPKlPlEEvT_S9_T0_T1_SC_T2_bjjjjRNS5_12storage_typeE.has_dyn_sized_stack)
	.set _ZN7rocprim17ROCPRIM_400000_NS6detail17trampoline_kernelINS0_14default_configENS1_36segmented_radix_sort_config_selectorIdlEEZNS1_25segmented_radix_sort_implIS3_Lb0EPKdPdPKlPlN2at6native12_GLOBAL__N_18offset_tEEE10hipError_tPvRmT1_PNSt15iterator_traitsISK_E10value_typeET2_T3_PNSL_ISQ_E10value_typeET4_jRbjT5_SW_jjP12ihipStream_tbEUlT_E1_NS1_11comp_targetILNS1_3genE0ELNS1_11target_archE4294967295ELNS1_3gpuE0ELNS1_3repE0EEENS1_59segmented_radix_sort_warp_sort_small_config_static_selectorELNS0_4arch9wavefront6targetE0EEEvSK_.has_recursion, or(0, .L_ZN7rocprim17ROCPRIM_400000_NS6detail26segmented_warp_sort_helperINS1_20WarpSortHelperConfigILj8ELj4ELj256EEEdlLi256ELb0EvE4sortIPKdPdPKlPlEEvT_S9_T0_T1_SC_T2_bjjjjRNS5_12storage_typeE.has_recursion)
	.set _ZN7rocprim17ROCPRIM_400000_NS6detail17trampoline_kernelINS0_14default_configENS1_36segmented_radix_sort_config_selectorIdlEEZNS1_25segmented_radix_sort_implIS3_Lb0EPKdPdPKlPlN2at6native12_GLOBAL__N_18offset_tEEE10hipError_tPvRmT1_PNSt15iterator_traitsISK_E10value_typeET2_T3_PNSL_ISQ_E10value_typeET4_jRbjT5_SW_jjP12ihipStream_tbEUlT_E1_NS1_11comp_targetILNS1_3genE0ELNS1_11target_archE4294967295ELNS1_3gpuE0ELNS1_3repE0EEENS1_59segmented_radix_sort_warp_sort_small_config_static_selectorELNS0_4arch9wavefront6targetE0EEEvSK_.has_indirect_call, or(0, .L_ZN7rocprim17ROCPRIM_400000_NS6detail26segmented_warp_sort_helperINS1_20WarpSortHelperConfigILj8ELj4ELj256EEEdlLi256ELb0EvE4sortIPKdPdPKlPlEEvT_S9_T0_T1_SC_T2_bjjjjRNS5_12storage_typeE.has_indirect_call)
	.section	.AMDGPU.csdata,"",@progbits
; Kernel info:
; codeLenInByte = 408
; TotalNumSgprs: 35
; NumVgprs: 69
; ScratchSize: 0
; MemoryBound: 0
; FloatMode: 240
; IeeeMode: 1
; LDSByteSize: 16384 bytes/workgroup (compile time only)
; SGPRBlocks: 0
; VGPRBlocks: 4
; NumSGPRsForWavesPerEU: 35
; NumVGPRsForWavesPerEU: 69
; NamedBarCnt: 0
; Occupancy: 12
; WaveLimiterHint : 0
; COMPUTE_PGM_RSRC2:SCRATCH_EN: 0
; COMPUTE_PGM_RSRC2:USER_SGPR: 4
; COMPUTE_PGM_RSRC2:TRAP_HANDLER: 0
; COMPUTE_PGM_RSRC2:TGID_X_EN: 1
; COMPUTE_PGM_RSRC2:TGID_Y_EN: 1
; COMPUTE_PGM_RSRC2:TGID_Z_EN: 0
; COMPUTE_PGM_RSRC2:TIDIG_COMP_CNT: 2
	.section	.text._ZN7rocprim17ROCPRIM_400000_NS6detail17trampoline_kernelINS0_14default_configENS1_36segmented_radix_sort_config_selectorIdlEEZNS1_25segmented_radix_sort_implIS3_Lb0EPKdPdPKlPlN2at6native12_GLOBAL__N_18offset_tEEE10hipError_tPvRmT1_PNSt15iterator_traitsISK_E10value_typeET2_T3_PNSL_ISQ_E10value_typeET4_jRbjT5_SW_jjP12ihipStream_tbEUlT_E1_NS1_11comp_targetILNS1_3genE5ELNS1_11target_archE942ELNS1_3gpuE9ELNS1_3repE0EEENS1_59segmented_radix_sort_warp_sort_small_config_static_selectorELNS0_4arch9wavefront6targetE0EEEvSK_,"axG",@progbits,_ZN7rocprim17ROCPRIM_400000_NS6detail17trampoline_kernelINS0_14default_configENS1_36segmented_radix_sort_config_selectorIdlEEZNS1_25segmented_radix_sort_implIS3_Lb0EPKdPdPKlPlN2at6native12_GLOBAL__N_18offset_tEEE10hipError_tPvRmT1_PNSt15iterator_traitsISK_E10value_typeET2_T3_PNSL_ISQ_E10value_typeET4_jRbjT5_SW_jjP12ihipStream_tbEUlT_E1_NS1_11comp_targetILNS1_3genE5ELNS1_11target_archE942ELNS1_3gpuE9ELNS1_3repE0EEENS1_59segmented_radix_sort_warp_sort_small_config_static_selectorELNS0_4arch9wavefront6targetE0EEEvSK_,comdat
	.globl	_ZN7rocprim17ROCPRIM_400000_NS6detail17trampoline_kernelINS0_14default_configENS1_36segmented_radix_sort_config_selectorIdlEEZNS1_25segmented_radix_sort_implIS3_Lb0EPKdPdPKlPlN2at6native12_GLOBAL__N_18offset_tEEE10hipError_tPvRmT1_PNSt15iterator_traitsISK_E10value_typeET2_T3_PNSL_ISQ_E10value_typeET4_jRbjT5_SW_jjP12ihipStream_tbEUlT_E1_NS1_11comp_targetILNS1_3genE5ELNS1_11target_archE942ELNS1_3gpuE9ELNS1_3repE0EEENS1_59segmented_radix_sort_warp_sort_small_config_static_selectorELNS0_4arch9wavefront6targetE0EEEvSK_ ; -- Begin function _ZN7rocprim17ROCPRIM_400000_NS6detail17trampoline_kernelINS0_14default_configENS1_36segmented_radix_sort_config_selectorIdlEEZNS1_25segmented_radix_sort_implIS3_Lb0EPKdPdPKlPlN2at6native12_GLOBAL__N_18offset_tEEE10hipError_tPvRmT1_PNSt15iterator_traitsISK_E10value_typeET2_T3_PNSL_ISQ_E10value_typeET4_jRbjT5_SW_jjP12ihipStream_tbEUlT_E1_NS1_11comp_targetILNS1_3genE5ELNS1_11target_archE942ELNS1_3gpuE9ELNS1_3repE0EEENS1_59segmented_radix_sort_warp_sort_small_config_static_selectorELNS0_4arch9wavefront6targetE0EEEvSK_
	.p2align	8
	.type	_ZN7rocprim17ROCPRIM_400000_NS6detail17trampoline_kernelINS0_14default_configENS1_36segmented_radix_sort_config_selectorIdlEEZNS1_25segmented_radix_sort_implIS3_Lb0EPKdPdPKlPlN2at6native12_GLOBAL__N_18offset_tEEE10hipError_tPvRmT1_PNSt15iterator_traitsISK_E10value_typeET2_T3_PNSL_ISQ_E10value_typeET4_jRbjT5_SW_jjP12ihipStream_tbEUlT_E1_NS1_11comp_targetILNS1_3genE5ELNS1_11target_archE942ELNS1_3gpuE9ELNS1_3repE0EEENS1_59segmented_radix_sort_warp_sort_small_config_static_selectorELNS0_4arch9wavefront6targetE0EEEvSK_,@function
_ZN7rocprim17ROCPRIM_400000_NS6detail17trampoline_kernelINS0_14default_configENS1_36segmented_radix_sort_config_selectorIdlEEZNS1_25segmented_radix_sort_implIS3_Lb0EPKdPdPKlPlN2at6native12_GLOBAL__N_18offset_tEEE10hipError_tPvRmT1_PNSt15iterator_traitsISK_E10value_typeET2_T3_PNSL_ISQ_E10value_typeET4_jRbjT5_SW_jjP12ihipStream_tbEUlT_E1_NS1_11comp_targetILNS1_3genE5ELNS1_11target_archE942ELNS1_3gpuE9ELNS1_3repE0EEENS1_59segmented_radix_sort_warp_sort_small_config_static_selectorELNS0_4arch9wavefront6targetE0EEEvSK_: ; @_ZN7rocprim17ROCPRIM_400000_NS6detail17trampoline_kernelINS0_14default_configENS1_36segmented_radix_sort_config_selectorIdlEEZNS1_25segmented_radix_sort_implIS3_Lb0EPKdPdPKlPlN2at6native12_GLOBAL__N_18offset_tEEE10hipError_tPvRmT1_PNSt15iterator_traitsISK_E10value_typeET2_T3_PNSL_ISQ_E10value_typeET4_jRbjT5_SW_jjP12ihipStream_tbEUlT_E1_NS1_11comp_targetILNS1_3genE5ELNS1_11target_archE942ELNS1_3gpuE9ELNS1_3repE0EEENS1_59segmented_radix_sort_warp_sort_small_config_static_selectorELNS0_4arch9wavefront6targetE0EEEvSK_
; %bb.0:
	.section	.rodata,"a",@progbits
	.p2align	6, 0x0
	.amdhsa_kernel _ZN7rocprim17ROCPRIM_400000_NS6detail17trampoline_kernelINS0_14default_configENS1_36segmented_radix_sort_config_selectorIdlEEZNS1_25segmented_radix_sort_implIS3_Lb0EPKdPdPKlPlN2at6native12_GLOBAL__N_18offset_tEEE10hipError_tPvRmT1_PNSt15iterator_traitsISK_E10value_typeET2_T3_PNSL_ISQ_E10value_typeET4_jRbjT5_SW_jjP12ihipStream_tbEUlT_E1_NS1_11comp_targetILNS1_3genE5ELNS1_11target_archE942ELNS1_3gpuE9ELNS1_3repE0EEENS1_59segmented_radix_sort_warp_sort_small_config_static_selectorELNS0_4arch9wavefront6targetE0EEEvSK_
		.amdhsa_group_segment_fixed_size 0
		.amdhsa_private_segment_fixed_size 0
		.amdhsa_kernarg_size 88
		.amdhsa_user_sgpr_count 2
		.amdhsa_user_sgpr_dispatch_ptr 0
		.amdhsa_user_sgpr_queue_ptr 0
		.amdhsa_user_sgpr_kernarg_segment_ptr 1
		.amdhsa_user_sgpr_dispatch_id 0
		.amdhsa_user_sgpr_kernarg_preload_length 0
		.amdhsa_user_sgpr_kernarg_preload_offset 0
		.amdhsa_user_sgpr_private_segment_size 0
		.amdhsa_wavefront_size32 1
		.amdhsa_uses_dynamic_stack 0
		.amdhsa_enable_private_segment 0
		.amdhsa_system_sgpr_workgroup_id_x 1
		.amdhsa_system_sgpr_workgroup_id_y 0
		.amdhsa_system_sgpr_workgroup_id_z 0
		.amdhsa_system_sgpr_workgroup_info 0
		.amdhsa_system_vgpr_workitem_id 0
		.amdhsa_next_free_vgpr 1
		.amdhsa_next_free_sgpr 1
		.amdhsa_named_barrier_count 0
		.amdhsa_reserve_vcc 0
		.amdhsa_float_round_mode_32 0
		.amdhsa_float_round_mode_16_64 0
		.amdhsa_float_denorm_mode_32 3
		.amdhsa_float_denorm_mode_16_64 3
		.amdhsa_fp16_overflow 0
		.amdhsa_memory_ordered 1
		.amdhsa_forward_progress 1
		.amdhsa_inst_pref_size 0
		.amdhsa_round_robin_scheduling 0
		.amdhsa_exception_fp_ieee_invalid_op 0
		.amdhsa_exception_fp_denorm_src 0
		.amdhsa_exception_fp_ieee_div_zero 0
		.amdhsa_exception_fp_ieee_overflow 0
		.amdhsa_exception_fp_ieee_underflow 0
		.amdhsa_exception_fp_ieee_inexact 0
		.amdhsa_exception_int_div_zero 0
	.end_amdhsa_kernel
	.section	.text._ZN7rocprim17ROCPRIM_400000_NS6detail17trampoline_kernelINS0_14default_configENS1_36segmented_radix_sort_config_selectorIdlEEZNS1_25segmented_radix_sort_implIS3_Lb0EPKdPdPKlPlN2at6native12_GLOBAL__N_18offset_tEEE10hipError_tPvRmT1_PNSt15iterator_traitsISK_E10value_typeET2_T3_PNSL_ISQ_E10value_typeET4_jRbjT5_SW_jjP12ihipStream_tbEUlT_E1_NS1_11comp_targetILNS1_3genE5ELNS1_11target_archE942ELNS1_3gpuE9ELNS1_3repE0EEENS1_59segmented_radix_sort_warp_sort_small_config_static_selectorELNS0_4arch9wavefront6targetE0EEEvSK_,"axG",@progbits,_ZN7rocprim17ROCPRIM_400000_NS6detail17trampoline_kernelINS0_14default_configENS1_36segmented_radix_sort_config_selectorIdlEEZNS1_25segmented_radix_sort_implIS3_Lb0EPKdPdPKlPlN2at6native12_GLOBAL__N_18offset_tEEE10hipError_tPvRmT1_PNSt15iterator_traitsISK_E10value_typeET2_T3_PNSL_ISQ_E10value_typeET4_jRbjT5_SW_jjP12ihipStream_tbEUlT_E1_NS1_11comp_targetILNS1_3genE5ELNS1_11target_archE942ELNS1_3gpuE9ELNS1_3repE0EEENS1_59segmented_radix_sort_warp_sort_small_config_static_selectorELNS0_4arch9wavefront6targetE0EEEvSK_,comdat
.Lfunc_end1237:
	.size	_ZN7rocprim17ROCPRIM_400000_NS6detail17trampoline_kernelINS0_14default_configENS1_36segmented_radix_sort_config_selectorIdlEEZNS1_25segmented_radix_sort_implIS3_Lb0EPKdPdPKlPlN2at6native12_GLOBAL__N_18offset_tEEE10hipError_tPvRmT1_PNSt15iterator_traitsISK_E10value_typeET2_T3_PNSL_ISQ_E10value_typeET4_jRbjT5_SW_jjP12ihipStream_tbEUlT_E1_NS1_11comp_targetILNS1_3genE5ELNS1_11target_archE942ELNS1_3gpuE9ELNS1_3repE0EEENS1_59segmented_radix_sort_warp_sort_small_config_static_selectorELNS0_4arch9wavefront6targetE0EEEvSK_, .Lfunc_end1237-_ZN7rocprim17ROCPRIM_400000_NS6detail17trampoline_kernelINS0_14default_configENS1_36segmented_radix_sort_config_selectorIdlEEZNS1_25segmented_radix_sort_implIS3_Lb0EPKdPdPKlPlN2at6native12_GLOBAL__N_18offset_tEEE10hipError_tPvRmT1_PNSt15iterator_traitsISK_E10value_typeET2_T3_PNSL_ISQ_E10value_typeET4_jRbjT5_SW_jjP12ihipStream_tbEUlT_E1_NS1_11comp_targetILNS1_3genE5ELNS1_11target_archE942ELNS1_3gpuE9ELNS1_3repE0EEENS1_59segmented_radix_sort_warp_sort_small_config_static_selectorELNS0_4arch9wavefront6targetE0EEEvSK_
                                        ; -- End function
	.set _ZN7rocprim17ROCPRIM_400000_NS6detail17trampoline_kernelINS0_14default_configENS1_36segmented_radix_sort_config_selectorIdlEEZNS1_25segmented_radix_sort_implIS3_Lb0EPKdPdPKlPlN2at6native12_GLOBAL__N_18offset_tEEE10hipError_tPvRmT1_PNSt15iterator_traitsISK_E10value_typeET2_T3_PNSL_ISQ_E10value_typeET4_jRbjT5_SW_jjP12ihipStream_tbEUlT_E1_NS1_11comp_targetILNS1_3genE5ELNS1_11target_archE942ELNS1_3gpuE9ELNS1_3repE0EEENS1_59segmented_radix_sort_warp_sort_small_config_static_selectorELNS0_4arch9wavefront6targetE0EEEvSK_.num_vgpr, 0
	.set _ZN7rocprim17ROCPRIM_400000_NS6detail17trampoline_kernelINS0_14default_configENS1_36segmented_radix_sort_config_selectorIdlEEZNS1_25segmented_radix_sort_implIS3_Lb0EPKdPdPKlPlN2at6native12_GLOBAL__N_18offset_tEEE10hipError_tPvRmT1_PNSt15iterator_traitsISK_E10value_typeET2_T3_PNSL_ISQ_E10value_typeET4_jRbjT5_SW_jjP12ihipStream_tbEUlT_E1_NS1_11comp_targetILNS1_3genE5ELNS1_11target_archE942ELNS1_3gpuE9ELNS1_3repE0EEENS1_59segmented_radix_sort_warp_sort_small_config_static_selectorELNS0_4arch9wavefront6targetE0EEEvSK_.num_agpr, 0
	.set _ZN7rocprim17ROCPRIM_400000_NS6detail17trampoline_kernelINS0_14default_configENS1_36segmented_radix_sort_config_selectorIdlEEZNS1_25segmented_radix_sort_implIS3_Lb0EPKdPdPKlPlN2at6native12_GLOBAL__N_18offset_tEEE10hipError_tPvRmT1_PNSt15iterator_traitsISK_E10value_typeET2_T3_PNSL_ISQ_E10value_typeET4_jRbjT5_SW_jjP12ihipStream_tbEUlT_E1_NS1_11comp_targetILNS1_3genE5ELNS1_11target_archE942ELNS1_3gpuE9ELNS1_3repE0EEENS1_59segmented_radix_sort_warp_sort_small_config_static_selectorELNS0_4arch9wavefront6targetE0EEEvSK_.numbered_sgpr, 0
	.set _ZN7rocprim17ROCPRIM_400000_NS6detail17trampoline_kernelINS0_14default_configENS1_36segmented_radix_sort_config_selectorIdlEEZNS1_25segmented_radix_sort_implIS3_Lb0EPKdPdPKlPlN2at6native12_GLOBAL__N_18offset_tEEE10hipError_tPvRmT1_PNSt15iterator_traitsISK_E10value_typeET2_T3_PNSL_ISQ_E10value_typeET4_jRbjT5_SW_jjP12ihipStream_tbEUlT_E1_NS1_11comp_targetILNS1_3genE5ELNS1_11target_archE942ELNS1_3gpuE9ELNS1_3repE0EEENS1_59segmented_radix_sort_warp_sort_small_config_static_selectorELNS0_4arch9wavefront6targetE0EEEvSK_.num_named_barrier, 0
	.set _ZN7rocprim17ROCPRIM_400000_NS6detail17trampoline_kernelINS0_14default_configENS1_36segmented_radix_sort_config_selectorIdlEEZNS1_25segmented_radix_sort_implIS3_Lb0EPKdPdPKlPlN2at6native12_GLOBAL__N_18offset_tEEE10hipError_tPvRmT1_PNSt15iterator_traitsISK_E10value_typeET2_T3_PNSL_ISQ_E10value_typeET4_jRbjT5_SW_jjP12ihipStream_tbEUlT_E1_NS1_11comp_targetILNS1_3genE5ELNS1_11target_archE942ELNS1_3gpuE9ELNS1_3repE0EEENS1_59segmented_radix_sort_warp_sort_small_config_static_selectorELNS0_4arch9wavefront6targetE0EEEvSK_.private_seg_size, 0
	.set _ZN7rocprim17ROCPRIM_400000_NS6detail17trampoline_kernelINS0_14default_configENS1_36segmented_radix_sort_config_selectorIdlEEZNS1_25segmented_radix_sort_implIS3_Lb0EPKdPdPKlPlN2at6native12_GLOBAL__N_18offset_tEEE10hipError_tPvRmT1_PNSt15iterator_traitsISK_E10value_typeET2_T3_PNSL_ISQ_E10value_typeET4_jRbjT5_SW_jjP12ihipStream_tbEUlT_E1_NS1_11comp_targetILNS1_3genE5ELNS1_11target_archE942ELNS1_3gpuE9ELNS1_3repE0EEENS1_59segmented_radix_sort_warp_sort_small_config_static_selectorELNS0_4arch9wavefront6targetE0EEEvSK_.uses_vcc, 0
	.set _ZN7rocprim17ROCPRIM_400000_NS6detail17trampoline_kernelINS0_14default_configENS1_36segmented_radix_sort_config_selectorIdlEEZNS1_25segmented_radix_sort_implIS3_Lb0EPKdPdPKlPlN2at6native12_GLOBAL__N_18offset_tEEE10hipError_tPvRmT1_PNSt15iterator_traitsISK_E10value_typeET2_T3_PNSL_ISQ_E10value_typeET4_jRbjT5_SW_jjP12ihipStream_tbEUlT_E1_NS1_11comp_targetILNS1_3genE5ELNS1_11target_archE942ELNS1_3gpuE9ELNS1_3repE0EEENS1_59segmented_radix_sort_warp_sort_small_config_static_selectorELNS0_4arch9wavefront6targetE0EEEvSK_.uses_flat_scratch, 0
	.set _ZN7rocprim17ROCPRIM_400000_NS6detail17trampoline_kernelINS0_14default_configENS1_36segmented_radix_sort_config_selectorIdlEEZNS1_25segmented_radix_sort_implIS3_Lb0EPKdPdPKlPlN2at6native12_GLOBAL__N_18offset_tEEE10hipError_tPvRmT1_PNSt15iterator_traitsISK_E10value_typeET2_T3_PNSL_ISQ_E10value_typeET4_jRbjT5_SW_jjP12ihipStream_tbEUlT_E1_NS1_11comp_targetILNS1_3genE5ELNS1_11target_archE942ELNS1_3gpuE9ELNS1_3repE0EEENS1_59segmented_radix_sort_warp_sort_small_config_static_selectorELNS0_4arch9wavefront6targetE0EEEvSK_.has_dyn_sized_stack, 0
	.set _ZN7rocprim17ROCPRIM_400000_NS6detail17trampoline_kernelINS0_14default_configENS1_36segmented_radix_sort_config_selectorIdlEEZNS1_25segmented_radix_sort_implIS3_Lb0EPKdPdPKlPlN2at6native12_GLOBAL__N_18offset_tEEE10hipError_tPvRmT1_PNSt15iterator_traitsISK_E10value_typeET2_T3_PNSL_ISQ_E10value_typeET4_jRbjT5_SW_jjP12ihipStream_tbEUlT_E1_NS1_11comp_targetILNS1_3genE5ELNS1_11target_archE942ELNS1_3gpuE9ELNS1_3repE0EEENS1_59segmented_radix_sort_warp_sort_small_config_static_selectorELNS0_4arch9wavefront6targetE0EEEvSK_.has_recursion, 0
	.set _ZN7rocprim17ROCPRIM_400000_NS6detail17trampoline_kernelINS0_14default_configENS1_36segmented_radix_sort_config_selectorIdlEEZNS1_25segmented_radix_sort_implIS3_Lb0EPKdPdPKlPlN2at6native12_GLOBAL__N_18offset_tEEE10hipError_tPvRmT1_PNSt15iterator_traitsISK_E10value_typeET2_T3_PNSL_ISQ_E10value_typeET4_jRbjT5_SW_jjP12ihipStream_tbEUlT_E1_NS1_11comp_targetILNS1_3genE5ELNS1_11target_archE942ELNS1_3gpuE9ELNS1_3repE0EEENS1_59segmented_radix_sort_warp_sort_small_config_static_selectorELNS0_4arch9wavefront6targetE0EEEvSK_.has_indirect_call, 0
	.section	.AMDGPU.csdata,"",@progbits
; Kernel info:
; codeLenInByte = 0
; TotalNumSgprs: 0
; NumVgprs: 0
; ScratchSize: 0
; MemoryBound: 0
; FloatMode: 240
; IeeeMode: 1
; LDSByteSize: 0 bytes/workgroup (compile time only)
; SGPRBlocks: 0
; VGPRBlocks: 0
; NumSGPRsForWavesPerEU: 1
; NumVGPRsForWavesPerEU: 1
; NamedBarCnt: 0
; Occupancy: 16
; WaveLimiterHint : 0
; COMPUTE_PGM_RSRC2:SCRATCH_EN: 0
; COMPUTE_PGM_RSRC2:USER_SGPR: 2
; COMPUTE_PGM_RSRC2:TRAP_HANDLER: 0
; COMPUTE_PGM_RSRC2:TGID_X_EN: 1
; COMPUTE_PGM_RSRC2:TGID_Y_EN: 0
; COMPUTE_PGM_RSRC2:TGID_Z_EN: 0
; COMPUTE_PGM_RSRC2:TIDIG_COMP_CNT: 0
	.section	.text._ZN7rocprim17ROCPRIM_400000_NS6detail17trampoline_kernelINS0_14default_configENS1_36segmented_radix_sort_config_selectorIdlEEZNS1_25segmented_radix_sort_implIS3_Lb0EPKdPdPKlPlN2at6native12_GLOBAL__N_18offset_tEEE10hipError_tPvRmT1_PNSt15iterator_traitsISK_E10value_typeET2_T3_PNSL_ISQ_E10value_typeET4_jRbjT5_SW_jjP12ihipStream_tbEUlT_E1_NS1_11comp_targetILNS1_3genE4ELNS1_11target_archE910ELNS1_3gpuE8ELNS1_3repE0EEENS1_59segmented_radix_sort_warp_sort_small_config_static_selectorELNS0_4arch9wavefront6targetE0EEEvSK_,"axG",@progbits,_ZN7rocprim17ROCPRIM_400000_NS6detail17trampoline_kernelINS0_14default_configENS1_36segmented_radix_sort_config_selectorIdlEEZNS1_25segmented_radix_sort_implIS3_Lb0EPKdPdPKlPlN2at6native12_GLOBAL__N_18offset_tEEE10hipError_tPvRmT1_PNSt15iterator_traitsISK_E10value_typeET2_T3_PNSL_ISQ_E10value_typeET4_jRbjT5_SW_jjP12ihipStream_tbEUlT_E1_NS1_11comp_targetILNS1_3genE4ELNS1_11target_archE910ELNS1_3gpuE8ELNS1_3repE0EEENS1_59segmented_radix_sort_warp_sort_small_config_static_selectorELNS0_4arch9wavefront6targetE0EEEvSK_,comdat
	.globl	_ZN7rocprim17ROCPRIM_400000_NS6detail17trampoline_kernelINS0_14default_configENS1_36segmented_radix_sort_config_selectorIdlEEZNS1_25segmented_radix_sort_implIS3_Lb0EPKdPdPKlPlN2at6native12_GLOBAL__N_18offset_tEEE10hipError_tPvRmT1_PNSt15iterator_traitsISK_E10value_typeET2_T3_PNSL_ISQ_E10value_typeET4_jRbjT5_SW_jjP12ihipStream_tbEUlT_E1_NS1_11comp_targetILNS1_3genE4ELNS1_11target_archE910ELNS1_3gpuE8ELNS1_3repE0EEENS1_59segmented_radix_sort_warp_sort_small_config_static_selectorELNS0_4arch9wavefront6targetE0EEEvSK_ ; -- Begin function _ZN7rocprim17ROCPRIM_400000_NS6detail17trampoline_kernelINS0_14default_configENS1_36segmented_radix_sort_config_selectorIdlEEZNS1_25segmented_radix_sort_implIS3_Lb0EPKdPdPKlPlN2at6native12_GLOBAL__N_18offset_tEEE10hipError_tPvRmT1_PNSt15iterator_traitsISK_E10value_typeET2_T3_PNSL_ISQ_E10value_typeET4_jRbjT5_SW_jjP12ihipStream_tbEUlT_E1_NS1_11comp_targetILNS1_3genE4ELNS1_11target_archE910ELNS1_3gpuE8ELNS1_3repE0EEENS1_59segmented_radix_sort_warp_sort_small_config_static_selectorELNS0_4arch9wavefront6targetE0EEEvSK_
	.p2align	8
	.type	_ZN7rocprim17ROCPRIM_400000_NS6detail17trampoline_kernelINS0_14default_configENS1_36segmented_radix_sort_config_selectorIdlEEZNS1_25segmented_radix_sort_implIS3_Lb0EPKdPdPKlPlN2at6native12_GLOBAL__N_18offset_tEEE10hipError_tPvRmT1_PNSt15iterator_traitsISK_E10value_typeET2_T3_PNSL_ISQ_E10value_typeET4_jRbjT5_SW_jjP12ihipStream_tbEUlT_E1_NS1_11comp_targetILNS1_3genE4ELNS1_11target_archE910ELNS1_3gpuE8ELNS1_3repE0EEENS1_59segmented_radix_sort_warp_sort_small_config_static_selectorELNS0_4arch9wavefront6targetE0EEEvSK_,@function
_ZN7rocprim17ROCPRIM_400000_NS6detail17trampoline_kernelINS0_14default_configENS1_36segmented_radix_sort_config_selectorIdlEEZNS1_25segmented_radix_sort_implIS3_Lb0EPKdPdPKlPlN2at6native12_GLOBAL__N_18offset_tEEE10hipError_tPvRmT1_PNSt15iterator_traitsISK_E10value_typeET2_T3_PNSL_ISQ_E10value_typeET4_jRbjT5_SW_jjP12ihipStream_tbEUlT_E1_NS1_11comp_targetILNS1_3genE4ELNS1_11target_archE910ELNS1_3gpuE8ELNS1_3repE0EEENS1_59segmented_radix_sort_warp_sort_small_config_static_selectorELNS0_4arch9wavefront6targetE0EEEvSK_: ; @_ZN7rocprim17ROCPRIM_400000_NS6detail17trampoline_kernelINS0_14default_configENS1_36segmented_radix_sort_config_selectorIdlEEZNS1_25segmented_radix_sort_implIS3_Lb0EPKdPdPKlPlN2at6native12_GLOBAL__N_18offset_tEEE10hipError_tPvRmT1_PNSt15iterator_traitsISK_E10value_typeET2_T3_PNSL_ISQ_E10value_typeET4_jRbjT5_SW_jjP12ihipStream_tbEUlT_E1_NS1_11comp_targetILNS1_3genE4ELNS1_11target_archE910ELNS1_3gpuE8ELNS1_3repE0EEENS1_59segmented_radix_sort_warp_sort_small_config_static_selectorELNS0_4arch9wavefront6targetE0EEEvSK_
; %bb.0:
	.section	.rodata,"a",@progbits
	.p2align	6, 0x0
	.amdhsa_kernel _ZN7rocprim17ROCPRIM_400000_NS6detail17trampoline_kernelINS0_14default_configENS1_36segmented_radix_sort_config_selectorIdlEEZNS1_25segmented_radix_sort_implIS3_Lb0EPKdPdPKlPlN2at6native12_GLOBAL__N_18offset_tEEE10hipError_tPvRmT1_PNSt15iterator_traitsISK_E10value_typeET2_T3_PNSL_ISQ_E10value_typeET4_jRbjT5_SW_jjP12ihipStream_tbEUlT_E1_NS1_11comp_targetILNS1_3genE4ELNS1_11target_archE910ELNS1_3gpuE8ELNS1_3repE0EEENS1_59segmented_radix_sort_warp_sort_small_config_static_selectorELNS0_4arch9wavefront6targetE0EEEvSK_
		.amdhsa_group_segment_fixed_size 0
		.amdhsa_private_segment_fixed_size 0
		.amdhsa_kernarg_size 88
		.amdhsa_user_sgpr_count 2
		.amdhsa_user_sgpr_dispatch_ptr 0
		.amdhsa_user_sgpr_queue_ptr 0
		.amdhsa_user_sgpr_kernarg_segment_ptr 1
		.amdhsa_user_sgpr_dispatch_id 0
		.amdhsa_user_sgpr_kernarg_preload_length 0
		.amdhsa_user_sgpr_kernarg_preload_offset 0
		.amdhsa_user_sgpr_private_segment_size 0
		.amdhsa_wavefront_size32 1
		.amdhsa_uses_dynamic_stack 0
		.amdhsa_enable_private_segment 0
		.amdhsa_system_sgpr_workgroup_id_x 1
		.amdhsa_system_sgpr_workgroup_id_y 0
		.amdhsa_system_sgpr_workgroup_id_z 0
		.amdhsa_system_sgpr_workgroup_info 0
		.amdhsa_system_vgpr_workitem_id 0
		.amdhsa_next_free_vgpr 1
		.amdhsa_next_free_sgpr 1
		.amdhsa_named_barrier_count 0
		.amdhsa_reserve_vcc 0
		.amdhsa_float_round_mode_32 0
		.amdhsa_float_round_mode_16_64 0
		.amdhsa_float_denorm_mode_32 3
		.amdhsa_float_denorm_mode_16_64 3
		.amdhsa_fp16_overflow 0
		.amdhsa_memory_ordered 1
		.amdhsa_forward_progress 1
		.amdhsa_inst_pref_size 0
		.amdhsa_round_robin_scheduling 0
		.amdhsa_exception_fp_ieee_invalid_op 0
		.amdhsa_exception_fp_denorm_src 0
		.amdhsa_exception_fp_ieee_div_zero 0
		.amdhsa_exception_fp_ieee_overflow 0
		.amdhsa_exception_fp_ieee_underflow 0
		.amdhsa_exception_fp_ieee_inexact 0
		.amdhsa_exception_int_div_zero 0
	.end_amdhsa_kernel
	.section	.text._ZN7rocprim17ROCPRIM_400000_NS6detail17trampoline_kernelINS0_14default_configENS1_36segmented_radix_sort_config_selectorIdlEEZNS1_25segmented_radix_sort_implIS3_Lb0EPKdPdPKlPlN2at6native12_GLOBAL__N_18offset_tEEE10hipError_tPvRmT1_PNSt15iterator_traitsISK_E10value_typeET2_T3_PNSL_ISQ_E10value_typeET4_jRbjT5_SW_jjP12ihipStream_tbEUlT_E1_NS1_11comp_targetILNS1_3genE4ELNS1_11target_archE910ELNS1_3gpuE8ELNS1_3repE0EEENS1_59segmented_radix_sort_warp_sort_small_config_static_selectorELNS0_4arch9wavefront6targetE0EEEvSK_,"axG",@progbits,_ZN7rocprim17ROCPRIM_400000_NS6detail17trampoline_kernelINS0_14default_configENS1_36segmented_radix_sort_config_selectorIdlEEZNS1_25segmented_radix_sort_implIS3_Lb0EPKdPdPKlPlN2at6native12_GLOBAL__N_18offset_tEEE10hipError_tPvRmT1_PNSt15iterator_traitsISK_E10value_typeET2_T3_PNSL_ISQ_E10value_typeET4_jRbjT5_SW_jjP12ihipStream_tbEUlT_E1_NS1_11comp_targetILNS1_3genE4ELNS1_11target_archE910ELNS1_3gpuE8ELNS1_3repE0EEENS1_59segmented_radix_sort_warp_sort_small_config_static_selectorELNS0_4arch9wavefront6targetE0EEEvSK_,comdat
.Lfunc_end1238:
	.size	_ZN7rocprim17ROCPRIM_400000_NS6detail17trampoline_kernelINS0_14default_configENS1_36segmented_radix_sort_config_selectorIdlEEZNS1_25segmented_radix_sort_implIS3_Lb0EPKdPdPKlPlN2at6native12_GLOBAL__N_18offset_tEEE10hipError_tPvRmT1_PNSt15iterator_traitsISK_E10value_typeET2_T3_PNSL_ISQ_E10value_typeET4_jRbjT5_SW_jjP12ihipStream_tbEUlT_E1_NS1_11comp_targetILNS1_3genE4ELNS1_11target_archE910ELNS1_3gpuE8ELNS1_3repE0EEENS1_59segmented_radix_sort_warp_sort_small_config_static_selectorELNS0_4arch9wavefront6targetE0EEEvSK_, .Lfunc_end1238-_ZN7rocprim17ROCPRIM_400000_NS6detail17trampoline_kernelINS0_14default_configENS1_36segmented_radix_sort_config_selectorIdlEEZNS1_25segmented_radix_sort_implIS3_Lb0EPKdPdPKlPlN2at6native12_GLOBAL__N_18offset_tEEE10hipError_tPvRmT1_PNSt15iterator_traitsISK_E10value_typeET2_T3_PNSL_ISQ_E10value_typeET4_jRbjT5_SW_jjP12ihipStream_tbEUlT_E1_NS1_11comp_targetILNS1_3genE4ELNS1_11target_archE910ELNS1_3gpuE8ELNS1_3repE0EEENS1_59segmented_radix_sort_warp_sort_small_config_static_selectorELNS0_4arch9wavefront6targetE0EEEvSK_
                                        ; -- End function
	.set _ZN7rocprim17ROCPRIM_400000_NS6detail17trampoline_kernelINS0_14default_configENS1_36segmented_radix_sort_config_selectorIdlEEZNS1_25segmented_radix_sort_implIS3_Lb0EPKdPdPKlPlN2at6native12_GLOBAL__N_18offset_tEEE10hipError_tPvRmT1_PNSt15iterator_traitsISK_E10value_typeET2_T3_PNSL_ISQ_E10value_typeET4_jRbjT5_SW_jjP12ihipStream_tbEUlT_E1_NS1_11comp_targetILNS1_3genE4ELNS1_11target_archE910ELNS1_3gpuE8ELNS1_3repE0EEENS1_59segmented_radix_sort_warp_sort_small_config_static_selectorELNS0_4arch9wavefront6targetE0EEEvSK_.num_vgpr, 0
	.set _ZN7rocprim17ROCPRIM_400000_NS6detail17trampoline_kernelINS0_14default_configENS1_36segmented_radix_sort_config_selectorIdlEEZNS1_25segmented_radix_sort_implIS3_Lb0EPKdPdPKlPlN2at6native12_GLOBAL__N_18offset_tEEE10hipError_tPvRmT1_PNSt15iterator_traitsISK_E10value_typeET2_T3_PNSL_ISQ_E10value_typeET4_jRbjT5_SW_jjP12ihipStream_tbEUlT_E1_NS1_11comp_targetILNS1_3genE4ELNS1_11target_archE910ELNS1_3gpuE8ELNS1_3repE0EEENS1_59segmented_radix_sort_warp_sort_small_config_static_selectorELNS0_4arch9wavefront6targetE0EEEvSK_.num_agpr, 0
	.set _ZN7rocprim17ROCPRIM_400000_NS6detail17trampoline_kernelINS0_14default_configENS1_36segmented_radix_sort_config_selectorIdlEEZNS1_25segmented_radix_sort_implIS3_Lb0EPKdPdPKlPlN2at6native12_GLOBAL__N_18offset_tEEE10hipError_tPvRmT1_PNSt15iterator_traitsISK_E10value_typeET2_T3_PNSL_ISQ_E10value_typeET4_jRbjT5_SW_jjP12ihipStream_tbEUlT_E1_NS1_11comp_targetILNS1_3genE4ELNS1_11target_archE910ELNS1_3gpuE8ELNS1_3repE0EEENS1_59segmented_radix_sort_warp_sort_small_config_static_selectorELNS0_4arch9wavefront6targetE0EEEvSK_.numbered_sgpr, 0
	.set _ZN7rocprim17ROCPRIM_400000_NS6detail17trampoline_kernelINS0_14default_configENS1_36segmented_radix_sort_config_selectorIdlEEZNS1_25segmented_radix_sort_implIS3_Lb0EPKdPdPKlPlN2at6native12_GLOBAL__N_18offset_tEEE10hipError_tPvRmT1_PNSt15iterator_traitsISK_E10value_typeET2_T3_PNSL_ISQ_E10value_typeET4_jRbjT5_SW_jjP12ihipStream_tbEUlT_E1_NS1_11comp_targetILNS1_3genE4ELNS1_11target_archE910ELNS1_3gpuE8ELNS1_3repE0EEENS1_59segmented_radix_sort_warp_sort_small_config_static_selectorELNS0_4arch9wavefront6targetE0EEEvSK_.num_named_barrier, 0
	.set _ZN7rocprim17ROCPRIM_400000_NS6detail17trampoline_kernelINS0_14default_configENS1_36segmented_radix_sort_config_selectorIdlEEZNS1_25segmented_radix_sort_implIS3_Lb0EPKdPdPKlPlN2at6native12_GLOBAL__N_18offset_tEEE10hipError_tPvRmT1_PNSt15iterator_traitsISK_E10value_typeET2_T3_PNSL_ISQ_E10value_typeET4_jRbjT5_SW_jjP12ihipStream_tbEUlT_E1_NS1_11comp_targetILNS1_3genE4ELNS1_11target_archE910ELNS1_3gpuE8ELNS1_3repE0EEENS1_59segmented_radix_sort_warp_sort_small_config_static_selectorELNS0_4arch9wavefront6targetE0EEEvSK_.private_seg_size, 0
	.set _ZN7rocprim17ROCPRIM_400000_NS6detail17trampoline_kernelINS0_14default_configENS1_36segmented_radix_sort_config_selectorIdlEEZNS1_25segmented_radix_sort_implIS3_Lb0EPKdPdPKlPlN2at6native12_GLOBAL__N_18offset_tEEE10hipError_tPvRmT1_PNSt15iterator_traitsISK_E10value_typeET2_T3_PNSL_ISQ_E10value_typeET4_jRbjT5_SW_jjP12ihipStream_tbEUlT_E1_NS1_11comp_targetILNS1_3genE4ELNS1_11target_archE910ELNS1_3gpuE8ELNS1_3repE0EEENS1_59segmented_radix_sort_warp_sort_small_config_static_selectorELNS0_4arch9wavefront6targetE0EEEvSK_.uses_vcc, 0
	.set _ZN7rocprim17ROCPRIM_400000_NS6detail17trampoline_kernelINS0_14default_configENS1_36segmented_radix_sort_config_selectorIdlEEZNS1_25segmented_radix_sort_implIS3_Lb0EPKdPdPKlPlN2at6native12_GLOBAL__N_18offset_tEEE10hipError_tPvRmT1_PNSt15iterator_traitsISK_E10value_typeET2_T3_PNSL_ISQ_E10value_typeET4_jRbjT5_SW_jjP12ihipStream_tbEUlT_E1_NS1_11comp_targetILNS1_3genE4ELNS1_11target_archE910ELNS1_3gpuE8ELNS1_3repE0EEENS1_59segmented_radix_sort_warp_sort_small_config_static_selectorELNS0_4arch9wavefront6targetE0EEEvSK_.uses_flat_scratch, 0
	.set _ZN7rocprim17ROCPRIM_400000_NS6detail17trampoline_kernelINS0_14default_configENS1_36segmented_radix_sort_config_selectorIdlEEZNS1_25segmented_radix_sort_implIS3_Lb0EPKdPdPKlPlN2at6native12_GLOBAL__N_18offset_tEEE10hipError_tPvRmT1_PNSt15iterator_traitsISK_E10value_typeET2_T3_PNSL_ISQ_E10value_typeET4_jRbjT5_SW_jjP12ihipStream_tbEUlT_E1_NS1_11comp_targetILNS1_3genE4ELNS1_11target_archE910ELNS1_3gpuE8ELNS1_3repE0EEENS1_59segmented_radix_sort_warp_sort_small_config_static_selectorELNS0_4arch9wavefront6targetE0EEEvSK_.has_dyn_sized_stack, 0
	.set _ZN7rocprim17ROCPRIM_400000_NS6detail17trampoline_kernelINS0_14default_configENS1_36segmented_radix_sort_config_selectorIdlEEZNS1_25segmented_radix_sort_implIS3_Lb0EPKdPdPKlPlN2at6native12_GLOBAL__N_18offset_tEEE10hipError_tPvRmT1_PNSt15iterator_traitsISK_E10value_typeET2_T3_PNSL_ISQ_E10value_typeET4_jRbjT5_SW_jjP12ihipStream_tbEUlT_E1_NS1_11comp_targetILNS1_3genE4ELNS1_11target_archE910ELNS1_3gpuE8ELNS1_3repE0EEENS1_59segmented_radix_sort_warp_sort_small_config_static_selectorELNS0_4arch9wavefront6targetE0EEEvSK_.has_recursion, 0
	.set _ZN7rocprim17ROCPRIM_400000_NS6detail17trampoline_kernelINS0_14default_configENS1_36segmented_radix_sort_config_selectorIdlEEZNS1_25segmented_radix_sort_implIS3_Lb0EPKdPdPKlPlN2at6native12_GLOBAL__N_18offset_tEEE10hipError_tPvRmT1_PNSt15iterator_traitsISK_E10value_typeET2_T3_PNSL_ISQ_E10value_typeET4_jRbjT5_SW_jjP12ihipStream_tbEUlT_E1_NS1_11comp_targetILNS1_3genE4ELNS1_11target_archE910ELNS1_3gpuE8ELNS1_3repE0EEENS1_59segmented_radix_sort_warp_sort_small_config_static_selectorELNS0_4arch9wavefront6targetE0EEEvSK_.has_indirect_call, 0
	.section	.AMDGPU.csdata,"",@progbits
; Kernel info:
; codeLenInByte = 0
; TotalNumSgprs: 0
; NumVgprs: 0
; ScratchSize: 0
; MemoryBound: 0
; FloatMode: 240
; IeeeMode: 1
; LDSByteSize: 0 bytes/workgroup (compile time only)
; SGPRBlocks: 0
; VGPRBlocks: 0
; NumSGPRsForWavesPerEU: 1
; NumVGPRsForWavesPerEU: 1
; NamedBarCnt: 0
; Occupancy: 16
; WaveLimiterHint : 0
; COMPUTE_PGM_RSRC2:SCRATCH_EN: 0
; COMPUTE_PGM_RSRC2:USER_SGPR: 2
; COMPUTE_PGM_RSRC2:TRAP_HANDLER: 0
; COMPUTE_PGM_RSRC2:TGID_X_EN: 1
; COMPUTE_PGM_RSRC2:TGID_Y_EN: 0
; COMPUTE_PGM_RSRC2:TGID_Z_EN: 0
; COMPUTE_PGM_RSRC2:TIDIG_COMP_CNT: 0
	.section	.text._ZN7rocprim17ROCPRIM_400000_NS6detail17trampoline_kernelINS0_14default_configENS1_36segmented_radix_sort_config_selectorIdlEEZNS1_25segmented_radix_sort_implIS3_Lb0EPKdPdPKlPlN2at6native12_GLOBAL__N_18offset_tEEE10hipError_tPvRmT1_PNSt15iterator_traitsISK_E10value_typeET2_T3_PNSL_ISQ_E10value_typeET4_jRbjT5_SW_jjP12ihipStream_tbEUlT_E1_NS1_11comp_targetILNS1_3genE3ELNS1_11target_archE908ELNS1_3gpuE7ELNS1_3repE0EEENS1_59segmented_radix_sort_warp_sort_small_config_static_selectorELNS0_4arch9wavefront6targetE0EEEvSK_,"axG",@progbits,_ZN7rocprim17ROCPRIM_400000_NS6detail17trampoline_kernelINS0_14default_configENS1_36segmented_radix_sort_config_selectorIdlEEZNS1_25segmented_radix_sort_implIS3_Lb0EPKdPdPKlPlN2at6native12_GLOBAL__N_18offset_tEEE10hipError_tPvRmT1_PNSt15iterator_traitsISK_E10value_typeET2_T3_PNSL_ISQ_E10value_typeET4_jRbjT5_SW_jjP12ihipStream_tbEUlT_E1_NS1_11comp_targetILNS1_3genE3ELNS1_11target_archE908ELNS1_3gpuE7ELNS1_3repE0EEENS1_59segmented_radix_sort_warp_sort_small_config_static_selectorELNS0_4arch9wavefront6targetE0EEEvSK_,comdat
	.globl	_ZN7rocprim17ROCPRIM_400000_NS6detail17trampoline_kernelINS0_14default_configENS1_36segmented_radix_sort_config_selectorIdlEEZNS1_25segmented_radix_sort_implIS3_Lb0EPKdPdPKlPlN2at6native12_GLOBAL__N_18offset_tEEE10hipError_tPvRmT1_PNSt15iterator_traitsISK_E10value_typeET2_T3_PNSL_ISQ_E10value_typeET4_jRbjT5_SW_jjP12ihipStream_tbEUlT_E1_NS1_11comp_targetILNS1_3genE3ELNS1_11target_archE908ELNS1_3gpuE7ELNS1_3repE0EEENS1_59segmented_radix_sort_warp_sort_small_config_static_selectorELNS0_4arch9wavefront6targetE0EEEvSK_ ; -- Begin function _ZN7rocprim17ROCPRIM_400000_NS6detail17trampoline_kernelINS0_14default_configENS1_36segmented_radix_sort_config_selectorIdlEEZNS1_25segmented_radix_sort_implIS3_Lb0EPKdPdPKlPlN2at6native12_GLOBAL__N_18offset_tEEE10hipError_tPvRmT1_PNSt15iterator_traitsISK_E10value_typeET2_T3_PNSL_ISQ_E10value_typeET4_jRbjT5_SW_jjP12ihipStream_tbEUlT_E1_NS1_11comp_targetILNS1_3genE3ELNS1_11target_archE908ELNS1_3gpuE7ELNS1_3repE0EEENS1_59segmented_radix_sort_warp_sort_small_config_static_selectorELNS0_4arch9wavefront6targetE0EEEvSK_
	.p2align	8
	.type	_ZN7rocprim17ROCPRIM_400000_NS6detail17trampoline_kernelINS0_14default_configENS1_36segmented_radix_sort_config_selectorIdlEEZNS1_25segmented_radix_sort_implIS3_Lb0EPKdPdPKlPlN2at6native12_GLOBAL__N_18offset_tEEE10hipError_tPvRmT1_PNSt15iterator_traitsISK_E10value_typeET2_T3_PNSL_ISQ_E10value_typeET4_jRbjT5_SW_jjP12ihipStream_tbEUlT_E1_NS1_11comp_targetILNS1_3genE3ELNS1_11target_archE908ELNS1_3gpuE7ELNS1_3repE0EEENS1_59segmented_radix_sort_warp_sort_small_config_static_selectorELNS0_4arch9wavefront6targetE0EEEvSK_,@function
_ZN7rocprim17ROCPRIM_400000_NS6detail17trampoline_kernelINS0_14default_configENS1_36segmented_radix_sort_config_selectorIdlEEZNS1_25segmented_radix_sort_implIS3_Lb0EPKdPdPKlPlN2at6native12_GLOBAL__N_18offset_tEEE10hipError_tPvRmT1_PNSt15iterator_traitsISK_E10value_typeET2_T3_PNSL_ISQ_E10value_typeET4_jRbjT5_SW_jjP12ihipStream_tbEUlT_E1_NS1_11comp_targetILNS1_3genE3ELNS1_11target_archE908ELNS1_3gpuE7ELNS1_3repE0EEENS1_59segmented_radix_sort_warp_sort_small_config_static_selectorELNS0_4arch9wavefront6targetE0EEEvSK_: ; @_ZN7rocprim17ROCPRIM_400000_NS6detail17trampoline_kernelINS0_14default_configENS1_36segmented_radix_sort_config_selectorIdlEEZNS1_25segmented_radix_sort_implIS3_Lb0EPKdPdPKlPlN2at6native12_GLOBAL__N_18offset_tEEE10hipError_tPvRmT1_PNSt15iterator_traitsISK_E10value_typeET2_T3_PNSL_ISQ_E10value_typeET4_jRbjT5_SW_jjP12ihipStream_tbEUlT_E1_NS1_11comp_targetILNS1_3genE3ELNS1_11target_archE908ELNS1_3gpuE7ELNS1_3repE0EEENS1_59segmented_radix_sort_warp_sort_small_config_static_selectorELNS0_4arch9wavefront6targetE0EEEvSK_
; %bb.0:
	.section	.rodata,"a",@progbits
	.p2align	6, 0x0
	.amdhsa_kernel _ZN7rocprim17ROCPRIM_400000_NS6detail17trampoline_kernelINS0_14default_configENS1_36segmented_radix_sort_config_selectorIdlEEZNS1_25segmented_radix_sort_implIS3_Lb0EPKdPdPKlPlN2at6native12_GLOBAL__N_18offset_tEEE10hipError_tPvRmT1_PNSt15iterator_traitsISK_E10value_typeET2_T3_PNSL_ISQ_E10value_typeET4_jRbjT5_SW_jjP12ihipStream_tbEUlT_E1_NS1_11comp_targetILNS1_3genE3ELNS1_11target_archE908ELNS1_3gpuE7ELNS1_3repE0EEENS1_59segmented_radix_sort_warp_sort_small_config_static_selectorELNS0_4arch9wavefront6targetE0EEEvSK_
		.amdhsa_group_segment_fixed_size 0
		.amdhsa_private_segment_fixed_size 0
		.amdhsa_kernarg_size 88
		.amdhsa_user_sgpr_count 2
		.amdhsa_user_sgpr_dispatch_ptr 0
		.amdhsa_user_sgpr_queue_ptr 0
		.amdhsa_user_sgpr_kernarg_segment_ptr 1
		.amdhsa_user_sgpr_dispatch_id 0
		.amdhsa_user_sgpr_kernarg_preload_length 0
		.amdhsa_user_sgpr_kernarg_preload_offset 0
		.amdhsa_user_sgpr_private_segment_size 0
		.amdhsa_wavefront_size32 1
		.amdhsa_uses_dynamic_stack 0
		.amdhsa_enable_private_segment 0
		.amdhsa_system_sgpr_workgroup_id_x 1
		.amdhsa_system_sgpr_workgroup_id_y 0
		.amdhsa_system_sgpr_workgroup_id_z 0
		.amdhsa_system_sgpr_workgroup_info 0
		.amdhsa_system_vgpr_workitem_id 0
		.amdhsa_next_free_vgpr 1
		.amdhsa_next_free_sgpr 1
		.amdhsa_named_barrier_count 0
		.amdhsa_reserve_vcc 0
		.amdhsa_float_round_mode_32 0
		.amdhsa_float_round_mode_16_64 0
		.amdhsa_float_denorm_mode_32 3
		.amdhsa_float_denorm_mode_16_64 3
		.amdhsa_fp16_overflow 0
		.amdhsa_memory_ordered 1
		.amdhsa_forward_progress 1
		.amdhsa_inst_pref_size 0
		.amdhsa_round_robin_scheduling 0
		.amdhsa_exception_fp_ieee_invalid_op 0
		.amdhsa_exception_fp_denorm_src 0
		.amdhsa_exception_fp_ieee_div_zero 0
		.amdhsa_exception_fp_ieee_overflow 0
		.amdhsa_exception_fp_ieee_underflow 0
		.amdhsa_exception_fp_ieee_inexact 0
		.amdhsa_exception_int_div_zero 0
	.end_amdhsa_kernel
	.section	.text._ZN7rocprim17ROCPRIM_400000_NS6detail17trampoline_kernelINS0_14default_configENS1_36segmented_radix_sort_config_selectorIdlEEZNS1_25segmented_radix_sort_implIS3_Lb0EPKdPdPKlPlN2at6native12_GLOBAL__N_18offset_tEEE10hipError_tPvRmT1_PNSt15iterator_traitsISK_E10value_typeET2_T3_PNSL_ISQ_E10value_typeET4_jRbjT5_SW_jjP12ihipStream_tbEUlT_E1_NS1_11comp_targetILNS1_3genE3ELNS1_11target_archE908ELNS1_3gpuE7ELNS1_3repE0EEENS1_59segmented_radix_sort_warp_sort_small_config_static_selectorELNS0_4arch9wavefront6targetE0EEEvSK_,"axG",@progbits,_ZN7rocprim17ROCPRIM_400000_NS6detail17trampoline_kernelINS0_14default_configENS1_36segmented_radix_sort_config_selectorIdlEEZNS1_25segmented_radix_sort_implIS3_Lb0EPKdPdPKlPlN2at6native12_GLOBAL__N_18offset_tEEE10hipError_tPvRmT1_PNSt15iterator_traitsISK_E10value_typeET2_T3_PNSL_ISQ_E10value_typeET4_jRbjT5_SW_jjP12ihipStream_tbEUlT_E1_NS1_11comp_targetILNS1_3genE3ELNS1_11target_archE908ELNS1_3gpuE7ELNS1_3repE0EEENS1_59segmented_radix_sort_warp_sort_small_config_static_selectorELNS0_4arch9wavefront6targetE0EEEvSK_,comdat
.Lfunc_end1239:
	.size	_ZN7rocprim17ROCPRIM_400000_NS6detail17trampoline_kernelINS0_14default_configENS1_36segmented_radix_sort_config_selectorIdlEEZNS1_25segmented_radix_sort_implIS3_Lb0EPKdPdPKlPlN2at6native12_GLOBAL__N_18offset_tEEE10hipError_tPvRmT1_PNSt15iterator_traitsISK_E10value_typeET2_T3_PNSL_ISQ_E10value_typeET4_jRbjT5_SW_jjP12ihipStream_tbEUlT_E1_NS1_11comp_targetILNS1_3genE3ELNS1_11target_archE908ELNS1_3gpuE7ELNS1_3repE0EEENS1_59segmented_radix_sort_warp_sort_small_config_static_selectorELNS0_4arch9wavefront6targetE0EEEvSK_, .Lfunc_end1239-_ZN7rocprim17ROCPRIM_400000_NS6detail17trampoline_kernelINS0_14default_configENS1_36segmented_radix_sort_config_selectorIdlEEZNS1_25segmented_radix_sort_implIS3_Lb0EPKdPdPKlPlN2at6native12_GLOBAL__N_18offset_tEEE10hipError_tPvRmT1_PNSt15iterator_traitsISK_E10value_typeET2_T3_PNSL_ISQ_E10value_typeET4_jRbjT5_SW_jjP12ihipStream_tbEUlT_E1_NS1_11comp_targetILNS1_3genE3ELNS1_11target_archE908ELNS1_3gpuE7ELNS1_3repE0EEENS1_59segmented_radix_sort_warp_sort_small_config_static_selectorELNS0_4arch9wavefront6targetE0EEEvSK_
                                        ; -- End function
	.set _ZN7rocprim17ROCPRIM_400000_NS6detail17trampoline_kernelINS0_14default_configENS1_36segmented_radix_sort_config_selectorIdlEEZNS1_25segmented_radix_sort_implIS3_Lb0EPKdPdPKlPlN2at6native12_GLOBAL__N_18offset_tEEE10hipError_tPvRmT1_PNSt15iterator_traitsISK_E10value_typeET2_T3_PNSL_ISQ_E10value_typeET4_jRbjT5_SW_jjP12ihipStream_tbEUlT_E1_NS1_11comp_targetILNS1_3genE3ELNS1_11target_archE908ELNS1_3gpuE7ELNS1_3repE0EEENS1_59segmented_radix_sort_warp_sort_small_config_static_selectorELNS0_4arch9wavefront6targetE0EEEvSK_.num_vgpr, 0
	.set _ZN7rocprim17ROCPRIM_400000_NS6detail17trampoline_kernelINS0_14default_configENS1_36segmented_radix_sort_config_selectorIdlEEZNS1_25segmented_radix_sort_implIS3_Lb0EPKdPdPKlPlN2at6native12_GLOBAL__N_18offset_tEEE10hipError_tPvRmT1_PNSt15iterator_traitsISK_E10value_typeET2_T3_PNSL_ISQ_E10value_typeET4_jRbjT5_SW_jjP12ihipStream_tbEUlT_E1_NS1_11comp_targetILNS1_3genE3ELNS1_11target_archE908ELNS1_3gpuE7ELNS1_3repE0EEENS1_59segmented_radix_sort_warp_sort_small_config_static_selectorELNS0_4arch9wavefront6targetE0EEEvSK_.num_agpr, 0
	.set _ZN7rocprim17ROCPRIM_400000_NS6detail17trampoline_kernelINS0_14default_configENS1_36segmented_radix_sort_config_selectorIdlEEZNS1_25segmented_radix_sort_implIS3_Lb0EPKdPdPKlPlN2at6native12_GLOBAL__N_18offset_tEEE10hipError_tPvRmT1_PNSt15iterator_traitsISK_E10value_typeET2_T3_PNSL_ISQ_E10value_typeET4_jRbjT5_SW_jjP12ihipStream_tbEUlT_E1_NS1_11comp_targetILNS1_3genE3ELNS1_11target_archE908ELNS1_3gpuE7ELNS1_3repE0EEENS1_59segmented_radix_sort_warp_sort_small_config_static_selectorELNS0_4arch9wavefront6targetE0EEEvSK_.numbered_sgpr, 0
	.set _ZN7rocprim17ROCPRIM_400000_NS6detail17trampoline_kernelINS0_14default_configENS1_36segmented_radix_sort_config_selectorIdlEEZNS1_25segmented_radix_sort_implIS3_Lb0EPKdPdPKlPlN2at6native12_GLOBAL__N_18offset_tEEE10hipError_tPvRmT1_PNSt15iterator_traitsISK_E10value_typeET2_T3_PNSL_ISQ_E10value_typeET4_jRbjT5_SW_jjP12ihipStream_tbEUlT_E1_NS1_11comp_targetILNS1_3genE3ELNS1_11target_archE908ELNS1_3gpuE7ELNS1_3repE0EEENS1_59segmented_radix_sort_warp_sort_small_config_static_selectorELNS0_4arch9wavefront6targetE0EEEvSK_.num_named_barrier, 0
	.set _ZN7rocprim17ROCPRIM_400000_NS6detail17trampoline_kernelINS0_14default_configENS1_36segmented_radix_sort_config_selectorIdlEEZNS1_25segmented_radix_sort_implIS3_Lb0EPKdPdPKlPlN2at6native12_GLOBAL__N_18offset_tEEE10hipError_tPvRmT1_PNSt15iterator_traitsISK_E10value_typeET2_T3_PNSL_ISQ_E10value_typeET4_jRbjT5_SW_jjP12ihipStream_tbEUlT_E1_NS1_11comp_targetILNS1_3genE3ELNS1_11target_archE908ELNS1_3gpuE7ELNS1_3repE0EEENS1_59segmented_radix_sort_warp_sort_small_config_static_selectorELNS0_4arch9wavefront6targetE0EEEvSK_.private_seg_size, 0
	.set _ZN7rocprim17ROCPRIM_400000_NS6detail17trampoline_kernelINS0_14default_configENS1_36segmented_radix_sort_config_selectorIdlEEZNS1_25segmented_radix_sort_implIS3_Lb0EPKdPdPKlPlN2at6native12_GLOBAL__N_18offset_tEEE10hipError_tPvRmT1_PNSt15iterator_traitsISK_E10value_typeET2_T3_PNSL_ISQ_E10value_typeET4_jRbjT5_SW_jjP12ihipStream_tbEUlT_E1_NS1_11comp_targetILNS1_3genE3ELNS1_11target_archE908ELNS1_3gpuE7ELNS1_3repE0EEENS1_59segmented_radix_sort_warp_sort_small_config_static_selectorELNS0_4arch9wavefront6targetE0EEEvSK_.uses_vcc, 0
	.set _ZN7rocprim17ROCPRIM_400000_NS6detail17trampoline_kernelINS0_14default_configENS1_36segmented_radix_sort_config_selectorIdlEEZNS1_25segmented_radix_sort_implIS3_Lb0EPKdPdPKlPlN2at6native12_GLOBAL__N_18offset_tEEE10hipError_tPvRmT1_PNSt15iterator_traitsISK_E10value_typeET2_T3_PNSL_ISQ_E10value_typeET4_jRbjT5_SW_jjP12ihipStream_tbEUlT_E1_NS1_11comp_targetILNS1_3genE3ELNS1_11target_archE908ELNS1_3gpuE7ELNS1_3repE0EEENS1_59segmented_radix_sort_warp_sort_small_config_static_selectorELNS0_4arch9wavefront6targetE0EEEvSK_.uses_flat_scratch, 0
	.set _ZN7rocprim17ROCPRIM_400000_NS6detail17trampoline_kernelINS0_14default_configENS1_36segmented_radix_sort_config_selectorIdlEEZNS1_25segmented_radix_sort_implIS3_Lb0EPKdPdPKlPlN2at6native12_GLOBAL__N_18offset_tEEE10hipError_tPvRmT1_PNSt15iterator_traitsISK_E10value_typeET2_T3_PNSL_ISQ_E10value_typeET4_jRbjT5_SW_jjP12ihipStream_tbEUlT_E1_NS1_11comp_targetILNS1_3genE3ELNS1_11target_archE908ELNS1_3gpuE7ELNS1_3repE0EEENS1_59segmented_radix_sort_warp_sort_small_config_static_selectorELNS0_4arch9wavefront6targetE0EEEvSK_.has_dyn_sized_stack, 0
	.set _ZN7rocprim17ROCPRIM_400000_NS6detail17trampoline_kernelINS0_14default_configENS1_36segmented_radix_sort_config_selectorIdlEEZNS1_25segmented_radix_sort_implIS3_Lb0EPKdPdPKlPlN2at6native12_GLOBAL__N_18offset_tEEE10hipError_tPvRmT1_PNSt15iterator_traitsISK_E10value_typeET2_T3_PNSL_ISQ_E10value_typeET4_jRbjT5_SW_jjP12ihipStream_tbEUlT_E1_NS1_11comp_targetILNS1_3genE3ELNS1_11target_archE908ELNS1_3gpuE7ELNS1_3repE0EEENS1_59segmented_radix_sort_warp_sort_small_config_static_selectorELNS0_4arch9wavefront6targetE0EEEvSK_.has_recursion, 0
	.set _ZN7rocprim17ROCPRIM_400000_NS6detail17trampoline_kernelINS0_14default_configENS1_36segmented_radix_sort_config_selectorIdlEEZNS1_25segmented_radix_sort_implIS3_Lb0EPKdPdPKlPlN2at6native12_GLOBAL__N_18offset_tEEE10hipError_tPvRmT1_PNSt15iterator_traitsISK_E10value_typeET2_T3_PNSL_ISQ_E10value_typeET4_jRbjT5_SW_jjP12ihipStream_tbEUlT_E1_NS1_11comp_targetILNS1_3genE3ELNS1_11target_archE908ELNS1_3gpuE7ELNS1_3repE0EEENS1_59segmented_radix_sort_warp_sort_small_config_static_selectorELNS0_4arch9wavefront6targetE0EEEvSK_.has_indirect_call, 0
	.section	.AMDGPU.csdata,"",@progbits
; Kernel info:
; codeLenInByte = 0
; TotalNumSgprs: 0
; NumVgprs: 0
; ScratchSize: 0
; MemoryBound: 0
; FloatMode: 240
; IeeeMode: 1
; LDSByteSize: 0 bytes/workgroup (compile time only)
; SGPRBlocks: 0
; VGPRBlocks: 0
; NumSGPRsForWavesPerEU: 1
; NumVGPRsForWavesPerEU: 1
; NamedBarCnt: 0
; Occupancy: 16
; WaveLimiterHint : 0
; COMPUTE_PGM_RSRC2:SCRATCH_EN: 0
; COMPUTE_PGM_RSRC2:USER_SGPR: 2
; COMPUTE_PGM_RSRC2:TRAP_HANDLER: 0
; COMPUTE_PGM_RSRC2:TGID_X_EN: 1
; COMPUTE_PGM_RSRC2:TGID_Y_EN: 0
; COMPUTE_PGM_RSRC2:TGID_Z_EN: 0
; COMPUTE_PGM_RSRC2:TIDIG_COMP_CNT: 0
	.section	.text._ZN7rocprim17ROCPRIM_400000_NS6detail17trampoline_kernelINS0_14default_configENS1_36segmented_radix_sort_config_selectorIdlEEZNS1_25segmented_radix_sort_implIS3_Lb0EPKdPdPKlPlN2at6native12_GLOBAL__N_18offset_tEEE10hipError_tPvRmT1_PNSt15iterator_traitsISK_E10value_typeET2_T3_PNSL_ISQ_E10value_typeET4_jRbjT5_SW_jjP12ihipStream_tbEUlT_E1_NS1_11comp_targetILNS1_3genE2ELNS1_11target_archE906ELNS1_3gpuE6ELNS1_3repE0EEENS1_59segmented_radix_sort_warp_sort_small_config_static_selectorELNS0_4arch9wavefront6targetE0EEEvSK_,"axG",@progbits,_ZN7rocprim17ROCPRIM_400000_NS6detail17trampoline_kernelINS0_14default_configENS1_36segmented_radix_sort_config_selectorIdlEEZNS1_25segmented_radix_sort_implIS3_Lb0EPKdPdPKlPlN2at6native12_GLOBAL__N_18offset_tEEE10hipError_tPvRmT1_PNSt15iterator_traitsISK_E10value_typeET2_T3_PNSL_ISQ_E10value_typeET4_jRbjT5_SW_jjP12ihipStream_tbEUlT_E1_NS1_11comp_targetILNS1_3genE2ELNS1_11target_archE906ELNS1_3gpuE6ELNS1_3repE0EEENS1_59segmented_radix_sort_warp_sort_small_config_static_selectorELNS0_4arch9wavefront6targetE0EEEvSK_,comdat
	.globl	_ZN7rocprim17ROCPRIM_400000_NS6detail17trampoline_kernelINS0_14default_configENS1_36segmented_radix_sort_config_selectorIdlEEZNS1_25segmented_radix_sort_implIS3_Lb0EPKdPdPKlPlN2at6native12_GLOBAL__N_18offset_tEEE10hipError_tPvRmT1_PNSt15iterator_traitsISK_E10value_typeET2_T3_PNSL_ISQ_E10value_typeET4_jRbjT5_SW_jjP12ihipStream_tbEUlT_E1_NS1_11comp_targetILNS1_3genE2ELNS1_11target_archE906ELNS1_3gpuE6ELNS1_3repE0EEENS1_59segmented_radix_sort_warp_sort_small_config_static_selectorELNS0_4arch9wavefront6targetE0EEEvSK_ ; -- Begin function _ZN7rocprim17ROCPRIM_400000_NS6detail17trampoline_kernelINS0_14default_configENS1_36segmented_radix_sort_config_selectorIdlEEZNS1_25segmented_radix_sort_implIS3_Lb0EPKdPdPKlPlN2at6native12_GLOBAL__N_18offset_tEEE10hipError_tPvRmT1_PNSt15iterator_traitsISK_E10value_typeET2_T3_PNSL_ISQ_E10value_typeET4_jRbjT5_SW_jjP12ihipStream_tbEUlT_E1_NS1_11comp_targetILNS1_3genE2ELNS1_11target_archE906ELNS1_3gpuE6ELNS1_3repE0EEENS1_59segmented_radix_sort_warp_sort_small_config_static_selectorELNS0_4arch9wavefront6targetE0EEEvSK_
	.p2align	8
	.type	_ZN7rocprim17ROCPRIM_400000_NS6detail17trampoline_kernelINS0_14default_configENS1_36segmented_radix_sort_config_selectorIdlEEZNS1_25segmented_radix_sort_implIS3_Lb0EPKdPdPKlPlN2at6native12_GLOBAL__N_18offset_tEEE10hipError_tPvRmT1_PNSt15iterator_traitsISK_E10value_typeET2_T3_PNSL_ISQ_E10value_typeET4_jRbjT5_SW_jjP12ihipStream_tbEUlT_E1_NS1_11comp_targetILNS1_3genE2ELNS1_11target_archE906ELNS1_3gpuE6ELNS1_3repE0EEENS1_59segmented_radix_sort_warp_sort_small_config_static_selectorELNS0_4arch9wavefront6targetE0EEEvSK_,@function
_ZN7rocprim17ROCPRIM_400000_NS6detail17trampoline_kernelINS0_14default_configENS1_36segmented_radix_sort_config_selectorIdlEEZNS1_25segmented_radix_sort_implIS3_Lb0EPKdPdPKlPlN2at6native12_GLOBAL__N_18offset_tEEE10hipError_tPvRmT1_PNSt15iterator_traitsISK_E10value_typeET2_T3_PNSL_ISQ_E10value_typeET4_jRbjT5_SW_jjP12ihipStream_tbEUlT_E1_NS1_11comp_targetILNS1_3genE2ELNS1_11target_archE906ELNS1_3gpuE6ELNS1_3repE0EEENS1_59segmented_radix_sort_warp_sort_small_config_static_selectorELNS0_4arch9wavefront6targetE0EEEvSK_: ; @_ZN7rocprim17ROCPRIM_400000_NS6detail17trampoline_kernelINS0_14default_configENS1_36segmented_radix_sort_config_selectorIdlEEZNS1_25segmented_radix_sort_implIS3_Lb0EPKdPdPKlPlN2at6native12_GLOBAL__N_18offset_tEEE10hipError_tPvRmT1_PNSt15iterator_traitsISK_E10value_typeET2_T3_PNSL_ISQ_E10value_typeET4_jRbjT5_SW_jjP12ihipStream_tbEUlT_E1_NS1_11comp_targetILNS1_3genE2ELNS1_11target_archE906ELNS1_3gpuE6ELNS1_3repE0EEENS1_59segmented_radix_sort_warp_sort_small_config_static_selectorELNS0_4arch9wavefront6targetE0EEEvSK_
; %bb.0:
	.section	.rodata,"a",@progbits
	.p2align	6, 0x0
	.amdhsa_kernel _ZN7rocprim17ROCPRIM_400000_NS6detail17trampoline_kernelINS0_14default_configENS1_36segmented_radix_sort_config_selectorIdlEEZNS1_25segmented_radix_sort_implIS3_Lb0EPKdPdPKlPlN2at6native12_GLOBAL__N_18offset_tEEE10hipError_tPvRmT1_PNSt15iterator_traitsISK_E10value_typeET2_T3_PNSL_ISQ_E10value_typeET4_jRbjT5_SW_jjP12ihipStream_tbEUlT_E1_NS1_11comp_targetILNS1_3genE2ELNS1_11target_archE906ELNS1_3gpuE6ELNS1_3repE0EEENS1_59segmented_radix_sort_warp_sort_small_config_static_selectorELNS0_4arch9wavefront6targetE0EEEvSK_
		.amdhsa_group_segment_fixed_size 0
		.amdhsa_private_segment_fixed_size 0
		.amdhsa_kernarg_size 88
		.amdhsa_user_sgpr_count 2
		.amdhsa_user_sgpr_dispatch_ptr 0
		.amdhsa_user_sgpr_queue_ptr 0
		.amdhsa_user_sgpr_kernarg_segment_ptr 1
		.amdhsa_user_sgpr_dispatch_id 0
		.amdhsa_user_sgpr_kernarg_preload_length 0
		.amdhsa_user_sgpr_kernarg_preload_offset 0
		.amdhsa_user_sgpr_private_segment_size 0
		.amdhsa_wavefront_size32 1
		.amdhsa_uses_dynamic_stack 0
		.amdhsa_enable_private_segment 0
		.amdhsa_system_sgpr_workgroup_id_x 1
		.amdhsa_system_sgpr_workgroup_id_y 0
		.amdhsa_system_sgpr_workgroup_id_z 0
		.amdhsa_system_sgpr_workgroup_info 0
		.amdhsa_system_vgpr_workitem_id 0
		.amdhsa_next_free_vgpr 1
		.amdhsa_next_free_sgpr 1
		.amdhsa_named_barrier_count 0
		.amdhsa_reserve_vcc 0
		.amdhsa_float_round_mode_32 0
		.amdhsa_float_round_mode_16_64 0
		.amdhsa_float_denorm_mode_32 3
		.amdhsa_float_denorm_mode_16_64 3
		.amdhsa_fp16_overflow 0
		.amdhsa_memory_ordered 1
		.amdhsa_forward_progress 1
		.amdhsa_inst_pref_size 0
		.amdhsa_round_robin_scheduling 0
		.amdhsa_exception_fp_ieee_invalid_op 0
		.amdhsa_exception_fp_denorm_src 0
		.amdhsa_exception_fp_ieee_div_zero 0
		.amdhsa_exception_fp_ieee_overflow 0
		.amdhsa_exception_fp_ieee_underflow 0
		.amdhsa_exception_fp_ieee_inexact 0
		.amdhsa_exception_int_div_zero 0
	.end_amdhsa_kernel
	.section	.text._ZN7rocprim17ROCPRIM_400000_NS6detail17trampoline_kernelINS0_14default_configENS1_36segmented_radix_sort_config_selectorIdlEEZNS1_25segmented_radix_sort_implIS3_Lb0EPKdPdPKlPlN2at6native12_GLOBAL__N_18offset_tEEE10hipError_tPvRmT1_PNSt15iterator_traitsISK_E10value_typeET2_T3_PNSL_ISQ_E10value_typeET4_jRbjT5_SW_jjP12ihipStream_tbEUlT_E1_NS1_11comp_targetILNS1_3genE2ELNS1_11target_archE906ELNS1_3gpuE6ELNS1_3repE0EEENS1_59segmented_radix_sort_warp_sort_small_config_static_selectorELNS0_4arch9wavefront6targetE0EEEvSK_,"axG",@progbits,_ZN7rocprim17ROCPRIM_400000_NS6detail17trampoline_kernelINS0_14default_configENS1_36segmented_radix_sort_config_selectorIdlEEZNS1_25segmented_radix_sort_implIS3_Lb0EPKdPdPKlPlN2at6native12_GLOBAL__N_18offset_tEEE10hipError_tPvRmT1_PNSt15iterator_traitsISK_E10value_typeET2_T3_PNSL_ISQ_E10value_typeET4_jRbjT5_SW_jjP12ihipStream_tbEUlT_E1_NS1_11comp_targetILNS1_3genE2ELNS1_11target_archE906ELNS1_3gpuE6ELNS1_3repE0EEENS1_59segmented_radix_sort_warp_sort_small_config_static_selectorELNS0_4arch9wavefront6targetE0EEEvSK_,comdat
.Lfunc_end1240:
	.size	_ZN7rocprim17ROCPRIM_400000_NS6detail17trampoline_kernelINS0_14default_configENS1_36segmented_radix_sort_config_selectorIdlEEZNS1_25segmented_radix_sort_implIS3_Lb0EPKdPdPKlPlN2at6native12_GLOBAL__N_18offset_tEEE10hipError_tPvRmT1_PNSt15iterator_traitsISK_E10value_typeET2_T3_PNSL_ISQ_E10value_typeET4_jRbjT5_SW_jjP12ihipStream_tbEUlT_E1_NS1_11comp_targetILNS1_3genE2ELNS1_11target_archE906ELNS1_3gpuE6ELNS1_3repE0EEENS1_59segmented_radix_sort_warp_sort_small_config_static_selectorELNS0_4arch9wavefront6targetE0EEEvSK_, .Lfunc_end1240-_ZN7rocprim17ROCPRIM_400000_NS6detail17trampoline_kernelINS0_14default_configENS1_36segmented_radix_sort_config_selectorIdlEEZNS1_25segmented_radix_sort_implIS3_Lb0EPKdPdPKlPlN2at6native12_GLOBAL__N_18offset_tEEE10hipError_tPvRmT1_PNSt15iterator_traitsISK_E10value_typeET2_T3_PNSL_ISQ_E10value_typeET4_jRbjT5_SW_jjP12ihipStream_tbEUlT_E1_NS1_11comp_targetILNS1_3genE2ELNS1_11target_archE906ELNS1_3gpuE6ELNS1_3repE0EEENS1_59segmented_radix_sort_warp_sort_small_config_static_selectorELNS0_4arch9wavefront6targetE0EEEvSK_
                                        ; -- End function
	.set _ZN7rocprim17ROCPRIM_400000_NS6detail17trampoline_kernelINS0_14default_configENS1_36segmented_radix_sort_config_selectorIdlEEZNS1_25segmented_radix_sort_implIS3_Lb0EPKdPdPKlPlN2at6native12_GLOBAL__N_18offset_tEEE10hipError_tPvRmT1_PNSt15iterator_traitsISK_E10value_typeET2_T3_PNSL_ISQ_E10value_typeET4_jRbjT5_SW_jjP12ihipStream_tbEUlT_E1_NS1_11comp_targetILNS1_3genE2ELNS1_11target_archE906ELNS1_3gpuE6ELNS1_3repE0EEENS1_59segmented_radix_sort_warp_sort_small_config_static_selectorELNS0_4arch9wavefront6targetE0EEEvSK_.num_vgpr, 0
	.set _ZN7rocprim17ROCPRIM_400000_NS6detail17trampoline_kernelINS0_14default_configENS1_36segmented_radix_sort_config_selectorIdlEEZNS1_25segmented_radix_sort_implIS3_Lb0EPKdPdPKlPlN2at6native12_GLOBAL__N_18offset_tEEE10hipError_tPvRmT1_PNSt15iterator_traitsISK_E10value_typeET2_T3_PNSL_ISQ_E10value_typeET4_jRbjT5_SW_jjP12ihipStream_tbEUlT_E1_NS1_11comp_targetILNS1_3genE2ELNS1_11target_archE906ELNS1_3gpuE6ELNS1_3repE0EEENS1_59segmented_radix_sort_warp_sort_small_config_static_selectorELNS0_4arch9wavefront6targetE0EEEvSK_.num_agpr, 0
	.set _ZN7rocprim17ROCPRIM_400000_NS6detail17trampoline_kernelINS0_14default_configENS1_36segmented_radix_sort_config_selectorIdlEEZNS1_25segmented_radix_sort_implIS3_Lb0EPKdPdPKlPlN2at6native12_GLOBAL__N_18offset_tEEE10hipError_tPvRmT1_PNSt15iterator_traitsISK_E10value_typeET2_T3_PNSL_ISQ_E10value_typeET4_jRbjT5_SW_jjP12ihipStream_tbEUlT_E1_NS1_11comp_targetILNS1_3genE2ELNS1_11target_archE906ELNS1_3gpuE6ELNS1_3repE0EEENS1_59segmented_radix_sort_warp_sort_small_config_static_selectorELNS0_4arch9wavefront6targetE0EEEvSK_.numbered_sgpr, 0
	.set _ZN7rocprim17ROCPRIM_400000_NS6detail17trampoline_kernelINS0_14default_configENS1_36segmented_radix_sort_config_selectorIdlEEZNS1_25segmented_radix_sort_implIS3_Lb0EPKdPdPKlPlN2at6native12_GLOBAL__N_18offset_tEEE10hipError_tPvRmT1_PNSt15iterator_traitsISK_E10value_typeET2_T3_PNSL_ISQ_E10value_typeET4_jRbjT5_SW_jjP12ihipStream_tbEUlT_E1_NS1_11comp_targetILNS1_3genE2ELNS1_11target_archE906ELNS1_3gpuE6ELNS1_3repE0EEENS1_59segmented_radix_sort_warp_sort_small_config_static_selectorELNS0_4arch9wavefront6targetE0EEEvSK_.num_named_barrier, 0
	.set _ZN7rocprim17ROCPRIM_400000_NS6detail17trampoline_kernelINS0_14default_configENS1_36segmented_radix_sort_config_selectorIdlEEZNS1_25segmented_radix_sort_implIS3_Lb0EPKdPdPKlPlN2at6native12_GLOBAL__N_18offset_tEEE10hipError_tPvRmT1_PNSt15iterator_traitsISK_E10value_typeET2_T3_PNSL_ISQ_E10value_typeET4_jRbjT5_SW_jjP12ihipStream_tbEUlT_E1_NS1_11comp_targetILNS1_3genE2ELNS1_11target_archE906ELNS1_3gpuE6ELNS1_3repE0EEENS1_59segmented_radix_sort_warp_sort_small_config_static_selectorELNS0_4arch9wavefront6targetE0EEEvSK_.private_seg_size, 0
	.set _ZN7rocprim17ROCPRIM_400000_NS6detail17trampoline_kernelINS0_14default_configENS1_36segmented_radix_sort_config_selectorIdlEEZNS1_25segmented_radix_sort_implIS3_Lb0EPKdPdPKlPlN2at6native12_GLOBAL__N_18offset_tEEE10hipError_tPvRmT1_PNSt15iterator_traitsISK_E10value_typeET2_T3_PNSL_ISQ_E10value_typeET4_jRbjT5_SW_jjP12ihipStream_tbEUlT_E1_NS1_11comp_targetILNS1_3genE2ELNS1_11target_archE906ELNS1_3gpuE6ELNS1_3repE0EEENS1_59segmented_radix_sort_warp_sort_small_config_static_selectorELNS0_4arch9wavefront6targetE0EEEvSK_.uses_vcc, 0
	.set _ZN7rocprim17ROCPRIM_400000_NS6detail17trampoline_kernelINS0_14default_configENS1_36segmented_radix_sort_config_selectorIdlEEZNS1_25segmented_radix_sort_implIS3_Lb0EPKdPdPKlPlN2at6native12_GLOBAL__N_18offset_tEEE10hipError_tPvRmT1_PNSt15iterator_traitsISK_E10value_typeET2_T3_PNSL_ISQ_E10value_typeET4_jRbjT5_SW_jjP12ihipStream_tbEUlT_E1_NS1_11comp_targetILNS1_3genE2ELNS1_11target_archE906ELNS1_3gpuE6ELNS1_3repE0EEENS1_59segmented_radix_sort_warp_sort_small_config_static_selectorELNS0_4arch9wavefront6targetE0EEEvSK_.uses_flat_scratch, 0
	.set _ZN7rocprim17ROCPRIM_400000_NS6detail17trampoline_kernelINS0_14default_configENS1_36segmented_radix_sort_config_selectorIdlEEZNS1_25segmented_radix_sort_implIS3_Lb0EPKdPdPKlPlN2at6native12_GLOBAL__N_18offset_tEEE10hipError_tPvRmT1_PNSt15iterator_traitsISK_E10value_typeET2_T3_PNSL_ISQ_E10value_typeET4_jRbjT5_SW_jjP12ihipStream_tbEUlT_E1_NS1_11comp_targetILNS1_3genE2ELNS1_11target_archE906ELNS1_3gpuE6ELNS1_3repE0EEENS1_59segmented_radix_sort_warp_sort_small_config_static_selectorELNS0_4arch9wavefront6targetE0EEEvSK_.has_dyn_sized_stack, 0
	.set _ZN7rocprim17ROCPRIM_400000_NS6detail17trampoline_kernelINS0_14default_configENS1_36segmented_radix_sort_config_selectorIdlEEZNS1_25segmented_radix_sort_implIS3_Lb0EPKdPdPKlPlN2at6native12_GLOBAL__N_18offset_tEEE10hipError_tPvRmT1_PNSt15iterator_traitsISK_E10value_typeET2_T3_PNSL_ISQ_E10value_typeET4_jRbjT5_SW_jjP12ihipStream_tbEUlT_E1_NS1_11comp_targetILNS1_3genE2ELNS1_11target_archE906ELNS1_3gpuE6ELNS1_3repE0EEENS1_59segmented_radix_sort_warp_sort_small_config_static_selectorELNS0_4arch9wavefront6targetE0EEEvSK_.has_recursion, 0
	.set _ZN7rocprim17ROCPRIM_400000_NS6detail17trampoline_kernelINS0_14default_configENS1_36segmented_radix_sort_config_selectorIdlEEZNS1_25segmented_radix_sort_implIS3_Lb0EPKdPdPKlPlN2at6native12_GLOBAL__N_18offset_tEEE10hipError_tPvRmT1_PNSt15iterator_traitsISK_E10value_typeET2_T3_PNSL_ISQ_E10value_typeET4_jRbjT5_SW_jjP12ihipStream_tbEUlT_E1_NS1_11comp_targetILNS1_3genE2ELNS1_11target_archE906ELNS1_3gpuE6ELNS1_3repE0EEENS1_59segmented_radix_sort_warp_sort_small_config_static_selectorELNS0_4arch9wavefront6targetE0EEEvSK_.has_indirect_call, 0
	.section	.AMDGPU.csdata,"",@progbits
; Kernel info:
; codeLenInByte = 0
; TotalNumSgprs: 0
; NumVgprs: 0
; ScratchSize: 0
; MemoryBound: 0
; FloatMode: 240
; IeeeMode: 1
; LDSByteSize: 0 bytes/workgroup (compile time only)
; SGPRBlocks: 0
; VGPRBlocks: 0
; NumSGPRsForWavesPerEU: 1
; NumVGPRsForWavesPerEU: 1
; NamedBarCnt: 0
; Occupancy: 16
; WaveLimiterHint : 0
; COMPUTE_PGM_RSRC2:SCRATCH_EN: 0
; COMPUTE_PGM_RSRC2:USER_SGPR: 2
; COMPUTE_PGM_RSRC2:TRAP_HANDLER: 0
; COMPUTE_PGM_RSRC2:TGID_X_EN: 1
; COMPUTE_PGM_RSRC2:TGID_Y_EN: 0
; COMPUTE_PGM_RSRC2:TGID_Z_EN: 0
; COMPUTE_PGM_RSRC2:TIDIG_COMP_CNT: 0
	.section	.text._ZN7rocprim17ROCPRIM_400000_NS6detail17trampoline_kernelINS0_14default_configENS1_36segmented_radix_sort_config_selectorIdlEEZNS1_25segmented_radix_sort_implIS3_Lb0EPKdPdPKlPlN2at6native12_GLOBAL__N_18offset_tEEE10hipError_tPvRmT1_PNSt15iterator_traitsISK_E10value_typeET2_T3_PNSL_ISQ_E10value_typeET4_jRbjT5_SW_jjP12ihipStream_tbEUlT_E1_NS1_11comp_targetILNS1_3genE10ELNS1_11target_archE1201ELNS1_3gpuE5ELNS1_3repE0EEENS1_59segmented_radix_sort_warp_sort_small_config_static_selectorELNS0_4arch9wavefront6targetE0EEEvSK_,"axG",@progbits,_ZN7rocprim17ROCPRIM_400000_NS6detail17trampoline_kernelINS0_14default_configENS1_36segmented_radix_sort_config_selectorIdlEEZNS1_25segmented_radix_sort_implIS3_Lb0EPKdPdPKlPlN2at6native12_GLOBAL__N_18offset_tEEE10hipError_tPvRmT1_PNSt15iterator_traitsISK_E10value_typeET2_T3_PNSL_ISQ_E10value_typeET4_jRbjT5_SW_jjP12ihipStream_tbEUlT_E1_NS1_11comp_targetILNS1_3genE10ELNS1_11target_archE1201ELNS1_3gpuE5ELNS1_3repE0EEENS1_59segmented_radix_sort_warp_sort_small_config_static_selectorELNS0_4arch9wavefront6targetE0EEEvSK_,comdat
	.globl	_ZN7rocprim17ROCPRIM_400000_NS6detail17trampoline_kernelINS0_14default_configENS1_36segmented_radix_sort_config_selectorIdlEEZNS1_25segmented_radix_sort_implIS3_Lb0EPKdPdPKlPlN2at6native12_GLOBAL__N_18offset_tEEE10hipError_tPvRmT1_PNSt15iterator_traitsISK_E10value_typeET2_T3_PNSL_ISQ_E10value_typeET4_jRbjT5_SW_jjP12ihipStream_tbEUlT_E1_NS1_11comp_targetILNS1_3genE10ELNS1_11target_archE1201ELNS1_3gpuE5ELNS1_3repE0EEENS1_59segmented_radix_sort_warp_sort_small_config_static_selectorELNS0_4arch9wavefront6targetE0EEEvSK_ ; -- Begin function _ZN7rocprim17ROCPRIM_400000_NS6detail17trampoline_kernelINS0_14default_configENS1_36segmented_radix_sort_config_selectorIdlEEZNS1_25segmented_radix_sort_implIS3_Lb0EPKdPdPKlPlN2at6native12_GLOBAL__N_18offset_tEEE10hipError_tPvRmT1_PNSt15iterator_traitsISK_E10value_typeET2_T3_PNSL_ISQ_E10value_typeET4_jRbjT5_SW_jjP12ihipStream_tbEUlT_E1_NS1_11comp_targetILNS1_3genE10ELNS1_11target_archE1201ELNS1_3gpuE5ELNS1_3repE0EEENS1_59segmented_radix_sort_warp_sort_small_config_static_selectorELNS0_4arch9wavefront6targetE0EEEvSK_
	.p2align	8
	.type	_ZN7rocprim17ROCPRIM_400000_NS6detail17trampoline_kernelINS0_14default_configENS1_36segmented_radix_sort_config_selectorIdlEEZNS1_25segmented_radix_sort_implIS3_Lb0EPKdPdPKlPlN2at6native12_GLOBAL__N_18offset_tEEE10hipError_tPvRmT1_PNSt15iterator_traitsISK_E10value_typeET2_T3_PNSL_ISQ_E10value_typeET4_jRbjT5_SW_jjP12ihipStream_tbEUlT_E1_NS1_11comp_targetILNS1_3genE10ELNS1_11target_archE1201ELNS1_3gpuE5ELNS1_3repE0EEENS1_59segmented_radix_sort_warp_sort_small_config_static_selectorELNS0_4arch9wavefront6targetE0EEEvSK_,@function
_ZN7rocprim17ROCPRIM_400000_NS6detail17trampoline_kernelINS0_14default_configENS1_36segmented_radix_sort_config_selectorIdlEEZNS1_25segmented_radix_sort_implIS3_Lb0EPKdPdPKlPlN2at6native12_GLOBAL__N_18offset_tEEE10hipError_tPvRmT1_PNSt15iterator_traitsISK_E10value_typeET2_T3_PNSL_ISQ_E10value_typeET4_jRbjT5_SW_jjP12ihipStream_tbEUlT_E1_NS1_11comp_targetILNS1_3genE10ELNS1_11target_archE1201ELNS1_3gpuE5ELNS1_3repE0EEENS1_59segmented_radix_sort_warp_sort_small_config_static_selectorELNS0_4arch9wavefront6targetE0EEEvSK_: ; @_ZN7rocprim17ROCPRIM_400000_NS6detail17trampoline_kernelINS0_14default_configENS1_36segmented_radix_sort_config_selectorIdlEEZNS1_25segmented_radix_sort_implIS3_Lb0EPKdPdPKlPlN2at6native12_GLOBAL__N_18offset_tEEE10hipError_tPvRmT1_PNSt15iterator_traitsISK_E10value_typeET2_T3_PNSL_ISQ_E10value_typeET4_jRbjT5_SW_jjP12ihipStream_tbEUlT_E1_NS1_11comp_targetILNS1_3genE10ELNS1_11target_archE1201ELNS1_3gpuE5ELNS1_3repE0EEENS1_59segmented_radix_sort_warp_sort_small_config_static_selectorELNS0_4arch9wavefront6targetE0EEEvSK_
; %bb.0:
	.section	.rodata,"a",@progbits
	.p2align	6, 0x0
	.amdhsa_kernel _ZN7rocprim17ROCPRIM_400000_NS6detail17trampoline_kernelINS0_14default_configENS1_36segmented_radix_sort_config_selectorIdlEEZNS1_25segmented_radix_sort_implIS3_Lb0EPKdPdPKlPlN2at6native12_GLOBAL__N_18offset_tEEE10hipError_tPvRmT1_PNSt15iterator_traitsISK_E10value_typeET2_T3_PNSL_ISQ_E10value_typeET4_jRbjT5_SW_jjP12ihipStream_tbEUlT_E1_NS1_11comp_targetILNS1_3genE10ELNS1_11target_archE1201ELNS1_3gpuE5ELNS1_3repE0EEENS1_59segmented_radix_sort_warp_sort_small_config_static_selectorELNS0_4arch9wavefront6targetE0EEEvSK_
		.amdhsa_group_segment_fixed_size 0
		.amdhsa_private_segment_fixed_size 0
		.amdhsa_kernarg_size 88
		.amdhsa_user_sgpr_count 2
		.amdhsa_user_sgpr_dispatch_ptr 0
		.amdhsa_user_sgpr_queue_ptr 0
		.amdhsa_user_sgpr_kernarg_segment_ptr 1
		.amdhsa_user_sgpr_dispatch_id 0
		.amdhsa_user_sgpr_kernarg_preload_length 0
		.amdhsa_user_sgpr_kernarg_preload_offset 0
		.amdhsa_user_sgpr_private_segment_size 0
		.amdhsa_wavefront_size32 1
		.amdhsa_uses_dynamic_stack 0
		.amdhsa_enable_private_segment 0
		.amdhsa_system_sgpr_workgroup_id_x 1
		.amdhsa_system_sgpr_workgroup_id_y 0
		.amdhsa_system_sgpr_workgroup_id_z 0
		.amdhsa_system_sgpr_workgroup_info 0
		.amdhsa_system_vgpr_workitem_id 0
		.amdhsa_next_free_vgpr 1
		.amdhsa_next_free_sgpr 1
		.amdhsa_named_barrier_count 0
		.amdhsa_reserve_vcc 0
		.amdhsa_float_round_mode_32 0
		.amdhsa_float_round_mode_16_64 0
		.amdhsa_float_denorm_mode_32 3
		.amdhsa_float_denorm_mode_16_64 3
		.amdhsa_fp16_overflow 0
		.amdhsa_memory_ordered 1
		.amdhsa_forward_progress 1
		.amdhsa_inst_pref_size 0
		.amdhsa_round_robin_scheduling 0
		.amdhsa_exception_fp_ieee_invalid_op 0
		.amdhsa_exception_fp_denorm_src 0
		.amdhsa_exception_fp_ieee_div_zero 0
		.amdhsa_exception_fp_ieee_overflow 0
		.amdhsa_exception_fp_ieee_underflow 0
		.amdhsa_exception_fp_ieee_inexact 0
		.amdhsa_exception_int_div_zero 0
	.end_amdhsa_kernel
	.section	.text._ZN7rocprim17ROCPRIM_400000_NS6detail17trampoline_kernelINS0_14default_configENS1_36segmented_radix_sort_config_selectorIdlEEZNS1_25segmented_radix_sort_implIS3_Lb0EPKdPdPKlPlN2at6native12_GLOBAL__N_18offset_tEEE10hipError_tPvRmT1_PNSt15iterator_traitsISK_E10value_typeET2_T3_PNSL_ISQ_E10value_typeET4_jRbjT5_SW_jjP12ihipStream_tbEUlT_E1_NS1_11comp_targetILNS1_3genE10ELNS1_11target_archE1201ELNS1_3gpuE5ELNS1_3repE0EEENS1_59segmented_radix_sort_warp_sort_small_config_static_selectorELNS0_4arch9wavefront6targetE0EEEvSK_,"axG",@progbits,_ZN7rocprim17ROCPRIM_400000_NS6detail17trampoline_kernelINS0_14default_configENS1_36segmented_radix_sort_config_selectorIdlEEZNS1_25segmented_radix_sort_implIS3_Lb0EPKdPdPKlPlN2at6native12_GLOBAL__N_18offset_tEEE10hipError_tPvRmT1_PNSt15iterator_traitsISK_E10value_typeET2_T3_PNSL_ISQ_E10value_typeET4_jRbjT5_SW_jjP12ihipStream_tbEUlT_E1_NS1_11comp_targetILNS1_3genE10ELNS1_11target_archE1201ELNS1_3gpuE5ELNS1_3repE0EEENS1_59segmented_radix_sort_warp_sort_small_config_static_selectorELNS0_4arch9wavefront6targetE0EEEvSK_,comdat
.Lfunc_end1241:
	.size	_ZN7rocprim17ROCPRIM_400000_NS6detail17trampoline_kernelINS0_14default_configENS1_36segmented_radix_sort_config_selectorIdlEEZNS1_25segmented_radix_sort_implIS3_Lb0EPKdPdPKlPlN2at6native12_GLOBAL__N_18offset_tEEE10hipError_tPvRmT1_PNSt15iterator_traitsISK_E10value_typeET2_T3_PNSL_ISQ_E10value_typeET4_jRbjT5_SW_jjP12ihipStream_tbEUlT_E1_NS1_11comp_targetILNS1_3genE10ELNS1_11target_archE1201ELNS1_3gpuE5ELNS1_3repE0EEENS1_59segmented_radix_sort_warp_sort_small_config_static_selectorELNS0_4arch9wavefront6targetE0EEEvSK_, .Lfunc_end1241-_ZN7rocprim17ROCPRIM_400000_NS6detail17trampoline_kernelINS0_14default_configENS1_36segmented_radix_sort_config_selectorIdlEEZNS1_25segmented_radix_sort_implIS3_Lb0EPKdPdPKlPlN2at6native12_GLOBAL__N_18offset_tEEE10hipError_tPvRmT1_PNSt15iterator_traitsISK_E10value_typeET2_T3_PNSL_ISQ_E10value_typeET4_jRbjT5_SW_jjP12ihipStream_tbEUlT_E1_NS1_11comp_targetILNS1_3genE10ELNS1_11target_archE1201ELNS1_3gpuE5ELNS1_3repE0EEENS1_59segmented_radix_sort_warp_sort_small_config_static_selectorELNS0_4arch9wavefront6targetE0EEEvSK_
                                        ; -- End function
	.set _ZN7rocprim17ROCPRIM_400000_NS6detail17trampoline_kernelINS0_14default_configENS1_36segmented_radix_sort_config_selectorIdlEEZNS1_25segmented_radix_sort_implIS3_Lb0EPKdPdPKlPlN2at6native12_GLOBAL__N_18offset_tEEE10hipError_tPvRmT1_PNSt15iterator_traitsISK_E10value_typeET2_T3_PNSL_ISQ_E10value_typeET4_jRbjT5_SW_jjP12ihipStream_tbEUlT_E1_NS1_11comp_targetILNS1_3genE10ELNS1_11target_archE1201ELNS1_3gpuE5ELNS1_3repE0EEENS1_59segmented_radix_sort_warp_sort_small_config_static_selectorELNS0_4arch9wavefront6targetE0EEEvSK_.num_vgpr, 0
	.set _ZN7rocprim17ROCPRIM_400000_NS6detail17trampoline_kernelINS0_14default_configENS1_36segmented_radix_sort_config_selectorIdlEEZNS1_25segmented_radix_sort_implIS3_Lb0EPKdPdPKlPlN2at6native12_GLOBAL__N_18offset_tEEE10hipError_tPvRmT1_PNSt15iterator_traitsISK_E10value_typeET2_T3_PNSL_ISQ_E10value_typeET4_jRbjT5_SW_jjP12ihipStream_tbEUlT_E1_NS1_11comp_targetILNS1_3genE10ELNS1_11target_archE1201ELNS1_3gpuE5ELNS1_3repE0EEENS1_59segmented_radix_sort_warp_sort_small_config_static_selectorELNS0_4arch9wavefront6targetE0EEEvSK_.num_agpr, 0
	.set _ZN7rocprim17ROCPRIM_400000_NS6detail17trampoline_kernelINS0_14default_configENS1_36segmented_radix_sort_config_selectorIdlEEZNS1_25segmented_radix_sort_implIS3_Lb0EPKdPdPKlPlN2at6native12_GLOBAL__N_18offset_tEEE10hipError_tPvRmT1_PNSt15iterator_traitsISK_E10value_typeET2_T3_PNSL_ISQ_E10value_typeET4_jRbjT5_SW_jjP12ihipStream_tbEUlT_E1_NS1_11comp_targetILNS1_3genE10ELNS1_11target_archE1201ELNS1_3gpuE5ELNS1_3repE0EEENS1_59segmented_radix_sort_warp_sort_small_config_static_selectorELNS0_4arch9wavefront6targetE0EEEvSK_.numbered_sgpr, 0
	.set _ZN7rocprim17ROCPRIM_400000_NS6detail17trampoline_kernelINS0_14default_configENS1_36segmented_radix_sort_config_selectorIdlEEZNS1_25segmented_radix_sort_implIS3_Lb0EPKdPdPKlPlN2at6native12_GLOBAL__N_18offset_tEEE10hipError_tPvRmT1_PNSt15iterator_traitsISK_E10value_typeET2_T3_PNSL_ISQ_E10value_typeET4_jRbjT5_SW_jjP12ihipStream_tbEUlT_E1_NS1_11comp_targetILNS1_3genE10ELNS1_11target_archE1201ELNS1_3gpuE5ELNS1_3repE0EEENS1_59segmented_radix_sort_warp_sort_small_config_static_selectorELNS0_4arch9wavefront6targetE0EEEvSK_.num_named_barrier, 0
	.set _ZN7rocprim17ROCPRIM_400000_NS6detail17trampoline_kernelINS0_14default_configENS1_36segmented_radix_sort_config_selectorIdlEEZNS1_25segmented_radix_sort_implIS3_Lb0EPKdPdPKlPlN2at6native12_GLOBAL__N_18offset_tEEE10hipError_tPvRmT1_PNSt15iterator_traitsISK_E10value_typeET2_T3_PNSL_ISQ_E10value_typeET4_jRbjT5_SW_jjP12ihipStream_tbEUlT_E1_NS1_11comp_targetILNS1_3genE10ELNS1_11target_archE1201ELNS1_3gpuE5ELNS1_3repE0EEENS1_59segmented_radix_sort_warp_sort_small_config_static_selectorELNS0_4arch9wavefront6targetE0EEEvSK_.private_seg_size, 0
	.set _ZN7rocprim17ROCPRIM_400000_NS6detail17trampoline_kernelINS0_14default_configENS1_36segmented_radix_sort_config_selectorIdlEEZNS1_25segmented_radix_sort_implIS3_Lb0EPKdPdPKlPlN2at6native12_GLOBAL__N_18offset_tEEE10hipError_tPvRmT1_PNSt15iterator_traitsISK_E10value_typeET2_T3_PNSL_ISQ_E10value_typeET4_jRbjT5_SW_jjP12ihipStream_tbEUlT_E1_NS1_11comp_targetILNS1_3genE10ELNS1_11target_archE1201ELNS1_3gpuE5ELNS1_3repE0EEENS1_59segmented_radix_sort_warp_sort_small_config_static_selectorELNS0_4arch9wavefront6targetE0EEEvSK_.uses_vcc, 0
	.set _ZN7rocprim17ROCPRIM_400000_NS6detail17trampoline_kernelINS0_14default_configENS1_36segmented_radix_sort_config_selectorIdlEEZNS1_25segmented_radix_sort_implIS3_Lb0EPKdPdPKlPlN2at6native12_GLOBAL__N_18offset_tEEE10hipError_tPvRmT1_PNSt15iterator_traitsISK_E10value_typeET2_T3_PNSL_ISQ_E10value_typeET4_jRbjT5_SW_jjP12ihipStream_tbEUlT_E1_NS1_11comp_targetILNS1_3genE10ELNS1_11target_archE1201ELNS1_3gpuE5ELNS1_3repE0EEENS1_59segmented_radix_sort_warp_sort_small_config_static_selectorELNS0_4arch9wavefront6targetE0EEEvSK_.uses_flat_scratch, 0
	.set _ZN7rocprim17ROCPRIM_400000_NS6detail17trampoline_kernelINS0_14default_configENS1_36segmented_radix_sort_config_selectorIdlEEZNS1_25segmented_radix_sort_implIS3_Lb0EPKdPdPKlPlN2at6native12_GLOBAL__N_18offset_tEEE10hipError_tPvRmT1_PNSt15iterator_traitsISK_E10value_typeET2_T3_PNSL_ISQ_E10value_typeET4_jRbjT5_SW_jjP12ihipStream_tbEUlT_E1_NS1_11comp_targetILNS1_3genE10ELNS1_11target_archE1201ELNS1_3gpuE5ELNS1_3repE0EEENS1_59segmented_radix_sort_warp_sort_small_config_static_selectorELNS0_4arch9wavefront6targetE0EEEvSK_.has_dyn_sized_stack, 0
	.set _ZN7rocprim17ROCPRIM_400000_NS6detail17trampoline_kernelINS0_14default_configENS1_36segmented_radix_sort_config_selectorIdlEEZNS1_25segmented_radix_sort_implIS3_Lb0EPKdPdPKlPlN2at6native12_GLOBAL__N_18offset_tEEE10hipError_tPvRmT1_PNSt15iterator_traitsISK_E10value_typeET2_T3_PNSL_ISQ_E10value_typeET4_jRbjT5_SW_jjP12ihipStream_tbEUlT_E1_NS1_11comp_targetILNS1_3genE10ELNS1_11target_archE1201ELNS1_3gpuE5ELNS1_3repE0EEENS1_59segmented_radix_sort_warp_sort_small_config_static_selectorELNS0_4arch9wavefront6targetE0EEEvSK_.has_recursion, 0
	.set _ZN7rocprim17ROCPRIM_400000_NS6detail17trampoline_kernelINS0_14default_configENS1_36segmented_radix_sort_config_selectorIdlEEZNS1_25segmented_radix_sort_implIS3_Lb0EPKdPdPKlPlN2at6native12_GLOBAL__N_18offset_tEEE10hipError_tPvRmT1_PNSt15iterator_traitsISK_E10value_typeET2_T3_PNSL_ISQ_E10value_typeET4_jRbjT5_SW_jjP12ihipStream_tbEUlT_E1_NS1_11comp_targetILNS1_3genE10ELNS1_11target_archE1201ELNS1_3gpuE5ELNS1_3repE0EEENS1_59segmented_radix_sort_warp_sort_small_config_static_selectorELNS0_4arch9wavefront6targetE0EEEvSK_.has_indirect_call, 0
	.section	.AMDGPU.csdata,"",@progbits
; Kernel info:
; codeLenInByte = 0
; TotalNumSgprs: 0
; NumVgprs: 0
; ScratchSize: 0
; MemoryBound: 0
; FloatMode: 240
; IeeeMode: 1
; LDSByteSize: 0 bytes/workgroup (compile time only)
; SGPRBlocks: 0
; VGPRBlocks: 0
; NumSGPRsForWavesPerEU: 1
; NumVGPRsForWavesPerEU: 1
; NamedBarCnt: 0
; Occupancy: 16
; WaveLimiterHint : 0
; COMPUTE_PGM_RSRC2:SCRATCH_EN: 0
; COMPUTE_PGM_RSRC2:USER_SGPR: 2
; COMPUTE_PGM_RSRC2:TRAP_HANDLER: 0
; COMPUTE_PGM_RSRC2:TGID_X_EN: 1
; COMPUTE_PGM_RSRC2:TGID_Y_EN: 0
; COMPUTE_PGM_RSRC2:TGID_Z_EN: 0
; COMPUTE_PGM_RSRC2:TIDIG_COMP_CNT: 0
	.section	.text._ZN7rocprim17ROCPRIM_400000_NS6detail17trampoline_kernelINS0_14default_configENS1_36segmented_radix_sort_config_selectorIdlEEZNS1_25segmented_radix_sort_implIS3_Lb0EPKdPdPKlPlN2at6native12_GLOBAL__N_18offset_tEEE10hipError_tPvRmT1_PNSt15iterator_traitsISK_E10value_typeET2_T3_PNSL_ISQ_E10value_typeET4_jRbjT5_SW_jjP12ihipStream_tbEUlT_E1_NS1_11comp_targetILNS1_3genE10ELNS1_11target_archE1200ELNS1_3gpuE4ELNS1_3repE0EEENS1_59segmented_radix_sort_warp_sort_small_config_static_selectorELNS0_4arch9wavefront6targetE0EEEvSK_,"axG",@progbits,_ZN7rocprim17ROCPRIM_400000_NS6detail17trampoline_kernelINS0_14default_configENS1_36segmented_radix_sort_config_selectorIdlEEZNS1_25segmented_radix_sort_implIS3_Lb0EPKdPdPKlPlN2at6native12_GLOBAL__N_18offset_tEEE10hipError_tPvRmT1_PNSt15iterator_traitsISK_E10value_typeET2_T3_PNSL_ISQ_E10value_typeET4_jRbjT5_SW_jjP12ihipStream_tbEUlT_E1_NS1_11comp_targetILNS1_3genE10ELNS1_11target_archE1200ELNS1_3gpuE4ELNS1_3repE0EEENS1_59segmented_radix_sort_warp_sort_small_config_static_selectorELNS0_4arch9wavefront6targetE0EEEvSK_,comdat
	.globl	_ZN7rocprim17ROCPRIM_400000_NS6detail17trampoline_kernelINS0_14default_configENS1_36segmented_radix_sort_config_selectorIdlEEZNS1_25segmented_radix_sort_implIS3_Lb0EPKdPdPKlPlN2at6native12_GLOBAL__N_18offset_tEEE10hipError_tPvRmT1_PNSt15iterator_traitsISK_E10value_typeET2_T3_PNSL_ISQ_E10value_typeET4_jRbjT5_SW_jjP12ihipStream_tbEUlT_E1_NS1_11comp_targetILNS1_3genE10ELNS1_11target_archE1200ELNS1_3gpuE4ELNS1_3repE0EEENS1_59segmented_radix_sort_warp_sort_small_config_static_selectorELNS0_4arch9wavefront6targetE0EEEvSK_ ; -- Begin function _ZN7rocprim17ROCPRIM_400000_NS6detail17trampoline_kernelINS0_14default_configENS1_36segmented_radix_sort_config_selectorIdlEEZNS1_25segmented_radix_sort_implIS3_Lb0EPKdPdPKlPlN2at6native12_GLOBAL__N_18offset_tEEE10hipError_tPvRmT1_PNSt15iterator_traitsISK_E10value_typeET2_T3_PNSL_ISQ_E10value_typeET4_jRbjT5_SW_jjP12ihipStream_tbEUlT_E1_NS1_11comp_targetILNS1_3genE10ELNS1_11target_archE1200ELNS1_3gpuE4ELNS1_3repE0EEENS1_59segmented_radix_sort_warp_sort_small_config_static_selectorELNS0_4arch9wavefront6targetE0EEEvSK_
	.p2align	8
	.type	_ZN7rocprim17ROCPRIM_400000_NS6detail17trampoline_kernelINS0_14default_configENS1_36segmented_radix_sort_config_selectorIdlEEZNS1_25segmented_radix_sort_implIS3_Lb0EPKdPdPKlPlN2at6native12_GLOBAL__N_18offset_tEEE10hipError_tPvRmT1_PNSt15iterator_traitsISK_E10value_typeET2_T3_PNSL_ISQ_E10value_typeET4_jRbjT5_SW_jjP12ihipStream_tbEUlT_E1_NS1_11comp_targetILNS1_3genE10ELNS1_11target_archE1200ELNS1_3gpuE4ELNS1_3repE0EEENS1_59segmented_radix_sort_warp_sort_small_config_static_selectorELNS0_4arch9wavefront6targetE0EEEvSK_,@function
_ZN7rocprim17ROCPRIM_400000_NS6detail17trampoline_kernelINS0_14default_configENS1_36segmented_radix_sort_config_selectorIdlEEZNS1_25segmented_radix_sort_implIS3_Lb0EPKdPdPKlPlN2at6native12_GLOBAL__N_18offset_tEEE10hipError_tPvRmT1_PNSt15iterator_traitsISK_E10value_typeET2_T3_PNSL_ISQ_E10value_typeET4_jRbjT5_SW_jjP12ihipStream_tbEUlT_E1_NS1_11comp_targetILNS1_3genE10ELNS1_11target_archE1200ELNS1_3gpuE4ELNS1_3repE0EEENS1_59segmented_radix_sort_warp_sort_small_config_static_selectorELNS0_4arch9wavefront6targetE0EEEvSK_: ; @_ZN7rocprim17ROCPRIM_400000_NS6detail17trampoline_kernelINS0_14default_configENS1_36segmented_radix_sort_config_selectorIdlEEZNS1_25segmented_radix_sort_implIS3_Lb0EPKdPdPKlPlN2at6native12_GLOBAL__N_18offset_tEEE10hipError_tPvRmT1_PNSt15iterator_traitsISK_E10value_typeET2_T3_PNSL_ISQ_E10value_typeET4_jRbjT5_SW_jjP12ihipStream_tbEUlT_E1_NS1_11comp_targetILNS1_3genE10ELNS1_11target_archE1200ELNS1_3gpuE4ELNS1_3repE0EEENS1_59segmented_radix_sort_warp_sort_small_config_static_selectorELNS0_4arch9wavefront6targetE0EEEvSK_
; %bb.0:
	.section	.rodata,"a",@progbits
	.p2align	6, 0x0
	.amdhsa_kernel _ZN7rocprim17ROCPRIM_400000_NS6detail17trampoline_kernelINS0_14default_configENS1_36segmented_radix_sort_config_selectorIdlEEZNS1_25segmented_radix_sort_implIS3_Lb0EPKdPdPKlPlN2at6native12_GLOBAL__N_18offset_tEEE10hipError_tPvRmT1_PNSt15iterator_traitsISK_E10value_typeET2_T3_PNSL_ISQ_E10value_typeET4_jRbjT5_SW_jjP12ihipStream_tbEUlT_E1_NS1_11comp_targetILNS1_3genE10ELNS1_11target_archE1200ELNS1_3gpuE4ELNS1_3repE0EEENS1_59segmented_radix_sort_warp_sort_small_config_static_selectorELNS0_4arch9wavefront6targetE0EEEvSK_
		.amdhsa_group_segment_fixed_size 0
		.amdhsa_private_segment_fixed_size 0
		.amdhsa_kernarg_size 88
		.amdhsa_user_sgpr_count 2
		.amdhsa_user_sgpr_dispatch_ptr 0
		.amdhsa_user_sgpr_queue_ptr 0
		.amdhsa_user_sgpr_kernarg_segment_ptr 1
		.amdhsa_user_sgpr_dispatch_id 0
		.amdhsa_user_sgpr_kernarg_preload_length 0
		.amdhsa_user_sgpr_kernarg_preload_offset 0
		.amdhsa_user_sgpr_private_segment_size 0
		.amdhsa_wavefront_size32 1
		.amdhsa_uses_dynamic_stack 0
		.amdhsa_enable_private_segment 0
		.amdhsa_system_sgpr_workgroup_id_x 1
		.amdhsa_system_sgpr_workgroup_id_y 0
		.amdhsa_system_sgpr_workgroup_id_z 0
		.amdhsa_system_sgpr_workgroup_info 0
		.amdhsa_system_vgpr_workitem_id 0
		.amdhsa_next_free_vgpr 1
		.amdhsa_next_free_sgpr 1
		.amdhsa_named_barrier_count 0
		.amdhsa_reserve_vcc 0
		.amdhsa_float_round_mode_32 0
		.amdhsa_float_round_mode_16_64 0
		.amdhsa_float_denorm_mode_32 3
		.amdhsa_float_denorm_mode_16_64 3
		.amdhsa_fp16_overflow 0
		.amdhsa_memory_ordered 1
		.amdhsa_forward_progress 1
		.amdhsa_inst_pref_size 0
		.amdhsa_round_robin_scheduling 0
		.amdhsa_exception_fp_ieee_invalid_op 0
		.amdhsa_exception_fp_denorm_src 0
		.amdhsa_exception_fp_ieee_div_zero 0
		.amdhsa_exception_fp_ieee_overflow 0
		.amdhsa_exception_fp_ieee_underflow 0
		.amdhsa_exception_fp_ieee_inexact 0
		.amdhsa_exception_int_div_zero 0
	.end_amdhsa_kernel
	.section	.text._ZN7rocprim17ROCPRIM_400000_NS6detail17trampoline_kernelINS0_14default_configENS1_36segmented_radix_sort_config_selectorIdlEEZNS1_25segmented_radix_sort_implIS3_Lb0EPKdPdPKlPlN2at6native12_GLOBAL__N_18offset_tEEE10hipError_tPvRmT1_PNSt15iterator_traitsISK_E10value_typeET2_T3_PNSL_ISQ_E10value_typeET4_jRbjT5_SW_jjP12ihipStream_tbEUlT_E1_NS1_11comp_targetILNS1_3genE10ELNS1_11target_archE1200ELNS1_3gpuE4ELNS1_3repE0EEENS1_59segmented_radix_sort_warp_sort_small_config_static_selectorELNS0_4arch9wavefront6targetE0EEEvSK_,"axG",@progbits,_ZN7rocprim17ROCPRIM_400000_NS6detail17trampoline_kernelINS0_14default_configENS1_36segmented_radix_sort_config_selectorIdlEEZNS1_25segmented_radix_sort_implIS3_Lb0EPKdPdPKlPlN2at6native12_GLOBAL__N_18offset_tEEE10hipError_tPvRmT1_PNSt15iterator_traitsISK_E10value_typeET2_T3_PNSL_ISQ_E10value_typeET4_jRbjT5_SW_jjP12ihipStream_tbEUlT_E1_NS1_11comp_targetILNS1_3genE10ELNS1_11target_archE1200ELNS1_3gpuE4ELNS1_3repE0EEENS1_59segmented_radix_sort_warp_sort_small_config_static_selectorELNS0_4arch9wavefront6targetE0EEEvSK_,comdat
.Lfunc_end1242:
	.size	_ZN7rocprim17ROCPRIM_400000_NS6detail17trampoline_kernelINS0_14default_configENS1_36segmented_radix_sort_config_selectorIdlEEZNS1_25segmented_radix_sort_implIS3_Lb0EPKdPdPKlPlN2at6native12_GLOBAL__N_18offset_tEEE10hipError_tPvRmT1_PNSt15iterator_traitsISK_E10value_typeET2_T3_PNSL_ISQ_E10value_typeET4_jRbjT5_SW_jjP12ihipStream_tbEUlT_E1_NS1_11comp_targetILNS1_3genE10ELNS1_11target_archE1200ELNS1_3gpuE4ELNS1_3repE0EEENS1_59segmented_radix_sort_warp_sort_small_config_static_selectorELNS0_4arch9wavefront6targetE0EEEvSK_, .Lfunc_end1242-_ZN7rocprim17ROCPRIM_400000_NS6detail17trampoline_kernelINS0_14default_configENS1_36segmented_radix_sort_config_selectorIdlEEZNS1_25segmented_radix_sort_implIS3_Lb0EPKdPdPKlPlN2at6native12_GLOBAL__N_18offset_tEEE10hipError_tPvRmT1_PNSt15iterator_traitsISK_E10value_typeET2_T3_PNSL_ISQ_E10value_typeET4_jRbjT5_SW_jjP12ihipStream_tbEUlT_E1_NS1_11comp_targetILNS1_3genE10ELNS1_11target_archE1200ELNS1_3gpuE4ELNS1_3repE0EEENS1_59segmented_radix_sort_warp_sort_small_config_static_selectorELNS0_4arch9wavefront6targetE0EEEvSK_
                                        ; -- End function
	.set _ZN7rocprim17ROCPRIM_400000_NS6detail17trampoline_kernelINS0_14default_configENS1_36segmented_radix_sort_config_selectorIdlEEZNS1_25segmented_radix_sort_implIS3_Lb0EPKdPdPKlPlN2at6native12_GLOBAL__N_18offset_tEEE10hipError_tPvRmT1_PNSt15iterator_traitsISK_E10value_typeET2_T3_PNSL_ISQ_E10value_typeET4_jRbjT5_SW_jjP12ihipStream_tbEUlT_E1_NS1_11comp_targetILNS1_3genE10ELNS1_11target_archE1200ELNS1_3gpuE4ELNS1_3repE0EEENS1_59segmented_radix_sort_warp_sort_small_config_static_selectorELNS0_4arch9wavefront6targetE0EEEvSK_.num_vgpr, 0
	.set _ZN7rocprim17ROCPRIM_400000_NS6detail17trampoline_kernelINS0_14default_configENS1_36segmented_radix_sort_config_selectorIdlEEZNS1_25segmented_radix_sort_implIS3_Lb0EPKdPdPKlPlN2at6native12_GLOBAL__N_18offset_tEEE10hipError_tPvRmT1_PNSt15iterator_traitsISK_E10value_typeET2_T3_PNSL_ISQ_E10value_typeET4_jRbjT5_SW_jjP12ihipStream_tbEUlT_E1_NS1_11comp_targetILNS1_3genE10ELNS1_11target_archE1200ELNS1_3gpuE4ELNS1_3repE0EEENS1_59segmented_radix_sort_warp_sort_small_config_static_selectorELNS0_4arch9wavefront6targetE0EEEvSK_.num_agpr, 0
	.set _ZN7rocprim17ROCPRIM_400000_NS6detail17trampoline_kernelINS0_14default_configENS1_36segmented_radix_sort_config_selectorIdlEEZNS1_25segmented_radix_sort_implIS3_Lb0EPKdPdPKlPlN2at6native12_GLOBAL__N_18offset_tEEE10hipError_tPvRmT1_PNSt15iterator_traitsISK_E10value_typeET2_T3_PNSL_ISQ_E10value_typeET4_jRbjT5_SW_jjP12ihipStream_tbEUlT_E1_NS1_11comp_targetILNS1_3genE10ELNS1_11target_archE1200ELNS1_3gpuE4ELNS1_3repE0EEENS1_59segmented_radix_sort_warp_sort_small_config_static_selectorELNS0_4arch9wavefront6targetE0EEEvSK_.numbered_sgpr, 0
	.set _ZN7rocprim17ROCPRIM_400000_NS6detail17trampoline_kernelINS0_14default_configENS1_36segmented_radix_sort_config_selectorIdlEEZNS1_25segmented_radix_sort_implIS3_Lb0EPKdPdPKlPlN2at6native12_GLOBAL__N_18offset_tEEE10hipError_tPvRmT1_PNSt15iterator_traitsISK_E10value_typeET2_T3_PNSL_ISQ_E10value_typeET4_jRbjT5_SW_jjP12ihipStream_tbEUlT_E1_NS1_11comp_targetILNS1_3genE10ELNS1_11target_archE1200ELNS1_3gpuE4ELNS1_3repE0EEENS1_59segmented_radix_sort_warp_sort_small_config_static_selectorELNS0_4arch9wavefront6targetE0EEEvSK_.num_named_barrier, 0
	.set _ZN7rocprim17ROCPRIM_400000_NS6detail17trampoline_kernelINS0_14default_configENS1_36segmented_radix_sort_config_selectorIdlEEZNS1_25segmented_radix_sort_implIS3_Lb0EPKdPdPKlPlN2at6native12_GLOBAL__N_18offset_tEEE10hipError_tPvRmT1_PNSt15iterator_traitsISK_E10value_typeET2_T3_PNSL_ISQ_E10value_typeET4_jRbjT5_SW_jjP12ihipStream_tbEUlT_E1_NS1_11comp_targetILNS1_3genE10ELNS1_11target_archE1200ELNS1_3gpuE4ELNS1_3repE0EEENS1_59segmented_radix_sort_warp_sort_small_config_static_selectorELNS0_4arch9wavefront6targetE0EEEvSK_.private_seg_size, 0
	.set _ZN7rocprim17ROCPRIM_400000_NS6detail17trampoline_kernelINS0_14default_configENS1_36segmented_radix_sort_config_selectorIdlEEZNS1_25segmented_radix_sort_implIS3_Lb0EPKdPdPKlPlN2at6native12_GLOBAL__N_18offset_tEEE10hipError_tPvRmT1_PNSt15iterator_traitsISK_E10value_typeET2_T3_PNSL_ISQ_E10value_typeET4_jRbjT5_SW_jjP12ihipStream_tbEUlT_E1_NS1_11comp_targetILNS1_3genE10ELNS1_11target_archE1200ELNS1_3gpuE4ELNS1_3repE0EEENS1_59segmented_radix_sort_warp_sort_small_config_static_selectorELNS0_4arch9wavefront6targetE0EEEvSK_.uses_vcc, 0
	.set _ZN7rocprim17ROCPRIM_400000_NS6detail17trampoline_kernelINS0_14default_configENS1_36segmented_radix_sort_config_selectorIdlEEZNS1_25segmented_radix_sort_implIS3_Lb0EPKdPdPKlPlN2at6native12_GLOBAL__N_18offset_tEEE10hipError_tPvRmT1_PNSt15iterator_traitsISK_E10value_typeET2_T3_PNSL_ISQ_E10value_typeET4_jRbjT5_SW_jjP12ihipStream_tbEUlT_E1_NS1_11comp_targetILNS1_3genE10ELNS1_11target_archE1200ELNS1_3gpuE4ELNS1_3repE0EEENS1_59segmented_radix_sort_warp_sort_small_config_static_selectorELNS0_4arch9wavefront6targetE0EEEvSK_.uses_flat_scratch, 0
	.set _ZN7rocprim17ROCPRIM_400000_NS6detail17trampoline_kernelINS0_14default_configENS1_36segmented_radix_sort_config_selectorIdlEEZNS1_25segmented_radix_sort_implIS3_Lb0EPKdPdPKlPlN2at6native12_GLOBAL__N_18offset_tEEE10hipError_tPvRmT1_PNSt15iterator_traitsISK_E10value_typeET2_T3_PNSL_ISQ_E10value_typeET4_jRbjT5_SW_jjP12ihipStream_tbEUlT_E1_NS1_11comp_targetILNS1_3genE10ELNS1_11target_archE1200ELNS1_3gpuE4ELNS1_3repE0EEENS1_59segmented_radix_sort_warp_sort_small_config_static_selectorELNS0_4arch9wavefront6targetE0EEEvSK_.has_dyn_sized_stack, 0
	.set _ZN7rocprim17ROCPRIM_400000_NS6detail17trampoline_kernelINS0_14default_configENS1_36segmented_radix_sort_config_selectorIdlEEZNS1_25segmented_radix_sort_implIS3_Lb0EPKdPdPKlPlN2at6native12_GLOBAL__N_18offset_tEEE10hipError_tPvRmT1_PNSt15iterator_traitsISK_E10value_typeET2_T3_PNSL_ISQ_E10value_typeET4_jRbjT5_SW_jjP12ihipStream_tbEUlT_E1_NS1_11comp_targetILNS1_3genE10ELNS1_11target_archE1200ELNS1_3gpuE4ELNS1_3repE0EEENS1_59segmented_radix_sort_warp_sort_small_config_static_selectorELNS0_4arch9wavefront6targetE0EEEvSK_.has_recursion, 0
	.set _ZN7rocprim17ROCPRIM_400000_NS6detail17trampoline_kernelINS0_14default_configENS1_36segmented_radix_sort_config_selectorIdlEEZNS1_25segmented_radix_sort_implIS3_Lb0EPKdPdPKlPlN2at6native12_GLOBAL__N_18offset_tEEE10hipError_tPvRmT1_PNSt15iterator_traitsISK_E10value_typeET2_T3_PNSL_ISQ_E10value_typeET4_jRbjT5_SW_jjP12ihipStream_tbEUlT_E1_NS1_11comp_targetILNS1_3genE10ELNS1_11target_archE1200ELNS1_3gpuE4ELNS1_3repE0EEENS1_59segmented_radix_sort_warp_sort_small_config_static_selectorELNS0_4arch9wavefront6targetE0EEEvSK_.has_indirect_call, 0
	.section	.AMDGPU.csdata,"",@progbits
; Kernel info:
; codeLenInByte = 0
; TotalNumSgprs: 0
; NumVgprs: 0
; ScratchSize: 0
; MemoryBound: 0
; FloatMode: 240
; IeeeMode: 1
; LDSByteSize: 0 bytes/workgroup (compile time only)
; SGPRBlocks: 0
; VGPRBlocks: 0
; NumSGPRsForWavesPerEU: 1
; NumVGPRsForWavesPerEU: 1
; NamedBarCnt: 0
; Occupancy: 16
; WaveLimiterHint : 0
; COMPUTE_PGM_RSRC2:SCRATCH_EN: 0
; COMPUTE_PGM_RSRC2:USER_SGPR: 2
; COMPUTE_PGM_RSRC2:TRAP_HANDLER: 0
; COMPUTE_PGM_RSRC2:TGID_X_EN: 1
; COMPUTE_PGM_RSRC2:TGID_Y_EN: 0
; COMPUTE_PGM_RSRC2:TGID_Z_EN: 0
; COMPUTE_PGM_RSRC2:TIDIG_COMP_CNT: 0
	.section	.text._ZN7rocprim17ROCPRIM_400000_NS6detail17trampoline_kernelINS0_14default_configENS1_36segmented_radix_sort_config_selectorIdlEEZNS1_25segmented_radix_sort_implIS3_Lb0EPKdPdPKlPlN2at6native12_GLOBAL__N_18offset_tEEE10hipError_tPvRmT1_PNSt15iterator_traitsISK_E10value_typeET2_T3_PNSL_ISQ_E10value_typeET4_jRbjT5_SW_jjP12ihipStream_tbEUlT_E1_NS1_11comp_targetILNS1_3genE9ELNS1_11target_archE1100ELNS1_3gpuE3ELNS1_3repE0EEENS1_59segmented_radix_sort_warp_sort_small_config_static_selectorELNS0_4arch9wavefront6targetE0EEEvSK_,"axG",@progbits,_ZN7rocprim17ROCPRIM_400000_NS6detail17trampoline_kernelINS0_14default_configENS1_36segmented_radix_sort_config_selectorIdlEEZNS1_25segmented_radix_sort_implIS3_Lb0EPKdPdPKlPlN2at6native12_GLOBAL__N_18offset_tEEE10hipError_tPvRmT1_PNSt15iterator_traitsISK_E10value_typeET2_T3_PNSL_ISQ_E10value_typeET4_jRbjT5_SW_jjP12ihipStream_tbEUlT_E1_NS1_11comp_targetILNS1_3genE9ELNS1_11target_archE1100ELNS1_3gpuE3ELNS1_3repE0EEENS1_59segmented_radix_sort_warp_sort_small_config_static_selectorELNS0_4arch9wavefront6targetE0EEEvSK_,comdat
	.globl	_ZN7rocprim17ROCPRIM_400000_NS6detail17trampoline_kernelINS0_14default_configENS1_36segmented_radix_sort_config_selectorIdlEEZNS1_25segmented_radix_sort_implIS3_Lb0EPKdPdPKlPlN2at6native12_GLOBAL__N_18offset_tEEE10hipError_tPvRmT1_PNSt15iterator_traitsISK_E10value_typeET2_T3_PNSL_ISQ_E10value_typeET4_jRbjT5_SW_jjP12ihipStream_tbEUlT_E1_NS1_11comp_targetILNS1_3genE9ELNS1_11target_archE1100ELNS1_3gpuE3ELNS1_3repE0EEENS1_59segmented_radix_sort_warp_sort_small_config_static_selectorELNS0_4arch9wavefront6targetE0EEEvSK_ ; -- Begin function _ZN7rocprim17ROCPRIM_400000_NS6detail17trampoline_kernelINS0_14default_configENS1_36segmented_radix_sort_config_selectorIdlEEZNS1_25segmented_radix_sort_implIS3_Lb0EPKdPdPKlPlN2at6native12_GLOBAL__N_18offset_tEEE10hipError_tPvRmT1_PNSt15iterator_traitsISK_E10value_typeET2_T3_PNSL_ISQ_E10value_typeET4_jRbjT5_SW_jjP12ihipStream_tbEUlT_E1_NS1_11comp_targetILNS1_3genE9ELNS1_11target_archE1100ELNS1_3gpuE3ELNS1_3repE0EEENS1_59segmented_radix_sort_warp_sort_small_config_static_selectorELNS0_4arch9wavefront6targetE0EEEvSK_
	.p2align	8
	.type	_ZN7rocprim17ROCPRIM_400000_NS6detail17trampoline_kernelINS0_14default_configENS1_36segmented_radix_sort_config_selectorIdlEEZNS1_25segmented_radix_sort_implIS3_Lb0EPKdPdPKlPlN2at6native12_GLOBAL__N_18offset_tEEE10hipError_tPvRmT1_PNSt15iterator_traitsISK_E10value_typeET2_T3_PNSL_ISQ_E10value_typeET4_jRbjT5_SW_jjP12ihipStream_tbEUlT_E1_NS1_11comp_targetILNS1_3genE9ELNS1_11target_archE1100ELNS1_3gpuE3ELNS1_3repE0EEENS1_59segmented_radix_sort_warp_sort_small_config_static_selectorELNS0_4arch9wavefront6targetE0EEEvSK_,@function
_ZN7rocprim17ROCPRIM_400000_NS6detail17trampoline_kernelINS0_14default_configENS1_36segmented_radix_sort_config_selectorIdlEEZNS1_25segmented_radix_sort_implIS3_Lb0EPKdPdPKlPlN2at6native12_GLOBAL__N_18offset_tEEE10hipError_tPvRmT1_PNSt15iterator_traitsISK_E10value_typeET2_T3_PNSL_ISQ_E10value_typeET4_jRbjT5_SW_jjP12ihipStream_tbEUlT_E1_NS1_11comp_targetILNS1_3genE9ELNS1_11target_archE1100ELNS1_3gpuE3ELNS1_3repE0EEENS1_59segmented_radix_sort_warp_sort_small_config_static_selectorELNS0_4arch9wavefront6targetE0EEEvSK_: ; @_ZN7rocprim17ROCPRIM_400000_NS6detail17trampoline_kernelINS0_14default_configENS1_36segmented_radix_sort_config_selectorIdlEEZNS1_25segmented_radix_sort_implIS3_Lb0EPKdPdPKlPlN2at6native12_GLOBAL__N_18offset_tEEE10hipError_tPvRmT1_PNSt15iterator_traitsISK_E10value_typeET2_T3_PNSL_ISQ_E10value_typeET4_jRbjT5_SW_jjP12ihipStream_tbEUlT_E1_NS1_11comp_targetILNS1_3genE9ELNS1_11target_archE1100ELNS1_3gpuE3ELNS1_3repE0EEENS1_59segmented_radix_sort_warp_sort_small_config_static_selectorELNS0_4arch9wavefront6targetE0EEEvSK_
; %bb.0:
	.section	.rodata,"a",@progbits
	.p2align	6, 0x0
	.amdhsa_kernel _ZN7rocprim17ROCPRIM_400000_NS6detail17trampoline_kernelINS0_14default_configENS1_36segmented_radix_sort_config_selectorIdlEEZNS1_25segmented_radix_sort_implIS3_Lb0EPKdPdPKlPlN2at6native12_GLOBAL__N_18offset_tEEE10hipError_tPvRmT1_PNSt15iterator_traitsISK_E10value_typeET2_T3_PNSL_ISQ_E10value_typeET4_jRbjT5_SW_jjP12ihipStream_tbEUlT_E1_NS1_11comp_targetILNS1_3genE9ELNS1_11target_archE1100ELNS1_3gpuE3ELNS1_3repE0EEENS1_59segmented_radix_sort_warp_sort_small_config_static_selectorELNS0_4arch9wavefront6targetE0EEEvSK_
		.amdhsa_group_segment_fixed_size 0
		.amdhsa_private_segment_fixed_size 0
		.amdhsa_kernarg_size 88
		.amdhsa_user_sgpr_count 2
		.amdhsa_user_sgpr_dispatch_ptr 0
		.amdhsa_user_sgpr_queue_ptr 0
		.amdhsa_user_sgpr_kernarg_segment_ptr 1
		.amdhsa_user_sgpr_dispatch_id 0
		.amdhsa_user_sgpr_kernarg_preload_length 0
		.amdhsa_user_sgpr_kernarg_preload_offset 0
		.amdhsa_user_sgpr_private_segment_size 0
		.amdhsa_wavefront_size32 1
		.amdhsa_uses_dynamic_stack 0
		.amdhsa_enable_private_segment 0
		.amdhsa_system_sgpr_workgroup_id_x 1
		.amdhsa_system_sgpr_workgroup_id_y 0
		.amdhsa_system_sgpr_workgroup_id_z 0
		.amdhsa_system_sgpr_workgroup_info 0
		.amdhsa_system_vgpr_workitem_id 0
		.amdhsa_next_free_vgpr 1
		.amdhsa_next_free_sgpr 1
		.amdhsa_named_barrier_count 0
		.amdhsa_reserve_vcc 0
		.amdhsa_float_round_mode_32 0
		.amdhsa_float_round_mode_16_64 0
		.amdhsa_float_denorm_mode_32 3
		.amdhsa_float_denorm_mode_16_64 3
		.amdhsa_fp16_overflow 0
		.amdhsa_memory_ordered 1
		.amdhsa_forward_progress 1
		.amdhsa_inst_pref_size 0
		.amdhsa_round_robin_scheduling 0
		.amdhsa_exception_fp_ieee_invalid_op 0
		.amdhsa_exception_fp_denorm_src 0
		.amdhsa_exception_fp_ieee_div_zero 0
		.amdhsa_exception_fp_ieee_overflow 0
		.amdhsa_exception_fp_ieee_underflow 0
		.amdhsa_exception_fp_ieee_inexact 0
		.amdhsa_exception_int_div_zero 0
	.end_amdhsa_kernel
	.section	.text._ZN7rocprim17ROCPRIM_400000_NS6detail17trampoline_kernelINS0_14default_configENS1_36segmented_radix_sort_config_selectorIdlEEZNS1_25segmented_radix_sort_implIS3_Lb0EPKdPdPKlPlN2at6native12_GLOBAL__N_18offset_tEEE10hipError_tPvRmT1_PNSt15iterator_traitsISK_E10value_typeET2_T3_PNSL_ISQ_E10value_typeET4_jRbjT5_SW_jjP12ihipStream_tbEUlT_E1_NS1_11comp_targetILNS1_3genE9ELNS1_11target_archE1100ELNS1_3gpuE3ELNS1_3repE0EEENS1_59segmented_radix_sort_warp_sort_small_config_static_selectorELNS0_4arch9wavefront6targetE0EEEvSK_,"axG",@progbits,_ZN7rocprim17ROCPRIM_400000_NS6detail17trampoline_kernelINS0_14default_configENS1_36segmented_radix_sort_config_selectorIdlEEZNS1_25segmented_radix_sort_implIS3_Lb0EPKdPdPKlPlN2at6native12_GLOBAL__N_18offset_tEEE10hipError_tPvRmT1_PNSt15iterator_traitsISK_E10value_typeET2_T3_PNSL_ISQ_E10value_typeET4_jRbjT5_SW_jjP12ihipStream_tbEUlT_E1_NS1_11comp_targetILNS1_3genE9ELNS1_11target_archE1100ELNS1_3gpuE3ELNS1_3repE0EEENS1_59segmented_radix_sort_warp_sort_small_config_static_selectorELNS0_4arch9wavefront6targetE0EEEvSK_,comdat
.Lfunc_end1243:
	.size	_ZN7rocprim17ROCPRIM_400000_NS6detail17trampoline_kernelINS0_14default_configENS1_36segmented_radix_sort_config_selectorIdlEEZNS1_25segmented_radix_sort_implIS3_Lb0EPKdPdPKlPlN2at6native12_GLOBAL__N_18offset_tEEE10hipError_tPvRmT1_PNSt15iterator_traitsISK_E10value_typeET2_T3_PNSL_ISQ_E10value_typeET4_jRbjT5_SW_jjP12ihipStream_tbEUlT_E1_NS1_11comp_targetILNS1_3genE9ELNS1_11target_archE1100ELNS1_3gpuE3ELNS1_3repE0EEENS1_59segmented_radix_sort_warp_sort_small_config_static_selectorELNS0_4arch9wavefront6targetE0EEEvSK_, .Lfunc_end1243-_ZN7rocprim17ROCPRIM_400000_NS6detail17trampoline_kernelINS0_14default_configENS1_36segmented_radix_sort_config_selectorIdlEEZNS1_25segmented_radix_sort_implIS3_Lb0EPKdPdPKlPlN2at6native12_GLOBAL__N_18offset_tEEE10hipError_tPvRmT1_PNSt15iterator_traitsISK_E10value_typeET2_T3_PNSL_ISQ_E10value_typeET4_jRbjT5_SW_jjP12ihipStream_tbEUlT_E1_NS1_11comp_targetILNS1_3genE9ELNS1_11target_archE1100ELNS1_3gpuE3ELNS1_3repE0EEENS1_59segmented_radix_sort_warp_sort_small_config_static_selectorELNS0_4arch9wavefront6targetE0EEEvSK_
                                        ; -- End function
	.set _ZN7rocprim17ROCPRIM_400000_NS6detail17trampoline_kernelINS0_14default_configENS1_36segmented_radix_sort_config_selectorIdlEEZNS1_25segmented_radix_sort_implIS3_Lb0EPKdPdPKlPlN2at6native12_GLOBAL__N_18offset_tEEE10hipError_tPvRmT1_PNSt15iterator_traitsISK_E10value_typeET2_T3_PNSL_ISQ_E10value_typeET4_jRbjT5_SW_jjP12ihipStream_tbEUlT_E1_NS1_11comp_targetILNS1_3genE9ELNS1_11target_archE1100ELNS1_3gpuE3ELNS1_3repE0EEENS1_59segmented_radix_sort_warp_sort_small_config_static_selectorELNS0_4arch9wavefront6targetE0EEEvSK_.num_vgpr, 0
	.set _ZN7rocprim17ROCPRIM_400000_NS6detail17trampoline_kernelINS0_14default_configENS1_36segmented_radix_sort_config_selectorIdlEEZNS1_25segmented_radix_sort_implIS3_Lb0EPKdPdPKlPlN2at6native12_GLOBAL__N_18offset_tEEE10hipError_tPvRmT1_PNSt15iterator_traitsISK_E10value_typeET2_T3_PNSL_ISQ_E10value_typeET4_jRbjT5_SW_jjP12ihipStream_tbEUlT_E1_NS1_11comp_targetILNS1_3genE9ELNS1_11target_archE1100ELNS1_3gpuE3ELNS1_3repE0EEENS1_59segmented_radix_sort_warp_sort_small_config_static_selectorELNS0_4arch9wavefront6targetE0EEEvSK_.num_agpr, 0
	.set _ZN7rocprim17ROCPRIM_400000_NS6detail17trampoline_kernelINS0_14default_configENS1_36segmented_radix_sort_config_selectorIdlEEZNS1_25segmented_radix_sort_implIS3_Lb0EPKdPdPKlPlN2at6native12_GLOBAL__N_18offset_tEEE10hipError_tPvRmT1_PNSt15iterator_traitsISK_E10value_typeET2_T3_PNSL_ISQ_E10value_typeET4_jRbjT5_SW_jjP12ihipStream_tbEUlT_E1_NS1_11comp_targetILNS1_3genE9ELNS1_11target_archE1100ELNS1_3gpuE3ELNS1_3repE0EEENS1_59segmented_radix_sort_warp_sort_small_config_static_selectorELNS0_4arch9wavefront6targetE0EEEvSK_.numbered_sgpr, 0
	.set _ZN7rocprim17ROCPRIM_400000_NS6detail17trampoline_kernelINS0_14default_configENS1_36segmented_radix_sort_config_selectorIdlEEZNS1_25segmented_radix_sort_implIS3_Lb0EPKdPdPKlPlN2at6native12_GLOBAL__N_18offset_tEEE10hipError_tPvRmT1_PNSt15iterator_traitsISK_E10value_typeET2_T3_PNSL_ISQ_E10value_typeET4_jRbjT5_SW_jjP12ihipStream_tbEUlT_E1_NS1_11comp_targetILNS1_3genE9ELNS1_11target_archE1100ELNS1_3gpuE3ELNS1_3repE0EEENS1_59segmented_radix_sort_warp_sort_small_config_static_selectorELNS0_4arch9wavefront6targetE0EEEvSK_.num_named_barrier, 0
	.set _ZN7rocprim17ROCPRIM_400000_NS6detail17trampoline_kernelINS0_14default_configENS1_36segmented_radix_sort_config_selectorIdlEEZNS1_25segmented_radix_sort_implIS3_Lb0EPKdPdPKlPlN2at6native12_GLOBAL__N_18offset_tEEE10hipError_tPvRmT1_PNSt15iterator_traitsISK_E10value_typeET2_T3_PNSL_ISQ_E10value_typeET4_jRbjT5_SW_jjP12ihipStream_tbEUlT_E1_NS1_11comp_targetILNS1_3genE9ELNS1_11target_archE1100ELNS1_3gpuE3ELNS1_3repE0EEENS1_59segmented_radix_sort_warp_sort_small_config_static_selectorELNS0_4arch9wavefront6targetE0EEEvSK_.private_seg_size, 0
	.set _ZN7rocprim17ROCPRIM_400000_NS6detail17trampoline_kernelINS0_14default_configENS1_36segmented_radix_sort_config_selectorIdlEEZNS1_25segmented_radix_sort_implIS3_Lb0EPKdPdPKlPlN2at6native12_GLOBAL__N_18offset_tEEE10hipError_tPvRmT1_PNSt15iterator_traitsISK_E10value_typeET2_T3_PNSL_ISQ_E10value_typeET4_jRbjT5_SW_jjP12ihipStream_tbEUlT_E1_NS1_11comp_targetILNS1_3genE9ELNS1_11target_archE1100ELNS1_3gpuE3ELNS1_3repE0EEENS1_59segmented_radix_sort_warp_sort_small_config_static_selectorELNS0_4arch9wavefront6targetE0EEEvSK_.uses_vcc, 0
	.set _ZN7rocprim17ROCPRIM_400000_NS6detail17trampoline_kernelINS0_14default_configENS1_36segmented_radix_sort_config_selectorIdlEEZNS1_25segmented_radix_sort_implIS3_Lb0EPKdPdPKlPlN2at6native12_GLOBAL__N_18offset_tEEE10hipError_tPvRmT1_PNSt15iterator_traitsISK_E10value_typeET2_T3_PNSL_ISQ_E10value_typeET4_jRbjT5_SW_jjP12ihipStream_tbEUlT_E1_NS1_11comp_targetILNS1_3genE9ELNS1_11target_archE1100ELNS1_3gpuE3ELNS1_3repE0EEENS1_59segmented_radix_sort_warp_sort_small_config_static_selectorELNS0_4arch9wavefront6targetE0EEEvSK_.uses_flat_scratch, 0
	.set _ZN7rocprim17ROCPRIM_400000_NS6detail17trampoline_kernelINS0_14default_configENS1_36segmented_radix_sort_config_selectorIdlEEZNS1_25segmented_radix_sort_implIS3_Lb0EPKdPdPKlPlN2at6native12_GLOBAL__N_18offset_tEEE10hipError_tPvRmT1_PNSt15iterator_traitsISK_E10value_typeET2_T3_PNSL_ISQ_E10value_typeET4_jRbjT5_SW_jjP12ihipStream_tbEUlT_E1_NS1_11comp_targetILNS1_3genE9ELNS1_11target_archE1100ELNS1_3gpuE3ELNS1_3repE0EEENS1_59segmented_radix_sort_warp_sort_small_config_static_selectorELNS0_4arch9wavefront6targetE0EEEvSK_.has_dyn_sized_stack, 0
	.set _ZN7rocprim17ROCPRIM_400000_NS6detail17trampoline_kernelINS0_14default_configENS1_36segmented_radix_sort_config_selectorIdlEEZNS1_25segmented_radix_sort_implIS3_Lb0EPKdPdPKlPlN2at6native12_GLOBAL__N_18offset_tEEE10hipError_tPvRmT1_PNSt15iterator_traitsISK_E10value_typeET2_T3_PNSL_ISQ_E10value_typeET4_jRbjT5_SW_jjP12ihipStream_tbEUlT_E1_NS1_11comp_targetILNS1_3genE9ELNS1_11target_archE1100ELNS1_3gpuE3ELNS1_3repE0EEENS1_59segmented_radix_sort_warp_sort_small_config_static_selectorELNS0_4arch9wavefront6targetE0EEEvSK_.has_recursion, 0
	.set _ZN7rocprim17ROCPRIM_400000_NS6detail17trampoline_kernelINS0_14default_configENS1_36segmented_radix_sort_config_selectorIdlEEZNS1_25segmented_radix_sort_implIS3_Lb0EPKdPdPKlPlN2at6native12_GLOBAL__N_18offset_tEEE10hipError_tPvRmT1_PNSt15iterator_traitsISK_E10value_typeET2_T3_PNSL_ISQ_E10value_typeET4_jRbjT5_SW_jjP12ihipStream_tbEUlT_E1_NS1_11comp_targetILNS1_3genE9ELNS1_11target_archE1100ELNS1_3gpuE3ELNS1_3repE0EEENS1_59segmented_radix_sort_warp_sort_small_config_static_selectorELNS0_4arch9wavefront6targetE0EEEvSK_.has_indirect_call, 0
	.section	.AMDGPU.csdata,"",@progbits
; Kernel info:
; codeLenInByte = 0
; TotalNumSgprs: 0
; NumVgprs: 0
; ScratchSize: 0
; MemoryBound: 0
; FloatMode: 240
; IeeeMode: 1
; LDSByteSize: 0 bytes/workgroup (compile time only)
; SGPRBlocks: 0
; VGPRBlocks: 0
; NumSGPRsForWavesPerEU: 1
; NumVGPRsForWavesPerEU: 1
; NamedBarCnt: 0
; Occupancy: 16
; WaveLimiterHint : 0
; COMPUTE_PGM_RSRC2:SCRATCH_EN: 0
; COMPUTE_PGM_RSRC2:USER_SGPR: 2
; COMPUTE_PGM_RSRC2:TRAP_HANDLER: 0
; COMPUTE_PGM_RSRC2:TGID_X_EN: 1
; COMPUTE_PGM_RSRC2:TGID_Y_EN: 0
; COMPUTE_PGM_RSRC2:TGID_Z_EN: 0
; COMPUTE_PGM_RSRC2:TIDIG_COMP_CNT: 0
	.section	.text._ZN7rocprim17ROCPRIM_400000_NS6detail17trampoline_kernelINS0_14default_configENS1_36segmented_radix_sort_config_selectorIdlEEZNS1_25segmented_radix_sort_implIS3_Lb0EPKdPdPKlPlN2at6native12_GLOBAL__N_18offset_tEEE10hipError_tPvRmT1_PNSt15iterator_traitsISK_E10value_typeET2_T3_PNSL_ISQ_E10value_typeET4_jRbjT5_SW_jjP12ihipStream_tbEUlT_E1_NS1_11comp_targetILNS1_3genE8ELNS1_11target_archE1030ELNS1_3gpuE2ELNS1_3repE0EEENS1_59segmented_radix_sort_warp_sort_small_config_static_selectorELNS0_4arch9wavefront6targetE0EEEvSK_,"axG",@progbits,_ZN7rocprim17ROCPRIM_400000_NS6detail17trampoline_kernelINS0_14default_configENS1_36segmented_radix_sort_config_selectorIdlEEZNS1_25segmented_radix_sort_implIS3_Lb0EPKdPdPKlPlN2at6native12_GLOBAL__N_18offset_tEEE10hipError_tPvRmT1_PNSt15iterator_traitsISK_E10value_typeET2_T3_PNSL_ISQ_E10value_typeET4_jRbjT5_SW_jjP12ihipStream_tbEUlT_E1_NS1_11comp_targetILNS1_3genE8ELNS1_11target_archE1030ELNS1_3gpuE2ELNS1_3repE0EEENS1_59segmented_radix_sort_warp_sort_small_config_static_selectorELNS0_4arch9wavefront6targetE0EEEvSK_,comdat
	.globl	_ZN7rocprim17ROCPRIM_400000_NS6detail17trampoline_kernelINS0_14default_configENS1_36segmented_radix_sort_config_selectorIdlEEZNS1_25segmented_radix_sort_implIS3_Lb0EPKdPdPKlPlN2at6native12_GLOBAL__N_18offset_tEEE10hipError_tPvRmT1_PNSt15iterator_traitsISK_E10value_typeET2_T3_PNSL_ISQ_E10value_typeET4_jRbjT5_SW_jjP12ihipStream_tbEUlT_E1_NS1_11comp_targetILNS1_3genE8ELNS1_11target_archE1030ELNS1_3gpuE2ELNS1_3repE0EEENS1_59segmented_radix_sort_warp_sort_small_config_static_selectorELNS0_4arch9wavefront6targetE0EEEvSK_ ; -- Begin function _ZN7rocprim17ROCPRIM_400000_NS6detail17trampoline_kernelINS0_14default_configENS1_36segmented_radix_sort_config_selectorIdlEEZNS1_25segmented_radix_sort_implIS3_Lb0EPKdPdPKlPlN2at6native12_GLOBAL__N_18offset_tEEE10hipError_tPvRmT1_PNSt15iterator_traitsISK_E10value_typeET2_T3_PNSL_ISQ_E10value_typeET4_jRbjT5_SW_jjP12ihipStream_tbEUlT_E1_NS1_11comp_targetILNS1_3genE8ELNS1_11target_archE1030ELNS1_3gpuE2ELNS1_3repE0EEENS1_59segmented_radix_sort_warp_sort_small_config_static_selectorELNS0_4arch9wavefront6targetE0EEEvSK_
	.p2align	8
	.type	_ZN7rocprim17ROCPRIM_400000_NS6detail17trampoline_kernelINS0_14default_configENS1_36segmented_radix_sort_config_selectorIdlEEZNS1_25segmented_radix_sort_implIS3_Lb0EPKdPdPKlPlN2at6native12_GLOBAL__N_18offset_tEEE10hipError_tPvRmT1_PNSt15iterator_traitsISK_E10value_typeET2_T3_PNSL_ISQ_E10value_typeET4_jRbjT5_SW_jjP12ihipStream_tbEUlT_E1_NS1_11comp_targetILNS1_3genE8ELNS1_11target_archE1030ELNS1_3gpuE2ELNS1_3repE0EEENS1_59segmented_radix_sort_warp_sort_small_config_static_selectorELNS0_4arch9wavefront6targetE0EEEvSK_,@function
_ZN7rocprim17ROCPRIM_400000_NS6detail17trampoline_kernelINS0_14default_configENS1_36segmented_radix_sort_config_selectorIdlEEZNS1_25segmented_radix_sort_implIS3_Lb0EPKdPdPKlPlN2at6native12_GLOBAL__N_18offset_tEEE10hipError_tPvRmT1_PNSt15iterator_traitsISK_E10value_typeET2_T3_PNSL_ISQ_E10value_typeET4_jRbjT5_SW_jjP12ihipStream_tbEUlT_E1_NS1_11comp_targetILNS1_3genE8ELNS1_11target_archE1030ELNS1_3gpuE2ELNS1_3repE0EEENS1_59segmented_radix_sort_warp_sort_small_config_static_selectorELNS0_4arch9wavefront6targetE0EEEvSK_: ; @_ZN7rocprim17ROCPRIM_400000_NS6detail17trampoline_kernelINS0_14default_configENS1_36segmented_radix_sort_config_selectorIdlEEZNS1_25segmented_radix_sort_implIS3_Lb0EPKdPdPKlPlN2at6native12_GLOBAL__N_18offset_tEEE10hipError_tPvRmT1_PNSt15iterator_traitsISK_E10value_typeET2_T3_PNSL_ISQ_E10value_typeET4_jRbjT5_SW_jjP12ihipStream_tbEUlT_E1_NS1_11comp_targetILNS1_3genE8ELNS1_11target_archE1030ELNS1_3gpuE2ELNS1_3repE0EEENS1_59segmented_radix_sort_warp_sort_small_config_static_selectorELNS0_4arch9wavefront6targetE0EEEvSK_
; %bb.0:
	.section	.rodata,"a",@progbits
	.p2align	6, 0x0
	.amdhsa_kernel _ZN7rocprim17ROCPRIM_400000_NS6detail17trampoline_kernelINS0_14default_configENS1_36segmented_radix_sort_config_selectorIdlEEZNS1_25segmented_radix_sort_implIS3_Lb0EPKdPdPKlPlN2at6native12_GLOBAL__N_18offset_tEEE10hipError_tPvRmT1_PNSt15iterator_traitsISK_E10value_typeET2_T3_PNSL_ISQ_E10value_typeET4_jRbjT5_SW_jjP12ihipStream_tbEUlT_E1_NS1_11comp_targetILNS1_3genE8ELNS1_11target_archE1030ELNS1_3gpuE2ELNS1_3repE0EEENS1_59segmented_radix_sort_warp_sort_small_config_static_selectorELNS0_4arch9wavefront6targetE0EEEvSK_
		.amdhsa_group_segment_fixed_size 0
		.amdhsa_private_segment_fixed_size 0
		.amdhsa_kernarg_size 88
		.amdhsa_user_sgpr_count 2
		.amdhsa_user_sgpr_dispatch_ptr 0
		.amdhsa_user_sgpr_queue_ptr 0
		.amdhsa_user_sgpr_kernarg_segment_ptr 1
		.amdhsa_user_sgpr_dispatch_id 0
		.amdhsa_user_sgpr_kernarg_preload_length 0
		.amdhsa_user_sgpr_kernarg_preload_offset 0
		.amdhsa_user_sgpr_private_segment_size 0
		.amdhsa_wavefront_size32 1
		.amdhsa_uses_dynamic_stack 0
		.amdhsa_enable_private_segment 0
		.amdhsa_system_sgpr_workgroup_id_x 1
		.amdhsa_system_sgpr_workgroup_id_y 0
		.amdhsa_system_sgpr_workgroup_id_z 0
		.amdhsa_system_sgpr_workgroup_info 0
		.amdhsa_system_vgpr_workitem_id 0
		.amdhsa_next_free_vgpr 1
		.amdhsa_next_free_sgpr 1
		.amdhsa_named_barrier_count 0
		.amdhsa_reserve_vcc 0
		.amdhsa_float_round_mode_32 0
		.amdhsa_float_round_mode_16_64 0
		.amdhsa_float_denorm_mode_32 3
		.amdhsa_float_denorm_mode_16_64 3
		.amdhsa_fp16_overflow 0
		.amdhsa_memory_ordered 1
		.amdhsa_forward_progress 1
		.amdhsa_inst_pref_size 0
		.amdhsa_round_robin_scheduling 0
		.amdhsa_exception_fp_ieee_invalid_op 0
		.amdhsa_exception_fp_denorm_src 0
		.amdhsa_exception_fp_ieee_div_zero 0
		.amdhsa_exception_fp_ieee_overflow 0
		.amdhsa_exception_fp_ieee_underflow 0
		.amdhsa_exception_fp_ieee_inexact 0
		.amdhsa_exception_int_div_zero 0
	.end_amdhsa_kernel
	.section	.text._ZN7rocprim17ROCPRIM_400000_NS6detail17trampoline_kernelINS0_14default_configENS1_36segmented_radix_sort_config_selectorIdlEEZNS1_25segmented_radix_sort_implIS3_Lb0EPKdPdPKlPlN2at6native12_GLOBAL__N_18offset_tEEE10hipError_tPvRmT1_PNSt15iterator_traitsISK_E10value_typeET2_T3_PNSL_ISQ_E10value_typeET4_jRbjT5_SW_jjP12ihipStream_tbEUlT_E1_NS1_11comp_targetILNS1_3genE8ELNS1_11target_archE1030ELNS1_3gpuE2ELNS1_3repE0EEENS1_59segmented_radix_sort_warp_sort_small_config_static_selectorELNS0_4arch9wavefront6targetE0EEEvSK_,"axG",@progbits,_ZN7rocprim17ROCPRIM_400000_NS6detail17trampoline_kernelINS0_14default_configENS1_36segmented_radix_sort_config_selectorIdlEEZNS1_25segmented_radix_sort_implIS3_Lb0EPKdPdPKlPlN2at6native12_GLOBAL__N_18offset_tEEE10hipError_tPvRmT1_PNSt15iterator_traitsISK_E10value_typeET2_T3_PNSL_ISQ_E10value_typeET4_jRbjT5_SW_jjP12ihipStream_tbEUlT_E1_NS1_11comp_targetILNS1_3genE8ELNS1_11target_archE1030ELNS1_3gpuE2ELNS1_3repE0EEENS1_59segmented_radix_sort_warp_sort_small_config_static_selectorELNS0_4arch9wavefront6targetE0EEEvSK_,comdat
.Lfunc_end1244:
	.size	_ZN7rocprim17ROCPRIM_400000_NS6detail17trampoline_kernelINS0_14default_configENS1_36segmented_radix_sort_config_selectorIdlEEZNS1_25segmented_radix_sort_implIS3_Lb0EPKdPdPKlPlN2at6native12_GLOBAL__N_18offset_tEEE10hipError_tPvRmT1_PNSt15iterator_traitsISK_E10value_typeET2_T3_PNSL_ISQ_E10value_typeET4_jRbjT5_SW_jjP12ihipStream_tbEUlT_E1_NS1_11comp_targetILNS1_3genE8ELNS1_11target_archE1030ELNS1_3gpuE2ELNS1_3repE0EEENS1_59segmented_radix_sort_warp_sort_small_config_static_selectorELNS0_4arch9wavefront6targetE0EEEvSK_, .Lfunc_end1244-_ZN7rocprim17ROCPRIM_400000_NS6detail17trampoline_kernelINS0_14default_configENS1_36segmented_radix_sort_config_selectorIdlEEZNS1_25segmented_radix_sort_implIS3_Lb0EPKdPdPKlPlN2at6native12_GLOBAL__N_18offset_tEEE10hipError_tPvRmT1_PNSt15iterator_traitsISK_E10value_typeET2_T3_PNSL_ISQ_E10value_typeET4_jRbjT5_SW_jjP12ihipStream_tbEUlT_E1_NS1_11comp_targetILNS1_3genE8ELNS1_11target_archE1030ELNS1_3gpuE2ELNS1_3repE0EEENS1_59segmented_radix_sort_warp_sort_small_config_static_selectorELNS0_4arch9wavefront6targetE0EEEvSK_
                                        ; -- End function
	.set _ZN7rocprim17ROCPRIM_400000_NS6detail17trampoline_kernelINS0_14default_configENS1_36segmented_radix_sort_config_selectorIdlEEZNS1_25segmented_radix_sort_implIS3_Lb0EPKdPdPKlPlN2at6native12_GLOBAL__N_18offset_tEEE10hipError_tPvRmT1_PNSt15iterator_traitsISK_E10value_typeET2_T3_PNSL_ISQ_E10value_typeET4_jRbjT5_SW_jjP12ihipStream_tbEUlT_E1_NS1_11comp_targetILNS1_3genE8ELNS1_11target_archE1030ELNS1_3gpuE2ELNS1_3repE0EEENS1_59segmented_radix_sort_warp_sort_small_config_static_selectorELNS0_4arch9wavefront6targetE0EEEvSK_.num_vgpr, 0
	.set _ZN7rocprim17ROCPRIM_400000_NS6detail17trampoline_kernelINS0_14default_configENS1_36segmented_radix_sort_config_selectorIdlEEZNS1_25segmented_radix_sort_implIS3_Lb0EPKdPdPKlPlN2at6native12_GLOBAL__N_18offset_tEEE10hipError_tPvRmT1_PNSt15iterator_traitsISK_E10value_typeET2_T3_PNSL_ISQ_E10value_typeET4_jRbjT5_SW_jjP12ihipStream_tbEUlT_E1_NS1_11comp_targetILNS1_3genE8ELNS1_11target_archE1030ELNS1_3gpuE2ELNS1_3repE0EEENS1_59segmented_radix_sort_warp_sort_small_config_static_selectorELNS0_4arch9wavefront6targetE0EEEvSK_.num_agpr, 0
	.set _ZN7rocprim17ROCPRIM_400000_NS6detail17trampoline_kernelINS0_14default_configENS1_36segmented_radix_sort_config_selectorIdlEEZNS1_25segmented_radix_sort_implIS3_Lb0EPKdPdPKlPlN2at6native12_GLOBAL__N_18offset_tEEE10hipError_tPvRmT1_PNSt15iterator_traitsISK_E10value_typeET2_T3_PNSL_ISQ_E10value_typeET4_jRbjT5_SW_jjP12ihipStream_tbEUlT_E1_NS1_11comp_targetILNS1_3genE8ELNS1_11target_archE1030ELNS1_3gpuE2ELNS1_3repE0EEENS1_59segmented_radix_sort_warp_sort_small_config_static_selectorELNS0_4arch9wavefront6targetE0EEEvSK_.numbered_sgpr, 0
	.set _ZN7rocprim17ROCPRIM_400000_NS6detail17trampoline_kernelINS0_14default_configENS1_36segmented_radix_sort_config_selectorIdlEEZNS1_25segmented_radix_sort_implIS3_Lb0EPKdPdPKlPlN2at6native12_GLOBAL__N_18offset_tEEE10hipError_tPvRmT1_PNSt15iterator_traitsISK_E10value_typeET2_T3_PNSL_ISQ_E10value_typeET4_jRbjT5_SW_jjP12ihipStream_tbEUlT_E1_NS1_11comp_targetILNS1_3genE8ELNS1_11target_archE1030ELNS1_3gpuE2ELNS1_3repE0EEENS1_59segmented_radix_sort_warp_sort_small_config_static_selectorELNS0_4arch9wavefront6targetE0EEEvSK_.num_named_barrier, 0
	.set _ZN7rocprim17ROCPRIM_400000_NS6detail17trampoline_kernelINS0_14default_configENS1_36segmented_radix_sort_config_selectorIdlEEZNS1_25segmented_radix_sort_implIS3_Lb0EPKdPdPKlPlN2at6native12_GLOBAL__N_18offset_tEEE10hipError_tPvRmT1_PNSt15iterator_traitsISK_E10value_typeET2_T3_PNSL_ISQ_E10value_typeET4_jRbjT5_SW_jjP12ihipStream_tbEUlT_E1_NS1_11comp_targetILNS1_3genE8ELNS1_11target_archE1030ELNS1_3gpuE2ELNS1_3repE0EEENS1_59segmented_radix_sort_warp_sort_small_config_static_selectorELNS0_4arch9wavefront6targetE0EEEvSK_.private_seg_size, 0
	.set _ZN7rocprim17ROCPRIM_400000_NS6detail17trampoline_kernelINS0_14default_configENS1_36segmented_radix_sort_config_selectorIdlEEZNS1_25segmented_radix_sort_implIS3_Lb0EPKdPdPKlPlN2at6native12_GLOBAL__N_18offset_tEEE10hipError_tPvRmT1_PNSt15iterator_traitsISK_E10value_typeET2_T3_PNSL_ISQ_E10value_typeET4_jRbjT5_SW_jjP12ihipStream_tbEUlT_E1_NS1_11comp_targetILNS1_3genE8ELNS1_11target_archE1030ELNS1_3gpuE2ELNS1_3repE0EEENS1_59segmented_radix_sort_warp_sort_small_config_static_selectorELNS0_4arch9wavefront6targetE0EEEvSK_.uses_vcc, 0
	.set _ZN7rocprim17ROCPRIM_400000_NS6detail17trampoline_kernelINS0_14default_configENS1_36segmented_radix_sort_config_selectorIdlEEZNS1_25segmented_radix_sort_implIS3_Lb0EPKdPdPKlPlN2at6native12_GLOBAL__N_18offset_tEEE10hipError_tPvRmT1_PNSt15iterator_traitsISK_E10value_typeET2_T3_PNSL_ISQ_E10value_typeET4_jRbjT5_SW_jjP12ihipStream_tbEUlT_E1_NS1_11comp_targetILNS1_3genE8ELNS1_11target_archE1030ELNS1_3gpuE2ELNS1_3repE0EEENS1_59segmented_radix_sort_warp_sort_small_config_static_selectorELNS0_4arch9wavefront6targetE0EEEvSK_.uses_flat_scratch, 0
	.set _ZN7rocprim17ROCPRIM_400000_NS6detail17trampoline_kernelINS0_14default_configENS1_36segmented_radix_sort_config_selectorIdlEEZNS1_25segmented_radix_sort_implIS3_Lb0EPKdPdPKlPlN2at6native12_GLOBAL__N_18offset_tEEE10hipError_tPvRmT1_PNSt15iterator_traitsISK_E10value_typeET2_T3_PNSL_ISQ_E10value_typeET4_jRbjT5_SW_jjP12ihipStream_tbEUlT_E1_NS1_11comp_targetILNS1_3genE8ELNS1_11target_archE1030ELNS1_3gpuE2ELNS1_3repE0EEENS1_59segmented_radix_sort_warp_sort_small_config_static_selectorELNS0_4arch9wavefront6targetE0EEEvSK_.has_dyn_sized_stack, 0
	.set _ZN7rocprim17ROCPRIM_400000_NS6detail17trampoline_kernelINS0_14default_configENS1_36segmented_radix_sort_config_selectorIdlEEZNS1_25segmented_radix_sort_implIS3_Lb0EPKdPdPKlPlN2at6native12_GLOBAL__N_18offset_tEEE10hipError_tPvRmT1_PNSt15iterator_traitsISK_E10value_typeET2_T3_PNSL_ISQ_E10value_typeET4_jRbjT5_SW_jjP12ihipStream_tbEUlT_E1_NS1_11comp_targetILNS1_3genE8ELNS1_11target_archE1030ELNS1_3gpuE2ELNS1_3repE0EEENS1_59segmented_radix_sort_warp_sort_small_config_static_selectorELNS0_4arch9wavefront6targetE0EEEvSK_.has_recursion, 0
	.set _ZN7rocprim17ROCPRIM_400000_NS6detail17trampoline_kernelINS0_14default_configENS1_36segmented_radix_sort_config_selectorIdlEEZNS1_25segmented_radix_sort_implIS3_Lb0EPKdPdPKlPlN2at6native12_GLOBAL__N_18offset_tEEE10hipError_tPvRmT1_PNSt15iterator_traitsISK_E10value_typeET2_T3_PNSL_ISQ_E10value_typeET4_jRbjT5_SW_jjP12ihipStream_tbEUlT_E1_NS1_11comp_targetILNS1_3genE8ELNS1_11target_archE1030ELNS1_3gpuE2ELNS1_3repE0EEENS1_59segmented_radix_sort_warp_sort_small_config_static_selectorELNS0_4arch9wavefront6targetE0EEEvSK_.has_indirect_call, 0
	.section	.AMDGPU.csdata,"",@progbits
; Kernel info:
; codeLenInByte = 0
; TotalNumSgprs: 0
; NumVgprs: 0
; ScratchSize: 0
; MemoryBound: 0
; FloatMode: 240
; IeeeMode: 1
; LDSByteSize: 0 bytes/workgroup (compile time only)
; SGPRBlocks: 0
; VGPRBlocks: 0
; NumSGPRsForWavesPerEU: 1
; NumVGPRsForWavesPerEU: 1
; NamedBarCnt: 0
; Occupancy: 16
; WaveLimiterHint : 0
; COMPUTE_PGM_RSRC2:SCRATCH_EN: 0
; COMPUTE_PGM_RSRC2:USER_SGPR: 2
; COMPUTE_PGM_RSRC2:TRAP_HANDLER: 0
; COMPUTE_PGM_RSRC2:TGID_X_EN: 1
; COMPUTE_PGM_RSRC2:TGID_Y_EN: 0
; COMPUTE_PGM_RSRC2:TGID_Z_EN: 0
; COMPUTE_PGM_RSRC2:TIDIG_COMP_CNT: 0
	.section	.text._ZN7rocprim17ROCPRIM_400000_NS6detail17trampoline_kernelINS0_14default_configENS1_36segmented_radix_sort_config_selectorIdlEEZNS1_25segmented_radix_sort_implIS3_Lb0EPKdPdPKlPlN2at6native12_GLOBAL__N_18offset_tEEE10hipError_tPvRmT1_PNSt15iterator_traitsISK_E10value_typeET2_T3_PNSL_ISQ_E10value_typeET4_jRbjT5_SW_jjP12ihipStream_tbEUlT_E2_NS1_11comp_targetILNS1_3genE0ELNS1_11target_archE4294967295ELNS1_3gpuE0ELNS1_3repE0EEENS1_30default_config_static_selectorELNS0_4arch9wavefront6targetE0EEEvSK_,"axG",@progbits,_ZN7rocprim17ROCPRIM_400000_NS6detail17trampoline_kernelINS0_14default_configENS1_36segmented_radix_sort_config_selectorIdlEEZNS1_25segmented_radix_sort_implIS3_Lb0EPKdPdPKlPlN2at6native12_GLOBAL__N_18offset_tEEE10hipError_tPvRmT1_PNSt15iterator_traitsISK_E10value_typeET2_T3_PNSL_ISQ_E10value_typeET4_jRbjT5_SW_jjP12ihipStream_tbEUlT_E2_NS1_11comp_targetILNS1_3genE0ELNS1_11target_archE4294967295ELNS1_3gpuE0ELNS1_3repE0EEENS1_30default_config_static_selectorELNS0_4arch9wavefront6targetE0EEEvSK_,comdat
	.globl	_ZN7rocprim17ROCPRIM_400000_NS6detail17trampoline_kernelINS0_14default_configENS1_36segmented_radix_sort_config_selectorIdlEEZNS1_25segmented_radix_sort_implIS3_Lb0EPKdPdPKlPlN2at6native12_GLOBAL__N_18offset_tEEE10hipError_tPvRmT1_PNSt15iterator_traitsISK_E10value_typeET2_T3_PNSL_ISQ_E10value_typeET4_jRbjT5_SW_jjP12ihipStream_tbEUlT_E2_NS1_11comp_targetILNS1_3genE0ELNS1_11target_archE4294967295ELNS1_3gpuE0ELNS1_3repE0EEENS1_30default_config_static_selectorELNS0_4arch9wavefront6targetE0EEEvSK_ ; -- Begin function _ZN7rocprim17ROCPRIM_400000_NS6detail17trampoline_kernelINS0_14default_configENS1_36segmented_radix_sort_config_selectorIdlEEZNS1_25segmented_radix_sort_implIS3_Lb0EPKdPdPKlPlN2at6native12_GLOBAL__N_18offset_tEEE10hipError_tPvRmT1_PNSt15iterator_traitsISK_E10value_typeET2_T3_PNSL_ISQ_E10value_typeET4_jRbjT5_SW_jjP12ihipStream_tbEUlT_E2_NS1_11comp_targetILNS1_3genE0ELNS1_11target_archE4294967295ELNS1_3gpuE0ELNS1_3repE0EEENS1_30default_config_static_selectorELNS0_4arch9wavefront6targetE0EEEvSK_
	.p2align	8
	.type	_ZN7rocprim17ROCPRIM_400000_NS6detail17trampoline_kernelINS0_14default_configENS1_36segmented_radix_sort_config_selectorIdlEEZNS1_25segmented_radix_sort_implIS3_Lb0EPKdPdPKlPlN2at6native12_GLOBAL__N_18offset_tEEE10hipError_tPvRmT1_PNSt15iterator_traitsISK_E10value_typeET2_T3_PNSL_ISQ_E10value_typeET4_jRbjT5_SW_jjP12ihipStream_tbEUlT_E2_NS1_11comp_targetILNS1_3genE0ELNS1_11target_archE4294967295ELNS1_3gpuE0ELNS1_3repE0EEENS1_30default_config_static_selectorELNS0_4arch9wavefront6targetE0EEEvSK_,@function
_ZN7rocprim17ROCPRIM_400000_NS6detail17trampoline_kernelINS0_14default_configENS1_36segmented_radix_sort_config_selectorIdlEEZNS1_25segmented_radix_sort_implIS3_Lb0EPKdPdPKlPlN2at6native12_GLOBAL__N_18offset_tEEE10hipError_tPvRmT1_PNSt15iterator_traitsISK_E10value_typeET2_T3_PNSL_ISQ_E10value_typeET4_jRbjT5_SW_jjP12ihipStream_tbEUlT_E2_NS1_11comp_targetILNS1_3genE0ELNS1_11target_archE4294967295ELNS1_3gpuE0ELNS1_3repE0EEENS1_30default_config_static_selectorELNS0_4arch9wavefront6targetE0EEEvSK_: ; @_ZN7rocprim17ROCPRIM_400000_NS6detail17trampoline_kernelINS0_14default_configENS1_36segmented_radix_sort_config_selectorIdlEEZNS1_25segmented_radix_sort_implIS3_Lb0EPKdPdPKlPlN2at6native12_GLOBAL__N_18offset_tEEE10hipError_tPvRmT1_PNSt15iterator_traitsISK_E10value_typeET2_T3_PNSL_ISQ_E10value_typeET4_jRbjT5_SW_jjP12ihipStream_tbEUlT_E2_NS1_11comp_targetILNS1_3genE0ELNS1_11target_archE4294967295ELNS1_3gpuE0ELNS1_3repE0EEENS1_30default_config_static_selectorELNS0_4arch9wavefront6targetE0EEEvSK_
; %bb.0:
	s_load_b128 s[4:7], s[2:3], 0x34
	s_bfe_u32 s8, ttmp6, 0x4000c
	s_and_b32 s9, ttmp6, 15
	s_add_co_i32 s8, s8, 1
	s_getreg_b32 s29, hwreg(HW_REG_IB_STS2, 6, 4)
	s_mul_i32 s8, ttmp9, s8
	s_mov_b32 s32, 0
	s_add_co_i32 s9, s9, s8
	s_cmp_eq_u32 s29, 0
	s_cselect_b32 s33, ttmp9, s9
	s_wait_kmcnt 0x0
	s_add_co_i32 s51, s7, s33
	s_add_co_i32 s56, s5, s33
	s_mul_i32 s51, s51, s6
	s_mul_i32 s56, s56, s4
	s_delay_alu instid0(SALU_CYCLE_1)
	s_cmp_le_u32 s51, s56
	s_cbranch_scc1 .LBB1245_1187
; %bb.1:
	s_clause 0x3
	s_load_b32 s4, s[2:3], 0x30
	s_load_b128 s[44:47], s[2:3], 0x20
	s_load_b96 s[48:50], s[2:3], 0x44
	s_load_b256 s[36:43], s[2:3], 0x0
	s_wait_kmcnt 0x0
	s_bitcmp1_b32 s4, 0
	s_mov_b32 s4, -1
	s_cselect_b32 s57, -1, 0
	s_sub_co_i32 s58, s51, s56
	s_delay_alu instid0(SALU_CYCLE_1)
	s_cmp_lt_u32 s58, 0x1001
	s_cbranch_scc0 .LBB1245_12
; %bb.2:
	s_cmp_lt_u32 s58, 33
	s_cbranch_scc0 .LBB1245_6
; %bb.3:
	s_load_b32 s4, s[2:3], 0x5c
	v_bfe_u32 v1, v0, 10, 10
	v_bfe_u32 v2, v0, 20, 10
	s_mov_b32 s15, exec_lo
	s_wait_kmcnt 0x0
	s_lshr_b32 s5, s4, 16
	s_and_b32 s4, s4, 0xffff
	v_mad_u32_u24 v1, v2, s5, v1
	v_and_b32_e32 v2, 0x3ff, v0
	s_delay_alu instid0(VALU_DEP_1) | instskip(NEXT) | instid1(VALU_DEP_1)
	v_mad_u32 v1, v1, s4, v2
	v_cmpx_gt_u32_e32 8, v1
	s_cbranch_execz .LBB1245_5
; %bb.4:
	s_bitcmp1_b32 s48, 0
	s_mov_b64 s[4:5], src_shared_base
	s_cselect_b32 s4, -1, 0
	v_dual_mov_b32 v31, v0 :: v_dual_mov_b32 v40, v0
	s_xor_b32 s4, s57, s4
	v_dual_mov_b32 v0, s36 :: v_dual_mov_b32 v1, s37
	s_xor_b32 s4, s4, -1
	v_dual_mov_b32 v2, s38 :: v_dual_mov_b32 v3, s39
	v_cndmask_b32_e64 v12, 0, 1, s4
	v_dual_mov_b32 v4, s40 :: v_dual_mov_b32 v5, s41
	v_dual_mov_b32 v6, s42 :: v_dual_mov_b32 v7, s43
	;; [unrolled: 1-line block ×6, first 2 shown]
	s_add_nc_u64 s[8:9], s[2:3], 0x50
	s_get_pc_i64 s[10:11]
	s_add_nc_u64 s[10:11], s[10:11], _ZN7rocprim17ROCPRIM_400000_NS6detail26segmented_warp_sort_helperINS1_20WarpSortHelperConfigILj8ELj4ELj256EEEdlLi256ELb0EvE4sortIPKdPdPKlPlEEvT_S9_T0_T1_SC_T2_bjjjjRNS5_12storage_typeE@rel64+4
	s_mov_b64 s[6:7], s[0:1]
	s_mov_b64 s[16:17], s[2:3]
	;; [unrolled: 1-line block ×3, first 2 shown]
	s_swap_pc_i64 s[30:31], s[10:11]
	v_mov_b32_e32 v0, v40
	s_mov_b64 s[0:1], s[18:19]
	s_mov_b64 s[2:3], s[16:17]
.LBB1245_5:
	s_or_b32 exec_lo, exec_lo, s15
	s_mov_b32 s4, 0
.LBB1245_6:
	s_delay_alu instid0(SALU_CYCLE_1)
	s_and_not1_b32 vcc_lo, exec_lo, s4
	s_cbranch_vccnz .LBB1245_11
; %bb.7:
	v_cndmask_b32_e64 v1, 0, 1, s57
	s_and_b32 s4, s48, 1
	s_get_pc_i64 s[34:35]
	s_add_nc_u64 s[34:35], s[34:35], _ZN7rocprim17ROCPRIM_400000_NS6detail40segmented_radix_sort_single_block_helperIdlLj256ELj16ELb0EE4sortIPKdPdPKlPlEEbT_T0_T1_T2_jjjjRNS3_12storage_typeE@rel64+4
	s_delay_alu instid0(VALU_DEP_1)
	v_cmp_ne_u32_e32 vcc_lo, s4, v1
	s_mov_b32 s4, -1
	s_cbranch_vccnz .LBB1245_9
; %bb.8:
	s_mov_b64 s[4:5], src_shared_base
	v_dual_mov_b32 v31, v0 :: v_dual_mov_b32 v40, v0
	v_dual_mov_b32 v0, s36 :: v_dual_mov_b32 v1, s37
	;; [unrolled: 1-line block ×8, first 2 shown]
	s_add_nc_u64 s[8:9], s[2:3], 0x50
	s_mov_b64 s[6:7], s[0:1]
	s_mov_b64 s[52:53], s[2:3]
	s_mov_b64 s[54:55], s[0:1]
	s_swap_pc_i64 s[30:31], s[34:35]
	v_mov_b32_e32 v0, v40
	s_mov_b64 s[0:1], s[54:55]
	s_mov_b64 s[2:3], s[52:53]
	s_mov_b32 s4, 0
.LBB1245_9:
	s_delay_alu instid0(SALU_CYCLE_1)
	s_and_not1_b32 vcc_lo, exec_lo, s4
	s_cbranch_vccnz .LBB1245_11
; %bb.10:
	s_mov_b64 s[4:5], src_shared_base
	v_dual_mov_b32 v31, v0 :: v_dual_mov_b32 v40, v0
	v_dual_mov_b32 v0, s36 :: v_dual_mov_b32 v1, s37
	;; [unrolled: 1-line block ×8, first 2 shown]
	s_add_nc_u64 s[8:9], s[2:3], 0x50
	s_mov_b64 s[6:7], s[0:1]
	s_mov_b64 s[52:53], s[2:3]
	s_swap_pc_i64 s[30:31], s[34:35]
	v_mov_b32_e32 v0, v40
	s_mov_b64 s[2:3], s[52:53]
.LBB1245_11:
	s_mov_b32 s4, 0
.LBB1245_12:
	s_delay_alu instid0(SALU_CYCLE_1)
	s_and_not1_b32 vcc_lo, exec_lo, s4
	s_cbranch_vccnz .LBB1245_1187
; %bb.13:
	s_cmp_ge_u32 s49, s50
	s_cbranch_scc1 .LBB1245_1187
; %bb.14:
	v_and_b32_e32 v2, 0x3ff, v0
	v_dual_mov_b32 v5, 0 :: v_dual_bitop2_b32 v1, 3, v0 bitop3:0x40
	v_lshrrev_b32_e32 v8, 3, v0
	v_mbcnt_lo_u32_b32 v124, -1, 0
	s_delay_alu instid0(VALU_DEP_4) | instskip(NEXT) | instid1(VALU_DEP_4)
	v_dual_lshlrev_b32 v3, 2, v2 :: v_dual_lshlrev_b32 v4, 3, v2
	v_dual_lshlrev_b32 v113, 2, v1 :: v_dual_bitop2_b32 v1, 31, v2 bitop3:0x54
	s_delay_alu instid0(VALU_DEP_4) | instskip(NEXT) | instid1(VALU_DEP_3)
	v_dual_lshlrev_b32 v8, 4, v2 :: v_dual_bitop2_b32 v114, 28, v8 bitop3:0x40
	v_mad_u32_u24 v115, v2, 12, v3
	v_mov_b32_e32 v21, v5
	s_delay_alu instid0(VALU_DEP_4)
	v_cmp_eq_u32_e64 s1, v2, v1
	v_lshlrev_b32_e32 v1, 5, v2
	v_and_b32_e32 v22, 0xe00, v8
	v_mad_u32_u24 v120, v2, 20, v115
	v_add_nc_u32_e32 v118, 0x83fc, v114
	s_bfe_u32 s6, ttmp6, 0x40010
	v_add_nc_u64_e32 v[6:7], s[40:41], v[4:5]
	s_delay_alu instid0(VALU_DEP_3)
	v_dual_lshlrev_b32 v20, 3, v22 :: v_dual_sub_nc_u32 v122, v120, v1
	v_or_b32_e32 v129, v124, v22
	s_add_co_i32 s6, s6, 1
	v_bfe_u32 v119, v0, 20, 10
	s_mul_i32 s6, ttmp7, s6
	s_bfe_u32 s7, ttmp6, 0x40004
	v_bfe_u32 v121, v0, 10, 10
	v_add_nc_u64_e32 v[0:1], s[46:47], v[20:21]
	v_add_nc_u64_e32 v[8:9], s[40:41], v[20:21]
	;; [unrolled: 1-line block ×8, first 2 shown]
	v_or_b32_e32 v98, 0x100, v2
	v_or_b32_e32 v99, 0x200, v2
	;; [unrolled: 1-line block ×15, first 2 shown]
	v_cmp_gt_u32_e64 s0, 0x100, v2
	v_or_b32_e32 v116, 0x8400, v114
	v_cmp_gt_u32_e64 s4, 8, v2
	v_add_nc_u32_e32 v117, 0x8400, v3
	v_cmp_lt_u32_e64 s5, 31, v2
	s_add_nc_u64 s[52:53], s[2:3], 0x50
	s_add_co_i32 s7, s7, s6
	v_cmp_eq_u32_e64 s2, 0, v2
	v_cmp_ne_u32_e64 s3, 0xff, v2
	v_dual_add_nc_u32 v123, v122, v3 :: v_dual_mov_b32 v125, 1
	v_dual_lshlrev_b32 v4, 3, v124 :: v_dual_bitop2_b32 v126, 15, v124 bitop3:0x40
	v_bfe_i32 v127, v124, 4, 1
	v_and_b32_e32 v128, 16, v124
	v_and_b32_e32 v130, 7, v124
	v_sub_co_u32 v131, s6, v124, 1
	v_or_b32_e32 v132, 32, v129
	v_or_b32_e32 v133, 64, v129
	;; [unrolled: 1-line block ×15, first 2 shown]
	s_cmp_eq_u32 s29, 0
	s_mov_b32 s35, 0
	s_mov_b64 s[42:43], 0x7fffffffffffffff
	s_cselect_b32 s31, ttmp7, s7
	s_mov_b32 s48, s49
	s_mov_b32 s54, s49
	s_branch .LBB1245_17
.LBB1245_15:                            ;   in Loop: Header=BB1245_17 Depth=1
	s_wait_dscnt 0x0
	s_barrier_signal -1
	s_barrier_wait -1
.LBB1245_16:                            ;   in Loop: Header=BB1245_17 Depth=1
	s_add_co_i32 s54, s54, 8
	s_delay_alu instid0(SALU_CYCLE_1)
	s_cmp_ge_u32 s54, s50
	s_cbranch_scc1 .LBB1245_1187
.LBB1245_17:                            ; =>This Loop Header: Depth=1
                                        ;     Child Loop BB1245_21 Depth 2
                                        ;     Child Loop BB1245_101 Depth 2
	;; [unrolled: 1-line block ×8, first 2 shown]
	s_sub_co_i32 s7, s50, s54
	s_xor_b32 s57, s57, -1
	s_min_u32 s55, s7, 8
	s_cmp_lg_u32 s54, s49
	s_mov_b32 s7, -1
	ds_store_2addr_stride64_b32 v3, v5, v5 offset1:4
	ds_store_2addr_stride64_b32 v3, v5, v5 offset0:8 offset1:12
	s_wait_storecnt_dscnt 0x0
	s_cbranch_scc0 .LBB1245_603
; %bb.18:                               ;   in Loop: Header=BB1245_17 Depth=1
	s_lshl_b32 s7, -1, s55
	s_and_b32 vcc_lo, exec_lo, s57
	s_not_b32 s59, s7
	s_mov_b32 s7, -1
	s_cbranch_vccz .LBB1245_310
; %bb.19:                               ;   in Loop: Header=BB1245_17 Depth=1
	s_mov_b32 s7, s58
	s_mov_b32 s34, s56
	s_barrier_signal -1
	s_barrier_wait -1
                                        ; implicit-def: $vgpr22_vgpr23
                                        ; implicit-def: $vgpr24_vgpr25
                                        ; implicit-def: $vgpr26_vgpr27
                                        ; implicit-def: $vgpr28_vgpr29
                                        ; implicit-def: $vgpr30_vgpr31
                                        ; implicit-def: $vgpr32_vgpr33
                                        ; implicit-def: $vgpr34_vgpr35
                                        ; implicit-def: $vgpr36_vgpr37
                                        ; implicit-def: $vgpr38_vgpr39
                                        ; implicit-def: $vgpr40_vgpr41
                                        ; implicit-def: $vgpr42_vgpr43
                                        ; implicit-def: $vgpr44_vgpr45
                                        ; implicit-def: $vgpr46_vgpr47
                                        ; implicit-def: $vgpr48_vgpr49
                                        ; implicit-def: $vgpr50_vgpr51
                                        ; implicit-def: $vgpr52_vgpr53
	s_branch .LBB1245_21
.LBB1245_20:                            ;   in Loop: Header=BB1245_21 Depth=2
	s_or_b32 exec_lo, exec_lo, s8
	s_addk_co_i32 s7, 0xf000
	s_cmp_ge_u32 s10, s51
	s_mov_b32 s34, s10
	s_cbranch_scc1 .LBB1245_89
.LBB1245_21:                            ;   Parent Loop BB1245_17 Depth=1
                                        ; =>  This Inner Loop Header: Depth=2
	s_add_co_i32 s10, s34, 0x1000
	s_mov_b32 s8, -1
	s_cmp_gt_u32 s10, s51
                                        ; implicit-def: $vgpr54_vgpr55
                                        ; implicit-def: $vgpr56_vgpr57
                                        ; implicit-def: $vgpr58_vgpr59
                                        ; implicit-def: $vgpr60_vgpr61
                                        ; implicit-def: $vgpr62_vgpr63
                                        ; implicit-def: $vgpr64_vgpr65
                                        ; implicit-def: $vgpr66_vgpr67
                                        ; implicit-def: $vgpr68_vgpr69
                                        ; implicit-def: $vgpr70_vgpr71
                                        ; implicit-def: $vgpr72_vgpr73
                                        ; implicit-def: $vgpr74_vgpr75
                                        ; implicit-def: $vgpr76_vgpr77
                                        ; implicit-def: $vgpr78_vgpr79
                                        ; implicit-def: $vgpr80_vgpr81
                                        ; implicit-def: $vgpr82_vgpr83
                                        ; implicit-def: $vgpr84_vgpr85
	s_cbranch_scc1 .LBB1245_23
; %bb.22:                               ;   in Loop: Header=BB1245_21 Depth=2
	v_lshl_add_u64 v[84:85], s[34:35], 3, v[6:7]
	s_mov_b32 s8, 0
	s_clause 0xf
	global_load_b64 v[54:55], v[84:85], off
	global_load_b64 v[56:57], v[84:85], off offset:2048
	global_load_b64 v[58:59], v[84:85], off offset:4096
	;; [unrolled: 1-line block ×15, first 2 shown]
.LBB1245_23:                            ;   in Loop: Header=BB1245_21 Depth=2
	s_and_not1_b32 vcc_lo, exec_lo, s8
	s_movk_i32 s8, 0x1000
	s_cbranch_vccnz .LBB1245_42
; %bb.24:                               ;   in Loop: Header=BB1245_21 Depth=2
	s_lshl_b64 s[8:9], s[34:35], 3
	s_mov_b32 s11, exec_lo
	s_add_nc_u64 s[8:9], s[40:41], s[8:9]
	s_wait_xcnt 0x0
	v_cmpx_gt_u32_e64 s7, v2
	s_cbranch_execnz .LBB1245_74
; %bb.25:                               ;   in Loop: Header=BB1245_21 Depth=2
	s_or_b32 exec_lo, exec_lo, s11
	s_delay_alu instid0(SALU_CYCLE_1)
	s_mov_b32 s11, exec_lo
	v_cmpx_gt_u32_e64 s7, v98
	s_cbranch_execnz .LBB1245_75
.LBB1245_26:                            ;   in Loop: Header=BB1245_21 Depth=2
	s_or_b32 exec_lo, exec_lo, s11
	s_delay_alu instid0(SALU_CYCLE_1)
	s_mov_b32 s11, exec_lo
	v_cmpx_gt_u32_e64 s7, v99
	s_cbranch_execnz .LBB1245_76
.LBB1245_27:                            ;   in Loop: Header=BB1245_21 Depth=2
	s_or_b32 exec_lo, exec_lo, s11
	s_delay_alu instid0(SALU_CYCLE_1)
	s_mov_b32 s11, exec_lo
	v_cmpx_gt_u32_e64 s7, v100
	s_cbranch_execnz .LBB1245_77
.LBB1245_28:                            ;   in Loop: Header=BB1245_21 Depth=2
	s_or_b32 exec_lo, exec_lo, s11
	s_delay_alu instid0(SALU_CYCLE_1)
	s_mov_b32 s11, exec_lo
	v_cmpx_gt_u32_e64 s7, v101
	s_cbranch_execnz .LBB1245_78
.LBB1245_29:                            ;   in Loop: Header=BB1245_21 Depth=2
	s_or_b32 exec_lo, exec_lo, s11
	s_delay_alu instid0(SALU_CYCLE_1)
	s_mov_b32 s11, exec_lo
	v_cmpx_gt_u32_e64 s7, v102
	s_cbranch_execnz .LBB1245_79
.LBB1245_30:                            ;   in Loop: Header=BB1245_21 Depth=2
	s_or_b32 exec_lo, exec_lo, s11
	s_delay_alu instid0(SALU_CYCLE_1)
	s_mov_b32 s11, exec_lo
	v_cmpx_gt_u32_e64 s7, v103
	s_cbranch_execnz .LBB1245_80
.LBB1245_31:                            ;   in Loop: Header=BB1245_21 Depth=2
	s_or_b32 exec_lo, exec_lo, s11
	s_delay_alu instid0(SALU_CYCLE_1)
	s_mov_b32 s11, exec_lo
	v_cmpx_gt_u32_e64 s7, v104
	s_cbranch_execnz .LBB1245_81
.LBB1245_32:                            ;   in Loop: Header=BB1245_21 Depth=2
	s_or_b32 exec_lo, exec_lo, s11
	s_delay_alu instid0(SALU_CYCLE_1)
	s_mov_b32 s11, exec_lo
	v_cmpx_gt_u32_e64 s7, v105
	s_cbranch_execnz .LBB1245_82
.LBB1245_33:                            ;   in Loop: Header=BB1245_21 Depth=2
	s_or_b32 exec_lo, exec_lo, s11
	s_delay_alu instid0(SALU_CYCLE_1)
	s_mov_b32 s11, exec_lo
	v_cmpx_gt_u32_e64 s7, v106
	s_cbranch_execnz .LBB1245_83
.LBB1245_34:                            ;   in Loop: Header=BB1245_21 Depth=2
	s_or_b32 exec_lo, exec_lo, s11
	s_delay_alu instid0(SALU_CYCLE_1)
	s_mov_b32 s11, exec_lo
	v_cmpx_gt_u32_e64 s7, v107
	s_cbranch_execnz .LBB1245_84
.LBB1245_35:                            ;   in Loop: Header=BB1245_21 Depth=2
	s_or_b32 exec_lo, exec_lo, s11
	s_delay_alu instid0(SALU_CYCLE_1)
	s_mov_b32 s11, exec_lo
	v_cmpx_gt_u32_e64 s7, v108
	s_cbranch_execnz .LBB1245_85
.LBB1245_36:                            ;   in Loop: Header=BB1245_21 Depth=2
	s_or_b32 exec_lo, exec_lo, s11
	s_delay_alu instid0(SALU_CYCLE_1)
	s_mov_b32 s11, exec_lo
	v_cmpx_gt_u32_e64 s7, v109
	s_cbranch_execnz .LBB1245_86
.LBB1245_37:                            ;   in Loop: Header=BB1245_21 Depth=2
	s_or_b32 exec_lo, exec_lo, s11
	s_delay_alu instid0(SALU_CYCLE_1)
	s_mov_b32 s11, exec_lo
	v_cmpx_gt_u32_e64 s7, v110
	s_cbranch_execnz .LBB1245_87
.LBB1245_38:                            ;   in Loop: Header=BB1245_21 Depth=2
	s_or_b32 exec_lo, exec_lo, s11
	s_delay_alu instid0(SALU_CYCLE_1)
	s_mov_b32 s11, exec_lo
	v_cmpx_gt_u32_e64 s7, v111
	s_cbranch_execnz .LBB1245_88
.LBB1245_39:                            ;   in Loop: Header=BB1245_21 Depth=2
	s_or_b32 exec_lo, exec_lo, s11
	s_delay_alu instid0(SALU_CYCLE_1)
	s_mov_b32 s11, exec_lo
	v_cmpx_gt_u32_e64 s7, v112
	s_cbranch_execz .LBB1245_41
.LBB1245_40:                            ;   in Loop: Header=BB1245_21 Depth=2
	global_load_b64 v[22:23], v2, s[8:9] offset:30720 scale_offset
.LBB1245_41:                            ;   in Loop: Header=BB1245_21 Depth=2
	s_wait_xcnt 0x0
	s_or_b32 exec_lo, exec_lo, s11
	s_wait_loadcnt 0x0
	v_mov_b64_e32 v[54:55], v[52:53]
	v_mov_b64_e32 v[56:57], v[50:51]
	;; [unrolled: 1-line block ×16, first 2 shown]
	s_mov_b32 s8, s7
.LBB1245_42:                            ;   in Loop: Header=BB1245_21 Depth=2
	s_wait_loadcnt 0x0
	s_delay_alu instid0(VALU_DEP_1) | instskip(NEXT) | instid1(VALU_DEP_3)
	v_mov_b64_e32 v[22:23], v[84:85]
	v_mov_b64_e32 v[24:25], v[82:83]
	;; [unrolled: 1-line block ×16, first 2 shown]
	s_mov_b32 s9, exec_lo
	s_wait_xcnt 0x0
	v_cmpx_gt_u32_e64 s8, v2
	s_cbranch_execnz .LBB1245_58
; %bb.43:                               ;   in Loop: Header=BB1245_21 Depth=2
	s_or_b32 exec_lo, exec_lo, s9
	s_delay_alu instid0(SALU_CYCLE_1)
	s_mov_b32 s9, exec_lo
	v_cmpx_gt_u32_e64 s8, v98
	s_cbranch_execnz .LBB1245_59
.LBB1245_44:                            ;   in Loop: Header=BB1245_21 Depth=2
	s_or_b32 exec_lo, exec_lo, s9
	s_delay_alu instid0(SALU_CYCLE_1)
	s_mov_b32 s9, exec_lo
	v_cmpx_gt_u32_e64 s8, v99
	s_cbranch_execnz .LBB1245_60
.LBB1245_45:                            ;   in Loop: Header=BB1245_21 Depth=2
	s_or_b32 exec_lo, exec_lo, s9
	s_delay_alu instid0(SALU_CYCLE_1)
	s_mov_b32 s9, exec_lo
	v_cmpx_gt_u32_e64 s8, v100
	s_cbranch_execnz .LBB1245_61
.LBB1245_46:                            ;   in Loop: Header=BB1245_21 Depth=2
	s_or_b32 exec_lo, exec_lo, s9
	s_delay_alu instid0(SALU_CYCLE_1)
	s_mov_b32 s9, exec_lo
	v_cmpx_gt_u32_e64 s8, v101
	s_cbranch_execnz .LBB1245_62
.LBB1245_47:                            ;   in Loop: Header=BB1245_21 Depth=2
	s_or_b32 exec_lo, exec_lo, s9
	s_delay_alu instid0(SALU_CYCLE_1)
	s_mov_b32 s9, exec_lo
	v_cmpx_gt_u32_e64 s8, v102
	s_cbranch_execnz .LBB1245_63
.LBB1245_48:                            ;   in Loop: Header=BB1245_21 Depth=2
	s_or_b32 exec_lo, exec_lo, s9
	s_delay_alu instid0(SALU_CYCLE_1)
	s_mov_b32 s9, exec_lo
	v_cmpx_gt_u32_e64 s8, v103
	s_cbranch_execnz .LBB1245_64
.LBB1245_49:                            ;   in Loop: Header=BB1245_21 Depth=2
	s_or_b32 exec_lo, exec_lo, s9
	s_delay_alu instid0(SALU_CYCLE_1)
	s_mov_b32 s9, exec_lo
	v_cmpx_gt_u32_e64 s8, v104
	s_cbranch_execnz .LBB1245_65
.LBB1245_50:                            ;   in Loop: Header=BB1245_21 Depth=2
	s_or_b32 exec_lo, exec_lo, s9
	s_delay_alu instid0(SALU_CYCLE_1)
	s_mov_b32 s9, exec_lo
	v_cmpx_gt_u32_e64 s8, v105
	s_cbranch_execnz .LBB1245_66
.LBB1245_51:                            ;   in Loop: Header=BB1245_21 Depth=2
	s_or_b32 exec_lo, exec_lo, s9
	s_delay_alu instid0(SALU_CYCLE_1)
	s_mov_b32 s9, exec_lo
	v_cmpx_gt_u32_e64 s8, v106
	s_cbranch_execnz .LBB1245_67
.LBB1245_52:                            ;   in Loop: Header=BB1245_21 Depth=2
	s_or_b32 exec_lo, exec_lo, s9
	s_delay_alu instid0(SALU_CYCLE_1)
	s_mov_b32 s9, exec_lo
	v_cmpx_gt_u32_e64 s8, v107
	s_cbranch_execnz .LBB1245_68
.LBB1245_53:                            ;   in Loop: Header=BB1245_21 Depth=2
	s_or_b32 exec_lo, exec_lo, s9
	s_delay_alu instid0(SALU_CYCLE_1)
	s_mov_b32 s9, exec_lo
	v_cmpx_gt_u32_e64 s8, v108
	s_cbranch_execnz .LBB1245_69
.LBB1245_54:                            ;   in Loop: Header=BB1245_21 Depth=2
	s_or_b32 exec_lo, exec_lo, s9
	s_delay_alu instid0(SALU_CYCLE_1)
	s_mov_b32 s9, exec_lo
	v_cmpx_gt_u32_e64 s8, v109
	s_cbranch_execnz .LBB1245_70
.LBB1245_55:                            ;   in Loop: Header=BB1245_21 Depth=2
	s_or_b32 exec_lo, exec_lo, s9
	s_delay_alu instid0(SALU_CYCLE_1)
	s_mov_b32 s9, exec_lo
	v_cmpx_gt_u32_e64 s8, v110
	s_cbranch_execnz .LBB1245_71
.LBB1245_56:                            ;   in Loop: Header=BB1245_21 Depth=2
	s_or_b32 exec_lo, exec_lo, s9
	s_delay_alu instid0(SALU_CYCLE_1)
	s_mov_b32 s9, exec_lo
	v_cmpx_gt_u32_e64 s8, v111
	s_cbranch_execnz .LBB1245_72
.LBB1245_57:                            ;   in Loop: Header=BB1245_21 Depth=2
	s_or_b32 exec_lo, exec_lo, s9
	v_cmp_gt_u32_e32 vcc_lo, s8, v112
	s_and_saveexec_b32 s8, vcc_lo
	s_cbranch_execz .LBB1245_20
	s_branch .LBB1245_73
.LBB1245_58:                            ;   in Loop: Header=BB1245_21 Depth=2
	s_delay_alu instid0(VALU_DEP_2) | instskip(SKIP_1) | instid1(VALU_DEP_1)
	v_cmp_lt_i64_e32 vcc_lo, -1, v[52:53]
	v_cndmask_b32_e64 v54, -1, 0x80000000, vcc_lo
	v_dual_ashrrev_i32 v56, 31, v53 :: v_dual_bitop2_b32 v55, v54, v53 bitop3:0x14
	s_delay_alu instid0(VALU_DEP_1) | instskip(NEXT) | instid1(VALU_DEP_1)
	v_xor_b32_e32 v54, v56, v52
	v_cmp_ne_u64_e32 vcc_lo, s[42:43], v[54:55]
	v_cndmask_b32_e32 v55, 0x80000000, v55, vcc_lo
	v_cndmask_b32_e32 v54, 0, v54, vcc_lo
	s_delay_alu instid0(VALU_DEP_1) | instskip(NEXT) | instid1(VALU_DEP_1)
	v_lshrrev_b64 v[54:55], s54, v[54:55]
	v_and_b32_e32 v54, s59, v54
	s_delay_alu instid0(VALU_DEP_1) | instskip(SKIP_2) | instid1(SALU_CYCLE_1)
	v_lshl_or_b32 v54, v54, 4, v113
	ds_add_u32 v54, v125
	s_or_b32 exec_lo, exec_lo, s9
	s_mov_b32 s9, exec_lo
	v_cmpx_gt_u32_e64 s8, v98
	s_cbranch_execz .LBB1245_44
.LBB1245_59:                            ;   in Loop: Header=BB1245_21 Depth=2
	v_cmp_lt_i64_e32 vcc_lo, -1, v[50:51]
	v_cndmask_b32_e64 v54, -1, 0x80000000, vcc_lo
	s_delay_alu instid0(VALU_DEP_1) | instskip(NEXT) | instid1(VALU_DEP_1)
	v_dual_ashrrev_i32 v56, 31, v51 :: v_dual_bitop2_b32 v55, v54, v51 bitop3:0x14
	v_xor_b32_e32 v54, v56, v50
	s_delay_alu instid0(VALU_DEP_1) | instskip(SKIP_2) | instid1(VALU_DEP_1)
	v_cmp_ne_u64_e32 vcc_lo, s[42:43], v[54:55]
	v_cndmask_b32_e32 v55, 0x80000000, v55, vcc_lo
	v_cndmask_b32_e32 v54, 0, v54, vcc_lo
	v_lshrrev_b64 v[54:55], s54, v[54:55]
	s_delay_alu instid0(VALU_DEP_1) | instskip(NEXT) | instid1(VALU_DEP_1)
	v_and_b32_e32 v54, s59, v54
	v_lshl_or_b32 v54, v54, 4, v113
	ds_add_u32 v54, v125
	s_or_b32 exec_lo, exec_lo, s9
	s_delay_alu instid0(SALU_CYCLE_1)
	s_mov_b32 s9, exec_lo
	v_cmpx_gt_u32_e64 s8, v99
	s_cbranch_execz .LBB1245_45
.LBB1245_60:                            ;   in Loop: Header=BB1245_21 Depth=2
	v_cmp_lt_i64_e32 vcc_lo, -1, v[48:49]
	v_cndmask_b32_e64 v54, -1, 0x80000000, vcc_lo
	s_delay_alu instid0(VALU_DEP_1) | instskip(NEXT) | instid1(VALU_DEP_1)
	v_dual_ashrrev_i32 v56, 31, v49 :: v_dual_bitop2_b32 v55, v54, v49 bitop3:0x14
	v_xor_b32_e32 v54, v56, v48
	s_delay_alu instid0(VALU_DEP_1) | instskip(SKIP_2) | instid1(VALU_DEP_1)
	v_cmp_ne_u64_e32 vcc_lo, s[42:43], v[54:55]
	v_cndmask_b32_e32 v55, 0x80000000, v55, vcc_lo
	v_cndmask_b32_e32 v54, 0, v54, vcc_lo
	v_lshrrev_b64 v[54:55], s54, v[54:55]
	s_delay_alu instid0(VALU_DEP_1) | instskip(NEXT) | instid1(VALU_DEP_1)
	v_and_b32_e32 v54, s59, v54
	v_lshl_or_b32 v54, v54, 4, v113
	ds_add_u32 v54, v125
	s_or_b32 exec_lo, exec_lo, s9
	s_delay_alu instid0(SALU_CYCLE_1)
	s_mov_b32 s9, exec_lo
	v_cmpx_gt_u32_e64 s8, v100
	s_cbranch_execz .LBB1245_46
.LBB1245_61:                            ;   in Loop: Header=BB1245_21 Depth=2
	v_cmp_lt_i64_e32 vcc_lo, -1, v[46:47]
	v_cndmask_b32_e64 v54, -1, 0x80000000, vcc_lo
	s_delay_alu instid0(VALU_DEP_1) | instskip(NEXT) | instid1(VALU_DEP_1)
	v_dual_ashrrev_i32 v56, 31, v47 :: v_dual_bitop2_b32 v55, v54, v47 bitop3:0x14
	v_xor_b32_e32 v54, v56, v46
	s_delay_alu instid0(VALU_DEP_1) | instskip(SKIP_2) | instid1(VALU_DEP_1)
	v_cmp_ne_u64_e32 vcc_lo, s[42:43], v[54:55]
	v_cndmask_b32_e32 v55, 0x80000000, v55, vcc_lo
	v_cndmask_b32_e32 v54, 0, v54, vcc_lo
	v_lshrrev_b64 v[54:55], s54, v[54:55]
	s_delay_alu instid0(VALU_DEP_1) | instskip(NEXT) | instid1(VALU_DEP_1)
	v_and_b32_e32 v54, s59, v54
	v_lshl_or_b32 v54, v54, 4, v113
	ds_add_u32 v54, v125
	s_or_b32 exec_lo, exec_lo, s9
	s_delay_alu instid0(SALU_CYCLE_1)
	s_mov_b32 s9, exec_lo
	v_cmpx_gt_u32_e64 s8, v101
	s_cbranch_execz .LBB1245_47
.LBB1245_62:                            ;   in Loop: Header=BB1245_21 Depth=2
	v_cmp_lt_i64_e32 vcc_lo, -1, v[44:45]
	v_cndmask_b32_e64 v54, -1, 0x80000000, vcc_lo
	s_delay_alu instid0(VALU_DEP_1) | instskip(NEXT) | instid1(VALU_DEP_1)
	v_dual_ashrrev_i32 v56, 31, v45 :: v_dual_bitop2_b32 v55, v54, v45 bitop3:0x14
	v_xor_b32_e32 v54, v56, v44
	s_delay_alu instid0(VALU_DEP_1) | instskip(SKIP_2) | instid1(VALU_DEP_1)
	v_cmp_ne_u64_e32 vcc_lo, s[42:43], v[54:55]
	v_cndmask_b32_e32 v55, 0x80000000, v55, vcc_lo
	v_cndmask_b32_e32 v54, 0, v54, vcc_lo
	v_lshrrev_b64 v[54:55], s54, v[54:55]
	s_delay_alu instid0(VALU_DEP_1) | instskip(NEXT) | instid1(VALU_DEP_1)
	v_and_b32_e32 v54, s59, v54
	v_lshl_or_b32 v54, v54, 4, v113
	ds_add_u32 v54, v125
	s_or_b32 exec_lo, exec_lo, s9
	s_delay_alu instid0(SALU_CYCLE_1)
	s_mov_b32 s9, exec_lo
	v_cmpx_gt_u32_e64 s8, v102
	s_cbranch_execz .LBB1245_48
.LBB1245_63:                            ;   in Loop: Header=BB1245_21 Depth=2
	v_cmp_lt_i64_e32 vcc_lo, -1, v[42:43]
	v_cndmask_b32_e64 v54, -1, 0x80000000, vcc_lo
	s_delay_alu instid0(VALU_DEP_1) | instskip(NEXT) | instid1(VALU_DEP_1)
	v_dual_ashrrev_i32 v56, 31, v43 :: v_dual_bitop2_b32 v55, v54, v43 bitop3:0x14
	v_xor_b32_e32 v54, v56, v42
	s_delay_alu instid0(VALU_DEP_1) | instskip(SKIP_2) | instid1(VALU_DEP_1)
	v_cmp_ne_u64_e32 vcc_lo, s[42:43], v[54:55]
	v_cndmask_b32_e32 v55, 0x80000000, v55, vcc_lo
	v_cndmask_b32_e32 v54, 0, v54, vcc_lo
	v_lshrrev_b64 v[54:55], s54, v[54:55]
	s_delay_alu instid0(VALU_DEP_1) | instskip(NEXT) | instid1(VALU_DEP_1)
	v_and_b32_e32 v54, s59, v54
	v_lshl_or_b32 v54, v54, 4, v113
	ds_add_u32 v54, v125
	s_or_b32 exec_lo, exec_lo, s9
	s_delay_alu instid0(SALU_CYCLE_1)
	s_mov_b32 s9, exec_lo
	v_cmpx_gt_u32_e64 s8, v103
	s_cbranch_execz .LBB1245_49
.LBB1245_64:                            ;   in Loop: Header=BB1245_21 Depth=2
	v_cmp_lt_i64_e32 vcc_lo, -1, v[40:41]
	v_cndmask_b32_e64 v54, -1, 0x80000000, vcc_lo
	s_delay_alu instid0(VALU_DEP_1) | instskip(NEXT) | instid1(VALU_DEP_1)
	v_dual_ashrrev_i32 v56, 31, v41 :: v_dual_bitop2_b32 v55, v54, v41 bitop3:0x14
	v_xor_b32_e32 v54, v56, v40
	s_delay_alu instid0(VALU_DEP_1) | instskip(SKIP_2) | instid1(VALU_DEP_1)
	v_cmp_ne_u64_e32 vcc_lo, s[42:43], v[54:55]
	v_cndmask_b32_e32 v55, 0x80000000, v55, vcc_lo
	v_cndmask_b32_e32 v54, 0, v54, vcc_lo
	v_lshrrev_b64 v[54:55], s54, v[54:55]
	s_delay_alu instid0(VALU_DEP_1) | instskip(NEXT) | instid1(VALU_DEP_1)
	v_and_b32_e32 v54, s59, v54
	v_lshl_or_b32 v54, v54, 4, v113
	ds_add_u32 v54, v125
	s_or_b32 exec_lo, exec_lo, s9
	s_delay_alu instid0(SALU_CYCLE_1)
	s_mov_b32 s9, exec_lo
	v_cmpx_gt_u32_e64 s8, v104
	s_cbranch_execz .LBB1245_50
.LBB1245_65:                            ;   in Loop: Header=BB1245_21 Depth=2
	v_cmp_lt_i64_e32 vcc_lo, -1, v[38:39]
	v_cndmask_b32_e64 v54, -1, 0x80000000, vcc_lo
	s_delay_alu instid0(VALU_DEP_1) | instskip(NEXT) | instid1(VALU_DEP_1)
	v_dual_ashrrev_i32 v56, 31, v39 :: v_dual_bitop2_b32 v55, v54, v39 bitop3:0x14
	v_xor_b32_e32 v54, v56, v38
	s_delay_alu instid0(VALU_DEP_1) | instskip(SKIP_2) | instid1(VALU_DEP_1)
	v_cmp_ne_u64_e32 vcc_lo, s[42:43], v[54:55]
	v_cndmask_b32_e32 v55, 0x80000000, v55, vcc_lo
	v_cndmask_b32_e32 v54, 0, v54, vcc_lo
	v_lshrrev_b64 v[54:55], s54, v[54:55]
	s_delay_alu instid0(VALU_DEP_1) | instskip(NEXT) | instid1(VALU_DEP_1)
	v_and_b32_e32 v54, s59, v54
	v_lshl_or_b32 v54, v54, 4, v113
	ds_add_u32 v54, v125
	s_or_b32 exec_lo, exec_lo, s9
	s_delay_alu instid0(SALU_CYCLE_1)
	s_mov_b32 s9, exec_lo
	v_cmpx_gt_u32_e64 s8, v105
	s_cbranch_execz .LBB1245_51
.LBB1245_66:                            ;   in Loop: Header=BB1245_21 Depth=2
	v_cmp_lt_i64_e32 vcc_lo, -1, v[36:37]
	v_cndmask_b32_e64 v54, -1, 0x80000000, vcc_lo
	s_delay_alu instid0(VALU_DEP_1) | instskip(NEXT) | instid1(VALU_DEP_1)
	v_dual_ashrrev_i32 v56, 31, v37 :: v_dual_bitop2_b32 v55, v54, v37 bitop3:0x14
	v_xor_b32_e32 v54, v56, v36
	s_delay_alu instid0(VALU_DEP_1) | instskip(SKIP_2) | instid1(VALU_DEP_1)
	v_cmp_ne_u64_e32 vcc_lo, s[42:43], v[54:55]
	v_cndmask_b32_e32 v55, 0x80000000, v55, vcc_lo
	v_cndmask_b32_e32 v54, 0, v54, vcc_lo
	v_lshrrev_b64 v[54:55], s54, v[54:55]
	s_delay_alu instid0(VALU_DEP_1) | instskip(NEXT) | instid1(VALU_DEP_1)
	v_and_b32_e32 v54, s59, v54
	v_lshl_or_b32 v54, v54, 4, v113
	ds_add_u32 v54, v125
	s_or_b32 exec_lo, exec_lo, s9
	s_delay_alu instid0(SALU_CYCLE_1)
	s_mov_b32 s9, exec_lo
	v_cmpx_gt_u32_e64 s8, v106
	s_cbranch_execz .LBB1245_52
.LBB1245_67:                            ;   in Loop: Header=BB1245_21 Depth=2
	v_cmp_lt_i64_e32 vcc_lo, -1, v[34:35]
	v_cndmask_b32_e64 v54, -1, 0x80000000, vcc_lo
	s_delay_alu instid0(VALU_DEP_1) | instskip(NEXT) | instid1(VALU_DEP_1)
	v_dual_ashrrev_i32 v56, 31, v35 :: v_dual_bitop2_b32 v55, v54, v35 bitop3:0x14
	v_xor_b32_e32 v54, v56, v34
	s_delay_alu instid0(VALU_DEP_1) | instskip(SKIP_2) | instid1(VALU_DEP_1)
	v_cmp_ne_u64_e32 vcc_lo, s[42:43], v[54:55]
	v_cndmask_b32_e32 v55, 0x80000000, v55, vcc_lo
	v_cndmask_b32_e32 v54, 0, v54, vcc_lo
	v_lshrrev_b64 v[54:55], s54, v[54:55]
	s_delay_alu instid0(VALU_DEP_1) | instskip(NEXT) | instid1(VALU_DEP_1)
	v_and_b32_e32 v54, s59, v54
	v_lshl_or_b32 v54, v54, 4, v113
	ds_add_u32 v54, v125
	s_or_b32 exec_lo, exec_lo, s9
	s_delay_alu instid0(SALU_CYCLE_1)
	s_mov_b32 s9, exec_lo
	v_cmpx_gt_u32_e64 s8, v107
	s_cbranch_execz .LBB1245_53
.LBB1245_68:                            ;   in Loop: Header=BB1245_21 Depth=2
	v_cmp_lt_i64_e32 vcc_lo, -1, v[32:33]
	v_cndmask_b32_e64 v54, -1, 0x80000000, vcc_lo
	s_delay_alu instid0(VALU_DEP_1) | instskip(NEXT) | instid1(VALU_DEP_1)
	v_dual_ashrrev_i32 v56, 31, v33 :: v_dual_bitop2_b32 v55, v54, v33 bitop3:0x14
	v_xor_b32_e32 v54, v56, v32
	s_delay_alu instid0(VALU_DEP_1) | instskip(SKIP_2) | instid1(VALU_DEP_1)
	v_cmp_ne_u64_e32 vcc_lo, s[42:43], v[54:55]
	v_cndmask_b32_e32 v55, 0x80000000, v55, vcc_lo
	v_cndmask_b32_e32 v54, 0, v54, vcc_lo
	v_lshrrev_b64 v[54:55], s54, v[54:55]
	s_delay_alu instid0(VALU_DEP_1) | instskip(NEXT) | instid1(VALU_DEP_1)
	v_and_b32_e32 v54, s59, v54
	v_lshl_or_b32 v54, v54, 4, v113
	ds_add_u32 v54, v125
	s_or_b32 exec_lo, exec_lo, s9
	s_delay_alu instid0(SALU_CYCLE_1)
	s_mov_b32 s9, exec_lo
	v_cmpx_gt_u32_e64 s8, v108
	s_cbranch_execz .LBB1245_54
.LBB1245_69:                            ;   in Loop: Header=BB1245_21 Depth=2
	v_cmp_lt_i64_e32 vcc_lo, -1, v[30:31]
	v_cndmask_b32_e64 v54, -1, 0x80000000, vcc_lo
	s_delay_alu instid0(VALU_DEP_1) | instskip(NEXT) | instid1(VALU_DEP_1)
	v_dual_ashrrev_i32 v56, 31, v31 :: v_dual_bitop2_b32 v55, v54, v31 bitop3:0x14
	v_xor_b32_e32 v54, v56, v30
	s_delay_alu instid0(VALU_DEP_1) | instskip(SKIP_2) | instid1(VALU_DEP_1)
	v_cmp_ne_u64_e32 vcc_lo, s[42:43], v[54:55]
	v_cndmask_b32_e32 v55, 0x80000000, v55, vcc_lo
	v_cndmask_b32_e32 v54, 0, v54, vcc_lo
	v_lshrrev_b64 v[54:55], s54, v[54:55]
	s_delay_alu instid0(VALU_DEP_1) | instskip(NEXT) | instid1(VALU_DEP_1)
	v_and_b32_e32 v54, s59, v54
	v_lshl_or_b32 v54, v54, 4, v113
	ds_add_u32 v54, v125
	s_or_b32 exec_lo, exec_lo, s9
	s_delay_alu instid0(SALU_CYCLE_1)
	s_mov_b32 s9, exec_lo
	v_cmpx_gt_u32_e64 s8, v109
	s_cbranch_execz .LBB1245_55
.LBB1245_70:                            ;   in Loop: Header=BB1245_21 Depth=2
	v_cmp_lt_i64_e32 vcc_lo, -1, v[28:29]
	v_cndmask_b32_e64 v54, -1, 0x80000000, vcc_lo
	s_delay_alu instid0(VALU_DEP_1) | instskip(NEXT) | instid1(VALU_DEP_1)
	v_dual_ashrrev_i32 v56, 31, v29 :: v_dual_bitop2_b32 v55, v54, v29 bitop3:0x14
	v_xor_b32_e32 v54, v56, v28
	s_delay_alu instid0(VALU_DEP_1) | instskip(SKIP_2) | instid1(VALU_DEP_1)
	v_cmp_ne_u64_e32 vcc_lo, s[42:43], v[54:55]
	v_cndmask_b32_e32 v55, 0x80000000, v55, vcc_lo
	v_cndmask_b32_e32 v54, 0, v54, vcc_lo
	v_lshrrev_b64 v[54:55], s54, v[54:55]
	s_delay_alu instid0(VALU_DEP_1) | instskip(NEXT) | instid1(VALU_DEP_1)
	v_and_b32_e32 v54, s59, v54
	v_lshl_or_b32 v54, v54, 4, v113
	ds_add_u32 v54, v125
	s_or_b32 exec_lo, exec_lo, s9
	s_delay_alu instid0(SALU_CYCLE_1)
	s_mov_b32 s9, exec_lo
	v_cmpx_gt_u32_e64 s8, v110
	s_cbranch_execz .LBB1245_56
.LBB1245_71:                            ;   in Loop: Header=BB1245_21 Depth=2
	v_cmp_lt_i64_e32 vcc_lo, -1, v[26:27]
	v_cndmask_b32_e64 v54, -1, 0x80000000, vcc_lo
	s_delay_alu instid0(VALU_DEP_1) | instskip(NEXT) | instid1(VALU_DEP_1)
	v_dual_ashrrev_i32 v56, 31, v27 :: v_dual_bitop2_b32 v55, v54, v27 bitop3:0x14
	v_xor_b32_e32 v54, v56, v26
	s_delay_alu instid0(VALU_DEP_1) | instskip(SKIP_2) | instid1(VALU_DEP_1)
	v_cmp_ne_u64_e32 vcc_lo, s[42:43], v[54:55]
	v_cndmask_b32_e32 v55, 0x80000000, v55, vcc_lo
	v_cndmask_b32_e32 v54, 0, v54, vcc_lo
	v_lshrrev_b64 v[54:55], s54, v[54:55]
	s_delay_alu instid0(VALU_DEP_1) | instskip(NEXT) | instid1(VALU_DEP_1)
	v_and_b32_e32 v54, s59, v54
	v_lshl_or_b32 v54, v54, 4, v113
	ds_add_u32 v54, v125
	s_or_b32 exec_lo, exec_lo, s9
	s_delay_alu instid0(SALU_CYCLE_1)
	s_mov_b32 s9, exec_lo
	v_cmpx_gt_u32_e64 s8, v111
	s_cbranch_execz .LBB1245_57
.LBB1245_72:                            ;   in Loop: Header=BB1245_21 Depth=2
	v_cmp_lt_i64_e32 vcc_lo, -1, v[24:25]
	v_cndmask_b32_e64 v54, -1, 0x80000000, vcc_lo
	s_delay_alu instid0(VALU_DEP_1) | instskip(NEXT) | instid1(VALU_DEP_1)
	v_dual_ashrrev_i32 v56, 31, v25 :: v_dual_bitop2_b32 v55, v54, v25 bitop3:0x14
	v_xor_b32_e32 v54, v56, v24
	s_delay_alu instid0(VALU_DEP_1) | instskip(SKIP_2) | instid1(VALU_DEP_1)
	v_cmp_ne_u64_e32 vcc_lo, s[42:43], v[54:55]
	v_cndmask_b32_e32 v55, 0x80000000, v55, vcc_lo
	v_cndmask_b32_e32 v54, 0, v54, vcc_lo
	v_lshrrev_b64 v[54:55], s54, v[54:55]
	s_delay_alu instid0(VALU_DEP_1) | instskip(NEXT) | instid1(VALU_DEP_1)
	v_and_b32_e32 v54, s59, v54
	v_lshl_or_b32 v54, v54, 4, v113
	ds_add_u32 v54, v125
	s_or_b32 exec_lo, exec_lo, s9
	v_cmp_gt_u32_e32 vcc_lo, s8, v112
	s_and_saveexec_b32 s8, vcc_lo
	s_cbranch_execz .LBB1245_20
.LBB1245_73:                            ;   in Loop: Header=BB1245_21 Depth=2
	v_cmp_lt_i64_e32 vcc_lo, -1, v[22:23]
	v_cndmask_b32_e64 v54, -1, 0x80000000, vcc_lo
	s_delay_alu instid0(VALU_DEP_1) | instskip(NEXT) | instid1(VALU_DEP_1)
	v_dual_ashrrev_i32 v56, 31, v23 :: v_dual_bitop2_b32 v55, v54, v23 bitop3:0x14
	v_xor_b32_e32 v54, v56, v22
	s_delay_alu instid0(VALU_DEP_1) | instskip(SKIP_2) | instid1(VALU_DEP_1)
	v_cmp_ne_u64_e32 vcc_lo, s[42:43], v[54:55]
	v_cndmask_b32_e32 v55, 0x80000000, v55, vcc_lo
	v_cndmask_b32_e32 v54, 0, v54, vcc_lo
	v_lshrrev_b64 v[54:55], s54, v[54:55]
	s_delay_alu instid0(VALU_DEP_1) | instskip(NEXT) | instid1(VALU_DEP_1)
	v_and_b32_e32 v54, s59, v54
	v_lshl_or_b32 v54, v54, 4, v113
	ds_add_u32 v54, v125
	s_branch .LBB1245_20
.LBB1245_74:                            ;   in Loop: Header=BB1245_21 Depth=2
	global_load_b64 v[52:53], v2, s[8:9] scale_offset
	s_wait_xcnt 0x0
	s_or_b32 exec_lo, exec_lo, s11
	s_delay_alu instid0(SALU_CYCLE_1)
	s_mov_b32 s11, exec_lo
	v_cmpx_gt_u32_e64 s7, v98
	s_cbranch_execz .LBB1245_26
.LBB1245_75:                            ;   in Loop: Header=BB1245_21 Depth=2
	global_load_b64 v[50:51], v2, s[8:9] offset:2048 scale_offset
	s_wait_xcnt 0x0
	s_or_b32 exec_lo, exec_lo, s11
	s_delay_alu instid0(SALU_CYCLE_1)
	s_mov_b32 s11, exec_lo
	v_cmpx_gt_u32_e64 s7, v99
	s_cbranch_execz .LBB1245_27
.LBB1245_76:                            ;   in Loop: Header=BB1245_21 Depth=2
	global_load_b64 v[48:49], v2, s[8:9] offset:4096 scale_offset
	s_wait_xcnt 0x0
	s_or_b32 exec_lo, exec_lo, s11
	s_delay_alu instid0(SALU_CYCLE_1)
	s_mov_b32 s11, exec_lo
	v_cmpx_gt_u32_e64 s7, v100
	s_cbranch_execz .LBB1245_28
.LBB1245_77:                            ;   in Loop: Header=BB1245_21 Depth=2
	global_load_b64 v[46:47], v2, s[8:9] offset:6144 scale_offset
	s_wait_xcnt 0x0
	s_or_b32 exec_lo, exec_lo, s11
	s_delay_alu instid0(SALU_CYCLE_1)
	s_mov_b32 s11, exec_lo
	v_cmpx_gt_u32_e64 s7, v101
	s_cbranch_execz .LBB1245_29
.LBB1245_78:                            ;   in Loop: Header=BB1245_21 Depth=2
	global_load_b64 v[44:45], v2, s[8:9] offset:8192 scale_offset
	s_wait_xcnt 0x0
	s_or_b32 exec_lo, exec_lo, s11
	s_delay_alu instid0(SALU_CYCLE_1)
	s_mov_b32 s11, exec_lo
	v_cmpx_gt_u32_e64 s7, v102
	s_cbranch_execz .LBB1245_30
.LBB1245_79:                            ;   in Loop: Header=BB1245_21 Depth=2
	global_load_b64 v[42:43], v2, s[8:9] offset:10240 scale_offset
	s_wait_xcnt 0x0
	s_or_b32 exec_lo, exec_lo, s11
	s_delay_alu instid0(SALU_CYCLE_1)
	s_mov_b32 s11, exec_lo
	v_cmpx_gt_u32_e64 s7, v103
	s_cbranch_execz .LBB1245_31
.LBB1245_80:                            ;   in Loop: Header=BB1245_21 Depth=2
	global_load_b64 v[40:41], v2, s[8:9] offset:12288 scale_offset
	s_wait_xcnt 0x0
	s_or_b32 exec_lo, exec_lo, s11
	s_delay_alu instid0(SALU_CYCLE_1)
	s_mov_b32 s11, exec_lo
	v_cmpx_gt_u32_e64 s7, v104
	s_cbranch_execz .LBB1245_32
.LBB1245_81:                            ;   in Loop: Header=BB1245_21 Depth=2
	global_load_b64 v[38:39], v2, s[8:9] offset:14336 scale_offset
	s_wait_xcnt 0x0
	s_or_b32 exec_lo, exec_lo, s11
	s_delay_alu instid0(SALU_CYCLE_1)
	s_mov_b32 s11, exec_lo
	v_cmpx_gt_u32_e64 s7, v105
	s_cbranch_execz .LBB1245_33
.LBB1245_82:                            ;   in Loop: Header=BB1245_21 Depth=2
	global_load_b64 v[36:37], v2, s[8:9] offset:16384 scale_offset
	s_wait_xcnt 0x0
	s_or_b32 exec_lo, exec_lo, s11
	s_delay_alu instid0(SALU_CYCLE_1)
	s_mov_b32 s11, exec_lo
	v_cmpx_gt_u32_e64 s7, v106
	s_cbranch_execz .LBB1245_34
.LBB1245_83:                            ;   in Loop: Header=BB1245_21 Depth=2
	global_load_b64 v[34:35], v2, s[8:9] offset:18432 scale_offset
	s_wait_xcnt 0x0
	s_or_b32 exec_lo, exec_lo, s11
	s_delay_alu instid0(SALU_CYCLE_1)
	s_mov_b32 s11, exec_lo
	v_cmpx_gt_u32_e64 s7, v107
	s_cbranch_execz .LBB1245_35
.LBB1245_84:                            ;   in Loop: Header=BB1245_21 Depth=2
	global_load_b64 v[32:33], v2, s[8:9] offset:20480 scale_offset
	s_wait_xcnt 0x0
	s_or_b32 exec_lo, exec_lo, s11
	s_delay_alu instid0(SALU_CYCLE_1)
	s_mov_b32 s11, exec_lo
	v_cmpx_gt_u32_e64 s7, v108
	s_cbranch_execz .LBB1245_36
.LBB1245_85:                            ;   in Loop: Header=BB1245_21 Depth=2
	global_load_b64 v[30:31], v2, s[8:9] offset:22528 scale_offset
	s_wait_xcnt 0x0
	s_or_b32 exec_lo, exec_lo, s11
	s_delay_alu instid0(SALU_CYCLE_1)
	s_mov_b32 s11, exec_lo
	v_cmpx_gt_u32_e64 s7, v109
	s_cbranch_execz .LBB1245_37
.LBB1245_86:                            ;   in Loop: Header=BB1245_21 Depth=2
	global_load_b64 v[28:29], v2, s[8:9] offset:24576 scale_offset
	s_wait_xcnt 0x0
	s_or_b32 exec_lo, exec_lo, s11
	s_delay_alu instid0(SALU_CYCLE_1)
	s_mov_b32 s11, exec_lo
	v_cmpx_gt_u32_e64 s7, v110
	s_cbranch_execz .LBB1245_38
.LBB1245_87:                            ;   in Loop: Header=BB1245_21 Depth=2
	global_load_b64 v[26:27], v2, s[8:9] offset:26624 scale_offset
	s_wait_xcnt 0x0
	s_or_b32 exec_lo, exec_lo, s11
	s_delay_alu instid0(SALU_CYCLE_1)
	s_mov_b32 s11, exec_lo
	v_cmpx_gt_u32_e64 s7, v111
	s_cbranch_execz .LBB1245_39
.LBB1245_88:                            ;   in Loop: Header=BB1245_21 Depth=2
	global_load_b64 v[24:25], v2, s[8:9] offset:28672 scale_offset
	s_wait_xcnt 0x0
	s_or_b32 exec_lo, exec_lo, s11
	s_delay_alu instid0(SALU_CYCLE_1)
	s_mov_b32 s11, exec_lo
	v_cmpx_gt_u32_e64 s7, v112
	s_cbranch_execnz .LBB1245_40
	s_branch .LBB1245_41
.LBB1245_89:                            ;   in Loop: Header=BB1245_17 Depth=1
	v_mov_b32_e32 v22, 0
	s_wait_dscnt 0x0
	s_barrier_signal -1
	s_barrier_wait -1
	s_and_saveexec_b32 s7, s0
	s_cbranch_execz .LBB1245_91
; %bb.90:                               ;   in Loop: Header=BB1245_17 Depth=1
	ds_load_2addr_b64 v[22:25], v115 offset1:1
	s_wait_dscnt 0x0
	v_add_nc_u32_e32 v22, v23, v22
	s_delay_alu instid0(VALU_DEP_1)
	v_add3_u32 v22, v22, v24, v25
.LBB1245_91:                            ;   in Loop: Header=BB1245_17 Depth=1
	s_or_b32 exec_lo, exec_lo, s7
	s_delay_alu instid0(VALU_DEP_1)
	v_mov_b32_dpp v23, v22 row_shr:1 row_mask:0xf bank_mask:0xf
	v_cmp_eq_u32_e64 s7, 0, v126
	v_cmp_lt_u32_e64 s8, 1, v126
	v_cmp_lt_u32_e64 s9, 3, v126
	;; [unrolled: 1-line block ×3, first 2 shown]
	v_cmp_eq_u32_e64 s11, 0, v128
	v_cndmask_b32_e64 v23, v23, 0, s7
	s_delay_alu instid0(VALU_DEP_1) | instskip(NEXT) | instid1(VALU_DEP_1)
	v_add_nc_u32_e32 v22, v23, v22
	v_mov_b32_dpp v23, v22 row_shr:2 row_mask:0xf bank_mask:0xf
	s_delay_alu instid0(VALU_DEP_1) | instskip(NEXT) | instid1(VALU_DEP_1)
	v_cndmask_b32_e64 v23, 0, v23, s8
	v_add_nc_u32_e32 v22, v22, v23
	s_delay_alu instid0(VALU_DEP_1) | instskip(NEXT) | instid1(VALU_DEP_1)
	v_mov_b32_dpp v23, v22 row_shr:4 row_mask:0xf bank_mask:0xf
	v_cndmask_b32_e64 v23, 0, v23, s9
	s_delay_alu instid0(VALU_DEP_1) | instskip(NEXT) | instid1(VALU_DEP_1)
	v_add_nc_u32_e32 v22, v22, v23
	v_mov_b32_dpp v23, v22 row_shr:8 row_mask:0xf bank_mask:0xf
	s_delay_alu instid0(VALU_DEP_1) | instskip(NEXT) | instid1(VALU_DEP_1)
	v_cndmask_b32_e64 v23, 0, v23, s10
	v_add_nc_u32_e32 v22, v22, v23
	ds_swizzle_b32 v23, v22 offset:swizzle(BROADCAST,32,15)
	s_wait_dscnt 0x0
	v_and_b32_e32 v23, v127, v23
	s_delay_alu instid0(VALU_DEP_1)
	v_add_nc_u32_e32 v22, v22, v23
	s_and_saveexec_b32 s12, s1
; %bb.92:                               ;   in Loop: Header=BB1245_17 Depth=1
	ds_store_b32 v116, v22
; %bb.93:                               ;   in Loop: Header=BB1245_17 Depth=1
	s_or_b32 exec_lo, exec_lo, s12
	s_wait_dscnt 0x0
	s_barrier_signal -1
	s_barrier_wait -1
	s_and_saveexec_b32 s12, s4
	s_cbranch_execz .LBB1245_95
; %bb.94:                               ;   in Loop: Header=BB1245_17 Depth=1
	ds_load_b32 v23, v117
	v_cmp_ne_u32_e32 vcc_lo, 0, v130
	s_wait_dscnt 0x0
	v_mov_b32_dpp v24, v23 row_shr:1 row_mask:0xf bank_mask:0xf
	s_delay_alu instid0(VALU_DEP_1) | instskip(SKIP_1) | instid1(VALU_DEP_2)
	v_cndmask_b32_e32 v24, 0, v24, vcc_lo
	v_cmp_lt_u32_e32 vcc_lo, 1, v130
	v_add_nc_u32_e32 v23, v24, v23
	s_delay_alu instid0(VALU_DEP_1) | instskip(NEXT) | instid1(VALU_DEP_1)
	v_mov_b32_dpp v24, v23 row_shr:2 row_mask:0xf bank_mask:0xf
	v_cndmask_b32_e32 v24, 0, v24, vcc_lo
	v_cmp_lt_u32_e32 vcc_lo, 3, v130
	s_delay_alu instid0(VALU_DEP_2) | instskip(NEXT) | instid1(VALU_DEP_1)
	v_add_nc_u32_e32 v23, v23, v24
	v_mov_b32_dpp v24, v23 row_shr:4 row_mask:0xf bank_mask:0xf
	s_delay_alu instid0(VALU_DEP_1) | instskip(NEXT) | instid1(VALU_DEP_1)
	v_cndmask_b32_e32 v24, 0, v24, vcc_lo
	v_add_nc_u32_e32 v23, v23, v24
	ds_store_b32 v117, v23
.LBB1245_95:                            ;   in Loop: Header=BB1245_17 Depth=1
	s_or_b32 exec_lo, exec_lo, s12
	v_mov_b32_e32 v23, 0
	s_wait_dscnt 0x0
	s_barrier_signal -1
	s_barrier_wait -1
	s_and_saveexec_b32 s12, s5
; %bb.96:                               ;   in Loop: Header=BB1245_17 Depth=1
	ds_load_b32 v23, v118
; %bb.97:                               ;   in Loop: Header=BB1245_17 Depth=1
	s_or_b32 exec_lo, exec_lo, s12
	v_cmp_gt_i32_e32 vcc_lo, 0, v131
	s_wait_dscnt 0x0
	s_barrier_signal -1
	s_barrier_wait -1
	v_cndmask_b32_e32 v24, v131, v124, vcc_lo
	s_delay_alu instid0(VALU_DEP_1)
	v_dual_add_nc_u32 v22, v23, v22 :: v_dual_lshlrev_b32 v147, 2, v24
	ds_bpermute_b32 v22, v147, v22
	s_and_saveexec_b32 s12, s0
	s_cbranch_execz .LBB1245_99
; %bb.98:                               ;   in Loop: Header=BB1245_17 Depth=1
	s_wait_dscnt 0x0
	v_cndmask_b32_e64 v22, v22, v23, s6
	s_delay_alu instid0(VALU_DEP_1)
	v_add_nc_u32_e32 v22, s56, v22
	ds_store_b32 v3, v22
.LBB1245_99:                            ;   in Loop: Header=BB1245_17 Depth=1
	s_or_b32 exec_lo, exec_lo, s12
	s_clause 0x1
	s_load_b32 s12, s[52:53], 0x4
	s_load_b32 s14, s[52:53], 0xc
	v_add_nc_u64_e32 v[24:25], v[8:9], v[4:5]
	s_mov_b32 s60, s58
                                        ; implicit-def: $vgpr28_vgpr29
                                        ; implicit-def: $vgpr30_vgpr31
                                        ; implicit-def: $vgpr32_vgpr33
                                        ; implicit-def: $vgpr34_vgpr35
                                        ; implicit-def: $vgpr36_vgpr37
                                        ; implicit-def: $vgpr38_vgpr39
                                        ; implicit-def: $vgpr40_vgpr41
                                        ; implicit-def: $vgpr42_vgpr43
                                        ; implicit-def: $vgpr44_vgpr45
                                        ; implicit-def: $vgpr46_vgpr47
                                        ; implicit-def: $vgpr48_vgpr49
                                        ; implicit-def: $vgpr50_vgpr51
                                        ; implicit-def: $vgpr52_vgpr53
                                        ; implicit-def: $vgpr54_vgpr55
                                        ; implicit-def: $vgpr56_vgpr57
                                        ; implicit-def: $vgpr149
                                        ; implicit-def: $vgpr150
                                        ; implicit-def: $vgpr151
                                        ; implicit-def: $vgpr152
                                        ; implicit-def: $vgpr153
                                        ; implicit-def: $vgpr154
                                        ; implicit-def: $vgpr155
                                        ; implicit-def: $vgpr156
                                        ; implicit-def: $vgpr157
                                        ; implicit-def: $vgpr158
                                        ; implicit-def: $vgpr159
                                        ; implicit-def: $vgpr160
                                        ; implicit-def: $vgpr161
                                        ; implicit-def: $vgpr162
                                        ; implicit-def: $vgpr163
                                        ; implicit-def: $vgpr164
	s_wait_kmcnt 0x0
	s_cmp_lt_u32 s31, s12
	s_cselect_b32 s34, 14, 20
	s_delay_alu instid0(SALU_CYCLE_1)
	s_add_nc_u64 s[12:13], s[52:53], s[34:35]
	s_mov_b32 s34, s56
	s_load_u16 s12, s[12:13], 0x0
	s_wait_xcnt 0x0
	v_cmp_lt_u32_e64 s13, 1, v130
	s_wait_dscnt 0x0
	s_wait_kmcnt 0x0
	v_mad_u32_u24 v22, v119, s12, v121
	s_and_b32 s12, s14, 0xffff
	v_cmp_lt_u32_e64 s14, 3, v130
	s_delay_alu instid0(VALU_DEP_2) | instskip(SKIP_1) | instid1(VALU_DEP_2)
	v_mad_u32 v22, v22, s12, v2
	v_cmp_eq_u32_e64 s12, 0, v130
	v_lshrrev_b32_e32 v26, 3, v22
	v_add_nc_u64_e32 v[22:23], v[0:1], v[4:5]
	s_delay_alu instid0(VALU_DEP_2)
	v_and_b32_e32 v148, 0x1ffffffc, v26
                                        ; implicit-def: $vgpr26_vgpr27
	s_branch .LBB1245_101
.LBB1245_100:                           ;   in Loop: Header=BB1245_101 Depth=2
	s_or_b32 exec_lo, exec_lo, s15
	s_addk_co_i32 s60, 0xf000
	s_cmp_lt_u32 s61, s51
	s_mov_b32 s34, s61
	s_cbranch_scc0 .LBB1245_309
.LBB1245_101:                           ;   Parent Loop BB1245_17 Depth=1
                                        ; =>  This Inner Loop Header: Depth=2
	s_add_co_i32 s61, s34, 0x1000
	s_delay_alu instid0(SALU_CYCLE_1)
	s_cmp_gt_u32 s61, s51
	s_cbranch_scc1 .LBB1245_103
; %bb.102:                              ;   in Loop: Header=BB1245_101 Depth=2
	v_lshl_add_u64 v[66:67], s[34:35], 3, v[24:25]
	s_mov_b32 s15, -1
	s_clause 0xe
	global_load_b64 v[58:59], v[66:67], off
	global_load_b64 v[60:61], v[66:67], off offset:256
	global_load_b64 v[62:63], v[66:67], off offset:512
	;; [unrolled: 1-line block ×14, first 2 shown]
	s_movk_i32 s16, 0x1000
	s_cbranch_execz .LBB1245_104
	s_branch .LBB1245_135
.LBB1245_103:                           ;   in Loop: Header=BB1245_101 Depth=2
	s_mov_b32 s15, 0
                                        ; implicit-def: $vgpr58_vgpr59
                                        ; implicit-def: $vgpr60_vgpr61
                                        ; implicit-def: $vgpr62_vgpr63
                                        ; implicit-def: $vgpr70_vgpr71
                                        ; implicit-def: $vgpr74_vgpr75
                                        ; implicit-def: $vgpr78_vgpr79
                                        ; implicit-def: $vgpr82_vgpr83
                                        ; implicit-def: $vgpr86_vgpr87
                                        ; implicit-def: $vgpr88_vgpr89
                                        ; implicit-def: $vgpr84_vgpr85
                                        ; implicit-def: $vgpr80_vgpr81
                                        ; implicit-def: $vgpr76_vgpr77
                                        ; implicit-def: $vgpr72_vgpr73
                                        ; implicit-def: $vgpr68_vgpr69
                                        ; implicit-def: $vgpr64_vgpr65
	s_movk_i32 s16, 0x1000
.LBB1245_104:                           ;   in Loop: Header=BB1245_101 Depth=2
	s_wait_loadcnt 0xd
	v_mov_b64_e32 v[60:61], 0x7fffffffffffffff
	v_mov_b64_e32 v[58:59], 0x7fffffffffffffff
	s_wait_xcnt 0x0
	v_lshl_add_u64 v[66:67], s[34:35], 3, v[24:25]
	s_mov_b32 s15, exec_lo
	v_cmpx_gt_u32_e64 s60, v129
	s_cbranch_execz .LBB1245_106
; %bb.105:                              ;   in Loop: Header=BB1245_101 Depth=2
	global_load_b64 v[58:59], v[66:67], off
.LBB1245_106:                           ;   in Loop: Header=BB1245_101 Depth=2
	s_wait_xcnt 0x0
	s_or_b32 exec_lo, exec_lo, s15
	s_delay_alu instid0(SALU_CYCLE_1)
	s_mov_b32 s15, exec_lo
	v_cmpx_gt_u32_e64 s60, v132
	s_cbranch_execz .LBB1245_108
; %bb.107:                              ;   in Loop: Header=BB1245_101 Depth=2
	global_load_b64 v[60:61], v[66:67], off offset:256
.LBB1245_108:                           ;   in Loop: Header=BB1245_101 Depth=2
	s_wait_xcnt 0x0
	s_or_b32 exec_lo, exec_lo, s15
	s_wait_loadcnt 0xb
	v_mov_b64_e32 v[70:71], 0x7fffffffffffffff
	v_mov_b64_e32 v[62:63], 0x7fffffffffffffff
	s_mov_b32 s15, exec_lo
	v_cmpx_gt_u32_e64 s60, v133
	s_cbranch_execz .LBB1245_110
; %bb.109:                              ;   in Loop: Header=BB1245_101 Depth=2
	global_load_b64 v[62:63], v[66:67], off offset:512
.LBB1245_110:                           ;   in Loop: Header=BB1245_101 Depth=2
	s_wait_xcnt 0x0
	s_or_b32 exec_lo, exec_lo, s15
	s_delay_alu instid0(SALU_CYCLE_1)
	s_mov_b32 s15, exec_lo
	v_cmpx_gt_u32_e64 s60, v134
	s_cbranch_execz .LBB1245_112
; %bb.111:                              ;   in Loop: Header=BB1245_101 Depth=2
	global_load_b64 v[70:71], v[66:67], off offset:768
.LBB1245_112:                           ;   in Loop: Header=BB1245_101 Depth=2
	s_wait_xcnt 0x0
	s_or_b32 exec_lo, exec_lo, s15
	s_wait_loadcnt 0x9
	v_mov_b64_e32 v[78:79], 0x7fffffffffffffff
	v_mov_b64_e32 v[74:75], 0x7fffffffffffffff
	s_mov_b32 s15, exec_lo
	v_cmpx_gt_u32_e64 s60, v135
	s_cbranch_execz .LBB1245_114
; %bb.113:                              ;   in Loop: Header=BB1245_101 Depth=2
	global_load_b64 v[74:75], v[66:67], off offset:1024
.LBB1245_114:                           ;   in Loop: Header=BB1245_101 Depth=2
	;; [unrolled: 20-line block ×6, first 2 shown]
	s_wait_xcnt 0x0
	s_or_b32 exec_lo, exec_lo, s15
	s_delay_alu instid0(SALU_CYCLE_1)
	s_mov_b32 s15, exec_lo
	v_cmpx_gt_u32_e64 s60, v144
	s_cbranch_execz .LBB1245_132
; %bb.131:                              ;   in Loop: Header=BB1245_101 Depth=2
	global_load_b64 v[68:69], v[66:67], off offset:3328
.LBB1245_132:                           ;   in Loop: Header=BB1245_101 Depth=2
	s_wait_xcnt 0x0
	s_or_b32 exec_lo, exec_lo, s15
	s_wait_loadcnt 0x0
	v_mov_b64_e32 v[64:65], 0x7fffffffffffffff
	s_mov_b32 s15, exec_lo
	v_cmpx_gt_u32_e64 s60, v145
	s_cbranch_execz .LBB1245_134
; %bb.133:                              ;   in Loop: Header=BB1245_101 Depth=2
	global_load_b64 v[64:65], v[66:67], off offset:3584
.LBB1245_134:                           ;   in Loop: Header=BB1245_101 Depth=2
	s_wait_xcnt 0x0
	s_or_b32 exec_lo, exec_lo, s15
	v_cmp_gt_u32_e64 s15, s60, v146
	s_sub_co_i32 s16, s51, s34
.LBB1245_135:                           ;   in Loop: Header=BB1245_101 Depth=2
	s_wait_xcnt 0x0
	v_mov_b64_e32 v[66:67], 0x7fffffffffffffff
	v_mov_b32_e32 v165, s60
	s_and_saveexec_b32 s17, s15
	s_cbranch_execz .LBB1245_137
; %bb.136:                              ;   in Loop: Header=BB1245_101 Depth=2
	v_lshl_add_u64 v[66:67], s[34:35], 3, v[24:25]
	v_mov_b32_e32 v165, s16
	global_load_b64 v[66:67], v[66:67], off offset:3840
.LBB1245_137:                           ;   in Loop: Header=BB1245_101 Depth=2
	s_wait_xcnt 0x0
	s_or_b32 exec_lo, exec_lo, s17
	s_wait_loadcnt 0xe
	v_cmp_lt_i64_e32 vcc_lo, -1, v[58:59]
	v_add_nc_u32_e32 v168, 0x420, v120
	v_add_nc_u32_e32 v169, 0x428, v120
	v_add_nc_u32_e32 v170, 0x430, v120
	v_cndmask_b32_e64 v90, -1, 0x80000000, vcc_lo
	s_delay_alu instid0(VALU_DEP_1) | instskip(NEXT) | instid1(VALU_DEP_1)
	v_dual_ashrrev_i32 v91, 31, v59 :: v_dual_bitop2_b32 v59, v90, v59 bitop3:0x14
	v_xor_b32_e32 v58, v91, v58
	s_delay_alu instid0(VALU_DEP_1) | instskip(SKIP_2) | instid1(VALU_DEP_1)
	v_cmp_ne_u64_e32 vcc_lo, s[42:43], v[58:59]
	v_cndmask_b32_e32 v91, 0x80000000, v59, vcc_lo
	v_cndmask_b32_e32 v90, 0, v58, vcc_lo
	v_lshrrev_b64 v[90:91], s54, v[90:91]
	s_delay_alu instid0(VALU_DEP_1) | instskip(SKIP_1) | instid1(VALU_DEP_2)
	v_bitop3_b32 v91, v90, 1, s59 bitop3:0x80
	v_and_b32_e32 v92, s59, v90
	v_add_co_u32 v90, s15, v91, -1
	s_delay_alu instid0(VALU_DEP_1) | instskip(NEXT) | instid1(VALU_DEP_3)
	v_cndmask_b32_e64 v91, 0, 1, s15
	v_lshlrev_b32_e32 v93, 30, v92
	s_delay_alu instid0(VALU_DEP_2) | instskip(NEXT) | instid1(VALU_DEP_2)
	v_cmp_ne_u32_e32 vcc_lo, 0, v91
	v_not_b32_e32 v91, v93
	v_cmp_gt_i32_e64 s15, 0, v93
	s_delay_alu instid0(VALU_DEP_2) | instskip(SKIP_3) | instid1(VALU_DEP_4)
	v_dual_ashrrev_i32 v91, 31, v91 :: v_dual_lshlrev_b32 v94, 29, v92
	v_dual_lshlrev_b32 v95, 28, v92 :: v_dual_lshlrev_b32 v96, 27, v92
	v_dual_lshlrev_b32 v97, 26, v92 :: v_dual_lshlrev_b32 v166, 25, v92
	v_lshlrev_b32_e32 v167, 24, v92
	v_cmp_gt_i32_e64 s16, 0, v94
	v_not_b32_e32 v93, v94
	v_not_b32_e32 v94, v95
	v_cmp_gt_i32_e64 s17, 0, v95
	v_cmp_gt_i32_e64 s18, 0, v96
	v_not_b32_e32 v95, v96
	v_not_b32_e32 v96, v97
	v_dual_ashrrev_i32 v93, 31, v93 :: v_dual_bitop2_b32 v90, vcc_lo, v90 bitop3:0x14
	v_dual_ashrrev_i32 v94, 31, v94 :: v_dual_bitop2_b32 v91, s15, v91 bitop3:0x14
	v_cmp_gt_i32_e64 s19, 0, v97
	v_cmp_gt_i32_e64 s20, 0, v166
	v_not_b32_e32 v97, v166
	v_not_b32_e32 v166, v167
	v_dual_ashrrev_i32 v95, 31, v95 :: v_dual_ashrrev_i32 v96, 31, v96
	v_xor_b32_e32 v93, s16, v93
	v_xor_b32_e32 v94, s17, v94
	v_bitop3_b32 v90, v90, v91, exec_lo bitop3:0x80
	v_cmp_gt_i32_e64 s21, 0, v167
	v_dual_ashrrev_i32 v91, 31, v97 :: v_dual_ashrrev_i32 v97, 31, v166
	v_xor_b32_e32 v95, s18, v95
	v_xor_b32_e32 v96, s19, v96
	v_bitop3_b32 v90, v90, v94, v93 bitop3:0x80
	s_delay_alu instid0(VALU_DEP_4) | instskip(SKIP_2) | instid1(VALU_DEP_4)
	v_xor_b32_e32 v91, s20, v91
	v_xor_b32_e32 v93, s21, v97
	v_add_nc_u32_e32 v167, 0x438, v120
	v_bitop3_b32 v90, v90, v96, v95 bitop3:0x80
	ds_store_2addr_b32 v167, v5, v5 offset1:1
	ds_store_2addr_b32 v168, v5, v5 offset1:1
	;; [unrolled: 1-line block ×4, first 2 shown]
	ds_store_b32 v120, v5 offset:1088
	v_bitop3_b32 v90, v90, v93, v91 bitop3:0x80
	v_mul_u32_u24_e32 v91, 36, v92
	s_wait_loadcnt_dscnt 0x0
	s_barrier_signal -1
	s_barrier_wait -1
	v_mbcnt_lo_u32_b32 v166, v90, 0
	v_cmp_ne_u32_e64 s15, 0, v90
	v_add_nc_u32_e32 v171, v148, v91
	s_delay_alu instid0(VALU_DEP_3) | instskip(SKIP_1) | instid1(SALU_CYCLE_1)
	v_cmp_eq_u32_e32 vcc_lo, 0, v166
	; wave barrier
	s_and_b32 s16, s15, vcc_lo
	s_and_saveexec_b32 s15, s16
; %bb.138:                              ;   in Loop: Header=BB1245_101 Depth=2
	v_bcnt_u32_b32 v90, v90, 0
	ds_store_b32 v171, v90 offset:1056
; %bb.139:                              ;   in Loop: Header=BB1245_101 Depth=2
	s_or_b32 exec_lo, exec_lo, s15
	v_cmp_lt_i64_e32 vcc_lo, -1, v[60:61]
	; wave barrier
	v_cndmask_b32_e64 v90, -1, 0x80000000, vcc_lo
	s_delay_alu instid0(VALU_DEP_1) | instskip(NEXT) | instid1(VALU_DEP_1)
	v_dual_ashrrev_i32 v91, 31, v61 :: v_dual_bitop2_b32 v61, v90, v61 bitop3:0x14
	v_xor_b32_e32 v60, v91, v60
	s_delay_alu instid0(VALU_DEP_1) | instskip(SKIP_2) | instid1(VALU_DEP_1)
	v_cmp_ne_u64_e32 vcc_lo, s[42:43], v[60:61]
	v_cndmask_b32_e32 v91, 0x80000000, v61, vcc_lo
	v_cndmask_b32_e32 v90, 0, v60, vcc_lo
	v_lshrrev_b64 v[90:91], s54, v[90:91]
	s_delay_alu instid0(VALU_DEP_1) | instskip(SKIP_1) | instid1(VALU_DEP_2)
	v_bitop3_b32 v91, v90, 1, s59 bitop3:0x80
	v_and_b32_e32 v92, s59, v90
	v_add_co_u32 v90, s15, v91, -1
	s_delay_alu instid0(VALU_DEP_1) | instskip(NEXT) | instid1(VALU_DEP_3)
	v_cndmask_b32_e64 v91, 0, 1, s15
	v_dual_lshlrev_b32 v93, 30, v92 :: v_dual_lshlrev_b32 v95, 28, v92
	v_dual_lshlrev_b32 v94, 29, v92 :: v_dual_lshlrev_b32 v96, 27, v92
	s_delay_alu instid0(VALU_DEP_3) | instskip(NEXT) | instid1(VALU_DEP_3)
	v_cmp_ne_u32_e32 vcc_lo, 0, v91
	v_cmp_gt_i32_e64 s15, 0, v93
	v_not_b32_e32 v91, v93
	s_delay_alu instid0(VALU_DEP_4) | instskip(SKIP_4) | instid1(VALU_DEP_4)
	v_cmp_gt_i32_e64 s16, 0, v94
	v_not_b32_e32 v93, v94
	v_cmp_gt_i32_e64 s17, 0, v95
	v_not_b32_e32 v94, v95
	v_not_b32_e32 v95, v96
	v_dual_ashrrev_i32 v91, 31, v91 :: v_dual_ashrrev_i32 v93, 31, v93
	s_delay_alu instid0(VALU_DEP_2) | instskip(SKIP_4) | instid1(VALU_DEP_4)
	v_dual_ashrrev_i32 v94, 31, v94 :: v_dual_ashrrev_i32 v95, 31, v95
	v_dual_lshlrev_b32 v97, 26, v92 :: v_dual_lshlrev_b32 v172, 25, v92
	v_lshlrev_b32_e32 v173, 24, v92
	v_cmp_gt_i32_e64 s18, 0, v96
	v_xor_b32_e32 v91, s15, v91
	v_not_b32_e32 v96, v97
	v_xor_b32_e32 v90, vcc_lo, v90
	v_cmp_gt_i32_e64 s19, 0, v97
	v_cmp_gt_i32_e64 s20, 0, v172
	v_not_b32_e32 v97, v172
	v_not_b32_e32 v172, v173
	v_dual_ashrrev_i32 v96, 31, v96 :: v_dual_bitop2_b32 v93, s16, v93 bitop3:0x14
	v_xor_b32_e32 v94, s17, v94
	v_bitop3_b32 v90, v90, v91, exec_lo bitop3:0x80
	v_cmp_gt_i32_e64 s21, 0, v173
	v_dual_ashrrev_i32 v91, 31, v97 :: v_dual_ashrrev_i32 v97, 31, v172
	v_xor_b32_e32 v95, s18, v95
	v_xor_b32_e32 v96, s19, v96
	v_bitop3_b32 v90, v90, v94, v93 bitop3:0x80
	v_mad_u32_u24 v93, v92, 36, v148
	v_xor_b32_e32 v91, s20, v91
	v_xor_b32_e32 v94, s21, v97
	s_delay_alu instid0(VALU_DEP_4) | instskip(SKIP_3) | instid1(VALU_DEP_2)
	v_bitop3_b32 v90, v90, v96, v95 bitop3:0x80
	ds_load_b32 v172, v93 offset:1056
	; wave barrier
	v_bitop3_b32 v90, v90, v94, v91 bitop3:0x80
	v_mul_u32_u24_e32 v91, 36, v92
	v_mbcnt_lo_u32_b32 v173, v90, 0
	v_cmp_ne_u32_e64 s15, 0, v90
	s_delay_alu instid0(VALU_DEP_3) | instskip(NEXT) | instid1(VALU_DEP_3)
	v_add_nc_u32_e32 v174, v148, v91
	v_cmp_eq_u32_e32 vcc_lo, 0, v173
	s_and_b32 s16, s15, vcc_lo
	s_delay_alu instid0(SALU_CYCLE_1)
	s_and_saveexec_b32 s15, s16
	s_cbranch_execz .LBB1245_141
; %bb.140:                              ;   in Loop: Header=BB1245_101 Depth=2
	s_wait_dscnt 0x0
	v_bcnt_u32_b32 v90, v90, v172
	ds_store_b32 v174, v90 offset:1056
.LBB1245_141:                           ;   in Loop: Header=BB1245_101 Depth=2
	s_or_b32 exec_lo, exec_lo, s15
	v_cmp_lt_i64_e32 vcc_lo, -1, v[62:63]
	; wave barrier
	v_cndmask_b32_e64 v90, -1, 0x80000000, vcc_lo
	s_delay_alu instid0(VALU_DEP_1) | instskip(NEXT) | instid1(VALU_DEP_1)
	v_dual_ashrrev_i32 v91, 31, v63 :: v_dual_bitop2_b32 v63, v90, v63 bitop3:0x14
	v_xor_b32_e32 v62, v91, v62
	s_delay_alu instid0(VALU_DEP_1) | instskip(SKIP_2) | instid1(VALU_DEP_1)
	v_cmp_ne_u64_e32 vcc_lo, s[42:43], v[62:63]
	v_cndmask_b32_e32 v91, 0x80000000, v63, vcc_lo
	v_cndmask_b32_e32 v90, 0, v62, vcc_lo
	v_lshrrev_b64 v[90:91], s54, v[90:91]
	s_delay_alu instid0(VALU_DEP_1) | instskip(SKIP_1) | instid1(VALU_DEP_2)
	v_bitop3_b32 v91, v90, 1, s59 bitop3:0x80
	v_and_b32_e32 v92, s59, v90
	v_add_co_u32 v90, s15, v91, -1
	s_delay_alu instid0(VALU_DEP_1) | instskip(NEXT) | instid1(VALU_DEP_3)
	v_cndmask_b32_e64 v91, 0, 1, s15
	v_lshlrev_b32_e32 v93, 30, v92
	s_delay_alu instid0(VALU_DEP_2) | instskip(NEXT) | instid1(VALU_DEP_2)
	v_cmp_ne_u32_e32 vcc_lo, 0, v91
	v_not_b32_e32 v91, v93
	v_cmp_gt_i32_e64 s15, 0, v93
	s_delay_alu instid0(VALU_DEP_2) | instskip(SKIP_3) | instid1(VALU_DEP_4)
	v_dual_ashrrev_i32 v91, 31, v91 :: v_dual_lshlrev_b32 v94, 29, v92
	v_dual_lshlrev_b32 v95, 28, v92 :: v_dual_lshlrev_b32 v96, 27, v92
	v_dual_lshlrev_b32 v97, 26, v92 :: v_dual_lshlrev_b32 v175, 25, v92
	v_lshlrev_b32_e32 v176, 24, v92
	v_cmp_gt_i32_e64 s16, 0, v94
	v_not_b32_e32 v93, v94
	v_not_b32_e32 v94, v95
	v_cmp_gt_i32_e64 s17, 0, v95
	v_cmp_gt_i32_e64 s18, 0, v96
	v_not_b32_e32 v95, v96
	v_not_b32_e32 v96, v97
	v_dual_ashrrev_i32 v93, 31, v93 :: v_dual_bitop2_b32 v90, vcc_lo, v90 bitop3:0x14
	v_dual_ashrrev_i32 v94, 31, v94 :: v_dual_bitop2_b32 v91, s15, v91 bitop3:0x14
	v_cmp_gt_i32_e64 s19, 0, v97
	v_cmp_gt_i32_e64 s20, 0, v175
	v_not_b32_e32 v97, v175
	v_not_b32_e32 v175, v176
	v_dual_ashrrev_i32 v95, 31, v95 :: v_dual_ashrrev_i32 v96, 31, v96
	v_xor_b32_e32 v93, s16, v93
	v_xor_b32_e32 v94, s17, v94
	v_bitop3_b32 v90, v90, v91, exec_lo bitop3:0x80
	v_cmp_gt_i32_e64 s21, 0, v176
	v_dual_ashrrev_i32 v91, 31, v97 :: v_dual_ashrrev_i32 v97, 31, v175
	v_xor_b32_e32 v95, s18, v95
	v_xor_b32_e32 v96, s19, v96
	v_bitop3_b32 v90, v90, v94, v93 bitop3:0x80
	v_mad_u32_u24 v93, v92, 36, v148
	v_xor_b32_e32 v91, s20, v91
	v_xor_b32_e32 v94, s21, v97
	s_delay_alu instid0(VALU_DEP_4) | instskip(SKIP_3) | instid1(VALU_DEP_2)
	v_bitop3_b32 v90, v90, v96, v95 bitop3:0x80
	ds_load_b32 v175, v93 offset:1056
	; wave barrier
	v_bitop3_b32 v90, v90, v94, v91 bitop3:0x80
	v_mul_u32_u24_e32 v91, 36, v92
	v_mbcnt_lo_u32_b32 v176, v90, 0
	v_cmp_ne_u32_e64 s15, 0, v90
	s_delay_alu instid0(VALU_DEP_3) | instskip(NEXT) | instid1(VALU_DEP_3)
	v_add_nc_u32_e32 v177, v148, v91
	v_cmp_eq_u32_e32 vcc_lo, 0, v176
	s_and_b32 s16, s15, vcc_lo
	s_delay_alu instid0(SALU_CYCLE_1)
	s_and_saveexec_b32 s15, s16
	s_cbranch_execz .LBB1245_143
; %bb.142:                              ;   in Loop: Header=BB1245_101 Depth=2
	s_wait_dscnt 0x0
	v_bcnt_u32_b32 v90, v90, v175
	ds_store_b32 v177, v90 offset:1056
.LBB1245_143:                           ;   in Loop: Header=BB1245_101 Depth=2
	s_or_b32 exec_lo, exec_lo, s15
	v_cmp_lt_i64_e32 vcc_lo, -1, v[70:71]
	; wave barrier
	v_cndmask_b32_e64 v90, -1, 0x80000000, vcc_lo
	s_delay_alu instid0(VALU_DEP_1) | instskip(NEXT) | instid1(VALU_DEP_1)
	v_dual_ashrrev_i32 v91, 31, v71 :: v_dual_bitop2_b32 v71, v90, v71 bitop3:0x14
	v_xor_b32_e32 v70, v91, v70
	s_delay_alu instid0(VALU_DEP_1) | instskip(SKIP_2) | instid1(VALU_DEP_1)
	v_cmp_ne_u64_e32 vcc_lo, s[42:43], v[70:71]
	v_cndmask_b32_e32 v91, 0x80000000, v71, vcc_lo
	v_cndmask_b32_e32 v90, 0, v70, vcc_lo
	v_lshrrev_b64 v[90:91], s54, v[90:91]
	s_delay_alu instid0(VALU_DEP_1) | instskip(SKIP_1) | instid1(VALU_DEP_2)
	v_bitop3_b32 v91, v90, 1, s59 bitop3:0x80
	v_and_b32_e32 v92, s59, v90
	v_add_co_u32 v90, s15, v91, -1
	s_delay_alu instid0(VALU_DEP_1) | instskip(NEXT) | instid1(VALU_DEP_3)
	v_cndmask_b32_e64 v91, 0, 1, s15
	v_lshlrev_b32_e32 v93, 30, v92
	s_delay_alu instid0(VALU_DEP_2) | instskip(NEXT) | instid1(VALU_DEP_2)
	v_cmp_ne_u32_e32 vcc_lo, 0, v91
	v_not_b32_e32 v91, v93
	v_cmp_gt_i32_e64 s15, 0, v93
	s_delay_alu instid0(VALU_DEP_2) | instskip(SKIP_3) | instid1(VALU_DEP_4)
	v_dual_ashrrev_i32 v91, 31, v91 :: v_dual_lshlrev_b32 v94, 29, v92
	v_dual_lshlrev_b32 v95, 28, v92 :: v_dual_lshlrev_b32 v96, 27, v92
	v_dual_lshlrev_b32 v97, 26, v92 :: v_dual_lshlrev_b32 v178, 25, v92
	v_lshlrev_b32_e32 v179, 24, v92
	v_cmp_gt_i32_e64 s16, 0, v94
	v_not_b32_e32 v93, v94
	v_not_b32_e32 v94, v95
	v_cmp_gt_i32_e64 s17, 0, v95
	v_cmp_gt_i32_e64 s18, 0, v96
	v_not_b32_e32 v95, v96
	v_not_b32_e32 v96, v97
	v_dual_ashrrev_i32 v93, 31, v93 :: v_dual_bitop2_b32 v90, vcc_lo, v90 bitop3:0x14
	v_dual_ashrrev_i32 v94, 31, v94 :: v_dual_bitop2_b32 v91, s15, v91 bitop3:0x14
	v_cmp_gt_i32_e64 s19, 0, v97
	v_cmp_gt_i32_e64 s20, 0, v178
	v_not_b32_e32 v97, v178
	v_not_b32_e32 v178, v179
	v_dual_ashrrev_i32 v95, 31, v95 :: v_dual_ashrrev_i32 v96, 31, v96
	v_xor_b32_e32 v93, s16, v93
	v_xor_b32_e32 v94, s17, v94
	v_bitop3_b32 v90, v90, v91, exec_lo bitop3:0x80
	v_cmp_gt_i32_e64 s21, 0, v179
	v_dual_ashrrev_i32 v91, 31, v97 :: v_dual_ashrrev_i32 v97, 31, v178
	v_xor_b32_e32 v95, s18, v95
	v_xor_b32_e32 v96, s19, v96
	v_bitop3_b32 v90, v90, v94, v93 bitop3:0x80
	v_mad_u32_u24 v93, v92, 36, v148
	v_xor_b32_e32 v91, s20, v91
	v_xor_b32_e32 v94, s21, v97
	s_delay_alu instid0(VALU_DEP_4) | instskip(SKIP_3) | instid1(VALU_DEP_2)
	v_bitop3_b32 v90, v90, v96, v95 bitop3:0x80
	ds_load_b32 v178, v93 offset:1056
	; wave barrier
	v_bitop3_b32 v90, v90, v94, v91 bitop3:0x80
	v_mul_u32_u24_e32 v91, 36, v92
	v_mbcnt_lo_u32_b32 v179, v90, 0
	v_cmp_ne_u32_e64 s15, 0, v90
	s_delay_alu instid0(VALU_DEP_3) | instskip(NEXT) | instid1(VALU_DEP_3)
	v_add_nc_u32_e32 v180, v148, v91
	v_cmp_eq_u32_e32 vcc_lo, 0, v179
	s_and_b32 s16, s15, vcc_lo
	s_delay_alu instid0(SALU_CYCLE_1)
	s_and_saveexec_b32 s15, s16
	s_cbranch_execz .LBB1245_145
; %bb.144:                              ;   in Loop: Header=BB1245_101 Depth=2
	s_wait_dscnt 0x0
	v_bcnt_u32_b32 v90, v90, v178
	ds_store_b32 v180, v90 offset:1056
.LBB1245_145:                           ;   in Loop: Header=BB1245_101 Depth=2
	s_or_b32 exec_lo, exec_lo, s15
	v_cmp_lt_i64_e32 vcc_lo, -1, v[74:75]
	; wave barrier
	v_cndmask_b32_e64 v90, -1, 0x80000000, vcc_lo
	s_delay_alu instid0(VALU_DEP_1) | instskip(NEXT) | instid1(VALU_DEP_1)
	v_dual_ashrrev_i32 v91, 31, v75 :: v_dual_bitop2_b32 v75, v90, v75 bitop3:0x14
	v_xor_b32_e32 v74, v91, v74
	s_delay_alu instid0(VALU_DEP_1) | instskip(SKIP_2) | instid1(VALU_DEP_1)
	v_cmp_ne_u64_e32 vcc_lo, s[42:43], v[74:75]
	v_cndmask_b32_e32 v91, 0x80000000, v75, vcc_lo
	v_cndmask_b32_e32 v90, 0, v74, vcc_lo
	v_lshrrev_b64 v[90:91], s54, v[90:91]
	s_delay_alu instid0(VALU_DEP_1) | instskip(SKIP_1) | instid1(VALU_DEP_2)
	v_bitop3_b32 v91, v90, 1, s59 bitop3:0x80
	v_and_b32_e32 v92, s59, v90
	v_add_co_u32 v90, s15, v91, -1
	s_delay_alu instid0(VALU_DEP_1) | instskip(NEXT) | instid1(VALU_DEP_3)
	v_cndmask_b32_e64 v91, 0, 1, s15
	v_lshlrev_b32_e32 v93, 30, v92
	s_delay_alu instid0(VALU_DEP_2) | instskip(NEXT) | instid1(VALU_DEP_2)
	v_cmp_ne_u32_e32 vcc_lo, 0, v91
	v_not_b32_e32 v91, v93
	v_cmp_gt_i32_e64 s15, 0, v93
	s_delay_alu instid0(VALU_DEP_2) | instskip(SKIP_3) | instid1(VALU_DEP_4)
	v_dual_ashrrev_i32 v91, 31, v91 :: v_dual_lshlrev_b32 v94, 29, v92
	v_dual_lshlrev_b32 v95, 28, v92 :: v_dual_lshlrev_b32 v96, 27, v92
	v_dual_lshlrev_b32 v97, 26, v92 :: v_dual_lshlrev_b32 v181, 25, v92
	v_lshlrev_b32_e32 v182, 24, v92
	v_cmp_gt_i32_e64 s16, 0, v94
	v_not_b32_e32 v93, v94
	v_not_b32_e32 v94, v95
	v_cmp_gt_i32_e64 s17, 0, v95
	v_cmp_gt_i32_e64 s18, 0, v96
	v_not_b32_e32 v95, v96
	v_not_b32_e32 v96, v97
	v_dual_ashrrev_i32 v93, 31, v93 :: v_dual_bitop2_b32 v90, vcc_lo, v90 bitop3:0x14
	v_dual_ashrrev_i32 v94, 31, v94 :: v_dual_bitop2_b32 v91, s15, v91 bitop3:0x14
	v_cmp_gt_i32_e64 s19, 0, v97
	v_cmp_gt_i32_e64 s20, 0, v181
	v_not_b32_e32 v97, v181
	v_not_b32_e32 v181, v182
	v_dual_ashrrev_i32 v95, 31, v95 :: v_dual_ashrrev_i32 v96, 31, v96
	v_xor_b32_e32 v93, s16, v93
	v_xor_b32_e32 v94, s17, v94
	v_bitop3_b32 v90, v90, v91, exec_lo bitop3:0x80
	v_cmp_gt_i32_e64 s21, 0, v182
	v_ashrrev_i32_e32 v91, 31, v97
	v_dual_ashrrev_i32 v97, 31, v181 :: v_dual_bitop2_b32 v95, s18, v95 bitop3:0x14
	v_xor_b32_e32 v96, s19, v96
	v_bitop3_b32 v90, v90, v94, v93 bitop3:0x80
	v_mad_u32_u24 v93, v92, 36, v148
	v_xor_b32_e32 v91, s20, v91
	v_xor_b32_e32 v94, s21, v97
	s_delay_alu instid0(VALU_DEP_4) | instskip(SKIP_3) | instid1(VALU_DEP_2)
	v_bitop3_b32 v90, v90, v96, v95 bitop3:0x80
	ds_load_b32 v181, v93 offset:1056
	; wave barrier
	v_bitop3_b32 v90, v90, v94, v91 bitop3:0x80
	v_mul_u32_u24_e32 v91, 36, v92
	v_mbcnt_lo_u32_b32 v182, v90, 0
	v_cmp_ne_u32_e64 s15, 0, v90
	s_delay_alu instid0(VALU_DEP_3) | instskip(NEXT) | instid1(VALU_DEP_3)
	v_add_nc_u32_e32 v183, v148, v91
	v_cmp_eq_u32_e32 vcc_lo, 0, v182
	s_and_b32 s16, s15, vcc_lo
	s_delay_alu instid0(SALU_CYCLE_1)
	s_and_saveexec_b32 s15, s16
	s_cbranch_execz .LBB1245_147
; %bb.146:                              ;   in Loop: Header=BB1245_101 Depth=2
	s_wait_dscnt 0x0
	v_bcnt_u32_b32 v90, v90, v181
	ds_store_b32 v183, v90 offset:1056
.LBB1245_147:                           ;   in Loop: Header=BB1245_101 Depth=2
	s_or_b32 exec_lo, exec_lo, s15
	v_cmp_lt_i64_e32 vcc_lo, -1, v[78:79]
	; wave barrier
	v_cndmask_b32_e64 v90, -1, 0x80000000, vcc_lo
	s_delay_alu instid0(VALU_DEP_1) | instskip(NEXT) | instid1(VALU_DEP_1)
	v_dual_ashrrev_i32 v91, 31, v79 :: v_dual_bitop2_b32 v79, v90, v79 bitop3:0x14
	v_xor_b32_e32 v78, v91, v78
	s_delay_alu instid0(VALU_DEP_1) | instskip(SKIP_2) | instid1(VALU_DEP_1)
	v_cmp_ne_u64_e32 vcc_lo, s[42:43], v[78:79]
	v_cndmask_b32_e32 v91, 0x80000000, v79, vcc_lo
	v_cndmask_b32_e32 v90, 0, v78, vcc_lo
	v_lshrrev_b64 v[90:91], s54, v[90:91]
	s_delay_alu instid0(VALU_DEP_1) | instskip(SKIP_1) | instid1(VALU_DEP_2)
	v_bitop3_b32 v91, v90, 1, s59 bitop3:0x80
	v_and_b32_e32 v92, s59, v90
	v_add_co_u32 v90, s15, v91, -1
	s_delay_alu instid0(VALU_DEP_1) | instskip(NEXT) | instid1(VALU_DEP_3)
	v_cndmask_b32_e64 v91, 0, 1, s15
	v_lshlrev_b32_e32 v93, 30, v92
	s_delay_alu instid0(VALU_DEP_2) | instskip(NEXT) | instid1(VALU_DEP_2)
	v_cmp_ne_u32_e32 vcc_lo, 0, v91
	v_not_b32_e32 v91, v93
	v_cmp_gt_i32_e64 s15, 0, v93
	s_delay_alu instid0(VALU_DEP_2) | instskip(SKIP_3) | instid1(VALU_DEP_4)
	v_dual_ashrrev_i32 v91, 31, v91 :: v_dual_lshlrev_b32 v94, 29, v92
	v_dual_lshlrev_b32 v95, 28, v92 :: v_dual_lshlrev_b32 v96, 27, v92
	v_dual_lshlrev_b32 v97, 26, v92 :: v_dual_lshlrev_b32 v184, 25, v92
	v_lshlrev_b32_e32 v185, 24, v92
	v_cmp_gt_i32_e64 s16, 0, v94
	v_not_b32_e32 v93, v94
	v_not_b32_e32 v94, v95
	v_cmp_gt_i32_e64 s17, 0, v95
	v_cmp_gt_i32_e64 s18, 0, v96
	v_not_b32_e32 v95, v96
	v_not_b32_e32 v96, v97
	v_dual_ashrrev_i32 v93, 31, v93 :: v_dual_bitop2_b32 v90, vcc_lo, v90 bitop3:0x14
	v_dual_ashrrev_i32 v94, 31, v94 :: v_dual_bitop2_b32 v91, s15, v91 bitop3:0x14
	v_cmp_gt_i32_e64 s19, 0, v97
	v_cmp_gt_i32_e64 s20, 0, v184
	v_not_b32_e32 v97, v184
	v_not_b32_e32 v184, v185
	v_dual_ashrrev_i32 v95, 31, v95 :: v_dual_ashrrev_i32 v96, 31, v96
	v_xor_b32_e32 v93, s16, v93
	v_xor_b32_e32 v94, s17, v94
	v_bitop3_b32 v90, v90, v91, exec_lo bitop3:0x80
	v_cmp_gt_i32_e64 s21, 0, v185
	v_dual_ashrrev_i32 v91, 31, v97 :: v_dual_ashrrev_i32 v97, 31, v184
	v_xor_b32_e32 v95, s18, v95
	v_xor_b32_e32 v96, s19, v96
	v_bitop3_b32 v90, v90, v94, v93 bitop3:0x80
	v_mad_u32_u24 v93, v92, 36, v148
	v_xor_b32_e32 v91, s20, v91
	v_xor_b32_e32 v94, s21, v97
	s_delay_alu instid0(VALU_DEP_4) | instskip(SKIP_3) | instid1(VALU_DEP_2)
	v_bitop3_b32 v90, v90, v96, v95 bitop3:0x80
	ds_load_b32 v184, v93 offset:1056
	; wave barrier
	v_bitop3_b32 v90, v90, v94, v91 bitop3:0x80
	v_mul_u32_u24_e32 v91, 36, v92
	v_mbcnt_lo_u32_b32 v185, v90, 0
	v_cmp_ne_u32_e64 s15, 0, v90
	s_delay_alu instid0(VALU_DEP_3) | instskip(NEXT) | instid1(VALU_DEP_3)
	v_add_nc_u32_e32 v186, v148, v91
	v_cmp_eq_u32_e32 vcc_lo, 0, v185
	s_and_b32 s16, s15, vcc_lo
	s_delay_alu instid0(SALU_CYCLE_1)
	s_and_saveexec_b32 s15, s16
	s_cbranch_execz .LBB1245_149
; %bb.148:                              ;   in Loop: Header=BB1245_101 Depth=2
	s_wait_dscnt 0x0
	v_bcnt_u32_b32 v90, v90, v184
	ds_store_b32 v186, v90 offset:1056
.LBB1245_149:                           ;   in Loop: Header=BB1245_101 Depth=2
	s_or_b32 exec_lo, exec_lo, s15
	v_cmp_lt_i64_e32 vcc_lo, -1, v[82:83]
	; wave barrier
	v_cndmask_b32_e64 v90, -1, 0x80000000, vcc_lo
	s_delay_alu instid0(VALU_DEP_1) | instskip(NEXT) | instid1(VALU_DEP_1)
	v_dual_ashrrev_i32 v91, 31, v83 :: v_dual_bitop2_b32 v83, v90, v83 bitop3:0x14
	v_xor_b32_e32 v82, v91, v82
	s_delay_alu instid0(VALU_DEP_1) | instskip(SKIP_2) | instid1(VALU_DEP_1)
	v_cmp_ne_u64_e32 vcc_lo, s[42:43], v[82:83]
	v_cndmask_b32_e32 v91, 0x80000000, v83, vcc_lo
	v_cndmask_b32_e32 v90, 0, v82, vcc_lo
	v_lshrrev_b64 v[90:91], s54, v[90:91]
	s_delay_alu instid0(VALU_DEP_1) | instskip(SKIP_1) | instid1(VALU_DEP_2)
	v_bitop3_b32 v91, v90, 1, s59 bitop3:0x80
	v_and_b32_e32 v92, s59, v90
	v_add_co_u32 v90, s15, v91, -1
	s_delay_alu instid0(VALU_DEP_1) | instskip(NEXT) | instid1(VALU_DEP_3)
	v_cndmask_b32_e64 v91, 0, 1, s15
	v_lshlrev_b32_e32 v93, 30, v92
	s_delay_alu instid0(VALU_DEP_2) | instskip(NEXT) | instid1(VALU_DEP_2)
	v_cmp_ne_u32_e32 vcc_lo, 0, v91
	v_not_b32_e32 v91, v93
	v_cmp_gt_i32_e64 s15, 0, v93
	s_delay_alu instid0(VALU_DEP_2) | instskip(SKIP_3) | instid1(VALU_DEP_4)
	v_dual_ashrrev_i32 v91, 31, v91 :: v_dual_lshlrev_b32 v94, 29, v92
	v_dual_lshlrev_b32 v95, 28, v92 :: v_dual_lshlrev_b32 v96, 27, v92
	v_dual_lshlrev_b32 v97, 26, v92 :: v_dual_lshlrev_b32 v187, 25, v92
	v_lshlrev_b32_e32 v188, 24, v92
	v_cmp_gt_i32_e64 s16, 0, v94
	v_not_b32_e32 v93, v94
	v_not_b32_e32 v94, v95
	v_cmp_gt_i32_e64 s17, 0, v95
	v_cmp_gt_i32_e64 s18, 0, v96
	v_not_b32_e32 v95, v96
	v_not_b32_e32 v96, v97
	v_dual_ashrrev_i32 v93, 31, v93 :: v_dual_bitop2_b32 v90, vcc_lo, v90 bitop3:0x14
	v_dual_ashrrev_i32 v94, 31, v94 :: v_dual_bitop2_b32 v91, s15, v91 bitop3:0x14
	v_cmp_gt_i32_e64 s19, 0, v97
	v_cmp_gt_i32_e64 s20, 0, v187
	v_not_b32_e32 v97, v187
	v_not_b32_e32 v187, v188
	v_dual_ashrrev_i32 v95, 31, v95 :: v_dual_ashrrev_i32 v96, 31, v96
	v_xor_b32_e32 v93, s16, v93
	v_xor_b32_e32 v94, s17, v94
	v_bitop3_b32 v90, v90, v91, exec_lo bitop3:0x80
	v_cmp_gt_i32_e64 s21, 0, v188
	v_dual_ashrrev_i32 v91, 31, v97 :: v_dual_ashrrev_i32 v97, 31, v187
	v_xor_b32_e32 v95, s18, v95
	v_xor_b32_e32 v96, s19, v96
	v_bitop3_b32 v90, v90, v94, v93 bitop3:0x80
	v_mad_u32_u24 v93, v92, 36, v148
	v_xor_b32_e32 v91, s20, v91
	v_xor_b32_e32 v94, s21, v97
	s_delay_alu instid0(VALU_DEP_4) | instskip(SKIP_3) | instid1(VALU_DEP_2)
	v_bitop3_b32 v90, v90, v96, v95 bitop3:0x80
	ds_load_b32 v187, v93 offset:1056
	; wave barrier
	v_bitop3_b32 v90, v90, v94, v91 bitop3:0x80
	v_mul_u32_u24_e32 v91, 36, v92
	v_mbcnt_lo_u32_b32 v188, v90, 0
	v_cmp_ne_u32_e64 s15, 0, v90
	s_delay_alu instid0(VALU_DEP_3) | instskip(NEXT) | instid1(VALU_DEP_3)
	v_add_nc_u32_e32 v189, v148, v91
	v_cmp_eq_u32_e32 vcc_lo, 0, v188
	s_and_b32 s16, s15, vcc_lo
	s_delay_alu instid0(SALU_CYCLE_1)
	s_and_saveexec_b32 s15, s16
	s_cbranch_execz .LBB1245_151
; %bb.150:                              ;   in Loop: Header=BB1245_101 Depth=2
	s_wait_dscnt 0x0
	v_bcnt_u32_b32 v90, v90, v187
	ds_store_b32 v189, v90 offset:1056
.LBB1245_151:                           ;   in Loop: Header=BB1245_101 Depth=2
	s_or_b32 exec_lo, exec_lo, s15
	v_cmp_lt_i64_e32 vcc_lo, -1, v[86:87]
	; wave barrier
	v_cndmask_b32_e64 v90, -1, 0x80000000, vcc_lo
	s_delay_alu instid0(VALU_DEP_1) | instskip(NEXT) | instid1(VALU_DEP_1)
	v_dual_ashrrev_i32 v91, 31, v87 :: v_dual_bitop2_b32 v87, v90, v87 bitop3:0x14
	v_xor_b32_e32 v86, v91, v86
	s_delay_alu instid0(VALU_DEP_1) | instskip(SKIP_2) | instid1(VALU_DEP_1)
	v_cmp_ne_u64_e32 vcc_lo, s[42:43], v[86:87]
	v_cndmask_b32_e32 v91, 0x80000000, v87, vcc_lo
	v_cndmask_b32_e32 v90, 0, v86, vcc_lo
	v_lshrrev_b64 v[90:91], s54, v[90:91]
	s_delay_alu instid0(VALU_DEP_1) | instskip(SKIP_1) | instid1(VALU_DEP_2)
	v_bitop3_b32 v91, v90, 1, s59 bitop3:0x80
	v_and_b32_e32 v92, s59, v90
	v_add_co_u32 v90, s15, v91, -1
	s_delay_alu instid0(VALU_DEP_1) | instskip(NEXT) | instid1(VALU_DEP_3)
	v_cndmask_b32_e64 v91, 0, 1, s15
	v_lshlrev_b32_e32 v93, 30, v92
	s_delay_alu instid0(VALU_DEP_2) | instskip(NEXT) | instid1(VALU_DEP_2)
	v_cmp_ne_u32_e32 vcc_lo, 0, v91
	v_not_b32_e32 v91, v93
	v_cmp_gt_i32_e64 s15, 0, v93
	s_delay_alu instid0(VALU_DEP_2) | instskip(SKIP_3) | instid1(VALU_DEP_4)
	v_dual_ashrrev_i32 v91, 31, v91 :: v_dual_lshlrev_b32 v94, 29, v92
	v_dual_lshlrev_b32 v95, 28, v92 :: v_dual_lshlrev_b32 v96, 27, v92
	v_dual_lshlrev_b32 v97, 26, v92 :: v_dual_lshlrev_b32 v190, 25, v92
	v_lshlrev_b32_e32 v191, 24, v92
	v_cmp_gt_i32_e64 s16, 0, v94
	v_not_b32_e32 v93, v94
	v_not_b32_e32 v94, v95
	v_cmp_gt_i32_e64 s17, 0, v95
	v_cmp_gt_i32_e64 s18, 0, v96
	v_not_b32_e32 v95, v96
	v_not_b32_e32 v96, v97
	v_dual_ashrrev_i32 v93, 31, v93 :: v_dual_bitop2_b32 v90, vcc_lo, v90 bitop3:0x14
	v_dual_ashrrev_i32 v94, 31, v94 :: v_dual_bitop2_b32 v91, s15, v91 bitop3:0x14
	v_cmp_gt_i32_e64 s19, 0, v97
	v_cmp_gt_i32_e64 s20, 0, v190
	v_not_b32_e32 v97, v190
	v_not_b32_e32 v190, v191
	v_dual_ashrrev_i32 v95, 31, v95 :: v_dual_ashrrev_i32 v96, 31, v96
	v_xor_b32_e32 v93, s16, v93
	v_xor_b32_e32 v94, s17, v94
	v_bitop3_b32 v90, v90, v91, exec_lo bitop3:0x80
	v_cmp_gt_i32_e64 s21, 0, v191
	v_dual_ashrrev_i32 v91, 31, v97 :: v_dual_ashrrev_i32 v97, 31, v190
	v_xor_b32_e32 v95, s18, v95
	v_xor_b32_e32 v96, s19, v96
	v_bitop3_b32 v90, v90, v94, v93 bitop3:0x80
	v_mad_u32_u24 v93, v92, 36, v148
	v_xor_b32_e32 v91, s20, v91
	v_xor_b32_e32 v94, s21, v97
	s_delay_alu instid0(VALU_DEP_4) | instskip(SKIP_3) | instid1(VALU_DEP_2)
	v_bitop3_b32 v90, v90, v96, v95 bitop3:0x80
	ds_load_b32 v190, v93 offset:1056
	; wave barrier
	v_bitop3_b32 v90, v90, v94, v91 bitop3:0x80
	v_mul_u32_u24_e32 v91, 36, v92
	v_mbcnt_lo_u32_b32 v191, v90, 0
	v_cmp_ne_u32_e64 s15, 0, v90
	s_delay_alu instid0(VALU_DEP_3) | instskip(NEXT) | instid1(VALU_DEP_3)
	v_add_nc_u32_e32 v192, v148, v91
	v_cmp_eq_u32_e32 vcc_lo, 0, v191
	s_and_b32 s16, s15, vcc_lo
	s_delay_alu instid0(SALU_CYCLE_1)
	s_and_saveexec_b32 s15, s16
	s_cbranch_execz .LBB1245_153
; %bb.152:                              ;   in Loop: Header=BB1245_101 Depth=2
	s_wait_dscnt 0x0
	v_bcnt_u32_b32 v90, v90, v190
	ds_store_b32 v192, v90 offset:1056
.LBB1245_153:                           ;   in Loop: Header=BB1245_101 Depth=2
	s_or_b32 exec_lo, exec_lo, s15
	v_cmp_lt_i64_e32 vcc_lo, -1, v[88:89]
	; wave barrier
	v_cndmask_b32_e64 v90, -1, 0x80000000, vcc_lo
	s_delay_alu instid0(VALU_DEP_1) | instskip(NEXT) | instid1(VALU_DEP_1)
	v_dual_ashrrev_i32 v91, 31, v89 :: v_dual_bitop2_b32 v89, v90, v89 bitop3:0x14
	v_xor_b32_e32 v88, v91, v88
	s_delay_alu instid0(VALU_DEP_1) | instskip(SKIP_2) | instid1(VALU_DEP_1)
	v_cmp_ne_u64_e32 vcc_lo, s[42:43], v[88:89]
	v_cndmask_b32_e32 v91, 0x80000000, v89, vcc_lo
	v_cndmask_b32_e32 v90, 0, v88, vcc_lo
	v_lshrrev_b64 v[90:91], s54, v[90:91]
	s_delay_alu instid0(VALU_DEP_1) | instskip(SKIP_1) | instid1(VALU_DEP_2)
	v_bitop3_b32 v91, v90, 1, s59 bitop3:0x80
	v_and_b32_e32 v92, s59, v90
	v_add_co_u32 v90, s15, v91, -1
	s_delay_alu instid0(VALU_DEP_1) | instskip(NEXT) | instid1(VALU_DEP_3)
	v_cndmask_b32_e64 v91, 0, 1, s15
	v_dual_lshlrev_b32 v93, 30, v92 :: v_dual_lshlrev_b32 v95, 28, v92
	v_dual_lshlrev_b32 v94, 29, v92 :: v_dual_lshlrev_b32 v96, 27, v92
	s_delay_alu instid0(VALU_DEP_3) | instskip(NEXT) | instid1(VALU_DEP_3)
	v_cmp_ne_u32_e32 vcc_lo, 0, v91
	v_cmp_gt_i32_e64 s15, 0, v93
	v_not_b32_e32 v91, v93
	s_delay_alu instid0(VALU_DEP_4) | instskip(SKIP_4) | instid1(VALU_DEP_4)
	v_cmp_gt_i32_e64 s16, 0, v94
	v_not_b32_e32 v93, v94
	v_cmp_gt_i32_e64 s17, 0, v95
	v_not_b32_e32 v94, v95
	v_not_b32_e32 v95, v96
	v_dual_ashrrev_i32 v91, 31, v91 :: v_dual_ashrrev_i32 v93, 31, v93
	s_delay_alu instid0(VALU_DEP_2) | instskip(SKIP_4) | instid1(VALU_DEP_4)
	v_dual_ashrrev_i32 v94, 31, v94 :: v_dual_ashrrev_i32 v95, 31, v95
	v_dual_lshlrev_b32 v97, 26, v92 :: v_dual_lshlrev_b32 v193, 25, v92
	v_lshlrev_b32_e32 v194, 24, v92
	v_cmp_gt_i32_e64 s18, 0, v96
	v_xor_b32_e32 v91, s15, v91
	v_not_b32_e32 v96, v97
	v_xor_b32_e32 v90, vcc_lo, v90
	v_cmp_gt_i32_e64 s19, 0, v97
	v_cmp_gt_i32_e64 s20, 0, v193
	v_not_b32_e32 v97, v193
	v_not_b32_e32 v193, v194
	v_dual_ashrrev_i32 v96, 31, v96 :: v_dual_bitop2_b32 v93, s16, v93 bitop3:0x14
	v_xor_b32_e32 v94, s17, v94
	v_bitop3_b32 v90, v90, v91, exec_lo bitop3:0x80
	v_cmp_gt_i32_e64 s21, 0, v194
	v_ashrrev_i32_e32 v91, 31, v97
	v_dual_ashrrev_i32 v97, 31, v193 :: v_dual_bitop2_b32 v95, s18, v95 bitop3:0x14
	v_xor_b32_e32 v96, s19, v96
	v_bitop3_b32 v90, v90, v94, v93 bitop3:0x80
	v_mad_u32_u24 v93, v92, 36, v148
	v_xor_b32_e32 v91, s20, v91
	v_xor_b32_e32 v94, s21, v97
	s_delay_alu instid0(VALU_DEP_4) | instskip(SKIP_3) | instid1(VALU_DEP_2)
	v_bitop3_b32 v90, v90, v96, v95 bitop3:0x80
	ds_load_b32 v193, v93 offset:1056
	; wave barrier
	v_bitop3_b32 v90, v90, v94, v91 bitop3:0x80
	v_mul_u32_u24_e32 v91, 36, v92
	v_mbcnt_lo_u32_b32 v194, v90, 0
	v_cmp_ne_u32_e64 s15, 0, v90
	s_delay_alu instid0(VALU_DEP_3) | instskip(NEXT) | instid1(VALU_DEP_3)
	v_add_nc_u32_e32 v195, v148, v91
	v_cmp_eq_u32_e32 vcc_lo, 0, v194
	s_and_b32 s16, s15, vcc_lo
	s_delay_alu instid0(SALU_CYCLE_1)
	s_and_saveexec_b32 s15, s16
	s_cbranch_execz .LBB1245_155
; %bb.154:                              ;   in Loop: Header=BB1245_101 Depth=2
	s_wait_dscnt 0x0
	v_bcnt_u32_b32 v90, v90, v193
	ds_store_b32 v195, v90 offset:1056
.LBB1245_155:                           ;   in Loop: Header=BB1245_101 Depth=2
	s_or_b32 exec_lo, exec_lo, s15
	v_cmp_lt_i64_e32 vcc_lo, -1, v[84:85]
	; wave barrier
	v_cndmask_b32_e64 v90, -1, 0x80000000, vcc_lo
	s_delay_alu instid0(VALU_DEP_1) | instskip(NEXT) | instid1(VALU_DEP_1)
	v_dual_ashrrev_i32 v91, 31, v85 :: v_dual_bitop2_b32 v85, v90, v85 bitop3:0x14
	v_xor_b32_e32 v84, v91, v84
	s_delay_alu instid0(VALU_DEP_1) | instskip(SKIP_2) | instid1(VALU_DEP_1)
	v_cmp_ne_u64_e32 vcc_lo, s[42:43], v[84:85]
	v_cndmask_b32_e32 v91, 0x80000000, v85, vcc_lo
	v_cndmask_b32_e32 v90, 0, v84, vcc_lo
	v_lshrrev_b64 v[90:91], s54, v[90:91]
	s_delay_alu instid0(VALU_DEP_1) | instskip(SKIP_1) | instid1(VALU_DEP_2)
	v_bitop3_b32 v91, v90, 1, s59 bitop3:0x80
	v_and_b32_e32 v92, s59, v90
	v_add_co_u32 v90, s15, v91, -1
	s_delay_alu instid0(VALU_DEP_1) | instskip(NEXT) | instid1(VALU_DEP_3)
	v_cndmask_b32_e64 v91, 0, 1, s15
	v_dual_lshlrev_b32 v93, 30, v92 :: v_dual_lshlrev_b32 v95, 28, v92
	v_dual_lshlrev_b32 v94, 29, v92 :: v_dual_lshlrev_b32 v96, 27, v92
	s_delay_alu instid0(VALU_DEP_3) | instskip(NEXT) | instid1(VALU_DEP_3)
	v_cmp_ne_u32_e32 vcc_lo, 0, v91
	v_cmp_gt_i32_e64 s15, 0, v93
	v_not_b32_e32 v91, v93
	s_delay_alu instid0(VALU_DEP_4) | instskip(SKIP_4) | instid1(VALU_DEP_4)
	v_cmp_gt_i32_e64 s16, 0, v94
	v_not_b32_e32 v93, v94
	v_cmp_gt_i32_e64 s17, 0, v95
	v_not_b32_e32 v94, v95
	v_not_b32_e32 v95, v96
	v_dual_ashrrev_i32 v91, 31, v91 :: v_dual_ashrrev_i32 v93, 31, v93
	s_delay_alu instid0(VALU_DEP_2) | instskip(SKIP_4) | instid1(VALU_DEP_4)
	v_dual_ashrrev_i32 v94, 31, v94 :: v_dual_ashrrev_i32 v95, 31, v95
	v_dual_lshlrev_b32 v97, 26, v92 :: v_dual_lshlrev_b32 v196, 25, v92
	v_lshlrev_b32_e32 v197, 24, v92
	v_cmp_gt_i32_e64 s18, 0, v96
	v_xor_b32_e32 v91, s15, v91
	v_not_b32_e32 v96, v97
	v_xor_b32_e32 v90, vcc_lo, v90
	v_cmp_gt_i32_e64 s19, 0, v97
	v_cmp_gt_i32_e64 s20, 0, v196
	v_not_b32_e32 v97, v196
	v_not_b32_e32 v196, v197
	v_dual_ashrrev_i32 v96, 31, v96 :: v_dual_bitop2_b32 v93, s16, v93 bitop3:0x14
	v_xor_b32_e32 v94, s17, v94
	v_bitop3_b32 v90, v90, v91, exec_lo bitop3:0x80
	v_cmp_gt_i32_e64 s21, 0, v197
	v_dual_ashrrev_i32 v91, 31, v97 :: v_dual_ashrrev_i32 v97, 31, v196
	v_xor_b32_e32 v95, s18, v95
	v_xor_b32_e32 v96, s19, v96
	v_bitop3_b32 v90, v90, v94, v93 bitop3:0x80
	v_mad_u32_u24 v93, v92, 36, v148
	v_xor_b32_e32 v91, s20, v91
	v_xor_b32_e32 v94, s21, v97
	s_delay_alu instid0(VALU_DEP_4) | instskip(SKIP_3) | instid1(VALU_DEP_2)
	v_bitop3_b32 v90, v90, v96, v95 bitop3:0x80
	ds_load_b32 v196, v93 offset:1056
	; wave barrier
	v_bitop3_b32 v90, v90, v94, v91 bitop3:0x80
	v_mul_u32_u24_e32 v91, 36, v92
	v_mbcnt_lo_u32_b32 v197, v90, 0
	v_cmp_ne_u32_e64 s15, 0, v90
	s_delay_alu instid0(VALU_DEP_3) | instskip(NEXT) | instid1(VALU_DEP_3)
	v_add_nc_u32_e32 v198, v148, v91
	v_cmp_eq_u32_e32 vcc_lo, 0, v197
	s_and_b32 s16, s15, vcc_lo
	s_delay_alu instid0(SALU_CYCLE_1)
	s_and_saveexec_b32 s15, s16
	s_cbranch_execz .LBB1245_157
; %bb.156:                              ;   in Loop: Header=BB1245_101 Depth=2
	s_wait_dscnt 0x0
	v_bcnt_u32_b32 v90, v90, v196
	ds_store_b32 v198, v90 offset:1056
.LBB1245_157:                           ;   in Loop: Header=BB1245_101 Depth=2
	s_or_b32 exec_lo, exec_lo, s15
	v_cmp_lt_i64_e32 vcc_lo, -1, v[80:81]
	; wave barrier
	v_cndmask_b32_e64 v90, -1, 0x80000000, vcc_lo
	s_delay_alu instid0(VALU_DEP_1) | instskip(NEXT) | instid1(VALU_DEP_1)
	v_dual_ashrrev_i32 v91, 31, v81 :: v_dual_bitop2_b32 v81, v90, v81 bitop3:0x14
	v_xor_b32_e32 v80, v91, v80
	s_delay_alu instid0(VALU_DEP_1) | instskip(SKIP_2) | instid1(VALU_DEP_1)
	v_cmp_ne_u64_e32 vcc_lo, s[42:43], v[80:81]
	v_cndmask_b32_e32 v91, 0x80000000, v81, vcc_lo
	v_cndmask_b32_e32 v90, 0, v80, vcc_lo
	v_lshrrev_b64 v[90:91], s54, v[90:91]
	s_delay_alu instid0(VALU_DEP_1) | instskip(SKIP_1) | instid1(VALU_DEP_2)
	v_bitop3_b32 v91, v90, 1, s59 bitop3:0x80
	v_and_b32_e32 v92, s59, v90
	v_add_co_u32 v90, s15, v91, -1
	s_delay_alu instid0(VALU_DEP_1) | instskip(NEXT) | instid1(VALU_DEP_3)
	v_cndmask_b32_e64 v91, 0, 1, s15
	v_dual_lshlrev_b32 v93, 30, v92 :: v_dual_lshlrev_b32 v95, 28, v92
	v_dual_lshlrev_b32 v94, 29, v92 :: v_dual_lshlrev_b32 v96, 27, v92
	s_delay_alu instid0(VALU_DEP_3) | instskip(NEXT) | instid1(VALU_DEP_3)
	v_cmp_ne_u32_e32 vcc_lo, 0, v91
	v_cmp_gt_i32_e64 s15, 0, v93
	v_not_b32_e32 v91, v93
	s_delay_alu instid0(VALU_DEP_4) | instskip(SKIP_4) | instid1(VALU_DEP_4)
	v_cmp_gt_i32_e64 s16, 0, v94
	v_not_b32_e32 v93, v94
	v_cmp_gt_i32_e64 s17, 0, v95
	v_not_b32_e32 v94, v95
	v_not_b32_e32 v95, v96
	v_dual_ashrrev_i32 v91, 31, v91 :: v_dual_ashrrev_i32 v93, 31, v93
	s_delay_alu instid0(VALU_DEP_2) | instskip(SKIP_4) | instid1(VALU_DEP_4)
	v_dual_ashrrev_i32 v94, 31, v94 :: v_dual_ashrrev_i32 v95, 31, v95
	v_dual_lshlrev_b32 v97, 26, v92 :: v_dual_lshlrev_b32 v199, 25, v92
	v_lshlrev_b32_e32 v200, 24, v92
	v_cmp_gt_i32_e64 s18, 0, v96
	v_xor_b32_e32 v91, s15, v91
	v_not_b32_e32 v96, v97
	v_xor_b32_e32 v90, vcc_lo, v90
	v_cmp_gt_i32_e64 s19, 0, v97
	v_cmp_gt_i32_e64 s20, 0, v199
	v_not_b32_e32 v97, v199
	v_not_b32_e32 v199, v200
	v_dual_ashrrev_i32 v96, 31, v96 :: v_dual_bitop2_b32 v93, s16, v93 bitop3:0x14
	v_xor_b32_e32 v94, s17, v94
	v_bitop3_b32 v90, v90, v91, exec_lo bitop3:0x80
	v_cmp_gt_i32_e64 s21, 0, v200
	v_dual_ashrrev_i32 v91, 31, v97 :: v_dual_ashrrev_i32 v97, 31, v199
	v_xor_b32_e32 v95, s18, v95
	v_xor_b32_e32 v96, s19, v96
	v_bitop3_b32 v90, v90, v94, v93 bitop3:0x80
	v_mad_u32_u24 v93, v92, 36, v148
	v_xor_b32_e32 v91, s20, v91
	v_xor_b32_e32 v94, s21, v97
	s_delay_alu instid0(VALU_DEP_4) | instskip(SKIP_3) | instid1(VALU_DEP_2)
	v_bitop3_b32 v90, v90, v96, v95 bitop3:0x80
	ds_load_b32 v199, v93 offset:1056
	; wave barrier
	v_bitop3_b32 v90, v90, v94, v91 bitop3:0x80
	v_mul_u32_u24_e32 v91, 36, v92
	v_mbcnt_lo_u32_b32 v200, v90, 0
	v_cmp_ne_u32_e64 s15, 0, v90
	s_delay_alu instid0(VALU_DEP_3) | instskip(NEXT) | instid1(VALU_DEP_3)
	v_add_nc_u32_e32 v201, v148, v91
	v_cmp_eq_u32_e32 vcc_lo, 0, v200
	s_and_b32 s16, s15, vcc_lo
	s_delay_alu instid0(SALU_CYCLE_1)
	s_and_saveexec_b32 s15, s16
	s_cbranch_execz .LBB1245_159
; %bb.158:                              ;   in Loop: Header=BB1245_101 Depth=2
	s_wait_dscnt 0x0
	v_bcnt_u32_b32 v90, v90, v199
	ds_store_b32 v201, v90 offset:1056
.LBB1245_159:                           ;   in Loop: Header=BB1245_101 Depth=2
	s_or_b32 exec_lo, exec_lo, s15
	v_cmp_lt_i64_e32 vcc_lo, -1, v[76:77]
	; wave barrier
	v_cndmask_b32_e64 v90, -1, 0x80000000, vcc_lo
	s_delay_alu instid0(VALU_DEP_1) | instskip(NEXT) | instid1(VALU_DEP_1)
	v_dual_ashrrev_i32 v91, 31, v77 :: v_dual_bitop2_b32 v77, v90, v77 bitop3:0x14
	v_xor_b32_e32 v76, v91, v76
	s_delay_alu instid0(VALU_DEP_1) | instskip(SKIP_2) | instid1(VALU_DEP_1)
	v_cmp_ne_u64_e32 vcc_lo, s[42:43], v[76:77]
	v_cndmask_b32_e32 v91, 0x80000000, v77, vcc_lo
	v_cndmask_b32_e32 v90, 0, v76, vcc_lo
	v_lshrrev_b64 v[90:91], s54, v[90:91]
	s_delay_alu instid0(VALU_DEP_1) | instskip(SKIP_1) | instid1(VALU_DEP_2)
	v_bitop3_b32 v91, v90, 1, s59 bitop3:0x80
	v_and_b32_e32 v92, s59, v90
	v_add_co_u32 v90, s15, v91, -1
	s_delay_alu instid0(VALU_DEP_1) | instskip(NEXT) | instid1(VALU_DEP_3)
	v_cndmask_b32_e64 v91, 0, 1, s15
	v_dual_lshlrev_b32 v93, 30, v92 :: v_dual_lshlrev_b32 v95, 28, v92
	v_dual_lshlrev_b32 v94, 29, v92 :: v_dual_lshlrev_b32 v96, 27, v92
	s_delay_alu instid0(VALU_DEP_3) | instskip(NEXT) | instid1(VALU_DEP_3)
	v_cmp_ne_u32_e32 vcc_lo, 0, v91
	v_cmp_gt_i32_e64 s15, 0, v93
	v_not_b32_e32 v91, v93
	s_delay_alu instid0(VALU_DEP_4) | instskip(SKIP_4) | instid1(VALU_DEP_4)
	v_cmp_gt_i32_e64 s16, 0, v94
	v_not_b32_e32 v93, v94
	v_cmp_gt_i32_e64 s17, 0, v95
	v_not_b32_e32 v94, v95
	v_not_b32_e32 v95, v96
	v_dual_ashrrev_i32 v91, 31, v91 :: v_dual_ashrrev_i32 v93, 31, v93
	s_delay_alu instid0(VALU_DEP_2) | instskip(SKIP_4) | instid1(VALU_DEP_4)
	v_dual_ashrrev_i32 v94, 31, v94 :: v_dual_ashrrev_i32 v95, 31, v95
	v_dual_lshlrev_b32 v97, 26, v92 :: v_dual_lshlrev_b32 v202, 25, v92
	v_lshlrev_b32_e32 v203, 24, v92
	v_cmp_gt_i32_e64 s18, 0, v96
	v_xor_b32_e32 v91, s15, v91
	v_not_b32_e32 v96, v97
	v_xor_b32_e32 v90, vcc_lo, v90
	v_cmp_gt_i32_e64 s19, 0, v97
	v_cmp_gt_i32_e64 s20, 0, v202
	v_not_b32_e32 v97, v202
	v_not_b32_e32 v202, v203
	v_dual_ashrrev_i32 v96, 31, v96 :: v_dual_bitop2_b32 v93, s16, v93 bitop3:0x14
	v_xor_b32_e32 v94, s17, v94
	v_bitop3_b32 v90, v90, v91, exec_lo bitop3:0x80
	v_cmp_gt_i32_e64 s21, 0, v203
	v_dual_ashrrev_i32 v91, 31, v97 :: v_dual_ashrrev_i32 v97, 31, v202
	v_xor_b32_e32 v95, s18, v95
	v_xor_b32_e32 v96, s19, v96
	v_bitop3_b32 v90, v90, v94, v93 bitop3:0x80
	v_mad_u32_u24 v93, v92, 36, v148
	v_xor_b32_e32 v91, s20, v91
	v_xor_b32_e32 v94, s21, v97
	s_delay_alu instid0(VALU_DEP_4) | instskip(SKIP_3) | instid1(VALU_DEP_2)
	v_bitop3_b32 v90, v90, v96, v95 bitop3:0x80
	ds_load_b32 v202, v93 offset:1056
	; wave barrier
	v_bitop3_b32 v90, v90, v94, v91 bitop3:0x80
	v_mul_u32_u24_e32 v91, 36, v92
	v_mbcnt_lo_u32_b32 v203, v90, 0
	v_cmp_ne_u32_e64 s15, 0, v90
	s_delay_alu instid0(VALU_DEP_3) | instskip(NEXT) | instid1(VALU_DEP_3)
	v_add_nc_u32_e32 v204, v148, v91
	v_cmp_eq_u32_e32 vcc_lo, 0, v203
	s_and_b32 s16, s15, vcc_lo
	s_delay_alu instid0(SALU_CYCLE_1)
	s_and_saveexec_b32 s15, s16
	s_cbranch_execz .LBB1245_161
; %bb.160:                              ;   in Loop: Header=BB1245_101 Depth=2
	s_wait_dscnt 0x0
	v_bcnt_u32_b32 v90, v90, v202
	ds_store_b32 v204, v90 offset:1056
.LBB1245_161:                           ;   in Loop: Header=BB1245_101 Depth=2
	s_or_b32 exec_lo, exec_lo, s15
	v_cmp_lt_i64_e32 vcc_lo, -1, v[72:73]
	; wave barrier
	v_cndmask_b32_e64 v90, -1, 0x80000000, vcc_lo
	s_delay_alu instid0(VALU_DEP_1) | instskip(NEXT) | instid1(VALU_DEP_1)
	v_dual_ashrrev_i32 v91, 31, v73 :: v_dual_bitop2_b32 v73, v90, v73 bitop3:0x14
	v_xor_b32_e32 v72, v91, v72
	s_delay_alu instid0(VALU_DEP_1) | instskip(SKIP_2) | instid1(VALU_DEP_1)
	v_cmp_ne_u64_e32 vcc_lo, s[42:43], v[72:73]
	v_cndmask_b32_e32 v91, 0x80000000, v73, vcc_lo
	v_cndmask_b32_e32 v90, 0, v72, vcc_lo
	v_lshrrev_b64 v[90:91], s54, v[90:91]
	s_delay_alu instid0(VALU_DEP_1) | instskip(SKIP_1) | instid1(VALU_DEP_2)
	v_bitop3_b32 v91, v90, 1, s59 bitop3:0x80
	v_and_b32_e32 v92, s59, v90
	v_add_co_u32 v90, s15, v91, -1
	s_delay_alu instid0(VALU_DEP_1) | instskip(NEXT) | instid1(VALU_DEP_3)
	v_cndmask_b32_e64 v91, 0, 1, s15
	v_dual_lshlrev_b32 v93, 30, v92 :: v_dual_lshlrev_b32 v95, 28, v92
	v_dual_lshlrev_b32 v94, 29, v92 :: v_dual_lshlrev_b32 v96, 27, v92
	s_delay_alu instid0(VALU_DEP_3) | instskip(NEXT) | instid1(VALU_DEP_3)
	v_cmp_ne_u32_e32 vcc_lo, 0, v91
	v_cmp_gt_i32_e64 s15, 0, v93
	v_not_b32_e32 v91, v93
	s_delay_alu instid0(VALU_DEP_4) | instskip(SKIP_4) | instid1(VALU_DEP_4)
	v_cmp_gt_i32_e64 s16, 0, v94
	v_not_b32_e32 v93, v94
	v_cmp_gt_i32_e64 s17, 0, v95
	v_not_b32_e32 v94, v95
	v_not_b32_e32 v95, v96
	v_dual_ashrrev_i32 v91, 31, v91 :: v_dual_ashrrev_i32 v93, 31, v93
	s_delay_alu instid0(VALU_DEP_2) | instskip(SKIP_4) | instid1(VALU_DEP_4)
	v_dual_ashrrev_i32 v94, 31, v94 :: v_dual_ashrrev_i32 v95, 31, v95
	v_dual_lshlrev_b32 v97, 26, v92 :: v_dual_lshlrev_b32 v205, 25, v92
	v_lshlrev_b32_e32 v206, 24, v92
	v_cmp_gt_i32_e64 s18, 0, v96
	v_xor_b32_e32 v91, s15, v91
	v_not_b32_e32 v96, v97
	v_xor_b32_e32 v90, vcc_lo, v90
	v_cmp_gt_i32_e64 s19, 0, v97
	v_cmp_gt_i32_e64 s20, 0, v205
	v_not_b32_e32 v97, v205
	v_not_b32_e32 v205, v206
	v_dual_ashrrev_i32 v96, 31, v96 :: v_dual_bitop2_b32 v93, s16, v93 bitop3:0x14
	v_xor_b32_e32 v94, s17, v94
	v_bitop3_b32 v90, v90, v91, exec_lo bitop3:0x80
	v_cmp_gt_i32_e64 s21, 0, v206
	v_ashrrev_i32_e32 v91, 31, v97
	v_dual_ashrrev_i32 v97, 31, v205 :: v_dual_bitop2_b32 v95, s18, v95 bitop3:0x14
	v_xor_b32_e32 v96, s19, v96
	v_bitop3_b32 v90, v90, v94, v93 bitop3:0x80
	v_mad_u32_u24 v93, v92, 36, v148
	v_xor_b32_e32 v91, s20, v91
	v_xor_b32_e32 v94, s21, v97
	s_delay_alu instid0(VALU_DEP_4) | instskip(SKIP_3) | instid1(VALU_DEP_2)
	v_bitop3_b32 v90, v90, v96, v95 bitop3:0x80
	ds_load_b32 v205, v93 offset:1056
	; wave barrier
	v_bitop3_b32 v90, v90, v94, v91 bitop3:0x80
	v_mul_u32_u24_e32 v91, 36, v92
	v_mbcnt_lo_u32_b32 v206, v90, 0
	v_cmp_ne_u32_e64 s15, 0, v90
	s_delay_alu instid0(VALU_DEP_3) | instskip(NEXT) | instid1(VALU_DEP_3)
	v_add_nc_u32_e32 v208, v148, v91
	v_cmp_eq_u32_e32 vcc_lo, 0, v206
	s_and_b32 s16, s15, vcc_lo
	s_delay_alu instid0(SALU_CYCLE_1)
	s_and_saveexec_b32 s15, s16
	s_cbranch_execz .LBB1245_163
; %bb.162:                              ;   in Loop: Header=BB1245_101 Depth=2
	s_wait_dscnt 0x0
	v_bcnt_u32_b32 v90, v90, v205
	ds_store_b32 v208, v90 offset:1056
.LBB1245_163:                           ;   in Loop: Header=BB1245_101 Depth=2
	s_or_b32 exec_lo, exec_lo, s15
	v_cmp_lt_i64_e32 vcc_lo, -1, v[68:69]
	; wave barrier
	v_cndmask_b32_e64 v90, -1, 0x80000000, vcc_lo
	s_delay_alu instid0(VALU_DEP_1) | instskip(NEXT) | instid1(VALU_DEP_1)
	v_dual_ashrrev_i32 v91, 31, v69 :: v_dual_bitop2_b32 v69, v90, v69 bitop3:0x14
	v_xor_b32_e32 v68, v91, v68
	s_delay_alu instid0(VALU_DEP_1) | instskip(SKIP_2) | instid1(VALU_DEP_1)
	v_cmp_ne_u64_e32 vcc_lo, s[42:43], v[68:69]
	v_cndmask_b32_e32 v91, 0x80000000, v69, vcc_lo
	v_cndmask_b32_e32 v90, 0, v68, vcc_lo
	v_lshrrev_b64 v[90:91], s54, v[90:91]
	s_delay_alu instid0(VALU_DEP_1) | instskip(SKIP_1) | instid1(VALU_DEP_2)
	v_bitop3_b32 v91, v90, 1, s59 bitop3:0x80
	v_and_b32_e32 v92, s59, v90
	v_add_co_u32 v90, s15, v91, -1
	s_delay_alu instid0(VALU_DEP_1) | instskip(NEXT) | instid1(VALU_DEP_3)
	v_cndmask_b32_e64 v91, 0, 1, s15
	v_dual_lshlrev_b32 v93, 30, v92 :: v_dual_lshlrev_b32 v95, 28, v92
	v_dual_lshlrev_b32 v94, 29, v92 :: v_dual_lshlrev_b32 v96, 27, v92
	s_delay_alu instid0(VALU_DEP_3) | instskip(NEXT) | instid1(VALU_DEP_3)
	v_cmp_ne_u32_e32 vcc_lo, 0, v91
	v_cmp_gt_i32_e64 s15, 0, v93
	v_not_b32_e32 v91, v93
	s_delay_alu instid0(VALU_DEP_4) | instskip(SKIP_4) | instid1(VALU_DEP_4)
	v_cmp_gt_i32_e64 s16, 0, v94
	v_not_b32_e32 v93, v94
	v_cmp_gt_i32_e64 s17, 0, v95
	v_not_b32_e32 v94, v95
	v_not_b32_e32 v95, v96
	v_dual_ashrrev_i32 v91, 31, v91 :: v_dual_ashrrev_i32 v93, 31, v93
	s_delay_alu instid0(VALU_DEP_2) | instskip(SKIP_4) | instid1(VALU_DEP_4)
	v_dual_ashrrev_i32 v94, 31, v94 :: v_dual_ashrrev_i32 v95, 31, v95
	v_dual_lshlrev_b32 v97, 26, v92 :: v_dual_lshlrev_b32 v207, 25, v92
	v_lshlrev_b32_e32 v209, 24, v92
	v_cmp_gt_i32_e64 s18, 0, v96
	v_xor_b32_e32 v91, s15, v91
	v_not_b32_e32 v96, v97
	v_xor_b32_e32 v90, vcc_lo, v90
	v_cmp_gt_i32_e64 s19, 0, v97
	v_cmp_gt_i32_e64 s20, 0, v207
	v_not_b32_e32 v97, v207
	v_not_b32_e32 v207, v209
	v_dual_ashrrev_i32 v96, 31, v96 :: v_dual_bitop2_b32 v93, s16, v93 bitop3:0x14
	v_xor_b32_e32 v94, s17, v94
	v_bitop3_b32 v90, v90, v91, exec_lo bitop3:0x80
	v_cmp_gt_i32_e64 s21, 0, v209
	v_dual_ashrrev_i32 v91, 31, v97 :: v_dual_ashrrev_i32 v97, 31, v207
	v_xor_b32_e32 v95, s18, v95
	v_xor_b32_e32 v96, s19, v96
	v_bitop3_b32 v90, v90, v94, v93 bitop3:0x80
	v_mad_u32_u24 v93, v92, 36, v148
	v_xor_b32_e32 v91, s20, v91
	v_xor_b32_e32 v94, s21, v97
	s_delay_alu instid0(VALU_DEP_4) | instskip(SKIP_3) | instid1(VALU_DEP_2)
	v_bitop3_b32 v90, v90, v96, v95 bitop3:0x80
	ds_load_b32 v207, v93 offset:1056
	; wave barrier
	v_bitop3_b32 v90, v90, v94, v91 bitop3:0x80
	v_mul_u32_u24_e32 v91, 36, v92
	v_mbcnt_lo_u32_b32 v209, v90, 0
	v_cmp_ne_u32_e64 s15, 0, v90
	s_delay_alu instid0(VALU_DEP_3) | instskip(NEXT) | instid1(VALU_DEP_3)
	v_add_nc_u32_e32 v212, v148, v91
	v_cmp_eq_u32_e32 vcc_lo, 0, v209
	s_and_b32 s16, s15, vcc_lo
	s_delay_alu instid0(SALU_CYCLE_1)
	s_and_saveexec_b32 s15, s16
	s_cbranch_execz .LBB1245_165
; %bb.164:                              ;   in Loop: Header=BB1245_101 Depth=2
	s_wait_dscnt 0x0
	v_bcnt_u32_b32 v90, v90, v207
	ds_store_b32 v212, v90 offset:1056
.LBB1245_165:                           ;   in Loop: Header=BB1245_101 Depth=2
	s_or_b32 exec_lo, exec_lo, s15
	v_cmp_lt_i64_e32 vcc_lo, -1, v[64:65]
	; wave barrier
	v_cndmask_b32_e64 v90, -1, 0x80000000, vcc_lo
	s_delay_alu instid0(VALU_DEP_1) | instskip(NEXT) | instid1(VALU_DEP_1)
	v_dual_ashrrev_i32 v91, 31, v65 :: v_dual_bitop2_b32 v65, v90, v65 bitop3:0x14
	v_xor_b32_e32 v64, v91, v64
	s_delay_alu instid0(VALU_DEP_1) | instskip(SKIP_2) | instid1(VALU_DEP_1)
	v_cmp_ne_u64_e32 vcc_lo, s[42:43], v[64:65]
	v_cndmask_b32_e32 v91, 0x80000000, v65, vcc_lo
	v_cndmask_b32_e32 v90, 0, v64, vcc_lo
	v_lshrrev_b64 v[90:91], s54, v[90:91]
	s_delay_alu instid0(VALU_DEP_1) | instskip(SKIP_1) | instid1(VALU_DEP_2)
	v_bitop3_b32 v91, v90, 1, s59 bitop3:0x80
	v_and_b32_e32 v92, s59, v90
	v_add_co_u32 v90, s15, v91, -1
	s_delay_alu instid0(VALU_DEP_1) | instskip(NEXT) | instid1(VALU_DEP_3)
	v_cndmask_b32_e64 v91, 0, 1, s15
	v_dual_lshlrev_b32 v93, 30, v92 :: v_dual_lshlrev_b32 v95, 28, v92
	v_dual_lshlrev_b32 v94, 29, v92 :: v_dual_lshlrev_b32 v96, 27, v92
	s_delay_alu instid0(VALU_DEP_3) | instskip(NEXT) | instid1(VALU_DEP_3)
	v_cmp_ne_u32_e32 vcc_lo, 0, v91
	v_cmp_gt_i32_e64 s15, 0, v93
	v_not_b32_e32 v91, v93
	s_delay_alu instid0(VALU_DEP_4) | instskip(SKIP_4) | instid1(VALU_DEP_4)
	v_cmp_gt_i32_e64 s16, 0, v94
	v_not_b32_e32 v93, v94
	v_cmp_gt_i32_e64 s17, 0, v95
	v_not_b32_e32 v94, v95
	v_not_b32_e32 v95, v96
	v_dual_ashrrev_i32 v91, 31, v91 :: v_dual_ashrrev_i32 v93, 31, v93
	s_delay_alu instid0(VALU_DEP_2) | instskip(SKIP_4) | instid1(VALU_DEP_4)
	v_dual_ashrrev_i32 v94, 31, v94 :: v_dual_ashrrev_i32 v95, 31, v95
	v_dual_lshlrev_b32 v97, 26, v92 :: v_dual_lshlrev_b32 v210, 25, v92
	v_lshlrev_b32_e32 v211, 24, v92
	v_cmp_gt_i32_e64 s18, 0, v96
	v_xor_b32_e32 v91, s15, v91
	v_not_b32_e32 v96, v97
	v_xor_b32_e32 v90, vcc_lo, v90
	v_cmp_gt_i32_e64 s19, 0, v97
	v_cmp_gt_i32_e64 s20, 0, v210
	v_not_b32_e32 v97, v210
	v_not_b32_e32 v210, v211
	v_dual_ashrrev_i32 v96, 31, v96 :: v_dual_bitop2_b32 v93, s16, v93 bitop3:0x14
	v_xor_b32_e32 v94, s17, v94
	v_bitop3_b32 v90, v90, v91, exec_lo bitop3:0x80
	v_cmp_gt_i32_e64 s21, 0, v211
	v_dual_ashrrev_i32 v91, 31, v97 :: v_dual_ashrrev_i32 v97, 31, v210
	v_xor_b32_e32 v95, s18, v95
	v_xor_b32_e32 v96, s19, v96
	v_bitop3_b32 v90, v90, v94, v93 bitop3:0x80
	v_mad_u32_u24 v93, v92, 36, v148
	v_xor_b32_e32 v91, s20, v91
	v_xor_b32_e32 v94, s21, v97
	s_delay_alu instid0(VALU_DEP_4) | instskip(SKIP_3) | instid1(VALU_DEP_2)
	v_bitop3_b32 v90, v90, v96, v95 bitop3:0x80
	ds_load_b32 v210, v93 offset:1056
	; wave barrier
	v_bitop3_b32 v90, v90, v94, v91 bitop3:0x80
	v_mul_u32_u24_e32 v91, 36, v92
	v_mbcnt_lo_u32_b32 v211, v90, 0
	v_cmp_ne_u32_e64 s15, 0, v90
	s_delay_alu instid0(VALU_DEP_3) | instskip(NEXT) | instid1(VALU_DEP_3)
	v_add_nc_u32_e32 v215, v148, v91
	v_cmp_eq_u32_e32 vcc_lo, 0, v211
	s_and_b32 s16, s15, vcc_lo
	s_delay_alu instid0(SALU_CYCLE_1)
	s_and_saveexec_b32 s15, s16
	s_cbranch_execz .LBB1245_167
; %bb.166:                              ;   in Loop: Header=BB1245_101 Depth=2
	s_wait_dscnt 0x0
	v_bcnt_u32_b32 v90, v90, v210
	ds_store_b32 v215, v90 offset:1056
.LBB1245_167:                           ;   in Loop: Header=BB1245_101 Depth=2
	s_or_b32 exec_lo, exec_lo, s15
	v_cmp_lt_i64_e32 vcc_lo, -1, v[66:67]
	; wave barrier
	v_cndmask_b32_e64 v90, -1, 0x80000000, vcc_lo
	s_delay_alu instid0(VALU_DEP_1) | instskip(NEXT) | instid1(VALU_DEP_1)
	v_dual_ashrrev_i32 v91, 31, v67 :: v_dual_bitop2_b32 v67, v90, v67 bitop3:0x14
	v_xor_b32_e32 v66, v91, v66
	s_delay_alu instid0(VALU_DEP_1) | instskip(SKIP_2) | instid1(VALU_DEP_1)
	v_cmp_ne_u64_e32 vcc_lo, s[42:43], v[66:67]
	v_cndmask_b32_e32 v91, 0x80000000, v67, vcc_lo
	v_cndmask_b32_e32 v90, 0, v66, vcc_lo
	v_lshrrev_b64 v[90:91], s54, v[90:91]
	s_delay_alu instid0(VALU_DEP_1) | instskip(SKIP_1) | instid1(VALU_DEP_2)
	v_bitop3_b32 v91, v90, 1, s59 bitop3:0x80
	v_and_b32_e32 v92, s59, v90
	v_add_co_u32 v90, s15, v91, -1
	s_delay_alu instid0(VALU_DEP_1) | instskip(NEXT) | instid1(VALU_DEP_3)
	v_cndmask_b32_e64 v91, 0, 1, s15
	v_lshlrev_b32_e32 v93, 30, v92
	s_delay_alu instid0(VALU_DEP_2) | instskip(NEXT) | instid1(VALU_DEP_2)
	v_cmp_ne_u32_e32 vcc_lo, 0, v91
	v_not_b32_e32 v91, v93
	v_cmp_gt_i32_e64 s15, 0, v93
	s_delay_alu instid0(VALU_DEP_2) | instskip(SKIP_3) | instid1(VALU_DEP_4)
	v_dual_ashrrev_i32 v91, 31, v91 :: v_dual_lshlrev_b32 v94, 29, v92
	v_dual_lshlrev_b32 v95, 28, v92 :: v_dual_lshlrev_b32 v96, 27, v92
	v_dual_lshlrev_b32 v97, 26, v92 :: v_dual_lshlrev_b32 v213, 25, v92
	v_lshlrev_b32_e32 v214, 24, v92
	v_cmp_gt_i32_e64 s16, 0, v94
	v_not_b32_e32 v93, v94
	v_not_b32_e32 v94, v95
	v_cmp_gt_i32_e64 s17, 0, v95
	v_cmp_gt_i32_e64 s18, 0, v96
	v_not_b32_e32 v95, v96
	v_not_b32_e32 v96, v97
	v_dual_ashrrev_i32 v93, 31, v93 :: v_dual_bitop2_b32 v90, vcc_lo, v90 bitop3:0x14
	v_dual_ashrrev_i32 v94, 31, v94 :: v_dual_bitop2_b32 v91, s15, v91 bitop3:0x14
	v_cmp_gt_i32_e64 s19, 0, v97
	v_cmp_gt_i32_e64 s20, 0, v213
	v_not_b32_e32 v97, v213
	v_not_b32_e32 v213, v214
	v_dual_ashrrev_i32 v95, 31, v95 :: v_dual_ashrrev_i32 v96, 31, v96
	v_xor_b32_e32 v93, s16, v93
	v_xor_b32_e32 v94, s17, v94
	v_bitop3_b32 v90, v90, v91, exec_lo bitop3:0x80
	v_cmp_gt_i32_e64 s21, 0, v214
	v_ashrrev_i32_e32 v91, 31, v97
	v_dual_ashrrev_i32 v97, 31, v213 :: v_dual_bitop2_b32 v95, s18, v95 bitop3:0x14
	v_xor_b32_e32 v96, s19, v96
	v_bitop3_b32 v90, v90, v94, v93 bitop3:0x80
	v_mad_u32_u24 v93, v92, 36, v148
	v_xor_b32_e32 v91, s20, v91
	v_xor_b32_e32 v94, s21, v97
	s_delay_alu instid0(VALU_DEP_4) | instskip(SKIP_3) | instid1(VALU_DEP_2)
	v_bitop3_b32 v90, v90, v96, v95 bitop3:0x80
	ds_load_b32 v213, v93 offset:1056
	; wave barrier
	v_bitop3_b32 v90, v90, v94, v91 bitop3:0x80
	v_mul_u32_u24_e32 v91, 36, v92
	v_mbcnt_lo_u32_b32 v214, v90, 0
	v_cmp_ne_u32_e64 s15, 0, v90
	s_delay_alu instid0(VALU_DEP_3) | instskip(NEXT) | instid1(VALU_DEP_3)
	v_add_nc_u32_e32 v216, v148, v91
	v_cmp_eq_u32_e32 vcc_lo, 0, v214
	s_and_b32 s16, s15, vcc_lo
	s_delay_alu instid0(SALU_CYCLE_1)
	s_and_saveexec_b32 s15, s16
	s_cbranch_execz .LBB1245_169
; %bb.168:                              ;   in Loop: Header=BB1245_101 Depth=2
	s_wait_dscnt 0x0
	v_bcnt_u32_b32 v90, v90, v213
	ds_store_b32 v216, v90 offset:1056
.LBB1245_169:                           ;   in Loop: Header=BB1245_101 Depth=2
	s_or_b32 exec_lo, exec_lo, s15
	; wave barrier
	s_wait_dscnt 0x0
	s_barrier_signal -1
	s_barrier_wait -1
	ds_load_2addr_b32 v[96:97], v168 offset1:1
	ds_load_2addr_b32 v[94:95], v169 offset1:1
	;; [unrolled: 1-line block ×4, first 2 shown]
	ds_load_b32 v217, v120 offset:1088
	s_wait_dscnt 0x3
	v_add3_u32 v218, v97, v96, v94
	s_wait_dscnt 0x2
	s_delay_alu instid0(VALU_DEP_1) | instskip(SKIP_1) | instid1(VALU_DEP_1)
	v_add3_u32 v218, v218, v95, v92
	s_wait_dscnt 0x1
	v_add3_u32 v218, v218, v93, v90
	s_wait_dscnt 0x0
	s_delay_alu instid0(VALU_DEP_1) | instskip(NEXT) | instid1(VALU_DEP_1)
	v_add3_u32 v217, v218, v91, v217
	v_mov_b32_dpp v218, v217 row_shr:1 row_mask:0xf bank_mask:0xf
	s_delay_alu instid0(VALU_DEP_1) | instskip(NEXT) | instid1(VALU_DEP_1)
	v_cndmask_b32_e64 v218, v218, 0, s7
	v_add_nc_u32_e32 v217, v218, v217
	s_delay_alu instid0(VALU_DEP_1) | instskip(NEXT) | instid1(VALU_DEP_1)
	v_mov_b32_dpp v218, v217 row_shr:2 row_mask:0xf bank_mask:0xf
	v_cndmask_b32_e64 v218, 0, v218, s8
	s_delay_alu instid0(VALU_DEP_1) | instskip(NEXT) | instid1(VALU_DEP_1)
	v_add_nc_u32_e32 v217, v217, v218
	v_mov_b32_dpp v218, v217 row_shr:4 row_mask:0xf bank_mask:0xf
	s_delay_alu instid0(VALU_DEP_1) | instskip(NEXT) | instid1(VALU_DEP_1)
	v_cndmask_b32_e64 v218, 0, v218, s9
	v_add_nc_u32_e32 v217, v217, v218
	s_delay_alu instid0(VALU_DEP_1) | instskip(NEXT) | instid1(VALU_DEP_1)
	v_mov_b32_dpp v218, v217 row_shr:8 row_mask:0xf bank_mask:0xf
	v_cndmask_b32_e64 v218, 0, v218, s10
	s_delay_alu instid0(VALU_DEP_1) | instskip(SKIP_3) | instid1(VALU_DEP_1)
	v_add_nc_u32_e32 v217, v217, v218
	ds_swizzle_b32 v218, v217 offset:swizzle(BROADCAST,32,15)
	s_wait_dscnt 0x0
	v_cndmask_b32_e64 v218, v218, 0, s11
	v_add_nc_u32_e32 v217, v217, v218
	s_and_saveexec_b32 s15, s1
; %bb.170:                              ;   in Loop: Header=BB1245_101 Depth=2
	ds_store_b32 v114, v217 offset:1024
; %bb.171:                              ;   in Loop: Header=BB1245_101 Depth=2
	s_or_b32 exec_lo, exec_lo, s15
	s_wait_dscnt 0x0
	s_barrier_signal -1
	s_barrier_wait -1
	s_and_saveexec_b32 s15, s4
	s_cbranch_execz .LBB1245_173
; %bb.172:                              ;   in Loop: Header=BB1245_101 Depth=2
	ds_load_b32 v218, v122 offset:1024
	s_wait_dscnt 0x0
	v_mov_b32_dpp v219, v218 row_shr:1 row_mask:0xf bank_mask:0xf
	s_delay_alu instid0(VALU_DEP_1) | instskip(NEXT) | instid1(VALU_DEP_1)
	v_cndmask_b32_e64 v219, v219, 0, s12
	v_add_nc_u32_e32 v218, v219, v218
	s_delay_alu instid0(VALU_DEP_1) | instskip(NEXT) | instid1(VALU_DEP_1)
	v_mov_b32_dpp v219, v218 row_shr:2 row_mask:0xf bank_mask:0xf
	v_cndmask_b32_e64 v219, 0, v219, s13
	s_delay_alu instid0(VALU_DEP_1) | instskip(NEXT) | instid1(VALU_DEP_1)
	v_add_nc_u32_e32 v218, v218, v219
	v_mov_b32_dpp v219, v218 row_shr:4 row_mask:0xf bank_mask:0xf
	s_delay_alu instid0(VALU_DEP_1) | instskip(NEXT) | instid1(VALU_DEP_1)
	v_cndmask_b32_e64 v219, 0, v219, s14
	v_add_nc_u32_e32 v218, v218, v219
	ds_store_b32 v122, v218 offset:1024
.LBB1245_173:                           ;   in Loop: Header=BB1245_101 Depth=2
	s_or_b32 exec_lo, exec_lo, s15
	v_mov_b32_e32 v218, 0
	s_wait_dscnt 0x0
	s_barrier_signal -1
	s_barrier_wait -1
	s_and_saveexec_b32 s15, s5
; %bb.174:                              ;   in Loop: Header=BB1245_101 Depth=2
	ds_load_b32 v218, v114 offset:1020
; %bb.175:                              ;   in Loop: Header=BB1245_101 Depth=2
	s_or_b32 exec_lo, exec_lo, s15
	s_wait_dscnt 0x0
	v_add_nc_u32_e32 v217, v218, v217
	ds_bpermute_b32 v217, v147, v217
	s_wait_dscnt 0x0
	v_cndmask_b32_e64 v217, v217, v218, s6
	s_delay_alu instid0(VALU_DEP_1) | instskip(NEXT) | instid1(VALU_DEP_1)
	v_cndmask_b32_e64 v217, v217, 0, s2
	v_add_nc_u32_e32 v96, v217, v96
	s_delay_alu instid0(VALU_DEP_1) | instskip(NEXT) | instid1(VALU_DEP_1)
	v_add_nc_u32_e32 v97, v96, v97
	v_add_nc_u32_e32 v94, v97, v94
	s_delay_alu instid0(VALU_DEP_1) | instskip(NEXT) | instid1(VALU_DEP_1)
	v_add_nc_u32_e32 v95, v94, v95
	;; [unrolled: 3-line block ×3, first 2 shown]
	v_add_nc_u32_e32 v90, v93, v90
	s_delay_alu instid0(VALU_DEP_1)
	v_add_nc_u32_e32 v91, v90, v91
	ds_store_2addr_b32 v167, v93, v90 offset1:1
	ds_store_2addr_b32 v168, v217, v96 offset1:1
	;; [unrolled: 1-line block ×4, first 2 shown]
	ds_store_b32 v120, v91 offset:1088
	s_wait_dscnt 0x0
	s_barrier_signal -1
	s_barrier_wait -1
	ds_load_b32 v91, v171 offset:1056
	ds_load_b32 v96, v174 offset:1056
	;; [unrolled: 1-line block ×17, first 2 shown]
	v_mov_b32_e32 v90, 0x1000
	s_and_saveexec_b32 s15, s3
; %bb.176:                              ;   in Loop: Header=BB1245_101 Depth=2
	ds_load_b32 v90, v120 offset:1092
; %bb.177:                              ;   in Loop: Header=BB1245_101 Depth=2
	s_or_b32 exec_lo, exec_lo, s15
	s_wait_dscnt 0x0
	s_barrier_signal -1
	s_barrier_wait -1
	s_and_saveexec_b32 s15, s0
	s_cbranch_execz .LBB1245_179
; %bb.178:                              ;   in Loop: Header=BB1245_101 Depth=2
	ds_load_b32 v189, v3
	s_wait_dscnt 0x0
	v_sub_nc_u32_e32 v186, v189, v186
	ds_store_b32 v3, v186
.LBB1245_179:                           ;   in Loop: Header=BB1245_101 Depth=2
	s_or_b32 exec_lo, exec_lo, s15
	v_dual_lshlrev_b32 v166, 3, v166 :: v_dual_lshlrev_b32 v173, 3, v173
	v_lshlrev_b32_e32 v172, 3, v172
	v_dual_lshlrev_b32 v96, 3, v96 :: v_dual_lshlrev_b32 v95, 3, v95
	s_delay_alu instid0(VALU_DEP_3)
	v_lshl_add_u32 v91, v91, 3, v166
	v_dual_lshlrev_b32 v176, 3, v176 :: v_dual_lshlrev_b32 v166, 3, v175
	v_dual_lshlrev_b32 v175, 3, v179 :: v_dual_lshlrev_b32 v178, 3, v178
	v_lshlrev_b32_e32 v179, 3, v181
	ds_store_b64 v91, v[58:59] offset:1024
	v_dual_lshlrev_b32 v58, 3, v94 :: v_dual_lshlrev_b32 v181, 3, v93
	v_dual_lshlrev_b32 v59, 3, v182 :: v_dual_lshlrev_b32 v182, 3, v185
	v_lshlrev_b32_e32 v184, 3, v184
	v_lshlrev_b32_e32 v185, 3, v92
	v_add3_u32 v92, v173, v172, v96
	v_add3_u32 v93, v176, v166, v95
	;; [unrolled: 1-line block ×4, first 2 shown]
	v_lshlrev_b32_e32 v59, 3, v187
	v_add3_u32 v96, v182, v184, v185
	ds_store_b64 v92, v[60:61] offset:1024
	ds_store_b64 v93, v[62:63] offset:1024
	;; [unrolled: 1-line block ×5, first 2 shown]
	v_dual_lshlrev_b32 v58, 3, v188 :: v_dual_lshlrev_b32 v61, 3, v191
	v_dual_lshlrev_b32 v60, 3, v183 :: v_dual_lshlrev_b32 v62, 3, v190
	;; [unrolled: 1-line block ×3, first 2 shown]
	v_lshlrev_b32_e32 v71, 3, v193
	v_dual_lshlrev_b32 v74, 3, v177 :: v_dual_lshlrev_b32 v78, 3, v196
	v_dual_lshlrev_b32 v75, 3, v197 :: v_dual_lshlrev_b32 v79, 3, v174
	;; [unrolled: 1-line block ×3, first 2 shown]
	v_lshlrev_b32_e32 v171, 3, v171
	v_add3_u32 v60, v58, v59, v60
	v_add3_u32 v61, v61, v62, v63
	;; [unrolled: 1-line block ×4, first 2 shown]
	v_lshlrev_b32_e32 v59, 3, v202
	v_add3_u32 v70, v166, v172, v171
	ds_store_b64 v60, v[82:83] offset:1024
	ds_store_b64 v61, v[86:87] offset:1024
	;; [unrolled: 1-line block ×5, first 2 shown]
	v_dual_lshlrev_b32 v58, 3, v203 :: v_dual_lshlrev_b32 v71, 3, v170
	v_dual_lshlrev_b32 v74, 3, v206 :: v_dual_lshlrev_b32 v75, 3, v205
	;; [unrolled: 1-line block ×6, first 2 shown]
	v_lshlrev_b32_e32 v86, 3, v213
	v_lshlrev_b32_e32 v87, 3, v97
	v_add3_u32 v71, v58, v59, v71
	v_add3_u32 v74, v74, v75, v78
	;; [unrolled: 1-line block ×5, first 2 shown]
	v_cmp_lt_u32_e32 vcc_lo, v2, v165
	ds_store_b64 v71, v[76:77] offset:1024
	ds_store_b64 v74, v[72:73] offset:1024
	;; [unrolled: 1-line block ×5, first 2 shown]
	s_wait_dscnt 0x0
	s_barrier_signal -1
	s_barrier_wait -1
	s_and_saveexec_b32 s16, vcc_lo
	s_cbranch_execnz .LBB1245_248
; %bb.180:                              ;   in Loop: Header=BB1245_101 Depth=2
	s_or_b32 exec_lo, exec_lo, s16
	v_cmp_lt_u32_e64 s15, v98, v165
	s_and_saveexec_b32 s17, s15
	s_cbranch_execnz .LBB1245_249
.LBB1245_181:                           ;   in Loop: Header=BB1245_101 Depth=2
	s_or_b32 exec_lo, exec_lo, s17
	v_cmp_lt_u32_e64 s16, v99, v165
	s_and_saveexec_b32 s18, s16
	s_cbranch_execnz .LBB1245_250
.LBB1245_182:                           ;   in Loop: Header=BB1245_101 Depth=2
	s_or_b32 exec_lo, exec_lo, s18
	v_cmp_lt_u32_e64 s17, v100, v165
	s_and_saveexec_b32 s19, s17
	s_cbranch_execnz .LBB1245_251
.LBB1245_183:                           ;   in Loop: Header=BB1245_101 Depth=2
	s_or_b32 exec_lo, exec_lo, s19
	v_cmp_lt_u32_e64 s18, v101, v165
	s_and_saveexec_b32 s20, s18
	s_cbranch_execnz .LBB1245_252
.LBB1245_184:                           ;   in Loop: Header=BB1245_101 Depth=2
	s_or_b32 exec_lo, exec_lo, s20
	v_cmp_lt_u32_e64 s19, v102, v165
	s_and_saveexec_b32 s21, s19
	s_cbranch_execnz .LBB1245_253
.LBB1245_185:                           ;   in Loop: Header=BB1245_101 Depth=2
	s_or_b32 exec_lo, exec_lo, s21
	v_cmp_lt_u32_e64 s20, v103, v165
	s_and_saveexec_b32 s22, s20
	s_cbranch_execnz .LBB1245_254
.LBB1245_186:                           ;   in Loop: Header=BB1245_101 Depth=2
	s_or_b32 exec_lo, exec_lo, s22
	v_cmp_lt_u32_e64 s21, v104, v165
	s_and_saveexec_b32 s23, s21
	s_cbranch_execnz .LBB1245_255
.LBB1245_187:                           ;   in Loop: Header=BB1245_101 Depth=2
	s_or_b32 exec_lo, exec_lo, s23
	v_cmp_lt_u32_e64 s22, v105, v165
	s_and_saveexec_b32 s24, s22
	s_cbranch_execnz .LBB1245_256
.LBB1245_188:                           ;   in Loop: Header=BB1245_101 Depth=2
	s_or_b32 exec_lo, exec_lo, s24
	v_cmp_lt_u32_e64 s23, v106, v165
	s_and_saveexec_b32 s25, s23
	s_cbranch_execnz .LBB1245_257
.LBB1245_189:                           ;   in Loop: Header=BB1245_101 Depth=2
	s_or_b32 exec_lo, exec_lo, s25
	v_cmp_lt_u32_e64 s24, v107, v165
	s_and_saveexec_b32 s26, s24
	s_cbranch_execnz .LBB1245_258
.LBB1245_190:                           ;   in Loop: Header=BB1245_101 Depth=2
	s_or_b32 exec_lo, exec_lo, s26
	v_cmp_lt_u32_e64 s25, v108, v165
	s_and_saveexec_b32 s27, s25
	s_cbranch_execnz .LBB1245_259
.LBB1245_191:                           ;   in Loop: Header=BB1245_101 Depth=2
	s_or_b32 exec_lo, exec_lo, s27
	v_cmp_lt_u32_e64 s26, v109, v165
	s_and_saveexec_b32 s28, s26
	s_cbranch_execnz .LBB1245_260
.LBB1245_192:                           ;   in Loop: Header=BB1245_101 Depth=2
	s_or_b32 exec_lo, exec_lo, s28
	v_cmp_lt_u32_e64 s27, v110, v165
	s_and_saveexec_b32 s29, s27
	s_cbranch_execnz .LBB1245_261
.LBB1245_193:                           ;   in Loop: Header=BB1245_101 Depth=2
	s_or_b32 exec_lo, exec_lo, s29
	v_cmp_lt_u32_e64 s28, v111, v165
	s_and_saveexec_b32 s30, s28
	s_cbranch_execnz .LBB1245_262
.LBB1245_194:                           ;   in Loop: Header=BB1245_101 Depth=2
	s_or_b32 exec_lo, exec_lo, s30
	v_cmp_lt_u32_e64 s29, v112, v165
	s_and_saveexec_b32 s62, s29
	s_cbranch_execz .LBB1245_196
.LBB1245_195:                           ;   in Loop: Header=BB1245_101 Depth=2
	ds_load_b64 v[58:59], v123 offset:31744
	s_wait_dscnt 0x0
	v_cmp_ne_u64_e64 s30, s[42:43], v[58:59]
	s_delay_alu instid0(VALU_DEP_1) | instskip(SKIP_2) | instid1(VALU_DEP_2)
	v_cndmask_b32_e64 v65, 0x80000000, v59, s30
	v_cndmask_b32_e64 v64, 0, v58, s30
	v_cmp_lt_i64_e64 s30, -1, v[58:59]
	v_lshrrev_b64 v[64:65], s54, v[64:65]
	v_ashrrev_i32_e32 v65, 31, v59
	s_delay_alu instid0(VALU_DEP_3) | instskip(NEXT) | instid1(VALU_DEP_2)
	v_cndmask_b32_e64 v66, 0x80000000, -1, s30
	v_not_b32_e32 v65, v65
	s_delay_alu instid0(VALU_DEP_4) | instskip(NEXT) | instid1(VALU_DEP_1)
	v_and_b32_e32 v64, s59, v64
	v_dual_lshlrev_b32 v64, 2, v64 :: v_dual_bitop2_b32 v59, v66, v59 bitop3:0x14
	ds_load_b32 v64, v64
	s_wait_dscnt 0x0
	v_dual_add_nc_u32 v64, v64, v112 :: v_dual_bitop2_b32 v58, v65, v58 bitop3:0x14
	global_store_b64 v64, v[58:59], s[38:39] scale_offset
.LBB1245_196:                           ;   in Loop: Header=BB1245_101 Depth=2
	s_wait_xcnt 0x0
	s_or_b32 exec_lo, exec_lo, s62
	v_lshl_add_u64 v[58:59], s[34:35], 3, v[22:23]
	v_cmp_lt_u32_e64 s30, v129, v165
	s_and_saveexec_b32 s34, s30
	s_delay_alu instid0(SALU_CYCLE_1)
	s_xor_b32 s30, exec_lo, s34
	s_cbranch_execnz .LBB1245_263
; %bb.197:                              ;   in Loop: Header=BB1245_101 Depth=2
	s_or_b32 exec_lo, exec_lo, s30
	s_delay_alu instid0(SALU_CYCLE_1)
	s_mov_b32 s34, exec_lo
	v_cmpx_lt_u32_e64 v132, v165
	s_cbranch_execnz .LBB1245_264
.LBB1245_198:                           ;   in Loop: Header=BB1245_101 Depth=2
	s_or_b32 exec_lo, exec_lo, s34
	s_delay_alu instid0(SALU_CYCLE_1)
	s_mov_b32 s34, exec_lo
	v_cmpx_lt_u32_e64 v133, v165
	s_cbranch_execnz .LBB1245_265
.LBB1245_199:                           ;   in Loop: Header=BB1245_101 Depth=2
	s_or_b32 exec_lo, exec_lo, s34
	s_delay_alu instid0(SALU_CYCLE_1)
	s_mov_b32 s34, exec_lo
	v_cmpx_lt_u32_e64 v134, v165
	s_cbranch_execnz .LBB1245_266
.LBB1245_200:                           ;   in Loop: Header=BB1245_101 Depth=2
	s_or_b32 exec_lo, exec_lo, s34
	s_delay_alu instid0(SALU_CYCLE_1)
	s_mov_b32 s34, exec_lo
	v_cmpx_lt_u32_e64 v135, v165
	s_cbranch_execnz .LBB1245_267
.LBB1245_201:                           ;   in Loop: Header=BB1245_101 Depth=2
	s_or_b32 exec_lo, exec_lo, s34
	s_delay_alu instid0(SALU_CYCLE_1)
	s_mov_b32 s34, exec_lo
	v_cmpx_lt_u32_e64 v136, v165
	s_cbranch_execnz .LBB1245_268
.LBB1245_202:                           ;   in Loop: Header=BB1245_101 Depth=2
	s_or_b32 exec_lo, exec_lo, s34
	s_delay_alu instid0(SALU_CYCLE_1)
	s_mov_b32 s34, exec_lo
	v_cmpx_lt_u32_e64 v137, v165
	s_cbranch_execnz .LBB1245_269
.LBB1245_203:                           ;   in Loop: Header=BB1245_101 Depth=2
	s_or_b32 exec_lo, exec_lo, s34
	s_delay_alu instid0(SALU_CYCLE_1)
	s_mov_b32 s34, exec_lo
	v_cmpx_lt_u32_e64 v138, v165
	s_cbranch_execnz .LBB1245_270
.LBB1245_204:                           ;   in Loop: Header=BB1245_101 Depth=2
	s_or_b32 exec_lo, exec_lo, s34
	s_delay_alu instid0(SALU_CYCLE_1)
	s_mov_b32 s34, exec_lo
	v_cmpx_lt_u32_e64 v139, v165
	s_cbranch_execnz .LBB1245_271
.LBB1245_205:                           ;   in Loop: Header=BB1245_101 Depth=2
	s_or_b32 exec_lo, exec_lo, s34
	s_delay_alu instid0(SALU_CYCLE_1)
	s_mov_b32 s34, exec_lo
	v_cmpx_lt_u32_e64 v140, v165
	s_cbranch_execnz .LBB1245_272
.LBB1245_206:                           ;   in Loop: Header=BB1245_101 Depth=2
	s_or_b32 exec_lo, exec_lo, s34
	s_delay_alu instid0(SALU_CYCLE_1)
	s_mov_b32 s34, exec_lo
	v_cmpx_lt_u32_e64 v141, v165
	s_cbranch_execnz .LBB1245_273
.LBB1245_207:                           ;   in Loop: Header=BB1245_101 Depth=2
	s_or_b32 exec_lo, exec_lo, s34
	s_delay_alu instid0(SALU_CYCLE_1)
	s_mov_b32 s34, exec_lo
	v_cmpx_lt_u32_e64 v142, v165
	s_cbranch_execnz .LBB1245_274
.LBB1245_208:                           ;   in Loop: Header=BB1245_101 Depth=2
	s_or_b32 exec_lo, exec_lo, s34
	s_delay_alu instid0(SALU_CYCLE_1)
	s_mov_b32 s34, exec_lo
	v_cmpx_lt_u32_e64 v143, v165
	s_cbranch_execnz .LBB1245_275
.LBB1245_209:                           ;   in Loop: Header=BB1245_101 Depth=2
	s_or_b32 exec_lo, exec_lo, s34
	s_delay_alu instid0(SALU_CYCLE_1)
	s_mov_b32 s34, exec_lo
	v_cmpx_lt_u32_e64 v144, v165
	s_cbranch_execnz .LBB1245_276
.LBB1245_210:                           ;   in Loop: Header=BB1245_101 Depth=2
	s_or_b32 exec_lo, exec_lo, s34
	s_delay_alu instid0(SALU_CYCLE_1)
	s_mov_b32 s34, exec_lo
	v_cmpx_lt_u32_e64 v145, v165
	s_cbranch_execnz .LBB1245_277
.LBB1245_211:                           ;   in Loop: Header=BB1245_101 Depth=2
	s_or_b32 exec_lo, exec_lo, s34
	s_delay_alu instid0(SALU_CYCLE_1)
	s_mov_b32 s34, exec_lo
	v_cmpx_lt_u32_e64 v146, v165
	s_cbranch_execnz .LBB1245_278
.LBB1245_212:                           ;   in Loop: Header=BB1245_101 Depth=2
	s_or_b32 exec_lo, exec_lo, s34
	s_and_saveexec_b32 s34, vcc_lo
	s_cbranch_execnz .LBB1245_279
.LBB1245_213:                           ;   in Loop: Header=BB1245_101 Depth=2
	s_or_b32 exec_lo, exec_lo, s34
	s_and_saveexec_b32 s34, s15
	s_cbranch_execnz .LBB1245_280
.LBB1245_214:                           ;   in Loop: Header=BB1245_101 Depth=2
	s_or_b32 exec_lo, exec_lo, s34
	s_and_saveexec_b32 s34, s16
	s_cbranch_execnz .LBB1245_281
.LBB1245_215:                           ;   in Loop: Header=BB1245_101 Depth=2
	s_or_b32 exec_lo, exec_lo, s34
	s_and_saveexec_b32 s34, s17
	s_cbranch_execnz .LBB1245_282
.LBB1245_216:                           ;   in Loop: Header=BB1245_101 Depth=2
	s_or_b32 exec_lo, exec_lo, s34
	s_and_saveexec_b32 s34, s18
	s_cbranch_execnz .LBB1245_283
.LBB1245_217:                           ;   in Loop: Header=BB1245_101 Depth=2
	s_or_b32 exec_lo, exec_lo, s34
	s_and_saveexec_b32 s34, s19
	s_cbranch_execnz .LBB1245_284
.LBB1245_218:                           ;   in Loop: Header=BB1245_101 Depth=2
	s_or_b32 exec_lo, exec_lo, s34
	s_and_saveexec_b32 s34, s20
	s_cbranch_execnz .LBB1245_285
.LBB1245_219:                           ;   in Loop: Header=BB1245_101 Depth=2
	s_or_b32 exec_lo, exec_lo, s34
	s_and_saveexec_b32 s34, s21
	s_cbranch_execnz .LBB1245_286
.LBB1245_220:                           ;   in Loop: Header=BB1245_101 Depth=2
	s_or_b32 exec_lo, exec_lo, s34
	s_and_saveexec_b32 s34, s22
	s_cbranch_execnz .LBB1245_287
.LBB1245_221:                           ;   in Loop: Header=BB1245_101 Depth=2
	s_or_b32 exec_lo, exec_lo, s34
	s_and_saveexec_b32 s34, s23
	s_cbranch_execnz .LBB1245_288
.LBB1245_222:                           ;   in Loop: Header=BB1245_101 Depth=2
	s_or_b32 exec_lo, exec_lo, s34
	s_and_saveexec_b32 s34, s24
	s_cbranch_execnz .LBB1245_289
.LBB1245_223:                           ;   in Loop: Header=BB1245_101 Depth=2
	s_or_b32 exec_lo, exec_lo, s34
	s_and_saveexec_b32 s34, s25
	s_cbranch_execnz .LBB1245_290
.LBB1245_224:                           ;   in Loop: Header=BB1245_101 Depth=2
	s_or_b32 exec_lo, exec_lo, s34
	s_and_saveexec_b32 s34, s26
	s_cbranch_execnz .LBB1245_291
.LBB1245_225:                           ;   in Loop: Header=BB1245_101 Depth=2
	s_or_b32 exec_lo, exec_lo, s34
	s_and_saveexec_b32 s34, s27
	s_cbranch_execnz .LBB1245_292
.LBB1245_226:                           ;   in Loop: Header=BB1245_101 Depth=2
	s_or_b32 exec_lo, exec_lo, s34
	s_and_saveexec_b32 s34, s28
	s_cbranch_execnz .LBB1245_293
.LBB1245_227:                           ;   in Loop: Header=BB1245_101 Depth=2
	s_or_b32 exec_lo, exec_lo, s34
	s_and_saveexec_b32 s34, s29
	s_cbranch_execz .LBB1245_229
.LBB1245_228:                           ;   in Loop: Header=BB1245_101 Depth=2
	ds_load_b64 v[58:59], v123 offset:31744
	s_wait_dscnt 0x0
	v_cmp_ne_u64_e64 s30, s[42:43], v[58:59]
	s_delay_alu instid0(VALU_DEP_1) | instskip(SKIP_1) | instid1(VALU_DEP_1)
	v_cndmask_b32_e64 v59, 0x80000000, v59, s30
	v_cndmask_b32_e64 v58, 0, v58, s30
	v_lshrrev_b64 v[58:59], s54, v[58:59]
	s_delay_alu instid0(VALU_DEP_1)
	v_and_b32_e32 v149, s59, v58
.LBB1245_229:                           ;   in Loop: Header=BB1245_101 Depth=2
	s_or_b32 exec_lo, exec_lo, s34
	s_wait_loadcnt 0x0
	s_wait_storecnt 0x0
	s_barrier_signal -1
	s_barrier_wait -1
	ds_store_b64 v91, v[56:57] offset:1024
	ds_store_b64 v92, v[54:55] offset:1024
	;; [unrolled: 1-line block ×16, first 2 shown]
	s_wait_dscnt 0x0
	s_barrier_signal -1
	s_barrier_wait -1
	s_and_saveexec_b32 s30, vcc_lo
	s_cbranch_execnz .LBB1245_294
; %bb.230:                              ;   in Loop: Header=BB1245_101 Depth=2
	s_or_b32 exec_lo, exec_lo, s30
	s_and_saveexec_b32 s30, s15
	s_cbranch_execnz .LBB1245_295
.LBB1245_231:                           ;   in Loop: Header=BB1245_101 Depth=2
	s_or_b32 exec_lo, exec_lo, s30
	s_and_saveexec_b32 s15, s16
	s_cbranch_execnz .LBB1245_296
.LBB1245_232:                           ;   in Loop: Header=BB1245_101 Depth=2
	s_or_b32 exec_lo, exec_lo, s15
	s_and_saveexec_b32 s15, s17
	s_cbranch_execnz .LBB1245_297
.LBB1245_233:                           ;   in Loop: Header=BB1245_101 Depth=2
	s_or_b32 exec_lo, exec_lo, s15
	s_and_saveexec_b32 s15, s18
	s_cbranch_execnz .LBB1245_298
.LBB1245_234:                           ;   in Loop: Header=BB1245_101 Depth=2
	s_or_b32 exec_lo, exec_lo, s15
	s_and_saveexec_b32 s15, s19
	s_cbranch_execnz .LBB1245_299
.LBB1245_235:                           ;   in Loop: Header=BB1245_101 Depth=2
	s_or_b32 exec_lo, exec_lo, s15
	s_and_saveexec_b32 s15, s20
	s_cbranch_execnz .LBB1245_300
.LBB1245_236:                           ;   in Loop: Header=BB1245_101 Depth=2
	s_or_b32 exec_lo, exec_lo, s15
	s_and_saveexec_b32 s15, s21
	s_cbranch_execnz .LBB1245_301
.LBB1245_237:                           ;   in Loop: Header=BB1245_101 Depth=2
	s_or_b32 exec_lo, exec_lo, s15
	s_and_saveexec_b32 s15, s22
	s_cbranch_execnz .LBB1245_302
.LBB1245_238:                           ;   in Loop: Header=BB1245_101 Depth=2
	s_or_b32 exec_lo, exec_lo, s15
	s_and_saveexec_b32 s15, s23
	s_cbranch_execnz .LBB1245_303
.LBB1245_239:                           ;   in Loop: Header=BB1245_101 Depth=2
	s_or_b32 exec_lo, exec_lo, s15
	s_and_saveexec_b32 s15, s24
	s_cbranch_execnz .LBB1245_304
.LBB1245_240:                           ;   in Loop: Header=BB1245_101 Depth=2
	s_or_b32 exec_lo, exec_lo, s15
	s_and_saveexec_b32 s15, s25
	s_cbranch_execnz .LBB1245_305
.LBB1245_241:                           ;   in Loop: Header=BB1245_101 Depth=2
	s_or_b32 exec_lo, exec_lo, s15
	s_and_saveexec_b32 s15, s26
	s_cbranch_execnz .LBB1245_306
.LBB1245_242:                           ;   in Loop: Header=BB1245_101 Depth=2
	s_or_b32 exec_lo, exec_lo, s15
	s_and_saveexec_b32 s15, s27
	s_cbranch_execnz .LBB1245_307
.LBB1245_243:                           ;   in Loop: Header=BB1245_101 Depth=2
	s_or_b32 exec_lo, exec_lo, s15
	s_and_saveexec_b32 s15, s28
	s_cbranch_execnz .LBB1245_308
.LBB1245_244:                           ;   in Loop: Header=BB1245_101 Depth=2
	s_or_b32 exec_lo, exec_lo, s15
	s_and_saveexec_b32 s15, s29
	s_cbranch_execz .LBB1245_246
.LBB1245_245:                           ;   in Loop: Header=BB1245_101 Depth=2
	v_lshlrev_b32_e32 v58, 2, v149
	ds_load_b32 v60, v58
	ds_load_b64 v[58:59], v123 offset:31744
	s_wait_dscnt 0x1
	v_add_nc_u32_e32 v60, v60, v112
	s_wait_dscnt 0x0
	global_store_b64 v60, v[58:59], s[44:45] scale_offset
.LBB1245_246:                           ;   in Loop: Header=BB1245_101 Depth=2
	s_wait_xcnt 0x0
	s_or_b32 exec_lo, exec_lo, s15
	s_wait_storecnt 0x0
	s_barrier_signal -1
	s_barrier_wait -1
	s_and_saveexec_b32 s15, s0
	s_cbranch_execz .LBB1245_100
; %bb.247:                              ;   in Loop: Header=BB1245_101 Depth=2
	ds_load_b32 v58, v3
	s_wait_dscnt 0x0
	v_add_nc_u32_e32 v58, v58, v90
	ds_store_b32 v3, v58
	s_branch .LBB1245_100
.LBB1245_248:                           ;   in Loop: Header=BB1245_101 Depth=2
	ds_load_b64 v[58:59], v123 offset:1024
	s_wait_dscnt 0x0
	v_cmp_ne_u64_e64 s15, s[42:43], v[58:59]
	s_delay_alu instid0(VALU_DEP_1) | instskip(SKIP_2) | instid1(VALU_DEP_2)
	v_cndmask_b32_e64 v65, 0x80000000, v59, s15
	v_cndmask_b32_e64 v64, 0, v58, s15
	v_cmp_lt_i64_e64 s15, -1, v[58:59]
	v_lshrrev_b64 v[64:65], s54, v[64:65]
	v_ashrrev_i32_e32 v65, 31, v59
	s_delay_alu instid0(VALU_DEP_3) | instskip(NEXT) | instid1(VALU_DEP_2)
	v_cndmask_b32_e64 v66, 0x80000000, -1, s15
	v_not_b32_e32 v65, v65
	s_delay_alu instid0(VALU_DEP_4) | instskip(NEXT) | instid1(VALU_DEP_3)
	v_and_b32_e32 v64, s59, v64
	v_xor_b32_e32 v59, v66, v59
	s_delay_alu instid0(VALU_DEP_2)
	v_dual_lshlrev_b32 v64, 2, v64 :: v_dual_bitop2_b32 v58, v65, v58 bitop3:0x14
	ds_load_b32 v64, v64
	s_wait_dscnt 0x0
	v_add_nc_u32_e32 v64, v64, v2
	global_store_b64 v64, v[58:59], s[38:39] scale_offset
	s_wait_xcnt 0x0
	s_or_b32 exec_lo, exec_lo, s16
	v_cmp_lt_u32_e64 s15, v98, v165
	s_and_saveexec_b32 s17, s15
	s_cbranch_execz .LBB1245_181
.LBB1245_249:                           ;   in Loop: Header=BB1245_101 Depth=2
	ds_load_b64 v[58:59], v123 offset:3072
	s_wait_dscnt 0x0
	v_cmp_ne_u64_e64 s16, s[42:43], v[58:59]
	s_delay_alu instid0(VALU_DEP_1) | instskip(SKIP_2) | instid1(VALU_DEP_2)
	v_cndmask_b32_e64 v65, 0x80000000, v59, s16
	v_cndmask_b32_e64 v64, 0, v58, s16
	v_cmp_lt_i64_e64 s16, -1, v[58:59]
	v_lshrrev_b64 v[64:65], s54, v[64:65]
	v_ashrrev_i32_e32 v65, 31, v59
	s_delay_alu instid0(VALU_DEP_3) | instskip(NEXT) | instid1(VALU_DEP_2)
	v_cndmask_b32_e64 v66, 0x80000000, -1, s16
	v_not_b32_e32 v65, v65
	s_delay_alu instid0(VALU_DEP_4) | instskip(NEXT) | instid1(VALU_DEP_3)
	v_and_b32_e32 v64, s59, v64
	v_xor_b32_e32 v59, v66, v59
	s_delay_alu instid0(VALU_DEP_2)
	v_dual_lshlrev_b32 v64, 2, v64 :: v_dual_bitop2_b32 v58, v65, v58 bitop3:0x14
	ds_load_b32 v64, v64
	s_wait_dscnt 0x0
	v_add_nc_u32_e32 v64, v64, v98
	global_store_b64 v64, v[58:59], s[38:39] scale_offset
	s_wait_xcnt 0x0
	s_or_b32 exec_lo, exec_lo, s17
	v_cmp_lt_u32_e64 s16, v99, v165
	s_and_saveexec_b32 s18, s16
	s_cbranch_execz .LBB1245_182
.LBB1245_250:                           ;   in Loop: Header=BB1245_101 Depth=2
	ds_load_b64 v[58:59], v123 offset:5120
	s_wait_dscnt 0x0
	v_cmp_ne_u64_e64 s17, s[42:43], v[58:59]
	s_delay_alu instid0(VALU_DEP_1) | instskip(SKIP_2) | instid1(VALU_DEP_2)
	v_cndmask_b32_e64 v65, 0x80000000, v59, s17
	v_cndmask_b32_e64 v64, 0, v58, s17
	v_cmp_lt_i64_e64 s17, -1, v[58:59]
	v_lshrrev_b64 v[64:65], s54, v[64:65]
	v_ashrrev_i32_e32 v65, 31, v59
	s_delay_alu instid0(VALU_DEP_3) | instskip(NEXT) | instid1(VALU_DEP_2)
	v_cndmask_b32_e64 v66, 0x80000000, -1, s17
	v_not_b32_e32 v65, v65
	s_delay_alu instid0(VALU_DEP_4) | instskip(NEXT) | instid1(VALU_DEP_1)
	v_and_b32_e32 v64, s59, v64
	v_dual_lshlrev_b32 v64, 2, v64 :: v_dual_bitop2_b32 v59, v66, v59 bitop3:0x14
	ds_load_b32 v64, v64
	s_wait_dscnt 0x0
	v_dual_add_nc_u32 v64, v64, v99 :: v_dual_bitop2_b32 v58, v65, v58 bitop3:0x14
	global_store_b64 v64, v[58:59], s[38:39] scale_offset
	s_wait_xcnt 0x0
	s_or_b32 exec_lo, exec_lo, s18
	v_cmp_lt_u32_e64 s17, v100, v165
	s_and_saveexec_b32 s19, s17
	s_cbranch_execz .LBB1245_183
.LBB1245_251:                           ;   in Loop: Header=BB1245_101 Depth=2
	ds_load_b64 v[58:59], v123 offset:7168
	s_wait_dscnt 0x0
	v_cmp_ne_u64_e64 s18, s[42:43], v[58:59]
	s_delay_alu instid0(VALU_DEP_1) | instskip(SKIP_2) | instid1(VALU_DEP_2)
	v_cndmask_b32_e64 v65, 0x80000000, v59, s18
	v_cndmask_b32_e64 v64, 0, v58, s18
	v_cmp_lt_i64_e64 s18, -1, v[58:59]
	v_lshrrev_b64 v[64:65], s54, v[64:65]
	v_ashrrev_i32_e32 v65, 31, v59
	s_delay_alu instid0(VALU_DEP_3) | instskip(NEXT) | instid1(VALU_DEP_2)
	v_cndmask_b32_e64 v66, 0x80000000, -1, s18
	v_not_b32_e32 v65, v65
	s_delay_alu instid0(VALU_DEP_4) | instskip(NEXT) | instid1(VALU_DEP_1)
	v_and_b32_e32 v64, s59, v64
	v_dual_lshlrev_b32 v64, 2, v64 :: v_dual_bitop2_b32 v59, v66, v59 bitop3:0x14
	ds_load_b32 v64, v64
	s_wait_dscnt 0x0
	v_dual_add_nc_u32 v64, v64, v100 :: v_dual_bitop2_b32 v58, v65, v58 bitop3:0x14
	global_store_b64 v64, v[58:59], s[38:39] scale_offset
	s_wait_xcnt 0x0
	s_or_b32 exec_lo, exec_lo, s19
	v_cmp_lt_u32_e64 s18, v101, v165
	s_and_saveexec_b32 s20, s18
	s_cbranch_execz .LBB1245_184
.LBB1245_252:                           ;   in Loop: Header=BB1245_101 Depth=2
	ds_load_b64 v[58:59], v123 offset:9216
	s_wait_dscnt 0x0
	v_cmp_ne_u64_e64 s19, s[42:43], v[58:59]
	s_delay_alu instid0(VALU_DEP_1) | instskip(SKIP_2) | instid1(VALU_DEP_2)
	v_cndmask_b32_e64 v65, 0x80000000, v59, s19
	v_cndmask_b32_e64 v64, 0, v58, s19
	v_cmp_lt_i64_e64 s19, -1, v[58:59]
	v_lshrrev_b64 v[64:65], s54, v[64:65]
	v_ashrrev_i32_e32 v65, 31, v59
	s_delay_alu instid0(VALU_DEP_3) | instskip(NEXT) | instid1(VALU_DEP_2)
	v_cndmask_b32_e64 v66, 0x80000000, -1, s19
	v_not_b32_e32 v65, v65
	s_delay_alu instid0(VALU_DEP_4) | instskip(NEXT) | instid1(VALU_DEP_1)
	v_and_b32_e32 v64, s59, v64
	v_dual_lshlrev_b32 v64, 2, v64 :: v_dual_bitop2_b32 v59, v66, v59 bitop3:0x14
	ds_load_b32 v64, v64
	s_wait_dscnt 0x0
	v_dual_add_nc_u32 v64, v64, v101 :: v_dual_bitop2_b32 v58, v65, v58 bitop3:0x14
	global_store_b64 v64, v[58:59], s[38:39] scale_offset
	s_wait_xcnt 0x0
	s_or_b32 exec_lo, exec_lo, s20
	v_cmp_lt_u32_e64 s19, v102, v165
	s_and_saveexec_b32 s21, s19
	s_cbranch_execz .LBB1245_185
.LBB1245_253:                           ;   in Loop: Header=BB1245_101 Depth=2
	ds_load_b64 v[58:59], v123 offset:11264
	s_wait_dscnt 0x0
	v_cmp_ne_u64_e64 s20, s[42:43], v[58:59]
	s_delay_alu instid0(VALU_DEP_1) | instskip(SKIP_2) | instid1(VALU_DEP_2)
	v_cndmask_b32_e64 v65, 0x80000000, v59, s20
	v_cndmask_b32_e64 v64, 0, v58, s20
	v_cmp_lt_i64_e64 s20, -1, v[58:59]
	v_lshrrev_b64 v[64:65], s54, v[64:65]
	v_ashrrev_i32_e32 v65, 31, v59
	s_delay_alu instid0(VALU_DEP_3) | instskip(NEXT) | instid1(VALU_DEP_2)
	v_cndmask_b32_e64 v66, 0x80000000, -1, s20
	v_not_b32_e32 v65, v65
	s_delay_alu instid0(VALU_DEP_4) | instskip(NEXT) | instid1(VALU_DEP_3)
	v_and_b32_e32 v64, s59, v64
	v_xor_b32_e32 v59, v66, v59
	s_delay_alu instid0(VALU_DEP_2)
	v_dual_lshlrev_b32 v64, 2, v64 :: v_dual_bitop2_b32 v58, v65, v58 bitop3:0x14
	ds_load_b32 v64, v64
	s_wait_dscnt 0x0
	v_add_nc_u32_e32 v64, v64, v102
	global_store_b64 v64, v[58:59], s[38:39] scale_offset
	s_wait_xcnt 0x0
	s_or_b32 exec_lo, exec_lo, s21
	v_cmp_lt_u32_e64 s20, v103, v165
	s_and_saveexec_b32 s22, s20
	s_cbranch_execz .LBB1245_186
.LBB1245_254:                           ;   in Loop: Header=BB1245_101 Depth=2
	ds_load_b64 v[58:59], v123 offset:13312
	s_wait_dscnt 0x0
	v_cmp_ne_u64_e64 s21, s[42:43], v[58:59]
	s_delay_alu instid0(VALU_DEP_1) | instskip(SKIP_2) | instid1(VALU_DEP_2)
	v_cndmask_b32_e64 v65, 0x80000000, v59, s21
	v_cndmask_b32_e64 v64, 0, v58, s21
	v_cmp_lt_i64_e64 s21, -1, v[58:59]
	v_lshrrev_b64 v[64:65], s54, v[64:65]
	v_ashrrev_i32_e32 v65, 31, v59
	s_delay_alu instid0(VALU_DEP_3) | instskip(NEXT) | instid1(VALU_DEP_2)
	v_cndmask_b32_e64 v66, 0x80000000, -1, s21
	v_not_b32_e32 v65, v65
	s_delay_alu instid0(VALU_DEP_4) | instskip(NEXT) | instid1(VALU_DEP_1)
	v_and_b32_e32 v64, s59, v64
	v_dual_lshlrev_b32 v64, 2, v64 :: v_dual_bitop2_b32 v59, v66, v59 bitop3:0x14
	ds_load_b32 v64, v64
	s_wait_dscnt 0x0
	v_dual_add_nc_u32 v64, v64, v103 :: v_dual_bitop2_b32 v58, v65, v58 bitop3:0x14
	global_store_b64 v64, v[58:59], s[38:39] scale_offset
	s_wait_xcnt 0x0
	s_or_b32 exec_lo, exec_lo, s22
	v_cmp_lt_u32_e64 s21, v104, v165
	s_and_saveexec_b32 s23, s21
	s_cbranch_execz .LBB1245_187
.LBB1245_255:                           ;   in Loop: Header=BB1245_101 Depth=2
	ds_load_b64 v[58:59], v123 offset:15360
	s_wait_dscnt 0x0
	v_cmp_ne_u64_e64 s22, s[42:43], v[58:59]
	s_delay_alu instid0(VALU_DEP_1) | instskip(SKIP_2) | instid1(VALU_DEP_2)
	v_cndmask_b32_e64 v65, 0x80000000, v59, s22
	v_cndmask_b32_e64 v64, 0, v58, s22
	v_cmp_lt_i64_e64 s22, -1, v[58:59]
	v_lshrrev_b64 v[64:65], s54, v[64:65]
	v_ashrrev_i32_e32 v65, 31, v59
	s_delay_alu instid0(VALU_DEP_3) | instskip(NEXT) | instid1(VALU_DEP_2)
	v_cndmask_b32_e64 v66, 0x80000000, -1, s22
	v_not_b32_e32 v65, v65
	s_delay_alu instid0(VALU_DEP_4) | instskip(NEXT) | instid1(VALU_DEP_1)
	v_and_b32_e32 v64, s59, v64
	v_dual_lshlrev_b32 v64, 2, v64 :: v_dual_bitop2_b32 v59, v66, v59 bitop3:0x14
	ds_load_b32 v64, v64
	s_wait_dscnt 0x0
	v_dual_add_nc_u32 v64, v64, v104 :: v_dual_bitop2_b32 v58, v65, v58 bitop3:0x14
	global_store_b64 v64, v[58:59], s[38:39] scale_offset
	s_wait_xcnt 0x0
	s_or_b32 exec_lo, exec_lo, s23
	v_cmp_lt_u32_e64 s22, v105, v165
	s_and_saveexec_b32 s24, s22
	s_cbranch_execz .LBB1245_188
.LBB1245_256:                           ;   in Loop: Header=BB1245_101 Depth=2
	ds_load_b64 v[58:59], v123 offset:17408
	s_wait_dscnt 0x0
	v_cmp_ne_u64_e64 s23, s[42:43], v[58:59]
	s_delay_alu instid0(VALU_DEP_1) | instskip(SKIP_2) | instid1(VALU_DEP_2)
	v_cndmask_b32_e64 v65, 0x80000000, v59, s23
	v_cndmask_b32_e64 v64, 0, v58, s23
	v_cmp_lt_i64_e64 s23, -1, v[58:59]
	v_lshrrev_b64 v[64:65], s54, v[64:65]
	v_ashrrev_i32_e32 v65, 31, v59
	s_delay_alu instid0(VALU_DEP_3) | instskip(NEXT) | instid1(VALU_DEP_2)
	v_cndmask_b32_e64 v66, 0x80000000, -1, s23
	v_not_b32_e32 v65, v65
	s_delay_alu instid0(VALU_DEP_4) | instskip(NEXT) | instid1(VALU_DEP_1)
	v_and_b32_e32 v64, s59, v64
	v_dual_lshlrev_b32 v64, 2, v64 :: v_dual_bitop2_b32 v59, v66, v59 bitop3:0x14
	ds_load_b32 v64, v64
	s_wait_dscnt 0x0
	v_dual_add_nc_u32 v64, v64, v105 :: v_dual_bitop2_b32 v58, v65, v58 bitop3:0x14
	global_store_b64 v64, v[58:59], s[38:39] scale_offset
	s_wait_xcnt 0x0
	s_or_b32 exec_lo, exec_lo, s24
	v_cmp_lt_u32_e64 s23, v106, v165
	s_and_saveexec_b32 s25, s23
	s_cbranch_execz .LBB1245_189
.LBB1245_257:                           ;   in Loop: Header=BB1245_101 Depth=2
	ds_load_b64 v[58:59], v123 offset:19456
	s_wait_dscnt 0x0
	v_cmp_ne_u64_e64 s24, s[42:43], v[58:59]
	s_delay_alu instid0(VALU_DEP_1) | instskip(SKIP_2) | instid1(VALU_DEP_2)
	v_cndmask_b32_e64 v65, 0x80000000, v59, s24
	v_cndmask_b32_e64 v64, 0, v58, s24
	v_cmp_lt_i64_e64 s24, -1, v[58:59]
	v_lshrrev_b64 v[64:65], s54, v[64:65]
	v_ashrrev_i32_e32 v65, 31, v59
	s_delay_alu instid0(VALU_DEP_3) | instskip(NEXT) | instid1(VALU_DEP_2)
	v_cndmask_b32_e64 v66, 0x80000000, -1, s24
	v_not_b32_e32 v65, v65
	s_delay_alu instid0(VALU_DEP_4) | instskip(NEXT) | instid1(VALU_DEP_3)
	v_and_b32_e32 v64, s59, v64
	v_xor_b32_e32 v59, v66, v59
	s_delay_alu instid0(VALU_DEP_2)
	v_dual_lshlrev_b32 v64, 2, v64 :: v_dual_bitop2_b32 v58, v65, v58 bitop3:0x14
	ds_load_b32 v64, v64
	s_wait_dscnt 0x0
	v_add_nc_u32_e32 v64, v64, v106
	global_store_b64 v64, v[58:59], s[38:39] scale_offset
	s_wait_xcnt 0x0
	s_or_b32 exec_lo, exec_lo, s25
	v_cmp_lt_u32_e64 s24, v107, v165
	s_and_saveexec_b32 s26, s24
	s_cbranch_execz .LBB1245_190
.LBB1245_258:                           ;   in Loop: Header=BB1245_101 Depth=2
	ds_load_b64 v[58:59], v123 offset:21504
	s_wait_dscnt 0x0
	v_cmp_ne_u64_e64 s25, s[42:43], v[58:59]
	s_delay_alu instid0(VALU_DEP_1) | instskip(SKIP_2) | instid1(VALU_DEP_2)
	v_cndmask_b32_e64 v65, 0x80000000, v59, s25
	v_cndmask_b32_e64 v64, 0, v58, s25
	v_cmp_lt_i64_e64 s25, -1, v[58:59]
	v_lshrrev_b64 v[64:65], s54, v[64:65]
	v_ashrrev_i32_e32 v65, 31, v59
	s_delay_alu instid0(VALU_DEP_3) | instskip(NEXT) | instid1(VALU_DEP_2)
	v_cndmask_b32_e64 v66, 0x80000000, -1, s25
	v_not_b32_e32 v65, v65
	s_delay_alu instid0(VALU_DEP_4) | instskip(NEXT) | instid1(VALU_DEP_1)
	v_and_b32_e32 v64, s59, v64
	v_dual_lshlrev_b32 v64, 2, v64 :: v_dual_bitop2_b32 v59, v66, v59 bitop3:0x14
	ds_load_b32 v64, v64
	s_wait_dscnt 0x0
	v_dual_add_nc_u32 v64, v64, v107 :: v_dual_bitop2_b32 v58, v65, v58 bitop3:0x14
	global_store_b64 v64, v[58:59], s[38:39] scale_offset
	s_wait_xcnt 0x0
	s_or_b32 exec_lo, exec_lo, s26
	v_cmp_lt_u32_e64 s25, v108, v165
	s_and_saveexec_b32 s27, s25
	s_cbranch_execz .LBB1245_191
.LBB1245_259:                           ;   in Loop: Header=BB1245_101 Depth=2
	ds_load_b64 v[58:59], v123 offset:23552
	s_wait_dscnt 0x0
	v_cmp_ne_u64_e64 s26, s[42:43], v[58:59]
	s_delay_alu instid0(VALU_DEP_1) | instskip(SKIP_2) | instid1(VALU_DEP_2)
	v_cndmask_b32_e64 v65, 0x80000000, v59, s26
	v_cndmask_b32_e64 v64, 0, v58, s26
	v_cmp_lt_i64_e64 s26, -1, v[58:59]
	v_lshrrev_b64 v[64:65], s54, v[64:65]
	v_ashrrev_i32_e32 v65, 31, v59
	s_delay_alu instid0(VALU_DEP_3) | instskip(NEXT) | instid1(VALU_DEP_2)
	v_cndmask_b32_e64 v66, 0x80000000, -1, s26
	v_not_b32_e32 v65, v65
	s_delay_alu instid0(VALU_DEP_4) | instskip(NEXT) | instid1(VALU_DEP_1)
	v_and_b32_e32 v64, s59, v64
	v_dual_lshlrev_b32 v64, 2, v64 :: v_dual_bitop2_b32 v59, v66, v59 bitop3:0x14
	ds_load_b32 v64, v64
	s_wait_dscnt 0x0
	v_dual_add_nc_u32 v64, v64, v108 :: v_dual_bitop2_b32 v58, v65, v58 bitop3:0x14
	global_store_b64 v64, v[58:59], s[38:39] scale_offset
	s_wait_xcnt 0x0
	s_or_b32 exec_lo, exec_lo, s27
	v_cmp_lt_u32_e64 s26, v109, v165
	s_and_saveexec_b32 s28, s26
	s_cbranch_execz .LBB1245_192
.LBB1245_260:                           ;   in Loop: Header=BB1245_101 Depth=2
	ds_load_b64 v[58:59], v123 offset:25600
	s_wait_dscnt 0x0
	v_cmp_ne_u64_e64 s27, s[42:43], v[58:59]
	s_delay_alu instid0(VALU_DEP_1) | instskip(SKIP_2) | instid1(VALU_DEP_2)
	v_cndmask_b32_e64 v65, 0x80000000, v59, s27
	v_cndmask_b32_e64 v64, 0, v58, s27
	v_cmp_lt_i64_e64 s27, -1, v[58:59]
	v_lshrrev_b64 v[64:65], s54, v[64:65]
	v_ashrrev_i32_e32 v65, 31, v59
	s_delay_alu instid0(VALU_DEP_3) | instskip(NEXT) | instid1(VALU_DEP_2)
	v_cndmask_b32_e64 v66, 0x80000000, -1, s27
	v_not_b32_e32 v65, v65
	s_delay_alu instid0(VALU_DEP_4) | instskip(NEXT) | instid1(VALU_DEP_1)
	v_and_b32_e32 v64, s59, v64
	v_dual_lshlrev_b32 v64, 2, v64 :: v_dual_bitop2_b32 v59, v66, v59 bitop3:0x14
	ds_load_b32 v64, v64
	s_wait_dscnt 0x0
	v_dual_add_nc_u32 v64, v64, v109 :: v_dual_bitop2_b32 v58, v65, v58 bitop3:0x14
	global_store_b64 v64, v[58:59], s[38:39] scale_offset
	s_wait_xcnt 0x0
	s_or_b32 exec_lo, exec_lo, s28
	v_cmp_lt_u32_e64 s27, v110, v165
	s_and_saveexec_b32 s29, s27
	s_cbranch_execz .LBB1245_193
.LBB1245_261:                           ;   in Loop: Header=BB1245_101 Depth=2
	ds_load_b64 v[58:59], v123 offset:27648
	s_wait_dscnt 0x0
	v_cmp_ne_u64_e64 s28, s[42:43], v[58:59]
	s_delay_alu instid0(VALU_DEP_1) | instskip(SKIP_2) | instid1(VALU_DEP_2)
	v_cndmask_b32_e64 v65, 0x80000000, v59, s28
	v_cndmask_b32_e64 v64, 0, v58, s28
	v_cmp_lt_i64_e64 s28, -1, v[58:59]
	v_lshrrev_b64 v[64:65], s54, v[64:65]
	v_ashrrev_i32_e32 v65, 31, v59
	s_delay_alu instid0(VALU_DEP_3) | instskip(NEXT) | instid1(VALU_DEP_2)
	v_cndmask_b32_e64 v66, 0x80000000, -1, s28
	v_not_b32_e32 v65, v65
	s_delay_alu instid0(VALU_DEP_4) | instskip(NEXT) | instid1(VALU_DEP_3)
	v_and_b32_e32 v64, s59, v64
	v_xor_b32_e32 v59, v66, v59
	s_delay_alu instid0(VALU_DEP_2)
	v_dual_lshlrev_b32 v64, 2, v64 :: v_dual_bitop2_b32 v58, v65, v58 bitop3:0x14
	ds_load_b32 v64, v64
	s_wait_dscnt 0x0
	v_add_nc_u32_e32 v64, v64, v110
	global_store_b64 v64, v[58:59], s[38:39] scale_offset
	s_wait_xcnt 0x0
	s_or_b32 exec_lo, exec_lo, s29
	v_cmp_lt_u32_e64 s28, v111, v165
	s_and_saveexec_b32 s30, s28
	s_cbranch_execz .LBB1245_194
.LBB1245_262:                           ;   in Loop: Header=BB1245_101 Depth=2
	ds_load_b64 v[58:59], v123 offset:29696
	s_wait_dscnt 0x0
	v_cmp_ne_u64_e64 s29, s[42:43], v[58:59]
	s_delay_alu instid0(VALU_DEP_1) | instskip(SKIP_2) | instid1(VALU_DEP_2)
	v_cndmask_b32_e64 v65, 0x80000000, v59, s29
	v_cndmask_b32_e64 v64, 0, v58, s29
	v_cmp_lt_i64_e64 s29, -1, v[58:59]
	v_lshrrev_b64 v[64:65], s54, v[64:65]
	v_ashrrev_i32_e32 v65, 31, v59
	s_delay_alu instid0(VALU_DEP_3) | instskip(NEXT) | instid1(VALU_DEP_2)
	v_cndmask_b32_e64 v66, 0x80000000, -1, s29
	v_not_b32_e32 v65, v65
	s_delay_alu instid0(VALU_DEP_4) | instskip(NEXT) | instid1(VALU_DEP_1)
	v_and_b32_e32 v64, s59, v64
	v_dual_lshlrev_b32 v64, 2, v64 :: v_dual_bitop2_b32 v59, v66, v59 bitop3:0x14
	ds_load_b32 v64, v64
	s_wait_dscnt 0x0
	v_dual_add_nc_u32 v64, v64, v111 :: v_dual_bitop2_b32 v58, v65, v58 bitop3:0x14
	global_store_b64 v64, v[58:59], s[38:39] scale_offset
	s_wait_xcnt 0x0
	s_or_b32 exec_lo, exec_lo, s30
	v_cmp_lt_u32_e64 s29, v112, v165
	s_and_saveexec_b32 s62, s29
	s_cbranch_execnz .LBB1245_195
	s_branch .LBB1245_196
.LBB1245_263:                           ;   in Loop: Header=BB1245_101 Depth=2
	global_load_b64 v[56:57], v[58:59], off
	s_wait_xcnt 0x0
	s_or_b32 exec_lo, exec_lo, s30
	s_delay_alu instid0(SALU_CYCLE_1)
	s_mov_b32 s34, exec_lo
	v_cmpx_lt_u32_e64 v132, v165
	s_cbranch_execz .LBB1245_198
.LBB1245_264:                           ;   in Loop: Header=BB1245_101 Depth=2
	global_load_b64 v[54:55], v[58:59], off offset:256
	s_wait_xcnt 0x0
	s_or_b32 exec_lo, exec_lo, s34
	s_delay_alu instid0(SALU_CYCLE_1)
	s_mov_b32 s34, exec_lo
	v_cmpx_lt_u32_e64 v133, v165
	s_cbranch_execz .LBB1245_199
.LBB1245_265:                           ;   in Loop: Header=BB1245_101 Depth=2
	global_load_b64 v[52:53], v[58:59], off offset:512
	s_wait_xcnt 0x0
	s_or_b32 exec_lo, exec_lo, s34
	s_delay_alu instid0(SALU_CYCLE_1)
	s_mov_b32 s34, exec_lo
	v_cmpx_lt_u32_e64 v134, v165
	s_cbranch_execz .LBB1245_200
.LBB1245_266:                           ;   in Loop: Header=BB1245_101 Depth=2
	global_load_b64 v[50:51], v[58:59], off offset:768
	s_wait_xcnt 0x0
	s_or_b32 exec_lo, exec_lo, s34
	s_delay_alu instid0(SALU_CYCLE_1)
	s_mov_b32 s34, exec_lo
	v_cmpx_lt_u32_e64 v135, v165
	s_cbranch_execz .LBB1245_201
.LBB1245_267:                           ;   in Loop: Header=BB1245_101 Depth=2
	global_load_b64 v[48:49], v[58:59], off offset:1024
	s_wait_xcnt 0x0
	s_or_b32 exec_lo, exec_lo, s34
	s_delay_alu instid0(SALU_CYCLE_1)
	s_mov_b32 s34, exec_lo
	v_cmpx_lt_u32_e64 v136, v165
	s_cbranch_execz .LBB1245_202
.LBB1245_268:                           ;   in Loop: Header=BB1245_101 Depth=2
	global_load_b64 v[46:47], v[58:59], off offset:1280
	s_wait_xcnt 0x0
	s_or_b32 exec_lo, exec_lo, s34
	s_delay_alu instid0(SALU_CYCLE_1)
	s_mov_b32 s34, exec_lo
	v_cmpx_lt_u32_e64 v137, v165
	s_cbranch_execz .LBB1245_203
.LBB1245_269:                           ;   in Loop: Header=BB1245_101 Depth=2
	global_load_b64 v[44:45], v[58:59], off offset:1536
	s_wait_xcnt 0x0
	s_or_b32 exec_lo, exec_lo, s34
	s_delay_alu instid0(SALU_CYCLE_1)
	s_mov_b32 s34, exec_lo
	v_cmpx_lt_u32_e64 v138, v165
	s_cbranch_execz .LBB1245_204
.LBB1245_270:                           ;   in Loop: Header=BB1245_101 Depth=2
	global_load_b64 v[42:43], v[58:59], off offset:1792
	s_wait_xcnt 0x0
	s_or_b32 exec_lo, exec_lo, s34
	s_delay_alu instid0(SALU_CYCLE_1)
	s_mov_b32 s34, exec_lo
	v_cmpx_lt_u32_e64 v139, v165
	s_cbranch_execz .LBB1245_205
.LBB1245_271:                           ;   in Loop: Header=BB1245_101 Depth=2
	global_load_b64 v[40:41], v[58:59], off offset:2048
	s_wait_xcnt 0x0
	s_or_b32 exec_lo, exec_lo, s34
	s_delay_alu instid0(SALU_CYCLE_1)
	s_mov_b32 s34, exec_lo
	v_cmpx_lt_u32_e64 v140, v165
	s_cbranch_execz .LBB1245_206
.LBB1245_272:                           ;   in Loop: Header=BB1245_101 Depth=2
	global_load_b64 v[38:39], v[58:59], off offset:2304
	s_wait_xcnt 0x0
	s_or_b32 exec_lo, exec_lo, s34
	s_delay_alu instid0(SALU_CYCLE_1)
	s_mov_b32 s34, exec_lo
	v_cmpx_lt_u32_e64 v141, v165
	s_cbranch_execz .LBB1245_207
.LBB1245_273:                           ;   in Loop: Header=BB1245_101 Depth=2
	global_load_b64 v[36:37], v[58:59], off offset:2560
	s_wait_xcnt 0x0
	s_or_b32 exec_lo, exec_lo, s34
	s_delay_alu instid0(SALU_CYCLE_1)
	s_mov_b32 s34, exec_lo
	v_cmpx_lt_u32_e64 v142, v165
	s_cbranch_execz .LBB1245_208
.LBB1245_274:                           ;   in Loop: Header=BB1245_101 Depth=2
	global_load_b64 v[34:35], v[58:59], off offset:2816
	s_wait_xcnt 0x0
	s_or_b32 exec_lo, exec_lo, s34
	s_delay_alu instid0(SALU_CYCLE_1)
	s_mov_b32 s34, exec_lo
	v_cmpx_lt_u32_e64 v143, v165
	s_cbranch_execz .LBB1245_209
.LBB1245_275:                           ;   in Loop: Header=BB1245_101 Depth=2
	global_load_b64 v[32:33], v[58:59], off offset:3072
	s_wait_xcnt 0x0
	s_or_b32 exec_lo, exec_lo, s34
	s_delay_alu instid0(SALU_CYCLE_1)
	s_mov_b32 s34, exec_lo
	v_cmpx_lt_u32_e64 v144, v165
	s_cbranch_execz .LBB1245_210
.LBB1245_276:                           ;   in Loop: Header=BB1245_101 Depth=2
	global_load_b64 v[30:31], v[58:59], off offset:3328
	s_wait_xcnt 0x0
	s_or_b32 exec_lo, exec_lo, s34
	s_delay_alu instid0(SALU_CYCLE_1)
	s_mov_b32 s34, exec_lo
	v_cmpx_lt_u32_e64 v145, v165
	s_cbranch_execz .LBB1245_211
.LBB1245_277:                           ;   in Loop: Header=BB1245_101 Depth=2
	global_load_b64 v[28:29], v[58:59], off offset:3584
	s_wait_xcnt 0x0
	s_or_b32 exec_lo, exec_lo, s34
	s_delay_alu instid0(SALU_CYCLE_1)
	s_mov_b32 s34, exec_lo
	v_cmpx_lt_u32_e64 v146, v165
	s_cbranch_execz .LBB1245_212
.LBB1245_278:                           ;   in Loop: Header=BB1245_101 Depth=2
	global_load_b64 v[26:27], v[58:59], off offset:3840
	s_wait_xcnt 0x0
	s_or_b32 exec_lo, exec_lo, s34
	s_and_saveexec_b32 s34, vcc_lo
	s_cbranch_execz .LBB1245_213
.LBB1245_279:                           ;   in Loop: Header=BB1245_101 Depth=2
	ds_load_b64 v[58:59], v123 offset:1024
	s_wait_dscnt 0x0
	v_cmp_ne_u64_e64 s30, s[42:43], v[58:59]
	s_delay_alu instid0(VALU_DEP_1) | instskip(SKIP_1) | instid1(VALU_DEP_1)
	v_cndmask_b32_e64 v59, 0x80000000, v59, s30
	v_cndmask_b32_e64 v58, 0, v58, s30
	v_lshrrev_b64 v[58:59], s54, v[58:59]
	s_delay_alu instid0(VALU_DEP_1)
	v_and_b32_e32 v164, s59, v58
	s_or_b32 exec_lo, exec_lo, s34
	s_and_saveexec_b32 s34, s15
	s_cbranch_execz .LBB1245_214
.LBB1245_280:                           ;   in Loop: Header=BB1245_101 Depth=2
	ds_load_b64 v[58:59], v123 offset:3072
	s_wait_dscnt 0x0
	v_cmp_ne_u64_e64 s30, s[42:43], v[58:59]
	s_delay_alu instid0(VALU_DEP_1) | instskip(SKIP_1) | instid1(VALU_DEP_1)
	v_cndmask_b32_e64 v59, 0x80000000, v59, s30
	v_cndmask_b32_e64 v58, 0, v58, s30
	v_lshrrev_b64 v[58:59], s54, v[58:59]
	s_delay_alu instid0(VALU_DEP_1)
	v_and_b32_e32 v163, s59, v58
	s_or_b32 exec_lo, exec_lo, s34
	s_and_saveexec_b32 s34, s16
	s_cbranch_execz .LBB1245_215
.LBB1245_281:                           ;   in Loop: Header=BB1245_101 Depth=2
	ds_load_b64 v[58:59], v123 offset:5120
	s_wait_dscnt 0x0
	v_cmp_ne_u64_e64 s30, s[42:43], v[58:59]
	s_delay_alu instid0(VALU_DEP_1) | instskip(SKIP_1) | instid1(VALU_DEP_1)
	v_cndmask_b32_e64 v59, 0x80000000, v59, s30
	v_cndmask_b32_e64 v58, 0, v58, s30
	v_lshrrev_b64 v[58:59], s54, v[58:59]
	s_delay_alu instid0(VALU_DEP_1)
	v_and_b32_e32 v162, s59, v58
	s_or_b32 exec_lo, exec_lo, s34
	s_and_saveexec_b32 s34, s17
	s_cbranch_execz .LBB1245_216
.LBB1245_282:                           ;   in Loop: Header=BB1245_101 Depth=2
	ds_load_b64 v[58:59], v123 offset:7168
	s_wait_dscnt 0x0
	v_cmp_ne_u64_e64 s30, s[42:43], v[58:59]
	s_delay_alu instid0(VALU_DEP_1) | instskip(SKIP_1) | instid1(VALU_DEP_1)
	v_cndmask_b32_e64 v59, 0x80000000, v59, s30
	v_cndmask_b32_e64 v58, 0, v58, s30
	v_lshrrev_b64 v[58:59], s54, v[58:59]
	s_delay_alu instid0(VALU_DEP_1)
	v_and_b32_e32 v161, s59, v58
	s_or_b32 exec_lo, exec_lo, s34
	s_and_saveexec_b32 s34, s18
	s_cbranch_execz .LBB1245_217
.LBB1245_283:                           ;   in Loop: Header=BB1245_101 Depth=2
	ds_load_b64 v[58:59], v123 offset:9216
	s_wait_dscnt 0x0
	v_cmp_ne_u64_e64 s30, s[42:43], v[58:59]
	s_delay_alu instid0(VALU_DEP_1) | instskip(SKIP_1) | instid1(VALU_DEP_1)
	v_cndmask_b32_e64 v59, 0x80000000, v59, s30
	v_cndmask_b32_e64 v58, 0, v58, s30
	v_lshrrev_b64 v[58:59], s54, v[58:59]
	s_delay_alu instid0(VALU_DEP_1)
	v_and_b32_e32 v160, s59, v58
	s_or_b32 exec_lo, exec_lo, s34
	s_and_saveexec_b32 s34, s19
	s_cbranch_execz .LBB1245_218
.LBB1245_284:                           ;   in Loop: Header=BB1245_101 Depth=2
	ds_load_b64 v[58:59], v123 offset:11264
	s_wait_dscnt 0x0
	v_cmp_ne_u64_e64 s30, s[42:43], v[58:59]
	s_delay_alu instid0(VALU_DEP_1) | instskip(SKIP_1) | instid1(VALU_DEP_1)
	v_cndmask_b32_e64 v59, 0x80000000, v59, s30
	v_cndmask_b32_e64 v58, 0, v58, s30
	v_lshrrev_b64 v[58:59], s54, v[58:59]
	s_delay_alu instid0(VALU_DEP_1)
	v_and_b32_e32 v159, s59, v58
	s_or_b32 exec_lo, exec_lo, s34
	s_and_saveexec_b32 s34, s20
	s_cbranch_execz .LBB1245_219
.LBB1245_285:                           ;   in Loop: Header=BB1245_101 Depth=2
	ds_load_b64 v[58:59], v123 offset:13312
	s_wait_dscnt 0x0
	v_cmp_ne_u64_e64 s30, s[42:43], v[58:59]
	s_delay_alu instid0(VALU_DEP_1) | instskip(SKIP_1) | instid1(VALU_DEP_1)
	v_cndmask_b32_e64 v59, 0x80000000, v59, s30
	v_cndmask_b32_e64 v58, 0, v58, s30
	v_lshrrev_b64 v[58:59], s54, v[58:59]
	s_delay_alu instid0(VALU_DEP_1)
	v_and_b32_e32 v158, s59, v58
	s_or_b32 exec_lo, exec_lo, s34
	s_and_saveexec_b32 s34, s21
	s_cbranch_execz .LBB1245_220
.LBB1245_286:                           ;   in Loop: Header=BB1245_101 Depth=2
	ds_load_b64 v[58:59], v123 offset:15360
	s_wait_dscnt 0x0
	v_cmp_ne_u64_e64 s30, s[42:43], v[58:59]
	s_delay_alu instid0(VALU_DEP_1) | instskip(SKIP_1) | instid1(VALU_DEP_1)
	v_cndmask_b32_e64 v59, 0x80000000, v59, s30
	v_cndmask_b32_e64 v58, 0, v58, s30
	v_lshrrev_b64 v[58:59], s54, v[58:59]
	s_delay_alu instid0(VALU_DEP_1)
	v_and_b32_e32 v157, s59, v58
	s_or_b32 exec_lo, exec_lo, s34
	s_and_saveexec_b32 s34, s22
	s_cbranch_execz .LBB1245_221
.LBB1245_287:                           ;   in Loop: Header=BB1245_101 Depth=2
	ds_load_b64 v[58:59], v123 offset:17408
	s_wait_dscnt 0x0
	v_cmp_ne_u64_e64 s30, s[42:43], v[58:59]
	s_delay_alu instid0(VALU_DEP_1) | instskip(SKIP_1) | instid1(VALU_DEP_1)
	v_cndmask_b32_e64 v59, 0x80000000, v59, s30
	v_cndmask_b32_e64 v58, 0, v58, s30
	v_lshrrev_b64 v[58:59], s54, v[58:59]
	s_delay_alu instid0(VALU_DEP_1)
	v_and_b32_e32 v156, s59, v58
	s_or_b32 exec_lo, exec_lo, s34
	s_and_saveexec_b32 s34, s23
	s_cbranch_execz .LBB1245_222
.LBB1245_288:                           ;   in Loop: Header=BB1245_101 Depth=2
	ds_load_b64 v[58:59], v123 offset:19456
	s_wait_dscnt 0x0
	v_cmp_ne_u64_e64 s30, s[42:43], v[58:59]
	s_delay_alu instid0(VALU_DEP_1) | instskip(SKIP_1) | instid1(VALU_DEP_1)
	v_cndmask_b32_e64 v59, 0x80000000, v59, s30
	v_cndmask_b32_e64 v58, 0, v58, s30
	v_lshrrev_b64 v[58:59], s54, v[58:59]
	s_delay_alu instid0(VALU_DEP_1)
	v_and_b32_e32 v155, s59, v58
	s_or_b32 exec_lo, exec_lo, s34
	s_and_saveexec_b32 s34, s24
	s_cbranch_execz .LBB1245_223
.LBB1245_289:                           ;   in Loop: Header=BB1245_101 Depth=2
	ds_load_b64 v[58:59], v123 offset:21504
	s_wait_dscnt 0x0
	v_cmp_ne_u64_e64 s30, s[42:43], v[58:59]
	s_delay_alu instid0(VALU_DEP_1) | instskip(SKIP_1) | instid1(VALU_DEP_1)
	v_cndmask_b32_e64 v59, 0x80000000, v59, s30
	v_cndmask_b32_e64 v58, 0, v58, s30
	v_lshrrev_b64 v[58:59], s54, v[58:59]
	s_delay_alu instid0(VALU_DEP_1)
	v_and_b32_e32 v154, s59, v58
	s_or_b32 exec_lo, exec_lo, s34
	s_and_saveexec_b32 s34, s25
	s_cbranch_execz .LBB1245_224
.LBB1245_290:                           ;   in Loop: Header=BB1245_101 Depth=2
	ds_load_b64 v[58:59], v123 offset:23552
	s_wait_dscnt 0x0
	v_cmp_ne_u64_e64 s30, s[42:43], v[58:59]
	s_delay_alu instid0(VALU_DEP_1) | instskip(SKIP_1) | instid1(VALU_DEP_1)
	v_cndmask_b32_e64 v59, 0x80000000, v59, s30
	v_cndmask_b32_e64 v58, 0, v58, s30
	v_lshrrev_b64 v[58:59], s54, v[58:59]
	s_delay_alu instid0(VALU_DEP_1)
	v_and_b32_e32 v153, s59, v58
	s_or_b32 exec_lo, exec_lo, s34
	s_and_saveexec_b32 s34, s26
	s_cbranch_execz .LBB1245_225
.LBB1245_291:                           ;   in Loop: Header=BB1245_101 Depth=2
	ds_load_b64 v[58:59], v123 offset:25600
	s_wait_dscnt 0x0
	v_cmp_ne_u64_e64 s30, s[42:43], v[58:59]
	s_delay_alu instid0(VALU_DEP_1) | instskip(SKIP_1) | instid1(VALU_DEP_1)
	v_cndmask_b32_e64 v59, 0x80000000, v59, s30
	v_cndmask_b32_e64 v58, 0, v58, s30
	v_lshrrev_b64 v[58:59], s54, v[58:59]
	s_delay_alu instid0(VALU_DEP_1)
	v_and_b32_e32 v152, s59, v58
	s_or_b32 exec_lo, exec_lo, s34
	s_and_saveexec_b32 s34, s27
	s_cbranch_execz .LBB1245_226
.LBB1245_292:                           ;   in Loop: Header=BB1245_101 Depth=2
	ds_load_b64 v[58:59], v123 offset:27648
	s_wait_dscnt 0x0
	v_cmp_ne_u64_e64 s30, s[42:43], v[58:59]
	s_delay_alu instid0(VALU_DEP_1) | instskip(SKIP_1) | instid1(VALU_DEP_1)
	v_cndmask_b32_e64 v59, 0x80000000, v59, s30
	v_cndmask_b32_e64 v58, 0, v58, s30
	v_lshrrev_b64 v[58:59], s54, v[58:59]
	s_delay_alu instid0(VALU_DEP_1)
	v_and_b32_e32 v151, s59, v58
	s_or_b32 exec_lo, exec_lo, s34
	s_and_saveexec_b32 s34, s28
	s_cbranch_execz .LBB1245_227
.LBB1245_293:                           ;   in Loop: Header=BB1245_101 Depth=2
	ds_load_b64 v[58:59], v123 offset:29696
	s_wait_dscnt 0x0
	v_cmp_ne_u64_e64 s30, s[42:43], v[58:59]
	s_delay_alu instid0(VALU_DEP_1) | instskip(SKIP_1) | instid1(VALU_DEP_1)
	v_cndmask_b32_e64 v59, 0x80000000, v59, s30
	v_cndmask_b32_e64 v58, 0, v58, s30
	v_lshrrev_b64 v[58:59], s54, v[58:59]
	s_delay_alu instid0(VALU_DEP_1)
	v_and_b32_e32 v150, s59, v58
	s_or_b32 exec_lo, exec_lo, s34
	s_and_saveexec_b32 s34, s29
	s_cbranch_execnz .LBB1245_228
	s_branch .LBB1245_229
.LBB1245_294:                           ;   in Loop: Header=BB1245_101 Depth=2
	v_lshlrev_b32_e32 v58, 2, v164
	ds_load_b32 v60, v58
	ds_load_b64 v[58:59], v123 offset:1024
	s_wait_dscnt 0x1
	v_add_nc_u32_e32 v60, v60, v2
	s_wait_dscnt 0x0
	global_store_b64 v60, v[58:59], s[44:45] scale_offset
	s_wait_xcnt 0x0
	s_or_b32 exec_lo, exec_lo, s30
	s_and_saveexec_b32 s30, s15
	s_cbranch_execz .LBB1245_231
.LBB1245_295:                           ;   in Loop: Header=BB1245_101 Depth=2
	v_lshlrev_b32_e32 v58, 2, v163
	ds_load_b32 v60, v58
	ds_load_b64 v[58:59], v123 offset:3072
	s_wait_dscnt 0x1
	v_add_nc_u32_e32 v60, v60, v98
	s_wait_dscnt 0x0
	global_store_b64 v60, v[58:59], s[44:45] scale_offset
	s_wait_xcnt 0x0
	s_or_b32 exec_lo, exec_lo, s30
	s_and_saveexec_b32 s15, s16
	s_cbranch_execz .LBB1245_232
.LBB1245_296:                           ;   in Loop: Header=BB1245_101 Depth=2
	v_lshlrev_b32_e32 v58, 2, v162
	ds_load_b32 v60, v58
	ds_load_b64 v[58:59], v123 offset:5120
	s_wait_dscnt 0x1
	v_add_nc_u32_e32 v60, v60, v99
	s_wait_dscnt 0x0
	global_store_b64 v60, v[58:59], s[44:45] scale_offset
	s_wait_xcnt 0x0
	s_or_b32 exec_lo, exec_lo, s15
	s_and_saveexec_b32 s15, s17
	s_cbranch_execz .LBB1245_233
.LBB1245_297:                           ;   in Loop: Header=BB1245_101 Depth=2
	v_lshlrev_b32_e32 v58, 2, v161
	ds_load_b32 v60, v58
	ds_load_b64 v[58:59], v123 offset:7168
	s_wait_dscnt 0x1
	v_add_nc_u32_e32 v60, v60, v100
	s_wait_dscnt 0x0
	global_store_b64 v60, v[58:59], s[44:45] scale_offset
	s_wait_xcnt 0x0
	s_or_b32 exec_lo, exec_lo, s15
	s_and_saveexec_b32 s15, s18
	s_cbranch_execz .LBB1245_234
.LBB1245_298:                           ;   in Loop: Header=BB1245_101 Depth=2
	v_lshlrev_b32_e32 v58, 2, v160
	ds_load_b32 v60, v58
	ds_load_b64 v[58:59], v123 offset:9216
	s_wait_dscnt 0x1
	v_add_nc_u32_e32 v60, v60, v101
	s_wait_dscnt 0x0
	global_store_b64 v60, v[58:59], s[44:45] scale_offset
	s_wait_xcnt 0x0
	s_or_b32 exec_lo, exec_lo, s15
	s_and_saveexec_b32 s15, s19
	s_cbranch_execz .LBB1245_235
.LBB1245_299:                           ;   in Loop: Header=BB1245_101 Depth=2
	v_lshlrev_b32_e32 v58, 2, v159
	ds_load_b32 v60, v58
	ds_load_b64 v[58:59], v123 offset:11264
	s_wait_dscnt 0x1
	v_add_nc_u32_e32 v60, v60, v102
	s_wait_dscnt 0x0
	global_store_b64 v60, v[58:59], s[44:45] scale_offset
	s_wait_xcnt 0x0
	s_or_b32 exec_lo, exec_lo, s15
	s_and_saveexec_b32 s15, s20
	s_cbranch_execz .LBB1245_236
.LBB1245_300:                           ;   in Loop: Header=BB1245_101 Depth=2
	v_lshlrev_b32_e32 v58, 2, v158
	ds_load_b32 v60, v58
	ds_load_b64 v[58:59], v123 offset:13312
	s_wait_dscnt 0x1
	v_add_nc_u32_e32 v60, v60, v103
	s_wait_dscnt 0x0
	global_store_b64 v60, v[58:59], s[44:45] scale_offset
	s_wait_xcnt 0x0
	s_or_b32 exec_lo, exec_lo, s15
	s_and_saveexec_b32 s15, s21
	s_cbranch_execz .LBB1245_237
.LBB1245_301:                           ;   in Loop: Header=BB1245_101 Depth=2
	v_lshlrev_b32_e32 v58, 2, v157
	ds_load_b32 v60, v58
	ds_load_b64 v[58:59], v123 offset:15360
	s_wait_dscnt 0x1
	v_add_nc_u32_e32 v60, v60, v104
	s_wait_dscnt 0x0
	global_store_b64 v60, v[58:59], s[44:45] scale_offset
	s_wait_xcnt 0x0
	s_or_b32 exec_lo, exec_lo, s15
	s_and_saveexec_b32 s15, s22
	s_cbranch_execz .LBB1245_238
.LBB1245_302:                           ;   in Loop: Header=BB1245_101 Depth=2
	v_lshlrev_b32_e32 v58, 2, v156
	ds_load_b32 v60, v58
	ds_load_b64 v[58:59], v123 offset:17408
	s_wait_dscnt 0x1
	v_add_nc_u32_e32 v60, v60, v105
	s_wait_dscnt 0x0
	global_store_b64 v60, v[58:59], s[44:45] scale_offset
	s_wait_xcnt 0x0
	s_or_b32 exec_lo, exec_lo, s15
	s_and_saveexec_b32 s15, s23
	s_cbranch_execz .LBB1245_239
.LBB1245_303:                           ;   in Loop: Header=BB1245_101 Depth=2
	v_lshlrev_b32_e32 v58, 2, v155
	ds_load_b32 v60, v58
	ds_load_b64 v[58:59], v123 offset:19456
	s_wait_dscnt 0x1
	v_add_nc_u32_e32 v60, v60, v106
	s_wait_dscnt 0x0
	global_store_b64 v60, v[58:59], s[44:45] scale_offset
	s_wait_xcnt 0x0
	s_or_b32 exec_lo, exec_lo, s15
	s_and_saveexec_b32 s15, s24
	s_cbranch_execz .LBB1245_240
.LBB1245_304:                           ;   in Loop: Header=BB1245_101 Depth=2
	v_lshlrev_b32_e32 v58, 2, v154
	ds_load_b32 v60, v58
	ds_load_b64 v[58:59], v123 offset:21504
	s_wait_dscnt 0x1
	v_add_nc_u32_e32 v60, v60, v107
	s_wait_dscnt 0x0
	global_store_b64 v60, v[58:59], s[44:45] scale_offset
	s_wait_xcnt 0x0
	s_or_b32 exec_lo, exec_lo, s15
	s_and_saveexec_b32 s15, s25
	s_cbranch_execz .LBB1245_241
.LBB1245_305:                           ;   in Loop: Header=BB1245_101 Depth=2
	v_lshlrev_b32_e32 v58, 2, v153
	ds_load_b32 v60, v58
	ds_load_b64 v[58:59], v123 offset:23552
	s_wait_dscnt 0x1
	v_add_nc_u32_e32 v60, v60, v108
	s_wait_dscnt 0x0
	global_store_b64 v60, v[58:59], s[44:45] scale_offset
	s_wait_xcnt 0x0
	s_or_b32 exec_lo, exec_lo, s15
	s_and_saveexec_b32 s15, s26
	s_cbranch_execz .LBB1245_242
.LBB1245_306:                           ;   in Loop: Header=BB1245_101 Depth=2
	v_lshlrev_b32_e32 v58, 2, v152
	ds_load_b32 v60, v58
	ds_load_b64 v[58:59], v123 offset:25600
	s_wait_dscnt 0x1
	v_add_nc_u32_e32 v60, v60, v109
	s_wait_dscnt 0x0
	global_store_b64 v60, v[58:59], s[44:45] scale_offset
	s_wait_xcnt 0x0
	s_or_b32 exec_lo, exec_lo, s15
	s_and_saveexec_b32 s15, s27
	s_cbranch_execz .LBB1245_243
.LBB1245_307:                           ;   in Loop: Header=BB1245_101 Depth=2
	v_lshlrev_b32_e32 v58, 2, v151
	ds_load_b32 v60, v58
	ds_load_b64 v[58:59], v123 offset:27648
	s_wait_dscnt 0x1
	v_add_nc_u32_e32 v60, v60, v110
	s_wait_dscnt 0x0
	global_store_b64 v60, v[58:59], s[44:45] scale_offset
	s_wait_xcnt 0x0
	s_or_b32 exec_lo, exec_lo, s15
	s_and_saveexec_b32 s15, s28
	s_cbranch_execz .LBB1245_244
.LBB1245_308:                           ;   in Loop: Header=BB1245_101 Depth=2
	v_lshlrev_b32_e32 v58, 2, v150
	ds_load_b32 v60, v58
	ds_load_b64 v[58:59], v123 offset:29696
	s_wait_dscnt 0x1
	v_add_nc_u32_e32 v60, v60, v111
	s_wait_dscnt 0x0
	global_store_b64 v60, v[58:59], s[44:45] scale_offset
	s_wait_xcnt 0x0
	s_or_b32 exec_lo, exec_lo, s15
	s_and_saveexec_b32 s15, s29
	s_cbranch_execnz .LBB1245_245
	s_branch .LBB1245_246
.LBB1245_309:                           ;   in Loop: Header=BB1245_17 Depth=1
	s_wait_dscnt 0x0
	s_barrier_signal -1
	s_mov_b32 s7, 0
	s_barrier_wait -1
.LBB1245_310:                           ;   in Loop: Header=BB1245_17 Depth=1
	s_and_b32 vcc_lo, exec_lo, s7
	s_cbranch_vccz .LBB1245_602
; %bb.311:                              ;   in Loop: Header=BB1245_17 Depth=1
	s_mov_b32 s7, s58
	s_mov_b32 s34, s56
	s_barrier_signal -1
	s_barrier_wait -1
                                        ; implicit-def: $vgpr22_vgpr23
                                        ; implicit-def: $vgpr24_vgpr25
                                        ; implicit-def: $vgpr26_vgpr27
                                        ; implicit-def: $vgpr28_vgpr29
                                        ; implicit-def: $vgpr30_vgpr31
                                        ; implicit-def: $vgpr32_vgpr33
                                        ; implicit-def: $vgpr34_vgpr35
                                        ; implicit-def: $vgpr36_vgpr37
                                        ; implicit-def: $vgpr38_vgpr39
                                        ; implicit-def: $vgpr40_vgpr41
                                        ; implicit-def: $vgpr42_vgpr43
                                        ; implicit-def: $vgpr44_vgpr45
                                        ; implicit-def: $vgpr46_vgpr47
                                        ; implicit-def: $vgpr48_vgpr49
                                        ; implicit-def: $vgpr50_vgpr51
                                        ; implicit-def: $vgpr52_vgpr53
	s_branch .LBB1245_313
.LBB1245_312:                           ;   in Loop: Header=BB1245_313 Depth=2
	s_or_b32 exec_lo, exec_lo, s8
	s_addk_co_i32 s7, 0xf000
	s_cmp_ge_u32 s10, s51
	s_mov_b32 s34, s10
	s_cbranch_scc1 .LBB1245_381
.LBB1245_313:                           ;   Parent Loop BB1245_17 Depth=1
                                        ; =>  This Inner Loop Header: Depth=2
	s_add_co_i32 s10, s34, 0x1000
	s_mov_b32 s8, -1
	s_cmp_gt_u32 s10, s51
                                        ; implicit-def: $vgpr54_vgpr55
                                        ; implicit-def: $vgpr56_vgpr57
                                        ; implicit-def: $vgpr58_vgpr59
                                        ; implicit-def: $vgpr60_vgpr61
                                        ; implicit-def: $vgpr62_vgpr63
                                        ; implicit-def: $vgpr64_vgpr65
                                        ; implicit-def: $vgpr66_vgpr67
                                        ; implicit-def: $vgpr68_vgpr69
                                        ; implicit-def: $vgpr70_vgpr71
                                        ; implicit-def: $vgpr72_vgpr73
                                        ; implicit-def: $vgpr74_vgpr75
                                        ; implicit-def: $vgpr76_vgpr77
                                        ; implicit-def: $vgpr78_vgpr79
                                        ; implicit-def: $vgpr80_vgpr81
                                        ; implicit-def: $vgpr82_vgpr83
                                        ; implicit-def: $vgpr84_vgpr85
	s_cbranch_scc1 .LBB1245_315
; %bb.314:                              ;   in Loop: Header=BB1245_313 Depth=2
	v_lshl_add_u64 v[84:85], s[34:35], 3, v[10:11]
	s_mov_b32 s8, 0
	s_clause 0xf
	global_load_b64 v[54:55], v[84:85], off
	global_load_b64 v[56:57], v[84:85], off offset:2048
	global_load_b64 v[58:59], v[84:85], off offset:4096
	;; [unrolled: 1-line block ×15, first 2 shown]
.LBB1245_315:                           ;   in Loop: Header=BB1245_313 Depth=2
	s_and_not1_b32 vcc_lo, exec_lo, s8
	s_movk_i32 s8, 0x1000
	s_cbranch_vccnz .LBB1245_334
; %bb.316:                              ;   in Loop: Header=BB1245_313 Depth=2
	s_lshl_b64 s[8:9], s[34:35], 3
	s_mov_b32 s11, exec_lo
	s_add_nc_u64 s[8:9], s[38:39], s[8:9]
	s_wait_xcnt 0x0
	v_cmpx_gt_u32_e64 s7, v2
	s_cbranch_execnz .LBB1245_366
; %bb.317:                              ;   in Loop: Header=BB1245_313 Depth=2
	s_or_b32 exec_lo, exec_lo, s11
	s_delay_alu instid0(SALU_CYCLE_1)
	s_mov_b32 s11, exec_lo
	v_cmpx_gt_u32_e64 s7, v98
	s_cbranch_execnz .LBB1245_367
.LBB1245_318:                           ;   in Loop: Header=BB1245_313 Depth=2
	s_or_b32 exec_lo, exec_lo, s11
	s_delay_alu instid0(SALU_CYCLE_1)
	s_mov_b32 s11, exec_lo
	v_cmpx_gt_u32_e64 s7, v99
	s_cbranch_execnz .LBB1245_368
.LBB1245_319:                           ;   in Loop: Header=BB1245_313 Depth=2
	s_or_b32 exec_lo, exec_lo, s11
	s_delay_alu instid0(SALU_CYCLE_1)
	s_mov_b32 s11, exec_lo
	v_cmpx_gt_u32_e64 s7, v100
	s_cbranch_execnz .LBB1245_369
.LBB1245_320:                           ;   in Loop: Header=BB1245_313 Depth=2
	s_or_b32 exec_lo, exec_lo, s11
	s_delay_alu instid0(SALU_CYCLE_1)
	s_mov_b32 s11, exec_lo
	v_cmpx_gt_u32_e64 s7, v101
	s_cbranch_execnz .LBB1245_370
.LBB1245_321:                           ;   in Loop: Header=BB1245_313 Depth=2
	s_or_b32 exec_lo, exec_lo, s11
	s_delay_alu instid0(SALU_CYCLE_1)
	s_mov_b32 s11, exec_lo
	v_cmpx_gt_u32_e64 s7, v102
	s_cbranch_execnz .LBB1245_371
.LBB1245_322:                           ;   in Loop: Header=BB1245_313 Depth=2
	s_or_b32 exec_lo, exec_lo, s11
	s_delay_alu instid0(SALU_CYCLE_1)
	s_mov_b32 s11, exec_lo
	v_cmpx_gt_u32_e64 s7, v103
	s_cbranch_execnz .LBB1245_372
.LBB1245_323:                           ;   in Loop: Header=BB1245_313 Depth=2
	s_or_b32 exec_lo, exec_lo, s11
	s_delay_alu instid0(SALU_CYCLE_1)
	s_mov_b32 s11, exec_lo
	v_cmpx_gt_u32_e64 s7, v104
	s_cbranch_execnz .LBB1245_373
.LBB1245_324:                           ;   in Loop: Header=BB1245_313 Depth=2
	s_or_b32 exec_lo, exec_lo, s11
	s_delay_alu instid0(SALU_CYCLE_1)
	s_mov_b32 s11, exec_lo
	v_cmpx_gt_u32_e64 s7, v105
	s_cbranch_execnz .LBB1245_374
.LBB1245_325:                           ;   in Loop: Header=BB1245_313 Depth=2
	s_or_b32 exec_lo, exec_lo, s11
	s_delay_alu instid0(SALU_CYCLE_1)
	s_mov_b32 s11, exec_lo
	v_cmpx_gt_u32_e64 s7, v106
	s_cbranch_execnz .LBB1245_375
.LBB1245_326:                           ;   in Loop: Header=BB1245_313 Depth=2
	s_or_b32 exec_lo, exec_lo, s11
	s_delay_alu instid0(SALU_CYCLE_1)
	s_mov_b32 s11, exec_lo
	v_cmpx_gt_u32_e64 s7, v107
	s_cbranch_execnz .LBB1245_376
.LBB1245_327:                           ;   in Loop: Header=BB1245_313 Depth=2
	s_or_b32 exec_lo, exec_lo, s11
	s_delay_alu instid0(SALU_CYCLE_1)
	s_mov_b32 s11, exec_lo
	v_cmpx_gt_u32_e64 s7, v108
	s_cbranch_execnz .LBB1245_377
.LBB1245_328:                           ;   in Loop: Header=BB1245_313 Depth=2
	s_or_b32 exec_lo, exec_lo, s11
	s_delay_alu instid0(SALU_CYCLE_1)
	s_mov_b32 s11, exec_lo
	v_cmpx_gt_u32_e64 s7, v109
	s_cbranch_execnz .LBB1245_378
.LBB1245_329:                           ;   in Loop: Header=BB1245_313 Depth=2
	s_or_b32 exec_lo, exec_lo, s11
	s_delay_alu instid0(SALU_CYCLE_1)
	s_mov_b32 s11, exec_lo
	v_cmpx_gt_u32_e64 s7, v110
	s_cbranch_execnz .LBB1245_379
.LBB1245_330:                           ;   in Loop: Header=BB1245_313 Depth=2
	s_or_b32 exec_lo, exec_lo, s11
	s_delay_alu instid0(SALU_CYCLE_1)
	s_mov_b32 s11, exec_lo
	v_cmpx_gt_u32_e64 s7, v111
	s_cbranch_execnz .LBB1245_380
.LBB1245_331:                           ;   in Loop: Header=BB1245_313 Depth=2
	s_or_b32 exec_lo, exec_lo, s11
	s_delay_alu instid0(SALU_CYCLE_1)
	s_mov_b32 s11, exec_lo
	v_cmpx_gt_u32_e64 s7, v112
	s_cbranch_execz .LBB1245_333
.LBB1245_332:                           ;   in Loop: Header=BB1245_313 Depth=2
	global_load_b64 v[22:23], v2, s[8:9] offset:30720 scale_offset
.LBB1245_333:                           ;   in Loop: Header=BB1245_313 Depth=2
	s_wait_xcnt 0x0
	s_or_b32 exec_lo, exec_lo, s11
	s_wait_loadcnt 0x0
	v_mov_b64_e32 v[54:55], v[52:53]
	v_mov_b64_e32 v[56:57], v[50:51]
	;; [unrolled: 1-line block ×16, first 2 shown]
	s_mov_b32 s8, s7
.LBB1245_334:                           ;   in Loop: Header=BB1245_313 Depth=2
	s_wait_loadcnt 0x0
	s_delay_alu instid0(VALU_DEP_1) | instskip(NEXT) | instid1(VALU_DEP_3)
	v_mov_b64_e32 v[22:23], v[84:85]
	v_mov_b64_e32 v[24:25], v[82:83]
	;; [unrolled: 1-line block ×16, first 2 shown]
	s_mov_b32 s9, exec_lo
	s_wait_xcnt 0x0
	v_cmpx_gt_u32_e64 s8, v2
	s_cbranch_execnz .LBB1245_350
; %bb.335:                              ;   in Loop: Header=BB1245_313 Depth=2
	s_or_b32 exec_lo, exec_lo, s9
	s_delay_alu instid0(SALU_CYCLE_1)
	s_mov_b32 s9, exec_lo
	v_cmpx_gt_u32_e64 s8, v98
	s_cbranch_execnz .LBB1245_351
.LBB1245_336:                           ;   in Loop: Header=BB1245_313 Depth=2
	s_or_b32 exec_lo, exec_lo, s9
	s_delay_alu instid0(SALU_CYCLE_1)
	s_mov_b32 s9, exec_lo
	v_cmpx_gt_u32_e64 s8, v99
	s_cbranch_execnz .LBB1245_352
.LBB1245_337:                           ;   in Loop: Header=BB1245_313 Depth=2
	s_or_b32 exec_lo, exec_lo, s9
	s_delay_alu instid0(SALU_CYCLE_1)
	s_mov_b32 s9, exec_lo
	v_cmpx_gt_u32_e64 s8, v100
	s_cbranch_execnz .LBB1245_353
.LBB1245_338:                           ;   in Loop: Header=BB1245_313 Depth=2
	s_or_b32 exec_lo, exec_lo, s9
	s_delay_alu instid0(SALU_CYCLE_1)
	s_mov_b32 s9, exec_lo
	v_cmpx_gt_u32_e64 s8, v101
	s_cbranch_execnz .LBB1245_354
.LBB1245_339:                           ;   in Loop: Header=BB1245_313 Depth=2
	s_or_b32 exec_lo, exec_lo, s9
	s_delay_alu instid0(SALU_CYCLE_1)
	s_mov_b32 s9, exec_lo
	v_cmpx_gt_u32_e64 s8, v102
	s_cbranch_execnz .LBB1245_355
.LBB1245_340:                           ;   in Loop: Header=BB1245_313 Depth=2
	s_or_b32 exec_lo, exec_lo, s9
	s_delay_alu instid0(SALU_CYCLE_1)
	s_mov_b32 s9, exec_lo
	v_cmpx_gt_u32_e64 s8, v103
	s_cbranch_execnz .LBB1245_356
.LBB1245_341:                           ;   in Loop: Header=BB1245_313 Depth=2
	s_or_b32 exec_lo, exec_lo, s9
	s_delay_alu instid0(SALU_CYCLE_1)
	s_mov_b32 s9, exec_lo
	v_cmpx_gt_u32_e64 s8, v104
	s_cbranch_execnz .LBB1245_357
.LBB1245_342:                           ;   in Loop: Header=BB1245_313 Depth=2
	s_or_b32 exec_lo, exec_lo, s9
	s_delay_alu instid0(SALU_CYCLE_1)
	s_mov_b32 s9, exec_lo
	v_cmpx_gt_u32_e64 s8, v105
	s_cbranch_execnz .LBB1245_358
.LBB1245_343:                           ;   in Loop: Header=BB1245_313 Depth=2
	s_or_b32 exec_lo, exec_lo, s9
	s_delay_alu instid0(SALU_CYCLE_1)
	s_mov_b32 s9, exec_lo
	v_cmpx_gt_u32_e64 s8, v106
	s_cbranch_execnz .LBB1245_359
.LBB1245_344:                           ;   in Loop: Header=BB1245_313 Depth=2
	s_or_b32 exec_lo, exec_lo, s9
	s_delay_alu instid0(SALU_CYCLE_1)
	s_mov_b32 s9, exec_lo
	v_cmpx_gt_u32_e64 s8, v107
	s_cbranch_execnz .LBB1245_360
.LBB1245_345:                           ;   in Loop: Header=BB1245_313 Depth=2
	s_or_b32 exec_lo, exec_lo, s9
	s_delay_alu instid0(SALU_CYCLE_1)
	s_mov_b32 s9, exec_lo
	v_cmpx_gt_u32_e64 s8, v108
	s_cbranch_execnz .LBB1245_361
.LBB1245_346:                           ;   in Loop: Header=BB1245_313 Depth=2
	s_or_b32 exec_lo, exec_lo, s9
	s_delay_alu instid0(SALU_CYCLE_1)
	s_mov_b32 s9, exec_lo
	v_cmpx_gt_u32_e64 s8, v109
	s_cbranch_execnz .LBB1245_362
.LBB1245_347:                           ;   in Loop: Header=BB1245_313 Depth=2
	s_or_b32 exec_lo, exec_lo, s9
	s_delay_alu instid0(SALU_CYCLE_1)
	s_mov_b32 s9, exec_lo
	v_cmpx_gt_u32_e64 s8, v110
	s_cbranch_execnz .LBB1245_363
.LBB1245_348:                           ;   in Loop: Header=BB1245_313 Depth=2
	s_or_b32 exec_lo, exec_lo, s9
	s_delay_alu instid0(SALU_CYCLE_1)
	s_mov_b32 s9, exec_lo
	v_cmpx_gt_u32_e64 s8, v111
	s_cbranch_execnz .LBB1245_364
.LBB1245_349:                           ;   in Loop: Header=BB1245_313 Depth=2
	s_or_b32 exec_lo, exec_lo, s9
	v_cmp_gt_u32_e32 vcc_lo, s8, v112
	s_and_saveexec_b32 s8, vcc_lo
	s_cbranch_execz .LBB1245_312
	s_branch .LBB1245_365
.LBB1245_350:                           ;   in Loop: Header=BB1245_313 Depth=2
	s_delay_alu instid0(VALU_DEP_2) | instskip(SKIP_1) | instid1(VALU_DEP_1)
	v_cmp_lt_i64_e32 vcc_lo, -1, v[52:53]
	v_cndmask_b32_e64 v54, -1, 0x80000000, vcc_lo
	v_dual_ashrrev_i32 v56, 31, v53 :: v_dual_bitop2_b32 v55, v54, v53 bitop3:0x14
	s_delay_alu instid0(VALU_DEP_1) | instskip(NEXT) | instid1(VALU_DEP_1)
	v_xor_b32_e32 v54, v56, v52
	v_cmp_ne_u64_e32 vcc_lo, s[42:43], v[54:55]
	v_cndmask_b32_e32 v55, 0x80000000, v55, vcc_lo
	v_cndmask_b32_e32 v54, 0, v54, vcc_lo
	s_delay_alu instid0(VALU_DEP_1) | instskip(NEXT) | instid1(VALU_DEP_1)
	v_lshrrev_b64 v[54:55], s54, v[54:55]
	v_and_b32_e32 v54, s59, v54
	s_delay_alu instid0(VALU_DEP_1) | instskip(SKIP_2) | instid1(SALU_CYCLE_1)
	v_lshl_or_b32 v54, v54, 4, v113
	ds_add_u32 v54, v125
	s_or_b32 exec_lo, exec_lo, s9
	s_mov_b32 s9, exec_lo
	v_cmpx_gt_u32_e64 s8, v98
	s_cbranch_execz .LBB1245_336
.LBB1245_351:                           ;   in Loop: Header=BB1245_313 Depth=2
	v_cmp_lt_i64_e32 vcc_lo, -1, v[50:51]
	v_cndmask_b32_e64 v54, -1, 0x80000000, vcc_lo
	s_delay_alu instid0(VALU_DEP_1) | instskip(NEXT) | instid1(VALU_DEP_1)
	v_dual_ashrrev_i32 v56, 31, v51 :: v_dual_bitop2_b32 v55, v54, v51 bitop3:0x14
	v_xor_b32_e32 v54, v56, v50
	s_delay_alu instid0(VALU_DEP_1) | instskip(SKIP_2) | instid1(VALU_DEP_1)
	v_cmp_ne_u64_e32 vcc_lo, s[42:43], v[54:55]
	v_cndmask_b32_e32 v55, 0x80000000, v55, vcc_lo
	v_cndmask_b32_e32 v54, 0, v54, vcc_lo
	v_lshrrev_b64 v[54:55], s54, v[54:55]
	s_delay_alu instid0(VALU_DEP_1) | instskip(NEXT) | instid1(VALU_DEP_1)
	v_and_b32_e32 v54, s59, v54
	v_lshl_or_b32 v54, v54, 4, v113
	ds_add_u32 v54, v125
	s_or_b32 exec_lo, exec_lo, s9
	s_delay_alu instid0(SALU_CYCLE_1)
	s_mov_b32 s9, exec_lo
	v_cmpx_gt_u32_e64 s8, v99
	s_cbranch_execz .LBB1245_337
.LBB1245_352:                           ;   in Loop: Header=BB1245_313 Depth=2
	v_cmp_lt_i64_e32 vcc_lo, -1, v[48:49]
	v_cndmask_b32_e64 v54, -1, 0x80000000, vcc_lo
	s_delay_alu instid0(VALU_DEP_1) | instskip(NEXT) | instid1(VALU_DEP_1)
	v_dual_ashrrev_i32 v56, 31, v49 :: v_dual_bitop2_b32 v55, v54, v49 bitop3:0x14
	v_xor_b32_e32 v54, v56, v48
	s_delay_alu instid0(VALU_DEP_1) | instskip(SKIP_2) | instid1(VALU_DEP_1)
	v_cmp_ne_u64_e32 vcc_lo, s[42:43], v[54:55]
	v_cndmask_b32_e32 v55, 0x80000000, v55, vcc_lo
	v_cndmask_b32_e32 v54, 0, v54, vcc_lo
	v_lshrrev_b64 v[54:55], s54, v[54:55]
	s_delay_alu instid0(VALU_DEP_1) | instskip(NEXT) | instid1(VALU_DEP_1)
	v_and_b32_e32 v54, s59, v54
	v_lshl_or_b32 v54, v54, 4, v113
	ds_add_u32 v54, v125
	s_or_b32 exec_lo, exec_lo, s9
	s_delay_alu instid0(SALU_CYCLE_1)
	s_mov_b32 s9, exec_lo
	v_cmpx_gt_u32_e64 s8, v100
	s_cbranch_execz .LBB1245_338
.LBB1245_353:                           ;   in Loop: Header=BB1245_313 Depth=2
	v_cmp_lt_i64_e32 vcc_lo, -1, v[46:47]
	v_cndmask_b32_e64 v54, -1, 0x80000000, vcc_lo
	s_delay_alu instid0(VALU_DEP_1) | instskip(NEXT) | instid1(VALU_DEP_1)
	v_dual_ashrrev_i32 v56, 31, v47 :: v_dual_bitop2_b32 v55, v54, v47 bitop3:0x14
	v_xor_b32_e32 v54, v56, v46
	s_delay_alu instid0(VALU_DEP_1) | instskip(SKIP_2) | instid1(VALU_DEP_1)
	v_cmp_ne_u64_e32 vcc_lo, s[42:43], v[54:55]
	v_cndmask_b32_e32 v55, 0x80000000, v55, vcc_lo
	v_cndmask_b32_e32 v54, 0, v54, vcc_lo
	v_lshrrev_b64 v[54:55], s54, v[54:55]
	s_delay_alu instid0(VALU_DEP_1) | instskip(NEXT) | instid1(VALU_DEP_1)
	v_and_b32_e32 v54, s59, v54
	v_lshl_or_b32 v54, v54, 4, v113
	ds_add_u32 v54, v125
	s_or_b32 exec_lo, exec_lo, s9
	s_delay_alu instid0(SALU_CYCLE_1)
	s_mov_b32 s9, exec_lo
	v_cmpx_gt_u32_e64 s8, v101
	s_cbranch_execz .LBB1245_339
.LBB1245_354:                           ;   in Loop: Header=BB1245_313 Depth=2
	v_cmp_lt_i64_e32 vcc_lo, -1, v[44:45]
	v_cndmask_b32_e64 v54, -1, 0x80000000, vcc_lo
	s_delay_alu instid0(VALU_DEP_1) | instskip(NEXT) | instid1(VALU_DEP_1)
	v_dual_ashrrev_i32 v56, 31, v45 :: v_dual_bitop2_b32 v55, v54, v45 bitop3:0x14
	v_xor_b32_e32 v54, v56, v44
	s_delay_alu instid0(VALU_DEP_1) | instskip(SKIP_2) | instid1(VALU_DEP_1)
	v_cmp_ne_u64_e32 vcc_lo, s[42:43], v[54:55]
	v_cndmask_b32_e32 v55, 0x80000000, v55, vcc_lo
	v_cndmask_b32_e32 v54, 0, v54, vcc_lo
	v_lshrrev_b64 v[54:55], s54, v[54:55]
	s_delay_alu instid0(VALU_DEP_1) | instskip(NEXT) | instid1(VALU_DEP_1)
	v_and_b32_e32 v54, s59, v54
	v_lshl_or_b32 v54, v54, 4, v113
	ds_add_u32 v54, v125
	s_or_b32 exec_lo, exec_lo, s9
	s_delay_alu instid0(SALU_CYCLE_1)
	s_mov_b32 s9, exec_lo
	v_cmpx_gt_u32_e64 s8, v102
	s_cbranch_execz .LBB1245_340
.LBB1245_355:                           ;   in Loop: Header=BB1245_313 Depth=2
	v_cmp_lt_i64_e32 vcc_lo, -1, v[42:43]
	v_cndmask_b32_e64 v54, -1, 0x80000000, vcc_lo
	s_delay_alu instid0(VALU_DEP_1) | instskip(NEXT) | instid1(VALU_DEP_1)
	v_dual_ashrrev_i32 v56, 31, v43 :: v_dual_bitop2_b32 v55, v54, v43 bitop3:0x14
	v_xor_b32_e32 v54, v56, v42
	s_delay_alu instid0(VALU_DEP_1) | instskip(SKIP_2) | instid1(VALU_DEP_1)
	v_cmp_ne_u64_e32 vcc_lo, s[42:43], v[54:55]
	v_cndmask_b32_e32 v55, 0x80000000, v55, vcc_lo
	v_cndmask_b32_e32 v54, 0, v54, vcc_lo
	v_lshrrev_b64 v[54:55], s54, v[54:55]
	s_delay_alu instid0(VALU_DEP_1) | instskip(NEXT) | instid1(VALU_DEP_1)
	v_and_b32_e32 v54, s59, v54
	v_lshl_or_b32 v54, v54, 4, v113
	ds_add_u32 v54, v125
	s_or_b32 exec_lo, exec_lo, s9
	s_delay_alu instid0(SALU_CYCLE_1)
	s_mov_b32 s9, exec_lo
	v_cmpx_gt_u32_e64 s8, v103
	s_cbranch_execz .LBB1245_341
.LBB1245_356:                           ;   in Loop: Header=BB1245_313 Depth=2
	v_cmp_lt_i64_e32 vcc_lo, -1, v[40:41]
	v_cndmask_b32_e64 v54, -1, 0x80000000, vcc_lo
	s_delay_alu instid0(VALU_DEP_1) | instskip(NEXT) | instid1(VALU_DEP_1)
	v_dual_ashrrev_i32 v56, 31, v41 :: v_dual_bitop2_b32 v55, v54, v41 bitop3:0x14
	v_xor_b32_e32 v54, v56, v40
	s_delay_alu instid0(VALU_DEP_1) | instskip(SKIP_2) | instid1(VALU_DEP_1)
	v_cmp_ne_u64_e32 vcc_lo, s[42:43], v[54:55]
	v_cndmask_b32_e32 v55, 0x80000000, v55, vcc_lo
	v_cndmask_b32_e32 v54, 0, v54, vcc_lo
	v_lshrrev_b64 v[54:55], s54, v[54:55]
	s_delay_alu instid0(VALU_DEP_1) | instskip(NEXT) | instid1(VALU_DEP_1)
	v_and_b32_e32 v54, s59, v54
	v_lshl_or_b32 v54, v54, 4, v113
	ds_add_u32 v54, v125
	s_or_b32 exec_lo, exec_lo, s9
	s_delay_alu instid0(SALU_CYCLE_1)
	s_mov_b32 s9, exec_lo
	v_cmpx_gt_u32_e64 s8, v104
	s_cbranch_execz .LBB1245_342
.LBB1245_357:                           ;   in Loop: Header=BB1245_313 Depth=2
	v_cmp_lt_i64_e32 vcc_lo, -1, v[38:39]
	v_cndmask_b32_e64 v54, -1, 0x80000000, vcc_lo
	s_delay_alu instid0(VALU_DEP_1) | instskip(NEXT) | instid1(VALU_DEP_1)
	v_dual_ashrrev_i32 v56, 31, v39 :: v_dual_bitop2_b32 v55, v54, v39 bitop3:0x14
	v_xor_b32_e32 v54, v56, v38
	s_delay_alu instid0(VALU_DEP_1) | instskip(SKIP_2) | instid1(VALU_DEP_1)
	v_cmp_ne_u64_e32 vcc_lo, s[42:43], v[54:55]
	v_cndmask_b32_e32 v55, 0x80000000, v55, vcc_lo
	v_cndmask_b32_e32 v54, 0, v54, vcc_lo
	v_lshrrev_b64 v[54:55], s54, v[54:55]
	s_delay_alu instid0(VALU_DEP_1) | instskip(NEXT) | instid1(VALU_DEP_1)
	v_and_b32_e32 v54, s59, v54
	v_lshl_or_b32 v54, v54, 4, v113
	ds_add_u32 v54, v125
	s_or_b32 exec_lo, exec_lo, s9
	s_delay_alu instid0(SALU_CYCLE_1)
	s_mov_b32 s9, exec_lo
	v_cmpx_gt_u32_e64 s8, v105
	s_cbranch_execz .LBB1245_343
.LBB1245_358:                           ;   in Loop: Header=BB1245_313 Depth=2
	v_cmp_lt_i64_e32 vcc_lo, -1, v[36:37]
	v_cndmask_b32_e64 v54, -1, 0x80000000, vcc_lo
	s_delay_alu instid0(VALU_DEP_1) | instskip(NEXT) | instid1(VALU_DEP_1)
	v_dual_ashrrev_i32 v56, 31, v37 :: v_dual_bitop2_b32 v55, v54, v37 bitop3:0x14
	v_xor_b32_e32 v54, v56, v36
	s_delay_alu instid0(VALU_DEP_1) | instskip(SKIP_2) | instid1(VALU_DEP_1)
	v_cmp_ne_u64_e32 vcc_lo, s[42:43], v[54:55]
	v_cndmask_b32_e32 v55, 0x80000000, v55, vcc_lo
	v_cndmask_b32_e32 v54, 0, v54, vcc_lo
	v_lshrrev_b64 v[54:55], s54, v[54:55]
	s_delay_alu instid0(VALU_DEP_1) | instskip(NEXT) | instid1(VALU_DEP_1)
	v_and_b32_e32 v54, s59, v54
	v_lshl_or_b32 v54, v54, 4, v113
	ds_add_u32 v54, v125
	s_or_b32 exec_lo, exec_lo, s9
	s_delay_alu instid0(SALU_CYCLE_1)
	s_mov_b32 s9, exec_lo
	v_cmpx_gt_u32_e64 s8, v106
	s_cbranch_execz .LBB1245_344
.LBB1245_359:                           ;   in Loop: Header=BB1245_313 Depth=2
	v_cmp_lt_i64_e32 vcc_lo, -1, v[34:35]
	v_cndmask_b32_e64 v54, -1, 0x80000000, vcc_lo
	s_delay_alu instid0(VALU_DEP_1) | instskip(NEXT) | instid1(VALU_DEP_1)
	v_dual_ashrrev_i32 v56, 31, v35 :: v_dual_bitop2_b32 v55, v54, v35 bitop3:0x14
	v_xor_b32_e32 v54, v56, v34
	s_delay_alu instid0(VALU_DEP_1) | instskip(SKIP_2) | instid1(VALU_DEP_1)
	v_cmp_ne_u64_e32 vcc_lo, s[42:43], v[54:55]
	v_cndmask_b32_e32 v55, 0x80000000, v55, vcc_lo
	v_cndmask_b32_e32 v54, 0, v54, vcc_lo
	v_lshrrev_b64 v[54:55], s54, v[54:55]
	s_delay_alu instid0(VALU_DEP_1) | instskip(NEXT) | instid1(VALU_DEP_1)
	v_and_b32_e32 v54, s59, v54
	v_lshl_or_b32 v54, v54, 4, v113
	ds_add_u32 v54, v125
	s_or_b32 exec_lo, exec_lo, s9
	s_delay_alu instid0(SALU_CYCLE_1)
	s_mov_b32 s9, exec_lo
	v_cmpx_gt_u32_e64 s8, v107
	s_cbranch_execz .LBB1245_345
.LBB1245_360:                           ;   in Loop: Header=BB1245_313 Depth=2
	v_cmp_lt_i64_e32 vcc_lo, -1, v[32:33]
	v_cndmask_b32_e64 v54, -1, 0x80000000, vcc_lo
	s_delay_alu instid0(VALU_DEP_1) | instskip(NEXT) | instid1(VALU_DEP_1)
	v_dual_ashrrev_i32 v56, 31, v33 :: v_dual_bitop2_b32 v55, v54, v33 bitop3:0x14
	v_xor_b32_e32 v54, v56, v32
	s_delay_alu instid0(VALU_DEP_1) | instskip(SKIP_2) | instid1(VALU_DEP_1)
	v_cmp_ne_u64_e32 vcc_lo, s[42:43], v[54:55]
	v_cndmask_b32_e32 v55, 0x80000000, v55, vcc_lo
	v_cndmask_b32_e32 v54, 0, v54, vcc_lo
	v_lshrrev_b64 v[54:55], s54, v[54:55]
	s_delay_alu instid0(VALU_DEP_1) | instskip(NEXT) | instid1(VALU_DEP_1)
	v_and_b32_e32 v54, s59, v54
	v_lshl_or_b32 v54, v54, 4, v113
	ds_add_u32 v54, v125
	s_or_b32 exec_lo, exec_lo, s9
	s_delay_alu instid0(SALU_CYCLE_1)
	s_mov_b32 s9, exec_lo
	v_cmpx_gt_u32_e64 s8, v108
	s_cbranch_execz .LBB1245_346
.LBB1245_361:                           ;   in Loop: Header=BB1245_313 Depth=2
	v_cmp_lt_i64_e32 vcc_lo, -1, v[30:31]
	v_cndmask_b32_e64 v54, -1, 0x80000000, vcc_lo
	s_delay_alu instid0(VALU_DEP_1) | instskip(NEXT) | instid1(VALU_DEP_1)
	v_dual_ashrrev_i32 v56, 31, v31 :: v_dual_bitop2_b32 v55, v54, v31 bitop3:0x14
	v_xor_b32_e32 v54, v56, v30
	s_delay_alu instid0(VALU_DEP_1) | instskip(SKIP_2) | instid1(VALU_DEP_1)
	v_cmp_ne_u64_e32 vcc_lo, s[42:43], v[54:55]
	v_cndmask_b32_e32 v55, 0x80000000, v55, vcc_lo
	v_cndmask_b32_e32 v54, 0, v54, vcc_lo
	v_lshrrev_b64 v[54:55], s54, v[54:55]
	s_delay_alu instid0(VALU_DEP_1) | instskip(NEXT) | instid1(VALU_DEP_1)
	v_and_b32_e32 v54, s59, v54
	v_lshl_or_b32 v54, v54, 4, v113
	ds_add_u32 v54, v125
	s_or_b32 exec_lo, exec_lo, s9
	s_delay_alu instid0(SALU_CYCLE_1)
	s_mov_b32 s9, exec_lo
	v_cmpx_gt_u32_e64 s8, v109
	s_cbranch_execz .LBB1245_347
.LBB1245_362:                           ;   in Loop: Header=BB1245_313 Depth=2
	v_cmp_lt_i64_e32 vcc_lo, -1, v[28:29]
	v_cndmask_b32_e64 v54, -1, 0x80000000, vcc_lo
	s_delay_alu instid0(VALU_DEP_1) | instskip(NEXT) | instid1(VALU_DEP_1)
	v_dual_ashrrev_i32 v56, 31, v29 :: v_dual_bitop2_b32 v55, v54, v29 bitop3:0x14
	v_xor_b32_e32 v54, v56, v28
	s_delay_alu instid0(VALU_DEP_1) | instskip(SKIP_2) | instid1(VALU_DEP_1)
	v_cmp_ne_u64_e32 vcc_lo, s[42:43], v[54:55]
	v_cndmask_b32_e32 v55, 0x80000000, v55, vcc_lo
	v_cndmask_b32_e32 v54, 0, v54, vcc_lo
	v_lshrrev_b64 v[54:55], s54, v[54:55]
	s_delay_alu instid0(VALU_DEP_1) | instskip(NEXT) | instid1(VALU_DEP_1)
	v_and_b32_e32 v54, s59, v54
	v_lshl_or_b32 v54, v54, 4, v113
	ds_add_u32 v54, v125
	s_or_b32 exec_lo, exec_lo, s9
	s_delay_alu instid0(SALU_CYCLE_1)
	s_mov_b32 s9, exec_lo
	v_cmpx_gt_u32_e64 s8, v110
	s_cbranch_execz .LBB1245_348
.LBB1245_363:                           ;   in Loop: Header=BB1245_313 Depth=2
	v_cmp_lt_i64_e32 vcc_lo, -1, v[26:27]
	v_cndmask_b32_e64 v54, -1, 0x80000000, vcc_lo
	s_delay_alu instid0(VALU_DEP_1) | instskip(NEXT) | instid1(VALU_DEP_1)
	v_dual_ashrrev_i32 v56, 31, v27 :: v_dual_bitop2_b32 v55, v54, v27 bitop3:0x14
	v_xor_b32_e32 v54, v56, v26
	s_delay_alu instid0(VALU_DEP_1) | instskip(SKIP_2) | instid1(VALU_DEP_1)
	v_cmp_ne_u64_e32 vcc_lo, s[42:43], v[54:55]
	v_cndmask_b32_e32 v55, 0x80000000, v55, vcc_lo
	v_cndmask_b32_e32 v54, 0, v54, vcc_lo
	v_lshrrev_b64 v[54:55], s54, v[54:55]
	s_delay_alu instid0(VALU_DEP_1) | instskip(NEXT) | instid1(VALU_DEP_1)
	v_and_b32_e32 v54, s59, v54
	v_lshl_or_b32 v54, v54, 4, v113
	ds_add_u32 v54, v125
	s_or_b32 exec_lo, exec_lo, s9
	s_delay_alu instid0(SALU_CYCLE_1)
	s_mov_b32 s9, exec_lo
	v_cmpx_gt_u32_e64 s8, v111
	s_cbranch_execz .LBB1245_349
.LBB1245_364:                           ;   in Loop: Header=BB1245_313 Depth=2
	v_cmp_lt_i64_e32 vcc_lo, -1, v[24:25]
	v_cndmask_b32_e64 v54, -1, 0x80000000, vcc_lo
	s_delay_alu instid0(VALU_DEP_1) | instskip(NEXT) | instid1(VALU_DEP_1)
	v_dual_ashrrev_i32 v56, 31, v25 :: v_dual_bitop2_b32 v55, v54, v25 bitop3:0x14
	v_xor_b32_e32 v54, v56, v24
	s_delay_alu instid0(VALU_DEP_1) | instskip(SKIP_2) | instid1(VALU_DEP_1)
	v_cmp_ne_u64_e32 vcc_lo, s[42:43], v[54:55]
	v_cndmask_b32_e32 v55, 0x80000000, v55, vcc_lo
	v_cndmask_b32_e32 v54, 0, v54, vcc_lo
	v_lshrrev_b64 v[54:55], s54, v[54:55]
	s_delay_alu instid0(VALU_DEP_1) | instskip(NEXT) | instid1(VALU_DEP_1)
	v_and_b32_e32 v54, s59, v54
	v_lshl_or_b32 v54, v54, 4, v113
	ds_add_u32 v54, v125
	s_or_b32 exec_lo, exec_lo, s9
	v_cmp_gt_u32_e32 vcc_lo, s8, v112
	s_and_saveexec_b32 s8, vcc_lo
	s_cbranch_execz .LBB1245_312
.LBB1245_365:                           ;   in Loop: Header=BB1245_313 Depth=2
	v_cmp_lt_i64_e32 vcc_lo, -1, v[22:23]
	v_cndmask_b32_e64 v54, -1, 0x80000000, vcc_lo
	s_delay_alu instid0(VALU_DEP_1) | instskip(NEXT) | instid1(VALU_DEP_1)
	v_dual_ashrrev_i32 v56, 31, v23 :: v_dual_bitop2_b32 v55, v54, v23 bitop3:0x14
	v_xor_b32_e32 v54, v56, v22
	s_delay_alu instid0(VALU_DEP_1) | instskip(SKIP_2) | instid1(VALU_DEP_1)
	v_cmp_ne_u64_e32 vcc_lo, s[42:43], v[54:55]
	v_cndmask_b32_e32 v55, 0x80000000, v55, vcc_lo
	v_cndmask_b32_e32 v54, 0, v54, vcc_lo
	v_lshrrev_b64 v[54:55], s54, v[54:55]
	s_delay_alu instid0(VALU_DEP_1) | instskip(NEXT) | instid1(VALU_DEP_1)
	v_and_b32_e32 v54, s59, v54
	v_lshl_or_b32 v54, v54, 4, v113
	ds_add_u32 v54, v125
	s_branch .LBB1245_312
.LBB1245_366:                           ;   in Loop: Header=BB1245_313 Depth=2
	global_load_b64 v[52:53], v2, s[8:9] scale_offset
	s_wait_xcnt 0x0
	s_or_b32 exec_lo, exec_lo, s11
	s_delay_alu instid0(SALU_CYCLE_1)
	s_mov_b32 s11, exec_lo
	v_cmpx_gt_u32_e64 s7, v98
	s_cbranch_execz .LBB1245_318
.LBB1245_367:                           ;   in Loop: Header=BB1245_313 Depth=2
	global_load_b64 v[50:51], v2, s[8:9] offset:2048 scale_offset
	s_wait_xcnt 0x0
	s_or_b32 exec_lo, exec_lo, s11
	s_delay_alu instid0(SALU_CYCLE_1)
	s_mov_b32 s11, exec_lo
	v_cmpx_gt_u32_e64 s7, v99
	s_cbranch_execz .LBB1245_319
.LBB1245_368:                           ;   in Loop: Header=BB1245_313 Depth=2
	global_load_b64 v[48:49], v2, s[8:9] offset:4096 scale_offset
	s_wait_xcnt 0x0
	s_or_b32 exec_lo, exec_lo, s11
	s_delay_alu instid0(SALU_CYCLE_1)
	s_mov_b32 s11, exec_lo
	v_cmpx_gt_u32_e64 s7, v100
	s_cbranch_execz .LBB1245_320
.LBB1245_369:                           ;   in Loop: Header=BB1245_313 Depth=2
	global_load_b64 v[46:47], v2, s[8:9] offset:6144 scale_offset
	s_wait_xcnt 0x0
	s_or_b32 exec_lo, exec_lo, s11
	s_delay_alu instid0(SALU_CYCLE_1)
	s_mov_b32 s11, exec_lo
	v_cmpx_gt_u32_e64 s7, v101
	s_cbranch_execz .LBB1245_321
.LBB1245_370:                           ;   in Loop: Header=BB1245_313 Depth=2
	global_load_b64 v[44:45], v2, s[8:9] offset:8192 scale_offset
	s_wait_xcnt 0x0
	s_or_b32 exec_lo, exec_lo, s11
	s_delay_alu instid0(SALU_CYCLE_1)
	s_mov_b32 s11, exec_lo
	v_cmpx_gt_u32_e64 s7, v102
	s_cbranch_execz .LBB1245_322
.LBB1245_371:                           ;   in Loop: Header=BB1245_313 Depth=2
	global_load_b64 v[42:43], v2, s[8:9] offset:10240 scale_offset
	s_wait_xcnt 0x0
	s_or_b32 exec_lo, exec_lo, s11
	s_delay_alu instid0(SALU_CYCLE_1)
	s_mov_b32 s11, exec_lo
	v_cmpx_gt_u32_e64 s7, v103
	s_cbranch_execz .LBB1245_323
.LBB1245_372:                           ;   in Loop: Header=BB1245_313 Depth=2
	global_load_b64 v[40:41], v2, s[8:9] offset:12288 scale_offset
	s_wait_xcnt 0x0
	s_or_b32 exec_lo, exec_lo, s11
	s_delay_alu instid0(SALU_CYCLE_1)
	s_mov_b32 s11, exec_lo
	v_cmpx_gt_u32_e64 s7, v104
	s_cbranch_execz .LBB1245_324
.LBB1245_373:                           ;   in Loop: Header=BB1245_313 Depth=2
	global_load_b64 v[38:39], v2, s[8:9] offset:14336 scale_offset
	s_wait_xcnt 0x0
	s_or_b32 exec_lo, exec_lo, s11
	s_delay_alu instid0(SALU_CYCLE_1)
	s_mov_b32 s11, exec_lo
	v_cmpx_gt_u32_e64 s7, v105
	s_cbranch_execz .LBB1245_325
.LBB1245_374:                           ;   in Loop: Header=BB1245_313 Depth=2
	global_load_b64 v[36:37], v2, s[8:9] offset:16384 scale_offset
	s_wait_xcnt 0x0
	s_or_b32 exec_lo, exec_lo, s11
	s_delay_alu instid0(SALU_CYCLE_1)
	s_mov_b32 s11, exec_lo
	v_cmpx_gt_u32_e64 s7, v106
	s_cbranch_execz .LBB1245_326
.LBB1245_375:                           ;   in Loop: Header=BB1245_313 Depth=2
	global_load_b64 v[34:35], v2, s[8:9] offset:18432 scale_offset
	s_wait_xcnt 0x0
	s_or_b32 exec_lo, exec_lo, s11
	s_delay_alu instid0(SALU_CYCLE_1)
	s_mov_b32 s11, exec_lo
	v_cmpx_gt_u32_e64 s7, v107
	s_cbranch_execz .LBB1245_327
.LBB1245_376:                           ;   in Loop: Header=BB1245_313 Depth=2
	global_load_b64 v[32:33], v2, s[8:9] offset:20480 scale_offset
	s_wait_xcnt 0x0
	s_or_b32 exec_lo, exec_lo, s11
	s_delay_alu instid0(SALU_CYCLE_1)
	s_mov_b32 s11, exec_lo
	v_cmpx_gt_u32_e64 s7, v108
	s_cbranch_execz .LBB1245_328
.LBB1245_377:                           ;   in Loop: Header=BB1245_313 Depth=2
	global_load_b64 v[30:31], v2, s[8:9] offset:22528 scale_offset
	s_wait_xcnt 0x0
	s_or_b32 exec_lo, exec_lo, s11
	s_delay_alu instid0(SALU_CYCLE_1)
	s_mov_b32 s11, exec_lo
	v_cmpx_gt_u32_e64 s7, v109
	s_cbranch_execz .LBB1245_329
.LBB1245_378:                           ;   in Loop: Header=BB1245_313 Depth=2
	global_load_b64 v[28:29], v2, s[8:9] offset:24576 scale_offset
	s_wait_xcnt 0x0
	s_or_b32 exec_lo, exec_lo, s11
	s_delay_alu instid0(SALU_CYCLE_1)
	s_mov_b32 s11, exec_lo
	v_cmpx_gt_u32_e64 s7, v110
	s_cbranch_execz .LBB1245_330
.LBB1245_379:                           ;   in Loop: Header=BB1245_313 Depth=2
	global_load_b64 v[26:27], v2, s[8:9] offset:26624 scale_offset
	s_wait_xcnt 0x0
	s_or_b32 exec_lo, exec_lo, s11
	s_delay_alu instid0(SALU_CYCLE_1)
	s_mov_b32 s11, exec_lo
	v_cmpx_gt_u32_e64 s7, v111
	s_cbranch_execz .LBB1245_331
.LBB1245_380:                           ;   in Loop: Header=BB1245_313 Depth=2
	global_load_b64 v[24:25], v2, s[8:9] offset:28672 scale_offset
	s_wait_xcnt 0x0
	s_or_b32 exec_lo, exec_lo, s11
	s_delay_alu instid0(SALU_CYCLE_1)
	s_mov_b32 s11, exec_lo
	v_cmpx_gt_u32_e64 s7, v112
	s_cbranch_execnz .LBB1245_332
	s_branch .LBB1245_333
.LBB1245_381:                           ;   in Loop: Header=BB1245_17 Depth=1
	v_mov_b32_e32 v22, 0
	s_wait_dscnt 0x0
	s_barrier_signal -1
	s_barrier_wait -1
	s_and_saveexec_b32 s7, s0
	s_cbranch_execz .LBB1245_383
; %bb.382:                              ;   in Loop: Header=BB1245_17 Depth=1
	ds_load_2addr_b64 v[22:25], v115 offset1:1
	s_wait_dscnt 0x0
	v_add_nc_u32_e32 v22, v23, v22
	s_delay_alu instid0(VALU_DEP_1)
	v_add3_u32 v22, v22, v24, v25
.LBB1245_383:                           ;   in Loop: Header=BB1245_17 Depth=1
	s_or_b32 exec_lo, exec_lo, s7
	s_delay_alu instid0(VALU_DEP_1)
	v_mov_b32_dpp v23, v22 row_shr:1 row_mask:0xf bank_mask:0xf
	v_cmp_eq_u32_e64 s7, 0, v126
	v_cmp_lt_u32_e64 s8, 1, v126
	v_cmp_lt_u32_e64 s9, 3, v126
	;; [unrolled: 1-line block ×3, first 2 shown]
	v_cmp_eq_u32_e64 s11, 0, v128
	v_cndmask_b32_e64 v23, v23, 0, s7
	s_delay_alu instid0(VALU_DEP_1) | instskip(NEXT) | instid1(VALU_DEP_1)
	v_add_nc_u32_e32 v22, v23, v22
	v_mov_b32_dpp v23, v22 row_shr:2 row_mask:0xf bank_mask:0xf
	s_delay_alu instid0(VALU_DEP_1) | instskip(NEXT) | instid1(VALU_DEP_1)
	v_cndmask_b32_e64 v23, 0, v23, s8
	v_add_nc_u32_e32 v22, v22, v23
	s_delay_alu instid0(VALU_DEP_1) | instskip(NEXT) | instid1(VALU_DEP_1)
	v_mov_b32_dpp v23, v22 row_shr:4 row_mask:0xf bank_mask:0xf
	v_cndmask_b32_e64 v23, 0, v23, s9
	s_delay_alu instid0(VALU_DEP_1) | instskip(NEXT) | instid1(VALU_DEP_1)
	v_add_nc_u32_e32 v22, v22, v23
	v_mov_b32_dpp v23, v22 row_shr:8 row_mask:0xf bank_mask:0xf
	s_delay_alu instid0(VALU_DEP_1) | instskip(NEXT) | instid1(VALU_DEP_1)
	v_cndmask_b32_e64 v23, 0, v23, s10
	v_add_nc_u32_e32 v22, v22, v23
	ds_swizzle_b32 v23, v22 offset:swizzle(BROADCAST,32,15)
	s_wait_dscnt 0x0
	v_and_b32_e32 v23, v127, v23
	s_delay_alu instid0(VALU_DEP_1)
	v_add_nc_u32_e32 v22, v22, v23
	s_and_saveexec_b32 s12, s1
; %bb.384:                              ;   in Loop: Header=BB1245_17 Depth=1
	ds_store_b32 v116, v22
; %bb.385:                              ;   in Loop: Header=BB1245_17 Depth=1
	s_or_b32 exec_lo, exec_lo, s12
	s_wait_dscnt 0x0
	s_barrier_signal -1
	s_barrier_wait -1
	s_and_saveexec_b32 s12, s4
	s_cbranch_execz .LBB1245_387
; %bb.386:                              ;   in Loop: Header=BB1245_17 Depth=1
	ds_load_b32 v23, v117
	v_cmp_ne_u32_e32 vcc_lo, 0, v130
	s_wait_dscnt 0x0
	v_mov_b32_dpp v24, v23 row_shr:1 row_mask:0xf bank_mask:0xf
	s_delay_alu instid0(VALU_DEP_1) | instskip(SKIP_1) | instid1(VALU_DEP_2)
	v_cndmask_b32_e32 v24, 0, v24, vcc_lo
	v_cmp_lt_u32_e32 vcc_lo, 1, v130
	v_add_nc_u32_e32 v23, v24, v23
	s_delay_alu instid0(VALU_DEP_1) | instskip(NEXT) | instid1(VALU_DEP_1)
	v_mov_b32_dpp v24, v23 row_shr:2 row_mask:0xf bank_mask:0xf
	v_cndmask_b32_e32 v24, 0, v24, vcc_lo
	v_cmp_lt_u32_e32 vcc_lo, 3, v130
	s_delay_alu instid0(VALU_DEP_2) | instskip(NEXT) | instid1(VALU_DEP_1)
	v_add_nc_u32_e32 v23, v23, v24
	v_mov_b32_dpp v24, v23 row_shr:4 row_mask:0xf bank_mask:0xf
	s_delay_alu instid0(VALU_DEP_1) | instskip(NEXT) | instid1(VALU_DEP_1)
	v_cndmask_b32_e32 v24, 0, v24, vcc_lo
	v_add_nc_u32_e32 v23, v23, v24
	ds_store_b32 v117, v23
.LBB1245_387:                           ;   in Loop: Header=BB1245_17 Depth=1
	s_or_b32 exec_lo, exec_lo, s12
	v_mov_b32_e32 v23, 0
	s_wait_dscnt 0x0
	s_barrier_signal -1
	s_barrier_wait -1
	s_and_saveexec_b32 s12, s5
; %bb.388:                              ;   in Loop: Header=BB1245_17 Depth=1
	ds_load_b32 v23, v118
; %bb.389:                              ;   in Loop: Header=BB1245_17 Depth=1
	s_or_b32 exec_lo, exec_lo, s12
	v_cmp_gt_i32_e32 vcc_lo, 0, v131
	s_wait_dscnt 0x0
	s_barrier_signal -1
	s_barrier_wait -1
	v_cndmask_b32_e32 v24, v131, v124, vcc_lo
	s_delay_alu instid0(VALU_DEP_1)
	v_dual_add_nc_u32 v22, v23, v22 :: v_dual_lshlrev_b32 v147, 2, v24
	ds_bpermute_b32 v22, v147, v22
	s_and_saveexec_b32 s12, s0
	s_cbranch_execz .LBB1245_391
; %bb.390:                              ;   in Loop: Header=BB1245_17 Depth=1
	s_wait_dscnt 0x0
	v_cndmask_b32_e64 v22, v22, v23, s6
	s_delay_alu instid0(VALU_DEP_1)
	v_add_nc_u32_e32 v22, s56, v22
	ds_store_b32 v3, v22
.LBB1245_391:                           ;   in Loop: Header=BB1245_17 Depth=1
	s_or_b32 exec_lo, exec_lo, s12
	s_load_b64 s[12:13], s[52:53], 0x0
	v_add_nc_u64_e32 v[24:25], v[14:15], v[4:5]
	s_mov_b32 s60, s58
                                        ; implicit-def: $vgpr28_vgpr29
                                        ; implicit-def: $vgpr30_vgpr31
                                        ; implicit-def: $vgpr32_vgpr33
                                        ; implicit-def: $vgpr34_vgpr35
                                        ; implicit-def: $vgpr36_vgpr37
                                        ; implicit-def: $vgpr38_vgpr39
                                        ; implicit-def: $vgpr40_vgpr41
                                        ; implicit-def: $vgpr42_vgpr43
                                        ; implicit-def: $vgpr44_vgpr45
                                        ; implicit-def: $vgpr46_vgpr47
                                        ; implicit-def: $vgpr48_vgpr49
                                        ; implicit-def: $vgpr50_vgpr51
                                        ; implicit-def: $vgpr52_vgpr53
                                        ; implicit-def: $vgpr54_vgpr55
                                        ; implicit-def: $vgpr56_vgpr57
                                        ; implicit-def: $vgpr149
                                        ; implicit-def: $vgpr150
                                        ; implicit-def: $vgpr151
                                        ; implicit-def: $vgpr152
                                        ; implicit-def: $vgpr153
                                        ; implicit-def: $vgpr154
                                        ; implicit-def: $vgpr155
                                        ; implicit-def: $vgpr156
                                        ; implicit-def: $vgpr157
                                        ; implicit-def: $vgpr158
                                        ; implicit-def: $vgpr159
                                        ; implicit-def: $vgpr160
                                        ; implicit-def: $vgpr161
                                        ; implicit-def: $vgpr162
                                        ; implicit-def: $vgpr163
                                        ; implicit-def: $vgpr164
	s_wait_kmcnt 0x0
	s_cmp_lt_u32 s33, s12
	s_cselect_b32 s34, 12, 18
	s_cmp_lt_u32 s31, s13
	s_mov_b32 s13, s35
	s_cselect_b32 s12, 14, 20
	s_delay_alu instid0(SALU_CYCLE_1)
	s_add_nc_u64 s[12:13], s[52:53], s[12:13]
	s_load_u16 s14, s[12:13], 0x0
	s_wait_xcnt 0x0
	s_add_nc_u64 s[12:13], s[52:53], s[34:35]
	s_mov_b32 s34, s56
	s_load_u16 s12, s[12:13], 0x0
	s_wait_xcnt 0x0
	v_cmp_lt_u32_e64 s13, 1, v130
	s_wait_dscnt 0x0
	s_wait_kmcnt 0x0
	v_mad_u32_u24 v22, v119, s14, v121
	v_cmp_lt_u32_e64 s14, 3, v130
	s_delay_alu instid0(VALU_DEP_2) | instskip(SKIP_1) | instid1(VALU_DEP_2)
	v_mad_u32 v22, v22, s12, v2
	v_cmp_eq_u32_e64 s12, 0, v130
	v_lshrrev_b32_e32 v26, 3, v22
	v_add_nc_u64_e32 v[22:23], v[12:13], v[4:5]
	s_delay_alu instid0(VALU_DEP_2)
	v_and_b32_e32 v148, 0x1ffffffc, v26
                                        ; implicit-def: $vgpr26_vgpr27
	s_branch .LBB1245_393
.LBB1245_392:                           ;   in Loop: Header=BB1245_393 Depth=2
	s_or_b32 exec_lo, exec_lo, s15
	s_addk_co_i32 s60, 0xf000
	s_cmp_lt_u32 s61, s51
	s_mov_b32 s34, s61
	s_cbranch_scc0 .LBB1245_601
.LBB1245_393:                           ;   Parent Loop BB1245_17 Depth=1
                                        ; =>  This Inner Loop Header: Depth=2
	s_add_co_i32 s61, s34, 0x1000
	s_delay_alu instid0(SALU_CYCLE_1)
	s_cmp_gt_u32 s61, s51
	s_cbranch_scc1 .LBB1245_395
; %bb.394:                              ;   in Loop: Header=BB1245_393 Depth=2
	v_lshl_add_u64 v[66:67], s[34:35], 3, v[24:25]
	s_mov_b32 s15, -1
	s_clause 0xe
	global_load_b64 v[58:59], v[66:67], off
	global_load_b64 v[60:61], v[66:67], off offset:256
	global_load_b64 v[62:63], v[66:67], off offset:512
	;; [unrolled: 1-line block ×14, first 2 shown]
	s_movk_i32 s16, 0x1000
	s_cbranch_execz .LBB1245_396
	s_branch .LBB1245_427
.LBB1245_395:                           ;   in Loop: Header=BB1245_393 Depth=2
	s_mov_b32 s15, 0
                                        ; implicit-def: $vgpr58_vgpr59
                                        ; implicit-def: $vgpr60_vgpr61
                                        ; implicit-def: $vgpr62_vgpr63
                                        ; implicit-def: $vgpr70_vgpr71
                                        ; implicit-def: $vgpr74_vgpr75
                                        ; implicit-def: $vgpr78_vgpr79
                                        ; implicit-def: $vgpr82_vgpr83
                                        ; implicit-def: $vgpr86_vgpr87
                                        ; implicit-def: $vgpr88_vgpr89
                                        ; implicit-def: $vgpr84_vgpr85
                                        ; implicit-def: $vgpr80_vgpr81
                                        ; implicit-def: $vgpr76_vgpr77
                                        ; implicit-def: $vgpr72_vgpr73
                                        ; implicit-def: $vgpr68_vgpr69
                                        ; implicit-def: $vgpr64_vgpr65
	s_movk_i32 s16, 0x1000
.LBB1245_396:                           ;   in Loop: Header=BB1245_393 Depth=2
	s_wait_loadcnt 0xd
	v_mov_b64_e32 v[60:61], 0x7fffffffffffffff
	v_mov_b64_e32 v[58:59], 0x7fffffffffffffff
	s_wait_xcnt 0x0
	v_lshl_add_u64 v[66:67], s[34:35], 3, v[24:25]
	s_mov_b32 s15, exec_lo
	v_cmpx_gt_u32_e64 s60, v129
	s_cbranch_execz .LBB1245_398
; %bb.397:                              ;   in Loop: Header=BB1245_393 Depth=2
	global_load_b64 v[58:59], v[66:67], off
.LBB1245_398:                           ;   in Loop: Header=BB1245_393 Depth=2
	s_wait_xcnt 0x0
	s_or_b32 exec_lo, exec_lo, s15
	s_delay_alu instid0(SALU_CYCLE_1)
	s_mov_b32 s15, exec_lo
	v_cmpx_gt_u32_e64 s60, v132
	s_cbranch_execz .LBB1245_400
; %bb.399:                              ;   in Loop: Header=BB1245_393 Depth=2
	global_load_b64 v[60:61], v[66:67], off offset:256
.LBB1245_400:                           ;   in Loop: Header=BB1245_393 Depth=2
	s_wait_xcnt 0x0
	s_or_b32 exec_lo, exec_lo, s15
	s_wait_loadcnt 0xb
	v_mov_b64_e32 v[70:71], 0x7fffffffffffffff
	v_mov_b64_e32 v[62:63], 0x7fffffffffffffff
	s_mov_b32 s15, exec_lo
	v_cmpx_gt_u32_e64 s60, v133
	s_cbranch_execz .LBB1245_402
; %bb.401:                              ;   in Loop: Header=BB1245_393 Depth=2
	global_load_b64 v[62:63], v[66:67], off offset:512
.LBB1245_402:                           ;   in Loop: Header=BB1245_393 Depth=2
	s_wait_xcnt 0x0
	s_or_b32 exec_lo, exec_lo, s15
	s_delay_alu instid0(SALU_CYCLE_1)
	s_mov_b32 s15, exec_lo
	v_cmpx_gt_u32_e64 s60, v134
	s_cbranch_execz .LBB1245_404
; %bb.403:                              ;   in Loop: Header=BB1245_393 Depth=2
	global_load_b64 v[70:71], v[66:67], off offset:768
.LBB1245_404:                           ;   in Loop: Header=BB1245_393 Depth=2
	s_wait_xcnt 0x0
	s_or_b32 exec_lo, exec_lo, s15
	s_wait_loadcnt 0x9
	v_mov_b64_e32 v[78:79], 0x7fffffffffffffff
	v_mov_b64_e32 v[74:75], 0x7fffffffffffffff
	s_mov_b32 s15, exec_lo
	v_cmpx_gt_u32_e64 s60, v135
	s_cbranch_execz .LBB1245_406
; %bb.405:                              ;   in Loop: Header=BB1245_393 Depth=2
	global_load_b64 v[74:75], v[66:67], off offset:1024
.LBB1245_406:                           ;   in Loop: Header=BB1245_393 Depth=2
	;; [unrolled: 20-line block ×6, first 2 shown]
	s_wait_xcnt 0x0
	s_or_b32 exec_lo, exec_lo, s15
	s_delay_alu instid0(SALU_CYCLE_1)
	s_mov_b32 s15, exec_lo
	v_cmpx_gt_u32_e64 s60, v144
	s_cbranch_execz .LBB1245_424
; %bb.423:                              ;   in Loop: Header=BB1245_393 Depth=2
	global_load_b64 v[68:69], v[66:67], off offset:3328
.LBB1245_424:                           ;   in Loop: Header=BB1245_393 Depth=2
	s_wait_xcnt 0x0
	s_or_b32 exec_lo, exec_lo, s15
	s_wait_loadcnt 0x0
	v_mov_b64_e32 v[64:65], 0x7fffffffffffffff
	s_mov_b32 s15, exec_lo
	v_cmpx_gt_u32_e64 s60, v145
	s_cbranch_execz .LBB1245_426
; %bb.425:                              ;   in Loop: Header=BB1245_393 Depth=2
	global_load_b64 v[64:65], v[66:67], off offset:3584
.LBB1245_426:                           ;   in Loop: Header=BB1245_393 Depth=2
	s_wait_xcnt 0x0
	s_or_b32 exec_lo, exec_lo, s15
	v_cmp_gt_u32_e64 s15, s60, v146
	s_sub_co_i32 s16, s51, s34
.LBB1245_427:                           ;   in Loop: Header=BB1245_393 Depth=2
	s_wait_xcnt 0x0
	v_mov_b64_e32 v[66:67], 0x7fffffffffffffff
	v_mov_b32_e32 v165, s60
	s_and_saveexec_b32 s17, s15
	s_cbranch_execz .LBB1245_429
; %bb.428:                              ;   in Loop: Header=BB1245_393 Depth=2
	v_lshl_add_u64 v[66:67], s[34:35], 3, v[24:25]
	v_mov_b32_e32 v165, s16
	global_load_b64 v[66:67], v[66:67], off offset:3840
.LBB1245_429:                           ;   in Loop: Header=BB1245_393 Depth=2
	s_wait_xcnt 0x0
	s_or_b32 exec_lo, exec_lo, s17
	s_wait_loadcnt 0xe
	v_cmp_lt_i64_e32 vcc_lo, -1, v[58:59]
	v_add_nc_u32_e32 v168, 0x420, v120
	v_add_nc_u32_e32 v169, 0x428, v120
	;; [unrolled: 1-line block ×3, first 2 shown]
	v_cndmask_b32_e64 v90, -1, 0x80000000, vcc_lo
	s_delay_alu instid0(VALU_DEP_1) | instskip(NEXT) | instid1(VALU_DEP_1)
	v_dual_ashrrev_i32 v91, 31, v59 :: v_dual_bitop2_b32 v59, v90, v59 bitop3:0x14
	v_xor_b32_e32 v58, v91, v58
	s_delay_alu instid0(VALU_DEP_1) | instskip(SKIP_2) | instid1(VALU_DEP_1)
	v_cmp_ne_u64_e32 vcc_lo, s[42:43], v[58:59]
	v_cndmask_b32_e32 v91, 0x80000000, v59, vcc_lo
	v_cndmask_b32_e32 v90, 0, v58, vcc_lo
	v_lshrrev_b64 v[90:91], s54, v[90:91]
	s_delay_alu instid0(VALU_DEP_1) | instskip(SKIP_1) | instid1(VALU_DEP_2)
	v_bitop3_b32 v91, v90, 1, s59 bitop3:0x80
	v_and_b32_e32 v92, s59, v90
	v_add_co_u32 v90, s15, v91, -1
	s_delay_alu instid0(VALU_DEP_1) | instskip(NEXT) | instid1(VALU_DEP_3)
	v_cndmask_b32_e64 v91, 0, 1, s15
	v_lshlrev_b32_e32 v93, 30, v92
	s_delay_alu instid0(VALU_DEP_2) | instskip(NEXT) | instid1(VALU_DEP_2)
	v_cmp_ne_u32_e32 vcc_lo, 0, v91
	v_not_b32_e32 v91, v93
	v_cmp_gt_i32_e64 s15, 0, v93
	s_delay_alu instid0(VALU_DEP_2) | instskip(SKIP_3) | instid1(VALU_DEP_4)
	v_dual_ashrrev_i32 v91, 31, v91 :: v_dual_lshlrev_b32 v94, 29, v92
	v_dual_lshlrev_b32 v95, 28, v92 :: v_dual_lshlrev_b32 v96, 27, v92
	v_dual_lshlrev_b32 v97, 26, v92 :: v_dual_lshlrev_b32 v166, 25, v92
	v_lshlrev_b32_e32 v167, 24, v92
	v_cmp_gt_i32_e64 s16, 0, v94
	v_not_b32_e32 v93, v94
	v_not_b32_e32 v94, v95
	v_cmp_gt_i32_e64 s17, 0, v95
	v_cmp_gt_i32_e64 s18, 0, v96
	v_not_b32_e32 v95, v96
	v_not_b32_e32 v96, v97
	v_dual_ashrrev_i32 v93, 31, v93 :: v_dual_bitop2_b32 v90, vcc_lo, v90 bitop3:0x14
	v_dual_ashrrev_i32 v94, 31, v94 :: v_dual_bitop2_b32 v91, s15, v91 bitop3:0x14
	v_cmp_gt_i32_e64 s19, 0, v97
	v_cmp_gt_i32_e64 s20, 0, v166
	v_not_b32_e32 v97, v166
	v_not_b32_e32 v166, v167
	v_dual_ashrrev_i32 v95, 31, v95 :: v_dual_ashrrev_i32 v96, 31, v96
	v_xor_b32_e32 v93, s16, v93
	v_xor_b32_e32 v94, s17, v94
	v_bitop3_b32 v90, v90, v91, exec_lo bitop3:0x80
	v_cmp_gt_i32_e64 s21, 0, v167
	v_dual_ashrrev_i32 v91, 31, v97 :: v_dual_ashrrev_i32 v97, 31, v166
	v_xor_b32_e32 v95, s18, v95
	v_xor_b32_e32 v96, s19, v96
	v_bitop3_b32 v90, v90, v94, v93 bitop3:0x80
	s_delay_alu instid0(VALU_DEP_4) | instskip(SKIP_2) | instid1(VALU_DEP_4)
	v_xor_b32_e32 v91, s20, v91
	v_xor_b32_e32 v93, s21, v97
	v_add_nc_u32_e32 v167, 0x438, v120
	v_bitop3_b32 v90, v90, v96, v95 bitop3:0x80
	ds_store_2addr_b32 v167, v5, v5 offset1:1
	ds_store_2addr_b32 v168, v5, v5 offset1:1
	;; [unrolled: 1-line block ×4, first 2 shown]
	ds_store_b32 v120, v5 offset:1088
	v_bitop3_b32 v90, v90, v93, v91 bitop3:0x80
	v_mul_u32_u24_e32 v91, 36, v92
	s_wait_loadcnt_dscnt 0x0
	s_barrier_signal -1
	s_barrier_wait -1
	v_mbcnt_lo_u32_b32 v166, v90, 0
	v_cmp_ne_u32_e64 s15, 0, v90
	v_add_nc_u32_e32 v171, v148, v91
	s_delay_alu instid0(VALU_DEP_3) | instskip(SKIP_1) | instid1(SALU_CYCLE_1)
	v_cmp_eq_u32_e32 vcc_lo, 0, v166
	; wave barrier
	s_and_b32 s16, s15, vcc_lo
	s_and_saveexec_b32 s15, s16
; %bb.430:                              ;   in Loop: Header=BB1245_393 Depth=2
	v_bcnt_u32_b32 v90, v90, 0
	ds_store_b32 v171, v90 offset:1056
; %bb.431:                              ;   in Loop: Header=BB1245_393 Depth=2
	s_or_b32 exec_lo, exec_lo, s15
	v_cmp_lt_i64_e32 vcc_lo, -1, v[60:61]
	; wave barrier
	v_cndmask_b32_e64 v90, -1, 0x80000000, vcc_lo
	s_delay_alu instid0(VALU_DEP_1) | instskip(NEXT) | instid1(VALU_DEP_1)
	v_dual_ashrrev_i32 v91, 31, v61 :: v_dual_bitop2_b32 v61, v90, v61 bitop3:0x14
	v_xor_b32_e32 v60, v91, v60
	s_delay_alu instid0(VALU_DEP_1) | instskip(SKIP_2) | instid1(VALU_DEP_1)
	v_cmp_ne_u64_e32 vcc_lo, s[42:43], v[60:61]
	v_cndmask_b32_e32 v91, 0x80000000, v61, vcc_lo
	v_cndmask_b32_e32 v90, 0, v60, vcc_lo
	v_lshrrev_b64 v[90:91], s54, v[90:91]
	s_delay_alu instid0(VALU_DEP_1) | instskip(SKIP_1) | instid1(VALU_DEP_2)
	v_bitop3_b32 v91, v90, 1, s59 bitop3:0x80
	v_and_b32_e32 v92, s59, v90
	v_add_co_u32 v90, s15, v91, -1
	s_delay_alu instid0(VALU_DEP_1) | instskip(NEXT) | instid1(VALU_DEP_3)
	v_cndmask_b32_e64 v91, 0, 1, s15
	v_dual_lshlrev_b32 v93, 30, v92 :: v_dual_lshlrev_b32 v95, 28, v92
	v_dual_lshlrev_b32 v94, 29, v92 :: v_dual_lshlrev_b32 v96, 27, v92
	s_delay_alu instid0(VALU_DEP_3) | instskip(NEXT) | instid1(VALU_DEP_3)
	v_cmp_ne_u32_e32 vcc_lo, 0, v91
	v_cmp_gt_i32_e64 s15, 0, v93
	v_not_b32_e32 v91, v93
	s_delay_alu instid0(VALU_DEP_4) | instskip(SKIP_4) | instid1(VALU_DEP_4)
	v_cmp_gt_i32_e64 s16, 0, v94
	v_not_b32_e32 v93, v94
	v_cmp_gt_i32_e64 s17, 0, v95
	v_not_b32_e32 v94, v95
	v_not_b32_e32 v95, v96
	v_dual_ashrrev_i32 v91, 31, v91 :: v_dual_ashrrev_i32 v93, 31, v93
	s_delay_alu instid0(VALU_DEP_2) | instskip(SKIP_4) | instid1(VALU_DEP_4)
	v_dual_ashrrev_i32 v94, 31, v94 :: v_dual_ashrrev_i32 v95, 31, v95
	v_dual_lshlrev_b32 v97, 26, v92 :: v_dual_lshlrev_b32 v172, 25, v92
	v_lshlrev_b32_e32 v173, 24, v92
	v_cmp_gt_i32_e64 s18, 0, v96
	v_xor_b32_e32 v91, s15, v91
	v_not_b32_e32 v96, v97
	v_xor_b32_e32 v90, vcc_lo, v90
	v_cmp_gt_i32_e64 s19, 0, v97
	v_cmp_gt_i32_e64 s20, 0, v172
	v_not_b32_e32 v97, v172
	v_not_b32_e32 v172, v173
	v_dual_ashrrev_i32 v96, 31, v96 :: v_dual_bitop2_b32 v93, s16, v93 bitop3:0x14
	v_xor_b32_e32 v94, s17, v94
	v_bitop3_b32 v90, v90, v91, exec_lo bitop3:0x80
	v_cmp_gt_i32_e64 s21, 0, v173
	v_dual_ashrrev_i32 v91, 31, v97 :: v_dual_ashrrev_i32 v97, 31, v172
	v_xor_b32_e32 v95, s18, v95
	v_xor_b32_e32 v96, s19, v96
	v_bitop3_b32 v90, v90, v94, v93 bitop3:0x80
	v_mad_u32_u24 v93, v92, 36, v148
	v_xor_b32_e32 v91, s20, v91
	v_xor_b32_e32 v94, s21, v97
	s_delay_alu instid0(VALU_DEP_4) | instskip(SKIP_3) | instid1(VALU_DEP_2)
	v_bitop3_b32 v90, v90, v96, v95 bitop3:0x80
	ds_load_b32 v172, v93 offset:1056
	; wave barrier
	v_bitop3_b32 v90, v90, v94, v91 bitop3:0x80
	v_mul_u32_u24_e32 v91, 36, v92
	v_mbcnt_lo_u32_b32 v173, v90, 0
	v_cmp_ne_u32_e64 s15, 0, v90
	s_delay_alu instid0(VALU_DEP_3) | instskip(NEXT) | instid1(VALU_DEP_3)
	v_add_nc_u32_e32 v174, v148, v91
	v_cmp_eq_u32_e32 vcc_lo, 0, v173
	s_and_b32 s16, s15, vcc_lo
	s_delay_alu instid0(SALU_CYCLE_1)
	s_and_saveexec_b32 s15, s16
	s_cbranch_execz .LBB1245_433
; %bb.432:                              ;   in Loop: Header=BB1245_393 Depth=2
	s_wait_dscnt 0x0
	v_bcnt_u32_b32 v90, v90, v172
	ds_store_b32 v174, v90 offset:1056
.LBB1245_433:                           ;   in Loop: Header=BB1245_393 Depth=2
	s_or_b32 exec_lo, exec_lo, s15
	v_cmp_lt_i64_e32 vcc_lo, -1, v[62:63]
	; wave barrier
	v_cndmask_b32_e64 v90, -1, 0x80000000, vcc_lo
	s_delay_alu instid0(VALU_DEP_1) | instskip(NEXT) | instid1(VALU_DEP_1)
	v_dual_ashrrev_i32 v91, 31, v63 :: v_dual_bitop2_b32 v63, v90, v63 bitop3:0x14
	v_xor_b32_e32 v62, v91, v62
	s_delay_alu instid0(VALU_DEP_1) | instskip(SKIP_2) | instid1(VALU_DEP_1)
	v_cmp_ne_u64_e32 vcc_lo, s[42:43], v[62:63]
	v_cndmask_b32_e32 v91, 0x80000000, v63, vcc_lo
	v_cndmask_b32_e32 v90, 0, v62, vcc_lo
	v_lshrrev_b64 v[90:91], s54, v[90:91]
	s_delay_alu instid0(VALU_DEP_1) | instskip(SKIP_1) | instid1(VALU_DEP_2)
	v_bitop3_b32 v91, v90, 1, s59 bitop3:0x80
	v_and_b32_e32 v92, s59, v90
	v_add_co_u32 v90, s15, v91, -1
	s_delay_alu instid0(VALU_DEP_1) | instskip(NEXT) | instid1(VALU_DEP_3)
	v_cndmask_b32_e64 v91, 0, 1, s15
	v_lshlrev_b32_e32 v93, 30, v92
	s_delay_alu instid0(VALU_DEP_2) | instskip(NEXT) | instid1(VALU_DEP_2)
	v_cmp_ne_u32_e32 vcc_lo, 0, v91
	v_not_b32_e32 v91, v93
	v_cmp_gt_i32_e64 s15, 0, v93
	s_delay_alu instid0(VALU_DEP_2) | instskip(SKIP_3) | instid1(VALU_DEP_4)
	v_dual_ashrrev_i32 v91, 31, v91 :: v_dual_lshlrev_b32 v94, 29, v92
	v_dual_lshlrev_b32 v95, 28, v92 :: v_dual_lshlrev_b32 v96, 27, v92
	v_dual_lshlrev_b32 v97, 26, v92 :: v_dual_lshlrev_b32 v175, 25, v92
	v_lshlrev_b32_e32 v176, 24, v92
	v_cmp_gt_i32_e64 s16, 0, v94
	v_not_b32_e32 v93, v94
	v_not_b32_e32 v94, v95
	v_cmp_gt_i32_e64 s17, 0, v95
	v_cmp_gt_i32_e64 s18, 0, v96
	v_not_b32_e32 v95, v96
	v_not_b32_e32 v96, v97
	v_dual_ashrrev_i32 v93, 31, v93 :: v_dual_bitop2_b32 v90, vcc_lo, v90 bitop3:0x14
	v_dual_ashrrev_i32 v94, 31, v94 :: v_dual_bitop2_b32 v91, s15, v91 bitop3:0x14
	v_cmp_gt_i32_e64 s19, 0, v97
	v_cmp_gt_i32_e64 s20, 0, v175
	v_not_b32_e32 v97, v175
	v_not_b32_e32 v175, v176
	v_dual_ashrrev_i32 v95, 31, v95 :: v_dual_ashrrev_i32 v96, 31, v96
	v_xor_b32_e32 v93, s16, v93
	v_xor_b32_e32 v94, s17, v94
	v_bitop3_b32 v90, v90, v91, exec_lo bitop3:0x80
	v_cmp_gt_i32_e64 s21, 0, v176
	v_dual_ashrrev_i32 v91, 31, v97 :: v_dual_ashrrev_i32 v97, 31, v175
	v_xor_b32_e32 v95, s18, v95
	v_xor_b32_e32 v96, s19, v96
	v_bitop3_b32 v90, v90, v94, v93 bitop3:0x80
	v_mad_u32_u24 v93, v92, 36, v148
	v_xor_b32_e32 v91, s20, v91
	v_xor_b32_e32 v94, s21, v97
	s_delay_alu instid0(VALU_DEP_4) | instskip(SKIP_3) | instid1(VALU_DEP_2)
	v_bitop3_b32 v90, v90, v96, v95 bitop3:0x80
	ds_load_b32 v175, v93 offset:1056
	; wave barrier
	v_bitop3_b32 v90, v90, v94, v91 bitop3:0x80
	v_mul_u32_u24_e32 v91, 36, v92
	v_mbcnt_lo_u32_b32 v176, v90, 0
	v_cmp_ne_u32_e64 s15, 0, v90
	s_delay_alu instid0(VALU_DEP_3) | instskip(NEXT) | instid1(VALU_DEP_3)
	v_add_nc_u32_e32 v177, v148, v91
	v_cmp_eq_u32_e32 vcc_lo, 0, v176
	s_and_b32 s16, s15, vcc_lo
	s_delay_alu instid0(SALU_CYCLE_1)
	s_and_saveexec_b32 s15, s16
	s_cbranch_execz .LBB1245_435
; %bb.434:                              ;   in Loop: Header=BB1245_393 Depth=2
	s_wait_dscnt 0x0
	v_bcnt_u32_b32 v90, v90, v175
	ds_store_b32 v177, v90 offset:1056
.LBB1245_435:                           ;   in Loop: Header=BB1245_393 Depth=2
	s_or_b32 exec_lo, exec_lo, s15
	v_cmp_lt_i64_e32 vcc_lo, -1, v[70:71]
	; wave barrier
	v_cndmask_b32_e64 v90, -1, 0x80000000, vcc_lo
	s_delay_alu instid0(VALU_DEP_1) | instskip(NEXT) | instid1(VALU_DEP_1)
	v_dual_ashrrev_i32 v91, 31, v71 :: v_dual_bitop2_b32 v71, v90, v71 bitop3:0x14
	v_xor_b32_e32 v70, v91, v70
	s_delay_alu instid0(VALU_DEP_1) | instskip(SKIP_2) | instid1(VALU_DEP_1)
	v_cmp_ne_u64_e32 vcc_lo, s[42:43], v[70:71]
	v_cndmask_b32_e32 v91, 0x80000000, v71, vcc_lo
	v_cndmask_b32_e32 v90, 0, v70, vcc_lo
	v_lshrrev_b64 v[90:91], s54, v[90:91]
	s_delay_alu instid0(VALU_DEP_1) | instskip(SKIP_1) | instid1(VALU_DEP_2)
	v_bitop3_b32 v91, v90, 1, s59 bitop3:0x80
	v_and_b32_e32 v92, s59, v90
	v_add_co_u32 v90, s15, v91, -1
	s_delay_alu instid0(VALU_DEP_1) | instskip(NEXT) | instid1(VALU_DEP_3)
	v_cndmask_b32_e64 v91, 0, 1, s15
	v_lshlrev_b32_e32 v93, 30, v92
	s_delay_alu instid0(VALU_DEP_2) | instskip(NEXT) | instid1(VALU_DEP_2)
	v_cmp_ne_u32_e32 vcc_lo, 0, v91
	v_not_b32_e32 v91, v93
	v_cmp_gt_i32_e64 s15, 0, v93
	s_delay_alu instid0(VALU_DEP_2) | instskip(SKIP_3) | instid1(VALU_DEP_4)
	v_dual_ashrrev_i32 v91, 31, v91 :: v_dual_lshlrev_b32 v94, 29, v92
	v_dual_lshlrev_b32 v95, 28, v92 :: v_dual_lshlrev_b32 v96, 27, v92
	v_dual_lshlrev_b32 v97, 26, v92 :: v_dual_lshlrev_b32 v178, 25, v92
	v_lshlrev_b32_e32 v179, 24, v92
	v_cmp_gt_i32_e64 s16, 0, v94
	v_not_b32_e32 v93, v94
	v_not_b32_e32 v94, v95
	v_cmp_gt_i32_e64 s17, 0, v95
	v_cmp_gt_i32_e64 s18, 0, v96
	v_not_b32_e32 v95, v96
	v_not_b32_e32 v96, v97
	v_dual_ashrrev_i32 v93, 31, v93 :: v_dual_bitop2_b32 v90, vcc_lo, v90 bitop3:0x14
	v_dual_ashrrev_i32 v94, 31, v94 :: v_dual_bitop2_b32 v91, s15, v91 bitop3:0x14
	v_cmp_gt_i32_e64 s19, 0, v97
	v_cmp_gt_i32_e64 s20, 0, v178
	v_not_b32_e32 v97, v178
	v_not_b32_e32 v178, v179
	v_dual_ashrrev_i32 v95, 31, v95 :: v_dual_ashrrev_i32 v96, 31, v96
	v_xor_b32_e32 v93, s16, v93
	v_xor_b32_e32 v94, s17, v94
	v_bitop3_b32 v90, v90, v91, exec_lo bitop3:0x80
	v_cmp_gt_i32_e64 s21, 0, v179
	v_dual_ashrrev_i32 v91, 31, v97 :: v_dual_ashrrev_i32 v97, 31, v178
	v_xor_b32_e32 v95, s18, v95
	v_xor_b32_e32 v96, s19, v96
	v_bitop3_b32 v90, v90, v94, v93 bitop3:0x80
	v_mad_u32_u24 v93, v92, 36, v148
	v_xor_b32_e32 v91, s20, v91
	v_xor_b32_e32 v94, s21, v97
	s_delay_alu instid0(VALU_DEP_4) | instskip(SKIP_3) | instid1(VALU_DEP_2)
	v_bitop3_b32 v90, v90, v96, v95 bitop3:0x80
	ds_load_b32 v178, v93 offset:1056
	; wave barrier
	v_bitop3_b32 v90, v90, v94, v91 bitop3:0x80
	v_mul_u32_u24_e32 v91, 36, v92
	v_mbcnt_lo_u32_b32 v179, v90, 0
	v_cmp_ne_u32_e64 s15, 0, v90
	s_delay_alu instid0(VALU_DEP_3) | instskip(NEXT) | instid1(VALU_DEP_3)
	v_add_nc_u32_e32 v180, v148, v91
	v_cmp_eq_u32_e32 vcc_lo, 0, v179
	s_and_b32 s16, s15, vcc_lo
	s_delay_alu instid0(SALU_CYCLE_1)
	s_and_saveexec_b32 s15, s16
	s_cbranch_execz .LBB1245_437
; %bb.436:                              ;   in Loop: Header=BB1245_393 Depth=2
	s_wait_dscnt 0x0
	v_bcnt_u32_b32 v90, v90, v178
	ds_store_b32 v180, v90 offset:1056
.LBB1245_437:                           ;   in Loop: Header=BB1245_393 Depth=2
	s_or_b32 exec_lo, exec_lo, s15
	v_cmp_lt_i64_e32 vcc_lo, -1, v[74:75]
	; wave barrier
	v_cndmask_b32_e64 v90, -1, 0x80000000, vcc_lo
	s_delay_alu instid0(VALU_DEP_1) | instskip(NEXT) | instid1(VALU_DEP_1)
	v_dual_ashrrev_i32 v91, 31, v75 :: v_dual_bitop2_b32 v75, v90, v75 bitop3:0x14
	v_xor_b32_e32 v74, v91, v74
	s_delay_alu instid0(VALU_DEP_1) | instskip(SKIP_2) | instid1(VALU_DEP_1)
	v_cmp_ne_u64_e32 vcc_lo, s[42:43], v[74:75]
	v_cndmask_b32_e32 v91, 0x80000000, v75, vcc_lo
	v_cndmask_b32_e32 v90, 0, v74, vcc_lo
	v_lshrrev_b64 v[90:91], s54, v[90:91]
	s_delay_alu instid0(VALU_DEP_1) | instskip(SKIP_1) | instid1(VALU_DEP_2)
	v_bitop3_b32 v91, v90, 1, s59 bitop3:0x80
	v_and_b32_e32 v92, s59, v90
	v_add_co_u32 v90, s15, v91, -1
	s_delay_alu instid0(VALU_DEP_1) | instskip(NEXT) | instid1(VALU_DEP_3)
	v_cndmask_b32_e64 v91, 0, 1, s15
	v_lshlrev_b32_e32 v93, 30, v92
	s_delay_alu instid0(VALU_DEP_2) | instskip(NEXT) | instid1(VALU_DEP_2)
	v_cmp_ne_u32_e32 vcc_lo, 0, v91
	v_not_b32_e32 v91, v93
	v_cmp_gt_i32_e64 s15, 0, v93
	s_delay_alu instid0(VALU_DEP_2) | instskip(SKIP_3) | instid1(VALU_DEP_4)
	v_dual_ashrrev_i32 v91, 31, v91 :: v_dual_lshlrev_b32 v94, 29, v92
	v_dual_lshlrev_b32 v95, 28, v92 :: v_dual_lshlrev_b32 v96, 27, v92
	v_dual_lshlrev_b32 v97, 26, v92 :: v_dual_lshlrev_b32 v181, 25, v92
	v_lshlrev_b32_e32 v182, 24, v92
	v_cmp_gt_i32_e64 s16, 0, v94
	v_not_b32_e32 v93, v94
	v_not_b32_e32 v94, v95
	v_cmp_gt_i32_e64 s17, 0, v95
	v_cmp_gt_i32_e64 s18, 0, v96
	v_not_b32_e32 v95, v96
	v_not_b32_e32 v96, v97
	v_dual_ashrrev_i32 v93, 31, v93 :: v_dual_bitop2_b32 v90, vcc_lo, v90 bitop3:0x14
	v_dual_ashrrev_i32 v94, 31, v94 :: v_dual_bitop2_b32 v91, s15, v91 bitop3:0x14
	v_cmp_gt_i32_e64 s19, 0, v97
	v_cmp_gt_i32_e64 s20, 0, v181
	v_not_b32_e32 v97, v181
	v_not_b32_e32 v181, v182
	v_dual_ashrrev_i32 v95, 31, v95 :: v_dual_ashrrev_i32 v96, 31, v96
	v_xor_b32_e32 v93, s16, v93
	v_xor_b32_e32 v94, s17, v94
	v_bitop3_b32 v90, v90, v91, exec_lo bitop3:0x80
	v_cmp_gt_i32_e64 s21, 0, v182
	v_ashrrev_i32_e32 v91, 31, v97
	v_dual_ashrrev_i32 v97, 31, v181 :: v_dual_bitop2_b32 v95, s18, v95 bitop3:0x14
	v_xor_b32_e32 v96, s19, v96
	v_bitop3_b32 v90, v90, v94, v93 bitop3:0x80
	v_mad_u32_u24 v93, v92, 36, v148
	v_xor_b32_e32 v91, s20, v91
	v_xor_b32_e32 v94, s21, v97
	s_delay_alu instid0(VALU_DEP_4) | instskip(SKIP_3) | instid1(VALU_DEP_2)
	v_bitop3_b32 v90, v90, v96, v95 bitop3:0x80
	ds_load_b32 v181, v93 offset:1056
	; wave barrier
	v_bitop3_b32 v90, v90, v94, v91 bitop3:0x80
	v_mul_u32_u24_e32 v91, 36, v92
	v_mbcnt_lo_u32_b32 v182, v90, 0
	v_cmp_ne_u32_e64 s15, 0, v90
	s_delay_alu instid0(VALU_DEP_3) | instskip(NEXT) | instid1(VALU_DEP_3)
	v_add_nc_u32_e32 v183, v148, v91
	v_cmp_eq_u32_e32 vcc_lo, 0, v182
	s_and_b32 s16, s15, vcc_lo
	s_delay_alu instid0(SALU_CYCLE_1)
	s_and_saveexec_b32 s15, s16
	s_cbranch_execz .LBB1245_439
; %bb.438:                              ;   in Loop: Header=BB1245_393 Depth=2
	s_wait_dscnt 0x0
	v_bcnt_u32_b32 v90, v90, v181
	ds_store_b32 v183, v90 offset:1056
.LBB1245_439:                           ;   in Loop: Header=BB1245_393 Depth=2
	s_or_b32 exec_lo, exec_lo, s15
	v_cmp_lt_i64_e32 vcc_lo, -1, v[78:79]
	; wave barrier
	v_cndmask_b32_e64 v90, -1, 0x80000000, vcc_lo
	s_delay_alu instid0(VALU_DEP_1) | instskip(NEXT) | instid1(VALU_DEP_1)
	v_dual_ashrrev_i32 v91, 31, v79 :: v_dual_bitop2_b32 v79, v90, v79 bitop3:0x14
	v_xor_b32_e32 v78, v91, v78
	s_delay_alu instid0(VALU_DEP_1) | instskip(SKIP_2) | instid1(VALU_DEP_1)
	v_cmp_ne_u64_e32 vcc_lo, s[42:43], v[78:79]
	v_cndmask_b32_e32 v91, 0x80000000, v79, vcc_lo
	v_cndmask_b32_e32 v90, 0, v78, vcc_lo
	v_lshrrev_b64 v[90:91], s54, v[90:91]
	s_delay_alu instid0(VALU_DEP_1) | instskip(SKIP_1) | instid1(VALU_DEP_2)
	v_bitop3_b32 v91, v90, 1, s59 bitop3:0x80
	v_and_b32_e32 v92, s59, v90
	v_add_co_u32 v90, s15, v91, -1
	s_delay_alu instid0(VALU_DEP_1) | instskip(NEXT) | instid1(VALU_DEP_3)
	v_cndmask_b32_e64 v91, 0, 1, s15
	v_lshlrev_b32_e32 v93, 30, v92
	s_delay_alu instid0(VALU_DEP_2) | instskip(NEXT) | instid1(VALU_DEP_2)
	v_cmp_ne_u32_e32 vcc_lo, 0, v91
	v_not_b32_e32 v91, v93
	v_cmp_gt_i32_e64 s15, 0, v93
	s_delay_alu instid0(VALU_DEP_2) | instskip(SKIP_3) | instid1(VALU_DEP_4)
	v_dual_ashrrev_i32 v91, 31, v91 :: v_dual_lshlrev_b32 v94, 29, v92
	v_dual_lshlrev_b32 v95, 28, v92 :: v_dual_lshlrev_b32 v96, 27, v92
	v_dual_lshlrev_b32 v97, 26, v92 :: v_dual_lshlrev_b32 v184, 25, v92
	v_lshlrev_b32_e32 v185, 24, v92
	v_cmp_gt_i32_e64 s16, 0, v94
	v_not_b32_e32 v93, v94
	v_not_b32_e32 v94, v95
	v_cmp_gt_i32_e64 s17, 0, v95
	v_cmp_gt_i32_e64 s18, 0, v96
	v_not_b32_e32 v95, v96
	v_not_b32_e32 v96, v97
	v_dual_ashrrev_i32 v93, 31, v93 :: v_dual_bitop2_b32 v90, vcc_lo, v90 bitop3:0x14
	v_dual_ashrrev_i32 v94, 31, v94 :: v_dual_bitop2_b32 v91, s15, v91 bitop3:0x14
	v_cmp_gt_i32_e64 s19, 0, v97
	v_cmp_gt_i32_e64 s20, 0, v184
	v_not_b32_e32 v97, v184
	v_not_b32_e32 v184, v185
	v_dual_ashrrev_i32 v95, 31, v95 :: v_dual_ashrrev_i32 v96, 31, v96
	v_xor_b32_e32 v93, s16, v93
	v_xor_b32_e32 v94, s17, v94
	v_bitop3_b32 v90, v90, v91, exec_lo bitop3:0x80
	v_cmp_gt_i32_e64 s21, 0, v185
	v_dual_ashrrev_i32 v91, 31, v97 :: v_dual_ashrrev_i32 v97, 31, v184
	v_xor_b32_e32 v95, s18, v95
	v_xor_b32_e32 v96, s19, v96
	v_bitop3_b32 v90, v90, v94, v93 bitop3:0x80
	v_mad_u32_u24 v93, v92, 36, v148
	v_xor_b32_e32 v91, s20, v91
	v_xor_b32_e32 v94, s21, v97
	s_delay_alu instid0(VALU_DEP_4) | instskip(SKIP_3) | instid1(VALU_DEP_2)
	v_bitop3_b32 v90, v90, v96, v95 bitop3:0x80
	ds_load_b32 v184, v93 offset:1056
	; wave barrier
	v_bitop3_b32 v90, v90, v94, v91 bitop3:0x80
	v_mul_u32_u24_e32 v91, 36, v92
	v_mbcnt_lo_u32_b32 v185, v90, 0
	v_cmp_ne_u32_e64 s15, 0, v90
	s_delay_alu instid0(VALU_DEP_3) | instskip(NEXT) | instid1(VALU_DEP_3)
	v_add_nc_u32_e32 v186, v148, v91
	v_cmp_eq_u32_e32 vcc_lo, 0, v185
	s_and_b32 s16, s15, vcc_lo
	s_delay_alu instid0(SALU_CYCLE_1)
	s_and_saveexec_b32 s15, s16
	s_cbranch_execz .LBB1245_441
; %bb.440:                              ;   in Loop: Header=BB1245_393 Depth=2
	s_wait_dscnt 0x0
	v_bcnt_u32_b32 v90, v90, v184
	ds_store_b32 v186, v90 offset:1056
.LBB1245_441:                           ;   in Loop: Header=BB1245_393 Depth=2
	s_or_b32 exec_lo, exec_lo, s15
	v_cmp_lt_i64_e32 vcc_lo, -1, v[82:83]
	; wave barrier
	v_cndmask_b32_e64 v90, -1, 0x80000000, vcc_lo
	s_delay_alu instid0(VALU_DEP_1) | instskip(NEXT) | instid1(VALU_DEP_1)
	v_dual_ashrrev_i32 v91, 31, v83 :: v_dual_bitop2_b32 v83, v90, v83 bitop3:0x14
	v_xor_b32_e32 v82, v91, v82
	s_delay_alu instid0(VALU_DEP_1) | instskip(SKIP_2) | instid1(VALU_DEP_1)
	v_cmp_ne_u64_e32 vcc_lo, s[42:43], v[82:83]
	v_cndmask_b32_e32 v91, 0x80000000, v83, vcc_lo
	v_cndmask_b32_e32 v90, 0, v82, vcc_lo
	v_lshrrev_b64 v[90:91], s54, v[90:91]
	s_delay_alu instid0(VALU_DEP_1) | instskip(SKIP_1) | instid1(VALU_DEP_2)
	v_bitop3_b32 v91, v90, 1, s59 bitop3:0x80
	v_and_b32_e32 v92, s59, v90
	v_add_co_u32 v90, s15, v91, -1
	s_delay_alu instid0(VALU_DEP_1) | instskip(NEXT) | instid1(VALU_DEP_3)
	v_cndmask_b32_e64 v91, 0, 1, s15
	v_lshlrev_b32_e32 v93, 30, v92
	s_delay_alu instid0(VALU_DEP_2) | instskip(NEXT) | instid1(VALU_DEP_2)
	v_cmp_ne_u32_e32 vcc_lo, 0, v91
	v_not_b32_e32 v91, v93
	v_cmp_gt_i32_e64 s15, 0, v93
	s_delay_alu instid0(VALU_DEP_2) | instskip(SKIP_3) | instid1(VALU_DEP_4)
	v_dual_ashrrev_i32 v91, 31, v91 :: v_dual_lshlrev_b32 v94, 29, v92
	v_dual_lshlrev_b32 v95, 28, v92 :: v_dual_lshlrev_b32 v96, 27, v92
	v_dual_lshlrev_b32 v97, 26, v92 :: v_dual_lshlrev_b32 v187, 25, v92
	v_lshlrev_b32_e32 v188, 24, v92
	v_cmp_gt_i32_e64 s16, 0, v94
	v_not_b32_e32 v93, v94
	v_not_b32_e32 v94, v95
	v_cmp_gt_i32_e64 s17, 0, v95
	v_cmp_gt_i32_e64 s18, 0, v96
	v_not_b32_e32 v95, v96
	v_not_b32_e32 v96, v97
	v_dual_ashrrev_i32 v93, 31, v93 :: v_dual_bitop2_b32 v90, vcc_lo, v90 bitop3:0x14
	v_dual_ashrrev_i32 v94, 31, v94 :: v_dual_bitop2_b32 v91, s15, v91 bitop3:0x14
	v_cmp_gt_i32_e64 s19, 0, v97
	v_cmp_gt_i32_e64 s20, 0, v187
	v_not_b32_e32 v97, v187
	v_not_b32_e32 v187, v188
	v_dual_ashrrev_i32 v95, 31, v95 :: v_dual_ashrrev_i32 v96, 31, v96
	v_xor_b32_e32 v93, s16, v93
	v_xor_b32_e32 v94, s17, v94
	v_bitop3_b32 v90, v90, v91, exec_lo bitop3:0x80
	v_cmp_gt_i32_e64 s21, 0, v188
	v_dual_ashrrev_i32 v91, 31, v97 :: v_dual_ashrrev_i32 v97, 31, v187
	v_xor_b32_e32 v95, s18, v95
	v_xor_b32_e32 v96, s19, v96
	v_bitop3_b32 v90, v90, v94, v93 bitop3:0x80
	v_mad_u32_u24 v93, v92, 36, v148
	v_xor_b32_e32 v91, s20, v91
	v_xor_b32_e32 v94, s21, v97
	s_delay_alu instid0(VALU_DEP_4) | instskip(SKIP_3) | instid1(VALU_DEP_2)
	v_bitop3_b32 v90, v90, v96, v95 bitop3:0x80
	ds_load_b32 v187, v93 offset:1056
	; wave barrier
	v_bitop3_b32 v90, v90, v94, v91 bitop3:0x80
	v_mul_u32_u24_e32 v91, 36, v92
	v_mbcnt_lo_u32_b32 v188, v90, 0
	v_cmp_ne_u32_e64 s15, 0, v90
	s_delay_alu instid0(VALU_DEP_3) | instskip(NEXT) | instid1(VALU_DEP_3)
	v_add_nc_u32_e32 v189, v148, v91
	v_cmp_eq_u32_e32 vcc_lo, 0, v188
	s_and_b32 s16, s15, vcc_lo
	s_delay_alu instid0(SALU_CYCLE_1)
	s_and_saveexec_b32 s15, s16
	s_cbranch_execz .LBB1245_443
; %bb.442:                              ;   in Loop: Header=BB1245_393 Depth=2
	s_wait_dscnt 0x0
	v_bcnt_u32_b32 v90, v90, v187
	ds_store_b32 v189, v90 offset:1056
.LBB1245_443:                           ;   in Loop: Header=BB1245_393 Depth=2
	s_or_b32 exec_lo, exec_lo, s15
	v_cmp_lt_i64_e32 vcc_lo, -1, v[86:87]
	; wave barrier
	v_cndmask_b32_e64 v90, -1, 0x80000000, vcc_lo
	s_delay_alu instid0(VALU_DEP_1) | instskip(NEXT) | instid1(VALU_DEP_1)
	v_dual_ashrrev_i32 v91, 31, v87 :: v_dual_bitop2_b32 v87, v90, v87 bitop3:0x14
	v_xor_b32_e32 v86, v91, v86
	s_delay_alu instid0(VALU_DEP_1) | instskip(SKIP_2) | instid1(VALU_DEP_1)
	v_cmp_ne_u64_e32 vcc_lo, s[42:43], v[86:87]
	v_cndmask_b32_e32 v91, 0x80000000, v87, vcc_lo
	v_cndmask_b32_e32 v90, 0, v86, vcc_lo
	v_lshrrev_b64 v[90:91], s54, v[90:91]
	s_delay_alu instid0(VALU_DEP_1) | instskip(SKIP_1) | instid1(VALU_DEP_2)
	v_bitop3_b32 v91, v90, 1, s59 bitop3:0x80
	v_and_b32_e32 v92, s59, v90
	v_add_co_u32 v90, s15, v91, -1
	s_delay_alu instid0(VALU_DEP_1) | instskip(NEXT) | instid1(VALU_DEP_3)
	v_cndmask_b32_e64 v91, 0, 1, s15
	v_lshlrev_b32_e32 v93, 30, v92
	s_delay_alu instid0(VALU_DEP_2) | instskip(NEXT) | instid1(VALU_DEP_2)
	v_cmp_ne_u32_e32 vcc_lo, 0, v91
	v_not_b32_e32 v91, v93
	v_cmp_gt_i32_e64 s15, 0, v93
	s_delay_alu instid0(VALU_DEP_2) | instskip(SKIP_3) | instid1(VALU_DEP_4)
	v_dual_ashrrev_i32 v91, 31, v91 :: v_dual_lshlrev_b32 v94, 29, v92
	v_dual_lshlrev_b32 v95, 28, v92 :: v_dual_lshlrev_b32 v96, 27, v92
	v_dual_lshlrev_b32 v97, 26, v92 :: v_dual_lshlrev_b32 v190, 25, v92
	v_lshlrev_b32_e32 v191, 24, v92
	v_cmp_gt_i32_e64 s16, 0, v94
	v_not_b32_e32 v93, v94
	v_not_b32_e32 v94, v95
	v_cmp_gt_i32_e64 s17, 0, v95
	v_cmp_gt_i32_e64 s18, 0, v96
	v_not_b32_e32 v95, v96
	v_not_b32_e32 v96, v97
	v_dual_ashrrev_i32 v93, 31, v93 :: v_dual_bitop2_b32 v90, vcc_lo, v90 bitop3:0x14
	v_dual_ashrrev_i32 v94, 31, v94 :: v_dual_bitop2_b32 v91, s15, v91 bitop3:0x14
	v_cmp_gt_i32_e64 s19, 0, v97
	v_cmp_gt_i32_e64 s20, 0, v190
	v_not_b32_e32 v97, v190
	v_not_b32_e32 v190, v191
	v_dual_ashrrev_i32 v95, 31, v95 :: v_dual_ashrrev_i32 v96, 31, v96
	v_xor_b32_e32 v93, s16, v93
	v_xor_b32_e32 v94, s17, v94
	v_bitop3_b32 v90, v90, v91, exec_lo bitop3:0x80
	v_cmp_gt_i32_e64 s21, 0, v191
	v_dual_ashrrev_i32 v91, 31, v97 :: v_dual_ashrrev_i32 v97, 31, v190
	v_xor_b32_e32 v95, s18, v95
	v_xor_b32_e32 v96, s19, v96
	v_bitop3_b32 v90, v90, v94, v93 bitop3:0x80
	v_mad_u32_u24 v93, v92, 36, v148
	v_xor_b32_e32 v91, s20, v91
	v_xor_b32_e32 v94, s21, v97
	s_delay_alu instid0(VALU_DEP_4) | instskip(SKIP_3) | instid1(VALU_DEP_2)
	v_bitop3_b32 v90, v90, v96, v95 bitop3:0x80
	ds_load_b32 v190, v93 offset:1056
	; wave barrier
	v_bitop3_b32 v90, v90, v94, v91 bitop3:0x80
	v_mul_u32_u24_e32 v91, 36, v92
	v_mbcnt_lo_u32_b32 v191, v90, 0
	v_cmp_ne_u32_e64 s15, 0, v90
	s_delay_alu instid0(VALU_DEP_3) | instskip(NEXT) | instid1(VALU_DEP_3)
	v_add_nc_u32_e32 v192, v148, v91
	v_cmp_eq_u32_e32 vcc_lo, 0, v191
	s_and_b32 s16, s15, vcc_lo
	s_delay_alu instid0(SALU_CYCLE_1)
	s_and_saveexec_b32 s15, s16
	s_cbranch_execz .LBB1245_445
; %bb.444:                              ;   in Loop: Header=BB1245_393 Depth=2
	s_wait_dscnt 0x0
	v_bcnt_u32_b32 v90, v90, v190
	ds_store_b32 v192, v90 offset:1056
.LBB1245_445:                           ;   in Loop: Header=BB1245_393 Depth=2
	s_or_b32 exec_lo, exec_lo, s15
	v_cmp_lt_i64_e32 vcc_lo, -1, v[88:89]
	; wave barrier
	v_cndmask_b32_e64 v90, -1, 0x80000000, vcc_lo
	s_delay_alu instid0(VALU_DEP_1) | instskip(NEXT) | instid1(VALU_DEP_1)
	v_dual_ashrrev_i32 v91, 31, v89 :: v_dual_bitop2_b32 v89, v90, v89 bitop3:0x14
	v_xor_b32_e32 v88, v91, v88
	s_delay_alu instid0(VALU_DEP_1) | instskip(SKIP_2) | instid1(VALU_DEP_1)
	v_cmp_ne_u64_e32 vcc_lo, s[42:43], v[88:89]
	v_cndmask_b32_e32 v91, 0x80000000, v89, vcc_lo
	v_cndmask_b32_e32 v90, 0, v88, vcc_lo
	v_lshrrev_b64 v[90:91], s54, v[90:91]
	s_delay_alu instid0(VALU_DEP_1) | instskip(SKIP_1) | instid1(VALU_DEP_2)
	v_bitop3_b32 v91, v90, 1, s59 bitop3:0x80
	v_and_b32_e32 v92, s59, v90
	v_add_co_u32 v90, s15, v91, -1
	s_delay_alu instid0(VALU_DEP_1) | instskip(NEXT) | instid1(VALU_DEP_3)
	v_cndmask_b32_e64 v91, 0, 1, s15
	v_dual_lshlrev_b32 v93, 30, v92 :: v_dual_lshlrev_b32 v95, 28, v92
	v_dual_lshlrev_b32 v94, 29, v92 :: v_dual_lshlrev_b32 v96, 27, v92
	s_delay_alu instid0(VALU_DEP_3) | instskip(NEXT) | instid1(VALU_DEP_3)
	v_cmp_ne_u32_e32 vcc_lo, 0, v91
	v_cmp_gt_i32_e64 s15, 0, v93
	v_not_b32_e32 v91, v93
	s_delay_alu instid0(VALU_DEP_4) | instskip(SKIP_4) | instid1(VALU_DEP_4)
	v_cmp_gt_i32_e64 s16, 0, v94
	v_not_b32_e32 v93, v94
	v_cmp_gt_i32_e64 s17, 0, v95
	v_not_b32_e32 v94, v95
	v_not_b32_e32 v95, v96
	v_dual_ashrrev_i32 v91, 31, v91 :: v_dual_ashrrev_i32 v93, 31, v93
	s_delay_alu instid0(VALU_DEP_2) | instskip(SKIP_4) | instid1(VALU_DEP_4)
	v_dual_ashrrev_i32 v94, 31, v94 :: v_dual_ashrrev_i32 v95, 31, v95
	v_dual_lshlrev_b32 v97, 26, v92 :: v_dual_lshlrev_b32 v193, 25, v92
	v_lshlrev_b32_e32 v194, 24, v92
	v_cmp_gt_i32_e64 s18, 0, v96
	v_xor_b32_e32 v91, s15, v91
	v_not_b32_e32 v96, v97
	v_xor_b32_e32 v90, vcc_lo, v90
	v_cmp_gt_i32_e64 s19, 0, v97
	v_cmp_gt_i32_e64 s20, 0, v193
	v_not_b32_e32 v97, v193
	v_not_b32_e32 v193, v194
	v_dual_ashrrev_i32 v96, 31, v96 :: v_dual_bitop2_b32 v93, s16, v93 bitop3:0x14
	v_xor_b32_e32 v94, s17, v94
	v_bitop3_b32 v90, v90, v91, exec_lo bitop3:0x80
	v_cmp_gt_i32_e64 s21, 0, v194
	v_ashrrev_i32_e32 v91, 31, v97
	v_dual_ashrrev_i32 v97, 31, v193 :: v_dual_bitop2_b32 v95, s18, v95 bitop3:0x14
	v_xor_b32_e32 v96, s19, v96
	v_bitop3_b32 v90, v90, v94, v93 bitop3:0x80
	v_mad_u32_u24 v93, v92, 36, v148
	v_xor_b32_e32 v91, s20, v91
	v_xor_b32_e32 v94, s21, v97
	s_delay_alu instid0(VALU_DEP_4) | instskip(SKIP_3) | instid1(VALU_DEP_2)
	v_bitop3_b32 v90, v90, v96, v95 bitop3:0x80
	ds_load_b32 v193, v93 offset:1056
	; wave barrier
	v_bitop3_b32 v90, v90, v94, v91 bitop3:0x80
	v_mul_u32_u24_e32 v91, 36, v92
	v_mbcnt_lo_u32_b32 v194, v90, 0
	v_cmp_ne_u32_e64 s15, 0, v90
	s_delay_alu instid0(VALU_DEP_3) | instskip(NEXT) | instid1(VALU_DEP_3)
	v_add_nc_u32_e32 v195, v148, v91
	v_cmp_eq_u32_e32 vcc_lo, 0, v194
	s_and_b32 s16, s15, vcc_lo
	s_delay_alu instid0(SALU_CYCLE_1)
	s_and_saveexec_b32 s15, s16
	s_cbranch_execz .LBB1245_447
; %bb.446:                              ;   in Loop: Header=BB1245_393 Depth=2
	s_wait_dscnt 0x0
	v_bcnt_u32_b32 v90, v90, v193
	ds_store_b32 v195, v90 offset:1056
.LBB1245_447:                           ;   in Loop: Header=BB1245_393 Depth=2
	s_or_b32 exec_lo, exec_lo, s15
	v_cmp_lt_i64_e32 vcc_lo, -1, v[84:85]
	; wave barrier
	v_cndmask_b32_e64 v90, -1, 0x80000000, vcc_lo
	s_delay_alu instid0(VALU_DEP_1) | instskip(NEXT) | instid1(VALU_DEP_1)
	v_dual_ashrrev_i32 v91, 31, v85 :: v_dual_bitop2_b32 v85, v90, v85 bitop3:0x14
	v_xor_b32_e32 v84, v91, v84
	s_delay_alu instid0(VALU_DEP_1) | instskip(SKIP_2) | instid1(VALU_DEP_1)
	v_cmp_ne_u64_e32 vcc_lo, s[42:43], v[84:85]
	v_cndmask_b32_e32 v91, 0x80000000, v85, vcc_lo
	v_cndmask_b32_e32 v90, 0, v84, vcc_lo
	v_lshrrev_b64 v[90:91], s54, v[90:91]
	s_delay_alu instid0(VALU_DEP_1) | instskip(SKIP_1) | instid1(VALU_DEP_2)
	v_bitop3_b32 v91, v90, 1, s59 bitop3:0x80
	v_and_b32_e32 v92, s59, v90
	v_add_co_u32 v90, s15, v91, -1
	s_delay_alu instid0(VALU_DEP_1) | instskip(NEXT) | instid1(VALU_DEP_3)
	v_cndmask_b32_e64 v91, 0, 1, s15
	v_dual_lshlrev_b32 v93, 30, v92 :: v_dual_lshlrev_b32 v95, 28, v92
	v_dual_lshlrev_b32 v94, 29, v92 :: v_dual_lshlrev_b32 v96, 27, v92
	s_delay_alu instid0(VALU_DEP_3) | instskip(NEXT) | instid1(VALU_DEP_3)
	v_cmp_ne_u32_e32 vcc_lo, 0, v91
	v_cmp_gt_i32_e64 s15, 0, v93
	v_not_b32_e32 v91, v93
	s_delay_alu instid0(VALU_DEP_4) | instskip(SKIP_4) | instid1(VALU_DEP_4)
	v_cmp_gt_i32_e64 s16, 0, v94
	v_not_b32_e32 v93, v94
	v_cmp_gt_i32_e64 s17, 0, v95
	v_not_b32_e32 v94, v95
	v_not_b32_e32 v95, v96
	v_dual_ashrrev_i32 v91, 31, v91 :: v_dual_ashrrev_i32 v93, 31, v93
	s_delay_alu instid0(VALU_DEP_2) | instskip(SKIP_4) | instid1(VALU_DEP_4)
	v_dual_ashrrev_i32 v94, 31, v94 :: v_dual_ashrrev_i32 v95, 31, v95
	v_dual_lshlrev_b32 v97, 26, v92 :: v_dual_lshlrev_b32 v196, 25, v92
	v_lshlrev_b32_e32 v197, 24, v92
	v_cmp_gt_i32_e64 s18, 0, v96
	v_xor_b32_e32 v91, s15, v91
	v_not_b32_e32 v96, v97
	v_xor_b32_e32 v90, vcc_lo, v90
	v_cmp_gt_i32_e64 s19, 0, v97
	v_cmp_gt_i32_e64 s20, 0, v196
	v_not_b32_e32 v97, v196
	v_not_b32_e32 v196, v197
	v_dual_ashrrev_i32 v96, 31, v96 :: v_dual_bitop2_b32 v93, s16, v93 bitop3:0x14
	v_xor_b32_e32 v94, s17, v94
	v_bitop3_b32 v90, v90, v91, exec_lo bitop3:0x80
	v_cmp_gt_i32_e64 s21, 0, v197
	v_dual_ashrrev_i32 v91, 31, v97 :: v_dual_ashrrev_i32 v97, 31, v196
	v_xor_b32_e32 v95, s18, v95
	v_xor_b32_e32 v96, s19, v96
	v_bitop3_b32 v90, v90, v94, v93 bitop3:0x80
	v_mad_u32_u24 v93, v92, 36, v148
	v_xor_b32_e32 v91, s20, v91
	v_xor_b32_e32 v94, s21, v97
	s_delay_alu instid0(VALU_DEP_4) | instskip(SKIP_3) | instid1(VALU_DEP_2)
	v_bitop3_b32 v90, v90, v96, v95 bitop3:0x80
	ds_load_b32 v196, v93 offset:1056
	; wave barrier
	v_bitop3_b32 v90, v90, v94, v91 bitop3:0x80
	v_mul_u32_u24_e32 v91, 36, v92
	v_mbcnt_lo_u32_b32 v197, v90, 0
	v_cmp_ne_u32_e64 s15, 0, v90
	s_delay_alu instid0(VALU_DEP_3) | instskip(NEXT) | instid1(VALU_DEP_3)
	v_add_nc_u32_e32 v198, v148, v91
	v_cmp_eq_u32_e32 vcc_lo, 0, v197
	s_and_b32 s16, s15, vcc_lo
	s_delay_alu instid0(SALU_CYCLE_1)
	s_and_saveexec_b32 s15, s16
	s_cbranch_execz .LBB1245_449
; %bb.448:                              ;   in Loop: Header=BB1245_393 Depth=2
	s_wait_dscnt 0x0
	v_bcnt_u32_b32 v90, v90, v196
	ds_store_b32 v198, v90 offset:1056
.LBB1245_449:                           ;   in Loop: Header=BB1245_393 Depth=2
	s_or_b32 exec_lo, exec_lo, s15
	v_cmp_lt_i64_e32 vcc_lo, -1, v[80:81]
	; wave barrier
	v_cndmask_b32_e64 v90, -1, 0x80000000, vcc_lo
	s_delay_alu instid0(VALU_DEP_1) | instskip(NEXT) | instid1(VALU_DEP_1)
	v_dual_ashrrev_i32 v91, 31, v81 :: v_dual_bitop2_b32 v81, v90, v81 bitop3:0x14
	v_xor_b32_e32 v80, v91, v80
	s_delay_alu instid0(VALU_DEP_1) | instskip(SKIP_2) | instid1(VALU_DEP_1)
	v_cmp_ne_u64_e32 vcc_lo, s[42:43], v[80:81]
	v_cndmask_b32_e32 v91, 0x80000000, v81, vcc_lo
	v_cndmask_b32_e32 v90, 0, v80, vcc_lo
	v_lshrrev_b64 v[90:91], s54, v[90:91]
	s_delay_alu instid0(VALU_DEP_1) | instskip(SKIP_1) | instid1(VALU_DEP_2)
	v_bitop3_b32 v91, v90, 1, s59 bitop3:0x80
	v_and_b32_e32 v92, s59, v90
	v_add_co_u32 v90, s15, v91, -1
	s_delay_alu instid0(VALU_DEP_1) | instskip(NEXT) | instid1(VALU_DEP_3)
	v_cndmask_b32_e64 v91, 0, 1, s15
	v_dual_lshlrev_b32 v93, 30, v92 :: v_dual_lshlrev_b32 v95, 28, v92
	v_dual_lshlrev_b32 v94, 29, v92 :: v_dual_lshlrev_b32 v96, 27, v92
	s_delay_alu instid0(VALU_DEP_3) | instskip(NEXT) | instid1(VALU_DEP_3)
	v_cmp_ne_u32_e32 vcc_lo, 0, v91
	v_cmp_gt_i32_e64 s15, 0, v93
	v_not_b32_e32 v91, v93
	s_delay_alu instid0(VALU_DEP_4) | instskip(SKIP_4) | instid1(VALU_DEP_4)
	v_cmp_gt_i32_e64 s16, 0, v94
	v_not_b32_e32 v93, v94
	v_cmp_gt_i32_e64 s17, 0, v95
	v_not_b32_e32 v94, v95
	v_not_b32_e32 v95, v96
	v_dual_ashrrev_i32 v91, 31, v91 :: v_dual_ashrrev_i32 v93, 31, v93
	s_delay_alu instid0(VALU_DEP_2) | instskip(SKIP_4) | instid1(VALU_DEP_4)
	v_dual_ashrrev_i32 v94, 31, v94 :: v_dual_ashrrev_i32 v95, 31, v95
	v_dual_lshlrev_b32 v97, 26, v92 :: v_dual_lshlrev_b32 v199, 25, v92
	v_lshlrev_b32_e32 v200, 24, v92
	v_cmp_gt_i32_e64 s18, 0, v96
	v_xor_b32_e32 v91, s15, v91
	v_not_b32_e32 v96, v97
	v_xor_b32_e32 v90, vcc_lo, v90
	v_cmp_gt_i32_e64 s19, 0, v97
	v_cmp_gt_i32_e64 s20, 0, v199
	v_not_b32_e32 v97, v199
	v_not_b32_e32 v199, v200
	v_dual_ashrrev_i32 v96, 31, v96 :: v_dual_bitop2_b32 v93, s16, v93 bitop3:0x14
	v_xor_b32_e32 v94, s17, v94
	v_bitop3_b32 v90, v90, v91, exec_lo bitop3:0x80
	v_cmp_gt_i32_e64 s21, 0, v200
	v_dual_ashrrev_i32 v91, 31, v97 :: v_dual_ashrrev_i32 v97, 31, v199
	v_xor_b32_e32 v95, s18, v95
	v_xor_b32_e32 v96, s19, v96
	v_bitop3_b32 v90, v90, v94, v93 bitop3:0x80
	v_mad_u32_u24 v93, v92, 36, v148
	v_xor_b32_e32 v91, s20, v91
	v_xor_b32_e32 v94, s21, v97
	s_delay_alu instid0(VALU_DEP_4) | instskip(SKIP_3) | instid1(VALU_DEP_2)
	v_bitop3_b32 v90, v90, v96, v95 bitop3:0x80
	ds_load_b32 v199, v93 offset:1056
	; wave barrier
	v_bitop3_b32 v90, v90, v94, v91 bitop3:0x80
	v_mul_u32_u24_e32 v91, 36, v92
	v_mbcnt_lo_u32_b32 v200, v90, 0
	v_cmp_ne_u32_e64 s15, 0, v90
	s_delay_alu instid0(VALU_DEP_3) | instskip(NEXT) | instid1(VALU_DEP_3)
	v_add_nc_u32_e32 v201, v148, v91
	v_cmp_eq_u32_e32 vcc_lo, 0, v200
	s_and_b32 s16, s15, vcc_lo
	s_delay_alu instid0(SALU_CYCLE_1)
	s_and_saveexec_b32 s15, s16
	s_cbranch_execz .LBB1245_451
; %bb.450:                              ;   in Loop: Header=BB1245_393 Depth=2
	s_wait_dscnt 0x0
	v_bcnt_u32_b32 v90, v90, v199
	ds_store_b32 v201, v90 offset:1056
.LBB1245_451:                           ;   in Loop: Header=BB1245_393 Depth=2
	s_or_b32 exec_lo, exec_lo, s15
	v_cmp_lt_i64_e32 vcc_lo, -1, v[76:77]
	; wave barrier
	v_cndmask_b32_e64 v90, -1, 0x80000000, vcc_lo
	s_delay_alu instid0(VALU_DEP_1) | instskip(NEXT) | instid1(VALU_DEP_1)
	v_dual_ashrrev_i32 v91, 31, v77 :: v_dual_bitop2_b32 v77, v90, v77 bitop3:0x14
	v_xor_b32_e32 v76, v91, v76
	s_delay_alu instid0(VALU_DEP_1) | instskip(SKIP_2) | instid1(VALU_DEP_1)
	v_cmp_ne_u64_e32 vcc_lo, s[42:43], v[76:77]
	v_cndmask_b32_e32 v91, 0x80000000, v77, vcc_lo
	v_cndmask_b32_e32 v90, 0, v76, vcc_lo
	v_lshrrev_b64 v[90:91], s54, v[90:91]
	s_delay_alu instid0(VALU_DEP_1) | instskip(SKIP_1) | instid1(VALU_DEP_2)
	v_bitop3_b32 v91, v90, 1, s59 bitop3:0x80
	v_and_b32_e32 v92, s59, v90
	v_add_co_u32 v90, s15, v91, -1
	s_delay_alu instid0(VALU_DEP_1) | instskip(NEXT) | instid1(VALU_DEP_3)
	v_cndmask_b32_e64 v91, 0, 1, s15
	v_dual_lshlrev_b32 v93, 30, v92 :: v_dual_lshlrev_b32 v95, 28, v92
	v_dual_lshlrev_b32 v94, 29, v92 :: v_dual_lshlrev_b32 v96, 27, v92
	s_delay_alu instid0(VALU_DEP_3) | instskip(NEXT) | instid1(VALU_DEP_3)
	v_cmp_ne_u32_e32 vcc_lo, 0, v91
	v_cmp_gt_i32_e64 s15, 0, v93
	v_not_b32_e32 v91, v93
	s_delay_alu instid0(VALU_DEP_4) | instskip(SKIP_4) | instid1(VALU_DEP_4)
	v_cmp_gt_i32_e64 s16, 0, v94
	v_not_b32_e32 v93, v94
	v_cmp_gt_i32_e64 s17, 0, v95
	v_not_b32_e32 v94, v95
	v_not_b32_e32 v95, v96
	v_dual_ashrrev_i32 v91, 31, v91 :: v_dual_ashrrev_i32 v93, 31, v93
	s_delay_alu instid0(VALU_DEP_2) | instskip(SKIP_4) | instid1(VALU_DEP_4)
	v_dual_ashrrev_i32 v94, 31, v94 :: v_dual_ashrrev_i32 v95, 31, v95
	v_dual_lshlrev_b32 v97, 26, v92 :: v_dual_lshlrev_b32 v202, 25, v92
	v_lshlrev_b32_e32 v203, 24, v92
	v_cmp_gt_i32_e64 s18, 0, v96
	v_xor_b32_e32 v91, s15, v91
	v_not_b32_e32 v96, v97
	v_xor_b32_e32 v90, vcc_lo, v90
	v_cmp_gt_i32_e64 s19, 0, v97
	v_cmp_gt_i32_e64 s20, 0, v202
	v_not_b32_e32 v97, v202
	v_not_b32_e32 v202, v203
	v_dual_ashrrev_i32 v96, 31, v96 :: v_dual_bitop2_b32 v93, s16, v93 bitop3:0x14
	v_xor_b32_e32 v94, s17, v94
	v_bitop3_b32 v90, v90, v91, exec_lo bitop3:0x80
	v_cmp_gt_i32_e64 s21, 0, v203
	v_dual_ashrrev_i32 v91, 31, v97 :: v_dual_ashrrev_i32 v97, 31, v202
	v_xor_b32_e32 v95, s18, v95
	v_xor_b32_e32 v96, s19, v96
	v_bitop3_b32 v90, v90, v94, v93 bitop3:0x80
	v_mad_u32_u24 v93, v92, 36, v148
	v_xor_b32_e32 v91, s20, v91
	v_xor_b32_e32 v94, s21, v97
	s_delay_alu instid0(VALU_DEP_4) | instskip(SKIP_3) | instid1(VALU_DEP_2)
	v_bitop3_b32 v90, v90, v96, v95 bitop3:0x80
	ds_load_b32 v202, v93 offset:1056
	; wave barrier
	v_bitop3_b32 v90, v90, v94, v91 bitop3:0x80
	v_mul_u32_u24_e32 v91, 36, v92
	v_mbcnt_lo_u32_b32 v203, v90, 0
	v_cmp_ne_u32_e64 s15, 0, v90
	s_delay_alu instid0(VALU_DEP_3) | instskip(NEXT) | instid1(VALU_DEP_3)
	v_add_nc_u32_e32 v204, v148, v91
	v_cmp_eq_u32_e32 vcc_lo, 0, v203
	s_and_b32 s16, s15, vcc_lo
	s_delay_alu instid0(SALU_CYCLE_1)
	s_and_saveexec_b32 s15, s16
	s_cbranch_execz .LBB1245_453
; %bb.452:                              ;   in Loop: Header=BB1245_393 Depth=2
	s_wait_dscnt 0x0
	v_bcnt_u32_b32 v90, v90, v202
	ds_store_b32 v204, v90 offset:1056
.LBB1245_453:                           ;   in Loop: Header=BB1245_393 Depth=2
	s_or_b32 exec_lo, exec_lo, s15
	v_cmp_lt_i64_e32 vcc_lo, -1, v[72:73]
	; wave barrier
	v_cndmask_b32_e64 v90, -1, 0x80000000, vcc_lo
	s_delay_alu instid0(VALU_DEP_1) | instskip(NEXT) | instid1(VALU_DEP_1)
	v_dual_ashrrev_i32 v91, 31, v73 :: v_dual_bitop2_b32 v73, v90, v73 bitop3:0x14
	v_xor_b32_e32 v72, v91, v72
	s_delay_alu instid0(VALU_DEP_1) | instskip(SKIP_2) | instid1(VALU_DEP_1)
	v_cmp_ne_u64_e32 vcc_lo, s[42:43], v[72:73]
	v_cndmask_b32_e32 v91, 0x80000000, v73, vcc_lo
	v_cndmask_b32_e32 v90, 0, v72, vcc_lo
	v_lshrrev_b64 v[90:91], s54, v[90:91]
	s_delay_alu instid0(VALU_DEP_1) | instskip(SKIP_1) | instid1(VALU_DEP_2)
	v_bitop3_b32 v91, v90, 1, s59 bitop3:0x80
	v_and_b32_e32 v92, s59, v90
	v_add_co_u32 v90, s15, v91, -1
	s_delay_alu instid0(VALU_DEP_1) | instskip(NEXT) | instid1(VALU_DEP_3)
	v_cndmask_b32_e64 v91, 0, 1, s15
	v_dual_lshlrev_b32 v93, 30, v92 :: v_dual_lshlrev_b32 v95, 28, v92
	v_dual_lshlrev_b32 v94, 29, v92 :: v_dual_lshlrev_b32 v96, 27, v92
	s_delay_alu instid0(VALU_DEP_3) | instskip(NEXT) | instid1(VALU_DEP_3)
	v_cmp_ne_u32_e32 vcc_lo, 0, v91
	v_cmp_gt_i32_e64 s15, 0, v93
	v_not_b32_e32 v91, v93
	s_delay_alu instid0(VALU_DEP_4) | instskip(SKIP_4) | instid1(VALU_DEP_4)
	v_cmp_gt_i32_e64 s16, 0, v94
	v_not_b32_e32 v93, v94
	v_cmp_gt_i32_e64 s17, 0, v95
	v_not_b32_e32 v94, v95
	v_not_b32_e32 v95, v96
	v_dual_ashrrev_i32 v91, 31, v91 :: v_dual_ashrrev_i32 v93, 31, v93
	s_delay_alu instid0(VALU_DEP_2) | instskip(SKIP_4) | instid1(VALU_DEP_4)
	v_dual_ashrrev_i32 v94, 31, v94 :: v_dual_ashrrev_i32 v95, 31, v95
	v_dual_lshlrev_b32 v97, 26, v92 :: v_dual_lshlrev_b32 v205, 25, v92
	v_lshlrev_b32_e32 v206, 24, v92
	v_cmp_gt_i32_e64 s18, 0, v96
	v_xor_b32_e32 v91, s15, v91
	v_not_b32_e32 v96, v97
	v_xor_b32_e32 v90, vcc_lo, v90
	v_cmp_gt_i32_e64 s19, 0, v97
	v_cmp_gt_i32_e64 s20, 0, v205
	v_not_b32_e32 v97, v205
	v_not_b32_e32 v205, v206
	v_dual_ashrrev_i32 v96, 31, v96 :: v_dual_bitop2_b32 v93, s16, v93 bitop3:0x14
	v_xor_b32_e32 v94, s17, v94
	v_bitop3_b32 v90, v90, v91, exec_lo bitop3:0x80
	v_cmp_gt_i32_e64 s21, 0, v206
	v_ashrrev_i32_e32 v91, 31, v97
	v_dual_ashrrev_i32 v97, 31, v205 :: v_dual_bitop2_b32 v95, s18, v95 bitop3:0x14
	v_xor_b32_e32 v96, s19, v96
	v_bitop3_b32 v90, v90, v94, v93 bitop3:0x80
	v_mad_u32_u24 v93, v92, 36, v148
	v_xor_b32_e32 v91, s20, v91
	v_xor_b32_e32 v94, s21, v97
	s_delay_alu instid0(VALU_DEP_4) | instskip(SKIP_3) | instid1(VALU_DEP_2)
	v_bitop3_b32 v90, v90, v96, v95 bitop3:0x80
	ds_load_b32 v205, v93 offset:1056
	; wave barrier
	v_bitop3_b32 v90, v90, v94, v91 bitop3:0x80
	v_mul_u32_u24_e32 v91, 36, v92
	v_mbcnt_lo_u32_b32 v206, v90, 0
	v_cmp_ne_u32_e64 s15, 0, v90
	s_delay_alu instid0(VALU_DEP_3) | instskip(NEXT) | instid1(VALU_DEP_3)
	v_add_nc_u32_e32 v208, v148, v91
	v_cmp_eq_u32_e32 vcc_lo, 0, v206
	s_and_b32 s16, s15, vcc_lo
	s_delay_alu instid0(SALU_CYCLE_1)
	s_and_saveexec_b32 s15, s16
	s_cbranch_execz .LBB1245_455
; %bb.454:                              ;   in Loop: Header=BB1245_393 Depth=2
	s_wait_dscnt 0x0
	v_bcnt_u32_b32 v90, v90, v205
	ds_store_b32 v208, v90 offset:1056
.LBB1245_455:                           ;   in Loop: Header=BB1245_393 Depth=2
	s_or_b32 exec_lo, exec_lo, s15
	v_cmp_lt_i64_e32 vcc_lo, -1, v[68:69]
	; wave barrier
	v_cndmask_b32_e64 v90, -1, 0x80000000, vcc_lo
	s_delay_alu instid0(VALU_DEP_1) | instskip(NEXT) | instid1(VALU_DEP_1)
	v_dual_ashrrev_i32 v91, 31, v69 :: v_dual_bitop2_b32 v69, v90, v69 bitop3:0x14
	v_xor_b32_e32 v68, v91, v68
	s_delay_alu instid0(VALU_DEP_1) | instskip(SKIP_2) | instid1(VALU_DEP_1)
	v_cmp_ne_u64_e32 vcc_lo, s[42:43], v[68:69]
	v_cndmask_b32_e32 v91, 0x80000000, v69, vcc_lo
	v_cndmask_b32_e32 v90, 0, v68, vcc_lo
	v_lshrrev_b64 v[90:91], s54, v[90:91]
	s_delay_alu instid0(VALU_DEP_1) | instskip(SKIP_1) | instid1(VALU_DEP_2)
	v_bitop3_b32 v91, v90, 1, s59 bitop3:0x80
	v_and_b32_e32 v92, s59, v90
	v_add_co_u32 v90, s15, v91, -1
	s_delay_alu instid0(VALU_DEP_1) | instskip(NEXT) | instid1(VALU_DEP_3)
	v_cndmask_b32_e64 v91, 0, 1, s15
	v_dual_lshlrev_b32 v93, 30, v92 :: v_dual_lshlrev_b32 v95, 28, v92
	v_dual_lshlrev_b32 v94, 29, v92 :: v_dual_lshlrev_b32 v96, 27, v92
	s_delay_alu instid0(VALU_DEP_3) | instskip(NEXT) | instid1(VALU_DEP_3)
	v_cmp_ne_u32_e32 vcc_lo, 0, v91
	v_cmp_gt_i32_e64 s15, 0, v93
	v_not_b32_e32 v91, v93
	s_delay_alu instid0(VALU_DEP_4) | instskip(SKIP_4) | instid1(VALU_DEP_4)
	v_cmp_gt_i32_e64 s16, 0, v94
	v_not_b32_e32 v93, v94
	v_cmp_gt_i32_e64 s17, 0, v95
	v_not_b32_e32 v94, v95
	v_not_b32_e32 v95, v96
	v_dual_ashrrev_i32 v91, 31, v91 :: v_dual_ashrrev_i32 v93, 31, v93
	s_delay_alu instid0(VALU_DEP_2) | instskip(SKIP_4) | instid1(VALU_DEP_4)
	v_dual_ashrrev_i32 v94, 31, v94 :: v_dual_ashrrev_i32 v95, 31, v95
	v_dual_lshlrev_b32 v97, 26, v92 :: v_dual_lshlrev_b32 v207, 25, v92
	v_lshlrev_b32_e32 v209, 24, v92
	v_cmp_gt_i32_e64 s18, 0, v96
	v_xor_b32_e32 v91, s15, v91
	v_not_b32_e32 v96, v97
	v_xor_b32_e32 v90, vcc_lo, v90
	v_cmp_gt_i32_e64 s19, 0, v97
	v_cmp_gt_i32_e64 s20, 0, v207
	v_not_b32_e32 v97, v207
	v_not_b32_e32 v207, v209
	v_dual_ashrrev_i32 v96, 31, v96 :: v_dual_bitop2_b32 v93, s16, v93 bitop3:0x14
	v_xor_b32_e32 v94, s17, v94
	v_bitop3_b32 v90, v90, v91, exec_lo bitop3:0x80
	v_cmp_gt_i32_e64 s21, 0, v209
	v_dual_ashrrev_i32 v91, 31, v97 :: v_dual_ashrrev_i32 v97, 31, v207
	v_xor_b32_e32 v95, s18, v95
	v_xor_b32_e32 v96, s19, v96
	v_bitop3_b32 v90, v90, v94, v93 bitop3:0x80
	v_mad_u32_u24 v93, v92, 36, v148
	v_xor_b32_e32 v91, s20, v91
	v_xor_b32_e32 v94, s21, v97
	s_delay_alu instid0(VALU_DEP_4) | instskip(SKIP_3) | instid1(VALU_DEP_2)
	v_bitop3_b32 v90, v90, v96, v95 bitop3:0x80
	ds_load_b32 v207, v93 offset:1056
	; wave barrier
	v_bitop3_b32 v90, v90, v94, v91 bitop3:0x80
	v_mul_u32_u24_e32 v91, 36, v92
	v_mbcnt_lo_u32_b32 v209, v90, 0
	v_cmp_ne_u32_e64 s15, 0, v90
	s_delay_alu instid0(VALU_DEP_3) | instskip(NEXT) | instid1(VALU_DEP_3)
	v_add_nc_u32_e32 v212, v148, v91
	v_cmp_eq_u32_e32 vcc_lo, 0, v209
	s_and_b32 s16, s15, vcc_lo
	s_delay_alu instid0(SALU_CYCLE_1)
	s_and_saveexec_b32 s15, s16
	s_cbranch_execz .LBB1245_457
; %bb.456:                              ;   in Loop: Header=BB1245_393 Depth=2
	s_wait_dscnt 0x0
	v_bcnt_u32_b32 v90, v90, v207
	ds_store_b32 v212, v90 offset:1056
.LBB1245_457:                           ;   in Loop: Header=BB1245_393 Depth=2
	s_or_b32 exec_lo, exec_lo, s15
	v_cmp_lt_i64_e32 vcc_lo, -1, v[64:65]
	; wave barrier
	v_cndmask_b32_e64 v90, -1, 0x80000000, vcc_lo
	s_delay_alu instid0(VALU_DEP_1) | instskip(NEXT) | instid1(VALU_DEP_1)
	v_dual_ashrrev_i32 v91, 31, v65 :: v_dual_bitop2_b32 v65, v90, v65 bitop3:0x14
	v_xor_b32_e32 v64, v91, v64
	s_delay_alu instid0(VALU_DEP_1) | instskip(SKIP_2) | instid1(VALU_DEP_1)
	v_cmp_ne_u64_e32 vcc_lo, s[42:43], v[64:65]
	v_cndmask_b32_e32 v91, 0x80000000, v65, vcc_lo
	v_cndmask_b32_e32 v90, 0, v64, vcc_lo
	v_lshrrev_b64 v[90:91], s54, v[90:91]
	s_delay_alu instid0(VALU_DEP_1) | instskip(SKIP_1) | instid1(VALU_DEP_2)
	v_bitop3_b32 v91, v90, 1, s59 bitop3:0x80
	v_and_b32_e32 v92, s59, v90
	v_add_co_u32 v90, s15, v91, -1
	s_delay_alu instid0(VALU_DEP_1) | instskip(NEXT) | instid1(VALU_DEP_3)
	v_cndmask_b32_e64 v91, 0, 1, s15
	v_dual_lshlrev_b32 v93, 30, v92 :: v_dual_lshlrev_b32 v95, 28, v92
	v_dual_lshlrev_b32 v94, 29, v92 :: v_dual_lshlrev_b32 v96, 27, v92
	s_delay_alu instid0(VALU_DEP_3) | instskip(NEXT) | instid1(VALU_DEP_3)
	v_cmp_ne_u32_e32 vcc_lo, 0, v91
	v_cmp_gt_i32_e64 s15, 0, v93
	v_not_b32_e32 v91, v93
	s_delay_alu instid0(VALU_DEP_4) | instskip(SKIP_4) | instid1(VALU_DEP_4)
	v_cmp_gt_i32_e64 s16, 0, v94
	v_not_b32_e32 v93, v94
	v_cmp_gt_i32_e64 s17, 0, v95
	v_not_b32_e32 v94, v95
	v_not_b32_e32 v95, v96
	v_dual_ashrrev_i32 v91, 31, v91 :: v_dual_ashrrev_i32 v93, 31, v93
	s_delay_alu instid0(VALU_DEP_2) | instskip(SKIP_4) | instid1(VALU_DEP_4)
	v_dual_ashrrev_i32 v94, 31, v94 :: v_dual_ashrrev_i32 v95, 31, v95
	v_dual_lshlrev_b32 v97, 26, v92 :: v_dual_lshlrev_b32 v210, 25, v92
	v_lshlrev_b32_e32 v211, 24, v92
	v_cmp_gt_i32_e64 s18, 0, v96
	v_xor_b32_e32 v91, s15, v91
	v_not_b32_e32 v96, v97
	v_xor_b32_e32 v90, vcc_lo, v90
	v_cmp_gt_i32_e64 s19, 0, v97
	v_cmp_gt_i32_e64 s20, 0, v210
	v_not_b32_e32 v97, v210
	v_not_b32_e32 v210, v211
	v_dual_ashrrev_i32 v96, 31, v96 :: v_dual_bitop2_b32 v93, s16, v93 bitop3:0x14
	v_xor_b32_e32 v94, s17, v94
	v_bitop3_b32 v90, v90, v91, exec_lo bitop3:0x80
	v_cmp_gt_i32_e64 s21, 0, v211
	v_dual_ashrrev_i32 v91, 31, v97 :: v_dual_ashrrev_i32 v97, 31, v210
	v_xor_b32_e32 v95, s18, v95
	v_xor_b32_e32 v96, s19, v96
	v_bitop3_b32 v90, v90, v94, v93 bitop3:0x80
	v_mad_u32_u24 v93, v92, 36, v148
	v_xor_b32_e32 v91, s20, v91
	v_xor_b32_e32 v94, s21, v97
	s_delay_alu instid0(VALU_DEP_4) | instskip(SKIP_3) | instid1(VALU_DEP_2)
	v_bitop3_b32 v90, v90, v96, v95 bitop3:0x80
	ds_load_b32 v210, v93 offset:1056
	; wave barrier
	v_bitop3_b32 v90, v90, v94, v91 bitop3:0x80
	v_mul_u32_u24_e32 v91, 36, v92
	v_mbcnt_lo_u32_b32 v211, v90, 0
	v_cmp_ne_u32_e64 s15, 0, v90
	s_delay_alu instid0(VALU_DEP_3) | instskip(NEXT) | instid1(VALU_DEP_3)
	v_add_nc_u32_e32 v215, v148, v91
	v_cmp_eq_u32_e32 vcc_lo, 0, v211
	s_and_b32 s16, s15, vcc_lo
	s_delay_alu instid0(SALU_CYCLE_1)
	s_and_saveexec_b32 s15, s16
	s_cbranch_execz .LBB1245_459
; %bb.458:                              ;   in Loop: Header=BB1245_393 Depth=2
	s_wait_dscnt 0x0
	v_bcnt_u32_b32 v90, v90, v210
	ds_store_b32 v215, v90 offset:1056
.LBB1245_459:                           ;   in Loop: Header=BB1245_393 Depth=2
	s_or_b32 exec_lo, exec_lo, s15
	v_cmp_lt_i64_e32 vcc_lo, -1, v[66:67]
	; wave barrier
	v_cndmask_b32_e64 v90, -1, 0x80000000, vcc_lo
	s_delay_alu instid0(VALU_DEP_1) | instskip(NEXT) | instid1(VALU_DEP_1)
	v_dual_ashrrev_i32 v91, 31, v67 :: v_dual_bitop2_b32 v67, v90, v67 bitop3:0x14
	v_xor_b32_e32 v66, v91, v66
	s_delay_alu instid0(VALU_DEP_1) | instskip(SKIP_2) | instid1(VALU_DEP_1)
	v_cmp_ne_u64_e32 vcc_lo, s[42:43], v[66:67]
	v_cndmask_b32_e32 v91, 0x80000000, v67, vcc_lo
	v_cndmask_b32_e32 v90, 0, v66, vcc_lo
	v_lshrrev_b64 v[90:91], s54, v[90:91]
	s_delay_alu instid0(VALU_DEP_1) | instskip(SKIP_1) | instid1(VALU_DEP_2)
	v_bitop3_b32 v91, v90, 1, s59 bitop3:0x80
	v_and_b32_e32 v92, s59, v90
	v_add_co_u32 v90, s15, v91, -1
	s_delay_alu instid0(VALU_DEP_1) | instskip(NEXT) | instid1(VALU_DEP_3)
	v_cndmask_b32_e64 v91, 0, 1, s15
	v_lshlrev_b32_e32 v93, 30, v92
	s_delay_alu instid0(VALU_DEP_2) | instskip(NEXT) | instid1(VALU_DEP_2)
	v_cmp_ne_u32_e32 vcc_lo, 0, v91
	v_not_b32_e32 v91, v93
	v_cmp_gt_i32_e64 s15, 0, v93
	s_delay_alu instid0(VALU_DEP_2) | instskip(SKIP_3) | instid1(VALU_DEP_4)
	v_dual_ashrrev_i32 v91, 31, v91 :: v_dual_lshlrev_b32 v94, 29, v92
	v_dual_lshlrev_b32 v95, 28, v92 :: v_dual_lshlrev_b32 v96, 27, v92
	v_dual_lshlrev_b32 v97, 26, v92 :: v_dual_lshlrev_b32 v213, 25, v92
	v_lshlrev_b32_e32 v214, 24, v92
	v_cmp_gt_i32_e64 s16, 0, v94
	v_not_b32_e32 v93, v94
	v_not_b32_e32 v94, v95
	v_cmp_gt_i32_e64 s17, 0, v95
	v_cmp_gt_i32_e64 s18, 0, v96
	v_not_b32_e32 v95, v96
	v_not_b32_e32 v96, v97
	v_dual_ashrrev_i32 v93, 31, v93 :: v_dual_bitop2_b32 v90, vcc_lo, v90 bitop3:0x14
	v_dual_ashrrev_i32 v94, 31, v94 :: v_dual_bitop2_b32 v91, s15, v91 bitop3:0x14
	v_cmp_gt_i32_e64 s19, 0, v97
	v_cmp_gt_i32_e64 s20, 0, v213
	v_not_b32_e32 v97, v213
	v_not_b32_e32 v213, v214
	v_dual_ashrrev_i32 v95, 31, v95 :: v_dual_ashrrev_i32 v96, 31, v96
	v_xor_b32_e32 v93, s16, v93
	v_xor_b32_e32 v94, s17, v94
	v_bitop3_b32 v90, v90, v91, exec_lo bitop3:0x80
	v_cmp_gt_i32_e64 s21, 0, v214
	v_ashrrev_i32_e32 v91, 31, v97
	v_dual_ashrrev_i32 v97, 31, v213 :: v_dual_bitop2_b32 v95, s18, v95 bitop3:0x14
	v_xor_b32_e32 v96, s19, v96
	v_bitop3_b32 v90, v90, v94, v93 bitop3:0x80
	v_mad_u32_u24 v93, v92, 36, v148
	v_xor_b32_e32 v91, s20, v91
	v_xor_b32_e32 v94, s21, v97
	s_delay_alu instid0(VALU_DEP_4) | instskip(SKIP_3) | instid1(VALU_DEP_2)
	v_bitop3_b32 v90, v90, v96, v95 bitop3:0x80
	ds_load_b32 v213, v93 offset:1056
	; wave barrier
	v_bitop3_b32 v90, v90, v94, v91 bitop3:0x80
	v_mul_u32_u24_e32 v91, 36, v92
	v_mbcnt_lo_u32_b32 v214, v90, 0
	v_cmp_ne_u32_e64 s15, 0, v90
	s_delay_alu instid0(VALU_DEP_3) | instskip(NEXT) | instid1(VALU_DEP_3)
	v_add_nc_u32_e32 v216, v148, v91
	v_cmp_eq_u32_e32 vcc_lo, 0, v214
	s_and_b32 s16, s15, vcc_lo
	s_delay_alu instid0(SALU_CYCLE_1)
	s_and_saveexec_b32 s15, s16
	s_cbranch_execz .LBB1245_461
; %bb.460:                              ;   in Loop: Header=BB1245_393 Depth=2
	s_wait_dscnt 0x0
	v_bcnt_u32_b32 v90, v90, v213
	ds_store_b32 v216, v90 offset:1056
.LBB1245_461:                           ;   in Loop: Header=BB1245_393 Depth=2
	s_or_b32 exec_lo, exec_lo, s15
	; wave barrier
	s_wait_dscnt 0x0
	s_barrier_signal -1
	s_barrier_wait -1
	ds_load_2addr_b32 v[96:97], v168 offset1:1
	ds_load_2addr_b32 v[94:95], v169 offset1:1
	ds_load_2addr_b32 v[92:93], v170 offset1:1
	ds_load_2addr_b32 v[90:91], v167 offset1:1
	ds_load_b32 v217, v120 offset:1088
	s_wait_dscnt 0x3
	v_add3_u32 v218, v97, v96, v94
	s_wait_dscnt 0x2
	s_delay_alu instid0(VALU_DEP_1) | instskip(SKIP_1) | instid1(VALU_DEP_1)
	v_add3_u32 v218, v218, v95, v92
	s_wait_dscnt 0x1
	v_add3_u32 v218, v218, v93, v90
	s_wait_dscnt 0x0
	s_delay_alu instid0(VALU_DEP_1) | instskip(NEXT) | instid1(VALU_DEP_1)
	v_add3_u32 v217, v218, v91, v217
	v_mov_b32_dpp v218, v217 row_shr:1 row_mask:0xf bank_mask:0xf
	s_delay_alu instid0(VALU_DEP_1) | instskip(NEXT) | instid1(VALU_DEP_1)
	v_cndmask_b32_e64 v218, v218, 0, s7
	v_add_nc_u32_e32 v217, v218, v217
	s_delay_alu instid0(VALU_DEP_1) | instskip(NEXT) | instid1(VALU_DEP_1)
	v_mov_b32_dpp v218, v217 row_shr:2 row_mask:0xf bank_mask:0xf
	v_cndmask_b32_e64 v218, 0, v218, s8
	s_delay_alu instid0(VALU_DEP_1) | instskip(NEXT) | instid1(VALU_DEP_1)
	v_add_nc_u32_e32 v217, v217, v218
	v_mov_b32_dpp v218, v217 row_shr:4 row_mask:0xf bank_mask:0xf
	s_delay_alu instid0(VALU_DEP_1) | instskip(NEXT) | instid1(VALU_DEP_1)
	v_cndmask_b32_e64 v218, 0, v218, s9
	v_add_nc_u32_e32 v217, v217, v218
	s_delay_alu instid0(VALU_DEP_1) | instskip(NEXT) | instid1(VALU_DEP_1)
	v_mov_b32_dpp v218, v217 row_shr:8 row_mask:0xf bank_mask:0xf
	v_cndmask_b32_e64 v218, 0, v218, s10
	s_delay_alu instid0(VALU_DEP_1) | instskip(SKIP_3) | instid1(VALU_DEP_1)
	v_add_nc_u32_e32 v217, v217, v218
	ds_swizzle_b32 v218, v217 offset:swizzle(BROADCAST,32,15)
	s_wait_dscnt 0x0
	v_cndmask_b32_e64 v218, v218, 0, s11
	v_add_nc_u32_e32 v217, v217, v218
	s_and_saveexec_b32 s15, s1
; %bb.462:                              ;   in Loop: Header=BB1245_393 Depth=2
	ds_store_b32 v114, v217 offset:1024
; %bb.463:                              ;   in Loop: Header=BB1245_393 Depth=2
	s_or_b32 exec_lo, exec_lo, s15
	s_wait_dscnt 0x0
	s_barrier_signal -1
	s_barrier_wait -1
	s_and_saveexec_b32 s15, s4
	s_cbranch_execz .LBB1245_465
; %bb.464:                              ;   in Loop: Header=BB1245_393 Depth=2
	ds_load_b32 v218, v122 offset:1024
	s_wait_dscnt 0x0
	v_mov_b32_dpp v219, v218 row_shr:1 row_mask:0xf bank_mask:0xf
	s_delay_alu instid0(VALU_DEP_1) | instskip(NEXT) | instid1(VALU_DEP_1)
	v_cndmask_b32_e64 v219, v219, 0, s12
	v_add_nc_u32_e32 v218, v219, v218
	s_delay_alu instid0(VALU_DEP_1) | instskip(NEXT) | instid1(VALU_DEP_1)
	v_mov_b32_dpp v219, v218 row_shr:2 row_mask:0xf bank_mask:0xf
	v_cndmask_b32_e64 v219, 0, v219, s13
	s_delay_alu instid0(VALU_DEP_1) | instskip(NEXT) | instid1(VALU_DEP_1)
	v_add_nc_u32_e32 v218, v218, v219
	v_mov_b32_dpp v219, v218 row_shr:4 row_mask:0xf bank_mask:0xf
	s_delay_alu instid0(VALU_DEP_1) | instskip(NEXT) | instid1(VALU_DEP_1)
	v_cndmask_b32_e64 v219, 0, v219, s14
	v_add_nc_u32_e32 v218, v218, v219
	ds_store_b32 v122, v218 offset:1024
.LBB1245_465:                           ;   in Loop: Header=BB1245_393 Depth=2
	s_or_b32 exec_lo, exec_lo, s15
	v_mov_b32_e32 v218, 0
	s_wait_dscnt 0x0
	s_barrier_signal -1
	s_barrier_wait -1
	s_and_saveexec_b32 s15, s5
; %bb.466:                              ;   in Loop: Header=BB1245_393 Depth=2
	ds_load_b32 v218, v114 offset:1020
; %bb.467:                              ;   in Loop: Header=BB1245_393 Depth=2
	s_or_b32 exec_lo, exec_lo, s15
	s_wait_dscnt 0x0
	v_add_nc_u32_e32 v217, v218, v217
	ds_bpermute_b32 v217, v147, v217
	s_wait_dscnt 0x0
	v_cndmask_b32_e64 v217, v217, v218, s6
	s_delay_alu instid0(VALU_DEP_1) | instskip(NEXT) | instid1(VALU_DEP_1)
	v_cndmask_b32_e64 v217, v217, 0, s2
	v_add_nc_u32_e32 v96, v217, v96
	s_delay_alu instid0(VALU_DEP_1) | instskip(NEXT) | instid1(VALU_DEP_1)
	v_add_nc_u32_e32 v97, v96, v97
	v_add_nc_u32_e32 v94, v97, v94
	s_delay_alu instid0(VALU_DEP_1) | instskip(NEXT) | instid1(VALU_DEP_1)
	v_add_nc_u32_e32 v95, v94, v95
	;; [unrolled: 3-line block ×3, first 2 shown]
	v_add_nc_u32_e32 v90, v93, v90
	s_delay_alu instid0(VALU_DEP_1)
	v_add_nc_u32_e32 v91, v90, v91
	ds_store_2addr_b32 v167, v93, v90 offset1:1
	ds_store_2addr_b32 v168, v217, v96 offset1:1
	;; [unrolled: 1-line block ×4, first 2 shown]
	ds_store_b32 v120, v91 offset:1088
	s_wait_dscnt 0x0
	s_barrier_signal -1
	s_barrier_wait -1
	ds_load_b32 v91, v171 offset:1056
	ds_load_b32 v96, v174 offset:1056
	;; [unrolled: 1-line block ×17, first 2 shown]
	v_mov_b32_e32 v90, 0x1000
	s_and_saveexec_b32 s15, s3
; %bb.468:                              ;   in Loop: Header=BB1245_393 Depth=2
	ds_load_b32 v90, v120 offset:1092
; %bb.469:                              ;   in Loop: Header=BB1245_393 Depth=2
	s_or_b32 exec_lo, exec_lo, s15
	s_wait_dscnt 0x0
	s_barrier_signal -1
	s_barrier_wait -1
	s_and_saveexec_b32 s15, s0
	s_cbranch_execz .LBB1245_471
; %bb.470:                              ;   in Loop: Header=BB1245_393 Depth=2
	ds_load_b32 v189, v3
	s_wait_dscnt 0x0
	v_sub_nc_u32_e32 v186, v189, v186
	ds_store_b32 v3, v186
.LBB1245_471:                           ;   in Loop: Header=BB1245_393 Depth=2
	s_or_b32 exec_lo, exec_lo, s15
	v_dual_lshlrev_b32 v166, 3, v166 :: v_dual_lshlrev_b32 v173, 3, v173
	v_lshlrev_b32_e32 v172, 3, v172
	v_dual_lshlrev_b32 v96, 3, v96 :: v_dual_lshlrev_b32 v95, 3, v95
	s_delay_alu instid0(VALU_DEP_3)
	v_lshl_add_u32 v91, v91, 3, v166
	v_dual_lshlrev_b32 v176, 3, v176 :: v_dual_lshlrev_b32 v166, 3, v175
	v_dual_lshlrev_b32 v175, 3, v179 :: v_dual_lshlrev_b32 v178, 3, v178
	v_lshlrev_b32_e32 v179, 3, v181
	ds_store_b64 v91, v[58:59] offset:1024
	v_dual_lshlrev_b32 v58, 3, v94 :: v_dual_lshlrev_b32 v181, 3, v93
	v_dual_lshlrev_b32 v59, 3, v182 :: v_dual_lshlrev_b32 v182, 3, v185
	v_lshlrev_b32_e32 v184, 3, v184
	v_lshlrev_b32_e32 v185, 3, v92
	v_add3_u32 v92, v173, v172, v96
	v_add3_u32 v93, v176, v166, v95
	;; [unrolled: 1-line block ×4, first 2 shown]
	v_lshlrev_b32_e32 v59, 3, v187
	v_add3_u32 v96, v182, v184, v185
	ds_store_b64 v92, v[60:61] offset:1024
	ds_store_b64 v93, v[62:63] offset:1024
	;; [unrolled: 1-line block ×5, first 2 shown]
	v_dual_lshlrev_b32 v58, 3, v188 :: v_dual_lshlrev_b32 v61, 3, v191
	v_dual_lshlrev_b32 v60, 3, v183 :: v_dual_lshlrev_b32 v62, 3, v190
	;; [unrolled: 1-line block ×3, first 2 shown]
	v_lshlrev_b32_e32 v71, 3, v193
	v_dual_lshlrev_b32 v74, 3, v177 :: v_dual_lshlrev_b32 v78, 3, v196
	v_dual_lshlrev_b32 v75, 3, v197 :: v_dual_lshlrev_b32 v79, 3, v174
	;; [unrolled: 1-line block ×3, first 2 shown]
	v_lshlrev_b32_e32 v171, 3, v171
	v_add3_u32 v60, v58, v59, v60
	v_add3_u32 v61, v61, v62, v63
	v_add3_u32 v62, v70, v71, v74
	v_add3_u32 v63, v75, v78, v79
	v_lshlrev_b32_e32 v59, 3, v202
	v_add3_u32 v70, v166, v172, v171
	ds_store_b64 v60, v[82:83] offset:1024
	ds_store_b64 v61, v[86:87] offset:1024
	;; [unrolled: 1-line block ×5, first 2 shown]
	v_dual_lshlrev_b32 v58, 3, v203 :: v_dual_lshlrev_b32 v71, 3, v170
	v_dual_lshlrev_b32 v74, 3, v206 :: v_dual_lshlrev_b32 v75, 3, v205
	;; [unrolled: 1-line block ×6, first 2 shown]
	v_lshlrev_b32_e32 v86, 3, v213
	v_lshlrev_b32_e32 v87, 3, v97
	v_add3_u32 v71, v58, v59, v71
	v_add3_u32 v74, v74, v75, v78
	;; [unrolled: 1-line block ×5, first 2 shown]
	v_cmp_lt_u32_e32 vcc_lo, v2, v165
	ds_store_b64 v71, v[76:77] offset:1024
	ds_store_b64 v74, v[72:73] offset:1024
	;; [unrolled: 1-line block ×5, first 2 shown]
	s_wait_dscnt 0x0
	s_barrier_signal -1
	s_barrier_wait -1
	s_and_saveexec_b32 s16, vcc_lo
	s_cbranch_execnz .LBB1245_540
; %bb.472:                              ;   in Loop: Header=BB1245_393 Depth=2
	s_or_b32 exec_lo, exec_lo, s16
	v_cmp_lt_u32_e64 s15, v98, v165
	s_and_saveexec_b32 s17, s15
	s_cbranch_execnz .LBB1245_541
.LBB1245_473:                           ;   in Loop: Header=BB1245_393 Depth=2
	s_or_b32 exec_lo, exec_lo, s17
	v_cmp_lt_u32_e64 s16, v99, v165
	s_and_saveexec_b32 s18, s16
	s_cbranch_execnz .LBB1245_542
.LBB1245_474:                           ;   in Loop: Header=BB1245_393 Depth=2
	s_or_b32 exec_lo, exec_lo, s18
	v_cmp_lt_u32_e64 s17, v100, v165
	s_and_saveexec_b32 s19, s17
	s_cbranch_execnz .LBB1245_543
.LBB1245_475:                           ;   in Loop: Header=BB1245_393 Depth=2
	s_or_b32 exec_lo, exec_lo, s19
	v_cmp_lt_u32_e64 s18, v101, v165
	s_and_saveexec_b32 s20, s18
	s_cbranch_execnz .LBB1245_544
.LBB1245_476:                           ;   in Loop: Header=BB1245_393 Depth=2
	s_or_b32 exec_lo, exec_lo, s20
	v_cmp_lt_u32_e64 s19, v102, v165
	s_and_saveexec_b32 s21, s19
	s_cbranch_execnz .LBB1245_545
.LBB1245_477:                           ;   in Loop: Header=BB1245_393 Depth=2
	s_or_b32 exec_lo, exec_lo, s21
	v_cmp_lt_u32_e64 s20, v103, v165
	s_and_saveexec_b32 s22, s20
	s_cbranch_execnz .LBB1245_546
.LBB1245_478:                           ;   in Loop: Header=BB1245_393 Depth=2
	s_or_b32 exec_lo, exec_lo, s22
	v_cmp_lt_u32_e64 s21, v104, v165
	s_and_saveexec_b32 s23, s21
	s_cbranch_execnz .LBB1245_547
.LBB1245_479:                           ;   in Loop: Header=BB1245_393 Depth=2
	s_or_b32 exec_lo, exec_lo, s23
	v_cmp_lt_u32_e64 s22, v105, v165
	s_and_saveexec_b32 s24, s22
	s_cbranch_execnz .LBB1245_548
.LBB1245_480:                           ;   in Loop: Header=BB1245_393 Depth=2
	s_or_b32 exec_lo, exec_lo, s24
	v_cmp_lt_u32_e64 s23, v106, v165
	s_and_saveexec_b32 s25, s23
	s_cbranch_execnz .LBB1245_549
.LBB1245_481:                           ;   in Loop: Header=BB1245_393 Depth=2
	s_or_b32 exec_lo, exec_lo, s25
	v_cmp_lt_u32_e64 s24, v107, v165
	s_and_saveexec_b32 s26, s24
	s_cbranch_execnz .LBB1245_550
.LBB1245_482:                           ;   in Loop: Header=BB1245_393 Depth=2
	s_or_b32 exec_lo, exec_lo, s26
	v_cmp_lt_u32_e64 s25, v108, v165
	s_and_saveexec_b32 s27, s25
	s_cbranch_execnz .LBB1245_551
.LBB1245_483:                           ;   in Loop: Header=BB1245_393 Depth=2
	s_or_b32 exec_lo, exec_lo, s27
	v_cmp_lt_u32_e64 s26, v109, v165
	s_and_saveexec_b32 s28, s26
	s_cbranch_execnz .LBB1245_552
.LBB1245_484:                           ;   in Loop: Header=BB1245_393 Depth=2
	s_or_b32 exec_lo, exec_lo, s28
	v_cmp_lt_u32_e64 s27, v110, v165
	s_and_saveexec_b32 s29, s27
	s_cbranch_execnz .LBB1245_553
.LBB1245_485:                           ;   in Loop: Header=BB1245_393 Depth=2
	s_or_b32 exec_lo, exec_lo, s29
	v_cmp_lt_u32_e64 s28, v111, v165
	s_and_saveexec_b32 s30, s28
	s_cbranch_execnz .LBB1245_554
.LBB1245_486:                           ;   in Loop: Header=BB1245_393 Depth=2
	s_or_b32 exec_lo, exec_lo, s30
	v_cmp_lt_u32_e64 s29, v112, v165
	s_and_saveexec_b32 s62, s29
	s_cbranch_execz .LBB1245_488
.LBB1245_487:                           ;   in Loop: Header=BB1245_393 Depth=2
	ds_load_b64 v[58:59], v123 offset:31744
	s_wait_dscnt 0x0
	v_cmp_ne_u64_e64 s30, s[42:43], v[58:59]
	s_delay_alu instid0(VALU_DEP_1) | instskip(SKIP_2) | instid1(VALU_DEP_2)
	v_cndmask_b32_e64 v65, 0x80000000, v59, s30
	v_cndmask_b32_e64 v64, 0, v58, s30
	v_cmp_lt_i64_e64 s30, -1, v[58:59]
	v_lshrrev_b64 v[64:65], s54, v[64:65]
	v_ashrrev_i32_e32 v65, 31, v59
	s_delay_alu instid0(VALU_DEP_3) | instskip(NEXT) | instid1(VALU_DEP_2)
	v_cndmask_b32_e64 v66, 0x80000000, -1, s30
	v_not_b32_e32 v65, v65
	s_delay_alu instid0(VALU_DEP_4) | instskip(NEXT) | instid1(VALU_DEP_1)
	v_and_b32_e32 v64, s59, v64
	v_dual_lshlrev_b32 v64, 2, v64 :: v_dual_bitop2_b32 v59, v66, v59 bitop3:0x14
	ds_load_b32 v64, v64
	s_wait_dscnt 0x0
	v_dual_add_nc_u32 v64, v64, v112 :: v_dual_bitop2_b32 v58, v65, v58 bitop3:0x14
	global_store_b64 v64, v[58:59], s[40:41] scale_offset
.LBB1245_488:                           ;   in Loop: Header=BB1245_393 Depth=2
	s_wait_xcnt 0x0
	s_or_b32 exec_lo, exec_lo, s62
	v_lshl_add_u64 v[58:59], s[34:35], 3, v[22:23]
	v_cmp_lt_u32_e64 s30, v129, v165
	s_and_saveexec_b32 s34, s30
	s_delay_alu instid0(SALU_CYCLE_1)
	s_xor_b32 s30, exec_lo, s34
	s_cbranch_execnz .LBB1245_555
; %bb.489:                              ;   in Loop: Header=BB1245_393 Depth=2
	s_or_b32 exec_lo, exec_lo, s30
	s_delay_alu instid0(SALU_CYCLE_1)
	s_mov_b32 s34, exec_lo
	v_cmpx_lt_u32_e64 v132, v165
	s_cbranch_execnz .LBB1245_556
.LBB1245_490:                           ;   in Loop: Header=BB1245_393 Depth=2
	s_or_b32 exec_lo, exec_lo, s34
	s_delay_alu instid0(SALU_CYCLE_1)
	s_mov_b32 s34, exec_lo
	v_cmpx_lt_u32_e64 v133, v165
	s_cbranch_execnz .LBB1245_557
.LBB1245_491:                           ;   in Loop: Header=BB1245_393 Depth=2
	s_or_b32 exec_lo, exec_lo, s34
	s_delay_alu instid0(SALU_CYCLE_1)
	s_mov_b32 s34, exec_lo
	v_cmpx_lt_u32_e64 v134, v165
	s_cbranch_execnz .LBB1245_558
.LBB1245_492:                           ;   in Loop: Header=BB1245_393 Depth=2
	s_or_b32 exec_lo, exec_lo, s34
	s_delay_alu instid0(SALU_CYCLE_1)
	s_mov_b32 s34, exec_lo
	v_cmpx_lt_u32_e64 v135, v165
	s_cbranch_execnz .LBB1245_559
.LBB1245_493:                           ;   in Loop: Header=BB1245_393 Depth=2
	s_or_b32 exec_lo, exec_lo, s34
	s_delay_alu instid0(SALU_CYCLE_1)
	s_mov_b32 s34, exec_lo
	v_cmpx_lt_u32_e64 v136, v165
	s_cbranch_execnz .LBB1245_560
.LBB1245_494:                           ;   in Loop: Header=BB1245_393 Depth=2
	s_or_b32 exec_lo, exec_lo, s34
	s_delay_alu instid0(SALU_CYCLE_1)
	s_mov_b32 s34, exec_lo
	v_cmpx_lt_u32_e64 v137, v165
	s_cbranch_execnz .LBB1245_561
.LBB1245_495:                           ;   in Loop: Header=BB1245_393 Depth=2
	s_or_b32 exec_lo, exec_lo, s34
	s_delay_alu instid0(SALU_CYCLE_1)
	s_mov_b32 s34, exec_lo
	v_cmpx_lt_u32_e64 v138, v165
	s_cbranch_execnz .LBB1245_562
.LBB1245_496:                           ;   in Loop: Header=BB1245_393 Depth=2
	s_or_b32 exec_lo, exec_lo, s34
	s_delay_alu instid0(SALU_CYCLE_1)
	s_mov_b32 s34, exec_lo
	v_cmpx_lt_u32_e64 v139, v165
	s_cbranch_execnz .LBB1245_563
.LBB1245_497:                           ;   in Loop: Header=BB1245_393 Depth=2
	s_or_b32 exec_lo, exec_lo, s34
	s_delay_alu instid0(SALU_CYCLE_1)
	s_mov_b32 s34, exec_lo
	v_cmpx_lt_u32_e64 v140, v165
	s_cbranch_execnz .LBB1245_564
.LBB1245_498:                           ;   in Loop: Header=BB1245_393 Depth=2
	s_or_b32 exec_lo, exec_lo, s34
	s_delay_alu instid0(SALU_CYCLE_1)
	s_mov_b32 s34, exec_lo
	v_cmpx_lt_u32_e64 v141, v165
	s_cbranch_execnz .LBB1245_565
.LBB1245_499:                           ;   in Loop: Header=BB1245_393 Depth=2
	s_or_b32 exec_lo, exec_lo, s34
	s_delay_alu instid0(SALU_CYCLE_1)
	s_mov_b32 s34, exec_lo
	v_cmpx_lt_u32_e64 v142, v165
	s_cbranch_execnz .LBB1245_566
.LBB1245_500:                           ;   in Loop: Header=BB1245_393 Depth=2
	s_or_b32 exec_lo, exec_lo, s34
	s_delay_alu instid0(SALU_CYCLE_1)
	s_mov_b32 s34, exec_lo
	v_cmpx_lt_u32_e64 v143, v165
	s_cbranch_execnz .LBB1245_567
.LBB1245_501:                           ;   in Loop: Header=BB1245_393 Depth=2
	s_or_b32 exec_lo, exec_lo, s34
	s_delay_alu instid0(SALU_CYCLE_1)
	s_mov_b32 s34, exec_lo
	v_cmpx_lt_u32_e64 v144, v165
	s_cbranch_execnz .LBB1245_568
.LBB1245_502:                           ;   in Loop: Header=BB1245_393 Depth=2
	s_or_b32 exec_lo, exec_lo, s34
	s_delay_alu instid0(SALU_CYCLE_1)
	s_mov_b32 s34, exec_lo
	v_cmpx_lt_u32_e64 v145, v165
	s_cbranch_execnz .LBB1245_569
.LBB1245_503:                           ;   in Loop: Header=BB1245_393 Depth=2
	s_or_b32 exec_lo, exec_lo, s34
	s_delay_alu instid0(SALU_CYCLE_1)
	s_mov_b32 s34, exec_lo
	v_cmpx_lt_u32_e64 v146, v165
	s_cbranch_execnz .LBB1245_570
.LBB1245_504:                           ;   in Loop: Header=BB1245_393 Depth=2
	s_or_b32 exec_lo, exec_lo, s34
	s_and_saveexec_b32 s34, vcc_lo
	s_cbranch_execnz .LBB1245_571
.LBB1245_505:                           ;   in Loop: Header=BB1245_393 Depth=2
	s_or_b32 exec_lo, exec_lo, s34
	s_and_saveexec_b32 s34, s15
	s_cbranch_execnz .LBB1245_572
.LBB1245_506:                           ;   in Loop: Header=BB1245_393 Depth=2
	s_or_b32 exec_lo, exec_lo, s34
	s_and_saveexec_b32 s34, s16
	s_cbranch_execnz .LBB1245_573
.LBB1245_507:                           ;   in Loop: Header=BB1245_393 Depth=2
	s_or_b32 exec_lo, exec_lo, s34
	s_and_saveexec_b32 s34, s17
	s_cbranch_execnz .LBB1245_574
.LBB1245_508:                           ;   in Loop: Header=BB1245_393 Depth=2
	s_or_b32 exec_lo, exec_lo, s34
	s_and_saveexec_b32 s34, s18
	s_cbranch_execnz .LBB1245_575
.LBB1245_509:                           ;   in Loop: Header=BB1245_393 Depth=2
	s_or_b32 exec_lo, exec_lo, s34
	s_and_saveexec_b32 s34, s19
	s_cbranch_execnz .LBB1245_576
.LBB1245_510:                           ;   in Loop: Header=BB1245_393 Depth=2
	s_or_b32 exec_lo, exec_lo, s34
	s_and_saveexec_b32 s34, s20
	s_cbranch_execnz .LBB1245_577
.LBB1245_511:                           ;   in Loop: Header=BB1245_393 Depth=2
	s_or_b32 exec_lo, exec_lo, s34
	s_and_saveexec_b32 s34, s21
	s_cbranch_execnz .LBB1245_578
.LBB1245_512:                           ;   in Loop: Header=BB1245_393 Depth=2
	s_or_b32 exec_lo, exec_lo, s34
	s_and_saveexec_b32 s34, s22
	s_cbranch_execnz .LBB1245_579
.LBB1245_513:                           ;   in Loop: Header=BB1245_393 Depth=2
	s_or_b32 exec_lo, exec_lo, s34
	s_and_saveexec_b32 s34, s23
	s_cbranch_execnz .LBB1245_580
.LBB1245_514:                           ;   in Loop: Header=BB1245_393 Depth=2
	s_or_b32 exec_lo, exec_lo, s34
	s_and_saveexec_b32 s34, s24
	s_cbranch_execnz .LBB1245_581
.LBB1245_515:                           ;   in Loop: Header=BB1245_393 Depth=2
	s_or_b32 exec_lo, exec_lo, s34
	s_and_saveexec_b32 s34, s25
	s_cbranch_execnz .LBB1245_582
.LBB1245_516:                           ;   in Loop: Header=BB1245_393 Depth=2
	s_or_b32 exec_lo, exec_lo, s34
	s_and_saveexec_b32 s34, s26
	s_cbranch_execnz .LBB1245_583
.LBB1245_517:                           ;   in Loop: Header=BB1245_393 Depth=2
	s_or_b32 exec_lo, exec_lo, s34
	s_and_saveexec_b32 s34, s27
	s_cbranch_execnz .LBB1245_584
.LBB1245_518:                           ;   in Loop: Header=BB1245_393 Depth=2
	s_or_b32 exec_lo, exec_lo, s34
	s_and_saveexec_b32 s34, s28
	s_cbranch_execnz .LBB1245_585
.LBB1245_519:                           ;   in Loop: Header=BB1245_393 Depth=2
	s_or_b32 exec_lo, exec_lo, s34
	s_and_saveexec_b32 s34, s29
	s_cbranch_execz .LBB1245_521
.LBB1245_520:                           ;   in Loop: Header=BB1245_393 Depth=2
	ds_load_b64 v[58:59], v123 offset:31744
	s_wait_dscnt 0x0
	v_cmp_ne_u64_e64 s30, s[42:43], v[58:59]
	s_delay_alu instid0(VALU_DEP_1) | instskip(SKIP_1) | instid1(VALU_DEP_1)
	v_cndmask_b32_e64 v59, 0x80000000, v59, s30
	v_cndmask_b32_e64 v58, 0, v58, s30
	v_lshrrev_b64 v[58:59], s54, v[58:59]
	s_delay_alu instid0(VALU_DEP_1)
	v_and_b32_e32 v149, s59, v58
.LBB1245_521:                           ;   in Loop: Header=BB1245_393 Depth=2
	s_or_b32 exec_lo, exec_lo, s34
	s_wait_loadcnt 0x0
	s_wait_storecnt 0x0
	s_barrier_signal -1
	s_barrier_wait -1
	ds_store_b64 v91, v[56:57] offset:1024
	ds_store_b64 v92, v[54:55] offset:1024
	;; [unrolled: 1-line block ×16, first 2 shown]
	s_wait_dscnt 0x0
	s_barrier_signal -1
	s_barrier_wait -1
	s_and_saveexec_b32 s30, vcc_lo
	s_cbranch_execnz .LBB1245_586
; %bb.522:                              ;   in Loop: Header=BB1245_393 Depth=2
	s_or_b32 exec_lo, exec_lo, s30
	s_and_saveexec_b32 s30, s15
	s_cbranch_execnz .LBB1245_587
.LBB1245_523:                           ;   in Loop: Header=BB1245_393 Depth=2
	s_or_b32 exec_lo, exec_lo, s30
	s_and_saveexec_b32 s15, s16
	s_cbranch_execnz .LBB1245_588
.LBB1245_524:                           ;   in Loop: Header=BB1245_393 Depth=2
	s_or_b32 exec_lo, exec_lo, s15
	s_and_saveexec_b32 s15, s17
	s_cbranch_execnz .LBB1245_589
.LBB1245_525:                           ;   in Loop: Header=BB1245_393 Depth=2
	s_or_b32 exec_lo, exec_lo, s15
	s_and_saveexec_b32 s15, s18
	s_cbranch_execnz .LBB1245_590
.LBB1245_526:                           ;   in Loop: Header=BB1245_393 Depth=2
	s_or_b32 exec_lo, exec_lo, s15
	s_and_saveexec_b32 s15, s19
	s_cbranch_execnz .LBB1245_591
.LBB1245_527:                           ;   in Loop: Header=BB1245_393 Depth=2
	s_or_b32 exec_lo, exec_lo, s15
	s_and_saveexec_b32 s15, s20
	s_cbranch_execnz .LBB1245_592
.LBB1245_528:                           ;   in Loop: Header=BB1245_393 Depth=2
	s_or_b32 exec_lo, exec_lo, s15
	s_and_saveexec_b32 s15, s21
	s_cbranch_execnz .LBB1245_593
.LBB1245_529:                           ;   in Loop: Header=BB1245_393 Depth=2
	s_or_b32 exec_lo, exec_lo, s15
	s_and_saveexec_b32 s15, s22
	s_cbranch_execnz .LBB1245_594
.LBB1245_530:                           ;   in Loop: Header=BB1245_393 Depth=2
	s_or_b32 exec_lo, exec_lo, s15
	s_and_saveexec_b32 s15, s23
	s_cbranch_execnz .LBB1245_595
.LBB1245_531:                           ;   in Loop: Header=BB1245_393 Depth=2
	s_or_b32 exec_lo, exec_lo, s15
	s_and_saveexec_b32 s15, s24
	s_cbranch_execnz .LBB1245_596
.LBB1245_532:                           ;   in Loop: Header=BB1245_393 Depth=2
	s_or_b32 exec_lo, exec_lo, s15
	s_and_saveexec_b32 s15, s25
	s_cbranch_execnz .LBB1245_597
.LBB1245_533:                           ;   in Loop: Header=BB1245_393 Depth=2
	s_or_b32 exec_lo, exec_lo, s15
	s_and_saveexec_b32 s15, s26
	s_cbranch_execnz .LBB1245_598
.LBB1245_534:                           ;   in Loop: Header=BB1245_393 Depth=2
	s_or_b32 exec_lo, exec_lo, s15
	s_and_saveexec_b32 s15, s27
	s_cbranch_execnz .LBB1245_599
.LBB1245_535:                           ;   in Loop: Header=BB1245_393 Depth=2
	s_or_b32 exec_lo, exec_lo, s15
	s_and_saveexec_b32 s15, s28
	s_cbranch_execnz .LBB1245_600
.LBB1245_536:                           ;   in Loop: Header=BB1245_393 Depth=2
	s_or_b32 exec_lo, exec_lo, s15
	s_and_saveexec_b32 s15, s29
	s_cbranch_execz .LBB1245_538
.LBB1245_537:                           ;   in Loop: Header=BB1245_393 Depth=2
	v_lshlrev_b32_e32 v58, 2, v149
	ds_load_b32 v60, v58
	ds_load_b64 v[58:59], v123 offset:31744
	s_wait_dscnt 0x1
	v_add_nc_u32_e32 v60, v60, v112
	s_wait_dscnt 0x0
	global_store_b64 v60, v[58:59], s[46:47] scale_offset
.LBB1245_538:                           ;   in Loop: Header=BB1245_393 Depth=2
	s_wait_xcnt 0x0
	s_or_b32 exec_lo, exec_lo, s15
	s_wait_storecnt 0x0
	s_barrier_signal -1
	s_barrier_wait -1
	s_and_saveexec_b32 s15, s0
	s_cbranch_execz .LBB1245_392
; %bb.539:                              ;   in Loop: Header=BB1245_393 Depth=2
	ds_load_b32 v58, v3
	s_wait_dscnt 0x0
	v_add_nc_u32_e32 v58, v58, v90
	ds_store_b32 v3, v58
	s_branch .LBB1245_392
.LBB1245_540:                           ;   in Loop: Header=BB1245_393 Depth=2
	ds_load_b64 v[58:59], v123 offset:1024
	s_wait_dscnt 0x0
	v_cmp_ne_u64_e64 s15, s[42:43], v[58:59]
	s_delay_alu instid0(VALU_DEP_1) | instskip(SKIP_2) | instid1(VALU_DEP_2)
	v_cndmask_b32_e64 v65, 0x80000000, v59, s15
	v_cndmask_b32_e64 v64, 0, v58, s15
	v_cmp_lt_i64_e64 s15, -1, v[58:59]
	v_lshrrev_b64 v[64:65], s54, v[64:65]
	v_ashrrev_i32_e32 v65, 31, v59
	s_delay_alu instid0(VALU_DEP_3) | instskip(NEXT) | instid1(VALU_DEP_2)
	v_cndmask_b32_e64 v66, 0x80000000, -1, s15
	v_not_b32_e32 v65, v65
	s_delay_alu instid0(VALU_DEP_4) | instskip(NEXT) | instid1(VALU_DEP_3)
	v_and_b32_e32 v64, s59, v64
	v_xor_b32_e32 v59, v66, v59
	s_delay_alu instid0(VALU_DEP_2)
	v_dual_lshlrev_b32 v64, 2, v64 :: v_dual_bitop2_b32 v58, v65, v58 bitop3:0x14
	ds_load_b32 v64, v64
	s_wait_dscnt 0x0
	v_add_nc_u32_e32 v64, v64, v2
	global_store_b64 v64, v[58:59], s[40:41] scale_offset
	s_wait_xcnt 0x0
	s_or_b32 exec_lo, exec_lo, s16
	v_cmp_lt_u32_e64 s15, v98, v165
	s_and_saveexec_b32 s17, s15
	s_cbranch_execz .LBB1245_473
.LBB1245_541:                           ;   in Loop: Header=BB1245_393 Depth=2
	ds_load_b64 v[58:59], v123 offset:3072
	s_wait_dscnt 0x0
	v_cmp_ne_u64_e64 s16, s[42:43], v[58:59]
	s_delay_alu instid0(VALU_DEP_1) | instskip(SKIP_2) | instid1(VALU_DEP_2)
	v_cndmask_b32_e64 v65, 0x80000000, v59, s16
	v_cndmask_b32_e64 v64, 0, v58, s16
	v_cmp_lt_i64_e64 s16, -1, v[58:59]
	v_lshrrev_b64 v[64:65], s54, v[64:65]
	v_ashrrev_i32_e32 v65, 31, v59
	s_delay_alu instid0(VALU_DEP_3) | instskip(NEXT) | instid1(VALU_DEP_2)
	v_cndmask_b32_e64 v66, 0x80000000, -1, s16
	v_not_b32_e32 v65, v65
	s_delay_alu instid0(VALU_DEP_4) | instskip(NEXT) | instid1(VALU_DEP_3)
	v_and_b32_e32 v64, s59, v64
	v_xor_b32_e32 v59, v66, v59
	s_delay_alu instid0(VALU_DEP_2)
	v_dual_lshlrev_b32 v64, 2, v64 :: v_dual_bitop2_b32 v58, v65, v58 bitop3:0x14
	ds_load_b32 v64, v64
	s_wait_dscnt 0x0
	v_add_nc_u32_e32 v64, v64, v98
	global_store_b64 v64, v[58:59], s[40:41] scale_offset
	s_wait_xcnt 0x0
	s_or_b32 exec_lo, exec_lo, s17
	v_cmp_lt_u32_e64 s16, v99, v165
	s_and_saveexec_b32 s18, s16
	s_cbranch_execz .LBB1245_474
.LBB1245_542:                           ;   in Loop: Header=BB1245_393 Depth=2
	ds_load_b64 v[58:59], v123 offset:5120
	s_wait_dscnt 0x0
	v_cmp_ne_u64_e64 s17, s[42:43], v[58:59]
	s_delay_alu instid0(VALU_DEP_1) | instskip(SKIP_2) | instid1(VALU_DEP_2)
	v_cndmask_b32_e64 v65, 0x80000000, v59, s17
	v_cndmask_b32_e64 v64, 0, v58, s17
	v_cmp_lt_i64_e64 s17, -1, v[58:59]
	v_lshrrev_b64 v[64:65], s54, v[64:65]
	v_ashrrev_i32_e32 v65, 31, v59
	s_delay_alu instid0(VALU_DEP_3) | instskip(NEXT) | instid1(VALU_DEP_2)
	v_cndmask_b32_e64 v66, 0x80000000, -1, s17
	v_not_b32_e32 v65, v65
	s_delay_alu instid0(VALU_DEP_4) | instskip(NEXT) | instid1(VALU_DEP_1)
	v_and_b32_e32 v64, s59, v64
	v_dual_lshlrev_b32 v64, 2, v64 :: v_dual_bitop2_b32 v59, v66, v59 bitop3:0x14
	ds_load_b32 v64, v64
	s_wait_dscnt 0x0
	v_dual_add_nc_u32 v64, v64, v99 :: v_dual_bitop2_b32 v58, v65, v58 bitop3:0x14
	global_store_b64 v64, v[58:59], s[40:41] scale_offset
	s_wait_xcnt 0x0
	s_or_b32 exec_lo, exec_lo, s18
	v_cmp_lt_u32_e64 s17, v100, v165
	s_and_saveexec_b32 s19, s17
	s_cbranch_execz .LBB1245_475
.LBB1245_543:                           ;   in Loop: Header=BB1245_393 Depth=2
	ds_load_b64 v[58:59], v123 offset:7168
	s_wait_dscnt 0x0
	v_cmp_ne_u64_e64 s18, s[42:43], v[58:59]
	s_delay_alu instid0(VALU_DEP_1) | instskip(SKIP_2) | instid1(VALU_DEP_2)
	v_cndmask_b32_e64 v65, 0x80000000, v59, s18
	v_cndmask_b32_e64 v64, 0, v58, s18
	v_cmp_lt_i64_e64 s18, -1, v[58:59]
	v_lshrrev_b64 v[64:65], s54, v[64:65]
	v_ashrrev_i32_e32 v65, 31, v59
	s_delay_alu instid0(VALU_DEP_3) | instskip(NEXT) | instid1(VALU_DEP_2)
	v_cndmask_b32_e64 v66, 0x80000000, -1, s18
	v_not_b32_e32 v65, v65
	s_delay_alu instid0(VALU_DEP_4) | instskip(NEXT) | instid1(VALU_DEP_1)
	v_and_b32_e32 v64, s59, v64
	v_dual_lshlrev_b32 v64, 2, v64 :: v_dual_bitop2_b32 v59, v66, v59 bitop3:0x14
	ds_load_b32 v64, v64
	s_wait_dscnt 0x0
	v_dual_add_nc_u32 v64, v64, v100 :: v_dual_bitop2_b32 v58, v65, v58 bitop3:0x14
	global_store_b64 v64, v[58:59], s[40:41] scale_offset
	s_wait_xcnt 0x0
	s_or_b32 exec_lo, exec_lo, s19
	v_cmp_lt_u32_e64 s18, v101, v165
	s_and_saveexec_b32 s20, s18
	s_cbranch_execz .LBB1245_476
.LBB1245_544:                           ;   in Loop: Header=BB1245_393 Depth=2
	ds_load_b64 v[58:59], v123 offset:9216
	s_wait_dscnt 0x0
	v_cmp_ne_u64_e64 s19, s[42:43], v[58:59]
	s_delay_alu instid0(VALU_DEP_1) | instskip(SKIP_2) | instid1(VALU_DEP_2)
	v_cndmask_b32_e64 v65, 0x80000000, v59, s19
	v_cndmask_b32_e64 v64, 0, v58, s19
	v_cmp_lt_i64_e64 s19, -1, v[58:59]
	v_lshrrev_b64 v[64:65], s54, v[64:65]
	v_ashrrev_i32_e32 v65, 31, v59
	s_delay_alu instid0(VALU_DEP_3) | instskip(NEXT) | instid1(VALU_DEP_2)
	v_cndmask_b32_e64 v66, 0x80000000, -1, s19
	v_not_b32_e32 v65, v65
	s_delay_alu instid0(VALU_DEP_4) | instskip(NEXT) | instid1(VALU_DEP_1)
	v_and_b32_e32 v64, s59, v64
	v_dual_lshlrev_b32 v64, 2, v64 :: v_dual_bitop2_b32 v59, v66, v59 bitop3:0x14
	ds_load_b32 v64, v64
	s_wait_dscnt 0x0
	v_dual_add_nc_u32 v64, v64, v101 :: v_dual_bitop2_b32 v58, v65, v58 bitop3:0x14
	global_store_b64 v64, v[58:59], s[40:41] scale_offset
	s_wait_xcnt 0x0
	s_or_b32 exec_lo, exec_lo, s20
	v_cmp_lt_u32_e64 s19, v102, v165
	s_and_saveexec_b32 s21, s19
	s_cbranch_execz .LBB1245_477
.LBB1245_545:                           ;   in Loop: Header=BB1245_393 Depth=2
	ds_load_b64 v[58:59], v123 offset:11264
	s_wait_dscnt 0x0
	v_cmp_ne_u64_e64 s20, s[42:43], v[58:59]
	s_delay_alu instid0(VALU_DEP_1) | instskip(SKIP_2) | instid1(VALU_DEP_2)
	v_cndmask_b32_e64 v65, 0x80000000, v59, s20
	v_cndmask_b32_e64 v64, 0, v58, s20
	v_cmp_lt_i64_e64 s20, -1, v[58:59]
	v_lshrrev_b64 v[64:65], s54, v[64:65]
	v_ashrrev_i32_e32 v65, 31, v59
	s_delay_alu instid0(VALU_DEP_3) | instskip(NEXT) | instid1(VALU_DEP_2)
	v_cndmask_b32_e64 v66, 0x80000000, -1, s20
	v_not_b32_e32 v65, v65
	s_delay_alu instid0(VALU_DEP_4) | instskip(NEXT) | instid1(VALU_DEP_3)
	v_and_b32_e32 v64, s59, v64
	v_xor_b32_e32 v59, v66, v59
	s_delay_alu instid0(VALU_DEP_2)
	v_dual_lshlrev_b32 v64, 2, v64 :: v_dual_bitop2_b32 v58, v65, v58 bitop3:0x14
	ds_load_b32 v64, v64
	s_wait_dscnt 0x0
	v_add_nc_u32_e32 v64, v64, v102
	global_store_b64 v64, v[58:59], s[40:41] scale_offset
	s_wait_xcnt 0x0
	s_or_b32 exec_lo, exec_lo, s21
	v_cmp_lt_u32_e64 s20, v103, v165
	s_and_saveexec_b32 s22, s20
	s_cbranch_execz .LBB1245_478
.LBB1245_546:                           ;   in Loop: Header=BB1245_393 Depth=2
	ds_load_b64 v[58:59], v123 offset:13312
	s_wait_dscnt 0x0
	v_cmp_ne_u64_e64 s21, s[42:43], v[58:59]
	s_delay_alu instid0(VALU_DEP_1) | instskip(SKIP_2) | instid1(VALU_DEP_2)
	v_cndmask_b32_e64 v65, 0x80000000, v59, s21
	v_cndmask_b32_e64 v64, 0, v58, s21
	v_cmp_lt_i64_e64 s21, -1, v[58:59]
	v_lshrrev_b64 v[64:65], s54, v[64:65]
	v_ashrrev_i32_e32 v65, 31, v59
	s_delay_alu instid0(VALU_DEP_3) | instskip(NEXT) | instid1(VALU_DEP_2)
	v_cndmask_b32_e64 v66, 0x80000000, -1, s21
	v_not_b32_e32 v65, v65
	s_delay_alu instid0(VALU_DEP_4) | instskip(NEXT) | instid1(VALU_DEP_1)
	v_and_b32_e32 v64, s59, v64
	v_dual_lshlrev_b32 v64, 2, v64 :: v_dual_bitop2_b32 v59, v66, v59 bitop3:0x14
	ds_load_b32 v64, v64
	s_wait_dscnt 0x0
	v_dual_add_nc_u32 v64, v64, v103 :: v_dual_bitop2_b32 v58, v65, v58 bitop3:0x14
	global_store_b64 v64, v[58:59], s[40:41] scale_offset
	s_wait_xcnt 0x0
	s_or_b32 exec_lo, exec_lo, s22
	v_cmp_lt_u32_e64 s21, v104, v165
	s_and_saveexec_b32 s23, s21
	s_cbranch_execz .LBB1245_479
.LBB1245_547:                           ;   in Loop: Header=BB1245_393 Depth=2
	ds_load_b64 v[58:59], v123 offset:15360
	s_wait_dscnt 0x0
	v_cmp_ne_u64_e64 s22, s[42:43], v[58:59]
	s_delay_alu instid0(VALU_DEP_1) | instskip(SKIP_2) | instid1(VALU_DEP_2)
	v_cndmask_b32_e64 v65, 0x80000000, v59, s22
	v_cndmask_b32_e64 v64, 0, v58, s22
	v_cmp_lt_i64_e64 s22, -1, v[58:59]
	v_lshrrev_b64 v[64:65], s54, v[64:65]
	v_ashrrev_i32_e32 v65, 31, v59
	s_delay_alu instid0(VALU_DEP_3) | instskip(NEXT) | instid1(VALU_DEP_2)
	v_cndmask_b32_e64 v66, 0x80000000, -1, s22
	v_not_b32_e32 v65, v65
	s_delay_alu instid0(VALU_DEP_4) | instskip(NEXT) | instid1(VALU_DEP_1)
	v_and_b32_e32 v64, s59, v64
	v_dual_lshlrev_b32 v64, 2, v64 :: v_dual_bitop2_b32 v59, v66, v59 bitop3:0x14
	ds_load_b32 v64, v64
	s_wait_dscnt 0x0
	v_dual_add_nc_u32 v64, v64, v104 :: v_dual_bitop2_b32 v58, v65, v58 bitop3:0x14
	global_store_b64 v64, v[58:59], s[40:41] scale_offset
	s_wait_xcnt 0x0
	s_or_b32 exec_lo, exec_lo, s23
	v_cmp_lt_u32_e64 s22, v105, v165
	s_and_saveexec_b32 s24, s22
	s_cbranch_execz .LBB1245_480
.LBB1245_548:                           ;   in Loop: Header=BB1245_393 Depth=2
	ds_load_b64 v[58:59], v123 offset:17408
	s_wait_dscnt 0x0
	v_cmp_ne_u64_e64 s23, s[42:43], v[58:59]
	s_delay_alu instid0(VALU_DEP_1) | instskip(SKIP_2) | instid1(VALU_DEP_2)
	v_cndmask_b32_e64 v65, 0x80000000, v59, s23
	v_cndmask_b32_e64 v64, 0, v58, s23
	v_cmp_lt_i64_e64 s23, -1, v[58:59]
	v_lshrrev_b64 v[64:65], s54, v[64:65]
	v_ashrrev_i32_e32 v65, 31, v59
	s_delay_alu instid0(VALU_DEP_3) | instskip(NEXT) | instid1(VALU_DEP_2)
	v_cndmask_b32_e64 v66, 0x80000000, -1, s23
	v_not_b32_e32 v65, v65
	s_delay_alu instid0(VALU_DEP_4) | instskip(NEXT) | instid1(VALU_DEP_1)
	v_and_b32_e32 v64, s59, v64
	v_dual_lshlrev_b32 v64, 2, v64 :: v_dual_bitop2_b32 v59, v66, v59 bitop3:0x14
	ds_load_b32 v64, v64
	s_wait_dscnt 0x0
	v_dual_add_nc_u32 v64, v64, v105 :: v_dual_bitop2_b32 v58, v65, v58 bitop3:0x14
	global_store_b64 v64, v[58:59], s[40:41] scale_offset
	s_wait_xcnt 0x0
	s_or_b32 exec_lo, exec_lo, s24
	v_cmp_lt_u32_e64 s23, v106, v165
	s_and_saveexec_b32 s25, s23
	s_cbranch_execz .LBB1245_481
.LBB1245_549:                           ;   in Loop: Header=BB1245_393 Depth=2
	ds_load_b64 v[58:59], v123 offset:19456
	s_wait_dscnt 0x0
	v_cmp_ne_u64_e64 s24, s[42:43], v[58:59]
	s_delay_alu instid0(VALU_DEP_1) | instskip(SKIP_2) | instid1(VALU_DEP_2)
	v_cndmask_b32_e64 v65, 0x80000000, v59, s24
	v_cndmask_b32_e64 v64, 0, v58, s24
	v_cmp_lt_i64_e64 s24, -1, v[58:59]
	v_lshrrev_b64 v[64:65], s54, v[64:65]
	v_ashrrev_i32_e32 v65, 31, v59
	s_delay_alu instid0(VALU_DEP_3) | instskip(NEXT) | instid1(VALU_DEP_2)
	v_cndmask_b32_e64 v66, 0x80000000, -1, s24
	v_not_b32_e32 v65, v65
	s_delay_alu instid0(VALU_DEP_4) | instskip(NEXT) | instid1(VALU_DEP_3)
	v_and_b32_e32 v64, s59, v64
	v_xor_b32_e32 v59, v66, v59
	s_delay_alu instid0(VALU_DEP_2)
	v_dual_lshlrev_b32 v64, 2, v64 :: v_dual_bitop2_b32 v58, v65, v58 bitop3:0x14
	ds_load_b32 v64, v64
	s_wait_dscnt 0x0
	v_add_nc_u32_e32 v64, v64, v106
	global_store_b64 v64, v[58:59], s[40:41] scale_offset
	s_wait_xcnt 0x0
	s_or_b32 exec_lo, exec_lo, s25
	v_cmp_lt_u32_e64 s24, v107, v165
	s_and_saveexec_b32 s26, s24
	s_cbranch_execz .LBB1245_482
.LBB1245_550:                           ;   in Loop: Header=BB1245_393 Depth=2
	ds_load_b64 v[58:59], v123 offset:21504
	s_wait_dscnt 0x0
	v_cmp_ne_u64_e64 s25, s[42:43], v[58:59]
	s_delay_alu instid0(VALU_DEP_1) | instskip(SKIP_2) | instid1(VALU_DEP_2)
	v_cndmask_b32_e64 v65, 0x80000000, v59, s25
	v_cndmask_b32_e64 v64, 0, v58, s25
	v_cmp_lt_i64_e64 s25, -1, v[58:59]
	v_lshrrev_b64 v[64:65], s54, v[64:65]
	v_ashrrev_i32_e32 v65, 31, v59
	s_delay_alu instid0(VALU_DEP_3) | instskip(NEXT) | instid1(VALU_DEP_2)
	v_cndmask_b32_e64 v66, 0x80000000, -1, s25
	v_not_b32_e32 v65, v65
	s_delay_alu instid0(VALU_DEP_4) | instskip(NEXT) | instid1(VALU_DEP_1)
	v_and_b32_e32 v64, s59, v64
	v_dual_lshlrev_b32 v64, 2, v64 :: v_dual_bitop2_b32 v59, v66, v59 bitop3:0x14
	ds_load_b32 v64, v64
	s_wait_dscnt 0x0
	v_dual_add_nc_u32 v64, v64, v107 :: v_dual_bitop2_b32 v58, v65, v58 bitop3:0x14
	global_store_b64 v64, v[58:59], s[40:41] scale_offset
	s_wait_xcnt 0x0
	s_or_b32 exec_lo, exec_lo, s26
	v_cmp_lt_u32_e64 s25, v108, v165
	s_and_saveexec_b32 s27, s25
	s_cbranch_execz .LBB1245_483
.LBB1245_551:                           ;   in Loop: Header=BB1245_393 Depth=2
	ds_load_b64 v[58:59], v123 offset:23552
	s_wait_dscnt 0x0
	v_cmp_ne_u64_e64 s26, s[42:43], v[58:59]
	s_delay_alu instid0(VALU_DEP_1) | instskip(SKIP_2) | instid1(VALU_DEP_2)
	v_cndmask_b32_e64 v65, 0x80000000, v59, s26
	v_cndmask_b32_e64 v64, 0, v58, s26
	v_cmp_lt_i64_e64 s26, -1, v[58:59]
	v_lshrrev_b64 v[64:65], s54, v[64:65]
	v_ashrrev_i32_e32 v65, 31, v59
	s_delay_alu instid0(VALU_DEP_3) | instskip(NEXT) | instid1(VALU_DEP_2)
	v_cndmask_b32_e64 v66, 0x80000000, -1, s26
	v_not_b32_e32 v65, v65
	s_delay_alu instid0(VALU_DEP_4) | instskip(NEXT) | instid1(VALU_DEP_1)
	v_and_b32_e32 v64, s59, v64
	v_dual_lshlrev_b32 v64, 2, v64 :: v_dual_bitop2_b32 v59, v66, v59 bitop3:0x14
	ds_load_b32 v64, v64
	s_wait_dscnt 0x0
	v_dual_add_nc_u32 v64, v64, v108 :: v_dual_bitop2_b32 v58, v65, v58 bitop3:0x14
	global_store_b64 v64, v[58:59], s[40:41] scale_offset
	s_wait_xcnt 0x0
	s_or_b32 exec_lo, exec_lo, s27
	v_cmp_lt_u32_e64 s26, v109, v165
	s_and_saveexec_b32 s28, s26
	s_cbranch_execz .LBB1245_484
.LBB1245_552:                           ;   in Loop: Header=BB1245_393 Depth=2
	ds_load_b64 v[58:59], v123 offset:25600
	s_wait_dscnt 0x0
	v_cmp_ne_u64_e64 s27, s[42:43], v[58:59]
	s_delay_alu instid0(VALU_DEP_1) | instskip(SKIP_2) | instid1(VALU_DEP_2)
	v_cndmask_b32_e64 v65, 0x80000000, v59, s27
	v_cndmask_b32_e64 v64, 0, v58, s27
	v_cmp_lt_i64_e64 s27, -1, v[58:59]
	v_lshrrev_b64 v[64:65], s54, v[64:65]
	v_ashrrev_i32_e32 v65, 31, v59
	s_delay_alu instid0(VALU_DEP_3) | instskip(NEXT) | instid1(VALU_DEP_2)
	v_cndmask_b32_e64 v66, 0x80000000, -1, s27
	v_not_b32_e32 v65, v65
	s_delay_alu instid0(VALU_DEP_4) | instskip(NEXT) | instid1(VALU_DEP_1)
	v_and_b32_e32 v64, s59, v64
	v_dual_lshlrev_b32 v64, 2, v64 :: v_dual_bitop2_b32 v59, v66, v59 bitop3:0x14
	ds_load_b32 v64, v64
	s_wait_dscnt 0x0
	v_dual_add_nc_u32 v64, v64, v109 :: v_dual_bitop2_b32 v58, v65, v58 bitop3:0x14
	global_store_b64 v64, v[58:59], s[40:41] scale_offset
	s_wait_xcnt 0x0
	s_or_b32 exec_lo, exec_lo, s28
	v_cmp_lt_u32_e64 s27, v110, v165
	s_and_saveexec_b32 s29, s27
	s_cbranch_execz .LBB1245_485
.LBB1245_553:                           ;   in Loop: Header=BB1245_393 Depth=2
	ds_load_b64 v[58:59], v123 offset:27648
	s_wait_dscnt 0x0
	v_cmp_ne_u64_e64 s28, s[42:43], v[58:59]
	s_delay_alu instid0(VALU_DEP_1) | instskip(SKIP_2) | instid1(VALU_DEP_2)
	v_cndmask_b32_e64 v65, 0x80000000, v59, s28
	v_cndmask_b32_e64 v64, 0, v58, s28
	v_cmp_lt_i64_e64 s28, -1, v[58:59]
	v_lshrrev_b64 v[64:65], s54, v[64:65]
	v_ashrrev_i32_e32 v65, 31, v59
	s_delay_alu instid0(VALU_DEP_3) | instskip(NEXT) | instid1(VALU_DEP_2)
	v_cndmask_b32_e64 v66, 0x80000000, -1, s28
	v_not_b32_e32 v65, v65
	s_delay_alu instid0(VALU_DEP_4) | instskip(NEXT) | instid1(VALU_DEP_3)
	v_and_b32_e32 v64, s59, v64
	v_xor_b32_e32 v59, v66, v59
	s_delay_alu instid0(VALU_DEP_2)
	v_dual_lshlrev_b32 v64, 2, v64 :: v_dual_bitop2_b32 v58, v65, v58 bitop3:0x14
	ds_load_b32 v64, v64
	s_wait_dscnt 0x0
	v_add_nc_u32_e32 v64, v64, v110
	global_store_b64 v64, v[58:59], s[40:41] scale_offset
	s_wait_xcnt 0x0
	s_or_b32 exec_lo, exec_lo, s29
	v_cmp_lt_u32_e64 s28, v111, v165
	s_and_saveexec_b32 s30, s28
	s_cbranch_execz .LBB1245_486
.LBB1245_554:                           ;   in Loop: Header=BB1245_393 Depth=2
	ds_load_b64 v[58:59], v123 offset:29696
	s_wait_dscnt 0x0
	v_cmp_ne_u64_e64 s29, s[42:43], v[58:59]
	s_delay_alu instid0(VALU_DEP_1) | instskip(SKIP_2) | instid1(VALU_DEP_2)
	v_cndmask_b32_e64 v65, 0x80000000, v59, s29
	v_cndmask_b32_e64 v64, 0, v58, s29
	v_cmp_lt_i64_e64 s29, -1, v[58:59]
	v_lshrrev_b64 v[64:65], s54, v[64:65]
	v_ashrrev_i32_e32 v65, 31, v59
	s_delay_alu instid0(VALU_DEP_3) | instskip(NEXT) | instid1(VALU_DEP_2)
	v_cndmask_b32_e64 v66, 0x80000000, -1, s29
	v_not_b32_e32 v65, v65
	s_delay_alu instid0(VALU_DEP_4) | instskip(NEXT) | instid1(VALU_DEP_1)
	v_and_b32_e32 v64, s59, v64
	v_dual_lshlrev_b32 v64, 2, v64 :: v_dual_bitop2_b32 v59, v66, v59 bitop3:0x14
	ds_load_b32 v64, v64
	s_wait_dscnt 0x0
	v_dual_add_nc_u32 v64, v64, v111 :: v_dual_bitop2_b32 v58, v65, v58 bitop3:0x14
	global_store_b64 v64, v[58:59], s[40:41] scale_offset
	s_wait_xcnt 0x0
	s_or_b32 exec_lo, exec_lo, s30
	v_cmp_lt_u32_e64 s29, v112, v165
	s_and_saveexec_b32 s62, s29
	s_cbranch_execnz .LBB1245_487
	s_branch .LBB1245_488
.LBB1245_555:                           ;   in Loop: Header=BB1245_393 Depth=2
	global_load_b64 v[56:57], v[58:59], off
	s_wait_xcnt 0x0
	s_or_b32 exec_lo, exec_lo, s30
	s_delay_alu instid0(SALU_CYCLE_1)
	s_mov_b32 s34, exec_lo
	v_cmpx_lt_u32_e64 v132, v165
	s_cbranch_execz .LBB1245_490
.LBB1245_556:                           ;   in Loop: Header=BB1245_393 Depth=2
	global_load_b64 v[54:55], v[58:59], off offset:256
	s_wait_xcnt 0x0
	s_or_b32 exec_lo, exec_lo, s34
	s_delay_alu instid0(SALU_CYCLE_1)
	s_mov_b32 s34, exec_lo
	v_cmpx_lt_u32_e64 v133, v165
	s_cbranch_execz .LBB1245_491
.LBB1245_557:                           ;   in Loop: Header=BB1245_393 Depth=2
	global_load_b64 v[52:53], v[58:59], off offset:512
	s_wait_xcnt 0x0
	s_or_b32 exec_lo, exec_lo, s34
	s_delay_alu instid0(SALU_CYCLE_1)
	s_mov_b32 s34, exec_lo
	v_cmpx_lt_u32_e64 v134, v165
	s_cbranch_execz .LBB1245_492
.LBB1245_558:                           ;   in Loop: Header=BB1245_393 Depth=2
	global_load_b64 v[50:51], v[58:59], off offset:768
	s_wait_xcnt 0x0
	s_or_b32 exec_lo, exec_lo, s34
	s_delay_alu instid0(SALU_CYCLE_1)
	s_mov_b32 s34, exec_lo
	v_cmpx_lt_u32_e64 v135, v165
	s_cbranch_execz .LBB1245_493
.LBB1245_559:                           ;   in Loop: Header=BB1245_393 Depth=2
	global_load_b64 v[48:49], v[58:59], off offset:1024
	s_wait_xcnt 0x0
	s_or_b32 exec_lo, exec_lo, s34
	s_delay_alu instid0(SALU_CYCLE_1)
	s_mov_b32 s34, exec_lo
	v_cmpx_lt_u32_e64 v136, v165
	s_cbranch_execz .LBB1245_494
.LBB1245_560:                           ;   in Loop: Header=BB1245_393 Depth=2
	global_load_b64 v[46:47], v[58:59], off offset:1280
	s_wait_xcnt 0x0
	s_or_b32 exec_lo, exec_lo, s34
	s_delay_alu instid0(SALU_CYCLE_1)
	s_mov_b32 s34, exec_lo
	v_cmpx_lt_u32_e64 v137, v165
	s_cbranch_execz .LBB1245_495
.LBB1245_561:                           ;   in Loop: Header=BB1245_393 Depth=2
	global_load_b64 v[44:45], v[58:59], off offset:1536
	s_wait_xcnt 0x0
	s_or_b32 exec_lo, exec_lo, s34
	s_delay_alu instid0(SALU_CYCLE_1)
	s_mov_b32 s34, exec_lo
	v_cmpx_lt_u32_e64 v138, v165
	s_cbranch_execz .LBB1245_496
.LBB1245_562:                           ;   in Loop: Header=BB1245_393 Depth=2
	global_load_b64 v[42:43], v[58:59], off offset:1792
	s_wait_xcnt 0x0
	s_or_b32 exec_lo, exec_lo, s34
	s_delay_alu instid0(SALU_CYCLE_1)
	s_mov_b32 s34, exec_lo
	v_cmpx_lt_u32_e64 v139, v165
	s_cbranch_execz .LBB1245_497
.LBB1245_563:                           ;   in Loop: Header=BB1245_393 Depth=2
	global_load_b64 v[40:41], v[58:59], off offset:2048
	s_wait_xcnt 0x0
	s_or_b32 exec_lo, exec_lo, s34
	s_delay_alu instid0(SALU_CYCLE_1)
	s_mov_b32 s34, exec_lo
	v_cmpx_lt_u32_e64 v140, v165
	s_cbranch_execz .LBB1245_498
.LBB1245_564:                           ;   in Loop: Header=BB1245_393 Depth=2
	global_load_b64 v[38:39], v[58:59], off offset:2304
	s_wait_xcnt 0x0
	s_or_b32 exec_lo, exec_lo, s34
	s_delay_alu instid0(SALU_CYCLE_1)
	s_mov_b32 s34, exec_lo
	v_cmpx_lt_u32_e64 v141, v165
	s_cbranch_execz .LBB1245_499
.LBB1245_565:                           ;   in Loop: Header=BB1245_393 Depth=2
	global_load_b64 v[36:37], v[58:59], off offset:2560
	s_wait_xcnt 0x0
	s_or_b32 exec_lo, exec_lo, s34
	s_delay_alu instid0(SALU_CYCLE_1)
	s_mov_b32 s34, exec_lo
	v_cmpx_lt_u32_e64 v142, v165
	s_cbranch_execz .LBB1245_500
.LBB1245_566:                           ;   in Loop: Header=BB1245_393 Depth=2
	global_load_b64 v[34:35], v[58:59], off offset:2816
	s_wait_xcnt 0x0
	s_or_b32 exec_lo, exec_lo, s34
	s_delay_alu instid0(SALU_CYCLE_1)
	s_mov_b32 s34, exec_lo
	v_cmpx_lt_u32_e64 v143, v165
	s_cbranch_execz .LBB1245_501
.LBB1245_567:                           ;   in Loop: Header=BB1245_393 Depth=2
	global_load_b64 v[32:33], v[58:59], off offset:3072
	s_wait_xcnt 0x0
	s_or_b32 exec_lo, exec_lo, s34
	s_delay_alu instid0(SALU_CYCLE_1)
	s_mov_b32 s34, exec_lo
	v_cmpx_lt_u32_e64 v144, v165
	s_cbranch_execz .LBB1245_502
.LBB1245_568:                           ;   in Loop: Header=BB1245_393 Depth=2
	global_load_b64 v[30:31], v[58:59], off offset:3328
	s_wait_xcnt 0x0
	s_or_b32 exec_lo, exec_lo, s34
	s_delay_alu instid0(SALU_CYCLE_1)
	s_mov_b32 s34, exec_lo
	v_cmpx_lt_u32_e64 v145, v165
	s_cbranch_execz .LBB1245_503
.LBB1245_569:                           ;   in Loop: Header=BB1245_393 Depth=2
	global_load_b64 v[28:29], v[58:59], off offset:3584
	s_wait_xcnt 0x0
	s_or_b32 exec_lo, exec_lo, s34
	s_delay_alu instid0(SALU_CYCLE_1)
	s_mov_b32 s34, exec_lo
	v_cmpx_lt_u32_e64 v146, v165
	s_cbranch_execz .LBB1245_504
.LBB1245_570:                           ;   in Loop: Header=BB1245_393 Depth=2
	global_load_b64 v[26:27], v[58:59], off offset:3840
	s_wait_xcnt 0x0
	s_or_b32 exec_lo, exec_lo, s34
	s_and_saveexec_b32 s34, vcc_lo
	s_cbranch_execz .LBB1245_505
.LBB1245_571:                           ;   in Loop: Header=BB1245_393 Depth=2
	ds_load_b64 v[58:59], v123 offset:1024
	s_wait_dscnt 0x0
	v_cmp_ne_u64_e64 s30, s[42:43], v[58:59]
	s_delay_alu instid0(VALU_DEP_1) | instskip(SKIP_1) | instid1(VALU_DEP_1)
	v_cndmask_b32_e64 v59, 0x80000000, v59, s30
	v_cndmask_b32_e64 v58, 0, v58, s30
	v_lshrrev_b64 v[58:59], s54, v[58:59]
	s_delay_alu instid0(VALU_DEP_1)
	v_and_b32_e32 v164, s59, v58
	s_or_b32 exec_lo, exec_lo, s34
	s_and_saveexec_b32 s34, s15
	s_cbranch_execz .LBB1245_506
.LBB1245_572:                           ;   in Loop: Header=BB1245_393 Depth=2
	ds_load_b64 v[58:59], v123 offset:3072
	s_wait_dscnt 0x0
	v_cmp_ne_u64_e64 s30, s[42:43], v[58:59]
	s_delay_alu instid0(VALU_DEP_1) | instskip(SKIP_1) | instid1(VALU_DEP_1)
	v_cndmask_b32_e64 v59, 0x80000000, v59, s30
	v_cndmask_b32_e64 v58, 0, v58, s30
	v_lshrrev_b64 v[58:59], s54, v[58:59]
	s_delay_alu instid0(VALU_DEP_1)
	v_and_b32_e32 v163, s59, v58
	s_or_b32 exec_lo, exec_lo, s34
	s_and_saveexec_b32 s34, s16
	s_cbranch_execz .LBB1245_507
.LBB1245_573:                           ;   in Loop: Header=BB1245_393 Depth=2
	ds_load_b64 v[58:59], v123 offset:5120
	s_wait_dscnt 0x0
	v_cmp_ne_u64_e64 s30, s[42:43], v[58:59]
	s_delay_alu instid0(VALU_DEP_1) | instskip(SKIP_1) | instid1(VALU_DEP_1)
	v_cndmask_b32_e64 v59, 0x80000000, v59, s30
	v_cndmask_b32_e64 v58, 0, v58, s30
	v_lshrrev_b64 v[58:59], s54, v[58:59]
	s_delay_alu instid0(VALU_DEP_1)
	v_and_b32_e32 v162, s59, v58
	s_or_b32 exec_lo, exec_lo, s34
	s_and_saveexec_b32 s34, s17
	s_cbranch_execz .LBB1245_508
.LBB1245_574:                           ;   in Loop: Header=BB1245_393 Depth=2
	ds_load_b64 v[58:59], v123 offset:7168
	s_wait_dscnt 0x0
	v_cmp_ne_u64_e64 s30, s[42:43], v[58:59]
	s_delay_alu instid0(VALU_DEP_1) | instskip(SKIP_1) | instid1(VALU_DEP_1)
	v_cndmask_b32_e64 v59, 0x80000000, v59, s30
	v_cndmask_b32_e64 v58, 0, v58, s30
	v_lshrrev_b64 v[58:59], s54, v[58:59]
	s_delay_alu instid0(VALU_DEP_1)
	v_and_b32_e32 v161, s59, v58
	s_or_b32 exec_lo, exec_lo, s34
	s_and_saveexec_b32 s34, s18
	s_cbranch_execz .LBB1245_509
.LBB1245_575:                           ;   in Loop: Header=BB1245_393 Depth=2
	ds_load_b64 v[58:59], v123 offset:9216
	s_wait_dscnt 0x0
	v_cmp_ne_u64_e64 s30, s[42:43], v[58:59]
	s_delay_alu instid0(VALU_DEP_1) | instskip(SKIP_1) | instid1(VALU_DEP_1)
	v_cndmask_b32_e64 v59, 0x80000000, v59, s30
	v_cndmask_b32_e64 v58, 0, v58, s30
	v_lshrrev_b64 v[58:59], s54, v[58:59]
	s_delay_alu instid0(VALU_DEP_1)
	v_and_b32_e32 v160, s59, v58
	s_or_b32 exec_lo, exec_lo, s34
	s_and_saveexec_b32 s34, s19
	s_cbranch_execz .LBB1245_510
.LBB1245_576:                           ;   in Loop: Header=BB1245_393 Depth=2
	ds_load_b64 v[58:59], v123 offset:11264
	s_wait_dscnt 0x0
	v_cmp_ne_u64_e64 s30, s[42:43], v[58:59]
	s_delay_alu instid0(VALU_DEP_1) | instskip(SKIP_1) | instid1(VALU_DEP_1)
	v_cndmask_b32_e64 v59, 0x80000000, v59, s30
	v_cndmask_b32_e64 v58, 0, v58, s30
	v_lshrrev_b64 v[58:59], s54, v[58:59]
	s_delay_alu instid0(VALU_DEP_1)
	v_and_b32_e32 v159, s59, v58
	s_or_b32 exec_lo, exec_lo, s34
	s_and_saveexec_b32 s34, s20
	s_cbranch_execz .LBB1245_511
.LBB1245_577:                           ;   in Loop: Header=BB1245_393 Depth=2
	ds_load_b64 v[58:59], v123 offset:13312
	s_wait_dscnt 0x0
	v_cmp_ne_u64_e64 s30, s[42:43], v[58:59]
	s_delay_alu instid0(VALU_DEP_1) | instskip(SKIP_1) | instid1(VALU_DEP_1)
	v_cndmask_b32_e64 v59, 0x80000000, v59, s30
	v_cndmask_b32_e64 v58, 0, v58, s30
	v_lshrrev_b64 v[58:59], s54, v[58:59]
	s_delay_alu instid0(VALU_DEP_1)
	v_and_b32_e32 v158, s59, v58
	s_or_b32 exec_lo, exec_lo, s34
	s_and_saveexec_b32 s34, s21
	s_cbranch_execz .LBB1245_512
.LBB1245_578:                           ;   in Loop: Header=BB1245_393 Depth=2
	ds_load_b64 v[58:59], v123 offset:15360
	s_wait_dscnt 0x0
	v_cmp_ne_u64_e64 s30, s[42:43], v[58:59]
	s_delay_alu instid0(VALU_DEP_1) | instskip(SKIP_1) | instid1(VALU_DEP_1)
	v_cndmask_b32_e64 v59, 0x80000000, v59, s30
	v_cndmask_b32_e64 v58, 0, v58, s30
	v_lshrrev_b64 v[58:59], s54, v[58:59]
	s_delay_alu instid0(VALU_DEP_1)
	v_and_b32_e32 v157, s59, v58
	s_or_b32 exec_lo, exec_lo, s34
	s_and_saveexec_b32 s34, s22
	s_cbranch_execz .LBB1245_513
.LBB1245_579:                           ;   in Loop: Header=BB1245_393 Depth=2
	ds_load_b64 v[58:59], v123 offset:17408
	s_wait_dscnt 0x0
	v_cmp_ne_u64_e64 s30, s[42:43], v[58:59]
	s_delay_alu instid0(VALU_DEP_1) | instskip(SKIP_1) | instid1(VALU_DEP_1)
	v_cndmask_b32_e64 v59, 0x80000000, v59, s30
	v_cndmask_b32_e64 v58, 0, v58, s30
	v_lshrrev_b64 v[58:59], s54, v[58:59]
	s_delay_alu instid0(VALU_DEP_1)
	v_and_b32_e32 v156, s59, v58
	s_or_b32 exec_lo, exec_lo, s34
	s_and_saveexec_b32 s34, s23
	s_cbranch_execz .LBB1245_514
.LBB1245_580:                           ;   in Loop: Header=BB1245_393 Depth=2
	ds_load_b64 v[58:59], v123 offset:19456
	s_wait_dscnt 0x0
	v_cmp_ne_u64_e64 s30, s[42:43], v[58:59]
	s_delay_alu instid0(VALU_DEP_1) | instskip(SKIP_1) | instid1(VALU_DEP_1)
	v_cndmask_b32_e64 v59, 0x80000000, v59, s30
	v_cndmask_b32_e64 v58, 0, v58, s30
	v_lshrrev_b64 v[58:59], s54, v[58:59]
	s_delay_alu instid0(VALU_DEP_1)
	v_and_b32_e32 v155, s59, v58
	s_or_b32 exec_lo, exec_lo, s34
	s_and_saveexec_b32 s34, s24
	s_cbranch_execz .LBB1245_515
.LBB1245_581:                           ;   in Loop: Header=BB1245_393 Depth=2
	ds_load_b64 v[58:59], v123 offset:21504
	s_wait_dscnt 0x0
	v_cmp_ne_u64_e64 s30, s[42:43], v[58:59]
	s_delay_alu instid0(VALU_DEP_1) | instskip(SKIP_1) | instid1(VALU_DEP_1)
	v_cndmask_b32_e64 v59, 0x80000000, v59, s30
	v_cndmask_b32_e64 v58, 0, v58, s30
	v_lshrrev_b64 v[58:59], s54, v[58:59]
	s_delay_alu instid0(VALU_DEP_1)
	v_and_b32_e32 v154, s59, v58
	s_or_b32 exec_lo, exec_lo, s34
	s_and_saveexec_b32 s34, s25
	s_cbranch_execz .LBB1245_516
.LBB1245_582:                           ;   in Loop: Header=BB1245_393 Depth=2
	ds_load_b64 v[58:59], v123 offset:23552
	s_wait_dscnt 0x0
	v_cmp_ne_u64_e64 s30, s[42:43], v[58:59]
	s_delay_alu instid0(VALU_DEP_1) | instskip(SKIP_1) | instid1(VALU_DEP_1)
	v_cndmask_b32_e64 v59, 0x80000000, v59, s30
	v_cndmask_b32_e64 v58, 0, v58, s30
	v_lshrrev_b64 v[58:59], s54, v[58:59]
	s_delay_alu instid0(VALU_DEP_1)
	v_and_b32_e32 v153, s59, v58
	s_or_b32 exec_lo, exec_lo, s34
	s_and_saveexec_b32 s34, s26
	s_cbranch_execz .LBB1245_517
.LBB1245_583:                           ;   in Loop: Header=BB1245_393 Depth=2
	ds_load_b64 v[58:59], v123 offset:25600
	s_wait_dscnt 0x0
	v_cmp_ne_u64_e64 s30, s[42:43], v[58:59]
	s_delay_alu instid0(VALU_DEP_1) | instskip(SKIP_1) | instid1(VALU_DEP_1)
	v_cndmask_b32_e64 v59, 0x80000000, v59, s30
	v_cndmask_b32_e64 v58, 0, v58, s30
	v_lshrrev_b64 v[58:59], s54, v[58:59]
	s_delay_alu instid0(VALU_DEP_1)
	v_and_b32_e32 v152, s59, v58
	s_or_b32 exec_lo, exec_lo, s34
	s_and_saveexec_b32 s34, s27
	s_cbranch_execz .LBB1245_518
.LBB1245_584:                           ;   in Loop: Header=BB1245_393 Depth=2
	ds_load_b64 v[58:59], v123 offset:27648
	s_wait_dscnt 0x0
	v_cmp_ne_u64_e64 s30, s[42:43], v[58:59]
	s_delay_alu instid0(VALU_DEP_1) | instskip(SKIP_1) | instid1(VALU_DEP_1)
	v_cndmask_b32_e64 v59, 0x80000000, v59, s30
	v_cndmask_b32_e64 v58, 0, v58, s30
	v_lshrrev_b64 v[58:59], s54, v[58:59]
	s_delay_alu instid0(VALU_DEP_1)
	v_and_b32_e32 v151, s59, v58
	s_or_b32 exec_lo, exec_lo, s34
	s_and_saveexec_b32 s34, s28
	s_cbranch_execz .LBB1245_519
.LBB1245_585:                           ;   in Loop: Header=BB1245_393 Depth=2
	ds_load_b64 v[58:59], v123 offset:29696
	s_wait_dscnt 0x0
	v_cmp_ne_u64_e64 s30, s[42:43], v[58:59]
	s_delay_alu instid0(VALU_DEP_1) | instskip(SKIP_1) | instid1(VALU_DEP_1)
	v_cndmask_b32_e64 v59, 0x80000000, v59, s30
	v_cndmask_b32_e64 v58, 0, v58, s30
	v_lshrrev_b64 v[58:59], s54, v[58:59]
	s_delay_alu instid0(VALU_DEP_1)
	v_and_b32_e32 v150, s59, v58
	s_or_b32 exec_lo, exec_lo, s34
	s_and_saveexec_b32 s34, s29
	s_cbranch_execnz .LBB1245_520
	s_branch .LBB1245_521
.LBB1245_586:                           ;   in Loop: Header=BB1245_393 Depth=2
	v_lshlrev_b32_e32 v58, 2, v164
	ds_load_b32 v60, v58
	ds_load_b64 v[58:59], v123 offset:1024
	s_wait_dscnt 0x1
	v_add_nc_u32_e32 v60, v60, v2
	s_wait_dscnt 0x0
	global_store_b64 v60, v[58:59], s[46:47] scale_offset
	s_wait_xcnt 0x0
	s_or_b32 exec_lo, exec_lo, s30
	s_and_saveexec_b32 s30, s15
	s_cbranch_execz .LBB1245_523
.LBB1245_587:                           ;   in Loop: Header=BB1245_393 Depth=2
	v_lshlrev_b32_e32 v58, 2, v163
	ds_load_b32 v60, v58
	ds_load_b64 v[58:59], v123 offset:3072
	s_wait_dscnt 0x1
	v_add_nc_u32_e32 v60, v60, v98
	s_wait_dscnt 0x0
	global_store_b64 v60, v[58:59], s[46:47] scale_offset
	s_wait_xcnt 0x0
	s_or_b32 exec_lo, exec_lo, s30
	s_and_saveexec_b32 s15, s16
	s_cbranch_execz .LBB1245_524
.LBB1245_588:                           ;   in Loop: Header=BB1245_393 Depth=2
	v_lshlrev_b32_e32 v58, 2, v162
	ds_load_b32 v60, v58
	ds_load_b64 v[58:59], v123 offset:5120
	s_wait_dscnt 0x1
	v_add_nc_u32_e32 v60, v60, v99
	s_wait_dscnt 0x0
	global_store_b64 v60, v[58:59], s[46:47] scale_offset
	s_wait_xcnt 0x0
	s_or_b32 exec_lo, exec_lo, s15
	s_and_saveexec_b32 s15, s17
	s_cbranch_execz .LBB1245_525
.LBB1245_589:                           ;   in Loop: Header=BB1245_393 Depth=2
	v_lshlrev_b32_e32 v58, 2, v161
	ds_load_b32 v60, v58
	ds_load_b64 v[58:59], v123 offset:7168
	s_wait_dscnt 0x1
	v_add_nc_u32_e32 v60, v60, v100
	s_wait_dscnt 0x0
	global_store_b64 v60, v[58:59], s[46:47] scale_offset
	s_wait_xcnt 0x0
	s_or_b32 exec_lo, exec_lo, s15
	s_and_saveexec_b32 s15, s18
	s_cbranch_execz .LBB1245_526
.LBB1245_590:                           ;   in Loop: Header=BB1245_393 Depth=2
	v_lshlrev_b32_e32 v58, 2, v160
	ds_load_b32 v60, v58
	ds_load_b64 v[58:59], v123 offset:9216
	s_wait_dscnt 0x1
	v_add_nc_u32_e32 v60, v60, v101
	s_wait_dscnt 0x0
	global_store_b64 v60, v[58:59], s[46:47] scale_offset
	s_wait_xcnt 0x0
	s_or_b32 exec_lo, exec_lo, s15
	s_and_saveexec_b32 s15, s19
	s_cbranch_execz .LBB1245_527
.LBB1245_591:                           ;   in Loop: Header=BB1245_393 Depth=2
	v_lshlrev_b32_e32 v58, 2, v159
	ds_load_b32 v60, v58
	ds_load_b64 v[58:59], v123 offset:11264
	s_wait_dscnt 0x1
	v_add_nc_u32_e32 v60, v60, v102
	s_wait_dscnt 0x0
	global_store_b64 v60, v[58:59], s[46:47] scale_offset
	s_wait_xcnt 0x0
	s_or_b32 exec_lo, exec_lo, s15
	s_and_saveexec_b32 s15, s20
	s_cbranch_execz .LBB1245_528
.LBB1245_592:                           ;   in Loop: Header=BB1245_393 Depth=2
	v_lshlrev_b32_e32 v58, 2, v158
	ds_load_b32 v60, v58
	ds_load_b64 v[58:59], v123 offset:13312
	s_wait_dscnt 0x1
	v_add_nc_u32_e32 v60, v60, v103
	s_wait_dscnt 0x0
	global_store_b64 v60, v[58:59], s[46:47] scale_offset
	s_wait_xcnt 0x0
	s_or_b32 exec_lo, exec_lo, s15
	s_and_saveexec_b32 s15, s21
	s_cbranch_execz .LBB1245_529
.LBB1245_593:                           ;   in Loop: Header=BB1245_393 Depth=2
	v_lshlrev_b32_e32 v58, 2, v157
	ds_load_b32 v60, v58
	ds_load_b64 v[58:59], v123 offset:15360
	s_wait_dscnt 0x1
	v_add_nc_u32_e32 v60, v60, v104
	s_wait_dscnt 0x0
	global_store_b64 v60, v[58:59], s[46:47] scale_offset
	s_wait_xcnt 0x0
	s_or_b32 exec_lo, exec_lo, s15
	s_and_saveexec_b32 s15, s22
	s_cbranch_execz .LBB1245_530
.LBB1245_594:                           ;   in Loop: Header=BB1245_393 Depth=2
	v_lshlrev_b32_e32 v58, 2, v156
	ds_load_b32 v60, v58
	ds_load_b64 v[58:59], v123 offset:17408
	s_wait_dscnt 0x1
	v_add_nc_u32_e32 v60, v60, v105
	s_wait_dscnt 0x0
	global_store_b64 v60, v[58:59], s[46:47] scale_offset
	s_wait_xcnt 0x0
	s_or_b32 exec_lo, exec_lo, s15
	s_and_saveexec_b32 s15, s23
	s_cbranch_execz .LBB1245_531
.LBB1245_595:                           ;   in Loop: Header=BB1245_393 Depth=2
	v_lshlrev_b32_e32 v58, 2, v155
	ds_load_b32 v60, v58
	ds_load_b64 v[58:59], v123 offset:19456
	s_wait_dscnt 0x1
	v_add_nc_u32_e32 v60, v60, v106
	s_wait_dscnt 0x0
	global_store_b64 v60, v[58:59], s[46:47] scale_offset
	s_wait_xcnt 0x0
	s_or_b32 exec_lo, exec_lo, s15
	s_and_saveexec_b32 s15, s24
	s_cbranch_execz .LBB1245_532
.LBB1245_596:                           ;   in Loop: Header=BB1245_393 Depth=2
	v_lshlrev_b32_e32 v58, 2, v154
	ds_load_b32 v60, v58
	ds_load_b64 v[58:59], v123 offset:21504
	s_wait_dscnt 0x1
	v_add_nc_u32_e32 v60, v60, v107
	s_wait_dscnt 0x0
	global_store_b64 v60, v[58:59], s[46:47] scale_offset
	s_wait_xcnt 0x0
	s_or_b32 exec_lo, exec_lo, s15
	s_and_saveexec_b32 s15, s25
	s_cbranch_execz .LBB1245_533
.LBB1245_597:                           ;   in Loop: Header=BB1245_393 Depth=2
	v_lshlrev_b32_e32 v58, 2, v153
	ds_load_b32 v60, v58
	ds_load_b64 v[58:59], v123 offset:23552
	s_wait_dscnt 0x1
	v_add_nc_u32_e32 v60, v60, v108
	s_wait_dscnt 0x0
	global_store_b64 v60, v[58:59], s[46:47] scale_offset
	s_wait_xcnt 0x0
	s_or_b32 exec_lo, exec_lo, s15
	s_and_saveexec_b32 s15, s26
	s_cbranch_execz .LBB1245_534
.LBB1245_598:                           ;   in Loop: Header=BB1245_393 Depth=2
	v_lshlrev_b32_e32 v58, 2, v152
	ds_load_b32 v60, v58
	ds_load_b64 v[58:59], v123 offset:25600
	s_wait_dscnt 0x1
	v_add_nc_u32_e32 v60, v60, v109
	s_wait_dscnt 0x0
	global_store_b64 v60, v[58:59], s[46:47] scale_offset
	s_wait_xcnt 0x0
	s_or_b32 exec_lo, exec_lo, s15
	s_and_saveexec_b32 s15, s27
	s_cbranch_execz .LBB1245_535
.LBB1245_599:                           ;   in Loop: Header=BB1245_393 Depth=2
	v_lshlrev_b32_e32 v58, 2, v151
	ds_load_b32 v60, v58
	ds_load_b64 v[58:59], v123 offset:27648
	s_wait_dscnt 0x1
	v_add_nc_u32_e32 v60, v60, v110
	s_wait_dscnt 0x0
	global_store_b64 v60, v[58:59], s[46:47] scale_offset
	s_wait_xcnt 0x0
	s_or_b32 exec_lo, exec_lo, s15
	s_and_saveexec_b32 s15, s28
	s_cbranch_execz .LBB1245_536
.LBB1245_600:                           ;   in Loop: Header=BB1245_393 Depth=2
	v_lshlrev_b32_e32 v58, 2, v150
	ds_load_b32 v60, v58
	ds_load_b64 v[58:59], v123 offset:29696
	s_wait_dscnt 0x1
	v_add_nc_u32_e32 v60, v60, v111
	s_wait_dscnt 0x0
	global_store_b64 v60, v[58:59], s[46:47] scale_offset
	s_wait_xcnt 0x0
	s_or_b32 exec_lo, exec_lo, s15
	s_and_saveexec_b32 s15, s29
	s_cbranch_execnz .LBB1245_537
	s_branch .LBB1245_538
.LBB1245_601:                           ;   in Loop: Header=BB1245_17 Depth=1
	s_wait_dscnt 0x0
	s_barrier_signal -1
	s_barrier_wait -1
.LBB1245_602:                           ;   in Loop: Header=BB1245_17 Depth=1
	s_mov_b32 s7, 0
.LBB1245_603:                           ;   in Loop: Header=BB1245_17 Depth=1
	s_delay_alu instid0(SALU_CYCLE_1)
	s_and_not1_b32 vcc_lo, exec_lo, s7
	s_cbranch_vccnz .LBB1245_16
; %bb.604:                              ;   in Loop: Header=BB1245_17 Depth=1
	s_lshl_b32 s7, -1, s55
	s_and_b32 vcc_lo, exec_lo, s57
	s_not_b32 s55, s7
	s_mov_b32 s7, -1
	s_cbranch_vccz .LBB1245_896
; %bb.605:                              ;   in Loop: Header=BB1245_17 Depth=1
	s_mov_b32 s7, s58
	s_mov_b32 s34, s56
	s_barrier_signal -1
	s_barrier_wait -1
                                        ; implicit-def: $vgpr22_vgpr23
                                        ; implicit-def: $vgpr24_vgpr25
                                        ; implicit-def: $vgpr26_vgpr27
                                        ; implicit-def: $vgpr28_vgpr29
                                        ; implicit-def: $vgpr30_vgpr31
                                        ; implicit-def: $vgpr32_vgpr33
                                        ; implicit-def: $vgpr34_vgpr35
                                        ; implicit-def: $vgpr36_vgpr37
                                        ; implicit-def: $vgpr38_vgpr39
                                        ; implicit-def: $vgpr40_vgpr41
                                        ; implicit-def: $vgpr42_vgpr43
                                        ; implicit-def: $vgpr44_vgpr45
                                        ; implicit-def: $vgpr46_vgpr47
                                        ; implicit-def: $vgpr48_vgpr49
                                        ; implicit-def: $vgpr50_vgpr51
                                        ; implicit-def: $vgpr52_vgpr53
	s_branch .LBB1245_607
.LBB1245_606:                           ;   in Loop: Header=BB1245_607 Depth=2
	s_or_b32 exec_lo, exec_lo, s8
	s_addk_co_i32 s7, 0xf000
	s_cmp_ge_u32 s10, s51
	s_mov_b32 s34, s10
	s_cbranch_scc1 .LBB1245_675
.LBB1245_607:                           ;   Parent Loop BB1245_17 Depth=1
                                        ; =>  This Inner Loop Header: Depth=2
	s_add_co_i32 s10, s34, 0x1000
	s_mov_b32 s8, -1
	s_cmp_gt_u32 s10, s51
                                        ; implicit-def: $vgpr54_vgpr55
                                        ; implicit-def: $vgpr56_vgpr57
                                        ; implicit-def: $vgpr58_vgpr59
                                        ; implicit-def: $vgpr60_vgpr61
                                        ; implicit-def: $vgpr62_vgpr63
                                        ; implicit-def: $vgpr64_vgpr65
                                        ; implicit-def: $vgpr66_vgpr67
                                        ; implicit-def: $vgpr68_vgpr69
                                        ; implicit-def: $vgpr70_vgpr71
                                        ; implicit-def: $vgpr72_vgpr73
                                        ; implicit-def: $vgpr74_vgpr75
                                        ; implicit-def: $vgpr76_vgpr77
                                        ; implicit-def: $vgpr78_vgpr79
                                        ; implicit-def: $vgpr80_vgpr81
                                        ; implicit-def: $vgpr82_vgpr83
                                        ; implicit-def: $vgpr84_vgpr85
	s_cbranch_scc1 .LBB1245_609
; %bb.608:                              ;   in Loop: Header=BB1245_607 Depth=2
	v_lshl_add_u64 v[84:85], s[34:35], 3, v[16:17]
	s_mov_b32 s8, 0
	s_clause 0xf
	global_load_b64 v[54:55], v[84:85], off
	global_load_b64 v[56:57], v[84:85], off offset:2048
	global_load_b64 v[58:59], v[84:85], off offset:4096
	;; [unrolled: 1-line block ×15, first 2 shown]
.LBB1245_609:                           ;   in Loop: Header=BB1245_607 Depth=2
	s_and_not1_b32 vcc_lo, exec_lo, s8
	s_movk_i32 s8, 0x1000
	s_cbranch_vccnz .LBB1245_628
; %bb.610:                              ;   in Loop: Header=BB1245_607 Depth=2
	s_lshl_b64 s[8:9], s[34:35], 3
	s_mov_b32 s11, exec_lo
	s_add_nc_u64 s[8:9], s[36:37], s[8:9]
	s_wait_xcnt 0x0
	v_cmpx_gt_u32_e64 s7, v2
	s_cbranch_execnz .LBB1245_660
; %bb.611:                              ;   in Loop: Header=BB1245_607 Depth=2
	s_or_b32 exec_lo, exec_lo, s11
	s_delay_alu instid0(SALU_CYCLE_1)
	s_mov_b32 s11, exec_lo
	v_cmpx_gt_u32_e64 s7, v98
	s_cbranch_execnz .LBB1245_661
.LBB1245_612:                           ;   in Loop: Header=BB1245_607 Depth=2
	s_or_b32 exec_lo, exec_lo, s11
	s_delay_alu instid0(SALU_CYCLE_1)
	s_mov_b32 s11, exec_lo
	v_cmpx_gt_u32_e64 s7, v99
	s_cbranch_execnz .LBB1245_662
.LBB1245_613:                           ;   in Loop: Header=BB1245_607 Depth=2
	s_or_b32 exec_lo, exec_lo, s11
	s_delay_alu instid0(SALU_CYCLE_1)
	s_mov_b32 s11, exec_lo
	v_cmpx_gt_u32_e64 s7, v100
	s_cbranch_execnz .LBB1245_663
.LBB1245_614:                           ;   in Loop: Header=BB1245_607 Depth=2
	s_or_b32 exec_lo, exec_lo, s11
	s_delay_alu instid0(SALU_CYCLE_1)
	s_mov_b32 s11, exec_lo
	v_cmpx_gt_u32_e64 s7, v101
	s_cbranch_execnz .LBB1245_664
.LBB1245_615:                           ;   in Loop: Header=BB1245_607 Depth=2
	s_or_b32 exec_lo, exec_lo, s11
	s_delay_alu instid0(SALU_CYCLE_1)
	s_mov_b32 s11, exec_lo
	v_cmpx_gt_u32_e64 s7, v102
	s_cbranch_execnz .LBB1245_665
.LBB1245_616:                           ;   in Loop: Header=BB1245_607 Depth=2
	s_or_b32 exec_lo, exec_lo, s11
	s_delay_alu instid0(SALU_CYCLE_1)
	s_mov_b32 s11, exec_lo
	v_cmpx_gt_u32_e64 s7, v103
	s_cbranch_execnz .LBB1245_666
.LBB1245_617:                           ;   in Loop: Header=BB1245_607 Depth=2
	s_or_b32 exec_lo, exec_lo, s11
	s_delay_alu instid0(SALU_CYCLE_1)
	s_mov_b32 s11, exec_lo
	v_cmpx_gt_u32_e64 s7, v104
	s_cbranch_execnz .LBB1245_667
.LBB1245_618:                           ;   in Loop: Header=BB1245_607 Depth=2
	s_or_b32 exec_lo, exec_lo, s11
	s_delay_alu instid0(SALU_CYCLE_1)
	s_mov_b32 s11, exec_lo
	v_cmpx_gt_u32_e64 s7, v105
	s_cbranch_execnz .LBB1245_668
.LBB1245_619:                           ;   in Loop: Header=BB1245_607 Depth=2
	s_or_b32 exec_lo, exec_lo, s11
	s_delay_alu instid0(SALU_CYCLE_1)
	s_mov_b32 s11, exec_lo
	v_cmpx_gt_u32_e64 s7, v106
	s_cbranch_execnz .LBB1245_669
.LBB1245_620:                           ;   in Loop: Header=BB1245_607 Depth=2
	s_or_b32 exec_lo, exec_lo, s11
	s_delay_alu instid0(SALU_CYCLE_1)
	s_mov_b32 s11, exec_lo
	v_cmpx_gt_u32_e64 s7, v107
	s_cbranch_execnz .LBB1245_670
.LBB1245_621:                           ;   in Loop: Header=BB1245_607 Depth=2
	s_or_b32 exec_lo, exec_lo, s11
	s_delay_alu instid0(SALU_CYCLE_1)
	s_mov_b32 s11, exec_lo
	v_cmpx_gt_u32_e64 s7, v108
	s_cbranch_execnz .LBB1245_671
.LBB1245_622:                           ;   in Loop: Header=BB1245_607 Depth=2
	s_or_b32 exec_lo, exec_lo, s11
	s_delay_alu instid0(SALU_CYCLE_1)
	s_mov_b32 s11, exec_lo
	v_cmpx_gt_u32_e64 s7, v109
	s_cbranch_execnz .LBB1245_672
.LBB1245_623:                           ;   in Loop: Header=BB1245_607 Depth=2
	s_or_b32 exec_lo, exec_lo, s11
	s_delay_alu instid0(SALU_CYCLE_1)
	s_mov_b32 s11, exec_lo
	v_cmpx_gt_u32_e64 s7, v110
	s_cbranch_execnz .LBB1245_673
.LBB1245_624:                           ;   in Loop: Header=BB1245_607 Depth=2
	s_or_b32 exec_lo, exec_lo, s11
	s_delay_alu instid0(SALU_CYCLE_1)
	s_mov_b32 s11, exec_lo
	v_cmpx_gt_u32_e64 s7, v111
	s_cbranch_execnz .LBB1245_674
.LBB1245_625:                           ;   in Loop: Header=BB1245_607 Depth=2
	s_or_b32 exec_lo, exec_lo, s11
	s_delay_alu instid0(SALU_CYCLE_1)
	s_mov_b32 s11, exec_lo
	v_cmpx_gt_u32_e64 s7, v112
	s_cbranch_execz .LBB1245_627
.LBB1245_626:                           ;   in Loop: Header=BB1245_607 Depth=2
	global_load_b64 v[22:23], v2, s[8:9] offset:30720 scale_offset
.LBB1245_627:                           ;   in Loop: Header=BB1245_607 Depth=2
	s_wait_xcnt 0x0
	s_or_b32 exec_lo, exec_lo, s11
	s_wait_loadcnt 0x0
	v_mov_b64_e32 v[54:55], v[52:53]
	v_mov_b64_e32 v[56:57], v[50:51]
	;; [unrolled: 1-line block ×16, first 2 shown]
	s_mov_b32 s8, s7
.LBB1245_628:                           ;   in Loop: Header=BB1245_607 Depth=2
	s_wait_loadcnt 0x0
	s_delay_alu instid0(VALU_DEP_1) | instskip(NEXT) | instid1(VALU_DEP_3)
	v_mov_b64_e32 v[22:23], v[84:85]
	v_mov_b64_e32 v[24:25], v[82:83]
	;; [unrolled: 1-line block ×16, first 2 shown]
	s_mov_b32 s9, exec_lo
	s_wait_xcnt 0x0
	v_cmpx_gt_u32_e64 s8, v2
	s_cbranch_execnz .LBB1245_644
; %bb.629:                              ;   in Loop: Header=BB1245_607 Depth=2
	s_or_b32 exec_lo, exec_lo, s9
	s_delay_alu instid0(SALU_CYCLE_1)
	s_mov_b32 s9, exec_lo
	v_cmpx_gt_u32_e64 s8, v98
	s_cbranch_execnz .LBB1245_645
.LBB1245_630:                           ;   in Loop: Header=BB1245_607 Depth=2
	s_or_b32 exec_lo, exec_lo, s9
	s_delay_alu instid0(SALU_CYCLE_1)
	s_mov_b32 s9, exec_lo
	v_cmpx_gt_u32_e64 s8, v99
	s_cbranch_execnz .LBB1245_646
.LBB1245_631:                           ;   in Loop: Header=BB1245_607 Depth=2
	s_or_b32 exec_lo, exec_lo, s9
	s_delay_alu instid0(SALU_CYCLE_1)
	s_mov_b32 s9, exec_lo
	v_cmpx_gt_u32_e64 s8, v100
	s_cbranch_execnz .LBB1245_647
.LBB1245_632:                           ;   in Loop: Header=BB1245_607 Depth=2
	s_or_b32 exec_lo, exec_lo, s9
	s_delay_alu instid0(SALU_CYCLE_1)
	s_mov_b32 s9, exec_lo
	v_cmpx_gt_u32_e64 s8, v101
	s_cbranch_execnz .LBB1245_648
.LBB1245_633:                           ;   in Loop: Header=BB1245_607 Depth=2
	s_or_b32 exec_lo, exec_lo, s9
	s_delay_alu instid0(SALU_CYCLE_1)
	s_mov_b32 s9, exec_lo
	v_cmpx_gt_u32_e64 s8, v102
	s_cbranch_execnz .LBB1245_649
.LBB1245_634:                           ;   in Loop: Header=BB1245_607 Depth=2
	s_or_b32 exec_lo, exec_lo, s9
	s_delay_alu instid0(SALU_CYCLE_1)
	s_mov_b32 s9, exec_lo
	v_cmpx_gt_u32_e64 s8, v103
	s_cbranch_execnz .LBB1245_650
.LBB1245_635:                           ;   in Loop: Header=BB1245_607 Depth=2
	s_or_b32 exec_lo, exec_lo, s9
	s_delay_alu instid0(SALU_CYCLE_1)
	s_mov_b32 s9, exec_lo
	v_cmpx_gt_u32_e64 s8, v104
	s_cbranch_execnz .LBB1245_651
.LBB1245_636:                           ;   in Loop: Header=BB1245_607 Depth=2
	s_or_b32 exec_lo, exec_lo, s9
	s_delay_alu instid0(SALU_CYCLE_1)
	s_mov_b32 s9, exec_lo
	v_cmpx_gt_u32_e64 s8, v105
	s_cbranch_execnz .LBB1245_652
.LBB1245_637:                           ;   in Loop: Header=BB1245_607 Depth=2
	s_or_b32 exec_lo, exec_lo, s9
	s_delay_alu instid0(SALU_CYCLE_1)
	s_mov_b32 s9, exec_lo
	v_cmpx_gt_u32_e64 s8, v106
	s_cbranch_execnz .LBB1245_653
.LBB1245_638:                           ;   in Loop: Header=BB1245_607 Depth=2
	s_or_b32 exec_lo, exec_lo, s9
	s_delay_alu instid0(SALU_CYCLE_1)
	s_mov_b32 s9, exec_lo
	v_cmpx_gt_u32_e64 s8, v107
	s_cbranch_execnz .LBB1245_654
.LBB1245_639:                           ;   in Loop: Header=BB1245_607 Depth=2
	s_or_b32 exec_lo, exec_lo, s9
	s_delay_alu instid0(SALU_CYCLE_1)
	s_mov_b32 s9, exec_lo
	v_cmpx_gt_u32_e64 s8, v108
	s_cbranch_execnz .LBB1245_655
.LBB1245_640:                           ;   in Loop: Header=BB1245_607 Depth=2
	s_or_b32 exec_lo, exec_lo, s9
	s_delay_alu instid0(SALU_CYCLE_1)
	s_mov_b32 s9, exec_lo
	v_cmpx_gt_u32_e64 s8, v109
	s_cbranch_execnz .LBB1245_656
.LBB1245_641:                           ;   in Loop: Header=BB1245_607 Depth=2
	s_or_b32 exec_lo, exec_lo, s9
	s_delay_alu instid0(SALU_CYCLE_1)
	s_mov_b32 s9, exec_lo
	v_cmpx_gt_u32_e64 s8, v110
	s_cbranch_execnz .LBB1245_657
.LBB1245_642:                           ;   in Loop: Header=BB1245_607 Depth=2
	s_or_b32 exec_lo, exec_lo, s9
	s_delay_alu instid0(SALU_CYCLE_1)
	s_mov_b32 s9, exec_lo
	v_cmpx_gt_u32_e64 s8, v111
	s_cbranch_execnz .LBB1245_658
.LBB1245_643:                           ;   in Loop: Header=BB1245_607 Depth=2
	s_or_b32 exec_lo, exec_lo, s9
	v_cmp_gt_u32_e32 vcc_lo, s8, v112
	s_and_saveexec_b32 s8, vcc_lo
	s_cbranch_execz .LBB1245_606
	s_branch .LBB1245_659
.LBB1245_644:                           ;   in Loop: Header=BB1245_607 Depth=2
	s_delay_alu instid0(VALU_DEP_2) | instskip(SKIP_1) | instid1(VALU_DEP_1)
	v_cmp_lt_i64_e32 vcc_lo, -1, v[52:53]
	v_cndmask_b32_e64 v54, -1, 0x80000000, vcc_lo
	v_dual_ashrrev_i32 v56, 31, v53 :: v_dual_bitop2_b32 v55, v54, v53 bitop3:0x14
	s_delay_alu instid0(VALU_DEP_1) | instskip(NEXT) | instid1(VALU_DEP_1)
	v_xor_b32_e32 v54, v56, v52
	v_cmp_ne_u64_e32 vcc_lo, s[42:43], v[54:55]
	v_cndmask_b32_e32 v55, 0x80000000, v55, vcc_lo
	v_cndmask_b32_e32 v54, 0, v54, vcc_lo
	s_delay_alu instid0(VALU_DEP_1) | instskip(NEXT) | instid1(VALU_DEP_1)
	v_lshrrev_b64 v[54:55], s48, v[54:55]
	v_and_b32_e32 v54, s55, v54
	s_delay_alu instid0(VALU_DEP_1) | instskip(SKIP_2) | instid1(SALU_CYCLE_1)
	v_lshl_or_b32 v54, v54, 4, v113
	ds_add_u32 v54, v125
	s_or_b32 exec_lo, exec_lo, s9
	s_mov_b32 s9, exec_lo
	v_cmpx_gt_u32_e64 s8, v98
	s_cbranch_execz .LBB1245_630
.LBB1245_645:                           ;   in Loop: Header=BB1245_607 Depth=2
	v_cmp_lt_i64_e32 vcc_lo, -1, v[50:51]
	v_cndmask_b32_e64 v54, -1, 0x80000000, vcc_lo
	s_delay_alu instid0(VALU_DEP_1) | instskip(NEXT) | instid1(VALU_DEP_1)
	v_dual_ashrrev_i32 v56, 31, v51 :: v_dual_bitop2_b32 v55, v54, v51 bitop3:0x14
	v_xor_b32_e32 v54, v56, v50
	s_delay_alu instid0(VALU_DEP_1) | instskip(SKIP_2) | instid1(VALU_DEP_1)
	v_cmp_ne_u64_e32 vcc_lo, s[42:43], v[54:55]
	v_cndmask_b32_e32 v55, 0x80000000, v55, vcc_lo
	v_cndmask_b32_e32 v54, 0, v54, vcc_lo
	v_lshrrev_b64 v[54:55], s48, v[54:55]
	s_delay_alu instid0(VALU_DEP_1) | instskip(NEXT) | instid1(VALU_DEP_1)
	v_and_b32_e32 v54, s55, v54
	v_lshl_or_b32 v54, v54, 4, v113
	ds_add_u32 v54, v125
	s_or_b32 exec_lo, exec_lo, s9
	s_delay_alu instid0(SALU_CYCLE_1)
	s_mov_b32 s9, exec_lo
	v_cmpx_gt_u32_e64 s8, v99
	s_cbranch_execz .LBB1245_631
.LBB1245_646:                           ;   in Loop: Header=BB1245_607 Depth=2
	v_cmp_lt_i64_e32 vcc_lo, -1, v[48:49]
	v_cndmask_b32_e64 v54, -1, 0x80000000, vcc_lo
	s_delay_alu instid0(VALU_DEP_1) | instskip(NEXT) | instid1(VALU_DEP_1)
	v_dual_ashrrev_i32 v56, 31, v49 :: v_dual_bitop2_b32 v55, v54, v49 bitop3:0x14
	v_xor_b32_e32 v54, v56, v48
	s_delay_alu instid0(VALU_DEP_1) | instskip(SKIP_2) | instid1(VALU_DEP_1)
	v_cmp_ne_u64_e32 vcc_lo, s[42:43], v[54:55]
	v_cndmask_b32_e32 v55, 0x80000000, v55, vcc_lo
	v_cndmask_b32_e32 v54, 0, v54, vcc_lo
	v_lshrrev_b64 v[54:55], s48, v[54:55]
	s_delay_alu instid0(VALU_DEP_1) | instskip(NEXT) | instid1(VALU_DEP_1)
	v_and_b32_e32 v54, s55, v54
	v_lshl_or_b32 v54, v54, 4, v113
	ds_add_u32 v54, v125
	s_or_b32 exec_lo, exec_lo, s9
	s_delay_alu instid0(SALU_CYCLE_1)
	s_mov_b32 s9, exec_lo
	v_cmpx_gt_u32_e64 s8, v100
	s_cbranch_execz .LBB1245_632
.LBB1245_647:                           ;   in Loop: Header=BB1245_607 Depth=2
	v_cmp_lt_i64_e32 vcc_lo, -1, v[46:47]
	v_cndmask_b32_e64 v54, -1, 0x80000000, vcc_lo
	s_delay_alu instid0(VALU_DEP_1) | instskip(NEXT) | instid1(VALU_DEP_1)
	v_dual_ashrrev_i32 v56, 31, v47 :: v_dual_bitop2_b32 v55, v54, v47 bitop3:0x14
	v_xor_b32_e32 v54, v56, v46
	s_delay_alu instid0(VALU_DEP_1) | instskip(SKIP_2) | instid1(VALU_DEP_1)
	v_cmp_ne_u64_e32 vcc_lo, s[42:43], v[54:55]
	v_cndmask_b32_e32 v55, 0x80000000, v55, vcc_lo
	v_cndmask_b32_e32 v54, 0, v54, vcc_lo
	v_lshrrev_b64 v[54:55], s48, v[54:55]
	s_delay_alu instid0(VALU_DEP_1) | instskip(NEXT) | instid1(VALU_DEP_1)
	v_and_b32_e32 v54, s55, v54
	v_lshl_or_b32 v54, v54, 4, v113
	ds_add_u32 v54, v125
	s_or_b32 exec_lo, exec_lo, s9
	s_delay_alu instid0(SALU_CYCLE_1)
	s_mov_b32 s9, exec_lo
	v_cmpx_gt_u32_e64 s8, v101
	s_cbranch_execz .LBB1245_633
.LBB1245_648:                           ;   in Loop: Header=BB1245_607 Depth=2
	v_cmp_lt_i64_e32 vcc_lo, -1, v[44:45]
	v_cndmask_b32_e64 v54, -1, 0x80000000, vcc_lo
	s_delay_alu instid0(VALU_DEP_1) | instskip(NEXT) | instid1(VALU_DEP_1)
	v_dual_ashrrev_i32 v56, 31, v45 :: v_dual_bitop2_b32 v55, v54, v45 bitop3:0x14
	v_xor_b32_e32 v54, v56, v44
	s_delay_alu instid0(VALU_DEP_1) | instskip(SKIP_2) | instid1(VALU_DEP_1)
	v_cmp_ne_u64_e32 vcc_lo, s[42:43], v[54:55]
	v_cndmask_b32_e32 v55, 0x80000000, v55, vcc_lo
	v_cndmask_b32_e32 v54, 0, v54, vcc_lo
	v_lshrrev_b64 v[54:55], s48, v[54:55]
	s_delay_alu instid0(VALU_DEP_1) | instskip(NEXT) | instid1(VALU_DEP_1)
	v_and_b32_e32 v54, s55, v54
	v_lshl_or_b32 v54, v54, 4, v113
	ds_add_u32 v54, v125
	s_or_b32 exec_lo, exec_lo, s9
	s_delay_alu instid0(SALU_CYCLE_1)
	s_mov_b32 s9, exec_lo
	v_cmpx_gt_u32_e64 s8, v102
	s_cbranch_execz .LBB1245_634
.LBB1245_649:                           ;   in Loop: Header=BB1245_607 Depth=2
	v_cmp_lt_i64_e32 vcc_lo, -1, v[42:43]
	v_cndmask_b32_e64 v54, -1, 0x80000000, vcc_lo
	s_delay_alu instid0(VALU_DEP_1) | instskip(NEXT) | instid1(VALU_DEP_1)
	v_dual_ashrrev_i32 v56, 31, v43 :: v_dual_bitop2_b32 v55, v54, v43 bitop3:0x14
	v_xor_b32_e32 v54, v56, v42
	s_delay_alu instid0(VALU_DEP_1) | instskip(SKIP_2) | instid1(VALU_DEP_1)
	v_cmp_ne_u64_e32 vcc_lo, s[42:43], v[54:55]
	v_cndmask_b32_e32 v55, 0x80000000, v55, vcc_lo
	v_cndmask_b32_e32 v54, 0, v54, vcc_lo
	v_lshrrev_b64 v[54:55], s48, v[54:55]
	s_delay_alu instid0(VALU_DEP_1) | instskip(NEXT) | instid1(VALU_DEP_1)
	v_and_b32_e32 v54, s55, v54
	v_lshl_or_b32 v54, v54, 4, v113
	ds_add_u32 v54, v125
	s_or_b32 exec_lo, exec_lo, s9
	s_delay_alu instid0(SALU_CYCLE_1)
	s_mov_b32 s9, exec_lo
	v_cmpx_gt_u32_e64 s8, v103
	s_cbranch_execz .LBB1245_635
.LBB1245_650:                           ;   in Loop: Header=BB1245_607 Depth=2
	v_cmp_lt_i64_e32 vcc_lo, -1, v[40:41]
	v_cndmask_b32_e64 v54, -1, 0x80000000, vcc_lo
	s_delay_alu instid0(VALU_DEP_1) | instskip(NEXT) | instid1(VALU_DEP_1)
	v_dual_ashrrev_i32 v56, 31, v41 :: v_dual_bitop2_b32 v55, v54, v41 bitop3:0x14
	v_xor_b32_e32 v54, v56, v40
	s_delay_alu instid0(VALU_DEP_1) | instskip(SKIP_2) | instid1(VALU_DEP_1)
	v_cmp_ne_u64_e32 vcc_lo, s[42:43], v[54:55]
	v_cndmask_b32_e32 v55, 0x80000000, v55, vcc_lo
	v_cndmask_b32_e32 v54, 0, v54, vcc_lo
	v_lshrrev_b64 v[54:55], s48, v[54:55]
	s_delay_alu instid0(VALU_DEP_1) | instskip(NEXT) | instid1(VALU_DEP_1)
	v_and_b32_e32 v54, s55, v54
	v_lshl_or_b32 v54, v54, 4, v113
	ds_add_u32 v54, v125
	s_or_b32 exec_lo, exec_lo, s9
	s_delay_alu instid0(SALU_CYCLE_1)
	s_mov_b32 s9, exec_lo
	v_cmpx_gt_u32_e64 s8, v104
	s_cbranch_execz .LBB1245_636
.LBB1245_651:                           ;   in Loop: Header=BB1245_607 Depth=2
	v_cmp_lt_i64_e32 vcc_lo, -1, v[38:39]
	v_cndmask_b32_e64 v54, -1, 0x80000000, vcc_lo
	s_delay_alu instid0(VALU_DEP_1) | instskip(NEXT) | instid1(VALU_DEP_1)
	v_dual_ashrrev_i32 v56, 31, v39 :: v_dual_bitop2_b32 v55, v54, v39 bitop3:0x14
	v_xor_b32_e32 v54, v56, v38
	s_delay_alu instid0(VALU_DEP_1) | instskip(SKIP_2) | instid1(VALU_DEP_1)
	v_cmp_ne_u64_e32 vcc_lo, s[42:43], v[54:55]
	v_cndmask_b32_e32 v55, 0x80000000, v55, vcc_lo
	v_cndmask_b32_e32 v54, 0, v54, vcc_lo
	v_lshrrev_b64 v[54:55], s48, v[54:55]
	s_delay_alu instid0(VALU_DEP_1) | instskip(NEXT) | instid1(VALU_DEP_1)
	v_and_b32_e32 v54, s55, v54
	v_lshl_or_b32 v54, v54, 4, v113
	ds_add_u32 v54, v125
	s_or_b32 exec_lo, exec_lo, s9
	s_delay_alu instid0(SALU_CYCLE_1)
	s_mov_b32 s9, exec_lo
	v_cmpx_gt_u32_e64 s8, v105
	s_cbranch_execz .LBB1245_637
.LBB1245_652:                           ;   in Loop: Header=BB1245_607 Depth=2
	v_cmp_lt_i64_e32 vcc_lo, -1, v[36:37]
	v_cndmask_b32_e64 v54, -1, 0x80000000, vcc_lo
	s_delay_alu instid0(VALU_DEP_1) | instskip(NEXT) | instid1(VALU_DEP_1)
	v_dual_ashrrev_i32 v56, 31, v37 :: v_dual_bitop2_b32 v55, v54, v37 bitop3:0x14
	v_xor_b32_e32 v54, v56, v36
	s_delay_alu instid0(VALU_DEP_1) | instskip(SKIP_2) | instid1(VALU_DEP_1)
	v_cmp_ne_u64_e32 vcc_lo, s[42:43], v[54:55]
	v_cndmask_b32_e32 v55, 0x80000000, v55, vcc_lo
	v_cndmask_b32_e32 v54, 0, v54, vcc_lo
	v_lshrrev_b64 v[54:55], s48, v[54:55]
	s_delay_alu instid0(VALU_DEP_1) | instskip(NEXT) | instid1(VALU_DEP_1)
	v_and_b32_e32 v54, s55, v54
	v_lshl_or_b32 v54, v54, 4, v113
	ds_add_u32 v54, v125
	s_or_b32 exec_lo, exec_lo, s9
	s_delay_alu instid0(SALU_CYCLE_1)
	s_mov_b32 s9, exec_lo
	v_cmpx_gt_u32_e64 s8, v106
	s_cbranch_execz .LBB1245_638
.LBB1245_653:                           ;   in Loop: Header=BB1245_607 Depth=2
	v_cmp_lt_i64_e32 vcc_lo, -1, v[34:35]
	v_cndmask_b32_e64 v54, -1, 0x80000000, vcc_lo
	s_delay_alu instid0(VALU_DEP_1) | instskip(NEXT) | instid1(VALU_DEP_1)
	v_dual_ashrrev_i32 v56, 31, v35 :: v_dual_bitop2_b32 v55, v54, v35 bitop3:0x14
	v_xor_b32_e32 v54, v56, v34
	s_delay_alu instid0(VALU_DEP_1) | instskip(SKIP_2) | instid1(VALU_DEP_1)
	v_cmp_ne_u64_e32 vcc_lo, s[42:43], v[54:55]
	v_cndmask_b32_e32 v55, 0x80000000, v55, vcc_lo
	v_cndmask_b32_e32 v54, 0, v54, vcc_lo
	v_lshrrev_b64 v[54:55], s48, v[54:55]
	s_delay_alu instid0(VALU_DEP_1) | instskip(NEXT) | instid1(VALU_DEP_1)
	v_and_b32_e32 v54, s55, v54
	v_lshl_or_b32 v54, v54, 4, v113
	ds_add_u32 v54, v125
	s_or_b32 exec_lo, exec_lo, s9
	s_delay_alu instid0(SALU_CYCLE_1)
	s_mov_b32 s9, exec_lo
	v_cmpx_gt_u32_e64 s8, v107
	s_cbranch_execz .LBB1245_639
.LBB1245_654:                           ;   in Loop: Header=BB1245_607 Depth=2
	v_cmp_lt_i64_e32 vcc_lo, -1, v[32:33]
	v_cndmask_b32_e64 v54, -1, 0x80000000, vcc_lo
	s_delay_alu instid0(VALU_DEP_1) | instskip(NEXT) | instid1(VALU_DEP_1)
	v_dual_ashrrev_i32 v56, 31, v33 :: v_dual_bitop2_b32 v55, v54, v33 bitop3:0x14
	v_xor_b32_e32 v54, v56, v32
	s_delay_alu instid0(VALU_DEP_1) | instskip(SKIP_2) | instid1(VALU_DEP_1)
	v_cmp_ne_u64_e32 vcc_lo, s[42:43], v[54:55]
	v_cndmask_b32_e32 v55, 0x80000000, v55, vcc_lo
	v_cndmask_b32_e32 v54, 0, v54, vcc_lo
	v_lshrrev_b64 v[54:55], s48, v[54:55]
	s_delay_alu instid0(VALU_DEP_1) | instskip(NEXT) | instid1(VALU_DEP_1)
	v_and_b32_e32 v54, s55, v54
	v_lshl_or_b32 v54, v54, 4, v113
	ds_add_u32 v54, v125
	s_or_b32 exec_lo, exec_lo, s9
	s_delay_alu instid0(SALU_CYCLE_1)
	s_mov_b32 s9, exec_lo
	v_cmpx_gt_u32_e64 s8, v108
	s_cbranch_execz .LBB1245_640
.LBB1245_655:                           ;   in Loop: Header=BB1245_607 Depth=2
	v_cmp_lt_i64_e32 vcc_lo, -1, v[30:31]
	v_cndmask_b32_e64 v54, -1, 0x80000000, vcc_lo
	s_delay_alu instid0(VALU_DEP_1) | instskip(NEXT) | instid1(VALU_DEP_1)
	v_dual_ashrrev_i32 v56, 31, v31 :: v_dual_bitop2_b32 v55, v54, v31 bitop3:0x14
	v_xor_b32_e32 v54, v56, v30
	s_delay_alu instid0(VALU_DEP_1) | instskip(SKIP_2) | instid1(VALU_DEP_1)
	v_cmp_ne_u64_e32 vcc_lo, s[42:43], v[54:55]
	v_cndmask_b32_e32 v55, 0x80000000, v55, vcc_lo
	v_cndmask_b32_e32 v54, 0, v54, vcc_lo
	v_lshrrev_b64 v[54:55], s48, v[54:55]
	s_delay_alu instid0(VALU_DEP_1) | instskip(NEXT) | instid1(VALU_DEP_1)
	v_and_b32_e32 v54, s55, v54
	v_lshl_or_b32 v54, v54, 4, v113
	ds_add_u32 v54, v125
	s_or_b32 exec_lo, exec_lo, s9
	s_delay_alu instid0(SALU_CYCLE_1)
	s_mov_b32 s9, exec_lo
	v_cmpx_gt_u32_e64 s8, v109
	s_cbranch_execz .LBB1245_641
.LBB1245_656:                           ;   in Loop: Header=BB1245_607 Depth=2
	v_cmp_lt_i64_e32 vcc_lo, -1, v[28:29]
	v_cndmask_b32_e64 v54, -1, 0x80000000, vcc_lo
	s_delay_alu instid0(VALU_DEP_1) | instskip(NEXT) | instid1(VALU_DEP_1)
	v_dual_ashrrev_i32 v56, 31, v29 :: v_dual_bitop2_b32 v55, v54, v29 bitop3:0x14
	v_xor_b32_e32 v54, v56, v28
	s_delay_alu instid0(VALU_DEP_1) | instskip(SKIP_2) | instid1(VALU_DEP_1)
	v_cmp_ne_u64_e32 vcc_lo, s[42:43], v[54:55]
	v_cndmask_b32_e32 v55, 0x80000000, v55, vcc_lo
	v_cndmask_b32_e32 v54, 0, v54, vcc_lo
	v_lshrrev_b64 v[54:55], s48, v[54:55]
	s_delay_alu instid0(VALU_DEP_1) | instskip(NEXT) | instid1(VALU_DEP_1)
	v_and_b32_e32 v54, s55, v54
	v_lshl_or_b32 v54, v54, 4, v113
	ds_add_u32 v54, v125
	s_or_b32 exec_lo, exec_lo, s9
	s_delay_alu instid0(SALU_CYCLE_1)
	s_mov_b32 s9, exec_lo
	v_cmpx_gt_u32_e64 s8, v110
	s_cbranch_execz .LBB1245_642
.LBB1245_657:                           ;   in Loop: Header=BB1245_607 Depth=2
	v_cmp_lt_i64_e32 vcc_lo, -1, v[26:27]
	v_cndmask_b32_e64 v54, -1, 0x80000000, vcc_lo
	s_delay_alu instid0(VALU_DEP_1) | instskip(NEXT) | instid1(VALU_DEP_1)
	v_dual_ashrrev_i32 v56, 31, v27 :: v_dual_bitop2_b32 v55, v54, v27 bitop3:0x14
	v_xor_b32_e32 v54, v56, v26
	s_delay_alu instid0(VALU_DEP_1) | instskip(SKIP_2) | instid1(VALU_DEP_1)
	v_cmp_ne_u64_e32 vcc_lo, s[42:43], v[54:55]
	v_cndmask_b32_e32 v55, 0x80000000, v55, vcc_lo
	v_cndmask_b32_e32 v54, 0, v54, vcc_lo
	v_lshrrev_b64 v[54:55], s48, v[54:55]
	s_delay_alu instid0(VALU_DEP_1) | instskip(NEXT) | instid1(VALU_DEP_1)
	v_and_b32_e32 v54, s55, v54
	v_lshl_or_b32 v54, v54, 4, v113
	ds_add_u32 v54, v125
	s_or_b32 exec_lo, exec_lo, s9
	s_delay_alu instid0(SALU_CYCLE_1)
	s_mov_b32 s9, exec_lo
	v_cmpx_gt_u32_e64 s8, v111
	s_cbranch_execz .LBB1245_643
.LBB1245_658:                           ;   in Loop: Header=BB1245_607 Depth=2
	v_cmp_lt_i64_e32 vcc_lo, -1, v[24:25]
	v_cndmask_b32_e64 v54, -1, 0x80000000, vcc_lo
	s_delay_alu instid0(VALU_DEP_1) | instskip(NEXT) | instid1(VALU_DEP_1)
	v_dual_ashrrev_i32 v56, 31, v25 :: v_dual_bitop2_b32 v55, v54, v25 bitop3:0x14
	v_xor_b32_e32 v54, v56, v24
	s_delay_alu instid0(VALU_DEP_1) | instskip(SKIP_2) | instid1(VALU_DEP_1)
	v_cmp_ne_u64_e32 vcc_lo, s[42:43], v[54:55]
	v_cndmask_b32_e32 v55, 0x80000000, v55, vcc_lo
	v_cndmask_b32_e32 v54, 0, v54, vcc_lo
	v_lshrrev_b64 v[54:55], s48, v[54:55]
	s_delay_alu instid0(VALU_DEP_1) | instskip(NEXT) | instid1(VALU_DEP_1)
	v_and_b32_e32 v54, s55, v54
	v_lshl_or_b32 v54, v54, 4, v113
	ds_add_u32 v54, v125
	s_or_b32 exec_lo, exec_lo, s9
	v_cmp_gt_u32_e32 vcc_lo, s8, v112
	s_and_saveexec_b32 s8, vcc_lo
	s_cbranch_execz .LBB1245_606
.LBB1245_659:                           ;   in Loop: Header=BB1245_607 Depth=2
	v_cmp_lt_i64_e32 vcc_lo, -1, v[22:23]
	v_cndmask_b32_e64 v54, -1, 0x80000000, vcc_lo
	s_delay_alu instid0(VALU_DEP_1) | instskip(NEXT) | instid1(VALU_DEP_1)
	v_dual_ashrrev_i32 v56, 31, v23 :: v_dual_bitop2_b32 v55, v54, v23 bitop3:0x14
	v_xor_b32_e32 v54, v56, v22
	s_delay_alu instid0(VALU_DEP_1) | instskip(SKIP_2) | instid1(VALU_DEP_1)
	v_cmp_ne_u64_e32 vcc_lo, s[42:43], v[54:55]
	v_cndmask_b32_e32 v55, 0x80000000, v55, vcc_lo
	v_cndmask_b32_e32 v54, 0, v54, vcc_lo
	v_lshrrev_b64 v[54:55], s48, v[54:55]
	s_delay_alu instid0(VALU_DEP_1) | instskip(NEXT) | instid1(VALU_DEP_1)
	v_and_b32_e32 v54, s55, v54
	v_lshl_or_b32 v54, v54, 4, v113
	ds_add_u32 v54, v125
	s_branch .LBB1245_606
.LBB1245_660:                           ;   in Loop: Header=BB1245_607 Depth=2
	global_load_b64 v[52:53], v2, s[8:9] scale_offset
	s_wait_xcnt 0x0
	s_or_b32 exec_lo, exec_lo, s11
	s_delay_alu instid0(SALU_CYCLE_1)
	s_mov_b32 s11, exec_lo
	v_cmpx_gt_u32_e64 s7, v98
	s_cbranch_execz .LBB1245_612
.LBB1245_661:                           ;   in Loop: Header=BB1245_607 Depth=2
	global_load_b64 v[50:51], v2, s[8:9] offset:2048 scale_offset
	s_wait_xcnt 0x0
	s_or_b32 exec_lo, exec_lo, s11
	s_delay_alu instid0(SALU_CYCLE_1)
	s_mov_b32 s11, exec_lo
	v_cmpx_gt_u32_e64 s7, v99
	s_cbranch_execz .LBB1245_613
.LBB1245_662:                           ;   in Loop: Header=BB1245_607 Depth=2
	global_load_b64 v[48:49], v2, s[8:9] offset:4096 scale_offset
	s_wait_xcnt 0x0
	s_or_b32 exec_lo, exec_lo, s11
	s_delay_alu instid0(SALU_CYCLE_1)
	s_mov_b32 s11, exec_lo
	v_cmpx_gt_u32_e64 s7, v100
	s_cbranch_execz .LBB1245_614
.LBB1245_663:                           ;   in Loop: Header=BB1245_607 Depth=2
	global_load_b64 v[46:47], v2, s[8:9] offset:6144 scale_offset
	s_wait_xcnt 0x0
	s_or_b32 exec_lo, exec_lo, s11
	s_delay_alu instid0(SALU_CYCLE_1)
	s_mov_b32 s11, exec_lo
	v_cmpx_gt_u32_e64 s7, v101
	s_cbranch_execz .LBB1245_615
.LBB1245_664:                           ;   in Loop: Header=BB1245_607 Depth=2
	global_load_b64 v[44:45], v2, s[8:9] offset:8192 scale_offset
	s_wait_xcnt 0x0
	s_or_b32 exec_lo, exec_lo, s11
	s_delay_alu instid0(SALU_CYCLE_1)
	s_mov_b32 s11, exec_lo
	v_cmpx_gt_u32_e64 s7, v102
	s_cbranch_execz .LBB1245_616
.LBB1245_665:                           ;   in Loop: Header=BB1245_607 Depth=2
	global_load_b64 v[42:43], v2, s[8:9] offset:10240 scale_offset
	s_wait_xcnt 0x0
	s_or_b32 exec_lo, exec_lo, s11
	s_delay_alu instid0(SALU_CYCLE_1)
	s_mov_b32 s11, exec_lo
	v_cmpx_gt_u32_e64 s7, v103
	s_cbranch_execz .LBB1245_617
.LBB1245_666:                           ;   in Loop: Header=BB1245_607 Depth=2
	global_load_b64 v[40:41], v2, s[8:9] offset:12288 scale_offset
	s_wait_xcnt 0x0
	s_or_b32 exec_lo, exec_lo, s11
	s_delay_alu instid0(SALU_CYCLE_1)
	s_mov_b32 s11, exec_lo
	v_cmpx_gt_u32_e64 s7, v104
	s_cbranch_execz .LBB1245_618
.LBB1245_667:                           ;   in Loop: Header=BB1245_607 Depth=2
	global_load_b64 v[38:39], v2, s[8:9] offset:14336 scale_offset
	s_wait_xcnt 0x0
	s_or_b32 exec_lo, exec_lo, s11
	s_delay_alu instid0(SALU_CYCLE_1)
	s_mov_b32 s11, exec_lo
	v_cmpx_gt_u32_e64 s7, v105
	s_cbranch_execz .LBB1245_619
.LBB1245_668:                           ;   in Loop: Header=BB1245_607 Depth=2
	global_load_b64 v[36:37], v2, s[8:9] offset:16384 scale_offset
	s_wait_xcnt 0x0
	s_or_b32 exec_lo, exec_lo, s11
	s_delay_alu instid0(SALU_CYCLE_1)
	s_mov_b32 s11, exec_lo
	v_cmpx_gt_u32_e64 s7, v106
	s_cbranch_execz .LBB1245_620
.LBB1245_669:                           ;   in Loop: Header=BB1245_607 Depth=2
	global_load_b64 v[34:35], v2, s[8:9] offset:18432 scale_offset
	s_wait_xcnt 0x0
	s_or_b32 exec_lo, exec_lo, s11
	s_delay_alu instid0(SALU_CYCLE_1)
	s_mov_b32 s11, exec_lo
	v_cmpx_gt_u32_e64 s7, v107
	s_cbranch_execz .LBB1245_621
.LBB1245_670:                           ;   in Loop: Header=BB1245_607 Depth=2
	global_load_b64 v[32:33], v2, s[8:9] offset:20480 scale_offset
	s_wait_xcnt 0x0
	s_or_b32 exec_lo, exec_lo, s11
	s_delay_alu instid0(SALU_CYCLE_1)
	s_mov_b32 s11, exec_lo
	v_cmpx_gt_u32_e64 s7, v108
	s_cbranch_execz .LBB1245_622
.LBB1245_671:                           ;   in Loop: Header=BB1245_607 Depth=2
	global_load_b64 v[30:31], v2, s[8:9] offset:22528 scale_offset
	s_wait_xcnt 0x0
	s_or_b32 exec_lo, exec_lo, s11
	s_delay_alu instid0(SALU_CYCLE_1)
	s_mov_b32 s11, exec_lo
	v_cmpx_gt_u32_e64 s7, v109
	s_cbranch_execz .LBB1245_623
.LBB1245_672:                           ;   in Loop: Header=BB1245_607 Depth=2
	global_load_b64 v[28:29], v2, s[8:9] offset:24576 scale_offset
	s_wait_xcnt 0x0
	s_or_b32 exec_lo, exec_lo, s11
	s_delay_alu instid0(SALU_CYCLE_1)
	s_mov_b32 s11, exec_lo
	v_cmpx_gt_u32_e64 s7, v110
	s_cbranch_execz .LBB1245_624
.LBB1245_673:                           ;   in Loop: Header=BB1245_607 Depth=2
	global_load_b64 v[26:27], v2, s[8:9] offset:26624 scale_offset
	s_wait_xcnt 0x0
	s_or_b32 exec_lo, exec_lo, s11
	s_delay_alu instid0(SALU_CYCLE_1)
	s_mov_b32 s11, exec_lo
	v_cmpx_gt_u32_e64 s7, v111
	s_cbranch_execz .LBB1245_625
.LBB1245_674:                           ;   in Loop: Header=BB1245_607 Depth=2
	global_load_b64 v[24:25], v2, s[8:9] offset:28672 scale_offset
	s_wait_xcnt 0x0
	s_or_b32 exec_lo, exec_lo, s11
	s_delay_alu instid0(SALU_CYCLE_1)
	s_mov_b32 s11, exec_lo
	v_cmpx_gt_u32_e64 s7, v112
	s_cbranch_execnz .LBB1245_626
	s_branch .LBB1245_627
.LBB1245_675:                           ;   in Loop: Header=BB1245_17 Depth=1
	v_mov_b32_e32 v22, 0
	s_wait_dscnt 0x0
	s_barrier_signal -1
	s_barrier_wait -1
	s_and_saveexec_b32 s7, s0
	s_cbranch_execz .LBB1245_677
; %bb.676:                              ;   in Loop: Header=BB1245_17 Depth=1
	ds_load_2addr_b64 v[22:25], v115 offset1:1
	s_wait_dscnt 0x0
	v_add_nc_u32_e32 v22, v23, v22
	s_delay_alu instid0(VALU_DEP_1)
	v_add3_u32 v22, v22, v24, v25
.LBB1245_677:                           ;   in Loop: Header=BB1245_17 Depth=1
	s_or_b32 exec_lo, exec_lo, s7
	s_delay_alu instid0(VALU_DEP_1)
	v_mov_b32_dpp v23, v22 row_shr:1 row_mask:0xf bank_mask:0xf
	v_cmp_eq_u32_e64 s7, 0, v126
	v_cmp_lt_u32_e64 s8, 1, v126
	v_cmp_lt_u32_e64 s9, 3, v126
	;; [unrolled: 1-line block ×3, first 2 shown]
	v_cmp_eq_u32_e64 s11, 0, v128
	v_cndmask_b32_e64 v23, v23, 0, s7
	s_delay_alu instid0(VALU_DEP_1) | instskip(NEXT) | instid1(VALU_DEP_1)
	v_add_nc_u32_e32 v22, v23, v22
	v_mov_b32_dpp v23, v22 row_shr:2 row_mask:0xf bank_mask:0xf
	s_delay_alu instid0(VALU_DEP_1) | instskip(NEXT) | instid1(VALU_DEP_1)
	v_cndmask_b32_e64 v23, 0, v23, s8
	v_add_nc_u32_e32 v22, v22, v23
	s_delay_alu instid0(VALU_DEP_1) | instskip(NEXT) | instid1(VALU_DEP_1)
	v_mov_b32_dpp v23, v22 row_shr:4 row_mask:0xf bank_mask:0xf
	v_cndmask_b32_e64 v23, 0, v23, s9
	s_delay_alu instid0(VALU_DEP_1) | instskip(NEXT) | instid1(VALU_DEP_1)
	v_add_nc_u32_e32 v22, v22, v23
	v_mov_b32_dpp v23, v22 row_shr:8 row_mask:0xf bank_mask:0xf
	s_delay_alu instid0(VALU_DEP_1) | instskip(NEXT) | instid1(VALU_DEP_1)
	v_cndmask_b32_e64 v23, 0, v23, s10
	v_add_nc_u32_e32 v22, v22, v23
	ds_swizzle_b32 v23, v22 offset:swizzle(BROADCAST,32,15)
	s_wait_dscnt 0x0
	v_and_b32_e32 v23, v127, v23
	s_delay_alu instid0(VALU_DEP_1)
	v_add_nc_u32_e32 v22, v22, v23
	s_and_saveexec_b32 s12, s1
; %bb.678:                              ;   in Loop: Header=BB1245_17 Depth=1
	ds_store_b32 v116, v22
; %bb.679:                              ;   in Loop: Header=BB1245_17 Depth=1
	s_or_b32 exec_lo, exec_lo, s12
	s_wait_dscnt 0x0
	s_barrier_signal -1
	s_barrier_wait -1
	s_and_saveexec_b32 s12, s4
	s_cbranch_execz .LBB1245_681
; %bb.680:                              ;   in Loop: Header=BB1245_17 Depth=1
	ds_load_b32 v23, v117
	v_cmp_ne_u32_e32 vcc_lo, 0, v130
	s_wait_dscnt 0x0
	v_mov_b32_dpp v24, v23 row_shr:1 row_mask:0xf bank_mask:0xf
	s_delay_alu instid0(VALU_DEP_1) | instskip(SKIP_1) | instid1(VALU_DEP_2)
	v_cndmask_b32_e32 v24, 0, v24, vcc_lo
	v_cmp_lt_u32_e32 vcc_lo, 1, v130
	v_add_nc_u32_e32 v23, v24, v23
	s_delay_alu instid0(VALU_DEP_1) | instskip(NEXT) | instid1(VALU_DEP_1)
	v_mov_b32_dpp v24, v23 row_shr:2 row_mask:0xf bank_mask:0xf
	v_cndmask_b32_e32 v24, 0, v24, vcc_lo
	v_cmp_lt_u32_e32 vcc_lo, 3, v130
	s_delay_alu instid0(VALU_DEP_2) | instskip(NEXT) | instid1(VALU_DEP_1)
	v_add_nc_u32_e32 v23, v23, v24
	v_mov_b32_dpp v24, v23 row_shr:4 row_mask:0xf bank_mask:0xf
	s_delay_alu instid0(VALU_DEP_1) | instskip(NEXT) | instid1(VALU_DEP_1)
	v_cndmask_b32_e32 v24, 0, v24, vcc_lo
	v_add_nc_u32_e32 v23, v23, v24
	ds_store_b32 v117, v23
.LBB1245_681:                           ;   in Loop: Header=BB1245_17 Depth=1
	s_or_b32 exec_lo, exec_lo, s12
	v_mov_b32_e32 v23, 0
	s_wait_dscnt 0x0
	s_barrier_signal -1
	s_barrier_wait -1
	s_and_saveexec_b32 s12, s5
; %bb.682:                              ;   in Loop: Header=BB1245_17 Depth=1
	ds_load_b32 v23, v118
; %bb.683:                              ;   in Loop: Header=BB1245_17 Depth=1
	s_or_b32 exec_lo, exec_lo, s12
	v_cmp_gt_i32_e32 vcc_lo, 0, v131
	s_wait_dscnt 0x0
	s_barrier_signal -1
	s_barrier_wait -1
	v_cndmask_b32_e32 v24, v131, v124, vcc_lo
	s_delay_alu instid0(VALU_DEP_1)
	v_dual_add_nc_u32 v22, v23, v22 :: v_dual_lshlrev_b32 v147, 2, v24
	ds_bpermute_b32 v22, v147, v22
	s_and_saveexec_b32 s12, s0
	s_cbranch_execz .LBB1245_685
; %bb.684:                              ;   in Loop: Header=BB1245_17 Depth=1
	s_wait_dscnt 0x0
	v_cndmask_b32_e64 v22, v22, v23, s6
	s_delay_alu instid0(VALU_DEP_1)
	v_add_nc_u32_e32 v22, s56, v22
	ds_store_b32 v3, v22
.LBB1245_685:                           ;   in Loop: Header=BB1245_17 Depth=1
	s_or_b32 exec_lo, exec_lo, s12
	s_load_b64 s[12:13], s[52:53], 0x0
	v_add_nc_u64_e32 v[24:25], v[20:21], v[4:5]
	s_mov_b32 s59, s58
                                        ; implicit-def: $vgpr28_vgpr29
                                        ; implicit-def: $vgpr30_vgpr31
                                        ; implicit-def: $vgpr32_vgpr33
                                        ; implicit-def: $vgpr34_vgpr35
                                        ; implicit-def: $vgpr36_vgpr37
                                        ; implicit-def: $vgpr38_vgpr39
                                        ; implicit-def: $vgpr40_vgpr41
                                        ; implicit-def: $vgpr42_vgpr43
                                        ; implicit-def: $vgpr44_vgpr45
                                        ; implicit-def: $vgpr46_vgpr47
                                        ; implicit-def: $vgpr48_vgpr49
                                        ; implicit-def: $vgpr50_vgpr51
                                        ; implicit-def: $vgpr52_vgpr53
                                        ; implicit-def: $vgpr54_vgpr55
                                        ; implicit-def: $vgpr56_vgpr57
                                        ; implicit-def: $vgpr149
                                        ; implicit-def: $vgpr150
                                        ; implicit-def: $vgpr151
                                        ; implicit-def: $vgpr152
                                        ; implicit-def: $vgpr153
                                        ; implicit-def: $vgpr154
                                        ; implicit-def: $vgpr155
                                        ; implicit-def: $vgpr156
                                        ; implicit-def: $vgpr157
                                        ; implicit-def: $vgpr158
                                        ; implicit-def: $vgpr159
                                        ; implicit-def: $vgpr160
                                        ; implicit-def: $vgpr161
                                        ; implicit-def: $vgpr162
                                        ; implicit-def: $vgpr163
                                        ; implicit-def: $vgpr164
	s_wait_kmcnt 0x0
	s_cmp_lt_u32 s33, s12
	s_cselect_b32 s34, 12, 18
	s_cmp_lt_u32 s31, s13
	s_mov_b32 s13, s35
	s_cselect_b32 s12, 14, 20
	s_delay_alu instid0(SALU_CYCLE_1)
	s_add_nc_u64 s[12:13], s[52:53], s[12:13]
	s_load_u16 s14, s[12:13], 0x0
	s_wait_xcnt 0x0
	s_add_nc_u64 s[12:13], s[52:53], s[34:35]
	s_mov_b32 s34, s56
	s_load_u16 s12, s[12:13], 0x0
	s_wait_xcnt 0x0
	v_cmp_lt_u32_e64 s13, 1, v130
	s_wait_dscnt 0x0
	s_wait_kmcnt 0x0
	v_mad_u32_u24 v22, v119, s14, v121
	v_cmp_lt_u32_e64 s14, 3, v130
	s_delay_alu instid0(VALU_DEP_2) | instskip(SKIP_1) | instid1(VALU_DEP_2)
	v_mad_u32 v22, v22, s12, v2
	v_cmp_eq_u32_e64 s12, 0, v130
	v_lshrrev_b32_e32 v26, 3, v22
	v_add_nc_u64_e32 v[22:23], v[18:19], v[4:5]
	s_delay_alu instid0(VALU_DEP_2)
	v_and_b32_e32 v148, 0x1ffffffc, v26
                                        ; implicit-def: $vgpr26_vgpr27
	s_branch .LBB1245_687
.LBB1245_686:                           ;   in Loop: Header=BB1245_687 Depth=2
	s_or_b32 exec_lo, exec_lo, s15
	s_addk_co_i32 s59, 0xf000
	s_cmp_lt_u32 s60, s51
	s_mov_b32 s34, s60
	s_cbranch_scc0 .LBB1245_895
.LBB1245_687:                           ;   Parent Loop BB1245_17 Depth=1
                                        ; =>  This Inner Loop Header: Depth=2
	s_add_co_i32 s60, s34, 0x1000
	s_delay_alu instid0(SALU_CYCLE_1)
	s_cmp_gt_u32 s60, s51
	s_cbranch_scc1 .LBB1245_689
; %bb.688:                              ;   in Loop: Header=BB1245_687 Depth=2
	v_lshl_add_u64 v[66:67], s[34:35], 3, v[24:25]
	s_mov_b32 s15, -1
	s_clause 0xe
	global_load_b64 v[58:59], v[66:67], off
	global_load_b64 v[60:61], v[66:67], off offset:256
	global_load_b64 v[62:63], v[66:67], off offset:512
	;; [unrolled: 1-line block ×14, first 2 shown]
	s_movk_i32 s16, 0x1000
	s_cbranch_execz .LBB1245_690
	s_branch .LBB1245_721
.LBB1245_689:                           ;   in Loop: Header=BB1245_687 Depth=2
	s_mov_b32 s15, 0
                                        ; implicit-def: $vgpr58_vgpr59
                                        ; implicit-def: $vgpr60_vgpr61
                                        ; implicit-def: $vgpr62_vgpr63
                                        ; implicit-def: $vgpr70_vgpr71
                                        ; implicit-def: $vgpr74_vgpr75
                                        ; implicit-def: $vgpr78_vgpr79
                                        ; implicit-def: $vgpr82_vgpr83
                                        ; implicit-def: $vgpr86_vgpr87
                                        ; implicit-def: $vgpr88_vgpr89
                                        ; implicit-def: $vgpr84_vgpr85
                                        ; implicit-def: $vgpr80_vgpr81
                                        ; implicit-def: $vgpr76_vgpr77
                                        ; implicit-def: $vgpr72_vgpr73
                                        ; implicit-def: $vgpr68_vgpr69
                                        ; implicit-def: $vgpr64_vgpr65
	s_movk_i32 s16, 0x1000
.LBB1245_690:                           ;   in Loop: Header=BB1245_687 Depth=2
	s_wait_loadcnt 0xd
	v_mov_b64_e32 v[60:61], 0x7fffffffffffffff
	v_mov_b64_e32 v[58:59], 0x7fffffffffffffff
	s_wait_xcnt 0x0
	v_lshl_add_u64 v[66:67], s[34:35], 3, v[24:25]
	s_mov_b32 s15, exec_lo
	v_cmpx_gt_u32_e64 s59, v129
	s_cbranch_execz .LBB1245_692
; %bb.691:                              ;   in Loop: Header=BB1245_687 Depth=2
	global_load_b64 v[58:59], v[66:67], off
.LBB1245_692:                           ;   in Loop: Header=BB1245_687 Depth=2
	s_wait_xcnt 0x0
	s_or_b32 exec_lo, exec_lo, s15
	s_delay_alu instid0(SALU_CYCLE_1)
	s_mov_b32 s15, exec_lo
	v_cmpx_gt_u32_e64 s59, v132
	s_cbranch_execz .LBB1245_694
; %bb.693:                              ;   in Loop: Header=BB1245_687 Depth=2
	global_load_b64 v[60:61], v[66:67], off offset:256
.LBB1245_694:                           ;   in Loop: Header=BB1245_687 Depth=2
	s_wait_xcnt 0x0
	s_or_b32 exec_lo, exec_lo, s15
	s_wait_loadcnt 0xb
	v_mov_b64_e32 v[70:71], 0x7fffffffffffffff
	v_mov_b64_e32 v[62:63], 0x7fffffffffffffff
	s_mov_b32 s15, exec_lo
	v_cmpx_gt_u32_e64 s59, v133
	s_cbranch_execz .LBB1245_696
; %bb.695:                              ;   in Loop: Header=BB1245_687 Depth=2
	global_load_b64 v[62:63], v[66:67], off offset:512
.LBB1245_696:                           ;   in Loop: Header=BB1245_687 Depth=2
	s_wait_xcnt 0x0
	s_or_b32 exec_lo, exec_lo, s15
	s_delay_alu instid0(SALU_CYCLE_1)
	s_mov_b32 s15, exec_lo
	v_cmpx_gt_u32_e64 s59, v134
	s_cbranch_execz .LBB1245_698
; %bb.697:                              ;   in Loop: Header=BB1245_687 Depth=2
	global_load_b64 v[70:71], v[66:67], off offset:768
.LBB1245_698:                           ;   in Loop: Header=BB1245_687 Depth=2
	s_wait_xcnt 0x0
	s_or_b32 exec_lo, exec_lo, s15
	s_wait_loadcnt 0x9
	v_mov_b64_e32 v[78:79], 0x7fffffffffffffff
	v_mov_b64_e32 v[74:75], 0x7fffffffffffffff
	s_mov_b32 s15, exec_lo
	v_cmpx_gt_u32_e64 s59, v135
	s_cbranch_execz .LBB1245_700
; %bb.699:                              ;   in Loop: Header=BB1245_687 Depth=2
	global_load_b64 v[74:75], v[66:67], off offset:1024
.LBB1245_700:                           ;   in Loop: Header=BB1245_687 Depth=2
	s_wait_xcnt 0x0
	s_or_b32 exec_lo, exec_lo, s15
	s_delay_alu instid0(SALU_CYCLE_1)
	s_mov_b32 s15, exec_lo
	v_cmpx_gt_u32_e64 s59, v136
	s_cbranch_execz .LBB1245_702
; %bb.701:                              ;   in Loop: Header=BB1245_687 Depth=2
	global_load_b64 v[78:79], v[66:67], off offset:1280
.LBB1245_702:                           ;   in Loop: Header=BB1245_687 Depth=2
	s_wait_xcnt 0x0
	s_or_b32 exec_lo, exec_lo, s15
	s_wait_loadcnt 0x7
	v_mov_b64_e32 v[86:87], 0x7fffffffffffffff
	v_mov_b64_e32 v[82:83], 0x7fffffffffffffff
	s_mov_b32 s15, exec_lo
	v_cmpx_gt_u32_e64 s59, v137
	s_cbranch_execz .LBB1245_704
; %bb.703:                              ;   in Loop: Header=BB1245_687 Depth=2
	global_load_b64 v[82:83], v[66:67], off offset:1536
.LBB1245_704:                           ;   in Loop: Header=BB1245_687 Depth=2
	s_wait_xcnt 0x0
	s_or_b32 exec_lo, exec_lo, s15
	s_delay_alu instid0(SALU_CYCLE_1)
	s_mov_b32 s15, exec_lo
	v_cmpx_gt_u32_e64 s59, v138
	s_cbranch_execz .LBB1245_706
; %bb.705:                              ;   in Loop: Header=BB1245_687 Depth=2
	global_load_b64 v[86:87], v[66:67], off offset:1792
.LBB1245_706:                           ;   in Loop: Header=BB1245_687 Depth=2
	s_wait_xcnt 0x0
	s_or_b32 exec_lo, exec_lo, s15
	s_wait_loadcnt 0x5
	v_mov_b64_e32 v[84:85], 0x7fffffffffffffff
	v_mov_b64_e32 v[88:89], 0x7fffffffffffffff
	s_mov_b32 s15, exec_lo
	v_cmpx_gt_u32_e64 s59, v139
	s_cbranch_execz .LBB1245_708
; %bb.707:                              ;   in Loop: Header=BB1245_687 Depth=2
	global_load_b64 v[88:89], v[66:67], off offset:2048
.LBB1245_708:                           ;   in Loop: Header=BB1245_687 Depth=2
	s_wait_xcnt 0x0
	s_or_b32 exec_lo, exec_lo, s15
	s_delay_alu instid0(SALU_CYCLE_1)
	s_mov_b32 s15, exec_lo
	v_cmpx_gt_u32_e64 s59, v140
	s_cbranch_execz .LBB1245_710
; %bb.709:                              ;   in Loop: Header=BB1245_687 Depth=2
	global_load_b64 v[84:85], v[66:67], off offset:2304
.LBB1245_710:                           ;   in Loop: Header=BB1245_687 Depth=2
	s_wait_xcnt 0x0
	s_or_b32 exec_lo, exec_lo, s15
	s_wait_loadcnt 0x3
	v_mov_b64_e32 v[76:77], 0x7fffffffffffffff
	v_mov_b64_e32 v[80:81], 0x7fffffffffffffff
	s_mov_b32 s15, exec_lo
	v_cmpx_gt_u32_e64 s59, v141
	s_cbranch_execz .LBB1245_712
; %bb.711:                              ;   in Loop: Header=BB1245_687 Depth=2
	global_load_b64 v[80:81], v[66:67], off offset:2560
.LBB1245_712:                           ;   in Loop: Header=BB1245_687 Depth=2
	s_wait_xcnt 0x0
	s_or_b32 exec_lo, exec_lo, s15
	s_delay_alu instid0(SALU_CYCLE_1)
	s_mov_b32 s15, exec_lo
	v_cmpx_gt_u32_e64 s59, v142
	s_cbranch_execz .LBB1245_714
; %bb.713:                              ;   in Loop: Header=BB1245_687 Depth=2
	global_load_b64 v[76:77], v[66:67], off offset:2816
.LBB1245_714:                           ;   in Loop: Header=BB1245_687 Depth=2
	s_wait_xcnt 0x0
	s_or_b32 exec_lo, exec_lo, s15
	s_wait_loadcnt 0x1
	v_mov_b64_e32 v[68:69], 0x7fffffffffffffff
	v_mov_b64_e32 v[72:73], 0x7fffffffffffffff
	s_mov_b32 s15, exec_lo
	v_cmpx_gt_u32_e64 s59, v143
	s_cbranch_execz .LBB1245_716
; %bb.715:                              ;   in Loop: Header=BB1245_687 Depth=2
	global_load_b64 v[72:73], v[66:67], off offset:3072
.LBB1245_716:                           ;   in Loop: Header=BB1245_687 Depth=2
	s_wait_xcnt 0x0
	s_or_b32 exec_lo, exec_lo, s15
	s_delay_alu instid0(SALU_CYCLE_1)
	s_mov_b32 s15, exec_lo
	v_cmpx_gt_u32_e64 s59, v144
	s_cbranch_execz .LBB1245_718
; %bb.717:                              ;   in Loop: Header=BB1245_687 Depth=2
	global_load_b64 v[68:69], v[66:67], off offset:3328
.LBB1245_718:                           ;   in Loop: Header=BB1245_687 Depth=2
	s_wait_xcnt 0x0
	s_or_b32 exec_lo, exec_lo, s15
	s_wait_loadcnt 0x0
	v_mov_b64_e32 v[64:65], 0x7fffffffffffffff
	s_mov_b32 s15, exec_lo
	v_cmpx_gt_u32_e64 s59, v145
	s_cbranch_execz .LBB1245_720
; %bb.719:                              ;   in Loop: Header=BB1245_687 Depth=2
	global_load_b64 v[64:65], v[66:67], off offset:3584
.LBB1245_720:                           ;   in Loop: Header=BB1245_687 Depth=2
	s_wait_xcnt 0x0
	s_or_b32 exec_lo, exec_lo, s15
	v_cmp_gt_u32_e64 s15, s59, v146
	s_sub_co_i32 s16, s51, s34
.LBB1245_721:                           ;   in Loop: Header=BB1245_687 Depth=2
	s_wait_xcnt 0x0
	v_mov_b64_e32 v[66:67], 0x7fffffffffffffff
	v_mov_b32_e32 v165, s59
	s_and_saveexec_b32 s17, s15
	s_cbranch_execz .LBB1245_723
; %bb.722:                              ;   in Loop: Header=BB1245_687 Depth=2
	v_lshl_add_u64 v[66:67], s[34:35], 3, v[24:25]
	v_mov_b32_e32 v165, s16
	global_load_b64 v[66:67], v[66:67], off offset:3840
.LBB1245_723:                           ;   in Loop: Header=BB1245_687 Depth=2
	s_wait_xcnt 0x0
	s_or_b32 exec_lo, exec_lo, s17
	s_wait_loadcnt 0xe
	v_cmp_lt_i64_e32 vcc_lo, -1, v[58:59]
	v_add_nc_u32_e32 v168, 0x420, v120
	v_add_nc_u32_e32 v169, 0x428, v120
	;; [unrolled: 1-line block ×3, first 2 shown]
	v_cndmask_b32_e64 v90, -1, 0x80000000, vcc_lo
	s_delay_alu instid0(VALU_DEP_1) | instskip(NEXT) | instid1(VALU_DEP_1)
	v_dual_ashrrev_i32 v91, 31, v59 :: v_dual_bitop2_b32 v59, v90, v59 bitop3:0x14
	v_xor_b32_e32 v58, v91, v58
	s_delay_alu instid0(VALU_DEP_1) | instskip(SKIP_2) | instid1(VALU_DEP_1)
	v_cmp_ne_u64_e32 vcc_lo, s[42:43], v[58:59]
	v_cndmask_b32_e32 v91, 0x80000000, v59, vcc_lo
	v_cndmask_b32_e32 v90, 0, v58, vcc_lo
	v_lshrrev_b64 v[90:91], s48, v[90:91]
	s_delay_alu instid0(VALU_DEP_1) | instskip(SKIP_1) | instid1(VALU_DEP_2)
	v_bitop3_b32 v91, v90, 1, s55 bitop3:0x80
	v_and_b32_e32 v92, s55, v90
	v_add_co_u32 v90, s15, v91, -1
	s_delay_alu instid0(VALU_DEP_1) | instskip(NEXT) | instid1(VALU_DEP_3)
	v_cndmask_b32_e64 v91, 0, 1, s15
	v_lshlrev_b32_e32 v93, 30, v92
	s_delay_alu instid0(VALU_DEP_2) | instskip(NEXT) | instid1(VALU_DEP_2)
	v_cmp_ne_u32_e32 vcc_lo, 0, v91
	v_not_b32_e32 v91, v93
	v_cmp_gt_i32_e64 s15, 0, v93
	s_delay_alu instid0(VALU_DEP_2) | instskip(SKIP_3) | instid1(VALU_DEP_4)
	v_dual_ashrrev_i32 v91, 31, v91 :: v_dual_lshlrev_b32 v94, 29, v92
	v_dual_lshlrev_b32 v95, 28, v92 :: v_dual_lshlrev_b32 v96, 27, v92
	v_dual_lshlrev_b32 v97, 26, v92 :: v_dual_lshlrev_b32 v166, 25, v92
	v_lshlrev_b32_e32 v167, 24, v92
	v_cmp_gt_i32_e64 s16, 0, v94
	v_not_b32_e32 v93, v94
	v_not_b32_e32 v94, v95
	v_cmp_gt_i32_e64 s17, 0, v95
	v_cmp_gt_i32_e64 s18, 0, v96
	v_not_b32_e32 v95, v96
	v_not_b32_e32 v96, v97
	v_dual_ashrrev_i32 v93, 31, v93 :: v_dual_bitop2_b32 v90, vcc_lo, v90 bitop3:0x14
	v_dual_ashrrev_i32 v94, 31, v94 :: v_dual_bitop2_b32 v91, s15, v91 bitop3:0x14
	v_cmp_gt_i32_e64 s19, 0, v97
	v_cmp_gt_i32_e64 s20, 0, v166
	v_not_b32_e32 v97, v166
	v_not_b32_e32 v166, v167
	v_dual_ashrrev_i32 v95, 31, v95 :: v_dual_ashrrev_i32 v96, 31, v96
	v_xor_b32_e32 v93, s16, v93
	v_xor_b32_e32 v94, s17, v94
	v_bitop3_b32 v90, v90, v91, exec_lo bitop3:0x80
	v_cmp_gt_i32_e64 s21, 0, v167
	v_dual_ashrrev_i32 v91, 31, v97 :: v_dual_ashrrev_i32 v97, 31, v166
	v_xor_b32_e32 v95, s18, v95
	v_xor_b32_e32 v96, s19, v96
	v_bitop3_b32 v90, v90, v94, v93 bitop3:0x80
	s_delay_alu instid0(VALU_DEP_4) | instskip(SKIP_2) | instid1(VALU_DEP_4)
	v_xor_b32_e32 v91, s20, v91
	v_xor_b32_e32 v93, s21, v97
	v_add_nc_u32_e32 v167, 0x438, v120
	v_bitop3_b32 v90, v90, v96, v95 bitop3:0x80
	ds_store_2addr_b32 v167, v5, v5 offset1:1
	ds_store_2addr_b32 v168, v5, v5 offset1:1
	;; [unrolled: 1-line block ×4, first 2 shown]
	ds_store_b32 v120, v5 offset:1088
	v_bitop3_b32 v90, v90, v93, v91 bitop3:0x80
	v_mul_u32_u24_e32 v91, 36, v92
	s_wait_loadcnt_dscnt 0x0
	s_barrier_signal -1
	s_barrier_wait -1
	v_mbcnt_lo_u32_b32 v166, v90, 0
	v_cmp_ne_u32_e64 s15, 0, v90
	v_add_nc_u32_e32 v171, v148, v91
	s_delay_alu instid0(VALU_DEP_3) | instskip(SKIP_1) | instid1(SALU_CYCLE_1)
	v_cmp_eq_u32_e32 vcc_lo, 0, v166
	; wave barrier
	s_and_b32 s16, s15, vcc_lo
	s_and_saveexec_b32 s15, s16
; %bb.724:                              ;   in Loop: Header=BB1245_687 Depth=2
	v_bcnt_u32_b32 v90, v90, 0
	ds_store_b32 v171, v90 offset:1056
; %bb.725:                              ;   in Loop: Header=BB1245_687 Depth=2
	s_or_b32 exec_lo, exec_lo, s15
	v_cmp_lt_i64_e32 vcc_lo, -1, v[60:61]
	; wave barrier
	v_cndmask_b32_e64 v90, -1, 0x80000000, vcc_lo
	s_delay_alu instid0(VALU_DEP_1) | instskip(NEXT) | instid1(VALU_DEP_1)
	v_dual_ashrrev_i32 v91, 31, v61 :: v_dual_bitop2_b32 v61, v90, v61 bitop3:0x14
	v_xor_b32_e32 v60, v91, v60
	s_delay_alu instid0(VALU_DEP_1) | instskip(SKIP_2) | instid1(VALU_DEP_1)
	v_cmp_ne_u64_e32 vcc_lo, s[42:43], v[60:61]
	v_cndmask_b32_e32 v91, 0x80000000, v61, vcc_lo
	v_cndmask_b32_e32 v90, 0, v60, vcc_lo
	v_lshrrev_b64 v[90:91], s48, v[90:91]
	s_delay_alu instid0(VALU_DEP_1) | instskip(SKIP_1) | instid1(VALU_DEP_2)
	v_bitop3_b32 v91, v90, 1, s55 bitop3:0x80
	v_and_b32_e32 v92, s55, v90
	v_add_co_u32 v90, s15, v91, -1
	s_delay_alu instid0(VALU_DEP_1) | instskip(NEXT) | instid1(VALU_DEP_3)
	v_cndmask_b32_e64 v91, 0, 1, s15
	v_dual_lshlrev_b32 v93, 30, v92 :: v_dual_lshlrev_b32 v95, 28, v92
	v_dual_lshlrev_b32 v94, 29, v92 :: v_dual_lshlrev_b32 v96, 27, v92
	s_delay_alu instid0(VALU_DEP_3) | instskip(NEXT) | instid1(VALU_DEP_3)
	v_cmp_ne_u32_e32 vcc_lo, 0, v91
	v_cmp_gt_i32_e64 s15, 0, v93
	v_not_b32_e32 v91, v93
	s_delay_alu instid0(VALU_DEP_4) | instskip(SKIP_4) | instid1(VALU_DEP_4)
	v_cmp_gt_i32_e64 s16, 0, v94
	v_not_b32_e32 v93, v94
	v_cmp_gt_i32_e64 s17, 0, v95
	v_not_b32_e32 v94, v95
	v_not_b32_e32 v95, v96
	v_dual_ashrrev_i32 v91, 31, v91 :: v_dual_ashrrev_i32 v93, 31, v93
	s_delay_alu instid0(VALU_DEP_2) | instskip(SKIP_4) | instid1(VALU_DEP_4)
	v_dual_ashrrev_i32 v94, 31, v94 :: v_dual_ashrrev_i32 v95, 31, v95
	v_dual_lshlrev_b32 v97, 26, v92 :: v_dual_lshlrev_b32 v172, 25, v92
	v_lshlrev_b32_e32 v173, 24, v92
	v_cmp_gt_i32_e64 s18, 0, v96
	v_xor_b32_e32 v91, s15, v91
	v_not_b32_e32 v96, v97
	v_xor_b32_e32 v90, vcc_lo, v90
	v_cmp_gt_i32_e64 s19, 0, v97
	v_cmp_gt_i32_e64 s20, 0, v172
	v_not_b32_e32 v97, v172
	v_not_b32_e32 v172, v173
	v_dual_ashrrev_i32 v96, 31, v96 :: v_dual_bitop2_b32 v93, s16, v93 bitop3:0x14
	v_xor_b32_e32 v94, s17, v94
	v_bitop3_b32 v90, v90, v91, exec_lo bitop3:0x80
	v_cmp_gt_i32_e64 s21, 0, v173
	v_dual_ashrrev_i32 v91, 31, v97 :: v_dual_ashrrev_i32 v97, 31, v172
	v_xor_b32_e32 v95, s18, v95
	v_xor_b32_e32 v96, s19, v96
	v_bitop3_b32 v90, v90, v94, v93 bitop3:0x80
	v_mad_u32_u24 v93, v92, 36, v148
	v_xor_b32_e32 v91, s20, v91
	v_xor_b32_e32 v94, s21, v97
	s_delay_alu instid0(VALU_DEP_4) | instskip(SKIP_3) | instid1(VALU_DEP_2)
	v_bitop3_b32 v90, v90, v96, v95 bitop3:0x80
	ds_load_b32 v172, v93 offset:1056
	; wave barrier
	v_bitop3_b32 v90, v90, v94, v91 bitop3:0x80
	v_mul_u32_u24_e32 v91, 36, v92
	v_mbcnt_lo_u32_b32 v173, v90, 0
	v_cmp_ne_u32_e64 s15, 0, v90
	s_delay_alu instid0(VALU_DEP_3) | instskip(NEXT) | instid1(VALU_DEP_3)
	v_add_nc_u32_e32 v174, v148, v91
	v_cmp_eq_u32_e32 vcc_lo, 0, v173
	s_and_b32 s16, s15, vcc_lo
	s_delay_alu instid0(SALU_CYCLE_1)
	s_and_saveexec_b32 s15, s16
	s_cbranch_execz .LBB1245_727
; %bb.726:                              ;   in Loop: Header=BB1245_687 Depth=2
	s_wait_dscnt 0x0
	v_bcnt_u32_b32 v90, v90, v172
	ds_store_b32 v174, v90 offset:1056
.LBB1245_727:                           ;   in Loop: Header=BB1245_687 Depth=2
	s_or_b32 exec_lo, exec_lo, s15
	v_cmp_lt_i64_e32 vcc_lo, -1, v[62:63]
	; wave barrier
	v_cndmask_b32_e64 v90, -1, 0x80000000, vcc_lo
	s_delay_alu instid0(VALU_DEP_1) | instskip(NEXT) | instid1(VALU_DEP_1)
	v_dual_ashrrev_i32 v91, 31, v63 :: v_dual_bitop2_b32 v63, v90, v63 bitop3:0x14
	v_xor_b32_e32 v62, v91, v62
	s_delay_alu instid0(VALU_DEP_1) | instskip(SKIP_2) | instid1(VALU_DEP_1)
	v_cmp_ne_u64_e32 vcc_lo, s[42:43], v[62:63]
	v_cndmask_b32_e32 v91, 0x80000000, v63, vcc_lo
	v_cndmask_b32_e32 v90, 0, v62, vcc_lo
	v_lshrrev_b64 v[90:91], s48, v[90:91]
	s_delay_alu instid0(VALU_DEP_1) | instskip(SKIP_1) | instid1(VALU_DEP_2)
	v_bitop3_b32 v91, v90, 1, s55 bitop3:0x80
	v_and_b32_e32 v92, s55, v90
	v_add_co_u32 v90, s15, v91, -1
	s_delay_alu instid0(VALU_DEP_1) | instskip(NEXT) | instid1(VALU_DEP_3)
	v_cndmask_b32_e64 v91, 0, 1, s15
	v_lshlrev_b32_e32 v93, 30, v92
	s_delay_alu instid0(VALU_DEP_2) | instskip(NEXT) | instid1(VALU_DEP_2)
	v_cmp_ne_u32_e32 vcc_lo, 0, v91
	v_not_b32_e32 v91, v93
	v_cmp_gt_i32_e64 s15, 0, v93
	s_delay_alu instid0(VALU_DEP_2) | instskip(SKIP_3) | instid1(VALU_DEP_4)
	v_dual_ashrrev_i32 v91, 31, v91 :: v_dual_lshlrev_b32 v94, 29, v92
	v_dual_lshlrev_b32 v95, 28, v92 :: v_dual_lshlrev_b32 v96, 27, v92
	v_dual_lshlrev_b32 v97, 26, v92 :: v_dual_lshlrev_b32 v175, 25, v92
	v_lshlrev_b32_e32 v176, 24, v92
	v_cmp_gt_i32_e64 s16, 0, v94
	v_not_b32_e32 v93, v94
	v_not_b32_e32 v94, v95
	v_cmp_gt_i32_e64 s17, 0, v95
	v_cmp_gt_i32_e64 s18, 0, v96
	v_not_b32_e32 v95, v96
	v_not_b32_e32 v96, v97
	v_dual_ashrrev_i32 v93, 31, v93 :: v_dual_bitop2_b32 v90, vcc_lo, v90 bitop3:0x14
	v_dual_ashrrev_i32 v94, 31, v94 :: v_dual_bitop2_b32 v91, s15, v91 bitop3:0x14
	v_cmp_gt_i32_e64 s19, 0, v97
	v_cmp_gt_i32_e64 s20, 0, v175
	v_not_b32_e32 v97, v175
	v_not_b32_e32 v175, v176
	v_dual_ashrrev_i32 v95, 31, v95 :: v_dual_ashrrev_i32 v96, 31, v96
	v_xor_b32_e32 v93, s16, v93
	v_xor_b32_e32 v94, s17, v94
	v_bitop3_b32 v90, v90, v91, exec_lo bitop3:0x80
	v_cmp_gt_i32_e64 s21, 0, v176
	v_dual_ashrrev_i32 v91, 31, v97 :: v_dual_ashrrev_i32 v97, 31, v175
	v_xor_b32_e32 v95, s18, v95
	v_xor_b32_e32 v96, s19, v96
	v_bitop3_b32 v90, v90, v94, v93 bitop3:0x80
	v_mad_u32_u24 v93, v92, 36, v148
	v_xor_b32_e32 v91, s20, v91
	v_xor_b32_e32 v94, s21, v97
	s_delay_alu instid0(VALU_DEP_4) | instskip(SKIP_3) | instid1(VALU_DEP_2)
	v_bitop3_b32 v90, v90, v96, v95 bitop3:0x80
	ds_load_b32 v175, v93 offset:1056
	; wave barrier
	v_bitop3_b32 v90, v90, v94, v91 bitop3:0x80
	v_mul_u32_u24_e32 v91, 36, v92
	v_mbcnt_lo_u32_b32 v176, v90, 0
	v_cmp_ne_u32_e64 s15, 0, v90
	s_delay_alu instid0(VALU_DEP_3) | instskip(NEXT) | instid1(VALU_DEP_3)
	v_add_nc_u32_e32 v177, v148, v91
	v_cmp_eq_u32_e32 vcc_lo, 0, v176
	s_and_b32 s16, s15, vcc_lo
	s_delay_alu instid0(SALU_CYCLE_1)
	s_and_saveexec_b32 s15, s16
	s_cbranch_execz .LBB1245_729
; %bb.728:                              ;   in Loop: Header=BB1245_687 Depth=2
	s_wait_dscnt 0x0
	v_bcnt_u32_b32 v90, v90, v175
	ds_store_b32 v177, v90 offset:1056
.LBB1245_729:                           ;   in Loop: Header=BB1245_687 Depth=2
	s_or_b32 exec_lo, exec_lo, s15
	v_cmp_lt_i64_e32 vcc_lo, -1, v[70:71]
	; wave barrier
	v_cndmask_b32_e64 v90, -1, 0x80000000, vcc_lo
	s_delay_alu instid0(VALU_DEP_1) | instskip(NEXT) | instid1(VALU_DEP_1)
	v_dual_ashrrev_i32 v91, 31, v71 :: v_dual_bitop2_b32 v71, v90, v71 bitop3:0x14
	v_xor_b32_e32 v70, v91, v70
	s_delay_alu instid0(VALU_DEP_1) | instskip(SKIP_2) | instid1(VALU_DEP_1)
	v_cmp_ne_u64_e32 vcc_lo, s[42:43], v[70:71]
	v_cndmask_b32_e32 v91, 0x80000000, v71, vcc_lo
	v_cndmask_b32_e32 v90, 0, v70, vcc_lo
	v_lshrrev_b64 v[90:91], s48, v[90:91]
	s_delay_alu instid0(VALU_DEP_1) | instskip(SKIP_1) | instid1(VALU_DEP_2)
	v_bitop3_b32 v91, v90, 1, s55 bitop3:0x80
	v_and_b32_e32 v92, s55, v90
	v_add_co_u32 v90, s15, v91, -1
	s_delay_alu instid0(VALU_DEP_1) | instskip(NEXT) | instid1(VALU_DEP_3)
	v_cndmask_b32_e64 v91, 0, 1, s15
	v_lshlrev_b32_e32 v93, 30, v92
	s_delay_alu instid0(VALU_DEP_2) | instskip(NEXT) | instid1(VALU_DEP_2)
	v_cmp_ne_u32_e32 vcc_lo, 0, v91
	v_not_b32_e32 v91, v93
	v_cmp_gt_i32_e64 s15, 0, v93
	s_delay_alu instid0(VALU_DEP_2) | instskip(SKIP_3) | instid1(VALU_DEP_4)
	v_dual_ashrrev_i32 v91, 31, v91 :: v_dual_lshlrev_b32 v94, 29, v92
	v_dual_lshlrev_b32 v95, 28, v92 :: v_dual_lshlrev_b32 v96, 27, v92
	v_dual_lshlrev_b32 v97, 26, v92 :: v_dual_lshlrev_b32 v178, 25, v92
	v_lshlrev_b32_e32 v179, 24, v92
	v_cmp_gt_i32_e64 s16, 0, v94
	v_not_b32_e32 v93, v94
	v_not_b32_e32 v94, v95
	v_cmp_gt_i32_e64 s17, 0, v95
	v_cmp_gt_i32_e64 s18, 0, v96
	v_not_b32_e32 v95, v96
	v_not_b32_e32 v96, v97
	v_dual_ashrrev_i32 v93, 31, v93 :: v_dual_bitop2_b32 v90, vcc_lo, v90 bitop3:0x14
	v_dual_ashrrev_i32 v94, 31, v94 :: v_dual_bitop2_b32 v91, s15, v91 bitop3:0x14
	v_cmp_gt_i32_e64 s19, 0, v97
	v_cmp_gt_i32_e64 s20, 0, v178
	v_not_b32_e32 v97, v178
	v_not_b32_e32 v178, v179
	v_dual_ashrrev_i32 v95, 31, v95 :: v_dual_ashrrev_i32 v96, 31, v96
	v_xor_b32_e32 v93, s16, v93
	v_xor_b32_e32 v94, s17, v94
	v_bitop3_b32 v90, v90, v91, exec_lo bitop3:0x80
	v_cmp_gt_i32_e64 s21, 0, v179
	v_dual_ashrrev_i32 v91, 31, v97 :: v_dual_ashrrev_i32 v97, 31, v178
	v_xor_b32_e32 v95, s18, v95
	v_xor_b32_e32 v96, s19, v96
	v_bitop3_b32 v90, v90, v94, v93 bitop3:0x80
	v_mad_u32_u24 v93, v92, 36, v148
	v_xor_b32_e32 v91, s20, v91
	v_xor_b32_e32 v94, s21, v97
	s_delay_alu instid0(VALU_DEP_4) | instskip(SKIP_3) | instid1(VALU_DEP_2)
	v_bitop3_b32 v90, v90, v96, v95 bitop3:0x80
	ds_load_b32 v178, v93 offset:1056
	; wave barrier
	v_bitop3_b32 v90, v90, v94, v91 bitop3:0x80
	v_mul_u32_u24_e32 v91, 36, v92
	v_mbcnt_lo_u32_b32 v179, v90, 0
	v_cmp_ne_u32_e64 s15, 0, v90
	s_delay_alu instid0(VALU_DEP_3) | instskip(NEXT) | instid1(VALU_DEP_3)
	v_add_nc_u32_e32 v180, v148, v91
	v_cmp_eq_u32_e32 vcc_lo, 0, v179
	s_and_b32 s16, s15, vcc_lo
	s_delay_alu instid0(SALU_CYCLE_1)
	s_and_saveexec_b32 s15, s16
	s_cbranch_execz .LBB1245_731
; %bb.730:                              ;   in Loop: Header=BB1245_687 Depth=2
	s_wait_dscnt 0x0
	v_bcnt_u32_b32 v90, v90, v178
	ds_store_b32 v180, v90 offset:1056
.LBB1245_731:                           ;   in Loop: Header=BB1245_687 Depth=2
	s_or_b32 exec_lo, exec_lo, s15
	v_cmp_lt_i64_e32 vcc_lo, -1, v[74:75]
	; wave barrier
	v_cndmask_b32_e64 v90, -1, 0x80000000, vcc_lo
	s_delay_alu instid0(VALU_DEP_1) | instskip(NEXT) | instid1(VALU_DEP_1)
	v_dual_ashrrev_i32 v91, 31, v75 :: v_dual_bitop2_b32 v75, v90, v75 bitop3:0x14
	v_xor_b32_e32 v74, v91, v74
	s_delay_alu instid0(VALU_DEP_1) | instskip(SKIP_2) | instid1(VALU_DEP_1)
	v_cmp_ne_u64_e32 vcc_lo, s[42:43], v[74:75]
	v_cndmask_b32_e32 v91, 0x80000000, v75, vcc_lo
	v_cndmask_b32_e32 v90, 0, v74, vcc_lo
	v_lshrrev_b64 v[90:91], s48, v[90:91]
	s_delay_alu instid0(VALU_DEP_1) | instskip(SKIP_1) | instid1(VALU_DEP_2)
	v_bitop3_b32 v91, v90, 1, s55 bitop3:0x80
	v_and_b32_e32 v92, s55, v90
	v_add_co_u32 v90, s15, v91, -1
	s_delay_alu instid0(VALU_DEP_1) | instskip(NEXT) | instid1(VALU_DEP_3)
	v_cndmask_b32_e64 v91, 0, 1, s15
	v_lshlrev_b32_e32 v93, 30, v92
	s_delay_alu instid0(VALU_DEP_2) | instskip(NEXT) | instid1(VALU_DEP_2)
	v_cmp_ne_u32_e32 vcc_lo, 0, v91
	v_not_b32_e32 v91, v93
	v_cmp_gt_i32_e64 s15, 0, v93
	s_delay_alu instid0(VALU_DEP_2) | instskip(SKIP_3) | instid1(VALU_DEP_4)
	v_dual_ashrrev_i32 v91, 31, v91 :: v_dual_lshlrev_b32 v94, 29, v92
	v_dual_lshlrev_b32 v95, 28, v92 :: v_dual_lshlrev_b32 v96, 27, v92
	v_dual_lshlrev_b32 v97, 26, v92 :: v_dual_lshlrev_b32 v181, 25, v92
	v_lshlrev_b32_e32 v182, 24, v92
	v_cmp_gt_i32_e64 s16, 0, v94
	v_not_b32_e32 v93, v94
	v_not_b32_e32 v94, v95
	v_cmp_gt_i32_e64 s17, 0, v95
	v_cmp_gt_i32_e64 s18, 0, v96
	v_not_b32_e32 v95, v96
	v_not_b32_e32 v96, v97
	v_dual_ashrrev_i32 v93, 31, v93 :: v_dual_bitop2_b32 v90, vcc_lo, v90 bitop3:0x14
	v_dual_ashrrev_i32 v94, 31, v94 :: v_dual_bitop2_b32 v91, s15, v91 bitop3:0x14
	v_cmp_gt_i32_e64 s19, 0, v97
	v_cmp_gt_i32_e64 s20, 0, v181
	v_not_b32_e32 v97, v181
	v_not_b32_e32 v181, v182
	v_dual_ashrrev_i32 v95, 31, v95 :: v_dual_ashrrev_i32 v96, 31, v96
	v_xor_b32_e32 v93, s16, v93
	v_xor_b32_e32 v94, s17, v94
	v_bitop3_b32 v90, v90, v91, exec_lo bitop3:0x80
	v_cmp_gt_i32_e64 s21, 0, v182
	v_ashrrev_i32_e32 v91, 31, v97
	v_dual_ashrrev_i32 v97, 31, v181 :: v_dual_bitop2_b32 v95, s18, v95 bitop3:0x14
	v_xor_b32_e32 v96, s19, v96
	v_bitop3_b32 v90, v90, v94, v93 bitop3:0x80
	v_mad_u32_u24 v93, v92, 36, v148
	v_xor_b32_e32 v91, s20, v91
	v_xor_b32_e32 v94, s21, v97
	s_delay_alu instid0(VALU_DEP_4) | instskip(SKIP_3) | instid1(VALU_DEP_2)
	v_bitop3_b32 v90, v90, v96, v95 bitop3:0x80
	ds_load_b32 v181, v93 offset:1056
	; wave barrier
	v_bitop3_b32 v90, v90, v94, v91 bitop3:0x80
	v_mul_u32_u24_e32 v91, 36, v92
	v_mbcnt_lo_u32_b32 v182, v90, 0
	v_cmp_ne_u32_e64 s15, 0, v90
	s_delay_alu instid0(VALU_DEP_3) | instskip(NEXT) | instid1(VALU_DEP_3)
	v_add_nc_u32_e32 v183, v148, v91
	v_cmp_eq_u32_e32 vcc_lo, 0, v182
	s_and_b32 s16, s15, vcc_lo
	s_delay_alu instid0(SALU_CYCLE_1)
	s_and_saveexec_b32 s15, s16
	s_cbranch_execz .LBB1245_733
; %bb.732:                              ;   in Loop: Header=BB1245_687 Depth=2
	s_wait_dscnt 0x0
	v_bcnt_u32_b32 v90, v90, v181
	ds_store_b32 v183, v90 offset:1056
.LBB1245_733:                           ;   in Loop: Header=BB1245_687 Depth=2
	s_or_b32 exec_lo, exec_lo, s15
	v_cmp_lt_i64_e32 vcc_lo, -1, v[78:79]
	; wave barrier
	v_cndmask_b32_e64 v90, -1, 0x80000000, vcc_lo
	s_delay_alu instid0(VALU_DEP_1) | instskip(NEXT) | instid1(VALU_DEP_1)
	v_dual_ashrrev_i32 v91, 31, v79 :: v_dual_bitop2_b32 v79, v90, v79 bitop3:0x14
	v_xor_b32_e32 v78, v91, v78
	s_delay_alu instid0(VALU_DEP_1) | instskip(SKIP_2) | instid1(VALU_DEP_1)
	v_cmp_ne_u64_e32 vcc_lo, s[42:43], v[78:79]
	v_cndmask_b32_e32 v91, 0x80000000, v79, vcc_lo
	v_cndmask_b32_e32 v90, 0, v78, vcc_lo
	v_lshrrev_b64 v[90:91], s48, v[90:91]
	s_delay_alu instid0(VALU_DEP_1) | instskip(SKIP_1) | instid1(VALU_DEP_2)
	v_bitop3_b32 v91, v90, 1, s55 bitop3:0x80
	v_and_b32_e32 v92, s55, v90
	v_add_co_u32 v90, s15, v91, -1
	s_delay_alu instid0(VALU_DEP_1) | instskip(NEXT) | instid1(VALU_DEP_3)
	v_cndmask_b32_e64 v91, 0, 1, s15
	v_lshlrev_b32_e32 v93, 30, v92
	s_delay_alu instid0(VALU_DEP_2) | instskip(NEXT) | instid1(VALU_DEP_2)
	v_cmp_ne_u32_e32 vcc_lo, 0, v91
	v_not_b32_e32 v91, v93
	v_cmp_gt_i32_e64 s15, 0, v93
	s_delay_alu instid0(VALU_DEP_2) | instskip(SKIP_3) | instid1(VALU_DEP_4)
	v_dual_ashrrev_i32 v91, 31, v91 :: v_dual_lshlrev_b32 v94, 29, v92
	v_dual_lshlrev_b32 v95, 28, v92 :: v_dual_lshlrev_b32 v96, 27, v92
	v_dual_lshlrev_b32 v97, 26, v92 :: v_dual_lshlrev_b32 v184, 25, v92
	v_lshlrev_b32_e32 v185, 24, v92
	v_cmp_gt_i32_e64 s16, 0, v94
	v_not_b32_e32 v93, v94
	v_not_b32_e32 v94, v95
	v_cmp_gt_i32_e64 s17, 0, v95
	v_cmp_gt_i32_e64 s18, 0, v96
	v_not_b32_e32 v95, v96
	v_not_b32_e32 v96, v97
	v_dual_ashrrev_i32 v93, 31, v93 :: v_dual_bitop2_b32 v90, vcc_lo, v90 bitop3:0x14
	v_dual_ashrrev_i32 v94, 31, v94 :: v_dual_bitop2_b32 v91, s15, v91 bitop3:0x14
	v_cmp_gt_i32_e64 s19, 0, v97
	v_cmp_gt_i32_e64 s20, 0, v184
	v_not_b32_e32 v97, v184
	v_not_b32_e32 v184, v185
	v_dual_ashrrev_i32 v95, 31, v95 :: v_dual_ashrrev_i32 v96, 31, v96
	v_xor_b32_e32 v93, s16, v93
	v_xor_b32_e32 v94, s17, v94
	v_bitop3_b32 v90, v90, v91, exec_lo bitop3:0x80
	v_cmp_gt_i32_e64 s21, 0, v185
	v_dual_ashrrev_i32 v91, 31, v97 :: v_dual_ashrrev_i32 v97, 31, v184
	v_xor_b32_e32 v95, s18, v95
	v_xor_b32_e32 v96, s19, v96
	v_bitop3_b32 v90, v90, v94, v93 bitop3:0x80
	v_mad_u32_u24 v93, v92, 36, v148
	v_xor_b32_e32 v91, s20, v91
	v_xor_b32_e32 v94, s21, v97
	s_delay_alu instid0(VALU_DEP_4) | instskip(SKIP_3) | instid1(VALU_DEP_2)
	v_bitop3_b32 v90, v90, v96, v95 bitop3:0x80
	ds_load_b32 v184, v93 offset:1056
	; wave barrier
	v_bitop3_b32 v90, v90, v94, v91 bitop3:0x80
	v_mul_u32_u24_e32 v91, 36, v92
	v_mbcnt_lo_u32_b32 v185, v90, 0
	v_cmp_ne_u32_e64 s15, 0, v90
	s_delay_alu instid0(VALU_DEP_3) | instskip(NEXT) | instid1(VALU_DEP_3)
	v_add_nc_u32_e32 v186, v148, v91
	v_cmp_eq_u32_e32 vcc_lo, 0, v185
	s_and_b32 s16, s15, vcc_lo
	s_delay_alu instid0(SALU_CYCLE_1)
	s_and_saveexec_b32 s15, s16
	s_cbranch_execz .LBB1245_735
; %bb.734:                              ;   in Loop: Header=BB1245_687 Depth=2
	s_wait_dscnt 0x0
	v_bcnt_u32_b32 v90, v90, v184
	ds_store_b32 v186, v90 offset:1056
.LBB1245_735:                           ;   in Loop: Header=BB1245_687 Depth=2
	s_or_b32 exec_lo, exec_lo, s15
	v_cmp_lt_i64_e32 vcc_lo, -1, v[82:83]
	; wave barrier
	v_cndmask_b32_e64 v90, -1, 0x80000000, vcc_lo
	s_delay_alu instid0(VALU_DEP_1) | instskip(NEXT) | instid1(VALU_DEP_1)
	v_dual_ashrrev_i32 v91, 31, v83 :: v_dual_bitop2_b32 v83, v90, v83 bitop3:0x14
	v_xor_b32_e32 v82, v91, v82
	s_delay_alu instid0(VALU_DEP_1) | instskip(SKIP_2) | instid1(VALU_DEP_1)
	v_cmp_ne_u64_e32 vcc_lo, s[42:43], v[82:83]
	v_cndmask_b32_e32 v91, 0x80000000, v83, vcc_lo
	v_cndmask_b32_e32 v90, 0, v82, vcc_lo
	v_lshrrev_b64 v[90:91], s48, v[90:91]
	s_delay_alu instid0(VALU_DEP_1) | instskip(SKIP_1) | instid1(VALU_DEP_2)
	v_bitop3_b32 v91, v90, 1, s55 bitop3:0x80
	v_and_b32_e32 v92, s55, v90
	v_add_co_u32 v90, s15, v91, -1
	s_delay_alu instid0(VALU_DEP_1) | instskip(NEXT) | instid1(VALU_DEP_3)
	v_cndmask_b32_e64 v91, 0, 1, s15
	v_lshlrev_b32_e32 v93, 30, v92
	s_delay_alu instid0(VALU_DEP_2) | instskip(NEXT) | instid1(VALU_DEP_2)
	v_cmp_ne_u32_e32 vcc_lo, 0, v91
	v_not_b32_e32 v91, v93
	v_cmp_gt_i32_e64 s15, 0, v93
	s_delay_alu instid0(VALU_DEP_2) | instskip(SKIP_3) | instid1(VALU_DEP_4)
	v_dual_ashrrev_i32 v91, 31, v91 :: v_dual_lshlrev_b32 v94, 29, v92
	v_dual_lshlrev_b32 v95, 28, v92 :: v_dual_lshlrev_b32 v96, 27, v92
	v_dual_lshlrev_b32 v97, 26, v92 :: v_dual_lshlrev_b32 v187, 25, v92
	v_lshlrev_b32_e32 v188, 24, v92
	v_cmp_gt_i32_e64 s16, 0, v94
	v_not_b32_e32 v93, v94
	v_not_b32_e32 v94, v95
	v_cmp_gt_i32_e64 s17, 0, v95
	v_cmp_gt_i32_e64 s18, 0, v96
	v_not_b32_e32 v95, v96
	v_not_b32_e32 v96, v97
	v_dual_ashrrev_i32 v93, 31, v93 :: v_dual_bitop2_b32 v90, vcc_lo, v90 bitop3:0x14
	v_dual_ashrrev_i32 v94, 31, v94 :: v_dual_bitop2_b32 v91, s15, v91 bitop3:0x14
	v_cmp_gt_i32_e64 s19, 0, v97
	v_cmp_gt_i32_e64 s20, 0, v187
	v_not_b32_e32 v97, v187
	v_not_b32_e32 v187, v188
	v_dual_ashrrev_i32 v95, 31, v95 :: v_dual_ashrrev_i32 v96, 31, v96
	v_xor_b32_e32 v93, s16, v93
	v_xor_b32_e32 v94, s17, v94
	v_bitop3_b32 v90, v90, v91, exec_lo bitop3:0x80
	v_cmp_gt_i32_e64 s21, 0, v188
	v_dual_ashrrev_i32 v91, 31, v97 :: v_dual_ashrrev_i32 v97, 31, v187
	v_xor_b32_e32 v95, s18, v95
	v_xor_b32_e32 v96, s19, v96
	v_bitop3_b32 v90, v90, v94, v93 bitop3:0x80
	v_mad_u32_u24 v93, v92, 36, v148
	v_xor_b32_e32 v91, s20, v91
	v_xor_b32_e32 v94, s21, v97
	s_delay_alu instid0(VALU_DEP_4) | instskip(SKIP_3) | instid1(VALU_DEP_2)
	v_bitop3_b32 v90, v90, v96, v95 bitop3:0x80
	ds_load_b32 v187, v93 offset:1056
	; wave barrier
	v_bitop3_b32 v90, v90, v94, v91 bitop3:0x80
	v_mul_u32_u24_e32 v91, 36, v92
	v_mbcnt_lo_u32_b32 v188, v90, 0
	v_cmp_ne_u32_e64 s15, 0, v90
	s_delay_alu instid0(VALU_DEP_3) | instskip(NEXT) | instid1(VALU_DEP_3)
	v_add_nc_u32_e32 v189, v148, v91
	v_cmp_eq_u32_e32 vcc_lo, 0, v188
	s_and_b32 s16, s15, vcc_lo
	s_delay_alu instid0(SALU_CYCLE_1)
	s_and_saveexec_b32 s15, s16
	s_cbranch_execz .LBB1245_737
; %bb.736:                              ;   in Loop: Header=BB1245_687 Depth=2
	s_wait_dscnt 0x0
	v_bcnt_u32_b32 v90, v90, v187
	ds_store_b32 v189, v90 offset:1056
.LBB1245_737:                           ;   in Loop: Header=BB1245_687 Depth=2
	s_or_b32 exec_lo, exec_lo, s15
	v_cmp_lt_i64_e32 vcc_lo, -1, v[86:87]
	; wave barrier
	v_cndmask_b32_e64 v90, -1, 0x80000000, vcc_lo
	s_delay_alu instid0(VALU_DEP_1) | instskip(NEXT) | instid1(VALU_DEP_1)
	v_dual_ashrrev_i32 v91, 31, v87 :: v_dual_bitop2_b32 v87, v90, v87 bitop3:0x14
	v_xor_b32_e32 v86, v91, v86
	s_delay_alu instid0(VALU_DEP_1) | instskip(SKIP_2) | instid1(VALU_DEP_1)
	v_cmp_ne_u64_e32 vcc_lo, s[42:43], v[86:87]
	v_cndmask_b32_e32 v91, 0x80000000, v87, vcc_lo
	v_cndmask_b32_e32 v90, 0, v86, vcc_lo
	v_lshrrev_b64 v[90:91], s48, v[90:91]
	s_delay_alu instid0(VALU_DEP_1) | instskip(SKIP_1) | instid1(VALU_DEP_2)
	v_bitop3_b32 v91, v90, 1, s55 bitop3:0x80
	v_and_b32_e32 v92, s55, v90
	v_add_co_u32 v90, s15, v91, -1
	s_delay_alu instid0(VALU_DEP_1) | instskip(NEXT) | instid1(VALU_DEP_3)
	v_cndmask_b32_e64 v91, 0, 1, s15
	v_lshlrev_b32_e32 v93, 30, v92
	s_delay_alu instid0(VALU_DEP_2) | instskip(NEXT) | instid1(VALU_DEP_2)
	v_cmp_ne_u32_e32 vcc_lo, 0, v91
	v_not_b32_e32 v91, v93
	v_cmp_gt_i32_e64 s15, 0, v93
	s_delay_alu instid0(VALU_DEP_2) | instskip(SKIP_3) | instid1(VALU_DEP_4)
	v_dual_ashrrev_i32 v91, 31, v91 :: v_dual_lshlrev_b32 v94, 29, v92
	v_dual_lshlrev_b32 v95, 28, v92 :: v_dual_lshlrev_b32 v96, 27, v92
	v_dual_lshlrev_b32 v97, 26, v92 :: v_dual_lshlrev_b32 v190, 25, v92
	v_lshlrev_b32_e32 v191, 24, v92
	v_cmp_gt_i32_e64 s16, 0, v94
	v_not_b32_e32 v93, v94
	v_not_b32_e32 v94, v95
	v_cmp_gt_i32_e64 s17, 0, v95
	v_cmp_gt_i32_e64 s18, 0, v96
	v_not_b32_e32 v95, v96
	v_not_b32_e32 v96, v97
	v_dual_ashrrev_i32 v93, 31, v93 :: v_dual_bitop2_b32 v90, vcc_lo, v90 bitop3:0x14
	v_dual_ashrrev_i32 v94, 31, v94 :: v_dual_bitop2_b32 v91, s15, v91 bitop3:0x14
	v_cmp_gt_i32_e64 s19, 0, v97
	v_cmp_gt_i32_e64 s20, 0, v190
	v_not_b32_e32 v97, v190
	v_not_b32_e32 v190, v191
	v_dual_ashrrev_i32 v95, 31, v95 :: v_dual_ashrrev_i32 v96, 31, v96
	v_xor_b32_e32 v93, s16, v93
	v_xor_b32_e32 v94, s17, v94
	v_bitop3_b32 v90, v90, v91, exec_lo bitop3:0x80
	v_cmp_gt_i32_e64 s21, 0, v191
	v_dual_ashrrev_i32 v91, 31, v97 :: v_dual_ashrrev_i32 v97, 31, v190
	v_xor_b32_e32 v95, s18, v95
	v_xor_b32_e32 v96, s19, v96
	v_bitop3_b32 v90, v90, v94, v93 bitop3:0x80
	v_mad_u32_u24 v93, v92, 36, v148
	v_xor_b32_e32 v91, s20, v91
	v_xor_b32_e32 v94, s21, v97
	s_delay_alu instid0(VALU_DEP_4) | instskip(SKIP_3) | instid1(VALU_DEP_2)
	v_bitop3_b32 v90, v90, v96, v95 bitop3:0x80
	ds_load_b32 v190, v93 offset:1056
	; wave barrier
	v_bitop3_b32 v90, v90, v94, v91 bitop3:0x80
	v_mul_u32_u24_e32 v91, 36, v92
	v_mbcnt_lo_u32_b32 v191, v90, 0
	v_cmp_ne_u32_e64 s15, 0, v90
	s_delay_alu instid0(VALU_DEP_3) | instskip(NEXT) | instid1(VALU_DEP_3)
	v_add_nc_u32_e32 v192, v148, v91
	v_cmp_eq_u32_e32 vcc_lo, 0, v191
	s_and_b32 s16, s15, vcc_lo
	s_delay_alu instid0(SALU_CYCLE_1)
	s_and_saveexec_b32 s15, s16
	s_cbranch_execz .LBB1245_739
; %bb.738:                              ;   in Loop: Header=BB1245_687 Depth=2
	s_wait_dscnt 0x0
	v_bcnt_u32_b32 v90, v90, v190
	ds_store_b32 v192, v90 offset:1056
.LBB1245_739:                           ;   in Loop: Header=BB1245_687 Depth=2
	s_or_b32 exec_lo, exec_lo, s15
	v_cmp_lt_i64_e32 vcc_lo, -1, v[88:89]
	; wave barrier
	v_cndmask_b32_e64 v90, -1, 0x80000000, vcc_lo
	s_delay_alu instid0(VALU_DEP_1) | instskip(NEXT) | instid1(VALU_DEP_1)
	v_dual_ashrrev_i32 v91, 31, v89 :: v_dual_bitop2_b32 v89, v90, v89 bitop3:0x14
	v_xor_b32_e32 v88, v91, v88
	s_delay_alu instid0(VALU_DEP_1) | instskip(SKIP_2) | instid1(VALU_DEP_1)
	v_cmp_ne_u64_e32 vcc_lo, s[42:43], v[88:89]
	v_cndmask_b32_e32 v91, 0x80000000, v89, vcc_lo
	v_cndmask_b32_e32 v90, 0, v88, vcc_lo
	v_lshrrev_b64 v[90:91], s48, v[90:91]
	s_delay_alu instid0(VALU_DEP_1) | instskip(SKIP_1) | instid1(VALU_DEP_2)
	v_bitop3_b32 v91, v90, 1, s55 bitop3:0x80
	v_and_b32_e32 v92, s55, v90
	v_add_co_u32 v90, s15, v91, -1
	s_delay_alu instid0(VALU_DEP_1) | instskip(NEXT) | instid1(VALU_DEP_3)
	v_cndmask_b32_e64 v91, 0, 1, s15
	v_dual_lshlrev_b32 v93, 30, v92 :: v_dual_lshlrev_b32 v95, 28, v92
	v_dual_lshlrev_b32 v94, 29, v92 :: v_dual_lshlrev_b32 v96, 27, v92
	s_delay_alu instid0(VALU_DEP_3) | instskip(NEXT) | instid1(VALU_DEP_3)
	v_cmp_ne_u32_e32 vcc_lo, 0, v91
	v_cmp_gt_i32_e64 s15, 0, v93
	v_not_b32_e32 v91, v93
	s_delay_alu instid0(VALU_DEP_4) | instskip(SKIP_4) | instid1(VALU_DEP_4)
	v_cmp_gt_i32_e64 s16, 0, v94
	v_not_b32_e32 v93, v94
	v_cmp_gt_i32_e64 s17, 0, v95
	v_not_b32_e32 v94, v95
	v_not_b32_e32 v95, v96
	v_dual_ashrrev_i32 v91, 31, v91 :: v_dual_ashrrev_i32 v93, 31, v93
	s_delay_alu instid0(VALU_DEP_2) | instskip(SKIP_4) | instid1(VALU_DEP_4)
	v_dual_ashrrev_i32 v94, 31, v94 :: v_dual_ashrrev_i32 v95, 31, v95
	v_dual_lshlrev_b32 v97, 26, v92 :: v_dual_lshlrev_b32 v193, 25, v92
	v_lshlrev_b32_e32 v194, 24, v92
	v_cmp_gt_i32_e64 s18, 0, v96
	v_xor_b32_e32 v91, s15, v91
	v_not_b32_e32 v96, v97
	v_xor_b32_e32 v90, vcc_lo, v90
	v_cmp_gt_i32_e64 s19, 0, v97
	v_cmp_gt_i32_e64 s20, 0, v193
	v_not_b32_e32 v97, v193
	v_not_b32_e32 v193, v194
	v_dual_ashrrev_i32 v96, 31, v96 :: v_dual_bitop2_b32 v93, s16, v93 bitop3:0x14
	v_xor_b32_e32 v94, s17, v94
	v_bitop3_b32 v90, v90, v91, exec_lo bitop3:0x80
	v_cmp_gt_i32_e64 s21, 0, v194
	v_ashrrev_i32_e32 v91, 31, v97
	v_dual_ashrrev_i32 v97, 31, v193 :: v_dual_bitop2_b32 v95, s18, v95 bitop3:0x14
	v_xor_b32_e32 v96, s19, v96
	v_bitop3_b32 v90, v90, v94, v93 bitop3:0x80
	v_mad_u32_u24 v93, v92, 36, v148
	v_xor_b32_e32 v91, s20, v91
	v_xor_b32_e32 v94, s21, v97
	s_delay_alu instid0(VALU_DEP_4) | instskip(SKIP_3) | instid1(VALU_DEP_2)
	v_bitop3_b32 v90, v90, v96, v95 bitop3:0x80
	ds_load_b32 v193, v93 offset:1056
	; wave barrier
	v_bitop3_b32 v90, v90, v94, v91 bitop3:0x80
	v_mul_u32_u24_e32 v91, 36, v92
	v_mbcnt_lo_u32_b32 v194, v90, 0
	v_cmp_ne_u32_e64 s15, 0, v90
	s_delay_alu instid0(VALU_DEP_3) | instskip(NEXT) | instid1(VALU_DEP_3)
	v_add_nc_u32_e32 v195, v148, v91
	v_cmp_eq_u32_e32 vcc_lo, 0, v194
	s_and_b32 s16, s15, vcc_lo
	s_delay_alu instid0(SALU_CYCLE_1)
	s_and_saveexec_b32 s15, s16
	s_cbranch_execz .LBB1245_741
; %bb.740:                              ;   in Loop: Header=BB1245_687 Depth=2
	s_wait_dscnt 0x0
	v_bcnt_u32_b32 v90, v90, v193
	ds_store_b32 v195, v90 offset:1056
.LBB1245_741:                           ;   in Loop: Header=BB1245_687 Depth=2
	s_or_b32 exec_lo, exec_lo, s15
	v_cmp_lt_i64_e32 vcc_lo, -1, v[84:85]
	; wave barrier
	v_cndmask_b32_e64 v90, -1, 0x80000000, vcc_lo
	s_delay_alu instid0(VALU_DEP_1) | instskip(NEXT) | instid1(VALU_DEP_1)
	v_dual_ashrrev_i32 v91, 31, v85 :: v_dual_bitop2_b32 v85, v90, v85 bitop3:0x14
	v_xor_b32_e32 v84, v91, v84
	s_delay_alu instid0(VALU_DEP_1) | instskip(SKIP_2) | instid1(VALU_DEP_1)
	v_cmp_ne_u64_e32 vcc_lo, s[42:43], v[84:85]
	v_cndmask_b32_e32 v91, 0x80000000, v85, vcc_lo
	v_cndmask_b32_e32 v90, 0, v84, vcc_lo
	v_lshrrev_b64 v[90:91], s48, v[90:91]
	s_delay_alu instid0(VALU_DEP_1) | instskip(SKIP_1) | instid1(VALU_DEP_2)
	v_bitop3_b32 v91, v90, 1, s55 bitop3:0x80
	v_and_b32_e32 v92, s55, v90
	v_add_co_u32 v90, s15, v91, -1
	s_delay_alu instid0(VALU_DEP_1) | instskip(NEXT) | instid1(VALU_DEP_3)
	v_cndmask_b32_e64 v91, 0, 1, s15
	v_dual_lshlrev_b32 v93, 30, v92 :: v_dual_lshlrev_b32 v95, 28, v92
	v_dual_lshlrev_b32 v94, 29, v92 :: v_dual_lshlrev_b32 v96, 27, v92
	s_delay_alu instid0(VALU_DEP_3) | instskip(NEXT) | instid1(VALU_DEP_3)
	v_cmp_ne_u32_e32 vcc_lo, 0, v91
	v_cmp_gt_i32_e64 s15, 0, v93
	v_not_b32_e32 v91, v93
	s_delay_alu instid0(VALU_DEP_4) | instskip(SKIP_4) | instid1(VALU_DEP_4)
	v_cmp_gt_i32_e64 s16, 0, v94
	v_not_b32_e32 v93, v94
	v_cmp_gt_i32_e64 s17, 0, v95
	v_not_b32_e32 v94, v95
	v_not_b32_e32 v95, v96
	v_dual_ashrrev_i32 v91, 31, v91 :: v_dual_ashrrev_i32 v93, 31, v93
	s_delay_alu instid0(VALU_DEP_2) | instskip(SKIP_4) | instid1(VALU_DEP_4)
	v_dual_ashrrev_i32 v94, 31, v94 :: v_dual_ashrrev_i32 v95, 31, v95
	v_dual_lshlrev_b32 v97, 26, v92 :: v_dual_lshlrev_b32 v196, 25, v92
	v_lshlrev_b32_e32 v197, 24, v92
	v_cmp_gt_i32_e64 s18, 0, v96
	v_xor_b32_e32 v91, s15, v91
	v_not_b32_e32 v96, v97
	v_xor_b32_e32 v90, vcc_lo, v90
	v_cmp_gt_i32_e64 s19, 0, v97
	v_cmp_gt_i32_e64 s20, 0, v196
	v_not_b32_e32 v97, v196
	v_not_b32_e32 v196, v197
	v_dual_ashrrev_i32 v96, 31, v96 :: v_dual_bitop2_b32 v93, s16, v93 bitop3:0x14
	v_xor_b32_e32 v94, s17, v94
	v_bitop3_b32 v90, v90, v91, exec_lo bitop3:0x80
	v_cmp_gt_i32_e64 s21, 0, v197
	v_dual_ashrrev_i32 v91, 31, v97 :: v_dual_ashrrev_i32 v97, 31, v196
	v_xor_b32_e32 v95, s18, v95
	v_xor_b32_e32 v96, s19, v96
	v_bitop3_b32 v90, v90, v94, v93 bitop3:0x80
	v_mad_u32_u24 v93, v92, 36, v148
	v_xor_b32_e32 v91, s20, v91
	v_xor_b32_e32 v94, s21, v97
	s_delay_alu instid0(VALU_DEP_4) | instskip(SKIP_3) | instid1(VALU_DEP_2)
	v_bitop3_b32 v90, v90, v96, v95 bitop3:0x80
	ds_load_b32 v196, v93 offset:1056
	; wave barrier
	v_bitop3_b32 v90, v90, v94, v91 bitop3:0x80
	v_mul_u32_u24_e32 v91, 36, v92
	v_mbcnt_lo_u32_b32 v197, v90, 0
	v_cmp_ne_u32_e64 s15, 0, v90
	s_delay_alu instid0(VALU_DEP_3) | instskip(NEXT) | instid1(VALU_DEP_3)
	v_add_nc_u32_e32 v198, v148, v91
	v_cmp_eq_u32_e32 vcc_lo, 0, v197
	s_and_b32 s16, s15, vcc_lo
	s_delay_alu instid0(SALU_CYCLE_1)
	s_and_saveexec_b32 s15, s16
	s_cbranch_execz .LBB1245_743
; %bb.742:                              ;   in Loop: Header=BB1245_687 Depth=2
	s_wait_dscnt 0x0
	v_bcnt_u32_b32 v90, v90, v196
	ds_store_b32 v198, v90 offset:1056
.LBB1245_743:                           ;   in Loop: Header=BB1245_687 Depth=2
	s_or_b32 exec_lo, exec_lo, s15
	v_cmp_lt_i64_e32 vcc_lo, -1, v[80:81]
	; wave barrier
	v_cndmask_b32_e64 v90, -1, 0x80000000, vcc_lo
	s_delay_alu instid0(VALU_DEP_1) | instskip(NEXT) | instid1(VALU_DEP_1)
	v_dual_ashrrev_i32 v91, 31, v81 :: v_dual_bitop2_b32 v81, v90, v81 bitop3:0x14
	v_xor_b32_e32 v80, v91, v80
	s_delay_alu instid0(VALU_DEP_1) | instskip(SKIP_2) | instid1(VALU_DEP_1)
	v_cmp_ne_u64_e32 vcc_lo, s[42:43], v[80:81]
	v_cndmask_b32_e32 v91, 0x80000000, v81, vcc_lo
	v_cndmask_b32_e32 v90, 0, v80, vcc_lo
	v_lshrrev_b64 v[90:91], s48, v[90:91]
	s_delay_alu instid0(VALU_DEP_1) | instskip(SKIP_1) | instid1(VALU_DEP_2)
	v_bitop3_b32 v91, v90, 1, s55 bitop3:0x80
	v_and_b32_e32 v92, s55, v90
	v_add_co_u32 v90, s15, v91, -1
	s_delay_alu instid0(VALU_DEP_1) | instskip(NEXT) | instid1(VALU_DEP_3)
	v_cndmask_b32_e64 v91, 0, 1, s15
	v_dual_lshlrev_b32 v93, 30, v92 :: v_dual_lshlrev_b32 v95, 28, v92
	v_dual_lshlrev_b32 v94, 29, v92 :: v_dual_lshlrev_b32 v96, 27, v92
	s_delay_alu instid0(VALU_DEP_3) | instskip(NEXT) | instid1(VALU_DEP_3)
	v_cmp_ne_u32_e32 vcc_lo, 0, v91
	v_cmp_gt_i32_e64 s15, 0, v93
	v_not_b32_e32 v91, v93
	s_delay_alu instid0(VALU_DEP_4) | instskip(SKIP_4) | instid1(VALU_DEP_4)
	v_cmp_gt_i32_e64 s16, 0, v94
	v_not_b32_e32 v93, v94
	v_cmp_gt_i32_e64 s17, 0, v95
	v_not_b32_e32 v94, v95
	v_not_b32_e32 v95, v96
	v_dual_ashrrev_i32 v91, 31, v91 :: v_dual_ashrrev_i32 v93, 31, v93
	s_delay_alu instid0(VALU_DEP_2) | instskip(SKIP_4) | instid1(VALU_DEP_4)
	v_dual_ashrrev_i32 v94, 31, v94 :: v_dual_ashrrev_i32 v95, 31, v95
	v_dual_lshlrev_b32 v97, 26, v92 :: v_dual_lshlrev_b32 v199, 25, v92
	v_lshlrev_b32_e32 v200, 24, v92
	v_cmp_gt_i32_e64 s18, 0, v96
	v_xor_b32_e32 v91, s15, v91
	v_not_b32_e32 v96, v97
	v_xor_b32_e32 v90, vcc_lo, v90
	v_cmp_gt_i32_e64 s19, 0, v97
	v_cmp_gt_i32_e64 s20, 0, v199
	v_not_b32_e32 v97, v199
	v_not_b32_e32 v199, v200
	v_dual_ashrrev_i32 v96, 31, v96 :: v_dual_bitop2_b32 v93, s16, v93 bitop3:0x14
	v_xor_b32_e32 v94, s17, v94
	v_bitop3_b32 v90, v90, v91, exec_lo bitop3:0x80
	v_cmp_gt_i32_e64 s21, 0, v200
	v_dual_ashrrev_i32 v91, 31, v97 :: v_dual_ashrrev_i32 v97, 31, v199
	v_xor_b32_e32 v95, s18, v95
	v_xor_b32_e32 v96, s19, v96
	v_bitop3_b32 v90, v90, v94, v93 bitop3:0x80
	v_mad_u32_u24 v93, v92, 36, v148
	v_xor_b32_e32 v91, s20, v91
	v_xor_b32_e32 v94, s21, v97
	s_delay_alu instid0(VALU_DEP_4) | instskip(SKIP_3) | instid1(VALU_DEP_2)
	v_bitop3_b32 v90, v90, v96, v95 bitop3:0x80
	ds_load_b32 v199, v93 offset:1056
	; wave barrier
	v_bitop3_b32 v90, v90, v94, v91 bitop3:0x80
	v_mul_u32_u24_e32 v91, 36, v92
	v_mbcnt_lo_u32_b32 v200, v90, 0
	v_cmp_ne_u32_e64 s15, 0, v90
	s_delay_alu instid0(VALU_DEP_3) | instskip(NEXT) | instid1(VALU_DEP_3)
	v_add_nc_u32_e32 v201, v148, v91
	v_cmp_eq_u32_e32 vcc_lo, 0, v200
	s_and_b32 s16, s15, vcc_lo
	s_delay_alu instid0(SALU_CYCLE_1)
	s_and_saveexec_b32 s15, s16
	s_cbranch_execz .LBB1245_745
; %bb.744:                              ;   in Loop: Header=BB1245_687 Depth=2
	s_wait_dscnt 0x0
	v_bcnt_u32_b32 v90, v90, v199
	ds_store_b32 v201, v90 offset:1056
.LBB1245_745:                           ;   in Loop: Header=BB1245_687 Depth=2
	s_or_b32 exec_lo, exec_lo, s15
	v_cmp_lt_i64_e32 vcc_lo, -1, v[76:77]
	; wave barrier
	v_cndmask_b32_e64 v90, -1, 0x80000000, vcc_lo
	s_delay_alu instid0(VALU_DEP_1) | instskip(NEXT) | instid1(VALU_DEP_1)
	v_dual_ashrrev_i32 v91, 31, v77 :: v_dual_bitop2_b32 v77, v90, v77 bitop3:0x14
	v_xor_b32_e32 v76, v91, v76
	s_delay_alu instid0(VALU_DEP_1) | instskip(SKIP_2) | instid1(VALU_DEP_1)
	v_cmp_ne_u64_e32 vcc_lo, s[42:43], v[76:77]
	v_cndmask_b32_e32 v91, 0x80000000, v77, vcc_lo
	v_cndmask_b32_e32 v90, 0, v76, vcc_lo
	v_lshrrev_b64 v[90:91], s48, v[90:91]
	s_delay_alu instid0(VALU_DEP_1) | instskip(SKIP_1) | instid1(VALU_DEP_2)
	v_bitop3_b32 v91, v90, 1, s55 bitop3:0x80
	v_and_b32_e32 v92, s55, v90
	v_add_co_u32 v90, s15, v91, -1
	s_delay_alu instid0(VALU_DEP_1) | instskip(NEXT) | instid1(VALU_DEP_3)
	v_cndmask_b32_e64 v91, 0, 1, s15
	v_dual_lshlrev_b32 v93, 30, v92 :: v_dual_lshlrev_b32 v95, 28, v92
	v_dual_lshlrev_b32 v94, 29, v92 :: v_dual_lshlrev_b32 v96, 27, v92
	s_delay_alu instid0(VALU_DEP_3) | instskip(NEXT) | instid1(VALU_DEP_3)
	v_cmp_ne_u32_e32 vcc_lo, 0, v91
	v_cmp_gt_i32_e64 s15, 0, v93
	v_not_b32_e32 v91, v93
	s_delay_alu instid0(VALU_DEP_4) | instskip(SKIP_4) | instid1(VALU_DEP_4)
	v_cmp_gt_i32_e64 s16, 0, v94
	v_not_b32_e32 v93, v94
	v_cmp_gt_i32_e64 s17, 0, v95
	v_not_b32_e32 v94, v95
	v_not_b32_e32 v95, v96
	v_dual_ashrrev_i32 v91, 31, v91 :: v_dual_ashrrev_i32 v93, 31, v93
	s_delay_alu instid0(VALU_DEP_2) | instskip(SKIP_4) | instid1(VALU_DEP_4)
	v_dual_ashrrev_i32 v94, 31, v94 :: v_dual_ashrrev_i32 v95, 31, v95
	v_dual_lshlrev_b32 v97, 26, v92 :: v_dual_lshlrev_b32 v202, 25, v92
	v_lshlrev_b32_e32 v203, 24, v92
	v_cmp_gt_i32_e64 s18, 0, v96
	v_xor_b32_e32 v91, s15, v91
	v_not_b32_e32 v96, v97
	v_xor_b32_e32 v90, vcc_lo, v90
	v_cmp_gt_i32_e64 s19, 0, v97
	v_cmp_gt_i32_e64 s20, 0, v202
	v_not_b32_e32 v97, v202
	v_not_b32_e32 v202, v203
	v_dual_ashrrev_i32 v96, 31, v96 :: v_dual_bitop2_b32 v93, s16, v93 bitop3:0x14
	v_xor_b32_e32 v94, s17, v94
	v_bitop3_b32 v90, v90, v91, exec_lo bitop3:0x80
	v_cmp_gt_i32_e64 s21, 0, v203
	v_dual_ashrrev_i32 v91, 31, v97 :: v_dual_ashrrev_i32 v97, 31, v202
	v_xor_b32_e32 v95, s18, v95
	v_xor_b32_e32 v96, s19, v96
	v_bitop3_b32 v90, v90, v94, v93 bitop3:0x80
	v_mad_u32_u24 v93, v92, 36, v148
	v_xor_b32_e32 v91, s20, v91
	v_xor_b32_e32 v94, s21, v97
	s_delay_alu instid0(VALU_DEP_4) | instskip(SKIP_3) | instid1(VALU_DEP_2)
	v_bitop3_b32 v90, v90, v96, v95 bitop3:0x80
	ds_load_b32 v202, v93 offset:1056
	; wave barrier
	v_bitop3_b32 v90, v90, v94, v91 bitop3:0x80
	v_mul_u32_u24_e32 v91, 36, v92
	v_mbcnt_lo_u32_b32 v203, v90, 0
	v_cmp_ne_u32_e64 s15, 0, v90
	s_delay_alu instid0(VALU_DEP_3) | instskip(NEXT) | instid1(VALU_DEP_3)
	v_add_nc_u32_e32 v204, v148, v91
	v_cmp_eq_u32_e32 vcc_lo, 0, v203
	s_and_b32 s16, s15, vcc_lo
	s_delay_alu instid0(SALU_CYCLE_1)
	s_and_saveexec_b32 s15, s16
	s_cbranch_execz .LBB1245_747
; %bb.746:                              ;   in Loop: Header=BB1245_687 Depth=2
	s_wait_dscnt 0x0
	v_bcnt_u32_b32 v90, v90, v202
	ds_store_b32 v204, v90 offset:1056
.LBB1245_747:                           ;   in Loop: Header=BB1245_687 Depth=2
	s_or_b32 exec_lo, exec_lo, s15
	v_cmp_lt_i64_e32 vcc_lo, -1, v[72:73]
	; wave barrier
	v_cndmask_b32_e64 v90, -1, 0x80000000, vcc_lo
	s_delay_alu instid0(VALU_DEP_1) | instskip(NEXT) | instid1(VALU_DEP_1)
	v_dual_ashrrev_i32 v91, 31, v73 :: v_dual_bitop2_b32 v73, v90, v73 bitop3:0x14
	v_xor_b32_e32 v72, v91, v72
	s_delay_alu instid0(VALU_DEP_1) | instskip(SKIP_2) | instid1(VALU_DEP_1)
	v_cmp_ne_u64_e32 vcc_lo, s[42:43], v[72:73]
	v_cndmask_b32_e32 v91, 0x80000000, v73, vcc_lo
	v_cndmask_b32_e32 v90, 0, v72, vcc_lo
	v_lshrrev_b64 v[90:91], s48, v[90:91]
	s_delay_alu instid0(VALU_DEP_1) | instskip(SKIP_1) | instid1(VALU_DEP_2)
	v_bitop3_b32 v91, v90, 1, s55 bitop3:0x80
	v_and_b32_e32 v92, s55, v90
	v_add_co_u32 v90, s15, v91, -1
	s_delay_alu instid0(VALU_DEP_1) | instskip(NEXT) | instid1(VALU_DEP_3)
	v_cndmask_b32_e64 v91, 0, 1, s15
	v_dual_lshlrev_b32 v93, 30, v92 :: v_dual_lshlrev_b32 v95, 28, v92
	v_dual_lshlrev_b32 v94, 29, v92 :: v_dual_lshlrev_b32 v96, 27, v92
	s_delay_alu instid0(VALU_DEP_3) | instskip(NEXT) | instid1(VALU_DEP_3)
	v_cmp_ne_u32_e32 vcc_lo, 0, v91
	v_cmp_gt_i32_e64 s15, 0, v93
	v_not_b32_e32 v91, v93
	s_delay_alu instid0(VALU_DEP_4) | instskip(SKIP_4) | instid1(VALU_DEP_4)
	v_cmp_gt_i32_e64 s16, 0, v94
	v_not_b32_e32 v93, v94
	v_cmp_gt_i32_e64 s17, 0, v95
	v_not_b32_e32 v94, v95
	v_not_b32_e32 v95, v96
	v_dual_ashrrev_i32 v91, 31, v91 :: v_dual_ashrrev_i32 v93, 31, v93
	s_delay_alu instid0(VALU_DEP_2) | instskip(SKIP_4) | instid1(VALU_DEP_4)
	v_dual_ashrrev_i32 v94, 31, v94 :: v_dual_ashrrev_i32 v95, 31, v95
	v_dual_lshlrev_b32 v97, 26, v92 :: v_dual_lshlrev_b32 v205, 25, v92
	v_lshlrev_b32_e32 v206, 24, v92
	v_cmp_gt_i32_e64 s18, 0, v96
	v_xor_b32_e32 v91, s15, v91
	v_not_b32_e32 v96, v97
	v_xor_b32_e32 v90, vcc_lo, v90
	v_cmp_gt_i32_e64 s19, 0, v97
	v_cmp_gt_i32_e64 s20, 0, v205
	v_not_b32_e32 v97, v205
	v_not_b32_e32 v205, v206
	v_dual_ashrrev_i32 v96, 31, v96 :: v_dual_bitop2_b32 v93, s16, v93 bitop3:0x14
	v_xor_b32_e32 v94, s17, v94
	v_bitop3_b32 v90, v90, v91, exec_lo bitop3:0x80
	v_cmp_gt_i32_e64 s21, 0, v206
	v_ashrrev_i32_e32 v91, 31, v97
	v_dual_ashrrev_i32 v97, 31, v205 :: v_dual_bitop2_b32 v95, s18, v95 bitop3:0x14
	v_xor_b32_e32 v96, s19, v96
	v_bitop3_b32 v90, v90, v94, v93 bitop3:0x80
	v_mad_u32_u24 v93, v92, 36, v148
	v_xor_b32_e32 v91, s20, v91
	v_xor_b32_e32 v94, s21, v97
	s_delay_alu instid0(VALU_DEP_4) | instskip(SKIP_3) | instid1(VALU_DEP_2)
	v_bitop3_b32 v90, v90, v96, v95 bitop3:0x80
	ds_load_b32 v205, v93 offset:1056
	; wave barrier
	v_bitop3_b32 v90, v90, v94, v91 bitop3:0x80
	v_mul_u32_u24_e32 v91, 36, v92
	v_mbcnt_lo_u32_b32 v206, v90, 0
	v_cmp_ne_u32_e64 s15, 0, v90
	s_delay_alu instid0(VALU_DEP_3) | instskip(NEXT) | instid1(VALU_DEP_3)
	v_add_nc_u32_e32 v208, v148, v91
	v_cmp_eq_u32_e32 vcc_lo, 0, v206
	s_and_b32 s16, s15, vcc_lo
	s_delay_alu instid0(SALU_CYCLE_1)
	s_and_saveexec_b32 s15, s16
	s_cbranch_execz .LBB1245_749
; %bb.748:                              ;   in Loop: Header=BB1245_687 Depth=2
	s_wait_dscnt 0x0
	v_bcnt_u32_b32 v90, v90, v205
	ds_store_b32 v208, v90 offset:1056
.LBB1245_749:                           ;   in Loop: Header=BB1245_687 Depth=2
	s_or_b32 exec_lo, exec_lo, s15
	v_cmp_lt_i64_e32 vcc_lo, -1, v[68:69]
	; wave barrier
	v_cndmask_b32_e64 v90, -1, 0x80000000, vcc_lo
	s_delay_alu instid0(VALU_DEP_1) | instskip(NEXT) | instid1(VALU_DEP_1)
	v_dual_ashrrev_i32 v91, 31, v69 :: v_dual_bitop2_b32 v69, v90, v69 bitop3:0x14
	v_xor_b32_e32 v68, v91, v68
	s_delay_alu instid0(VALU_DEP_1) | instskip(SKIP_2) | instid1(VALU_DEP_1)
	v_cmp_ne_u64_e32 vcc_lo, s[42:43], v[68:69]
	v_cndmask_b32_e32 v91, 0x80000000, v69, vcc_lo
	v_cndmask_b32_e32 v90, 0, v68, vcc_lo
	v_lshrrev_b64 v[90:91], s48, v[90:91]
	s_delay_alu instid0(VALU_DEP_1) | instskip(SKIP_1) | instid1(VALU_DEP_2)
	v_bitop3_b32 v91, v90, 1, s55 bitop3:0x80
	v_and_b32_e32 v92, s55, v90
	v_add_co_u32 v90, s15, v91, -1
	s_delay_alu instid0(VALU_DEP_1) | instskip(NEXT) | instid1(VALU_DEP_3)
	v_cndmask_b32_e64 v91, 0, 1, s15
	v_dual_lshlrev_b32 v93, 30, v92 :: v_dual_lshlrev_b32 v95, 28, v92
	v_dual_lshlrev_b32 v94, 29, v92 :: v_dual_lshlrev_b32 v96, 27, v92
	s_delay_alu instid0(VALU_DEP_3) | instskip(NEXT) | instid1(VALU_DEP_3)
	v_cmp_ne_u32_e32 vcc_lo, 0, v91
	v_cmp_gt_i32_e64 s15, 0, v93
	v_not_b32_e32 v91, v93
	s_delay_alu instid0(VALU_DEP_4) | instskip(SKIP_4) | instid1(VALU_DEP_4)
	v_cmp_gt_i32_e64 s16, 0, v94
	v_not_b32_e32 v93, v94
	v_cmp_gt_i32_e64 s17, 0, v95
	v_not_b32_e32 v94, v95
	v_not_b32_e32 v95, v96
	v_dual_ashrrev_i32 v91, 31, v91 :: v_dual_ashrrev_i32 v93, 31, v93
	s_delay_alu instid0(VALU_DEP_2) | instskip(SKIP_4) | instid1(VALU_DEP_4)
	v_dual_ashrrev_i32 v94, 31, v94 :: v_dual_ashrrev_i32 v95, 31, v95
	v_dual_lshlrev_b32 v97, 26, v92 :: v_dual_lshlrev_b32 v207, 25, v92
	v_lshlrev_b32_e32 v209, 24, v92
	v_cmp_gt_i32_e64 s18, 0, v96
	v_xor_b32_e32 v91, s15, v91
	v_not_b32_e32 v96, v97
	v_xor_b32_e32 v90, vcc_lo, v90
	v_cmp_gt_i32_e64 s19, 0, v97
	v_cmp_gt_i32_e64 s20, 0, v207
	v_not_b32_e32 v97, v207
	v_not_b32_e32 v207, v209
	v_dual_ashrrev_i32 v96, 31, v96 :: v_dual_bitop2_b32 v93, s16, v93 bitop3:0x14
	v_xor_b32_e32 v94, s17, v94
	v_bitop3_b32 v90, v90, v91, exec_lo bitop3:0x80
	v_cmp_gt_i32_e64 s21, 0, v209
	v_dual_ashrrev_i32 v91, 31, v97 :: v_dual_ashrrev_i32 v97, 31, v207
	v_xor_b32_e32 v95, s18, v95
	v_xor_b32_e32 v96, s19, v96
	v_bitop3_b32 v90, v90, v94, v93 bitop3:0x80
	v_mad_u32_u24 v93, v92, 36, v148
	v_xor_b32_e32 v91, s20, v91
	v_xor_b32_e32 v94, s21, v97
	s_delay_alu instid0(VALU_DEP_4) | instskip(SKIP_3) | instid1(VALU_DEP_2)
	v_bitop3_b32 v90, v90, v96, v95 bitop3:0x80
	ds_load_b32 v207, v93 offset:1056
	; wave barrier
	v_bitop3_b32 v90, v90, v94, v91 bitop3:0x80
	v_mul_u32_u24_e32 v91, 36, v92
	v_mbcnt_lo_u32_b32 v209, v90, 0
	v_cmp_ne_u32_e64 s15, 0, v90
	s_delay_alu instid0(VALU_DEP_3) | instskip(NEXT) | instid1(VALU_DEP_3)
	v_add_nc_u32_e32 v212, v148, v91
	v_cmp_eq_u32_e32 vcc_lo, 0, v209
	s_and_b32 s16, s15, vcc_lo
	s_delay_alu instid0(SALU_CYCLE_1)
	s_and_saveexec_b32 s15, s16
	s_cbranch_execz .LBB1245_751
; %bb.750:                              ;   in Loop: Header=BB1245_687 Depth=2
	s_wait_dscnt 0x0
	v_bcnt_u32_b32 v90, v90, v207
	ds_store_b32 v212, v90 offset:1056
.LBB1245_751:                           ;   in Loop: Header=BB1245_687 Depth=2
	s_or_b32 exec_lo, exec_lo, s15
	v_cmp_lt_i64_e32 vcc_lo, -1, v[64:65]
	; wave barrier
	v_cndmask_b32_e64 v90, -1, 0x80000000, vcc_lo
	s_delay_alu instid0(VALU_DEP_1) | instskip(NEXT) | instid1(VALU_DEP_1)
	v_dual_ashrrev_i32 v91, 31, v65 :: v_dual_bitop2_b32 v65, v90, v65 bitop3:0x14
	v_xor_b32_e32 v64, v91, v64
	s_delay_alu instid0(VALU_DEP_1) | instskip(SKIP_2) | instid1(VALU_DEP_1)
	v_cmp_ne_u64_e32 vcc_lo, s[42:43], v[64:65]
	v_cndmask_b32_e32 v91, 0x80000000, v65, vcc_lo
	v_cndmask_b32_e32 v90, 0, v64, vcc_lo
	v_lshrrev_b64 v[90:91], s48, v[90:91]
	s_delay_alu instid0(VALU_DEP_1) | instskip(SKIP_1) | instid1(VALU_DEP_2)
	v_bitop3_b32 v91, v90, 1, s55 bitop3:0x80
	v_and_b32_e32 v92, s55, v90
	v_add_co_u32 v90, s15, v91, -1
	s_delay_alu instid0(VALU_DEP_1) | instskip(NEXT) | instid1(VALU_DEP_3)
	v_cndmask_b32_e64 v91, 0, 1, s15
	v_dual_lshlrev_b32 v93, 30, v92 :: v_dual_lshlrev_b32 v95, 28, v92
	v_dual_lshlrev_b32 v94, 29, v92 :: v_dual_lshlrev_b32 v96, 27, v92
	s_delay_alu instid0(VALU_DEP_3) | instskip(NEXT) | instid1(VALU_DEP_3)
	v_cmp_ne_u32_e32 vcc_lo, 0, v91
	v_cmp_gt_i32_e64 s15, 0, v93
	v_not_b32_e32 v91, v93
	s_delay_alu instid0(VALU_DEP_4) | instskip(SKIP_4) | instid1(VALU_DEP_4)
	v_cmp_gt_i32_e64 s16, 0, v94
	v_not_b32_e32 v93, v94
	v_cmp_gt_i32_e64 s17, 0, v95
	v_not_b32_e32 v94, v95
	v_not_b32_e32 v95, v96
	v_dual_ashrrev_i32 v91, 31, v91 :: v_dual_ashrrev_i32 v93, 31, v93
	s_delay_alu instid0(VALU_DEP_2) | instskip(SKIP_4) | instid1(VALU_DEP_4)
	v_dual_ashrrev_i32 v94, 31, v94 :: v_dual_ashrrev_i32 v95, 31, v95
	v_dual_lshlrev_b32 v97, 26, v92 :: v_dual_lshlrev_b32 v210, 25, v92
	v_lshlrev_b32_e32 v211, 24, v92
	v_cmp_gt_i32_e64 s18, 0, v96
	v_xor_b32_e32 v91, s15, v91
	v_not_b32_e32 v96, v97
	v_xor_b32_e32 v90, vcc_lo, v90
	v_cmp_gt_i32_e64 s19, 0, v97
	v_cmp_gt_i32_e64 s20, 0, v210
	v_not_b32_e32 v97, v210
	v_not_b32_e32 v210, v211
	v_dual_ashrrev_i32 v96, 31, v96 :: v_dual_bitop2_b32 v93, s16, v93 bitop3:0x14
	v_xor_b32_e32 v94, s17, v94
	v_bitop3_b32 v90, v90, v91, exec_lo bitop3:0x80
	v_cmp_gt_i32_e64 s21, 0, v211
	v_dual_ashrrev_i32 v91, 31, v97 :: v_dual_ashrrev_i32 v97, 31, v210
	v_xor_b32_e32 v95, s18, v95
	v_xor_b32_e32 v96, s19, v96
	v_bitop3_b32 v90, v90, v94, v93 bitop3:0x80
	v_mad_u32_u24 v93, v92, 36, v148
	v_xor_b32_e32 v91, s20, v91
	v_xor_b32_e32 v94, s21, v97
	s_delay_alu instid0(VALU_DEP_4) | instskip(SKIP_3) | instid1(VALU_DEP_2)
	v_bitop3_b32 v90, v90, v96, v95 bitop3:0x80
	ds_load_b32 v210, v93 offset:1056
	; wave barrier
	v_bitop3_b32 v90, v90, v94, v91 bitop3:0x80
	v_mul_u32_u24_e32 v91, 36, v92
	v_mbcnt_lo_u32_b32 v211, v90, 0
	v_cmp_ne_u32_e64 s15, 0, v90
	s_delay_alu instid0(VALU_DEP_3) | instskip(NEXT) | instid1(VALU_DEP_3)
	v_add_nc_u32_e32 v215, v148, v91
	v_cmp_eq_u32_e32 vcc_lo, 0, v211
	s_and_b32 s16, s15, vcc_lo
	s_delay_alu instid0(SALU_CYCLE_1)
	s_and_saveexec_b32 s15, s16
	s_cbranch_execz .LBB1245_753
; %bb.752:                              ;   in Loop: Header=BB1245_687 Depth=2
	s_wait_dscnt 0x0
	v_bcnt_u32_b32 v90, v90, v210
	ds_store_b32 v215, v90 offset:1056
.LBB1245_753:                           ;   in Loop: Header=BB1245_687 Depth=2
	s_or_b32 exec_lo, exec_lo, s15
	v_cmp_lt_i64_e32 vcc_lo, -1, v[66:67]
	; wave barrier
	v_cndmask_b32_e64 v90, -1, 0x80000000, vcc_lo
	s_delay_alu instid0(VALU_DEP_1) | instskip(NEXT) | instid1(VALU_DEP_1)
	v_dual_ashrrev_i32 v91, 31, v67 :: v_dual_bitop2_b32 v67, v90, v67 bitop3:0x14
	v_xor_b32_e32 v66, v91, v66
	s_delay_alu instid0(VALU_DEP_1) | instskip(SKIP_2) | instid1(VALU_DEP_1)
	v_cmp_ne_u64_e32 vcc_lo, s[42:43], v[66:67]
	v_cndmask_b32_e32 v91, 0x80000000, v67, vcc_lo
	v_cndmask_b32_e32 v90, 0, v66, vcc_lo
	v_lshrrev_b64 v[90:91], s48, v[90:91]
	s_delay_alu instid0(VALU_DEP_1) | instskip(SKIP_1) | instid1(VALU_DEP_2)
	v_bitop3_b32 v91, v90, 1, s55 bitop3:0x80
	v_and_b32_e32 v92, s55, v90
	v_add_co_u32 v90, s15, v91, -1
	s_delay_alu instid0(VALU_DEP_1) | instskip(NEXT) | instid1(VALU_DEP_3)
	v_cndmask_b32_e64 v91, 0, 1, s15
	v_lshlrev_b32_e32 v93, 30, v92
	s_delay_alu instid0(VALU_DEP_2) | instskip(NEXT) | instid1(VALU_DEP_2)
	v_cmp_ne_u32_e32 vcc_lo, 0, v91
	v_not_b32_e32 v91, v93
	v_cmp_gt_i32_e64 s15, 0, v93
	s_delay_alu instid0(VALU_DEP_2) | instskip(SKIP_3) | instid1(VALU_DEP_4)
	v_dual_ashrrev_i32 v91, 31, v91 :: v_dual_lshlrev_b32 v94, 29, v92
	v_dual_lshlrev_b32 v95, 28, v92 :: v_dual_lshlrev_b32 v96, 27, v92
	v_dual_lshlrev_b32 v97, 26, v92 :: v_dual_lshlrev_b32 v213, 25, v92
	v_lshlrev_b32_e32 v214, 24, v92
	v_cmp_gt_i32_e64 s16, 0, v94
	v_not_b32_e32 v93, v94
	v_not_b32_e32 v94, v95
	v_cmp_gt_i32_e64 s17, 0, v95
	v_cmp_gt_i32_e64 s18, 0, v96
	v_not_b32_e32 v95, v96
	v_not_b32_e32 v96, v97
	v_dual_ashrrev_i32 v93, 31, v93 :: v_dual_bitop2_b32 v90, vcc_lo, v90 bitop3:0x14
	v_dual_ashrrev_i32 v94, 31, v94 :: v_dual_bitop2_b32 v91, s15, v91 bitop3:0x14
	v_cmp_gt_i32_e64 s19, 0, v97
	v_cmp_gt_i32_e64 s20, 0, v213
	v_not_b32_e32 v97, v213
	v_not_b32_e32 v213, v214
	v_dual_ashrrev_i32 v95, 31, v95 :: v_dual_ashrrev_i32 v96, 31, v96
	v_xor_b32_e32 v93, s16, v93
	v_xor_b32_e32 v94, s17, v94
	v_bitop3_b32 v90, v90, v91, exec_lo bitop3:0x80
	v_cmp_gt_i32_e64 s21, 0, v214
	v_ashrrev_i32_e32 v91, 31, v97
	v_dual_ashrrev_i32 v97, 31, v213 :: v_dual_bitop2_b32 v95, s18, v95 bitop3:0x14
	v_xor_b32_e32 v96, s19, v96
	v_bitop3_b32 v90, v90, v94, v93 bitop3:0x80
	v_mad_u32_u24 v93, v92, 36, v148
	v_xor_b32_e32 v91, s20, v91
	v_xor_b32_e32 v94, s21, v97
	s_delay_alu instid0(VALU_DEP_4) | instskip(SKIP_3) | instid1(VALU_DEP_2)
	v_bitop3_b32 v90, v90, v96, v95 bitop3:0x80
	ds_load_b32 v213, v93 offset:1056
	; wave barrier
	v_bitop3_b32 v90, v90, v94, v91 bitop3:0x80
	v_mul_u32_u24_e32 v91, 36, v92
	v_mbcnt_lo_u32_b32 v214, v90, 0
	v_cmp_ne_u32_e64 s15, 0, v90
	s_delay_alu instid0(VALU_DEP_3) | instskip(NEXT) | instid1(VALU_DEP_3)
	v_add_nc_u32_e32 v216, v148, v91
	v_cmp_eq_u32_e32 vcc_lo, 0, v214
	s_and_b32 s16, s15, vcc_lo
	s_delay_alu instid0(SALU_CYCLE_1)
	s_and_saveexec_b32 s15, s16
	s_cbranch_execz .LBB1245_755
; %bb.754:                              ;   in Loop: Header=BB1245_687 Depth=2
	s_wait_dscnt 0x0
	v_bcnt_u32_b32 v90, v90, v213
	ds_store_b32 v216, v90 offset:1056
.LBB1245_755:                           ;   in Loop: Header=BB1245_687 Depth=2
	s_or_b32 exec_lo, exec_lo, s15
	; wave barrier
	s_wait_dscnt 0x0
	s_barrier_signal -1
	s_barrier_wait -1
	ds_load_2addr_b32 v[96:97], v168 offset1:1
	ds_load_2addr_b32 v[94:95], v169 offset1:1
	;; [unrolled: 1-line block ×4, first 2 shown]
	ds_load_b32 v217, v120 offset:1088
	s_wait_dscnt 0x3
	v_add3_u32 v218, v97, v96, v94
	s_wait_dscnt 0x2
	s_delay_alu instid0(VALU_DEP_1) | instskip(SKIP_1) | instid1(VALU_DEP_1)
	v_add3_u32 v218, v218, v95, v92
	s_wait_dscnt 0x1
	v_add3_u32 v218, v218, v93, v90
	s_wait_dscnt 0x0
	s_delay_alu instid0(VALU_DEP_1) | instskip(NEXT) | instid1(VALU_DEP_1)
	v_add3_u32 v217, v218, v91, v217
	v_mov_b32_dpp v218, v217 row_shr:1 row_mask:0xf bank_mask:0xf
	s_delay_alu instid0(VALU_DEP_1) | instskip(NEXT) | instid1(VALU_DEP_1)
	v_cndmask_b32_e64 v218, v218, 0, s7
	v_add_nc_u32_e32 v217, v218, v217
	s_delay_alu instid0(VALU_DEP_1) | instskip(NEXT) | instid1(VALU_DEP_1)
	v_mov_b32_dpp v218, v217 row_shr:2 row_mask:0xf bank_mask:0xf
	v_cndmask_b32_e64 v218, 0, v218, s8
	s_delay_alu instid0(VALU_DEP_1) | instskip(NEXT) | instid1(VALU_DEP_1)
	v_add_nc_u32_e32 v217, v217, v218
	v_mov_b32_dpp v218, v217 row_shr:4 row_mask:0xf bank_mask:0xf
	s_delay_alu instid0(VALU_DEP_1) | instskip(NEXT) | instid1(VALU_DEP_1)
	v_cndmask_b32_e64 v218, 0, v218, s9
	v_add_nc_u32_e32 v217, v217, v218
	s_delay_alu instid0(VALU_DEP_1) | instskip(NEXT) | instid1(VALU_DEP_1)
	v_mov_b32_dpp v218, v217 row_shr:8 row_mask:0xf bank_mask:0xf
	v_cndmask_b32_e64 v218, 0, v218, s10
	s_delay_alu instid0(VALU_DEP_1) | instskip(SKIP_3) | instid1(VALU_DEP_1)
	v_add_nc_u32_e32 v217, v217, v218
	ds_swizzle_b32 v218, v217 offset:swizzle(BROADCAST,32,15)
	s_wait_dscnt 0x0
	v_cndmask_b32_e64 v218, v218, 0, s11
	v_add_nc_u32_e32 v217, v217, v218
	s_and_saveexec_b32 s15, s1
; %bb.756:                              ;   in Loop: Header=BB1245_687 Depth=2
	ds_store_b32 v114, v217 offset:1024
; %bb.757:                              ;   in Loop: Header=BB1245_687 Depth=2
	s_or_b32 exec_lo, exec_lo, s15
	s_wait_dscnt 0x0
	s_barrier_signal -1
	s_barrier_wait -1
	s_and_saveexec_b32 s15, s4
	s_cbranch_execz .LBB1245_759
; %bb.758:                              ;   in Loop: Header=BB1245_687 Depth=2
	ds_load_b32 v218, v122 offset:1024
	s_wait_dscnt 0x0
	v_mov_b32_dpp v219, v218 row_shr:1 row_mask:0xf bank_mask:0xf
	s_delay_alu instid0(VALU_DEP_1) | instskip(NEXT) | instid1(VALU_DEP_1)
	v_cndmask_b32_e64 v219, v219, 0, s12
	v_add_nc_u32_e32 v218, v219, v218
	s_delay_alu instid0(VALU_DEP_1) | instskip(NEXT) | instid1(VALU_DEP_1)
	v_mov_b32_dpp v219, v218 row_shr:2 row_mask:0xf bank_mask:0xf
	v_cndmask_b32_e64 v219, 0, v219, s13
	s_delay_alu instid0(VALU_DEP_1) | instskip(NEXT) | instid1(VALU_DEP_1)
	v_add_nc_u32_e32 v218, v218, v219
	v_mov_b32_dpp v219, v218 row_shr:4 row_mask:0xf bank_mask:0xf
	s_delay_alu instid0(VALU_DEP_1) | instskip(NEXT) | instid1(VALU_DEP_1)
	v_cndmask_b32_e64 v219, 0, v219, s14
	v_add_nc_u32_e32 v218, v218, v219
	ds_store_b32 v122, v218 offset:1024
.LBB1245_759:                           ;   in Loop: Header=BB1245_687 Depth=2
	s_or_b32 exec_lo, exec_lo, s15
	v_mov_b32_e32 v218, 0
	s_wait_dscnt 0x0
	s_barrier_signal -1
	s_barrier_wait -1
	s_and_saveexec_b32 s15, s5
; %bb.760:                              ;   in Loop: Header=BB1245_687 Depth=2
	ds_load_b32 v218, v114 offset:1020
; %bb.761:                              ;   in Loop: Header=BB1245_687 Depth=2
	s_or_b32 exec_lo, exec_lo, s15
	s_wait_dscnt 0x0
	v_add_nc_u32_e32 v217, v218, v217
	ds_bpermute_b32 v217, v147, v217
	s_wait_dscnt 0x0
	v_cndmask_b32_e64 v217, v217, v218, s6
	s_delay_alu instid0(VALU_DEP_1) | instskip(NEXT) | instid1(VALU_DEP_1)
	v_cndmask_b32_e64 v217, v217, 0, s2
	v_add_nc_u32_e32 v96, v217, v96
	s_delay_alu instid0(VALU_DEP_1) | instskip(NEXT) | instid1(VALU_DEP_1)
	v_add_nc_u32_e32 v97, v96, v97
	v_add_nc_u32_e32 v94, v97, v94
	s_delay_alu instid0(VALU_DEP_1) | instskip(NEXT) | instid1(VALU_DEP_1)
	v_add_nc_u32_e32 v95, v94, v95
	;; [unrolled: 3-line block ×3, first 2 shown]
	v_add_nc_u32_e32 v90, v93, v90
	s_delay_alu instid0(VALU_DEP_1)
	v_add_nc_u32_e32 v91, v90, v91
	ds_store_2addr_b32 v167, v93, v90 offset1:1
	ds_store_2addr_b32 v168, v217, v96 offset1:1
	ds_store_2addr_b32 v169, v97, v94 offset1:1
	ds_store_2addr_b32 v170, v95, v92 offset1:1
	ds_store_b32 v120, v91 offset:1088
	s_wait_dscnt 0x0
	s_barrier_signal -1
	s_barrier_wait -1
	ds_load_b32 v91, v171 offset:1056
	ds_load_b32 v96, v174 offset:1056
	;; [unrolled: 1-line block ×17, first 2 shown]
	v_mov_b32_e32 v90, 0x1000
	s_and_saveexec_b32 s15, s3
; %bb.762:                              ;   in Loop: Header=BB1245_687 Depth=2
	ds_load_b32 v90, v120 offset:1092
; %bb.763:                              ;   in Loop: Header=BB1245_687 Depth=2
	s_or_b32 exec_lo, exec_lo, s15
	s_wait_dscnt 0x0
	s_barrier_signal -1
	s_barrier_wait -1
	s_and_saveexec_b32 s15, s0
	s_cbranch_execz .LBB1245_765
; %bb.764:                              ;   in Loop: Header=BB1245_687 Depth=2
	ds_load_b32 v189, v3
	s_wait_dscnt 0x0
	v_sub_nc_u32_e32 v186, v189, v186
	ds_store_b32 v3, v186
.LBB1245_765:                           ;   in Loop: Header=BB1245_687 Depth=2
	s_or_b32 exec_lo, exec_lo, s15
	v_dual_lshlrev_b32 v166, 3, v166 :: v_dual_lshlrev_b32 v173, 3, v173
	v_lshlrev_b32_e32 v172, 3, v172
	v_dual_lshlrev_b32 v96, 3, v96 :: v_dual_lshlrev_b32 v95, 3, v95
	s_delay_alu instid0(VALU_DEP_3)
	v_lshl_add_u32 v91, v91, 3, v166
	v_dual_lshlrev_b32 v176, 3, v176 :: v_dual_lshlrev_b32 v166, 3, v175
	v_dual_lshlrev_b32 v175, 3, v179 :: v_dual_lshlrev_b32 v178, 3, v178
	v_lshlrev_b32_e32 v179, 3, v181
	ds_store_b64 v91, v[58:59] offset:1024
	v_dual_lshlrev_b32 v58, 3, v94 :: v_dual_lshlrev_b32 v181, 3, v93
	v_dual_lshlrev_b32 v59, 3, v182 :: v_dual_lshlrev_b32 v182, 3, v185
	v_lshlrev_b32_e32 v184, 3, v184
	v_lshlrev_b32_e32 v185, 3, v92
	v_add3_u32 v92, v173, v172, v96
	v_add3_u32 v93, v176, v166, v95
	;; [unrolled: 1-line block ×4, first 2 shown]
	v_lshlrev_b32_e32 v59, 3, v187
	v_add3_u32 v96, v182, v184, v185
	ds_store_b64 v92, v[60:61] offset:1024
	ds_store_b64 v93, v[62:63] offset:1024
	;; [unrolled: 1-line block ×5, first 2 shown]
	v_dual_lshlrev_b32 v58, 3, v188 :: v_dual_lshlrev_b32 v61, 3, v191
	v_dual_lshlrev_b32 v60, 3, v183 :: v_dual_lshlrev_b32 v62, 3, v190
	;; [unrolled: 1-line block ×3, first 2 shown]
	v_lshlrev_b32_e32 v71, 3, v193
	v_dual_lshlrev_b32 v74, 3, v177 :: v_dual_lshlrev_b32 v78, 3, v196
	v_dual_lshlrev_b32 v75, 3, v197 :: v_dual_lshlrev_b32 v79, 3, v174
	;; [unrolled: 1-line block ×3, first 2 shown]
	v_lshlrev_b32_e32 v171, 3, v171
	v_add3_u32 v60, v58, v59, v60
	v_add3_u32 v61, v61, v62, v63
	;; [unrolled: 1-line block ×4, first 2 shown]
	v_lshlrev_b32_e32 v59, 3, v202
	v_add3_u32 v70, v166, v172, v171
	ds_store_b64 v60, v[82:83] offset:1024
	ds_store_b64 v61, v[86:87] offset:1024
	;; [unrolled: 1-line block ×5, first 2 shown]
	v_dual_lshlrev_b32 v58, 3, v203 :: v_dual_lshlrev_b32 v71, 3, v170
	v_dual_lshlrev_b32 v74, 3, v206 :: v_dual_lshlrev_b32 v75, 3, v205
	;; [unrolled: 1-line block ×6, first 2 shown]
	v_lshlrev_b32_e32 v86, 3, v213
	v_lshlrev_b32_e32 v87, 3, v97
	v_add3_u32 v71, v58, v59, v71
	v_add3_u32 v74, v74, v75, v78
	;; [unrolled: 1-line block ×5, first 2 shown]
	v_cmp_lt_u32_e32 vcc_lo, v2, v165
	ds_store_b64 v71, v[76:77] offset:1024
	ds_store_b64 v74, v[72:73] offset:1024
	ds_store_b64 v75, v[68:69] offset:1024
	ds_store_b64 v78, v[64:65] offset:1024
	ds_store_b64 v79, v[66:67] offset:1024
	s_wait_dscnt 0x0
	s_barrier_signal -1
	s_barrier_wait -1
	s_and_saveexec_b32 s16, vcc_lo
	s_cbranch_execnz .LBB1245_834
; %bb.766:                              ;   in Loop: Header=BB1245_687 Depth=2
	s_or_b32 exec_lo, exec_lo, s16
	v_cmp_lt_u32_e64 s15, v98, v165
	s_and_saveexec_b32 s17, s15
	s_cbranch_execnz .LBB1245_835
.LBB1245_767:                           ;   in Loop: Header=BB1245_687 Depth=2
	s_or_b32 exec_lo, exec_lo, s17
	v_cmp_lt_u32_e64 s16, v99, v165
	s_and_saveexec_b32 s18, s16
	s_cbranch_execnz .LBB1245_836
.LBB1245_768:                           ;   in Loop: Header=BB1245_687 Depth=2
	s_or_b32 exec_lo, exec_lo, s18
	v_cmp_lt_u32_e64 s17, v100, v165
	s_and_saveexec_b32 s19, s17
	s_cbranch_execnz .LBB1245_837
.LBB1245_769:                           ;   in Loop: Header=BB1245_687 Depth=2
	s_or_b32 exec_lo, exec_lo, s19
	v_cmp_lt_u32_e64 s18, v101, v165
	s_and_saveexec_b32 s20, s18
	s_cbranch_execnz .LBB1245_838
.LBB1245_770:                           ;   in Loop: Header=BB1245_687 Depth=2
	s_or_b32 exec_lo, exec_lo, s20
	v_cmp_lt_u32_e64 s19, v102, v165
	s_and_saveexec_b32 s21, s19
	s_cbranch_execnz .LBB1245_839
.LBB1245_771:                           ;   in Loop: Header=BB1245_687 Depth=2
	s_or_b32 exec_lo, exec_lo, s21
	v_cmp_lt_u32_e64 s20, v103, v165
	s_and_saveexec_b32 s22, s20
	s_cbranch_execnz .LBB1245_840
.LBB1245_772:                           ;   in Loop: Header=BB1245_687 Depth=2
	s_or_b32 exec_lo, exec_lo, s22
	v_cmp_lt_u32_e64 s21, v104, v165
	s_and_saveexec_b32 s23, s21
	s_cbranch_execnz .LBB1245_841
.LBB1245_773:                           ;   in Loop: Header=BB1245_687 Depth=2
	s_or_b32 exec_lo, exec_lo, s23
	v_cmp_lt_u32_e64 s22, v105, v165
	s_and_saveexec_b32 s24, s22
	s_cbranch_execnz .LBB1245_842
.LBB1245_774:                           ;   in Loop: Header=BB1245_687 Depth=2
	s_or_b32 exec_lo, exec_lo, s24
	v_cmp_lt_u32_e64 s23, v106, v165
	s_and_saveexec_b32 s25, s23
	s_cbranch_execnz .LBB1245_843
.LBB1245_775:                           ;   in Loop: Header=BB1245_687 Depth=2
	s_or_b32 exec_lo, exec_lo, s25
	v_cmp_lt_u32_e64 s24, v107, v165
	s_and_saveexec_b32 s26, s24
	s_cbranch_execnz .LBB1245_844
.LBB1245_776:                           ;   in Loop: Header=BB1245_687 Depth=2
	s_or_b32 exec_lo, exec_lo, s26
	v_cmp_lt_u32_e64 s25, v108, v165
	s_and_saveexec_b32 s27, s25
	s_cbranch_execnz .LBB1245_845
.LBB1245_777:                           ;   in Loop: Header=BB1245_687 Depth=2
	s_or_b32 exec_lo, exec_lo, s27
	v_cmp_lt_u32_e64 s26, v109, v165
	s_and_saveexec_b32 s28, s26
	s_cbranch_execnz .LBB1245_846
.LBB1245_778:                           ;   in Loop: Header=BB1245_687 Depth=2
	s_or_b32 exec_lo, exec_lo, s28
	v_cmp_lt_u32_e64 s27, v110, v165
	s_and_saveexec_b32 s29, s27
	s_cbranch_execnz .LBB1245_847
.LBB1245_779:                           ;   in Loop: Header=BB1245_687 Depth=2
	s_or_b32 exec_lo, exec_lo, s29
	v_cmp_lt_u32_e64 s28, v111, v165
	s_and_saveexec_b32 s30, s28
	s_cbranch_execnz .LBB1245_848
.LBB1245_780:                           ;   in Loop: Header=BB1245_687 Depth=2
	s_or_b32 exec_lo, exec_lo, s30
	v_cmp_lt_u32_e64 s29, v112, v165
	s_and_saveexec_b32 s61, s29
	s_cbranch_execz .LBB1245_782
.LBB1245_781:                           ;   in Loop: Header=BB1245_687 Depth=2
	ds_load_b64 v[58:59], v123 offset:31744
	s_wait_dscnt 0x0
	v_cmp_ne_u64_e64 s30, s[42:43], v[58:59]
	s_delay_alu instid0(VALU_DEP_1) | instskip(SKIP_2) | instid1(VALU_DEP_2)
	v_cndmask_b32_e64 v65, 0x80000000, v59, s30
	v_cndmask_b32_e64 v64, 0, v58, s30
	v_cmp_lt_i64_e64 s30, -1, v[58:59]
	v_lshrrev_b64 v[64:65], s48, v[64:65]
	v_ashrrev_i32_e32 v65, 31, v59
	s_delay_alu instid0(VALU_DEP_3) | instskip(NEXT) | instid1(VALU_DEP_2)
	v_cndmask_b32_e64 v66, 0x80000000, -1, s30
	v_not_b32_e32 v65, v65
	s_delay_alu instid0(VALU_DEP_4) | instskip(NEXT) | instid1(VALU_DEP_1)
	v_and_b32_e32 v64, s55, v64
	v_dual_lshlrev_b32 v64, 2, v64 :: v_dual_bitop2_b32 v59, v66, v59 bitop3:0x14
	ds_load_b32 v64, v64
	s_wait_dscnt 0x0
	v_dual_add_nc_u32 v64, v64, v112 :: v_dual_bitop2_b32 v58, v65, v58 bitop3:0x14
	global_store_b64 v64, v[58:59], s[38:39] scale_offset
.LBB1245_782:                           ;   in Loop: Header=BB1245_687 Depth=2
	s_wait_xcnt 0x0
	s_or_b32 exec_lo, exec_lo, s61
	v_lshl_add_u64 v[58:59], s[34:35], 3, v[22:23]
	v_cmp_lt_u32_e64 s30, v129, v165
	s_and_saveexec_b32 s34, s30
	s_delay_alu instid0(SALU_CYCLE_1)
	s_xor_b32 s30, exec_lo, s34
	s_cbranch_execnz .LBB1245_849
; %bb.783:                              ;   in Loop: Header=BB1245_687 Depth=2
	s_or_b32 exec_lo, exec_lo, s30
	s_delay_alu instid0(SALU_CYCLE_1)
	s_mov_b32 s34, exec_lo
	v_cmpx_lt_u32_e64 v132, v165
	s_cbranch_execnz .LBB1245_850
.LBB1245_784:                           ;   in Loop: Header=BB1245_687 Depth=2
	s_or_b32 exec_lo, exec_lo, s34
	s_delay_alu instid0(SALU_CYCLE_1)
	s_mov_b32 s34, exec_lo
	v_cmpx_lt_u32_e64 v133, v165
	s_cbranch_execnz .LBB1245_851
.LBB1245_785:                           ;   in Loop: Header=BB1245_687 Depth=2
	s_or_b32 exec_lo, exec_lo, s34
	s_delay_alu instid0(SALU_CYCLE_1)
	s_mov_b32 s34, exec_lo
	v_cmpx_lt_u32_e64 v134, v165
	s_cbranch_execnz .LBB1245_852
.LBB1245_786:                           ;   in Loop: Header=BB1245_687 Depth=2
	s_or_b32 exec_lo, exec_lo, s34
	s_delay_alu instid0(SALU_CYCLE_1)
	s_mov_b32 s34, exec_lo
	v_cmpx_lt_u32_e64 v135, v165
	s_cbranch_execnz .LBB1245_853
.LBB1245_787:                           ;   in Loop: Header=BB1245_687 Depth=2
	s_or_b32 exec_lo, exec_lo, s34
	s_delay_alu instid0(SALU_CYCLE_1)
	s_mov_b32 s34, exec_lo
	v_cmpx_lt_u32_e64 v136, v165
	s_cbranch_execnz .LBB1245_854
.LBB1245_788:                           ;   in Loop: Header=BB1245_687 Depth=2
	s_or_b32 exec_lo, exec_lo, s34
	s_delay_alu instid0(SALU_CYCLE_1)
	s_mov_b32 s34, exec_lo
	v_cmpx_lt_u32_e64 v137, v165
	s_cbranch_execnz .LBB1245_855
.LBB1245_789:                           ;   in Loop: Header=BB1245_687 Depth=2
	s_or_b32 exec_lo, exec_lo, s34
	s_delay_alu instid0(SALU_CYCLE_1)
	s_mov_b32 s34, exec_lo
	v_cmpx_lt_u32_e64 v138, v165
	s_cbranch_execnz .LBB1245_856
.LBB1245_790:                           ;   in Loop: Header=BB1245_687 Depth=2
	s_or_b32 exec_lo, exec_lo, s34
	s_delay_alu instid0(SALU_CYCLE_1)
	s_mov_b32 s34, exec_lo
	v_cmpx_lt_u32_e64 v139, v165
	s_cbranch_execnz .LBB1245_857
.LBB1245_791:                           ;   in Loop: Header=BB1245_687 Depth=2
	s_or_b32 exec_lo, exec_lo, s34
	s_delay_alu instid0(SALU_CYCLE_1)
	s_mov_b32 s34, exec_lo
	v_cmpx_lt_u32_e64 v140, v165
	s_cbranch_execnz .LBB1245_858
.LBB1245_792:                           ;   in Loop: Header=BB1245_687 Depth=2
	s_or_b32 exec_lo, exec_lo, s34
	s_delay_alu instid0(SALU_CYCLE_1)
	s_mov_b32 s34, exec_lo
	v_cmpx_lt_u32_e64 v141, v165
	s_cbranch_execnz .LBB1245_859
.LBB1245_793:                           ;   in Loop: Header=BB1245_687 Depth=2
	s_or_b32 exec_lo, exec_lo, s34
	s_delay_alu instid0(SALU_CYCLE_1)
	s_mov_b32 s34, exec_lo
	v_cmpx_lt_u32_e64 v142, v165
	s_cbranch_execnz .LBB1245_860
.LBB1245_794:                           ;   in Loop: Header=BB1245_687 Depth=2
	s_or_b32 exec_lo, exec_lo, s34
	s_delay_alu instid0(SALU_CYCLE_1)
	s_mov_b32 s34, exec_lo
	v_cmpx_lt_u32_e64 v143, v165
	s_cbranch_execnz .LBB1245_861
.LBB1245_795:                           ;   in Loop: Header=BB1245_687 Depth=2
	s_or_b32 exec_lo, exec_lo, s34
	s_delay_alu instid0(SALU_CYCLE_1)
	s_mov_b32 s34, exec_lo
	v_cmpx_lt_u32_e64 v144, v165
	s_cbranch_execnz .LBB1245_862
.LBB1245_796:                           ;   in Loop: Header=BB1245_687 Depth=2
	s_or_b32 exec_lo, exec_lo, s34
	s_delay_alu instid0(SALU_CYCLE_1)
	s_mov_b32 s34, exec_lo
	v_cmpx_lt_u32_e64 v145, v165
	s_cbranch_execnz .LBB1245_863
.LBB1245_797:                           ;   in Loop: Header=BB1245_687 Depth=2
	s_or_b32 exec_lo, exec_lo, s34
	s_delay_alu instid0(SALU_CYCLE_1)
	s_mov_b32 s34, exec_lo
	v_cmpx_lt_u32_e64 v146, v165
	s_cbranch_execnz .LBB1245_864
.LBB1245_798:                           ;   in Loop: Header=BB1245_687 Depth=2
	s_or_b32 exec_lo, exec_lo, s34
	s_and_saveexec_b32 s34, vcc_lo
	s_cbranch_execnz .LBB1245_865
.LBB1245_799:                           ;   in Loop: Header=BB1245_687 Depth=2
	s_or_b32 exec_lo, exec_lo, s34
	s_and_saveexec_b32 s34, s15
	s_cbranch_execnz .LBB1245_866
.LBB1245_800:                           ;   in Loop: Header=BB1245_687 Depth=2
	s_or_b32 exec_lo, exec_lo, s34
	s_and_saveexec_b32 s34, s16
	s_cbranch_execnz .LBB1245_867
.LBB1245_801:                           ;   in Loop: Header=BB1245_687 Depth=2
	s_or_b32 exec_lo, exec_lo, s34
	s_and_saveexec_b32 s34, s17
	s_cbranch_execnz .LBB1245_868
.LBB1245_802:                           ;   in Loop: Header=BB1245_687 Depth=2
	s_or_b32 exec_lo, exec_lo, s34
	s_and_saveexec_b32 s34, s18
	s_cbranch_execnz .LBB1245_869
.LBB1245_803:                           ;   in Loop: Header=BB1245_687 Depth=2
	s_or_b32 exec_lo, exec_lo, s34
	s_and_saveexec_b32 s34, s19
	s_cbranch_execnz .LBB1245_870
.LBB1245_804:                           ;   in Loop: Header=BB1245_687 Depth=2
	s_or_b32 exec_lo, exec_lo, s34
	s_and_saveexec_b32 s34, s20
	s_cbranch_execnz .LBB1245_871
.LBB1245_805:                           ;   in Loop: Header=BB1245_687 Depth=2
	s_or_b32 exec_lo, exec_lo, s34
	s_and_saveexec_b32 s34, s21
	s_cbranch_execnz .LBB1245_872
.LBB1245_806:                           ;   in Loop: Header=BB1245_687 Depth=2
	s_or_b32 exec_lo, exec_lo, s34
	s_and_saveexec_b32 s34, s22
	s_cbranch_execnz .LBB1245_873
.LBB1245_807:                           ;   in Loop: Header=BB1245_687 Depth=2
	s_or_b32 exec_lo, exec_lo, s34
	s_and_saveexec_b32 s34, s23
	s_cbranch_execnz .LBB1245_874
.LBB1245_808:                           ;   in Loop: Header=BB1245_687 Depth=2
	s_or_b32 exec_lo, exec_lo, s34
	s_and_saveexec_b32 s34, s24
	s_cbranch_execnz .LBB1245_875
.LBB1245_809:                           ;   in Loop: Header=BB1245_687 Depth=2
	s_or_b32 exec_lo, exec_lo, s34
	s_and_saveexec_b32 s34, s25
	s_cbranch_execnz .LBB1245_876
.LBB1245_810:                           ;   in Loop: Header=BB1245_687 Depth=2
	s_or_b32 exec_lo, exec_lo, s34
	s_and_saveexec_b32 s34, s26
	s_cbranch_execnz .LBB1245_877
.LBB1245_811:                           ;   in Loop: Header=BB1245_687 Depth=2
	s_or_b32 exec_lo, exec_lo, s34
	s_and_saveexec_b32 s34, s27
	s_cbranch_execnz .LBB1245_878
.LBB1245_812:                           ;   in Loop: Header=BB1245_687 Depth=2
	s_or_b32 exec_lo, exec_lo, s34
	s_and_saveexec_b32 s34, s28
	s_cbranch_execnz .LBB1245_879
.LBB1245_813:                           ;   in Loop: Header=BB1245_687 Depth=2
	s_or_b32 exec_lo, exec_lo, s34
	s_and_saveexec_b32 s34, s29
	s_cbranch_execz .LBB1245_815
.LBB1245_814:                           ;   in Loop: Header=BB1245_687 Depth=2
	ds_load_b64 v[58:59], v123 offset:31744
	s_wait_dscnt 0x0
	v_cmp_ne_u64_e64 s30, s[42:43], v[58:59]
	s_delay_alu instid0(VALU_DEP_1) | instskip(SKIP_1) | instid1(VALU_DEP_1)
	v_cndmask_b32_e64 v59, 0x80000000, v59, s30
	v_cndmask_b32_e64 v58, 0, v58, s30
	v_lshrrev_b64 v[58:59], s48, v[58:59]
	s_delay_alu instid0(VALU_DEP_1)
	v_and_b32_e32 v149, s55, v58
.LBB1245_815:                           ;   in Loop: Header=BB1245_687 Depth=2
	s_or_b32 exec_lo, exec_lo, s34
	s_wait_loadcnt 0x0
	s_wait_storecnt 0x0
	s_barrier_signal -1
	s_barrier_wait -1
	ds_store_b64 v91, v[56:57] offset:1024
	ds_store_b64 v92, v[54:55] offset:1024
	;; [unrolled: 1-line block ×16, first 2 shown]
	s_wait_dscnt 0x0
	s_barrier_signal -1
	s_barrier_wait -1
	s_and_saveexec_b32 s30, vcc_lo
	s_cbranch_execnz .LBB1245_880
; %bb.816:                              ;   in Loop: Header=BB1245_687 Depth=2
	s_or_b32 exec_lo, exec_lo, s30
	s_and_saveexec_b32 s30, s15
	s_cbranch_execnz .LBB1245_881
.LBB1245_817:                           ;   in Loop: Header=BB1245_687 Depth=2
	s_or_b32 exec_lo, exec_lo, s30
	s_and_saveexec_b32 s15, s16
	s_cbranch_execnz .LBB1245_882
.LBB1245_818:                           ;   in Loop: Header=BB1245_687 Depth=2
	s_or_b32 exec_lo, exec_lo, s15
	s_and_saveexec_b32 s15, s17
	s_cbranch_execnz .LBB1245_883
.LBB1245_819:                           ;   in Loop: Header=BB1245_687 Depth=2
	s_or_b32 exec_lo, exec_lo, s15
	s_and_saveexec_b32 s15, s18
	s_cbranch_execnz .LBB1245_884
.LBB1245_820:                           ;   in Loop: Header=BB1245_687 Depth=2
	s_or_b32 exec_lo, exec_lo, s15
	s_and_saveexec_b32 s15, s19
	s_cbranch_execnz .LBB1245_885
.LBB1245_821:                           ;   in Loop: Header=BB1245_687 Depth=2
	s_or_b32 exec_lo, exec_lo, s15
	s_and_saveexec_b32 s15, s20
	s_cbranch_execnz .LBB1245_886
.LBB1245_822:                           ;   in Loop: Header=BB1245_687 Depth=2
	s_or_b32 exec_lo, exec_lo, s15
	s_and_saveexec_b32 s15, s21
	s_cbranch_execnz .LBB1245_887
.LBB1245_823:                           ;   in Loop: Header=BB1245_687 Depth=2
	s_or_b32 exec_lo, exec_lo, s15
	s_and_saveexec_b32 s15, s22
	s_cbranch_execnz .LBB1245_888
.LBB1245_824:                           ;   in Loop: Header=BB1245_687 Depth=2
	s_or_b32 exec_lo, exec_lo, s15
	s_and_saveexec_b32 s15, s23
	s_cbranch_execnz .LBB1245_889
.LBB1245_825:                           ;   in Loop: Header=BB1245_687 Depth=2
	s_or_b32 exec_lo, exec_lo, s15
	s_and_saveexec_b32 s15, s24
	s_cbranch_execnz .LBB1245_890
.LBB1245_826:                           ;   in Loop: Header=BB1245_687 Depth=2
	s_or_b32 exec_lo, exec_lo, s15
	s_and_saveexec_b32 s15, s25
	s_cbranch_execnz .LBB1245_891
.LBB1245_827:                           ;   in Loop: Header=BB1245_687 Depth=2
	s_or_b32 exec_lo, exec_lo, s15
	s_and_saveexec_b32 s15, s26
	s_cbranch_execnz .LBB1245_892
.LBB1245_828:                           ;   in Loop: Header=BB1245_687 Depth=2
	s_or_b32 exec_lo, exec_lo, s15
	s_and_saveexec_b32 s15, s27
	s_cbranch_execnz .LBB1245_893
.LBB1245_829:                           ;   in Loop: Header=BB1245_687 Depth=2
	s_or_b32 exec_lo, exec_lo, s15
	s_and_saveexec_b32 s15, s28
	s_cbranch_execnz .LBB1245_894
.LBB1245_830:                           ;   in Loop: Header=BB1245_687 Depth=2
	s_or_b32 exec_lo, exec_lo, s15
	s_and_saveexec_b32 s15, s29
	s_cbranch_execz .LBB1245_832
.LBB1245_831:                           ;   in Loop: Header=BB1245_687 Depth=2
	v_lshlrev_b32_e32 v58, 2, v149
	ds_load_b32 v60, v58
	ds_load_b64 v[58:59], v123 offset:31744
	s_wait_dscnt 0x1
	v_add_nc_u32_e32 v60, v60, v112
	s_wait_dscnt 0x0
	global_store_b64 v60, v[58:59], s[44:45] scale_offset
.LBB1245_832:                           ;   in Loop: Header=BB1245_687 Depth=2
	s_wait_xcnt 0x0
	s_or_b32 exec_lo, exec_lo, s15
	s_wait_storecnt 0x0
	s_barrier_signal -1
	s_barrier_wait -1
	s_and_saveexec_b32 s15, s0
	s_cbranch_execz .LBB1245_686
; %bb.833:                              ;   in Loop: Header=BB1245_687 Depth=2
	ds_load_b32 v58, v3
	s_wait_dscnt 0x0
	v_add_nc_u32_e32 v58, v58, v90
	ds_store_b32 v3, v58
	s_branch .LBB1245_686
.LBB1245_834:                           ;   in Loop: Header=BB1245_687 Depth=2
	ds_load_b64 v[58:59], v123 offset:1024
	s_wait_dscnt 0x0
	v_cmp_ne_u64_e64 s15, s[42:43], v[58:59]
	s_delay_alu instid0(VALU_DEP_1) | instskip(SKIP_2) | instid1(VALU_DEP_2)
	v_cndmask_b32_e64 v65, 0x80000000, v59, s15
	v_cndmask_b32_e64 v64, 0, v58, s15
	v_cmp_lt_i64_e64 s15, -1, v[58:59]
	v_lshrrev_b64 v[64:65], s48, v[64:65]
	v_ashrrev_i32_e32 v65, 31, v59
	s_delay_alu instid0(VALU_DEP_3) | instskip(NEXT) | instid1(VALU_DEP_2)
	v_cndmask_b32_e64 v66, 0x80000000, -1, s15
	v_not_b32_e32 v65, v65
	s_delay_alu instid0(VALU_DEP_4) | instskip(NEXT) | instid1(VALU_DEP_3)
	v_and_b32_e32 v64, s55, v64
	v_xor_b32_e32 v59, v66, v59
	s_delay_alu instid0(VALU_DEP_2)
	v_dual_lshlrev_b32 v64, 2, v64 :: v_dual_bitop2_b32 v58, v65, v58 bitop3:0x14
	ds_load_b32 v64, v64
	s_wait_dscnt 0x0
	v_add_nc_u32_e32 v64, v64, v2
	global_store_b64 v64, v[58:59], s[38:39] scale_offset
	s_wait_xcnt 0x0
	s_or_b32 exec_lo, exec_lo, s16
	v_cmp_lt_u32_e64 s15, v98, v165
	s_and_saveexec_b32 s17, s15
	s_cbranch_execz .LBB1245_767
.LBB1245_835:                           ;   in Loop: Header=BB1245_687 Depth=2
	ds_load_b64 v[58:59], v123 offset:3072
	s_wait_dscnt 0x0
	v_cmp_ne_u64_e64 s16, s[42:43], v[58:59]
	s_delay_alu instid0(VALU_DEP_1) | instskip(SKIP_2) | instid1(VALU_DEP_2)
	v_cndmask_b32_e64 v65, 0x80000000, v59, s16
	v_cndmask_b32_e64 v64, 0, v58, s16
	v_cmp_lt_i64_e64 s16, -1, v[58:59]
	v_lshrrev_b64 v[64:65], s48, v[64:65]
	v_ashrrev_i32_e32 v65, 31, v59
	s_delay_alu instid0(VALU_DEP_3) | instskip(NEXT) | instid1(VALU_DEP_2)
	v_cndmask_b32_e64 v66, 0x80000000, -1, s16
	v_not_b32_e32 v65, v65
	s_delay_alu instid0(VALU_DEP_4) | instskip(NEXT) | instid1(VALU_DEP_3)
	v_and_b32_e32 v64, s55, v64
	v_xor_b32_e32 v59, v66, v59
	s_delay_alu instid0(VALU_DEP_2)
	v_dual_lshlrev_b32 v64, 2, v64 :: v_dual_bitop2_b32 v58, v65, v58 bitop3:0x14
	ds_load_b32 v64, v64
	s_wait_dscnt 0x0
	v_add_nc_u32_e32 v64, v64, v98
	global_store_b64 v64, v[58:59], s[38:39] scale_offset
	s_wait_xcnt 0x0
	s_or_b32 exec_lo, exec_lo, s17
	v_cmp_lt_u32_e64 s16, v99, v165
	s_and_saveexec_b32 s18, s16
	s_cbranch_execz .LBB1245_768
.LBB1245_836:                           ;   in Loop: Header=BB1245_687 Depth=2
	ds_load_b64 v[58:59], v123 offset:5120
	s_wait_dscnt 0x0
	v_cmp_ne_u64_e64 s17, s[42:43], v[58:59]
	s_delay_alu instid0(VALU_DEP_1) | instskip(SKIP_2) | instid1(VALU_DEP_2)
	v_cndmask_b32_e64 v65, 0x80000000, v59, s17
	v_cndmask_b32_e64 v64, 0, v58, s17
	v_cmp_lt_i64_e64 s17, -1, v[58:59]
	v_lshrrev_b64 v[64:65], s48, v[64:65]
	v_ashrrev_i32_e32 v65, 31, v59
	s_delay_alu instid0(VALU_DEP_3) | instskip(NEXT) | instid1(VALU_DEP_2)
	v_cndmask_b32_e64 v66, 0x80000000, -1, s17
	v_not_b32_e32 v65, v65
	s_delay_alu instid0(VALU_DEP_4) | instskip(NEXT) | instid1(VALU_DEP_1)
	v_and_b32_e32 v64, s55, v64
	v_dual_lshlrev_b32 v64, 2, v64 :: v_dual_bitop2_b32 v59, v66, v59 bitop3:0x14
	ds_load_b32 v64, v64
	s_wait_dscnt 0x0
	v_dual_add_nc_u32 v64, v64, v99 :: v_dual_bitop2_b32 v58, v65, v58 bitop3:0x14
	global_store_b64 v64, v[58:59], s[38:39] scale_offset
	s_wait_xcnt 0x0
	s_or_b32 exec_lo, exec_lo, s18
	v_cmp_lt_u32_e64 s17, v100, v165
	s_and_saveexec_b32 s19, s17
	s_cbranch_execz .LBB1245_769
.LBB1245_837:                           ;   in Loop: Header=BB1245_687 Depth=2
	ds_load_b64 v[58:59], v123 offset:7168
	s_wait_dscnt 0x0
	v_cmp_ne_u64_e64 s18, s[42:43], v[58:59]
	s_delay_alu instid0(VALU_DEP_1) | instskip(SKIP_2) | instid1(VALU_DEP_2)
	v_cndmask_b32_e64 v65, 0x80000000, v59, s18
	v_cndmask_b32_e64 v64, 0, v58, s18
	v_cmp_lt_i64_e64 s18, -1, v[58:59]
	v_lshrrev_b64 v[64:65], s48, v[64:65]
	v_ashrrev_i32_e32 v65, 31, v59
	s_delay_alu instid0(VALU_DEP_3) | instskip(NEXT) | instid1(VALU_DEP_2)
	v_cndmask_b32_e64 v66, 0x80000000, -1, s18
	v_not_b32_e32 v65, v65
	s_delay_alu instid0(VALU_DEP_4) | instskip(NEXT) | instid1(VALU_DEP_1)
	v_and_b32_e32 v64, s55, v64
	v_dual_lshlrev_b32 v64, 2, v64 :: v_dual_bitop2_b32 v59, v66, v59 bitop3:0x14
	ds_load_b32 v64, v64
	s_wait_dscnt 0x0
	v_dual_add_nc_u32 v64, v64, v100 :: v_dual_bitop2_b32 v58, v65, v58 bitop3:0x14
	global_store_b64 v64, v[58:59], s[38:39] scale_offset
	s_wait_xcnt 0x0
	s_or_b32 exec_lo, exec_lo, s19
	v_cmp_lt_u32_e64 s18, v101, v165
	s_and_saveexec_b32 s20, s18
	s_cbranch_execz .LBB1245_770
.LBB1245_838:                           ;   in Loop: Header=BB1245_687 Depth=2
	ds_load_b64 v[58:59], v123 offset:9216
	s_wait_dscnt 0x0
	v_cmp_ne_u64_e64 s19, s[42:43], v[58:59]
	s_delay_alu instid0(VALU_DEP_1) | instskip(SKIP_2) | instid1(VALU_DEP_2)
	v_cndmask_b32_e64 v65, 0x80000000, v59, s19
	v_cndmask_b32_e64 v64, 0, v58, s19
	v_cmp_lt_i64_e64 s19, -1, v[58:59]
	v_lshrrev_b64 v[64:65], s48, v[64:65]
	v_ashrrev_i32_e32 v65, 31, v59
	s_delay_alu instid0(VALU_DEP_3) | instskip(NEXT) | instid1(VALU_DEP_2)
	v_cndmask_b32_e64 v66, 0x80000000, -1, s19
	v_not_b32_e32 v65, v65
	s_delay_alu instid0(VALU_DEP_4) | instskip(NEXT) | instid1(VALU_DEP_1)
	v_and_b32_e32 v64, s55, v64
	v_dual_lshlrev_b32 v64, 2, v64 :: v_dual_bitop2_b32 v59, v66, v59 bitop3:0x14
	ds_load_b32 v64, v64
	s_wait_dscnt 0x0
	v_dual_add_nc_u32 v64, v64, v101 :: v_dual_bitop2_b32 v58, v65, v58 bitop3:0x14
	global_store_b64 v64, v[58:59], s[38:39] scale_offset
	s_wait_xcnt 0x0
	s_or_b32 exec_lo, exec_lo, s20
	v_cmp_lt_u32_e64 s19, v102, v165
	s_and_saveexec_b32 s21, s19
	s_cbranch_execz .LBB1245_771
.LBB1245_839:                           ;   in Loop: Header=BB1245_687 Depth=2
	ds_load_b64 v[58:59], v123 offset:11264
	s_wait_dscnt 0x0
	v_cmp_ne_u64_e64 s20, s[42:43], v[58:59]
	s_delay_alu instid0(VALU_DEP_1) | instskip(SKIP_2) | instid1(VALU_DEP_2)
	v_cndmask_b32_e64 v65, 0x80000000, v59, s20
	v_cndmask_b32_e64 v64, 0, v58, s20
	v_cmp_lt_i64_e64 s20, -1, v[58:59]
	v_lshrrev_b64 v[64:65], s48, v[64:65]
	v_ashrrev_i32_e32 v65, 31, v59
	s_delay_alu instid0(VALU_DEP_3) | instskip(NEXT) | instid1(VALU_DEP_2)
	v_cndmask_b32_e64 v66, 0x80000000, -1, s20
	v_not_b32_e32 v65, v65
	s_delay_alu instid0(VALU_DEP_4) | instskip(NEXT) | instid1(VALU_DEP_3)
	v_and_b32_e32 v64, s55, v64
	v_xor_b32_e32 v59, v66, v59
	s_delay_alu instid0(VALU_DEP_2)
	v_dual_lshlrev_b32 v64, 2, v64 :: v_dual_bitop2_b32 v58, v65, v58 bitop3:0x14
	ds_load_b32 v64, v64
	s_wait_dscnt 0x0
	v_add_nc_u32_e32 v64, v64, v102
	global_store_b64 v64, v[58:59], s[38:39] scale_offset
	s_wait_xcnt 0x0
	s_or_b32 exec_lo, exec_lo, s21
	v_cmp_lt_u32_e64 s20, v103, v165
	s_and_saveexec_b32 s22, s20
	s_cbranch_execz .LBB1245_772
.LBB1245_840:                           ;   in Loop: Header=BB1245_687 Depth=2
	ds_load_b64 v[58:59], v123 offset:13312
	s_wait_dscnt 0x0
	v_cmp_ne_u64_e64 s21, s[42:43], v[58:59]
	s_delay_alu instid0(VALU_DEP_1) | instskip(SKIP_2) | instid1(VALU_DEP_2)
	v_cndmask_b32_e64 v65, 0x80000000, v59, s21
	v_cndmask_b32_e64 v64, 0, v58, s21
	v_cmp_lt_i64_e64 s21, -1, v[58:59]
	v_lshrrev_b64 v[64:65], s48, v[64:65]
	v_ashrrev_i32_e32 v65, 31, v59
	s_delay_alu instid0(VALU_DEP_3) | instskip(NEXT) | instid1(VALU_DEP_2)
	v_cndmask_b32_e64 v66, 0x80000000, -1, s21
	v_not_b32_e32 v65, v65
	s_delay_alu instid0(VALU_DEP_4) | instskip(NEXT) | instid1(VALU_DEP_1)
	v_and_b32_e32 v64, s55, v64
	v_dual_lshlrev_b32 v64, 2, v64 :: v_dual_bitop2_b32 v59, v66, v59 bitop3:0x14
	ds_load_b32 v64, v64
	s_wait_dscnt 0x0
	v_dual_add_nc_u32 v64, v64, v103 :: v_dual_bitop2_b32 v58, v65, v58 bitop3:0x14
	global_store_b64 v64, v[58:59], s[38:39] scale_offset
	s_wait_xcnt 0x0
	s_or_b32 exec_lo, exec_lo, s22
	v_cmp_lt_u32_e64 s21, v104, v165
	s_and_saveexec_b32 s23, s21
	s_cbranch_execz .LBB1245_773
.LBB1245_841:                           ;   in Loop: Header=BB1245_687 Depth=2
	ds_load_b64 v[58:59], v123 offset:15360
	s_wait_dscnt 0x0
	v_cmp_ne_u64_e64 s22, s[42:43], v[58:59]
	s_delay_alu instid0(VALU_DEP_1) | instskip(SKIP_2) | instid1(VALU_DEP_2)
	v_cndmask_b32_e64 v65, 0x80000000, v59, s22
	v_cndmask_b32_e64 v64, 0, v58, s22
	v_cmp_lt_i64_e64 s22, -1, v[58:59]
	v_lshrrev_b64 v[64:65], s48, v[64:65]
	v_ashrrev_i32_e32 v65, 31, v59
	s_delay_alu instid0(VALU_DEP_3) | instskip(NEXT) | instid1(VALU_DEP_2)
	v_cndmask_b32_e64 v66, 0x80000000, -1, s22
	v_not_b32_e32 v65, v65
	s_delay_alu instid0(VALU_DEP_4) | instskip(NEXT) | instid1(VALU_DEP_1)
	v_and_b32_e32 v64, s55, v64
	v_dual_lshlrev_b32 v64, 2, v64 :: v_dual_bitop2_b32 v59, v66, v59 bitop3:0x14
	ds_load_b32 v64, v64
	s_wait_dscnt 0x0
	v_dual_add_nc_u32 v64, v64, v104 :: v_dual_bitop2_b32 v58, v65, v58 bitop3:0x14
	global_store_b64 v64, v[58:59], s[38:39] scale_offset
	s_wait_xcnt 0x0
	s_or_b32 exec_lo, exec_lo, s23
	v_cmp_lt_u32_e64 s22, v105, v165
	s_and_saveexec_b32 s24, s22
	s_cbranch_execz .LBB1245_774
.LBB1245_842:                           ;   in Loop: Header=BB1245_687 Depth=2
	ds_load_b64 v[58:59], v123 offset:17408
	s_wait_dscnt 0x0
	v_cmp_ne_u64_e64 s23, s[42:43], v[58:59]
	s_delay_alu instid0(VALU_DEP_1) | instskip(SKIP_2) | instid1(VALU_DEP_2)
	v_cndmask_b32_e64 v65, 0x80000000, v59, s23
	v_cndmask_b32_e64 v64, 0, v58, s23
	v_cmp_lt_i64_e64 s23, -1, v[58:59]
	v_lshrrev_b64 v[64:65], s48, v[64:65]
	v_ashrrev_i32_e32 v65, 31, v59
	s_delay_alu instid0(VALU_DEP_3) | instskip(NEXT) | instid1(VALU_DEP_2)
	v_cndmask_b32_e64 v66, 0x80000000, -1, s23
	v_not_b32_e32 v65, v65
	s_delay_alu instid0(VALU_DEP_4) | instskip(NEXT) | instid1(VALU_DEP_1)
	v_and_b32_e32 v64, s55, v64
	v_dual_lshlrev_b32 v64, 2, v64 :: v_dual_bitop2_b32 v59, v66, v59 bitop3:0x14
	ds_load_b32 v64, v64
	s_wait_dscnt 0x0
	v_dual_add_nc_u32 v64, v64, v105 :: v_dual_bitop2_b32 v58, v65, v58 bitop3:0x14
	global_store_b64 v64, v[58:59], s[38:39] scale_offset
	s_wait_xcnt 0x0
	s_or_b32 exec_lo, exec_lo, s24
	v_cmp_lt_u32_e64 s23, v106, v165
	s_and_saveexec_b32 s25, s23
	s_cbranch_execz .LBB1245_775
.LBB1245_843:                           ;   in Loop: Header=BB1245_687 Depth=2
	ds_load_b64 v[58:59], v123 offset:19456
	s_wait_dscnt 0x0
	v_cmp_ne_u64_e64 s24, s[42:43], v[58:59]
	s_delay_alu instid0(VALU_DEP_1) | instskip(SKIP_2) | instid1(VALU_DEP_2)
	v_cndmask_b32_e64 v65, 0x80000000, v59, s24
	v_cndmask_b32_e64 v64, 0, v58, s24
	v_cmp_lt_i64_e64 s24, -1, v[58:59]
	v_lshrrev_b64 v[64:65], s48, v[64:65]
	v_ashrrev_i32_e32 v65, 31, v59
	s_delay_alu instid0(VALU_DEP_3) | instskip(NEXT) | instid1(VALU_DEP_2)
	v_cndmask_b32_e64 v66, 0x80000000, -1, s24
	v_not_b32_e32 v65, v65
	s_delay_alu instid0(VALU_DEP_4) | instskip(NEXT) | instid1(VALU_DEP_3)
	v_and_b32_e32 v64, s55, v64
	v_xor_b32_e32 v59, v66, v59
	s_delay_alu instid0(VALU_DEP_2)
	v_dual_lshlrev_b32 v64, 2, v64 :: v_dual_bitop2_b32 v58, v65, v58 bitop3:0x14
	ds_load_b32 v64, v64
	s_wait_dscnt 0x0
	v_add_nc_u32_e32 v64, v64, v106
	global_store_b64 v64, v[58:59], s[38:39] scale_offset
	s_wait_xcnt 0x0
	s_or_b32 exec_lo, exec_lo, s25
	v_cmp_lt_u32_e64 s24, v107, v165
	s_and_saveexec_b32 s26, s24
	s_cbranch_execz .LBB1245_776
.LBB1245_844:                           ;   in Loop: Header=BB1245_687 Depth=2
	ds_load_b64 v[58:59], v123 offset:21504
	s_wait_dscnt 0x0
	v_cmp_ne_u64_e64 s25, s[42:43], v[58:59]
	s_delay_alu instid0(VALU_DEP_1) | instskip(SKIP_2) | instid1(VALU_DEP_2)
	v_cndmask_b32_e64 v65, 0x80000000, v59, s25
	v_cndmask_b32_e64 v64, 0, v58, s25
	v_cmp_lt_i64_e64 s25, -1, v[58:59]
	v_lshrrev_b64 v[64:65], s48, v[64:65]
	v_ashrrev_i32_e32 v65, 31, v59
	s_delay_alu instid0(VALU_DEP_3) | instskip(NEXT) | instid1(VALU_DEP_2)
	v_cndmask_b32_e64 v66, 0x80000000, -1, s25
	v_not_b32_e32 v65, v65
	s_delay_alu instid0(VALU_DEP_4) | instskip(NEXT) | instid1(VALU_DEP_1)
	v_and_b32_e32 v64, s55, v64
	v_dual_lshlrev_b32 v64, 2, v64 :: v_dual_bitop2_b32 v59, v66, v59 bitop3:0x14
	ds_load_b32 v64, v64
	s_wait_dscnt 0x0
	v_dual_add_nc_u32 v64, v64, v107 :: v_dual_bitop2_b32 v58, v65, v58 bitop3:0x14
	global_store_b64 v64, v[58:59], s[38:39] scale_offset
	s_wait_xcnt 0x0
	s_or_b32 exec_lo, exec_lo, s26
	v_cmp_lt_u32_e64 s25, v108, v165
	s_and_saveexec_b32 s27, s25
	s_cbranch_execz .LBB1245_777
.LBB1245_845:                           ;   in Loop: Header=BB1245_687 Depth=2
	ds_load_b64 v[58:59], v123 offset:23552
	s_wait_dscnt 0x0
	v_cmp_ne_u64_e64 s26, s[42:43], v[58:59]
	s_delay_alu instid0(VALU_DEP_1) | instskip(SKIP_2) | instid1(VALU_DEP_2)
	v_cndmask_b32_e64 v65, 0x80000000, v59, s26
	v_cndmask_b32_e64 v64, 0, v58, s26
	v_cmp_lt_i64_e64 s26, -1, v[58:59]
	v_lshrrev_b64 v[64:65], s48, v[64:65]
	v_ashrrev_i32_e32 v65, 31, v59
	s_delay_alu instid0(VALU_DEP_3) | instskip(NEXT) | instid1(VALU_DEP_2)
	v_cndmask_b32_e64 v66, 0x80000000, -1, s26
	v_not_b32_e32 v65, v65
	s_delay_alu instid0(VALU_DEP_4) | instskip(NEXT) | instid1(VALU_DEP_1)
	v_and_b32_e32 v64, s55, v64
	v_dual_lshlrev_b32 v64, 2, v64 :: v_dual_bitop2_b32 v59, v66, v59 bitop3:0x14
	ds_load_b32 v64, v64
	s_wait_dscnt 0x0
	v_dual_add_nc_u32 v64, v64, v108 :: v_dual_bitop2_b32 v58, v65, v58 bitop3:0x14
	global_store_b64 v64, v[58:59], s[38:39] scale_offset
	s_wait_xcnt 0x0
	s_or_b32 exec_lo, exec_lo, s27
	v_cmp_lt_u32_e64 s26, v109, v165
	s_and_saveexec_b32 s28, s26
	s_cbranch_execz .LBB1245_778
.LBB1245_846:                           ;   in Loop: Header=BB1245_687 Depth=2
	ds_load_b64 v[58:59], v123 offset:25600
	s_wait_dscnt 0x0
	v_cmp_ne_u64_e64 s27, s[42:43], v[58:59]
	s_delay_alu instid0(VALU_DEP_1) | instskip(SKIP_2) | instid1(VALU_DEP_2)
	v_cndmask_b32_e64 v65, 0x80000000, v59, s27
	v_cndmask_b32_e64 v64, 0, v58, s27
	v_cmp_lt_i64_e64 s27, -1, v[58:59]
	v_lshrrev_b64 v[64:65], s48, v[64:65]
	v_ashrrev_i32_e32 v65, 31, v59
	s_delay_alu instid0(VALU_DEP_3) | instskip(NEXT) | instid1(VALU_DEP_2)
	v_cndmask_b32_e64 v66, 0x80000000, -1, s27
	v_not_b32_e32 v65, v65
	s_delay_alu instid0(VALU_DEP_4) | instskip(NEXT) | instid1(VALU_DEP_1)
	v_and_b32_e32 v64, s55, v64
	v_dual_lshlrev_b32 v64, 2, v64 :: v_dual_bitop2_b32 v59, v66, v59 bitop3:0x14
	ds_load_b32 v64, v64
	s_wait_dscnt 0x0
	v_dual_add_nc_u32 v64, v64, v109 :: v_dual_bitop2_b32 v58, v65, v58 bitop3:0x14
	global_store_b64 v64, v[58:59], s[38:39] scale_offset
	s_wait_xcnt 0x0
	s_or_b32 exec_lo, exec_lo, s28
	v_cmp_lt_u32_e64 s27, v110, v165
	s_and_saveexec_b32 s29, s27
	s_cbranch_execz .LBB1245_779
.LBB1245_847:                           ;   in Loop: Header=BB1245_687 Depth=2
	ds_load_b64 v[58:59], v123 offset:27648
	s_wait_dscnt 0x0
	v_cmp_ne_u64_e64 s28, s[42:43], v[58:59]
	s_delay_alu instid0(VALU_DEP_1) | instskip(SKIP_2) | instid1(VALU_DEP_2)
	v_cndmask_b32_e64 v65, 0x80000000, v59, s28
	v_cndmask_b32_e64 v64, 0, v58, s28
	v_cmp_lt_i64_e64 s28, -1, v[58:59]
	v_lshrrev_b64 v[64:65], s48, v[64:65]
	v_ashrrev_i32_e32 v65, 31, v59
	s_delay_alu instid0(VALU_DEP_3) | instskip(NEXT) | instid1(VALU_DEP_2)
	v_cndmask_b32_e64 v66, 0x80000000, -1, s28
	v_not_b32_e32 v65, v65
	s_delay_alu instid0(VALU_DEP_4) | instskip(NEXT) | instid1(VALU_DEP_3)
	v_and_b32_e32 v64, s55, v64
	v_xor_b32_e32 v59, v66, v59
	s_delay_alu instid0(VALU_DEP_2)
	v_dual_lshlrev_b32 v64, 2, v64 :: v_dual_bitop2_b32 v58, v65, v58 bitop3:0x14
	ds_load_b32 v64, v64
	s_wait_dscnt 0x0
	v_add_nc_u32_e32 v64, v64, v110
	global_store_b64 v64, v[58:59], s[38:39] scale_offset
	s_wait_xcnt 0x0
	s_or_b32 exec_lo, exec_lo, s29
	v_cmp_lt_u32_e64 s28, v111, v165
	s_and_saveexec_b32 s30, s28
	s_cbranch_execz .LBB1245_780
.LBB1245_848:                           ;   in Loop: Header=BB1245_687 Depth=2
	ds_load_b64 v[58:59], v123 offset:29696
	s_wait_dscnt 0x0
	v_cmp_ne_u64_e64 s29, s[42:43], v[58:59]
	s_delay_alu instid0(VALU_DEP_1) | instskip(SKIP_2) | instid1(VALU_DEP_2)
	v_cndmask_b32_e64 v65, 0x80000000, v59, s29
	v_cndmask_b32_e64 v64, 0, v58, s29
	v_cmp_lt_i64_e64 s29, -1, v[58:59]
	v_lshrrev_b64 v[64:65], s48, v[64:65]
	v_ashrrev_i32_e32 v65, 31, v59
	s_delay_alu instid0(VALU_DEP_3) | instskip(NEXT) | instid1(VALU_DEP_2)
	v_cndmask_b32_e64 v66, 0x80000000, -1, s29
	v_not_b32_e32 v65, v65
	s_delay_alu instid0(VALU_DEP_4) | instskip(NEXT) | instid1(VALU_DEP_1)
	v_and_b32_e32 v64, s55, v64
	v_dual_lshlrev_b32 v64, 2, v64 :: v_dual_bitop2_b32 v59, v66, v59 bitop3:0x14
	ds_load_b32 v64, v64
	s_wait_dscnt 0x0
	v_dual_add_nc_u32 v64, v64, v111 :: v_dual_bitop2_b32 v58, v65, v58 bitop3:0x14
	global_store_b64 v64, v[58:59], s[38:39] scale_offset
	s_wait_xcnt 0x0
	s_or_b32 exec_lo, exec_lo, s30
	v_cmp_lt_u32_e64 s29, v112, v165
	s_and_saveexec_b32 s61, s29
	s_cbranch_execnz .LBB1245_781
	s_branch .LBB1245_782
.LBB1245_849:                           ;   in Loop: Header=BB1245_687 Depth=2
	global_load_b64 v[56:57], v[58:59], off
	s_wait_xcnt 0x0
	s_or_b32 exec_lo, exec_lo, s30
	s_delay_alu instid0(SALU_CYCLE_1)
	s_mov_b32 s34, exec_lo
	v_cmpx_lt_u32_e64 v132, v165
	s_cbranch_execz .LBB1245_784
.LBB1245_850:                           ;   in Loop: Header=BB1245_687 Depth=2
	global_load_b64 v[54:55], v[58:59], off offset:256
	s_wait_xcnt 0x0
	s_or_b32 exec_lo, exec_lo, s34
	s_delay_alu instid0(SALU_CYCLE_1)
	s_mov_b32 s34, exec_lo
	v_cmpx_lt_u32_e64 v133, v165
	s_cbranch_execz .LBB1245_785
.LBB1245_851:                           ;   in Loop: Header=BB1245_687 Depth=2
	global_load_b64 v[52:53], v[58:59], off offset:512
	s_wait_xcnt 0x0
	s_or_b32 exec_lo, exec_lo, s34
	s_delay_alu instid0(SALU_CYCLE_1)
	s_mov_b32 s34, exec_lo
	v_cmpx_lt_u32_e64 v134, v165
	s_cbranch_execz .LBB1245_786
.LBB1245_852:                           ;   in Loop: Header=BB1245_687 Depth=2
	global_load_b64 v[50:51], v[58:59], off offset:768
	s_wait_xcnt 0x0
	s_or_b32 exec_lo, exec_lo, s34
	s_delay_alu instid0(SALU_CYCLE_1)
	s_mov_b32 s34, exec_lo
	v_cmpx_lt_u32_e64 v135, v165
	s_cbranch_execz .LBB1245_787
.LBB1245_853:                           ;   in Loop: Header=BB1245_687 Depth=2
	global_load_b64 v[48:49], v[58:59], off offset:1024
	s_wait_xcnt 0x0
	s_or_b32 exec_lo, exec_lo, s34
	s_delay_alu instid0(SALU_CYCLE_1)
	s_mov_b32 s34, exec_lo
	v_cmpx_lt_u32_e64 v136, v165
	s_cbranch_execz .LBB1245_788
.LBB1245_854:                           ;   in Loop: Header=BB1245_687 Depth=2
	global_load_b64 v[46:47], v[58:59], off offset:1280
	s_wait_xcnt 0x0
	s_or_b32 exec_lo, exec_lo, s34
	s_delay_alu instid0(SALU_CYCLE_1)
	s_mov_b32 s34, exec_lo
	v_cmpx_lt_u32_e64 v137, v165
	s_cbranch_execz .LBB1245_789
.LBB1245_855:                           ;   in Loop: Header=BB1245_687 Depth=2
	global_load_b64 v[44:45], v[58:59], off offset:1536
	s_wait_xcnt 0x0
	s_or_b32 exec_lo, exec_lo, s34
	s_delay_alu instid0(SALU_CYCLE_1)
	s_mov_b32 s34, exec_lo
	v_cmpx_lt_u32_e64 v138, v165
	s_cbranch_execz .LBB1245_790
.LBB1245_856:                           ;   in Loop: Header=BB1245_687 Depth=2
	global_load_b64 v[42:43], v[58:59], off offset:1792
	s_wait_xcnt 0x0
	s_or_b32 exec_lo, exec_lo, s34
	s_delay_alu instid0(SALU_CYCLE_1)
	s_mov_b32 s34, exec_lo
	v_cmpx_lt_u32_e64 v139, v165
	s_cbranch_execz .LBB1245_791
.LBB1245_857:                           ;   in Loop: Header=BB1245_687 Depth=2
	global_load_b64 v[40:41], v[58:59], off offset:2048
	s_wait_xcnt 0x0
	s_or_b32 exec_lo, exec_lo, s34
	s_delay_alu instid0(SALU_CYCLE_1)
	s_mov_b32 s34, exec_lo
	v_cmpx_lt_u32_e64 v140, v165
	s_cbranch_execz .LBB1245_792
.LBB1245_858:                           ;   in Loop: Header=BB1245_687 Depth=2
	global_load_b64 v[38:39], v[58:59], off offset:2304
	s_wait_xcnt 0x0
	s_or_b32 exec_lo, exec_lo, s34
	s_delay_alu instid0(SALU_CYCLE_1)
	s_mov_b32 s34, exec_lo
	v_cmpx_lt_u32_e64 v141, v165
	s_cbranch_execz .LBB1245_793
.LBB1245_859:                           ;   in Loop: Header=BB1245_687 Depth=2
	global_load_b64 v[36:37], v[58:59], off offset:2560
	s_wait_xcnt 0x0
	s_or_b32 exec_lo, exec_lo, s34
	s_delay_alu instid0(SALU_CYCLE_1)
	s_mov_b32 s34, exec_lo
	v_cmpx_lt_u32_e64 v142, v165
	s_cbranch_execz .LBB1245_794
.LBB1245_860:                           ;   in Loop: Header=BB1245_687 Depth=2
	global_load_b64 v[34:35], v[58:59], off offset:2816
	s_wait_xcnt 0x0
	s_or_b32 exec_lo, exec_lo, s34
	s_delay_alu instid0(SALU_CYCLE_1)
	s_mov_b32 s34, exec_lo
	v_cmpx_lt_u32_e64 v143, v165
	s_cbranch_execz .LBB1245_795
.LBB1245_861:                           ;   in Loop: Header=BB1245_687 Depth=2
	global_load_b64 v[32:33], v[58:59], off offset:3072
	s_wait_xcnt 0x0
	s_or_b32 exec_lo, exec_lo, s34
	s_delay_alu instid0(SALU_CYCLE_1)
	s_mov_b32 s34, exec_lo
	v_cmpx_lt_u32_e64 v144, v165
	s_cbranch_execz .LBB1245_796
.LBB1245_862:                           ;   in Loop: Header=BB1245_687 Depth=2
	global_load_b64 v[30:31], v[58:59], off offset:3328
	s_wait_xcnt 0x0
	s_or_b32 exec_lo, exec_lo, s34
	s_delay_alu instid0(SALU_CYCLE_1)
	s_mov_b32 s34, exec_lo
	v_cmpx_lt_u32_e64 v145, v165
	s_cbranch_execz .LBB1245_797
.LBB1245_863:                           ;   in Loop: Header=BB1245_687 Depth=2
	global_load_b64 v[28:29], v[58:59], off offset:3584
	s_wait_xcnt 0x0
	s_or_b32 exec_lo, exec_lo, s34
	s_delay_alu instid0(SALU_CYCLE_1)
	s_mov_b32 s34, exec_lo
	v_cmpx_lt_u32_e64 v146, v165
	s_cbranch_execz .LBB1245_798
.LBB1245_864:                           ;   in Loop: Header=BB1245_687 Depth=2
	global_load_b64 v[26:27], v[58:59], off offset:3840
	s_wait_xcnt 0x0
	s_or_b32 exec_lo, exec_lo, s34
	s_and_saveexec_b32 s34, vcc_lo
	s_cbranch_execz .LBB1245_799
.LBB1245_865:                           ;   in Loop: Header=BB1245_687 Depth=2
	ds_load_b64 v[58:59], v123 offset:1024
	s_wait_dscnt 0x0
	v_cmp_ne_u64_e64 s30, s[42:43], v[58:59]
	s_delay_alu instid0(VALU_DEP_1) | instskip(SKIP_1) | instid1(VALU_DEP_1)
	v_cndmask_b32_e64 v59, 0x80000000, v59, s30
	v_cndmask_b32_e64 v58, 0, v58, s30
	v_lshrrev_b64 v[58:59], s48, v[58:59]
	s_delay_alu instid0(VALU_DEP_1)
	v_and_b32_e32 v164, s55, v58
	s_or_b32 exec_lo, exec_lo, s34
	s_and_saveexec_b32 s34, s15
	s_cbranch_execz .LBB1245_800
.LBB1245_866:                           ;   in Loop: Header=BB1245_687 Depth=2
	ds_load_b64 v[58:59], v123 offset:3072
	s_wait_dscnt 0x0
	v_cmp_ne_u64_e64 s30, s[42:43], v[58:59]
	s_delay_alu instid0(VALU_DEP_1) | instskip(SKIP_1) | instid1(VALU_DEP_1)
	v_cndmask_b32_e64 v59, 0x80000000, v59, s30
	v_cndmask_b32_e64 v58, 0, v58, s30
	v_lshrrev_b64 v[58:59], s48, v[58:59]
	s_delay_alu instid0(VALU_DEP_1)
	v_and_b32_e32 v163, s55, v58
	s_or_b32 exec_lo, exec_lo, s34
	s_and_saveexec_b32 s34, s16
	s_cbranch_execz .LBB1245_801
.LBB1245_867:                           ;   in Loop: Header=BB1245_687 Depth=2
	ds_load_b64 v[58:59], v123 offset:5120
	s_wait_dscnt 0x0
	v_cmp_ne_u64_e64 s30, s[42:43], v[58:59]
	s_delay_alu instid0(VALU_DEP_1) | instskip(SKIP_1) | instid1(VALU_DEP_1)
	v_cndmask_b32_e64 v59, 0x80000000, v59, s30
	v_cndmask_b32_e64 v58, 0, v58, s30
	v_lshrrev_b64 v[58:59], s48, v[58:59]
	s_delay_alu instid0(VALU_DEP_1)
	v_and_b32_e32 v162, s55, v58
	s_or_b32 exec_lo, exec_lo, s34
	s_and_saveexec_b32 s34, s17
	s_cbranch_execz .LBB1245_802
.LBB1245_868:                           ;   in Loop: Header=BB1245_687 Depth=2
	ds_load_b64 v[58:59], v123 offset:7168
	s_wait_dscnt 0x0
	v_cmp_ne_u64_e64 s30, s[42:43], v[58:59]
	s_delay_alu instid0(VALU_DEP_1) | instskip(SKIP_1) | instid1(VALU_DEP_1)
	v_cndmask_b32_e64 v59, 0x80000000, v59, s30
	v_cndmask_b32_e64 v58, 0, v58, s30
	v_lshrrev_b64 v[58:59], s48, v[58:59]
	s_delay_alu instid0(VALU_DEP_1)
	v_and_b32_e32 v161, s55, v58
	s_or_b32 exec_lo, exec_lo, s34
	s_and_saveexec_b32 s34, s18
	s_cbranch_execz .LBB1245_803
.LBB1245_869:                           ;   in Loop: Header=BB1245_687 Depth=2
	ds_load_b64 v[58:59], v123 offset:9216
	s_wait_dscnt 0x0
	v_cmp_ne_u64_e64 s30, s[42:43], v[58:59]
	s_delay_alu instid0(VALU_DEP_1) | instskip(SKIP_1) | instid1(VALU_DEP_1)
	v_cndmask_b32_e64 v59, 0x80000000, v59, s30
	v_cndmask_b32_e64 v58, 0, v58, s30
	v_lshrrev_b64 v[58:59], s48, v[58:59]
	s_delay_alu instid0(VALU_DEP_1)
	v_and_b32_e32 v160, s55, v58
	s_or_b32 exec_lo, exec_lo, s34
	s_and_saveexec_b32 s34, s19
	s_cbranch_execz .LBB1245_804
.LBB1245_870:                           ;   in Loop: Header=BB1245_687 Depth=2
	ds_load_b64 v[58:59], v123 offset:11264
	s_wait_dscnt 0x0
	v_cmp_ne_u64_e64 s30, s[42:43], v[58:59]
	s_delay_alu instid0(VALU_DEP_1) | instskip(SKIP_1) | instid1(VALU_DEP_1)
	v_cndmask_b32_e64 v59, 0x80000000, v59, s30
	v_cndmask_b32_e64 v58, 0, v58, s30
	v_lshrrev_b64 v[58:59], s48, v[58:59]
	s_delay_alu instid0(VALU_DEP_1)
	v_and_b32_e32 v159, s55, v58
	s_or_b32 exec_lo, exec_lo, s34
	s_and_saveexec_b32 s34, s20
	s_cbranch_execz .LBB1245_805
.LBB1245_871:                           ;   in Loop: Header=BB1245_687 Depth=2
	ds_load_b64 v[58:59], v123 offset:13312
	s_wait_dscnt 0x0
	v_cmp_ne_u64_e64 s30, s[42:43], v[58:59]
	s_delay_alu instid0(VALU_DEP_1) | instskip(SKIP_1) | instid1(VALU_DEP_1)
	v_cndmask_b32_e64 v59, 0x80000000, v59, s30
	v_cndmask_b32_e64 v58, 0, v58, s30
	v_lshrrev_b64 v[58:59], s48, v[58:59]
	s_delay_alu instid0(VALU_DEP_1)
	v_and_b32_e32 v158, s55, v58
	s_or_b32 exec_lo, exec_lo, s34
	s_and_saveexec_b32 s34, s21
	s_cbranch_execz .LBB1245_806
.LBB1245_872:                           ;   in Loop: Header=BB1245_687 Depth=2
	ds_load_b64 v[58:59], v123 offset:15360
	s_wait_dscnt 0x0
	v_cmp_ne_u64_e64 s30, s[42:43], v[58:59]
	s_delay_alu instid0(VALU_DEP_1) | instskip(SKIP_1) | instid1(VALU_DEP_1)
	v_cndmask_b32_e64 v59, 0x80000000, v59, s30
	v_cndmask_b32_e64 v58, 0, v58, s30
	v_lshrrev_b64 v[58:59], s48, v[58:59]
	s_delay_alu instid0(VALU_DEP_1)
	v_and_b32_e32 v157, s55, v58
	s_or_b32 exec_lo, exec_lo, s34
	s_and_saveexec_b32 s34, s22
	s_cbranch_execz .LBB1245_807
.LBB1245_873:                           ;   in Loop: Header=BB1245_687 Depth=2
	ds_load_b64 v[58:59], v123 offset:17408
	s_wait_dscnt 0x0
	v_cmp_ne_u64_e64 s30, s[42:43], v[58:59]
	s_delay_alu instid0(VALU_DEP_1) | instskip(SKIP_1) | instid1(VALU_DEP_1)
	v_cndmask_b32_e64 v59, 0x80000000, v59, s30
	v_cndmask_b32_e64 v58, 0, v58, s30
	v_lshrrev_b64 v[58:59], s48, v[58:59]
	s_delay_alu instid0(VALU_DEP_1)
	v_and_b32_e32 v156, s55, v58
	s_or_b32 exec_lo, exec_lo, s34
	s_and_saveexec_b32 s34, s23
	s_cbranch_execz .LBB1245_808
.LBB1245_874:                           ;   in Loop: Header=BB1245_687 Depth=2
	ds_load_b64 v[58:59], v123 offset:19456
	s_wait_dscnt 0x0
	v_cmp_ne_u64_e64 s30, s[42:43], v[58:59]
	s_delay_alu instid0(VALU_DEP_1) | instskip(SKIP_1) | instid1(VALU_DEP_1)
	v_cndmask_b32_e64 v59, 0x80000000, v59, s30
	v_cndmask_b32_e64 v58, 0, v58, s30
	v_lshrrev_b64 v[58:59], s48, v[58:59]
	s_delay_alu instid0(VALU_DEP_1)
	v_and_b32_e32 v155, s55, v58
	s_or_b32 exec_lo, exec_lo, s34
	s_and_saveexec_b32 s34, s24
	s_cbranch_execz .LBB1245_809
.LBB1245_875:                           ;   in Loop: Header=BB1245_687 Depth=2
	ds_load_b64 v[58:59], v123 offset:21504
	s_wait_dscnt 0x0
	v_cmp_ne_u64_e64 s30, s[42:43], v[58:59]
	s_delay_alu instid0(VALU_DEP_1) | instskip(SKIP_1) | instid1(VALU_DEP_1)
	v_cndmask_b32_e64 v59, 0x80000000, v59, s30
	v_cndmask_b32_e64 v58, 0, v58, s30
	v_lshrrev_b64 v[58:59], s48, v[58:59]
	s_delay_alu instid0(VALU_DEP_1)
	v_and_b32_e32 v154, s55, v58
	s_or_b32 exec_lo, exec_lo, s34
	s_and_saveexec_b32 s34, s25
	s_cbranch_execz .LBB1245_810
.LBB1245_876:                           ;   in Loop: Header=BB1245_687 Depth=2
	ds_load_b64 v[58:59], v123 offset:23552
	s_wait_dscnt 0x0
	v_cmp_ne_u64_e64 s30, s[42:43], v[58:59]
	s_delay_alu instid0(VALU_DEP_1) | instskip(SKIP_1) | instid1(VALU_DEP_1)
	v_cndmask_b32_e64 v59, 0x80000000, v59, s30
	v_cndmask_b32_e64 v58, 0, v58, s30
	v_lshrrev_b64 v[58:59], s48, v[58:59]
	s_delay_alu instid0(VALU_DEP_1)
	v_and_b32_e32 v153, s55, v58
	s_or_b32 exec_lo, exec_lo, s34
	s_and_saveexec_b32 s34, s26
	s_cbranch_execz .LBB1245_811
.LBB1245_877:                           ;   in Loop: Header=BB1245_687 Depth=2
	ds_load_b64 v[58:59], v123 offset:25600
	s_wait_dscnt 0x0
	v_cmp_ne_u64_e64 s30, s[42:43], v[58:59]
	s_delay_alu instid0(VALU_DEP_1) | instskip(SKIP_1) | instid1(VALU_DEP_1)
	v_cndmask_b32_e64 v59, 0x80000000, v59, s30
	v_cndmask_b32_e64 v58, 0, v58, s30
	v_lshrrev_b64 v[58:59], s48, v[58:59]
	s_delay_alu instid0(VALU_DEP_1)
	v_and_b32_e32 v152, s55, v58
	s_or_b32 exec_lo, exec_lo, s34
	s_and_saveexec_b32 s34, s27
	s_cbranch_execz .LBB1245_812
.LBB1245_878:                           ;   in Loop: Header=BB1245_687 Depth=2
	ds_load_b64 v[58:59], v123 offset:27648
	s_wait_dscnt 0x0
	v_cmp_ne_u64_e64 s30, s[42:43], v[58:59]
	s_delay_alu instid0(VALU_DEP_1) | instskip(SKIP_1) | instid1(VALU_DEP_1)
	v_cndmask_b32_e64 v59, 0x80000000, v59, s30
	v_cndmask_b32_e64 v58, 0, v58, s30
	v_lshrrev_b64 v[58:59], s48, v[58:59]
	s_delay_alu instid0(VALU_DEP_1)
	v_and_b32_e32 v151, s55, v58
	s_or_b32 exec_lo, exec_lo, s34
	s_and_saveexec_b32 s34, s28
	s_cbranch_execz .LBB1245_813
.LBB1245_879:                           ;   in Loop: Header=BB1245_687 Depth=2
	ds_load_b64 v[58:59], v123 offset:29696
	s_wait_dscnt 0x0
	v_cmp_ne_u64_e64 s30, s[42:43], v[58:59]
	s_delay_alu instid0(VALU_DEP_1) | instskip(SKIP_1) | instid1(VALU_DEP_1)
	v_cndmask_b32_e64 v59, 0x80000000, v59, s30
	v_cndmask_b32_e64 v58, 0, v58, s30
	v_lshrrev_b64 v[58:59], s48, v[58:59]
	s_delay_alu instid0(VALU_DEP_1)
	v_and_b32_e32 v150, s55, v58
	s_or_b32 exec_lo, exec_lo, s34
	s_and_saveexec_b32 s34, s29
	s_cbranch_execnz .LBB1245_814
	s_branch .LBB1245_815
.LBB1245_880:                           ;   in Loop: Header=BB1245_687 Depth=2
	v_lshlrev_b32_e32 v58, 2, v164
	ds_load_b32 v60, v58
	ds_load_b64 v[58:59], v123 offset:1024
	s_wait_dscnt 0x1
	v_add_nc_u32_e32 v60, v60, v2
	s_wait_dscnt 0x0
	global_store_b64 v60, v[58:59], s[44:45] scale_offset
	s_wait_xcnt 0x0
	s_or_b32 exec_lo, exec_lo, s30
	s_and_saveexec_b32 s30, s15
	s_cbranch_execz .LBB1245_817
.LBB1245_881:                           ;   in Loop: Header=BB1245_687 Depth=2
	v_lshlrev_b32_e32 v58, 2, v163
	ds_load_b32 v60, v58
	ds_load_b64 v[58:59], v123 offset:3072
	s_wait_dscnt 0x1
	v_add_nc_u32_e32 v60, v60, v98
	s_wait_dscnt 0x0
	global_store_b64 v60, v[58:59], s[44:45] scale_offset
	s_wait_xcnt 0x0
	s_or_b32 exec_lo, exec_lo, s30
	s_and_saveexec_b32 s15, s16
	s_cbranch_execz .LBB1245_818
.LBB1245_882:                           ;   in Loop: Header=BB1245_687 Depth=2
	v_lshlrev_b32_e32 v58, 2, v162
	ds_load_b32 v60, v58
	ds_load_b64 v[58:59], v123 offset:5120
	s_wait_dscnt 0x1
	v_add_nc_u32_e32 v60, v60, v99
	s_wait_dscnt 0x0
	global_store_b64 v60, v[58:59], s[44:45] scale_offset
	s_wait_xcnt 0x0
	s_or_b32 exec_lo, exec_lo, s15
	s_and_saveexec_b32 s15, s17
	s_cbranch_execz .LBB1245_819
.LBB1245_883:                           ;   in Loop: Header=BB1245_687 Depth=2
	v_lshlrev_b32_e32 v58, 2, v161
	ds_load_b32 v60, v58
	ds_load_b64 v[58:59], v123 offset:7168
	s_wait_dscnt 0x1
	v_add_nc_u32_e32 v60, v60, v100
	s_wait_dscnt 0x0
	global_store_b64 v60, v[58:59], s[44:45] scale_offset
	s_wait_xcnt 0x0
	s_or_b32 exec_lo, exec_lo, s15
	s_and_saveexec_b32 s15, s18
	s_cbranch_execz .LBB1245_820
.LBB1245_884:                           ;   in Loop: Header=BB1245_687 Depth=2
	v_lshlrev_b32_e32 v58, 2, v160
	ds_load_b32 v60, v58
	ds_load_b64 v[58:59], v123 offset:9216
	s_wait_dscnt 0x1
	v_add_nc_u32_e32 v60, v60, v101
	s_wait_dscnt 0x0
	global_store_b64 v60, v[58:59], s[44:45] scale_offset
	s_wait_xcnt 0x0
	s_or_b32 exec_lo, exec_lo, s15
	s_and_saveexec_b32 s15, s19
	s_cbranch_execz .LBB1245_821
.LBB1245_885:                           ;   in Loop: Header=BB1245_687 Depth=2
	v_lshlrev_b32_e32 v58, 2, v159
	ds_load_b32 v60, v58
	ds_load_b64 v[58:59], v123 offset:11264
	s_wait_dscnt 0x1
	v_add_nc_u32_e32 v60, v60, v102
	s_wait_dscnt 0x0
	global_store_b64 v60, v[58:59], s[44:45] scale_offset
	s_wait_xcnt 0x0
	s_or_b32 exec_lo, exec_lo, s15
	s_and_saveexec_b32 s15, s20
	s_cbranch_execz .LBB1245_822
.LBB1245_886:                           ;   in Loop: Header=BB1245_687 Depth=2
	v_lshlrev_b32_e32 v58, 2, v158
	ds_load_b32 v60, v58
	ds_load_b64 v[58:59], v123 offset:13312
	s_wait_dscnt 0x1
	v_add_nc_u32_e32 v60, v60, v103
	s_wait_dscnt 0x0
	global_store_b64 v60, v[58:59], s[44:45] scale_offset
	s_wait_xcnt 0x0
	s_or_b32 exec_lo, exec_lo, s15
	s_and_saveexec_b32 s15, s21
	s_cbranch_execz .LBB1245_823
.LBB1245_887:                           ;   in Loop: Header=BB1245_687 Depth=2
	v_lshlrev_b32_e32 v58, 2, v157
	ds_load_b32 v60, v58
	ds_load_b64 v[58:59], v123 offset:15360
	s_wait_dscnt 0x1
	v_add_nc_u32_e32 v60, v60, v104
	s_wait_dscnt 0x0
	global_store_b64 v60, v[58:59], s[44:45] scale_offset
	s_wait_xcnt 0x0
	s_or_b32 exec_lo, exec_lo, s15
	s_and_saveexec_b32 s15, s22
	s_cbranch_execz .LBB1245_824
.LBB1245_888:                           ;   in Loop: Header=BB1245_687 Depth=2
	v_lshlrev_b32_e32 v58, 2, v156
	ds_load_b32 v60, v58
	ds_load_b64 v[58:59], v123 offset:17408
	s_wait_dscnt 0x1
	v_add_nc_u32_e32 v60, v60, v105
	s_wait_dscnt 0x0
	global_store_b64 v60, v[58:59], s[44:45] scale_offset
	s_wait_xcnt 0x0
	s_or_b32 exec_lo, exec_lo, s15
	s_and_saveexec_b32 s15, s23
	s_cbranch_execz .LBB1245_825
.LBB1245_889:                           ;   in Loop: Header=BB1245_687 Depth=2
	v_lshlrev_b32_e32 v58, 2, v155
	ds_load_b32 v60, v58
	ds_load_b64 v[58:59], v123 offset:19456
	s_wait_dscnt 0x1
	v_add_nc_u32_e32 v60, v60, v106
	s_wait_dscnt 0x0
	global_store_b64 v60, v[58:59], s[44:45] scale_offset
	s_wait_xcnt 0x0
	s_or_b32 exec_lo, exec_lo, s15
	s_and_saveexec_b32 s15, s24
	s_cbranch_execz .LBB1245_826
.LBB1245_890:                           ;   in Loop: Header=BB1245_687 Depth=2
	v_lshlrev_b32_e32 v58, 2, v154
	ds_load_b32 v60, v58
	ds_load_b64 v[58:59], v123 offset:21504
	s_wait_dscnt 0x1
	v_add_nc_u32_e32 v60, v60, v107
	s_wait_dscnt 0x0
	global_store_b64 v60, v[58:59], s[44:45] scale_offset
	s_wait_xcnt 0x0
	s_or_b32 exec_lo, exec_lo, s15
	s_and_saveexec_b32 s15, s25
	s_cbranch_execz .LBB1245_827
.LBB1245_891:                           ;   in Loop: Header=BB1245_687 Depth=2
	v_lshlrev_b32_e32 v58, 2, v153
	ds_load_b32 v60, v58
	ds_load_b64 v[58:59], v123 offset:23552
	s_wait_dscnt 0x1
	v_add_nc_u32_e32 v60, v60, v108
	s_wait_dscnt 0x0
	global_store_b64 v60, v[58:59], s[44:45] scale_offset
	s_wait_xcnt 0x0
	s_or_b32 exec_lo, exec_lo, s15
	s_and_saveexec_b32 s15, s26
	s_cbranch_execz .LBB1245_828
.LBB1245_892:                           ;   in Loop: Header=BB1245_687 Depth=2
	v_lshlrev_b32_e32 v58, 2, v152
	ds_load_b32 v60, v58
	ds_load_b64 v[58:59], v123 offset:25600
	s_wait_dscnt 0x1
	v_add_nc_u32_e32 v60, v60, v109
	s_wait_dscnt 0x0
	global_store_b64 v60, v[58:59], s[44:45] scale_offset
	s_wait_xcnt 0x0
	s_or_b32 exec_lo, exec_lo, s15
	s_and_saveexec_b32 s15, s27
	s_cbranch_execz .LBB1245_829
.LBB1245_893:                           ;   in Loop: Header=BB1245_687 Depth=2
	v_lshlrev_b32_e32 v58, 2, v151
	ds_load_b32 v60, v58
	ds_load_b64 v[58:59], v123 offset:27648
	s_wait_dscnt 0x1
	v_add_nc_u32_e32 v60, v60, v110
	s_wait_dscnt 0x0
	global_store_b64 v60, v[58:59], s[44:45] scale_offset
	s_wait_xcnt 0x0
	s_or_b32 exec_lo, exec_lo, s15
	s_and_saveexec_b32 s15, s28
	s_cbranch_execz .LBB1245_830
.LBB1245_894:                           ;   in Loop: Header=BB1245_687 Depth=2
	v_lshlrev_b32_e32 v58, 2, v150
	ds_load_b32 v60, v58
	ds_load_b64 v[58:59], v123 offset:29696
	s_wait_dscnt 0x1
	v_add_nc_u32_e32 v60, v60, v111
	s_wait_dscnt 0x0
	global_store_b64 v60, v[58:59], s[44:45] scale_offset
	s_wait_xcnt 0x0
	s_or_b32 exec_lo, exec_lo, s15
	s_and_saveexec_b32 s15, s29
	s_cbranch_execnz .LBB1245_831
	s_branch .LBB1245_832
.LBB1245_895:                           ;   in Loop: Header=BB1245_17 Depth=1
	s_wait_dscnt 0x0
	s_barrier_signal -1
	s_mov_b32 s7, 0
	s_barrier_wait -1
.LBB1245_896:                           ;   in Loop: Header=BB1245_17 Depth=1
	s_and_b32 vcc_lo, exec_lo, s7
	s_cbranch_vccz .LBB1245_16
; %bb.897:                              ;   in Loop: Header=BB1245_17 Depth=1
	s_mov_b32 s7, s58
	s_mov_b32 s34, s56
	s_barrier_signal -1
	s_barrier_wait -1
                                        ; implicit-def: $vgpr22_vgpr23
                                        ; implicit-def: $vgpr24_vgpr25
                                        ; implicit-def: $vgpr26_vgpr27
                                        ; implicit-def: $vgpr28_vgpr29
                                        ; implicit-def: $vgpr30_vgpr31
                                        ; implicit-def: $vgpr32_vgpr33
                                        ; implicit-def: $vgpr34_vgpr35
                                        ; implicit-def: $vgpr36_vgpr37
                                        ; implicit-def: $vgpr38_vgpr39
                                        ; implicit-def: $vgpr40_vgpr41
                                        ; implicit-def: $vgpr42_vgpr43
                                        ; implicit-def: $vgpr44_vgpr45
                                        ; implicit-def: $vgpr46_vgpr47
                                        ; implicit-def: $vgpr48_vgpr49
                                        ; implicit-def: $vgpr50_vgpr51
                                        ; implicit-def: $vgpr52_vgpr53
	s_branch .LBB1245_899
.LBB1245_898:                           ;   in Loop: Header=BB1245_899 Depth=2
	s_or_b32 exec_lo, exec_lo, s8
	s_addk_co_i32 s7, 0xf000
	s_cmp_ge_u32 s10, s51
	s_mov_b32 s34, s10
	s_cbranch_scc1 .LBB1245_967
.LBB1245_899:                           ;   Parent Loop BB1245_17 Depth=1
                                        ; =>  This Inner Loop Header: Depth=2
	s_add_co_i32 s10, s34, 0x1000
	s_mov_b32 s8, -1
	s_cmp_gt_u32 s10, s51
                                        ; implicit-def: $vgpr54_vgpr55
                                        ; implicit-def: $vgpr56_vgpr57
                                        ; implicit-def: $vgpr58_vgpr59
                                        ; implicit-def: $vgpr60_vgpr61
                                        ; implicit-def: $vgpr62_vgpr63
                                        ; implicit-def: $vgpr64_vgpr65
                                        ; implicit-def: $vgpr66_vgpr67
                                        ; implicit-def: $vgpr68_vgpr69
                                        ; implicit-def: $vgpr70_vgpr71
                                        ; implicit-def: $vgpr72_vgpr73
                                        ; implicit-def: $vgpr74_vgpr75
                                        ; implicit-def: $vgpr76_vgpr77
                                        ; implicit-def: $vgpr78_vgpr79
                                        ; implicit-def: $vgpr80_vgpr81
                                        ; implicit-def: $vgpr82_vgpr83
                                        ; implicit-def: $vgpr84_vgpr85
	s_cbranch_scc1 .LBB1245_901
; %bb.900:                              ;   in Loop: Header=BB1245_899 Depth=2
	v_lshl_add_u64 v[84:85], s[34:35], 3, v[16:17]
	s_mov_b32 s8, 0
	s_clause 0xf
	global_load_b64 v[54:55], v[84:85], off
	global_load_b64 v[56:57], v[84:85], off offset:2048
	global_load_b64 v[58:59], v[84:85], off offset:4096
	;; [unrolled: 1-line block ×15, first 2 shown]
.LBB1245_901:                           ;   in Loop: Header=BB1245_899 Depth=2
	s_and_not1_b32 vcc_lo, exec_lo, s8
	s_movk_i32 s8, 0x1000
	s_cbranch_vccnz .LBB1245_920
; %bb.902:                              ;   in Loop: Header=BB1245_899 Depth=2
	s_lshl_b64 s[8:9], s[34:35], 3
	s_mov_b32 s11, exec_lo
	s_add_nc_u64 s[8:9], s[36:37], s[8:9]
	s_wait_xcnt 0x0
	v_cmpx_gt_u32_e64 s7, v2
	s_cbranch_execnz .LBB1245_952
; %bb.903:                              ;   in Loop: Header=BB1245_899 Depth=2
	s_or_b32 exec_lo, exec_lo, s11
	s_delay_alu instid0(SALU_CYCLE_1)
	s_mov_b32 s11, exec_lo
	v_cmpx_gt_u32_e64 s7, v98
	s_cbranch_execnz .LBB1245_953
.LBB1245_904:                           ;   in Loop: Header=BB1245_899 Depth=2
	s_or_b32 exec_lo, exec_lo, s11
	s_delay_alu instid0(SALU_CYCLE_1)
	s_mov_b32 s11, exec_lo
	v_cmpx_gt_u32_e64 s7, v99
	s_cbranch_execnz .LBB1245_954
.LBB1245_905:                           ;   in Loop: Header=BB1245_899 Depth=2
	s_or_b32 exec_lo, exec_lo, s11
	s_delay_alu instid0(SALU_CYCLE_1)
	s_mov_b32 s11, exec_lo
	v_cmpx_gt_u32_e64 s7, v100
	s_cbranch_execnz .LBB1245_955
.LBB1245_906:                           ;   in Loop: Header=BB1245_899 Depth=2
	s_or_b32 exec_lo, exec_lo, s11
	s_delay_alu instid0(SALU_CYCLE_1)
	s_mov_b32 s11, exec_lo
	v_cmpx_gt_u32_e64 s7, v101
	s_cbranch_execnz .LBB1245_956
.LBB1245_907:                           ;   in Loop: Header=BB1245_899 Depth=2
	s_or_b32 exec_lo, exec_lo, s11
	s_delay_alu instid0(SALU_CYCLE_1)
	s_mov_b32 s11, exec_lo
	v_cmpx_gt_u32_e64 s7, v102
	s_cbranch_execnz .LBB1245_957
.LBB1245_908:                           ;   in Loop: Header=BB1245_899 Depth=2
	s_or_b32 exec_lo, exec_lo, s11
	s_delay_alu instid0(SALU_CYCLE_1)
	s_mov_b32 s11, exec_lo
	v_cmpx_gt_u32_e64 s7, v103
	s_cbranch_execnz .LBB1245_958
.LBB1245_909:                           ;   in Loop: Header=BB1245_899 Depth=2
	s_or_b32 exec_lo, exec_lo, s11
	s_delay_alu instid0(SALU_CYCLE_1)
	s_mov_b32 s11, exec_lo
	v_cmpx_gt_u32_e64 s7, v104
	s_cbranch_execnz .LBB1245_959
.LBB1245_910:                           ;   in Loop: Header=BB1245_899 Depth=2
	s_or_b32 exec_lo, exec_lo, s11
	s_delay_alu instid0(SALU_CYCLE_1)
	s_mov_b32 s11, exec_lo
	v_cmpx_gt_u32_e64 s7, v105
	s_cbranch_execnz .LBB1245_960
.LBB1245_911:                           ;   in Loop: Header=BB1245_899 Depth=2
	s_or_b32 exec_lo, exec_lo, s11
	s_delay_alu instid0(SALU_CYCLE_1)
	s_mov_b32 s11, exec_lo
	v_cmpx_gt_u32_e64 s7, v106
	s_cbranch_execnz .LBB1245_961
.LBB1245_912:                           ;   in Loop: Header=BB1245_899 Depth=2
	s_or_b32 exec_lo, exec_lo, s11
	s_delay_alu instid0(SALU_CYCLE_1)
	s_mov_b32 s11, exec_lo
	v_cmpx_gt_u32_e64 s7, v107
	s_cbranch_execnz .LBB1245_962
.LBB1245_913:                           ;   in Loop: Header=BB1245_899 Depth=2
	s_or_b32 exec_lo, exec_lo, s11
	s_delay_alu instid0(SALU_CYCLE_1)
	s_mov_b32 s11, exec_lo
	v_cmpx_gt_u32_e64 s7, v108
	s_cbranch_execnz .LBB1245_963
.LBB1245_914:                           ;   in Loop: Header=BB1245_899 Depth=2
	s_or_b32 exec_lo, exec_lo, s11
	s_delay_alu instid0(SALU_CYCLE_1)
	s_mov_b32 s11, exec_lo
	v_cmpx_gt_u32_e64 s7, v109
	s_cbranch_execnz .LBB1245_964
.LBB1245_915:                           ;   in Loop: Header=BB1245_899 Depth=2
	s_or_b32 exec_lo, exec_lo, s11
	s_delay_alu instid0(SALU_CYCLE_1)
	s_mov_b32 s11, exec_lo
	v_cmpx_gt_u32_e64 s7, v110
	s_cbranch_execnz .LBB1245_965
.LBB1245_916:                           ;   in Loop: Header=BB1245_899 Depth=2
	s_or_b32 exec_lo, exec_lo, s11
	s_delay_alu instid0(SALU_CYCLE_1)
	s_mov_b32 s11, exec_lo
	v_cmpx_gt_u32_e64 s7, v111
	s_cbranch_execnz .LBB1245_966
.LBB1245_917:                           ;   in Loop: Header=BB1245_899 Depth=2
	s_or_b32 exec_lo, exec_lo, s11
	s_delay_alu instid0(SALU_CYCLE_1)
	s_mov_b32 s11, exec_lo
	v_cmpx_gt_u32_e64 s7, v112
	s_cbranch_execz .LBB1245_919
.LBB1245_918:                           ;   in Loop: Header=BB1245_899 Depth=2
	global_load_b64 v[22:23], v2, s[8:9] offset:30720 scale_offset
.LBB1245_919:                           ;   in Loop: Header=BB1245_899 Depth=2
	s_wait_xcnt 0x0
	s_or_b32 exec_lo, exec_lo, s11
	s_wait_loadcnt 0x0
	v_mov_b64_e32 v[54:55], v[52:53]
	v_mov_b64_e32 v[56:57], v[50:51]
	;; [unrolled: 1-line block ×16, first 2 shown]
	s_mov_b32 s8, s7
.LBB1245_920:                           ;   in Loop: Header=BB1245_899 Depth=2
	s_wait_loadcnt 0x0
	s_delay_alu instid0(VALU_DEP_1) | instskip(NEXT) | instid1(VALU_DEP_3)
	v_mov_b64_e32 v[22:23], v[84:85]
	v_mov_b64_e32 v[24:25], v[82:83]
	;; [unrolled: 1-line block ×16, first 2 shown]
	s_mov_b32 s9, exec_lo
	s_wait_xcnt 0x0
	v_cmpx_gt_u32_e64 s8, v2
	s_cbranch_execnz .LBB1245_936
; %bb.921:                              ;   in Loop: Header=BB1245_899 Depth=2
	s_or_b32 exec_lo, exec_lo, s9
	s_delay_alu instid0(SALU_CYCLE_1)
	s_mov_b32 s9, exec_lo
	v_cmpx_gt_u32_e64 s8, v98
	s_cbranch_execnz .LBB1245_937
.LBB1245_922:                           ;   in Loop: Header=BB1245_899 Depth=2
	s_or_b32 exec_lo, exec_lo, s9
	s_delay_alu instid0(SALU_CYCLE_1)
	s_mov_b32 s9, exec_lo
	v_cmpx_gt_u32_e64 s8, v99
	s_cbranch_execnz .LBB1245_938
.LBB1245_923:                           ;   in Loop: Header=BB1245_899 Depth=2
	s_or_b32 exec_lo, exec_lo, s9
	s_delay_alu instid0(SALU_CYCLE_1)
	s_mov_b32 s9, exec_lo
	v_cmpx_gt_u32_e64 s8, v100
	s_cbranch_execnz .LBB1245_939
.LBB1245_924:                           ;   in Loop: Header=BB1245_899 Depth=2
	s_or_b32 exec_lo, exec_lo, s9
	s_delay_alu instid0(SALU_CYCLE_1)
	s_mov_b32 s9, exec_lo
	v_cmpx_gt_u32_e64 s8, v101
	s_cbranch_execnz .LBB1245_940
.LBB1245_925:                           ;   in Loop: Header=BB1245_899 Depth=2
	s_or_b32 exec_lo, exec_lo, s9
	s_delay_alu instid0(SALU_CYCLE_1)
	s_mov_b32 s9, exec_lo
	v_cmpx_gt_u32_e64 s8, v102
	s_cbranch_execnz .LBB1245_941
.LBB1245_926:                           ;   in Loop: Header=BB1245_899 Depth=2
	s_or_b32 exec_lo, exec_lo, s9
	s_delay_alu instid0(SALU_CYCLE_1)
	s_mov_b32 s9, exec_lo
	v_cmpx_gt_u32_e64 s8, v103
	s_cbranch_execnz .LBB1245_942
.LBB1245_927:                           ;   in Loop: Header=BB1245_899 Depth=2
	s_or_b32 exec_lo, exec_lo, s9
	s_delay_alu instid0(SALU_CYCLE_1)
	s_mov_b32 s9, exec_lo
	v_cmpx_gt_u32_e64 s8, v104
	s_cbranch_execnz .LBB1245_943
.LBB1245_928:                           ;   in Loop: Header=BB1245_899 Depth=2
	s_or_b32 exec_lo, exec_lo, s9
	s_delay_alu instid0(SALU_CYCLE_1)
	s_mov_b32 s9, exec_lo
	v_cmpx_gt_u32_e64 s8, v105
	s_cbranch_execnz .LBB1245_944
.LBB1245_929:                           ;   in Loop: Header=BB1245_899 Depth=2
	s_or_b32 exec_lo, exec_lo, s9
	s_delay_alu instid0(SALU_CYCLE_1)
	s_mov_b32 s9, exec_lo
	v_cmpx_gt_u32_e64 s8, v106
	s_cbranch_execnz .LBB1245_945
.LBB1245_930:                           ;   in Loop: Header=BB1245_899 Depth=2
	s_or_b32 exec_lo, exec_lo, s9
	s_delay_alu instid0(SALU_CYCLE_1)
	s_mov_b32 s9, exec_lo
	v_cmpx_gt_u32_e64 s8, v107
	s_cbranch_execnz .LBB1245_946
.LBB1245_931:                           ;   in Loop: Header=BB1245_899 Depth=2
	s_or_b32 exec_lo, exec_lo, s9
	s_delay_alu instid0(SALU_CYCLE_1)
	s_mov_b32 s9, exec_lo
	v_cmpx_gt_u32_e64 s8, v108
	s_cbranch_execnz .LBB1245_947
.LBB1245_932:                           ;   in Loop: Header=BB1245_899 Depth=2
	s_or_b32 exec_lo, exec_lo, s9
	s_delay_alu instid0(SALU_CYCLE_1)
	s_mov_b32 s9, exec_lo
	v_cmpx_gt_u32_e64 s8, v109
	s_cbranch_execnz .LBB1245_948
.LBB1245_933:                           ;   in Loop: Header=BB1245_899 Depth=2
	s_or_b32 exec_lo, exec_lo, s9
	s_delay_alu instid0(SALU_CYCLE_1)
	s_mov_b32 s9, exec_lo
	v_cmpx_gt_u32_e64 s8, v110
	s_cbranch_execnz .LBB1245_949
.LBB1245_934:                           ;   in Loop: Header=BB1245_899 Depth=2
	s_or_b32 exec_lo, exec_lo, s9
	s_delay_alu instid0(SALU_CYCLE_1)
	s_mov_b32 s9, exec_lo
	v_cmpx_gt_u32_e64 s8, v111
	s_cbranch_execnz .LBB1245_950
.LBB1245_935:                           ;   in Loop: Header=BB1245_899 Depth=2
	s_or_b32 exec_lo, exec_lo, s9
	v_cmp_gt_u32_e32 vcc_lo, s8, v112
	s_and_saveexec_b32 s8, vcc_lo
	s_cbranch_execz .LBB1245_898
	s_branch .LBB1245_951
.LBB1245_936:                           ;   in Loop: Header=BB1245_899 Depth=2
	s_delay_alu instid0(VALU_DEP_2) | instskip(SKIP_1) | instid1(VALU_DEP_1)
	v_cmp_lt_i64_e32 vcc_lo, -1, v[52:53]
	v_cndmask_b32_e64 v54, -1, 0x80000000, vcc_lo
	v_dual_ashrrev_i32 v56, 31, v53 :: v_dual_bitop2_b32 v55, v54, v53 bitop3:0x14
	s_delay_alu instid0(VALU_DEP_1) | instskip(NEXT) | instid1(VALU_DEP_1)
	v_xor_b32_e32 v54, v56, v52
	v_cmp_ne_u64_e32 vcc_lo, s[42:43], v[54:55]
	v_cndmask_b32_e32 v55, 0x80000000, v55, vcc_lo
	v_cndmask_b32_e32 v54, 0, v54, vcc_lo
	s_delay_alu instid0(VALU_DEP_1) | instskip(NEXT) | instid1(VALU_DEP_1)
	v_lshrrev_b64 v[54:55], s48, v[54:55]
	v_and_b32_e32 v54, s55, v54
	s_delay_alu instid0(VALU_DEP_1) | instskip(SKIP_2) | instid1(SALU_CYCLE_1)
	v_lshl_or_b32 v54, v54, 4, v113
	ds_add_u32 v54, v125
	s_or_b32 exec_lo, exec_lo, s9
	s_mov_b32 s9, exec_lo
	v_cmpx_gt_u32_e64 s8, v98
	s_cbranch_execz .LBB1245_922
.LBB1245_937:                           ;   in Loop: Header=BB1245_899 Depth=2
	v_cmp_lt_i64_e32 vcc_lo, -1, v[50:51]
	v_cndmask_b32_e64 v54, -1, 0x80000000, vcc_lo
	s_delay_alu instid0(VALU_DEP_1) | instskip(NEXT) | instid1(VALU_DEP_1)
	v_dual_ashrrev_i32 v56, 31, v51 :: v_dual_bitop2_b32 v55, v54, v51 bitop3:0x14
	v_xor_b32_e32 v54, v56, v50
	s_delay_alu instid0(VALU_DEP_1) | instskip(SKIP_2) | instid1(VALU_DEP_1)
	v_cmp_ne_u64_e32 vcc_lo, s[42:43], v[54:55]
	v_cndmask_b32_e32 v55, 0x80000000, v55, vcc_lo
	v_cndmask_b32_e32 v54, 0, v54, vcc_lo
	v_lshrrev_b64 v[54:55], s48, v[54:55]
	s_delay_alu instid0(VALU_DEP_1) | instskip(NEXT) | instid1(VALU_DEP_1)
	v_and_b32_e32 v54, s55, v54
	v_lshl_or_b32 v54, v54, 4, v113
	ds_add_u32 v54, v125
	s_or_b32 exec_lo, exec_lo, s9
	s_delay_alu instid0(SALU_CYCLE_1)
	s_mov_b32 s9, exec_lo
	v_cmpx_gt_u32_e64 s8, v99
	s_cbranch_execz .LBB1245_923
.LBB1245_938:                           ;   in Loop: Header=BB1245_899 Depth=2
	v_cmp_lt_i64_e32 vcc_lo, -1, v[48:49]
	v_cndmask_b32_e64 v54, -1, 0x80000000, vcc_lo
	s_delay_alu instid0(VALU_DEP_1) | instskip(NEXT) | instid1(VALU_DEP_1)
	v_dual_ashrrev_i32 v56, 31, v49 :: v_dual_bitop2_b32 v55, v54, v49 bitop3:0x14
	v_xor_b32_e32 v54, v56, v48
	s_delay_alu instid0(VALU_DEP_1) | instskip(SKIP_2) | instid1(VALU_DEP_1)
	v_cmp_ne_u64_e32 vcc_lo, s[42:43], v[54:55]
	v_cndmask_b32_e32 v55, 0x80000000, v55, vcc_lo
	v_cndmask_b32_e32 v54, 0, v54, vcc_lo
	v_lshrrev_b64 v[54:55], s48, v[54:55]
	s_delay_alu instid0(VALU_DEP_1) | instskip(NEXT) | instid1(VALU_DEP_1)
	v_and_b32_e32 v54, s55, v54
	v_lshl_or_b32 v54, v54, 4, v113
	ds_add_u32 v54, v125
	s_or_b32 exec_lo, exec_lo, s9
	s_delay_alu instid0(SALU_CYCLE_1)
	s_mov_b32 s9, exec_lo
	v_cmpx_gt_u32_e64 s8, v100
	s_cbranch_execz .LBB1245_924
.LBB1245_939:                           ;   in Loop: Header=BB1245_899 Depth=2
	v_cmp_lt_i64_e32 vcc_lo, -1, v[46:47]
	v_cndmask_b32_e64 v54, -1, 0x80000000, vcc_lo
	s_delay_alu instid0(VALU_DEP_1) | instskip(NEXT) | instid1(VALU_DEP_1)
	v_dual_ashrrev_i32 v56, 31, v47 :: v_dual_bitop2_b32 v55, v54, v47 bitop3:0x14
	v_xor_b32_e32 v54, v56, v46
	s_delay_alu instid0(VALU_DEP_1) | instskip(SKIP_2) | instid1(VALU_DEP_1)
	v_cmp_ne_u64_e32 vcc_lo, s[42:43], v[54:55]
	v_cndmask_b32_e32 v55, 0x80000000, v55, vcc_lo
	v_cndmask_b32_e32 v54, 0, v54, vcc_lo
	v_lshrrev_b64 v[54:55], s48, v[54:55]
	s_delay_alu instid0(VALU_DEP_1) | instskip(NEXT) | instid1(VALU_DEP_1)
	v_and_b32_e32 v54, s55, v54
	v_lshl_or_b32 v54, v54, 4, v113
	ds_add_u32 v54, v125
	s_or_b32 exec_lo, exec_lo, s9
	s_delay_alu instid0(SALU_CYCLE_1)
	s_mov_b32 s9, exec_lo
	v_cmpx_gt_u32_e64 s8, v101
	s_cbranch_execz .LBB1245_925
.LBB1245_940:                           ;   in Loop: Header=BB1245_899 Depth=2
	v_cmp_lt_i64_e32 vcc_lo, -1, v[44:45]
	v_cndmask_b32_e64 v54, -1, 0x80000000, vcc_lo
	s_delay_alu instid0(VALU_DEP_1) | instskip(NEXT) | instid1(VALU_DEP_1)
	v_dual_ashrrev_i32 v56, 31, v45 :: v_dual_bitop2_b32 v55, v54, v45 bitop3:0x14
	v_xor_b32_e32 v54, v56, v44
	s_delay_alu instid0(VALU_DEP_1) | instskip(SKIP_2) | instid1(VALU_DEP_1)
	v_cmp_ne_u64_e32 vcc_lo, s[42:43], v[54:55]
	v_cndmask_b32_e32 v55, 0x80000000, v55, vcc_lo
	v_cndmask_b32_e32 v54, 0, v54, vcc_lo
	v_lshrrev_b64 v[54:55], s48, v[54:55]
	s_delay_alu instid0(VALU_DEP_1) | instskip(NEXT) | instid1(VALU_DEP_1)
	v_and_b32_e32 v54, s55, v54
	v_lshl_or_b32 v54, v54, 4, v113
	ds_add_u32 v54, v125
	s_or_b32 exec_lo, exec_lo, s9
	s_delay_alu instid0(SALU_CYCLE_1)
	s_mov_b32 s9, exec_lo
	v_cmpx_gt_u32_e64 s8, v102
	s_cbranch_execz .LBB1245_926
.LBB1245_941:                           ;   in Loop: Header=BB1245_899 Depth=2
	v_cmp_lt_i64_e32 vcc_lo, -1, v[42:43]
	v_cndmask_b32_e64 v54, -1, 0x80000000, vcc_lo
	s_delay_alu instid0(VALU_DEP_1) | instskip(NEXT) | instid1(VALU_DEP_1)
	v_dual_ashrrev_i32 v56, 31, v43 :: v_dual_bitop2_b32 v55, v54, v43 bitop3:0x14
	v_xor_b32_e32 v54, v56, v42
	s_delay_alu instid0(VALU_DEP_1) | instskip(SKIP_2) | instid1(VALU_DEP_1)
	v_cmp_ne_u64_e32 vcc_lo, s[42:43], v[54:55]
	v_cndmask_b32_e32 v55, 0x80000000, v55, vcc_lo
	v_cndmask_b32_e32 v54, 0, v54, vcc_lo
	v_lshrrev_b64 v[54:55], s48, v[54:55]
	s_delay_alu instid0(VALU_DEP_1) | instskip(NEXT) | instid1(VALU_DEP_1)
	v_and_b32_e32 v54, s55, v54
	v_lshl_or_b32 v54, v54, 4, v113
	ds_add_u32 v54, v125
	s_or_b32 exec_lo, exec_lo, s9
	s_delay_alu instid0(SALU_CYCLE_1)
	s_mov_b32 s9, exec_lo
	v_cmpx_gt_u32_e64 s8, v103
	s_cbranch_execz .LBB1245_927
.LBB1245_942:                           ;   in Loop: Header=BB1245_899 Depth=2
	v_cmp_lt_i64_e32 vcc_lo, -1, v[40:41]
	v_cndmask_b32_e64 v54, -1, 0x80000000, vcc_lo
	s_delay_alu instid0(VALU_DEP_1) | instskip(NEXT) | instid1(VALU_DEP_1)
	v_dual_ashrrev_i32 v56, 31, v41 :: v_dual_bitop2_b32 v55, v54, v41 bitop3:0x14
	v_xor_b32_e32 v54, v56, v40
	s_delay_alu instid0(VALU_DEP_1) | instskip(SKIP_2) | instid1(VALU_DEP_1)
	v_cmp_ne_u64_e32 vcc_lo, s[42:43], v[54:55]
	v_cndmask_b32_e32 v55, 0x80000000, v55, vcc_lo
	v_cndmask_b32_e32 v54, 0, v54, vcc_lo
	v_lshrrev_b64 v[54:55], s48, v[54:55]
	s_delay_alu instid0(VALU_DEP_1) | instskip(NEXT) | instid1(VALU_DEP_1)
	v_and_b32_e32 v54, s55, v54
	v_lshl_or_b32 v54, v54, 4, v113
	ds_add_u32 v54, v125
	s_or_b32 exec_lo, exec_lo, s9
	s_delay_alu instid0(SALU_CYCLE_1)
	s_mov_b32 s9, exec_lo
	v_cmpx_gt_u32_e64 s8, v104
	s_cbranch_execz .LBB1245_928
.LBB1245_943:                           ;   in Loop: Header=BB1245_899 Depth=2
	v_cmp_lt_i64_e32 vcc_lo, -1, v[38:39]
	v_cndmask_b32_e64 v54, -1, 0x80000000, vcc_lo
	s_delay_alu instid0(VALU_DEP_1) | instskip(NEXT) | instid1(VALU_DEP_1)
	v_dual_ashrrev_i32 v56, 31, v39 :: v_dual_bitop2_b32 v55, v54, v39 bitop3:0x14
	v_xor_b32_e32 v54, v56, v38
	s_delay_alu instid0(VALU_DEP_1) | instskip(SKIP_2) | instid1(VALU_DEP_1)
	v_cmp_ne_u64_e32 vcc_lo, s[42:43], v[54:55]
	v_cndmask_b32_e32 v55, 0x80000000, v55, vcc_lo
	v_cndmask_b32_e32 v54, 0, v54, vcc_lo
	v_lshrrev_b64 v[54:55], s48, v[54:55]
	s_delay_alu instid0(VALU_DEP_1) | instskip(NEXT) | instid1(VALU_DEP_1)
	v_and_b32_e32 v54, s55, v54
	v_lshl_or_b32 v54, v54, 4, v113
	ds_add_u32 v54, v125
	s_or_b32 exec_lo, exec_lo, s9
	s_delay_alu instid0(SALU_CYCLE_1)
	s_mov_b32 s9, exec_lo
	v_cmpx_gt_u32_e64 s8, v105
	s_cbranch_execz .LBB1245_929
.LBB1245_944:                           ;   in Loop: Header=BB1245_899 Depth=2
	v_cmp_lt_i64_e32 vcc_lo, -1, v[36:37]
	v_cndmask_b32_e64 v54, -1, 0x80000000, vcc_lo
	s_delay_alu instid0(VALU_DEP_1) | instskip(NEXT) | instid1(VALU_DEP_1)
	v_dual_ashrrev_i32 v56, 31, v37 :: v_dual_bitop2_b32 v55, v54, v37 bitop3:0x14
	v_xor_b32_e32 v54, v56, v36
	s_delay_alu instid0(VALU_DEP_1) | instskip(SKIP_2) | instid1(VALU_DEP_1)
	v_cmp_ne_u64_e32 vcc_lo, s[42:43], v[54:55]
	v_cndmask_b32_e32 v55, 0x80000000, v55, vcc_lo
	v_cndmask_b32_e32 v54, 0, v54, vcc_lo
	v_lshrrev_b64 v[54:55], s48, v[54:55]
	s_delay_alu instid0(VALU_DEP_1) | instskip(NEXT) | instid1(VALU_DEP_1)
	v_and_b32_e32 v54, s55, v54
	v_lshl_or_b32 v54, v54, 4, v113
	ds_add_u32 v54, v125
	s_or_b32 exec_lo, exec_lo, s9
	s_delay_alu instid0(SALU_CYCLE_1)
	s_mov_b32 s9, exec_lo
	v_cmpx_gt_u32_e64 s8, v106
	s_cbranch_execz .LBB1245_930
.LBB1245_945:                           ;   in Loop: Header=BB1245_899 Depth=2
	v_cmp_lt_i64_e32 vcc_lo, -1, v[34:35]
	v_cndmask_b32_e64 v54, -1, 0x80000000, vcc_lo
	s_delay_alu instid0(VALU_DEP_1) | instskip(NEXT) | instid1(VALU_DEP_1)
	v_dual_ashrrev_i32 v56, 31, v35 :: v_dual_bitop2_b32 v55, v54, v35 bitop3:0x14
	v_xor_b32_e32 v54, v56, v34
	s_delay_alu instid0(VALU_DEP_1) | instskip(SKIP_2) | instid1(VALU_DEP_1)
	v_cmp_ne_u64_e32 vcc_lo, s[42:43], v[54:55]
	v_cndmask_b32_e32 v55, 0x80000000, v55, vcc_lo
	v_cndmask_b32_e32 v54, 0, v54, vcc_lo
	v_lshrrev_b64 v[54:55], s48, v[54:55]
	s_delay_alu instid0(VALU_DEP_1) | instskip(NEXT) | instid1(VALU_DEP_1)
	v_and_b32_e32 v54, s55, v54
	v_lshl_or_b32 v54, v54, 4, v113
	ds_add_u32 v54, v125
	s_or_b32 exec_lo, exec_lo, s9
	s_delay_alu instid0(SALU_CYCLE_1)
	s_mov_b32 s9, exec_lo
	v_cmpx_gt_u32_e64 s8, v107
	s_cbranch_execz .LBB1245_931
.LBB1245_946:                           ;   in Loop: Header=BB1245_899 Depth=2
	v_cmp_lt_i64_e32 vcc_lo, -1, v[32:33]
	v_cndmask_b32_e64 v54, -1, 0x80000000, vcc_lo
	s_delay_alu instid0(VALU_DEP_1) | instskip(NEXT) | instid1(VALU_DEP_1)
	v_dual_ashrrev_i32 v56, 31, v33 :: v_dual_bitop2_b32 v55, v54, v33 bitop3:0x14
	v_xor_b32_e32 v54, v56, v32
	s_delay_alu instid0(VALU_DEP_1) | instskip(SKIP_2) | instid1(VALU_DEP_1)
	v_cmp_ne_u64_e32 vcc_lo, s[42:43], v[54:55]
	v_cndmask_b32_e32 v55, 0x80000000, v55, vcc_lo
	v_cndmask_b32_e32 v54, 0, v54, vcc_lo
	v_lshrrev_b64 v[54:55], s48, v[54:55]
	s_delay_alu instid0(VALU_DEP_1) | instskip(NEXT) | instid1(VALU_DEP_1)
	v_and_b32_e32 v54, s55, v54
	v_lshl_or_b32 v54, v54, 4, v113
	ds_add_u32 v54, v125
	s_or_b32 exec_lo, exec_lo, s9
	s_delay_alu instid0(SALU_CYCLE_1)
	s_mov_b32 s9, exec_lo
	v_cmpx_gt_u32_e64 s8, v108
	s_cbranch_execz .LBB1245_932
.LBB1245_947:                           ;   in Loop: Header=BB1245_899 Depth=2
	v_cmp_lt_i64_e32 vcc_lo, -1, v[30:31]
	v_cndmask_b32_e64 v54, -1, 0x80000000, vcc_lo
	s_delay_alu instid0(VALU_DEP_1) | instskip(NEXT) | instid1(VALU_DEP_1)
	v_dual_ashrrev_i32 v56, 31, v31 :: v_dual_bitop2_b32 v55, v54, v31 bitop3:0x14
	v_xor_b32_e32 v54, v56, v30
	s_delay_alu instid0(VALU_DEP_1) | instskip(SKIP_2) | instid1(VALU_DEP_1)
	v_cmp_ne_u64_e32 vcc_lo, s[42:43], v[54:55]
	v_cndmask_b32_e32 v55, 0x80000000, v55, vcc_lo
	v_cndmask_b32_e32 v54, 0, v54, vcc_lo
	v_lshrrev_b64 v[54:55], s48, v[54:55]
	s_delay_alu instid0(VALU_DEP_1) | instskip(NEXT) | instid1(VALU_DEP_1)
	v_and_b32_e32 v54, s55, v54
	v_lshl_or_b32 v54, v54, 4, v113
	ds_add_u32 v54, v125
	s_or_b32 exec_lo, exec_lo, s9
	s_delay_alu instid0(SALU_CYCLE_1)
	s_mov_b32 s9, exec_lo
	v_cmpx_gt_u32_e64 s8, v109
	s_cbranch_execz .LBB1245_933
.LBB1245_948:                           ;   in Loop: Header=BB1245_899 Depth=2
	v_cmp_lt_i64_e32 vcc_lo, -1, v[28:29]
	v_cndmask_b32_e64 v54, -1, 0x80000000, vcc_lo
	s_delay_alu instid0(VALU_DEP_1) | instskip(NEXT) | instid1(VALU_DEP_1)
	v_dual_ashrrev_i32 v56, 31, v29 :: v_dual_bitop2_b32 v55, v54, v29 bitop3:0x14
	v_xor_b32_e32 v54, v56, v28
	s_delay_alu instid0(VALU_DEP_1) | instskip(SKIP_2) | instid1(VALU_DEP_1)
	v_cmp_ne_u64_e32 vcc_lo, s[42:43], v[54:55]
	v_cndmask_b32_e32 v55, 0x80000000, v55, vcc_lo
	v_cndmask_b32_e32 v54, 0, v54, vcc_lo
	v_lshrrev_b64 v[54:55], s48, v[54:55]
	s_delay_alu instid0(VALU_DEP_1) | instskip(NEXT) | instid1(VALU_DEP_1)
	v_and_b32_e32 v54, s55, v54
	v_lshl_or_b32 v54, v54, 4, v113
	ds_add_u32 v54, v125
	s_or_b32 exec_lo, exec_lo, s9
	s_delay_alu instid0(SALU_CYCLE_1)
	s_mov_b32 s9, exec_lo
	v_cmpx_gt_u32_e64 s8, v110
	s_cbranch_execz .LBB1245_934
.LBB1245_949:                           ;   in Loop: Header=BB1245_899 Depth=2
	v_cmp_lt_i64_e32 vcc_lo, -1, v[26:27]
	v_cndmask_b32_e64 v54, -1, 0x80000000, vcc_lo
	s_delay_alu instid0(VALU_DEP_1) | instskip(NEXT) | instid1(VALU_DEP_1)
	v_dual_ashrrev_i32 v56, 31, v27 :: v_dual_bitop2_b32 v55, v54, v27 bitop3:0x14
	v_xor_b32_e32 v54, v56, v26
	s_delay_alu instid0(VALU_DEP_1) | instskip(SKIP_2) | instid1(VALU_DEP_1)
	v_cmp_ne_u64_e32 vcc_lo, s[42:43], v[54:55]
	v_cndmask_b32_e32 v55, 0x80000000, v55, vcc_lo
	v_cndmask_b32_e32 v54, 0, v54, vcc_lo
	v_lshrrev_b64 v[54:55], s48, v[54:55]
	s_delay_alu instid0(VALU_DEP_1) | instskip(NEXT) | instid1(VALU_DEP_1)
	v_and_b32_e32 v54, s55, v54
	v_lshl_or_b32 v54, v54, 4, v113
	ds_add_u32 v54, v125
	s_or_b32 exec_lo, exec_lo, s9
	s_delay_alu instid0(SALU_CYCLE_1)
	s_mov_b32 s9, exec_lo
	v_cmpx_gt_u32_e64 s8, v111
	s_cbranch_execz .LBB1245_935
.LBB1245_950:                           ;   in Loop: Header=BB1245_899 Depth=2
	v_cmp_lt_i64_e32 vcc_lo, -1, v[24:25]
	v_cndmask_b32_e64 v54, -1, 0x80000000, vcc_lo
	s_delay_alu instid0(VALU_DEP_1) | instskip(NEXT) | instid1(VALU_DEP_1)
	v_dual_ashrrev_i32 v56, 31, v25 :: v_dual_bitop2_b32 v55, v54, v25 bitop3:0x14
	v_xor_b32_e32 v54, v56, v24
	s_delay_alu instid0(VALU_DEP_1) | instskip(SKIP_2) | instid1(VALU_DEP_1)
	v_cmp_ne_u64_e32 vcc_lo, s[42:43], v[54:55]
	v_cndmask_b32_e32 v55, 0x80000000, v55, vcc_lo
	v_cndmask_b32_e32 v54, 0, v54, vcc_lo
	v_lshrrev_b64 v[54:55], s48, v[54:55]
	s_delay_alu instid0(VALU_DEP_1) | instskip(NEXT) | instid1(VALU_DEP_1)
	v_and_b32_e32 v54, s55, v54
	v_lshl_or_b32 v54, v54, 4, v113
	ds_add_u32 v54, v125
	s_or_b32 exec_lo, exec_lo, s9
	v_cmp_gt_u32_e32 vcc_lo, s8, v112
	s_and_saveexec_b32 s8, vcc_lo
	s_cbranch_execz .LBB1245_898
.LBB1245_951:                           ;   in Loop: Header=BB1245_899 Depth=2
	v_cmp_lt_i64_e32 vcc_lo, -1, v[22:23]
	v_cndmask_b32_e64 v54, -1, 0x80000000, vcc_lo
	s_delay_alu instid0(VALU_DEP_1) | instskip(NEXT) | instid1(VALU_DEP_1)
	v_dual_ashrrev_i32 v56, 31, v23 :: v_dual_bitop2_b32 v55, v54, v23 bitop3:0x14
	v_xor_b32_e32 v54, v56, v22
	s_delay_alu instid0(VALU_DEP_1) | instskip(SKIP_2) | instid1(VALU_DEP_1)
	v_cmp_ne_u64_e32 vcc_lo, s[42:43], v[54:55]
	v_cndmask_b32_e32 v55, 0x80000000, v55, vcc_lo
	v_cndmask_b32_e32 v54, 0, v54, vcc_lo
	v_lshrrev_b64 v[54:55], s48, v[54:55]
	s_delay_alu instid0(VALU_DEP_1) | instskip(NEXT) | instid1(VALU_DEP_1)
	v_and_b32_e32 v54, s55, v54
	v_lshl_or_b32 v54, v54, 4, v113
	ds_add_u32 v54, v125
	s_branch .LBB1245_898
.LBB1245_952:                           ;   in Loop: Header=BB1245_899 Depth=2
	global_load_b64 v[52:53], v2, s[8:9] scale_offset
	s_wait_xcnt 0x0
	s_or_b32 exec_lo, exec_lo, s11
	s_delay_alu instid0(SALU_CYCLE_1)
	s_mov_b32 s11, exec_lo
	v_cmpx_gt_u32_e64 s7, v98
	s_cbranch_execz .LBB1245_904
.LBB1245_953:                           ;   in Loop: Header=BB1245_899 Depth=2
	global_load_b64 v[50:51], v2, s[8:9] offset:2048 scale_offset
	s_wait_xcnt 0x0
	s_or_b32 exec_lo, exec_lo, s11
	s_delay_alu instid0(SALU_CYCLE_1)
	s_mov_b32 s11, exec_lo
	v_cmpx_gt_u32_e64 s7, v99
	s_cbranch_execz .LBB1245_905
.LBB1245_954:                           ;   in Loop: Header=BB1245_899 Depth=2
	global_load_b64 v[48:49], v2, s[8:9] offset:4096 scale_offset
	s_wait_xcnt 0x0
	s_or_b32 exec_lo, exec_lo, s11
	s_delay_alu instid0(SALU_CYCLE_1)
	s_mov_b32 s11, exec_lo
	v_cmpx_gt_u32_e64 s7, v100
	s_cbranch_execz .LBB1245_906
.LBB1245_955:                           ;   in Loop: Header=BB1245_899 Depth=2
	global_load_b64 v[46:47], v2, s[8:9] offset:6144 scale_offset
	s_wait_xcnt 0x0
	s_or_b32 exec_lo, exec_lo, s11
	s_delay_alu instid0(SALU_CYCLE_1)
	s_mov_b32 s11, exec_lo
	v_cmpx_gt_u32_e64 s7, v101
	s_cbranch_execz .LBB1245_907
.LBB1245_956:                           ;   in Loop: Header=BB1245_899 Depth=2
	global_load_b64 v[44:45], v2, s[8:9] offset:8192 scale_offset
	s_wait_xcnt 0x0
	s_or_b32 exec_lo, exec_lo, s11
	s_delay_alu instid0(SALU_CYCLE_1)
	s_mov_b32 s11, exec_lo
	v_cmpx_gt_u32_e64 s7, v102
	s_cbranch_execz .LBB1245_908
.LBB1245_957:                           ;   in Loop: Header=BB1245_899 Depth=2
	global_load_b64 v[42:43], v2, s[8:9] offset:10240 scale_offset
	s_wait_xcnt 0x0
	s_or_b32 exec_lo, exec_lo, s11
	s_delay_alu instid0(SALU_CYCLE_1)
	s_mov_b32 s11, exec_lo
	v_cmpx_gt_u32_e64 s7, v103
	s_cbranch_execz .LBB1245_909
.LBB1245_958:                           ;   in Loop: Header=BB1245_899 Depth=2
	global_load_b64 v[40:41], v2, s[8:9] offset:12288 scale_offset
	s_wait_xcnt 0x0
	s_or_b32 exec_lo, exec_lo, s11
	s_delay_alu instid0(SALU_CYCLE_1)
	s_mov_b32 s11, exec_lo
	v_cmpx_gt_u32_e64 s7, v104
	s_cbranch_execz .LBB1245_910
.LBB1245_959:                           ;   in Loop: Header=BB1245_899 Depth=2
	global_load_b64 v[38:39], v2, s[8:9] offset:14336 scale_offset
	s_wait_xcnt 0x0
	s_or_b32 exec_lo, exec_lo, s11
	s_delay_alu instid0(SALU_CYCLE_1)
	s_mov_b32 s11, exec_lo
	v_cmpx_gt_u32_e64 s7, v105
	s_cbranch_execz .LBB1245_911
.LBB1245_960:                           ;   in Loop: Header=BB1245_899 Depth=2
	global_load_b64 v[36:37], v2, s[8:9] offset:16384 scale_offset
	s_wait_xcnt 0x0
	s_or_b32 exec_lo, exec_lo, s11
	s_delay_alu instid0(SALU_CYCLE_1)
	s_mov_b32 s11, exec_lo
	v_cmpx_gt_u32_e64 s7, v106
	s_cbranch_execz .LBB1245_912
.LBB1245_961:                           ;   in Loop: Header=BB1245_899 Depth=2
	global_load_b64 v[34:35], v2, s[8:9] offset:18432 scale_offset
	s_wait_xcnt 0x0
	s_or_b32 exec_lo, exec_lo, s11
	s_delay_alu instid0(SALU_CYCLE_1)
	s_mov_b32 s11, exec_lo
	v_cmpx_gt_u32_e64 s7, v107
	s_cbranch_execz .LBB1245_913
.LBB1245_962:                           ;   in Loop: Header=BB1245_899 Depth=2
	global_load_b64 v[32:33], v2, s[8:9] offset:20480 scale_offset
	s_wait_xcnt 0x0
	s_or_b32 exec_lo, exec_lo, s11
	s_delay_alu instid0(SALU_CYCLE_1)
	s_mov_b32 s11, exec_lo
	v_cmpx_gt_u32_e64 s7, v108
	s_cbranch_execz .LBB1245_914
.LBB1245_963:                           ;   in Loop: Header=BB1245_899 Depth=2
	global_load_b64 v[30:31], v2, s[8:9] offset:22528 scale_offset
	s_wait_xcnt 0x0
	s_or_b32 exec_lo, exec_lo, s11
	s_delay_alu instid0(SALU_CYCLE_1)
	s_mov_b32 s11, exec_lo
	v_cmpx_gt_u32_e64 s7, v109
	s_cbranch_execz .LBB1245_915
.LBB1245_964:                           ;   in Loop: Header=BB1245_899 Depth=2
	global_load_b64 v[28:29], v2, s[8:9] offset:24576 scale_offset
	s_wait_xcnt 0x0
	s_or_b32 exec_lo, exec_lo, s11
	s_delay_alu instid0(SALU_CYCLE_1)
	s_mov_b32 s11, exec_lo
	v_cmpx_gt_u32_e64 s7, v110
	s_cbranch_execz .LBB1245_916
.LBB1245_965:                           ;   in Loop: Header=BB1245_899 Depth=2
	global_load_b64 v[26:27], v2, s[8:9] offset:26624 scale_offset
	s_wait_xcnt 0x0
	s_or_b32 exec_lo, exec_lo, s11
	s_delay_alu instid0(SALU_CYCLE_1)
	s_mov_b32 s11, exec_lo
	v_cmpx_gt_u32_e64 s7, v111
	s_cbranch_execz .LBB1245_917
.LBB1245_966:                           ;   in Loop: Header=BB1245_899 Depth=2
	global_load_b64 v[24:25], v2, s[8:9] offset:28672 scale_offset
	s_wait_xcnt 0x0
	s_or_b32 exec_lo, exec_lo, s11
	s_delay_alu instid0(SALU_CYCLE_1)
	s_mov_b32 s11, exec_lo
	v_cmpx_gt_u32_e64 s7, v112
	s_cbranch_execnz .LBB1245_918
	s_branch .LBB1245_919
.LBB1245_967:                           ;   in Loop: Header=BB1245_17 Depth=1
	v_mov_b32_e32 v22, 0
	s_wait_dscnt 0x0
	s_barrier_signal -1
	s_barrier_wait -1
	s_and_saveexec_b32 s7, s0
	s_cbranch_execz .LBB1245_969
; %bb.968:                              ;   in Loop: Header=BB1245_17 Depth=1
	ds_load_2addr_b64 v[22:25], v115 offset1:1
	s_wait_dscnt 0x0
	v_add_nc_u32_e32 v22, v23, v22
	s_delay_alu instid0(VALU_DEP_1)
	v_add3_u32 v22, v22, v24, v25
.LBB1245_969:                           ;   in Loop: Header=BB1245_17 Depth=1
	s_or_b32 exec_lo, exec_lo, s7
	s_delay_alu instid0(VALU_DEP_1)
	v_mov_b32_dpp v23, v22 row_shr:1 row_mask:0xf bank_mask:0xf
	v_cmp_eq_u32_e64 s7, 0, v126
	v_cmp_lt_u32_e64 s8, 1, v126
	v_cmp_lt_u32_e64 s9, 3, v126
	;; [unrolled: 1-line block ×3, first 2 shown]
	v_cmp_eq_u32_e64 s11, 0, v128
	v_cndmask_b32_e64 v23, v23, 0, s7
	s_delay_alu instid0(VALU_DEP_1) | instskip(NEXT) | instid1(VALU_DEP_1)
	v_add_nc_u32_e32 v22, v23, v22
	v_mov_b32_dpp v23, v22 row_shr:2 row_mask:0xf bank_mask:0xf
	s_delay_alu instid0(VALU_DEP_1) | instskip(NEXT) | instid1(VALU_DEP_1)
	v_cndmask_b32_e64 v23, 0, v23, s8
	v_add_nc_u32_e32 v22, v22, v23
	s_delay_alu instid0(VALU_DEP_1) | instskip(NEXT) | instid1(VALU_DEP_1)
	v_mov_b32_dpp v23, v22 row_shr:4 row_mask:0xf bank_mask:0xf
	v_cndmask_b32_e64 v23, 0, v23, s9
	s_delay_alu instid0(VALU_DEP_1) | instskip(NEXT) | instid1(VALU_DEP_1)
	v_add_nc_u32_e32 v22, v22, v23
	v_mov_b32_dpp v23, v22 row_shr:8 row_mask:0xf bank_mask:0xf
	s_delay_alu instid0(VALU_DEP_1) | instskip(NEXT) | instid1(VALU_DEP_1)
	v_cndmask_b32_e64 v23, 0, v23, s10
	v_add_nc_u32_e32 v22, v22, v23
	ds_swizzle_b32 v23, v22 offset:swizzle(BROADCAST,32,15)
	s_wait_dscnt 0x0
	v_and_b32_e32 v23, v127, v23
	s_delay_alu instid0(VALU_DEP_1)
	v_add_nc_u32_e32 v22, v22, v23
	s_and_saveexec_b32 s12, s1
; %bb.970:                              ;   in Loop: Header=BB1245_17 Depth=1
	ds_store_b32 v116, v22
; %bb.971:                              ;   in Loop: Header=BB1245_17 Depth=1
	s_or_b32 exec_lo, exec_lo, s12
	s_wait_dscnt 0x0
	s_barrier_signal -1
	s_barrier_wait -1
	s_and_saveexec_b32 s12, s4
	s_cbranch_execz .LBB1245_973
; %bb.972:                              ;   in Loop: Header=BB1245_17 Depth=1
	ds_load_b32 v23, v117
	v_cmp_ne_u32_e32 vcc_lo, 0, v130
	s_wait_dscnt 0x0
	v_mov_b32_dpp v24, v23 row_shr:1 row_mask:0xf bank_mask:0xf
	s_delay_alu instid0(VALU_DEP_1) | instskip(SKIP_1) | instid1(VALU_DEP_2)
	v_cndmask_b32_e32 v24, 0, v24, vcc_lo
	v_cmp_lt_u32_e32 vcc_lo, 1, v130
	v_add_nc_u32_e32 v23, v24, v23
	s_delay_alu instid0(VALU_DEP_1) | instskip(NEXT) | instid1(VALU_DEP_1)
	v_mov_b32_dpp v24, v23 row_shr:2 row_mask:0xf bank_mask:0xf
	v_cndmask_b32_e32 v24, 0, v24, vcc_lo
	v_cmp_lt_u32_e32 vcc_lo, 3, v130
	s_delay_alu instid0(VALU_DEP_2) | instskip(NEXT) | instid1(VALU_DEP_1)
	v_add_nc_u32_e32 v23, v23, v24
	v_mov_b32_dpp v24, v23 row_shr:4 row_mask:0xf bank_mask:0xf
	s_delay_alu instid0(VALU_DEP_1) | instskip(NEXT) | instid1(VALU_DEP_1)
	v_cndmask_b32_e32 v24, 0, v24, vcc_lo
	v_add_nc_u32_e32 v23, v23, v24
	ds_store_b32 v117, v23
.LBB1245_973:                           ;   in Loop: Header=BB1245_17 Depth=1
	s_or_b32 exec_lo, exec_lo, s12
	v_mov_b32_e32 v23, 0
	s_wait_dscnt 0x0
	s_barrier_signal -1
	s_barrier_wait -1
	s_and_saveexec_b32 s12, s5
; %bb.974:                              ;   in Loop: Header=BB1245_17 Depth=1
	ds_load_b32 v23, v118
; %bb.975:                              ;   in Loop: Header=BB1245_17 Depth=1
	s_or_b32 exec_lo, exec_lo, s12
	v_cmp_gt_i32_e32 vcc_lo, 0, v131
	s_wait_dscnt 0x0
	s_barrier_signal -1
	s_barrier_wait -1
	v_cndmask_b32_e32 v24, v131, v124, vcc_lo
	s_delay_alu instid0(VALU_DEP_1)
	v_dual_add_nc_u32 v22, v23, v22 :: v_dual_lshlrev_b32 v147, 2, v24
	ds_bpermute_b32 v22, v147, v22
	s_and_saveexec_b32 s12, s0
	s_cbranch_execz .LBB1245_977
; %bb.976:                              ;   in Loop: Header=BB1245_17 Depth=1
	s_wait_dscnt 0x0
	v_cndmask_b32_e64 v22, v22, v23, s6
	s_delay_alu instid0(VALU_DEP_1)
	v_add_nc_u32_e32 v22, s56, v22
	ds_store_b32 v3, v22
.LBB1245_977:                           ;   in Loop: Header=BB1245_17 Depth=1
	s_or_b32 exec_lo, exec_lo, s12
	s_load_b64 s[12:13], s[52:53], 0x0
	v_add_nc_u64_e32 v[24:25], v[20:21], v[4:5]
	s_mov_b32 s59, s58
                                        ; implicit-def: $vgpr28_vgpr29
                                        ; implicit-def: $vgpr30_vgpr31
                                        ; implicit-def: $vgpr32_vgpr33
                                        ; implicit-def: $vgpr34_vgpr35
                                        ; implicit-def: $vgpr36_vgpr37
                                        ; implicit-def: $vgpr38_vgpr39
                                        ; implicit-def: $vgpr40_vgpr41
                                        ; implicit-def: $vgpr42_vgpr43
                                        ; implicit-def: $vgpr44_vgpr45
                                        ; implicit-def: $vgpr46_vgpr47
                                        ; implicit-def: $vgpr48_vgpr49
                                        ; implicit-def: $vgpr50_vgpr51
                                        ; implicit-def: $vgpr52_vgpr53
                                        ; implicit-def: $vgpr54_vgpr55
                                        ; implicit-def: $vgpr56_vgpr57
                                        ; implicit-def: $vgpr149
                                        ; implicit-def: $vgpr150
                                        ; implicit-def: $vgpr151
                                        ; implicit-def: $vgpr152
                                        ; implicit-def: $vgpr153
                                        ; implicit-def: $vgpr154
                                        ; implicit-def: $vgpr155
                                        ; implicit-def: $vgpr156
                                        ; implicit-def: $vgpr157
                                        ; implicit-def: $vgpr158
                                        ; implicit-def: $vgpr159
                                        ; implicit-def: $vgpr160
                                        ; implicit-def: $vgpr161
                                        ; implicit-def: $vgpr162
                                        ; implicit-def: $vgpr163
                                        ; implicit-def: $vgpr164
	s_wait_kmcnt 0x0
	s_cmp_lt_u32 s33, s12
	s_cselect_b32 s34, 12, 18
	s_cmp_lt_u32 s31, s13
	s_mov_b32 s13, s35
	s_cselect_b32 s12, 14, 20
	s_delay_alu instid0(SALU_CYCLE_1)
	s_add_nc_u64 s[12:13], s[52:53], s[12:13]
	s_load_u16 s14, s[12:13], 0x0
	s_wait_xcnt 0x0
	s_add_nc_u64 s[12:13], s[52:53], s[34:35]
	s_mov_b32 s34, s56
	s_load_u16 s12, s[12:13], 0x0
	s_wait_xcnt 0x0
	v_cmp_lt_u32_e64 s13, 1, v130
	s_wait_dscnt 0x0
	s_wait_kmcnt 0x0
	v_mad_u32_u24 v22, v119, s14, v121
	v_cmp_lt_u32_e64 s14, 3, v130
	s_delay_alu instid0(VALU_DEP_2) | instskip(SKIP_1) | instid1(VALU_DEP_2)
	v_mad_u32 v22, v22, s12, v2
	v_cmp_eq_u32_e64 s12, 0, v130
	v_lshrrev_b32_e32 v26, 3, v22
	v_add_nc_u64_e32 v[22:23], v[18:19], v[4:5]
	s_delay_alu instid0(VALU_DEP_2)
	v_and_b32_e32 v148, 0x1ffffffc, v26
                                        ; implicit-def: $vgpr26_vgpr27
	s_branch .LBB1245_979
.LBB1245_978:                           ;   in Loop: Header=BB1245_979 Depth=2
	s_or_b32 exec_lo, exec_lo, s15
	s_addk_co_i32 s59, 0xf000
	s_cmp_lt_u32 s60, s51
	s_mov_b32 s34, s60
	s_cbranch_scc0 .LBB1245_15
.LBB1245_979:                           ;   Parent Loop BB1245_17 Depth=1
                                        ; =>  This Inner Loop Header: Depth=2
	s_add_co_i32 s60, s34, 0x1000
	s_delay_alu instid0(SALU_CYCLE_1)
	s_cmp_gt_u32 s60, s51
	s_cbranch_scc1 .LBB1245_981
; %bb.980:                              ;   in Loop: Header=BB1245_979 Depth=2
	v_lshl_add_u64 v[66:67], s[34:35], 3, v[24:25]
	s_mov_b32 s15, -1
	s_clause 0xe
	global_load_b64 v[58:59], v[66:67], off
	global_load_b64 v[60:61], v[66:67], off offset:256
	global_load_b64 v[62:63], v[66:67], off offset:512
	;; [unrolled: 1-line block ×14, first 2 shown]
	s_movk_i32 s16, 0x1000
	s_cbranch_execz .LBB1245_982
	s_branch .LBB1245_1013
.LBB1245_981:                           ;   in Loop: Header=BB1245_979 Depth=2
	s_mov_b32 s15, 0
                                        ; implicit-def: $vgpr58_vgpr59
                                        ; implicit-def: $vgpr60_vgpr61
                                        ; implicit-def: $vgpr62_vgpr63
                                        ; implicit-def: $vgpr70_vgpr71
                                        ; implicit-def: $vgpr74_vgpr75
                                        ; implicit-def: $vgpr78_vgpr79
                                        ; implicit-def: $vgpr82_vgpr83
                                        ; implicit-def: $vgpr86_vgpr87
                                        ; implicit-def: $vgpr88_vgpr89
                                        ; implicit-def: $vgpr84_vgpr85
                                        ; implicit-def: $vgpr80_vgpr81
                                        ; implicit-def: $vgpr76_vgpr77
                                        ; implicit-def: $vgpr72_vgpr73
                                        ; implicit-def: $vgpr68_vgpr69
                                        ; implicit-def: $vgpr64_vgpr65
	s_movk_i32 s16, 0x1000
.LBB1245_982:                           ;   in Loop: Header=BB1245_979 Depth=2
	s_wait_loadcnt 0xd
	v_mov_b64_e32 v[60:61], 0x7fffffffffffffff
	v_mov_b64_e32 v[58:59], 0x7fffffffffffffff
	s_wait_xcnt 0x0
	v_lshl_add_u64 v[66:67], s[34:35], 3, v[24:25]
	s_mov_b32 s15, exec_lo
	v_cmpx_gt_u32_e64 s59, v129
	s_cbranch_execz .LBB1245_984
; %bb.983:                              ;   in Loop: Header=BB1245_979 Depth=2
	global_load_b64 v[58:59], v[66:67], off
.LBB1245_984:                           ;   in Loop: Header=BB1245_979 Depth=2
	s_wait_xcnt 0x0
	s_or_b32 exec_lo, exec_lo, s15
	s_delay_alu instid0(SALU_CYCLE_1)
	s_mov_b32 s15, exec_lo
	v_cmpx_gt_u32_e64 s59, v132
	s_cbranch_execz .LBB1245_986
; %bb.985:                              ;   in Loop: Header=BB1245_979 Depth=2
	global_load_b64 v[60:61], v[66:67], off offset:256
.LBB1245_986:                           ;   in Loop: Header=BB1245_979 Depth=2
	s_wait_xcnt 0x0
	s_or_b32 exec_lo, exec_lo, s15
	s_wait_loadcnt 0xb
	v_mov_b64_e32 v[70:71], 0x7fffffffffffffff
	v_mov_b64_e32 v[62:63], 0x7fffffffffffffff
	s_mov_b32 s15, exec_lo
	v_cmpx_gt_u32_e64 s59, v133
	s_cbranch_execz .LBB1245_988
; %bb.987:                              ;   in Loop: Header=BB1245_979 Depth=2
	global_load_b64 v[62:63], v[66:67], off offset:512
.LBB1245_988:                           ;   in Loop: Header=BB1245_979 Depth=2
	s_wait_xcnt 0x0
	s_or_b32 exec_lo, exec_lo, s15
	s_delay_alu instid0(SALU_CYCLE_1)
	s_mov_b32 s15, exec_lo
	v_cmpx_gt_u32_e64 s59, v134
	s_cbranch_execz .LBB1245_990
; %bb.989:                              ;   in Loop: Header=BB1245_979 Depth=2
	global_load_b64 v[70:71], v[66:67], off offset:768
.LBB1245_990:                           ;   in Loop: Header=BB1245_979 Depth=2
	s_wait_xcnt 0x0
	s_or_b32 exec_lo, exec_lo, s15
	s_wait_loadcnt 0x9
	v_mov_b64_e32 v[78:79], 0x7fffffffffffffff
	v_mov_b64_e32 v[74:75], 0x7fffffffffffffff
	s_mov_b32 s15, exec_lo
	v_cmpx_gt_u32_e64 s59, v135
	s_cbranch_execz .LBB1245_992
; %bb.991:                              ;   in Loop: Header=BB1245_979 Depth=2
	global_load_b64 v[74:75], v[66:67], off offset:1024
.LBB1245_992:                           ;   in Loop: Header=BB1245_979 Depth=2
	;; [unrolled: 20-line block ×3, first 2 shown]
	s_wait_xcnt 0x0
	s_or_b32 exec_lo, exec_lo, s15
	s_delay_alu instid0(SALU_CYCLE_1)
	s_mov_b32 s15, exec_lo
	v_cmpx_gt_u32_e64 s59, v138
	s_cbranch_execz .LBB1245_998
; %bb.997:                              ;   in Loop: Header=BB1245_979 Depth=2
	global_load_b64 v[86:87], v[66:67], off offset:1792
.LBB1245_998:                           ;   in Loop: Header=BB1245_979 Depth=2
	s_wait_xcnt 0x0
	s_or_b32 exec_lo, exec_lo, s15
	s_wait_loadcnt 0x5
	v_mov_b64_e32 v[84:85], 0x7fffffffffffffff
	v_mov_b64_e32 v[88:89], 0x7fffffffffffffff
	s_mov_b32 s15, exec_lo
	v_cmpx_gt_u32_e64 s59, v139
	s_cbranch_execz .LBB1245_1000
; %bb.999:                              ;   in Loop: Header=BB1245_979 Depth=2
	global_load_b64 v[88:89], v[66:67], off offset:2048
.LBB1245_1000:                          ;   in Loop: Header=BB1245_979 Depth=2
	s_wait_xcnt 0x0
	s_or_b32 exec_lo, exec_lo, s15
	s_delay_alu instid0(SALU_CYCLE_1)
	s_mov_b32 s15, exec_lo
	v_cmpx_gt_u32_e64 s59, v140
	s_cbranch_execz .LBB1245_1002
; %bb.1001:                             ;   in Loop: Header=BB1245_979 Depth=2
	global_load_b64 v[84:85], v[66:67], off offset:2304
.LBB1245_1002:                          ;   in Loop: Header=BB1245_979 Depth=2
	s_wait_xcnt 0x0
	s_or_b32 exec_lo, exec_lo, s15
	s_wait_loadcnt 0x3
	v_mov_b64_e32 v[76:77], 0x7fffffffffffffff
	v_mov_b64_e32 v[80:81], 0x7fffffffffffffff
	s_mov_b32 s15, exec_lo
	v_cmpx_gt_u32_e64 s59, v141
	s_cbranch_execz .LBB1245_1004
; %bb.1003:                             ;   in Loop: Header=BB1245_979 Depth=2
	global_load_b64 v[80:81], v[66:67], off offset:2560
.LBB1245_1004:                          ;   in Loop: Header=BB1245_979 Depth=2
	s_wait_xcnt 0x0
	s_or_b32 exec_lo, exec_lo, s15
	s_delay_alu instid0(SALU_CYCLE_1)
	s_mov_b32 s15, exec_lo
	v_cmpx_gt_u32_e64 s59, v142
	s_cbranch_execz .LBB1245_1006
; %bb.1005:                             ;   in Loop: Header=BB1245_979 Depth=2
	global_load_b64 v[76:77], v[66:67], off offset:2816
.LBB1245_1006:                          ;   in Loop: Header=BB1245_979 Depth=2
	s_wait_xcnt 0x0
	s_or_b32 exec_lo, exec_lo, s15
	s_wait_loadcnt 0x1
	v_mov_b64_e32 v[68:69], 0x7fffffffffffffff
	v_mov_b64_e32 v[72:73], 0x7fffffffffffffff
	s_mov_b32 s15, exec_lo
	v_cmpx_gt_u32_e64 s59, v143
	s_cbranch_execz .LBB1245_1008
; %bb.1007:                             ;   in Loop: Header=BB1245_979 Depth=2
	global_load_b64 v[72:73], v[66:67], off offset:3072
.LBB1245_1008:                          ;   in Loop: Header=BB1245_979 Depth=2
	s_wait_xcnt 0x0
	s_or_b32 exec_lo, exec_lo, s15
	s_delay_alu instid0(SALU_CYCLE_1)
	s_mov_b32 s15, exec_lo
	v_cmpx_gt_u32_e64 s59, v144
	s_cbranch_execz .LBB1245_1010
; %bb.1009:                             ;   in Loop: Header=BB1245_979 Depth=2
	global_load_b64 v[68:69], v[66:67], off offset:3328
.LBB1245_1010:                          ;   in Loop: Header=BB1245_979 Depth=2
	s_wait_xcnt 0x0
	s_or_b32 exec_lo, exec_lo, s15
	s_wait_loadcnt 0x0
	v_mov_b64_e32 v[64:65], 0x7fffffffffffffff
	s_mov_b32 s15, exec_lo
	v_cmpx_gt_u32_e64 s59, v145
	s_cbranch_execz .LBB1245_1012
; %bb.1011:                             ;   in Loop: Header=BB1245_979 Depth=2
	global_load_b64 v[64:65], v[66:67], off offset:3584
.LBB1245_1012:                          ;   in Loop: Header=BB1245_979 Depth=2
	s_wait_xcnt 0x0
	s_or_b32 exec_lo, exec_lo, s15
	v_cmp_gt_u32_e64 s15, s59, v146
	s_sub_co_i32 s16, s51, s34
.LBB1245_1013:                          ;   in Loop: Header=BB1245_979 Depth=2
	s_wait_xcnt 0x0
	v_mov_b64_e32 v[66:67], 0x7fffffffffffffff
	v_mov_b32_e32 v165, s59
	s_and_saveexec_b32 s17, s15
	s_cbranch_execz .LBB1245_1015
; %bb.1014:                             ;   in Loop: Header=BB1245_979 Depth=2
	v_lshl_add_u64 v[66:67], s[34:35], 3, v[24:25]
	v_mov_b32_e32 v165, s16
	global_load_b64 v[66:67], v[66:67], off offset:3840
.LBB1245_1015:                          ;   in Loop: Header=BB1245_979 Depth=2
	s_wait_xcnt 0x0
	s_or_b32 exec_lo, exec_lo, s17
	s_wait_loadcnt 0xe
	v_cmp_lt_i64_e32 vcc_lo, -1, v[58:59]
	v_add_nc_u32_e32 v168, 0x420, v120
	v_add_nc_u32_e32 v169, 0x428, v120
	;; [unrolled: 1-line block ×3, first 2 shown]
	v_cndmask_b32_e64 v90, -1, 0x80000000, vcc_lo
	s_delay_alu instid0(VALU_DEP_1) | instskip(NEXT) | instid1(VALU_DEP_1)
	v_dual_ashrrev_i32 v91, 31, v59 :: v_dual_bitop2_b32 v59, v90, v59 bitop3:0x14
	v_xor_b32_e32 v58, v91, v58
	s_delay_alu instid0(VALU_DEP_1) | instskip(SKIP_2) | instid1(VALU_DEP_1)
	v_cmp_ne_u64_e32 vcc_lo, s[42:43], v[58:59]
	v_cndmask_b32_e32 v91, 0x80000000, v59, vcc_lo
	v_cndmask_b32_e32 v90, 0, v58, vcc_lo
	v_lshrrev_b64 v[90:91], s48, v[90:91]
	s_delay_alu instid0(VALU_DEP_1) | instskip(SKIP_1) | instid1(VALU_DEP_2)
	v_bitop3_b32 v91, v90, 1, s55 bitop3:0x80
	v_and_b32_e32 v92, s55, v90
	v_add_co_u32 v90, s15, v91, -1
	s_delay_alu instid0(VALU_DEP_1) | instskip(NEXT) | instid1(VALU_DEP_3)
	v_cndmask_b32_e64 v91, 0, 1, s15
	v_lshlrev_b32_e32 v93, 30, v92
	s_delay_alu instid0(VALU_DEP_2) | instskip(NEXT) | instid1(VALU_DEP_2)
	v_cmp_ne_u32_e32 vcc_lo, 0, v91
	v_not_b32_e32 v91, v93
	v_cmp_gt_i32_e64 s15, 0, v93
	s_delay_alu instid0(VALU_DEP_2) | instskip(SKIP_3) | instid1(VALU_DEP_4)
	v_dual_ashrrev_i32 v91, 31, v91 :: v_dual_lshlrev_b32 v94, 29, v92
	v_dual_lshlrev_b32 v95, 28, v92 :: v_dual_lshlrev_b32 v96, 27, v92
	v_dual_lshlrev_b32 v97, 26, v92 :: v_dual_lshlrev_b32 v166, 25, v92
	v_lshlrev_b32_e32 v167, 24, v92
	v_cmp_gt_i32_e64 s16, 0, v94
	v_not_b32_e32 v93, v94
	v_not_b32_e32 v94, v95
	v_cmp_gt_i32_e64 s17, 0, v95
	v_cmp_gt_i32_e64 s18, 0, v96
	v_not_b32_e32 v95, v96
	v_not_b32_e32 v96, v97
	v_dual_ashrrev_i32 v93, 31, v93 :: v_dual_bitop2_b32 v90, vcc_lo, v90 bitop3:0x14
	v_dual_ashrrev_i32 v94, 31, v94 :: v_dual_bitop2_b32 v91, s15, v91 bitop3:0x14
	v_cmp_gt_i32_e64 s19, 0, v97
	v_cmp_gt_i32_e64 s20, 0, v166
	v_not_b32_e32 v97, v166
	v_not_b32_e32 v166, v167
	v_dual_ashrrev_i32 v95, 31, v95 :: v_dual_ashrrev_i32 v96, 31, v96
	v_xor_b32_e32 v93, s16, v93
	v_xor_b32_e32 v94, s17, v94
	v_bitop3_b32 v90, v90, v91, exec_lo bitop3:0x80
	v_cmp_gt_i32_e64 s21, 0, v167
	v_dual_ashrrev_i32 v91, 31, v97 :: v_dual_ashrrev_i32 v97, 31, v166
	v_xor_b32_e32 v95, s18, v95
	v_xor_b32_e32 v96, s19, v96
	v_bitop3_b32 v90, v90, v94, v93 bitop3:0x80
	s_delay_alu instid0(VALU_DEP_4) | instskip(SKIP_2) | instid1(VALU_DEP_4)
	v_xor_b32_e32 v91, s20, v91
	v_xor_b32_e32 v93, s21, v97
	v_add_nc_u32_e32 v167, 0x438, v120
	v_bitop3_b32 v90, v90, v96, v95 bitop3:0x80
	ds_store_2addr_b32 v167, v5, v5 offset1:1
	ds_store_2addr_b32 v168, v5, v5 offset1:1
	;; [unrolled: 1-line block ×4, first 2 shown]
	ds_store_b32 v120, v5 offset:1088
	v_bitop3_b32 v90, v90, v93, v91 bitop3:0x80
	v_mul_u32_u24_e32 v91, 36, v92
	s_wait_loadcnt_dscnt 0x0
	s_barrier_signal -1
	s_barrier_wait -1
	v_mbcnt_lo_u32_b32 v166, v90, 0
	v_cmp_ne_u32_e64 s15, 0, v90
	v_add_nc_u32_e32 v171, v148, v91
	s_delay_alu instid0(VALU_DEP_3) | instskip(SKIP_1) | instid1(SALU_CYCLE_1)
	v_cmp_eq_u32_e32 vcc_lo, 0, v166
	; wave barrier
	s_and_b32 s16, s15, vcc_lo
	s_and_saveexec_b32 s15, s16
; %bb.1016:                             ;   in Loop: Header=BB1245_979 Depth=2
	v_bcnt_u32_b32 v90, v90, 0
	ds_store_b32 v171, v90 offset:1056
; %bb.1017:                             ;   in Loop: Header=BB1245_979 Depth=2
	s_or_b32 exec_lo, exec_lo, s15
	v_cmp_lt_i64_e32 vcc_lo, -1, v[60:61]
	; wave barrier
	v_cndmask_b32_e64 v90, -1, 0x80000000, vcc_lo
	s_delay_alu instid0(VALU_DEP_1) | instskip(NEXT) | instid1(VALU_DEP_1)
	v_dual_ashrrev_i32 v91, 31, v61 :: v_dual_bitop2_b32 v61, v90, v61 bitop3:0x14
	v_xor_b32_e32 v60, v91, v60
	s_delay_alu instid0(VALU_DEP_1) | instskip(SKIP_2) | instid1(VALU_DEP_1)
	v_cmp_ne_u64_e32 vcc_lo, s[42:43], v[60:61]
	v_cndmask_b32_e32 v91, 0x80000000, v61, vcc_lo
	v_cndmask_b32_e32 v90, 0, v60, vcc_lo
	v_lshrrev_b64 v[90:91], s48, v[90:91]
	s_delay_alu instid0(VALU_DEP_1) | instskip(SKIP_1) | instid1(VALU_DEP_2)
	v_bitop3_b32 v91, v90, 1, s55 bitop3:0x80
	v_and_b32_e32 v92, s55, v90
	v_add_co_u32 v90, s15, v91, -1
	s_delay_alu instid0(VALU_DEP_1) | instskip(NEXT) | instid1(VALU_DEP_3)
	v_cndmask_b32_e64 v91, 0, 1, s15
	v_dual_lshlrev_b32 v93, 30, v92 :: v_dual_lshlrev_b32 v95, 28, v92
	v_dual_lshlrev_b32 v94, 29, v92 :: v_dual_lshlrev_b32 v96, 27, v92
	s_delay_alu instid0(VALU_DEP_3) | instskip(NEXT) | instid1(VALU_DEP_3)
	v_cmp_ne_u32_e32 vcc_lo, 0, v91
	v_cmp_gt_i32_e64 s15, 0, v93
	v_not_b32_e32 v91, v93
	s_delay_alu instid0(VALU_DEP_4) | instskip(SKIP_4) | instid1(VALU_DEP_4)
	v_cmp_gt_i32_e64 s16, 0, v94
	v_not_b32_e32 v93, v94
	v_cmp_gt_i32_e64 s17, 0, v95
	v_not_b32_e32 v94, v95
	v_not_b32_e32 v95, v96
	v_dual_ashrrev_i32 v91, 31, v91 :: v_dual_ashrrev_i32 v93, 31, v93
	s_delay_alu instid0(VALU_DEP_2) | instskip(SKIP_4) | instid1(VALU_DEP_4)
	v_dual_ashrrev_i32 v94, 31, v94 :: v_dual_ashrrev_i32 v95, 31, v95
	v_dual_lshlrev_b32 v97, 26, v92 :: v_dual_lshlrev_b32 v172, 25, v92
	v_lshlrev_b32_e32 v173, 24, v92
	v_cmp_gt_i32_e64 s18, 0, v96
	v_xor_b32_e32 v91, s15, v91
	v_not_b32_e32 v96, v97
	v_xor_b32_e32 v90, vcc_lo, v90
	v_cmp_gt_i32_e64 s19, 0, v97
	v_cmp_gt_i32_e64 s20, 0, v172
	v_not_b32_e32 v97, v172
	v_not_b32_e32 v172, v173
	v_dual_ashrrev_i32 v96, 31, v96 :: v_dual_bitop2_b32 v93, s16, v93 bitop3:0x14
	v_xor_b32_e32 v94, s17, v94
	v_bitop3_b32 v90, v90, v91, exec_lo bitop3:0x80
	v_cmp_gt_i32_e64 s21, 0, v173
	v_dual_ashrrev_i32 v91, 31, v97 :: v_dual_ashrrev_i32 v97, 31, v172
	v_xor_b32_e32 v95, s18, v95
	v_xor_b32_e32 v96, s19, v96
	v_bitop3_b32 v90, v90, v94, v93 bitop3:0x80
	v_mad_u32_u24 v93, v92, 36, v148
	v_xor_b32_e32 v91, s20, v91
	v_xor_b32_e32 v94, s21, v97
	s_delay_alu instid0(VALU_DEP_4) | instskip(SKIP_3) | instid1(VALU_DEP_2)
	v_bitop3_b32 v90, v90, v96, v95 bitop3:0x80
	ds_load_b32 v172, v93 offset:1056
	; wave barrier
	v_bitop3_b32 v90, v90, v94, v91 bitop3:0x80
	v_mul_u32_u24_e32 v91, 36, v92
	v_mbcnt_lo_u32_b32 v173, v90, 0
	v_cmp_ne_u32_e64 s15, 0, v90
	s_delay_alu instid0(VALU_DEP_3) | instskip(NEXT) | instid1(VALU_DEP_3)
	v_add_nc_u32_e32 v174, v148, v91
	v_cmp_eq_u32_e32 vcc_lo, 0, v173
	s_and_b32 s16, s15, vcc_lo
	s_delay_alu instid0(SALU_CYCLE_1)
	s_and_saveexec_b32 s15, s16
	s_cbranch_execz .LBB1245_1019
; %bb.1018:                             ;   in Loop: Header=BB1245_979 Depth=2
	s_wait_dscnt 0x0
	v_bcnt_u32_b32 v90, v90, v172
	ds_store_b32 v174, v90 offset:1056
.LBB1245_1019:                          ;   in Loop: Header=BB1245_979 Depth=2
	s_or_b32 exec_lo, exec_lo, s15
	v_cmp_lt_i64_e32 vcc_lo, -1, v[62:63]
	; wave barrier
	v_cndmask_b32_e64 v90, -1, 0x80000000, vcc_lo
	s_delay_alu instid0(VALU_DEP_1) | instskip(NEXT) | instid1(VALU_DEP_1)
	v_dual_ashrrev_i32 v91, 31, v63 :: v_dual_bitop2_b32 v63, v90, v63 bitop3:0x14
	v_xor_b32_e32 v62, v91, v62
	s_delay_alu instid0(VALU_DEP_1) | instskip(SKIP_2) | instid1(VALU_DEP_1)
	v_cmp_ne_u64_e32 vcc_lo, s[42:43], v[62:63]
	v_cndmask_b32_e32 v91, 0x80000000, v63, vcc_lo
	v_cndmask_b32_e32 v90, 0, v62, vcc_lo
	v_lshrrev_b64 v[90:91], s48, v[90:91]
	s_delay_alu instid0(VALU_DEP_1) | instskip(SKIP_1) | instid1(VALU_DEP_2)
	v_bitop3_b32 v91, v90, 1, s55 bitop3:0x80
	v_and_b32_e32 v92, s55, v90
	v_add_co_u32 v90, s15, v91, -1
	s_delay_alu instid0(VALU_DEP_1) | instskip(NEXT) | instid1(VALU_DEP_3)
	v_cndmask_b32_e64 v91, 0, 1, s15
	v_lshlrev_b32_e32 v93, 30, v92
	s_delay_alu instid0(VALU_DEP_2) | instskip(NEXT) | instid1(VALU_DEP_2)
	v_cmp_ne_u32_e32 vcc_lo, 0, v91
	v_not_b32_e32 v91, v93
	v_cmp_gt_i32_e64 s15, 0, v93
	s_delay_alu instid0(VALU_DEP_2) | instskip(SKIP_3) | instid1(VALU_DEP_4)
	v_dual_ashrrev_i32 v91, 31, v91 :: v_dual_lshlrev_b32 v94, 29, v92
	v_dual_lshlrev_b32 v95, 28, v92 :: v_dual_lshlrev_b32 v96, 27, v92
	v_dual_lshlrev_b32 v97, 26, v92 :: v_dual_lshlrev_b32 v175, 25, v92
	v_lshlrev_b32_e32 v176, 24, v92
	v_cmp_gt_i32_e64 s16, 0, v94
	v_not_b32_e32 v93, v94
	v_not_b32_e32 v94, v95
	v_cmp_gt_i32_e64 s17, 0, v95
	v_cmp_gt_i32_e64 s18, 0, v96
	v_not_b32_e32 v95, v96
	v_not_b32_e32 v96, v97
	v_dual_ashrrev_i32 v93, 31, v93 :: v_dual_bitop2_b32 v90, vcc_lo, v90 bitop3:0x14
	v_dual_ashrrev_i32 v94, 31, v94 :: v_dual_bitop2_b32 v91, s15, v91 bitop3:0x14
	v_cmp_gt_i32_e64 s19, 0, v97
	v_cmp_gt_i32_e64 s20, 0, v175
	v_not_b32_e32 v97, v175
	v_not_b32_e32 v175, v176
	v_dual_ashrrev_i32 v95, 31, v95 :: v_dual_ashrrev_i32 v96, 31, v96
	v_xor_b32_e32 v93, s16, v93
	v_xor_b32_e32 v94, s17, v94
	v_bitop3_b32 v90, v90, v91, exec_lo bitop3:0x80
	v_cmp_gt_i32_e64 s21, 0, v176
	v_dual_ashrrev_i32 v91, 31, v97 :: v_dual_ashrrev_i32 v97, 31, v175
	v_xor_b32_e32 v95, s18, v95
	v_xor_b32_e32 v96, s19, v96
	v_bitop3_b32 v90, v90, v94, v93 bitop3:0x80
	v_mad_u32_u24 v93, v92, 36, v148
	v_xor_b32_e32 v91, s20, v91
	v_xor_b32_e32 v94, s21, v97
	s_delay_alu instid0(VALU_DEP_4) | instskip(SKIP_3) | instid1(VALU_DEP_2)
	v_bitop3_b32 v90, v90, v96, v95 bitop3:0x80
	ds_load_b32 v175, v93 offset:1056
	; wave barrier
	v_bitop3_b32 v90, v90, v94, v91 bitop3:0x80
	v_mul_u32_u24_e32 v91, 36, v92
	v_mbcnt_lo_u32_b32 v176, v90, 0
	v_cmp_ne_u32_e64 s15, 0, v90
	s_delay_alu instid0(VALU_DEP_3) | instskip(NEXT) | instid1(VALU_DEP_3)
	v_add_nc_u32_e32 v177, v148, v91
	v_cmp_eq_u32_e32 vcc_lo, 0, v176
	s_and_b32 s16, s15, vcc_lo
	s_delay_alu instid0(SALU_CYCLE_1)
	s_and_saveexec_b32 s15, s16
	s_cbranch_execz .LBB1245_1021
; %bb.1020:                             ;   in Loop: Header=BB1245_979 Depth=2
	s_wait_dscnt 0x0
	v_bcnt_u32_b32 v90, v90, v175
	ds_store_b32 v177, v90 offset:1056
.LBB1245_1021:                          ;   in Loop: Header=BB1245_979 Depth=2
	s_or_b32 exec_lo, exec_lo, s15
	v_cmp_lt_i64_e32 vcc_lo, -1, v[70:71]
	; wave barrier
	v_cndmask_b32_e64 v90, -1, 0x80000000, vcc_lo
	s_delay_alu instid0(VALU_DEP_1) | instskip(NEXT) | instid1(VALU_DEP_1)
	v_dual_ashrrev_i32 v91, 31, v71 :: v_dual_bitop2_b32 v71, v90, v71 bitop3:0x14
	v_xor_b32_e32 v70, v91, v70
	s_delay_alu instid0(VALU_DEP_1) | instskip(SKIP_2) | instid1(VALU_DEP_1)
	v_cmp_ne_u64_e32 vcc_lo, s[42:43], v[70:71]
	v_cndmask_b32_e32 v91, 0x80000000, v71, vcc_lo
	v_cndmask_b32_e32 v90, 0, v70, vcc_lo
	v_lshrrev_b64 v[90:91], s48, v[90:91]
	s_delay_alu instid0(VALU_DEP_1) | instskip(SKIP_1) | instid1(VALU_DEP_2)
	v_bitop3_b32 v91, v90, 1, s55 bitop3:0x80
	v_and_b32_e32 v92, s55, v90
	v_add_co_u32 v90, s15, v91, -1
	s_delay_alu instid0(VALU_DEP_1) | instskip(NEXT) | instid1(VALU_DEP_3)
	v_cndmask_b32_e64 v91, 0, 1, s15
	v_lshlrev_b32_e32 v93, 30, v92
	s_delay_alu instid0(VALU_DEP_2) | instskip(NEXT) | instid1(VALU_DEP_2)
	v_cmp_ne_u32_e32 vcc_lo, 0, v91
	v_not_b32_e32 v91, v93
	v_cmp_gt_i32_e64 s15, 0, v93
	s_delay_alu instid0(VALU_DEP_2) | instskip(SKIP_3) | instid1(VALU_DEP_4)
	v_dual_ashrrev_i32 v91, 31, v91 :: v_dual_lshlrev_b32 v94, 29, v92
	v_dual_lshlrev_b32 v95, 28, v92 :: v_dual_lshlrev_b32 v96, 27, v92
	v_dual_lshlrev_b32 v97, 26, v92 :: v_dual_lshlrev_b32 v178, 25, v92
	v_lshlrev_b32_e32 v179, 24, v92
	v_cmp_gt_i32_e64 s16, 0, v94
	v_not_b32_e32 v93, v94
	v_not_b32_e32 v94, v95
	v_cmp_gt_i32_e64 s17, 0, v95
	v_cmp_gt_i32_e64 s18, 0, v96
	v_not_b32_e32 v95, v96
	v_not_b32_e32 v96, v97
	v_dual_ashrrev_i32 v93, 31, v93 :: v_dual_bitop2_b32 v90, vcc_lo, v90 bitop3:0x14
	v_dual_ashrrev_i32 v94, 31, v94 :: v_dual_bitop2_b32 v91, s15, v91 bitop3:0x14
	v_cmp_gt_i32_e64 s19, 0, v97
	v_cmp_gt_i32_e64 s20, 0, v178
	v_not_b32_e32 v97, v178
	v_not_b32_e32 v178, v179
	v_dual_ashrrev_i32 v95, 31, v95 :: v_dual_ashrrev_i32 v96, 31, v96
	v_xor_b32_e32 v93, s16, v93
	v_xor_b32_e32 v94, s17, v94
	v_bitop3_b32 v90, v90, v91, exec_lo bitop3:0x80
	v_cmp_gt_i32_e64 s21, 0, v179
	v_dual_ashrrev_i32 v91, 31, v97 :: v_dual_ashrrev_i32 v97, 31, v178
	v_xor_b32_e32 v95, s18, v95
	v_xor_b32_e32 v96, s19, v96
	v_bitop3_b32 v90, v90, v94, v93 bitop3:0x80
	v_mad_u32_u24 v93, v92, 36, v148
	v_xor_b32_e32 v91, s20, v91
	v_xor_b32_e32 v94, s21, v97
	s_delay_alu instid0(VALU_DEP_4) | instskip(SKIP_3) | instid1(VALU_DEP_2)
	v_bitop3_b32 v90, v90, v96, v95 bitop3:0x80
	ds_load_b32 v178, v93 offset:1056
	; wave barrier
	v_bitop3_b32 v90, v90, v94, v91 bitop3:0x80
	v_mul_u32_u24_e32 v91, 36, v92
	v_mbcnt_lo_u32_b32 v179, v90, 0
	v_cmp_ne_u32_e64 s15, 0, v90
	s_delay_alu instid0(VALU_DEP_3) | instskip(NEXT) | instid1(VALU_DEP_3)
	v_add_nc_u32_e32 v180, v148, v91
	v_cmp_eq_u32_e32 vcc_lo, 0, v179
	s_and_b32 s16, s15, vcc_lo
	s_delay_alu instid0(SALU_CYCLE_1)
	s_and_saveexec_b32 s15, s16
	s_cbranch_execz .LBB1245_1023
; %bb.1022:                             ;   in Loop: Header=BB1245_979 Depth=2
	s_wait_dscnt 0x0
	v_bcnt_u32_b32 v90, v90, v178
	ds_store_b32 v180, v90 offset:1056
.LBB1245_1023:                          ;   in Loop: Header=BB1245_979 Depth=2
	s_or_b32 exec_lo, exec_lo, s15
	v_cmp_lt_i64_e32 vcc_lo, -1, v[74:75]
	; wave barrier
	v_cndmask_b32_e64 v90, -1, 0x80000000, vcc_lo
	s_delay_alu instid0(VALU_DEP_1) | instskip(NEXT) | instid1(VALU_DEP_1)
	v_dual_ashrrev_i32 v91, 31, v75 :: v_dual_bitop2_b32 v75, v90, v75 bitop3:0x14
	v_xor_b32_e32 v74, v91, v74
	s_delay_alu instid0(VALU_DEP_1) | instskip(SKIP_2) | instid1(VALU_DEP_1)
	v_cmp_ne_u64_e32 vcc_lo, s[42:43], v[74:75]
	v_cndmask_b32_e32 v91, 0x80000000, v75, vcc_lo
	v_cndmask_b32_e32 v90, 0, v74, vcc_lo
	v_lshrrev_b64 v[90:91], s48, v[90:91]
	s_delay_alu instid0(VALU_DEP_1) | instskip(SKIP_1) | instid1(VALU_DEP_2)
	v_bitop3_b32 v91, v90, 1, s55 bitop3:0x80
	v_and_b32_e32 v92, s55, v90
	v_add_co_u32 v90, s15, v91, -1
	s_delay_alu instid0(VALU_DEP_1) | instskip(NEXT) | instid1(VALU_DEP_3)
	v_cndmask_b32_e64 v91, 0, 1, s15
	v_lshlrev_b32_e32 v93, 30, v92
	s_delay_alu instid0(VALU_DEP_2) | instskip(NEXT) | instid1(VALU_DEP_2)
	v_cmp_ne_u32_e32 vcc_lo, 0, v91
	v_not_b32_e32 v91, v93
	v_cmp_gt_i32_e64 s15, 0, v93
	s_delay_alu instid0(VALU_DEP_2) | instskip(SKIP_3) | instid1(VALU_DEP_4)
	v_dual_ashrrev_i32 v91, 31, v91 :: v_dual_lshlrev_b32 v94, 29, v92
	v_dual_lshlrev_b32 v95, 28, v92 :: v_dual_lshlrev_b32 v96, 27, v92
	v_dual_lshlrev_b32 v97, 26, v92 :: v_dual_lshlrev_b32 v181, 25, v92
	v_lshlrev_b32_e32 v182, 24, v92
	v_cmp_gt_i32_e64 s16, 0, v94
	v_not_b32_e32 v93, v94
	v_not_b32_e32 v94, v95
	v_cmp_gt_i32_e64 s17, 0, v95
	v_cmp_gt_i32_e64 s18, 0, v96
	v_not_b32_e32 v95, v96
	v_not_b32_e32 v96, v97
	v_dual_ashrrev_i32 v93, 31, v93 :: v_dual_bitop2_b32 v90, vcc_lo, v90 bitop3:0x14
	v_dual_ashrrev_i32 v94, 31, v94 :: v_dual_bitop2_b32 v91, s15, v91 bitop3:0x14
	v_cmp_gt_i32_e64 s19, 0, v97
	v_cmp_gt_i32_e64 s20, 0, v181
	v_not_b32_e32 v97, v181
	v_not_b32_e32 v181, v182
	v_dual_ashrrev_i32 v95, 31, v95 :: v_dual_ashrrev_i32 v96, 31, v96
	v_xor_b32_e32 v93, s16, v93
	v_xor_b32_e32 v94, s17, v94
	v_bitop3_b32 v90, v90, v91, exec_lo bitop3:0x80
	v_cmp_gt_i32_e64 s21, 0, v182
	v_ashrrev_i32_e32 v91, 31, v97
	v_dual_ashrrev_i32 v97, 31, v181 :: v_dual_bitop2_b32 v95, s18, v95 bitop3:0x14
	v_xor_b32_e32 v96, s19, v96
	v_bitop3_b32 v90, v90, v94, v93 bitop3:0x80
	v_mad_u32_u24 v93, v92, 36, v148
	v_xor_b32_e32 v91, s20, v91
	v_xor_b32_e32 v94, s21, v97
	s_delay_alu instid0(VALU_DEP_4) | instskip(SKIP_3) | instid1(VALU_DEP_2)
	v_bitop3_b32 v90, v90, v96, v95 bitop3:0x80
	ds_load_b32 v181, v93 offset:1056
	; wave barrier
	v_bitop3_b32 v90, v90, v94, v91 bitop3:0x80
	v_mul_u32_u24_e32 v91, 36, v92
	v_mbcnt_lo_u32_b32 v182, v90, 0
	v_cmp_ne_u32_e64 s15, 0, v90
	s_delay_alu instid0(VALU_DEP_3) | instskip(NEXT) | instid1(VALU_DEP_3)
	v_add_nc_u32_e32 v183, v148, v91
	v_cmp_eq_u32_e32 vcc_lo, 0, v182
	s_and_b32 s16, s15, vcc_lo
	s_delay_alu instid0(SALU_CYCLE_1)
	s_and_saveexec_b32 s15, s16
	s_cbranch_execz .LBB1245_1025
; %bb.1024:                             ;   in Loop: Header=BB1245_979 Depth=2
	s_wait_dscnt 0x0
	v_bcnt_u32_b32 v90, v90, v181
	ds_store_b32 v183, v90 offset:1056
.LBB1245_1025:                          ;   in Loop: Header=BB1245_979 Depth=2
	s_or_b32 exec_lo, exec_lo, s15
	v_cmp_lt_i64_e32 vcc_lo, -1, v[78:79]
	; wave barrier
	v_cndmask_b32_e64 v90, -1, 0x80000000, vcc_lo
	s_delay_alu instid0(VALU_DEP_1) | instskip(NEXT) | instid1(VALU_DEP_1)
	v_dual_ashrrev_i32 v91, 31, v79 :: v_dual_bitop2_b32 v79, v90, v79 bitop3:0x14
	v_xor_b32_e32 v78, v91, v78
	s_delay_alu instid0(VALU_DEP_1) | instskip(SKIP_2) | instid1(VALU_DEP_1)
	v_cmp_ne_u64_e32 vcc_lo, s[42:43], v[78:79]
	v_cndmask_b32_e32 v91, 0x80000000, v79, vcc_lo
	v_cndmask_b32_e32 v90, 0, v78, vcc_lo
	v_lshrrev_b64 v[90:91], s48, v[90:91]
	s_delay_alu instid0(VALU_DEP_1) | instskip(SKIP_1) | instid1(VALU_DEP_2)
	v_bitop3_b32 v91, v90, 1, s55 bitop3:0x80
	v_and_b32_e32 v92, s55, v90
	v_add_co_u32 v90, s15, v91, -1
	s_delay_alu instid0(VALU_DEP_1) | instskip(NEXT) | instid1(VALU_DEP_3)
	v_cndmask_b32_e64 v91, 0, 1, s15
	v_lshlrev_b32_e32 v93, 30, v92
	s_delay_alu instid0(VALU_DEP_2) | instskip(NEXT) | instid1(VALU_DEP_2)
	v_cmp_ne_u32_e32 vcc_lo, 0, v91
	v_not_b32_e32 v91, v93
	v_cmp_gt_i32_e64 s15, 0, v93
	s_delay_alu instid0(VALU_DEP_2) | instskip(SKIP_3) | instid1(VALU_DEP_4)
	v_dual_ashrrev_i32 v91, 31, v91 :: v_dual_lshlrev_b32 v94, 29, v92
	v_dual_lshlrev_b32 v95, 28, v92 :: v_dual_lshlrev_b32 v96, 27, v92
	v_dual_lshlrev_b32 v97, 26, v92 :: v_dual_lshlrev_b32 v184, 25, v92
	v_lshlrev_b32_e32 v185, 24, v92
	v_cmp_gt_i32_e64 s16, 0, v94
	v_not_b32_e32 v93, v94
	v_not_b32_e32 v94, v95
	v_cmp_gt_i32_e64 s17, 0, v95
	v_cmp_gt_i32_e64 s18, 0, v96
	v_not_b32_e32 v95, v96
	v_not_b32_e32 v96, v97
	v_dual_ashrrev_i32 v93, 31, v93 :: v_dual_bitop2_b32 v90, vcc_lo, v90 bitop3:0x14
	v_dual_ashrrev_i32 v94, 31, v94 :: v_dual_bitop2_b32 v91, s15, v91 bitop3:0x14
	v_cmp_gt_i32_e64 s19, 0, v97
	v_cmp_gt_i32_e64 s20, 0, v184
	v_not_b32_e32 v97, v184
	v_not_b32_e32 v184, v185
	v_dual_ashrrev_i32 v95, 31, v95 :: v_dual_ashrrev_i32 v96, 31, v96
	v_xor_b32_e32 v93, s16, v93
	v_xor_b32_e32 v94, s17, v94
	v_bitop3_b32 v90, v90, v91, exec_lo bitop3:0x80
	v_cmp_gt_i32_e64 s21, 0, v185
	v_dual_ashrrev_i32 v91, 31, v97 :: v_dual_ashrrev_i32 v97, 31, v184
	v_xor_b32_e32 v95, s18, v95
	v_xor_b32_e32 v96, s19, v96
	v_bitop3_b32 v90, v90, v94, v93 bitop3:0x80
	v_mad_u32_u24 v93, v92, 36, v148
	v_xor_b32_e32 v91, s20, v91
	v_xor_b32_e32 v94, s21, v97
	s_delay_alu instid0(VALU_DEP_4) | instskip(SKIP_3) | instid1(VALU_DEP_2)
	v_bitop3_b32 v90, v90, v96, v95 bitop3:0x80
	ds_load_b32 v184, v93 offset:1056
	; wave barrier
	v_bitop3_b32 v90, v90, v94, v91 bitop3:0x80
	v_mul_u32_u24_e32 v91, 36, v92
	v_mbcnt_lo_u32_b32 v185, v90, 0
	v_cmp_ne_u32_e64 s15, 0, v90
	s_delay_alu instid0(VALU_DEP_3) | instskip(NEXT) | instid1(VALU_DEP_3)
	v_add_nc_u32_e32 v186, v148, v91
	v_cmp_eq_u32_e32 vcc_lo, 0, v185
	s_and_b32 s16, s15, vcc_lo
	s_delay_alu instid0(SALU_CYCLE_1)
	s_and_saveexec_b32 s15, s16
	s_cbranch_execz .LBB1245_1027
; %bb.1026:                             ;   in Loop: Header=BB1245_979 Depth=2
	s_wait_dscnt 0x0
	v_bcnt_u32_b32 v90, v90, v184
	ds_store_b32 v186, v90 offset:1056
.LBB1245_1027:                          ;   in Loop: Header=BB1245_979 Depth=2
	s_or_b32 exec_lo, exec_lo, s15
	v_cmp_lt_i64_e32 vcc_lo, -1, v[82:83]
	; wave barrier
	v_cndmask_b32_e64 v90, -1, 0x80000000, vcc_lo
	s_delay_alu instid0(VALU_DEP_1) | instskip(NEXT) | instid1(VALU_DEP_1)
	v_dual_ashrrev_i32 v91, 31, v83 :: v_dual_bitop2_b32 v83, v90, v83 bitop3:0x14
	v_xor_b32_e32 v82, v91, v82
	s_delay_alu instid0(VALU_DEP_1) | instskip(SKIP_2) | instid1(VALU_DEP_1)
	v_cmp_ne_u64_e32 vcc_lo, s[42:43], v[82:83]
	v_cndmask_b32_e32 v91, 0x80000000, v83, vcc_lo
	v_cndmask_b32_e32 v90, 0, v82, vcc_lo
	v_lshrrev_b64 v[90:91], s48, v[90:91]
	s_delay_alu instid0(VALU_DEP_1) | instskip(SKIP_1) | instid1(VALU_DEP_2)
	v_bitop3_b32 v91, v90, 1, s55 bitop3:0x80
	v_and_b32_e32 v92, s55, v90
	v_add_co_u32 v90, s15, v91, -1
	s_delay_alu instid0(VALU_DEP_1) | instskip(NEXT) | instid1(VALU_DEP_3)
	v_cndmask_b32_e64 v91, 0, 1, s15
	v_lshlrev_b32_e32 v93, 30, v92
	s_delay_alu instid0(VALU_DEP_2) | instskip(NEXT) | instid1(VALU_DEP_2)
	v_cmp_ne_u32_e32 vcc_lo, 0, v91
	v_not_b32_e32 v91, v93
	v_cmp_gt_i32_e64 s15, 0, v93
	s_delay_alu instid0(VALU_DEP_2) | instskip(SKIP_3) | instid1(VALU_DEP_4)
	v_dual_ashrrev_i32 v91, 31, v91 :: v_dual_lshlrev_b32 v94, 29, v92
	v_dual_lshlrev_b32 v95, 28, v92 :: v_dual_lshlrev_b32 v96, 27, v92
	v_dual_lshlrev_b32 v97, 26, v92 :: v_dual_lshlrev_b32 v187, 25, v92
	v_lshlrev_b32_e32 v188, 24, v92
	v_cmp_gt_i32_e64 s16, 0, v94
	v_not_b32_e32 v93, v94
	v_not_b32_e32 v94, v95
	v_cmp_gt_i32_e64 s17, 0, v95
	v_cmp_gt_i32_e64 s18, 0, v96
	v_not_b32_e32 v95, v96
	v_not_b32_e32 v96, v97
	v_dual_ashrrev_i32 v93, 31, v93 :: v_dual_bitop2_b32 v90, vcc_lo, v90 bitop3:0x14
	v_dual_ashrrev_i32 v94, 31, v94 :: v_dual_bitop2_b32 v91, s15, v91 bitop3:0x14
	v_cmp_gt_i32_e64 s19, 0, v97
	v_cmp_gt_i32_e64 s20, 0, v187
	v_not_b32_e32 v97, v187
	v_not_b32_e32 v187, v188
	v_dual_ashrrev_i32 v95, 31, v95 :: v_dual_ashrrev_i32 v96, 31, v96
	v_xor_b32_e32 v93, s16, v93
	v_xor_b32_e32 v94, s17, v94
	v_bitop3_b32 v90, v90, v91, exec_lo bitop3:0x80
	v_cmp_gt_i32_e64 s21, 0, v188
	v_dual_ashrrev_i32 v91, 31, v97 :: v_dual_ashrrev_i32 v97, 31, v187
	v_xor_b32_e32 v95, s18, v95
	v_xor_b32_e32 v96, s19, v96
	v_bitop3_b32 v90, v90, v94, v93 bitop3:0x80
	v_mad_u32_u24 v93, v92, 36, v148
	v_xor_b32_e32 v91, s20, v91
	v_xor_b32_e32 v94, s21, v97
	s_delay_alu instid0(VALU_DEP_4) | instskip(SKIP_3) | instid1(VALU_DEP_2)
	v_bitop3_b32 v90, v90, v96, v95 bitop3:0x80
	ds_load_b32 v187, v93 offset:1056
	; wave barrier
	v_bitop3_b32 v90, v90, v94, v91 bitop3:0x80
	v_mul_u32_u24_e32 v91, 36, v92
	v_mbcnt_lo_u32_b32 v188, v90, 0
	v_cmp_ne_u32_e64 s15, 0, v90
	s_delay_alu instid0(VALU_DEP_3) | instskip(NEXT) | instid1(VALU_DEP_3)
	v_add_nc_u32_e32 v189, v148, v91
	v_cmp_eq_u32_e32 vcc_lo, 0, v188
	s_and_b32 s16, s15, vcc_lo
	s_delay_alu instid0(SALU_CYCLE_1)
	s_and_saveexec_b32 s15, s16
	s_cbranch_execz .LBB1245_1029
; %bb.1028:                             ;   in Loop: Header=BB1245_979 Depth=2
	s_wait_dscnt 0x0
	v_bcnt_u32_b32 v90, v90, v187
	ds_store_b32 v189, v90 offset:1056
.LBB1245_1029:                          ;   in Loop: Header=BB1245_979 Depth=2
	s_or_b32 exec_lo, exec_lo, s15
	v_cmp_lt_i64_e32 vcc_lo, -1, v[86:87]
	; wave barrier
	v_cndmask_b32_e64 v90, -1, 0x80000000, vcc_lo
	s_delay_alu instid0(VALU_DEP_1) | instskip(NEXT) | instid1(VALU_DEP_1)
	v_dual_ashrrev_i32 v91, 31, v87 :: v_dual_bitop2_b32 v87, v90, v87 bitop3:0x14
	v_xor_b32_e32 v86, v91, v86
	s_delay_alu instid0(VALU_DEP_1) | instskip(SKIP_2) | instid1(VALU_DEP_1)
	v_cmp_ne_u64_e32 vcc_lo, s[42:43], v[86:87]
	v_cndmask_b32_e32 v91, 0x80000000, v87, vcc_lo
	v_cndmask_b32_e32 v90, 0, v86, vcc_lo
	v_lshrrev_b64 v[90:91], s48, v[90:91]
	s_delay_alu instid0(VALU_DEP_1) | instskip(SKIP_1) | instid1(VALU_DEP_2)
	v_bitop3_b32 v91, v90, 1, s55 bitop3:0x80
	v_and_b32_e32 v92, s55, v90
	v_add_co_u32 v90, s15, v91, -1
	s_delay_alu instid0(VALU_DEP_1) | instskip(NEXT) | instid1(VALU_DEP_3)
	v_cndmask_b32_e64 v91, 0, 1, s15
	v_lshlrev_b32_e32 v93, 30, v92
	s_delay_alu instid0(VALU_DEP_2) | instskip(NEXT) | instid1(VALU_DEP_2)
	v_cmp_ne_u32_e32 vcc_lo, 0, v91
	v_not_b32_e32 v91, v93
	v_cmp_gt_i32_e64 s15, 0, v93
	s_delay_alu instid0(VALU_DEP_2) | instskip(SKIP_3) | instid1(VALU_DEP_4)
	v_dual_ashrrev_i32 v91, 31, v91 :: v_dual_lshlrev_b32 v94, 29, v92
	v_dual_lshlrev_b32 v95, 28, v92 :: v_dual_lshlrev_b32 v96, 27, v92
	v_dual_lshlrev_b32 v97, 26, v92 :: v_dual_lshlrev_b32 v190, 25, v92
	v_lshlrev_b32_e32 v191, 24, v92
	v_cmp_gt_i32_e64 s16, 0, v94
	v_not_b32_e32 v93, v94
	v_not_b32_e32 v94, v95
	v_cmp_gt_i32_e64 s17, 0, v95
	v_cmp_gt_i32_e64 s18, 0, v96
	v_not_b32_e32 v95, v96
	v_not_b32_e32 v96, v97
	v_dual_ashrrev_i32 v93, 31, v93 :: v_dual_bitop2_b32 v90, vcc_lo, v90 bitop3:0x14
	v_dual_ashrrev_i32 v94, 31, v94 :: v_dual_bitop2_b32 v91, s15, v91 bitop3:0x14
	v_cmp_gt_i32_e64 s19, 0, v97
	v_cmp_gt_i32_e64 s20, 0, v190
	v_not_b32_e32 v97, v190
	v_not_b32_e32 v190, v191
	v_dual_ashrrev_i32 v95, 31, v95 :: v_dual_ashrrev_i32 v96, 31, v96
	v_xor_b32_e32 v93, s16, v93
	v_xor_b32_e32 v94, s17, v94
	v_bitop3_b32 v90, v90, v91, exec_lo bitop3:0x80
	v_cmp_gt_i32_e64 s21, 0, v191
	v_dual_ashrrev_i32 v91, 31, v97 :: v_dual_ashrrev_i32 v97, 31, v190
	v_xor_b32_e32 v95, s18, v95
	v_xor_b32_e32 v96, s19, v96
	v_bitop3_b32 v90, v90, v94, v93 bitop3:0x80
	v_mad_u32_u24 v93, v92, 36, v148
	v_xor_b32_e32 v91, s20, v91
	v_xor_b32_e32 v94, s21, v97
	s_delay_alu instid0(VALU_DEP_4) | instskip(SKIP_3) | instid1(VALU_DEP_2)
	v_bitop3_b32 v90, v90, v96, v95 bitop3:0x80
	ds_load_b32 v190, v93 offset:1056
	; wave barrier
	v_bitop3_b32 v90, v90, v94, v91 bitop3:0x80
	v_mul_u32_u24_e32 v91, 36, v92
	v_mbcnt_lo_u32_b32 v191, v90, 0
	v_cmp_ne_u32_e64 s15, 0, v90
	s_delay_alu instid0(VALU_DEP_3) | instskip(NEXT) | instid1(VALU_DEP_3)
	v_add_nc_u32_e32 v192, v148, v91
	v_cmp_eq_u32_e32 vcc_lo, 0, v191
	s_and_b32 s16, s15, vcc_lo
	s_delay_alu instid0(SALU_CYCLE_1)
	s_and_saveexec_b32 s15, s16
	s_cbranch_execz .LBB1245_1031
; %bb.1030:                             ;   in Loop: Header=BB1245_979 Depth=2
	s_wait_dscnt 0x0
	v_bcnt_u32_b32 v90, v90, v190
	ds_store_b32 v192, v90 offset:1056
.LBB1245_1031:                          ;   in Loop: Header=BB1245_979 Depth=2
	s_or_b32 exec_lo, exec_lo, s15
	v_cmp_lt_i64_e32 vcc_lo, -1, v[88:89]
	; wave barrier
	v_cndmask_b32_e64 v91, -1, 0x80000000, vcc_lo
	s_delay_alu instid0(VALU_DEP_1) | instskip(NEXT) | instid1(VALU_DEP_1)
	v_dual_ashrrev_i32 v90, 31, v89 :: v_dual_bitop2_b32 v89, v91, v89 bitop3:0x14
	v_xor_b32_e32 v88, v90, v88
	s_delay_alu instid0(VALU_DEP_1) | instskip(SKIP_2) | instid1(VALU_DEP_1)
	v_cmp_ne_u64_e32 vcc_lo, s[42:43], v[88:89]
	v_cndmask_b32_e32 v91, 0x80000000, v89, vcc_lo
	v_cndmask_b32_e32 v90, 0, v88, vcc_lo
	v_lshrrev_b64 v[90:91], s48, v[90:91]
	s_delay_alu instid0(VALU_DEP_1) | instskip(SKIP_1) | instid1(VALU_DEP_2)
	v_and_b32_e32 v92, s55, v90
	v_bitop3_b32 v91, v90, 1, s55 bitop3:0x80
	v_lshlrev_b32_e32 v95, 27, v92
	s_delay_alu instid0(VALU_DEP_2) | instskip(NEXT) | instid1(VALU_DEP_1)
	v_add_co_u32 v90, s15, v91, -1
	v_cndmask_b32_e64 v194, 0, 1, s15
	s_delay_alu instid0(VALU_DEP_3) | instskip(SKIP_1) | instid1(VALU_DEP_3)
	v_cmp_gt_i32_e64 s17, 0, v95
	v_not_b32_e32 v95, v95
	v_cmp_ne_u32_e64 s21, 0, v194
	s_delay_alu instid0(VALU_DEP_2) | instskip(SKIP_3) | instid1(VALU_DEP_4)
	v_dual_ashrrev_i32 v95, 31, v95 :: v_dual_lshlrev_b32 v91, 30, v92
	v_dual_lshlrev_b32 v93, 29, v92 :: v_dual_lshlrev_b32 v94, 28, v92
	v_dual_lshlrev_b32 v96, 26, v92 :: v_dual_lshlrev_b32 v97, 25, v92
	v_lshlrev_b32_e32 v193, 24, v92
	v_cmp_gt_i32_e32 vcc_lo, 0, v91
	v_not_b32_e32 v91, v91
	v_cmp_gt_i32_e64 s15, 0, v93
	v_not_b32_e32 v93, v93
	v_cmp_gt_i32_e64 s16, 0, v94
	v_not_b32_e32 v94, v94
	v_ashrrev_i32_e32 v91, 31, v91
	v_cmp_gt_i32_e64 s18, 0, v96
	v_not_b32_e32 v96, v96
	s_delay_alu instid0(VALU_DEP_4) | instskip(NEXT) | instid1(VALU_DEP_4)
	v_dual_ashrrev_i32 v93, 31, v93 :: v_dual_ashrrev_i32 v94, 31, v94
	v_xor_b32_e32 v91, vcc_lo, v91
	s_delay_alu instid0(VALU_DEP_3)
	v_dual_ashrrev_i32 v96, 31, v96 :: v_dual_bitop2_b32 v90, s21, v90 bitop3:0x14
	v_cmp_gt_i32_e64 s19, 0, v97
	v_not_b32_e32 v97, v97
	v_cmp_gt_i32_e64 s20, 0, v193
	v_not_b32_e32 v193, v193
	v_xor_b32_e32 v93, s15, v93
	v_xor_b32_e32 v94, s16, v94
	v_bitop3_b32 v90, v90, v91, exec_lo bitop3:0x80
	v_ashrrev_i32_e32 v91, 31, v97
	v_dual_ashrrev_i32 v97, 31, v193 :: v_dual_bitop2_b32 v95, s17, v95 bitop3:0x14
	v_xor_b32_e32 v96, s18, v96
	s_delay_alu instid0(VALU_DEP_4) | instskip(SKIP_3) | instid1(VALU_DEP_4)
	v_bitop3_b32 v90, v90, v94, v93 bitop3:0x80
	v_mad_u32_u24 v93, v92, 36, v148
	v_xor_b32_e32 v91, s19, v91
	v_xor_b32_e32 v94, s20, v97
	v_bitop3_b32 v90, v90, v96, v95 bitop3:0x80
	ds_load_b32 v193, v93 offset:1056
	; wave barrier
	v_bitop3_b32 v90, v90, v94, v91 bitop3:0x80
	v_mul_u32_u24_e32 v91, 36, v92
	s_delay_alu instid0(VALU_DEP_2) | instskip(SKIP_1) | instid1(VALU_DEP_3)
	v_mbcnt_lo_u32_b32 v194, v90, 0
	v_cmp_ne_u32_e64 s15, 0, v90
	v_add_nc_u32_e32 v195, v148, v91
	s_delay_alu instid0(VALU_DEP_3) | instskip(SKIP_1) | instid1(SALU_CYCLE_1)
	v_cmp_eq_u32_e32 vcc_lo, 0, v194
	s_and_b32 s16, s15, vcc_lo
	s_and_saveexec_b32 s15, s16
	s_cbranch_execz .LBB1245_1033
; %bb.1032:                             ;   in Loop: Header=BB1245_979 Depth=2
	s_wait_dscnt 0x0
	v_bcnt_u32_b32 v90, v90, v193
	ds_store_b32 v195, v90 offset:1056
.LBB1245_1033:                          ;   in Loop: Header=BB1245_979 Depth=2
	s_or_b32 exec_lo, exec_lo, s15
	v_cmp_lt_i64_e32 vcc_lo, -1, v[84:85]
	; wave barrier
	v_cndmask_b32_e64 v90, -1, 0x80000000, vcc_lo
	s_delay_alu instid0(VALU_DEP_1) | instskip(NEXT) | instid1(VALU_DEP_1)
	v_dual_ashrrev_i32 v91, 31, v85 :: v_dual_bitop2_b32 v85, v90, v85 bitop3:0x14
	v_xor_b32_e32 v84, v91, v84
	s_delay_alu instid0(VALU_DEP_1) | instskip(SKIP_2) | instid1(VALU_DEP_1)
	v_cmp_ne_u64_e32 vcc_lo, s[42:43], v[84:85]
	v_cndmask_b32_e32 v91, 0x80000000, v85, vcc_lo
	v_cndmask_b32_e32 v90, 0, v84, vcc_lo
	v_lshrrev_b64 v[90:91], s48, v[90:91]
	s_delay_alu instid0(VALU_DEP_1) | instskip(SKIP_1) | instid1(VALU_DEP_2)
	v_bitop3_b32 v91, v90, 1, s55 bitop3:0x80
	v_and_b32_e32 v92, s55, v90
	v_add_co_u32 v90, s15, v91, -1
	s_delay_alu instid0(VALU_DEP_1) | instskip(NEXT) | instid1(VALU_DEP_3)
	v_cndmask_b32_e64 v91, 0, 1, s15
	v_dual_lshlrev_b32 v93, 30, v92 :: v_dual_lshlrev_b32 v95, 28, v92
	v_dual_lshlrev_b32 v94, 29, v92 :: v_dual_lshlrev_b32 v96, 27, v92
	s_delay_alu instid0(VALU_DEP_3) | instskip(NEXT) | instid1(VALU_DEP_3)
	v_cmp_ne_u32_e32 vcc_lo, 0, v91
	v_cmp_gt_i32_e64 s15, 0, v93
	v_not_b32_e32 v91, v93
	s_delay_alu instid0(VALU_DEP_4) | instskip(SKIP_4) | instid1(VALU_DEP_4)
	v_cmp_gt_i32_e64 s16, 0, v94
	v_not_b32_e32 v93, v94
	v_cmp_gt_i32_e64 s17, 0, v95
	v_not_b32_e32 v94, v95
	v_not_b32_e32 v95, v96
	v_dual_ashrrev_i32 v91, 31, v91 :: v_dual_ashrrev_i32 v93, 31, v93
	s_delay_alu instid0(VALU_DEP_2) | instskip(SKIP_4) | instid1(VALU_DEP_4)
	v_dual_ashrrev_i32 v94, 31, v94 :: v_dual_ashrrev_i32 v95, 31, v95
	v_dual_lshlrev_b32 v97, 26, v92 :: v_dual_lshlrev_b32 v196, 25, v92
	v_lshlrev_b32_e32 v197, 24, v92
	v_cmp_gt_i32_e64 s18, 0, v96
	v_xor_b32_e32 v91, s15, v91
	v_not_b32_e32 v96, v97
	v_xor_b32_e32 v90, vcc_lo, v90
	v_cmp_gt_i32_e64 s19, 0, v97
	v_cmp_gt_i32_e64 s20, 0, v196
	v_not_b32_e32 v97, v196
	v_not_b32_e32 v196, v197
	v_dual_ashrrev_i32 v96, 31, v96 :: v_dual_bitop2_b32 v93, s16, v93 bitop3:0x14
	v_xor_b32_e32 v94, s17, v94
	v_bitop3_b32 v90, v90, v91, exec_lo bitop3:0x80
	v_cmp_gt_i32_e64 s21, 0, v197
	v_dual_ashrrev_i32 v91, 31, v97 :: v_dual_ashrrev_i32 v97, 31, v196
	v_xor_b32_e32 v95, s18, v95
	v_xor_b32_e32 v96, s19, v96
	v_bitop3_b32 v90, v90, v94, v93 bitop3:0x80
	v_mad_u32_u24 v93, v92, 36, v148
	v_xor_b32_e32 v91, s20, v91
	v_xor_b32_e32 v94, s21, v97
	s_delay_alu instid0(VALU_DEP_4) | instskip(SKIP_3) | instid1(VALU_DEP_2)
	v_bitop3_b32 v90, v90, v96, v95 bitop3:0x80
	ds_load_b32 v196, v93 offset:1056
	; wave barrier
	v_bitop3_b32 v90, v90, v94, v91 bitop3:0x80
	v_mul_u32_u24_e32 v91, 36, v92
	v_mbcnt_lo_u32_b32 v197, v90, 0
	v_cmp_ne_u32_e64 s15, 0, v90
	s_delay_alu instid0(VALU_DEP_3) | instskip(NEXT) | instid1(VALU_DEP_3)
	v_add_nc_u32_e32 v198, v148, v91
	v_cmp_eq_u32_e32 vcc_lo, 0, v197
	s_and_b32 s16, s15, vcc_lo
	s_delay_alu instid0(SALU_CYCLE_1)
	s_and_saveexec_b32 s15, s16
	s_cbranch_execz .LBB1245_1035
; %bb.1034:                             ;   in Loop: Header=BB1245_979 Depth=2
	s_wait_dscnt 0x0
	v_bcnt_u32_b32 v90, v90, v196
	ds_store_b32 v198, v90 offset:1056
.LBB1245_1035:                          ;   in Loop: Header=BB1245_979 Depth=2
	s_or_b32 exec_lo, exec_lo, s15
	v_cmp_lt_i64_e32 vcc_lo, -1, v[80:81]
	; wave barrier
	v_cndmask_b32_e64 v90, -1, 0x80000000, vcc_lo
	s_delay_alu instid0(VALU_DEP_1) | instskip(NEXT) | instid1(VALU_DEP_1)
	v_dual_ashrrev_i32 v91, 31, v81 :: v_dual_bitop2_b32 v81, v90, v81 bitop3:0x14
	v_xor_b32_e32 v80, v91, v80
	s_delay_alu instid0(VALU_DEP_1) | instskip(SKIP_2) | instid1(VALU_DEP_1)
	v_cmp_ne_u64_e32 vcc_lo, s[42:43], v[80:81]
	v_cndmask_b32_e32 v91, 0x80000000, v81, vcc_lo
	v_cndmask_b32_e32 v90, 0, v80, vcc_lo
	v_lshrrev_b64 v[90:91], s48, v[90:91]
	s_delay_alu instid0(VALU_DEP_1) | instskip(SKIP_1) | instid1(VALU_DEP_2)
	v_bitop3_b32 v91, v90, 1, s55 bitop3:0x80
	v_and_b32_e32 v92, s55, v90
	v_add_co_u32 v90, s15, v91, -1
	s_delay_alu instid0(VALU_DEP_1) | instskip(NEXT) | instid1(VALU_DEP_3)
	v_cndmask_b32_e64 v91, 0, 1, s15
	v_dual_lshlrev_b32 v93, 30, v92 :: v_dual_lshlrev_b32 v95, 28, v92
	v_dual_lshlrev_b32 v94, 29, v92 :: v_dual_lshlrev_b32 v96, 27, v92
	s_delay_alu instid0(VALU_DEP_3) | instskip(NEXT) | instid1(VALU_DEP_3)
	v_cmp_ne_u32_e32 vcc_lo, 0, v91
	v_cmp_gt_i32_e64 s15, 0, v93
	v_not_b32_e32 v91, v93
	s_delay_alu instid0(VALU_DEP_4) | instskip(SKIP_4) | instid1(VALU_DEP_4)
	v_cmp_gt_i32_e64 s16, 0, v94
	v_not_b32_e32 v93, v94
	v_cmp_gt_i32_e64 s17, 0, v95
	v_not_b32_e32 v94, v95
	v_not_b32_e32 v95, v96
	v_dual_ashrrev_i32 v91, 31, v91 :: v_dual_ashrrev_i32 v93, 31, v93
	s_delay_alu instid0(VALU_DEP_2) | instskip(SKIP_4) | instid1(VALU_DEP_4)
	v_dual_ashrrev_i32 v94, 31, v94 :: v_dual_ashrrev_i32 v95, 31, v95
	v_dual_lshlrev_b32 v97, 26, v92 :: v_dual_lshlrev_b32 v199, 25, v92
	v_lshlrev_b32_e32 v200, 24, v92
	v_cmp_gt_i32_e64 s18, 0, v96
	v_xor_b32_e32 v91, s15, v91
	v_not_b32_e32 v96, v97
	v_xor_b32_e32 v90, vcc_lo, v90
	v_cmp_gt_i32_e64 s19, 0, v97
	v_cmp_gt_i32_e64 s20, 0, v199
	v_not_b32_e32 v97, v199
	v_not_b32_e32 v199, v200
	v_dual_ashrrev_i32 v96, 31, v96 :: v_dual_bitop2_b32 v93, s16, v93 bitop3:0x14
	v_xor_b32_e32 v94, s17, v94
	v_bitop3_b32 v90, v90, v91, exec_lo bitop3:0x80
	v_cmp_gt_i32_e64 s21, 0, v200
	v_dual_ashrrev_i32 v91, 31, v97 :: v_dual_ashrrev_i32 v97, 31, v199
	v_xor_b32_e32 v95, s18, v95
	v_xor_b32_e32 v96, s19, v96
	v_bitop3_b32 v90, v90, v94, v93 bitop3:0x80
	v_mad_u32_u24 v93, v92, 36, v148
	v_xor_b32_e32 v91, s20, v91
	v_xor_b32_e32 v94, s21, v97
	s_delay_alu instid0(VALU_DEP_4) | instskip(SKIP_3) | instid1(VALU_DEP_2)
	v_bitop3_b32 v90, v90, v96, v95 bitop3:0x80
	ds_load_b32 v199, v93 offset:1056
	; wave barrier
	v_bitop3_b32 v90, v90, v94, v91 bitop3:0x80
	v_mul_u32_u24_e32 v91, 36, v92
	v_mbcnt_lo_u32_b32 v200, v90, 0
	v_cmp_ne_u32_e64 s15, 0, v90
	s_delay_alu instid0(VALU_DEP_3) | instskip(NEXT) | instid1(VALU_DEP_3)
	v_add_nc_u32_e32 v201, v148, v91
	v_cmp_eq_u32_e32 vcc_lo, 0, v200
	s_and_b32 s16, s15, vcc_lo
	s_delay_alu instid0(SALU_CYCLE_1)
	s_and_saveexec_b32 s15, s16
	s_cbranch_execz .LBB1245_1037
; %bb.1036:                             ;   in Loop: Header=BB1245_979 Depth=2
	s_wait_dscnt 0x0
	v_bcnt_u32_b32 v90, v90, v199
	ds_store_b32 v201, v90 offset:1056
.LBB1245_1037:                          ;   in Loop: Header=BB1245_979 Depth=2
	s_or_b32 exec_lo, exec_lo, s15
	v_cmp_lt_i64_e32 vcc_lo, -1, v[76:77]
	; wave barrier
	v_cndmask_b32_e64 v90, -1, 0x80000000, vcc_lo
	s_delay_alu instid0(VALU_DEP_1) | instskip(NEXT) | instid1(VALU_DEP_1)
	v_dual_ashrrev_i32 v91, 31, v77 :: v_dual_bitop2_b32 v77, v90, v77 bitop3:0x14
	v_xor_b32_e32 v76, v91, v76
	s_delay_alu instid0(VALU_DEP_1) | instskip(SKIP_2) | instid1(VALU_DEP_1)
	v_cmp_ne_u64_e32 vcc_lo, s[42:43], v[76:77]
	v_cndmask_b32_e32 v91, 0x80000000, v77, vcc_lo
	v_cndmask_b32_e32 v90, 0, v76, vcc_lo
	v_lshrrev_b64 v[90:91], s48, v[90:91]
	s_delay_alu instid0(VALU_DEP_1) | instskip(SKIP_1) | instid1(VALU_DEP_2)
	v_bitop3_b32 v91, v90, 1, s55 bitop3:0x80
	v_and_b32_e32 v92, s55, v90
	v_add_co_u32 v90, s15, v91, -1
	s_delay_alu instid0(VALU_DEP_1) | instskip(NEXT) | instid1(VALU_DEP_3)
	v_cndmask_b32_e64 v91, 0, 1, s15
	v_dual_lshlrev_b32 v93, 30, v92 :: v_dual_lshlrev_b32 v95, 28, v92
	v_dual_lshlrev_b32 v94, 29, v92 :: v_dual_lshlrev_b32 v96, 27, v92
	s_delay_alu instid0(VALU_DEP_3) | instskip(NEXT) | instid1(VALU_DEP_3)
	v_cmp_ne_u32_e32 vcc_lo, 0, v91
	v_cmp_gt_i32_e64 s15, 0, v93
	v_not_b32_e32 v91, v93
	s_delay_alu instid0(VALU_DEP_4) | instskip(SKIP_4) | instid1(VALU_DEP_4)
	v_cmp_gt_i32_e64 s16, 0, v94
	v_not_b32_e32 v93, v94
	v_cmp_gt_i32_e64 s17, 0, v95
	v_not_b32_e32 v94, v95
	v_not_b32_e32 v95, v96
	v_dual_ashrrev_i32 v91, 31, v91 :: v_dual_ashrrev_i32 v93, 31, v93
	s_delay_alu instid0(VALU_DEP_2) | instskip(SKIP_4) | instid1(VALU_DEP_4)
	v_dual_ashrrev_i32 v94, 31, v94 :: v_dual_ashrrev_i32 v95, 31, v95
	v_dual_lshlrev_b32 v97, 26, v92 :: v_dual_lshlrev_b32 v202, 25, v92
	v_lshlrev_b32_e32 v203, 24, v92
	v_cmp_gt_i32_e64 s18, 0, v96
	v_xor_b32_e32 v91, s15, v91
	v_not_b32_e32 v96, v97
	v_xor_b32_e32 v90, vcc_lo, v90
	v_cmp_gt_i32_e64 s19, 0, v97
	v_cmp_gt_i32_e64 s20, 0, v202
	v_not_b32_e32 v97, v202
	v_not_b32_e32 v202, v203
	v_dual_ashrrev_i32 v96, 31, v96 :: v_dual_bitop2_b32 v93, s16, v93 bitop3:0x14
	v_xor_b32_e32 v94, s17, v94
	v_bitop3_b32 v90, v90, v91, exec_lo bitop3:0x80
	v_cmp_gt_i32_e64 s21, 0, v203
	v_dual_ashrrev_i32 v91, 31, v97 :: v_dual_ashrrev_i32 v97, 31, v202
	v_xor_b32_e32 v95, s18, v95
	v_xor_b32_e32 v96, s19, v96
	v_bitop3_b32 v90, v90, v94, v93 bitop3:0x80
	v_mad_u32_u24 v93, v92, 36, v148
	v_xor_b32_e32 v91, s20, v91
	v_xor_b32_e32 v94, s21, v97
	s_delay_alu instid0(VALU_DEP_4) | instskip(SKIP_3) | instid1(VALU_DEP_2)
	v_bitop3_b32 v90, v90, v96, v95 bitop3:0x80
	ds_load_b32 v202, v93 offset:1056
	; wave barrier
	v_bitop3_b32 v90, v90, v94, v91 bitop3:0x80
	v_mul_u32_u24_e32 v91, 36, v92
	v_mbcnt_lo_u32_b32 v203, v90, 0
	v_cmp_ne_u32_e64 s15, 0, v90
	s_delay_alu instid0(VALU_DEP_3) | instskip(NEXT) | instid1(VALU_DEP_3)
	v_add_nc_u32_e32 v204, v148, v91
	v_cmp_eq_u32_e32 vcc_lo, 0, v203
	s_and_b32 s16, s15, vcc_lo
	s_delay_alu instid0(SALU_CYCLE_1)
	s_and_saveexec_b32 s15, s16
	s_cbranch_execz .LBB1245_1039
; %bb.1038:                             ;   in Loop: Header=BB1245_979 Depth=2
	s_wait_dscnt 0x0
	v_bcnt_u32_b32 v90, v90, v202
	ds_store_b32 v204, v90 offset:1056
.LBB1245_1039:                          ;   in Loop: Header=BB1245_979 Depth=2
	s_or_b32 exec_lo, exec_lo, s15
	v_cmp_lt_i64_e32 vcc_lo, -1, v[72:73]
	; wave barrier
	v_cndmask_b32_e64 v90, -1, 0x80000000, vcc_lo
	s_delay_alu instid0(VALU_DEP_1) | instskip(NEXT) | instid1(VALU_DEP_1)
	v_dual_ashrrev_i32 v91, 31, v73 :: v_dual_bitop2_b32 v73, v90, v73 bitop3:0x14
	v_xor_b32_e32 v72, v91, v72
	s_delay_alu instid0(VALU_DEP_1) | instskip(SKIP_2) | instid1(VALU_DEP_1)
	v_cmp_ne_u64_e32 vcc_lo, s[42:43], v[72:73]
	v_cndmask_b32_e32 v91, 0x80000000, v73, vcc_lo
	v_cndmask_b32_e32 v90, 0, v72, vcc_lo
	v_lshrrev_b64 v[90:91], s48, v[90:91]
	s_delay_alu instid0(VALU_DEP_1) | instskip(SKIP_1) | instid1(VALU_DEP_2)
	v_bitop3_b32 v91, v90, 1, s55 bitop3:0x80
	v_and_b32_e32 v92, s55, v90
	v_add_co_u32 v90, s15, v91, -1
	s_delay_alu instid0(VALU_DEP_1) | instskip(NEXT) | instid1(VALU_DEP_3)
	v_cndmask_b32_e64 v91, 0, 1, s15
	v_dual_lshlrev_b32 v93, 30, v92 :: v_dual_lshlrev_b32 v95, 28, v92
	v_dual_lshlrev_b32 v94, 29, v92 :: v_dual_lshlrev_b32 v96, 27, v92
	s_delay_alu instid0(VALU_DEP_3) | instskip(NEXT) | instid1(VALU_DEP_3)
	v_cmp_ne_u32_e32 vcc_lo, 0, v91
	v_cmp_gt_i32_e64 s15, 0, v93
	v_not_b32_e32 v91, v93
	s_delay_alu instid0(VALU_DEP_4) | instskip(SKIP_4) | instid1(VALU_DEP_4)
	v_cmp_gt_i32_e64 s16, 0, v94
	v_not_b32_e32 v93, v94
	v_cmp_gt_i32_e64 s17, 0, v95
	v_not_b32_e32 v94, v95
	v_not_b32_e32 v95, v96
	v_dual_ashrrev_i32 v91, 31, v91 :: v_dual_ashrrev_i32 v93, 31, v93
	s_delay_alu instid0(VALU_DEP_2) | instskip(SKIP_4) | instid1(VALU_DEP_4)
	v_dual_ashrrev_i32 v94, 31, v94 :: v_dual_ashrrev_i32 v95, 31, v95
	v_dual_lshlrev_b32 v97, 26, v92 :: v_dual_lshlrev_b32 v205, 25, v92
	v_lshlrev_b32_e32 v206, 24, v92
	v_cmp_gt_i32_e64 s18, 0, v96
	v_xor_b32_e32 v91, s15, v91
	v_not_b32_e32 v96, v97
	v_xor_b32_e32 v90, vcc_lo, v90
	v_cmp_gt_i32_e64 s19, 0, v97
	v_cmp_gt_i32_e64 s20, 0, v205
	v_not_b32_e32 v97, v205
	v_not_b32_e32 v205, v206
	v_dual_ashrrev_i32 v96, 31, v96 :: v_dual_bitop2_b32 v93, s16, v93 bitop3:0x14
	v_xor_b32_e32 v94, s17, v94
	v_bitop3_b32 v90, v90, v91, exec_lo bitop3:0x80
	v_cmp_gt_i32_e64 s21, 0, v206
	v_ashrrev_i32_e32 v91, 31, v97
	v_dual_ashrrev_i32 v97, 31, v205 :: v_dual_bitop2_b32 v95, s18, v95 bitop3:0x14
	v_xor_b32_e32 v96, s19, v96
	v_bitop3_b32 v90, v90, v94, v93 bitop3:0x80
	v_mad_u32_u24 v93, v92, 36, v148
	v_xor_b32_e32 v91, s20, v91
	v_xor_b32_e32 v94, s21, v97
	s_delay_alu instid0(VALU_DEP_4) | instskip(SKIP_3) | instid1(VALU_DEP_2)
	v_bitop3_b32 v90, v90, v96, v95 bitop3:0x80
	ds_load_b32 v205, v93 offset:1056
	; wave barrier
	v_bitop3_b32 v90, v90, v94, v91 bitop3:0x80
	v_mul_u32_u24_e32 v91, 36, v92
	v_mbcnt_lo_u32_b32 v206, v90, 0
	v_cmp_ne_u32_e64 s15, 0, v90
	s_delay_alu instid0(VALU_DEP_3) | instskip(NEXT) | instid1(VALU_DEP_3)
	v_add_nc_u32_e32 v208, v148, v91
	v_cmp_eq_u32_e32 vcc_lo, 0, v206
	s_and_b32 s16, s15, vcc_lo
	s_delay_alu instid0(SALU_CYCLE_1)
	s_and_saveexec_b32 s15, s16
	s_cbranch_execz .LBB1245_1041
; %bb.1040:                             ;   in Loop: Header=BB1245_979 Depth=2
	s_wait_dscnt 0x0
	v_bcnt_u32_b32 v90, v90, v205
	ds_store_b32 v208, v90 offset:1056
.LBB1245_1041:                          ;   in Loop: Header=BB1245_979 Depth=2
	s_or_b32 exec_lo, exec_lo, s15
	v_cmp_lt_i64_e32 vcc_lo, -1, v[68:69]
	; wave barrier
	v_cndmask_b32_e64 v90, -1, 0x80000000, vcc_lo
	s_delay_alu instid0(VALU_DEP_1) | instskip(NEXT) | instid1(VALU_DEP_1)
	v_dual_ashrrev_i32 v91, 31, v69 :: v_dual_bitop2_b32 v69, v90, v69 bitop3:0x14
	v_xor_b32_e32 v68, v91, v68
	s_delay_alu instid0(VALU_DEP_1) | instskip(SKIP_2) | instid1(VALU_DEP_1)
	v_cmp_ne_u64_e32 vcc_lo, s[42:43], v[68:69]
	v_cndmask_b32_e32 v91, 0x80000000, v69, vcc_lo
	v_cndmask_b32_e32 v90, 0, v68, vcc_lo
	v_lshrrev_b64 v[90:91], s48, v[90:91]
	s_delay_alu instid0(VALU_DEP_1) | instskip(SKIP_1) | instid1(VALU_DEP_2)
	v_bitop3_b32 v91, v90, 1, s55 bitop3:0x80
	v_and_b32_e32 v92, s55, v90
	v_add_co_u32 v90, s15, v91, -1
	s_delay_alu instid0(VALU_DEP_1) | instskip(NEXT) | instid1(VALU_DEP_3)
	v_cndmask_b32_e64 v91, 0, 1, s15
	v_dual_lshlrev_b32 v93, 30, v92 :: v_dual_lshlrev_b32 v95, 28, v92
	v_dual_lshlrev_b32 v94, 29, v92 :: v_dual_lshlrev_b32 v96, 27, v92
	s_delay_alu instid0(VALU_DEP_3) | instskip(NEXT) | instid1(VALU_DEP_3)
	v_cmp_ne_u32_e32 vcc_lo, 0, v91
	v_cmp_gt_i32_e64 s15, 0, v93
	v_not_b32_e32 v91, v93
	s_delay_alu instid0(VALU_DEP_4) | instskip(SKIP_4) | instid1(VALU_DEP_4)
	v_cmp_gt_i32_e64 s16, 0, v94
	v_not_b32_e32 v93, v94
	v_cmp_gt_i32_e64 s17, 0, v95
	v_not_b32_e32 v94, v95
	v_not_b32_e32 v95, v96
	v_dual_ashrrev_i32 v91, 31, v91 :: v_dual_ashrrev_i32 v93, 31, v93
	s_delay_alu instid0(VALU_DEP_2) | instskip(SKIP_4) | instid1(VALU_DEP_4)
	v_dual_ashrrev_i32 v94, 31, v94 :: v_dual_ashrrev_i32 v95, 31, v95
	v_dual_lshlrev_b32 v97, 26, v92 :: v_dual_lshlrev_b32 v207, 25, v92
	v_lshlrev_b32_e32 v209, 24, v92
	v_cmp_gt_i32_e64 s18, 0, v96
	v_xor_b32_e32 v91, s15, v91
	v_not_b32_e32 v96, v97
	v_xor_b32_e32 v90, vcc_lo, v90
	v_cmp_gt_i32_e64 s19, 0, v97
	v_cmp_gt_i32_e64 s20, 0, v207
	v_not_b32_e32 v97, v207
	v_not_b32_e32 v207, v209
	v_dual_ashrrev_i32 v96, 31, v96 :: v_dual_bitop2_b32 v93, s16, v93 bitop3:0x14
	v_xor_b32_e32 v94, s17, v94
	v_bitop3_b32 v90, v90, v91, exec_lo bitop3:0x80
	v_cmp_gt_i32_e64 s21, 0, v209
	v_dual_ashrrev_i32 v91, 31, v97 :: v_dual_ashrrev_i32 v97, 31, v207
	v_xor_b32_e32 v95, s18, v95
	v_xor_b32_e32 v96, s19, v96
	v_bitop3_b32 v90, v90, v94, v93 bitop3:0x80
	v_mad_u32_u24 v93, v92, 36, v148
	v_xor_b32_e32 v91, s20, v91
	v_xor_b32_e32 v94, s21, v97
	s_delay_alu instid0(VALU_DEP_4) | instskip(SKIP_3) | instid1(VALU_DEP_2)
	v_bitop3_b32 v90, v90, v96, v95 bitop3:0x80
	ds_load_b32 v207, v93 offset:1056
	; wave barrier
	v_bitop3_b32 v90, v90, v94, v91 bitop3:0x80
	v_mul_u32_u24_e32 v91, 36, v92
	v_mbcnt_lo_u32_b32 v209, v90, 0
	v_cmp_ne_u32_e64 s15, 0, v90
	s_delay_alu instid0(VALU_DEP_3) | instskip(NEXT) | instid1(VALU_DEP_3)
	v_add_nc_u32_e32 v212, v148, v91
	v_cmp_eq_u32_e32 vcc_lo, 0, v209
	s_and_b32 s16, s15, vcc_lo
	s_delay_alu instid0(SALU_CYCLE_1)
	s_and_saveexec_b32 s15, s16
	s_cbranch_execz .LBB1245_1043
; %bb.1042:                             ;   in Loop: Header=BB1245_979 Depth=2
	s_wait_dscnt 0x0
	v_bcnt_u32_b32 v90, v90, v207
	ds_store_b32 v212, v90 offset:1056
.LBB1245_1043:                          ;   in Loop: Header=BB1245_979 Depth=2
	s_or_b32 exec_lo, exec_lo, s15
	v_cmp_lt_i64_e32 vcc_lo, -1, v[64:65]
	; wave barrier
	v_cndmask_b32_e64 v90, -1, 0x80000000, vcc_lo
	s_delay_alu instid0(VALU_DEP_1) | instskip(NEXT) | instid1(VALU_DEP_1)
	v_dual_ashrrev_i32 v91, 31, v65 :: v_dual_bitop2_b32 v65, v90, v65 bitop3:0x14
	v_xor_b32_e32 v64, v91, v64
	s_delay_alu instid0(VALU_DEP_1) | instskip(SKIP_2) | instid1(VALU_DEP_1)
	v_cmp_ne_u64_e32 vcc_lo, s[42:43], v[64:65]
	v_cndmask_b32_e32 v91, 0x80000000, v65, vcc_lo
	v_cndmask_b32_e32 v90, 0, v64, vcc_lo
	v_lshrrev_b64 v[90:91], s48, v[90:91]
	s_delay_alu instid0(VALU_DEP_1) | instskip(SKIP_1) | instid1(VALU_DEP_2)
	v_bitop3_b32 v91, v90, 1, s55 bitop3:0x80
	v_and_b32_e32 v92, s55, v90
	v_add_co_u32 v90, s15, v91, -1
	s_delay_alu instid0(VALU_DEP_1) | instskip(NEXT) | instid1(VALU_DEP_3)
	v_cndmask_b32_e64 v91, 0, 1, s15
	v_dual_lshlrev_b32 v93, 30, v92 :: v_dual_lshlrev_b32 v95, 28, v92
	v_dual_lshlrev_b32 v94, 29, v92 :: v_dual_lshlrev_b32 v96, 27, v92
	s_delay_alu instid0(VALU_DEP_3) | instskip(NEXT) | instid1(VALU_DEP_3)
	v_cmp_ne_u32_e32 vcc_lo, 0, v91
	v_cmp_gt_i32_e64 s15, 0, v93
	v_not_b32_e32 v91, v93
	s_delay_alu instid0(VALU_DEP_4) | instskip(SKIP_4) | instid1(VALU_DEP_4)
	v_cmp_gt_i32_e64 s16, 0, v94
	v_not_b32_e32 v93, v94
	v_cmp_gt_i32_e64 s17, 0, v95
	v_not_b32_e32 v94, v95
	v_not_b32_e32 v95, v96
	v_dual_ashrrev_i32 v91, 31, v91 :: v_dual_ashrrev_i32 v93, 31, v93
	s_delay_alu instid0(VALU_DEP_2) | instskip(SKIP_4) | instid1(VALU_DEP_4)
	v_dual_ashrrev_i32 v94, 31, v94 :: v_dual_ashrrev_i32 v95, 31, v95
	v_dual_lshlrev_b32 v97, 26, v92 :: v_dual_lshlrev_b32 v210, 25, v92
	v_lshlrev_b32_e32 v211, 24, v92
	v_cmp_gt_i32_e64 s18, 0, v96
	v_xor_b32_e32 v91, s15, v91
	v_not_b32_e32 v96, v97
	v_xor_b32_e32 v90, vcc_lo, v90
	v_cmp_gt_i32_e64 s19, 0, v97
	v_cmp_gt_i32_e64 s20, 0, v210
	v_not_b32_e32 v97, v210
	v_not_b32_e32 v210, v211
	v_dual_ashrrev_i32 v96, 31, v96 :: v_dual_bitop2_b32 v93, s16, v93 bitop3:0x14
	v_xor_b32_e32 v94, s17, v94
	v_bitop3_b32 v90, v90, v91, exec_lo bitop3:0x80
	v_cmp_gt_i32_e64 s21, 0, v211
	v_dual_ashrrev_i32 v91, 31, v97 :: v_dual_ashrrev_i32 v97, 31, v210
	v_xor_b32_e32 v95, s18, v95
	v_xor_b32_e32 v96, s19, v96
	v_bitop3_b32 v90, v90, v94, v93 bitop3:0x80
	v_mad_u32_u24 v93, v92, 36, v148
	v_xor_b32_e32 v91, s20, v91
	v_xor_b32_e32 v94, s21, v97
	s_delay_alu instid0(VALU_DEP_4) | instskip(SKIP_3) | instid1(VALU_DEP_2)
	v_bitop3_b32 v90, v90, v96, v95 bitop3:0x80
	ds_load_b32 v210, v93 offset:1056
	; wave barrier
	v_bitop3_b32 v90, v90, v94, v91 bitop3:0x80
	v_mul_u32_u24_e32 v91, 36, v92
	v_mbcnt_lo_u32_b32 v211, v90, 0
	v_cmp_ne_u32_e64 s15, 0, v90
	s_delay_alu instid0(VALU_DEP_3) | instskip(NEXT) | instid1(VALU_DEP_3)
	v_add_nc_u32_e32 v215, v148, v91
	v_cmp_eq_u32_e32 vcc_lo, 0, v211
	s_and_b32 s16, s15, vcc_lo
	s_delay_alu instid0(SALU_CYCLE_1)
	s_and_saveexec_b32 s15, s16
	s_cbranch_execz .LBB1245_1045
; %bb.1044:                             ;   in Loop: Header=BB1245_979 Depth=2
	s_wait_dscnt 0x0
	v_bcnt_u32_b32 v90, v90, v210
	ds_store_b32 v215, v90 offset:1056
.LBB1245_1045:                          ;   in Loop: Header=BB1245_979 Depth=2
	s_or_b32 exec_lo, exec_lo, s15
	v_cmp_lt_i64_e32 vcc_lo, -1, v[66:67]
	; wave barrier
	v_cndmask_b32_e64 v90, -1, 0x80000000, vcc_lo
	s_delay_alu instid0(VALU_DEP_1) | instskip(NEXT) | instid1(VALU_DEP_1)
	v_dual_ashrrev_i32 v91, 31, v67 :: v_dual_bitop2_b32 v67, v90, v67 bitop3:0x14
	v_xor_b32_e32 v66, v91, v66
	s_delay_alu instid0(VALU_DEP_1) | instskip(SKIP_2) | instid1(VALU_DEP_1)
	v_cmp_ne_u64_e32 vcc_lo, s[42:43], v[66:67]
	v_cndmask_b32_e32 v91, 0x80000000, v67, vcc_lo
	v_cndmask_b32_e32 v90, 0, v66, vcc_lo
	v_lshrrev_b64 v[90:91], s48, v[90:91]
	s_delay_alu instid0(VALU_DEP_1) | instskip(SKIP_1) | instid1(VALU_DEP_2)
	v_bitop3_b32 v91, v90, 1, s55 bitop3:0x80
	v_and_b32_e32 v92, s55, v90
	v_add_co_u32 v90, s15, v91, -1
	s_delay_alu instid0(VALU_DEP_1) | instskip(NEXT) | instid1(VALU_DEP_3)
	v_cndmask_b32_e64 v91, 0, 1, s15
	v_lshlrev_b32_e32 v93, 30, v92
	s_delay_alu instid0(VALU_DEP_2) | instskip(NEXT) | instid1(VALU_DEP_2)
	v_cmp_ne_u32_e32 vcc_lo, 0, v91
	v_not_b32_e32 v91, v93
	v_cmp_gt_i32_e64 s15, 0, v93
	s_delay_alu instid0(VALU_DEP_2) | instskip(SKIP_3) | instid1(VALU_DEP_4)
	v_dual_ashrrev_i32 v91, 31, v91 :: v_dual_lshlrev_b32 v94, 29, v92
	v_dual_lshlrev_b32 v95, 28, v92 :: v_dual_lshlrev_b32 v96, 27, v92
	v_dual_lshlrev_b32 v97, 26, v92 :: v_dual_lshlrev_b32 v213, 25, v92
	v_lshlrev_b32_e32 v214, 24, v92
	v_cmp_gt_i32_e64 s16, 0, v94
	v_not_b32_e32 v93, v94
	v_not_b32_e32 v94, v95
	v_cmp_gt_i32_e64 s17, 0, v95
	v_cmp_gt_i32_e64 s18, 0, v96
	v_not_b32_e32 v95, v96
	v_not_b32_e32 v96, v97
	v_dual_ashrrev_i32 v93, 31, v93 :: v_dual_bitop2_b32 v90, vcc_lo, v90 bitop3:0x14
	v_dual_ashrrev_i32 v94, 31, v94 :: v_dual_bitop2_b32 v91, s15, v91 bitop3:0x14
	v_cmp_gt_i32_e64 s19, 0, v97
	v_cmp_gt_i32_e64 s20, 0, v213
	v_not_b32_e32 v97, v213
	v_not_b32_e32 v213, v214
	v_dual_ashrrev_i32 v95, 31, v95 :: v_dual_ashrrev_i32 v96, 31, v96
	v_xor_b32_e32 v93, s16, v93
	v_xor_b32_e32 v94, s17, v94
	v_bitop3_b32 v90, v90, v91, exec_lo bitop3:0x80
	v_cmp_gt_i32_e64 s21, 0, v214
	v_ashrrev_i32_e32 v91, 31, v97
	v_dual_ashrrev_i32 v97, 31, v213 :: v_dual_bitop2_b32 v95, s18, v95 bitop3:0x14
	v_xor_b32_e32 v96, s19, v96
	v_bitop3_b32 v90, v90, v94, v93 bitop3:0x80
	v_mad_u32_u24 v93, v92, 36, v148
	v_xor_b32_e32 v91, s20, v91
	v_xor_b32_e32 v94, s21, v97
	s_delay_alu instid0(VALU_DEP_4) | instskip(SKIP_3) | instid1(VALU_DEP_2)
	v_bitop3_b32 v90, v90, v96, v95 bitop3:0x80
	ds_load_b32 v213, v93 offset:1056
	; wave barrier
	v_bitop3_b32 v90, v90, v94, v91 bitop3:0x80
	v_mul_u32_u24_e32 v91, 36, v92
	v_mbcnt_lo_u32_b32 v214, v90, 0
	v_cmp_ne_u32_e64 s15, 0, v90
	s_delay_alu instid0(VALU_DEP_3) | instskip(NEXT) | instid1(VALU_DEP_3)
	v_add_nc_u32_e32 v216, v148, v91
	v_cmp_eq_u32_e32 vcc_lo, 0, v214
	s_and_b32 s16, s15, vcc_lo
	s_delay_alu instid0(SALU_CYCLE_1)
	s_and_saveexec_b32 s15, s16
	s_cbranch_execz .LBB1245_1047
; %bb.1046:                             ;   in Loop: Header=BB1245_979 Depth=2
	s_wait_dscnt 0x0
	v_bcnt_u32_b32 v90, v90, v213
	ds_store_b32 v216, v90 offset:1056
.LBB1245_1047:                          ;   in Loop: Header=BB1245_979 Depth=2
	s_or_b32 exec_lo, exec_lo, s15
	; wave barrier
	s_wait_dscnt 0x0
	s_barrier_signal -1
	s_barrier_wait -1
	ds_load_2addr_b32 v[96:97], v168 offset1:1
	ds_load_2addr_b32 v[94:95], v169 offset1:1
	;; [unrolled: 1-line block ×4, first 2 shown]
	ds_load_b32 v217, v120 offset:1088
	s_wait_dscnt 0x3
	v_add3_u32 v218, v97, v96, v94
	s_wait_dscnt 0x2
	s_delay_alu instid0(VALU_DEP_1) | instskip(SKIP_1) | instid1(VALU_DEP_1)
	v_add3_u32 v218, v218, v95, v92
	s_wait_dscnt 0x1
	v_add3_u32 v218, v218, v93, v90
	s_wait_dscnt 0x0
	s_delay_alu instid0(VALU_DEP_1) | instskip(NEXT) | instid1(VALU_DEP_1)
	v_add3_u32 v217, v218, v91, v217
	v_mov_b32_dpp v218, v217 row_shr:1 row_mask:0xf bank_mask:0xf
	s_delay_alu instid0(VALU_DEP_1) | instskip(NEXT) | instid1(VALU_DEP_1)
	v_cndmask_b32_e64 v218, v218, 0, s7
	v_add_nc_u32_e32 v217, v218, v217
	s_delay_alu instid0(VALU_DEP_1) | instskip(NEXT) | instid1(VALU_DEP_1)
	v_mov_b32_dpp v218, v217 row_shr:2 row_mask:0xf bank_mask:0xf
	v_cndmask_b32_e64 v218, 0, v218, s8
	s_delay_alu instid0(VALU_DEP_1) | instskip(NEXT) | instid1(VALU_DEP_1)
	v_add_nc_u32_e32 v217, v217, v218
	v_mov_b32_dpp v218, v217 row_shr:4 row_mask:0xf bank_mask:0xf
	s_delay_alu instid0(VALU_DEP_1) | instskip(NEXT) | instid1(VALU_DEP_1)
	v_cndmask_b32_e64 v218, 0, v218, s9
	v_add_nc_u32_e32 v217, v217, v218
	s_delay_alu instid0(VALU_DEP_1) | instskip(NEXT) | instid1(VALU_DEP_1)
	v_mov_b32_dpp v218, v217 row_shr:8 row_mask:0xf bank_mask:0xf
	v_cndmask_b32_e64 v218, 0, v218, s10
	s_delay_alu instid0(VALU_DEP_1) | instskip(SKIP_3) | instid1(VALU_DEP_1)
	v_add_nc_u32_e32 v217, v217, v218
	ds_swizzle_b32 v218, v217 offset:swizzle(BROADCAST,32,15)
	s_wait_dscnt 0x0
	v_cndmask_b32_e64 v218, v218, 0, s11
	v_add_nc_u32_e32 v217, v217, v218
	s_and_saveexec_b32 s15, s1
; %bb.1048:                             ;   in Loop: Header=BB1245_979 Depth=2
	ds_store_b32 v114, v217 offset:1024
; %bb.1049:                             ;   in Loop: Header=BB1245_979 Depth=2
	s_or_b32 exec_lo, exec_lo, s15
	s_wait_dscnt 0x0
	s_barrier_signal -1
	s_barrier_wait -1
	s_and_saveexec_b32 s15, s4
	s_cbranch_execz .LBB1245_1051
; %bb.1050:                             ;   in Loop: Header=BB1245_979 Depth=2
	ds_load_b32 v218, v122 offset:1024
	s_wait_dscnt 0x0
	v_mov_b32_dpp v219, v218 row_shr:1 row_mask:0xf bank_mask:0xf
	s_delay_alu instid0(VALU_DEP_1) | instskip(NEXT) | instid1(VALU_DEP_1)
	v_cndmask_b32_e64 v219, v219, 0, s12
	v_add_nc_u32_e32 v218, v219, v218
	s_delay_alu instid0(VALU_DEP_1) | instskip(NEXT) | instid1(VALU_DEP_1)
	v_mov_b32_dpp v219, v218 row_shr:2 row_mask:0xf bank_mask:0xf
	v_cndmask_b32_e64 v219, 0, v219, s13
	s_delay_alu instid0(VALU_DEP_1) | instskip(NEXT) | instid1(VALU_DEP_1)
	v_add_nc_u32_e32 v218, v218, v219
	v_mov_b32_dpp v219, v218 row_shr:4 row_mask:0xf bank_mask:0xf
	s_delay_alu instid0(VALU_DEP_1) | instskip(NEXT) | instid1(VALU_DEP_1)
	v_cndmask_b32_e64 v219, 0, v219, s14
	v_add_nc_u32_e32 v218, v218, v219
	ds_store_b32 v122, v218 offset:1024
.LBB1245_1051:                          ;   in Loop: Header=BB1245_979 Depth=2
	s_or_b32 exec_lo, exec_lo, s15
	v_mov_b32_e32 v218, 0
	s_wait_dscnt 0x0
	s_barrier_signal -1
	s_barrier_wait -1
	s_and_saveexec_b32 s15, s5
; %bb.1052:                             ;   in Loop: Header=BB1245_979 Depth=2
	ds_load_b32 v218, v114 offset:1020
; %bb.1053:                             ;   in Loop: Header=BB1245_979 Depth=2
	s_or_b32 exec_lo, exec_lo, s15
	s_wait_dscnt 0x0
	v_add_nc_u32_e32 v217, v218, v217
	ds_bpermute_b32 v217, v147, v217
	s_wait_dscnt 0x0
	v_cndmask_b32_e64 v217, v217, v218, s6
	s_delay_alu instid0(VALU_DEP_1) | instskip(NEXT) | instid1(VALU_DEP_1)
	v_cndmask_b32_e64 v217, v217, 0, s2
	v_add_nc_u32_e32 v96, v217, v96
	s_delay_alu instid0(VALU_DEP_1) | instskip(NEXT) | instid1(VALU_DEP_1)
	v_add_nc_u32_e32 v97, v96, v97
	v_add_nc_u32_e32 v94, v97, v94
	s_delay_alu instid0(VALU_DEP_1) | instskip(NEXT) | instid1(VALU_DEP_1)
	v_add_nc_u32_e32 v95, v94, v95
	v_add_nc_u32_e32 v92, v95, v92
	s_delay_alu instid0(VALU_DEP_1) | instskip(NEXT) | instid1(VALU_DEP_1)
	v_add_nc_u32_e32 v93, v92, v93
	v_add_nc_u32_e32 v90, v93, v90
	s_delay_alu instid0(VALU_DEP_1)
	v_add_nc_u32_e32 v91, v90, v91
	ds_store_2addr_b32 v167, v93, v90 offset1:1
	ds_store_2addr_b32 v168, v217, v96 offset1:1
	;; [unrolled: 1-line block ×4, first 2 shown]
	ds_store_b32 v120, v91 offset:1088
	s_wait_dscnt 0x0
	s_barrier_signal -1
	s_barrier_wait -1
	ds_load_b32 v91, v171 offset:1056
	ds_load_b32 v96, v174 offset:1056
	;; [unrolled: 1-line block ×17, first 2 shown]
	v_mov_b32_e32 v90, 0x1000
	s_and_saveexec_b32 s15, s3
; %bb.1054:                             ;   in Loop: Header=BB1245_979 Depth=2
	ds_load_b32 v90, v120 offset:1092
; %bb.1055:                             ;   in Loop: Header=BB1245_979 Depth=2
	s_or_b32 exec_lo, exec_lo, s15
	s_wait_dscnt 0x0
	s_barrier_signal -1
	s_barrier_wait -1
	s_and_saveexec_b32 s15, s0
	s_cbranch_execz .LBB1245_1057
; %bb.1056:                             ;   in Loop: Header=BB1245_979 Depth=2
	ds_load_b32 v189, v3
	s_wait_dscnt 0x0
	v_sub_nc_u32_e32 v186, v189, v186
	ds_store_b32 v3, v186
.LBB1245_1057:                          ;   in Loop: Header=BB1245_979 Depth=2
	s_or_b32 exec_lo, exec_lo, s15
	v_dual_lshlrev_b32 v166, 3, v166 :: v_dual_lshlrev_b32 v173, 3, v173
	v_lshlrev_b32_e32 v172, 3, v172
	v_dual_lshlrev_b32 v96, 3, v96 :: v_dual_lshlrev_b32 v95, 3, v95
	s_delay_alu instid0(VALU_DEP_3)
	v_lshl_add_u32 v91, v91, 3, v166
	v_dual_lshlrev_b32 v176, 3, v176 :: v_dual_lshlrev_b32 v166, 3, v175
	v_dual_lshlrev_b32 v175, 3, v179 :: v_dual_lshlrev_b32 v178, 3, v178
	v_lshlrev_b32_e32 v179, 3, v181
	ds_store_b64 v91, v[58:59] offset:1024
	v_dual_lshlrev_b32 v58, 3, v94 :: v_dual_lshlrev_b32 v181, 3, v93
	v_dual_lshlrev_b32 v59, 3, v182 :: v_dual_lshlrev_b32 v182, 3, v185
	v_lshlrev_b32_e32 v184, 3, v184
	v_lshlrev_b32_e32 v185, 3, v92
	v_add3_u32 v92, v173, v172, v96
	v_add3_u32 v93, v176, v166, v95
	v_add3_u32 v94, v175, v178, v58
	v_add3_u32 v95, v59, v179, v181
	v_lshlrev_b32_e32 v59, 3, v187
	v_add3_u32 v96, v182, v184, v185
	ds_store_b64 v92, v[60:61] offset:1024
	ds_store_b64 v93, v[62:63] offset:1024
	;; [unrolled: 1-line block ×5, first 2 shown]
	v_dual_lshlrev_b32 v58, 3, v188 :: v_dual_lshlrev_b32 v61, 3, v191
	v_dual_lshlrev_b32 v60, 3, v183 :: v_dual_lshlrev_b32 v62, 3, v190
	v_dual_lshlrev_b32 v63, 3, v180 :: v_dual_lshlrev_b32 v70, 3, v194
	v_lshlrev_b32_e32 v71, 3, v193
	v_dual_lshlrev_b32 v74, 3, v177 :: v_dual_lshlrev_b32 v78, 3, v196
	v_dual_lshlrev_b32 v75, 3, v197 :: v_dual_lshlrev_b32 v79, 3, v174
	;; [unrolled: 1-line block ×3, first 2 shown]
	v_lshlrev_b32_e32 v171, 3, v171
	v_add3_u32 v60, v58, v59, v60
	v_add3_u32 v61, v61, v62, v63
	;; [unrolled: 1-line block ×4, first 2 shown]
	v_lshlrev_b32_e32 v59, 3, v202
	v_add3_u32 v70, v166, v172, v171
	ds_store_b64 v60, v[82:83] offset:1024
	ds_store_b64 v61, v[86:87] offset:1024
	;; [unrolled: 1-line block ×5, first 2 shown]
	v_dual_lshlrev_b32 v58, 3, v203 :: v_dual_lshlrev_b32 v71, 3, v170
	v_dual_lshlrev_b32 v74, 3, v206 :: v_dual_lshlrev_b32 v75, 3, v205
	;; [unrolled: 1-line block ×6, first 2 shown]
	v_lshlrev_b32_e32 v86, 3, v213
	v_lshlrev_b32_e32 v87, 3, v97
	v_add3_u32 v71, v58, v59, v71
	v_add3_u32 v74, v74, v75, v78
	v_add3_u32 v75, v79, v80, v81
	v_add3_u32 v78, v82, v83, v84
	v_add3_u32 v79, v85, v86, v87
	v_cmp_lt_u32_e32 vcc_lo, v2, v165
	ds_store_b64 v71, v[76:77] offset:1024
	ds_store_b64 v74, v[72:73] offset:1024
	;; [unrolled: 1-line block ×5, first 2 shown]
	s_wait_dscnt 0x0
	s_barrier_signal -1
	s_barrier_wait -1
	s_and_saveexec_b32 s16, vcc_lo
	s_cbranch_execnz .LBB1245_1126
; %bb.1058:                             ;   in Loop: Header=BB1245_979 Depth=2
	s_or_b32 exec_lo, exec_lo, s16
	v_cmp_lt_u32_e64 s15, v98, v165
	s_and_saveexec_b32 s17, s15
	s_cbranch_execnz .LBB1245_1127
.LBB1245_1059:                          ;   in Loop: Header=BB1245_979 Depth=2
	s_or_b32 exec_lo, exec_lo, s17
	v_cmp_lt_u32_e64 s16, v99, v165
	s_and_saveexec_b32 s18, s16
	s_cbranch_execnz .LBB1245_1128
.LBB1245_1060:                          ;   in Loop: Header=BB1245_979 Depth=2
	s_or_b32 exec_lo, exec_lo, s18
	v_cmp_lt_u32_e64 s17, v100, v165
	s_and_saveexec_b32 s19, s17
	s_cbranch_execnz .LBB1245_1129
.LBB1245_1061:                          ;   in Loop: Header=BB1245_979 Depth=2
	s_or_b32 exec_lo, exec_lo, s19
	v_cmp_lt_u32_e64 s18, v101, v165
	s_and_saveexec_b32 s20, s18
	s_cbranch_execnz .LBB1245_1130
.LBB1245_1062:                          ;   in Loop: Header=BB1245_979 Depth=2
	s_or_b32 exec_lo, exec_lo, s20
	v_cmp_lt_u32_e64 s19, v102, v165
	s_and_saveexec_b32 s21, s19
	s_cbranch_execnz .LBB1245_1131
.LBB1245_1063:                          ;   in Loop: Header=BB1245_979 Depth=2
	s_or_b32 exec_lo, exec_lo, s21
	v_cmp_lt_u32_e64 s20, v103, v165
	s_and_saveexec_b32 s22, s20
	s_cbranch_execnz .LBB1245_1132
.LBB1245_1064:                          ;   in Loop: Header=BB1245_979 Depth=2
	s_or_b32 exec_lo, exec_lo, s22
	v_cmp_lt_u32_e64 s21, v104, v165
	s_and_saveexec_b32 s23, s21
	s_cbranch_execnz .LBB1245_1133
.LBB1245_1065:                          ;   in Loop: Header=BB1245_979 Depth=2
	s_or_b32 exec_lo, exec_lo, s23
	v_cmp_lt_u32_e64 s22, v105, v165
	s_and_saveexec_b32 s24, s22
	s_cbranch_execnz .LBB1245_1134
.LBB1245_1066:                          ;   in Loop: Header=BB1245_979 Depth=2
	s_or_b32 exec_lo, exec_lo, s24
	v_cmp_lt_u32_e64 s23, v106, v165
	s_and_saveexec_b32 s25, s23
	s_cbranch_execnz .LBB1245_1135
.LBB1245_1067:                          ;   in Loop: Header=BB1245_979 Depth=2
	s_or_b32 exec_lo, exec_lo, s25
	v_cmp_lt_u32_e64 s24, v107, v165
	s_and_saveexec_b32 s26, s24
	s_cbranch_execnz .LBB1245_1136
.LBB1245_1068:                          ;   in Loop: Header=BB1245_979 Depth=2
	s_or_b32 exec_lo, exec_lo, s26
	v_cmp_lt_u32_e64 s25, v108, v165
	s_and_saveexec_b32 s27, s25
	s_cbranch_execnz .LBB1245_1137
.LBB1245_1069:                          ;   in Loop: Header=BB1245_979 Depth=2
	s_or_b32 exec_lo, exec_lo, s27
	v_cmp_lt_u32_e64 s26, v109, v165
	s_and_saveexec_b32 s28, s26
	s_cbranch_execnz .LBB1245_1138
.LBB1245_1070:                          ;   in Loop: Header=BB1245_979 Depth=2
	s_or_b32 exec_lo, exec_lo, s28
	v_cmp_lt_u32_e64 s27, v110, v165
	s_and_saveexec_b32 s29, s27
	s_cbranch_execnz .LBB1245_1139
.LBB1245_1071:                          ;   in Loop: Header=BB1245_979 Depth=2
	s_or_b32 exec_lo, exec_lo, s29
	v_cmp_lt_u32_e64 s28, v111, v165
	s_and_saveexec_b32 s30, s28
	s_cbranch_execnz .LBB1245_1140
.LBB1245_1072:                          ;   in Loop: Header=BB1245_979 Depth=2
	s_or_b32 exec_lo, exec_lo, s30
	v_cmp_lt_u32_e64 s29, v112, v165
	s_and_saveexec_b32 s61, s29
	s_cbranch_execz .LBB1245_1074
.LBB1245_1073:                          ;   in Loop: Header=BB1245_979 Depth=2
	ds_load_b64 v[58:59], v123 offset:31744
	s_wait_dscnt 0x0
	v_cmp_ne_u64_e64 s30, s[42:43], v[58:59]
	s_delay_alu instid0(VALU_DEP_1) | instskip(SKIP_2) | instid1(VALU_DEP_2)
	v_cndmask_b32_e64 v65, 0x80000000, v59, s30
	v_cndmask_b32_e64 v64, 0, v58, s30
	v_cmp_lt_i64_e64 s30, -1, v[58:59]
	v_lshrrev_b64 v[64:65], s48, v[64:65]
	v_ashrrev_i32_e32 v65, 31, v59
	s_delay_alu instid0(VALU_DEP_3) | instskip(NEXT) | instid1(VALU_DEP_2)
	v_cndmask_b32_e64 v66, 0x80000000, -1, s30
	v_not_b32_e32 v65, v65
	s_delay_alu instid0(VALU_DEP_4) | instskip(NEXT) | instid1(VALU_DEP_1)
	v_and_b32_e32 v64, s55, v64
	v_dual_lshlrev_b32 v64, 2, v64 :: v_dual_bitop2_b32 v59, v66, v59 bitop3:0x14
	ds_load_b32 v64, v64
	s_wait_dscnt 0x0
	v_dual_add_nc_u32 v64, v64, v112 :: v_dual_bitop2_b32 v58, v65, v58 bitop3:0x14
	global_store_b64 v64, v[58:59], s[40:41] scale_offset
.LBB1245_1074:                          ;   in Loop: Header=BB1245_979 Depth=2
	s_wait_xcnt 0x0
	s_or_b32 exec_lo, exec_lo, s61
	v_lshl_add_u64 v[58:59], s[34:35], 3, v[22:23]
	v_cmp_lt_u32_e64 s30, v129, v165
	s_and_saveexec_b32 s34, s30
	s_delay_alu instid0(SALU_CYCLE_1)
	s_xor_b32 s30, exec_lo, s34
	s_cbranch_execnz .LBB1245_1141
; %bb.1075:                             ;   in Loop: Header=BB1245_979 Depth=2
	s_or_b32 exec_lo, exec_lo, s30
	s_delay_alu instid0(SALU_CYCLE_1)
	s_mov_b32 s34, exec_lo
	v_cmpx_lt_u32_e64 v132, v165
	s_cbranch_execnz .LBB1245_1142
.LBB1245_1076:                          ;   in Loop: Header=BB1245_979 Depth=2
	s_or_b32 exec_lo, exec_lo, s34
	s_delay_alu instid0(SALU_CYCLE_1)
	s_mov_b32 s34, exec_lo
	v_cmpx_lt_u32_e64 v133, v165
	s_cbranch_execnz .LBB1245_1143
.LBB1245_1077:                          ;   in Loop: Header=BB1245_979 Depth=2
	s_or_b32 exec_lo, exec_lo, s34
	s_delay_alu instid0(SALU_CYCLE_1)
	s_mov_b32 s34, exec_lo
	v_cmpx_lt_u32_e64 v134, v165
	s_cbranch_execnz .LBB1245_1144
.LBB1245_1078:                          ;   in Loop: Header=BB1245_979 Depth=2
	s_or_b32 exec_lo, exec_lo, s34
	s_delay_alu instid0(SALU_CYCLE_1)
	s_mov_b32 s34, exec_lo
	v_cmpx_lt_u32_e64 v135, v165
	s_cbranch_execnz .LBB1245_1145
.LBB1245_1079:                          ;   in Loop: Header=BB1245_979 Depth=2
	s_or_b32 exec_lo, exec_lo, s34
	s_delay_alu instid0(SALU_CYCLE_1)
	s_mov_b32 s34, exec_lo
	v_cmpx_lt_u32_e64 v136, v165
	s_cbranch_execnz .LBB1245_1146
.LBB1245_1080:                          ;   in Loop: Header=BB1245_979 Depth=2
	s_or_b32 exec_lo, exec_lo, s34
	s_delay_alu instid0(SALU_CYCLE_1)
	s_mov_b32 s34, exec_lo
	v_cmpx_lt_u32_e64 v137, v165
	s_cbranch_execnz .LBB1245_1147
.LBB1245_1081:                          ;   in Loop: Header=BB1245_979 Depth=2
	s_or_b32 exec_lo, exec_lo, s34
	s_delay_alu instid0(SALU_CYCLE_1)
	s_mov_b32 s34, exec_lo
	v_cmpx_lt_u32_e64 v138, v165
	s_cbranch_execnz .LBB1245_1148
.LBB1245_1082:                          ;   in Loop: Header=BB1245_979 Depth=2
	s_or_b32 exec_lo, exec_lo, s34
	s_delay_alu instid0(SALU_CYCLE_1)
	s_mov_b32 s34, exec_lo
	v_cmpx_lt_u32_e64 v139, v165
	s_cbranch_execnz .LBB1245_1149
.LBB1245_1083:                          ;   in Loop: Header=BB1245_979 Depth=2
	s_or_b32 exec_lo, exec_lo, s34
	s_delay_alu instid0(SALU_CYCLE_1)
	s_mov_b32 s34, exec_lo
	v_cmpx_lt_u32_e64 v140, v165
	s_cbranch_execnz .LBB1245_1150
.LBB1245_1084:                          ;   in Loop: Header=BB1245_979 Depth=2
	s_or_b32 exec_lo, exec_lo, s34
	s_delay_alu instid0(SALU_CYCLE_1)
	s_mov_b32 s34, exec_lo
	v_cmpx_lt_u32_e64 v141, v165
	s_cbranch_execnz .LBB1245_1151
.LBB1245_1085:                          ;   in Loop: Header=BB1245_979 Depth=2
	s_or_b32 exec_lo, exec_lo, s34
	s_delay_alu instid0(SALU_CYCLE_1)
	s_mov_b32 s34, exec_lo
	v_cmpx_lt_u32_e64 v142, v165
	s_cbranch_execnz .LBB1245_1152
.LBB1245_1086:                          ;   in Loop: Header=BB1245_979 Depth=2
	s_or_b32 exec_lo, exec_lo, s34
	s_delay_alu instid0(SALU_CYCLE_1)
	s_mov_b32 s34, exec_lo
	v_cmpx_lt_u32_e64 v143, v165
	s_cbranch_execnz .LBB1245_1153
.LBB1245_1087:                          ;   in Loop: Header=BB1245_979 Depth=2
	s_or_b32 exec_lo, exec_lo, s34
	s_delay_alu instid0(SALU_CYCLE_1)
	s_mov_b32 s34, exec_lo
	v_cmpx_lt_u32_e64 v144, v165
	s_cbranch_execnz .LBB1245_1154
.LBB1245_1088:                          ;   in Loop: Header=BB1245_979 Depth=2
	s_or_b32 exec_lo, exec_lo, s34
	s_delay_alu instid0(SALU_CYCLE_1)
	s_mov_b32 s34, exec_lo
	v_cmpx_lt_u32_e64 v145, v165
	s_cbranch_execnz .LBB1245_1155
.LBB1245_1089:                          ;   in Loop: Header=BB1245_979 Depth=2
	s_or_b32 exec_lo, exec_lo, s34
	s_delay_alu instid0(SALU_CYCLE_1)
	s_mov_b32 s34, exec_lo
	v_cmpx_lt_u32_e64 v146, v165
	s_cbranch_execnz .LBB1245_1156
.LBB1245_1090:                          ;   in Loop: Header=BB1245_979 Depth=2
	s_or_b32 exec_lo, exec_lo, s34
	s_and_saveexec_b32 s34, vcc_lo
	s_cbranch_execnz .LBB1245_1157
.LBB1245_1091:                          ;   in Loop: Header=BB1245_979 Depth=2
	s_or_b32 exec_lo, exec_lo, s34
	s_and_saveexec_b32 s34, s15
	s_cbranch_execnz .LBB1245_1158
.LBB1245_1092:                          ;   in Loop: Header=BB1245_979 Depth=2
	s_or_b32 exec_lo, exec_lo, s34
	s_and_saveexec_b32 s34, s16
	s_cbranch_execnz .LBB1245_1159
.LBB1245_1093:                          ;   in Loop: Header=BB1245_979 Depth=2
	s_or_b32 exec_lo, exec_lo, s34
	s_and_saveexec_b32 s34, s17
	s_cbranch_execnz .LBB1245_1160
.LBB1245_1094:                          ;   in Loop: Header=BB1245_979 Depth=2
	s_or_b32 exec_lo, exec_lo, s34
	s_and_saveexec_b32 s34, s18
	s_cbranch_execnz .LBB1245_1161
.LBB1245_1095:                          ;   in Loop: Header=BB1245_979 Depth=2
	s_or_b32 exec_lo, exec_lo, s34
	s_and_saveexec_b32 s34, s19
	s_cbranch_execnz .LBB1245_1162
.LBB1245_1096:                          ;   in Loop: Header=BB1245_979 Depth=2
	s_or_b32 exec_lo, exec_lo, s34
	s_and_saveexec_b32 s34, s20
	s_cbranch_execnz .LBB1245_1163
.LBB1245_1097:                          ;   in Loop: Header=BB1245_979 Depth=2
	s_or_b32 exec_lo, exec_lo, s34
	s_and_saveexec_b32 s34, s21
	s_cbranch_execnz .LBB1245_1164
.LBB1245_1098:                          ;   in Loop: Header=BB1245_979 Depth=2
	s_or_b32 exec_lo, exec_lo, s34
	s_and_saveexec_b32 s34, s22
	s_cbranch_execnz .LBB1245_1165
.LBB1245_1099:                          ;   in Loop: Header=BB1245_979 Depth=2
	s_or_b32 exec_lo, exec_lo, s34
	s_and_saveexec_b32 s34, s23
	s_cbranch_execnz .LBB1245_1166
.LBB1245_1100:                          ;   in Loop: Header=BB1245_979 Depth=2
	s_or_b32 exec_lo, exec_lo, s34
	s_and_saveexec_b32 s34, s24
	s_cbranch_execnz .LBB1245_1167
.LBB1245_1101:                          ;   in Loop: Header=BB1245_979 Depth=2
	s_or_b32 exec_lo, exec_lo, s34
	s_and_saveexec_b32 s34, s25
	s_cbranch_execnz .LBB1245_1168
.LBB1245_1102:                          ;   in Loop: Header=BB1245_979 Depth=2
	s_or_b32 exec_lo, exec_lo, s34
	s_and_saveexec_b32 s34, s26
	s_cbranch_execnz .LBB1245_1169
.LBB1245_1103:                          ;   in Loop: Header=BB1245_979 Depth=2
	s_or_b32 exec_lo, exec_lo, s34
	s_and_saveexec_b32 s34, s27
	s_cbranch_execnz .LBB1245_1170
.LBB1245_1104:                          ;   in Loop: Header=BB1245_979 Depth=2
	s_or_b32 exec_lo, exec_lo, s34
	s_and_saveexec_b32 s34, s28
	s_cbranch_execnz .LBB1245_1171
.LBB1245_1105:                          ;   in Loop: Header=BB1245_979 Depth=2
	s_or_b32 exec_lo, exec_lo, s34
	s_and_saveexec_b32 s34, s29
	s_cbranch_execz .LBB1245_1107
.LBB1245_1106:                          ;   in Loop: Header=BB1245_979 Depth=2
	ds_load_b64 v[58:59], v123 offset:31744
	s_wait_dscnt 0x0
	v_cmp_ne_u64_e64 s30, s[42:43], v[58:59]
	s_delay_alu instid0(VALU_DEP_1) | instskip(SKIP_1) | instid1(VALU_DEP_1)
	v_cndmask_b32_e64 v59, 0x80000000, v59, s30
	v_cndmask_b32_e64 v58, 0, v58, s30
	v_lshrrev_b64 v[58:59], s48, v[58:59]
	s_delay_alu instid0(VALU_DEP_1)
	v_and_b32_e32 v149, s55, v58
.LBB1245_1107:                          ;   in Loop: Header=BB1245_979 Depth=2
	s_or_b32 exec_lo, exec_lo, s34
	s_wait_loadcnt 0x0
	s_wait_storecnt 0x0
	s_barrier_signal -1
	s_barrier_wait -1
	ds_store_b64 v91, v[56:57] offset:1024
	ds_store_b64 v92, v[54:55] offset:1024
	;; [unrolled: 1-line block ×16, first 2 shown]
	s_wait_dscnt 0x0
	s_barrier_signal -1
	s_barrier_wait -1
	s_and_saveexec_b32 s30, vcc_lo
	s_cbranch_execnz .LBB1245_1172
; %bb.1108:                             ;   in Loop: Header=BB1245_979 Depth=2
	s_or_b32 exec_lo, exec_lo, s30
	s_and_saveexec_b32 s30, s15
	s_cbranch_execnz .LBB1245_1173
.LBB1245_1109:                          ;   in Loop: Header=BB1245_979 Depth=2
	s_or_b32 exec_lo, exec_lo, s30
	s_and_saveexec_b32 s15, s16
	s_cbranch_execnz .LBB1245_1174
.LBB1245_1110:                          ;   in Loop: Header=BB1245_979 Depth=2
	s_or_b32 exec_lo, exec_lo, s15
	s_and_saveexec_b32 s15, s17
	s_cbranch_execnz .LBB1245_1175
.LBB1245_1111:                          ;   in Loop: Header=BB1245_979 Depth=2
	s_or_b32 exec_lo, exec_lo, s15
	s_and_saveexec_b32 s15, s18
	s_cbranch_execnz .LBB1245_1176
.LBB1245_1112:                          ;   in Loop: Header=BB1245_979 Depth=2
	s_or_b32 exec_lo, exec_lo, s15
	s_and_saveexec_b32 s15, s19
	s_cbranch_execnz .LBB1245_1177
.LBB1245_1113:                          ;   in Loop: Header=BB1245_979 Depth=2
	s_or_b32 exec_lo, exec_lo, s15
	s_and_saveexec_b32 s15, s20
	s_cbranch_execnz .LBB1245_1178
.LBB1245_1114:                          ;   in Loop: Header=BB1245_979 Depth=2
	s_or_b32 exec_lo, exec_lo, s15
	s_and_saveexec_b32 s15, s21
	s_cbranch_execnz .LBB1245_1179
.LBB1245_1115:                          ;   in Loop: Header=BB1245_979 Depth=2
	s_or_b32 exec_lo, exec_lo, s15
	s_and_saveexec_b32 s15, s22
	s_cbranch_execnz .LBB1245_1180
.LBB1245_1116:                          ;   in Loop: Header=BB1245_979 Depth=2
	s_or_b32 exec_lo, exec_lo, s15
	s_and_saveexec_b32 s15, s23
	s_cbranch_execnz .LBB1245_1181
.LBB1245_1117:                          ;   in Loop: Header=BB1245_979 Depth=2
	s_or_b32 exec_lo, exec_lo, s15
	s_and_saveexec_b32 s15, s24
	s_cbranch_execnz .LBB1245_1182
.LBB1245_1118:                          ;   in Loop: Header=BB1245_979 Depth=2
	s_or_b32 exec_lo, exec_lo, s15
	s_and_saveexec_b32 s15, s25
	s_cbranch_execnz .LBB1245_1183
.LBB1245_1119:                          ;   in Loop: Header=BB1245_979 Depth=2
	s_or_b32 exec_lo, exec_lo, s15
	s_and_saveexec_b32 s15, s26
	s_cbranch_execnz .LBB1245_1184
.LBB1245_1120:                          ;   in Loop: Header=BB1245_979 Depth=2
	s_or_b32 exec_lo, exec_lo, s15
	s_and_saveexec_b32 s15, s27
	s_cbranch_execnz .LBB1245_1185
.LBB1245_1121:                          ;   in Loop: Header=BB1245_979 Depth=2
	s_or_b32 exec_lo, exec_lo, s15
	s_and_saveexec_b32 s15, s28
	s_cbranch_execnz .LBB1245_1186
.LBB1245_1122:                          ;   in Loop: Header=BB1245_979 Depth=2
	s_or_b32 exec_lo, exec_lo, s15
	s_and_saveexec_b32 s15, s29
	s_cbranch_execz .LBB1245_1124
.LBB1245_1123:                          ;   in Loop: Header=BB1245_979 Depth=2
	v_lshlrev_b32_e32 v58, 2, v149
	ds_load_b32 v60, v58
	ds_load_b64 v[58:59], v123 offset:31744
	s_wait_dscnt 0x1
	v_add_nc_u32_e32 v60, v60, v112
	s_wait_dscnt 0x0
	global_store_b64 v60, v[58:59], s[46:47] scale_offset
.LBB1245_1124:                          ;   in Loop: Header=BB1245_979 Depth=2
	s_wait_xcnt 0x0
	s_or_b32 exec_lo, exec_lo, s15
	s_wait_storecnt 0x0
	s_barrier_signal -1
	s_barrier_wait -1
	s_and_saveexec_b32 s15, s0
	s_cbranch_execz .LBB1245_978
; %bb.1125:                             ;   in Loop: Header=BB1245_979 Depth=2
	ds_load_b32 v58, v3
	s_wait_dscnt 0x0
	v_add_nc_u32_e32 v58, v58, v90
	ds_store_b32 v3, v58
	s_branch .LBB1245_978
.LBB1245_1126:                          ;   in Loop: Header=BB1245_979 Depth=2
	ds_load_b64 v[58:59], v123 offset:1024
	s_wait_dscnt 0x0
	v_cmp_ne_u64_e64 s15, s[42:43], v[58:59]
	s_delay_alu instid0(VALU_DEP_1) | instskip(SKIP_2) | instid1(VALU_DEP_2)
	v_cndmask_b32_e64 v65, 0x80000000, v59, s15
	v_cndmask_b32_e64 v64, 0, v58, s15
	v_cmp_lt_i64_e64 s15, -1, v[58:59]
	v_lshrrev_b64 v[64:65], s48, v[64:65]
	v_ashrrev_i32_e32 v65, 31, v59
	s_delay_alu instid0(VALU_DEP_3) | instskip(NEXT) | instid1(VALU_DEP_2)
	v_cndmask_b32_e64 v66, 0x80000000, -1, s15
	v_not_b32_e32 v65, v65
	s_delay_alu instid0(VALU_DEP_4) | instskip(NEXT) | instid1(VALU_DEP_3)
	v_and_b32_e32 v64, s55, v64
	v_xor_b32_e32 v59, v66, v59
	s_delay_alu instid0(VALU_DEP_2)
	v_dual_lshlrev_b32 v64, 2, v64 :: v_dual_bitop2_b32 v58, v65, v58 bitop3:0x14
	ds_load_b32 v64, v64
	s_wait_dscnt 0x0
	v_add_nc_u32_e32 v64, v64, v2
	global_store_b64 v64, v[58:59], s[40:41] scale_offset
	s_wait_xcnt 0x0
	s_or_b32 exec_lo, exec_lo, s16
	v_cmp_lt_u32_e64 s15, v98, v165
	s_and_saveexec_b32 s17, s15
	s_cbranch_execz .LBB1245_1059
.LBB1245_1127:                          ;   in Loop: Header=BB1245_979 Depth=2
	ds_load_b64 v[58:59], v123 offset:3072
	s_wait_dscnt 0x0
	v_cmp_ne_u64_e64 s16, s[42:43], v[58:59]
	s_delay_alu instid0(VALU_DEP_1) | instskip(SKIP_2) | instid1(VALU_DEP_2)
	v_cndmask_b32_e64 v65, 0x80000000, v59, s16
	v_cndmask_b32_e64 v64, 0, v58, s16
	v_cmp_lt_i64_e64 s16, -1, v[58:59]
	v_lshrrev_b64 v[64:65], s48, v[64:65]
	v_ashrrev_i32_e32 v65, 31, v59
	s_delay_alu instid0(VALU_DEP_3) | instskip(NEXT) | instid1(VALU_DEP_2)
	v_cndmask_b32_e64 v66, 0x80000000, -1, s16
	v_not_b32_e32 v65, v65
	s_delay_alu instid0(VALU_DEP_4) | instskip(NEXT) | instid1(VALU_DEP_3)
	v_and_b32_e32 v64, s55, v64
	v_xor_b32_e32 v59, v66, v59
	s_delay_alu instid0(VALU_DEP_2)
	v_dual_lshlrev_b32 v64, 2, v64 :: v_dual_bitop2_b32 v58, v65, v58 bitop3:0x14
	ds_load_b32 v64, v64
	s_wait_dscnt 0x0
	v_add_nc_u32_e32 v64, v64, v98
	global_store_b64 v64, v[58:59], s[40:41] scale_offset
	s_wait_xcnt 0x0
	s_or_b32 exec_lo, exec_lo, s17
	v_cmp_lt_u32_e64 s16, v99, v165
	s_and_saveexec_b32 s18, s16
	s_cbranch_execz .LBB1245_1060
.LBB1245_1128:                          ;   in Loop: Header=BB1245_979 Depth=2
	ds_load_b64 v[58:59], v123 offset:5120
	s_wait_dscnt 0x0
	v_cmp_ne_u64_e64 s17, s[42:43], v[58:59]
	s_delay_alu instid0(VALU_DEP_1) | instskip(SKIP_2) | instid1(VALU_DEP_2)
	v_cndmask_b32_e64 v65, 0x80000000, v59, s17
	v_cndmask_b32_e64 v64, 0, v58, s17
	v_cmp_lt_i64_e64 s17, -1, v[58:59]
	v_lshrrev_b64 v[64:65], s48, v[64:65]
	v_ashrrev_i32_e32 v65, 31, v59
	s_delay_alu instid0(VALU_DEP_3) | instskip(NEXT) | instid1(VALU_DEP_2)
	v_cndmask_b32_e64 v66, 0x80000000, -1, s17
	v_not_b32_e32 v65, v65
	s_delay_alu instid0(VALU_DEP_4) | instskip(NEXT) | instid1(VALU_DEP_1)
	v_and_b32_e32 v64, s55, v64
	v_dual_lshlrev_b32 v64, 2, v64 :: v_dual_bitop2_b32 v59, v66, v59 bitop3:0x14
	ds_load_b32 v64, v64
	s_wait_dscnt 0x0
	v_dual_add_nc_u32 v64, v64, v99 :: v_dual_bitop2_b32 v58, v65, v58 bitop3:0x14
	global_store_b64 v64, v[58:59], s[40:41] scale_offset
	s_wait_xcnt 0x0
	s_or_b32 exec_lo, exec_lo, s18
	v_cmp_lt_u32_e64 s17, v100, v165
	s_and_saveexec_b32 s19, s17
	s_cbranch_execz .LBB1245_1061
.LBB1245_1129:                          ;   in Loop: Header=BB1245_979 Depth=2
	ds_load_b64 v[58:59], v123 offset:7168
	s_wait_dscnt 0x0
	v_cmp_ne_u64_e64 s18, s[42:43], v[58:59]
	s_delay_alu instid0(VALU_DEP_1) | instskip(SKIP_2) | instid1(VALU_DEP_2)
	v_cndmask_b32_e64 v65, 0x80000000, v59, s18
	v_cndmask_b32_e64 v64, 0, v58, s18
	v_cmp_lt_i64_e64 s18, -1, v[58:59]
	v_lshrrev_b64 v[64:65], s48, v[64:65]
	v_ashrrev_i32_e32 v65, 31, v59
	s_delay_alu instid0(VALU_DEP_3) | instskip(NEXT) | instid1(VALU_DEP_2)
	v_cndmask_b32_e64 v66, 0x80000000, -1, s18
	v_not_b32_e32 v65, v65
	s_delay_alu instid0(VALU_DEP_4) | instskip(NEXT) | instid1(VALU_DEP_1)
	v_and_b32_e32 v64, s55, v64
	v_dual_lshlrev_b32 v64, 2, v64 :: v_dual_bitop2_b32 v59, v66, v59 bitop3:0x14
	ds_load_b32 v64, v64
	s_wait_dscnt 0x0
	v_dual_add_nc_u32 v64, v64, v100 :: v_dual_bitop2_b32 v58, v65, v58 bitop3:0x14
	global_store_b64 v64, v[58:59], s[40:41] scale_offset
	s_wait_xcnt 0x0
	s_or_b32 exec_lo, exec_lo, s19
	v_cmp_lt_u32_e64 s18, v101, v165
	s_and_saveexec_b32 s20, s18
	s_cbranch_execz .LBB1245_1062
.LBB1245_1130:                          ;   in Loop: Header=BB1245_979 Depth=2
	ds_load_b64 v[58:59], v123 offset:9216
	s_wait_dscnt 0x0
	v_cmp_ne_u64_e64 s19, s[42:43], v[58:59]
	s_delay_alu instid0(VALU_DEP_1) | instskip(SKIP_2) | instid1(VALU_DEP_2)
	v_cndmask_b32_e64 v65, 0x80000000, v59, s19
	v_cndmask_b32_e64 v64, 0, v58, s19
	v_cmp_lt_i64_e64 s19, -1, v[58:59]
	v_lshrrev_b64 v[64:65], s48, v[64:65]
	v_ashrrev_i32_e32 v65, 31, v59
	s_delay_alu instid0(VALU_DEP_3) | instskip(NEXT) | instid1(VALU_DEP_2)
	v_cndmask_b32_e64 v66, 0x80000000, -1, s19
	v_not_b32_e32 v65, v65
	s_delay_alu instid0(VALU_DEP_4) | instskip(NEXT) | instid1(VALU_DEP_1)
	v_and_b32_e32 v64, s55, v64
	v_dual_lshlrev_b32 v64, 2, v64 :: v_dual_bitop2_b32 v59, v66, v59 bitop3:0x14
	ds_load_b32 v64, v64
	s_wait_dscnt 0x0
	v_dual_add_nc_u32 v64, v64, v101 :: v_dual_bitop2_b32 v58, v65, v58 bitop3:0x14
	global_store_b64 v64, v[58:59], s[40:41] scale_offset
	s_wait_xcnt 0x0
	s_or_b32 exec_lo, exec_lo, s20
	v_cmp_lt_u32_e64 s19, v102, v165
	s_and_saveexec_b32 s21, s19
	s_cbranch_execz .LBB1245_1063
.LBB1245_1131:                          ;   in Loop: Header=BB1245_979 Depth=2
	ds_load_b64 v[58:59], v123 offset:11264
	s_wait_dscnt 0x0
	v_cmp_ne_u64_e64 s20, s[42:43], v[58:59]
	s_delay_alu instid0(VALU_DEP_1) | instskip(SKIP_2) | instid1(VALU_DEP_2)
	v_cndmask_b32_e64 v65, 0x80000000, v59, s20
	v_cndmask_b32_e64 v64, 0, v58, s20
	v_cmp_lt_i64_e64 s20, -1, v[58:59]
	v_lshrrev_b64 v[64:65], s48, v[64:65]
	v_ashrrev_i32_e32 v65, 31, v59
	s_delay_alu instid0(VALU_DEP_3) | instskip(NEXT) | instid1(VALU_DEP_2)
	v_cndmask_b32_e64 v66, 0x80000000, -1, s20
	v_not_b32_e32 v65, v65
	s_delay_alu instid0(VALU_DEP_4) | instskip(NEXT) | instid1(VALU_DEP_3)
	v_and_b32_e32 v64, s55, v64
	v_xor_b32_e32 v59, v66, v59
	s_delay_alu instid0(VALU_DEP_2)
	v_dual_lshlrev_b32 v64, 2, v64 :: v_dual_bitop2_b32 v58, v65, v58 bitop3:0x14
	ds_load_b32 v64, v64
	s_wait_dscnt 0x0
	v_add_nc_u32_e32 v64, v64, v102
	global_store_b64 v64, v[58:59], s[40:41] scale_offset
	s_wait_xcnt 0x0
	s_or_b32 exec_lo, exec_lo, s21
	v_cmp_lt_u32_e64 s20, v103, v165
	s_and_saveexec_b32 s22, s20
	s_cbranch_execz .LBB1245_1064
.LBB1245_1132:                          ;   in Loop: Header=BB1245_979 Depth=2
	ds_load_b64 v[58:59], v123 offset:13312
	s_wait_dscnt 0x0
	v_cmp_ne_u64_e64 s21, s[42:43], v[58:59]
	s_delay_alu instid0(VALU_DEP_1) | instskip(SKIP_2) | instid1(VALU_DEP_2)
	v_cndmask_b32_e64 v65, 0x80000000, v59, s21
	v_cndmask_b32_e64 v64, 0, v58, s21
	v_cmp_lt_i64_e64 s21, -1, v[58:59]
	v_lshrrev_b64 v[64:65], s48, v[64:65]
	v_ashrrev_i32_e32 v65, 31, v59
	s_delay_alu instid0(VALU_DEP_3) | instskip(NEXT) | instid1(VALU_DEP_2)
	v_cndmask_b32_e64 v66, 0x80000000, -1, s21
	v_not_b32_e32 v65, v65
	s_delay_alu instid0(VALU_DEP_4) | instskip(NEXT) | instid1(VALU_DEP_1)
	v_and_b32_e32 v64, s55, v64
	v_dual_lshlrev_b32 v64, 2, v64 :: v_dual_bitop2_b32 v59, v66, v59 bitop3:0x14
	ds_load_b32 v64, v64
	s_wait_dscnt 0x0
	v_dual_add_nc_u32 v64, v64, v103 :: v_dual_bitop2_b32 v58, v65, v58 bitop3:0x14
	global_store_b64 v64, v[58:59], s[40:41] scale_offset
	s_wait_xcnt 0x0
	s_or_b32 exec_lo, exec_lo, s22
	v_cmp_lt_u32_e64 s21, v104, v165
	s_and_saveexec_b32 s23, s21
	s_cbranch_execz .LBB1245_1065
.LBB1245_1133:                          ;   in Loop: Header=BB1245_979 Depth=2
	ds_load_b64 v[58:59], v123 offset:15360
	s_wait_dscnt 0x0
	v_cmp_ne_u64_e64 s22, s[42:43], v[58:59]
	s_delay_alu instid0(VALU_DEP_1) | instskip(SKIP_2) | instid1(VALU_DEP_2)
	v_cndmask_b32_e64 v65, 0x80000000, v59, s22
	v_cndmask_b32_e64 v64, 0, v58, s22
	v_cmp_lt_i64_e64 s22, -1, v[58:59]
	v_lshrrev_b64 v[64:65], s48, v[64:65]
	v_ashrrev_i32_e32 v65, 31, v59
	s_delay_alu instid0(VALU_DEP_3) | instskip(NEXT) | instid1(VALU_DEP_2)
	v_cndmask_b32_e64 v66, 0x80000000, -1, s22
	v_not_b32_e32 v65, v65
	s_delay_alu instid0(VALU_DEP_4) | instskip(NEXT) | instid1(VALU_DEP_1)
	v_and_b32_e32 v64, s55, v64
	v_dual_lshlrev_b32 v64, 2, v64 :: v_dual_bitop2_b32 v59, v66, v59 bitop3:0x14
	ds_load_b32 v64, v64
	s_wait_dscnt 0x0
	v_dual_add_nc_u32 v64, v64, v104 :: v_dual_bitop2_b32 v58, v65, v58 bitop3:0x14
	global_store_b64 v64, v[58:59], s[40:41] scale_offset
	s_wait_xcnt 0x0
	s_or_b32 exec_lo, exec_lo, s23
	v_cmp_lt_u32_e64 s22, v105, v165
	s_and_saveexec_b32 s24, s22
	s_cbranch_execz .LBB1245_1066
.LBB1245_1134:                          ;   in Loop: Header=BB1245_979 Depth=2
	ds_load_b64 v[58:59], v123 offset:17408
	s_wait_dscnt 0x0
	v_cmp_ne_u64_e64 s23, s[42:43], v[58:59]
	s_delay_alu instid0(VALU_DEP_1) | instskip(SKIP_2) | instid1(VALU_DEP_2)
	v_cndmask_b32_e64 v65, 0x80000000, v59, s23
	v_cndmask_b32_e64 v64, 0, v58, s23
	v_cmp_lt_i64_e64 s23, -1, v[58:59]
	v_lshrrev_b64 v[64:65], s48, v[64:65]
	v_ashrrev_i32_e32 v65, 31, v59
	s_delay_alu instid0(VALU_DEP_3) | instskip(NEXT) | instid1(VALU_DEP_2)
	v_cndmask_b32_e64 v66, 0x80000000, -1, s23
	v_not_b32_e32 v65, v65
	s_delay_alu instid0(VALU_DEP_4) | instskip(NEXT) | instid1(VALU_DEP_1)
	v_and_b32_e32 v64, s55, v64
	v_dual_lshlrev_b32 v64, 2, v64 :: v_dual_bitop2_b32 v59, v66, v59 bitop3:0x14
	ds_load_b32 v64, v64
	s_wait_dscnt 0x0
	v_dual_add_nc_u32 v64, v64, v105 :: v_dual_bitop2_b32 v58, v65, v58 bitop3:0x14
	global_store_b64 v64, v[58:59], s[40:41] scale_offset
	s_wait_xcnt 0x0
	s_or_b32 exec_lo, exec_lo, s24
	v_cmp_lt_u32_e64 s23, v106, v165
	s_and_saveexec_b32 s25, s23
	s_cbranch_execz .LBB1245_1067
.LBB1245_1135:                          ;   in Loop: Header=BB1245_979 Depth=2
	ds_load_b64 v[58:59], v123 offset:19456
	s_wait_dscnt 0x0
	v_cmp_ne_u64_e64 s24, s[42:43], v[58:59]
	s_delay_alu instid0(VALU_DEP_1) | instskip(SKIP_2) | instid1(VALU_DEP_2)
	v_cndmask_b32_e64 v65, 0x80000000, v59, s24
	v_cndmask_b32_e64 v64, 0, v58, s24
	v_cmp_lt_i64_e64 s24, -1, v[58:59]
	v_lshrrev_b64 v[64:65], s48, v[64:65]
	v_ashrrev_i32_e32 v65, 31, v59
	s_delay_alu instid0(VALU_DEP_3) | instskip(NEXT) | instid1(VALU_DEP_2)
	v_cndmask_b32_e64 v66, 0x80000000, -1, s24
	v_not_b32_e32 v65, v65
	s_delay_alu instid0(VALU_DEP_4) | instskip(NEXT) | instid1(VALU_DEP_3)
	v_and_b32_e32 v64, s55, v64
	v_xor_b32_e32 v59, v66, v59
	s_delay_alu instid0(VALU_DEP_2)
	v_dual_lshlrev_b32 v64, 2, v64 :: v_dual_bitop2_b32 v58, v65, v58 bitop3:0x14
	ds_load_b32 v64, v64
	s_wait_dscnt 0x0
	v_add_nc_u32_e32 v64, v64, v106
	global_store_b64 v64, v[58:59], s[40:41] scale_offset
	s_wait_xcnt 0x0
	s_or_b32 exec_lo, exec_lo, s25
	v_cmp_lt_u32_e64 s24, v107, v165
	s_and_saveexec_b32 s26, s24
	s_cbranch_execz .LBB1245_1068
.LBB1245_1136:                          ;   in Loop: Header=BB1245_979 Depth=2
	ds_load_b64 v[58:59], v123 offset:21504
	s_wait_dscnt 0x0
	v_cmp_ne_u64_e64 s25, s[42:43], v[58:59]
	s_delay_alu instid0(VALU_DEP_1) | instskip(SKIP_2) | instid1(VALU_DEP_2)
	v_cndmask_b32_e64 v65, 0x80000000, v59, s25
	v_cndmask_b32_e64 v64, 0, v58, s25
	v_cmp_lt_i64_e64 s25, -1, v[58:59]
	v_lshrrev_b64 v[64:65], s48, v[64:65]
	v_ashrrev_i32_e32 v65, 31, v59
	s_delay_alu instid0(VALU_DEP_3) | instskip(NEXT) | instid1(VALU_DEP_2)
	v_cndmask_b32_e64 v66, 0x80000000, -1, s25
	v_not_b32_e32 v65, v65
	s_delay_alu instid0(VALU_DEP_4) | instskip(NEXT) | instid1(VALU_DEP_1)
	v_and_b32_e32 v64, s55, v64
	v_dual_lshlrev_b32 v64, 2, v64 :: v_dual_bitop2_b32 v59, v66, v59 bitop3:0x14
	ds_load_b32 v64, v64
	s_wait_dscnt 0x0
	v_dual_add_nc_u32 v64, v64, v107 :: v_dual_bitop2_b32 v58, v65, v58 bitop3:0x14
	global_store_b64 v64, v[58:59], s[40:41] scale_offset
	s_wait_xcnt 0x0
	s_or_b32 exec_lo, exec_lo, s26
	v_cmp_lt_u32_e64 s25, v108, v165
	s_and_saveexec_b32 s27, s25
	s_cbranch_execz .LBB1245_1069
.LBB1245_1137:                          ;   in Loop: Header=BB1245_979 Depth=2
	ds_load_b64 v[58:59], v123 offset:23552
	s_wait_dscnt 0x0
	v_cmp_ne_u64_e64 s26, s[42:43], v[58:59]
	s_delay_alu instid0(VALU_DEP_1) | instskip(SKIP_2) | instid1(VALU_DEP_2)
	v_cndmask_b32_e64 v65, 0x80000000, v59, s26
	v_cndmask_b32_e64 v64, 0, v58, s26
	v_cmp_lt_i64_e64 s26, -1, v[58:59]
	v_lshrrev_b64 v[64:65], s48, v[64:65]
	v_ashrrev_i32_e32 v65, 31, v59
	s_delay_alu instid0(VALU_DEP_3) | instskip(NEXT) | instid1(VALU_DEP_2)
	v_cndmask_b32_e64 v66, 0x80000000, -1, s26
	v_not_b32_e32 v65, v65
	s_delay_alu instid0(VALU_DEP_4) | instskip(NEXT) | instid1(VALU_DEP_1)
	v_and_b32_e32 v64, s55, v64
	v_dual_lshlrev_b32 v64, 2, v64 :: v_dual_bitop2_b32 v59, v66, v59 bitop3:0x14
	ds_load_b32 v64, v64
	s_wait_dscnt 0x0
	v_dual_add_nc_u32 v64, v64, v108 :: v_dual_bitop2_b32 v58, v65, v58 bitop3:0x14
	global_store_b64 v64, v[58:59], s[40:41] scale_offset
	s_wait_xcnt 0x0
	s_or_b32 exec_lo, exec_lo, s27
	v_cmp_lt_u32_e64 s26, v109, v165
	s_and_saveexec_b32 s28, s26
	s_cbranch_execz .LBB1245_1070
.LBB1245_1138:                          ;   in Loop: Header=BB1245_979 Depth=2
	ds_load_b64 v[58:59], v123 offset:25600
	s_wait_dscnt 0x0
	v_cmp_ne_u64_e64 s27, s[42:43], v[58:59]
	s_delay_alu instid0(VALU_DEP_1) | instskip(SKIP_2) | instid1(VALU_DEP_2)
	v_cndmask_b32_e64 v65, 0x80000000, v59, s27
	v_cndmask_b32_e64 v64, 0, v58, s27
	v_cmp_lt_i64_e64 s27, -1, v[58:59]
	v_lshrrev_b64 v[64:65], s48, v[64:65]
	v_ashrrev_i32_e32 v65, 31, v59
	s_delay_alu instid0(VALU_DEP_3) | instskip(NEXT) | instid1(VALU_DEP_2)
	v_cndmask_b32_e64 v66, 0x80000000, -1, s27
	v_not_b32_e32 v65, v65
	s_delay_alu instid0(VALU_DEP_4) | instskip(NEXT) | instid1(VALU_DEP_1)
	v_and_b32_e32 v64, s55, v64
	v_dual_lshlrev_b32 v64, 2, v64 :: v_dual_bitop2_b32 v59, v66, v59 bitop3:0x14
	ds_load_b32 v64, v64
	s_wait_dscnt 0x0
	v_dual_add_nc_u32 v64, v64, v109 :: v_dual_bitop2_b32 v58, v65, v58 bitop3:0x14
	global_store_b64 v64, v[58:59], s[40:41] scale_offset
	s_wait_xcnt 0x0
	s_or_b32 exec_lo, exec_lo, s28
	v_cmp_lt_u32_e64 s27, v110, v165
	s_and_saveexec_b32 s29, s27
	s_cbranch_execz .LBB1245_1071
.LBB1245_1139:                          ;   in Loop: Header=BB1245_979 Depth=2
	ds_load_b64 v[58:59], v123 offset:27648
	s_wait_dscnt 0x0
	v_cmp_ne_u64_e64 s28, s[42:43], v[58:59]
	s_delay_alu instid0(VALU_DEP_1) | instskip(SKIP_2) | instid1(VALU_DEP_2)
	v_cndmask_b32_e64 v65, 0x80000000, v59, s28
	v_cndmask_b32_e64 v64, 0, v58, s28
	v_cmp_lt_i64_e64 s28, -1, v[58:59]
	v_lshrrev_b64 v[64:65], s48, v[64:65]
	v_ashrrev_i32_e32 v65, 31, v59
	s_delay_alu instid0(VALU_DEP_3) | instskip(NEXT) | instid1(VALU_DEP_2)
	v_cndmask_b32_e64 v66, 0x80000000, -1, s28
	v_not_b32_e32 v65, v65
	s_delay_alu instid0(VALU_DEP_4) | instskip(NEXT) | instid1(VALU_DEP_3)
	v_and_b32_e32 v64, s55, v64
	v_xor_b32_e32 v59, v66, v59
	s_delay_alu instid0(VALU_DEP_2)
	v_dual_lshlrev_b32 v64, 2, v64 :: v_dual_bitop2_b32 v58, v65, v58 bitop3:0x14
	ds_load_b32 v64, v64
	s_wait_dscnt 0x0
	v_add_nc_u32_e32 v64, v64, v110
	global_store_b64 v64, v[58:59], s[40:41] scale_offset
	s_wait_xcnt 0x0
	s_or_b32 exec_lo, exec_lo, s29
	v_cmp_lt_u32_e64 s28, v111, v165
	s_and_saveexec_b32 s30, s28
	s_cbranch_execz .LBB1245_1072
.LBB1245_1140:                          ;   in Loop: Header=BB1245_979 Depth=2
	ds_load_b64 v[58:59], v123 offset:29696
	s_wait_dscnt 0x0
	v_cmp_ne_u64_e64 s29, s[42:43], v[58:59]
	s_delay_alu instid0(VALU_DEP_1) | instskip(SKIP_2) | instid1(VALU_DEP_2)
	v_cndmask_b32_e64 v65, 0x80000000, v59, s29
	v_cndmask_b32_e64 v64, 0, v58, s29
	v_cmp_lt_i64_e64 s29, -1, v[58:59]
	v_lshrrev_b64 v[64:65], s48, v[64:65]
	v_ashrrev_i32_e32 v65, 31, v59
	s_delay_alu instid0(VALU_DEP_3) | instskip(NEXT) | instid1(VALU_DEP_2)
	v_cndmask_b32_e64 v66, 0x80000000, -1, s29
	v_not_b32_e32 v65, v65
	s_delay_alu instid0(VALU_DEP_4) | instskip(NEXT) | instid1(VALU_DEP_1)
	v_and_b32_e32 v64, s55, v64
	v_dual_lshlrev_b32 v64, 2, v64 :: v_dual_bitop2_b32 v59, v66, v59 bitop3:0x14
	ds_load_b32 v64, v64
	s_wait_dscnt 0x0
	v_dual_add_nc_u32 v64, v64, v111 :: v_dual_bitop2_b32 v58, v65, v58 bitop3:0x14
	global_store_b64 v64, v[58:59], s[40:41] scale_offset
	s_wait_xcnt 0x0
	s_or_b32 exec_lo, exec_lo, s30
	v_cmp_lt_u32_e64 s29, v112, v165
	s_and_saveexec_b32 s61, s29
	s_cbranch_execnz .LBB1245_1073
	s_branch .LBB1245_1074
.LBB1245_1141:                          ;   in Loop: Header=BB1245_979 Depth=2
	global_load_b64 v[56:57], v[58:59], off
	s_wait_xcnt 0x0
	s_or_b32 exec_lo, exec_lo, s30
	s_delay_alu instid0(SALU_CYCLE_1)
	s_mov_b32 s34, exec_lo
	v_cmpx_lt_u32_e64 v132, v165
	s_cbranch_execz .LBB1245_1076
.LBB1245_1142:                          ;   in Loop: Header=BB1245_979 Depth=2
	global_load_b64 v[54:55], v[58:59], off offset:256
	s_wait_xcnt 0x0
	s_or_b32 exec_lo, exec_lo, s34
	s_delay_alu instid0(SALU_CYCLE_1)
	s_mov_b32 s34, exec_lo
	v_cmpx_lt_u32_e64 v133, v165
	s_cbranch_execz .LBB1245_1077
.LBB1245_1143:                          ;   in Loop: Header=BB1245_979 Depth=2
	global_load_b64 v[52:53], v[58:59], off offset:512
	s_wait_xcnt 0x0
	s_or_b32 exec_lo, exec_lo, s34
	s_delay_alu instid0(SALU_CYCLE_1)
	s_mov_b32 s34, exec_lo
	v_cmpx_lt_u32_e64 v134, v165
	s_cbranch_execz .LBB1245_1078
.LBB1245_1144:                          ;   in Loop: Header=BB1245_979 Depth=2
	global_load_b64 v[50:51], v[58:59], off offset:768
	s_wait_xcnt 0x0
	s_or_b32 exec_lo, exec_lo, s34
	s_delay_alu instid0(SALU_CYCLE_1)
	s_mov_b32 s34, exec_lo
	v_cmpx_lt_u32_e64 v135, v165
	s_cbranch_execz .LBB1245_1079
.LBB1245_1145:                          ;   in Loop: Header=BB1245_979 Depth=2
	global_load_b64 v[48:49], v[58:59], off offset:1024
	s_wait_xcnt 0x0
	s_or_b32 exec_lo, exec_lo, s34
	s_delay_alu instid0(SALU_CYCLE_1)
	s_mov_b32 s34, exec_lo
	v_cmpx_lt_u32_e64 v136, v165
	s_cbranch_execz .LBB1245_1080
.LBB1245_1146:                          ;   in Loop: Header=BB1245_979 Depth=2
	global_load_b64 v[46:47], v[58:59], off offset:1280
	s_wait_xcnt 0x0
	s_or_b32 exec_lo, exec_lo, s34
	s_delay_alu instid0(SALU_CYCLE_1)
	s_mov_b32 s34, exec_lo
	v_cmpx_lt_u32_e64 v137, v165
	s_cbranch_execz .LBB1245_1081
.LBB1245_1147:                          ;   in Loop: Header=BB1245_979 Depth=2
	global_load_b64 v[44:45], v[58:59], off offset:1536
	s_wait_xcnt 0x0
	s_or_b32 exec_lo, exec_lo, s34
	s_delay_alu instid0(SALU_CYCLE_1)
	s_mov_b32 s34, exec_lo
	v_cmpx_lt_u32_e64 v138, v165
	s_cbranch_execz .LBB1245_1082
.LBB1245_1148:                          ;   in Loop: Header=BB1245_979 Depth=2
	global_load_b64 v[42:43], v[58:59], off offset:1792
	s_wait_xcnt 0x0
	s_or_b32 exec_lo, exec_lo, s34
	s_delay_alu instid0(SALU_CYCLE_1)
	s_mov_b32 s34, exec_lo
	v_cmpx_lt_u32_e64 v139, v165
	s_cbranch_execz .LBB1245_1083
.LBB1245_1149:                          ;   in Loop: Header=BB1245_979 Depth=2
	global_load_b64 v[40:41], v[58:59], off offset:2048
	s_wait_xcnt 0x0
	s_or_b32 exec_lo, exec_lo, s34
	s_delay_alu instid0(SALU_CYCLE_1)
	s_mov_b32 s34, exec_lo
	v_cmpx_lt_u32_e64 v140, v165
	s_cbranch_execz .LBB1245_1084
.LBB1245_1150:                          ;   in Loop: Header=BB1245_979 Depth=2
	global_load_b64 v[38:39], v[58:59], off offset:2304
	s_wait_xcnt 0x0
	s_or_b32 exec_lo, exec_lo, s34
	s_delay_alu instid0(SALU_CYCLE_1)
	s_mov_b32 s34, exec_lo
	v_cmpx_lt_u32_e64 v141, v165
	s_cbranch_execz .LBB1245_1085
.LBB1245_1151:                          ;   in Loop: Header=BB1245_979 Depth=2
	global_load_b64 v[36:37], v[58:59], off offset:2560
	s_wait_xcnt 0x0
	s_or_b32 exec_lo, exec_lo, s34
	s_delay_alu instid0(SALU_CYCLE_1)
	s_mov_b32 s34, exec_lo
	v_cmpx_lt_u32_e64 v142, v165
	s_cbranch_execz .LBB1245_1086
.LBB1245_1152:                          ;   in Loop: Header=BB1245_979 Depth=2
	global_load_b64 v[34:35], v[58:59], off offset:2816
	s_wait_xcnt 0x0
	s_or_b32 exec_lo, exec_lo, s34
	s_delay_alu instid0(SALU_CYCLE_1)
	s_mov_b32 s34, exec_lo
	v_cmpx_lt_u32_e64 v143, v165
	s_cbranch_execz .LBB1245_1087
.LBB1245_1153:                          ;   in Loop: Header=BB1245_979 Depth=2
	global_load_b64 v[32:33], v[58:59], off offset:3072
	s_wait_xcnt 0x0
	s_or_b32 exec_lo, exec_lo, s34
	s_delay_alu instid0(SALU_CYCLE_1)
	s_mov_b32 s34, exec_lo
	v_cmpx_lt_u32_e64 v144, v165
	s_cbranch_execz .LBB1245_1088
.LBB1245_1154:                          ;   in Loop: Header=BB1245_979 Depth=2
	global_load_b64 v[30:31], v[58:59], off offset:3328
	s_wait_xcnt 0x0
	s_or_b32 exec_lo, exec_lo, s34
	s_delay_alu instid0(SALU_CYCLE_1)
	s_mov_b32 s34, exec_lo
	v_cmpx_lt_u32_e64 v145, v165
	s_cbranch_execz .LBB1245_1089
.LBB1245_1155:                          ;   in Loop: Header=BB1245_979 Depth=2
	global_load_b64 v[28:29], v[58:59], off offset:3584
	s_wait_xcnt 0x0
	s_or_b32 exec_lo, exec_lo, s34
	s_delay_alu instid0(SALU_CYCLE_1)
	s_mov_b32 s34, exec_lo
	v_cmpx_lt_u32_e64 v146, v165
	s_cbranch_execz .LBB1245_1090
.LBB1245_1156:                          ;   in Loop: Header=BB1245_979 Depth=2
	global_load_b64 v[26:27], v[58:59], off offset:3840
	s_wait_xcnt 0x0
	s_or_b32 exec_lo, exec_lo, s34
	s_and_saveexec_b32 s34, vcc_lo
	s_cbranch_execz .LBB1245_1091
.LBB1245_1157:                          ;   in Loop: Header=BB1245_979 Depth=2
	ds_load_b64 v[58:59], v123 offset:1024
	s_wait_dscnt 0x0
	v_cmp_ne_u64_e64 s30, s[42:43], v[58:59]
	s_delay_alu instid0(VALU_DEP_1) | instskip(SKIP_1) | instid1(VALU_DEP_1)
	v_cndmask_b32_e64 v59, 0x80000000, v59, s30
	v_cndmask_b32_e64 v58, 0, v58, s30
	v_lshrrev_b64 v[58:59], s48, v[58:59]
	s_delay_alu instid0(VALU_DEP_1)
	v_and_b32_e32 v164, s55, v58
	s_or_b32 exec_lo, exec_lo, s34
	s_and_saveexec_b32 s34, s15
	s_cbranch_execz .LBB1245_1092
.LBB1245_1158:                          ;   in Loop: Header=BB1245_979 Depth=2
	ds_load_b64 v[58:59], v123 offset:3072
	s_wait_dscnt 0x0
	v_cmp_ne_u64_e64 s30, s[42:43], v[58:59]
	s_delay_alu instid0(VALU_DEP_1) | instskip(SKIP_1) | instid1(VALU_DEP_1)
	v_cndmask_b32_e64 v59, 0x80000000, v59, s30
	v_cndmask_b32_e64 v58, 0, v58, s30
	v_lshrrev_b64 v[58:59], s48, v[58:59]
	s_delay_alu instid0(VALU_DEP_1)
	v_and_b32_e32 v163, s55, v58
	s_or_b32 exec_lo, exec_lo, s34
	s_and_saveexec_b32 s34, s16
	s_cbranch_execz .LBB1245_1093
.LBB1245_1159:                          ;   in Loop: Header=BB1245_979 Depth=2
	ds_load_b64 v[58:59], v123 offset:5120
	s_wait_dscnt 0x0
	v_cmp_ne_u64_e64 s30, s[42:43], v[58:59]
	s_delay_alu instid0(VALU_DEP_1) | instskip(SKIP_1) | instid1(VALU_DEP_1)
	v_cndmask_b32_e64 v59, 0x80000000, v59, s30
	v_cndmask_b32_e64 v58, 0, v58, s30
	v_lshrrev_b64 v[58:59], s48, v[58:59]
	s_delay_alu instid0(VALU_DEP_1)
	v_and_b32_e32 v162, s55, v58
	s_or_b32 exec_lo, exec_lo, s34
	s_and_saveexec_b32 s34, s17
	s_cbranch_execz .LBB1245_1094
.LBB1245_1160:                          ;   in Loop: Header=BB1245_979 Depth=2
	ds_load_b64 v[58:59], v123 offset:7168
	s_wait_dscnt 0x0
	v_cmp_ne_u64_e64 s30, s[42:43], v[58:59]
	s_delay_alu instid0(VALU_DEP_1) | instskip(SKIP_1) | instid1(VALU_DEP_1)
	v_cndmask_b32_e64 v59, 0x80000000, v59, s30
	v_cndmask_b32_e64 v58, 0, v58, s30
	v_lshrrev_b64 v[58:59], s48, v[58:59]
	s_delay_alu instid0(VALU_DEP_1)
	v_and_b32_e32 v161, s55, v58
	s_or_b32 exec_lo, exec_lo, s34
	s_and_saveexec_b32 s34, s18
	s_cbranch_execz .LBB1245_1095
.LBB1245_1161:                          ;   in Loop: Header=BB1245_979 Depth=2
	ds_load_b64 v[58:59], v123 offset:9216
	s_wait_dscnt 0x0
	v_cmp_ne_u64_e64 s30, s[42:43], v[58:59]
	s_delay_alu instid0(VALU_DEP_1) | instskip(SKIP_1) | instid1(VALU_DEP_1)
	v_cndmask_b32_e64 v59, 0x80000000, v59, s30
	v_cndmask_b32_e64 v58, 0, v58, s30
	v_lshrrev_b64 v[58:59], s48, v[58:59]
	s_delay_alu instid0(VALU_DEP_1)
	v_and_b32_e32 v160, s55, v58
	s_or_b32 exec_lo, exec_lo, s34
	s_and_saveexec_b32 s34, s19
	s_cbranch_execz .LBB1245_1096
.LBB1245_1162:                          ;   in Loop: Header=BB1245_979 Depth=2
	ds_load_b64 v[58:59], v123 offset:11264
	s_wait_dscnt 0x0
	v_cmp_ne_u64_e64 s30, s[42:43], v[58:59]
	s_delay_alu instid0(VALU_DEP_1) | instskip(SKIP_1) | instid1(VALU_DEP_1)
	v_cndmask_b32_e64 v59, 0x80000000, v59, s30
	v_cndmask_b32_e64 v58, 0, v58, s30
	v_lshrrev_b64 v[58:59], s48, v[58:59]
	s_delay_alu instid0(VALU_DEP_1)
	v_and_b32_e32 v159, s55, v58
	s_or_b32 exec_lo, exec_lo, s34
	s_and_saveexec_b32 s34, s20
	s_cbranch_execz .LBB1245_1097
.LBB1245_1163:                          ;   in Loop: Header=BB1245_979 Depth=2
	ds_load_b64 v[58:59], v123 offset:13312
	s_wait_dscnt 0x0
	v_cmp_ne_u64_e64 s30, s[42:43], v[58:59]
	s_delay_alu instid0(VALU_DEP_1) | instskip(SKIP_1) | instid1(VALU_DEP_1)
	v_cndmask_b32_e64 v59, 0x80000000, v59, s30
	v_cndmask_b32_e64 v58, 0, v58, s30
	v_lshrrev_b64 v[58:59], s48, v[58:59]
	s_delay_alu instid0(VALU_DEP_1)
	v_and_b32_e32 v158, s55, v58
	s_or_b32 exec_lo, exec_lo, s34
	s_and_saveexec_b32 s34, s21
	s_cbranch_execz .LBB1245_1098
.LBB1245_1164:                          ;   in Loop: Header=BB1245_979 Depth=2
	ds_load_b64 v[58:59], v123 offset:15360
	s_wait_dscnt 0x0
	v_cmp_ne_u64_e64 s30, s[42:43], v[58:59]
	s_delay_alu instid0(VALU_DEP_1) | instskip(SKIP_1) | instid1(VALU_DEP_1)
	v_cndmask_b32_e64 v59, 0x80000000, v59, s30
	v_cndmask_b32_e64 v58, 0, v58, s30
	v_lshrrev_b64 v[58:59], s48, v[58:59]
	s_delay_alu instid0(VALU_DEP_1)
	v_and_b32_e32 v157, s55, v58
	s_or_b32 exec_lo, exec_lo, s34
	s_and_saveexec_b32 s34, s22
	s_cbranch_execz .LBB1245_1099
.LBB1245_1165:                          ;   in Loop: Header=BB1245_979 Depth=2
	ds_load_b64 v[58:59], v123 offset:17408
	s_wait_dscnt 0x0
	v_cmp_ne_u64_e64 s30, s[42:43], v[58:59]
	s_delay_alu instid0(VALU_DEP_1) | instskip(SKIP_1) | instid1(VALU_DEP_1)
	v_cndmask_b32_e64 v59, 0x80000000, v59, s30
	v_cndmask_b32_e64 v58, 0, v58, s30
	v_lshrrev_b64 v[58:59], s48, v[58:59]
	s_delay_alu instid0(VALU_DEP_1)
	v_and_b32_e32 v156, s55, v58
	s_or_b32 exec_lo, exec_lo, s34
	s_and_saveexec_b32 s34, s23
	s_cbranch_execz .LBB1245_1100
.LBB1245_1166:                          ;   in Loop: Header=BB1245_979 Depth=2
	ds_load_b64 v[58:59], v123 offset:19456
	s_wait_dscnt 0x0
	v_cmp_ne_u64_e64 s30, s[42:43], v[58:59]
	s_delay_alu instid0(VALU_DEP_1) | instskip(SKIP_1) | instid1(VALU_DEP_1)
	v_cndmask_b32_e64 v59, 0x80000000, v59, s30
	v_cndmask_b32_e64 v58, 0, v58, s30
	v_lshrrev_b64 v[58:59], s48, v[58:59]
	s_delay_alu instid0(VALU_DEP_1)
	v_and_b32_e32 v155, s55, v58
	s_or_b32 exec_lo, exec_lo, s34
	s_and_saveexec_b32 s34, s24
	s_cbranch_execz .LBB1245_1101
.LBB1245_1167:                          ;   in Loop: Header=BB1245_979 Depth=2
	ds_load_b64 v[58:59], v123 offset:21504
	s_wait_dscnt 0x0
	v_cmp_ne_u64_e64 s30, s[42:43], v[58:59]
	s_delay_alu instid0(VALU_DEP_1) | instskip(SKIP_1) | instid1(VALU_DEP_1)
	v_cndmask_b32_e64 v59, 0x80000000, v59, s30
	v_cndmask_b32_e64 v58, 0, v58, s30
	v_lshrrev_b64 v[58:59], s48, v[58:59]
	s_delay_alu instid0(VALU_DEP_1)
	v_and_b32_e32 v154, s55, v58
	s_or_b32 exec_lo, exec_lo, s34
	s_and_saveexec_b32 s34, s25
	s_cbranch_execz .LBB1245_1102
.LBB1245_1168:                          ;   in Loop: Header=BB1245_979 Depth=2
	ds_load_b64 v[58:59], v123 offset:23552
	s_wait_dscnt 0x0
	v_cmp_ne_u64_e64 s30, s[42:43], v[58:59]
	s_delay_alu instid0(VALU_DEP_1) | instskip(SKIP_1) | instid1(VALU_DEP_1)
	v_cndmask_b32_e64 v59, 0x80000000, v59, s30
	v_cndmask_b32_e64 v58, 0, v58, s30
	v_lshrrev_b64 v[58:59], s48, v[58:59]
	s_delay_alu instid0(VALU_DEP_1)
	v_and_b32_e32 v153, s55, v58
	s_or_b32 exec_lo, exec_lo, s34
	s_and_saveexec_b32 s34, s26
	s_cbranch_execz .LBB1245_1103
.LBB1245_1169:                          ;   in Loop: Header=BB1245_979 Depth=2
	ds_load_b64 v[58:59], v123 offset:25600
	s_wait_dscnt 0x0
	v_cmp_ne_u64_e64 s30, s[42:43], v[58:59]
	s_delay_alu instid0(VALU_DEP_1) | instskip(SKIP_1) | instid1(VALU_DEP_1)
	v_cndmask_b32_e64 v59, 0x80000000, v59, s30
	v_cndmask_b32_e64 v58, 0, v58, s30
	v_lshrrev_b64 v[58:59], s48, v[58:59]
	s_delay_alu instid0(VALU_DEP_1)
	v_and_b32_e32 v152, s55, v58
	s_or_b32 exec_lo, exec_lo, s34
	s_and_saveexec_b32 s34, s27
	s_cbranch_execz .LBB1245_1104
.LBB1245_1170:                          ;   in Loop: Header=BB1245_979 Depth=2
	ds_load_b64 v[58:59], v123 offset:27648
	s_wait_dscnt 0x0
	v_cmp_ne_u64_e64 s30, s[42:43], v[58:59]
	s_delay_alu instid0(VALU_DEP_1) | instskip(SKIP_1) | instid1(VALU_DEP_1)
	v_cndmask_b32_e64 v59, 0x80000000, v59, s30
	v_cndmask_b32_e64 v58, 0, v58, s30
	v_lshrrev_b64 v[58:59], s48, v[58:59]
	s_delay_alu instid0(VALU_DEP_1)
	v_and_b32_e32 v151, s55, v58
	s_or_b32 exec_lo, exec_lo, s34
	s_and_saveexec_b32 s34, s28
	s_cbranch_execz .LBB1245_1105
.LBB1245_1171:                          ;   in Loop: Header=BB1245_979 Depth=2
	ds_load_b64 v[58:59], v123 offset:29696
	s_wait_dscnt 0x0
	v_cmp_ne_u64_e64 s30, s[42:43], v[58:59]
	s_delay_alu instid0(VALU_DEP_1) | instskip(SKIP_1) | instid1(VALU_DEP_1)
	v_cndmask_b32_e64 v59, 0x80000000, v59, s30
	v_cndmask_b32_e64 v58, 0, v58, s30
	v_lshrrev_b64 v[58:59], s48, v[58:59]
	s_delay_alu instid0(VALU_DEP_1)
	v_and_b32_e32 v150, s55, v58
	s_or_b32 exec_lo, exec_lo, s34
	s_and_saveexec_b32 s34, s29
	s_cbranch_execnz .LBB1245_1106
	s_branch .LBB1245_1107
.LBB1245_1172:                          ;   in Loop: Header=BB1245_979 Depth=2
	v_lshlrev_b32_e32 v58, 2, v164
	ds_load_b32 v60, v58
	ds_load_b64 v[58:59], v123 offset:1024
	s_wait_dscnt 0x1
	v_add_nc_u32_e32 v60, v60, v2
	s_wait_dscnt 0x0
	global_store_b64 v60, v[58:59], s[46:47] scale_offset
	s_wait_xcnt 0x0
	s_or_b32 exec_lo, exec_lo, s30
	s_and_saveexec_b32 s30, s15
	s_cbranch_execz .LBB1245_1109
.LBB1245_1173:                          ;   in Loop: Header=BB1245_979 Depth=2
	v_lshlrev_b32_e32 v58, 2, v163
	ds_load_b32 v60, v58
	ds_load_b64 v[58:59], v123 offset:3072
	s_wait_dscnt 0x1
	v_add_nc_u32_e32 v60, v60, v98
	s_wait_dscnt 0x0
	global_store_b64 v60, v[58:59], s[46:47] scale_offset
	s_wait_xcnt 0x0
	s_or_b32 exec_lo, exec_lo, s30
	s_and_saveexec_b32 s15, s16
	s_cbranch_execz .LBB1245_1110
.LBB1245_1174:                          ;   in Loop: Header=BB1245_979 Depth=2
	v_lshlrev_b32_e32 v58, 2, v162
	ds_load_b32 v60, v58
	ds_load_b64 v[58:59], v123 offset:5120
	s_wait_dscnt 0x1
	v_add_nc_u32_e32 v60, v60, v99
	s_wait_dscnt 0x0
	global_store_b64 v60, v[58:59], s[46:47] scale_offset
	s_wait_xcnt 0x0
	s_or_b32 exec_lo, exec_lo, s15
	s_and_saveexec_b32 s15, s17
	s_cbranch_execz .LBB1245_1111
.LBB1245_1175:                          ;   in Loop: Header=BB1245_979 Depth=2
	v_lshlrev_b32_e32 v58, 2, v161
	ds_load_b32 v60, v58
	ds_load_b64 v[58:59], v123 offset:7168
	s_wait_dscnt 0x1
	v_add_nc_u32_e32 v60, v60, v100
	s_wait_dscnt 0x0
	global_store_b64 v60, v[58:59], s[46:47] scale_offset
	s_wait_xcnt 0x0
	s_or_b32 exec_lo, exec_lo, s15
	s_and_saveexec_b32 s15, s18
	s_cbranch_execz .LBB1245_1112
.LBB1245_1176:                          ;   in Loop: Header=BB1245_979 Depth=2
	v_lshlrev_b32_e32 v58, 2, v160
	ds_load_b32 v60, v58
	ds_load_b64 v[58:59], v123 offset:9216
	s_wait_dscnt 0x1
	v_add_nc_u32_e32 v60, v60, v101
	s_wait_dscnt 0x0
	global_store_b64 v60, v[58:59], s[46:47] scale_offset
	s_wait_xcnt 0x0
	s_or_b32 exec_lo, exec_lo, s15
	s_and_saveexec_b32 s15, s19
	s_cbranch_execz .LBB1245_1113
.LBB1245_1177:                          ;   in Loop: Header=BB1245_979 Depth=2
	v_lshlrev_b32_e32 v58, 2, v159
	ds_load_b32 v60, v58
	ds_load_b64 v[58:59], v123 offset:11264
	s_wait_dscnt 0x1
	v_add_nc_u32_e32 v60, v60, v102
	s_wait_dscnt 0x0
	global_store_b64 v60, v[58:59], s[46:47] scale_offset
	s_wait_xcnt 0x0
	s_or_b32 exec_lo, exec_lo, s15
	s_and_saveexec_b32 s15, s20
	s_cbranch_execz .LBB1245_1114
.LBB1245_1178:                          ;   in Loop: Header=BB1245_979 Depth=2
	v_lshlrev_b32_e32 v58, 2, v158
	ds_load_b32 v60, v58
	ds_load_b64 v[58:59], v123 offset:13312
	s_wait_dscnt 0x1
	v_add_nc_u32_e32 v60, v60, v103
	s_wait_dscnt 0x0
	global_store_b64 v60, v[58:59], s[46:47] scale_offset
	s_wait_xcnt 0x0
	s_or_b32 exec_lo, exec_lo, s15
	s_and_saveexec_b32 s15, s21
	s_cbranch_execz .LBB1245_1115
.LBB1245_1179:                          ;   in Loop: Header=BB1245_979 Depth=2
	v_lshlrev_b32_e32 v58, 2, v157
	ds_load_b32 v60, v58
	ds_load_b64 v[58:59], v123 offset:15360
	s_wait_dscnt 0x1
	v_add_nc_u32_e32 v60, v60, v104
	s_wait_dscnt 0x0
	global_store_b64 v60, v[58:59], s[46:47] scale_offset
	s_wait_xcnt 0x0
	s_or_b32 exec_lo, exec_lo, s15
	s_and_saveexec_b32 s15, s22
	s_cbranch_execz .LBB1245_1116
.LBB1245_1180:                          ;   in Loop: Header=BB1245_979 Depth=2
	v_lshlrev_b32_e32 v58, 2, v156
	ds_load_b32 v60, v58
	ds_load_b64 v[58:59], v123 offset:17408
	s_wait_dscnt 0x1
	v_add_nc_u32_e32 v60, v60, v105
	s_wait_dscnt 0x0
	global_store_b64 v60, v[58:59], s[46:47] scale_offset
	s_wait_xcnt 0x0
	s_or_b32 exec_lo, exec_lo, s15
	s_and_saveexec_b32 s15, s23
	s_cbranch_execz .LBB1245_1117
.LBB1245_1181:                          ;   in Loop: Header=BB1245_979 Depth=2
	v_lshlrev_b32_e32 v58, 2, v155
	ds_load_b32 v60, v58
	ds_load_b64 v[58:59], v123 offset:19456
	s_wait_dscnt 0x1
	v_add_nc_u32_e32 v60, v60, v106
	s_wait_dscnt 0x0
	global_store_b64 v60, v[58:59], s[46:47] scale_offset
	s_wait_xcnt 0x0
	s_or_b32 exec_lo, exec_lo, s15
	s_and_saveexec_b32 s15, s24
	s_cbranch_execz .LBB1245_1118
.LBB1245_1182:                          ;   in Loop: Header=BB1245_979 Depth=2
	v_lshlrev_b32_e32 v58, 2, v154
	ds_load_b32 v60, v58
	ds_load_b64 v[58:59], v123 offset:21504
	s_wait_dscnt 0x1
	v_add_nc_u32_e32 v60, v60, v107
	s_wait_dscnt 0x0
	global_store_b64 v60, v[58:59], s[46:47] scale_offset
	s_wait_xcnt 0x0
	s_or_b32 exec_lo, exec_lo, s15
	s_and_saveexec_b32 s15, s25
	s_cbranch_execz .LBB1245_1119
.LBB1245_1183:                          ;   in Loop: Header=BB1245_979 Depth=2
	v_lshlrev_b32_e32 v58, 2, v153
	ds_load_b32 v60, v58
	ds_load_b64 v[58:59], v123 offset:23552
	s_wait_dscnt 0x1
	v_add_nc_u32_e32 v60, v60, v108
	s_wait_dscnt 0x0
	global_store_b64 v60, v[58:59], s[46:47] scale_offset
	s_wait_xcnt 0x0
	s_or_b32 exec_lo, exec_lo, s15
	s_and_saveexec_b32 s15, s26
	s_cbranch_execz .LBB1245_1120
.LBB1245_1184:                          ;   in Loop: Header=BB1245_979 Depth=2
	v_lshlrev_b32_e32 v58, 2, v152
	ds_load_b32 v60, v58
	ds_load_b64 v[58:59], v123 offset:25600
	s_wait_dscnt 0x1
	v_add_nc_u32_e32 v60, v60, v109
	s_wait_dscnt 0x0
	global_store_b64 v60, v[58:59], s[46:47] scale_offset
	s_wait_xcnt 0x0
	s_or_b32 exec_lo, exec_lo, s15
	s_and_saveexec_b32 s15, s27
	s_cbranch_execz .LBB1245_1121
.LBB1245_1185:                          ;   in Loop: Header=BB1245_979 Depth=2
	v_lshlrev_b32_e32 v58, 2, v151
	ds_load_b32 v60, v58
	ds_load_b64 v[58:59], v123 offset:27648
	s_wait_dscnt 0x1
	v_add_nc_u32_e32 v60, v60, v110
	s_wait_dscnt 0x0
	global_store_b64 v60, v[58:59], s[46:47] scale_offset
	s_wait_xcnt 0x0
	s_or_b32 exec_lo, exec_lo, s15
	s_and_saveexec_b32 s15, s28
	s_cbranch_execz .LBB1245_1122
.LBB1245_1186:                          ;   in Loop: Header=BB1245_979 Depth=2
	v_lshlrev_b32_e32 v58, 2, v150
	ds_load_b32 v60, v58
	ds_load_b64 v[58:59], v123 offset:29696
	s_wait_dscnt 0x1
	v_add_nc_u32_e32 v60, v60, v111
	s_wait_dscnt 0x0
	global_store_b64 v60, v[58:59], s[46:47] scale_offset
	s_wait_xcnt 0x0
	s_or_b32 exec_lo, exec_lo, s15
	s_and_saveexec_b32 s15, s29
	s_cbranch_execnz .LBB1245_1123
	s_branch .LBB1245_1124
.LBB1245_1187:
	s_endpgm
	.section	.rodata,"a",@progbits
	.p2align	6, 0x0
	.amdhsa_kernel _ZN7rocprim17ROCPRIM_400000_NS6detail17trampoline_kernelINS0_14default_configENS1_36segmented_radix_sort_config_selectorIdlEEZNS1_25segmented_radix_sort_implIS3_Lb0EPKdPdPKlPlN2at6native12_GLOBAL__N_18offset_tEEE10hipError_tPvRmT1_PNSt15iterator_traitsISK_E10value_typeET2_T3_PNSL_ISQ_E10value_typeET4_jRbjT5_SW_jjP12ihipStream_tbEUlT_E2_NS1_11comp_targetILNS1_3genE0ELNS1_11target_archE4294967295ELNS1_3gpuE0ELNS1_3repE0EEENS1_30default_config_static_selectorELNS0_4arch9wavefront6targetE0EEEvSK_
		.amdhsa_group_segment_fixed_size 33824
		.amdhsa_private_segment_fixed_size 0
		.amdhsa_kernarg_size 336
		.amdhsa_user_sgpr_count 4
		.amdhsa_user_sgpr_dispatch_ptr 0
		.amdhsa_user_sgpr_queue_ptr 1
		.amdhsa_user_sgpr_kernarg_segment_ptr 1
		.amdhsa_user_sgpr_dispatch_id 0
		.amdhsa_user_sgpr_kernarg_preload_length 0
		.amdhsa_user_sgpr_kernarg_preload_offset 0
		.amdhsa_user_sgpr_private_segment_size 0
		.amdhsa_wavefront_size32 1
		.amdhsa_uses_dynamic_stack 0
		.amdhsa_enable_private_segment 0
		.amdhsa_system_sgpr_workgroup_id_x 1
		.amdhsa_system_sgpr_workgroup_id_y 1
		.amdhsa_system_sgpr_workgroup_id_z 0
		.amdhsa_system_sgpr_workgroup_info 0
		.amdhsa_system_vgpr_workitem_id 2
		.amdhsa_next_free_vgpr 319
		.amdhsa_next_free_sgpr 63
		.amdhsa_named_barrier_count 0
		.amdhsa_reserve_vcc 1
		.amdhsa_float_round_mode_32 0
		.amdhsa_float_round_mode_16_64 0
		.amdhsa_float_denorm_mode_32 3
		.amdhsa_float_denorm_mode_16_64 3
		.amdhsa_fp16_overflow 0
		.amdhsa_memory_ordered 1
		.amdhsa_forward_progress 1
		.amdhsa_inst_pref_size 255
		.amdhsa_round_robin_scheduling 0
		.amdhsa_exception_fp_ieee_invalid_op 0
		.amdhsa_exception_fp_denorm_src 0
		.amdhsa_exception_fp_ieee_div_zero 0
		.amdhsa_exception_fp_ieee_overflow 0
		.amdhsa_exception_fp_ieee_underflow 0
		.amdhsa_exception_fp_ieee_inexact 0
		.amdhsa_exception_int_div_zero 0
	.end_amdhsa_kernel
	.section	.text._ZN7rocprim17ROCPRIM_400000_NS6detail17trampoline_kernelINS0_14default_configENS1_36segmented_radix_sort_config_selectorIdlEEZNS1_25segmented_radix_sort_implIS3_Lb0EPKdPdPKlPlN2at6native12_GLOBAL__N_18offset_tEEE10hipError_tPvRmT1_PNSt15iterator_traitsISK_E10value_typeET2_T3_PNSL_ISQ_E10value_typeET4_jRbjT5_SW_jjP12ihipStream_tbEUlT_E2_NS1_11comp_targetILNS1_3genE0ELNS1_11target_archE4294967295ELNS1_3gpuE0ELNS1_3repE0EEENS1_30default_config_static_selectorELNS0_4arch9wavefront6targetE0EEEvSK_,"axG",@progbits,_ZN7rocprim17ROCPRIM_400000_NS6detail17trampoline_kernelINS0_14default_configENS1_36segmented_radix_sort_config_selectorIdlEEZNS1_25segmented_radix_sort_implIS3_Lb0EPKdPdPKlPlN2at6native12_GLOBAL__N_18offset_tEEE10hipError_tPvRmT1_PNSt15iterator_traitsISK_E10value_typeET2_T3_PNSL_ISQ_E10value_typeET4_jRbjT5_SW_jjP12ihipStream_tbEUlT_E2_NS1_11comp_targetILNS1_3genE0ELNS1_11target_archE4294967295ELNS1_3gpuE0ELNS1_3repE0EEENS1_30default_config_static_selectorELNS0_4arch9wavefront6targetE0EEEvSK_,comdat
.Lfunc_end1245:
	.size	_ZN7rocprim17ROCPRIM_400000_NS6detail17trampoline_kernelINS0_14default_configENS1_36segmented_radix_sort_config_selectorIdlEEZNS1_25segmented_radix_sort_implIS3_Lb0EPKdPdPKlPlN2at6native12_GLOBAL__N_18offset_tEEE10hipError_tPvRmT1_PNSt15iterator_traitsISK_E10value_typeET2_T3_PNSL_ISQ_E10value_typeET4_jRbjT5_SW_jjP12ihipStream_tbEUlT_E2_NS1_11comp_targetILNS1_3genE0ELNS1_11target_archE4294967295ELNS1_3gpuE0ELNS1_3repE0EEENS1_30default_config_static_selectorELNS0_4arch9wavefront6targetE0EEEvSK_, .Lfunc_end1245-_ZN7rocprim17ROCPRIM_400000_NS6detail17trampoline_kernelINS0_14default_configENS1_36segmented_radix_sort_config_selectorIdlEEZNS1_25segmented_radix_sort_implIS3_Lb0EPKdPdPKlPlN2at6native12_GLOBAL__N_18offset_tEEE10hipError_tPvRmT1_PNSt15iterator_traitsISK_E10value_typeET2_T3_PNSL_ISQ_E10value_typeET4_jRbjT5_SW_jjP12ihipStream_tbEUlT_E2_NS1_11comp_targetILNS1_3genE0ELNS1_11target_archE4294967295ELNS1_3gpuE0ELNS1_3repE0EEENS1_30default_config_static_selectorELNS0_4arch9wavefront6targetE0EEEvSK_
                                        ; -- End function
	.set _ZN7rocprim17ROCPRIM_400000_NS6detail17trampoline_kernelINS0_14default_configENS1_36segmented_radix_sort_config_selectorIdlEEZNS1_25segmented_radix_sort_implIS3_Lb0EPKdPdPKlPlN2at6native12_GLOBAL__N_18offset_tEEE10hipError_tPvRmT1_PNSt15iterator_traitsISK_E10value_typeET2_T3_PNSL_ISQ_E10value_typeET4_jRbjT5_SW_jjP12ihipStream_tbEUlT_E2_NS1_11comp_targetILNS1_3genE0ELNS1_11target_archE4294967295ELNS1_3gpuE0ELNS1_3repE0EEENS1_30default_config_static_selectorELNS0_4arch9wavefront6targetE0EEEvSK_.num_vgpr, max(220, .L_ZN7rocprim17ROCPRIM_400000_NS6detail26segmented_warp_sort_helperINS1_20WarpSortHelperConfigILj8ELj4ELj256EEEdlLi256ELb0EvE4sortIPKdPdPKlPlEEvT_S9_T0_T1_SC_T2_bjjjjRNS5_12storage_typeE.num_vgpr, .L_ZN7rocprim17ROCPRIM_400000_NS6detail40segmented_radix_sort_single_block_helperIdlLj256ELj16ELb0EE4sortIPKdPdPKlPlEEbT_T0_T1_T2_jjjjRNS3_12storage_typeE.num_vgpr)
	.set _ZN7rocprim17ROCPRIM_400000_NS6detail17trampoline_kernelINS0_14default_configENS1_36segmented_radix_sort_config_selectorIdlEEZNS1_25segmented_radix_sort_implIS3_Lb0EPKdPdPKlPlN2at6native12_GLOBAL__N_18offset_tEEE10hipError_tPvRmT1_PNSt15iterator_traitsISK_E10value_typeET2_T3_PNSL_ISQ_E10value_typeET4_jRbjT5_SW_jjP12ihipStream_tbEUlT_E2_NS1_11comp_targetILNS1_3genE0ELNS1_11target_archE4294967295ELNS1_3gpuE0ELNS1_3repE0EEENS1_30default_config_static_selectorELNS0_4arch9wavefront6targetE0EEEvSK_.num_agpr, max(0, .L_ZN7rocprim17ROCPRIM_400000_NS6detail26segmented_warp_sort_helperINS1_20WarpSortHelperConfigILj8ELj4ELj256EEEdlLi256ELb0EvE4sortIPKdPdPKlPlEEvT_S9_T0_T1_SC_T2_bjjjjRNS5_12storage_typeE.num_agpr, .L_ZN7rocprim17ROCPRIM_400000_NS6detail40segmented_radix_sort_single_block_helperIdlLj256ELj16ELb0EE4sortIPKdPdPKlPlEEbT_T0_T1_T2_jjjjRNS3_12storage_typeE.num_agpr)
	.set _ZN7rocprim17ROCPRIM_400000_NS6detail17trampoline_kernelINS0_14default_configENS1_36segmented_radix_sort_config_selectorIdlEEZNS1_25segmented_radix_sort_implIS3_Lb0EPKdPdPKlPlN2at6native12_GLOBAL__N_18offset_tEEE10hipError_tPvRmT1_PNSt15iterator_traitsISK_E10value_typeET2_T3_PNSL_ISQ_E10value_typeET4_jRbjT5_SW_jjP12ihipStream_tbEUlT_E2_NS1_11comp_targetILNS1_3genE0ELNS1_11target_archE4294967295ELNS1_3gpuE0ELNS1_3repE0EEENS1_30default_config_static_selectorELNS0_4arch9wavefront6targetE0EEEvSK_.numbered_sgpr, max(63, .L_ZN7rocprim17ROCPRIM_400000_NS6detail26segmented_warp_sort_helperINS1_20WarpSortHelperConfigILj8ELj4ELj256EEEdlLi256ELb0EvE4sortIPKdPdPKlPlEEvT_S9_T0_T1_SC_T2_bjjjjRNS5_12storage_typeE.numbered_sgpr, .L_ZN7rocprim17ROCPRIM_400000_NS6detail40segmented_radix_sort_single_block_helperIdlLj256ELj16ELb0EE4sortIPKdPdPKlPlEEbT_T0_T1_T2_jjjjRNS3_12storage_typeE.numbered_sgpr)
	.set _ZN7rocprim17ROCPRIM_400000_NS6detail17trampoline_kernelINS0_14default_configENS1_36segmented_radix_sort_config_selectorIdlEEZNS1_25segmented_radix_sort_implIS3_Lb0EPKdPdPKlPlN2at6native12_GLOBAL__N_18offset_tEEE10hipError_tPvRmT1_PNSt15iterator_traitsISK_E10value_typeET2_T3_PNSL_ISQ_E10value_typeET4_jRbjT5_SW_jjP12ihipStream_tbEUlT_E2_NS1_11comp_targetILNS1_3genE0ELNS1_11target_archE4294967295ELNS1_3gpuE0ELNS1_3repE0EEENS1_30default_config_static_selectorELNS0_4arch9wavefront6targetE0EEEvSK_.num_named_barrier, max(0, .L_ZN7rocprim17ROCPRIM_400000_NS6detail26segmented_warp_sort_helperINS1_20WarpSortHelperConfigILj8ELj4ELj256EEEdlLi256ELb0EvE4sortIPKdPdPKlPlEEvT_S9_T0_T1_SC_T2_bjjjjRNS5_12storage_typeE.num_named_barrier, .L_ZN7rocprim17ROCPRIM_400000_NS6detail40segmented_radix_sort_single_block_helperIdlLj256ELj16ELb0EE4sortIPKdPdPKlPlEEbT_T0_T1_T2_jjjjRNS3_12storage_typeE.num_named_barrier)
	.set _ZN7rocprim17ROCPRIM_400000_NS6detail17trampoline_kernelINS0_14default_configENS1_36segmented_radix_sort_config_selectorIdlEEZNS1_25segmented_radix_sort_implIS3_Lb0EPKdPdPKlPlN2at6native12_GLOBAL__N_18offset_tEEE10hipError_tPvRmT1_PNSt15iterator_traitsISK_E10value_typeET2_T3_PNSL_ISQ_E10value_typeET4_jRbjT5_SW_jjP12ihipStream_tbEUlT_E2_NS1_11comp_targetILNS1_3genE0ELNS1_11target_archE4294967295ELNS1_3gpuE0ELNS1_3repE0EEENS1_30default_config_static_selectorELNS0_4arch9wavefront6targetE0EEEvSK_.private_seg_size, 0+max(.L_ZN7rocprim17ROCPRIM_400000_NS6detail26segmented_warp_sort_helperINS1_20WarpSortHelperConfigILj8ELj4ELj256EEEdlLi256ELb0EvE4sortIPKdPdPKlPlEEvT_S9_T0_T1_SC_T2_bjjjjRNS5_12storage_typeE.private_seg_size, .L_ZN7rocprim17ROCPRIM_400000_NS6detail40segmented_radix_sort_single_block_helperIdlLj256ELj16ELb0EE4sortIPKdPdPKlPlEEbT_T0_T1_T2_jjjjRNS3_12storage_typeE.private_seg_size)
	.set _ZN7rocprim17ROCPRIM_400000_NS6detail17trampoline_kernelINS0_14default_configENS1_36segmented_radix_sort_config_selectorIdlEEZNS1_25segmented_radix_sort_implIS3_Lb0EPKdPdPKlPlN2at6native12_GLOBAL__N_18offset_tEEE10hipError_tPvRmT1_PNSt15iterator_traitsISK_E10value_typeET2_T3_PNSL_ISQ_E10value_typeET4_jRbjT5_SW_jjP12ihipStream_tbEUlT_E2_NS1_11comp_targetILNS1_3genE0ELNS1_11target_archE4294967295ELNS1_3gpuE0ELNS1_3repE0EEENS1_30default_config_static_selectorELNS0_4arch9wavefront6targetE0EEEvSK_.uses_vcc, or(1, .L_ZN7rocprim17ROCPRIM_400000_NS6detail26segmented_warp_sort_helperINS1_20WarpSortHelperConfigILj8ELj4ELj256EEEdlLi256ELb0EvE4sortIPKdPdPKlPlEEvT_S9_T0_T1_SC_T2_bjjjjRNS5_12storage_typeE.uses_vcc, .L_ZN7rocprim17ROCPRIM_400000_NS6detail40segmented_radix_sort_single_block_helperIdlLj256ELj16ELb0EE4sortIPKdPdPKlPlEEbT_T0_T1_T2_jjjjRNS3_12storage_typeE.uses_vcc)
	.set _ZN7rocprim17ROCPRIM_400000_NS6detail17trampoline_kernelINS0_14default_configENS1_36segmented_radix_sort_config_selectorIdlEEZNS1_25segmented_radix_sort_implIS3_Lb0EPKdPdPKlPlN2at6native12_GLOBAL__N_18offset_tEEE10hipError_tPvRmT1_PNSt15iterator_traitsISK_E10value_typeET2_T3_PNSL_ISQ_E10value_typeET4_jRbjT5_SW_jjP12ihipStream_tbEUlT_E2_NS1_11comp_targetILNS1_3genE0ELNS1_11target_archE4294967295ELNS1_3gpuE0ELNS1_3repE0EEENS1_30default_config_static_selectorELNS0_4arch9wavefront6targetE0EEEvSK_.uses_flat_scratch, or(0, .L_ZN7rocprim17ROCPRIM_400000_NS6detail26segmented_warp_sort_helperINS1_20WarpSortHelperConfigILj8ELj4ELj256EEEdlLi256ELb0EvE4sortIPKdPdPKlPlEEvT_S9_T0_T1_SC_T2_bjjjjRNS5_12storage_typeE.uses_flat_scratch, .L_ZN7rocprim17ROCPRIM_400000_NS6detail40segmented_radix_sort_single_block_helperIdlLj256ELj16ELb0EE4sortIPKdPdPKlPlEEbT_T0_T1_T2_jjjjRNS3_12storage_typeE.uses_flat_scratch)
	.set _ZN7rocprim17ROCPRIM_400000_NS6detail17trampoline_kernelINS0_14default_configENS1_36segmented_radix_sort_config_selectorIdlEEZNS1_25segmented_radix_sort_implIS3_Lb0EPKdPdPKlPlN2at6native12_GLOBAL__N_18offset_tEEE10hipError_tPvRmT1_PNSt15iterator_traitsISK_E10value_typeET2_T3_PNSL_ISQ_E10value_typeET4_jRbjT5_SW_jjP12ihipStream_tbEUlT_E2_NS1_11comp_targetILNS1_3genE0ELNS1_11target_archE4294967295ELNS1_3gpuE0ELNS1_3repE0EEENS1_30default_config_static_selectorELNS0_4arch9wavefront6targetE0EEEvSK_.has_dyn_sized_stack, or(0, .L_ZN7rocprim17ROCPRIM_400000_NS6detail26segmented_warp_sort_helperINS1_20WarpSortHelperConfigILj8ELj4ELj256EEEdlLi256ELb0EvE4sortIPKdPdPKlPlEEvT_S9_T0_T1_SC_T2_bjjjjRNS5_12storage_typeE.has_dyn_sized_stack, .L_ZN7rocprim17ROCPRIM_400000_NS6detail40segmented_radix_sort_single_block_helperIdlLj256ELj16ELb0EE4sortIPKdPdPKlPlEEbT_T0_T1_T2_jjjjRNS3_12storage_typeE.has_dyn_sized_stack)
	.set _ZN7rocprim17ROCPRIM_400000_NS6detail17trampoline_kernelINS0_14default_configENS1_36segmented_radix_sort_config_selectorIdlEEZNS1_25segmented_radix_sort_implIS3_Lb0EPKdPdPKlPlN2at6native12_GLOBAL__N_18offset_tEEE10hipError_tPvRmT1_PNSt15iterator_traitsISK_E10value_typeET2_T3_PNSL_ISQ_E10value_typeET4_jRbjT5_SW_jjP12ihipStream_tbEUlT_E2_NS1_11comp_targetILNS1_3genE0ELNS1_11target_archE4294967295ELNS1_3gpuE0ELNS1_3repE0EEENS1_30default_config_static_selectorELNS0_4arch9wavefront6targetE0EEEvSK_.has_recursion, or(0, .L_ZN7rocprim17ROCPRIM_400000_NS6detail26segmented_warp_sort_helperINS1_20WarpSortHelperConfigILj8ELj4ELj256EEEdlLi256ELb0EvE4sortIPKdPdPKlPlEEvT_S9_T0_T1_SC_T2_bjjjjRNS5_12storage_typeE.has_recursion, .L_ZN7rocprim17ROCPRIM_400000_NS6detail40segmented_radix_sort_single_block_helperIdlLj256ELj16ELb0EE4sortIPKdPdPKlPlEEbT_T0_T1_T2_jjjjRNS3_12storage_typeE.has_recursion)
	.set _ZN7rocprim17ROCPRIM_400000_NS6detail17trampoline_kernelINS0_14default_configENS1_36segmented_radix_sort_config_selectorIdlEEZNS1_25segmented_radix_sort_implIS3_Lb0EPKdPdPKlPlN2at6native12_GLOBAL__N_18offset_tEEE10hipError_tPvRmT1_PNSt15iterator_traitsISK_E10value_typeET2_T3_PNSL_ISQ_E10value_typeET4_jRbjT5_SW_jjP12ihipStream_tbEUlT_E2_NS1_11comp_targetILNS1_3genE0ELNS1_11target_archE4294967295ELNS1_3gpuE0ELNS1_3repE0EEENS1_30default_config_static_selectorELNS0_4arch9wavefront6targetE0EEEvSK_.has_indirect_call, or(0, .L_ZN7rocprim17ROCPRIM_400000_NS6detail26segmented_warp_sort_helperINS1_20WarpSortHelperConfigILj8ELj4ELj256EEEdlLi256ELb0EvE4sortIPKdPdPKlPlEEvT_S9_T0_T1_SC_T2_bjjjjRNS5_12storage_typeE.has_indirect_call, .L_ZN7rocprim17ROCPRIM_400000_NS6detail40segmented_radix_sort_single_block_helperIdlLj256ELj16ELb0EE4sortIPKdPdPKlPlEEbT_T0_T1_T2_jjjjRNS3_12storage_typeE.has_indirect_call)
	.section	.AMDGPU.csdata,"",@progbits
; Kernel info:
; codeLenInByte = 82728
; TotalNumSgprs: 65
; NumVgprs: 319
; ScratchSize: 0
; MemoryBound: 0
; FloatMode: 240
; IeeeMode: 1
; LDSByteSize: 33824 bytes/workgroup (compile time only)
; SGPRBlocks: 0
; VGPRBlocks: 19
; NumSGPRsForWavesPerEU: 65
; NumVGPRsForWavesPerEU: 319
; NamedBarCnt: 0
; Occupancy: 3
; WaveLimiterHint : 1
; COMPUTE_PGM_RSRC2:SCRATCH_EN: 0
; COMPUTE_PGM_RSRC2:USER_SGPR: 4
; COMPUTE_PGM_RSRC2:TRAP_HANDLER: 0
; COMPUTE_PGM_RSRC2:TGID_X_EN: 1
; COMPUTE_PGM_RSRC2:TGID_Y_EN: 1
; COMPUTE_PGM_RSRC2:TGID_Z_EN: 0
; COMPUTE_PGM_RSRC2:TIDIG_COMP_CNT: 2
	.section	.text._ZN7rocprim17ROCPRIM_400000_NS6detail17trampoline_kernelINS0_14default_configENS1_36segmented_radix_sort_config_selectorIdlEEZNS1_25segmented_radix_sort_implIS3_Lb0EPKdPdPKlPlN2at6native12_GLOBAL__N_18offset_tEEE10hipError_tPvRmT1_PNSt15iterator_traitsISK_E10value_typeET2_T3_PNSL_ISQ_E10value_typeET4_jRbjT5_SW_jjP12ihipStream_tbEUlT_E2_NS1_11comp_targetILNS1_3genE5ELNS1_11target_archE942ELNS1_3gpuE9ELNS1_3repE0EEENS1_30default_config_static_selectorELNS0_4arch9wavefront6targetE0EEEvSK_,"axG",@progbits,_ZN7rocprim17ROCPRIM_400000_NS6detail17trampoline_kernelINS0_14default_configENS1_36segmented_radix_sort_config_selectorIdlEEZNS1_25segmented_radix_sort_implIS3_Lb0EPKdPdPKlPlN2at6native12_GLOBAL__N_18offset_tEEE10hipError_tPvRmT1_PNSt15iterator_traitsISK_E10value_typeET2_T3_PNSL_ISQ_E10value_typeET4_jRbjT5_SW_jjP12ihipStream_tbEUlT_E2_NS1_11comp_targetILNS1_3genE5ELNS1_11target_archE942ELNS1_3gpuE9ELNS1_3repE0EEENS1_30default_config_static_selectorELNS0_4arch9wavefront6targetE0EEEvSK_,comdat
	.globl	_ZN7rocprim17ROCPRIM_400000_NS6detail17trampoline_kernelINS0_14default_configENS1_36segmented_radix_sort_config_selectorIdlEEZNS1_25segmented_radix_sort_implIS3_Lb0EPKdPdPKlPlN2at6native12_GLOBAL__N_18offset_tEEE10hipError_tPvRmT1_PNSt15iterator_traitsISK_E10value_typeET2_T3_PNSL_ISQ_E10value_typeET4_jRbjT5_SW_jjP12ihipStream_tbEUlT_E2_NS1_11comp_targetILNS1_3genE5ELNS1_11target_archE942ELNS1_3gpuE9ELNS1_3repE0EEENS1_30default_config_static_selectorELNS0_4arch9wavefront6targetE0EEEvSK_ ; -- Begin function _ZN7rocprim17ROCPRIM_400000_NS6detail17trampoline_kernelINS0_14default_configENS1_36segmented_radix_sort_config_selectorIdlEEZNS1_25segmented_radix_sort_implIS3_Lb0EPKdPdPKlPlN2at6native12_GLOBAL__N_18offset_tEEE10hipError_tPvRmT1_PNSt15iterator_traitsISK_E10value_typeET2_T3_PNSL_ISQ_E10value_typeET4_jRbjT5_SW_jjP12ihipStream_tbEUlT_E2_NS1_11comp_targetILNS1_3genE5ELNS1_11target_archE942ELNS1_3gpuE9ELNS1_3repE0EEENS1_30default_config_static_selectorELNS0_4arch9wavefront6targetE0EEEvSK_
	.p2align	8
	.type	_ZN7rocprim17ROCPRIM_400000_NS6detail17trampoline_kernelINS0_14default_configENS1_36segmented_radix_sort_config_selectorIdlEEZNS1_25segmented_radix_sort_implIS3_Lb0EPKdPdPKlPlN2at6native12_GLOBAL__N_18offset_tEEE10hipError_tPvRmT1_PNSt15iterator_traitsISK_E10value_typeET2_T3_PNSL_ISQ_E10value_typeET4_jRbjT5_SW_jjP12ihipStream_tbEUlT_E2_NS1_11comp_targetILNS1_3genE5ELNS1_11target_archE942ELNS1_3gpuE9ELNS1_3repE0EEENS1_30default_config_static_selectorELNS0_4arch9wavefront6targetE0EEEvSK_,@function
_ZN7rocprim17ROCPRIM_400000_NS6detail17trampoline_kernelINS0_14default_configENS1_36segmented_radix_sort_config_selectorIdlEEZNS1_25segmented_radix_sort_implIS3_Lb0EPKdPdPKlPlN2at6native12_GLOBAL__N_18offset_tEEE10hipError_tPvRmT1_PNSt15iterator_traitsISK_E10value_typeET2_T3_PNSL_ISQ_E10value_typeET4_jRbjT5_SW_jjP12ihipStream_tbEUlT_E2_NS1_11comp_targetILNS1_3genE5ELNS1_11target_archE942ELNS1_3gpuE9ELNS1_3repE0EEENS1_30default_config_static_selectorELNS0_4arch9wavefront6targetE0EEEvSK_: ; @_ZN7rocprim17ROCPRIM_400000_NS6detail17trampoline_kernelINS0_14default_configENS1_36segmented_radix_sort_config_selectorIdlEEZNS1_25segmented_radix_sort_implIS3_Lb0EPKdPdPKlPlN2at6native12_GLOBAL__N_18offset_tEEE10hipError_tPvRmT1_PNSt15iterator_traitsISK_E10value_typeET2_T3_PNSL_ISQ_E10value_typeET4_jRbjT5_SW_jjP12ihipStream_tbEUlT_E2_NS1_11comp_targetILNS1_3genE5ELNS1_11target_archE942ELNS1_3gpuE9ELNS1_3repE0EEENS1_30default_config_static_selectorELNS0_4arch9wavefront6targetE0EEEvSK_
; %bb.0:
	.section	.rodata,"a",@progbits
	.p2align	6, 0x0
	.amdhsa_kernel _ZN7rocprim17ROCPRIM_400000_NS6detail17trampoline_kernelINS0_14default_configENS1_36segmented_radix_sort_config_selectorIdlEEZNS1_25segmented_radix_sort_implIS3_Lb0EPKdPdPKlPlN2at6native12_GLOBAL__N_18offset_tEEE10hipError_tPvRmT1_PNSt15iterator_traitsISK_E10value_typeET2_T3_PNSL_ISQ_E10value_typeET4_jRbjT5_SW_jjP12ihipStream_tbEUlT_E2_NS1_11comp_targetILNS1_3genE5ELNS1_11target_archE942ELNS1_3gpuE9ELNS1_3repE0EEENS1_30default_config_static_selectorELNS0_4arch9wavefront6targetE0EEEvSK_
		.amdhsa_group_segment_fixed_size 0
		.amdhsa_private_segment_fixed_size 0
		.amdhsa_kernarg_size 80
		.amdhsa_user_sgpr_count 2
		.amdhsa_user_sgpr_dispatch_ptr 0
		.amdhsa_user_sgpr_queue_ptr 0
		.amdhsa_user_sgpr_kernarg_segment_ptr 1
		.amdhsa_user_sgpr_dispatch_id 0
		.amdhsa_user_sgpr_kernarg_preload_length 0
		.amdhsa_user_sgpr_kernarg_preload_offset 0
		.amdhsa_user_sgpr_private_segment_size 0
		.amdhsa_wavefront_size32 1
		.amdhsa_uses_dynamic_stack 0
		.amdhsa_enable_private_segment 0
		.amdhsa_system_sgpr_workgroup_id_x 1
		.amdhsa_system_sgpr_workgroup_id_y 0
		.amdhsa_system_sgpr_workgroup_id_z 0
		.amdhsa_system_sgpr_workgroup_info 0
		.amdhsa_system_vgpr_workitem_id 0
		.amdhsa_next_free_vgpr 1
		.amdhsa_next_free_sgpr 1
		.amdhsa_named_barrier_count 0
		.amdhsa_reserve_vcc 0
		.amdhsa_float_round_mode_32 0
		.amdhsa_float_round_mode_16_64 0
		.amdhsa_float_denorm_mode_32 3
		.amdhsa_float_denorm_mode_16_64 3
		.amdhsa_fp16_overflow 0
		.amdhsa_memory_ordered 1
		.amdhsa_forward_progress 1
		.amdhsa_inst_pref_size 0
		.amdhsa_round_robin_scheduling 0
		.amdhsa_exception_fp_ieee_invalid_op 0
		.amdhsa_exception_fp_denorm_src 0
		.amdhsa_exception_fp_ieee_div_zero 0
		.amdhsa_exception_fp_ieee_overflow 0
		.amdhsa_exception_fp_ieee_underflow 0
		.amdhsa_exception_fp_ieee_inexact 0
		.amdhsa_exception_int_div_zero 0
	.end_amdhsa_kernel
	.section	.text._ZN7rocprim17ROCPRIM_400000_NS6detail17trampoline_kernelINS0_14default_configENS1_36segmented_radix_sort_config_selectorIdlEEZNS1_25segmented_radix_sort_implIS3_Lb0EPKdPdPKlPlN2at6native12_GLOBAL__N_18offset_tEEE10hipError_tPvRmT1_PNSt15iterator_traitsISK_E10value_typeET2_T3_PNSL_ISQ_E10value_typeET4_jRbjT5_SW_jjP12ihipStream_tbEUlT_E2_NS1_11comp_targetILNS1_3genE5ELNS1_11target_archE942ELNS1_3gpuE9ELNS1_3repE0EEENS1_30default_config_static_selectorELNS0_4arch9wavefront6targetE0EEEvSK_,"axG",@progbits,_ZN7rocprim17ROCPRIM_400000_NS6detail17trampoline_kernelINS0_14default_configENS1_36segmented_radix_sort_config_selectorIdlEEZNS1_25segmented_radix_sort_implIS3_Lb0EPKdPdPKlPlN2at6native12_GLOBAL__N_18offset_tEEE10hipError_tPvRmT1_PNSt15iterator_traitsISK_E10value_typeET2_T3_PNSL_ISQ_E10value_typeET4_jRbjT5_SW_jjP12ihipStream_tbEUlT_E2_NS1_11comp_targetILNS1_3genE5ELNS1_11target_archE942ELNS1_3gpuE9ELNS1_3repE0EEENS1_30default_config_static_selectorELNS0_4arch9wavefront6targetE0EEEvSK_,comdat
.Lfunc_end1246:
	.size	_ZN7rocprim17ROCPRIM_400000_NS6detail17trampoline_kernelINS0_14default_configENS1_36segmented_radix_sort_config_selectorIdlEEZNS1_25segmented_radix_sort_implIS3_Lb0EPKdPdPKlPlN2at6native12_GLOBAL__N_18offset_tEEE10hipError_tPvRmT1_PNSt15iterator_traitsISK_E10value_typeET2_T3_PNSL_ISQ_E10value_typeET4_jRbjT5_SW_jjP12ihipStream_tbEUlT_E2_NS1_11comp_targetILNS1_3genE5ELNS1_11target_archE942ELNS1_3gpuE9ELNS1_3repE0EEENS1_30default_config_static_selectorELNS0_4arch9wavefront6targetE0EEEvSK_, .Lfunc_end1246-_ZN7rocprim17ROCPRIM_400000_NS6detail17trampoline_kernelINS0_14default_configENS1_36segmented_radix_sort_config_selectorIdlEEZNS1_25segmented_radix_sort_implIS3_Lb0EPKdPdPKlPlN2at6native12_GLOBAL__N_18offset_tEEE10hipError_tPvRmT1_PNSt15iterator_traitsISK_E10value_typeET2_T3_PNSL_ISQ_E10value_typeET4_jRbjT5_SW_jjP12ihipStream_tbEUlT_E2_NS1_11comp_targetILNS1_3genE5ELNS1_11target_archE942ELNS1_3gpuE9ELNS1_3repE0EEENS1_30default_config_static_selectorELNS0_4arch9wavefront6targetE0EEEvSK_
                                        ; -- End function
	.set _ZN7rocprim17ROCPRIM_400000_NS6detail17trampoline_kernelINS0_14default_configENS1_36segmented_radix_sort_config_selectorIdlEEZNS1_25segmented_radix_sort_implIS3_Lb0EPKdPdPKlPlN2at6native12_GLOBAL__N_18offset_tEEE10hipError_tPvRmT1_PNSt15iterator_traitsISK_E10value_typeET2_T3_PNSL_ISQ_E10value_typeET4_jRbjT5_SW_jjP12ihipStream_tbEUlT_E2_NS1_11comp_targetILNS1_3genE5ELNS1_11target_archE942ELNS1_3gpuE9ELNS1_3repE0EEENS1_30default_config_static_selectorELNS0_4arch9wavefront6targetE0EEEvSK_.num_vgpr, 0
	.set _ZN7rocprim17ROCPRIM_400000_NS6detail17trampoline_kernelINS0_14default_configENS1_36segmented_radix_sort_config_selectorIdlEEZNS1_25segmented_radix_sort_implIS3_Lb0EPKdPdPKlPlN2at6native12_GLOBAL__N_18offset_tEEE10hipError_tPvRmT1_PNSt15iterator_traitsISK_E10value_typeET2_T3_PNSL_ISQ_E10value_typeET4_jRbjT5_SW_jjP12ihipStream_tbEUlT_E2_NS1_11comp_targetILNS1_3genE5ELNS1_11target_archE942ELNS1_3gpuE9ELNS1_3repE0EEENS1_30default_config_static_selectorELNS0_4arch9wavefront6targetE0EEEvSK_.num_agpr, 0
	.set _ZN7rocprim17ROCPRIM_400000_NS6detail17trampoline_kernelINS0_14default_configENS1_36segmented_radix_sort_config_selectorIdlEEZNS1_25segmented_radix_sort_implIS3_Lb0EPKdPdPKlPlN2at6native12_GLOBAL__N_18offset_tEEE10hipError_tPvRmT1_PNSt15iterator_traitsISK_E10value_typeET2_T3_PNSL_ISQ_E10value_typeET4_jRbjT5_SW_jjP12ihipStream_tbEUlT_E2_NS1_11comp_targetILNS1_3genE5ELNS1_11target_archE942ELNS1_3gpuE9ELNS1_3repE0EEENS1_30default_config_static_selectorELNS0_4arch9wavefront6targetE0EEEvSK_.numbered_sgpr, 0
	.set _ZN7rocprim17ROCPRIM_400000_NS6detail17trampoline_kernelINS0_14default_configENS1_36segmented_radix_sort_config_selectorIdlEEZNS1_25segmented_radix_sort_implIS3_Lb0EPKdPdPKlPlN2at6native12_GLOBAL__N_18offset_tEEE10hipError_tPvRmT1_PNSt15iterator_traitsISK_E10value_typeET2_T3_PNSL_ISQ_E10value_typeET4_jRbjT5_SW_jjP12ihipStream_tbEUlT_E2_NS1_11comp_targetILNS1_3genE5ELNS1_11target_archE942ELNS1_3gpuE9ELNS1_3repE0EEENS1_30default_config_static_selectorELNS0_4arch9wavefront6targetE0EEEvSK_.num_named_barrier, 0
	.set _ZN7rocprim17ROCPRIM_400000_NS6detail17trampoline_kernelINS0_14default_configENS1_36segmented_radix_sort_config_selectorIdlEEZNS1_25segmented_radix_sort_implIS3_Lb0EPKdPdPKlPlN2at6native12_GLOBAL__N_18offset_tEEE10hipError_tPvRmT1_PNSt15iterator_traitsISK_E10value_typeET2_T3_PNSL_ISQ_E10value_typeET4_jRbjT5_SW_jjP12ihipStream_tbEUlT_E2_NS1_11comp_targetILNS1_3genE5ELNS1_11target_archE942ELNS1_3gpuE9ELNS1_3repE0EEENS1_30default_config_static_selectorELNS0_4arch9wavefront6targetE0EEEvSK_.private_seg_size, 0
	.set _ZN7rocprim17ROCPRIM_400000_NS6detail17trampoline_kernelINS0_14default_configENS1_36segmented_radix_sort_config_selectorIdlEEZNS1_25segmented_radix_sort_implIS3_Lb0EPKdPdPKlPlN2at6native12_GLOBAL__N_18offset_tEEE10hipError_tPvRmT1_PNSt15iterator_traitsISK_E10value_typeET2_T3_PNSL_ISQ_E10value_typeET4_jRbjT5_SW_jjP12ihipStream_tbEUlT_E2_NS1_11comp_targetILNS1_3genE5ELNS1_11target_archE942ELNS1_3gpuE9ELNS1_3repE0EEENS1_30default_config_static_selectorELNS0_4arch9wavefront6targetE0EEEvSK_.uses_vcc, 0
	.set _ZN7rocprim17ROCPRIM_400000_NS6detail17trampoline_kernelINS0_14default_configENS1_36segmented_radix_sort_config_selectorIdlEEZNS1_25segmented_radix_sort_implIS3_Lb0EPKdPdPKlPlN2at6native12_GLOBAL__N_18offset_tEEE10hipError_tPvRmT1_PNSt15iterator_traitsISK_E10value_typeET2_T3_PNSL_ISQ_E10value_typeET4_jRbjT5_SW_jjP12ihipStream_tbEUlT_E2_NS1_11comp_targetILNS1_3genE5ELNS1_11target_archE942ELNS1_3gpuE9ELNS1_3repE0EEENS1_30default_config_static_selectorELNS0_4arch9wavefront6targetE0EEEvSK_.uses_flat_scratch, 0
	.set _ZN7rocprim17ROCPRIM_400000_NS6detail17trampoline_kernelINS0_14default_configENS1_36segmented_radix_sort_config_selectorIdlEEZNS1_25segmented_radix_sort_implIS3_Lb0EPKdPdPKlPlN2at6native12_GLOBAL__N_18offset_tEEE10hipError_tPvRmT1_PNSt15iterator_traitsISK_E10value_typeET2_T3_PNSL_ISQ_E10value_typeET4_jRbjT5_SW_jjP12ihipStream_tbEUlT_E2_NS1_11comp_targetILNS1_3genE5ELNS1_11target_archE942ELNS1_3gpuE9ELNS1_3repE0EEENS1_30default_config_static_selectorELNS0_4arch9wavefront6targetE0EEEvSK_.has_dyn_sized_stack, 0
	.set _ZN7rocprim17ROCPRIM_400000_NS6detail17trampoline_kernelINS0_14default_configENS1_36segmented_radix_sort_config_selectorIdlEEZNS1_25segmented_radix_sort_implIS3_Lb0EPKdPdPKlPlN2at6native12_GLOBAL__N_18offset_tEEE10hipError_tPvRmT1_PNSt15iterator_traitsISK_E10value_typeET2_T3_PNSL_ISQ_E10value_typeET4_jRbjT5_SW_jjP12ihipStream_tbEUlT_E2_NS1_11comp_targetILNS1_3genE5ELNS1_11target_archE942ELNS1_3gpuE9ELNS1_3repE0EEENS1_30default_config_static_selectorELNS0_4arch9wavefront6targetE0EEEvSK_.has_recursion, 0
	.set _ZN7rocprim17ROCPRIM_400000_NS6detail17trampoline_kernelINS0_14default_configENS1_36segmented_radix_sort_config_selectorIdlEEZNS1_25segmented_radix_sort_implIS3_Lb0EPKdPdPKlPlN2at6native12_GLOBAL__N_18offset_tEEE10hipError_tPvRmT1_PNSt15iterator_traitsISK_E10value_typeET2_T3_PNSL_ISQ_E10value_typeET4_jRbjT5_SW_jjP12ihipStream_tbEUlT_E2_NS1_11comp_targetILNS1_3genE5ELNS1_11target_archE942ELNS1_3gpuE9ELNS1_3repE0EEENS1_30default_config_static_selectorELNS0_4arch9wavefront6targetE0EEEvSK_.has_indirect_call, 0
	.section	.AMDGPU.csdata,"",@progbits
; Kernel info:
; codeLenInByte = 0
; TotalNumSgprs: 0
; NumVgprs: 0
; ScratchSize: 0
; MemoryBound: 0
; FloatMode: 240
; IeeeMode: 1
; LDSByteSize: 0 bytes/workgroup (compile time only)
; SGPRBlocks: 0
; VGPRBlocks: 0
; NumSGPRsForWavesPerEU: 1
; NumVGPRsForWavesPerEU: 1
; NamedBarCnt: 0
; Occupancy: 16
; WaveLimiterHint : 0
; COMPUTE_PGM_RSRC2:SCRATCH_EN: 0
; COMPUTE_PGM_RSRC2:USER_SGPR: 2
; COMPUTE_PGM_RSRC2:TRAP_HANDLER: 0
; COMPUTE_PGM_RSRC2:TGID_X_EN: 1
; COMPUTE_PGM_RSRC2:TGID_Y_EN: 0
; COMPUTE_PGM_RSRC2:TGID_Z_EN: 0
; COMPUTE_PGM_RSRC2:TIDIG_COMP_CNT: 0
	.section	.text._ZN7rocprim17ROCPRIM_400000_NS6detail17trampoline_kernelINS0_14default_configENS1_36segmented_radix_sort_config_selectorIdlEEZNS1_25segmented_radix_sort_implIS3_Lb0EPKdPdPKlPlN2at6native12_GLOBAL__N_18offset_tEEE10hipError_tPvRmT1_PNSt15iterator_traitsISK_E10value_typeET2_T3_PNSL_ISQ_E10value_typeET4_jRbjT5_SW_jjP12ihipStream_tbEUlT_E2_NS1_11comp_targetILNS1_3genE4ELNS1_11target_archE910ELNS1_3gpuE8ELNS1_3repE0EEENS1_30default_config_static_selectorELNS0_4arch9wavefront6targetE0EEEvSK_,"axG",@progbits,_ZN7rocprim17ROCPRIM_400000_NS6detail17trampoline_kernelINS0_14default_configENS1_36segmented_radix_sort_config_selectorIdlEEZNS1_25segmented_radix_sort_implIS3_Lb0EPKdPdPKlPlN2at6native12_GLOBAL__N_18offset_tEEE10hipError_tPvRmT1_PNSt15iterator_traitsISK_E10value_typeET2_T3_PNSL_ISQ_E10value_typeET4_jRbjT5_SW_jjP12ihipStream_tbEUlT_E2_NS1_11comp_targetILNS1_3genE4ELNS1_11target_archE910ELNS1_3gpuE8ELNS1_3repE0EEENS1_30default_config_static_selectorELNS0_4arch9wavefront6targetE0EEEvSK_,comdat
	.globl	_ZN7rocprim17ROCPRIM_400000_NS6detail17trampoline_kernelINS0_14default_configENS1_36segmented_radix_sort_config_selectorIdlEEZNS1_25segmented_radix_sort_implIS3_Lb0EPKdPdPKlPlN2at6native12_GLOBAL__N_18offset_tEEE10hipError_tPvRmT1_PNSt15iterator_traitsISK_E10value_typeET2_T3_PNSL_ISQ_E10value_typeET4_jRbjT5_SW_jjP12ihipStream_tbEUlT_E2_NS1_11comp_targetILNS1_3genE4ELNS1_11target_archE910ELNS1_3gpuE8ELNS1_3repE0EEENS1_30default_config_static_selectorELNS0_4arch9wavefront6targetE0EEEvSK_ ; -- Begin function _ZN7rocprim17ROCPRIM_400000_NS6detail17trampoline_kernelINS0_14default_configENS1_36segmented_radix_sort_config_selectorIdlEEZNS1_25segmented_radix_sort_implIS3_Lb0EPKdPdPKlPlN2at6native12_GLOBAL__N_18offset_tEEE10hipError_tPvRmT1_PNSt15iterator_traitsISK_E10value_typeET2_T3_PNSL_ISQ_E10value_typeET4_jRbjT5_SW_jjP12ihipStream_tbEUlT_E2_NS1_11comp_targetILNS1_3genE4ELNS1_11target_archE910ELNS1_3gpuE8ELNS1_3repE0EEENS1_30default_config_static_selectorELNS0_4arch9wavefront6targetE0EEEvSK_
	.p2align	8
	.type	_ZN7rocprim17ROCPRIM_400000_NS6detail17trampoline_kernelINS0_14default_configENS1_36segmented_radix_sort_config_selectorIdlEEZNS1_25segmented_radix_sort_implIS3_Lb0EPKdPdPKlPlN2at6native12_GLOBAL__N_18offset_tEEE10hipError_tPvRmT1_PNSt15iterator_traitsISK_E10value_typeET2_T3_PNSL_ISQ_E10value_typeET4_jRbjT5_SW_jjP12ihipStream_tbEUlT_E2_NS1_11comp_targetILNS1_3genE4ELNS1_11target_archE910ELNS1_3gpuE8ELNS1_3repE0EEENS1_30default_config_static_selectorELNS0_4arch9wavefront6targetE0EEEvSK_,@function
_ZN7rocprim17ROCPRIM_400000_NS6detail17trampoline_kernelINS0_14default_configENS1_36segmented_radix_sort_config_selectorIdlEEZNS1_25segmented_radix_sort_implIS3_Lb0EPKdPdPKlPlN2at6native12_GLOBAL__N_18offset_tEEE10hipError_tPvRmT1_PNSt15iterator_traitsISK_E10value_typeET2_T3_PNSL_ISQ_E10value_typeET4_jRbjT5_SW_jjP12ihipStream_tbEUlT_E2_NS1_11comp_targetILNS1_3genE4ELNS1_11target_archE910ELNS1_3gpuE8ELNS1_3repE0EEENS1_30default_config_static_selectorELNS0_4arch9wavefront6targetE0EEEvSK_: ; @_ZN7rocprim17ROCPRIM_400000_NS6detail17trampoline_kernelINS0_14default_configENS1_36segmented_radix_sort_config_selectorIdlEEZNS1_25segmented_radix_sort_implIS3_Lb0EPKdPdPKlPlN2at6native12_GLOBAL__N_18offset_tEEE10hipError_tPvRmT1_PNSt15iterator_traitsISK_E10value_typeET2_T3_PNSL_ISQ_E10value_typeET4_jRbjT5_SW_jjP12ihipStream_tbEUlT_E2_NS1_11comp_targetILNS1_3genE4ELNS1_11target_archE910ELNS1_3gpuE8ELNS1_3repE0EEENS1_30default_config_static_selectorELNS0_4arch9wavefront6targetE0EEEvSK_
; %bb.0:
	.section	.rodata,"a",@progbits
	.p2align	6, 0x0
	.amdhsa_kernel _ZN7rocprim17ROCPRIM_400000_NS6detail17trampoline_kernelINS0_14default_configENS1_36segmented_radix_sort_config_selectorIdlEEZNS1_25segmented_radix_sort_implIS3_Lb0EPKdPdPKlPlN2at6native12_GLOBAL__N_18offset_tEEE10hipError_tPvRmT1_PNSt15iterator_traitsISK_E10value_typeET2_T3_PNSL_ISQ_E10value_typeET4_jRbjT5_SW_jjP12ihipStream_tbEUlT_E2_NS1_11comp_targetILNS1_3genE4ELNS1_11target_archE910ELNS1_3gpuE8ELNS1_3repE0EEENS1_30default_config_static_selectorELNS0_4arch9wavefront6targetE0EEEvSK_
		.amdhsa_group_segment_fixed_size 0
		.amdhsa_private_segment_fixed_size 0
		.amdhsa_kernarg_size 80
		.amdhsa_user_sgpr_count 2
		.amdhsa_user_sgpr_dispatch_ptr 0
		.amdhsa_user_sgpr_queue_ptr 0
		.amdhsa_user_sgpr_kernarg_segment_ptr 1
		.amdhsa_user_sgpr_dispatch_id 0
		.amdhsa_user_sgpr_kernarg_preload_length 0
		.amdhsa_user_sgpr_kernarg_preload_offset 0
		.amdhsa_user_sgpr_private_segment_size 0
		.amdhsa_wavefront_size32 1
		.amdhsa_uses_dynamic_stack 0
		.amdhsa_enable_private_segment 0
		.amdhsa_system_sgpr_workgroup_id_x 1
		.amdhsa_system_sgpr_workgroup_id_y 0
		.amdhsa_system_sgpr_workgroup_id_z 0
		.amdhsa_system_sgpr_workgroup_info 0
		.amdhsa_system_vgpr_workitem_id 0
		.amdhsa_next_free_vgpr 1
		.amdhsa_next_free_sgpr 1
		.amdhsa_named_barrier_count 0
		.amdhsa_reserve_vcc 0
		.amdhsa_float_round_mode_32 0
		.amdhsa_float_round_mode_16_64 0
		.amdhsa_float_denorm_mode_32 3
		.amdhsa_float_denorm_mode_16_64 3
		.amdhsa_fp16_overflow 0
		.amdhsa_memory_ordered 1
		.amdhsa_forward_progress 1
		.amdhsa_inst_pref_size 0
		.amdhsa_round_robin_scheduling 0
		.amdhsa_exception_fp_ieee_invalid_op 0
		.amdhsa_exception_fp_denorm_src 0
		.amdhsa_exception_fp_ieee_div_zero 0
		.amdhsa_exception_fp_ieee_overflow 0
		.amdhsa_exception_fp_ieee_underflow 0
		.amdhsa_exception_fp_ieee_inexact 0
		.amdhsa_exception_int_div_zero 0
	.end_amdhsa_kernel
	.section	.text._ZN7rocprim17ROCPRIM_400000_NS6detail17trampoline_kernelINS0_14default_configENS1_36segmented_radix_sort_config_selectorIdlEEZNS1_25segmented_radix_sort_implIS3_Lb0EPKdPdPKlPlN2at6native12_GLOBAL__N_18offset_tEEE10hipError_tPvRmT1_PNSt15iterator_traitsISK_E10value_typeET2_T3_PNSL_ISQ_E10value_typeET4_jRbjT5_SW_jjP12ihipStream_tbEUlT_E2_NS1_11comp_targetILNS1_3genE4ELNS1_11target_archE910ELNS1_3gpuE8ELNS1_3repE0EEENS1_30default_config_static_selectorELNS0_4arch9wavefront6targetE0EEEvSK_,"axG",@progbits,_ZN7rocprim17ROCPRIM_400000_NS6detail17trampoline_kernelINS0_14default_configENS1_36segmented_radix_sort_config_selectorIdlEEZNS1_25segmented_radix_sort_implIS3_Lb0EPKdPdPKlPlN2at6native12_GLOBAL__N_18offset_tEEE10hipError_tPvRmT1_PNSt15iterator_traitsISK_E10value_typeET2_T3_PNSL_ISQ_E10value_typeET4_jRbjT5_SW_jjP12ihipStream_tbEUlT_E2_NS1_11comp_targetILNS1_3genE4ELNS1_11target_archE910ELNS1_3gpuE8ELNS1_3repE0EEENS1_30default_config_static_selectorELNS0_4arch9wavefront6targetE0EEEvSK_,comdat
.Lfunc_end1247:
	.size	_ZN7rocprim17ROCPRIM_400000_NS6detail17trampoline_kernelINS0_14default_configENS1_36segmented_radix_sort_config_selectorIdlEEZNS1_25segmented_radix_sort_implIS3_Lb0EPKdPdPKlPlN2at6native12_GLOBAL__N_18offset_tEEE10hipError_tPvRmT1_PNSt15iterator_traitsISK_E10value_typeET2_T3_PNSL_ISQ_E10value_typeET4_jRbjT5_SW_jjP12ihipStream_tbEUlT_E2_NS1_11comp_targetILNS1_3genE4ELNS1_11target_archE910ELNS1_3gpuE8ELNS1_3repE0EEENS1_30default_config_static_selectorELNS0_4arch9wavefront6targetE0EEEvSK_, .Lfunc_end1247-_ZN7rocprim17ROCPRIM_400000_NS6detail17trampoline_kernelINS0_14default_configENS1_36segmented_radix_sort_config_selectorIdlEEZNS1_25segmented_radix_sort_implIS3_Lb0EPKdPdPKlPlN2at6native12_GLOBAL__N_18offset_tEEE10hipError_tPvRmT1_PNSt15iterator_traitsISK_E10value_typeET2_T3_PNSL_ISQ_E10value_typeET4_jRbjT5_SW_jjP12ihipStream_tbEUlT_E2_NS1_11comp_targetILNS1_3genE4ELNS1_11target_archE910ELNS1_3gpuE8ELNS1_3repE0EEENS1_30default_config_static_selectorELNS0_4arch9wavefront6targetE0EEEvSK_
                                        ; -- End function
	.set _ZN7rocprim17ROCPRIM_400000_NS6detail17trampoline_kernelINS0_14default_configENS1_36segmented_radix_sort_config_selectorIdlEEZNS1_25segmented_radix_sort_implIS3_Lb0EPKdPdPKlPlN2at6native12_GLOBAL__N_18offset_tEEE10hipError_tPvRmT1_PNSt15iterator_traitsISK_E10value_typeET2_T3_PNSL_ISQ_E10value_typeET4_jRbjT5_SW_jjP12ihipStream_tbEUlT_E2_NS1_11comp_targetILNS1_3genE4ELNS1_11target_archE910ELNS1_3gpuE8ELNS1_3repE0EEENS1_30default_config_static_selectorELNS0_4arch9wavefront6targetE0EEEvSK_.num_vgpr, 0
	.set _ZN7rocprim17ROCPRIM_400000_NS6detail17trampoline_kernelINS0_14default_configENS1_36segmented_radix_sort_config_selectorIdlEEZNS1_25segmented_radix_sort_implIS3_Lb0EPKdPdPKlPlN2at6native12_GLOBAL__N_18offset_tEEE10hipError_tPvRmT1_PNSt15iterator_traitsISK_E10value_typeET2_T3_PNSL_ISQ_E10value_typeET4_jRbjT5_SW_jjP12ihipStream_tbEUlT_E2_NS1_11comp_targetILNS1_3genE4ELNS1_11target_archE910ELNS1_3gpuE8ELNS1_3repE0EEENS1_30default_config_static_selectorELNS0_4arch9wavefront6targetE0EEEvSK_.num_agpr, 0
	.set _ZN7rocprim17ROCPRIM_400000_NS6detail17trampoline_kernelINS0_14default_configENS1_36segmented_radix_sort_config_selectorIdlEEZNS1_25segmented_radix_sort_implIS3_Lb0EPKdPdPKlPlN2at6native12_GLOBAL__N_18offset_tEEE10hipError_tPvRmT1_PNSt15iterator_traitsISK_E10value_typeET2_T3_PNSL_ISQ_E10value_typeET4_jRbjT5_SW_jjP12ihipStream_tbEUlT_E2_NS1_11comp_targetILNS1_3genE4ELNS1_11target_archE910ELNS1_3gpuE8ELNS1_3repE0EEENS1_30default_config_static_selectorELNS0_4arch9wavefront6targetE0EEEvSK_.numbered_sgpr, 0
	.set _ZN7rocprim17ROCPRIM_400000_NS6detail17trampoline_kernelINS0_14default_configENS1_36segmented_radix_sort_config_selectorIdlEEZNS1_25segmented_radix_sort_implIS3_Lb0EPKdPdPKlPlN2at6native12_GLOBAL__N_18offset_tEEE10hipError_tPvRmT1_PNSt15iterator_traitsISK_E10value_typeET2_T3_PNSL_ISQ_E10value_typeET4_jRbjT5_SW_jjP12ihipStream_tbEUlT_E2_NS1_11comp_targetILNS1_3genE4ELNS1_11target_archE910ELNS1_3gpuE8ELNS1_3repE0EEENS1_30default_config_static_selectorELNS0_4arch9wavefront6targetE0EEEvSK_.num_named_barrier, 0
	.set _ZN7rocprim17ROCPRIM_400000_NS6detail17trampoline_kernelINS0_14default_configENS1_36segmented_radix_sort_config_selectorIdlEEZNS1_25segmented_radix_sort_implIS3_Lb0EPKdPdPKlPlN2at6native12_GLOBAL__N_18offset_tEEE10hipError_tPvRmT1_PNSt15iterator_traitsISK_E10value_typeET2_T3_PNSL_ISQ_E10value_typeET4_jRbjT5_SW_jjP12ihipStream_tbEUlT_E2_NS1_11comp_targetILNS1_3genE4ELNS1_11target_archE910ELNS1_3gpuE8ELNS1_3repE0EEENS1_30default_config_static_selectorELNS0_4arch9wavefront6targetE0EEEvSK_.private_seg_size, 0
	.set _ZN7rocprim17ROCPRIM_400000_NS6detail17trampoline_kernelINS0_14default_configENS1_36segmented_radix_sort_config_selectorIdlEEZNS1_25segmented_radix_sort_implIS3_Lb0EPKdPdPKlPlN2at6native12_GLOBAL__N_18offset_tEEE10hipError_tPvRmT1_PNSt15iterator_traitsISK_E10value_typeET2_T3_PNSL_ISQ_E10value_typeET4_jRbjT5_SW_jjP12ihipStream_tbEUlT_E2_NS1_11comp_targetILNS1_3genE4ELNS1_11target_archE910ELNS1_3gpuE8ELNS1_3repE0EEENS1_30default_config_static_selectorELNS0_4arch9wavefront6targetE0EEEvSK_.uses_vcc, 0
	.set _ZN7rocprim17ROCPRIM_400000_NS6detail17trampoline_kernelINS0_14default_configENS1_36segmented_radix_sort_config_selectorIdlEEZNS1_25segmented_radix_sort_implIS3_Lb0EPKdPdPKlPlN2at6native12_GLOBAL__N_18offset_tEEE10hipError_tPvRmT1_PNSt15iterator_traitsISK_E10value_typeET2_T3_PNSL_ISQ_E10value_typeET4_jRbjT5_SW_jjP12ihipStream_tbEUlT_E2_NS1_11comp_targetILNS1_3genE4ELNS1_11target_archE910ELNS1_3gpuE8ELNS1_3repE0EEENS1_30default_config_static_selectorELNS0_4arch9wavefront6targetE0EEEvSK_.uses_flat_scratch, 0
	.set _ZN7rocprim17ROCPRIM_400000_NS6detail17trampoline_kernelINS0_14default_configENS1_36segmented_radix_sort_config_selectorIdlEEZNS1_25segmented_radix_sort_implIS3_Lb0EPKdPdPKlPlN2at6native12_GLOBAL__N_18offset_tEEE10hipError_tPvRmT1_PNSt15iterator_traitsISK_E10value_typeET2_T3_PNSL_ISQ_E10value_typeET4_jRbjT5_SW_jjP12ihipStream_tbEUlT_E2_NS1_11comp_targetILNS1_3genE4ELNS1_11target_archE910ELNS1_3gpuE8ELNS1_3repE0EEENS1_30default_config_static_selectorELNS0_4arch9wavefront6targetE0EEEvSK_.has_dyn_sized_stack, 0
	.set _ZN7rocprim17ROCPRIM_400000_NS6detail17trampoline_kernelINS0_14default_configENS1_36segmented_radix_sort_config_selectorIdlEEZNS1_25segmented_radix_sort_implIS3_Lb0EPKdPdPKlPlN2at6native12_GLOBAL__N_18offset_tEEE10hipError_tPvRmT1_PNSt15iterator_traitsISK_E10value_typeET2_T3_PNSL_ISQ_E10value_typeET4_jRbjT5_SW_jjP12ihipStream_tbEUlT_E2_NS1_11comp_targetILNS1_3genE4ELNS1_11target_archE910ELNS1_3gpuE8ELNS1_3repE0EEENS1_30default_config_static_selectorELNS0_4arch9wavefront6targetE0EEEvSK_.has_recursion, 0
	.set _ZN7rocprim17ROCPRIM_400000_NS6detail17trampoline_kernelINS0_14default_configENS1_36segmented_radix_sort_config_selectorIdlEEZNS1_25segmented_radix_sort_implIS3_Lb0EPKdPdPKlPlN2at6native12_GLOBAL__N_18offset_tEEE10hipError_tPvRmT1_PNSt15iterator_traitsISK_E10value_typeET2_T3_PNSL_ISQ_E10value_typeET4_jRbjT5_SW_jjP12ihipStream_tbEUlT_E2_NS1_11comp_targetILNS1_3genE4ELNS1_11target_archE910ELNS1_3gpuE8ELNS1_3repE0EEENS1_30default_config_static_selectorELNS0_4arch9wavefront6targetE0EEEvSK_.has_indirect_call, 0
	.section	.AMDGPU.csdata,"",@progbits
; Kernel info:
; codeLenInByte = 0
; TotalNumSgprs: 0
; NumVgprs: 0
; ScratchSize: 0
; MemoryBound: 0
; FloatMode: 240
; IeeeMode: 1
; LDSByteSize: 0 bytes/workgroup (compile time only)
; SGPRBlocks: 0
; VGPRBlocks: 0
; NumSGPRsForWavesPerEU: 1
; NumVGPRsForWavesPerEU: 1
; NamedBarCnt: 0
; Occupancy: 16
; WaveLimiterHint : 0
; COMPUTE_PGM_RSRC2:SCRATCH_EN: 0
; COMPUTE_PGM_RSRC2:USER_SGPR: 2
; COMPUTE_PGM_RSRC2:TRAP_HANDLER: 0
; COMPUTE_PGM_RSRC2:TGID_X_EN: 1
; COMPUTE_PGM_RSRC2:TGID_Y_EN: 0
; COMPUTE_PGM_RSRC2:TGID_Z_EN: 0
; COMPUTE_PGM_RSRC2:TIDIG_COMP_CNT: 0
	.section	.text._ZN7rocprim17ROCPRIM_400000_NS6detail17trampoline_kernelINS0_14default_configENS1_36segmented_radix_sort_config_selectorIdlEEZNS1_25segmented_radix_sort_implIS3_Lb0EPKdPdPKlPlN2at6native12_GLOBAL__N_18offset_tEEE10hipError_tPvRmT1_PNSt15iterator_traitsISK_E10value_typeET2_T3_PNSL_ISQ_E10value_typeET4_jRbjT5_SW_jjP12ihipStream_tbEUlT_E2_NS1_11comp_targetILNS1_3genE3ELNS1_11target_archE908ELNS1_3gpuE7ELNS1_3repE0EEENS1_30default_config_static_selectorELNS0_4arch9wavefront6targetE0EEEvSK_,"axG",@progbits,_ZN7rocprim17ROCPRIM_400000_NS6detail17trampoline_kernelINS0_14default_configENS1_36segmented_radix_sort_config_selectorIdlEEZNS1_25segmented_radix_sort_implIS3_Lb0EPKdPdPKlPlN2at6native12_GLOBAL__N_18offset_tEEE10hipError_tPvRmT1_PNSt15iterator_traitsISK_E10value_typeET2_T3_PNSL_ISQ_E10value_typeET4_jRbjT5_SW_jjP12ihipStream_tbEUlT_E2_NS1_11comp_targetILNS1_3genE3ELNS1_11target_archE908ELNS1_3gpuE7ELNS1_3repE0EEENS1_30default_config_static_selectorELNS0_4arch9wavefront6targetE0EEEvSK_,comdat
	.globl	_ZN7rocprim17ROCPRIM_400000_NS6detail17trampoline_kernelINS0_14default_configENS1_36segmented_radix_sort_config_selectorIdlEEZNS1_25segmented_radix_sort_implIS3_Lb0EPKdPdPKlPlN2at6native12_GLOBAL__N_18offset_tEEE10hipError_tPvRmT1_PNSt15iterator_traitsISK_E10value_typeET2_T3_PNSL_ISQ_E10value_typeET4_jRbjT5_SW_jjP12ihipStream_tbEUlT_E2_NS1_11comp_targetILNS1_3genE3ELNS1_11target_archE908ELNS1_3gpuE7ELNS1_3repE0EEENS1_30default_config_static_selectorELNS0_4arch9wavefront6targetE0EEEvSK_ ; -- Begin function _ZN7rocprim17ROCPRIM_400000_NS6detail17trampoline_kernelINS0_14default_configENS1_36segmented_radix_sort_config_selectorIdlEEZNS1_25segmented_radix_sort_implIS3_Lb0EPKdPdPKlPlN2at6native12_GLOBAL__N_18offset_tEEE10hipError_tPvRmT1_PNSt15iterator_traitsISK_E10value_typeET2_T3_PNSL_ISQ_E10value_typeET4_jRbjT5_SW_jjP12ihipStream_tbEUlT_E2_NS1_11comp_targetILNS1_3genE3ELNS1_11target_archE908ELNS1_3gpuE7ELNS1_3repE0EEENS1_30default_config_static_selectorELNS0_4arch9wavefront6targetE0EEEvSK_
	.p2align	8
	.type	_ZN7rocprim17ROCPRIM_400000_NS6detail17trampoline_kernelINS0_14default_configENS1_36segmented_radix_sort_config_selectorIdlEEZNS1_25segmented_radix_sort_implIS3_Lb0EPKdPdPKlPlN2at6native12_GLOBAL__N_18offset_tEEE10hipError_tPvRmT1_PNSt15iterator_traitsISK_E10value_typeET2_T3_PNSL_ISQ_E10value_typeET4_jRbjT5_SW_jjP12ihipStream_tbEUlT_E2_NS1_11comp_targetILNS1_3genE3ELNS1_11target_archE908ELNS1_3gpuE7ELNS1_3repE0EEENS1_30default_config_static_selectorELNS0_4arch9wavefront6targetE0EEEvSK_,@function
_ZN7rocprim17ROCPRIM_400000_NS6detail17trampoline_kernelINS0_14default_configENS1_36segmented_radix_sort_config_selectorIdlEEZNS1_25segmented_radix_sort_implIS3_Lb0EPKdPdPKlPlN2at6native12_GLOBAL__N_18offset_tEEE10hipError_tPvRmT1_PNSt15iterator_traitsISK_E10value_typeET2_T3_PNSL_ISQ_E10value_typeET4_jRbjT5_SW_jjP12ihipStream_tbEUlT_E2_NS1_11comp_targetILNS1_3genE3ELNS1_11target_archE908ELNS1_3gpuE7ELNS1_3repE0EEENS1_30default_config_static_selectorELNS0_4arch9wavefront6targetE0EEEvSK_: ; @_ZN7rocprim17ROCPRIM_400000_NS6detail17trampoline_kernelINS0_14default_configENS1_36segmented_radix_sort_config_selectorIdlEEZNS1_25segmented_radix_sort_implIS3_Lb0EPKdPdPKlPlN2at6native12_GLOBAL__N_18offset_tEEE10hipError_tPvRmT1_PNSt15iterator_traitsISK_E10value_typeET2_T3_PNSL_ISQ_E10value_typeET4_jRbjT5_SW_jjP12ihipStream_tbEUlT_E2_NS1_11comp_targetILNS1_3genE3ELNS1_11target_archE908ELNS1_3gpuE7ELNS1_3repE0EEENS1_30default_config_static_selectorELNS0_4arch9wavefront6targetE0EEEvSK_
; %bb.0:
	.section	.rodata,"a",@progbits
	.p2align	6, 0x0
	.amdhsa_kernel _ZN7rocprim17ROCPRIM_400000_NS6detail17trampoline_kernelINS0_14default_configENS1_36segmented_radix_sort_config_selectorIdlEEZNS1_25segmented_radix_sort_implIS3_Lb0EPKdPdPKlPlN2at6native12_GLOBAL__N_18offset_tEEE10hipError_tPvRmT1_PNSt15iterator_traitsISK_E10value_typeET2_T3_PNSL_ISQ_E10value_typeET4_jRbjT5_SW_jjP12ihipStream_tbEUlT_E2_NS1_11comp_targetILNS1_3genE3ELNS1_11target_archE908ELNS1_3gpuE7ELNS1_3repE0EEENS1_30default_config_static_selectorELNS0_4arch9wavefront6targetE0EEEvSK_
		.amdhsa_group_segment_fixed_size 0
		.amdhsa_private_segment_fixed_size 0
		.amdhsa_kernarg_size 80
		.amdhsa_user_sgpr_count 2
		.amdhsa_user_sgpr_dispatch_ptr 0
		.amdhsa_user_sgpr_queue_ptr 0
		.amdhsa_user_sgpr_kernarg_segment_ptr 1
		.amdhsa_user_sgpr_dispatch_id 0
		.amdhsa_user_sgpr_kernarg_preload_length 0
		.amdhsa_user_sgpr_kernarg_preload_offset 0
		.amdhsa_user_sgpr_private_segment_size 0
		.amdhsa_wavefront_size32 1
		.amdhsa_uses_dynamic_stack 0
		.amdhsa_enable_private_segment 0
		.amdhsa_system_sgpr_workgroup_id_x 1
		.amdhsa_system_sgpr_workgroup_id_y 0
		.amdhsa_system_sgpr_workgroup_id_z 0
		.amdhsa_system_sgpr_workgroup_info 0
		.amdhsa_system_vgpr_workitem_id 0
		.amdhsa_next_free_vgpr 1
		.amdhsa_next_free_sgpr 1
		.amdhsa_named_barrier_count 0
		.amdhsa_reserve_vcc 0
		.amdhsa_float_round_mode_32 0
		.amdhsa_float_round_mode_16_64 0
		.amdhsa_float_denorm_mode_32 3
		.amdhsa_float_denorm_mode_16_64 3
		.amdhsa_fp16_overflow 0
		.amdhsa_memory_ordered 1
		.amdhsa_forward_progress 1
		.amdhsa_inst_pref_size 0
		.amdhsa_round_robin_scheduling 0
		.amdhsa_exception_fp_ieee_invalid_op 0
		.amdhsa_exception_fp_denorm_src 0
		.amdhsa_exception_fp_ieee_div_zero 0
		.amdhsa_exception_fp_ieee_overflow 0
		.amdhsa_exception_fp_ieee_underflow 0
		.amdhsa_exception_fp_ieee_inexact 0
		.amdhsa_exception_int_div_zero 0
	.end_amdhsa_kernel
	.section	.text._ZN7rocprim17ROCPRIM_400000_NS6detail17trampoline_kernelINS0_14default_configENS1_36segmented_radix_sort_config_selectorIdlEEZNS1_25segmented_radix_sort_implIS3_Lb0EPKdPdPKlPlN2at6native12_GLOBAL__N_18offset_tEEE10hipError_tPvRmT1_PNSt15iterator_traitsISK_E10value_typeET2_T3_PNSL_ISQ_E10value_typeET4_jRbjT5_SW_jjP12ihipStream_tbEUlT_E2_NS1_11comp_targetILNS1_3genE3ELNS1_11target_archE908ELNS1_3gpuE7ELNS1_3repE0EEENS1_30default_config_static_selectorELNS0_4arch9wavefront6targetE0EEEvSK_,"axG",@progbits,_ZN7rocprim17ROCPRIM_400000_NS6detail17trampoline_kernelINS0_14default_configENS1_36segmented_radix_sort_config_selectorIdlEEZNS1_25segmented_radix_sort_implIS3_Lb0EPKdPdPKlPlN2at6native12_GLOBAL__N_18offset_tEEE10hipError_tPvRmT1_PNSt15iterator_traitsISK_E10value_typeET2_T3_PNSL_ISQ_E10value_typeET4_jRbjT5_SW_jjP12ihipStream_tbEUlT_E2_NS1_11comp_targetILNS1_3genE3ELNS1_11target_archE908ELNS1_3gpuE7ELNS1_3repE0EEENS1_30default_config_static_selectorELNS0_4arch9wavefront6targetE0EEEvSK_,comdat
.Lfunc_end1248:
	.size	_ZN7rocprim17ROCPRIM_400000_NS6detail17trampoline_kernelINS0_14default_configENS1_36segmented_radix_sort_config_selectorIdlEEZNS1_25segmented_radix_sort_implIS3_Lb0EPKdPdPKlPlN2at6native12_GLOBAL__N_18offset_tEEE10hipError_tPvRmT1_PNSt15iterator_traitsISK_E10value_typeET2_T3_PNSL_ISQ_E10value_typeET4_jRbjT5_SW_jjP12ihipStream_tbEUlT_E2_NS1_11comp_targetILNS1_3genE3ELNS1_11target_archE908ELNS1_3gpuE7ELNS1_3repE0EEENS1_30default_config_static_selectorELNS0_4arch9wavefront6targetE0EEEvSK_, .Lfunc_end1248-_ZN7rocprim17ROCPRIM_400000_NS6detail17trampoline_kernelINS0_14default_configENS1_36segmented_radix_sort_config_selectorIdlEEZNS1_25segmented_radix_sort_implIS3_Lb0EPKdPdPKlPlN2at6native12_GLOBAL__N_18offset_tEEE10hipError_tPvRmT1_PNSt15iterator_traitsISK_E10value_typeET2_T3_PNSL_ISQ_E10value_typeET4_jRbjT5_SW_jjP12ihipStream_tbEUlT_E2_NS1_11comp_targetILNS1_3genE3ELNS1_11target_archE908ELNS1_3gpuE7ELNS1_3repE0EEENS1_30default_config_static_selectorELNS0_4arch9wavefront6targetE0EEEvSK_
                                        ; -- End function
	.set _ZN7rocprim17ROCPRIM_400000_NS6detail17trampoline_kernelINS0_14default_configENS1_36segmented_radix_sort_config_selectorIdlEEZNS1_25segmented_radix_sort_implIS3_Lb0EPKdPdPKlPlN2at6native12_GLOBAL__N_18offset_tEEE10hipError_tPvRmT1_PNSt15iterator_traitsISK_E10value_typeET2_T3_PNSL_ISQ_E10value_typeET4_jRbjT5_SW_jjP12ihipStream_tbEUlT_E2_NS1_11comp_targetILNS1_3genE3ELNS1_11target_archE908ELNS1_3gpuE7ELNS1_3repE0EEENS1_30default_config_static_selectorELNS0_4arch9wavefront6targetE0EEEvSK_.num_vgpr, 0
	.set _ZN7rocprim17ROCPRIM_400000_NS6detail17trampoline_kernelINS0_14default_configENS1_36segmented_radix_sort_config_selectorIdlEEZNS1_25segmented_radix_sort_implIS3_Lb0EPKdPdPKlPlN2at6native12_GLOBAL__N_18offset_tEEE10hipError_tPvRmT1_PNSt15iterator_traitsISK_E10value_typeET2_T3_PNSL_ISQ_E10value_typeET4_jRbjT5_SW_jjP12ihipStream_tbEUlT_E2_NS1_11comp_targetILNS1_3genE3ELNS1_11target_archE908ELNS1_3gpuE7ELNS1_3repE0EEENS1_30default_config_static_selectorELNS0_4arch9wavefront6targetE0EEEvSK_.num_agpr, 0
	.set _ZN7rocprim17ROCPRIM_400000_NS6detail17trampoline_kernelINS0_14default_configENS1_36segmented_radix_sort_config_selectorIdlEEZNS1_25segmented_radix_sort_implIS3_Lb0EPKdPdPKlPlN2at6native12_GLOBAL__N_18offset_tEEE10hipError_tPvRmT1_PNSt15iterator_traitsISK_E10value_typeET2_T3_PNSL_ISQ_E10value_typeET4_jRbjT5_SW_jjP12ihipStream_tbEUlT_E2_NS1_11comp_targetILNS1_3genE3ELNS1_11target_archE908ELNS1_3gpuE7ELNS1_3repE0EEENS1_30default_config_static_selectorELNS0_4arch9wavefront6targetE0EEEvSK_.numbered_sgpr, 0
	.set _ZN7rocprim17ROCPRIM_400000_NS6detail17trampoline_kernelINS0_14default_configENS1_36segmented_radix_sort_config_selectorIdlEEZNS1_25segmented_radix_sort_implIS3_Lb0EPKdPdPKlPlN2at6native12_GLOBAL__N_18offset_tEEE10hipError_tPvRmT1_PNSt15iterator_traitsISK_E10value_typeET2_T3_PNSL_ISQ_E10value_typeET4_jRbjT5_SW_jjP12ihipStream_tbEUlT_E2_NS1_11comp_targetILNS1_3genE3ELNS1_11target_archE908ELNS1_3gpuE7ELNS1_3repE0EEENS1_30default_config_static_selectorELNS0_4arch9wavefront6targetE0EEEvSK_.num_named_barrier, 0
	.set _ZN7rocprim17ROCPRIM_400000_NS6detail17trampoline_kernelINS0_14default_configENS1_36segmented_radix_sort_config_selectorIdlEEZNS1_25segmented_radix_sort_implIS3_Lb0EPKdPdPKlPlN2at6native12_GLOBAL__N_18offset_tEEE10hipError_tPvRmT1_PNSt15iterator_traitsISK_E10value_typeET2_T3_PNSL_ISQ_E10value_typeET4_jRbjT5_SW_jjP12ihipStream_tbEUlT_E2_NS1_11comp_targetILNS1_3genE3ELNS1_11target_archE908ELNS1_3gpuE7ELNS1_3repE0EEENS1_30default_config_static_selectorELNS0_4arch9wavefront6targetE0EEEvSK_.private_seg_size, 0
	.set _ZN7rocprim17ROCPRIM_400000_NS6detail17trampoline_kernelINS0_14default_configENS1_36segmented_radix_sort_config_selectorIdlEEZNS1_25segmented_radix_sort_implIS3_Lb0EPKdPdPKlPlN2at6native12_GLOBAL__N_18offset_tEEE10hipError_tPvRmT1_PNSt15iterator_traitsISK_E10value_typeET2_T3_PNSL_ISQ_E10value_typeET4_jRbjT5_SW_jjP12ihipStream_tbEUlT_E2_NS1_11comp_targetILNS1_3genE3ELNS1_11target_archE908ELNS1_3gpuE7ELNS1_3repE0EEENS1_30default_config_static_selectorELNS0_4arch9wavefront6targetE0EEEvSK_.uses_vcc, 0
	.set _ZN7rocprim17ROCPRIM_400000_NS6detail17trampoline_kernelINS0_14default_configENS1_36segmented_radix_sort_config_selectorIdlEEZNS1_25segmented_radix_sort_implIS3_Lb0EPKdPdPKlPlN2at6native12_GLOBAL__N_18offset_tEEE10hipError_tPvRmT1_PNSt15iterator_traitsISK_E10value_typeET2_T3_PNSL_ISQ_E10value_typeET4_jRbjT5_SW_jjP12ihipStream_tbEUlT_E2_NS1_11comp_targetILNS1_3genE3ELNS1_11target_archE908ELNS1_3gpuE7ELNS1_3repE0EEENS1_30default_config_static_selectorELNS0_4arch9wavefront6targetE0EEEvSK_.uses_flat_scratch, 0
	.set _ZN7rocprim17ROCPRIM_400000_NS6detail17trampoline_kernelINS0_14default_configENS1_36segmented_radix_sort_config_selectorIdlEEZNS1_25segmented_radix_sort_implIS3_Lb0EPKdPdPKlPlN2at6native12_GLOBAL__N_18offset_tEEE10hipError_tPvRmT1_PNSt15iterator_traitsISK_E10value_typeET2_T3_PNSL_ISQ_E10value_typeET4_jRbjT5_SW_jjP12ihipStream_tbEUlT_E2_NS1_11comp_targetILNS1_3genE3ELNS1_11target_archE908ELNS1_3gpuE7ELNS1_3repE0EEENS1_30default_config_static_selectorELNS0_4arch9wavefront6targetE0EEEvSK_.has_dyn_sized_stack, 0
	.set _ZN7rocprim17ROCPRIM_400000_NS6detail17trampoline_kernelINS0_14default_configENS1_36segmented_radix_sort_config_selectorIdlEEZNS1_25segmented_radix_sort_implIS3_Lb0EPKdPdPKlPlN2at6native12_GLOBAL__N_18offset_tEEE10hipError_tPvRmT1_PNSt15iterator_traitsISK_E10value_typeET2_T3_PNSL_ISQ_E10value_typeET4_jRbjT5_SW_jjP12ihipStream_tbEUlT_E2_NS1_11comp_targetILNS1_3genE3ELNS1_11target_archE908ELNS1_3gpuE7ELNS1_3repE0EEENS1_30default_config_static_selectorELNS0_4arch9wavefront6targetE0EEEvSK_.has_recursion, 0
	.set _ZN7rocprim17ROCPRIM_400000_NS6detail17trampoline_kernelINS0_14default_configENS1_36segmented_radix_sort_config_selectorIdlEEZNS1_25segmented_radix_sort_implIS3_Lb0EPKdPdPKlPlN2at6native12_GLOBAL__N_18offset_tEEE10hipError_tPvRmT1_PNSt15iterator_traitsISK_E10value_typeET2_T3_PNSL_ISQ_E10value_typeET4_jRbjT5_SW_jjP12ihipStream_tbEUlT_E2_NS1_11comp_targetILNS1_3genE3ELNS1_11target_archE908ELNS1_3gpuE7ELNS1_3repE0EEENS1_30default_config_static_selectorELNS0_4arch9wavefront6targetE0EEEvSK_.has_indirect_call, 0
	.section	.AMDGPU.csdata,"",@progbits
; Kernel info:
; codeLenInByte = 0
; TotalNumSgprs: 0
; NumVgprs: 0
; ScratchSize: 0
; MemoryBound: 0
; FloatMode: 240
; IeeeMode: 1
; LDSByteSize: 0 bytes/workgroup (compile time only)
; SGPRBlocks: 0
; VGPRBlocks: 0
; NumSGPRsForWavesPerEU: 1
; NumVGPRsForWavesPerEU: 1
; NamedBarCnt: 0
; Occupancy: 16
; WaveLimiterHint : 0
; COMPUTE_PGM_RSRC2:SCRATCH_EN: 0
; COMPUTE_PGM_RSRC2:USER_SGPR: 2
; COMPUTE_PGM_RSRC2:TRAP_HANDLER: 0
; COMPUTE_PGM_RSRC2:TGID_X_EN: 1
; COMPUTE_PGM_RSRC2:TGID_Y_EN: 0
; COMPUTE_PGM_RSRC2:TGID_Z_EN: 0
; COMPUTE_PGM_RSRC2:TIDIG_COMP_CNT: 0
	.section	.text._ZN7rocprim17ROCPRIM_400000_NS6detail17trampoline_kernelINS0_14default_configENS1_36segmented_radix_sort_config_selectorIdlEEZNS1_25segmented_radix_sort_implIS3_Lb0EPKdPdPKlPlN2at6native12_GLOBAL__N_18offset_tEEE10hipError_tPvRmT1_PNSt15iterator_traitsISK_E10value_typeET2_T3_PNSL_ISQ_E10value_typeET4_jRbjT5_SW_jjP12ihipStream_tbEUlT_E2_NS1_11comp_targetILNS1_3genE2ELNS1_11target_archE906ELNS1_3gpuE6ELNS1_3repE0EEENS1_30default_config_static_selectorELNS0_4arch9wavefront6targetE0EEEvSK_,"axG",@progbits,_ZN7rocprim17ROCPRIM_400000_NS6detail17trampoline_kernelINS0_14default_configENS1_36segmented_radix_sort_config_selectorIdlEEZNS1_25segmented_radix_sort_implIS3_Lb0EPKdPdPKlPlN2at6native12_GLOBAL__N_18offset_tEEE10hipError_tPvRmT1_PNSt15iterator_traitsISK_E10value_typeET2_T3_PNSL_ISQ_E10value_typeET4_jRbjT5_SW_jjP12ihipStream_tbEUlT_E2_NS1_11comp_targetILNS1_3genE2ELNS1_11target_archE906ELNS1_3gpuE6ELNS1_3repE0EEENS1_30default_config_static_selectorELNS0_4arch9wavefront6targetE0EEEvSK_,comdat
	.globl	_ZN7rocprim17ROCPRIM_400000_NS6detail17trampoline_kernelINS0_14default_configENS1_36segmented_radix_sort_config_selectorIdlEEZNS1_25segmented_radix_sort_implIS3_Lb0EPKdPdPKlPlN2at6native12_GLOBAL__N_18offset_tEEE10hipError_tPvRmT1_PNSt15iterator_traitsISK_E10value_typeET2_T3_PNSL_ISQ_E10value_typeET4_jRbjT5_SW_jjP12ihipStream_tbEUlT_E2_NS1_11comp_targetILNS1_3genE2ELNS1_11target_archE906ELNS1_3gpuE6ELNS1_3repE0EEENS1_30default_config_static_selectorELNS0_4arch9wavefront6targetE0EEEvSK_ ; -- Begin function _ZN7rocprim17ROCPRIM_400000_NS6detail17trampoline_kernelINS0_14default_configENS1_36segmented_radix_sort_config_selectorIdlEEZNS1_25segmented_radix_sort_implIS3_Lb0EPKdPdPKlPlN2at6native12_GLOBAL__N_18offset_tEEE10hipError_tPvRmT1_PNSt15iterator_traitsISK_E10value_typeET2_T3_PNSL_ISQ_E10value_typeET4_jRbjT5_SW_jjP12ihipStream_tbEUlT_E2_NS1_11comp_targetILNS1_3genE2ELNS1_11target_archE906ELNS1_3gpuE6ELNS1_3repE0EEENS1_30default_config_static_selectorELNS0_4arch9wavefront6targetE0EEEvSK_
	.p2align	8
	.type	_ZN7rocprim17ROCPRIM_400000_NS6detail17trampoline_kernelINS0_14default_configENS1_36segmented_radix_sort_config_selectorIdlEEZNS1_25segmented_radix_sort_implIS3_Lb0EPKdPdPKlPlN2at6native12_GLOBAL__N_18offset_tEEE10hipError_tPvRmT1_PNSt15iterator_traitsISK_E10value_typeET2_T3_PNSL_ISQ_E10value_typeET4_jRbjT5_SW_jjP12ihipStream_tbEUlT_E2_NS1_11comp_targetILNS1_3genE2ELNS1_11target_archE906ELNS1_3gpuE6ELNS1_3repE0EEENS1_30default_config_static_selectorELNS0_4arch9wavefront6targetE0EEEvSK_,@function
_ZN7rocprim17ROCPRIM_400000_NS6detail17trampoline_kernelINS0_14default_configENS1_36segmented_radix_sort_config_selectorIdlEEZNS1_25segmented_radix_sort_implIS3_Lb0EPKdPdPKlPlN2at6native12_GLOBAL__N_18offset_tEEE10hipError_tPvRmT1_PNSt15iterator_traitsISK_E10value_typeET2_T3_PNSL_ISQ_E10value_typeET4_jRbjT5_SW_jjP12ihipStream_tbEUlT_E2_NS1_11comp_targetILNS1_3genE2ELNS1_11target_archE906ELNS1_3gpuE6ELNS1_3repE0EEENS1_30default_config_static_selectorELNS0_4arch9wavefront6targetE0EEEvSK_: ; @_ZN7rocprim17ROCPRIM_400000_NS6detail17trampoline_kernelINS0_14default_configENS1_36segmented_radix_sort_config_selectorIdlEEZNS1_25segmented_radix_sort_implIS3_Lb0EPKdPdPKlPlN2at6native12_GLOBAL__N_18offset_tEEE10hipError_tPvRmT1_PNSt15iterator_traitsISK_E10value_typeET2_T3_PNSL_ISQ_E10value_typeET4_jRbjT5_SW_jjP12ihipStream_tbEUlT_E2_NS1_11comp_targetILNS1_3genE2ELNS1_11target_archE906ELNS1_3gpuE6ELNS1_3repE0EEENS1_30default_config_static_selectorELNS0_4arch9wavefront6targetE0EEEvSK_
; %bb.0:
	.section	.rodata,"a",@progbits
	.p2align	6, 0x0
	.amdhsa_kernel _ZN7rocprim17ROCPRIM_400000_NS6detail17trampoline_kernelINS0_14default_configENS1_36segmented_radix_sort_config_selectorIdlEEZNS1_25segmented_radix_sort_implIS3_Lb0EPKdPdPKlPlN2at6native12_GLOBAL__N_18offset_tEEE10hipError_tPvRmT1_PNSt15iterator_traitsISK_E10value_typeET2_T3_PNSL_ISQ_E10value_typeET4_jRbjT5_SW_jjP12ihipStream_tbEUlT_E2_NS1_11comp_targetILNS1_3genE2ELNS1_11target_archE906ELNS1_3gpuE6ELNS1_3repE0EEENS1_30default_config_static_selectorELNS0_4arch9wavefront6targetE0EEEvSK_
		.amdhsa_group_segment_fixed_size 0
		.amdhsa_private_segment_fixed_size 0
		.amdhsa_kernarg_size 80
		.amdhsa_user_sgpr_count 2
		.amdhsa_user_sgpr_dispatch_ptr 0
		.amdhsa_user_sgpr_queue_ptr 0
		.amdhsa_user_sgpr_kernarg_segment_ptr 1
		.amdhsa_user_sgpr_dispatch_id 0
		.amdhsa_user_sgpr_kernarg_preload_length 0
		.amdhsa_user_sgpr_kernarg_preload_offset 0
		.amdhsa_user_sgpr_private_segment_size 0
		.amdhsa_wavefront_size32 1
		.amdhsa_uses_dynamic_stack 0
		.amdhsa_enable_private_segment 0
		.amdhsa_system_sgpr_workgroup_id_x 1
		.amdhsa_system_sgpr_workgroup_id_y 0
		.amdhsa_system_sgpr_workgroup_id_z 0
		.amdhsa_system_sgpr_workgroup_info 0
		.amdhsa_system_vgpr_workitem_id 0
		.amdhsa_next_free_vgpr 1
		.amdhsa_next_free_sgpr 1
		.amdhsa_named_barrier_count 0
		.amdhsa_reserve_vcc 0
		.amdhsa_float_round_mode_32 0
		.amdhsa_float_round_mode_16_64 0
		.amdhsa_float_denorm_mode_32 3
		.amdhsa_float_denorm_mode_16_64 3
		.amdhsa_fp16_overflow 0
		.amdhsa_memory_ordered 1
		.amdhsa_forward_progress 1
		.amdhsa_inst_pref_size 0
		.amdhsa_round_robin_scheduling 0
		.amdhsa_exception_fp_ieee_invalid_op 0
		.amdhsa_exception_fp_denorm_src 0
		.amdhsa_exception_fp_ieee_div_zero 0
		.amdhsa_exception_fp_ieee_overflow 0
		.amdhsa_exception_fp_ieee_underflow 0
		.amdhsa_exception_fp_ieee_inexact 0
		.amdhsa_exception_int_div_zero 0
	.end_amdhsa_kernel
	.section	.text._ZN7rocprim17ROCPRIM_400000_NS6detail17trampoline_kernelINS0_14default_configENS1_36segmented_radix_sort_config_selectorIdlEEZNS1_25segmented_radix_sort_implIS3_Lb0EPKdPdPKlPlN2at6native12_GLOBAL__N_18offset_tEEE10hipError_tPvRmT1_PNSt15iterator_traitsISK_E10value_typeET2_T3_PNSL_ISQ_E10value_typeET4_jRbjT5_SW_jjP12ihipStream_tbEUlT_E2_NS1_11comp_targetILNS1_3genE2ELNS1_11target_archE906ELNS1_3gpuE6ELNS1_3repE0EEENS1_30default_config_static_selectorELNS0_4arch9wavefront6targetE0EEEvSK_,"axG",@progbits,_ZN7rocprim17ROCPRIM_400000_NS6detail17trampoline_kernelINS0_14default_configENS1_36segmented_radix_sort_config_selectorIdlEEZNS1_25segmented_radix_sort_implIS3_Lb0EPKdPdPKlPlN2at6native12_GLOBAL__N_18offset_tEEE10hipError_tPvRmT1_PNSt15iterator_traitsISK_E10value_typeET2_T3_PNSL_ISQ_E10value_typeET4_jRbjT5_SW_jjP12ihipStream_tbEUlT_E2_NS1_11comp_targetILNS1_3genE2ELNS1_11target_archE906ELNS1_3gpuE6ELNS1_3repE0EEENS1_30default_config_static_selectorELNS0_4arch9wavefront6targetE0EEEvSK_,comdat
.Lfunc_end1249:
	.size	_ZN7rocprim17ROCPRIM_400000_NS6detail17trampoline_kernelINS0_14default_configENS1_36segmented_radix_sort_config_selectorIdlEEZNS1_25segmented_radix_sort_implIS3_Lb0EPKdPdPKlPlN2at6native12_GLOBAL__N_18offset_tEEE10hipError_tPvRmT1_PNSt15iterator_traitsISK_E10value_typeET2_T3_PNSL_ISQ_E10value_typeET4_jRbjT5_SW_jjP12ihipStream_tbEUlT_E2_NS1_11comp_targetILNS1_3genE2ELNS1_11target_archE906ELNS1_3gpuE6ELNS1_3repE0EEENS1_30default_config_static_selectorELNS0_4arch9wavefront6targetE0EEEvSK_, .Lfunc_end1249-_ZN7rocprim17ROCPRIM_400000_NS6detail17trampoline_kernelINS0_14default_configENS1_36segmented_radix_sort_config_selectorIdlEEZNS1_25segmented_radix_sort_implIS3_Lb0EPKdPdPKlPlN2at6native12_GLOBAL__N_18offset_tEEE10hipError_tPvRmT1_PNSt15iterator_traitsISK_E10value_typeET2_T3_PNSL_ISQ_E10value_typeET4_jRbjT5_SW_jjP12ihipStream_tbEUlT_E2_NS1_11comp_targetILNS1_3genE2ELNS1_11target_archE906ELNS1_3gpuE6ELNS1_3repE0EEENS1_30default_config_static_selectorELNS0_4arch9wavefront6targetE0EEEvSK_
                                        ; -- End function
	.set _ZN7rocprim17ROCPRIM_400000_NS6detail17trampoline_kernelINS0_14default_configENS1_36segmented_radix_sort_config_selectorIdlEEZNS1_25segmented_radix_sort_implIS3_Lb0EPKdPdPKlPlN2at6native12_GLOBAL__N_18offset_tEEE10hipError_tPvRmT1_PNSt15iterator_traitsISK_E10value_typeET2_T3_PNSL_ISQ_E10value_typeET4_jRbjT5_SW_jjP12ihipStream_tbEUlT_E2_NS1_11comp_targetILNS1_3genE2ELNS1_11target_archE906ELNS1_3gpuE6ELNS1_3repE0EEENS1_30default_config_static_selectorELNS0_4arch9wavefront6targetE0EEEvSK_.num_vgpr, 0
	.set _ZN7rocprim17ROCPRIM_400000_NS6detail17trampoline_kernelINS0_14default_configENS1_36segmented_radix_sort_config_selectorIdlEEZNS1_25segmented_radix_sort_implIS3_Lb0EPKdPdPKlPlN2at6native12_GLOBAL__N_18offset_tEEE10hipError_tPvRmT1_PNSt15iterator_traitsISK_E10value_typeET2_T3_PNSL_ISQ_E10value_typeET4_jRbjT5_SW_jjP12ihipStream_tbEUlT_E2_NS1_11comp_targetILNS1_3genE2ELNS1_11target_archE906ELNS1_3gpuE6ELNS1_3repE0EEENS1_30default_config_static_selectorELNS0_4arch9wavefront6targetE0EEEvSK_.num_agpr, 0
	.set _ZN7rocprim17ROCPRIM_400000_NS6detail17trampoline_kernelINS0_14default_configENS1_36segmented_radix_sort_config_selectorIdlEEZNS1_25segmented_radix_sort_implIS3_Lb0EPKdPdPKlPlN2at6native12_GLOBAL__N_18offset_tEEE10hipError_tPvRmT1_PNSt15iterator_traitsISK_E10value_typeET2_T3_PNSL_ISQ_E10value_typeET4_jRbjT5_SW_jjP12ihipStream_tbEUlT_E2_NS1_11comp_targetILNS1_3genE2ELNS1_11target_archE906ELNS1_3gpuE6ELNS1_3repE0EEENS1_30default_config_static_selectorELNS0_4arch9wavefront6targetE0EEEvSK_.numbered_sgpr, 0
	.set _ZN7rocprim17ROCPRIM_400000_NS6detail17trampoline_kernelINS0_14default_configENS1_36segmented_radix_sort_config_selectorIdlEEZNS1_25segmented_radix_sort_implIS3_Lb0EPKdPdPKlPlN2at6native12_GLOBAL__N_18offset_tEEE10hipError_tPvRmT1_PNSt15iterator_traitsISK_E10value_typeET2_T3_PNSL_ISQ_E10value_typeET4_jRbjT5_SW_jjP12ihipStream_tbEUlT_E2_NS1_11comp_targetILNS1_3genE2ELNS1_11target_archE906ELNS1_3gpuE6ELNS1_3repE0EEENS1_30default_config_static_selectorELNS0_4arch9wavefront6targetE0EEEvSK_.num_named_barrier, 0
	.set _ZN7rocprim17ROCPRIM_400000_NS6detail17trampoline_kernelINS0_14default_configENS1_36segmented_radix_sort_config_selectorIdlEEZNS1_25segmented_radix_sort_implIS3_Lb0EPKdPdPKlPlN2at6native12_GLOBAL__N_18offset_tEEE10hipError_tPvRmT1_PNSt15iterator_traitsISK_E10value_typeET2_T3_PNSL_ISQ_E10value_typeET4_jRbjT5_SW_jjP12ihipStream_tbEUlT_E2_NS1_11comp_targetILNS1_3genE2ELNS1_11target_archE906ELNS1_3gpuE6ELNS1_3repE0EEENS1_30default_config_static_selectorELNS0_4arch9wavefront6targetE0EEEvSK_.private_seg_size, 0
	.set _ZN7rocprim17ROCPRIM_400000_NS6detail17trampoline_kernelINS0_14default_configENS1_36segmented_radix_sort_config_selectorIdlEEZNS1_25segmented_radix_sort_implIS3_Lb0EPKdPdPKlPlN2at6native12_GLOBAL__N_18offset_tEEE10hipError_tPvRmT1_PNSt15iterator_traitsISK_E10value_typeET2_T3_PNSL_ISQ_E10value_typeET4_jRbjT5_SW_jjP12ihipStream_tbEUlT_E2_NS1_11comp_targetILNS1_3genE2ELNS1_11target_archE906ELNS1_3gpuE6ELNS1_3repE0EEENS1_30default_config_static_selectorELNS0_4arch9wavefront6targetE0EEEvSK_.uses_vcc, 0
	.set _ZN7rocprim17ROCPRIM_400000_NS6detail17trampoline_kernelINS0_14default_configENS1_36segmented_radix_sort_config_selectorIdlEEZNS1_25segmented_radix_sort_implIS3_Lb0EPKdPdPKlPlN2at6native12_GLOBAL__N_18offset_tEEE10hipError_tPvRmT1_PNSt15iterator_traitsISK_E10value_typeET2_T3_PNSL_ISQ_E10value_typeET4_jRbjT5_SW_jjP12ihipStream_tbEUlT_E2_NS1_11comp_targetILNS1_3genE2ELNS1_11target_archE906ELNS1_3gpuE6ELNS1_3repE0EEENS1_30default_config_static_selectorELNS0_4arch9wavefront6targetE0EEEvSK_.uses_flat_scratch, 0
	.set _ZN7rocprim17ROCPRIM_400000_NS6detail17trampoline_kernelINS0_14default_configENS1_36segmented_radix_sort_config_selectorIdlEEZNS1_25segmented_radix_sort_implIS3_Lb0EPKdPdPKlPlN2at6native12_GLOBAL__N_18offset_tEEE10hipError_tPvRmT1_PNSt15iterator_traitsISK_E10value_typeET2_T3_PNSL_ISQ_E10value_typeET4_jRbjT5_SW_jjP12ihipStream_tbEUlT_E2_NS1_11comp_targetILNS1_3genE2ELNS1_11target_archE906ELNS1_3gpuE6ELNS1_3repE0EEENS1_30default_config_static_selectorELNS0_4arch9wavefront6targetE0EEEvSK_.has_dyn_sized_stack, 0
	.set _ZN7rocprim17ROCPRIM_400000_NS6detail17trampoline_kernelINS0_14default_configENS1_36segmented_radix_sort_config_selectorIdlEEZNS1_25segmented_radix_sort_implIS3_Lb0EPKdPdPKlPlN2at6native12_GLOBAL__N_18offset_tEEE10hipError_tPvRmT1_PNSt15iterator_traitsISK_E10value_typeET2_T3_PNSL_ISQ_E10value_typeET4_jRbjT5_SW_jjP12ihipStream_tbEUlT_E2_NS1_11comp_targetILNS1_3genE2ELNS1_11target_archE906ELNS1_3gpuE6ELNS1_3repE0EEENS1_30default_config_static_selectorELNS0_4arch9wavefront6targetE0EEEvSK_.has_recursion, 0
	.set _ZN7rocprim17ROCPRIM_400000_NS6detail17trampoline_kernelINS0_14default_configENS1_36segmented_radix_sort_config_selectorIdlEEZNS1_25segmented_radix_sort_implIS3_Lb0EPKdPdPKlPlN2at6native12_GLOBAL__N_18offset_tEEE10hipError_tPvRmT1_PNSt15iterator_traitsISK_E10value_typeET2_T3_PNSL_ISQ_E10value_typeET4_jRbjT5_SW_jjP12ihipStream_tbEUlT_E2_NS1_11comp_targetILNS1_3genE2ELNS1_11target_archE906ELNS1_3gpuE6ELNS1_3repE0EEENS1_30default_config_static_selectorELNS0_4arch9wavefront6targetE0EEEvSK_.has_indirect_call, 0
	.section	.AMDGPU.csdata,"",@progbits
; Kernel info:
; codeLenInByte = 0
; TotalNumSgprs: 0
; NumVgprs: 0
; ScratchSize: 0
; MemoryBound: 0
; FloatMode: 240
; IeeeMode: 1
; LDSByteSize: 0 bytes/workgroup (compile time only)
; SGPRBlocks: 0
; VGPRBlocks: 0
; NumSGPRsForWavesPerEU: 1
; NumVGPRsForWavesPerEU: 1
; NamedBarCnt: 0
; Occupancy: 16
; WaveLimiterHint : 0
; COMPUTE_PGM_RSRC2:SCRATCH_EN: 0
; COMPUTE_PGM_RSRC2:USER_SGPR: 2
; COMPUTE_PGM_RSRC2:TRAP_HANDLER: 0
; COMPUTE_PGM_RSRC2:TGID_X_EN: 1
; COMPUTE_PGM_RSRC2:TGID_Y_EN: 0
; COMPUTE_PGM_RSRC2:TGID_Z_EN: 0
; COMPUTE_PGM_RSRC2:TIDIG_COMP_CNT: 0
	.section	.text._ZN7rocprim17ROCPRIM_400000_NS6detail17trampoline_kernelINS0_14default_configENS1_36segmented_radix_sort_config_selectorIdlEEZNS1_25segmented_radix_sort_implIS3_Lb0EPKdPdPKlPlN2at6native12_GLOBAL__N_18offset_tEEE10hipError_tPvRmT1_PNSt15iterator_traitsISK_E10value_typeET2_T3_PNSL_ISQ_E10value_typeET4_jRbjT5_SW_jjP12ihipStream_tbEUlT_E2_NS1_11comp_targetILNS1_3genE10ELNS1_11target_archE1201ELNS1_3gpuE5ELNS1_3repE0EEENS1_30default_config_static_selectorELNS0_4arch9wavefront6targetE0EEEvSK_,"axG",@progbits,_ZN7rocprim17ROCPRIM_400000_NS6detail17trampoline_kernelINS0_14default_configENS1_36segmented_radix_sort_config_selectorIdlEEZNS1_25segmented_radix_sort_implIS3_Lb0EPKdPdPKlPlN2at6native12_GLOBAL__N_18offset_tEEE10hipError_tPvRmT1_PNSt15iterator_traitsISK_E10value_typeET2_T3_PNSL_ISQ_E10value_typeET4_jRbjT5_SW_jjP12ihipStream_tbEUlT_E2_NS1_11comp_targetILNS1_3genE10ELNS1_11target_archE1201ELNS1_3gpuE5ELNS1_3repE0EEENS1_30default_config_static_selectorELNS0_4arch9wavefront6targetE0EEEvSK_,comdat
	.globl	_ZN7rocprim17ROCPRIM_400000_NS6detail17trampoline_kernelINS0_14default_configENS1_36segmented_radix_sort_config_selectorIdlEEZNS1_25segmented_radix_sort_implIS3_Lb0EPKdPdPKlPlN2at6native12_GLOBAL__N_18offset_tEEE10hipError_tPvRmT1_PNSt15iterator_traitsISK_E10value_typeET2_T3_PNSL_ISQ_E10value_typeET4_jRbjT5_SW_jjP12ihipStream_tbEUlT_E2_NS1_11comp_targetILNS1_3genE10ELNS1_11target_archE1201ELNS1_3gpuE5ELNS1_3repE0EEENS1_30default_config_static_selectorELNS0_4arch9wavefront6targetE0EEEvSK_ ; -- Begin function _ZN7rocprim17ROCPRIM_400000_NS6detail17trampoline_kernelINS0_14default_configENS1_36segmented_radix_sort_config_selectorIdlEEZNS1_25segmented_radix_sort_implIS3_Lb0EPKdPdPKlPlN2at6native12_GLOBAL__N_18offset_tEEE10hipError_tPvRmT1_PNSt15iterator_traitsISK_E10value_typeET2_T3_PNSL_ISQ_E10value_typeET4_jRbjT5_SW_jjP12ihipStream_tbEUlT_E2_NS1_11comp_targetILNS1_3genE10ELNS1_11target_archE1201ELNS1_3gpuE5ELNS1_3repE0EEENS1_30default_config_static_selectorELNS0_4arch9wavefront6targetE0EEEvSK_
	.p2align	8
	.type	_ZN7rocprim17ROCPRIM_400000_NS6detail17trampoline_kernelINS0_14default_configENS1_36segmented_radix_sort_config_selectorIdlEEZNS1_25segmented_radix_sort_implIS3_Lb0EPKdPdPKlPlN2at6native12_GLOBAL__N_18offset_tEEE10hipError_tPvRmT1_PNSt15iterator_traitsISK_E10value_typeET2_T3_PNSL_ISQ_E10value_typeET4_jRbjT5_SW_jjP12ihipStream_tbEUlT_E2_NS1_11comp_targetILNS1_3genE10ELNS1_11target_archE1201ELNS1_3gpuE5ELNS1_3repE0EEENS1_30default_config_static_selectorELNS0_4arch9wavefront6targetE0EEEvSK_,@function
_ZN7rocprim17ROCPRIM_400000_NS6detail17trampoline_kernelINS0_14default_configENS1_36segmented_radix_sort_config_selectorIdlEEZNS1_25segmented_radix_sort_implIS3_Lb0EPKdPdPKlPlN2at6native12_GLOBAL__N_18offset_tEEE10hipError_tPvRmT1_PNSt15iterator_traitsISK_E10value_typeET2_T3_PNSL_ISQ_E10value_typeET4_jRbjT5_SW_jjP12ihipStream_tbEUlT_E2_NS1_11comp_targetILNS1_3genE10ELNS1_11target_archE1201ELNS1_3gpuE5ELNS1_3repE0EEENS1_30default_config_static_selectorELNS0_4arch9wavefront6targetE0EEEvSK_: ; @_ZN7rocprim17ROCPRIM_400000_NS6detail17trampoline_kernelINS0_14default_configENS1_36segmented_radix_sort_config_selectorIdlEEZNS1_25segmented_radix_sort_implIS3_Lb0EPKdPdPKlPlN2at6native12_GLOBAL__N_18offset_tEEE10hipError_tPvRmT1_PNSt15iterator_traitsISK_E10value_typeET2_T3_PNSL_ISQ_E10value_typeET4_jRbjT5_SW_jjP12ihipStream_tbEUlT_E2_NS1_11comp_targetILNS1_3genE10ELNS1_11target_archE1201ELNS1_3gpuE5ELNS1_3repE0EEENS1_30default_config_static_selectorELNS0_4arch9wavefront6targetE0EEEvSK_
; %bb.0:
	.section	.rodata,"a",@progbits
	.p2align	6, 0x0
	.amdhsa_kernel _ZN7rocprim17ROCPRIM_400000_NS6detail17trampoline_kernelINS0_14default_configENS1_36segmented_radix_sort_config_selectorIdlEEZNS1_25segmented_radix_sort_implIS3_Lb0EPKdPdPKlPlN2at6native12_GLOBAL__N_18offset_tEEE10hipError_tPvRmT1_PNSt15iterator_traitsISK_E10value_typeET2_T3_PNSL_ISQ_E10value_typeET4_jRbjT5_SW_jjP12ihipStream_tbEUlT_E2_NS1_11comp_targetILNS1_3genE10ELNS1_11target_archE1201ELNS1_3gpuE5ELNS1_3repE0EEENS1_30default_config_static_selectorELNS0_4arch9wavefront6targetE0EEEvSK_
		.amdhsa_group_segment_fixed_size 0
		.amdhsa_private_segment_fixed_size 0
		.amdhsa_kernarg_size 80
		.amdhsa_user_sgpr_count 2
		.amdhsa_user_sgpr_dispatch_ptr 0
		.amdhsa_user_sgpr_queue_ptr 0
		.amdhsa_user_sgpr_kernarg_segment_ptr 1
		.amdhsa_user_sgpr_dispatch_id 0
		.amdhsa_user_sgpr_kernarg_preload_length 0
		.amdhsa_user_sgpr_kernarg_preload_offset 0
		.amdhsa_user_sgpr_private_segment_size 0
		.amdhsa_wavefront_size32 1
		.amdhsa_uses_dynamic_stack 0
		.amdhsa_enable_private_segment 0
		.amdhsa_system_sgpr_workgroup_id_x 1
		.amdhsa_system_sgpr_workgroup_id_y 0
		.amdhsa_system_sgpr_workgroup_id_z 0
		.amdhsa_system_sgpr_workgroup_info 0
		.amdhsa_system_vgpr_workitem_id 0
		.amdhsa_next_free_vgpr 1
		.amdhsa_next_free_sgpr 1
		.amdhsa_named_barrier_count 0
		.amdhsa_reserve_vcc 0
		.amdhsa_float_round_mode_32 0
		.amdhsa_float_round_mode_16_64 0
		.amdhsa_float_denorm_mode_32 3
		.amdhsa_float_denorm_mode_16_64 3
		.amdhsa_fp16_overflow 0
		.amdhsa_memory_ordered 1
		.amdhsa_forward_progress 1
		.amdhsa_inst_pref_size 0
		.amdhsa_round_robin_scheduling 0
		.amdhsa_exception_fp_ieee_invalid_op 0
		.amdhsa_exception_fp_denorm_src 0
		.amdhsa_exception_fp_ieee_div_zero 0
		.amdhsa_exception_fp_ieee_overflow 0
		.amdhsa_exception_fp_ieee_underflow 0
		.amdhsa_exception_fp_ieee_inexact 0
		.amdhsa_exception_int_div_zero 0
	.end_amdhsa_kernel
	.section	.text._ZN7rocprim17ROCPRIM_400000_NS6detail17trampoline_kernelINS0_14default_configENS1_36segmented_radix_sort_config_selectorIdlEEZNS1_25segmented_radix_sort_implIS3_Lb0EPKdPdPKlPlN2at6native12_GLOBAL__N_18offset_tEEE10hipError_tPvRmT1_PNSt15iterator_traitsISK_E10value_typeET2_T3_PNSL_ISQ_E10value_typeET4_jRbjT5_SW_jjP12ihipStream_tbEUlT_E2_NS1_11comp_targetILNS1_3genE10ELNS1_11target_archE1201ELNS1_3gpuE5ELNS1_3repE0EEENS1_30default_config_static_selectorELNS0_4arch9wavefront6targetE0EEEvSK_,"axG",@progbits,_ZN7rocprim17ROCPRIM_400000_NS6detail17trampoline_kernelINS0_14default_configENS1_36segmented_radix_sort_config_selectorIdlEEZNS1_25segmented_radix_sort_implIS3_Lb0EPKdPdPKlPlN2at6native12_GLOBAL__N_18offset_tEEE10hipError_tPvRmT1_PNSt15iterator_traitsISK_E10value_typeET2_T3_PNSL_ISQ_E10value_typeET4_jRbjT5_SW_jjP12ihipStream_tbEUlT_E2_NS1_11comp_targetILNS1_3genE10ELNS1_11target_archE1201ELNS1_3gpuE5ELNS1_3repE0EEENS1_30default_config_static_selectorELNS0_4arch9wavefront6targetE0EEEvSK_,comdat
.Lfunc_end1250:
	.size	_ZN7rocprim17ROCPRIM_400000_NS6detail17trampoline_kernelINS0_14default_configENS1_36segmented_radix_sort_config_selectorIdlEEZNS1_25segmented_radix_sort_implIS3_Lb0EPKdPdPKlPlN2at6native12_GLOBAL__N_18offset_tEEE10hipError_tPvRmT1_PNSt15iterator_traitsISK_E10value_typeET2_T3_PNSL_ISQ_E10value_typeET4_jRbjT5_SW_jjP12ihipStream_tbEUlT_E2_NS1_11comp_targetILNS1_3genE10ELNS1_11target_archE1201ELNS1_3gpuE5ELNS1_3repE0EEENS1_30default_config_static_selectorELNS0_4arch9wavefront6targetE0EEEvSK_, .Lfunc_end1250-_ZN7rocprim17ROCPRIM_400000_NS6detail17trampoline_kernelINS0_14default_configENS1_36segmented_radix_sort_config_selectorIdlEEZNS1_25segmented_radix_sort_implIS3_Lb0EPKdPdPKlPlN2at6native12_GLOBAL__N_18offset_tEEE10hipError_tPvRmT1_PNSt15iterator_traitsISK_E10value_typeET2_T3_PNSL_ISQ_E10value_typeET4_jRbjT5_SW_jjP12ihipStream_tbEUlT_E2_NS1_11comp_targetILNS1_3genE10ELNS1_11target_archE1201ELNS1_3gpuE5ELNS1_3repE0EEENS1_30default_config_static_selectorELNS0_4arch9wavefront6targetE0EEEvSK_
                                        ; -- End function
	.set _ZN7rocprim17ROCPRIM_400000_NS6detail17trampoline_kernelINS0_14default_configENS1_36segmented_radix_sort_config_selectorIdlEEZNS1_25segmented_radix_sort_implIS3_Lb0EPKdPdPKlPlN2at6native12_GLOBAL__N_18offset_tEEE10hipError_tPvRmT1_PNSt15iterator_traitsISK_E10value_typeET2_T3_PNSL_ISQ_E10value_typeET4_jRbjT5_SW_jjP12ihipStream_tbEUlT_E2_NS1_11comp_targetILNS1_3genE10ELNS1_11target_archE1201ELNS1_3gpuE5ELNS1_3repE0EEENS1_30default_config_static_selectorELNS0_4arch9wavefront6targetE0EEEvSK_.num_vgpr, 0
	.set _ZN7rocprim17ROCPRIM_400000_NS6detail17trampoline_kernelINS0_14default_configENS1_36segmented_radix_sort_config_selectorIdlEEZNS1_25segmented_radix_sort_implIS3_Lb0EPKdPdPKlPlN2at6native12_GLOBAL__N_18offset_tEEE10hipError_tPvRmT1_PNSt15iterator_traitsISK_E10value_typeET2_T3_PNSL_ISQ_E10value_typeET4_jRbjT5_SW_jjP12ihipStream_tbEUlT_E2_NS1_11comp_targetILNS1_3genE10ELNS1_11target_archE1201ELNS1_3gpuE5ELNS1_3repE0EEENS1_30default_config_static_selectorELNS0_4arch9wavefront6targetE0EEEvSK_.num_agpr, 0
	.set _ZN7rocprim17ROCPRIM_400000_NS6detail17trampoline_kernelINS0_14default_configENS1_36segmented_radix_sort_config_selectorIdlEEZNS1_25segmented_radix_sort_implIS3_Lb0EPKdPdPKlPlN2at6native12_GLOBAL__N_18offset_tEEE10hipError_tPvRmT1_PNSt15iterator_traitsISK_E10value_typeET2_T3_PNSL_ISQ_E10value_typeET4_jRbjT5_SW_jjP12ihipStream_tbEUlT_E2_NS1_11comp_targetILNS1_3genE10ELNS1_11target_archE1201ELNS1_3gpuE5ELNS1_3repE0EEENS1_30default_config_static_selectorELNS0_4arch9wavefront6targetE0EEEvSK_.numbered_sgpr, 0
	.set _ZN7rocprim17ROCPRIM_400000_NS6detail17trampoline_kernelINS0_14default_configENS1_36segmented_radix_sort_config_selectorIdlEEZNS1_25segmented_radix_sort_implIS3_Lb0EPKdPdPKlPlN2at6native12_GLOBAL__N_18offset_tEEE10hipError_tPvRmT1_PNSt15iterator_traitsISK_E10value_typeET2_T3_PNSL_ISQ_E10value_typeET4_jRbjT5_SW_jjP12ihipStream_tbEUlT_E2_NS1_11comp_targetILNS1_3genE10ELNS1_11target_archE1201ELNS1_3gpuE5ELNS1_3repE0EEENS1_30default_config_static_selectorELNS0_4arch9wavefront6targetE0EEEvSK_.num_named_barrier, 0
	.set _ZN7rocprim17ROCPRIM_400000_NS6detail17trampoline_kernelINS0_14default_configENS1_36segmented_radix_sort_config_selectorIdlEEZNS1_25segmented_radix_sort_implIS3_Lb0EPKdPdPKlPlN2at6native12_GLOBAL__N_18offset_tEEE10hipError_tPvRmT1_PNSt15iterator_traitsISK_E10value_typeET2_T3_PNSL_ISQ_E10value_typeET4_jRbjT5_SW_jjP12ihipStream_tbEUlT_E2_NS1_11comp_targetILNS1_3genE10ELNS1_11target_archE1201ELNS1_3gpuE5ELNS1_3repE0EEENS1_30default_config_static_selectorELNS0_4arch9wavefront6targetE0EEEvSK_.private_seg_size, 0
	.set _ZN7rocprim17ROCPRIM_400000_NS6detail17trampoline_kernelINS0_14default_configENS1_36segmented_radix_sort_config_selectorIdlEEZNS1_25segmented_radix_sort_implIS3_Lb0EPKdPdPKlPlN2at6native12_GLOBAL__N_18offset_tEEE10hipError_tPvRmT1_PNSt15iterator_traitsISK_E10value_typeET2_T3_PNSL_ISQ_E10value_typeET4_jRbjT5_SW_jjP12ihipStream_tbEUlT_E2_NS1_11comp_targetILNS1_3genE10ELNS1_11target_archE1201ELNS1_3gpuE5ELNS1_3repE0EEENS1_30default_config_static_selectorELNS0_4arch9wavefront6targetE0EEEvSK_.uses_vcc, 0
	.set _ZN7rocprim17ROCPRIM_400000_NS6detail17trampoline_kernelINS0_14default_configENS1_36segmented_radix_sort_config_selectorIdlEEZNS1_25segmented_radix_sort_implIS3_Lb0EPKdPdPKlPlN2at6native12_GLOBAL__N_18offset_tEEE10hipError_tPvRmT1_PNSt15iterator_traitsISK_E10value_typeET2_T3_PNSL_ISQ_E10value_typeET4_jRbjT5_SW_jjP12ihipStream_tbEUlT_E2_NS1_11comp_targetILNS1_3genE10ELNS1_11target_archE1201ELNS1_3gpuE5ELNS1_3repE0EEENS1_30default_config_static_selectorELNS0_4arch9wavefront6targetE0EEEvSK_.uses_flat_scratch, 0
	.set _ZN7rocprim17ROCPRIM_400000_NS6detail17trampoline_kernelINS0_14default_configENS1_36segmented_radix_sort_config_selectorIdlEEZNS1_25segmented_radix_sort_implIS3_Lb0EPKdPdPKlPlN2at6native12_GLOBAL__N_18offset_tEEE10hipError_tPvRmT1_PNSt15iterator_traitsISK_E10value_typeET2_T3_PNSL_ISQ_E10value_typeET4_jRbjT5_SW_jjP12ihipStream_tbEUlT_E2_NS1_11comp_targetILNS1_3genE10ELNS1_11target_archE1201ELNS1_3gpuE5ELNS1_3repE0EEENS1_30default_config_static_selectorELNS0_4arch9wavefront6targetE0EEEvSK_.has_dyn_sized_stack, 0
	.set _ZN7rocprim17ROCPRIM_400000_NS6detail17trampoline_kernelINS0_14default_configENS1_36segmented_radix_sort_config_selectorIdlEEZNS1_25segmented_radix_sort_implIS3_Lb0EPKdPdPKlPlN2at6native12_GLOBAL__N_18offset_tEEE10hipError_tPvRmT1_PNSt15iterator_traitsISK_E10value_typeET2_T3_PNSL_ISQ_E10value_typeET4_jRbjT5_SW_jjP12ihipStream_tbEUlT_E2_NS1_11comp_targetILNS1_3genE10ELNS1_11target_archE1201ELNS1_3gpuE5ELNS1_3repE0EEENS1_30default_config_static_selectorELNS0_4arch9wavefront6targetE0EEEvSK_.has_recursion, 0
	.set _ZN7rocprim17ROCPRIM_400000_NS6detail17trampoline_kernelINS0_14default_configENS1_36segmented_radix_sort_config_selectorIdlEEZNS1_25segmented_radix_sort_implIS3_Lb0EPKdPdPKlPlN2at6native12_GLOBAL__N_18offset_tEEE10hipError_tPvRmT1_PNSt15iterator_traitsISK_E10value_typeET2_T3_PNSL_ISQ_E10value_typeET4_jRbjT5_SW_jjP12ihipStream_tbEUlT_E2_NS1_11comp_targetILNS1_3genE10ELNS1_11target_archE1201ELNS1_3gpuE5ELNS1_3repE0EEENS1_30default_config_static_selectorELNS0_4arch9wavefront6targetE0EEEvSK_.has_indirect_call, 0
	.section	.AMDGPU.csdata,"",@progbits
; Kernel info:
; codeLenInByte = 0
; TotalNumSgprs: 0
; NumVgprs: 0
; ScratchSize: 0
; MemoryBound: 0
; FloatMode: 240
; IeeeMode: 1
; LDSByteSize: 0 bytes/workgroup (compile time only)
; SGPRBlocks: 0
; VGPRBlocks: 0
; NumSGPRsForWavesPerEU: 1
; NumVGPRsForWavesPerEU: 1
; NamedBarCnt: 0
; Occupancy: 16
; WaveLimiterHint : 0
; COMPUTE_PGM_RSRC2:SCRATCH_EN: 0
; COMPUTE_PGM_RSRC2:USER_SGPR: 2
; COMPUTE_PGM_RSRC2:TRAP_HANDLER: 0
; COMPUTE_PGM_RSRC2:TGID_X_EN: 1
; COMPUTE_PGM_RSRC2:TGID_Y_EN: 0
; COMPUTE_PGM_RSRC2:TGID_Z_EN: 0
; COMPUTE_PGM_RSRC2:TIDIG_COMP_CNT: 0
	.section	.text._ZN7rocprim17ROCPRIM_400000_NS6detail17trampoline_kernelINS0_14default_configENS1_36segmented_radix_sort_config_selectorIdlEEZNS1_25segmented_radix_sort_implIS3_Lb0EPKdPdPKlPlN2at6native12_GLOBAL__N_18offset_tEEE10hipError_tPvRmT1_PNSt15iterator_traitsISK_E10value_typeET2_T3_PNSL_ISQ_E10value_typeET4_jRbjT5_SW_jjP12ihipStream_tbEUlT_E2_NS1_11comp_targetILNS1_3genE10ELNS1_11target_archE1200ELNS1_3gpuE4ELNS1_3repE0EEENS1_30default_config_static_selectorELNS0_4arch9wavefront6targetE0EEEvSK_,"axG",@progbits,_ZN7rocprim17ROCPRIM_400000_NS6detail17trampoline_kernelINS0_14default_configENS1_36segmented_radix_sort_config_selectorIdlEEZNS1_25segmented_radix_sort_implIS3_Lb0EPKdPdPKlPlN2at6native12_GLOBAL__N_18offset_tEEE10hipError_tPvRmT1_PNSt15iterator_traitsISK_E10value_typeET2_T3_PNSL_ISQ_E10value_typeET4_jRbjT5_SW_jjP12ihipStream_tbEUlT_E2_NS1_11comp_targetILNS1_3genE10ELNS1_11target_archE1200ELNS1_3gpuE4ELNS1_3repE0EEENS1_30default_config_static_selectorELNS0_4arch9wavefront6targetE0EEEvSK_,comdat
	.globl	_ZN7rocprim17ROCPRIM_400000_NS6detail17trampoline_kernelINS0_14default_configENS1_36segmented_radix_sort_config_selectorIdlEEZNS1_25segmented_radix_sort_implIS3_Lb0EPKdPdPKlPlN2at6native12_GLOBAL__N_18offset_tEEE10hipError_tPvRmT1_PNSt15iterator_traitsISK_E10value_typeET2_T3_PNSL_ISQ_E10value_typeET4_jRbjT5_SW_jjP12ihipStream_tbEUlT_E2_NS1_11comp_targetILNS1_3genE10ELNS1_11target_archE1200ELNS1_3gpuE4ELNS1_3repE0EEENS1_30default_config_static_selectorELNS0_4arch9wavefront6targetE0EEEvSK_ ; -- Begin function _ZN7rocprim17ROCPRIM_400000_NS6detail17trampoline_kernelINS0_14default_configENS1_36segmented_radix_sort_config_selectorIdlEEZNS1_25segmented_radix_sort_implIS3_Lb0EPKdPdPKlPlN2at6native12_GLOBAL__N_18offset_tEEE10hipError_tPvRmT1_PNSt15iterator_traitsISK_E10value_typeET2_T3_PNSL_ISQ_E10value_typeET4_jRbjT5_SW_jjP12ihipStream_tbEUlT_E2_NS1_11comp_targetILNS1_3genE10ELNS1_11target_archE1200ELNS1_3gpuE4ELNS1_3repE0EEENS1_30default_config_static_selectorELNS0_4arch9wavefront6targetE0EEEvSK_
	.p2align	8
	.type	_ZN7rocprim17ROCPRIM_400000_NS6detail17trampoline_kernelINS0_14default_configENS1_36segmented_radix_sort_config_selectorIdlEEZNS1_25segmented_radix_sort_implIS3_Lb0EPKdPdPKlPlN2at6native12_GLOBAL__N_18offset_tEEE10hipError_tPvRmT1_PNSt15iterator_traitsISK_E10value_typeET2_T3_PNSL_ISQ_E10value_typeET4_jRbjT5_SW_jjP12ihipStream_tbEUlT_E2_NS1_11comp_targetILNS1_3genE10ELNS1_11target_archE1200ELNS1_3gpuE4ELNS1_3repE0EEENS1_30default_config_static_selectorELNS0_4arch9wavefront6targetE0EEEvSK_,@function
_ZN7rocprim17ROCPRIM_400000_NS6detail17trampoline_kernelINS0_14default_configENS1_36segmented_radix_sort_config_selectorIdlEEZNS1_25segmented_radix_sort_implIS3_Lb0EPKdPdPKlPlN2at6native12_GLOBAL__N_18offset_tEEE10hipError_tPvRmT1_PNSt15iterator_traitsISK_E10value_typeET2_T3_PNSL_ISQ_E10value_typeET4_jRbjT5_SW_jjP12ihipStream_tbEUlT_E2_NS1_11comp_targetILNS1_3genE10ELNS1_11target_archE1200ELNS1_3gpuE4ELNS1_3repE0EEENS1_30default_config_static_selectorELNS0_4arch9wavefront6targetE0EEEvSK_: ; @_ZN7rocprim17ROCPRIM_400000_NS6detail17trampoline_kernelINS0_14default_configENS1_36segmented_radix_sort_config_selectorIdlEEZNS1_25segmented_radix_sort_implIS3_Lb0EPKdPdPKlPlN2at6native12_GLOBAL__N_18offset_tEEE10hipError_tPvRmT1_PNSt15iterator_traitsISK_E10value_typeET2_T3_PNSL_ISQ_E10value_typeET4_jRbjT5_SW_jjP12ihipStream_tbEUlT_E2_NS1_11comp_targetILNS1_3genE10ELNS1_11target_archE1200ELNS1_3gpuE4ELNS1_3repE0EEENS1_30default_config_static_selectorELNS0_4arch9wavefront6targetE0EEEvSK_
; %bb.0:
	.section	.rodata,"a",@progbits
	.p2align	6, 0x0
	.amdhsa_kernel _ZN7rocprim17ROCPRIM_400000_NS6detail17trampoline_kernelINS0_14default_configENS1_36segmented_radix_sort_config_selectorIdlEEZNS1_25segmented_radix_sort_implIS3_Lb0EPKdPdPKlPlN2at6native12_GLOBAL__N_18offset_tEEE10hipError_tPvRmT1_PNSt15iterator_traitsISK_E10value_typeET2_T3_PNSL_ISQ_E10value_typeET4_jRbjT5_SW_jjP12ihipStream_tbEUlT_E2_NS1_11comp_targetILNS1_3genE10ELNS1_11target_archE1200ELNS1_3gpuE4ELNS1_3repE0EEENS1_30default_config_static_selectorELNS0_4arch9wavefront6targetE0EEEvSK_
		.amdhsa_group_segment_fixed_size 0
		.amdhsa_private_segment_fixed_size 0
		.amdhsa_kernarg_size 80
		.amdhsa_user_sgpr_count 2
		.amdhsa_user_sgpr_dispatch_ptr 0
		.amdhsa_user_sgpr_queue_ptr 0
		.amdhsa_user_sgpr_kernarg_segment_ptr 1
		.amdhsa_user_sgpr_dispatch_id 0
		.amdhsa_user_sgpr_kernarg_preload_length 0
		.amdhsa_user_sgpr_kernarg_preload_offset 0
		.amdhsa_user_sgpr_private_segment_size 0
		.amdhsa_wavefront_size32 1
		.amdhsa_uses_dynamic_stack 0
		.amdhsa_enable_private_segment 0
		.amdhsa_system_sgpr_workgroup_id_x 1
		.amdhsa_system_sgpr_workgroup_id_y 0
		.amdhsa_system_sgpr_workgroup_id_z 0
		.amdhsa_system_sgpr_workgroup_info 0
		.amdhsa_system_vgpr_workitem_id 0
		.amdhsa_next_free_vgpr 1
		.amdhsa_next_free_sgpr 1
		.amdhsa_named_barrier_count 0
		.amdhsa_reserve_vcc 0
		.amdhsa_float_round_mode_32 0
		.amdhsa_float_round_mode_16_64 0
		.amdhsa_float_denorm_mode_32 3
		.amdhsa_float_denorm_mode_16_64 3
		.amdhsa_fp16_overflow 0
		.amdhsa_memory_ordered 1
		.amdhsa_forward_progress 1
		.amdhsa_inst_pref_size 0
		.amdhsa_round_robin_scheduling 0
		.amdhsa_exception_fp_ieee_invalid_op 0
		.amdhsa_exception_fp_denorm_src 0
		.amdhsa_exception_fp_ieee_div_zero 0
		.amdhsa_exception_fp_ieee_overflow 0
		.amdhsa_exception_fp_ieee_underflow 0
		.amdhsa_exception_fp_ieee_inexact 0
		.amdhsa_exception_int_div_zero 0
	.end_amdhsa_kernel
	.section	.text._ZN7rocprim17ROCPRIM_400000_NS6detail17trampoline_kernelINS0_14default_configENS1_36segmented_radix_sort_config_selectorIdlEEZNS1_25segmented_radix_sort_implIS3_Lb0EPKdPdPKlPlN2at6native12_GLOBAL__N_18offset_tEEE10hipError_tPvRmT1_PNSt15iterator_traitsISK_E10value_typeET2_T3_PNSL_ISQ_E10value_typeET4_jRbjT5_SW_jjP12ihipStream_tbEUlT_E2_NS1_11comp_targetILNS1_3genE10ELNS1_11target_archE1200ELNS1_3gpuE4ELNS1_3repE0EEENS1_30default_config_static_selectorELNS0_4arch9wavefront6targetE0EEEvSK_,"axG",@progbits,_ZN7rocprim17ROCPRIM_400000_NS6detail17trampoline_kernelINS0_14default_configENS1_36segmented_radix_sort_config_selectorIdlEEZNS1_25segmented_radix_sort_implIS3_Lb0EPKdPdPKlPlN2at6native12_GLOBAL__N_18offset_tEEE10hipError_tPvRmT1_PNSt15iterator_traitsISK_E10value_typeET2_T3_PNSL_ISQ_E10value_typeET4_jRbjT5_SW_jjP12ihipStream_tbEUlT_E2_NS1_11comp_targetILNS1_3genE10ELNS1_11target_archE1200ELNS1_3gpuE4ELNS1_3repE0EEENS1_30default_config_static_selectorELNS0_4arch9wavefront6targetE0EEEvSK_,comdat
.Lfunc_end1251:
	.size	_ZN7rocprim17ROCPRIM_400000_NS6detail17trampoline_kernelINS0_14default_configENS1_36segmented_radix_sort_config_selectorIdlEEZNS1_25segmented_radix_sort_implIS3_Lb0EPKdPdPKlPlN2at6native12_GLOBAL__N_18offset_tEEE10hipError_tPvRmT1_PNSt15iterator_traitsISK_E10value_typeET2_T3_PNSL_ISQ_E10value_typeET4_jRbjT5_SW_jjP12ihipStream_tbEUlT_E2_NS1_11comp_targetILNS1_3genE10ELNS1_11target_archE1200ELNS1_3gpuE4ELNS1_3repE0EEENS1_30default_config_static_selectorELNS0_4arch9wavefront6targetE0EEEvSK_, .Lfunc_end1251-_ZN7rocprim17ROCPRIM_400000_NS6detail17trampoline_kernelINS0_14default_configENS1_36segmented_radix_sort_config_selectorIdlEEZNS1_25segmented_radix_sort_implIS3_Lb0EPKdPdPKlPlN2at6native12_GLOBAL__N_18offset_tEEE10hipError_tPvRmT1_PNSt15iterator_traitsISK_E10value_typeET2_T3_PNSL_ISQ_E10value_typeET4_jRbjT5_SW_jjP12ihipStream_tbEUlT_E2_NS1_11comp_targetILNS1_3genE10ELNS1_11target_archE1200ELNS1_3gpuE4ELNS1_3repE0EEENS1_30default_config_static_selectorELNS0_4arch9wavefront6targetE0EEEvSK_
                                        ; -- End function
	.set _ZN7rocprim17ROCPRIM_400000_NS6detail17trampoline_kernelINS0_14default_configENS1_36segmented_radix_sort_config_selectorIdlEEZNS1_25segmented_radix_sort_implIS3_Lb0EPKdPdPKlPlN2at6native12_GLOBAL__N_18offset_tEEE10hipError_tPvRmT1_PNSt15iterator_traitsISK_E10value_typeET2_T3_PNSL_ISQ_E10value_typeET4_jRbjT5_SW_jjP12ihipStream_tbEUlT_E2_NS1_11comp_targetILNS1_3genE10ELNS1_11target_archE1200ELNS1_3gpuE4ELNS1_3repE0EEENS1_30default_config_static_selectorELNS0_4arch9wavefront6targetE0EEEvSK_.num_vgpr, 0
	.set _ZN7rocprim17ROCPRIM_400000_NS6detail17trampoline_kernelINS0_14default_configENS1_36segmented_radix_sort_config_selectorIdlEEZNS1_25segmented_radix_sort_implIS3_Lb0EPKdPdPKlPlN2at6native12_GLOBAL__N_18offset_tEEE10hipError_tPvRmT1_PNSt15iterator_traitsISK_E10value_typeET2_T3_PNSL_ISQ_E10value_typeET4_jRbjT5_SW_jjP12ihipStream_tbEUlT_E2_NS1_11comp_targetILNS1_3genE10ELNS1_11target_archE1200ELNS1_3gpuE4ELNS1_3repE0EEENS1_30default_config_static_selectorELNS0_4arch9wavefront6targetE0EEEvSK_.num_agpr, 0
	.set _ZN7rocprim17ROCPRIM_400000_NS6detail17trampoline_kernelINS0_14default_configENS1_36segmented_radix_sort_config_selectorIdlEEZNS1_25segmented_radix_sort_implIS3_Lb0EPKdPdPKlPlN2at6native12_GLOBAL__N_18offset_tEEE10hipError_tPvRmT1_PNSt15iterator_traitsISK_E10value_typeET2_T3_PNSL_ISQ_E10value_typeET4_jRbjT5_SW_jjP12ihipStream_tbEUlT_E2_NS1_11comp_targetILNS1_3genE10ELNS1_11target_archE1200ELNS1_3gpuE4ELNS1_3repE0EEENS1_30default_config_static_selectorELNS0_4arch9wavefront6targetE0EEEvSK_.numbered_sgpr, 0
	.set _ZN7rocprim17ROCPRIM_400000_NS6detail17trampoline_kernelINS0_14default_configENS1_36segmented_radix_sort_config_selectorIdlEEZNS1_25segmented_radix_sort_implIS3_Lb0EPKdPdPKlPlN2at6native12_GLOBAL__N_18offset_tEEE10hipError_tPvRmT1_PNSt15iterator_traitsISK_E10value_typeET2_T3_PNSL_ISQ_E10value_typeET4_jRbjT5_SW_jjP12ihipStream_tbEUlT_E2_NS1_11comp_targetILNS1_3genE10ELNS1_11target_archE1200ELNS1_3gpuE4ELNS1_3repE0EEENS1_30default_config_static_selectorELNS0_4arch9wavefront6targetE0EEEvSK_.num_named_barrier, 0
	.set _ZN7rocprim17ROCPRIM_400000_NS6detail17trampoline_kernelINS0_14default_configENS1_36segmented_radix_sort_config_selectorIdlEEZNS1_25segmented_radix_sort_implIS3_Lb0EPKdPdPKlPlN2at6native12_GLOBAL__N_18offset_tEEE10hipError_tPvRmT1_PNSt15iterator_traitsISK_E10value_typeET2_T3_PNSL_ISQ_E10value_typeET4_jRbjT5_SW_jjP12ihipStream_tbEUlT_E2_NS1_11comp_targetILNS1_3genE10ELNS1_11target_archE1200ELNS1_3gpuE4ELNS1_3repE0EEENS1_30default_config_static_selectorELNS0_4arch9wavefront6targetE0EEEvSK_.private_seg_size, 0
	.set _ZN7rocprim17ROCPRIM_400000_NS6detail17trampoline_kernelINS0_14default_configENS1_36segmented_radix_sort_config_selectorIdlEEZNS1_25segmented_radix_sort_implIS3_Lb0EPKdPdPKlPlN2at6native12_GLOBAL__N_18offset_tEEE10hipError_tPvRmT1_PNSt15iterator_traitsISK_E10value_typeET2_T3_PNSL_ISQ_E10value_typeET4_jRbjT5_SW_jjP12ihipStream_tbEUlT_E2_NS1_11comp_targetILNS1_3genE10ELNS1_11target_archE1200ELNS1_3gpuE4ELNS1_3repE0EEENS1_30default_config_static_selectorELNS0_4arch9wavefront6targetE0EEEvSK_.uses_vcc, 0
	.set _ZN7rocprim17ROCPRIM_400000_NS6detail17trampoline_kernelINS0_14default_configENS1_36segmented_radix_sort_config_selectorIdlEEZNS1_25segmented_radix_sort_implIS3_Lb0EPKdPdPKlPlN2at6native12_GLOBAL__N_18offset_tEEE10hipError_tPvRmT1_PNSt15iterator_traitsISK_E10value_typeET2_T3_PNSL_ISQ_E10value_typeET4_jRbjT5_SW_jjP12ihipStream_tbEUlT_E2_NS1_11comp_targetILNS1_3genE10ELNS1_11target_archE1200ELNS1_3gpuE4ELNS1_3repE0EEENS1_30default_config_static_selectorELNS0_4arch9wavefront6targetE0EEEvSK_.uses_flat_scratch, 0
	.set _ZN7rocprim17ROCPRIM_400000_NS6detail17trampoline_kernelINS0_14default_configENS1_36segmented_radix_sort_config_selectorIdlEEZNS1_25segmented_radix_sort_implIS3_Lb0EPKdPdPKlPlN2at6native12_GLOBAL__N_18offset_tEEE10hipError_tPvRmT1_PNSt15iterator_traitsISK_E10value_typeET2_T3_PNSL_ISQ_E10value_typeET4_jRbjT5_SW_jjP12ihipStream_tbEUlT_E2_NS1_11comp_targetILNS1_3genE10ELNS1_11target_archE1200ELNS1_3gpuE4ELNS1_3repE0EEENS1_30default_config_static_selectorELNS0_4arch9wavefront6targetE0EEEvSK_.has_dyn_sized_stack, 0
	.set _ZN7rocprim17ROCPRIM_400000_NS6detail17trampoline_kernelINS0_14default_configENS1_36segmented_radix_sort_config_selectorIdlEEZNS1_25segmented_radix_sort_implIS3_Lb0EPKdPdPKlPlN2at6native12_GLOBAL__N_18offset_tEEE10hipError_tPvRmT1_PNSt15iterator_traitsISK_E10value_typeET2_T3_PNSL_ISQ_E10value_typeET4_jRbjT5_SW_jjP12ihipStream_tbEUlT_E2_NS1_11comp_targetILNS1_3genE10ELNS1_11target_archE1200ELNS1_3gpuE4ELNS1_3repE0EEENS1_30default_config_static_selectorELNS0_4arch9wavefront6targetE0EEEvSK_.has_recursion, 0
	.set _ZN7rocprim17ROCPRIM_400000_NS6detail17trampoline_kernelINS0_14default_configENS1_36segmented_radix_sort_config_selectorIdlEEZNS1_25segmented_radix_sort_implIS3_Lb0EPKdPdPKlPlN2at6native12_GLOBAL__N_18offset_tEEE10hipError_tPvRmT1_PNSt15iterator_traitsISK_E10value_typeET2_T3_PNSL_ISQ_E10value_typeET4_jRbjT5_SW_jjP12ihipStream_tbEUlT_E2_NS1_11comp_targetILNS1_3genE10ELNS1_11target_archE1200ELNS1_3gpuE4ELNS1_3repE0EEENS1_30default_config_static_selectorELNS0_4arch9wavefront6targetE0EEEvSK_.has_indirect_call, 0
	.section	.AMDGPU.csdata,"",@progbits
; Kernel info:
; codeLenInByte = 0
; TotalNumSgprs: 0
; NumVgprs: 0
; ScratchSize: 0
; MemoryBound: 0
; FloatMode: 240
; IeeeMode: 1
; LDSByteSize: 0 bytes/workgroup (compile time only)
; SGPRBlocks: 0
; VGPRBlocks: 0
; NumSGPRsForWavesPerEU: 1
; NumVGPRsForWavesPerEU: 1
; NamedBarCnt: 0
; Occupancy: 16
; WaveLimiterHint : 0
; COMPUTE_PGM_RSRC2:SCRATCH_EN: 0
; COMPUTE_PGM_RSRC2:USER_SGPR: 2
; COMPUTE_PGM_RSRC2:TRAP_HANDLER: 0
; COMPUTE_PGM_RSRC2:TGID_X_EN: 1
; COMPUTE_PGM_RSRC2:TGID_Y_EN: 0
; COMPUTE_PGM_RSRC2:TGID_Z_EN: 0
; COMPUTE_PGM_RSRC2:TIDIG_COMP_CNT: 0
	.section	.text._ZN7rocprim17ROCPRIM_400000_NS6detail17trampoline_kernelINS0_14default_configENS1_36segmented_radix_sort_config_selectorIdlEEZNS1_25segmented_radix_sort_implIS3_Lb0EPKdPdPKlPlN2at6native12_GLOBAL__N_18offset_tEEE10hipError_tPvRmT1_PNSt15iterator_traitsISK_E10value_typeET2_T3_PNSL_ISQ_E10value_typeET4_jRbjT5_SW_jjP12ihipStream_tbEUlT_E2_NS1_11comp_targetILNS1_3genE9ELNS1_11target_archE1100ELNS1_3gpuE3ELNS1_3repE0EEENS1_30default_config_static_selectorELNS0_4arch9wavefront6targetE0EEEvSK_,"axG",@progbits,_ZN7rocprim17ROCPRIM_400000_NS6detail17trampoline_kernelINS0_14default_configENS1_36segmented_radix_sort_config_selectorIdlEEZNS1_25segmented_radix_sort_implIS3_Lb0EPKdPdPKlPlN2at6native12_GLOBAL__N_18offset_tEEE10hipError_tPvRmT1_PNSt15iterator_traitsISK_E10value_typeET2_T3_PNSL_ISQ_E10value_typeET4_jRbjT5_SW_jjP12ihipStream_tbEUlT_E2_NS1_11comp_targetILNS1_3genE9ELNS1_11target_archE1100ELNS1_3gpuE3ELNS1_3repE0EEENS1_30default_config_static_selectorELNS0_4arch9wavefront6targetE0EEEvSK_,comdat
	.globl	_ZN7rocprim17ROCPRIM_400000_NS6detail17trampoline_kernelINS0_14default_configENS1_36segmented_radix_sort_config_selectorIdlEEZNS1_25segmented_radix_sort_implIS3_Lb0EPKdPdPKlPlN2at6native12_GLOBAL__N_18offset_tEEE10hipError_tPvRmT1_PNSt15iterator_traitsISK_E10value_typeET2_T3_PNSL_ISQ_E10value_typeET4_jRbjT5_SW_jjP12ihipStream_tbEUlT_E2_NS1_11comp_targetILNS1_3genE9ELNS1_11target_archE1100ELNS1_3gpuE3ELNS1_3repE0EEENS1_30default_config_static_selectorELNS0_4arch9wavefront6targetE0EEEvSK_ ; -- Begin function _ZN7rocprim17ROCPRIM_400000_NS6detail17trampoline_kernelINS0_14default_configENS1_36segmented_radix_sort_config_selectorIdlEEZNS1_25segmented_radix_sort_implIS3_Lb0EPKdPdPKlPlN2at6native12_GLOBAL__N_18offset_tEEE10hipError_tPvRmT1_PNSt15iterator_traitsISK_E10value_typeET2_T3_PNSL_ISQ_E10value_typeET4_jRbjT5_SW_jjP12ihipStream_tbEUlT_E2_NS1_11comp_targetILNS1_3genE9ELNS1_11target_archE1100ELNS1_3gpuE3ELNS1_3repE0EEENS1_30default_config_static_selectorELNS0_4arch9wavefront6targetE0EEEvSK_
	.p2align	8
	.type	_ZN7rocprim17ROCPRIM_400000_NS6detail17trampoline_kernelINS0_14default_configENS1_36segmented_radix_sort_config_selectorIdlEEZNS1_25segmented_radix_sort_implIS3_Lb0EPKdPdPKlPlN2at6native12_GLOBAL__N_18offset_tEEE10hipError_tPvRmT1_PNSt15iterator_traitsISK_E10value_typeET2_T3_PNSL_ISQ_E10value_typeET4_jRbjT5_SW_jjP12ihipStream_tbEUlT_E2_NS1_11comp_targetILNS1_3genE9ELNS1_11target_archE1100ELNS1_3gpuE3ELNS1_3repE0EEENS1_30default_config_static_selectorELNS0_4arch9wavefront6targetE0EEEvSK_,@function
_ZN7rocprim17ROCPRIM_400000_NS6detail17trampoline_kernelINS0_14default_configENS1_36segmented_radix_sort_config_selectorIdlEEZNS1_25segmented_radix_sort_implIS3_Lb0EPKdPdPKlPlN2at6native12_GLOBAL__N_18offset_tEEE10hipError_tPvRmT1_PNSt15iterator_traitsISK_E10value_typeET2_T3_PNSL_ISQ_E10value_typeET4_jRbjT5_SW_jjP12ihipStream_tbEUlT_E2_NS1_11comp_targetILNS1_3genE9ELNS1_11target_archE1100ELNS1_3gpuE3ELNS1_3repE0EEENS1_30default_config_static_selectorELNS0_4arch9wavefront6targetE0EEEvSK_: ; @_ZN7rocprim17ROCPRIM_400000_NS6detail17trampoline_kernelINS0_14default_configENS1_36segmented_radix_sort_config_selectorIdlEEZNS1_25segmented_radix_sort_implIS3_Lb0EPKdPdPKlPlN2at6native12_GLOBAL__N_18offset_tEEE10hipError_tPvRmT1_PNSt15iterator_traitsISK_E10value_typeET2_T3_PNSL_ISQ_E10value_typeET4_jRbjT5_SW_jjP12ihipStream_tbEUlT_E2_NS1_11comp_targetILNS1_3genE9ELNS1_11target_archE1100ELNS1_3gpuE3ELNS1_3repE0EEENS1_30default_config_static_selectorELNS0_4arch9wavefront6targetE0EEEvSK_
; %bb.0:
	.section	.rodata,"a",@progbits
	.p2align	6, 0x0
	.amdhsa_kernel _ZN7rocprim17ROCPRIM_400000_NS6detail17trampoline_kernelINS0_14default_configENS1_36segmented_radix_sort_config_selectorIdlEEZNS1_25segmented_radix_sort_implIS3_Lb0EPKdPdPKlPlN2at6native12_GLOBAL__N_18offset_tEEE10hipError_tPvRmT1_PNSt15iterator_traitsISK_E10value_typeET2_T3_PNSL_ISQ_E10value_typeET4_jRbjT5_SW_jjP12ihipStream_tbEUlT_E2_NS1_11comp_targetILNS1_3genE9ELNS1_11target_archE1100ELNS1_3gpuE3ELNS1_3repE0EEENS1_30default_config_static_selectorELNS0_4arch9wavefront6targetE0EEEvSK_
		.amdhsa_group_segment_fixed_size 0
		.amdhsa_private_segment_fixed_size 0
		.amdhsa_kernarg_size 80
		.amdhsa_user_sgpr_count 2
		.amdhsa_user_sgpr_dispatch_ptr 0
		.amdhsa_user_sgpr_queue_ptr 0
		.amdhsa_user_sgpr_kernarg_segment_ptr 1
		.amdhsa_user_sgpr_dispatch_id 0
		.amdhsa_user_sgpr_kernarg_preload_length 0
		.amdhsa_user_sgpr_kernarg_preload_offset 0
		.amdhsa_user_sgpr_private_segment_size 0
		.amdhsa_wavefront_size32 1
		.amdhsa_uses_dynamic_stack 0
		.amdhsa_enable_private_segment 0
		.amdhsa_system_sgpr_workgroup_id_x 1
		.amdhsa_system_sgpr_workgroup_id_y 0
		.amdhsa_system_sgpr_workgroup_id_z 0
		.amdhsa_system_sgpr_workgroup_info 0
		.amdhsa_system_vgpr_workitem_id 0
		.amdhsa_next_free_vgpr 1
		.amdhsa_next_free_sgpr 1
		.amdhsa_named_barrier_count 0
		.amdhsa_reserve_vcc 0
		.amdhsa_float_round_mode_32 0
		.amdhsa_float_round_mode_16_64 0
		.amdhsa_float_denorm_mode_32 3
		.amdhsa_float_denorm_mode_16_64 3
		.amdhsa_fp16_overflow 0
		.amdhsa_memory_ordered 1
		.amdhsa_forward_progress 1
		.amdhsa_inst_pref_size 0
		.amdhsa_round_robin_scheduling 0
		.amdhsa_exception_fp_ieee_invalid_op 0
		.amdhsa_exception_fp_denorm_src 0
		.amdhsa_exception_fp_ieee_div_zero 0
		.amdhsa_exception_fp_ieee_overflow 0
		.amdhsa_exception_fp_ieee_underflow 0
		.amdhsa_exception_fp_ieee_inexact 0
		.amdhsa_exception_int_div_zero 0
	.end_amdhsa_kernel
	.section	.text._ZN7rocprim17ROCPRIM_400000_NS6detail17trampoline_kernelINS0_14default_configENS1_36segmented_radix_sort_config_selectorIdlEEZNS1_25segmented_radix_sort_implIS3_Lb0EPKdPdPKlPlN2at6native12_GLOBAL__N_18offset_tEEE10hipError_tPvRmT1_PNSt15iterator_traitsISK_E10value_typeET2_T3_PNSL_ISQ_E10value_typeET4_jRbjT5_SW_jjP12ihipStream_tbEUlT_E2_NS1_11comp_targetILNS1_3genE9ELNS1_11target_archE1100ELNS1_3gpuE3ELNS1_3repE0EEENS1_30default_config_static_selectorELNS0_4arch9wavefront6targetE0EEEvSK_,"axG",@progbits,_ZN7rocprim17ROCPRIM_400000_NS6detail17trampoline_kernelINS0_14default_configENS1_36segmented_radix_sort_config_selectorIdlEEZNS1_25segmented_radix_sort_implIS3_Lb0EPKdPdPKlPlN2at6native12_GLOBAL__N_18offset_tEEE10hipError_tPvRmT1_PNSt15iterator_traitsISK_E10value_typeET2_T3_PNSL_ISQ_E10value_typeET4_jRbjT5_SW_jjP12ihipStream_tbEUlT_E2_NS1_11comp_targetILNS1_3genE9ELNS1_11target_archE1100ELNS1_3gpuE3ELNS1_3repE0EEENS1_30default_config_static_selectorELNS0_4arch9wavefront6targetE0EEEvSK_,comdat
.Lfunc_end1252:
	.size	_ZN7rocprim17ROCPRIM_400000_NS6detail17trampoline_kernelINS0_14default_configENS1_36segmented_radix_sort_config_selectorIdlEEZNS1_25segmented_radix_sort_implIS3_Lb0EPKdPdPKlPlN2at6native12_GLOBAL__N_18offset_tEEE10hipError_tPvRmT1_PNSt15iterator_traitsISK_E10value_typeET2_T3_PNSL_ISQ_E10value_typeET4_jRbjT5_SW_jjP12ihipStream_tbEUlT_E2_NS1_11comp_targetILNS1_3genE9ELNS1_11target_archE1100ELNS1_3gpuE3ELNS1_3repE0EEENS1_30default_config_static_selectorELNS0_4arch9wavefront6targetE0EEEvSK_, .Lfunc_end1252-_ZN7rocprim17ROCPRIM_400000_NS6detail17trampoline_kernelINS0_14default_configENS1_36segmented_radix_sort_config_selectorIdlEEZNS1_25segmented_radix_sort_implIS3_Lb0EPKdPdPKlPlN2at6native12_GLOBAL__N_18offset_tEEE10hipError_tPvRmT1_PNSt15iterator_traitsISK_E10value_typeET2_T3_PNSL_ISQ_E10value_typeET4_jRbjT5_SW_jjP12ihipStream_tbEUlT_E2_NS1_11comp_targetILNS1_3genE9ELNS1_11target_archE1100ELNS1_3gpuE3ELNS1_3repE0EEENS1_30default_config_static_selectorELNS0_4arch9wavefront6targetE0EEEvSK_
                                        ; -- End function
	.set _ZN7rocprim17ROCPRIM_400000_NS6detail17trampoline_kernelINS0_14default_configENS1_36segmented_radix_sort_config_selectorIdlEEZNS1_25segmented_radix_sort_implIS3_Lb0EPKdPdPKlPlN2at6native12_GLOBAL__N_18offset_tEEE10hipError_tPvRmT1_PNSt15iterator_traitsISK_E10value_typeET2_T3_PNSL_ISQ_E10value_typeET4_jRbjT5_SW_jjP12ihipStream_tbEUlT_E2_NS1_11comp_targetILNS1_3genE9ELNS1_11target_archE1100ELNS1_3gpuE3ELNS1_3repE0EEENS1_30default_config_static_selectorELNS0_4arch9wavefront6targetE0EEEvSK_.num_vgpr, 0
	.set _ZN7rocprim17ROCPRIM_400000_NS6detail17trampoline_kernelINS0_14default_configENS1_36segmented_radix_sort_config_selectorIdlEEZNS1_25segmented_radix_sort_implIS3_Lb0EPKdPdPKlPlN2at6native12_GLOBAL__N_18offset_tEEE10hipError_tPvRmT1_PNSt15iterator_traitsISK_E10value_typeET2_T3_PNSL_ISQ_E10value_typeET4_jRbjT5_SW_jjP12ihipStream_tbEUlT_E2_NS1_11comp_targetILNS1_3genE9ELNS1_11target_archE1100ELNS1_3gpuE3ELNS1_3repE0EEENS1_30default_config_static_selectorELNS0_4arch9wavefront6targetE0EEEvSK_.num_agpr, 0
	.set _ZN7rocprim17ROCPRIM_400000_NS6detail17trampoline_kernelINS0_14default_configENS1_36segmented_radix_sort_config_selectorIdlEEZNS1_25segmented_radix_sort_implIS3_Lb0EPKdPdPKlPlN2at6native12_GLOBAL__N_18offset_tEEE10hipError_tPvRmT1_PNSt15iterator_traitsISK_E10value_typeET2_T3_PNSL_ISQ_E10value_typeET4_jRbjT5_SW_jjP12ihipStream_tbEUlT_E2_NS1_11comp_targetILNS1_3genE9ELNS1_11target_archE1100ELNS1_3gpuE3ELNS1_3repE0EEENS1_30default_config_static_selectorELNS0_4arch9wavefront6targetE0EEEvSK_.numbered_sgpr, 0
	.set _ZN7rocprim17ROCPRIM_400000_NS6detail17trampoline_kernelINS0_14default_configENS1_36segmented_radix_sort_config_selectorIdlEEZNS1_25segmented_radix_sort_implIS3_Lb0EPKdPdPKlPlN2at6native12_GLOBAL__N_18offset_tEEE10hipError_tPvRmT1_PNSt15iterator_traitsISK_E10value_typeET2_T3_PNSL_ISQ_E10value_typeET4_jRbjT5_SW_jjP12ihipStream_tbEUlT_E2_NS1_11comp_targetILNS1_3genE9ELNS1_11target_archE1100ELNS1_3gpuE3ELNS1_3repE0EEENS1_30default_config_static_selectorELNS0_4arch9wavefront6targetE0EEEvSK_.num_named_barrier, 0
	.set _ZN7rocprim17ROCPRIM_400000_NS6detail17trampoline_kernelINS0_14default_configENS1_36segmented_radix_sort_config_selectorIdlEEZNS1_25segmented_radix_sort_implIS3_Lb0EPKdPdPKlPlN2at6native12_GLOBAL__N_18offset_tEEE10hipError_tPvRmT1_PNSt15iterator_traitsISK_E10value_typeET2_T3_PNSL_ISQ_E10value_typeET4_jRbjT5_SW_jjP12ihipStream_tbEUlT_E2_NS1_11comp_targetILNS1_3genE9ELNS1_11target_archE1100ELNS1_3gpuE3ELNS1_3repE0EEENS1_30default_config_static_selectorELNS0_4arch9wavefront6targetE0EEEvSK_.private_seg_size, 0
	.set _ZN7rocprim17ROCPRIM_400000_NS6detail17trampoline_kernelINS0_14default_configENS1_36segmented_radix_sort_config_selectorIdlEEZNS1_25segmented_radix_sort_implIS3_Lb0EPKdPdPKlPlN2at6native12_GLOBAL__N_18offset_tEEE10hipError_tPvRmT1_PNSt15iterator_traitsISK_E10value_typeET2_T3_PNSL_ISQ_E10value_typeET4_jRbjT5_SW_jjP12ihipStream_tbEUlT_E2_NS1_11comp_targetILNS1_3genE9ELNS1_11target_archE1100ELNS1_3gpuE3ELNS1_3repE0EEENS1_30default_config_static_selectorELNS0_4arch9wavefront6targetE0EEEvSK_.uses_vcc, 0
	.set _ZN7rocprim17ROCPRIM_400000_NS6detail17trampoline_kernelINS0_14default_configENS1_36segmented_radix_sort_config_selectorIdlEEZNS1_25segmented_radix_sort_implIS3_Lb0EPKdPdPKlPlN2at6native12_GLOBAL__N_18offset_tEEE10hipError_tPvRmT1_PNSt15iterator_traitsISK_E10value_typeET2_T3_PNSL_ISQ_E10value_typeET4_jRbjT5_SW_jjP12ihipStream_tbEUlT_E2_NS1_11comp_targetILNS1_3genE9ELNS1_11target_archE1100ELNS1_3gpuE3ELNS1_3repE0EEENS1_30default_config_static_selectorELNS0_4arch9wavefront6targetE0EEEvSK_.uses_flat_scratch, 0
	.set _ZN7rocprim17ROCPRIM_400000_NS6detail17trampoline_kernelINS0_14default_configENS1_36segmented_radix_sort_config_selectorIdlEEZNS1_25segmented_radix_sort_implIS3_Lb0EPKdPdPKlPlN2at6native12_GLOBAL__N_18offset_tEEE10hipError_tPvRmT1_PNSt15iterator_traitsISK_E10value_typeET2_T3_PNSL_ISQ_E10value_typeET4_jRbjT5_SW_jjP12ihipStream_tbEUlT_E2_NS1_11comp_targetILNS1_3genE9ELNS1_11target_archE1100ELNS1_3gpuE3ELNS1_3repE0EEENS1_30default_config_static_selectorELNS0_4arch9wavefront6targetE0EEEvSK_.has_dyn_sized_stack, 0
	.set _ZN7rocprim17ROCPRIM_400000_NS6detail17trampoline_kernelINS0_14default_configENS1_36segmented_radix_sort_config_selectorIdlEEZNS1_25segmented_radix_sort_implIS3_Lb0EPKdPdPKlPlN2at6native12_GLOBAL__N_18offset_tEEE10hipError_tPvRmT1_PNSt15iterator_traitsISK_E10value_typeET2_T3_PNSL_ISQ_E10value_typeET4_jRbjT5_SW_jjP12ihipStream_tbEUlT_E2_NS1_11comp_targetILNS1_3genE9ELNS1_11target_archE1100ELNS1_3gpuE3ELNS1_3repE0EEENS1_30default_config_static_selectorELNS0_4arch9wavefront6targetE0EEEvSK_.has_recursion, 0
	.set _ZN7rocprim17ROCPRIM_400000_NS6detail17trampoline_kernelINS0_14default_configENS1_36segmented_radix_sort_config_selectorIdlEEZNS1_25segmented_radix_sort_implIS3_Lb0EPKdPdPKlPlN2at6native12_GLOBAL__N_18offset_tEEE10hipError_tPvRmT1_PNSt15iterator_traitsISK_E10value_typeET2_T3_PNSL_ISQ_E10value_typeET4_jRbjT5_SW_jjP12ihipStream_tbEUlT_E2_NS1_11comp_targetILNS1_3genE9ELNS1_11target_archE1100ELNS1_3gpuE3ELNS1_3repE0EEENS1_30default_config_static_selectorELNS0_4arch9wavefront6targetE0EEEvSK_.has_indirect_call, 0
	.section	.AMDGPU.csdata,"",@progbits
; Kernel info:
; codeLenInByte = 0
; TotalNumSgprs: 0
; NumVgprs: 0
; ScratchSize: 0
; MemoryBound: 0
; FloatMode: 240
; IeeeMode: 1
; LDSByteSize: 0 bytes/workgroup (compile time only)
; SGPRBlocks: 0
; VGPRBlocks: 0
; NumSGPRsForWavesPerEU: 1
; NumVGPRsForWavesPerEU: 1
; NamedBarCnt: 0
; Occupancy: 16
; WaveLimiterHint : 0
; COMPUTE_PGM_RSRC2:SCRATCH_EN: 0
; COMPUTE_PGM_RSRC2:USER_SGPR: 2
; COMPUTE_PGM_RSRC2:TRAP_HANDLER: 0
; COMPUTE_PGM_RSRC2:TGID_X_EN: 1
; COMPUTE_PGM_RSRC2:TGID_Y_EN: 0
; COMPUTE_PGM_RSRC2:TGID_Z_EN: 0
; COMPUTE_PGM_RSRC2:TIDIG_COMP_CNT: 0
	.section	.text._ZN7rocprim17ROCPRIM_400000_NS6detail17trampoline_kernelINS0_14default_configENS1_36segmented_radix_sort_config_selectorIdlEEZNS1_25segmented_radix_sort_implIS3_Lb0EPKdPdPKlPlN2at6native12_GLOBAL__N_18offset_tEEE10hipError_tPvRmT1_PNSt15iterator_traitsISK_E10value_typeET2_T3_PNSL_ISQ_E10value_typeET4_jRbjT5_SW_jjP12ihipStream_tbEUlT_E2_NS1_11comp_targetILNS1_3genE8ELNS1_11target_archE1030ELNS1_3gpuE2ELNS1_3repE0EEENS1_30default_config_static_selectorELNS0_4arch9wavefront6targetE0EEEvSK_,"axG",@progbits,_ZN7rocprim17ROCPRIM_400000_NS6detail17trampoline_kernelINS0_14default_configENS1_36segmented_radix_sort_config_selectorIdlEEZNS1_25segmented_radix_sort_implIS3_Lb0EPKdPdPKlPlN2at6native12_GLOBAL__N_18offset_tEEE10hipError_tPvRmT1_PNSt15iterator_traitsISK_E10value_typeET2_T3_PNSL_ISQ_E10value_typeET4_jRbjT5_SW_jjP12ihipStream_tbEUlT_E2_NS1_11comp_targetILNS1_3genE8ELNS1_11target_archE1030ELNS1_3gpuE2ELNS1_3repE0EEENS1_30default_config_static_selectorELNS0_4arch9wavefront6targetE0EEEvSK_,comdat
	.globl	_ZN7rocprim17ROCPRIM_400000_NS6detail17trampoline_kernelINS0_14default_configENS1_36segmented_radix_sort_config_selectorIdlEEZNS1_25segmented_radix_sort_implIS3_Lb0EPKdPdPKlPlN2at6native12_GLOBAL__N_18offset_tEEE10hipError_tPvRmT1_PNSt15iterator_traitsISK_E10value_typeET2_T3_PNSL_ISQ_E10value_typeET4_jRbjT5_SW_jjP12ihipStream_tbEUlT_E2_NS1_11comp_targetILNS1_3genE8ELNS1_11target_archE1030ELNS1_3gpuE2ELNS1_3repE0EEENS1_30default_config_static_selectorELNS0_4arch9wavefront6targetE0EEEvSK_ ; -- Begin function _ZN7rocprim17ROCPRIM_400000_NS6detail17trampoline_kernelINS0_14default_configENS1_36segmented_radix_sort_config_selectorIdlEEZNS1_25segmented_radix_sort_implIS3_Lb0EPKdPdPKlPlN2at6native12_GLOBAL__N_18offset_tEEE10hipError_tPvRmT1_PNSt15iterator_traitsISK_E10value_typeET2_T3_PNSL_ISQ_E10value_typeET4_jRbjT5_SW_jjP12ihipStream_tbEUlT_E2_NS1_11comp_targetILNS1_3genE8ELNS1_11target_archE1030ELNS1_3gpuE2ELNS1_3repE0EEENS1_30default_config_static_selectorELNS0_4arch9wavefront6targetE0EEEvSK_
	.p2align	8
	.type	_ZN7rocprim17ROCPRIM_400000_NS6detail17trampoline_kernelINS0_14default_configENS1_36segmented_radix_sort_config_selectorIdlEEZNS1_25segmented_radix_sort_implIS3_Lb0EPKdPdPKlPlN2at6native12_GLOBAL__N_18offset_tEEE10hipError_tPvRmT1_PNSt15iterator_traitsISK_E10value_typeET2_T3_PNSL_ISQ_E10value_typeET4_jRbjT5_SW_jjP12ihipStream_tbEUlT_E2_NS1_11comp_targetILNS1_3genE8ELNS1_11target_archE1030ELNS1_3gpuE2ELNS1_3repE0EEENS1_30default_config_static_selectorELNS0_4arch9wavefront6targetE0EEEvSK_,@function
_ZN7rocprim17ROCPRIM_400000_NS6detail17trampoline_kernelINS0_14default_configENS1_36segmented_radix_sort_config_selectorIdlEEZNS1_25segmented_radix_sort_implIS3_Lb0EPKdPdPKlPlN2at6native12_GLOBAL__N_18offset_tEEE10hipError_tPvRmT1_PNSt15iterator_traitsISK_E10value_typeET2_T3_PNSL_ISQ_E10value_typeET4_jRbjT5_SW_jjP12ihipStream_tbEUlT_E2_NS1_11comp_targetILNS1_3genE8ELNS1_11target_archE1030ELNS1_3gpuE2ELNS1_3repE0EEENS1_30default_config_static_selectorELNS0_4arch9wavefront6targetE0EEEvSK_: ; @_ZN7rocprim17ROCPRIM_400000_NS6detail17trampoline_kernelINS0_14default_configENS1_36segmented_radix_sort_config_selectorIdlEEZNS1_25segmented_radix_sort_implIS3_Lb0EPKdPdPKlPlN2at6native12_GLOBAL__N_18offset_tEEE10hipError_tPvRmT1_PNSt15iterator_traitsISK_E10value_typeET2_T3_PNSL_ISQ_E10value_typeET4_jRbjT5_SW_jjP12ihipStream_tbEUlT_E2_NS1_11comp_targetILNS1_3genE8ELNS1_11target_archE1030ELNS1_3gpuE2ELNS1_3repE0EEENS1_30default_config_static_selectorELNS0_4arch9wavefront6targetE0EEEvSK_
; %bb.0:
	.section	.rodata,"a",@progbits
	.p2align	6, 0x0
	.amdhsa_kernel _ZN7rocprim17ROCPRIM_400000_NS6detail17trampoline_kernelINS0_14default_configENS1_36segmented_radix_sort_config_selectorIdlEEZNS1_25segmented_radix_sort_implIS3_Lb0EPKdPdPKlPlN2at6native12_GLOBAL__N_18offset_tEEE10hipError_tPvRmT1_PNSt15iterator_traitsISK_E10value_typeET2_T3_PNSL_ISQ_E10value_typeET4_jRbjT5_SW_jjP12ihipStream_tbEUlT_E2_NS1_11comp_targetILNS1_3genE8ELNS1_11target_archE1030ELNS1_3gpuE2ELNS1_3repE0EEENS1_30default_config_static_selectorELNS0_4arch9wavefront6targetE0EEEvSK_
		.amdhsa_group_segment_fixed_size 0
		.amdhsa_private_segment_fixed_size 0
		.amdhsa_kernarg_size 80
		.amdhsa_user_sgpr_count 2
		.amdhsa_user_sgpr_dispatch_ptr 0
		.amdhsa_user_sgpr_queue_ptr 0
		.amdhsa_user_sgpr_kernarg_segment_ptr 1
		.amdhsa_user_sgpr_dispatch_id 0
		.amdhsa_user_sgpr_kernarg_preload_length 0
		.amdhsa_user_sgpr_kernarg_preload_offset 0
		.amdhsa_user_sgpr_private_segment_size 0
		.amdhsa_wavefront_size32 1
		.amdhsa_uses_dynamic_stack 0
		.amdhsa_enable_private_segment 0
		.amdhsa_system_sgpr_workgroup_id_x 1
		.amdhsa_system_sgpr_workgroup_id_y 0
		.amdhsa_system_sgpr_workgroup_id_z 0
		.amdhsa_system_sgpr_workgroup_info 0
		.amdhsa_system_vgpr_workitem_id 0
		.amdhsa_next_free_vgpr 1
		.amdhsa_next_free_sgpr 1
		.amdhsa_named_barrier_count 0
		.amdhsa_reserve_vcc 0
		.amdhsa_float_round_mode_32 0
		.amdhsa_float_round_mode_16_64 0
		.amdhsa_float_denorm_mode_32 3
		.amdhsa_float_denorm_mode_16_64 3
		.amdhsa_fp16_overflow 0
		.amdhsa_memory_ordered 1
		.amdhsa_forward_progress 1
		.amdhsa_inst_pref_size 0
		.amdhsa_round_robin_scheduling 0
		.amdhsa_exception_fp_ieee_invalid_op 0
		.amdhsa_exception_fp_denorm_src 0
		.amdhsa_exception_fp_ieee_div_zero 0
		.amdhsa_exception_fp_ieee_overflow 0
		.amdhsa_exception_fp_ieee_underflow 0
		.amdhsa_exception_fp_ieee_inexact 0
		.amdhsa_exception_int_div_zero 0
	.end_amdhsa_kernel
	.section	.text._ZN7rocprim17ROCPRIM_400000_NS6detail17trampoline_kernelINS0_14default_configENS1_36segmented_radix_sort_config_selectorIdlEEZNS1_25segmented_radix_sort_implIS3_Lb0EPKdPdPKlPlN2at6native12_GLOBAL__N_18offset_tEEE10hipError_tPvRmT1_PNSt15iterator_traitsISK_E10value_typeET2_T3_PNSL_ISQ_E10value_typeET4_jRbjT5_SW_jjP12ihipStream_tbEUlT_E2_NS1_11comp_targetILNS1_3genE8ELNS1_11target_archE1030ELNS1_3gpuE2ELNS1_3repE0EEENS1_30default_config_static_selectorELNS0_4arch9wavefront6targetE0EEEvSK_,"axG",@progbits,_ZN7rocprim17ROCPRIM_400000_NS6detail17trampoline_kernelINS0_14default_configENS1_36segmented_radix_sort_config_selectorIdlEEZNS1_25segmented_radix_sort_implIS3_Lb0EPKdPdPKlPlN2at6native12_GLOBAL__N_18offset_tEEE10hipError_tPvRmT1_PNSt15iterator_traitsISK_E10value_typeET2_T3_PNSL_ISQ_E10value_typeET4_jRbjT5_SW_jjP12ihipStream_tbEUlT_E2_NS1_11comp_targetILNS1_3genE8ELNS1_11target_archE1030ELNS1_3gpuE2ELNS1_3repE0EEENS1_30default_config_static_selectorELNS0_4arch9wavefront6targetE0EEEvSK_,comdat
.Lfunc_end1253:
	.size	_ZN7rocprim17ROCPRIM_400000_NS6detail17trampoline_kernelINS0_14default_configENS1_36segmented_radix_sort_config_selectorIdlEEZNS1_25segmented_radix_sort_implIS3_Lb0EPKdPdPKlPlN2at6native12_GLOBAL__N_18offset_tEEE10hipError_tPvRmT1_PNSt15iterator_traitsISK_E10value_typeET2_T3_PNSL_ISQ_E10value_typeET4_jRbjT5_SW_jjP12ihipStream_tbEUlT_E2_NS1_11comp_targetILNS1_3genE8ELNS1_11target_archE1030ELNS1_3gpuE2ELNS1_3repE0EEENS1_30default_config_static_selectorELNS0_4arch9wavefront6targetE0EEEvSK_, .Lfunc_end1253-_ZN7rocprim17ROCPRIM_400000_NS6detail17trampoline_kernelINS0_14default_configENS1_36segmented_radix_sort_config_selectorIdlEEZNS1_25segmented_radix_sort_implIS3_Lb0EPKdPdPKlPlN2at6native12_GLOBAL__N_18offset_tEEE10hipError_tPvRmT1_PNSt15iterator_traitsISK_E10value_typeET2_T3_PNSL_ISQ_E10value_typeET4_jRbjT5_SW_jjP12ihipStream_tbEUlT_E2_NS1_11comp_targetILNS1_3genE8ELNS1_11target_archE1030ELNS1_3gpuE2ELNS1_3repE0EEENS1_30default_config_static_selectorELNS0_4arch9wavefront6targetE0EEEvSK_
                                        ; -- End function
	.set _ZN7rocprim17ROCPRIM_400000_NS6detail17trampoline_kernelINS0_14default_configENS1_36segmented_radix_sort_config_selectorIdlEEZNS1_25segmented_radix_sort_implIS3_Lb0EPKdPdPKlPlN2at6native12_GLOBAL__N_18offset_tEEE10hipError_tPvRmT1_PNSt15iterator_traitsISK_E10value_typeET2_T3_PNSL_ISQ_E10value_typeET4_jRbjT5_SW_jjP12ihipStream_tbEUlT_E2_NS1_11comp_targetILNS1_3genE8ELNS1_11target_archE1030ELNS1_3gpuE2ELNS1_3repE0EEENS1_30default_config_static_selectorELNS0_4arch9wavefront6targetE0EEEvSK_.num_vgpr, 0
	.set _ZN7rocprim17ROCPRIM_400000_NS6detail17trampoline_kernelINS0_14default_configENS1_36segmented_radix_sort_config_selectorIdlEEZNS1_25segmented_radix_sort_implIS3_Lb0EPKdPdPKlPlN2at6native12_GLOBAL__N_18offset_tEEE10hipError_tPvRmT1_PNSt15iterator_traitsISK_E10value_typeET2_T3_PNSL_ISQ_E10value_typeET4_jRbjT5_SW_jjP12ihipStream_tbEUlT_E2_NS1_11comp_targetILNS1_3genE8ELNS1_11target_archE1030ELNS1_3gpuE2ELNS1_3repE0EEENS1_30default_config_static_selectorELNS0_4arch9wavefront6targetE0EEEvSK_.num_agpr, 0
	.set _ZN7rocprim17ROCPRIM_400000_NS6detail17trampoline_kernelINS0_14default_configENS1_36segmented_radix_sort_config_selectorIdlEEZNS1_25segmented_radix_sort_implIS3_Lb0EPKdPdPKlPlN2at6native12_GLOBAL__N_18offset_tEEE10hipError_tPvRmT1_PNSt15iterator_traitsISK_E10value_typeET2_T3_PNSL_ISQ_E10value_typeET4_jRbjT5_SW_jjP12ihipStream_tbEUlT_E2_NS1_11comp_targetILNS1_3genE8ELNS1_11target_archE1030ELNS1_3gpuE2ELNS1_3repE0EEENS1_30default_config_static_selectorELNS0_4arch9wavefront6targetE0EEEvSK_.numbered_sgpr, 0
	.set _ZN7rocprim17ROCPRIM_400000_NS6detail17trampoline_kernelINS0_14default_configENS1_36segmented_radix_sort_config_selectorIdlEEZNS1_25segmented_radix_sort_implIS3_Lb0EPKdPdPKlPlN2at6native12_GLOBAL__N_18offset_tEEE10hipError_tPvRmT1_PNSt15iterator_traitsISK_E10value_typeET2_T3_PNSL_ISQ_E10value_typeET4_jRbjT5_SW_jjP12ihipStream_tbEUlT_E2_NS1_11comp_targetILNS1_3genE8ELNS1_11target_archE1030ELNS1_3gpuE2ELNS1_3repE0EEENS1_30default_config_static_selectorELNS0_4arch9wavefront6targetE0EEEvSK_.num_named_barrier, 0
	.set _ZN7rocprim17ROCPRIM_400000_NS6detail17trampoline_kernelINS0_14default_configENS1_36segmented_radix_sort_config_selectorIdlEEZNS1_25segmented_radix_sort_implIS3_Lb0EPKdPdPKlPlN2at6native12_GLOBAL__N_18offset_tEEE10hipError_tPvRmT1_PNSt15iterator_traitsISK_E10value_typeET2_T3_PNSL_ISQ_E10value_typeET4_jRbjT5_SW_jjP12ihipStream_tbEUlT_E2_NS1_11comp_targetILNS1_3genE8ELNS1_11target_archE1030ELNS1_3gpuE2ELNS1_3repE0EEENS1_30default_config_static_selectorELNS0_4arch9wavefront6targetE0EEEvSK_.private_seg_size, 0
	.set _ZN7rocprim17ROCPRIM_400000_NS6detail17trampoline_kernelINS0_14default_configENS1_36segmented_radix_sort_config_selectorIdlEEZNS1_25segmented_radix_sort_implIS3_Lb0EPKdPdPKlPlN2at6native12_GLOBAL__N_18offset_tEEE10hipError_tPvRmT1_PNSt15iterator_traitsISK_E10value_typeET2_T3_PNSL_ISQ_E10value_typeET4_jRbjT5_SW_jjP12ihipStream_tbEUlT_E2_NS1_11comp_targetILNS1_3genE8ELNS1_11target_archE1030ELNS1_3gpuE2ELNS1_3repE0EEENS1_30default_config_static_selectorELNS0_4arch9wavefront6targetE0EEEvSK_.uses_vcc, 0
	.set _ZN7rocprim17ROCPRIM_400000_NS6detail17trampoline_kernelINS0_14default_configENS1_36segmented_radix_sort_config_selectorIdlEEZNS1_25segmented_radix_sort_implIS3_Lb0EPKdPdPKlPlN2at6native12_GLOBAL__N_18offset_tEEE10hipError_tPvRmT1_PNSt15iterator_traitsISK_E10value_typeET2_T3_PNSL_ISQ_E10value_typeET4_jRbjT5_SW_jjP12ihipStream_tbEUlT_E2_NS1_11comp_targetILNS1_3genE8ELNS1_11target_archE1030ELNS1_3gpuE2ELNS1_3repE0EEENS1_30default_config_static_selectorELNS0_4arch9wavefront6targetE0EEEvSK_.uses_flat_scratch, 0
	.set _ZN7rocprim17ROCPRIM_400000_NS6detail17trampoline_kernelINS0_14default_configENS1_36segmented_radix_sort_config_selectorIdlEEZNS1_25segmented_radix_sort_implIS3_Lb0EPKdPdPKlPlN2at6native12_GLOBAL__N_18offset_tEEE10hipError_tPvRmT1_PNSt15iterator_traitsISK_E10value_typeET2_T3_PNSL_ISQ_E10value_typeET4_jRbjT5_SW_jjP12ihipStream_tbEUlT_E2_NS1_11comp_targetILNS1_3genE8ELNS1_11target_archE1030ELNS1_3gpuE2ELNS1_3repE0EEENS1_30default_config_static_selectorELNS0_4arch9wavefront6targetE0EEEvSK_.has_dyn_sized_stack, 0
	.set _ZN7rocprim17ROCPRIM_400000_NS6detail17trampoline_kernelINS0_14default_configENS1_36segmented_radix_sort_config_selectorIdlEEZNS1_25segmented_radix_sort_implIS3_Lb0EPKdPdPKlPlN2at6native12_GLOBAL__N_18offset_tEEE10hipError_tPvRmT1_PNSt15iterator_traitsISK_E10value_typeET2_T3_PNSL_ISQ_E10value_typeET4_jRbjT5_SW_jjP12ihipStream_tbEUlT_E2_NS1_11comp_targetILNS1_3genE8ELNS1_11target_archE1030ELNS1_3gpuE2ELNS1_3repE0EEENS1_30default_config_static_selectorELNS0_4arch9wavefront6targetE0EEEvSK_.has_recursion, 0
	.set _ZN7rocprim17ROCPRIM_400000_NS6detail17trampoline_kernelINS0_14default_configENS1_36segmented_radix_sort_config_selectorIdlEEZNS1_25segmented_radix_sort_implIS3_Lb0EPKdPdPKlPlN2at6native12_GLOBAL__N_18offset_tEEE10hipError_tPvRmT1_PNSt15iterator_traitsISK_E10value_typeET2_T3_PNSL_ISQ_E10value_typeET4_jRbjT5_SW_jjP12ihipStream_tbEUlT_E2_NS1_11comp_targetILNS1_3genE8ELNS1_11target_archE1030ELNS1_3gpuE2ELNS1_3repE0EEENS1_30default_config_static_selectorELNS0_4arch9wavefront6targetE0EEEvSK_.has_indirect_call, 0
	.section	.AMDGPU.csdata,"",@progbits
; Kernel info:
; codeLenInByte = 0
; TotalNumSgprs: 0
; NumVgprs: 0
; ScratchSize: 0
; MemoryBound: 0
; FloatMode: 240
; IeeeMode: 1
; LDSByteSize: 0 bytes/workgroup (compile time only)
; SGPRBlocks: 0
; VGPRBlocks: 0
; NumSGPRsForWavesPerEU: 1
; NumVGPRsForWavesPerEU: 1
; NamedBarCnt: 0
; Occupancy: 16
; WaveLimiterHint : 0
; COMPUTE_PGM_RSRC2:SCRATCH_EN: 0
; COMPUTE_PGM_RSRC2:USER_SGPR: 2
; COMPUTE_PGM_RSRC2:TRAP_HANDLER: 0
; COMPUTE_PGM_RSRC2:TGID_X_EN: 1
; COMPUTE_PGM_RSRC2:TGID_Y_EN: 0
; COMPUTE_PGM_RSRC2:TGID_Z_EN: 0
; COMPUTE_PGM_RSRC2:TIDIG_COMP_CNT: 0
	.section	.text._ZN2at6native12_GLOBAL__N_123sort_postprocess_kernelIfEEvPKT_PS3_PlPK15HIP_vector_typeIiLj2EEii,"axG",@progbits,_ZN2at6native12_GLOBAL__N_123sort_postprocess_kernelIfEEvPKT_PS3_PlPK15HIP_vector_typeIiLj2EEii,comdat
	.globl	_ZN2at6native12_GLOBAL__N_123sort_postprocess_kernelIfEEvPKT_PS3_PlPK15HIP_vector_typeIiLj2EEii ; -- Begin function _ZN2at6native12_GLOBAL__N_123sort_postprocess_kernelIfEEvPKT_PS3_PlPK15HIP_vector_typeIiLj2EEii
	.p2align	8
	.type	_ZN2at6native12_GLOBAL__N_123sort_postprocess_kernelIfEEvPKT_PS3_PlPK15HIP_vector_typeIiLj2EEii,@function
_ZN2at6native12_GLOBAL__N_123sort_postprocess_kernelIfEEvPKT_PS3_PlPK15HIP_vector_typeIiLj2EEii: ; @_ZN2at6native12_GLOBAL__N_123sort_postprocess_kernelIfEEvPKT_PS3_PlPK15HIP_vector_typeIiLj2EEii
; %bb.0:
	s_clause 0x1
	s_load_b32 s2, s[0:1], 0x34
	s_load_b64 s[4:5], s[0:1], 0x20
	s_bfe_u32 s7, ttmp6, 0x4000c
	s_and_b32 s6, ttmp6, 15
	s_add_co_i32 s7, s7, 1
	s_getreg_b32 s8, hwreg(HW_REG_IB_STS2, 6, 4)
	s_mul_i32 s7, ttmp9, s7
	s_mov_b32 s3, 0
	s_add_co_i32 s6, s6, s7
	s_cmp_eq_u32 s8, 0
	v_mov_b32_e32 v1, 0
	s_mov_b32 s19, s3
	s_cselect_b32 s18, ttmp9, s6
	s_mov_b32 s17, s3
	s_wait_kmcnt 0x0
	s_and_b32 s16, s2, 0xffff
	s_mul_i32 s14, s5, s4
	s_mul_u64 s[12:13], s[16:17], s[18:19]
	s_ashr_i32 s15, s14, 31
	v_add_nc_u64_e32 v[2:3], s[12:13], v[0:1]
	s_mov_b32 s2, exec_lo
	s_delay_alu instid0(VALU_DEP_1)
	v_cmpx_gt_i64_e64 s[14:15], v[2:3]
	s_cbranch_execz .LBB1254_3
; %bb.1:
	s_abs_i32 s17, s5
	s_add_nc_u64 s[20:21], s[0:1], 40
	s_cvt_f32_u32 s2, s17
	s_sub_co_i32 s19, 0, s17
	s_mul_i32 s18, s18, s16
	s_delay_alu instid0(SALU_CYCLE_1)
	v_rcp_iflag_f32_e32 v2, s2
	s_load_b32 s2, s[20:21], 0x0
	s_load_b256 s[4:11], s[0:1], 0x0
	s_wait_xcnt 0x0
	s_mov_b32 s1, s3
	v_nop
	s_delay_alu instid0(TRANS32_DEP_1) | instskip(SKIP_2) | instid1(SALU_CYCLE_3)
	v_readfirstlane_b32 s0, v2
	v_mov_b64_e32 v[2:3], v[0:1]
	s_mul_f32 s0, s0, 0x4f7ffffe
	s_cvt_u32_f32 s0, s0
	s_wait_kmcnt 0x0
	s_mul_i32 s2, s2, s16
	s_delay_alu instid0(SALU_CYCLE_1) | instskip(SKIP_2) | instid1(SALU_CYCLE_1)
	s_mul_i32 s19, s19, s0
	s_mov_b32 s16, s3
	s_mul_hi_u32 s19, s0, s19
	s_add_co_i32 s0, s0, s19
.LBB1254_2:                             ; =>This Inner Loop Header: Depth=1
	v_add_nc_u32_e32 v6, s18, v2
	v_add_nc_u64_e32 v[2:3], s[2:3], v[2:3]
	s_delay_alu instid0(VALU_DEP_2) | instskip(NEXT) | instid1(VALU_DEP_1)
	v_sub_nc_u32_e32 v0, 0, v6
	v_max_i32_e32 v0, v6, v0
	s_delay_alu instid0(VALU_DEP_1) | instskip(NEXT) | instid1(VALU_DEP_1)
	v_mul_u64_e32 v[4:5], s[0:1], v[0:1]
	v_mul_lo_u32 v4, v5, s17
	s_delay_alu instid0(VALU_DEP_1) | instskip(NEXT) | instid1(VALU_DEP_1)
	v_dual_sub_nc_u32 v0, v0, v4 :: v_dual_ashrrev_i32 v7, 31, v6
	v_subrev_nc_u32_e32 v4, s17, v0
	v_cmp_le_u32_e32 vcc_lo, s17, v0
	s_delay_alu instid0(VALU_DEP_2) | instskip(NEXT) | instid1(VALU_DEP_1)
	v_cndmask_b32_e32 v0, v0, v4, vcc_lo
	v_subrev_nc_u32_e32 v4, s17, v0
	v_cmp_le_u32_e32 vcc_lo, s17, v0
	s_delay_alu instid0(VALU_DEP_2) | instskip(NEXT) | instid1(VALU_DEP_1)
	v_dual_cndmask_b32 v0, v0, v4, vcc_lo :: v_dual_add_nc_u32 v4, v6, v7
	v_xor_b32_e32 v0, v0, v7
	s_delay_alu instid0(VALU_DEP_1) | instskip(NEXT) | instid1(VALU_DEP_1)
	v_sub_nc_u32_e32 v4, v4, v0
	v_dual_sub_nc_u32 v6, v0, v7 :: v_dual_ashrrev_i32 v5, 31, v4
	s_delay_alu instid0(VALU_DEP_1) | instskip(NEXT) | instid1(VALU_DEP_2)
	v_ashrrev_i32_e32 v7, 31, v6
	v_lshlrev_b64_e32 v[8:9], 3, v[4:5]
	s_delay_alu instid0(VALU_DEP_2) | instskip(SKIP_1) | instid1(VALU_DEP_3)
	v_lshlrev_b64_e32 v[10:11], 3, v[6:7]
	v_lshlrev_b64_e32 v[4:5], 2, v[4:5]
	v_add_nc_u64_e32 v[12:13], s[10:11], v[8:9]
	v_add_nc_u64_e32 v[8:9], s[8:9], v[8:9]
	s_delay_alu instid0(VALU_DEP_3) | instskip(SKIP_1) | instid1(VALU_DEP_4)
	v_add_nc_u64_e32 v[14:15], s[4:5], v[4:5]
	v_add_nc_u64_e32 v[4:5], s[6:7], v[4:5]
	;; [unrolled: 1-line block ×3, first 2 shown]
	s_delay_alu instid0(VALU_DEP_4) | instskip(NEXT) | instid1(VALU_DEP_3)
	v_add_nc_u64_e32 v[8:9], v[8:9], v[10:11]
	v_lshl_add_u64 v[4:5], v[6:7], 2, v[4:5]
	global_load_b32 v12, v[12:13], off offset:4
	s_wait_loadcnt 0x0
	s_wait_xcnt 0x0
	v_ashrrev_i32_e32 v13, 31, v12
	s_delay_alu instid0(VALU_DEP_1)
	v_lshl_add_u64 v[14:15], v[12:13], 2, v[14:15]
	global_load_b32 v0, v[14:15], off
	s_wait_xcnt 0x0
	v_add_nc_u64_e32 v[14:15], s[12:13], v[2:3]
	global_store_b64 v[8:9], v[12:13], off
	s_wait_loadcnt 0x0
	global_store_b32 v[4:5], v0, off
	v_cmp_le_i64_e32 vcc_lo, s[14:15], v[14:15]
	s_or_b32 s16, vcc_lo, s16
	s_wait_xcnt 0x0
	s_and_not1_b32 exec_lo, exec_lo, s16
	s_cbranch_execnz .LBB1254_2
.LBB1254_3:
	s_endpgm
	.section	.rodata,"a",@progbits
	.p2align	6, 0x0
	.amdhsa_kernel _ZN2at6native12_GLOBAL__N_123sort_postprocess_kernelIfEEvPKT_PS3_PlPK15HIP_vector_typeIiLj2EEii
		.amdhsa_group_segment_fixed_size 0
		.amdhsa_private_segment_fixed_size 0
		.amdhsa_kernarg_size 296
		.amdhsa_user_sgpr_count 2
		.amdhsa_user_sgpr_dispatch_ptr 0
		.amdhsa_user_sgpr_queue_ptr 0
		.amdhsa_user_sgpr_kernarg_segment_ptr 1
		.amdhsa_user_sgpr_dispatch_id 0
		.amdhsa_user_sgpr_kernarg_preload_length 0
		.amdhsa_user_sgpr_kernarg_preload_offset 0
		.amdhsa_user_sgpr_private_segment_size 0
		.amdhsa_wavefront_size32 1
		.amdhsa_uses_dynamic_stack 0
		.amdhsa_enable_private_segment 0
		.amdhsa_system_sgpr_workgroup_id_x 1
		.amdhsa_system_sgpr_workgroup_id_y 0
		.amdhsa_system_sgpr_workgroup_id_z 0
		.amdhsa_system_sgpr_workgroup_info 0
		.amdhsa_system_vgpr_workitem_id 0
		.amdhsa_next_free_vgpr 16
		.amdhsa_next_free_sgpr 22
		.amdhsa_named_barrier_count 0
		.amdhsa_reserve_vcc 1
		.amdhsa_float_round_mode_32 0
		.amdhsa_float_round_mode_16_64 0
		.amdhsa_float_denorm_mode_32 3
		.amdhsa_float_denorm_mode_16_64 3
		.amdhsa_fp16_overflow 0
		.amdhsa_memory_ordered 1
		.amdhsa_forward_progress 1
		.amdhsa_inst_pref_size 5
		.amdhsa_round_robin_scheduling 0
		.amdhsa_exception_fp_ieee_invalid_op 0
		.amdhsa_exception_fp_denorm_src 0
		.amdhsa_exception_fp_ieee_div_zero 0
		.amdhsa_exception_fp_ieee_overflow 0
		.amdhsa_exception_fp_ieee_underflow 0
		.amdhsa_exception_fp_ieee_inexact 0
		.amdhsa_exception_int_div_zero 0
	.end_amdhsa_kernel
	.section	.text._ZN2at6native12_GLOBAL__N_123sort_postprocess_kernelIfEEvPKT_PS3_PlPK15HIP_vector_typeIiLj2EEii,"axG",@progbits,_ZN2at6native12_GLOBAL__N_123sort_postprocess_kernelIfEEvPKT_PS3_PlPK15HIP_vector_typeIiLj2EEii,comdat
.Lfunc_end1254:
	.size	_ZN2at6native12_GLOBAL__N_123sort_postprocess_kernelIfEEvPKT_PS3_PlPK15HIP_vector_typeIiLj2EEii, .Lfunc_end1254-_ZN2at6native12_GLOBAL__N_123sort_postprocess_kernelIfEEvPKT_PS3_PlPK15HIP_vector_typeIiLj2EEii
                                        ; -- End function
	.set _ZN2at6native12_GLOBAL__N_123sort_postprocess_kernelIfEEvPKT_PS3_PlPK15HIP_vector_typeIiLj2EEii.num_vgpr, 16
	.set _ZN2at6native12_GLOBAL__N_123sort_postprocess_kernelIfEEvPKT_PS3_PlPK15HIP_vector_typeIiLj2EEii.num_agpr, 0
	.set _ZN2at6native12_GLOBAL__N_123sort_postprocess_kernelIfEEvPKT_PS3_PlPK15HIP_vector_typeIiLj2EEii.numbered_sgpr, 22
	.set _ZN2at6native12_GLOBAL__N_123sort_postprocess_kernelIfEEvPKT_PS3_PlPK15HIP_vector_typeIiLj2EEii.num_named_barrier, 0
	.set _ZN2at6native12_GLOBAL__N_123sort_postprocess_kernelIfEEvPKT_PS3_PlPK15HIP_vector_typeIiLj2EEii.private_seg_size, 0
	.set _ZN2at6native12_GLOBAL__N_123sort_postprocess_kernelIfEEvPKT_PS3_PlPK15HIP_vector_typeIiLj2EEii.uses_vcc, 1
	.set _ZN2at6native12_GLOBAL__N_123sort_postprocess_kernelIfEEvPKT_PS3_PlPK15HIP_vector_typeIiLj2EEii.uses_flat_scratch, 0
	.set _ZN2at6native12_GLOBAL__N_123sort_postprocess_kernelIfEEvPKT_PS3_PlPK15HIP_vector_typeIiLj2EEii.has_dyn_sized_stack, 0
	.set _ZN2at6native12_GLOBAL__N_123sort_postprocess_kernelIfEEvPKT_PS3_PlPK15HIP_vector_typeIiLj2EEii.has_recursion, 0
	.set _ZN2at6native12_GLOBAL__N_123sort_postprocess_kernelIfEEvPKT_PS3_PlPK15HIP_vector_typeIiLj2EEii.has_indirect_call, 0
	.section	.AMDGPU.csdata,"",@progbits
; Kernel info:
; codeLenInByte = 516
; TotalNumSgprs: 24
; NumVgprs: 16
; ScratchSize: 0
; MemoryBound: 0
; FloatMode: 240
; IeeeMode: 1
; LDSByteSize: 0 bytes/workgroup (compile time only)
; SGPRBlocks: 0
; VGPRBlocks: 0
; NumSGPRsForWavesPerEU: 24
; NumVGPRsForWavesPerEU: 16
; NamedBarCnt: 0
; Occupancy: 16
; WaveLimiterHint : 1
; COMPUTE_PGM_RSRC2:SCRATCH_EN: 0
; COMPUTE_PGM_RSRC2:USER_SGPR: 2
; COMPUTE_PGM_RSRC2:TRAP_HANDLER: 0
; COMPUTE_PGM_RSRC2:TGID_X_EN: 1
; COMPUTE_PGM_RSRC2:TGID_Y_EN: 0
; COMPUTE_PGM_RSRC2:TGID_Z_EN: 0
; COMPUTE_PGM_RSRC2:TIDIG_COMP_CNT: 0
	.section	.text._ZN7rocprim17ROCPRIM_400000_NS6detail17trampoline_kernelINS0_13select_configILj256ELj13ELNS0_17block_load_methodE3ELS4_3ELS4_3ELNS0_20block_scan_algorithmE0ELj4294967295EEENS1_25partition_config_selectorILNS1_17partition_subalgoE4EjNS0_10empty_typeEbEEZZNS1_14partition_implILS8_4ELb0ES6_15HIP_vector_typeIjLj2EENS0_17counting_iteratorIjlEEPS9_SG_NS0_5tupleIJPjSI_NS0_16reverse_iteratorISI_EEEEENSH_IJSG_SG_SG_EEES9_SI_JZNS1_25segmented_radix_sort_implINS0_14default_configELb1EPKfPfPKlPlN2at6native12_GLOBAL__N_18offset_tEEE10hipError_tPvRmT1_PNSt15iterator_traitsIS12_E10value_typeET2_T3_PNS13_IS18_E10value_typeET4_jRbjT5_S1E_jjP12ihipStream_tbEUljE_ZNSN_ISO_Lb1ESQ_SR_ST_SU_SY_EESZ_S10_S11_S12_S16_S17_S18_S1B_S1C_jS1D_jS1E_S1E_jjS1G_bEUljE0_EEESZ_S10_S11_S18_S1C_S1E_T6_T7_T9_mT8_S1G_bDpT10_ENKUlT_T0_E_clISt17integral_constantIbLb0EES1U_EEDaS1P_S1Q_EUlS1P_E_NS1_11comp_targetILNS1_3genE0ELNS1_11target_archE4294967295ELNS1_3gpuE0ELNS1_3repE0EEENS1_30default_config_static_selectorELNS0_4arch9wavefront6targetE0EEEvS12_,"axG",@progbits,_ZN7rocprim17ROCPRIM_400000_NS6detail17trampoline_kernelINS0_13select_configILj256ELj13ELNS0_17block_load_methodE3ELS4_3ELS4_3ELNS0_20block_scan_algorithmE0ELj4294967295EEENS1_25partition_config_selectorILNS1_17partition_subalgoE4EjNS0_10empty_typeEbEEZZNS1_14partition_implILS8_4ELb0ES6_15HIP_vector_typeIjLj2EENS0_17counting_iteratorIjlEEPS9_SG_NS0_5tupleIJPjSI_NS0_16reverse_iteratorISI_EEEEENSH_IJSG_SG_SG_EEES9_SI_JZNS1_25segmented_radix_sort_implINS0_14default_configELb1EPKfPfPKlPlN2at6native12_GLOBAL__N_18offset_tEEE10hipError_tPvRmT1_PNSt15iterator_traitsIS12_E10value_typeET2_T3_PNS13_IS18_E10value_typeET4_jRbjT5_S1E_jjP12ihipStream_tbEUljE_ZNSN_ISO_Lb1ESQ_SR_ST_SU_SY_EESZ_S10_S11_S12_S16_S17_S18_S1B_S1C_jS1D_jS1E_S1E_jjS1G_bEUljE0_EEESZ_S10_S11_S18_S1C_S1E_T6_T7_T9_mT8_S1G_bDpT10_ENKUlT_T0_E_clISt17integral_constantIbLb0EES1U_EEDaS1P_S1Q_EUlS1P_E_NS1_11comp_targetILNS1_3genE0ELNS1_11target_archE4294967295ELNS1_3gpuE0ELNS1_3repE0EEENS1_30default_config_static_selectorELNS0_4arch9wavefront6targetE0EEEvS12_,comdat
	.globl	_ZN7rocprim17ROCPRIM_400000_NS6detail17trampoline_kernelINS0_13select_configILj256ELj13ELNS0_17block_load_methodE3ELS4_3ELS4_3ELNS0_20block_scan_algorithmE0ELj4294967295EEENS1_25partition_config_selectorILNS1_17partition_subalgoE4EjNS0_10empty_typeEbEEZZNS1_14partition_implILS8_4ELb0ES6_15HIP_vector_typeIjLj2EENS0_17counting_iteratorIjlEEPS9_SG_NS0_5tupleIJPjSI_NS0_16reverse_iteratorISI_EEEEENSH_IJSG_SG_SG_EEES9_SI_JZNS1_25segmented_radix_sort_implINS0_14default_configELb1EPKfPfPKlPlN2at6native12_GLOBAL__N_18offset_tEEE10hipError_tPvRmT1_PNSt15iterator_traitsIS12_E10value_typeET2_T3_PNS13_IS18_E10value_typeET4_jRbjT5_S1E_jjP12ihipStream_tbEUljE_ZNSN_ISO_Lb1ESQ_SR_ST_SU_SY_EESZ_S10_S11_S12_S16_S17_S18_S1B_S1C_jS1D_jS1E_S1E_jjS1G_bEUljE0_EEESZ_S10_S11_S18_S1C_S1E_T6_T7_T9_mT8_S1G_bDpT10_ENKUlT_T0_E_clISt17integral_constantIbLb0EES1U_EEDaS1P_S1Q_EUlS1P_E_NS1_11comp_targetILNS1_3genE0ELNS1_11target_archE4294967295ELNS1_3gpuE0ELNS1_3repE0EEENS1_30default_config_static_selectorELNS0_4arch9wavefront6targetE0EEEvS12_ ; -- Begin function _ZN7rocprim17ROCPRIM_400000_NS6detail17trampoline_kernelINS0_13select_configILj256ELj13ELNS0_17block_load_methodE3ELS4_3ELS4_3ELNS0_20block_scan_algorithmE0ELj4294967295EEENS1_25partition_config_selectorILNS1_17partition_subalgoE4EjNS0_10empty_typeEbEEZZNS1_14partition_implILS8_4ELb0ES6_15HIP_vector_typeIjLj2EENS0_17counting_iteratorIjlEEPS9_SG_NS0_5tupleIJPjSI_NS0_16reverse_iteratorISI_EEEEENSH_IJSG_SG_SG_EEES9_SI_JZNS1_25segmented_radix_sort_implINS0_14default_configELb1EPKfPfPKlPlN2at6native12_GLOBAL__N_18offset_tEEE10hipError_tPvRmT1_PNSt15iterator_traitsIS12_E10value_typeET2_T3_PNS13_IS18_E10value_typeET4_jRbjT5_S1E_jjP12ihipStream_tbEUljE_ZNSN_ISO_Lb1ESQ_SR_ST_SU_SY_EESZ_S10_S11_S12_S16_S17_S18_S1B_S1C_jS1D_jS1E_S1E_jjS1G_bEUljE0_EEESZ_S10_S11_S18_S1C_S1E_T6_T7_T9_mT8_S1G_bDpT10_ENKUlT_T0_E_clISt17integral_constantIbLb0EES1U_EEDaS1P_S1Q_EUlS1P_E_NS1_11comp_targetILNS1_3genE0ELNS1_11target_archE4294967295ELNS1_3gpuE0ELNS1_3repE0EEENS1_30default_config_static_selectorELNS0_4arch9wavefront6targetE0EEEvS12_
	.p2align	8
	.type	_ZN7rocprim17ROCPRIM_400000_NS6detail17trampoline_kernelINS0_13select_configILj256ELj13ELNS0_17block_load_methodE3ELS4_3ELS4_3ELNS0_20block_scan_algorithmE0ELj4294967295EEENS1_25partition_config_selectorILNS1_17partition_subalgoE4EjNS0_10empty_typeEbEEZZNS1_14partition_implILS8_4ELb0ES6_15HIP_vector_typeIjLj2EENS0_17counting_iteratorIjlEEPS9_SG_NS0_5tupleIJPjSI_NS0_16reverse_iteratorISI_EEEEENSH_IJSG_SG_SG_EEES9_SI_JZNS1_25segmented_radix_sort_implINS0_14default_configELb1EPKfPfPKlPlN2at6native12_GLOBAL__N_18offset_tEEE10hipError_tPvRmT1_PNSt15iterator_traitsIS12_E10value_typeET2_T3_PNS13_IS18_E10value_typeET4_jRbjT5_S1E_jjP12ihipStream_tbEUljE_ZNSN_ISO_Lb1ESQ_SR_ST_SU_SY_EESZ_S10_S11_S12_S16_S17_S18_S1B_S1C_jS1D_jS1E_S1E_jjS1G_bEUljE0_EEESZ_S10_S11_S18_S1C_S1E_T6_T7_T9_mT8_S1G_bDpT10_ENKUlT_T0_E_clISt17integral_constantIbLb0EES1U_EEDaS1P_S1Q_EUlS1P_E_NS1_11comp_targetILNS1_3genE0ELNS1_11target_archE4294967295ELNS1_3gpuE0ELNS1_3repE0EEENS1_30default_config_static_selectorELNS0_4arch9wavefront6targetE0EEEvS12_,@function
_ZN7rocprim17ROCPRIM_400000_NS6detail17trampoline_kernelINS0_13select_configILj256ELj13ELNS0_17block_load_methodE3ELS4_3ELS4_3ELNS0_20block_scan_algorithmE0ELj4294967295EEENS1_25partition_config_selectorILNS1_17partition_subalgoE4EjNS0_10empty_typeEbEEZZNS1_14partition_implILS8_4ELb0ES6_15HIP_vector_typeIjLj2EENS0_17counting_iteratorIjlEEPS9_SG_NS0_5tupleIJPjSI_NS0_16reverse_iteratorISI_EEEEENSH_IJSG_SG_SG_EEES9_SI_JZNS1_25segmented_radix_sort_implINS0_14default_configELb1EPKfPfPKlPlN2at6native12_GLOBAL__N_18offset_tEEE10hipError_tPvRmT1_PNSt15iterator_traitsIS12_E10value_typeET2_T3_PNS13_IS18_E10value_typeET4_jRbjT5_S1E_jjP12ihipStream_tbEUljE_ZNSN_ISO_Lb1ESQ_SR_ST_SU_SY_EESZ_S10_S11_S12_S16_S17_S18_S1B_S1C_jS1D_jS1E_S1E_jjS1G_bEUljE0_EEESZ_S10_S11_S18_S1C_S1E_T6_T7_T9_mT8_S1G_bDpT10_ENKUlT_T0_E_clISt17integral_constantIbLb0EES1U_EEDaS1P_S1Q_EUlS1P_E_NS1_11comp_targetILNS1_3genE0ELNS1_11target_archE4294967295ELNS1_3gpuE0ELNS1_3repE0EEENS1_30default_config_static_selectorELNS0_4arch9wavefront6targetE0EEEvS12_: ; @_ZN7rocprim17ROCPRIM_400000_NS6detail17trampoline_kernelINS0_13select_configILj256ELj13ELNS0_17block_load_methodE3ELS4_3ELS4_3ELNS0_20block_scan_algorithmE0ELj4294967295EEENS1_25partition_config_selectorILNS1_17partition_subalgoE4EjNS0_10empty_typeEbEEZZNS1_14partition_implILS8_4ELb0ES6_15HIP_vector_typeIjLj2EENS0_17counting_iteratorIjlEEPS9_SG_NS0_5tupleIJPjSI_NS0_16reverse_iteratorISI_EEEEENSH_IJSG_SG_SG_EEES9_SI_JZNS1_25segmented_radix_sort_implINS0_14default_configELb1EPKfPfPKlPlN2at6native12_GLOBAL__N_18offset_tEEE10hipError_tPvRmT1_PNSt15iterator_traitsIS12_E10value_typeET2_T3_PNS13_IS18_E10value_typeET4_jRbjT5_S1E_jjP12ihipStream_tbEUljE_ZNSN_ISO_Lb1ESQ_SR_ST_SU_SY_EESZ_S10_S11_S12_S16_S17_S18_S1B_S1C_jS1D_jS1E_S1E_jjS1G_bEUljE0_EEESZ_S10_S11_S18_S1C_S1E_T6_T7_T9_mT8_S1G_bDpT10_ENKUlT_T0_E_clISt17integral_constantIbLb0EES1U_EEDaS1P_S1Q_EUlS1P_E_NS1_11comp_targetILNS1_3genE0ELNS1_11target_archE4294967295ELNS1_3gpuE0ELNS1_3repE0EEENS1_30default_config_static_selectorELNS0_4arch9wavefront6targetE0EEEvS12_
; %bb.0:
	s_clause 0x4
	s_load_b128 s[24:27], s[0:1], 0x58
	s_load_b32 s4, s[0:1], 0x80
	s_load_b64 s[34:35], s[0:1], 0x10
	s_load_b64 s[2:3], s[0:1], 0x68
	s_load_b32 s8, s[0:1], 0x8
	s_bfe_u32 s5, ttmp6, 0x4000c
	s_and_b32 s6, ttmp6, 15
	s_add_co_i32 s5, s5, 1
	s_getreg_b32 s7, hwreg(HW_REG_IB_STS2, 6, 4)
	s_mul_i32 s5, ttmp9, s5
	s_load_b64 s[42:43], s[0:1], 0xa8
	s_add_co_i32 s6, s6, s5
	s_cmp_eq_u32 s7, 0
	s_load_b256 s[16:23], s[0:1], 0x88
	s_cselect_b32 s33, ttmp9, s6
	s_mov_b32 s5, 0
	s_mul_i32 s40, s33, 0xd00
	s_wait_kmcnt 0x0
	s_add_co_i32 s9, s4, -1
	s_mulk_i32 s4, 0xd00
	s_load_b128 s[28:31], s[26:27], 0x0
	s_cmp_eq_u32 s33, s9
	s_add_nc_u64 s[6:7], s[34:35], s[4:5]
	s_cselect_b32 s15, -1, 0
	s_cmp_lg_u32 s33, s9
	v_cmp_gt_u64_e64 s3, s[2:3], s[6:7]
	s_cselect_b32 s5, -1, 0
	s_add_co_i32 s6, s8, s40
	s_delay_alu instid0(SALU_CYCLE_1) | instskip(NEXT) | instid1(SALU_CYCLE_1)
	s_add_co_i32 s6, s6, s34
	v_add_nc_u32_e32 v1, s6, v0
	s_or_b32 s3, s5, s3
	s_mov_b32 s5, -1
	s_and_b32 vcc_lo, exec_lo, s3
	s_delay_alu instid0(VALU_DEP_1)
	v_add_nc_u32_e32 v2, 0x100, v1
	v_add_nc_u32_e32 v3, 0x200, v1
	v_add_nc_u32_e32 v4, 0x300, v1
	v_add_nc_u32_e32 v5, 0x400, v1
	v_add_nc_u32_e32 v6, 0x500, v1
	v_add_nc_u32_e32 v7, 0x600, v1
	v_add_nc_u32_e32 v8, 0x700, v1
	v_add_nc_u32_e32 v9, 0x800, v1
	v_add_nc_u32_e32 v10, 0x900, v1
	v_add_nc_u32_e32 v11, 0xa00, v1
	v_add_nc_u32_e32 v12, 0xb00, v1
	v_add_nc_u32_e32 v13, 0xc00, v1
	s_cbranch_vccz .LBB1255_2
; %bb.1:
	v_lshlrev_b32_e32 v14, 2, v0
	s_mov_b32 s5, 0
	ds_store_2addr_stride64_b32 v14, v1, v2 offset1:4
	ds_store_2addr_stride64_b32 v14, v3, v4 offset0:8 offset1:12
	ds_store_2addr_stride64_b32 v14, v5, v6 offset0:16 offset1:20
	;; [unrolled: 1-line block ×5, first 2 shown]
	ds_store_b32 v14, v13 offset:12288
	s_wait_dscnt 0x0
	s_barrier_signal -1
	s_barrier_wait -1
.LBB1255_2:
	s_and_not1_b32 vcc_lo, exec_lo, s5
	s_add_co_i32 s4, s4, s34
	s_cbranch_vccnz .LBB1255_4
; %bb.3:
	v_lshlrev_b32_e32 v14, 2, v0
	ds_store_2addr_stride64_b32 v14, v1, v2 offset1:4
	ds_store_2addr_stride64_b32 v14, v3, v4 offset0:8 offset1:12
	ds_store_2addr_stride64_b32 v14, v5, v6 offset0:16 offset1:20
	;; [unrolled: 1-line block ×5, first 2 shown]
	ds_store_b32 v14, v13 offset:12288
	s_wait_dscnt 0x0
	s_barrier_signal -1
	s_barrier_wait -1
.LBB1255_4:
	v_mul_u32_u24_e32 v30, 13, v0
	s_load_b128 s[36:39], s[0:1], 0x28
	s_wait_xcnt 0x0
	s_load_b64 s[26:27], s[0:1], 0x38
	v_cndmask_b32_e64 v29, 0, 1, s3
	s_sub_co_i32 s41, s2, s4
	v_lshlrev_b32_e32 v1, 2, v30
	s_and_not1_b32 vcc_lo, exec_lo, s3
	ds_load_b32 v28, v1 offset:48
	ds_load_2addr_b32 v[10:11], v1 offset0:10 offset1:11
	ds_load_2addr_b32 v[12:13], v1 offset0:8 offset1:9
	;; [unrolled: 1-line block ×4, first 2 shown]
	ds_load_2addr_b32 v[20:21], v1 offset1:1
	ds_load_2addr_b32 v[18:19], v1 offset0:2 offset1:3
	s_wait_dscnt 0x0
	s_barrier_signal -1
	s_barrier_wait -1
	s_cbranch_vccnz .LBB1255_32
; %bb.5:
	v_dual_add_nc_u32 v1, s17, v20 :: v_dual_add_nc_u32 v2, s19, v20
	s_mov_b32 s45, 0
	s_mov_b32 s44, 0
	s_mov_b32 s3, exec_lo
	s_delay_alu instid0(VALU_DEP_1) | instskip(SKIP_1) | instid1(VALU_DEP_1)
	v_mul_lo_u32 v1, v1, s16
	v_mul_lo_u32 v2, v2, s18
	v_sub_nc_u32_e32 v1, v1, v2
	s_delay_alu instid0(VALU_DEP_1)
	v_cmp_lt_u32_e32 vcc_lo, s20, v1
	v_cmpx_ge_u32_e64 s20, v1
	s_cbranch_execz .LBB1255_7
; %bb.6:
	v_dual_add_nc_u32 v1, s22, v20 :: v_dual_add_nc_u32 v2, s42, v20
	s_delay_alu instid0(VALU_DEP_1) | instskip(NEXT) | instid1(VALU_DEP_2)
	v_mul_lo_u32 v1, v1, s21
	v_mul_lo_u32 v2, v2, s23
	s_delay_alu instid0(VALU_DEP_1) | instskip(NEXT) | instid1(VALU_DEP_1)
	v_sub_nc_u32_e32 v1, v1, v2
	v_cmp_lt_u32_e64 s2, s43, v1
	s_and_b32 s44, s2, exec_lo
.LBB1255_7:
	s_or_b32 exec_lo, exec_lo, s3
	v_dual_add_nc_u32 v1, s17, v21 :: v_dual_add_nc_u32 v2, s19, v21
	s_mov_b32 s4, exec_lo
	s_delay_alu instid0(VALU_DEP_1) | instskip(NEXT) | instid1(VALU_DEP_2)
	v_mul_lo_u32 v1, v1, s16
	v_mul_lo_u32 v2, v2, s18
	s_delay_alu instid0(VALU_DEP_1) | instskip(NEXT) | instid1(VALU_DEP_1)
	v_sub_nc_u32_e32 v1, v1, v2
	v_cmp_lt_u32_e64 s2, s20, v1
	v_cmpx_ge_u32_e64 s20, v1
	s_cbranch_execz .LBB1255_9
; %bb.8:
	v_dual_add_nc_u32 v1, s22, v21 :: v_dual_add_nc_u32 v2, s42, v21
	s_delay_alu instid0(VALU_DEP_1) | instskip(NEXT) | instid1(VALU_DEP_2)
	v_mul_lo_u32 v1, v1, s21
	v_mul_lo_u32 v2, v2, s23
	s_delay_alu instid0(VALU_DEP_1) | instskip(NEXT) | instid1(VALU_DEP_1)
	v_sub_nc_u32_e32 v1, v1, v2
	v_cmp_lt_u32_e64 s3, s43, v1
	s_and_b32 s45, s3, exec_lo
.LBB1255_9:
	s_or_b32 exec_lo, exec_lo, s4
	v_dual_add_nc_u32 v1, s17, v18 :: v_dual_add_nc_u32 v2, s19, v18
	s_mov_b32 s47, 0
	s_mov_b32 s46, 0
	s_mov_b32 s5, exec_lo
	s_delay_alu instid0(VALU_DEP_1) | instskip(SKIP_1) | instid1(VALU_DEP_1)
	v_mul_lo_u32 v1, v1, s16
	v_mul_lo_u32 v2, v2, s18
	v_sub_nc_u32_e32 v1, v1, v2
	s_delay_alu instid0(VALU_DEP_1)
	v_cmp_lt_u32_e64 s3, s20, v1
	v_cmpx_ge_u32_e64 s20, v1
	s_cbranch_execz .LBB1255_11
; %bb.10:
	v_dual_add_nc_u32 v1, s22, v18 :: v_dual_add_nc_u32 v2, s42, v18
	s_delay_alu instid0(VALU_DEP_1) | instskip(NEXT) | instid1(VALU_DEP_2)
	v_mul_lo_u32 v1, v1, s21
	v_mul_lo_u32 v2, v2, s23
	s_delay_alu instid0(VALU_DEP_1) | instskip(NEXT) | instid1(VALU_DEP_1)
	v_sub_nc_u32_e32 v1, v1, v2
	v_cmp_lt_u32_e64 s4, s43, v1
	s_and_b32 s46, s4, exec_lo
.LBB1255_11:
	s_or_b32 exec_lo, exec_lo, s5
	v_dual_add_nc_u32 v1, s17, v19 :: v_dual_add_nc_u32 v2, s19, v19
	s_mov_b32 s6, exec_lo
	s_delay_alu instid0(VALU_DEP_1) | instskip(NEXT) | instid1(VALU_DEP_2)
	v_mul_lo_u32 v1, v1, s16
	v_mul_lo_u32 v2, v2, s18
	s_delay_alu instid0(VALU_DEP_1) | instskip(NEXT) | instid1(VALU_DEP_1)
	v_sub_nc_u32_e32 v1, v1, v2
	v_cmp_lt_u32_e64 s4, s20, v1
	v_cmpx_ge_u32_e64 s20, v1
	s_cbranch_execz .LBB1255_13
; %bb.12:
	v_dual_add_nc_u32 v1, s22, v19 :: v_dual_add_nc_u32 v2, s42, v19
	s_delay_alu instid0(VALU_DEP_1) | instskip(NEXT) | instid1(VALU_DEP_2)
	v_mul_lo_u32 v1, v1, s21
	v_mul_lo_u32 v2, v2, s23
	s_delay_alu instid0(VALU_DEP_1) | instskip(NEXT) | instid1(VALU_DEP_1)
	v_sub_nc_u32_e32 v1, v1, v2
	v_cmp_lt_u32_e64 s5, s43, v1
	s_and_b32 s47, s5, exec_lo
.LBB1255_13:
	s_or_b32 exec_lo, exec_lo, s6
	v_dual_add_nc_u32 v1, s17, v16 :: v_dual_add_nc_u32 v2, s19, v16
	s_mov_b32 s49, 0
	s_mov_b32 s48, 0
	s_mov_b32 s7, exec_lo
	s_delay_alu instid0(VALU_DEP_1) | instskip(SKIP_1) | instid1(VALU_DEP_1)
	v_mul_lo_u32 v1, v1, s16
	v_mul_lo_u32 v2, v2, s18
	v_sub_nc_u32_e32 v1, v1, v2
	s_delay_alu instid0(VALU_DEP_1)
	v_cmp_lt_u32_e64 s5, s20, v1
	;; [unrolled: 44-line block ×6, first 2 shown]
	v_cmpx_ge_u32_e64 s20, v1
	s_cbranch_execz .LBB1255_31
; %bb.30:
	v_dual_add_nc_u32 v1, s22, v28 :: v_dual_add_nc_u32 v2, s42, v28
	s_delay_alu instid0(VALU_DEP_1) | instskip(NEXT) | instid1(VALU_DEP_2)
	v_mul_lo_u32 v1, v1, s21
	v_mul_lo_u32 v2, v2, s23
	s_delay_alu instid0(VALU_DEP_1) | instskip(NEXT) | instid1(VALU_DEP_1)
	v_sub_nc_u32_e32 v1, v1, v2
	v_cmp_lt_u32_e64 s14, s43, v1
	s_and_b32 s57, s14, exec_lo
.LBB1255_31:
	s_or_b32 exec_lo, exec_lo, s58
	v_cndmask_b32_e64 v2, 0, 1, s2
	v_cndmask_b32_e64 v4, 0, 1, s4
	v_cndmask_b32_e64 v1, 0, 1, vcc_lo
	v_cndmask_b32_e64 v3, 0, 1, s3
	v_cndmask_b32_e64 v6, 0, 1, s6
	v_lshlrev_b16 v2, 8, v2
	v_lshlrev_b16 v4, 8, v4
	v_cndmask_b32_e64 v8, 0, 1, s8
	v_cndmask_b32_e64 v22, 0, 1, s10
	;; [unrolled: 1-line block ×3, first 2 shown]
	v_or_b32_e32 v1, v1, v2
	v_or_b32_e32 v2, v3, v4
	v_cndmask_b32_e64 v4, 0, 1, s46
	v_cndmask_b32_e64 v5, 0, 1, s5
	;; [unrolled: 1-line block ×4, first 2 shown]
	v_lshlrev_b32_e32 v2, 16, v2
	v_and_b32_e32 v1, 0xffff, v1
	v_cndmask_b32_e64 v33, 0, 1, s50
	v_cndmask_b32_e64 v36, 0, 1, s48
	;; [unrolled: 1-line block ×4, first 2 shown]
	v_or_b32_e32 v31, v1, v2
	v_lshlrev_b16 v1, 8, v6
	v_lshlrev_b16 v2, 8, v8
	;; [unrolled: 1-line block ×5, first 2 shown]
	v_cndmask_b32_e64 v7, 0, 1, s7
	v_cndmask_b32_e64 v24, 0, 1, s56
	;; [unrolled: 1-line block ×6, first 2 shown]
	v_lshlrev_b16 v22, 8, v39
	v_or_b32_e32 v4, v37, v4
	v_or_b32_e32 v1, v5, v1
	;; [unrolled: 1-line block ×4, first 2 shown]
	v_lshlrev_b16 v8, 8, v36
	v_lshlrev_b16 v9, 8, v33
	v_cndmask_b32_e64 v26, 0, 1, s54
	v_cndmask_b32_e64 v32, 0, 1, s51
	v_lshlrev_b16 v23, 8, v24
	v_or_b32_e32 v3, v3, v8
	v_or_b32_e32 v8, v35, v9
	;; [unrolled: 1-line block ×4, first 2 shown]
	v_lshlrev_b16 v22, 8, v27
	v_and_b32_e32 v5, 0xffff, v5
	v_lshlrev_b32_e32 v4, 16, v4
	v_and_b32_e32 v1, 0xffff, v1
	v_and_b32_e32 v7, 0xffff, v7
	v_or_b32_e32 v9, v32, v22
	v_or_b32_e32 v22, v26, v23
	v_and_b32_e32 v3, 0xffff, v3
	v_dual_lshlrev_b32 v8, 16, v8 :: v_dual_lshlrev_b32 v2, 16, v2
	s_delay_alu instid0(VALU_DEP_4) | instskip(NEXT) | instid1(VALU_DEP_4)
	v_and_b32_e32 v9, 0xffff, v9
	v_lshlrev_b32_e32 v22, 16, v22
	v_lshlrev_b32_e32 v6, 16, v6
	v_cndmask_b32_e64 v34, 0, 1, s55
	v_cndmask_b32_e64 v38, 0, 1, s57
	v_or_b32_e32 v33, v1, v2
	v_or_b32_e32 v37, v7, v4
	;; [unrolled: 1-line block ×5, first 2 shown]
	s_load_b64 s[4:5], s[0:1], 0x78
	s_and_b32 vcc_lo, exec_lo, s52
	s_add_co_i32 s6, s41, 0xd00
	s_cbranch_vccnz .LBB1255_33
	s_branch .LBB1255_110
.LBB1255_32:
                                        ; implicit-def: $vgpr38
                                        ; implicit-def: $vgpr34
                                        ; implicit-def: $vgpr35
                                        ; implicit-def: $vgpr32
                                        ; implicit-def: $vgpr37
                                        ; implicit-def: $vgpr36
                                        ; implicit-def: $vgpr33
                                        ; implicit-def: $vgpr31
	s_load_b64 s[4:5], s[0:1], 0x78
	s_add_co_i32 s6, s41, 0xd00
	s_cbranch_execz .LBB1255_110
.LBB1255_33:
	v_dual_mov_b32 v2, 0 :: v_dual_mov_b32 v1, 0
	s_wait_xcnt 0x0
	s_mov_b32 s1, exec_lo
	v_cmpx_gt_u32_e64 s6, v30
	s_cbranch_execz .LBB1255_37
; %bb.34:
	v_dual_add_nc_u32 v1, s17, v20 :: v_dual_add_nc_u32 v2, s19, v20
	s_mov_b32 s3, 0
	s_mov_b32 s2, exec_lo
	s_delay_alu instid0(VALU_DEP_1) | instskip(NEXT) | instid1(VALU_DEP_2)
	v_mul_lo_u32 v1, v1, s16
	v_mul_lo_u32 v2, v2, s18
	s_delay_alu instid0(VALU_DEP_1) | instskip(NEXT) | instid1(VALU_DEP_1)
	v_sub_nc_u32_e32 v1, v1, v2
	v_cmp_lt_u32_e32 vcc_lo, s20, v1
	v_cmpx_ge_u32_e64 s20, v1
	s_cbranch_execz .LBB1255_36
; %bb.35:
	v_dual_add_nc_u32 v1, s22, v20 :: v_dual_add_nc_u32 v2, s42, v20
	s_delay_alu instid0(VALU_DEP_1) | instskip(NEXT) | instid1(VALU_DEP_2)
	v_mul_lo_u32 v1, v1, s21
	v_mul_lo_u32 v2, v2, s23
	s_delay_alu instid0(VALU_DEP_1) | instskip(NEXT) | instid1(VALU_DEP_1)
	v_sub_nc_u32_e32 v1, v1, v2
	v_cmp_lt_u32_e64 s0, s43, v1
	s_and_b32 s3, s0, exec_lo
.LBB1255_36:
	s_or_b32 exec_lo, exec_lo, s2
	v_cndmask_b32_e64 v2, 0, 1, s3
	v_cndmask_b32_e64 v1, 0, 1, vcc_lo
.LBB1255_37:
	s_or_b32 exec_lo, exec_lo, s1
	s_delay_alu instid0(VALU_DEP_2) | instskip(SKIP_2) | instid1(VALU_DEP_3)
	v_lshlrev_b16 v2, 8, v2
	v_add_nc_u32_e32 v3, 1, v30
	v_lshlrev_b16 v9, 8, 0
                                        ; implicit-def: $vgpr5
                                        ; implicit-def: $vgpr7
                                        ; implicit-def: $vgpr4
                                        ; implicit-def: $vgpr8
	v_and_b32_e32 v6, 0xffff, v2
	s_delay_alu instid0(VALU_DEP_3) | instskip(NEXT) | instid1(VALU_DEP_2)
	v_cmp_le_u32_e32 vcc_lo, s6, v3
                                        ; implicit-def: $vgpr3
                                        ; implicit-def: $vgpr2
	v_lshrrev_b32_e32 v22, 8, v6
	s_and_saveexec_b32 s0, vcc_lo
	s_delay_alu instid0(SALU_CYCLE_1)
	s_xor_b32 s0, exec_lo, s0
	s_cbranch_execz .LBB1255_39
; %bb.38:
	s_delay_alu instid0(VALU_DEP_1) | instskip(SKIP_3) | instid1(VALU_DEP_4)
	v_lshlrev_b16 v2, 8, v22
	v_bitop3_b16 v3, 0, v9, 0xff bitop3:0xec
	v_and_b32_e32 v8, 0xff, v1
                                        ; implicit-def: $vgpr1
                                        ; implicit-def: $vgpr9
                                        ; implicit-def: $vgpr22
	v_mov_b32_e32 v5, 0
	v_bitop3_b16 v6, v6, v2, 0xff bitop3:0xec
	v_mov_b32_e32 v2, 0
	v_and_b32_e32 v4, 0xffff, v3
	v_and_b32_e32 v3, 0xffff, v3
	s_delay_alu instid0(VALU_DEP_4)
	v_and_b32_e32 v7, 0xffff, v6
                                        ; implicit-def: $vgpr6
.LBB1255_39:
	s_and_not1_saveexec_b32 s1, s0
	s_cbranch_execz .LBB1255_43
; %bb.40:
	v_dual_add_nc_u32 v2, s17, v21 :: v_dual_add_nc_u32 v3, s19, v21
	s_mov_b32 s2, 0
	s_mov_b32 s3, exec_lo
	s_delay_alu instid0(VALU_DEP_1) | instskip(NEXT) | instid1(VALU_DEP_2)
	v_mul_lo_u32 v2, v2, s16
	v_mul_lo_u32 v3, v3, s18
	s_delay_alu instid0(VALU_DEP_1) | instskip(NEXT) | instid1(VALU_DEP_1)
	v_sub_nc_u32_e32 v2, v2, v3
	v_cmp_lt_u32_e32 vcc_lo, s20, v2
	v_cmpx_ge_u32_e64 s20, v2
	s_cbranch_execz .LBB1255_42
; %bb.41:
	v_dual_add_nc_u32 v2, s22, v21 :: v_dual_add_nc_u32 v3, s42, v21
	s_delay_alu instid0(VALU_DEP_1) | instskip(NEXT) | instid1(VALU_DEP_2)
	v_mul_lo_u32 v2, v2, s21
	v_mul_lo_u32 v3, v3, s23
	s_delay_alu instid0(VALU_DEP_1) | instskip(NEXT) | instid1(VALU_DEP_1)
	v_sub_nc_u32_e32 v2, v2, v3
	v_cmp_lt_u32_e64 s0, s43, v2
	s_and_b32 s2, s0, exec_lo
.LBB1255_42:
	s_or_b32 exec_lo, exec_lo, s3
	v_cndmask_b32_e64 v2, 0, 1, vcc_lo
	v_lshlrev_b16 v3, 8, v22
	v_cndmask_b32_e64 v7, 0, 1, s2
	v_mov_b32_e32 v5, 0
	s_delay_alu instid0(VALU_DEP_4) | instskip(NEXT) | instid1(VALU_DEP_4)
	v_lshlrev_b16 v2, 8, v2
	v_bitop3_b16 v3, v6, v3, 0xff bitop3:0xec
	v_bitop3_b16 v6, 0, v9, 0xff bitop3:0xec
	s_delay_alu instid0(VALU_DEP_3) | instskip(NEXT) | instid1(VALU_DEP_3)
	v_bitop3_b16 v1, v1, v2, 0xff bitop3:0xec
	v_and_b32_e32 v3, 0xffff, v3
	v_mov_b32_e32 v2, 0
	s_delay_alu instid0(VALU_DEP_4) | instskip(NEXT) | instid1(VALU_DEP_4)
	v_and_b32_e32 v4, 0xffff, v6
	v_and_b32_e32 v8, 0xffff, v1
	s_delay_alu instid0(VALU_DEP_4)
	v_lshl_or_b32 v7, v7, 16, v3
	v_and_b32_e32 v3, 0xffff, v6
.LBB1255_43:
	s_or_b32 exec_lo, exec_lo, s1
	s_delay_alu instid0(VALU_DEP_3) | instskip(NEXT) | instid1(VALU_DEP_1)
	v_dual_add_nc_u32 v1, 2, v30 :: v_dual_lshrrev_b32 v9, 8, v8
                                        ; implicit-def: $vgpr6
	v_cmp_le_u32_e32 vcc_lo, s6, v1
                                        ; implicit-def: $vgpr1
	s_and_saveexec_b32 s0, vcc_lo
	s_delay_alu instid0(SALU_CYCLE_1)
	s_xor_b32 s0, exec_lo, s0
	s_cbranch_execz .LBB1255_45
; %bb.44:
	v_lshlrev_b16 v1, 8, v9
	v_and_b32_e32 v9, 0xff0000, v7
	v_perm_b32 v4, v4, v4, 0x3060504
	s_delay_alu instid0(VALU_DEP_3) | instskip(NEXT) | instid1(VALU_DEP_1)
	v_bitop3_b16 v1, v8, v1, 0xff bitop3:0xec
	v_and_b32_e32 v1, 0xffff, v1
	s_delay_alu instid0(VALU_DEP_1)
	v_and_or_b32 v6, 0xff000000, v8, v1
	v_perm_b32 v1, v7, v9, 0x3020504
                                        ; implicit-def: $vgpr9
                                        ; implicit-def: $vgpr8
                                        ; implicit-def: $vgpr7
.LBB1255_45:
	s_and_not1_saveexec_b32 s1, s0
	s_cbranch_execz .LBB1255_49
; %bb.46:
	v_dual_add_nc_u32 v1, s17, v18 :: v_dual_add_nc_u32 v6, s19, v18
	s_mov_b32 s2, 0
	s_mov_b32 s3, exec_lo
	s_delay_alu instid0(VALU_DEP_1) | instskip(NEXT) | instid1(VALU_DEP_2)
	v_mul_lo_u32 v1, v1, s16
	v_mul_lo_u32 v6, v6, s18
	s_delay_alu instid0(VALU_DEP_1) | instskip(NEXT) | instid1(VALU_DEP_1)
	v_sub_nc_u32_e32 v1, v1, v6
	v_cmp_lt_u32_e32 vcc_lo, s20, v1
	v_cmpx_ge_u32_e64 s20, v1
	s_cbranch_execz .LBB1255_48
; %bb.47:
	v_dual_add_nc_u32 v1, s22, v18 :: v_dual_add_nc_u32 v6, s42, v18
	s_delay_alu instid0(VALU_DEP_1) | instskip(NEXT) | instid1(VALU_DEP_2)
	v_mul_lo_u32 v1, v1, s21
	v_mul_lo_u32 v6, v6, s23
	s_delay_alu instid0(VALU_DEP_1) | instskip(NEXT) | instid1(VALU_DEP_1)
	v_sub_nc_u32_e32 v1, v1, v6
	v_cmp_lt_u32_e64 s0, s43, v1
	s_and_b32 s2, s0, exec_lo
.LBB1255_48:
	s_or_b32 exec_lo, exec_lo, s3
	v_dual_lshrrev_b32 v1, 24, v8 :: v_dual_lshrrev_b32 v23, 8, v7
	v_cndmask_b32_e64 v6, 0, 1, s2
	v_cndmask_b32_e64 v22, 0, 1, vcc_lo
	v_lshlrev_b16 v9, 8, v9
	s_delay_alu instid0(VALU_DEP_4)
	v_lshlrev_b16 v1, 8, v1
	v_lshrrev_b32_e32 v24, 16, v7
	v_lshlrev_b16 v6, 8, v6
	v_lshlrev_b16 v23, 8, v23
	v_bitop3_b16 v8, v8, v9, 0xff bitop3:0xec
	v_or_b32_e32 v1, v22, v1
	s_delay_alu instid0(VALU_DEP_4) | instskip(NEXT) | instid1(VALU_DEP_4)
	v_bitop3_b16 v6, v24, v6, 0xff bitop3:0xec
	v_bitop3_b16 v7, v7, v23, 0xff bitop3:0xec
	s_delay_alu instid0(VALU_DEP_4) | instskip(NEXT) | instid1(VALU_DEP_3)
	v_and_b32_e32 v8, 0xffff, v8
	v_dual_lshlrev_b32 v1, 16, v1 :: v_dual_lshlrev_b32 v9, 16, v6
	s_delay_alu instid0(VALU_DEP_3) | instskip(NEXT) | instid1(VALU_DEP_2)
	v_and_b32_e32 v7, 0xffff, v7
	v_or_b32_e32 v6, v8, v1
	s_delay_alu instid0(VALU_DEP_2)
	v_or_b32_e32 v1, v7, v9
.LBB1255_49:
	s_or_b32 exec_lo, exec_lo, s1
	v_dual_add_nc_u32 v8, 3, v30 :: v_dual_lshrrev_b32 v9, 24, v5
	v_lshrrev_b32_e32 v7, 16, v5
                                        ; implicit-def: $vgpr31
	s_delay_alu instid0(VALU_DEP_2) | instskip(SKIP_2) | instid1(SALU_CYCLE_1)
	v_cmp_le_u32_e32 vcc_lo, s6, v8
	v_lshrrev_b32_e32 v8, 8, v5
                                        ; implicit-def: $vgpr5
	s_and_saveexec_b32 s0, vcc_lo
	s_xor_b32 s0, exec_lo, s0
	s_cbranch_execz .LBB1255_51
; %bb.50:
	v_lshlrev_b16 v5, 8, v9
	v_lshlrev_b16 v8, 8, v8
	v_perm_b32 v4, v4, v4, 0x3060504
	v_perm_b32 v3, v3, v3, 0x3060504
                                        ; implicit-def: $vgpr9
	s_delay_alu instid0(VALU_DEP_4) | instskip(SKIP_2) | instid1(VALU_DEP_3)
	v_bitop3_b16 v5, v7, v5, 0xff bitop3:0xec
	v_and_b32_e32 v7, 0xff0000, v6
	v_and_b32_e32 v8, 0xffff, v8
	v_lshlrev_b32_e32 v5, 16, v5
	s_delay_alu instid0(VALU_DEP_3) | instskip(NEXT) | instid1(VALU_DEP_2)
	v_perm_b32 v31, v6, v7, 0x3020504
                                        ; implicit-def: $vgpr6
                                        ; implicit-def: $vgpr7
	v_or_b32_e32 v5, v8, v5
                                        ; implicit-def: $vgpr8
.LBB1255_51:
	s_and_not1_saveexec_b32 s1, s0
	s_cbranch_execz .LBB1255_55
; %bb.52:
	v_dual_add_nc_u32 v5, s17, v19 :: v_dual_add_nc_u32 v22, s19, v19
	s_mov_b32 s2, 0
	s_mov_b32 s3, exec_lo
	s_delay_alu instid0(VALU_DEP_1) | instskip(NEXT) | instid1(VALU_DEP_2)
	v_mul_lo_u32 v5, v5, s16
	v_mul_lo_u32 v22, v22, s18
	s_delay_alu instid0(VALU_DEP_1) | instskip(NEXT) | instid1(VALU_DEP_1)
	v_sub_nc_u32_e32 v5, v5, v22
	v_cmp_lt_u32_e32 vcc_lo, s20, v5
	v_cmpx_ge_u32_e64 s20, v5
	s_cbranch_execz .LBB1255_54
; %bb.53:
	v_dual_add_nc_u32 v5, s22, v19 :: v_dual_add_nc_u32 v22, s42, v19
	s_delay_alu instid0(VALU_DEP_1) | instskip(NEXT) | instid1(VALU_DEP_2)
	v_mul_lo_u32 v5, v5, s21
	v_mul_lo_u32 v22, v22, s23
	s_delay_alu instid0(VALU_DEP_1) | instskip(NEXT) | instid1(VALU_DEP_1)
	v_sub_nc_u32_e32 v5, v5, v22
	v_cmp_lt_u32_e64 s0, s43, v5
	s_and_b32 s2, s0, exec_lo
.LBB1255_54:
	s_or_b32 exec_lo, exec_lo, s3
	v_cndmask_b32_e64 v5, 0, 1, vcc_lo
	v_dual_lshrrev_b32 v22, 8, v6 :: v_dual_lshrrev_b32 v24, 16, v6
	v_cndmask_b32_e64 v23, 0, 1, s2
	v_lshlrev_b16 v9, 8, v9
	s_delay_alu instid0(VALU_DEP_4) | instskip(NEXT) | instid1(VALU_DEP_4)
	v_lshlrev_b16 v5, 8, v5
	v_lshlrev_b16 v22, 8, v22
	;; [unrolled: 1-line block ×3, first 2 shown]
	s_delay_alu instid0(VALU_DEP_4) | instskip(NEXT) | instid1(VALU_DEP_4)
	v_bitop3_b16 v7, v7, v9, 0xff bitop3:0xec
	v_bitop3_b16 v5, v24, v5, 0xff bitop3:0xec
	s_delay_alu instid0(VALU_DEP_4) | instskip(NEXT) | instid1(VALU_DEP_3)
	v_bitop3_b16 v6, v6, v22, 0xff bitop3:0xec
	v_dual_lshlrev_b32 v7, 16, v7 :: v_dual_bitop2_b32 v8, v23, v8 bitop3:0x54
	s_delay_alu instid0(VALU_DEP_3) | instskip(NEXT) | instid1(VALU_DEP_3)
	v_lshlrev_b32_e32 v5, 16, v5
	v_and_b32_e32 v6, 0xffff, v6
	s_delay_alu instid0(VALU_DEP_3) | instskip(NEXT) | instid1(VALU_DEP_2)
	v_and_b32_e32 v8, 0xffff, v8
	v_or_b32_e32 v31, v6, v5
	s_delay_alu instid0(VALU_DEP_2)
	v_or_b32_e32 v5, v8, v7
.LBB1255_55:
	s_or_b32 exec_lo, exec_lo, s1
	v_dual_add_nc_u32 v6, 4, v30 :: v_dual_lshrrev_b32 v22, 8, v4
	v_dual_lshrrev_b32 v7, 16, v4 :: v_dual_lshrrev_b32 v23, 24, v4
	s_delay_alu instid0(VALU_DEP_3) | instskip(NEXT) | instid1(VALU_DEP_3)
	v_dual_lshrrev_b32 v9, 24, v5 :: v_dual_lshrrev_b32 v8, 16, v5
	v_cmp_le_u32_e32 vcc_lo, s6, v6
                                        ; implicit-def: $vgpr4
                                        ; implicit-def: $vgpr6
	s_and_saveexec_b32 s0, vcc_lo
	s_delay_alu instid0(SALU_CYCLE_1)
	s_xor_b32 s0, exec_lo, s0
	s_cbranch_execz .LBB1255_57
; %bb.56:
	v_lshlrev_b16 v4, 8, v23
	v_lshlrev_b16 v6, 8, v22
	;; [unrolled: 1-line block ×3, first 2 shown]
	v_perm_b32 v3, v3, v3, 0x3060504
                                        ; implicit-def: $vgpr22
                                        ; implicit-def: $vgpr23
	s_delay_alu instid0(VALU_DEP_4) | instskip(NEXT) | instid1(VALU_DEP_4)
	v_bitop3_b16 v4, v7, v4, 0xff bitop3:0xec
	v_and_b32_e32 v6, 0xffff, v6
	s_delay_alu instid0(VALU_DEP_4) | instskip(NEXT) | instid1(VALU_DEP_3)
	v_bitop3_b16 v7, v8, v9, 0xff bitop3:0xec
                                        ; implicit-def: $vgpr9
	v_lshlrev_b32_e32 v8, 16, v4
	s_delay_alu instid0(VALU_DEP_2) | instskip(NEXT) | instid1(VALU_DEP_2)
	v_perm_b32 v4, v7, v5, 0x5040c00
                                        ; implicit-def: $vgpr5
                                        ; implicit-def: $vgpr7
	v_or_b32_e32 v6, v6, v8
                                        ; implicit-def: $vgpr8
.LBB1255_57:
	s_and_not1_saveexec_b32 s1, s0
	s_cbranch_execz .LBB1255_61
; %bb.58:
	v_dual_add_nc_u32 v4, s17, v16 :: v_dual_add_nc_u32 v6, s19, v16
	s_mov_b32 s2, 0
	s_mov_b32 s3, exec_lo
	s_delay_alu instid0(VALU_DEP_1) | instskip(NEXT) | instid1(VALU_DEP_2)
	v_mul_lo_u32 v4, v4, s16
	v_mul_lo_u32 v6, v6, s18
	s_delay_alu instid0(VALU_DEP_1) | instskip(NEXT) | instid1(VALU_DEP_1)
	v_sub_nc_u32_e32 v4, v4, v6
	v_cmp_lt_u32_e32 vcc_lo, s20, v4
	v_cmpx_ge_u32_e64 s20, v4
	s_cbranch_execz .LBB1255_60
; %bb.59:
	v_dual_add_nc_u32 v4, s22, v16 :: v_dual_add_nc_u32 v6, s42, v16
	s_delay_alu instid0(VALU_DEP_1) | instskip(NEXT) | instid1(VALU_DEP_2)
	v_mul_lo_u32 v4, v4, s21
	v_mul_lo_u32 v6, v6, s23
	s_delay_alu instid0(VALU_DEP_1) | instskip(NEXT) | instid1(VALU_DEP_1)
	v_sub_nc_u32_e32 v4, v4, v6
	v_cmp_lt_u32_e64 s0, s43, v4
	s_and_b32 s2, s0, exec_lo
.LBB1255_60:
	s_or_b32 exec_lo, exec_lo, s3
	v_cndmask_b32_e64 v4, 0, 1, s2
	v_cndmask_b32_e64 v6, 0, 1, vcc_lo
	v_lshlrev_b16 v23, 8, v23
	v_lshlrev_b16 v22, 8, v22
	;; [unrolled: 1-line block ×4, first 2 shown]
	s_delay_alu instid0(VALU_DEP_4) | instskip(NEXT) | instid1(VALU_DEP_4)
	v_bitop3_b16 v7, v7, v23, 0xff bitop3:0xec
	v_or_b32_e32 v6, v6, v22
	s_delay_alu instid0(VALU_DEP_4) | instskip(NEXT) | instid1(VALU_DEP_4)
	v_bitop3_b16 v8, v8, v9, 0xff bitop3:0xec
	v_bitop3_b16 v4, v5, v4, 0xff bitop3:0xec
	s_delay_alu instid0(VALU_DEP_4) | instskip(NEXT) | instid1(VALU_DEP_4)
	v_lshlrev_b32_e32 v5, 16, v7
	v_and_b32_e32 v6, 0xffff, v6
	s_delay_alu instid0(VALU_DEP_4) | instskip(NEXT) | instid1(VALU_DEP_4)
	v_lshlrev_b32_e32 v7, 16, v8
	v_and_b32_e32 v4, 0xffff, v4
	s_delay_alu instid0(VALU_DEP_3) | instskip(NEXT) | instid1(VALU_DEP_2)
	v_or_b32_e32 v6, v6, v5
	v_or_b32_e32 v4, v4, v7
.LBB1255_61:
	s_or_b32 exec_lo, exec_lo, s1
	s_delay_alu instid0(VALU_DEP_1) | instskip(NEXT) | instid1(VALU_DEP_2)
	v_dual_add_nc_u32 v5, 5, v30 :: v_dual_lshrrev_b32 v22, 8, v4
	v_dual_lshrrev_b32 v8, 16, v6 :: v_dual_lshrrev_b32 v9, 24, v6
                                        ; implicit-def: $vgpr7
	s_delay_alu instid0(VALU_DEP_2) | instskip(SKIP_1) | instid1(SALU_CYCLE_1)
	v_cmp_le_u32_e32 vcc_lo, s6, v5
                                        ; implicit-def: $vgpr5
	s_and_saveexec_b32 s0, vcc_lo
	s_xor_b32 s0, exec_lo, s0
	s_cbranch_execz .LBB1255_63
; %bb.62:
	v_lshlrev_b16 v5, 8, v22
	v_lshlrev_b16 v7, 8, v9
	v_perm_b32 v3, v3, v3, 0x3060504
                                        ; implicit-def: $vgpr9
                                        ; implicit-def: $vgpr22
	s_delay_alu instid0(VALU_DEP_3) | instskip(NEXT) | instid1(VALU_DEP_3)
	v_bitop3_b16 v5, v4, v5, 0xff bitop3:0xec
	v_bitop3_b16 v7, v8, v7, 0xff bitop3:0xec
                                        ; implicit-def: $vgpr8
	s_delay_alu instid0(VALU_DEP_2) | instskip(NEXT) | instid1(VALU_DEP_2)
	v_and_b32_e32 v5, 0xffff, v5
	v_perm_b32 v7, v7, v6, 0x5040c00
                                        ; implicit-def: $vgpr6
	s_delay_alu instid0(VALU_DEP_2)
	v_and_or_b32 v5, 0xff000000, v4, v5
                                        ; implicit-def: $vgpr4
.LBB1255_63:
	s_and_not1_saveexec_b32 s1, s0
	s_cbranch_execz .LBB1255_67
; %bb.64:
	v_dual_add_nc_u32 v5, s17, v17 :: v_dual_add_nc_u32 v7, s19, v17
	s_mov_b32 s2, 0
	s_mov_b32 s3, exec_lo
	s_delay_alu instid0(VALU_DEP_1) | instskip(NEXT) | instid1(VALU_DEP_2)
	v_mul_lo_u32 v5, v5, s16
	v_mul_lo_u32 v7, v7, s18
	s_delay_alu instid0(VALU_DEP_1) | instskip(NEXT) | instid1(VALU_DEP_1)
	v_sub_nc_u32_e32 v5, v5, v7
	v_cmp_lt_u32_e32 vcc_lo, s20, v5
	v_cmpx_ge_u32_e64 s20, v5
	s_cbranch_execz .LBB1255_66
; %bb.65:
	v_dual_add_nc_u32 v5, s22, v17 :: v_dual_add_nc_u32 v7, s42, v17
	s_delay_alu instid0(VALU_DEP_1) | instskip(NEXT) | instid1(VALU_DEP_2)
	v_mul_lo_u32 v5, v5, s21
	v_mul_lo_u32 v7, v7, s23
	s_delay_alu instid0(VALU_DEP_1) | instskip(NEXT) | instid1(VALU_DEP_1)
	v_sub_nc_u32_e32 v5, v5, v7
	v_cmp_lt_u32_e64 s0, s43, v5
	s_and_b32 s2, s0, exec_lo
.LBB1255_66:
	s_or_b32 exec_lo, exec_lo, s3
	v_cndmask_b32_e64 v5, 0, 1, vcc_lo
	v_lshrrev_b32_e32 v7, 24, v4
	v_cndmask_b32_e64 v23, 0, 1, s2
	v_lshlrev_b16 v9, 8, v9
	v_lshlrev_b16 v22, 8, v22
	;; [unrolled: 1-line block ×4, first 2 shown]
	s_delay_alu instid0(VALU_DEP_4) | instskip(NEXT) | instid1(VALU_DEP_4)
	v_bitop3_b16 v8, v8, v9, 0xff bitop3:0xec
	v_bitop3_b16 v4, v4, v22, 0xff bitop3:0xec
	s_delay_alu instid0(VALU_DEP_4) | instskip(NEXT) | instid1(VALU_DEP_3)
	v_bitop3_b16 v5, v6, v5, 0xff bitop3:0xec
	v_dual_lshlrev_b32 v7, 16, v8 :: v_dual_bitop2_b32 v6, v23, v7 bitop3:0x54
	s_delay_alu instid0(VALU_DEP_3) | instskip(NEXT) | instid1(VALU_DEP_3)
	v_and_b32_e32 v4, 0xffff, v4
	v_and_b32_e32 v5, 0xffff, v5
	s_delay_alu instid0(VALU_DEP_1) | instskip(NEXT) | instid1(VALU_DEP_1)
	v_dual_lshlrev_b32 v6, 16, v6 :: v_dual_bitop2_b32 v7, v5, v7 bitop3:0x54
	v_or_b32_e32 v5, v4, v6
.LBB1255_67:
	s_or_b32 exec_lo, exec_lo, s1
	s_delay_alu instid0(VALU_DEP_2) | instskip(NEXT) | instid1(VALU_DEP_1)
	v_dual_add_nc_u32 v4, 6, v30 :: v_dual_lshrrev_b32 v6, 8, v7
                                        ; implicit-def: $vgpr32
	v_cmp_le_u32_e32 vcc_lo, s6, v4
                                        ; implicit-def: $vgpr4
	s_and_saveexec_b32 s0, vcc_lo
	s_delay_alu instid0(SALU_CYCLE_1)
	s_xor_b32 s0, exec_lo, s0
	s_cbranch_execz .LBB1255_69
; %bb.68:
	v_lshlrev_b16 v4, 8, v6
	v_and_b32_e32 v6, 0xff0000, v5
	v_perm_b32 v3, v3, v3, 0x3060504
	s_delay_alu instid0(VALU_DEP_3) | instskip(NEXT) | instid1(VALU_DEP_3)
	v_bitop3_b16 v4, v7, v4, 0xff bitop3:0xec
	v_perm_b32 v32, v5, v6, 0x3020504
                                        ; implicit-def: $vgpr6
                                        ; implicit-def: $vgpr5
	s_delay_alu instid0(VALU_DEP_2) | instskip(NEXT) | instid1(VALU_DEP_1)
	v_and_b32_e32 v4, 0xffff, v4
	v_and_or_b32 v4, 0xff000000, v7, v4
                                        ; implicit-def: $vgpr7
.LBB1255_69:
	s_and_not1_saveexec_b32 s1, s0
	s_cbranch_execz .LBB1255_73
; %bb.70:
	v_dual_add_nc_u32 v4, s17, v14 :: v_dual_add_nc_u32 v8, s19, v14
	s_mov_b32 s2, 0
	s_mov_b32 s3, exec_lo
	s_delay_alu instid0(VALU_DEP_1) | instskip(NEXT) | instid1(VALU_DEP_2)
	v_mul_lo_u32 v4, v4, s16
	v_mul_lo_u32 v8, v8, s18
	s_delay_alu instid0(VALU_DEP_1) | instskip(NEXT) | instid1(VALU_DEP_1)
	v_sub_nc_u32_e32 v4, v4, v8
	v_cmp_lt_u32_e32 vcc_lo, s20, v4
	v_cmpx_ge_u32_e64 s20, v4
	s_cbranch_execz .LBB1255_72
; %bb.71:
	v_dual_add_nc_u32 v4, s22, v14 :: v_dual_add_nc_u32 v8, s42, v14
	s_delay_alu instid0(VALU_DEP_1) | instskip(NEXT) | instid1(VALU_DEP_2)
	v_mul_lo_u32 v4, v4, s21
	v_mul_lo_u32 v8, v8, s23
	s_delay_alu instid0(VALU_DEP_1) | instskip(NEXT) | instid1(VALU_DEP_1)
	v_sub_nc_u32_e32 v4, v4, v8
	v_cmp_lt_u32_e64 s0, s43, v4
	s_and_b32 s2, s0, exec_lo
.LBB1255_72:
	s_or_b32 exec_lo, exec_lo, s3
	v_dual_lshrrev_b32 v4, 24, v7 :: v_dual_lshrrev_b32 v22, 8, v5
	v_cndmask_b32_e64 v8, 0, 1, s2
	v_cndmask_b32_e64 v9, 0, 1, vcc_lo
	v_lshlrev_b16 v6, 8, v6
	s_delay_alu instid0(VALU_DEP_4)
	v_lshlrev_b16 v4, 8, v4
	v_lshrrev_b32_e32 v23, 16, v5
	v_lshlrev_b16 v8, 8, v8
	v_lshlrev_b16 v22, 8, v22
	v_bitop3_b16 v6, v7, v6, 0xff bitop3:0xec
	v_or_b32_e32 v4, v9, v4
	s_delay_alu instid0(VALU_DEP_4) | instskip(NEXT) | instid1(VALU_DEP_4)
	v_bitop3_b16 v7, v23, v8, 0xff bitop3:0xec
	v_bitop3_b16 v5, v5, v22, 0xff bitop3:0xec
	s_delay_alu instid0(VALU_DEP_4) | instskip(NEXT) | instid1(VALU_DEP_3)
	v_and_b32_e32 v6, 0xffff, v6
	v_dual_lshlrev_b32 v4, 16, v4 :: v_dual_lshlrev_b32 v7, 16, v7
	s_delay_alu instid0(VALU_DEP_3) | instskip(NEXT) | instid1(VALU_DEP_2)
	v_and_b32_e32 v5, 0xffff, v5
	v_or_b32_e32 v4, v6, v4
	s_delay_alu instid0(VALU_DEP_2)
	v_or_b32_e32 v32, v5, v7
.LBB1255_73:
	s_or_b32 exec_lo, exec_lo, s1
	v_dual_add_nc_u32 v7, 7, v30 :: v_dual_lshrrev_b32 v5, 8, v3
	v_lshrrev_b32_e32 v6, 16, v3
                                        ; implicit-def: $vgpr33
	s_delay_alu instid0(VALU_DEP_2) | instskip(SKIP_2) | instid1(SALU_CYCLE_1)
	v_cmp_le_u32_e32 vcc_lo, s6, v7
	v_lshrrev_b32_e32 v7, 24, v3
                                        ; implicit-def: $vgpr3
	s_and_saveexec_b32 s0, vcc_lo
	s_xor_b32 s0, exec_lo, s0
	s_cbranch_execz .LBB1255_75
; %bb.74:
	s_delay_alu instid0(VALU_DEP_1) | instskip(SKIP_1) | instid1(VALU_DEP_2)
	v_lshlrev_b16 v3, 8, v7
	v_lshlrev_b16 v5, 8, v5
                                        ; implicit-def: $vgpr7
	v_bitop3_b16 v3, v6, v3, 0xff bitop3:0xec
	v_and_b32_e32 v6, 0xff0000, v4
	s_delay_alu instid0(VALU_DEP_3) | instskip(NEXT) | instid1(VALU_DEP_3)
	v_and_b32_e32 v5, 0xffff, v5
	v_lshlrev_b32_e32 v3, 16, v3
	s_delay_alu instid0(VALU_DEP_3) | instskip(NEXT) | instid1(VALU_DEP_2)
	v_perm_b32 v33, v4, v6, 0x3020504
                                        ; implicit-def: $vgpr4
                                        ; implicit-def: $vgpr6
	v_or_b32_e32 v3, v5, v3
                                        ; implicit-def: $vgpr5
.LBB1255_75:
	s_and_not1_saveexec_b32 s1, s0
	s_cbranch_execz .LBB1255_79
; %bb.76:
	v_dual_add_nc_u32 v3, s17, v15 :: v_dual_add_nc_u32 v8, s19, v15
	s_mov_b32 s2, 0
	s_mov_b32 s3, exec_lo
	s_delay_alu instid0(VALU_DEP_1) | instskip(NEXT) | instid1(VALU_DEP_2)
	v_mul_lo_u32 v3, v3, s16
	v_mul_lo_u32 v8, v8, s18
	s_delay_alu instid0(VALU_DEP_1) | instskip(NEXT) | instid1(VALU_DEP_1)
	v_sub_nc_u32_e32 v3, v3, v8
	v_cmp_lt_u32_e32 vcc_lo, s20, v3
	v_cmpx_ge_u32_e64 s20, v3
	s_cbranch_execz .LBB1255_78
; %bb.77:
	v_dual_add_nc_u32 v3, s22, v15 :: v_dual_add_nc_u32 v8, s42, v15
	s_delay_alu instid0(VALU_DEP_1) | instskip(NEXT) | instid1(VALU_DEP_2)
	v_mul_lo_u32 v3, v3, s21
	v_mul_lo_u32 v8, v8, s23
	s_delay_alu instid0(VALU_DEP_1) | instskip(NEXT) | instid1(VALU_DEP_1)
	v_sub_nc_u32_e32 v3, v3, v8
	v_cmp_lt_u32_e64 s0, s43, v3
	s_and_b32 s2, s0, exec_lo
.LBB1255_78:
	s_or_b32 exec_lo, exec_lo, s3
	v_cndmask_b32_e64 v3, 0, 1, vcc_lo
	v_dual_lshrrev_b32 v8, 8, v4 :: v_dual_lshrrev_b32 v22, 16, v4
	v_cndmask_b32_e64 v9, 0, 1, s2
	v_lshlrev_b16 v7, 8, v7
	s_delay_alu instid0(VALU_DEP_4) | instskip(NEXT) | instid1(VALU_DEP_4)
	v_lshlrev_b16 v3, 8, v3
	v_lshlrev_b16 v8, 8, v8
	;; [unrolled: 1-line block ×3, first 2 shown]
	s_delay_alu instid0(VALU_DEP_4) | instskip(NEXT) | instid1(VALU_DEP_4)
	v_bitop3_b16 v6, v6, v7, 0xff bitop3:0xec
	v_bitop3_b16 v3, v22, v3, 0xff bitop3:0xec
	s_delay_alu instid0(VALU_DEP_4) | instskip(NEXT) | instid1(VALU_DEP_3)
	v_bitop3_b16 v4, v4, v8, 0xff bitop3:0xec
	v_dual_lshlrev_b32 v6, 16, v6 :: v_dual_bitop2_b32 v5, v9, v5 bitop3:0x54
	s_delay_alu instid0(VALU_DEP_3) | instskip(NEXT) | instid1(VALU_DEP_3)
	v_lshlrev_b32_e32 v3, 16, v3
	v_and_b32_e32 v4, 0xffff, v4
	s_delay_alu instid0(VALU_DEP_3) | instskip(NEXT) | instid1(VALU_DEP_2)
	v_and_b32_e32 v5, 0xffff, v5
	v_or_b32_e32 v33, v4, v3
	s_delay_alu instid0(VALU_DEP_2)
	v_or_b32_e32 v3, v5, v6
.LBB1255_79:
	s_or_b32 exec_lo, exec_lo, s1
	s_delay_alu instid0(VALU_DEP_1) | instskip(SKIP_2) | instid1(VALU_DEP_3)
	v_dual_add_nc_u32 v4, 8, v30 :: v_dual_lshrrev_b32 v5, 16, v3
	v_dual_lshrrev_b32 v6, 24, v3 :: v_dual_lshrrev_b32 v9, 24, v2
	v_dual_lshrrev_b32 v7, 16, v2 :: v_dual_lshrrev_b32 v8, 8, v2
	v_cmp_le_u32_e32 vcc_lo, s6, v4
                                        ; implicit-def: $vgpr2
                                        ; implicit-def: $vgpr4
	s_and_saveexec_b32 s0, vcc_lo
	s_delay_alu instid0(SALU_CYCLE_1)
	s_xor_b32 s0, exec_lo, s0
	s_cbranch_execz .LBB1255_81
; %bb.80:
	v_lshlrev_b16 v2, 8, v9
	v_lshlrev_b16 v4, 8, v8
	;; [unrolled: 1-line block ×3, first 2 shown]
	v_perm_b32 v1, v1, v1, 0x3060504
                                        ; implicit-def: $vgpr9
                                        ; implicit-def: $vgpr8
	s_delay_alu instid0(VALU_DEP_4) | instskip(NEXT) | instid1(VALU_DEP_4)
	v_bitop3_b16 v2, v7, v2, 0xff bitop3:0xec
	v_and_b32_e32 v4, 0xffff, v4
	s_delay_alu instid0(VALU_DEP_4) | instskip(NEXT) | instid1(VALU_DEP_3)
	v_bitop3_b16 v5, v5, v6, 0xff bitop3:0xec
                                        ; implicit-def: $vgpr6
                                        ; implicit-def: $vgpr7
	v_lshlrev_b32_e32 v2, 16, v2
	s_delay_alu instid0(VALU_DEP_1) | instskip(NEXT) | instid1(VALU_DEP_3)
	v_or_b32_e32 v4, v4, v2
	v_perm_b32 v2, v5, v3, 0x5040c00
                                        ; implicit-def: $vgpr3
                                        ; implicit-def: $vgpr5
.LBB1255_81:
	s_and_not1_saveexec_b32 s1, s0
	s_cbranch_execz .LBB1255_85
; %bb.82:
	v_dual_add_nc_u32 v2, s17, v12 :: v_dual_add_nc_u32 v4, s19, v12
	s_mov_b32 s2, 0
	s_mov_b32 s3, exec_lo
	s_delay_alu instid0(VALU_DEP_1) | instskip(NEXT) | instid1(VALU_DEP_2)
	v_mul_lo_u32 v2, v2, s16
	v_mul_lo_u32 v4, v4, s18
	s_delay_alu instid0(VALU_DEP_1) | instskip(NEXT) | instid1(VALU_DEP_1)
	v_sub_nc_u32_e32 v2, v2, v4
	v_cmp_lt_u32_e32 vcc_lo, s20, v2
	v_cmpx_ge_u32_e64 s20, v2
	s_cbranch_execz .LBB1255_84
; %bb.83:
	v_dual_add_nc_u32 v2, s22, v12 :: v_dual_add_nc_u32 v4, s42, v12
	s_delay_alu instid0(VALU_DEP_1) | instskip(NEXT) | instid1(VALU_DEP_2)
	v_mul_lo_u32 v2, v2, s21
	v_mul_lo_u32 v4, v4, s23
	s_delay_alu instid0(VALU_DEP_1) | instskip(NEXT) | instid1(VALU_DEP_1)
	v_sub_nc_u32_e32 v2, v2, v4
	v_cmp_lt_u32_e64 s0, s43, v2
	s_and_b32 s2, s0, exec_lo
.LBB1255_84:
	s_or_b32 exec_lo, exec_lo, s3
	v_cndmask_b32_e64 v2, 0, 1, s2
	v_cndmask_b32_e64 v4, 0, 1, vcc_lo
	v_lshlrev_b16 v9, 8, v9
	v_lshlrev_b16 v8, 8, v8
	;; [unrolled: 1-line block ×4, first 2 shown]
	s_delay_alu instid0(VALU_DEP_4) | instskip(NEXT) | instid1(VALU_DEP_4)
	v_bitop3_b16 v7, v7, v9, 0xff bitop3:0xec
	v_or_b32_e32 v4, v4, v8
	s_delay_alu instid0(VALU_DEP_4) | instskip(NEXT) | instid1(VALU_DEP_4)
	v_bitop3_b16 v5, v5, v6, 0xff bitop3:0xec
	v_bitop3_b16 v2, v3, v2, 0xff bitop3:0xec
	s_delay_alu instid0(VALU_DEP_4) | instskip(NEXT) | instid1(VALU_DEP_4)
	v_lshlrev_b32_e32 v3, 16, v7
	v_and_b32_e32 v4, 0xffff, v4
	s_delay_alu instid0(VALU_DEP_4) | instskip(NEXT) | instid1(VALU_DEP_4)
	v_lshlrev_b32_e32 v5, 16, v5
	v_and_b32_e32 v2, 0xffff, v2
	s_delay_alu instid0(VALU_DEP_3) | instskip(NEXT) | instid1(VALU_DEP_2)
	v_or_b32_e32 v4, v4, v3
	v_or_b32_e32 v2, v2, v5
.LBB1255_85:
	s_or_b32 exec_lo, exec_lo, s1
	s_delay_alu instid0(VALU_DEP_2) | instskip(NEXT) | instid1(VALU_DEP_2)
	v_dual_add_nc_u32 v3, 9, v30 :: v_dual_lshrrev_b32 v8, 24, v4
	v_dual_lshrrev_b32 v7, 8, v2 :: v_dual_lshrrev_b32 v6, 16, v4
                                        ; implicit-def: $vgpr5
	s_delay_alu instid0(VALU_DEP_2) | instskip(SKIP_1) | instid1(SALU_CYCLE_1)
	v_cmp_le_u32_e32 vcc_lo, s6, v3
                                        ; implicit-def: $vgpr3
	s_and_saveexec_b32 s0, vcc_lo
	s_xor_b32 s0, exec_lo, s0
	s_cbranch_execz .LBB1255_87
; %bb.86:
	v_lshlrev_b16 v3, 8, v7
	v_lshlrev_b16 v5, 8, v8
	v_perm_b32 v1, v1, v1, 0x3060504
                                        ; implicit-def: $vgpr7
                                        ; implicit-def: $vgpr8
	s_delay_alu instid0(VALU_DEP_3) | instskip(NEXT) | instid1(VALU_DEP_3)
	v_bitop3_b16 v3, v2, v3, 0xff bitop3:0xec
	v_bitop3_b16 v5, v6, v5, 0xff bitop3:0xec
                                        ; implicit-def: $vgpr6
	s_delay_alu instid0(VALU_DEP_2) | instskip(NEXT) | instid1(VALU_DEP_2)
	v_and_b32_e32 v3, 0xffff, v3
	v_perm_b32 v5, v5, v4, 0x5040c00
                                        ; implicit-def: $vgpr4
	s_delay_alu instid0(VALU_DEP_2)
	v_and_or_b32 v3, 0xff000000, v2, v3
                                        ; implicit-def: $vgpr2
.LBB1255_87:
	s_and_not1_saveexec_b32 s1, s0
	s_cbranch_execz .LBB1255_91
; %bb.88:
	v_dual_add_nc_u32 v3, s17, v13 :: v_dual_add_nc_u32 v5, s19, v13
	s_mov_b32 s2, 0
	s_mov_b32 s3, exec_lo
	s_delay_alu instid0(VALU_DEP_1) | instskip(NEXT) | instid1(VALU_DEP_2)
	v_mul_lo_u32 v3, v3, s16
	v_mul_lo_u32 v5, v5, s18
	s_delay_alu instid0(VALU_DEP_1) | instskip(NEXT) | instid1(VALU_DEP_1)
	v_sub_nc_u32_e32 v3, v3, v5
	v_cmp_lt_u32_e32 vcc_lo, s20, v3
	v_cmpx_ge_u32_e64 s20, v3
	s_cbranch_execz .LBB1255_90
; %bb.89:
	v_dual_add_nc_u32 v3, s22, v13 :: v_dual_add_nc_u32 v5, s42, v13
	s_delay_alu instid0(VALU_DEP_1) | instskip(NEXT) | instid1(VALU_DEP_2)
	v_mul_lo_u32 v3, v3, s21
	v_mul_lo_u32 v5, v5, s23
	s_delay_alu instid0(VALU_DEP_1) | instskip(NEXT) | instid1(VALU_DEP_1)
	v_sub_nc_u32_e32 v3, v3, v5
	v_cmp_lt_u32_e64 s0, s43, v3
	s_and_b32 s2, s0, exec_lo
.LBB1255_90:
	s_or_b32 exec_lo, exec_lo, s3
	v_cndmask_b32_e64 v3, 0, 1, vcc_lo
	v_lshrrev_b32_e32 v5, 24, v2
	v_cndmask_b32_e64 v9, 0, 1, s2
	v_lshlrev_b16 v8, 8, v8
	v_lshlrev_b16 v7, 8, v7
	;; [unrolled: 1-line block ×4, first 2 shown]
	s_delay_alu instid0(VALU_DEP_4) | instskip(NEXT) | instid1(VALU_DEP_4)
	v_bitop3_b16 v6, v6, v8, 0xff bitop3:0xec
	v_bitop3_b16 v2, v2, v7, 0xff bitop3:0xec
	s_delay_alu instid0(VALU_DEP_4) | instskip(NEXT) | instid1(VALU_DEP_3)
	v_bitop3_b16 v3, v4, v3, 0xff bitop3:0xec
	v_dual_lshlrev_b32 v5, 16, v6 :: v_dual_bitop2_b32 v4, v9, v5 bitop3:0x54
	s_delay_alu instid0(VALU_DEP_3) | instskip(NEXT) | instid1(VALU_DEP_3)
	v_and_b32_e32 v2, 0xffff, v2
	v_and_b32_e32 v3, 0xffff, v3
	s_delay_alu instid0(VALU_DEP_1) | instskip(NEXT) | instid1(VALU_DEP_1)
	v_dual_lshlrev_b32 v4, 16, v4 :: v_dual_bitop2_b32 v5, v3, v5 bitop3:0x54
	v_or_b32_e32 v3, v2, v4
.LBB1255_91:
	s_or_b32 exec_lo, exec_lo, s1
	s_delay_alu instid0(VALU_DEP_2) | instskip(NEXT) | instid1(VALU_DEP_1)
	v_dual_add_nc_u32 v2, 10, v30 :: v_dual_lshrrev_b32 v4, 8, v5
                                        ; implicit-def: $vgpr35
	v_cmp_le_u32_e32 vcc_lo, s6, v2
                                        ; implicit-def: $vgpr2
	s_and_saveexec_b32 s0, vcc_lo
	s_delay_alu instid0(SALU_CYCLE_1)
	s_xor_b32 s0, exec_lo, s0
	s_cbranch_execz .LBB1255_93
; %bb.92:
	v_lshlrev_b16 v2, 8, v4
	v_and_b32_e32 v4, 0xff0000, v3
	v_perm_b32 v1, v1, v1, 0x3060504
	s_delay_alu instid0(VALU_DEP_3) | instskip(NEXT) | instid1(VALU_DEP_3)
	v_bitop3_b16 v2, v5, v2, 0xff bitop3:0xec
	v_perm_b32 v35, v3, v4, 0x3020504
                                        ; implicit-def: $vgpr4
                                        ; implicit-def: $vgpr3
	s_delay_alu instid0(VALU_DEP_2) | instskip(NEXT) | instid1(VALU_DEP_1)
	v_and_b32_e32 v2, 0xffff, v2
	v_and_or_b32 v2, 0xff000000, v5, v2
                                        ; implicit-def: $vgpr5
.LBB1255_93:
	s_and_not1_saveexec_b32 s1, s0
	s_cbranch_execz .LBB1255_97
; %bb.94:
	v_dual_add_nc_u32 v2, s17, v10 :: v_dual_add_nc_u32 v6, s19, v10
	s_mov_b32 s2, 0
	s_mov_b32 s3, exec_lo
	s_delay_alu instid0(VALU_DEP_1) | instskip(NEXT) | instid1(VALU_DEP_2)
	v_mul_lo_u32 v2, v2, s16
	v_mul_lo_u32 v6, v6, s18
	s_delay_alu instid0(VALU_DEP_1) | instskip(NEXT) | instid1(VALU_DEP_1)
	v_sub_nc_u32_e32 v2, v2, v6
	v_cmp_lt_u32_e32 vcc_lo, s20, v2
	v_cmpx_ge_u32_e64 s20, v2
	s_cbranch_execz .LBB1255_96
; %bb.95:
	v_dual_add_nc_u32 v2, s22, v10 :: v_dual_add_nc_u32 v6, s42, v10
	s_delay_alu instid0(VALU_DEP_1) | instskip(NEXT) | instid1(VALU_DEP_2)
	v_mul_lo_u32 v2, v2, s21
	v_mul_lo_u32 v6, v6, s23
	s_delay_alu instid0(VALU_DEP_1) | instskip(NEXT) | instid1(VALU_DEP_1)
	v_sub_nc_u32_e32 v2, v2, v6
	v_cmp_lt_u32_e64 s0, s43, v2
	s_and_b32 s2, s0, exec_lo
.LBB1255_96:
	s_or_b32 exec_lo, exec_lo, s3
	v_dual_lshrrev_b32 v2, 24, v5 :: v_dual_lshrrev_b32 v8, 8, v3
	v_cndmask_b32_e64 v6, 0, 1, s2
	v_cndmask_b32_e64 v7, 0, 1, vcc_lo
	v_lshlrev_b16 v4, 8, v4
	s_delay_alu instid0(VALU_DEP_4)
	v_lshlrev_b16 v2, 8, v2
	v_lshrrev_b32_e32 v9, 16, v3
	v_lshlrev_b16 v6, 8, v6
	v_lshlrev_b16 v8, 8, v8
	v_bitop3_b16 v4, v5, v4, 0xff bitop3:0xec
	v_or_b32_e32 v2, v7, v2
	s_delay_alu instid0(VALU_DEP_4) | instskip(NEXT) | instid1(VALU_DEP_4)
	v_bitop3_b16 v5, v9, v6, 0xff bitop3:0xec
	v_bitop3_b16 v3, v3, v8, 0xff bitop3:0xec
	s_delay_alu instid0(VALU_DEP_4) | instskip(NEXT) | instid1(VALU_DEP_3)
	v_and_b32_e32 v4, 0xffff, v4
	v_dual_lshlrev_b32 v2, 16, v2 :: v_dual_lshlrev_b32 v5, 16, v5
	s_delay_alu instid0(VALU_DEP_3) | instskip(NEXT) | instid1(VALU_DEP_2)
	v_and_b32_e32 v3, 0xffff, v3
	v_or_b32_e32 v2, v4, v2
	s_delay_alu instid0(VALU_DEP_2)
	v_or_b32_e32 v35, v3, v5
.LBB1255_97:
	s_or_b32 exec_lo, exec_lo, s1
	v_dual_mov_b32 v34, 0 :: v_dual_add_nc_u32 v3, 11, v30
	s_mov_b32 s0, exec_lo
                                        ; implicit-def: $vgpr36
	s_delay_alu instid0(VALU_DEP_1)
	v_cmpx_le_u32_e64 s6, v3
	s_xor_b32 s0, exec_lo, s0
; %bb.98:
	v_and_b32_e32 v3, 0xff0000, v2
	v_perm_b32 v1, v1, v1, 0x3060504
	s_delay_alu instid0(VALU_DEP_2)
	v_perm_b32 v36, v2, v3, 0x3020504
                                        ; implicit-def: $vgpr2
; %bb.99:
	s_and_not1_saveexec_b32 s1, s0
	s_cbranch_execz .LBB1255_103
; %bb.100:
	v_dual_add_nc_u32 v3, s17, v11 :: v_dual_add_nc_u32 v4, s19, v11
	s_mov_b32 s2, 0
	s_mov_b32 s3, exec_lo
	s_delay_alu instid0(VALU_DEP_1) | instskip(NEXT) | instid1(VALU_DEP_2)
	v_mul_lo_u32 v3, v3, s16
	v_mul_lo_u32 v4, v4, s18
	s_delay_alu instid0(VALU_DEP_1) | instskip(NEXT) | instid1(VALU_DEP_1)
	v_sub_nc_u32_e32 v3, v3, v4
	v_cmp_lt_u32_e32 vcc_lo, s20, v3
	v_cmpx_ge_u32_e64 s20, v3
	s_cbranch_execz .LBB1255_102
; %bb.101:
	v_dual_add_nc_u32 v3, s22, v11 :: v_dual_add_nc_u32 v4, s42, v11
	s_delay_alu instid0(VALU_DEP_1) | instskip(NEXT) | instid1(VALU_DEP_2)
	v_mul_lo_u32 v3, v3, s21
	v_mul_lo_u32 v4, v4, s23
	s_delay_alu instid0(VALU_DEP_1) | instskip(NEXT) | instid1(VALU_DEP_1)
	v_sub_nc_u32_e32 v3, v3, v4
	v_cmp_lt_u32_e64 s0, s43, v3
	s_and_b32 s2, s0, exec_lo
.LBB1255_102:
	s_or_b32 exec_lo, exec_lo, s3
	v_cndmask_b32_e64 v3, 0, 1, vcc_lo
	v_dual_lshrrev_b32 v4, 8, v2 :: v_dual_lshrrev_b32 v5, 16, v2
	v_cndmask_b32_e64 v34, 0, 1, s2
	s_delay_alu instid0(VALU_DEP_3) | instskip(NEXT) | instid1(VALU_DEP_3)
	v_lshlrev_b16 v3, 8, v3
	v_lshlrev_b16 v4, 8, v4
	s_delay_alu instid0(VALU_DEP_2) | instskip(NEXT) | instid1(VALU_DEP_2)
	v_bitop3_b16 v3, v5, v3, 0xff bitop3:0xec
	v_bitop3_b16 v2, v2, v4, 0xff bitop3:0xec
	s_delay_alu instid0(VALU_DEP_2) | instskip(NEXT) | instid1(VALU_DEP_2)
	v_lshlrev_b32_e32 v3, 16, v3
	v_and_b32_e32 v2, 0xffff, v2
	s_delay_alu instid0(VALU_DEP_1)
	v_or_b32_e32 v36, v2, v3
.LBB1255_103:
	s_or_b32 exec_lo, exec_lo, s1
	v_dual_add_nc_u32 v4, 12, v30 :: v_dual_lshrrev_b32 v2, 8, v1
	v_dual_lshrrev_b32 v3, 16, v1 :: v_dual_lshrrev_b32 v1, 24, v1
	s_mov_b32 s0, exec_lo
                                        ; implicit-def: $vgpr37
	s_delay_alu instid0(VALU_DEP_2)
	v_cmpx_le_u32_e64 s6, v4
	s_xor_b32 s0, exec_lo, s0
; %bb.104:
	s_delay_alu instid0(VALU_DEP_2) | instskip(SKIP_1) | instid1(VALU_DEP_2)
	v_lshlrev_b16 v1, 8, v1
	v_lshlrev_b16 v2, 8, v2
	v_bitop3_b16 v1, v3, v1, 0xff bitop3:0xec
	s_delay_alu instid0(VALU_DEP_2) | instskip(NEXT) | instid1(VALU_DEP_2)
	v_and_b32_e32 v2, 0xffff, v2
                                        ; implicit-def: $vgpr3
	v_lshlrev_b32_e32 v1, 16, v1
	s_delay_alu instid0(VALU_DEP_1)
	v_or_b32_e32 v37, v2, v1
                                        ; implicit-def: $vgpr1
                                        ; implicit-def: $vgpr2
; %bb.105:
	s_or_saveexec_b32 s1, s0
	v_mov_b32_e32 v38, 0
	s_xor_b32 exec_lo, exec_lo, s1
	s_cbranch_execz .LBB1255_109
; %bb.106:
	v_dual_add_nc_u32 v4, s19, v28 :: v_dual_add_nc_u32 v5, s17, v28
	s_mov_b32 s2, 0
	s_mov_b32 s3, exec_lo
	s_delay_alu instid0(VALU_DEP_1) | instskip(NEXT) | instid1(VALU_DEP_2)
	v_mul_lo_u32 v4, v4, s18
	v_mul_lo_u32 v5, v5, s16
	s_delay_alu instid0(VALU_DEP_1) | instskip(NEXT) | instid1(VALU_DEP_1)
	v_sub_nc_u32_e32 v4, v5, v4
	v_cmp_lt_u32_e32 vcc_lo, s20, v4
	v_cmpx_ge_u32_e64 s20, v4
	s_cbranch_execz .LBB1255_108
; %bb.107:
	v_dual_add_nc_u32 v4, s42, v28 :: v_dual_add_nc_u32 v5, s22, v28
	s_delay_alu instid0(VALU_DEP_1) | instskip(NEXT) | instid1(VALU_DEP_2)
	v_mul_lo_u32 v4, v4, s23
	v_mul_lo_u32 v5, v5, s21
	s_delay_alu instid0(VALU_DEP_1) | instskip(NEXT) | instid1(VALU_DEP_1)
	v_sub_nc_u32_e32 v4, v5, v4
	v_cmp_lt_u32_e64 s0, s43, v4
	s_and_b32 s2, s0, exec_lo
.LBB1255_108:
	s_or_b32 exec_lo, exec_lo, s3
	v_cndmask_b32_e64 v4, 0, 1, vcc_lo
	v_lshlrev_b16 v1, 8, v1
	v_lshlrev_b16 v2, 8, v2
	v_cndmask_b32_e64 v38, 0, 1, s2
	s_delay_alu instid0(VALU_DEP_3) | instskip(NEXT) | instid1(VALU_DEP_1)
	v_bitop3_b16 v1, v3, v1, 0xff bitop3:0xec
	v_dual_lshlrev_b32 v1, 16, v1 :: v_dual_bitop2_b32 v2, v4, v2 bitop3:0x54
	s_delay_alu instid0(VALU_DEP_1) | instskip(NEXT) | instid1(VALU_DEP_1)
	v_and_b32_e32 v2, 0xffff, v2
	v_or_b32_e32 v37, v2, v1
.LBB1255_109:
	s_or_b32 exec_lo, exec_lo, s1
.LBB1255_110:
	v_and_b32_e32 v61, 0xff, v31
	s_delay_alu instid0(VALU_DEP_2)
	v_bfe_u32 v62, v37, 8, 8
	v_bfe_u32 v59, v31, 8, 8
	;; [unrolled: 1-line block ×4, first 2 shown]
	v_dual_lshrrev_b32 v44, 24, v37 :: v_dual_lshrrev_b32 v43, 24, v31
	v_and_b32_e32 v57, 0xff, v32
	v_and_b32_e32 v55, 0xff, v33
	v_bfe_u32 v56, v32, 8, 8
	v_add3_u32 v1, v59, v61, v58
	v_add3_u32 v2, v60, v62, v44
	v_bfe_u32 v53, v33, 8, 8
	v_bfe_u32 v54, v32, 16, 8
	v_bfe_u32 v51, v33, 16, 8
	v_dual_lshrrev_b32 v42, 24, v32 :: v_dual_lshrrev_b32 v41, 24, v33
	v_add3_u32 v1, v1, v43, v55
	v_add3_u32 v2, v2, v57, v56
	v_and_b32_e32 v52, 0xff, v35
	v_and_b32_e32 v48, 0xff, v36
	v_bfe_u32 v50, v35, 8, 8
	v_add3_u32 v1, v1, v53, v51
	v_add3_u32 v2, v2, v54, v42
	v_bfe_u32 v47, v36, 8, 8
	v_bfe_u32 v49, v35, 16, 8
	;; [unrolled: 1-line block ×3, first 2 shown]
	v_dual_lshrrev_b32 v40, 24, v35 :: v_dual_lshrrev_b32 v39, 24, v36
	v_add3_u32 v1, v1, v41, v48
	v_add3_u32 v2, v2, v52, v50
	v_mbcnt_lo_u32_b32 v63, -1, 0
	v_and_b32_e32 v45, 0xff, v34
	v_and_b32_e32 v3, 0xff, v37
	;; [unrolled: 1-line block ×3, first 2 shown]
	v_add3_u32 v1, v1, v47, v46
	v_add3_u32 v2, v2, v49, v40
	v_dual_lshrrev_b32 v64, 5, v0 :: v_dual_bitop2_b32 v65, 15, v63 bitop3:0x40
	v_and_b32_e32 v67, 16, v63
	s_delay_alu instid0(VALU_DEP_4) | instskip(NEXT) | instid1(VALU_DEP_4)
	v_add3_u32 v68, v1, v39, v3
	v_add3_u32 v69, v2, v45, v4
	s_wait_xcnt 0x0
	v_cmp_eq_u32_e64 s1, 0, v65
	v_cmp_lt_u32_e64 s0, 1, v65
	v_cmp_lt_u32_e64 s2, 3, v65
	v_or_b32_e32 v66, 31, v0
	s_cmp_lg_u32 s33, 0
	s_mov_b32 s3, -1
	v_cmp_lt_u32_e32 vcc_lo, 7, v65
	s_cbranch_scc0 .LBB1255_131
; %bb.111:
	v_mov_b32_dpp v1, v69 row_shr:1 row_mask:0xf bank_mask:0xf
	v_mov_b32_dpp v2, v68 row_shr:1 row_mask:0xf bank_mask:0xf
	s_mov_b32 s3, exec_lo
	s_delay_alu instid0(VALU_DEP_1) | instskip(NEXT) | instid1(VALU_DEP_1)
	v_dual_add_nc_u32 v1, v1, v69 :: v_dual_add_nc_u32 v2, v2, v68
	v_dual_cndmask_b32 v1, v1, v69, s1 :: v_dual_cndmask_b32 v2, v2, v68, s1
	s_delay_alu instid0(VALU_DEP_1) | instskip(NEXT) | instid1(VALU_DEP_2)
	v_mov_b32_dpp v3, v1 row_shr:2 row_mask:0xf bank_mask:0xf
	v_mov_b32_dpp v4, v2 row_shr:2 row_mask:0xf bank_mask:0xf
	s_delay_alu instid0(VALU_DEP_1) | instskip(NEXT) | instid1(VALU_DEP_1)
	v_dual_add_nc_u32 v3, v1, v3 :: v_dual_add_nc_u32 v4, v2, v4
	v_dual_cndmask_b32 v1, v1, v3, s0 :: v_dual_cndmask_b32 v2, v2, v4, s0
	s_delay_alu instid0(VALU_DEP_1) | instskip(NEXT) | instid1(VALU_DEP_2)
	v_mov_b32_dpp v3, v1 row_shr:4 row_mask:0xf bank_mask:0xf
	v_mov_b32_dpp v4, v2 row_shr:4 row_mask:0xf bank_mask:0xf
	;; [unrolled: 6-line block ×3, first 2 shown]
	s_delay_alu instid0(VALU_DEP_1) | instskip(NEXT) | instid1(VALU_DEP_1)
	v_dual_add_nc_u32 v3, v1, v3 :: v_dual_add_nc_u32 v4, v2, v4
	v_dual_cndmask_b32 v1, v1, v3 :: v_dual_cndmask_b32 v2, v2, v4
	v_cmp_eq_u32_e32 vcc_lo, 0, v67
	ds_swizzle_b32 v3, v1 offset:swizzle(BROADCAST,32,15)
	ds_swizzle_b32 v4, v2 offset:swizzle(BROADCAST,32,15)
	s_wait_dscnt 0x0
	v_dual_add_nc_u32 v3, v1, v3 :: v_dual_add_nc_u32 v4, v2, v4
	v_cmpx_eq_u32_e64 v0, v66
; %bb.112:
	s_delay_alu instid0(VALU_DEP_2) | instskip(NEXT) | instid1(VALU_DEP_3)
	v_dual_lshlrev_b32 v5, 3, v64 :: v_dual_cndmask_b32 v7, v3, v1, vcc_lo
	v_cndmask_b32_e32 v6, v4, v2, vcc_lo
	ds_store_b64 v5, v[6:7]
; %bb.113:
	s_or_b32 exec_lo, exec_lo, s3
	s_delay_alu instid0(SALU_CYCLE_1)
	s_mov_b32 s3, exec_lo
	s_wait_dscnt 0x0
	s_barrier_signal -1
	s_barrier_wait -1
	v_cmpx_gt_u32_e32 8, v0
	s_cbranch_execz .LBB1255_115
; %bb.114:
	v_dual_lshlrev_b32 v5, 3, v0 :: v_dual_bitop2_b32 v22, 7, v63 bitop3:0x40
	ds_load_b64 v[6:7], v5
	v_cmp_eq_u32_e64 s2, 0, v22
	s_wait_dscnt 0x0
	v_mov_b32_dpp v8, v6 row_shr:1 row_mask:0xf bank_mask:0xf
	v_mov_b32_dpp v9, v7 row_shr:1 row_mask:0xf bank_mask:0xf
	s_delay_alu instid0(VALU_DEP_1) | instskip(NEXT) | instid1(VALU_DEP_1)
	v_dual_add_nc_u32 v8, v8, v6 :: v_dual_add_nc_u32 v9, v9, v7
	v_dual_cndmask_b32 v6, v8, v6, s2 :: v_dual_cndmask_b32 v7, v9, v7, s2
	v_cmp_lt_u32_e64 s2, 1, v22
	s_delay_alu instid0(VALU_DEP_2) | instskip(NEXT) | instid1(VALU_DEP_3)
	v_mov_b32_dpp v8, v6 row_shr:2 row_mask:0xf bank_mask:0xf
	v_mov_b32_dpp v9, v7 row_shr:2 row_mask:0xf bank_mask:0xf
	s_delay_alu instid0(VALU_DEP_1) | instskip(NEXT) | instid1(VALU_DEP_1)
	v_dual_add_nc_u32 v8, v6, v8 :: v_dual_add_nc_u32 v9, v7, v9
	v_dual_cndmask_b32 v6, v6, v8, s2 :: v_dual_cndmask_b32 v7, v7, v9, s2
	v_cmp_lt_u32_e64 s2, 3, v22
	s_delay_alu instid0(VALU_DEP_2) | instskip(NEXT) | instid1(VALU_DEP_3)
	v_mov_b32_dpp v8, v6 row_shr:4 row_mask:0xf bank_mask:0xf
	v_mov_b32_dpp v9, v7 row_shr:4 row_mask:0xf bank_mask:0xf
	s_delay_alu instid0(VALU_DEP_1) | instskip(NEXT) | instid1(VALU_DEP_1)
	v_dual_cndmask_b32 v8, 0, v8, s2 :: v_dual_cndmask_b32 v9, 0, v9, s2
	v_dual_add_nc_u32 v6, v8, v6 :: v_dual_add_nc_u32 v7, v9, v7
	ds_store_b64 v5, v[6:7]
.LBB1255_115:
	s_or_b32 exec_lo, exec_lo, s3
	v_dual_cndmask_b32 v1, v3, v1 :: v_dual_cndmask_b32 v2, v4, v2
	s_mov_b32 s3, exec_lo
	v_cmp_gt_u32_e32 vcc_lo, 32, v0
	s_wait_dscnt 0x0
	s_barrier_signal -1
	s_barrier_wait -1
                                        ; implicit-def: $vgpr22
	v_cmpx_lt_u32_e32 31, v0
	s_cbranch_execz .LBB1255_117
; %bb.116:
	v_lshl_add_u32 v3, v64, 3, -8
	ds_load_b64 v[22:23], v3
	s_wait_dscnt 0x0
	v_dual_add_nc_u32 v1, v23, v1 :: v_dual_add_nc_u32 v2, v22, v2
.LBB1255_117:
	s_or_b32 exec_lo, exec_lo, s3
	v_sub_co_u32 v3, s2, v63, 1
	s_delay_alu instid0(VALU_DEP_1) | instskip(NEXT) | instid1(VALU_DEP_1)
	v_cmp_gt_i32_e64 s3, 0, v3
	v_cndmask_b32_e64 v3, v3, v63, s3
	s_delay_alu instid0(VALU_DEP_1)
	v_lshlrev_b32_e32 v3, 2, v3
	ds_bpermute_b32 v70, v3, v2
	ds_bpermute_b32 v1, v3, v1
	s_and_saveexec_b32 s3, vcc_lo
	s_cbranch_execz .LBB1255_136
; %bb.118:
	v_mov_b32_e32 v5, 0
	ds_load_b64 v[2:3], v5 offset:56
	s_and_saveexec_b32 s7, s2
	s_cbranch_execz .LBB1255_120
; %bb.119:
	s_add_co_i32 s8, s33, 32
	s_mov_b32 s9, 0
	v_mov_b32_e32 v4, 1
	s_lshl_b64 s[8:9], s[8:9], 4
	s_wait_kmcnt 0x0
	s_add_nc_u64 s[8:9], s[4:5], s[8:9]
	s_delay_alu instid0(SALU_CYCLE_1)
	v_mov_b64_e32 v[6:7], s[8:9]
	s_wait_dscnt 0x0
	;;#ASMSTART
	global_store_b128 v[6:7], v[2:5] off scope:SCOPE_DEV	
s_wait_storecnt 0x0
	;;#ASMEND
.LBB1255_120:
	s_or_b32 exec_lo, exec_lo, s7
	v_xad_u32 v24, v63, -1, s33
	s_mov_b32 s8, 0
	s_mov_b32 s7, exec_lo
	s_delay_alu instid0(VALU_DEP_1) | instskip(SKIP_1) | instid1(VALU_DEP_1)
	v_add_nc_u32_e32 v4, 32, v24
	s_wait_kmcnt 0x0
	v_lshl_add_u64 v[4:5], v[4:5], 4, s[4:5]
	;;#ASMSTART
	global_load_b128 v[6:9], v[4:5] off scope:SCOPE_DEV	
s_wait_loadcnt 0x0
	;;#ASMEND
	v_and_b32_e32 v9, 0xff, v8
	s_delay_alu instid0(VALU_DEP_1)
	v_cmpx_eq_u16_e32 0, v9
	s_cbranch_execz .LBB1255_123
.LBB1255_121:                           ; =>This Inner Loop Header: Depth=1
	;;#ASMSTART
	global_load_b128 v[6:9], v[4:5] off scope:SCOPE_DEV	
s_wait_loadcnt 0x0
	;;#ASMEND
	v_and_b32_e32 v9, 0xff, v8
	s_delay_alu instid0(VALU_DEP_1) | instskip(SKIP_1) | instid1(SALU_CYCLE_1)
	v_cmp_ne_u16_e32 vcc_lo, 0, v9
	s_or_b32 s8, vcc_lo, s8
	s_and_not1_b32 exec_lo, exec_lo, s8
	s_cbranch_execnz .LBB1255_121
; %bb.122:
	s_or_b32 exec_lo, exec_lo, s8
.LBB1255_123:
	s_delay_alu instid0(SALU_CYCLE_1)
	s_or_b32 exec_lo, exec_lo, s7
	v_cmp_ne_u32_e32 vcc_lo, 31, v63
	v_lshlrev_b32_e64 v72, v63, -1
	v_lshl_or_b32 v79, v63, 2, 64
	v_dual_add_nc_u32 v76, 4, v63 :: v_dual_add_nc_u32 v80, 16, v63
	v_add_co_ci_u32_e64 v4, null, 0, v63, vcc_lo
	s_delay_alu instid0(VALU_DEP_1)
	v_lshlrev_b32_e32 v71, 2, v4
	v_and_b32_e32 v4, 0xff, v8
	ds_bpermute_b32 v5, v71, v7
	v_cmp_eq_u16_e32 vcc_lo, 2, v4
	s_wait_dscnt 0x0
	v_add_nc_u32_e32 v5, v5, v7
	ds_bpermute_b32 v4, v71, v6
	v_and_b32_e32 v9, vcc_lo, v72
	v_cmp_gt_u32_e32 vcc_lo, 30, v63
	v_cndmask_b32_e64 v25, 0, 2, vcc_lo
	s_delay_alu instid0(VALU_DEP_1) | instskip(SKIP_3) | instid1(VALU_DEP_1)
	v_add_lshl_u32 v73, v25, v63, 2
	s_wait_dscnt 0x0
	v_add_nc_u32_e32 v4, v4, v6
	v_or_b32_e32 v9, 0x80000000, v9
	v_ctz_i32_b32_e32 v9, v9
	s_delay_alu instid0(VALU_DEP_1) | instskip(NEXT) | instid1(VALU_DEP_4)
	v_cmp_lt_u32_e32 vcc_lo, v63, v9
	v_dual_cndmask_b32 v5, v7, v5 :: v_dual_cndmask_b32 v4, v6, v4
	v_cmp_gt_u32_e32 vcc_lo, 28, v63
	ds_bpermute_b32 v6, v73, v5
	ds_bpermute_b32 v7, v73, v4
	v_add_nc_u32_e32 v74, 2, v63
	v_cndmask_b32_e64 v25, 0, 4, vcc_lo
	s_delay_alu instid0(VALU_DEP_1) | instskip(SKIP_4) | instid1(VALU_DEP_2)
	v_add_lshl_u32 v75, v25, v63, 2
	s_wait_dscnt 0x1
	v_add_nc_u32_e32 v6, v5, v6
	v_cmp_gt_u32_e32 vcc_lo, v74, v9
	s_wait_dscnt 0x0
	v_dual_add_nc_u32 v7, v4, v7 :: v_dual_cndmask_b32 v5, v6, v5, vcc_lo
	s_delay_alu instid0(VALU_DEP_1)
	v_cndmask_b32_e32 v4, v7, v4, vcc_lo
	v_cmp_gt_u32_e32 vcc_lo, 24, v63
	ds_bpermute_b32 v6, v75, v5
	ds_bpermute_b32 v7, v75, v4
	v_cndmask_b32_e64 v25, 0, 8, vcc_lo
	v_cmp_gt_u32_e32 vcc_lo, v76, v9
	s_delay_alu instid0(VALU_DEP_2) | instskip(SKIP_3) | instid1(VALU_DEP_1)
	v_add_lshl_u32 v77, v25, v63, 2
	s_wait_dscnt 0x1
	v_dual_mov_b32 v25, 0 :: v_dual_add_nc_u32 v6, v5, v6
	s_wait_dscnt 0x0
	v_dual_add_nc_u32 v7, v4, v7 :: v_dual_cndmask_b32 v5, v6, v5, vcc_lo
	s_delay_alu instid0(VALU_DEP_1) | instskip(SKIP_4) | instid1(VALU_DEP_1)
	v_cndmask_b32_e32 v4, v7, v4, vcc_lo
	ds_bpermute_b32 v6, v77, v5
	ds_bpermute_b32 v7, v77, v4
	s_wait_dscnt 0x1
	v_dual_add_nc_u32 v78, 8, v63 :: v_dual_add_nc_u32 v6, v5, v6
	v_cmp_gt_u32_e32 vcc_lo, v78, v9
	s_wait_dscnt 0x0
	s_delay_alu instid0(VALU_DEP_2) | instskip(NEXT) | instid1(VALU_DEP_1)
	v_dual_add_nc_u32 v7, v4, v7 :: v_dual_cndmask_b32 v5, v6, v5, vcc_lo
	v_cndmask_b32_e32 v4, v7, v4, vcc_lo
	v_cmp_le_u32_e32 vcc_lo, v80, v9
	ds_bpermute_b32 v7, v79, v5
	ds_bpermute_b32 v6, v79, v4
	s_wait_dscnt 0x0
	v_dual_cndmask_b32 v7, 0, v7 :: v_dual_cndmask_b32 v6, 0, v6
	s_delay_alu instid0(VALU_DEP_1)
	v_dual_add_nc_u32 v7, v7, v5 :: v_dual_add_nc_u32 v6, v6, v4
	s_branch .LBB1255_127
.LBB1255_124:                           ;   in Loop: Header=BB1255_127 Depth=1
	s_or_b32 exec_lo, exec_lo, s8
.LBB1255_125:                           ;   in Loop: Header=BB1255_127 Depth=1
	s_delay_alu instid0(SALU_CYCLE_1)
	s_or_b32 exec_lo, exec_lo, s7
	ds_bpermute_b32 v9, v71, v6
	ds_bpermute_b32 v26, v71, v7
	v_and_b32_e32 v27, 0xff, v8
	v_subrev_nc_u32_e32 v24, 32, v24
	s_mov_b32 s7, 0
	s_delay_alu instid0(VALU_DEP_2) | instskip(SKIP_1) | instid1(VALU_DEP_1)
	v_cmp_eq_u16_e32 vcc_lo, 2, v27
	v_and_or_b32 v27, vcc_lo, v72, 0x80000000
	v_ctz_i32_b32_e32 v27, v27
	s_wait_dscnt 0x0
	v_dual_add_nc_u32 v9, v9, v6 :: v_dual_add_nc_u32 v26, v26, v7
	s_delay_alu instid0(VALU_DEP_2) | instskip(NEXT) | instid1(VALU_DEP_2)
	v_cmp_lt_u32_e32 vcc_lo, v63, v27
	v_dual_cndmask_b32 v7, v7, v26 :: v_dual_cndmask_b32 v6, v6, v9
	v_cmp_gt_u32_e32 vcc_lo, v74, v27
	ds_bpermute_b32 v26, v73, v7
	ds_bpermute_b32 v9, v73, v6
	s_wait_dscnt 0x0
	v_dual_add_nc_u32 v26, v7, v26 :: v_dual_add_nc_u32 v9, v6, v9
	s_delay_alu instid0(VALU_DEP_1)
	v_dual_cndmask_b32 v7, v26, v7 :: v_dual_cndmask_b32 v6, v9, v6
	v_cmp_gt_u32_e32 vcc_lo, v76, v27
	ds_bpermute_b32 v26, v75, v7
	ds_bpermute_b32 v9, v75, v6
	s_wait_dscnt 0x0
	v_dual_add_nc_u32 v26, v7, v26 :: v_dual_add_nc_u32 v9, v6, v9
	s_delay_alu instid0(VALU_DEP_1)
	;; [unrolled: 7-line block ×3, first 2 shown]
	v_dual_cndmask_b32 v7, v26, v7 :: v_dual_cndmask_b32 v6, v9, v6
	v_cmp_le_u32_e32 vcc_lo, v80, v27
	ds_bpermute_b32 v26, v79, v7
	ds_bpermute_b32 v9, v79, v6
	s_wait_dscnt 0x0
	v_dual_cndmask_b32 v26, 0, v26 :: v_dual_cndmask_b32 v9, 0, v9
	s_delay_alu instid0(VALU_DEP_1) | instskip(NEXT) | instid1(VALU_DEP_2)
	v_add3_u32 v7, v7, v5, v26
	v_add3_u32 v6, v6, v4, v9
.LBB1255_126:                           ;   in Loop: Header=BB1255_127 Depth=1
	s_and_b32 vcc_lo, exec_lo, s7
	s_cbranch_vccnz .LBB1255_132
.LBB1255_127:                           ; =>This Loop Header: Depth=1
                                        ;     Child Loop BB1255_130 Depth 2
	v_and_b32_e32 v4, 0xff, v8
	s_mov_b32 s7, -1
                                        ; implicit-def: $vgpr8
	s_delay_alu instid0(VALU_DEP_1)
	v_cmp_ne_u16_e32 vcc_lo, 2, v4
	v_mov_b64_e32 v[4:5], v[6:7]
                                        ; implicit-def: $vgpr6_vgpr7
	s_cmp_lg_u32 vcc_lo, exec_lo
	s_cbranch_scc1 .LBB1255_126
; %bb.128:                              ;   in Loop: Header=BB1255_127 Depth=1
	v_lshl_add_u64 v[26:27], v[24:25], 4, s[4:5]
	;;#ASMSTART
	global_load_b128 v[6:9], v[26:27] off scope:SCOPE_DEV	
s_wait_loadcnt 0x0
	;;#ASMEND
	v_and_b32_e32 v9, 0xff, v8
	s_mov_b32 s7, exec_lo
	s_delay_alu instid0(VALU_DEP_1)
	v_cmpx_eq_u16_e32 0, v9
	s_cbranch_execz .LBB1255_125
; %bb.129:                              ;   in Loop: Header=BB1255_127 Depth=1
	s_mov_b32 s8, 0
.LBB1255_130:                           ;   Parent Loop BB1255_127 Depth=1
                                        ; =>  This Inner Loop Header: Depth=2
	;;#ASMSTART
	global_load_b128 v[6:9], v[26:27] off scope:SCOPE_DEV	
s_wait_loadcnt 0x0
	;;#ASMEND
	v_and_b32_e32 v9, 0xff, v8
	s_delay_alu instid0(VALU_DEP_1) | instskip(SKIP_1) | instid1(SALU_CYCLE_1)
	v_cmp_ne_u16_e32 vcc_lo, 0, v9
	s_or_b32 s8, vcc_lo, s8
	s_and_not1_b32 exec_lo, exec_lo, s8
	s_cbranch_execnz .LBB1255_130
	s_branch .LBB1255_124
.LBB1255_131:
                                        ; implicit-def: $vgpr1
                                        ; implicit-def: $vgpr4
                                        ; implicit-def: $vgpr6
                                        ; implicit-def: $vgpr8
                                        ; implicit-def: $vgpr22
	s_and_b32 vcc_lo, exec_lo, s3
	s_cbranch_vccnz .LBB1255_137
	s_branch .LBB1255_146
.LBB1255_132:
	s_and_saveexec_b32 s7, s2
	s_cbranch_execz .LBB1255_134
; %bb.133:
	s_add_co_i32 s8, s33, 32
	s_mov_b32 s9, 0
	v_dual_mov_b32 v8, 2 :: v_dual_mov_b32 v9, 0
	s_lshl_b64 s[8:9], s[8:9], 4
	v_dual_add_nc_u32 v7, v5, v3 :: v_dual_add_nc_u32 v6, v4, v2
	s_add_nc_u64 s[8:9], s[4:5], s[8:9]
	s_delay_alu instid0(SALU_CYCLE_1)
	v_mov_b64_e32 v[24:25], s[8:9]
	;;#ASMSTART
	global_store_b128 v[24:25], v[6:9] off scope:SCOPE_DEV	
s_wait_storecnt 0x0
	;;#ASMEND
	ds_store_b128 v9, v[2:5] offset:13312
.LBB1255_134:
	s_or_b32 exec_lo, exec_lo, s7
	v_cmp_eq_u32_e32 vcc_lo, 0, v0
	s_and_b32 exec_lo, exec_lo, vcc_lo
; %bb.135:
	v_mov_b32_e32 v2, 0
	ds_store_b64 v2, v[4:5] offset:56
.LBB1255_136:
	s_or_b32 exec_lo, exec_lo, s3
	s_wait_dscnt 0x0
	v_dual_mov_b32 v2, 0 :: v_dual_cndmask_b32 v1, v1, v23, s2
	s_barrier_signal -1
	s_barrier_wait -1
	ds_load_b64 v[8:9], v2 offset:56
	s_wait_dscnt 0x0
	s_barrier_signal -1
	s_barrier_wait -1
	ds_load_b128 v[2:5], v2 offset:13312
	v_cndmask_b32_e64 v6, v70, v22, s2
	v_cmp_eq_u32_e32 vcc_lo, 0, v0
	s_delay_alu instid0(VALU_DEP_2) | instskip(SKIP_2) | instid1(VALU_DEP_2)
	v_dual_add_nc_u32 v1, v9, v1 :: v_dual_add_nc_u32 v7, v8, v6
	s_wait_dscnt 0x0
	v_mov_b32_e32 v6, v5
	v_dual_cndmask_b32 v1, v1, v9 :: v_dual_cndmask_b32 v22, v7, v8
	v_mov_b32_e32 v8, v3
	s_branch .LBB1255_146
.LBB1255_137:
	v_mov_b32_dpp v1, v68 row_shr:1 row_mask:0xf bank_mask:0xf
	v_mov_b32_dpp v2, v69 row_shr:1 row_mask:0xf bank_mask:0xf
	v_cmp_lt_u32_e32 vcc_lo, 3, v65
	s_delay_alu instid0(VALU_DEP_2) | instskip(NEXT) | instid1(VALU_DEP_1)
	v_dual_add_nc_u32 v1, v1, v68 :: v_dual_add_nc_u32 v2, v2, v69
	v_dual_cndmask_b32 v1, v1, v68, s1 :: v_dual_cndmask_b32 v2, v2, v69, s1
	s_mov_b32 s1, exec_lo
	s_delay_alu instid0(VALU_DEP_1) | instskip(NEXT) | instid1(VALU_DEP_2)
	v_mov_b32_dpp v3, v1 row_shr:2 row_mask:0xf bank_mask:0xf
	v_mov_b32_dpp v4, v2 row_shr:2 row_mask:0xf bank_mask:0xf
	s_delay_alu instid0(VALU_DEP_1) | instskip(NEXT) | instid1(VALU_DEP_1)
	v_dual_add_nc_u32 v3, v1, v3 :: v_dual_add_nc_u32 v4, v2, v4
	v_dual_cndmask_b32 v1, v1, v3, s0 :: v_dual_cndmask_b32 v2, v2, v4, s0
	s_delay_alu instid0(VALU_DEP_1) | instskip(NEXT) | instid1(VALU_DEP_2)
	v_mov_b32_dpp v3, v1 row_shr:4 row_mask:0xf bank_mask:0xf
	v_mov_b32_dpp v4, v2 row_shr:4 row_mask:0xf bank_mask:0xf
	s_delay_alu instid0(VALU_DEP_1) | instskip(NEXT) | instid1(VALU_DEP_1)
	v_dual_add_nc_u32 v3, v1, v3 :: v_dual_add_nc_u32 v4, v2, v4
	v_dual_cndmask_b32 v3, v1, v3 :: v_dual_cndmask_b32 v2, v2, v4
	v_cmp_lt_u32_e32 vcc_lo, 7, v65
	s_delay_alu instid0(VALU_DEP_2) | instskip(NEXT) | instid1(VALU_DEP_3)
	v_mov_b32_dpp v1, v3 row_shr:8 row_mask:0xf bank_mask:0xf
	v_mov_b32_dpp v4, v2 row_shr:8 row_mask:0xf bank_mask:0xf
	s_delay_alu instid0(VALU_DEP_1) | instskip(NEXT) | instid1(VALU_DEP_1)
	v_dual_add_nc_u32 v5, v3, v1 :: v_dual_add_nc_u32 v1, v2, v4
	v_cndmask_b32_e32 v1, v2, v1, vcc_lo
	s_delay_alu instid0(VALU_DEP_2)
	v_cndmask_b32_e32 v2, v3, v5, vcc_lo
	v_cmp_eq_u32_e32 vcc_lo, 0, v67
	ds_swizzle_b32 v4, v2 offset:swizzle(BROADCAST,32,15)
	s_wait_dscnt 0x0
	v_add_nc_u32_e32 v4, v2, v4
	ds_swizzle_b32 v3, v1 offset:swizzle(BROADCAST,32,15)
	s_wait_dscnt 0x0
	v_add_nc_u32_e32 v3, v1, v3
	v_cmpx_eq_u32_e64 v0, v66
; %bb.138:
	s_delay_alu instid0(VALU_DEP_2)
	v_dual_cndmask_b32 v6, v4, v2 :: v_dual_cndmask_b32 v7, v3, v1
	v_lshlrev_b32_e32 v5, 3, v64
	ds_store_b64 v5, v[6:7]
; %bb.139:
	s_or_b32 exec_lo, exec_lo, s1
	s_delay_alu instid0(SALU_CYCLE_1)
	s_mov_b32 s1, exec_lo
	s_wait_dscnt 0x0
	s_barrier_signal -1
	s_barrier_wait -1
	v_cmpx_gt_u32_e32 8, v0
	s_cbranch_execz .LBB1255_141
; %bb.140:
	v_dual_lshlrev_b32 v5, 3, v0 :: v_dual_bitop2_b32 v22, 7, v63 bitop3:0x40
	ds_load_b64 v[6:7], v5
	v_cmp_eq_u32_e64 s0, 0, v22
	s_wait_dscnt 0x0
	v_mov_b32_dpp v8, v6 row_shr:1 row_mask:0xf bank_mask:0xf
	v_mov_b32_dpp v9, v7 row_shr:1 row_mask:0xf bank_mask:0xf
	s_delay_alu instid0(VALU_DEP_1) | instskip(NEXT) | instid1(VALU_DEP_1)
	v_dual_add_nc_u32 v8, v8, v6 :: v_dual_add_nc_u32 v9, v9, v7
	v_dual_cndmask_b32 v6, v8, v6, s0 :: v_dual_cndmask_b32 v7, v9, v7, s0
	v_cmp_lt_u32_e64 s0, 1, v22
	s_delay_alu instid0(VALU_DEP_2) | instskip(NEXT) | instid1(VALU_DEP_3)
	v_mov_b32_dpp v8, v6 row_shr:2 row_mask:0xf bank_mask:0xf
	v_mov_b32_dpp v9, v7 row_shr:2 row_mask:0xf bank_mask:0xf
	s_delay_alu instid0(VALU_DEP_1) | instskip(NEXT) | instid1(VALU_DEP_1)
	v_dual_add_nc_u32 v8, v6, v8 :: v_dual_add_nc_u32 v9, v7, v9
	v_dual_cndmask_b32 v6, v6, v8, s0 :: v_dual_cndmask_b32 v7, v7, v9, s0
	v_cmp_lt_u32_e64 s0, 3, v22
	s_delay_alu instid0(VALU_DEP_2) | instskip(NEXT) | instid1(VALU_DEP_3)
	v_mov_b32_dpp v8, v6 row_shr:4 row_mask:0xf bank_mask:0xf
	v_mov_b32_dpp v9, v7 row_shr:4 row_mask:0xf bank_mask:0xf
	s_delay_alu instid0(VALU_DEP_1) | instskip(NEXT) | instid1(VALU_DEP_1)
	v_dual_cndmask_b32 v8, 0, v8, s0 :: v_dual_cndmask_b32 v9, 0, v9, s0
	v_dual_add_nc_u32 v6, v8, v6 :: v_dual_add_nc_u32 v7, v9, v7
	ds_store_b64 v5, v[6:7]
.LBB1255_141:
	s_or_b32 exec_lo, exec_lo, s1
	v_dual_mov_b32 v5, 0 :: v_dual_mov_b32 v6, 0
	v_mov_b32_e32 v7, 0
	s_mov_b32 s1, exec_lo
	s_wait_dscnt 0x0
	s_barrier_signal -1
	s_barrier_wait -1
	v_cmpx_lt_u32_e32 31, v0
; %bb.142:
	v_lshl_add_u32 v6, v64, 3, -8
	ds_load_b64 v[6:7], v6
; %bb.143:
	s_or_b32 exec_lo, exec_lo, s1
	v_sub_co_u32 v8, s0, v63, 1
	v_dual_cndmask_b32 v2, v4, v2 :: v_dual_cndmask_b32 v1, v3, v1
	v_cmp_eq_u32_e32 vcc_lo, 0, v0
	s_delay_alu instid0(VALU_DEP_3) | instskip(SKIP_1) | instid1(VALU_DEP_1)
	v_cmp_gt_i32_e64 s1, 0, v8
	s_wait_dscnt 0x0
	v_dual_add_nc_u32 v2, v6, v2 :: v_dual_cndmask_b32 v4, v8, v63, s1
	s_delay_alu instid0(VALU_DEP_1)
	v_dual_lshlrev_b32 v3, 2, v4 :: v_dual_add_nc_u32 v4, v7, v1
	ds_bpermute_b32 v1, v3, v2
	ds_bpermute_b32 v8, v3, v4
	ds_load_b64 v[2:3], v5 offset:56
	s_and_saveexec_b32 s1, vcc_lo
	s_cbranch_execz .LBB1255_145
; %bb.144:
	s_wait_kmcnt 0x0
	s_add_nc_u64 s[2:3], s[4:5], 0x200
	v_dual_mov_b32 v4, 2 :: v_dual_mov_b32 v5, 0
	v_mov_b64_e32 v[22:23], s[2:3]
	s_wait_dscnt 0x0
	;;#ASMSTART
	global_store_b128 v[22:23], v[2:5] off scope:SCOPE_DEV	
s_wait_storecnt 0x0
	;;#ASMEND
.LBB1255_145:
	s_or_b32 exec_lo, exec_lo, s1
	s_wait_dscnt 0x1
	v_dual_cndmask_b32 v5, v8, v7, s0 :: v_dual_cndmask_b32 v7, v1, v6, s0
	v_dual_mov_b32 v6, 0 :: v_dual_mov_b32 v4, 0
	s_wait_dscnt 0x0
	v_mov_b32_e32 v8, v3
	s_delay_alu instid0(VALU_DEP_3)
	v_cndmask_b32_e64 v1, v5, 0, vcc_lo
	v_cndmask_b32_e64 v22, v7, 0, vcc_lo
	s_barrier_signal -1
	s_barrier_wait -1
.LBB1255_146:
	s_delay_alu instid0(VALU_DEP_1) | instskip(SKIP_1) | instid1(VALU_DEP_2)
	v_dual_add_nc_u32 v62, v1, v62 :: v_dual_add_nc_u32 v70, v22, v61
	v_dual_mov_b32 v5, 0 :: v_dual_lshrrev_b32 v68, 16, v37
	v_dual_lshrrev_b32 v3, 8, v37 :: v_dual_add_nc_u32 v71, v62, v60
	s_delay_alu instid0(VALU_DEP_3) | instskip(SKIP_1) | instid1(VALU_DEP_3)
	v_dual_add_nc_u32 v59, v70, v59 :: v_dual_lshlrev_b32 v60, 1, v2
	v_dual_sub_nc_u32 v72, v22, v4 :: v_dual_sub_nc_u32 v1, v1, v6
	v_dual_add_nc_u32 v73, v71, v44 :: v_dual_bitop2_b32 v74, 1, v31 bitop3:0x40
	s_delay_alu instid0(VALU_DEP_3) | instskip(NEXT) | instid1(VALU_DEP_3)
	v_dual_add_nc_u32 v58, v59, v58 :: v_dual_bitop2_b32 v75, 1, v3 bitop3:0x40
	v_dual_add_nc_u32 v1, v1, v2 :: v_dual_sub_nc_u32 v70, v70, v4
	s_delay_alu instid0(VALU_DEP_2)
	v_dual_add_nc_u32 v57, v73, v57 :: v_dual_add_nc_u32 v76, v58, v43
	v_mov_b32_e32 v61, v5
	s_wait_kmcnt 0x0
	v_add_nc_u64_e32 v[22:23], s[28:29], v[4:5]
	v_dual_mov_b32 v3, v5 :: v_dual_mov_b32 v7, v5
	v_dual_add_nc_u32 v55, v76, v55 :: v_dual_add_nc_u32 v56, v57, v56
	v_cmp_eq_u32_e32 vcc_lo, 1, v75
	v_dual_lshrrev_b32 v69, 8, v31 :: v_dual_lshrrev_b32 v67, 16, v31
	s_delay_alu instid0(VALU_DEP_3) | instskip(NEXT) | instid1(VALU_DEP_4)
	v_dual_add_nc_u32 v53, v55, v53 :: v_dual_mov_b32 v9, v5
	v_add_nc_u32_e32 v54, v56, v54
	v_add3_u32 v5, v60, v8, v30
	s_delay_alu instid0(VALU_DEP_3) | instskip(NEXT) | instid1(VALU_DEP_3)
	v_dual_sub_nc_u32 v62, v62, v6 :: v_dual_add_nc_u32 v51, v53, v51
	v_dual_add_nc_u32 v78, v72, v1 :: v_dual_add_nc_u32 v77, v54, v42
	s_delay_alu instid0(VALU_DEP_2) | instskip(NEXT) | instid1(VALU_DEP_2)
	v_dual_sub_nc_u32 v59, v59, v4 :: v_dual_add_nc_u32 v62, v62, v2
	v_dual_add_nc_u32 v79, v51, v41 :: v_dual_sub_nc_u32 v78, v5, v78
	s_delay_alu instid0(VALU_DEP_3) | instskip(SKIP_1) | instid1(VALU_DEP_3)
	v_add_nc_u32_e32 v52, v77, v52
	v_dual_sub_nc_u32 v73, v73, v6 :: v_dual_sub_nc_u32 v58, v58, v4
	v_add_nc_u32_e32 v48, v79, v48
	s_delay_alu instid0(VALU_DEP_4) | instskip(SKIP_2) | instid1(VALU_DEP_4)
	v_dual_sub_nc_u32 v71, v71, v6 :: v_dual_cndmask_b32 v1, v78, v1, vcc_lo
	v_cmp_eq_u32_e32 vcc_lo, 1, v74
	v_add_nc_u32_e32 v50, v52, v50
	v_dual_add_nc_u32 v80, v62, v70 :: v_dual_add_nc_u32 v47, v48, v47
	v_dual_lshrrev_b32 v66, 8, v32 :: v_dual_lshrrev_b32 v65, 16, v32
	v_dual_cndmask_b32 v1, v1, v72, vcc_lo :: v_dual_add_nc_u32 v71, v71, v2
	s_delay_alu instid0(VALU_DEP_3) | instskip(NEXT) | instid1(VALU_DEP_4)
	v_dual_add_nc_u32 v49, v50, v49 :: v_dual_add_nc_u32 v46, v47, v46
	v_sub_nc_u32_e32 v74, v5, v80
	s_delay_alu instid0(VALU_DEP_3) | instskip(NEXT) | instid1(VALU_DEP_3)
	v_dual_add_nc_u32 v75, v71, v59 :: v_dual_bitop2_b32 v68, 1, v68 bitop3:0x40
	v_dual_add_nc_u32 v72, v49, v40 :: v_dual_bitop2_b32 v69, 1, v69 bitop3:0x40
	s_delay_alu instid0(VALU_DEP_3) | instskip(NEXT) | instid1(VALU_DEP_3)
	v_add_nc_u32_e32 v74, 1, v74
	v_cmp_eq_u32_e32 vcc_lo, 1, v68
	s_delay_alu instid0(VALU_DEP_3) | instskip(SKIP_1) | instid1(VALU_DEP_4)
	v_dual_sub_nc_u32 v75, v5, v75 :: v_dual_add_nc_u32 v45, v72, v45
	v_dual_add_nc_u32 v68, v73, v2 :: v_dual_bitop2_b32 v44, 1, v44 bitop3:0x40
	v_cndmask_b32_e32 v62, v74, v62, vcc_lo
	v_cmp_eq_u32_e32 vcc_lo, 1, v69
	s_delay_alu instid0(VALU_DEP_3)
	v_dual_add_nc_u32 v73, 2, v75 :: v_dual_add_nc_u32 v69, v58, v68
	v_dual_lshlrev_b32 v1, 2, v1 :: v_dual_bitop2_b32 v67, 1, v67 bitop3:0x40
	v_add_nc_u32_e32 v78, v46, v39
	v_cndmask_b32_e32 v62, v62, v70, vcc_lo
	v_cmp_eq_u32_e32 vcc_lo, 1, v44
	v_dual_sub_nc_u32 v57, v57, v6 :: v_dual_bitop2_b32 v43, 1, v43 bitop3:0x40
	ds_store_b32 v1, v20
	v_dual_lshlrev_b32 v20, 2, v62 :: v_dual_cndmask_b32 v44, v73, v71, vcc_lo
	v_cmp_eq_u32_e32 vcc_lo, 1, v67
	v_sub_nc_u32_e32 v1, v5, v69
	v_dual_lshrrev_b32 v63, 16, v33 :: v_dual_lshrrev_b32 v64, 8, v33
	ds_store_b32 v20, v21
	v_dual_cndmask_b32 v44, v44, v59, vcc_lo :: v_dual_bitop2_b32 v32, 1, v32 bitop3:0x40
	v_dual_add_nc_u32 v1, 3, v1 :: v_dual_add_nc_u32 v57, v57, v2
	v_dual_sub_nc_u32 v54, v54, v6 :: v_dual_lshrrev_b32 v25, 16, v35
	v_lshrrev_b32_e32 v27, 8, v35
	s_delay_alu instid0(VALU_DEP_4)
	v_cmp_eq_u32_e32 vcc_lo, 1, v32
	v_sub_nc_u32_e32 v56, v56, v6
	v_sub_nc_u32_e32 v32, v76, v4
	v_dual_lshrrev_b32 v26, 8, v36 :: v_dual_lshrrev_b32 v24, 16, v36
	v_cndmask_b32_e32 v1, v1, v68, vcc_lo
	v_cmp_eq_u32_e32 vcc_lo, 1, v43
	v_dual_sub_nc_u32 v55, v55, v4 :: v_dual_add_nc_u32 v56, v56, v2
	v_dual_add_nc_u32 v43, v32, v57 :: v_dual_lshlrev_b32 v21, 2, v44
	s_delay_alu instid0(VALU_DEP_4) | instskip(NEXT) | instid1(VALU_DEP_2)
	v_dual_cndmask_b32 v1, v1, v58, vcc_lo :: v_dual_bitop2_b32 v58, 1, v65 bitop3:0x40
	v_dual_add_nc_u32 v20, v55, v56 :: v_dual_sub_nc_u32 v43, v5, v43
	s_delay_alu instid0(VALU_DEP_2) | instskip(NEXT) | instid1(VALU_DEP_2)
	v_dual_lshlrev_b32 v1, 2, v1 :: v_dual_bitop2_b32 v44, 1, v66 bitop3:0x40
	v_dual_sub_nc_u32 v20, v5, v20 :: v_dual_bitop2_b32 v33, 1, v33 bitop3:0x40
	s_delay_alu instid0(VALU_DEP_3) | instskip(NEXT) | instid1(VALU_DEP_3)
	v_add_nc_u32_e32 v43, 4, v43
	v_cmp_eq_u32_e32 vcc_lo, 1, v44
	v_dual_sub_nc_u32 v53, v53, v4 :: v_dual_add_nc_u32 v54, v54, v2
	s_delay_alu instid0(VALU_DEP_4)
	v_add_nc_u32_e32 v20, 5, v20
	ds_store_b32 v21, v18
	v_cndmask_b32_e32 v43, v43, v57, vcc_lo
	v_cmp_eq_u32_e32 vcc_lo, 1, v58
	v_and_b32_e32 v44, 1, v64
	ds_store_b32 v1, v19
	v_and_b32_e32 v21, 1, v63
	v_sub_nc_u64_e32 v[30:31], s[30:31], v[2:3]
	v_dual_cndmask_b32 v20, v20, v56, vcc_lo :: v_dual_add_nc_u32 v56, v53, v54
	v_cmp_eq_u32_e32 vcc_lo, 1, v33
	v_sub_nc_u32_e32 v33, v52, v6
	s_mov_b32 s41, 0
	s_delay_alu instid0(VALU_DEP_3)
	v_dual_sub_nc_u32 v18, v5, v56 :: v_dual_bitop2_b32 v27, 1, v27 bitop3:0x40
	v_cndmask_b32_e32 v32, v43, v32, vcc_lo
	v_cmp_eq_u32_e32 vcc_lo, 1, v44
	v_add_nc_u64_e32 v[30:31], v[30:31], v[6:7]
	s_add_nc_u64 s[0:1], s[34:35], s[40:41]
	v_dual_add_nc_u32 v18, 6, v18 :: v_dual_cndmask_b32 v20, v20, v55, vcc_lo
	v_dual_lshlrev_b32 v1, 2, v32 :: v_dual_sub_nc_u32 v32, v77, v6
	s_delay_alu instid0(VALU_DEP_2)
	v_dual_lshlrev_b32 v19, 2, v20 :: v_dual_bitop2_b32 v20, 1, v42 bitop3:0x40
	v_sub_nc_u32_e32 v42, v79, v4
	ds_store_b32 v1, v16
	ds_store_b32 v19, v17
	v_cmp_eq_u32_e32 vcc_lo, 1, v20
	v_dual_sub_nc_u32 v20, v51, v4 :: v_dual_add_nc_u32 v32, v32, v2
	v_dual_add_nc_u32 v33, v33, v2 :: v_dual_bitop2_b32 v19, 1, v35 bitop3:0x40
	v_cndmask_b32_e32 v18, v18, v54, vcc_lo
	v_cmp_eq_u32_e32 vcc_lo, 1, v21
	s_delay_alu instid0(VALU_DEP_4) | instskip(NEXT) | instid1(VALU_DEP_3)
	v_add_nc_u32_e32 v21, v20, v32
	v_dual_cndmask_b32 v18, v18, v53 :: v_dual_sub_nc_u32 v35, v48, v4
	v_add_nc_u32_e32 v1, v42, v33
	s_delay_alu instid0(VALU_DEP_3) | instskip(SKIP_1) | instid1(VALU_DEP_4)
	v_dual_sub_nc_u32 v17, v5, v21 :: v_dual_sub_nc_u32 v21, v50, v6
	v_cmp_eq_u32_e32 vcc_lo, 1, v19
	v_dual_lshlrev_b32 v16, 2, v18 :: v_dual_bitop2_b32 v18, 1, v41 bitop3:0x40
	s_delay_alu instid0(VALU_DEP_4) | instskip(NEXT) | instid1(VALU_DEP_4)
	v_sub_nc_u32_e32 v1, v5, v1
	v_dual_add_nc_u32 v17, 7, v17 :: v_dual_add_nc_u32 v21, v21, v2
	ds_store_b32 v16, v14
	v_dual_add_nc_u32 v1, 8, v1 :: v_dual_cndmask_b32 v17, v17, v32, vcc_lo
	v_cmp_eq_u32_e32 vcc_lo, 1, v27
	v_dual_add_nc_u32 v27, v35, v21 :: v_dual_bitop2_b32 v19, 1, v36 bitop3:0x40
	s_delay_alu instid0(VALU_DEP_3) | instskip(SKIP_1) | instid1(VALU_DEP_3)
	v_cndmask_b32_e32 v1, v1, v33, vcc_lo
	v_cmp_eq_u32_e32 vcc_lo, 1, v18
	v_dual_sub_nc_u32 v14, v5, v27 :: v_dual_bitop2_b32 v18, 1, v25 bitop3:0x40
	v_cndmask_b32_e32 v17, v17, v20, vcc_lo
	v_cmp_eq_u32_e32 vcc_lo, 1, v19
	v_dual_sub_nc_u32 v19, v47, v4 :: v_dual_cndmask_b32 v1, v1, v42, vcc_lo
	s_delay_alu instid0(VALU_DEP_4) | instskip(NEXT) | instid1(VALU_DEP_2)
	v_cmp_eq_u32_e32 vcc_lo, 1, v18
	v_lshlrev_b32_e32 v1, 2, v1
	v_dual_lshlrev_b32 v16, 2, v17 :: v_dual_sub_nc_u32 v17, v49, v6
	ds_store_b32 v16, v15
	v_add_nc_u32_e32 v17, v17, v2
	v_add_nc_u32_e32 v14, 9, v14
	ds_store_b32 v1, v12
	v_dual_sub_nc_u32 v16, v45, v6 :: v_dual_add_nc_u32 v15, v19, v17
	v_dual_cndmask_b32 v14, v14, v21, vcc_lo :: v_dual_bitop2_b32 v20, 1, v26 bitop3:0x40
	v_sub_nc_u32_e32 v12, v72, v6
	s_delay_alu instid0(VALU_DEP_3) | instskip(NEXT) | instid1(VALU_DEP_3)
	v_add_nc_u32_e32 v16, v16, v2
	v_cmp_eq_u32_e32 vcc_lo, 1, v20
	v_sub_nc_u32_e32 v20, v78, v4
	v_cndmask_b32_e32 v1, v14, v35, vcc_lo
	v_dual_sub_nc_u32 v14, v5, v15 :: v_dual_bitop2_b32 v15, 1, v40 bitop3:0x40
	v_dual_sub_nc_u32 v18, v46, v4 :: v_dual_add_nc_u32 v12, v12, v2
	s_delay_alu instid0(VALU_DEP_2) | instskip(NEXT) | instid1(VALU_DEP_3)
	v_dual_add_nc_u32 v14, 10, v14 :: v_dual_bitop2_b32 v4, 1, v24 bitop3:0x40
	v_cmp_eq_u32_e32 vcc_lo, 1, v15
	v_add_nc_u32_e32 v15, v20, v16
	s_delay_alu instid0(VALU_DEP_4) | instskip(NEXT) | instid1(VALU_DEP_4)
	v_dual_add_nc_u32 v21, v18, v12 :: v_dual_lshlrev_b32 v1, 2, v1
	v_cndmask_b32_e32 v14, v14, v17, vcc_lo
	v_cmp_eq_u32_e32 vcc_lo, 1, v4
	s_delay_alu instid0(VALU_DEP_3) | instskip(SKIP_4) | instid1(VALU_DEP_3)
	v_dual_sub_nc_u32 v17, v5, v21 :: v_dual_sub_nc_u32 v4, v5, v15
	ds_store_b32 v1, v13
	v_dual_cndmask_b32 v14, v14, v19, vcc_lo :: v_dual_bitop2_b32 v19, 1, v34 bitop3:0x40
	v_dual_add_nc_u32 v17, 11, v17 :: v_dual_bitop2_b32 v15, 1, v39 bitop3:0x40
	v_dual_add_nc_u32 v24, 12, v4 :: v_dual_bitop2_b32 v21, 1, v38 bitop3:0x40
	v_cmp_eq_u32_e32 vcc_lo, 1, v19
	v_add_nc_u64_e32 v[4:5], v[8:9], v[60:61]
	s_delay_alu instid0(VALU_DEP_4) | instskip(SKIP_2) | instid1(VALU_DEP_4)
	v_dual_lshlrev_b32 v14, 2, v14 :: v_dual_cndmask_b32 v12, v17, v12, vcc_lo
	v_and_b32_e32 v17, 1, v37
	v_cmp_eq_u32_e32 vcc_lo, 1, v21
	v_add_nc_u64_e32 v[4:5], v[4:5], v[30:31]
	ds_store_b32 v14, v10
	v_cndmask_b32_e32 v16, v24, v16, vcc_lo
	v_cmp_eq_u32_e32 vcc_lo, 1, v15
	v_add_nc_u64_e32 v[4:5], v[4:5], v[22:23]
	v_cndmask_b32_e32 v12, v12, v18, vcc_lo
	v_cmp_eq_u32_e32 vcc_lo, 1, v17
	v_cndmask_b32_e32 v15, v16, v20, vcc_lo
	v_cmp_ne_u32_e32 vcc_lo, 1, v29
	s_delay_alu instid0(VALU_DEP_2)
	v_dual_lshlrev_b32 v10, 2, v15 :: v_dual_lshlrev_b32 v1, 2, v12
	v_lshlrev_b64_e32 v[12:13], 2, v[30:31]
	v_lshlrev_b64_e32 v[14:15], 2, v[22:23]
	s_and_b32 vcc_lo, exec_lo, vcc_lo
	ds_store_b32 v1, v11
	ds_store_b32 v10, v28
	v_sub_nc_u64_e32 v[10:11], s[0:1], v[4:5]
	v_add_nc_u64_e32 v[4:5], s[38:39], v[12:13]
	v_add_nc_u64_e32 v[12:13], s[36:37], v[14:15]
	v_add_nc_u32_e32 v14, v2, v8
	s_mov_b32 s0, -1
	s_wait_dscnt 0x0
	s_barrier_signal -1
	s_barrier_wait -1
	s_cbranch_vccz .LBB1255_150
; %bb.147:
	s_and_b32 vcc_lo, exec_lo, s0
	s_cbranch_vccnz .LBB1255_255
.LBB1255_148:
	v_cmp_eq_u32_e32 vcc_lo, 0, v0
	s_and_b32 s0, vcc_lo, s15
	s_delay_alu instid0(SALU_CYCLE_1)
	s_and_saveexec_b32 s1, s0
	s_cbranch_execnz .LBB1255_373
.LBB1255_149:
	s_sendmsg sendmsg(MSG_DEALLOC_VGPRS)
	s_endpgm
.LBB1255_150:
	s_mov_b32 s0, exec_lo
	v_cmpx_ge_u32_e64 v0, v2
	s_xor_b32 s0, exec_lo, s0
	s_cbranch_execz .LBB1255_156
; %bb.151:
	v_mov_b32_e32 v1, 0
	s_mov_b32 s1, exec_lo
	v_cmpx_ge_u32_e64 v0, v14
	s_xor_b32 s1, exec_lo, s1
	s_cbranch_execz .LBB1255_153
; %bb.152:
	v_lshlrev_b32_e32 v15, 2, v0
	v_add_nc_u64_e32 v[16:17], v[10:11], v[0:1]
	ds_load_b32 v1, v15
	v_lshlrev_b64_e32 v[16:17], 2, v[16:17]
	s_delay_alu instid0(VALU_DEP_1)
	v_sub_nc_u64_e32 v[16:17], s[26:27], v[16:17]
	s_wait_dscnt 0x0
	global_store_b32 v[16:17], v1, off offset:-4
.LBB1255_153:
	s_wait_xcnt 0x0
	s_and_not1_saveexec_b32 s1, s1
	s_cbranch_execz .LBB1255_155
; %bb.154:
	v_lshlrev_b32_e32 v1, 2, v0
	v_readfirstlane_b32 s2, v4
	v_readfirstlane_b32 s3, v5
	ds_load_b32 v1, v1
	s_wait_dscnt 0x0
	global_store_b32 v0, v1, s[2:3] scale_offset
.LBB1255_155:
	s_wait_xcnt 0x0
	s_or_b32 exec_lo, exec_lo, s1
.LBB1255_156:
	s_and_not1_saveexec_b32 s0, s0
	s_cbranch_execz .LBB1255_158
; %bb.157:
	v_lshlrev_b32_e32 v1, 2, v0
	v_readfirstlane_b32 s2, v12
	v_readfirstlane_b32 s3, v13
	ds_load_b32 v1, v1
	s_wait_dscnt 0x0
	global_store_b32 v0, v1, s[2:3] scale_offset
.LBB1255_158:
	s_wait_xcnt 0x0
	s_or_b32 exec_lo, exec_lo, s0
	v_or_b32_e32 v1, 0x100, v0
	s_mov_b32 s0, exec_lo
	s_delay_alu instid0(VALU_DEP_1)
	v_cmpx_ge_u32_e64 v1, v2
	s_xor_b32 s0, exec_lo, s0
	s_cbranch_execz .LBB1255_164
; %bb.159:
	s_mov_b32 s1, exec_lo
	v_cmpx_ge_u32_e64 v1, v14
	s_xor_b32 s1, exec_lo, s1
	s_cbranch_execz .LBB1255_161
; %bb.160:
	v_dual_mov_b32 v1, 0 :: v_dual_lshlrev_b32 v15, 2, v0
	s_delay_alu instid0(VALU_DEP_1) | instskip(SKIP_2) | instid1(VALU_DEP_1)
	v_add_nc_u64_e32 v[16:17], v[10:11], v[0:1]
	ds_load_b32 v1, v15 offset:1024
	v_lshlrev_b64_e32 v[16:17], 2, v[16:17]
	v_sub_nc_u64_e32 v[16:17], s[26:27], v[16:17]
	s_wait_dscnt 0x0
	global_store_b32 v[16:17], v1, off offset:-1028
.LBB1255_161:
	s_wait_xcnt 0x0
	s_and_not1_saveexec_b32 s1, s1
	s_cbranch_execz .LBB1255_163
; %bb.162:
	v_lshlrev_b32_e32 v1, 2, v0
	v_readfirstlane_b32 s2, v4
	v_readfirstlane_b32 s3, v5
	ds_load_b32 v1, v1 offset:1024
	s_wait_dscnt 0x0
	global_store_b32 v0, v1, s[2:3] offset:1024 scale_offset
.LBB1255_163:
	s_wait_xcnt 0x0
	s_or_b32 exec_lo, exec_lo, s1
.LBB1255_164:
	s_and_not1_saveexec_b32 s0, s0
	s_cbranch_execz .LBB1255_166
; %bb.165:
	v_lshlrev_b32_e32 v1, 2, v0
	v_readfirstlane_b32 s2, v12
	v_readfirstlane_b32 s3, v13
	ds_load_b32 v1, v1 offset:1024
	s_wait_dscnt 0x0
	global_store_b32 v0, v1, s[2:3] offset:1024 scale_offset
.LBB1255_166:
	s_wait_xcnt 0x0
	s_or_b32 exec_lo, exec_lo, s0
	v_or_b32_e32 v1, 0x200, v0
	s_mov_b32 s0, exec_lo
	s_delay_alu instid0(VALU_DEP_1)
	v_cmpx_ge_u32_e64 v1, v2
	s_xor_b32 s0, exec_lo, s0
	s_cbranch_execz .LBB1255_172
; %bb.167:
	s_mov_b32 s1, exec_lo
	v_cmpx_ge_u32_e64 v1, v14
	s_xor_b32 s1, exec_lo, s1
	s_cbranch_execz .LBB1255_169
; %bb.168:
	v_dual_mov_b32 v1, 0 :: v_dual_lshlrev_b32 v15, 2, v0
	s_delay_alu instid0(VALU_DEP_1) | instskip(SKIP_2) | instid1(VALU_DEP_1)
	v_add_nc_u64_e32 v[16:17], v[10:11], v[0:1]
	ds_load_b32 v1, v15 offset:2048
	v_lshlrev_b64_e32 v[16:17], 2, v[16:17]
	v_sub_nc_u64_e32 v[16:17], s[26:27], v[16:17]
	s_wait_dscnt 0x0
	global_store_b32 v[16:17], v1, off offset:-2052
.LBB1255_169:
	s_wait_xcnt 0x0
	s_and_not1_saveexec_b32 s1, s1
	s_cbranch_execz .LBB1255_171
; %bb.170:
	v_lshlrev_b32_e32 v1, 2, v0
	v_readfirstlane_b32 s2, v4
	v_readfirstlane_b32 s3, v5
	ds_load_b32 v1, v1 offset:2048
	s_wait_dscnt 0x0
	global_store_b32 v0, v1, s[2:3] offset:2048 scale_offset
.LBB1255_171:
	s_wait_xcnt 0x0
	s_or_b32 exec_lo, exec_lo, s1
.LBB1255_172:
	s_and_not1_saveexec_b32 s0, s0
	s_cbranch_execz .LBB1255_174
; %bb.173:
	v_lshlrev_b32_e32 v1, 2, v0
	v_readfirstlane_b32 s2, v12
	v_readfirstlane_b32 s3, v13
	ds_load_b32 v1, v1 offset:2048
	s_wait_dscnt 0x0
	global_store_b32 v0, v1, s[2:3] offset:2048 scale_offset
.LBB1255_174:
	;; [unrolled: 47-line block ×12, first 2 shown]
	s_wait_xcnt 0x0
	s_or_b32 exec_lo, exec_lo, s0
	s_branch .LBB1255_148
.LBB1255_255:
	s_mov_b32 s0, exec_lo
	v_cmpx_gt_u32_e64 s6, v0
	s_cbranch_execz .LBB1255_264
; %bb.256:
	s_mov_b32 s1, exec_lo
	v_cmpx_ge_u32_e64 v0, v2
	s_xor_b32 s1, exec_lo, s1
	s_cbranch_execz .LBB1255_262
; %bb.257:
	v_mov_b32_e32 v1, 0
	s_mov_b32 s2, exec_lo
	v_cmpx_ge_u32_e64 v0, v14
	s_xor_b32 s2, exec_lo, s2
	s_cbranch_execz .LBB1255_259
; %bb.258:
	v_lshlrev_b32_e32 v15, 2, v0
	v_add_nc_u64_e32 v[16:17], v[10:11], v[0:1]
	ds_load_b32 v1, v15
	v_lshlrev_b64_e32 v[16:17], 2, v[16:17]
	s_delay_alu instid0(VALU_DEP_1)
	v_sub_nc_u64_e32 v[16:17], s[26:27], v[16:17]
	s_wait_dscnt 0x0
	global_store_b32 v[16:17], v1, off offset:-4
.LBB1255_259:
	s_wait_xcnt 0x0
	s_and_not1_saveexec_b32 s2, s2
	s_cbranch_execz .LBB1255_261
; %bb.260:
	v_lshlrev_b32_e32 v1, 2, v0
	v_readfirstlane_b32 s4, v4
	v_readfirstlane_b32 s5, v5
	ds_load_b32 v1, v1
	s_wait_dscnt 0x0
	global_store_b32 v0, v1, s[4:5] scale_offset
.LBB1255_261:
	s_wait_xcnt 0x0
	s_or_b32 exec_lo, exec_lo, s2
.LBB1255_262:
	s_and_not1_saveexec_b32 s1, s1
	s_cbranch_execz .LBB1255_264
; %bb.263:
	v_lshlrev_b32_e32 v1, 2, v0
	v_readfirstlane_b32 s2, v12
	v_readfirstlane_b32 s3, v13
	ds_load_b32 v1, v1
	s_wait_dscnt 0x0
	global_store_b32 v0, v1, s[2:3] scale_offset
.LBB1255_264:
	s_wait_xcnt 0x0
	s_or_b32 exec_lo, exec_lo, s0
	v_or_b32_e32 v1, 0x100, v0
	s_mov_b32 s0, exec_lo
	s_delay_alu instid0(VALU_DEP_1)
	v_cmpx_gt_u32_e64 s6, v1
	s_cbranch_execz .LBB1255_273
; %bb.265:
	s_mov_b32 s1, exec_lo
	v_cmpx_ge_u32_e64 v1, v2
	s_xor_b32 s1, exec_lo, s1
	s_cbranch_execz .LBB1255_271
; %bb.266:
	s_mov_b32 s2, exec_lo
	v_cmpx_ge_u32_e64 v1, v14
	s_xor_b32 s2, exec_lo, s2
	s_cbranch_execz .LBB1255_268
; %bb.267:
	v_dual_mov_b32 v1, 0 :: v_dual_lshlrev_b32 v15, 2, v0
	s_delay_alu instid0(VALU_DEP_1) | instskip(SKIP_2) | instid1(VALU_DEP_1)
	v_add_nc_u64_e32 v[16:17], v[10:11], v[0:1]
	ds_load_b32 v1, v15 offset:1024
	v_lshlrev_b64_e32 v[16:17], 2, v[16:17]
	v_sub_nc_u64_e32 v[16:17], s[26:27], v[16:17]
	s_wait_dscnt 0x0
	global_store_b32 v[16:17], v1, off offset:-1028
.LBB1255_268:
	s_wait_xcnt 0x0
	s_and_not1_saveexec_b32 s2, s2
	s_cbranch_execz .LBB1255_270
; %bb.269:
	v_lshlrev_b32_e32 v1, 2, v0
	v_readfirstlane_b32 s4, v4
	v_readfirstlane_b32 s5, v5
	ds_load_b32 v1, v1 offset:1024
	s_wait_dscnt 0x0
	global_store_b32 v0, v1, s[4:5] offset:1024 scale_offset
.LBB1255_270:
	s_wait_xcnt 0x0
	s_or_b32 exec_lo, exec_lo, s2
.LBB1255_271:
	s_and_not1_saveexec_b32 s1, s1
	s_cbranch_execz .LBB1255_273
; %bb.272:
	v_lshlrev_b32_e32 v1, 2, v0
	v_readfirstlane_b32 s2, v12
	v_readfirstlane_b32 s3, v13
	ds_load_b32 v1, v1 offset:1024
	s_wait_dscnt 0x0
	global_store_b32 v0, v1, s[2:3] offset:1024 scale_offset
.LBB1255_273:
	s_wait_xcnt 0x0
	s_or_b32 exec_lo, exec_lo, s0
	v_or_b32_e32 v1, 0x200, v0
	s_mov_b32 s0, exec_lo
	s_delay_alu instid0(VALU_DEP_1)
	v_cmpx_gt_u32_e64 s6, v1
	s_cbranch_execz .LBB1255_282
; %bb.274:
	s_mov_b32 s1, exec_lo
	v_cmpx_ge_u32_e64 v1, v2
	s_xor_b32 s1, exec_lo, s1
	s_cbranch_execz .LBB1255_280
; %bb.275:
	s_mov_b32 s2, exec_lo
	v_cmpx_ge_u32_e64 v1, v14
	s_xor_b32 s2, exec_lo, s2
	s_cbranch_execz .LBB1255_277
; %bb.276:
	v_dual_mov_b32 v1, 0 :: v_dual_lshlrev_b32 v15, 2, v0
	s_delay_alu instid0(VALU_DEP_1) | instskip(SKIP_2) | instid1(VALU_DEP_1)
	v_add_nc_u64_e32 v[16:17], v[10:11], v[0:1]
	ds_load_b32 v1, v15 offset:2048
	v_lshlrev_b64_e32 v[16:17], 2, v[16:17]
	v_sub_nc_u64_e32 v[16:17], s[26:27], v[16:17]
	s_wait_dscnt 0x0
	global_store_b32 v[16:17], v1, off offset:-2052
.LBB1255_277:
	s_wait_xcnt 0x0
	s_and_not1_saveexec_b32 s2, s2
	s_cbranch_execz .LBB1255_279
; %bb.278:
	v_lshlrev_b32_e32 v1, 2, v0
	v_readfirstlane_b32 s4, v4
	v_readfirstlane_b32 s5, v5
	ds_load_b32 v1, v1 offset:2048
	s_wait_dscnt 0x0
	global_store_b32 v0, v1, s[4:5] offset:2048 scale_offset
.LBB1255_279:
	s_wait_xcnt 0x0
	s_or_b32 exec_lo, exec_lo, s2
.LBB1255_280:
	s_and_not1_saveexec_b32 s1, s1
	s_cbranch_execz .LBB1255_282
; %bb.281:
	v_lshlrev_b32_e32 v1, 2, v0
	v_readfirstlane_b32 s2, v12
	v_readfirstlane_b32 s3, v13
	ds_load_b32 v1, v1 offset:2048
	s_wait_dscnt 0x0
	global_store_b32 v0, v1, s[2:3] offset:2048 scale_offset
.LBB1255_282:
	;; [unrolled: 51-line block ×11, first 2 shown]
	s_wait_xcnt 0x0
	s_or_b32 exec_lo, exec_lo, s0
	v_or_b32_e32 v1, 0xc00, v0
	s_mov_b32 s0, exec_lo
	s_delay_alu instid0(VALU_DEP_1)
	v_cmpx_gt_u32_e64 s6, v1
	s_cbranch_execz .LBB1255_372
; %bb.364:
	s_mov_b32 s1, exec_lo
	v_cmpx_ge_u32_e64 v1, v2
	s_xor_b32 s1, exec_lo, s1
	s_cbranch_execz .LBB1255_370
; %bb.365:
	s_mov_b32 s2, exec_lo
	v_cmpx_ge_u32_e64 v1, v14
	s_xor_b32 s2, exec_lo, s2
	s_cbranch_execz .LBB1255_367
; %bb.366:
	v_dual_mov_b32 v1, 0 :: v_dual_lshlrev_b32 v12, 2, v0
	s_delay_alu instid0(VALU_DEP_1) | instskip(SKIP_2) | instid1(VALU_DEP_1)
	v_add_nc_u64_e32 v[4:5], v[10:11], v[0:1]
	ds_load_b32 v1, v12 offset:12288
	v_lshlrev_b64_e32 v[4:5], 2, v[4:5]
	v_sub_nc_u64_e32 v[4:5], s[26:27], v[4:5]
	s_wait_dscnt 0x0
	global_store_b32 v[4:5], v1, off offset:-12292
                                        ; implicit-def: $vgpr4_vgpr5
.LBB1255_367:
	s_wait_xcnt 0x0
	s_and_not1_saveexec_b32 s2, s2
	s_cbranch_execz .LBB1255_369
; %bb.368:
	v_lshlrev_b32_e32 v1, 2, v0
	v_readfirstlane_b32 s4, v4
	v_readfirstlane_b32 s5, v5
	ds_load_b32 v1, v1 offset:12288
	s_wait_dscnt 0x0
	global_store_b32 v0, v1, s[4:5] offset:12288 scale_offset
.LBB1255_369:
	s_wait_xcnt 0x0
	s_or_b32 exec_lo, exec_lo, s2
                                        ; implicit-def: $vgpr12_vgpr13
.LBB1255_370:
	s_and_not1_saveexec_b32 s1, s1
	s_cbranch_execz .LBB1255_372
; %bb.371:
	v_lshlrev_b32_e32 v1, 2, v0
	v_readfirstlane_b32 s2, v12
	v_readfirstlane_b32 s3, v13
	ds_load_b32 v1, v1 offset:12288
	s_wait_dscnt 0x0
	global_store_b32 v0, v1, s[2:3] offset:12288 scale_offset
.LBB1255_372:
	s_wait_xcnt 0x0
	s_or_b32 exec_lo, exec_lo, s0
	v_cmp_eq_u32_e32 vcc_lo, 0, v0
	s_and_b32 s0, vcc_lo, s15
	s_delay_alu instid0(SALU_CYCLE_1)
	s_and_saveexec_b32 s1, s0
	s_cbranch_execz .LBB1255_149
.LBB1255_373:
	v_add_nc_u64_e32 v[0:1], s[30:31], v[8:9]
	v_add_nc_u64_e32 v[2:3], v[22:23], v[2:3]
	s_delay_alu instid0(VALU_DEP_2)
	v_add_nc_u64_e32 v[4:5], v[0:1], v[6:7]
	v_mov_b32_e32 v0, 0
	global_store_b128 v0, v[2:5], s[24:25]
	s_sendmsg sendmsg(MSG_DEALLOC_VGPRS)
	s_endpgm
	.section	.rodata,"a",@progbits
	.p2align	6, 0x0
	.amdhsa_kernel _ZN7rocprim17ROCPRIM_400000_NS6detail17trampoline_kernelINS0_13select_configILj256ELj13ELNS0_17block_load_methodE3ELS4_3ELS4_3ELNS0_20block_scan_algorithmE0ELj4294967295EEENS1_25partition_config_selectorILNS1_17partition_subalgoE4EjNS0_10empty_typeEbEEZZNS1_14partition_implILS8_4ELb0ES6_15HIP_vector_typeIjLj2EENS0_17counting_iteratorIjlEEPS9_SG_NS0_5tupleIJPjSI_NS0_16reverse_iteratorISI_EEEEENSH_IJSG_SG_SG_EEES9_SI_JZNS1_25segmented_radix_sort_implINS0_14default_configELb1EPKfPfPKlPlN2at6native12_GLOBAL__N_18offset_tEEE10hipError_tPvRmT1_PNSt15iterator_traitsIS12_E10value_typeET2_T3_PNS13_IS18_E10value_typeET4_jRbjT5_S1E_jjP12ihipStream_tbEUljE_ZNSN_ISO_Lb1ESQ_SR_ST_SU_SY_EESZ_S10_S11_S12_S16_S17_S18_S1B_S1C_jS1D_jS1E_S1E_jjS1G_bEUljE0_EEESZ_S10_S11_S18_S1C_S1E_T6_T7_T9_mT8_S1G_bDpT10_ENKUlT_T0_E_clISt17integral_constantIbLb0EES1U_EEDaS1P_S1Q_EUlS1P_E_NS1_11comp_targetILNS1_3genE0ELNS1_11target_archE4294967295ELNS1_3gpuE0ELNS1_3repE0EEENS1_30default_config_static_selectorELNS0_4arch9wavefront6targetE0EEEvS12_
		.amdhsa_group_segment_fixed_size 13328
		.amdhsa_private_segment_fixed_size 0
		.amdhsa_kernarg_size 176
		.amdhsa_user_sgpr_count 2
		.amdhsa_user_sgpr_dispatch_ptr 0
		.amdhsa_user_sgpr_queue_ptr 0
		.amdhsa_user_sgpr_kernarg_segment_ptr 1
		.amdhsa_user_sgpr_dispatch_id 0
		.amdhsa_user_sgpr_kernarg_preload_length 0
		.amdhsa_user_sgpr_kernarg_preload_offset 0
		.amdhsa_user_sgpr_private_segment_size 0
		.amdhsa_wavefront_size32 1
		.amdhsa_uses_dynamic_stack 0
		.amdhsa_enable_private_segment 0
		.amdhsa_system_sgpr_workgroup_id_x 1
		.amdhsa_system_sgpr_workgroup_id_y 0
		.amdhsa_system_sgpr_workgroup_id_z 0
		.amdhsa_system_sgpr_workgroup_info 0
		.amdhsa_system_vgpr_workitem_id 0
		.amdhsa_next_free_vgpr 81
		.amdhsa_next_free_sgpr 59
		.amdhsa_named_barrier_count 0
		.amdhsa_reserve_vcc 1
		.amdhsa_float_round_mode_32 0
		.amdhsa_float_round_mode_16_64 0
		.amdhsa_float_denorm_mode_32 3
		.amdhsa_float_denorm_mode_16_64 3
		.amdhsa_fp16_overflow 0
		.amdhsa_memory_ordered 1
		.amdhsa_forward_progress 1
		.amdhsa_inst_pref_size 139
		.amdhsa_round_robin_scheduling 0
		.amdhsa_exception_fp_ieee_invalid_op 0
		.amdhsa_exception_fp_denorm_src 0
		.amdhsa_exception_fp_ieee_div_zero 0
		.amdhsa_exception_fp_ieee_overflow 0
		.amdhsa_exception_fp_ieee_underflow 0
		.amdhsa_exception_fp_ieee_inexact 0
		.amdhsa_exception_int_div_zero 0
	.end_amdhsa_kernel
	.section	.text._ZN7rocprim17ROCPRIM_400000_NS6detail17trampoline_kernelINS0_13select_configILj256ELj13ELNS0_17block_load_methodE3ELS4_3ELS4_3ELNS0_20block_scan_algorithmE0ELj4294967295EEENS1_25partition_config_selectorILNS1_17partition_subalgoE4EjNS0_10empty_typeEbEEZZNS1_14partition_implILS8_4ELb0ES6_15HIP_vector_typeIjLj2EENS0_17counting_iteratorIjlEEPS9_SG_NS0_5tupleIJPjSI_NS0_16reverse_iteratorISI_EEEEENSH_IJSG_SG_SG_EEES9_SI_JZNS1_25segmented_radix_sort_implINS0_14default_configELb1EPKfPfPKlPlN2at6native12_GLOBAL__N_18offset_tEEE10hipError_tPvRmT1_PNSt15iterator_traitsIS12_E10value_typeET2_T3_PNS13_IS18_E10value_typeET4_jRbjT5_S1E_jjP12ihipStream_tbEUljE_ZNSN_ISO_Lb1ESQ_SR_ST_SU_SY_EESZ_S10_S11_S12_S16_S17_S18_S1B_S1C_jS1D_jS1E_S1E_jjS1G_bEUljE0_EEESZ_S10_S11_S18_S1C_S1E_T6_T7_T9_mT8_S1G_bDpT10_ENKUlT_T0_E_clISt17integral_constantIbLb0EES1U_EEDaS1P_S1Q_EUlS1P_E_NS1_11comp_targetILNS1_3genE0ELNS1_11target_archE4294967295ELNS1_3gpuE0ELNS1_3repE0EEENS1_30default_config_static_selectorELNS0_4arch9wavefront6targetE0EEEvS12_,"axG",@progbits,_ZN7rocprim17ROCPRIM_400000_NS6detail17trampoline_kernelINS0_13select_configILj256ELj13ELNS0_17block_load_methodE3ELS4_3ELS4_3ELNS0_20block_scan_algorithmE0ELj4294967295EEENS1_25partition_config_selectorILNS1_17partition_subalgoE4EjNS0_10empty_typeEbEEZZNS1_14partition_implILS8_4ELb0ES6_15HIP_vector_typeIjLj2EENS0_17counting_iteratorIjlEEPS9_SG_NS0_5tupleIJPjSI_NS0_16reverse_iteratorISI_EEEEENSH_IJSG_SG_SG_EEES9_SI_JZNS1_25segmented_radix_sort_implINS0_14default_configELb1EPKfPfPKlPlN2at6native12_GLOBAL__N_18offset_tEEE10hipError_tPvRmT1_PNSt15iterator_traitsIS12_E10value_typeET2_T3_PNS13_IS18_E10value_typeET4_jRbjT5_S1E_jjP12ihipStream_tbEUljE_ZNSN_ISO_Lb1ESQ_SR_ST_SU_SY_EESZ_S10_S11_S12_S16_S17_S18_S1B_S1C_jS1D_jS1E_S1E_jjS1G_bEUljE0_EEESZ_S10_S11_S18_S1C_S1E_T6_T7_T9_mT8_S1G_bDpT10_ENKUlT_T0_E_clISt17integral_constantIbLb0EES1U_EEDaS1P_S1Q_EUlS1P_E_NS1_11comp_targetILNS1_3genE0ELNS1_11target_archE4294967295ELNS1_3gpuE0ELNS1_3repE0EEENS1_30default_config_static_selectorELNS0_4arch9wavefront6targetE0EEEvS12_,comdat
.Lfunc_end1255:
	.size	_ZN7rocprim17ROCPRIM_400000_NS6detail17trampoline_kernelINS0_13select_configILj256ELj13ELNS0_17block_load_methodE3ELS4_3ELS4_3ELNS0_20block_scan_algorithmE0ELj4294967295EEENS1_25partition_config_selectorILNS1_17partition_subalgoE4EjNS0_10empty_typeEbEEZZNS1_14partition_implILS8_4ELb0ES6_15HIP_vector_typeIjLj2EENS0_17counting_iteratorIjlEEPS9_SG_NS0_5tupleIJPjSI_NS0_16reverse_iteratorISI_EEEEENSH_IJSG_SG_SG_EEES9_SI_JZNS1_25segmented_radix_sort_implINS0_14default_configELb1EPKfPfPKlPlN2at6native12_GLOBAL__N_18offset_tEEE10hipError_tPvRmT1_PNSt15iterator_traitsIS12_E10value_typeET2_T3_PNS13_IS18_E10value_typeET4_jRbjT5_S1E_jjP12ihipStream_tbEUljE_ZNSN_ISO_Lb1ESQ_SR_ST_SU_SY_EESZ_S10_S11_S12_S16_S17_S18_S1B_S1C_jS1D_jS1E_S1E_jjS1G_bEUljE0_EEESZ_S10_S11_S18_S1C_S1E_T6_T7_T9_mT8_S1G_bDpT10_ENKUlT_T0_E_clISt17integral_constantIbLb0EES1U_EEDaS1P_S1Q_EUlS1P_E_NS1_11comp_targetILNS1_3genE0ELNS1_11target_archE4294967295ELNS1_3gpuE0ELNS1_3repE0EEENS1_30default_config_static_selectorELNS0_4arch9wavefront6targetE0EEEvS12_, .Lfunc_end1255-_ZN7rocprim17ROCPRIM_400000_NS6detail17trampoline_kernelINS0_13select_configILj256ELj13ELNS0_17block_load_methodE3ELS4_3ELS4_3ELNS0_20block_scan_algorithmE0ELj4294967295EEENS1_25partition_config_selectorILNS1_17partition_subalgoE4EjNS0_10empty_typeEbEEZZNS1_14partition_implILS8_4ELb0ES6_15HIP_vector_typeIjLj2EENS0_17counting_iteratorIjlEEPS9_SG_NS0_5tupleIJPjSI_NS0_16reverse_iteratorISI_EEEEENSH_IJSG_SG_SG_EEES9_SI_JZNS1_25segmented_radix_sort_implINS0_14default_configELb1EPKfPfPKlPlN2at6native12_GLOBAL__N_18offset_tEEE10hipError_tPvRmT1_PNSt15iterator_traitsIS12_E10value_typeET2_T3_PNS13_IS18_E10value_typeET4_jRbjT5_S1E_jjP12ihipStream_tbEUljE_ZNSN_ISO_Lb1ESQ_SR_ST_SU_SY_EESZ_S10_S11_S12_S16_S17_S18_S1B_S1C_jS1D_jS1E_S1E_jjS1G_bEUljE0_EEESZ_S10_S11_S18_S1C_S1E_T6_T7_T9_mT8_S1G_bDpT10_ENKUlT_T0_E_clISt17integral_constantIbLb0EES1U_EEDaS1P_S1Q_EUlS1P_E_NS1_11comp_targetILNS1_3genE0ELNS1_11target_archE4294967295ELNS1_3gpuE0ELNS1_3repE0EEENS1_30default_config_static_selectorELNS0_4arch9wavefront6targetE0EEEvS12_
                                        ; -- End function
	.set _ZN7rocprim17ROCPRIM_400000_NS6detail17trampoline_kernelINS0_13select_configILj256ELj13ELNS0_17block_load_methodE3ELS4_3ELS4_3ELNS0_20block_scan_algorithmE0ELj4294967295EEENS1_25partition_config_selectorILNS1_17partition_subalgoE4EjNS0_10empty_typeEbEEZZNS1_14partition_implILS8_4ELb0ES6_15HIP_vector_typeIjLj2EENS0_17counting_iteratorIjlEEPS9_SG_NS0_5tupleIJPjSI_NS0_16reverse_iteratorISI_EEEEENSH_IJSG_SG_SG_EEES9_SI_JZNS1_25segmented_radix_sort_implINS0_14default_configELb1EPKfPfPKlPlN2at6native12_GLOBAL__N_18offset_tEEE10hipError_tPvRmT1_PNSt15iterator_traitsIS12_E10value_typeET2_T3_PNS13_IS18_E10value_typeET4_jRbjT5_S1E_jjP12ihipStream_tbEUljE_ZNSN_ISO_Lb1ESQ_SR_ST_SU_SY_EESZ_S10_S11_S12_S16_S17_S18_S1B_S1C_jS1D_jS1E_S1E_jjS1G_bEUljE0_EEESZ_S10_S11_S18_S1C_S1E_T6_T7_T9_mT8_S1G_bDpT10_ENKUlT_T0_E_clISt17integral_constantIbLb0EES1U_EEDaS1P_S1Q_EUlS1P_E_NS1_11comp_targetILNS1_3genE0ELNS1_11target_archE4294967295ELNS1_3gpuE0ELNS1_3repE0EEENS1_30default_config_static_selectorELNS0_4arch9wavefront6targetE0EEEvS12_.num_vgpr, 81
	.set _ZN7rocprim17ROCPRIM_400000_NS6detail17trampoline_kernelINS0_13select_configILj256ELj13ELNS0_17block_load_methodE3ELS4_3ELS4_3ELNS0_20block_scan_algorithmE0ELj4294967295EEENS1_25partition_config_selectorILNS1_17partition_subalgoE4EjNS0_10empty_typeEbEEZZNS1_14partition_implILS8_4ELb0ES6_15HIP_vector_typeIjLj2EENS0_17counting_iteratorIjlEEPS9_SG_NS0_5tupleIJPjSI_NS0_16reverse_iteratorISI_EEEEENSH_IJSG_SG_SG_EEES9_SI_JZNS1_25segmented_radix_sort_implINS0_14default_configELb1EPKfPfPKlPlN2at6native12_GLOBAL__N_18offset_tEEE10hipError_tPvRmT1_PNSt15iterator_traitsIS12_E10value_typeET2_T3_PNS13_IS18_E10value_typeET4_jRbjT5_S1E_jjP12ihipStream_tbEUljE_ZNSN_ISO_Lb1ESQ_SR_ST_SU_SY_EESZ_S10_S11_S12_S16_S17_S18_S1B_S1C_jS1D_jS1E_S1E_jjS1G_bEUljE0_EEESZ_S10_S11_S18_S1C_S1E_T6_T7_T9_mT8_S1G_bDpT10_ENKUlT_T0_E_clISt17integral_constantIbLb0EES1U_EEDaS1P_S1Q_EUlS1P_E_NS1_11comp_targetILNS1_3genE0ELNS1_11target_archE4294967295ELNS1_3gpuE0ELNS1_3repE0EEENS1_30default_config_static_selectorELNS0_4arch9wavefront6targetE0EEEvS12_.num_agpr, 0
	.set _ZN7rocprim17ROCPRIM_400000_NS6detail17trampoline_kernelINS0_13select_configILj256ELj13ELNS0_17block_load_methodE3ELS4_3ELS4_3ELNS0_20block_scan_algorithmE0ELj4294967295EEENS1_25partition_config_selectorILNS1_17partition_subalgoE4EjNS0_10empty_typeEbEEZZNS1_14partition_implILS8_4ELb0ES6_15HIP_vector_typeIjLj2EENS0_17counting_iteratorIjlEEPS9_SG_NS0_5tupleIJPjSI_NS0_16reverse_iteratorISI_EEEEENSH_IJSG_SG_SG_EEES9_SI_JZNS1_25segmented_radix_sort_implINS0_14default_configELb1EPKfPfPKlPlN2at6native12_GLOBAL__N_18offset_tEEE10hipError_tPvRmT1_PNSt15iterator_traitsIS12_E10value_typeET2_T3_PNS13_IS18_E10value_typeET4_jRbjT5_S1E_jjP12ihipStream_tbEUljE_ZNSN_ISO_Lb1ESQ_SR_ST_SU_SY_EESZ_S10_S11_S12_S16_S17_S18_S1B_S1C_jS1D_jS1E_S1E_jjS1G_bEUljE0_EEESZ_S10_S11_S18_S1C_S1E_T6_T7_T9_mT8_S1G_bDpT10_ENKUlT_T0_E_clISt17integral_constantIbLb0EES1U_EEDaS1P_S1Q_EUlS1P_E_NS1_11comp_targetILNS1_3genE0ELNS1_11target_archE4294967295ELNS1_3gpuE0ELNS1_3repE0EEENS1_30default_config_static_selectorELNS0_4arch9wavefront6targetE0EEEvS12_.numbered_sgpr, 59
	.set _ZN7rocprim17ROCPRIM_400000_NS6detail17trampoline_kernelINS0_13select_configILj256ELj13ELNS0_17block_load_methodE3ELS4_3ELS4_3ELNS0_20block_scan_algorithmE0ELj4294967295EEENS1_25partition_config_selectorILNS1_17partition_subalgoE4EjNS0_10empty_typeEbEEZZNS1_14partition_implILS8_4ELb0ES6_15HIP_vector_typeIjLj2EENS0_17counting_iteratorIjlEEPS9_SG_NS0_5tupleIJPjSI_NS0_16reverse_iteratorISI_EEEEENSH_IJSG_SG_SG_EEES9_SI_JZNS1_25segmented_radix_sort_implINS0_14default_configELb1EPKfPfPKlPlN2at6native12_GLOBAL__N_18offset_tEEE10hipError_tPvRmT1_PNSt15iterator_traitsIS12_E10value_typeET2_T3_PNS13_IS18_E10value_typeET4_jRbjT5_S1E_jjP12ihipStream_tbEUljE_ZNSN_ISO_Lb1ESQ_SR_ST_SU_SY_EESZ_S10_S11_S12_S16_S17_S18_S1B_S1C_jS1D_jS1E_S1E_jjS1G_bEUljE0_EEESZ_S10_S11_S18_S1C_S1E_T6_T7_T9_mT8_S1G_bDpT10_ENKUlT_T0_E_clISt17integral_constantIbLb0EES1U_EEDaS1P_S1Q_EUlS1P_E_NS1_11comp_targetILNS1_3genE0ELNS1_11target_archE4294967295ELNS1_3gpuE0ELNS1_3repE0EEENS1_30default_config_static_selectorELNS0_4arch9wavefront6targetE0EEEvS12_.num_named_barrier, 0
	.set _ZN7rocprim17ROCPRIM_400000_NS6detail17trampoline_kernelINS0_13select_configILj256ELj13ELNS0_17block_load_methodE3ELS4_3ELS4_3ELNS0_20block_scan_algorithmE0ELj4294967295EEENS1_25partition_config_selectorILNS1_17partition_subalgoE4EjNS0_10empty_typeEbEEZZNS1_14partition_implILS8_4ELb0ES6_15HIP_vector_typeIjLj2EENS0_17counting_iteratorIjlEEPS9_SG_NS0_5tupleIJPjSI_NS0_16reverse_iteratorISI_EEEEENSH_IJSG_SG_SG_EEES9_SI_JZNS1_25segmented_radix_sort_implINS0_14default_configELb1EPKfPfPKlPlN2at6native12_GLOBAL__N_18offset_tEEE10hipError_tPvRmT1_PNSt15iterator_traitsIS12_E10value_typeET2_T3_PNS13_IS18_E10value_typeET4_jRbjT5_S1E_jjP12ihipStream_tbEUljE_ZNSN_ISO_Lb1ESQ_SR_ST_SU_SY_EESZ_S10_S11_S12_S16_S17_S18_S1B_S1C_jS1D_jS1E_S1E_jjS1G_bEUljE0_EEESZ_S10_S11_S18_S1C_S1E_T6_T7_T9_mT8_S1G_bDpT10_ENKUlT_T0_E_clISt17integral_constantIbLb0EES1U_EEDaS1P_S1Q_EUlS1P_E_NS1_11comp_targetILNS1_3genE0ELNS1_11target_archE4294967295ELNS1_3gpuE0ELNS1_3repE0EEENS1_30default_config_static_selectorELNS0_4arch9wavefront6targetE0EEEvS12_.private_seg_size, 0
	.set _ZN7rocprim17ROCPRIM_400000_NS6detail17trampoline_kernelINS0_13select_configILj256ELj13ELNS0_17block_load_methodE3ELS4_3ELS4_3ELNS0_20block_scan_algorithmE0ELj4294967295EEENS1_25partition_config_selectorILNS1_17partition_subalgoE4EjNS0_10empty_typeEbEEZZNS1_14partition_implILS8_4ELb0ES6_15HIP_vector_typeIjLj2EENS0_17counting_iteratorIjlEEPS9_SG_NS0_5tupleIJPjSI_NS0_16reverse_iteratorISI_EEEEENSH_IJSG_SG_SG_EEES9_SI_JZNS1_25segmented_radix_sort_implINS0_14default_configELb1EPKfPfPKlPlN2at6native12_GLOBAL__N_18offset_tEEE10hipError_tPvRmT1_PNSt15iterator_traitsIS12_E10value_typeET2_T3_PNS13_IS18_E10value_typeET4_jRbjT5_S1E_jjP12ihipStream_tbEUljE_ZNSN_ISO_Lb1ESQ_SR_ST_SU_SY_EESZ_S10_S11_S12_S16_S17_S18_S1B_S1C_jS1D_jS1E_S1E_jjS1G_bEUljE0_EEESZ_S10_S11_S18_S1C_S1E_T6_T7_T9_mT8_S1G_bDpT10_ENKUlT_T0_E_clISt17integral_constantIbLb0EES1U_EEDaS1P_S1Q_EUlS1P_E_NS1_11comp_targetILNS1_3genE0ELNS1_11target_archE4294967295ELNS1_3gpuE0ELNS1_3repE0EEENS1_30default_config_static_selectorELNS0_4arch9wavefront6targetE0EEEvS12_.uses_vcc, 1
	.set _ZN7rocprim17ROCPRIM_400000_NS6detail17trampoline_kernelINS0_13select_configILj256ELj13ELNS0_17block_load_methodE3ELS4_3ELS4_3ELNS0_20block_scan_algorithmE0ELj4294967295EEENS1_25partition_config_selectorILNS1_17partition_subalgoE4EjNS0_10empty_typeEbEEZZNS1_14partition_implILS8_4ELb0ES6_15HIP_vector_typeIjLj2EENS0_17counting_iteratorIjlEEPS9_SG_NS0_5tupleIJPjSI_NS0_16reverse_iteratorISI_EEEEENSH_IJSG_SG_SG_EEES9_SI_JZNS1_25segmented_radix_sort_implINS0_14default_configELb1EPKfPfPKlPlN2at6native12_GLOBAL__N_18offset_tEEE10hipError_tPvRmT1_PNSt15iterator_traitsIS12_E10value_typeET2_T3_PNS13_IS18_E10value_typeET4_jRbjT5_S1E_jjP12ihipStream_tbEUljE_ZNSN_ISO_Lb1ESQ_SR_ST_SU_SY_EESZ_S10_S11_S12_S16_S17_S18_S1B_S1C_jS1D_jS1E_S1E_jjS1G_bEUljE0_EEESZ_S10_S11_S18_S1C_S1E_T6_T7_T9_mT8_S1G_bDpT10_ENKUlT_T0_E_clISt17integral_constantIbLb0EES1U_EEDaS1P_S1Q_EUlS1P_E_NS1_11comp_targetILNS1_3genE0ELNS1_11target_archE4294967295ELNS1_3gpuE0ELNS1_3repE0EEENS1_30default_config_static_selectorELNS0_4arch9wavefront6targetE0EEEvS12_.uses_flat_scratch, 0
	.set _ZN7rocprim17ROCPRIM_400000_NS6detail17trampoline_kernelINS0_13select_configILj256ELj13ELNS0_17block_load_methodE3ELS4_3ELS4_3ELNS0_20block_scan_algorithmE0ELj4294967295EEENS1_25partition_config_selectorILNS1_17partition_subalgoE4EjNS0_10empty_typeEbEEZZNS1_14partition_implILS8_4ELb0ES6_15HIP_vector_typeIjLj2EENS0_17counting_iteratorIjlEEPS9_SG_NS0_5tupleIJPjSI_NS0_16reverse_iteratorISI_EEEEENSH_IJSG_SG_SG_EEES9_SI_JZNS1_25segmented_radix_sort_implINS0_14default_configELb1EPKfPfPKlPlN2at6native12_GLOBAL__N_18offset_tEEE10hipError_tPvRmT1_PNSt15iterator_traitsIS12_E10value_typeET2_T3_PNS13_IS18_E10value_typeET4_jRbjT5_S1E_jjP12ihipStream_tbEUljE_ZNSN_ISO_Lb1ESQ_SR_ST_SU_SY_EESZ_S10_S11_S12_S16_S17_S18_S1B_S1C_jS1D_jS1E_S1E_jjS1G_bEUljE0_EEESZ_S10_S11_S18_S1C_S1E_T6_T7_T9_mT8_S1G_bDpT10_ENKUlT_T0_E_clISt17integral_constantIbLb0EES1U_EEDaS1P_S1Q_EUlS1P_E_NS1_11comp_targetILNS1_3genE0ELNS1_11target_archE4294967295ELNS1_3gpuE0ELNS1_3repE0EEENS1_30default_config_static_selectorELNS0_4arch9wavefront6targetE0EEEvS12_.has_dyn_sized_stack, 0
	.set _ZN7rocprim17ROCPRIM_400000_NS6detail17trampoline_kernelINS0_13select_configILj256ELj13ELNS0_17block_load_methodE3ELS4_3ELS4_3ELNS0_20block_scan_algorithmE0ELj4294967295EEENS1_25partition_config_selectorILNS1_17partition_subalgoE4EjNS0_10empty_typeEbEEZZNS1_14partition_implILS8_4ELb0ES6_15HIP_vector_typeIjLj2EENS0_17counting_iteratorIjlEEPS9_SG_NS0_5tupleIJPjSI_NS0_16reverse_iteratorISI_EEEEENSH_IJSG_SG_SG_EEES9_SI_JZNS1_25segmented_radix_sort_implINS0_14default_configELb1EPKfPfPKlPlN2at6native12_GLOBAL__N_18offset_tEEE10hipError_tPvRmT1_PNSt15iterator_traitsIS12_E10value_typeET2_T3_PNS13_IS18_E10value_typeET4_jRbjT5_S1E_jjP12ihipStream_tbEUljE_ZNSN_ISO_Lb1ESQ_SR_ST_SU_SY_EESZ_S10_S11_S12_S16_S17_S18_S1B_S1C_jS1D_jS1E_S1E_jjS1G_bEUljE0_EEESZ_S10_S11_S18_S1C_S1E_T6_T7_T9_mT8_S1G_bDpT10_ENKUlT_T0_E_clISt17integral_constantIbLb0EES1U_EEDaS1P_S1Q_EUlS1P_E_NS1_11comp_targetILNS1_3genE0ELNS1_11target_archE4294967295ELNS1_3gpuE0ELNS1_3repE0EEENS1_30default_config_static_selectorELNS0_4arch9wavefront6targetE0EEEvS12_.has_recursion, 0
	.set _ZN7rocprim17ROCPRIM_400000_NS6detail17trampoline_kernelINS0_13select_configILj256ELj13ELNS0_17block_load_methodE3ELS4_3ELS4_3ELNS0_20block_scan_algorithmE0ELj4294967295EEENS1_25partition_config_selectorILNS1_17partition_subalgoE4EjNS0_10empty_typeEbEEZZNS1_14partition_implILS8_4ELb0ES6_15HIP_vector_typeIjLj2EENS0_17counting_iteratorIjlEEPS9_SG_NS0_5tupleIJPjSI_NS0_16reverse_iteratorISI_EEEEENSH_IJSG_SG_SG_EEES9_SI_JZNS1_25segmented_radix_sort_implINS0_14default_configELb1EPKfPfPKlPlN2at6native12_GLOBAL__N_18offset_tEEE10hipError_tPvRmT1_PNSt15iterator_traitsIS12_E10value_typeET2_T3_PNS13_IS18_E10value_typeET4_jRbjT5_S1E_jjP12ihipStream_tbEUljE_ZNSN_ISO_Lb1ESQ_SR_ST_SU_SY_EESZ_S10_S11_S12_S16_S17_S18_S1B_S1C_jS1D_jS1E_S1E_jjS1G_bEUljE0_EEESZ_S10_S11_S18_S1C_S1E_T6_T7_T9_mT8_S1G_bDpT10_ENKUlT_T0_E_clISt17integral_constantIbLb0EES1U_EEDaS1P_S1Q_EUlS1P_E_NS1_11comp_targetILNS1_3genE0ELNS1_11target_archE4294967295ELNS1_3gpuE0ELNS1_3repE0EEENS1_30default_config_static_selectorELNS0_4arch9wavefront6targetE0EEEvS12_.has_indirect_call, 0
	.section	.AMDGPU.csdata,"",@progbits
; Kernel info:
; codeLenInByte = 17784
; TotalNumSgprs: 61
; NumVgprs: 81
; ScratchSize: 0
; MemoryBound: 0
; FloatMode: 240
; IeeeMode: 1
; LDSByteSize: 13328 bytes/workgroup (compile time only)
; SGPRBlocks: 0
; VGPRBlocks: 5
; NumSGPRsForWavesPerEU: 61
; NumVGPRsForWavesPerEU: 81
; NamedBarCnt: 0
; Occupancy: 10
; WaveLimiterHint : 1
; COMPUTE_PGM_RSRC2:SCRATCH_EN: 0
; COMPUTE_PGM_RSRC2:USER_SGPR: 2
; COMPUTE_PGM_RSRC2:TRAP_HANDLER: 0
; COMPUTE_PGM_RSRC2:TGID_X_EN: 1
; COMPUTE_PGM_RSRC2:TGID_Y_EN: 0
; COMPUTE_PGM_RSRC2:TGID_Z_EN: 0
; COMPUTE_PGM_RSRC2:TIDIG_COMP_CNT: 0
	.section	.text._ZN7rocprim17ROCPRIM_400000_NS6detail17trampoline_kernelINS0_13select_configILj256ELj13ELNS0_17block_load_methodE3ELS4_3ELS4_3ELNS0_20block_scan_algorithmE0ELj4294967295EEENS1_25partition_config_selectorILNS1_17partition_subalgoE4EjNS0_10empty_typeEbEEZZNS1_14partition_implILS8_4ELb0ES6_15HIP_vector_typeIjLj2EENS0_17counting_iteratorIjlEEPS9_SG_NS0_5tupleIJPjSI_NS0_16reverse_iteratorISI_EEEEENSH_IJSG_SG_SG_EEES9_SI_JZNS1_25segmented_radix_sort_implINS0_14default_configELb1EPKfPfPKlPlN2at6native12_GLOBAL__N_18offset_tEEE10hipError_tPvRmT1_PNSt15iterator_traitsIS12_E10value_typeET2_T3_PNS13_IS18_E10value_typeET4_jRbjT5_S1E_jjP12ihipStream_tbEUljE_ZNSN_ISO_Lb1ESQ_SR_ST_SU_SY_EESZ_S10_S11_S12_S16_S17_S18_S1B_S1C_jS1D_jS1E_S1E_jjS1G_bEUljE0_EEESZ_S10_S11_S18_S1C_S1E_T6_T7_T9_mT8_S1G_bDpT10_ENKUlT_T0_E_clISt17integral_constantIbLb0EES1U_EEDaS1P_S1Q_EUlS1P_E_NS1_11comp_targetILNS1_3genE5ELNS1_11target_archE942ELNS1_3gpuE9ELNS1_3repE0EEENS1_30default_config_static_selectorELNS0_4arch9wavefront6targetE0EEEvS12_,"axG",@progbits,_ZN7rocprim17ROCPRIM_400000_NS6detail17trampoline_kernelINS0_13select_configILj256ELj13ELNS0_17block_load_methodE3ELS4_3ELS4_3ELNS0_20block_scan_algorithmE0ELj4294967295EEENS1_25partition_config_selectorILNS1_17partition_subalgoE4EjNS0_10empty_typeEbEEZZNS1_14partition_implILS8_4ELb0ES6_15HIP_vector_typeIjLj2EENS0_17counting_iteratorIjlEEPS9_SG_NS0_5tupleIJPjSI_NS0_16reverse_iteratorISI_EEEEENSH_IJSG_SG_SG_EEES9_SI_JZNS1_25segmented_radix_sort_implINS0_14default_configELb1EPKfPfPKlPlN2at6native12_GLOBAL__N_18offset_tEEE10hipError_tPvRmT1_PNSt15iterator_traitsIS12_E10value_typeET2_T3_PNS13_IS18_E10value_typeET4_jRbjT5_S1E_jjP12ihipStream_tbEUljE_ZNSN_ISO_Lb1ESQ_SR_ST_SU_SY_EESZ_S10_S11_S12_S16_S17_S18_S1B_S1C_jS1D_jS1E_S1E_jjS1G_bEUljE0_EEESZ_S10_S11_S18_S1C_S1E_T6_T7_T9_mT8_S1G_bDpT10_ENKUlT_T0_E_clISt17integral_constantIbLb0EES1U_EEDaS1P_S1Q_EUlS1P_E_NS1_11comp_targetILNS1_3genE5ELNS1_11target_archE942ELNS1_3gpuE9ELNS1_3repE0EEENS1_30default_config_static_selectorELNS0_4arch9wavefront6targetE0EEEvS12_,comdat
	.globl	_ZN7rocprim17ROCPRIM_400000_NS6detail17trampoline_kernelINS0_13select_configILj256ELj13ELNS0_17block_load_methodE3ELS4_3ELS4_3ELNS0_20block_scan_algorithmE0ELj4294967295EEENS1_25partition_config_selectorILNS1_17partition_subalgoE4EjNS0_10empty_typeEbEEZZNS1_14partition_implILS8_4ELb0ES6_15HIP_vector_typeIjLj2EENS0_17counting_iteratorIjlEEPS9_SG_NS0_5tupleIJPjSI_NS0_16reverse_iteratorISI_EEEEENSH_IJSG_SG_SG_EEES9_SI_JZNS1_25segmented_radix_sort_implINS0_14default_configELb1EPKfPfPKlPlN2at6native12_GLOBAL__N_18offset_tEEE10hipError_tPvRmT1_PNSt15iterator_traitsIS12_E10value_typeET2_T3_PNS13_IS18_E10value_typeET4_jRbjT5_S1E_jjP12ihipStream_tbEUljE_ZNSN_ISO_Lb1ESQ_SR_ST_SU_SY_EESZ_S10_S11_S12_S16_S17_S18_S1B_S1C_jS1D_jS1E_S1E_jjS1G_bEUljE0_EEESZ_S10_S11_S18_S1C_S1E_T6_T7_T9_mT8_S1G_bDpT10_ENKUlT_T0_E_clISt17integral_constantIbLb0EES1U_EEDaS1P_S1Q_EUlS1P_E_NS1_11comp_targetILNS1_3genE5ELNS1_11target_archE942ELNS1_3gpuE9ELNS1_3repE0EEENS1_30default_config_static_selectorELNS0_4arch9wavefront6targetE0EEEvS12_ ; -- Begin function _ZN7rocprim17ROCPRIM_400000_NS6detail17trampoline_kernelINS0_13select_configILj256ELj13ELNS0_17block_load_methodE3ELS4_3ELS4_3ELNS0_20block_scan_algorithmE0ELj4294967295EEENS1_25partition_config_selectorILNS1_17partition_subalgoE4EjNS0_10empty_typeEbEEZZNS1_14partition_implILS8_4ELb0ES6_15HIP_vector_typeIjLj2EENS0_17counting_iteratorIjlEEPS9_SG_NS0_5tupleIJPjSI_NS0_16reverse_iteratorISI_EEEEENSH_IJSG_SG_SG_EEES9_SI_JZNS1_25segmented_radix_sort_implINS0_14default_configELb1EPKfPfPKlPlN2at6native12_GLOBAL__N_18offset_tEEE10hipError_tPvRmT1_PNSt15iterator_traitsIS12_E10value_typeET2_T3_PNS13_IS18_E10value_typeET4_jRbjT5_S1E_jjP12ihipStream_tbEUljE_ZNSN_ISO_Lb1ESQ_SR_ST_SU_SY_EESZ_S10_S11_S12_S16_S17_S18_S1B_S1C_jS1D_jS1E_S1E_jjS1G_bEUljE0_EEESZ_S10_S11_S18_S1C_S1E_T6_T7_T9_mT8_S1G_bDpT10_ENKUlT_T0_E_clISt17integral_constantIbLb0EES1U_EEDaS1P_S1Q_EUlS1P_E_NS1_11comp_targetILNS1_3genE5ELNS1_11target_archE942ELNS1_3gpuE9ELNS1_3repE0EEENS1_30default_config_static_selectorELNS0_4arch9wavefront6targetE0EEEvS12_
	.p2align	8
	.type	_ZN7rocprim17ROCPRIM_400000_NS6detail17trampoline_kernelINS0_13select_configILj256ELj13ELNS0_17block_load_methodE3ELS4_3ELS4_3ELNS0_20block_scan_algorithmE0ELj4294967295EEENS1_25partition_config_selectorILNS1_17partition_subalgoE4EjNS0_10empty_typeEbEEZZNS1_14partition_implILS8_4ELb0ES6_15HIP_vector_typeIjLj2EENS0_17counting_iteratorIjlEEPS9_SG_NS0_5tupleIJPjSI_NS0_16reverse_iteratorISI_EEEEENSH_IJSG_SG_SG_EEES9_SI_JZNS1_25segmented_radix_sort_implINS0_14default_configELb1EPKfPfPKlPlN2at6native12_GLOBAL__N_18offset_tEEE10hipError_tPvRmT1_PNSt15iterator_traitsIS12_E10value_typeET2_T3_PNS13_IS18_E10value_typeET4_jRbjT5_S1E_jjP12ihipStream_tbEUljE_ZNSN_ISO_Lb1ESQ_SR_ST_SU_SY_EESZ_S10_S11_S12_S16_S17_S18_S1B_S1C_jS1D_jS1E_S1E_jjS1G_bEUljE0_EEESZ_S10_S11_S18_S1C_S1E_T6_T7_T9_mT8_S1G_bDpT10_ENKUlT_T0_E_clISt17integral_constantIbLb0EES1U_EEDaS1P_S1Q_EUlS1P_E_NS1_11comp_targetILNS1_3genE5ELNS1_11target_archE942ELNS1_3gpuE9ELNS1_3repE0EEENS1_30default_config_static_selectorELNS0_4arch9wavefront6targetE0EEEvS12_,@function
_ZN7rocprim17ROCPRIM_400000_NS6detail17trampoline_kernelINS0_13select_configILj256ELj13ELNS0_17block_load_methodE3ELS4_3ELS4_3ELNS0_20block_scan_algorithmE0ELj4294967295EEENS1_25partition_config_selectorILNS1_17partition_subalgoE4EjNS0_10empty_typeEbEEZZNS1_14partition_implILS8_4ELb0ES6_15HIP_vector_typeIjLj2EENS0_17counting_iteratorIjlEEPS9_SG_NS0_5tupleIJPjSI_NS0_16reverse_iteratorISI_EEEEENSH_IJSG_SG_SG_EEES9_SI_JZNS1_25segmented_radix_sort_implINS0_14default_configELb1EPKfPfPKlPlN2at6native12_GLOBAL__N_18offset_tEEE10hipError_tPvRmT1_PNSt15iterator_traitsIS12_E10value_typeET2_T3_PNS13_IS18_E10value_typeET4_jRbjT5_S1E_jjP12ihipStream_tbEUljE_ZNSN_ISO_Lb1ESQ_SR_ST_SU_SY_EESZ_S10_S11_S12_S16_S17_S18_S1B_S1C_jS1D_jS1E_S1E_jjS1G_bEUljE0_EEESZ_S10_S11_S18_S1C_S1E_T6_T7_T9_mT8_S1G_bDpT10_ENKUlT_T0_E_clISt17integral_constantIbLb0EES1U_EEDaS1P_S1Q_EUlS1P_E_NS1_11comp_targetILNS1_3genE5ELNS1_11target_archE942ELNS1_3gpuE9ELNS1_3repE0EEENS1_30default_config_static_selectorELNS0_4arch9wavefront6targetE0EEEvS12_: ; @_ZN7rocprim17ROCPRIM_400000_NS6detail17trampoline_kernelINS0_13select_configILj256ELj13ELNS0_17block_load_methodE3ELS4_3ELS4_3ELNS0_20block_scan_algorithmE0ELj4294967295EEENS1_25partition_config_selectorILNS1_17partition_subalgoE4EjNS0_10empty_typeEbEEZZNS1_14partition_implILS8_4ELb0ES6_15HIP_vector_typeIjLj2EENS0_17counting_iteratorIjlEEPS9_SG_NS0_5tupleIJPjSI_NS0_16reverse_iteratorISI_EEEEENSH_IJSG_SG_SG_EEES9_SI_JZNS1_25segmented_radix_sort_implINS0_14default_configELb1EPKfPfPKlPlN2at6native12_GLOBAL__N_18offset_tEEE10hipError_tPvRmT1_PNSt15iterator_traitsIS12_E10value_typeET2_T3_PNS13_IS18_E10value_typeET4_jRbjT5_S1E_jjP12ihipStream_tbEUljE_ZNSN_ISO_Lb1ESQ_SR_ST_SU_SY_EESZ_S10_S11_S12_S16_S17_S18_S1B_S1C_jS1D_jS1E_S1E_jjS1G_bEUljE0_EEESZ_S10_S11_S18_S1C_S1E_T6_T7_T9_mT8_S1G_bDpT10_ENKUlT_T0_E_clISt17integral_constantIbLb0EES1U_EEDaS1P_S1Q_EUlS1P_E_NS1_11comp_targetILNS1_3genE5ELNS1_11target_archE942ELNS1_3gpuE9ELNS1_3repE0EEENS1_30default_config_static_selectorELNS0_4arch9wavefront6targetE0EEEvS12_
; %bb.0:
	.section	.rodata,"a",@progbits
	.p2align	6, 0x0
	.amdhsa_kernel _ZN7rocprim17ROCPRIM_400000_NS6detail17trampoline_kernelINS0_13select_configILj256ELj13ELNS0_17block_load_methodE3ELS4_3ELS4_3ELNS0_20block_scan_algorithmE0ELj4294967295EEENS1_25partition_config_selectorILNS1_17partition_subalgoE4EjNS0_10empty_typeEbEEZZNS1_14partition_implILS8_4ELb0ES6_15HIP_vector_typeIjLj2EENS0_17counting_iteratorIjlEEPS9_SG_NS0_5tupleIJPjSI_NS0_16reverse_iteratorISI_EEEEENSH_IJSG_SG_SG_EEES9_SI_JZNS1_25segmented_radix_sort_implINS0_14default_configELb1EPKfPfPKlPlN2at6native12_GLOBAL__N_18offset_tEEE10hipError_tPvRmT1_PNSt15iterator_traitsIS12_E10value_typeET2_T3_PNS13_IS18_E10value_typeET4_jRbjT5_S1E_jjP12ihipStream_tbEUljE_ZNSN_ISO_Lb1ESQ_SR_ST_SU_SY_EESZ_S10_S11_S12_S16_S17_S18_S1B_S1C_jS1D_jS1E_S1E_jjS1G_bEUljE0_EEESZ_S10_S11_S18_S1C_S1E_T6_T7_T9_mT8_S1G_bDpT10_ENKUlT_T0_E_clISt17integral_constantIbLb0EES1U_EEDaS1P_S1Q_EUlS1P_E_NS1_11comp_targetILNS1_3genE5ELNS1_11target_archE942ELNS1_3gpuE9ELNS1_3repE0EEENS1_30default_config_static_selectorELNS0_4arch9wavefront6targetE0EEEvS12_
		.amdhsa_group_segment_fixed_size 0
		.amdhsa_private_segment_fixed_size 0
		.amdhsa_kernarg_size 176
		.amdhsa_user_sgpr_count 2
		.amdhsa_user_sgpr_dispatch_ptr 0
		.amdhsa_user_sgpr_queue_ptr 0
		.amdhsa_user_sgpr_kernarg_segment_ptr 1
		.amdhsa_user_sgpr_dispatch_id 0
		.amdhsa_user_sgpr_kernarg_preload_length 0
		.amdhsa_user_sgpr_kernarg_preload_offset 0
		.amdhsa_user_sgpr_private_segment_size 0
		.amdhsa_wavefront_size32 1
		.amdhsa_uses_dynamic_stack 0
		.amdhsa_enable_private_segment 0
		.amdhsa_system_sgpr_workgroup_id_x 1
		.amdhsa_system_sgpr_workgroup_id_y 0
		.amdhsa_system_sgpr_workgroup_id_z 0
		.amdhsa_system_sgpr_workgroup_info 0
		.amdhsa_system_vgpr_workitem_id 0
		.amdhsa_next_free_vgpr 1
		.amdhsa_next_free_sgpr 1
		.amdhsa_named_barrier_count 0
		.amdhsa_reserve_vcc 0
		.amdhsa_float_round_mode_32 0
		.amdhsa_float_round_mode_16_64 0
		.amdhsa_float_denorm_mode_32 3
		.amdhsa_float_denorm_mode_16_64 3
		.amdhsa_fp16_overflow 0
		.amdhsa_memory_ordered 1
		.amdhsa_forward_progress 1
		.amdhsa_inst_pref_size 0
		.amdhsa_round_robin_scheduling 0
		.amdhsa_exception_fp_ieee_invalid_op 0
		.amdhsa_exception_fp_denorm_src 0
		.amdhsa_exception_fp_ieee_div_zero 0
		.amdhsa_exception_fp_ieee_overflow 0
		.amdhsa_exception_fp_ieee_underflow 0
		.amdhsa_exception_fp_ieee_inexact 0
		.amdhsa_exception_int_div_zero 0
	.end_amdhsa_kernel
	.section	.text._ZN7rocprim17ROCPRIM_400000_NS6detail17trampoline_kernelINS0_13select_configILj256ELj13ELNS0_17block_load_methodE3ELS4_3ELS4_3ELNS0_20block_scan_algorithmE0ELj4294967295EEENS1_25partition_config_selectorILNS1_17partition_subalgoE4EjNS0_10empty_typeEbEEZZNS1_14partition_implILS8_4ELb0ES6_15HIP_vector_typeIjLj2EENS0_17counting_iteratorIjlEEPS9_SG_NS0_5tupleIJPjSI_NS0_16reverse_iteratorISI_EEEEENSH_IJSG_SG_SG_EEES9_SI_JZNS1_25segmented_radix_sort_implINS0_14default_configELb1EPKfPfPKlPlN2at6native12_GLOBAL__N_18offset_tEEE10hipError_tPvRmT1_PNSt15iterator_traitsIS12_E10value_typeET2_T3_PNS13_IS18_E10value_typeET4_jRbjT5_S1E_jjP12ihipStream_tbEUljE_ZNSN_ISO_Lb1ESQ_SR_ST_SU_SY_EESZ_S10_S11_S12_S16_S17_S18_S1B_S1C_jS1D_jS1E_S1E_jjS1G_bEUljE0_EEESZ_S10_S11_S18_S1C_S1E_T6_T7_T9_mT8_S1G_bDpT10_ENKUlT_T0_E_clISt17integral_constantIbLb0EES1U_EEDaS1P_S1Q_EUlS1P_E_NS1_11comp_targetILNS1_3genE5ELNS1_11target_archE942ELNS1_3gpuE9ELNS1_3repE0EEENS1_30default_config_static_selectorELNS0_4arch9wavefront6targetE0EEEvS12_,"axG",@progbits,_ZN7rocprim17ROCPRIM_400000_NS6detail17trampoline_kernelINS0_13select_configILj256ELj13ELNS0_17block_load_methodE3ELS4_3ELS4_3ELNS0_20block_scan_algorithmE0ELj4294967295EEENS1_25partition_config_selectorILNS1_17partition_subalgoE4EjNS0_10empty_typeEbEEZZNS1_14partition_implILS8_4ELb0ES6_15HIP_vector_typeIjLj2EENS0_17counting_iteratorIjlEEPS9_SG_NS0_5tupleIJPjSI_NS0_16reverse_iteratorISI_EEEEENSH_IJSG_SG_SG_EEES9_SI_JZNS1_25segmented_radix_sort_implINS0_14default_configELb1EPKfPfPKlPlN2at6native12_GLOBAL__N_18offset_tEEE10hipError_tPvRmT1_PNSt15iterator_traitsIS12_E10value_typeET2_T3_PNS13_IS18_E10value_typeET4_jRbjT5_S1E_jjP12ihipStream_tbEUljE_ZNSN_ISO_Lb1ESQ_SR_ST_SU_SY_EESZ_S10_S11_S12_S16_S17_S18_S1B_S1C_jS1D_jS1E_S1E_jjS1G_bEUljE0_EEESZ_S10_S11_S18_S1C_S1E_T6_T7_T9_mT8_S1G_bDpT10_ENKUlT_T0_E_clISt17integral_constantIbLb0EES1U_EEDaS1P_S1Q_EUlS1P_E_NS1_11comp_targetILNS1_3genE5ELNS1_11target_archE942ELNS1_3gpuE9ELNS1_3repE0EEENS1_30default_config_static_selectorELNS0_4arch9wavefront6targetE0EEEvS12_,comdat
.Lfunc_end1256:
	.size	_ZN7rocprim17ROCPRIM_400000_NS6detail17trampoline_kernelINS0_13select_configILj256ELj13ELNS0_17block_load_methodE3ELS4_3ELS4_3ELNS0_20block_scan_algorithmE0ELj4294967295EEENS1_25partition_config_selectorILNS1_17partition_subalgoE4EjNS0_10empty_typeEbEEZZNS1_14partition_implILS8_4ELb0ES6_15HIP_vector_typeIjLj2EENS0_17counting_iteratorIjlEEPS9_SG_NS0_5tupleIJPjSI_NS0_16reverse_iteratorISI_EEEEENSH_IJSG_SG_SG_EEES9_SI_JZNS1_25segmented_radix_sort_implINS0_14default_configELb1EPKfPfPKlPlN2at6native12_GLOBAL__N_18offset_tEEE10hipError_tPvRmT1_PNSt15iterator_traitsIS12_E10value_typeET2_T3_PNS13_IS18_E10value_typeET4_jRbjT5_S1E_jjP12ihipStream_tbEUljE_ZNSN_ISO_Lb1ESQ_SR_ST_SU_SY_EESZ_S10_S11_S12_S16_S17_S18_S1B_S1C_jS1D_jS1E_S1E_jjS1G_bEUljE0_EEESZ_S10_S11_S18_S1C_S1E_T6_T7_T9_mT8_S1G_bDpT10_ENKUlT_T0_E_clISt17integral_constantIbLb0EES1U_EEDaS1P_S1Q_EUlS1P_E_NS1_11comp_targetILNS1_3genE5ELNS1_11target_archE942ELNS1_3gpuE9ELNS1_3repE0EEENS1_30default_config_static_selectorELNS0_4arch9wavefront6targetE0EEEvS12_, .Lfunc_end1256-_ZN7rocprim17ROCPRIM_400000_NS6detail17trampoline_kernelINS0_13select_configILj256ELj13ELNS0_17block_load_methodE3ELS4_3ELS4_3ELNS0_20block_scan_algorithmE0ELj4294967295EEENS1_25partition_config_selectorILNS1_17partition_subalgoE4EjNS0_10empty_typeEbEEZZNS1_14partition_implILS8_4ELb0ES6_15HIP_vector_typeIjLj2EENS0_17counting_iteratorIjlEEPS9_SG_NS0_5tupleIJPjSI_NS0_16reverse_iteratorISI_EEEEENSH_IJSG_SG_SG_EEES9_SI_JZNS1_25segmented_radix_sort_implINS0_14default_configELb1EPKfPfPKlPlN2at6native12_GLOBAL__N_18offset_tEEE10hipError_tPvRmT1_PNSt15iterator_traitsIS12_E10value_typeET2_T3_PNS13_IS18_E10value_typeET4_jRbjT5_S1E_jjP12ihipStream_tbEUljE_ZNSN_ISO_Lb1ESQ_SR_ST_SU_SY_EESZ_S10_S11_S12_S16_S17_S18_S1B_S1C_jS1D_jS1E_S1E_jjS1G_bEUljE0_EEESZ_S10_S11_S18_S1C_S1E_T6_T7_T9_mT8_S1G_bDpT10_ENKUlT_T0_E_clISt17integral_constantIbLb0EES1U_EEDaS1P_S1Q_EUlS1P_E_NS1_11comp_targetILNS1_3genE5ELNS1_11target_archE942ELNS1_3gpuE9ELNS1_3repE0EEENS1_30default_config_static_selectorELNS0_4arch9wavefront6targetE0EEEvS12_
                                        ; -- End function
	.set _ZN7rocprim17ROCPRIM_400000_NS6detail17trampoline_kernelINS0_13select_configILj256ELj13ELNS0_17block_load_methodE3ELS4_3ELS4_3ELNS0_20block_scan_algorithmE0ELj4294967295EEENS1_25partition_config_selectorILNS1_17partition_subalgoE4EjNS0_10empty_typeEbEEZZNS1_14partition_implILS8_4ELb0ES6_15HIP_vector_typeIjLj2EENS0_17counting_iteratorIjlEEPS9_SG_NS0_5tupleIJPjSI_NS0_16reverse_iteratorISI_EEEEENSH_IJSG_SG_SG_EEES9_SI_JZNS1_25segmented_radix_sort_implINS0_14default_configELb1EPKfPfPKlPlN2at6native12_GLOBAL__N_18offset_tEEE10hipError_tPvRmT1_PNSt15iterator_traitsIS12_E10value_typeET2_T3_PNS13_IS18_E10value_typeET4_jRbjT5_S1E_jjP12ihipStream_tbEUljE_ZNSN_ISO_Lb1ESQ_SR_ST_SU_SY_EESZ_S10_S11_S12_S16_S17_S18_S1B_S1C_jS1D_jS1E_S1E_jjS1G_bEUljE0_EEESZ_S10_S11_S18_S1C_S1E_T6_T7_T9_mT8_S1G_bDpT10_ENKUlT_T0_E_clISt17integral_constantIbLb0EES1U_EEDaS1P_S1Q_EUlS1P_E_NS1_11comp_targetILNS1_3genE5ELNS1_11target_archE942ELNS1_3gpuE9ELNS1_3repE0EEENS1_30default_config_static_selectorELNS0_4arch9wavefront6targetE0EEEvS12_.num_vgpr, 0
	.set _ZN7rocprim17ROCPRIM_400000_NS6detail17trampoline_kernelINS0_13select_configILj256ELj13ELNS0_17block_load_methodE3ELS4_3ELS4_3ELNS0_20block_scan_algorithmE0ELj4294967295EEENS1_25partition_config_selectorILNS1_17partition_subalgoE4EjNS0_10empty_typeEbEEZZNS1_14partition_implILS8_4ELb0ES6_15HIP_vector_typeIjLj2EENS0_17counting_iteratorIjlEEPS9_SG_NS0_5tupleIJPjSI_NS0_16reverse_iteratorISI_EEEEENSH_IJSG_SG_SG_EEES9_SI_JZNS1_25segmented_radix_sort_implINS0_14default_configELb1EPKfPfPKlPlN2at6native12_GLOBAL__N_18offset_tEEE10hipError_tPvRmT1_PNSt15iterator_traitsIS12_E10value_typeET2_T3_PNS13_IS18_E10value_typeET4_jRbjT5_S1E_jjP12ihipStream_tbEUljE_ZNSN_ISO_Lb1ESQ_SR_ST_SU_SY_EESZ_S10_S11_S12_S16_S17_S18_S1B_S1C_jS1D_jS1E_S1E_jjS1G_bEUljE0_EEESZ_S10_S11_S18_S1C_S1E_T6_T7_T9_mT8_S1G_bDpT10_ENKUlT_T0_E_clISt17integral_constantIbLb0EES1U_EEDaS1P_S1Q_EUlS1P_E_NS1_11comp_targetILNS1_3genE5ELNS1_11target_archE942ELNS1_3gpuE9ELNS1_3repE0EEENS1_30default_config_static_selectorELNS0_4arch9wavefront6targetE0EEEvS12_.num_agpr, 0
	.set _ZN7rocprim17ROCPRIM_400000_NS6detail17trampoline_kernelINS0_13select_configILj256ELj13ELNS0_17block_load_methodE3ELS4_3ELS4_3ELNS0_20block_scan_algorithmE0ELj4294967295EEENS1_25partition_config_selectorILNS1_17partition_subalgoE4EjNS0_10empty_typeEbEEZZNS1_14partition_implILS8_4ELb0ES6_15HIP_vector_typeIjLj2EENS0_17counting_iteratorIjlEEPS9_SG_NS0_5tupleIJPjSI_NS0_16reverse_iteratorISI_EEEEENSH_IJSG_SG_SG_EEES9_SI_JZNS1_25segmented_radix_sort_implINS0_14default_configELb1EPKfPfPKlPlN2at6native12_GLOBAL__N_18offset_tEEE10hipError_tPvRmT1_PNSt15iterator_traitsIS12_E10value_typeET2_T3_PNS13_IS18_E10value_typeET4_jRbjT5_S1E_jjP12ihipStream_tbEUljE_ZNSN_ISO_Lb1ESQ_SR_ST_SU_SY_EESZ_S10_S11_S12_S16_S17_S18_S1B_S1C_jS1D_jS1E_S1E_jjS1G_bEUljE0_EEESZ_S10_S11_S18_S1C_S1E_T6_T7_T9_mT8_S1G_bDpT10_ENKUlT_T0_E_clISt17integral_constantIbLb0EES1U_EEDaS1P_S1Q_EUlS1P_E_NS1_11comp_targetILNS1_3genE5ELNS1_11target_archE942ELNS1_3gpuE9ELNS1_3repE0EEENS1_30default_config_static_selectorELNS0_4arch9wavefront6targetE0EEEvS12_.numbered_sgpr, 0
	.set _ZN7rocprim17ROCPRIM_400000_NS6detail17trampoline_kernelINS0_13select_configILj256ELj13ELNS0_17block_load_methodE3ELS4_3ELS4_3ELNS0_20block_scan_algorithmE0ELj4294967295EEENS1_25partition_config_selectorILNS1_17partition_subalgoE4EjNS0_10empty_typeEbEEZZNS1_14partition_implILS8_4ELb0ES6_15HIP_vector_typeIjLj2EENS0_17counting_iteratorIjlEEPS9_SG_NS0_5tupleIJPjSI_NS0_16reverse_iteratorISI_EEEEENSH_IJSG_SG_SG_EEES9_SI_JZNS1_25segmented_radix_sort_implINS0_14default_configELb1EPKfPfPKlPlN2at6native12_GLOBAL__N_18offset_tEEE10hipError_tPvRmT1_PNSt15iterator_traitsIS12_E10value_typeET2_T3_PNS13_IS18_E10value_typeET4_jRbjT5_S1E_jjP12ihipStream_tbEUljE_ZNSN_ISO_Lb1ESQ_SR_ST_SU_SY_EESZ_S10_S11_S12_S16_S17_S18_S1B_S1C_jS1D_jS1E_S1E_jjS1G_bEUljE0_EEESZ_S10_S11_S18_S1C_S1E_T6_T7_T9_mT8_S1G_bDpT10_ENKUlT_T0_E_clISt17integral_constantIbLb0EES1U_EEDaS1P_S1Q_EUlS1P_E_NS1_11comp_targetILNS1_3genE5ELNS1_11target_archE942ELNS1_3gpuE9ELNS1_3repE0EEENS1_30default_config_static_selectorELNS0_4arch9wavefront6targetE0EEEvS12_.num_named_barrier, 0
	.set _ZN7rocprim17ROCPRIM_400000_NS6detail17trampoline_kernelINS0_13select_configILj256ELj13ELNS0_17block_load_methodE3ELS4_3ELS4_3ELNS0_20block_scan_algorithmE0ELj4294967295EEENS1_25partition_config_selectorILNS1_17partition_subalgoE4EjNS0_10empty_typeEbEEZZNS1_14partition_implILS8_4ELb0ES6_15HIP_vector_typeIjLj2EENS0_17counting_iteratorIjlEEPS9_SG_NS0_5tupleIJPjSI_NS0_16reverse_iteratorISI_EEEEENSH_IJSG_SG_SG_EEES9_SI_JZNS1_25segmented_radix_sort_implINS0_14default_configELb1EPKfPfPKlPlN2at6native12_GLOBAL__N_18offset_tEEE10hipError_tPvRmT1_PNSt15iterator_traitsIS12_E10value_typeET2_T3_PNS13_IS18_E10value_typeET4_jRbjT5_S1E_jjP12ihipStream_tbEUljE_ZNSN_ISO_Lb1ESQ_SR_ST_SU_SY_EESZ_S10_S11_S12_S16_S17_S18_S1B_S1C_jS1D_jS1E_S1E_jjS1G_bEUljE0_EEESZ_S10_S11_S18_S1C_S1E_T6_T7_T9_mT8_S1G_bDpT10_ENKUlT_T0_E_clISt17integral_constantIbLb0EES1U_EEDaS1P_S1Q_EUlS1P_E_NS1_11comp_targetILNS1_3genE5ELNS1_11target_archE942ELNS1_3gpuE9ELNS1_3repE0EEENS1_30default_config_static_selectorELNS0_4arch9wavefront6targetE0EEEvS12_.private_seg_size, 0
	.set _ZN7rocprim17ROCPRIM_400000_NS6detail17trampoline_kernelINS0_13select_configILj256ELj13ELNS0_17block_load_methodE3ELS4_3ELS4_3ELNS0_20block_scan_algorithmE0ELj4294967295EEENS1_25partition_config_selectorILNS1_17partition_subalgoE4EjNS0_10empty_typeEbEEZZNS1_14partition_implILS8_4ELb0ES6_15HIP_vector_typeIjLj2EENS0_17counting_iteratorIjlEEPS9_SG_NS0_5tupleIJPjSI_NS0_16reverse_iteratorISI_EEEEENSH_IJSG_SG_SG_EEES9_SI_JZNS1_25segmented_radix_sort_implINS0_14default_configELb1EPKfPfPKlPlN2at6native12_GLOBAL__N_18offset_tEEE10hipError_tPvRmT1_PNSt15iterator_traitsIS12_E10value_typeET2_T3_PNS13_IS18_E10value_typeET4_jRbjT5_S1E_jjP12ihipStream_tbEUljE_ZNSN_ISO_Lb1ESQ_SR_ST_SU_SY_EESZ_S10_S11_S12_S16_S17_S18_S1B_S1C_jS1D_jS1E_S1E_jjS1G_bEUljE0_EEESZ_S10_S11_S18_S1C_S1E_T6_T7_T9_mT8_S1G_bDpT10_ENKUlT_T0_E_clISt17integral_constantIbLb0EES1U_EEDaS1P_S1Q_EUlS1P_E_NS1_11comp_targetILNS1_3genE5ELNS1_11target_archE942ELNS1_3gpuE9ELNS1_3repE0EEENS1_30default_config_static_selectorELNS0_4arch9wavefront6targetE0EEEvS12_.uses_vcc, 0
	.set _ZN7rocprim17ROCPRIM_400000_NS6detail17trampoline_kernelINS0_13select_configILj256ELj13ELNS0_17block_load_methodE3ELS4_3ELS4_3ELNS0_20block_scan_algorithmE0ELj4294967295EEENS1_25partition_config_selectorILNS1_17partition_subalgoE4EjNS0_10empty_typeEbEEZZNS1_14partition_implILS8_4ELb0ES6_15HIP_vector_typeIjLj2EENS0_17counting_iteratorIjlEEPS9_SG_NS0_5tupleIJPjSI_NS0_16reverse_iteratorISI_EEEEENSH_IJSG_SG_SG_EEES9_SI_JZNS1_25segmented_radix_sort_implINS0_14default_configELb1EPKfPfPKlPlN2at6native12_GLOBAL__N_18offset_tEEE10hipError_tPvRmT1_PNSt15iterator_traitsIS12_E10value_typeET2_T3_PNS13_IS18_E10value_typeET4_jRbjT5_S1E_jjP12ihipStream_tbEUljE_ZNSN_ISO_Lb1ESQ_SR_ST_SU_SY_EESZ_S10_S11_S12_S16_S17_S18_S1B_S1C_jS1D_jS1E_S1E_jjS1G_bEUljE0_EEESZ_S10_S11_S18_S1C_S1E_T6_T7_T9_mT8_S1G_bDpT10_ENKUlT_T0_E_clISt17integral_constantIbLb0EES1U_EEDaS1P_S1Q_EUlS1P_E_NS1_11comp_targetILNS1_3genE5ELNS1_11target_archE942ELNS1_3gpuE9ELNS1_3repE0EEENS1_30default_config_static_selectorELNS0_4arch9wavefront6targetE0EEEvS12_.uses_flat_scratch, 0
	.set _ZN7rocprim17ROCPRIM_400000_NS6detail17trampoline_kernelINS0_13select_configILj256ELj13ELNS0_17block_load_methodE3ELS4_3ELS4_3ELNS0_20block_scan_algorithmE0ELj4294967295EEENS1_25partition_config_selectorILNS1_17partition_subalgoE4EjNS0_10empty_typeEbEEZZNS1_14partition_implILS8_4ELb0ES6_15HIP_vector_typeIjLj2EENS0_17counting_iteratorIjlEEPS9_SG_NS0_5tupleIJPjSI_NS0_16reverse_iteratorISI_EEEEENSH_IJSG_SG_SG_EEES9_SI_JZNS1_25segmented_radix_sort_implINS0_14default_configELb1EPKfPfPKlPlN2at6native12_GLOBAL__N_18offset_tEEE10hipError_tPvRmT1_PNSt15iterator_traitsIS12_E10value_typeET2_T3_PNS13_IS18_E10value_typeET4_jRbjT5_S1E_jjP12ihipStream_tbEUljE_ZNSN_ISO_Lb1ESQ_SR_ST_SU_SY_EESZ_S10_S11_S12_S16_S17_S18_S1B_S1C_jS1D_jS1E_S1E_jjS1G_bEUljE0_EEESZ_S10_S11_S18_S1C_S1E_T6_T7_T9_mT8_S1G_bDpT10_ENKUlT_T0_E_clISt17integral_constantIbLb0EES1U_EEDaS1P_S1Q_EUlS1P_E_NS1_11comp_targetILNS1_3genE5ELNS1_11target_archE942ELNS1_3gpuE9ELNS1_3repE0EEENS1_30default_config_static_selectorELNS0_4arch9wavefront6targetE0EEEvS12_.has_dyn_sized_stack, 0
	.set _ZN7rocprim17ROCPRIM_400000_NS6detail17trampoline_kernelINS0_13select_configILj256ELj13ELNS0_17block_load_methodE3ELS4_3ELS4_3ELNS0_20block_scan_algorithmE0ELj4294967295EEENS1_25partition_config_selectorILNS1_17partition_subalgoE4EjNS0_10empty_typeEbEEZZNS1_14partition_implILS8_4ELb0ES6_15HIP_vector_typeIjLj2EENS0_17counting_iteratorIjlEEPS9_SG_NS0_5tupleIJPjSI_NS0_16reverse_iteratorISI_EEEEENSH_IJSG_SG_SG_EEES9_SI_JZNS1_25segmented_radix_sort_implINS0_14default_configELb1EPKfPfPKlPlN2at6native12_GLOBAL__N_18offset_tEEE10hipError_tPvRmT1_PNSt15iterator_traitsIS12_E10value_typeET2_T3_PNS13_IS18_E10value_typeET4_jRbjT5_S1E_jjP12ihipStream_tbEUljE_ZNSN_ISO_Lb1ESQ_SR_ST_SU_SY_EESZ_S10_S11_S12_S16_S17_S18_S1B_S1C_jS1D_jS1E_S1E_jjS1G_bEUljE0_EEESZ_S10_S11_S18_S1C_S1E_T6_T7_T9_mT8_S1G_bDpT10_ENKUlT_T0_E_clISt17integral_constantIbLb0EES1U_EEDaS1P_S1Q_EUlS1P_E_NS1_11comp_targetILNS1_3genE5ELNS1_11target_archE942ELNS1_3gpuE9ELNS1_3repE0EEENS1_30default_config_static_selectorELNS0_4arch9wavefront6targetE0EEEvS12_.has_recursion, 0
	.set _ZN7rocprim17ROCPRIM_400000_NS6detail17trampoline_kernelINS0_13select_configILj256ELj13ELNS0_17block_load_methodE3ELS4_3ELS4_3ELNS0_20block_scan_algorithmE0ELj4294967295EEENS1_25partition_config_selectorILNS1_17partition_subalgoE4EjNS0_10empty_typeEbEEZZNS1_14partition_implILS8_4ELb0ES6_15HIP_vector_typeIjLj2EENS0_17counting_iteratorIjlEEPS9_SG_NS0_5tupleIJPjSI_NS0_16reverse_iteratorISI_EEEEENSH_IJSG_SG_SG_EEES9_SI_JZNS1_25segmented_radix_sort_implINS0_14default_configELb1EPKfPfPKlPlN2at6native12_GLOBAL__N_18offset_tEEE10hipError_tPvRmT1_PNSt15iterator_traitsIS12_E10value_typeET2_T3_PNS13_IS18_E10value_typeET4_jRbjT5_S1E_jjP12ihipStream_tbEUljE_ZNSN_ISO_Lb1ESQ_SR_ST_SU_SY_EESZ_S10_S11_S12_S16_S17_S18_S1B_S1C_jS1D_jS1E_S1E_jjS1G_bEUljE0_EEESZ_S10_S11_S18_S1C_S1E_T6_T7_T9_mT8_S1G_bDpT10_ENKUlT_T0_E_clISt17integral_constantIbLb0EES1U_EEDaS1P_S1Q_EUlS1P_E_NS1_11comp_targetILNS1_3genE5ELNS1_11target_archE942ELNS1_3gpuE9ELNS1_3repE0EEENS1_30default_config_static_selectorELNS0_4arch9wavefront6targetE0EEEvS12_.has_indirect_call, 0
	.section	.AMDGPU.csdata,"",@progbits
; Kernel info:
; codeLenInByte = 0
; TotalNumSgprs: 0
; NumVgprs: 0
; ScratchSize: 0
; MemoryBound: 0
; FloatMode: 240
; IeeeMode: 1
; LDSByteSize: 0 bytes/workgroup (compile time only)
; SGPRBlocks: 0
; VGPRBlocks: 0
; NumSGPRsForWavesPerEU: 1
; NumVGPRsForWavesPerEU: 1
; NamedBarCnt: 0
; Occupancy: 16
; WaveLimiterHint : 0
; COMPUTE_PGM_RSRC2:SCRATCH_EN: 0
; COMPUTE_PGM_RSRC2:USER_SGPR: 2
; COMPUTE_PGM_RSRC2:TRAP_HANDLER: 0
; COMPUTE_PGM_RSRC2:TGID_X_EN: 1
; COMPUTE_PGM_RSRC2:TGID_Y_EN: 0
; COMPUTE_PGM_RSRC2:TGID_Z_EN: 0
; COMPUTE_PGM_RSRC2:TIDIG_COMP_CNT: 0
	.section	.text._ZN7rocprim17ROCPRIM_400000_NS6detail17trampoline_kernelINS0_13select_configILj256ELj13ELNS0_17block_load_methodE3ELS4_3ELS4_3ELNS0_20block_scan_algorithmE0ELj4294967295EEENS1_25partition_config_selectorILNS1_17partition_subalgoE4EjNS0_10empty_typeEbEEZZNS1_14partition_implILS8_4ELb0ES6_15HIP_vector_typeIjLj2EENS0_17counting_iteratorIjlEEPS9_SG_NS0_5tupleIJPjSI_NS0_16reverse_iteratorISI_EEEEENSH_IJSG_SG_SG_EEES9_SI_JZNS1_25segmented_radix_sort_implINS0_14default_configELb1EPKfPfPKlPlN2at6native12_GLOBAL__N_18offset_tEEE10hipError_tPvRmT1_PNSt15iterator_traitsIS12_E10value_typeET2_T3_PNS13_IS18_E10value_typeET4_jRbjT5_S1E_jjP12ihipStream_tbEUljE_ZNSN_ISO_Lb1ESQ_SR_ST_SU_SY_EESZ_S10_S11_S12_S16_S17_S18_S1B_S1C_jS1D_jS1E_S1E_jjS1G_bEUljE0_EEESZ_S10_S11_S18_S1C_S1E_T6_T7_T9_mT8_S1G_bDpT10_ENKUlT_T0_E_clISt17integral_constantIbLb0EES1U_EEDaS1P_S1Q_EUlS1P_E_NS1_11comp_targetILNS1_3genE4ELNS1_11target_archE910ELNS1_3gpuE8ELNS1_3repE0EEENS1_30default_config_static_selectorELNS0_4arch9wavefront6targetE0EEEvS12_,"axG",@progbits,_ZN7rocprim17ROCPRIM_400000_NS6detail17trampoline_kernelINS0_13select_configILj256ELj13ELNS0_17block_load_methodE3ELS4_3ELS4_3ELNS0_20block_scan_algorithmE0ELj4294967295EEENS1_25partition_config_selectorILNS1_17partition_subalgoE4EjNS0_10empty_typeEbEEZZNS1_14partition_implILS8_4ELb0ES6_15HIP_vector_typeIjLj2EENS0_17counting_iteratorIjlEEPS9_SG_NS0_5tupleIJPjSI_NS0_16reverse_iteratorISI_EEEEENSH_IJSG_SG_SG_EEES9_SI_JZNS1_25segmented_radix_sort_implINS0_14default_configELb1EPKfPfPKlPlN2at6native12_GLOBAL__N_18offset_tEEE10hipError_tPvRmT1_PNSt15iterator_traitsIS12_E10value_typeET2_T3_PNS13_IS18_E10value_typeET4_jRbjT5_S1E_jjP12ihipStream_tbEUljE_ZNSN_ISO_Lb1ESQ_SR_ST_SU_SY_EESZ_S10_S11_S12_S16_S17_S18_S1B_S1C_jS1D_jS1E_S1E_jjS1G_bEUljE0_EEESZ_S10_S11_S18_S1C_S1E_T6_T7_T9_mT8_S1G_bDpT10_ENKUlT_T0_E_clISt17integral_constantIbLb0EES1U_EEDaS1P_S1Q_EUlS1P_E_NS1_11comp_targetILNS1_3genE4ELNS1_11target_archE910ELNS1_3gpuE8ELNS1_3repE0EEENS1_30default_config_static_selectorELNS0_4arch9wavefront6targetE0EEEvS12_,comdat
	.globl	_ZN7rocprim17ROCPRIM_400000_NS6detail17trampoline_kernelINS0_13select_configILj256ELj13ELNS0_17block_load_methodE3ELS4_3ELS4_3ELNS0_20block_scan_algorithmE0ELj4294967295EEENS1_25partition_config_selectorILNS1_17partition_subalgoE4EjNS0_10empty_typeEbEEZZNS1_14partition_implILS8_4ELb0ES6_15HIP_vector_typeIjLj2EENS0_17counting_iteratorIjlEEPS9_SG_NS0_5tupleIJPjSI_NS0_16reverse_iteratorISI_EEEEENSH_IJSG_SG_SG_EEES9_SI_JZNS1_25segmented_radix_sort_implINS0_14default_configELb1EPKfPfPKlPlN2at6native12_GLOBAL__N_18offset_tEEE10hipError_tPvRmT1_PNSt15iterator_traitsIS12_E10value_typeET2_T3_PNS13_IS18_E10value_typeET4_jRbjT5_S1E_jjP12ihipStream_tbEUljE_ZNSN_ISO_Lb1ESQ_SR_ST_SU_SY_EESZ_S10_S11_S12_S16_S17_S18_S1B_S1C_jS1D_jS1E_S1E_jjS1G_bEUljE0_EEESZ_S10_S11_S18_S1C_S1E_T6_T7_T9_mT8_S1G_bDpT10_ENKUlT_T0_E_clISt17integral_constantIbLb0EES1U_EEDaS1P_S1Q_EUlS1P_E_NS1_11comp_targetILNS1_3genE4ELNS1_11target_archE910ELNS1_3gpuE8ELNS1_3repE0EEENS1_30default_config_static_selectorELNS0_4arch9wavefront6targetE0EEEvS12_ ; -- Begin function _ZN7rocprim17ROCPRIM_400000_NS6detail17trampoline_kernelINS0_13select_configILj256ELj13ELNS0_17block_load_methodE3ELS4_3ELS4_3ELNS0_20block_scan_algorithmE0ELj4294967295EEENS1_25partition_config_selectorILNS1_17partition_subalgoE4EjNS0_10empty_typeEbEEZZNS1_14partition_implILS8_4ELb0ES6_15HIP_vector_typeIjLj2EENS0_17counting_iteratorIjlEEPS9_SG_NS0_5tupleIJPjSI_NS0_16reverse_iteratorISI_EEEEENSH_IJSG_SG_SG_EEES9_SI_JZNS1_25segmented_radix_sort_implINS0_14default_configELb1EPKfPfPKlPlN2at6native12_GLOBAL__N_18offset_tEEE10hipError_tPvRmT1_PNSt15iterator_traitsIS12_E10value_typeET2_T3_PNS13_IS18_E10value_typeET4_jRbjT5_S1E_jjP12ihipStream_tbEUljE_ZNSN_ISO_Lb1ESQ_SR_ST_SU_SY_EESZ_S10_S11_S12_S16_S17_S18_S1B_S1C_jS1D_jS1E_S1E_jjS1G_bEUljE0_EEESZ_S10_S11_S18_S1C_S1E_T6_T7_T9_mT8_S1G_bDpT10_ENKUlT_T0_E_clISt17integral_constantIbLb0EES1U_EEDaS1P_S1Q_EUlS1P_E_NS1_11comp_targetILNS1_3genE4ELNS1_11target_archE910ELNS1_3gpuE8ELNS1_3repE0EEENS1_30default_config_static_selectorELNS0_4arch9wavefront6targetE0EEEvS12_
	.p2align	8
	.type	_ZN7rocprim17ROCPRIM_400000_NS6detail17trampoline_kernelINS0_13select_configILj256ELj13ELNS0_17block_load_methodE3ELS4_3ELS4_3ELNS0_20block_scan_algorithmE0ELj4294967295EEENS1_25partition_config_selectorILNS1_17partition_subalgoE4EjNS0_10empty_typeEbEEZZNS1_14partition_implILS8_4ELb0ES6_15HIP_vector_typeIjLj2EENS0_17counting_iteratorIjlEEPS9_SG_NS0_5tupleIJPjSI_NS0_16reverse_iteratorISI_EEEEENSH_IJSG_SG_SG_EEES9_SI_JZNS1_25segmented_radix_sort_implINS0_14default_configELb1EPKfPfPKlPlN2at6native12_GLOBAL__N_18offset_tEEE10hipError_tPvRmT1_PNSt15iterator_traitsIS12_E10value_typeET2_T3_PNS13_IS18_E10value_typeET4_jRbjT5_S1E_jjP12ihipStream_tbEUljE_ZNSN_ISO_Lb1ESQ_SR_ST_SU_SY_EESZ_S10_S11_S12_S16_S17_S18_S1B_S1C_jS1D_jS1E_S1E_jjS1G_bEUljE0_EEESZ_S10_S11_S18_S1C_S1E_T6_T7_T9_mT8_S1G_bDpT10_ENKUlT_T0_E_clISt17integral_constantIbLb0EES1U_EEDaS1P_S1Q_EUlS1P_E_NS1_11comp_targetILNS1_3genE4ELNS1_11target_archE910ELNS1_3gpuE8ELNS1_3repE0EEENS1_30default_config_static_selectorELNS0_4arch9wavefront6targetE0EEEvS12_,@function
_ZN7rocprim17ROCPRIM_400000_NS6detail17trampoline_kernelINS0_13select_configILj256ELj13ELNS0_17block_load_methodE3ELS4_3ELS4_3ELNS0_20block_scan_algorithmE0ELj4294967295EEENS1_25partition_config_selectorILNS1_17partition_subalgoE4EjNS0_10empty_typeEbEEZZNS1_14partition_implILS8_4ELb0ES6_15HIP_vector_typeIjLj2EENS0_17counting_iteratorIjlEEPS9_SG_NS0_5tupleIJPjSI_NS0_16reverse_iteratorISI_EEEEENSH_IJSG_SG_SG_EEES9_SI_JZNS1_25segmented_radix_sort_implINS0_14default_configELb1EPKfPfPKlPlN2at6native12_GLOBAL__N_18offset_tEEE10hipError_tPvRmT1_PNSt15iterator_traitsIS12_E10value_typeET2_T3_PNS13_IS18_E10value_typeET4_jRbjT5_S1E_jjP12ihipStream_tbEUljE_ZNSN_ISO_Lb1ESQ_SR_ST_SU_SY_EESZ_S10_S11_S12_S16_S17_S18_S1B_S1C_jS1D_jS1E_S1E_jjS1G_bEUljE0_EEESZ_S10_S11_S18_S1C_S1E_T6_T7_T9_mT8_S1G_bDpT10_ENKUlT_T0_E_clISt17integral_constantIbLb0EES1U_EEDaS1P_S1Q_EUlS1P_E_NS1_11comp_targetILNS1_3genE4ELNS1_11target_archE910ELNS1_3gpuE8ELNS1_3repE0EEENS1_30default_config_static_selectorELNS0_4arch9wavefront6targetE0EEEvS12_: ; @_ZN7rocprim17ROCPRIM_400000_NS6detail17trampoline_kernelINS0_13select_configILj256ELj13ELNS0_17block_load_methodE3ELS4_3ELS4_3ELNS0_20block_scan_algorithmE0ELj4294967295EEENS1_25partition_config_selectorILNS1_17partition_subalgoE4EjNS0_10empty_typeEbEEZZNS1_14partition_implILS8_4ELb0ES6_15HIP_vector_typeIjLj2EENS0_17counting_iteratorIjlEEPS9_SG_NS0_5tupleIJPjSI_NS0_16reverse_iteratorISI_EEEEENSH_IJSG_SG_SG_EEES9_SI_JZNS1_25segmented_radix_sort_implINS0_14default_configELb1EPKfPfPKlPlN2at6native12_GLOBAL__N_18offset_tEEE10hipError_tPvRmT1_PNSt15iterator_traitsIS12_E10value_typeET2_T3_PNS13_IS18_E10value_typeET4_jRbjT5_S1E_jjP12ihipStream_tbEUljE_ZNSN_ISO_Lb1ESQ_SR_ST_SU_SY_EESZ_S10_S11_S12_S16_S17_S18_S1B_S1C_jS1D_jS1E_S1E_jjS1G_bEUljE0_EEESZ_S10_S11_S18_S1C_S1E_T6_T7_T9_mT8_S1G_bDpT10_ENKUlT_T0_E_clISt17integral_constantIbLb0EES1U_EEDaS1P_S1Q_EUlS1P_E_NS1_11comp_targetILNS1_3genE4ELNS1_11target_archE910ELNS1_3gpuE8ELNS1_3repE0EEENS1_30default_config_static_selectorELNS0_4arch9wavefront6targetE0EEEvS12_
; %bb.0:
	.section	.rodata,"a",@progbits
	.p2align	6, 0x0
	.amdhsa_kernel _ZN7rocprim17ROCPRIM_400000_NS6detail17trampoline_kernelINS0_13select_configILj256ELj13ELNS0_17block_load_methodE3ELS4_3ELS4_3ELNS0_20block_scan_algorithmE0ELj4294967295EEENS1_25partition_config_selectorILNS1_17partition_subalgoE4EjNS0_10empty_typeEbEEZZNS1_14partition_implILS8_4ELb0ES6_15HIP_vector_typeIjLj2EENS0_17counting_iteratorIjlEEPS9_SG_NS0_5tupleIJPjSI_NS0_16reverse_iteratorISI_EEEEENSH_IJSG_SG_SG_EEES9_SI_JZNS1_25segmented_radix_sort_implINS0_14default_configELb1EPKfPfPKlPlN2at6native12_GLOBAL__N_18offset_tEEE10hipError_tPvRmT1_PNSt15iterator_traitsIS12_E10value_typeET2_T3_PNS13_IS18_E10value_typeET4_jRbjT5_S1E_jjP12ihipStream_tbEUljE_ZNSN_ISO_Lb1ESQ_SR_ST_SU_SY_EESZ_S10_S11_S12_S16_S17_S18_S1B_S1C_jS1D_jS1E_S1E_jjS1G_bEUljE0_EEESZ_S10_S11_S18_S1C_S1E_T6_T7_T9_mT8_S1G_bDpT10_ENKUlT_T0_E_clISt17integral_constantIbLb0EES1U_EEDaS1P_S1Q_EUlS1P_E_NS1_11comp_targetILNS1_3genE4ELNS1_11target_archE910ELNS1_3gpuE8ELNS1_3repE0EEENS1_30default_config_static_selectorELNS0_4arch9wavefront6targetE0EEEvS12_
		.amdhsa_group_segment_fixed_size 0
		.amdhsa_private_segment_fixed_size 0
		.amdhsa_kernarg_size 176
		.amdhsa_user_sgpr_count 2
		.amdhsa_user_sgpr_dispatch_ptr 0
		.amdhsa_user_sgpr_queue_ptr 0
		.amdhsa_user_sgpr_kernarg_segment_ptr 1
		.amdhsa_user_sgpr_dispatch_id 0
		.amdhsa_user_sgpr_kernarg_preload_length 0
		.amdhsa_user_sgpr_kernarg_preload_offset 0
		.amdhsa_user_sgpr_private_segment_size 0
		.amdhsa_wavefront_size32 1
		.amdhsa_uses_dynamic_stack 0
		.amdhsa_enable_private_segment 0
		.amdhsa_system_sgpr_workgroup_id_x 1
		.amdhsa_system_sgpr_workgroup_id_y 0
		.amdhsa_system_sgpr_workgroup_id_z 0
		.amdhsa_system_sgpr_workgroup_info 0
		.amdhsa_system_vgpr_workitem_id 0
		.amdhsa_next_free_vgpr 1
		.amdhsa_next_free_sgpr 1
		.amdhsa_named_barrier_count 0
		.amdhsa_reserve_vcc 0
		.amdhsa_float_round_mode_32 0
		.amdhsa_float_round_mode_16_64 0
		.amdhsa_float_denorm_mode_32 3
		.amdhsa_float_denorm_mode_16_64 3
		.amdhsa_fp16_overflow 0
		.amdhsa_memory_ordered 1
		.amdhsa_forward_progress 1
		.amdhsa_inst_pref_size 0
		.amdhsa_round_robin_scheduling 0
		.amdhsa_exception_fp_ieee_invalid_op 0
		.amdhsa_exception_fp_denorm_src 0
		.amdhsa_exception_fp_ieee_div_zero 0
		.amdhsa_exception_fp_ieee_overflow 0
		.amdhsa_exception_fp_ieee_underflow 0
		.amdhsa_exception_fp_ieee_inexact 0
		.amdhsa_exception_int_div_zero 0
	.end_amdhsa_kernel
	.section	.text._ZN7rocprim17ROCPRIM_400000_NS6detail17trampoline_kernelINS0_13select_configILj256ELj13ELNS0_17block_load_methodE3ELS4_3ELS4_3ELNS0_20block_scan_algorithmE0ELj4294967295EEENS1_25partition_config_selectorILNS1_17partition_subalgoE4EjNS0_10empty_typeEbEEZZNS1_14partition_implILS8_4ELb0ES6_15HIP_vector_typeIjLj2EENS0_17counting_iteratorIjlEEPS9_SG_NS0_5tupleIJPjSI_NS0_16reverse_iteratorISI_EEEEENSH_IJSG_SG_SG_EEES9_SI_JZNS1_25segmented_radix_sort_implINS0_14default_configELb1EPKfPfPKlPlN2at6native12_GLOBAL__N_18offset_tEEE10hipError_tPvRmT1_PNSt15iterator_traitsIS12_E10value_typeET2_T3_PNS13_IS18_E10value_typeET4_jRbjT5_S1E_jjP12ihipStream_tbEUljE_ZNSN_ISO_Lb1ESQ_SR_ST_SU_SY_EESZ_S10_S11_S12_S16_S17_S18_S1B_S1C_jS1D_jS1E_S1E_jjS1G_bEUljE0_EEESZ_S10_S11_S18_S1C_S1E_T6_T7_T9_mT8_S1G_bDpT10_ENKUlT_T0_E_clISt17integral_constantIbLb0EES1U_EEDaS1P_S1Q_EUlS1P_E_NS1_11comp_targetILNS1_3genE4ELNS1_11target_archE910ELNS1_3gpuE8ELNS1_3repE0EEENS1_30default_config_static_selectorELNS0_4arch9wavefront6targetE0EEEvS12_,"axG",@progbits,_ZN7rocprim17ROCPRIM_400000_NS6detail17trampoline_kernelINS0_13select_configILj256ELj13ELNS0_17block_load_methodE3ELS4_3ELS4_3ELNS0_20block_scan_algorithmE0ELj4294967295EEENS1_25partition_config_selectorILNS1_17partition_subalgoE4EjNS0_10empty_typeEbEEZZNS1_14partition_implILS8_4ELb0ES6_15HIP_vector_typeIjLj2EENS0_17counting_iteratorIjlEEPS9_SG_NS0_5tupleIJPjSI_NS0_16reverse_iteratorISI_EEEEENSH_IJSG_SG_SG_EEES9_SI_JZNS1_25segmented_radix_sort_implINS0_14default_configELb1EPKfPfPKlPlN2at6native12_GLOBAL__N_18offset_tEEE10hipError_tPvRmT1_PNSt15iterator_traitsIS12_E10value_typeET2_T3_PNS13_IS18_E10value_typeET4_jRbjT5_S1E_jjP12ihipStream_tbEUljE_ZNSN_ISO_Lb1ESQ_SR_ST_SU_SY_EESZ_S10_S11_S12_S16_S17_S18_S1B_S1C_jS1D_jS1E_S1E_jjS1G_bEUljE0_EEESZ_S10_S11_S18_S1C_S1E_T6_T7_T9_mT8_S1G_bDpT10_ENKUlT_T0_E_clISt17integral_constantIbLb0EES1U_EEDaS1P_S1Q_EUlS1P_E_NS1_11comp_targetILNS1_3genE4ELNS1_11target_archE910ELNS1_3gpuE8ELNS1_3repE0EEENS1_30default_config_static_selectorELNS0_4arch9wavefront6targetE0EEEvS12_,comdat
.Lfunc_end1257:
	.size	_ZN7rocprim17ROCPRIM_400000_NS6detail17trampoline_kernelINS0_13select_configILj256ELj13ELNS0_17block_load_methodE3ELS4_3ELS4_3ELNS0_20block_scan_algorithmE0ELj4294967295EEENS1_25partition_config_selectorILNS1_17partition_subalgoE4EjNS0_10empty_typeEbEEZZNS1_14partition_implILS8_4ELb0ES6_15HIP_vector_typeIjLj2EENS0_17counting_iteratorIjlEEPS9_SG_NS0_5tupleIJPjSI_NS0_16reverse_iteratorISI_EEEEENSH_IJSG_SG_SG_EEES9_SI_JZNS1_25segmented_radix_sort_implINS0_14default_configELb1EPKfPfPKlPlN2at6native12_GLOBAL__N_18offset_tEEE10hipError_tPvRmT1_PNSt15iterator_traitsIS12_E10value_typeET2_T3_PNS13_IS18_E10value_typeET4_jRbjT5_S1E_jjP12ihipStream_tbEUljE_ZNSN_ISO_Lb1ESQ_SR_ST_SU_SY_EESZ_S10_S11_S12_S16_S17_S18_S1B_S1C_jS1D_jS1E_S1E_jjS1G_bEUljE0_EEESZ_S10_S11_S18_S1C_S1E_T6_T7_T9_mT8_S1G_bDpT10_ENKUlT_T0_E_clISt17integral_constantIbLb0EES1U_EEDaS1P_S1Q_EUlS1P_E_NS1_11comp_targetILNS1_3genE4ELNS1_11target_archE910ELNS1_3gpuE8ELNS1_3repE0EEENS1_30default_config_static_selectorELNS0_4arch9wavefront6targetE0EEEvS12_, .Lfunc_end1257-_ZN7rocprim17ROCPRIM_400000_NS6detail17trampoline_kernelINS0_13select_configILj256ELj13ELNS0_17block_load_methodE3ELS4_3ELS4_3ELNS0_20block_scan_algorithmE0ELj4294967295EEENS1_25partition_config_selectorILNS1_17partition_subalgoE4EjNS0_10empty_typeEbEEZZNS1_14partition_implILS8_4ELb0ES6_15HIP_vector_typeIjLj2EENS0_17counting_iteratorIjlEEPS9_SG_NS0_5tupleIJPjSI_NS0_16reverse_iteratorISI_EEEEENSH_IJSG_SG_SG_EEES9_SI_JZNS1_25segmented_radix_sort_implINS0_14default_configELb1EPKfPfPKlPlN2at6native12_GLOBAL__N_18offset_tEEE10hipError_tPvRmT1_PNSt15iterator_traitsIS12_E10value_typeET2_T3_PNS13_IS18_E10value_typeET4_jRbjT5_S1E_jjP12ihipStream_tbEUljE_ZNSN_ISO_Lb1ESQ_SR_ST_SU_SY_EESZ_S10_S11_S12_S16_S17_S18_S1B_S1C_jS1D_jS1E_S1E_jjS1G_bEUljE0_EEESZ_S10_S11_S18_S1C_S1E_T6_T7_T9_mT8_S1G_bDpT10_ENKUlT_T0_E_clISt17integral_constantIbLb0EES1U_EEDaS1P_S1Q_EUlS1P_E_NS1_11comp_targetILNS1_3genE4ELNS1_11target_archE910ELNS1_3gpuE8ELNS1_3repE0EEENS1_30default_config_static_selectorELNS0_4arch9wavefront6targetE0EEEvS12_
                                        ; -- End function
	.set _ZN7rocprim17ROCPRIM_400000_NS6detail17trampoline_kernelINS0_13select_configILj256ELj13ELNS0_17block_load_methodE3ELS4_3ELS4_3ELNS0_20block_scan_algorithmE0ELj4294967295EEENS1_25partition_config_selectorILNS1_17partition_subalgoE4EjNS0_10empty_typeEbEEZZNS1_14partition_implILS8_4ELb0ES6_15HIP_vector_typeIjLj2EENS0_17counting_iteratorIjlEEPS9_SG_NS0_5tupleIJPjSI_NS0_16reverse_iteratorISI_EEEEENSH_IJSG_SG_SG_EEES9_SI_JZNS1_25segmented_radix_sort_implINS0_14default_configELb1EPKfPfPKlPlN2at6native12_GLOBAL__N_18offset_tEEE10hipError_tPvRmT1_PNSt15iterator_traitsIS12_E10value_typeET2_T3_PNS13_IS18_E10value_typeET4_jRbjT5_S1E_jjP12ihipStream_tbEUljE_ZNSN_ISO_Lb1ESQ_SR_ST_SU_SY_EESZ_S10_S11_S12_S16_S17_S18_S1B_S1C_jS1D_jS1E_S1E_jjS1G_bEUljE0_EEESZ_S10_S11_S18_S1C_S1E_T6_T7_T9_mT8_S1G_bDpT10_ENKUlT_T0_E_clISt17integral_constantIbLb0EES1U_EEDaS1P_S1Q_EUlS1P_E_NS1_11comp_targetILNS1_3genE4ELNS1_11target_archE910ELNS1_3gpuE8ELNS1_3repE0EEENS1_30default_config_static_selectorELNS0_4arch9wavefront6targetE0EEEvS12_.num_vgpr, 0
	.set _ZN7rocprim17ROCPRIM_400000_NS6detail17trampoline_kernelINS0_13select_configILj256ELj13ELNS0_17block_load_methodE3ELS4_3ELS4_3ELNS0_20block_scan_algorithmE0ELj4294967295EEENS1_25partition_config_selectorILNS1_17partition_subalgoE4EjNS0_10empty_typeEbEEZZNS1_14partition_implILS8_4ELb0ES6_15HIP_vector_typeIjLj2EENS0_17counting_iteratorIjlEEPS9_SG_NS0_5tupleIJPjSI_NS0_16reverse_iteratorISI_EEEEENSH_IJSG_SG_SG_EEES9_SI_JZNS1_25segmented_radix_sort_implINS0_14default_configELb1EPKfPfPKlPlN2at6native12_GLOBAL__N_18offset_tEEE10hipError_tPvRmT1_PNSt15iterator_traitsIS12_E10value_typeET2_T3_PNS13_IS18_E10value_typeET4_jRbjT5_S1E_jjP12ihipStream_tbEUljE_ZNSN_ISO_Lb1ESQ_SR_ST_SU_SY_EESZ_S10_S11_S12_S16_S17_S18_S1B_S1C_jS1D_jS1E_S1E_jjS1G_bEUljE0_EEESZ_S10_S11_S18_S1C_S1E_T6_T7_T9_mT8_S1G_bDpT10_ENKUlT_T0_E_clISt17integral_constantIbLb0EES1U_EEDaS1P_S1Q_EUlS1P_E_NS1_11comp_targetILNS1_3genE4ELNS1_11target_archE910ELNS1_3gpuE8ELNS1_3repE0EEENS1_30default_config_static_selectorELNS0_4arch9wavefront6targetE0EEEvS12_.num_agpr, 0
	.set _ZN7rocprim17ROCPRIM_400000_NS6detail17trampoline_kernelINS0_13select_configILj256ELj13ELNS0_17block_load_methodE3ELS4_3ELS4_3ELNS0_20block_scan_algorithmE0ELj4294967295EEENS1_25partition_config_selectorILNS1_17partition_subalgoE4EjNS0_10empty_typeEbEEZZNS1_14partition_implILS8_4ELb0ES6_15HIP_vector_typeIjLj2EENS0_17counting_iteratorIjlEEPS9_SG_NS0_5tupleIJPjSI_NS0_16reverse_iteratorISI_EEEEENSH_IJSG_SG_SG_EEES9_SI_JZNS1_25segmented_radix_sort_implINS0_14default_configELb1EPKfPfPKlPlN2at6native12_GLOBAL__N_18offset_tEEE10hipError_tPvRmT1_PNSt15iterator_traitsIS12_E10value_typeET2_T3_PNS13_IS18_E10value_typeET4_jRbjT5_S1E_jjP12ihipStream_tbEUljE_ZNSN_ISO_Lb1ESQ_SR_ST_SU_SY_EESZ_S10_S11_S12_S16_S17_S18_S1B_S1C_jS1D_jS1E_S1E_jjS1G_bEUljE0_EEESZ_S10_S11_S18_S1C_S1E_T6_T7_T9_mT8_S1G_bDpT10_ENKUlT_T0_E_clISt17integral_constantIbLb0EES1U_EEDaS1P_S1Q_EUlS1P_E_NS1_11comp_targetILNS1_3genE4ELNS1_11target_archE910ELNS1_3gpuE8ELNS1_3repE0EEENS1_30default_config_static_selectorELNS0_4arch9wavefront6targetE0EEEvS12_.numbered_sgpr, 0
	.set _ZN7rocprim17ROCPRIM_400000_NS6detail17trampoline_kernelINS0_13select_configILj256ELj13ELNS0_17block_load_methodE3ELS4_3ELS4_3ELNS0_20block_scan_algorithmE0ELj4294967295EEENS1_25partition_config_selectorILNS1_17partition_subalgoE4EjNS0_10empty_typeEbEEZZNS1_14partition_implILS8_4ELb0ES6_15HIP_vector_typeIjLj2EENS0_17counting_iteratorIjlEEPS9_SG_NS0_5tupleIJPjSI_NS0_16reverse_iteratorISI_EEEEENSH_IJSG_SG_SG_EEES9_SI_JZNS1_25segmented_radix_sort_implINS0_14default_configELb1EPKfPfPKlPlN2at6native12_GLOBAL__N_18offset_tEEE10hipError_tPvRmT1_PNSt15iterator_traitsIS12_E10value_typeET2_T3_PNS13_IS18_E10value_typeET4_jRbjT5_S1E_jjP12ihipStream_tbEUljE_ZNSN_ISO_Lb1ESQ_SR_ST_SU_SY_EESZ_S10_S11_S12_S16_S17_S18_S1B_S1C_jS1D_jS1E_S1E_jjS1G_bEUljE0_EEESZ_S10_S11_S18_S1C_S1E_T6_T7_T9_mT8_S1G_bDpT10_ENKUlT_T0_E_clISt17integral_constantIbLb0EES1U_EEDaS1P_S1Q_EUlS1P_E_NS1_11comp_targetILNS1_3genE4ELNS1_11target_archE910ELNS1_3gpuE8ELNS1_3repE0EEENS1_30default_config_static_selectorELNS0_4arch9wavefront6targetE0EEEvS12_.num_named_barrier, 0
	.set _ZN7rocprim17ROCPRIM_400000_NS6detail17trampoline_kernelINS0_13select_configILj256ELj13ELNS0_17block_load_methodE3ELS4_3ELS4_3ELNS0_20block_scan_algorithmE0ELj4294967295EEENS1_25partition_config_selectorILNS1_17partition_subalgoE4EjNS0_10empty_typeEbEEZZNS1_14partition_implILS8_4ELb0ES6_15HIP_vector_typeIjLj2EENS0_17counting_iteratorIjlEEPS9_SG_NS0_5tupleIJPjSI_NS0_16reverse_iteratorISI_EEEEENSH_IJSG_SG_SG_EEES9_SI_JZNS1_25segmented_radix_sort_implINS0_14default_configELb1EPKfPfPKlPlN2at6native12_GLOBAL__N_18offset_tEEE10hipError_tPvRmT1_PNSt15iterator_traitsIS12_E10value_typeET2_T3_PNS13_IS18_E10value_typeET4_jRbjT5_S1E_jjP12ihipStream_tbEUljE_ZNSN_ISO_Lb1ESQ_SR_ST_SU_SY_EESZ_S10_S11_S12_S16_S17_S18_S1B_S1C_jS1D_jS1E_S1E_jjS1G_bEUljE0_EEESZ_S10_S11_S18_S1C_S1E_T6_T7_T9_mT8_S1G_bDpT10_ENKUlT_T0_E_clISt17integral_constantIbLb0EES1U_EEDaS1P_S1Q_EUlS1P_E_NS1_11comp_targetILNS1_3genE4ELNS1_11target_archE910ELNS1_3gpuE8ELNS1_3repE0EEENS1_30default_config_static_selectorELNS0_4arch9wavefront6targetE0EEEvS12_.private_seg_size, 0
	.set _ZN7rocprim17ROCPRIM_400000_NS6detail17trampoline_kernelINS0_13select_configILj256ELj13ELNS0_17block_load_methodE3ELS4_3ELS4_3ELNS0_20block_scan_algorithmE0ELj4294967295EEENS1_25partition_config_selectorILNS1_17partition_subalgoE4EjNS0_10empty_typeEbEEZZNS1_14partition_implILS8_4ELb0ES6_15HIP_vector_typeIjLj2EENS0_17counting_iteratorIjlEEPS9_SG_NS0_5tupleIJPjSI_NS0_16reverse_iteratorISI_EEEEENSH_IJSG_SG_SG_EEES9_SI_JZNS1_25segmented_radix_sort_implINS0_14default_configELb1EPKfPfPKlPlN2at6native12_GLOBAL__N_18offset_tEEE10hipError_tPvRmT1_PNSt15iterator_traitsIS12_E10value_typeET2_T3_PNS13_IS18_E10value_typeET4_jRbjT5_S1E_jjP12ihipStream_tbEUljE_ZNSN_ISO_Lb1ESQ_SR_ST_SU_SY_EESZ_S10_S11_S12_S16_S17_S18_S1B_S1C_jS1D_jS1E_S1E_jjS1G_bEUljE0_EEESZ_S10_S11_S18_S1C_S1E_T6_T7_T9_mT8_S1G_bDpT10_ENKUlT_T0_E_clISt17integral_constantIbLb0EES1U_EEDaS1P_S1Q_EUlS1P_E_NS1_11comp_targetILNS1_3genE4ELNS1_11target_archE910ELNS1_3gpuE8ELNS1_3repE0EEENS1_30default_config_static_selectorELNS0_4arch9wavefront6targetE0EEEvS12_.uses_vcc, 0
	.set _ZN7rocprim17ROCPRIM_400000_NS6detail17trampoline_kernelINS0_13select_configILj256ELj13ELNS0_17block_load_methodE3ELS4_3ELS4_3ELNS0_20block_scan_algorithmE0ELj4294967295EEENS1_25partition_config_selectorILNS1_17partition_subalgoE4EjNS0_10empty_typeEbEEZZNS1_14partition_implILS8_4ELb0ES6_15HIP_vector_typeIjLj2EENS0_17counting_iteratorIjlEEPS9_SG_NS0_5tupleIJPjSI_NS0_16reverse_iteratorISI_EEEEENSH_IJSG_SG_SG_EEES9_SI_JZNS1_25segmented_radix_sort_implINS0_14default_configELb1EPKfPfPKlPlN2at6native12_GLOBAL__N_18offset_tEEE10hipError_tPvRmT1_PNSt15iterator_traitsIS12_E10value_typeET2_T3_PNS13_IS18_E10value_typeET4_jRbjT5_S1E_jjP12ihipStream_tbEUljE_ZNSN_ISO_Lb1ESQ_SR_ST_SU_SY_EESZ_S10_S11_S12_S16_S17_S18_S1B_S1C_jS1D_jS1E_S1E_jjS1G_bEUljE0_EEESZ_S10_S11_S18_S1C_S1E_T6_T7_T9_mT8_S1G_bDpT10_ENKUlT_T0_E_clISt17integral_constantIbLb0EES1U_EEDaS1P_S1Q_EUlS1P_E_NS1_11comp_targetILNS1_3genE4ELNS1_11target_archE910ELNS1_3gpuE8ELNS1_3repE0EEENS1_30default_config_static_selectorELNS0_4arch9wavefront6targetE0EEEvS12_.uses_flat_scratch, 0
	.set _ZN7rocprim17ROCPRIM_400000_NS6detail17trampoline_kernelINS0_13select_configILj256ELj13ELNS0_17block_load_methodE3ELS4_3ELS4_3ELNS0_20block_scan_algorithmE0ELj4294967295EEENS1_25partition_config_selectorILNS1_17partition_subalgoE4EjNS0_10empty_typeEbEEZZNS1_14partition_implILS8_4ELb0ES6_15HIP_vector_typeIjLj2EENS0_17counting_iteratorIjlEEPS9_SG_NS0_5tupleIJPjSI_NS0_16reverse_iteratorISI_EEEEENSH_IJSG_SG_SG_EEES9_SI_JZNS1_25segmented_radix_sort_implINS0_14default_configELb1EPKfPfPKlPlN2at6native12_GLOBAL__N_18offset_tEEE10hipError_tPvRmT1_PNSt15iterator_traitsIS12_E10value_typeET2_T3_PNS13_IS18_E10value_typeET4_jRbjT5_S1E_jjP12ihipStream_tbEUljE_ZNSN_ISO_Lb1ESQ_SR_ST_SU_SY_EESZ_S10_S11_S12_S16_S17_S18_S1B_S1C_jS1D_jS1E_S1E_jjS1G_bEUljE0_EEESZ_S10_S11_S18_S1C_S1E_T6_T7_T9_mT8_S1G_bDpT10_ENKUlT_T0_E_clISt17integral_constantIbLb0EES1U_EEDaS1P_S1Q_EUlS1P_E_NS1_11comp_targetILNS1_3genE4ELNS1_11target_archE910ELNS1_3gpuE8ELNS1_3repE0EEENS1_30default_config_static_selectorELNS0_4arch9wavefront6targetE0EEEvS12_.has_dyn_sized_stack, 0
	.set _ZN7rocprim17ROCPRIM_400000_NS6detail17trampoline_kernelINS0_13select_configILj256ELj13ELNS0_17block_load_methodE3ELS4_3ELS4_3ELNS0_20block_scan_algorithmE0ELj4294967295EEENS1_25partition_config_selectorILNS1_17partition_subalgoE4EjNS0_10empty_typeEbEEZZNS1_14partition_implILS8_4ELb0ES6_15HIP_vector_typeIjLj2EENS0_17counting_iteratorIjlEEPS9_SG_NS0_5tupleIJPjSI_NS0_16reverse_iteratorISI_EEEEENSH_IJSG_SG_SG_EEES9_SI_JZNS1_25segmented_radix_sort_implINS0_14default_configELb1EPKfPfPKlPlN2at6native12_GLOBAL__N_18offset_tEEE10hipError_tPvRmT1_PNSt15iterator_traitsIS12_E10value_typeET2_T3_PNS13_IS18_E10value_typeET4_jRbjT5_S1E_jjP12ihipStream_tbEUljE_ZNSN_ISO_Lb1ESQ_SR_ST_SU_SY_EESZ_S10_S11_S12_S16_S17_S18_S1B_S1C_jS1D_jS1E_S1E_jjS1G_bEUljE0_EEESZ_S10_S11_S18_S1C_S1E_T6_T7_T9_mT8_S1G_bDpT10_ENKUlT_T0_E_clISt17integral_constantIbLb0EES1U_EEDaS1P_S1Q_EUlS1P_E_NS1_11comp_targetILNS1_3genE4ELNS1_11target_archE910ELNS1_3gpuE8ELNS1_3repE0EEENS1_30default_config_static_selectorELNS0_4arch9wavefront6targetE0EEEvS12_.has_recursion, 0
	.set _ZN7rocprim17ROCPRIM_400000_NS6detail17trampoline_kernelINS0_13select_configILj256ELj13ELNS0_17block_load_methodE3ELS4_3ELS4_3ELNS0_20block_scan_algorithmE0ELj4294967295EEENS1_25partition_config_selectorILNS1_17partition_subalgoE4EjNS0_10empty_typeEbEEZZNS1_14partition_implILS8_4ELb0ES6_15HIP_vector_typeIjLj2EENS0_17counting_iteratorIjlEEPS9_SG_NS0_5tupleIJPjSI_NS0_16reverse_iteratorISI_EEEEENSH_IJSG_SG_SG_EEES9_SI_JZNS1_25segmented_radix_sort_implINS0_14default_configELb1EPKfPfPKlPlN2at6native12_GLOBAL__N_18offset_tEEE10hipError_tPvRmT1_PNSt15iterator_traitsIS12_E10value_typeET2_T3_PNS13_IS18_E10value_typeET4_jRbjT5_S1E_jjP12ihipStream_tbEUljE_ZNSN_ISO_Lb1ESQ_SR_ST_SU_SY_EESZ_S10_S11_S12_S16_S17_S18_S1B_S1C_jS1D_jS1E_S1E_jjS1G_bEUljE0_EEESZ_S10_S11_S18_S1C_S1E_T6_T7_T9_mT8_S1G_bDpT10_ENKUlT_T0_E_clISt17integral_constantIbLb0EES1U_EEDaS1P_S1Q_EUlS1P_E_NS1_11comp_targetILNS1_3genE4ELNS1_11target_archE910ELNS1_3gpuE8ELNS1_3repE0EEENS1_30default_config_static_selectorELNS0_4arch9wavefront6targetE0EEEvS12_.has_indirect_call, 0
	.section	.AMDGPU.csdata,"",@progbits
; Kernel info:
; codeLenInByte = 0
; TotalNumSgprs: 0
; NumVgprs: 0
; ScratchSize: 0
; MemoryBound: 0
; FloatMode: 240
; IeeeMode: 1
; LDSByteSize: 0 bytes/workgroup (compile time only)
; SGPRBlocks: 0
; VGPRBlocks: 0
; NumSGPRsForWavesPerEU: 1
; NumVGPRsForWavesPerEU: 1
; NamedBarCnt: 0
; Occupancy: 16
; WaveLimiterHint : 0
; COMPUTE_PGM_RSRC2:SCRATCH_EN: 0
; COMPUTE_PGM_RSRC2:USER_SGPR: 2
; COMPUTE_PGM_RSRC2:TRAP_HANDLER: 0
; COMPUTE_PGM_RSRC2:TGID_X_EN: 1
; COMPUTE_PGM_RSRC2:TGID_Y_EN: 0
; COMPUTE_PGM_RSRC2:TGID_Z_EN: 0
; COMPUTE_PGM_RSRC2:TIDIG_COMP_CNT: 0
	.section	.text._ZN7rocprim17ROCPRIM_400000_NS6detail17trampoline_kernelINS0_13select_configILj256ELj13ELNS0_17block_load_methodE3ELS4_3ELS4_3ELNS0_20block_scan_algorithmE0ELj4294967295EEENS1_25partition_config_selectorILNS1_17partition_subalgoE4EjNS0_10empty_typeEbEEZZNS1_14partition_implILS8_4ELb0ES6_15HIP_vector_typeIjLj2EENS0_17counting_iteratorIjlEEPS9_SG_NS0_5tupleIJPjSI_NS0_16reverse_iteratorISI_EEEEENSH_IJSG_SG_SG_EEES9_SI_JZNS1_25segmented_radix_sort_implINS0_14default_configELb1EPKfPfPKlPlN2at6native12_GLOBAL__N_18offset_tEEE10hipError_tPvRmT1_PNSt15iterator_traitsIS12_E10value_typeET2_T3_PNS13_IS18_E10value_typeET4_jRbjT5_S1E_jjP12ihipStream_tbEUljE_ZNSN_ISO_Lb1ESQ_SR_ST_SU_SY_EESZ_S10_S11_S12_S16_S17_S18_S1B_S1C_jS1D_jS1E_S1E_jjS1G_bEUljE0_EEESZ_S10_S11_S18_S1C_S1E_T6_T7_T9_mT8_S1G_bDpT10_ENKUlT_T0_E_clISt17integral_constantIbLb0EES1U_EEDaS1P_S1Q_EUlS1P_E_NS1_11comp_targetILNS1_3genE3ELNS1_11target_archE908ELNS1_3gpuE7ELNS1_3repE0EEENS1_30default_config_static_selectorELNS0_4arch9wavefront6targetE0EEEvS12_,"axG",@progbits,_ZN7rocprim17ROCPRIM_400000_NS6detail17trampoline_kernelINS0_13select_configILj256ELj13ELNS0_17block_load_methodE3ELS4_3ELS4_3ELNS0_20block_scan_algorithmE0ELj4294967295EEENS1_25partition_config_selectorILNS1_17partition_subalgoE4EjNS0_10empty_typeEbEEZZNS1_14partition_implILS8_4ELb0ES6_15HIP_vector_typeIjLj2EENS0_17counting_iteratorIjlEEPS9_SG_NS0_5tupleIJPjSI_NS0_16reverse_iteratorISI_EEEEENSH_IJSG_SG_SG_EEES9_SI_JZNS1_25segmented_radix_sort_implINS0_14default_configELb1EPKfPfPKlPlN2at6native12_GLOBAL__N_18offset_tEEE10hipError_tPvRmT1_PNSt15iterator_traitsIS12_E10value_typeET2_T3_PNS13_IS18_E10value_typeET4_jRbjT5_S1E_jjP12ihipStream_tbEUljE_ZNSN_ISO_Lb1ESQ_SR_ST_SU_SY_EESZ_S10_S11_S12_S16_S17_S18_S1B_S1C_jS1D_jS1E_S1E_jjS1G_bEUljE0_EEESZ_S10_S11_S18_S1C_S1E_T6_T7_T9_mT8_S1G_bDpT10_ENKUlT_T0_E_clISt17integral_constantIbLb0EES1U_EEDaS1P_S1Q_EUlS1P_E_NS1_11comp_targetILNS1_3genE3ELNS1_11target_archE908ELNS1_3gpuE7ELNS1_3repE0EEENS1_30default_config_static_selectorELNS0_4arch9wavefront6targetE0EEEvS12_,comdat
	.globl	_ZN7rocprim17ROCPRIM_400000_NS6detail17trampoline_kernelINS0_13select_configILj256ELj13ELNS0_17block_load_methodE3ELS4_3ELS4_3ELNS0_20block_scan_algorithmE0ELj4294967295EEENS1_25partition_config_selectorILNS1_17partition_subalgoE4EjNS0_10empty_typeEbEEZZNS1_14partition_implILS8_4ELb0ES6_15HIP_vector_typeIjLj2EENS0_17counting_iteratorIjlEEPS9_SG_NS0_5tupleIJPjSI_NS0_16reverse_iteratorISI_EEEEENSH_IJSG_SG_SG_EEES9_SI_JZNS1_25segmented_radix_sort_implINS0_14default_configELb1EPKfPfPKlPlN2at6native12_GLOBAL__N_18offset_tEEE10hipError_tPvRmT1_PNSt15iterator_traitsIS12_E10value_typeET2_T3_PNS13_IS18_E10value_typeET4_jRbjT5_S1E_jjP12ihipStream_tbEUljE_ZNSN_ISO_Lb1ESQ_SR_ST_SU_SY_EESZ_S10_S11_S12_S16_S17_S18_S1B_S1C_jS1D_jS1E_S1E_jjS1G_bEUljE0_EEESZ_S10_S11_S18_S1C_S1E_T6_T7_T9_mT8_S1G_bDpT10_ENKUlT_T0_E_clISt17integral_constantIbLb0EES1U_EEDaS1P_S1Q_EUlS1P_E_NS1_11comp_targetILNS1_3genE3ELNS1_11target_archE908ELNS1_3gpuE7ELNS1_3repE0EEENS1_30default_config_static_selectorELNS0_4arch9wavefront6targetE0EEEvS12_ ; -- Begin function _ZN7rocprim17ROCPRIM_400000_NS6detail17trampoline_kernelINS0_13select_configILj256ELj13ELNS0_17block_load_methodE3ELS4_3ELS4_3ELNS0_20block_scan_algorithmE0ELj4294967295EEENS1_25partition_config_selectorILNS1_17partition_subalgoE4EjNS0_10empty_typeEbEEZZNS1_14partition_implILS8_4ELb0ES6_15HIP_vector_typeIjLj2EENS0_17counting_iteratorIjlEEPS9_SG_NS0_5tupleIJPjSI_NS0_16reverse_iteratorISI_EEEEENSH_IJSG_SG_SG_EEES9_SI_JZNS1_25segmented_radix_sort_implINS0_14default_configELb1EPKfPfPKlPlN2at6native12_GLOBAL__N_18offset_tEEE10hipError_tPvRmT1_PNSt15iterator_traitsIS12_E10value_typeET2_T3_PNS13_IS18_E10value_typeET4_jRbjT5_S1E_jjP12ihipStream_tbEUljE_ZNSN_ISO_Lb1ESQ_SR_ST_SU_SY_EESZ_S10_S11_S12_S16_S17_S18_S1B_S1C_jS1D_jS1E_S1E_jjS1G_bEUljE0_EEESZ_S10_S11_S18_S1C_S1E_T6_T7_T9_mT8_S1G_bDpT10_ENKUlT_T0_E_clISt17integral_constantIbLb0EES1U_EEDaS1P_S1Q_EUlS1P_E_NS1_11comp_targetILNS1_3genE3ELNS1_11target_archE908ELNS1_3gpuE7ELNS1_3repE0EEENS1_30default_config_static_selectorELNS0_4arch9wavefront6targetE0EEEvS12_
	.p2align	8
	.type	_ZN7rocprim17ROCPRIM_400000_NS6detail17trampoline_kernelINS0_13select_configILj256ELj13ELNS0_17block_load_methodE3ELS4_3ELS4_3ELNS0_20block_scan_algorithmE0ELj4294967295EEENS1_25partition_config_selectorILNS1_17partition_subalgoE4EjNS0_10empty_typeEbEEZZNS1_14partition_implILS8_4ELb0ES6_15HIP_vector_typeIjLj2EENS0_17counting_iteratorIjlEEPS9_SG_NS0_5tupleIJPjSI_NS0_16reverse_iteratorISI_EEEEENSH_IJSG_SG_SG_EEES9_SI_JZNS1_25segmented_radix_sort_implINS0_14default_configELb1EPKfPfPKlPlN2at6native12_GLOBAL__N_18offset_tEEE10hipError_tPvRmT1_PNSt15iterator_traitsIS12_E10value_typeET2_T3_PNS13_IS18_E10value_typeET4_jRbjT5_S1E_jjP12ihipStream_tbEUljE_ZNSN_ISO_Lb1ESQ_SR_ST_SU_SY_EESZ_S10_S11_S12_S16_S17_S18_S1B_S1C_jS1D_jS1E_S1E_jjS1G_bEUljE0_EEESZ_S10_S11_S18_S1C_S1E_T6_T7_T9_mT8_S1G_bDpT10_ENKUlT_T0_E_clISt17integral_constantIbLb0EES1U_EEDaS1P_S1Q_EUlS1P_E_NS1_11comp_targetILNS1_3genE3ELNS1_11target_archE908ELNS1_3gpuE7ELNS1_3repE0EEENS1_30default_config_static_selectorELNS0_4arch9wavefront6targetE0EEEvS12_,@function
_ZN7rocprim17ROCPRIM_400000_NS6detail17trampoline_kernelINS0_13select_configILj256ELj13ELNS0_17block_load_methodE3ELS4_3ELS4_3ELNS0_20block_scan_algorithmE0ELj4294967295EEENS1_25partition_config_selectorILNS1_17partition_subalgoE4EjNS0_10empty_typeEbEEZZNS1_14partition_implILS8_4ELb0ES6_15HIP_vector_typeIjLj2EENS0_17counting_iteratorIjlEEPS9_SG_NS0_5tupleIJPjSI_NS0_16reverse_iteratorISI_EEEEENSH_IJSG_SG_SG_EEES9_SI_JZNS1_25segmented_radix_sort_implINS0_14default_configELb1EPKfPfPKlPlN2at6native12_GLOBAL__N_18offset_tEEE10hipError_tPvRmT1_PNSt15iterator_traitsIS12_E10value_typeET2_T3_PNS13_IS18_E10value_typeET4_jRbjT5_S1E_jjP12ihipStream_tbEUljE_ZNSN_ISO_Lb1ESQ_SR_ST_SU_SY_EESZ_S10_S11_S12_S16_S17_S18_S1B_S1C_jS1D_jS1E_S1E_jjS1G_bEUljE0_EEESZ_S10_S11_S18_S1C_S1E_T6_T7_T9_mT8_S1G_bDpT10_ENKUlT_T0_E_clISt17integral_constantIbLb0EES1U_EEDaS1P_S1Q_EUlS1P_E_NS1_11comp_targetILNS1_3genE3ELNS1_11target_archE908ELNS1_3gpuE7ELNS1_3repE0EEENS1_30default_config_static_selectorELNS0_4arch9wavefront6targetE0EEEvS12_: ; @_ZN7rocprim17ROCPRIM_400000_NS6detail17trampoline_kernelINS0_13select_configILj256ELj13ELNS0_17block_load_methodE3ELS4_3ELS4_3ELNS0_20block_scan_algorithmE0ELj4294967295EEENS1_25partition_config_selectorILNS1_17partition_subalgoE4EjNS0_10empty_typeEbEEZZNS1_14partition_implILS8_4ELb0ES6_15HIP_vector_typeIjLj2EENS0_17counting_iteratorIjlEEPS9_SG_NS0_5tupleIJPjSI_NS0_16reverse_iteratorISI_EEEEENSH_IJSG_SG_SG_EEES9_SI_JZNS1_25segmented_radix_sort_implINS0_14default_configELb1EPKfPfPKlPlN2at6native12_GLOBAL__N_18offset_tEEE10hipError_tPvRmT1_PNSt15iterator_traitsIS12_E10value_typeET2_T3_PNS13_IS18_E10value_typeET4_jRbjT5_S1E_jjP12ihipStream_tbEUljE_ZNSN_ISO_Lb1ESQ_SR_ST_SU_SY_EESZ_S10_S11_S12_S16_S17_S18_S1B_S1C_jS1D_jS1E_S1E_jjS1G_bEUljE0_EEESZ_S10_S11_S18_S1C_S1E_T6_T7_T9_mT8_S1G_bDpT10_ENKUlT_T0_E_clISt17integral_constantIbLb0EES1U_EEDaS1P_S1Q_EUlS1P_E_NS1_11comp_targetILNS1_3genE3ELNS1_11target_archE908ELNS1_3gpuE7ELNS1_3repE0EEENS1_30default_config_static_selectorELNS0_4arch9wavefront6targetE0EEEvS12_
; %bb.0:
	.section	.rodata,"a",@progbits
	.p2align	6, 0x0
	.amdhsa_kernel _ZN7rocprim17ROCPRIM_400000_NS6detail17trampoline_kernelINS0_13select_configILj256ELj13ELNS0_17block_load_methodE3ELS4_3ELS4_3ELNS0_20block_scan_algorithmE0ELj4294967295EEENS1_25partition_config_selectorILNS1_17partition_subalgoE4EjNS0_10empty_typeEbEEZZNS1_14partition_implILS8_4ELb0ES6_15HIP_vector_typeIjLj2EENS0_17counting_iteratorIjlEEPS9_SG_NS0_5tupleIJPjSI_NS0_16reverse_iteratorISI_EEEEENSH_IJSG_SG_SG_EEES9_SI_JZNS1_25segmented_radix_sort_implINS0_14default_configELb1EPKfPfPKlPlN2at6native12_GLOBAL__N_18offset_tEEE10hipError_tPvRmT1_PNSt15iterator_traitsIS12_E10value_typeET2_T3_PNS13_IS18_E10value_typeET4_jRbjT5_S1E_jjP12ihipStream_tbEUljE_ZNSN_ISO_Lb1ESQ_SR_ST_SU_SY_EESZ_S10_S11_S12_S16_S17_S18_S1B_S1C_jS1D_jS1E_S1E_jjS1G_bEUljE0_EEESZ_S10_S11_S18_S1C_S1E_T6_T7_T9_mT8_S1G_bDpT10_ENKUlT_T0_E_clISt17integral_constantIbLb0EES1U_EEDaS1P_S1Q_EUlS1P_E_NS1_11comp_targetILNS1_3genE3ELNS1_11target_archE908ELNS1_3gpuE7ELNS1_3repE0EEENS1_30default_config_static_selectorELNS0_4arch9wavefront6targetE0EEEvS12_
		.amdhsa_group_segment_fixed_size 0
		.amdhsa_private_segment_fixed_size 0
		.amdhsa_kernarg_size 176
		.amdhsa_user_sgpr_count 2
		.amdhsa_user_sgpr_dispatch_ptr 0
		.amdhsa_user_sgpr_queue_ptr 0
		.amdhsa_user_sgpr_kernarg_segment_ptr 1
		.amdhsa_user_sgpr_dispatch_id 0
		.amdhsa_user_sgpr_kernarg_preload_length 0
		.amdhsa_user_sgpr_kernarg_preload_offset 0
		.amdhsa_user_sgpr_private_segment_size 0
		.amdhsa_wavefront_size32 1
		.amdhsa_uses_dynamic_stack 0
		.amdhsa_enable_private_segment 0
		.amdhsa_system_sgpr_workgroup_id_x 1
		.amdhsa_system_sgpr_workgroup_id_y 0
		.amdhsa_system_sgpr_workgroup_id_z 0
		.amdhsa_system_sgpr_workgroup_info 0
		.amdhsa_system_vgpr_workitem_id 0
		.amdhsa_next_free_vgpr 1
		.amdhsa_next_free_sgpr 1
		.amdhsa_named_barrier_count 0
		.amdhsa_reserve_vcc 0
		.amdhsa_float_round_mode_32 0
		.amdhsa_float_round_mode_16_64 0
		.amdhsa_float_denorm_mode_32 3
		.amdhsa_float_denorm_mode_16_64 3
		.amdhsa_fp16_overflow 0
		.amdhsa_memory_ordered 1
		.amdhsa_forward_progress 1
		.amdhsa_inst_pref_size 0
		.amdhsa_round_robin_scheduling 0
		.amdhsa_exception_fp_ieee_invalid_op 0
		.amdhsa_exception_fp_denorm_src 0
		.amdhsa_exception_fp_ieee_div_zero 0
		.amdhsa_exception_fp_ieee_overflow 0
		.amdhsa_exception_fp_ieee_underflow 0
		.amdhsa_exception_fp_ieee_inexact 0
		.amdhsa_exception_int_div_zero 0
	.end_amdhsa_kernel
	.section	.text._ZN7rocprim17ROCPRIM_400000_NS6detail17trampoline_kernelINS0_13select_configILj256ELj13ELNS0_17block_load_methodE3ELS4_3ELS4_3ELNS0_20block_scan_algorithmE0ELj4294967295EEENS1_25partition_config_selectorILNS1_17partition_subalgoE4EjNS0_10empty_typeEbEEZZNS1_14partition_implILS8_4ELb0ES6_15HIP_vector_typeIjLj2EENS0_17counting_iteratorIjlEEPS9_SG_NS0_5tupleIJPjSI_NS0_16reverse_iteratorISI_EEEEENSH_IJSG_SG_SG_EEES9_SI_JZNS1_25segmented_radix_sort_implINS0_14default_configELb1EPKfPfPKlPlN2at6native12_GLOBAL__N_18offset_tEEE10hipError_tPvRmT1_PNSt15iterator_traitsIS12_E10value_typeET2_T3_PNS13_IS18_E10value_typeET4_jRbjT5_S1E_jjP12ihipStream_tbEUljE_ZNSN_ISO_Lb1ESQ_SR_ST_SU_SY_EESZ_S10_S11_S12_S16_S17_S18_S1B_S1C_jS1D_jS1E_S1E_jjS1G_bEUljE0_EEESZ_S10_S11_S18_S1C_S1E_T6_T7_T9_mT8_S1G_bDpT10_ENKUlT_T0_E_clISt17integral_constantIbLb0EES1U_EEDaS1P_S1Q_EUlS1P_E_NS1_11comp_targetILNS1_3genE3ELNS1_11target_archE908ELNS1_3gpuE7ELNS1_3repE0EEENS1_30default_config_static_selectorELNS0_4arch9wavefront6targetE0EEEvS12_,"axG",@progbits,_ZN7rocprim17ROCPRIM_400000_NS6detail17trampoline_kernelINS0_13select_configILj256ELj13ELNS0_17block_load_methodE3ELS4_3ELS4_3ELNS0_20block_scan_algorithmE0ELj4294967295EEENS1_25partition_config_selectorILNS1_17partition_subalgoE4EjNS0_10empty_typeEbEEZZNS1_14partition_implILS8_4ELb0ES6_15HIP_vector_typeIjLj2EENS0_17counting_iteratorIjlEEPS9_SG_NS0_5tupleIJPjSI_NS0_16reverse_iteratorISI_EEEEENSH_IJSG_SG_SG_EEES9_SI_JZNS1_25segmented_radix_sort_implINS0_14default_configELb1EPKfPfPKlPlN2at6native12_GLOBAL__N_18offset_tEEE10hipError_tPvRmT1_PNSt15iterator_traitsIS12_E10value_typeET2_T3_PNS13_IS18_E10value_typeET4_jRbjT5_S1E_jjP12ihipStream_tbEUljE_ZNSN_ISO_Lb1ESQ_SR_ST_SU_SY_EESZ_S10_S11_S12_S16_S17_S18_S1B_S1C_jS1D_jS1E_S1E_jjS1G_bEUljE0_EEESZ_S10_S11_S18_S1C_S1E_T6_T7_T9_mT8_S1G_bDpT10_ENKUlT_T0_E_clISt17integral_constantIbLb0EES1U_EEDaS1P_S1Q_EUlS1P_E_NS1_11comp_targetILNS1_3genE3ELNS1_11target_archE908ELNS1_3gpuE7ELNS1_3repE0EEENS1_30default_config_static_selectorELNS0_4arch9wavefront6targetE0EEEvS12_,comdat
.Lfunc_end1258:
	.size	_ZN7rocprim17ROCPRIM_400000_NS6detail17trampoline_kernelINS0_13select_configILj256ELj13ELNS0_17block_load_methodE3ELS4_3ELS4_3ELNS0_20block_scan_algorithmE0ELj4294967295EEENS1_25partition_config_selectorILNS1_17partition_subalgoE4EjNS0_10empty_typeEbEEZZNS1_14partition_implILS8_4ELb0ES6_15HIP_vector_typeIjLj2EENS0_17counting_iteratorIjlEEPS9_SG_NS0_5tupleIJPjSI_NS0_16reverse_iteratorISI_EEEEENSH_IJSG_SG_SG_EEES9_SI_JZNS1_25segmented_radix_sort_implINS0_14default_configELb1EPKfPfPKlPlN2at6native12_GLOBAL__N_18offset_tEEE10hipError_tPvRmT1_PNSt15iterator_traitsIS12_E10value_typeET2_T3_PNS13_IS18_E10value_typeET4_jRbjT5_S1E_jjP12ihipStream_tbEUljE_ZNSN_ISO_Lb1ESQ_SR_ST_SU_SY_EESZ_S10_S11_S12_S16_S17_S18_S1B_S1C_jS1D_jS1E_S1E_jjS1G_bEUljE0_EEESZ_S10_S11_S18_S1C_S1E_T6_T7_T9_mT8_S1G_bDpT10_ENKUlT_T0_E_clISt17integral_constantIbLb0EES1U_EEDaS1P_S1Q_EUlS1P_E_NS1_11comp_targetILNS1_3genE3ELNS1_11target_archE908ELNS1_3gpuE7ELNS1_3repE0EEENS1_30default_config_static_selectorELNS0_4arch9wavefront6targetE0EEEvS12_, .Lfunc_end1258-_ZN7rocprim17ROCPRIM_400000_NS6detail17trampoline_kernelINS0_13select_configILj256ELj13ELNS0_17block_load_methodE3ELS4_3ELS4_3ELNS0_20block_scan_algorithmE0ELj4294967295EEENS1_25partition_config_selectorILNS1_17partition_subalgoE4EjNS0_10empty_typeEbEEZZNS1_14partition_implILS8_4ELb0ES6_15HIP_vector_typeIjLj2EENS0_17counting_iteratorIjlEEPS9_SG_NS0_5tupleIJPjSI_NS0_16reverse_iteratorISI_EEEEENSH_IJSG_SG_SG_EEES9_SI_JZNS1_25segmented_radix_sort_implINS0_14default_configELb1EPKfPfPKlPlN2at6native12_GLOBAL__N_18offset_tEEE10hipError_tPvRmT1_PNSt15iterator_traitsIS12_E10value_typeET2_T3_PNS13_IS18_E10value_typeET4_jRbjT5_S1E_jjP12ihipStream_tbEUljE_ZNSN_ISO_Lb1ESQ_SR_ST_SU_SY_EESZ_S10_S11_S12_S16_S17_S18_S1B_S1C_jS1D_jS1E_S1E_jjS1G_bEUljE0_EEESZ_S10_S11_S18_S1C_S1E_T6_T7_T9_mT8_S1G_bDpT10_ENKUlT_T0_E_clISt17integral_constantIbLb0EES1U_EEDaS1P_S1Q_EUlS1P_E_NS1_11comp_targetILNS1_3genE3ELNS1_11target_archE908ELNS1_3gpuE7ELNS1_3repE0EEENS1_30default_config_static_selectorELNS0_4arch9wavefront6targetE0EEEvS12_
                                        ; -- End function
	.set _ZN7rocprim17ROCPRIM_400000_NS6detail17trampoline_kernelINS0_13select_configILj256ELj13ELNS0_17block_load_methodE3ELS4_3ELS4_3ELNS0_20block_scan_algorithmE0ELj4294967295EEENS1_25partition_config_selectorILNS1_17partition_subalgoE4EjNS0_10empty_typeEbEEZZNS1_14partition_implILS8_4ELb0ES6_15HIP_vector_typeIjLj2EENS0_17counting_iteratorIjlEEPS9_SG_NS0_5tupleIJPjSI_NS0_16reverse_iteratorISI_EEEEENSH_IJSG_SG_SG_EEES9_SI_JZNS1_25segmented_radix_sort_implINS0_14default_configELb1EPKfPfPKlPlN2at6native12_GLOBAL__N_18offset_tEEE10hipError_tPvRmT1_PNSt15iterator_traitsIS12_E10value_typeET2_T3_PNS13_IS18_E10value_typeET4_jRbjT5_S1E_jjP12ihipStream_tbEUljE_ZNSN_ISO_Lb1ESQ_SR_ST_SU_SY_EESZ_S10_S11_S12_S16_S17_S18_S1B_S1C_jS1D_jS1E_S1E_jjS1G_bEUljE0_EEESZ_S10_S11_S18_S1C_S1E_T6_T7_T9_mT8_S1G_bDpT10_ENKUlT_T0_E_clISt17integral_constantIbLb0EES1U_EEDaS1P_S1Q_EUlS1P_E_NS1_11comp_targetILNS1_3genE3ELNS1_11target_archE908ELNS1_3gpuE7ELNS1_3repE0EEENS1_30default_config_static_selectorELNS0_4arch9wavefront6targetE0EEEvS12_.num_vgpr, 0
	.set _ZN7rocprim17ROCPRIM_400000_NS6detail17trampoline_kernelINS0_13select_configILj256ELj13ELNS0_17block_load_methodE3ELS4_3ELS4_3ELNS0_20block_scan_algorithmE0ELj4294967295EEENS1_25partition_config_selectorILNS1_17partition_subalgoE4EjNS0_10empty_typeEbEEZZNS1_14partition_implILS8_4ELb0ES6_15HIP_vector_typeIjLj2EENS0_17counting_iteratorIjlEEPS9_SG_NS0_5tupleIJPjSI_NS0_16reverse_iteratorISI_EEEEENSH_IJSG_SG_SG_EEES9_SI_JZNS1_25segmented_radix_sort_implINS0_14default_configELb1EPKfPfPKlPlN2at6native12_GLOBAL__N_18offset_tEEE10hipError_tPvRmT1_PNSt15iterator_traitsIS12_E10value_typeET2_T3_PNS13_IS18_E10value_typeET4_jRbjT5_S1E_jjP12ihipStream_tbEUljE_ZNSN_ISO_Lb1ESQ_SR_ST_SU_SY_EESZ_S10_S11_S12_S16_S17_S18_S1B_S1C_jS1D_jS1E_S1E_jjS1G_bEUljE0_EEESZ_S10_S11_S18_S1C_S1E_T6_T7_T9_mT8_S1G_bDpT10_ENKUlT_T0_E_clISt17integral_constantIbLb0EES1U_EEDaS1P_S1Q_EUlS1P_E_NS1_11comp_targetILNS1_3genE3ELNS1_11target_archE908ELNS1_3gpuE7ELNS1_3repE0EEENS1_30default_config_static_selectorELNS0_4arch9wavefront6targetE0EEEvS12_.num_agpr, 0
	.set _ZN7rocprim17ROCPRIM_400000_NS6detail17trampoline_kernelINS0_13select_configILj256ELj13ELNS0_17block_load_methodE3ELS4_3ELS4_3ELNS0_20block_scan_algorithmE0ELj4294967295EEENS1_25partition_config_selectorILNS1_17partition_subalgoE4EjNS0_10empty_typeEbEEZZNS1_14partition_implILS8_4ELb0ES6_15HIP_vector_typeIjLj2EENS0_17counting_iteratorIjlEEPS9_SG_NS0_5tupleIJPjSI_NS0_16reverse_iteratorISI_EEEEENSH_IJSG_SG_SG_EEES9_SI_JZNS1_25segmented_radix_sort_implINS0_14default_configELb1EPKfPfPKlPlN2at6native12_GLOBAL__N_18offset_tEEE10hipError_tPvRmT1_PNSt15iterator_traitsIS12_E10value_typeET2_T3_PNS13_IS18_E10value_typeET4_jRbjT5_S1E_jjP12ihipStream_tbEUljE_ZNSN_ISO_Lb1ESQ_SR_ST_SU_SY_EESZ_S10_S11_S12_S16_S17_S18_S1B_S1C_jS1D_jS1E_S1E_jjS1G_bEUljE0_EEESZ_S10_S11_S18_S1C_S1E_T6_T7_T9_mT8_S1G_bDpT10_ENKUlT_T0_E_clISt17integral_constantIbLb0EES1U_EEDaS1P_S1Q_EUlS1P_E_NS1_11comp_targetILNS1_3genE3ELNS1_11target_archE908ELNS1_3gpuE7ELNS1_3repE0EEENS1_30default_config_static_selectorELNS0_4arch9wavefront6targetE0EEEvS12_.numbered_sgpr, 0
	.set _ZN7rocprim17ROCPRIM_400000_NS6detail17trampoline_kernelINS0_13select_configILj256ELj13ELNS0_17block_load_methodE3ELS4_3ELS4_3ELNS0_20block_scan_algorithmE0ELj4294967295EEENS1_25partition_config_selectorILNS1_17partition_subalgoE4EjNS0_10empty_typeEbEEZZNS1_14partition_implILS8_4ELb0ES6_15HIP_vector_typeIjLj2EENS0_17counting_iteratorIjlEEPS9_SG_NS0_5tupleIJPjSI_NS0_16reverse_iteratorISI_EEEEENSH_IJSG_SG_SG_EEES9_SI_JZNS1_25segmented_radix_sort_implINS0_14default_configELb1EPKfPfPKlPlN2at6native12_GLOBAL__N_18offset_tEEE10hipError_tPvRmT1_PNSt15iterator_traitsIS12_E10value_typeET2_T3_PNS13_IS18_E10value_typeET4_jRbjT5_S1E_jjP12ihipStream_tbEUljE_ZNSN_ISO_Lb1ESQ_SR_ST_SU_SY_EESZ_S10_S11_S12_S16_S17_S18_S1B_S1C_jS1D_jS1E_S1E_jjS1G_bEUljE0_EEESZ_S10_S11_S18_S1C_S1E_T6_T7_T9_mT8_S1G_bDpT10_ENKUlT_T0_E_clISt17integral_constantIbLb0EES1U_EEDaS1P_S1Q_EUlS1P_E_NS1_11comp_targetILNS1_3genE3ELNS1_11target_archE908ELNS1_3gpuE7ELNS1_3repE0EEENS1_30default_config_static_selectorELNS0_4arch9wavefront6targetE0EEEvS12_.num_named_barrier, 0
	.set _ZN7rocprim17ROCPRIM_400000_NS6detail17trampoline_kernelINS0_13select_configILj256ELj13ELNS0_17block_load_methodE3ELS4_3ELS4_3ELNS0_20block_scan_algorithmE0ELj4294967295EEENS1_25partition_config_selectorILNS1_17partition_subalgoE4EjNS0_10empty_typeEbEEZZNS1_14partition_implILS8_4ELb0ES6_15HIP_vector_typeIjLj2EENS0_17counting_iteratorIjlEEPS9_SG_NS0_5tupleIJPjSI_NS0_16reverse_iteratorISI_EEEEENSH_IJSG_SG_SG_EEES9_SI_JZNS1_25segmented_radix_sort_implINS0_14default_configELb1EPKfPfPKlPlN2at6native12_GLOBAL__N_18offset_tEEE10hipError_tPvRmT1_PNSt15iterator_traitsIS12_E10value_typeET2_T3_PNS13_IS18_E10value_typeET4_jRbjT5_S1E_jjP12ihipStream_tbEUljE_ZNSN_ISO_Lb1ESQ_SR_ST_SU_SY_EESZ_S10_S11_S12_S16_S17_S18_S1B_S1C_jS1D_jS1E_S1E_jjS1G_bEUljE0_EEESZ_S10_S11_S18_S1C_S1E_T6_T7_T9_mT8_S1G_bDpT10_ENKUlT_T0_E_clISt17integral_constantIbLb0EES1U_EEDaS1P_S1Q_EUlS1P_E_NS1_11comp_targetILNS1_3genE3ELNS1_11target_archE908ELNS1_3gpuE7ELNS1_3repE0EEENS1_30default_config_static_selectorELNS0_4arch9wavefront6targetE0EEEvS12_.private_seg_size, 0
	.set _ZN7rocprim17ROCPRIM_400000_NS6detail17trampoline_kernelINS0_13select_configILj256ELj13ELNS0_17block_load_methodE3ELS4_3ELS4_3ELNS0_20block_scan_algorithmE0ELj4294967295EEENS1_25partition_config_selectorILNS1_17partition_subalgoE4EjNS0_10empty_typeEbEEZZNS1_14partition_implILS8_4ELb0ES6_15HIP_vector_typeIjLj2EENS0_17counting_iteratorIjlEEPS9_SG_NS0_5tupleIJPjSI_NS0_16reverse_iteratorISI_EEEEENSH_IJSG_SG_SG_EEES9_SI_JZNS1_25segmented_radix_sort_implINS0_14default_configELb1EPKfPfPKlPlN2at6native12_GLOBAL__N_18offset_tEEE10hipError_tPvRmT1_PNSt15iterator_traitsIS12_E10value_typeET2_T3_PNS13_IS18_E10value_typeET4_jRbjT5_S1E_jjP12ihipStream_tbEUljE_ZNSN_ISO_Lb1ESQ_SR_ST_SU_SY_EESZ_S10_S11_S12_S16_S17_S18_S1B_S1C_jS1D_jS1E_S1E_jjS1G_bEUljE0_EEESZ_S10_S11_S18_S1C_S1E_T6_T7_T9_mT8_S1G_bDpT10_ENKUlT_T0_E_clISt17integral_constantIbLb0EES1U_EEDaS1P_S1Q_EUlS1P_E_NS1_11comp_targetILNS1_3genE3ELNS1_11target_archE908ELNS1_3gpuE7ELNS1_3repE0EEENS1_30default_config_static_selectorELNS0_4arch9wavefront6targetE0EEEvS12_.uses_vcc, 0
	.set _ZN7rocprim17ROCPRIM_400000_NS6detail17trampoline_kernelINS0_13select_configILj256ELj13ELNS0_17block_load_methodE3ELS4_3ELS4_3ELNS0_20block_scan_algorithmE0ELj4294967295EEENS1_25partition_config_selectorILNS1_17partition_subalgoE4EjNS0_10empty_typeEbEEZZNS1_14partition_implILS8_4ELb0ES6_15HIP_vector_typeIjLj2EENS0_17counting_iteratorIjlEEPS9_SG_NS0_5tupleIJPjSI_NS0_16reverse_iteratorISI_EEEEENSH_IJSG_SG_SG_EEES9_SI_JZNS1_25segmented_radix_sort_implINS0_14default_configELb1EPKfPfPKlPlN2at6native12_GLOBAL__N_18offset_tEEE10hipError_tPvRmT1_PNSt15iterator_traitsIS12_E10value_typeET2_T3_PNS13_IS18_E10value_typeET4_jRbjT5_S1E_jjP12ihipStream_tbEUljE_ZNSN_ISO_Lb1ESQ_SR_ST_SU_SY_EESZ_S10_S11_S12_S16_S17_S18_S1B_S1C_jS1D_jS1E_S1E_jjS1G_bEUljE0_EEESZ_S10_S11_S18_S1C_S1E_T6_T7_T9_mT8_S1G_bDpT10_ENKUlT_T0_E_clISt17integral_constantIbLb0EES1U_EEDaS1P_S1Q_EUlS1P_E_NS1_11comp_targetILNS1_3genE3ELNS1_11target_archE908ELNS1_3gpuE7ELNS1_3repE0EEENS1_30default_config_static_selectorELNS0_4arch9wavefront6targetE0EEEvS12_.uses_flat_scratch, 0
	.set _ZN7rocprim17ROCPRIM_400000_NS6detail17trampoline_kernelINS0_13select_configILj256ELj13ELNS0_17block_load_methodE3ELS4_3ELS4_3ELNS0_20block_scan_algorithmE0ELj4294967295EEENS1_25partition_config_selectorILNS1_17partition_subalgoE4EjNS0_10empty_typeEbEEZZNS1_14partition_implILS8_4ELb0ES6_15HIP_vector_typeIjLj2EENS0_17counting_iteratorIjlEEPS9_SG_NS0_5tupleIJPjSI_NS0_16reverse_iteratorISI_EEEEENSH_IJSG_SG_SG_EEES9_SI_JZNS1_25segmented_radix_sort_implINS0_14default_configELb1EPKfPfPKlPlN2at6native12_GLOBAL__N_18offset_tEEE10hipError_tPvRmT1_PNSt15iterator_traitsIS12_E10value_typeET2_T3_PNS13_IS18_E10value_typeET4_jRbjT5_S1E_jjP12ihipStream_tbEUljE_ZNSN_ISO_Lb1ESQ_SR_ST_SU_SY_EESZ_S10_S11_S12_S16_S17_S18_S1B_S1C_jS1D_jS1E_S1E_jjS1G_bEUljE0_EEESZ_S10_S11_S18_S1C_S1E_T6_T7_T9_mT8_S1G_bDpT10_ENKUlT_T0_E_clISt17integral_constantIbLb0EES1U_EEDaS1P_S1Q_EUlS1P_E_NS1_11comp_targetILNS1_3genE3ELNS1_11target_archE908ELNS1_3gpuE7ELNS1_3repE0EEENS1_30default_config_static_selectorELNS0_4arch9wavefront6targetE0EEEvS12_.has_dyn_sized_stack, 0
	.set _ZN7rocprim17ROCPRIM_400000_NS6detail17trampoline_kernelINS0_13select_configILj256ELj13ELNS0_17block_load_methodE3ELS4_3ELS4_3ELNS0_20block_scan_algorithmE0ELj4294967295EEENS1_25partition_config_selectorILNS1_17partition_subalgoE4EjNS0_10empty_typeEbEEZZNS1_14partition_implILS8_4ELb0ES6_15HIP_vector_typeIjLj2EENS0_17counting_iteratorIjlEEPS9_SG_NS0_5tupleIJPjSI_NS0_16reverse_iteratorISI_EEEEENSH_IJSG_SG_SG_EEES9_SI_JZNS1_25segmented_radix_sort_implINS0_14default_configELb1EPKfPfPKlPlN2at6native12_GLOBAL__N_18offset_tEEE10hipError_tPvRmT1_PNSt15iterator_traitsIS12_E10value_typeET2_T3_PNS13_IS18_E10value_typeET4_jRbjT5_S1E_jjP12ihipStream_tbEUljE_ZNSN_ISO_Lb1ESQ_SR_ST_SU_SY_EESZ_S10_S11_S12_S16_S17_S18_S1B_S1C_jS1D_jS1E_S1E_jjS1G_bEUljE0_EEESZ_S10_S11_S18_S1C_S1E_T6_T7_T9_mT8_S1G_bDpT10_ENKUlT_T0_E_clISt17integral_constantIbLb0EES1U_EEDaS1P_S1Q_EUlS1P_E_NS1_11comp_targetILNS1_3genE3ELNS1_11target_archE908ELNS1_3gpuE7ELNS1_3repE0EEENS1_30default_config_static_selectorELNS0_4arch9wavefront6targetE0EEEvS12_.has_recursion, 0
	.set _ZN7rocprim17ROCPRIM_400000_NS6detail17trampoline_kernelINS0_13select_configILj256ELj13ELNS0_17block_load_methodE3ELS4_3ELS4_3ELNS0_20block_scan_algorithmE0ELj4294967295EEENS1_25partition_config_selectorILNS1_17partition_subalgoE4EjNS0_10empty_typeEbEEZZNS1_14partition_implILS8_4ELb0ES6_15HIP_vector_typeIjLj2EENS0_17counting_iteratorIjlEEPS9_SG_NS0_5tupleIJPjSI_NS0_16reverse_iteratorISI_EEEEENSH_IJSG_SG_SG_EEES9_SI_JZNS1_25segmented_radix_sort_implINS0_14default_configELb1EPKfPfPKlPlN2at6native12_GLOBAL__N_18offset_tEEE10hipError_tPvRmT1_PNSt15iterator_traitsIS12_E10value_typeET2_T3_PNS13_IS18_E10value_typeET4_jRbjT5_S1E_jjP12ihipStream_tbEUljE_ZNSN_ISO_Lb1ESQ_SR_ST_SU_SY_EESZ_S10_S11_S12_S16_S17_S18_S1B_S1C_jS1D_jS1E_S1E_jjS1G_bEUljE0_EEESZ_S10_S11_S18_S1C_S1E_T6_T7_T9_mT8_S1G_bDpT10_ENKUlT_T0_E_clISt17integral_constantIbLb0EES1U_EEDaS1P_S1Q_EUlS1P_E_NS1_11comp_targetILNS1_3genE3ELNS1_11target_archE908ELNS1_3gpuE7ELNS1_3repE0EEENS1_30default_config_static_selectorELNS0_4arch9wavefront6targetE0EEEvS12_.has_indirect_call, 0
	.section	.AMDGPU.csdata,"",@progbits
; Kernel info:
; codeLenInByte = 0
; TotalNumSgprs: 0
; NumVgprs: 0
; ScratchSize: 0
; MemoryBound: 0
; FloatMode: 240
; IeeeMode: 1
; LDSByteSize: 0 bytes/workgroup (compile time only)
; SGPRBlocks: 0
; VGPRBlocks: 0
; NumSGPRsForWavesPerEU: 1
; NumVGPRsForWavesPerEU: 1
; NamedBarCnt: 0
; Occupancy: 16
; WaveLimiterHint : 0
; COMPUTE_PGM_RSRC2:SCRATCH_EN: 0
; COMPUTE_PGM_RSRC2:USER_SGPR: 2
; COMPUTE_PGM_RSRC2:TRAP_HANDLER: 0
; COMPUTE_PGM_RSRC2:TGID_X_EN: 1
; COMPUTE_PGM_RSRC2:TGID_Y_EN: 0
; COMPUTE_PGM_RSRC2:TGID_Z_EN: 0
; COMPUTE_PGM_RSRC2:TIDIG_COMP_CNT: 0
	.section	.text._ZN7rocprim17ROCPRIM_400000_NS6detail17trampoline_kernelINS0_13select_configILj256ELj13ELNS0_17block_load_methodE3ELS4_3ELS4_3ELNS0_20block_scan_algorithmE0ELj4294967295EEENS1_25partition_config_selectorILNS1_17partition_subalgoE4EjNS0_10empty_typeEbEEZZNS1_14partition_implILS8_4ELb0ES6_15HIP_vector_typeIjLj2EENS0_17counting_iteratorIjlEEPS9_SG_NS0_5tupleIJPjSI_NS0_16reverse_iteratorISI_EEEEENSH_IJSG_SG_SG_EEES9_SI_JZNS1_25segmented_radix_sort_implINS0_14default_configELb1EPKfPfPKlPlN2at6native12_GLOBAL__N_18offset_tEEE10hipError_tPvRmT1_PNSt15iterator_traitsIS12_E10value_typeET2_T3_PNS13_IS18_E10value_typeET4_jRbjT5_S1E_jjP12ihipStream_tbEUljE_ZNSN_ISO_Lb1ESQ_SR_ST_SU_SY_EESZ_S10_S11_S12_S16_S17_S18_S1B_S1C_jS1D_jS1E_S1E_jjS1G_bEUljE0_EEESZ_S10_S11_S18_S1C_S1E_T6_T7_T9_mT8_S1G_bDpT10_ENKUlT_T0_E_clISt17integral_constantIbLb0EES1U_EEDaS1P_S1Q_EUlS1P_E_NS1_11comp_targetILNS1_3genE2ELNS1_11target_archE906ELNS1_3gpuE6ELNS1_3repE0EEENS1_30default_config_static_selectorELNS0_4arch9wavefront6targetE0EEEvS12_,"axG",@progbits,_ZN7rocprim17ROCPRIM_400000_NS6detail17trampoline_kernelINS0_13select_configILj256ELj13ELNS0_17block_load_methodE3ELS4_3ELS4_3ELNS0_20block_scan_algorithmE0ELj4294967295EEENS1_25partition_config_selectorILNS1_17partition_subalgoE4EjNS0_10empty_typeEbEEZZNS1_14partition_implILS8_4ELb0ES6_15HIP_vector_typeIjLj2EENS0_17counting_iteratorIjlEEPS9_SG_NS0_5tupleIJPjSI_NS0_16reverse_iteratorISI_EEEEENSH_IJSG_SG_SG_EEES9_SI_JZNS1_25segmented_radix_sort_implINS0_14default_configELb1EPKfPfPKlPlN2at6native12_GLOBAL__N_18offset_tEEE10hipError_tPvRmT1_PNSt15iterator_traitsIS12_E10value_typeET2_T3_PNS13_IS18_E10value_typeET4_jRbjT5_S1E_jjP12ihipStream_tbEUljE_ZNSN_ISO_Lb1ESQ_SR_ST_SU_SY_EESZ_S10_S11_S12_S16_S17_S18_S1B_S1C_jS1D_jS1E_S1E_jjS1G_bEUljE0_EEESZ_S10_S11_S18_S1C_S1E_T6_T7_T9_mT8_S1G_bDpT10_ENKUlT_T0_E_clISt17integral_constantIbLb0EES1U_EEDaS1P_S1Q_EUlS1P_E_NS1_11comp_targetILNS1_3genE2ELNS1_11target_archE906ELNS1_3gpuE6ELNS1_3repE0EEENS1_30default_config_static_selectorELNS0_4arch9wavefront6targetE0EEEvS12_,comdat
	.globl	_ZN7rocprim17ROCPRIM_400000_NS6detail17trampoline_kernelINS0_13select_configILj256ELj13ELNS0_17block_load_methodE3ELS4_3ELS4_3ELNS0_20block_scan_algorithmE0ELj4294967295EEENS1_25partition_config_selectorILNS1_17partition_subalgoE4EjNS0_10empty_typeEbEEZZNS1_14partition_implILS8_4ELb0ES6_15HIP_vector_typeIjLj2EENS0_17counting_iteratorIjlEEPS9_SG_NS0_5tupleIJPjSI_NS0_16reverse_iteratorISI_EEEEENSH_IJSG_SG_SG_EEES9_SI_JZNS1_25segmented_radix_sort_implINS0_14default_configELb1EPKfPfPKlPlN2at6native12_GLOBAL__N_18offset_tEEE10hipError_tPvRmT1_PNSt15iterator_traitsIS12_E10value_typeET2_T3_PNS13_IS18_E10value_typeET4_jRbjT5_S1E_jjP12ihipStream_tbEUljE_ZNSN_ISO_Lb1ESQ_SR_ST_SU_SY_EESZ_S10_S11_S12_S16_S17_S18_S1B_S1C_jS1D_jS1E_S1E_jjS1G_bEUljE0_EEESZ_S10_S11_S18_S1C_S1E_T6_T7_T9_mT8_S1G_bDpT10_ENKUlT_T0_E_clISt17integral_constantIbLb0EES1U_EEDaS1P_S1Q_EUlS1P_E_NS1_11comp_targetILNS1_3genE2ELNS1_11target_archE906ELNS1_3gpuE6ELNS1_3repE0EEENS1_30default_config_static_selectorELNS0_4arch9wavefront6targetE0EEEvS12_ ; -- Begin function _ZN7rocprim17ROCPRIM_400000_NS6detail17trampoline_kernelINS0_13select_configILj256ELj13ELNS0_17block_load_methodE3ELS4_3ELS4_3ELNS0_20block_scan_algorithmE0ELj4294967295EEENS1_25partition_config_selectorILNS1_17partition_subalgoE4EjNS0_10empty_typeEbEEZZNS1_14partition_implILS8_4ELb0ES6_15HIP_vector_typeIjLj2EENS0_17counting_iteratorIjlEEPS9_SG_NS0_5tupleIJPjSI_NS0_16reverse_iteratorISI_EEEEENSH_IJSG_SG_SG_EEES9_SI_JZNS1_25segmented_radix_sort_implINS0_14default_configELb1EPKfPfPKlPlN2at6native12_GLOBAL__N_18offset_tEEE10hipError_tPvRmT1_PNSt15iterator_traitsIS12_E10value_typeET2_T3_PNS13_IS18_E10value_typeET4_jRbjT5_S1E_jjP12ihipStream_tbEUljE_ZNSN_ISO_Lb1ESQ_SR_ST_SU_SY_EESZ_S10_S11_S12_S16_S17_S18_S1B_S1C_jS1D_jS1E_S1E_jjS1G_bEUljE0_EEESZ_S10_S11_S18_S1C_S1E_T6_T7_T9_mT8_S1G_bDpT10_ENKUlT_T0_E_clISt17integral_constantIbLb0EES1U_EEDaS1P_S1Q_EUlS1P_E_NS1_11comp_targetILNS1_3genE2ELNS1_11target_archE906ELNS1_3gpuE6ELNS1_3repE0EEENS1_30default_config_static_selectorELNS0_4arch9wavefront6targetE0EEEvS12_
	.p2align	8
	.type	_ZN7rocprim17ROCPRIM_400000_NS6detail17trampoline_kernelINS0_13select_configILj256ELj13ELNS0_17block_load_methodE3ELS4_3ELS4_3ELNS0_20block_scan_algorithmE0ELj4294967295EEENS1_25partition_config_selectorILNS1_17partition_subalgoE4EjNS0_10empty_typeEbEEZZNS1_14partition_implILS8_4ELb0ES6_15HIP_vector_typeIjLj2EENS0_17counting_iteratorIjlEEPS9_SG_NS0_5tupleIJPjSI_NS0_16reverse_iteratorISI_EEEEENSH_IJSG_SG_SG_EEES9_SI_JZNS1_25segmented_radix_sort_implINS0_14default_configELb1EPKfPfPKlPlN2at6native12_GLOBAL__N_18offset_tEEE10hipError_tPvRmT1_PNSt15iterator_traitsIS12_E10value_typeET2_T3_PNS13_IS18_E10value_typeET4_jRbjT5_S1E_jjP12ihipStream_tbEUljE_ZNSN_ISO_Lb1ESQ_SR_ST_SU_SY_EESZ_S10_S11_S12_S16_S17_S18_S1B_S1C_jS1D_jS1E_S1E_jjS1G_bEUljE0_EEESZ_S10_S11_S18_S1C_S1E_T6_T7_T9_mT8_S1G_bDpT10_ENKUlT_T0_E_clISt17integral_constantIbLb0EES1U_EEDaS1P_S1Q_EUlS1P_E_NS1_11comp_targetILNS1_3genE2ELNS1_11target_archE906ELNS1_3gpuE6ELNS1_3repE0EEENS1_30default_config_static_selectorELNS0_4arch9wavefront6targetE0EEEvS12_,@function
_ZN7rocprim17ROCPRIM_400000_NS6detail17trampoline_kernelINS0_13select_configILj256ELj13ELNS0_17block_load_methodE3ELS4_3ELS4_3ELNS0_20block_scan_algorithmE0ELj4294967295EEENS1_25partition_config_selectorILNS1_17partition_subalgoE4EjNS0_10empty_typeEbEEZZNS1_14partition_implILS8_4ELb0ES6_15HIP_vector_typeIjLj2EENS0_17counting_iteratorIjlEEPS9_SG_NS0_5tupleIJPjSI_NS0_16reverse_iteratorISI_EEEEENSH_IJSG_SG_SG_EEES9_SI_JZNS1_25segmented_radix_sort_implINS0_14default_configELb1EPKfPfPKlPlN2at6native12_GLOBAL__N_18offset_tEEE10hipError_tPvRmT1_PNSt15iterator_traitsIS12_E10value_typeET2_T3_PNS13_IS18_E10value_typeET4_jRbjT5_S1E_jjP12ihipStream_tbEUljE_ZNSN_ISO_Lb1ESQ_SR_ST_SU_SY_EESZ_S10_S11_S12_S16_S17_S18_S1B_S1C_jS1D_jS1E_S1E_jjS1G_bEUljE0_EEESZ_S10_S11_S18_S1C_S1E_T6_T7_T9_mT8_S1G_bDpT10_ENKUlT_T0_E_clISt17integral_constantIbLb0EES1U_EEDaS1P_S1Q_EUlS1P_E_NS1_11comp_targetILNS1_3genE2ELNS1_11target_archE906ELNS1_3gpuE6ELNS1_3repE0EEENS1_30default_config_static_selectorELNS0_4arch9wavefront6targetE0EEEvS12_: ; @_ZN7rocprim17ROCPRIM_400000_NS6detail17trampoline_kernelINS0_13select_configILj256ELj13ELNS0_17block_load_methodE3ELS4_3ELS4_3ELNS0_20block_scan_algorithmE0ELj4294967295EEENS1_25partition_config_selectorILNS1_17partition_subalgoE4EjNS0_10empty_typeEbEEZZNS1_14partition_implILS8_4ELb0ES6_15HIP_vector_typeIjLj2EENS0_17counting_iteratorIjlEEPS9_SG_NS0_5tupleIJPjSI_NS0_16reverse_iteratorISI_EEEEENSH_IJSG_SG_SG_EEES9_SI_JZNS1_25segmented_radix_sort_implINS0_14default_configELb1EPKfPfPKlPlN2at6native12_GLOBAL__N_18offset_tEEE10hipError_tPvRmT1_PNSt15iterator_traitsIS12_E10value_typeET2_T3_PNS13_IS18_E10value_typeET4_jRbjT5_S1E_jjP12ihipStream_tbEUljE_ZNSN_ISO_Lb1ESQ_SR_ST_SU_SY_EESZ_S10_S11_S12_S16_S17_S18_S1B_S1C_jS1D_jS1E_S1E_jjS1G_bEUljE0_EEESZ_S10_S11_S18_S1C_S1E_T6_T7_T9_mT8_S1G_bDpT10_ENKUlT_T0_E_clISt17integral_constantIbLb0EES1U_EEDaS1P_S1Q_EUlS1P_E_NS1_11comp_targetILNS1_3genE2ELNS1_11target_archE906ELNS1_3gpuE6ELNS1_3repE0EEENS1_30default_config_static_selectorELNS0_4arch9wavefront6targetE0EEEvS12_
; %bb.0:
	.section	.rodata,"a",@progbits
	.p2align	6, 0x0
	.amdhsa_kernel _ZN7rocprim17ROCPRIM_400000_NS6detail17trampoline_kernelINS0_13select_configILj256ELj13ELNS0_17block_load_methodE3ELS4_3ELS4_3ELNS0_20block_scan_algorithmE0ELj4294967295EEENS1_25partition_config_selectorILNS1_17partition_subalgoE4EjNS0_10empty_typeEbEEZZNS1_14partition_implILS8_4ELb0ES6_15HIP_vector_typeIjLj2EENS0_17counting_iteratorIjlEEPS9_SG_NS0_5tupleIJPjSI_NS0_16reverse_iteratorISI_EEEEENSH_IJSG_SG_SG_EEES9_SI_JZNS1_25segmented_radix_sort_implINS0_14default_configELb1EPKfPfPKlPlN2at6native12_GLOBAL__N_18offset_tEEE10hipError_tPvRmT1_PNSt15iterator_traitsIS12_E10value_typeET2_T3_PNS13_IS18_E10value_typeET4_jRbjT5_S1E_jjP12ihipStream_tbEUljE_ZNSN_ISO_Lb1ESQ_SR_ST_SU_SY_EESZ_S10_S11_S12_S16_S17_S18_S1B_S1C_jS1D_jS1E_S1E_jjS1G_bEUljE0_EEESZ_S10_S11_S18_S1C_S1E_T6_T7_T9_mT8_S1G_bDpT10_ENKUlT_T0_E_clISt17integral_constantIbLb0EES1U_EEDaS1P_S1Q_EUlS1P_E_NS1_11comp_targetILNS1_3genE2ELNS1_11target_archE906ELNS1_3gpuE6ELNS1_3repE0EEENS1_30default_config_static_selectorELNS0_4arch9wavefront6targetE0EEEvS12_
		.amdhsa_group_segment_fixed_size 0
		.amdhsa_private_segment_fixed_size 0
		.amdhsa_kernarg_size 176
		.amdhsa_user_sgpr_count 2
		.amdhsa_user_sgpr_dispatch_ptr 0
		.amdhsa_user_sgpr_queue_ptr 0
		.amdhsa_user_sgpr_kernarg_segment_ptr 1
		.amdhsa_user_sgpr_dispatch_id 0
		.amdhsa_user_sgpr_kernarg_preload_length 0
		.amdhsa_user_sgpr_kernarg_preload_offset 0
		.amdhsa_user_sgpr_private_segment_size 0
		.amdhsa_wavefront_size32 1
		.amdhsa_uses_dynamic_stack 0
		.amdhsa_enable_private_segment 0
		.amdhsa_system_sgpr_workgroup_id_x 1
		.amdhsa_system_sgpr_workgroup_id_y 0
		.amdhsa_system_sgpr_workgroup_id_z 0
		.amdhsa_system_sgpr_workgroup_info 0
		.amdhsa_system_vgpr_workitem_id 0
		.amdhsa_next_free_vgpr 1
		.amdhsa_next_free_sgpr 1
		.amdhsa_named_barrier_count 0
		.amdhsa_reserve_vcc 0
		.amdhsa_float_round_mode_32 0
		.amdhsa_float_round_mode_16_64 0
		.amdhsa_float_denorm_mode_32 3
		.amdhsa_float_denorm_mode_16_64 3
		.amdhsa_fp16_overflow 0
		.amdhsa_memory_ordered 1
		.amdhsa_forward_progress 1
		.amdhsa_inst_pref_size 0
		.amdhsa_round_robin_scheduling 0
		.amdhsa_exception_fp_ieee_invalid_op 0
		.amdhsa_exception_fp_denorm_src 0
		.amdhsa_exception_fp_ieee_div_zero 0
		.amdhsa_exception_fp_ieee_overflow 0
		.amdhsa_exception_fp_ieee_underflow 0
		.amdhsa_exception_fp_ieee_inexact 0
		.amdhsa_exception_int_div_zero 0
	.end_amdhsa_kernel
	.section	.text._ZN7rocprim17ROCPRIM_400000_NS6detail17trampoline_kernelINS0_13select_configILj256ELj13ELNS0_17block_load_methodE3ELS4_3ELS4_3ELNS0_20block_scan_algorithmE0ELj4294967295EEENS1_25partition_config_selectorILNS1_17partition_subalgoE4EjNS0_10empty_typeEbEEZZNS1_14partition_implILS8_4ELb0ES6_15HIP_vector_typeIjLj2EENS0_17counting_iteratorIjlEEPS9_SG_NS0_5tupleIJPjSI_NS0_16reverse_iteratorISI_EEEEENSH_IJSG_SG_SG_EEES9_SI_JZNS1_25segmented_radix_sort_implINS0_14default_configELb1EPKfPfPKlPlN2at6native12_GLOBAL__N_18offset_tEEE10hipError_tPvRmT1_PNSt15iterator_traitsIS12_E10value_typeET2_T3_PNS13_IS18_E10value_typeET4_jRbjT5_S1E_jjP12ihipStream_tbEUljE_ZNSN_ISO_Lb1ESQ_SR_ST_SU_SY_EESZ_S10_S11_S12_S16_S17_S18_S1B_S1C_jS1D_jS1E_S1E_jjS1G_bEUljE0_EEESZ_S10_S11_S18_S1C_S1E_T6_T7_T9_mT8_S1G_bDpT10_ENKUlT_T0_E_clISt17integral_constantIbLb0EES1U_EEDaS1P_S1Q_EUlS1P_E_NS1_11comp_targetILNS1_3genE2ELNS1_11target_archE906ELNS1_3gpuE6ELNS1_3repE0EEENS1_30default_config_static_selectorELNS0_4arch9wavefront6targetE0EEEvS12_,"axG",@progbits,_ZN7rocprim17ROCPRIM_400000_NS6detail17trampoline_kernelINS0_13select_configILj256ELj13ELNS0_17block_load_methodE3ELS4_3ELS4_3ELNS0_20block_scan_algorithmE0ELj4294967295EEENS1_25partition_config_selectorILNS1_17partition_subalgoE4EjNS0_10empty_typeEbEEZZNS1_14partition_implILS8_4ELb0ES6_15HIP_vector_typeIjLj2EENS0_17counting_iteratorIjlEEPS9_SG_NS0_5tupleIJPjSI_NS0_16reverse_iteratorISI_EEEEENSH_IJSG_SG_SG_EEES9_SI_JZNS1_25segmented_radix_sort_implINS0_14default_configELb1EPKfPfPKlPlN2at6native12_GLOBAL__N_18offset_tEEE10hipError_tPvRmT1_PNSt15iterator_traitsIS12_E10value_typeET2_T3_PNS13_IS18_E10value_typeET4_jRbjT5_S1E_jjP12ihipStream_tbEUljE_ZNSN_ISO_Lb1ESQ_SR_ST_SU_SY_EESZ_S10_S11_S12_S16_S17_S18_S1B_S1C_jS1D_jS1E_S1E_jjS1G_bEUljE0_EEESZ_S10_S11_S18_S1C_S1E_T6_T7_T9_mT8_S1G_bDpT10_ENKUlT_T0_E_clISt17integral_constantIbLb0EES1U_EEDaS1P_S1Q_EUlS1P_E_NS1_11comp_targetILNS1_3genE2ELNS1_11target_archE906ELNS1_3gpuE6ELNS1_3repE0EEENS1_30default_config_static_selectorELNS0_4arch9wavefront6targetE0EEEvS12_,comdat
.Lfunc_end1259:
	.size	_ZN7rocprim17ROCPRIM_400000_NS6detail17trampoline_kernelINS0_13select_configILj256ELj13ELNS0_17block_load_methodE3ELS4_3ELS4_3ELNS0_20block_scan_algorithmE0ELj4294967295EEENS1_25partition_config_selectorILNS1_17partition_subalgoE4EjNS0_10empty_typeEbEEZZNS1_14partition_implILS8_4ELb0ES6_15HIP_vector_typeIjLj2EENS0_17counting_iteratorIjlEEPS9_SG_NS0_5tupleIJPjSI_NS0_16reverse_iteratorISI_EEEEENSH_IJSG_SG_SG_EEES9_SI_JZNS1_25segmented_radix_sort_implINS0_14default_configELb1EPKfPfPKlPlN2at6native12_GLOBAL__N_18offset_tEEE10hipError_tPvRmT1_PNSt15iterator_traitsIS12_E10value_typeET2_T3_PNS13_IS18_E10value_typeET4_jRbjT5_S1E_jjP12ihipStream_tbEUljE_ZNSN_ISO_Lb1ESQ_SR_ST_SU_SY_EESZ_S10_S11_S12_S16_S17_S18_S1B_S1C_jS1D_jS1E_S1E_jjS1G_bEUljE0_EEESZ_S10_S11_S18_S1C_S1E_T6_T7_T9_mT8_S1G_bDpT10_ENKUlT_T0_E_clISt17integral_constantIbLb0EES1U_EEDaS1P_S1Q_EUlS1P_E_NS1_11comp_targetILNS1_3genE2ELNS1_11target_archE906ELNS1_3gpuE6ELNS1_3repE0EEENS1_30default_config_static_selectorELNS0_4arch9wavefront6targetE0EEEvS12_, .Lfunc_end1259-_ZN7rocprim17ROCPRIM_400000_NS6detail17trampoline_kernelINS0_13select_configILj256ELj13ELNS0_17block_load_methodE3ELS4_3ELS4_3ELNS0_20block_scan_algorithmE0ELj4294967295EEENS1_25partition_config_selectorILNS1_17partition_subalgoE4EjNS0_10empty_typeEbEEZZNS1_14partition_implILS8_4ELb0ES6_15HIP_vector_typeIjLj2EENS0_17counting_iteratorIjlEEPS9_SG_NS0_5tupleIJPjSI_NS0_16reverse_iteratorISI_EEEEENSH_IJSG_SG_SG_EEES9_SI_JZNS1_25segmented_radix_sort_implINS0_14default_configELb1EPKfPfPKlPlN2at6native12_GLOBAL__N_18offset_tEEE10hipError_tPvRmT1_PNSt15iterator_traitsIS12_E10value_typeET2_T3_PNS13_IS18_E10value_typeET4_jRbjT5_S1E_jjP12ihipStream_tbEUljE_ZNSN_ISO_Lb1ESQ_SR_ST_SU_SY_EESZ_S10_S11_S12_S16_S17_S18_S1B_S1C_jS1D_jS1E_S1E_jjS1G_bEUljE0_EEESZ_S10_S11_S18_S1C_S1E_T6_T7_T9_mT8_S1G_bDpT10_ENKUlT_T0_E_clISt17integral_constantIbLb0EES1U_EEDaS1P_S1Q_EUlS1P_E_NS1_11comp_targetILNS1_3genE2ELNS1_11target_archE906ELNS1_3gpuE6ELNS1_3repE0EEENS1_30default_config_static_selectorELNS0_4arch9wavefront6targetE0EEEvS12_
                                        ; -- End function
	.set _ZN7rocprim17ROCPRIM_400000_NS6detail17trampoline_kernelINS0_13select_configILj256ELj13ELNS0_17block_load_methodE3ELS4_3ELS4_3ELNS0_20block_scan_algorithmE0ELj4294967295EEENS1_25partition_config_selectorILNS1_17partition_subalgoE4EjNS0_10empty_typeEbEEZZNS1_14partition_implILS8_4ELb0ES6_15HIP_vector_typeIjLj2EENS0_17counting_iteratorIjlEEPS9_SG_NS0_5tupleIJPjSI_NS0_16reverse_iteratorISI_EEEEENSH_IJSG_SG_SG_EEES9_SI_JZNS1_25segmented_radix_sort_implINS0_14default_configELb1EPKfPfPKlPlN2at6native12_GLOBAL__N_18offset_tEEE10hipError_tPvRmT1_PNSt15iterator_traitsIS12_E10value_typeET2_T3_PNS13_IS18_E10value_typeET4_jRbjT5_S1E_jjP12ihipStream_tbEUljE_ZNSN_ISO_Lb1ESQ_SR_ST_SU_SY_EESZ_S10_S11_S12_S16_S17_S18_S1B_S1C_jS1D_jS1E_S1E_jjS1G_bEUljE0_EEESZ_S10_S11_S18_S1C_S1E_T6_T7_T9_mT8_S1G_bDpT10_ENKUlT_T0_E_clISt17integral_constantIbLb0EES1U_EEDaS1P_S1Q_EUlS1P_E_NS1_11comp_targetILNS1_3genE2ELNS1_11target_archE906ELNS1_3gpuE6ELNS1_3repE0EEENS1_30default_config_static_selectorELNS0_4arch9wavefront6targetE0EEEvS12_.num_vgpr, 0
	.set _ZN7rocprim17ROCPRIM_400000_NS6detail17trampoline_kernelINS0_13select_configILj256ELj13ELNS0_17block_load_methodE3ELS4_3ELS4_3ELNS0_20block_scan_algorithmE0ELj4294967295EEENS1_25partition_config_selectorILNS1_17partition_subalgoE4EjNS0_10empty_typeEbEEZZNS1_14partition_implILS8_4ELb0ES6_15HIP_vector_typeIjLj2EENS0_17counting_iteratorIjlEEPS9_SG_NS0_5tupleIJPjSI_NS0_16reverse_iteratorISI_EEEEENSH_IJSG_SG_SG_EEES9_SI_JZNS1_25segmented_radix_sort_implINS0_14default_configELb1EPKfPfPKlPlN2at6native12_GLOBAL__N_18offset_tEEE10hipError_tPvRmT1_PNSt15iterator_traitsIS12_E10value_typeET2_T3_PNS13_IS18_E10value_typeET4_jRbjT5_S1E_jjP12ihipStream_tbEUljE_ZNSN_ISO_Lb1ESQ_SR_ST_SU_SY_EESZ_S10_S11_S12_S16_S17_S18_S1B_S1C_jS1D_jS1E_S1E_jjS1G_bEUljE0_EEESZ_S10_S11_S18_S1C_S1E_T6_T7_T9_mT8_S1G_bDpT10_ENKUlT_T0_E_clISt17integral_constantIbLb0EES1U_EEDaS1P_S1Q_EUlS1P_E_NS1_11comp_targetILNS1_3genE2ELNS1_11target_archE906ELNS1_3gpuE6ELNS1_3repE0EEENS1_30default_config_static_selectorELNS0_4arch9wavefront6targetE0EEEvS12_.num_agpr, 0
	.set _ZN7rocprim17ROCPRIM_400000_NS6detail17trampoline_kernelINS0_13select_configILj256ELj13ELNS0_17block_load_methodE3ELS4_3ELS4_3ELNS0_20block_scan_algorithmE0ELj4294967295EEENS1_25partition_config_selectorILNS1_17partition_subalgoE4EjNS0_10empty_typeEbEEZZNS1_14partition_implILS8_4ELb0ES6_15HIP_vector_typeIjLj2EENS0_17counting_iteratorIjlEEPS9_SG_NS0_5tupleIJPjSI_NS0_16reverse_iteratorISI_EEEEENSH_IJSG_SG_SG_EEES9_SI_JZNS1_25segmented_radix_sort_implINS0_14default_configELb1EPKfPfPKlPlN2at6native12_GLOBAL__N_18offset_tEEE10hipError_tPvRmT1_PNSt15iterator_traitsIS12_E10value_typeET2_T3_PNS13_IS18_E10value_typeET4_jRbjT5_S1E_jjP12ihipStream_tbEUljE_ZNSN_ISO_Lb1ESQ_SR_ST_SU_SY_EESZ_S10_S11_S12_S16_S17_S18_S1B_S1C_jS1D_jS1E_S1E_jjS1G_bEUljE0_EEESZ_S10_S11_S18_S1C_S1E_T6_T7_T9_mT8_S1G_bDpT10_ENKUlT_T0_E_clISt17integral_constantIbLb0EES1U_EEDaS1P_S1Q_EUlS1P_E_NS1_11comp_targetILNS1_3genE2ELNS1_11target_archE906ELNS1_3gpuE6ELNS1_3repE0EEENS1_30default_config_static_selectorELNS0_4arch9wavefront6targetE0EEEvS12_.numbered_sgpr, 0
	.set _ZN7rocprim17ROCPRIM_400000_NS6detail17trampoline_kernelINS0_13select_configILj256ELj13ELNS0_17block_load_methodE3ELS4_3ELS4_3ELNS0_20block_scan_algorithmE0ELj4294967295EEENS1_25partition_config_selectorILNS1_17partition_subalgoE4EjNS0_10empty_typeEbEEZZNS1_14partition_implILS8_4ELb0ES6_15HIP_vector_typeIjLj2EENS0_17counting_iteratorIjlEEPS9_SG_NS0_5tupleIJPjSI_NS0_16reverse_iteratorISI_EEEEENSH_IJSG_SG_SG_EEES9_SI_JZNS1_25segmented_radix_sort_implINS0_14default_configELb1EPKfPfPKlPlN2at6native12_GLOBAL__N_18offset_tEEE10hipError_tPvRmT1_PNSt15iterator_traitsIS12_E10value_typeET2_T3_PNS13_IS18_E10value_typeET4_jRbjT5_S1E_jjP12ihipStream_tbEUljE_ZNSN_ISO_Lb1ESQ_SR_ST_SU_SY_EESZ_S10_S11_S12_S16_S17_S18_S1B_S1C_jS1D_jS1E_S1E_jjS1G_bEUljE0_EEESZ_S10_S11_S18_S1C_S1E_T6_T7_T9_mT8_S1G_bDpT10_ENKUlT_T0_E_clISt17integral_constantIbLb0EES1U_EEDaS1P_S1Q_EUlS1P_E_NS1_11comp_targetILNS1_3genE2ELNS1_11target_archE906ELNS1_3gpuE6ELNS1_3repE0EEENS1_30default_config_static_selectorELNS0_4arch9wavefront6targetE0EEEvS12_.num_named_barrier, 0
	.set _ZN7rocprim17ROCPRIM_400000_NS6detail17trampoline_kernelINS0_13select_configILj256ELj13ELNS0_17block_load_methodE3ELS4_3ELS4_3ELNS0_20block_scan_algorithmE0ELj4294967295EEENS1_25partition_config_selectorILNS1_17partition_subalgoE4EjNS0_10empty_typeEbEEZZNS1_14partition_implILS8_4ELb0ES6_15HIP_vector_typeIjLj2EENS0_17counting_iteratorIjlEEPS9_SG_NS0_5tupleIJPjSI_NS0_16reverse_iteratorISI_EEEEENSH_IJSG_SG_SG_EEES9_SI_JZNS1_25segmented_radix_sort_implINS0_14default_configELb1EPKfPfPKlPlN2at6native12_GLOBAL__N_18offset_tEEE10hipError_tPvRmT1_PNSt15iterator_traitsIS12_E10value_typeET2_T3_PNS13_IS18_E10value_typeET4_jRbjT5_S1E_jjP12ihipStream_tbEUljE_ZNSN_ISO_Lb1ESQ_SR_ST_SU_SY_EESZ_S10_S11_S12_S16_S17_S18_S1B_S1C_jS1D_jS1E_S1E_jjS1G_bEUljE0_EEESZ_S10_S11_S18_S1C_S1E_T6_T7_T9_mT8_S1G_bDpT10_ENKUlT_T0_E_clISt17integral_constantIbLb0EES1U_EEDaS1P_S1Q_EUlS1P_E_NS1_11comp_targetILNS1_3genE2ELNS1_11target_archE906ELNS1_3gpuE6ELNS1_3repE0EEENS1_30default_config_static_selectorELNS0_4arch9wavefront6targetE0EEEvS12_.private_seg_size, 0
	.set _ZN7rocprim17ROCPRIM_400000_NS6detail17trampoline_kernelINS0_13select_configILj256ELj13ELNS0_17block_load_methodE3ELS4_3ELS4_3ELNS0_20block_scan_algorithmE0ELj4294967295EEENS1_25partition_config_selectorILNS1_17partition_subalgoE4EjNS0_10empty_typeEbEEZZNS1_14partition_implILS8_4ELb0ES6_15HIP_vector_typeIjLj2EENS0_17counting_iteratorIjlEEPS9_SG_NS0_5tupleIJPjSI_NS0_16reverse_iteratorISI_EEEEENSH_IJSG_SG_SG_EEES9_SI_JZNS1_25segmented_radix_sort_implINS0_14default_configELb1EPKfPfPKlPlN2at6native12_GLOBAL__N_18offset_tEEE10hipError_tPvRmT1_PNSt15iterator_traitsIS12_E10value_typeET2_T3_PNS13_IS18_E10value_typeET4_jRbjT5_S1E_jjP12ihipStream_tbEUljE_ZNSN_ISO_Lb1ESQ_SR_ST_SU_SY_EESZ_S10_S11_S12_S16_S17_S18_S1B_S1C_jS1D_jS1E_S1E_jjS1G_bEUljE0_EEESZ_S10_S11_S18_S1C_S1E_T6_T7_T9_mT8_S1G_bDpT10_ENKUlT_T0_E_clISt17integral_constantIbLb0EES1U_EEDaS1P_S1Q_EUlS1P_E_NS1_11comp_targetILNS1_3genE2ELNS1_11target_archE906ELNS1_3gpuE6ELNS1_3repE0EEENS1_30default_config_static_selectorELNS0_4arch9wavefront6targetE0EEEvS12_.uses_vcc, 0
	.set _ZN7rocprim17ROCPRIM_400000_NS6detail17trampoline_kernelINS0_13select_configILj256ELj13ELNS0_17block_load_methodE3ELS4_3ELS4_3ELNS0_20block_scan_algorithmE0ELj4294967295EEENS1_25partition_config_selectorILNS1_17partition_subalgoE4EjNS0_10empty_typeEbEEZZNS1_14partition_implILS8_4ELb0ES6_15HIP_vector_typeIjLj2EENS0_17counting_iteratorIjlEEPS9_SG_NS0_5tupleIJPjSI_NS0_16reverse_iteratorISI_EEEEENSH_IJSG_SG_SG_EEES9_SI_JZNS1_25segmented_radix_sort_implINS0_14default_configELb1EPKfPfPKlPlN2at6native12_GLOBAL__N_18offset_tEEE10hipError_tPvRmT1_PNSt15iterator_traitsIS12_E10value_typeET2_T3_PNS13_IS18_E10value_typeET4_jRbjT5_S1E_jjP12ihipStream_tbEUljE_ZNSN_ISO_Lb1ESQ_SR_ST_SU_SY_EESZ_S10_S11_S12_S16_S17_S18_S1B_S1C_jS1D_jS1E_S1E_jjS1G_bEUljE0_EEESZ_S10_S11_S18_S1C_S1E_T6_T7_T9_mT8_S1G_bDpT10_ENKUlT_T0_E_clISt17integral_constantIbLb0EES1U_EEDaS1P_S1Q_EUlS1P_E_NS1_11comp_targetILNS1_3genE2ELNS1_11target_archE906ELNS1_3gpuE6ELNS1_3repE0EEENS1_30default_config_static_selectorELNS0_4arch9wavefront6targetE0EEEvS12_.uses_flat_scratch, 0
	.set _ZN7rocprim17ROCPRIM_400000_NS6detail17trampoline_kernelINS0_13select_configILj256ELj13ELNS0_17block_load_methodE3ELS4_3ELS4_3ELNS0_20block_scan_algorithmE0ELj4294967295EEENS1_25partition_config_selectorILNS1_17partition_subalgoE4EjNS0_10empty_typeEbEEZZNS1_14partition_implILS8_4ELb0ES6_15HIP_vector_typeIjLj2EENS0_17counting_iteratorIjlEEPS9_SG_NS0_5tupleIJPjSI_NS0_16reverse_iteratorISI_EEEEENSH_IJSG_SG_SG_EEES9_SI_JZNS1_25segmented_radix_sort_implINS0_14default_configELb1EPKfPfPKlPlN2at6native12_GLOBAL__N_18offset_tEEE10hipError_tPvRmT1_PNSt15iterator_traitsIS12_E10value_typeET2_T3_PNS13_IS18_E10value_typeET4_jRbjT5_S1E_jjP12ihipStream_tbEUljE_ZNSN_ISO_Lb1ESQ_SR_ST_SU_SY_EESZ_S10_S11_S12_S16_S17_S18_S1B_S1C_jS1D_jS1E_S1E_jjS1G_bEUljE0_EEESZ_S10_S11_S18_S1C_S1E_T6_T7_T9_mT8_S1G_bDpT10_ENKUlT_T0_E_clISt17integral_constantIbLb0EES1U_EEDaS1P_S1Q_EUlS1P_E_NS1_11comp_targetILNS1_3genE2ELNS1_11target_archE906ELNS1_3gpuE6ELNS1_3repE0EEENS1_30default_config_static_selectorELNS0_4arch9wavefront6targetE0EEEvS12_.has_dyn_sized_stack, 0
	.set _ZN7rocprim17ROCPRIM_400000_NS6detail17trampoline_kernelINS0_13select_configILj256ELj13ELNS0_17block_load_methodE3ELS4_3ELS4_3ELNS0_20block_scan_algorithmE0ELj4294967295EEENS1_25partition_config_selectorILNS1_17partition_subalgoE4EjNS0_10empty_typeEbEEZZNS1_14partition_implILS8_4ELb0ES6_15HIP_vector_typeIjLj2EENS0_17counting_iteratorIjlEEPS9_SG_NS0_5tupleIJPjSI_NS0_16reverse_iteratorISI_EEEEENSH_IJSG_SG_SG_EEES9_SI_JZNS1_25segmented_radix_sort_implINS0_14default_configELb1EPKfPfPKlPlN2at6native12_GLOBAL__N_18offset_tEEE10hipError_tPvRmT1_PNSt15iterator_traitsIS12_E10value_typeET2_T3_PNS13_IS18_E10value_typeET4_jRbjT5_S1E_jjP12ihipStream_tbEUljE_ZNSN_ISO_Lb1ESQ_SR_ST_SU_SY_EESZ_S10_S11_S12_S16_S17_S18_S1B_S1C_jS1D_jS1E_S1E_jjS1G_bEUljE0_EEESZ_S10_S11_S18_S1C_S1E_T6_T7_T9_mT8_S1G_bDpT10_ENKUlT_T0_E_clISt17integral_constantIbLb0EES1U_EEDaS1P_S1Q_EUlS1P_E_NS1_11comp_targetILNS1_3genE2ELNS1_11target_archE906ELNS1_3gpuE6ELNS1_3repE0EEENS1_30default_config_static_selectorELNS0_4arch9wavefront6targetE0EEEvS12_.has_recursion, 0
	.set _ZN7rocprim17ROCPRIM_400000_NS6detail17trampoline_kernelINS0_13select_configILj256ELj13ELNS0_17block_load_methodE3ELS4_3ELS4_3ELNS0_20block_scan_algorithmE0ELj4294967295EEENS1_25partition_config_selectorILNS1_17partition_subalgoE4EjNS0_10empty_typeEbEEZZNS1_14partition_implILS8_4ELb0ES6_15HIP_vector_typeIjLj2EENS0_17counting_iteratorIjlEEPS9_SG_NS0_5tupleIJPjSI_NS0_16reverse_iteratorISI_EEEEENSH_IJSG_SG_SG_EEES9_SI_JZNS1_25segmented_radix_sort_implINS0_14default_configELb1EPKfPfPKlPlN2at6native12_GLOBAL__N_18offset_tEEE10hipError_tPvRmT1_PNSt15iterator_traitsIS12_E10value_typeET2_T3_PNS13_IS18_E10value_typeET4_jRbjT5_S1E_jjP12ihipStream_tbEUljE_ZNSN_ISO_Lb1ESQ_SR_ST_SU_SY_EESZ_S10_S11_S12_S16_S17_S18_S1B_S1C_jS1D_jS1E_S1E_jjS1G_bEUljE0_EEESZ_S10_S11_S18_S1C_S1E_T6_T7_T9_mT8_S1G_bDpT10_ENKUlT_T0_E_clISt17integral_constantIbLb0EES1U_EEDaS1P_S1Q_EUlS1P_E_NS1_11comp_targetILNS1_3genE2ELNS1_11target_archE906ELNS1_3gpuE6ELNS1_3repE0EEENS1_30default_config_static_selectorELNS0_4arch9wavefront6targetE0EEEvS12_.has_indirect_call, 0
	.section	.AMDGPU.csdata,"",@progbits
; Kernel info:
; codeLenInByte = 0
; TotalNumSgprs: 0
; NumVgprs: 0
; ScratchSize: 0
; MemoryBound: 0
; FloatMode: 240
; IeeeMode: 1
; LDSByteSize: 0 bytes/workgroup (compile time only)
; SGPRBlocks: 0
; VGPRBlocks: 0
; NumSGPRsForWavesPerEU: 1
; NumVGPRsForWavesPerEU: 1
; NamedBarCnt: 0
; Occupancy: 16
; WaveLimiterHint : 0
; COMPUTE_PGM_RSRC2:SCRATCH_EN: 0
; COMPUTE_PGM_RSRC2:USER_SGPR: 2
; COMPUTE_PGM_RSRC2:TRAP_HANDLER: 0
; COMPUTE_PGM_RSRC2:TGID_X_EN: 1
; COMPUTE_PGM_RSRC2:TGID_Y_EN: 0
; COMPUTE_PGM_RSRC2:TGID_Z_EN: 0
; COMPUTE_PGM_RSRC2:TIDIG_COMP_CNT: 0
	.section	.text._ZN7rocprim17ROCPRIM_400000_NS6detail17trampoline_kernelINS0_13select_configILj256ELj13ELNS0_17block_load_methodE3ELS4_3ELS4_3ELNS0_20block_scan_algorithmE0ELj4294967295EEENS1_25partition_config_selectorILNS1_17partition_subalgoE4EjNS0_10empty_typeEbEEZZNS1_14partition_implILS8_4ELb0ES6_15HIP_vector_typeIjLj2EENS0_17counting_iteratorIjlEEPS9_SG_NS0_5tupleIJPjSI_NS0_16reverse_iteratorISI_EEEEENSH_IJSG_SG_SG_EEES9_SI_JZNS1_25segmented_radix_sort_implINS0_14default_configELb1EPKfPfPKlPlN2at6native12_GLOBAL__N_18offset_tEEE10hipError_tPvRmT1_PNSt15iterator_traitsIS12_E10value_typeET2_T3_PNS13_IS18_E10value_typeET4_jRbjT5_S1E_jjP12ihipStream_tbEUljE_ZNSN_ISO_Lb1ESQ_SR_ST_SU_SY_EESZ_S10_S11_S12_S16_S17_S18_S1B_S1C_jS1D_jS1E_S1E_jjS1G_bEUljE0_EEESZ_S10_S11_S18_S1C_S1E_T6_T7_T9_mT8_S1G_bDpT10_ENKUlT_T0_E_clISt17integral_constantIbLb0EES1U_EEDaS1P_S1Q_EUlS1P_E_NS1_11comp_targetILNS1_3genE10ELNS1_11target_archE1200ELNS1_3gpuE4ELNS1_3repE0EEENS1_30default_config_static_selectorELNS0_4arch9wavefront6targetE0EEEvS12_,"axG",@progbits,_ZN7rocprim17ROCPRIM_400000_NS6detail17trampoline_kernelINS0_13select_configILj256ELj13ELNS0_17block_load_methodE3ELS4_3ELS4_3ELNS0_20block_scan_algorithmE0ELj4294967295EEENS1_25partition_config_selectorILNS1_17partition_subalgoE4EjNS0_10empty_typeEbEEZZNS1_14partition_implILS8_4ELb0ES6_15HIP_vector_typeIjLj2EENS0_17counting_iteratorIjlEEPS9_SG_NS0_5tupleIJPjSI_NS0_16reverse_iteratorISI_EEEEENSH_IJSG_SG_SG_EEES9_SI_JZNS1_25segmented_radix_sort_implINS0_14default_configELb1EPKfPfPKlPlN2at6native12_GLOBAL__N_18offset_tEEE10hipError_tPvRmT1_PNSt15iterator_traitsIS12_E10value_typeET2_T3_PNS13_IS18_E10value_typeET4_jRbjT5_S1E_jjP12ihipStream_tbEUljE_ZNSN_ISO_Lb1ESQ_SR_ST_SU_SY_EESZ_S10_S11_S12_S16_S17_S18_S1B_S1C_jS1D_jS1E_S1E_jjS1G_bEUljE0_EEESZ_S10_S11_S18_S1C_S1E_T6_T7_T9_mT8_S1G_bDpT10_ENKUlT_T0_E_clISt17integral_constantIbLb0EES1U_EEDaS1P_S1Q_EUlS1P_E_NS1_11comp_targetILNS1_3genE10ELNS1_11target_archE1200ELNS1_3gpuE4ELNS1_3repE0EEENS1_30default_config_static_selectorELNS0_4arch9wavefront6targetE0EEEvS12_,comdat
	.globl	_ZN7rocprim17ROCPRIM_400000_NS6detail17trampoline_kernelINS0_13select_configILj256ELj13ELNS0_17block_load_methodE3ELS4_3ELS4_3ELNS0_20block_scan_algorithmE0ELj4294967295EEENS1_25partition_config_selectorILNS1_17partition_subalgoE4EjNS0_10empty_typeEbEEZZNS1_14partition_implILS8_4ELb0ES6_15HIP_vector_typeIjLj2EENS0_17counting_iteratorIjlEEPS9_SG_NS0_5tupleIJPjSI_NS0_16reverse_iteratorISI_EEEEENSH_IJSG_SG_SG_EEES9_SI_JZNS1_25segmented_radix_sort_implINS0_14default_configELb1EPKfPfPKlPlN2at6native12_GLOBAL__N_18offset_tEEE10hipError_tPvRmT1_PNSt15iterator_traitsIS12_E10value_typeET2_T3_PNS13_IS18_E10value_typeET4_jRbjT5_S1E_jjP12ihipStream_tbEUljE_ZNSN_ISO_Lb1ESQ_SR_ST_SU_SY_EESZ_S10_S11_S12_S16_S17_S18_S1B_S1C_jS1D_jS1E_S1E_jjS1G_bEUljE0_EEESZ_S10_S11_S18_S1C_S1E_T6_T7_T9_mT8_S1G_bDpT10_ENKUlT_T0_E_clISt17integral_constantIbLb0EES1U_EEDaS1P_S1Q_EUlS1P_E_NS1_11comp_targetILNS1_3genE10ELNS1_11target_archE1200ELNS1_3gpuE4ELNS1_3repE0EEENS1_30default_config_static_selectorELNS0_4arch9wavefront6targetE0EEEvS12_ ; -- Begin function _ZN7rocprim17ROCPRIM_400000_NS6detail17trampoline_kernelINS0_13select_configILj256ELj13ELNS0_17block_load_methodE3ELS4_3ELS4_3ELNS0_20block_scan_algorithmE0ELj4294967295EEENS1_25partition_config_selectorILNS1_17partition_subalgoE4EjNS0_10empty_typeEbEEZZNS1_14partition_implILS8_4ELb0ES6_15HIP_vector_typeIjLj2EENS0_17counting_iteratorIjlEEPS9_SG_NS0_5tupleIJPjSI_NS0_16reverse_iteratorISI_EEEEENSH_IJSG_SG_SG_EEES9_SI_JZNS1_25segmented_radix_sort_implINS0_14default_configELb1EPKfPfPKlPlN2at6native12_GLOBAL__N_18offset_tEEE10hipError_tPvRmT1_PNSt15iterator_traitsIS12_E10value_typeET2_T3_PNS13_IS18_E10value_typeET4_jRbjT5_S1E_jjP12ihipStream_tbEUljE_ZNSN_ISO_Lb1ESQ_SR_ST_SU_SY_EESZ_S10_S11_S12_S16_S17_S18_S1B_S1C_jS1D_jS1E_S1E_jjS1G_bEUljE0_EEESZ_S10_S11_S18_S1C_S1E_T6_T7_T9_mT8_S1G_bDpT10_ENKUlT_T0_E_clISt17integral_constantIbLb0EES1U_EEDaS1P_S1Q_EUlS1P_E_NS1_11comp_targetILNS1_3genE10ELNS1_11target_archE1200ELNS1_3gpuE4ELNS1_3repE0EEENS1_30default_config_static_selectorELNS0_4arch9wavefront6targetE0EEEvS12_
	.p2align	8
	.type	_ZN7rocprim17ROCPRIM_400000_NS6detail17trampoline_kernelINS0_13select_configILj256ELj13ELNS0_17block_load_methodE3ELS4_3ELS4_3ELNS0_20block_scan_algorithmE0ELj4294967295EEENS1_25partition_config_selectorILNS1_17partition_subalgoE4EjNS0_10empty_typeEbEEZZNS1_14partition_implILS8_4ELb0ES6_15HIP_vector_typeIjLj2EENS0_17counting_iteratorIjlEEPS9_SG_NS0_5tupleIJPjSI_NS0_16reverse_iteratorISI_EEEEENSH_IJSG_SG_SG_EEES9_SI_JZNS1_25segmented_radix_sort_implINS0_14default_configELb1EPKfPfPKlPlN2at6native12_GLOBAL__N_18offset_tEEE10hipError_tPvRmT1_PNSt15iterator_traitsIS12_E10value_typeET2_T3_PNS13_IS18_E10value_typeET4_jRbjT5_S1E_jjP12ihipStream_tbEUljE_ZNSN_ISO_Lb1ESQ_SR_ST_SU_SY_EESZ_S10_S11_S12_S16_S17_S18_S1B_S1C_jS1D_jS1E_S1E_jjS1G_bEUljE0_EEESZ_S10_S11_S18_S1C_S1E_T6_T7_T9_mT8_S1G_bDpT10_ENKUlT_T0_E_clISt17integral_constantIbLb0EES1U_EEDaS1P_S1Q_EUlS1P_E_NS1_11comp_targetILNS1_3genE10ELNS1_11target_archE1200ELNS1_3gpuE4ELNS1_3repE0EEENS1_30default_config_static_selectorELNS0_4arch9wavefront6targetE0EEEvS12_,@function
_ZN7rocprim17ROCPRIM_400000_NS6detail17trampoline_kernelINS0_13select_configILj256ELj13ELNS0_17block_load_methodE3ELS4_3ELS4_3ELNS0_20block_scan_algorithmE0ELj4294967295EEENS1_25partition_config_selectorILNS1_17partition_subalgoE4EjNS0_10empty_typeEbEEZZNS1_14partition_implILS8_4ELb0ES6_15HIP_vector_typeIjLj2EENS0_17counting_iteratorIjlEEPS9_SG_NS0_5tupleIJPjSI_NS0_16reverse_iteratorISI_EEEEENSH_IJSG_SG_SG_EEES9_SI_JZNS1_25segmented_radix_sort_implINS0_14default_configELb1EPKfPfPKlPlN2at6native12_GLOBAL__N_18offset_tEEE10hipError_tPvRmT1_PNSt15iterator_traitsIS12_E10value_typeET2_T3_PNS13_IS18_E10value_typeET4_jRbjT5_S1E_jjP12ihipStream_tbEUljE_ZNSN_ISO_Lb1ESQ_SR_ST_SU_SY_EESZ_S10_S11_S12_S16_S17_S18_S1B_S1C_jS1D_jS1E_S1E_jjS1G_bEUljE0_EEESZ_S10_S11_S18_S1C_S1E_T6_T7_T9_mT8_S1G_bDpT10_ENKUlT_T0_E_clISt17integral_constantIbLb0EES1U_EEDaS1P_S1Q_EUlS1P_E_NS1_11comp_targetILNS1_3genE10ELNS1_11target_archE1200ELNS1_3gpuE4ELNS1_3repE0EEENS1_30default_config_static_selectorELNS0_4arch9wavefront6targetE0EEEvS12_: ; @_ZN7rocprim17ROCPRIM_400000_NS6detail17trampoline_kernelINS0_13select_configILj256ELj13ELNS0_17block_load_methodE3ELS4_3ELS4_3ELNS0_20block_scan_algorithmE0ELj4294967295EEENS1_25partition_config_selectorILNS1_17partition_subalgoE4EjNS0_10empty_typeEbEEZZNS1_14partition_implILS8_4ELb0ES6_15HIP_vector_typeIjLj2EENS0_17counting_iteratorIjlEEPS9_SG_NS0_5tupleIJPjSI_NS0_16reverse_iteratorISI_EEEEENSH_IJSG_SG_SG_EEES9_SI_JZNS1_25segmented_radix_sort_implINS0_14default_configELb1EPKfPfPKlPlN2at6native12_GLOBAL__N_18offset_tEEE10hipError_tPvRmT1_PNSt15iterator_traitsIS12_E10value_typeET2_T3_PNS13_IS18_E10value_typeET4_jRbjT5_S1E_jjP12ihipStream_tbEUljE_ZNSN_ISO_Lb1ESQ_SR_ST_SU_SY_EESZ_S10_S11_S12_S16_S17_S18_S1B_S1C_jS1D_jS1E_S1E_jjS1G_bEUljE0_EEESZ_S10_S11_S18_S1C_S1E_T6_T7_T9_mT8_S1G_bDpT10_ENKUlT_T0_E_clISt17integral_constantIbLb0EES1U_EEDaS1P_S1Q_EUlS1P_E_NS1_11comp_targetILNS1_3genE10ELNS1_11target_archE1200ELNS1_3gpuE4ELNS1_3repE0EEENS1_30default_config_static_selectorELNS0_4arch9wavefront6targetE0EEEvS12_
; %bb.0:
	.section	.rodata,"a",@progbits
	.p2align	6, 0x0
	.amdhsa_kernel _ZN7rocprim17ROCPRIM_400000_NS6detail17trampoline_kernelINS0_13select_configILj256ELj13ELNS0_17block_load_methodE3ELS4_3ELS4_3ELNS0_20block_scan_algorithmE0ELj4294967295EEENS1_25partition_config_selectorILNS1_17partition_subalgoE4EjNS0_10empty_typeEbEEZZNS1_14partition_implILS8_4ELb0ES6_15HIP_vector_typeIjLj2EENS0_17counting_iteratorIjlEEPS9_SG_NS0_5tupleIJPjSI_NS0_16reverse_iteratorISI_EEEEENSH_IJSG_SG_SG_EEES9_SI_JZNS1_25segmented_radix_sort_implINS0_14default_configELb1EPKfPfPKlPlN2at6native12_GLOBAL__N_18offset_tEEE10hipError_tPvRmT1_PNSt15iterator_traitsIS12_E10value_typeET2_T3_PNS13_IS18_E10value_typeET4_jRbjT5_S1E_jjP12ihipStream_tbEUljE_ZNSN_ISO_Lb1ESQ_SR_ST_SU_SY_EESZ_S10_S11_S12_S16_S17_S18_S1B_S1C_jS1D_jS1E_S1E_jjS1G_bEUljE0_EEESZ_S10_S11_S18_S1C_S1E_T6_T7_T9_mT8_S1G_bDpT10_ENKUlT_T0_E_clISt17integral_constantIbLb0EES1U_EEDaS1P_S1Q_EUlS1P_E_NS1_11comp_targetILNS1_3genE10ELNS1_11target_archE1200ELNS1_3gpuE4ELNS1_3repE0EEENS1_30default_config_static_selectorELNS0_4arch9wavefront6targetE0EEEvS12_
		.amdhsa_group_segment_fixed_size 0
		.amdhsa_private_segment_fixed_size 0
		.amdhsa_kernarg_size 176
		.amdhsa_user_sgpr_count 2
		.amdhsa_user_sgpr_dispatch_ptr 0
		.amdhsa_user_sgpr_queue_ptr 0
		.amdhsa_user_sgpr_kernarg_segment_ptr 1
		.amdhsa_user_sgpr_dispatch_id 0
		.amdhsa_user_sgpr_kernarg_preload_length 0
		.amdhsa_user_sgpr_kernarg_preload_offset 0
		.amdhsa_user_sgpr_private_segment_size 0
		.amdhsa_wavefront_size32 1
		.amdhsa_uses_dynamic_stack 0
		.amdhsa_enable_private_segment 0
		.amdhsa_system_sgpr_workgroup_id_x 1
		.amdhsa_system_sgpr_workgroup_id_y 0
		.amdhsa_system_sgpr_workgroup_id_z 0
		.amdhsa_system_sgpr_workgroup_info 0
		.amdhsa_system_vgpr_workitem_id 0
		.amdhsa_next_free_vgpr 1
		.amdhsa_next_free_sgpr 1
		.amdhsa_named_barrier_count 0
		.amdhsa_reserve_vcc 0
		.amdhsa_float_round_mode_32 0
		.amdhsa_float_round_mode_16_64 0
		.amdhsa_float_denorm_mode_32 3
		.amdhsa_float_denorm_mode_16_64 3
		.amdhsa_fp16_overflow 0
		.amdhsa_memory_ordered 1
		.amdhsa_forward_progress 1
		.amdhsa_inst_pref_size 0
		.amdhsa_round_robin_scheduling 0
		.amdhsa_exception_fp_ieee_invalid_op 0
		.amdhsa_exception_fp_denorm_src 0
		.amdhsa_exception_fp_ieee_div_zero 0
		.amdhsa_exception_fp_ieee_overflow 0
		.amdhsa_exception_fp_ieee_underflow 0
		.amdhsa_exception_fp_ieee_inexact 0
		.amdhsa_exception_int_div_zero 0
	.end_amdhsa_kernel
	.section	.text._ZN7rocprim17ROCPRIM_400000_NS6detail17trampoline_kernelINS0_13select_configILj256ELj13ELNS0_17block_load_methodE3ELS4_3ELS4_3ELNS0_20block_scan_algorithmE0ELj4294967295EEENS1_25partition_config_selectorILNS1_17partition_subalgoE4EjNS0_10empty_typeEbEEZZNS1_14partition_implILS8_4ELb0ES6_15HIP_vector_typeIjLj2EENS0_17counting_iteratorIjlEEPS9_SG_NS0_5tupleIJPjSI_NS0_16reverse_iteratorISI_EEEEENSH_IJSG_SG_SG_EEES9_SI_JZNS1_25segmented_radix_sort_implINS0_14default_configELb1EPKfPfPKlPlN2at6native12_GLOBAL__N_18offset_tEEE10hipError_tPvRmT1_PNSt15iterator_traitsIS12_E10value_typeET2_T3_PNS13_IS18_E10value_typeET4_jRbjT5_S1E_jjP12ihipStream_tbEUljE_ZNSN_ISO_Lb1ESQ_SR_ST_SU_SY_EESZ_S10_S11_S12_S16_S17_S18_S1B_S1C_jS1D_jS1E_S1E_jjS1G_bEUljE0_EEESZ_S10_S11_S18_S1C_S1E_T6_T7_T9_mT8_S1G_bDpT10_ENKUlT_T0_E_clISt17integral_constantIbLb0EES1U_EEDaS1P_S1Q_EUlS1P_E_NS1_11comp_targetILNS1_3genE10ELNS1_11target_archE1200ELNS1_3gpuE4ELNS1_3repE0EEENS1_30default_config_static_selectorELNS0_4arch9wavefront6targetE0EEEvS12_,"axG",@progbits,_ZN7rocprim17ROCPRIM_400000_NS6detail17trampoline_kernelINS0_13select_configILj256ELj13ELNS0_17block_load_methodE3ELS4_3ELS4_3ELNS0_20block_scan_algorithmE0ELj4294967295EEENS1_25partition_config_selectorILNS1_17partition_subalgoE4EjNS0_10empty_typeEbEEZZNS1_14partition_implILS8_4ELb0ES6_15HIP_vector_typeIjLj2EENS0_17counting_iteratorIjlEEPS9_SG_NS0_5tupleIJPjSI_NS0_16reverse_iteratorISI_EEEEENSH_IJSG_SG_SG_EEES9_SI_JZNS1_25segmented_radix_sort_implINS0_14default_configELb1EPKfPfPKlPlN2at6native12_GLOBAL__N_18offset_tEEE10hipError_tPvRmT1_PNSt15iterator_traitsIS12_E10value_typeET2_T3_PNS13_IS18_E10value_typeET4_jRbjT5_S1E_jjP12ihipStream_tbEUljE_ZNSN_ISO_Lb1ESQ_SR_ST_SU_SY_EESZ_S10_S11_S12_S16_S17_S18_S1B_S1C_jS1D_jS1E_S1E_jjS1G_bEUljE0_EEESZ_S10_S11_S18_S1C_S1E_T6_T7_T9_mT8_S1G_bDpT10_ENKUlT_T0_E_clISt17integral_constantIbLb0EES1U_EEDaS1P_S1Q_EUlS1P_E_NS1_11comp_targetILNS1_3genE10ELNS1_11target_archE1200ELNS1_3gpuE4ELNS1_3repE0EEENS1_30default_config_static_selectorELNS0_4arch9wavefront6targetE0EEEvS12_,comdat
.Lfunc_end1260:
	.size	_ZN7rocprim17ROCPRIM_400000_NS6detail17trampoline_kernelINS0_13select_configILj256ELj13ELNS0_17block_load_methodE3ELS4_3ELS4_3ELNS0_20block_scan_algorithmE0ELj4294967295EEENS1_25partition_config_selectorILNS1_17partition_subalgoE4EjNS0_10empty_typeEbEEZZNS1_14partition_implILS8_4ELb0ES6_15HIP_vector_typeIjLj2EENS0_17counting_iteratorIjlEEPS9_SG_NS0_5tupleIJPjSI_NS0_16reverse_iteratorISI_EEEEENSH_IJSG_SG_SG_EEES9_SI_JZNS1_25segmented_radix_sort_implINS0_14default_configELb1EPKfPfPKlPlN2at6native12_GLOBAL__N_18offset_tEEE10hipError_tPvRmT1_PNSt15iterator_traitsIS12_E10value_typeET2_T3_PNS13_IS18_E10value_typeET4_jRbjT5_S1E_jjP12ihipStream_tbEUljE_ZNSN_ISO_Lb1ESQ_SR_ST_SU_SY_EESZ_S10_S11_S12_S16_S17_S18_S1B_S1C_jS1D_jS1E_S1E_jjS1G_bEUljE0_EEESZ_S10_S11_S18_S1C_S1E_T6_T7_T9_mT8_S1G_bDpT10_ENKUlT_T0_E_clISt17integral_constantIbLb0EES1U_EEDaS1P_S1Q_EUlS1P_E_NS1_11comp_targetILNS1_3genE10ELNS1_11target_archE1200ELNS1_3gpuE4ELNS1_3repE0EEENS1_30default_config_static_selectorELNS0_4arch9wavefront6targetE0EEEvS12_, .Lfunc_end1260-_ZN7rocprim17ROCPRIM_400000_NS6detail17trampoline_kernelINS0_13select_configILj256ELj13ELNS0_17block_load_methodE3ELS4_3ELS4_3ELNS0_20block_scan_algorithmE0ELj4294967295EEENS1_25partition_config_selectorILNS1_17partition_subalgoE4EjNS0_10empty_typeEbEEZZNS1_14partition_implILS8_4ELb0ES6_15HIP_vector_typeIjLj2EENS0_17counting_iteratorIjlEEPS9_SG_NS0_5tupleIJPjSI_NS0_16reverse_iteratorISI_EEEEENSH_IJSG_SG_SG_EEES9_SI_JZNS1_25segmented_radix_sort_implINS0_14default_configELb1EPKfPfPKlPlN2at6native12_GLOBAL__N_18offset_tEEE10hipError_tPvRmT1_PNSt15iterator_traitsIS12_E10value_typeET2_T3_PNS13_IS18_E10value_typeET4_jRbjT5_S1E_jjP12ihipStream_tbEUljE_ZNSN_ISO_Lb1ESQ_SR_ST_SU_SY_EESZ_S10_S11_S12_S16_S17_S18_S1B_S1C_jS1D_jS1E_S1E_jjS1G_bEUljE0_EEESZ_S10_S11_S18_S1C_S1E_T6_T7_T9_mT8_S1G_bDpT10_ENKUlT_T0_E_clISt17integral_constantIbLb0EES1U_EEDaS1P_S1Q_EUlS1P_E_NS1_11comp_targetILNS1_3genE10ELNS1_11target_archE1200ELNS1_3gpuE4ELNS1_3repE0EEENS1_30default_config_static_selectorELNS0_4arch9wavefront6targetE0EEEvS12_
                                        ; -- End function
	.set _ZN7rocprim17ROCPRIM_400000_NS6detail17trampoline_kernelINS0_13select_configILj256ELj13ELNS0_17block_load_methodE3ELS4_3ELS4_3ELNS0_20block_scan_algorithmE0ELj4294967295EEENS1_25partition_config_selectorILNS1_17partition_subalgoE4EjNS0_10empty_typeEbEEZZNS1_14partition_implILS8_4ELb0ES6_15HIP_vector_typeIjLj2EENS0_17counting_iteratorIjlEEPS9_SG_NS0_5tupleIJPjSI_NS0_16reverse_iteratorISI_EEEEENSH_IJSG_SG_SG_EEES9_SI_JZNS1_25segmented_radix_sort_implINS0_14default_configELb1EPKfPfPKlPlN2at6native12_GLOBAL__N_18offset_tEEE10hipError_tPvRmT1_PNSt15iterator_traitsIS12_E10value_typeET2_T3_PNS13_IS18_E10value_typeET4_jRbjT5_S1E_jjP12ihipStream_tbEUljE_ZNSN_ISO_Lb1ESQ_SR_ST_SU_SY_EESZ_S10_S11_S12_S16_S17_S18_S1B_S1C_jS1D_jS1E_S1E_jjS1G_bEUljE0_EEESZ_S10_S11_S18_S1C_S1E_T6_T7_T9_mT8_S1G_bDpT10_ENKUlT_T0_E_clISt17integral_constantIbLb0EES1U_EEDaS1P_S1Q_EUlS1P_E_NS1_11comp_targetILNS1_3genE10ELNS1_11target_archE1200ELNS1_3gpuE4ELNS1_3repE0EEENS1_30default_config_static_selectorELNS0_4arch9wavefront6targetE0EEEvS12_.num_vgpr, 0
	.set _ZN7rocprim17ROCPRIM_400000_NS6detail17trampoline_kernelINS0_13select_configILj256ELj13ELNS0_17block_load_methodE3ELS4_3ELS4_3ELNS0_20block_scan_algorithmE0ELj4294967295EEENS1_25partition_config_selectorILNS1_17partition_subalgoE4EjNS0_10empty_typeEbEEZZNS1_14partition_implILS8_4ELb0ES6_15HIP_vector_typeIjLj2EENS0_17counting_iteratorIjlEEPS9_SG_NS0_5tupleIJPjSI_NS0_16reverse_iteratorISI_EEEEENSH_IJSG_SG_SG_EEES9_SI_JZNS1_25segmented_radix_sort_implINS0_14default_configELb1EPKfPfPKlPlN2at6native12_GLOBAL__N_18offset_tEEE10hipError_tPvRmT1_PNSt15iterator_traitsIS12_E10value_typeET2_T3_PNS13_IS18_E10value_typeET4_jRbjT5_S1E_jjP12ihipStream_tbEUljE_ZNSN_ISO_Lb1ESQ_SR_ST_SU_SY_EESZ_S10_S11_S12_S16_S17_S18_S1B_S1C_jS1D_jS1E_S1E_jjS1G_bEUljE0_EEESZ_S10_S11_S18_S1C_S1E_T6_T7_T9_mT8_S1G_bDpT10_ENKUlT_T0_E_clISt17integral_constantIbLb0EES1U_EEDaS1P_S1Q_EUlS1P_E_NS1_11comp_targetILNS1_3genE10ELNS1_11target_archE1200ELNS1_3gpuE4ELNS1_3repE0EEENS1_30default_config_static_selectorELNS0_4arch9wavefront6targetE0EEEvS12_.num_agpr, 0
	.set _ZN7rocprim17ROCPRIM_400000_NS6detail17trampoline_kernelINS0_13select_configILj256ELj13ELNS0_17block_load_methodE3ELS4_3ELS4_3ELNS0_20block_scan_algorithmE0ELj4294967295EEENS1_25partition_config_selectorILNS1_17partition_subalgoE4EjNS0_10empty_typeEbEEZZNS1_14partition_implILS8_4ELb0ES6_15HIP_vector_typeIjLj2EENS0_17counting_iteratorIjlEEPS9_SG_NS0_5tupleIJPjSI_NS0_16reverse_iteratorISI_EEEEENSH_IJSG_SG_SG_EEES9_SI_JZNS1_25segmented_radix_sort_implINS0_14default_configELb1EPKfPfPKlPlN2at6native12_GLOBAL__N_18offset_tEEE10hipError_tPvRmT1_PNSt15iterator_traitsIS12_E10value_typeET2_T3_PNS13_IS18_E10value_typeET4_jRbjT5_S1E_jjP12ihipStream_tbEUljE_ZNSN_ISO_Lb1ESQ_SR_ST_SU_SY_EESZ_S10_S11_S12_S16_S17_S18_S1B_S1C_jS1D_jS1E_S1E_jjS1G_bEUljE0_EEESZ_S10_S11_S18_S1C_S1E_T6_T7_T9_mT8_S1G_bDpT10_ENKUlT_T0_E_clISt17integral_constantIbLb0EES1U_EEDaS1P_S1Q_EUlS1P_E_NS1_11comp_targetILNS1_3genE10ELNS1_11target_archE1200ELNS1_3gpuE4ELNS1_3repE0EEENS1_30default_config_static_selectorELNS0_4arch9wavefront6targetE0EEEvS12_.numbered_sgpr, 0
	.set _ZN7rocprim17ROCPRIM_400000_NS6detail17trampoline_kernelINS0_13select_configILj256ELj13ELNS0_17block_load_methodE3ELS4_3ELS4_3ELNS0_20block_scan_algorithmE0ELj4294967295EEENS1_25partition_config_selectorILNS1_17partition_subalgoE4EjNS0_10empty_typeEbEEZZNS1_14partition_implILS8_4ELb0ES6_15HIP_vector_typeIjLj2EENS0_17counting_iteratorIjlEEPS9_SG_NS0_5tupleIJPjSI_NS0_16reverse_iteratorISI_EEEEENSH_IJSG_SG_SG_EEES9_SI_JZNS1_25segmented_radix_sort_implINS0_14default_configELb1EPKfPfPKlPlN2at6native12_GLOBAL__N_18offset_tEEE10hipError_tPvRmT1_PNSt15iterator_traitsIS12_E10value_typeET2_T3_PNS13_IS18_E10value_typeET4_jRbjT5_S1E_jjP12ihipStream_tbEUljE_ZNSN_ISO_Lb1ESQ_SR_ST_SU_SY_EESZ_S10_S11_S12_S16_S17_S18_S1B_S1C_jS1D_jS1E_S1E_jjS1G_bEUljE0_EEESZ_S10_S11_S18_S1C_S1E_T6_T7_T9_mT8_S1G_bDpT10_ENKUlT_T0_E_clISt17integral_constantIbLb0EES1U_EEDaS1P_S1Q_EUlS1P_E_NS1_11comp_targetILNS1_3genE10ELNS1_11target_archE1200ELNS1_3gpuE4ELNS1_3repE0EEENS1_30default_config_static_selectorELNS0_4arch9wavefront6targetE0EEEvS12_.num_named_barrier, 0
	.set _ZN7rocprim17ROCPRIM_400000_NS6detail17trampoline_kernelINS0_13select_configILj256ELj13ELNS0_17block_load_methodE3ELS4_3ELS4_3ELNS0_20block_scan_algorithmE0ELj4294967295EEENS1_25partition_config_selectorILNS1_17partition_subalgoE4EjNS0_10empty_typeEbEEZZNS1_14partition_implILS8_4ELb0ES6_15HIP_vector_typeIjLj2EENS0_17counting_iteratorIjlEEPS9_SG_NS0_5tupleIJPjSI_NS0_16reverse_iteratorISI_EEEEENSH_IJSG_SG_SG_EEES9_SI_JZNS1_25segmented_radix_sort_implINS0_14default_configELb1EPKfPfPKlPlN2at6native12_GLOBAL__N_18offset_tEEE10hipError_tPvRmT1_PNSt15iterator_traitsIS12_E10value_typeET2_T3_PNS13_IS18_E10value_typeET4_jRbjT5_S1E_jjP12ihipStream_tbEUljE_ZNSN_ISO_Lb1ESQ_SR_ST_SU_SY_EESZ_S10_S11_S12_S16_S17_S18_S1B_S1C_jS1D_jS1E_S1E_jjS1G_bEUljE0_EEESZ_S10_S11_S18_S1C_S1E_T6_T7_T9_mT8_S1G_bDpT10_ENKUlT_T0_E_clISt17integral_constantIbLb0EES1U_EEDaS1P_S1Q_EUlS1P_E_NS1_11comp_targetILNS1_3genE10ELNS1_11target_archE1200ELNS1_3gpuE4ELNS1_3repE0EEENS1_30default_config_static_selectorELNS0_4arch9wavefront6targetE0EEEvS12_.private_seg_size, 0
	.set _ZN7rocprim17ROCPRIM_400000_NS6detail17trampoline_kernelINS0_13select_configILj256ELj13ELNS0_17block_load_methodE3ELS4_3ELS4_3ELNS0_20block_scan_algorithmE0ELj4294967295EEENS1_25partition_config_selectorILNS1_17partition_subalgoE4EjNS0_10empty_typeEbEEZZNS1_14partition_implILS8_4ELb0ES6_15HIP_vector_typeIjLj2EENS0_17counting_iteratorIjlEEPS9_SG_NS0_5tupleIJPjSI_NS0_16reverse_iteratorISI_EEEEENSH_IJSG_SG_SG_EEES9_SI_JZNS1_25segmented_radix_sort_implINS0_14default_configELb1EPKfPfPKlPlN2at6native12_GLOBAL__N_18offset_tEEE10hipError_tPvRmT1_PNSt15iterator_traitsIS12_E10value_typeET2_T3_PNS13_IS18_E10value_typeET4_jRbjT5_S1E_jjP12ihipStream_tbEUljE_ZNSN_ISO_Lb1ESQ_SR_ST_SU_SY_EESZ_S10_S11_S12_S16_S17_S18_S1B_S1C_jS1D_jS1E_S1E_jjS1G_bEUljE0_EEESZ_S10_S11_S18_S1C_S1E_T6_T7_T9_mT8_S1G_bDpT10_ENKUlT_T0_E_clISt17integral_constantIbLb0EES1U_EEDaS1P_S1Q_EUlS1P_E_NS1_11comp_targetILNS1_3genE10ELNS1_11target_archE1200ELNS1_3gpuE4ELNS1_3repE0EEENS1_30default_config_static_selectorELNS0_4arch9wavefront6targetE0EEEvS12_.uses_vcc, 0
	.set _ZN7rocprim17ROCPRIM_400000_NS6detail17trampoline_kernelINS0_13select_configILj256ELj13ELNS0_17block_load_methodE3ELS4_3ELS4_3ELNS0_20block_scan_algorithmE0ELj4294967295EEENS1_25partition_config_selectorILNS1_17partition_subalgoE4EjNS0_10empty_typeEbEEZZNS1_14partition_implILS8_4ELb0ES6_15HIP_vector_typeIjLj2EENS0_17counting_iteratorIjlEEPS9_SG_NS0_5tupleIJPjSI_NS0_16reverse_iteratorISI_EEEEENSH_IJSG_SG_SG_EEES9_SI_JZNS1_25segmented_radix_sort_implINS0_14default_configELb1EPKfPfPKlPlN2at6native12_GLOBAL__N_18offset_tEEE10hipError_tPvRmT1_PNSt15iterator_traitsIS12_E10value_typeET2_T3_PNS13_IS18_E10value_typeET4_jRbjT5_S1E_jjP12ihipStream_tbEUljE_ZNSN_ISO_Lb1ESQ_SR_ST_SU_SY_EESZ_S10_S11_S12_S16_S17_S18_S1B_S1C_jS1D_jS1E_S1E_jjS1G_bEUljE0_EEESZ_S10_S11_S18_S1C_S1E_T6_T7_T9_mT8_S1G_bDpT10_ENKUlT_T0_E_clISt17integral_constantIbLb0EES1U_EEDaS1P_S1Q_EUlS1P_E_NS1_11comp_targetILNS1_3genE10ELNS1_11target_archE1200ELNS1_3gpuE4ELNS1_3repE0EEENS1_30default_config_static_selectorELNS0_4arch9wavefront6targetE0EEEvS12_.uses_flat_scratch, 0
	.set _ZN7rocprim17ROCPRIM_400000_NS6detail17trampoline_kernelINS0_13select_configILj256ELj13ELNS0_17block_load_methodE3ELS4_3ELS4_3ELNS0_20block_scan_algorithmE0ELj4294967295EEENS1_25partition_config_selectorILNS1_17partition_subalgoE4EjNS0_10empty_typeEbEEZZNS1_14partition_implILS8_4ELb0ES6_15HIP_vector_typeIjLj2EENS0_17counting_iteratorIjlEEPS9_SG_NS0_5tupleIJPjSI_NS0_16reverse_iteratorISI_EEEEENSH_IJSG_SG_SG_EEES9_SI_JZNS1_25segmented_radix_sort_implINS0_14default_configELb1EPKfPfPKlPlN2at6native12_GLOBAL__N_18offset_tEEE10hipError_tPvRmT1_PNSt15iterator_traitsIS12_E10value_typeET2_T3_PNS13_IS18_E10value_typeET4_jRbjT5_S1E_jjP12ihipStream_tbEUljE_ZNSN_ISO_Lb1ESQ_SR_ST_SU_SY_EESZ_S10_S11_S12_S16_S17_S18_S1B_S1C_jS1D_jS1E_S1E_jjS1G_bEUljE0_EEESZ_S10_S11_S18_S1C_S1E_T6_T7_T9_mT8_S1G_bDpT10_ENKUlT_T0_E_clISt17integral_constantIbLb0EES1U_EEDaS1P_S1Q_EUlS1P_E_NS1_11comp_targetILNS1_3genE10ELNS1_11target_archE1200ELNS1_3gpuE4ELNS1_3repE0EEENS1_30default_config_static_selectorELNS0_4arch9wavefront6targetE0EEEvS12_.has_dyn_sized_stack, 0
	.set _ZN7rocprim17ROCPRIM_400000_NS6detail17trampoline_kernelINS0_13select_configILj256ELj13ELNS0_17block_load_methodE3ELS4_3ELS4_3ELNS0_20block_scan_algorithmE0ELj4294967295EEENS1_25partition_config_selectorILNS1_17partition_subalgoE4EjNS0_10empty_typeEbEEZZNS1_14partition_implILS8_4ELb0ES6_15HIP_vector_typeIjLj2EENS0_17counting_iteratorIjlEEPS9_SG_NS0_5tupleIJPjSI_NS0_16reverse_iteratorISI_EEEEENSH_IJSG_SG_SG_EEES9_SI_JZNS1_25segmented_radix_sort_implINS0_14default_configELb1EPKfPfPKlPlN2at6native12_GLOBAL__N_18offset_tEEE10hipError_tPvRmT1_PNSt15iterator_traitsIS12_E10value_typeET2_T3_PNS13_IS18_E10value_typeET4_jRbjT5_S1E_jjP12ihipStream_tbEUljE_ZNSN_ISO_Lb1ESQ_SR_ST_SU_SY_EESZ_S10_S11_S12_S16_S17_S18_S1B_S1C_jS1D_jS1E_S1E_jjS1G_bEUljE0_EEESZ_S10_S11_S18_S1C_S1E_T6_T7_T9_mT8_S1G_bDpT10_ENKUlT_T0_E_clISt17integral_constantIbLb0EES1U_EEDaS1P_S1Q_EUlS1P_E_NS1_11comp_targetILNS1_3genE10ELNS1_11target_archE1200ELNS1_3gpuE4ELNS1_3repE0EEENS1_30default_config_static_selectorELNS0_4arch9wavefront6targetE0EEEvS12_.has_recursion, 0
	.set _ZN7rocprim17ROCPRIM_400000_NS6detail17trampoline_kernelINS0_13select_configILj256ELj13ELNS0_17block_load_methodE3ELS4_3ELS4_3ELNS0_20block_scan_algorithmE0ELj4294967295EEENS1_25partition_config_selectorILNS1_17partition_subalgoE4EjNS0_10empty_typeEbEEZZNS1_14partition_implILS8_4ELb0ES6_15HIP_vector_typeIjLj2EENS0_17counting_iteratorIjlEEPS9_SG_NS0_5tupleIJPjSI_NS0_16reverse_iteratorISI_EEEEENSH_IJSG_SG_SG_EEES9_SI_JZNS1_25segmented_radix_sort_implINS0_14default_configELb1EPKfPfPKlPlN2at6native12_GLOBAL__N_18offset_tEEE10hipError_tPvRmT1_PNSt15iterator_traitsIS12_E10value_typeET2_T3_PNS13_IS18_E10value_typeET4_jRbjT5_S1E_jjP12ihipStream_tbEUljE_ZNSN_ISO_Lb1ESQ_SR_ST_SU_SY_EESZ_S10_S11_S12_S16_S17_S18_S1B_S1C_jS1D_jS1E_S1E_jjS1G_bEUljE0_EEESZ_S10_S11_S18_S1C_S1E_T6_T7_T9_mT8_S1G_bDpT10_ENKUlT_T0_E_clISt17integral_constantIbLb0EES1U_EEDaS1P_S1Q_EUlS1P_E_NS1_11comp_targetILNS1_3genE10ELNS1_11target_archE1200ELNS1_3gpuE4ELNS1_3repE0EEENS1_30default_config_static_selectorELNS0_4arch9wavefront6targetE0EEEvS12_.has_indirect_call, 0
	.section	.AMDGPU.csdata,"",@progbits
; Kernel info:
; codeLenInByte = 0
; TotalNumSgprs: 0
; NumVgprs: 0
; ScratchSize: 0
; MemoryBound: 0
; FloatMode: 240
; IeeeMode: 1
; LDSByteSize: 0 bytes/workgroup (compile time only)
; SGPRBlocks: 0
; VGPRBlocks: 0
; NumSGPRsForWavesPerEU: 1
; NumVGPRsForWavesPerEU: 1
; NamedBarCnt: 0
; Occupancy: 16
; WaveLimiterHint : 0
; COMPUTE_PGM_RSRC2:SCRATCH_EN: 0
; COMPUTE_PGM_RSRC2:USER_SGPR: 2
; COMPUTE_PGM_RSRC2:TRAP_HANDLER: 0
; COMPUTE_PGM_RSRC2:TGID_X_EN: 1
; COMPUTE_PGM_RSRC2:TGID_Y_EN: 0
; COMPUTE_PGM_RSRC2:TGID_Z_EN: 0
; COMPUTE_PGM_RSRC2:TIDIG_COMP_CNT: 0
	.section	.text._ZN7rocprim17ROCPRIM_400000_NS6detail17trampoline_kernelINS0_13select_configILj256ELj13ELNS0_17block_load_methodE3ELS4_3ELS4_3ELNS0_20block_scan_algorithmE0ELj4294967295EEENS1_25partition_config_selectorILNS1_17partition_subalgoE4EjNS0_10empty_typeEbEEZZNS1_14partition_implILS8_4ELb0ES6_15HIP_vector_typeIjLj2EENS0_17counting_iteratorIjlEEPS9_SG_NS0_5tupleIJPjSI_NS0_16reverse_iteratorISI_EEEEENSH_IJSG_SG_SG_EEES9_SI_JZNS1_25segmented_radix_sort_implINS0_14default_configELb1EPKfPfPKlPlN2at6native12_GLOBAL__N_18offset_tEEE10hipError_tPvRmT1_PNSt15iterator_traitsIS12_E10value_typeET2_T3_PNS13_IS18_E10value_typeET4_jRbjT5_S1E_jjP12ihipStream_tbEUljE_ZNSN_ISO_Lb1ESQ_SR_ST_SU_SY_EESZ_S10_S11_S12_S16_S17_S18_S1B_S1C_jS1D_jS1E_S1E_jjS1G_bEUljE0_EEESZ_S10_S11_S18_S1C_S1E_T6_T7_T9_mT8_S1G_bDpT10_ENKUlT_T0_E_clISt17integral_constantIbLb0EES1U_EEDaS1P_S1Q_EUlS1P_E_NS1_11comp_targetILNS1_3genE9ELNS1_11target_archE1100ELNS1_3gpuE3ELNS1_3repE0EEENS1_30default_config_static_selectorELNS0_4arch9wavefront6targetE0EEEvS12_,"axG",@progbits,_ZN7rocprim17ROCPRIM_400000_NS6detail17trampoline_kernelINS0_13select_configILj256ELj13ELNS0_17block_load_methodE3ELS4_3ELS4_3ELNS0_20block_scan_algorithmE0ELj4294967295EEENS1_25partition_config_selectorILNS1_17partition_subalgoE4EjNS0_10empty_typeEbEEZZNS1_14partition_implILS8_4ELb0ES6_15HIP_vector_typeIjLj2EENS0_17counting_iteratorIjlEEPS9_SG_NS0_5tupleIJPjSI_NS0_16reverse_iteratorISI_EEEEENSH_IJSG_SG_SG_EEES9_SI_JZNS1_25segmented_radix_sort_implINS0_14default_configELb1EPKfPfPKlPlN2at6native12_GLOBAL__N_18offset_tEEE10hipError_tPvRmT1_PNSt15iterator_traitsIS12_E10value_typeET2_T3_PNS13_IS18_E10value_typeET4_jRbjT5_S1E_jjP12ihipStream_tbEUljE_ZNSN_ISO_Lb1ESQ_SR_ST_SU_SY_EESZ_S10_S11_S12_S16_S17_S18_S1B_S1C_jS1D_jS1E_S1E_jjS1G_bEUljE0_EEESZ_S10_S11_S18_S1C_S1E_T6_T7_T9_mT8_S1G_bDpT10_ENKUlT_T0_E_clISt17integral_constantIbLb0EES1U_EEDaS1P_S1Q_EUlS1P_E_NS1_11comp_targetILNS1_3genE9ELNS1_11target_archE1100ELNS1_3gpuE3ELNS1_3repE0EEENS1_30default_config_static_selectorELNS0_4arch9wavefront6targetE0EEEvS12_,comdat
	.globl	_ZN7rocprim17ROCPRIM_400000_NS6detail17trampoline_kernelINS0_13select_configILj256ELj13ELNS0_17block_load_methodE3ELS4_3ELS4_3ELNS0_20block_scan_algorithmE0ELj4294967295EEENS1_25partition_config_selectorILNS1_17partition_subalgoE4EjNS0_10empty_typeEbEEZZNS1_14partition_implILS8_4ELb0ES6_15HIP_vector_typeIjLj2EENS0_17counting_iteratorIjlEEPS9_SG_NS0_5tupleIJPjSI_NS0_16reverse_iteratorISI_EEEEENSH_IJSG_SG_SG_EEES9_SI_JZNS1_25segmented_radix_sort_implINS0_14default_configELb1EPKfPfPKlPlN2at6native12_GLOBAL__N_18offset_tEEE10hipError_tPvRmT1_PNSt15iterator_traitsIS12_E10value_typeET2_T3_PNS13_IS18_E10value_typeET4_jRbjT5_S1E_jjP12ihipStream_tbEUljE_ZNSN_ISO_Lb1ESQ_SR_ST_SU_SY_EESZ_S10_S11_S12_S16_S17_S18_S1B_S1C_jS1D_jS1E_S1E_jjS1G_bEUljE0_EEESZ_S10_S11_S18_S1C_S1E_T6_T7_T9_mT8_S1G_bDpT10_ENKUlT_T0_E_clISt17integral_constantIbLb0EES1U_EEDaS1P_S1Q_EUlS1P_E_NS1_11comp_targetILNS1_3genE9ELNS1_11target_archE1100ELNS1_3gpuE3ELNS1_3repE0EEENS1_30default_config_static_selectorELNS0_4arch9wavefront6targetE0EEEvS12_ ; -- Begin function _ZN7rocprim17ROCPRIM_400000_NS6detail17trampoline_kernelINS0_13select_configILj256ELj13ELNS0_17block_load_methodE3ELS4_3ELS4_3ELNS0_20block_scan_algorithmE0ELj4294967295EEENS1_25partition_config_selectorILNS1_17partition_subalgoE4EjNS0_10empty_typeEbEEZZNS1_14partition_implILS8_4ELb0ES6_15HIP_vector_typeIjLj2EENS0_17counting_iteratorIjlEEPS9_SG_NS0_5tupleIJPjSI_NS0_16reverse_iteratorISI_EEEEENSH_IJSG_SG_SG_EEES9_SI_JZNS1_25segmented_radix_sort_implINS0_14default_configELb1EPKfPfPKlPlN2at6native12_GLOBAL__N_18offset_tEEE10hipError_tPvRmT1_PNSt15iterator_traitsIS12_E10value_typeET2_T3_PNS13_IS18_E10value_typeET4_jRbjT5_S1E_jjP12ihipStream_tbEUljE_ZNSN_ISO_Lb1ESQ_SR_ST_SU_SY_EESZ_S10_S11_S12_S16_S17_S18_S1B_S1C_jS1D_jS1E_S1E_jjS1G_bEUljE0_EEESZ_S10_S11_S18_S1C_S1E_T6_T7_T9_mT8_S1G_bDpT10_ENKUlT_T0_E_clISt17integral_constantIbLb0EES1U_EEDaS1P_S1Q_EUlS1P_E_NS1_11comp_targetILNS1_3genE9ELNS1_11target_archE1100ELNS1_3gpuE3ELNS1_3repE0EEENS1_30default_config_static_selectorELNS0_4arch9wavefront6targetE0EEEvS12_
	.p2align	8
	.type	_ZN7rocprim17ROCPRIM_400000_NS6detail17trampoline_kernelINS0_13select_configILj256ELj13ELNS0_17block_load_methodE3ELS4_3ELS4_3ELNS0_20block_scan_algorithmE0ELj4294967295EEENS1_25partition_config_selectorILNS1_17partition_subalgoE4EjNS0_10empty_typeEbEEZZNS1_14partition_implILS8_4ELb0ES6_15HIP_vector_typeIjLj2EENS0_17counting_iteratorIjlEEPS9_SG_NS0_5tupleIJPjSI_NS0_16reverse_iteratorISI_EEEEENSH_IJSG_SG_SG_EEES9_SI_JZNS1_25segmented_radix_sort_implINS0_14default_configELb1EPKfPfPKlPlN2at6native12_GLOBAL__N_18offset_tEEE10hipError_tPvRmT1_PNSt15iterator_traitsIS12_E10value_typeET2_T3_PNS13_IS18_E10value_typeET4_jRbjT5_S1E_jjP12ihipStream_tbEUljE_ZNSN_ISO_Lb1ESQ_SR_ST_SU_SY_EESZ_S10_S11_S12_S16_S17_S18_S1B_S1C_jS1D_jS1E_S1E_jjS1G_bEUljE0_EEESZ_S10_S11_S18_S1C_S1E_T6_T7_T9_mT8_S1G_bDpT10_ENKUlT_T0_E_clISt17integral_constantIbLb0EES1U_EEDaS1P_S1Q_EUlS1P_E_NS1_11comp_targetILNS1_3genE9ELNS1_11target_archE1100ELNS1_3gpuE3ELNS1_3repE0EEENS1_30default_config_static_selectorELNS0_4arch9wavefront6targetE0EEEvS12_,@function
_ZN7rocprim17ROCPRIM_400000_NS6detail17trampoline_kernelINS0_13select_configILj256ELj13ELNS0_17block_load_methodE3ELS4_3ELS4_3ELNS0_20block_scan_algorithmE0ELj4294967295EEENS1_25partition_config_selectorILNS1_17partition_subalgoE4EjNS0_10empty_typeEbEEZZNS1_14partition_implILS8_4ELb0ES6_15HIP_vector_typeIjLj2EENS0_17counting_iteratorIjlEEPS9_SG_NS0_5tupleIJPjSI_NS0_16reverse_iteratorISI_EEEEENSH_IJSG_SG_SG_EEES9_SI_JZNS1_25segmented_radix_sort_implINS0_14default_configELb1EPKfPfPKlPlN2at6native12_GLOBAL__N_18offset_tEEE10hipError_tPvRmT1_PNSt15iterator_traitsIS12_E10value_typeET2_T3_PNS13_IS18_E10value_typeET4_jRbjT5_S1E_jjP12ihipStream_tbEUljE_ZNSN_ISO_Lb1ESQ_SR_ST_SU_SY_EESZ_S10_S11_S12_S16_S17_S18_S1B_S1C_jS1D_jS1E_S1E_jjS1G_bEUljE0_EEESZ_S10_S11_S18_S1C_S1E_T6_T7_T9_mT8_S1G_bDpT10_ENKUlT_T0_E_clISt17integral_constantIbLb0EES1U_EEDaS1P_S1Q_EUlS1P_E_NS1_11comp_targetILNS1_3genE9ELNS1_11target_archE1100ELNS1_3gpuE3ELNS1_3repE0EEENS1_30default_config_static_selectorELNS0_4arch9wavefront6targetE0EEEvS12_: ; @_ZN7rocprim17ROCPRIM_400000_NS6detail17trampoline_kernelINS0_13select_configILj256ELj13ELNS0_17block_load_methodE3ELS4_3ELS4_3ELNS0_20block_scan_algorithmE0ELj4294967295EEENS1_25partition_config_selectorILNS1_17partition_subalgoE4EjNS0_10empty_typeEbEEZZNS1_14partition_implILS8_4ELb0ES6_15HIP_vector_typeIjLj2EENS0_17counting_iteratorIjlEEPS9_SG_NS0_5tupleIJPjSI_NS0_16reverse_iteratorISI_EEEEENSH_IJSG_SG_SG_EEES9_SI_JZNS1_25segmented_radix_sort_implINS0_14default_configELb1EPKfPfPKlPlN2at6native12_GLOBAL__N_18offset_tEEE10hipError_tPvRmT1_PNSt15iterator_traitsIS12_E10value_typeET2_T3_PNS13_IS18_E10value_typeET4_jRbjT5_S1E_jjP12ihipStream_tbEUljE_ZNSN_ISO_Lb1ESQ_SR_ST_SU_SY_EESZ_S10_S11_S12_S16_S17_S18_S1B_S1C_jS1D_jS1E_S1E_jjS1G_bEUljE0_EEESZ_S10_S11_S18_S1C_S1E_T6_T7_T9_mT8_S1G_bDpT10_ENKUlT_T0_E_clISt17integral_constantIbLb0EES1U_EEDaS1P_S1Q_EUlS1P_E_NS1_11comp_targetILNS1_3genE9ELNS1_11target_archE1100ELNS1_3gpuE3ELNS1_3repE0EEENS1_30default_config_static_selectorELNS0_4arch9wavefront6targetE0EEEvS12_
; %bb.0:
	.section	.rodata,"a",@progbits
	.p2align	6, 0x0
	.amdhsa_kernel _ZN7rocprim17ROCPRIM_400000_NS6detail17trampoline_kernelINS0_13select_configILj256ELj13ELNS0_17block_load_methodE3ELS4_3ELS4_3ELNS0_20block_scan_algorithmE0ELj4294967295EEENS1_25partition_config_selectorILNS1_17partition_subalgoE4EjNS0_10empty_typeEbEEZZNS1_14partition_implILS8_4ELb0ES6_15HIP_vector_typeIjLj2EENS0_17counting_iteratorIjlEEPS9_SG_NS0_5tupleIJPjSI_NS0_16reverse_iteratorISI_EEEEENSH_IJSG_SG_SG_EEES9_SI_JZNS1_25segmented_radix_sort_implINS0_14default_configELb1EPKfPfPKlPlN2at6native12_GLOBAL__N_18offset_tEEE10hipError_tPvRmT1_PNSt15iterator_traitsIS12_E10value_typeET2_T3_PNS13_IS18_E10value_typeET4_jRbjT5_S1E_jjP12ihipStream_tbEUljE_ZNSN_ISO_Lb1ESQ_SR_ST_SU_SY_EESZ_S10_S11_S12_S16_S17_S18_S1B_S1C_jS1D_jS1E_S1E_jjS1G_bEUljE0_EEESZ_S10_S11_S18_S1C_S1E_T6_T7_T9_mT8_S1G_bDpT10_ENKUlT_T0_E_clISt17integral_constantIbLb0EES1U_EEDaS1P_S1Q_EUlS1P_E_NS1_11comp_targetILNS1_3genE9ELNS1_11target_archE1100ELNS1_3gpuE3ELNS1_3repE0EEENS1_30default_config_static_selectorELNS0_4arch9wavefront6targetE0EEEvS12_
		.amdhsa_group_segment_fixed_size 0
		.amdhsa_private_segment_fixed_size 0
		.amdhsa_kernarg_size 176
		.amdhsa_user_sgpr_count 2
		.amdhsa_user_sgpr_dispatch_ptr 0
		.amdhsa_user_sgpr_queue_ptr 0
		.amdhsa_user_sgpr_kernarg_segment_ptr 1
		.amdhsa_user_sgpr_dispatch_id 0
		.amdhsa_user_sgpr_kernarg_preload_length 0
		.amdhsa_user_sgpr_kernarg_preload_offset 0
		.amdhsa_user_sgpr_private_segment_size 0
		.amdhsa_wavefront_size32 1
		.amdhsa_uses_dynamic_stack 0
		.amdhsa_enable_private_segment 0
		.amdhsa_system_sgpr_workgroup_id_x 1
		.amdhsa_system_sgpr_workgroup_id_y 0
		.amdhsa_system_sgpr_workgroup_id_z 0
		.amdhsa_system_sgpr_workgroup_info 0
		.amdhsa_system_vgpr_workitem_id 0
		.amdhsa_next_free_vgpr 1
		.amdhsa_next_free_sgpr 1
		.amdhsa_named_barrier_count 0
		.amdhsa_reserve_vcc 0
		.amdhsa_float_round_mode_32 0
		.amdhsa_float_round_mode_16_64 0
		.amdhsa_float_denorm_mode_32 3
		.amdhsa_float_denorm_mode_16_64 3
		.amdhsa_fp16_overflow 0
		.amdhsa_memory_ordered 1
		.amdhsa_forward_progress 1
		.amdhsa_inst_pref_size 0
		.amdhsa_round_robin_scheduling 0
		.amdhsa_exception_fp_ieee_invalid_op 0
		.amdhsa_exception_fp_denorm_src 0
		.amdhsa_exception_fp_ieee_div_zero 0
		.amdhsa_exception_fp_ieee_overflow 0
		.amdhsa_exception_fp_ieee_underflow 0
		.amdhsa_exception_fp_ieee_inexact 0
		.amdhsa_exception_int_div_zero 0
	.end_amdhsa_kernel
	.section	.text._ZN7rocprim17ROCPRIM_400000_NS6detail17trampoline_kernelINS0_13select_configILj256ELj13ELNS0_17block_load_methodE3ELS4_3ELS4_3ELNS0_20block_scan_algorithmE0ELj4294967295EEENS1_25partition_config_selectorILNS1_17partition_subalgoE4EjNS0_10empty_typeEbEEZZNS1_14partition_implILS8_4ELb0ES6_15HIP_vector_typeIjLj2EENS0_17counting_iteratorIjlEEPS9_SG_NS0_5tupleIJPjSI_NS0_16reverse_iteratorISI_EEEEENSH_IJSG_SG_SG_EEES9_SI_JZNS1_25segmented_radix_sort_implINS0_14default_configELb1EPKfPfPKlPlN2at6native12_GLOBAL__N_18offset_tEEE10hipError_tPvRmT1_PNSt15iterator_traitsIS12_E10value_typeET2_T3_PNS13_IS18_E10value_typeET4_jRbjT5_S1E_jjP12ihipStream_tbEUljE_ZNSN_ISO_Lb1ESQ_SR_ST_SU_SY_EESZ_S10_S11_S12_S16_S17_S18_S1B_S1C_jS1D_jS1E_S1E_jjS1G_bEUljE0_EEESZ_S10_S11_S18_S1C_S1E_T6_T7_T9_mT8_S1G_bDpT10_ENKUlT_T0_E_clISt17integral_constantIbLb0EES1U_EEDaS1P_S1Q_EUlS1P_E_NS1_11comp_targetILNS1_3genE9ELNS1_11target_archE1100ELNS1_3gpuE3ELNS1_3repE0EEENS1_30default_config_static_selectorELNS0_4arch9wavefront6targetE0EEEvS12_,"axG",@progbits,_ZN7rocprim17ROCPRIM_400000_NS6detail17trampoline_kernelINS0_13select_configILj256ELj13ELNS0_17block_load_methodE3ELS4_3ELS4_3ELNS0_20block_scan_algorithmE0ELj4294967295EEENS1_25partition_config_selectorILNS1_17partition_subalgoE4EjNS0_10empty_typeEbEEZZNS1_14partition_implILS8_4ELb0ES6_15HIP_vector_typeIjLj2EENS0_17counting_iteratorIjlEEPS9_SG_NS0_5tupleIJPjSI_NS0_16reverse_iteratorISI_EEEEENSH_IJSG_SG_SG_EEES9_SI_JZNS1_25segmented_radix_sort_implINS0_14default_configELb1EPKfPfPKlPlN2at6native12_GLOBAL__N_18offset_tEEE10hipError_tPvRmT1_PNSt15iterator_traitsIS12_E10value_typeET2_T3_PNS13_IS18_E10value_typeET4_jRbjT5_S1E_jjP12ihipStream_tbEUljE_ZNSN_ISO_Lb1ESQ_SR_ST_SU_SY_EESZ_S10_S11_S12_S16_S17_S18_S1B_S1C_jS1D_jS1E_S1E_jjS1G_bEUljE0_EEESZ_S10_S11_S18_S1C_S1E_T6_T7_T9_mT8_S1G_bDpT10_ENKUlT_T0_E_clISt17integral_constantIbLb0EES1U_EEDaS1P_S1Q_EUlS1P_E_NS1_11comp_targetILNS1_3genE9ELNS1_11target_archE1100ELNS1_3gpuE3ELNS1_3repE0EEENS1_30default_config_static_selectorELNS0_4arch9wavefront6targetE0EEEvS12_,comdat
.Lfunc_end1261:
	.size	_ZN7rocprim17ROCPRIM_400000_NS6detail17trampoline_kernelINS0_13select_configILj256ELj13ELNS0_17block_load_methodE3ELS4_3ELS4_3ELNS0_20block_scan_algorithmE0ELj4294967295EEENS1_25partition_config_selectorILNS1_17partition_subalgoE4EjNS0_10empty_typeEbEEZZNS1_14partition_implILS8_4ELb0ES6_15HIP_vector_typeIjLj2EENS0_17counting_iteratorIjlEEPS9_SG_NS0_5tupleIJPjSI_NS0_16reverse_iteratorISI_EEEEENSH_IJSG_SG_SG_EEES9_SI_JZNS1_25segmented_radix_sort_implINS0_14default_configELb1EPKfPfPKlPlN2at6native12_GLOBAL__N_18offset_tEEE10hipError_tPvRmT1_PNSt15iterator_traitsIS12_E10value_typeET2_T3_PNS13_IS18_E10value_typeET4_jRbjT5_S1E_jjP12ihipStream_tbEUljE_ZNSN_ISO_Lb1ESQ_SR_ST_SU_SY_EESZ_S10_S11_S12_S16_S17_S18_S1B_S1C_jS1D_jS1E_S1E_jjS1G_bEUljE0_EEESZ_S10_S11_S18_S1C_S1E_T6_T7_T9_mT8_S1G_bDpT10_ENKUlT_T0_E_clISt17integral_constantIbLb0EES1U_EEDaS1P_S1Q_EUlS1P_E_NS1_11comp_targetILNS1_3genE9ELNS1_11target_archE1100ELNS1_3gpuE3ELNS1_3repE0EEENS1_30default_config_static_selectorELNS0_4arch9wavefront6targetE0EEEvS12_, .Lfunc_end1261-_ZN7rocprim17ROCPRIM_400000_NS6detail17trampoline_kernelINS0_13select_configILj256ELj13ELNS0_17block_load_methodE3ELS4_3ELS4_3ELNS0_20block_scan_algorithmE0ELj4294967295EEENS1_25partition_config_selectorILNS1_17partition_subalgoE4EjNS0_10empty_typeEbEEZZNS1_14partition_implILS8_4ELb0ES6_15HIP_vector_typeIjLj2EENS0_17counting_iteratorIjlEEPS9_SG_NS0_5tupleIJPjSI_NS0_16reverse_iteratorISI_EEEEENSH_IJSG_SG_SG_EEES9_SI_JZNS1_25segmented_radix_sort_implINS0_14default_configELb1EPKfPfPKlPlN2at6native12_GLOBAL__N_18offset_tEEE10hipError_tPvRmT1_PNSt15iterator_traitsIS12_E10value_typeET2_T3_PNS13_IS18_E10value_typeET4_jRbjT5_S1E_jjP12ihipStream_tbEUljE_ZNSN_ISO_Lb1ESQ_SR_ST_SU_SY_EESZ_S10_S11_S12_S16_S17_S18_S1B_S1C_jS1D_jS1E_S1E_jjS1G_bEUljE0_EEESZ_S10_S11_S18_S1C_S1E_T6_T7_T9_mT8_S1G_bDpT10_ENKUlT_T0_E_clISt17integral_constantIbLb0EES1U_EEDaS1P_S1Q_EUlS1P_E_NS1_11comp_targetILNS1_3genE9ELNS1_11target_archE1100ELNS1_3gpuE3ELNS1_3repE0EEENS1_30default_config_static_selectorELNS0_4arch9wavefront6targetE0EEEvS12_
                                        ; -- End function
	.set _ZN7rocprim17ROCPRIM_400000_NS6detail17trampoline_kernelINS0_13select_configILj256ELj13ELNS0_17block_load_methodE3ELS4_3ELS4_3ELNS0_20block_scan_algorithmE0ELj4294967295EEENS1_25partition_config_selectorILNS1_17partition_subalgoE4EjNS0_10empty_typeEbEEZZNS1_14partition_implILS8_4ELb0ES6_15HIP_vector_typeIjLj2EENS0_17counting_iteratorIjlEEPS9_SG_NS0_5tupleIJPjSI_NS0_16reverse_iteratorISI_EEEEENSH_IJSG_SG_SG_EEES9_SI_JZNS1_25segmented_radix_sort_implINS0_14default_configELb1EPKfPfPKlPlN2at6native12_GLOBAL__N_18offset_tEEE10hipError_tPvRmT1_PNSt15iterator_traitsIS12_E10value_typeET2_T3_PNS13_IS18_E10value_typeET4_jRbjT5_S1E_jjP12ihipStream_tbEUljE_ZNSN_ISO_Lb1ESQ_SR_ST_SU_SY_EESZ_S10_S11_S12_S16_S17_S18_S1B_S1C_jS1D_jS1E_S1E_jjS1G_bEUljE0_EEESZ_S10_S11_S18_S1C_S1E_T6_T7_T9_mT8_S1G_bDpT10_ENKUlT_T0_E_clISt17integral_constantIbLb0EES1U_EEDaS1P_S1Q_EUlS1P_E_NS1_11comp_targetILNS1_3genE9ELNS1_11target_archE1100ELNS1_3gpuE3ELNS1_3repE0EEENS1_30default_config_static_selectorELNS0_4arch9wavefront6targetE0EEEvS12_.num_vgpr, 0
	.set _ZN7rocprim17ROCPRIM_400000_NS6detail17trampoline_kernelINS0_13select_configILj256ELj13ELNS0_17block_load_methodE3ELS4_3ELS4_3ELNS0_20block_scan_algorithmE0ELj4294967295EEENS1_25partition_config_selectorILNS1_17partition_subalgoE4EjNS0_10empty_typeEbEEZZNS1_14partition_implILS8_4ELb0ES6_15HIP_vector_typeIjLj2EENS0_17counting_iteratorIjlEEPS9_SG_NS0_5tupleIJPjSI_NS0_16reverse_iteratorISI_EEEEENSH_IJSG_SG_SG_EEES9_SI_JZNS1_25segmented_radix_sort_implINS0_14default_configELb1EPKfPfPKlPlN2at6native12_GLOBAL__N_18offset_tEEE10hipError_tPvRmT1_PNSt15iterator_traitsIS12_E10value_typeET2_T3_PNS13_IS18_E10value_typeET4_jRbjT5_S1E_jjP12ihipStream_tbEUljE_ZNSN_ISO_Lb1ESQ_SR_ST_SU_SY_EESZ_S10_S11_S12_S16_S17_S18_S1B_S1C_jS1D_jS1E_S1E_jjS1G_bEUljE0_EEESZ_S10_S11_S18_S1C_S1E_T6_T7_T9_mT8_S1G_bDpT10_ENKUlT_T0_E_clISt17integral_constantIbLb0EES1U_EEDaS1P_S1Q_EUlS1P_E_NS1_11comp_targetILNS1_3genE9ELNS1_11target_archE1100ELNS1_3gpuE3ELNS1_3repE0EEENS1_30default_config_static_selectorELNS0_4arch9wavefront6targetE0EEEvS12_.num_agpr, 0
	.set _ZN7rocprim17ROCPRIM_400000_NS6detail17trampoline_kernelINS0_13select_configILj256ELj13ELNS0_17block_load_methodE3ELS4_3ELS4_3ELNS0_20block_scan_algorithmE0ELj4294967295EEENS1_25partition_config_selectorILNS1_17partition_subalgoE4EjNS0_10empty_typeEbEEZZNS1_14partition_implILS8_4ELb0ES6_15HIP_vector_typeIjLj2EENS0_17counting_iteratorIjlEEPS9_SG_NS0_5tupleIJPjSI_NS0_16reverse_iteratorISI_EEEEENSH_IJSG_SG_SG_EEES9_SI_JZNS1_25segmented_radix_sort_implINS0_14default_configELb1EPKfPfPKlPlN2at6native12_GLOBAL__N_18offset_tEEE10hipError_tPvRmT1_PNSt15iterator_traitsIS12_E10value_typeET2_T3_PNS13_IS18_E10value_typeET4_jRbjT5_S1E_jjP12ihipStream_tbEUljE_ZNSN_ISO_Lb1ESQ_SR_ST_SU_SY_EESZ_S10_S11_S12_S16_S17_S18_S1B_S1C_jS1D_jS1E_S1E_jjS1G_bEUljE0_EEESZ_S10_S11_S18_S1C_S1E_T6_T7_T9_mT8_S1G_bDpT10_ENKUlT_T0_E_clISt17integral_constantIbLb0EES1U_EEDaS1P_S1Q_EUlS1P_E_NS1_11comp_targetILNS1_3genE9ELNS1_11target_archE1100ELNS1_3gpuE3ELNS1_3repE0EEENS1_30default_config_static_selectorELNS0_4arch9wavefront6targetE0EEEvS12_.numbered_sgpr, 0
	.set _ZN7rocprim17ROCPRIM_400000_NS6detail17trampoline_kernelINS0_13select_configILj256ELj13ELNS0_17block_load_methodE3ELS4_3ELS4_3ELNS0_20block_scan_algorithmE0ELj4294967295EEENS1_25partition_config_selectorILNS1_17partition_subalgoE4EjNS0_10empty_typeEbEEZZNS1_14partition_implILS8_4ELb0ES6_15HIP_vector_typeIjLj2EENS0_17counting_iteratorIjlEEPS9_SG_NS0_5tupleIJPjSI_NS0_16reverse_iteratorISI_EEEEENSH_IJSG_SG_SG_EEES9_SI_JZNS1_25segmented_radix_sort_implINS0_14default_configELb1EPKfPfPKlPlN2at6native12_GLOBAL__N_18offset_tEEE10hipError_tPvRmT1_PNSt15iterator_traitsIS12_E10value_typeET2_T3_PNS13_IS18_E10value_typeET4_jRbjT5_S1E_jjP12ihipStream_tbEUljE_ZNSN_ISO_Lb1ESQ_SR_ST_SU_SY_EESZ_S10_S11_S12_S16_S17_S18_S1B_S1C_jS1D_jS1E_S1E_jjS1G_bEUljE0_EEESZ_S10_S11_S18_S1C_S1E_T6_T7_T9_mT8_S1G_bDpT10_ENKUlT_T0_E_clISt17integral_constantIbLb0EES1U_EEDaS1P_S1Q_EUlS1P_E_NS1_11comp_targetILNS1_3genE9ELNS1_11target_archE1100ELNS1_3gpuE3ELNS1_3repE0EEENS1_30default_config_static_selectorELNS0_4arch9wavefront6targetE0EEEvS12_.num_named_barrier, 0
	.set _ZN7rocprim17ROCPRIM_400000_NS6detail17trampoline_kernelINS0_13select_configILj256ELj13ELNS0_17block_load_methodE3ELS4_3ELS4_3ELNS0_20block_scan_algorithmE0ELj4294967295EEENS1_25partition_config_selectorILNS1_17partition_subalgoE4EjNS0_10empty_typeEbEEZZNS1_14partition_implILS8_4ELb0ES6_15HIP_vector_typeIjLj2EENS0_17counting_iteratorIjlEEPS9_SG_NS0_5tupleIJPjSI_NS0_16reverse_iteratorISI_EEEEENSH_IJSG_SG_SG_EEES9_SI_JZNS1_25segmented_radix_sort_implINS0_14default_configELb1EPKfPfPKlPlN2at6native12_GLOBAL__N_18offset_tEEE10hipError_tPvRmT1_PNSt15iterator_traitsIS12_E10value_typeET2_T3_PNS13_IS18_E10value_typeET4_jRbjT5_S1E_jjP12ihipStream_tbEUljE_ZNSN_ISO_Lb1ESQ_SR_ST_SU_SY_EESZ_S10_S11_S12_S16_S17_S18_S1B_S1C_jS1D_jS1E_S1E_jjS1G_bEUljE0_EEESZ_S10_S11_S18_S1C_S1E_T6_T7_T9_mT8_S1G_bDpT10_ENKUlT_T0_E_clISt17integral_constantIbLb0EES1U_EEDaS1P_S1Q_EUlS1P_E_NS1_11comp_targetILNS1_3genE9ELNS1_11target_archE1100ELNS1_3gpuE3ELNS1_3repE0EEENS1_30default_config_static_selectorELNS0_4arch9wavefront6targetE0EEEvS12_.private_seg_size, 0
	.set _ZN7rocprim17ROCPRIM_400000_NS6detail17trampoline_kernelINS0_13select_configILj256ELj13ELNS0_17block_load_methodE3ELS4_3ELS4_3ELNS0_20block_scan_algorithmE0ELj4294967295EEENS1_25partition_config_selectorILNS1_17partition_subalgoE4EjNS0_10empty_typeEbEEZZNS1_14partition_implILS8_4ELb0ES6_15HIP_vector_typeIjLj2EENS0_17counting_iteratorIjlEEPS9_SG_NS0_5tupleIJPjSI_NS0_16reverse_iteratorISI_EEEEENSH_IJSG_SG_SG_EEES9_SI_JZNS1_25segmented_radix_sort_implINS0_14default_configELb1EPKfPfPKlPlN2at6native12_GLOBAL__N_18offset_tEEE10hipError_tPvRmT1_PNSt15iterator_traitsIS12_E10value_typeET2_T3_PNS13_IS18_E10value_typeET4_jRbjT5_S1E_jjP12ihipStream_tbEUljE_ZNSN_ISO_Lb1ESQ_SR_ST_SU_SY_EESZ_S10_S11_S12_S16_S17_S18_S1B_S1C_jS1D_jS1E_S1E_jjS1G_bEUljE0_EEESZ_S10_S11_S18_S1C_S1E_T6_T7_T9_mT8_S1G_bDpT10_ENKUlT_T0_E_clISt17integral_constantIbLb0EES1U_EEDaS1P_S1Q_EUlS1P_E_NS1_11comp_targetILNS1_3genE9ELNS1_11target_archE1100ELNS1_3gpuE3ELNS1_3repE0EEENS1_30default_config_static_selectorELNS0_4arch9wavefront6targetE0EEEvS12_.uses_vcc, 0
	.set _ZN7rocprim17ROCPRIM_400000_NS6detail17trampoline_kernelINS0_13select_configILj256ELj13ELNS0_17block_load_methodE3ELS4_3ELS4_3ELNS0_20block_scan_algorithmE0ELj4294967295EEENS1_25partition_config_selectorILNS1_17partition_subalgoE4EjNS0_10empty_typeEbEEZZNS1_14partition_implILS8_4ELb0ES6_15HIP_vector_typeIjLj2EENS0_17counting_iteratorIjlEEPS9_SG_NS0_5tupleIJPjSI_NS0_16reverse_iteratorISI_EEEEENSH_IJSG_SG_SG_EEES9_SI_JZNS1_25segmented_radix_sort_implINS0_14default_configELb1EPKfPfPKlPlN2at6native12_GLOBAL__N_18offset_tEEE10hipError_tPvRmT1_PNSt15iterator_traitsIS12_E10value_typeET2_T3_PNS13_IS18_E10value_typeET4_jRbjT5_S1E_jjP12ihipStream_tbEUljE_ZNSN_ISO_Lb1ESQ_SR_ST_SU_SY_EESZ_S10_S11_S12_S16_S17_S18_S1B_S1C_jS1D_jS1E_S1E_jjS1G_bEUljE0_EEESZ_S10_S11_S18_S1C_S1E_T6_T7_T9_mT8_S1G_bDpT10_ENKUlT_T0_E_clISt17integral_constantIbLb0EES1U_EEDaS1P_S1Q_EUlS1P_E_NS1_11comp_targetILNS1_3genE9ELNS1_11target_archE1100ELNS1_3gpuE3ELNS1_3repE0EEENS1_30default_config_static_selectorELNS0_4arch9wavefront6targetE0EEEvS12_.uses_flat_scratch, 0
	.set _ZN7rocprim17ROCPRIM_400000_NS6detail17trampoline_kernelINS0_13select_configILj256ELj13ELNS0_17block_load_methodE3ELS4_3ELS4_3ELNS0_20block_scan_algorithmE0ELj4294967295EEENS1_25partition_config_selectorILNS1_17partition_subalgoE4EjNS0_10empty_typeEbEEZZNS1_14partition_implILS8_4ELb0ES6_15HIP_vector_typeIjLj2EENS0_17counting_iteratorIjlEEPS9_SG_NS0_5tupleIJPjSI_NS0_16reverse_iteratorISI_EEEEENSH_IJSG_SG_SG_EEES9_SI_JZNS1_25segmented_radix_sort_implINS0_14default_configELb1EPKfPfPKlPlN2at6native12_GLOBAL__N_18offset_tEEE10hipError_tPvRmT1_PNSt15iterator_traitsIS12_E10value_typeET2_T3_PNS13_IS18_E10value_typeET4_jRbjT5_S1E_jjP12ihipStream_tbEUljE_ZNSN_ISO_Lb1ESQ_SR_ST_SU_SY_EESZ_S10_S11_S12_S16_S17_S18_S1B_S1C_jS1D_jS1E_S1E_jjS1G_bEUljE0_EEESZ_S10_S11_S18_S1C_S1E_T6_T7_T9_mT8_S1G_bDpT10_ENKUlT_T0_E_clISt17integral_constantIbLb0EES1U_EEDaS1P_S1Q_EUlS1P_E_NS1_11comp_targetILNS1_3genE9ELNS1_11target_archE1100ELNS1_3gpuE3ELNS1_3repE0EEENS1_30default_config_static_selectorELNS0_4arch9wavefront6targetE0EEEvS12_.has_dyn_sized_stack, 0
	.set _ZN7rocprim17ROCPRIM_400000_NS6detail17trampoline_kernelINS0_13select_configILj256ELj13ELNS0_17block_load_methodE3ELS4_3ELS4_3ELNS0_20block_scan_algorithmE0ELj4294967295EEENS1_25partition_config_selectorILNS1_17partition_subalgoE4EjNS0_10empty_typeEbEEZZNS1_14partition_implILS8_4ELb0ES6_15HIP_vector_typeIjLj2EENS0_17counting_iteratorIjlEEPS9_SG_NS0_5tupleIJPjSI_NS0_16reverse_iteratorISI_EEEEENSH_IJSG_SG_SG_EEES9_SI_JZNS1_25segmented_radix_sort_implINS0_14default_configELb1EPKfPfPKlPlN2at6native12_GLOBAL__N_18offset_tEEE10hipError_tPvRmT1_PNSt15iterator_traitsIS12_E10value_typeET2_T3_PNS13_IS18_E10value_typeET4_jRbjT5_S1E_jjP12ihipStream_tbEUljE_ZNSN_ISO_Lb1ESQ_SR_ST_SU_SY_EESZ_S10_S11_S12_S16_S17_S18_S1B_S1C_jS1D_jS1E_S1E_jjS1G_bEUljE0_EEESZ_S10_S11_S18_S1C_S1E_T6_T7_T9_mT8_S1G_bDpT10_ENKUlT_T0_E_clISt17integral_constantIbLb0EES1U_EEDaS1P_S1Q_EUlS1P_E_NS1_11comp_targetILNS1_3genE9ELNS1_11target_archE1100ELNS1_3gpuE3ELNS1_3repE0EEENS1_30default_config_static_selectorELNS0_4arch9wavefront6targetE0EEEvS12_.has_recursion, 0
	.set _ZN7rocprim17ROCPRIM_400000_NS6detail17trampoline_kernelINS0_13select_configILj256ELj13ELNS0_17block_load_methodE3ELS4_3ELS4_3ELNS0_20block_scan_algorithmE0ELj4294967295EEENS1_25partition_config_selectorILNS1_17partition_subalgoE4EjNS0_10empty_typeEbEEZZNS1_14partition_implILS8_4ELb0ES6_15HIP_vector_typeIjLj2EENS0_17counting_iteratorIjlEEPS9_SG_NS0_5tupleIJPjSI_NS0_16reverse_iteratorISI_EEEEENSH_IJSG_SG_SG_EEES9_SI_JZNS1_25segmented_radix_sort_implINS0_14default_configELb1EPKfPfPKlPlN2at6native12_GLOBAL__N_18offset_tEEE10hipError_tPvRmT1_PNSt15iterator_traitsIS12_E10value_typeET2_T3_PNS13_IS18_E10value_typeET4_jRbjT5_S1E_jjP12ihipStream_tbEUljE_ZNSN_ISO_Lb1ESQ_SR_ST_SU_SY_EESZ_S10_S11_S12_S16_S17_S18_S1B_S1C_jS1D_jS1E_S1E_jjS1G_bEUljE0_EEESZ_S10_S11_S18_S1C_S1E_T6_T7_T9_mT8_S1G_bDpT10_ENKUlT_T0_E_clISt17integral_constantIbLb0EES1U_EEDaS1P_S1Q_EUlS1P_E_NS1_11comp_targetILNS1_3genE9ELNS1_11target_archE1100ELNS1_3gpuE3ELNS1_3repE0EEENS1_30default_config_static_selectorELNS0_4arch9wavefront6targetE0EEEvS12_.has_indirect_call, 0
	.section	.AMDGPU.csdata,"",@progbits
; Kernel info:
; codeLenInByte = 0
; TotalNumSgprs: 0
; NumVgprs: 0
; ScratchSize: 0
; MemoryBound: 0
; FloatMode: 240
; IeeeMode: 1
; LDSByteSize: 0 bytes/workgroup (compile time only)
; SGPRBlocks: 0
; VGPRBlocks: 0
; NumSGPRsForWavesPerEU: 1
; NumVGPRsForWavesPerEU: 1
; NamedBarCnt: 0
; Occupancy: 16
; WaveLimiterHint : 0
; COMPUTE_PGM_RSRC2:SCRATCH_EN: 0
; COMPUTE_PGM_RSRC2:USER_SGPR: 2
; COMPUTE_PGM_RSRC2:TRAP_HANDLER: 0
; COMPUTE_PGM_RSRC2:TGID_X_EN: 1
; COMPUTE_PGM_RSRC2:TGID_Y_EN: 0
; COMPUTE_PGM_RSRC2:TGID_Z_EN: 0
; COMPUTE_PGM_RSRC2:TIDIG_COMP_CNT: 0
	.section	.text._ZN7rocprim17ROCPRIM_400000_NS6detail17trampoline_kernelINS0_13select_configILj256ELj13ELNS0_17block_load_methodE3ELS4_3ELS4_3ELNS0_20block_scan_algorithmE0ELj4294967295EEENS1_25partition_config_selectorILNS1_17partition_subalgoE4EjNS0_10empty_typeEbEEZZNS1_14partition_implILS8_4ELb0ES6_15HIP_vector_typeIjLj2EENS0_17counting_iteratorIjlEEPS9_SG_NS0_5tupleIJPjSI_NS0_16reverse_iteratorISI_EEEEENSH_IJSG_SG_SG_EEES9_SI_JZNS1_25segmented_radix_sort_implINS0_14default_configELb1EPKfPfPKlPlN2at6native12_GLOBAL__N_18offset_tEEE10hipError_tPvRmT1_PNSt15iterator_traitsIS12_E10value_typeET2_T3_PNS13_IS18_E10value_typeET4_jRbjT5_S1E_jjP12ihipStream_tbEUljE_ZNSN_ISO_Lb1ESQ_SR_ST_SU_SY_EESZ_S10_S11_S12_S16_S17_S18_S1B_S1C_jS1D_jS1E_S1E_jjS1G_bEUljE0_EEESZ_S10_S11_S18_S1C_S1E_T6_T7_T9_mT8_S1G_bDpT10_ENKUlT_T0_E_clISt17integral_constantIbLb0EES1U_EEDaS1P_S1Q_EUlS1P_E_NS1_11comp_targetILNS1_3genE8ELNS1_11target_archE1030ELNS1_3gpuE2ELNS1_3repE0EEENS1_30default_config_static_selectorELNS0_4arch9wavefront6targetE0EEEvS12_,"axG",@progbits,_ZN7rocprim17ROCPRIM_400000_NS6detail17trampoline_kernelINS0_13select_configILj256ELj13ELNS0_17block_load_methodE3ELS4_3ELS4_3ELNS0_20block_scan_algorithmE0ELj4294967295EEENS1_25partition_config_selectorILNS1_17partition_subalgoE4EjNS0_10empty_typeEbEEZZNS1_14partition_implILS8_4ELb0ES6_15HIP_vector_typeIjLj2EENS0_17counting_iteratorIjlEEPS9_SG_NS0_5tupleIJPjSI_NS0_16reverse_iteratorISI_EEEEENSH_IJSG_SG_SG_EEES9_SI_JZNS1_25segmented_radix_sort_implINS0_14default_configELb1EPKfPfPKlPlN2at6native12_GLOBAL__N_18offset_tEEE10hipError_tPvRmT1_PNSt15iterator_traitsIS12_E10value_typeET2_T3_PNS13_IS18_E10value_typeET4_jRbjT5_S1E_jjP12ihipStream_tbEUljE_ZNSN_ISO_Lb1ESQ_SR_ST_SU_SY_EESZ_S10_S11_S12_S16_S17_S18_S1B_S1C_jS1D_jS1E_S1E_jjS1G_bEUljE0_EEESZ_S10_S11_S18_S1C_S1E_T6_T7_T9_mT8_S1G_bDpT10_ENKUlT_T0_E_clISt17integral_constantIbLb0EES1U_EEDaS1P_S1Q_EUlS1P_E_NS1_11comp_targetILNS1_3genE8ELNS1_11target_archE1030ELNS1_3gpuE2ELNS1_3repE0EEENS1_30default_config_static_selectorELNS0_4arch9wavefront6targetE0EEEvS12_,comdat
	.globl	_ZN7rocprim17ROCPRIM_400000_NS6detail17trampoline_kernelINS0_13select_configILj256ELj13ELNS0_17block_load_methodE3ELS4_3ELS4_3ELNS0_20block_scan_algorithmE0ELj4294967295EEENS1_25partition_config_selectorILNS1_17partition_subalgoE4EjNS0_10empty_typeEbEEZZNS1_14partition_implILS8_4ELb0ES6_15HIP_vector_typeIjLj2EENS0_17counting_iteratorIjlEEPS9_SG_NS0_5tupleIJPjSI_NS0_16reverse_iteratorISI_EEEEENSH_IJSG_SG_SG_EEES9_SI_JZNS1_25segmented_radix_sort_implINS0_14default_configELb1EPKfPfPKlPlN2at6native12_GLOBAL__N_18offset_tEEE10hipError_tPvRmT1_PNSt15iterator_traitsIS12_E10value_typeET2_T3_PNS13_IS18_E10value_typeET4_jRbjT5_S1E_jjP12ihipStream_tbEUljE_ZNSN_ISO_Lb1ESQ_SR_ST_SU_SY_EESZ_S10_S11_S12_S16_S17_S18_S1B_S1C_jS1D_jS1E_S1E_jjS1G_bEUljE0_EEESZ_S10_S11_S18_S1C_S1E_T6_T7_T9_mT8_S1G_bDpT10_ENKUlT_T0_E_clISt17integral_constantIbLb0EES1U_EEDaS1P_S1Q_EUlS1P_E_NS1_11comp_targetILNS1_3genE8ELNS1_11target_archE1030ELNS1_3gpuE2ELNS1_3repE0EEENS1_30default_config_static_selectorELNS0_4arch9wavefront6targetE0EEEvS12_ ; -- Begin function _ZN7rocprim17ROCPRIM_400000_NS6detail17trampoline_kernelINS0_13select_configILj256ELj13ELNS0_17block_load_methodE3ELS4_3ELS4_3ELNS0_20block_scan_algorithmE0ELj4294967295EEENS1_25partition_config_selectorILNS1_17partition_subalgoE4EjNS0_10empty_typeEbEEZZNS1_14partition_implILS8_4ELb0ES6_15HIP_vector_typeIjLj2EENS0_17counting_iteratorIjlEEPS9_SG_NS0_5tupleIJPjSI_NS0_16reverse_iteratorISI_EEEEENSH_IJSG_SG_SG_EEES9_SI_JZNS1_25segmented_radix_sort_implINS0_14default_configELb1EPKfPfPKlPlN2at6native12_GLOBAL__N_18offset_tEEE10hipError_tPvRmT1_PNSt15iterator_traitsIS12_E10value_typeET2_T3_PNS13_IS18_E10value_typeET4_jRbjT5_S1E_jjP12ihipStream_tbEUljE_ZNSN_ISO_Lb1ESQ_SR_ST_SU_SY_EESZ_S10_S11_S12_S16_S17_S18_S1B_S1C_jS1D_jS1E_S1E_jjS1G_bEUljE0_EEESZ_S10_S11_S18_S1C_S1E_T6_T7_T9_mT8_S1G_bDpT10_ENKUlT_T0_E_clISt17integral_constantIbLb0EES1U_EEDaS1P_S1Q_EUlS1P_E_NS1_11comp_targetILNS1_3genE8ELNS1_11target_archE1030ELNS1_3gpuE2ELNS1_3repE0EEENS1_30default_config_static_selectorELNS0_4arch9wavefront6targetE0EEEvS12_
	.p2align	8
	.type	_ZN7rocprim17ROCPRIM_400000_NS6detail17trampoline_kernelINS0_13select_configILj256ELj13ELNS0_17block_load_methodE3ELS4_3ELS4_3ELNS0_20block_scan_algorithmE0ELj4294967295EEENS1_25partition_config_selectorILNS1_17partition_subalgoE4EjNS0_10empty_typeEbEEZZNS1_14partition_implILS8_4ELb0ES6_15HIP_vector_typeIjLj2EENS0_17counting_iteratorIjlEEPS9_SG_NS0_5tupleIJPjSI_NS0_16reverse_iteratorISI_EEEEENSH_IJSG_SG_SG_EEES9_SI_JZNS1_25segmented_radix_sort_implINS0_14default_configELb1EPKfPfPKlPlN2at6native12_GLOBAL__N_18offset_tEEE10hipError_tPvRmT1_PNSt15iterator_traitsIS12_E10value_typeET2_T3_PNS13_IS18_E10value_typeET4_jRbjT5_S1E_jjP12ihipStream_tbEUljE_ZNSN_ISO_Lb1ESQ_SR_ST_SU_SY_EESZ_S10_S11_S12_S16_S17_S18_S1B_S1C_jS1D_jS1E_S1E_jjS1G_bEUljE0_EEESZ_S10_S11_S18_S1C_S1E_T6_T7_T9_mT8_S1G_bDpT10_ENKUlT_T0_E_clISt17integral_constantIbLb0EES1U_EEDaS1P_S1Q_EUlS1P_E_NS1_11comp_targetILNS1_3genE8ELNS1_11target_archE1030ELNS1_3gpuE2ELNS1_3repE0EEENS1_30default_config_static_selectorELNS0_4arch9wavefront6targetE0EEEvS12_,@function
_ZN7rocprim17ROCPRIM_400000_NS6detail17trampoline_kernelINS0_13select_configILj256ELj13ELNS0_17block_load_methodE3ELS4_3ELS4_3ELNS0_20block_scan_algorithmE0ELj4294967295EEENS1_25partition_config_selectorILNS1_17partition_subalgoE4EjNS0_10empty_typeEbEEZZNS1_14partition_implILS8_4ELb0ES6_15HIP_vector_typeIjLj2EENS0_17counting_iteratorIjlEEPS9_SG_NS0_5tupleIJPjSI_NS0_16reverse_iteratorISI_EEEEENSH_IJSG_SG_SG_EEES9_SI_JZNS1_25segmented_radix_sort_implINS0_14default_configELb1EPKfPfPKlPlN2at6native12_GLOBAL__N_18offset_tEEE10hipError_tPvRmT1_PNSt15iterator_traitsIS12_E10value_typeET2_T3_PNS13_IS18_E10value_typeET4_jRbjT5_S1E_jjP12ihipStream_tbEUljE_ZNSN_ISO_Lb1ESQ_SR_ST_SU_SY_EESZ_S10_S11_S12_S16_S17_S18_S1B_S1C_jS1D_jS1E_S1E_jjS1G_bEUljE0_EEESZ_S10_S11_S18_S1C_S1E_T6_T7_T9_mT8_S1G_bDpT10_ENKUlT_T0_E_clISt17integral_constantIbLb0EES1U_EEDaS1P_S1Q_EUlS1P_E_NS1_11comp_targetILNS1_3genE8ELNS1_11target_archE1030ELNS1_3gpuE2ELNS1_3repE0EEENS1_30default_config_static_selectorELNS0_4arch9wavefront6targetE0EEEvS12_: ; @_ZN7rocprim17ROCPRIM_400000_NS6detail17trampoline_kernelINS0_13select_configILj256ELj13ELNS0_17block_load_methodE3ELS4_3ELS4_3ELNS0_20block_scan_algorithmE0ELj4294967295EEENS1_25partition_config_selectorILNS1_17partition_subalgoE4EjNS0_10empty_typeEbEEZZNS1_14partition_implILS8_4ELb0ES6_15HIP_vector_typeIjLj2EENS0_17counting_iteratorIjlEEPS9_SG_NS0_5tupleIJPjSI_NS0_16reverse_iteratorISI_EEEEENSH_IJSG_SG_SG_EEES9_SI_JZNS1_25segmented_radix_sort_implINS0_14default_configELb1EPKfPfPKlPlN2at6native12_GLOBAL__N_18offset_tEEE10hipError_tPvRmT1_PNSt15iterator_traitsIS12_E10value_typeET2_T3_PNS13_IS18_E10value_typeET4_jRbjT5_S1E_jjP12ihipStream_tbEUljE_ZNSN_ISO_Lb1ESQ_SR_ST_SU_SY_EESZ_S10_S11_S12_S16_S17_S18_S1B_S1C_jS1D_jS1E_S1E_jjS1G_bEUljE0_EEESZ_S10_S11_S18_S1C_S1E_T6_T7_T9_mT8_S1G_bDpT10_ENKUlT_T0_E_clISt17integral_constantIbLb0EES1U_EEDaS1P_S1Q_EUlS1P_E_NS1_11comp_targetILNS1_3genE8ELNS1_11target_archE1030ELNS1_3gpuE2ELNS1_3repE0EEENS1_30default_config_static_selectorELNS0_4arch9wavefront6targetE0EEEvS12_
; %bb.0:
	.section	.rodata,"a",@progbits
	.p2align	6, 0x0
	.amdhsa_kernel _ZN7rocprim17ROCPRIM_400000_NS6detail17trampoline_kernelINS0_13select_configILj256ELj13ELNS0_17block_load_methodE3ELS4_3ELS4_3ELNS0_20block_scan_algorithmE0ELj4294967295EEENS1_25partition_config_selectorILNS1_17partition_subalgoE4EjNS0_10empty_typeEbEEZZNS1_14partition_implILS8_4ELb0ES6_15HIP_vector_typeIjLj2EENS0_17counting_iteratorIjlEEPS9_SG_NS0_5tupleIJPjSI_NS0_16reverse_iteratorISI_EEEEENSH_IJSG_SG_SG_EEES9_SI_JZNS1_25segmented_radix_sort_implINS0_14default_configELb1EPKfPfPKlPlN2at6native12_GLOBAL__N_18offset_tEEE10hipError_tPvRmT1_PNSt15iterator_traitsIS12_E10value_typeET2_T3_PNS13_IS18_E10value_typeET4_jRbjT5_S1E_jjP12ihipStream_tbEUljE_ZNSN_ISO_Lb1ESQ_SR_ST_SU_SY_EESZ_S10_S11_S12_S16_S17_S18_S1B_S1C_jS1D_jS1E_S1E_jjS1G_bEUljE0_EEESZ_S10_S11_S18_S1C_S1E_T6_T7_T9_mT8_S1G_bDpT10_ENKUlT_T0_E_clISt17integral_constantIbLb0EES1U_EEDaS1P_S1Q_EUlS1P_E_NS1_11comp_targetILNS1_3genE8ELNS1_11target_archE1030ELNS1_3gpuE2ELNS1_3repE0EEENS1_30default_config_static_selectorELNS0_4arch9wavefront6targetE0EEEvS12_
		.amdhsa_group_segment_fixed_size 0
		.amdhsa_private_segment_fixed_size 0
		.amdhsa_kernarg_size 176
		.amdhsa_user_sgpr_count 2
		.amdhsa_user_sgpr_dispatch_ptr 0
		.amdhsa_user_sgpr_queue_ptr 0
		.amdhsa_user_sgpr_kernarg_segment_ptr 1
		.amdhsa_user_sgpr_dispatch_id 0
		.amdhsa_user_sgpr_kernarg_preload_length 0
		.amdhsa_user_sgpr_kernarg_preload_offset 0
		.amdhsa_user_sgpr_private_segment_size 0
		.amdhsa_wavefront_size32 1
		.amdhsa_uses_dynamic_stack 0
		.amdhsa_enable_private_segment 0
		.amdhsa_system_sgpr_workgroup_id_x 1
		.amdhsa_system_sgpr_workgroup_id_y 0
		.amdhsa_system_sgpr_workgroup_id_z 0
		.amdhsa_system_sgpr_workgroup_info 0
		.amdhsa_system_vgpr_workitem_id 0
		.amdhsa_next_free_vgpr 1
		.amdhsa_next_free_sgpr 1
		.amdhsa_named_barrier_count 0
		.amdhsa_reserve_vcc 0
		.amdhsa_float_round_mode_32 0
		.amdhsa_float_round_mode_16_64 0
		.amdhsa_float_denorm_mode_32 3
		.amdhsa_float_denorm_mode_16_64 3
		.amdhsa_fp16_overflow 0
		.amdhsa_memory_ordered 1
		.amdhsa_forward_progress 1
		.amdhsa_inst_pref_size 0
		.amdhsa_round_robin_scheduling 0
		.amdhsa_exception_fp_ieee_invalid_op 0
		.amdhsa_exception_fp_denorm_src 0
		.amdhsa_exception_fp_ieee_div_zero 0
		.amdhsa_exception_fp_ieee_overflow 0
		.amdhsa_exception_fp_ieee_underflow 0
		.amdhsa_exception_fp_ieee_inexact 0
		.amdhsa_exception_int_div_zero 0
	.end_amdhsa_kernel
	.section	.text._ZN7rocprim17ROCPRIM_400000_NS6detail17trampoline_kernelINS0_13select_configILj256ELj13ELNS0_17block_load_methodE3ELS4_3ELS4_3ELNS0_20block_scan_algorithmE0ELj4294967295EEENS1_25partition_config_selectorILNS1_17partition_subalgoE4EjNS0_10empty_typeEbEEZZNS1_14partition_implILS8_4ELb0ES6_15HIP_vector_typeIjLj2EENS0_17counting_iteratorIjlEEPS9_SG_NS0_5tupleIJPjSI_NS0_16reverse_iteratorISI_EEEEENSH_IJSG_SG_SG_EEES9_SI_JZNS1_25segmented_radix_sort_implINS0_14default_configELb1EPKfPfPKlPlN2at6native12_GLOBAL__N_18offset_tEEE10hipError_tPvRmT1_PNSt15iterator_traitsIS12_E10value_typeET2_T3_PNS13_IS18_E10value_typeET4_jRbjT5_S1E_jjP12ihipStream_tbEUljE_ZNSN_ISO_Lb1ESQ_SR_ST_SU_SY_EESZ_S10_S11_S12_S16_S17_S18_S1B_S1C_jS1D_jS1E_S1E_jjS1G_bEUljE0_EEESZ_S10_S11_S18_S1C_S1E_T6_T7_T9_mT8_S1G_bDpT10_ENKUlT_T0_E_clISt17integral_constantIbLb0EES1U_EEDaS1P_S1Q_EUlS1P_E_NS1_11comp_targetILNS1_3genE8ELNS1_11target_archE1030ELNS1_3gpuE2ELNS1_3repE0EEENS1_30default_config_static_selectorELNS0_4arch9wavefront6targetE0EEEvS12_,"axG",@progbits,_ZN7rocprim17ROCPRIM_400000_NS6detail17trampoline_kernelINS0_13select_configILj256ELj13ELNS0_17block_load_methodE3ELS4_3ELS4_3ELNS0_20block_scan_algorithmE0ELj4294967295EEENS1_25partition_config_selectorILNS1_17partition_subalgoE4EjNS0_10empty_typeEbEEZZNS1_14partition_implILS8_4ELb0ES6_15HIP_vector_typeIjLj2EENS0_17counting_iteratorIjlEEPS9_SG_NS0_5tupleIJPjSI_NS0_16reverse_iteratorISI_EEEEENSH_IJSG_SG_SG_EEES9_SI_JZNS1_25segmented_radix_sort_implINS0_14default_configELb1EPKfPfPKlPlN2at6native12_GLOBAL__N_18offset_tEEE10hipError_tPvRmT1_PNSt15iterator_traitsIS12_E10value_typeET2_T3_PNS13_IS18_E10value_typeET4_jRbjT5_S1E_jjP12ihipStream_tbEUljE_ZNSN_ISO_Lb1ESQ_SR_ST_SU_SY_EESZ_S10_S11_S12_S16_S17_S18_S1B_S1C_jS1D_jS1E_S1E_jjS1G_bEUljE0_EEESZ_S10_S11_S18_S1C_S1E_T6_T7_T9_mT8_S1G_bDpT10_ENKUlT_T0_E_clISt17integral_constantIbLb0EES1U_EEDaS1P_S1Q_EUlS1P_E_NS1_11comp_targetILNS1_3genE8ELNS1_11target_archE1030ELNS1_3gpuE2ELNS1_3repE0EEENS1_30default_config_static_selectorELNS0_4arch9wavefront6targetE0EEEvS12_,comdat
.Lfunc_end1262:
	.size	_ZN7rocprim17ROCPRIM_400000_NS6detail17trampoline_kernelINS0_13select_configILj256ELj13ELNS0_17block_load_methodE3ELS4_3ELS4_3ELNS0_20block_scan_algorithmE0ELj4294967295EEENS1_25partition_config_selectorILNS1_17partition_subalgoE4EjNS0_10empty_typeEbEEZZNS1_14partition_implILS8_4ELb0ES6_15HIP_vector_typeIjLj2EENS0_17counting_iteratorIjlEEPS9_SG_NS0_5tupleIJPjSI_NS0_16reverse_iteratorISI_EEEEENSH_IJSG_SG_SG_EEES9_SI_JZNS1_25segmented_radix_sort_implINS0_14default_configELb1EPKfPfPKlPlN2at6native12_GLOBAL__N_18offset_tEEE10hipError_tPvRmT1_PNSt15iterator_traitsIS12_E10value_typeET2_T3_PNS13_IS18_E10value_typeET4_jRbjT5_S1E_jjP12ihipStream_tbEUljE_ZNSN_ISO_Lb1ESQ_SR_ST_SU_SY_EESZ_S10_S11_S12_S16_S17_S18_S1B_S1C_jS1D_jS1E_S1E_jjS1G_bEUljE0_EEESZ_S10_S11_S18_S1C_S1E_T6_T7_T9_mT8_S1G_bDpT10_ENKUlT_T0_E_clISt17integral_constantIbLb0EES1U_EEDaS1P_S1Q_EUlS1P_E_NS1_11comp_targetILNS1_3genE8ELNS1_11target_archE1030ELNS1_3gpuE2ELNS1_3repE0EEENS1_30default_config_static_selectorELNS0_4arch9wavefront6targetE0EEEvS12_, .Lfunc_end1262-_ZN7rocprim17ROCPRIM_400000_NS6detail17trampoline_kernelINS0_13select_configILj256ELj13ELNS0_17block_load_methodE3ELS4_3ELS4_3ELNS0_20block_scan_algorithmE0ELj4294967295EEENS1_25partition_config_selectorILNS1_17partition_subalgoE4EjNS0_10empty_typeEbEEZZNS1_14partition_implILS8_4ELb0ES6_15HIP_vector_typeIjLj2EENS0_17counting_iteratorIjlEEPS9_SG_NS0_5tupleIJPjSI_NS0_16reverse_iteratorISI_EEEEENSH_IJSG_SG_SG_EEES9_SI_JZNS1_25segmented_radix_sort_implINS0_14default_configELb1EPKfPfPKlPlN2at6native12_GLOBAL__N_18offset_tEEE10hipError_tPvRmT1_PNSt15iterator_traitsIS12_E10value_typeET2_T3_PNS13_IS18_E10value_typeET4_jRbjT5_S1E_jjP12ihipStream_tbEUljE_ZNSN_ISO_Lb1ESQ_SR_ST_SU_SY_EESZ_S10_S11_S12_S16_S17_S18_S1B_S1C_jS1D_jS1E_S1E_jjS1G_bEUljE0_EEESZ_S10_S11_S18_S1C_S1E_T6_T7_T9_mT8_S1G_bDpT10_ENKUlT_T0_E_clISt17integral_constantIbLb0EES1U_EEDaS1P_S1Q_EUlS1P_E_NS1_11comp_targetILNS1_3genE8ELNS1_11target_archE1030ELNS1_3gpuE2ELNS1_3repE0EEENS1_30default_config_static_selectorELNS0_4arch9wavefront6targetE0EEEvS12_
                                        ; -- End function
	.set _ZN7rocprim17ROCPRIM_400000_NS6detail17trampoline_kernelINS0_13select_configILj256ELj13ELNS0_17block_load_methodE3ELS4_3ELS4_3ELNS0_20block_scan_algorithmE0ELj4294967295EEENS1_25partition_config_selectorILNS1_17partition_subalgoE4EjNS0_10empty_typeEbEEZZNS1_14partition_implILS8_4ELb0ES6_15HIP_vector_typeIjLj2EENS0_17counting_iteratorIjlEEPS9_SG_NS0_5tupleIJPjSI_NS0_16reverse_iteratorISI_EEEEENSH_IJSG_SG_SG_EEES9_SI_JZNS1_25segmented_radix_sort_implINS0_14default_configELb1EPKfPfPKlPlN2at6native12_GLOBAL__N_18offset_tEEE10hipError_tPvRmT1_PNSt15iterator_traitsIS12_E10value_typeET2_T3_PNS13_IS18_E10value_typeET4_jRbjT5_S1E_jjP12ihipStream_tbEUljE_ZNSN_ISO_Lb1ESQ_SR_ST_SU_SY_EESZ_S10_S11_S12_S16_S17_S18_S1B_S1C_jS1D_jS1E_S1E_jjS1G_bEUljE0_EEESZ_S10_S11_S18_S1C_S1E_T6_T7_T9_mT8_S1G_bDpT10_ENKUlT_T0_E_clISt17integral_constantIbLb0EES1U_EEDaS1P_S1Q_EUlS1P_E_NS1_11comp_targetILNS1_3genE8ELNS1_11target_archE1030ELNS1_3gpuE2ELNS1_3repE0EEENS1_30default_config_static_selectorELNS0_4arch9wavefront6targetE0EEEvS12_.num_vgpr, 0
	.set _ZN7rocprim17ROCPRIM_400000_NS6detail17trampoline_kernelINS0_13select_configILj256ELj13ELNS0_17block_load_methodE3ELS4_3ELS4_3ELNS0_20block_scan_algorithmE0ELj4294967295EEENS1_25partition_config_selectorILNS1_17partition_subalgoE4EjNS0_10empty_typeEbEEZZNS1_14partition_implILS8_4ELb0ES6_15HIP_vector_typeIjLj2EENS0_17counting_iteratorIjlEEPS9_SG_NS0_5tupleIJPjSI_NS0_16reverse_iteratorISI_EEEEENSH_IJSG_SG_SG_EEES9_SI_JZNS1_25segmented_radix_sort_implINS0_14default_configELb1EPKfPfPKlPlN2at6native12_GLOBAL__N_18offset_tEEE10hipError_tPvRmT1_PNSt15iterator_traitsIS12_E10value_typeET2_T3_PNS13_IS18_E10value_typeET4_jRbjT5_S1E_jjP12ihipStream_tbEUljE_ZNSN_ISO_Lb1ESQ_SR_ST_SU_SY_EESZ_S10_S11_S12_S16_S17_S18_S1B_S1C_jS1D_jS1E_S1E_jjS1G_bEUljE0_EEESZ_S10_S11_S18_S1C_S1E_T6_T7_T9_mT8_S1G_bDpT10_ENKUlT_T0_E_clISt17integral_constantIbLb0EES1U_EEDaS1P_S1Q_EUlS1P_E_NS1_11comp_targetILNS1_3genE8ELNS1_11target_archE1030ELNS1_3gpuE2ELNS1_3repE0EEENS1_30default_config_static_selectorELNS0_4arch9wavefront6targetE0EEEvS12_.num_agpr, 0
	.set _ZN7rocprim17ROCPRIM_400000_NS6detail17trampoline_kernelINS0_13select_configILj256ELj13ELNS0_17block_load_methodE3ELS4_3ELS4_3ELNS0_20block_scan_algorithmE0ELj4294967295EEENS1_25partition_config_selectorILNS1_17partition_subalgoE4EjNS0_10empty_typeEbEEZZNS1_14partition_implILS8_4ELb0ES6_15HIP_vector_typeIjLj2EENS0_17counting_iteratorIjlEEPS9_SG_NS0_5tupleIJPjSI_NS0_16reverse_iteratorISI_EEEEENSH_IJSG_SG_SG_EEES9_SI_JZNS1_25segmented_radix_sort_implINS0_14default_configELb1EPKfPfPKlPlN2at6native12_GLOBAL__N_18offset_tEEE10hipError_tPvRmT1_PNSt15iterator_traitsIS12_E10value_typeET2_T3_PNS13_IS18_E10value_typeET4_jRbjT5_S1E_jjP12ihipStream_tbEUljE_ZNSN_ISO_Lb1ESQ_SR_ST_SU_SY_EESZ_S10_S11_S12_S16_S17_S18_S1B_S1C_jS1D_jS1E_S1E_jjS1G_bEUljE0_EEESZ_S10_S11_S18_S1C_S1E_T6_T7_T9_mT8_S1G_bDpT10_ENKUlT_T0_E_clISt17integral_constantIbLb0EES1U_EEDaS1P_S1Q_EUlS1P_E_NS1_11comp_targetILNS1_3genE8ELNS1_11target_archE1030ELNS1_3gpuE2ELNS1_3repE0EEENS1_30default_config_static_selectorELNS0_4arch9wavefront6targetE0EEEvS12_.numbered_sgpr, 0
	.set _ZN7rocprim17ROCPRIM_400000_NS6detail17trampoline_kernelINS0_13select_configILj256ELj13ELNS0_17block_load_methodE3ELS4_3ELS4_3ELNS0_20block_scan_algorithmE0ELj4294967295EEENS1_25partition_config_selectorILNS1_17partition_subalgoE4EjNS0_10empty_typeEbEEZZNS1_14partition_implILS8_4ELb0ES6_15HIP_vector_typeIjLj2EENS0_17counting_iteratorIjlEEPS9_SG_NS0_5tupleIJPjSI_NS0_16reverse_iteratorISI_EEEEENSH_IJSG_SG_SG_EEES9_SI_JZNS1_25segmented_radix_sort_implINS0_14default_configELb1EPKfPfPKlPlN2at6native12_GLOBAL__N_18offset_tEEE10hipError_tPvRmT1_PNSt15iterator_traitsIS12_E10value_typeET2_T3_PNS13_IS18_E10value_typeET4_jRbjT5_S1E_jjP12ihipStream_tbEUljE_ZNSN_ISO_Lb1ESQ_SR_ST_SU_SY_EESZ_S10_S11_S12_S16_S17_S18_S1B_S1C_jS1D_jS1E_S1E_jjS1G_bEUljE0_EEESZ_S10_S11_S18_S1C_S1E_T6_T7_T9_mT8_S1G_bDpT10_ENKUlT_T0_E_clISt17integral_constantIbLb0EES1U_EEDaS1P_S1Q_EUlS1P_E_NS1_11comp_targetILNS1_3genE8ELNS1_11target_archE1030ELNS1_3gpuE2ELNS1_3repE0EEENS1_30default_config_static_selectorELNS0_4arch9wavefront6targetE0EEEvS12_.num_named_barrier, 0
	.set _ZN7rocprim17ROCPRIM_400000_NS6detail17trampoline_kernelINS0_13select_configILj256ELj13ELNS0_17block_load_methodE3ELS4_3ELS4_3ELNS0_20block_scan_algorithmE0ELj4294967295EEENS1_25partition_config_selectorILNS1_17partition_subalgoE4EjNS0_10empty_typeEbEEZZNS1_14partition_implILS8_4ELb0ES6_15HIP_vector_typeIjLj2EENS0_17counting_iteratorIjlEEPS9_SG_NS0_5tupleIJPjSI_NS0_16reverse_iteratorISI_EEEEENSH_IJSG_SG_SG_EEES9_SI_JZNS1_25segmented_radix_sort_implINS0_14default_configELb1EPKfPfPKlPlN2at6native12_GLOBAL__N_18offset_tEEE10hipError_tPvRmT1_PNSt15iterator_traitsIS12_E10value_typeET2_T3_PNS13_IS18_E10value_typeET4_jRbjT5_S1E_jjP12ihipStream_tbEUljE_ZNSN_ISO_Lb1ESQ_SR_ST_SU_SY_EESZ_S10_S11_S12_S16_S17_S18_S1B_S1C_jS1D_jS1E_S1E_jjS1G_bEUljE0_EEESZ_S10_S11_S18_S1C_S1E_T6_T7_T9_mT8_S1G_bDpT10_ENKUlT_T0_E_clISt17integral_constantIbLb0EES1U_EEDaS1P_S1Q_EUlS1P_E_NS1_11comp_targetILNS1_3genE8ELNS1_11target_archE1030ELNS1_3gpuE2ELNS1_3repE0EEENS1_30default_config_static_selectorELNS0_4arch9wavefront6targetE0EEEvS12_.private_seg_size, 0
	.set _ZN7rocprim17ROCPRIM_400000_NS6detail17trampoline_kernelINS0_13select_configILj256ELj13ELNS0_17block_load_methodE3ELS4_3ELS4_3ELNS0_20block_scan_algorithmE0ELj4294967295EEENS1_25partition_config_selectorILNS1_17partition_subalgoE4EjNS0_10empty_typeEbEEZZNS1_14partition_implILS8_4ELb0ES6_15HIP_vector_typeIjLj2EENS0_17counting_iteratorIjlEEPS9_SG_NS0_5tupleIJPjSI_NS0_16reverse_iteratorISI_EEEEENSH_IJSG_SG_SG_EEES9_SI_JZNS1_25segmented_radix_sort_implINS0_14default_configELb1EPKfPfPKlPlN2at6native12_GLOBAL__N_18offset_tEEE10hipError_tPvRmT1_PNSt15iterator_traitsIS12_E10value_typeET2_T3_PNS13_IS18_E10value_typeET4_jRbjT5_S1E_jjP12ihipStream_tbEUljE_ZNSN_ISO_Lb1ESQ_SR_ST_SU_SY_EESZ_S10_S11_S12_S16_S17_S18_S1B_S1C_jS1D_jS1E_S1E_jjS1G_bEUljE0_EEESZ_S10_S11_S18_S1C_S1E_T6_T7_T9_mT8_S1G_bDpT10_ENKUlT_T0_E_clISt17integral_constantIbLb0EES1U_EEDaS1P_S1Q_EUlS1P_E_NS1_11comp_targetILNS1_3genE8ELNS1_11target_archE1030ELNS1_3gpuE2ELNS1_3repE0EEENS1_30default_config_static_selectorELNS0_4arch9wavefront6targetE0EEEvS12_.uses_vcc, 0
	.set _ZN7rocprim17ROCPRIM_400000_NS6detail17trampoline_kernelINS0_13select_configILj256ELj13ELNS0_17block_load_methodE3ELS4_3ELS4_3ELNS0_20block_scan_algorithmE0ELj4294967295EEENS1_25partition_config_selectorILNS1_17partition_subalgoE4EjNS0_10empty_typeEbEEZZNS1_14partition_implILS8_4ELb0ES6_15HIP_vector_typeIjLj2EENS0_17counting_iteratorIjlEEPS9_SG_NS0_5tupleIJPjSI_NS0_16reverse_iteratorISI_EEEEENSH_IJSG_SG_SG_EEES9_SI_JZNS1_25segmented_radix_sort_implINS0_14default_configELb1EPKfPfPKlPlN2at6native12_GLOBAL__N_18offset_tEEE10hipError_tPvRmT1_PNSt15iterator_traitsIS12_E10value_typeET2_T3_PNS13_IS18_E10value_typeET4_jRbjT5_S1E_jjP12ihipStream_tbEUljE_ZNSN_ISO_Lb1ESQ_SR_ST_SU_SY_EESZ_S10_S11_S12_S16_S17_S18_S1B_S1C_jS1D_jS1E_S1E_jjS1G_bEUljE0_EEESZ_S10_S11_S18_S1C_S1E_T6_T7_T9_mT8_S1G_bDpT10_ENKUlT_T0_E_clISt17integral_constantIbLb0EES1U_EEDaS1P_S1Q_EUlS1P_E_NS1_11comp_targetILNS1_3genE8ELNS1_11target_archE1030ELNS1_3gpuE2ELNS1_3repE0EEENS1_30default_config_static_selectorELNS0_4arch9wavefront6targetE0EEEvS12_.uses_flat_scratch, 0
	.set _ZN7rocprim17ROCPRIM_400000_NS6detail17trampoline_kernelINS0_13select_configILj256ELj13ELNS0_17block_load_methodE3ELS4_3ELS4_3ELNS0_20block_scan_algorithmE0ELj4294967295EEENS1_25partition_config_selectorILNS1_17partition_subalgoE4EjNS0_10empty_typeEbEEZZNS1_14partition_implILS8_4ELb0ES6_15HIP_vector_typeIjLj2EENS0_17counting_iteratorIjlEEPS9_SG_NS0_5tupleIJPjSI_NS0_16reverse_iteratorISI_EEEEENSH_IJSG_SG_SG_EEES9_SI_JZNS1_25segmented_radix_sort_implINS0_14default_configELb1EPKfPfPKlPlN2at6native12_GLOBAL__N_18offset_tEEE10hipError_tPvRmT1_PNSt15iterator_traitsIS12_E10value_typeET2_T3_PNS13_IS18_E10value_typeET4_jRbjT5_S1E_jjP12ihipStream_tbEUljE_ZNSN_ISO_Lb1ESQ_SR_ST_SU_SY_EESZ_S10_S11_S12_S16_S17_S18_S1B_S1C_jS1D_jS1E_S1E_jjS1G_bEUljE0_EEESZ_S10_S11_S18_S1C_S1E_T6_T7_T9_mT8_S1G_bDpT10_ENKUlT_T0_E_clISt17integral_constantIbLb0EES1U_EEDaS1P_S1Q_EUlS1P_E_NS1_11comp_targetILNS1_3genE8ELNS1_11target_archE1030ELNS1_3gpuE2ELNS1_3repE0EEENS1_30default_config_static_selectorELNS0_4arch9wavefront6targetE0EEEvS12_.has_dyn_sized_stack, 0
	.set _ZN7rocprim17ROCPRIM_400000_NS6detail17trampoline_kernelINS0_13select_configILj256ELj13ELNS0_17block_load_methodE3ELS4_3ELS4_3ELNS0_20block_scan_algorithmE0ELj4294967295EEENS1_25partition_config_selectorILNS1_17partition_subalgoE4EjNS0_10empty_typeEbEEZZNS1_14partition_implILS8_4ELb0ES6_15HIP_vector_typeIjLj2EENS0_17counting_iteratorIjlEEPS9_SG_NS0_5tupleIJPjSI_NS0_16reverse_iteratorISI_EEEEENSH_IJSG_SG_SG_EEES9_SI_JZNS1_25segmented_radix_sort_implINS0_14default_configELb1EPKfPfPKlPlN2at6native12_GLOBAL__N_18offset_tEEE10hipError_tPvRmT1_PNSt15iterator_traitsIS12_E10value_typeET2_T3_PNS13_IS18_E10value_typeET4_jRbjT5_S1E_jjP12ihipStream_tbEUljE_ZNSN_ISO_Lb1ESQ_SR_ST_SU_SY_EESZ_S10_S11_S12_S16_S17_S18_S1B_S1C_jS1D_jS1E_S1E_jjS1G_bEUljE0_EEESZ_S10_S11_S18_S1C_S1E_T6_T7_T9_mT8_S1G_bDpT10_ENKUlT_T0_E_clISt17integral_constantIbLb0EES1U_EEDaS1P_S1Q_EUlS1P_E_NS1_11comp_targetILNS1_3genE8ELNS1_11target_archE1030ELNS1_3gpuE2ELNS1_3repE0EEENS1_30default_config_static_selectorELNS0_4arch9wavefront6targetE0EEEvS12_.has_recursion, 0
	.set _ZN7rocprim17ROCPRIM_400000_NS6detail17trampoline_kernelINS0_13select_configILj256ELj13ELNS0_17block_load_methodE3ELS4_3ELS4_3ELNS0_20block_scan_algorithmE0ELj4294967295EEENS1_25partition_config_selectorILNS1_17partition_subalgoE4EjNS0_10empty_typeEbEEZZNS1_14partition_implILS8_4ELb0ES6_15HIP_vector_typeIjLj2EENS0_17counting_iteratorIjlEEPS9_SG_NS0_5tupleIJPjSI_NS0_16reverse_iteratorISI_EEEEENSH_IJSG_SG_SG_EEES9_SI_JZNS1_25segmented_radix_sort_implINS0_14default_configELb1EPKfPfPKlPlN2at6native12_GLOBAL__N_18offset_tEEE10hipError_tPvRmT1_PNSt15iterator_traitsIS12_E10value_typeET2_T3_PNS13_IS18_E10value_typeET4_jRbjT5_S1E_jjP12ihipStream_tbEUljE_ZNSN_ISO_Lb1ESQ_SR_ST_SU_SY_EESZ_S10_S11_S12_S16_S17_S18_S1B_S1C_jS1D_jS1E_S1E_jjS1G_bEUljE0_EEESZ_S10_S11_S18_S1C_S1E_T6_T7_T9_mT8_S1G_bDpT10_ENKUlT_T0_E_clISt17integral_constantIbLb0EES1U_EEDaS1P_S1Q_EUlS1P_E_NS1_11comp_targetILNS1_3genE8ELNS1_11target_archE1030ELNS1_3gpuE2ELNS1_3repE0EEENS1_30default_config_static_selectorELNS0_4arch9wavefront6targetE0EEEvS12_.has_indirect_call, 0
	.section	.AMDGPU.csdata,"",@progbits
; Kernel info:
; codeLenInByte = 0
; TotalNumSgprs: 0
; NumVgprs: 0
; ScratchSize: 0
; MemoryBound: 0
; FloatMode: 240
; IeeeMode: 1
; LDSByteSize: 0 bytes/workgroup (compile time only)
; SGPRBlocks: 0
; VGPRBlocks: 0
; NumSGPRsForWavesPerEU: 1
; NumVGPRsForWavesPerEU: 1
; NamedBarCnt: 0
; Occupancy: 16
; WaveLimiterHint : 0
; COMPUTE_PGM_RSRC2:SCRATCH_EN: 0
; COMPUTE_PGM_RSRC2:USER_SGPR: 2
; COMPUTE_PGM_RSRC2:TRAP_HANDLER: 0
; COMPUTE_PGM_RSRC2:TGID_X_EN: 1
; COMPUTE_PGM_RSRC2:TGID_Y_EN: 0
; COMPUTE_PGM_RSRC2:TGID_Z_EN: 0
; COMPUTE_PGM_RSRC2:TIDIG_COMP_CNT: 0
	.section	.text._ZN7rocprim17ROCPRIM_400000_NS6detail17trampoline_kernelINS0_13select_configILj256ELj13ELNS0_17block_load_methodE3ELS4_3ELS4_3ELNS0_20block_scan_algorithmE0ELj4294967295EEENS1_25partition_config_selectorILNS1_17partition_subalgoE4EjNS0_10empty_typeEbEEZZNS1_14partition_implILS8_4ELb0ES6_15HIP_vector_typeIjLj2EENS0_17counting_iteratorIjlEEPS9_SG_NS0_5tupleIJPjSI_NS0_16reverse_iteratorISI_EEEEENSH_IJSG_SG_SG_EEES9_SI_JZNS1_25segmented_radix_sort_implINS0_14default_configELb1EPKfPfPKlPlN2at6native12_GLOBAL__N_18offset_tEEE10hipError_tPvRmT1_PNSt15iterator_traitsIS12_E10value_typeET2_T3_PNS13_IS18_E10value_typeET4_jRbjT5_S1E_jjP12ihipStream_tbEUljE_ZNSN_ISO_Lb1ESQ_SR_ST_SU_SY_EESZ_S10_S11_S12_S16_S17_S18_S1B_S1C_jS1D_jS1E_S1E_jjS1G_bEUljE0_EEESZ_S10_S11_S18_S1C_S1E_T6_T7_T9_mT8_S1G_bDpT10_ENKUlT_T0_E_clISt17integral_constantIbLb1EES1U_EEDaS1P_S1Q_EUlS1P_E_NS1_11comp_targetILNS1_3genE0ELNS1_11target_archE4294967295ELNS1_3gpuE0ELNS1_3repE0EEENS1_30default_config_static_selectorELNS0_4arch9wavefront6targetE0EEEvS12_,"axG",@progbits,_ZN7rocprim17ROCPRIM_400000_NS6detail17trampoline_kernelINS0_13select_configILj256ELj13ELNS0_17block_load_methodE3ELS4_3ELS4_3ELNS0_20block_scan_algorithmE0ELj4294967295EEENS1_25partition_config_selectorILNS1_17partition_subalgoE4EjNS0_10empty_typeEbEEZZNS1_14partition_implILS8_4ELb0ES6_15HIP_vector_typeIjLj2EENS0_17counting_iteratorIjlEEPS9_SG_NS0_5tupleIJPjSI_NS0_16reverse_iteratorISI_EEEEENSH_IJSG_SG_SG_EEES9_SI_JZNS1_25segmented_radix_sort_implINS0_14default_configELb1EPKfPfPKlPlN2at6native12_GLOBAL__N_18offset_tEEE10hipError_tPvRmT1_PNSt15iterator_traitsIS12_E10value_typeET2_T3_PNS13_IS18_E10value_typeET4_jRbjT5_S1E_jjP12ihipStream_tbEUljE_ZNSN_ISO_Lb1ESQ_SR_ST_SU_SY_EESZ_S10_S11_S12_S16_S17_S18_S1B_S1C_jS1D_jS1E_S1E_jjS1G_bEUljE0_EEESZ_S10_S11_S18_S1C_S1E_T6_T7_T9_mT8_S1G_bDpT10_ENKUlT_T0_E_clISt17integral_constantIbLb1EES1U_EEDaS1P_S1Q_EUlS1P_E_NS1_11comp_targetILNS1_3genE0ELNS1_11target_archE4294967295ELNS1_3gpuE0ELNS1_3repE0EEENS1_30default_config_static_selectorELNS0_4arch9wavefront6targetE0EEEvS12_,comdat
	.globl	_ZN7rocprim17ROCPRIM_400000_NS6detail17trampoline_kernelINS0_13select_configILj256ELj13ELNS0_17block_load_methodE3ELS4_3ELS4_3ELNS0_20block_scan_algorithmE0ELj4294967295EEENS1_25partition_config_selectorILNS1_17partition_subalgoE4EjNS0_10empty_typeEbEEZZNS1_14partition_implILS8_4ELb0ES6_15HIP_vector_typeIjLj2EENS0_17counting_iteratorIjlEEPS9_SG_NS0_5tupleIJPjSI_NS0_16reverse_iteratorISI_EEEEENSH_IJSG_SG_SG_EEES9_SI_JZNS1_25segmented_radix_sort_implINS0_14default_configELb1EPKfPfPKlPlN2at6native12_GLOBAL__N_18offset_tEEE10hipError_tPvRmT1_PNSt15iterator_traitsIS12_E10value_typeET2_T3_PNS13_IS18_E10value_typeET4_jRbjT5_S1E_jjP12ihipStream_tbEUljE_ZNSN_ISO_Lb1ESQ_SR_ST_SU_SY_EESZ_S10_S11_S12_S16_S17_S18_S1B_S1C_jS1D_jS1E_S1E_jjS1G_bEUljE0_EEESZ_S10_S11_S18_S1C_S1E_T6_T7_T9_mT8_S1G_bDpT10_ENKUlT_T0_E_clISt17integral_constantIbLb1EES1U_EEDaS1P_S1Q_EUlS1P_E_NS1_11comp_targetILNS1_3genE0ELNS1_11target_archE4294967295ELNS1_3gpuE0ELNS1_3repE0EEENS1_30default_config_static_selectorELNS0_4arch9wavefront6targetE0EEEvS12_ ; -- Begin function _ZN7rocprim17ROCPRIM_400000_NS6detail17trampoline_kernelINS0_13select_configILj256ELj13ELNS0_17block_load_methodE3ELS4_3ELS4_3ELNS0_20block_scan_algorithmE0ELj4294967295EEENS1_25partition_config_selectorILNS1_17partition_subalgoE4EjNS0_10empty_typeEbEEZZNS1_14partition_implILS8_4ELb0ES6_15HIP_vector_typeIjLj2EENS0_17counting_iteratorIjlEEPS9_SG_NS0_5tupleIJPjSI_NS0_16reverse_iteratorISI_EEEEENSH_IJSG_SG_SG_EEES9_SI_JZNS1_25segmented_radix_sort_implINS0_14default_configELb1EPKfPfPKlPlN2at6native12_GLOBAL__N_18offset_tEEE10hipError_tPvRmT1_PNSt15iterator_traitsIS12_E10value_typeET2_T3_PNS13_IS18_E10value_typeET4_jRbjT5_S1E_jjP12ihipStream_tbEUljE_ZNSN_ISO_Lb1ESQ_SR_ST_SU_SY_EESZ_S10_S11_S12_S16_S17_S18_S1B_S1C_jS1D_jS1E_S1E_jjS1G_bEUljE0_EEESZ_S10_S11_S18_S1C_S1E_T6_T7_T9_mT8_S1G_bDpT10_ENKUlT_T0_E_clISt17integral_constantIbLb1EES1U_EEDaS1P_S1Q_EUlS1P_E_NS1_11comp_targetILNS1_3genE0ELNS1_11target_archE4294967295ELNS1_3gpuE0ELNS1_3repE0EEENS1_30default_config_static_selectorELNS0_4arch9wavefront6targetE0EEEvS12_
	.p2align	8
	.type	_ZN7rocprim17ROCPRIM_400000_NS6detail17trampoline_kernelINS0_13select_configILj256ELj13ELNS0_17block_load_methodE3ELS4_3ELS4_3ELNS0_20block_scan_algorithmE0ELj4294967295EEENS1_25partition_config_selectorILNS1_17partition_subalgoE4EjNS0_10empty_typeEbEEZZNS1_14partition_implILS8_4ELb0ES6_15HIP_vector_typeIjLj2EENS0_17counting_iteratorIjlEEPS9_SG_NS0_5tupleIJPjSI_NS0_16reverse_iteratorISI_EEEEENSH_IJSG_SG_SG_EEES9_SI_JZNS1_25segmented_radix_sort_implINS0_14default_configELb1EPKfPfPKlPlN2at6native12_GLOBAL__N_18offset_tEEE10hipError_tPvRmT1_PNSt15iterator_traitsIS12_E10value_typeET2_T3_PNS13_IS18_E10value_typeET4_jRbjT5_S1E_jjP12ihipStream_tbEUljE_ZNSN_ISO_Lb1ESQ_SR_ST_SU_SY_EESZ_S10_S11_S12_S16_S17_S18_S1B_S1C_jS1D_jS1E_S1E_jjS1G_bEUljE0_EEESZ_S10_S11_S18_S1C_S1E_T6_T7_T9_mT8_S1G_bDpT10_ENKUlT_T0_E_clISt17integral_constantIbLb1EES1U_EEDaS1P_S1Q_EUlS1P_E_NS1_11comp_targetILNS1_3genE0ELNS1_11target_archE4294967295ELNS1_3gpuE0ELNS1_3repE0EEENS1_30default_config_static_selectorELNS0_4arch9wavefront6targetE0EEEvS12_,@function
_ZN7rocprim17ROCPRIM_400000_NS6detail17trampoline_kernelINS0_13select_configILj256ELj13ELNS0_17block_load_methodE3ELS4_3ELS4_3ELNS0_20block_scan_algorithmE0ELj4294967295EEENS1_25partition_config_selectorILNS1_17partition_subalgoE4EjNS0_10empty_typeEbEEZZNS1_14partition_implILS8_4ELb0ES6_15HIP_vector_typeIjLj2EENS0_17counting_iteratorIjlEEPS9_SG_NS0_5tupleIJPjSI_NS0_16reverse_iteratorISI_EEEEENSH_IJSG_SG_SG_EEES9_SI_JZNS1_25segmented_radix_sort_implINS0_14default_configELb1EPKfPfPKlPlN2at6native12_GLOBAL__N_18offset_tEEE10hipError_tPvRmT1_PNSt15iterator_traitsIS12_E10value_typeET2_T3_PNS13_IS18_E10value_typeET4_jRbjT5_S1E_jjP12ihipStream_tbEUljE_ZNSN_ISO_Lb1ESQ_SR_ST_SU_SY_EESZ_S10_S11_S12_S16_S17_S18_S1B_S1C_jS1D_jS1E_S1E_jjS1G_bEUljE0_EEESZ_S10_S11_S18_S1C_S1E_T6_T7_T9_mT8_S1G_bDpT10_ENKUlT_T0_E_clISt17integral_constantIbLb1EES1U_EEDaS1P_S1Q_EUlS1P_E_NS1_11comp_targetILNS1_3genE0ELNS1_11target_archE4294967295ELNS1_3gpuE0ELNS1_3repE0EEENS1_30default_config_static_selectorELNS0_4arch9wavefront6targetE0EEEvS12_: ; @_ZN7rocprim17ROCPRIM_400000_NS6detail17trampoline_kernelINS0_13select_configILj256ELj13ELNS0_17block_load_methodE3ELS4_3ELS4_3ELNS0_20block_scan_algorithmE0ELj4294967295EEENS1_25partition_config_selectorILNS1_17partition_subalgoE4EjNS0_10empty_typeEbEEZZNS1_14partition_implILS8_4ELb0ES6_15HIP_vector_typeIjLj2EENS0_17counting_iteratorIjlEEPS9_SG_NS0_5tupleIJPjSI_NS0_16reverse_iteratorISI_EEEEENSH_IJSG_SG_SG_EEES9_SI_JZNS1_25segmented_radix_sort_implINS0_14default_configELb1EPKfPfPKlPlN2at6native12_GLOBAL__N_18offset_tEEE10hipError_tPvRmT1_PNSt15iterator_traitsIS12_E10value_typeET2_T3_PNS13_IS18_E10value_typeET4_jRbjT5_S1E_jjP12ihipStream_tbEUljE_ZNSN_ISO_Lb1ESQ_SR_ST_SU_SY_EESZ_S10_S11_S12_S16_S17_S18_S1B_S1C_jS1D_jS1E_S1E_jjS1G_bEUljE0_EEESZ_S10_S11_S18_S1C_S1E_T6_T7_T9_mT8_S1G_bDpT10_ENKUlT_T0_E_clISt17integral_constantIbLb1EES1U_EEDaS1P_S1Q_EUlS1P_E_NS1_11comp_targetILNS1_3genE0ELNS1_11target_archE4294967295ELNS1_3gpuE0ELNS1_3repE0EEENS1_30default_config_static_selectorELNS0_4arch9wavefront6targetE0EEEvS12_
; %bb.0:
	s_endpgm
	.section	.rodata,"a",@progbits
	.p2align	6, 0x0
	.amdhsa_kernel _ZN7rocprim17ROCPRIM_400000_NS6detail17trampoline_kernelINS0_13select_configILj256ELj13ELNS0_17block_load_methodE3ELS4_3ELS4_3ELNS0_20block_scan_algorithmE0ELj4294967295EEENS1_25partition_config_selectorILNS1_17partition_subalgoE4EjNS0_10empty_typeEbEEZZNS1_14partition_implILS8_4ELb0ES6_15HIP_vector_typeIjLj2EENS0_17counting_iteratorIjlEEPS9_SG_NS0_5tupleIJPjSI_NS0_16reverse_iteratorISI_EEEEENSH_IJSG_SG_SG_EEES9_SI_JZNS1_25segmented_radix_sort_implINS0_14default_configELb1EPKfPfPKlPlN2at6native12_GLOBAL__N_18offset_tEEE10hipError_tPvRmT1_PNSt15iterator_traitsIS12_E10value_typeET2_T3_PNS13_IS18_E10value_typeET4_jRbjT5_S1E_jjP12ihipStream_tbEUljE_ZNSN_ISO_Lb1ESQ_SR_ST_SU_SY_EESZ_S10_S11_S12_S16_S17_S18_S1B_S1C_jS1D_jS1E_S1E_jjS1G_bEUljE0_EEESZ_S10_S11_S18_S1C_S1E_T6_T7_T9_mT8_S1G_bDpT10_ENKUlT_T0_E_clISt17integral_constantIbLb1EES1U_EEDaS1P_S1Q_EUlS1P_E_NS1_11comp_targetILNS1_3genE0ELNS1_11target_archE4294967295ELNS1_3gpuE0ELNS1_3repE0EEENS1_30default_config_static_selectorELNS0_4arch9wavefront6targetE0EEEvS12_
		.amdhsa_group_segment_fixed_size 0
		.amdhsa_private_segment_fixed_size 0
		.amdhsa_kernarg_size 184
		.amdhsa_user_sgpr_count 2
		.amdhsa_user_sgpr_dispatch_ptr 0
		.amdhsa_user_sgpr_queue_ptr 0
		.amdhsa_user_sgpr_kernarg_segment_ptr 1
		.amdhsa_user_sgpr_dispatch_id 0
		.amdhsa_user_sgpr_kernarg_preload_length 0
		.amdhsa_user_sgpr_kernarg_preload_offset 0
		.amdhsa_user_sgpr_private_segment_size 0
		.amdhsa_wavefront_size32 1
		.amdhsa_uses_dynamic_stack 0
		.amdhsa_enable_private_segment 0
		.amdhsa_system_sgpr_workgroup_id_x 1
		.amdhsa_system_sgpr_workgroup_id_y 0
		.amdhsa_system_sgpr_workgroup_id_z 0
		.amdhsa_system_sgpr_workgroup_info 0
		.amdhsa_system_vgpr_workitem_id 0
		.amdhsa_next_free_vgpr 1
		.amdhsa_next_free_sgpr 1
		.amdhsa_named_barrier_count 0
		.amdhsa_reserve_vcc 0
		.amdhsa_float_round_mode_32 0
		.amdhsa_float_round_mode_16_64 0
		.amdhsa_float_denorm_mode_32 3
		.amdhsa_float_denorm_mode_16_64 3
		.amdhsa_fp16_overflow 0
		.amdhsa_memory_ordered 1
		.amdhsa_forward_progress 1
		.amdhsa_inst_pref_size 1
		.amdhsa_round_robin_scheduling 0
		.amdhsa_exception_fp_ieee_invalid_op 0
		.amdhsa_exception_fp_denorm_src 0
		.amdhsa_exception_fp_ieee_div_zero 0
		.amdhsa_exception_fp_ieee_overflow 0
		.amdhsa_exception_fp_ieee_underflow 0
		.amdhsa_exception_fp_ieee_inexact 0
		.amdhsa_exception_int_div_zero 0
	.end_amdhsa_kernel
	.section	.text._ZN7rocprim17ROCPRIM_400000_NS6detail17trampoline_kernelINS0_13select_configILj256ELj13ELNS0_17block_load_methodE3ELS4_3ELS4_3ELNS0_20block_scan_algorithmE0ELj4294967295EEENS1_25partition_config_selectorILNS1_17partition_subalgoE4EjNS0_10empty_typeEbEEZZNS1_14partition_implILS8_4ELb0ES6_15HIP_vector_typeIjLj2EENS0_17counting_iteratorIjlEEPS9_SG_NS0_5tupleIJPjSI_NS0_16reverse_iteratorISI_EEEEENSH_IJSG_SG_SG_EEES9_SI_JZNS1_25segmented_radix_sort_implINS0_14default_configELb1EPKfPfPKlPlN2at6native12_GLOBAL__N_18offset_tEEE10hipError_tPvRmT1_PNSt15iterator_traitsIS12_E10value_typeET2_T3_PNS13_IS18_E10value_typeET4_jRbjT5_S1E_jjP12ihipStream_tbEUljE_ZNSN_ISO_Lb1ESQ_SR_ST_SU_SY_EESZ_S10_S11_S12_S16_S17_S18_S1B_S1C_jS1D_jS1E_S1E_jjS1G_bEUljE0_EEESZ_S10_S11_S18_S1C_S1E_T6_T7_T9_mT8_S1G_bDpT10_ENKUlT_T0_E_clISt17integral_constantIbLb1EES1U_EEDaS1P_S1Q_EUlS1P_E_NS1_11comp_targetILNS1_3genE0ELNS1_11target_archE4294967295ELNS1_3gpuE0ELNS1_3repE0EEENS1_30default_config_static_selectorELNS0_4arch9wavefront6targetE0EEEvS12_,"axG",@progbits,_ZN7rocprim17ROCPRIM_400000_NS6detail17trampoline_kernelINS0_13select_configILj256ELj13ELNS0_17block_load_methodE3ELS4_3ELS4_3ELNS0_20block_scan_algorithmE0ELj4294967295EEENS1_25partition_config_selectorILNS1_17partition_subalgoE4EjNS0_10empty_typeEbEEZZNS1_14partition_implILS8_4ELb0ES6_15HIP_vector_typeIjLj2EENS0_17counting_iteratorIjlEEPS9_SG_NS0_5tupleIJPjSI_NS0_16reverse_iteratorISI_EEEEENSH_IJSG_SG_SG_EEES9_SI_JZNS1_25segmented_radix_sort_implINS0_14default_configELb1EPKfPfPKlPlN2at6native12_GLOBAL__N_18offset_tEEE10hipError_tPvRmT1_PNSt15iterator_traitsIS12_E10value_typeET2_T3_PNS13_IS18_E10value_typeET4_jRbjT5_S1E_jjP12ihipStream_tbEUljE_ZNSN_ISO_Lb1ESQ_SR_ST_SU_SY_EESZ_S10_S11_S12_S16_S17_S18_S1B_S1C_jS1D_jS1E_S1E_jjS1G_bEUljE0_EEESZ_S10_S11_S18_S1C_S1E_T6_T7_T9_mT8_S1G_bDpT10_ENKUlT_T0_E_clISt17integral_constantIbLb1EES1U_EEDaS1P_S1Q_EUlS1P_E_NS1_11comp_targetILNS1_3genE0ELNS1_11target_archE4294967295ELNS1_3gpuE0ELNS1_3repE0EEENS1_30default_config_static_selectorELNS0_4arch9wavefront6targetE0EEEvS12_,comdat
.Lfunc_end1263:
	.size	_ZN7rocprim17ROCPRIM_400000_NS6detail17trampoline_kernelINS0_13select_configILj256ELj13ELNS0_17block_load_methodE3ELS4_3ELS4_3ELNS0_20block_scan_algorithmE0ELj4294967295EEENS1_25partition_config_selectorILNS1_17partition_subalgoE4EjNS0_10empty_typeEbEEZZNS1_14partition_implILS8_4ELb0ES6_15HIP_vector_typeIjLj2EENS0_17counting_iteratorIjlEEPS9_SG_NS0_5tupleIJPjSI_NS0_16reverse_iteratorISI_EEEEENSH_IJSG_SG_SG_EEES9_SI_JZNS1_25segmented_radix_sort_implINS0_14default_configELb1EPKfPfPKlPlN2at6native12_GLOBAL__N_18offset_tEEE10hipError_tPvRmT1_PNSt15iterator_traitsIS12_E10value_typeET2_T3_PNS13_IS18_E10value_typeET4_jRbjT5_S1E_jjP12ihipStream_tbEUljE_ZNSN_ISO_Lb1ESQ_SR_ST_SU_SY_EESZ_S10_S11_S12_S16_S17_S18_S1B_S1C_jS1D_jS1E_S1E_jjS1G_bEUljE0_EEESZ_S10_S11_S18_S1C_S1E_T6_T7_T9_mT8_S1G_bDpT10_ENKUlT_T0_E_clISt17integral_constantIbLb1EES1U_EEDaS1P_S1Q_EUlS1P_E_NS1_11comp_targetILNS1_3genE0ELNS1_11target_archE4294967295ELNS1_3gpuE0ELNS1_3repE0EEENS1_30default_config_static_selectorELNS0_4arch9wavefront6targetE0EEEvS12_, .Lfunc_end1263-_ZN7rocprim17ROCPRIM_400000_NS6detail17trampoline_kernelINS0_13select_configILj256ELj13ELNS0_17block_load_methodE3ELS4_3ELS4_3ELNS0_20block_scan_algorithmE0ELj4294967295EEENS1_25partition_config_selectorILNS1_17partition_subalgoE4EjNS0_10empty_typeEbEEZZNS1_14partition_implILS8_4ELb0ES6_15HIP_vector_typeIjLj2EENS0_17counting_iteratorIjlEEPS9_SG_NS0_5tupleIJPjSI_NS0_16reverse_iteratorISI_EEEEENSH_IJSG_SG_SG_EEES9_SI_JZNS1_25segmented_radix_sort_implINS0_14default_configELb1EPKfPfPKlPlN2at6native12_GLOBAL__N_18offset_tEEE10hipError_tPvRmT1_PNSt15iterator_traitsIS12_E10value_typeET2_T3_PNS13_IS18_E10value_typeET4_jRbjT5_S1E_jjP12ihipStream_tbEUljE_ZNSN_ISO_Lb1ESQ_SR_ST_SU_SY_EESZ_S10_S11_S12_S16_S17_S18_S1B_S1C_jS1D_jS1E_S1E_jjS1G_bEUljE0_EEESZ_S10_S11_S18_S1C_S1E_T6_T7_T9_mT8_S1G_bDpT10_ENKUlT_T0_E_clISt17integral_constantIbLb1EES1U_EEDaS1P_S1Q_EUlS1P_E_NS1_11comp_targetILNS1_3genE0ELNS1_11target_archE4294967295ELNS1_3gpuE0ELNS1_3repE0EEENS1_30default_config_static_selectorELNS0_4arch9wavefront6targetE0EEEvS12_
                                        ; -- End function
	.set _ZN7rocprim17ROCPRIM_400000_NS6detail17trampoline_kernelINS0_13select_configILj256ELj13ELNS0_17block_load_methodE3ELS4_3ELS4_3ELNS0_20block_scan_algorithmE0ELj4294967295EEENS1_25partition_config_selectorILNS1_17partition_subalgoE4EjNS0_10empty_typeEbEEZZNS1_14partition_implILS8_4ELb0ES6_15HIP_vector_typeIjLj2EENS0_17counting_iteratorIjlEEPS9_SG_NS0_5tupleIJPjSI_NS0_16reverse_iteratorISI_EEEEENSH_IJSG_SG_SG_EEES9_SI_JZNS1_25segmented_radix_sort_implINS0_14default_configELb1EPKfPfPKlPlN2at6native12_GLOBAL__N_18offset_tEEE10hipError_tPvRmT1_PNSt15iterator_traitsIS12_E10value_typeET2_T3_PNS13_IS18_E10value_typeET4_jRbjT5_S1E_jjP12ihipStream_tbEUljE_ZNSN_ISO_Lb1ESQ_SR_ST_SU_SY_EESZ_S10_S11_S12_S16_S17_S18_S1B_S1C_jS1D_jS1E_S1E_jjS1G_bEUljE0_EEESZ_S10_S11_S18_S1C_S1E_T6_T7_T9_mT8_S1G_bDpT10_ENKUlT_T0_E_clISt17integral_constantIbLb1EES1U_EEDaS1P_S1Q_EUlS1P_E_NS1_11comp_targetILNS1_3genE0ELNS1_11target_archE4294967295ELNS1_3gpuE0ELNS1_3repE0EEENS1_30default_config_static_selectorELNS0_4arch9wavefront6targetE0EEEvS12_.num_vgpr, 0
	.set _ZN7rocprim17ROCPRIM_400000_NS6detail17trampoline_kernelINS0_13select_configILj256ELj13ELNS0_17block_load_methodE3ELS4_3ELS4_3ELNS0_20block_scan_algorithmE0ELj4294967295EEENS1_25partition_config_selectorILNS1_17partition_subalgoE4EjNS0_10empty_typeEbEEZZNS1_14partition_implILS8_4ELb0ES6_15HIP_vector_typeIjLj2EENS0_17counting_iteratorIjlEEPS9_SG_NS0_5tupleIJPjSI_NS0_16reverse_iteratorISI_EEEEENSH_IJSG_SG_SG_EEES9_SI_JZNS1_25segmented_radix_sort_implINS0_14default_configELb1EPKfPfPKlPlN2at6native12_GLOBAL__N_18offset_tEEE10hipError_tPvRmT1_PNSt15iterator_traitsIS12_E10value_typeET2_T3_PNS13_IS18_E10value_typeET4_jRbjT5_S1E_jjP12ihipStream_tbEUljE_ZNSN_ISO_Lb1ESQ_SR_ST_SU_SY_EESZ_S10_S11_S12_S16_S17_S18_S1B_S1C_jS1D_jS1E_S1E_jjS1G_bEUljE0_EEESZ_S10_S11_S18_S1C_S1E_T6_T7_T9_mT8_S1G_bDpT10_ENKUlT_T0_E_clISt17integral_constantIbLb1EES1U_EEDaS1P_S1Q_EUlS1P_E_NS1_11comp_targetILNS1_3genE0ELNS1_11target_archE4294967295ELNS1_3gpuE0ELNS1_3repE0EEENS1_30default_config_static_selectorELNS0_4arch9wavefront6targetE0EEEvS12_.num_agpr, 0
	.set _ZN7rocprim17ROCPRIM_400000_NS6detail17trampoline_kernelINS0_13select_configILj256ELj13ELNS0_17block_load_methodE3ELS4_3ELS4_3ELNS0_20block_scan_algorithmE0ELj4294967295EEENS1_25partition_config_selectorILNS1_17partition_subalgoE4EjNS0_10empty_typeEbEEZZNS1_14partition_implILS8_4ELb0ES6_15HIP_vector_typeIjLj2EENS0_17counting_iteratorIjlEEPS9_SG_NS0_5tupleIJPjSI_NS0_16reverse_iteratorISI_EEEEENSH_IJSG_SG_SG_EEES9_SI_JZNS1_25segmented_radix_sort_implINS0_14default_configELb1EPKfPfPKlPlN2at6native12_GLOBAL__N_18offset_tEEE10hipError_tPvRmT1_PNSt15iterator_traitsIS12_E10value_typeET2_T3_PNS13_IS18_E10value_typeET4_jRbjT5_S1E_jjP12ihipStream_tbEUljE_ZNSN_ISO_Lb1ESQ_SR_ST_SU_SY_EESZ_S10_S11_S12_S16_S17_S18_S1B_S1C_jS1D_jS1E_S1E_jjS1G_bEUljE0_EEESZ_S10_S11_S18_S1C_S1E_T6_T7_T9_mT8_S1G_bDpT10_ENKUlT_T0_E_clISt17integral_constantIbLb1EES1U_EEDaS1P_S1Q_EUlS1P_E_NS1_11comp_targetILNS1_3genE0ELNS1_11target_archE4294967295ELNS1_3gpuE0ELNS1_3repE0EEENS1_30default_config_static_selectorELNS0_4arch9wavefront6targetE0EEEvS12_.numbered_sgpr, 0
	.set _ZN7rocprim17ROCPRIM_400000_NS6detail17trampoline_kernelINS0_13select_configILj256ELj13ELNS0_17block_load_methodE3ELS4_3ELS4_3ELNS0_20block_scan_algorithmE0ELj4294967295EEENS1_25partition_config_selectorILNS1_17partition_subalgoE4EjNS0_10empty_typeEbEEZZNS1_14partition_implILS8_4ELb0ES6_15HIP_vector_typeIjLj2EENS0_17counting_iteratorIjlEEPS9_SG_NS0_5tupleIJPjSI_NS0_16reverse_iteratorISI_EEEEENSH_IJSG_SG_SG_EEES9_SI_JZNS1_25segmented_radix_sort_implINS0_14default_configELb1EPKfPfPKlPlN2at6native12_GLOBAL__N_18offset_tEEE10hipError_tPvRmT1_PNSt15iterator_traitsIS12_E10value_typeET2_T3_PNS13_IS18_E10value_typeET4_jRbjT5_S1E_jjP12ihipStream_tbEUljE_ZNSN_ISO_Lb1ESQ_SR_ST_SU_SY_EESZ_S10_S11_S12_S16_S17_S18_S1B_S1C_jS1D_jS1E_S1E_jjS1G_bEUljE0_EEESZ_S10_S11_S18_S1C_S1E_T6_T7_T9_mT8_S1G_bDpT10_ENKUlT_T0_E_clISt17integral_constantIbLb1EES1U_EEDaS1P_S1Q_EUlS1P_E_NS1_11comp_targetILNS1_3genE0ELNS1_11target_archE4294967295ELNS1_3gpuE0ELNS1_3repE0EEENS1_30default_config_static_selectorELNS0_4arch9wavefront6targetE0EEEvS12_.num_named_barrier, 0
	.set _ZN7rocprim17ROCPRIM_400000_NS6detail17trampoline_kernelINS0_13select_configILj256ELj13ELNS0_17block_load_methodE3ELS4_3ELS4_3ELNS0_20block_scan_algorithmE0ELj4294967295EEENS1_25partition_config_selectorILNS1_17partition_subalgoE4EjNS0_10empty_typeEbEEZZNS1_14partition_implILS8_4ELb0ES6_15HIP_vector_typeIjLj2EENS0_17counting_iteratorIjlEEPS9_SG_NS0_5tupleIJPjSI_NS0_16reverse_iteratorISI_EEEEENSH_IJSG_SG_SG_EEES9_SI_JZNS1_25segmented_radix_sort_implINS0_14default_configELb1EPKfPfPKlPlN2at6native12_GLOBAL__N_18offset_tEEE10hipError_tPvRmT1_PNSt15iterator_traitsIS12_E10value_typeET2_T3_PNS13_IS18_E10value_typeET4_jRbjT5_S1E_jjP12ihipStream_tbEUljE_ZNSN_ISO_Lb1ESQ_SR_ST_SU_SY_EESZ_S10_S11_S12_S16_S17_S18_S1B_S1C_jS1D_jS1E_S1E_jjS1G_bEUljE0_EEESZ_S10_S11_S18_S1C_S1E_T6_T7_T9_mT8_S1G_bDpT10_ENKUlT_T0_E_clISt17integral_constantIbLb1EES1U_EEDaS1P_S1Q_EUlS1P_E_NS1_11comp_targetILNS1_3genE0ELNS1_11target_archE4294967295ELNS1_3gpuE0ELNS1_3repE0EEENS1_30default_config_static_selectorELNS0_4arch9wavefront6targetE0EEEvS12_.private_seg_size, 0
	.set _ZN7rocprim17ROCPRIM_400000_NS6detail17trampoline_kernelINS0_13select_configILj256ELj13ELNS0_17block_load_methodE3ELS4_3ELS4_3ELNS0_20block_scan_algorithmE0ELj4294967295EEENS1_25partition_config_selectorILNS1_17partition_subalgoE4EjNS0_10empty_typeEbEEZZNS1_14partition_implILS8_4ELb0ES6_15HIP_vector_typeIjLj2EENS0_17counting_iteratorIjlEEPS9_SG_NS0_5tupleIJPjSI_NS0_16reverse_iteratorISI_EEEEENSH_IJSG_SG_SG_EEES9_SI_JZNS1_25segmented_radix_sort_implINS0_14default_configELb1EPKfPfPKlPlN2at6native12_GLOBAL__N_18offset_tEEE10hipError_tPvRmT1_PNSt15iterator_traitsIS12_E10value_typeET2_T3_PNS13_IS18_E10value_typeET4_jRbjT5_S1E_jjP12ihipStream_tbEUljE_ZNSN_ISO_Lb1ESQ_SR_ST_SU_SY_EESZ_S10_S11_S12_S16_S17_S18_S1B_S1C_jS1D_jS1E_S1E_jjS1G_bEUljE0_EEESZ_S10_S11_S18_S1C_S1E_T6_T7_T9_mT8_S1G_bDpT10_ENKUlT_T0_E_clISt17integral_constantIbLb1EES1U_EEDaS1P_S1Q_EUlS1P_E_NS1_11comp_targetILNS1_3genE0ELNS1_11target_archE4294967295ELNS1_3gpuE0ELNS1_3repE0EEENS1_30default_config_static_selectorELNS0_4arch9wavefront6targetE0EEEvS12_.uses_vcc, 0
	.set _ZN7rocprim17ROCPRIM_400000_NS6detail17trampoline_kernelINS0_13select_configILj256ELj13ELNS0_17block_load_methodE3ELS4_3ELS4_3ELNS0_20block_scan_algorithmE0ELj4294967295EEENS1_25partition_config_selectorILNS1_17partition_subalgoE4EjNS0_10empty_typeEbEEZZNS1_14partition_implILS8_4ELb0ES6_15HIP_vector_typeIjLj2EENS0_17counting_iteratorIjlEEPS9_SG_NS0_5tupleIJPjSI_NS0_16reverse_iteratorISI_EEEEENSH_IJSG_SG_SG_EEES9_SI_JZNS1_25segmented_radix_sort_implINS0_14default_configELb1EPKfPfPKlPlN2at6native12_GLOBAL__N_18offset_tEEE10hipError_tPvRmT1_PNSt15iterator_traitsIS12_E10value_typeET2_T3_PNS13_IS18_E10value_typeET4_jRbjT5_S1E_jjP12ihipStream_tbEUljE_ZNSN_ISO_Lb1ESQ_SR_ST_SU_SY_EESZ_S10_S11_S12_S16_S17_S18_S1B_S1C_jS1D_jS1E_S1E_jjS1G_bEUljE0_EEESZ_S10_S11_S18_S1C_S1E_T6_T7_T9_mT8_S1G_bDpT10_ENKUlT_T0_E_clISt17integral_constantIbLb1EES1U_EEDaS1P_S1Q_EUlS1P_E_NS1_11comp_targetILNS1_3genE0ELNS1_11target_archE4294967295ELNS1_3gpuE0ELNS1_3repE0EEENS1_30default_config_static_selectorELNS0_4arch9wavefront6targetE0EEEvS12_.uses_flat_scratch, 0
	.set _ZN7rocprim17ROCPRIM_400000_NS6detail17trampoline_kernelINS0_13select_configILj256ELj13ELNS0_17block_load_methodE3ELS4_3ELS4_3ELNS0_20block_scan_algorithmE0ELj4294967295EEENS1_25partition_config_selectorILNS1_17partition_subalgoE4EjNS0_10empty_typeEbEEZZNS1_14partition_implILS8_4ELb0ES6_15HIP_vector_typeIjLj2EENS0_17counting_iteratorIjlEEPS9_SG_NS0_5tupleIJPjSI_NS0_16reverse_iteratorISI_EEEEENSH_IJSG_SG_SG_EEES9_SI_JZNS1_25segmented_radix_sort_implINS0_14default_configELb1EPKfPfPKlPlN2at6native12_GLOBAL__N_18offset_tEEE10hipError_tPvRmT1_PNSt15iterator_traitsIS12_E10value_typeET2_T3_PNS13_IS18_E10value_typeET4_jRbjT5_S1E_jjP12ihipStream_tbEUljE_ZNSN_ISO_Lb1ESQ_SR_ST_SU_SY_EESZ_S10_S11_S12_S16_S17_S18_S1B_S1C_jS1D_jS1E_S1E_jjS1G_bEUljE0_EEESZ_S10_S11_S18_S1C_S1E_T6_T7_T9_mT8_S1G_bDpT10_ENKUlT_T0_E_clISt17integral_constantIbLb1EES1U_EEDaS1P_S1Q_EUlS1P_E_NS1_11comp_targetILNS1_3genE0ELNS1_11target_archE4294967295ELNS1_3gpuE0ELNS1_3repE0EEENS1_30default_config_static_selectorELNS0_4arch9wavefront6targetE0EEEvS12_.has_dyn_sized_stack, 0
	.set _ZN7rocprim17ROCPRIM_400000_NS6detail17trampoline_kernelINS0_13select_configILj256ELj13ELNS0_17block_load_methodE3ELS4_3ELS4_3ELNS0_20block_scan_algorithmE0ELj4294967295EEENS1_25partition_config_selectorILNS1_17partition_subalgoE4EjNS0_10empty_typeEbEEZZNS1_14partition_implILS8_4ELb0ES6_15HIP_vector_typeIjLj2EENS0_17counting_iteratorIjlEEPS9_SG_NS0_5tupleIJPjSI_NS0_16reverse_iteratorISI_EEEEENSH_IJSG_SG_SG_EEES9_SI_JZNS1_25segmented_radix_sort_implINS0_14default_configELb1EPKfPfPKlPlN2at6native12_GLOBAL__N_18offset_tEEE10hipError_tPvRmT1_PNSt15iterator_traitsIS12_E10value_typeET2_T3_PNS13_IS18_E10value_typeET4_jRbjT5_S1E_jjP12ihipStream_tbEUljE_ZNSN_ISO_Lb1ESQ_SR_ST_SU_SY_EESZ_S10_S11_S12_S16_S17_S18_S1B_S1C_jS1D_jS1E_S1E_jjS1G_bEUljE0_EEESZ_S10_S11_S18_S1C_S1E_T6_T7_T9_mT8_S1G_bDpT10_ENKUlT_T0_E_clISt17integral_constantIbLb1EES1U_EEDaS1P_S1Q_EUlS1P_E_NS1_11comp_targetILNS1_3genE0ELNS1_11target_archE4294967295ELNS1_3gpuE0ELNS1_3repE0EEENS1_30default_config_static_selectorELNS0_4arch9wavefront6targetE0EEEvS12_.has_recursion, 0
	.set _ZN7rocprim17ROCPRIM_400000_NS6detail17trampoline_kernelINS0_13select_configILj256ELj13ELNS0_17block_load_methodE3ELS4_3ELS4_3ELNS0_20block_scan_algorithmE0ELj4294967295EEENS1_25partition_config_selectorILNS1_17partition_subalgoE4EjNS0_10empty_typeEbEEZZNS1_14partition_implILS8_4ELb0ES6_15HIP_vector_typeIjLj2EENS0_17counting_iteratorIjlEEPS9_SG_NS0_5tupleIJPjSI_NS0_16reverse_iteratorISI_EEEEENSH_IJSG_SG_SG_EEES9_SI_JZNS1_25segmented_radix_sort_implINS0_14default_configELb1EPKfPfPKlPlN2at6native12_GLOBAL__N_18offset_tEEE10hipError_tPvRmT1_PNSt15iterator_traitsIS12_E10value_typeET2_T3_PNS13_IS18_E10value_typeET4_jRbjT5_S1E_jjP12ihipStream_tbEUljE_ZNSN_ISO_Lb1ESQ_SR_ST_SU_SY_EESZ_S10_S11_S12_S16_S17_S18_S1B_S1C_jS1D_jS1E_S1E_jjS1G_bEUljE0_EEESZ_S10_S11_S18_S1C_S1E_T6_T7_T9_mT8_S1G_bDpT10_ENKUlT_T0_E_clISt17integral_constantIbLb1EES1U_EEDaS1P_S1Q_EUlS1P_E_NS1_11comp_targetILNS1_3genE0ELNS1_11target_archE4294967295ELNS1_3gpuE0ELNS1_3repE0EEENS1_30default_config_static_selectorELNS0_4arch9wavefront6targetE0EEEvS12_.has_indirect_call, 0
	.section	.AMDGPU.csdata,"",@progbits
; Kernel info:
; codeLenInByte = 4
; TotalNumSgprs: 0
; NumVgprs: 0
; ScratchSize: 0
; MemoryBound: 0
; FloatMode: 240
; IeeeMode: 1
; LDSByteSize: 0 bytes/workgroup (compile time only)
; SGPRBlocks: 0
; VGPRBlocks: 0
; NumSGPRsForWavesPerEU: 1
; NumVGPRsForWavesPerEU: 1
; NamedBarCnt: 0
; Occupancy: 16
; WaveLimiterHint : 0
; COMPUTE_PGM_RSRC2:SCRATCH_EN: 0
; COMPUTE_PGM_RSRC2:USER_SGPR: 2
; COMPUTE_PGM_RSRC2:TRAP_HANDLER: 0
; COMPUTE_PGM_RSRC2:TGID_X_EN: 1
; COMPUTE_PGM_RSRC2:TGID_Y_EN: 0
; COMPUTE_PGM_RSRC2:TGID_Z_EN: 0
; COMPUTE_PGM_RSRC2:TIDIG_COMP_CNT: 0
	.section	.text._ZN7rocprim17ROCPRIM_400000_NS6detail17trampoline_kernelINS0_13select_configILj256ELj13ELNS0_17block_load_methodE3ELS4_3ELS4_3ELNS0_20block_scan_algorithmE0ELj4294967295EEENS1_25partition_config_selectorILNS1_17partition_subalgoE4EjNS0_10empty_typeEbEEZZNS1_14partition_implILS8_4ELb0ES6_15HIP_vector_typeIjLj2EENS0_17counting_iteratorIjlEEPS9_SG_NS0_5tupleIJPjSI_NS0_16reverse_iteratorISI_EEEEENSH_IJSG_SG_SG_EEES9_SI_JZNS1_25segmented_radix_sort_implINS0_14default_configELb1EPKfPfPKlPlN2at6native12_GLOBAL__N_18offset_tEEE10hipError_tPvRmT1_PNSt15iterator_traitsIS12_E10value_typeET2_T3_PNS13_IS18_E10value_typeET4_jRbjT5_S1E_jjP12ihipStream_tbEUljE_ZNSN_ISO_Lb1ESQ_SR_ST_SU_SY_EESZ_S10_S11_S12_S16_S17_S18_S1B_S1C_jS1D_jS1E_S1E_jjS1G_bEUljE0_EEESZ_S10_S11_S18_S1C_S1E_T6_T7_T9_mT8_S1G_bDpT10_ENKUlT_T0_E_clISt17integral_constantIbLb1EES1U_EEDaS1P_S1Q_EUlS1P_E_NS1_11comp_targetILNS1_3genE5ELNS1_11target_archE942ELNS1_3gpuE9ELNS1_3repE0EEENS1_30default_config_static_selectorELNS0_4arch9wavefront6targetE0EEEvS12_,"axG",@progbits,_ZN7rocprim17ROCPRIM_400000_NS6detail17trampoline_kernelINS0_13select_configILj256ELj13ELNS0_17block_load_methodE3ELS4_3ELS4_3ELNS0_20block_scan_algorithmE0ELj4294967295EEENS1_25partition_config_selectorILNS1_17partition_subalgoE4EjNS0_10empty_typeEbEEZZNS1_14partition_implILS8_4ELb0ES6_15HIP_vector_typeIjLj2EENS0_17counting_iteratorIjlEEPS9_SG_NS0_5tupleIJPjSI_NS0_16reverse_iteratorISI_EEEEENSH_IJSG_SG_SG_EEES9_SI_JZNS1_25segmented_radix_sort_implINS0_14default_configELb1EPKfPfPKlPlN2at6native12_GLOBAL__N_18offset_tEEE10hipError_tPvRmT1_PNSt15iterator_traitsIS12_E10value_typeET2_T3_PNS13_IS18_E10value_typeET4_jRbjT5_S1E_jjP12ihipStream_tbEUljE_ZNSN_ISO_Lb1ESQ_SR_ST_SU_SY_EESZ_S10_S11_S12_S16_S17_S18_S1B_S1C_jS1D_jS1E_S1E_jjS1G_bEUljE0_EEESZ_S10_S11_S18_S1C_S1E_T6_T7_T9_mT8_S1G_bDpT10_ENKUlT_T0_E_clISt17integral_constantIbLb1EES1U_EEDaS1P_S1Q_EUlS1P_E_NS1_11comp_targetILNS1_3genE5ELNS1_11target_archE942ELNS1_3gpuE9ELNS1_3repE0EEENS1_30default_config_static_selectorELNS0_4arch9wavefront6targetE0EEEvS12_,comdat
	.globl	_ZN7rocprim17ROCPRIM_400000_NS6detail17trampoline_kernelINS0_13select_configILj256ELj13ELNS0_17block_load_methodE3ELS4_3ELS4_3ELNS0_20block_scan_algorithmE0ELj4294967295EEENS1_25partition_config_selectorILNS1_17partition_subalgoE4EjNS0_10empty_typeEbEEZZNS1_14partition_implILS8_4ELb0ES6_15HIP_vector_typeIjLj2EENS0_17counting_iteratorIjlEEPS9_SG_NS0_5tupleIJPjSI_NS0_16reverse_iteratorISI_EEEEENSH_IJSG_SG_SG_EEES9_SI_JZNS1_25segmented_radix_sort_implINS0_14default_configELb1EPKfPfPKlPlN2at6native12_GLOBAL__N_18offset_tEEE10hipError_tPvRmT1_PNSt15iterator_traitsIS12_E10value_typeET2_T3_PNS13_IS18_E10value_typeET4_jRbjT5_S1E_jjP12ihipStream_tbEUljE_ZNSN_ISO_Lb1ESQ_SR_ST_SU_SY_EESZ_S10_S11_S12_S16_S17_S18_S1B_S1C_jS1D_jS1E_S1E_jjS1G_bEUljE0_EEESZ_S10_S11_S18_S1C_S1E_T6_T7_T9_mT8_S1G_bDpT10_ENKUlT_T0_E_clISt17integral_constantIbLb1EES1U_EEDaS1P_S1Q_EUlS1P_E_NS1_11comp_targetILNS1_3genE5ELNS1_11target_archE942ELNS1_3gpuE9ELNS1_3repE0EEENS1_30default_config_static_selectorELNS0_4arch9wavefront6targetE0EEEvS12_ ; -- Begin function _ZN7rocprim17ROCPRIM_400000_NS6detail17trampoline_kernelINS0_13select_configILj256ELj13ELNS0_17block_load_methodE3ELS4_3ELS4_3ELNS0_20block_scan_algorithmE0ELj4294967295EEENS1_25partition_config_selectorILNS1_17partition_subalgoE4EjNS0_10empty_typeEbEEZZNS1_14partition_implILS8_4ELb0ES6_15HIP_vector_typeIjLj2EENS0_17counting_iteratorIjlEEPS9_SG_NS0_5tupleIJPjSI_NS0_16reverse_iteratorISI_EEEEENSH_IJSG_SG_SG_EEES9_SI_JZNS1_25segmented_radix_sort_implINS0_14default_configELb1EPKfPfPKlPlN2at6native12_GLOBAL__N_18offset_tEEE10hipError_tPvRmT1_PNSt15iterator_traitsIS12_E10value_typeET2_T3_PNS13_IS18_E10value_typeET4_jRbjT5_S1E_jjP12ihipStream_tbEUljE_ZNSN_ISO_Lb1ESQ_SR_ST_SU_SY_EESZ_S10_S11_S12_S16_S17_S18_S1B_S1C_jS1D_jS1E_S1E_jjS1G_bEUljE0_EEESZ_S10_S11_S18_S1C_S1E_T6_T7_T9_mT8_S1G_bDpT10_ENKUlT_T0_E_clISt17integral_constantIbLb1EES1U_EEDaS1P_S1Q_EUlS1P_E_NS1_11comp_targetILNS1_3genE5ELNS1_11target_archE942ELNS1_3gpuE9ELNS1_3repE0EEENS1_30default_config_static_selectorELNS0_4arch9wavefront6targetE0EEEvS12_
	.p2align	8
	.type	_ZN7rocprim17ROCPRIM_400000_NS6detail17trampoline_kernelINS0_13select_configILj256ELj13ELNS0_17block_load_methodE3ELS4_3ELS4_3ELNS0_20block_scan_algorithmE0ELj4294967295EEENS1_25partition_config_selectorILNS1_17partition_subalgoE4EjNS0_10empty_typeEbEEZZNS1_14partition_implILS8_4ELb0ES6_15HIP_vector_typeIjLj2EENS0_17counting_iteratorIjlEEPS9_SG_NS0_5tupleIJPjSI_NS0_16reverse_iteratorISI_EEEEENSH_IJSG_SG_SG_EEES9_SI_JZNS1_25segmented_radix_sort_implINS0_14default_configELb1EPKfPfPKlPlN2at6native12_GLOBAL__N_18offset_tEEE10hipError_tPvRmT1_PNSt15iterator_traitsIS12_E10value_typeET2_T3_PNS13_IS18_E10value_typeET4_jRbjT5_S1E_jjP12ihipStream_tbEUljE_ZNSN_ISO_Lb1ESQ_SR_ST_SU_SY_EESZ_S10_S11_S12_S16_S17_S18_S1B_S1C_jS1D_jS1E_S1E_jjS1G_bEUljE0_EEESZ_S10_S11_S18_S1C_S1E_T6_T7_T9_mT8_S1G_bDpT10_ENKUlT_T0_E_clISt17integral_constantIbLb1EES1U_EEDaS1P_S1Q_EUlS1P_E_NS1_11comp_targetILNS1_3genE5ELNS1_11target_archE942ELNS1_3gpuE9ELNS1_3repE0EEENS1_30default_config_static_selectorELNS0_4arch9wavefront6targetE0EEEvS12_,@function
_ZN7rocprim17ROCPRIM_400000_NS6detail17trampoline_kernelINS0_13select_configILj256ELj13ELNS0_17block_load_methodE3ELS4_3ELS4_3ELNS0_20block_scan_algorithmE0ELj4294967295EEENS1_25partition_config_selectorILNS1_17partition_subalgoE4EjNS0_10empty_typeEbEEZZNS1_14partition_implILS8_4ELb0ES6_15HIP_vector_typeIjLj2EENS0_17counting_iteratorIjlEEPS9_SG_NS0_5tupleIJPjSI_NS0_16reverse_iteratorISI_EEEEENSH_IJSG_SG_SG_EEES9_SI_JZNS1_25segmented_radix_sort_implINS0_14default_configELb1EPKfPfPKlPlN2at6native12_GLOBAL__N_18offset_tEEE10hipError_tPvRmT1_PNSt15iterator_traitsIS12_E10value_typeET2_T3_PNS13_IS18_E10value_typeET4_jRbjT5_S1E_jjP12ihipStream_tbEUljE_ZNSN_ISO_Lb1ESQ_SR_ST_SU_SY_EESZ_S10_S11_S12_S16_S17_S18_S1B_S1C_jS1D_jS1E_S1E_jjS1G_bEUljE0_EEESZ_S10_S11_S18_S1C_S1E_T6_T7_T9_mT8_S1G_bDpT10_ENKUlT_T0_E_clISt17integral_constantIbLb1EES1U_EEDaS1P_S1Q_EUlS1P_E_NS1_11comp_targetILNS1_3genE5ELNS1_11target_archE942ELNS1_3gpuE9ELNS1_3repE0EEENS1_30default_config_static_selectorELNS0_4arch9wavefront6targetE0EEEvS12_: ; @_ZN7rocprim17ROCPRIM_400000_NS6detail17trampoline_kernelINS0_13select_configILj256ELj13ELNS0_17block_load_methodE3ELS4_3ELS4_3ELNS0_20block_scan_algorithmE0ELj4294967295EEENS1_25partition_config_selectorILNS1_17partition_subalgoE4EjNS0_10empty_typeEbEEZZNS1_14partition_implILS8_4ELb0ES6_15HIP_vector_typeIjLj2EENS0_17counting_iteratorIjlEEPS9_SG_NS0_5tupleIJPjSI_NS0_16reverse_iteratorISI_EEEEENSH_IJSG_SG_SG_EEES9_SI_JZNS1_25segmented_radix_sort_implINS0_14default_configELb1EPKfPfPKlPlN2at6native12_GLOBAL__N_18offset_tEEE10hipError_tPvRmT1_PNSt15iterator_traitsIS12_E10value_typeET2_T3_PNS13_IS18_E10value_typeET4_jRbjT5_S1E_jjP12ihipStream_tbEUljE_ZNSN_ISO_Lb1ESQ_SR_ST_SU_SY_EESZ_S10_S11_S12_S16_S17_S18_S1B_S1C_jS1D_jS1E_S1E_jjS1G_bEUljE0_EEESZ_S10_S11_S18_S1C_S1E_T6_T7_T9_mT8_S1G_bDpT10_ENKUlT_T0_E_clISt17integral_constantIbLb1EES1U_EEDaS1P_S1Q_EUlS1P_E_NS1_11comp_targetILNS1_3genE5ELNS1_11target_archE942ELNS1_3gpuE9ELNS1_3repE0EEENS1_30default_config_static_selectorELNS0_4arch9wavefront6targetE0EEEvS12_
; %bb.0:
	.section	.rodata,"a",@progbits
	.p2align	6, 0x0
	.amdhsa_kernel _ZN7rocprim17ROCPRIM_400000_NS6detail17trampoline_kernelINS0_13select_configILj256ELj13ELNS0_17block_load_methodE3ELS4_3ELS4_3ELNS0_20block_scan_algorithmE0ELj4294967295EEENS1_25partition_config_selectorILNS1_17partition_subalgoE4EjNS0_10empty_typeEbEEZZNS1_14partition_implILS8_4ELb0ES6_15HIP_vector_typeIjLj2EENS0_17counting_iteratorIjlEEPS9_SG_NS0_5tupleIJPjSI_NS0_16reverse_iteratorISI_EEEEENSH_IJSG_SG_SG_EEES9_SI_JZNS1_25segmented_radix_sort_implINS0_14default_configELb1EPKfPfPKlPlN2at6native12_GLOBAL__N_18offset_tEEE10hipError_tPvRmT1_PNSt15iterator_traitsIS12_E10value_typeET2_T3_PNS13_IS18_E10value_typeET4_jRbjT5_S1E_jjP12ihipStream_tbEUljE_ZNSN_ISO_Lb1ESQ_SR_ST_SU_SY_EESZ_S10_S11_S12_S16_S17_S18_S1B_S1C_jS1D_jS1E_S1E_jjS1G_bEUljE0_EEESZ_S10_S11_S18_S1C_S1E_T6_T7_T9_mT8_S1G_bDpT10_ENKUlT_T0_E_clISt17integral_constantIbLb1EES1U_EEDaS1P_S1Q_EUlS1P_E_NS1_11comp_targetILNS1_3genE5ELNS1_11target_archE942ELNS1_3gpuE9ELNS1_3repE0EEENS1_30default_config_static_selectorELNS0_4arch9wavefront6targetE0EEEvS12_
		.amdhsa_group_segment_fixed_size 0
		.amdhsa_private_segment_fixed_size 0
		.amdhsa_kernarg_size 184
		.amdhsa_user_sgpr_count 2
		.amdhsa_user_sgpr_dispatch_ptr 0
		.amdhsa_user_sgpr_queue_ptr 0
		.amdhsa_user_sgpr_kernarg_segment_ptr 1
		.amdhsa_user_sgpr_dispatch_id 0
		.amdhsa_user_sgpr_kernarg_preload_length 0
		.amdhsa_user_sgpr_kernarg_preload_offset 0
		.amdhsa_user_sgpr_private_segment_size 0
		.amdhsa_wavefront_size32 1
		.amdhsa_uses_dynamic_stack 0
		.amdhsa_enable_private_segment 0
		.amdhsa_system_sgpr_workgroup_id_x 1
		.amdhsa_system_sgpr_workgroup_id_y 0
		.amdhsa_system_sgpr_workgroup_id_z 0
		.amdhsa_system_sgpr_workgroup_info 0
		.amdhsa_system_vgpr_workitem_id 0
		.amdhsa_next_free_vgpr 1
		.amdhsa_next_free_sgpr 1
		.amdhsa_named_barrier_count 0
		.amdhsa_reserve_vcc 0
		.amdhsa_float_round_mode_32 0
		.amdhsa_float_round_mode_16_64 0
		.amdhsa_float_denorm_mode_32 3
		.amdhsa_float_denorm_mode_16_64 3
		.amdhsa_fp16_overflow 0
		.amdhsa_memory_ordered 1
		.amdhsa_forward_progress 1
		.amdhsa_inst_pref_size 0
		.amdhsa_round_robin_scheduling 0
		.amdhsa_exception_fp_ieee_invalid_op 0
		.amdhsa_exception_fp_denorm_src 0
		.amdhsa_exception_fp_ieee_div_zero 0
		.amdhsa_exception_fp_ieee_overflow 0
		.amdhsa_exception_fp_ieee_underflow 0
		.amdhsa_exception_fp_ieee_inexact 0
		.amdhsa_exception_int_div_zero 0
	.end_amdhsa_kernel
	.section	.text._ZN7rocprim17ROCPRIM_400000_NS6detail17trampoline_kernelINS0_13select_configILj256ELj13ELNS0_17block_load_methodE3ELS4_3ELS4_3ELNS0_20block_scan_algorithmE0ELj4294967295EEENS1_25partition_config_selectorILNS1_17partition_subalgoE4EjNS0_10empty_typeEbEEZZNS1_14partition_implILS8_4ELb0ES6_15HIP_vector_typeIjLj2EENS0_17counting_iteratorIjlEEPS9_SG_NS0_5tupleIJPjSI_NS0_16reverse_iteratorISI_EEEEENSH_IJSG_SG_SG_EEES9_SI_JZNS1_25segmented_radix_sort_implINS0_14default_configELb1EPKfPfPKlPlN2at6native12_GLOBAL__N_18offset_tEEE10hipError_tPvRmT1_PNSt15iterator_traitsIS12_E10value_typeET2_T3_PNS13_IS18_E10value_typeET4_jRbjT5_S1E_jjP12ihipStream_tbEUljE_ZNSN_ISO_Lb1ESQ_SR_ST_SU_SY_EESZ_S10_S11_S12_S16_S17_S18_S1B_S1C_jS1D_jS1E_S1E_jjS1G_bEUljE0_EEESZ_S10_S11_S18_S1C_S1E_T6_T7_T9_mT8_S1G_bDpT10_ENKUlT_T0_E_clISt17integral_constantIbLb1EES1U_EEDaS1P_S1Q_EUlS1P_E_NS1_11comp_targetILNS1_3genE5ELNS1_11target_archE942ELNS1_3gpuE9ELNS1_3repE0EEENS1_30default_config_static_selectorELNS0_4arch9wavefront6targetE0EEEvS12_,"axG",@progbits,_ZN7rocprim17ROCPRIM_400000_NS6detail17trampoline_kernelINS0_13select_configILj256ELj13ELNS0_17block_load_methodE3ELS4_3ELS4_3ELNS0_20block_scan_algorithmE0ELj4294967295EEENS1_25partition_config_selectorILNS1_17partition_subalgoE4EjNS0_10empty_typeEbEEZZNS1_14partition_implILS8_4ELb0ES6_15HIP_vector_typeIjLj2EENS0_17counting_iteratorIjlEEPS9_SG_NS0_5tupleIJPjSI_NS0_16reverse_iteratorISI_EEEEENSH_IJSG_SG_SG_EEES9_SI_JZNS1_25segmented_radix_sort_implINS0_14default_configELb1EPKfPfPKlPlN2at6native12_GLOBAL__N_18offset_tEEE10hipError_tPvRmT1_PNSt15iterator_traitsIS12_E10value_typeET2_T3_PNS13_IS18_E10value_typeET4_jRbjT5_S1E_jjP12ihipStream_tbEUljE_ZNSN_ISO_Lb1ESQ_SR_ST_SU_SY_EESZ_S10_S11_S12_S16_S17_S18_S1B_S1C_jS1D_jS1E_S1E_jjS1G_bEUljE0_EEESZ_S10_S11_S18_S1C_S1E_T6_T7_T9_mT8_S1G_bDpT10_ENKUlT_T0_E_clISt17integral_constantIbLb1EES1U_EEDaS1P_S1Q_EUlS1P_E_NS1_11comp_targetILNS1_3genE5ELNS1_11target_archE942ELNS1_3gpuE9ELNS1_3repE0EEENS1_30default_config_static_selectorELNS0_4arch9wavefront6targetE0EEEvS12_,comdat
.Lfunc_end1264:
	.size	_ZN7rocprim17ROCPRIM_400000_NS6detail17trampoline_kernelINS0_13select_configILj256ELj13ELNS0_17block_load_methodE3ELS4_3ELS4_3ELNS0_20block_scan_algorithmE0ELj4294967295EEENS1_25partition_config_selectorILNS1_17partition_subalgoE4EjNS0_10empty_typeEbEEZZNS1_14partition_implILS8_4ELb0ES6_15HIP_vector_typeIjLj2EENS0_17counting_iteratorIjlEEPS9_SG_NS0_5tupleIJPjSI_NS0_16reverse_iteratorISI_EEEEENSH_IJSG_SG_SG_EEES9_SI_JZNS1_25segmented_radix_sort_implINS0_14default_configELb1EPKfPfPKlPlN2at6native12_GLOBAL__N_18offset_tEEE10hipError_tPvRmT1_PNSt15iterator_traitsIS12_E10value_typeET2_T3_PNS13_IS18_E10value_typeET4_jRbjT5_S1E_jjP12ihipStream_tbEUljE_ZNSN_ISO_Lb1ESQ_SR_ST_SU_SY_EESZ_S10_S11_S12_S16_S17_S18_S1B_S1C_jS1D_jS1E_S1E_jjS1G_bEUljE0_EEESZ_S10_S11_S18_S1C_S1E_T6_T7_T9_mT8_S1G_bDpT10_ENKUlT_T0_E_clISt17integral_constantIbLb1EES1U_EEDaS1P_S1Q_EUlS1P_E_NS1_11comp_targetILNS1_3genE5ELNS1_11target_archE942ELNS1_3gpuE9ELNS1_3repE0EEENS1_30default_config_static_selectorELNS0_4arch9wavefront6targetE0EEEvS12_, .Lfunc_end1264-_ZN7rocprim17ROCPRIM_400000_NS6detail17trampoline_kernelINS0_13select_configILj256ELj13ELNS0_17block_load_methodE3ELS4_3ELS4_3ELNS0_20block_scan_algorithmE0ELj4294967295EEENS1_25partition_config_selectorILNS1_17partition_subalgoE4EjNS0_10empty_typeEbEEZZNS1_14partition_implILS8_4ELb0ES6_15HIP_vector_typeIjLj2EENS0_17counting_iteratorIjlEEPS9_SG_NS0_5tupleIJPjSI_NS0_16reverse_iteratorISI_EEEEENSH_IJSG_SG_SG_EEES9_SI_JZNS1_25segmented_radix_sort_implINS0_14default_configELb1EPKfPfPKlPlN2at6native12_GLOBAL__N_18offset_tEEE10hipError_tPvRmT1_PNSt15iterator_traitsIS12_E10value_typeET2_T3_PNS13_IS18_E10value_typeET4_jRbjT5_S1E_jjP12ihipStream_tbEUljE_ZNSN_ISO_Lb1ESQ_SR_ST_SU_SY_EESZ_S10_S11_S12_S16_S17_S18_S1B_S1C_jS1D_jS1E_S1E_jjS1G_bEUljE0_EEESZ_S10_S11_S18_S1C_S1E_T6_T7_T9_mT8_S1G_bDpT10_ENKUlT_T0_E_clISt17integral_constantIbLb1EES1U_EEDaS1P_S1Q_EUlS1P_E_NS1_11comp_targetILNS1_3genE5ELNS1_11target_archE942ELNS1_3gpuE9ELNS1_3repE0EEENS1_30default_config_static_selectorELNS0_4arch9wavefront6targetE0EEEvS12_
                                        ; -- End function
	.set _ZN7rocprim17ROCPRIM_400000_NS6detail17trampoline_kernelINS0_13select_configILj256ELj13ELNS0_17block_load_methodE3ELS4_3ELS4_3ELNS0_20block_scan_algorithmE0ELj4294967295EEENS1_25partition_config_selectorILNS1_17partition_subalgoE4EjNS0_10empty_typeEbEEZZNS1_14partition_implILS8_4ELb0ES6_15HIP_vector_typeIjLj2EENS0_17counting_iteratorIjlEEPS9_SG_NS0_5tupleIJPjSI_NS0_16reverse_iteratorISI_EEEEENSH_IJSG_SG_SG_EEES9_SI_JZNS1_25segmented_radix_sort_implINS0_14default_configELb1EPKfPfPKlPlN2at6native12_GLOBAL__N_18offset_tEEE10hipError_tPvRmT1_PNSt15iterator_traitsIS12_E10value_typeET2_T3_PNS13_IS18_E10value_typeET4_jRbjT5_S1E_jjP12ihipStream_tbEUljE_ZNSN_ISO_Lb1ESQ_SR_ST_SU_SY_EESZ_S10_S11_S12_S16_S17_S18_S1B_S1C_jS1D_jS1E_S1E_jjS1G_bEUljE0_EEESZ_S10_S11_S18_S1C_S1E_T6_T7_T9_mT8_S1G_bDpT10_ENKUlT_T0_E_clISt17integral_constantIbLb1EES1U_EEDaS1P_S1Q_EUlS1P_E_NS1_11comp_targetILNS1_3genE5ELNS1_11target_archE942ELNS1_3gpuE9ELNS1_3repE0EEENS1_30default_config_static_selectorELNS0_4arch9wavefront6targetE0EEEvS12_.num_vgpr, 0
	.set _ZN7rocprim17ROCPRIM_400000_NS6detail17trampoline_kernelINS0_13select_configILj256ELj13ELNS0_17block_load_methodE3ELS4_3ELS4_3ELNS0_20block_scan_algorithmE0ELj4294967295EEENS1_25partition_config_selectorILNS1_17partition_subalgoE4EjNS0_10empty_typeEbEEZZNS1_14partition_implILS8_4ELb0ES6_15HIP_vector_typeIjLj2EENS0_17counting_iteratorIjlEEPS9_SG_NS0_5tupleIJPjSI_NS0_16reverse_iteratorISI_EEEEENSH_IJSG_SG_SG_EEES9_SI_JZNS1_25segmented_radix_sort_implINS0_14default_configELb1EPKfPfPKlPlN2at6native12_GLOBAL__N_18offset_tEEE10hipError_tPvRmT1_PNSt15iterator_traitsIS12_E10value_typeET2_T3_PNS13_IS18_E10value_typeET4_jRbjT5_S1E_jjP12ihipStream_tbEUljE_ZNSN_ISO_Lb1ESQ_SR_ST_SU_SY_EESZ_S10_S11_S12_S16_S17_S18_S1B_S1C_jS1D_jS1E_S1E_jjS1G_bEUljE0_EEESZ_S10_S11_S18_S1C_S1E_T6_T7_T9_mT8_S1G_bDpT10_ENKUlT_T0_E_clISt17integral_constantIbLb1EES1U_EEDaS1P_S1Q_EUlS1P_E_NS1_11comp_targetILNS1_3genE5ELNS1_11target_archE942ELNS1_3gpuE9ELNS1_3repE0EEENS1_30default_config_static_selectorELNS0_4arch9wavefront6targetE0EEEvS12_.num_agpr, 0
	.set _ZN7rocprim17ROCPRIM_400000_NS6detail17trampoline_kernelINS0_13select_configILj256ELj13ELNS0_17block_load_methodE3ELS4_3ELS4_3ELNS0_20block_scan_algorithmE0ELj4294967295EEENS1_25partition_config_selectorILNS1_17partition_subalgoE4EjNS0_10empty_typeEbEEZZNS1_14partition_implILS8_4ELb0ES6_15HIP_vector_typeIjLj2EENS0_17counting_iteratorIjlEEPS9_SG_NS0_5tupleIJPjSI_NS0_16reverse_iteratorISI_EEEEENSH_IJSG_SG_SG_EEES9_SI_JZNS1_25segmented_radix_sort_implINS0_14default_configELb1EPKfPfPKlPlN2at6native12_GLOBAL__N_18offset_tEEE10hipError_tPvRmT1_PNSt15iterator_traitsIS12_E10value_typeET2_T3_PNS13_IS18_E10value_typeET4_jRbjT5_S1E_jjP12ihipStream_tbEUljE_ZNSN_ISO_Lb1ESQ_SR_ST_SU_SY_EESZ_S10_S11_S12_S16_S17_S18_S1B_S1C_jS1D_jS1E_S1E_jjS1G_bEUljE0_EEESZ_S10_S11_S18_S1C_S1E_T6_T7_T9_mT8_S1G_bDpT10_ENKUlT_T0_E_clISt17integral_constantIbLb1EES1U_EEDaS1P_S1Q_EUlS1P_E_NS1_11comp_targetILNS1_3genE5ELNS1_11target_archE942ELNS1_3gpuE9ELNS1_3repE0EEENS1_30default_config_static_selectorELNS0_4arch9wavefront6targetE0EEEvS12_.numbered_sgpr, 0
	.set _ZN7rocprim17ROCPRIM_400000_NS6detail17trampoline_kernelINS0_13select_configILj256ELj13ELNS0_17block_load_methodE3ELS4_3ELS4_3ELNS0_20block_scan_algorithmE0ELj4294967295EEENS1_25partition_config_selectorILNS1_17partition_subalgoE4EjNS0_10empty_typeEbEEZZNS1_14partition_implILS8_4ELb0ES6_15HIP_vector_typeIjLj2EENS0_17counting_iteratorIjlEEPS9_SG_NS0_5tupleIJPjSI_NS0_16reverse_iteratorISI_EEEEENSH_IJSG_SG_SG_EEES9_SI_JZNS1_25segmented_radix_sort_implINS0_14default_configELb1EPKfPfPKlPlN2at6native12_GLOBAL__N_18offset_tEEE10hipError_tPvRmT1_PNSt15iterator_traitsIS12_E10value_typeET2_T3_PNS13_IS18_E10value_typeET4_jRbjT5_S1E_jjP12ihipStream_tbEUljE_ZNSN_ISO_Lb1ESQ_SR_ST_SU_SY_EESZ_S10_S11_S12_S16_S17_S18_S1B_S1C_jS1D_jS1E_S1E_jjS1G_bEUljE0_EEESZ_S10_S11_S18_S1C_S1E_T6_T7_T9_mT8_S1G_bDpT10_ENKUlT_T0_E_clISt17integral_constantIbLb1EES1U_EEDaS1P_S1Q_EUlS1P_E_NS1_11comp_targetILNS1_3genE5ELNS1_11target_archE942ELNS1_3gpuE9ELNS1_3repE0EEENS1_30default_config_static_selectorELNS0_4arch9wavefront6targetE0EEEvS12_.num_named_barrier, 0
	.set _ZN7rocprim17ROCPRIM_400000_NS6detail17trampoline_kernelINS0_13select_configILj256ELj13ELNS0_17block_load_methodE3ELS4_3ELS4_3ELNS0_20block_scan_algorithmE0ELj4294967295EEENS1_25partition_config_selectorILNS1_17partition_subalgoE4EjNS0_10empty_typeEbEEZZNS1_14partition_implILS8_4ELb0ES6_15HIP_vector_typeIjLj2EENS0_17counting_iteratorIjlEEPS9_SG_NS0_5tupleIJPjSI_NS0_16reverse_iteratorISI_EEEEENSH_IJSG_SG_SG_EEES9_SI_JZNS1_25segmented_radix_sort_implINS0_14default_configELb1EPKfPfPKlPlN2at6native12_GLOBAL__N_18offset_tEEE10hipError_tPvRmT1_PNSt15iterator_traitsIS12_E10value_typeET2_T3_PNS13_IS18_E10value_typeET4_jRbjT5_S1E_jjP12ihipStream_tbEUljE_ZNSN_ISO_Lb1ESQ_SR_ST_SU_SY_EESZ_S10_S11_S12_S16_S17_S18_S1B_S1C_jS1D_jS1E_S1E_jjS1G_bEUljE0_EEESZ_S10_S11_S18_S1C_S1E_T6_T7_T9_mT8_S1G_bDpT10_ENKUlT_T0_E_clISt17integral_constantIbLb1EES1U_EEDaS1P_S1Q_EUlS1P_E_NS1_11comp_targetILNS1_3genE5ELNS1_11target_archE942ELNS1_3gpuE9ELNS1_3repE0EEENS1_30default_config_static_selectorELNS0_4arch9wavefront6targetE0EEEvS12_.private_seg_size, 0
	.set _ZN7rocprim17ROCPRIM_400000_NS6detail17trampoline_kernelINS0_13select_configILj256ELj13ELNS0_17block_load_methodE3ELS4_3ELS4_3ELNS0_20block_scan_algorithmE0ELj4294967295EEENS1_25partition_config_selectorILNS1_17partition_subalgoE4EjNS0_10empty_typeEbEEZZNS1_14partition_implILS8_4ELb0ES6_15HIP_vector_typeIjLj2EENS0_17counting_iteratorIjlEEPS9_SG_NS0_5tupleIJPjSI_NS0_16reverse_iteratorISI_EEEEENSH_IJSG_SG_SG_EEES9_SI_JZNS1_25segmented_radix_sort_implINS0_14default_configELb1EPKfPfPKlPlN2at6native12_GLOBAL__N_18offset_tEEE10hipError_tPvRmT1_PNSt15iterator_traitsIS12_E10value_typeET2_T3_PNS13_IS18_E10value_typeET4_jRbjT5_S1E_jjP12ihipStream_tbEUljE_ZNSN_ISO_Lb1ESQ_SR_ST_SU_SY_EESZ_S10_S11_S12_S16_S17_S18_S1B_S1C_jS1D_jS1E_S1E_jjS1G_bEUljE0_EEESZ_S10_S11_S18_S1C_S1E_T6_T7_T9_mT8_S1G_bDpT10_ENKUlT_T0_E_clISt17integral_constantIbLb1EES1U_EEDaS1P_S1Q_EUlS1P_E_NS1_11comp_targetILNS1_3genE5ELNS1_11target_archE942ELNS1_3gpuE9ELNS1_3repE0EEENS1_30default_config_static_selectorELNS0_4arch9wavefront6targetE0EEEvS12_.uses_vcc, 0
	.set _ZN7rocprim17ROCPRIM_400000_NS6detail17trampoline_kernelINS0_13select_configILj256ELj13ELNS0_17block_load_methodE3ELS4_3ELS4_3ELNS0_20block_scan_algorithmE0ELj4294967295EEENS1_25partition_config_selectorILNS1_17partition_subalgoE4EjNS0_10empty_typeEbEEZZNS1_14partition_implILS8_4ELb0ES6_15HIP_vector_typeIjLj2EENS0_17counting_iteratorIjlEEPS9_SG_NS0_5tupleIJPjSI_NS0_16reverse_iteratorISI_EEEEENSH_IJSG_SG_SG_EEES9_SI_JZNS1_25segmented_radix_sort_implINS0_14default_configELb1EPKfPfPKlPlN2at6native12_GLOBAL__N_18offset_tEEE10hipError_tPvRmT1_PNSt15iterator_traitsIS12_E10value_typeET2_T3_PNS13_IS18_E10value_typeET4_jRbjT5_S1E_jjP12ihipStream_tbEUljE_ZNSN_ISO_Lb1ESQ_SR_ST_SU_SY_EESZ_S10_S11_S12_S16_S17_S18_S1B_S1C_jS1D_jS1E_S1E_jjS1G_bEUljE0_EEESZ_S10_S11_S18_S1C_S1E_T6_T7_T9_mT8_S1G_bDpT10_ENKUlT_T0_E_clISt17integral_constantIbLb1EES1U_EEDaS1P_S1Q_EUlS1P_E_NS1_11comp_targetILNS1_3genE5ELNS1_11target_archE942ELNS1_3gpuE9ELNS1_3repE0EEENS1_30default_config_static_selectorELNS0_4arch9wavefront6targetE0EEEvS12_.uses_flat_scratch, 0
	.set _ZN7rocprim17ROCPRIM_400000_NS6detail17trampoline_kernelINS0_13select_configILj256ELj13ELNS0_17block_load_methodE3ELS4_3ELS4_3ELNS0_20block_scan_algorithmE0ELj4294967295EEENS1_25partition_config_selectorILNS1_17partition_subalgoE4EjNS0_10empty_typeEbEEZZNS1_14partition_implILS8_4ELb0ES6_15HIP_vector_typeIjLj2EENS0_17counting_iteratorIjlEEPS9_SG_NS0_5tupleIJPjSI_NS0_16reverse_iteratorISI_EEEEENSH_IJSG_SG_SG_EEES9_SI_JZNS1_25segmented_radix_sort_implINS0_14default_configELb1EPKfPfPKlPlN2at6native12_GLOBAL__N_18offset_tEEE10hipError_tPvRmT1_PNSt15iterator_traitsIS12_E10value_typeET2_T3_PNS13_IS18_E10value_typeET4_jRbjT5_S1E_jjP12ihipStream_tbEUljE_ZNSN_ISO_Lb1ESQ_SR_ST_SU_SY_EESZ_S10_S11_S12_S16_S17_S18_S1B_S1C_jS1D_jS1E_S1E_jjS1G_bEUljE0_EEESZ_S10_S11_S18_S1C_S1E_T6_T7_T9_mT8_S1G_bDpT10_ENKUlT_T0_E_clISt17integral_constantIbLb1EES1U_EEDaS1P_S1Q_EUlS1P_E_NS1_11comp_targetILNS1_3genE5ELNS1_11target_archE942ELNS1_3gpuE9ELNS1_3repE0EEENS1_30default_config_static_selectorELNS0_4arch9wavefront6targetE0EEEvS12_.has_dyn_sized_stack, 0
	.set _ZN7rocprim17ROCPRIM_400000_NS6detail17trampoline_kernelINS0_13select_configILj256ELj13ELNS0_17block_load_methodE3ELS4_3ELS4_3ELNS0_20block_scan_algorithmE0ELj4294967295EEENS1_25partition_config_selectorILNS1_17partition_subalgoE4EjNS0_10empty_typeEbEEZZNS1_14partition_implILS8_4ELb0ES6_15HIP_vector_typeIjLj2EENS0_17counting_iteratorIjlEEPS9_SG_NS0_5tupleIJPjSI_NS0_16reverse_iteratorISI_EEEEENSH_IJSG_SG_SG_EEES9_SI_JZNS1_25segmented_radix_sort_implINS0_14default_configELb1EPKfPfPKlPlN2at6native12_GLOBAL__N_18offset_tEEE10hipError_tPvRmT1_PNSt15iterator_traitsIS12_E10value_typeET2_T3_PNS13_IS18_E10value_typeET4_jRbjT5_S1E_jjP12ihipStream_tbEUljE_ZNSN_ISO_Lb1ESQ_SR_ST_SU_SY_EESZ_S10_S11_S12_S16_S17_S18_S1B_S1C_jS1D_jS1E_S1E_jjS1G_bEUljE0_EEESZ_S10_S11_S18_S1C_S1E_T6_T7_T9_mT8_S1G_bDpT10_ENKUlT_T0_E_clISt17integral_constantIbLb1EES1U_EEDaS1P_S1Q_EUlS1P_E_NS1_11comp_targetILNS1_3genE5ELNS1_11target_archE942ELNS1_3gpuE9ELNS1_3repE0EEENS1_30default_config_static_selectorELNS0_4arch9wavefront6targetE0EEEvS12_.has_recursion, 0
	.set _ZN7rocprim17ROCPRIM_400000_NS6detail17trampoline_kernelINS0_13select_configILj256ELj13ELNS0_17block_load_methodE3ELS4_3ELS4_3ELNS0_20block_scan_algorithmE0ELj4294967295EEENS1_25partition_config_selectorILNS1_17partition_subalgoE4EjNS0_10empty_typeEbEEZZNS1_14partition_implILS8_4ELb0ES6_15HIP_vector_typeIjLj2EENS0_17counting_iteratorIjlEEPS9_SG_NS0_5tupleIJPjSI_NS0_16reverse_iteratorISI_EEEEENSH_IJSG_SG_SG_EEES9_SI_JZNS1_25segmented_radix_sort_implINS0_14default_configELb1EPKfPfPKlPlN2at6native12_GLOBAL__N_18offset_tEEE10hipError_tPvRmT1_PNSt15iterator_traitsIS12_E10value_typeET2_T3_PNS13_IS18_E10value_typeET4_jRbjT5_S1E_jjP12ihipStream_tbEUljE_ZNSN_ISO_Lb1ESQ_SR_ST_SU_SY_EESZ_S10_S11_S12_S16_S17_S18_S1B_S1C_jS1D_jS1E_S1E_jjS1G_bEUljE0_EEESZ_S10_S11_S18_S1C_S1E_T6_T7_T9_mT8_S1G_bDpT10_ENKUlT_T0_E_clISt17integral_constantIbLb1EES1U_EEDaS1P_S1Q_EUlS1P_E_NS1_11comp_targetILNS1_3genE5ELNS1_11target_archE942ELNS1_3gpuE9ELNS1_3repE0EEENS1_30default_config_static_selectorELNS0_4arch9wavefront6targetE0EEEvS12_.has_indirect_call, 0
	.section	.AMDGPU.csdata,"",@progbits
; Kernel info:
; codeLenInByte = 0
; TotalNumSgprs: 0
; NumVgprs: 0
; ScratchSize: 0
; MemoryBound: 0
; FloatMode: 240
; IeeeMode: 1
; LDSByteSize: 0 bytes/workgroup (compile time only)
; SGPRBlocks: 0
; VGPRBlocks: 0
; NumSGPRsForWavesPerEU: 1
; NumVGPRsForWavesPerEU: 1
; NamedBarCnt: 0
; Occupancy: 16
; WaveLimiterHint : 0
; COMPUTE_PGM_RSRC2:SCRATCH_EN: 0
; COMPUTE_PGM_RSRC2:USER_SGPR: 2
; COMPUTE_PGM_RSRC2:TRAP_HANDLER: 0
; COMPUTE_PGM_RSRC2:TGID_X_EN: 1
; COMPUTE_PGM_RSRC2:TGID_Y_EN: 0
; COMPUTE_PGM_RSRC2:TGID_Z_EN: 0
; COMPUTE_PGM_RSRC2:TIDIG_COMP_CNT: 0
	.section	.text._ZN7rocprim17ROCPRIM_400000_NS6detail17trampoline_kernelINS0_13select_configILj256ELj13ELNS0_17block_load_methodE3ELS4_3ELS4_3ELNS0_20block_scan_algorithmE0ELj4294967295EEENS1_25partition_config_selectorILNS1_17partition_subalgoE4EjNS0_10empty_typeEbEEZZNS1_14partition_implILS8_4ELb0ES6_15HIP_vector_typeIjLj2EENS0_17counting_iteratorIjlEEPS9_SG_NS0_5tupleIJPjSI_NS0_16reverse_iteratorISI_EEEEENSH_IJSG_SG_SG_EEES9_SI_JZNS1_25segmented_radix_sort_implINS0_14default_configELb1EPKfPfPKlPlN2at6native12_GLOBAL__N_18offset_tEEE10hipError_tPvRmT1_PNSt15iterator_traitsIS12_E10value_typeET2_T3_PNS13_IS18_E10value_typeET4_jRbjT5_S1E_jjP12ihipStream_tbEUljE_ZNSN_ISO_Lb1ESQ_SR_ST_SU_SY_EESZ_S10_S11_S12_S16_S17_S18_S1B_S1C_jS1D_jS1E_S1E_jjS1G_bEUljE0_EEESZ_S10_S11_S18_S1C_S1E_T6_T7_T9_mT8_S1G_bDpT10_ENKUlT_T0_E_clISt17integral_constantIbLb1EES1U_EEDaS1P_S1Q_EUlS1P_E_NS1_11comp_targetILNS1_3genE4ELNS1_11target_archE910ELNS1_3gpuE8ELNS1_3repE0EEENS1_30default_config_static_selectorELNS0_4arch9wavefront6targetE0EEEvS12_,"axG",@progbits,_ZN7rocprim17ROCPRIM_400000_NS6detail17trampoline_kernelINS0_13select_configILj256ELj13ELNS0_17block_load_methodE3ELS4_3ELS4_3ELNS0_20block_scan_algorithmE0ELj4294967295EEENS1_25partition_config_selectorILNS1_17partition_subalgoE4EjNS0_10empty_typeEbEEZZNS1_14partition_implILS8_4ELb0ES6_15HIP_vector_typeIjLj2EENS0_17counting_iteratorIjlEEPS9_SG_NS0_5tupleIJPjSI_NS0_16reverse_iteratorISI_EEEEENSH_IJSG_SG_SG_EEES9_SI_JZNS1_25segmented_radix_sort_implINS0_14default_configELb1EPKfPfPKlPlN2at6native12_GLOBAL__N_18offset_tEEE10hipError_tPvRmT1_PNSt15iterator_traitsIS12_E10value_typeET2_T3_PNS13_IS18_E10value_typeET4_jRbjT5_S1E_jjP12ihipStream_tbEUljE_ZNSN_ISO_Lb1ESQ_SR_ST_SU_SY_EESZ_S10_S11_S12_S16_S17_S18_S1B_S1C_jS1D_jS1E_S1E_jjS1G_bEUljE0_EEESZ_S10_S11_S18_S1C_S1E_T6_T7_T9_mT8_S1G_bDpT10_ENKUlT_T0_E_clISt17integral_constantIbLb1EES1U_EEDaS1P_S1Q_EUlS1P_E_NS1_11comp_targetILNS1_3genE4ELNS1_11target_archE910ELNS1_3gpuE8ELNS1_3repE0EEENS1_30default_config_static_selectorELNS0_4arch9wavefront6targetE0EEEvS12_,comdat
	.globl	_ZN7rocprim17ROCPRIM_400000_NS6detail17trampoline_kernelINS0_13select_configILj256ELj13ELNS0_17block_load_methodE3ELS4_3ELS4_3ELNS0_20block_scan_algorithmE0ELj4294967295EEENS1_25partition_config_selectorILNS1_17partition_subalgoE4EjNS0_10empty_typeEbEEZZNS1_14partition_implILS8_4ELb0ES6_15HIP_vector_typeIjLj2EENS0_17counting_iteratorIjlEEPS9_SG_NS0_5tupleIJPjSI_NS0_16reverse_iteratorISI_EEEEENSH_IJSG_SG_SG_EEES9_SI_JZNS1_25segmented_radix_sort_implINS0_14default_configELb1EPKfPfPKlPlN2at6native12_GLOBAL__N_18offset_tEEE10hipError_tPvRmT1_PNSt15iterator_traitsIS12_E10value_typeET2_T3_PNS13_IS18_E10value_typeET4_jRbjT5_S1E_jjP12ihipStream_tbEUljE_ZNSN_ISO_Lb1ESQ_SR_ST_SU_SY_EESZ_S10_S11_S12_S16_S17_S18_S1B_S1C_jS1D_jS1E_S1E_jjS1G_bEUljE0_EEESZ_S10_S11_S18_S1C_S1E_T6_T7_T9_mT8_S1G_bDpT10_ENKUlT_T0_E_clISt17integral_constantIbLb1EES1U_EEDaS1P_S1Q_EUlS1P_E_NS1_11comp_targetILNS1_3genE4ELNS1_11target_archE910ELNS1_3gpuE8ELNS1_3repE0EEENS1_30default_config_static_selectorELNS0_4arch9wavefront6targetE0EEEvS12_ ; -- Begin function _ZN7rocprim17ROCPRIM_400000_NS6detail17trampoline_kernelINS0_13select_configILj256ELj13ELNS0_17block_load_methodE3ELS4_3ELS4_3ELNS0_20block_scan_algorithmE0ELj4294967295EEENS1_25partition_config_selectorILNS1_17partition_subalgoE4EjNS0_10empty_typeEbEEZZNS1_14partition_implILS8_4ELb0ES6_15HIP_vector_typeIjLj2EENS0_17counting_iteratorIjlEEPS9_SG_NS0_5tupleIJPjSI_NS0_16reverse_iteratorISI_EEEEENSH_IJSG_SG_SG_EEES9_SI_JZNS1_25segmented_radix_sort_implINS0_14default_configELb1EPKfPfPKlPlN2at6native12_GLOBAL__N_18offset_tEEE10hipError_tPvRmT1_PNSt15iterator_traitsIS12_E10value_typeET2_T3_PNS13_IS18_E10value_typeET4_jRbjT5_S1E_jjP12ihipStream_tbEUljE_ZNSN_ISO_Lb1ESQ_SR_ST_SU_SY_EESZ_S10_S11_S12_S16_S17_S18_S1B_S1C_jS1D_jS1E_S1E_jjS1G_bEUljE0_EEESZ_S10_S11_S18_S1C_S1E_T6_T7_T9_mT8_S1G_bDpT10_ENKUlT_T0_E_clISt17integral_constantIbLb1EES1U_EEDaS1P_S1Q_EUlS1P_E_NS1_11comp_targetILNS1_3genE4ELNS1_11target_archE910ELNS1_3gpuE8ELNS1_3repE0EEENS1_30default_config_static_selectorELNS0_4arch9wavefront6targetE0EEEvS12_
	.p2align	8
	.type	_ZN7rocprim17ROCPRIM_400000_NS6detail17trampoline_kernelINS0_13select_configILj256ELj13ELNS0_17block_load_methodE3ELS4_3ELS4_3ELNS0_20block_scan_algorithmE0ELj4294967295EEENS1_25partition_config_selectorILNS1_17partition_subalgoE4EjNS0_10empty_typeEbEEZZNS1_14partition_implILS8_4ELb0ES6_15HIP_vector_typeIjLj2EENS0_17counting_iteratorIjlEEPS9_SG_NS0_5tupleIJPjSI_NS0_16reverse_iteratorISI_EEEEENSH_IJSG_SG_SG_EEES9_SI_JZNS1_25segmented_radix_sort_implINS0_14default_configELb1EPKfPfPKlPlN2at6native12_GLOBAL__N_18offset_tEEE10hipError_tPvRmT1_PNSt15iterator_traitsIS12_E10value_typeET2_T3_PNS13_IS18_E10value_typeET4_jRbjT5_S1E_jjP12ihipStream_tbEUljE_ZNSN_ISO_Lb1ESQ_SR_ST_SU_SY_EESZ_S10_S11_S12_S16_S17_S18_S1B_S1C_jS1D_jS1E_S1E_jjS1G_bEUljE0_EEESZ_S10_S11_S18_S1C_S1E_T6_T7_T9_mT8_S1G_bDpT10_ENKUlT_T0_E_clISt17integral_constantIbLb1EES1U_EEDaS1P_S1Q_EUlS1P_E_NS1_11comp_targetILNS1_3genE4ELNS1_11target_archE910ELNS1_3gpuE8ELNS1_3repE0EEENS1_30default_config_static_selectorELNS0_4arch9wavefront6targetE0EEEvS12_,@function
_ZN7rocprim17ROCPRIM_400000_NS6detail17trampoline_kernelINS0_13select_configILj256ELj13ELNS0_17block_load_methodE3ELS4_3ELS4_3ELNS0_20block_scan_algorithmE0ELj4294967295EEENS1_25partition_config_selectorILNS1_17partition_subalgoE4EjNS0_10empty_typeEbEEZZNS1_14partition_implILS8_4ELb0ES6_15HIP_vector_typeIjLj2EENS0_17counting_iteratorIjlEEPS9_SG_NS0_5tupleIJPjSI_NS0_16reverse_iteratorISI_EEEEENSH_IJSG_SG_SG_EEES9_SI_JZNS1_25segmented_radix_sort_implINS0_14default_configELb1EPKfPfPKlPlN2at6native12_GLOBAL__N_18offset_tEEE10hipError_tPvRmT1_PNSt15iterator_traitsIS12_E10value_typeET2_T3_PNS13_IS18_E10value_typeET4_jRbjT5_S1E_jjP12ihipStream_tbEUljE_ZNSN_ISO_Lb1ESQ_SR_ST_SU_SY_EESZ_S10_S11_S12_S16_S17_S18_S1B_S1C_jS1D_jS1E_S1E_jjS1G_bEUljE0_EEESZ_S10_S11_S18_S1C_S1E_T6_T7_T9_mT8_S1G_bDpT10_ENKUlT_T0_E_clISt17integral_constantIbLb1EES1U_EEDaS1P_S1Q_EUlS1P_E_NS1_11comp_targetILNS1_3genE4ELNS1_11target_archE910ELNS1_3gpuE8ELNS1_3repE0EEENS1_30default_config_static_selectorELNS0_4arch9wavefront6targetE0EEEvS12_: ; @_ZN7rocprim17ROCPRIM_400000_NS6detail17trampoline_kernelINS0_13select_configILj256ELj13ELNS0_17block_load_methodE3ELS4_3ELS4_3ELNS0_20block_scan_algorithmE0ELj4294967295EEENS1_25partition_config_selectorILNS1_17partition_subalgoE4EjNS0_10empty_typeEbEEZZNS1_14partition_implILS8_4ELb0ES6_15HIP_vector_typeIjLj2EENS0_17counting_iteratorIjlEEPS9_SG_NS0_5tupleIJPjSI_NS0_16reverse_iteratorISI_EEEEENSH_IJSG_SG_SG_EEES9_SI_JZNS1_25segmented_radix_sort_implINS0_14default_configELb1EPKfPfPKlPlN2at6native12_GLOBAL__N_18offset_tEEE10hipError_tPvRmT1_PNSt15iterator_traitsIS12_E10value_typeET2_T3_PNS13_IS18_E10value_typeET4_jRbjT5_S1E_jjP12ihipStream_tbEUljE_ZNSN_ISO_Lb1ESQ_SR_ST_SU_SY_EESZ_S10_S11_S12_S16_S17_S18_S1B_S1C_jS1D_jS1E_S1E_jjS1G_bEUljE0_EEESZ_S10_S11_S18_S1C_S1E_T6_T7_T9_mT8_S1G_bDpT10_ENKUlT_T0_E_clISt17integral_constantIbLb1EES1U_EEDaS1P_S1Q_EUlS1P_E_NS1_11comp_targetILNS1_3genE4ELNS1_11target_archE910ELNS1_3gpuE8ELNS1_3repE0EEENS1_30default_config_static_selectorELNS0_4arch9wavefront6targetE0EEEvS12_
; %bb.0:
	.section	.rodata,"a",@progbits
	.p2align	6, 0x0
	.amdhsa_kernel _ZN7rocprim17ROCPRIM_400000_NS6detail17trampoline_kernelINS0_13select_configILj256ELj13ELNS0_17block_load_methodE3ELS4_3ELS4_3ELNS0_20block_scan_algorithmE0ELj4294967295EEENS1_25partition_config_selectorILNS1_17partition_subalgoE4EjNS0_10empty_typeEbEEZZNS1_14partition_implILS8_4ELb0ES6_15HIP_vector_typeIjLj2EENS0_17counting_iteratorIjlEEPS9_SG_NS0_5tupleIJPjSI_NS0_16reverse_iteratorISI_EEEEENSH_IJSG_SG_SG_EEES9_SI_JZNS1_25segmented_radix_sort_implINS0_14default_configELb1EPKfPfPKlPlN2at6native12_GLOBAL__N_18offset_tEEE10hipError_tPvRmT1_PNSt15iterator_traitsIS12_E10value_typeET2_T3_PNS13_IS18_E10value_typeET4_jRbjT5_S1E_jjP12ihipStream_tbEUljE_ZNSN_ISO_Lb1ESQ_SR_ST_SU_SY_EESZ_S10_S11_S12_S16_S17_S18_S1B_S1C_jS1D_jS1E_S1E_jjS1G_bEUljE0_EEESZ_S10_S11_S18_S1C_S1E_T6_T7_T9_mT8_S1G_bDpT10_ENKUlT_T0_E_clISt17integral_constantIbLb1EES1U_EEDaS1P_S1Q_EUlS1P_E_NS1_11comp_targetILNS1_3genE4ELNS1_11target_archE910ELNS1_3gpuE8ELNS1_3repE0EEENS1_30default_config_static_selectorELNS0_4arch9wavefront6targetE0EEEvS12_
		.amdhsa_group_segment_fixed_size 0
		.amdhsa_private_segment_fixed_size 0
		.amdhsa_kernarg_size 184
		.amdhsa_user_sgpr_count 2
		.amdhsa_user_sgpr_dispatch_ptr 0
		.amdhsa_user_sgpr_queue_ptr 0
		.amdhsa_user_sgpr_kernarg_segment_ptr 1
		.amdhsa_user_sgpr_dispatch_id 0
		.amdhsa_user_sgpr_kernarg_preload_length 0
		.amdhsa_user_sgpr_kernarg_preload_offset 0
		.amdhsa_user_sgpr_private_segment_size 0
		.amdhsa_wavefront_size32 1
		.amdhsa_uses_dynamic_stack 0
		.amdhsa_enable_private_segment 0
		.amdhsa_system_sgpr_workgroup_id_x 1
		.amdhsa_system_sgpr_workgroup_id_y 0
		.amdhsa_system_sgpr_workgroup_id_z 0
		.amdhsa_system_sgpr_workgroup_info 0
		.amdhsa_system_vgpr_workitem_id 0
		.amdhsa_next_free_vgpr 1
		.amdhsa_next_free_sgpr 1
		.amdhsa_named_barrier_count 0
		.amdhsa_reserve_vcc 0
		.amdhsa_float_round_mode_32 0
		.amdhsa_float_round_mode_16_64 0
		.amdhsa_float_denorm_mode_32 3
		.amdhsa_float_denorm_mode_16_64 3
		.amdhsa_fp16_overflow 0
		.amdhsa_memory_ordered 1
		.amdhsa_forward_progress 1
		.amdhsa_inst_pref_size 0
		.amdhsa_round_robin_scheduling 0
		.amdhsa_exception_fp_ieee_invalid_op 0
		.amdhsa_exception_fp_denorm_src 0
		.amdhsa_exception_fp_ieee_div_zero 0
		.amdhsa_exception_fp_ieee_overflow 0
		.amdhsa_exception_fp_ieee_underflow 0
		.amdhsa_exception_fp_ieee_inexact 0
		.amdhsa_exception_int_div_zero 0
	.end_amdhsa_kernel
	.section	.text._ZN7rocprim17ROCPRIM_400000_NS6detail17trampoline_kernelINS0_13select_configILj256ELj13ELNS0_17block_load_methodE3ELS4_3ELS4_3ELNS0_20block_scan_algorithmE0ELj4294967295EEENS1_25partition_config_selectorILNS1_17partition_subalgoE4EjNS0_10empty_typeEbEEZZNS1_14partition_implILS8_4ELb0ES6_15HIP_vector_typeIjLj2EENS0_17counting_iteratorIjlEEPS9_SG_NS0_5tupleIJPjSI_NS0_16reverse_iteratorISI_EEEEENSH_IJSG_SG_SG_EEES9_SI_JZNS1_25segmented_radix_sort_implINS0_14default_configELb1EPKfPfPKlPlN2at6native12_GLOBAL__N_18offset_tEEE10hipError_tPvRmT1_PNSt15iterator_traitsIS12_E10value_typeET2_T3_PNS13_IS18_E10value_typeET4_jRbjT5_S1E_jjP12ihipStream_tbEUljE_ZNSN_ISO_Lb1ESQ_SR_ST_SU_SY_EESZ_S10_S11_S12_S16_S17_S18_S1B_S1C_jS1D_jS1E_S1E_jjS1G_bEUljE0_EEESZ_S10_S11_S18_S1C_S1E_T6_T7_T9_mT8_S1G_bDpT10_ENKUlT_T0_E_clISt17integral_constantIbLb1EES1U_EEDaS1P_S1Q_EUlS1P_E_NS1_11comp_targetILNS1_3genE4ELNS1_11target_archE910ELNS1_3gpuE8ELNS1_3repE0EEENS1_30default_config_static_selectorELNS0_4arch9wavefront6targetE0EEEvS12_,"axG",@progbits,_ZN7rocprim17ROCPRIM_400000_NS6detail17trampoline_kernelINS0_13select_configILj256ELj13ELNS0_17block_load_methodE3ELS4_3ELS4_3ELNS0_20block_scan_algorithmE0ELj4294967295EEENS1_25partition_config_selectorILNS1_17partition_subalgoE4EjNS0_10empty_typeEbEEZZNS1_14partition_implILS8_4ELb0ES6_15HIP_vector_typeIjLj2EENS0_17counting_iteratorIjlEEPS9_SG_NS0_5tupleIJPjSI_NS0_16reverse_iteratorISI_EEEEENSH_IJSG_SG_SG_EEES9_SI_JZNS1_25segmented_radix_sort_implINS0_14default_configELb1EPKfPfPKlPlN2at6native12_GLOBAL__N_18offset_tEEE10hipError_tPvRmT1_PNSt15iterator_traitsIS12_E10value_typeET2_T3_PNS13_IS18_E10value_typeET4_jRbjT5_S1E_jjP12ihipStream_tbEUljE_ZNSN_ISO_Lb1ESQ_SR_ST_SU_SY_EESZ_S10_S11_S12_S16_S17_S18_S1B_S1C_jS1D_jS1E_S1E_jjS1G_bEUljE0_EEESZ_S10_S11_S18_S1C_S1E_T6_T7_T9_mT8_S1G_bDpT10_ENKUlT_T0_E_clISt17integral_constantIbLb1EES1U_EEDaS1P_S1Q_EUlS1P_E_NS1_11comp_targetILNS1_3genE4ELNS1_11target_archE910ELNS1_3gpuE8ELNS1_3repE0EEENS1_30default_config_static_selectorELNS0_4arch9wavefront6targetE0EEEvS12_,comdat
.Lfunc_end1265:
	.size	_ZN7rocprim17ROCPRIM_400000_NS6detail17trampoline_kernelINS0_13select_configILj256ELj13ELNS0_17block_load_methodE3ELS4_3ELS4_3ELNS0_20block_scan_algorithmE0ELj4294967295EEENS1_25partition_config_selectorILNS1_17partition_subalgoE4EjNS0_10empty_typeEbEEZZNS1_14partition_implILS8_4ELb0ES6_15HIP_vector_typeIjLj2EENS0_17counting_iteratorIjlEEPS9_SG_NS0_5tupleIJPjSI_NS0_16reverse_iteratorISI_EEEEENSH_IJSG_SG_SG_EEES9_SI_JZNS1_25segmented_radix_sort_implINS0_14default_configELb1EPKfPfPKlPlN2at6native12_GLOBAL__N_18offset_tEEE10hipError_tPvRmT1_PNSt15iterator_traitsIS12_E10value_typeET2_T3_PNS13_IS18_E10value_typeET4_jRbjT5_S1E_jjP12ihipStream_tbEUljE_ZNSN_ISO_Lb1ESQ_SR_ST_SU_SY_EESZ_S10_S11_S12_S16_S17_S18_S1B_S1C_jS1D_jS1E_S1E_jjS1G_bEUljE0_EEESZ_S10_S11_S18_S1C_S1E_T6_T7_T9_mT8_S1G_bDpT10_ENKUlT_T0_E_clISt17integral_constantIbLb1EES1U_EEDaS1P_S1Q_EUlS1P_E_NS1_11comp_targetILNS1_3genE4ELNS1_11target_archE910ELNS1_3gpuE8ELNS1_3repE0EEENS1_30default_config_static_selectorELNS0_4arch9wavefront6targetE0EEEvS12_, .Lfunc_end1265-_ZN7rocprim17ROCPRIM_400000_NS6detail17trampoline_kernelINS0_13select_configILj256ELj13ELNS0_17block_load_methodE3ELS4_3ELS4_3ELNS0_20block_scan_algorithmE0ELj4294967295EEENS1_25partition_config_selectorILNS1_17partition_subalgoE4EjNS0_10empty_typeEbEEZZNS1_14partition_implILS8_4ELb0ES6_15HIP_vector_typeIjLj2EENS0_17counting_iteratorIjlEEPS9_SG_NS0_5tupleIJPjSI_NS0_16reverse_iteratorISI_EEEEENSH_IJSG_SG_SG_EEES9_SI_JZNS1_25segmented_radix_sort_implINS0_14default_configELb1EPKfPfPKlPlN2at6native12_GLOBAL__N_18offset_tEEE10hipError_tPvRmT1_PNSt15iterator_traitsIS12_E10value_typeET2_T3_PNS13_IS18_E10value_typeET4_jRbjT5_S1E_jjP12ihipStream_tbEUljE_ZNSN_ISO_Lb1ESQ_SR_ST_SU_SY_EESZ_S10_S11_S12_S16_S17_S18_S1B_S1C_jS1D_jS1E_S1E_jjS1G_bEUljE0_EEESZ_S10_S11_S18_S1C_S1E_T6_T7_T9_mT8_S1G_bDpT10_ENKUlT_T0_E_clISt17integral_constantIbLb1EES1U_EEDaS1P_S1Q_EUlS1P_E_NS1_11comp_targetILNS1_3genE4ELNS1_11target_archE910ELNS1_3gpuE8ELNS1_3repE0EEENS1_30default_config_static_selectorELNS0_4arch9wavefront6targetE0EEEvS12_
                                        ; -- End function
	.set _ZN7rocprim17ROCPRIM_400000_NS6detail17trampoline_kernelINS0_13select_configILj256ELj13ELNS0_17block_load_methodE3ELS4_3ELS4_3ELNS0_20block_scan_algorithmE0ELj4294967295EEENS1_25partition_config_selectorILNS1_17partition_subalgoE4EjNS0_10empty_typeEbEEZZNS1_14partition_implILS8_4ELb0ES6_15HIP_vector_typeIjLj2EENS0_17counting_iteratorIjlEEPS9_SG_NS0_5tupleIJPjSI_NS0_16reverse_iteratorISI_EEEEENSH_IJSG_SG_SG_EEES9_SI_JZNS1_25segmented_radix_sort_implINS0_14default_configELb1EPKfPfPKlPlN2at6native12_GLOBAL__N_18offset_tEEE10hipError_tPvRmT1_PNSt15iterator_traitsIS12_E10value_typeET2_T3_PNS13_IS18_E10value_typeET4_jRbjT5_S1E_jjP12ihipStream_tbEUljE_ZNSN_ISO_Lb1ESQ_SR_ST_SU_SY_EESZ_S10_S11_S12_S16_S17_S18_S1B_S1C_jS1D_jS1E_S1E_jjS1G_bEUljE0_EEESZ_S10_S11_S18_S1C_S1E_T6_T7_T9_mT8_S1G_bDpT10_ENKUlT_T0_E_clISt17integral_constantIbLb1EES1U_EEDaS1P_S1Q_EUlS1P_E_NS1_11comp_targetILNS1_3genE4ELNS1_11target_archE910ELNS1_3gpuE8ELNS1_3repE0EEENS1_30default_config_static_selectorELNS0_4arch9wavefront6targetE0EEEvS12_.num_vgpr, 0
	.set _ZN7rocprim17ROCPRIM_400000_NS6detail17trampoline_kernelINS0_13select_configILj256ELj13ELNS0_17block_load_methodE3ELS4_3ELS4_3ELNS0_20block_scan_algorithmE0ELj4294967295EEENS1_25partition_config_selectorILNS1_17partition_subalgoE4EjNS0_10empty_typeEbEEZZNS1_14partition_implILS8_4ELb0ES6_15HIP_vector_typeIjLj2EENS0_17counting_iteratorIjlEEPS9_SG_NS0_5tupleIJPjSI_NS0_16reverse_iteratorISI_EEEEENSH_IJSG_SG_SG_EEES9_SI_JZNS1_25segmented_radix_sort_implINS0_14default_configELb1EPKfPfPKlPlN2at6native12_GLOBAL__N_18offset_tEEE10hipError_tPvRmT1_PNSt15iterator_traitsIS12_E10value_typeET2_T3_PNS13_IS18_E10value_typeET4_jRbjT5_S1E_jjP12ihipStream_tbEUljE_ZNSN_ISO_Lb1ESQ_SR_ST_SU_SY_EESZ_S10_S11_S12_S16_S17_S18_S1B_S1C_jS1D_jS1E_S1E_jjS1G_bEUljE0_EEESZ_S10_S11_S18_S1C_S1E_T6_T7_T9_mT8_S1G_bDpT10_ENKUlT_T0_E_clISt17integral_constantIbLb1EES1U_EEDaS1P_S1Q_EUlS1P_E_NS1_11comp_targetILNS1_3genE4ELNS1_11target_archE910ELNS1_3gpuE8ELNS1_3repE0EEENS1_30default_config_static_selectorELNS0_4arch9wavefront6targetE0EEEvS12_.num_agpr, 0
	.set _ZN7rocprim17ROCPRIM_400000_NS6detail17trampoline_kernelINS0_13select_configILj256ELj13ELNS0_17block_load_methodE3ELS4_3ELS4_3ELNS0_20block_scan_algorithmE0ELj4294967295EEENS1_25partition_config_selectorILNS1_17partition_subalgoE4EjNS0_10empty_typeEbEEZZNS1_14partition_implILS8_4ELb0ES6_15HIP_vector_typeIjLj2EENS0_17counting_iteratorIjlEEPS9_SG_NS0_5tupleIJPjSI_NS0_16reverse_iteratorISI_EEEEENSH_IJSG_SG_SG_EEES9_SI_JZNS1_25segmented_radix_sort_implINS0_14default_configELb1EPKfPfPKlPlN2at6native12_GLOBAL__N_18offset_tEEE10hipError_tPvRmT1_PNSt15iterator_traitsIS12_E10value_typeET2_T3_PNS13_IS18_E10value_typeET4_jRbjT5_S1E_jjP12ihipStream_tbEUljE_ZNSN_ISO_Lb1ESQ_SR_ST_SU_SY_EESZ_S10_S11_S12_S16_S17_S18_S1B_S1C_jS1D_jS1E_S1E_jjS1G_bEUljE0_EEESZ_S10_S11_S18_S1C_S1E_T6_T7_T9_mT8_S1G_bDpT10_ENKUlT_T0_E_clISt17integral_constantIbLb1EES1U_EEDaS1P_S1Q_EUlS1P_E_NS1_11comp_targetILNS1_3genE4ELNS1_11target_archE910ELNS1_3gpuE8ELNS1_3repE0EEENS1_30default_config_static_selectorELNS0_4arch9wavefront6targetE0EEEvS12_.numbered_sgpr, 0
	.set _ZN7rocprim17ROCPRIM_400000_NS6detail17trampoline_kernelINS0_13select_configILj256ELj13ELNS0_17block_load_methodE3ELS4_3ELS4_3ELNS0_20block_scan_algorithmE0ELj4294967295EEENS1_25partition_config_selectorILNS1_17partition_subalgoE4EjNS0_10empty_typeEbEEZZNS1_14partition_implILS8_4ELb0ES6_15HIP_vector_typeIjLj2EENS0_17counting_iteratorIjlEEPS9_SG_NS0_5tupleIJPjSI_NS0_16reverse_iteratorISI_EEEEENSH_IJSG_SG_SG_EEES9_SI_JZNS1_25segmented_radix_sort_implINS0_14default_configELb1EPKfPfPKlPlN2at6native12_GLOBAL__N_18offset_tEEE10hipError_tPvRmT1_PNSt15iterator_traitsIS12_E10value_typeET2_T3_PNS13_IS18_E10value_typeET4_jRbjT5_S1E_jjP12ihipStream_tbEUljE_ZNSN_ISO_Lb1ESQ_SR_ST_SU_SY_EESZ_S10_S11_S12_S16_S17_S18_S1B_S1C_jS1D_jS1E_S1E_jjS1G_bEUljE0_EEESZ_S10_S11_S18_S1C_S1E_T6_T7_T9_mT8_S1G_bDpT10_ENKUlT_T0_E_clISt17integral_constantIbLb1EES1U_EEDaS1P_S1Q_EUlS1P_E_NS1_11comp_targetILNS1_3genE4ELNS1_11target_archE910ELNS1_3gpuE8ELNS1_3repE0EEENS1_30default_config_static_selectorELNS0_4arch9wavefront6targetE0EEEvS12_.num_named_barrier, 0
	.set _ZN7rocprim17ROCPRIM_400000_NS6detail17trampoline_kernelINS0_13select_configILj256ELj13ELNS0_17block_load_methodE3ELS4_3ELS4_3ELNS0_20block_scan_algorithmE0ELj4294967295EEENS1_25partition_config_selectorILNS1_17partition_subalgoE4EjNS0_10empty_typeEbEEZZNS1_14partition_implILS8_4ELb0ES6_15HIP_vector_typeIjLj2EENS0_17counting_iteratorIjlEEPS9_SG_NS0_5tupleIJPjSI_NS0_16reverse_iteratorISI_EEEEENSH_IJSG_SG_SG_EEES9_SI_JZNS1_25segmented_radix_sort_implINS0_14default_configELb1EPKfPfPKlPlN2at6native12_GLOBAL__N_18offset_tEEE10hipError_tPvRmT1_PNSt15iterator_traitsIS12_E10value_typeET2_T3_PNS13_IS18_E10value_typeET4_jRbjT5_S1E_jjP12ihipStream_tbEUljE_ZNSN_ISO_Lb1ESQ_SR_ST_SU_SY_EESZ_S10_S11_S12_S16_S17_S18_S1B_S1C_jS1D_jS1E_S1E_jjS1G_bEUljE0_EEESZ_S10_S11_S18_S1C_S1E_T6_T7_T9_mT8_S1G_bDpT10_ENKUlT_T0_E_clISt17integral_constantIbLb1EES1U_EEDaS1P_S1Q_EUlS1P_E_NS1_11comp_targetILNS1_3genE4ELNS1_11target_archE910ELNS1_3gpuE8ELNS1_3repE0EEENS1_30default_config_static_selectorELNS0_4arch9wavefront6targetE0EEEvS12_.private_seg_size, 0
	.set _ZN7rocprim17ROCPRIM_400000_NS6detail17trampoline_kernelINS0_13select_configILj256ELj13ELNS0_17block_load_methodE3ELS4_3ELS4_3ELNS0_20block_scan_algorithmE0ELj4294967295EEENS1_25partition_config_selectorILNS1_17partition_subalgoE4EjNS0_10empty_typeEbEEZZNS1_14partition_implILS8_4ELb0ES6_15HIP_vector_typeIjLj2EENS0_17counting_iteratorIjlEEPS9_SG_NS0_5tupleIJPjSI_NS0_16reverse_iteratorISI_EEEEENSH_IJSG_SG_SG_EEES9_SI_JZNS1_25segmented_radix_sort_implINS0_14default_configELb1EPKfPfPKlPlN2at6native12_GLOBAL__N_18offset_tEEE10hipError_tPvRmT1_PNSt15iterator_traitsIS12_E10value_typeET2_T3_PNS13_IS18_E10value_typeET4_jRbjT5_S1E_jjP12ihipStream_tbEUljE_ZNSN_ISO_Lb1ESQ_SR_ST_SU_SY_EESZ_S10_S11_S12_S16_S17_S18_S1B_S1C_jS1D_jS1E_S1E_jjS1G_bEUljE0_EEESZ_S10_S11_S18_S1C_S1E_T6_T7_T9_mT8_S1G_bDpT10_ENKUlT_T0_E_clISt17integral_constantIbLb1EES1U_EEDaS1P_S1Q_EUlS1P_E_NS1_11comp_targetILNS1_3genE4ELNS1_11target_archE910ELNS1_3gpuE8ELNS1_3repE0EEENS1_30default_config_static_selectorELNS0_4arch9wavefront6targetE0EEEvS12_.uses_vcc, 0
	.set _ZN7rocprim17ROCPRIM_400000_NS6detail17trampoline_kernelINS0_13select_configILj256ELj13ELNS0_17block_load_methodE3ELS4_3ELS4_3ELNS0_20block_scan_algorithmE0ELj4294967295EEENS1_25partition_config_selectorILNS1_17partition_subalgoE4EjNS0_10empty_typeEbEEZZNS1_14partition_implILS8_4ELb0ES6_15HIP_vector_typeIjLj2EENS0_17counting_iteratorIjlEEPS9_SG_NS0_5tupleIJPjSI_NS0_16reverse_iteratorISI_EEEEENSH_IJSG_SG_SG_EEES9_SI_JZNS1_25segmented_radix_sort_implINS0_14default_configELb1EPKfPfPKlPlN2at6native12_GLOBAL__N_18offset_tEEE10hipError_tPvRmT1_PNSt15iterator_traitsIS12_E10value_typeET2_T3_PNS13_IS18_E10value_typeET4_jRbjT5_S1E_jjP12ihipStream_tbEUljE_ZNSN_ISO_Lb1ESQ_SR_ST_SU_SY_EESZ_S10_S11_S12_S16_S17_S18_S1B_S1C_jS1D_jS1E_S1E_jjS1G_bEUljE0_EEESZ_S10_S11_S18_S1C_S1E_T6_T7_T9_mT8_S1G_bDpT10_ENKUlT_T0_E_clISt17integral_constantIbLb1EES1U_EEDaS1P_S1Q_EUlS1P_E_NS1_11comp_targetILNS1_3genE4ELNS1_11target_archE910ELNS1_3gpuE8ELNS1_3repE0EEENS1_30default_config_static_selectorELNS0_4arch9wavefront6targetE0EEEvS12_.uses_flat_scratch, 0
	.set _ZN7rocprim17ROCPRIM_400000_NS6detail17trampoline_kernelINS0_13select_configILj256ELj13ELNS0_17block_load_methodE3ELS4_3ELS4_3ELNS0_20block_scan_algorithmE0ELj4294967295EEENS1_25partition_config_selectorILNS1_17partition_subalgoE4EjNS0_10empty_typeEbEEZZNS1_14partition_implILS8_4ELb0ES6_15HIP_vector_typeIjLj2EENS0_17counting_iteratorIjlEEPS9_SG_NS0_5tupleIJPjSI_NS0_16reverse_iteratorISI_EEEEENSH_IJSG_SG_SG_EEES9_SI_JZNS1_25segmented_radix_sort_implINS0_14default_configELb1EPKfPfPKlPlN2at6native12_GLOBAL__N_18offset_tEEE10hipError_tPvRmT1_PNSt15iterator_traitsIS12_E10value_typeET2_T3_PNS13_IS18_E10value_typeET4_jRbjT5_S1E_jjP12ihipStream_tbEUljE_ZNSN_ISO_Lb1ESQ_SR_ST_SU_SY_EESZ_S10_S11_S12_S16_S17_S18_S1B_S1C_jS1D_jS1E_S1E_jjS1G_bEUljE0_EEESZ_S10_S11_S18_S1C_S1E_T6_T7_T9_mT8_S1G_bDpT10_ENKUlT_T0_E_clISt17integral_constantIbLb1EES1U_EEDaS1P_S1Q_EUlS1P_E_NS1_11comp_targetILNS1_3genE4ELNS1_11target_archE910ELNS1_3gpuE8ELNS1_3repE0EEENS1_30default_config_static_selectorELNS0_4arch9wavefront6targetE0EEEvS12_.has_dyn_sized_stack, 0
	.set _ZN7rocprim17ROCPRIM_400000_NS6detail17trampoline_kernelINS0_13select_configILj256ELj13ELNS0_17block_load_methodE3ELS4_3ELS4_3ELNS0_20block_scan_algorithmE0ELj4294967295EEENS1_25partition_config_selectorILNS1_17partition_subalgoE4EjNS0_10empty_typeEbEEZZNS1_14partition_implILS8_4ELb0ES6_15HIP_vector_typeIjLj2EENS0_17counting_iteratorIjlEEPS9_SG_NS0_5tupleIJPjSI_NS0_16reverse_iteratorISI_EEEEENSH_IJSG_SG_SG_EEES9_SI_JZNS1_25segmented_radix_sort_implINS0_14default_configELb1EPKfPfPKlPlN2at6native12_GLOBAL__N_18offset_tEEE10hipError_tPvRmT1_PNSt15iterator_traitsIS12_E10value_typeET2_T3_PNS13_IS18_E10value_typeET4_jRbjT5_S1E_jjP12ihipStream_tbEUljE_ZNSN_ISO_Lb1ESQ_SR_ST_SU_SY_EESZ_S10_S11_S12_S16_S17_S18_S1B_S1C_jS1D_jS1E_S1E_jjS1G_bEUljE0_EEESZ_S10_S11_S18_S1C_S1E_T6_T7_T9_mT8_S1G_bDpT10_ENKUlT_T0_E_clISt17integral_constantIbLb1EES1U_EEDaS1P_S1Q_EUlS1P_E_NS1_11comp_targetILNS1_3genE4ELNS1_11target_archE910ELNS1_3gpuE8ELNS1_3repE0EEENS1_30default_config_static_selectorELNS0_4arch9wavefront6targetE0EEEvS12_.has_recursion, 0
	.set _ZN7rocprim17ROCPRIM_400000_NS6detail17trampoline_kernelINS0_13select_configILj256ELj13ELNS0_17block_load_methodE3ELS4_3ELS4_3ELNS0_20block_scan_algorithmE0ELj4294967295EEENS1_25partition_config_selectorILNS1_17partition_subalgoE4EjNS0_10empty_typeEbEEZZNS1_14partition_implILS8_4ELb0ES6_15HIP_vector_typeIjLj2EENS0_17counting_iteratorIjlEEPS9_SG_NS0_5tupleIJPjSI_NS0_16reverse_iteratorISI_EEEEENSH_IJSG_SG_SG_EEES9_SI_JZNS1_25segmented_radix_sort_implINS0_14default_configELb1EPKfPfPKlPlN2at6native12_GLOBAL__N_18offset_tEEE10hipError_tPvRmT1_PNSt15iterator_traitsIS12_E10value_typeET2_T3_PNS13_IS18_E10value_typeET4_jRbjT5_S1E_jjP12ihipStream_tbEUljE_ZNSN_ISO_Lb1ESQ_SR_ST_SU_SY_EESZ_S10_S11_S12_S16_S17_S18_S1B_S1C_jS1D_jS1E_S1E_jjS1G_bEUljE0_EEESZ_S10_S11_S18_S1C_S1E_T6_T7_T9_mT8_S1G_bDpT10_ENKUlT_T0_E_clISt17integral_constantIbLb1EES1U_EEDaS1P_S1Q_EUlS1P_E_NS1_11comp_targetILNS1_3genE4ELNS1_11target_archE910ELNS1_3gpuE8ELNS1_3repE0EEENS1_30default_config_static_selectorELNS0_4arch9wavefront6targetE0EEEvS12_.has_indirect_call, 0
	.section	.AMDGPU.csdata,"",@progbits
; Kernel info:
; codeLenInByte = 0
; TotalNumSgprs: 0
; NumVgprs: 0
; ScratchSize: 0
; MemoryBound: 0
; FloatMode: 240
; IeeeMode: 1
; LDSByteSize: 0 bytes/workgroup (compile time only)
; SGPRBlocks: 0
; VGPRBlocks: 0
; NumSGPRsForWavesPerEU: 1
; NumVGPRsForWavesPerEU: 1
; NamedBarCnt: 0
; Occupancy: 16
; WaveLimiterHint : 0
; COMPUTE_PGM_RSRC2:SCRATCH_EN: 0
; COMPUTE_PGM_RSRC2:USER_SGPR: 2
; COMPUTE_PGM_RSRC2:TRAP_HANDLER: 0
; COMPUTE_PGM_RSRC2:TGID_X_EN: 1
; COMPUTE_PGM_RSRC2:TGID_Y_EN: 0
; COMPUTE_PGM_RSRC2:TGID_Z_EN: 0
; COMPUTE_PGM_RSRC2:TIDIG_COMP_CNT: 0
	.section	.text._ZN7rocprim17ROCPRIM_400000_NS6detail17trampoline_kernelINS0_13select_configILj256ELj13ELNS0_17block_load_methodE3ELS4_3ELS4_3ELNS0_20block_scan_algorithmE0ELj4294967295EEENS1_25partition_config_selectorILNS1_17partition_subalgoE4EjNS0_10empty_typeEbEEZZNS1_14partition_implILS8_4ELb0ES6_15HIP_vector_typeIjLj2EENS0_17counting_iteratorIjlEEPS9_SG_NS0_5tupleIJPjSI_NS0_16reverse_iteratorISI_EEEEENSH_IJSG_SG_SG_EEES9_SI_JZNS1_25segmented_radix_sort_implINS0_14default_configELb1EPKfPfPKlPlN2at6native12_GLOBAL__N_18offset_tEEE10hipError_tPvRmT1_PNSt15iterator_traitsIS12_E10value_typeET2_T3_PNS13_IS18_E10value_typeET4_jRbjT5_S1E_jjP12ihipStream_tbEUljE_ZNSN_ISO_Lb1ESQ_SR_ST_SU_SY_EESZ_S10_S11_S12_S16_S17_S18_S1B_S1C_jS1D_jS1E_S1E_jjS1G_bEUljE0_EEESZ_S10_S11_S18_S1C_S1E_T6_T7_T9_mT8_S1G_bDpT10_ENKUlT_T0_E_clISt17integral_constantIbLb1EES1U_EEDaS1P_S1Q_EUlS1P_E_NS1_11comp_targetILNS1_3genE3ELNS1_11target_archE908ELNS1_3gpuE7ELNS1_3repE0EEENS1_30default_config_static_selectorELNS0_4arch9wavefront6targetE0EEEvS12_,"axG",@progbits,_ZN7rocprim17ROCPRIM_400000_NS6detail17trampoline_kernelINS0_13select_configILj256ELj13ELNS0_17block_load_methodE3ELS4_3ELS4_3ELNS0_20block_scan_algorithmE0ELj4294967295EEENS1_25partition_config_selectorILNS1_17partition_subalgoE4EjNS0_10empty_typeEbEEZZNS1_14partition_implILS8_4ELb0ES6_15HIP_vector_typeIjLj2EENS0_17counting_iteratorIjlEEPS9_SG_NS0_5tupleIJPjSI_NS0_16reverse_iteratorISI_EEEEENSH_IJSG_SG_SG_EEES9_SI_JZNS1_25segmented_radix_sort_implINS0_14default_configELb1EPKfPfPKlPlN2at6native12_GLOBAL__N_18offset_tEEE10hipError_tPvRmT1_PNSt15iterator_traitsIS12_E10value_typeET2_T3_PNS13_IS18_E10value_typeET4_jRbjT5_S1E_jjP12ihipStream_tbEUljE_ZNSN_ISO_Lb1ESQ_SR_ST_SU_SY_EESZ_S10_S11_S12_S16_S17_S18_S1B_S1C_jS1D_jS1E_S1E_jjS1G_bEUljE0_EEESZ_S10_S11_S18_S1C_S1E_T6_T7_T9_mT8_S1G_bDpT10_ENKUlT_T0_E_clISt17integral_constantIbLb1EES1U_EEDaS1P_S1Q_EUlS1P_E_NS1_11comp_targetILNS1_3genE3ELNS1_11target_archE908ELNS1_3gpuE7ELNS1_3repE0EEENS1_30default_config_static_selectorELNS0_4arch9wavefront6targetE0EEEvS12_,comdat
	.globl	_ZN7rocprim17ROCPRIM_400000_NS6detail17trampoline_kernelINS0_13select_configILj256ELj13ELNS0_17block_load_methodE3ELS4_3ELS4_3ELNS0_20block_scan_algorithmE0ELj4294967295EEENS1_25partition_config_selectorILNS1_17partition_subalgoE4EjNS0_10empty_typeEbEEZZNS1_14partition_implILS8_4ELb0ES6_15HIP_vector_typeIjLj2EENS0_17counting_iteratorIjlEEPS9_SG_NS0_5tupleIJPjSI_NS0_16reverse_iteratorISI_EEEEENSH_IJSG_SG_SG_EEES9_SI_JZNS1_25segmented_radix_sort_implINS0_14default_configELb1EPKfPfPKlPlN2at6native12_GLOBAL__N_18offset_tEEE10hipError_tPvRmT1_PNSt15iterator_traitsIS12_E10value_typeET2_T3_PNS13_IS18_E10value_typeET4_jRbjT5_S1E_jjP12ihipStream_tbEUljE_ZNSN_ISO_Lb1ESQ_SR_ST_SU_SY_EESZ_S10_S11_S12_S16_S17_S18_S1B_S1C_jS1D_jS1E_S1E_jjS1G_bEUljE0_EEESZ_S10_S11_S18_S1C_S1E_T6_T7_T9_mT8_S1G_bDpT10_ENKUlT_T0_E_clISt17integral_constantIbLb1EES1U_EEDaS1P_S1Q_EUlS1P_E_NS1_11comp_targetILNS1_3genE3ELNS1_11target_archE908ELNS1_3gpuE7ELNS1_3repE0EEENS1_30default_config_static_selectorELNS0_4arch9wavefront6targetE0EEEvS12_ ; -- Begin function _ZN7rocprim17ROCPRIM_400000_NS6detail17trampoline_kernelINS0_13select_configILj256ELj13ELNS0_17block_load_methodE3ELS4_3ELS4_3ELNS0_20block_scan_algorithmE0ELj4294967295EEENS1_25partition_config_selectorILNS1_17partition_subalgoE4EjNS0_10empty_typeEbEEZZNS1_14partition_implILS8_4ELb0ES6_15HIP_vector_typeIjLj2EENS0_17counting_iteratorIjlEEPS9_SG_NS0_5tupleIJPjSI_NS0_16reverse_iteratorISI_EEEEENSH_IJSG_SG_SG_EEES9_SI_JZNS1_25segmented_radix_sort_implINS0_14default_configELb1EPKfPfPKlPlN2at6native12_GLOBAL__N_18offset_tEEE10hipError_tPvRmT1_PNSt15iterator_traitsIS12_E10value_typeET2_T3_PNS13_IS18_E10value_typeET4_jRbjT5_S1E_jjP12ihipStream_tbEUljE_ZNSN_ISO_Lb1ESQ_SR_ST_SU_SY_EESZ_S10_S11_S12_S16_S17_S18_S1B_S1C_jS1D_jS1E_S1E_jjS1G_bEUljE0_EEESZ_S10_S11_S18_S1C_S1E_T6_T7_T9_mT8_S1G_bDpT10_ENKUlT_T0_E_clISt17integral_constantIbLb1EES1U_EEDaS1P_S1Q_EUlS1P_E_NS1_11comp_targetILNS1_3genE3ELNS1_11target_archE908ELNS1_3gpuE7ELNS1_3repE0EEENS1_30default_config_static_selectorELNS0_4arch9wavefront6targetE0EEEvS12_
	.p2align	8
	.type	_ZN7rocprim17ROCPRIM_400000_NS6detail17trampoline_kernelINS0_13select_configILj256ELj13ELNS0_17block_load_methodE3ELS4_3ELS4_3ELNS0_20block_scan_algorithmE0ELj4294967295EEENS1_25partition_config_selectorILNS1_17partition_subalgoE4EjNS0_10empty_typeEbEEZZNS1_14partition_implILS8_4ELb0ES6_15HIP_vector_typeIjLj2EENS0_17counting_iteratorIjlEEPS9_SG_NS0_5tupleIJPjSI_NS0_16reverse_iteratorISI_EEEEENSH_IJSG_SG_SG_EEES9_SI_JZNS1_25segmented_radix_sort_implINS0_14default_configELb1EPKfPfPKlPlN2at6native12_GLOBAL__N_18offset_tEEE10hipError_tPvRmT1_PNSt15iterator_traitsIS12_E10value_typeET2_T3_PNS13_IS18_E10value_typeET4_jRbjT5_S1E_jjP12ihipStream_tbEUljE_ZNSN_ISO_Lb1ESQ_SR_ST_SU_SY_EESZ_S10_S11_S12_S16_S17_S18_S1B_S1C_jS1D_jS1E_S1E_jjS1G_bEUljE0_EEESZ_S10_S11_S18_S1C_S1E_T6_T7_T9_mT8_S1G_bDpT10_ENKUlT_T0_E_clISt17integral_constantIbLb1EES1U_EEDaS1P_S1Q_EUlS1P_E_NS1_11comp_targetILNS1_3genE3ELNS1_11target_archE908ELNS1_3gpuE7ELNS1_3repE0EEENS1_30default_config_static_selectorELNS0_4arch9wavefront6targetE0EEEvS12_,@function
_ZN7rocprim17ROCPRIM_400000_NS6detail17trampoline_kernelINS0_13select_configILj256ELj13ELNS0_17block_load_methodE3ELS4_3ELS4_3ELNS0_20block_scan_algorithmE0ELj4294967295EEENS1_25partition_config_selectorILNS1_17partition_subalgoE4EjNS0_10empty_typeEbEEZZNS1_14partition_implILS8_4ELb0ES6_15HIP_vector_typeIjLj2EENS0_17counting_iteratorIjlEEPS9_SG_NS0_5tupleIJPjSI_NS0_16reverse_iteratorISI_EEEEENSH_IJSG_SG_SG_EEES9_SI_JZNS1_25segmented_radix_sort_implINS0_14default_configELb1EPKfPfPKlPlN2at6native12_GLOBAL__N_18offset_tEEE10hipError_tPvRmT1_PNSt15iterator_traitsIS12_E10value_typeET2_T3_PNS13_IS18_E10value_typeET4_jRbjT5_S1E_jjP12ihipStream_tbEUljE_ZNSN_ISO_Lb1ESQ_SR_ST_SU_SY_EESZ_S10_S11_S12_S16_S17_S18_S1B_S1C_jS1D_jS1E_S1E_jjS1G_bEUljE0_EEESZ_S10_S11_S18_S1C_S1E_T6_T7_T9_mT8_S1G_bDpT10_ENKUlT_T0_E_clISt17integral_constantIbLb1EES1U_EEDaS1P_S1Q_EUlS1P_E_NS1_11comp_targetILNS1_3genE3ELNS1_11target_archE908ELNS1_3gpuE7ELNS1_3repE0EEENS1_30default_config_static_selectorELNS0_4arch9wavefront6targetE0EEEvS12_: ; @_ZN7rocprim17ROCPRIM_400000_NS6detail17trampoline_kernelINS0_13select_configILj256ELj13ELNS0_17block_load_methodE3ELS4_3ELS4_3ELNS0_20block_scan_algorithmE0ELj4294967295EEENS1_25partition_config_selectorILNS1_17partition_subalgoE4EjNS0_10empty_typeEbEEZZNS1_14partition_implILS8_4ELb0ES6_15HIP_vector_typeIjLj2EENS0_17counting_iteratorIjlEEPS9_SG_NS0_5tupleIJPjSI_NS0_16reverse_iteratorISI_EEEEENSH_IJSG_SG_SG_EEES9_SI_JZNS1_25segmented_radix_sort_implINS0_14default_configELb1EPKfPfPKlPlN2at6native12_GLOBAL__N_18offset_tEEE10hipError_tPvRmT1_PNSt15iterator_traitsIS12_E10value_typeET2_T3_PNS13_IS18_E10value_typeET4_jRbjT5_S1E_jjP12ihipStream_tbEUljE_ZNSN_ISO_Lb1ESQ_SR_ST_SU_SY_EESZ_S10_S11_S12_S16_S17_S18_S1B_S1C_jS1D_jS1E_S1E_jjS1G_bEUljE0_EEESZ_S10_S11_S18_S1C_S1E_T6_T7_T9_mT8_S1G_bDpT10_ENKUlT_T0_E_clISt17integral_constantIbLb1EES1U_EEDaS1P_S1Q_EUlS1P_E_NS1_11comp_targetILNS1_3genE3ELNS1_11target_archE908ELNS1_3gpuE7ELNS1_3repE0EEENS1_30default_config_static_selectorELNS0_4arch9wavefront6targetE0EEEvS12_
; %bb.0:
	.section	.rodata,"a",@progbits
	.p2align	6, 0x0
	.amdhsa_kernel _ZN7rocprim17ROCPRIM_400000_NS6detail17trampoline_kernelINS0_13select_configILj256ELj13ELNS0_17block_load_methodE3ELS4_3ELS4_3ELNS0_20block_scan_algorithmE0ELj4294967295EEENS1_25partition_config_selectorILNS1_17partition_subalgoE4EjNS0_10empty_typeEbEEZZNS1_14partition_implILS8_4ELb0ES6_15HIP_vector_typeIjLj2EENS0_17counting_iteratorIjlEEPS9_SG_NS0_5tupleIJPjSI_NS0_16reverse_iteratorISI_EEEEENSH_IJSG_SG_SG_EEES9_SI_JZNS1_25segmented_radix_sort_implINS0_14default_configELb1EPKfPfPKlPlN2at6native12_GLOBAL__N_18offset_tEEE10hipError_tPvRmT1_PNSt15iterator_traitsIS12_E10value_typeET2_T3_PNS13_IS18_E10value_typeET4_jRbjT5_S1E_jjP12ihipStream_tbEUljE_ZNSN_ISO_Lb1ESQ_SR_ST_SU_SY_EESZ_S10_S11_S12_S16_S17_S18_S1B_S1C_jS1D_jS1E_S1E_jjS1G_bEUljE0_EEESZ_S10_S11_S18_S1C_S1E_T6_T7_T9_mT8_S1G_bDpT10_ENKUlT_T0_E_clISt17integral_constantIbLb1EES1U_EEDaS1P_S1Q_EUlS1P_E_NS1_11comp_targetILNS1_3genE3ELNS1_11target_archE908ELNS1_3gpuE7ELNS1_3repE0EEENS1_30default_config_static_selectorELNS0_4arch9wavefront6targetE0EEEvS12_
		.amdhsa_group_segment_fixed_size 0
		.amdhsa_private_segment_fixed_size 0
		.amdhsa_kernarg_size 184
		.amdhsa_user_sgpr_count 2
		.amdhsa_user_sgpr_dispatch_ptr 0
		.amdhsa_user_sgpr_queue_ptr 0
		.amdhsa_user_sgpr_kernarg_segment_ptr 1
		.amdhsa_user_sgpr_dispatch_id 0
		.amdhsa_user_sgpr_kernarg_preload_length 0
		.amdhsa_user_sgpr_kernarg_preload_offset 0
		.amdhsa_user_sgpr_private_segment_size 0
		.amdhsa_wavefront_size32 1
		.amdhsa_uses_dynamic_stack 0
		.amdhsa_enable_private_segment 0
		.amdhsa_system_sgpr_workgroup_id_x 1
		.amdhsa_system_sgpr_workgroup_id_y 0
		.amdhsa_system_sgpr_workgroup_id_z 0
		.amdhsa_system_sgpr_workgroup_info 0
		.amdhsa_system_vgpr_workitem_id 0
		.amdhsa_next_free_vgpr 1
		.amdhsa_next_free_sgpr 1
		.amdhsa_named_barrier_count 0
		.amdhsa_reserve_vcc 0
		.amdhsa_float_round_mode_32 0
		.amdhsa_float_round_mode_16_64 0
		.amdhsa_float_denorm_mode_32 3
		.amdhsa_float_denorm_mode_16_64 3
		.amdhsa_fp16_overflow 0
		.amdhsa_memory_ordered 1
		.amdhsa_forward_progress 1
		.amdhsa_inst_pref_size 0
		.amdhsa_round_robin_scheduling 0
		.amdhsa_exception_fp_ieee_invalid_op 0
		.amdhsa_exception_fp_denorm_src 0
		.amdhsa_exception_fp_ieee_div_zero 0
		.amdhsa_exception_fp_ieee_overflow 0
		.amdhsa_exception_fp_ieee_underflow 0
		.amdhsa_exception_fp_ieee_inexact 0
		.amdhsa_exception_int_div_zero 0
	.end_amdhsa_kernel
	.section	.text._ZN7rocprim17ROCPRIM_400000_NS6detail17trampoline_kernelINS0_13select_configILj256ELj13ELNS0_17block_load_methodE3ELS4_3ELS4_3ELNS0_20block_scan_algorithmE0ELj4294967295EEENS1_25partition_config_selectorILNS1_17partition_subalgoE4EjNS0_10empty_typeEbEEZZNS1_14partition_implILS8_4ELb0ES6_15HIP_vector_typeIjLj2EENS0_17counting_iteratorIjlEEPS9_SG_NS0_5tupleIJPjSI_NS0_16reverse_iteratorISI_EEEEENSH_IJSG_SG_SG_EEES9_SI_JZNS1_25segmented_radix_sort_implINS0_14default_configELb1EPKfPfPKlPlN2at6native12_GLOBAL__N_18offset_tEEE10hipError_tPvRmT1_PNSt15iterator_traitsIS12_E10value_typeET2_T3_PNS13_IS18_E10value_typeET4_jRbjT5_S1E_jjP12ihipStream_tbEUljE_ZNSN_ISO_Lb1ESQ_SR_ST_SU_SY_EESZ_S10_S11_S12_S16_S17_S18_S1B_S1C_jS1D_jS1E_S1E_jjS1G_bEUljE0_EEESZ_S10_S11_S18_S1C_S1E_T6_T7_T9_mT8_S1G_bDpT10_ENKUlT_T0_E_clISt17integral_constantIbLb1EES1U_EEDaS1P_S1Q_EUlS1P_E_NS1_11comp_targetILNS1_3genE3ELNS1_11target_archE908ELNS1_3gpuE7ELNS1_3repE0EEENS1_30default_config_static_selectorELNS0_4arch9wavefront6targetE0EEEvS12_,"axG",@progbits,_ZN7rocprim17ROCPRIM_400000_NS6detail17trampoline_kernelINS0_13select_configILj256ELj13ELNS0_17block_load_methodE3ELS4_3ELS4_3ELNS0_20block_scan_algorithmE0ELj4294967295EEENS1_25partition_config_selectorILNS1_17partition_subalgoE4EjNS0_10empty_typeEbEEZZNS1_14partition_implILS8_4ELb0ES6_15HIP_vector_typeIjLj2EENS0_17counting_iteratorIjlEEPS9_SG_NS0_5tupleIJPjSI_NS0_16reverse_iteratorISI_EEEEENSH_IJSG_SG_SG_EEES9_SI_JZNS1_25segmented_radix_sort_implINS0_14default_configELb1EPKfPfPKlPlN2at6native12_GLOBAL__N_18offset_tEEE10hipError_tPvRmT1_PNSt15iterator_traitsIS12_E10value_typeET2_T3_PNS13_IS18_E10value_typeET4_jRbjT5_S1E_jjP12ihipStream_tbEUljE_ZNSN_ISO_Lb1ESQ_SR_ST_SU_SY_EESZ_S10_S11_S12_S16_S17_S18_S1B_S1C_jS1D_jS1E_S1E_jjS1G_bEUljE0_EEESZ_S10_S11_S18_S1C_S1E_T6_T7_T9_mT8_S1G_bDpT10_ENKUlT_T0_E_clISt17integral_constantIbLb1EES1U_EEDaS1P_S1Q_EUlS1P_E_NS1_11comp_targetILNS1_3genE3ELNS1_11target_archE908ELNS1_3gpuE7ELNS1_3repE0EEENS1_30default_config_static_selectorELNS0_4arch9wavefront6targetE0EEEvS12_,comdat
.Lfunc_end1266:
	.size	_ZN7rocprim17ROCPRIM_400000_NS6detail17trampoline_kernelINS0_13select_configILj256ELj13ELNS0_17block_load_methodE3ELS4_3ELS4_3ELNS0_20block_scan_algorithmE0ELj4294967295EEENS1_25partition_config_selectorILNS1_17partition_subalgoE4EjNS0_10empty_typeEbEEZZNS1_14partition_implILS8_4ELb0ES6_15HIP_vector_typeIjLj2EENS0_17counting_iteratorIjlEEPS9_SG_NS0_5tupleIJPjSI_NS0_16reverse_iteratorISI_EEEEENSH_IJSG_SG_SG_EEES9_SI_JZNS1_25segmented_radix_sort_implINS0_14default_configELb1EPKfPfPKlPlN2at6native12_GLOBAL__N_18offset_tEEE10hipError_tPvRmT1_PNSt15iterator_traitsIS12_E10value_typeET2_T3_PNS13_IS18_E10value_typeET4_jRbjT5_S1E_jjP12ihipStream_tbEUljE_ZNSN_ISO_Lb1ESQ_SR_ST_SU_SY_EESZ_S10_S11_S12_S16_S17_S18_S1B_S1C_jS1D_jS1E_S1E_jjS1G_bEUljE0_EEESZ_S10_S11_S18_S1C_S1E_T6_T7_T9_mT8_S1G_bDpT10_ENKUlT_T0_E_clISt17integral_constantIbLb1EES1U_EEDaS1P_S1Q_EUlS1P_E_NS1_11comp_targetILNS1_3genE3ELNS1_11target_archE908ELNS1_3gpuE7ELNS1_3repE0EEENS1_30default_config_static_selectorELNS0_4arch9wavefront6targetE0EEEvS12_, .Lfunc_end1266-_ZN7rocprim17ROCPRIM_400000_NS6detail17trampoline_kernelINS0_13select_configILj256ELj13ELNS0_17block_load_methodE3ELS4_3ELS4_3ELNS0_20block_scan_algorithmE0ELj4294967295EEENS1_25partition_config_selectorILNS1_17partition_subalgoE4EjNS0_10empty_typeEbEEZZNS1_14partition_implILS8_4ELb0ES6_15HIP_vector_typeIjLj2EENS0_17counting_iteratorIjlEEPS9_SG_NS0_5tupleIJPjSI_NS0_16reverse_iteratorISI_EEEEENSH_IJSG_SG_SG_EEES9_SI_JZNS1_25segmented_radix_sort_implINS0_14default_configELb1EPKfPfPKlPlN2at6native12_GLOBAL__N_18offset_tEEE10hipError_tPvRmT1_PNSt15iterator_traitsIS12_E10value_typeET2_T3_PNS13_IS18_E10value_typeET4_jRbjT5_S1E_jjP12ihipStream_tbEUljE_ZNSN_ISO_Lb1ESQ_SR_ST_SU_SY_EESZ_S10_S11_S12_S16_S17_S18_S1B_S1C_jS1D_jS1E_S1E_jjS1G_bEUljE0_EEESZ_S10_S11_S18_S1C_S1E_T6_T7_T9_mT8_S1G_bDpT10_ENKUlT_T0_E_clISt17integral_constantIbLb1EES1U_EEDaS1P_S1Q_EUlS1P_E_NS1_11comp_targetILNS1_3genE3ELNS1_11target_archE908ELNS1_3gpuE7ELNS1_3repE0EEENS1_30default_config_static_selectorELNS0_4arch9wavefront6targetE0EEEvS12_
                                        ; -- End function
	.set _ZN7rocprim17ROCPRIM_400000_NS6detail17trampoline_kernelINS0_13select_configILj256ELj13ELNS0_17block_load_methodE3ELS4_3ELS4_3ELNS0_20block_scan_algorithmE0ELj4294967295EEENS1_25partition_config_selectorILNS1_17partition_subalgoE4EjNS0_10empty_typeEbEEZZNS1_14partition_implILS8_4ELb0ES6_15HIP_vector_typeIjLj2EENS0_17counting_iteratorIjlEEPS9_SG_NS0_5tupleIJPjSI_NS0_16reverse_iteratorISI_EEEEENSH_IJSG_SG_SG_EEES9_SI_JZNS1_25segmented_radix_sort_implINS0_14default_configELb1EPKfPfPKlPlN2at6native12_GLOBAL__N_18offset_tEEE10hipError_tPvRmT1_PNSt15iterator_traitsIS12_E10value_typeET2_T3_PNS13_IS18_E10value_typeET4_jRbjT5_S1E_jjP12ihipStream_tbEUljE_ZNSN_ISO_Lb1ESQ_SR_ST_SU_SY_EESZ_S10_S11_S12_S16_S17_S18_S1B_S1C_jS1D_jS1E_S1E_jjS1G_bEUljE0_EEESZ_S10_S11_S18_S1C_S1E_T6_T7_T9_mT8_S1G_bDpT10_ENKUlT_T0_E_clISt17integral_constantIbLb1EES1U_EEDaS1P_S1Q_EUlS1P_E_NS1_11comp_targetILNS1_3genE3ELNS1_11target_archE908ELNS1_3gpuE7ELNS1_3repE0EEENS1_30default_config_static_selectorELNS0_4arch9wavefront6targetE0EEEvS12_.num_vgpr, 0
	.set _ZN7rocprim17ROCPRIM_400000_NS6detail17trampoline_kernelINS0_13select_configILj256ELj13ELNS0_17block_load_methodE3ELS4_3ELS4_3ELNS0_20block_scan_algorithmE0ELj4294967295EEENS1_25partition_config_selectorILNS1_17partition_subalgoE4EjNS0_10empty_typeEbEEZZNS1_14partition_implILS8_4ELb0ES6_15HIP_vector_typeIjLj2EENS0_17counting_iteratorIjlEEPS9_SG_NS0_5tupleIJPjSI_NS0_16reverse_iteratorISI_EEEEENSH_IJSG_SG_SG_EEES9_SI_JZNS1_25segmented_radix_sort_implINS0_14default_configELb1EPKfPfPKlPlN2at6native12_GLOBAL__N_18offset_tEEE10hipError_tPvRmT1_PNSt15iterator_traitsIS12_E10value_typeET2_T3_PNS13_IS18_E10value_typeET4_jRbjT5_S1E_jjP12ihipStream_tbEUljE_ZNSN_ISO_Lb1ESQ_SR_ST_SU_SY_EESZ_S10_S11_S12_S16_S17_S18_S1B_S1C_jS1D_jS1E_S1E_jjS1G_bEUljE0_EEESZ_S10_S11_S18_S1C_S1E_T6_T7_T9_mT8_S1G_bDpT10_ENKUlT_T0_E_clISt17integral_constantIbLb1EES1U_EEDaS1P_S1Q_EUlS1P_E_NS1_11comp_targetILNS1_3genE3ELNS1_11target_archE908ELNS1_3gpuE7ELNS1_3repE0EEENS1_30default_config_static_selectorELNS0_4arch9wavefront6targetE0EEEvS12_.num_agpr, 0
	.set _ZN7rocprim17ROCPRIM_400000_NS6detail17trampoline_kernelINS0_13select_configILj256ELj13ELNS0_17block_load_methodE3ELS4_3ELS4_3ELNS0_20block_scan_algorithmE0ELj4294967295EEENS1_25partition_config_selectorILNS1_17partition_subalgoE4EjNS0_10empty_typeEbEEZZNS1_14partition_implILS8_4ELb0ES6_15HIP_vector_typeIjLj2EENS0_17counting_iteratorIjlEEPS9_SG_NS0_5tupleIJPjSI_NS0_16reverse_iteratorISI_EEEEENSH_IJSG_SG_SG_EEES9_SI_JZNS1_25segmented_radix_sort_implINS0_14default_configELb1EPKfPfPKlPlN2at6native12_GLOBAL__N_18offset_tEEE10hipError_tPvRmT1_PNSt15iterator_traitsIS12_E10value_typeET2_T3_PNS13_IS18_E10value_typeET4_jRbjT5_S1E_jjP12ihipStream_tbEUljE_ZNSN_ISO_Lb1ESQ_SR_ST_SU_SY_EESZ_S10_S11_S12_S16_S17_S18_S1B_S1C_jS1D_jS1E_S1E_jjS1G_bEUljE0_EEESZ_S10_S11_S18_S1C_S1E_T6_T7_T9_mT8_S1G_bDpT10_ENKUlT_T0_E_clISt17integral_constantIbLb1EES1U_EEDaS1P_S1Q_EUlS1P_E_NS1_11comp_targetILNS1_3genE3ELNS1_11target_archE908ELNS1_3gpuE7ELNS1_3repE0EEENS1_30default_config_static_selectorELNS0_4arch9wavefront6targetE0EEEvS12_.numbered_sgpr, 0
	.set _ZN7rocprim17ROCPRIM_400000_NS6detail17trampoline_kernelINS0_13select_configILj256ELj13ELNS0_17block_load_methodE3ELS4_3ELS4_3ELNS0_20block_scan_algorithmE0ELj4294967295EEENS1_25partition_config_selectorILNS1_17partition_subalgoE4EjNS0_10empty_typeEbEEZZNS1_14partition_implILS8_4ELb0ES6_15HIP_vector_typeIjLj2EENS0_17counting_iteratorIjlEEPS9_SG_NS0_5tupleIJPjSI_NS0_16reverse_iteratorISI_EEEEENSH_IJSG_SG_SG_EEES9_SI_JZNS1_25segmented_radix_sort_implINS0_14default_configELb1EPKfPfPKlPlN2at6native12_GLOBAL__N_18offset_tEEE10hipError_tPvRmT1_PNSt15iterator_traitsIS12_E10value_typeET2_T3_PNS13_IS18_E10value_typeET4_jRbjT5_S1E_jjP12ihipStream_tbEUljE_ZNSN_ISO_Lb1ESQ_SR_ST_SU_SY_EESZ_S10_S11_S12_S16_S17_S18_S1B_S1C_jS1D_jS1E_S1E_jjS1G_bEUljE0_EEESZ_S10_S11_S18_S1C_S1E_T6_T7_T9_mT8_S1G_bDpT10_ENKUlT_T0_E_clISt17integral_constantIbLb1EES1U_EEDaS1P_S1Q_EUlS1P_E_NS1_11comp_targetILNS1_3genE3ELNS1_11target_archE908ELNS1_3gpuE7ELNS1_3repE0EEENS1_30default_config_static_selectorELNS0_4arch9wavefront6targetE0EEEvS12_.num_named_barrier, 0
	.set _ZN7rocprim17ROCPRIM_400000_NS6detail17trampoline_kernelINS0_13select_configILj256ELj13ELNS0_17block_load_methodE3ELS4_3ELS4_3ELNS0_20block_scan_algorithmE0ELj4294967295EEENS1_25partition_config_selectorILNS1_17partition_subalgoE4EjNS0_10empty_typeEbEEZZNS1_14partition_implILS8_4ELb0ES6_15HIP_vector_typeIjLj2EENS0_17counting_iteratorIjlEEPS9_SG_NS0_5tupleIJPjSI_NS0_16reverse_iteratorISI_EEEEENSH_IJSG_SG_SG_EEES9_SI_JZNS1_25segmented_radix_sort_implINS0_14default_configELb1EPKfPfPKlPlN2at6native12_GLOBAL__N_18offset_tEEE10hipError_tPvRmT1_PNSt15iterator_traitsIS12_E10value_typeET2_T3_PNS13_IS18_E10value_typeET4_jRbjT5_S1E_jjP12ihipStream_tbEUljE_ZNSN_ISO_Lb1ESQ_SR_ST_SU_SY_EESZ_S10_S11_S12_S16_S17_S18_S1B_S1C_jS1D_jS1E_S1E_jjS1G_bEUljE0_EEESZ_S10_S11_S18_S1C_S1E_T6_T7_T9_mT8_S1G_bDpT10_ENKUlT_T0_E_clISt17integral_constantIbLb1EES1U_EEDaS1P_S1Q_EUlS1P_E_NS1_11comp_targetILNS1_3genE3ELNS1_11target_archE908ELNS1_3gpuE7ELNS1_3repE0EEENS1_30default_config_static_selectorELNS0_4arch9wavefront6targetE0EEEvS12_.private_seg_size, 0
	.set _ZN7rocprim17ROCPRIM_400000_NS6detail17trampoline_kernelINS0_13select_configILj256ELj13ELNS0_17block_load_methodE3ELS4_3ELS4_3ELNS0_20block_scan_algorithmE0ELj4294967295EEENS1_25partition_config_selectorILNS1_17partition_subalgoE4EjNS0_10empty_typeEbEEZZNS1_14partition_implILS8_4ELb0ES6_15HIP_vector_typeIjLj2EENS0_17counting_iteratorIjlEEPS9_SG_NS0_5tupleIJPjSI_NS0_16reverse_iteratorISI_EEEEENSH_IJSG_SG_SG_EEES9_SI_JZNS1_25segmented_radix_sort_implINS0_14default_configELb1EPKfPfPKlPlN2at6native12_GLOBAL__N_18offset_tEEE10hipError_tPvRmT1_PNSt15iterator_traitsIS12_E10value_typeET2_T3_PNS13_IS18_E10value_typeET4_jRbjT5_S1E_jjP12ihipStream_tbEUljE_ZNSN_ISO_Lb1ESQ_SR_ST_SU_SY_EESZ_S10_S11_S12_S16_S17_S18_S1B_S1C_jS1D_jS1E_S1E_jjS1G_bEUljE0_EEESZ_S10_S11_S18_S1C_S1E_T6_T7_T9_mT8_S1G_bDpT10_ENKUlT_T0_E_clISt17integral_constantIbLb1EES1U_EEDaS1P_S1Q_EUlS1P_E_NS1_11comp_targetILNS1_3genE3ELNS1_11target_archE908ELNS1_3gpuE7ELNS1_3repE0EEENS1_30default_config_static_selectorELNS0_4arch9wavefront6targetE0EEEvS12_.uses_vcc, 0
	.set _ZN7rocprim17ROCPRIM_400000_NS6detail17trampoline_kernelINS0_13select_configILj256ELj13ELNS0_17block_load_methodE3ELS4_3ELS4_3ELNS0_20block_scan_algorithmE0ELj4294967295EEENS1_25partition_config_selectorILNS1_17partition_subalgoE4EjNS0_10empty_typeEbEEZZNS1_14partition_implILS8_4ELb0ES6_15HIP_vector_typeIjLj2EENS0_17counting_iteratorIjlEEPS9_SG_NS0_5tupleIJPjSI_NS0_16reverse_iteratorISI_EEEEENSH_IJSG_SG_SG_EEES9_SI_JZNS1_25segmented_radix_sort_implINS0_14default_configELb1EPKfPfPKlPlN2at6native12_GLOBAL__N_18offset_tEEE10hipError_tPvRmT1_PNSt15iterator_traitsIS12_E10value_typeET2_T3_PNS13_IS18_E10value_typeET4_jRbjT5_S1E_jjP12ihipStream_tbEUljE_ZNSN_ISO_Lb1ESQ_SR_ST_SU_SY_EESZ_S10_S11_S12_S16_S17_S18_S1B_S1C_jS1D_jS1E_S1E_jjS1G_bEUljE0_EEESZ_S10_S11_S18_S1C_S1E_T6_T7_T9_mT8_S1G_bDpT10_ENKUlT_T0_E_clISt17integral_constantIbLb1EES1U_EEDaS1P_S1Q_EUlS1P_E_NS1_11comp_targetILNS1_3genE3ELNS1_11target_archE908ELNS1_3gpuE7ELNS1_3repE0EEENS1_30default_config_static_selectorELNS0_4arch9wavefront6targetE0EEEvS12_.uses_flat_scratch, 0
	.set _ZN7rocprim17ROCPRIM_400000_NS6detail17trampoline_kernelINS0_13select_configILj256ELj13ELNS0_17block_load_methodE3ELS4_3ELS4_3ELNS0_20block_scan_algorithmE0ELj4294967295EEENS1_25partition_config_selectorILNS1_17partition_subalgoE4EjNS0_10empty_typeEbEEZZNS1_14partition_implILS8_4ELb0ES6_15HIP_vector_typeIjLj2EENS0_17counting_iteratorIjlEEPS9_SG_NS0_5tupleIJPjSI_NS0_16reverse_iteratorISI_EEEEENSH_IJSG_SG_SG_EEES9_SI_JZNS1_25segmented_radix_sort_implINS0_14default_configELb1EPKfPfPKlPlN2at6native12_GLOBAL__N_18offset_tEEE10hipError_tPvRmT1_PNSt15iterator_traitsIS12_E10value_typeET2_T3_PNS13_IS18_E10value_typeET4_jRbjT5_S1E_jjP12ihipStream_tbEUljE_ZNSN_ISO_Lb1ESQ_SR_ST_SU_SY_EESZ_S10_S11_S12_S16_S17_S18_S1B_S1C_jS1D_jS1E_S1E_jjS1G_bEUljE0_EEESZ_S10_S11_S18_S1C_S1E_T6_T7_T9_mT8_S1G_bDpT10_ENKUlT_T0_E_clISt17integral_constantIbLb1EES1U_EEDaS1P_S1Q_EUlS1P_E_NS1_11comp_targetILNS1_3genE3ELNS1_11target_archE908ELNS1_3gpuE7ELNS1_3repE0EEENS1_30default_config_static_selectorELNS0_4arch9wavefront6targetE0EEEvS12_.has_dyn_sized_stack, 0
	.set _ZN7rocprim17ROCPRIM_400000_NS6detail17trampoline_kernelINS0_13select_configILj256ELj13ELNS0_17block_load_methodE3ELS4_3ELS4_3ELNS0_20block_scan_algorithmE0ELj4294967295EEENS1_25partition_config_selectorILNS1_17partition_subalgoE4EjNS0_10empty_typeEbEEZZNS1_14partition_implILS8_4ELb0ES6_15HIP_vector_typeIjLj2EENS0_17counting_iteratorIjlEEPS9_SG_NS0_5tupleIJPjSI_NS0_16reverse_iteratorISI_EEEEENSH_IJSG_SG_SG_EEES9_SI_JZNS1_25segmented_radix_sort_implINS0_14default_configELb1EPKfPfPKlPlN2at6native12_GLOBAL__N_18offset_tEEE10hipError_tPvRmT1_PNSt15iterator_traitsIS12_E10value_typeET2_T3_PNS13_IS18_E10value_typeET4_jRbjT5_S1E_jjP12ihipStream_tbEUljE_ZNSN_ISO_Lb1ESQ_SR_ST_SU_SY_EESZ_S10_S11_S12_S16_S17_S18_S1B_S1C_jS1D_jS1E_S1E_jjS1G_bEUljE0_EEESZ_S10_S11_S18_S1C_S1E_T6_T7_T9_mT8_S1G_bDpT10_ENKUlT_T0_E_clISt17integral_constantIbLb1EES1U_EEDaS1P_S1Q_EUlS1P_E_NS1_11comp_targetILNS1_3genE3ELNS1_11target_archE908ELNS1_3gpuE7ELNS1_3repE0EEENS1_30default_config_static_selectorELNS0_4arch9wavefront6targetE0EEEvS12_.has_recursion, 0
	.set _ZN7rocprim17ROCPRIM_400000_NS6detail17trampoline_kernelINS0_13select_configILj256ELj13ELNS0_17block_load_methodE3ELS4_3ELS4_3ELNS0_20block_scan_algorithmE0ELj4294967295EEENS1_25partition_config_selectorILNS1_17partition_subalgoE4EjNS0_10empty_typeEbEEZZNS1_14partition_implILS8_4ELb0ES6_15HIP_vector_typeIjLj2EENS0_17counting_iteratorIjlEEPS9_SG_NS0_5tupleIJPjSI_NS0_16reverse_iteratorISI_EEEEENSH_IJSG_SG_SG_EEES9_SI_JZNS1_25segmented_radix_sort_implINS0_14default_configELb1EPKfPfPKlPlN2at6native12_GLOBAL__N_18offset_tEEE10hipError_tPvRmT1_PNSt15iterator_traitsIS12_E10value_typeET2_T3_PNS13_IS18_E10value_typeET4_jRbjT5_S1E_jjP12ihipStream_tbEUljE_ZNSN_ISO_Lb1ESQ_SR_ST_SU_SY_EESZ_S10_S11_S12_S16_S17_S18_S1B_S1C_jS1D_jS1E_S1E_jjS1G_bEUljE0_EEESZ_S10_S11_S18_S1C_S1E_T6_T7_T9_mT8_S1G_bDpT10_ENKUlT_T0_E_clISt17integral_constantIbLb1EES1U_EEDaS1P_S1Q_EUlS1P_E_NS1_11comp_targetILNS1_3genE3ELNS1_11target_archE908ELNS1_3gpuE7ELNS1_3repE0EEENS1_30default_config_static_selectorELNS0_4arch9wavefront6targetE0EEEvS12_.has_indirect_call, 0
	.section	.AMDGPU.csdata,"",@progbits
; Kernel info:
; codeLenInByte = 0
; TotalNumSgprs: 0
; NumVgprs: 0
; ScratchSize: 0
; MemoryBound: 0
; FloatMode: 240
; IeeeMode: 1
; LDSByteSize: 0 bytes/workgroup (compile time only)
; SGPRBlocks: 0
; VGPRBlocks: 0
; NumSGPRsForWavesPerEU: 1
; NumVGPRsForWavesPerEU: 1
; NamedBarCnt: 0
; Occupancy: 16
; WaveLimiterHint : 0
; COMPUTE_PGM_RSRC2:SCRATCH_EN: 0
; COMPUTE_PGM_RSRC2:USER_SGPR: 2
; COMPUTE_PGM_RSRC2:TRAP_HANDLER: 0
; COMPUTE_PGM_RSRC2:TGID_X_EN: 1
; COMPUTE_PGM_RSRC2:TGID_Y_EN: 0
; COMPUTE_PGM_RSRC2:TGID_Z_EN: 0
; COMPUTE_PGM_RSRC2:TIDIG_COMP_CNT: 0
	.section	.text._ZN7rocprim17ROCPRIM_400000_NS6detail17trampoline_kernelINS0_13select_configILj256ELj13ELNS0_17block_load_methodE3ELS4_3ELS4_3ELNS0_20block_scan_algorithmE0ELj4294967295EEENS1_25partition_config_selectorILNS1_17partition_subalgoE4EjNS0_10empty_typeEbEEZZNS1_14partition_implILS8_4ELb0ES6_15HIP_vector_typeIjLj2EENS0_17counting_iteratorIjlEEPS9_SG_NS0_5tupleIJPjSI_NS0_16reverse_iteratorISI_EEEEENSH_IJSG_SG_SG_EEES9_SI_JZNS1_25segmented_radix_sort_implINS0_14default_configELb1EPKfPfPKlPlN2at6native12_GLOBAL__N_18offset_tEEE10hipError_tPvRmT1_PNSt15iterator_traitsIS12_E10value_typeET2_T3_PNS13_IS18_E10value_typeET4_jRbjT5_S1E_jjP12ihipStream_tbEUljE_ZNSN_ISO_Lb1ESQ_SR_ST_SU_SY_EESZ_S10_S11_S12_S16_S17_S18_S1B_S1C_jS1D_jS1E_S1E_jjS1G_bEUljE0_EEESZ_S10_S11_S18_S1C_S1E_T6_T7_T9_mT8_S1G_bDpT10_ENKUlT_T0_E_clISt17integral_constantIbLb1EES1U_EEDaS1P_S1Q_EUlS1P_E_NS1_11comp_targetILNS1_3genE2ELNS1_11target_archE906ELNS1_3gpuE6ELNS1_3repE0EEENS1_30default_config_static_selectorELNS0_4arch9wavefront6targetE0EEEvS12_,"axG",@progbits,_ZN7rocprim17ROCPRIM_400000_NS6detail17trampoline_kernelINS0_13select_configILj256ELj13ELNS0_17block_load_methodE3ELS4_3ELS4_3ELNS0_20block_scan_algorithmE0ELj4294967295EEENS1_25partition_config_selectorILNS1_17partition_subalgoE4EjNS0_10empty_typeEbEEZZNS1_14partition_implILS8_4ELb0ES6_15HIP_vector_typeIjLj2EENS0_17counting_iteratorIjlEEPS9_SG_NS0_5tupleIJPjSI_NS0_16reverse_iteratorISI_EEEEENSH_IJSG_SG_SG_EEES9_SI_JZNS1_25segmented_radix_sort_implINS0_14default_configELb1EPKfPfPKlPlN2at6native12_GLOBAL__N_18offset_tEEE10hipError_tPvRmT1_PNSt15iterator_traitsIS12_E10value_typeET2_T3_PNS13_IS18_E10value_typeET4_jRbjT5_S1E_jjP12ihipStream_tbEUljE_ZNSN_ISO_Lb1ESQ_SR_ST_SU_SY_EESZ_S10_S11_S12_S16_S17_S18_S1B_S1C_jS1D_jS1E_S1E_jjS1G_bEUljE0_EEESZ_S10_S11_S18_S1C_S1E_T6_T7_T9_mT8_S1G_bDpT10_ENKUlT_T0_E_clISt17integral_constantIbLb1EES1U_EEDaS1P_S1Q_EUlS1P_E_NS1_11comp_targetILNS1_3genE2ELNS1_11target_archE906ELNS1_3gpuE6ELNS1_3repE0EEENS1_30default_config_static_selectorELNS0_4arch9wavefront6targetE0EEEvS12_,comdat
	.globl	_ZN7rocprim17ROCPRIM_400000_NS6detail17trampoline_kernelINS0_13select_configILj256ELj13ELNS0_17block_load_methodE3ELS4_3ELS4_3ELNS0_20block_scan_algorithmE0ELj4294967295EEENS1_25partition_config_selectorILNS1_17partition_subalgoE4EjNS0_10empty_typeEbEEZZNS1_14partition_implILS8_4ELb0ES6_15HIP_vector_typeIjLj2EENS0_17counting_iteratorIjlEEPS9_SG_NS0_5tupleIJPjSI_NS0_16reverse_iteratorISI_EEEEENSH_IJSG_SG_SG_EEES9_SI_JZNS1_25segmented_radix_sort_implINS0_14default_configELb1EPKfPfPKlPlN2at6native12_GLOBAL__N_18offset_tEEE10hipError_tPvRmT1_PNSt15iterator_traitsIS12_E10value_typeET2_T3_PNS13_IS18_E10value_typeET4_jRbjT5_S1E_jjP12ihipStream_tbEUljE_ZNSN_ISO_Lb1ESQ_SR_ST_SU_SY_EESZ_S10_S11_S12_S16_S17_S18_S1B_S1C_jS1D_jS1E_S1E_jjS1G_bEUljE0_EEESZ_S10_S11_S18_S1C_S1E_T6_T7_T9_mT8_S1G_bDpT10_ENKUlT_T0_E_clISt17integral_constantIbLb1EES1U_EEDaS1P_S1Q_EUlS1P_E_NS1_11comp_targetILNS1_3genE2ELNS1_11target_archE906ELNS1_3gpuE6ELNS1_3repE0EEENS1_30default_config_static_selectorELNS0_4arch9wavefront6targetE0EEEvS12_ ; -- Begin function _ZN7rocprim17ROCPRIM_400000_NS6detail17trampoline_kernelINS0_13select_configILj256ELj13ELNS0_17block_load_methodE3ELS4_3ELS4_3ELNS0_20block_scan_algorithmE0ELj4294967295EEENS1_25partition_config_selectorILNS1_17partition_subalgoE4EjNS0_10empty_typeEbEEZZNS1_14partition_implILS8_4ELb0ES6_15HIP_vector_typeIjLj2EENS0_17counting_iteratorIjlEEPS9_SG_NS0_5tupleIJPjSI_NS0_16reverse_iteratorISI_EEEEENSH_IJSG_SG_SG_EEES9_SI_JZNS1_25segmented_radix_sort_implINS0_14default_configELb1EPKfPfPKlPlN2at6native12_GLOBAL__N_18offset_tEEE10hipError_tPvRmT1_PNSt15iterator_traitsIS12_E10value_typeET2_T3_PNS13_IS18_E10value_typeET4_jRbjT5_S1E_jjP12ihipStream_tbEUljE_ZNSN_ISO_Lb1ESQ_SR_ST_SU_SY_EESZ_S10_S11_S12_S16_S17_S18_S1B_S1C_jS1D_jS1E_S1E_jjS1G_bEUljE0_EEESZ_S10_S11_S18_S1C_S1E_T6_T7_T9_mT8_S1G_bDpT10_ENKUlT_T0_E_clISt17integral_constantIbLb1EES1U_EEDaS1P_S1Q_EUlS1P_E_NS1_11comp_targetILNS1_3genE2ELNS1_11target_archE906ELNS1_3gpuE6ELNS1_3repE0EEENS1_30default_config_static_selectorELNS0_4arch9wavefront6targetE0EEEvS12_
	.p2align	8
	.type	_ZN7rocprim17ROCPRIM_400000_NS6detail17trampoline_kernelINS0_13select_configILj256ELj13ELNS0_17block_load_methodE3ELS4_3ELS4_3ELNS0_20block_scan_algorithmE0ELj4294967295EEENS1_25partition_config_selectorILNS1_17partition_subalgoE4EjNS0_10empty_typeEbEEZZNS1_14partition_implILS8_4ELb0ES6_15HIP_vector_typeIjLj2EENS0_17counting_iteratorIjlEEPS9_SG_NS0_5tupleIJPjSI_NS0_16reverse_iteratorISI_EEEEENSH_IJSG_SG_SG_EEES9_SI_JZNS1_25segmented_radix_sort_implINS0_14default_configELb1EPKfPfPKlPlN2at6native12_GLOBAL__N_18offset_tEEE10hipError_tPvRmT1_PNSt15iterator_traitsIS12_E10value_typeET2_T3_PNS13_IS18_E10value_typeET4_jRbjT5_S1E_jjP12ihipStream_tbEUljE_ZNSN_ISO_Lb1ESQ_SR_ST_SU_SY_EESZ_S10_S11_S12_S16_S17_S18_S1B_S1C_jS1D_jS1E_S1E_jjS1G_bEUljE0_EEESZ_S10_S11_S18_S1C_S1E_T6_T7_T9_mT8_S1G_bDpT10_ENKUlT_T0_E_clISt17integral_constantIbLb1EES1U_EEDaS1P_S1Q_EUlS1P_E_NS1_11comp_targetILNS1_3genE2ELNS1_11target_archE906ELNS1_3gpuE6ELNS1_3repE0EEENS1_30default_config_static_selectorELNS0_4arch9wavefront6targetE0EEEvS12_,@function
_ZN7rocprim17ROCPRIM_400000_NS6detail17trampoline_kernelINS0_13select_configILj256ELj13ELNS0_17block_load_methodE3ELS4_3ELS4_3ELNS0_20block_scan_algorithmE0ELj4294967295EEENS1_25partition_config_selectorILNS1_17partition_subalgoE4EjNS0_10empty_typeEbEEZZNS1_14partition_implILS8_4ELb0ES6_15HIP_vector_typeIjLj2EENS0_17counting_iteratorIjlEEPS9_SG_NS0_5tupleIJPjSI_NS0_16reverse_iteratorISI_EEEEENSH_IJSG_SG_SG_EEES9_SI_JZNS1_25segmented_radix_sort_implINS0_14default_configELb1EPKfPfPKlPlN2at6native12_GLOBAL__N_18offset_tEEE10hipError_tPvRmT1_PNSt15iterator_traitsIS12_E10value_typeET2_T3_PNS13_IS18_E10value_typeET4_jRbjT5_S1E_jjP12ihipStream_tbEUljE_ZNSN_ISO_Lb1ESQ_SR_ST_SU_SY_EESZ_S10_S11_S12_S16_S17_S18_S1B_S1C_jS1D_jS1E_S1E_jjS1G_bEUljE0_EEESZ_S10_S11_S18_S1C_S1E_T6_T7_T9_mT8_S1G_bDpT10_ENKUlT_T0_E_clISt17integral_constantIbLb1EES1U_EEDaS1P_S1Q_EUlS1P_E_NS1_11comp_targetILNS1_3genE2ELNS1_11target_archE906ELNS1_3gpuE6ELNS1_3repE0EEENS1_30default_config_static_selectorELNS0_4arch9wavefront6targetE0EEEvS12_: ; @_ZN7rocprim17ROCPRIM_400000_NS6detail17trampoline_kernelINS0_13select_configILj256ELj13ELNS0_17block_load_methodE3ELS4_3ELS4_3ELNS0_20block_scan_algorithmE0ELj4294967295EEENS1_25partition_config_selectorILNS1_17partition_subalgoE4EjNS0_10empty_typeEbEEZZNS1_14partition_implILS8_4ELb0ES6_15HIP_vector_typeIjLj2EENS0_17counting_iteratorIjlEEPS9_SG_NS0_5tupleIJPjSI_NS0_16reverse_iteratorISI_EEEEENSH_IJSG_SG_SG_EEES9_SI_JZNS1_25segmented_radix_sort_implINS0_14default_configELb1EPKfPfPKlPlN2at6native12_GLOBAL__N_18offset_tEEE10hipError_tPvRmT1_PNSt15iterator_traitsIS12_E10value_typeET2_T3_PNS13_IS18_E10value_typeET4_jRbjT5_S1E_jjP12ihipStream_tbEUljE_ZNSN_ISO_Lb1ESQ_SR_ST_SU_SY_EESZ_S10_S11_S12_S16_S17_S18_S1B_S1C_jS1D_jS1E_S1E_jjS1G_bEUljE0_EEESZ_S10_S11_S18_S1C_S1E_T6_T7_T9_mT8_S1G_bDpT10_ENKUlT_T0_E_clISt17integral_constantIbLb1EES1U_EEDaS1P_S1Q_EUlS1P_E_NS1_11comp_targetILNS1_3genE2ELNS1_11target_archE906ELNS1_3gpuE6ELNS1_3repE0EEENS1_30default_config_static_selectorELNS0_4arch9wavefront6targetE0EEEvS12_
; %bb.0:
	.section	.rodata,"a",@progbits
	.p2align	6, 0x0
	.amdhsa_kernel _ZN7rocprim17ROCPRIM_400000_NS6detail17trampoline_kernelINS0_13select_configILj256ELj13ELNS0_17block_load_methodE3ELS4_3ELS4_3ELNS0_20block_scan_algorithmE0ELj4294967295EEENS1_25partition_config_selectorILNS1_17partition_subalgoE4EjNS0_10empty_typeEbEEZZNS1_14partition_implILS8_4ELb0ES6_15HIP_vector_typeIjLj2EENS0_17counting_iteratorIjlEEPS9_SG_NS0_5tupleIJPjSI_NS0_16reverse_iteratorISI_EEEEENSH_IJSG_SG_SG_EEES9_SI_JZNS1_25segmented_radix_sort_implINS0_14default_configELb1EPKfPfPKlPlN2at6native12_GLOBAL__N_18offset_tEEE10hipError_tPvRmT1_PNSt15iterator_traitsIS12_E10value_typeET2_T3_PNS13_IS18_E10value_typeET4_jRbjT5_S1E_jjP12ihipStream_tbEUljE_ZNSN_ISO_Lb1ESQ_SR_ST_SU_SY_EESZ_S10_S11_S12_S16_S17_S18_S1B_S1C_jS1D_jS1E_S1E_jjS1G_bEUljE0_EEESZ_S10_S11_S18_S1C_S1E_T6_T7_T9_mT8_S1G_bDpT10_ENKUlT_T0_E_clISt17integral_constantIbLb1EES1U_EEDaS1P_S1Q_EUlS1P_E_NS1_11comp_targetILNS1_3genE2ELNS1_11target_archE906ELNS1_3gpuE6ELNS1_3repE0EEENS1_30default_config_static_selectorELNS0_4arch9wavefront6targetE0EEEvS12_
		.amdhsa_group_segment_fixed_size 0
		.amdhsa_private_segment_fixed_size 0
		.amdhsa_kernarg_size 184
		.amdhsa_user_sgpr_count 2
		.amdhsa_user_sgpr_dispatch_ptr 0
		.amdhsa_user_sgpr_queue_ptr 0
		.amdhsa_user_sgpr_kernarg_segment_ptr 1
		.amdhsa_user_sgpr_dispatch_id 0
		.amdhsa_user_sgpr_kernarg_preload_length 0
		.amdhsa_user_sgpr_kernarg_preload_offset 0
		.amdhsa_user_sgpr_private_segment_size 0
		.amdhsa_wavefront_size32 1
		.amdhsa_uses_dynamic_stack 0
		.amdhsa_enable_private_segment 0
		.amdhsa_system_sgpr_workgroup_id_x 1
		.amdhsa_system_sgpr_workgroup_id_y 0
		.amdhsa_system_sgpr_workgroup_id_z 0
		.amdhsa_system_sgpr_workgroup_info 0
		.amdhsa_system_vgpr_workitem_id 0
		.amdhsa_next_free_vgpr 1
		.amdhsa_next_free_sgpr 1
		.amdhsa_named_barrier_count 0
		.amdhsa_reserve_vcc 0
		.amdhsa_float_round_mode_32 0
		.amdhsa_float_round_mode_16_64 0
		.amdhsa_float_denorm_mode_32 3
		.amdhsa_float_denorm_mode_16_64 3
		.amdhsa_fp16_overflow 0
		.amdhsa_memory_ordered 1
		.amdhsa_forward_progress 1
		.amdhsa_inst_pref_size 0
		.amdhsa_round_robin_scheduling 0
		.amdhsa_exception_fp_ieee_invalid_op 0
		.amdhsa_exception_fp_denorm_src 0
		.amdhsa_exception_fp_ieee_div_zero 0
		.amdhsa_exception_fp_ieee_overflow 0
		.amdhsa_exception_fp_ieee_underflow 0
		.amdhsa_exception_fp_ieee_inexact 0
		.amdhsa_exception_int_div_zero 0
	.end_amdhsa_kernel
	.section	.text._ZN7rocprim17ROCPRIM_400000_NS6detail17trampoline_kernelINS0_13select_configILj256ELj13ELNS0_17block_load_methodE3ELS4_3ELS4_3ELNS0_20block_scan_algorithmE0ELj4294967295EEENS1_25partition_config_selectorILNS1_17partition_subalgoE4EjNS0_10empty_typeEbEEZZNS1_14partition_implILS8_4ELb0ES6_15HIP_vector_typeIjLj2EENS0_17counting_iteratorIjlEEPS9_SG_NS0_5tupleIJPjSI_NS0_16reverse_iteratorISI_EEEEENSH_IJSG_SG_SG_EEES9_SI_JZNS1_25segmented_radix_sort_implINS0_14default_configELb1EPKfPfPKlPlN2at6native12_GLOBAL__N_18offset_tEEE10hipError_tPvRmT1_PNSt15iterator_traitsIS12_E10value_typeET2_T3_PNS13_IS18_E10value_typeET4_jRbjT5_S1E_jjP12ihipStream_tbEUljE_ZNSN_ISO_Lb1ESQ_SR_ST_SU_SY_EESZ_S10_S11_S12_S16_S17_S18_S1B_S1C_jS1D_jS1E_S1E_jjS1G_bEUljE0_EEESZ_S10_S11_S18_S1C_S1E_T6_T7_T9_mT8_S1G_bDpT10_ENKUlT_T0_E_clISt17integral_constantIbLb1EES1U_EEDaS1P_S1Q_EUlS1P_E_NS1_11comp_targetILNS1_3genE2ELNS1_11target_archE906ELNS1_3gpuE6ELNS1_3repE0EEENS1_30default_config_static_selectorELNS0_4arch9wavefront6targetE0EEEvS12_,"axG",@progbits,_ZN7rocprim17ROCPRIM_400000_NS6detail17trampoline_kernelINS0_13select_configILj256ELj13ELNS0_17block_load_methodE3ELS4_3ELS4_3ELNS0_20block_scan_algorithmE0ELj4294967295EEENS1_25partition_config_selectorILNS1_17partition_subalgoE4EjNS0_10empty_typeEbEEZZNS1_14partition_implILS8_4ELb0ES6_15HIP_vector_typeIjLj2EENS0_17counting_iteratorIjlEEPS9_SG_NS0_5tupleIJPjSI_NS0_16reverse_iteratorISI_EEEEENSH_IJSG_SG_SG_EEES9_SI_JZNS1_25segmented_radix_sort_implINS0_14default_configELb1EPKfPfPKlPlN2at6native12_GLOBAL__N_18offset_tEEE10hipError_tPvRmT1_PNSt15iterator_traitsIS12_E10value_typeET2_T3_PNS13_IS18_E10value_typeET4_jRbjT5_S1E_jjP12ihipStream_tbEUljE_ZNSN_ISO_Lb1ESQ_SR_ST_SU_SY_EESZ_S10_S11_S12_S16_S17_S18_S1B_S1C_jS1D_jS1E_S1E_jjS1G_bEUljE0_EEESZ_S10_S11_S18_S1C_S1E_T6_T7_T9_mT8_S1G_bDpT10_ENKUlT_T0_E_clISt17integral_constantIbLb1EES1U_EEDaS1P_S1Q_EUlS1P_E_NS1_11comp_targetILNS1_3genE2ELNS1_11target_archE906ELNS1_3gpuE6ELNS1_3repE0EEENS1_30default_config_static_selectorELNS0_4arch9wavefront6targetE0EEEvS12_,comdat
.Lfunc_end1267:
	.size	_ZN7rocprim17ROCPRIM_400000_NS6detail17trampoline_kernelINS0_13select_configILj256ELj13ELNS0_17block_load_methodE3ELS4_3ELS4_3ELNS0_20block_scan_algorithmE0ELj4294967295EEENS1_25partition_config_selectorILNS1_17partition_subalgoE4EjNS0_10empty_typeEbEEZZNS1_14partition_implILS8_4ELb0ES6_15HIP_vector_typeIjLj2EENS0_17counting_iteratorIjlEEPS9_SG_NS0_5tupleIJPjSI_NS0_16reverse_iteratorISI_EEEEENSH_IJSG_SG_SG_EEES9_SI_JZNS1_25segmented_radix_sort_implINS0_14default_configELb1EPKfPfPKlPlN2at6native12_GLOBAL__N_18offset_tEEE10hipError_tPvRmT1_PNSt15iterator_traitsIS12_E10value_typeET2_T3_PNS13_IS18_E10value_typeET4_jRbjT5_S1E_jjP12ihipStream_tbEUljE_ZNSN_ISO_Lb1ESQ_SR_ST_SU_SY_EESZ_S10_S11_S12_S16_S17_S18_S1B_S1C_jS1D_jS1E_S1E_jjS1G_bEUljE0_EEESZ_S10_S11_S18_S1C_S1E_T6_T7_T9_mT8_S1G_bDpT10_ENKUlT_T0_E_clISt17integral_constantIbLb1EES1U_EEDaS1P_S1Q_EUlS1P_E_NS1_11comp_targetILNS1_3genE2ELNS1_11target_archE906ELNS1_3gpuE6ELNS1_3repE0EEENS1_30default_config_static_selectorELNS0_4arch9wavefront6targetE0EEEvS12_, .Lfunc_end1267-_ZN7rocprim17ROCPRIM_400000_NS6detail17trampoline_kernelINS0_13select_configILj256ELj13ELNS0_17block_load_methodE3ELS4_3ELS4_3ELNS0_20block_scan_algorithmE0ELj4294967295EEENS1_25partition_config_selectorILNS1_17partition_subalgoE4EjNS0_10empty_typeEbEEZZNS1_14partition_implILS8_4ELb0ES6_15HIP_vector_typeIjLj2EENS0_17counting_iteratorIjlEEPS9_SG_NS0_5tupleIJPjSI_NS0_16reverse_iteratorISI_EEEEENSH_IJSG_SG_SG_EEES9_SI_JZNS1_25segmented_radix_sort_implINS0_14default_configELb1EPKfPfPKlPlN2at6native12_GLOBAL__N_18offset_tEEE10hipError_tPvRmT1_PNSt15iterator_traitsIS12_E10value_typeET2_T3_PNS13_IS18_E10value_typeET4_jRbjT5_S1E_jjP12ihipStream_tbEUljE_ZNSN_ISO_Lb1ESQ_SR_ST_SU_SY_EESZ_S10_S11_S12_S16_S17_S18_S1B_S1C_jS1D_jS1E_S1E_jjS1G_bEUljE0_EEESZ_S10_S11_S18_S1C_S1E_T6_T7_T9_mT8_S1G_bDpT10_ENKUlT_T0_E_clISt17integral_constantIbLb1EES1U_EEDaS1P_S1Q_EUlS1P_E_NS1_11comp_targetILNS1_3genE2ELNS1_11target_archE906ELNS1_3gpuE6ELNS1_3repE0EEENS1_30default_config_static_selectorELNS0_4arch9wavefront6targetE0EEEvS12_
                                        ; -- End function
	.set _ZN7rocprim17ROCPRIM_400000_NS6detail17trampoline_kernelINS0_13select_configILj256ELj13ELNS0_17block_load_methodE3ELS4_3ELS4_3ELNS0_20block_scan_algorithmE0ELj4294967295EEENS1_25partition_config_selectorILNS1_17partition_subalgoE4EjNS0_10empty_typeEbEEZZNS1_14partition_implILS8_4ELb0ES6_15HIP_vector_typeIjLj2EENS0_17counting_iteratorIjlEEPS9_SG_NS0_5tupleIJPjSI_NS0_16reverse_iteratorISI_EEEEENSH_IJSG_SG_SG_EEES9_SI_JZNS1_25segmented_radix_sort_implINS0_14default_configELb1EPKfPfPKlPlN2at6native12_GLOBAL__N_18offset_tEEE10hipError_tPvRmT1_PNSt15iterator_traitsIS12_E10value_typeET2_T3_PNS13_IS18_E10value_typeET4_jRbjT5_S1E_jjP12ihipStream_tbEUljE_ZNSN_ISO_Lb1ESQ_SR_ST_SU_SY_EESZ_S10_S11_S12_S16_S17_S18_S1B_S1C_jS1D_jS1E_S1E_jjS1G_bEUljE0_EEESZ_S10_S11_S18_S1C_S1E_T6_T7_T9_mT8_S1G_bDpT10_ENKUlT_T0_E_clISt17integral_constantIbLb1EES1U_EEDaS1P_S1Q_EUlS1P_E_NS1_11comp_targetILNS1_3genE2ELNS1_11target_archE906ELNS1_3gpuE6ELNS1_3repE0EEENS1_30default_config_static_selectorELNS0_4arch9wavefront6targetE0EEEvS12_.num_vgpr, 0
	.set _ZN7rocprim17ROCPRIM_400000_NS6detail17trampoline_kernelINS0_13select_configILj256ELj13ELNS0_17block_load_methodE3ELS4_3ELS4_3ELNS0_20block_scan_algorithmE0ELj4294967295EEENS1_25partition_config_selectorILNS1_17partition_subalgoE4EjNS0_10empty_typeEbEEZZNS1_14partition_implILS8_4ELb0ES6_15HIP_vector_typeIjLj2EENS0_17counting_iteratorIjlEEPS9_SG_NS0_5tupleIJPjSI_NS0_16reverse_iteratorISI_EEEEENSH_IJSG_SG_SG_EEES9_SI_JZNS1_25segmented_radix_sort_implINS0_14default_configELb1EPKfPfPKlPlN2at6native12_GLOBAL__N_18offset_tEEE10hipError_tPvRmT1_PNSt15iterator_traitsIS12_E10value_typeET2_T3_PNS13_IS18_E10value_typeET4_jRbjT5_S1E_jjP12ihipStream_tbEUljE_ZNSN_ISO_Lb1ESQ_SR_ST_SU_SY_EESZ_S10_S11_S12_S16_S17_S18_S1B_S1C_jS1D_jS1E_S1E_jjS1G_bEUljE0_EEESZ_S10_S11_S18_S1C_S1E_T6_T7_T9_mT8_S1G_bDpT10_ENKUlT_T0_E_clISt17integral_constantIbLb1EES1U_EEDaS1P_S1Q_EUlS1P_E_NS1_11comp_targetILNS1_3genE2ELNS1_11target_archE906ELNS1_3gpuE6ELNS1_3repE0EEENS1_30default_config_static_selectorELNS0_4arch9wavefront6targetE0EEEvS12_.num_agpr, 0
	.set _ZN7rocprim17ROCPRIM_400000_NS6detail17trampoline_kernelINS0_13select_configILj256ELj13ELNS0_17block_load_methodE3ELS4_3ELS4_3ELNS0_20block_scan_algorithmE0ELj4294967295EEENS1_25partition_config_selectorILNS1_17partition_subalgoE4EjNS0_10empty_typeEbEEZZNS1_14partition_implILS8_4ELb0ES6_15HIP_vector_typeIjLj2EENS0_17counting_iteratorIjlEEPS9_SG_NS0_5tupleIJPjSI_NS0_16reverse_iteratorISI_EEEEENSH_IJSG_SG_SG_EEES9_SI_JZNS1_25segmented_radix_sort_implINS0_14default_configELb1EPKfPfPKlPlN2at6native12_GLOBAL__N_18offset_tEEE10hipError_tPvRmT1_PNSt15iterator_traitsIS12_E10value_typeET2_T3_PNS13_IS18_E10value_typeET4_jRbjT5_S1E_jjP12ihipStream_tbEUljE_ZNSN_ISO_Lb1ESQ_SR_ST_SU_SY_EESZ_S10_S11_S12_S16_S17_S18_S1B_S1C_jS1D_jS1E_S1E_jjS1G_bEUljE0_EEESZ_S10_S11_S18_S1C_S1E_T6_T7_T9_mT8_S1G_bDpT10_ENKUlT_T0_E_clISt17integral_constantIbLb1EES1U_EEDaS1P_S1Q_EUlS1P_E_NS1_11comp_targetILNS1_3genE2ELNS1_11target_archE906ELNS1_3gpuE6ELNS1_3repE0EEENS1_30default_config_static_selectorELNS0_4arch9wavefront6targetE0EEEvS12_.numbered_sgpr, 0
	.set _ZN7rocprim17ROCPRIM_400000_NS6detail17trampoline_kernelINS0_13select_configILj256ELj13ELNS0_17block_load_methodE3ELS4_3ELS4_3ELNS0_20block_scan_algorithmE0ELj4294967295EEENS1_25partition_config_selectorILNS1_17partition_subalgoE4EjNS0_10empty_typeEbEEZZNS1_14partition_implILS8_4ELb0ES6_15HIP_vector_typeIjLj2EENS0_17counting_iteratorIjlEEPS9_SG_NS0_5tupleIJPjSI_NS0_16reverse_iteratorISI_EEEEENSH_IJSG_SG_SG_EEES9_SI_JZNS1_25segmented_radix_sort_implINS0_14default_configELb1EPKfPfPKlPlN2at6native12_GLOBAL__N_18offset_tEEE10hipError_tPvRmT1_PNSt15iterator_traitsIS12_E10value_typeET2_T3_PNS13_IS18_E10value_typeET4_jRbjT5_S1E_jjP12ihipStream_tbEUljE_ZNSN_ISO_Lb1ESQ_SR_ST_SU_SY_EESZ_S10_S11_S12_S16_S17_S18_S1B_S1C_jS1D_jS1E_S1E_jjS1G_bEUljE0_EEESZ_S10_S11_S18_S1C_S1E_T6_T7_T9_mT8_S1G_bDpT10_ENKUlT_T0_E_clISt17integral_constantIbLb1EES1U_EEDaS1P_S1Q_EUlS1P_E_NS1_11comp_targetILNS1_3genE2ELNS1_11target_archE906ELNS1_3gpuE6ELNS1_3repE0EEENS1_30default_config_static_selectorELNS0_4arch9wavefront6targetE0EEEvS12_.num_named_barrier, 0
	.set _ZN7rocprim17ROCPRIM_400000_NS6detail17trampoline_kernelINS0_13select_configILj256ELj13ELNS0_17block_load_methodE3ELS4_3ELS4_3ELNS0_20block_scan_algorithmE0ELj4294967295EEENS1_25partition_config_selectorILNS1_17partition_subalgoE4EjNS0_10empty_typeEbEEZZNS1_14partition_implILS8_4ELb0ES6_15HIP_vector_typeIjLj2EENS0_17counting_iteratorIjlEEPS9_SG_NS0_5tupleIJPjSI_NS0_16reverse_iteratorISI_EEEEENSH_IJSG_SG_SG_EEES9_SI_JZNS1_25segmented_radix_sort_implINS0_14default_configELb1EPKfPfPKlPlN2at6native12_GLOBAL__N_18offset_tEEE10hipError_tPvRmT1_PNSt15iterator_traitsIS12_E10value_typeET2_T3_PNS13_IS18_E10value_typeET4_jRbjT5_S1E_jjP12ihipStream_tbEUljE_ZNSN_ISO_Lb1ESQ_SR_ST_SU_SY_EESZ_S10_S11_S12_S16_S17_S18_S1B_S1C_jS1D_jS1E_S1E_jjS1G_bEUljE0_EEESZ_S10_S11_S18_S1C_S1E_T6_T7_T9_mT8_S1G_bDpT10_ENKUlT_T0_E_clISt17integral_constantIbLb1EES1U_EEDaS1P_S1Q_EUlS1P_E_NS1_11comp_targetILNS1_3genE2ELNS1_11target_archE906ELNS1_3gpuE6ELNS1_3repE0EEENS1_30default_config_static_selectorELNS0_4arch9wavefront6targetE0EEEvS12_.private_seg_size, 0
	.set _ZN7rocprim17ROCPRIM_400000_NS6detail17trampoline_kernelINS0_13select_configILj256ELj13ELNS0_17block_load_methodE3ELS4_3ELS4_3ELNS0_20block_scan_algorithmE0ELj4294967295EEENS1_25partition_config_selectorILNS1_17partition_subalgoE4EjNS0_10empty_typeEbEEZZNS1_14partition_implILS8_4ELb0ES6_15HIP_vector_typeIjLj2EENS0_17counting_iteratorIjlEEPS9_SG_NS0_5tupleIJPjSI_NS0_16reverse_iteratorISI_EEEEENSH_IJSG_SG_SG_EEES9_SI_JZNS1_25segmented_radix_sort_implINS0_14default_configELb1EPKfPfPKlPlN2at6native12_GLOBAL__N_18offset_tEEE10hipError_tPvRmT1_PNSt15iterator_traitsIS12_E10value_typeET2_T3_PNS13_IS18_E10value_typeET4_jRbjT5_S1E_jjP12ihipStream_tbEUljE_ZNSN_ISO_Lb1ESQ_SR_ST_SU_SY_EESZ_S10_S11_S12_S16_S17_S18_S1B_S1C_jS1D_jS1E_S1E_jjS1G_bEUljE0_EEESZ_S10_S11_S18_S1C_S1E_T6_T7_T9_mT8_S1G_bDpT10_ENKUlT_T0_E_clISt17integral_constantIbLb1EES1U_EEDaS1P_S1Q_EUlS1P_E_NS1_11comp_targetILNS1_3genE2ELNS1_11target_archE906ELNS1_3gpuE6ELNS1_3repE0EEENS1_30default_config_static_selectorELNS0_4arch9wavefront6targetE0EEEvS12_.uses_vcc, 0
	.set _ZN7rocprim17ROCPRIM_400000_NS6detail17trampoline_kernelINS0_13select_configILj256ELj13ELNS0_17block_load_methodE3ELS4_3ELS4_3ELNS0_20block_scan_algorithmE0ELj4294967295EEENS1_25partition_config_selectorILNS1_17partition_subalgoE4EjNS0_10empty_typeEbEEZZNS1_14partition_implILS8_4ELb0ES6_15HIP_vector_typeIjLj2EENS0_17counting_iteratorIjlEEPS9_SG_NS0_5tupleIJPjSI_NS0_16reverse_iteratorISI_EEEEENSH_IJSG_SG_SG_EEES9_SI_JZNS1_25segmented_radix_sort_implINS0_14default_configELb1EPKfPfPKlPlN2at6native12_GLOBAL__N_18offset_tEEE10hipError_tPvRmT1_PNSt15iterator_traitsIS12_E10value_typeET2_T3_PNS13_IS18_E10value_typeET4_jRbjT5_S1E_jjP12ihipStream_tbEUljE_ZNSN_ISO_Lb1ESQ_SR_ST_SU_SY_EESZ_S10_S11_S12_S16_S17_S18_S1B_S1C_jS1D_jS1E_S1E_jjS1G_bEUljE0_EEESZ_S10_S11_S18_S1C_S1E_T6_T7_T9_mT8_S1G_bDpT10_ENKUlT_T0_E_clISt17integral_constantIbLb1EES1U_EEDaS1P_S1Q_EUlS1P_E_NS1_11comp_targetILNS1_3genE2ELNS1_11target_archE906ELNS1_3gpuE6ELNS1_3repE0EEENS1_30default_config_static_selectorELNS0_4arch9wavefront6targetE0EEEvS12_.uses_flat_scratch, 0
	.set _ZN7rocprim17ROCPRIM_400000_NS6detail17trampoline_kernelINS0_13select_configILj256ELj13ELNS0_17block_load_methodE3ELS4_3ELS4_3ELNS0_20block_scan_algorithmE0ELj4294967295EEENS1_25partition_config_selectorILNS1_17partition_subalgoE4EjNS0_10empty_typeEbEEZZNS1_14partition_implILS8_4ELb0ES6_15HIP_vector_typeIjLj2EENS0_17counting_iteratorIjlEEPS9_SG_NS0_5tupleIJPjSI_NS0_16reverse_iteratorISI_EEEEENSH_IJSG_SG_SG_EEES9_SI_JZNS1_25segmented_radix_sort_implINS0_14default_configELb1EPKfPfPKlPlN2at6native12_GLOBAL__N_18offset_tEEE10hipError_tPvRmT1_PNSt15iterator_traitsIS12_E10value_typeET2_T3_PNS13_IS18_E10value_typeET4_jRbjT5_S1E_jjP12ihipStream_tbEUljE_ZNSN_ISO_Lb1ESQ_SR_ST_SU_SY_EESZ_S10_S11_S12_S16_S17_S18_S1B_S1C_jS1D_jS1E_S1E_jjS1G_bEUljE0_EEESZ_S10_S11_S18_S1C_S1E_T6_T7_T9_mT8_S1G_bDpT10_ENKUlT_T0_E_clISt17integral_constantIbLb1EES1U_EEDaS1P_S1Q_EUlS1P_E_NS1_11comp_targetILNS1_3genE2ELNS1_11target_archE906ELNS1_3gpuE6ELNS1_3repE0EEENS1_30default_config_static_selectorELNS0_4arch9wavefront6targetE0EEEvS12_.has_dyn_sized_stack, 0
	.set _ZN7rocprim17ROCPRIM_400000_NS6detail17trampoline_kernelINS0_13select_configILj256ELj13ELNS0_17block_load_methodE3ELS4_3ELS4_3ELNS0_20block_scan_algorithmE0ELj4294967295EEENS1_25partition_config_selectorILNS1_17partition_subalgoE4EjNS0_10empty_typeEbEEZZNS1_14partition_implILS8_4ELb0ES6_15HIP_vector_typeIjLj2EENS0_17counting_iteratorIjlEEPS9_SG_NS0_5tupleIJPjSI_NS0_16reverse_iteratorISI_EEEEENSH_IJSG_SG_SG_EEES9_SI_JZNS1_25segmented_radix_sort_implINS0_14default_configELb1EPKfPfPKlPlN2at6native12_GLOBAL__N_18offset_tEEE10hipError_tPvRmT1_PNSt15iterator_traitsIS12_E10value_typeET2_T3_PNS13_IS18_E10value_typeET4_jRbjT5_S1E_jjP12ihipStream_tbEUljE_ZNSN_ISO_Lb1ESQ_SR_ST_SU_SY_EESZ_S10_S11_S12_S16_S17_S18_S1B_S1C_jS1D_jS1E_S1E_jjS1G_bEUljE0_EEESZ_S10_S11_S18_S1C_S1E_T6_T7_T9_mT8_S1G_bDpT10_ENKUlT_T0_E_clISt17integral_constantIbLb1EES1U_EEDaS1P_S1Q_EUlS1P_E_NS1_11comp_targetILNS1_3genE2ELNS1_11target_archE906ELNS1_3gpuE6ELNS1_3repE0EEENS1_30default_config_static_selectorELNS0_4arch9wavefront6targetE0EEEvS12_.has_recursion, 0
	.set _ZN7rocprim17ROCPRIM_400000_NS6detail17trampoline_kernelINS0_13select_configILj256ELj13ELNS0_17block_load_methodE3ELS4_3ELS4_3ELNS0_20block_scan_algorithmE0ELj4294967295EEENS1_25partition_config_selectorILNS1_17partition_subalgoE4EjNS0_10empty_typeEbEEZZNS1_14partition_implILS8_4ELb0ES6_15HIP_vector_typeIjLj2EENS0_17counting_iteratorIjlEEPS9_SG_NS0_5tupleIJPjSI_NS0_16reverse_iteratorISI_EEEEENSH_IJSG_SG_SG_EEES9_SI_JZNS1_25segmented_radix_sort_implINS0_14default_configELb1EPKfPfPKlPlN2at6native12_GLOBAL__N_18offset_tEEE10hipError_tPvRmT1_PNSt15iterator_traitsIS12_E10value_typeET2_T3_PNS13_IS18_E10value_typeET4_jRbjT5_S1E_jjP12ihipStream_tbEUljE_ZNSN_ISO_Lb1ESQ_SR_ST_SU_SY_EESZ_S10_S11_S12_S16_S17_S18_S1B_S1C_jS1D_jS1E_S1E_jjS1G_bEUljE0_EEESZ_S10_S11_S18_S1C_S1E_T6_T7_T9_mT8_S1G_bDpT10_ENKUlT_T0_E_clISt17integral_constantIbLb1EES1U_EEDaS1P_S1Q_EUlS1P_E_NS1_11comp_targetILNS1_3genE2ELNS1_11target_archE906ELNS1_3gpuE6ELNS1_3repE0EEENS1_30default_config_static_selectorELNS0_4arch9wavefront6targetE0EEEvS12_.has_indirect_call, 0
	.section	.AMDGPU.csdata,"",@progbits
; Kernel info:
; codeLenInByte = 0
; TotalNumSgprs: 0
; NumVgprs: 0
; ScratchSize: 0
; MemoryBound: 0
; FloatMode: 240
; IeeeMode: 1
; LDSByteSize: 0 bytes/workgroup (compile time only)
; SGPRBlocks: 0
; VGPRBlocks: 0
; NumSGPRsForWavesPerEU: 1
; NumVGPRsForWavesPerEU: 1
; NamedBarCnt: 0
; Occupancy: 16
; WaveLimiterHint : 0
; COMPUTE_PGM_RSRC2:SCRATCH_EN: 0
; COMPUTE_PGM_RSRC2:USER_SGPR: 2
; COMPUTE_PGM_RSRC2:TRAP_HANDLER: 0
; COMPUTE_PGM_RSRC2:TGID_X_EN: 1
; COMPUTE_PGM_RSRC2:TGID_Y_EN: 0
; COMPUTE_PGM_RSRC2:TGID_Z_EN: 0
; COMPUTE_PGM_RSRC2:TIDIG_COMP_CNT: 0
	.section	.text._ZN7rocprim17ROCPRIM_400000_NS6detail17trampoline_kernelINS0_13select_configILj256ELj13ELNS0_17block_load_methodE3ELS4_3ELS4_3ELNS0_20block_scan_algorithmE0ELj4294967295EEENS1_25partition_config_selectorILNS1_17partition_subalgoE4EjNS0_10empty_typeEbEEZZNS1_14partition_implILS8_4ELb0ES6_15HIP_vector_typeIjLj2EENS0_17counting_iteratorIjlEEPS9_SG_NS0_5tupleIJPjSI_NS0_16reverse_iteratorISI_EEEEENSH_IJSG_SG_SG_EEES9_SI_JZNS1_25segmented_radix_sort_implINS0_14default_configELb1EPKfPfPKlPlN2at6native12_GLOBAL__N_18offset_tEEE10hipError_tPvRmT1_PNSt15iterator_traitsIS12_E10value_typeET2_T3_PNS13_IS18_E10value_typeET4_jRbjT5_S1E_jjP12ihipStream_tbEUljE_ZNSN_ISO_Lb1ESQ_SR_ST_SU_SY_EESZ_S10_S11_S12_S16_S17_S18_S1B_S1C_jS1D_jS1E_S1E_jjS1G_bEUljE0_EEESZ_S10_S11_S18_S1C_S1E_T6_T7_T9_mT8_S1G_bDpT10_ENKUlT_T0_E_clISt17integral_constantIbLb1EES1U_EEDaS1P_S1Q_EUlS1P_E_NS1_11comp_targetILNS1_3genE10ELNS1_11target_archE1200ELNS1_3gpuE4ELNS1_3repE0EEENS1_30default_config_static_selectorELNS0_4arch9wavefront6targetE0EEEvS12_,"axG",@progbits,_ZN7rocprim17ROCPRIM_400000_NS6detail17trampoline_kernelINS0_13select_configILj256ELj13ELNS0_17block_load_methodE3ELS4_3ELS4_3ELNS0_20block_scan_algorithmE0ELj4294967295EEENS1_25partition_config_selectorILNS1_17partition_subalgoE4EjNS0_10empty_typeEbEEZZNS1_14partition_implILS8_4ELb0ES6_15HIP_vector_typeIjLj2EENS0_17counting_iteratorIjlEEPS9_SG_NS0_5tupleIJPjSI_NS0_16reverse_iteratorISI_EEEEENSH_IJSG_SG_SG_EEES9_SI_JZNS1_25segmented_radix_sort_implINS0_14default_configELb1EPKfPfPKlPlN2at6native12_GLOBAL__N_18offset_tEEE10hipError_tPvRmT1_PNSt15iterator_traitsIS12_E10value_typeET2_T3_PNS13_IS18_E10value_typeET4_jRbjT5_S1E_jjP12ihipStream_tbEUljE_ZNSN_ISO_Lb1ESQ_SR_ST_SU_SY_EESZ_S10_S11_S12_S16_S17_S18_S1B_S1C_jS1D_jS1E_S1E_jjS1G_bEUljE0_EEESZ_S10_S11_S18_S1C_S1E_T6_T7_T9_mT8_S1G_bDpT10_ENKUlT_T0_E_clISt17integral_constantIbLb1EES1U_EEDaS1P_S1Q_EUlS1P_E_NS1_11comp_targetILNS1_3genE10ELNS1_11target_archE1200ELNS1_3gpuE4ELNS1_3repE0EEENS1_30default_config_static_selectorELNS0_4arch9wavefront6targetE0EEEvS12_,comdat
	.globl	_ZN7rocprim17ROCPRIM_400000_NS6detail17trampoline_kernelINS0_13select_configILj256ELj13ELNS0_17block_load_methodE3ELS4_3ELS4_3ELNS0_20block_scan_algorithmE0ELj4294967295EEENS1_25partition_config_selectorILNS1_17partition_subalgoE4EjNS0_10empty_typeEbEEZZNS1_14partition_implILS8_4ELb0ES6_15HIP_vector_typeIjLj2EENS0_17counting_iteratorIjlEEPS9_SG_NS0_5tupleIJPjSI_NS0_16reverse_iteratorISI_EEEEENSH_IJSG_SG_SG_EEES9_SI_JZNS1_25segmented_radix_sort_implINS0_14default_configELb1EPKfPfPKlPlN2at6native12_GLOBAL__N_18offset_tEEE10hipError_tPvRmT1_PNSt15iterator_traitsIS12_E10value_typeET2_T3_PNS13_IS18_E10value_typeET4_jRbjT5_S1E_jjP12ihipStream_tbEUljE_ZNSN_ISO_Lb1ESQ_SR_ST_SU_SY_EESZ_S10_S11_S12_S16_S17_S18_S1B_S1C_jS1D_jS1E_S1E_jjS1G_bEUljE0_EEESZ_S10_S11_S18_S1C_S1E_T6_T7_T9_mT8_S1G_bDpT10_ENKUlT_T0_E_clISt17integral_constantIbLb1EES1U_EEDaS1P_S1Q_EUlS1P_E_NS1_11comp_targetILNS1_3genE10ELNS1_11target_archE1200ELNS1_3gpuE4ELNS1_3repE0EEENS1_30default_config_static_selectorELNS0_4arch9wavefront6targetE0EEEvS12_ ; -- Begin function _ZN7rocprim17ROCPRIM_400000_NS6detail17trampoline_kernelINS0_13select_configILj256ELj13ELNS0_17block_load_methodE3ELS4_3ELS4_3ELNS0_20block_scan_algorithmE0ELj4294967295EEENS1_25partition_config_selectorILNS1_17partition_subalgoE4EjNS0_10empty_typeEbEEZZNS1_14partition_implILS8_4ELb0ES6_15HIP_vector_typeIjLj2EENS0_17counting_iteratorIjlEEPS9_SG_NS0_5tupleIJPjSI_NS0_16reverse_iteratorISI_EEEEENSH_IJSG_SG_SG_EEES9_SI_JZNS1_25segmented_radix_sort_implINS0_14default_configELb1EPKfPfPKlPlN2at6native12_GLOBAL__N_18offset_tEEE10hipError_tPvRmT1_PNSt15iterator_traitsIS12_E10value_typeET2_T3_PNS13_IS18_E10value_typeET4_jRbjT5_S1E_jjP12ihipStream_tbEUljE_ZNSN_ISO_Lb1ESQ_SR_ST_SU_SY_EESZ_S10_S11_S12_S16_S17_S18_S1B_S1C_jS1D_jS1E_S1E_jjS1G_bEUljE0_EEESZ_S10_S11_S18_S1C_S1E_T6_T7_T9_mT8_S1G_bDpT10_ENKUlT_T0_E_clISt17integral_constantIbLb1EES1U_EEDaS1P_S1Q_EUlS1P_E_NS1_11comp_targetILNS1_3genE10ELNS1_11target_archE1200ELNS1_3gpuE4ELNS1_3repE0EEENS1_30default_config_static_selectorELNS0_4arch9wavefront6targetE0EEEvS12_
	.p2align	8
	.type	_ZN7rocprim17ROCPRIM_400000_NS6detail17trampoline_kernelINS0_13select_configILj256ELj13ELNS0_17block_load_methodE3ELS4_3ELS4_3ELNS0_20block_scan_algorithmE0ELj4294967295EEENS1_25partition_config_selectorILNS1_17partition_subalgoE4EjNS0_10empty_typeEbEEZZNS1_14partition_implILS8_4ELb0ES6_15HIP_vector_typeIjLj2EENS0_17counting_iteratorIjlEEPS9_SG_NS0_5tupleIJPjSI_NS0_16reverse_iteratorISI_EEEEENSH_IJSG_SG_SG_EEES9_SI_JZNS1_25segmented_radix_sort_implINS0_14default_configELb1EPKfPfPKlPlN2at6native12_GLOBAL__N_18offset_tEEE10hipError_tPvRmT1_PNSt15iterator_traitsIS12_E10value_typeET2_T3_PNS13_IS18_E10value_typeET4_jRbjT5_S1E_jjP12ihipStream_tbEUljE_ZNSN_ISO_Lb1ESQ_SR_ST_SU_SY_EESZ_S10_S11_S12_S16_S17_S18_S1B_S1C_jS1D_jS1E_S1E_jjS1G_bEUljE0_EEESZ_S10_S11_S18_S1C_S1E_T6_T7_T9_mT8_S1G_bDpT10_ENKUlT_T0_E_clISt17integral_constantIbLb1EES1U_EEDaS1P_S1Q_EUlS1P_E_NS1_11comp_targetILNS1_3genE10ELNS1_11target_archE1200ELNS1_3gpuE4ELNS1_3repE0EEENS1_30default_config_static_selectorELNS0_4arch9wavefront6targetE0EEEvS12_,@function
_ZN7rocprim17ROCPRIM_400000_NS6detail17trampoline_kernelINS0_13select_configILj256ELj13ELNS0_17block_load_methodE3ELS4_3ELS4_3ELNS0_20block_scan_algorithmE0ELj4294967295EEENS1_25partition_config_selectorILNS1_17partition_subalgoE4EjNS0_10empty_typeEbEEZZNS1_14partition_implILS8_4ELb0ES6_15HIP_vector_typeIjLj2EENS0_17counting_iteratorIjlEEPS9_SG_NS0_5tupleIJPjSI_NS0_16reverse_iteratorISI_EEEEENSH_IJSG_SG_SG_EEES9_SI_JZNS1_25segmented_radix_sort_implINS0_14default_configELb1EPKfPfPKlPlN2at6native12_GLOBAL__N_18offset_tEEE10hipError_tPvRmT1_PNSt15iterator_traitsIS12_E10value_typeET2_T3_PNS13_IS18_E10value_typeET4_jRbjT5_S1E_jjP12ihipStream_tbEUljE_ZNSN_ISO_Lb1ESQ_SR_ST_SU_SY_EESZ_S10_S11_S12_S16_S17_S18_S1B_S1C_jS1D_jS1E_S1E_jjS1G_bEUljE0_EEESZ_S10_S11_S18_S1C_S1E_T6_T7_T9_mT8_S1G_bDpT10_ENKUlT_T0_E_clISt17integral_constantIbLb1EES1U_EEDaS1P_S1Q_EUlS1P_E_NS1_11comp_targetILNS1_3genE10ELNS1_11target_archE1200ELNS1_3gpuE4ELNS1_3repE0EEENS1_30default_config_static_selectorELNS0_4arch9wavefront6targetE0EEEvS12_: ; @_ZN7rocprim17ROCPRIM_400000_NS6detail17trampoline_kernelINS0_13select_configILj256ELj13ELNS0_17block_load_methodE3ELS4_3ELS4_3ELNS0_20block_scan_algorithmE0ELj4294967295EEENS1_25partition_config_selectorILNS1_17partition_subalgoE4EjNS0_10empty_typeEbEEZZNS1_14partition_implILS8_4ELb0ES6_15HIP_vector_typeIjLj2EENS0_17counting_iteratorIjlEEPS9_SG_NS0_5tupleIJPjSI_NS0_16reverse_iteratorISI_EEEEENSH_IJSG_SG_SG_EEES9_SI_JZNS1_25segmented_radix_sort_implINS0_14default_configELb1EPKfPfPKlPlN2at6native12_GLOBAL__N_18offset_tEEE10hipError_tPvRmT1_PNSt15iterator_traitsIS12_E10value_typeET2_T3_PNS13_IS18_E10value_typeET4_jRbjT5_S1E_jjP12ihipStream_tbEUljE_ZNSN_ISO_Lb1ESQ_SR_ST_SU_SY_EESZ_S10_S11_S12_S16_S17_S18_S1B_S1C_jS1D_jS1E_S1E_jjS1G_bEUljE0_EEESZ_S10_S11_S18_S1C_S1E_T6_T7_T9_mT8_S1G_bDpT10_ENKUlT_T0_E_clISt17integral_constantIbLb1EES1U_EEDaS1P_S1Q_EUlS1P_E_NS1_11comp_targetILNS1_3genE10ELNS1_11target_archE1200ELNS1_3gpuE4ELNS1_3repE0EEENS1_30default_config_static_selectorELNS0_4arch9wavefront6targetE0EEEvS12_
; %bb.0:
	.section	.rodata,"a",@progbits
	.p2align	6, 0x0
	.amdhsa_kernel _ZN7rocprim17ROCPRIM_400000_NS6detail17trampoline_kernelINS0_13select_configILj256ELj13ELNS0_17block_load_methodE3ELS4_3ELS4_3ELNS0_20block_scan_algorithmE0ELj4294967295EEENS1_25partition_config_selectorILNS1_17partition_subalgoE4EjNS0_10empty_typeEbEEZZNS1_14partition_implILS8_4ELb0ES6_15HIP_vector_typeIjLj2EENS0_17counting_iteratorIjlEEPS9_SG_NS0_5tupleIJPjSI_NS0_16reverse_iteratorISI_EEEEENSH_IJSG_SG_SG_EEES9_SI_JZNS1_25segmented_radix_sort_implINS0_14default_configELb1EPKfPfPKlPlN2at6native12_GLOBAL__N_18offset_tEEE10hipError_tPvRmT1_PNSt15iterator_traitsIS12_E10value_typeET2_T3_PNS13_IS18_E10value_typeET4_jRbjT5_S1E_jjP12ihipStream_tbEUljE_ZNSN_ISO_Lb1ESQ_SR_ST_SU_SY_EESZ_S10_S11_S12_S16_S17_S18_S1B_S1C_jS1D_jS1E_S1E_jjS1G_bEUljE0_EEESZ_S10_S11_S18_S1C_S1E_T6_T7_T9_mT8_S1G_bDpT10_ENKUlT_T0_E_clISt17integral_constantIbLb1EES1U_EEDaS1P_S1Q_EUlS1P_E_NS1_11comp_targetILNS1_3genE10ELNS1_11target_archE1200ELNS1_3gpuE4ELNS1_3repE0EEENS1_30default_config_static_selectorELNS0_4arch9wavefront6targetE0EEEvS12_
		.amdhsa_group_segment_fixed_size 0
		.amdhsa_private_segment_fixed_size 0
		.amdhsa_kernarg_size 184
		.amdhsa_user_sgpr_count 2
		.amdhsa_user_sgpr_dispatch_ptr 0
		.amdhsa_user_sgpr_queue_ptr 0
		.amdhsa_user_sgpr_kernarg_segment_ptr 1
		.amdhsa_user_sgpr_dispatch_id 0
		.amdhsa_user_sgpr_kernarg_preload_length 0
		.amdhsa_user_sgpr_kernarg_preload_offset 0
		.amdhsa_user_sgpr_private_segment_size 0
		.amdhsa_wavefront_size32 1
		.amdhsa_uses_dynamic_stack 0
		.amdhsa_enable_private_segment 0
		.amdhsa_system_sgpr_workgroup_id_x 1
		.amdhsa_system_sgpr_workgroup_id_y 0
		.amdhsa_system_sgpr_workgroup_id_z 0
		.amdhsa_system_sgpr_workgroup_info 0
		.amdhsa_system_vgpr_workitem_id 0
		.amdhsa_next_free_vgpr 1
		.amdhsa_next_free_sgpr 1
		.amdhsa_named_barrier_count 0
		.amdhsa_reserve_vcc 0
		.amdhsa_float_round_mode_32 0
		.amdhsa_float_round_mode_16_64 0
		.amdhsa_float_denorm_mode_32 3
		.amdhsa_float_denorm_mode_16_64 3
		.amdhsa_fp16_overflow 0
		.amdhsa_memory_ordered 1
		.amdhsa_forward_progress 1
		.amdhsa_inst_pref_size 0
		.amdhsa_round_robin_scheduling 0
		.amdhsa_exception_fp_ieee_invalid_op 0
		.amdhsa_exception_fp_denorm_src 0
		.amdhsa_exception_fp_ieee_div_zero 0
		.amdhsa_exception_fp_ieee_overflow 0
		.amdhsa_exception_fp_ieee_underflow 0
		.amdhsa_exception_fp_ieee_inexact 0
		.amdhsa_exception_int_div_zero 0
	.end_amdhsa_kernel
	.section	.text._ZN7rocprim17ROCPRIM_400000_NS6detail17trampoline_kernelINS0_13select_configILj256ELj13ELNS0_17block_load_methodE3ELS4_3ELS4_3ELNS0_20block_scan_algorithmE0ELj4294967295EEENS1_25partition_config_selectorILNS1_17partition_subalgoE4EjNS0_10empty_typeEbEEZZNS1_14partition_implILS8_4ELb0ES6_15HIP_vector_typeIjLj2EENS0_17counting_iteratorIjlEEPS9_SG_NS0_5tupleIJPjSI_NS0_16reverse_iteratorISI_EEEEENSH_IJSG_SG_SG_EEES9_SI_JZNS1_25segmented_radix_sort_implINS0_14default_configELb1EPKfPfPKlPlN2at6native12_GLOBAL__N_18offset_tEEE10hipError_tPvRmT1_PNSt15iterator_traitsIS12_E10value_typeET2_T3_PNS13_IS18_E10value_typeET4_jRbjT5_S1E_jjP12ihipStream_tbEUljE_ZNSN_ISO_Lb1ESQ_SR_ST_SU_SY_EESZ_S10_S11_S12_S16_S17_S18_S1B_S1C_jS1D_jS1E_S1E_jjS1G_bEUljE0_EEESZ_S10_S11_S18_S1C_S1E_T6_T7_T9_mT8_S1G_bDpT10_ENKUlT_T0_E_clISt17integral_constantIbLb1EES1U_EEDaS1P_S1Q_EUlS1P_E_NS1_11comp_targetILNS1_3genE10ELNS1_11target_archE1200ELNS1_3gpuE4ELNS1_3repE0EEENS1_30default_config_static_selectorELNS0_4arch9wavefront6targetE0EEEvS12_,"axG",@progbits,_ZN7rocprim17ROCPRIM_400000_NS6detail17trampoline_kernelINS0_13select_configILj256ELj13ELNS0_17block_load_methodE3ELS4_3ELS4_3ELNS0_20block_scan_algorithmE0ELj4294967295EEENS1_25partition_config_selectorILNS1_17partition_subalgoE4EjNS0_10empty_typeEbEEZZNS1_14partition_implILS8_4ELb0ES6_15HIP_vector_typeIjLj2EENS0_17counting_iteratorIjlEEPS9_SG_NS0_5tupleIJPjSI_NS0_16reverse_iteratorISI_EEEEENSH_IJSG_SG_SG_EEES9_SI_JZNS1_25segmented_radix_sort_implINS0_14default_configELb1EPKfPfPKlPlN2at6native12_GLOBAL__N_18offset_tEEE10hipError_tPvRmT1_PNSt15iterator_traitsIS12_E10value_typeET2_T3_PNS13_IS18_E10value_typeET4_jRbjT5_S1E_jjP12ihipStream_tbEUljE_ZNSN_ISO_Lb1ESQ_SR_ST_SU_SY_EESZ_S10_S11_S12_S16_S17_S18_S1B_S1C_jS1D_jS1E_S1E_jjS1G_bEUljE0_EEESZ_S10_S11_S18_S1C_S1E_T6_T7_T9_mT8_S1G_bDpT10_ENKUlT_T0_E_clISt17integral_constantIbLb1EES1U_EEDaS1P_S1Q_EUlS1P_E_NS1_11comp_targetILNS1_3genE10ELNS1_11target_archE1200ELNS1_3gpuE4ELNS1_3repE0EEENS1_30default_config_static_selectorELNS0_4arch9wavefront6targetE0EEEvS12_,comdat
.Lfunc_end1268:
	.size	_ZN7rocprim17ROCPRIM_400000_NS6detail17trampoline_kernelINS0_13select_configILj256ELj13ELNS0_17block_load_methodE3ELS4_3ELS4_3ELNS0_20block_scan_algorithmE0ELj4294967295EEENS1_25partition_config_selectorILNS1_17partition_subalgoE4EjNS0_10empty_typeEbEEZZNS1_14partition_implILS8_4ELb0ES6_15HIP_vector_typeIjLj2EENS0_17counting_iteratorIjlEEPS9_SG_NS0_5tupleIJPjSI_NS0_16reverse_iteratorISI_EEEEENSH_IJSG_SG_SG_EEES9_SI_JZNS1_25segmented_radix_sort_implINS0_14default_configELb1EPKfPfPKlPlN2at6native12_GLOBAL__N_18offset_tEEE10hipError_tPvRmT1_PNSt15iterator_traitsIS12_E10value_typeET2_T3_PNS13_IS18_E10value_typeET4_jRbjT5_S1E_jjP12ihipStream_tbEUljE_ZNSN_ISO_Lb1ESQ_SR_ST_SU_SY_EESZ_S10_S11_S12_S16_S17_S18_S1B_S1C_jS1D_jS1E_S1E_jjS1G_bEUljE0_EEESZ_S10_S11_S18_S1C_S1E_T6_T7_T9_mT8_S1G_bDpT10_ENKUlT_T0_E_clISt17integral_constantIbLb1EES1U_EEDaS1P_S1Q_EUlS1P_E_NS1_11comp_targetILNS1_3genE10ELNS1_11target_archE1200ELNS1_3gpuE4ELNS1_3repE0EEENS1_30default_config_static_selectorELNS0_4arch9wavefront6targetE0EEEvS12_, .Lfunc_end1268-_ZN7rocprim17ROCPRIM_400000_NS6detail17trampoline_kernelINS0_13select_configILj256ELj13ELNS0_17block_load_methodE3ELS4_3ELS4_3ELNS0_20block_scan_algorithmE0ELj4294967295EEENS1_25partition_config_selectorILNS1_17partition_subalgoE4EjNS0_10empty_typeEbEEZZNS1_14partition_implILS8_4ELb0ES6_15HIP_vector_typeIjLj2EENS0_17counting_iteratorIjlEEPS9_SG_NS0_5tupleIJPjSI_NS0_16reverse_iteratorISI_EEEEENSH_IJSG_SG_SG_EEES9_SI_JZNS1_25segmented_radix_sort_implINS0_14default_configELb1EPKfPfPKlPlN2at6native12_GLOBAL__N_18offset_tEEE10hipError_tPvRmT1_PNSt15iterator_traitsIS12_E10value_typeET2_T3_PNS13_IS18_E10value_typeET4_jRbjT5_S1E_jjP12ihipStream_tbEUljE_ZNSN_ISO_Lb1ESQ_SR_ST_SU_SY_EESZ_S10_S11_S12_S16_S17_S18_S1B_S1C_jS1D_jS1E_S1E_jjS1G_bEUljE0_EEESZ_S10_S11_S18_S1C_S1E_T6_T7_T9_mT8_S1G_bDpT10_ENKUlT_T0_E_clISt17integral_constantIbLb1EES1U_EEDaS1P_S1Q_EUlS1P_E_NS1_11comp_targetILNS1_3genE10ELNS1_11target_archE1200ELNS1_3gpuE4ELNS1_3repE0EEENS1_30default_config_static_selectorELNS0_4arch9wavefront6targetE0EEEvS12_
                                        ; -- End function
	.set _ZN7rocprim17ROCPRIM_400000_NS6detail17trampoline_kernelINS0_13select_configILj256ELj13ELNS0_17block_load_methodE3ELS4_3ELS4_3ELNS0_20block_scan_algorithmE0ELj4294967295EEENS1_25partition_config_selectorILNS1_17partition_subalgoE4EjNS0_10empty_typeEbEEZZNS1_14partition_implILS8_4ELb0ES6_15HIP_vector_typeIjLj2EENS0_17counting_iteratorIjlEEPS9_SG_NS0_5tupleIJPjSI_NS0_16reverse_iteratorISI_EEEEENSH_IJSG_SG_SG_EEES9_SI_JZNS1_25segmented_radix_sort_implINS0_14default_configELb1EPKfPfPKlPlN2at6native12_GLOBAL__N_18offset_tEEE10hipError_tPvRmT1_PNSt15iterator_traitsIS12_E10value_typeET2_T3_PNS13_IS18_E10value_typeET4_jRbjT5_S1E_jjP12ihipStream_tbEUljE_ZNSN_ISO_Lb1ESQ_SR_ST_SU_SY_EESZ_S10_S11_S12_S16_S17_S18_S1B_S1C_jS1D_jS1E_S1E_jjS1G_bEUljE0_EEESZ_S10_S11_S18_S1C_S1E_T6_T7_T9_mT8_S1G_bDpT10_ENKUlT_T0_E_clISt17integral_constantIbLb1EES1U_EEDaS1P_S1Q_EUlS1P_E_NS1_11comp_targetILNS1_3genE10ELNS1_11target_archE1200ELNS1_3gpuE4ELNS1_3repE0EEENS1_30default_config_static_selectorELNS0_4arch9wavefront6targetE0EEEvS12_.num_vgpr, 0
	.set _ZN7rocprim17ROCPRIM_400000_NS6detail17trampoline_kernelINS0_13select_configILj256ELj13ELNS0_17block_load_methodE3ELS4_3ELS4_3ELNS0_20block_scan_algorithmE0ELj4294967295EEENS1_25partition_config_selectorILNS1_17partition_subalgoE4EjNS0_10empty_typeEbEEZZNS1_14partition_implILS8_4ELb0ES6_15HIP_vector_typeIjLj2EENS0_17counting_iteratorIjlEEPS9_SG_NS0_5tupleIJPjSI_NS0_16reverse_iteratorISI_EEEEENSH_IJSG_SG_SG_EEES9_SI_JZNS1_25segmented_radix_sort_implINS0_14default_configELb1EPKfPfPKlPlN2at6native12_GLOBAL__N_18offset_tEEE10hipError_tPvRmT1_PNSt15iterator_traitsIS12_E10value_typeET2_T3_PNS13_IS18_E10value_typeET4_jRbjT5_S1E_jjP12ihipStream_tbEUljE_ZNSN_ISO_Lb1ESQ_SR_ST_SU_SY_EESZ_S10_S11_S12_S16_S17_S18_S1B_S1C_jS1D_jS1E_S1E_jjS1G_bEUljE0_EEESZ_S10_S11_S18_S1C_S1E_T6_T7_T9_mT8_S1G_bDpT10_ENKUlT_T0_E_clISt17integral_constantIbLb1EES1U_EEDaS1P_S1Q_EUlS1P_E_NS1_11comp_targetILNS1_3genE10ELNS1_11target_archE1200ELNS1_3gpuE4ELNS1_3repE0EEENS1_30default_config_static_selectorELNS0_4arch9wavefront6targetE0EEEvS12_.num_agpr, 0
	.set _ZN7rocprim17ROCPRIM_400000_NS6detail17trampoline_kernelINS0_13select_configILj256ELj13ELNS0_17block_load_methodE3ELS4_3ELS4_3ELNS0_20block_scan_algorithmE0ELj4294967295EEENS1_25partition_config_selectorILNS1_17partition_subalgoE4EjNS0_10empty_typeEbEEZZNS1_14partition_implILS8_4ELb0ES6_15HIP_vector_typeIjLj2EENS0_17counting_iteratorIjlEEPS9_SG_NS0_5tupleIJPjSI_NS0_16reverse_iteratorISI_EEEEENSH_IJSG_SG_SG_EEES9_SI_JZNS1_25segmented_radix_sort_implINS0_14default_configELb1EPKfPfPKlPlN2at6native12_GLOBAL__N_18offset_tEEE10hipError_tPvRmT1_PNSt15iterator_traitsIS12_E10value_typeET2_T3_PNS13_IS18_E10value_typeET4_jRbjT5_S1E_jjP12ihipStream_tbEUljE_ZNSN_ISO_Lb1ESQ_SR_ST_SU_SY_EESZ_S10_S11_S12_S16_S17_S18_S1B_S1C_jS1D_jS1E_S1E_jjS1G_bEUljE0_EEESZ_S10_S11_S18_S1C_S1E_T6_T7_T9_mT8_S1G_bDpT10_ENKUlT_T0_E_clISt17integral_constantIbLb1EES1U_EEDaS1P_S1Q_EUlS1P_E_NS1_11comp_targetILNS1_3genE10ELNS1_11target_archE1200ELNS1_3gpuE4ELNS1_3repE0EEENS1_30default_config_static_selectorELNS0_4arch9wavefront6targetE0EEEvS12_.numbered_sgpr, 0
	.set _ZN7rocprim17ROCPRIM_400000_NS6detail17trampoline_kernelINS0_13select_configILj256ELj13ELNS0_17block_load_methodE3ELS4_3ELS4_3ELNS0_20block_scan_algorithmE0ELj4294967295EEENS1_25partition_config_selectorILNS1_17partition_subalgoE4EjNS0_10empty_typeEbEEZZNS1_14partition_implILS8_4ELb0ES6_15HIP_vector_typeIjLj2EENS0_17counting_iteratorIjlEEPS9_SG_NS0_5tupleIJPjSI_NS0_16reverse_iteratorISI_EEEEENSH_IJSG_SG_SG_EEES9_SI_JZNS1_25segmented_radix_sort_implINS0_14default_configELb1EPKfPfPKlPlN2at6native12_GLOBAL__N_18offset_tEEE10hipError_tPvRmT1_PNSt15iterator_traitsIS12_E10value_typeET2_T3_PNS13_IS18_E10value_typeET4_jRbjT5_S1E_jjP12ihipStream_tbEUljE_ZNSN_ISO_Lb1ESQ_SR_ST_SU_SY_EESZ_S10_S11_S12_S16_S17_S18_S1B_S1C_jS1D_jS1E_S1E_jjS1G_bEUljE0_EEESZ_S10_S11_S18_S1C_S1E_T6_T7_T9_mT8_S1G_bDpT10_ENKUlT_T0_E_clISt17integral_constantIbLb1EES1U_EEDaS1P_S1Q_EUlS1P_E_NS1_11comp_targetILNS1_3genE10ELNS1_11target_archE1200ELNS1_3gpuE4ELNS1_3repE0EEENS1_30default_config_static_selectorELNS0_4arch9wavefront6targetE0EEEvS12_.num_named_barrier, 0
	.set _ZN7rocprim17ROCPRIM_400000_NS6detail17trampoline_kernelINS0_13select_configILj256ELj13ELNS0_17block_load_methodE3ELS4_3ELS4_3ELNS0_20block_scan_algorithmE0ELj4294967295EEENS1_25partition_config_selectorILNS1_17partition_subalgoE4EjNS0_10empty_typeEbEEZZNS1_14partition_implILS8_4ELb0ES6_15HIP_vector_typeIjLj2EENS0_17counting_iteratorIjlEEPS9_SG_NS0_5tupleIJPjSI_NS0_16reverse_iteratorISI_EEEEENSH_IJSG_SG_SG_EEES9_SI_JZNS1_25segmented_radix_sort_implINS0_14default_configELb1EPKfPfPKlPlN2at6native12_GLOBAL__N_18offset_tEEE10hipError_tPvRmT1_PNSt15iterator_traitsIS12_E10value_typeET2_T3_PNS13_IS18_E10value_typeET4_jRbjT5_S1E_jjP12ihipStream_tbEUljE_ZNSN_ISO_Lb1ESQ_SR_ST_SU_SY_EESZ_S10_S11_S12_S16_S17_S18_S1B_S1C_jS1D_jS1E_S1E_jjS1G_bEUljE0_EEESZ_S10_S11_S18_S1C_S1E_T6_T7_T9_mT8_S1G_bDpT10_ENKUlT_T0_E_clISt17integral_constantIbLb1EES1U_EEDaS1P_S1Q_EUlS1P_E_NS1_11comp_targetILNS1_3genE10ELNS1_11target_archE1200ELNS1_3gpuE4ELNS1_3repE0EEENS1_30default_config_static_selectorELNS0_4arch9wavefront6targetE0EEEvS12_.private_seg_size, 0
	.set _ZN7rocprim17ROCPRIM_400000_NS6detail17trampoline_kernelINS0_13select_configILj256ELj13ELNS0_17block_load_methodE3ELS4_3ELS4_3ELNS0_20block_scan_algorithmE0ELj4294967295EEENS1_25partition_config_selectorILNS1_17partition_subalgoE4EjNS0_10empty_typeEbEEZZNS1_14partition_implILS8_4ELb0ES6_15HIP_vector_typeIjLj2EENS0_17counting_iteratorIjlEEPS9_SG_NS0_5tupleIJPjSI_NS0_16reverse_iteratorISI_EEEEENSH_IJSG_SG_SG_EEES9_SI_JZNS1_25segmented_radix_sort_implINS0_14default_configELb1EPKfPfPKlPlN2at6native12_GLOBAL__N_18offset_tEEE10hipError_tPvRmT1_PNSt15iterator_traitsIS12_E10value_typeET2_T3_PNS13_IS18_E10value_typeET4_jRbjT5_S1E_jjP12ihipStream_tbEUljE_ZNSN_ISO_Lb1ESQ_SR_ST_SU_SY_EESZ_S10_S11_S12_S16_S17_S18_S1B_S1C_jS1D_jS1E_S1E_jjS1G_bEUljE0_EEESZ_S10_S11_S18_S1C_S1E_T6_T7_T9_mT8_S1G_bDpT10_ENKUlT_T0_E_clISt17integral_constantIbLb1EES1U_EEDaS1P_S1Q_EUlS1P_E_NS1_11comp_targetILNS1_3genE10ELNS1_11target_archE1200ELNS1_3gpuE4ELNS1_3repE0EEENS1_30default_config_static_selectorELNS0_4arch9wavefront6targetE0EEEvS12_.uses_vcc, 0
	.set _ZN7rocprim17ROCPRIM_400000_NS6detail17trampoline_kernelINS0_13select_configILj256ELj13ELNS0_17block_load_methodE3ELS4_3ELS4_3ELNS0_20block_scan_algorithmE0ELj4294967295EEENS1_25partition_config_selectorILNS1_17partition_subalgoE4EjNS0_10empty_typeEbEEZZNS1_14partition_implILS8_4ELb0ES6_15HIP_vector_typeIjLj2EENS0_17counting_iteratorIjlEEPS9_SG_NS0_5tupleIJPjSI_NS0_16reverse_iteratorISI_EEEEENSH_IJSG_SG_SG_EEES9_SI_JZNS1_25segmented_radix_sort_implINS0_14default_configELb1EPKfPfPKlPlN2at6native12_GLOBAL__N_18offset_tEEE10hipError_tPvRmT1_PNSt15iterator_traitsIS12_E10value_typeET2_T3_PNS13_IS18_E10value_typeET4_jRbjT5_S1E_jjP12ihipStream_tbEUljE_ZNSN_ISO_Lb1ESQ_SR_ST_SU_SY_EESZ_S10_S11_S12_S16_S17_S18_S1B_S1C_jS1D_jS1E_S1E_jjS1G_bEUljE0_EEESZ_S10_S11_S18_S1C_S1E_T6_T7_T9_mT8_S1G_bDpT10_ENKUlT_T0_E_clISt17integral_constantIbLb1EES1U_EEDaS1P_S1Q_EUlS1P_E_NS1_11comp_targetILNS1_3genE10ELNS1_11target_archE1200ELNS1_3gpuE4ELNS1_3repE0EEENS1_30default_config_static_selectorELNS0_4arch9wavefront6targetE0EEEvS12_.uses_flat_scratch, 0
	.set _ZN7rocprim17ROCPRIM_400000_NS6detail17trampoline_kernelINS0_13select_configILj256ELj13ELNS0_17block_load_methodE3ELS4_3ELS4_3ELNS0_20block_scan_algorithmE0ELj4294967295EEENS1_25partition_config_selectorILNS1_17partition_subalgoE4EjNS0_10empty_typeEbEEZZNS1_14partition_implILS8_4ELb0ES6_15HIP_vector_typeIjLj2EENS0_17counting_iteratorIjlEEPS9_SG_NS0_5tupleIJPjSI_NS0_16reverse_iteratorISI_EEEEENSH_IJSG_SG_SG_EEES9_SI_JZNS1_25segmented_radix_sort_implINS0_14default_configELb1EPKfPfPKlPlN2at6native12_GLOBAL__N_18offset_tEEE10hipError_tPvRmT1_PNSt15iterator_traitsIS12_E10value_typeET2_T3_PNS13_IS18_E10value_typeET4_jRbjT5_S1E_jjP12ihipStream_tbEUljE_ZNSN_ISO_Lb1ESQ_SR_ST_SU_SY_EESZ_S10_S11_S12_S16_S17_S18_S1B_S1C_jS1D_jS1E_S1E_jjS1G_bEUljE0_EEESZ_S10_S11_S18_S1C_S1E_T6_T7_T9_mT8_S1G_bDpT10_ENKUlT_T0_E_clISt17integral_constantIbLb1EES1U_EEDaS1P_S1Q_EUlS1P_E_NS1_11comp_targetILNS1_3genE10ELNS1_11target_archE1200ELNS1_3gpuE4ELNS1_3repE0EEENS1_30default_config_static_selectorELNS0_4arch9wavefront6targetE0EEEvS12_.has_dyn_sized_stack, 0
	.set _ZN7rocprim17ROCPRIM_400000_NS6detail17trampoline_kernelINS0_13select_configILj256ELj13ELNS0_17block_load_methodE3ELS4_3ELS4_3ELNS0_20block_scan_algorithmE0ELj4294967295EEENS1_25partition_config_selectorILNS1_17partition_subalgoE4EjNS0_10empty_typeEbEEZZNS1_14partition_implILS8_4ELb0ES6_15HIP_vector_typeIjLj2EENS0_17counting_iteratorIjlEEPS9_SG_NS0_5tupleIJPjSI_NS0_16reverse_iteratorISI_EEEEENSH_IJSG_SG_SG_EEES9_SI_JZNS1_25segmented_radix_sort_implINS0_14default_configELb1EPKfPfPKlPlN2at6native12_GLOBAL__N_18offset_tEEE10hipError_tPvRmT1_PNSt15iterator_traitsIS12_E10value_typeET2_T3_PNS13_IS18_E10value_typeET4_jRbjT5_S1E_jjP12ihipStream_tbEUljE_ZNSN_ISO_Lb1ESQ_SR_ST_SU_SY_EESZ_S10_S11_S12_S16_S17_S18_S1B_S1C_jS1D_jS1E_S1E_jjS1G_bEUljE0_EEESZ_S10_S11_S18_S1C_S1E_T6_T7_T9_mT8_S1G_bDpT10_ENKUlT_T0_E_clISt17integral_constantIbLb1EES1U_EEDaS1P_S1Q_EUlS1P_E_NS1_11comp_targetILNS1_3genE10ELNS1_11target_archE1200ELNS1_3gpuE4ELNS1_3repE0EEENS1_30default_config_static_selectorELNS0_4arch9wavefront6targetE0EEEvS12_.has_recursion, 0
	.set _ZN7rocprim17ROCPRIM_400000_NS6detail17trampoline_kernelINS0_13select_configILj256ELj13ELNS0_17block_load_methodE3ELS4_3ELS4_3ELNS0_20block_scan_algorithmE0ELj4294967295EEENS1_25partition_config_selectorILNS1_17partition_subalgoE4EjNS0_10empty_typeEbEEZZNS1_14partition_implILS8_4ELb0ES6_15HIP_vector_typeIjLj2EENS0_17counting_iteratorIjlEEPS9_SG_NS0_5tupleIJPjSI_NS0_16reverse_iteratorISI_EEEEENSH_IJSG_SG_SG_EEES9_SI_JZNS1_25segmented_radix_sort_implINS0_14default_configELb1EPKfPfPKlPlN2at6native12_GLOBAL__N_18offset_tEEE10hipError_tPvRmT1_PNSt15iterator_traitsIS12_E10value_typeET2_T3_PNS13_IS18_E10value_typeET4_jRbjT5_S1E_jjP12ihipStream_tbEUljE_ZNSN_ISO_Lb1ESQ_SR_ST_SU_SY_EESZ_S10_S11_S12_S16_S17_S18_S1B_S1C_jS1D_jS1E_S1E_jjS1G_bEUljE0_EEESZ_S10_S11_S18_S1C_S1E_T6_T7_T9_mT8_S1G_bDpT10_ENKUlT_T0_E_clISt17integral_constantIbLb1EES1U_EEDaS1P_S1Q_EUlS1P_E_NS1_11comp_targetILNS1_3genE10ELNS1_11target_archE1200ELNS1_3gpuE4ELNS1_3repE0EEENS1_30default_config_static_selectorELNS0_4arch9wavefront6targetE0EEEvS12_.has_indirect_call, 0
	.section	.AMDGPU.csdata,"",@progbits
; Kernel info:
; codeLenInByte = 0
; TotalNumSgprs: 0
; NumVgprs: 0
; ScratchSize: 0
; MemoryBound: 0
; FloatMode: 240
; IeeeMode: 1
; LDSByteSize: 0 bytes/workgroup (compile time only)
; SGPRBlocks: 0
; VGPRBlocks: 0
; NumSGPRsForWavesPerEU: 1
; NumVGPRsForWavesPerEU: 1
; NamedBarCnt: 0
; Occupancy: 16
; WaveLimiterHint : 0
; COMPUTE_PGM_RSRC2:SCRATCH_EN: 0
; COMPUTE_PGM_RSRC2:USER_SGPR: 2
; COMPUTE_PGM_RSRC2:TRAP_HANDLER: 0
; COMPUTE_PGM_RSRC2:TGID_X_EN: 1
; COMPUTE_PGM_RSRC2:TGID_Y_EN: 0
; COMPUTE_PGM_RSRC2:TGID_Z_EN: 0
; COMPUTE_PGM_RSRC2:TIDIG_COMP_CNT: 0
	.section	.text._ZN7rocprim17ROCPRIM_400000_NS6detail17trampoline_kernelINS0_13select_configILj256ELj13ELNS0_17block_load_methodE3ELS4_3ELS4_3ELNS0_20block_scan_algorithmE0ELj4294967295EEENS1_25partition_config_selectorILNS1_17partition_subalgoE4EjNS0_10empty_typeEbEEZZNS1_14partition_implILS8_4ELb0ES6_15HIP_vector_typeIjLj2EENS0_17counting_iteratorIjlEEPS9_SG_NS0_5tupleIJPjSI_NS0_16reverse_iteratorISI_EEEEENSH_IJSG_SG_SG_EEES9_SI_JZNS1_25segmented_radix_sort_implINS0_14default_configELb1EPKfPfPKlPlN2at6native12_GLOBAL__N_18offset_tEEE10hipError_tPvRmT1_PNSt15iterator_traitsIS12_E10value_typeET2_T3_PNS13_IS18_E10value_typeET4_jRbjT5_S1E_jjP12ihipStream_tbEUljE_ZNSN_ISO_Lb1ESQ_SR_ST_SU_SY_EESZ_S10_S11_S12_S16_S17_S18_S1B_S1C_jS1D_jS1E_S1E_jjS1G_bEUljE0_EEESZ_S10_S11_S18_S1C_S1E_T6_T7_T9_mT8_S1G_bDpT10_ENKUlT_T0_E_clISt17integral_constantIbLb1EES1U_EEDaS1P_S1Q_EUlS1P_E_NS1_11comp_targetILNS1_3genE9ELNS1_11target_archE1100ELNS1_3gpuE3ELNS1_3repE0EEENS1_30default_config_static_selectorELNS0_4arch9wavefront6targetE0EEEvS12_,"axG",@progbits,_ZN7rocprim17ROCPRIM_400000_NS6detail17trampoline_kernelINS0_13select_configILj256ELj13ELNS0_17block_load_methodE3ELS4_3ELS4_3ELNS0_20block_scan_algorithmE0ELj4294967295EEENS1_25partition_config_selectorILNS1_17partition_subalgoE4EjNS0_10empty_typeEbEEZZNS1_14partition_implILS8_4ELb0ES6_15HIP_vector_typeIjLj2EENS0_17counting_iteratorIjlEEPS9_SG_NS0_5tupleIJPjSI_NS0_16reverse_iteratorISI_EEEEENSH_IJSG_SG_SG_EEES9_SI_JZNS1_25segmented_radix_sort_implINS0_14default_configELb1EPKfPfPKlPlN2at6native12_GLOBAL__N_18offset_tEEE10hipError_tPvRmT1_PNSt15iterator_traitsIS12_E10value_typeET2_T3_PNS13_IS18_E10value_typeET4_jRbjT5_S1E_jjP12ihipStream_tbEUljE_ZNSN_ISO_Lb1ESQ_SR_ST_SU_SY_EESZ_S10_S11_S12_S16_S17_S18_S1B_S1C_jS1D_jS1E_S1E_jjS1G_bEUljE0_EEESZ_S10_S11_S18_S1C_S1E_T6_T7_T9_mT8_S1G_bDpT10_ENKUlT_T0_E_clISt17integral_constantIbLb1EES1U_EEDaS1P_S1Q_EUlS1P_E_NS1_11comp_targetILNS1_3genE9ELNS1_11target_archE1100ELNS1_3gpuE3ELNS1_3repE0EEENS1_30default_config_static_selectorELNS0_4arch9wavefront6targetE0EEEvS12_,comdat
	.globl	_ZN7rocprim17ROCPRIM_400000_NS6detail17trampoline_kernelINS0_13select_configILj256ELj13ELNS0_17block_load_methodE3ELS4_3ELS4_3ELNS0_20block_scan_algorithmE0ELj4294967295EEENS1_25partition_config_selectorILNS1_17partition_subalgoE4EjNS0_10empty_typeEbEEZZNS1_14partition_implILS8_4ELb0ES6_15HIP_vector_typeIjLj2EENS0_17counting_iteratorIjlEEPS9_SG_NS0_5tupleIJPjSI_NS0_16reverse_iteratorISI_EEEEENSH_IJSG_SG_SG_EEES9_SI_JZNS1_25segmented_radix_sort_implINS0_14default_configELb1EPKfPfPKlPlN2at6native12_GLOBAL__N_18offset_tEEE10hipError_tPvRmT1_PNSt15iterator_traitsIS12_E10value_typeET2_T3_PNS13_IS18_E10value_typeET4_jRbjT5_S1E_jjP12ihipStream_tbEUljE_ZNSN_ISO_Lb1ESQ_SR_ST_SU_SY_EESZ_S10_S11_S12_S16_S17_S18_S1B_S1C_jS1D_jS1E_S1E_jjS1G_bEUljE0_EEESZ_S10_S11_S18_S1C_S1E_T6_T7_T9_mT8_S1G_bDpT10_ENKUlT_T0_E_clISt17integral_constantIbLb1EES1U_EEDaS1P_S1Q_EUlS1P_E_NS1_11comp_targetILNS1_3genE9ELNS1_11target_archE1100ELNS1_3gpuE3ELNS1_3repE0EEENS1_30default_config_static_selectorELNS0_4arch9wavefront6targetE0EEEvS12_ ; -- Begin function _ZN7rocprim17ROCPRIM_400000_NS6detail17trampoline_kernelINS0_13select_configILj256ELj13ELNS0_17block_load_methodE3ELS4_3ELS4_3ELNS0_20block_scan_algorithmE0ELj4294967295EEENS1_25partition_config_selectorILNS1_17partition_subalgoE4EjNS0_10empty_typeEbEEZZNS1_14partition_implILS8_4ELb0ES6_15HIP_vector_typeIjLj2EENS0_17counting_iteratorIjlEEPS9_SG_NS0_5tupleIJPjSI_NS0_16reverse_iteratorISI_EEEEENSH_IJSG_SG_SG_EEES9_SI_JZNS1_25segmented_radix_sort_implINS0_14default_configELb1EPKfPfPKlPlN2at6native12_GLOBAL__N_18offset_tEEE10hipError_tPvRmT1_PNSt15iterator_traitsIS12_E10value_typeET2_T3_PNS13_IS18_E10value_typeET4_jRbjT5_S1E_jjP12ihipStream_tbEUljE_ZNSN_ISO_Lb1ESQ_SR_ST_SU_SY_EESZ_S10_S11_S12_S16_S17_S18_S1B_S1C_jS1D_jS1E_S1E_jjS1G_bEUljE0_EEESZ_S10_S11_S18_S1C_S1E_T6_T7_T9_mT8_S1G_bDpT10_ENKUlT_T0_E_clISt17integral_constantIbLb1EES1U_EEDaS1P_S1Q_EUlS1P_E_NS1_11comp_targetILNS1_3genE9ELNS1_11target_archE1100ELNS1_3gpuE3ELNS1_3repE0EEENS1_30default_config_static_selectorELNS0_4arch9wavefront6targetE0EEEvS12_
	.p2align	8
	.type	_ZN7rocprim17ROCPRIM_400000_NS6detail17trampoline_kernelINS0_13select_configILj256ELj13ELNS0_17block_load_methodE3ELS4_3ELS4_3ELNS0_20block_scan_algorithmE0ELj4294967295EEENS1_25partition_config_selectorILNS1_17partition_subalgoE4EjNS0_10empty_typeEbEEZZNS1_14partition_implILS8_4ELb0ES6_15HIP_vector_typeIjLj2EENS0_17counting_iteratorIjlEEPS9_SG_NS0_5tupleIJPjSI_NS0_16reverse_iteratorISI_EEEEENSH_IJSG_SG_SG_EEES9_SI_JZNS1_25segmented_radix_sort_implINS0_14default_configELb1EPKfPfPKlPlN2at6native12_GLOBAL__N_18offset_tEEE10hipError_tPvRmT1_PNSt15iterator_traitsIS12_E10value_typeET2_T3_PNS13_IS18_E10value_typeET4_jRbjT5_S1E_jjP12ihipStream_tbEUljE_ZNSN_ISO_Lb1ESQ_SR_ST_SU_SY_EESZ_S10_S11_S12_S16_S17_S18_S1B_S1C_jS1D_jS1E_S1E_jjS1G_bEUljE0_EEESZ_S10_S11_S18_S1C_S1E_T6_T7_T9_mT8_S1G_bDpT10_ENKUlT_T0_E_clISt17integral_constantIbLb1EES1U_EEDaS1P_S1Q_EUlS1P_E_NS1_11comp_targetILNS1_3genE9ELNS1_11target_archE1100ELNS1_3gpuE3ELNS1_3repE0EEENS1_30default_config_static_selectorELNS0_4arch9wavefront6targetE0EEEvS12_,@function
_ZN7rocprim17ROCPRIM_400000_NS6detail17trampoline_kernelINS0_13select_configILj256ELj13ELNS0_17block_load_methodE3ELS4_3ELS4_3ELNS0_20block_scan_algorithmE0ELj4294967295EEENS1_25partition_config_selectorILNS1_17partition_subalgoE4EjNS0_10empty_typeEbEEZZNS1_14partition_implILS8_4ELb0ES6_15HIP_vector_typeIjLj2EENS0_17counting_iteratorIjlEEPS9_SG_NS0_5tupleIJPjSI_NS0_16reverse_iteratorISI_EEEEENSH_IJSG_SG_SG_EEES9_SI_JZNS1_25segmented_radix_sort_implINS0_14default_configELb1EPKfPfPKlPlN2at6native12_GLOBAL__N_18offset_tEEE10hipError_tPvRmT1_PNSt15iterator_traitsIS12_E10value_typeET2_T3_PNS13_IS18_E10value_typeET4_jRbjT5_S1E_jjP12ihipStream_tbEUljE_ZNSN_ISO_Lb1ESQ_SR_ST_SU_SY_EESZ_S10_S11_S12_S16_S17_S18_S1B_S1C_jS1D_jS1E_S1E_jjS1G_bEUljE0_EEESZ_S10_S11_S18_S1C_S1E_T6_T7_T9_mT8_S1G_bDpT10_ENKUlT_T0_E_clISt17integral_constantIbLb1EES1U_EEDaS1P_S1Q_EUlS1P_E_NS1_11comp_targetILNS1_3genE9ELNS1_11target_archE1100ELNS1_3gpuE3ELNS1_3repE0EEENS1_30default_config_static_selectorELNS0_4arch9wavefront6targetE0EEEvS12_: ; @_ZN7rocprim17ROCPRIM_400000_NS6detail17trampoline_kernelINS0_13select_configILj256ELj13ELNS0_17block_load_methodE3ELS4_3ELS4_3ELNS0_20block_scan_algorithmE0ELj4294967295EEENS1_25partition_config_selectorILNS1_17partition_subalgoE4EjNS0_10empty_typeEbEEZZNS1_14partition_implILS8_4ELb0ES6_15HIP_vector_typeIjLj2EENS0_17counting_iteratorIjlEEPS9_SG_NS0_5tupleIJPjSI_NS0_16reverse_iteratorISI_EEEEENSH_IJSG_SG_SG_EEES9_SI_JZNS1_25segmented_radix_sort_implINS0_14default_configELb1EPKfPfPKlPlN2at6native12_GLOBAL__N_18offset_tEEE10hipError_tPvRmT1_PNSt15iterator_traitsIS12_E10value_typeET2_T3_PNS13_IS18_E10value_typeET4_jRbjT5_S1E_jjP12ihipStream_tbEUljE_ZNSN_ISO_Lb1ESQ_SR_ST_SU_SY_EESZ_S10_S11_S12_S16_S17_S18_S1B_S1C_jS1D_jS1E_S1E_jjS1G_bEUljE0_EEESZ_S10_S11_S18_S1C_S1E_T6_T7_T9_mT8_S1G_bDpT10_ENKUlT_T0_E_clISt17integral_constantIbLb1EES1U_EEDaS1P_S1Q_EUlS1P_E_NS1_11comp_targetILNS1_3genE9ELNS1_11target_archE1100ELNS1_3gpuE3ELNS1_3repE0EEENS1_30default_config_static_selectorELNS0_4arch9wavefront6targetE0EEEvS12_
; %bb.0:
	.section	.rodata,"a",@progbits
	.p2align	6, 0x0
	.amdhsa_kernel _ZN7rocprim17ROCPRIM_400000_NS6detail17trampoline_kernelINS0_13select_configILj256ELj13ELNS0_17block_load_methodE3ELS4_3ELS4_3ELNS0_20block_scan_algorithmE0ELj4294967295EEENS1_25partition_config_selectorILNS1_17partition_subalgoE4EjNS0_10empty_typeEbEEZZNS1_14partition_implILS8_4ELb0ES6_15HIP_vector_typeIjLj2EENS0_17counting_iteratorIjlEEPS9_SG_NS0_5tupleIJPjSI_NS0_16reverse_iteratorISI_EEEEENSH_IJSG_SG_SG_EEES9_SI_JZNS1_25segmented_radix_sort_implINS0_14default_configELb1EPKfPfPKlPlN2at6native12_GLOBAL__N_18offset_tEEE10hipError_tPvRmT1_PNSt15iterator_traitsIS12_E10value_typeET2_T3_PNS13_IS18_E10value_typeET4_jRbjT5_S1E_jjP12ihipStream_tbEUljE_ZNSN_ISO_Lb1ESQ_SR_ST_SU_SY_EESZ_S10_S11_S12_S16_S17_S18_S1B_S1C_jS1D_jS1E_S1E_jjS1G_bEUljE0_EEESZ_S10_S11_S18_S1C_S1E_T6_T7_T9_mT8_S1G_bDpT10_ENKUlT_T0_E_clISt17integral_constantIbLb1EES1U_EEDaS1P_S1Q_EUlS1P_E_NS1_11comp_targetILNS1_3genE9ELNS1_11target_archE1100ELNS1_3gpuE3ELNS1_3repE0EEENS1_30default_config_static_selectorELNS0_4arch9wavefront6targetE0EEEvS12_
		.amdhsa_group_segment_fixed_size 0
		.amdhsa_private_segment_fixed_size 0
		.amdhsa_kernarg_size 184
		.amdhsa_user_sgpr_count 2
		.amdhsa_user_sgpr_dispatch_ptr 0
		.amdhsa_user_sgpr_queue_ptr 0
		.amdhsa_user_sgpr_kernarg_segment_ptr 1
		.amdhsa_user_sgpr_dispatch_id 0
		.amdhsa_user_sgpr_kernarg_preload_length 0
		.amdhsa_user_sgpr_kernarg_preload_offset 0
		.amdhsa_user_sgpr_private_segment_size 0
		.amdhsa_wavefront_size32 1
		.amdhsa_uses_dynamic_stack 0
		.amdhsa_enable_private_segment 0
		.amdhsa_system_sgpr_workgroup_id_x 1
		.amdhsa_system_sgpr_workgroup_id_y 0
		.amdhsa_system_sgpr_workgroup_id_z 0
		.amdhsa_system_sgpr_workgroup_info 0
		.amdhsa_system_vgpr_workitem_id 0
		.amdhsa_next_free_vgpr 1
		.amdhsa_next_free_sgpr 1
		.amdhsa_named_barrier_count 0
		.amdhsa_reserve_vcc 0
		.amdhsa_float_round_mode_32 0
		.amdhsa_float_round_mode_16_64 0
		.amdhsa_float_denorm_mode_32 3
		.amdhsa_float_denorm_mode_16_64 3
		.amdhsa_fp16_overflow 0
		.amdhsa_memory_ordered 1
		.amdhsa_forward_progress 1
		.amdhsa_inst_pref_size 0
		.amdhsa_round_robin_scheduling 0
		.amdhsa_exception_fp_ieee_invalid_op 0
		.amdhsa_exception_fp_denorm_src 0
		.amdhsa_exception_fp_ieee_div_zero 0
		.amdhsa_exception_fp_ieee_overflow 0
		.amdhsa_exception_fp_ieee_underflow 0
		.amdhsa_exception_fp_ieee_inexact 0
		.amdhsa_exception_int_div_zero 0
	.end_amdhsa_kernel
	.section	.text._ZN7rocprim17ROCPRIM_400000_NS6detail17trampoline_kernelINS0_13select_configILj256ELj13ELNS0_17block_load_methodE3ELS4_3ELS4_3ELNS0_20block_scan_algorithmE0ELj4294967295EEENS1_25partition_config_selectorILNS1_17partition_subalgoE4EjNS0_10empty_typeEbEEZZNS1_14partition_implILS8_4ELb0ES6_15HIP_vector_typeIjLj2EENS0_17counting_iteratorIjlEEPS9_SG_NS0_5tupleIJPjSI_NS0_16reverse_iteratorISI_EEEEENSH_IJSG_SG_SG_EEES9_SI_JZNS1_25segmented_radix_sort_implINS0_14default_configELb1EPKfPfPKlPlN2at6native12_GLOBAL__N_18offset_tEEE10hipError_tPvRmT1_PNSt15iterator_traitsIS12_E10value_typeET2_T3_PNS13_IS18_E10value_typeET4_jRbjT5_S1E_jjP12ihipStream_tbEUljE_ZNSN_ISO_Lb1ESQ_SR_ST_SU_SY_EESZ_S10_S11_S12_S16_S17_S18_S1B_S1C_jS1D_jS1E_S1E_jjS1G_bEUljE0_EEESZ_S10_S11_S18_S1C_S1E_T6_T7_T9_mT8_S1G_bDpT10_ENKUlT_T0_E_clISt17integral_constantIbLb1EES1U_EEDaS1P_S1Q_EUlS1P_E_NS1_11comp_targetILNS1_3genE9ELNS1_11target_archE1100ELNS1_3gpuE3ELNS1_3repE0EEENS1_30default_config_static_selectorELNS0_4arch9wavefront6targetE0EEEvS12_,"axG",@progbits,_ZN7rocprim17ROCPRIM_400000_NS6detail17trampoline_kernelINS0_13select_configILj256ELj13ELNS0_17block_load_methodE3ELS4_3ELS4_3ELNS0_20block_scan_algorithmE0ELj4294967295EEENS1_25partition_config_selectorILNS1_17partition_subalgoE4EjNS0_10empty_typeEbEEZZNS1_14partition_implILS8_4ELb0ES6_15HIP_vector_typeIjLj2EENS0_17counting_iteratorIjlEEPS9_SG_NS0_5tupleIJPjSI_NS0_16reverse_iteratorISI_EEEEENSH_IJSG_SG_SG_EEES9_SI_JZNS1_25segmented_radix_sort_implINS0_14default_configELb1EPKfPfPKlPlN2at6native12_GLOBAL__N_18offset_tEEE10hipError_tPvRmT1_PNSt15iterator_traitsIS12_E10value_typeET2_T3_PNS13_IS18_E10value_typeET4_jRbjT5_S1E_jjP12ihipStream_tbEUljE_ZNSN_ISO_Lb1ESQ_SR_ST_SU_SY_EESZ_S10_S11_S12_S16_S17_S18_S1B_S1C_jS1D_jS1E_S1E_jjS1G_bEUljE0_EEESZ_S10_S11_S18_S1C_S1E_T6_T7_T9_mT8_S1G_bDpT10_ENKUlT_T0_E_clISt17integral_constantIbLb1EES1U_EEDaS1P_S1Q_EUlS1P_E_NS1_11comp_targetILNS1_3genE9ELNS1_11target_archE1100ELNS1_3gpuE3ELNS1_3repE0EEENS1_30default_config_static_selectorELNS0_4arch9wavefront6targetE0EEEvS12_,comdat
.Lfunc_end1269:
	.size	_ZN7rocprim17ROCPRIM_400000_NS6detail17trampoline_kernelINS0_13select_configILj256ELj13ELNS0_17block_load_methodE3ELS4_3ELS4_3ELNS0_20block_scan_algorithmE0ELj4294967295EEENS1_25partition_config_selectorILNS1_17partition_subalgoE4EjNS0_10empty_typeEbEEZZNS1_14partition_implILS8_4ELb0ES6_15HIP_vector_typeIjLj2EENS0_17counting_iteratorIjlEEPS9_SG_NS0_5tupleIJPjSI_NS0_16reverse_iteratorISI_EEEEENSH_IJSG_SG_SG_EEES9_SI_JZNS1_25segmented_radix_sort_implINS0_14default_configELb1EPKfPfPKlPlN2at6native12_GLOBAL__N_18offset_tEEE10hipError_tPvRmT1_PNSt15iterator_traitsIS12_E10value_typeET2_T3_PNS13_IS18_E10value_typeET4_jRbjT5_S1E_jjP12ihipStream_tbEUljE_ZNSN_ISO_Lb1ESQ_SR_ST_SU_SY_EESZ_S10_S11_S12_S16_S17_S18_S1B_S1C_jS1D_jS1E_S1E_jjS1G_bEUljE0_EEESZ_S10_S11_S18_S1C_S1E_T6_T7_T9_mT8_S1G_bDpT10_ENKUlT_T0_E_clISt17integral_constantIbLb1EES1U_EEDaS1P_S1Q_EUlS1P_E_NS1_11comp_targetILNS1_3genE9ELNS1_11target_archE1100ELNS1_3gpuE3ELNS1_3repE0EEENS1_30default_config_static_selectorELNS0_4arch9wavefront6targetE0EEEvS12_, .Lfunc_end1269-_ZN7rocprim17ROCPRIM_400000_NS6detail17trampoline_kernelINS0_13select_configILj256ELj13ELNS0_17block_load_methodE3ELS4_3ELS4_3ELNS0_20block_scan_algorithmE0ELj4294967295EEENS1_25partition_config_selectorILNS1_17partition_subalgoE4EjNS0_10empty_typeEbEEZZNS1_14partition_implILS8_4ELb0ES6_15HIP_vector_typeIjLj2EENS0_17counting_iteratorIjlEEPS9_SG_NS0_5tupleIJPjSI_NS0_16reverse_iteratorISI_EEEEENSH_IJSG_SG_SG_EEES9_SI_JZNS1_25segmented_radix_sort_implINS0_14default_configELb1EPKfPfPKlPlN2at6native12_GLOBAL__N_18offset_tEEE10hipError_tPvRmT1_PNSt15iterator_traitsIS12_E10value_typeET2_T3_PNS13_IS18_E10value_typeET4_jRbjT5_S1E_jjP12ihipStream_tbEUljE_ZNSN_ISO_Lb1ESQ_SR_ST_SU_SY_EESZ_S10_S11_S12_S16_S17_S18_S1B_S1C_jS1D_jS1E_S1E_jjS1G_bEUljE0_EEESZ_S10_S11_S18_S1C_S1E_T6_T7_T9_mT8_S1G_bDpT10_ENKUlT_T0_E_clISt17integral_constantIbLb1EES1U_EEDaS1P_S1Q_EUlS1P_E_NS1_11comp_targetILNS1_3genE9ELNS1_11target_archE1100ELNS1_3gpuE3ELNS1_3repE0EEENS1_30default_config_static_selectorELNS0_4arch9wavefront6targetE0EEEvS12_
                                        ; -- End function
	.set _ZN7rocprim17ROCPRIM_400000_NS6detail17trampoline_kernelINS0_13select_configILj256ELj13ELNS0_17block_load_methodE3ELS4_3ELS4_3ELNS0_20block_scan_algorithmE0ELj4294967295EEENS1_25partition_config_selectorILNS1_17partition_subalgoE4EjNS0_10empty_typeEbEEZZNS1_14partition_implILS8_4ELb0ES6_15HIP_vector_typeIjLj2EENS0_17counting_iteratorIjlEEPS9_SG_NS0_5tupleIJPjSI_NS0_16reverse_iteratorISI_EEEEENSH_IJSG_SG_SG_EEES9_SI_JZNS1_25segmented_radix_sort_implINS0_14default_configELb1EPKfPfPKlPlN2at6native12_GLOBAL__N_18offset_tEEE10hipError_tPvRmT1_PNSt15iterator_traitsIS12_E10value_typeET2_T3_PNS13_IS18_E10value_typeET4_jRbjT5_S1E_jjP12ihipStream_tbEUljE_ZNSN_ISO_Lb1ESQ_SR_ST_SU_SY_EESZ_S10_S11_S12_S16_S17_S18_S1B_S1C_jS1D_jS1E_S1E_jjS1G_bEUljE0_EEESZ_S10_S11_S18_S1C_S1E_T6_T7_T9_mT8_S1G_bDpT10_ENKUlT_T0_E_clISt17integral_constantIbLb1EES1U_EEDaS1P_S1Q_EUlS1P_E_NS1_11comp_targetILNS1_3genE9ELNS1_11target_archE1100ELNS1_3gpuE3ELNS1_3repE0EEENS1_30default_config_static_selectorELNS0_4arch9wavefront6targetE0EEEvS12_.num_vgpr, 0
	.set _ZN7rocprim17ROCPRIM_400000_NS6detail17trampoline_kernelINS0_13select_configILj256ELj13ELNS0_17block_load_methodE3ELS4_3ELS4_3ELNS0_20block_scan_algorithmE0ELj4294967295EEENS1_25partition_config_selectorILNS1_17partition_subalgoE4EjNS0_10empty_typeEbEEZZNS1_14partition_implILS8_4ELb0ES6_15HIP_vector_typeIjLj2EENS0_17counting_iteratorIjlEEPS9_SG_NS0_5tupleIJPjSI_NS0_16reverse_iteratorISI_EEEEENSH_IJSG_SG_SG_EEES9_SI_JZNS1_25segmented_radix_sort_implINS0_14default_configELb1EPKfPfPKlPlN2at6native12_GLOBAL__N_18offset_tEEE10hipError_tPvRmT1_PNSt15iterator_traitsIS12_E10value_typeET2_T3_PNS13_IS18_E10value_typeET4_jRbjT5_S1E_jjP12ihipStream_tbEUljE_ZNSN_ISO_Lb1ESQ_SR_ST_SU_SY_EESZ_S10_S11_S12_S16_S17_S18_S1B_S1C_jS1D_jS1E_S1E_jjS1G_bEUljE0_EEESZ_S10_S11_S18_S1C_S1E_T6_T7_T9_mT8_S1G_bDpT10_ENKUlT_T0_E_clISt17integral_constantIbLb1EES1U_EEDaS1P_S1Q_EUlS1P_E_NS1_11comp_targetILNS1_3genE9ELNS1_11target_archE1100ELNS1_3gpuE3ELNS1_3repE0EEENS1_30default_config_static_selectorELNS0_4arch9wavefront6targetE0EEEvS12_.num_agpr, 0
	.set _ZN7rocprim17ROCPRIM_400000_NS6detail17trampoline_kernelINS0_13select_configILj256ELj13ELNS0_17block_load_methodE3ELS4_3ELS4_3ELNS0_20block_scan_algorithmE0ELj4294967295EEENS1_25partition_config_selectorILNS1_17partition_subalgoE4EjNS0_10empty_typeEbEEZZNS1_14partition_implILS8_4ELb0ES6_15HIP_vector_typeIjLj2EENS0_17counting_iteratorIjlEEPS9_SG_NS0_5tupleIJPjSI_NS0_16reverse_iteratorISI_EEEEENSH_IJSG_SG_SG_EEES9_SI_JZNS1_25segmented_radix_sort_implINS0_14default_configELb1EPKfPfPKlPlN2at6native12_GLOBAL__N_18offset_tEEE10hipError_tPvRmT1_PNSt15iterator_traitsIS12_E10value_typeET2_T3_PNS13_IS18_E10value_typeET4_jRbjT5_S1E_jjP12ihipStream_tbEUljE_ZNSN_ISO_Lb1ESQ_SR_ST_SU_SY_EESZ_S10_S11_S12_S16_S17_S18_S1B_S1C_jS1D_jS1E_S1E_jjS1G_bEUljE0_EEESZ_S10_S11_S18_S1C_S1E_T6_T7_T9_mT8_S1G_bDpT10_ENKUlT_T0_E_clISt17integral_constantIbLb1EES1U_EEDaS1P_S1Q_EUlS1P_E_NS1_11comp_targetILNS1_3genE9ELNS1_11target_archE1100ELNS1_3gpuE3ELNS1_3repE0EEENS1_30default_config_static_selectorELNS0_4arch9wavefront6targetE0EEEvS12_.numbered_sgpr, 0
	.set _ZN7rocprim17ROCPRIM_400000_NS6detail17trampoline_kernelINS0_13select_configILj256ELj13ELNS0_17block_load_methodE3ELS4_3ELS4_3ELNS0_20block_scan_algorithmE0ELj4294967295EEENS1_25partition_config_selectorILNS1_17partition_subalgoE4EjNS0_10empty_typeEbEEZZNS1_14partition_implILS8_4ELb0ES6_15HIP_vector_typeIjLj2EENS0_17counting_iteratorIjlEEPS9_SG_NS0_5tupleIJPjSI_NS0_16reverse_iteratorISI_EEEEENSH_IJSG_SG_SG_EEES9_SI_JZNS1_25segmented_radix_sort_implINS0_14default_configELb1EPKfPfPKlPlN2at6native12_GLOBAL__N_18offset_tEEE10hipError_tPvRmT1_PNSt15iterator_traitsIS12_E10value_typeET2_T3_PNS13_IS18_E10value_typeET4_jRbjT5_S1E_jjP12ihipStream_tbEUljE_ZNSN_ISO_Lb1ESQ_SR_ST_SU_SY_EESZ_S10_S11_S12_S16_S17_S18_S1B_S1C_jS1D_jS1E_S1E_jjS1G_bEUljE0_EEESZ_S10_S11_S18_S1C_S1E_T6_T7_T9_mT8_S1G_bDpT10_ENKUlT_T0_E_clISt17integral_constantIbLb1EES1U_EEDaS1P_S1Q_EUlS1P_E_NS1_11comp_targetILNS1_3genE9ELNS1_11target_archE1100ELNS1_3gpuE3ELNS1_3repE0EEENS1_30default_config_static_selectorELNS0_4arch9wavefront6targetE0EEEvS12_.num_named_barrier, 0
	.set _ZN7rocprim17ROCPRIM_400000_NS6detail17trampoline_kernelINS0_13select_configILj256ELj13ELNS0_17block_load_methodE3ELS4_3ELS4_3ELNS0_20block_scan_algorithmE0ELj4294967295EEENS1_25partition_config_selectorILNS1_17partition_subalgoE4EjNS0_10empty_typeEbEEZZNS1_14partition_implILS8_4ELb0ES6_15HIP_vector_typeIjLj2EENS0_17counting_iteratorIjlEEPS9_SG_NS0_5tupleIJPjSI_NS0_16reverse_iteratorISI_EEEEENSH_IJSG_SG_SG_EEES9_SI_JZNS1_25segmented_radix_sort_implINS0_14default_configELb1EPKfPfPKlPlN2at6native12_GLOBAL__N_18offset_tEEE10hipError_tPvRmT1_PNSt15iterator_traitsIS12_E10value_typeET2_T3_PNS13_IS18_E10value_typeET4_jRbjT5_S1E_jjP12ihipStream_tbEUljE_ZNSN_ISO_Lb1ESQ_SR_ST_SU_SY_EESZ_S10_S11_S12_S16_S17_S18_S1B_S1C_jS1D_jS1E_S1E_jjS1G_bEUljE0_EEESZ_S10_S11_S18_S1C_S1E_T6_T7_T9_mT8_S1G_bDpT10_ENKUlT_T0_E_clISt17integral_constantIbLb1EES1U_EEDaS1P_S1Q_EUlS1P_E_NS1_11comp_targetILNS1_3genE9ELNS1_11target_archE1100ELNS1_3gpuE3ELNS1_3repE0EEENS1_30default_config_static_selectorELNS0_4arch9wavefront6targetE0EEEvS12_.private_seg_size, 0
	.set _ZN7rocprim17ROCPRIM_400000_NS6detail17trampoline_kernelINS0_13select_configILj256ELj13ELNS0_17block_load_methodE3ELS4_3ELS4_3ELNS0_20block_scan_algorithmE0ELj4294967295EEENS1_25partition_config_selectorILNS1_17partition_subalgoE4EjNS0_10empty_typeEbEEZZNS1_14partition_implILS8_4ELb0ES6_15HIP_vector_typeIjLj2EENS0_17counting_iteratorIjlEEPS9_SG_NS0_5tupleIJPjSI_NS0_16reverse_iteratorISI_EEEEENSH_IJSG_SG_SG_EEES9_SI_JZNS1_25segmented_radix_sort_implINS0_14default_configELb1EPKfPfPKlPlN2at6native12_GLOBAL__N_18offset_tEEE10hipError_tPvRmT1_PNSt15iterator_traitsIS12_E10value_typeET2_T3_PNS13_IS18_E10value_typeET4_jRbjT5_S1E_jjP12ihipStream_tbEUljE_ZNSN_ISO_Lb1ESQ_SR_ST_SU_SY_EESZ_S10_S11_S12_S16_S17_S18_S1B_S1C_jS1D_jS1E_S1E_jjS1G_bEUljE0_EEESZ_S10_S11_S18_S1C_S1E_T6_T7_T9_mT8_S1G_bDpT10_ENKUlT_T0_E_clISt17integral_constantIbLb1EES1U_EEDaS1P_S1Q_EUlS1P_E_NS1_11comp_targetILNS1_3genE9ELNS1_11target_archE1100ELNS1_3gpuE3ELNS1_3repE0EEENS1_30default_config_static_selectorELNS0_4arch9wavefront6targetE0EEEvS12_.uses_vcc, 0
	.set _ZN7rocprim17ROCPRIM_400000_NS6detail17trampoline_kernelINS0_13select_configILj256ELj13ELNS0_17block_load_methodE3ELS4_3ELS4_3ELNS0_20block_scan_algorithmE0ELj4294967295EEENS1_25partition_config_selectorILNS1_17partition_subalgoE4EjNS0_10empty_typeEbEEZZNS1_14partition_implILS8_4ELb0ES6_15HIP_vector_typeIjLj2EENS0_17counting_iteratorIjlEEPS9_SG_NS0_5tupleIJPjSI_NS0_16reverse_iteratorISI_EEEEENSH_IJSG_SG_SG_EEES9_SI_JZNS1_25segmented_radix_sort_implINS0_14default_configELb1EPKfPfPKlPlN2at6native12_GLOBAL__N_18offset_tEEE10hipError_tPvRmT1_PNSt15iterator_traitsIS12_E10value_typeET2_T3_PNS13_IS18_E10value_typeET4_jRbjT5_S1E_jjP12ihipStream_tbEUljE_ZNSN_ISO_Lb1ESQ_SR_ST_SU_SY_EESZ_S10_S11_S12_S16_S17_S18_S1B_S1C_jS1D_jS1E_S1E_jjS1G_bEUljE0_EEESZ_S10_S11_S18_S1C_S1E_T6_T7_T9_mT8_S1G_bDpT10_ENKUlT_T0_E_clISt17integral_constantIbLb1EES1U_EEDaS1P_S1Q_EUlS1P_E_NS1_11comp_targetILNS1_3genE9ELNS1_11target_archE1100ELNS1_3gpuE3ELNS1_3repE0EEENS1_30default_config_static_selectorELNS0_4arch9wavefront6targetE0EEEvS12_.uses_flat_scratch, 0
	.set _ZN7rocprim17ROCPRIM_400000_NS6detail17trampoline_kernelINS0_13select_configILj256ELj13ELNS0_17block_load_methodE3ELS4_3ELS4_3ELNS0_20block_scan_algorithmE0ELj4294967295EEENS1_25partition_config_selectorILNS1_17partition_subalgoE4EjNS0_10empty_typeEbEEZZNS1_14partition_implILS8_4ELb0ES6_15HIP_vector_typeIjLj2EENS0_17counting_iteratorIjlEEPS9_SG_NS0_5tupleIJPjSI_NS0_16reverse_iteratorISI_EEEEENSH_IJSG_SG_SG_EEES9_SI_JZNS1_25segmented_radix_sort_implINS0_14default_configELb1EPKfPfPKlPlN2at6native12_GLOBAL__N_18offset_tEEE10hipError_tPvRmT1_PNSt15iterator_traitsIS12_E10value_typeET2_T3_PNS13_IS18_E10value_typeET4_jRbjT5_S1E_jjP12ihipStream_tbEUljE_ZNSN_ISO_Lb1ESQ_SR_ST_SU_SY_EESZ_S10_S11_S12_S16_S17_S18_S1B_S1C_jS1D_jS1E_S1E_jjS1G_bEUljE0_EEESZ_S10_S11_S18_S1C_S1E_T6_T7_T9_mT8_S1G_bDpT10_ENKUlT_T0_E_clISt17integral_constantIbLb1EES1U_EEDaS1P_S1Q_EUlS1P_E_NS1_11comp_targetILNS1_3genE9ELNS1_11target_archE1100ELNS1_3gpuE3ELNS1_3repE0EEENS1_30default_config_static_selectorELNS0_4arch9wavefront6targetE0EEEvS12_.has_dyn_sized_stack, 0
	.set _ZN7rocprim17ROCPRIM_400000_NS6detail17trampoline_kernelINS0_13select_configILj256ELj13ELNS0_17block_load_methodE3ELS4_3ELS4_3ELNS0_20block_scan_algorithmE0ELj4294967295EEENS1_25partition_config_selectorILNS1_17partition_subalgoE4EjNS0_10empty_typeEbEEZZNS1_14partition_implILS8_4ELb0ES6_15HIP_vector_typeIjLj2EENS0_17counting_iteratorIjlEEPS9_SG_NS0_5tupleIJPjSI_NS0_16reverse_iteratorISI_EEEEENSH_IJSG_SG_SG_EEES9_SI_JZNS1_25segmented_radix_sort_implINS0_14default_configELb1EPKfPfPKlPlN2at6native12_GLOBAL__N_18offset_tEEE10hipError_tPvRmT1_PNSt15iterator_traitsIS12_E10value_typeET2_T3_PNS13_IS18_E10value_typeET4_jRbjT5_S1E_jjP12ihipStream_tbEUljE_ZNSN_ISO_Lb1ESQ_SR_ST_SU_SY_EESZ_S10_S11_S12_S16_S17_S18_S1B_S1C_jS1D_jS1E_S1E_jjS1G_bEUljE0_EEESZ_S10_S11_S18_S1C_S1E_T6_T7_T9_mT8_S1G_bDpT10_ENKUlT_T0_E_clISt17integral_constantIbLb1EES1U_EEDaS1P_S1Q_EUlS1P_E_NS1_11comp_targetILNS1_3genE9ELNS1_11target_archE1100ELNS1_3gpuE3ELNS1_3repE0EEENS1_30default_config_static_selectorELNS0_4arch9wavefront6targetE0EEEvS12_.has_recursion, 0
	.set _ZN7rocprim17ROCPRIM_400000_NS6detail17trampoline_kernelINS0_13select_configILj256ELj13ELNS0_17block_load_methodE3ELS4_3ELS4_3ELNS0_20block_scan_algorithmE0ELj4294967295EEENS1_25partition_config_selectorILNS1_17partition_subalgoE4EjNS0_10empty_typeEbEEZZNS1_14partition_implILS8_4ELb0ES6_15HIP_vector_typeIjLj2EENS0_17counting_iteratorIjlEEPS9_SG_NS0_5tupleIJPjSI_NS0_16reverse_iteratorISI_EEEEENSH_IJSG_SG_SG_EEES9_SI_JZNS1_25segmented_radix_sort_implINS0_14default_configELb1EPKfPfPKlPlN2at6native12_GLOBAL__N_18offset_tEEE10hipError_tPvRmT1_PNSt15iterator_traitsIS12_E10value_typeET2_T3_PNS13_IS18_E10value_typeET4_jRbjT5_S1E_jjP12ihipStream_tbEUljE_ZNSN_ISO_Lb1ESQ_SR_ST_SU_SY_EESZ_S10_S11_S12_S16_S17_S18_S1B_S1C_jS1D_jS1E_S1E_jjS1G_bEUljE0_EEESZ_S10_S11_S18_S1C_S1E_T6_T7_T9_mT8_S1G_bDpT10_ENKUlT_T0_E_clISt17integral_constantIbLb1EES1U_EEDaS1P_S1Q_EUlS1P_E_NS1_11comp_targetILNS1_3genE9ELNS1_11target_archE1100ELNS1_3gpuE3ELNS1_3repE0EEENS1_30default_config_static_selectorELNS0_4arch9wavefront6targetE0EEEvS12_.has_indirect_call, 0
	.section	.AMDGPU.csdata,"",@progbits
; Kernel info:
; codeLenInByte = 0
; TotalNumSgprs: 0
; NumVgprs: 0
; ScratchSize: 0
; MemoryBound: 0
; FloatMode: 240
; IeeeMode: 1
; LDSByteSize: 0 bytes/workgroup (compile time only)
; SGPRBlocks: 0
; VGPRBlocks: 0
; NumSGPRsForWavesPerEU: 1
; NumVGPRsForWavesPerEU: 1
; NamedBarCnt: 0
; Occupancy: 16
; WaveLimiterHint : 0
; COMPUTE_PGM_RSRC2:SCRATCH_EN: 0
; COMPUTE_PGM_RSRC2:USER_SGPR: 2
; COMPUTE_PGM_RSRC2:TRAP_HANDLER: 0
; COMPUTE_PGM_RSRC2:TGID_X_EN: 1
; COMPUTE_PGM_RSRC2:TGID_Y_EN: 0
; COMPUTE_PGM_RSRC2:TGID_Z_EN: 0
; COMPUTE_PGM_RSRC2:TIDIG_COMP_CNT: 0
	.section	.text._ZN7rocprim17ROCPRIM_400000_NS6detail17trampoline_kernelINS0_13select_configILj256ELj13ELNS0_17block_load_methodE3ELS4_3ELS4_3ELNS0_20block_scan_algorithmE0ELj4294967295EEENS1_25partition_config_selectorILNS1_17partition_subalgoE4EjNS0_10empty_typeEbEEZZNS1_14partition_implILS8_4ELb0ES6_15HIP_vector_typeIjLj2EENS0_17counting_iteratorIjlEEPS9_SG_NS0_5tupleIJPjSI_NS0_16reverse_iteratorISI_EEEEENSH_IJSG_SG_SG_EEES9_SI_JZNS1_25segmented_radix_sort_implINS0_14default_configELb1EPKfPfPKlPlN2at6native12_GLOBAL__N_18offset_tEEE10hipError_tPvRmT1_PNSt15iterator_traitsIS12_E10value_typeET2_T3_PNS13_IS18_E10value_typeET4_jRbjT5_S1E_jjP12ihipStream_tbEUljE_ZNSN_ISO_Lb1ESQ_SR_ST_SU_SY_EESZ_S10_S11_S12_S16_S17_S18_S1B_S1C_jS1D_jS1E_S1E_jjS1G_bEUljE0_EEESZ_S10_S11_S18_S1C_S1E_T6_T7_T9_mT8_S1G_bDpT10_ENKUlT_T0_E_clISt17integral_constantIbLb1EES1U_EEDaS1P_S1Q_EUlS1P_E_NS1_11comp_targetILNS1_3genE8ELNS1_11target_archE1030ELNS1_3gpuE2ELNS1_3repE0EEENS1_30default_config_static_selectorELNS0_4arch9wavefront6targetE0EEEvS12_,"axG",@progbits,_ZN7rocprim17ROCPRIM_400000_NS6detail17trampoline_kernelINS0_13select_configILj256ELj13ELNS0_17block_load_methodE3ELS4_3ELS4_3ELNS0_20block_scan_algorithmE0ELj4294967295EEENS1_25partition_config_selectorILNS1_17partition_subalgoE4EjNS0_10empty_typeEbEEZZNS1_14partition_implILS8_4ELb0ES6_15HIP_vector_typeIjLj2EENS0_17counting_iteratorIjlEEPS9_SG_NS0_5tupleIJPjSI_NS0_16reverse_iteratorISI_EEEEENSH_IJSG_SG_SG_EEES9_SI_JZNS1_25segmented_radix_sort_implINS0_14default_configELb1EPKfPfPKlPlN2at6native12_GLOBAL__N_18offset_tEEE10hipError_tPvRmT1_PNSt15iterator_traitsIS12_E10value_typeET2_T3_PNS13_IS18_E10value_typeET4_jRbjT5_S1E_jjP12ihipStream_tbEUljE_ZNSN_ISO_Lb1ESQ_SR_ST_SU_SY_EESZ_S10_S11_S12_S16_S17_S18_S1B_S1C_jS1D_jS1E_S1E_jjS1G_bEUljE0_EEESZ_S10_S11_S18_S1C_S1E_T6_T7_T9_mT8_S1G_bDpT10_ENKUlT_T0_E_clISt17integral_constantIbLb1EES1U_EEDaS1P_S1Q_EUlS1P_E_NS1_11comp_targetILNS1_3genE8ELNS1_11target_archE1030ELNS1_3gpuE2ELNS1_3repE0EEENS1_30default_config_static_selectorELNS0_4arch9wavefront6targetE0EEEvS12_,comdat
	.globl	_ZN7rocprim17ROCPRIM_400000_NS6detail17trampoline_kernelINS0_13select_configILj256ELj13ELNS0_17block_load_methodE3ELS4_3ELS4_3ELNS0_20block_scan_algorithmE0ELj4294967295EEENS1_25partition_config_selectorILNS1_17partition_subalgoE4EjNS0_10empty_typeEbEEZZNS1_14partition_implILS8_4ELb0ES6_15HIP_vector_typeIjLj2EENS0_17counting_iteratorIjlEEPS9_SG_NS0_5tupleIJPjSI_NS0_16reverse_iteratorISI_EEEEENSH_IJSG_SG_SG_EEES9_SI_JZNS1_25segmented_radix_sort_implINS0_14default_configELb1EPKfPfPKlPlN2at6native12_GLOBAL__N_18offset_tEEE10hipError_tPvRmT1_PNSt15iterator_traitsIS12_E10value_typeET2_T3_PNS13_IS18_E10value_typeET4_jRbjT5_S1E_jjP12ihipStream_tbEUljE_ZNSN_ISO_Lb1ESQ_SR_ST_SU_SY_EESZ_S10_S11_S12_S16_S17_S18_S1B_S1C_jS1D_jS1E_S1E_jjS1G_bEUljE0_EEESZ_S10_S11_S18_S1C_S1E_T6_T7_T9_mT8_S1G_bDpT10_ENKUlT_T0_E_clISt17integral_constantIbLb1EES1U_EEDaS1P_S1Q_EUlS1P_E_NS1_11comp_targetILNS1_3genE8ELNS1_11target_archE1030ELNS1_3gpuE2ELNS1_3repE0EEENS1_30default_config_static_selectorELNS0_4arch9wavefront6targetE0EEEvS12_ ; -- Begin function _ZN7rocprim17ROCPRIM_400000_NS6detail17trampoline_kernelINS0_13select_configILj256ELj13ELNS0_17block_load_methodE3ELS4_3ELS4_3ELNS0_20block_scan_algorithmE0ELj4294967295EEENS1_25partition_config_selectorILNS1_17partition_subalgoE4EjNS0_10empty_typeEbEEZZNS1_14partition_implILS8_4ELb0ES6_15HIP_vector_typeIjLj2EENS0_17counting_iteratorIjlEEPS9_SG_NS0_5tupleIJPjSI_NS0_16reverse_iteratorISI_EEEEENSH_IJSG_SG_SG_EEES9_SI_JZNS1_25segmented_radix_sort_implINS0_14default_configELb1EPKfPfPKlPlN2at6native12_GLOBAL__N_18offset_tEEE10hipError_tPvRmT1_PNSt15iterator_traitsIS12_E10value_typeET2_T3_PNS13_IS18_E10value_typeET4_jRbjT5_S1E_jjP12ihipStream_tbEUljE_ZNSN_ISO_Lb1ESQ_SR_ST_SU_SY_EESZ_S10_S11_S12_S16_S17_S18_S1B_S1C_jS1D_jS1E_S1E_jjS1G_bEUljE0_EEESZ_S10_S11_S18_S1C_S1E_T6_T7_T9_mT8_S1G_bDpT10_ENKUlT_T0_E_clISt17integral_constantIbLb1EES1U_EEDaS1P_S1Q_EUlS1P_E_NS1_11comp_targetILNS1_3genE8ELNS1_11target_archE1030ELNS1_3gpuE2ELNS1_3repE0EEENS1_30default_config_static_selectorELNS0_4arch9wavefront6targetE0EEEvS12_
	.p2align	8
	.type	_ZN7rocprim17ROCPRIM_400000_NS6detail17trampoline_kernelINS0_13select_configILj256ELj13ELNS0_17block_load_methodE3ELS4_3ELS4_3ELNS0_20block_scan_algorithmE0ELj4294967295EEENS1_25partition_config_selectorILNS1_17partition_subalgoE4EjNS0_10empty_typeEbEEZZNS1_14partition_implILS8_4ELb0ES6_15HIP_vector_typeIjLj2EENS0_17counting_iteratorIjlEEPS9_SG_NS0_5tupleIJPjSI_NS0_16reverse_iteratorISI_EEEEENSH_IJSG_SG_SG_EEES9_SI_JZNS1_25segmented_radix_sort_implINS0_14default_configELb1EPKfPfPKlPlN2at6native12_GLOBAL__N_18offset_tEEE10hipError_tPvRmT1_PNSt15iterator_traitsIS12_E10value_typeET2_T3_PNS13_IS18_E10value_typeET4_jRbjT5_S1E_jjP12ihipStream_tbEUljE_ZNSN_ISO_Lb1ESQ_SR_ST_SU_SY_EESZ_S10_S11_S12_S16_S17_S18_S1B_S1C_jS1D_jS1E_S1E_jjS1G_bEUljE0_EEESZ_S10_S11_S18_S1C_S1E_T6_T7_T9_mT8_S1G_bDpT10_ENKUlT_T0_E_clISt17integral_constantIbLb1EES1U_EEDaS1P_S1Q_EUlS1P_E_NS1_11comp_targetILNS1_3genE8ELNS1_11target_archE1030ELNS1_3gpuE2ELNS1_3repE0EEENS1_30default_config_static_selectorELNS0_4arch9wavefront6targetE0EEEvS12_,@function
_ZN7rocprim17ROCPRIM_400000_NS6detail17trampoline_kernelINS0_13select_configILj256ELj13ELNS0_17block_load_methodE3ELS4_3ELS4_3ELNS0_20block_scan_algorithmE0ELj4294967295EEENS1_25partition_config_selectorILNS1_17partition_subalgoE4EjNS0_10empty_typeEbEEZZNS1_14partition_implILS8_4ELb0ES6_15HIP_vector_typeIjLj2EENS0_17counting_iteratorIjlEEPS9_SG_NS0_5tupleIJPjSI_NS0_16reverse_iteratorISI_EEEEENSH_IJSG_SG_SG_EEES9_SI_JZNS1_25segmented_radix_sort_implINS0_14default_configELb1EPKfPfPKlPlN2at6native12_GLOBAL__N_18offset_tEEE10hipError_tPvRmT1_PNSt15iterator_traitsIS12_E10value_typeET2_T3_PNS13_IS18_E10value_typeET4_jRbjT5_S1E_jjP12ihipStream_tbEUljE_ZNSN_ISO_Lb1ESQ_SR_ST_SU_SY_EESZ_S10_S11_S12_S16_S17_S18_S1B_S1C_jS1D_jS1E_S1E_jjS1G_bEUljE0_EEESZ_S10_S11_S18_S1C_S1E_T6_T7_T9_mT8_S1G_bDpT10_ENKUlT_T0_E_clISt17integral_constantIbLb1EES1U_EEDaS1P_S1Q_EUlS1P_E_NS1_11comp_targetILNS1_3genE8ELNS1_11target_archE1030ELNS1_3gpuE2ELNS1_3repE0EEENS1_30default_config_static_selectorELNS0_4arch9wavefront6targetE0EEEvS12_: ; @_ZN7rocprim17ROCPRIM_400000_NS6detail17trampoline_kernelINS0_13select_configILj256ELj13ELNS0_17block_load_methodE3ELS4_3ELS4_3ELNS0_20block_scan_algorithmE0ELj4294967295EEENS1_25partition_config_selectorILNS1_17partition_subalgoE4EjNS0_10empty_typeEbEEZZNS1_14partition_implILS8_4ELb0ES6_15HIP_vector_typeIjLj2EENS0_17counting_iteratorIjlEEPS9_SG_NS0_5tupleIJPjSI_NS0_16reverse_iteratorISI_EEEEENSH_IJSG_SG_SG_EEES9_SI_JZNS1_25segmented_radix_sort_implINS0_14default_configELb1EPKfPfPKlPlN2at6native12_GLOBAL__N_18offset_tEEE10hipError_tPvRmT1_PNSt15iterator_traitsIS12_E10value_typeET2_T3_PNS13_IS18_E10value_typeET4_jRbjT5_S1E_jjP12ihipStream_tbEUljE_ZNSN_ISO_Lb1ESQ_SR_ST_SU_SY_EESZ_S10_S11_S12_S16_S17_S18_S1B_S1C_jS1D_jS1E_S1E_jjS1G_bEUljE0_EEESZ_S10_S11_S18_S1C_S1E_T6_T7_T9_mT8_S1G_bDpT10_ENKUlT_T0_E_clISt17integral_constantIbLb1EES1U_EEDaS1P_S1Q_EUlS1P_E_NS1_11comp_targetILNS1_3genE8ELNS1_11target_archE1030ELNS1_3gpuE2ELNS1_3repE0EEENS1_30default_config_static_selectorELNS0_4arch9wavefront6targetE0EEEvS12_
; %bb.0:
	.section	.rodata,"a",@progbits
	.p2align	6, 0x0
	.amdhsa_kernel _ZN7rocprim17ROCPRIM_400000_NS6detail17trampoline_kernelINS0_13select_configILj256ELj13ELNS0_17block_load_methodE3ELS4_3ELS4_3ELNS0_20block_scan_algorithmE0ELj4294967295EEENS1_25partition_config_selectorILNS1_17partition_subalgoE4EjNS0_10empty_typeEbEEZZNS1_14partition_implILS8_4ELb0ES6_15HIP_vector_typeIjLj2EENS0_17counting_iteratorIjlEEPS9_SG_NS0_5tupleIJPjSI_NS0_16reverse_iteratorISI_EEEEENSH_IJSG_SG_SG_EEES9_SI_JZNS1_25segmented_radix_sort_implINS0_14default_configELb1EPKfPfPKlPlN2at6native12_GLOBAL__N_18offset_tEEE10hipError_tPvRmT1_PNSt15iterator_traitsIS12_E10value_typeET2_T3_PNS13_IS18_E10value_typeET4_jRbjT5_S1E_jjP12ihipStream_tbEUljE_ZNSN_ISO_Lb1ESQ_SR_ST_SU_SY_EESZ_S10_S11_S12_S16_S17_S18_S1B_S1C_jS1D_jS1E_S1E_jjS1G_bEUljE0_EEESZ_S10_S11_S18_S1C_S1E_T6_T7_T9_mT8_S1G_bDpT10_ENKUlT_T0_E_clISt17integral_constantIbLb1EES1U_EEDaS1P_S1Q_EUlS1P_E_NS1_11comp_targetILNS1_3genE8ELNS1_11target_archE1030ELNS1_3gpuE2ELNS1_3repE0EEENS1_30default_config_static_selectorELNS0_4arch9wavefront6targetE0EEEvS12_
		.amdhsa_group_segment_fixed_size 0
		.amdhsa_private_segment_fixed_size 0
		.amdhsa_kernarg_size 184
		.amdhsa_user_sgpr_count 2
		.amdhsa_user_sgpr_dispatch_ptr 0
		.amdhsa_user_sgpr_queue_ptr 0
		.amdhsa_user_sgpr_kernarg_segment_ptr 1
		.amdhsa_user_sgpr_dispatch_id 0
		.amdhsa_user_sgpr_kernarg_preload_length 0
		.amdhsa_user_sgpr_kernarg_preload_offset 0
		.amdhsa_user_sgpr_private_segment_size 0
		.amdhsa_wavefront_size32 1
		.amdhsa_uses_dynamic_stack 0
		.amdhsa_enable_private_segment 0
		.amdhsa_system_sgpr_workgroup_id_x 1
		.amdhsa_system_sgpr_workgroup_id_y 0
		.amdhsa_system_sgpr_workgroup_id_z 0
		.amdhsa_system_sgpr_workgroup_info 0
		.amdhsa_system_vgpr_workitem_id 0
		.amdhsa_next_free_vgpr 1
		.amdhsa_next_free_sgpr 1
		.amdhsa_named_barrier_count 0
		.amdhsa_reserve_vcc 0
		.amdhsa_float_round_mode_32 0
		.amdhsa_float_round_mode_16_64 0
		.amdhsa_float_denorm_mode_32 3
		.amdhsa_float_denorm_mode_16_64 3
		.amdhsa_fp16_overflow 0
		.amdhsa_memory_ordered 1
		.amdhsa_forward_progress 1
		.amdhsa_inst_pref_size 0
		.amdhsa_round_robin_scheduling 0
		.amdhsa_exception_fp_ieee_invalid_op 0
		.amdhsa_exception_fp_denorm_src 0
		.amdhsa_exception_fp_ieee_div_zero 0
		.amdhsa_exception_fp_ieee_overflow 0
		.amdhsa_exception_fp_ieee_underflow 0
		.amdhsa_exception_fp_ieee_inexact 0
		.amdhsa_exception_int_div_zero 0
	.end_amdhsa_kernel
	.section	.text._ZN7rocprim17ROCPRIM_400000_NS6detail17trampoline_kernelINS0_13select_configILj256ELj13ELNS0_17block_load_methodE3ELS4_3ELS4_3ELNS0_20block_scan_algorithmE0ELj4294967295EEENS1_25partition_config_selectorILNS1_17partition_subalgoE4EjNS0_10empty_typeEbEEZZNS1_14partition_implILS8_4ELb0ES6_15HIP_vector_typeIjLj2EENS0_17counting_iteratorIjlEEPS9_SG_NS0_5tupleIJPjSI_NS0_16reverse_iteratorISI_EEEEENSH_IJSG_SG_SG_EEES9_SI_JZNS1_25segmented_radix_sort_implINS0_14default_configELb1EPKfPfPKlPlN2at6native12_GLOBAL__N_18offset_tEEE10hipError_tPvRmT1_PNSt15iterator_traitsIS12_E10value_typeET2_T3_PNS13_IS18_E10value_typeET4_jRbjT5_S1E_jjP12ihipStream_tbEUljE_ZNSN_ISO_Lb1ESQ_SR_ST_SU_SY_EESZ_S10_S11_S12_S16_S17_S18_S1B_S1C_jS1D_jS1E_S1E_jjS1G_bEUljE0_EEESZ_S10_S11_S18_S1C_S1E_T6_T7_T9_mT8_S1G_bDpT10_ENKUlT_T0_E_clISt17integral_constantIbLb1EES1U_EEDaS1P_S1Q_EUlS1P_E_NS1_11comp_targetILNS1_3genE8ELNS1_11target_archE1030ELNS1_3gpuE2ELNS1_3repE0EEENS1_30default_config_static_selectorELNS0_4arch9wavefront6targetE0EEEvS12_,"axG",@progbits,_ZN7rocprim17ROCPRIM_400000_NS6detail17trampoline_kernelINS0_13select_configILj256ELj13ELNS0_17block_load_methodE3ELS4_3ELS4_3ELNS0_20block_scan_algorithmE0ELj4294967295EEENS1_25partition_config_selectorILNS1_17partition_subalgoE4EjNS0_10empty_typeEbEEZZNS1_14partition_implILS8_4ELb0ES6_15HIP_vector_typeIjLj2EENS0_17counting_iteratorIjlEEPS9_SG_NS0_5tupleIJPjSI_NS0_16reverse_iteratorISI_EEEEENSH_IJSG_SG_SG_EEES9_SI_JZNS1_25segmented_radix_sort_implINS0_14default_configELb1EPKfPfPKlPlN2at6native12_GLOBAL__N_18offset_tEEE10hipError_tPvRmT1_PNSt15iterator_traitsIS12_E10value_typeET2_T3_PNS13_IS18_E10value_typeET4_jRbjT5_S1E_jjP12ihipStream_tbEUljE_ZNSN_ISO_Lb1ESQ_SR_ST_SU_SY_EESZ_S10_S11_S12_S16_S17_S18_S1B_S1C_jS1D_jS1E_S1E_jjS1G_bEUljE0_EEESZ_S10_S11_S18_S1C_S1E_T6_T7_T9_mT8_S1G_bDpT10_ENKUlT_T0_E_clISt17integral_constantIbLb1EES1U_EEDaS1P_S1Q_EUlS1P_E_NS1_11comp_targetILNS1_3genE8ELNS1_11target_archE1030ELNS1_3gpuE2ELNS1_3repE0EEENS1_30default_config_static_selectorELNS0_4arch9wavefront6targetE0EEEvS12_,comdat
.Lfunc_end1270:
	.size	_ZN7rocprim17ROCPRIM_400000_NS6detail17trampoline_kernelINS0_13select_configILj256ELj13ELNS0_17block_load_methodE3ELS4_3ELS4_3ELNS0_20block_scan_algorithmE0ELj4294967295EEENS1_25partition_config_selectorILNS1_17partition_subalgoE4EjNS0_10empty_typeEbEEZZNS1_14partition_implILS8_4ELb0ES6_15HIP_vector_typeIjLj2EENS0_17counting_iteratorIjlEEPS9_SG_NS0_5tupleIJPjSI_NS0_16reverse_iteratorISI_EEEEENSH_IJSG_SG_SG_EEES9_SI_JZNS1_25segmented_radix_sort_implINS0_14default_configELb1EPKfPfPKlPlN2at6native12_GLOBAL__N_18offset_tEEE10hipError_tPvRmT1_PNSt15iterator_traitsIS12_E10value_typeET2_T3_PNS13_IS18_E10value_typeET4_jRbjT5_S1E_jjP12ihipStream_tbEUljE_ZNSN_ISO_Lb1ESQ_SR_ST_SU_SY_EESZ_S10_S11_S12_S16_S17_S18_S1B_S1C_jS1D_jS1E_S1E_jjS1G_bEUljE0_EEESZ_S10_S11_S18_S1C_S1E_T6_T7_T9_mT8_S1G_bDpT10_ENKUlT_T0_E_clISt17integral_constantIbLb1EES1U_EEDaS1P_S1Q_EUlS1P_E_NS1_11comp_targetILNS1_3genE8ELNS1_11target_archE1030ELNS1_3gpuE2ELNS1_3repE0EEENS1_30default_config_static_selectorELNS0_4arch9wavefront6targetE0EEEvS12_, .Lfunc_end1270-_ZN7rocprim17ROCPRIM_400000_NS6detail17trampoline_kernelINS0_13select_configILj256ELj13ELNS0_17block_load_methodE3ELS4_3ELS4_3ELNS0_20block_scan_algorithmE0ELj4294967295EEENS1_25partition_config_selectorILNS1_17partition_subalgoE4EjNS0_10empty_typeEbEEZZNS1_14partition_implILS8_4ELb0ES6_15HIP_vector_typeIjLj2EENS0_17counting_iteratorIjlEEPS9_SG_NS0_5tupleIJPjSI_NS0_16reverse_iteratorISI_EEEEENSH_IJSG_SG_SG_EEES9_SI_JZNS1_25segmented_radix_sort_implINS0_14default_configELb1EPKfPfPKlPlN2at6native12_GLOBAL__N_18offset_tEEE10hipError_tPvRmT1_PNSt15iterator_traitsIS12_E10value_typeET2_T3_PNS13_IS18_E10value_typeET4_jRbjT5_S1E_jjP12ihipStream_tbEUljE_ZNSN_ISO_Lb1ESQ_SR_ST_SU_SY_EESZ_S10_S11_S12_S16_S17_S18_S1B_S1C_jS1D_jS1E_S1E_jjS1G_bEUljE0_EEESZ_S10_S11_S18_S1C_S1E_T6_T7_T9_mT8_S1G_bDpT10_ENKUlT_T0_E_clISt17integral_constantIbLb1EES1U_EEDaS1P_S1Q_EUlS1P_E_NS1_11comp_targetILNS1_3genE8ELNS1_11target_archE1030ELNS1_3gpuE2ELNS1_3repE0EEENS1_30default_config_static_selectorELNS0_4arch9wavefront6targetE0EEEvS12_
                                        ; -- End function
	.set _ZN7rocprim17ROCPRIM_400000_NS6detail17trampoline_kernelINS0_13select_configILj256ELj13ELNS0_17block_load_methodE3ELS4_3ELS4_3ELNS0_20block_scan_algorithmE0ELj4294967295EEENS1_25partition_config_selectorILNS1_17partition_subalgoE4EjNS0_10empty_typeEbEEZZNS1_14partition_implILS8_4ELb0ES6_15HIP_vector_typeIjLj2EENS0_17counting_iteratorIjlEEPS9_SG_NS0_5tupleIJPjSI_NS0_16reverse_iteratorISI_EEEEENSH_IJSG_SG_SG_EEES9_SI_JZNS1_25segmented_radix_sort_implINS0_14default_configELb1EPKfPfPKlPlN2at6native12_GLOBAL__N_18offset_tEEE10hipError_tPvRmT1_PNSt15iterator_traitsIS12_E10value_typeET2_T3_PNS13_IS18_E10value_typeET4_jRbjT5_S1E_jjP12ihipStream_tbEUljE_ZNSN_ISO_Lb1ESQ_SR_ST_SU_SY_EESZ_S10_S11_S12_S16_S17_S18_S1B_S1C_jS1D_jS1E_S1E_jjS1G_bEUljE0_EEESZ_S10_S11_S18_S1C_S1E_T6_T7_T9_mT8_S1G_bDpT10_ENKUlT_T0_E_clISt17integral_constantIbLb1EES1U_EEDaS1P_S1Q_EUlS1P_E_NS1_11comp_targetILNS1_3genE8ELNS1_11target_archE1030ELNS1_3gpuE2ELNS1_3repE0EEENS1_30default_config_static_selectorELNS0_4arch9wavefront6targetE0EEEvS12_.num_vgpr, 0
	.set _ZN7rocprim17ROCPRIM_400000_NS6detail17trampoline_kernelINS0_13select_configILj256ELj13ELNS0_17block_load_methodE3ELS4_3ELS4_3ELNS0_20block_scan_algorithmE0ELj4294967295EEENS1_25partition_config_selectorILNS1_17partition_subalgoE4EjNS0_10empty_typeEbEEZZNS1_14partition_implILS8_4ELb0ES6_15HIP_vector_typeIjLj2EENS0_17counting_iteratorIjlEEPS9_SG_NS0_5tupleIJPjSI_NS0_16reverse_iteratorISI_EEEEENSH_IJSG_SG_SG_EEES9_SI_JZNS1_25segmented_radix_sort_implINS0_14default_configELb1EPKfPfPKlPlN2at6native12_GLOBAL__N_18offset_tEEE10hipError_tPvRmT1_PNSt15iterator_traitsIS12_E10value_typeET2_T3_PNS13_IS18_E10value_typeET4_jRbjT5_S1E_jjP12ihipStream_tbEUljE_ZNSN_ISO_Lb1ESQ_SR_ST_SU_SY_EESZ_S10_S11_S12_S16_S17_S18_S1B_S1C_jS1D_jS1E_S1E_jjS1G_bEUljE0_EEESZ_S10_S11_S18_S1C_S1E_T6_T7_T9_mT8_S1G_bDpT10_ENKUlT_T0_E_clISt17integral_constantIbLb1EES1U_EEDaS1P_S1Q_EUlS1P_E_NS1_11comp_targetILNS1_3genE8ELNS1_11target_archE1030ELNS1_3gpuE2ELNS1_3repE0EEENS1_30default_config_static_selectorELNS0_4arch9wavefront6targetE0EEEvS12_.num_agpr, 0
	.set _ZN7rocprim17ROCPRIM_400000_NS6detail17trampoline_kernelINS0_13select_configILj256ELj13ELNS0_17block_load_methodE3ELS4_3ELS4_3ELNS0_20block_scan_algorithmE0ELj4294967295EEENS1_25partition_config_selectorILNS1_17partition_subalgoE4EjNS0_10empty_typeEbEEZZNS1_14partition_implILS8_4ELb0ES6_15HIP_vector_typeIjLj2EENS0_17counting_iteratorIjlEEPS9_SG_NS0_5tupleIJPjSI_NS0_16reverse_iteratorISI_EEEEENSH_IJSG_SG_SG_EEES9_SI_JZNS1_25segmented_radix_sort_implINS0_14default_configELb1EPKfPfPKlPlN2at6native12_GLOBAL__N_18offset_tEEE10hipError_tPvRmT1_PNSt15iterator_traitsIS12_E10value_typeET2_T3_PNS13_IS18_E10value_typeET4_jRbjT5_S1E_jjP12ihipStream_tbEUljE_ZNSN_ISO_Lb1ESQ_SR_ST_SU_SY_EESZ_S10_S11_S12_S16_S17_S18_S1B_S1C_jS1D_jS1E_S1E_jjS1G_bEUljE0_EEESZ_S10_S11_S18_S1C_S1E_T6_T7_T9_mT8_S1G_bDpT10_ENKUlT_T0_E_clISt17integral_constantIbLb1EES1U_EEDaS1P_S1Q_EUlS1P_E_NS1_11comp_targetILNS1_3genE8ELNS1_11target_archE1030ELNS1_3gpuE2ELNS1_3repE0EEENS1_30default_config_static_selectorELNS0_4arch9wavefront6targetE0EEEvS12_.numbered_sgpr, 0
	.set _ZN7rocprim17ROCPRIM_400000_NS6detail17trampoline_kernelINS0_13select_configILj256ELj13ELNS0_17block_load_methodE3ELS4_3ELS4_3ELNS0_20block_scan_algorithmE0ELj4294967295EEENS1_25partition_config_selectorILNS1_17partition_subalgoE4EjNS0_10empty_typeEbEEZZNS1_14partition_implILS8_4ELb0ES6_15HIP_vector_typeIjLj2EENS0_17counting_iteratorIjlEEPS9_SG_NS0_5tupleIJPjSI_NS0_16reverse_iteratorISI_EEEEENSH_IJSG_SG_SG_EEES9_SI_JZNS1_25segmented_radix_sort_implINS0_14default_configELb1EPKfPfPKlPlN2at6native12_GLOBAL__N_18offset_tEEE10hipError_tPvRmT1_PNSt15iterator_traitsIS12_E10value_typeET2_T3_PNS13_IS18_E10value_typeET4_jRbjT5_S1E_jjP12ihipStream_tbEUljE_ZNSN_ISO_Lb1ESQ_SR_ST_SU_SY_EESZ_S10_S11_S12_S16_S17_S18_S1B_S1C_jS1D_jS1E_S1E_jjS1G_bEUljE0_EEESZ_S10_S11_S18_S1C_S1E_T6_T7_T9_mT8_S1G_bDpT10_ENKUlT_T0_E_clISt17integral_constantIbLb1EES1U_EEDaS1P_S1Q_EUlS1P_E_NS1_11comp_targetILNS1_3genE8ELNS1_11target_archE1030ELNS1_3gpuE2ELNS1_3repE0EEENS1_30default_config_static_selectorELNS0_4arch9wavefront6targetE0EEEvS12_.num_named_barrier, 0
	.set _ZN7rocprim17ROCPRIM_400000_NS6detail17trampoline_kernelINS0_13select_configILj256ELj13ELNS0_17block_load_methodE3ELS4_3ELS4_3ELNS0_20block_scan_algorithmE0ELj4294967295EEENS1_25partition_config_selectorILNS1_17partition_subalgoE4EjNS0_10empty_typeEbEEZZNS1_14partition_implILS8_4ELb0ES6_15HIP_vector_typeIjLj2EENS0_17counting_iteratorIjlEEPS9_SG_NS0_5tupleIJPjSI_NS0_16reverse_iteratorISI_EEEEENSH_IJSG_SG_SG_EEES9_SI_JZNS1_25segmented_radix_sort_implINS0_14default_configELb1EPKfPfPKlPlN2at6native12_GLOBAL__N_18offset_tEEE10hipError_tPvRmT1_PNSt15iterator_traitsIS12_E10value_typeET2_T3_PNS13_IS18_E10value_typeET4_jRbjT5_S1E_jjP12ihipStream_tbEUljE_ZNSN_ISO_Lb1ESQ_SR_ST_SU_SY_EESZ_S10_S11_S12_S16_S17_S18_S1B_S1C_jS1D_jS1E_S1E_jjS1G_bEUljE0_EEESZ_S10_S11_S18_S1C_S1E_T6_T7_T9_mT8_S1G_bDpT10_ENKUlT_T0_E_clISt17integral_constantIbLb1EES1U_EEDaS1P_S1Q_EUlS1P_E_NS1_11comp_targetILNS1_3genE8ELNS1_11target_archE1030ELNS1_3gpuE2ELNS1_3repE0EEENS1_30default_config_static_selectorELNS0_4arch9wavefront6targetE0EEEvS12_.private_seg_size, 0
	.set _ZN7rocprim17ROCPRIM_400000_NS6detail17trampoline_kernelINS0_13select_configILj256ELj13ELNS0_17block_load_methodE3ELS4_3ELS4_3ELNS0_20block_scan_algorithmE0ELj4294967295EEENS1_25partition_config_selectorILNS1_17partition_subalgoE4EjNS0_10empty_typeEbEEZZNS1_14partition_implILS8_4ELb0ES6_15HIP_vector_typeIjLj2EENS0_17counting_iteratorIjlEEPS9_SG_NS0_5tupleIJPjSI_NS0_16reverse_iteratorISI_EEEEENSH_IJSG_SG_SG_EEES9_SI_JZNS1_25segmented_radix_sort_implINS0_14default_configELb1EPKfPfPKlPlN2at6native12_GLOBAL__N_18offset_tEEE10hipError_tPvRmT1_PNSt15iterator_traitsIS12_E10value_typeET2_T3_PNS13_IS18_E10value_typeET4_jRbjT5_S1E_jjP12ihipStream_tbEUljE_ZNSN_ISO_Lb1ESQ_SR_ST_SU_SY_EESZ_S10_S11_S12_S16_S17_S18_S1B_S1C_jS1D_jS1E_S1E_jjS1G_bEUljE0_EEESZ_S10_S11_S18_S1C_S1E_T6_T7_T9_mT8_S1G_bDpT10_ENKUlT_T0_E_clISt17integral_constantIbLb1EES1U_EEDaS1P_S1Q_EUlS1P_E_NS1_11comp_targetILNS1_3genE8ELNS1_11target_archE1030ELNS1_3gpuE2ELNS1_3repE0EEENS1_30default_config_static_selectorELNS0_4arch9wavefront6targetE0EEEvS12_.uses_vcc, 0
	.set _ZN7rocprim17ROCPRIM_400000_NS6detail17trampoline_kernelINS0_13select_configILj256ELj13ELNS0_17block_load_methodE3ELS4_3ELS4_3ELNS0_20block_scan_algorithmE0ELj4294967295EEENS1_25partition_config_selectorILNS1_17partition_subalgoE4EjNS0_10empty_typeEbEEZZNS1_14partition_implILS8_4ELb0ES6_15HIP_vector_typeIjLj2EENS0_17counting_iteratorIjlEEPS9_SG_NS0_5tupleIJPjSI_NS0_16reverse_iteratorISI_EEEEENSH_IJSG_SG_SG_EEES9_SI_JZNS1_25segmented_radix_sort_implINS0_14default_configELb1EPKfPfPKlPlN2at6native12_GLOBAL__N_18offset_tEEE10hipError_tPvRmT1_PNSt15iterator_traitsIS12_E10value_typeET2_T3_PNS13_IS18_E10value_typeET4_jRbjT5_S1E_jjP12ihipStream_tbEUljE_ZNSN_ISO_Lb1ESQ_SR_ST_SU_SY_EESZ_S10_S11_S12_S16_S17_S18_S1B_S1C_jS1D_jS1E_S1E_jjS1G_bEUljE0_EEESZ_S10_S11_S18_S1C_S1E_T6_T7_T9_mT8_S1G_bDpT10_ENKUlT_T0_E_clISt17integral_constantIbLb1EES1U_EEDaS1P_S1Q_EUlS1P_E_NS1_11comp_targetILNS1_3genE8ELNS1_11target_archE1030ELNS1_3gpuE2ELNS1_3repE0EEENS1_30default_config_static_selectorELNS0_4arch9wavefront6targetE0EEEvS12_.uses_flat_scratch, 0
	.set _ZN7rocprim17ROCPRIM_400000_NS6detail17trampoline_kernelINS0_13select_configILj256ELj13ELNS0_17block_load_methodE3ELS4_3ELS4_3ELNS0_20block_scan_algorithmE0ELj4294967295EEENS1_25partition_config_selectorILNS1_17partition_subalgoE4EjNS0_10empty_typeEbEEZZNS1_14partition_implILS8_4ELb0ES6_15HIP_vector_typeIjLj2EENS0_17counting_iteratorIjlEEPS9_SG_NS0_5tupleIJPjSI_NS0_16reverse_iteratorISI_EEEEENSH_IJSG_SG_SG_EEES9_SI_JZNS1_25segmented_radix_sort_implINS0_14default_configELb1EPKfPfPKlPlN2at6native12_GLOBAL__N_18offset_tEEE10hipError_tPvRmT1_PNSt15iterator_traitsIS12_E10value_typeET2_T3_PNS13_IS18_E10value_typeET4_jRbjT5_S1E_jjP12ihipStream_tbEUljE_ZNSN_ISO_Lb1ESQ_SR_ST_SU_SY_EESZ_S10_S11_S12_S16_S17_S18_S1B_S1C_jS1D_jS1E_S1E_jjS1G_bEUljE0_EEESZ_S10_S11_S18_S1C_S1E_T6_T7_T9_mT8_S1G_bDpT10_ENKUlT_T0_E_clISt17integral_constantIbLb1EES1U_EEDaS1P_S1Q_EUlS1P_E_NS1_11comp_targetILNS1_3genE8ELNS1_11target_archE1030ELNS1_3gpuE2ELNS1_3repE0EEENS1_30default_config_static_selectorELNS0_4arch9wavefront6targetE0EEEvS12_.has_dyn_sized_stack, 0
	.set _ZN7rocprim17ROCPRIM_400000_NS6detail17trampoline_kernelINS0_13select_configILj256ELj13ELNS0_17block_load_methodE3ELS4_3ELS4_3ELNS0_20block_scan_algorithmE0ELj4294967295EEENS1_25partition_config_selectorILNS1_17partition_subalgoE4EjNS0_10empty_typeEbEEZZNS1_14partition_implILS8_4ELb0ES6_15HIP_vector_typeIjLj2EENS0_17counting_iteratorIjlEEPS9_SG_NS0_5tupleIJPjSI_NS0_16reverse_iteratorISI_EEEEENSH_IJSG_SG_SG_EEES9_SI_JZNS1_25segmented_radix_sort_implINS0_14default_configELb1EPKfPfPKlPlN2at6native12_GLOBAL__N_18offset_tEEE10hipError_tPvRmT1_PNSt15iterator_traitsIS12_E10value_typeET2_T3_PNS13_IS18_E10value_typeET4_jRbjT5_S1E_jjP12ihipStream_tbEUljE_ZNSN_ISO_Lb1ESQ_SR_ST_SU_SY_EESZ_S10_S11_S12_S16_S17_S18_S1B_S1C_jS1D_jS1E_S1E_jjS1G_bEUljE0_EEESZ_S10_S11_S18_S1C_S1E_T6_T7_T9_mT8_S1G_bDpT10_ENKUlT_T0_E_clISt17integral_constantIbLb1EES1U_EEDaS1P_S1Q_EUlS1P_E_NS1_11comp_targetILNS1_3genE8ELNS1_11target_archE1030ELNS1_3gpuE2ELNS1_3repE0EEENS1_30default_config_static_selectorELNS0_4arch9wavefront6targetE0EEEvS12_.has_recursion, 0
	.set _ZN7rocprim17ROCPRIM_400000_NS6detail17trampoline_kernelINS0_13select_configILj256ELj13ELNS0_17block_load_methodE3ELS4_3ELS4_3ELNS0_20block_scan_algorithmE0ELj4294967295EEENS1_25partition_config_selectorILNS1_17partition_subalgoE4EjNS0_10empty_typeEbEEZZNS1_14partition_implILS8_4ELb0ES6_15HIP_vector_typeIjLj2EENS0_17counting_iteratorIjlEEPS9_SG_NS0_5tupleIJPjSI_NS0_16reverse_iteratorISI_EEEEENSH_IJSG_SG_SG_EEES9_SI_JZNS1_25segmented_radix_sort_implINS0_14default_configELb1EPKfPfPKlPlN2at6native12_GLOBAL__N_18offset_tEEE10hipError_tPvRmT1_PNSt15iterator_traitsIS12_E10value_typeET2_T3_PNS13_IS18_E10value_typeET4_jRbjT5_S1E_jjP12ihipStream_tbEUljE_ZNSN_ISO_Lb1ESQ_SR_ST_SU_SY_EESZ_S10_S11_S12_S16_S17_S18_S1B_S1C_jS1D_jS1E_S1E_jjS1G_bEUljE0_EEESZ_S10_S11_S18_S1C_S1E_T6_T7_T9_mT8_S1G_bDpT10_ENKUlT_T0_E_clISt17integral_constantIbLb1EES1U_EEDaS1P_S1Q_EUlS1P_E_NS1_11comp_targetILNS1_3genE8ELNS1_11target_archE1030ELNS1_3gpuE2ELNS1_3repE0EEENS1_30default_config_static_selectorELNS0_4arch9wavefront6targetE0EEEvS12_.has_indirect_call, 0
	.section	.AMDGPU.csdata,"",@progbits
; Kernel info:
; codeLenInByte = 0
; TotalNumSgprs: 0
; NumVgprs: 0
; ScratchSize: 0
; MemoryBound: 0
; FloatMode: 240
; IeeeMode: 1
; LDSByteSize: 0 bytes/workgroup (compile time only)
; SGPRBlocks: 0
; VGPRBlocks: 0
; NumSGPRsForWavesPerEU: 1
; NumVGPRsForWavesPerEU: 1
; NamedBarCnt: 0
; Occupancy: 16
; WaveLimiterHint : 0
; COMPUTE_PGM_RSRC2:SCRATCH_EN: 0
; COMPUTE_PGM_RSRC2:USER_SGPR: 2
; COMPUTE_PGM_RSRC2:TRAP_HANDLER: 0
; COMPUTE_PGM_RSRC2:TGID_X_EN: 1
; COMPUTE_PGM_RSRC2:TGID_Y_EN: 0
; COMPUTE_PGM_RSRC2:TGID_Z_EN: 0
; COMPUTE_PGM_RSRC2:TIDIG_COMP_CNT: 0
	.section	.text._ZN7rocprim17ROCPRIM_400000_NS6detail17trampoline_kernelINS0_13select_configILj256ELj13ELNS0_17block_load_methodE3ELS4_3ELS4_3ELNS0_20block_scan_algorithmE0ELj4294967295EEENS1_25partition_config_selectorILNS1_17partition_subalgoE4EjNS0_10empty_typeEbEEZZNS1_14partition_implILS8_4ELb0ES6_15HIP_vector_typeIjLj2EENS0_17counting_iteratorIjlEEPS9_SG_NS0_5tupleIJPjSI_NS0_16reverse_iteratorISI_EEEEENSH_IJSG_SG_SG_EEES9_SI_JZNS1_25segmented_radix_sort_implINS0_14default_configELb1EPKfPfPKlPlN2at6native12_GLOBAL__N_18offset_tEEE10hipError_tPvRmT1_PNSt15iterator_traitsIS12_E10value_typeET2_T3_PNS13_IS18_E10value_typeET4_jRbjT5_S1E_jjP12ihipStream_tbEUljE_ZNSN_ISO_Lb1ESQ_SR_ST_SU_SY_EESZ_S10_S11_S12_S16_S17_S18_S1B_S1C_jS1D_jS1E_S1E_jjS1G_bEUljE0_EEESZ_S10_S11_S18_S1C_S1E_T6_T7_T9_mT8_S1G_bDpT10_ENKUlT_T0_E_clISt17integral_constantIbLb1EES1T_IbLb0EEEEDaS1P_S1Q_EUlS1P_E_NS1_11comp_targetILNS1_3genE0ELNS1_11target_archE4294967295ELNS1_3gpuE0ELNS1_3repE0EEENS1_30default_config_static_selectorELNS0_4arch9wavefront6targetE0EEEvS12_,"axG",@progbits,_ZN7rocprim17ROCPRIM_400000_NS6detail17trampoline_kernelINS0_13select_configILj256ELj13ELNS0_17block_load_methodE3ELS4_3ELS4_3ELNS0_20block_scan_algorithmE0ELj4294967295EEENS1_25partition_config_selectorILNS1_17partition_subalgoE4EjNS0_10empty_typeEbEEZZNS1_14partition_implILS8_4ELb0ES6_15HIP_vector_typeIjLj2EENS0_17counting_iteratorIjlEEPS9_SG_NS0_5tupleIJPjSI_NS0_16reverse_iteratorISI_EEEEENSH_IJSG_SG_SG_EEES9_SI_JZNS1_25segmented_radix_sort_implINS0_14default_configELb1EPKfPfPKlPlN2at6native12_GLOBAL__N_18offset_tEEE10hipError_tPvRmT1_PNSt15iterator_traitsIS12_E10value_typeET2_T3_PNS13_IS18_E10value_typeET4_jRbjT5_S1E_jjP12ihipStream_tbEUljE_ZNSN_ISO_Lb1ESQ_SR_ST_SU_SY_EESZ_S10_S11_S12_S16_S17_S18_S1B_S1C_jS1D_jS1E_S1E_jjS1G_bEUljE0_EEESZ_S10_S11_S18_S1C_S1E_T6_T7_T9_mT8_S1G_bDpT10_ENKUlT_T0_E_clISt17integral_constantIbLb1EES1T_IbLb0EEEEDaS1P_S1Q_EUlS1P_E_NS1_11comp_targetILNS1_3genE0ELNS1_11target_archE4294967295ELNS1_3gpuE0ELNS1_3repE0EEENS1_30default_config_static_selectorELNS0_4arch9wavefront6targetE0EEEvS12_,comdat
	.globl	_ZN7rocprim17ROCPRIM_400000_NS6detail17trampoline_kernelINS0_13select_configILj256ELj13ELNS0_17block_load_methodE3ELS4_3ELS4_3ELNS0_20block_scan_algorithmE0ELj4294967295EEENS1_25partition_config_selectorILNS1_17partition_subalgoE4EjNS0_10empty_typeEbEEZZNS1_14partition_implILS8_4ELb0ES6_15HIP_vector_typeIjLj2EENS0_17counting_iteratorIjlEEPS9_SG_NS0_5tupleIJPjSI_NS0_16reverse_iteratorISI_EEEEENSH_IJSG_SG_SG_EEES9_SI_JZNS1_25segmented_radix_sort_implINS0_14default_configELb1EPKfPfPKlPlN2at6native12_GLOBAL__N_18offset_tEEE10hipError_tPvRmT1_PNSt15iterator_traitsIS12_E10value_typeET2_T3_PNS13_IS18_E10value_typeET4_jRbjT5_S1E_jjP12ihipStream_tbEUljE_ZNSN_ISO_Lb1ESQ_SR_ST_SU_SY_EESZ_S10_S11_S12_S16_S17_S18_S1B_S1C_jS1D_jS1E_S1E_jjS1G_bEUljE0_EEESZ_S10_S11_S18_S1C_S1E_T6_T7_T9_mT8_S1G_bDpT10_ENKUlT_T0_E_clISt17integral_constantIbLb1EES1T_IbLb0EEEEDaS1P_S1Q_EUlS1P_E_NS1_11comp_targetILNS1_3genE0ELNS1_11target_archE4294967295ELNS1_3gpuE0ELNS1_3repE0EEENS1_30default_config_static_selectorELNS0_4arch9wavefront6targetE0EEEvS12_ ; -- Begin function _ZN7rocprim17ROCPRIM_400000_NS6detail17trampoline_kernelINS0_13select_configILj256ELj13ELNS0_17block_load_methodE3ELS4_3ELS4_3ELNS0_20block_scan_algorithmE0ELj4294967295EEENS1_25partition_config_selectorILNS1_17partition_subalgoE4EjNS0_10empty_typeEbEEZZNS1_14partition_implILS8_4ELb0ES6_15HIP_vector_typeIjLj2EENS0_17counting_iteratorIjlEEPS9_SG_NS0_5tupleIJPjSI_NS0_16reverse_iteratorISI_EEEEENSH_IJSG_SG_SG_EEES9_SI_JZNS1_25segmented_radix_sort_implINS0_14default_configELb1EPKfPfPKlPlN2at6native12_GLOBAL__N_18offset_tEEE10hipError_tPvRmT1_PNSt15iterator_traitsIS12_E10value_typeET2_T3_PNS13_IS18_E10value_typeET4_jRbjT5_S1E_jjP12ihipStream_tbEUljE_ZNSN_ISO_Lb1ESQ_SR_ST_SU_SY_EESZ_S10_S11_S12_S16_S17_S18_S1B_S1C_jS1D_jS1E_S1E_jjS1G_bEUljE0_EEESZ_S10_S11_S18_S1C_S1E_T6_T7_T9_mT8_S1G_bDpT10_ENKUlT_T0_E_clISt17integral_constantIbLb1EES1T_IbLb0EEEEDaS1P_S1Q_EUlS1P_E_NS1_11comp_targetILNS1_3genE0ELNS1_11target_archE4294967295ELNS1_3gpuE0ELNS1_3repE0EEENS1_30default_config_static_selectorELNS0_4arch9wavefront6targetE0EEEvS12_
	.p2align	8
	.type	_ZN7rocprim17ROCPRIM_400000_NS6detail17trampoline_kernelINS0_13select_configILj256ELj13ELNS0_17block_load_methodE3ELS4_3ELS4_3ELNS0_20block_scan_algorithmE0ELj4294967295EEENS1_25partition_config_selectorILNS1_17partition_subalgoE4EjNS0_10empty_typeEbEEZZNS1_14partition_implILS8_4ELb0ES6_15HIP_vector_typeIjLj2EENS0_17counting_iteratorIjlEEPS9_SG_NS0_5tupleIJPjSI_NS0_16reverse_iteratorISI_EEEEENSH_IJSG_SG_SG_EEES9_SI_JZNS1_25segmented_radix_sort_implINS0_14default_configELb1EPKfPfPKlPlN2at6native12_GLOBAL__N_18offset_tEEE10hipError_tPvRmT1_PNSt15iterator_traitsIS12_E10value_typeET2_T3_PNS13_IS18_E10value_typeET4_jRbjT5_S1E_jjP12ihipStream_tbEUljE_ZNSN_ISO_Lb1ESQ_SR_ST_SU_SY_EESZ_S10_S11_S12_S16_S17_S18_S1B_S1C_jS1D_jS1E_S1E_jjS1G_bEUljE0_EEESZ_S10_S11_S18_S1C_S1E_T6_T7_T9_mT8_S1G_bDpT10_ENKUlT_T0_E_clISt17integral_constantIbLb1EES1T_IbLb0EEEEDaS1P_S1Q_EUlS1P_E_NS1_11comp_targetILNS1_3genE0ELNS1_11target_archE4294967295ELNS1_3gpuE0ELNS1_3repE0EEENS1_30default_config_static_selectorELNS0_4arch9wavefront6targetE0EEEvS12_,@function
_ZN7rocprim17ROCPRIM_400000_NS6detail17trampoline_kernelINS0_13select_configILj256ELj13ELNS0_17block_load_methodE3ELS4_3ELS4_3ELNS0_20block_scan_algorithmE0ELj4294967295EEENS1_25partition_config_selectorILNS1_17partition_subalgoE4EjNS0_10empty_typeEbEEZZNS1_14partition_implILS8_4ELb0ES6_15HIP_vector_typeIjLj2EENS0_17counting_iteratorIjlEEPS9_SG_NS0_5tupleIJPjSI_NS0_16reverse_iteratorISI_EEEEENSH_IJSG_SG_SG_EEES9_SI_JZNS1_25segmented_radix_sort_implINS0_14default_configELb1EPKfPfPKlPlN2at6native12_GLOBAL__N_18offset_tEEE10hipError_tPvRmT1_PNSt15iterator_traitsIS12_E10value_typeET2_T3_PNS13_IS18_E10value_typeET4_jRbjT5_S1E_jjP12ihipStream_tbEUljE_ZNSN_ISO_Lb1ESQ_SR_ST_SU_SY_EESZ_S10_S11_S12_S16_S17_S18_S1B_S1C_jS1D_jS1E_S1E_jjS1G_bEUljE0_EEESZ_S10_S11_S18_S1C_S1E_T6_T7_T9_mT8_S1G_bDpT10_ENKUlT_T0_E_clISt17integral_constantIbLb1EES1T_IbLb0EEEEDaS1P_S1Q_EUlS1P_E_NS1_11comp_targetILNS1_3genE0ELNS1_11target_archE4294967295ELNS1_3gpuE0ELNS1_3repE0EEENS1_30default_config_static_selectorELNS0_4arch9wavefront6targetE0EEEvS12_: ; @_ZN7rocprim17ROCPRIM_400000_NS6detail17trampoline_kernelINS0_13select_configILj256ELj13ELNS0_17block_load_methodE3ELS4_3ELS4_3ELNS0_20block_scan_algorithmE0ELj4294967295EEENS1_25partition_config_selectorILNS1_17partition_subalgoE4EjNS0_10empty_typeEbEEZZNS1_14partition_implILS8_4ELb0ES6_15HIP_vector_typeIjLj2EENS0_17counting_iteratorIjlEEPS9_SG_NS0_5tupleIJPjSI_NS0_16reverse_iteratorISI_EEEEENSH_IJSG_SG_SG_EEES9_SI_JZNS1_25segmented_radix_sort_implINS0_14default_configELb1EPKfPfPKlPlN2at6native12_GLOBAL__N_18offset_tEEE10hipError_tPvRmT1_PNSt15iterator_traitsIS12_E10value_typeET2_T3_PNS13_IS18_E10value_typeET4_jRbjT5_S1E_jjP12ihipStream_tbEUljE_ZNSN_ISO_Lb1ESQ_SR_ST_SU_SY_EESZ_S10_S11_S12_S16_S17_S18_S1B_S1C_jS1D_jS1E_S1E_jjS1G_bEUljE0_EEESZ_S10_S11_S18_S1C_S1E_T6_T7_T9_mT8_S1G_bDpT10_ENKUlT_T0_E_clISt17integral_constantIbLb1EES1T_IbLb0EEEEDaS1P_S1Q_EUlS1P_E_NS1_11comp_targetILNS1_3genE0ELNS1_11target_archE4294967295ELNS1_3gpuE0ELNS1_3repE0EEENS1_30default_config_static_selectorELNS0_4arch9wavefront6targetE0EEEvS12_
; %bb.0:
	s_endpgm
	.section	.rodata,"a",@progbits
	.p2align	6, 0x0
	.amdhsa_kernel _ZN7rocprim17ROCPRIM_400000_NS6detail17trampoline_kernelINS0_13select_configILj256ELj13ELNS0_17block_load_methodE3ELS4_3ELS4_3ELNS0_20block_scan_algorithmE0ELj4294967295EEENS1_25partition_config_selectorILNS1_17partition_subalgoE4EjNS0_10empty_typeEbEEZZNS1_14partition_implILS8_4ELb0ES6_15HIP_vector_typeIjLj2EENS0_17counting_iteratorIjlEEPS9_SG_NS0_5tupleIJPjSI_NS0_16reverse_iteratorISI_EEEEENSH_IJSG_SG_SG_EEES9_SI_JZNS1_25segmented_radix_sort_implINS0_14default_configELb1EPKfPfPKlPlN2at6native12_GLOBAL__N_18offset_tEEE10hipError_tPvRmT1_PNSt15iterator_traitsIS12_E10value_typeET2_T3_PNS13_IS18_E10value_typeET4_jRbjT5_S1E_jjP12ihipStream_tbEUljE_ZNSN_ISO_Lb1ESQ_SR_ST_SU_SY_EESZ_S10_S11_S12_S16_S17_S18_S1B_S1C_jS1D_jS1E_S1E_jjS1G_bEUljE0_EEESZ_S10_S11_S18_S1C_S1E_T6_T7_T9_mT8_S1G_bDpT10_ENKUlT_T0_E_clISt17integral_constantIbLb1EES1T_IbLb0EEEEDaS1P_S1Q_EUlS1P_E_NS1_11comp_targetILNS1_3genE0ELNS1_11target_archE4294967295ELNS1_3gpuE0ELNS1_3repE0EEENS1_30default_config_static_selectorELNS0_4arch9wavefront6targetE0EEEvS12_
		.amdhsa_group_segment_fixed_size 0
		.amdhsa_private_segment_fixed_size 0
		.amdhsa_kernarg_size 176
		.amdhsa_user_sgpr_count 2
		.amdhsa_user_sgpr_dispatch_ptr 0
		.amdhsa_user_sgpr_queue_ptr 0
		.amdhsa_user_sgpr_kernarg_segment_ptr 1
		.amdhsa_user_sgpr_dispatch_id 0
		.amdhsa_user_sgpr_kernarg_preload_length 0
		.amdhsa_user_sgpr_kernarg_preload_offset 0
		.amdhsa_user_sgpr_private_segment_size 0
		.amdhsa_wavefront_size32 1
		.amdhsa_uses_dynamic_stack 0
		.amdhsa_enable_private_segment 0
		.amdhsa_system_sgpr_workgroup_id_x 1
		.amdhsa_system_sgpr_workgroup_id_y 0
		.amdhsa_system_sgpr_workgroup_id_z 0
		.amdhsa_system_sgpr_workgroup_info 0
		.amdhsa_system_vgpr_workitem_id 0
		.amdhsa_next_free_vgpr 1
		.amdhsa_next_free_sgpr 1
		.amdhsa_named_barrier_count 0
		.amdhsa_reserve_vcc 0
		.amdhsa_float_round_mode_32 0
		.amdhsa_float_round_mode_16_64 0
		.amdhsa_float_denorm_mode_32 3
		.amdhsa_float_denorm_mode_16_64 3
		.amdhsa_fp16_overflow 0
		.amdhsa_memory_ordered 1
		.amdhsa_forward_progress 1
		.amdhsa_inst_pref_size 1
		.amdhsa_round_robin_scheduling 0
		.amdhsa_exception_fp_ieee_invalid_op 0
		.amdhsa_exception_fp_denorm_src 0
		.amdhsa_exception_fp_ieee_div_zero 0
		.amdhsa_exception_fp_ieee_overflow 0
		.amdhsa_exception_fp_ieee_underflow 0
		.amdhsa_exception_fp_ieee_inexact 0
		.amdhsa_exception_int_div_zero 0
	.end_amdhsa_kernel
	.section	.text._ZN7rocprim17ROCPRIM_400000_NS6detail17trampoline_kernelINS0_13select_configILj256ELj13ELNS0_17block_load_methodE3ELS4_3ELS4_3ELNS0_20block_scan_algorithmE0ELj4294967295EEENS1_25partition_config_selectorILNS1_17partition_subalgoE4EjNS0_10empty_typeEbEEZZNS1_14partition_implILS8_4ELb0ES6_15HIP_vector_typeIjLj2EENS0_17counting_iteratorIjlEEPS9_SG_NS0_5tupleIJPjSI_NS0_16reverse_iteratorISI_EEEEENSH_IJSG_SG_SG_EEES9_SI_JZNS1_25segmented_radix_sort_implINS0_14default_configELb1EPKfPfPKlPlN2at6native12_GLOBAL__N_18offset_tEEE10hipError_tPvRmT1_PNSt15iterator_traitsIS12_E10value_typeET2_T3_PNS13_IS18_E10value_typeET4_jRbjT5_S1E_jjP12ihipStream_tbEUljE_ZNSN_ISO_Lb1ESQ_SR_ST_SU_SY_EESZ_S10_S11_S12_S16_S17_S18_S1B_S1C_jS1D_jS1E_S1E_jjS1G_bEUljE0_EEESZ_S10_S11_S18_S1C_S1E_T6_T7_T9_mT8_S1G_bDpT10_ENKUlT_T0_E_clISt17integral_constantIbLb1EES1T_IbLb0EEEEDaS1P_S1Q_EUlS1P_E_NS1_11comp_targetILNS1_3genE0ELNS1_11target_archE4294967295ELNS1_3gpuE0ELNS1_3repE0EEENS1_30default_config_static_selectorELNS0_4arch9wavefront6targetE0EEEvS12_,"axG",@progbits,_ZN7rocprim17ROCPRIM_400000_NS6detail17trampoline_kernelINS0_13select_configILj256ELj13ELNS0_17block_load_methodE3ELS4_3ELS4_3ELNS0_20block_scan_algorithmE0ELj4294967295EEENS1_25partition_config_selectorILNS1_17partition_subalgoE4EjNS0_10empty_typeEbEEZZNS1_14partition_implILS8_4ELb0ES6_15HIP_vector_typeIjLj2EENS0_17counting_iteratorIjlEEPS9_SG_NS0_5tupleIJPjSI_NS0_16reverse_iteratorISI_EEEEENSH_IJSG_SG_SG_EEES9_SI_JZNS1_25segmented_radix_sort_implINS0_14default_configELb1EPKfPfPKlPlN2at6native12_GLOBAL__N_18offset_tEEE10hipError_tPvRmT1_PNSt15iterator_traitsIS12_E10value_typeET2_T3_PNS13_IS18_E10value_typeET4_jRbjT5_S1E_jjP12ihipStream_tbEUljE_ZNSN_ISO_Lb1ESQ_SR_ST_SU_SY_EESZ_S10_S11_S12_S16_S17_S18_S1B_S1C_jS1D_jS1E_S1E_jjS1G_bEUljE0_EEESZ_S10_S11_S18_S1C_S1E_T6_T7_T9_mT8_S1G_bDpT10_ENKUlT_T0_E_clISt17integral_constantIbLb1EES1T_IbLb0EEEEDaS1P_S1Q_EUlS1P_E_NS1_11comp_targetILNS1_3genE0ELNS1_11target_archE4294967295ELNS1_3gpuE0ELNS1_3repE0EEENS1_30default_config_static_selectorELNS0_4arch9wavefront6targetE0EEEvS12_,comdat
.Lfunc_end1271:
	.size	_ZN7rocprim17ROCPRIM_400000_NS6detail17trampoline_kernelINS0_13select_configILj256ELj13ELNS0_17block_load_methodE3ELS4_3ELS4_3ELNS0_20block_scan_algorithmE0ELj4294967295EEENS1_25partition_config_selectorILNS1_17partition_subalgoE4EjNS0_10empty_typeEbEEZZNS1_14partition_implILS8_4ELb0ES6_15HIP_vector_typeIjLj2EENS0_17counting_iteratorIjlEEPS9_SG_NS0_5tupleIJPjSI_NS0_16reverse_iteratorISI_EEEEENSH_IJSG_SG_SG_EEES9_SI_JZNS1_25segmented_radix_sort_implINS0_14default_configELb1EPKfPfPKlPlN2at6native12_GLOBAL__N_18offset_tEEE10hipError_tPvRmT1_PNSt15iterator_traitsIS12_E10value_typeET2_T3_PNS13_IS18_E10value_typeET4_jRbjT5_S1E_jjP12ihipStream_tbEUljE_ZNSN_ISO_Lb1ESQ_SR_ST_SU_SY_EESZ_S10_S11_S12_S16_S17_S18_S1B_S1C_jS1D_jS1E_S1E_jjS1G_bEUljE0_EEESZ_S10_S11_S18_S1C_S1E_T6_T7_T9_mT8_S1G_bDpT10_ENKUlT_T0_E_clISt17integral_constantIbLb1EES1T_IbLb0EEEEDaS1P_S1Q_EUlS1P_E_NS1_11comp_targetILNS1_3genE0ELNS1_11target_archE4294967295ELNS1_3gpuE0ELNS1_3repE0EEENS1_30default_config_static_selectorELNS0_4arch9wavefront6targetE0EEEvS12_, .Lfunc_end1271-_ZN7rocprim17ROCPRIM_400000_NS6detail17trampoline_kernelINS0_13select_configILj256ELj13ELNS0_17block_load_methodE3ELS4_3ELS4_3ELNS0_20block_scan_algorithmE0ELj4294967295EEENS1_25partition_config_selectorILNS1_17partition_subalgoE4EjNS0_10empty_typeEbEEZZNS1_14partition_implILS8_4ELb0ES6_15HIP_vector_typeIjLj2EENS0_17counting_iteratorIjlEEPS9_SG_NS0_5tupleIJPjSI_NS0_16reverse_iteratorISI_EEEEENSH_IJSG_SG_SG_EEES9_SI_JZNS1_25segmented_radix_sort_implINS0_14default_configELb1EPKfPfPKlPlN2at6native12_GLOBAL__N_18offset_tEEE10hipError_tPvRmT1_PNSt15iterator_traitsIS12_E10value_typeET2_T3_PNS13_IS18_E10value_typeET4_jRbjT5_S1E_jjP12ihipStream_tbEUljE_ZNSN_ISO_Lb1ESQ_SR_ST_SU_SY_EESZ_S10_S11_S12_S16_S17_S18_S1B_S1C_jS1D_jS1E_S1E_jjS1G_bEUljE0_EEESZ_S10_S11_S18_S1C_S1E_T6_T7_T9_mT8_S1G_bDpT10_ENKUlT_T0_E_clISt17integral_constantIbLb1EES1T_IbLb0EEEEDaS1P_S1Q_EUlS1P_E_NS1_11comp_targetILNS1_3genE0ELNS1_11target_archE4294967295ELNS1_3gpuE0ELNS1_3repE0EEENS1_30default_config_static_selectorELNS0_4arch9wavefront6targetE0EEEvS12_
                                        ; -- End function
	.set _ZN7rocprim17ROCPRIM_400000_NS6detail17trampoline_kernelINS0_13select_configILj256ELj13ELNS0_17block_load_methodE3ELS4_3ELS4_3ELNS0_20block_scan_algorithmE0ELj4294967295EEENS1_25partition_config_selectorILNS1_17partition_subalgoE4EjNS0_10empty_typeEbEEZZNS1_14partition_implILS8_4ELb0ES6_15HIP_vector_typeIjLj2EENS0_17counting_iteratorIjlEEPS9_SG_NS0_5tupleIJPjSI_NS0_16reverse_iteratorISI_EEEEENSH_IJSG_SG_SG_EEES9_SI_JZNS1_25segmented_radix_sort_implINS0_14default_configELb1EPKfPfPKlPlN2at6native12_GLOBAL__N_18offset_tEEE10hipError_tPvRmT1_PNSt15iterator_traitsIS12_E10value_typeET2_T3_PNS13_IS18_E10value_typeET4_jRbjT5_S1E_jjP12ihipStream_tbEUljE_ZNSN_ISO_Lb1ESQ_SR_ST_SU_SY_EESZ_S10_S11_S12_S16_S17_S18_S1B_S1C_jS1D_jS1E_S1E_jjS1G_bEUljE0_EEESZ_S10_S11_S18_S1C_S1E_T6_T7_T9_mT8_S1G_bDpT10_ENKUlT_T0_E_clISt17integral_constantIbLb1EES1T_IbLb0EEEEDaS1P_S1Q_EUlS1P_E_NS1_11comp_targetILNS1_3genE0ELNS1_11target_archE4294967295ELNS1_3gpuE0ELNS1_3repE0EEENS1_30default_config_static_selectorELNS0_4arch9wavefront6targetE0EEEvS12_.num_vgpr, 0
	.set _ZN7rocprim17ROCPRIM_400000_NS6detail17trampoline_kernelINS0_13select_configILj256ELj13ELNS0_17block_load_methodE3ELS4_3ELS4_3ELNS0_20block_scan_algorithmE0ELj4294967295EEENS1_25partition_config_selectorILNS1_17partition_subalgoE4EjNS0_10empty_typeEbEEZZNS1_14partition_implILS8_4ELb0ES6_15HIP_vector_typeIjLj2EENS0_17counting_iteratorIjlEEPS9_SG_NS0_5tupleIJPjSI_NS0_16reverse_iteratorISI_EEEEENSH_IJSG_SG_SG_EEES9_SI_JZNS1_25segmented_radix_sort_implINS0_14default_configELb1EPKfPfPKlPlN2at6native12_GLOBAL__N_18offset_tEEE10hipError_tPvRmT1_PNSt15iterator_traitsIS12_E10value_typeET2_T3_PNS13_IS18_E10value_typeET4_jRbjT5_S1E_jjP12ihipStream_tbEUljE_ZNSN_ISO_Lb1ESQ_SR_ST_SU_SY_EESZ_S10_S11_S12_S16_S17_S18_S1B_S1C_jS1D_jS1E_S1E_jjS1G_bEUljE0_EEESZ_S10_S11_S18_S1C_S1E_T6_T7_T9_mT8_S1G_bDpT10_ENKUlT_T0_E_clISt17integral_constantIbLb1EES1T_IbLb0EEEEDaS1P_S1Q_EUlS1P_E_NS1_11comp_targetILNS1_3genE0ELNS1_11target_archE4294967295ELNS1_3gpuE0ELNS1_3repE0EEENS1_30default_config_static_selectorELNS0_4arch9wavefront6targetE0EEEvS12_.num_agpr, 0
	.set _ZN7rocprim17ROCPRIM_400000_NS6detail17trampoline_kernelINS0_13select_configILj256ELj13ELNS0_17block_load_methodE3ELS4_3ELS4_3ELNS0_20block_scan_algorithmE0ELj4294967295EEENS1_25partition_config_selectorILNS1_17partition_subalgoE4EjNS0_10empty_typeEbEEZZNS1_14partition_implILS8_4ELb0ES6_15HIP_vector_typeIjLj2EENS0_17counting_iteratorIjlEEPS9_SG_NS0_5tupleIJPjSI_NS0_16reverse_iteratorISI_EEEEENSH_IJSG_SG_SG_EEES9_SI_JZNS1_25segmented_radix_sort_implINS0_14default_configELb1EPKfPfPKlPlN2at6native12_GLOBAL__N_18offset_tEEE10hipError_tPvRmT1_PNSt15iterator_traitsIS12_E10value_typeET2_T3_PNS13_IS18_E10value_typeET4_jRbjT5_S1E_jjP12ihipStream_tbEUljE_ZNSN_ISO_Lb1ESQ_SR_ST_SU_SY_EESZ_S10_S11_S12_S16_S17_S18_S1B_S1C_jS1D_jS1E_S1E_jjS1G_bEUljE0_EEESZ_S10_S11_S18_S1C_S1E_T6_T7_T9_mT8_S1G_bDpT10_ENKUlT_T0_E_clISt17integral_constantIbLb1EES1T_IbLb0EEEEDaS1P_S1Q_EUlS1P_E_NS1_11comp_targetILNS1_3genE0ELNS1_11target_archE4294967295ELNS1_3gpuE0ELNS1_3repE0EEENS1_30default_config_static_selectorELNS0_4arch9wavefront6targetE0EEEvS12_.numbered_sgpr, 0
	.set _ZN7rocprim17ROCPRIM_400000_NS6detail17trampoline_kernelINS0_13select_configILj256ELj13ELNS0_17block_load_methodE3ELS4_3ELS4_3ELNS0_20block_scan_algorithmE0ELj4294967295EEENS1_25partition_config_selectorILNS1_17partition_subalgoE4EjNS0_10empty_typeEbEEZZNS1_14partition_implILS8_4ELb0ES6_15HIP_vector_typeIjLj2EENS0_17counting_iteratorIjlEEPS9_SG_NS0_5tupleIJPjSI_NS0_16reverse_iteratorISI_EEEEENSH_IJSG_SG_SG_EEES9_SI_JZNS1_25segmented_radix_sort_implINS0_14default_configELb1EPKfPfPKlPlN2at6native12_GLOBAL__N_18offset_tEEE10hipError_tPvRmT1_PNSt15iterator_traitsIS12_E10value_typeET2_T3_PNS13_IS18_E10value_typeET4_jRbjT5_S1E_jjP12ihipStream_tbEUljE_ZNSN_ISO_Lb1ESQ_SR_ST_SU_SY_EESZ_S10_S11_S12_S16_S17_S18_S1B_S1C_jS1D_jS1E_S1E_jjS1G_bEUljE0_EEESZ_S10_S11_S18_S1C_S1E_T6_T7_T9_mT8_S1G_bDpT10_ENKUlT_T0_E_clISt17integral_constantIbLb1EES1T_IbLb0EEEEDaS1P_S1Q_EUlS1P_E_NS1_11comp_targetILNS1_3genE0ELNS1_11target_archE4294967295ELNS1_3gpuE0ELNS1_3repE0EEENS1_30default_config_static_selectorELNS0_4arch9wavefront6targetE0EEEvS12_.num_named_barrier, 0
	.set _ZN7rocprim17ROCPRIM_400000_NS6detail17trampoline_kernelINS0_13select_configILj256ELj13ELNS0_17block_load_methodE3ELS4_3ELS4_3ELNS0_20block_scan_algorithmE0ELj4294967295EEENS1_25partition_config_selectorILNS1_17partition_subalgoE4EjNS0_10empty_typeEbEEZZNS1_14partition_implILS8_4ELb0ES6_15HIP_vector_typeIjLj2EENS0_17counting_iteratorIjlEEPS9_SG_NS0_5tupleIJPjSI_NS0_16reverse_iteratorISI_EEEEENSH_IJSG_SG_SG_EEES9_SI_JZNS1_25segmented_radix_sort_implINS0_14default_configELb1EPKfPfPKlPlN2at6native12_GLOBAL__N_18offset_tEEE10hipError_tPvRmT1_PNSt15iterator_traitsIS12_E10value_typeET2_T3_PNS13_IS18_E10value_typeET4_jRbjT5_S1E_jjP12ihipStream_tbEUljE_ZNSN_ISO_Lb1ESQ_SR_ST_SU_SY_EESZ_S10_S11_S12_S16_S17_S18_S1B_S1C_jS1D_jS1E_S1E_jjS1G_bEUljE0_EEESZ_S10_S11_S18_S1C_S1E_T6_T7_T9_mT8_S1G_bDpT10_ENKUlT_T0_E_clISt17integral_constantIbLb1EES1T_IbLb0EEEEDaS1P_S1Q_EUlS1P_E_NS1_11comp_targetILNS1_3genE0ELNS1_11target_archE4294967295ELNS1_3gpuE0ELNS1_3repE0EEENS1_30default_config_static_selectorELNS0_4arch9wavefront6targetE0EEEvS12_.private_seg_size, 0
	.set _ZN7rocprim17ROCPRIM_400000_NS6detail17trampoline_kernelINS0_13select_configILj256ELj13ELNS0_17block_load_methodE3ELS4_3ELS4_3ELNS0_20block_scan_algorithmE0ELj4294967295EEENS1_25partition_config_selectorILNS1_17partition_subalgoE4EjNS0_10empty_typeEbEEZZNS1_14partition_implILS8_4ELb0ES6_15HIP_vector_typeIjLj2EENS0_17counting_iteratorIjlEEPS9_SG_NS0_5tupleIJPjSI_NS0_16reverse_iteratorISI_EEEEENSH_IJSG_SG_SG_EEES9_SI_JZNS1_25segmented_radix_sort_implINS0_14default_configELb1EPKfPfPKlPlN2at6native12_GLOBAL__N_18offset_tEEE10hipError_tPvRmT1_PNSt15iterator_traitsIS12_E10value_typeET2_T3_PNS13_IS18_E10value_typeET4_jRbjT5_S1E_jjP12ihipStream_tbEUljE_ZNSN_ISO_Lb1ESQ_SR_ST_SU_SY_EESZ_S10_S11_S12_S16_S17_S18_S1B_S1C_jS1D_jS1E_S1E_jjS1G_bEUljE0_EEESZ_S10_S11_S18_S1C_S1E_T6_T7_T9_mT8_S1G_bDpT10_ENKUlT_T0_E_clISt17integral_constantIbLb1EES1T_IbLb0EEEEDaS1P_S1Q_EUlS1P_E_NS1_11comp_targetILNS1_3genE0ELNS1_11target_archE4294967295ELNS1_3gpuE0ELNS1_3repE0EEENS1_30default_config_static_selectorELNS0_4arch9wavefront6targetE0EEEvS12_.uses_vcc, 0
	.set _ZN7rocprim17ROCPRIM_400000_NS6detail17trampoline_kernelINS0_13select_configILj256ELj13ELNS0_17block_load_methodE3ELS4_3ELS4_3ELNS0_20block_scan_algorithmE0ELj4294967295EEENS1_25partition_config_selectorILNS1_17partition_subalgoE4EjNS0_10empty_typeEbEEZZNS1_14partition_implILS8_4ELb0ES6_15HIP_vector_typeIjLj2EENS0_17counting_iteratorIjlEEPS9_SG_NS0_5tupleIJPjSI_NS0_16reverse_iteratorISI_EEEEENSH_IJSG_SG_SG_EEES9_SI_JZNS1_25segmented_radix_sort_implINS0_14default_configELb1EPKfPfPKlPlN2at6native12_GLOBAL__N_18offset_tEEE10hipError_tPvRmT1_PNSt15iterator_traitsIS12_E10value_typeET2_T3_PNS13_IS18_E10value_typeET4_jRbjT5_S1E_jjP12ihipStream_tbEUljE_ZNSN_ISO_Lb1ESQ_SR_ST_SU_SY_EESZ_S10_S11_S12_S16_S17_S18_S1B_S1C_jS1D_jS1E_S1E_jjS1G_bEUljE0_EEESZ_S10_S11_S18_S1C_S1E_T6_T7_T9_mT8_S1G_bDpT10_ENKUlT_T0_E_clISt17integral_constantIbLb1EES1T_IbLb0EEEEDaS1P_S1Q_EUlS1P_E_NS1_11comp_targetILNS1_3genE0ELNS1_11target_archE4294967295ELNS1_3gpuE0ELNS1_3repE0EEENS1_30default_config_static_selectorELNS0_4arch9wavefront6targetE0EEEvS12_.uses_flat_scratch, 0
	.set _ZN7rocprim17ROCPRIM_400000_NS6detail17trampoline_kernelINS0_13select_configILj256ELj13ELNS0_17block_load_methodE3ELS4_3ELS4_3ELNS0_20block_scan_algorithmE0ELj4294967295EEENS1_25partition_config_selectorILNS1_17partition_subalgoE4EjNS0_10empty_typeEbEEZZNS1_14partition_implILS8_4ELb0ES6_15HIP_vector_typeIjLj2EENS0_17counting_iteratorIjlEEPS9_SG_NS0_5tupleIJPjSI_NS0_16reverse_iteratorISI_EEEEENSH_IJSG_SG_SG_EEES9_SI_JZNS1_25segmented_radix_sort_implINS0_14default_configELb1EPKfPfPKlPlN2at6native12_GLOBAL__N_18offset_tEEE10hipError_tPvRmT1_PNSt15iterator_traitsIS12_E10value_typeET2_T3_PNS13_IS18_E10value_typeET4_jRbjT5_S1E_jjP12ihipStream_tbEUljE_ZNSN_ISO_Lb1ESQ_SR_ST_SU_SY_EESZ_S10_S11_S12_S16_S17_S18_S1B_S1C_jS1D_jS1E_S1E_jjS1G_bEUljE0_EEESZ_S10_S11_S18_S1C_S1E_T6_T7_T9_mT8_S1G_bDpT10_ENKUlT_T0_E_clISt17integral_constantIbLb1EES1T_IbLb0EEEEDaS1P_S1Q_EUlS1P_E_NS1_11comp_targetILNS1_3genE0ELNS1_11target_archE4294967295ELNS1_3gpuE0ELNS1_3repE0EEENS1_30default_config_static_selectorELNS0_4arch9wavefront6targetE0EEEvS12_.has_dyn_sized_stack, 0
	.set _ZN7rocprim17ROCPRIM_400000_NS6detail17trampoline_kernelINS0_13select_configILj256ELj13ELNS0_17block_load_methodE3ELS4_3ELS4_3ELNS0_20block_scan_algorithmE0ELj4294967295EEENS1_25partition_config_selectorILNS1_17partition_subalgoE4EjNS0_10empty_typeEbEEZZNS1_14partition_implILS8_4ELb0ES6_15HIP_vector_typeIjLj2EENS0_17counting_iteratorIjlEEPS9_SG_NS0_5tupleIJPjSI_NS0_16reverse_iteratorISI_EEEEENSH_IJSG_SG_SG_EEES9_SI_JZNS1_25segmented_radix_sort_implINS0_14default_configELb1EPKfPfPKlPlN2at6native12_GLOBAL__N_18offset_tEEE10hipError_tPvRmT1_PNSt15iterator_traitsIS12_E10value_typeET2_T3_PNS13_IS18_E10value_typeET4_jRbjT5_S1E_jjP12ihipStream_tbEUljE_ZNSN_ISO_Lb1ESQ_SR_ST_SU_SY_EESZ_S10_S11_S12_S16_S17_S18_S1B_S1C_jS1D_jS1E_S1E_jjS1G_bEUljE0_EEESZ_S10_S11_S18_S1C_S1E_T6_T7_T9_mT8_S1G_bDpT10_ENKUlT_T0_E_clISt17integral_constantIbLb1EES1T_IbLb0EEEEDaS1P_S1Q_EUlS1P_E_NS1_11comp_targetILNS1_3genE0ELNS1_11target_archE4294967295ELNS1_3gpuE0ELNS1_3repE0EEENS1_30default_config_static_selectorELNS0_4arch9wavefront6targetE0EEEvS12_.has_recursion, 0
	.set _ZN7rocprim17ROCPRIM_400000_NS6detail17trampoline_kernelINS0_13select_configILj256ELj13ELNS0_17block_load_methodE3ELS4_3ELS4_3ELNS0_20block_scan_algorithmE0ELj4294967295EEENS1_25partition_config_selectorILNS1_17partition_subalgoE4EjNS0_10empty_typeEbEEZZNS1_14partition_implILS8_4ELb0ES6_15HIP_vector_typeIjLj2EENS0_17counting_iteratorIjlEEPS9_SG_NS0_5tupleIJPjSI_NS0_16reverse_iteratorISI_EEEEENSH_IJSG_SG_SG_EEES9_SI_JZNS1_25segmented_radix_sort_implINS0_14default_configELb1EPKfPfPKlPlN2at6native12_GLOBAL__N_18offset_tEEE10hipError_tPvRmT1_PNSt15iterator_traitsIS12_E10value_typeET2_T3_PNS13_IS18_E10value_typeET4_jRbjT5_S1E_jjP12ihipStream_tbEUljE_ZNSN_ISO_Lb1ESQ_SR_ST_SU_SY_EESZ_S10_S11_S12_S16_S17_S18_S1B_S1C_jS1D_jS1E_S1E_jjS1G_bEUljE0_EEESZ_S10_S11_S18_S1C_S1E_T6_T7_T9_mT8_S1G_bDpT10_ENKUlT_T0_E_clISt17integral_constantIbLb1EES1T_IbLb0EEEEDaS1P_S1Q_EUlS1P_E_NS1_11comp_targetILNS1_3genE0ELNS1_11target_archE4294967295ELNS1_3gpuE0ELNS1_3repE0EEENS1_30default_config_static_selectorELNS0_4arch9wavefront6targetE0EEEvS12_.has_indirect_call, 0
	.section	.AMDGPU.csdata,"",@progbits
; Kernel info:
; codeLenInByte = 4
; TotalNumSgprs: 0
; NumVgprs: 0
; ScratchSize: 0
; MemoryBound: 0
; FloatMode: 240
; IeeeMode: 1
; LDSByteSize: 0 bytes/workgroup (compile time only)
; SGPRBlocks: 0
; VGPRBlocks: 0
; NumSGPRsForWavesPerEU: 1
; NumVGPRsForWavesPerEU: 1
; NamedBarCnt: 0
; Occupancy: 16
; WaveLimiterHint : 0
; COMPUTE_PGM_RSRC2:SCRATCH_EN: 0
; COMPUTE_PGM_RSRC2:USER_SGPR: 2
; COMPUTE_PGM_RSRC2:TRAP_HANDLER: 0
; COMPUTE_PGM_RSRC2:TGID_X_EN: 1
; COMPUTE_PGM_RSRC2:TGID_Y_EN: 0
; COMPUTE_PGM_RSRC2:TGID_Z_EN: 0
; COMPUTE_PGM_RSRC2:TIDIG_COMP_CNT: 0
	.section	.text._ZN7rocprim17ROCPRIM_400000_NS6detail17trampoline_kernelINS0_13select_configILj256ELj13ELNS0_17block_load_methodE3ELS4_3ELS4_3ELNS0_20block_scan_algorithmE0ELj4294967295EEENS1_25partition_config_selectorILNS1_17partition_subalgoE4EjNS0_10empty_typeEbEEZZNS1_14partition_implILS8_4ELb0ES6_15HIP_vector_typeIjLj2EENS0_17counting_iteratorIjlEEPS9_SG_NS0_5tupleIJPjSI_NS0_16reverse_iteratorISI_EEEEENSH_IJSG_SG_SG_EEES9_SI_JZNS1_25segmented_radix_sort_implINS0_14default_configELb1EPKfPfPKlPlN2at6native12_GLOBAL__N_18offset_tEEE10hipError_tPvRmT1_PNSt15iterator_traitsIS12_E10value_typeET2_T3_PNS13_IS18_E10value_typeET4_jRbjT5_S1E_jjP12ihipStream_tbEUljE_ZNSN_ISO_Lb1ESQ_SR_ST_SU_SY_EESZ_S10_S11_S12_S16_S17_S18_S1B_S1C_jS1D_jS1E_S1E_jjS1G_bEUljE0_EEESZ_S10_S11_S18_S1C_S1E_T6_T7_T9_mT8_S1G_bDpT10_ENKUlT_T0_E_clISt17integral_constantIbLb1EES1T_IbLb0EEEEDaS1P_S1Q_EUlS1P_E_NS1_11comp_targetILNS1_3genE5ELNS1_11target_archE942ELNS1_3gpuE9ELNS1_3repE0EEENS1_30default_config_static_selectorELNS0_4arch9wavefront6targetE0EEEvS12_,"axG",@progbits,_ZN7rocprim17ROCPRIM_400000_NS6detail17trampoline_kernelINS0_13select_configILj256ELj13ELNS0_17block_load_methodE3ELS4_3ELS4_3ELNS0_20block_scan_algorithmE0ELj4294967295EEENS1_25partition_config_selectorILNS1_17partition_subalgoE4EjNS0_10empty_typeEbEEZZNS1_14partition_implILS8_4ELb0ES6_15HIP_vector_typeIjLj2EENS0_17counting_iteratorIjlEEPS9_SG_NS0_5tupleIJPjSI_NS0_16reverse_iteratorISI_EEEEENSH_IJSG_SG_SG_EEES9_SI_JZNS1_25segmented_radix_sort_implINS0_14default_configELb1EPKfPfPKlPlN2at6native12_GLOBAL__N_18offset_tEEE10hipError_tPvRmT1_PNSt15iterator_traitsIS12_E10value_typeET2_T3_PNS13_IS18_E10value_typeET4_jRbjT5_S1E_jjP12ihipStream_tbEUljE_ZNSN_ISO_Lb1ESQ_SR_ST_SU_SY_EESZ_S10_S11_S12_S16_S17_S18_S1B_S1C_jS1D_jS1E_S1E_jjS1G_bEUljE0_EEESZ_S10_S11_S18_S1C_S1E_T6_T7_T9_mT8_S1G_bDpT10_ENKUlT_T0_E_clISt17integral_constantIbLb1EES1T_IbLb0EEEEDaS1P_S1Q_EUlS1P_E_NS1_11comp_targetILNS1_3genE5ELNS1_11target_archE942ELNS1_3gpuE9ELNS1_3repE0EEENS1_30default_config_static_selectorELNS0_4arch9wavefront6targetE0EEEvS12_,comdat
	.globl	_ZN7rocprim17ROCPRIM_400000_NS6detail17trampoline_kernelINS0_13select_configILj256ELj13ELNS0_17block_load_methodE3ELS4_3ELS4_3ELNS0_20block_scan_algorithmE0ELj4294967295EEENS1_25partition_config_selectorILNS1_17partition_subalgoE4EjNS0_10empty_typeEbEEZZNS1_14partition_implILS8_4ELb0ES6_15HIP_vector_typeIjLj2EENS0_17counting_iteratorIjlEEPS9_SG_NS0_5tupleIJPjSI_NS0_16reverse_iteratorISI_EEEEENSH_IJSG_SG_SG_EEES9_SI_JZNS1_25segmented_radix_sort_implINS0_14default_configELb1EPKfPfPKlPlN2at6native12_GLOBAL__N_18offset_tEEE10hipError_tPvRmT1_PNSt15iterator_traitsIS12_E10value_typeET2_T3_PNS13_IS18_E10value_typeET4_jRbjT5_S1E_jjP12ihipStream_tbEUljE_ZNSN_ISO_Lb1ESQ_SR_ST_SU_SY_EESZ_S10_S11_S12_S16_S17_S18_S1B_S1C_jS1D_jS1E_S1E_jjS1G_bEUljE0_EEESZ_S10_S11_S18_S1C_S1E_T6_T7_T9_mT8_S1G_bDpT10_ENKUlT_T0_E_clISt17integral_constantIbLb1EES1T_IbLb0EEEEDaS1P_S1Q_EUlS1P_E_NS1_11comp_targetILNS1_3genE5ELNS1_11target_archE942ELNS1_3gpuE9ELNS1_3repE0EEENS1_30default_config_static_selectorELNS0_4arch9wavefront6targetE0EEEvS12_ ; -- Begin function _ZN7rocprim17ROCPRIM_400000_NS6detail17trampoline_kernelINS0_13select_configILj256ELj13ELNS0_17block_load_methodE3ELS4_3ELS4_3ELNS0_20block_scan_algorithmE0ELj4294967295EEENS1_25partition_config_selectorILNS1_17partition_subalgoE4EjNS0_10empty_typeEbEEZZNS1_14partition_implILS8_4ELb0ES6_15HIP_vector_typeIjLj2EENS0_17counting_iteratorIjlEEPS9_SG_NS0_5tupleIJPjSI_NS0_16reverse_iteratorISI_EEEEENSH_IJSG_SG_SG_EEES9_SI_JZNS1_25segmented_radix_sort_implINS0_14default_configELb1EPKfPfPKlPlN2at6native12_GLOBAL__N_18offset_tEEE10hipError_tPvRmT1_PNSt15iterator_traitsIS12_E10value_typeET2_T3_PNS13_IS18_E10value_typeET4_jRbjT5_S1E_jjP12ihipStream_tbEUljE_ZNSN_ISO_Lb1ESQ_SR_ST_SU_SY_EESZ_S10_S11_S12_S16_S17_S18_S1B_S1C_jS1D_jS1E_S1E_jjS1G_bEUljE0_EEESZ_S10_S11_S18_S1C_S1E_T6_T7_T9_mT8_S1G_bDpT10_ENKUlT_T0_E_clISt17integral_constantIbLb1EES1T_IbLb0EEEEDaS1P_S1Q_EUlS1P_E_NS1_11comp_targetILNS1_3genE5ELNS1_11target_archE942ELNS1_3gpuE9ELNS1_3repE0EEENS1_30default_config_static_selectorELNS0_4arch9wavefront6targetE0EEEvS12_
	.p2align	8
	.type	_ZN7rocprim17ROCPRIM_400000_NS6detail17trampoline_kernelINS0_13select_configILj256ELj13ELNS0_17block_load_methodE3ELS4_3ELS4_3ELNS0_20block_scan_algorithmE0ELj4294967295EEENS1_25partition_config_selectorILNS1_17partition_subalgoE4EjNS0_10empty_typeEbEEZZNS1_14partition_implILS8_4ELb0ES6_15HIP_vector_typeIjLj2EENS0_17counting_iteratorIjlEEPS9_SG_NS0_5tupleIJPjSI_NS0_16reverse_iteratorISI_EEEEENSH_IJSG_SG_SG_EEES9_SI_JZNS1_25segmented_radix_sort_implINS0_14default_configELb1EPKfPfPKlPlN2at6native12_GLOBAL__N_18offset_tEEE10hipError_tPvRmT1_PNSt15iterator_traitsIS12_E10value_typeET2_T3_PNS13_IS18_E10value_typeET4_jRbjT5_S1E_jjP12ihipStream_tbEUljE_ZNSN_ISO_Lb1ESQ_SR_ST_SU_SY_EESZ_S10_S11_S12_S16_S17_S18_S1B_S1C_jS1D_jS1E_S1E_jjS1G_bEUljE0_EEESZ_S10_S11_S18_S1C_S1E_T6_T7_T9_mT8_S1G_bDpT10_ENKUlT_T0_E_clISt17integral_constantIbLb1EES1T_IbLb0EEEEDaS1P_S1Q_EUlS1P_E_NS1_11comp_targetILNS1_3genE5ELNS1_11target_archE942ELNS1_3gpuE9ELNS1_3repE0EEENS1_30default_config_static_selectorELNS0_4arch9wavefront6targetE0EEEvS12_,@function
_ZN7rocprim17ROCPRIM_400000_NS6detail17trampoline_kernelINS0_13select_configILj256ELj13ELNS0_17block_load_methodE3ELS4_3ELS4_3ELNS0_20block_scan_algorithmE0ELj4294967295EEENS1_25partition_config_selectorILNS1_17partition_subalgoE4EjNS0_10empty_typeEbEEZZNS1_14partition_implILS8_4ELb0ES6_15HIP_vector_typeIjLj2EENS0_17counting_iteratorIjlEEPS9_SG_NS0_5tupleIJPjSI_NS0_16reverse_iteratorISI_EEEEENSH_IJSG_SG_SG_EEES9_SI_JZNS1_25segmented_radix_sort_implINS0_14default_configELb1EPKfPfPKlPlN2at6native12_GLOBAL__N_18offset_tEEE10hipError_tPvRmT1_PNSt15iterator_traitsIS12_E10value_typeET2_T3_PNS13_IS18_E10value_typeET4_jRbjT5_S1E_jjP12ihipStream_tbEUljE_ZNSN_ISO_Lb1ESQ_SR_ST_SU_SY_EESZ_S10_S11_S12_S16_S17_S18_S1B_S1C_jS1D_jS1E_S1E_jjS1G_bEUljE0_EEESZ_S10_S11_S18_S1C_S1E_T6_T7_T9_mT8_S1G_bDpT10_ENKUlT_T0_E_clISt17integral_constantIbLb1EES1T_IbLb0EEEEDaS1P_S1Q_EUlS1P_E_NS1_11comp_targetILNS1_3genE5ELNS1_11target_archE942ELNS1_3gpuE9ELNS1_3repE0EEENS1_30default_config_static_selectorELNS0_4arch9wavefront6targetE0EEEvS12_: ; @_ZN7rocprim17ROCPRIM_400000_NS6detail17trampoline_kernelINS0_13select_configILj256ELj13ELNS0_17block_load_methodE3ELS4_3ELS4_3ELNS0_20block_scan_algorithmE0ELj4294967295EEENS1_25partition_config_selectorILNS1_17partition_subalgoE4EjNS0_10empty_typeEbEEZZNS1_14partition_implILS8_4ELb0ES6_15HIP_vector_typeIjLj2EENS0_17counting_iteratorIjlEEPS9_SG_NS0_5tupleIJPjSI_NS0_16reverse_iteratorISI_EEEEENSH_IJSG_SG_SG_EEES9_SI_JZNS1_25segmented_radix_sort_implINS0_14default_configELb1EPKfPfPKlPlN2at6native12_GLOBAL__N_18offset_tEEE10hipError_tPvRmT1_PNSt15iterator_traitsIS12_E10value_typeET2_T3_PNS13_IS18_E10value_typeET4_jRbjT5_S1E_jjP12ihipStream_tbEUljE_ZNSN_ISO_Lb1ESQ_SR_ST_SU_SY_EESZ_S10_S11_S12_S16_S17_S18_S1B_S1C_jS1D_jS1E_S1E_jjS1G_bEUljE0_EEESZ_S10_S11_S18_S1C_S1E_T6_T7_T9_mT8_S1G_bDpT10_ENKUlT_T0_E_clISt17integral_constantIbLb1EES1T_IbLb0EEEEDaS1P_S1Q_EUlS1P_E_NS1_11comp_targetILNS1_3genE5ELNS1_11target_archE942ELNS1_3gpuE9ELNS1_3repE0EEENS1_30default_config_static_selectorELNS0_4arch9wavefront6targetE0EEEvS12_
; %bb.0:
	.section	.rodata,"a",@progbits
	.p2align	6, 0x0
	.amdhsa_kernel _ZN7rocprim17ROCPRIM_400000_NS6detail17trampoline_kernelINS0_13select_configILj256ELj13ELNS0_17block_load_methodE3ELS4_3ELS4_3ELNS0_20block_scan_algorithmE0ELj4294967295EEENS1_25partition_config_selectorILNS1_17partition_subalgoE4EjNS0_10empty_typeEbEEZZNS1_14partition_implILS8_4ELb0ES6_15HIP_vector_typeIjLj2EENS0_17counting_iteratorIjlEEPS9_SG_NS0_5tupleIJPjSI_NS0_16reverse_iteratorISI_EEEEENSH_IJSG_SG_SG_EEES9_SI_JZNS1_25segmented_radix_sort_implINS0_14default_configELb1EPKfPfPKlPlN2at6native12_GLOBAL__N_18offset_tEEE10hipError_tPvRmT1_PNSt15iterator_traitsIS12_E10value_typeET2_T3_PNS13_IS18_E10value_typeET4_jRbjT5_S1E_jjP12ihipStream_tbEUljE_ZNSN_ISO_Lb1ESQ_SR_ST_SU_SY_EESZ_S10_S11_S12_S16_S17_S18_S1B_S1C_jS1D_jS1E_S1E_jjS1G_bEUljE0_EEESZ_S10_S11_S18_S1C_S1E_T6_T7_T9_mT8_S1G_bDpT10_ENKUlT_T0_E_clISt17integral_constantIbLb1EES1T_IbLb0EEEEDaS1P_S1Q_EUlS1P_E_NS1_11comp_targetILNS1_3genE5ELNS1_11target_archE942ELNS1_3gpuE9ELNS1_3repE0EEENS1_30default_config_static_selectorELNS0_4arch9wavefront6targetE0EEEvS12_
		.amdhsa_group_segment_fixed_size 0
		.amdhsa_private_segment_fixed_size 0
		.amdhsa_kernarg_size 176
		.amdhsa_user_sgpr_count 2
		.amdhsa_user_sgpr_dispatch_ptr 0
		.amdhsa_user_sgpr_queue_ptr 0
		.amdhsa_user_sgpr_kernarg_segment_ptr 1
		.amdhsa_user_sgpr_dispatch_id 0
		.amdhsa_user_sgpr_kernarg_preload_length 0
		.amdhsa_user_sgpr_kernarg_preload_offset 0
		.amdhsa_user_sgpr_private_segment_size 0
		.amdhsa_wavefront_size32 1
		.amdhsa_uses_dynamic_stack 0
		.amdhsa_enable_private_segment 0
		.amdhsa_system_sgpr_workgroup_id_x 1
		.amdhsa_system_sgpr_workgroup_id_y 0
		.amdhsa_system_sgpr_workgroup_id_z 0
		.amdhsa_system_sgpr_workgroup_info 0
		.amdhsa_system_vgpr_workitem_id 0
		.amdhsa_next_free_vgpr 1
		.amdhsa_next_free_sgpr 1
		.amdhsa_named_barrier_count 0
		.amdhsa_reserve_vcc 0
		.amdhsa_float_round_mode_32 0
		.amdhsa_float_round_mode_16_64 0
		.amdhsa_float_denorm_mode_32 3
		.amdhsa_float_denorm_mode_16_64 3
		.amdhsa_fp16_overflow 0
		.amdhsa_memory_ordered 1
		.amdhsa_forward_progress 1
		.amdhsa_inst_pref_size 0
		.amdhsa_round_robin_scheduling 0
		.amdhsa_exception_fp_ieee_invalid_op 0
		.amdhsa_exception_fp_denorm_src 0
		.amdhsa_exception_fp_ieee_div_zero 0
		.amdhsa_exception_fp_ieee_overflow 0
		.amdhsa_exception_fp_ieee_underflow 0
		.amdhsa_exception_fp_ieee_inexact 0
		.amdhsa_exception_int_div_zero 0
	.end_amdhsa_kernel
	.section	.text._ZN7rocprim17ROCPRIM_400000_NS6detail17trampoline_kernelINS0_13select_configILj256ELj13ELNS0_17block_load_methodE3ELS4_3ELS4_3ELNS0_20block_scan_algorithmE0ELj4294967295EEENS1_25partition_config_selectorILNS1_17partition_subalgoE4EjNS0_10empty_typeEbEEZZNS1_14partition_implILS8_4ELb0ES6_15HIP_vector_typeIjLj2EENS0_17counting_iteratorIjlEEPS9_SG_NS0_5tupleIJPjSI_NS0_16reverse_iteratorISI_EEEEENSH_IJSG_SG_SG_EEES9_SI_JZNS1_25segmented_radix_sort_implINS0_14default_configELb1EPKfPfPKlPlN2at6native12_GLOBAL__N_18offset_tEEE10hipError_tPvRmT1_PNSt15iterator_traitsIS12_E10value_typeET2_T3_PNS13_IS18_E10value_typeET4_jRbjT5_S1E_jjP12ihipStream_tbEUljE_ZNSN_ISO_Lb1ESQ_SR_ST_SU_SY_EESZ_S10_S11_S12_S16_S17_S18_S1B_S1C_jS1D_jS1E_S1E_jjS1G_bEUljE0_EEESZ_S10_S11_S18_S1C_S1E_T6_T7_T9_mT8_S1G_bDpT10_ENKUlT_T0_E_clISt17integral_constantIbLb1EES1T_IbLb0EEEEDaS1P_S1Q_EUlS1P_E_NS1_11comp_targetILNS1_3genE5ELNS1_11target_archE942ELNS1_3gpuE9ELNS1_3repE0EEENS1_30default_config_static_selectorELNS0_4arch9wavefront6targetE0EEEvS12_,"axG",@progbits,_ZN7rocprim17ROCPRIM_400000_NS6detail17trampoline_kernelINS0_13select_configILj256ELj13ELNS0_17block_load_methodE3ELS4_3ELS4_3ELNS0_20block_scan_algorithmE0ELj4294967295EEENS1_25partition_config_selectorILNS1_17partition_subalgoE4EjNS0_10empty_typeEbEEZZNS1_14partition_implILS8_4ELb0ES6_15HIP_vector_typeIjLj2EENS0_17counting_iteratorIjlEEPS9_SG_NS0_5tupleIJPjSI_NS0_16reverse_iteratorISI_EEEEENSH_IJSG_SG_SG_EEES9_SI_JZNS1_25segmented_radix_sort_implINS0_14default_configELb1EPKfPfPKlPlN2at6native12_GLOBAL__N_18offset_tEEE10hipError_tPvRmT1_PNSt15iterator_traitsIS12_E10value_typeET2_T3_PNS13_IS18_E10value_typeET4_jRbjT5_S1E_jjP12ihipStream_tbEUljE_ZNSN_ISO_Lb1ESQ_SR_ST_SU_SY_EESZ_S10_S11_S12_S16_S17_S18_S1B_S1C_jS1D_jS1E_S1E_jjS1G_bEUljE0_EEESZ_S10_S11_S18_S1C_S1E_T6_T7_T9_mT8_S1G_bDpT10_ENKUlT_T0_E_clISt17integral_constantIbLb1EES1T_IbLb0EEEEDaS1P_S1Q_EUlS1P_E_NS1_11comp_targetILNS1_3genE5ELNS1_11target_archE942ELNS1_3gpuE9ELNS1_3repE0EEENS1_30default_config_static_selectorELNS0_4arch9wavefront6targetE0EEEvS12_,comdat
.Lfunc_end1272:
	.size	_ZN7rocprim17ROCPRIM_400000_NS6detail17trampoline_kernelINS0_13select_configILj256ELj13ELNS0_17block_load_methodE3ELS4_3ELS4_3ELNS0_20block_scan_algorithmE0ELj4294967295EEENS1_25partition_config_selectorILNS1_17partition_subalgoE4EjNS0_10empty_typeEbEEZZNS1_14partition_implILS8_4ELb0ES6_15HIP_vector_typeIjLj2EENS0_17counting_iteratorIjlEEPS9_SG_NS0_5tupleIJPjSI_NS0_16reverse_iteratorISI_EEEEENSH_IJSG_SG_SG_EEES9_SI_JZNS1_25segmented_radix_sort_implINS0_14default_configELb1EPKfPfPKlPlN2at6native12_GLOBAL__N_18offset_tEEE10hipError_tPvRmT1_PNSt15iterator_traitsIS12_E10value_typeET2_T3_PNS13_IS18_E10value_typeET4_jRbjT5_S1E_jjP12ihipStream_tbEUljE_ZNSN_ISO_Lb1ESQ_SR_ST_SU_SY_EESZ_S10_S11_S12_S16_S17_S18_S1B_S1C_jS1D_jS1E_S1E_jjS1G_bEUljE0_EEESZ_S10_S11_S18_S1C_S1E_T6_T7_T9_mT8_S1G_bDpT10_ENKUlT_T0_E_clISt17integral_constantIbLb1EES1T_IbLb0EEEEDaS1P_S1Q_EUlS1P_E_NS1_11comp_targetILNS1_3genE5ELNS1_11target_archE942ELNS1_3gpuE9ELNS1_3repE0EEENS1_30default_config_static_selectorELNS0_4arch9wavefront6targetE0EEEvS12_, .Lfunc_end1272-_ZN7rocprim17ROCPRIM_400000_NS6detail17trampoline_kernelINS0_13select_configILj256ELj13ELNS0_17block_load_methodE3ELS4_3ELS4_3ELNS0_20block_scan_algorithmE0ELj4294967295EEENS1_25partition_config_selectorILNS1_17partition_subalgoE4EjNS0_10empty_typeEbEEZZNS1_14partition_implILS8_4ELb0ES6_15HIP_vector_typeIjLj2EENS0_17counting_iteratorIjlEEPS9_SG_NS0_5tupleIJPjSI_NS0_16reverse_iteratorISI_EEEEENSH_IJSG_SG_SG_EEES9_SI_JZNS1_25segmented_radix_sort_implINS0_14default_configELb1EPKfPfPKlPlN2at6native12_GLOBAL__N_18offset_tEEE10hipError_tPvRmT1_PNSt15iterator_traitsIS12_E10value_typeET2_T3_PNS13_IS18_E10value_typeET4_jRbjT5_S1E_jjP12ihipStream_tbEUljE_ZNSN_ISO_Lb1ESQ_SR_ST_SU_SY_EESZ_S10_S11_S12_S16_S17_S18_S1B_S1C_jS1D_jS1E_S1E_jjS1G_bEUljE0_EEESZ_S10_S11_S18_S1C_S1E_T6_T7_T9_mT8_S1G_bDpT10_ENKUlT_T0_E_clISt17integral_constantIbLb1EES1T_IbLb0EEEEDaS1P_S1Q_EUlS1P_E_NS1_11comp_targetILNS1_3genE5ELNS1_11target_archE942ELNS1_3gpuE9ELNS1_3repE0EEENS1_30default_config_static_selectorELNS0_4arch9wavefront6targetE0EEEvS12_
                                        ; -- End function
	.set _ZN7rocprim17ROCPRIM_400000_NS6detail17trampoline_kernelINS0_13select_configILj256ELj13ELNS0_17block_load_methodE3ELS4_3ELS4_3ELNS0_20block_scan_algorithmE0ELj4294967295EEENS1_25partition_config_selectorILNS1_17partition_subalgoE4EjNS0_10empty_typeEbEEZZNS1_14partition_implILS8_4ELb0ES6_15HIP_vector_typeIjLj2EENS0_17counting_iteratorIjlEEPS9_SG_NS0_5tupleIJPjSI_NS0_16reverse_iteratorISI_EEEEENSH_IJSG_SG_SG_EEES9_SI_JZNS1_25segmented_radix_sort_implINS0_14default_configELb1EPKfPfPKlPlN2at6native12_GLOBAL__N_18offset_tEEE10hipError_tPvRmT1_PNSt15iterator_traitsIS12_E10value_typeET2_T3_PNS13_IS18_E10value_typeET4_jRbjT5_S1E_jjP12ihipStream_tbEUljE_ZNSN_ISO_Lb1ESQ_SR_ST_SU_SY_EESZ_S10_S11_S12_S16_S17_S18_S1B_S1C_jS1D_jS1E_S1E_jjS1G_bEUljE0_EEESZ_S10_S11_S18_S1C_S1E_T6_T7_T9_mT8_S1G_bDpT10_ENKUlT_T0_E_clISt17integral_constantIbLb1EES1T_IbLb0EEEEDaS1P_S1Q_EUlS1P_E_NS1_11comp_targetILNS1_3genE5ELNS1_11target_archE942ELNS1_3gpuE9ELNS1_3repE0EEENS1_30default_config_static_selectorELNS0_4arch9wavefront6targetE0EEEvS12_.num_vgpr, 0
	.set _ZN7rocprim17ROCPRIM_400000_NS6detail17trampoline_kernelINS0_13select_configILj256ELj13ELNS0_17block_load_methodE3ELS4_3ELS4_3ELNS0_20block_scan_algorithmE0ELj4294967295EEENS1_25partition_config_selectorILNS1_17partition_subalgoE4EjNS0_10empty_typeEbEEZZNS1_14partition_implILS8_4ELb0ES6_15HIP_vector_typeIjLj2EENS0_17counting_iteratorIjlEEPS9_SG_NS0_5tupleIJPjSI_NS0_16reverse_iteratorISI_EEEEENSH_IJSG_SG_SG_EEES9_SI_JZNS1_25segmented_radix_sort_implINS0_14default_configELb1EPKfPfPKlPlN2at6native12_GLOBAL__N_18offset_tEEE10hipError_tPvRmT1_PNSt15iterator_traitsIS12_E10value_typeET2_T3_PNS13_IS18_E10value_typeET4_jRbjT5_S1E_jjP12ihipStream_tbEUljE_ZNSN_ISO_Lb1ESQ_SR_ST_SU_SY_EESZ_S10_S11_S12_S16_S17_S18_S1B_S1C_jS1D_jS1E_S1E_jjS1G_bEUljE0_EEESZ_S10_S11_S18_S1C_S1E_T6_T7_T9_mT8_S1G_bDpT10_ENKUlT_T0_E_clISt17integral_constantIbLb1EES1T_IbLb0EEEEDaS1P_S1Q_EUlS1P_E_NS1_11comp_targetILNS1_3genE5ELNS1_11target_archE942ELNS1_3gpuE9ELNS1_3repE0EEENS1_30default_config_static_selectorELNS0_4arch9wavefront6targetE0EEEvS12_.num_agpr, 0
	.set _ZN7rocprim17ROCPRIM_400000_NS6detail17trampoline_kernelINS0_13select_configILj256ELj13ELNS0_17block_load_methodE3ELS4_3ELS4_3ELNS0_20block_scan_algorithmE0ELj4294967295EEENS1_25partition_config_selectorILNS1_17partition_subalgoE4EjNS0_10empty_typeEbEEZZNS1_14partition_implILS8_4ELb0ES6_15HIP_vector_typeIjLj2EENS0_17counting_iteratorIjlEEPS9_SG_NS0_5tupleIJPjSI_NS0_16reverse_iteratorISI_EEEEENSH_IJSG_SG_SG_EEES9_SI_JZNS1_25segmented_radix_sort_implINS0_14default_configELb1EPKfPfPKlPlN2at6native12_GLOBAL__N_18offset_tEEE10hipError_tPvRmT1_PNSt15iterator_traitsIS12_E10value_typeET2_T3_PNS13_IS18_E10value_typeET4_jRbjT5_S1E_jjP12ihipStream_tbEUljE_ZNSN_ISO_Lb1ESQ_SR_ST_SU_SY_EESZ_S10_S11_S12_S16_S17_S18_S1B_S1C_jS1D_jS1E_S1E_jjS1G_bEUljE0_EEESZ_S10_S11_S18_S1C_S1E_T6_T7_T9_mT8_S1G_bDpT10_ENKUlT_T0_E_clISt17integral_constantIbLb1EES1T_IbLb0EEEEDaS1P_S1Q_EUlS1P_E_NS1_11comp_targetILNS1_3genE5ELNS1_11target_archE942ELNS1_3gpuE9ELNS1_3repE0EEENS1_30default_config_static_selectorELNS0_4arch9wavefront6targetE0EEEvS12_.numbered_sgpr, 0
	.set _ZN7rocprim17ROCPRIM_400000_NS6detail17trampoline_kernelINS0_13select_configILj256ELj13ELNS0_17block_load_methodE3ELS4_3ELS4_3ELNS0_20block_scan_algorithmE0ELj4294967295EEENS1_25partition_config_selectorILNS1_17partition_subalgoE4EjNS0_10empty_typeEbEEZZNS1_14partition_implILS8_4ELb0ES6_15HIP_vector_typeIjLj2EENS0_17counting_iteratorIjlEEPS9_SG_NS0_5tupleIJPjSI_NS0_16reverse_iteratorISI_EEEEENSH_IJSG_SG_SG_EEES9_SI_JZNS1_25segmented_radix_sort_implINS0_14default_configELb1EPKfPfPKlPlN2at6native12_GLOBAL__N_18offset_tEEE10hipError_tPvRmT1_PNSt15iterator_traitsIS12_E10value_typeET2_T3_PNS13_IS18_E10value_typeET4_jRbjT5_S1E_jjP12ihipStream_tbEUljE_ZNSN_ISO_Lb1ESQ_SR_ST_SU_SY_EESZ_S10_S11_S12_S16_S17_S18_S1B_S1C_jS1D_jS1E_S1E_jjS1G_bEUljE0_EEESZ_S10_S11_S18_S1C_S1E_T6_T7_T9_mT8_S1G_bDpT10_ENKUlT_T0_E_clISt17integral_constantIbLb1EES1T_IbLb0EEEEDaS1P_S1Q_EUlS1P_E_NS1_11comp_targetILNS1_3genE5ELNS1_11target_archE942ELNS1_3gpuE9ELNS1_3repE0EEENS1_30default_config_static_selectorELNS0_4arch9wavefront6targetE0EEEvS12_.num_named_barrier, 0
	.set _ZN7rocprim17ROCPRIM_400000_NS6detail17trampoline_kernelINS0_13select_configILj256ELj13ELNS0_17block_load_methodE3ELS4_3ELS4_3ELNS0_20block_scan_algorithmE0ELj4294967295EEENS1_25partition_config_selectorILNS1_17partition_subalgoE4EjNS0_10empty_typeEbEEZZNS1_14partition_implILS8_4ELb0ES6_15HIP_vector_typeIjLj2EENS0_17counting_iteratorIjlEEPS9_SG_NS0_5tupleIJPjSI_NS0_16reverse_iteratorISI_EEEEENSH_IJSG_SG_SG_EEES9_SI_JZNS1_25segmented_radix_sort_implINS0_14default_configELb1EPKfPfPKlPlN2at6native12_GLOBAL__N_18offset_tEEE10hipError_tPvRmT1_PNSt15iterator_traitsIS12_E10value_typeET2_T3_PNS13_IS18_E10value_typeET4_jRbjT5_S1E_jjP12ihipStream_tbEUljE_ZNSN_ISO_Lb1ESQ_SR_ST_SU_SY_EESZ_S10_S11_S12_S16_S17_S18_S1B_S1C_jS1D_jS1E_S1E_jjS1G_bEUljE0_EEESZ_S10_S11_S18_S1C_S1E_T6_T7_T9_mT8_S1G_bDpT10_ENKUlT_T0_E_clISt17integral_constantIbLb1EES1T_IbLb0EEEEDaS1P_S1Q_EUlS1P_E_NS1_11comp_targetILNS1_3genE5ELNS1_11target_archE942ELNS1_3gpuE9ELNS1_3repE0EEENS1_30default_config_static_selectorELNS0_4arch9wavefront6targetE0EEEvS12_.private_seg_size, 0
	.set _ZN7rocprim17ROCPRIM_400000_NS6detail17trampoline_kernelINS0_13select_configILj256ELj13ELNS0_17block_load_methodE3ELS4_3ELS4_3ELNS0_20block_scan_algorithmE0ELj4294967295EEENS1_25partition_config_selectorILNS1_17partition_subalgoE4EjNS0_10empty_typeEbEEZZNS1_14partition_implILS8_4ELb0ES6_15HIP_vector_typeIjLj2EENS0_17counting_iteratorIjlEEPS9_SG_NS0_5tupleIJPjSI_NS0_16reverse_iteratorISI_EEEEENSH_IJSG_SG_SG_EEES9_SI_JZNS1_25segmented_radix_sort_implINS0_14default_configELb1EPKfPfPKlPlN2at6native12_GLOBAL__N_18offset_tEEE10hipError_tPvRmT1_PNSt15iterator_traitsIS12_E10value_typeET2_T3_PNS13_IS18_E10value_typeET4_jRbjT5_S1E_jjP12ihipStream_tbEUljE_ZNSN_ISO_Lb1ESQ_SR_ST_SU_SY_EESZ_S10_S11_S12_S16_S17_S18_S1B_S1C_jS1D_jS1E_S1E_jjS1G_bEUljE0_EEESZ_S10_S11_S18_S1C_S1E_T6_T7_T9_mT8_S1G_bDpT10_ENKUlT_T0_E_clISt17integral_constantIbLb1EES1T_IbLb0EEEEDaS1P_S1Q_EUlS1P_E_NS1_11comp_targetILNS1_3genE5ELNS1_11target_archE942ELNS1_3gpuE9ELNS1_3repE0EEENS1_30default_config_static_selectorELNS0_4arch9wavefront6targetE0EEEvS12_.uses_vcc, 0
	.set _ZN7rocprim17ROCPRIM_400000_NS6detail17trampoline_kernelINS0_13select_configILj256ELj13ELNS0_17block_load_methodE3ELS4_3ELS4_3ELNS0_20block_scan_algorithmE0ELj4294967295EEENS1_25partition_config_selectorILNS1_17partition_subalgoE4EjNS0_10empty_typeEbEEZZNS1_14partition_implILS8_4ELb0ES6_15HIP_vector_typeIjLj2EENS0_17counting_iteratorIjlEEPS9_SG_NS0_5tupleIJPjSI_NS0_16reverse_iteratorISI_EEEEENSH_IJSG_SG_SG_EEES9_SI_JZNS1_25segmented_radix_sort_implINS0_14default_configELb1EPKfPfPKlPlN2at6native12_GLOBAL__N_18offset_tEEE10hipError_tPvRmT1_PNSt15iterator_traitsIS12_E10value_typeET2_T3_PNS13_IS18_E10value_typeET4_jRbjT5_S1E_jjP12ihipStream_tbEUljE_ZNSN_ISO_Lb1ESQ_SR_ST_SU_SY_EESZ_S10_S11_S12_S16_S17_S18_S1B_S1C_jS1D_jS1E_S1E_jjS1G_bEUljE0_EEESZ_S10_S11_S18_S1C_S1E_T6_T7_T9_mT8_S1G_bDpT10_ENKUlT_T0_E_clISt17integral_constantIbLb1EES1T_IbLb0EEEEDaS1P_S1Q_EUlS1P_E_NS1_11comp_targetILNS1_3genE5ELNS1_11target_archE942ELNS1_3gpuE9ELNS1_3repE0EEENS1_30default_config_static_selectorELNS0_4arch9wavefront6targetE0EEEvS12_.uses_flat_scratch, 0
	.set _ZN7rocprim17ROCPRIM_400000_NS6detail17trampoline_kernelINS0_13select_configILj256ELj13ELNS0_17block_load_methodE3ELS4_3ELS4_3ELNS0_20block_scan_algorithmE0ELj4294967295EEENS1_25partition_config_selectorILNS1_17partition_subalgoE4EjNS0_10empty_typeEbEEZZNS1_14partition_implILS8_4ELb0ES6_15HIP_vector_typeIjLj2EENS0_17counting_iteratorIjlEEPS9_SG_NS0_5tupleIJPjSI_NS0_16reverse_iteratorISI_EEEEENSH_IJSG_SG_SG_EEES9_SI_JZNS1_25segmented_radix_sort_implINS0_14default_configELb1EPKfPfPKlPlN2at6native12_GLOBAL__N_18offset_tEEE10hipError_tPvRmT1_PNSt15iterator_traitsIS12_E10value_typeET2_T3_PNS13_IS18_E10value_typeET4_jRbjT5_S1E_jjP12ihipStream_tbEUljE_ZNSN_ISO_Lb1ESQ_SR_ST_SU_SY_EESZ_S10_S11_S12_S16_S17_S18_S1B_S1C_jS1D_jS1E_S1E_jjS1G_bEUljE0_EEESZ_S10_S11_S18_S1C_S1E_T6_T7_T9_mT8_S1G_bDpT10_ENKUlT_T0_E_clISt17integral_constantIbLb1EES1T_IbLb0EEEEDaS1P_S1Q_EUlS1P_E_NS1_11comp_targetILNS1_3genE5ELNS1_11target_archE942ELNS1_3gpuE9ELNS1_3repE0EEENS1_30default_config_static_selectorELNS0_4arch9wavefront6targetE0EEEvS12_.has_dyn_sized_stack, 0
	.set _ZN7rocprim17ROCPRIM_400000_NS6detail17trampoline_kernelINS0_13select_configILj256ELj13ELNS0_17block_load_methodE3ELS4_3ELS4_3ELNS0_20block_scan_algorithmE0ELj4294967295EEENS1_25partition_config_selectorILNS1_17partition_subalgoE4EjNS0_10empty_typeEbEEZZNS1_14partition_implILS8_4ELb0ES6_15HIP_vector_typeIjLj2EENS0_17counting_iteratorIjlEEPS9_SG_NS0_5tupleIJPjSI_NS0_16reverse_iteratorISI_EEEEENSH_IJSG_SG_SG_EEES9_SI_JZNS1_25segmented_radix_sort_implINS0_14default_configELb1EPKfPfPKlPlN2at6native12_GLOBAL__N_18offset_tEEE10hipError_tPvRmT1_PNSt15iterator_traitsIS12_E10value_typeET2_T3_PNS13_IS18_E10value_typeET4_jRbjT5_S1E_jjP12ihipStream_tbEUljE_ZNSN_ISO_Lb1ESQ_SR_ST_SU_SY_EESZ_S10_S11_S12_S16_S17_S18_S1B_S1C_jS1D_jS1E_S1E_jjS1G_bEUljE0_EEESZ_S10_S11_S18_S1C_S1E_T6_T7_T9_mT8_S1G_bDpT10_ENKUlT_T0_E_clISt17integral_constantIbLb1EES1T_IbLb0EEEEDaS1P_S1Q_EUlS1P_E_NS1_11comp_targetILNS1_3genE5ELNS1_11target_archE942ELNS1_3gpuE9ELNS1_3repE0EEENS1_30default_config_static_selectorELNS0_4arch9wavefront6targetE0EEEvS12_.has_recursion, 0
	.set _ZN7rocprim17ROCPRIM_400000_NS6detail17trampoline_kernelINS0_13select_configILj256ELj13ELNS0_17block_load_methodE3ELS4_3ELS4_3ELNS0_20block_scan_algorithmE0ELj4294967295EEENS1_25partition_config_selectorILNS1_17partition_subalgoE4EjNS0_10empty_typeEbEEZZNS1_14partition_implILS8_4ELb0ES6_15HIP_vector_typeIjLj2EENS0_17counting_iteratorIjlEEPS9_SG_NS0_5tupleIJPjSI_NS0_16reverse_iteratorISI_EEEEENSH_IJSG_SG_SG_EEES9_SI_JZNS1_25segmented_radix_sort_implINS0_14default_configELb1EPKfPfPKlPlN2at6native12_GLOBAL__N_18offset_tEEE10hipError_tPvRmT1_PNSt15iterator_traitsIS12_E10value_typeET2_T3_PNS13_IS18_E10value_typeET4_jRbjT5_S1E_jjP12ihipStream_tbEUljE_ZNSN_ISO_Lb1ESQ_SR_ST_SU_SY_EESZ_S10_S11_S12_S16_S17_S18_S1B_S1C_jS1D_jS1E_S1E_jjS1G_bEUljE0_EEESZ_S10_S11_S18_S1C_S1E_T6_T7_T9_mT8_S1G_bDpT10_ENKUlT_T0_E_clISt17integral_constantIbLb1EES1T_IbLb0EEEEDaS1P_S1Q_EUlS1P_E_NS1_11comp_targetILNS1_3genE5ELNS1_11target_archE942ELNS1_3gpuE9ELNS1_3repE0EEENS1_30default_config_static_selectorELNS0_4arch9wavefront6targetE0EEEvS12_.has_indirect_call, 0
	.section	.AMDGPU.csdata,"",@progbits
; Kernel info:
; codeLenInByte = 0
; TotalNumSgprs: 0
; NumVgprs: 0
; ScratchSize: 0
; MemoryBound: 0
; FloatMode: 240
; IeeeMode: 1
; LDSByteSize: 0 bytes/workgroup (compile time only)
; SGPRBlocks: 0
; VGPRBlocks: 0
; NumSGPRsForWavesPerEU: 1
; NumVGPRsForWavesPerEU: 1
; NamedBarCnt: 0
; Occupancy: 16
; WaveLimiterHint : 0
; COMPUTE_PGM_RSRC2:SCRATCH_EN: 0
; COMPUTE_PGM_RSRC2:USER_SGPR: 2
; COMPUTE_PGM_RSRC2:TRAP_HANDLER: 0
; COMPUTE_PGM_RSRC2:TGID_X_EN: 1
; COMPUTE_PGM_RSRC2:TGID_Y_EN: 0
; COMPUTE_PGM_RSRC2:TGID_Z_EN: 0
; COMPUTE_PGM_RSRC2:TIDIG_COMP_CNT: 0
	.section	.text._ZN7rocprim17ROCPRIM_400000_NS6detail17trampoline_kernelINS0_13select_configILj256ELj13ELNS0_17block_load_methodE3ELS4_3ELS4_3ELNS0_20block_scan_algorithmE0ELj4294967295EEENS1_25partition_config_selectorILNS1_17partition_subalgoE4EjNS0_10empty_typeEbEEZZNS1_14partition_implILS8_4ELb0ES6_15HIP_vector_typeIjLj2EENS0_17counting_iteratorIjlEEPS9_SG_NS0_5tupleIJPjSI_NS0_16reverse_iteratorISI_EEEEENSH_IJSG_SG_SG_EEES9_SI_JZNS1_25segmented_radix_sort_implINS0_14default_configELb1EPKfPfPKlPlN2at6native12_GLOBAL__N_18offset_tEEE10hipError_tPvRmT1_PNSt15iterator_traitsIS12_E10value_typeET2_T3_PNS13_IS18_E10value_typeET4_jRbjT5_S1E_jjP12ihipStream_tbEUljE_ZNSN_ISO_Lb1ESQ_SR_ST_SU_SY_EESZ_S10_S11_S12_S16_S17_S18_S1B_S1C_jS1D_jS1E_S1E_jjS1G_bEUljE0_EEESZ_S10_S11_S18_S1C_S1E_T6_T7_T9_mT8_S1G_bDpT10_ENKUlT_T0_E_clISt17integral_constantIbLb1EES1T_IbLb0EEEEDaS1P_S1Q_EUlS1P_E_NS1_11comp_targetILNS1_3genE4ELNS1_11target_archE910ELNS1_3gpuE8ELNS1_3repE0EEENS1_30default_config_static_selectorELNS0_4arch9wavefront6targetE0EEEvS12_,"axG",@progbits,_ZN7rocprim17ROCPRIM_400000_NS6detail17trampoline_kernelINS0_13select_configILj256ELj13ELNS0_17block_load_methodE3ELS4_3ELS4_3ELNS0_20block_scan_algorithmE0ELj4294967295EEENS1_25partition_config_selectorILNS1_17partition_subalgoE4EjNS0_10empty_typeEbEEZZNS1_14partition_implILS8_4ELb0ES6_15HIP_vector_typeIjLj2EENS0_17counting_iteratorIjlEEPS9_SG_NS0_5tupleIJPjSI_NS0_16reverse_iteratorISI_EEEEENSH_IJSG_SG_SG_EEES9_SI_JZNS1_25segmented_radix_sort_implINS0_14default_configELb1EPKfPfPKlPlN2at6native12_GLOBAL__N_18offset_tEEE10hipError_tPvRmT1_PNSt15iterator_traitsIS12_E10value_typeET2_T3_PNS13_IS18_E10value_typeET4_jRbjT5_S1E_jjP12ihipStream_tbEUljE_ZNSN_ISO_Lb1ESQ_SR_ST_SU_SY_EESZ_S10_S11_S12_S16_S17_S18_S1B_S1C_jS1D_jS1E_S1E_jjS1G_bEUljE0_EEESZ_S10_S11_S18_S1C_S1E_T6_T7_T9_mT8_S1G_bDpT10_ENKUlT_T0_E_clISt17integral_constantIbLb1EES1T_IbLb0EEEEDaS1P_S1Q_EUlS1P_E_NS1_11comp_targetILNS1_3genE4ELNS1_11target_archE910ELNS1_3gpuE8ELNS1_3repE0EEENS1_30default_config_static_selectorELNS0_4arch9wavefront6targetE0EEEvS12_,comdat
	.globl	_ZN7rocprim17ROCPRIM_400000_NS6detail17trampoline_kernelINS0_13select_configILj256ELj13ELNS0_17block_load_methodE3ELS4_3ELS4_3ELNS0_20block_scan_algorithmE0ELj4294967295EEENS1_25partition_config_selectorILNS1_17partition_subalgoE4EjNS0_10empty_typeEbEEZZNS1_14partition_implILS8_4ELb0ES6_15HIP_vector_typeIjLj2EENS0_17counting_iteratorIjlEEPS9_SG_NS0_5tupleIJPjSI_NS0_16reverse_iteratorISI_EEEEENSH_IJSG_SG_SG_EEES9_SI_JZNS1_25segmented_radix_sort_implINS0_14default_configELb1EPKfPfPKlPlN2at6native12_GLOBAL__N_18offset_tEEE10hipError_tPvRmT1_PNSt15iterator_traitsIS12_E10value_typeET2_T3_PNS13_IS18_E10value_typeET4_jRbjT5_S1E_jjP12ihipStream_tbEUljE_ZNSN_ISO_Lb1ESQ_SR_ST_SU_SY_EESZ_S10_S11_S12_S16_S17_S18_S1B_S1C_jS1D_jS1E_S1E_jjS1G_bEUljE0_EEESZ_S10_S11_S18_S1C_S1E_T6_T7_T9_mT8_S1G_bDpT10_ENKUlT_T0_E_clISt17integral_constantIbLb1EES1T_IbLb0EEEEDaS1P_S1Q_EUlS1P_E_NS1_11comp_targetILNS1_3genE4ELNS1_11target_archE910ELNS1_3gpuE8ELNS1_3repE0EEENS1_30default_config_static_selectorELNS0_4arch9wavefront6targetE0EEEvS12_ ; -- Begin function _ZN7rocprim17ROCPRIM_400000_NS6detail17trampoline_kernelINS0_13select_configILj256ELj13ELNS0_17block_load_methodE3ELS4_3ELS4_3ELNS0_20block_scan_algorithmE0ELj4294967295EEENS1_25partition_config_selectorILNS1_17partition_subalgoE4EjNS0_10empty_typeEbEEZZNS1_14partition_implILS8_4ELb0ES6_15HIP_vector_typeIjLj2EENS0_17counting_iteratorIjlEEPS9_SG_NS0_5tupleIJPjSI_NS0_16reverse_iteratorISI_EEEEENSH_IJSG_SG_SG_EEES9_SI_JZNS1_25segmented_radix_sort_implINS0_14default_configELb1EPKfPfPKlPlN2at6native12_GLOBAL__N_18offset_tEEE10hipError_tPvRmT1_PNSt15iterator_traitsIS12_E10value_typeET2_T3_PNS13_IS18_E10value_typeET4_jRbjT5_S1E_jjP12ihipStream_tbEUljE_ZNSN_ISO_Lb1ESQ_SR_ST_SU_SY_EESZ_S10_S11_S12_S16_S17_S18_S1B_S1C_jS1D_jS1E_S1E_jjS1G_bEUljE0_EEESZ_S10_S11_S18_S1C_S1E_T6_T7_T9_mT8_S1G_bDpT10_ENKUlT_T0_E_clISt17integral_constantIbLb1EES1T_IbLb0EEEEDaS1P_S1Q_EUlS1P_E_NS1_11comp_targetILNS1_3genE4ELNS1_11target_archE910ELNS1_3gpuE8ELNS1_3repE0EEENS1_30default_config_static_selectorELNS0_4arch9wavefront6targetE0EEEvS12_
	.p2align	8
	.type	_ZN7rocprim17ROCPRIM_400000_NS6detail17trampoline_kernelINS0_13select_configILj256ELj13ELNS0_17block_load_methodE3ELS4_3ELS4_3ELNS0_20block_scan_algorithmE0ELj4294967295EEENS1_25partition_config_selectorILNS1_17partition_subalgoE4EjNS0_10empty_typeEbEEZZNS1_14partition_implILS8_4ELb0ES6_15HIP_vector_typeIjLj2EENS0_17counting_iteratorIjlEEPS9_SG_NS0_5tupleIJPjSI_NS0_16reverse_iteratorISI_EEEEENSH_IJSG_SG_SG_EEES9_SI_JZNS1_25segmented_radix_sort_implINS0_14default_configELb1EPKfPfPKlPlN2at6native12_GLOBAL__N_18offset_tEEE10hipError_tPvRmT1_PNSt15iterator_traitsIS12_E10value_typeET2_T3_PNS13_IS18_E10value_typeET4_jRbjT5_S1E_jjP12ihipStream_tbEUljE_ZNSN_ISO_Lb1ESQ_SR_ST_SU_SY_EESZ_S10_S11_S12_S16_S17_S18_S1B_S1C_jS1D_jS1E_S1E_jjS1G_bEUljE0_EEESZ_S10_S11_S18_S1C_S1E_T6_T7_T9_mT8_S1G_bDpT10_ENKUlT_T0_E_clISt17integral_constantIbLb1EES1T_IbLb0EEEEDaS1P_S1Q_EUlS1P_E_NS1_11comp_targetILNS1_3genE4ELNS1_11target_archE910ELNS1_3gpuE8ELNS1_3repE0EEENS1_30default_config_static_selectorELNS0_4arch9wavefront6targetE0EEEvS12_,@function
_ZN7rocprim17ROCPRIM_400000_NS6detail17trampoline_kernelINS0_13select_configILj256ELj13ELNS0_17block_load_methodE3ELS4_3ELS4_3ELNS0_20block_scan_algorithmE0ELj4294967295EEENS1_25partition_config_selectorILNS1_17partition_subalgoE4EjNS0_10empty_typeEbEEZZNS1_14partition_implILS8_4ELb0ES6_15HIP_vector_typeIjLj2EENS0_17counting_iteratorIjlEEPS9_SG_NS0_5tupleIJPjSI_NS0_16reverse_iteratorISI_EEEEENSH_IJSG_SG_SG_EEES9_SI_JZNS1_25segmented_radix_sort_implINS0_14default_configELb1EPKfPfPKlPlN2at6native12_GLOBAL__N_18offset_tEEE10hipError_tPvRmT1_PNSt15iterator_traitsIS12_E10value_typeET2_T3_PNS13_IS18_E10value_typeET4_jRbjT5_S1E_jjP12ihipStream_tbEUljE_ZNSN_ISO_Lb1ESQ_SR_ST_SU_SY_EESZ_S10_S11_S12_S16_S17_S18_S1B_S1C_jS1D_jS1E_S1E_jjS1G_bEUljE0_EEESZ_S10_S11_S18_S1C_S1E_T6_T7_T9_mT8_S1G_bDpT10_ENKUlT_T0_E_clISt17integral_constantIbLb1EES1T_IbLb0EEEEDaS1P_S1Q_EUlS1P_E_NS1_11comp_targetILNS1_3genE4ELNS1_11target_archE910ELNS1_3gpuE8ELNS1_3repE0EEENS1_30default_config_static_selectorELNS0_4arch9wavefront6targetE0EEEvS12_: ; @_ZN7rocprim17ROCPRIM_400000_NS6detail17trampoline_kernelINS0_13select_configILj256ELj13ELNS0_17block_load_methodE3ELS4_3ELS4_3ELNS0_20block_scan_algorithmE0ELj4294967295EEENS1_25partition_config_selectorILNS1_17partition_subalgoE4EjNS0_10empty_typeEbEEZZNS1_14partition_implILS8_4ELb0ES6_15HIP_vector_typeIjLj2EENS0_17counting_iteratorIjlEEPS9_SG_NS0_5tupleIJPjSI_NS0_16reverse_iteratorISI_EEEEENSH_IJSG_SG_SG_EEES9_SI_JZNS1_25segmented_radix_sort_implINS0_14default_configELb1EPKfPfPKlPlN2at6native12_GLOBAL__N_18offset_tEEE10hipError_tPvRmT1_PNSt15iterator_traitsIS12_E10value_typeET2_T3_PNS13_IS18_E10value_typeET4_jRbjT5_S1E_jjP12ihipStream_tbEUljE_ZNSN_ISO_Lb1ESQ_SR_ST_SU_SY_EESZ_S10_S11_S12_S16_S17_S18_S1B_S1C_jS1D_jS1E_S1E_jjS1G_bEUljE0_EEESZ_S10_S11_S18_S1C_S1E_T6_T7_T9_mT8_S1G_bDpT10_ENKUlT_T0_E_clISt17integral_constantIbLb1EES1T_IbLb0EEEEDaS1P_S1Q_EUlS1P_E_NS1_11comp_targetILNS1_3genE4ELNS1_11target_archE910ELNS1_3gpuE8ELNS1_3repE0EEENS1_30default_config_static_selectorELNS0_4arch9wavefront6targetE0EEEvS12_
; %bb.0:
	.section	.rodata,"a",@progbits
	.p2align	6, 0x0
	.amdhsa_kernel _ZN7rocprim17ROCPRIM_400000_NS6detail17trampoline_kernelINS0_13select_configILj256ELj13ELNS0_17block_load_methodE3ELS4_3ELS4_3ELNS0_20block_scan_algorithmE0ELj4294967295EEENS1_25partition_config_selectorILNS1_17partition_subalgoE4EjNS0_10empty_typeEbEEZZNS1_14partition_implILS8_4ELb0ES6_15HIP_vector_typeIjLj2EENS0_17counting_iteratorIjlEEPS9_SG_NS0_5tupleIJPjSI_NS0_16reverse_iteratorISI_EEEEENSH_IJSG_SG_SG_EEES9_SI_JZNS1_25segmented_radix_sort_implINS0_14default_configELb1EPKfPfPKlPlN2at6native12_GLOBAL__N_18offset_tEEE10hipError_tPvRmT1_PNSt15iterator_traitsIS12_E10value_typeET2_T3_PNS13_IS18_E10value_typeET4_jRbjT5_S1E_jjP12ihipStream_tbEUljE_ZNSN_ISO_Lb1ESQ_SR_ST_SU_SY_EESZ_S10_S11_S12_S16_S17_S18_S1B_S1C_jS1D_jS1E_S1E_jjS1G_bEUljE0_EEESZ_S10_S11_S18_S1C_S1E_T6_T7_T9_mT8_S1G_bDpT10_ENKUlT_T0_E_clISt17integral_constantIbLb1EES1T_IbLb0EEEEDaS1P_S1Q_EUlS1P_E_NS1_11comp_targetILNS1_3genE4ELNS1_11target_archE910ELNS1_3gpuE8ELNS1_3repE0EEENS1_30default_config_static_selectorELNS0_4arch9wavefront6targetE0EEEvS12_
		.amdhsa_group_segment_fixed_size 0
		.amdhsa_private_segment_fixed_size 0
		.amdhsa_kernarg_size 176
		.amdhsa_user_sgpr_count 2
		.amdhsa_user_sgpr_dispatch_ptr 0
		.amdhsa_user_sgpr_queue_ptr 0
		.amdhsa_user_sgpr_kernarg_segment_ptr 1
		.amdhsa_user_sgpr_dispatch_id 0
		.amdhsa_user_sgpr_kernarg_preload_length 0
		.amdhsa_user_sgpr_kernarg_preload_offset 0
		.amdhsa_user_sgpr_private_segment_size 0
		.amdhsa_wavefront_size32 1
		.amdhsa_uses_dynamic_stack 0
		.amdhsa_enable_private_segment 0
		.amdhsa_system_sgpr_workgroup_id_x 1
		.amdhsa_system_sgpr_workgroup_id_y 0
		.amdhsa_system_sgpr_workgroup_id_z 0
		.amdhsa_system_sgpr_workgroup_info 0
		.amdhsa_system_vgpr_workitem_id 0
		.amdhsa_next_free_vgpr 1
		.amdhsa_next_free_sgpr 1
		.amdhsa_named_barrier_count 0
		.amdhsa_reserve_vcc 0
		.amdhsa_float_round_mode_32 0
		.amdhsa_float_round_mode_16_64 0
		.amdhsa_float_denorm_mode_32 3
		.amdhsa_float_denorm_mode_16_64 3
		.amdhsa_fp16_overflow 0
		.amdhsa_memory_ordered 1
		.amdhsa_forward_progress 1
		.amdhsa_inst_pref_size 0
		.amdhsa_round_robin_scheduling 0
		.amdhsa_exception_fp_ieee_invalid_op 0
		.amdhsa_exception_fp_denorm_src 0
		.amdhsa_exception_fp_ieee_div_zero 0
		.amdhsa_exception_fp_ieee_overflow 0
		.amdhsa_exception_fp_ieee_underflow 0
		.amdhsa_exception_fp_ieee_inexact 0
		.amdhsa_exception_int_div_zero 0
	.end_amdhsa_kernel
	.section	.text._ZN7rocprim17ROCPRIM_400000_NS6detail17trampoline_kernelINS0_13select_configILj256ELj13ELNS0_17block_load_methodE3ELS4_3ELS4_3ELNS0_20block_scan_algorithmE0ELj4294967295EEENS1_25partition_config_selectorILNS1_17partition_subalgoE4EjNS0_10empty_typeEbEEZZNS1_14partition_implILS8_4ELb0ES6_15HIP_vector_typeIjLj2EENS0_17counting_iteratorIjlEEPS9_SG_NS0_5tupleIJPjSI_NS0_16reverse_iteratorISI_EEEEENSH_IJSG_SG_SG_EEES9_SI_JZNS1_25segmented_radix_sort_implINS0_14default_configELb1EPKfPfPKlPlN2at6native12_GLOBAL__N_18offset_tEEE10hipError_tPvRmT1_PNSt15iterator_traitsIS12_E10value_typeET2_T3_PNS13_IS18_E10value_typeET4_jRbjT5_S1E_jjP12ihipStream_tbEUljE_ZNSN_ISO_Lb1ESQ_SR_ST_SU_SY_EESZ_S10_S11_S12_S16_S17_S18_S1B_S1C_jS1D_jS1E_S1E_jjS1G_bEUljE0_EEESZ_S10_S11_S18_S1C_S1E_T6_T7_T9_mT8_S1G_bDpT10_ENKUlT_T0_E_clISt17integral_constantIbLb1EES1T_IbLb0EEEEDaS1P_S1Q_EUlS1P_E_NS1_11comp_targetILNS1_3genE4ELNS1_11target_archE910ELNS1_3gpuE8ELNS1_3repE0EEENS1_30default_config_static_selectorELNS0_4arch9wavefront6targetE0EEEvS12_,"axG",@progbits,_ZN7rocprim17ROCPRIM_400000_NS6detail17trampoline_kernelINS0_13select_configILj256ELj13ELNS0_17block_load_methodE3ELS4_3ELS4_3ELNS0_20block_scan_algorithmE0ELj4294967295EEENS1_25partition_config_selectorILNS1_17partition_subalgoE4EjNS0_10empty_typeEbEEZZNS1_14partition_implILS8_4ELb0ES6_15HIP_vector_typeIjLj2EENS0_17counting_iteratorIjlEEPS9_SG_NS0_5tupleIJPjSI_NS0_16reverse_iteratorISI_EEEEENSH_IJSG_SG_SG_EEES9_SI_JZNS1_25segmented_radix_sort_implINS0_14default_configELb1EPKfPfPKlPlN2at6native12_GLOBAL__N_18offset_tEEE10hipError_tPvRmT1_PNSt15iterator_traitsIS12_E10value_typeET2_T3_PNS13_IS18_E10value_typeET4_jRbjT5_S1E_jjP12ihipStream_tbEUljE_ZNSN_ISO_Lb1ESQ_SR_ST_SU_SY_EESZ_S10_S11_S12_S16_S17_S18_S1B_S1C_jS1D_jS1E_S1E_jjS1G_bEUljE0_EEESZ_S10_S11_S18_S1C_S1E_T6_T7_T9_mT8_S1G_bDpT10_ENKUlT_T0_E_clISt17integral_constantIbLb1EES1T_IbLb0EEEEDaS1P_S1Q_EUlS1P_E_NS1_11comp_targetILNS1_3genE4ELNS1_11target_archE910ELNS1_3gpuE8ELNS1_3repE0EEENS1_30default_config_static_selectorELNS0_4arch9wavefront6targetE0EEEvS12_,comdat
.Lfunc_end1273:
	.size	_ZN7rocprim17ROCPRIM_400000_NS6detail17trampoline_kernelINS0_13select_configILj256ELj13ELNS0_17block_load_methodE3ELS4_3ELS4_3ELNS0_20block_scan_algorithmE0ELj4294967295EEENS1_25partition_config_selectorILNS1_17partition_subalgoE4EjNS0_10empty_typeEbEEZZNS1_14partition_implILS8_4ELb0ES6_15HIP_vector_typeIjLj2EENS0_17counting_iteratorIjlEEPS9_SG_NS0_5tupleIJPjSI_NS0_16reverse_iteratorISI_EEEEENSH_IJSG_SG_SG_EEES9_SI_JZNS1_25segmented_radix_sort_implINS0_14default_configELb1EPKfPfPKlPlN2at6native12_GLOBAL__N_18offset_tEEE10hipError_tPvRmT1_PNSt15iterator_traitsIS12_E10value_typeET2_T3_PNS13_IS18_E10value_typeET4_jRbjT5_S1E_jjP12ihipStream_tbEUljE_ZNSN_ISO_Lb1ESQ_SR_ST_SU_SY_EESZ_S10_S11_S12_S16_S17_S18_S1B_S1C_jS1D_jS1E_S1E_jjS1G_bEUljE0_EEESZ_S10_S11_S18_S1C_S1E_T6_T7_T9_mT8_S1G_bDpT10_ENKUlT_T0_E_clISt17integral_constantIbLb1EES1T_IbLb0EEEEDaS1P_S1Q_EUlS1P_E_NS1_11comp_targetILNS1_3genE4ELNS1_11target_archE910ELNS1_3gpuE8ELNS1_3repE0EEENS1_30default_config_static_selectorELNS0_4arch9wavefront6targetE0EEEvS12_, .Lfunc_end1273-_ZN7rocprim17ROCPRIM_400000_NS6detail17trampoline_kernelINS0_13select_configILj256ELj13ELNS0_17block_load_methodE3ELS4_3ELS4_3ELNS0_20block_scan_algorithmE0ELj4294967295EEENS1_25partition_config_selectorILNS1_17partition_subalgoE4EjNS0_10empty_typeEbEEZZNS1_14partition_implILS8_4ELb0ES6_15HIP_vector_typeIjLj2EENS0_17counting_iteratorIjlEEPS9_SG_NS0_5tupleIJPjSI_NS0_16reverse_iteratorISI_EEEEENSH_IJSG_SG_SG_EEES9_SI_JZNS1_25segmented_radix_sort_implINS0_14default_configELb1EPKfPfPKlPlN2at6native12_GLOBAL__N_18offset_tEEE10hipError_tPvRmT1_PNSt15iterator_traitsIS12_E10value_typeET2_T3_PNS13_IS18_E10value_typeET4_jRbjT5_S1E_jjP12ihipStream_tbEUljE_ZNSN_ISO_Lb1ESQ_SR_ST_SU_SY_EESZ_S10_S11_S12_S16_S17_S18_S1B_S1C_jS1D_jS1E_S1E_jjS1G_bEUljE0_EEESZ_S10_S11_S18_S1C_S1E_T6_T7_T9_mT8_S1G_bDpT10_ENKUlT_T0_E_clISt17integral_constantIbLb1EES1T_IbLb0EEEEDaS1P_S1Q_EUlS1P_E_NS1_11comp_targetILNS1_3genE4ELNS1_11target_archE910ELNS1_3gpuE8ELNS1_3repE0EEENS1_30default_config_static_selectorELNS0_4arch9wavefront6targetE0EEEvS12_
                                        ; -- End function
	.set _ZN7rocprim17ROCPRIM_400000_NS6detail17trampoline_kernelINS0_13select_configILj256ELj13ELNS0_17block_load_methodE3ELS4_3ELS4_3ELNS0_20block_scan_algorithmE0ELj4294967295EEENS1_25partition_config_selectorILNS1_17partition_subalgoE4EjNS0_10empty_typeEbEEZZNS1_14partition_implILS8_4ELb0ES6_15HIP_vector_typeIjLj2EENS0_17counting_iteratorIjlEEPS9_SG_NS0_5tupleIJPjSI_NS0_16reverse_iteratorISI_EEEEENSH_IJSG_SG_SG_EEES9_SI_JZNS1_25segmented_radix_sort_implINS0_14default_configELb1EPKfPfPKlPlN2at6native12_GLOBAL__N_18offset_tEEE10hipError_tPvRmT1_PNSt15iterator_traitsIS12_E10value_typeET2_T3_PNS13_IS18_E10value_typeET4_jRbjT5_S1E_jjP12ihipStream_tbEUljE_ZNSN_ISO_Lb1ESQ_SR_ST_SU_SY_EESZ_S10_S11_S12_S16_S17_S18_S1B_S1C_jS1D_jS1E_S1E_jjS1G_bEUljE0_EEESZ_S10_S11_S18_S1C_S1E_T6_T7_T9_mT8_S1G_bDpT10_ENKUlT_T0_E_clISt17integral_constantIbLb1EES1T_IbLb0EEEEDaS1P_S1Q_EUlS1P_E_NS1_11comp_targetILNS1_3genE4ELNS1_11target_archE910ELNS1_3gpuE8ELNS1_3repE0EEENS1_30default_config_static_selectorELNS0_4arch9wavefront6targetE0EEEvS12_.num_vgpr, 0
	.set _ZN7rocprim17ROCPRIM_400000_NS6detail17trampoline_kernelINS0_13select_configILj256ELj13ELNS0_17block_load_methodE3ELS4_3ELS4_3ELNS0_20block_scan_algorithmE0ELj4294967295EEENS1_25partition_config_selectorILNS1_17partition_subalgoE4EjNS0_10empty_typeEbEEZZNS1_14partition_implILS8_4ELb0ES6_15HIP_vector_typeIjLj2EENS0_17counting_iteratorIjlEEPS9_SG_NS0_5tupleIJPjSI_NS0_16reverse_iteratorISI_EEEEENSH_IJSG_SG_SG_EEES9_SI_JZNS1_25segmented_radix_sort_implINS0_14default_configELb1EPKfPfPKlPlN2at6native12_GLOBAL__N_18offset_tEEE10hipError_tPvRmT1_PNSt15iterator_traitsIS12_E10value_typeET2_T3_PNS13_IS18_E10value_typeET4_jRbjT5_S1E_jjP12ihipStream_tbEUljE_ZNSN_ISO_Lb1ESQ_SR_ST_SU_SY_EESZ_S10_S11_S12_S16_S17_S18_S1B_S1C_jS1D_jS1E_S1E_jjS1G_bEUljE0_EEESZ_S10_S11_S18_S1C_S1E_T6_T7_T9_mT8_S1G_bDpT10_ENKUlT_T0_E_clISt17integral_constantIbLb1EES1T_IbLb0EEEEDaS1P_S1Q_EUlS1P_E_NS1_11comp_targetILNS1_3genE4ELNS1_11target_archE910ELNS1_3gpuE8ELNS1_3repE0EEENS1_30default_config_static_selectorELNS0_4arch9wavefront6targetE0EEEvS12_.num_agpr, 0
	.set _ZN7rocprim17ROCPRIM_400000_NS6detail17trampoline_kernelINS0_13select_configILj256ELj13ELNS0_17block_load_methodE3ELS4_3ELS4_3ELNS0_20block_scan_algorithmE0ELj4294967295EEENS1_25partition_config_selectorILNS1_17partition_subalgoE4EjNS0_10empty_typeEbEEZZNS1_14partition_implILS8_4ELb0ES6_15HIP_vector_typeIjLj2EENS0_17counting_iteratorIjlEEPS9_SG_NS0_5tupleIJPjSI_NS0_16reverse_iteratorISI_EEEEENSH_IJSG_SG_SG_EEES9_SI_JZNS1_25segmented_radix_sort_implINS0_14default_configELb1EPKfPfPKlPlN2at6native12_GLOBAL__N_18offset_tEEE10hipError_tPvRmT1_PNSt15iterator_traitsIS12_E10value_typeET2_T3_PNS13_IS18_E10value_typeET4_jRbjT5_S1E_jjP12ihipStream_tbEUljE_ZNSN_ISO_Lb1ESQ_SR_ST_SU_SY_EESZ_S10_S11_S12_S16_S17_S18_S1B_S1C_jS1D_jS1E_S1E_jjS1G_bEUljE0_EEESZ_S10_S11_S18_S1C_S1E_T6_T7_T9_mT8_S1G_bDpT10_ENKUlT_T0_E_clISt17integral_constantIbLb1EES1T_IbLb0EEEEDaS1P_S1Q_EUlS1P_E_NS1_11comp_targetILNS1_3genE4ELNS1_11target_archE910ELNS1_3gpuE8ELNS1_3repE0EEENS1_30default_config_static_selectorELNS0_4arch9wavefront6targetE0EEEvS12_.numbered_sgpr, 0
	.set _ZN7rocprim17ROCPRIM_400000_NS6detail17trampoline_kernelINS0_13select_configILj256ELj13ELNS0_17block_load_methodE3ELS4_3ELS4_3ELNS0_20block_scan_algorithmE0ELj4294967295EEENS1_25partition_config_selectorILNS1_17partition_subalgoE4EjNS0_10empty_typeEbEEZZNS1_14partition_implILS8_4ELb0ES6_15HIP_vector_typeIjLj2EENS0_17counting_iteratorIjlEEPS9_SG_NS0_5tupleIJPjSI_NS0_16reverse_iteratorISI_EEEEENSH_IJSG_SG_SG_EEES9_SI_JZNS1_25segmented_radix_sort_implINS0_14default_configELb1EPKfPfPKlPlN2at6native12_GLOBAL__N_18offset_tEEE10hipError_tPvRmT1_PNSt15iterator_traitsIS12_E10value_typeET2_T3_PNS13_IS18_E10value_typeET4_jRbjT5_S1E_jjP12ihipStream_tbEUljE_ZNSN_ISO_Lb1ESQ_SR_ST_SU_SY_EESZ_S10_S11_S12_S16_S17_S18_S1B_S1C_jS1D_jS1E_S1E_jjS1G_bEUljE0_EEESZ_S10_S11_S18_S1C_S1E_T6_T7_T9_mT8_S1G_bDpT10_ENKUlT_T0_E_clISt17integral_constantIbLb1EES1T_IbLb0EEEEDaS1P_S1Q_EUlS1P_E_NS1_11comp_targetILNS1_3genE4ELNS1_11target_archE910ELNS1_3gpuE8ELNS1_3repE0EEENS1_30default_config_static_selectorELNS0_4arch9wavefront6targetE0EEEvS12_.num_named_barrier, 0
	.set _ZN7rocprim17ROCPRIM_400000_NS6detail17trampoline_kernelINS0_13select_configILj256ELj13ELNS0_17block_load_methodE3ELS4_3ELS4_3ELNS0_20block_scan_algorithmE0ELj4294967295EEENS1_25partition_config_selectorILNS1_17partition_subalgoE4EjNS0_10empty_typeEbEEZZNS1_14partition_implILS8_4ELb0ES6_15HIP_vector_typeIjLj2EENS0_17counting_iteratorIjlEEPS9_SG_NS0_5tupleIJPjSI_NS0_16reverse_iteratorISI_EEEEENSH_IJSG_SG_SG_EEES9_SI_JZNS1_25segmented_radix_sort_implINS0_14default_configELb1EPKfPfPKlPlN2at6native12_GLOBAL__N_18offset_tEEE10hipError_tPvRmT1_PNSt15iterator_traitsIS12_E10value_typeET2_T3_PNS13_IS18_E10value_typeET4_jRbjT5_S1E_jjP12ihipStream_tbEUljE_ZNSN_ISO_Lb1ESQ_SR_ST_SU_SY_EESZ_S10_S11_S12_S16_S17_S18_S1B_S1C_jS1D_jS1E_S1E_jjS1G_bEUljE0_EEESZ_S10_S11_S18_S1C_S1E_T6_T7_T9_mT8_S1G_bDpT10_ENKUlT_T0_E_clISt17integral_constantIbLb1EES1T_IbLb0EEEEDaS1P_S1Q_EUlS1P_E_NS1_11comp_targetILNS1_3genE4ELNS1_11target_archE910ELNS1_3gpuE8ELNS1_3repE0EEENS1_30default_config_static_selectorELNS0_4arch9wavefront6targetE0EEEvS12_.private_seg_size, 0
	.set _ZN7rocprim17ROCPRIM_400000_NS6detail17trampoline_kernelINS0_13select_configILj256ELj13ELNS0_17block_load_methodE3ELS4_3ELS4_3ELNS0_20block_scan_algorithmE0ELj4294967295EEENS1_25partition_config_selectorILNS1_17partition_subalgoE4EjNS0_10empty_typeEbEEZZNS1_14partition_implILS8_4ELb0ES6_15HIP_vector_typeIjLj2EENS0_17counting_iteratorIjlEEPS9_SG_NS0_5tupleIJPjSI_NS0_16reverse_iteratorISI_EEEEENSH_IJSG_SG_SG_EEES9_SI_JZNS1_25segmented_radix_sort_implINS0_14default_configELb1EPKfPfPKlPlN2at6native12_GLOBAL__N_18offset_tEEE10hipError_tPvRmT1_PNSt15iterator_traitsIS12_E10value_typeET2_T3_PNS13_IS18_E10value_typeET4_jRbjT5_S1E_jjP12ihipStream_tbEUljE_ZNSN_ISO_Lb1ESQ_SR_ST_SU_SY_EESZ_S10_S11_S12_S16_S17_S18_S1B_S1C_jS1D_jS1E_S1E_jjS1G_bEUljE0_EEESZ_S10_S11_S18_S1C_S1E_T6_T7_T9_mT8_S1G_bDpT10_ENKUlT_T0_E_clISt17integral_constantIbLb1EES1T_IbLb0EEEEDaS1P_S1Q_EUlS1P_E_NS1_11comp_targetILNS1_3genE4ELNS1_11target_archE910ELNS1_3gpuE8ELNS1_3repE0EEENS1_30default_config_static_selectorELNS0_4arch9wavefront6targetE0EEEvS12_.uses_vcc, 0
	.set _ZN7rocprim17ROCPRIM_400000_NS6detail17trampoline_kernelINS0_13select_configILj256ELj13ELNS0_17block_load_methodE3ELS4_3ELS4_3ELNS0_20block_scan_algorithmE0ELj4294967295EEENS1_25partition_config_selectorILNS1_17partition_subalgoE4EjNS0_10empty_typeEbEEZZNS1_14partition_implILS8_4ELb0ES6_15HIP_vector_typeIjLj2EENS0_17counting_iteratorIjlEEPS9_SG_NS0_5tupleIJPjSI_NS0_16reverse_iteratorISI_EEEEENSH_IJSG_SG_SG_EEES9_SI_JZNS1_25segmented_radix_sort_implINS0_14default_configELb1EPKfPfPKlPlN2at6native12_GLOBAL__N_18offset_tEEE10hipError_tPvRmT1_PNSt15iterator_traitsIS12_E10value_typeET2_T3_PNS13_IS18_E10value_typeET4_jRbjT5_S1E_jjP12ihipStream_tbEUljE_ZNSN_ISO_Lb1ESQ_SR_ST_SU_SY_EESZ_S10_S11_S12_S16_S17_S18_S1B_S1C_jS1D_jS1E_S1E_jjS1G_bEUljE0_EEESZ_S10_S11_S18_S1C_S1E_T6_T7_T9_mT8_S1G_bDpT10_ENKUlT_T0_E_clISt17integral_constantIbLb1EES1T_IbLb0EEEEDaS1P_S1Q_EUlS1P_E_NS1_11comp_targetILNS1_3genE4ELNS1_11target_archE910ELNS1_3gpuE8ELNS1_3repE0EEENS1_30default_config_static_selectorELNS0_4arch9wavefront6targetE0EEEvS12_.uses_flat_scratch, 0
	.set _ZN7rocprim17ROCPRIM_400000_NS6detail17trampoline_kernelINS0_13select_configILj256ELj13ELNS0_17block_load_methodE3ELS4_3ELS4_3ELNS0_20block_scan_algorithmE0ELj4294967295EEENS1_25partition_config_selectorILNS1_17partition_subalgoE4EjNS0_10empty_typeEbEEZZNS1_14partition_implILS8_4ELb0ES6_15HIP_vector_typeIjLj2EENS0_17counting_iteratorIjlEEPS9_SG_NS0_5tupleIJPjSI_NS0_16reverse_iteratorISI_EEEEENSH_IJSG_SG_SG_EEES9_SI_JZNS1_25segmented_radix_sort_implINS0_14default_configELb1EPKfPfPKlPlN2at6native12_GLOBAL__N_18offset_tEEE10hipError_tPvRmT1_PNSt15iterator_traitsIS12_E10value_typeET2_T3_PNS13_IS18_E10value_typeET4_jRbjT5_S1E_jjP12ihipStream_tbEUljE_ZNSN_ISO_Lb1ESQ_SR_ST_SU_SY_EESZ_S10_S11_S12_S16_S17_S18_S1B_S1C_jS1D_jS1E_S1E_jjS1G_bEUljE0_EEESZ_S10_S11_S18_S1C_S1E_T6_T7_T9_mT8_S1G_bDpT10_ENKUlT_T0_E_clISt17integral_constantIbLb1EES1T_IbLb0EEEEDaS1P_S1Q_EUlS1P_E_NS1_11comp_targetILNS1_3genE4ELNS1_11target_archE910ELNS1_3gpuE8ELNS1_3repE0EEENS1_30default_config_static_selectorELNS0_4arch9wavefront6targetE0EEEvS12_.has_dyn_sized_stack, 0
	.set _ZN7rocprim17ROCPRIM_400000_NS6detail17trampoline_kernelINS0_13select_configILj256ELj13ELNS0_17block_load_methodE3ELS4_3ELS4_3ELNS0_20block_scan_algorithmE0ELj4294967295EEENS1_25partition_config_selectorILNS1_17partition_subalgoE4EjNS0_10empty_typeEbEEZZNS1_14partition_implILS8_4ELb0ES6_15HIP_vector_typeIjLj2EENS0_17counting_iteratorIjlEEPS9_SG_NS0_5tupleIJPjSI_NS0_16reverse_iteratorISI_EEEEENSH_IJSG_SG_SG_EEES9_SI_JZNS1_25segmented_radix_sort_implINS0_14default_configELb1EPKfPfPKlPlN2at6native12_GLOBAL__N_18offset_tEEE10hipError_tPvRmT1_PNSt15iterator_traitsIS12_E10value_typeET2_T3_PNS13_IS18_E10value_typeET4_jRbjT5_S1E_jjP12ihipStream_tbEUljE_ZNSN_ISO_Lb1ESQ_SR_ST_SU_SY_EESZ_S10_S11_S12_S16_S17_S18_S1B_S1C_jS1D_jS1E_S1E_jjS1G_bEUljE0_EEESZ_S10_S11_S18_S1C_S1E_T6_T7_T9_mT8_S1G_bDpT10_ENKUlT_T0_E_clISt17integral_constantIbLb1EES1T_IbLb0EEEEDaS1P_S1Q_EUlS1P_E_NS1_11comp_targetILNS1_3genE4ELNS1_11target_archE910ELNS1_3gpuE8ELNS1_3repE0EEENS1_30default_config_static_selectorELNS0_4arch9wavefront6targetE0EEEvS12_.has_recursion, 0
	.set _ZN7rocprim17ROCPRIM_400000_NS6detail17trampoline_kernelINS0_13select_configILj256ELj13ELNS0_17block_load_methodE3ELS4_3ELS4_3ELNS0_20block_scan_algorithmE0ELj4294967295EEENS1_25partition_config_selectorILNS1_17partition_subalgoE4EjNS0_10empty_typeEbEEZZNS1_14partition_implILS8_4ELb0ES6_15HIP_vector_typeIjLj2EENS0_17counting_iteratorIjlEEPS9_SG_NS0_5tupleIJPjSI_NS0_16reverse_iteratorISI_EEEEENSH_IJSG_SG_SG_EEES9_SI_JZNS1_25segmented_radix_sort_implINS0_14default_configELb1EPKfPfPKlPlN2at6native12_GLOBAL__N_18offset_tEEE10hipError_tPvRmT1_PNSt15iterator_traitsIS12_E10value_typeET2_T3_PNS13_IS18_E10value_typeET4_jRbjT5_S1E_jjP12ihipStream_tbEUljE_ZNSN_ISO_Lb1ESQ_SR_ST_SU_SY_EESZ_S10_S11_S12_S16_S17_S18_S1B_S1C_jS1D_jS1E_S1E_jjS1G_bEUljE0_EEESZ_S10_S11_S18_S1C_S1E_T6_T7_T9_mT8_S1G_bDpT10_ENKUlT_T0_E_clISt17integral_constantIbLb1EES1T_IbLb0EEEEDaS1P_S1Q_EUlS1P_E_NS1_11comp_targetILNS1_3genE4ELNS1_11target_archE910ELNS1_3gpuE8ELNS1_3repE0EEENS1_30default_config_static_selectorELNS0_4arch9wavefront6targetE0EEEvS12_.has_indirect_call, 0
	.section	.AMDGPU.csdata,"",@progbits
; Kernel info:
; codeLenInByte = 0
; TotalNumSgprs: 0
; NumVgprs: 0
; ScratchSize: 0
; MemoryBound: 0
; FloatMode: 240
; IeeeMode: 1
; LDSByteSize: 0 bytes/workgroup (compile time only)
; SGPRBlocks: 0
; VGPRBlocks: 0
; NumSGPRsForWavesPerEU: 1
; NumVGPRsForWavesPerEU: 1
; NamedBarCnt: 0
; Occupancy: 16
; WaveLimiterHint : 0
; COMPUTE_PGM_RSRC2:SCRATCH_EN: 0
; COMPUTE_PGM_RSRC2:USER_SGPR: 2
; COMPUTE_PGM_RSRC2:TRAP_HANDLER: 0
; COMPUTE_PGM_RSRC2:TGID_X_EN: 1
; COMPUTE_PGM_RSRC2:TGID_Y_EN: 0
; COMPUTE_PGM_RSRC2:TGID_Z_EN: 0
; COMPUTE_PGM_RSRC2:TIDIG_COMP_CNT: 0
	.section	.text._ZN7rocprim17ROCPRIM_400000_NS6detail17trampoline_kernelINS0_13select_configILj256ELj13ELNS0_17block_load_methodE3ELS4_3ELS4_3ELNS0_20block_scan_algorithmE0ELj4294967295EEENS1_25partition_config_selectorILNS1_17partition_subalgoE4EjNS0_10empty_typeEbEEZZNS1_14partition_implILS8_4ELb0ES6_15HIP_vector_typeIjLj2EENS0_17counting_iteratorIjlEEPS9_SG_NS0_5tupleIJPjSI_NS0_16reverse_iteratorISI_EEEEENSH_IJSG_SG_SG_EEES9_SI_JZNS1_25segmented_radix_sort_implINS0_14default_configELb1EPKfPfPKlPlN2at6native12_GLOBAL__N_18offset_tEEE10hipError_tPvRmT1_PNSt15iterator_traitsIS12_E10value_typeET2_T3_PNS13_IS18_E10value_typeET4_jRbjT5_S1E_jjP12ihipStream_tbEUljE_ZNSN_ISO_Lb1ESQ_SR_ST_SU_SY_EESZ_S10_S11_S12_S16_S17_S18_S1B_S1C_jS1D_jS1E_S1E_jjS1G_bEUljE0_EEESZ_S10_S11_S18_S1C_S1E_T6_T7_T9_mT8_S1G_bDpT10_ENKUlT_T0_E_clISt17integral_constantIbLb1EES1T_IbLb0EEEEDaS1P_S1Q_EUlS1P_E_NS1_11comp_targetILNS1_3genE3ELNS1_11target_archE908ELNS1_3gpuE7ELNS1_3repE0EEENS1_30default_config_static_selectorELNS0_4arch9wavefront6targetE0EEEvS12_,"axG",@progbits,_ZN7rocprim17ROCPRIM_400000_NS6detail17trampoline_kernelINS0_13select_configILj256ELj13ELNS0_17block_load_methodE3ELS4_3ELS4_3ELNS0_20block_scan_algorithmE0ELj4294967295EEENS1_25partition_config_selectorILNS1_17partition_subalgoE4EjNS0_10empty_typeEbEEZZNS1_14partition_implILS8_4ELb0ES6_15HIP_vector_typeIjLj2EENS0_17counting_iteratorIjlEEPS9_SG_NS0_5tupleIJPjSI_NS0_16reverse_iteratorISI_EEEEENSH_IJSG_SG_SG_EEES9_SI_JZNS1_25segmented_radix_sort_implINS0_14default_configELb1EPKfPfPKlPlN2at6native12_GLOBAL__N_18offset_tEEE10hipError_tPvRmT1_PNSt15iterator_traitsIS12_E10value_typeET2_T3_PNS13_IS18_E10value_typeET4_jRbjT5_S1E_jjP12ihipStream_tbEUljE_ZNSN_ISO_Lb1ESQ_SR_ST_SU_SY_EESZ_S10_S11_S12_S16_S17_S18_S1B_S1C_jS1D_jS1E_S1E_jjS1G_bEUljE0_EEESZ_S10_S11_S18_S1C_S1E_T6_T7_T9_mT8_S1G_bDpT10_ENKUlT_T0_E_clISt17integral_constantIbLb1EES1T_IbLb0EEEEDaS1P_S1Q_EUlS1P_E_NS1_11comp_targetILNS1_3genE3ELNS1_11target_archE908ELNS1_3gpuE7ELNS1_3repE0EEENS1_30default_config_static_selectorELNS0_4arch9wavefront6targetE0EEEvS12_,comdat
	.globl	_ZN7rocprim17ROCPRIM_400000_NS6detail17trampoline_kernelINS0_13select_configILj256ELj13ELNS0_17block_load_methodE3ELS4_3ELS4_3ELNS0_20block_scan_algorithmE0ELj4294967295EEENS1_25partition_config_selectorILNS1_17partition_subalgoE4EjNS0_10empty_typeEbEEZZNS1_14partition_implILS8_4ELb0ES6_15HIP_vector_typeIjLj2EENS0_17counting_iteratorIjlEEPS9_SG_NS0_5tupleIJPjSI_NS0_16reverse_iteratorISI_EEEEENSH_IJSG_SG_SG_EEES9_SI_JZNS1_25segmented_radix_sort_implINS0_14default_configELb1EPKfPfPKlPlN2at6native12_GLOBAL__N_18offset_tEEE10hipError_tPvRmT1_PNSt15iterator_traitsIS12_E10value_typeET2_T3_PNS13_IS18_E10value_typeET4_jRbjT5_S1E_jjP12ihipStream_tbEUljE_ZNSN_ISO_Lb1ESQ_SR_ST_SU_SY_EESZ_S10_S11_S12_S16_S17_S18_S1B_S1C_jS1D_jS1E_S1E_jjS1G_bEUljE0_EEESZ_S10_S11_S18_S1C_S1E_T6_T7_T9_mT8_S1G_bDpT10_ENKUlT_T0_E_clISt17integral_constantIbLb1EES1T_IbLb0EEEEDaS1P_S1Q_EUlS1P_E_NS1_11comp_targetILNS1_3genE3ELNS1_11target_archE908ELNS1_3gpuE7ELNS1_3repE0EEENS1_30default_config_static_selectorELNS0_4arch9wavefront6targetE0EEEvS12_ ; -- Begin function _ZN7rocprim17ROCPRIM_400000_NS6detail17trampoline_kernelINS0_13select_configILj256ELj13ELNS0_17block_load_methodE3ELS4_3ELS4_3ELNS0_20block_scan_algorithmE0ELj4294967295EEENS1_25partition_config_selectorILNS1_17partition_subalgoE4EjNS0_10empty_typeEbEEZZNS1_14partition_implILS8_4ELb0ES6_15HIP_vector_typeIjLj2EENS0_17counting_iteratorIjlEEPS9_SG_NS0_5tupleIJPjSI_NS0_16reverse_iteratorISI_EEEEENSH_IJSG_SG_SG_EEES9_SI_JZNS1_25segmented_radix_sort_implINS0_14default_configELb1EPKfPfPKlPlN2at6native12_GLOBAL__N_18offset_tEEE10hipError_tPvRmT1_PNSt15iterator_traitsIS12_E10value_typeET2_T3_PNS13_IS18_E10value_typeET4_jRbjT5_S1E_jjP12ihipStream_tbEUljE_ZNSN_ISO_Lb1ESQ_SR_ST_SU_SY_EESZ_S10_S11_S12_S16_S17_S18_S1B_S1C_jS1D_jS1E_S1E_jjS1G_bEUljE0_EEESZ_S10_S11_S18_S1C_S1E_T6_T7_T9_mT8_S1G_bDpT10_ENKUlT_T0_E_clISt17integral_constantIbLb1EES1T_IbLb0EEEEDaS1P_S1Q_EUlS1P_E_NS1_11comp_targetILNS1_3genE3ELNS1_11target_archE908ELNS1_3gpuE7ELNS1_3repE0EEENS1_30default_config_static_selectorELNS0_4arch9wavefront6targetE0EEEvS12_
	.p2align	8
	.type	_ZN7rocprim17ROCPRIM_400000_NS6detail17trampoline_kernelINS0_13select_configILj256ELj13ELNS0_17block_load_methodE3ELS4_3ELS4_3ELNS0_20block_scan_algorithmE0ELj4294967295EEENS1_25partition_config_selectorILNS1_17partition_subalgoE4EjNS0_10empty_typeEbEEZZNS1_14partition_implILS8_4ELb0ES6_15HIP_vector_typeIjLj2EENS0_17counting_iteratorIjlEEPS9_SG_NS0_5tupleIJPjSI_NS0_16reverse_iteratorISI_EEEEENSH_IJSG_SG_SG_EEES9_SI_JZNS1_25segmented_radix_sort_implINS0_14default_configELb1EPKfPfPKlPlN2at6native12_GLOBAL__N_18offset_tEEE10hipError_tPvRmT1_PNSt15iterator_traitsIS12_E10value_typeET2_T3_PNS13_IS18_E10value_typeET4_jRbjT5_S1E_jjP12ihipStream_tbEUljE_ZNSN_ISO_Lb1ESQ_SR_ST_SU_SY_EESZ_S10_S11_S12_S16_S17_S18_S1B_S1C_jS1D_jS1E_S1E_jjS1G_bEUljE0_EEESZ_S10_S11_S18_S1C_S1E_T6_T7_T9_mT8_S1G_bDpT10_ENKUlT_T0_E_clISt17integral_constantIbLb1EES1T_IbLb0EEEEDaS1P_S1Q_EUlS1P_E_NS1_11comp_targetILNS1_3genE3ELNS1_11target_archE908ELNS1_3gpuE7ELNS1_3repE0EEENS1_30default_config_static_selectorELNS0_4arch9wavefront6targetE0EEEvS12_,@function
_ZN7rocprim17ROCPRIM_400000_NS6detail17trampoline_kernelINS0_13select_configILj256ELj13ELNS0_17block_load_methodE3ELS4_3ELS4_3ELNS0_20block_scan_algorithmE0ELj4294967295EEENS1_25partition_config_selectorILNS1_17partition_subalgoE4EjNS0_10empty_typeEbEEZZNS1_14partition_implILS8_4ELb0ES6_15HIP_vector_typeIjLj2EENS0_17counting_iteratorIjlEEPS9_SG_NS0_5tupleIJPjSI_NS0_16reverse_iteratorISI_EEEEENSH_IJSG_SG_SG_EEES9_SI_JZNS1_25segmented_radix_sort_implINS0_14default_configELb1EPKfPfPKlPlN2at6native12_GLOBAL__N_18offset_tEEE10hipError_tPvRmT1_PNSt15iterator_traitsIS12_E10value_typeET2_T3_PNS13_IS18_E10value_typeET4_jRbjT5_S1E_jjP12ihipStream_tbEUljE_ZNSN_ISO_Lb1ESQ_SR_ST_SU_SY_EESZ_S10_S11_S12_S16_S17_S18_S1B_S1C_jS1D_jS1E_S1E_jjS1G_bEUljE0_EEESZ_S10_S11_S18_S1C_S1E_T6_T7_T9_mT8_S1G_bDpT10_ENKUlT_T0_E_clISt17integral_constantIbLb1EES1T_IbLb0EEEEDaS1P_S1Q_EUlS1P_E_NS1_11comp_targetILNS1_3genE3ELNS1_11target_archE908ELNS1_3gpuE7ELNS1_3repE0EEENS1_30default_config_static_selectorELNS0_4arch9wavefront6targetE0EEEvS12_: ; @_ZN7rocprim17ROCPRIM_400000_NS6detail17trampoline_kernelINS0_13select_configILj256ELj13ELNS0_17block_load_methodE3ELS4_3ELS4_3ELNS0_20block_scan_algorithmE0ELj4294967295EEENS1_25partition_config_selectorILNS1_17partition_subalgoE4EjNS0_10empty_typeEbEEZZNS1_14partition_implILS8_4ELb0ES6_15HIP_vector_typeIjLj2EENS0_17counting_iteratorIjlEEPS9_SG_NS0_5tupleIJPjSI_NS0_16reverse_iteratorISI_EEEEENSH_IJSG_SG_SG_EEES9_SI_JZNS1_25segmented_radix_sort_implINS0_14default_configELb1EPKfPfPKlPlN2at6native12_GLOBAL__N_18offset_tEEE10hipError_tPvRmT1_PNSt15iterator_traitsIS12_E10value_typeET2_T3_PNS13_IS18_E10value_typeET4_jRbjT5_S1E_jjP12ihipStream_tbEUljE_ZNSN_ISO_Lb1ESQ_SR_ST_SU_SY_EESZ_S10_S11_S12_S16_S17_S18_S1B_S1C_jS1D_jS1E_S1E_jjS1G_bEUljE0_EEESZ_S10_S11_S18_S1C_S1E_T6_T7_T9_mT8_S1G_bDpT10_ENKUlT_T0_E_clISt17integral_constantIbLb1EES1T_IbLb0EEEEDaS1P_S1Q_EUlS1P_E_NS1_11comp_targetILNS1_3genE3ELNS1_11target_archE908ELNS1_3gpuE7ELNS1_3repE0EEENS1_30default_config_static_selectorELNS0_4arch9wavefront6targetE0EEEvS12_
; %bb.0:
	.section	.rodata,"a",@progbits
	.p2align	6, 0x0
	.amdhsa_kernel _ZN7rocprim17ROCPRIM_400000_NS6detail17trampoline_kernelINS0_13select_configILj256ELj13ELNS0_17block_load_methodE3ELS4_3ELS4_3ELNS0_20block_scan_algorithmE0ELj4294967295EEENS1_25partition_config_selectorILNS1_17partition_subalgoE4EjNS0_10empty_typeEbEEZZNS1_14partition_implILS8_4ELb0ES6_15HIP_vector_typeIjLj2EENS0_17counting_iteratorIjlEEPS9_SG_NS0_5tupleIJPjSI_NS0_16reverse_iteratorISI_EEEEENSH_IJSG_SG_SG_EEES9_SI_JZNS1_25segmented_radix_sort_implINS0_14default_configELb1EPKfPfPKlPlN2at6native12_GLOBAL__N_18offset_tEEE10hipError_tPvRmT1_PNSt15iterator_traitsIS12_E10value_typeET2_T3_PNS13_IS18_E10value_typeET4_jRbjT5_S1E_jjP12ihipStream_tbEUljE_ZNSN_ISO_Lb1ESQ_SR_ST_SU_SY_EESZ_S10_S11_S12_S16_S17_S18_S1B_S1C_jS1D_jS1E_S1E_jjS1G_bEUljE0_EEESZ_S10_S11_S18_S1C_S1E_T6_T7_T9_mT8_S1G_bDpT10_ENKUlT_T0_E_clISt17integral_constantIbLb1EES1T_IbLb0EEEEDaS1P_S1Q_EUlS1P_E_NS1_11comp_targetILNS1_3genE3ELNS1_11target_archE908ELNS1_3gpuE7ELNS1_3repE0EEENS1_30default_config_static_selectorELNS0_4arch9wavefront6targetE0EEEvS12_
		.amdhsa_group_segment_fixed_size 0
		.amdhsa_private_segment_fixed_size 0
		.amdhsa_kernarg_size 176
		.amdhsa_user_sgpr_count 2
		.amdhsa_user_sgpr_dispatch_ptr 0
		.amdhsa_user_sgpr_queue_ptr 0
		.amdhsa_user_sgpr_kernarg_segment_ptr 1
		.amdhsa_user_sgpr_dispatch_id 0
		.amdhsa_user_sgpr_kernarg_preload_length 0
		.amdhsa_user_sgpr_kernarg_preload_offset 0
		.amdhsa_user_sgpr_private_segment_size 0
		.amdhsa_wavefront_size32 1
		.amdhsa_uses_dynamic_stack 0
		.amdhsa_enable_private_segment 0
		.amdhsa_system_sgpr_workgroup_id_x 1
		.amdhsa_system_sgpr_workgroup_id_y 0
		.amdhsa_system_sgpr_workgroup_id_z 0
		.amdhsa_system_sgpr_workgroup_info 0
		.amdhsa_system_vgpr_workitem_id 0
		.amdhsa_next_free_vgpr 1
		.amdhsa_next_free_sgpr 1
		.amdhsa_named_barrier_count 0
		.amdhsa_reserve_vcc 0
		.amdhsa_float_round_mode_32 0
		.amdhsa_float_round_mode_16_64 0
		.amdhsa_float_denorm_mode_32 3
		.amdhsa_float_denorm_mode_16_64 3
		.amdhsa_fp16_overflow 0
		.amdhsa_memory_ordered 1
		.amdhsa_forward_progress 1
		.amdhsa_inst_pref_size 0
		.amdhsa_round_robin_scheduling 0
		.amdhsa_exception_fp_ieee_invalid_op 0
		.amdhsa_exception_fp_denorm_src 0
		.amdhsa_exception_fp_ieee_div_zero 0
		.amdhsa_exception_fp_ieee_overflow 0
		.amdhsa_exception_fp_ieee_underflow 0
		.amdhsa_exception_fp_ieee_inexact 0
		.amdhsa_exception_int_div_zero 0
	.end_amdhsa_kernel
	.section	.text._ZN7rocprim17ROCPRIM_400000_NS6detail17trampoline_kernelINS0_13select_configILj256ELj13ELNS0_17block_load_methodE3ELS4_3ELS4_3ELNS0_20block_scan_algorithmE0ELj4294967295EEENS1_25partition_config_selectorILNS1_17partition_subalgoE4EjNS0_10empty_typeEbEEZZNS1_14partition_implILS8_4ELb0ES6_15HIP_vector_typeIjLj2EENS0_17counting_iteratorIjlEEPS9_SG_NS0_5tupleIJPjSI_NS0_16reverse_iteratorISI_EEEEENSH_IJSG_SG_SG_EEES9_SI_JZNS1_25segmented_radix_sort_implINS0_14default_configELb1EPKfPfPKlPlN2at6native12_GLOBAL__N_18offset_tEEE10hipError_tPvRmT1_PNSt15iterator_traitsIS12_E10value_typeET2_T3_PNS13_IS18_E10value_typeET4_jRbjT5_S1E_jjP12ihipStream_tbEUljE_ZNSN_ISO_Lb1ESQ_SR_ST_SU_SY_EESZ_S10_S11_S12_S16_S17_S18_S1B_S1C_jS1D_jS1E_S1E_jjS1G_bEUljE0_EEESZ_S10_S11_S18_S1C_S1E_T6_T7_T9_mT8_S1G_bDpT10_ENKUlT_T0_E_clISt17integral_constantIbLb1EES1T_IbLb0EEEEDaS1P_S1Q_EUlS1P_E_NS1_11comp_targetILNS1_3genE3ELNS1_11target_archE908ELNS1_3gpuE7ELNS1_3repE0EEENS1_30default_config_static_selectorELNS0_4arch9wavefront6targetE0EEEvS12_,"axG",@progbits,_ZN7rocprim17ROCPRIM_400000_NS6detail17trampoline_kernelINS0_13select_configILj256ELj13ELNS0_17block_load_methodE3ELS4_3ELS4_3ELNS0_20block_scan_algorithmE0ELj4294967295EEENS1_25partition_config_selectorILNS1_17partition_subalgoE4EjNS0_10empty_typeEbEEZZNS1_14partition_implILS8_4ELb0ES6_15HIP_vector_typeIjLj2EENS0_17counting_iteratorIjlEEPS9_SG_NS0_5tupleIJPjSI_NS0_16reverse_iteratorISI_EEEEENSH_IJSG_SG_SG_EEES9_SI_JZNS1_25segmented_radix_sort_implINS0_14default_configELb1EPKfPfPKlPlN2at6native12_GLOBAL__N_18offset_tEEE10hipError_tPvRmT1_PNSt15iterator_traitsIS12_E10value_typeET2_T3_PNS13_IS18_E10value_typeET4_jRbjT5_S1E_jjP12ihipStream_tbEUljE_ZNSN_ISO_Lb1ESQ_SR_ST_SU_SY_EESZ_S10_S11_S12_S16_S17_S18_S1B_S1C_jS1D_jS1E_S1E_jjS1G_bEUljE0_EEESZ_S10_S11_S18_S1C_S1E_T6_T7_T9_mT8_S1G_bDpT10_ENKUlT_T0_E_clISt17integral_constantIbLb1EES1T_IbLb0EEEEDaS1P_S1Q_EUlS1P_E_NS1_11comp_targetILNS1_3genE3ELNS1_11target_archE908ELNS1_3gpuE7ELNS1_3repE0EEENS1_30default_config_static_selectorELNS0_4arch9wavefront6targetE0EEEvS12_,comdat
.Lfunc_end1274:
	.size	_ZN7rocprim17ROCPRIM_400000_NS6detail17trampoline_kernelINS0_13select_configILj256ELj13ELNS0_17block_load_methodE3ELS4_3ELS4_3ELNS0_20block_scan_algorithmE0ELj4294967295EEENS1_25partition_config_selectorILNS1_17partition_subalgoE4EjNS0_10empty_typeEbEEZZNS1_14partition_implILS8_4ELb0ES6_15HIP_vector_typeIjLj2EENS0_17counting_iteratorIjlEEPS9_SG_NS0_5tupleIJPjSI_NS0_16reverse_iteratorISI_EEEEENSH_IJSG_SG_SG_EEES9_SI_JZNS1_25segmented_radix_sort_implINS0_14default_configELb1EPKfPfPKlPlN2at6native12_GLOBAL__N_18offset_tEEE10hipError_tPvRmT1_PNSt15iterator_traitsIS12_E10value_typeET2_T3_PNS13_IS18_E10value_typeET4_jRbjT5_S1E_jjP12ihipStream_tbEUljE_ZNSN_ISO_Lb1ESQ_SR_ST_SU_SY_EESZ_S10_S11_S12_S16_S17_S18_S1B_S1C_jS1D_jS1E_S1E_jjS1G_bEUljE0_EEESZ_S10_S11_S18_S1C_S1E_T6_T7_T9_mT8_S1G_bDpT10_ENKUlT_T0_E_clISt17integral_constantIbLb1EES1T_IbLb0EEEEDaS1P_S1Q_EUlS1P_E_NS1_11comp_targetILNS1_3genE3ELNS1_11target_archE908ELNS1_3gpuE7ELNS1_3repE0EEENS1_30default_config_static_selectorELNS0_4arch9wavefront6targetE0EEEvS12_, .Lfunc_end1274-_ZN7rocprim17ROCPRIM_400000_NS6detail17trampoline_kernelINS0_13select_configILj256ELj13ELNS0_17block_load_methodE3ELS4_3ELS4_3ELNS0_20block_scan_algorithmE0ELj4294967295EEENS1_25partition_config_selectorILNS1_17partition_subalgoE4EjNS0_10empty_typeEbEEZZNS1_14partition_implILS8_4ELb0ES6_15HIP_vector_typeIjLj2EENS0_17counting_iteratorIjlEEPS9_SG_NS0_5tupleIJPjSI_NS0_16reverse_iteratorISI_EEEEENSH_IJSG_SG_SG_EEES9_SI_JZNS1_25segmented_radix_sort_implINS0_14default_configELb1EPKfPfPKlPlN2at6native12_GLOBAL__N_18offset_tEEE10hipError_tPvRmT1_PNSt15iterator_traitsIS12_E10value_typeET2_T3_PNS13_IS18_E10value_typeET4_jRbjT5_S1E_jjP12ihipStream_tbEUljE_ZNSN_ISO_Lb1ESQ_SR_ST_SU_SY_EESZ_S10_S11_S12_S16_S17_S18_S1B_S1C_jS1D_jS1E_S1E_jjS1G_bEUljE0_EEESZ_S10_S11_S18_S1C_S1E_T6_T7_T9_mT8_S1G_bDpT10_ENKUlT_T0_E_clISt17integral_constantIbLb1EES1T_IbLb0EEEEDaS1P_S1Q_EUlS1P_E_NS1_11comp_targetILNS1_3genE3ELNS1_11target_archE908ELNS1_3gpuE7ELNS1_3repE0EEENS1_30default_config_static_selectorELNS0_4arch9wavefront6targetE0EEEvS12_
                                        ; -- End function
	.set _ZN7rocprim17ROCPRIM_400000_NS6detail17trampoline_kernelINS0_13select_configILj256ELj13ELNS0_17block_load_methodE3ELS4_3ELS4_3ELNS0_20block_scan_algorithmE0ELj4294967295EEENS1_25partition_config_selectorILNS1_17partition_subalgoE4EjNS0_10empty_typeEbEEZZNS1_14partition_implILS8_4ELb0ES6_15HIP_vector_typeIjLj2EENS0_17counting_iteratorIjlEEPS9_SG_NS0_5tupleIJPjSI_NS0_16reverse_iteratorISI_EEEEENSH_IJSG_SG_SG_EEES9_SI_JZNS1_25segmented_radix_sort_implINS0_14default_configELb1EPKfPfPKlPlN2at6native12_GLOBAL__N_18offset_tEEE10hipError_tPvRmT1_PNSt15iterator_traitsIS12_E10value_typeET2_T3_PNS13_IS18_E10value_typeET4_jRbjT5_S1E_jjP12ihipStream_tbEUljE_ZNSN_ISO_Lb1ESQ_SR_ST_SU_SY_EESZ_S10_S11_S12_S16_S17_S18_S1B_S1C_jS1D_jS1E_S1E_jjS1G_bEUljE0_EEESZ_S10_S11_S18_S1C_S1E_T6_T7_T9_mT8_S1G_bDpT10_ENKUlT_T0_E_clISt17integral_constantIbLb1EES1T_IbLb0EEEEDaS1P_S1Q_EUlS1P_E_NS1_11comp_targetILNS1_3genE3ELNS1_11target_archE908ELNS1_3gpuE7ELNS1_3repE0EEENS1_30default_config_static_selectorELNS0_4arch9wavefront6targetE0EEEvS12_.num_vgpr, 0
	.set _ZN7rocprim17ROCPRIM_400000_NS6detail17trampoline_kernelINS0_13select_configILj256ELj13ELNS0_17block_load_methodE3ELS4_3ELS4_3ELNS0_20block_scan_algorithmE0ELj4294967295EEENS1_25partition_config_selectorILNS1_17partition_subalgoE4EjNS0_10empty_typeEbEEZZNS1_14partition_implILS8_4ELb0ES6_15HIP_vector_typeIjLj2EENS0_17counting_iteratorIjlEEPS9_SG_NS0_5tupleIJPjSI_NS0_16reverse_iteratorISI_EEEEENSH_IJSG_SG_SG_EEES9_SI_JZNS1_25segmented_radix_sort_implINS0_14default_configELb1EPKfPfPKlPlN2at6native12_GLOBAL__N_18offset_tEEE10hipError_tPvRmT1_PNSt15iterator_traitsIS12_E10value_typeET2_T3_PNS13_IS18_E10value_typeET4_jRbjT5_S1E_jjP12ihipStream_tbEUljE_ZNSN_ISO_Lb1ESQ_SR_ST_SU_SY_EESZ_S10_S11_S12_S16_S17_S18_S1B_S1C_jS1D_jS1E_S1E_jjS1G_bEUljE0_EEESZ_S10_S11_S18_S1C_S1E_T6_T7_T9_mT8_S1G_bDpT10_ENKUlT_T0_E_clISt17integral_constantIbLb1EES1T_IbLb0EEEEDaS1P_S1Q_EUlS1P_E_NS1_11comp_targetILNS1_3genE3ELNS1_11target_archE908ELNS1_3gpuE7ELNS1_3repE0EEENS1_30default_config_static_selectorELNS0_4arch9wavefront6targetE0EEEvS12_.num_agpr, 0
	.set _ZN7rocprim17ROCPRIM_400000_NS6detail17trampoline_kernelINS0_13select_configILj256ELj13ELNS0_17block_load_methodE3ELS4_3ELS4_3ELNS0_20block_scan_algorithmE0ELj4294967295EEENS1_25partition_config_selectorILNS1_17partition_subalgoE4EjNS0_10empty_typeEbEEZZNS1_14partition_implILS8_4ELb0ES6_15HIP_vector_typeIjLj2EENS0_17counting_iteratorIjlEEPS9_SG_NS0_5tupleIJPjSI_NS0_16reverse_iteratorISI_EEEEENSH_IJSG_SG_SG_EEES9_SI_JZNS1_25segmented_radix_sort_implINS0_14default_configELb1EPKfPfPKlPlN2at6native12_GLOBAL__N_18offset_tEEE10hipError_tPvRmT1_PNSt15iterator_traitsIS12_E10value_typeET2_T3_PNS13_IS18_E10value_typeET4_jRbjT5_S1E_jjP12ihipStream_tbEUljE_ZNSN_ISO_Lb1ESQ_SR_ST_SU_SY_EESZ_S10_S11_S12_S16_S17_S18_S1B_S1C_jS1D_jS1E_S1E_jjS1G_bEUljE0_EEESZ_S10_S11_S18_S1C_S1E_T6_T7_T9_mT8_S1G_bDpT10_ENKUlT_T0_E_clISt17integral_constantIbLb1EES1T_IbLb0EEEEDaS1P_S1Q_EUlS1P_E_NS1_11comp_targetILNS1_3genE3ELNS1_11target_archE908ELNS1_3gpuE7ELNS1_3repE0EEENS1_30default_config_static_selectorELNS0_4arch9wavefront6targetE0EEEvS12_.numbered_sgpr, 0
	.set _ZN7rocprim17ROCPRIM_400000_NS6detail17trampoline_kernelINS0_13select_configILj256ELj13ELNS0_17block_load_methodE3ELS4_3ELS4_3ELNS0_20block_scan_algorithmE0ELj4294967295EEENS1_25partition_config_selectorILNS1_17partition_subalgoE4EjNS0_10empty_typeEbEEZZNS1_14partition_implILS8_4ELb0ES6_15HIP_vector_typeIjLj2EENS0_17counting_iteratorIjlEEPS9_SG_NS0_5tupleIJPjSI_NS0_16reverse_iteratorISI_EEEEENSH_IJSG_SG_SG_EEES9_SI_JZNS1_25segmented_radix_sort_implINS0_14default_configELb1EPKfPfPKlPlN2at6native12_GLOBAL__N_18offset_tEEE10hipError_tPvRmT1_PNSt15iterator_traitsIS12_E10value_typeET2_T3_PNS13_IS18_E10value_typeET4_jRbjT5_S1E_jjP12ihipStream_tbEUljE_ZNSN_ISO_Lb1ESQ_SR_ST_SU_SY_EESZ_S10_S11_S12_S16_S17_S18_S1B_S1C_jS1D_jS1E_S1E_jjS1G_bEUljE0_EEESZ_S10_S11_S18_S1C_S1E_T6_T7_T9_mT8_S1G_bDpT10_ENKUlT_T0_E_clISt17integral_constantIbLb1EES1T_IbLb0EEEEDaS1P_S1Q_EUlS1P_E_NS1_11comp_targetILNS1_3genE3ELNS1_11target_archE908ELNS1_3gpuE7ELNS1_3repE0EEENS1_30default_config_static_selectorELNS0_4arch9wavefront6targetE0EEEvS12_.num_named_barrier, 0
	.set _ZN7rocprim17ROCPRIM_400000_NS6detail17trampoline_kernelINS0_13select_configILj256ELj13ELNS0_17block_load_methodE3ELS4_3ELS4_3ELNS0_20block_scan_algorithmE0ELj4294967295EEENS1_25partition_config_selectorILNS1_17partition_subalgoE4EjNS0_10empty_typeEbEEZZNS1_14partition_implILS8_4ELb0ES6_15HIP_vector_typeIjLj2EENS0_17counting_iteratorIjlEEPS9_SG_NS0_5tupleIJPjSI_NS0_16reverse_iteratorISI_EEEEENSH_IJSG_SG_SG_EEES9_SI_JZNS1_25segmented_radix_sort_implINS0_14default_configELb1EPKfPfPKlPlN2at6native12_GLOBAL__N_18offset_tEEE10hipError_tPvRmT1_PNSt15iterator_traitsIS12_E10value_typeET2_T3_PNS13_IS18_E10value_typeET4_jRbjT5_S1E_jjP12ihipStream_tbEUljE_ZNSN_ISO_Lb1ESQ_SR_ST_SU_SY_EESZ_S10_S11_S12_S16_S17_S18_S1B_S1C_jS1D_jS1E_S1E_jjS1G_bEUljE0_EEESZ_S10_S11_S18_S1C_S1E_T6_T7_T9_mT8_S1G_bDpT10_ENKUlT_T0_E_clISt17integral_constantIbLb1EES1T_IbLb0EEEEDaS1P_S1Q_EUlS1P_E_NS1_11comp_targetILNS1_3genE3ELNS1_11target_archE908ELNS1_3gpuE7ELNS1_3repE0EEENS1_30default_config_static_selectorELNS0_4arch9wavefront6targetE0EEEvS12_.private_seg_size, 0
	.set _ZN7rocprim17ROCPRIM_400000_NS6detail17trampoline_kernelINS0_13select_configILj256ELj13ELNS0_17block_load_methodE3ELS4_3ELS4_3ELNS0_20block_scan_algorithmE0ELj4294967295EEENS1_25partition_config_selectorILNS1_17partition_subalgoE4EjNS0_10empty_typeEbEEZZNS1_14partition_implILS8_4ELb0ES6_15HIP_vector_typeIjLj2EENS0_17counting_iteratorIjlEEPS9_SG_NS0_5tupleIJPjSI_NS0_16reverse_iteratorISI_EEEEENSH_IJSG_SG_SG_EEES9_SI_JZNS1_25segmented_radix_sort_implINS0_14default_configELb1EPKfPfPKlPlN2at6native12_GLOBAL__N_18offset_tEEE10hipError_tPvRmT1_PNSt15iterator_traitsIS12_E10value_typeET2_T3_PNS13_IS18_E10value_typeET4_jRbjT5_S1E_jjP12ihipStream_tbEUljE_ZNSN_ISO_Lb1ESQ_SR_ST_SU_SY_EESZ_S10_S11_S12_S16_S17_S18_S1B_S1C_jS1D_jS1E_S1E_jjS1G_bEUljE0_EEESZ_S10_S11_S18_S1C_S1E_T6_T7_T9_mT8_S1G_bDpT10_ENKUlT_T0_E_clISt17integral_constantIbLb1EES1T_IbLb0EEEEDaS1P_S1Q_EUlS1P_E_NS1_11comp_targetILNS1_3genE3ELNS1_11target_archE908ELNS1_3gpuE7ELNS1_3repE0EEENS1_30default_config_static_selectorELNS0_4arch9wavefront6targetE0EEEvS12_.uses_vcc, 0
	.set _ZN7rocprim17ROCPRIM_400000_NS6detail17trampoline_kernelINS0_13select_configILj256ELj13ELNS0_17block_load_methodE3ELS4_3ELS4_3ELNS0_20block_scan_algorithmE0ELj4294967295EEENS1_25partition_config_selectorILNS1_17partition_subalgoE4EjNS0_10empty_typeEbEEZZNS1_14partition_implILS8_4ELb0ES6_15HIP_vector_typeIjLj2EENS0_17counting_iteratorIjlEEPS9_SG_NS0_5tupleIJPjSI_NS0_16reverse_iteratorISI_EEEEENSH_IJSG_SG_SG_EEES9_SI_JZNS1_25segmented_radix_sort_implINS0_14default_configELb1EPKfPfPKlPlN2at6native12_GLOBAL__N_18offset_tEEE10hipError_tPvRmT1_PNSt15iterator_traitsIS12_E10value_typeET2_T3_PNS13_IS18_E10value_typeET4_jRbjT5_S1E_jjP12ihipStream_tbEUljE_ZNSN_ISO_Lb1ESQ_SR_ST_SU_SY_EESZ_S10_S11_S12_S16_S17_S18_S1B_S1C_jS1D_jS1E_S1E_jjS1G_bEUljE0_EEESZ_S10_S11_S18_S1C_S1E_T6_T7_T9_mT8_S1G_bDpT10_ENKUlT_T0_E_clISt17integral_constantIbLb1EES1T_IbLb0EEEEDaS1P_S1Q_EUlS1P_E_NS1_11comp_targetILNS1_3genE3ELNS1_11target_archE908ELNS1_3gpuE7ELNS1_3repE0EEENS1_30default_config_static_selectorELNS0_4arch9wavefront6targetE0EEEvS12_.uses_flat_scratch, 0
	.set _ZN7rocprim17ROCPRIM_400000_NS6detail17trampoline_kernelINS0_13select_configILj256ELj13ELNS0_17block_load_methodE3ELS4_3ELS4_3ELNS0_20block_scan_algorithmE0ELj4294967295EEENS1_25partition_config_selectorILNS1_17partition_subalgoE4EjNS0_10empty_typeEbEEZZNS1_14partition_implILS8_4ELb0ES6_15HIP_vector_typeIjLj2EENS0_17counting_iteratorIjlEEPS9_SG_NS0_5tupleIJPjSI_NS0_16reverse_iteratorISI_EEEEENSH_IJSG_SG_SG_EEES9_SI_JZNS1_25segmented_radix_sort_implINS0_14default_configELb1EPKfPfPKlPlN2at6native12_GLOBAL__N_18offset_tEEE10hipError_tPvRmT1_PNSt15iterator_traitsIS12_E10value_typeET2_T3_PNS13_IS18_E10value_typeET4_jRbjT5_S1E_jjP12ihipStream_tbEUljE_ZNSN_ISO_Lb1ESQ_SR_ST_SU_SY_EESZ_S10_S11_S12_S16_S17_S18_S1B_S1C_jS1D_jS1E_S1E_jjS1G_bEUljE0_EEESZ_S10_S11_S18_S1C_S1E_T6_T7_T9_mT8_S1G_bDpT10_ENKUlT_T0_E_clISt17integral_constantIbLb1EES1T_IbLb0EEEEDaS1P_S1Q_EUlS1P_E_NS1_11comp_targetILNS1_3genE3ELNS1_11target_archE908ELNS1_3gpuE7ELNS1_3repE0EEENS1_30default_config_static_selectorELNS0_4arch9wavefront6targetE0EEEvS12_.has_dyn_sized_stack, 0
	.set _ZN7rocprim17ROCPRIM_400000_NS6detail17trampoline_kernelINS0_13select_configILj256ELj13ELNS0_17block_load_methodE3ELS4_3ELS4_3ELNS0_20block_scan_algorithmE0ELj4294967295EEENS1_25partition_config_selectorILNS1_17partition_subalgoE4EjNS0_10empty_typeEbEEZZNS1_14partition_implILS8_4ELb0ES6_15HIP_vector_typeIjLj2EENS0_17counting_iteratorIjlEEPS9_SG_NS0_5tupleIJPjSI_NS0_16reverse_iteratorISI_EEEEENSH_IJSG_SG_SG_EEES9_SI_JZNS1_25segmented_radix_sort_implINS0_14default_configELb1EPKfPfPKlPlN2at6native12_GLOBAL__N_18offset_tEEE10hipError_tPvRmT1_PNSt15iterator_traitsIS12_E10value_typeET2_T3_PNS13_IS18_E10value_typeET4_jRbjT5_S1E_jjP12ihipStream_tbEUljE_ZNSN_ISO_Lb1ESQ_SR_ST_SU_SY_EESZ_S10_S11_S12_S16_S17_S18_S1B_S1C_jS1D_jS1E_S1E_jjS1G_bEUljE0_EEESZ_S10_S11_S18_S1C_S1E_T6_T7_T9_mT8_S1G_bDpT10_ENKUlT_T0_E_clISt17integral_constantIbLb1EES1T_IbLb0EEEEDaS1P_S1Q_EUlS1P_E_NS1_11comp_targetILNS1_3genE3ELNS1_11target_archE908ELNS1_3gpuE7ELNS1_3repE0EEENS1_30default_config_static_selectorELNS0_4arch9wavefront6targetE0EEEvS12_.has_recursion, 0
	.set _ZN7rocprim17ROCPRIM_400000_NS6detail17trampoline_kernelINS0_13select_configILj256ELj13ELNS0_17block_load_methodE3ELS4_3ELS4_3ELNS0_20block_scan_algorithmE0ELj4294967295EEENS1_25partition_config_selectorILNS1_17partition_subalgoE4EjNS0_10empty_typeEbEEZZNS1_14partition_implILS8_4ELb0ES6_15HIP_vector_typeIjLj2EENS0_17counting_iteratorIjlEEPS9_SG_NS0_5tupleIJPjSI_NS0_16reverse_iteratorISI_EEEEENSH_IJSG_SG_SG_EEES9_SI_JZNS1_25segmented_radix_sort_implINS0_14default_configELb1EPKfPfPKlPlN2at6native12_GLOBAL__N_18offset_tEEE10hipError_tPvRmT1_PNSt15iterator_traitsIS12_E10value_typeET2_T3_PNS13_IS18_E10value_typeET4_jRbjT5_S1E_jjP12ihipStream_tbEUljE_ZNSN_ISO_Lb1ESQ_SR_ST_SU_SY_EESZ_S10_S11_S12_S16_S17_S18_S1B_S1C_jS1D_jS1E_S1E_jjS1G_bEUljE0_EEESZ_S10_S11_S18_S1C_S1E_T6_T7_T9_mT8_S1G_bDpT10_ENKUlT_T0_E_clISt17integral_constantIbLb1EES1T_IbLb0EEEEDaS1P_S1Q_EUlS1P_E_NS1_11comp_targetILNS1_3genE3ELNS1_11target_archE908ELNS1_3gpuE7ELNS1_3repE0EEENS1_30default_config_static_selectorELNS0_4arch9wavefront6targetE0EEEvS12_.has_indirect_call, 0
	.section	.AMDGPU.csdata,"",@progbits
; Kernel info:
; codeLenInByte = 0
; TotalNumSgprs: 0
; NumVgprs: 0
; ScratchSize: 0
; MemoryBound: 0
; FloatMode: 240
; IeeeMode: 1
; LDSByteSize: 0 bytes/workgroup (compile time only)
; SGPRBlocks: 0
; VGPRBlocks: 0
; NumSGPRsForWavesPerEU: 1
; NumVGPRsForWavesPerEU: 1
; NamedBarCnt: 0
; Occupancy: 16
; WaveLimiterHint : 0
; COMPUTE_PGM_RSRC2:SCRATCH_EN: 0
; COMPUTE_PGM_RSRC2:USER_SGPR: 2
; COMPUTE_PGM_RSRC2:TRAP_HANDLER: 0
; COMPUTE_PGM_RSRC2:TGID_X_EN: 1
; COMPUTE_PGM_RSRC2:TGID_Y_EN: 0
; COMPUTE_PGM_RSRC2:TGID_Z_EN: 0
; COMPUTE_PGM_RSRC2:TIDIG_COMP_CNT: 0
	.section	.text._ZN7rocprim17ROCPRIM_400000_NS6detail17trampoline_kernelINS0_13select_configILj256ELj13ELNS0_17block_load_methodE3ELS4_3ELS4_3ELNS0_20block_scan_algorithmE0ELj4294967295EEENS1_25partition_config_selectorILNS1_17partition_subalgoE4EjNS0_10empty_typeEbEEZZNS1_14partition_implILS8_4ELb0ES6_15HIP_vector_typeIjLj2EENS0_17counting_iteratorIjlEEPS9_SG_NS0_5tupleIJPjSI_NS0_16reverse_iteratorISI_EEEEENSH_IJSG_SG_SG_EEES9_SI_JZNS1_25segmented_radix_sort_implINS0_14default_configELb1EPKfPfPKlPlN2at6native12_GLOBAL__N_18offset_tEEE10hipError_tPvRmT1_PNSt15iterator_traitsIS12_E10value_typeET2_T3_PNS13_IS18_E10value_typeET4_jRbjT5_S1E_jjP12ihipStream_tbEUljE_ZNSN_ISO_Lb1ESQ_SR_ST_SU_SY_EESZ_S10_S11_S12_S16_S17_S18_S1B_S1C_jS1D_jS1E_S1E_jjS1G_bEUljE0_EEESZ_S10_S11_S18_S1C_S1E_T6_T7_T9_mT8_S1G_bDpT10_ENKUlT_T0_E_clISt17integral_constantIbLb1EES1T_IbLb0EEEEDaS1P_S1Q_EUlS1P_E_NS1_11comp_targetILNS1_3genE2ELNS1_11target_archE906ELNS1_3gpuE6ELNS1_3repE0EEENS1_30default_config_static_selectorELNS0_4arch9wavefront6targetE0EEEvS12_,"axG",@progbits,_ZN7rocprim17ROCPRIM_400000_NS6detail17trampoline_kernelINS0_13select_configILj256ELj13ELNS0_17block_load_methodE3ELS4_3ELS4_3ELNS0_20block_scan_algorithmE0ELj4294967295EEENS1_25partition_config_selectorILNS1_17partition_subalgoE4EjNS0_10empty_typeEbEEZZNS1_14partition_implILS8_4ELb0ES6_15HIP_vector_typeIjLj2EENS0_17counting_iteratorIjlEEPS9_SG_NS0_5tupleIJPjSI_NS0_16reverse_iteratorISI_EEEEENSH_IJSG_SG_SG_EEES9_SI_JZNS1_25segmented_radix_sort_implINS0_14default_configELb1EPKfPfPKlPlN2at6native12_GLOBAL__N_18offset_tEEE10hipError_tPvRmT1_PNSt15iterator_traitsIS12_E10value_typeET2_T3_PNS13_IS18_E10value_typeET4_jRbjT5_S1E_jjP12ihipStream_tbEUljE_ZNSN_ISO_Lb1ESQ_SR_ST_SU_SY_EESZ_S10_S11_S12_S16_S17_S18_S1B_S1C_jS1D_jS1E_S1E_jjS1G_bEUljE0_EEESZ_S10_S11_S18_S1C_S1E_T6_T7_T9_mT8_S1G_bDpT10_ENKUlT_T0_E_clISt17integral_constantIbLb1EES1T_IbLb0EEEEDaS1P_S1Q_EUlS1P_E_NS1_11comp_targetILNS1_3genE2ELNS1_11target_archE906ELNS1_3gpuE6ELNS1_3repE0EEENS1_30default_config_static_selectorELNS0_4arch9wavefront6targetE0EEEvS12_,comdat
	.globl	_ZN7rocprim17ROCPRIM_400000_NS6detail17trampoline_kernelINS0_13select_configILj256ELj13ELNS0_17block_load_methodE3ELS4_3ELS4_3ELNS0_20block_scan_algorithmE0ELj4294967295EEENS1_25partition_config_selectorILNS1_17partition_subalgoE4EjNS0_10empty_typeEbEEZZNS1_14partition_implILS8_4ELb0ES6_15HIP_vector_typeIjLj2EENS0_17counting_iteratorIjlEEPS9_SG_NS0_5tupleIJPjSI_NS0_16reverse_iteratorISI_EEEEENSH_IJSG_SG_SG_EEES9_SI_JZNS1_25segmented_radix_sort_implINS0_14default_configELb1EPKfPfPKlPlN2at6native12_GLOBAL__N_18offset_tEEE10hipError_tPvRmT1_PNSt15iterator_traitsIS12_E10value_typeET2_T3_PNS13_IS18_E10value_typeET4_jRbjT5_S1E_jjP12ihipStream_tbEUljE_ZNSN_ISO_Lb1ESQ_SR_ST_SU_SY_EESZ_S10_S11_S12_S16_S17_S18_S1B_S1C_jS1D_jS1E_S1E_jjS1G_bEUljE0_EEESZ_S10_S11_S18_S1C_S1E_T6_T7_T9_mT8_S1G_bDpT10_ENKUlT_T0_E_clISt17integral_constantIbLb1EES1T_IbLb0EEEEDaS1P_S1Q_EUlS1P_E_NS1_11comp_targetILNS1_3genE2ELNS1_11target_archE906ELNS1_3gpuE6ELNS1_3repE0EEENS1_30default_config_static_selectorELNS0_4arch9wavefront6targetE0EEEvS12_ ; -- Begin function _ZN7rocprim17ROCPRIM_400000_NS6detail17trampoline_kernelINS0_13select_configILj256ELj13ELNS0_17block_load_methodE3ELS4_3ELS4_3ELNS0_20block_scan_algorithmE0ELj4294967295EEENS1_25partition_config_selectorILNS1_17partition_subalgoE4EjNS0_10empty_typeEbEEZZNS1_14partition_implILS8_4ELb0ES6_15HIP_vector_typeIjLj2EENS0_17counting_iteratorIjlEEPS9_SG_NS0_5tupleIJPjSI_NS0_16reverse_iteratorISI_EEEEENSH_IJSG_SG_SG_EEES9_SI_JZNS1_25segmented_radix_sort_implINS0_14default_configELb1EPKfPfPKlPlN2at6native12_GLOBAL__N_18offset_tEEE10hipError_tPvRmT1_PNSt15iterator_traitsIS12_E10value_typeET2_T3_PNS13_IS18_E10value_typeET4_jRbjT5_S1E_jjP12ihipStream_tbEUljE_ZNSN_ISO_Lb1ESQ_SR_ST_SU_SY_EESZ_S10_S11_S12_S16_S17_S18_S1B_S1C_jS1D_jS1E_S1E_jjS1G_bEUljE0_EEESZ_S10_S11_S18_S1C_S1E_T6_T7_T9_mT8_S1G_bDpT10_ENKUlT_T0_E_clISt17integral_constantIbLb1EES1T_IbLb0EEEEDaS1P_S1Q_EUlS1P_E_NS1_11comp_targetILNS1_3genE2ELNS1_11target_archE906ELNS1_3gpuE6ELNS1_3repE0EEENS1_30default_config_static_selectorELNS0_4arch9wavefront6targetE0EEEvS12_
	.p2align	8
	.type	_ZN7rocprim17ROCPRIM_400000_NS6detail17trampoline_kernelINS0_13select_configILj256ELj13ELNS0_17block_load_methodE3ELS4_3ELS4_3ELNS0_20block_scan_algorithmE0ELj4294967295EEENS1_25partition_config_selectorILNS1_17partition_subalgoE4EjNS0_10empty_typeEbEEZZNS1_14partition_implILS8_4ELb0ES6_15HIP_vector_typeIjLj2EENS0_17counting_iteratorIjlEEPS9_SG_NS0_5tupleIJPjSI_NS0_16reverse_iteratorISI_EEEEENSH_IJSG_SG_SG_EEES9_SI_JZNS1_25segmented_radix_sort_implINS0_14default_configELb1EPKfPfPKlPlN2at6native12_GLOBAL__N_18offset_tEEE10hipError_tPvRmT1_PNSt15iterator_traitsIS12_E10value_typeET2_T3_PNS13_IS18_E10value_typeET4_jRbjT5_S1E_jjP12ihipStream_tbEUljE_ZNSN_ISO_Lb1ESQ_SR_ST_SU_SY_EESZ_S10_S11_S12_S16_S17_S18_S1B_S1C_jS1D_jS1E_S1E_jjS1G_bEUljE0_EEESZ_S10_S11_S18_S1C_S1E_T6_T7_T9_mT8_S1G_bDpT10_ENKUlT_T0_E_clISt17integral_constantIbLb1EES1T_IbLb0EEEEDaS1P_S1Q_EUlS1P_E_NS1_11comp_targetILNS1_3genE2ELNS1_11target_archE906ELNS1_3gpuE6ELNS1_3repE0EEENS1_30default_config_static_selectorELNS0_4arch9wavefront6targetE0EEEvS12_,@function
_ZN7rocprim17ROCPRIM_400000_NS6detail17trampoline_kernelINS0_13select_configILj256ELj13ELNS0_17block_load_methodE3ELS4_3ELS4_3ELNS0_20block_scan_algorithmE0ELj4294967295EEENS1_25partition_config_selectorILNS1_17partition_subalgoE4EjNS0_10empty_typeEbEEZZNS1_14partition_implILS8_4ELb0ES6_15HIP_vector_typeIjLj2EENS0_17counting_iteratorIjlEEPS9_SG_NS0_5tupleIJPjSI_NS0_16reverse_iteratorISI_EEEEENSH_IJSG_SG_SG_EEES9_SI_JZNS1_25segmented_radix_sort_implINS0_14default_configELb1EPKfPfPKlPlN2at6native12_GLOBAL__N_18offset_tEEE10hipError_tPvRmT1_PNSt15iterator_traitsIS12_E10value_typeET2_T3_PNS13_IS18_E10value_typeET4_jRbjT5_S1E_jjP12ihipStream_tbEUljE_ZNSN_ISO_Lb1ESQ_SR_ST_SU_SY_EESZ_S10_S11_S12_S16_S17_S18_S1B_S1C_jS1D_jS1E_S1E_jjS1G_bEUljE0_EEESZ_S10_S11_S18_S1C_S1E_T6_T7_T9_mT8_S1G_bDpT10_ENKUlT_T0_E_clISt17integral_constantIbLb1EES1T_IbLb0EEEEDaS1P_S1Q_EUlS1P_E_NS1_11comp_targetILNS1_3genE2ELNS1_11target_archE906ELNS1_3gpuE6ELNS1_3repE0EEENS1_30default_config_static_selectorELNS0_4arch9wavefront6targetE0EEEvS12_: ; @_ZN7rocprim17ROCPRIM_400000_NS6detail17trampoline_kernelINS0_13select_configILj256ELj13ELNS0_17block_load_methodE3ELS4_3ELS4_3ELNS0_20block_scan_algorithmE0ELj4294967295EEENS1_25partition_config_selectorILNS1_17partition_subalgoE4EjNS0_10empty_typeEbEEZZNS1_14partition_implILS8_4ELb0ES6_15HIP_vector_typeIjLj2EENS0_17counting_iteratorIjlEEPS9_SG_NS0_5tupleIJPjSI_NS0_16reverse_iteratorISI_EEEEENSH_IJSG_SG_SG_EEES9_SI_JZNS1_25segmented_radix_sort_implINS0_14default_configELb1EPKfPfPKlPlN2at6native12_GLOBAL__N_18offset_tEEE10hipError_tPvRmT1_PNSt15iterator_traitsIS12_E10value_typeET2_T3_PNS13_IS18_E10value_typeET4_jRbjT5_S1E_jjP12ihipStream_tbEUljE_ZNSN_ISO_Lb1ESQ_SR_ST_SU_SY_EESZ_S10_S11_S12_S16_S17_S18_S1B_S1C_jS1D_jS1E_S1E_jjS1G_bEUljE0_EEESZ_S10_S11_S18_S1C_S1E_T6_T7_T9_mT8_S1G_bDpT10_ENKUlT_T0_E_clISt17integral_constantIbLb1EES1T_IbLb0EEEEDaS1P_S1Q_EUlS1P_E_NS1_11comp_targetILNS1_3genE2ELNS1_11target_archE906ELNS1_3gpuE6ELNS1_3repE0EEENS1_30default_config_static_selectorELNS0_4arch9wavefront6targetE0EEEvS12_
; %bb.0:
	.section	.rodata,"a",@progbits
	.p2align	6, 0x0
	.amdhsa_kernel _ZN7rocprim17ROCPRIM_400000_NS6detail17trampoline_kernelINS0_13select_configILj256ELj13ELNS0_17block_load_methodE3ELS4_3ELS4_3ELNS0_20block_scan_algorithmE0ELj4294967295EEENS1_25partition_config_selectorILNS1_17partition_subalgoE4EjNS0_10empty_typeEbEEZZNS1_14partition_implILS8_4ELb0ES6_15HIP_vector_typeIjLj2EENS0_17counting_iteratorIjlEEPS9_SG_NS0_5tupleIJPjSI_NS0_16reverse_iteratorISI_EEEEENSH_IJSG_SG_SG_EEES9_SI_JZNS1_25segmented_radix_sort_implINS0_14default_configELb1EPKfPfPKlPlN2at6native12_GLOBAL__N_18offset_tEEE10hipError_tPvRmT1_PNSt15iterator_traitsIS12_E10value_typeET2_T3_PNS13_IS18_E10value_typeET4_jRbjT5_S1E_jjP12ihipStream_tbEUljE_ZNSN_ISO_Lb1ESQ_SR_ST_SU_SY_EESZ_S10_S11_S12_S16_S17_S18_S1B_S1C_jS1D_jS1E_S1E_jjS1G_bEUljE0_EEESZ_S10_S11_S18_S1C_S1E_T6_T7_T9_mT8_S1G_bDpT10_ENKUlT_T0_E_clISt17integral_constantIbLb1EES1T_IbLb0EEEEDaS1P_S1Q_EUlS1P_E_NS1_11comp_targetILNS1_3genE2ELNS1_11target_archE906ELNS1_3gpuE6ELNS1_3repE0EEENS1_30default_config_static_selectorELNS0_4arch9wavefront6targetE0EEEvS12_
		.amdhsa_group_segment_fixed_size 0
		.amdhsa_private_segment_fixed_size 0
		.amdhsa_kernarg_size 176
		.amdhsa_user_sgpr_count 2
		.amdhsa_user_sgpr_dispatch_ptr 0
		.amdhsa_user_sgpr_queue_ptr 0
		.amdhsa_user_sgpr_kernarg_segment_ptr 1
		.amdhsa_user_sgpr_dispatch_id 0
		.amdhsa_user_sgpr_kernarg_preload_length 0
		.amdhsa_user_sgpr_kernarg_preload_offset 0
		.amdhsa_user_sgpr_private_segment_size 0
		.amdhsa_wavefront_size32 1
		.amdhsa_uses_dynamic_stack 0
		.amdhsa_enable_private_segment 0
		.amdhsa_system_sgpr_workgroup_id_x 1
		.amdhsa_system_sgpr_workgroup_id_y 0
		.amdhsa_system_sgpr_workgroup_id_z 0
		.amdhsa_system_sgpr_workgroup_info 0
		.amdhsa_system_vgpr_workitem_id 0
		.amdhsa_next_free_vgpr 1
		.amdhsa_next_free_sgpr 1
		.amdhsa_named_barrier_count 0
		.amdhsa_reserve_vcc 0
		.amdhsa_float_round_mode_32 0
		.amdhsa_float_round_mode_16_64 0
		.amdhsa_float_denorm_mode_32 3
		.amdhsa_float_denorm_mode_16_64 3
		.amdhsa_fp16_overflow 0
		.amdhsa_memory_ordered 1
		.amdhsa_forward_progress 1
		.amdhsa_inst_pref_size 0
		.amdhsa_round_robin_scheduling 0
		.amdhsa_exception_fp_ieee_invalid_op 0
		.amdhsa_exception_fp_denorm_src 0
		.amdhsa_exception_fp_ieee_div_zero 0
		.amdhsa_exception_fp_ieee_overflow 0
		.amdhsa_exception_fp_ieee_underflow 0
		.amdhsa_exception_fp_ieee_inexact 0
		.amdhsa_exception_int_div_zero 0
	.end_amdhsa_kernel
	.section	.text._ZN7rocprim17ROCPRIM_400000_NS6detail17trampoline_kernelINS0_13select_configILj256ELj13ELNS0_17block_load_methodE3ELS4_3ELS4_3ELNS0_20block_scan_algorithmE0ELj4294967295EEENS1_25partition_config_selectorILNS1_17partition_subalgoE4EjNS0_10empty_typeEbEEZZNS1_14partition_implILS8_4ELb0ES6_15HIP_vector_typeIjLj2EENS0_17counting_iteratorIjlEEPS9_SG_NS0_5tupleIJPjSI_NS0_16reverse_iteratorISI_EEEEENSH_IJSG_SG_SG_EEES9_SI_JZNS1_25segmented_radix_sort_implINS0_14default_configELb1EPKfPfPKlPlN2at6native12_GLOBAL__N_18offset_tEEE10hipError_tPvRmT1_PNSt15iterator_traitsIS12_E10value_typeET2_T3_PNS13_IS18_E10value_typeET4_jRbjT5_S1E_jjP12ihipStream_tbEUljE_ZNSN_ISO_Lb1ESQ_SR_ST_SU_SY_EESZ_S10_S11_S12_S16_S17_S18_S1B_S1C_jS1D_jS1E_S1E_jjS1G_bEUljE0_EEESZ_S10_S11_S18_S1C_S1E_T6_T7_T9_mT8_S1G_bDpT10_ENKUlT_T0_E_clISt17integral_constantIbLb1EES1T_IbLb0EEEEDaS1P_S1Q_EUlS1P_E_NS1_11comp_targetILNS1_3genE2ELNS1_11target_archE906ELNS1_3gpuE6ELNS1_3repE0EEENS1_30default_config_static_selectorELNS0_4arch9wavefront6targetE0EEEvS12_,"axG",@progbits,_ZN7rocprim17ROCPRIM_400000_NS6detail17trampoline_kernelINS0_13select_configILj256ELj13ELNS0_17block_load_methodE3ELS4_3ELS4_3ELNS0_20block_scan_algorithmE0ELj4294967295EEENS1_25partition_config_selectorILNS1_17partition_subalgoE4EjNS0_10empty_typeEbEEZZNS1_14partition_implILS8_4ELb0ES6_15HIP_vector_typeIjLj2EENS0_17counting_iteratorIjlEEPS9_SG_NS0_5tupleIJPjSI_NS0_16reverse_iteratorISI_EEEEENSH_IJSG_SG_SG_EEES9_SI_JZNS1_25segmented_radix_sort_implINS0_14default_configELb1EPKfPfPKlPlN2at6native12_GLOBAL__N_18offset_tEEE10hipError_tPvRmT1_PNSt15iterator_traitsIS12_E10value_typeET2_T3_PNS13_IS18_E10value_typeET4_jRbjT5_S1E_jjP12ihipStream_tbEUljE_ZNSN_ISO_Lb1ESQ_SR_ST_SU_SY_EESZ_S10_S11_S12_S16_S17_S18_S1B_S1C_jS1D_jS1E_S1E_jjS1G_bEUljE0_EEESZ_S10_S11_S18_S1C_S1E_T6_T7_T9_mT8_S1G_bDpT10_ENKUlT_T0_E_clISt17integral_constantIbLb1EES1T_IbLb0EEEEDaS1P_S1Q_EUlS1P_E_NS1_11comp_targetILNS1_3genE2ELNS1_11target_archE906ELNS1_3gpuE6ELNS1_3repE0EEENS1_30default_config_static_selectorELNS0_4arch9wavefront6targetE0EEEvS12_,comdat
.Lfunc_end1275:
	.size	_ZN7rocprim17ROCPRIM_400000_NS6detail17trampoline_kernelINS0_13select_configILj256ELj13ELNS0_17block_load_methodE3ELS4_3ELS4_3ELNS0_20block_scan_algorithmE0ELj4294967295EEENS1_25partition_config_selectorILNS1_17partition_subalgoE4EjNS0_10empty_typeEbEEZZNS1_14partition_implILS8_4ELb0ES6_15HIP_vector_typeIjLj2EENS0_17counting_iteratorIjlEEPS9_SG_NS0_5tupleIJPjSI_NS0_16reverse_iteratorISI_EEEEENSH_IJSG_SG_SG_EEES9_SI_JZNS1_25segmented_radix_sort_implINS0_14default_configELb1EPKfPfPKlPlN2at6native12_GLOBAL__N_18offset_tEEE10hipError_tPvRmT1_PNSt15iterator_traitsIS12_E10value_typeET2_T3_PNS13_IS18_E10value_typeET4_jRbjT5_S1E_jjP12ihipStream_tbEUljE_ZNSN_ISO_Lb1ESQ_SR_ST_SU_SY_EESZ_S10_S11_S12_S16_S17_S18_S1B_S1C_jS1D_jS1E_S1E_jjS1G_bEUljE0_EEESZ_S10_S11_S18_S1C_S1E_T6_T7_T9_mT8_S1G_bDpT10_ENKUlT_T0_E_clISt17integral_constantIbLb1EES1T_IbLb0EEEEDaS1P_S1Q_EUlS1P_E_NS1_11comp_targetILNS1_3genE2ELNS1_11target_archE906ELNS1_3gpuE6ELNS1_3repE0EEENS1_30default_config_static_selectorELNS0_4arch9wavefront6targetE0EEEvS12_, .Lfunc_end1275-_ZN7rocprim17ROCPRIM_400000_NS6detail17trampoline_kernelINS0_13select_configILj256ELj13ELNS0_17block_load_methodE3ELS4_3ELS4_3ELNS0_20block_scan_algorithmE0ELj4294967295EEENS1_25partition_config_selectorILNS1_17partition_subalgoE4EjNS0_10empty_typeEbEEZZNS1_14partition_implILS8_4ELb0ES6_15HIP_vector_typeIjLj2EENS0_17counting_iteratorIjlEEPS9_SG_NS0_5tupleIJPjSI_NS0_16reverse_iteratorISI_EEEEENSH_IJSG_SG_SG_EEES9_SI_JZNS1_25segmented_radix_sort_implINS0_14default_configELb1EPKfPfPKlPlN2at6native12_GLOBAL__N_18offset_tEEE10hipError_tPvRmT1_PNSt15iterator_traitsIS12_E10value_typeET2_T3_PNS13_IS18_E10value_typeET4_jRbjT5_S1E_jjP12ihipStream_tbEUljE_ZNSN_ISO_Lb1ESQ_SR_ST_SU_SY_EESZ_S10_S11_S12_S16_S17_S18_S1B_S1C_jS1D_jS1E_S1E_jjS1G_bEUljE0_EEESZ_S10_S11_S18_S1C_S1E_T6_T7_T9_mT8_S1G_bDpT10_ENKUlT_T0_E_clISt17integral_constantIbLb1EES1T_IbLb0EEEEDaS1P_S1Q_EUlS1P_E_NS1_11comp_targetILNS1_3genE2ELNS1_11target_archE906ELNS1_3gpuE6ELNS1_3repE0EEENS1_30default_config_static_selectorELNS0_4arch9wavefront6targetE0EEEvS12_
                                        ; -- End function
	.set _ZN7rocprim17ROCPRIM_400000_NS6detail17trampoline_kernelINS0_13select_configILj256ELj13ELNS0_17block_load_methodE3ELS4_3ELS4_3ELNS0_20block_scan_algorithmE0ELj4294967295EEENS1_25partition_config_selectorILNS1_17partition_subalgoE4EjNS0_10empty_typeEbEEZZNS1_14partition_implILS8_4ELb0ES6_15HIP_vector_typeIjLj2EENS0_17counting_iteratorIjlEEPS9_SG_NS0_5tupleIJPjSI_NS0_16reverse_iteratorISI_EEEEENSH_IJSG_SG_SG_EEES9_SI_JZNS1_25segmented_radix_sort_implINS0_14default_configELb1EPKfPfPKlPlN2at6native12_GLOBAL__N_18offset_tEEE10hipError_tPvRmT1_PNSt15iterator_traitsIS12_E10value_typeET2_T3_PNS13_IS18_E10value_typeET4_jRbjT5_S1E_jjP12ihipStream_tbEUljE_ZNSN_ISO_Lb1ESQ_SR_ST_SU_SY_EESZ_S10_S11_S12_S16_S17_S18_S1B_S1C_jS1D_jS1E_S1E_jjS1G_bEUljE0_EEESZ_S10_S11_S18_S1C_S1E_T6_T7_T9_mT8_S1G_bDpT10_ENKUlT_T0_E_clISt17integral_constantIbLb1EES1T_IbLb0EEEEDaS1P_S1Q_EUlS1P_E_NS1_11comp_targetILNS1_3genE2ELNS1_11target_archE906ELNS1_3gpuE6ELNS1_3repE0EEENS1_30default_config_static_selectorELNS0_4arch9wavefront6targetE0EEEvS12_.num_vgpr, 0
	.set _ZN7rocprim17ROCPRIM_400000_NS6detail17trampoline_kernelINS0_13select_configILj256ELj13ELNS0_17block_load_methodE3ELS4_3ELS4_3ELNS0_20block_scan_algorithmE0ELj4294967295EEENS1_25partition_config_selectorILNS1_17partition_subalgoE4EjNS0_10empty_typeEbEEZZNS1_14partition_implILS8_4ELb0ES6_15HIP_vector_typeIjLj2EENS0_17counting_iteratorIjlEEPS9_SG_NS0_5tupleIJPjSI_NS0_16reverse_iteratorISI_EEEEENSH_IJSG_SG_SG_EEES9_SI_JZNS1_25segmented_radix_sort_implINS0_14default_configELb1EPKfPfPKlPlN2at6native12_GLOBAL__N_18offset_tEEE10hipError_tPvRmT1_PNSt15iterator_traitsIS12_E10value_typeET2_T3_PNS13_IS18_E10value_typeET4_jRbjT5_S1E_jjP12ihipStream_tbEUljE_ZNSN_ISO_Lb1ESQ_SR_ST_SU_SY_EESZ_S10_S11_S12_S16_S17_S18_S1B_S1C_jS1D_jS1E_S1E_jjS1G_bEUljE0_EEESZ_S10_S11_S18_S1C_S1E_T6_T7_T9_mT8_S1G_bDpT10_ENKUlT_T0_E_clISt17integral_constantIbLb1EES1T_IbLb0EEEEDaS1P_S1Q_EUlS1P_E_NS1_11comp_targetILNS1_3genE2ELNS1_11target_archE906ELNS1_3gpuE6ELNS1_3repE0EEENS1_30default_config_static_selectorELNS0_4arch9wavefront6targetE0EEEvS12_.num_agpr, 0
	.set _ZN7rocprim17ROCPRIM_400000_NS6detail17trampoline_kernelINS0_13select_configILj256ELj13ELNS0_17block_load_methodE3ELS4_3ELS4_3ELNS0_20block_scan_algorithmE0ELj4294967295EEENS1_25partition_config_selectorILNS1_17partition_subalgoE4EjNS0_10empty_typeEbEEZZNS1_14partition_implILS8_4ELb0ES6_15HIP_vector_typeIjLj2EENS0_17counting_iteratorIjlEEPS9_SG_NS0_5tupleIJPjSI_NS0_16reverse_iteratorISI_EEEEENSH_IJSG_SG_SG_EEES9_SI_JZNS1_25segmented_radix_sort_implINS0_14default_configELb1EPKfPfPKlPlN2at6native12_GLOBAL__N_18offset_tEEE10hipError_tPvRmT1_PNSt15iterator_traitsIS12_E10value_typeET2_T3_PNS13_IS18_E10value_typeET4_jRbjT5_S1E_jjP12ihipStream_tbEUljE_ZNSN_ISO_Lb1ESQ_SR_ST_SU_SY_EESZ_S10_S11_S12_S16_S17_S18_S1B_S1C_jS1D_jS1E_S1E_jjS1G_bEUljE0_EEESZ_S10_S11_S18_S1C_S1E_T6_T7_T9_mT8_S1G_bDpT10_ENKUlT_T0_E_clISt17integral_constantIbLb1EES1T_IbLb0EEEEDaS1P_S1Q_EUlS1P_E_NS1_11comp_targetILNS1_3genE2ELNS1_11target_archE906ELNS1_3gpuE6ELNS1_3repE0EEENS1_30default_config_static_selectorELNS0_4arch9wavefront6targetE0EEEvS12_.numbered_sgpr, 0
	.set _ZN7rocprim17ROCPRIM_400000_NS6detail17trampoline_kernelINS0_13select_configILj256ELj13ELNS0_17block_load_methodE3ELS4_3ELS4_3ELNS0_20block_scan_algorithmE0ELj4294967295EEENS1_25partition_config_selectorILNS1_17partition_subalgoE4EjNS0_10empty_typeEbEEZZNS1_14partition_implILS8_4ELb0ES6_15HIP_vector_typeIjLj2EENS0_17counting_iteratorIjlEEPS9_SG_NS0_5tupleIJPjSI_NS0_16reverse_iteratorISI_EEEEENSH_IJSG_SG_SG_EEES9_SI_JZNS1_25segmented_radix_sort_implINS0_14default_configELb1EPKfPfPKlPlN2at6native12_GLOBAL__N_18offset_tEEE10hipError_tPvRmT1_PNSt15iterator_traitsIS12_E10value_typeET2_T3_PNS13_IS18_E10value_typeET4_jRbjT5_S1E_jjP12ihipStream_tbEUljE_ZNSN_ISO_Lb1ESQ_SR_ST_SU_SY_EESZ_S10_S11_S12_S16_S17_S18_S1B_S1C_jS1D_jS1E_S1E_jjS1G_bEUljE0_EEESZ_S10_S11_S18_S1C_S1E_T6_T7_T9_mT8_S1G_bDpT10_ENKUlT_T0_E_clISt17integral_constantIbLb1EES1T_IbLb0EEEEDaS1P_S1Q_EUlS1P_E_NS1_11comp_targetILNS1_3genE2ELNS1_11target_archE906ELNS1_3gpuE6ELNS1_3repE0EEENS1_30default_config_static_selectorELNS0_4arch9wavefront6targetE0EEEvS12_.num_named_barrier, 0
	.set _ZN7rocprim17ROCPRIM_400000_NS6detail17trampoline_kernelINS0_13select_configILj256ELj13ELNS0_17block_load_methodE3ELS4_3ELS4_3ELNS0_20block_scan_algorithmE0ELj4294967295EEENS1_25partition_config_selectorILNS1_17partition_subalgoE4EjNS0_10empty_typeEbEEZZNS1_14partition_implILS8_4ELb0ES6_15HIP_vector_typeIjLj2EENS0_17counting_iteratorIjlEEPS9_SG_NS0_5tupleIJPjSI_NS0_16reverse_iteratorISI_EEEEENSH_IJSG_SG_SG_EEES9_SI_JZNS1_25segmented_radix_sort_implINS0_14default_configELb1EPKfPfPKlPlN2at6native12_GLOBAL__N_18offset_tEEE10hipError_tPvRmT1_PNSt15iterator_traitsIS12_E10value_typeET2_T3_PNS13_IS18_E10value_typeET4_jRbjT5_S1E_jjP12ihipStream_tbEUljE_ZNSN_ISO_Lb1ESQ_SR_ST_SU_SY_EESZ_S10_S11_S12_S16_S17_S18_S1B_S1C_jS1D_jS1E_S1E_jjS1G_bEUljE0_EEESZ_S10_S11_S18_S1C_S1E_T6_T7_T9_mT8_S1G_bDpT10_ENKUlT_T0_E_clISt17integral_constantIbLb1EES1T_IbLb0EEEEDaS1P_S1Q_EUlS1P_E_NS1_11comp_targetILNS1_3genE2ELNS1_11target_archE906ELNS1_3gpuE6ELNS1_3repE0EEENS1_30default_config_static_selectorELNS0_4arch9wavefront6targetE0EEEvS12_.private_seg_size, 0
	.set _ZN7rocprim17ROCPRIM_400000_NS6detail17trampoline_kernelINS0_13select_configILj256ELj13ELNS0_17block_load_methodE3ELS4_3ELS4_3ELNS0_20block_scan_algorithmE0ELj4294967295EEENS1_25partition_config_selectorILNS1_17partition_subalgoE4EjNS0_10empty_typeEbEEZZNS1_14partition_implILS8_4ELb0ES6_15HIP_vector_typeIjLj2EENS0_17counting_iteratorIjlEEPS9_SG_NS0_5tupleIJPjSI_NS0_16reverse_iteratorISI_EEEEENSH_IJSG_SG_SG_EEES9_SI_JZNS1_25segmented_radix_sort_implINS0_14default_configELb1EPKfPfPKlPlN2at6native12_GLOBAL__N_18offset_tEEE10hipError_tPvRmT1_PNSt15iterator_traitsIS12_E10value_typeET2_T3_PNS13_IS18_E10value_typeET4_jRbjT5_S1E_jjP12ihipStream_tbEUljE_ZNSN_ISO_Lb1ESQ_SR_ST_SU_SY_EESZ_S10_S11_S12_S16_S17_S18_S1B_S1C_jS1D_jS1E_S1E_jjS1G_bEUljE0_EEESZ_S10_S11_S18_S1C_S1E_T6_T7_T9_mT8_S1G_bDpT10_ENKUlT_T0_E_clISt17integral_constantIbLb1EES1T_IbLb0EEEEDaS1P_S1Q_EUlS1P_E_NS1_11comp_targetILNS1_3genE2ELNS1_11target_archE906ELNS1_3gpuE6ELNS1_3repE0EEENS1_30default_config_static_selectorELNS0_4arch9wavefront6targetE0EEEvS12_.uses_vcc, 0
	.set _ZN7rocprim17ROCPRIM_400000_NS6detail17trampoline_kernelINS0_13select_configILj256ELj13ELNS0_17block_load_methodE3ELS4_3ELS4_3ELNS0_20block_scan_algorithmE0ELj4294967295EEENS1_25partition_config_selectorILNS1_17partition_subalgoE4EjNS0_10empty_typeEbEEZZNS1_14partition_implILS8_4ELb0ES6_15HIP_vector_typeIjLj2EENS0_17counting_iteratorIjlEEPS9_SG_NS0_5tupleIJPjSI_NS0_16reverse_iteratorISI_EEEEENSH_IJSG_SG_SG_EEES9_SI_JZNS1_25segmented_radix_sort_implINS0_14default_configELb1EPKfPfPKlPlN2at6native12_GLOBAL__N_18offset_tEEE10hipError_tPvRmT1_PNSt15iterator_traitsIS12_E10value_typeET2_T3_PNS13_IS18_E10value_typeET4_jRbjT5_S1E_jjP12ihipStream_tbEUljE_ZNSN_ISO_Lb1ESQ_SR_ST_SU_SY_EESZ_S10_S11_S12_S16_S17_S18_S1B_S1C_jS1D_jS1E_S1E_jjS1G_bEUljE0_EEESZ_S10_S11_S18_S1C_S1E_T6_T7_T9_mT8_S1G_bDpT10_ENKUlT_T0_E_clISt17integral_constantIbLb1EES1T_IbLb0EEEEDaS1P_S1Q_EUlS1P_E_NS1_11comp_targetILNS1_3genE2ELNS1_11target_archE906ELNS1_3gpuE6ELNS1_3repE0EEENS1_30default_config_static_selectorELNS0_4arch9wavefront6targetE0EEEvS12_.uses_flat_scratch, 0
	.set _ZN7rocprim17ROCPRIM_400000_NS6detail17trampoline_kernelINS0_13select_configILj256ELj13ELNS0_17block_load_methodE3ELS4_3ELS4_3ELNS0_20block_scan_algorithmE0ELj4294967295EEENS1_25partition_config_selectorILNS1_17partition_subalgoE4EjNS0_10empty_typeEbEEZZNS1_14partition_implILS8_4ELb0ES6_15HIP_vector_typeIjLj2EENS0_17counting_iteratorIjlEEPS9_SG_NS0_5tupleIJPjSI_NS0_16reverse_iteratorISI_EEEEENSH_IJSG_SG_SG_EEES9_SI_JZNS1_25segmented_radix_sort_implINS0_14default_configELb1EPKfPfPKlPlN2at6native12_GLOBAL__N_18offset_tEEE10hipError_tPvRmT1_PNSt15iterator_traitsIS12_E10value_typeET2_T3_PNS13_IS18_E10value_typeET4_jRbjT5_S1E_jjP12ihipStream_tbEUljE_ZNSN_ISO_Lb1ESQ_SR_ST_SU_SY_EESZ_S10_S11_S12_S16_S17_S18_S1B_S1C_jS1D_jS1E_S1E_jjS1G_bEUljE0_EEESZ_S10_S11_S18_S1C_S1E_T6_T7_T9_mT8_S1G_bDpT10_ENKUlT_T0_E_clISt17integral_constantIbLb1EES1T_IbLb0EEEEDaS1P_S1Q_EUlS1P_E_NS1_11comp_targetILNS1_3genE2ELNS1_11target_archE906ELNS1_3gpuE6ELNS1_3repE0EEENS1_30default_config_static_selectorELNS0_4arch9wavefront6targetE0EEEvS12_.has_dyn_sized_stack, 0
	.set _ZN7rocprim17ROCPRIM_400000_NS6detail17trampoline_kernelINS0_13select_configILj256ELj13ELNS0_17block_load_methodE3ELS4_3ELS4_3ELNS0_20block_scan_algorithmE0ELj4294967295EEENS1_25partition_config_selectorILNS1_17partition_subalgoE4EjNS0_10empty_typeEbEEZZNS1_14partition_implILS8_4ELb0ES6_15HIP_vector_typeIjLj2EENS0_17counting_iteratorIjlEEPS9_SG_NS0_5tupleIJPjSI_NS0_16reverse_iteratorISI_EEEEENSH_IJSG_SG_SG_EEES9_SI_JZNS1_25segmented_radix_sort_implINS0_14default_configELb1EPKfPfPKlPlN2at6native12_GLOBAL__N_18offset_tEEE10hipError_tPvRmT1_PNSt15iterator_traitsIS12_E10value_typeET2_T3_PNS13_IS18_E10value_typeET4_jRbjT5_S1E_jjP12ihipStream_tbEUljE_ZNSN_ISO_Lb1ESQ_SR_ST_SU_SY_EESZ_S10_S11_S12_S16_S17_S18_S1B_S1C_jS1D_jS1E_S1E_jjS1G_bEUljE0_EEESZ_S10_S11_S18_S1C_S1E_T6_T7_T9_mT8_S1G_bDpT10_ENKUlT_T0_E_clISt17integral_constantIbLb1EES1T_IbLb0EEEEDaS1P_S1Q_EUlS1P_E_NS1_11comp_targetILNS1_3genE2ELNS1_11target_archE906ELNS1_3gpuE6ELNS1_3repE0EEENS1_30default_config_static_selectorELNS0_4arch9wavefront6targetE0EEEvS12_.has_recursion, 0
	.set _ZN7rocprim17ROCPRIM_400000_NS6detail17trampoline_kernelINS0_13select_configILj256ELj13ELNS0_17block_load_methodE3ELS4_3ELS4_3ELNS0_20block_scan_algorithmE0ELj4294967295EEENS1_25partition_config_selectorILNS1_17partition_subalgoE4EjNS0_10empty_typeEbEEZZNS1_14partition_implILS8_4ELb0ES6_15HIP_vector_typeIjLj2EENS0_17counting_iteratorIjlEEPS9_SG_NS0_5tupleIJPjSI_NS0_16reverse_iteratorISI_EEEEENSH_IJSG_SG_SG_EEES9_SI_JZNS1_25segmented_radix_sort_implINS0_14default_configELb1EPKfPfPKlPlN2at6native12_GLOBAL__N_18offset_tEEE10hipError_tPvRmT1_PNSt15iterator_traitsIS12_E10value_typeET2_T3_PNS13_IS18_E10value_typeET4_jRbjT5_S1E_jjP12ihipStream_tbEUljE_ZNSN_ISO_Lb1ESQ_SR_ST_SU_SY_EESZ_S10_S11_S12_S16_S17_S18_S1B_S1C_jS1D_jS1E_S1E_jjS1G_bEUljE0_EEESZ_S10_S11_S18_S1C_S1E_T6_T7_T9_mT8_S1G_bDpT10_ENKUlT_T0_E_clISt17integral_constantIbLb1EES1T_IbLb0EEEEDaS1P_S1Q_EUlS1P_E_NS1_11comp_targetILNS1_3genE2ELNS1_11target_archE906ELNS1_3gpuE6ELNS1_3repE0EEENS1_30default_config_static_selectorELNS0_4arch9wavefront6targetE0EEEvS12_.has_indirect_call, 0
	.section	.AMDGPU.csdata,"",@progbits
; Kernel info:
; codeLenInByte = 0
; TotalNumSgprs: 0
; NumVgprs: 0
; ScratchSize: 0
; MemoryBound: 0
; FloatMode: 240
; IeeeMode: 1
; LDSByteSize: 0 bytes/workgroup (compile time only)
; SGPRBlocks: 0
; VGPRBlocks: 0
; NumSGPRsForWavesPerEU: 1
; NumVGPRsForWavesPerEU: 1
; NamedBarCnt: 0
; Occupancy: 16
; WaveLimiterHint : 0
; COMPUTE_PGM_RSRC2:SCRATCH_EN: 0
; COMPUTE_PGM_RSRC2:USER_SGPR: 2
; COMPUTE_PGM_RSRC2:TRAP_HANDLER: 0
; COMPUTE_PGM_RSRC2:TGID_X_EN: 1
; COMPUTE_PGM_RSRC2:TGID_Y_EN: 0
; COMPUTE_PGM_RSRC2:TGID_Z_EN: 0
; COMPUTE_PGM_RSRC2:TIDIG_COMP_CNT: 0
	.section	.text._ZN7rocprim17ROCPRIM_400000_NS6detail17trampoline_kernelINS0_13select_configILj256ELj13ELNS0_17block_load_methodE3ELS4_3ELS4_3ELNS0_20block_scan_algorithmE0ELj4294967295EEENS1_25partition_config_selectorILNS1_17partition_subalgoE4EjNS0_10empty_typeEbEEZZNS1_14partition_implILS8_4ELb0ES6_15HIP_vector_typeIjLj2EENS0_17counting_iteratorIjlEEPS9_SG_NS0_5tupleIJPjSI_NS0_16reverse_iteratorISI_EEEEENSH_IJSG_SG_SG_EEES9_SI_JZNS1_25segmented_radix_sort_implINS0_14default_configELb1EPKfPfPKlPlN2at6native12_GLOBAL__N_18offset_tEEE10hipError_tPvRmT1_PNSt15iterator_traitsIS12_E10value_typeET2_T3_PNS13_IS18_E10value_typeET4_jRbjT5_S1E_jjP12ihipStream_tbEUljE_ZNSN_ISO_Lb1ESQ_SR_ST_SU_SY_EESZ_S10_S11_S12_S16_S17_S18_S1B_S1C_jS1D_jS1E_S1E_jjS1G_bEUljE0_EEESZ_S10_S11_S18_S1C_S1E_T6_T7_T9_mT8_S1G_bDpT10_ENKUlT_T0_E_clISt17integral_constantIbLb1EES1T_IbLb0EEEEDaS1P_S1Q_EUlS1P_E_NS1_11comp_targetILNS1_3genE10ELNS1_11target_archE1200ELNS1_3gpuE4ELNS1_3repE0EEENS1_30default_config_static_selectorELNS0_4arch9wavefront6targetE0EEEvS12_,"axG",@progbits,_ZN7rocprim17ROCPRIM_400000_NS6detail17trampoline_kernelINS0_13select_configILj256ELj13ELNS0_17block_load_methodE3ELS4_3ELS4_3ELNS0_20block_scan_algorithmE0ELj4294967295EEENS1_25partition_config_selectorILNS1_17partition_subalgoE4EjNS0_10empty_typeEbEEZZNS1_14partition_implILS8_4ELb0ES6_15HIP_vector_typeIjLj2EENS0_17counting_iteratorIjlEEPS9_SG_NS0_5tupleIJPjSI_NS0_16reverse_iteratorISI_EEEEENSH_IJSG_SG_SG_EEES9_SI_JZNS1_25segmented_radix_sort_implINS0_14default_configELb1EPKfPfPKlPlN2at6native12_GLOBAL__N_18offset_tEEE10hipError_tPvRmT1_PNSt15iterator_traitsIS12_E10value_typeET2_T3_PNS13_IS18_E10value_typeET4_jRbjT5_S1E_jjP12ihipStream_tbEUljE_ZNSN_ISO_Lb1ESQ_SR_ST_SU_SY_EESZ_S10_S11_S12_S16_S17_S18_S1B_S1C_jS1D_jS1E_S1E_jjS1G_bEUljE0_EEESZ_S10_S11_S18_S1C_S1E_T6_T7_T9_mT8_S1G_bDpT10_ENKUlT_T0_E_clISt17integral_constantIbLb1EES1T_IbLb0EEEEDaS1P_S1Q_EUlS1P_E_NS1_11comp_targetILNS1_3genE10ELNS1_11target_archE1200ELNS1_3gpuE4ELNS1_3repE0EEENS1_30default_config_static_selectorELNS0_4arch9wavefront6targetE0EEEvS12_,comdat
	.globl	_ZN7rocprim17ROCPRIM_400000_NS6detail17trampoline_kernelINS0_13select_configILj256ELj13ELNS0_17block_load_methodE3ELS4_3ELS4_3ELNS0_20block_scan_algorithmE0ELj4294967295EEENS1_25partition_config_selectorILNS1_17partition_subalgoE4EjNS0_10empty_typeEbEEZZNS1_14partition_implILS8_4ELb0ES6_15HIP_vector_typeIjLj2EENS0_17counting_iteratorIjlEEPS9_SG_NS0_5tupleIJPjSI_NS0_16reverse_iteratorISI_EEEEENSH_IJSG_SG_SG_EEES9_SI_JZNS1_25segmented_radix_sort_implINS0_14default_configELb1EPKfPfPKlPlN2at6native12_GLOBAL__N_18offset_tEEE10hipError_tPvRmT1_PNSt15iterator_traitsIS12_E10value_typeET2_T3_PNS13_IS18_E10value_typeET4_jRbjT5_S1E_jjP12ihipStream_tbEUljE_ZNSN_ISO_Lb1ESQ_SR_ST_SU_SY_EESZ_S10_S11_S12_S16_S17_S18_S1B_S1C_jS1D_jS1E_S1E_jjS1G_bEUljE0_EEESZ_S10_S11_S18_S1C_S1E_T6_T7_T9_mT8_S1G_bDpT10_ENKUlT_T0_E_clISt17integral_constantIbLb1EES1T_IbLb0EEEEDaS1P_S1Q_EUlS1P_E_NS1_11comp_targetILNS1_3genE10ELNS1_11target_archE1200ELNS1_3gpuE4ELNS1_3repE0EEENS1_30default_config_static_selectorELNS0_4arch9wavefront6targetE0EEEvS12_ ; -- Begin function _ZN7rocprim17ROCPRIM_400000_NS6detail17trampoline_kernelINS0_13select_configILj256ELj13ELNS0_17block_load_methodE3ELS4_3ELS4_3ELNS0_20block_scan_algorithmE0ELj4294967295EEENS1_25partition_config_selectorILNS1_17partition_subalgoE4EjNS0_10empty_typeEbEEZZNS1_14partition_implILS8_4ELb0ES6_15HIP_vector_typeIjLj2EENS0_17counting_iteratorIjlEEPS9_SG_NS0_5tupleIJPjSI_NS0_16reverse_iteratorISI_EEEEENSH_IJSG_SG_SG_EEES9_SI_JZNS1_25segmented_radix_sort_implINS0_14default_configELb1EPKfPfPKlPlN2at6native12_GLOBAL__N_18offset_tEEE10hipError_tPvRmT1_PNSt15iterator_traitsIS12_E10value_typeET2_T3_PNS13_IS18_E10value_typeET4_jRbjT5_S1E_jjP12ihipStream_tbEUljE_ZNSN_ISO_Lb1ESQ_SR_ST_SU_SY_EESZ_S10_S11_S12_S16_S17_S18_S1B_S1C_jS1D_jS1E_S1E_jjS1G_bEUljE0_EEESZ_S10_S11_S18_S1C_S1E_T6_T7_T9_mT8_S1G_bDpT10_ENKUlT_T0_E_clISt17integral_constantIbLb1EES1T_IbLb0EEEEDaS1P_S1Q_EUlS1P_E_NS1_11comp_targetILNS1_3genE10ELNS1_11target_archE1200ELNS1_3gpuE4ELNS1_3repE0EEENS1_30default_config_static_selectorELNS0_4arch9wavefront6targetE0EEEvS12_
	.p2align	8
	.type	_ZN7rocprim17ROCPRIM_400000_NS6detail17trampoline_kernelINS0_13select_configILj256ELj13ELNS0_17block_load_methodE3ELS4_3ELS4_3ELNS0_20block_scan_algorithmE0ELj4294967295EEENS1_25partition_config_selectorILNS1_17partition_subalgoE4EjNS0_10empty_typeEbEEZZNS1_14partition_implILS8_4ELb0ES6_15HIP_vector_typeIjLj2EENS0_17counting_iteratorIjlEEPS9_SG_NS0_5tupleIJPjSI_NS0_16reverse_iteratorISI_EEEEENSH_IJSG_SG_SG_EEES9_SI_JZNS1_25segmented_radix_sort_implINS0_14default_configELb1EPKfPfPKlPlN2at6native12_GLOBAL__N_18offset_tEEE10hipError_tPvRmT1_PNSt15iterator_traitsIS12_E10value_typeET2_T3_PNS13_IS18_E10value_typeET4_jRbjT5_S1E_jjP12ihipStream_tbEUljE_ZNSN_ISO_Lb1ESQ_SR_ST_SU_SY_EESZ_S10_S11_S12_S16_S17_S18_S1B_S1C_jS1D_jS1E_S1E_jjS1G_bEUljE0_EEESZ_S10_S11_S18_S1C_S1E_T6_T7_T9_mT8_S1G_bDpT10_ENKUlT_T0_E_clISt17integral_constantIbLb1EES1T_IbLb0EEEEDaS1P_S1Q_EUlS1P_E_NS1_11comp_targetILNS1_3genE10ELNS1_11target_archE1200ELNS1_3gpuE4ELNS1_3repE0EEENS1_30default_config_static_selectorELNS0_4arch9wavefront6targetE0EEEvS12_,@function
_ZN7rocprim17ROCPRIM_400000_NS6detail17trampoline_kernelINS0_13select_configILj256ELj13ELNS0_17block_load_methodE3ELS4_3ELS4_3ELNS0_20block_scan_algorithmE0ELj4294967295EEENS1_25partition_config_selectorILNS1_17partition_subalgoE4EjNS0_10empty_typeEbEEZZNS1_14partition_implILS8_4ELb0ES6_15HIP_vector_typeIjLj2EENS0_17counting_iteratorIjlEEPS9_SG_NS0_5tupleIJPjSI_NS0_16reverse_iteratorISI_EEEEENSH_IJSG_SG_SG_EEES9_SI_JZNS1_25segmented_radix_sort_implINS0_14default_configELb1EPKfPfPKlPlN2at6native12_GLOBAL__N_18offset_tEEE10hipError_tPvRmT1_PNSt15iterator_traitsIS12_E10value_typeET2_T3_PNS13_IS18_E10value_typeET4_jRbjT5_S1E_jjP12ihipStream_tbEUljE_ZNSN_ISO_Lb1ESQ_SR_ST_SU_SY_EESZ_S10_S11_S12_S16_S17_S18_S1B_S1C_jS1D_jS1E_S1E_jjS1G_bEUljE0_EEESZ_S10_S11_S18_S1C_S1E_T6_T7_T9_mT8_S1G_bDpT10_ENKUlT_T0_E_clISt17integral_constantIbLb1EES1T_IbLb0EEEEDaS1P_S1Q_EUlS1P_E_NS1_11comp_targetILNS1_3genE10ELNS1_11target_archE1200ELNS1_3gpuE4ELNS1_3repE0EEENS1_30default_config_static_selectorELNS0_4arch9wavefront6targetE0EEEvS12_: ; @_ZN7rocprim17ROCPRIM_400000_NS6detail17trampoline_kernelINS0_13select_configILj256ELj13ELNS0_17block_load_methodE3ELS4_3ELS4_3ELNS0_20block_scan_algorithmE0ELj4294967295EEENS1_25partition_config_selectorILNS1_17partition_subalgoE4EjNS0_10empty_typeEbEEZZNS1_14partition_implILS8_4ELb0ES6_15HIP_vector_typeIjLj2EENS0_17counting_iteratorIjlEEPS9_SG_NS0_5tupleIJPjSI_NS0_16reverse_iteratorISI_EEEEENSH_IJSG_SG_SG_EEES9_SI_JZNS1_25segmented_radix_sort_implINS0_14default_configELb1EPKfPfPKlPlN2at6native12_GLOBAL__N_18offset_tEEE10hipError_tPvRmT1_PNSt15iterator_traitsIS12_E10value_typeET2_T3_PNS13_IS18_E10value_typeET4_jRbjT5_S1E_jjP12ihipStream_tbEUljE_ZNSN_ISO_Lb1ESQ_SR_ST_SU_SY_EESZ_S10_S11_S12_S16_S17_S18_S1B_S1C_jS1D_jS1E_S1E_jjS1G_bEUljE0_EEESZ_S10_S11_S18_S1C_S1E_T6_T7_T9_mT8_S1G_bDpT10_ENKUlT_T0_E_clISt17integral_constantIbLb1EES1T_IbLb0EEEEDaS1P_S1Q_EUlS1P_E_NS1_11comp_targetILNS1_3genE10ELNS1_11target_archE1200ELNS1_3gpuE4ELNS1_3repE0EEENS1_30default_config_static_selectorELNS0_4arch9wavefront6targetE0EEEvS12_
; %bb.0:
	.section	.rodata,"a",@progbits
	.p2align	6, 0x0
	.amdhsa_kernel _ZN7rocprim17ROCPRIM_400000_NS6detail17trampoline_kernelINS0_13select_configILj256ELj13ELNS0_17block_load_methodE3ELS4_3ELS4_3ELNS0_20block_scan_algorithmE0ELj4294967295EEENS1_25partition_config_selectorILNS1_17partition_subalgoE4EjNS0_10empty_typeEbEEZZNS1_14partition_implILS8_4ELb0ES6_15HIP_vector_typeIjLj2EENS0_17counting_iteratorIjlEEPS9_SG_NS0_5tupleIJPjSI_NS0_16reverse_iteratorISI_EEEEENSH_IJSG_SG_SG_EEES9_SI_JZNS1_25segmented_radix_sort_implINS0_14default_configELb1EPKfPfPKlPlN2at6native12_GLOBAL__N_18offset_tEEE10hipError_tPvRmT1_PNSt15iterator_traitsIS12_E10value_typeET2_T3_PNS13_IS18_E10value_typeET4_jRbjT5_S1E_jjP12ihipStream_tbEUljE_ZNSN_ISO_Lb1ESQ_SR_ST_SU_SY_EESZ_S10_S11_S12_S16_S17_S18_S1B_S1C_jS1D_jS1E_S1E_jjS1G_bEUljE0_EEESZ_S10_S11_S18_S1C_S1E_T6_T7_T9_mT8_S1G_bDpT10_ENKUlT_T0_E_clISt17integral_constantIbLb1EES1T_IbLb0EEEEDaS1P_S1Q_EUlS1P_E_NS1_11comp_targetILNS1_3genE10ELNS1_11target_archE1200ELNS1_3gpuE4ELNS1_3repE0EEENS1_30default_config_static_selectorELNS0_4arch9wavefront6targetE0EEEvS12_
		.amdhsa_group_segment_fixed_size 0
		.amdhsa_private_segment_fixed_size 0
		.amdhsa_kernarg_size 176
		.amdhsa_user_sgpr_count 2
		.amdhsa_user_sgpr_dispatch_ptr 0
		.amdhsa_user_sgpr_queue_ptr 0
		.amdhsa_user_sgpr_kernarg_segment_ptr 1
		.amdhsa_user_sgpr_dispatch_id 0
		.amdhsa_user_sgpr_kernarg_preload_length 0
		.amdhsa_user_sgpr_kernarg_preload_offset 0
		.amdhsa_user_sgpr_private_segment_size 0
		.amdhsa_wavefront_size32 1
		.amdhsa_uses_dynamic_stack 0
		.amdhsa_enable_private_segment 0
		.amdhsa_system_sgpr_workgroup_id_x 1
		.amdhsa_system_sgpr_workgroup_id_y 0
		.amdhsa_system_sgpr_workgroup_id_z 0
		.amdhsa_system_sgpr_workgroup_info 0
		.amdhsa_system_vgpr_workitem_id 0
		.amdhsa_next_free_vgpr 1
		.amdhsa_next_free_sgpr 1
		.amdhsa_named_barrier_count 0
		.amdhsa_reserve_vcc 0
		.amdhsa_float_round_mode_32 0
		.amdhsa_float_round_mode_16_64 0
		.amdhsa_float_denorm_mode_32 3
		.amdhsa_float_denorm_mode_16_64 3
		.amdhsa_fp16_overflow 0
		.amdhsa_memory_ordered 1
		.amdhsa_forward_progress 1
		.amdhsa_inst_pref_size 0
		.amdhsa_round_robin_scheduling 0
		.amdhsa_exception_fp_ieee_invalid_op 0
		.amdhsa_exception_fp_denorm_src 0
		.amdhsa_exception_fp_ieee_div_zero 0
		.amdhsa_exception_fp_ieee_overflow 0
		.amdhsa_exception_fp_ieee_underflow 0
		.amdhsa_exception_fp_ieee_inexact 0
		.amdhsa_exception_int_div_zero 0
	.end_amdhsa_kernel
	.section	.text._ZN7rocprim17ROCPRIM_400000_NS6detail17trampoline_kernelINS0_13select_configILj256ELj13ELNS0_17block_load_methodE3ELS4_3ELS4_3ELNS0_20block_scan_algorithmE0ELj4294967295EEENS1_25partition_config_selectorILNS1_17partition_subalgoE4EjNS0_10empty_typeEbEEZZNS1_14partition_implILS8_4ELb0ES6_15HIP_vector_typeIjLj2EENS0_17counting_iteratorIjlEEPS9_SG_NS0_5tupleIJPjSI_NS0_16reverse_iteratorISI_EEEEENSH_IJSG_SG_SG_EEES9_SI_JZNS1_25segmented_radix_sort_implINS0_14default_configELb1EPKfPfPKlPlN2at6native12_GLOBAL__N_18offset_tEEE10hipError_tPvRmT1_PNSt15iterator_traitsIS12_E10value_typeET2_T3_PNS13_IS18_E10value_typeET4_jRbjT5_S1E_jjP12ihipStream_tbEUljE_ZNSN_ISO_Lb1ESQ_SR_ST_SU_SY_EESZ_S10_S11_S12_S16_S17_S18_S1B_S1C_jS1D_jS1E_S1E_jjS1G_bEUljE0_EEESZ_S10_S11_S18_S1C_S1E_T6_T7_T9_mT8_S1G_bDpT10_ENKUlT_T0_E_clISt17integral_constantIbLb1EES1T_IbLb0EEEEDaS1P_S1Q_EUlS1P_E_NS1_11comp_targetILNS1_3genE10ELNS1_11target_archE1200ELNS1_3gpuE4ELNS1_3repE0EEENS1_30default_config_static_selectorELNS0_4arch9wavefront6targetE0EEEvS12_,"axG",@progbits,_ZN7rocprim17ROCPRIM_400000_NS6detail17trampoline_kernelINS0_13select_configILj256ELj13ELNS0_17block_load_methodE3ELS4_3ELS4_3ELNS0_20block_scan_algorithmE0ELj4294967295EEENS1_25partition_config_selectorILNS1_17partition_subalgoE4EjNS0_10empty_typeEbEEZZNS1_14partition_implILS8_4ELb0ES6_15HIP_vector_typeIjLj2EENS0_17counting_iteratorIjlEEPS9_SG_NS0_5tupleIJPjSI_NS0_16reverse_iteratorISI_EEEEENSH_IJSG_SG_SG_EEES9_SI_JZNS1_25segmented_radix_sort_implINS0_14default_configELb1EPKfPfPKlPlN2at6native12_GLOBAL__N_18offset_tEEE10hipError_tPvRmT1_PNSt15iterator_traitsIS12_E10value_typeET2_T3_PNS13_IS18_E10value_typeET4_jRbjT5_S1E_jjP12ihipStream_tbEUljE_ZNSN_ISO_Lb1ESQ_SR_ST_SU_SY_EESZ_S10_S11_S12_S16_S17_S18_S1B_S1C_jS1D_jS1E_S1E_jjS1G_bEUljE0_EEESZ_S10_S11_S18_S1C_S1E_T6_T7_T9_mT8_S1G_bDpT10_ENKUlT_T0_E_clISt17integral_constantIbLb1EES1T_IbLb0EEEEDaS1P_S1Q_EUlS1P_E_NS1_11comp_targetILNS1_3genE10ELNS1_11target_archE1200ELNS1_3gpuE4ELNS1_3repE0EEENS1_30default_config_static_selectorELNS0_4arch9wavefront6targetE0EEEvS12_,comdat
.Lfunc_end1276:
	.size	_ZN7rocprim17ROCPRIM_400000_NS6detail17trampoline_kernelINS0_13select_configILj256ELj13ELNS0_17block_load_methodE3ELS4_3ELS4_3ELNS0_20block_scan_algorithmE0ELj4294967295EEENS1_25partition_config_selectorILNS1_17partition_subalgoE4EjNS0_10empty_typeEbEEZZNS1_14partition_implILS8_4ELb0ES6_15HIP_vector_typeIjLj2EENS0_17counting_iteratorIjlEEPS9_SG_NS0_5tupleIJPjSI_NS0_16reverse_iteratorISI_EEEEENSH_IJSG_SG_SG_EEES9_SI_JZNS1_25segmented_radix_sort_implINS0_14default_configELb1EPKfPfPKlPlN2at6native12_GLOBAL__N_18offset_tEEE10hipError_tPvRmT1_PNSt15iterator_traitsIS12_E10value_typeET2_T3_PNS13_IS18_E10value_typeET4_jRbjT5_S1E_jjP12ihipStream_tbEUljE_ZNSN_ISO_Lb1ESQ_SR_ST_SU_SY_EESZ_S10_S11_S12_S16_S17_S18_S1B_S1C_jS1D_jS1E_S1E_jjS1G_bEUljE0_EEESZ_S10_S11_S18_S1C_S1E_T6_T7_T9_mT8_S1G_bDpT10_ENKUlT_T0_E_clISt17integral_constantIbLb1EES1T_IbLb0EEEEDaS1P_S1Q_EUlS1P_E_NS1_11comp_targetILNS1_3genE10ELNS1_11target_archE1200ELNS1_3gpuE4ELNS1_3repE0EEENS1_30default_config_static_selectorELNS0_4arch9wavefront6targetE0EEEvS12_, .Lfunc_end1276-_ZN7rocprim17ROCPRIM_400000_NS6detail17trampoline_kernelINS0_13select_configILj256ELj13ELNS0_17block_load_methodE3ELS4_3ELS4_3ELNS0_20block_scan_algorithmE0ELj4294967295EEENS1_25partition_config_selectorILNS1_17partition_subalgoE4EjNS0_10empty_typeEbEEZZNS1_14partition_implILS8_4ELb0ES6_15HIP_vector_typeIjLj2EENS0_17counting_iteratorIjlEEPS9_SG_NS0_5tupleIJPjSI_NS0_16reverse_iteratorISI_EEEEENSH_IJSG_SG_SG_EEES9_SI_JZNS1_25segmented_radix_sort_implINS0_14default_configELb1EPKfPfPKlPlN2at6native12_GLOBAL__N_18offset_tEEE10hipError_tPvRmT1_PNSt15iterator_traitsIS12_E10value_typeET2_T3_PNS13_IS18_E10value_typeET4_jRbjT5_S1E_jjP12ihipStream_tbEUljE_ZNSN_ISO_Lb1ESQ_SR_ST_SU_SY_EESZ_S10_S11_S12_S16_S17_S18_S1B_S1C_jS1D_jS1E_S1E_jjS1G_bEUljE0_EEESZ_S10_S11_S18_S1C_S1E_T6_T7_T9_mT8_S1G_bDpT10_ENKUlT_T0_E_clISt17integral_constantIbLb1EES1T_IbLb0EEEEDaS1P_S1Q_EUlS1P_E_NS1_11comp_targetILNS1_3genE10ELNS1_11target_archE1200ELNS1_3gpuE4ELNS1_3repE0EEENS1_30default_config_static_selectorELNS0_4arch9wavefront6targetE0EEEvS12_
                                        ; -- End function
	.set _ZN7rocprim17ROCPRIM_400000_NS6detail17trampoline_kernelINS0_13select_configILj256ELj13ELNS0_17block_load_methodE3ELS4_3ELS4_3ELNS0_20block_scan_algorithmE0ELj4294967295EEENS1_25partition_config_selectorILNS1_17partition_subalgoE4EjNS0_10empty_typeEbEEZZNS1_14partition_implILS8_4ELb0ES6_15HIP_vector_typeIjLj2EENS0_17counting_iteratorIjlEEPS9_SG_NS0_5tupleIJPjSI_NS0_16reverse_iteratorISI_EEEEENSH_IJSG_SG_SG_EEES9_SI_JZNS1_25segmented_radix_sort_implINS0_14default_configELb1EPKfPfPKlPlN2at6native12_GLOBAL__N_18offset_tEEE10hipError_tPvRmT1_PNSt15iterator_traitsIS12_E10value_typeET2_T3_PNS13_IS18_E10value_typeET4_jRbjT5_S1E_jjP12ihipStream_tbEUljE_ZNSN_ISO_Lb1ESQ_SR_ST_SU_SY_EESZ_S10_S11_S12_S16_S17_S18_S1B_S1C_jS1D_jS1E_S1E_jjS1G_bEUljE0_EEESZ_S10_S11_S18_S1C_S1E_T6_T7_T9_mT8_S1G_bDpT10_ENKUlT_T0_E_clISt17integral_constantIbLb1EES1T_IbLb0EEEEDaS1P_S1Q_EUlS1P_E_NS1_11comp_targetILNS1_3genE10ELNS1_11target_archE1200ELNS1_3gpuE4ELNS1_3repE0EEENS1_30default_config_static_selectorELNS0_4arch9wavefront6targetE0EEEvS12_.num_vgpr, 0
	.set _ZN7rocprim17ROCPRIM_400000_NS6detail17trampoline_kernelINS0_13select_configILj256ELj13ELNS0_17block_load_methodE3ELS4_3ELS4_3ELNS0_20block_scan_algorithmE0ELj4294967295EEENS1_25partition_config_selectorILNS1_17partition_subalgoE4EjNS0_10empty_typeEbEEZZNS1_14partition_implILS8_4ELb0ES6_15HIP_vector_typeIjLj2EENS0_17counting_iteratorIjlEEPS9_SG_NS0_5tupleIJPjSI_NS0_16reverse_iteratorISI_EEEEENSH_IJSG_SG_SG_EEES9_SI_JZNS1_25segmented_radix_sort_implINS0_14default_configELb1EPKfPfPKlPlN2at6native12_GLOBAL__N_18offset_tEEE10hipError_tPvRmT1_PNSt15iterator_traitsIS12_E10value_typeET2_T3_PNS13_IS18_E10value_typeET4_jRbjT5_S1E_jjP12ihipStream_tbEUljE_ZNSN_ISO_Lb1ESQ_SR_ST_SU_SY_EESZ_S10_S11_S12_S16_S17_S18_S1B_S1C_jS1D_jS1E_S1E_jjS1G_bEUljE0_EEESZ_S10_S11_S18_S1C_S1E_T6_T7_T9_mT8_S1G_bDpT10_ENKUlT_T0_E_clISt17integral_constantIbLb1EES1T_IbLb0EEEEDaS1P_S1Q_EUlS1P_E_NS1_11comp_targetILNS1_3genE10ELNS1_11target_archE1200ELNS1_3gpuE4ELNS1_3repE0EEENS1_30default_config_static_selectorELNS0_4arch9wavefront6targetE0EEEvS12_.num_agpr, 0
	.set _ZN7rocprim17ROCPRIM_400000_NS6detail17trampoline_kernelINS0_13select_configILj256ELj13ELNS0_17block_load_methodE3ELS4_3ELS4_3ELNS0_20block_scan_algorithmE0ELj4294967295EEENS1_25partition_config_selectorILNS1_17partition_subalgoE4EjNS0_10empty_typeEbEEZZNS1_14partition_implILS8_4ELb0ES6_15HIP_vector_typeIjLj2EENS0_17counting_iteratorIjlEEPS9_SG_NS0_5tupleIJPjSI_NS0_16reverse_iteratorISI_EEEEENSH_IJSG_SG_SG_EEES9_SI_JZNS1_25segmented_radix_sort_implINS0_14default_configELb1EPKfPfPKlPlN2at6native12_GLOBAL__N_18offset_tEEE10hipError_tPvRmT1_PNSt15iterator_traitsIS12_E10value_typeET2_T3_PNS13_IS18_E10value_typeET4_jRbjT5_S1E_jjP12ihipStream_tbEUljE_ZNSN_ISO_Lb1ESQ_SR_ST_SU_SY_EESZ_S10_S11_S12_S16_S17_S18_S1B_S1C_jS1D_jS1E_S1E_jjS1G_bEUljE0_EEESZ_S10_S11_S18_S1C_S1E_T6_T7_T9_mT8_S1G_bDpT10_ENKUlT_T0_E_clISt17integral_constantIbLb1EES1T_IbLb0EEEEDaS1P_S1Q_EUlS1P_E_NS1_11comp_targetILNS1_3genE10ELNS1_11target_archE1200ELNS1_3gpuE4ELNS1_3repE0EEENS1_30default_config_static_selectorELNS0_4arch9wavefront6targetE0EEEvS12_.numbered_sgpr, 0
	.set _ZN7rocprim17ROCPRIM_400000_NS6detail17trampoline_kernelINS0_13select_configILj256ELj13ELNS0_17block_load_methodE3ELS4_3ELS4_3ELNS0_20block_scan_algorithmE0ELj4294967295EEENS1_25partition_config_selectorILNS1_17partition_subalgoE4EjNS0_10empty_typeEbEEZZNS1_14partition_implILS8_4ELb0ES6_15HIP_vector_typeIjLj2EENS0_17counting_iteratorIjlEEPS9_SG_NS0_5tupleIJPjSI_NS0_16reverse_iteratorISI_EEEEENSH_IJSG_SG_SG_EEES9_SI_JZNS1_25segmented_radix_sort_implINS0_14default_configELb1EPKfPfPKlPlN2at6native12_GLOBAL__N_18offset_tEEE10hipError_tPvRmT1_PNSt15iterator_traitsIS12_E10value_typeET2_T3_PNS13_IS18_E10value_typeET4_jRbjT5_S1E_jjP12ihipStream_tbEUljE_ZNSN_ISO_Lb1ESQ_SR_ST_SU_SY_EESZ_S10_S11_S12_S16_S17_S18_S1B_S1C_jS1D_jS1E_S1E_jjS1G_bEUljE0_EEESZ_S10_S11_S18_S1C_S1E_T6_T7_T9_mT8_S1G_bDpT10_ENKUlT_T0_E_clISt17integral_constantIbLb1EES1T_IbLb0EEEEDaS1P_S1Q_EUlS1P_E_NS1_11comp_targetILNS1_3genE10ELNS1_11target_archE1200ELNS1_3gpuE4ELNS1_3repE0EEENS1_30default_config_static_selectorELNS0_4arch9wavefront6targetE0EEEvS12_.num_named_barrier, 0
	.set _ZN7rocprim17ROCPRIM_400000_NS6detail17trampoline_kernelINS0_13select_configILj256ELj13ELNS0_17block_load_methodE3ELS4_3ELS4_3ELNS0_20block_scan_algorithmE0ELj4294967295EEENS1_25partition_config_selectorILNS1_17partition_subalgoE4EjNS0_10empty_typeEbEEZZNS1_14partition_implILS8_4ELb0ES6_15HIP_vector_typeIjLj2EENS0_17counting_iteratorIjlEEPS9_SG_NS0_5tupleIJPjSI_NS0_16reverse_iteratorISI_EEEEENSH_IJSG_SG_SG_EEES9_SI_JZNS1_25segmented_radix_sort_implINS0_14default_configELb1EPKfPfPKlPlN2at6native12_GLOBAL__N_18offset_tEEE10hipError_tPvRmT1_PNSt15iterator_traitsIS12_E10value_typeET2_T3_PNS13_IS18_E10value_typeET4_jRbjT5_S1E_jjP12ihipStream_tbEUljE_ZNSN_ISO_Lb1ESQ_SR_ST_SU_SY_EESZ_S10_S11_S12_S16_S17_S18_S1B_S1C_jS1D_jS1E_S1E_jjS1G_bEUljE0_EEESZ_S10_S11_S18_S1C_S1E_T6_T7_T9_mT8_S1G_bDpT10_ENKUlT_T0_E_clISt17integral_constantIbLb1EES1T_IbLb0EEEEDaS1P_S1Q_EUlS1P_E_NS1_11comp_targetILNS1_3genE10ELNS1_11target_archE1200ELNS1_3gpuE4ELNS1_3repE0EEENS1_30default_config_static_selectorELNS0_4arch9wavefront6targetE0EEEvS12_.private_seg_size, 0
	.set _ZN7rocprim17ROCPRIM_400000_NS6detail17trampoline_kernelINS0_13select_configILj256ELj13ELNS0_17block_load_methodE3ELS4_3ELS4_3ELNS0_20block_scan_algorithmE0ELj4294967295EEENS1_25partition_config_selectorILNS1_17partition_subalgoE4EjNS0_10empty_typeEbEEZZNS1_14partition_implILS8_4ELb0ES6_15HIP_vector_typeIjLj2EENS0_17counting_iteratorIjlEEPS9_SG_NS0_5tupleIJPjSI_NS0_16reverse_iteratorISI_EEEEENSH_IJSG_SG_SG_EEES9_SI_JZNS1_25segmented_radix_sort_implINS0_14default_configELb1EPKfPfPKlPlN2at6native12_GLOBAL__N_18offset_tEEE10hipError_tPvRmT1_PNSt15iterator_traitsIS12_E10value_typeET2_T3_PNS13_IS18_E10value_typeET4_jRbjT5_S1E_jjP12ihipStream_tbEUljE_ZNSN_ISO_Lb1ESQ_SR_ST_SU_SY_EESZ_S10_S11_S12_S16_S17_S18_S1B_S1C_jS1D_jS1E_S1E_jjS1G_bEUljE0_EEESZ_S10_S11_S18_S1C_S1E_T6_T7_T9_mT8_S1G_bDpT10_ENKUlT_T0_E_clISt17integral_constantIbLb1EES1T_IbLb0EEEEDaS1P_S1Q_EUlS1P_E_NS1_11comp_targetILNS1_3genE10ELNS1_11target_archE1200ELNS1_3gpuE4ELNS1_3repE0EEENS1_30default_config_static_selectorELNS0_4arch9wavefront6targetE0EEEvS12_.uses_vcc, 0
	.set _ZN7rocprim17ROCPRIM_400000_NS6detail17trampoline_kernelINS0_13select_configILj256ELj13ELNS0_17block_load_methodE3ELS4_3ELS4_3ELNS0_20block_scan_algorithmE0ELj4294967295EEENS1_25partition_config_selectorILNS1_17partition_subalgoE4EjNS0_10empty_typeEbEEZZNS1_14partition_implILS8_4ELb0ES6_15HIP_vector_typeIjLj2EENS0_17counting_iteratorIjlEEPS9_SG_NS0_5tupleIJPjSI_NS0_16reverse_iteratorISI_EEEEENSH_IJSG_SG_SG_EEES9_SI_JZNS1_25segmented_radix_sort_implINS0_14default_configELb1EPKfPfPKlPlN2at6native12_GLOBAL__N_18offset_tEEE10hipError_tPvRmT1_PNSt15iterator_traitsIS12_E10value_typeET2_T3_PNS13_IS18_E10value_typeET4_jRbjT5_S1E_jjP12ihipStream_tbEUljE_ZNSN_ISO_Lb1ESQ_SR_ST_SU_SY_EESZ_S10_S11_S12_S16_S17_S18_S1B_S1C_jS1D_jS1E_S1E_jjS1G_bEUljE0_EEESZ_S10_S11_S18_S1C_S1E_T6_T7_T9_mT8_S1G_bDpT10_ENKUlT_T0_E_clISt17integral_constantIbLb1EES1T_IbLb0EEEEDaS1P_S1Q_EUlS1P_E_NS1_11comp_targetILNS1_3genE10ELNS1_11target_archE1200ELNS1_3gpuE4ELNS1_3repE0EEENS1_30default_config_static_selectorELNS0_4arch9wavefront6targetE0EEEvS12_.uses_flat_scratch, 0
	.set _ZN7rocprim17ROCPRIM_400000_NS6detail17trampoline_kernelINS0_13select_configILj256ELj13ELNS0_17block_load_methodE3ELS4_3ELS4_3ELNS0_20block_scan_algorithmE0ELj4294967295EEENS1_25partition_config_selectorILNS1_17partition_subalgoE4EjNS0_10empty_typeEbEEZZNS1_14partition_implILS8_4ELb0ES6_15HIP_vector_typeIjLj2EENS0_17counting_iteratorIjlEEPS9_SG_NS0_5tupleIJPjSI_NS0_16reverse_iteratorISI_EEEEENSH_IJSG_SG_SG_EEES9_SI_JZNS1_25segmented_radix_sort_implINS0_14default_configELb1EPKfPfPKlPlN2at6native12_GLOBAL__N_18offset_tEEE10hipError_tPvRmT1_PNSt15iterator_traitsIS12_E10value_typeET2_T3_PNS13_IS18_E10value_typeET4_jRbjT5_S1E_jjP12ihipStream_tbEUljE_ZNSN_ISO_Lb1ESQ_SR_ST_SU_SY_EESZ_S10_S11_S12_S16_S17_S18_S1B_S1C_jS1D_jS1E_S1E_jjS1G_bEUljE0_EEESZ_S10_S11_S18_S1C_S1E_T6_T7_T9_mT8_S1G_bDpT10_ENKUlT_T0_E_clISt17integral_constantIbLb1EES1T_IbLb0EEEEDaS1P_S1Q_EUlS1P_E_NS1_11comp_targetILNS1_3genE10ELNS1_11target_archE1200ELNS1_3gpuE4ELNS1_3repE0EEENS1_30default_config_static_selectorELNS0_4arch9wavefront6targetE0EEEvS12_.has_dyn_sized_stack, 0
	.set _ZN7rocprim17ROCPRIM_400000_NS6detail17trampoline_kernelINS0_13select_configILj256ELj13ELNS0_17block_load_methodE3ELS4_3ELS4_3ELNS0_20block_scan_algorithmE0ELj4294967295EEENS1_25partition_config_selectorILNS1_17partition_subalgoE4EjNS0_10empty_typeEbEEZZNS1_14partition_implILS8_4ELb0ES6_15HIP_vector_typeIjLj2EENS0_17counting_iteratorIjlEEPS9_SG_NS0_5tupleIJPjSI_NS0_16reverse_iteratorISI_EEEEENSH_IJSG_SG_SG_EEES9_SI_JZNS1_25segmented_radix_sort_implINS0_14default_configELb1EPKfPfPKlPlN2at6native12_GLOBAL__N_18offset_tEEE10hipError_tPvRmT1_PNSt15iterator_traitsIS12_E10value_typeET2_T3_PNS13_IS18_E10value_typeET4_jRbjT5_S1E_jjP12ihipStream_tbEUljE_ZNSN_ISO_Lb1ESQ_SR_ST_SU_SY_EESZ_S10_S11_S12_S16_S17_S18_S1B_S1C_jS1D_jS1E_S1E_jjS1G_bEUljE0_EEESZ_S10_S11_S18_S1C_S1E_T6_T7_T9_mT8_S1G_bDpT10_ENKUlT_T0_E_clISt17integral_constantIbLb1EES1T_IbLb0EEEEDaS1P_S1Q_EUlS1P_E_NS1_11comp_targetILNS1_3genE10ELNS1_11target_archE1200ELNS1_3gpuE4ELNS1_3repE0EEENS1_30default_config_static_selectorELNS0_4arch9wavefront6targetE0EEEvS12_.has_recursion, 0
	.set _ZN7rocprim17ROCPRIM_400000_NS6detail17trampoline_kernelINS0_13select_configILj256ELj13ELNS0_17block_load_methodE3ELS4_3ELS4_3ELNS0_20block_scan_algorithmE0ELj4294967295EEENS1_25partition_config_selectorILNS1_17partition_subalgoE4EjNS0_10empty_typeEbEEZZNS1_14partition_implILS8_4ELb0ES6_15HIP_vector_typeIjLj2EENS0_17counting_iteratorIjlEEPS9_SG_NS0_5tupleIJPjSI_NS0_16reverse_iteratorISI_EEEEENSH_IJSG_SG_SG_EEES9_SI_JZNS1_25segmented_radix_sort_implINS0_14default_configELb1EPKfPfPKlPlN2at6native12_GLOBAL__N_18offset_tEEE10hipError_tPvRmT1_PNSt15iterator_traitsIS12_E10value_typeET2_T3_PNS13_IS18_E10value_typeET4_jRbjT5_S1E_jjP12ihipStream_tbEUljE_ZNSN_ISO_Lb1ESQ_SR_ST_SU_SY_EESZ_S10_S11_S12_S16_S17_S18_S1B_S1C_jS1D_jS1E_S1E_jjS1G_bEUljE0_EEESZ_S10_S11_S18_S1C_S1E_T6_T7_T9_mT8_S1G_bDpT10_ENKUlT_T0_E_clISt17integral_constantIbLb1EES1T_IbLb0EEEEDaS1P_S1Q_EUlS1P_E_NS1_11comp_targetILNS1_3genE10ELNS1_11target_archE1200ELNS1_3gpuE4ELNS1_3repE0EEENS1_30default_config_static_selectorELNS0_4arch9wavefront6targetE0EEEvS12_.has_indirect_call, 0
	.section	.AMDGPU.csdata,"",@progbits
; Kernel info:
; codeLenInByte = 0
; TotalNumSgprs: 0
; NumVgprs: 0
; ScratchSize: 0
; MemoryBound: 0
; FloatMode: 240
; IeeeMode: 1
; LDSByteSize: 0 bytes/workgroup (compile time only)
; SGPRBlocks: 0
; VGPRBlocks: 0
; NumSGPRsForWavesPerEU: 1
; NumVGPRsForWavesPerEU: 1
; NamedBarCnt: 0
; Occupancy: 16
; WaveLimiterHint : 0
; COMPUTE_PGM_RSRC2:SCRATCH_EN: 0
; COMPUTE_PGM_RSRC2:USER_SGPR: 2
; COMPUTE_PGM_RSRC2:TRAP_HANDLER: 0
; COMPUTE_PGM_RSRC2:TGID_X_EN: 1
; COMPUTE_PGM_RSRC2:TGID_Y_EN: 0
; COMPUTE_PGM_RSRC2:TGID_Z_EN: 0
; COMPUTE_PGM_RSRC2:TIDIG_COMP_CNT: 0
	.section	.text._ZN7rocprim17ROCPRIM_400000_NS6detail17trampoline_kernelINS0_13select_configILj256ELj13ELNS0_17block_load_methodE3ELS4_3ELS4_3ELNS0_20block_scan_algorithmE0ELj4294967295EEENS1_25partition_config_selectorILNS1_17partition_subalgoE4EjNS0_10empty_typeEbEEZZNS1_14partition_implILS8_4ELb0ES6_15HIP_vector_typeIjLj2EENS0_17counting_iteratorIjlEEPS9_SG_NS0_5tupleIJPjSI_NS0_16reverse_iteratorISI_EEEEENSH_IJSG_SG_SG_EEES9_SI_JZNS1_25segmented_radix_sort_implINS0_14default_configELb1EPKfPfPKlPlN2at6native12_GLOBAL__N_18offset_tEEE10hipError_tPvRmT1_PNSt15iterator_traitsIS12_E10value_typeET2_T3_PNS13_IS18_E10value_typeET4_jRbjT5_S1E_jjP12ihipStream_tbEUljE_ZNSN_ISO_Lb1ESQ_SR_ST_SU_SY_EESZ_S10_S11_S12_S16_S17_S18_S1B_S1C_jS1D_jS1E_S1E_jjS1G_bEUljE0_EEESZ_S10_S11_S18_S1C_S1E_T6_T7_T9_mT8_S1G_bDpT10_ENKUlT_T0_E_clISt17integral_constantIbLb1EES1T_IbLb0EEEEDaS1P_S1Q_EUlS1P_E_NS1_11comp_targetILNS1_3genE9ELNS1_11target_archE1100ELNS1_3gpuE3ELNS1_3repE0EEENS1_30default_config_static_selectorELNS0_4arch9wavefront6targetE0EEEvS12_,"axG",@progbits,_ZN7rocprim17ROCPRIM_400000_NS6detail17trampoline_kernelINS0_13select_configILj256ELj13ELNS0_17block_load_methodE3ELS4_3ELS4_3ELNS0_20block_scan_algorithmE0ELj4294967295EEENS1_25partition_config_selectorILNS1_17partition_subalgoE4EjNS0_10empty_typeEbEEZZNS1_14partition_implILS8_4ELb0ES6_15HIP_vector_typeIjLj2EENS0_17counting_iteratorIjlEEPS9_SG_NS0_5tupleIJPjSI_NS0_16reverse_iteratorISI_EEEEENSH_IJSG_SG_SG_EEES9_SI_JZNS1_25segmented_radix_sort_implINS0_14default_configELb1EPKfPfPKlPlN2at6native12_GLOBAL__N_18offset_tEEE10hipError_tPvRmT1_PNSt15iterator_traitsIS12_E10value_typeET2_T3_PNS13_IS18_E10value_typeET4_jRbjT5_S1E_jjP12ihipStream_tbEUljE_ZNSN_ISO_Lb1ESQ_SR_ST_SU_SY_EESZ_S10_S11_S12_S16_S17_S18_S1B_S1C_jS1D_jS1E_S1E_jjS1G_bEUljE0_EEESZ_S10_S11_S18_S1C_S1E_T6_T7_T9_mT8_S1G_bDpT10_ENKUlT_T0_E_clISt17integral_constantIbLb1EES1T_IbLb0EEEEDaS1P_S1Q_EUlS1P_E_NS1_11comp_targetILNS1_3genE9ELNS1_11target_archE1100ELNS1_3gpuE3ELNS1_3repE0EEENS1_30default_config_static_selectorELNS0_4arch9wavefront6targetE0EEEvS12_,comdat
	.globl	_ZN7rocprim17ROCPRIM_400000_NS6detail17trampoline_kernelINS0_13select_configILj256ELj13ELNS0_17block_load_methodE3ELS4_3ELS4_3ELNS0_20block_scan_algorithmE0ELj4294967295EEENS1_25partition_config_selectorILNS1_17partition_subalgoE4EjNS0_10empty_typeEbEEZZNS1_14partition_implILS8_4ELb0ES6_15HIP_vector_typeIjLj2EENS0_17counting_iteratorIjlEEPS9_SG_NS0_5tupleIJPjSI_NS0_16reverse_iteratorISI_EEEEENSH_IJSG_SG_SG_EEES9_SI_JZNS1_25segmented_radix_sort_implINS0_14default_configELb1EPKfPfPKlPlN2at6native12_GLOBAL__N_18offset_tEEE10hipError_tPvRmT1_PNSt15iterator_traitsIS12_E10value_typeET2_T3_PNS13_IS18_E10value_typeET4_jRbjT5_S1E_jjP12ihipStream_tbEUljE_ZNSN_ISO_Lb1ESQ_SR_ST_SU_SY_EESZ_S10_S11_S12_S16_S17_S18_S1B_S1C_jS1D_jS1E_S1E_jjS1G_bEUljE0_EEESZ_S10_S11_S18_S1C_S1E_T6_T7_T9_mT8_S1G_bDpT10_ENKUlT_T0_E_clISt17integral_constantIbLb1EES1T_IbLb0EEEEDaS1P_S1Q_EUlS1P_E_NS1_11comp_targetILNS1_3genE9ELNS1_11target_archE1100ELNS1_3gpuE3ELNS1_3repE0EEENS1_30default_config_static_selectorELNS0_4arch9wavefront6targetE0EEEvS12_ ; -- Begin function _ZN7rocprim17ROCPRIM_400000_NS6detail17trampoline_kernelINS0_13select_configILj256ELj13ELNS0_17block_load_methodE3ELS4_3ELS4_3ELNS0_20block_scan_algorithmE0ELj4294967295EEENS1_25partition_config_selectorILNS1_17partition_subalgoE4EjNS0_10empty_typeEbEEZZNS1_14partition_implILS8_4ELb0ES6_15HIP_vector_typeIjLj2EENS0_17counting_iteratorIjlEEPS9_SG_NS0_5tupleIJPjSI_NS0_16reverse_iteratorISI_EEEEENSH_IJSG_SG_SG_EEES9_SI_JZNS1_25segmented_radix_sort_implINS0_14default_configELb1EPKfPfPKlPlN2at6native12_GLOBAL__N_18offset_tEEE10hipError_tPvRmT1_PNSt15iterator_traitsIS12_E10value_typeET2_T3_PNS13_IS18_E10value_typeET4_jRbjT5_S1E_jjP12ihipStream_tbEUljE_ZNSN_ISO_Lb1ESQ_SR_ST_SU_SY_EESZ_S10_S11_S12_S16_S17_S18_S1B_S1C_jS1D_jS1E_S1E_jjS1G_bEUljE0_EEESZ_S10_S11_S18_S1C_S1E_T6_T7_T9_mT8_S1G_bDpT10_ENKUlT_T0_E_clISt17integral_constantIbLb1EES1T_IbLb0EEEEDaS1P_S1Q_EUlS1P_E_NS1_11comp_targetILNS1_3genE9ELNS1_11target_archE1100ELNS1_3gpuE3ELNS1_3repE0EEENS1_30default_config_static_selectorELNS0_4arch9wavefront6targetE0EEEvS12_
	.p2align	8
	.type	_ZN7rocprim17ROCPRIM_400000_NS6detail17trampoline_kernelINS0_13select_configILj256ELj13ELNS0_17block_load_methodE3ELS4_3ELS4_3ELNS0_20block_scan_algorithmE0ELj4294967295EEENS1_25partition_config_selectorILNS1_17partition_subalgoE4EjNS0_10empty_typeEbEEZZNS1_14partition_implILS8_4ELb0ES6_15HIP_vector_typeIjLj2EENS0_17counting_iteratorIjlEEPS9_SG_NS0_5tupleIJPjSI_NS0_16reverse_iteratorISI_EEEEENSH_IJSG_SG_SG_EEES9_SI_JZNS1_25segmented_radix_sort_implINS0_14default_configELb1EPKfPfPKlPlN2at6native12_GLOBAL__N_18offset_tEEE10hipError_tPvRmT1_PNSt15iterator_traitsIS12_E10value_typeET2_T3_PNS13_IS18_E10value_typeET4_jRbjT5_S1E_jjP12ihipStream_tbEUljE_ZNSN_ISO_Lb1ESQ_SR_ST_SU_SY_EESZ_S10_S11_S12_S16_S17_S18_S1B_S1C_jS1D_jS1E_S1E_jjS1G_bEUljE0_EEESZ_S10_S11_S18_S1C_S1E_T6_T7_T9_mT8_S1G_bDpT10_ENKUlT_T0_E_clISt17integral_constantIbLb1EES1T_IbLb0EEEEDaS1P_S1Q_EUlS1P_E_NS1_11comp_targetILNS1_3genE9ELNS1_11target_archE1100ELNS1_3gpuE3ELNS1_3repE0EEENS1_30default_config_static_selectorELNS0_4arch9wavefront6targetE0EEEvS12_,@function
_ZN7rocprim17ROCPRIM_400000_NS6detail17trampoline_kernelINS0_13select_configILj256ELj13ELNS0_17block_load_methodE3ELS4_3ELS4_3ELNS0_20block_scan_algorithmE0ELj4294967295EEENS1_25partition_config_selectorILNS1_17partition_subalgoE4EjNS0_10empty_typeEbEEZZNS1_14partition_implILS8_4ELb0ES6_15HIP_vector_typeIjLj2EENS0_17counting_iteratorIjlEEPS9_SG_NS0_5tupleIJPjSI_NS0_16reverse_iteratorISI_EEEEENSH_IJSG_SG_SG_EEES9_SI_JZNS1_25segmented_radix_sort_implINS0_14default_configELb1EPKfPfPKlPlN2at6native12_GLOBAL__N_18offset_tEEE10hipError_tPvRmT1_PNSt15iterator_traitsIS12_E10value_typeET2_T3_PNS13_IS18_E10value_typeET4_jRbjT5_S1E_jjP12ihipStream_tbEUljE_ZNSN_ISO_Lb1ESQ_SR_ST_SU_SY_EESZ_S10_S11_S12_S16_S17_S18_S1B_S1C_jS1D_jS1E_S1E_jjS1G_bEUljE0_EEESZ_S10_S11_S18_S1C_S1E_T6_T7_T9_mT8_S1G_bDpT10_ENKUlT_T0_E_clISt17integral_constantIbLb1EES1T_IbLb0EEEEDaS1P_S1Q_EUlS1P_E_NS1_11comp_targetILNS1_3genE9ELNS1_11target_archE1100ELNS1_3gpuE3ELNS1_3repE0EEENS1_30default_config_static_selectorELNS0_4arch9wavefront6targetE0EEEvS12_: ; @_ZN7rocprim17ROCPRIM_400000_NS6detail17trampoline_kernelINS0_13select_configILj256ELj13ELNS0_17block_load_methodE3ELS4_3ELS4_3ELNS0_20block_scan_algorithmE0ELj4294967295EEENS1_25partition_config_selectorILNS1_17partition_subalgoE4EjNS0_10empty_typeEbEEZZNS1_14partition_implILS8_4ELb0ES6_15HIP_vector_typeIjLj2EENS0_17counting_iteratorIjlEEPS9_SG_NS0_5tupleIJPjSI_NS0_16reverse_iteratorISI_EEEEENSH_IJSG_SG_SG_EEES9_SI_JZNS1_25segmented_radix_sort_implINS0_14default_configELb1EPKfPfPKlPlN2at6native12_GLOBAL__N_18offset_tEEE10hipError_tPvRmT1_PNSt15iterator_traitsIS12_E10value_typeET2_T3_PNS13_IS18_E10value_typeET4_jRbjT5_S1E_jjP12ihipStream_tbEUljE_ZNSN_ISO_Lb1ESQ_SR_ST_SU_SY_EESZ_S10_S11_S12_S16_S17_S18_S1B_S1C_jS1D_jS1E_S1E_jjS1G_bEUljE0_EEESZ_S10_S11_S18_S1C_S1E_T6_T7_T9_mT8_S1G_bDpT10_ENKUlT_T0_E_clISt17integral_constantIbLb1EES1T_IbLb0EEEEDaS1P_S1Q_EUlS1P_E_NS1_11comp_targetILNS1_3genE9ELNS1_11target_archE1100ELNS1_3gpuE3ELNS1_3repE0EEENS1_30default_config_static_selectorELNS0_4arch9wavefront6targetE0EEEvS12_
; %bb.0:
	.section	.rodata,"a",@progbits
	.p2align	6, 0x0
	.amdhsa_kernel _ZN7rocprim17ROCPRIM_400000_NS6detail17trampoline_kernelINS0_13select_configILj256ELj13ELNS0_17block_load_methodE3ELS4_3ELS4_3ELNS0_20block_scan_algorithmE0ELj4294967295EEENS1_25partition_config_selectorILNS1_17partition_subalgoE4EjNS0_10empty_typeEbEEZZNS1_14partition_implILS8_4ELb0ES6_15HIP_vector_typeIjLj2EENS0_17counting_iteratorIjlEEPS9_SG_NS0_5tupleIJPjSI_NS0_16reverse_iteratorISI_EEEEENSH_IJSG_SG_SG_EEES9_SI_JZNS1_25segmented_radix_sort_implINS0_14default_configELb1EPKfPfPKlPlN2at6native12_GLOBAL__N_18offset_tEEE10hipError_tPvRmT1_PNSt15iterator_traitsIS12_E10value_typeET2_T3_PNS13_IS18_E10value_typeET4_jRbjT5_S1E_jjP12ihipStream_tbEUljE_ZNSN_ISO_Lb1ESQ_SR_ST_SU_SY_EESZ_S10_S11_S12_S16_S17_S18_S1B_S1C_jS1D_jS1E_S1E_jjS1G_bEUljE0_EEESZ_S10_S11_S18_S1C_S1E_T6_T7_T9_mT8_S1G_bDpT10_ENKUlT_T0_E_clISt17integral_constantIbLb1EES1T_IbLb0EEEEDaS1P_S1Q_EUlS1P_E_NS1_11comp_targetILNS1_3genE9ELNS1_11target_archE1100ELNS1_3gpuE3ELNS1_3repE0EEENS1_30default_config_static_selectorELNS0_4arch9wavefront6targetE0EEEvS12_
		.amdhsa_group_segment_fixed_size 0
		.amdhsa_private_segment_fixed_size 0
		.amdhsa_kernarg_size 176
		.amdhsa_user_sgpr_count 2
		.amdhsa_user_sgpr_dispatch_ptr 0
		.amdhsa_user_sgpr_queue_ptr 0
		.amdhsa_user_sgpr_kernarg_segment_ptr 1
		.amdhsa_user_sgpr_dispatch_id 0
		.amdhsa_user_sgpr_kernarg_preload_length 0
		.amdhsa_user_sgpr_kernarg_preload_offset 0
		.amdhsa_user_sgpr_private_segment_size 0
		.amdhsa_wavefront_size32 1
		.amdhsa_uses_dynamic_stack 0
		.amdhsa_enable_private_segment 0
		.amdhsa_system_sgpr_workgroup_id_x 1
		.amdhsa_system_sgpr_workgroup_id_y 0
		.amdhsa_system_sgpr_workgroup_id_z 0
		.amdhsa_system_sgpr_workgroup_info 0
		.amdhsa_system_vgpr_workitem_id 0
		.amdhsa_next_free_vgpr 1
		.amdhsa_next_free_sgpr 1
		.amdhsa_named_barrier_count 0
		.amdhsa_reserve_vcc 0
		.amdhsa_float_round_mode_32 0
		.amdhsa_float_round_mode_16_64 0
		.amdhsa_float_denorm_mode_32 3
		.amdhsa_float_denorm_mode_16_64 3
		.amdhsa_fp16_overflow 0
		.amdhsa_memory_ordered 1
		.amdhsa_forward_progress 1
		.amdhsa_inst_pref_size 0
		.amdhsa_round_robin_scheduling 0
		.amdhsa_exception_fp_ieee_invalid_op 0
		.amdhsa_exception_fp_denorm_src 0
		.amdhsa_exception_fp_ieee_div_zero 0
		.amdhsa_exception_fp_ieee_overflow 0
		.amdhsa_exception_fp_ieee_underflow 0
		.amdhsa_exception_fp_ieee_inexact 0
		.amdhsa_exception_int_div_zero 0
	.end_amdhsa_kernel
	.section	.text._ZN7rocprim17ROCPRIM_400000_NS6detail17trampoline_kernelINS0_13select_configILj256ELj13ELNS0_17block_load_methodE3ELS4_3ELS4_3ELNS0_20block_scan_algorithmE0ELj4294967295EEENS1_25partition_config_selectorILNS1_17partition_subalgoE4EjNS0_10empty_typeEbEEZZNS1_14partition_implILS8_4ELb0ES6_15HIP_vector_typeIjLj2EENS0_17counting_iteratorIjlEEPS9_SG_NS0_5tupleIJPjSI_NS0_16reverse_iteratorISI_EEEEENSH_IJSG_SG_SG_EEES9_SI_JZNS1_25segmented_radix_sort_implINS0_14default_configELb1EPKfPfPKlPlN2at6native12_GLOBAL__N_18offset_tEEE10hipError_tPvRmT1_PNSt15iterator_traitsIS12_E10value_typeET2_T3_PNS13_IS18_E10value_typeET4_jRbjT5_S1E_jjP12ihipStream_tbEUljE_ZNSN_ISO_Lb1ESQ_SR_ST_SU_SY_EESZ_S10_S11_S12_S16_S17_S18_S1B_S1C_jS1D_jS1E_S1E_jjS1G_bEUljE0_EEESZ_S10_S11_S18_S1C_S1E_T6_T7_T9_mT8_S1G_bDpT10_ENKUlT_T0_E_clISt17integral_constantIbLb1EES1T_IbLb0EEEEDaS1P_S1Q_EUlS1P_E_NS1_11comp_targetILNS1_3genE9ELNS1_11target_archE1100ELNS1_3gpuE3ELNS1_3repE0EEENS1_30default_config_static_selectorELNS0_4arch9wavefront6targetE0EEEvS12_,"axG",@progbits,_ZN7rocprim17ROCPRIM_400000_NS6detail17trampoline_kernelINS0_13select_configILj256ELj13ELNS0_17block_load_methodE3ELS4_3ELS4_3ELNS0_20block_scan_algorithmE0ELj4294967295EEENS1_25partition_config_selectorILNS1_17partition_subalgoE4EjNS0_10empty_typeEbEEZZNS1_14partition_implILS8_4ELb0ES6_15HIP_vector_typeIjLj2EENS0_17counting_iteratorIjlEEPS9_SG_NS0_5tupleIJPjSI_NS0_16reverse_iteratorISI_EEEEENSH_IJSG_SG_SG_EEES9_SI_JZNS1_25segmented_radix_sort_implINS0_14default_configELb1EPKfPfPKlPlN2at6native12_GLOBAL__N_18offset_tEEE10hipError_tPvRmT1_PNSt15iterator_traitsIS12_E10value_typeET2_T3_PNS13_IS18_E10value_typeET4_jRbjT5_S1E_jjP12ihipStream_tbEUljE_ZNSN_ISO_Lb1ESQ_SR_ST_SU_SY_EESZ_S10_S11_S12_S16_S17_S18_S1B_S1C_jS1D_jS1E_S1E_jjS1G_bEUljE0_EEESZ_S10_S11_S18_S1C_S1E_T6_T7_T9_mT8_S1G_bDpT10_ENKUlT_T0_E_clISt17integral_constantIbLb1EES1T_IbLb0EEEEDaS1P_S1Q_EUlS1P_E_NS1_11comp_targetILNS1_3genE9ELNS1_11target_archE1100ELNS1_3gpuE3ELNS1_3repE0EEENS1_30default_config_static_selectorELNS0_4arch9wavefront6targetE0EEEvS12_,comdat
.Lfunc_end1277:
	.size	_ZN7rocprim17ROCPRIM_400000_NS6detail17trampoline_kernelINS0_13select_configILj256ELj13ELNS0_17block_load_methodE3ELS4_3ELS4_3ELNS0_20block_scan_algorithmE0ELj4294967295EEENS1_25partition_config_selectorILNS1_17partition_subalgoE4EjNS0_10empty_typeEbEEZZNS1_14partition_implILS8_4ELb0ES6_15HIP_vector_typeIjLj2EENS0_17counting_iteratorIjlEEPS9_SG_NS0_5tupleIJPjSI_NS0_16reverse_iteratorISI_EEEEENSH_IJSG_SG_SG_EEES9_SI_JZNS1_25segmented_radix_sort_implINS0_14default_configELb1EPKfPfPKlPlN2at6native12_GLOBAL__N_18offset_tEEE10hipError_tPvRmT1_PNSt15iterator_traitsIS12_E10value_typeET2_T3_PNS13_IS18_E10value_typeET4_jRbjT5_S1E_jjP12ihipStream_tbEUljE_ZNSN_ISO_Lb1ESQ_SR_ST_SU_SY_EESZ_S10_S11_S12_S16_S17_S18_S1B_S1C_jS1D_jS1E_S1E_jjS1G_bEUljE0_EEESZ_S10_S11_S18_S1C_S1E_T6_T7_T9_mT8_S1G_bDpT10_ENKUlT_T0_E_clISt17integral_constantIbLb1EES1T_IbLb0EEEEDaS1P_S1Q_EUlS1P_E_NS1_11comp_targetILNS1_3genE9ELNS1_11target_archE1100ELNS1_3gpuE3ELNS1_3repE0EEENS1_30default_config_static_selectorELNS0_4arch9wavefront6targetE0EEEvS12_, .Lfunc_end1277-_ZN7rocprim17ROCPRIM_400000_NS6detail17trampoline_kernelINS0_13select_configILj256ELj13ELNS0_17block_load_methodE3ELS4_3ELS4_3ELNS0_20block_scan_algorithmE0ELj4294967295EEENS1_25partition_config_selectorILNS1_17partition_subalgoE4EjNS0_10empty_typeEbEEZZNS1_14partition_implILS8_4ELb0ES6_15HIP_vector_typeIjLj2EENS0_17counting_iteratorIjlEEPS9_SG_NS0_5tupleIJPjSI_NS0_16reverse_iteratorISI_EEEEENSH_IJSG_SG_SG_EEES9_SI_JZNS1_25segmented_radix_sort_implINS0_14default_configELb1EPKfPfPKlPlN2at6native12_GLOBAL__N_18offset_tEEE10hipError_tPvRmT1_PNSt15iterator_traitsIS12_E10value_typeET2_T3_PNS13_IS18_E10value_typeET4_jRbjT5_S1E_jjP12ihipStream_tbEUljE_ZNSN_ISO_Lb1ESQ_SR_ST_SU_SY_EESZ_S10_S11_S12_S16_S17_S18_S1B_S1C_jS1D_jS1E_S1E_jjS1G_bEUljE0_EEESZ_S10_S11_S18_S1C_S1E_T6_T7_T9_mT8_S1G_bDpT10_ENKUlT_T0_E_clISt17integral_constantIbLb1EES1T_IbLb0EEEEDaS1P_S1Q_EUlS1P_E_NS1_11comp_targetILNS1_3genE9ELNS1_11target_archE1100ELNS1_3gpuE3ELNS1_3repE0EEENS1_30default_config_static_selectorELNS0_4arch9wavefront6targetE0EEEvS12_
                                        ; -- End function
	.set _ZN7rocprim17ROCPRIM_400000_NS6detail17trampoline_kernelINS0_13select_configILj256ELj13ELNS0_17block_load_methodE3ELS4_3ELS4_3ELNS0_20block_scan_algorithmE0ELj4294967295EEENS1_25partition_config_selectorILNS1_17partition_subalgoE4EjNS0_10empty_typeEbEEZZNS1_14partition_implILS8_4ELb0ES6_15HIP_vector_typeIjLj2EENS0_17counting_iteratorIjlEEPS9_SG_NS0_5tupleIJPjSI_NS0_16reverse_iteratorISI_EEEEENSH_IJSG_SG_SG_EEES9_SI_JZNS1_25segmented_radix_sort_implINS0_14default_configELb1EPKfPfPKlPlN2at6native12_GLOBAL__N_18offset_tEEE10hipError_tPvRmT1_PNSt15iterator_traitsIS12_E10value_typeET2_T3_PNS13_IS18_E10value_typeET4_jRbjT5_S1E_jjP12ihipStream_tbEUljE_ZNSN_ISO_Lb1ESQ_SR_ST_SU_SY_EESZ_S10_S11_S12_S16_S17_S18_S1B_S1C_jS1D_jS1E_S1E_jjS1G_bEUljE0_EEESZ_S10_S11_S18_S1C_S1E_T6_T7_T9_mT8_S1G_bDpT10_ENKUlT_T0_E_clISt17integral_constantIbLb1EES1T_IbLb0EEEEDaS1P_S1Q_EUlS1P_E_NS1_11comp_targetILNS1_3genE9ELNS1_11target_archE1100ELNS1_3gpuE3ELNS1_3repE0EEENS1_30default_config_static_selectorELNS0_4arch9wavefront6targetE0EEEvS12_.num_vgpr, 0
	.set _ZN7rocprim17ROCPRIM_400000_NS6detail17trampoline_kernelINS0_13select_configILj256ELj13ELNS0_17block_load_methodE3ELS4_3ELS4_3ELNS0_20block_scan_algorithmE0ELj4294967295EEENS1_25partition_config_selectorILNS1_17partition_subalgoE4EjNS0_10empty_typeEbEEZZNS1_14partition_implILS8_4ELb0ES6_15HIP_vector_typeIjLj2EENS0_17counting_iteratorIjlEEPS9_SG_NS0_5tupleIJPjSI_NS0_16reverse_iteratorISI_EEEEENSH_IJSG_SG_SG_EEES9_SI_JZNS1_25segmented_radix_sort_implINS0_14default_configELb1EPKfPfPKlPlN2at6native12_GLOBAL__N_18offset_tEEE10hipError_tPvRmT1_PNSt15iterator_traitsIS12_E10value_typeET2_T3_PNS13_IS18_E10value_typeET4_jRbjT5_S1E_jjP12ihipStream_tbEUljE_ZNSN_ISO_Lb1ESQ_SR_ST_SU_SY_EESZ_S10_S11_S12_S16_S17_S18_S1B_S1C_jS1D_jS1E_S1E_jjS1G_bEUljE0_EEESZ_S10_S11_S18_S1C_S1E_T6_T7_T9_mT8_S1G_bDpT10_ENKUlT_T0_E_clISt17integral_constantIbLb1EES1T_IbLb0EEEEDaS1P_S1Q_EUlS1P_E_NS1_11comp_targetILNS1_3genE9ELNS1_11target_archE1100ELNS1_3gpuE3ELNS1_3repE0EEENS1_30default_config_static_selectorELNS0_4arch9wavefront6targetE0EEEvS12_.num_agpr, 0
	.set _ZN7rocprim17ROCPRIM_400000_NS6detail17trampoline_kernelINS0_13select_configILj256ELj13ELNS0_17block_load_methodE3ELS4_3ELS4_3ELNS0_20block_scan_algorithmE0ELj4294967295EEENS1_25partition_config_selectorILNS1_17partition_subalgoE4EjNS0_10empty_typeEbEEZZNS1_14partition_implILS8_4ELb0ES6_15HIP_vector_typeIjLj2EENS0_17counting_iteratorIjlEEPS9_SG_NS0_5tupleIJPjSI_NS0_16reverse_iteratorISI_EEEEENSH_IJSG_SG_SG_EEES9_SI_JZNS1_25segmented_radix_sort_implINS0_14default_configELb1EPKfPfPKlPlN2at6native12_GLOBAL__N_18offset_tEEE10hipError_tPvRmT1_PNSt15iterator_traitsIS12_E10value_typeET2_T3_PNS13_IS18_E10value_typeET4_jRbjT5_S1E_jjP12ihipStream_tbEUljE_ZNSN_ISO_Lb1ESQ_SR_ST_SU_SY_EESZ_S10_S11_S12_S16_S17_S18_S1B_S1C_jS1D_jS1E_S1E_jjS1G_bEUljE0_EEESZ_S10_S11_S18_S1C_S1E_T6_T7_T9_mT8_S1G_bDpT10_ENKUlT_T0_E_clISt17integral_constantIbLb1EES1T_IbLb0EEEEDaS1P_S1Q_EUlS1P_E_NS1_11comp_targetILNS1_3genE9ELNS1_11target_archE1100ELNS1_3gpuE3ELNS1_3repE0EEENS1_30default_config_static_selectorELNS0_4arch9wavefront6targetE0EEEvS12_.numbered_sgpr, 0
	.set _ZN7rocprim17ROCPRIM_400000_NS6detail17trampoline_kernelINS0_13select_configILj256ELj13ELNS0_17block_load_methodE3ELS4_3ELS4_3ELNS0_20block_scan_algorithmE0ELj4294967295EEENS1_25partition_config_selectorILNS1_17partition_subalgoE4EjNS0_10empty_typeEbEEZZNS1_14partition_implILS8_4ELb0ES6_15HIP_vector_typeIjLj2EENS0_17counting_iteratorIjlEEPS9_SG_NS0_5tupleIJPjSI_NS0_16reverse_iteratorISI_EEEEENSH_IJSG_SG_SG_EEES9_SI_JZNS1_25segmented_radix_sort_implINS0_14default_configELb1EPKfPfPKlPlN2at6native12_GLOBAL__N_18offset_tEEE10hipError_tPvRmT1_PNSt15iterator_traitsIS12_E10value_typeET2_T3_PNS13_IS18_E10value_typeET4_jRbjT5_S1E_jjP12ihipStream_tbEUljE_ZNSN_ISO_Lb1ESQ_SR_ST_SU_SY_EESZ_S10_S11_S12_S16_S17_S18_S1B_S1C_jS1D_jS1E_S1E_jjS1G_bEUljE0_EEESZ_S10_S11_S18_S1C_S1E_T6_T7_T9_mT8_S1G_bDpT10_ENKUlT_T0_E_clISt17integral_constantIbLb1EES1T_IbLb0EEEEDaS1P_S1Q_EUlS1P_E_NS1_11comp_targetILNS1_3genE9ELNS1_11target_archE1100ELNS1_3gpuE3ELNS1_3repE0EEENS1_30default_config_static_selectorELNS0_4arch9wavefront6targetE0EEEvS12_.num_named_barrier, 0
	.set _ZN7rocprim17ROCPRIM_400000_NS6detail17trampoline_kernelINS0_13select_configILj256ELj13ELNS0_17block_load_methodE3ELS4_3ELS4_3ELNS0_20block_scan_algorithmE0ELj4294967295EEENS1_25partition_config_selectorILNS1_17partition_subalgoE4EjNS0_10empty_typeEbEEZZNS1_14partition_implILS8_4ELb0ES6_15HIP_vector_typeIjLj2EENS0_17counting_iteratorIjlEEPS9_SG_NS0_5tupleIJPjSI_NS0_16reverse_iteratorISI_EEEEENSH_IJSG_SG_SG_EEES9_SI_JZNS1_25segmented_radix_sort_implINS0_14default_configELb1EPKfPfPKlPlN2at6native12_GLOBAL__N_18offset_tEEE10hipError_tPvRmT1_PNSt15iterator_traitsIS12_E10value_typeET2_T3_PNS13_IS18_E10value_typeET4_jRbjT5_S1E_jjP12ihipStream_tbEUljE_ZNSN_ISO_Lb1ESQ_SR_ST_SU_SY_EESZ_S10_S11_S12_S16_S17_S18_S1B_S1C_jS1D_jS1E_S1E_jjS1G_bEUljE0_EEESZ_S10_S11_S18_S1C_S1E_T6_T7_T9_mT8_S1G_bDpT10_ENKUlT_T0_E_clISt17integral_constantIbLb1EES1T_IbLb0EEEEDaS1P_S1Q_EUlS1P_E_NS1_11comp_targetILNS1_3genE9ELNS1_11target_archE1100ELNS1_3gpuE3ELNS1_3repE0EEENS1_30default_config_static_selectorELNS0_4arch9wavefront6targetE0EEEvS12_.private_seg_size, 0
	.set _ZN7rocprim17ROCPRIM_400000_NS6detail17trampoline_kernelINS0_13select_configILj256ELj13ELNS0_17block_load_methodE3ELS4_3ELS4_3ELNS0_20block_scan_algorithmE0ELj4294967295EEENS1_25partition_config_selectorILNS1_17partition_subalgoE4EjNS0_10empty_typeEbEEZZNS1_14partition_implILS8_4ELb0ES6_15HIP_vector_typeIjLj2EENS0_17counting_iteratorIjlEEPS9_SG_NS0_5tupleIJPjSI_NS0_16reverse_iteratorISI_EEEEENSH_IJSG_SG_SG_EEES9_SI_JZNS1_25segmented_radix_sort_implINS0_14default_configELb1EPKfPfPKlPlN2at6native12_GLOBAL__N_18offset_tEEE10hipError_tPvRmT1_PNSt15iterator_traitsIS12_E10value_typeET2_T3_PNS13_IS18_E10value_typeET4_jRbjT5_S1E_jjP12ihipStream_tbEUljE_ZNSN_ISO_Lb1ESQ_SR_ST_SU_SY_EESZ_S10_S11_S12_S16_S17_S18_S1B_S1C_jS1D_jS1E_S1E_jjS1G_bEUljE0_EEESZ_S10_S11_S18_S1C_S1E_T6_T7_T9_mT8_S1G_bDpT10_ENKUlT_T0_E_clISt17integral_constantIbLb1EES1T_IbLb0EEEEDaS1P_S1Q_EUlS1P_E_NS1_11comp_targetILNS1_3genE9ELNS1_11target_archE1100ELNS1_3gpuE3ELNS1_3repE0EEENS1_30default_config_static_selectorELNS0_4arch9wavefront6targetE0EEEvS12_.uses_vcc, 0
	.set _ZN7rocprim17ROCPRIM_400000_NS6detail17trampoline_kernelINS0_13select_configILj256ELj13ELNS0_17block_load_methodE3ELS4_3ELS4_3ELNS0_20block_scan_algorithmE0ELj4294967295EEENS1_25partition_config_selectorILNS1_17partition_subalgoE4EjNS0_10empty_typeEbEEZZNS1_14partition_implILS8_4ELb0ES6_15HIP_vector_typeIjLj2EENS0_17counting_iteratorIjlEEPS9_SG_NS0_5tupleIJPjSI_NS0_16reverse_iteratorISI_EEEEENSH_IJSG_SG_SG_EEES9_SI_JZNS1_25segmented_radix_sort_implINS0_14default_configELb1EPKfPfPKlPlN2at6native12_GLOBAL__N_18offset_tEEE10hipError_tPvRmT1_PNSt15iterator_traitsIS12_E10value_typeET2_T3_PNS13_IS18_E10value_typeET4_jRbjT5_S1E_jjP12ihipStream_tbEUljE_ZNSN_ISO_Lb1ESQ_SR_ST_SU_SY_EESZ_S10_S11_S12_S16_S17_S18_S1B_S1C_jS1D_jS1E_S1E_jjS1G_bEUljE0_EEESZ_S10_S11_S18_S1C_S1E_T6_T7_T9_mT8_S1G_bDpT10_ENKUlT_T0_E_clISt17integral_constantIbLb1EES1T_IbLb0EEEEDaS1P_S1Q_EUlS1P_E_NS1_11comp_targetILNS1_3genE9ELNS1_11target_archE1100ELNS1_3gpuE3ELNS1_3repE0EEENS1_30default_config_static_selectorELNS0_4arch9wavefront6targetE0EEEvS12_.uses_flat_scratch, 0
	.set _ZN7rocprim17ROCPRIM_400000_NS6detail17trampoline_kernelINS0_13select_configILj256ELj13ELNS0_17block_load_methodE3ELS4_3ELS4_3ELNS0_20block_scan_algorithmE0ELj4294967295EEENS1_25partition_config_selectorILNS1_17partition_subalgoE4EjNS0_10empty_typeEbEEZZNS1_14partition_implILS8_4ELb0ES6_15HIP_vector_typeIjLj2EENS0_17counting_iteratorIjlEEPS9_SG_NS0_5tupleIJPjSI_NS0_16reverse_iteratorISI_EEEEENSH_IJSG_SG_SG_EEES9_SI_JZNS1_25segmented_radix_sort_implINS0_14default_configELb1EPKfPfPKlPlN2at6native12_GLOBAL__N_18offset_tEEE10hipError_tPvRmT1_PNSt15iterator_traitsIS12_E10value_typeET2_T3_PNS13_IS18_E10value_typeET4_jRbjT5_S1E_jjP12ihipStream_tbEUljE_ZNSN_ISO_Lb1ESQ_SR_ST_SU_SY_EESZ_S10_S11_S12_S16_S17_S18_S1B_S1C_jS1D_jS1E_S1E_jjS1G_bEUljE0_EEESZ_S10_S11_S18_S1C_S1E_T6_T7_T9_mT8_S1G_bDpT10_ENKUlT_T0_E_clISt17integral_constantIbLb1EES1T_IbLb0EEEEDaS1P_S1Q_EUlS1P_E_NS1_11comp_targetILNS1_3genE9ELNS1_11target_archE1100ELNS1_3gpuE3ELNS1_3repE0EEENS1_30default_config_static_selectorELNS0_4arch9wavefront6targetE0EEEvS12_.has_dyn_sized_stack, 0
	.set _ZN7rocprim17ROCPRIM_400000_NS6detail17trampoline_kernelINS0_13select_configILj256ELj13ELNS0_17block_load_methodE3ELS4_3ELS4_3ELNS0_20block_scan_algorithmE0ELj4294967295EEENS1_25partition_config_selectorILNS1_17partition_subalgoE4EjNS0_10empty_typeEbEEZZNS1_14partition_implILS8_4ELb0ES6_15HIP_vector_typeIjLj2EENS0_17counting_iteratorIjlEEPS9_SG_NS0_5tupleIJPjSI_NS0_16reverse_iteratorISI_EEEEENSH_IJSG_SG_SG_EEES9_SI_JZNS1_25segmented_radix_sort_implINS0_14default_configELb1EPKfPfPKlPlN2at6native12_GLOBAL__N_18offset_tEEE10hipError_tPvRmT1_PNSt15iterator_traitsIS12_E10value_typeET2_T3_PNS13_IS18_E10value_typeET4_jRbjT5_S1E_jjP12ihipStream_tbEUljE_ZNSN_ISO_Lb1ESQ_SR_ST_SU_SY_EESZ_S10_S11_S12_S16_S17_S18_S1B_S1C_jS1D_jS1E_S1E_jjS1G_bEUljE0_EEESZ_S10_S11_S18_S1C_S1E_T6_T7_T9_mT8_S1G_bDpT10_ENKUlT_T0_E_clISt17integral_constantIbLb1EES1T_IbLb0EEEEDaS1P_S1Q_EUlS1P_E_NS1_11comp_targetILNS1_3genE9ELNS1_11target_archE1100ELNS1_3gpuE3ELNS1_3repE0EEENS1_30default_config_static_selectorELNS0_4arch9wavefront6targetE0EEEvS12_.has_recursion, 0
	.set _ZN7rocprim17ROCPRIM_400000_NS6detail17trampoline_kernelINS0_13select_configILj256ELj13ELNS0_17block_load_methodE3ELS4_3ELS4_3ELNS0_20block_scan_algorithmE0ELj4294967295EEENS1_25partition_config_selectorILNS1_17partition_subalgoE4EjNS0_10empty_typeEbEEZZNS1_14partition_implILS8_4ELb0ES6_15HIP_vector_typeIjLj2EENS0_17counting_iteratorIjlEEPS9_SG_NS0_5tupleIJPjSI_NS0_16reverse_iteratorISI_EEEEENSH_IJSG_SG_SG_EEES9_SI_JZNS1_25segmented_radix_sort_implINS0_14default_configELb1EPKfPfPKlPlN2at6native12_GLOBAL__N_18offset_tEEE10hipError_tPvRmT1_PNSt15iterator_traitsIS12_E10value_typeET2_T3_PNS13_IS18_E10value_typeET4_jRbjT5_S1E_jjP12ihipStream_tbEUljE_ZNSN_ISO_Lb1ESQ_SR_ST_SU_SY_EESZ_S10_S11_S12_S16_S17_S18_S1B_S1C_jS1D_jS1E_S1E_jjS1G_bEUljE0_EEESZ_S10_S11_S18_S1C_S1E_T6_T7_T9_mT8_S1G_bDpT10_ENKUlT_T0_E_clISt17integral_constantIbLb1EES1T_IbLb0EEEEDaS1P_S1Q_EUlS1P_E_NS1_11comp_targetILNS1_3genE9ELNS1_11target_archE1100ELNS1_3gpuE3ELNS1_3repE0EEENS1_30default_config_static_selectorELNS0_4arch9wavefront6targetE0EEEvS12_.has_indirect_call, 0
	.section	.AMDGPU.csdata,"",@progbits
; Kernel info:
; codeLenInByte = 0
; TotalNumSgprs: 0
; NumVgprs: 0
; ScratchSize: 0
; MemoryBound: 0
; FloatMode: 240
; IeeeMode: 1
; LDSByteSize: 0 bytes/workgroup (compile time only)
; SGPRBlocks: 0
; VGPRBlocks: 0
; NumSGPRsForWavesPerEU: 1
; NumVGPRsForWavesPerEU: 1
; NamedBarCnt: 0
; Occupancy: 16
; WaveLimiterHint : 0
; COMPUTE_PGM_RSRC2:SCRATCH_EN: 0
; COMPUTE_PGM_RSRC2:USER_SGPR: 2
; COMPUTE_PGM_RSRC2:TRAP_HANDLER: 0
; COMPUTE_PGM_RSRC2:TGID_X_EN: 1
; COMPUTE_PGM_RSRC2:TGID_Y_EN: 0
; COMPUTE_PGM_RSRC2:TGID_Z_EN: 0
; COMPUTE_PGM_RSRC2:TIDIG_COMP_CNT: 0
	.section	.text._ZN7rocprim17ROCPRIM_400000_NS6detail17trampoline_kernelINS0_13select_configILj256ELj13ELNS0_17block_load_methodE3ELS4_3ELS4_3ELNS0_20block_scan_algorithmE0ELj4294967295EEENS1_25partition_config_selectorILNS1_17partition_subalgoE4EjNS0_10empty_typeEbEEZZNS1_14partition_implILS8_4ELb0ES6_15HIP_vector_typeIjLj2EENS0_17counting_iteratorIjlEEPS9_SG_NS0_5tupleIJPjSI_NS0_16reverse_iteratorISI_EEEEENSH_IJSG_SG_SG_EEES9_SI_JZNS1_25segmented_radix_sort_implINS0_14default_configELb1EPKfPfPKlPlN2at6native12_GLOBAL__N_18offset_tEEE10hipError_tPvRmT1_PNSt15iterator_traitsIS12_E10value_typeET2_T3_PNS13_IS18_E10value_typeET4_jRbjT5_S1E_jjP12ihipStream_tbEUljE_ZNSN_ISO_Lb1ESQ_SR_ST_SU_SY_EESZ_S10_S11_S12_S16_S17_S18_S1B_S1C_jS1D_jS1E_S1E_jjS1G_bEUljE0_EEESZ_S10_S11_S18_S1C_S1E_T6_T7_T9_mT8_S1G_bDpT10_ENKUlT_T0_E_clISt17integral_constantIbLb1EES1T_IbLb0EEEEDaS1P_S1Q_EUlS1P_E_NS1_11comp_targetILNS1_3genE8ELNS1_11target_archE1030ELNS1_3gpuE2ELNS1_3repE0EEENS1_30default_config_static_selectorELNS0_4arch9wavefront6targetE0EEEvS12_,"axG",@progbits,_ZN7rocprim17ROCPRIM_400000_NS6detail17trampoline_kernelINS0_13select_configILj256ELj13ELNS0_17block_load_methodE3ELS4_3ELS4_3ELNS0_20block_scan_algorithmE0ELj4294967295EEENS1_25partition_config_selectorILNS1_17partition_subalgoE4EjNS0_10empty_typeEbEEZZNS1_14partition_implILS8_4ELb0ES6_15HIP_vector_typeIjLj2EENS0_17counting_iteratorIjlEEPS9_SG_NS0_5tupleIJPjSI_NS0_16reverse_iteratorISI_EEEEENSH_IJSG_SG_SG_EEES9_SI_JZNS1_25segmented_radix_sort_implINS0_14default_configELb1EPKfPfPKlPlN2at6native12_GLOBAL__N_18offset_tEEE10hipError_tPvRmT1_PNSt15iterator_traitsIS12_E10value_typeET2_T3_PNS13_IS18_E10value_typeET4_jRbjT5_S1E_jjP12ihipStream_tbEUljE_ZNSN_ISO_Lb1ESQ_SR_ST_SU_SY_EESZ_S10_S11_S12_S16_S17_S18_S1B_S1C_jS1D_jS1E_S1E_jjS1G_bEUljE0_EEESZ_S10_S11_S18_S1C_S1E_T6_T7_T9_mT8_S1G_bDpT10_ENKUlT_T0_E_clISt17integral_constantIbLb1EES1T_IbLb0EEEEDaS1P_S1Q_EUlS1P_E_NS1_11comp_targetILNS1_3genE8ELNS1_11target_archE1030ELNS1_3gpuE2ELNS1_3repE0EEENS1_30default_config_static_selectorELNS0_4arch9wavefront6targetE0EEEvS12_,comdat
	.globl	_ZN7rocprim17ROCPRIM_400000_NS6detail17trampoline_kernelINS0_13select_configILj256ELj13ELNS0_17block_load_methodE3ELS4_3ELS4_3ELNS0_20block_scan_algorithmE0ELj4294967295EEENS1_25partition_config_selectorILNS1_17partition_subalgoE4EjNS0_10empty_typeEbEEZZNS1_14partition_implILS8_4ELb0ES6_15HIP_vector_typeIjLj2EENS0_17counting_iteratorIjlEEPS9_SG_NS0_5tupleIJPjSI_NS0_16reverse_iteratorISI_EEEEENSH_IJSG_SG_SG_EEES9_SI_JZNS1_25segmented_radix_sort_implINS0_14default_configELb1EPKfPfPKlPlN2at6native12_GLOBAL__N_18offset_tEEE10hipError_tPvRmT1_PNSt15iterator_traitsIS12_E10value_typeET2_T3_PNS13_IS18_E10value_typeET4_jRbjT5_S1E_jjP12ihipStream_tbEUljE_ZNSN_ISO_Lb1ESQ_SR_ST_SU_SY_EESZ_S10_S11_S12_S16_S17_S18_S1B_S1C_jS1D_jS1E_S1E_jjS1G_bEUljE0_EEESZ_S10_S11_S18_S1C_S1E_T6_T7_T9_mT8_S1G_bDpT10_ENKUlT_T0_E_clISt17integral_constantIbLb1EES1T_IbLb0EEEEDaS1P_S1Q_EUlS1P_E_NS1_11comp_targetILNS1_3genE8ELNS1_11target_archE1030ELNS1_3gpuE2ELNS1_3repE0EEENS1_30default_config_static_selectorELNS0_4arch9wavefront6targetE0EEEvS12_ ; -- Begin function _ZN7rocprim17ROCPRIM_400000_NS6detail17trampoline_kernelINS0_13select_configILj256ELj13ELNS0_17block_load_methodE3ELS4_3ELS4_3ELNS0_20block_scan_algorithmE0ELj4294967295EEENS1_25partition_config_selectorILNS1_17partition_subalgoE4EjNS0_10empty_typeEbEEZZNS1_14partition_implILS8_4ELb0ES6_15HIP_vector_typeIjLj2EENS0_17counting_iteratorIjlEEPS9_SG_NS0_5tupleIJPjSI_NS0_16reverse_iteratorISI_EEEEENSH_IJSG_SG_SG_EEES9_SI_JZNS1_25segmented_radix_sort_implINS0_14default_configELb1EPKfPfPKlPlN2at6native12_GLOBAL__N_18offset_tEEE10hipError_tPvRmT1_PNSt15iterator_traitsIS12_E10value_typeET2_T3_PNS13_IS18_E10value_typeET4_jRbjT5_S1E_jjP12ihipStream_tbEUljE_ZNSN_ISO_Lb1ESQ_SR_ST_SU_SY_EESZ_S10_S11_S12_S16_S17_S18_S1B_S1C_jS1D_jS1E_S1E_jjS1G_bEUljE0_EEESZ_S10_S11_S18_S1C_S1E_T6_T7_T9_mT8_S1G_bDpT10_ENKUlT_T0_E_clISt17integral_constantIbLb1EES1T_IbLb0EEEEDaS1P_S1Q_EUlS1P_E_NS1_11comp_targetILNS1_3genE8ELNS1_11target_archE1030ELNS1_3gpuE2ELNS1_3repE0EEENS1_30default_config_static_selectorELNS0_4arch9wavefront6targetE0EEEvS12_
	.p2align	8
	.type	_ZN7rocprim17ROCPRIM_400000_NS6detail17trampoline_kernelINS0_13select_configILj256ELj13ELNS0_17block_load_methodE3ELS4_3ELS4_3ELNS0_20block_scan_algorithmE0ELj4294967295EEENS1_25partition_config_selectorILNS1_17partition_subalgoE4EjNS0_10empty_typeEbEEZZNS1_14partition_implILS8_4ELb0ES6_15HIP_vector_typeIjLj2EENS0_17counting_iteratorIjlEEPS9_SG_NS0_5tupleIJPjSI_NS0_16reverse_iteratorISI_EEEEENSH_IJSG_SG_SG_EEES9_SI_JZNS1_25segmented_radix_sort_implINS0_14default_configELb1EPKfPfPKlPlN2at6native12_GLOBAL__N_18offset_tEEE10hipError_tPvRmT1_PNSt15iterator_traitsIS12_E10value_typeET2_T3_PNS13_IS18_E10value_typeET4_jRbjT5_S1E_jjP12ihipStream_tbEUljE_ZNSN_ISO_Lb1ESQ_SR_ST_SU_SY_EESZ_S10_S11_S12_S16_S17_S18_S1B_S1C_jS1D_jS1E_S1E_jjS1G_bEUljE0_EEESZ_S10_S11_S18_S1C_S1E_T6_T7_T9_mT8_S1G_bDpT10_ENKUlT_T0_E_clISt17integral_constantIbLb1EES1T_IbLb0EEEEDaS1P_S1Q_EUlS1P_E_NS1_11comp_targetILNS1_3genE8ELNS1_11target_archE1030ELNS1_3gpuE2ELNS1_3repE0EEENS1_30default_config_static_selectorELNS0_4arch9wavefront6targetE0EEEvS12_,@function
_ZN7rocprim17ROCPRIM_400000_NS6detail17trampoline_kernelINS0_13select_configILj256ELj13ELNS0_17block_load_methodE3ELS4_3ELS4_3ELNS0_20block_scan_algorithmE0ELj4294967295EEENS1_25partition_config_selectorILNS1_17partition_subalgoE4EjNS0_10empty_typeEbEEZZNS1_14partition_implILS8_4ELb0ES6_15HIP_vector_typeIjLj2EENS0_17counting_iteratorIjlEEPS9_SG_NS0_5tupleIJPjSI_NS0_16reverse_iteratorISI_EEEEENSH_IJSG_SG_SG_EEES9_SI_JZNS1_25segmented_radix_sort_implINS0_14default_configELb1EPKfPfPKlPlN2at6native12_GLOBAL__N_18offset_tEEE10hipError_tPvRmT1_PNSt15iterator_traitsIS12_E10value_typeET2_T3_PNS13_IS18_E10value_typeET4_jRbjT5_S1E_jjP12ihipStream_tbEUljE_ZNSN_ISO_Lb1ESQ_SR_ST_SU_SY_EESZ_S10_S11_S12_S16_S17_S18_S1B_S1C_jS1D_jS1E_S1E_jjS1G_bEUljE0_EEESZ_S10_S11_S18_S1C_S1E_T6_T7_T9_mT8_S1G_bDpT10_ENKUlT_T0_E_clISt17integral_constantIbLb1EES1T_IbLb0EEEEDaS1P_S1Q_EUlS1P_E_NS1_11comp_targetILNS1_3genE8ELNS1_11target_archE1030ELNS1_3gpuE2ELNS1_3repE0EEENS1_30default_config_static_selectorELNS0_4arch9wavefront6targetE0EEEvS12_: ; @_ZN7rocprim17ROCPRIM_400000_NS6detail17trampoline_kernelINS0_13select_configILj256ELj13ELNS0_17block_load_methodE3ELS4_3ELS4_3ELNS0_20block_scan_algorithmE0ELj4294967295EEENS1_25partition_config_selectorILNS1_17partition_subalgoE4EjNS0_10empty_typeEbEEZZNS1_14partition_implILS8_4ELb0ES6_15HIP_vector_typeIjLj2EENS0_17counting_iteratorIjlEEPS9_SG_NS0_5tupleIJPjSI_NS0_16reverse_iteratorISI_EEEEENSH_IJSG_SG_SG_EEES9_SI_JZNS1_25segmented_radix_sort_implINS0_14default_configELb1EPKfPfPKlPlN2at6native12_GLOBAL__N_18offset_tEEE10hipError_tPvRmT1_PNSt15iterator_traitsIS12_E10value_typeET2_T3_PNS13_IS18_E10value_typeET4_jRbjT5_S1E_jjP12ihipStream_tbEUljE_ZNSN_ISO_Lb1ESQ_SR_ST_SU_SY_EESZ_S10_S11_S12_S16_S17_S18_S1B_S1C_jS1D_jS1E_S1E_jjS1G_bEUljE0_EEESZ_S10_S11_S18_S1C_S1E_T6_T7_T9_mT8_S1G_bDpT10_ENKUlT_T0_E_clISt17integral_constantIbLb1EES1T_IbLb0EEEEDaS1P_S1Q_EUlS1P_E_NS1_11comp_targetILNS1_3genE8ELNS1_11target_archE1030ELNS1_3gpuE2ELNS1_3repE0EEENS1_30default_config_static_selectorELNS0_4arch9wavefront6targetE0EEEvS12_
; %bb.0:
	.section	.rodata,"a",@progbits
	.p2align	6, 0x0
	.amdhsa_kernel _ZN7rocprim17ROCPRIM_400000_NS6detail17trampoline_kernelINS0_13select_configILj256ELj13ELNS0_17block_load_methodE3ELS4_3ELS4_3ELNS0_20block_scan_algorithmE0ELj4294967295EEENS1_25partition_config_selectorILNS1_17partition_subalgoE4EjNS0_10empty_typeEbEEZZNS1_14partition_implILS8_4ELb0ES6_15HIP_vector_typeIjLj2EENS0_17counting_iteratorIjlEEPS9_SG_NS0_5tupleIJPjSI_NS0_16reverse_iteratorISI_EEEEENSH_IJSG_SG_SG_EEES9_SI_JZNS1_25segmented_radix_sort_implINS0_14default_configELb1EPKfPfPKlPlN2at6native12_GLOBAL__N_18offset_tEEE10hipError_tPvRmT1_PNSt15iterator_traitsIS12_E10value_typeET2_T3_PNS13_IS18_E10value_typeET4_jRbjT5_S1E_jjP12ihipStream_tbEUljE_ZNSN_ISO_Lb1ESQ_SR_ST_SU_SY_EESZ_S10_S11_S12_S16_S17_S18_S1B_S1C_jS1D_jS1E_S1E_jjS1G_bEUljE0_EEESZ_S10_S11_S18_S1C_S1E_T6_T7_T9_mT8_S1G_bDpT10_ENKUlT_T0_E_clISt17integral_constantIbLb1EES1T_IbLb0EEEEDaS1P_S1Q_EUlS1P_E_NS1_11comp_targetILNS1_3genE8ELNS1_11target_archE1030ELNS1_3gpuE2ELNS1_3repE0EEENS1_30default_config_static_selectorELNS0_4arch9wavefront6targetE0EEEvS12_
		.amdhsa_group_segment_fixed_size 0
		.amdhsa_private_segment_fixed_size 0
		.amdhsa_kernarg_size 176
		.amdhsa_user_sgpr_count 2
		.amdhsa_user_sgpr_dispatch_ptr 0
		.amdhsa_user_sgpr_queue_ptr 0
		.amdhsa_user_sgpr_kernarg_segment_ptr 1
		.amdhsa_user_sgpr_dispatch_id 0
		.amdhsa_user_sgpr_kernarg_preload_length 0
		.amdhsa_user_sgpr_kernarg_preload_offset 0
		.amdhsa_user_sgpr_private_segment_size 0
		.amdhsa_wavefront_size32 1
		.amdhsa_uses_dynamic_stack 0
		.amdhsa_enable_private_segment 0
		.amdhsa_system_sgpr_workgroup_id_x 1
		.amdhsa_system_sgpr_workgroup_id_y 0
		.amdhsa_system_sgpr_workgroup_id_z 0
		.amdhsa_system_sgpr_workgroup_info 0
		.amdhsa_system_vgpr_workitem_id 0
		.amdhsa_next_free_vgpr 1
		.amdhsa_next_free_sgpr 1
		.amdhsa_named_barrier_count 0
		.amdhsa_reserve_vcc 0
		.amdhsa_float_round_mode_32 0
		.amdhsa_float_round_mode_16_64 0
		.amdhsa_float_denorm_mode_32 3
		.amdhsa_float_denorm_mode_16_64 3
		.amdhsa_fp16_overflow 0
		.amdhsa_memory_ordered 1
		.amdhsa_forward_progress 1
		.amdhsa_inst_pref_size 0
		.amdhsa_round_robin_scheduling 0
		.amdhsa_exception_fp_ieee_invalid_op 0
		.amdhsa_exception_fp_denorm_src 0
		.amdhsa_exception_fp_ieee_div_zero 0
		.amdhsa_exception_fp_ieee_overflow 0
		.amdhsa_exception_fp_ieee_underflow 0
		.amdhsa_exception_fp_ieee_inexact 0
		.amdhsa_exception_int_div_zero 0
	.end_amdhsa_kernel
	.section	.text._ZN7rocprim17ROCPRIM_400000_NS6detail17trampoline_kernelINS0_13select_configILj256ELj13ELNS0_17block_load_methodE3ELS4_3ELS4_3ELNS0_20block_scan_algorithmE0ELj4294967295EEENS1_25partition_config_selectorILNS1_17partition_subalgoE4EjNS0_10empty_typeEbEEZZNS1_14partition_implILS8_4ELb0ES6_15HIP_vector_typeIjLj2EENS0_17counting_iteratorIjlEEPS9_SG_NS0_5tupleIJPjSI_NS0_16reverse_iteratorISI_EEEEENSH_IJSG_SG_SG_EEES9_SI_JZNS1_25segmented_radix_sort_implINS0_14default_configELb1EPKfPfPKlPlN2at6native12_GLOBAL__N_18offset_tEEE10hipError_tPvRmT1_PNSt15iterator_traitsIS12_E10value_typeET2_T3_PNS13_IS18_E10value_typeET4_jRbjT5_S1E_jjP12ihipStream_tbEUljE_ZNSN_ISO_Lb1ESQ_SR_ST_SU_SY_EESZ_S10_S11_S12_S16_S17_S18_S1B_S1C_jS1D_jS1E_S1E_jjS1G_bEUljE0_EEESZ_S10_S11_S18_S1C_S1E_T6_T7_T9_mT8_S1G_bDpT10_ENKUlT_T0_E_clISt17integral_constantIbLb1EES1T_IbLb0EEEEDaS1P_S1Q_EUlS1P_E_NS1_11comp_targetILNS1_3genE8ELNS1_11target_archE1030ELNS1_3gpuE2ELNS1_3repE0EEENS1_30default_config_static_selectorELNS0_4arch9wavefront6targetE0EEEvS12_,"axG",@progbits,_ZN7rocprim17ROCPRIM_400000_NS6detail17trampoline_kernelINS0_13select_configILj256ELj13ELNS0_17block_load_methodE3ELS4_3ELS4_3ELNS0_20block_scan_algorithmE0ELj4294967295EEENS1_25partition_config_selectorILNS1_17partition_subalgoE4EjNS0_10empty_typeEbEEZZNS1_14partition_implILS8_4ELb0ES6_15HIP_vector_typeIjLj2EENS0_17counting_iteratorIjlEEPS9_SG_NS0_5tupleIJPjSI_NS0_16reverse_iteratorISI_EEEEENSH_IJSG_SG_SG_EEES9_SI_JZNS1_25segmented_radix_sort_implINS0_14default_configELb1EPKfPfPKlPlN2at6native12_GLOBAL__N_18offset_tEEE10hipError_tPvRmT1_PNSt15iterator_traitsIS12_E10value_typeET2_T3_PNS13_IS18_E10value_typeET4_jRbjT5_S1E_jjP12ihipStream_tbEUljE_ZNSN_ISO_Lb1ESQ_SR_ST_SU_SY_EESZ_S10_S11_S12_S16_S17_S18_S1B_S1C_jS1D_jS1E_S1E_jjS1G_bEUljE0_EEESZ_S10_S11_S18_S1C_S1E_T6_T7_T9_mT8_S1G_bDpT10_ENKUlT_T0_E_clISt17integral_constantIbLb1EES1T_IbLb0EEEEDaS1P_S1Q_EUlS1P_E_NS1_11comp_targetILNS1_3genE8ELNS1_11target_archE1030ELNS1_3gpuE2ELNS1_3repE0EEENS1_30default_config_static_selectorELNS0_4arch9wavefront6targetE0EEEvS12_,comdat
.Lfunc_end1278:
	.size	_ZN7rocprim17ROCPRIM_400000_NS6detail17trampoline_kernelINS0_13select_configILj256ELj13ELNS0_17block_load_methodE3ELS4_3ELS4_3ELNS0_20block_scan_algorithmE0ELj4294967295EEENS1_25partition_config_selectorILNS1_17partition_subalgoE4EjNS0_10empty_typeEbEEZZNS1_14partition_implILS8_4ELb0ES6_15HIP_vector_typeIjLj2EENS0_17counting_iteratorIjlEEPS9_SG_NS0_5tupleIJPjSI_NS0_16reverse_iteratorISI_EEEEENSH_IJSG_SG_SG_EEES9_SI_JZNS1_25segmented_radix_sort_implINS0_14default_configELb1EPKfPfPKlPlN2at6native12_GLOBAL__N_18offset_tEEE10hipError_tPvRmT1_PNSt15iterator_traitsIS12_E10value_typeET2_T3_PNS13_IS18_E10value_typeET4_jRbjT5_S1E_jjP12ihipStream_tbEUljE_ZNSN_ISO_Lb1ESQ_SR_ST_SU_SY_EESZ_S10_S11_S12_S16_S17_S18_S1B_S1C_jS1D_jS1E_S1E_jjS1G_bEUljE0_EEESZ_S10_S11_S18_S1C_S1E_T6_T7_T9_mT8_S1G_bDpT10_ENKUlT_T0_E_clISt17integral_constantIbLb1EES1T_IbLb0EEEEDaS1P_S1Q_EUlS1P_E_NS1_11comp_targetILNS1_3genE8ELNS1_11target_archE1030ELNS1_3gpuE2ELNS1_3repE0EEENS1_30default_config_static_selectorELNS0_4arch9wavefront6targetE0EEEvS12_, .Lfunc_end1278-_ZN7rocprim17ROCPRIM_400000_NS6detail17trampoline_kernelINS0_13select_configILj256ELj13ELNS0_17block_load_methodE3ELS4_3ELS4_3ELNS0_20block_scan_algorithmE0ELj4294967295EEENS1_25partition_config_selectorILNS1_17partition_subalgoE4EjNS0_10empty_typeEbEEZZNS1_14partition_implILS8_4ELb0ES6_15HIP_vector_typeIjLj2EENS0_17counting_iteratorIjlEEPS9_SG_NS0_5tupleIJPjSI_NS0_16reverse_iteratorISI_EEEEENSH_IJSG_SG_SG_EEES9_SI_JZNS1_25segmented_radix_sort_implINS0_14default_configELb1EPKfPfPKlPlN2at6native12_GLOBAL__N_18offset_tEEE10hipError_tPvRmT1_PNSt15iterator_traitsIS12_E10value_typeET2_T3_PNS13_IS18_E10value_typeET4_jRbjT5_S1E_jjP12ihipStream_tbEUljE_ZNSN_ISO_Lb1ESQ_SR_ST_SU_SY_EESZ_S10_S11_S12_S16_S17_S18_S1B_S1C_jS1D_jS1E_S1E_jjS1G_bEUljE0_EEESZ_S10_S11_S18_S1C_S1E_T6_T7_T9_mT8_S1G_bDpT10_ENKUlT_T0_E_clISt17integral_constantIbLb1EES1T_IbLb0EEEEDaS1P_S1Q_EUlS1P_E_NS1_11comp_targetILNS1_3genE8ELNS1_11target_archE1030ELNS1_3gpuE2ELNS1_3repE0EEENS1_30default_config_static_selectorELNS0_4arch9wavefront6targetE0EEEvS12_
                                        ; -- End function
	.set _ZN7rocprim17ROCPRIM_400000_NS6detail17trampoline_kernelINS0_13select_configILj256ELj13ELNS0_17block_load_methodE3ELS4_3ELS4_3ELNS0_20block_scan_algorithmE0ELj4294967295EEENS1_25partition_config_selectorILNS1_17partition_subalgoE4EjNS0_10empty_typeEbEEZZNS1_14partition_implILS8_4ELb0ES6_15HIP_vector_typeIjLj2EENS0_17counting_iteratorIjlEEPS9_SG_NS0_5tupleIJPjSI_NS0_16reverse_iteratorISI_EEEEENSH_IJSG_SG_SG_EEES9_SI_JZNS1_25segmented_radix_sort_implINS0_14default_configELb1EPKfPfPKlPlN2at6native12_GLOBAL__N_18offset_tEEE10hipError_tPvRmT1_PNSt15iterator_traitsIS12_E10value_typeET2_T3_PNS13_IS18_E10value_typeET4_jRbjT5_S1E_jjP12ihipStream_tbEUljE_ZNSN_ISO_Lb1ESQ_SR_ST_SU_SY_EESZ_S10_S11_S12_S16_S17_S18_S1B_S1C_jS1D_jS1E_S1E_jjS1G_bEUljE0_EEESZ_S10_S11_S18_S1C_S1E_T6_T7_T9_mT8_S1G_bDpT10_ENKUlT_T0_E_clISt17integral_constantIbLb1EES1T_IbLb0EEEEDaS1P_S1Q_EUlS1P_E_NS1_11comp_targetILNS1_3genE8ELNS1_11target_archE1030ELNS1_3gpuE2ELNS1_3repE0EEENS1_30default_config_static_selectorELNS0_4arch9wavefront6targetE0EEEvS12_.num_vgpr, 0
	.set _ZN7rocprim17ROCPRIM_400000_NS6detail17trampoline_kernelINS0_13select_configILj256ELj13ELNS0_17block_load_methodE3ELS4_3ELS4_3ELNS0_20block_scan_algorithmE0ELj4294967295EEENS1_25partition_config_selectorILNS1_17partition_subalgoE4EjNS0_10empty_typeEbEEZZNS1_14partition_implILS8_4ELb0ES6_15HIP_vector_typeIjLj2EENS0_17counting_iteratorIjlEEPS9_SG_NS0_5tupleIJPjSI_NS0_16reverse_iteratorISI_EEEEENSH_IJSG_SG_SG_EEES9_SI_JZNS1_25segmented_radix_sort_implINS0_14default_configELb1EPKfPfPKlPlN2at6native12_GLOBAL__N_18offset_tEEE10hipError_tPvRmT1_PNSt15iterator_traitsIS12_E10value_typeET2_T3_PNS13_IS18_E10value_typeET4_jRbjT5_S1E_jjP12ihipStream_tbEUljE_ZNSN_ISO_Lb1ESQ_SR_ST_SU_SY_EESZ_S10_S11_S12_S16_S17_S18_S1B_S1C_jS1D_jS1E_S1E_jjS1G_bEUljE0_EEESZ_S10_S11_S18_S1C_S1E_T6_T7_T9_mT8_S1G_bDpT10_ENKUlT_T0_E_clISt17integral_constantIbLb1EES1T_IbLb0EEEEDaS1P_S1Q_EUlS1P_E_NS1_11comp_targetILNS1_3genE8ELNS1_11target_archE1030ELNS1_3gpuE2ELNS1_3repE0EEENS1_30default_config_static_selectorELNS0_4arch9wavefront6targetE0EEEvS12_.num_agpr, 0
	.set _ZN7rocprim17ROCPRIM_400000_NS6detail17trampoline_kernelINS0_13select_configILj256ELj13ELNS0_17block_load_methodE3ELS4_3ELS4_3ELNS0_20block_scan_algorithmE0ELj4294967295EEENS1_25partition_config_selectorILNS1_17partition_subalgoE4EjNS0_10empty_typeEbEEZZNS1_14partition_implILS8_4ELb0ES6_15HIP_vector_typeIjLj2EENS0_17counting_iteratorIjlEEPS9_SG_NS0_5tupleIJPjSI_NS0_16reverse_iteratorISI_EEEEENSH_IJSG_SG_SG_EEES9_SI_JZNS1_25segmented_radix_sort_implINS0_14default_configELb1EPKfPfPKlPlN2at6native12_GLOBAL__N_18offset_tEEE10hipError_tPvRmT1_PNSt15iterator_traitsIS12_E10value_typeET2_T3_PNS13_IS18_E10value_typeET4_jRbjT5_S1E_jjP12ihipStream_tbEUljE_ZNSN_ISO_Lb1ESQ_SR_ST_SU_SY_EESZ_S10_S11_S12_S16_S17_S18_S1B_S1C_jS1D_jS1E_S1E_jjS1G_bEUljE0_EEESZ_S10_S11_S18_S1C_S1E_T6_T7_T9_mT8_S1G_bDpT10_ENKUlT_T0_E_clISt17integral_constantIbLb1EES1T_IbLb0EEEEDaS1P_S1Q_EUlS1P_E_NS1_11comp_targetILNS1_3genE8ELNS1_11target_archE1030ELNS1_3gpuE2ELNS1_3repE0EEENS1_30default_config_static_selectorELNS0_4arch9wavefront6targetE0EEEvS12_.numbered_sgpr, 0
	.set _ZN7rocprim17ROCPRIM_400000_NS6detail17trampoline_kernelINS0_13select_configILj256ELj13ELNS0_17block_load_methodE3ELS4_3ELS4_3ELNS0_20block_scan_algorithmE0ELj4294967295EEENS1_25partition_config_selectorILNS1_17partition_subalgoE4EjNS0_10empty_typeEbEEZZNS1_14partition_implILS8_4ELb0ES6_15HIP_vector_typeIjLj2EENS0_17counting_iteratorIjlEEPS9_SG_NS0_5tupleIJPjSI_NS0_16reverse_iteratorISI_EEEEENSH_IJSG_SG_SG_EEES9_SI_JZNS1_25segmented_radix_sort_implINS0_14default_configELb1EPKfPfPKlPlN2at6native12_GLOBAL__N_18offset_tEEE10hipError_tPvRmT1_PNSt15iterator_traitsIS12_E10value_typeET2_T3_PNS13_IS18_E10value_typeET4_jRbjT5_S1E_jjP12ihipStream_tbEUljE_ZNSN_ISO_Lb1ESQ_SR_ST_SU_SY_EESZ_S10_S11_S12_S16_S17_S18_S1B_S1C_jS1D_jS1E_S1E_jjS1G_bEUljE0_EEESZ_S10_S11_S18_S1C_S1E_T6_T7_T9_mT8_S1G_bDpT10_ENKUlT_T0_E_clISt17integral_constantIbLb1EES1T_IbLb0EEEEDaS1P_S1Q_EUlS1P_E_NS1_11comp_targetILNS1_3genE8ELNS1_11target_archE1030ELNS1_3gpuE2ELNS1_3repE0EEENS1_30default_config_static_selectorELNS0_4arch9wavefront6targetE0EEEvS12_.num_named_barrier, 0
	.set _ZN7rocprim17ROCPRIM_400000_NS6detail17trampoline_kernelINS0_13select_configILj256ELj13ELNS0_17block_load_methodE3ELS4_3ELS4_3ELNS0_20block_scan_algorithmE0ELj4294967295EEENS1_25partition_config_selectorILNS1_17partition_subalgoE4EjNS0_10empty_typeEbEEZZNS1_14partition_implILS8_4ELb0ES6_15HIP_vector_typeIjLj2EENS0_17counting_iteratorIjlEEPS9_SG_NS0_5tupleIJPjSI_NS0_16reverse_iteratorISI_EEEEENSH_IJSG_SG_SG_EEES9_SI_JZNS1_25segmented_radix_sort_implINS0_14default_configELb1EPKfPfPKlPlN2at6native12_GLOBAL__N_18offset_tEEE10hipError_tPvRmT1_PNSt15iterator_traitsIS12_E10value_typeET2_T3_PNS13_IS18_E10value_typeET4_jRbjT5_S1E_jjP12ihipStream_tbEUljE_ZNSN_ISO_Lb1ESQ_SR_ST_SU_SY_EESZ_S10_S11_S12_S16_S17_S18_S1B_S1C_jS1D_jS1E_S1E_jjS1G_bEUljE0_EEESZ_S10_S11_S18_S1C_S1E_T6_T7_T9_mT8_S1G_bDpT10_ENKUlT_T0_E_clISt17integral_constantIbLb1EES1T_IbLb0EEEEDaS1P_S1Q_EUlS1P_E_NS1_11comp_targetILNS1_3genE8ELNS1_11target_archE1030ELNS1_3gpuE2ELNS1_3repE0EEENS1_30default_config_static_selectorELNS0_4arch9wavefront6targetE0EEEvS12_.private_seg_size, 0
	.set _ZN7rocprim17ROCPRIM_400000_NS6detail17trampoline_kernelINS0_13select_configILj256ELj13ELNS0_17block_load_methodE3ELS4_3ELS4_3ELNS0_20block_scan_algorithmE0ELj4294967295EEENS1_25partition_config_selectorILNS1_17partition_subalgoE4EjNS0_10empty_typeEbEEZZNS1_14partition_implILS8_4ELb0ES6_15HIP_vector_typeIjLj2EENS0_17counting_iteratorIjlEEPS9_SG_NS0_5tupleIJPjSI_NS0_16reverse_iteratorISI_EEEEENSH_IJSG_SG_SG_EEES9_SI_JZNS1_25segmented_radix_sort_implINS0_14default_configELb1EPKfPfPKlPlN2at6native12_GLOBAL__N_18offset_tEEE10hipError_tPvRmT1_PNSt15iterator_traitsIS12_E10value_typeET2_T3_PNS13_IS18_E10value_typeET4_jRbjT5_S1E_jjP12ihipStream_tbEUljE_ZNSN_ISO_Lb1ESQ_SR_ST_SU_SY_EESZ_S10_S11_S12_S16_S17_S18_S1B_S1C_jS1D_jS1E_S1E_jjS1G_bEUljE0_EEESZ_S10_S11_S18_S1C_S1E_T6_T7_T9_mT8_S1G_bDpT10_ENKUlT_T0_E_clISt17integral_constantIbLb1EES1T_IbLb0EEEEDaS1P_S1Q_EUlS1P_E_NS1_11comp_targetILNS1_3genE8ELNS1_11target_archE1030ELNS1_3gpuE2ELNS1_3repE0EEENS1_30default_config_static_selectorELNS0_4arch9wavefront6targetE0EEEvS12_.uses_vcc, 0
	.set _ZN7rocprim17ROCPRIM_400000_NS6detail17trampoline_kernelINS0_13select_configILj256ELj13ELNS0_17block_load_methodE3ELS4_3ELS4_3ELNS0_20block_scan_algorithmE0ELj4294967295EEENS1_25partition_config_selectorILNS1_17partition_subalgoE4EjNS0_10empty_typeEbEEZZNS1_14partition_implILS8_4ELb0ES6_15HIP_vector_typeIjLj2EENS0_17counting_iteratorIjlEEPS9_SG_NS0_5tupleIJPjSI_NS0_16reverse_iteratorISI_EEEEENSH_IJSG_SG_SG_EEES9_SI_JZNS1_25segmented_radix_sort_implINS0_14default_configELb1EPKfPfPKlPlN2at6native12_GLOBAL__N_18offset_tEEE10hipError_tPvRmT1_PNSt15iterator_traitsIS12_E10value_typeET2_T3_PNS13_IS18_E10value_typeET4_jRbjT5_S1E_jjP12ihipStream_tbEUljE_ZNSN_ISO_Lb1ESQ_SR_ST_SU_SY_EESZ_S10_S11_S12_S16_S17_S18_S1B_S1C_jS1D_jS1E_S1E_jjS1G_bEUljE0_EEESZ_S10_S11_S18_S1C_S1E_T6_T7_T9_mT8_S1G_bDpT10_ENKUlT_T0_E_clISt17integral_constantIbLb1EES1T_IbLb0EEEEDaS1P_S1Q_EUlS1P_E_NS1_11comp_targetILNS1_3genE8ELNS1_11target_archE1030ELNS1_3gpuE2ELNS1_3repE0EEENS1_30default_config_static_selectorELNS0_4arch9wavefront6targetE0EEEvS12_.uses_flat_scratch, 0
	.set _ZN7rocprim17ROCPRIM_400000_NS6detail17trampoline_kernelINS0_13select_configILj256ELj13ELNS0_17block_load_methodE3ELS4_3ELS4_3ELNS0_20block_scan_algorithmE0ELj4294967295EEENS1_25partition_config_selectorILNS1_17partition_subalgoE4EjNS0_10empty_typeEbEEZZNS1_14partition_implILS8_4ELb0ES6_15HIP_vector_typeIjLj2EENS0_17counting_iteratorIjlEEPS9_SG_NS0_5tupleIJPjSI_NS0_16reverse_iteratorISI_EEEEENSH_IJSG_SG_SG_EEES9_SI_JZNS1_25segmented_radix_sort_implINS0_14default_configELb1EPKfPfPKlPlN2at6native12_GLOBAL__N_18offset_tEEE10hipError_tPvRmT1_PNSt15iterator_traitsIS12_E10value_typeET2_T3_PNS13_IS18_E10value_typeET4_jRbjT5_S1E_jjP12ihipStream_tbEUljE_ZNSN_ISO_Lb1ESQ_SR_ST_SU_SY_EESZ_S10_S11_S12_S16_S17_S18_S1B_S1C_jS1D_jS1E_S1E_jjS1G_bEUljE0_EEESZ_S10_S11_S18_S1C_S1E_T6_T7_T9_mT8_S1G_bDpT10_ENKUlT_T0_E_clISt17integral_constantIbLb1EES1T_IbLb0EEEEDaS1P_S1Q_EUlS1P_E_NS1_11comp_targetILNS1_3genE8ELNS1_11target_archE1030ELNS1_3gpuE2ELNS1_3repE0EEENS1_30default_config_static_selectorELNS0_4arch9wavefront6targetE0EEEvS12_.has_dyn_sized_stack, 0
	.set _ZN7rocprim17ROCPRIM_400000_NS6detail17trampoline_kernelINS0_13select_configILj256ELj13ELNS0_17block_load_methodE3ELS4_3ELS4_3ELNS0_20block_scan_algorithmE0ELj4294967295EEENS1_25partition_config_selectorILNS1_17partition_subalgoE4EjNS0_10empty_typeEbEEZZNS1_14partition_implILS8_4ELb0ES6_15HIP_vector_typeIjLj2EENS0_17counting_iteratorIjlEEPS9_SG_NS0_5tupleIJPjSI_NS0_16reverse_iteratorISI_EEEEENSH_IJSG_SG_SG_EEES9_SI_JZNS1_25segmented_radix_sort_implINS0_14default_configELb1EPKfPfPKlPlN2at6native12_GLOBAL__N_18offset_tEEE10hipError_tPvRmT1_PNSt15iterator_traitsIS12_E10value_typeET2_T3_PNS13_IS18_E10value_typeET4_jRbjT5_S1E_jjP12ihipStream_tbEUljE_ZNSN_ISO_Lb1ESQ_SR_ST_SU_SY_EESZ_S10_S11_S12_S16_S17_S18_S1B_S1C_jS1D_jS1E_S1E_jjS1G_bEUljE0_EEESZ_S10_S11_S18_S1C_S1E_T6_T7_T9_mT8_S1G_bDpT10_ENKUlT_T0_E_clISt17integral_constantIbLb1EES1T_IbLb0EEEEDaS1P_S1Q_EUlS1P_E_NS1_11comp_targetILNS1_3genE8ELNS1_11target_archE1030ELNS1_3gpuE2ELNS1_3repE0EEENS1_30default_config_static_selectorELNS0_4arch9wavefront6targetE0EEEvS12_.has_recursion, 0
	.set _ZN7rocprim17ROCPRIM_400000_NS6detail17trampoline_kernelINS0_13select_configILj256ELj13ELNS0_17block_load_methodE3ELS4_3ELS4_3ELNS0_20block_scan_algorithmE0ELj4294967295EEENS1_25partition_config_selectorILNS1_17partition_subalgoE4EjNS0_10empty_typeEbEEZZNS1_14partition_implILS8_4ELb0ES6_15HIP_vector_typeIjLj2EENS0_17counting_iteratorIjlEEPS9_SG_NS0_5tupleIJPjSI_NS0_16reverse_iteratorISI_EEEEENSH_IJSG_SG_SG_EEES9_SI_JZNS1_25segmented_radix_sort_implINS0_14default_configELb1EPKfPfPKlPlN2at6native12_GLOBAL__N_18offset_tEEE10hipError_tPvRmT1_PNSt15iterator_traitsIS12_E10value_typeET2_T3_PNS13_IS18_E10value_typeET4_jRbjT5_S1E_jjP12ihipStream_tbEUljE_ZNSN_ISO_Lb1ESQ_SR_ST_SU_SY_EESZ_S10_S11_S12_S16_S17_S18_S1B_S1C_jS1D_jS1E_S1E_jjS1G_bEUljE0_EEESZ_S10_S11_S18_S1C_S1E_T6_T7_T9_mT8_S1G_bDpT10_ENKUlT_T0_E_clISt17integral_constantIbLb1EES1T_IbLb0EEEEDaS1P_S1Q_EUlS1P_E_NS1_11comp_targetILNS1_3genE8ELNS1_11target_archE1030ELNS1_3gpuE2ELNS1_3repE0EEENS1_30default_config_static_selectorELNS0_4arch9wavefront6targetE0EEEvS12_.has_indirect_call, 0
	.section	.AMDGPU.csdata,"",@progbits
; Kernel info:
; codeLenInByte = 0
; TotalNumSgprs: 0
; NumVgprs: 0
; ScratchSize: 0
; MemoryBound: 0
; FloatMode: 240
; IeeeMode: 1
; LDSByteSize: 0 bytes/workgroup (compile time only)
; SGPRBlocks: 0
; VGPRBlocks: 0
; NumSGPRsForWavesPerEU: 1
; NumVGPRsForWavesPerEU: 1
; NamedBarCnt: 0
; Occupancy: 16
; WaveLimiterHint : 0
; COMPUTE_PGM_RSRC2:SCRATCH_EN: 0
; COMPUTE_PGM_RSRC2:USER_SGPR: 2
; COMPUTE_PGM_RSRC2:TRAP_HANDLER: 0
; COMPUTE_PGM_RSRC2:TGID_X_EN: 1
; COMPUTE_PGM_RSRC2:TGID_Y_EN: 0
; COMPUTE_PGM_RSRC2:TGID_Z_EN: 0
; COMPUTE_PGM_RSRC2:TIDIG_COMP_CNT: 0
	.section	.text._ZN7rocprim17ROCPRIM_400000_NS6detail17trampoline_kernelINS0_13select_configILj256ELj13ELNS0_17block_load_methodE3ELS4_3ELS4_3ELNS0_20block_scan_algorithmE0ELj4294967295EEENS1_25partition_config_selectorILNS1_17partition_subalgoE4EjNS0_10empty_typeEbEEZZNS1_14partition_implILS8_4ELb0ES6_15HIP_vector_typeIjLj2EENS0_17counting_iteratorIjlEEPS9_SG_NS0_5tupleIJPjSI_NS0_16reverse_iteratorISI_EEEEENSH_IJSG_SG_SG_EEES9_SI_JZNS1_25segmented_radix_sort_implINS0_14default_configELb1EPKfPfPKlPlN2at6native12_GLOBAL__N_18offset_tEEE10hipError_tPvRmT1_PNSt15iterator_traitsIS12_E10value_typeET2_T3_PNS13_IS18_E10value_typeET4_jRbjT5_S1E_jjP12ihipStream_tbEUljE_ZNSN_ISO_Lb1ESQ_SR_ST_SU_SY_EESZ_S10_S11_S12_S16_S17_S18_S1B_S1C_jS1D_jS1E_S1E_jjS1G_bEUljE0_EEESZ_S10_S11_S18_S1C_S1E_T6_T7_T9_mT8_S1G_bDpT10_ENKUlT_T0_E_clISt17integral_constantIbLb0EES1T_IbLb1EEEEDaS1P_S1Q_EUlS1P_E_NS1_11comp_targetILNS1_3genE0ELNS1_11target_archE4294967295ELNS1_3gpuE0ELNS1_3repE0EEENS1_30default_config_static_selectorELNS0_4arch9wavefront6targetE0EEEvS12_,"axG",@progbits,_ZN7rocprim17ROCPRIM_400000_NS6detail17trampoline_kernelINS0_13select_configILj256ELj13ELNS0_17block_load_methodE3ELS4_3ELS4_3ELNS0_20block_scan_algorithmE0ELj4294967295EEENS1_25partition_config_selectorILNS1_17partition_subalgoE4EjNS0_10empty_typeEbEEZZNS1_14partition_implILS8_4ELb0ES6_15HIP_vector_typeIjLj2EENS0_17counting_iteratorIjlEEPS9_SG_NS0_5tupleIJPjSI_NS0_16reverse_iteratorISI_EEEEENSH_IJSG_SG_SG_EEES9_SI_JZNS1_25segmented_radix_sort_implINS0_14default_configELb1EPKfPfPKlPlN2at6native12_GLOBAL__N_18offset_tEEE10hipError_tPvRmT1_PNSt15iterator_traitsIS12_E10value_typeET2_T3_PNS13_IS18_E10value_typeET4_jRbjT5_S1E_jjP12ihipStream_tbEUljE_ZNSN_ISO_Lb1ESQ_SR_ST_SU_SY_EESZ_S10_S11_S12_S16_S17_S18_S1B_S1C_jS1D_jS1E_S1E_jjS1G_bEUljE0_EEESZ_S10_S11_S18_S1C_S1E_T6_T7_T9_mT8_S1G_bDpT10_ENKUlT_T0_E_clISt17integral_constantIbLb0EES1T_IbLb1EEEEDaS1P_S1Q_EUlS1P_E_NS1_11comp_targetILNS1_3genE0ELNS1_11target_archE4294967295ELNS1_3gpuE0ELNS1_3repE0EEENS1_30default_config_static_selectorELNS0_4arch9wavefront6targetE0EEEvS12_,comdat
	.globl	_ZN7rocprim17ROCPRIM_400000_NS6detail17trampoline_kernelINS0_13select_configILj256ELj13ELNS0_17block_load_methodE3ELS4_3ELS4_3ELNS0_20block_scan_algorithmE0ELj4294967295EEENS1_25partition_config_selectorILNS1_17partition_subalgoE4EjNS0_10empty_typeEbEEZZNS1_14partition_implILS8_4ELb0ES6_15HIP_vector_typeIjLj2EENS0_17counting_iteratorIjlEEPS9_SG_NS0_5tupleIJPjSI_NS0_16reverse_iteratorISI_EEEEENSH_IJSG_SG_SG_EEES9_SI_JZNS1_25segmented_radix_sort_implINS0_14default_configELb1EPKfPfPKlPlN2at6native12_GLOBAL__N_18offset_tEEE10hipError_tPvRmT1_PNSt15iterator_traitsIS12_E10value_typeET2_T3_PNS13_IS18_E10value_typeET4_jRbjT5_S1E_jjP12ihipStream_tbEUljE_ZNSN_ISO_Lb1ESQ_SR_ST_SU_SY_EESZ_S10_S11_S12_S16_S17_S18_S1B_S1C_jS1D_jS1E_S1E_jjS1G_bEUljE0_EEESZ_S10_S11_S18_S1C_S1E_T6_T7_T9_mT8_S1G_bDpT10_ENKUlT_T0_E_clISt17integral_constantIbLb0EES1T_IbLb1EEEEDaS1P_S1Q_EUlS1P_E_NS1_11comp_targetILNS1_3genE0ELNS1_11target_archE4294967295ELNS1_3gpuE0ELNS1_3repE0EEENS1_30default_config_static_selectorELNS0_4arch9wavefront6targetE0EEEvS12_ ; -- Begin function _ZN7rocprim17ROCPRIM_400000_NS6detail17trampoline_kernelINS0_13select_configILj256ELj13ELNS0_17block_load_methodE3ELS4_3ELS4_3ELNS0_20block_scan_algorithmE0ELj4294967295EEENS1_25partition_config_selectorILNS1_17partition_subalgoE4EjNS0_10empty_typeEbEEZZNS1_14partition_implILS8_4ELb0ES6_15HIP_vector_typeIjLj2EENS0_17counting_iteratorIjlEEPS9_SG_NS0_5tupleIJPjSI_NS0_16reverse_iteratorISI_EEEEENSH_IJSG_SG_SG_EEES9_SI_JZNS1_25segmented_radix_sort_implINS0_14default_configELb1EPKfPfPKlPlN2at6native12_GLOBAL__N_18offset_tEEE10hipError_tPvRmT1_PNSt15iterator_traitsIS12_E10value_typeET2_T3_PNS13_IS18_E10value_typeET4_jRbjT5_S1E_jjP12ihipStream_tbEUljE_ZNSN_ISO_Lb1ESQ_SR_ST_SU_SY_EESZ_S10_S11_S12_S16_S17_S18_S1B_S1C_jS1D_jS1E_S1E_jjS1G_bEUljE0_EEESZ_S10_S11_S18_S1C_S1E_T6_T7_T9_mT8_S1G_bDpT10_ENKUlT_T0_E_clISt17integral_constantIbLb0EES1T_IbLb1EEEEDaS1P_S1Q_EUlS1P_E_NS1_11comp_targetILNS1_3genE0ELNS1_11target_archE4294967295ELNS1_3gpuE0ELNS1_3repE0EEENS1_30default_config_static_selectorELNS0_4arch9wavefront6targetE0EEEvS12_
	.p2align	8
	.type	_ZN7rocprim17ROCPRIM_400000_NS6detail17trampoline_kernelINS0_13select_configILj256ELj13ELNS0_17block_load_methodE3ELS4_3ELS4_3ELNS0_20block_scan_algorithmE0ELj4294967295EEENS1_25partition_config_selectorILNS1_17partition_subalgoE4EjNS0_10empty_typeEbEEZZNS1_14partition_implILS8_4ELb0ES6_15HIP_vector_typeIjLj2EENS0_17counting_iteratorIjlEEPS9_SG_NS0_5tupleIJPjSI_NS0_16reverse_iteratorISI_EEEEENSH_IJSG_SG_SG_EEES9_SI_JZNS1_25segmented_radix_sort_implINS0_14default_configELb1EPKfPfPKlPlN2at6native12_GLOBAL__N_18offset_tEEE10hipError_tPvRmT1_PNSt15iterator_traitsIS12_E10value_typeET2_T3_PNS13_IS18_E10value_typeET4_jRbjT5_S1E_jjP12ihipStream_tbEUljE_ZNSN_ISO_Lb1ESQ_SR_ST_SU_SY_EESZ_S10_S11_S12_S16_S17_S18_S1B_S1C_jS1D_jS1E_S1E_jjS1G_bEUljE0_EEESZ_S10_S11_S18_S1C_S1E_T6_T7_T9_mT8_S1G_bDpT10_ENKUlT_T0_E_clISt17integral_constantIbLb0EES1T_IbLb1EEEEDaS1P_S1Q_EUlS1P_E_NS1_11comp_targetILNS1_3genE0ELNS1_11target_archE4294967295ELNS1_3gpuE0ELNS1_3repE0EEENS1_30default_config_static_selectorELNS0_4arch9wavefront6targetE0EEEvS12_,@function
_ZN7rocprim17ROCPRIM_400000_NS6detail17trampoline_kernelINS0_13select_configILj256ELj13ELNS0_17block_load_methodE3ELS4_3ELS4_3ELNS0_20block_scan_algorithmE0ELj4294967295EEENS1_25partition_config_selectorILNS1_17partition_subalgoE4EjNS0_10empty_typeEbEEZZNS1_14partition_implILS8_4ELb0ES6_15HIP_vector_typeIjLj2EENS0_17counting_iteratorIjlEEPS9_SG_NS0_5tupleIJPjSI_NS0_16reverse_iteratorISI_EEEEENSH_IJSG_SG_SG_EEES9_SI_JZNS1_25segmented_radix_sort_implINS0_14default_configELb1EPKfPfPKlPlN2at6native12_GLOBAL__N_18offset_tEEE10hipError_tPvRmT1_PNSt15iterator_traitsIS12_E10value_typeET2_T3_PNS13_IS18_E10value_typeET4_jRbjT5_S1E_jjP12ihipStream_tbEUljE_ZNSN_ISO_Lb1ESQ_SR_ST_SU_SY_EESZ_S10_S11_S12_S16_S17_S18_S1B_S1C_jS1D_jS1E_S1E_jjS1G_bEUljE0_EEESZ_S10_S11_S18_S1C_S1E_T6_T7_T9_mT8_S1G_bDpT10_ENKUlT_T0_E_clISt17integral_constantIbLb0EES1T_IbLb1EEEEDaS1P_S1Q_EUlS1P_E_NS1_11comp_targetILNS1_3genE0ELNS1_11target_archE4294967295ELNS1_3gpuE0ELNS1_3repE0EEENS1_30default_config_static_selectorELNS0_4arch9wavefront6targetE0EEEvS12_: ; @_ZN7rocprim17ROCPRIM_400000_NS6detail17trampoline_kernelINS0_13select_configILj256ELj13ELNS0_17block_load_methodE3ELS4_3ELS4_3ELNS0_20block_scan_algorithmE0ELj4294967295EEENS1_25partition_config_selectorILNS1_17partition_subalgoE4EjNS0_10empty_typeEbEEZZNS1_14partition_implILS8_4ELb0ES6_15HIP_vector_typeIjLj2EENS0_17counting_iteratorIjlEEPS9_SG_NS0_5tupleIJPjSI_NS0_16reverse_iteratorISI_EEEEENSH_IJSG_SG_SG_EEES9_SI_JZNS1_25segmented_radix_sort_implINS0_14default_configELb1EPKfPfPKlPlN2at6native12_GLOBAL__N_18offset_tEEE10hipError_tPvRmT1_PNSt15iterator_traitsIS12_E10value_typeET2_T3_PNS13_IS18_E10value_typeET4_jRbjT5_S1E_jjP12ihipStream_tbEUljE_ZNSN_ISO_Lb1ESQ_SR_ST_SU_SY_EESZ_S10_S11_S12_S16_S17_S18_S1B_S1C_jS1D_jS1E_S1E_jjS1G_bEUljE0_EEESZ_S10_S11_S18_S1C_S1E_T6_T7_T9_mT8_S1G_bDpT10_ENKUlT_T0_E_clISt17integral_constantIbLb0EES1T_IbLb1EEEEDaS1P_S1Q_EUlS1P_E_NS1_11comp_targetILNS1_3genE0ELNS1_11target_archE4294967295ELNS1_3gpuE0ELNS1_3repE0EEENS1_30default_config_static_selectorELNS0_4arch9wavefront6targetE0EEEvS12_
; %bb.0:
	s_clause 0x7
	s_load_b64 s[34:35], s[0:1], 0x10
	s_load_b128 s[28:31], s[0:1], 0x28
	s_load_b64 s[14:15], s[0:1], 0x38
	s_load_b128 s[24:27], s[0:1], 0x58
	s_load_b64 s[4:5], s[0:1], 0x68
	s_load_b64 s[36:37], s[0:1], 0x78
	s_load_b64 s[38:39], s[0:1], 0xb0
	s_load_b256 s[16:23], s[0:1], 0x90
	v_cmp_eq_u32_e64 s2, 0, v0
	s_and_saveexec_b32 s3, s2
	s_cbranch_execz .LBB1279_4
; %bb.1:
	s_mov_b32 s7, exec_lo
	s_mov_b32 s6, exec_lo
	v_mbcnt_lo_u32_b32 v1, s7, 0
                                        ; implicit-def: $vgpr2
	s_delay_alu instid0(VALU_DEP_1)
	v_cmpx_eq_u32_e32 0, v1
	s_cbranch_execz .LBB1279_3
; %bb.2:
	s_load_b64 s[8:9], s[0:1], 0x88
	s_bcnt1_i32_b32 s7, s7
	s_delay_alu instid0(SALU_CYCLE_1)
	v_dual_mov_b32 v2, 0 :: v_dual_mov_b32 v3, s7
	s_wait_xcnt 0x0
	s_wait_kmcnt 0x0
	global_atomic_add_u32 v2, v2, v3, s[8:9] th:TH_ATOMIC_RETURN scope:SCOPE_DEV
.LBB1279_3:
	s_wait_xcnt 0x0
	s_or_b32 exec_lo, exec_lo, s6
	s_wait_loadcnt 0x0
	v_readfirstlane_b32 s6, v2
	s_delay_alu instid0(VALU_DEP_1)
	v_dual_mov_b32 v2, 0 :: v_dual_add_nc_u32 v1, s6, v1
	ds_store_b32 v2, v1
.LBB1279_4:
	s_or_b32 exec_lo, exec_lo, s3
	v_mov_b32_e32 v1, 0
	s_clause 0x1
	s_load_b32 s3, s[0:1], 0x8
	s_load_b32 s6, s[0:1], 0x80
	s_wait_dscnt 0x0
	s_barrier_signal -1
	s_barrier_wait -1
	ds_load_b32 v6, v1
	s_wait_dscnt 0x0
	s_barrier_signal -1
	s_barrier_wait -1
	s_wait_kmcnt 0x0
	global_load_b128 v[2:5], v1, s[26:27]
	s_mov_b32 s1, 0
	s_add_co_i32 s3, s3, s34
	s_mul_i32 s0, s6, 0xd00
	s_add_co_i32 s6, s6, -1
	s_add_nc_u64 s[8:9], s[34:35], s[0:1]
	s_delay_alu instid0(SALU_CYCLE_1)
	v_cmp_gt_u64_e64 s1, s[4:5], s[8:9]
	v_mul_lo_u32 v14, 0xd00, v6
	s_wait_xcnt 0x0
	v_readfirstlane_b32 s27, v6
	v_cmp_ne_u32_e32 vcc_lo, s6, v6
	s_cmp_eq_u32 s27, s6
	s_cselect_b32 s26, -1, 0
	s_or_b32 s1, s1, vcc_lo
	v_add3_u32 v1, v14, s3, v0
	s_and_b32 vcc_lo, exec_lo, s1
	s_mov_b32 s3, -1
	s_delay_alu instid0(VALU_DEP_1)
	v_add_nc_u32_e32 v6, 0x100, v1
	v_add_nc_u32_e32 v7, 0x200, v1
	;; [unrolled: 1-line block ×12, first 2 shown]
	s_cbranch_vccz .LBB1279_6
; %bb.5:
	v_lshlrev_b32_e32 v19, 2, v0
	s_mov_b32 s3, 0
	ds_store_2addr_stride64_b32 v19, v1, v6 offset1:4
	ds_store_2addr_stride64_b32 v19, v7, v8 offset0:8 offset1:12
	ds_store_2addr_stride64_b32 v19, v9, v10 offset0:16 offset1:20
	;; [unrolled: 1-line block ×5, first 2 shown]
	ds_store_b32 v19, v18 offset:12288
	s_wait_loadcnt_dscnt 0x0
	s_barrier_signal -1
	s_barrier_wait -1
.LBB1279_6:
	s_and_not1_b32 vcc_lo, exec_lo, s3
	s_add_co_i32 s0, s0, s34
	s_cbranch_vccnz .LBB1279_8
; %bb.7:
	v_lshlrev_b32_e32 v19, 2, v0
	ds_store_2addr_stride64_b32 v19, v1, v6 offset1:4
	ds_store_2addr_stride64_b32 v19, v7, v8 offset0:8 offset1:12
	ds_store_2addr_stride64_b32 v19, v9, v10 offset0:16 offset1:20
	;; [unrolled: 1-line block ×5, first 2 shown]
	ds_store_b32 v19, v18 offset:12288
	s_wait_loadcnt_dscnt 0x0
	s_barrier_signal -1
	s_barrier_wait -1
.LBB1279_8:
	v_mul_u32_u24_e32 v15, 13, v0
	s_wait_loadcnt 0x0
	v_cndmask_b32_e64 v35, 0, 1, s1
	s_sub_co_i32 s33, s4, s0
	s_and_not1_b32 vcc_lo, exec_lo, s1
	v_lshlrev_b32_e32 v1, 2, v15
	ds_load_b32 v34, v1 offset:48
	ds_load_2addr_b32 v[16:17], v1 offset0:10 offset1:11
	ds_load_2addr_b32 v[18:19], v1 offset0:8 offset1:9
	;; [unrolled: 1-line block ×4, first 2 shown]
	ds_load_2addr_b32 v[26:27], v1 offset1:1
	ds_load_2addr_b32 v[24:25], v1 offset0:2 offset1:3
	s_wait_dscnt 0x0
	s_barrier_signal -1
	s_barrier_wait -1
	s_cbranch_vccnz .LBB1279_36
; %bb.9:
	v_dual_add_nc_u32 v1, s17, v26 :: v_dual_add_nc_u32 v6, s19, v26
	s_mov_b32 s41, 0
	s_mov_b32 s40, 0
	s_mov_b32 s1, exec_lo
	s_delay_alu instid0(VALU_DEP_1) | instskip(SKIP_1) | instid1(VALU_DEP_1)
	v_mul_lo_u32 v1, v1, s16
	v_mul_lo_u32 v6, v6, s18
	v_sub_nc_u32_e32 v1, v1, v6
	s_delay_alu instid0(VALU_DEP_1)
	v_cmp_lt_u32_e32 vcc_lo, s20, v1
	v_cmpx_ge_u32_e64 s20, v1
	s_cbranch_execz .LBB1279_11
; %bb.10:
	v_dual_add_nc_u32 v1, s22, v26 :: v_dual_add_nc_u32 v6, s38, v26
	s_delay_alu instid0(VALU_DEP_1) | instskip(NEXT) | instid1(VALU_DEP_2)
	v_mul_lo_u32 v1, v1, s21
	v_mul_lo_u32 v6, v6, s23
	s_delay_alu instid0(VALU_DEP_1) | instskip(NEXT) | instid1(VALU_DEP_1)
	v_sub_nc_u32_e32 v1, v1, v6
	v_cmp_lt_u32_e64 s0, s39, v1
	s_and_b32 s40, s0, exec_lo
.LBB1279_11:
	s_or_b32 exec_lo, exec_lo, s1
	v_dual_add_nc_u32 v1, s17, v27 :: v_dual_add_nc_u32 v6, s19, v27
	s_mov_b32 s3, exec_lo
	s_delay_alu instid0(VALU_DEP_1) | instskip(NEXT) | instid1(VALU_DEP_2)
	v_mul_lo_u32 v1, v1, s16
	v_mul_lo_u32 v6, v6, s18
	s_delay_alu instid0(VALU_DEP_1) | instskip(NEXT) | instid1(VALU_DEP_1)
	v_sub_nc_u32_e32 v1, v1, v6
	v_cmp_lt_u32_e64 s0, s20, v1
	v_cmpx_ge_u32_e64 s20, v1
	s_cbranch_execz .LBB1279_13
; %bb.12:
	v_dual_add_nc_u32 v1, s22, v27 :: v_dual_add_nc_u32 v6, s38, v27
	s_delay_alu instid0(VALU_DEP_1) | instskip(NEXT) | instid1(VALU_DEP_2)
	v_mul_lo_u32 v1, v1, s21
	v_mul_lo_u32 v6, v6, s23
	s_delay_alu instid0(VALU_DEP_1) | instskip(NEXT) | instid1(VALU_DEP_1)
	v_sub_nc_u32_e32 v1, v1, v6
	v_cmp_lt_u32_e64 s1, s39, v1
	s_and_b32 s41, s1, exec_lo
.LBB1279_13:
	s_or_b32 exec_lo, exec_lo, s3
	v_dual_add_nc_u32 v1, s17, v24 :: v_dual_add_nc_u32 v6, s19, v24
	s_mov_b32 s43, 0
	s_mov_b32 s42, 0
	s_mov_b32 s4, exec_lo
	s_delay_alu instid0(VALU_DEP_1) | instskip(SKIP_1) | instid1(VALU_DEP_1)
	v_mul_lo_u32 v1, v1, s16
	v_mul_lo_u32 v6, v6, s18
	v_sub_nc_u32_e32 v1, v1, v6
	s_delay_alu instid0(VALU_DEP_1)
	v_cmp_lt_u32_e64 s1, s20, v1
	v_cmpx_ge_u32_e64 s20, v1
	s_cbranch_execz .LBB1279_15
; %bb.14:
	v_dual_add_nc_u32 v1, s22, v24 :: v_dual_add_nc_u32 v6, s38, v24
	s_delay_alu instid0(VALU_DEP_1) | instskip(NEXT) | instid1(VALU_DEP_2)
	v_mul_lo_u32 v1, v1, s21
	v_mul_lo_u32 v6, v6, s23
	s_delay_alu instid0(VALU_DEP_1) | instskip(NEXT) | instid1(VALU_DEP_1)
	v_sub_nc_u32_e32 v1, v1, v6
	v_cmp_lt_u32_e64 s3, s39, v1
	s_and_b32 s42, s3, exec_lo
.LBB1279_15:
	s_or_b32 exec_lo, exec_lo, s4
	v_dual_add_nc_u32 v1, s17, v25 :: v_dual_add_nc_u32 v6, s19, v25
	s_mov_b32 s5, exec_lo
	s_delay_alu instid0(VALU_DEP_1) | instskip(NEXT) | instid1(VALU_DEP_2)
	v_mul_lo_u32 v1, v1, s16
	v_mul_lo_u32 v6, v6, s18
	s_delay_alu instid0(VALU_DEP_1) | instskip(NEXT) | instid1(VALU_DEP_1)
	v_sub_nc_u32_e32 v1, v1, v6
	v_cmp_lt_u32_e64 s3, s20, v1
	v_cmpx_ge_u32_e64 s20, v1
	s_cbranch_execz .LBB1279_17
; %bb.16:
	v_dual_add_nc_u32 v1, s22, v25 :: v_dual_add_nc_u32 v6, s38, v25
	s_delay_alu instid0(VALU_DEP_1) | instskip(NEXT) | instid1(VALU_DEP_2)
	v_mul_lo_u32 v1, v1, s21
	v_mul_lo_u32 v6, v6, s23
	s_delay_alu instid0(VALU_DEP_1) | instskip(NEXT) | instid1(VALU_DEP_1)
	v_sub_nc_u32_e32 v1, v1, v6
	v_cmp_lt_u32_e64 s4, s39, v1
	s_and_b32 s43, s4, exec_lo
.LBB1279_17:
	s_or_b32 exec_lo, exec_lo, s5
	v_dual_add_nc_u32 v1, s17, v22 :: v_dual_add_nc_u32 v6, s19, v22
	s_mov_b32 s45, 0
	s_mov_b32 s44, 0
	s_mov_b32 s6, exec_lo
	s_delay_alu instid0(VALU_DEP_1) | instskip(SKIP_1) | instid1(VALU_DEP_1)
	v_mul_lo_u32 v1, v1, s16
	v_mul_lo_u32 v6, v6, s18
	v_sub_nc_u32_e32 v1, v1, v6
	s_delay_alu instid0(VALU_DEP_1)
	v_cmp_lt_u32_e64 s4, s20, v1
	;; [unrolled: 44-line block ×6, first 2 shown]
	v_cmpx_ge_u32_e64 s20, v1
	s_cbranch_execz .LBB1279_35
; %bb.34:
	v_dual_add_nc_u32 v1, s22, v34 :: v_dual_add_nc_u32 v6, s38, v34
	s_delay_alu instid0(VALU_DEP_1) | instskip(NEXT) | instid1(VALU_DEP_2)
	v_mul_lo_u32 v1, v1, s21
	v_mul_lo_u32 v6, v6, s23
	s_delay_alu instid0(VALU_DEP_1) | instskip(NEXT) | instid1(VALU_DEP_1)
	v_sub_nc_u32_e32 v1, v1, v6
	v_cmp_lt_u32_e64 s13, s39, v1
	s_and_b32 s53, s13, exec_lo
.LBB1279_35:
	s_or_b32 exec_lo, exec_lo, s54
	v_cndmask_b32_e64 v6, 0, 1, s0
	v_cndmask_b32_e64 v8, 0, 1, s3
	v_cndmask_b32_e64 v1, 0, 1, vcc_lo
	v_cndmask_b32_e64 v7, 0, 1, s1
	v_cndmask_b32_e64 v10, 0, 1, s5
	v_lshlrev_b16 v6, 8, v6
	v_lshlrev_b16 v8, 8, v8
	v_cndmask_b32_e64 v12, 0, 1, s7
	v_cndmask_b32_e64 v28, 0, 1, s9
	;; [unrolled: 1-line block ×3, first 2 shown]
	v_or_b32_e32 v1, v1, v6
	v_or_b32_e32 v6, v7, v8
	v_cndmask_b32_e64 v8, 0, 1, s42
	v_cndmask_b32_e64 v9, 0, 1, s4
	;; [unrolled: 1-line block ×4, first 2 shown]
	v_lshlrev_b32_e32 v6, 16, v6
	v_and_b32_e32 v1, 0xffff, v1
	v_cndmask_b32_e64 v38, 0, 1, s46
	v_cndmask_b32_e64 v41, 0, 1, s44
	;; [unrolled: 1-line block ×4, first 2 shown]
	v_or_b32_e32 v36, v1, v6
	v_lshlrev_b16 v1, 8, v10
	v_lshlrev_b16 v6, 8, v12
	;; [unrolled: 1-line block ×5, first 2 shown]
	v_cndmask_b32_e64 v11, 0, 1, s6
	v_cndmask_b32_e64 v30, 0, 1, s52
	;; [unrolled: 1-line block ×6, first 2 shown]
	v_lshlrev_b16 v28, 8, v44
	v_or_b32_e32 v8, v42, v8
	v_or_b32_e32 v1, v9, v1
	;; [unrolled: 1-line block ×4, first 2 shown]
	v_lshlrev_b16 v12, 8, v41
	v_lshlrev_b16 v13, 8, v38
	v_cndmask_b32_e64 v32, 0, 1, s50
	v_cndmask_b32_e64 v37, 0, 1, s47
	v_lshlrev_b16 v29, 8, v30
	v_or_b32_e32 v7, v7, v12
	v_or_b32_e32 v12, v40, v13
	;; [unrolled: 1-line block ×4, first 2 shown]
	v_lshlrev_b16 v28, 8, v33
	v_dual_lshlrev_b32 v10, 16, v10 :: v_dual_lshlrev_b32 v8, 16, v8
	v_and_b32_e32 v1, 0xffff, v1
	s_delay_alu instid0(VALU_DEP_4) | instskip(NEXT) | instid1(VALU_DEP_4)
	v_and_b32_e32 v11, 0xffff, v11
	v_or_b32_e32 v13, v37, v28
	v_or_b32_e32 v28, v32, v29
	v_and_b32_e32 v7, 0xffff, v7
	v_dual_lshlrev_b32 v12, 16, v12 :: v_dual_lshlrev_b32 v6, 16, v6
	s_delay_alu instid0(VALU_DEP_4) | instskip(NEXT) | instid1(VALU_DEP_4)
	v_and_b32_e32 v13, 0xffff, v13
	v_lshlrev_b32_e32 v28, 16, v28
	v_and_b32_e32 v9, 0xffff, v9
	v_cndmask_b32_e64 v39, 0, 1, s51
	v_cndmask_b32_e64 v43, 0, 1, s53
	v_or_b32_e32 v38, v1, v6
	v_or_b32_e32 v42, v11, v8
	;; [unrolled: 1-line block ×5, first 2 shown]
	s_and_b32 vcc_lo, exec_lo, s48
	s_add_co_i32 s5, s33, 0xd00
	s_cbranch_vccnz .LBB1279_37
	s_branch .LBB1279_114
.LBB1279_36:
                                        ; implicit-def: $vgpr43
                                        ; implicit-def: $vgpr39
                                        ; implicit-def: $vgpr40
                                        ; implicit-def: $vgpr37
                                        ; implicit-def: $vgpr42
                                        ; implicit-def: $vgpr41
                                        ; implicit-def: $vgpr38
                                        ; implicit-def: $vgpr36
	s_add_co_i32 s5, s33, 0xd00
	s_cbranch_execz .LBB1279_114
.LBB1279_37:
	v_dual_mov_b32 v6, 0 :: v_dual_mov_b32 v1, 0
	s_mov_b32 s1, exec_lo
	v_cmpx_gt_u32_e64 s5, v15
	s_cbranch_execz .LBB1279_41
; %bb.38:
	v_dual_add_nc_u32 v1, s17, v26 :: v_dual_add_nc_u32 v6, s19, v26
	s_mov_b32 s4, 0
	s_mov_b32 s3, exec_lo
	s_delay_alu instid0(VALU_DEP_1) | instskip(NEXT) | instid1(VALU_DEP_2)
	v_mul_lo_u32 v1, v1, s16
	v_mul_lo_u32 v6, v6, s18
	s_delay_alu instid0(VALU_DEP_1) | instskip(NEXT) | instid1(VALU_DEP_1)
	v_sub_nc_u32_e32 v1, v1, v6
	v_cmp_lt_u32_e32 vcc_lo, s20, v1
	v_cmpx_ge_u32_e64 s20, v1
	s_cbranch_execz .LBB1279_40
; %bb.39:
	v_dual_add_nc_u32 v1, s22, v26 :: v_dual_add_nc_u32 v6, s38, v26
	s_delay_alu instid0(VALU_DEP_1) | instskip(NEXT) | instid1(VALU_DEP_2)
	v_mul_lo_u32 v1, v1, s21
	v_mul_lo_u32 v6, v6, s23
	s_delay_alu instid0(VALU_DEP_1) | instskip(NEXT) | instid1(VALU_DEP_1)
	v_sub_nc_u32_e32 v1, v1, v6
	v_cmp_lt_u32_e64 s0, s39, v1
	s_and_b32 s4, s0, exec_lo
.LBB1279_40:
	s_or_b32 exec_lo, exec_lo, s3
	v_cndmask_b32_e64 v6, 0, 1, s4
	v_cndmask_b32_e64 v1, 0, 1, vcc_lo
.LBB1279_41:
	s_or_b32 exec_lo, exec_lo, s1
	s_delay_alu instid0(VALU_DEP_2) | instskip(SKIP_1) | instid1(VALU_DEP_2)
	v_lshlrev_b16 v6, 8, v6
	v_lshlrev_b16 v13, 8, 0
                                        ; implicit-def: $vgpr9
                                        ; implicit-def: $vgpr11
                                        ; implicit-def: $vgpr8
                                        ; implicit-def: $vgpr12
	v_and_b32_e32 v10, 0xffff, v6
	v_add_nc_u32_e32 v7, 1, v15
                                        ; implicit-def: $vgpr6
	s_delay_alu instid0(VALU_DEP_2) | instskip(NEXT) | instid1(VALU_DEP_2)
	v_lshrrev_b32_e32 v28, 8, v10
	v_cmp_le_u32_e32 vcc_lo, s5, v7
                                        ; implicit-def: $vgpr7
	s_and_saveexec_b32 s0, vcc_lo
	s_delay_alu instid0(SALU_CYCLE_1)
	s_xor_b32 s0, exec_lo, s0
	s_cbranch_execz .LBB1279_43
; %bb.42:
	v_lshlrev_b16 v6, 8, v28
	v_bitop3_b16 v7, 0, v13, 0xff bitop3:0xec
	v_and_b32_e32 v12, 0xff, v1
                                        ; implicit-def: $vgpr1
                                        ; implicit-def: $vgpr13
                                        ; implicit-def: $vgpr28
	v_mov_b32_e32 v9, 0
	s_delay_alu instid0(VALU_DEP_4) | instskip(SKIP_3) | instid1(VALU_DEP_4)
	v_bitop3_b16 v10, v10, v6, 0xff bitop3:0xec
	v_mov_b32_e32 v6, 0
	v_and_b32_e32 v8, 0xffff, v7
	v_and_b32_e32 v7, 0xffff, v7
	;; [unrolled: 1-line block ×3, first 2 shown]
                                        ; implicit-def: $vgpr10
.LBB1279_43:
	s_and_not1_saveexec_b32 s1, s0
	s_cbranch_execz .LBB1279_47
; %bb.44:
	v_dual_add_nc_u32 v6, s17, v27 :: v_dual_add_nc_u32 v7, s19, v27
	s_mov_b32 s3, 0
	s_mov_b32 s4, exec_lo
	s_delay_alu instid0(VALU_DEP_1) | instskip(NEXT) | instid1(VALU_DEP_2)
	v_mul_lo_u32 v6, v6, s16
	v_mul_lo_u32 v7, v7, s18
	s_delay_alu instid0(VALU_DEP_1) | instskip(NEXT) | instid1(VALU_DEP_1)
	v_sub_nc_u32_e32 v6, v6, v7
	v_cmp_lt_u32_e32 vcc_lo, s20, v6
	v_cmpx_ge_u32_e64 s20, v6
	s_cbranch_execz .LBB1279_46
; %bb.45:
	v_dual_add_nc_u32 v6, s22, v27 :: v_dual_add_nc_u32 v7, s38, v27
	s_delay_alu instid0(VALU_DEP_1) | instskip(NEXT) | instid1(VALU_DEP_2)
	v_mul_lo_u32 v6, v6, s21
	v_mul_lo_u32 v7, v7, s23
	s_delay_alu instid0(VALU_DEP_1) | instskip(NEXT) | instid1(VALU_DEP_1)
	v_sub_nc_u32_e32 v6, v6, v7
	v_cmp_lt_u32_e64 s0, s39, v6
	s_and_b32 s3, s0, exec_lo
.LBB1279_46:
	s_or_b32 exec_lo, exec_lo, s4
	v_cndmask_b32_e64 v6, 0, 1, vcc_lo
	v_lshlrev_b16 v7, 8, v28
	v_cndmask_b32_e64 v11, 0, 1, s3
	v_mov_b32_e32 v9, 0
	s_delay_alu instid0(VALU_DEP_4) | instskip(NEXT) | instid1(VALU_DEP_4)
	v_lshlrev_b16 v6, 8, v6
	v_bitop3_b16 v7, v10, v7, 0xff bitop3:0xec
	v_bitop3_b16 v10, 0, v13, 0xff bitop3:0xec
	s_delay_alu instid0(VALU_DEP_3) | instskip(NEXT) | instid1(VALU_DEP_3)
	v_bitop3_b16 v1, v1, v6, 0xff bitop3:0xec
	v_and_b32_e32 v7, 0xffff, v7
	v_mov_b32_e32 v6, 0
	s_delay_alu instid0(VALU_DEP_4) | instskip(NEXT) | instid1(VALU_DEP_4)
	v_and_b32_e32 v8, 0xffff, v10
	v_and_b32_e32 v12, 0xffff, v1
	s_delay_alu instid0(VALU_DEP_4)
	v_lshl_or_b32 v11, v11, 16, v7
	v_and_b32_e32 v7, 0xffff, v10
.LBB1279_47:
	s_or_b32 exec_lo, exec_lo, s1
	s_delay_alu instid0(VALU_DEP_3) | instskip(NEXT) | instid1(VALU_DEP_1)
	v_dual_add_nc_u32 v1, 2, v15 :: v_dual_lshrrev_b32 v13, 8, v12
                                        ; implicit-def: $vgpr10
	v_cmp_le_u32_e32 vcc_lo, s5, v1
                                        ; implicit-def: $vgpr1
	s_and_saveexec_b32 s0, vcc_lo
	s_delay_alu instid0(SALU_CYCLE_1)
	s_xor_b32 s0, exec_lo, s0
	s_cbranch_execz .LBB1279_49
; %bb.48:
	v_lshlrev_b16 v1, 8, v13
	v_and_b32_e32 v13, 0xff0000, v11
	v_perm_b32 v8, v8, v8, 0x3060504
	s_delay_alu instid0(VALU_DEP_3) | instskip(NEXT) | instid1(VALU_DEP_1)
	v_bitop3_b16 v1, v12, v1, 0xff bitop3:0xec
	v_and_b32_e32 v1, 0xffff, v1
	s_delay_alu instid0(VALU_DEP_1)
	v_and_or_b32 v10, 0xff000000, v12, v1
	v_perm_b32 v1, v11, v13, 0x3020504
                                        ; implicit-def: $vgpr13
                                        ; implicit-def: $vgpr12
                                        ; implicit-def: $vgpr11
.LBB1279_49:
	s_and_not1_saveexec_b32 s1, s0
	s_cbranch_execz .LBB1279_53
; %bb.50:
	v_dual_add_nc_u32 v1, s17, v24 :: v_dual_add_nc_u32 v10, s19, v24
	s_mov_b32 s3, 0
	s_mov_b32 s4, exec_lo
	s_delay_alu instid0(VALU_DEP_1) | instskip(NEXT) | instid1(VALU_DEP_2)
	v_mul_lo_u32 v1, v1, s16
	v_mul_lo_u32 v10, v10, s18
	s_delay_alu instid0(VALU_DEP_1) | instskip(NEXT) | instid1(VALU_DEP_1)
	v_sub_nc_u32_e32 v1, v1, v10
	v_cmp_lt_u32_e32 vcc_lo, s20, v1
	v_cmpx_ge_u32_e64 s20, v1
	s_cbranch_execz .LBB1279_52
; %bb.51:
	v_dual_add_nc_u32 v1, s22, v24 :: v_dual_add_nc_u32 v10, s38, v24
	s_delay_alu instid0(VALU_DEP_1) | instskip(NEXT) | instid1(VALU_DEP_2)
	v_mul_lo_u32 v1, v1, s21
	v_mul_lo_u32 v10, v10, s23
	s_delay_alu instid0(VALU_DEP_1) | instskip(NEXT) | instid1(VALU_DEP_1)
	v_sub_nc_u32_e32 v1, v1, v10
	v_cmp_lt_u32_e64 s0, s39, v1
	s_and_b32 s3, s0, exec_lo
.LBB1279_52:
	s_or_b32 exec_lo, exec_lo, s4
	v_dual_lshrrev_b32 v1, 24, v12 :: v_dual_lshrrev_b32 v29, 8, v11
	v_cndmask_b32_e64 v10, 0, 1, s3
	v_cndmask_b32_e64 v28, 0, 1, vcc_lo
	v_lshlrev_b16 v13, 8, v13
	s_delay_alu instid0(VALU_DEP_4)
	v_lshlrev_b16 v1, 8, v1
	v_lshrrev_b32_e32 v30, 16, v11
	v_lshlrev_b16 v10, 8, v10
	v_lshlrev_b16 v29, 8, v29
	v_bitop3_b16 v12, v12, v13, 0xff bitop3:0xec
	v_or_b32_e32 v1, v28, v1
	s_delay_alu instid0(VALU_DEP_4) | instskip(NEXT) | instid1(VALU_DEP_4)
	v_bitop3_b16 v10, v30, v10, 0xff bitop3:0xec
	v_bitop3_b16 v11, v11, v29, 0xff bitop3:0xec
	s_delay_alu instid0(VALU_DEP_4) | instskip(NEXT) | instid1(VALU_DEP_3)
	v_and_b32_e32 v12, 0xffff, v12
	v_dual_lshlrev_b32 v1, 16, v1 :: v_dual_lshlrev_b32 v13, 16, v10
	s_delay_alu instid0(VALU_DEP_3) | instskip(NEXT) | instid1(VALU_DEP_2)
	v_and_b32_e32 v11, 0xffff, v11
	v_or_b32_e32 v10, v12, v1
	s_delay_alu instid0(VALU_DEP_2)
	v_or_b32_e32 v1, v11, v13
.LBB1279_53:
	s_or_b32 exec_lo, exec_lo, s1
	v_dual_add_nc_u32 v12, 3, v15 :: v_dual_lshrrev_b32 v13, 24, v9
	v_lshrrev_b32_e32 v11, 16, v9
                                        ; implicit-def: $vgpr36
	s_delay_alu instid0(VALU_DEP_2) | instskip(SKIP_2) | instid1(SALU_CYCLE_1)
	v_cmp_le_u32_e32 vcc_lo, s5, v12
	v_lshrrev_b32_e32 v12, 8, v9
                                        ; implicit-def: $vgpr9
	s_and_saveexec_b32 s0, vcc_lo
	s_xor_b32 s0, exec_lo, s0
	s_cbranch_execz .LBB1279_55
; %bb.54:
	v_lshlrev_b16 v9, 8, v13
	v_lshlrev_b16 v12, 8, v12
	v_perm_b32 v8, v8, v8, 0x3060504
	v_perm_b32 v7, v7, v7, 0x3060504
                                        ; implicit-def: $vgpr13
	s_delay_alu instid0(VALU_DEP_4) | instskip(SKIP_2) | instid1(VALU_DEP_3)
	v_bitop3_b16 v9, v11, v9, 0xff bitop3:0xec
	v_and_b32_e32 v11, 0xff0000, v10
	v_and_b32_e32 v12, 0xffff, v12
	v_lshlrev_b32_e32 v9, 16, v9
	s_delay_alu instid0(VALU_DEP_3) | instskip(NEXT) | instid1(VALU_DEP_2)
	v_perm_b32 v36, v10, v11, 0x3020504
                                        ; implicit-def: $vgpr10
                                        ; implicit-def: $vgpr11
	v_or_b32_e32 v9, v12, v9
                                        ; implicit-def: $vgpr12
.LBB1279_55:
	s_and_not1_saveexec_b32 s1, s0
	s_cbranch_execz .LBB1279_59
; %bb.56:
	v_dual_add_nc_u32 v9, s17, v25 :: v_dual_add_nc_u32 v28, s19, v25
	s_mov_b32 s3, 0
	s_mov_b32 s4, exec_lo
	s_delay_alu instid0(VALU_DEP_1) | instskip(NEXT) | instid1(VALU_DEP_2)
	v_mul_lo_u32 v9, v9, s16
	v_mul_lo_u32 v28, v28, s18
	s_delay_alu instid0(VALU_DEP_1) | instskip(NEXT) | instid1(VALU_DEP_1)
	v_sub_nc_u32_e32 v9, v9, v28
	v_cmp_lt_u32_e32 vcc_lo, s20, v9
	v_cmpx_ge_u32_e64 s20, v9
	s_cbranch_execz .LBB1279_58
; %bb.57:
	v_dual_add_nc_u32 v9, s22, v25 :: v_dual_add_nc_u32 v28, s38, v25
	s_delay_alu instid0(VALU_DEP_1) | instskip(NEXT) | instid1(VALU_DEP_2)
	v_mul_lo_u32 v9, v9, s21
	v_mul_lo_u32 v28, v28, s23
	s_delay_alu instid0(VALU_DEP_1) | instskip(NEXT) | instid1(VALU_DEP_1)
	v_sub_nc_u32_e32 v9, v9, v28
	v_cmp_lt_u32_e64 s0, s39, v9
	s_and_b32 s3, s0, exec_lo
.LBB1279_58:
	s_or_b32 exec_lo, exec_lo, s4
	v_cndmask_b32_e64 v9, 0, 1, vcc_lo
	v_dual_lshrrev_b32 v28, 8, v10 :: v_dual_lshrrev_b32 v30, 16, v10
	v_cndmask_b32_e64 v29, 0, 1, s3
	v_lshlrev_b16 v13, 8, v13
	s_delay_alu instid0(VALU_DEP_4) | instskip(NEXT) | instid1(VALU_DEP_4)
	v_lshlrev_b16 v9, 8, v9
	v_lshlrev_b16 v28, 8, v28
	;; [unrolled: 1-line block ×3, first 2 shown]
	s_delay_alu instid0(VALU_DEP_4) | instskip(NEXT) | instid1(VALU_DEP_4)
	v_bitop3_b16 v11, v11, v13, 0xff bitop3:0xec
	v_bitop3_b16 v9, v30, v9, 0xff bitop3:0xec
	s_delay_alu instid0(VALU_DEP_4) | instskip(NEXT) | instid1(VALU_DEP_3)
	v_bitop3_b16 v10, v10, v28, 0xff bitop3:0xec
	v_dual_lshlrev_b32 v11, 16, v11 :: v_dual_bitop2_b32 v12, v29, v12 bitop3:0x54
	s_delay_alu instid0(VALU_DEP_3) | instskip(NEXT) | instid1(VALU_DEP_3)
	v_lshlrev_b32_e32 v9, 16, v9
	v_and_b32_e32 v10, 0xffff, v10
	s_delay_alu instid0(VALU_DEP_3) | instskip(NEXT) | instid1(VALU_DEP_2)
	v_and_b32_e32 v12, 0xffff, v12
	v_or_b32_e32 v36, v10, v9
	s_delay_alu instid0(VALU_DEP_2)
	v_or_b32_e32 v9, v12, v11
.LBB1279_59:
	s_or_b32 exec_lo, exec_lo, s1
	v_dual_add_nc_u32 v10, 4, v15 :: v_dual_lshrrev_b32 v28, 8, v8
	v_dual_lshrrev_b32 v11, 16, v8 :: v_dual_lshrrev_b32 v29, 24, v8
	s_delay_alu instid0(VALU_DEP_3) | instskip(NEXT) | instid1(VALU_DEP_3)
	v_dual_lshrrev_b32 v13, 24, v9 :: v_dual_lshrrev_b32 v12, 16, v9
	v_cmp_le_u32_e32 vcc_lo, s5, v10
                                        ; implicit-def: $vgpr8
                                        ; implicit-def: $vgpr10
	s_and_saveexec_b32 s0, vcc_lo
	s_delay_alu instid0(SALU_CYCLE_1)
	s_xor_b32 s0, exec_lo, s0
	s_cbranch_execz .LBB1279_61
; %bb.60:
	v_lshlrev_b16 v8, 8, v29
	v_lshlrev_b16 v10, 8, v28
	;; [unrolled: 1-line block ×3, first 2 shown]
	v_perm_b32 v7, v7, v7, 0x3060504
                                        ; implicit-def: $vgpr28
                                        ; implicit-def: $vgpr29
	s_delay_alu instid0(VALU_DEP_4) | instskip(NEXT) | instid1(VALU_DEP_4)
	v_bitop3_b16 v8, v11, v8, 0xff bitop3:0xec
	v_and_b32_e32 v10, 0xffff, v10
	s_delay_alu instid0(VALU_DEP_4) | instskip(NEXT) | instid1(VALU_DEP_3)
	v_bitop3_b16 v11, v12, v13, 0xff bitop3:0xec
                                        ; implicit-def: $vgpr13
	v_lshlrev_b32_e32 v12, 16, v8
	s_delay_alu instid0(VALU_DEP_2) | instskip(NEXT) | instid1(VALU_DEP_2)
	v_perm_b32 v8, v11, v9, 0x5040c00
                                        ; implicit-def: $vgpr9
                                        ; implicit-def: $vgpr11
	v_or_b32_e32 v10, v10, v12
                                        ; implicit-def: $vgpr12
.LBB1279_61:
	s_and_not1_saveexec_b32 s1, s0
	s_cbranch_execz .LBB1279_65
; %bb.62:
	v_dual_add_nc_u32 v8, s17, v22 :: v_dual_add_nc_u32 v10, s19, v22
	s_mov_b32 s3, 0
	s_mov_b32 s4, exec_lo
	s_delay_alu instid0(VALU_DEP_1) | instskip(NEXT) | instid1(VALU_DEP_2)
	v_mul_lo_u32 v8, v8, s16
	v_mul_lo_u32 v10, v10, s18
	s_delay_alu instid0(VALU_DEP_1) | instskip(NEXT) | instid1(VALU_DEP_1)
	v_sub_nc_u32_e32 v8, v8, v10
	v_cmp_lt_u32_e32 vcc_lo, s20, v8
	v_cmpx_ge_u32_e64 s20, v8
	s_cbranch_execz .LBB1279_64
; %bb.63:
	v_dual_add_nc_u32 v8, s22, v22 :: v_dual_add_nc_u32 v10, s38, v22
	s_delay_alu instid0(VALU_DEP_1) | instskip(NEXT) | instid1(VALU_DEP_2)
	v_mul_lo_u32 v8, v8, s21
	v_mul_lo_u32 v10, v10, s23
	s_delay_alu instid0(VALU_DEP_1) | instskip(NEXT) | instid1(VALU_DEP_1)
	v_sub_nc_u32_e32 v8, v8, v10
	v_cmp_lt_u32_e64 s0, s39, v8
	s_and_b32 s3, s0, exec_lo
.LBB1279_64:
	s_or_b32 exec_lo, exec_lo, s4
	v_cndmask_b32_e64 v8, 0, 1, s3
	v_cndmask_b32_e64 v10, 0, 1, vcc_lo
	v_lshlrev_b16 v29, 8, v29
	v_lshlrev_b16 v28, 8, v28
	;; [unrolled: 1-line block ×4, first 2 shown]
	s_delay_alu instid0(VALU_DEP_4) | instskip(NEXT) | instid1(VALU_DEP_4)
	v_bitop3_b16 v11, v11, v29, 0xff bitop3:0xec
	v_or_b32_e32 v10, v10, v28
	s_delay_alu instid0(VALU_DEP_4) | instskip(NEXT) | instid1(VALU_DEP_4)
	v_bitop3_b16 v12, v12, v13, 0xff bitop3:0xec
	v_bitop3_b16 v8, v9, v8, 0xff bitop3:0xec
	s_delay_alu instid0(VALU_DEP_4) | instskip(NEXT) | instid1(VALU_DEP_4)
	v_lshlrev_b32_e32 v9, 16, v11
	v_and_b32_e32 v10, 0xffff, v10
	s_delay_alu instid0(VALU_DEP_4) | instskip(NEXT) | instid1(VALU_DEP_4)
	v_lshlrev_b32_e32 v11, 16, v12
	v_and_b32_e32 v8, 0xffff, v8
	s_delay_alu instid0(VALU_DEP_3) | instskip(NEXT) | instid1(VALU_DEP_2)
	v_or_b32_e32 v10, v10, v9
	v_or_b32_e32 v8, v8, v11
.LBB1279_65:
	s_or_b32 exec_lo, exec_lo, s1
	s_delay_alu instid0(VALU_DEP_1) | instskip(NEXT) | instid1(VALU_DEP_2)
	v_dual_add_nc_u32 v9, 5, v15 :: v_dual_lshrrev_b32 v12, 16, v10
	v_dual_lshrrev_b32 v13, 24, v10 :: v_dual_lshrrev_b32 v28, 8, v8
                                        ; implicit-def: $vgpr11
	s_delay_alu instid0(VALU_DEP_2) | instskip(SKIP_1) | instid1(SALU_CYCLE_1)
	v_cmp_le_u32_e32 vcc_lo, s5, v9
                                        ; implicit-def: $vgpr9
	s_and_saveexec_b32 s0, vcc_lo
	s_xor_b32 s0, exec_lo, s0
	s_cbranch_execz .LBB1279_67
; %bb.66:
	v_lshlrev_b16 v9, 8, v28
	v_lshlrev_b16 v11, 8, v13
	v_perm_b32 v7, v7, v7, 0x3060504
                                        ; implicit-def: $vgpr13
                                        ; implicit-def: $vgpr28
	s_delay_alu instid0(VALU_DEP_3) | instskip(NEXT) | instid1(VALU_DEP_3)
	v_bitop3_b16 v9, v8, v9, 0xff bitop3:0xec
	v_bitop3_b16 v11, v12, v11, 0xff bitop3:0xec
                                        ; implicit-def: $vgpr12
	s_delay_alu instid0(VALU_DEP_2) | instskip(NEXT) | instid1(VALU_DEP_2)
	v_and_b32_e32 v9, 0xffff, v9
	v_perm_b32 v11, v11, v10, 0x5040c00
                                        ; implicit-def: $vgpr10
	s_delay_alu instid0(VALU_DEP_2)
	v_and_or_b32 v9, 0xff000000, v8, v9
                                        ; implicit-def: $vgpr8
.LBB1279_67:
	s_and_not1_saveexec_b32 s1, s0
	s_cbranch_execz .LBB1279_71
; %bb.68:
	v_dual_add_nc_u32 v9, s17, v23 :: v_dual_add_nc_u32 v11, s19, v23
	s_mov_b32 s3, 0
	s_mov_b32 s4, exec_lo
	s_delay_alu instid0(VALU_DEP_1) | instskip(NEXT) | instid1(VALU_DEP_2)
	v_mul_lo_u32 v9, v9, s16
	v_mul_lo_u32 v11, v11, s18
	s_delay_alu instid0(VALU_DEP_1) | instskip(NEXT) | instid1(VALU_DEP_1)
	v_sub_nc_u32_e32 v9, v9, v11
	v_cmp_lt_u32_e32 vcc_lo, s20, v9
	v_cmpx_ge_u32_e64 s20, v9
	s_cbranch_execz .LBB1279_70
; %bb.69:
	v_dual_add_nc_u32 v9, s22, v23 :: v_dual_add_nc_u32 v11, s38, v23
	s_delay_alu instid0(VALU_DEP_1) | instskip(NEXT) | instid1(VALU_DEP_2)
	v_mul_lo_u32 v9, v9, s21
	v_mul_lo_u32 v11, v11, s23
	s_delay_alu instid0(VALU_DEP_1) | instskip(NEXT) | instid1(VALU_DEP_1)
	v_sub_nc_u32_e32 v9, v9, v11
	v_cmp_lt_u32_e64 s0, s39, v9
	s_and_b32 s3, s0, exec_lo
.LBB1279_70:
	s_or_b32 exec_lo, exec_lo, s4
	v_cndmask_b32_e64 v9, 0, 1, vcc_lo
	v_lshrrev_b32_e32 v11, 24, v8
	v_cndmask_b32_e64 v29, 0, 1, s3
	v_lshlrev_b16 v13, 8, v13
	v_lshlrev_b16 v28, 8, v28
	;; [unrolled: 1-line block ×4, first 2 shown]
	s_delay_alu instid0(VALU_DEP_4) | instskip(NEXT) | instid1(VALU_DEP_4)
	v_bitop3_b16 v12, v12, v13, 0xff bitop3:0xec
	v_bitop3_b16 v8, v8, v28, 0xff bitop3:0xec
	s_delay_alu instid0(VALU_DEP_4) | instskip(NEXT) | instid1(VALU_DEP_3)
	v_bitop3_b16 v9, v10, v9, 0xff bitop3:0xec
	v_dual_lshlrev_b32 v11, 16, v12 :: v_dual_bitop2_b32 v10, v29, v11 bitop3:0x54
	s_delay_alu instid0(VALU_DEP_3) | instskip(NEXT) | instid1(VALU_DEP_3)
	v_and_b32_e32 v8, 0xffff, v8
	v_and_b32_e32 v9, 0xffff, v9
	s_delay_alu instid0(VALU_DEP_1) | instskip(NEXT) | instid1(VALU_DEP_1)
	v_dual_lshlrev_b32 v10, 16, v10 :: v_dual_bitop2_b32 v11, v9, v11 bitop3:0x54
	v_or_b32_e32 v9, v8, v10
.LBB1279_71:
	s_or_b32 exec_lo, exec_lo, s1
	v_add_nc_u32_e32 v8, 6, v15
	s_delay_alu instid0(VALU_DEP_3) | instskip(NEXT) | instid1(VALU_DEP_2)
	v_lshrrev_b32_e32 v10, 8, v11
                                        ; implicit-def: $vgpr37
	v_cmp_le_u32_e32 vcc_lo, s5, v8
                                        ; implicit-def: $vgpr8
	s_and_saveexec_b32 s0, vcc_lo
	s_delay_alu instid0(SALU_CYCLE_1)
	s_xor_b32 s0, exec_lo, s0
	s_cbranch_execz .LBB1279_73
; %bb.72:
	v_lshlrev_b16 v8, 8, v10
	v_and_b32_e32 v10, 0xff0000, v9
	v_perm_b32 v7, v7, v7, 0x3060504
	s_delay_alu instid0(VALU_DEP_3) | instskip(NEXT) | instid1(VALU_DEP_3)
	v_bitop3_b16 v8, v11, v8, 0xff bitop3:0xec
	v_perm_b32 v37, v9, v10, 0x3020504
                                        ; implicit-def: $vgpr10
                                        ; implicit-def: $vgpr9
	s_delay_alu instid0(VALU_DEP_2) | instskip(NEXT) | instid1(VALU_DEP_1)
	v_and_b32_e32 v8, 0xffff, v8
	v_and_or_b32 v8, 0xff000000, v11, v8
                                        ; implicit-def: $vgpr11
.LBB1279_73:
	s_and_not1_saveexec_b32 s1, s0
	s_cbranch_execz .LBB1279_77
; %bb.74:
	v_dual_add_nc_u32 v8, s17, v20 :: v_dual_add_nc_u32 v12, s19, v20
	s_mov_b32 s3, 0
	s_mov_b32 s4, exec_lo
	s_delay_alu instid0(VALU_DEP_1) | instskip(NEXT) | instid1(VALU_DEP_2)
	v_mul_lo_u32 v8, v8, s16
	v_mul_lo_u32 v12, v12, s18
	s_delay_alu instid0(VALU_DEP_1) | instskip(NEXT) | instid1(VALU_DEP_1)
	v_sub_nc_u32_e32 v8, v8, v12
	v_cmp_lt_u32_e32 vcc_lo, s20, v8
	v_cmpx_ge_u32_e64 s20, v8
	s_cbranch_execz .LBB1279_76
; %bb.75:
	v_dual_add_nc_u32 v8, s22, v20 :: v_dual_add_nc_u32 v12, s38, v20
	s_delay_alu instid0(VALU_DEP_1) | instskip(NEXT) | instid1(VALU_DEP_2)
	v_mul_lo_u32 v8, v8, s21
	v_mul_lo_u32 v12, v12, s23
	s_delay_alu instid0(VALU_DEP_1) | instskip(NEXT) | instid1(VALU_DEP_1)
	v_sub_nc_u32_e32 v8, v8, v12
	v_cmp_lt_u32_e64 s0, s39, v8
	s_and_b32 s3, s0, exec_lo
.LBB1279_76:
	s_or_b32 exec_lo, exec_lo, s4
	v_dual_lshrrev_b32 v8, 24, v11 :: v_dual_lshrrev_b32 v28, 8, v9
	v_cndmask_b32_e64 v12, 0, 1, s3
	v_cndmask_b32_e64 v13, 0, 1, vcc_lo
	v_lshlrev_b16 v10, 8, v10
	s_delay_alu instid0(VALU_DEP_4)
	v_lshlrev_b16 v8, 8, v8
	v_lshrrev_b32_e32 v29, 16, v9
	v_lshlrev_b16 v12, 8, v12
	v_lshlrev_b16 v28, 8, v28
	v_bitop3_b16 v10, v11, v10, 0xff bitop3:0xec
	v_or_b32_e32 v8, v13, v8
	s_delay_alu instid0(VALU_DEP_4) | instskip(NEXT) | instid1(VALU_DEP_4)
	v_bitop3_b16 v11, v29, v12, 0xff bitop3:0xec
	v_bitop3_b16 v9, v9, v28, 0xff bitop3:0xec
	s_delay_alu instid0(VALU_DEP_4) | instskip(NEXT) | instid1(VALU_DEP_3)
	v_and_b32_e32 v10, 0xffff, v10
	v_dual_lshlrev_b32 v8, 16, v8 :: v_dual_lshlrev_b32 v11, 16, v11
	s_delay_alu instid0(VALU_DEP_3) | instskip(NEXT) | instid1(VALU_DEP_2)
	v_and_b32_e32 v9, 0xffff, v9
	v_or_b32_e32 v8, v10, v8
	s_delay_alu instid0(VALU_DEP_2)
	v_or_b32_e32 v37, v9, v11
.LBB1279_77:
	s_or_b32 exec_lo, exec_lo, s1
	v_add_nc_u32_e32 v11, 7, v15
	v_dual_lshrrev_b32 v9, 8, v7 :: v_dual_lshrrev_b32 v10, 16, v7
                                        ; implicit-def: $vgpr38
	s_delay_alu instid0(VALU_DEP_2) | instskip(SKIP_2) | instid1(SALU_CYCLE_1)
	v_cmp_le_u32_e32 vcc_lo, s5, v11
	v_lshrrev_b32_e32 v11, 24, v7
                                        ; implicit-def: $vgpr7
	s_and_saveexec_b32 s0, vcc_lo
	s_xor_b32 s0, exec_lo, s0
	s_cbranch_execz .LBB1279_79
; %bb.78:
	s_delay_alu instid0(VALU_DEP_1) | instskip(SKIP_1) | instid1(VALU_DEP_2)
	v_lshlrev_b16 v7, 8, v11
	v_lshlrev_b16 v9, 8, v9
                                        ; implicit-def: $vgpr11
	v_bitop3_b16 v7, v10, v7, 0xff bitop3:0xec
	v_and_b32_e32 v10, 0xff0000, v8
	s_delay_alu instid0(VALU_DEP_3) | instskip(NEXT) | instid1(VALU_DEP_3)
	v_and_b32_e32 v9, 0xffff, v9
	v_lshlrev_b32_e32 v7, 16, v7
	s_delay_alu instid0(VALU_DEP_3) | instskip(NEXT) | instid1(VALU_DEP_2)
	v_perm_b32 v38, v8, v10, 0x3020504
                                        ; implicit-def: $vgpr8
                                        ; implicit-def: $vgpr10
	v_or_b32_e32 v7, v9, v7
                                        ; implicit-def: $vgpr9
.LBB1279_79:
	s_and_not1_saveexec_b32 s1, s0
	s_cbranch_execz .LBB1279_83
; %bb.80:
	v_dual_add_nc_u32 v7, s17, v21 :: v_dual_add_nc_u32 v12, s19, v21
	s_mov_b32 s3, 0
	s_mov_b32 s4, exec_lo
	s_delay_alu instid0(VALU_DEP_1) | instskip(NEXT) | instid1(VALU_DEP_2)
	v_mul_lo_u32 v7, v7, s16
	v_mul_lo_u32 v12, v12, s18
	s_delay_alu instid0(VALU_DEP_1) | instskip(NEXT) | instid1(VALU_DEP_1)
	v_sub_nc_u32_e32 v7, v7, v12
	v_cmp_lt_u32_e32 vcc_lo, s20, v7
	v_cmpx_ge_u32_e64 s20, v7
	s_cbranch_execz .LBB1279_82
; %bb.81:
	v_dual_add_nc_u32 v7, s22, v21 :: v_dual_add_nc_u32 v12, s38, v21
	s_delay_alu instid0(VALU_DEP_1) | instskip(NEXT) | instid1(VALU_DEP_2)
	v_mul_lo_u32 v7, v7, s21
	v_mul_lo_u32 v12, v12, s23
	s_delay_alu instid0(VALU_DEP_1) | instskip(NEXT) | instid1(VALU_DEP_1)
	v_sub_nc_u32_e32 v7, v7, v12
	v_cmp_lt_u32_e64 s0, s39, v7
	s_and_b32 s3, s0, exec_lo
.LBB1279_82:
	s_or_b32 exec_lo, exec_lo, s4
	v_cndmask_b32_e64 v7, 0, 1, vcc_lo
	v_dual_lshrrev_b32 v12, 8, v8 :: v_dual_lshrrev_b32 v28, 16, v8
	v_cndmask_b32_e64 v13, 0, 1, s3
	v_lshlrev_b16 v11, 8, v11
	s_delay_alu instid0(VALU_DEP_4) | instskip(NEXT) | instid1(VALU_DEP_4)
	v_lshlrev_b16 v7, 8, v7
	v_lshlrev_b16 v12, 8, v12
	;; [unrolled: 1-line block ×3, first 2 shown]
	s_delay_alu instid0(VALU_DEP_4) | instskip(NEXT) | instid1(VALU_DEP_4)
	v_bitop3_b16 v10, v10, v11, 0xff bitop3:0xec
	v_bitop3_b16 v7, v28, v7, 0xff bitop3:0xec
	s_delay_alu instid0(VALU_DEP_4) | instskip(NEXT) | instid1(VALU_DEP_3)
	v_bitop3_b16 v8, v8, v12, 0xff bitop3:0xec
	v_dual_lshlrev_b32 v10, 16, v10 :: v_dual_bitop2_b32 v9, v13, v9 bitop3:0x54
	s_delay_alu instid0(VALU_DEP_3) | instskip(NEXT) | instid1(VALU_DEP_3)
	v_lshlrev_b32_e32 v7, 16, v7
	v_and_b32_e32 v8, 0xffff, v8
	s_delay_alu instid0(VALU_DEP_3) | instskip(NEXT) | instid1(VALU_DEP_2)
	v_and_b32_e32 v9, 0xffff, v9
	v_or_b32_e32 v38, v8, v7
	s_delay_alu instid0(VALU_DEP_2)
	v_or_b32_e32 v7, v9, v10
.LBB1279_83:
	s_or_b32 exec_lo, exec_lo, s1
	v_dual_add_nc_u32 v8, 8, v15 :: v_dual_lshrrev_b32 v13, 24, v6
	s_delay_alu instid0(VALU_DEP_2) | instskip(SKIP_1) | instid1(VALU_DEP_3)
	v_dual_lshrrev_b32 v9, 16, v7 :: v_dual_lshrrev_b32 v10, 24, v7
	v_dual_lshrrev_b32 v11, 16, v6 :: v_dual_lshrrev_b32 v12, 8, v6
	v_cmp_le_u32_e32 vcc_lo, s5, v8
                                        ; implicit-def: $vgpr6
                                        ; implicit-def: $vgpr8
	s_and_saveexec_b32 s0, vcc_lo
	s_delay_alu instid0(SALU_CYCLE_1)
	s_xor_b32 s0, exec_lo, s0
	s_cbranch_execz .LBB1279_85
; %bb.84:
	v_lshlrev_b16 v6, 8, v13
	v_lshlrev_b16 v8, 8, v12
	;; [unrolled: 1-line block ×3, first 2 shown]
	v_perm_b32 v1, v1, v1, 0x3060504
                                        ; implicit-def: $vgpr13
                                        ; implicit-def: $vgpr12
	s_delay_alu instid0(VALU_DEP_4) | instskip(NEXT) | instid1(VALU_DEP_4)
	v_bitop3_b16 v6, v11, v6, 0xff bitop3:0xec
	v_and_b32_e32 v8, 0xffff, v8
	s_delay_alu instid0(VALU_DEP_4) | instskip(NEXT) | instid1(VALU_DEP_3)
	v_bitop3_b16 v9, v9, v10, 0xff bitop3:0xec
                                        ; implicit-def: $vgpr10
                                        ; implicit-def: $vgpr11
	v_lshlrev_b32_e32 v6, 16, v6
	s_delay_alu instid0(VALU_DEP_1) | instskip(NEXT) | instid1(VALU_DEP_3)
	v_or_b32_e32 v8, v8, v6
	v_perm_b32 v6, v9, v7, 0x5040c00
                                        ; implicit-def: $vgpr7
                                        ; implicit-def: $vgpr9
.LBB1279_85:
	s_and_not1_saveexec_b32 s1, s0
	s_cbranch_execz .LBB1279_89
; %bb.86:
	v_dual_add_nc_u32 v6, s17, v18 :: v_dual_add_nc_u32 v8, s19, v18
	s_mov_b32 s3, 0
	s_mov_b32 s4, exec_lo
	s_delay_alu instid0(VALU_DEP_1) | instskip(NEXT) | instid1(VALU_DEP_2)
	v_mul_lo_u32 v6, v6, s16
	v_mul_lo_u32 v8, v8, s18
	s_delay_alu instid0(VALU_DEP_1) | instskip(NEXT) | instid1(VALU_DEP_1)
	v_sub_nc_u32_e32 v6, v6, v8
	v_cmp_lt_u32_e32 vcc_lo, s20, v6
	v_cmpx_ge_u32_e64 s20, v6
	s_cbranch_execz .LBB1279_88
; %bb.87:
	v_dual_add_nc_u32 v6, s22, v18 :: v_dual_add_nc_u32 v8, s38, v18
	s_delay_alu instid0(VALU_DEP_1) | instskip(NEXT) | instid1(VALU_DEP_2)
	v_mul_lo_u32 v6, v6, s21
	v_mul_lo_u32 v8, v8, s23
	s_delay_alu instid0(VALU_DEP_1) | instskip(NEXT) | instid1(VALU_DEP_1)
	v_sub_nc_u32_e32 v6, v6, v8
	v_cmp_lt_u32_e64 s0, s39, v6
	s_and_b32 s3, s0, exec_lo
.LBB1279_88:
	s_or_b32 exec_lo, exec_lo, s4
	v_cndmask_b32_e64 v6, 0, 1, s3
	v_cndmask_b32_e64 v8, 0, 1, vcc_lo
	v_lshlrev_b16 v13, 8, v13
	v_lshlrev_b16 v12, 8, v12
	;; [unrolled: 1-line block ×4, first 2 shown]
	s_delay_alu instid0(VALU_DEP_4) | instskip(NEXT) | instid1(VALU_DEP_4)
	v_bitop3_b16 v11, v11, v13, 0xff bitop3:0xec
	v_or_b32_e32 v8, v8, v12
	s_delay_alu instid0(VALU_DEP_4) | instskip(NEXT) | instid1(VALU_DEP_4)
	v_bitop3_b16 v9, v9, v10, 0xff bitop3:0xec
	v_bitop3_b16 v6, v7, v6, 0xff bitop3:0xec
	s_delay_alu instid0(VALU_DEP_4) | instskip(NEXT) | instid1(VALU_DEP_4)
	v_lshlrev_b32_e32 v7, 16, v11
	v_and_b32_e32 v8, 0xffff, v8
	s_delay_alu instid0(VALU_DEP_4) | instskip(NEXT) | instid1(VALU_DEP_4)
	v_lshlrev_b32_e32 v9, 16, v9
	v_and_b32_e32 v6, 0xffff, v6
	s_delay_alu instid0(VALU_DEP_3) | instskip(NEXT) | instid1(VALU_DEP_2)
	v_or_b32_e32 v8, v8, v7
	v_or_b32_e32 v6, v6, v9
.LBB1279_89:
	s_or_b32 exec_lo, exec_lo, s1
	s_delay_alu instid0(VALU_DEP_1) | instskip(NEXT) | instid1(VALU_DEP_3)
	v_dual_add_nc_u32 v7, 9, v15 :: v_dual_lshrrev_b32 v11, 8, v6
	v_dual_lshrrev_b32 v12, 24, v8 :: v_dual_lshrrev_b32 v10, 16, v8
                                        ; implicit-def: $vgpr9
	s_delay_alu instid0(VALU_DEP_2) | instskip(SKIP_1) | instid1(SALU_CYCLE_1)
	v_cmp_le_u32_e32 vcc_lo, s5, v7
                                        ; implicit-def: $vgpr7
	s_and_saveexec_b32 s0, vcc_lo
	s_xor_b32 s0, exec_lo, s0
	s_cbranch_execz .LBB1279_91
; %bb.90:
	v_lshlrev_b16 v7, 8, v11
	v_lshlrev_b16 v9, 8, v12
	v_perm_b32 v1, v1, v1, 0x3060504
                                        ; implicit-def: $vgpr11
                                        ; implicit-def: $vgpr12
	s_delay_alu instid0(VALU_DEP_3) | instskip(NEXT) | instid1(VALU_DEP_3)
	v_bitop3_b16 v7, v6, v7, 0xff bitop3:0xec
	v_bitop3_b16 v9, v10, v9, 0xff bitop3:0xec
                                        ; implicit-def: $vgpr10
	s_delay_alu instid0(VALU_DEP_2) | instskip(NEXT) | instid1(VALU_DEP_2)
	v_and_b32_e32 v7, 0xffff, v7
	v_perm_b32 v9, v9, v8, 0x5040c00
                                        ; implicit-def: $vgpr8
	s_delay_alu instid0(VALU_DEP_2)
	v_and_or_b32 v7, 0xff000000, v6, v7
                                        ; implicit-def: $vgpr6
.LBB1279_91:
	s_and_not1_saveexec_b32 s1, s0
	s_cbranch_execz .LBB1279_95
; %bb.92:
	v_dual_add_nc_u32 v7, s17, v19 :: v_dual_add_nc_u32 v9, s19, v19
	s_mov_b32 s3, 0
	s_mov_b32 s4, exec_lo
	s_delay_alu instid0(VALU_DEP_1) | instskip(NEXT) | instid1(VALU_DEP_2)
	v_mul_lo_u32 v7, v7, s16
	v_mul_lo_u32 v9, v9, s18
	s_delay_alu instid0(VALU_DEP_1) | instskip(NEXT) | instid1(VALU_DEP_1)
	v_sub_nc_u32_e32 v7, v7, v9
	v_cmp_lt_u32_e32 vcc_lo, s20, v7
	v_cmpx_ge_u32_e64 s20, v7
	s_cbranch_execz .LBB1279_94
; %bb.93:
	v_dual_add_nc_u32 v7, s22, v19 :: v_dual_add_nc_u32 v9, s38, v19
	s_delay_alu instid0(VALU_DEP_1) | instskip(NEXT) | instid1(VALU_DEP_2)
	v_mul_lo_u32 v7, v7, s21
	v_mul_lo_u32 v9, v9, s23
	s_delay_alu instid0(VALU_DEP_1) | instskip(NEXT) | instid1(VALU_DEP_1)
	v_sub_nc_u32_e32 v7, v7, v9
	v_cmp_lt_u32_e64 s0, s39, v7
	s_and_b32 s3, s0, exec_lo
.LBB1279_94:
	s_or_b32 exec_lo, exec_lo, s4
	v_cndmask_b32_e64 v7, 0, 1, vcc_lo
	v_lshrrev_b32_e32 v9, 24, v6
	v_cndmask_b32_e64 v13, 0, 1, s3
	v_lshlrev_b16 v12, 8, v12
	v_lshlrev_b16 v11, 8, v11
	;; [unrolled: 1-line block ×4, first 2 shown]
	s_delay_alu instid0(VALU_DEP_4) | instskip(NEXT) | instid1(VALU_DEP_4)
	v_bitop3_b16 v10, v10, v12, 0xff bitop3:0xec
	v_bitop3_b16 v6, v6, v11, 0xff bitop3:0xec
	s_delay_alu instid0(VALU_DEP_4) | instskip(NEXT) | instid1(VALU_DEP_3)
	v_bitop3_b16 v7, v8, v7, 0xff bitop3:0xec
	v_dual_lshlrev_b32 v9, 16, v10 :: v_dual_bitop2_b32 v8, v13, v9 bitop3:0x54
	s_delay_alu instid0(VALU_DEP_3) | instskip(NEXT) | instid1(VALU_DEP_3)
	v_and_b32_e32 v6, 0xffff, v6
	v_and_b32_e32 v7, 0xffff, v7
	s_delay_alu instid0(VALU_DEP_1) | instskip(NEXT) | instid1(VALU_DEP_1)
	v_dual_lshlrev_b32 v8, 16, v8 :: v_dual_bitop2_b32 v9, v7, v9 bitop3:0x54
	v_or_b32_e32 v7, v6, v8
.LBB1279_95:
	s_or_b32 exec_lo, exec_lo, s1
	s_delay_alu instid0(VALU_DEP_2) | instskip(NEXT) | instid1(VALU_DEP_1)
	v_dual_add_nc_u32 v6, 10, v15 :: v_dual_lshrrev_b32 v8, 8, v9
                                        ; implicit-def: $vgpr40
	v_cmp_le_u32_e32 vcc_lo, s5, v6
                                        ; implicit-def: $vgpr6
	s_and_saveexec_b32 s0, vcc_lo
	s_delay_alu instid0(SALU_CYCLE_1)
	s_xor_b32 s0, exec_lo, s0
	s_cbranch_execz .LBB1279_97
; %bb.96:
	v_lshlrev_b16 v6, 8, v8
	v_and_b32_e32 v8, 0xff0000, v7
	v_perm_b32 v1, v1, v1, 0x3060504
	s_delay_alu instid0(VALU_DEP_3) | instskip(NEXT) | instid1(VALU_DEP_3)
	v_bitop3_b16 v6, v9, v6, 0xff bitop3:0xec
	v_perm_b32 v40, v7, v8, 0x3020504
                                        ; implicit-def: $vgpr8
                                        ; implicit-def: $vgpr7
	s_delay_alu instid0(VALU_DEP_2) | instskip(NEXT) | instid1(VALU_DEP_1)
	v_and_b32_e32 v6, 0xffff, v6
	v_and_or_b32 v6, 0xff000000, v9, v6
                                        ; implicit-def: $vgpr9
.LBB1279_97:
	s_and_not1_saveexec_b32 s1, s0
	s_cbranch_execz .LBB1279_101
; %bb.98:
	v_dual_add_nc_u32 v6, s17, v16 :: v_dual_add_nc_u32 v10, s19, v16
	s_mov_b32 s3, 0
	s_mov_b32 s4, exec_lo
	s_delay_alu instid0(VALU_DEP_1) | instskip(NEXT) | instid1(VALU_DEP_2)
	v_mul_lo_u32 v6, v6, s16
	v_mul_lo_u32 v10, v10, s18
	s_delay_alu instid0(VALU_DEP_1) | instskip(NEXT) | instid1(VALU_DEP_1)
	v_sub_nc_u32_e32 v6, v6, v10
	v_cmp_lt_u32_e32 vcc_lo, s20, v6
	v_cmpx_ge_u32_e64 s20, v6
	s_cbranch_execz .LBB1279_100
; %bb.99:
	v_dual_add_nc_u32 v6, s22, v16 :: v_dual_add_nc_u32 v10, s38, v16
	s_delay_alu instid0(VALU_DEP_1) | instskip(NEXT) | instid1(VALU_DEP_2)
	v_mul_lo_u32 v6, v6, s21
	v_mul_lo_u32 v10, v10, s23
	s_delay_alu instid0(VALU_DEP_1) | instskip(NEXT) | instid1(VALU_DEP_1)
	v_sub_nc_u32_e32 v6, v6, v10
	v_cmp_lt_u32_e64 s0, s39, v6
	s_and_b32 s3, s0, exec_lo
.LBB1279_100:
	s_or_b32 exec_lo, exec_lo, s4
	v_dual_lshrrev_b32 v6, 24, v9 :: v_dual_lshrrev_b32 v12, 8, v7
	v_cndmask_b32_e64 v10, 0, 1, s3
	v_cndmask_b32_e64 v11, 0, 1, vcc_lo
	v_lshlrev_b16 v8, 8, v8
	s_delay_alu instid0(VALU_DEP_4)
	v_lshlrev_b16 v6, 8, v6
	v_lshrrev_b32_e32 v13, 16, v7
	v_lshlrev_b16 v10, 8, v10
	v_lshlrev_b16 v12, 8, v12
	v_bitop3_b16 v8, v9, v8, 0xff bitop3:0xec
	v_or_b32_e32 v6, v11, v6
	s_delay_alu instid0(VALU_DEP_4) | instskip(NEXT) | instid1(VALU_DEP_4)
	v_bitop3_b16 v9, v13, v10, 0xff bitop3:0xec
	v_bitop3_b16 v7, v7, v12, 0xff bitop3:0xec
	s_delay_alu instid0(VALU_DEP_4) | instskip(NEXT) | instid1(VALU_DEP_3)
	v_and_b32_e32 v8, 0xffff, v8
	v_dual_lshlrev_b32 v6, 16, v6 :: v_dual_lshlrev_b32 v9, 16, v9
	s_delay_alu instid0(VALU_DEP_3) | instskip(NEXT) | instid1(VALU_DEP_2)
	v_and_b32_e32 v7, 0xffff, v7
	v_or_b32_e32 v6, v8, v6
	s_delay_alu instid0(VALU_DEP_2)
	v_or_b32_e32 v40, v7, v9
.LBB1279_101:
	s_or_b32 exec_lo, exec_lo, s1
	v_dual_add_nc_u32 v7, 11, v15 :: v_dual_mov_b32 v39, 0
	s_mov_b32 s0, exec_lo
                                        ; implicit-def: $vgpr41
	s_delay_alu instid0(VALU_DEP_1)
	v_cmpx_le_u32_e64 s5, v7
	s_xor_b32 s0, exec_lo, s0
; %bb.102:
	v_and_b32_e32 v7, 0xff0000, v6
	v_perm_b32 v1, v1, v1, 0x3060504
	s_delay_alu instid0(VALU_DEP_2)
	v_perm_b32 v41, v6, v7, 0x3020504
                                        ; implicit-def: $vgpr6
; %bb.103:
	s_and_not1_saveexec_b32 s1, s0
	s_cbranch_execz .LBB1279_107
; %bb.104:
	v_dual_add_nc_u32 v7, s17, v17 :: v_dual_add_nc_u32 v8, s19, v17
	s_mov_b32 s3, 0
	s_mov_b32 s4, exec_lo
	s_delay_alu instid0(VALU_DEP_1) | instskip(NEXT) | instid1(VALU_DEP_2)
	v_mul_lo_u32 v7, v7, s16
	v_mul_lo_u32 v8, v8, s18
	s_delay_alu instid0(VALU_DEP_1) | instskip(NEXT) | instid1(VALU_DEP_1)
	v_sub_nc_u32_e32 v7, v7, v8
	v_cmp_lt_u32_e32 vcc_lo, s20, v7
	v_cmpx_ge_u32_e64 s20, v7
	s_cbranch_execz .LBB1279_106
; %bb.105:
	v_dual_add_nc_u32 v7, s22, v17 :: v_dual_add_nc_u32 v8, s38, v17
	s_delay_alu instid0(VALU_DEP_1) | instskip(NEXT) | instid1(VALU_DEP_2)
	v_mul_lo_u32 v7, v7, s21
	v_mul_lo_u32 v8, v8, s23
	s_delay_alu instid0(VALU_DEP_1) | instskip(NEXT) | instid1(VALU_DEP_1)
	v_sub_nc_u32_e32 v7, v7, v8
	v_cmp_lt_u32_e64 s0, s39, v7
	s_and_b32 s3, s0, exec_lo
.LBB1279_106:
	s_or_b32 exec_lo, exec_lo, s4
	v_cndmask_b32_e64 v7, 0, 1, vcc_lo
	v_dual_lshrrev_b32 v8, 8, v6 :: v_dual_lshrrev_b32 v9, 16, v6
	v_cndmask_b32_e64 v39, 0, 1, s3
	s_delay_alu instid0(VALU_DEP_3) | instskip(NEXT) | instid1(VALU_DEP_3)
	v_lshlrev_b16 v7, 8, v7
	v_lshlrev_b16 v8, 8, v8
	s_delay_alu instid0(VALU_DEP_2) | instskip(NEXT) | instid1(VALU_DEP_2)
	v_bitop3_b16 v7, v9, v7, 0xff bitop3:0xec
	v_bitop3_b16 v6, v6, v8, 0xff bitop3:0xec
	s_delay_alu instid0(VALU_DEP_2) | instskip(NEXT) | instid1(VALU_DEP_2)
	v_lshlrev_b32_e32 v7, 16, v7
	v_and_b32_e32 v6, 0xffff, v6
	s_delay_alu instid0(VALU_DEP_1)
	v_or_b32_e32 v41, v6, v7
.LBB1279_107:
	s_or_b32 exec_lo, exec_lo, s1
	v_dual_add_nc_u32 v8, 12, v15 :: v_dual_lshrrev_b32 v6, 8, v1
	v_dual_lshrrev_b32 v7, 16, v1 :: v_dual_lshrrev_b32 v1, 24, v1
	s_mov_b32 s0, exec_lo
                                        ; implicit-def: $vgpr42
	s_delay_alu instid0(VALU_DEP_2)
	v_cmpx_le_u32_e64 s5, v8
	s_xor_b32 s0, exec_lo, s0
; %bb.108:
	s_delay_alu instid0(VALU_DEP_2) | instskip(SKIP_1) | instid1(VALU_DEP_2)
	v_lshlrev_b16 v1, 8, v1
	v_lshlrev_b16 v6, 8, v6
	v_bitop3_b16 v1, v7, v1, 0xff bitop3:0xec
	s_delay_alu instid0(VALU_DEP_2) | instskip(NEXT) | instid1(VALU_DEP_2)
	v_and_b32_e32 v6, 0xffff, v6
                                        ; implicit-def: $vgpr7
	v_lshlrev_b32_e32 v1, 16, v1
	s_delay_alu instid0(VALU_DEP_1)
	v_or_b32_e32 v42, v6, v1
                                        ; implicit-def: $vgpr1
                                        ; implicit-def: $vgpr6
; %bb.109:
	s_or_saveexec_b32 s1, s0
	v_mov_b32_e32 v43, 0
	s_xor_b32 exec_lo, exec_lo, s1
	s_cbranch_execz .LBB1279_113
; %bb.110:
	v_dual_add_nc_u32 v8, s19, v34 :: v_dual_add_nc_u32 v9, s17, v34
	s_mov_b32 s3, 0
	s_mov_b32 s4, exec_lo
	s_delay_alu instid0(VALU_DEP_1) | instskip(NEXT) | instid1(VALU_DEP_2)
	v_mul_lo_u32 v8, v8, s18
	v_mul_lo_u32 v9, v9, s16
	s_delay_alu instid0(VALU_DEP_1) | instskip(NEXT) | instid1(VALU_DEP_1)
	v_sub_nc_u32_e32 v8, v9, v8
	v_cmp_lt_u32_e32 vcc_lo, s20, v8
	v_cmpx_ge_u32_e64 s20, v8
	s_cbranch_execz .LBB1279_112
; %bb.111:
	v_dual_add_nc_u32 v8, s38, v34 :: v_dual_add_nc_u32 v9, s22, v34
	s_delay_alu instid0(VALU_DEP_1) | instskip(NEXT) | instid1(VALU_DEP_2)
	v_mul_lo_u32 v8, v8, s23
	v_mul_lo_u32 v9, v9, s21
	s_delay_alu instid0(VALU_DEP_1) | instskip(NEXT) | instid1(VALU_DEP_1)
	v_sub_nc_u32_e32 v8, v9, v8
	v_cmp_lt_u32_e64 s0, s39, v8
	s_and_b32 s3, s0, exec_lo
.LBB1279_112:
	s_or_b32 exec_lo, exec_lo, s4
	v_cndmask_b32_e64 v8, 0, 1, vcc_lo
	v_lshlrev_b16 v1, 8, v1
	v_lshlrev_b16 v6, 8, v6
	v_cndmask_b32_e64 v43, 0, 1, s3
	s_delay_alu instid0(VALU_DEP_3) | instskip(NEXT) | instid1(VALU_DEP_1)
	v_bitop3_b16 v1, v7, v1, 0xff bitop3:0xec
	v_dual_lshlrev_b32 v1, 16, v1 :: v_dual_bitop2_b32 v6, v8, v6 bitop3:0x54
	s_delay_alu instid0(VALU_DEP_1) | instskip(NEXT) | instid1(VALU_DEP_1)
	v_and_b32_e32 v6, 0xffff, v6
	v_or_b32_e32 v42, v6, v1
.LBB1279_113:
	s_or_b32 exec_lo, exec_lo, s1
.LBB1279_114:
	v_and_b32_e32 v66, 0xff, v36
	s_delay_alu instid0(VALU_DEP_2)
	v_bfe_u32 v67, v42, 8, 8
	v_bfe_u32 v64, v36, 8, 8
	;; [unrolled: 1-line block ×4, first 2 shown]
	v_dual_lshrrev_b32 v49, 24, v42 :: v_dual_lshrrev_b32 v48, 24, v36
	v_and_b32_e32 v62, 0xff, v37
	v_and_b32_e32 v60, 0xff, v38
	v_bfe_u32 v61, v37, 8, 8
	v_add3_u32 v1, v64, v66, v63
	v_add3_u32 v6, v65, v67, v49
	v_bfe_u32 v58, v38, 8, 8
	v_bfe_u32 v59, v37, 16, 8
	v_bfe_u32 v56, v38, 16, 8
	v_dual_lshrrev_b32 v47, 24, v37 :: v_dual_lshrrev_b32 v46, 24, v38
	v_add3_u32 v1, v1, v48, v60
	v_add3_u32 v6, v6, v62, v61
	v_and_b32_e32 v57, 0xff, v40
	v_and_b32_e32 v53, 0xff, v41
	v_bfe_u32 v55, v40, 8, 8
	v_add3_u32 v1, v1, v58, v56
	v_add3_u32 v6, v6, v59, v47
	v_bfe_u32 v52, v41, 8, 8
	v_bfe_u32 v54, v40, 16, 8
	;; [unrolled: 1-line block ×3, first 2 shown]
	v_dual_lshrrev_b32 v45, 24, v40 :: v_dual_lshrrev_b32 v44, 24, v41
	v_add3_u32 v1, v1, v46, v53
	v_add3_u32 v6, v6, v57, v55
	v_mbcnt_lo_u32_b32 v68, -1, 0
	v_and_b32_e32 v50, 0xff, v39
	v_and_b32_e32 v7, 0xff, v42
	v_and_b32_e32 v8, 0xff, v43
	v_add3_u32 v1, v1, v52, v51
	v_add3_u32 v6, v6, v54, v45
	v_and_b32_e32 v70, 15, v68
	v_and_b32_e32 v72, 16, v68
	v_dual_lshrrev_b32 v69, 5, v0 :: v_dual_bitop2_b32 v71, 31, v0 bitop3:0x54
	v_add3_u32 v73, v1, v44, v7
	v_add3_u32 v74, v6, v50, v8
	v_cmp_eq_u32_e64 s1, 0, v70
	v_cmp_lt_u32_e64 s0, 1, v70
	v_cmp_lt_u32_e64 s3, 3, v70
	s_cmp_lg_u32 s27, 0
	s_mov_b32 s4, -1
	v_cmp_lt_u32_e32 vcc_lo, 7, v70
	s_cbranch_scc0 .LBB1279_135
; %bb.115:
	v_mov_b32_dpp v1, v74 row_shr:1 row_mask:0xf bank_mask:0xf
	v_mov_b32_dpp v6, v73 row_shr:1 row_mask:0xf bank_mask:0xf
	s_mov_b32 s4, exec_lo
	s_delay_alu instid0(VALU_DEP_1) | instskip(NEXT) | instid1(VALU_DEP_1)
	v_dual_add_nc_u32 v1, v1, v74 :: v_dual_add_nc_u32 v6, v6, v73
	v_dual_cndmask_b32 v1, v1, v74, s1 :: v_dual_cndmask_b32 v6, v6, v73, s1
	s_delay_alu instid0(VALU_DEP_1) | instskip(NEXT) | instid1(VALU_DEP_2)
	v_mov_b32_dpp v7, v1 row_shr:2 row_mask:0xf bank_mask:0xf
	v_mov_b32_dpp v8, v6 row_shr:2 row_mask:0xf bank_mask:0xf
	s_delay_alu instid0(VALU_DEP_1) | instskip(NEXT) | instid1(VALU_DEP_1)
	v_dual_add_nc_u32 v7, v1, v7 :: v_dual_add_nc_u32 v8, v6, v8
	v_dual_cndmask_b32 v1, v1, v7, s0 :: v_dual_cndmask_b32 v6, v6, v8, s0
	s_delay_alu instid0(VALU_DEP_1) | instskip(NEXT) | instid1(VALU_DEP_2)
	v_mov_b32_dpp v7, v1 row_shr:4 row_mask:0xf bank_mask:0xf
	v_mov_b32_dpp v8, v6 row_shr:4 row_mask:0xf bank_mask:0xf
	;; [unrolled: 6-line block ×3, first 2 shown]
	s_delay_alu instid0(VALU_DEP_1) | instskip(NEXT) | instid1(VALU_DEP_1)
	v_dual_add_nc_u32 v7, v1, v7 :: v_dual_add_nc_u32 v8, v6, v8
	v_dual_cndmask_b32 v1, v1, v7 :: v_dual_cndmask_b32 v6, v6, v8
	v_cmp_eq_u32_e32 vcc_lo, 0, v72
	ds_swizzle_b32 v7, v1 offset:swizzle(BROADCAST,32,15)
	ds_swizzle_b32 v8, v6 offset:swizzle(BROADCAST,32,15)
	s_wait_dscnt 0x0
	v_dual_add_nc_u32 v7, v1, v7 :: v_dual_add_nc_u32 v8, v6, v8
	v_cmpx_eq_u32_e64 v0, v71
; %bb.116:
	s_delay_alu instid0(VALU_DEP_2) | instskip(NEXT) | instid1(VALU_DEP_3)
	v_dual_cndmask_b32 v10, v8, v6 :: v_dual_lshlrev_b32 v9, 3, v69
	v_cndmask_b32_e32 v11, v7, v1, vcc_lo
	ds_store_b64 v9, v[10:11]
; %bb.117:
	s_or_b32 exec_lo, exec_lo, s4
	s_delay_alu instid0(SALU_CYCLE_1)
	s_mov_b32 s4, exec_lo
	s_wait_dscnt 0x0
	s_barrier_signal -1
	s_barrier_wait -1
	v_cmpx_gt_u32_e32 8, v0
	s_cbranch_execz .LBB1279_119
; %bb.118:
	v_lshlrev_b32_e32 v9, 3, v0
	ds_load_b64 v[10:11], v9
	s_wait_dscnt 0x0
	v_mov_b32_dpp v12, v10 row_shr:1 row_mask:0xf bank_mask:0xf
	v_mov_b32_dpp v13, v11 row_shr:1 row_mask:0xf bank_mask:0xf
	s_delay_alu instid0(VALU_DEP_2) | instskip(NEXT) | instid1(VALU_DEP_2)
	v_dual_add_nc_u32 v12, v12, v10 :: v_dual_bitop2_b32 v28, 7, v68 bitop3:0x40
	v_add_nc_u32_e32 v13, v13, v11
	s_delay_alu instid0(VALU_DEP_2) | instskip(NEXT) | instid1(VALU_DEP_1)
	v_cmp_eq_u32_e64 s3, 0, v28
	v_dual_cndmask_b32 v11, v13, v11, s3 :: v_dual_cndmask_b32 v10, v12, v10, s3
	v_cmp_lt_u32_e64 s3, 1, v28
	s_delay_alu instid0(VALU_DEP_2) | instskip(NEXT) | instid1(VALU_DEP_3)
	v_mov_b32_dpp v13, v11 row_shr:2 row_mask:0xf bank_mask:0xf
	v_mov_b32_dpp v12, v10 row_shr:2 row_mask:0xf bank_mask:0xf
	s_delay_alu instid0(VALU_DEP_1) | instskip(NEXT) | instid1(VALU_DEP_1)
	v_dual_add_nc_u32 v13, v11, v13 :: v_dual_add_nc_u32 v12, v10, v12
	v_dual_cndmask_b32 v11, v11, v13, s3 :: v_dual_cndmask_b32 v10, v10, v12, s3
	v_cmp_lt_u32_e64 s3, 3, v28
	s_delay_alu instid0(VALU_DEP_2) | instskip(NEXT) | instid1(VALU_DEP_3)
	v_mov_b32_dpp v13, v11 row_shr:4 row_mask:0xf bank_mask:0xf
	v_mov_b32_dpp v12, v10 row_shr:4 row_mask:0xf bank_mask:0xf
	s_delay_alu instid0(VALU_DEP_1) | instskip(NEXT) | instid1(VALU_DEP_1)
	v_dual_cndmask_b32 v13, 0, v13, s3 :: v_dual_cndmask_b32 v12, 0, v12, s3
	v_dual_add_nc_u32 v11, v13, v11 :: v_dual_add_nc_u32 v10, v12, v10
	ds_store_b64 v9, v[10:11]
.LBB1279_119:
	s_or_b32 exec_lo, exec_lo, s4
	v_dual_cndmask_b32 v1, v7, v1 :: v_dual_cndmask_b32 v6, v8, v6
	s_mov_b32 s4, exec_lo
	v_cmp_gt_u32_e32 vcc_lo, 32, v0
	s_wait_dscnt 0x0
	s_barrier_signal -1
	s_barrier_wait -1
                                        ; implicit-def: $vgpr28
	v_cmpx_lt_u32_e32 31, v0
	s_cbranch_execz .LBB1279_121
; %bb.120:
	v_lshl_add_u32 v7, v69, 3, -8
	ds_load_b64 v[28:29], v7
	s_wait_dscnt 0x0
	v_dual_add_nc_u32 v1, v29, v1 :: v_dual_add_nc_u32 v6, v28, v6
.LBB1279_121:
	s_or_b32 exec_lo, exec_lo, s4
	v_sub_co_u32 v7, s3, v68, 1
	s_delay_alu instid0(VALU_DEP_1) | instskip(NEXT) | instid1(VALU_DEP_1)
	v_cmp_gt_i32_e64 s4, 0, v7
	v_cndmask_b32_e64 v7, v7, v68, s4
	s_delay_alu instid0(VALU_DEP_1)
	v_lshlrev_b32_e32 v7, 2, v7
	ds_bpermute_b32 v75, v7, v6
	ds_bpermute_b32 v1, v7, v1
	s_and_saveexec_b32 s4, vcc_lo
	s_cbranch_execz .LBB1279_140
; %bb.122:
	v_mov_b32_e32 v9, 0
	ds_load_b64 v[6:7], v9 offset:56
	s_and_saveexec_b32 s6, s3
	s_cbranch_execz .LBB1279_124
; %bb.123:
	s_add_co_i32 s8, s27, 32
	s_mov_b32 s9, 0
	v_mov_b32_e32 v8, 1
	s_lshl_b64 s[8:9], s[8:9], 4
	s_delay_alu instid0(SALU_CYCLE_1) | instskip(NEXT) | instid1(SALU_CYCLE_1)
	s_add_nc_u64 s[8:9], s[36:37], s[8:9]
	v_mov_b64_e32 v[10:11], s[8:9]
	s_wait_dscnt 0x0
	;;#ASMSTART
	global_store_b128 v[10:11], v[6:9] off scope:SCOPE_DEV	
s_wait_storecnt 0x0
	;;#ASMEND
.LBB1279_124:
	s_or_b32 exec_lo, exec_lo, s6
	v_xad_u32 v30, v68, -1, s27
	s_mov_b32 s7, 0
	s_mov_b32 s6, exec_lo
	s_delay_alu instid0(VALU_DEP_1) | instskip(NEXT) | instid1(VALU_DEP_1)
	v_add_nc_u32_e32 v8, 32, v30
	v_lshl_add_u64 v[8:9], v[8:9], 4, s[36:37]
	;;#ASMSTART
	global_load_b128 v[10:13], v[8:9] off scope:SCOPE_DEV	
s_wait_loadcnt 0x0
	;;#ASMEND
	v_and_b32_e32 v13, 0xff, v12
	s_delay_alu instid0(VALU_DEP_1)
	v_cmpx_eq_u16_e32 0, v13
	s_cbranch_execz .LBB1279_127
.LBB1279_125:                           ; =>This Inner Loop Header: Depth=1
	;;#ASMSTART
	global_load_b128 v[10:13], v[8:9] off scope:SCOPE_DEV	
s_wait_loadcnt 0x0
	;;#ASMEND
	v_and_b32_e32 v13, 0xff, v12
	s_delay_alu instid0(VALU_DEP_1) | instskip(SKIP_1) | instid1(SALU_CYCLE_1)
	v_cmp_ne_u16_e32 vcc_lo, 0, v13
	s_or_b32 s7, vcc_lo, s7
	s_and_not1_b32 exec_lo, exec_lo, s7
	s_cbranch_execnz .LBB1279_125
; %bb.126:
	s_or_b32 exec_lo, exec_lo, s7
.LBB1279_127:
	s_delay_alu instid0(SALU_CYCLE_1) | instskip(SKIP_4) | instid1(VALU_DEP_1)
	s_or_b32 exec_lo, exec_lo, s6
	v_cmp_ne_u32_e32 vcc_lo, 31, v68
	v_lshlrev_b32_e64 v77, v68, -1
	v_lshl_or_b32 v84, v68, 2, 64
	v_add_co_ci_u32_e64 v8, null, 0, v68, vcc_lo
	v_lshlrev_b32_e32 v76, 2, v8
	v_and_b32_e32 v8, 0xff, v12
	s_delay_alu instid0(VALU_DEP_1)
	v_cmp_eq_u16_e32 vcc_lo, 2, v8
	v_and_b32_e32 v13, vcc_lo, v77
	ds_bpermute_b32 v9, v76, v11
	ds_bpermute_b32 v8, v76, v10
	v_cmp_gt_u32_e32 vcc_lo, 30, v68
	v_or_b32_e32 v13, 0x80000000, v13
	v_cndmask_b32_e64 v31, 0, 2, vcc_lo
	s_delay_alu instid0(VALU_DEP_2) | instskip(NEXT) | instid1(VALU_DEP_2)
	v_ctz_i32_b32_e32 v13, v13
	v_add_lshl_u32 v78, v31, v68, 2
	s_delay_alu instid0(VALU_DEP_2) | instskip(SKIP_2) | instid1(VALU_DEP_1)
	v_cmp_lt_u32_e32 vcc_lo, v68, v13
	s_wait_dscnt 0x0
	v_dual_add_nc_u32 v9, v9, v11 :: v_dual_add_nc_u32 v8, v8, v10
	v_dual_cndmask_b32 v9, v11, v9 :: v_dual_cndmask_b32 v8, v10, v8
	v_cmp_gt_u32_e32 vcc_lo, 28, v68
	ds_bpermute_b32 v10, v78, v9
	ds_bpermute_b32 v11, v78, v8
	v_add_nc_u32_e32 v79, 2, v68
	v_cndmask_b32_e64 v31, 0, 4, vcc_lo
	s_delay_alu instid0(VALU_DEP_1) | instskip(SKIP_4) | instid1(VALU_DEP_2)
	v_add_lshl_u32 v80, v31, v68, 2
	s_wait_dscnt 0x1
	v_add_nc_u32_e32 v10, v9, v10
	v_cmp_gt_u32_e32 vcc_lo, v79, v13
	s_wait_dscnt 0x0
	v_dual_add_nc_u32 v11, v8, v11 :: v_dual_cndmask_b32 v9, v10, v9, vcc_lo
	ds_bpermute_b32 v10, v80, v9
	v_cndmask_b32_e32 v8, v11, v8, vcc_lo
	v_cmp_gt_u32_e32 vcc_lo, 24, v68
	v_cndmask_b32_e64 v31, 0, 8, vcc_lo
	s_delay_alu instid0(VALU_DEP_1)
	v_add_lshl_u32 v82, v31, v68, 2
	s_wait_dscnt 0x0
	v_dual_mov_b32 v31, 0 :: v_dual_add_nc_u32 v10, v9, v10
	ds_bpermute_b32 v11, v80, v8
	s_wait_dscnt 0x0
	v_dual_add_nc_u32 v81, 4, v68 :: v_dual_add_nc_u32 v11, v8, v11
	s_delay_alu instid0(VALU_DEP_1) | instskip(NEXT) | instid1(VALU_DEP_2)
	v_cmp_gt_u32_e32 vcc_lo, v81, v13
	v_dual_cndmask_b32 v9, v10, v9 :: v_dual_cndmask_b32 v8, v11, v8
	ds_bpermute_b32 v10, v82, v9
	ds_bpermute_b32 v11, v82, v8
	s_wait_dscnt 0x1
	v_dual_add_nc_u32 v83, 8, v68 :: v_dual_add_nc_u32 v10, v9, v10
	s_delay_alu instid0(VALU_DEP_1) | instskip(SKIP_1) | instid1(VALU_DEP_2)
	v_cmp_gt_u32_e32 vcc_lo, v83, v13
	s_wait_dscnt 0x0
	v_dual_add_nc_u32 v11, v8, v11 :: v_dual_cndmask_b32 v9, v10, v9, vcc_lo
	s_delay_alu instid0(VALU_DEP_1) | instskip(SKIP_3) | instid1(VALU_DEP_1)
	v_cndmask_b32_e32 v8, v11, v8, vcc_lo
	ds_bpermute_b32 v11, v84, v9
	ds_bpermute_b32 v10, v84, v8
	v_add_nc_u32_e32 v85, 16, v68
	v_cmp_le_u32_e32 vcc_lo, v85, v13
	s_wait_dscnt 0x0
	v_dual_cndmask_b32 v11, 0, v11 :: v_dual_cndmask_b32 v10, 0, v10
	s_delay_alu instid0(VALU_DEP_1)
	v_dual_add_nc_u32 v11, v11, v9 :: v_dual_add_nc_u32 v10, v10, v8
	s_branch .LBB1279_131
.LBB1279_128:                           ;   in Loop: Header=BB1279_131 Depth=1
	s_or_b32 exec_lo, exec_lo, s7
.LBB1279_129:                           ;   in Loop: Header=BB1279_131 Depth=1
	s_delay_alu instid0(SALU_CYCLE_1)
	s_or_b32 exec_lo, exec_lo, s6
	ds_bpermute_b32 v13, v76, v10
	ds_bpermute_b32 v32, v76, v11
	v_and_b32_e32 v33, 0xff, v12
	v_subrev_nc_u32_e32 v30, 32, v30
	s_mov_b32 s6, 0
	s_delay_alu instid0(VALU_DEP_2) | instskip(SKIP_1) | instid1(VALU_DEP_1)
	v_cmp_eq_u16_e32 vcc_lo, 2, v33
	v_and_or_b32 v33, vcc_lo, v77, 0x80000000
	v_ctz_i32_b32_e32 v33, v33
	s_wait_dscnt 0x0
	v_dual_add_nc_u32 v13, v13, v10 :: v_dual_add_nc_u32 v32, v32, v11
	s_delay_alu instid0(VALU_DEP_2) | instskip(NEXT) | instid1(VALU_DEP_2)
	v_cmp_lt_u32_e32 vcc_lo, v68, v33
	v_dual_cndmask_b32 v11, v11, v32 :: v_dual_cndmask_b32 v10, v10, v13
	v_cmp_gt_u32_e32 vcc_lo, v79, v33
	ds_bpermute_b32 v32, v78, v11
	ds_bpermute_b32 v13, v78, v10
	s_wait_dscnt 0x0
	v_dual_add_nc_u32 v32, v11, v32 :: v_dual_add_nc_u32 v13, v10, v13
	s_delay_alu instid0(VALU_DEP_1)
	v_dual_cndmask_b32 v11, v32, v11 :: v_dual_cndmask_b32 v10, v13, v10
	v_cmp_gt_u32_e32 vcc_lo, v81, v33
	ds_bpermute_b32 v32, v80, v11
	ds_bpermute_b32 v13, v80, v10
	s_wait_dscnt 0x0
	v_dual_add_nc_u32 v32, v11, v32 :: v_dual_add_nc_u32 v13, v10, v13
	s_delay_alu instid0(VALU_DEP_1)
	;; [unrolled: 7-line block ×3, first 2 shown]
	v_dual_cndmask_b32 v11, v32, v11 :: v_dual_cndmask_b32 v10, v13, v10
	v_cmp_le_u32_e32 vcc_lo, v85, v33
	ds_bpermute_b32 v32, v84, v11
	ds_bpermute_b32 v13, v84, v10
	s_wait_dscnt 0x0
	v_dual_cndmask_b32 v32, 0, v32 :: v_dual_cndmask_b32 v13, 0, v13
	s_delay_alu instid0(VALU_DEP_1) | instskip(NEXT) | instid1(VALU_DEP_2)
	v_add3_u32 v11, v11, v9, v32
	v_add3_u32 v10, v10, v8, v13
.LBB1279_130:                           ;   in Loop: Header=BB1279_131 Depth=1
	s_and_b32 vcc_lo, exec_lo, s6
	s_cbranch_vccnz .LBB1279_136
.LBB1279_131:                           ; =>This Loop Header: Depth=1
                                        ;     Child Loop BB1279_134 Depth 2
	v_and_b32_e32 v8, 0xff, v12
	s_mov_b32 s6, -1
                                        ; implicit-def: $vgpr12
	s_delay_alu instid0(VALU_DEP_1)
	v_cmp_ne_u16_e32 vcc_lo, 2, v8
	v_mov_b64_e32 v[8:9], v[10:11]
                                        ; implicit-def: $vgpr10_vgpr11
	s_cmp_lg_u32 vcc_lo, exec_lo
	s_cbranch_scc1 .LBB1279_130
; %bb.132:                              ;   in Loop: Header=BB1279_131 Depth=1
	v_lshl_add_u64 v[32:33], v[30:31], 4, s[36:37]
	;;#ASMSTART
	global_load_b128 v[10:13], v[32:33] off scope:SCOPE_DEV	
s_wait_loadcnt 0x0
	;;#ASMEND
	v_and_b32_e32 v13, 0xff, v12
	s_mov_b32 s6, exec_lo
	s_delay_alu instid0(VALU_DEP_1)
	v_cmpx_eq_u16_e32 0, v13
	s_cbranch_execz .LBB1279_129
; %bb.133:                              ;   in Loop: Header=BB1279_131 Depth=1
	s_mov_b32 s7, 0
.LBB1279_134:                           ;   Parent Loop BB1279_131 Depth=1
                                        ; =>  This Inner Loop Header: Depth=2
	;;#ASMSTART
	global_load_b128 v[10:13], v[32:33] off scope:SCOPE_DEV	
s_wait_loadcnt 0x0
	;;#ASMEND
	v_and_b32_e32 v13, 0xff, v12
	s_delay_alu instid0(VALU_DEP_1) | instskip(SKIP_1) | instid1(SALU_CYCLE_1)
	v_cmp_ne_u16_e32 vcc_lo, 0, v13
	s_or_b32 s7, vcc_lo, s7
	s_and_not1_b32 exec_lo, exec_lo, s7
	s_cbranch_execnz .LBB1279_134
	s_branch .LBB1279_128
.LBB1279_135:
                                        ; implicit-def: $vgpr1
                                        ; implicit-def: $vgpr8
                                        ; implicit-def: $vgpr10
                                        ; implicit-def: $vgpr12
                                        ; implicit-def: $vgpr28
	s_and_b32 vcc_lo, exec_lo, s4
	s_cbranch_vccnz .LBB1279_141
	s_branch .LBB1279_150
.LBB1279_136:
	s_and_saveexec_b32 s6, s3
	s_cbranch_execz .LBB1279_138
; %bb.137:
	s_add_co_i32 s8, s27, 32
	s_mov_b32 s9, 0
	v_dual_mov_b32 v12, 2 :: v_dual_mov_b32 v13, 0
	s_lshl_b64 s[8:9], s[8:9], 4
	v_dual_add_nc_u32 v11, v9, v7 :: v_dual_add_nc_u32 v10, v8, v6
	s_add_nc_u64 s[8:9], s[36:37], s[8:9]
	s_delay_alu instid0(SALU_CYCLE_1)
	v_mov_b64_e32 v[30:31], s[8:9]
	;;#ASMSTART
	global_store_b128 v[30:31], v[10:13] off scope:SCOPE_DEV	
s_wait_storecnt 0x0
	;;#ASMEND
	ds_store_b128 v13, v[6:9] offset:13312
.LBB1279_138:
	s_or_b32 exec_lo, exec_lo, s6
	s_delay_alu instid0(SALU_CYCLE_1)
	s_and_b32 exec_lo, exec_lo, s2
; %bb.139:
	v_mov_b32_e32 v6, 0
	ds_store_b64 v6, v[8:9] offset:56
.LBB1279_140:
	s_or_b32 exec_lo, exec_lo, s4
	s_wait_dscnt 0x0
	v_dual_mov_b32 v6, 0 :: v_dual_cndmask_b32 v1, v1, v29, s3
	s_barrier_signal -1
	s_barrier_wait -1
	ds_load_b64 v[12:13], v6 offset:56
	s_wait_dscnt 0x0
	s_barrier_signal -1
	s_barrier_wait -1
	ds_load_b128 v[6:9], v6 offset:13312
	v_cndmask_b32_e64 v10, v75, v28, s3
	s_delay_alu instid0(VALU_DEP_1) | instskip(SKIP_2) | instid1(VALU_DEP_2)
	v_dual_add_nc_u32 v1, v13, v1 :: v_dual_add_nc_u32 v11, v12, v10
	s_wait_dscnt 0x0
	v_mov_b32_e32 v10, v9
	v_dual_cndmask_b32 v1, v1, v13, s2 :: v_dual_cndmask_b32 v28, v11, v12, s2
	v_mov_b32_e32 v12, v7
	s_branch .LBB1279_150
.LBB1279_141:
	v_mov_b32_dpp v1, v73 row_shr:1 row_mask:0xf bank_mask:0xf
	v_mov_b32_dpp v6, v74 row_shr:1 row_mask:0xf bank_mask:0xf
	v_cmp_lt_u32_e32 vcc_lo, 3, v70
	s_delay_alu instid0(VALU_DEP_2) | instskip(NEXT) | instid1(VALU_DEP_1)
	v_dual_add_nc_u32 v1, v1, v73 :: v_dual_add_nc_u32 v6, v6, v74
	v_dual_cndmask_b32 v1, v1, v73, s1 :: v_dual_cndmask_b32 v6, v6, v74, s1
	s_mov_b32 s1, exec_lo
	s_delay_alu instid0(VALU_DEP_1) | instskip(NEXT) | instid1(VALU_DEP_2)
	v_mov_b32_dpp v7, v1 row_shr:2 row_mask:0xf bank_mask:0xf
	v_mov_b32_dpp v8, v6 row_shr:2 row_mask:0xf bank_mask:0xf
	s_delay_alu instid0(VALU_DEP_1) | instskip(NEXT) | instid1(VALU_DEP_1)
	v_dual_add_nc_u32 v7, v1, v7 :: v_dual_add_nc_u32 v8, v6, v8
	v_dual_cndmask_b32 v1, v1, v7, s0 :: v_dual_cndmask_b32 v6, v6, v8, s0
	s_delay_alu instid0(VALU_DEP_1) | instskip(NEXT) | instid1(VALU_DEP_2)
	v_mov_b32_dpp v7, v1 row_shr:4 row_mask:0xf bank_mask:0xf
	v_mov_b32_dpp v8, v6 row_shr:4 row_mask:0xf bank_mask:0xf
	s_delay_alu instid0(VALU_DEP_1) | instskip(NEXT) | instid1(VALU_DEP_1)
	v_dual_add_nc_u32 v7, v1, v7 :: v_dual_add_nc_u32 v8, v6, v8
	v_dual_cndmask_b32 v7, v1, v7 :: v_dual_cndmask_b32 v6, v6, v8
	v_cmp_lt_u32_e32 vcc_lo, 7, v70
	s_delay_alu instid0(VALU_DEP_2) | instskip(NEXT) | instid1(VALU_DEP_3)
	v_mov_b32_dpp v1, v7 row_shr:8 row_mask:0xf bank_mask:0xf
	v_mov_b32_dpp v8, v6 row_shr:8 row_mask:0xf bank_mask:0xf
	s_delay_alu instid0(VALU_DEP_1) | instskip(NEXT) | instid1(VALU_DEP_1)
	v_dual_add_nc_u32 v9, v7, v1 :: v_dual_add_nc_u32 v1, v6, v8
	v_cndmask_b32_e32 v1, v6, v1, vcc_lo
	s_delay_alu instid0(VALU_DEP_2)
	v_cndmask_b32_e32 v6, v7, v9, vcc_lo
	v_cmp_eq_u32_e32 vcc_lo, 0, v72
	ds_swizzle_b32 v8, v6 offset:swizzle(BROADCAST,32,15)
	s_wait_dscnt 0x0
	v_add_nc_u32_e32 v8, v6, v8
	ds_swizzle_b32 v7, v1 offset:swizzle(BROADCAST,32,15)
	s_wait_dscnt 0x0
	v_add_nc_u32_e32 v7, v1, v7
	v_cmpx_eq_u32_e64 v0, v71
; %bb.142:
	s_delay_alu instid0(VALU_DEP_2)
	v_dual_cndmask_b32 v10, v8, v6 :: v_dual_cndmask_b32 v11, v7, v1
	v_lshlrev_b32_e32 v9, 3, v69
	ds_store_b64 v9, v[10:11]
; %bb.143:
	s_or_b32 exec_lo, exec_lo, s1
	s_delay_alu instid0(SALU_CYCLE_1)
	s_mov_b32 s1, exec_lo
	s_wait_dscnt 0x0
	s_barrier_signal -1
	s_barrier_wait -1
	v_cmpx_gt_u32_e32 8, v0
	s_cbranch_execz .LBB1279_145
; %bb.144:
	v_lshlrev_b32_e32 v9, 3, v0
	ds_load_b64 v[10:11], v9
	s_wait_dscnt 0x0
	v_mov_b32_dpp v12, v10 row_shr:1 row_mask:0xf bank_mask:0xf
	v_mov_b32_dpp v13, v11 row_shr:1 row_mask:0xf bank_mask:0xf
	s_delay_alu instid0(VALU_DEP_2) | instskip(NEXT) | instid1(VALU_DEP_2)
	v_dual_add_nc_u32 v12, v12, v10 :: v_dual_bitop2_b32 v28, 7, v68 bitop3:0x40
	v_add_nc_u32_e32 v13, v13, v11
	s_delay_alu instid0(VALU_DEP_2) | instskip(NEXT) | instid1(VALU_DEP_1)
	v_cmp_eq_u32_e64 s0, 0, v28
	v_dual_cndmask_b32 v11, v13, v11, s0 :: v_dual_cndmask_b32 v10, v12, v10, s0
	v_cmp_lt_u32_e64 s0, 1, v28
	s_delay_alu instid0(VALU_DEP_2) | instskip(NEXT) | instid1(VALU_DEP_3)
	v_mov_b32_dpp v13, v11 row_shr:2 row_mask:0xf bank_mask:0xf
	v_mov_b32_dpp v12, v10 row_shr:2 row_mask:0xf bank_mask:0xf
	s_delay_alu instid0(VALU_DEP_1) | instskip(NEXT) | instid1(VALU_DEP_1)
	v_dual_add_nc_u32 v13, v11, v13 :: v_dual_add_nc_u32 v12, v10, v12
	v_dual_cndmask_b32 v11, v11, v13, s0 :: v_dual_cndmask_b32 v10, v10, v12, s0
	v_cmp_lt_u32_e64 s0, 3, v28
	s_delay_alu instid0(VALU_DEP_2) | instskip(NEXT) | instid1(VALU_DEP_3)
	v_mov_b32_dpp v13, v11 row_shr:4 row_mask:0xf bank_mask:0xf
	v_mov_b32_dpp v12, v10 row_shr:4 row_mask:0xf bank_mask:0xf
	s_delay_alu instid0(VALU_DEP_1) | instskip(NEXT) | instid1(VALU_DEP_1)
	v_dual_cndmask_b32 v13, 0, v13, s0 :: v_dual_cndmask_b32 v12, 0, v12, s0
	v_dual_add_nc_u32 v11, v13, v11 :: v_dual_add_nc_u32 v10, v12, v10
	ds_store_b64 v9, v[10:11]
.LBB1279_145:
	s_or_b32 exec_lo, exec_lo, s1
	v_dual_mov_b32 v9, 0 :: v_dual_mov_b32 v10, 0
	v_mov_b32_e32 v11, 0
	s_mov_b32 s1, exec_lo
	s_wait_dscnt 0x0
	s_barrier_signal -1
	s_barrier_wait -1
	v_cmpx_lt_u32_e32 31, v0
; %bb.146:
	v_lshl_add_u32 v10, v69, 3, -8
	ds_load_b64 v[10:11], v10
; %bb.147:
	s_or_b32 exec_lo, exec_lo, s1
	v_sub_co_u32 v12, s0, v68, 1
	v_dual_cndmask_b32 v6, v8, v6 :: v_dual_cndmask_b32 v1, v7, v1
	s_delay_alu instid0(VALU_DEP_2) | instskip(SKIP_1) | instid1(VALU_DEP_1)
	v_cmp_gt_i32_e64 s1, 0, v12
	s_wait_dscnt 0x0
	v_dual_add_nc_u32 v6, v10, v6 :: v_dual_cndmask_b32 v8, v12, v68, s1
	s_delay_alu instid0(VALU_DEP_1)
	v_dual_lshlrev_b32 v7, 2, v8 :: v_dual_add_nc_u32 v8, v11, v1
	ds_bpermute_b32 v1, v7, v6
	ds_bpermute_b32 v12, v7, v8
	ds_load_b64 v[6:7], v9 offset:56
	s_and_saveexec_b32 s1, s2
	s_cbranch_execz .LBB1279_149
; %bb.148:
	s_add_nc_u64 s[6:7], s[36:37], 0x200
	v_dual_mov_b32 v8, 2 :: v_dual_mov_b32 v9, 0
	v_mov_b64_e32 v[28:29], s[6:7]
	s_wait_dscnt 0x0
	;;#ASMSTART
	global_store_b128 v[28:29], v[6:9] off scope:SCOPE_DEV	
s_wait_storecnt 0x0
	;;#ASMEND
.LBB1279_149:
	s_or_b32 exec_lo, exec_lo, s1
	s_wait_dscnt 0x1
	v_dual_cndmask_b32 v9, v12, v11, s0 :: v_dual_cndmask_b32 v11, v1, v10, s0
	v_dual_mov_b32 v10, 0 :: v_dual_mov_b32 v8, 0
	s_wait_dscnt 0x0
	v_mov_b32_e32 v12, v7
	s_delay_alu instid0(VALU_DEP_3)
	v_cndmask_b32_e64 v1, v9, 0, s2
	v_cndmask_b32_e64 v28, v11, 0, s2
	s_barrier_signal -1
	s_barrier_wait -1
.LBB1279_150:
	s_delay_alu instid0(VALU_DEP_1) | instskip(SKIP_2) | instid1(VALU_DEP_3)
	v_dual_add_nc_u32 v74, v1, v67 :: v_dual_add_nc_u32 v75, v28, v66
	v_dual_lshrrev_b32 v72, 16, v42 :: v_dual_lshrrev_b32 v7, 8, v42
	v_dual_lshrrev_b32 v73, 8, v36 :: v_dual_lshrrev_b32 v71, 16, v36
	v_dual_add_nc_u32 v65, v74, v65 :: v_dual_add_nc_u32 v64, v75, v64
	v_dual_mov_b32 v9, 0 :: v_dual_lshlrev_b32 v66, 1, v6
	s_delay_alu instid0(VALU_DEP_2) | instskip(NEXT) | instid1(VALU_DEP_3)
	v_dual_add_nc_u32 v76, v65, v49 :: v_dual_bitop2_b32 v36, 1, v36 bitop3:0x40
	v_add_nc_u32_e32 v63, v64, v63
	v_dual_sub_nc_u32 v28, v28, v8 :: v_dual_sub_nc_u32 v1, v1, v10
	s_delay_alu instid0(VALU_DEP_3) | instskip(NEXT) | instid1(VALU_DEP_3)
	v_dual_add_nc_u32 v62, v76, v62 :: v_dual_bitop2_b32 v77, 1, v7 bitop3:0x40
	v_dual_mov_b32 v7, v9 :: v_dual_add_nc_u32 v78, v63, v48
	v_mov_b32_e32 v11, v9
	s_delay_alu instid0(VALU_DEP_3) | instskip(SKIP_1) | instid1(VALU_DEP_4)
	v_dual_add_nc_u32 v1, v1, v6 :: v_dual_add_nc_u32 v61, v62, v61
	v_add3_u32 v15, v66, v12, v15
	v_add_nc_u32_e32 v60, v78, v60
	s_delay_alu instid0(VALU_DEP_3) | instskip(NEXT) | instid1(VALU_DEP_4)
	v_dual_sub_nc_u32 v74, v74, v10 :: v_dual_add_nc_u32 v81, v28, v1
	v_dual_add_nc_u32 v79, v61, v59 :: v_dual_sub_nc_u32 v75, v75, v8
	s_delay_alu instid0(VALU_DEP_3) | instskip(SKIP_1) | instid1(VALU_DEP_4)
	v_add_nc_u32_e32 v80, v60, v58
	v_cmp_eq_u32_e32 vcc_lo, 1, v77
	v_dual_add_nc_u32 v74, v74, v6 :: v_dual_sub_nc_u32 v64, v64, v8
	s_delay_alu instid0(VALU_DEP_3) | instskip(SKIP_2) | instid1(VALU_DEP_3)
	v_dual_add_nc_u32 v82, v79, v47 :: v_dual_add_nc_u32 v56, v80, v56
	v_dual_sub_nc_u32 v81, v15, v81 :: v_dual_sub_nc_u32 v65, v65, v10
	v_sub_nc_u64_e32 v[58:59], v[4:5], v[6:7]
	v_dual_add_nc_u32 v57, v82, v57 :: v_dual_add_nc_u32 v83, v56, v46
	s_delay_alu instid0(VALU_DEP_3) | instskip(SKIP_1) | instid1(VALU_DEP_3)
	v_dual_cndmask_b32 v1, v81, v1, vcc_lo :: v_dual_add_nc_u32 v81, v74, v75
	v_cmp_eq_u32_e32 vcc_lo, 1, v36
	v_dual_add_nc_u32 v55, v57, v55 :: v_dual_add_nc_u32 v77, v83, v53
	v_and_b32_e32 v72, 1, v72
	v_dual_sub_nc_u32 v63, v63, v8 :: v_dual_bitop2_b32 v49, 1, v49 bitop3:0x40
	s_delay_alu instid0(VALU_DEP_3) | instskip(NEXT) | instid1(VALU_DEP_4)
	v_dual_cndmask_b32 v1, v1, v28 :: v_dual_add_nc_u32 v28, v55, v54
	v_add_nc_u32_e32 v36, v77, v52
	v_add_nc_u32_e32 v54, v65, v6
	v_add_nc_u64_e32 v[52:53], v[58:59], v[10:11]
	s_delay_alu instid0(VALU_DEP_4)
	v_lshlrev_b32_e32 v1, 2, v1
	v_add_nc_u32_e32 v58, v28, v45
	v_dual_add_nc_u32 v51, v36, v51 :: v_dual_sub_nc_u32 v59, v15, v81
	v_add_nc_u32_e32 v65, v54, v64
	ds_store_b32 v1, v26
	v_dual_add_nc_u32 v1, v58, v50 :: v_dual_add_nc_u32 v26, v51, v44
	v_dual_sub_nc_u32 v73, v76, v10 :: v_dual_bitop2_b32 v50, 1, v73 bitop3:0x40
	v_dual_sub_nc_u32 v65, v15, v65 :: v_dual_add_nc_u32 v59, 1, v59
	v_cmp_eq_u32_e32 vcc_lo, 1, v72
	s_delay_alu instid0(VALU_DEP_3) | instskip(NEXT) | instid1(VALU_DEP_3)
	v_dual_add_nc_u32 v73, v73, v6 :: v_dual_bitop2_b32 v71, 1, v71 bitop3:0x40
	v_add_nc_u32_e32 v65, 2, v65
	v_dual_lshrrev_b32 v70, 8, v37 :: v_dual_lshrrev_b32 v69, 16, v37
	v_cndmask_b32_e32 v59, v59, v74, vcc_lo
	v_cmp_eq_u32_e32 vcc_lo, 1, v49
	v_dual_add_nc_u32 v72, v63, v73 :: v_dual_lshrrev_b32 v33, 16, v38
	v_dual_lshrrev_b32 v68, 8, v38 :: v_dual_lshrrev_b32 v31, 16, v40
	v_dual_cndmask_b32 v49, v65, v54 :: v_dual_lshrrev_b32 v32, 8, v40
	v_cmp_eq_u32_e32 vcc_lo, 1, v50
	s_delay_alu instid0(VALU_DEP_4)
	v_dual_sub_nc_u32 v54, v15, v72 :: v_dual_lshrrev_b32 v30, 8, v41
	v_dual_lshrrev_b32 v29, 16, v41 :: v_dual_sub_nc_u32 v1, v1, v10
	v_cndmask_b32_e32 v50, v59, v75, vcc_lo
	v_cmp_eq_u32_e32 vcc_lo, 1, v71
	v_dual_sub_nc_u32 v59, v62, v10 :: v_dual_bitop2_b32 v37, 1, v37 bitop3:0x40
	v_dual_add_nc_u32 v54, 3, v54 :: v_dual_bitop2_b32 v48, 1, v48 bitop3:0x40
	v_cndmask_b32_e32 v49, v49, v64, vcc_lo
	v_dual_sub_nc_u32 v62, v78, v8 :: v_dual_lshlrev_b32 v50, 2, v50
	s_delay_alu instid0(VALU_DEP_4) | instskip(SKIP_1) | instid1(VALU_DEP_4)
	v_add_nc_u32_e32 v59, v59, v6
	v_cmp_eq_u32_e32 vcc_lo, 1, v37
	v_lshlrev_b32_e32 v49, 2, v49
	v_add_nc_u64_e32 v[2:3], v[2:3], v[8:9]
	ds_store_b32 v50, v27
	v_dual_sub_nc_u32 v27, v61, v10 :: v_dual_cndmask_b32 v37, v54, v73, vcc_lo
	v_add_nc_u32_e32 v54, v62, v59
	v_cmp_eq_u32_e32 vcc_lo, 1, v48
	ds_store_b32 v49, v24
	v_dual_sub_nc_u32 v48, v60, v8 :: v_dual_sub_nc_u32 v50, v79, v10
	v_dual_cndmask_b32 v37, v37, v63 :: v_dual_sub_nc_u32 v24, v15, v54
	v_dual_add_nc_u32 v27, v27, v6 :: v_dual_mov_b32 v67, v9
	s_delay_alu instid0(VALU_DEP_2) | instskip(NEXT) | instid1(VALU_DEP_3)
	v_dual_mov_b32 v13, v9 :: v_dual_add_nc_u32 v24, 4, v24
	v_dual_lshlrev_b32 v37, 2, v37 :: v_dual_bitop2_b32 v49, 1, v70 bitop3:0x40
	s_delay_alu instid0(VALU_DEP_3)
	v_add_nc_u32_e32 v54, v48, v27
	s_mov_b32 s0, -1
	v_and_b32_e32 v40, 1, v40
	ds_store_b32 v37, v25
	v_cmp_eq_u32_e32 vcc_lo, 1, v49
	v_dual_sub_nc_u32 v49, v80, v8 :: v_dual_bitop2_b32 v38, 1, v38 bitop3:0x40
	v_dual_add_nc_u32 v50, v50, v6 :: v_dual_bitop2_b32 v37, 1, v69 bitop3:0x40
	v_cndmask_b32_e32 v24, v24, v59, vcc_lo
	s_delay_alu instid0(VALU_DEP_3) | instskip(SKIP_1) | instid1(VALU_DEP_3)
	v_cmp_eq_u32_e32 vcc_lo, 1, v38
	v_and_b32_e32 v32, 1, v32
	v_dual_cndmask_b32 v24, v24, v62, vcc_lo :: v_dual_bitop2_b32 v31, 1, v31 bitop3:0x40
	v_sub_nc_u32_e32 v54, v15, v54
	v_cmp_eq_u32_e32 vcc_lo, 1, v37
	s_delay_alu instid0(VALU_DEP_3) | instskip(NEXT) | instid1(VALU_DEP_3)
	v_dual_sub_nc_u32 v37, v57, v10 :: v_dual_lshlrev_b32 v24, 2, v24
	v_add_nc_u32_e32 v38, 5, v54
	v_dual_add_nc_u32 v25, v49, v50 :: v_dual_bitop2_b32 v54, 1, v68 bitop3:0x40
	ds_store_b32 v24, v22
	v_dual_cndmask_b32 v27, v38, v27, vcc_lo :: v_dual_sub_nc_u32 v25, v15, v25
	v_and_b32_e32 v22, 1, v47
	v_cmp_eq_u32_e32 vcc_lo, 1, v54
	v_dual_sub_nc_u32 v38, v55, v10 :: v_dual_sub_nc_u32 v47, v77, v8
	s_delay_alu instid0(VALU_DEP_4) | instskip(SKIP_3) | instid1(VALU_DEP_3)
	v_dual_cndmask_b32 v25, v27, v48 :: v_dual_add_nc_u32 v24, 6, v25
	v_sub_nc_u32_e32 v27, v82, v10
	v_cmp_eq_u32_e32 vcc_lo, 1, v22
	v_and_b32_e32 v33, 1, v33
	v_dual_lshlrev_b32 v25, 2, v25 :: v_dual_add_nc_u32 v27, v27, v6
	v_cndmask_b32_e32 v22, v24, v50, vcc_lo
	v_sub_nc_u32_e32 v24, v56, v8
	s_delay_alu instid0(VALU_DEP_4)
	v_cmp_eq_u32_e32 vcc_lo, 1, v33
	ds_store_b32 v25, v23
	v_dual_sub_nc_u32 v23, v83, v8 :: v_dual_add_nc_u32 v25, v37, v6
	v_dual_cndmask_b32 v22, v22, v49 :: v_dual_add_nc_u32 v33, v24, v27
	v_and_b32_e32 v37, 1, v46
	v_cmp_eq_u32_e32 vcc_lo, 1, v40
	s_delay_alu instid0(VALU_DEP_4) | instskip(NEXT) | instid1(VALU_DEP_4)
	v_add_nc_u32_e32 v46, v23, v25
	v_dual_sub_nc_u32 v33, v15, v33 :: v_dual_lshlrev_b32 v22, 2, v22
	s_delay_alu instid0(VALU_DEP_1)
	v_dual_sub_nc_u32 v46, v15, v46 :: v_dual_add_nc_u32 v33, 7, v33
	v_add_nc_u32_e32 v38, v38, v6
	ds_store_b32 v22, v20
	v_dual_cndmask_b32 v27, v33, v27, vcc_lo :: v_dual_bitop2_b32 v22, 1, v45 bitop3:0x40
	v_cmp_eq_u32_e32 vcc_lo, 1, v37
	v_add_nc_u32_e32 v33, v47, v38
	s_delay_alu instid0(VALU_DEP_3) | instskip(SKIP_2) | instid1(VALU_DEP_3)
	v_dual_add_nc_u32 v40, 8, v46 :: v_dual_cndmask_b32 v24, v27, v24, vcc_lo
	v_and_b32_e32 v27, 1, v41
	v_cmp_eq_u32_e32 vcc_lo, 1, v32
	v_dual_sub_nc_u32 v33, v15, v33 :: v_dual_lshlrev_b32 v24, 2, v24
	s_delay_alu instid0(VALU_DEP_4) | instskip(NEXT) | instid1(VALU_DEP_4)
	v_cndmask_b32_e32 v25, v40, v25, vcc_lo
	v_cmp_eq_u32_e32 vcc_lo, 1, v27
	s_delay_alu instid0(VALU_DEP_3) | instskip(NEXT) | instid1(VALU_DEP_3)
	v_dual_add_nc_u32 v32, 9, v33 :: v_dual_bitop2_b32 v27, 1, v30 bitop3:0x40
	v_dual_cndmask_b32 v23, v25, v23 :: v_dual_sub_nc_u32 v30, v36, v8
	v_sub_nc_u32_e32 v25, v28, v10
	v_cmp_eq_u32_e32 vcc_lo, 1, v31
	s_delay_alu instid0(VALU_DEP_2)
	v_dual_lshlrev_b32 v23, 2, v23 :: v_dual_add_nc_u32 v25, v25, v6
	v_cndmask_b32_e32 v28, v32, v38, vcc_lo
	v_cmp_eq_u32_e32 vcc_lo, 1, v27
	ds_store_b32 v24, v21
	ds_store_b32 v23, v18
	v_sub_nc_u32_e32 v21, v58, v10
	v_dual_add_nc_u32 v20, v30, v25 :: v_dual_sub_nc_u32 v23, v51, v8
	v_dual_cndmask_b32 v27, v28, v47 :: v_dual_sub_nc_u32 v8, v26, v8
	s_delay_alu instid0(VALU_DEP_2) | instskip(NEXT) | instid1(VALU_DEP_2)
	v_dual_add_nc_u32 v1, v1, v6 :: v_dual_sub_nc_u32 v20, v15, v20
	v_dual_add_nc_u32 v21, v21, v6 :: v_dual_lshlrev_b32 v18, 2, v27
	v_cmp_eq_u32_e32 vcc_lo, 1, v22
	s_delay_alu instid0(VALU_DEP_3) | instskip(SKIP_3) | instid1(VALU_DEP_1)
	v_dual_add_nc_u32 v22, v8, v1 :: v_dual_add_nc_u32 v20, 10, v20
	ds_store_b32 v18, v19
	v_cndmask_b32_e32 v20, v20, v25, vcc_lo
	v_add_nc_u32_e32 v26, v23, v21
	v_dual_sub_nc_u32 v18, v15, v26 :: v_dual_bitop2_b32 v24, 1, v29 bitop3:0x40
	s_delay_alu instid0(VALU_DEP_1) | instskip(SKIP_1) | instid1(VALU_DEP_3)
	v_cmp_eq_u32_e32 vcc_lo, 1, v24
	v_dual_sub_nc_u32 v15, v15, v22 :: v_dual_bitop2_b32 v24, 1, v39 bitop3:0x40
	v_dual_add_nc_u32 v25, 11, v18 :: v_dual_bitop2_b32 v22, 1, v44 bitop3:0x40
	v_cndmask_b32_e32 v20, v20, v30, vcc_lo
	s_delay_alu instid0(VALU_DEP_3) | instskip(SKIP_4) | instid1(VALU_DEP_4)
	v_cmp_eq_u32_e32 vcc_lo, 1, v24
	v_and_b32_e32 v26, 1, v43
	v_dual_add_nc_u32 v15, 12, v15 :: v_dual_bitop2_b32 v24, 1, v42 bitop3:0x40
	v_add_nc_u64_e32 v[18:19], v[12:13], v[66:67]
	v_cndmask_b32_e32 v21, v25, v21, vcc_lo
	v_cmp_eq_u32_e32 vcc_lo, 1, v26
	s_delay_alu instid0(VALU_DEP_4)
	v_dual_cndmask_b32 v1, v15, v1 :: v_dual_lshlrev_b32 v20, 2, v20
	v_cmp_eq_u32_e32 vcc_lo, 1, v22
	v_add_nc_u64_e32 v[18:19], v[18:19], v[52:53]
	v_mov_b32_e32 v15, v9
	ds_store_b32 v20, v16
	v_cndmask_b32_e32 v21, v21, v23, vcc_lo
	v_cmp_eq_u32_e32 vcc_lo, 1, v24
	s_delay_alu instid0(VALU_DEP_2)
	v_dual_cndmask_b32 v1, v1, v8 :: v_dual_lshlrev_b32 v22, 2, v21
	v_add_nc_u64_e32 v[8:9], s[34:35], v[14:15]
	v_add_nc_u64_e32 v[14:15], v[18:19], v[2:3]
	v_lshlrev_b64_e32 v[18:19], 2, v[52:53]
	v_lshlrev_b64_e32 v[20:21], 2, v[2:3]
	v_lshlrev_b32_e32 v1, 2, v1
	v_cmp_ne_u32_e32 vcc_lo, 1, v35
	v_sub_nc_u64_e32 v[14:15], v[8:9], v[14:15]
	v_add_nc_u64_e32 v[8:9], s[30:31], v[18:19]
	v_add_nc_u32_e32 v18, v6, v12
	ds_store_b32 v22, v17
	ds_store_b32 v1, v34
	v_add_nc_u64_e32 v[16:17], s[28:29], v[20:21]
	s_wait_dscnt 0x0
	s_barrier_signal -1
	s_barrier_wait -1
	s_cbranch_vccz .LBB1279_154
; %bb.151:
	s_and_b32 vcc_lo, exec_lo, s0
	s_cbranch_vccnz .LBB1279_259
.LBB1279_152:
	s_and_b32 s0, s2, s26
	s_delay_alu instid0(SALU_CYCLE_1)
	s_and_saveexec_b32 s1, s0
	s_cbranch_execnz .LBB1279_377
.LBB1279_153:
	s_sendmsg sendmsg(MSG_DEALLOC_VGPRS)
	s_endpgm
.LBB1279_154:
	s_mov_b32 s0, exec_lo
	v_cmpx_ge_u32_e64 v0, v6
	s_xor_b32 s0, exec_lo, s0
	s_cbranch_execz .LBB1279_160
; %bb.155:
	v_mov_b32_e32 v1, 0
	s_mov_b32 s1, exec_lo
	v_cmpx_ge_u32_e64 v0, v18
	s_xor_b32 s1, exec_lo, s1
	s_cbranch_execz .LBB1279_157
; %bb.156:
	v_lshlrev_b32_e32 v19, 2, v0
	v_add_nc_u64_e32 v[20:21], v[14:15], v[0:1]
	ds_load_b32 v1, v19
	v_lshlrev_b64_e32 v[20:21], 2, v[20:21]
	s_delay_alu instid0(VALU_DEP_1)
	v_sub_nc_u64_e32 v[20:21], s[14:15], v[20:21]
	s_wait_dscnt 0x0
	global_store_b32 v[20:21], v1, off offset:-4
.LBB1279_157:
	s_wait_xcnt 0x0
	s_and_not1_saveexec_b32 s1, s1
	s_cbranch_execz .LBB1279_159
; %bb.158:
	v_lshlrev_b32_e32 v1, 2, v0
	v_readfirstlane_b32 s6, v8
	v_readfirstlane_b32 s7, v9
	ds_load_b32 v1, v1
	s_wait_dscnt 0x0
	global_store_b32 v0, v1, s[6:7] scale_offset
.LBB1279_159:
	s_wait_xcnt 0x0
	s_or_b32 exec_lo, exec_lo, s1
.LBB1279_160:
	s_and_not1_saveexec_b32 s0, s0
	s_cbranch_execz .LBB1279_162
; %bb.161:
	v_lshlrev_b32_e32 v1, 2, v0
	v_readfirstlane_b32 s6, v16
	v_readfirstlane_b32 s7, v17
	ds_load_b32 v1, v1
	s_wait_dscnt 0x0
	global_store_b32 v0, v1, s[6:7] scale_offset
.LBB1279_162:
	s_wait_xcnt 0x0
	s_or_b32 exec_lo, exec_lo, s0
	v_or_b32_e32 v1, 0x100, v0
	s_mov_b32 s0, exec_lo
	s_delay_alu instid0(VALU_DEP_1)
	v_cmpx_ge_u32_e64 v1, v6
	s_xor_b32 s0, exec_lo, s0
	s_cbranch_execz .LBB1279_168
; %bb.163:
	s_mov_b32 s1, exec_lo
	v_cmpx_ge_u32_e64 v1, v18
	s_xor_b32 s1, exec_lo, s1
	s_cbranch_execz .LBB1279_165
; %bb.164:
	v_dual_mov_b32 v1, 0 :: v_dual_lshlrev_b32 v19, 2, v0
	s_delay_alu instid0(VALU_DEP_1) | instskip(SKIP_2) | instid1(VALU_DEP_1)
	v_add_nc_u64_e32 v[20:21], v[14:15], v[0:1]
	ds_load_b32 v1, v19 offset:1024
	v_lshlrev_b64_e32 v[20:21], 2, v[20:21]
	v_sub_nc_u64_e32 v[20:21], s[14:15], v[20:21]
	s_wait_dscnt 0x0
	global_store_b32 v[20:21], v1, off offset:-1028
.LBB1279_165:
	s_wait_xcnt 0x0
	s_and_not1_saveexec_b32 s1, s1
	s_cbranch_execz .LBB1279_167
; %bb.166:
	v_lshlrev_b32_e32 v1, 2, v0
	v_readfirstlane_b32 s6, v8
	v_readfirstlane_b32 s7, v9
	ds_load_b32 v1, v1 offset:1024
	s_wait_dscnt 0x0
	global_store_b32 v0, v1, s[6:7] offset:1024 scale_offset
.LBB1279_167:
	s_wait_xcnt 0x0
	s_or_b32 exec_lo, exec_lo, s1
.LBB1279_168:
	s_and_not1_saveexec_b32 s0, s0
	s_cbranch_execz .LBB1279_170
; %bb.169:
	v_lshlrev_b32_e32 v1, 2, v0
	v_readfirstlane_b32 s6, v16
	v_readfirstlane_b32 s7, v17
	ds_load_b32 v1, v1 offset:1024
	s_wait_dscnt 0x0
	global_store_b32 v0, v1, s[6:7] offset:1024 scale_offset
.LBB1279_170:
	s_wait_xcnt 0x0
	s_or_b32 exec_lo, exec_lo, s0
	v_or_b32_e32 v1, 0x200, v0
	s_mov_b32 s0, exec_lo
	s_delay_alu instid0(VALU_DEP_1)
	v_cmpx_ge_u32_e64 v1, v6
	s_xor_b32 s0, exec_lo, s0
	s_cbranch_execz .LBB1279_176
; %bb.171:
	s_mov_b32 s1, exec_lo
	v_cmpx_ge_u32_e64 v1, v18
	s_xor_b32 s1, exec_lo, s1
	s_cbranch_execz .LBB1279_173
; %bb.172:
	v_dual_mov_b32 v1, 0 :: v_dual_lshlrev_b32 v19, 2, v0
	s_delay_alu instid0(VALU_DEP_1) | instskip(SKIP_2) | instid1(VALU_DEP_1)
	v_add_nc_u64_e32 v[20:21], v[14:15], v[0:1]
	ds_load_b32 v1, v19 offset:2048
	v_lshlrev_b64_e32 v[20:21], 2, v[20:21]
	v_sub_nc_u64_e32 v[20:21], s[14:15], v[20:21]
	s_wait_dscnt 0x0
	global_store_b32 v[20:21], v1, off offset:-2052
.LBB1279_173:
	s_wait_xcnt 0x0
	s_and_not1_saveexec_b32 s1, s1
	s_cbranch_execz .LBB1279_175
; %bb.174:
	v_lshlrev_b32_e32 v1, 2, v0
	v_readfirstlane_b32 s6, v8
	v_readfirstlane_b32 s7, v9
	ds_load_b32 v1, v1 offset:2048
	s_wait_dscnt 0x0
	global_store_b32 v0, v1, s[6:7] offset:2048 scale_offset
.LBB1279_175:
	s_wait_xcnt 0x0
	s_or_b32 exec_lo, exec_lo, s1
.LBB1279_176:
	s_and_not1_saveexec_b32 s0, s0
	s_cbranch_execz .LBB1279_178
; %bb.177:
	v_lshlrev_b32_e32 v1, 2, v0
	v_readfirstlane_b32 s6, v16
	v_readfirstlane_b32 s7, v17
	ds_load_b32 v1, v1 offset:2048
	s_wait_dscnt 0x0
	global_store_b32 v0, v1, s[6:7] offset:2048 scale_offset
.LBB1279_178:
	;; [unrolled: 47-line block ×12, first 2 shown]
	s_wait_xcnt 0x0
	s_or_b32 exec_lo, exec_lo, s0
	s_branch .LBB1279_152
.LBB1279_259:
	s_mov_b32 s0, exec_lo
	v_cmpx_gt_u32_e64 s5, v0
	s_cbranch_execz .LBB1279_268
; %bb.260:
	s_mov_b32 s1, exec_lo
	v_cmpx_ge_u32_e64 v0, v6
	s_xor_b32 s1, exec_lo, s1
	s_cbranch_execz .LBB1279_266
; %bb.261:
	v_mov_b32_e32 v1, 0
	s_mov_b32 s3, exec_lo
	v_cmpx_ge_u32_e64 v0, v18
	s_xor_b32 s3, exec_lo, s3
	s_cbranch_execz .LBB1279_263
; %bb.262:
	v_lshlrev_b32_e32 v19, 2, v0
	v_add_nc_u64_e32 v[20:21], v[14:15], v[0:1]
	ds_load_b32 v1, v19
	v_lshlrev_b64_e32 v[20:21], 2, v[20:21]
	s_delay_alu instid0(VALU_DEP_1)
	v_sub_nc_u64_e32 v[20:21], s[14:15], v[20:21]
	s_wait_dscnt 0x0
	global_store_b32 v[20:21], v1, off offset:-4
.LBB1279_263:
	s_wait_xcnt 0x0
	s_and_not1_saveexec_b32 s3, s3
	s_cbranch_execz .LBB1279_265
; %bb.264:
	v_lshlrev_b32_e32 v1, 2, v0
	v_readfirstlane_b32 s6, v8
	v_readfirstlane_b32 s7, v9
	ds_load_b32 v1, v1
	s_wait_dscnt 0x0
	global_store_b32 v0, v1, s[6:7] scale_offset
.LBB1279_265:
	s_wait_xcnt 0x0
	s_or_b32 exec_lo, exec_lo, s3
.LBB1279_266:
	s_and_not1_saveexec_b32 s1, s1
	s_cbranch_execz .LBB1279_268
; %bb.267:
	v_lshlrev_b32_e32 v1, 2, v0
	v_readfirstlane_b32 s6, v16
	v_readfirstlane_b32 s7, v17
	ds_load_b32 v1, v1
	s_wait_dscnt 0x0
	global_store_b32 v0, v1, s[6:7] scale_offset
.LBB1279_268:
	s_wait_xcnt 0x0
	s_or_b32 exec_lo, exec_lo, s0
	v_or_b32_e32 v1, 0x100, v0
	s_mov_b32 s0, exec_lo
	s_delay_alu instid0(VALU_DEP_1)
	v_cmpx_gt_u32_e64 s5, v1
	s_cbranch_execz .LBB1279_277
; %bb.269:
	s_mov_b32 s1, exec_lo
	v_cmpx_ge_u32_e64 v1, v6
	s_xor_b32 s1, exec_lo, s1
	s_cbranch_execz .LBB1279_275
; %bb.270:
	s_mov_b32 s3, exec_lo
	v_cmpx_ge_u32_e64 v1, v18
	s_xor_b32 s3, exec_lo, s3
	s_cbranch_execz .LBB1279_272
; %bb.271:
	v_dual_mov_b32 v1, 0 :: v_dual_lshlrev_b32 v19, 2, v0
	s_delay_alu instid0(VALU_DEP_1) | instskip(SKIP_2) | instid1(VALU_DEP_1)
	v_add_nc_u64_e32 v[20:21], v[14:15], v[0:1]
	ds_load_b32 v1, v19 offset:1024
	v_lshlrev_b64_e32 v[20:21], 2, v[20:21]
	v_sub_nc_u64_e32 v[20:21], s[14:15], v[20:21]
	s_wait_dscnt 0x0
	global_store_b32 v[20:21], v1, off offset:-1028
.LBB1279_272:
	s_wait_xcnt 0x0
	s_and_not1_saveexec_b32 s3, s3
	s_cbranch_execz .LBB1279_274
; %bb.273:
	v_lshlrev_b32_e32 v1, 2, v0
	v_readfirstlane_b32 s6, v8
	v_readfirstlane_b32 s7, v9
	ds_load_b32 v1, v1 offset:1024
	s_wait_dscnt 0x0
	global_store_b32 v0, v1, s[6:7] offset:1024 scale_offset
.LBB1279_274:
	s_wait_xcnt 0x0
	s_or_b32 exec_lo, exec_lo, s3
.LBB1279_275:
	s_and_not1_saveexec_b32 s1, s1
	s_cbranch_execz .LBB1279_277
; %bb.276:
	v_lshlrev_b32_e32 v1, 2, v0
	v_readfirstlane_b32 s6, v16
	v_readfirstlane_b32 s7, v17
	ds_load_b32 v1, v1 offset:1024
	s_wait_dscnt 0x0
	global_store_b32 v0, v1, s[6:7] offset:1024 scale_offset
.LBB1279_277:
	s_wait_xcnt 0x0
	s_or_b32 exec_lo, exec_lo, s0
	v_or_b32_e32 v1, 0x200, v0
	s_mov_b32 s0, exec_lo
	s_delay_alu instid0(VALU_DEP_1)
	v_cmpx_gt_u32_e64 s5, v1
	s_cbranch_execz .LBB1279_286
; %bb.278:
	s_mov_b32 s1, exec_lo
	v_cmpx_ge_u32_e64 v1, v6
	s_xor_b32 s1, exec_lo, s1
	s_cbranch_execz .LBB1279_284
; %bb.279:
	s_mov_b32 s3, exec_lo
	v_cmpx_ge_u32_e64 v1, v18
	s_xor_b32 s3, exec_lo, s3
	s_cbranch_execz .LBB1279_281
; %bb.280:
	v_dual_mov_b32 v1, 0 :: v_dual_lshlrev_b32 v19, 2, v0
	s_delay_alu instid0(VALU_DEP_1) | instskip(SKIP_2) | instid1(VALU_DEP_1)
	v_add_nc_u64_e32 v[20:21], v[14:15], v[0:1]
	ds_load_b32 v1, v19 offset:2048
	v_lshlrev_b64_e32 v[20:21], 2, v[20:21]
	v_sub_nc_u64_e32 v[20:21], s[14:15], v[20:21]
	s_wait_dscnt 0x0
	global_store_b32 v[20:21], v1, off offset:-2052
.LBB1279_281:
	s_wait_xcnt 0x0
	s_and_not1_saveexec_b32 s3, s3
	s_cbranch_execz .LBB1279_283
; %bb.282:
	v_lshlrev_b32_e32 v1, 2, v0
	v_readfirstlane_b32 s6, v8
	v_readfirstlane_b32 s7, v9
	ds_load_b32 v1, v1 offset:2048
	s_wait_dscnt 0x0
	global_store_b32 v0, v1, s[6:7] offset:2048 scale_offset
.LBB1279_283:
	s_wait_xcnt 0x0
	s_or_b32 exec_lo, exec_lo, s3
.LBB1279_284:
	s_and_not1_saveexec_b32 s1, s1
	s_cbranch_execz .LBB1279_286
; %bb.285:
	v_lshlrev_b32_e32 v1, 2, v0
	v_readfirstlane_b32 s6, v16
	v_readfirstlane_b32 s7, v17
	ds_load_b32 v1, v1 offset:2048
	s_wait_dscnt 0x0
	global_store_b32 v0, v1, s[6:7] offset:2048 scale_offset
.LBB1279_286:
	s_wait_xcnt 0x0
	s_or_b32 exec_lo, exec_lo, s0
	v_or_b32_e32 v1, 0x300, v0
	s_mov_b32 s0, exec_lo
	s_delay_alu instid0(VALU_DEP_1)
	v_cmpx_gt_u32_e64 s5, v1
	s_cbranch_execz .LBB1279_295
; %bb.287:
	s_mov_b32 s1, exec_lo
	v_cmpx_ge_u32_e64 v1, v6
	s_xor_b32 s1, exec_lo, s1
	s_cbranch_execz .LBB1279_293
; %bb.288:
	s_mov_b32 s3, exec_lo
	v_cmpx_ge_u32_e64 v1, v18
	s_xor_b32 s3, exec_lo, s3
	s_cbranch_execz .LBB1279_290
; %bb.289:
	v_dual_mov_b32 v1, 0 :: v_dual_lshlrev_b32 v19, 2, v0
	s_delay_alu instid0(VALU_DEP_1) | instskip(SKIP_2) | instid1(VALU_DEP_1)
	v_add_nc_u64_e32 v[20:21], v[14:15], v[0:1]
	ds_load_b32 v1, v19 offset:3072
	v_lshlrev_b64_e32 v[20:21], 2, v[20:21]
	v_sub_nc_u64_e32 v[20:21], s[14:15], v[20:21]
	s_wait_dscnt 0x0
	global_store_b32 v[20:21], v1, off offset:-3076
.LBB1279_290:
	s_wait_xcnt 0x0
	s_and_not1_saveexec_b32 s3, s3
	s_cbranch_execz .LBB1279_292
; %bb.291:
	v_lshlrev_b32_e32 v1, 2, v0
	v_readfirstlane_b32 s6, v8
	v_readfirstlane_b32 s7, v9
	ds_load_b32 v1, v1 offset:3072
	s_wait_dscnt 0x0
	global_store_b32 v0, v1, s[6:7] offset:3072 scale_offset
.LBB1279_292:
	s_wait_xcnt 0x0
	s_or_b32 exec_lo, exec_lo, s3
.LBB1279_293:
	s_and_not1_saveexec_b32 s1, s1
	s_cbranch_execz .LBB1279_295
; %bb.294:
	v_lshlrev_b32_e32 v1, 2, v0
	v_readfirstlane_b32 s6, v16
	v_readfirstlane_b32 s7, v17
	ds_load_b32 v1, v1 offset:3072
	s_wait_dscnt 0x0
	global_store_b32 v0, v1, s[6:7] offset:3072 scale_offset
.LBB1279_295:
	s_wait_xcnt 0x0
	s_or_b32 exec_lo, exec_lo, s0
	v_or_b32_e32 v1, 0x400, v0
	s_mov_b32 s0, exec_lo
	s_delay_alu instid0(VALU_DEP_1)
	v_cmpx_gt_u32_e64 s5, v1
	s_cbranch_execz .LBB1279_304
; %bb.296:
	s_mov_b32 s1, exec_lo
	v_cmpx_ge_u32_e64 v1, v6
	s_xor_b32 s1, exec_lo, s1
	s_cbranch_execz .LBB1279_302
; %bb.297:
	s_mov_b32 s3, exec_lo
	v_cmpx_ge_u32_e64 v1, v18
	s_xor_b32 s3, exec_lo, s3
	s_cbranch_execz .LBB1279_299
; %bb.298:
	v_dual_mov_b32 v1, 0 :: v_dual_lshlrev_b32 v19, 2, v0
	s_delay_alu instid0(VALU_DEP_1) | instskip(SKIP_2) | instid1(VALU_DEP_1)
	v_add_nc_u64_e32 v[20:21], v[14:15], v[0:1]
	ds_load_b32 v1, v19 offset:4096
	v_lshlrev_b64_e32 v[20:21], 2, v[20:21]
	v_sub_nc_u64_e32 v[20:21], s[14:15], v[20:21]
	s_wait_dscnt 0x0
	global_store_b32 v[20:21], v1, off offset:-4100
.LBB1279_299:
	s_wait_xcnt 0x0
	s_and_not1_saveexec_b32 s3, s3
	s_cbranch_execz .LBB1279_301
; %bb.300:
	v_lshlrev_b32_e32 v1, 2, v0
	v_readfirstlane_b32 s6, v8
	v_readfirstlane_b32 s7, v9
	ds_load_b32 v1, v1 offset:4096
	s_wait_dscnt 0x0
	global_store_b32 v0, v1, s[6:7] offset:4096 scale_offset
.LBB1279_301:
	s_wait_xcnt 0x0
	s_or_b32 exec_lo, exec_lo, s3
.LBB1279_302:
	s_and_not1_saveexec_b32 s1, s1
	s_cbranch_execz .LBB1279_304
; %bb.303:
	v_lshlrev_b32_e32 v1, 2, v0
	v_readfirstlane_b32 s6, v16
	v_readfirstlane_b32 s7, v17
	ds_load_b32 v1, v1 offset:4096
	s_wait_dscnt 0x0
	global_store_b32 v0, v1, s[6:7] offset:4096 scale_offset
.LBB1279_304:
	s_wait_xcnt 0x0
	s_or_b32 exec_lo, exec_lo, s0
	v_or_b32_e32 v1, 0x500, v0
	s_mov_b32 s0, exec_lo
	s_delay_alu instid0(VALU_DEP_1)
	v_cmpx_gt_u32_e64 s5, v1
	s_cbranch_execz .LBB1279_313
; %bb.305:
	s_mov_b32 s1, exec_lo
	v_cmpx_ge_u32_e64 v1, v6
	s_xor_b32 s1, exec_lo, s1
	s_cbranch_execz .LBB1279_311
; %bb.306:
	s_mov_b32 s3, exec_lo
	v_cmpx_ge_u32_e64 v1, v18
	s_xor_b32 s3, exec_lo, s3
	s_cbranch_execz .LBB1279_308
; %bb.307:
	v_dual_mov_b32 v1, 0 :: v_dual_lshlrev_b32 v19, 2, v0
	s_delay_alu instid0(VALU_DEP_1) | instskip(SKIP_2) | instid1(VALU_DEP_1)
	v_add_nc_u64_e32 v[20:21], v[14:15], v[0:1]
	ds_load_b32 v1, v19 offset:5120
	v_lshlrev_b64_e32 v[20:21], 2, v[20:21]
	v_sub_nc_u64_e32 v[20:21], s[14:15], v[20:21]
	s_wait_dscnt 0x0
	global_store_b32 v[20:21], v1, off offset:-5124
.LBB1279_308:
	s_wait_xcnt 0x0
	s_and_not1_saveexec_b32 s3, s3
	s_cbranch_execz .LBB1279_310
; %bb.309:
	v_lshlrev_b32_e32 v1, 2, v0
	v_readfirstlane_b32 s6, v8
	v_readfirstlane_b32 s7, v9
	ds_load_b32 v1, v1 offset:5120
	s_wait_dscnt 0x0
	global_store_b32 v0, v1, s[6:7] offset:5120 scale_offset
.LBB1279_310:
	s_wait_xcnt 0x0
	s_or_b32 exec_lo, exec_lo, s3
.LBB1279_311:
	s_and_not1_saveexec_b32 s1, s1
	s_cbranch_execz .LBB1279_313
; %bb.312:
	v_lshlrev_b32_e32 v1, 2, v0
	v_readfirstlane_b32 s6, v16
	v_readfirstlane_b32 s7, v17
	ds_load_b32 v1, v1 offset:5120
	s_wait_dscnt 0x0
	global_store_b32 v0, v1, s[6:7] offset:5120 scale_offset
.LBB1279_313:
	s_wait_xcnt 0x0
	s_or_b32 exec_lo, exec_lo, s0
	v_or_b32_e32 v1, 0x600, v0
	s_mov_b32 s0, exec_lo
	s_delay_alu instid0(VALU_DEP_1)
	v_cmpx_gt_u32_e64 s5, v1
	s_cbranch_execz .LBB1279_322
; %bb.314:
	s_mov_b32 s1, exec_lo
	v_cmpx_ge_u32_e64 v1, v6
	s_xor_b32 s1, exec_lo, s1
	s_cbranch_execz .LBB1279_320
; %bb.315:
	s_mov_b32 s3, exec_lo
	v_cmpx_ge_u32_e64 v1, v18
	s_xor_b32 s3, exec_lo, s3
	s_cbranch_execz .LBB1279_317
; %bb.316:
	v_dual_mov_b32 v1, 0 :: v_dual_lshlrev_b32 v19, 2, v0
	s_delay_alu instid0(VALU_DEP_1) | instskip(SKIP_2) | instid1(VALU_DEP_1)
	v_add_nc_u64_e32 v[20:21], v[14:15], v[0:1]
	ds_load_b32 v1, v19 offset:6144
	v_lshlrev_b64_e32 v[20:21], 2, v[20:21]
	v_sub_nc_u64_e32 v[20:21], s[14:15], v[20:21]
	s_wait_dscnt 0x0
	global_store_b32 v[20:21], v1, off offset:-6148
.LBB1279_317:
	s_wait_xcnt 0x0
	s_and_not1_saveexec_b32 s3, s3
	s_cbranch_execz .LBB1279_319
; %bb.318:
	v_lshlrev_b32_e32 v1, 2, v0
	v_readfirstlane_b32 s6, v8
	v_readfirstlane_b32 s7, v9
	ds_load_b32 v1, v1 offset:6144
	s_wait_dscnt 0x0
	global_store_b32 v0, v1, s[6:7] offset:6144 scale_offset
.LBB1279_319:
	s_wait_xcnt 0x0
	s_or_b32 exec_lo, exec_lo, s3
.LBB1279_320:
	s_and_not1_saveexec_b32 s1, s1
	s_cbranch_execz .LBB1279_322
; %bb.321:
	v_lshlrev_b32_e32 v1, 2, v0
	v_readfirstlane_b32 s6, v16
	v_readfirstlane_b32 s7, v17
	ds_load_b32 v1, v1 offset:6144
	s_wait_dscnt 0x0
	global_store_b32 v0, v1, s[6:7] offset:6144 scale_offset
.LBB1279_322:
	s_wait_xcnt 0x0
	s_or_b32 exec_lo, exec_lo, s0
	v_or_b32_e32 v1, 0x700, v0
	s_mov_b32 s0, exec_lo
	s_delay_alu instid0(VALU_DEP_1)
	v_cmpx_gt_u32_e64 s5, v1
	s_cbranch_execz .LBB1279_331
; %bb.323:
	s_mov_b32 s1, exec_lo
	v_cmpx_ge_u32_e64 v1, v6
	s_xor_b32 s1, exec_lo, s1
	s_cbranch_execz .LBB1279_329
; %bb.324:
	s_mov_b32 s3, exec_lo
	v_cmpx_ge_u32_e64 v1, v18
	s_xor_b32 s3, exec_lo, s3
	s_cbranch_execz .LBB1279_326
; %bb.325:
	v_dual_mov_b32 v1, 0 :: v_dual_lshlrev_b32 v19, 2, v0
	s_delay_alu instid0(VALU_DEP_1) | instskip(SKIP_2) | instid1(VALU_DEP_1)
	v_add_nc_u64_e32 v[20:21], v[14:15], v[0:1]
	ds_load_b32 v1, v19 offset:7168
	v_lshlrev_b64_e32 v[20:21], 2, v[20:21]
	v_sub_nc_u64_e32 v[20:21], s[14:15], v[20:21]
	s_wait_dscnt 0x0
	global_store_b32 v[20:21], v1, off offset:-7172
.LBB1279_326:
	s_wait_xcnt 0x0
	s_and_not1_saveexec_b32 s3, s3
	s_cbranch_execz .LBB1279_328
; %bb.327:
	v_lshlrev_b32_e32 v1, 2, v0
	v_readfirstlane_b32 s6, v8
	v_readfirstlane_b32 s7, v9
	ds_load_b32 v1, v1 offset:7168
	s_wait_dscnt 0x0
	global_store_b32 v0, v1, s[6:7] offset:7168 scale_offset
.LBB1279_328:
	s_wait_xcnt 0x0
	s_or_b32 exec_lo, exec_lo, s3
.LBB1279_329:
	s_and_not1_saveexec_b32 s1, s1
	s_cbranch_execz .LBB1279_331
; %bb.330:
	v_lshlrev_b32_e32 v1, 2, v0
	v_readfirstlane_b32 s6, v16
	v_readfirstlane_b32 s7, v17
	ds_load_b32 v1, v1 offset:7168
	s_wait_dscnt 0x0
	global_store_b32 v0, v1, s[6:7] offset:7168 scale_offset
.LBB1279_331:
	s_wait_xcnt 0x0
	s_or_b32 exec_lo, exec_lo, s0
	v_or_b32_e32 v1, 0x800, v0
	s_mov_b32 s0, exec_lo
	s_delay_alu instid0(VALU_DEP_1)
	v_cmpx_gt_u32_e64 s5, v1
	s_cbranch_execz .LBB1279_340
; %bb.332:
	s_mov_b32 s1, exec_lo
	v_cmpx_ge_u32_e64 v1, v6
	s_xor_b32 s1, exec_lo, s1
	s_cbranch_execz .LBB1279_338
; %bb.333:
	s_mov_b32 s3, exec_lo
	v_cmpx_ge_u32_e64 v1, v18
	s_xor_b32 s3, exec_lo, s3
	s_cbranch_execz .LBB1279_335
; %bb.334:
	v_dual_mov_b32 v1, 0 :: v_dual_lshlrev_b32 v19, 2, v0
	s_delay_alu instid0(VALU_DEP_1) | instskip(SKIP_2) | instid1(VALU_DEP_1)
	v_add_nc_u64_e32 v[20:21], v[14:15], v[0:1]
	ds_load_b32 v1, v19 offset:8192
	v_lshlrev_b64_e32 v[20:21], 2, v[20:21]
	v_sub_nc_u64_e32 v[20:21], s[14:15], v[20:21]
	s_wait_dscnt 0x0
	global_store_b32 v[20:21], v1, off offset:-8196
.LBB1279_335:
	s_wait_xcnt 0x0
	s_and_not1_saveexec_b32 s3, s3
	s_cbranch_execz .LBB1279_337
; %bb.336:
	v_lshlrev_b32_e32 v1, 2, v0
	v_readfirstlane_b32 s6, v8
	v_readfirstlane_b32 s7, v9
	ds_load_b32 v1, v1 offset:8192
	s_wait_dscnt 0x0
	global_store_b32 v0, v1, s[6:7] offset:8192 scale_offset
.LBB1279_337:
	s_wait_xcnt 0x0
	s_or_b32 exec_lo, exec_lo, s3
.LBB1279_338:
	s_and_not1_saveexec_b32 s1, s1
	s_cbranch_execz .LBB1279_340
; %bb.339:
	v_lshlrev_b32_e32 v1, 2, v0
	v_readfirstlane_b32 s6, v16
	v_readfirstlane_b32 s7, v17
	ds_load_b32 v1, v1 offset:8192
	s_wait_dscnt 0x0
	global_store_b32 v0, v1, s[6:7] offset:8192 scale_offset
.LBB1279_340:
	s_wait_xcnt 0x0
	s_or_b32 exec_lo, exec_lo, s0
	v_or_b32_e32 v1, 0x900, v0
	s_mov_b32 s0, exec_lo
	s_delay_alu instid0(VALU_DEP_1)
	v_cmpx_gt_u32_e64 s5, v1
	s_cbranch_execz .LBB1279_349
; %bb.341:
	s_mov_b32 s1, exec_lo
	v_cmpx_ge_u32_e64 v1, v6
	s_xor_b32 s1, exec_lo, s1
	s_cbranch_execz .LBB1279_347
; %bb.342:
	s_mov_b32 s3, exec_lo
	v_cmpx_ge_u32_e64 v1, v18
	s_xor_b32 s3, exec_lo, s3
	s_cbranch_execz .LBB1279_344
; %bb.343:
	v_dual_mov_b32 v1, 0 :: v_dual_lshlrev_b32 v19, 2, v0
	s_delay_alu instid0(VALU_DEP_1) | instskip(SKIP_2) | instid1(VALU_DEP_1)
	v_add_nc_u64_e32 v[20:21], v[14:15], v[0:1]
	ds_load_b32 v1, v19 offset:9216
	v_lshlrev_b64_e32 v[20:21], 2, v[20:21]
	v_sub_nc_u64_e32 v[20:21], s[14:15], v[20:21]
	s_wait_dscnt 0x0
	global_store_b32 v[20:21], v1, off offset:-9220
.LBB1279_344:
	s_wait_xcnt 0x0
	s_and_not1_saveexec_b32 s3, s3
	s_cbranch_execz .LBB1279_346
; %bb.345:
	v_lshlrev_b32_e32 v1, 2, v0
	v_readfirstlane_b32 s6, v8
	v_readfirstlane_b32 s7, v9
	ds_load_b32 v1, v1 offset:9216
	s_wait_dscnt 0x0
	global_store_b32 v0, v1, s[6:7] offset:9216 scale_offset
.LBB1279_346:
	s_wait_xcnt 0x0
	s_or_b32 exec_lo, exec_lo, s3
.LBB1279_347:
	s_and_not1_saveexec_b32 s1, s1
	s_cbranch_execz .LBB1279_349
; %bb.348:
	v_lshlrev_b32_e32 v1, 2, v0
	v_readfirstlane_b32 s6, v16
	v_readfirstlane_b32 s7, v17
	ds_load_b32 v1, v1 offset:9216
	s_wait_dscnt 0x0
	global_store_b32 v0, v1, s[6:7] offset:9216 scale_offset
.LBB1279_349:
	s_wait_xcnt 0x0
	s_or_b32 exec_lo, exec_lo, s0
	v_or_b32_e32 v1, 0xa00, v0
	s_mov_b32 s0, exec_lo
	s_delay_alu instid0(VALU_DEP_1)
	v_cmpx_gt_u32_e64 s5, v1
	s_cbranch_execz .LBB1279_358
; %bb.350:
	s_mov_b32 s1, exec_lo
	v_cmpx_ge_u32_e64 v1, v6
	s_xor_b32 s1, exec_lo, s1
	s_cbranch_execz .LBB1279_356
; %bb.351:
	s_mov_b32 s3, exec_lo
	v_cmpx_ge_u32_e64 v1, v18
	s_xor_b32 s3, exec_lo, s3
	s_cbranch_execz .LBB1279_353
; %bb.352:
	v_dual_mov_b32 v1, 0 :: v_dual_lshlrev_b32 v19, 2, v0
	s_delay_alu instid0(VALU_DEP_1) | instskip(SKIP_2) | instid1(VALU_DEP_1)
	v_add_nc_u64_e32 v[20:21], v[14:15], v[0:1]
	ds_load_b32 v1, v19 offset:10240
	v_lshlrev_b64_e32 v[20:21], 2, v[20:21]
	v_sub_nc_u64_e32 v[20:21], s[14:15], v[20:21]
	s_wait_dscnt 0x0
	global_store_b32 v[20:21], v1, off offset:-10244
.LBB1279_353:
	s_wait_xcnt 0x0
	s_and_not1_saveexec_b32 s3, s3
	s_cbranch_execz .LBB1279_355
; %bb.354:
	v_lshlrev_b32_e32 v1, 2, v0
	v_readfirstlane_b32 s6, v8
	v_readfirstlane_b32 s7, v9
	ds_load_b32 v1, v1 offset:10240
	s_wait_dscnt 0x0
	global_store_b32 v0, v1, s[6:7] offset:10240 scale_offset
.LBB1279_355:
	s_wait_xcnt 0x0
	s_or_b32 exec_lo, exec_lo, s3
.LBB1279_356:
	s_and_not1_saveexec_b32 s1, s1
	s_cbranch_execz .LBB1279_358
; %bb.357:
	v_lshlrev_b32_e32 v1, 2, v0
	v_readfirstlane_b32 s6, v16
	v_readfirstlane_b32 s7, v17
	ds_load_b32 v1, v1 offset:10240
	s_wait_dscnt 0x0
	global_store_b32 v0, v1, s[6:7] offset:10240 scale_offset
.LBB1279_358:
	s_wait_xcnt 0x0
	s_or_b32 exec_lo, exec_lo, s0
	v_or_b32_e32 v1, 0xb00, v0
	s_mov_b32 s0, exec_lo
	s_delay_alu instid0(VALU_DEP_1)
	v_cmpx_gt_u32_e64 s5, v1
	s_cbranch_execz .LBB1279_367
; %bb.359:
	s_mov_b32 s1, exec_lo
	v_cmpx_ge_u32_e64 v1, v6
	s_xor_b32 s1, exec_lo, s1
	s_cbranch_execz .LBB1279_365
; %bb.360:
	s_mov_b32 s3, exec_lo
	v_cmpx_ge_u32_e64 v1, v18
	s_xor_b32 s3, exec_lo, s3
	s_cbranch_execz .LBB1279_362
; %bb.361:
	v_dual_mov_b32 v1, 0 :: v_dual_lshlrev_b32 v19, 2, v0
	s_delay_alu instid0(VALU_DEP_1) | instskip(SKIP_2) | instid1(VALU_DEP_1)
	v_add_nc_u64_e32 v[20:21], v[14:15], v[0:1]
	ds_load_b32 v1, v19 offset:11264
	v_lshlrev_b64_e32 v[20:21], 2, v[20:21]
	v_sub_nc_u64_e32 v[20:21], s[14:15], v[20:21]
	s_wait_dscnt 0x0
	global_store_b32 v[20:21], v1, off offset:-11268
.LBB1279_362:
	s_wait_xcnt 0x0
	s_and_not1_saveexec_b32 s3, s3
	s_cbranch_execz .LBB1279_364
; %bb.363:
	v_lshlrev_b32_e32 v1, 2, v0
	v_readfirstlane_b32 s6, v8
	v_readfirstlane_b32 s7, v9
	ds_load_b32 v1, v1 offset:11264
	s_wait_dscnt 0x0
	global_store_b32 v0, v1, s[6:7] offset:11264 scale_offset
.LBB1279_364:
	s_wait_xcnt 0x0
	s_or_b32 exec_lo, exec_lo, s3
.LBB1279_365:
	s_and_not1_saveexec_b32 s1, s1
	s_cbranch_execz .LBB1279_367
; %bb.366:
	v_lshlrev_b32_e32 v1, 2, v0
	v_readfirstlane_b32 s6, v16
	v_readfirstlane_b32 s7, v17
	ds_load_b32 v1, v1 offset:11264
	s_wait_dscnt 0x0
	global_store_b32 v0, v1, s[6:7] offset:11264 scale_offset
.LBB1279_367:
	s_wait_xcnt 0x0
	s_or_b32 exec_lo, exec_lo, s0
	v_or_b32_e32 v1, 0xc00, v0
	s_mov_b32 s0, exec_lo
	s_delay_alu instid0(VALU_DEP_1)
	v_cmpx_gt_u32_e64 s5, v1
	s_cbranch_execz .LBB1279_376
; %bb.368:
	s_mov_b32 s1, exec_lo
	v_cmpx_ge_u32_e64 v1, v6
	s_xor_b32 s1, exec_lo, s1
	s_cbranch_execz .LBB1279_374
; %bb.369:
	s_mov_b32 s3, exec_lo
	v_cmpx_ge_u32_e64 v1, v18
	s_xor_b32 s3, exec_lo, s3
	s_cbranch_execz .LBB1279_371
; %bb.370:
	v_dual_mov_b32 v1, 0 :: v_dual_lshlrev_b32 v8, 2, v0
	s_delay_alu instid0(VALU_DEP_1) | instskip(SKIP_2) | instid1(VALU_DEP_1)
	v_add_nc_u64_e32 v[0:1], v[14:15], v[0:1]
	ds_load_b32 v8, v8 offset:12288
	v_lshlrev_b64_e32 v[0:1], 2, v[0:1]
	v_sub_nc_u64_e32 v[0:1], s[14:15], v[0:1]
	s_wait_dscnt 0x0
	global_store_b32 v[0:1], v8, off offset:-12292
                                        ; implicit-def: $vgpr0
                                        ; implicit-def: $vgpr8_vgpr9
.LBB1279_371:
	s_wait_xcnt 0x0
	s_and_not1_saveexec_b32 s3, s3
	s_cbranch_execz .LBB1279_373
; %bb.372:
	v_lshlrev_b32_e32 v1, 2, v0
	v_readfirstlane_b32 s4, v8
	v_readfirstlane_b32 s5, v9
	ds_load_b32 v1, v1 offset:12288
	s_wait_dscnt 0x0
	global_store_b32 v0, v1, s[4:5] offset:12288 scale_offset
.LBB1279_373:
	s_wait_xcnt 0x0
	s_or_b32 exec_lo, exec_lo, s3
                                        ; implicit-def: $vgpr0
                                        ; implicit-def: $vgpr16_vgpr17
.LBB1279_374:
	s_and_not1_saveexec_b32 s1, s1
	s_cbranch_execz .LBB1279_376
; %bb.375:
	v_lshlrev_b32_e32 v1, 2, v0
	v_readfirstlane_b32 s4, v16
	v_readfirstlane_b32 s5, v17
	ds_load_b32 v1, v1 offset:12288
	s_wait_dscnt 0x0
	global_store_b32 v0, v1, s[4:5] offset:12288 scale_offset
.LBB1279_376:
	s_wait_xcnt 0x0
	s_or_b32 exec_lo, exec_lo, s0
	s_and_b32 s0, s2, s26
	s_delay_alu instid0(SALU_CYCLE_1)
	s_and_saveexec_b32 s1, s0
	s_cbranch_execz .LBB1279_153
.LBB1279_377:
	v_add_nc_u64_e32 v[0:1], v[4:5], v[12:13]
	v_add_nc_u64_e32 v[2:3], v[2:3], v[6:7]
	s_delay_alu instid0(VALU_DEP_2)
	v_add_nc_u64_e32 v[4:5], v[0:1], v[10:11]
	v_mov_b32_e32 v0, 0
	global_store_b128 v0, v[2:5], s[24:25]
	s_sendmsg sendmsg(MSG_DEALLOC_VGPRS)
	s_endpgm
	.section	.rodata,"a",@progbits
	.p2align	6, 0x0
	.amdhsa_kernel _ZN7rocprim17ROCPRIM_400000_NS6detail17trampoline_kernelINS0_13select_configILj256ELj13ELNS0_17block_load_methodE3ELS4_3ELS4_3ELNS0_20block_scan_algorithmE0ELj4294967295EEENS1_25partition_config_selectorILNS1_17partition_subalgoE4EjNS0_10empty_typeEbEEZZNS1_14partition_implILS8_4ELb0ES6_15HIP_vector_typeIjLj2EENS0_17counting_iteratorIjlEEPS9_SG_NS0_5tupleIJPjSI_NS0_16reverse_iteratorISI_EEEEENSH_IJSG_SG_SG_EEES9_SI_JZNS1_25segmented_radix_sort_implINS0_14default_configELb1EPKfPfPKlPlN2at6native12_GLOBAL__N_18offset_tEEE10hipError_tPvRmT1_PNSt15iterator_traitsIS12_E10value_typeET2_T3_PNS13_IS18_E10value_typeET4_jRbjT5_S1E_jjP12ihipStream_tbEUljE_ZNSN_ISO_Lb1ESQ_SR_ST_SU_SY_EESZ_S10_S11_S12_S16_S17_S18_S1B_S1C_jS1D_jS1E_S1E_jjS1G_bEUljE0_EEESZ_S10_S11_S18_S1C_S1E_T6_T7_T9_mT8_S1G_bDpT10_ENKUlT_T0_E_clISt17integral_constantIbLb0EES1T_IbLb1EEEEDaS1P_S1Q_EUlS1P_E_NS1_11comp_targetILNS1_3genE0ELNS1_11target_archE4294967295ELNS1_3gpuE0ELNS1_3repE0EEENS1_30default_config_static_selectorELNS0_4arch9wavefront6targetE0EEEvS12_
		.amdhsa_group_segment_fixed_size 13328
		.amdhsa_private_segment_fixed_size 0
		.amdhsa_kernarg_size 184
		.amdhsa_user_sgpr_count 2
		.amdhsa_user_sgpr_dispatch_ptr 0
		.amdhsa_user_sgpr_queue_ptr 0
		.amdhsa_user_sgpr_kernarg_segment_ptr 1
		.amdhsa_user_sgpr_dispatch_id 0
		.amdhsa_user_sgpr_kernarg_preload_length 0
		.amdhsa_user_sgpr_kernarg_preload_offset 0
		.amdhsa_user_sgpr_private_segment_size 0
		.amdhsa_wavefront_size32 1
		.amdhsa_uses_dynamic_stack 0
		.amdhsa_enable_private_segment 0
		.amdhsa_system_sgpr_workgroup_id_x 1
		.amdhsa_system_sgpr_workgroup_id_y 0
		.amdhsa_system_sgpr_workgroup_id_z 0
		.amdhsa_system_sgpr_workgroup_info 0
		.amdhsa_system_vgpr_workitem_id 0
		.amdhsa_next_free_vgpr 86
		.amdhsa_next_free_sgpr 55
		.amdhsa_named_barrier_count 0
		.amdhsa_reserve_vcc 1
		.amdhsa_float_round_mode_32 0
		.amdhsa_float_round_mode_16_64 0
		.amdhsa_float_denorm_mode_32 3
		.amdhsa_float_denorm_mode_16_64 3
		.amdhsa_fp16_overflow 0
		.amdhsa_memory_ordered 1
		.amdhsa_forward_progress 1
		.amdhsa_inst_pref_size 140
		.amdhsa_round_robin_scheduling 0
		.amdhsa_exception_fp_ieee_invalid_op 0
		.amdhsa_exception_fp_denorm_src 0
		.amdhsa_exception_fp_ieee_div_zero 0
		.amdhsa_exception_fp_ieee_overflow 0
		.amdhsa_exception_fp_ieee_underflow 0
		.amdhsa_exception_fp_ieee_inexact 0
		.amdhsa_exception_int_div_zero 0
	.end_amdhsa_kernel
	.section	.text._ZN7rocprim17ROCPRIM_400000_NS6detail17trampoline_kernelINS0_13select_configILj256ELj13ELNS0_17block_load_methodE3ELS4_3ELS4_3ELNS0_20block_scan_algorithmE0ELj4294967295EEENS1_25partition_config_selectorILNS1_17partition_subalgoE4EjNS0_10empty_typeEbEEZZNS1_14partition_implILS8_4ELb0ES6_15HIP_vector_typeIjLj2EENS0_17counting_iteratorIjlEEPS9_SG_NS0_5tupleIJPjSI_NS0_16reverse_iteratorISI_EEEEENSH_IJSG_SG_SG_EEES9_SI_JZNS1_25segmented_radix_sort_implINS0_14default_configELb1EPKfPfPKlPlN2at6native12_GLOBAL__N_18offset_tEEE10hipError_tPvRmT1_PNSt15iterator_traitsIS12_E10value_typeET2_T3_PNS13_IS18_E10value_typeET4_jRbjT5_S1E_jjP12ihipStream_tbEUljE_ZNSN_ISO_Lb1ESQ_SR_ST_SU_SY_EESZ_S10_S11_S12_S16_S17_S18_S1B_S1C_jS1D_jS1E_S1E_jjS1G_bEUljE0_EEESZ_S10_S11_S18_S1C_S1E_T6_T7_T9_mT8_S1G_bDpT10_ENKUlT_T0_E_clISt17integral_constantIbLb0EES1T_IbLb1EEEEDaS1P_S1Q_EUlS1P_E_NS1_11comp_targetILNS1_3genE0ELNS1_11target_archE4294967295ELNS1_3gpuE0ELNS1_3repE0EEENS1_30default_config_static_selectorELNS0_4arch9wavefront6targetE0EEEvS12_,"axG",@progbits,_ZN7rocprim17ROCPRIM_400000_NS6detail17trampoline_kernelINS0_13select_configILj256ELj13ELNS0_17block_load_methodE3ELS4_3ELS4_3ELNS0_20block_scan_algorithmE0ELj4294967295EEENS1_25partition_config_selectorILNS1_17partition_subalgoE4EjNS0_10empty_typeEbEEZZNS1_14partition_implILS8_4ELb0ES6_15HIP_vector_typeIjLj2EENS0_17counting_iteratorIjlEEPS9_SG_NS0_5tupleIJPjSI_NS0_16reverse_iteratorISI_EEEEENSH_IJSG_SG_SG_EEES9_SI_JZNS1_25segmented_radix_sort_implINS0_14default_configELb1EPKfPfPKlPlN2at6native12_GLOBAL__N_18offset_tEEE10hipError_tPvRmT1_PNSt15iterator_traitsIS12_E10value_typeET2_T3_PNS13_IS18_E10value_typeET4_jRbjT5_S1E_jjP12ihipStream_tbEUljE_ZNSN_ISO_Lb1ESQ_SR_ST_SU_SY_EESZ_S10_S11_S12_S16_S17_S18_S1B_S1C_jS1D_jS1E_S1E_jjS1G_bEUljE0_EEESZ_S10_S11_S18_S1C_S1E_T6_T7_T9_mT8_S1G_bDpT10_ENKUlT_T0_E_clISt17integral_constantIbLb0EES1T_IbLb1EEEEDaS1P_S1Q_EUlS1P_E_NS1_11comp_targetILNS1_3genE0ELNS1_11target_archE4294967295ELNS1_3gpuE0ELNS1_3repE0EEENS1_30default_config_static_selectorELNS0_4arch9wavefront6targetE0EEEvS12_,comdat
.Lfunc_end1279:
	.size	_ZN7rocprim17ROCPRIM_400000_NS6detail17trampoline_kernelINS0_13select_configILj256ELj13ELNS0_17block_load_methodE3ELS4_3ELS4_3ELNS0_20block_scan_algorithmE0ELj4294967295EEENS1_25partition_config_selectorILNS1_17partition_subalgoE4EjNS0_10empty_typeEbEEZZNS1_14partition_implILS8_4ELb0ES6_15HIP_vector_typeIjLj2EENS0_17counting_iteratorIjlEEPS9_SG_NS0_5tupleIJPjSI_NS0_16reverse_iteratorISI_EEEEENSH_IJSG_SG_SG_EEES9_SI_JZNS1_25segmented_radix_sort_implINS0_14default_configELb1EPKfPfPKlPlN2at6native12_GLOBAL__N_18offset_tEEE10hipError_tPvRmT1_PNSt15iterator_traitsIS12_E10value_typeET2_T3_PNS13_IS18_E10value_typeET4_jRbjT5_S1E_jjP12ihipStream_tbEUljE_ZNSN_ISO_Lb1ESQ_SR_ST_SU_SY_EESZ_S10_S11_S12_S16_S17_S18_S1B_S1C_jS1D_jS1E_S1E_jjS1G_bEUljE0_EEESZ_S10_S11_S18_S1C_S1E_T6_T7_T9_mT8_S1G_bDpT10_ENKUlT_T0_E_clISt17integral_constantIbLb0EES1T_IbLb1EEEEDaS1P_S1Q_EUlS1P_E_NS1_11comp_targetILNS1_3genE0ELNS1_11target_archE4294967295ELNS1_3gpuE0ELNS1_3repE0EEENS1_30default_config_static_selectorELNS0_4arch9wavefront6targetE0EEEvS12_, .Lfunc_end1279-_ZN7rocprim17ROCPRIM_400000_NS6detail17trampoline_kernelINS0_13select_configILj256ELj13ELNS0_17block_load_methodE3ELS4_3ELS4_3ELNS0_20block_scan_algorithmE0ELj4294967295EEENS1_25partition_config_selectorILNS1_17partition_subalgoE4EjNS0_10empty_typeEbEEZZNS1_14partition_implILS8_4ELb0ES6_15HIP_vector_typeIjLj2EENS0_17counting_iteratorIjlEEPS9_SG_NS0_5tupleIJPjSI_NS0_16reverse_iteratorISI_EEEEENSH_IJSG_SG_SG_EEES9_SI_JZNS1_25segmented_radix_sort_implINS0_14default_configELb1EPKfPfPKlPlN2at6native12_GLOBAL__N_18offset_tEEE10hipError_tPvRmT1_PNSt15iterator_traitsIS12_E10value_typeET2_T3_PNS13_IS18_E10value_typeET4_jRbjT5_S1E_jjP12ihipStream_tbEUljE_ZNSN_ISO_Lb1ESQ_SR_ST_SU_SY_EESZ_S10_S11_S12_S16_S17_S18_S1B_S1C_jS1D_jS1E_S1E_jjS1G_bEUljE0_EEESZ_S10_S11_S18_S1C_S1E_T6_T7_T9_mT8_S1G_bDpT10_ENKUlT_T0_E_clISt17integral_constantIbLb0EES1T_IbLb1EEEEDaS1P_S1Q_EUlS1P_E_NS1_11comp_targetILNS1_3genE0ELNS1_11target_archE4294967295ELNS1_3gpuE0ELNS1_3repE0EEENS1_30default_config_static_selectorELNS0_4arch9wavefront6targetE0EEEvS12_
                                        ; -- End function
	.set _ZN7rocprim17ROCPRIM_400000_NS6detail17trampoline_kernelINS0_13select_configILj256ELj13ELNS0_17block_load_methodE3ELS4_3ELS4_3ELNS0_20block_scan_algorithmE0ELj4294967295EEENS1_25partition_config_selectorILNS1_17partition_subalgoE4EjNS0_10empty_typeEbEEZZNS1_14partition_implILS8_4ELb0ES6_15HIP_vector_typeIjLj2EENS0_17counting_iteratorIjlEEPS9_SG_NS0_5tupleIJPjSI_NS0_16reverse_iteratorISI_EEEEENSH_IJSG_SG_SG_EEES9_SI_JZNS1_25segmented_radix_sort_implINS0_14default_configELb1EPKfPfPKlPlN2at6native12_GLOBAL__N_18offset_tEEE10hipError_tPvRmT1_PNSt15iterator_traitsIS12_E10value_typeET2_T3_PNS13_IS18_E10value_typeET4_jRbjT5_S1E_jjP12ihipStream_tbEUljE_ZNSN_ISO_Lb1ESQ_SR_ST_SU_SY_EESZ_S10_S11_S12_S16_S17_S18_S1B_S1C_jS1D_jS1E_S1E_jjS1G_bEUljE0_EEESZ_S10_S11_S18_S1C_S1E_T6_T7_T9_mT8_S1G_bDpT10_ENKUlT_T0_E_clISt17integral_constantIbLb0EES1T_IbLb1EEEEDaS1P_S1Q_EUlS1P_E_NS1_11comp_targetILNS1_3genE0ELNS1_11target_archE4294967295ELNS1_3gpuE0ELNS1_3repE0EEENS1_30default_config_static_selectorELNS0_4arch9wavefront6targetE0EEEvS12_.num_vgpr, 86
	.set _ZN7rocprim17ROCPRIM_400000_NS6detail17trampoline_kernelINS0_13select_configILj256ELj13ELNS0_17block_load_methodE3ELS4_3ELS4_3ELNS0_20block_scan_algorithmE0ELj4294967295EEENS1_25partition_config_selectorILNS1_17partition_subalgoE4EjNS0_10empty_typeEbEEZZNS1_14partition_implILS8_4ELb0ES6_15HIP_vector_typeIjLj2EENS0_17counting_iteratorIjlEEPS9_SG_NS0_5tupleIJPjSI_NS0_16reverse_iteratorISI_EEEEENSH_IJSG_SG_SG_EEES9_SI_JZNS1_25segmented_radix_sort_implINS0_14default_configELb1EPKfPfPKlPlN2at6native12_GLOBAL__N_18offset_tEEE10hipError_tPvRmT1_PNSt15iterator_traitsIS12_E10value_typeET2_T3_PNS13_IS18_E10value_typeET4_jRbjT5_S1E_jjP12ihipStream_tbEUljE_ZNSN_ISO_Lb1ESQ_SR_ST_SU_SY_EESZ_S10_S11_S12_S16_S17_S18_S1B_S1C_jS1D_jS1E_S1E_jjS1G_bEUljE0_EEESZ_S10_S11_S18_S1C_S1E_T6_T7_T9_mT8_S1G_bDpT10_ENKUlT_T0_E_clISt17integral_constantIbLb0EES1T_IbLb1EEEEDaS1P_S1Q_EUlS1P_E_NS1_11comp_targetILNS1_3genE0ELNS1_11target_archE4294967295ELNS1_3gpuE0ELNS1_3repE0EEENS1_30default_config_static_selectorELNS0_4arch9wavefront6targetE0EEEvS12_.num_agpr, 0
	.set _ZN7rocprim17ROCPRIM_400000_NS6detail17trampoline_kernelINS0_13select_configILj256ELj13ELNS0_17block_load_methodE3ELS4_3ELS4_3ELNS0_20block_scan_algorithmE0ELj4294967295EEENS1_25partition_config_selectorILNS1_17partition_subalgoE4EjNS0_10empty_typeEbEEZZNS1_14partition_implILS8_4ELb0ES6_15HIP_vector_typeIjLj2EENS0_17counting_iteratorIjlEEPS9_SG_NS0_5tupleIJPjSI_NS0_16reverse_iteratorISI_EEEEENSH_IJSG_SG_SG_EEES9_SI_JZNS1_25segmented_radix_sort_implINS0_14default_configELb1EPKfPfPKlPlN2at6native12_GLOBAL__N_18offset_tEEE10hipError_tPvRmT1_PNSt15iterator_traitsIS12_E10value_typeET2_T3_PNS13_IS18_E10value_typeET4_jRbjT5_S1E_jjP12ihipStream_tbEUljE_ZNSN_ISO_Lb1ESQ_SR_ST_SU_SY_EESZ_S10_S11_S12_S16_S17_S18_S1B_S1C_jS1D_jS1E_S1E_jjS1G_bEUljE0_EEESZ_S10_S11_S18_S1C_S1E_T6_T7_T9_mT8_S1G_bDpT10_ENKUlT_T0_E_clISt17integral_constantIbLb0EES1T_IbLb1EEEEDaS1P_S1Q_EUlS1P_E_NS1_11comp_targetILNS1_3genE0ELNS1_11target_archE4294967295ELNS1_3gpuE0ELNS1_3repE0EEENS1_30default_config_static_selectorELNS0_4arch9wavefront6targetE0EEEvS12_.numbered_sgpr, 55
	.set _ZN7rocprim17ROCPRIM_400000_NS6detail17trampoline_kernelINS0_13select_configILj256ELj13ELNS0_17block_load_methodE3ELS4_3ELS4_3ELNS0_20block_scan_algorithmE0ELj4294967295EEENS1_25partition_config_selectorILNS1_17partition_subalgoE4EjNS0_10empty_typeEbEEZZNS1_14partition_implILS8_4ELb0ES6_15HIP_vector_typeIjLj2EENS0_17counting_iteratorIjlEEPS9_SG_NS0_5tupleIJPjSI_NS0_16reverse_iteratorISI_EEEEENSH_IJSG_SG_SG_EEES9_SI_JZNS1_25segmented_radix_sort_implINS0_14default_configELb1EPKfPfPKlPlN2at6native12_GLOBAL__N_18offset_tEEE10hipError_tPvRmT1_PNSt15iterator_traitsIS12_E10value_typeET2_T3_PNS13_IS18_E10value_typeET4_jRbjT5_S1E_jjP12ihipStream_tbEUljE_ZNSN_ISO_Lb1ESQ_SR_ST_SU_SY_EESZ_S10_S11_S12_S16_S17_S18_S1B_S1C_jS1D_jS1E_S1E_jjS1G_bEUljE0_EEESZ_S10_S11_S18_S1C_S1E_T6_T7_T9_mT8_S1G_bDpT10_ENKUlT_T0_E_clISt17integral_constantIbLb0EES1T_IbLb1EEEEDaS1P_S1Q_EUlS1P_E_NS1_11comp_targetILNS1_3genE0ELNS1_11target_archE4294967295ELNS1_3gpuE0ELNS1_3repE0EEENS1_30default_config_static_selectorELNS0_4arch9wavefront6targetE0EEEvS12_.num_named_barrier, 0
	.set _ZN7rocprim17ROCPRIM_400000_NS6detail17trampoline_kernelINS0_13select_configILj256ELj13ELNS0_17block_load_methodE3ELS4_3ELS4_3ELNS0_20block_scan_algorithmE0ELj4294967295EEENS1_25partition_config_selectorILNS1_17partition_subalgoE4EjNS0_10empty_typeEbEEZZNS1_14partition_implILS8_4ELb0ES6_15HIP_vector_typeIjLj2EENS0_17counting_iteratorIjlEEPS9_SG_NS0_5tupleIJPjSI_NS0_16reverse_iteratorISI_EEEEENSH_IJSG_SG_SG_EEES9_SI_JZNS1_25segmented_radix_sort_implINS0_14default_configELb1EPKfPfPKlPlN2at6native12_GLOBAL__N_18offset_tEEE10hipError_tPvRmT1_PNSt15iterator_traitsIS12_E10value_typeET2_T3_PNS13_IS18_E10value_typeET4_jRbjT5_S1E_jjP12ihipStream_tbEUljE_ZNSN_ISO_Lb1ESQ_SR_ST_SU_SY_EESZ_S10_S11_S12_S16_S17_S18_S1B_S1C_jS1D_jS1E_S1E_jjS1G_bEUljE0_EEESZ_S10_S11_S18_S1C_S1E_T6_T7_T9_mT8_S1G_bDpT10_ENKUlT_T0_E_clISt17integral_constantIbLb0EES1T_IbLb1EEEEDaS1P_S1Q_EUlS1P_E_NS1_11comp_targetILNS1_3genE0ELNS1_11target_archE4294967295ELNS1_3gpuE0ELNS1_3repE0EEENS1_30default_config_static_selectorELNS0_4arch9wavefront6targetE0EEEvS12_.private_seg_size, 0
	.set _ZN7rocprim17ROCPRIM_400000_NS6detail17trampoline_kernelINS0_13select_configILj256ELj13ELNS0_17block_load_methodE3ELS4_3ELS4_3ELNS0_20block_scan_algorithmE0ELj4294967295EEENS1_25partition_config_selectorILNS1_17partition_subalgoE4EjNS0_10empty_typeEbEEZZNS1_14partition_implILS8_4ELb0ES6_15HIP_vector_typeIjLj2EENS0_17counting_iteratorIjlEEPS9_SG_NS0_5tupleIJPjSI_NS0_16reverse_iteratorISI_EEEEENSH_IJSG_SG_SG_EEES9_SI_JZNS1_25segmented_radix_sort_implINS0_14default_configELb1EPKfPfPKlPlN2at6native12_GLOBAL__N_18offset_tEEE10hipError_tPvRmT1_PNSt15iterator_traitsIS12_E10value_typeET2_T3_PNS13_IS18_E10value_typeET4_jRbjT5_S1E_jjP12ihipStream_tbEUljE_ZNSN_ISO_Lb1ESQ_SR_ST_SU_SY_EESZ_S10_S11_S12_S16_S17_S18_S1B_S1C_jS1D_jS1E_S1E_jjS1G_bEUljE0_EEESZ_S10_S11_S18_S1C_S1E_T6_T7_T9_mT8_S1G_bDpT10_ENKUlT_T0_E_clISt17integral_constantIbLb0EES1T_IbLb1EEEEDaS1P_S1Q_EUlS1P_E_NS1_11comp_targetILNS1_3genE0ELNS1_11target_archE4294967295ELNS1_3gpuE0ELNS1_3repE0EEENS1_30default_config_static_selectorELNS0_4arch9wavefront6targetE0EEEvS12_.uses_vcc, 1
	.set _ZN7rocprim17ROCPRIM_400000_NS6detail17trampoline_kernelINS0_13select_configILj256ELj13ELNS0_17block_load_methodE3ELS4_3ELS4_3ELNS0_20block_scan_algorithmE0ELj4294967295EEENS1_25partition_config_selectorILNS1_17partition_subalgoE4EjNS0_10empty_typeEbEEZZNS1_14partition_implILS8_4ELb0ES6_15HIP_vector_typeIjLj2EENS0_17counting_iteratorIjlEEPS9_SG_NS0_5tupleIJPjSI_NS0_16reverse_iteratorISI_EEEEENSH_IJSG_SG_SG_EEES9_SI_JZNS1_25segmented_radix_sort_implINS0_14default_configELb1EPKfPfPKlPlN2at6native12_GLOBAL__N_18offset_tEEE10hipError_tPvRmT1_PNSt15iterator_traitsIS12_E10value_typeET2_T3_PNS13_IS18_E10value_typeET4_jRbjT5_S1E_jjP12ihipStream_tbEUljE_ZNSN_ISO_Lb1ESQ_SR_ST_SU_SY_EESZ_S10_S11_S12_S16_S17_S18_S1B_S1C_jS1D_jS1E_S1E_jjS1G_bEUljE0_EEESZ_S10_S11_S18_S1C_S1E_T6_T7_T9_mT8_S1G_bDpT10_ENKUlT_T0_E_clISt17integral_constantIbLb0EES1T_IbLb1EEEEDaS1P_S1Q_EUlS1P_E_NS1_11comp_targetILNS1_3genE0ELNS1_11target_archE4294967295ELNS1_3gpuE0ELNS1_3repE0EEENS1_30default_config_static_selectorELNS0_4arch9wavefront6targetE0EEEvS12_.uses_flat_scratch, 0
	.set _ZN7rocprim17ROCPRIM_400000_NS6detail17trampoline_kernelINS0_13select_configILj256ELj13ELNS0_17block_load_methodE3ELS4_3ELS4_3ELNS0_20block_scan_algorithmE0ELj4294967295EEENS1_25partition_config_selectorILNS1_17partition_subalgoE4EjNS0_10empty_typeEbEEZZNS1_14partition_implILS8_4ELb0ES6_15HIP_vector_typeIjLj2EENS0_17counting_iteratorIjlEEPS9_SG_NS0_5tupleIJPjSI_NS0_16reverse_iteratorISI_EEEEENSH_IJSG_SG_SG_EEES9_SI_JZNS1_25segmented_radix_sort_implINS0_14default_configELb1EPKfPfPKlPlN2at6native12_GLOBAL__N_18offset_tEEE10hipError_tPvRmT1_PNSt15iterator_traitsIS12_E10value_typeET2_T3_PNS13_IS18_E10value_typeET4_jRbjT5_S1E_jjP12ihipStream_tbEUljE_ZNSN_ISO_Lb1ESQ_SR_ST_SU_SY_EESZ_S10_S11_S12_S16_S17_S18_S1B_S1C_jS1D_jS1E_S1E_jjS1G_bEUljE0_EEESZ_S10_S11_S18_S1C_S1E_T6_T7_T9_mT8_S1G_bDpT10_ENKUlT_T0_E_clISt17integral_constantIbLb0EES1T_IbLb1EEEEDaS1P_S1Q_EUlS1P_E_NS1_11comp_targetILNS1_3genE0ELNS1_11target_archE4294967295ELNS1_3gpuE0ELNS1_3repE0EEENS1_30default_config_static_selectorELNS0_4arch9wavefront6targetE0EEEvS12_.has_dyn_sized_stack, 0
	.set _ZN7rocprim17ROCPRIM_400000_NS6detail17trampoline_kernelINS0_13select_configILj256ELj13ELNS0_17block_load_methodE3ELS4_3ELS4_3ELNS0_20block_scan_algorithmE0ELj4294967295EEENS1_25partition_config_selectorILNS1_17partition_subalgoE4EjNS0_10empty_typeEbEEZZNS1_14partition_implILS8_4ELb0ES6_15HIP_vector_typeIjLj2EENS0_17counting_iteratorIjlEEPS9_SG_NS0_5tupleIJPjSI_NS0_16reverse_iteratorISI_EEEEENSH_IJSG_SG_SG_EEES9_SI_JZNS1_25segmented_radix_sort_implINS0_14default_configELb1EPKfPfPKlPlN2at6native12_GLOBAL__N_18offset_tEEE10hipError_tPvRmT1_PNSt15iterator_traitsIS12_E10value_typeET2_T3_PNS13_IS18_E10value_typeET4_jRbjT5_S1E_jjP12ihipStream_tbEUljE_ZNSN_ISO_Lb1ESQ_SR_ST_SU_SY_EESZ_S10_S11_S12_S16_S17_S18_S1B_S1C_jS1D_jS1E_S1E_jjS1G_bEUljE0_EEESZ_S10_S11_S18_S1C_S1E_T6_T7_T9_mT8_S1G_bDpT10_ENKUlT_T0_E_clISt17integral_constantIbLb0EES1T_IbLb1EEEEDaS1P_S1Q_EUlS1P_E_NS1_11comp_targetILNS1_3genE0ELNS1_11target_archE4294967295ELNS1_3gpuE0ELNS1_3repE0EEENS1_30default_config_static_selectorELNS0_4arch9wavefront6targetE0EEEvS12_.has_recursion, 0
	.set _ZN7rocprim17ROCPRIM_400000_NS6detail17trampoline_kernelINS0_13select_configILj256ELj13ELNS0_17block_load_methodE3ELS4_3ELS4_3ELNS0_20block_scan_algorithmE0ELj4294967295EEENS1_25partition_config_selectorILNS1_17partition_subalgoE4EjNS0_10empty_typeEbEEZZNS1_14partition_implILS8_4ELb0ES6_15HIP_vector_typeIjLj2EENS0_17counting_iteratorIjlEEPS9_SG_NS0_5tupleIJPjSI_NS0_16reverse_iteratorISI_EEEEENSH_IJSG_SG_SG_EEES9_SI_JZNS1_25segmented_radix_sort_implINS0_14default_configELb1EPKfPfPKlPlN2at6native12_GLOBAL__N_18offset_tEEE10hipError_tPvRmT1_PNSt15iterator_traitsIS12_E10value_typeET2_T3_PNS13_IS18_E10value_typeET4_jRbjT5_S1E_jjP12ihipStream_tbEUljE_ZNSN_ISO_Lb1ESQ_SR_ST_SU_SY_EESZ_S10_S11_S12_S16_S17_S18_S1B_S1C_jS1D_jS1E_S1E_jjS1G_bEUljE0_EEESZ_S10_S11_S18_S1C_S1E_T6_T7_T9_mT8_S1G_bDpT10_ENKUlT_T0_E_clISt17integral_constantIbLb0EES1T_IbLb1EEEEDaS1P_S1Q_EUlS1P_E_NS1_11comp_targetILNS1_3genE0ELNS1_11target_archE4294967295ELNS1_3gpuE0ELNS1_3repE0EEENS1_30default_config_static_selectorELNS0_4arch9wavefront6targetE0EEEvS12_.has_indirect_call, 0
	.section	.AMDGPU.csdata,"",@progbits
; Kernel info:
; codeLenInByte = 17828
; TotalNumSgprs: 57
; NumVgprs: 86
; ScratchSize: 0
; MemoryBound: 0
; FloatMode: 240
; IeeeMode: 1
; LDSByteSize: 13328 bytes/workgroup (compile time only)
; SGPRBlocks: 0
; VGPRBlocks: 5
; NumSGPRsForWavesPerEU: 57
; NumVGPRsForWavesPerEU: 86
; NamedBarCnt: 0
; Occupancy: 10
; WaveLimiterHint : 1
; COMPUTE_PGM_RSRC2:SCRATCH_EN: 0
; COMPUTE_PGM_RSRC2:USER_SGPR: 2
; COMPUTE_PGM_RSRC2:TRAP_HANDLER: 0
; COMPUTE_PGM_RSRC2:TGID_X_EN: 1
; COMPUTE_PGM_RSRC2:TGID_Y_EN: 0
; COMPUTE_PGM_RSRC2:TGID_Z_EN: 0
; COMPUTE_PGM_RSRC2:TIDIG_COMP_CNT: 0
	.section	.text._ZN7rocprim17ROCPRIM_400000_NS6detail17trampoline_kernelINS0_13select_configILj256ELj13ELNS0_17block_load_methodE3ELS4_3ELS4_3ELNS0_20block_scan_algorithmE0ELj4294967295EEENS1_25partition_config_selectorILNS1_17partition_subalgoE4EjNS0_10empty_typeEbEEZZNS1_14partition_implILS8_4ELb0ES6_15HIP_vector_typeIjLj2EENS0_17counting_iteratorIjlEEPS9_SG_NS0_5tupleIJPjSI_NS0_16reverse_iteratorISI_EEEEENSH_IJSG_SG_SG_EEES9_SI_JZNS1_25segmented_radix_sort_implINS0_14default_configELb1EPKfPfPKlPlN2at6native12_GLOBAL__N_18offset_tEEE10hipError_tPvRmT1_PNSt15iterator_traitsIS12_E10value_typeET2_T3_PNS13_IS18_E10value_typeET4_jRbjT5_S1E_jjP12ihipStream_tbEUljE_ZNSN_ISO_Lb1ESQ_SR_ST_SU_SY_EESZ_S10_S11_S12_S16_S17_S18_S1B_S1C_jS1D_jS1E_S1E_jjS1G_bEUljE0_EEESZ_S10_S11_S18_S1C_S1E_T6_T7_T9_mT8_S1G_bDpT10_ENKUlT_T0_E_clISt17integral_constantIbLb0EES1T_IbLb1EEEEDaS1P_S1Q_EUlS1P_E_NS1_11comp_targetILNS1_3genE5ELNS1_11target_archE942ELNS1_3gpuE9ELNS1_3repE0EEENS1_30default_config_static_selectorELNS0_4arch9wavefront6targetE0EEEvS12_,"axG",@progbits,_ZN7rocprim17ROCPRIM_400000_NS6detail17trampoline_kernelINS0_13select_configILj256ELj13ELNS0_17block_load_methodE3ELS4_3ELS4_3ELNS0_20block_scan_algorithmE0ELj4294967295EEENS1_25partition_config_selectorILNS1_17partition_subalgoE4EjNS0_10empty_typeEbEEZZNS1_14partition_implILS8_4ELb0ES6_15HIP_vector_typeIjLj2EENS0_17counting_iteratorIjlEEPS9_SG_NS0_5tupleIJPjSI_NS0_16reverse_iteratorISI_EEEEENSH_IJSG_SG_SG_EEES9_SI_JZNS1_25segmented_radix_sort_implINS0_14default_configELb1EPKfPfPKlPlN2at6native12_GLOBAL__N_18offset_tEEE10hipError_tPvRmT1_PNSt15iterator_traitsIS12_E10value_typeET2_T3_PNS13_IS18_E10value_typeET4_jRbjT5_S1E_jjP12ihipStream_tbEUljE_ZNSN_ISO_Lb1ESQ_SR_ST_SU_SY_EESZ_S10_S11_S12_S16_S17_S18_S1B_S1C_jS1D_jS1E_S1E_jjS1G_bEUljE0_EEESZ_S10_S11_S18_S1C_S1E_T6_T7_T9_mT8_S1G_bDpT10_ENKUlT_T0_E_clISt17integral_constantIbLb0EES1T_IbLb1EEEEDaS1P_S1Q_EUlS1P_E_NS1_11comp_targetILNS1_3genE5ELNS1_11target_archE942ELNS1_3gpuE9ELNS1_3repE0EEENS1_30default_config_static_selectorELNS0_4arch9wavefront6targetE0EEEvS12_,comdat
	.globl	_ZN7rocprim17ROCPRIM_400000_NS6detail17trampoline_kernelINS0_13select_configILj256ELj13ELNS0_17block_load_methodE3ELS4_3ELS4_3ELNS0_20block_scan_algorithmE0ELj4294967295EEENS1_25partition_config_selectorILNS1_17partition_subalgoE4EjNS0_10empty_typeEbEEZZNS1_14partition_implILS8_4ELb0ES6_15HIP_vector_typeIjLj2EENS0_17counting_iteratorIjlEEPS9_SG_NS0_5tupleIJPjSI_NS0_16reverse_iteratorISI_EEEEENSH_IJSG_SG_SG_EEES9_SI_JZNS1_25segmented_radix_sort_implINS0_14default_configELb1EPKfPfPKlPlN2at6native12_GLOBAL__N_18offset_tEEE10hipError_tPvRmT1_PNSt15iterator_traitsIS12_E10value_typeET2_T3_PNS13_IS18_E10value_typeET4_jRbjT5_S1E_jjP12ihipStream_tbEUljE_ZNSN_ISO_Lb1ESQ_SR_ST_SU_SY_EESZ_S10_S11_S12_S16_S17_S18_S1B_S1C_jS1D_jS1E_S1E_jjS1G_bEUljE0_EEESZ_S10_S11_S18_S1C_S1E_T6_T7_T9_mT8_S1G_bDpT10_ENKUlT_T0_E_clISt17integral_constantIbLb0EES1T_IbLb1EEEEDaS1P_S1Q_EUlS1P_E_NS1_11comp_targetILNS1_3genE5ELNS1_11target_archE942ELNS1_3gpuE9ELNS1_3repE0EEENS1_30default_config_static_selectorELNS0_4arch9wavefront6targetE0EEEvS12_ ; -- Begin function _ZN7rocprim17ROCPRIM_400000_NS6detail17trampoline_kernelINS0_13select_configILj256ELj13ELNS0_17block_load_methodE3ELS4_3ELS4_3ELNS0_20block_scan_algorithmE0ELj4294967295EEENS1_25partition_config_selectorILNS1_17partition_subalgoE4EjNS0_10empty_typeEbEEZZNS1_14partition_implILS8_4ELb0ES6_15HIP_vector_typeIjLj2EENS0_17counting_iteratorIjlEEPS9_SG_NS0_5tupleIJPjSI_NS0_16reverse_iteratorISI_EEEEENSH_IJSG_SG_SG_EEES9_SI_JZNS1_25segmented_radix_sort_implINS0_14default_configELb1EPKfPfPKlPlN2at6native12_GLOBAL__N_18offset_tEEE10hipError_tPvRmT1_PNSt15iterator_traitsIS12_E10value_typeET2_T3_PNS13_IS18_E10value_typeET4_jRbjT5_S1E_jjP12ihipStream_tbEUljE_ZNSN_ISO_Lb1ESQ_SR_ST_SU_SY_EESZ_S10_S11_S12_S16_S17_S18_S1B_S1C_jS1D_jS1E_S1E_jjS1G_bEUljE0_EEESZ_S10_S11_S18_S1C_S1E_T6_T7_T9_mT8_S1G_bDpT10_ENKUlT_T0_E_clISt17integral_constantIbLb0EES1T_IbLb1EEEEDaS1P_S1Q_EUlS1P_E_NS1_11comp_targetILNS1_3genE5ELNS1_11target_archE942ELNS1_3gpuE9ELNS1_3repE0EEENS1_30default_config_static_selectorELNS0_4arch9wavefront6targetE0EEEvS12_
	.p2align	8
	.type	_ZN7rocprim17ROCPRIM_400000_NS6detail17trampoline_kernelINS0_13select_configILj256ELj13ELNS0_17block_load_methodE3ELS4_3ELS4_3ELNS0_20block_scan_algorithmE0ELj4294967295EEENS1_25partition_config_selectorILNS1_17partition_subalgoE4EjNS0_10empty_typeEbEEZZNS1_14partition_implILS8_4ELb0ES6_15HIP_vector_typeIjLj2EENS0_17counting_iteratorIjlEEPS9_SG_NS0_5tupleIJPjSI_NS0_16reverse_iteratorISI_EEEEENSH_IJSG_SG_SG_EEES9_SI_JZNS1_25segmented_radix_sort_implINS0_14default_configELb1EPKfPfPKlPlN2at6native12_GLOBAL__N_18offset_tEEE10hipError_tPvRmT1_PNSt15iterator_traitsIS12_E10value_typeET2_T3_PNS13_IS18_E10value_typeET4_jRbjT5_S1E_jjP12ihipStream_tbEUljE_ZNSN_ISO_Lb1ESQ_SR_ST_SU_SY_EESZ_S10_S11_S12_S16_S17_S18_S1B_S1C_jS1D_jS1E_S1E_jjS1G_bEUljE0_EEESZ_S10_S11_S18_S1C_S1E_T6_T7_T9_mT8_S1G_bDpT10_ENKUlT_T0_E_clISt17integral_constantIbLb0EES1T_IbLb1EEEEDaS1P_S1Q_EUlS1P_E_NS1_11comp_targetILNS1_3genE5ELNS1_11target_archE942ELNS1_3gpuE9ELNS1_3repE0EEENS1_30default_config_static_selectorELNS0_4arch9wavefront6targetE0EEEvS12_,@function
_ZN7rocprim17ROCPRIM_400000_NS6detail17trampoline_kernelINS0_13select_configILj256ELj13ELNS0_17block_load_methodE3ELS4_3ELS4_3ELNS0_20block_scan_algorithmE0ELj4294967295EEENS1_25partition_config_selectorILNS1_17partition_subalgoE4EjNS0_10empty_typeEbEEZZNS1_14partition_implILS8_4ELb0ES6_15HIP_vector_typeIjLj2EENS0_17counting_iteratorIjlEEPS9_SG_NS0_5tupleIJPjSI_NS0_16reverse_iteratorISI_EEEEENSH_IJSG_SG_SG_EEES9_SI_JZNS1_25segmented_radix_sort_implINS0_14default_configELb1EPKfPfPKlPlN2at6native12_GLOBAL__N_18offset_tEEE10hipError_tPvRmT1_PNSt15iterator_traitsIS12_E10value_typeET2_T3_PNS13_IS18_E10value_typeET4_jRbjT5_S1E_jjP12ihipStream_tbEUljE_ZNSN_ISO_Lb1ESQ_SR_ST_SU_SY_EESZ_S10_S11_S12_S16_S17_S18_S1B_S1C_jS1D_jS1E_S1E_jjS1G_bEUljE0_EEESZ_S10_S11_S18_S1C_S1E_T6_T7_T9_mT8_S1G_bDpT10_ENKUlT_T0_E_clISt17integral_constantIbLb0EES1T_IbLb1EEEEDaS1P_S1Q_EUlS1P_E_NS1_11comp_targetILNS1_3genE5ELNS1_11target_archE942ELNS1_3gpuE9ELNS1_3repE0EEENS1_30default_config_static_selectorELNS0_4arch9wavefront6targetE0EEEvS12_: ; @_ZN7rocprim17ROCPRIM_400000_NS6detail17trampoline_kernelINS0_13select_configILj256ELj13ELNS0_17block_load_methodE3ELS4_3ELS4_3ELNS0_20block_scan_algorithmE0ELj4294967295EEENS1_25partition_config_selectorILNS1_17partition_subalgoE4EjNS0_10empty_typeEbEEZZNS1_14partition_implILS8_4ELb0ES6_15HIP_vector_typeIjLj2EENS0_17counting_iteratorIjlEEPS9_SG_NS0_5tupleIJPjSI_NS0_16reverse_iteratorISI_EEEEENSH_IJSG_SG_SG_EEES9_SI_JZNS1_25segmented_radix_sort_implINS0_14default_configELb1EPKfPfPKlPlN2at6native12_GLOBAL__N_18offset_tEEE10hipError_tPvRmT1_PNSt15iterator_traitsIS12_E10value_typeET2_T3_PNS13_IS18_E10value_typeET4_jRbjT5_S1E_jjP12ihipStream_tbEUljE_ZNSN_ISO_Lb1ESQ_SR_ST_SU_SY_EESZ_S10_S11_S12_S16_S17_S18_S1B_S1C_jS1D_jS1E_S1E_jjS1G_bEUljE0_EEESZ_S10_S11_S18_S1C_S1E_T6_T7_T9_mT8_S1G_bDpT10_ENKUlT_T0_E_clISt17integral_constantIbLb0EES1T_IbLb1EEEEDaS1P_S1Q_EUlS1P_E_NS1_11comp_targetILNS1_3genE5ELNS1_11target_archE942ELNS1_3gpuE9ELNS1_3repE0EEENS1_30default_config_static_selectorELNS0_4arch9wavefront6targetE0EEEvS12_
; %bb.0:
	.section	.rodata,"a",@progbits
	.p2align	6, 0x0
	.amdhsa_kernel _ZN7rocprim17ROCPRIM_400000_NS6detail17trampoline_kernelINS0_13select_configILj256ELj13ELNS0_17block_load_methodE3ELS4_3ELS4_3ELNS0_20block_scan_algorithmE0ELj4294967295EEENS1_25partition_config_selectorILNS1_17partition_subalgoE4EjNS0_10empty_typeEbEEZZNS1_14partition_implILS8_4ELb0ES6_15HIP_vector_typeIjLj2EENS0_17counting_iteratorIjlEEPS9_SG_NS0_5tupleIJPjSI_NS0_16reverse_iteratorISI_EEEEENSH_IJSG_SG_SG_EEES9_SI_JZNS1_25segmented_radix_sort_implINS0_14default_configELb1EPKfPfPKlPlN2at6native12_GLOBAL__N_18offset_tEEE10hipError_tPvRmT1_PNSt15iterator_traitsIS12_E10value_typeET2_T3_PNS13_IS18_E10value_typeET4_jRbjT5_S1E_jjP12ihipStream_tbEUljE_ZNSN_ISO_Lb1ESQ_SR_ST_SU_SY_EESZ_S10_S11_S12_S16_S17_S18_S1B_S1C_jS1D_jS1E_S1E_jjS1G_bEUljE0_EEESZ_S10_S11_S18_S1C_S1E_T6_T7_T9_mT8_S1G_bDpT10_ENKUlT_T0_E_clISt17integral_constantIbLb0EES1T_IbLb1EEEEDaS1P_S1Q_EUlS1P_E_NS1_11comp_targetILNS1_3genE5ELNS1_11target_archE942ELNS1_3gpuE9ELNS1_3repE0EEENS1_30default_config_static_selectorELNS0_4arch9wavefront6targetE0EEEvS12_
		.amdhsa_group_segment_fixed_size 0
		.amdhsa_private_segment_fixed_size 0
		.amdhsa_kernarg_size 184
		.amdhsa_user_sgpr_count 2
		.amdhsa_user_sgpr_dispatch_ptr 0
		.amdhsa_user_sgpr_queue_ptr 0
		.amdhsa_user_sgpr_kernarg_segment_ptr 1
		.amdhsa_user_sgpr_dispatch_id 0
		.amdhsa_user_sgpr_kernarg_preload_length 0
		.amdhsa_user_sgpr_kernarg_preload_offset 0
		.amdhsa_user_sgpr_private_segment_size 0
		.amdhsa_wavefront_size32 1
		.amdhsa_uses_dynamic_stack 0
		.amdhsa_enable_private_segment 0
		.amdhsa_system_sgpr_workgroup_id_x 1
		.amdhsa_system_sgpr_workgroup_id_y 0
		.amdhsa_system_sgpr_workgroup_id_z 0
		.amdhsa_system_sgpr_workgroup_info 0
		.amdhsa_system_vgpr_workitem_id 0
		.amdhsa_next_free_vgpr 1
		.amdhsa_next_free_sgpr 1
		.amdhsa_named_barrier_count 0
		.amdhsa_reserve_vcc 0
		.amdhsa_float_round_mode_32 0
		.amdhsa_float_round_mode_16_64 0
		.amdhsa_float_denorm_mode_32 3
		.amdhsa_float_denorm_mode_16_64 3
		.amdhsa_fp16_overflow 0
		.amdhsa_memory_ordered 1
		.amdhsa_forward_progress 1
		.amdhsa_inst_pref_size 0
		.amdhsa_round_robin_scheduling 0
		.amdhsa_exception_fp_ieee_invalid_op 0
		.amdhsa_exception_fp_denorm_src 0
		.amdhsa_exception_fp_ieee_div_zero 0
		.amdhsa_exception_fp_ieee_overflow 0
		.amdhsa_exception_fp_ieee_underflow 0
		.amdhsa_exception_fp_ieee_inexact 0
		.amdhsa_exception_int_div_zero 0
	.end_amdhsa_kernel
	.section	.text._ZN7rocprim17ROCPRIM_400000_NS6detail17trampoline_kernelINS0_13select_configILj256ELj13ELNS0_17block_load_methodE3ELS4_3ELS4_3ELNS0_20block_scan_algorithmE0ELj4294967295EEENS1_25partition_config_selectorILNS1_17partition_subalgoE4EjNS0_10empty_typeEbEEZZNS1_14partition_implILS8_4ELb0ES6_15HIP_vector_typeIjLj2EENS0_17counting_iteratorIjlEEPS9_SG_NS0_5tupleIJPjSI_NS0_16reverse_iteratorISI_EEEEENSH_IJSG_SG_SG_EEES9_SI_JZNS1_25segmented_radix_sort_implINS0_14default_configELb1EPKfPfPKlPlN2at6native12_GLOBAL__N_18offset_tEEE10hipError_tPvRmT1_PNSt15iterator_traitsIS12_E10value_typeET2_T3_PNS13_IS18_E10value_typeET4_jRbjT5_S1E_jjP12ihipStream_tbEUljE_ZNSN_ISO_Lb1ESQ_SR_ST_SU_SY_EESZ_S10_S11_S12_S16_S17_S18_S1B_S1C_jS1D_jS1E_S1E_jjS1G_bEUljE0_EEESZ_S10_S11_S18_S1C_S1E_T6_T7_T9_mT8_S1G_bDpT10_ENKUlT_T0_E_clISt17integral_constantIbLb0EES1T_IbLb1EEEEDaS1P_S1Q_EUlS1P_E_NS1_11comp_targetILNS1_3genE5ELNS1_11target_archE942ELNS1_3gpuE9ELNS1_3repE0EEENS1_30default_config_static_selectorELNS0_4arch9wavefront6targetE0EEEvS12_,"axG",@progbits,_ZN7rocprim17ROCPRIM_400000_NS6detail17trampoline_kernelINS0_13select_configILj256ELj13ELNS0_17block_load_methodE3ELS4_3ELS4_3ELNS0_20block_scan_algorithmE0ELj4294967295EEENS1_25partition_config_selectorILNS1_17partition_subalgoE4EjNS0_10empty_typeEbEEZZNS1_14partition_implILS8_4ELb0ES6_15HIP_vector_typeIjLj2EENS0_17counting_iteratorIjlEEPS9_SG_NS0_5tupleIJPjSI_NS0_16reverse_iteratorISI_EEEEENSH_IJSG_SG_SG_EEES9_SI_JZNS1_25segmented_radix_sort_implINS0_14default_configELb1EPKfPfPKlPlN2at6native12_GLOBAL__N_18offset_tEEE10hipError_tPvRmT1_PNSt15iterator_traitsIS12_E10value_typeET2_T3_PNS13_IS18_E10value_typeET4_jRbjT5_S1E_jjP12ihipStream_tbEUljE_ZNSN_ISO_Lb1ESQ_SR_ST_SU_SY_EESZ_S10_S11_S12_S16_S17_S18_S1B_S1C_jS1D_jS1E_S1E_jjS1G_bEUljE0_EEESZ_S10_S11_S18_S1C_S1E_T6_T7_T9_mT8_S1G_bDpT10_ENKUlT_T0_E_clISt17integral_constantIbLb0EES1T_IbLb1EEEEDaS1P_S1Q_EUlS1P_E_NS1_11comp_targetILNS1_3genE5ELNS1_11target_archE942ELNS1_3gpuE9ELNS1_3repE0EEENS1_30default_config_static_selectorELNS0_4arch9wavefront6targetE0EEEvS12_,comdat
.Lfunc_end1280:
	.size	_ZN7rocprim17ROCPRIM_400000_NS6detail17trampoline_kernelINS0_13select_configILj256ELj13ELNS0_17block_load_methodE3ELS4_3ELS4_3ELNS0_20block_scan_algorithmE0ELj4294967295EEENS1_25partition_config_selectorILNS1_17partition_subalgoE4EjNS0_10empty_typeEbEEZZNS1_14partition_implILS8_4ELb0ES6_15HIP_vector_typeIjLj2EENS0_17counting_iteratorIjlEEPS9_SG_NS0_5tupleIJPjSI_NS0_16reverse_iteratorISI_EEEEENSH_IJSG_SG_SG_EEES9_SI_JZNS1_25segmented_radix_sort_implINS0_14default_configELb1EPKfPfPKlPlN2at6native12_GLOBAL__N_18offset_tEEE10hipError_tPvRmT1_PNSt15iterator_traitsIS12_E10value_typeET2_T3_PNS13_IS18_E10value_typeET4_jRbjT5_S1E_jjP12ihipStream_tbEUljE_ZNSN_ISO_Lb1ESQ_SR_ST_SU_SY_EESZ_S10_S11_S12_S16_S17_S18_S1B_S1C_jS1D_jS1E_S1E_jjS1G_bEUljE0_EEESZ_S10_S11_S18_S1C_S1E_T6_T7_T9_mT8_S1G_bDpT10_ENKUlT_T0_E_clISt17integral_constantIbLb0EES1T_IbLb1EEEEDaS1P_S1Q_EUlS1P_E_NS1_11comp_targetILNS1_3genE5ELNS1_11target_archE942ELNS1_3gpuE9ELNS1_3repE0EEENS1_30default_config_static_selectorELNS0_4arch9wavefront6targetE0EEEvS12_, .Lfunc_end1280-_ZN7rocprim17ROCPRIM_400000_NS6detail17trampoline_kernelINS0_13select_configILj256ELj13ELNS0_17block_load_methodE3ELS4_3ELS4_3ELNS0_20block_scan_algorithmE0ELj4294967295EEENS1_25partition_config_selectorILNS1_17partition_subalgoE4EjNS0_10empty_typeEbEEZZNS1_14partition_implILS8_4ELb0ES6_15HIP_vector_typeIjLj2EENS0_17counting_iteratorIjlEEPS9_SG_NS0_5tupleIJPjSI_NS0_16reverse_iteratorISI_EEEEENSH_IJSG_SG_SG_EEES9_SI_JZNS1_25segmented_radix_sort_implINS0_14default_configELb1EPKfPfPKlPlN2at6native12_GLOBAL__N_18offset_tEEE10hipError_tPvRmT1_PNSt15iterator_traitsIS12_E10value_typeET2_T3_PNS13_IS18_E10value_typeET4_jRbjT5_S1E_jjP12ihipStream_tbEUljE_ZNSN_ISO_Lb1ESQ_SR_ST_SU_SY_EESZ_S10_S11_S12_S16_S17_S18_S1B_S1C_jS1D_jS1E_S1E_jjS1G_bEUljE0_EEESZ_S10_S11_S18_S1C_S1E_T6_T7_T9_mT8_S1G_bDpT10_ENKUlT_T0_E_clISt17integral_constantIbLb0EES1T_IbLb1EEEEDaS1P_S1Q_EUlS1P_E_NS1_11comp_targetILNS1_3genE5ELNS1_11target_archE942ELNS1_3gpuE9ELNS1_3repE0EEENS1_30default_config_static_selectorELNS0_4arch9wavefront6targetE0EEEvS12_
                                        ; -- End function
	.set _ZN7rocprim17ROCPRIM_400000_NS6detail17trampoline_kernelINS0_13select_configILj256ELj13ELNS0_17block_load_methodE3ELS4_3ELS4_3ELNS0_20block_scan_algorithmE0ELj4294967295EEENS1_25partition_config_selectorILNS1_17partition_subalgoE4EjNS0_10empty_typeEbEEZZNS1_14partition_implILS8_4ELb0ES6_15HIP_vector_typeIjLj2EENS0_17counting_iteratorIjlEEPS9_SG_NS0_5tupleIJPjSI_NS0_16reverse_iteratorISI_EEEEENSH_IJSG_SG_SG_EEES9_SI_JZNS1_25segmented_radix_sort_implINS0_14default_configELb1EPKfPfPKlPlN2at6native12_GLOBAL__N_18offset_tEEE10hipError_tPvRmT1_PNSt15iterator_traitsIS12_E10value_typeET2_T3_PNS13_IS18_E10value_typeET4_jRbjT5_S1E_jjP12ihipStream_tbEUljE_ZNSN_ISO_Lb1ESQ_SR_ST_SU_SY_EESZ_S10_S11_S12_S16_S17_S18_S1B_S1C_jS1D_jS1E_S1E_jjS1G_bEUljE0_EEESZ_S10_S11_S18_S1C_S1E_T6_T7_T9_mT8_S1G_bDpT10_ENKUlT_T0_E_clISt17integral_constantIbLb0EES1T_IbLb1EEEEDaS1P_S1Q_EUlS1P_E_NS1_11comp_targetILNS1_3genE5ELNS1_11target_archE942ELNS1_3gpuE9ELNS1_3repE0EEENS1_30default_config_static_selectorELNS0_4arch9wavefront6targetE0EEEvS12_.num_vgpr, 0
	.set _ZN7rocprim17ROCPRIM_400000_NS6detail17trampoline_kernelINS0_13select_configILj256ELj13ELNS0_17block_load_methodE3ELS4_3ELS4_3ELNS0_20block_scan_algorithmE0ELj4294967295EEENS1_25partition_config_selectorILNS1_17partition_subalgoE4EjNS0_10empty_typeEbEEZZNS1_14partition_implILS8_4ELb0ES6_15HIP_vector_typeIjLj2EENS0_17counting_iteratorIjlEEPS9_SG_NS0_5tupleIJPjSI_NS0_16reverse_iteratorISI_EEEEENSH_IJSG_SG_SG_EEES9_SI_JZNS1_25segmented_radix_sort_implINS0_14default_configELb1EPKfPfPKlPlN2at6native12_GLOBAL__N_18offset_tEEE10hipError_tPvRmT1_PNSt15iterator_traitsIS12_E10value_typeET2_T3_PNS13_IS18_E10value_typeET4_jRbjT5_S1E_jjP12ihipStream_tbEUljE_ZNSN_ISO_Lb1ESQ_SR_ST_SU_SY_EESZ_S10_S11_S12_S16_S17_S18_S1B_S1C_jS1D_jS1E_S1E_jjS1G_bEUljE0_EEESZ_S10_S11_S18_S1C_S1E_T6_T7_T9_mT8_S1G_bDpT10_ENKUlT_T0_E_clISt17integral_constantIbLb0EES1T_IbLb1EEEEDaS1P_S1Q_EUlS1P_E_NS1_11comp_targetILNS1_3genE5ELNS1_11target_archE942ELNS1_3gpuE9ELNS1_3repE0EEENS1_30default_config_static_selectorELNS0_4arch9wavefront6targetE0EEEvS12_.num_agpr, 0
	.set _ZN7rocprim17ROCPRIM_400000_NS6detail17trampoline_kernelINS0_13select_configILj256ELj13ELNS0_17block_load_methodE3ELS4_3ELS4_3ELNS0_20block_scan_algorithmE0ELj4294967295EEENS1_25partition_config_selectorILNS1_17partition_subalgoE4EjNS0_10empty_typeEbEEZZNS1_14partition_implILS8_4ELb0ES6_15HIP_vector_typeIjLj2EENS0_17counting_iteratorIjlEEPS9_SG_NS0_5tupleIJPjSI_NS0_16reverse_iteratorISI_EEEEENSH_IJSG_SG_SG_EEES9_SI_JZNS1_25segmented_radix_sort_implINS0_14default_configELb1EPKfPfPKlPlN2at6native12_GLOBAL__N_18offset_tEEE10hipError_tPvRmT1_PNSt15iterator_traitsIS12_E10value_typeET2_T3_PNS13_IS18_E10value_typeET4_jRbjT5_S1E_jjP12ihipStream_tbEUljE_ZNSN_ISO_Lb1ESQ_SR_ST_SU_SY_EESZ_S10_S11_S12_S16_S17_S18_S1B_S1C_jS1D_jS1E_S1E_jjS1G_bEUljE0_EEESZ_S10_S11_S18_S1C_S1E_T6_T7_T9_mT8_S1G_bDpT10_ENKUlT_T0_E_clISt17integral_constantIbLb0EES1T_IbLb1EEEEDaS1P_S1Q_EUlS1P_E_NS1_11comp_targetILNS1_3genE5ELNS1_11target_archE942ELNS1_3gpuE9ELNS1_3repE0EEENS1_30default_config_static_selectorELNS0_4arch9wavefront6targetE0EEEvS12_.numbered_sgpr, 0
	.set _ZN7rocprim17ROCPRIM_400000_NS6detail17trampoline_kernelINS0_13select_configILj256ELj13ELNS0_17block_load_methodE3ELS4_3ELS4_3ELNS0_20block_scan_algorithmE0ELj4294967295EEENS1_25partition_config_selectorILNS1_17partition_subalgoE4EjNS0_10empty_typeEbEEZZNS1_14partition_implILS8_4ELb0ES6_15HIP_vector_typeIjLj2EENS0_17counting_iteratorIjlEEPS9_SG_NS0_5tupleIJPjSI_NS0_16reverse_iteratorISI_EEEEENSH_IJSG_SG_SG_EEES9_SI_JZNS1_25segmented_radix_sort_implINS0_14default_configELb1EPKfPfPKlPlN2at6native12_GLOBAL__N_18offset_tEEE10hipError_tPvRmT1_PNSt15iterator_traitsIS12_E10value_typeET2_T3_PNS13_IS18_E10value_typeET4_jRbjT5_S1E_jjP12ihipStream_tbEUljE_ZNSN_ISO_Lb1ESQ_SR_ST_SU_SY_EESZ_S10_S11_S12_S16_S17_S18_S1B_S1C_jS1D_jS1E_S1E_jjS1G_bEUljE0_EEESZ_S10_S11_S18_S1C_S1E_T6_T7_T9_mT8_S1G_bDpT10_ENKUlT_T0_E_clISt17integral_constantIbLb0EES1T_IbLb1EEEEDaS1P_S1Q_EUlS1P_E_NS1_11comp_targetILNS1_3genE5ELNS1_11target_archE942ELNS1_3gpuE9ELNS1_3repE0EEENS1_30default_config_static_selectorELNS0_4arch9wavefront6targetE0EEEvS12_.num_named_barrier, 0
	.set _ZN7rocprim17ROCPRIM_400000_NS6detail17trampoline_kernelINS0_13select_configILj256ELj13ELNS0_17block_load_methodE3ELS4_3ELS4_3ELNS0_20block_scan_algorithmE0ELj4294967295EEENS1_25partition_config_selectorILNS1_17partition_subalgoE4EjNS0_10empty_typeEbEEZZNS1_14partition_implILS8_4ELb0ES6_15HIP_vector_typeIjLj2EENS0_17counting_iteratorIjlEEPS9_SG_NS0_5tupleIJPjSI_NS0_16reverse_iteratorISI_EEEEENSH_IJSG_SG_SG_EEES9_SI_JZNS1_25segmented_radix_sort_implINS0_14default_configELb1EPKfPfPKlPlN2at6native12_GLOBAL__N_18offset_tEEE10hipError_tPvRmT1_PNSt15iterator_traitsIS12_E10value_typeET2_T3_PNS13_IS18_E10value_typeET4_jRbjT5_S1E_jjP12ihipStream_tbEUljE_ZNSN_ISO_Lb1ESQ_SR_ST_SU_SY_EESZ_S10_S11_S12_S16_S17_S18_S1B_S1C_jS1D_jS1E_S1E_jjS1G_bEUljE0_EEESZ_S10_S11_S18_S1C_S1E_T6_T7_T9_mT8_S1G_bDpT10_ENKUlT_T0_E_clISt17integral_constantIbLb0EES1T_IbLb1EEEEDaS1P_S1Q_EUlS1P_E_NS1_11comp_targetILNS1_3genE5ELNS1_11target_archE942ELNS1_3gpuE9ELNS1_3repE0EEENS1_30default_config_static_selectorELNS0_4arch9wavefront6targetE0EEEvS12_.private_seg_size, 0
	.set _ZN7rocprim17ROCPRIM_400000_NS6detail17trampoline_kernelINS0_13select_configILj256ELj13ELNS0_17block_load_methodE3ELS4_3ELS4_3ELNS0_20block_scan_algorithmE0ELj4294967295EEENS1_25partition_config_selectorILNS1_17partition_subalgoE4EjNS0_10empty_typeEbEEZZNS1_14partition_implILS8_4ELb0ES6_15HIP_vector_typeIjLj2EENS0_17counting_iteratorIjlEEPS9_SG_NS0_5tupleIJPjSI_NS0_16reverse_iteratorISI_EEEEENSH_IJSG_SG_SG_EEES9_SI_JZNS1_25segmented_radix_sort_implINS0_14default_configELb1EPKfPfPKlPlN2at6native12_GLOBAL__N_18offset_tEEE10hipError_tPvRmT1_PNSt15iterator_traitsIS12_E10value_typeET2_T3_PNS13_IS18_E10value_typeET4_jRbjT5_S1E_jjP12ihipStream_tbEUljE_ZNSN_ISO_Lb1ESQ_SR_ST_SU_SY_EESZ_S10_S11_S12_S16_S17_S18_S1B_S1C_jS1D_jS1E_S1E_jjS1G_bEUljE0_EEESZ_S10_S11_S18_S1C_S1E_T6_T7_T9_mT8_S1G_bDpT10_ENKUlT_T0_E_clISt17integral_constantIbLb0EES1T_IbLb1EEEEDaS1P_S1Q_EUlS1P_E_NS1_11comp_targetILNS1_3genE5ELNS1_11target_archE942ELNS1_3gpuE9ELNS1_3repE0EEENS1_30default_config_static_selectorELNS0_4arch9wavefront6targetE0EEEvS12_.uses_vcc, 0
	.set _ZN7rocprim17ROCPRIM_400000_NS6detail17trampoline_kernelINS0_13select_configILj256ELj13ELNS0_17block_load_methodE3ELS4_3ELS4_3ELNS0_20block_scan_algorithmE0ELj4294967295EEENS1_25partition_config_selectorILNS1_17partition_subalgoE4EjNS0_10empty_typeEbEEZZNS1_14partition_implILS8_4ELb0ES6_15HIP_vector_typeIjLj2EENS0_17counting_iteratorIjlEEPS9_SG_NS0_5tupleIJPjSI_NS0_16reverse_iteratorISI_EEEEENSH_IJSG_SG_SG_EEES9_SI_JZNS1_25segmented_radix_sort_implINS0_14default_configELb1EPKfPfPKlPlN2at6native12_GLOBAL__N_18offset_tEEE10hipError_tPvRmT1_PNSt15iterator_traitsIS12_E10value_typeET2_T3_PNS13_IS18_E10value_typeET4_jRbjT5_S1E_jjP12ihipStream_tbEUljE_ZNSN_ISO_Lb1ESQ_SR_ST_SU_SY_EESZ_S10_S11_S12_S16_S17_S18_S1B_S1C_jS1D_jS1E_S1E_jjS1G_bEUljE0_EEESZ_S10_S11_S18_S1C_S1E_T6_T7_T9_mT8_S1G_bDpT10_ENKUlT_T0_E_clISt17integral_constantIbLb0EES1T_IbLb1EEEEDaS1P_S1Q_EUlS1P_E_NS1_11comp_targetILNS1_3genE5ELNS1_11target_archE942ELNS1_3gpuE9ELNS1_3repE0EEENS1_30default_config_static_selectorELNS0_4arch9wavefront6targetE0EEEvS12_.uses_flat_scratch, 0
	.set _ZN7rocprim17ROCPRIM_400000_NS6detail17trampoline_kernelINS0_13select_configILj256ELj13ELNS0_17block_load_methodE3ELS4_3ELS4_3ELNS0_20block_scan_algorithmE0ELj4294967295EEENS1_25partition_config_selectorILNS1_17partition_subalgoE4EjNS0_10empty_typeEbEEZZNS1_14partition_implILS8_4ELb0ES6_15HIP_vector_typeIjLj2EENS0_17counting_iteratorIjlEEPS9_SG_NS0_5tupleIJPjSI_NS0_16reverse_iteratorISI_EEEEENSH_IJSG_SG_SG_EEES9_SI_JZNS1_25segmented_radix_sort_implINS0_14default_configELb1EPKfPfPKlPlN2at6native12_GLOBAL__N_18offset_tEEE10hipError_tPvRmT1_PNSt15iterator_traitsIS12_E10value_typeET2_T3_PNS13_IS18_E10value_typeET4_jRbjT5_S1E_jjP12ihipStream_tbEUljE_ZNSN_ISO_Lb1ESQ_SR_ST_SU_SY_EESZ_S10_S11_S12_S16_S17_S18_S1B_S1C_jS1D_jS1E_S1E_jjS1G_bEUljE0_EEESZ_S10_S11_S18_S1C_S1E_T6_T7_T9_mT8_S1G_bDpT10_ENKUlT_T0_E_clISt17integral_constantIbLb0EES1T_IbLb1EEEEDaS1P_S1Q_EUlS1P_E_NS1_11comp_targetILNS1_3genE5ELNS1_11target_archE942ELNS1_3gpuE9ELNS1_3repE0EEENS1_30default_config_static_selectorELNS0_4arch9wavefront6targetE0EEEvS12_.has_dyn_sized_stack, 0
	.set _ZN7rocprim17ROCPRIM_400000_NS6detail17trampoline_kernelINS0_13select_configILj256ELj13ELNS0_17block_load_methodE3ELS4_3ELS4_3ELNS0_20block_scan_algorithmE0ELj4294967295EEENS1_25partition_config_selectorILNS1_17partition_subalgoE4EjNS0_10empty_typeEbEEZZNS1_14partition_implILS8_4ELb0ES6_15HIP_vector_typeIjLj2EENS0_17counting_iteratorIjlEEPS9_SG_NS0_5tupleIJPjSI_NS0_16reverse_iteratorISI_EEEEENSH_IJSG_SG_SG_EEES9_SI_JZNS1_25segmented_radix_sort_implINS0_14default_configELb1EPKfPfPKlPlN2at6native12_GLOBAL__N_18offset_tEEE10hipError_tPvRmT1_PNSt15iterator_traitsIS12_E10value_typeET2_T3_PNS13_IS18_E10value_typeET4_jRbjT5_S1E_jjP12ihipStream_tbEUljE_ZNSN_ISO_Lb1ESQ_SR_ST_SU_SY_EESZ_S10_S11_S12_S16_S17_S18_S1B_S1C_jS1D_jS1E_S1E_jjS1G_bEUljE0_EEESZ_S10_S11_S18_S1C_S1E_T6_T7_T9_mT8_S1G_bDpT10_ENKUlT_T0_E_clISt17integral_constantIbLb0EES1T_IbLb1EEEEDaS1P_S1Q_EUlS1P_E_NS1_11comp_targetILNS1_3genE5ELNS1_11target_archE942ELNS1_3gpuE9ELNS1_3repE0EEENS1_30default_config_static_selectorELNS0_4arch9wavefront6targetE0EEEvS12_.has_recursion, 0
	.set _ZN7rocprim17ROCPRIM_400000_NS6detail17trampoline_kernelINS0_13select_configILj256ELj13ELNS0_17block_load_methodE3ELS4_3ELS4_3ELNS0_20block_scan_algorithmE0ELj4294967295EEENS1_25partition_config_selectorILNS1_17partition_subalgoE4EjNS0_10empty_typeEbEEZZNS1_14partition_implILS8_4ELb0ES6_15HIP_vector_typeIjLj2EENS0_17counting_iteratorIjlEEPS9_SG_NS0_5tupleIJPjSI_NS0_16reverse_iteratorISI_EEEEENSH_IJSG_SG_SG_EEES9_SI_JZNS1_25segmented_radix_sort_implINS0_14default_configELb1EPKfPfPKlPlN2at6native12_GLOBAL__N_18offset_tEEE10hipError_tPvRmT1_PNSt15iterator_traitsIS12_E10value_typeET2_T3_PNS13_IS18_E10value_typeET4_jRbjT5_S1E_jjP12ihipStream_tbEUljE_ZNSN_ISO_Lb1ESQ_SR_ST_SU_SY_EESZ_S10_S11_S12_S16_S17_S18_S1B_S1C_jS1D_jS1E_S1E_jjS1G_bEUljE0_EEESZ_S10_S11_S18_S1C_S1E_T6_T7_T9_mT8_S1G_bDpT10_ENKUlT_T0_E_clISt17integral_constantIbLb0EES1T_IbLb1EEEEDaS1P_S1Q_EUlS1P_E_NS1_11comp_targetILNS1_3genE5ELNS1_11target_archE942ELNS1_3gpuE9ELNS1_3repE0EEENS1_30default_config_static_selectorELNS0_4arch9wavefront6targetE0EEEvS12_.has_indirect_call, 0
	.section	.AMDGPU.csdata,"",@progbits
; Kernel info:
; codeLenInByte = 0
; TotalNumSgprs: 0
; NumVgprs: 0
; ScratchSize: 0
; MemoryBound: 0
; FloatMode: 240
; IeeeMode: 1
; LDSByteSize: 0 bytes/workgroup (compile time only)
; SGPRBlocks: 0
; VGPRBlocks: 0
; NumSGPRsForWavesPerEU: 1
; NumVGPRsForWavesPerEU: 1
; NamedBarCnt: 0
; Occupancy: 16
; WaveLimiterHint : 0
; COMPUTE_PGM_RSRC2:SCRATCH_EN: 0
; COMPUTE_PGM_RSRC2:USER_SGPR: 2
; COMPUTE_PGM_RSRC2:TRAP_HANDLER: 0
; COMPUTE_PGM_RSRC2:TGID_X_EN: 1
; COMPUTE_PGM_RSRC2:TGID_Y_EN: 0
; COMPUTE_PGM_RSRC2:TGID_Z_EN: 0
; COMPUTE_PGM_RSRC2:TIDIG_COMP_CNT: 0
	.section	.text._ZN7rocprim17ROCPRIM_400000_NS6detail17trampoline_kernelINS0_13select_configILj256ELj13ELNS0_17block_load_methodE3ELS4_3ELS4_3ELNS0_20block_scan_algorithmE0ELj4294967295EEENS1_25partition_config_selectorILNS1_17partition_subalgoE4EjNS0_10empty_typeEbEEZZNS1_14partition_implILS8_4ELb0ES6_15HIP_vector_typeIjLj2EENS0_17counting_iteratorIjlEEPS9_SG_NS0_5tupleIJPjSI_NS0_16reverse_iteratorISI_EEEEENSH_IJSG_SG_SG_EEES9_SI_JZNS1_25segmented_radix_sort_implINS0_14default_configELb1EPKfPfPKlPlN2at6native12_GLOBAL__N_18offset_tEEE10hipError_tPvRmT1_PNSt15iterator_traitsIS12_E10value_typeET2_T3_PNS13_IS18_E10value_typeET4_jRbjT5_S1E_jjP12ihipStream_tbEUljE_ZNSN_ISO_Lb1ESQ_SR_ST_SU_SY_EESZ_S10_S11_S12_S16_S17_S18_S1B_S1C_jS1D_jS1E_S1E_jjS1G_bEUljE0_EEESZ_S10_S11_S18_S1C_S1E_T6_T7_T9_mT8_S1G_bDpT10_ENKUlT_T0_E_clISt17integral_constantIbLb0EES1T_IbLb1EEEEDaS1P_S1Q_EUlS1P_E_NS1_11comp_targetILNS1_3genE4ELNS1_11target_archE910ELNS1_3gpuE8ELNS1_3repE0EEENS1_30default_config_static_selectorELNS0_4arch9wavefront6targetE0EEEvS12_,"axG",@progbits,_ZN7rocprim17ROCPRIM_400000_NS6detail17trampoline_kernelINS0_13select_configILj256ELj13ELNS0_17block_load_methodE3ELS4_3ELS4_3ELNS0_20block_scan_algorithmE0ELj4294967295EEENS1_25partition_config_selectorILNS1_17partition_subalgoE4EjNS0_10empty_typeEbEEZZNS1_14partition_implILS8_4ELb0ES6_15HIP_vector_typeIjLj2EENS0_17counting_iteratorIjlEEPS9_SG_NS0_5tupleIJPjSI_NS0_16reverse_iteratorISI_EEEEENSH_IJSG_SG_SG_EEES9_SI_JZNS1_25segmented_radix_sort_implINS0_14default_configELb1EPKfPfPKlPlN2at6native12_GLOBAL__N_18offset_tEEE10hipError_tPvRmT1_PNSt15iterator_traitsIS12_E10value_typeET2_T3_PNS13_IS18_E10value_typeET4_jRbjT5_S1E_jjP12ihipStream_tbEUljE_ZNSN_ISO_Lb1ESQ_SR_ST_SU_SY_EESZ_S10_S11_S12_S16_S17_S18_S1B_S1C_jS1D_jS1E_S1E_jjS1G_bEUljE0_EEESZ_S10_S11_S18_S1C_S1E_T6_T7_T9_mT8_S1G_bDpT10_ENKUlT_T0_E_clISt17integral_constantIbLb0EES1T_IbLb1EEEEDaS1P_S1Q_EUlS1P_E_NS1_11comp_targetILNS1_3genE4ELNS1_11target_archE910ELNS1_3gpuE8ELNS1_3repE0EEENS1_30default_config_static_selectorELNS0_4arch9wavefront6targetE0EEEvS12_,comdat
	.globl	_ZN7rocprim17ROCPRIM_400000_NS6detail17trampoline_kernelINS0_13select_configILj256ELj13ELNS0_17block_load_methodE3ELS4_3ELS4_3ELNS0_20block_scan_algorithmE0ELj4294967295EEENS1_25partition_config_selectorILNS1_17partition_subalgoE4EjNS0_10empty_typeEbEEZZNS1_14partition_implILS8_4ELb0ES6_15HIP_vector_typeIjLj2EENS0_17counting_iteratorIjlEEPS9_SG_NS0_5tupleIJPjSI_NS0_16reverse_iteratorISI_EEEEENSH_IJSG_SG_SG_EEES9_SI_JZNS1_25segmented_radix_sort_implINS0_14default_configELb1EPKfPfPKlPlN2at6native12_GLOBAL__N_18offset_tEEE10hipError_tPvRmT1_PNSt15iterator_traitsIS12_E10value_typeET2_T3_PNS13_IS18_E10value_typeET4_jRbjT5_S1E_jjP12ihipStream_tbEUljE_ZNSN_ISO_Lb1ESQ_SR_ST_SU_SY_EESZ_S10_S11_S12_S16_S17_S18_S1B_S1C_jS1D_jS1E_S1E_jjS1G_bEUljE0_EEESZ_S10_S11_S18_S1C_S1E_T6_T7_T9_mT8_S1G_bDpT10_ENKUlT_T0_E_clISt17integral_constantIbLb0EES1T_IbLb1EEEEDaS1P_S1Q_EUlS1P_E_NS1_11comp_targetILNS1_3genE4ELNS1_11target_archE910ELNS1_3gpuE8ELNS1_3repE0EEENS1_30default_config_static_selectorELNS0_4arch9wavefront6targetE0EEEvS12_ ; -- Begin function _ZN7rocprim17ROCPRIM_400000_NS6detail17trampoline_kernelINS0_13select_configILj256ELj13ELNS0_17block_load_methodE3ELS4_3ELS4_3ELNS0_20block_scan_algorithmE0ELj4294967295EEENS1_25partition_config_selectorILNS1_17partition_subalgoE4EjNS0_10empty_typeEbEEZZNS1_14partition_implILS8_4ELb0ES6_15HIP_vector_typeIjLj2EENS0_17counting_iteratorIjlEEPS9_SG_NS0_5tupleIJPjSI_NS0_16reverse_iteratorISI_EEEEENSH_IJSG_SG_SG_EEES9_SI_JZNS1_25segmented_radix_sort_implINS0_14default_configELb1EPKfPfPKlPlN2at6native12_GLOBAL__N_18offset_tEEE10hipError_tPvRmT1_PNSt15iterator_traitsIS12_E10value_typeET2_T3_PNS13_IS18_E10value_typeET4_jRbjT5_S1E_jjP12ihipStream_tbEUljE_ZNSN_ISO_Lb1ESQ_SR_ST_SU_SY_EESZ_S10_S11_S12_S16_S17_S18_S1B_S1C_jS1D_jS1E_S1E_jjS1G_bEUljE0_EEESZ_S10_S11_S18_S1C_S1E_T6_T7_T9_mT8_S1G_bDpT10_ENKUlT_T0_E_clISt17integral_constantIbLb0EES1T_IbLb1EEEEDaS1P_S1Q_EUlS1P_E_NS1_11comp_targetILNS1_3genE4ELNS1_11target_archE910ELNS1_3gpuE8ELNS1_3repE0EEENS1_30default_config_static_selectorELNS0_4arch9wavefront6targetE0EEEvS12_
	.p2align	8
	.type	_ZN7rocprim17ROCPRIM_400000_NS6detail17trampoline_kernelINS0_13select_configILj256ELj13ELNS0_17block_load_methodE3ELS4_3ELS4_3ELNS0_20block_scan_algorithmE0ELj4294967295EEENS1_25partition_config_selectorILNS1_17partition_subalgoE4EjNS0_10empty_typeEbEEZZNS1_14partition_implILS8_4ELb0ES6_15HIP_vector_typeIjLj2EENS0_17counting_iteratorIjlEEPS9_SG_NS0_5tupleIJPjSI_NS0_16reverse_iteratorISI_EEEEENSH_IJSG_SG_SG_EEES9_SI_JZNS1_25segmented_radix_sort_implINS0_14default_configELb1EPKfPfPKlPlN2at6native12_GLOBAL__N_18offset_tEEE10hipError_tPvRmT1_PNSt15iterator_traitsIS12_E10value_typeET2_T3_PNS13_IS18_E10value_typeET4_jRbjT5_S1E_jjP12ihipStream_tbEUljE_ZNSN_ISO_Lb1ESQ_SR_ST_SU_SY_EESZ_S10_S11_S12_S16_S17_S18_S1B_S1C_jS1D_jS1E_S1E_jjS1G_bEUljE0_EEESZ_S10_S11_S18_S1C_S1E_T6_T7_T9_mT8_S1G_bDpT10_ENKUlT_T0_E_clISt17integral_constantIbLb0EES1T_IbLb1EEEEDaS1P_S1Q_EUlS1P_E_NS1_11comp_targetILNS1_3genE4ELNS1_11target_archE910ELNS1_3gpuE8ELNS1_3repE0EEENS1_30default_config_static_selectorELNS0_4arch9wavefront6targetE0EEEvS12_,@function
_ZN7rocprim17ROCPRIM_400000_NS6detail17trampoline_kernelINS0_13select_configILj256ELj13ELNS0_17block_load_methodE3ELS4_3ELS4_3ELNS0_20block_scan_algorithmE0ELj4294967295EEENS1_25partition_config_selectorILNS1_17partition_subalgoE4EjNS0_10empty_typeEbEEZZNS1_14partition_implILS8_4ELb0ES6_15HIP_vector_typeIjLj2EENS0_17counting_iteratorIjlEEPS9_SG_NS0_5tupleIJPjSI_NS0_16reverse_iteratorISI_EEEEENSH_IJSG_SG_SG_EEES9_SI_JZNS1_25segmented_radix_sort_implINS0_14default_configELb1EPKfPfPKlPlN2at6native12_GLOBAL__N_18offset_tEEE10hipError_tPvRmT1_PNSt15iterator_traitsIS12_E10value_typeET2_T3_PNS13_IS18_E10value_typeET4_jRbjT5_S1E_jjP12ihipStream_tbEUljE_ZNSN_ISO_Lb1ESQ_SR_ST_SU_SY_EESZ_S10_S11_S12_S16_S17_S18_S1B_S1C_jS1D_jS1E_S1E_jjS1G_bEUljE0_EEESZ_S10_S11_S18_S1C_S1E_T6_T7_T9_mT8_S1G_bDpT10_ENKUlT_T0_E_clISt17integral_constantIbLb0EES1T_IbLb1EEEEDaS1P_S1Q_EUlS1P_E_NS1_11comp_targetILNS1_3genE4ELNS1_11target_archE910ELNS1_3gpuE8ELNS1_3repE0EEENS1_30default_config_static_selectorELNS0_4arch9wavefront6targetE0EEEvS12_: ; @_ZN7rocprim17ROCPRIM_400000_NS6detail17trampoline_kernelINS0_13select_configILj256ELj13ELNS0_17block_load_methodE3ELS4_3ELS4_3ELNS0_20block_scan_algorithmE0ELj4294967295EEENS1_25partition_config_selectorILNS1_17partition_subalgoE4EjNS0_10empty_typeEbEEZZNS1_14partition_implILS8_4ELb0ES6_15HIP_vector_typeIjLj2EENS0_17counting_iteratorIjlEEPS9_SG_NS0_5tupleIJPjSI_NS0_16reverse_iteratorISI_EEEEENSH_IJSG_SG_SG_EEES9_SI_JZNS1_25segmented_radix_sort_implINS0_14default_configELb1EPKfPfPKlPlN2at6native12_GLOBAL__N_18offset_tEEE10hipError_tPvRmT1_PNSt15iterator_traitsIS12_E10value_typeET2_T3_PNS13_IS18_E10value_typeET4_jRbjT5_S1E_jjP12ihipStream_tbEUljE_ZNSN_ISO_Lb1ESQ_SR_ST_SU_SY_EESZ_S10_S11_S12_S16_S17_S18_S1B_S1C_jS1D_jS1E_S1E_jjS1G_bEUljE0_EEESZ_S10_S11_S18_S1C_S1E_T6_T7_T9_mT8_S1G_bDpT10_ENKUlT_T0_E_clISt17integral_constantIbLb0EES1T_IbLb1EEEEDaS1P_S1Q_EUlS1P_E_NS1_11comp_targetILNS1_3genE4ELNS1_11target_archE910ELNS1_3gpuE8ELNS1_3repE0EEENS1_30default_config_static_selectorELNS0_4arch9wavefront6targetE0EEEvS12_
; %bb.0:
	.section	.rodata,"a",@progbits
	.p2align	6, 0x0
	.amdhsa_kernel _ZN7rocprim17ROCPRIM_400000_NS6detail17trampoline_kernelINS0_13select_configILj256ELj13ELNS0_17block_load_methodE3ELS4_3ELS4_3ELNS0_20block_scan_algorithmE0ELj4294967295EEENS1_25partition_config_selectorILNS1_17partition_subalgoE4EjNS0_10empty_typeEbEEZZNS1_14partition_implILS8_4ELb0ES6_15HIP_vector_typeIjLj2EENS0_17counting_iteratorIjlEEPS9_SG_NS0_5tupleIJPjSI_NS0_16reverse_iteratorISI_EEEEENSH_IJSG_SG_SG_EEES9_SI_JZNS1_25segmented_radix_sort_implINS0_14default_configELb1EPKfPfPKlPlN2at6native12_GLOBAL__N_18offset_tEEE10hipError_tPvRmT1_PNSt15iterator_traitsIS12_E10value_typeET2_T3_PNS13_IS18_E10value_typeET4_jRbjT5_S1E_jjP12ihipStream_tbEUljE_ZNSN_ISO_Lb1ESQ_SR_ST_SU_SY_EESZ_S10_S11_S12_S16_S17_S18_S1B_S1C_jS1D_jS1E_S1E_jjS1G_bEUljE0_EEESZ_S10_S11_S18_S1C_S1E_T6_T7_T9_mT8_S1G_bDpT10_ENKUlT_T0_E_clISt17integral_constantIbLb0EES1T_IbLb1EEEEDaS1P_S1Q_EUlS1P_E_NS1_11comp_targetILNS1_3genE4ELNS1_11target_archE910ELNS1_3gpuE8ELNS1_3repE0EEENS1_30default_config_static_selectorELNS0_4arch9wavefront6targetE0EEEvS12_
		.amdhsa_group_segment_fixed_size 0
		.amdhsa_private_segment_fixed_size 0
		.amdhsa_kernarg_size 184
		.amdhsa_user_sgpr_count 2
		.amdhsa_user_sgpr_dispatch_ptr 0
		.amdhsa_user_sgpr_queue_ptr 0
		.amdhsa_user_sgpr_kernarg_segment_ptr 1
		.amdhsa_user_sgpr_dispatch_id 0
		.amdhsa_user_sgpr_kernarg_preload_length 0
		.amdhsa_user_sgpr_kernarg_preload_offset 0
		.amdhsa_user_sgpr_private_segment_size 0
		.amdhsa_wavefront_size32 1
		.amdhsa_uses_dynamic_stack 0
		.amdhsa_enable_private_segment 0
		.amdhsa_system_sgpr_workgroup_id_x 1
		.amdhsa_system_sgpr_workgroup_id_y 0
		.amdhsa_system_sgpr_workgroup_id_z 0
		.amdhsa_system_sgpr_workgroup_info 0
		.amdhsa_system_vgpr_workitem_id 0
		.amdhsa_next_free_vgpr 1
		.amdhsa_next_free_sgpr 1
		.amdhsa_named_barrier_count 0
		.amdhsa_reserve_vcc 0
		.amdhsa_float_round_mode_32 0
		.amdhsa_float_round_mode_16_64 0
		.amdhsa_float_denorm_mode_32 3
		.amdhsa_float_denorm_mode_16_64 3
		.amdhsa_fp16_overflow 0
		.amdhsa_memory_ordered 1
		.amdhsa_forward_progress 1
		.amdhsa_inst_pref_size 0
		.amdhsa_round_robin_scheduling 0
		.amdhsa_exception_fp_ieee_invalid_op 0
		.amdhsa_exception_fp_denorm_src 0
		.amdhsa_exception_fp_ieee_div_zero 0
		.amdhsa_exception_fp_ieee_overflow 0
		.amdhsa_exception_fp_ieee_underflow 0
		.amdhsa_exception_fp_ieee_inexact 0
		.amdhsa_exception_int_div_zero 0
	.end_amdhsa_kernel
	.section	.text._ZN7rocprim17ROCPRIM_400000_NS6detail17trampoline_kernelINS0_13select_configILj256ELj13ELNS0_17block_load_methodE3ELS4_3ELS4_3ELNS0_20block_scan_algorithmE0ELj4294967295EEENS1_25partition_config_selectorILNS1_17partition_subalgoE4EjNS0_10empty_typeEbEEZZNS1_14partition_implILS8_4ELb0ES6_15HIP_vector_typeIjLj2EENS0_17counting_iteratorIjlEEPS9_SG_NS0_5tupleIJPjSI_NS0_16reverse_iteratorISI_EEEEENSH_IJSG_SG_SG_EEES9_SI_JZNS1_25segmented_radix_sort_implINS0_14default_configELb1EPKfPfPKlPlN2at6native12_GLOBAL__N_18offset_tEEE10hipError_tPvRmT1_PNSt15iterator_traitsIS12_E10value_typeET2_T3_PNS13_IS18_E10value_typeET4_jRbjT5_S1E_jjP12ihipStream_tbEUljE_ZNSN_ISO_Lb1ESQ_SR_ST_SU_SY_EESZ_S10_S11_S12_S16_S17_S18_S1B_S1C_jS1D_jS1E_S1E_jjS1G_bEUljE0_EEESZ_S10_S11_S18_S1C_S1E_T6_T7_T9_mT8_S1G_bDpT10_ENKUlT_T0_E_clISt17integral_constantIbLb0EES1T_IbLb1EEEEDaS1P_S1Q_EUlS1P_E_NS1_11comp_targetILNS1_3genE4ELNS1_11target_archE910ELNS1_3gpuE8ELNS1_3repE0EEENS1_30default_config_static_selectorELNS0_4arch9wavefront6targetE0EEEvS12_,"axG",@progbits,_ZN7rocprim17ROCPRIM_400000_NS6detail17trampoline_kernelINS0_13select_configILj256ELj13ELNS0_17block_load_methodE3ELS4_3ELS4_3ELNS0_20block_scan_algorithmE0ELj4294967295EEENS1_25partition_config_selectorILNS1_17partition_subalgoE4EjNS0_10empty_typeEbEEZZNS1_14partition_implILS8_4ELb0ES6_15HIP_vector_typeIjLj2EENS0_17counting_iteratorIjlEEPS9_SG_NS0_5tupleIJPjSI_NS0_16reverse_iteratorISI_EEEEENSH_IJSG_SG_SG_EEES9_SI_JZNS1_25segmented_radix_sort_implINS0_14default_configELb1EPKfPfPKlPlN2at6native12_GLOBAL__N_18offset_tEEE10hipError_tPvRmT1_PNSt15iterator_traitsIS12_E10value_typeET2_T3_PNS13_IS18_E10value_typeET4_jRbjT5_S1E_jjP12ihipStream_tbEUljE_ZNSN_ISO_Lb1ESQ_SR_ST_SU_SY_EESZ_S10_S11_S12_S16_S17_S18_S1B_S1C_jS1D_jS1E_S1E_jjS1G_bEUljE0_EEESZ_S10_S11_S18_S1C_S1E_T6_T7_T9_mT8_S1G_bDpT10_ENKUlT_T0_E_clISt17integral_constantIbLb0EES1T_IbLb1EEEEDaS1P_S1Q_EUlS1P_E_NS1_11comp_targetILNS1_3genE4ELNS1_11target_archE910ELNS1_3gpuE8ELNS1_3repE0EEENS1_30default_config_static_selectorELNS0_4arch9wavefront6targetE0EEEvS12_,comdat
.Lfunc_end1281:
	.size	_ZN7rocprim17ROCPRIM_400000_NS6detail17trampoline_kernelINS0_13select_configILj256ELj13ELNS0_17block_load_methodE3ELS4_3ELS4_3ELNS0_20block_scan_algorithmE0ELj4294967295EEENS1_25partition_config_selectorILNS1_17partition_subalgoE4EjNS0_10empty_typeEbEEZZNS1_14partition_implILS8_4ELb0ES6_15HIP_vector_typeIjLj2EENS0_17counting_iteratorIjlEEPS9_SG_NS0_5tupleIJPjSI_NS0_16reverse_iteratorISI_EEEEENSH_IJSG_SG_SG_EEES9_SI_JZNS1_25segmented_radix_sort_implINS0_14default_configELb1EPKfPfPKlPlN2at6native12_GLOBAL__N_18offset_tEEE10hipError_tPvRmT1_PNSt15iterator_traitsIS12_E10value_typeET2_T3_PNS13_IS18_E10value_typeET4_jRbjT5_S1E_jjP12ihipStream_tbEUljE_ZNSN_ISO_Lb1ESQ_SR_ST_SU_SY_EESZ_S10_S11_S12_S16_S17_S18_S1B_S1C_jS1D_jS1E_S1E_jjS1G_bEUljE0_EEESZ_S10_S11_S18_S1C_S1E_T6_T7_T9_mT8_S1G_bDpT10_ENKUlT_T0_E_clISt17integral_constantIbLb0EES1T_IbLb1EEEEDaS1P_S1Q_EUlS1P_E_NS1_11comp_targetILNS1_3genE4ELNS1_11target_archE910ELNS1_3gpuE8ELNS1_3repE0EEENS1_30default_config_static_selectorELNS0_4arch9wavefront6targetE0EEEvS12_, .Lfunc_end1281-_ZN7rocprim17ROCPRIM_400000_NS6detail17trampoline_kernelINS0_13select_configILj256ELj13ELNS0_17block_load_methodE3ELS4_3ELS4_3ELNS0_20block_scan_algorithmE0ELj4294967295EEENS1_25partition_config_selectorILNS1_17partition_subalgoE4EjNS0_10empty_typeEbEEZZNS1_14partition_implILS8_4ELb0ES6_15HIP_vector_typeIjLj2EENS0_17counting_iteratorIjlEEPS9_SG_NS0_5tupleIJPjSI_NS0_16reverse_iteratorISI_EEEEENSH_IJSG_SG_SG_EEES9_SI_JZNS1_25segmented_radix_sort_implINS0_14default_configELb1EPKfPfPKlPlN2at6native12_GLOBAL__N_18offset_tEEE10hipError_tPvRmT1_PNSt15iterator_traitsIS12_E10value_typeET2_T3_PNS13_IS18_E10value_typeET4_jRbjT5_S1E_jjP12ihipStream_tbEUljE_ZNSN_ISO_Lb1ESQ_SR_ST_SU_SY_EESZ_S10_S11_S12_S16_S17_S18_S1B_S1C_jS1D_jS1E_S1E_jjS1G_bEUljE0_EEESZ_S10_S11_S18_S1C_S1E_T6_T7_T9_mT8_S1G_bDpT10_ENKUlT_T0_E_clISt17integral_constantIbLb0EES1T_IbLb1EEEEDaS1P_S1Q_EUlS1P_E_NS1_11comp_targetILNS1_3genE4ELNS1_11target_archE910ELNS1_3gpuE8ELNS1_3repE0EEENS1_30default_config_static_selectorELNS0_4arch9wavefront6targetE0EEEvS12_
                                        ; -- End function
	.set _ZN7rocprim17ROCPRIM_400000_NS6detail17trampoline_kernelINS0_13select_configILj256ELj13ELNS0_17block_load_methodE3ELS4_3ELS4_3ELNS0_20block_scan_algorithmE0ELj4294967295EEENS1_25partition_config_selectorILNS1_17partition_subalgoE4EjNS0_10empty_typeEbEEZZNS1_14partition_implILS8_4ELb0ES6_15HIP_vector_typeIjLj2EENS0_17counting_iteratorIjlEEPS9_SG_NS0_5tupleIJPjSI_NS0_16reverse_iteratorISI_EEEEENSH_IJSG_SG_SG_EEES9_SI_JZNS1_25segmented_radix_sort_implINS0_14default_configELb1EPKfPfPKlPlN2at6native12_GLOBAL__N_18offset_tEEE10hipError_tPvRmT1_PNSt15iterator_traitsIS12_E10value_typeET2_T3_PNS13_IS18_E10value_typeET4_jRbjT5_S1E_jjP12ihipStream_tbEUljE_ZNSN_ISO_Lb1ESQ_SR_ST_SU_SY_EESZ_S10_S11_S12_S16_S17_S18_S1B_S1C_jS1D_jS1E_S1E_jjS1G_bEUljE0_EEESZ_S10_S11_S18_S1C_S1E_T6_T7_T9_mT8_S1G_bDpT10_ENKUlT_T0_E_clISt17integral_constantIbLb0EES1T_IbLb1EEEEDaS1P_S1Q_EUlS1P_E_NS1_11comp_targetILNS1_3genE4ELNS1_11target_archE910ELNS1_3gpuE8ELNS1_3repE0EEENS1_30default_config_static_selectorELNS0_4arch9wavefront6targetE0EEEvS12_.num_vgpr, 0
	.set _ZN7rocprim17ROCPRIM_400000_NS6detail17trampoline_kernelINS0_13select_configILj256ELj13ELNS0_17block_load_methodE3ELS4_3ELS4_3ELNS0_20block_scan_algorithmE0ELj4294967295EEENS1_25partition_config_selectorILNS1_17partition_subalgoE4EjNS0_10empty_typeEbEEZZNS1_14partition_implILS8_4ELb0ES6_15HIP_vector_typeIjLj2EENS0_17counting_iteratorIjlEEPS9_SG_NS0_5tupleIJPjSI_NS0_16reverse_iteratorISI_EEEEENSH_IJSG_SG_SG_EEES9_SI_JZNS1_25segmented_radix_sort_implINS0_14default_configELb1EPKfPfPKlPlN2at6native12_GLOBAL__N_18offset_tEEE10hipError_tPvRmT1_PNSt15iterator_traitsIS12_E10value_typeET2_T3_PNS13_IS18_E10value_typeET4_jRbjT5_S1E_jjP12ihipStream_tbEUljE_ZNSN_ISO_Lb1ESQ_SR_ST_SU_SY_EESZ_S10_S11_S12_S16_S17_S18_S1B_S1C_jS1D_jS1E_S1E_jjS1G_bEUljE0_EEESZ_S10_S11_S18_S1C_S1E_T6_T7_T9_mT8_S1G_bDpT10_ENKUlT_T0_E_clISt17integral_constantIbLb0EES1T_IbLb1EEEEDaS1P_S1Q_EUlS1P_E_NS1_11comp_targetILNS1_3genE4ELNS1_11target_archE910ELNS1_3gpuE8ELNS1_3repE0EEENS1_30default_config_static_selectorELNS0_4arch9wavefront6targetE0EEEvS12_.num_agpr, 0
	.set _ZN7rocprim17ROCPRIM_400000_NS6detail17trampoline_kernelINS0_13select_configILj256ELj13ELNS0_17block_load_methodE3ELS4_3ELS4_3ELNS0_20block_scan_algorithmE0ELj4294967295EEENS1_25partition_config_selectorILNS1_17partition_subalgoE4EjNS0_10empty_typeEbEEZZNS1_14partition_implILS8_4ELb0ES6_15HIP_vector_typeIjLj2EENS0_17counting_iteratorIjlEEPS9_SG_NS0_5tupleIJPjSI_NS0_16reverse_iteratorISI_EEEEENSH_IJSG_SG_SG_EEES9_SI_JZNS1_25segmented_radix_sort_implINS0_14default_configELb1EPKfPfPKlPlN2at6native12_GLOBAL__N_18offset_tEEE10hipError_tPvRmT1_PNSt15iterator_traitsIS12_E10value_typeET2_T3_PNS13_IS18_E10value_typeET4_jRbjT5_S1E_jjP12ihipStream_tbEUljE_ZNSN_ISO_Lb1ESQ_SR_ST_SU_SY_EESZ_S10_S11_S12_S16_S17_S18_S1B_S1C_jS1D_jS1E_S1E_jjS1G_bEUljE0_EEESZ_S10_S11_S18_S1C_S1E_T6_T7_T9_mT8_S1G_bDpT10_ENKUlT_T0_E_clISt17integral_constantIbLb0EES1T_IbLb1EEEEDaS1P_S1Q_EUlS1P_E_NS1_11comp_targetILNS1_3genE4ELNS1_11target_archE910ELNS1_3gpuE8ELNS1_3repE0EEENS1_30default_config_static_selectorELNS0_4arch9wavefront6targetE0EEEvS12_.numbered_sgpr, 0
	.set _ZN7rocprim17ROCPRIM_400000_NS6detail17trampoline_kernelINS0_13select_configILj256ELj13ELNS0_17block_load_methodE3ELS4_3ELS4_3ELNS0_20block_scan_algorithmE0ELj4294967295EEENS1_25partition_config_selectorILNS1_17partition_subalgoE4EjNS0_10empty_typeEbEEZZNS1_14partition_implILS8_4ELb0ES6_15HIP_vector_typeIjLj2EENS0_17counting_iteratorIjlEEPS9_SG_NS0_5tupleIJPjSI_NS0_16reverse_iteratorISI_EEEEENSH_IJSG_SG_SG_EEES9_SI_JZNS1_25segmented_radix_sort_implINS0_14default_configELb1EPKfPfPKlPlN2at6native12_GLOBAL__N_18offset_tEEE10hipError_tPvRmT1_PNSt15iterator_traitsIS12_E10value_typeET2_T3_PNS13_IS18_E10value_typeET4_jRbjT5_S1E_jjP12ihipStream_tbEUljE_ZNSN_ISO_Lb1ESQ_SR_ST_SU_SY_EESZ_S10_S11_S12_S16_S17_S18_S1B_S1C_jS1D_jS1E_S1E_jjS1G_bEUljE0_EEESZ_S10_S11_S18_S1C_S1E_T6_T7_T9_mT8_S1G_bDpT10_ENKUlT_T0_E_clISt17integral_constantIbLb0EES1T_IbLb1EEEEDaS1P_S1Q_EUlS1P_E_NS1_11comp_targetILNS1_3genE4ELNS1_11target_archE910ELNS1_3gpuE8ELNS1_3repE0EEENS1_30default_config_static_selectorELNS0_4arch9wavefront6targetE0EEEvS12_.num_named_barrier, 0
	.set _ZN7rocprim17ROCPRIM_400000_NS6detail17trampoline_kernelINS0_13select_configILj256ELj13ELNS0_17block_load_methodE3ELS4_3ELS4_3ELNS0_20block_scan_algorithmE0ELj4294967295EEENS1_25partition_config_selectorILNS1_17partition_subalgoE4EjNS0_10empty_typeEbEEZZNS1_14partition_implILS8_4ELb0ES6_15HIP_vector_typeIjLj2EENS0_17counting_iteratorIjlEEPS9_SG_NS0_5tupleIJPjSI_NS0_16reverse_iteratorISI_EEEEENSH_IJSG_SG_SG_EEES9_SI_JZNS1_25segmented_radix_sort_implINS0_14default_configELb1EPKfPfPKlPlN2at6native12_GLOBAL__N_18offset_tEEE10hipError_tPvRmT1_PNSt15iterator_traitsIS12_E10value_typeET2_T3_PNS13_IS18_E10value_typeET4_jRbjT5_S1E_jjP12ihipStream_tbEUljE_ZNSN_ISO_Lb1ESQ_SR_ST_SU_SY_EESZ_S10_S11_S12_S16_S17_S18_S1B_S1C_jS1D_jS1E_S1E_jjS1G_bEUljE0_EEESZ_S10_S11_S18_S1C_S1E_T6_T7_T9_mT8_S1G_bDpT10_ENKUlT_T0_E_clISt17integral_constantIbLb0EES1T_IbLb1EEEEDaS1P_S1Q_EUlS1P_E_NS1_11comp_targetILNS1_3genE4ELNS1_11target_archE910ELNS1_3gpuE8ELNS1_3repE0EEENS1_30default_config_static_selectorELNS0_4arch9wavefront6targetE0EEEvS12_.private_seg_size, 0
	.set _ZN7rocprim17ROCPRIM_400000_NS6detail17trampoline_kernelINS0_13select_configILj256ELj13ELNS0_17block_load_methodE3ELS4_3ELS4_3ELNS0_20block_scan_algorithmE0ELj4294967295EEENS1_25partition_config_selectorILNS1_17partition_subalgoE4EjNS0_10empty_typeEbEEZZNS1_14partition_implILS8_4ELb0ES6_15HIP_vector_typeIjLj2EENS0_17counting_iteratorIjlEEPS9_SG_NS0_5tupleIJPjSI_NS0_16reverse_iteratorISI_EEEEENSH_IJSG_SG_SG_EEES9_SI_JZNS1_25segmented_radix_sort_implINS0_14default_configELb1EPKfPfPKlPlN2at6native12_GLOBAL__N_18offset_tEEE10hipError_tPvRmT1_PNSt15iterator_traitsIS12_E10value_typeET2_T3_PNS13_IS18_E10value_typeET4_jRbjT5_S1E_jjP12ihipStream_tbEUljE_ZNSN_ISO_Lb1ESQ_SR_ST_SU_SY_EESZ_S10_S11_S12_S16_S17_S18_S1B_S1C_jS1D_jS1E_S1E_jjS1G_bEUljE0_EEESZ_S10_S11_S18_S1C_S1E_T6_T7_T9_mT8_S1G_bDpT10_ENKUlT_T0_E_clISt17integral_constantIbLb0EES1T_IbLb1EEEEDaS1P_S1Q_EUlS1P_E_NS1_11comp_targetILNS1_3genE4ELNS1_11target_archE910ELNS1_3gpuE8ELNS1_3repE0EEENS1_30default_config_static_selectorELNS0_4arch9wavefront6targetE0EEEvS12_.uses_vcc, 0
	.set _ZN7rocprim17ROCPRIM_400000_NS6detail17trampoline_kernelINS0_13select_configILj256ELj13ELNS0_17block_load_methodE3ELS4_3ELS4_3ELNS0_20block_scan_algorithmE0ELj4294967295EEENS1_25partition_config_selectorILNS1_17partition_subalgoE4EjNS0_10empty_typeEbEEZZNS1_14partition_implILS8_4ELb0ES6_15HIP_vector_typeIjLj2EENS0_17counting_iteratorIjlEEPS9_SG_NS0_5tupleIJPjSI_NS0_16reverse_iteratorISI_EEEEENSH_IJSG_SG_SG_EEES9_SI_JZNS1_25segmented_radix_sort_implINS0_14default_configELb1EPKfPfPKlPlN2at6native12_GLOBAL__N_18offset_tEEE10hipError_tPvRmT1_PNSt15iterator_traitsIS12_E10value_typeET2_T3_PNS13_IS18_E10value_typeET4_jRbjT5_S1E_jjP12ihipStream_tbEUljE_ZNSN_ISO_Lb1ESQ_SR_ST_SU_SY_EESZ_S10_S11_S12_S16_S17_S18_S1B_S1C_jS1D_jS1E_S1E_jjS1G_bEUljE0_EEESZ_S10_S11_S18_S1C_S1E_T6_T7_T9_mT8_S1G_bDpT10_ENKUlT_T0_E_clISt17integral_constantIbLb0EES1T_IbLb1EEEEDaS1P_S1Q_EUlS1P_E_NS1_11comp_targetILNS1_3genE4ELNS1_11target_archE910ELNS1_3gpuE8ELNS1_3repE0EEENS1_30default_config_static_selectorELNS0_4arch9wavefront6targetE0EEEvS12_.uses_flat_scratch, 0
	.set _ZN7rocprim17ROCPRIM_400000_NS6detail17trampoline_kernelINS0_13select_configILj256ELj13ELNS0_17block_load_methodE3ELS4_3ELS4_3ELNS0_20block_scan_algorithmE0ELj4294967295EEENS1_25partition_config_selectorILNS1_17partition_subalgoE4EjNS0_10empty_typeEbEEZZNS1_14partition_implILS8_4ELb0ES6_15HIP_vector_typeIjLj2EENS0_17counting_iteratorIjlEEPS9_SG_NS0_5tupleIJPjSI_NS0_16reverse_iteratorISI_EEEEENSH_IJSG_SG_SG_EEES9_SI_JZNS1_25segmented_radix_sort_implINS0_14default_configELb1EPKfPfPKlPlN2at6native12_GLOBAL__N_18offset_tEEE10hipError_tPvRmT1_PNSt15iterator_traitsIS12_E10value_typeET2_T3_PNS13_IS18_E10value_typeET4_jRbjT5_S1E_jjP12ihipStream_tbEUljE_ZNSN_ISO_Lb1ESQ_SR_ST_SU_SY_EESZ_S10_S11_S12_S16_S17_S18_S1B_S1C_jS1D_jS1E_S1E_jjS1G_bEUljE0_EEESZ_S10_S11_S18_S1C_S1E_T6_T7_T9_mT8_S1G_bDpT10_ENKUlT_T0_E_clISt17integral_constantIbLb0EES1T_IbLb1EEEEDaS1P_S1Q_EUlS1P_E_NS1_11comp_targetILNS1_3genE4ELNS1_11target_archE910ELNS1_3gpuE8ELNS1_3repE0EEENS1_30default_config_static_selectorELNS0_4arch9wavefront6targetE0EEEvS12_.has_dyn_sized_stack, 0
	.set _ZN7rocprim17ROCPRIM_400000_NS6detail17trampoline_kernelINS0_13select_configILj256ELj13ELNS0_17block_load_methodE3ELS4_3ELS4_3ELNS0_20block_scan_algorithmE0ELj4294967295EEENS1_25partition_config_selectorILNS1_17partition_subalgoE4EjNS0_10empty_typeEbEEZZNS1_14partition_implILS8_4ELb0ES6_15HIP_vector_typeIjLj2EENS0_17counting_iteratorIjlEEPS9_SG_NS0_5tupleIJPjSI_NS0_16reverse_iteratorISI_EEEEENSH_IJSG_SG_SG_EEES9_SI_JZNS1_25segmented_radix_sort_implINS0_14default_configELb1EPKfPfPKlPlN2at6native12_GLOBAL__N_18offset_tEEE10hipError_tPvRmT1_PNSt15iterator_traitsIS12_E10value_typeET2_T3_PNS13_IS18_E10value_typeET4_jRbjT5_S1E_jjP12ihipStream_tbEUljE_ZNSN_ISO_Lb1ESQ_SR_ST_SU_SY_EESZ_S10_S11_S12_S16_S17_S18_S1B_S1C_jS1D_jS1E_S1E_jjS1G_bEUljE0_EEESZ_S10_S11_S18_S1C_S1E_T6_T7_T9_mT8_S1G_bDpT10_ENKUlT_T0_E_clISt17integral_constantIbLb0EES1T_IbLb1EEEEDaS1P_S1Q_EUlS1P_E_NS1_11comp_targetILNS1_3genE4ELNS1_11target_archE910ELNS1_3gpuE8ELNS1_3repE0EEENS1_30default_config_static_selectorELNS0_4arch9wavefront6targetE0EEEvS12_.has_recursion, 0
	.set _ZN7rocprim17ROCPRIM_400000_NS6detail17trampoline_kernelINS0_13select_configILj256ELj13ELNS0_17block_load_methodE3ELS4_3ELS4_3ELNS0_20block_scan_algorithmE0ELj4294967295EEENS1_25partition_config_selectorILNS1_17partition_subalgoE4EjNS0_10empty_typeEbEEZZNS1_14partition_implILS8_4ELb0ES6_15HIP_vector_typeIjLj2EENS0_17counting_iteratorIjlEEPS9_SG_NS0_5tupleIJPjSI_NS0_16reverse_iteratorISI_EEEEENSH_IJSG_SG_SG_EEES9_SI_JZNS1_25segmented_radix_sort_implINS0_14default_configELb1EPKfPfPKlPlN2at6native12_GLOBAL__N_18offset_tEEE10hipError_tPvRmT1_PNSt15iterator_traitsIS12_E10value_typeET2_T3_PNS13_IS18_E10value_typeET4_jRbjT5_S1E_jjP12ihipStream_tbEUljE_ZNSN_ISO_Lb1ESQ_SR_ST_SU_SY_EESZ_S10_S11_S12_S16_S17_S18_S1B_S1C_jS1D_jS1E_S1E_jjS1G_bEUljE0_EEESZ_S10_S11_S18_S1C_S1E_T6_T7_T9_mT8_S1G_bDpT10_ENKUlT_T0_E_clISt17integral_constantIbLb0EES1T_IbLb1EEEEDaS1P_S1Q_EUlS1P_E_NS1_11comp_targetILNS1_3genE4ELNS1_11target_archE910ELNS1_3gpuE8ELNS1_3repE0EEENS1_30default_config_static_selectorELNS0_4arch9wavefront6targetE0EEEvS12_.has_indirect_call, 0
	.section	.AMDGPU.csdata,"",@progbits
; Kernel info:
; codeLenInByte = 0
; TotalNumSgprs: 0
; NumVgprs: 0
; ScratchSize: 0
; MemoryBound: 0
; FloatMode: 240
; IeeeMode: 1
; LDSByteSize: 0 bytes/workgroup (compile time only)
; SGPRBlocks: 0
; VGPRBlocks: 0
; NumSGPRsForWavesPerEU: 1
; NumVGPRsForWavesPerEU: 1
; NamedBarCnt: 0
; Occupancy: 16
; WaveLimiterHint : 0
; COMPUTE_PGM_RSRC2:SCRATCH_EN: 0
; COMPUTE_PGM_RSRC2:USER_SGPR: 2
; COMPUTE_PGM_RSRC2:TRAP_HANDLER: 0
; COMPUTE_PGM_RSRC2:TGID_X_EN: 1
; COMPUTE_PGM_RSRC2:TGID_Y_EN: 0
; COMPUTE_PGM_RSRC2:TGID_Z_EN: 0
; COMPUTE_PGM_RSRC2:TIDIG_COMP_CNT: 0
	.section	.text._ZN7rocprim17ROCPRIM_400000_NS6detail17trampoline_kernelINS0_13select_configILj256ELj13ELNS0_17block_load_methodE3ELS4_3ELS4_3ELNS0_20block_scan_algorithmE0ELj4294967295EEENS1_25partition_config_selectorILNS1_17partition_subalgoE4EjNS0_10empty_typeEbEEZZNS1_14partition_implILS8_4ELb0ES6_15HIP_vector_typeIjLj2EENS0_17counting_iteratorIjlEEPS9_SG_NS0_5tupleIJPjSI_NS0_16reverse_iteratorISI_EEEEENSH_IJSG_SG_SG_EEES9_SI_JZNS1_25segmented_radix_sort_implINS0_14default_configELb1EPKfPfPKlPlN2at6native12_GLOBAL__N_18offset_tEEE10hipError_tPvRmT1_PNSt15iterator_traitsIS12_E10value_typeET2_T3_PNS13_IS18_E10value_typeET4_jRbjT5_S1E_jjP12ihipStream_tbEUljE_ZNSN_ISO_Lb1ESQ_SR_ST_SU_SY_EESZ_S10_S11_S12_S16_S17_S18_S1B_S1C_jS1D_jS1E_S1E_jjS1G_bEUljE0_EEESZ_S10_S11_S18_S1C_S1E_T6_T7_T9_mT8_S1G_bDpT10_ENKUlT_T0_E_clISt17integral_constantIbLb0EES1T_IbLb1EEEEDaS1P_S1Q_EUlS1P_E_NS1_11comp_targetILNS1_3genE3ELNS1_11target_archE908ELNS1_3gpuE7ELNS1_3repE0EEENS1_30default_config_static_selectorELNS0_4arch9wavefront6targetE0EEEvS12_,"axG",@progbits,_ZN7rocprim17ROCPRIM_400000_NS6detail17trampoline_kernelINS0_13select_configILj256ELj13ELNS0_17block_load_methodE3ELS4_3ELS4_3ELNS0_20block_scan_algorithmE0ELj4294967295EEENS1_25partition_config_selectorILNS1_17partition_subalgoE4EjNS0_10empty_typeEbEEZZNS1_14partition_implILS8_4ELb0ES6_15HIP_vector_typeIjLj2EENS0_17counting_iteratorIjlEEPS9_SG_NS0_5tupleIJPjSI_NS0_16reverse_iteratorISI_EEEEENSH_IJSG_SG_SG_EEES9_SI_JZNS1_25segmented_radix_sort_implINS0_14default_configELb1EPKfPfPKlPlN2at6native12_GLOBAL__N_18offset_tEEE10hipError_tPvRmT1_PNSt15iterator_traitsIS12_E10value_typeET2_T3_PNS13_IS18_E10value_typeET4_jRbjT5_S1E_jjP12ihipStream_tbEUljE_ZNSN_ISO_Lb1ESQ_SR_ST_SU_SY_EESZ_S10_S11_S12_S16_S17_S18_S1B_S1C_jS1D_jS1E_S1E_jjS1G_bEUljE0_EEESZ_S10_S11_S18_S1C_S1E_T6_T7_T9_mT8_S1G_bDpT10_ENKUlT_T0_E_clISt17integral_constantIbLb0EES1T_IbLb1EEEEDaS1P_S1Q_EUlS1P_E_NS1_11comp_targetILNS1_3genE3ELNS1_11target_archE908ELNS1_3gpuE7ELNS1_3repE0EEENS1_30default_config_static_selectorELNS0_4arch9wavefront6targetE0EEEvS12_,comdat
	.globl	_ZN7rocprim17ROCPRIM_400000_NS6detail17trampoline_kernelINS0_13select_configILj256ELj13ELNS0_17block_load_methodE3ELS4_3ELS4_3ELNS0_20block_scan_algorithmE0ELj4294967295EEENS1_25partition_config_selectorILNS1_17partition_subalgoE4EjNS0_10empty_typeEbEEZZNS1_14partition_implILS8_4ELb0ES6_15HIP_vector_typeIjLj2EENS0_17counting_iteratorIjlEEPS9_SG_NS0_5tupleIJPjSI_NS0_16reverse_iteratorISI_EEEEENSH_IJSG_SG_SG_EEES9_SI_JZNS1_25segmented_radix_sort_implINS0_14default_configELb1EPKfPfPKlPlN2at6native12_GLOBAL__N_18offset_tEEE10hipError_tPvRmT1_PNSt15iterator_traitsIS12_E10value_typeET2_T3_PNS13_IS18_E10value_typeET4_jRbjT5_S1E_jjP12ihipStream_tbEUljE_ZNSN_ISO_Lb1ESQ_SR_ST_SU_SY_EESZ_S10_S11_S12_S16_S17_S18_S1B_S1C_jS1D_jS1E_S1E_jjS1G_bEUljE0_EEESZ_S10_S11_S18_S1C_S1E_T6_T7_T9_mT8_S1G_bDpT10_ENKUlT_T0_E_clISt17integral_constantIbLb0EES1T_IbLb1EEEEDaS1P_S1Q_EUlS1P_E_NS1_11comp_targetILNS1_3genE3ELNS1_11target_archE908ELNS1_3gpuE7ELNS1_3repE0EEENS1_30default_config_static_selectorELNS0_4arch9wavefront6targetE0EEEvS12_ ; -- Begin function _ZN7rocprim17ROCPRIM_400000_NS6detail17trampoline_kernelINS0_13select_configILj256ELj13ELNS0_17block_load_methodE3ELS4_3ELS4_3ELNS0_20block_scan_algorithmE0ELj4294967295EEENS1_25partition_config_selectorILNS1_17partition_subalgoE4EjNS0_10empty_typeEbEEZZNS1_14partition_implILS8_4ELb0ES6_15HIP_vector_typeIjLj2EENS0_17counting_iteratorIjlEEPS9_SG_NS0_5tupleIJPjSI_NS0_16reverse_iteratorISI_EEEEENSH_IJSG_SG_SG_EEES9_SI_JZNS1_25segmented_radix_sort_implINS0_14default_configELb1EPKfPfPKlPlN2at6native12_GLOBAL__N_18offset_tEEE10hipError_tPvRmT1_PNSt15iterator_traitsIS12_E10value_typeET2_T3_PNS13_IS18_E10value_typeET4_jRbjT5_S1E_jjP12ihipStream_tbEUljE_ZNSN_ISO_Lb1ESQ_SR_ST_SU_SY_EESZ_S10_S11_S12_S16_S17_S18_S1B_S1C_jS1D_jS1E_S1E_jjS1G_bEUljE0_EEESZ_S10_S11_S18_S1C_S1E_T6_T7_T9_mT8_S1G_bDpT10_ENKUlT_T0_E_clISt17integral_constantIbLb0EES1T_IbLb1EEEEDaS1P_S1Q_EUlS1P_E_NS1_11comp_targetILNS1_3genE3ELNS1_11target_archE908ELNS1_3gpuE7ELNS1_3repE0EEENS1_30default_config_static_selectorELNS0_4arch9wavefront6targetE0EEEvS12_
	.p2align	8
	.type	_ZN7rocprim17ROCPRIM_400000_NS6detail17trampoline_kernelINS0_13select_configILj256ELj13ELNS0_17block_load_methodE3ELS4_3ELS4_3ELNS0_20block_scan_algorithmE0ELj4294967295EEENS1_25partition_config_selectorILNS1_17partition_subalgoE4EjNS0_10empty_typeEbEEZZNS1_14partition_implILS8_4ELb0ES6_15HIP_vector_typeIjLj2EENS0_17counting_iteratorIjlEEPS9_SG_NS0_5tupleIJPjSI_NS0_16reverse_iteratorISI_EEEEENSH_IJSG_SG_SG_EEES9_SI_JZNS1_25segmented_radix_sort_implINS0_14default_configELb1EPKfPfPKlPlN2at6native12_GLOBAL__N_18offset_tEEE10hipError_tPvRmT1_PNSt15iterator_traitsIS12_E10value_typeET2_T3_PNS13_IS18_E10value_typeET4_jRbjT5_S1E_jjP12ihipStream_tbEUljE_ZNSN_ISO_Lb1ESQ_SR_ST_SU_SY_EESZ_S10_S11_S12_S16_S17_S18_S1B_S1C_jS1D_jS1E_S1E_jjS1G_bEUljE0_EEESZ_S10_S11_S18_S1C_S1E_T6_T7_T9_mT8_S1G_bDpT10_ENKUlT_T0_E_clISt17integral_constantIbLb0EES1T_IbLb1EEEEDaS1P_S1Q_EUlS1P_E_NS1_11comp_targetILNS1_3genE3ELNS1_11target_archE908ELNS1_3gpuE7ELNS1_3repE0EEENS1_30default_config_static_selectorELNS0_4arch9wavefront6targetE0EEEvS12_,@function
_ZN7rocprim17ROCPRIM_400000_NS6detail17trampoline_kernelINS0_13select_configILj256ELj13ELNS0_17block_load_methodE3ELS4_3ELS4_3ELNS0_20block_scan_algorithmE0ELj4294967295EEENS1_25partition_config_selectorILNS1_17partition_subalgoE4EjNS0_10empty_typeEbEEZZNS1_14partition_implILS8_4ELb0ES6_15HIP_vector_typeIjLj2EENS0_17counting_iteratorIjlEEPS9_SG_NS0_5tupleIJPjSI_NS0_16reverse_iteratorISI_EEEEENSH_IJSG_SG_SG_EEES9_SI_JZNS1_25segmented_radix_sort_implINS0_14default_configELb1EPKfPfPKlPlN2at6native12_GLOBAL__N_18offset_tEEE10hipError_tPvRmT1_PNSt15iterator_traitsIS12_E10value_typeET2_T3_PNS13_IS18_E10value_typeET4_jRbjT5_S1E_jjP12ihipStream_tbEUljE_ZNSN_ISO_Lb1ESQ_SR_ST_SU_SY_EESZ_S10_S11_S12_S16_S17_S18_S1B_S1C_jS1D_jS1E_S1E_jjS1G_bEUljE0_EEESZ_S10_S11_S18_S1C_S1E_T6_T7_T9_mT8_S1G_bDpT10_ENKUlT_T0_E_clISt17integral_constantIbLb0EES1T_IbLb1EEEEDaS1P_S1Q_EUlS1P_E_NS1_11comp_targetILNS1_3genE3ELNS1_11target_archE908ELNS1_3gpuE7ELNS1_3repE0EEENS1_30default_config_static_selectorELNS0_4arch9wavefront6targetE0EEEvS12_: ; @_ZN7rocprim17ROCPRIM_400000_NS6detail17trampoline_kernelINS0_13select_configILj256ELj13ELNS0_17block_load_methodE3ELS4_3ELS4_3ELNS0_20block_scan_algorithmE0ELj4294967295EEENS1_25partition_config_selectorILNS1_17partition_subalgoE4EjNS0_10empty_typeEbEEZZNS1_14partition_implILS8_4ELb0ES6_15HIP_vector_typeIjLj2EENS0_17counting_iteratorIjlEEPS9_SG_NS0_5tupleIJPjSI_NS0_16reverse_iteratorISI_EEEEENSH_IJSG_SG_SG_EEES9_SI_JZNS1_25segmented_radix_sort_implINS0_14default_configELb1EPKfPfPKlPlN2at6native12_GLOBAL__N_18offset_tEEE10hipError_tPvRmT1_PNSt15iterator_traitsIS12_E10value_typeET2_T3_PNS13_IS18_E10value_typeET4_jRbjT5_S1E_jjP12ihipStream_tbEUljE_ZNSN_ISO_Lb1ESQ_SR_ST_SU_SY_EESZ_S10_S11_S12_S16_S17_S18_S1B_S1C_jS1D_jS1E_S1E_jjS1G_bEUljE0_EEESZ_S10_S11_S18_S1C_S1E_T6_T7_T9_mT8_S1G_bDpT10_ENKUlT_T0_E_clISt17integral_constantIbLb0EES1T_IbLb1EEEEDaS1P_S1Q_EUlS1P_E_NS1_11comp_targetILNS1_3genE3ELNS1_11target_archE908ELNS1_3gpuE7ELNS1_3repE0EEENS1_30default_config_static_selectorELNS0_4arch9wavefront6targetE0EEEvS12_
; %bb.0:
	.section	.rodata,"a",@progbits
	.p2align	6, 0x0
	.amdhsa_kernel _ZN7rocprim17ROCPRIM_400000_NS6detail17trampoline_kernelINS0_13select_configILj256ELj13ELNS0_17block_load_methodE3ELS4_3ELS4_3ELNS0_20block_scan_algorithmE0ELj4294967295EEENS1_25partition_config_selectorILNS1_17partition_subalgoE4EjNS0_10empty_typeEbEEZZNS1_14partition_implILS8_4ELb0ES6_15HIP_vector_typeIjLj2EENS0_17counting_iteratorIjlEEPS9_SG_NS0_5tupleIJPjSI_NS0_16reverse_iteratorISI_EEEEENSH_IJSG_SG_SG_EEES9_SI_JZNS1_25segmented_radix_sort_implINS0_14default_configELb1EPKfPfPKlPlN2at6native12_GLOBAL__N_18offset_tEEE10hipError_tPvRmT1_PNSt15iterator_traitsIS12_E10value_typeET2_T3_PNS13_IS18_E10value_typeET4_jRbjT5_S1E_jjP12ihipStream_tbEUljE_ZNSN_ISO_Lb1ESQ_SR_ST_SU_SY_EESZ_S10_S11_S12_S16_S17_S18_S1B_S1C_jS1D_jS1E_S1E_jjS1G_bEUljE0_EEESZ_S10_S11_S18_S1C_S1E_T6_T7_T9_mT8_S1G_bDpT10_ENKUlT_T0_E_clISt17integral_constantIbLb0EES1T_IbLb1EEEEDaS1P_S1Q_EUlS1P_E_NS1_11comp_targetILNS1_3genE3ELNS1_11target_archE908ELNS1_3gpuE7ELNS1_3repE0EEENS1_30default_config_static_selectorELNS0_4arch9wavefront6targetE0EEEvS12_
		.amdhsa_group_segment_fixed_size 0
		.amdhsa_private_segment_fixed_size 0
		.amdhsa_kernarg_size 184
		.amdhsa_user_sgpr_count 2
		.amdhsa_user_sgpr_dispatch_ptr 0
		.amdhsa_user_sgpr_queue_ptr 0
		.amdhsa_user_sgpr_kernarg_segment_ptr 1
		.amdhsa_user_sgpr_dispatch_id 0
		.amdhsa_user_sgpr_kernarg_preload_length 0
		.amdhsa_user_sgpr_kernarg_preload_offset 0
		.amdhsa_user_sgpr_private_segment_size 0
		.amdhsa_wavefront_size32 1
		.amdhsa_uses_dynamic_stack 0
		.amdhsa_enable_private_segment 0
		.amdhsa_system_sgpr_workgroup_id_x 1
		.amdhsa_system_sgpr_workgroup_id_y 0
		.amdhsa_system_sgpr_workgroup_id_z 0
		.amdhsa_system_sgpr_workgroup_info 0
		.amdhsa_system_vgpr_workitem_id 0
		.amdhsa_next_free_vgpr 1
		.amdhsa_next_free_sgpr 1
		.amdhsa_named_barrier_count 0
		.amdhsa_reserve_vcc 0
		.amdhsa_float_round_mode_32 0
		.amdhsa_float_round_mode_16_64 0
		.amdhsa_float_denorm_mode_32 3
		.amdhsa_float_denorm_mode_16_64 3
		.amdhsa_fp16_overflow 0
		.amdhsa_memory_ordered 1
		.amdhsa_forward_progress 1
		.amdhsa_inst_pref_size 0
		.amdhsa_round_robin_scheduling 0
		.amdhsa_exception_fp_ieee_invalid_op 0
		.amdhsa_exception_fp_denorm_src 0
		.amdhsa_exception_fp_ieee_div_zero 0
		.amdhsa_exception_fp_ieee_overflow 0
		.amdhsa_exception_fp_ieee_underflow 0
		.amdhsa_exception_fp_ieee_inexact 0
		.amdhsa_exception_int_div_zero 0
	.end_amdhsa_kernel
	.section	.text._ZN7rocprim17ROCPRIM_400000_NS6detail17trampoline_kernelINS0_13select_configILj256ELj13ELNS0_17block_load_methodE3ELS4_3ELS4_3ELNS0_20block_scan_algorithmE0ELj4294967295EEENS1_25partition_config_selectorILNS1_17partition_subalgoE4EjNS0_10empty_typeEbEEZZNS1_14partition_implILS8_4ELb0ES6_15HIP_vector_typeIjLj2EENS0_17counting_iteratorIjlEEPS9_SG_NS0_5tupleIJPjSI_NS0_16reverse_iteratorISI_EEEEENSH_IJSG_SG_SG_EEES9_SI_JZNS1_25segmented_radix_sort_implINS0_14default_configELb1EPKfPfPKlPlN2at6native12_GLOBAL__N_18offset_tEEE10hipError_tPvRmT1_PNSt15iterator_traitsIS12_E10value_typeET2_T3_PNS13_IS18_E10value_typeET4_jRbjT5_S1E_jjP12ihipStream_tbEUljE_ZNSN_ISO_Lb1ESQ_SR_ST_SU_SY_EESZ_S10_S11_S12_S16_S17_S18_S1B_S1C_jS1D_jS1E_S1E_jjS1G_bEUljE0_EEESZ_S10_S11_S18_S1C_S1E_T6_T7_T9_mT8_S1G_bDpT10_ENKUlT_T0_E_clISt17integral_constantIbLb0EES1T_IbLb1EEEEDaS1P_S1Q_EUlS1P_E_NS1_11comp_targetILNS1_3genE3ELNS1_11target_archE908ELNS1_3gpuE7ELNS1_3repE0EEENS1_30default_config_static_selectorELNS0_4arch9wavefront6targetE0EEEvS12_,"axG",@progbits,_ZN7rocprim17ROCPRIM_400000_NS6detail17trampoline_kernelINS0_13select_configILj256ELj13ELNS0_17block_load_methodE3ELS4_3ELS4_3ELNS0_20block_scan_algorithmE0ELj4294967295EEENS1_25partition_config_selectorILNS1_17partition_subalgoE4EjNS0_10empty_typeEbEEZZNS1_14partition_implILS8_4ELb0ES6_15HIP_vector_typeIjLj2EENS0_17counting_iteratorIjlEEPS9_SG_NS0_5tupleIJPjSI_NS0_16reverse_iteratorISI_EEEEENSH_IJSG_SG_SG_EEES9_SI_JZNS1_25segmented_radix_sort_implINS0_14default_configELb1EPKfPfPKlPlN2at6native12_GLOBAL__N_18offset_tEEE10hipError_tPvRmT1_PNSt15iterator_traitsIS12_E10value_typeET2_T3_PNS13_IS18_E10value_typeET4_jRbjT5_S1E_jjP12ihipStream_tbEUljE_ZNSN_ISO_Lb1ESQ_SR_ST_SU_SY_EESZ_S10_S11_S12_S16_S17_S18_S1B_S1C_jS1D_jS1E_S1E_jjS1G_bEUljE0_EEESZ_S10_S11_S18_S1C_S1E_T6_T7_T9_mT8_S1G_bDpT10_ENKUlT_T0_E_clISt17integral_constantIbLb0EES1T_IbLb1EEEEDaS1P_S1Q_EUlS1P_E_NS1_11comp_targetILNS1_3genE3ELNS1_11target_archE908ELNS1_3gpuE7ELNS1_3repE0EEENS1_30default_config_static_selectorELNS0_4arch9wavefront6targetE0EEEvS12_,comdat
.Lfunc_end1282:
	.size	_ZN7rocprim17ROCPRIM_400000_NS6detail17trampoline_kernelINS0_13select_configILj256ELj13ELNS0_17block_load_methodE3ELS4_3ELS4_3ELNS0_20block_scan_algorithmE0ELj4294967295EEENS1_25partition_config_selectorILNS1_17partition_subalgoE4EjNS0_10empty_typeEbEEZZNS1_14partition_implILS8_4ELb0ES6_15HIP_vector_typeIjLj2EENS0_17counting_iteratorIjlEEPS9_SG_NS0_5tupleIJPjSI_NS0_16reverse_iteratorISI_EEEEENSH_IJSG_SG_SG_EEES9_SI_JZNS1_25segmented_radix_sort_implINS0_14default_configELb1EPKfPfPKlPlN2at6native12_GLOBAL__N_18offset_tEEE10hipError_tPvRmT1_PNSt15iterator_traitsIS12_E10value_typeET2_T3_PNS13_IS18_E10value_typeET4_jRbjT5_S1E_jjP12ihipStream_tbEUljE_ZNSN_ISO_Lb1ESQ_SR_ST_SU_SY_EESZ_S10_S11_S12_S16_S17_S18_S1B_S1C_jS1D_jS1E_S1E_jjS1G_bEUljE0_EEESZ_S10_S11_S18_S1C_S1E_T6_T7_T9_mT8_S1G_bDpT10_ENKUlT_T0_E_clISt17integral_constantIbLb0EES1T_IbLb1EEEEDaS1P_S1Q_EUlS1P_E_NS1_11comp_targetILNS1_3genE3ELNS1_11target_archE908ELNS1_3gpuE7ELNS1_3repE0EEENS1_30default_config_static_selectorELNS0_4arch9wavefront6targetE0EEEvS12_, .Lfunc_end1282-_ZN7rocprim17ROCPRIM_400000_NS6detail17trampoline_kernelINS0_13select_configILj256ELj13ELNS0_17block_load_methodE3ELS4_3ELS4_3ELNS0_20block_scan_algorithmE0ELj4294967295EEENS1_25partition_config_selectorILNS1_17partition_subalgoE4EjNS0_10empty_typeEbEEZZNS1_14partition_implILS8_4ELb0ES6_15HIP_vector_typeIjLj2EENS0_17counting_iteratorIjlEEPS9_SG_NS0_5tupleIJPjSI_NS0_16reverse_iteratorISI_EEEEENSH_IJSG_SG_SG_EEES9_SI_JZNS1_25segmented_radix_sort_implINS0_14default_configELb1EPKfPfPKlPlN2at6native12_GLOBAL__N_18offset_tEEE10hipError_tPvRmT1_PNSt15iterator_traitsIS12_E10value_typeET2_T3_PNS13_IS18_E10value_typeET4_jRbjT5_S1E_jjP12ihipStream_tbEUljE_ZNSN_ISO_Lb1ESQ_SR_ST_SU_SY_EESZ_S10_S11_S12_S16_S17_S18_S1B_S1C_jS1D_jS1E_S1E_jjS1G_bEUljE0_EEESZ_S10_S11_S18_S1C_S1E_T6_T7_T9_mT8_S1G_bDpT10_ENKUlT_T0_E_clISt17integral_constantIbLb0EES1T_IbLb1EEEEDaS1P_S1Q_EUlS1P_E_NS1_11comp_targetILNS1_3genE3ELNS1_11target_archE908ELNS1_3gpuE7ELNS1_3repE0EEENS1_30default_config_static_selectorELNS0_4arch9wavefront6targetE0EEEvS12_
                                        ; -- End function
	.set _ZN7rocprim17ROCPRIM_400000_NS6detail17trampoline_kernelINS0_13select_configILj256ELj13ELNS0_17block_load_methodE3ELS4_3ELS4_3ELNS0_20block_scan_algorithmE0ELj4294967295EEENS1_25partition_config_selectorILNS1_17partition_subalgoE4EjNS0_10empty_typeEbEEZZNS1_14partition_implILS8_4ELb0ES6_15HIP_vector_typeIjLj2EENS0_17counting_iteratorIjlEEPS9_SG_NS0_5tupleIJPjSI_NS0_16reverse_iteratorISI_EEEEENSH_IJSG_SG_SG_EEES9_SI_JZNS1_25segmented_radix_sort_implINS0_14default_configELb1EPKfPfPKlPlN2at6native12_GLOBAL__N_18offset_tEEE10hipError_tPvRmT1_PNSt15iterator_traitsIS12_E10value_typeET2_T3_PNS13_IS18_E10value_typeET4_jRbjT5_S1E_jjP12ihipStream_tbEUljE_ZNSN_ISO_Lb1ESQ_SR_ST_SU_SY_EESZ_S10_S11_S12_S16_S17_S18_S1B_S1C_jS1D_jS1E_S1E_jjS1G_bEUljE0_EEESZ_S10_S11_S18_S1C_S1E_T6_T7_T9_mT8_S1G_bDpT10_ENKUlT_T0_E_clISt17integral_constantIbLb0EES1T_IbLb1EEEEDaS1P_S1Q_EUlS1P_E_NS1_11comp_targetILNS1_3genE3ELNS1_11target_archE908ELNS1_3gpuE7ELNS1_3repE0EEENS1_30default_config_static_selectorELNS0_4arch9wavefront6targetE0EEEvS12_.num_vgpr, 0
	.set _ZN7rocprim17ROCPRIM_400000_NS6detail17trampoline_kernelINS0_13select_configILj256ELj13ELNS0_17block_load_methodE3ELS4_3ELS4_3ELNS0_20block_scan_algorithmE0ELj4294967295EEENS1_25partition_config_selectorILNS1_17partition_subalgoE4EjNS0_10empty_typeEbEEZZNS1_14partition_implILS8_4ELb0ES6_15HIP_vector_typeIjLj2EENS0_17counting_iteratorIjlEEPS9_SG_NS0_5tupleIJPjSI_NS0_16reverse_iteratorISI_EEEEENSH_IJSG_SG_SG_EEES9_SI_JZNS1_25segmented_radix_sort_implINS0_14default_configELb1EPKfPfPKlPlN2at6native12_GLOBAL__N_18offset_tEEE10hipError_tPvRmT1_PNSt15iterator_traitsIS12_E10value_typeET2_T3_PNS13_IS18_E10value_typeET4_jRbjT5_S1E_jjP12ihipStream_tbEUljE_ZNSN_ISO_Lb1ESQ_SR_ST_SU_SY_EESZ_S10_S11_S12_S16_S17_S18_S1B_S1C_jS1D_jS1E_S1E_jjS1G_bEUljE0_EEESZ_S10_S11_S18_S1C_S1E_T6_T7_T9_mT8_S1G_bDpT10_ENKUlT_T0_E_clISt17integral_constantIbLb0EES1T_IbLb1EEEEDaS1P_S1Q_EUlS1P_E_NS1_11comp_targetILNS1_3genE3ELNS1_11target_archE908ELNS1_3gpuE7ELNS1_3repE0EEENS1_30default_config_static_selectorELNS0_4arch9wavefront6targetE0EEEvS12_.num_agpr, 0
	.set _ZN7rocprim17ROCPRIM_400000_NS6detail17trampoline_kernelINS0_13select_configILj256ELj13ELNS0_17block_load_methodE3ELS4_3ELS4_3ELNS0_20block_scan_algorithmE0ELj4294967295EEENS1_25partition_config_selectorILNS1_17partition_subalgoE4EjNS0_10empty_typeEbEEZZNS1_14partition_implILS8_4ELb0ES6_15HIP_vector_typeIjLj2EENS0_17counting_iteratorIjlEEPS9_SG_NS0_5tupleIJPjSI_NS0_16reverse_iteratorISI_EEEEENSH_IJSG_SG_SG_EEES9_SI_JZNS1_25segmented_radix_sort_implINS0_14default_configELb1EPKfPfPKlPlN2at6native12_GLOBAL__N_18offset_tEEE10hipError_tPvRmT1_PNSt15iterator_traitsIS12_E10value_typeET2_T3_PNS13_IS18_E10value_typeET4_jRbjT5_S1E_jjP12ihipStream_tbEUljE_ZNSN_ISO_Lb1ESQ_SR_ST_SU_SY_EESZ_S10_S11_S12_S16_S17_S18_S1B_S1C_jS1D_jS1E_S1E_jjS1G_bEUljE0_EEESZ_S10_S11_S18_S1C_S1E_T6_T7_T9_mT8_S1G_bDpT10_ENKUlT_T0_E_clISt17integral_constantIbLb0EES1T_IbLb1EEEEDaS1P_S1Q_EUlS1P_E_NS1_11comp_targetILNS1_3genE3ELNS1_11target_archE908ELNS1_3gpuE7ELNS1_3repE0EEENS1_30default_config_static_selectorELNS0_4arch9wavefront6targetE0EEEvS12_.numbered_sgpr, 0
	.set _ZN7rocprim17ROCPRIM_400000_NS6detail17trampoline_kernelINS0_13select_configILj256ELj13ELNS0_17block_load_methodE3ELS4_3ELS4_3ELNS0_20block_scan_algorithmE0ELj4294967295EEENS1_25partition_config_selectorILNS1_17partition_subalgoE4EjNS0_10empty_typeEbEEZZNS1_14partition_implILS8_4ELb0ES6_15HIP_vector_typeIjLj2EENS0_17counting_iteratorIjlEEPS9_SG_NS0_5tupleIJPjSI_NS0_16reverse_iteratorISI_EEEEENSH_IJSG_SG_SG_EEES9_SI_JZNS1_25segmented_radix_sort_implINS0_14default_configELb1EPKfPfPKlPlN2at6native12_GLOBAL__N_18offset_tEEE10hipError_tPvRmT1_PNSt15iterator_traitsIS12_E10value_typeET2_T3_PNS13_IS18_E10value_typeET4_jRbjT5_S1E_jjP12ihipStream_tbEUljE_ZNSN_ISO_Lb1ESQ_SR_ST_SU_SY_EESZ_S10_S11_S12_S16_S17_S18_S1B_S1C_jS1D_jS1E_S1E_jjS1G_bEUljE0_EEESZ_S10_S11_S18_S1C_S1E_T6_T7_T9_mT8_S1G_bDpT10_ENKUlT_T0_E_clISt17integral_constantIbLb0EES1T_IbLb1EEEEDaS1P_S1Q_EUlS1P_E_NS1_11comp_targetILNS1_3genE3ELNS1_11target_archE908ELNS1_3gpuE7ELNS1_3repE0EEENS1_30default_config_static_selectorELNS0_4arch9wavefront6targetE0EEEvS12_.num_named_barrier, 0
	.set _ZN7rocprim17ROCPRIM_400000_NS6detail17trampoline_kernelINS0_13select_configILj256ELj13ELNS0_17block_load_methodE3ELS4_3ELS4_3ELNS0_20block_scan_algorithmE0ELj4294967295EEENS1_25partition_config_selectorILNS1_17partition_subalgoE4EjNS0_10empty_typeEbEEZZNS1_14partition_implILS8_4ELb0ES6_15HIP_vector_typeIjLj2EENS0_17counting_iteratorIjlEEPS9_SG_NS0_5tupleIJPjSI_NS0_16reverse_iteratorISI_EEEEENSH_IJSG_SG_SG_EEES9_SI_JZNS1_25segmented_radix_sort_implINS0_14default_configELb1EPKfPfPKlPlN2at6native12_GLOBAL__N_18offset_tEEE10hipError_tPvRmT1_PNSt15iterator_traitsIS12_E10value_typeET2_T3_PNS13_IS18_E10value_typeET4_jRbjT5_S1E_jjP12ihipStream_tbEUljE_ZNSN_ISO_Lb1ESQ_SR_ST_SU_SY_EESZ_S10_S11_S12_S16_S17_S18_S1B_S1C_jS1D_jS1E_S1E_jjS1G_bEUljE0_EEESZ_S10_S11_S18_S1C_S1E_T6_T7_T9_mT8_S1G_bDpT10_ENKUlT_T0_E_clISt17integral_constantIbLb0EES1T_IbLb1EEEEDaS1P_S1Q_EUlS1P_E_NS1_11comp_targetILNS1_3genE3ELNS1_11target_archE908ELNS1_3gpuE7ELNS1_3repE0EEENS1_30default_config_static_selectorELNS0_4arch9wavefront6targetE0EEEvS12_.private_seg_size, 0
	.set _ZN7rocprim17ROCPRIM_400000_NS6detail17trampoline_kernelINS0_13select_configILj256ELj13ELNS0_17block_load_methodE3ELS4_3ELS4_3ELNS0_20block_scan_algorithmE0ELj4294967295EEENS1_25partition_config_selectorILNS1_17partition_subalgoE4EjNS0_10empty_typeEbEEZZNS1_14partition_implILS8_4ELb0ES6_15HIP_vector_typeIjLj2EENS0_17counting_iteratorIjlEEPS9_SG_NS0_5tupleIJPjSI_NS0_16reverse_iteratorISI_EEEEENSH_IJSG_SG_SG_EEES9_SI_JZNS1_25segmented_radix_sort_implINS0_14default_configELb1EPKfPfPKlPlN2at6native12_GLOBAL__N_18offset_tEEE10hipError_tPvRmT1_PNSt15iterator_traitsIS12_E10value_typeET2_T3_PNS13_IS18_E10value_typeET4_jRbjT5_S1E_jjP12ihipStream_tbEUljE_ZNSN_ISO_Lb1ESQ_SR_ST_SU_SY_EESZ_S10_S11_S12_S16_S17_S18_S1B_S1C_jS1D_jS1E_S1E_jjS1G_bEUljE0_EEESZ_S10_S11_S18_S1C_S1E_T6_T7_T9_mT8_S1G_bDpT10_ENKUlT_T0_E_clISt17integral_constantIbLb0EES1T_IbLb1EEEEDaS1P_S1Q_EUlS1P_E_NS1_11comp_targetILNS1_3genE3ELNS1_11target_archE908ELNS1_3gpuE7ELNS1_3repE0EEENS1_30default_config_static_selectorELNS0_4arch9wavefront6targetE0EEEvS12_.uses_vcc, 0
	.set _ZN7rocprim17ROCPRIM_400000_NS6detail17trampoline_kernelINS0_13select_configILj256ELj13ELNS0_17block_load_methodE3ELS4_3ELS4_3ELNS0_20block_scan_algorithmE0ELj4294967295EEENS1_25partition_config_selectorILNS1_17partition_subalgoE4EjNS0_10empty_typeEbEEZZNS1_14partition_implILS8_4ELb0ES6_15HIP_vector_typeIjLj2EENS0_17counting_iteratorIjlEEPS9_SG_NS0_5tupleIJPjSI_NS0_16reverse_iteratorISI_EEEEENSH_IJSG_SG_SG_EEES9_SI_JZNS1_25segmented_radix_sort_implINS0_14default_configELb1EPKfPfPKlPlN2at6native12_GLOBAL__N_18offset_tEEE10hipError_tPvRmT1_PNSt15iterator_traitsIS12_E10value_typeET2_T3_PNS13_IS18_E10value_typeET4_jRbjT5_S1E_jjP12ihipStream_tbEUljE_ZNSN_ISO_Lb1ESQ_SR_ST_SU_SY_EESZ_S10_S11_S12_S16_S17_S18_S1B_S1C_jS1D_jS1E_S1E_jjS1G_bEUljE0_EEESZ_S10_S11_S18_S1C_S1E_T6_T7_T9_mT8_S1G_bDpT10_ENKUlT_T0_E_clISt17integral_constantIbLb0EES1T_IbLb1EEEEDaS1P_S1Q_EUlS1P_E_NS1_11comp_targetILNS1_3genE3ELNS1_11target_archE908ELNS1_3gpuE7ELNS1_3repE0EEENS1_30default_config_static_selectorELNS0_4arch9wavefront6targetE0EEEvS12_.uses_flat_scratch, 0
	.set _ZN7rocprim17ROCPRIM_400000_NS6detail17trampoline_kernelINS0_13select_configILj256ELj13ELNS0_17block_load_methodE3ELS4_3ELS4_3ELNS0_20block_scan_algorithmE0ELj4294967295EEENS1_25partition_config_selectorILNS1_17partition_subalgoE4EjNS0_10empty_typeEbEEZZNS1_14partition_implILS8_4ELb0ES6_15HIP_vector_typeIjLj2EENS0_17counting_iteratorIjlEEPS9_SG_NS0_5tupleIJPjSI_NS0_16reverse_iteratorISI_EEEEENSH_IJSG_SG_SG_EEES9_SI_JZNS1_25segmented_radix_sort_implINS0_14default_configELb1EPKfPfPKlPlN2at6native12_GLOBAL__N_18offset_tEEE10hipError_tPvRmT1_PNSt15iterator_traitsIS12_E10value_typeET2_T3_PNS13_IS18_E10value_typeET4_jRbjT5_S1E_jjP12ihipStream_tbEUljE_ZNSN_ISO_Lb1ESQ_SR_ST_SU_SY_EESZ_S10_S11_S12_S16_S17_S18_S1B_S1C_jS1D_jS1E_S1E_jjS1G_bEUljE0_EEESZ_S10_S11_S18_S1C_S1E_T6_T7_T9_mT8_S1G_bDpT10_ENKUlT_T0_E_clISt17integral_constantIbLb0EES1T_IbLb1EEEEDaS1P_S1Q_EUlS1P_E_NS1_11comp_targetILNS1_3genE3ELNS1_11target_archE908ELNS1_3gpuE7ELNS1_3repE0EEENS1_30default_config_static_selectorELNS0_4arch9wavefront6targetE0EEEvS12_.has_dyn_sized_stack, 0
	.set _ZN7rocprim17ROCPRIM_400000_NS6detail17trampoline_kernelINS0_13select_configILj256ELj13ELNS0_17block_load_methodE3ELS4_3ELS4_3ELNS0_20block_scan_algorithmE0ELj4294967295EEENS1_25partition_config_selectorILNS1_17partition_subalgoE4EjNS0_10empty_typeEbEEZZNS1_14partition_implILS8_4ELb0ES6_15HIP_vector_typeIjLj2EENS0_17counting_iteratorIjlEEPS9_SG_NS0_5tupleIJPjSI_NS0_16reverse_iteratorISI_EEEEENSH_IJSG_SG_SG_EEES9_SI_JZNS1_25segmented_radix_sort_implINS0_14default_configELb1EPKfPfPKlPlN2at6native12_GLOBAL__N_18offset_tEEE10hipError_tPvRmT1_PNSt15iterator_traitsIS12_E10value_typeET2_T3_PNS13_IS18_E10value_typeET4_jRbjT5_S1E_jjP12ihipStream_tbEUljE_ZNSN_ISO_Lb1ESQ_SR_ST_SU_SY_EESZ_S10_S11_S12_S16_S17_S18_S1B_S1C_jS1D_jS1E_S1E_jjS1G_bEUljE0_EEESZ_S10_S11_S18_S1C_S1E_T6_T7_T9_mT8_S1G_bDpT10_ENKUlT_T0_E_clISt17integral_constantIbLb0EES1T_IbLb1EEEEDaS1P_S1Q_EUlS1P_E_NS1_11comp_targetILNS1_3genE3ELNS1_11target_archE908ELNS1_3gpuE7ELNS1_3repE0EEENS1_30default_config_static_selectorELNS0_4arch9wavefront6targetE0EEEvS12_.has_recursion, 0
	.set _ZN7rocprim17ROCPRIM_400000_NS6detail17trampoline_kernelINS0_13select_configILj256ELj13ELNS0_17block_load_methodE3ELS4_3ELS4_3ELNS0_20block_scan_algorithmE0ELj4294967295EEENS1_25partition_config_selectorILNS1_17partition_subalgoE4EjNS0_10empty_typeEbEEZZNS1_14partition_implILS8_4ELb0ES6_15HIP_vector_typeIjLj2EENS0_17counting_iteratorIjlEEPS9_SG_NS0_5tupleIJPjSI_NS0_16reverse_iteratorISI_EEEEENSH_IJSG_SG_SG_EEES9_SI_JZNS1_25segmented_radix_sort_implINS0_14default_configELb1EPKfPfPKlPlN2at6native12_GLOBAL__N_18offset_tEEE10hipError_tPvRmT1_PNSt15iterator_traitsIS12_E10value_typeET2_T3_PNS13_IS18_E10value_typeET4_jRbjT5_S1E_jjP12ihipStream_tbEUljE_ZNSN_ISO_Lb1ESQ_SR_ST_SU_SY_EESZ_S10_S11_S12_S16_S17_S18_S1B_S1C_jS1D_jS1E_S1E_jjS1G_bEUljE0_EEESZ_S10_S11_S18_S1C_S1E_T6_T7_T9_mT8_S1G_bDpT10_ENKUlT_T0_E_clISt17integral_constantIbLb0EES1T_IbLb1EEEEDaS1P_S1Q_EUlS1P_E_NS1_11comp_targetILNS1_3genE3ELNS1_11target_archE908ELNS1_3gpuE7ELNS1_3repE0EEENS1_30default_config_static_selectorELNS0_4arch9wavefront6targetE0EEEvS12_.has_indirect_call, 0
	.section	.AMDGPU.csdata,"",@progbits
; Kernel info:
; codeLenInByte = 0
; TotalNumSgprs: 0
; NumVgprs: 0
; ScratchSize: 0
; MemoryBound: 0
; FloatMode: 240
; IeeeMode: 1
; LDSByteSize: 0 bytes/workgroup (compile time only)
; SGPRBlocks: 0
; VGPRBlocks: 0
; NumSGPRsForWavesPerEU: 1
; NumVGPRsForWavesPerEU: 1
; NamedBarCnt: 0
; Occupancy: 16
; WaveLimiterHint : 0
; COMPUTE_PGM_RSRC2:SCRATCH_EN: 0
; COMPUTE_PGM_RSRC2:USER_SGPR: 2
; COMPUTE_PGM_RSRC2:TRAP_HANDLER: 0
; COMPUTE_PGM_RSRC2:TGID_X_EN: 1
; COMPUTE_PGM_RSRC2:TGID_Y_EN: 0
; COMPUTE_PGM_RSRC2:TGID_Z_EN: 0
; COMPUTE_PGM_RSRC2:TIDIG_COMP_CNT: 0
	.section	.text._ZN7rocprim17ROCPRIM_400000_NS6detail17trampoline_kernelINS0_13select_configILj256ELj13ELNS0_17block_load_methodE3ELS4_3ELS4_3ELNS0_20block_scan_algorithmE0ELj4294967295EEENS1_25partition_config_selectorILNS1_17partition_subalgoE4EjNS0_10empty_typeEbEEZZNS1_14partition_implILS8_4ELb0ES6_15HIP_vector_typeIjLj2EENS0_17counting_iteratorIjlEEPS9_SG_NS0_5tupleIJPjSI_NS0_16reverse_iteratorISI_EEEEENSH_IJSG_SG_SG_EEES9_SI_JZNS1_25segmented_radix_sort_implINS0_14default_configELb1EPKfPfPKlPlN2at6native12_GLOBAL__N_18offset_tEEE10hipError_tPvRmT1_PNSt15iterator_traitsIS12_E10value_typeET2_T3_PNS13_IS18_E10value_typeET4_jRbjT5_S1E_jjP12ihipStream_tbEUljE_ZNSN_ISO_Lb1ESQ_SR_ST_SU_SY_EESZ_S10_S11_S12_S16_S17_S18_S1B_S1C_jS1D_jS1E_S1E_jjS1G_bEUljE0_EEESZ_S10_S11_S18_S1C_S1E_T6_T7_T9_mT8_S1G_bDpT10_ENKUlT_T0_E_clISt17integral_constantIbLb0EES1T_IbLb1EEEEDaS1P_S1Q_EUlS1P_E_NS1_11comp_targetILNS1_3genE2ELNS1_11target_archE906ELNS1_3gpuE6ELNS1_3repE0EEENS1_30default_config_static_selectorELNS0_4arch9wavefront6targetE0EEEvS12_,"axG",@progbits,_ZN7rocprim17ROCPRIM_400000_NS6detail17trampoline_kernelINS0_13select_configILj256ELj13ELNS0_17block_load_methodE3ELS4_3ELS4_3ELNS0_20block_scan_algorithmE0ELj4294967295EEENS1_25partition_config_selectorILNS1_17partition_subalgoE4EjNS0_10empty_typeEbEEZZNS1_14partition_implILS8_4ELb0ES6_15HIP_vector_typeIjLj2EENS0_17counting_iteratorIjlEEPS9_SG_NS0_5tupleIJPjSI_NS0_16reverse_iteratorISI_EEEEENSH_IJSG_SG_SG_EEES9_SI_JZNS1_25segmented_radix_sort_implINS0_14default_configELb1EPKfPfPKlPlN2at6native12_GLOBAL__N_18offset_tEEE10hipError_tPvRmT1_PNSt15iterator_traitsIS12_E10value_typeET2_T3_PNS13_IS18_E10value_typeET4_jRbjT5_S1E_jjP12ihipStream_tbEUljE_ZNSN_ISO_Lb1ESQ_SR_ST_SU_SY_EESZ_S10_S11_S12_S16_S17_S18_S1B_S1C_jS1D_jS1E_S1E_jjS1G_bEUljE0_EEESZ_S10_S11_S18_S1C_S1E_T6_T7_T9_mT8_S1G_bDpT10_ENKUlT_T0_E_clISt17integral_constantIbLb0EES1T_IbLb1EEEEDaS1P_S1Q_EUlS1P_E_NS1_11comp_targetILNS1_3genE2ELNS1_11target_archE906ELNS1_3gpuE6ELNS1_3repE0EEENS1_30default_config_static_selectorELNS0_4arch9wavefront6targetE0EEEvS12_,comdat
	.globl	_ZN7rocprim17ROCPRIM_400000_NS6detail17trampoline_kernelINS0_13select_configILj256ELj13ELNS0_17block_load_methodE3ELS4_3ELS4_3ELNS0_20block_scan_algorithmE0ELj4294967295EEENS1_25partition_config_selectorILNS1_17partition_subalgoE4EjNS0_10empty_typeEbEEZZNS1_14partition_implILS8_4ELb0ES6_15HIP_vector_typeIjLj2EENS0_17counting_iteratorIjlEEPS9_SG_NS0_5tupleIJPjSI_NS0_16reverse_iteratorISI_EEEEENSH_IJSG_SG_SG_EEES9_SI_JZNS1_25segmented_radix_sort_implINS0_14default_configELb1EPKfPfPKlPlN2at6native12_GLOBAL__N_18offset_tEEE10hipError_tPvRmT1_PNSt15iterator_traitsIS12_E10value_typeET2_T3_PNS13_IS18_E10value_typeET4_jRbjT5_S1E_jjP12ihipStream_tbEUljE_ZNSN_ISO_Lb1ESQ_SR_ST_SU_SY_EESZ_S10_S11_S12_S16_S17_S18_S1B_S1C_jS1D_jS1E_S1E_jjS1G_bEUljE0_EEESZ_S10_S11_S18_S1C_S1E_T6_T7_T9_mT8_S1G_bDpT10_ENKUlT_T0_E_clISt17integral_constantIbLb0EES1T_IbLb1EEEEDaS1P_S1Q_EUlS1P_E_NS1_11comp_targetILNS1_3genE2ELNS1_11target_archE906ELNS1_3gpuE6ELNS1_3repE0EEENS1_30default_config_static_selectorELNS0_4arch9wavefront6targetE0EEEvS12_ ; -- Begin function _ZN7rocprim17ROCPRIM_400000_NS6detail17trampoline_kernelINS0_13select_configILj256ELj13ELNS0_17block_load_methodE3ELS4_3ELS4_3ELNS0_20block_scan_algorithmE0ELj4294967295EEENS1_25partition_config_selectorILNS1_17partition_subalgoE4EjNS0_10empty_typeEbEEZZNS1_14partition_implILS8_4ELb0ES6_15HIP_vector_typeIjLj2EENS0_17counting_iteratorIjlEEPS9_SG_NS0_5tupleIJPjSI_NS0_16reverse_iteratorISI_EEEEENSH_IJSG_SG_SG_EEES9_SI_JZNS1_25segmented_radix_sort_implINS0_14default_configELb1EPKfPfPKlPlN2at6native12_GLOBAL__N_18offset_tEEE10hipError_tPvRmT1_PNSt15iterator_traitsIS12_E10value_typeET2_T3_PNS13_IS18_E10value_typeET4_jRbjT5_S1E_jjP12ihipStream_tbEUljE_ZNSN_ISO_Lb1ESQ_SR_ST_SU_SY_EESZ_S10_S11_S12_S16_S17_S18_S1B_S1C_jS1D_jS1E_S1E_jjS1G_bEUljE0_EEESZ_S10_S11_S18_S1C_S1E_T6_T7_T9_mT8_S1G_bDpT10_ENKUlT_T0_E_clISt17integral_constantIbLb0EES1T_IbLb1EEEEDaS1P_S1Q_EUlS1P_E_NS1_11comp_targetILNS1_3genE2ELNS1_11target_archE906ELNS1_3gpuE6ELNS1_3repE0EEENS1_30default_config_static_selectorELNS0_4arch9wavefront6targetE0EEEvS12_
	.p2align	8
	.type	_ZN7rocprim17ROCPRIM_400000_NS6detail17trampoline_kernelINS0_13select_configILj256ELj13ELNS0_17block_load_methodE3ELS4_3ELS4_3ELNS0_20block_scan_algorithmE0ELj4294967295EEENS1_25partition_config_selectorILNS1_17partition_subalgoE4EjNS0_10empty_typeEbEEZZNS1_14partition_implILS8_4ELb0ES6_15HIP_vector_typeIjLj2EENS0_17counting_iteratorIjlEEPS9_SG_NS0_5tupleIJPjSI_NS0_16reverse_iteratorISI_EEEEENSH_IJSG_SG_SG_EEES9_SI_JZNS1_25segmented_radix_sort_implINS0_14default_configELb1EPKfPfPKlPlN2at6native12_GLOBAL__N_18offset_tEEE10hipError_tPvRmT1_PNSt15iterator_traitsIS12_E10value_typeET2_T3_PNS13_IS18_E10value_typeET4_jRbjT5_S1E_jjP12ihipStream_tbEUljE_ZNSN_ISO_Lb1ESQ_SR_ST_SU_SY_EESZ_S10_S11_S12_S16_S17_S18_S1B_S1C_jS1D_jS1E_S1E_jjS1G_bEUljE0_EEESZ_S10_S11_S18_S1C_S1E_T6_T7_T9_mT8_S1G_bDpT10_ENKUlT_T0_E_clISt17integral_constantIbLb0EES1T_IbLb1EEEEDaS1P_S1Q_EUlS1P_E_NS1_11comp_targetILNS1_3genE2ELNS1_11target_archE906ELNS1_3gpuE6ELNS1_3repE0EEENS1_30default_config_static_selectorELNS0_4arch9wavefront6targetE0EEEvS12_,@function
_ZN7rocprim17ROCPRIM_400000_NS6detail17trampoline_kernelINS0_13select_configILj256ELj13ELNS0_17block_load_methodE3ELS4_3ELS4_3ELNS0_20block_scan_algorithmE0ELj4294967295EEENS1_25partition_config_selectorILNS1_17partition_subalgoE4EjNS0_10empty_typeEbEEZZNS1_14partition_implILS8_4ELb0ES6_15HIP_vector_typeIjLj2EENS0_17counting_iteratorIjlEEPS9_SG_NS0_5tupleIJPjSI_NS0_16reverse_iteratorISI_EEEEENSH_IJSG_SG_SG_EEES9_SI_JZNS1_25segmented_radix_sort_implINS0_14default_configELb1EPKfPfPKlPlN2at6native12_GLOBAL__N_18offset_tEEE10hipError_tPvRmT1_PNSt15iterator_traitsIS12_E10value_typeET2_T3_PNS13_IS18_E10value_typeET4_jRbjT5_S1E_jjP12ihipStream_tbEUljE_ZNSN_ISO_Lb1ESQ_SR_ST_SU_SY_EESZ_S10_S11_S12_S16_S17_S18_S1B_S1C_jS1D_jS1E_S1E_jjS1G_bEUljE0_EEESZ_S10_S11_S18_S1C_S1E_T6_T7_T9_mT8_S1G_bDpT10_ENKUlT_T0_E_clISt17integral_constantIbLb0EES1T_IbLb1EEEEDaS1P_S1Q_EUlS1P_E_NS1_11comp_targetILNS1_3genE2ELNS1_11target_archE906ELNS1_3gpuE6ELNS1_3repE0EEENS1_30default_config_static_selectorELNS0_4arch9wavefront6targetE0EEEvS12_: ; @_ZN7rocprim17ROCPRIM_400000_NS6detail17trampoline_kernelINS0_13select_configILj256ELj13ELNS0_17block_load_methodE3ELS4_3ELS4_3ELNS0_20block_scan_algorithmE0ELj4294967295EEENS1_25partition_config_selectorILNS1_17partition_subalgoE4EjNS0_10empty_typeEbEEZZNS1_14partition_implILS8_4ELb0ES6_15HIP_vector_typeIjLj2EENS0_17counting_iteratorIjlEEPS9_SG_NS0_5tupleIJPjSI_NS0_16reverse_iteratorISI_EEEEENSH_IJSG_SG_SG_EEES9_SI_JZNS1_25segmented_radix_sort_implINS0_14default_configELb1EPKfPfPKlPlN2at6native12_GLOBAL__N_18offset_tEEE10hipError_tPvRmT1_PNSt15iterator_traitsIS12_E10value_typeET2_T3_PNS13_IS18_E10value_typeET4_jRbjT5_S1E_jjP12ihipStream_tbEUljE_ZNSN_ISO_Lb1ESQ_SR_ST_SU_SY_EESZ_S10_S11_S12_S16_S17_S18_S1B_S1C_jS1D_jS1E_S1E_jjS1G_bEUljE0_EEESZ_S10_S11_S18_S1C_S1E_T6_T7_T9_mT8_S1G_bDpT10_ENKUlT_T0_E_clISt17integral_constantIbLb0EES1T_IbLb1EEEEDaS1P_S1Q_EUlS1P_E_NS1_11comp_targetILNS1_3genE2ELNS1_11target_archE906ELNS1_3gpuE6ELNS1_3repE0EEENS1_30default_config_static_selectorELNS0_4arch9wavefront6targetE0EEEvS12_
; %bb.0:
	.section	.rodata,"a",@progbits
	.p2align	6, 0x0
	.amdhsa_kernel _ZN7rocprim17ROCPRIM_400000_NS6detail17trampoline_kernelINS0_13select_configILj256ELj13ELNS0_17block_load_methodE3ELS4_3ELS4_3ELNS0_20block_scan_algorithmE0ELj4294967295EEENS1_25partition_config_selectorILNS1_17partition_subalgoE4EjNS0_10empty_typeEbEEZZNS1_14partition_implILS8_4ELb0ES6_15HIP_vector_typeIjLj2EENS0_17counting_iteratorIjlEEPS9_SG_NS0_5tupleIJPjSI_NS0_16reverse_iteratorISI_EEEEENSH_IJSG_SG_SG_EEES9_SI_JZNS1_25segmented_radix_sort_implINS0_14default_configELb1EPKfPfPKlPlN2at6native12_GLOBAL__N_18offset_tEEE10hipError_tPvRmT1_PNSt15iterator_traitsIS12_E10value_typeET2_T3_PNS13_IS18_E10value_typeET4_jRbjT5_S1E_jjP12ihipStream_tbEUljE_ZNSN_ISO_Lb1ESQ_SR_ST_SU_SY_EESZ_S10_S11_S12_S16_S17_S18_S1B_S1C_jS1D_jS1E_S1E_jjS1G_bEUljE0_EEESZ_S10_S11_S18_S1C_S1E_T6_T7_T9_mT8_S1G_bDpT10_ENKUlT_T0_E_clISt17integral_constantIbLb0EES1T_IbLb1EEEEDaS1P_S1Q_EUlS1P_E_NS1_11comp_targetILNS1_3genE2ELNS1_11target_archE906ELNS1_3gpuE6ELNS1_3repE0EEENS1_30default_config_static_selectorELNS0_4arch9wavefront6targetE0EEEvS12_
		.amdhsa_group_segment_fixed_size 0
		.amdhsa_private_segment_fixed_size 0
		.amdhsa_kernarg_size 184
		.amdhsa_user_sgpr_count 2
		.amdhsa_user_sgpr_dispatch_ptr 0
		.amdhsa_user_sgpr_queue_ptr 0
		.amdhsa_user_sgpr_kernarg_segment_ptr 1
		.amdhsa_user_sgpr_dispatch_id 0
		.amdhsa_user_sgpr_kernarg_preload_length 0
		.amdhsa_user_sgpr_kernarg_preload_offset 0
		.amdhsa_user_sgpr_private_segment_size 0
		.amdhsa_wavefront_size32 1
		.amdhsa_uses_dynamic_stack 0
		.amdhsa_enable_private_segment 0
		.amdhsa_system_sgpr_workgroup_id_x 1
		.amdhsa_system_sgpr_workgroup_id_y 0
		.amdhsa_system_sgpr_workgroup_id_z 0
		.amdhsa_system_sgpr_workgroup_info 0
		.amdhsa_system_vgpr_workitem_id 0
		.amdhsa_next_free_vgpr 1
		.amdhsa_next_free_sgpr 1
		.amdhsa_named_barrier_count 0
		.amdhsa_reserve_vcc 0
		.amdhsa_float_round_mode_32 0
		.amdhsa_float_round_mode_16_64 0
		.amdhsa_float_denorm_mode_32 3
		.amdhsa_float_denorm_mode_16_64 3
		.amdhsa_fp16_overflow 0
		.amdhsa_memory_ordered 1
		.amdhsa_forward_progress 1
		.amdhsa_inst_pref_size 0
		.amdhsa_round_robin_scheduling 0
		.amdhsa_exception_fp_ieee_invalid_op 0
		.amdhsa_exception_fp_denorm_src 0
		.amdhsa_exception_fp_ieee_div_zero 0
		.amdhsa_exception_fp_ieee_overflow 0
		.amdhsa_exception_fp_ieee_underflow 0
		.amdhsa_exception_fp_ieee_inexact 0
		.amdhsa_exception_int_div_zero 0
	.end_amdhsa_kernel
	.section	.text._ZN7rocprim17ROCPRIM_400000_NS6detail17trampoline_kernelINS0_13select_configILj256ELj13ELNS0_17block_load_methodE3ELS4_3ELS4_3ELNS0_20block_scan_algorithmE0ELj4294967295EEENS1_25partition_config_selectorILNS1_17partition_subalgoE4EjNS0_10empty_typeEbEEZZNS1_14partition_implILS8_4ELb0ES6_15HIP_vector_typeIjLj2EENS0_17counting_iteratorIjlEEPS9_SG_NS0_5tupleIJPjSI_NS0_16reverse_iteratorISI_EEEEENSH_IJSG_SG_SG_EEES9_SI_JZNS1_25segmented_radix_sort_implINS0_14default_configELb1EPKfPfPKlPlN2at6native12_GLOBAL__N_18offset_tEEE10hipError_tPvRmT1_PNSt15iterator_traitsIS12_E10value_typeET2_T3_PNS13_IS18_E10value_typeET4_jRbjT5_S1E_jjP12ihipStream_tbEUljE_ZNSN_ISO_Lb1ESQ_SR_ST_SU_SY_EESZ_S10_S11_S12_S16_S17_S18_S1B_S1C_jS1D_jS1E_S1E_jjS1G_bEUljE0_EEESZ_S10_S11_S18_S1C_S1E_T6_T7_T9_mT8_S1G_bDpT10_ENKUlT_T0_E_clISt17integral_constantIbLb0EES1T_IbLb1EEEEDaS1P_S1Q_EUlS1P_E_NS1_11comp_targetILNS1_3genE2ELNS1_11target_archE906ELNS1_3gpuE6ELNS1_3repE0EEENS1_30default_config_static_selectorELNS0_4arch9wavefront6targetE0EEEvS12_,"axG",@progbits,_ZN7rocprim17ROCPRIM_400000_NS6detail17trampoline_kernelINS0_13select_configILj256ELj13ELNS0_17block_load_methodE3ELS4_3ELS4_3ELNS0_20block_scan_algorithmE0ELj4294967295EEENS1_25partition_config_selectorILNS1_17partition_subalgoE4EjNS0_10empty_typeEbEEZZNS1_14partition_implILS8_4ELb0ES6_15HIP_vector_typeIjLj2EENS0_17counting_iteratorIjlEEPS9_SG_NS0_5tupleIJPjSI_NS0_16reverse_iteratorISI_EEEEENSH_IJSG_SG_SG_EEES9_SI_JZNS1_25segmented_radix_sort_implINS0_14default_configELb1EPKfPfPKlPlN2at6native12_GLOBAL__N_18offset_tEEE10hipError_tPvRmT1_PNSt15iterator_traitsIS12_E10value_typeET2_T3_PNS13_IS18_E10value_typeET4_jRbjT5_S1E_jjP12ihipStream_tbEUljE_ZNSN_ISO_Lb1ESQ_SR_ST_SU_SY_EESZ_S10_S11_S12_S16_S17_S18_S1B_S1C_jS1D_jS1E_S1E_jjS1G_bEUljE0_EEESZ_S10_S11_S18_S1C_S1E_T6_T7_T9_mT8_S1G_bDpT10_ENKUlT_T0_E_clISt17integral_constantIbLb0EES1T_IbLb1EEEEDaS1P_S1Q_EUlS1P_E_NS1_11comp_targetILNS1_3genE2ELNS1_11target_archE906ELNS1_3gpuE6ELNS1_3repE0EEENS1_30default_config_static_selectorELNS0_4arch9wavefront6targetE0EEEvS12_,comdat
.Lfunc_end1283:
	.size	_ZN7rocprim17ROCPRIM_400000_NS6detail17trampoline_kernelINS0_13select_configILj256ELj13ELNS0_17block_load_methodE3ELS4_3ELS4_3ELNS0_20block_scan_algorithmE0ELj4294967295EEENS1_25partition_config_selectorILNS1_17partition_subalgoE4EjNS0_10empty_typeEbEEZZNS1_14partition_implILS8_4ELb0ES6_15HIP_vector_typeIjLj2EENS0_17counting_iteratorIjlEEPS9_SG_NS0_5tupleIJPjSI_NS0_16reverse_iteratorISI_EEEEENSH_IJSG_SG_SG_EEES9_SI_JZNS1_25segmented_radix_sort_implINS0_14default_configELb1EPKfPfPKlPlN2at6native12_GLOBAL__N_18offset_tEEE10hipError_tPvRmT1_PNSt15iterator_traitsIS12_E10value_typeET2_T3_PNS13_IS18_E10value_typeET4_jRbjT5_S1E_jjP12ihipStream_tbEUljE_ZNSN_ISO_Lb1ESQ_SR_ST_SU_SY_EESZ_S10_S11_S12_S16_S17_S18_S1B_S1C_jS1D_jS1E_S1E_jjS1G_bEUljE0_EEESZ_S10_S11_S18_S1C_S1E_T6_T7_T9_mT8_S1G_bDpT10_ENKUlT_T0_E_clISt17integral_constantIbLb0EES1T_IbLb1EEEEDaS1P_S1Q_EUlS1P_E_NS1_11comp_targetILNS1_3genE2ELNS1_11target_archE906ELNS1_3gpuE6ELNS1_3repE0EEENS1_30default_config_static_selectorELNS0_4arch9wavefront6targetE0EEEvS12_, .Lfunc_end1283-_ZN7rocprim17ROCPRIM_400000_NS6detail17trampoline_kernelINS0_13select_configILj256ELj13ELNS0_17block_load_methodE3ELS4_3ELS4_3ELNS0_20block_scan_algorithmE0ELj4294967295EEENS1_25partition_config_selectorILNS1_17partition_subalgoE4EjNS0_10empty_typeEbEEZZNS1_14partition_implILS8_4ELb0ES6_15HIP_vector_typeIjLj2EENS0_17counting_iteratorIjlEEPS9_SG_NS0_5tupleIJPjSI_NS0_16reverse_iteratorISI_EEEEENSH_IJSG_SG_SG_EEES9_SI_JZNS1_25segmented_radix_sort_implINS0_14default_configELb1EPKfPfPKlPlN2at6native12_GLOBAL__N_18offset_tEEE10hipError_tPvRmT1_PNSt15iterator_traitsIS12_E10value_typeET2_T3_PNS13_IS18_E10value_typeET4_jRbjT5_S1E_jjP12ihipStream_tbEUljE_ZNSN_ISO_Lb1ESQ_SR_ST_SU_SY_EESZ_S10_S11_S12_S16_S17_S18_S1B_S1C_jS1D_jS1E_S1E_jjS1G_bEUljE0_EEESZ_S10_S11_S18_S1C_S1E_T6_T7_T9_mT8_S1G_bDpT10_ENKUlT_T0_E_clISt17integral_constantIbLb0EES1T_IbLb1EEEEDaS1P_S1Q_EUlS1P_E_NS1_11comp_targetILNS1_3genE2ELNS1_11target_archE906ELNS1_3gpuE6ELNS1_3repE0EEENS1_30default_config_static_selectorELNS0_4arch9wavefront6targetE0EEEvS12_
                                        ; -- End function
	.set _ZN7rocprim17ROCPRIM_400000_NS6detail17trampoline_kernelINS0_13select_configILj256ELj13ELNS0_17block_load_methodE3ELS4_3ELS4_3ELNS0_20block_scan_algorithmE0ELj4294967295EEENS1_25partition_config_selectorILNS1_17partition_subalgoE4EjNS0_10empty_typeEbEEZZNS1_14partition_implILS8_4ELb0ES6_15HIP_vector_typeIjLj2EENS0_17counting_iteratorIjlEEPS9_SG_NS0_5tupleIJPjSI_NS0_16reverse_iteratorISI_EEEEENSH_IJSG_SG_SG_EEES9_SI_JZNS1_25segmented_radix_sort_implINS0_14default_configELb1EPKfPfPKlPlN2at6native12_GLOBAL__N_18offset_tEEE10hipError_tPvRmT1_PNSt15iterator_traitsIS12_E10value_typeET2_T3_PNS13_IS18_E10value_typeET4_jRbjT5_S1E_jjP12ihipStream_tbEUljE_ZNSN_ISO_Lb1ESQ_SR_ST_SU_SY_EESZ_S10_S11_S12_S16_S17_S18_S1B_S1C_jS1D_jS1E_S1E_jjS1G_bEUljE0_EEESZ_S10_S11_S18_S1C_S1E_T6_T7_T9_mT8_S1G_bDpT10_ENKUlT_T0_E_clISt17integral_constantIbLb0EES1T_IbLb1EEEEDaS1P_S1Q_EUlS1P_E_NS1_11comp_targetILNS1_3genE2ELNS1_11target_archE906ELNS1_3gpuE6ELNS1_3repE0EEENS1_30default_config_static_selectorELNS0_4arch9wavefront6targetE0EEEvS12_.num_vgpr, 0
	.set _ZN7rocprim17ROCPRIM_400000_NS6detail17trampoline_kernelINS0_13select_configILj256ELj13ELNS0_17block_load_methodE3ELS4_3ELS4_3ELNS0_20block_scan_algorithmE0ELj4294967295EEENS1_25partition_config_selectorILNS1_17partition_subalgoE4EjNS0_10empty_typeEbEEZZNS1_14partition_implILS8_4ELb0ES6_15HIP_vector_typeIjLj2EENS0_17counting_iteratorIjlEEPS9_SG_NS0_5tupleIJPjSI_NS0_16reverse_iteratorISI_EEEEENSH_IJSG_SG_SG_EEES9_SI_JZNS1_25segmented_radix_sort_implINS0_14default_configELb1EPKfPfPKlPlN2at6native12_GLOBAL__N_18offset_tEEE10hipError_tPvRmT1_PNSt15iterator_traitsIS12_E10value_typeET2_T3_PNS13_IS18_E10value_typeET4_jRbjT5_S1E_jjP12ihipStream_tbEUljE_ZNSN_ISO_Lb1ESQ_SR_ST_SU_SY_EESZ_S10_S11_S12_S16_S17_S18_S1B_S1C_jS1D_jS1E_S1E_jjS1G_bEUljE0_EEESZ_S10_S11_S18_S1C_S1E_T6_T7_T9_mT8_S1G_bDpT10_ENKUlT_T0_E_clISt17integral_constantIbLb0EES1T_IbLb1EEEEDaS1P_S1Q_EUlS1P_E_NS1_11comp_targetILNS1_3genE2ELNS1_11target_archE906ELNS1_3gpuE6ELNS1_3repE0EEENS1_30default_config_static_selectorELNS0_4arch9wavefront6targetE0EEEvS12_.num_agpr, 0
	.set _ZN7rocprim17ROCPRIM_400000_NS6detail17trampoline_kernelINS0_13select_configILj256ELj13ELNS0_17block_load_methodE3ELS4_3ELS4_3ELNS0_20block_scan_algorithmE0ELj4294967295EEENS1_25partition_config_selectorILNS1_17partition_subalgoE4EjNS0_10empty_typeEbEEZZNS1_14partition_implILS8_4ELb0ES6_15HIP_vector_typeIjLj2EENS0_17counting_iteratorIjlEEPS9_SG_NS0_5tupleIJPjSI_NS0_16reverse_iteratorISI_EEEEENSH_IJSG_SG_SG_EEES9_SI_JZNS1_25segmented_radix_sort_implINS0_14default_configELb1EPKfPfPKlPlN2at6native12_GLOBAL__N_18offset_tEEE10hipError_tPvRmT1_PNSt15iterator_traitsIS12_E10value_typeET2_T3_PNS13_IS18_E10value_typeET4_jRbjT5_S1E_jjP12ihipStream_tbEUljE_ZNSN_ISO_Lb1ESQ_SR_ST_SU_SY_EESZ_S10_S11_S12_S16_S17_S18_S1B_S1C_jS1D_jS1E_S1E_jjS1G_bEUljE0_EEESZ_S10_S11_S18_S1C_S1E_T6_T7_T9_mT8_S1G_bDpT10_ENKUlT_T0_E_clISt17integral_constantIbLb0EES1T_IbLb1EEEEDaS1P_S1Q_EUlS1P_E_NS1_11comp_targetILNS1_3genE2ELNS1_11target_archE906ELNS1_3gpuE6ELNS1_3repE0EEENS1_30default_config_static_selectorELNS0_4arch9wavefront6targetE0EEEvS12_.numbered_sgpr, 0
	.set _ZN7rocprim17ROCPRIM_400000_NS6detail17trampoline_kernelINS0_13select_configILj256ELj13ELNS0_17block_load_methodE3ELS4_3ELS4_3ELNS0_20block_scan_algorithmE0ELj4294967295EEENS1_25partition_config_selectorILNS1_17partition_subalgoE4EjNS0_10empty_typeEbEEZZNS1_14partition_implILS8_4ELb0ES6_15HIP_vector_typeIjLj2EENS0_17counting_iteratorIjlEEPS9_SG_NS0_5tupleIJPjSI_NS0_16reverse_iteratorISI_EEEEENSH_IJSG_SG_SG_EEES9_SI_JZNS1_25segmented_radix_sort_implINS0_14default_configELb1EPKfPfPKlPlN2at6native12_GLOBAL__N_18offset_tEEE10hipError_tPvRmT1_PNSt15iterator_traitsIS12_E10value_typeET2_T3_PNS13_IS18_E10value_typeET4_jRbjT5_S1E_jjP12ihipStream_tbEUljE_ZNSN_ISO_Lb1ESQ_SR_ST_SU_SY_EESZ_S10_S11_S12_S16_S17_S18_S1B_S1C_jS1D_jS1E_S1E_jjS1G_bEUljE0_EEESZ_S10_S11_S18_S1C_S1E_T6_T7_T9_mT8_S1G_bDpT10_ENKUlT_T0_E_clISt17integral_constantIbLb0EES1T_IbLb1EEEEDaS1P_S1Q_EUlS1P_E_NS1_11comp_targetILNS1_3genE2ELNS1_11target_archE906ELNS1_3gpuE6ELNS1_3repE0EEENS1_30default_config_static_selectorELNS0_4arch9wavefront6targetE0EEEvS12_.num_named_barrier, 0
	.set _ZN7rocprim17ROCPRIM_400000_NS6detail17trampoline_kernelINS0_13select_configILj256ELj13ELNS0_17block_load_methodE3ELS4_3ELS4_3ELNS0_20block_scan_algorithmE0ELj4294967295EEENS1_25partition_config_selectorILNS1_17partition_subalgoE4EjNS0_10empty_typeEbEEZZNS1_14partition_implILS8_4ELb0ES6_15HIP_vector_typeIjLj2EENS0_17counting_iteratorIjlEEPS9_SG_NS0_5tupleIJPjSI_NS0_16reverse_iteratorISI_EEEEENSH_IJSG_SG_SG_EEES9_SI_JZNS1_25segmented_radix_sort_implINS0_14default_configELb1EPKfPfPKlPlN2at6native12_GLOBAL__N_18offset_tEEE10hipError_tPvRmT1_PNSt15iterator_traitsIS12_E10value_typeET2_T3_PNS13_IS18_E10value_typeET4_jRbjT5_S1E_jjP12ihipStream_tbEUljE_ZNSN_ISO_Lb1ESQ_SR_ST_SU_SY_EESZ_S10_S11_S12_S16_S17_S18_S1B_S1C_jS1D_jS1E_S1E_jjS1G_bEUljE0_EEESZ_S10_S11_S18_S1C_S1E_T6_T7_T9_mT8_S1G_bDpT10_ENKUlT_T0_E_clISt17integral_constantIbLb0EES1T_IbLb1EEEEDaS1P_S1Q_EUlS1P_E_NS1_11comp_targetILNS1_3genE2ELNS1_11target_archE906ELNS1_3gpuE6ELNS1_3repE0EEENS1_30default_config_static_selectorELNS0_4arch9wavefront6targetE0EEEvS12_.private_seg_size, 0
	.set _ZN7rocprim17ROCPRIM_400000_NS6detail17trampoline_kernelINS0_13select_configILj256ELj13ELNS0_17block_load_methodE3ELS4_3ELS4_3ELNS0_20block_scan_algorithmE0ELj4294967295EEENS1_25partition_config_selectorILNS1_17partition_subalgoE4EjNS0_10empty_typeEbEEZZNS1_14partition_implILS8_4ELb0ES6_15HIP_vector_typeIjLj2EENS0_17counting_iteratorIjlEEPS9_SG_NS0_5tupleIJPjSI_NS0_16reverse_iteratorISI_EEEEENSH_IJSG_SG_SG_EEES9_SI_JZNS1_25segmented_radix_sort_implINS0_14default_configELb1EPKfPfPKlPlN2at6native12_GLOBAL__N_18offset_tEEE10hipError_tPvRmT1_PNSt15iterator_traitsIS12_E10value_typeET2_T3_PNS13_IS18_E10value_typeET4_jRbjT5_S1E_jjP12ihipStream_tbEUljE_ZNSN_ISO_Lb1ESQ_SR_ST_SU_SY_EESZ_S10_S11_S12_S16_S17_S18_S1B_S1C_jS1D_jS1E_S1E_jjS1G_bEUljE0_EEESZ_S10_S11_S18_S1C_S1E_T6_T7_T9_mT8_S1G_bDpT10_ENKUlT_T0_E_clISt17integral_constantIbLb0EES1T_IbLb1EEEEDaS1P_S1Q_EUlS1P_E_NS1_11comp_targetILNS1_3genE2ELNS1_11target_archE906ELNS1_3gpuE6ELNS1_3repE0EEENS1_30default_config_static_selectorELNS0_4arch9wavefront6targetE0EEEvS12_.uses_vcc, 0
	.set _ZN7rocprim17ROCPRIM_400000_NS6detail17trampoline_kernelINS0_13select_configILj256ELj13ELNS0_17block_load_methodE3ELS4_3ELS4_3ELNS0_20block_scan_algorithmE0ELj4294967295EEENS1_25partition_config_selectorILNS1_17partition_subalgoE4EjNS0_10empty_typeEbEEZZNS1_14partition_implILS8_4ELb0ES6_15HIP_vector_typeIjLj2EENS0_17counting_iteratorIjlEEPS9_SG_NS0_5tupleIJPjSI_NS0_16reverse_iteratorISI_EEEEENSH_IJSG_SG_SG_EEES9_SI_JZNS1_25segmented_radix_sort_implINS0_14default_configELb1EPKfPfPKlPlN2at6native12_GLOBAL__N_18offset_tEEE10hipError_tPvRmT1_PNSt15iterator_traitsIS12_E10value_typeET2_T3_PNS13_IS18_E10value_typeET4_jRbjT5_S1E_jjP12ihipStream_tbEUljE_ZNSN_ISO_Lb1ESQ_SR_ST_SU_SY_EESZ_S10_S11_S12_S16_S17_S18_S1B_S1C_jS1D_jS1E_S1E_jjS1G_bEUljE0_EEESZ_S10_S11_S18_S1C_S1E_T6_T7_T9_mT8_S1G_bDpT10_ENKUlT_T0_E_clISt17integral_constantIbLb0EES1T_IbLb1EEEEDaS1P_S1Q_EUlS1P_E_NS1_11comp_targetILNS1_3genE2ELNS1_11target_archE906ELNS1_3gpuE6ELNS1_3repE0EEENS1_30default_config_static_selectorELNS0_4arch9wavefront6targetE0EEEvS12_.uses_flat_scratch, 0
	.set _ZN7rocprim17ROCPRIM_400000_NS6detail17trampoline_kernelINS0_13select_configILj256ELj13ELNS0_17block_load_methodE3ELS4_3ELS4_3ELNS0_20block_scan_algorithmE0ELj4294967295EEENS1_25partition_config_selectorILNS1_17partition_subalgoE4EjNS0_10empty_typeEbEEZZNS1_14partition_implILS8_4ELb0ES6_15HIP_vector_typeIjLj2EENS0_17counting_iteratorIjlEEPS9_SG_NS0_5tupleIJPjSI_NS0_16reverse_iteratorISI_EEEEENSH_IJSG_SG_SG_EEES9_SI_JZNS1_25segmented_radix_sort_implINS0_14default_configELb1EPKfPfPKlPlN2at6native12_GLOBAL__N_18offset_tEEE10hipError_tPvRmT1_PNSt15iterator_traitsIS12_E10value_typeET2_T3_PNS13_IS18_E10value_typeET4_jRbjT5_S1E_jjP12ihipStream_tbEUljE_ZNSN_ISO_Lb1ESQ_SR_ST_SU_SY_EESZ_S10_S11_S12_S16_S17_S18_S1B_S1C_jS1D_jS1E_S1E_jjS1G_bEUljE0_EEESZ_S10_S11_S18_S1C_S1E_T6_T7_T9_mT8_S1G_bDpT10_ENKUlT_T0_E_clISt17integral_constantIbLb0EES1T_IbLb1EEEEDaS1P_S1Q_EUlS1P_E_NS1_11comp_targetILNS1_3genE2ELNS1_11target_archE906ELNS1_3gpuE6ELNS1_3repE0EEENS1_30default_config_static_selectorELNS0_4arch9wavefront6targetE0EEEvS12_.has_dyn_sized_stack, 0
	.set _ZN7rocprim17ROCPRIM_400000_NS6detail17trampoline_kernelINS0_13select_configILj256ELj13ELNS0_17block_load_methodE3ELS4_3ELS4_3ELNS0_20block_scan_algorithmE0ELj4294967295EEENS1_25partition_config_selectorILNS1_17partition_subalgoE4EjNS0_10empty_typeEbEEZZNS1_14partition_implILS8_4ELb0ES6_15HIP_vector_typeIjLj2EENS0_17counting_iteratorIjlEEPS9_SG_NS0_5tupleIJPjSI_NS0_16reverse_iteratorISI_EEEEENSH_IJSG_SG_SG_EEES9_SI_JZNS1_25segmented_radix_sort_implINS0_14default_configELb1EPKfPfPKlPlN2at6native12_GLOBAL__N_18offset_tEEE10hipError_tPvRmT1_PNSt15iterator_traitsIS12_E10value_typeET2_T3_PNS13_IS18_E10value_typeET4_jRbjT5_S1E_jjP12ihipStream_tbEUljE_ZNSN_ISO_Lb1ESQ_SR_ST_SU_SY_EESZ_S10_S11_S12_S16_S17_S18_S1B_S1C_jS1D_jS1E_S1E_jjS1G_bEUljE0_EEESZ_S10_S11_S18_S1C_S1E_T6_T7_T9_mT8_S1G_bDpT10_ENKUlT_T0_E_clISt17integral_constantIbLb0EES1T_IbLb1EEEEDaS1P_S1Q_EUlS1P_E_NS1_11comp_targetILNS1_3genE2ELNS1_11target_archE906ELNS1_3gpuE6ELNS1_3repE0EEENS1_30default_config_static_selectorELNS0_4arch9wavefront6targetE0EEEvS12_.has_recursion, 0
	.set _ZN7rocprim17ROCPRIM_400000_NS6detail17trampoline_kernelINS0_13select_configILj256ELj13ELNS0_17block_load_methodE3ELS4_3ELS4_3ELNS0_20block_scan_algorithmE0ELj4294967295EEENS1_25partition_config_selectorILNS1_17partition_subalgoE4EjNS0_10empty_typeEbEEZZNS1_14partition_implILS8_4ELb0ES6_15HIP_vector_typeIjLj2EENS0_17counting_iteratorIjlEEPS9_SG_NS0_5tupleIJPjSI_NS0_16reverse_iteratorISI_EEEEENSH_IJSG_SG_SG_EEES9_SI_JZNS1_25segmented_radix_sort_implINS0_14default_configELb1EPKfPfPKlPlN2at6native12_GLOBAL__N_18offset_tEEE10hipError_tPvRmT1_PNSt15iterator_traitsIS12_E10value_typeET2_T3_PNS13_IS18_E10value_typeET4_jRbjT5_S1E_jjP12ihipStream_tbEUljE_ZNSN_ISO_Lb1ESQ_SR_ST_SU_SY_EESZ_S10_S11_S12_S16_S17_S18_S1B_S1C_jS1D_jS1E_S1E_jjS1G_bEUljE0_EEESZ_S10_S11_S18_S1C_S1E_T6_T7_T9_mT8_S1G_bDpT10_ENKUlT_T0_E_clISt17integral_constantIbLb0EES1T_IbLb1EEEEDaS1P_S1Q_EUlS1P_E_NS1_11comp_targetILNS1_3genE2ELNS1_11target_archE906ELNS1_3gpuE6ELNS1_3repE0EEENS1_30default_config_static_selectorELNS0_4arch9wavefront6targetE0EEEvS12_.has_indirect_call, 0
	.section	.AMDGPU.csdata,"",@progbits
; Kernel info:
; codeLenInByte = 0
; TotalNumSgprs: 0
; NumVgprs: 0
; ScratchSize: 0
; MemoryBound: 0
; FloatMode: 240
; IeeeMode: 1
; LDSByteSize: 0 bytes/workgroup (compile time only)
; SGPRBlocks: 0
; VGPRBlocks: 0
; NumSGPRsForWavesPerEU: 1
; NumVGPRsForWavesPerEU: 1
; NamedBarCnt: 0
; Occupancy: 16
; WaveLimiterHint : 0
; COMPUTE_PGM_RSRC2:SCRATCH_EN: 0
; COMPUTE_PGM_RSRC2:USER_SGPR: 2
; COMPUTE_PGM_RSRC2:TRAP_HANDLER: 0
; COMPUTE_PGM_RSRC2:TGID_X_EN: 1
; COMPUTE_PGM_RSRC2:TGID_Y_EN: 0
; COMPUTE_PGM_RSRC2:TGID_Z_EN: 0
; COMPUTE_PGM_RSRC2:TIDIG_COMP_CNT: 0
	.section	.text._ZN7rocprim17ROCPRIM_400000_NS6detail17trampoline_kernelINS0_13select_configILj256ELj13ELNS0_17block_load_methodE3ELS4_3ELS4_3ELNS0_20block_scan_algorithmE0ELj4294967295EEENS1_25partition_config_selectorILNS1_17partition_subalgoE4EjNS0_10empty_typeEbEEZZNS1_14partition_implILS8_4ELb0ES6_15HIP_vector_typeIjLj2EENS0_17counting_iteratorIjlEEPS9_SG_NS0_5tupleIJPjSI_NS0_16reverse_iteratorISI_EEEEENSH_IJSG_SG_SG_EEES9_SI_JZNS1_25segmented_radix_sort_implINS0_14default_configELb1EPKfPfPKlPlN2at6native12_GLOBAL__N_18offset_tEEE10hipError_tPvRmT1_PNSt15iterator_traitsIS12_E10value_typeET2_T3_PNS13_IS18_E10value_typeET4_jRbjT5_S1E_jjP12ihipStream_tbEUljE_ZNSN_ISO_Lb1ESQ_SR_ST_SU_SY_EESZ_S10_S11_S12_S16_S17_S18_S1B_S1C_jS1D_jS1E_S1E_jjS1G_bEUljE0_EEESZ_S10_S11_S18_S1C_S1E_T6_T7_T9_mT8_S1G_bDpT10_ENKUlT_T0_E_clISt17integral_constantIbLb0EES1T_IbLb1EEEEDaS1P_S1Q_EUlS1P_E_NS1_11comp_targetILNS1_3genE10ELNS1_11target_archE1200ELNS1_3gpuE4ELNS1_3repE0EEENS1_30default_config_static_selectorELNS0_4arch9wavefront6targetE0EEEvS12_,"axG",@progbits,_ZN7rocprim17ROCPRIM_400000_NS6detail17trampoline_kernelINS0_13select_configILj256ELj13ELNS0_17block_load_methodE3ELS4_3ELS4_3ELNS0_20block_scan_algorithmE0ELj4294967295EEENS1_25partition_config_selectorILNS1_17partition_subalgoE4EjNS0_10empty_typeEbEEZZNS1_14partition_implILS8_4ELb0ES6_15HIP_vector_typeIjLj2EENS0_17counting_iteratorIjlEEPS9_SG_NS0_5tupleIJPjSI_NS0_16reverse_iteratorISI_EEEEENSH_IJSG_SG_SG_EEES9_SI_JZNS1_25segmented_radix_sort_implINS0_14default_configELb1EPKfPfPKlPlN2at6native12_GLOBAL__N_18offset_tEEE10hipError_tPvRmT1_PNSt15iterator_traitsIS12_E10value_typeET2_T3_PNS13_IS18_E10value_typeET4_jRbjT5_S1E_jjP12ihipStream_tbEUljE_ZNSN_ISO_Lb1ESQ_SR_ST_SU_SY_EESZ_S10_S11_S12_S16_S17_S18_S1B_S1C_jS1D_jS1E_S1E_jjS1G_bEUljE0_EEESZ_S10_S11_S18_S1C_S1E_T6_T7_T9_mT8_S1G_bDpT10_ENKUlT_T0_E_clISt17integral_constantIbLb0EES1T_IbLb1EEEEDaS1P_S1Q_EUlS1P_E_NS1_11comp_targetILNS1_3genE10ELNS1_11target_archE1200ELNS1_3gpuE4ELNS1_3repE0EEENS1_30default_config_static_selectorELNS0_4arch9wavefront6targetE0EEEvS12_,comdat
	.globl	_ZN7rocprim17ROCPRIM_400000_NS6detail17trampoline_kernelINS0_13select_configILj256ELj13ELNS0_17block_load_methodE3ELS4_3ELS4_3ELNS0_20block_scan_algorithmE0ELj4294967295EEENS1_25partition_config_selectorILNS1_17partition_subalgoE4EjNS0_10empty_typeEbEEZZNS1_14partition_implILS8_4ELb0ES6_15HIP_vector_typeIjLj2EENS0_17counting_iteratorIjlEEPS9_SG_NS0_5tupleIJPjSI_NS0_16reverse_iteratorISI_EEEEENSH_IJSG_SG_SG_EEES9_SI_JZNS1_25segmented_radix_sort_implINS0_14default_configELb1EPKfPfPKlPlN2at6native12_GLOBAL__N_18offset_tEEE10hipError_tPvRmT1_PNSt15iterator_traitsIS12_E10value_typeET2_T3_PNS13_IS18_E10value_typeET4_jRbjT5_S1E_jjP12ihipStream_tbEUljE_ZNSN_ISO_Lb1ESQ_SR_ST_SU_SY_EESZ_S10_S11_S12_S16_S17_S18_S1B_S1C_jS1D_jS1E_S1E_jjS1G_bEUljE0_EEESZ_S10_S11_S18_S1C_S1E_T6_T7_T9_mT8_S1G_bDpT10_ENKUlT_T0_E_clISt17integral_constantIbLb0EES1T_IbLb1EEEEDaS1P_S1Q_EUlS1P_E_NS1_11comp_targetILNS1_3genE10ELNS1_11target_archE1200ELNS1_3gpuE4ELNS1_3repE0EEENS1_30default_config_static_selectorELNS0_4arch9wavefront6targetE0EEEvS12_ ; -- Begin function _ZN7rocprim17ROCPRIM_400000_NS6detail17trampoline_kernelINS0_13select_configILj256ELj13ELNS0_17block_load_methodE3ELS4_3ELS4_3ELNS0_20block_scan_algorithmE0ELj4294967295EEENS1_25partition_config_selectorILNS1_17partition_subalgoE4EjNS0_10empty_typeEbEEZZNS1_14partition_implILS8_4ELb0ES6_15HIP_vector_typeIjLj2EENS0_17counting_iteratorIjlEEPS9_SG_NS0_5tupleIJPjSI_NS0_16reverse_iteratorISI_EEEEENSH_IJSG_SG_SG_EEES9_SI_JZNS1_25segmented_radix_sort_implINS0_14default_configELb1EPKfPfPKlPlN2at6native12_GLOBAL__N_18offset_tEEE10hipError_tPvRmT1_PNSt15iterator_traitsIS12_E10value_typeET2_T3_PNS13_IS18_E10value_typeET4_jRbjT5_S1E_jjP12ihipStream_tbEUljE_ZNSN_ISO_Lb1ESQ_SR_ST_SU_SY_EESZ_S10_S11_S12_S16_S17_S18_S1B_S1C_jS1D_jS1E_S1E_jjS1G_bEUljE0_EEESZ_S10_S11_S18_S1C_S1E_T6_T7_T9_mT8_S1G_bDpT10_ENKUlT_T0_E_clISt17integral_constantIbLb0EES1T_IbLb1EEEEDaS1P_S1Q_EUlS1P_E_NS1_11comp_targetILNS1_3genE10ELNS1_11target_archE1200ELNS1_3gpuE4ELNS1_3repE0EEENS1_30default_config_static_selectorELNS0_4arch9wavefront6targetE0EEEvS12_
	.p2align	8
	.type	_ZN7rocprim17ROCPRIM_400000_NS6detail17trampoline_kernelINS0_13select_configILj256ELj13ELNS0_17block_load_methodE3ELS4_3ELS4_3ELNS0_20block_scan_algorithmE0ELj4294967295EEENS1_25partition_config_selectorILNS1_17partition_subalgoE4EjNS0_10empty_typeEbEEZZNS1_14partition_implILS8_4ELb0ES6_15HIP_vector_typeIjLj2EENS0_17counting_iteratorIjlEEPS9_SG_NS0_5tupleIJPjSI_NS0_16reverse_iteratorISI_EEEEENSH_IJSG_SG_SG_EEES9_SI_JZNS1_25segmented_radix_sort_implINS0_14default_configELb1EPKfPfPKlPlN2at6native12_GLOBAL__N_18offset_tEEE10hipError_tPvRmT1_PNSt15iterator_traitsIS12_E10value_typeET2_T3_PNS13_IS18_E10value_typeET4_jRbjT5_S1E_jjP12ihipStream_tbEUljE_ZNSN_ISO_Lb1ESQ_SR_ST_SU_SY_EESZ_S10_S11_S12_S16_S17_S18_S1B_S1C_jS1D_jS1E_S1E_jjS1G_bEUljE0_EEESZ_S10_S11_S18_S1C_S1E_T6_T7_T9_mT8_S1G_bDpT10_ENKUlT_T0_E_clISt17integral_constantIbLb0EES1T_IbLb1EEEEDaS1P_S1Q_EUlS1P_E_NS1_11comp_targetILNS1_3genE10ELNS1_11target_archE1200ELNS1_3gpuE4ELNS1_3repE0EEENS1_30default_config_static_selectorELNS0_4arch9wavefront6targetE0EEEvS12_,@function
_ZN7rocprim17ROCPRIM_400000_NS6detail17trampoline_kernelINS0_13select_configILj256ELj13ELNS0_17block_load_methodE3ELS4_3ELS4_3ELNS0_20block_scan_algorithmE0ELj4294967295EEENS1_25partition_config_selectorILNS1_17partition_subalgoE4EjNS0_10empty_typeEbEEZZNS1_14partition_implILS8_4ELb0ES6_15HIP_vector_typeIjLj2EENS0_17counting_iteratorIjlEEPS9_SG_NS0_5tupleIJPjSI_NS0_16reverse_iteratorISI_EEEEENSH_IJSG_SG_SG_EEES9_SI_JZNS1_25segmented_radix_sort_implINS0_14default_configELb1EPKfPfPKlPlN2at6native12_GLOBAL__N_18offset_tEEE10hipError_tPvRmT1_PNSt15iterator_traitsIS12_E10value_typeET2_T3_PNS13_IS18_E10value_typeET4_jRbjT5_S1E_jjP12ihipStream_tbEUljE_ZNSN_ISO_Lb1ESQ_SR_ST_SU_SY_EESZ_S10_S11_S12_S16_S17_S18_S1B_S1C_jS1D_jS1E_S1E_jjS1G_bEUljE0_EEESZ_S10_S11_S18_S1C_S1E_T6_T7_T9_mT8_S1G_bDpT10_ENKUlT_T0_E_clISt17integral_constantIbLb0EES1T_IbLb1EEEEDaS1P_S1Q_EUlS1P_E_NS1_11comp_targetILNS1_3genE10ELNS1_11target_archE1200ELNS1_3gpuE4ELNS1_3repE0EEENS1_30default_config_static_selectorELNS0_4arch9wavefront6targetE0EEEvS12_: ; @_ZN7rocprim17ROCPRIM_400000_NS6detail17trampoline_kernelINS0_13select_configILj256ELj13ELNS0_17block_load_methodE3ELS4_3ELS4_3ELNS0_20block_scan_algorithmE0ELj4294967295EEENS1_25partition_config_selectorILNS1_17partition_subalgoE4EjNS0_10empty_typeEbEEZZNS1_14partition_implILS8_4ELb0ES6_15HIP_vector_typeIjLj2EENS0_17counting_iteratorIjlEEPS9_SG_NS0_5tupleIJPjSI_NS0_16reverse_iteratorISI_EEEEENSH_IJSG_SG_SG_EEES9_SI_JZNS1_25segmented_radix_sort_implINS0_14default_configELb1EPKfPfPKlPlN2at6native12_GLOBAL__N_18offset_tEEE10hipError_tPvRmT1_PNSt15iterator_traitsIS12_E10value_typeET2_T3_PNS13_IS18_E10value_typeET4_jRbjT5_S1E_jjP12ihipStream_tbEUljE_ZNSN_ISO_Lb1ESQ_SR_ST_SU_SY_EESZ_S10_S11_S12_S16_S17_S18_S1B_S1C_jS1D_jS1E_S1E_jjS1G_bEUljE0_EEESZ_S10_S11_S18_S1C_S1E_T6_T7_T9_mT8_S1G_bDpT10_ENKUlT_T0_E_clISt17integral_constantIbLb0EES1T_IbLb1EEEEDaS1P_S1Q_EUlS1P_E_NS1_11comp_targetILNS1_3genE10ELNS1_11target_archE1200ELNS1_3gpuE4ELNS1_3repE0EEENS1_30default_config_static_selectorELNS0_4arch9wavefront6targetE0EEEvS12_
; %bb.0:
	.section	.rodata,"a",@progbits
	.p2align	6, 0x0
	.amdhsa_kernel _ZN7rocprim17ROCPRIM_400000_NS6detail17trampoline_kernelINS0_13select_configILj256ELj13ELNS0_17block_load_methodE3ELS4_3ELS4_3ELNS0_20block_scan_algorithmE0ELj4294967295EEENS1_25partition_config_selectorILNS1_17partition_subalgoE4EjNS0_10empty_typeEbEEZZNS1_14partition_implILS8_4ELb0ES6_15HIP_vector_typeIjLj2EENS0_17counting_iteratorIjlEEPS9_SG_NS0_5tupleIJPjSI_NS0_16reverse_iteratorISI_EEEEENSH_IJSG_SG_SG_EEES9_SI_JZNS1_25segmented_radix_sort_implINS0_14default_configELb1EPKfPfPKlPlN2at6native12_GLOBAL__N_18offset_tEEE10hipError_tPvRmT1_PNSt15iterator_traitsIS12_E10value_typeET2_T3_PNS13_IS18_E10value_typeET4_jRbjT5_S1E_jjP12ihipStream_tbEUljE_ZNSN_ISO_Lb1ESQ_SR_ST_SU_SY_EESZ_S10_S11_S12_S16_S17_S18_S1B_S1C_jS1D_jS1E_S1E_jjS1G_bEUljE0_EEESZ_S10_S11_S18_S1C_S1E_T6_T7_T9_mT8_S1G_bDpT10_ENKUlT_T0_E_clISt17integral_constantIbLb0EES1T_IbLb1EEEEDaS1P_S1Q_EUlS1P_E_NS1_11comp_targetILNS1_3genE10ELNS1_11target_archE1200ELNS1_3gpuE4ELNS1_3repE0EEENS1_30default_config_static_selectorELNS0_4arch9wavefront6targetE0EEEvS12_
		.amdhsa_group_segment_fixed_size 0
		.amdhsa_private_segment_fixed_size 0
		.amdhsa_kernarg_size 184
		.amdhsa_user_sgpr_count 2
		.amdhsa_user_sgpr_dispatch_ptr 0
		.amdhsa_user_sgpr_queue_ptr 0
		.amdhsa_user_sgpr_kernarg_segment_ptr 1
		.amdhsa_user_sgpr_dispatch_id 0
		.amdhsa_user_sgpr_kernarg_preload_length 0
		.amdhsa_user_sgpr_kernarg_preload_offset 0
		.amdhsa_user_sgpr_private_segment_size 0
		.amdhsa_wavefront_size32 1
		.amdhsa_uses_dynamic_stack 0
		.amdhsa_enable_private_segment 0
		.amdhsa_system_sgpr_workgroup_id_x 1
		.amdhsa_system_sgpr_workgroup_id_y 0
		.amdhsa_system_sgpr_workgroup_id_z 0
		.amdhsa_system_sgpr_workgroup_info 0
		.amdhsa_system_vgpr_workitem_id 0
		.amdhsa_next_free_vgpr 1
		.amdhsa_next_free_sgpr 1
		.amdhsa_named_barrier_count 0
		.amdhsa_reserve_vcc 0
		.amdhsa_float_round_mode_32 0
		.amdhsa_float_round_mode_16_64 0
		.amdhsa_float_denorm_mode_32 3
		.amdhsa_float_denorm_mode_16_64 3
		.amdhsa_fp16_overflow 0
		.amdhsa_memory_ordered 1
		.amdhsa_forward_progress 1
		.amdhsa_inst_pref_size 0
		.amdhsa_round_robin_scheduling 0
		.amdhsa_exception_fp_ieee_invalid_op 0
		.amdhsa_exception_fp_denorm_src 0
		.amdhsa_exception_fp_ieee_div_zero 0
		.amdhsa_exception_fp_ieee_overflow 0
		.amdhsa_exception_fp_ieee_underflow 0
		.amdhsa_exception_fp_ieee_inexact 0
		.amdhsa_exception_int_div_zero 0
	.end_amdhsa_kernel
	.section	.text._ZN7rocprim17ROCPRIM_400000_NS6detail17trampoline_kernelINS0_13select_configILj256ELj13ELNS0_17block_load_methodE3ELS4_3ELS4_3ELNS0_20block_scan_algorithmE0ELj4294967295EEENS1_25partition_config_selectorILNS1_17partition_subalgoE4EjNS0_10empty_typeEbEEZZNS1_14partition_implILS8_4ELb0ES6_15HIP_vector_typeIjLj2EENS0_17counting_iteratorIjlEEPS9_SG_NS0_5tupleIJPjSI_NS0_16reverse_iteratorISI_EEEEENSH_IJSG_SG_SG_EEES9_SI_JZNS1_25segmented_radix_sort_implINS0_14default_configELb1EPKfPfPKlPlN2at6native12_GLOBAL__N_18offset_tEEE10hipError_tPvRmT1_PNSt15iterator_traitsIS12_E10value_typeET2_T3_PNS13_IS18_E10value_typeET4_jRbjT5_S1E_jjP12ihipStream_tbEUljE_ZNSN_ISO_Lb1ESQ_SR_ST_SU_SY_EESZ_S10_S11_S12_S16_S17_S18_S1B_S1C_jS1D_jS1E_S1E_jjS1G_bEUljE0_EEESZ_S10_S11_S18_S1C_S1E_T6_T7_T9_mT8_S1G_bDpT10_ENKUlT_T0_E_clISt17integral_constantIbLb0EES1T_IbLb1EEEEDaS1P_S1Q_EUlS1P_E_NS1_11comp_targetILNS1_3genE10ELNS1_11target_archE1200ELNS1_3gpuE4ELNS1_3repE0EEENS1_30default_config_static_selectorELNS0_4arch9wavefront6targetE0EEEvS12_,"axG",@progbits,_ZN7rocprim17ROCPRIM_400000_NS6detail17trampoline_kernelINS0_13select_configILj256ELj13ELNS0_17block_load_methodE3ELS4_3ELS4_3ELNS0_20block_scan_algorithmE0ELj4294967295EEENS1_25partition_config_selectorILNS1_17partition_subalgoE4EjNS0_10empty_typeEbEEZZNS1_14partition_implILS8_4ELb0ES6_15HIP_vector_typeIjLj2EENS0_17counting_iteratorIjlEEPS9_SG_NS0_5tupleIJPjSI_NS0_16reverse_iteratorISI_EEEEENSH_IJSG_SG_SG_EEES9_SI_JZNS1_25segmented_radix_sort_implINS0_14default_configELb1EPKfPfPKlPlN2at6native12_GLOBAL__N_18offset_tEEE10hipError_tPvRmT1_PNSt15iterator_traitsIS12_E10value_typeET2_T3_PNS13_IS18_E10value_typeET4_jRbjT5_S1E_jjP12ihipStream_tbEUljE_ZNSN_ISO_Lb1ESQ_SR_ST_SU_SY_EESZ_S10_S11_S12_S16_S17_S18_S1B_S1C_jS1D_jS1E_S1E_jjS1G_bEUljE0_EEESZ_S10_S11_S18_S1C_S1E_T6_T7_T9_mT8_S1G_bDpT10_ENKUlT_T0_E_clISt17integral_constantIbLb0EES1T_IbLb1EEEEDaS1P_S1Q_EUlS1P_E_NS1_11comp_targetILNS1_3genE10ELNS1_11target_archE1200ELNS1_3gpuE4ELNS1_3repE0EEENS1_30default_config_static_selectorELNS0_4arch9wavefront6targetE0EEEvS12_,comdat
.Lfunc_end1284:
	.size	_ZN7rocprim17ROCPRIM_400000_NS6detail17trampoline_kernelINS0_13select_configILj256ELj13ELNS0_17block_load_methodE3ELS4_3ELS4_3ELNS0_20block_scan_algorithmE0ELj4294967295EEENS1_25partition_config_selectorILNS1_17partition_subalgoE4EjNS0_10empty_typeEbEEZZNS1_14partition_implILS8_4ELb0ES6_15HIP_vector_typeIjLj2EENS0_17counting_iteratorIjlEEPS9_SG_NS0_5tupleIJPjSI_NS0_16reverse_iteratorISI_EEEEENSH_IJSG_SG_SG_EEES9_SI_JZNS1_25segmented_radix_sort_implINS0_14default_configELb1EPKfPfPKlPlN2at6native12_GLOBAL__N_18offset_tEEE10hipError_tPvRmT1_PNSt15iterator_traitsIS12_E10value_typeET2_T3_PNS13_IS18_E10value_typeET4_jRbjT5_S1E_jjP12ihipStream_tbEUljE_ZNSN_ISO_Lb1ESQ_SR_ST_SU_SY_EESZ_S10_S11_S12_S16_S17_S18_S1B_S1C_jS1D_jS1E_S1E_jjS1G_bEUljE0_EEESZ_S10_S11_S18_S1C_S1E_T6_T7_T9_mT8_S1G_bDpT10_ENKUlT_T0_E_clISt17integral_constantIbLb0EES1T_IbLb1EEEEDaS1P_S1Q_EUlS1P_E_NS1_11comp_targetILNS1_3genE10ELNS1_11target_archE1200ELNS1_3gpuE4ELNS1_3repE0EEENS1_30default_config_static_selectorELNS0_4arch9wavefront6targetE0EEEvS12_, .Lfunc_end1284-_ZN7rocprim17ROCPRIM_400000_NS6detail17trampoline_kernelINS0_13select_configILj256ELj13ELNS0_17block_load_methodE3ELS4_3ELS4_3ELNS0_20block_scan_algorithmE0ELj4294967295EEENS1_25partition_config_selectorILNS1_17partition_subalgoE4EjNS0_10empty_typeEbEEZZNS1_14partition_implILS8_4ELb0ES6_15HIP_vector_typeIjLj2EENS0_17counting_iteratorIjlEEPS9_SG_NS0_5tupleIJPjSI_NS0_16reverse_iteratorISI_EEEEENSH_IJSG_SG_SG_EEES9_SI_JZNS1_25segmented_radix_sort_implINS0_14default_configELb1EPKfPfPKlPlN2at6native12_GLOBAL__N_18offset_tEEE10hipError_tPvRmT1_PNSt15iterator_traitsIS12_E10value_typeET2_T3_PNS13_IS18_E10value_typeET4_jRbjT5_S1E_jjP12ihipStream_tbEUljE_ZNSN_ISO_Lb1ESQ_SR_ST_SU_SY_EESZ_S10_S11_S12_S16_S17_S18_S1B_S1C_jS1D_jS1E_S1E_jjS1G_bEUljE0_EEESZ_S10_S11_S18_S1C_S1E_T6_T7_T9_mT8_S1G_bDpT10_ENKUlT_T0_E_clISt17integral_constantIbLb0EES1T_IbLb1EEEEDaS1P_S1Q_EUlS1P_E_NS1_11comp_targetILNS1_3genE10ELNS1_11target_archE1200ELNS1_3gpuE4ELNS1_3repE0EEENS1_30default_config_static_selectorELNS0_4arch9wavefront6targetE0EEEvS12_
                                        ; -- End function
	.set _ZN7rocprim17ROCPRIM_400000_NS6detail17trampoline_kernelINS0_13select_configILj256ELj13ELNS0_17block_load_methodE3ELS4_3ELS4_3ELNS0_20block_scan_algorithmE0ELj4294967295EEENS1_25partition_config_selectorILNS1_17partition_subalgoE4EjNS0_10empty_typeEbEEZZNS1_14partition_implILS8_4ELb0ES6_15HIP_vector_typeIjLj2EENS0_17counting_iteratorIjlEEPS9_SG_NS0_5tupleIJPjSI_NS0_16reverse_iteratorISI_EEEEENSH_IJSG_SG_SG_EEES9_SI_JZNS1_25segmented_radix_sort_implINS0_14default_configELb1EPKfPfPKlPlN2at6native12_GLOBAL__N_18offset_tEEE10hipError_tPvRmT1_PNSt15iterator_traitsIS12_E10value_typeET2_T3_PNS13_IS18_E10value_typeET4_jRbjT5_S1E_jjP12ihipStream_tbEUljE_ZNSN_ISO_Lb1ESQ_SR_ST_SU_SY_EESZ_S10_S11_S12_S16_S17_S18_S1B_S1C_jS1D_jS1E_S1E_jjS1G_bEUljE0_EEESZ_S10_S11_S18_S1C_S1E_T6_T7_T9_mT8_S1G_bDpT10_ENKUlT_T0_E_clISt17integral_constantIbLb0EES1T_IbLb1EEEEDaS1P_S1Q_EUlS1P_E_NS1_11comp_targetILNS1_3genE10ELNS1_11target_archE1200ELNS1_3gpuE4ELNS1_3repE0EEENS1_30default_config_static_selectorELNS0_4arch9wavefront6targetE0EEEvS12_.num_vgpr, 0
	.set _ZN7rocprim17ROCPRIM_400000_NS6detail17trampoline_kernelINS0_13select_configILj256ELj13ELNS0_17block_load_methodE3ELS4_3ELS4_3ELNS0_20block_scan_algorithmE0ELj4294967295EEENS1_25partition_config_selectorILNS1_17partition_subalgoE4EjNS0_10empty_typeEbEEZZNS1_14partition_implILS8_4ELb0ES6_15HIP_vector_typeIjLj2EENS0_17counting_iteratorIjlEEPS9_SG_NS0_5tupleIJPjSI_NS0_16reverse_iteratorISI_EEEEENSH_IJSG_SG_SG_EEES9_SI_JZNS1_25segmented_radix_sort_implINS0_14default_configELb1EPKfPfPKlPlN2at6native12_GLOBAL__N_18offset_tEEE10hipError_tPvRmT1_PNSt15iterator_traitsIS12_E10value_typeET2_T3_PNS13_IS18_E10value_typeET4_jRbjT5_S1E_jjP12ihipStream_tbEUljE_ZNSN_ISO_Lb1ESQ_SR_ST_SU_SY_EESZ_S10_S11_S12_S16_S17_S18_S1B_S1C_jS1D_jS1E_S1E_jjS1G_bEUljE0_EEESZ_S10_S11_S18_S1C_S1E_T6_T7_T9_mT8_S1G_bDpT10_ENKUlT_T0_E_clISt17integral_constantIbLb0EES1T_IbLb1EEEEDaS1P_S1Q_EUlS1P_E_NS1_11comp_targetILNS1_3genE10ELNS1_11target_archE1200ELNS1_3gpuE4ELNS1_3repE0EEENS1_30default_config_static_selectorELNS0_4arch9wavefront6targetE0EEEvS12_.num_agpr, 0
	.set _ZN7rocprim17ROCPRIM_400000_NS6detail17trampoline_kernelINS0_13select_configILj256ELj13ELNS0_17block_load_methodE3ELS4_3ELS4_3ELNS0_20block_scan_algorithmE0ELj4294967295EEENS1_25partition_config_selectorILNS1_17partition_subalgoE4EjNS0_10empty_typeEbEEZZNS1_14partition_implILS8_4ELb0ES6_15HIP_vector_typeIjLj2EENS0_17counting_iteratorIjlEEPS9_SG_NS0_5tupleIJPjSI_NS0_16reverse_iteratorISI_EEEEENSH_IJSG_SG_SG_EEES9_SI_JZNS1_25segmented_radix_sort_implINS0_14default_configELb1EPKfPfPKlPlN2at6native12_GLOBAL__N_18offset_tEEE10hipError_tPvRmT1_PNSt15iterator_traitsIS12_E10value_typeET2_T3_PNS13_IS18_E10value_typeET4_jRbjT5_S1E_jjP12ihipStream_tbEUljE_ZNSN_ISO_Lb1ESQ_SR_ST_SU_SY_EESZ_S10_S11_S12_S16_S17_S18_S1B_S1C_jS1D_jS1E_S1E_jjS1G_bEUljE0_EEESZ_S10_S11_S18_S1C_S1E_T6_T7_T9_mT8_S1G_bDpT10_ENKUlT_T0_E_clISt17integral_constantIbLb0EES1T_IbLb1EEEEDaS1P_S1Q_EUlS1P_E_NS1_11comp_targetILNS1_3genE10ELNS1_11target_archE1200ELNS1_3gpuE4ELNS1_3repE0EEENS1_30default_config_static_selectorELNS0_4arch9wavefront6targetE0EEEvS12_.numbered_sgpr, 0
	.set _ZN7rocprim17ROCPRIM_400000_NS6detail17trampoline_kernelINS0_13select_configILj256ELj13ELNS0_17block_load_methodE3ELS4_3ELS4_3ELNS0_20block_scan_algorithmE0ELj4294967295EEENS1_25partition_config_selectorILNS1_17partition_subalgoE4EjNS0_10empty_typeEbEEZZNS1_14partition_implILS8_4ELb0ES6_15HIP_vector_typeIjLj2EENS0_17counting_iteratorIjlEEPS9_SG_NS0_5tupleIJPjSI_NS0_16reverse_iteratorISI_EEEEENSH_IJSG_SG_SG_EEES9_SI_JZNS1_25segmented_radix_sort_implINS0_14default_configELb1EPKfPfPKlPlN2at6native12_GLOBAL__N_18offset_tEEE10hipError_tPvRmT1_PNSt15iterator_traitsIS12_E10value_typeET2_T3_PNS13_IS18_E10value_typeET4_jRbjT5_S1E_jjP12ihipStream_tbEUljE_ZNSN_ISO_Lb1ESQ_SR_ST_SU_SY_EESZ_S10_S11_S12_S16_S17_S18_S1B_S1C_jS1D_jS1E_S1E_jjS1G_bEUljE0_EEESZ_S10_S11_S18_S1C_S1E_T6_T7_T9_mT8_S1G_bDpT10_ENKUlT_T0_E_clISt17integral_constantIbLb0EES1T_IbLb1EEEEDaS1P_S1Q_EUlS1P_E_NS1_11comp_targetILNS1_3genE10ELNS1_11target_archE1200ELNS1_3gpuE4ELNS1_3repE0EEENS1_30default_config_static_selectorELNS0_4arch9wavefront6targetE0EEEvS12_.num_named_barrier, 0
	.set _ZN7rocprim17ROCPRIM_400000_NS6detail17trampoline_kernelINS0_13select_configILj256ELj13ELNS0_17block_load_methodE3ELS4_3ELS4_3ELNS0_20block_scan_algorithmE0ELj4294967295EEENS1_25partition_config_selectorILNS1_17partition_subalgoE4EjNS0_10empty_typeEbEEZZNS1_14partition_implILS8_4ELb0ES6_15HIP_vector_typeIjLj2EENS0_17counting_iteratorIjlEEPS9_SG_NS0_5tupleIJPjSI_NS0_16reverse_iteratorISI_EEEEENSH_IJSG_SG_SG_EEES9_SI_JZNS1_25segmented_radix_sort_implINS0_14default_configELb1EPKfPfPKlPlN2at6native12_GLOBAL__N_18offset_tEEE10hipError_tPvRmT1_PNSt15iterator_traitsIS12_E10value_typeET2_T3_PNS13_IS18_E10value_typeET4_jRbjT5_S1E_jjP12ihipStream_tbEUljE_ZNSN_ISO_Lb1ESQ_SR_ST_SU_SY_EESZ_S10_S11_S12_S16_S17_S18_S1B_S1C_jS1D_jS1E_S1E_jjS1G_bEUljE0_EEESZ_S10_S11_S18_S1C_S1E_T6_T7_T9_mT8_S1G_bDpT10_ENKUlT_T0_E_clISt17integral_constantIbLb0EES1T_IbLb1EEEEDaS1P_S1Q_EUlS1P_E_NS1_11comp_targetILNS1_3genE10ELNS1_11target_archE1200ELNS1_3gpuE4ELNS1_3repE0EEENS1_30default_config_static_selectorELNS0_4arch9wavefront6targetE0EEEvS12_.private_seg_size, 0
	.set _ZN7rocprim17ROCPRIM_400000_NS6detail17trampoline_kernelINS0_13select_configILj256ELj13ELNS0_17block_load_methodE3ELS4_3ELS4_3ELNS0_20block_scan_algorithmE0ELj4294967295EEENS1_25partition_config_selectorILNS1_17partition_subalgoE4EjNS0_10empty_typeEbEEZZNS1_14partition_implILS8_4ELb0ES6_15HIP_vector_typeIjLj2EENS0_17counting_iteratorIjlEEPS9_SG_NS0_5tupleIJPjSI_NS0_16reverse_iteratorISI_EEEEENSH_IJSG_SG_SG_EEES9_SI_JZNS1_25segmented_radix_sort_implINS0_14default_configELb1EPKfPfPKlPlN2at6native12_GLOBAL__N_18offset_tEEE10hipError_tPvRmT1_PNSt15iterator_traitsIS12_E10value_typeET2_T3_PNS13_IS18_E10value_typeET4_jRbjT5_S1E_jjP12ihipStream_tbEUljE_ZNSN_ISO_Lb1ESQ_SR_ST_SU_SY_EESZ_S10_S11_S12_S16_S17_S18_S1B_S1C_jS1D_jS1E_S1E_jjS1G_bEUljE0_EEESZ_S10_S11_S18_S1C_S1E_T6_T7_T9_mT8_S1G_bDpT10_ENKUlT_T0_E_clISt17integral_constantIbLb0EES1T_IbLb1EEEEDaS1P_S1Q_EUlS1P_E_NS1_11comp_targetILNS1_3genE10ELNS1_11target_archE1200ELNS1_3gpuE4ELNS1_3repE0EEENS1_30default_config_static_selectorELNS0_4arch9wavefront6targetE0EEEvS12_.uses_vcc, 0
	.set _ZN7rocprim17ROCPRIM_400000_NS6detail17trampoline_kernelINS0_13select_configILj256ELj13ELNS0_17block_load_methodE3ELS4_3ELS4_3ELNS0_20block_scan_algorithmE0ELj4294967295EEENS1_25partition_config_selectorILNS1_17partition_subalgoE4EjNS0_10empty_typeEbEEZZNS1_14partition_implILS8_4ELb0ES6_15HIP_vector_typeIjLj2EENS0_17counting_iteratorIjlEEPS9_SG_NS0_5tupleIJPjSI_NS0_16reverse_iteratorISI_EEEEENSH_IJSG_SG_SG_EEES9_SI_JZNS1_25segmented_radix_sort_implINS0_14default_configELb1EPKfPfPKlPlN2at6native12_GLOBAL__N_18offset_tEEE10hipError_tPvRmT1_PNSt15iterator_traitsIS12_E10value_typeET2_T3_PNS13_IS18_E10value_typeET4_jRbjT5_S1E_jjP12ihipStream_tbEUljE_ZNSN_ISO_Lb1ESQ_SR_ST_SU_SY_EESZ_S10_S11_S12_S16_S17_S18_S1B_S1C_jS1D_jS1E_S1E_jjS1G_bEUljE0_EEESZ_S10_S11_S18_S1C_S1E_T6_T7_T9_mT8_S1G_bDpT10_ENKUlT_T0_E_clISt17integral_constantIbLb0EES1T_IbLb1EEEEDaS1P_S1Q_EUlS1P_E_NS1_11comp_targetILNS1_3genE10ELNS1_11target_archE1200ELNS1_3gpuE4ELNS1_3repE0EEENS1_30default_config_static_selectorELNS0_4arch9wavefront6targetE0EEEvS12_.uses_flat_scratch, 0
	.set _ZN7rocprim17ROCPRIM_400000_NS6detail17trampoline_kernelINS0_13select_configILj256ELj13ELNS0_17block_load_methodE3ELS4_3ELS4_3ELNS0_20block_scan_algorithmE0ELj4294967295EEENS1_25partition_config_selectorILNS1_17partition_subalgoE4EjNS0_10empty_typeEbEEZZNS1_14partition_implILS8_4ELb0ES6_15HIP_vector_typeIjLj2EENS0_17counting_iteratorIjlEEPS9_SG_NS0_5tupleIJPjSI_NS0_16reverse_iteratorISI_EEEEENSH_IJSG_SG_SG_EEES9_SI_JZNS1_25segmented_radix_sort_implINS0_14default_configELb1EPKfPfPKlPlN2at6native12_GLOBAL__N_18offset_tEEE10hipError_tPvRmT1_PNSt15iterator_traitsIS12_E10value_typeET2_T3_PNS13_IS18_E10value_typeET4_jRbjT5_S1E_jjP12ihipStream_tbEUljE_ZNSN_ISO_Lb1ESQ_SR_ST_SU_SY_EESZ_S10_S11_S12_S16_S17_S18_S1B_S1C_jS1D_jS1E_S1E_jjS1G_bEUljE0_EEESZ_S10_S11_S18_S1C_S1E_T6_T7_T9_mT8_S1G_bDpT10_ENKUlT_T0_E_clISt17integral_constantIbLb0EES1T_IbLb1EEEEDaS1P_S1Q_EUlS1P_E_NS1_11comp_targetILNS1_3genE10ELNS1_11target_archE1200ELNS1_3gpuE4ELNS1_3repE0EEENS1_30default_config_static_selectorELNS0_4arch9wavefront6targetE0EEEvS12_.has_dyn_sized_stack, 0
	.set _ZN7rocprim17ROCPRIM_400000_NS6detail17trampoline_kernelINS0_13select_configILj256ELj13ELNS0_17block_load_methodE3ELS4_3ELS4_3ELNS0_20block_scan_algorithmE0ELj4294967295EEENS1_25partition_config_selectorILNS1_17partition_subalgoE4EjNS0_10empty_typeEbEEZZNS1_14partition_implILS8_4ELb0ES6_15HIP_vector_typeIjLj2EENS0_17counting_iteratorIjlEEPS9_SG_NS0_5tupleIJPjSI_NS0_16reverse_iteratorISI_EEEEENSH_IJSG_SG_SG_EEES9_SI_JZNS1_25segmented_radix_sort_implINS0_14default_configELb1EPKfPfPKlPlN2at6native12_GLOBAL__N_18offset_tEEE10hipError_tPvRmT1_PNSt15iterator_traitsIS12_E10value_typeET2_T3_PNS13_IS18_E10value_typeET4_jRbjT5_S1E_jjP12ihipStream_tbEUljE_ZNSN_ISO_Lb1ESQ_SR_ST_SU_SY_EESZ_S10_S11_S12_S16_S17_S18_S1B_S1C_jS1D_jS1E_S1E_jjS1G_bEUljE0_EEESZ_S10_S11_S18_S1C_S1E_T6_T7_T9_mT8_S1G_bDpT10_ENKUlT_T0_E_clISt17integral_constantIbLb0EES1T_IbLb1EEEEDaS1P_S1Q_EUlS1P_E_NS1_11comp_targetILNS1_3genE10ELNS1_11target_archE1200ELNS1_3gpuE4ELNS1_3repE0EEENS1_30default_config_static_selectorELNS0_4arch9wavefront6targetE0EEEvS12_.has_recursion, 0
	.set _ZN7rocprim17ROCPRIM_400000_NS6detail17trampoline_kernelINS0_13select_configILj256ELj13ELNS0_17block_load_methodE3ELS4_3ELS4_3ELNS0_20block_scan_algorithmE0ELj4294967295EEENS1_25partition_config_selectorILNS1_17partition_subalgoE4EjNS0_10empty_typeEbEEZZNS1_14partition_implILS8_4ELb0ES6_15HIP_vector_typeIjLj2EENS0_17counting_iteratorIjlEEPS9_SG_NS0_5tupleIJPjSI_NS0_16reverse_iteratorISI_EEEEENSH_IJSG_SG_SG_EEES9_SI_JZNS1_25segmented_radix_sort_implINS0_14default_configELb1EPKfPfPKlPlN2at6native12_GLOBAL__N_18offset_tEEE10hipError_tPvRmT1_PNSt15iterator_traitsIS12_E10value_typeET2_T3_PNS13_IS18_E10value_typeET4_jRbjT5_S1E_jjP12ihipStream_tbEUljE_ZNSN_ISO_Lb1ESQ_SR_ST_SU_SY_EESZ_S10_S11_S12_S16_S17_S18_S1B_S1C_jS1D_jS1E_S1E_jjS1G_bEUljE0_EEESZ_S10_S11_S18_S1C_S1E_T6_T7_T9_mT8_S1G_bDpT10_ENKUlT_T0_E_clISt17integral_constantIbLb0EES1T_IbLb1EEEEDaS1P_S1Q_EUlS1P_E_NS1_11comp_targetILNS1_3genE10ELNS1_11target_archE1200ELNS1_3gpuE4ELNS1_3repE0EEENS1_30default_config_static_selectorELNS0_4arch9wavefront6targetE0EEEvS12_.has_indirect_call, 0
	.section	.AMDGPU.csdata,"",@progbits
; Kernel info:
; codeLenInByte = 0
; TotalNumSgprs: 0
; NumVgprs: 0
; ScratchSize: 0
; MemoryBound: 0
; FloatMode: 240
; IeeeMode: 1
; LDSByteSize: 0 bytes/workgroup (compile time only)
; SGPRBlocks: 0
; VGPRBlocks: 0
; NumSGPRsForWavesPerEU: 1
; NumVGPRsForWavesPerEU: 1
; NamedBarCnt: 0
; Occupancy: 16
; WaveLimiterHint : 0
; COMPUTE_PGM_RSRC2:SCRATCH_EN: 0
; COMPUTE_PGM_RSRC2:USER_SGPR: 2
; COMPUTE_PGM_RSRC2:TRAP_HANDLER: 0
; COMPUTE_PGM_RSRC2:TGID_X_EN: 1
; COMPUTE_PGM_RSRC2:TGID_Y_EN: 0
; COMPUTE_PGM_RSRC2:TGID_Z_EN: 0
; COMPUTE_PGM_RSRC2:TIDIG_COMP_CNT: 0
	.section	.text._ZN7rocprim17ROCPRIM_400000_NS6detail17trampoline_kernelINS0_13select_configILj256ELj13ELNS0_17block_load_methodE3ELS4_3ELS4_3ELNS0_20block_scan_algorithmE0ELj4294967295EEENS1_25partition_config_selectorILNS1_17partition_subalgoE4EjNS0_10empty_typeEbEEZZNS1_14partition_implILS8_4ELb0ES6_15HIP_vector_typeIjLj2EENS0_17counting_iteratorIjlEEPS9_SG_NS0_5tupleIJPjSI_NS0_16reverse_iteratorISI_EEEEENSH_IJSG_SG_SG_EEES9_SI_JZNS1_25segmented_radix_sort_implINS0_14default_configELb1EPKfPfPKlPlN2at6native12_GLOBAL__N_18offset_tEEE10hipError_tPvRmT1_PNSt15iterator_traitsIS12_E10value_typeET2_T3_PNS13_IS18_E10value_typeET4_jRbjT5_S1E_jjP12ihipStream_tbEUljE_ZNSN_ISO_Lb1ESQ_SR_ST_SU_SY_EESZ_S10_S11_S12_S16_S17_S18_S1B_S1C_jS1D_jS1E_S1E_jjS1G_bEUljE0_EEESZ_S10_S11_S18_S1C_S1E_T6_T7_T9_mT8_S1G_bDpT10_ENKUlT_T0_E_clISt17integral_constantIbLb0EES1T_IbLb1EEEEDaS1P_S1Q_EUlS1P_E_NS1_11comp_targetILNS1_3genE9ELNS1_11target_archE1100ELNS1_3gpuE3ELNS1_3repE0EEENS1_30default_config_static_selectorELNS0_4arch9wavefront6targetE0EEEvS12_,"axG",@progbits,_ZN7rocprim17ROCPRIM_400000_NS6detail17trampoline_kernelINS0_13select_configILj256ELj13ELNS0_17block_load_methodE3ELS4_3ELS4_3ELNS0_20block_scan_algorithmE0ELj4294967295EEENS1_25partition_config_selectorILNS1_17partition_subalgoE4EjNS0_10empty_typeEbEEZZNS1_14partition_implILS8_4ELb0ES6_15HIP_vector_typeIjLj2EENS0_17counting_iteratorIjlEEPS9_SG_NS0_5tupleIJPjSI_NS0_16reverse_iteratorISI_EEEEENSH_IJSG_SG_SG_EEES9_SI_JZNS1_25segmented_radix_sort_implINS0_14default_configELb1EPKfPfPKlPlN2at6native12_GLOBAL__N_18offset_tEEE10hipError_tPvRmT1_PNSt15iterator_traitsIS12_E10value_typeET2_T3_PNS13_IS18_E10value_typeET4_jRbjT5_S1E_jjP12ihipStream_tbEUljE_ZNSN_ISO_Lb1ESQ_SR_ST_SU_SY_EESZ_S10_S11_S12_S16_S17_S18_S1B_S1C_jS1D_jS1E_S1E_jjS1G_bEUljE0_EEESZ_S10_S11_S18_S1C_S1E_T6_T7_T9_mT8_S1G_bDpT10_ENKUlT_T0_E_clISt17integral_constantIbLb0EES1T_IbLb1EEEEDaS1P_S1Q_EUlS1P_E_NS1_11comp_targetILNS1_3genE9ELNS1_11target_archE1100ELNS1_3gpuE3ELNS1_3repE0EEENS1_30default_config_static_selectorELNS0_4arch9wavefront6targetE0EEEvS12_,comdat
	.globl	_ZN7rocprim17ROCPRIM_400000_NS6detail17trampoline_kernelINS0_13select_configILj256ELj13ELNS0_17block_load_methodE3ELS4_3ELS4_3ELNS0_20block_scan_algorithmE0ELj4294967295EEENS1_25partition_config_selectorILNS1_17partition_subalgoE4EjNS0_10empty_typeEbEEZZNS1_14partition_implILS8_4ELb0ES6_15HIP_vector_typeIjLj2EENS0_17counting_iteratorIjlEEPS9_SG_NS0_5tupleIJPjSI_NS0_16reverse_iteratorISI_EEEEENSH_IJSG_SG_SG_EEES9_SI_JZNS1_25segmented_radix_sort_implINS0_14default_configELb1EPKfPfPKlPlN2at6native12_GLOBAL__N_18offset_tEEE10hipError_tPvRmT1_PNSt15iterator_traitsIS12_E10value_typeET2_T3_PNS13_IS18_E10value_typeET4_jRbjT5_S1E_jjP12ihipStream_tbEUljE_ZNSN_ISO_Lb1ESQ_SR_ST_SU_SY_EESZ_S10_S11_S12_S16_S17_S18_S1B_S1C_jS1D_jS1E_S1E_jjS1G_bEUljE0_EEESZ_S10_S11_S18_S1C_S1E_T6_T7_T9_mT8_S1G_bDpT10_ENKUlT_T0_E_clISt17integral_constantIbLb0EES1T_IbLb1EEEEDaS1P_S1Q_EUlS1P_E_NS1_11comp_targetILNS1_3genE9ELNS1_11target_archE1100ELNS1_3gpuE3ELNS1_3repE0EEENS1_30default_config_static_selectorELNS0_4arch9wavefront6targetE0EEEvS12_ ; -- Begin function _ZN7rocprim17ROCPRIM_400000_NS6detail17trampoline_kernelINS0_13select_configILj256ELj13ELNS0_17block_load_methodE3ELS4_3ELS4_3ELNS0_20block_scan_algorithmE0ELj4294967295EEENS1_25partition_config_selectorILNS1_17partition_subalgoE4EjNS0_10empty_typeEbEEZZNS1_14partition_implILS8_4ELb0ES6_15HIP_vector_typeIjLj2EENS0_17counting_iteratorIjlEEPS9_SG_NS0_5tupleIJPjSI_NS0_16reverse_iteratorISI_EEEEENSH_IJSG_SG_SG_EEES9_SI_JZNS1_25segmented_radix_sort_implINS0_14default_configELb1EPKfPfPKlPlN2at6native12_GLOBAL__N_18offset_tEEE10hipError_tPvRmT1_PNSt15iterator_traitsIS12_E10value_typeET2_T3_PNS13_IS18_E10value_typeET4_jRbjT5_S1E_jjP12ihipStream_tbEUljE_ZNSN_ISO_Lb1ESQ_SR_ST_SU_SY_EESZ_S10_S11_S12_S16_S17_S18_S1B_S1C_jS1D_jS1E_S1E_jjS1G_bEUljE0_EEESZ_S10_S11_S18_S1C_S1E_T6_T7_T9_mT8_S1G_bDpT10_ENKUlT_T0_E_clISt17integral_constantIbLb0EES1T_IbLb1EEEEDaS1P_S1Q_EUlS1P_E_NS1_11comp_targetILNS1_3genE9ELNS1_11target_archE1100ELNS1_3gpuE3ELNS1_3repE0EEENS1_30default_config_static_selectorELNS0_4arch9wavefront6targetE0EEEvS12_
	.p2align	8
	.type	_ZN7rocprim17ROCPRIM_400000_NS6detail17trampoline_kernelINS0_13select_configILj256ELj13ELNS0_17block_load_methodE3ELS4_3ELS4_3ELNS0_20block_scan_algorithmE0ELj4294967295EEENS1_25partition_config_selectorILNS1_17partition_subalgoE4EjNS0_10empty_typeEbEEZZNS1_14partition_implILS8_4ELb0ES6_15HIP_vector_typeIjLj2EENS0_17counting_iteratorIjlEEPS9_SG_NS0_5tupleIJPjSI_NS0_16reverse_iteratorISI_EEEEENSH_IJSG_SG_SG_EEES9_SI_JZNS1_25segmented_radix_sort_implINS0_14default_configELb1EPKfPfPKlPlN2at6native12_GLOBAL__N_18offset_tEEE10hipError_tPvRmT1_PNSt15iterator_traitsIS12_E10value_typeET2_T3_PNS13_IS18_E10value_typeET4_jRbjT5_S1E_jjP12ihipStream_tbEUljE_ZNSN_ISO_Lb1ESQ_SR_ST_SU_SY_EESZ_S10_S11_S12_S16_S17_S18_S1B_S1C_jS1D_jS1E_S1E_jjS1G_bEUljE0_EEESZ_S10_S11_S18_S1C_S1E_T6_T7_T9_mT8_S1G_bDpT10_ENKUlT_T0_E_clISt17integral_constantIbLb0EES1T_IbLb1EEEEDaS1P_S1Q_EUlS1P_E_NS1_11comp_targetILNS1_3genE9ELNS1_11target_archE1100ELNS1_3gpuE3ELNS1_3repE0EEENS1_30default_config_static_selectorELNS0_4arch9wavefront6targetE0EEEvS12_,@function
_ZN7rocprim17ROCPRIM_400000_NS6detail17trampoline_kernelINS0_13select_configILj256ELj13ELNS0_17block_load_methodE3ELS4_3ELS4_3ELNS0_20block_scan_algorithmE0ELj4294967295EEENS1_25partition_config_selectorILNS1_17partition_subalgoE4EjNS0_10empty_typeEbEEZZNS1_14partition_implILS8_4ELb0ES6_15HIP_vector_typeIjLj2EENS0_17counting_iteratorIjlEEPS9_SG_NS0_5tupleIJPjSI_NS0_16reverse_iteratorISI_EEEEENSH_IJSG_SG_SG_EEES9_SI_JZNS1_25segmented_radix_sort_implINS0_14default_configELb1EPKfPfPKlPlN2at6native12_GLOBAL__N_18offset_tEEE10hipError_tPvRmT1_PNSt15iterator_traitsIS12_E10value_typeET2_T3_PNS13_IS18_E10value_typeET4_jRbjT5_S1E_jjP12ihipStream_tbEUljE_ZNSN_ISO_Lb1ESQ_SR_ST_SU_SY_EESZ_S10_S11_S12_S16_S17_S18_S1B_S1C_jS1D_jS1E_S1E_jjS1G_bEUljE0_EEESZ_S10_S11_S18_S1C_S1E_T6_T7_T9_mT8_S1G_bDpT10_ENKUlT_T0_E_clISt17integral_constantIbLb0EES1T_IbLb1EEEEDaS1P_S1Q_EUlS1P_E_NS1_11comp_targetILNS1_3genE9ELNS1_11target_archE1100ELNS1_3gpuE3ELNS1_3repE0EEENS1_30default_config_static_selectorELNS0_4arch9wavefront6targetE0EEEvS12_: ; @_ZN7rocprim17ROCPRIM_400000_NS6detail17trampoline_kernelINS0_13select_configILj256ELj13ELNS0_17block_load_methodE3ELS4_3ELS4_3ELNS0_20block_scan_algorithmE0ELj4294967295EEENS1_25partition_config_selectorILNS1_17partition_subalgoE4EjNS0_10empty_typeEbEEZZNS1_14partition_implILS8_4ELb0ES6_15HIP_vector_typeIjLj2EENS0_17counting_iteratorIjlEEPS9_SG_NS0_5tupleIJPjSI_NS0_16reverse_iteratorISI_EEEEENSH_IJSG_SG_SG_EEES9_SI_JZNS1_25segmented_radix_sort_implINS0_14default_configELb1EPKfPfPKlPlN2at6native12_GLOBAL__N_18offset_tEEE10hipError_tPvRmT1_PNSt15iterator_traitsIS12_E10value_typeET2_T3_PNS13_IS18_E10value_typeET4_jRbjT5_S1E_jjP12ihipStream_tbEUljE_ZNSN_ISO_Lb1ESQ_SR_ST_SU_SY_EESZ_S10_S11_S12_S16_S17_S18_S1B_S1C_jS1D_jS1E_S1E_jjS1G_bEUljE0_EEESZ_S10_S11_S18_S1C_S1E_T6_T7_T9_mT8_S1G_bDpT10_ENKUlT_T0_E_clISt17integral_constantIbLb0EES1T_IbLb1EEEEDaS1P_S1Q_EUlS1P_E_NS1_11comp_targetILNS1_3genE9ELNS1_11target_archE1100ELNS1_3gpuE3ELNS1_3repE0EEENS1_30default_config_static_selectorELNS0_4arch9wavefront6targetE0EEEvS12_
; %bb.0:
	.section	.rodata,"a",@progbits
	.p2align	6, 0x0
	.amdhsa_kernel _ZN7rocprim17ROCPRIM_400000_NS6detail17trampoline_kernelINS0_13select_configILj256ELj13ELNS0_17block_load_methodE3ELS4_3ELS4_3ELNS0_20block_scan_algorithmE0ELj4294967295EEENS1_25partition_config_selectorILNS1_17partition_subalgoE4EjNS0_10empty_typeEbEEZZNS1_14partition_implILS8_4ELb0ES6_15HIP_vector_typeIjLj2EENS0_17counting_iteratorIjlEEPS9_SG_NS0_5tupleIJPjSI_NS0_16reverse_iteratorISI_EEEEENSH_IJSG_SG_SG_EEES9_SI_JZNS1_25segmented_radix_sort_implINS0_14default_configELb1EPKfPfPKlPlN2at6native12_GLOBAL__N_18offset_tEEE10hipError_tPvRmT1_PNSt15iterator_traitsIS12_E10value_typeET2_T3_PNS13_IS18_E10value_typeET4_jRbjT5_S1E_jjP12ihipStream_tbEUljE_ZNSN_ISO_Lb1ESQ_SR_ST_SU_SY_EESZ_S10_S11_S12_S16_S17_S18_S1B_S1C_jS1D_jS1E_S1E_jjS1G_bEUljE0_EEESZ_S10_S11_S18_S1C_S1E_T6_T7_T9_mT8_S1G_bDpT10_ENKUlT_T0_E_clISt17integral_constantIbLb0EES1T_IbLb1EEEEDaS1P_S1Q_EUlS1P_E_NS1_11comp_targetILNS1_3genE9ELNS1_11target_archE1100ELNS1_3gpuE3ELNS1_3repE0EEENS1_30default_config_static_selectorELNS0_4arch9wavefront6targetE0EEEvS12_
		.amdhsa_group_segment_fixed_size 0
		.amdhsa_private_segment_fixed_size 0
		.amdhsa_kernarg_size 184
		.amdhsa_user_sgpr_count 2
		.amdhsa_user_sgpr_dispatch_ptr 0
		.amdhsa_user_sgpr_queue_ptr 0
		.amdhsa_user_sgpr_kernarg_segment_ptr 1
		.amdhsa_user_sgpr_dispatch_id 0
		.amdhsa_user_sgpr_kernarg_preload_length 0
		.amdhsa_user_sgpr_kernarg_preload_offset 0
		.amdhsa_user_sgpr_private_segment_size 0
		.amdhsa_wavefront_size32 1
		.amdhsa_uses_dynamic_stack 0
		.amdhsa_enable_private_segment 0
		.amdhsa_system_sgpr_workgroup_id_x 1
		.amdhsa_system_sgpr_workgroup_id_y 0
		.amdhsa_system_sgpr_workgroup_id_z 0
		.amdhsa_system_sgpr_workgroup_info 0
		.amdhsa_system_vgpr_workitem_id 0
		.amdhsa_next_free_vgpr 1
		.amdhsa_next_free_sgpr 1
		.amdhsa_named_barrier_count 0
		.amdhsa_reserve_vcc 0
		.amdhsa_float_round_mode_32 0
		.amdhsa_float_round_mode_16_64 0
		.amdhsa_float_denorm_mode_32 3
		.amdhsa_float_denorm_mode_16_64 3
		.amdhsa_fp16_overflow 0
		.amdhsa_memory_ordered 1
		.amdhsa_forward_progress 1
		.amdhsa_inst_pref_size 0
		.amdhsa_round_robin_scheduling 0
		.amdhsa_exception_fp_ieee_invalid_op 0
		.amdhsa_exception_fp_denorm_src 0
		.amdhsa_exception_fp_ieee_div_zero 0
		.amdhsa_exception_fp_ieee_overflow 0
		.amdhsa_exception_fp_ieee_underflow 0
		.amdhsa_exception_fp_ieee_inexact 0
		.amdhsa_exception_int_div_zero 0
	.end_amdhsa_kernel
	.section	.text._ZN7rocprim17ROCPRIM_400000_NS6detail17trampoline_kernelINS0_13select_configILj256ELj13ELNS0_17block_load_methodE3ELS4_3ELS4_3ELNS0_20block_scan_algorithmE0ELj4294967295EEENS1_25partition_config_selectorILNS1_17partition_subalgoE4EjNS0_10empty_typeEbEEZZNS1_14partition_implILS8_4ELb0ES6_15HIP_vector_typeIjLj2EENS0_17counting_iteratorIjlEEPS9_SG_NS0_5tupleIJPjSI_NS0_16reverse_iteratorISI_EEEEENSH_IJSG_SG_SG_EEES9_SI_JZNS1_25segmented_radix_sort_implINS0_14default_configELb1EPKfPfPKlPlN2at6native12_GLOBAL__N_18offset_tEEE10hipError_tPvRmT1_PNSt15iterator_traitsIS12_E10value_typeET2_T3_PNS13_IS18_E10value_typeET4_jRbjT5_S1E_jjP12ihipStream_tbEUljE_ZNSN_ISO_Lb1ESQ_SR_ST_SU_SY_EESZ_S10_S11_S12_S16_S17_S18_S1B_S1C_jS1D_jS1E_S1E_jjS1G_bEUljE0_EEESZ_S10_S11_S18_S1C_S1E_T6_T7_T9_mT8_S1G_bDpT10_ENKUlT_T0_E_clISt17integral_constantIbLb0EES1T_IbLb1EEEEDaS1P_S1Q_EUlS1P_E_NS1_11comp_targetILNS1_3genE9ELNS1_11target_archE1100ELNS1_3gpuE3ELNS1_3repE0EEENS1_30default_config_static_selectorELNS0_4arch9wavefront6targetE0EEEvS12_,"axG",@progbits,_ZN7rocprim17ROCPRIM_400000_NS6detail17trampoline_kernelINS0_13select_configILj256ELj13ELNS0_17block_load_methodE3ELS4_3ELS4_3ELNS0_20block_scan_algorithmE0ELj4294967295EEENS1_25partition_config_selectorILNS1_17partition_subalgoE4EjNS0_10empty_typeEbEEZZNS1_14partition_implILS8_4ELb0ES6_15HIP_vector_typeIjLj2EENS0_17counting_iteratorIjlEEPS9_SG_NS0_5tupleIJPjSI_NS0_16reverse_iteratorISI_EEEEENSH_IJSG_SG_SG_EEES9_SI_JZNS1_25segmented_radix_sort_implINS0_14default_configELb1EPKfPfPKlPlN2at6native12_GLOBAL__N_18offset_tEEE10hipError_tPvRmT1_PNSt15iterator_traitsIS12_E10value_typeET2_T3_PNS13_IS18_E10value_typeET4_jRbjT5_S1E_jjP12ihipStream_tbEUljE_ZNSN_ISO_Lb1ESQ_SR_ST_SU_SY_EESZ_S10_S11_S12_S16_S17_S18_S1B_S1C_jS1D_jS1E_S1E_jjS1G_bEUljE0_EEESZ_S10_S11_S18_S1C_S1E_T6_T7_T9_mT8_S1G_bDpT10_ENKUlT_T0_E_clISt17integral_constantIbLb0EES1T_IbLb1EEEEDaS1P_S1Q_EUlS1P_E_NS1_11comp_targetILNS1_3genE9ELNS1_11target_archE1100ELNS1_3gpuE3ELNS1_3repE0EEENS1_30default_config_static_selectorELNS0_4arch9wavefront6targetE0EEEvS12_,comdat
.Lfunc_end1285:
	.size	_ZN7rocprim17ROCPRIM_400000_NS6detail17trampoline_kernelINS0_13select_configILj256ELj13ELNS0_17block_load_methodE3ELS4_3ELS4_3ELNS0_20block_scan_algorithmE0ELj4294967295EEENS1_25partition_config_selectorILNS1_17partition_subalgoE4EjNS0_10empty_typeEbEEZZNS1_14partition_implILS8_4ELb0ES6_15HIP_vector_typeIjLj2EENS0_17counting_iteratorIjlEEPS9_SG_NS0_5tupleIJPjSI_NS0_16reverse_iteratorISI_EEEEENSH_IJSG_SG_SG_EEES9_SI_JZNS1_25segmented_radix_sort_implINS0_14default_configELb1EPKfPfPKlPlN2at6native12_GLOBAL__N_18offset_tEEE10hipError_tPvRmT1_PNSt15iterator_traitsIS12_E10value_typeET2_T3_PNS13_IS18_E10value_typeET4_jRbjT5_S1E_jjP12ihipStream_tbEUljE_ZNSN_ISO_Lb1ESQ_SR_ST_SU_SY_EESZ_S10_S11_S12_S16_S17_S18_S1B_S1C_jS1D_jS1E_S1E_jjS1G_bEUljE0_EEESZ_S10_S11_S18_S1C_S1E_T6_T7_T9_mT8_S1G_bDpT10_ENKUlT_T0_E_clISt17integral_constantIbLb0EES1T_IbLb1EEEEDaS1P_S1Q_EUlS1P_E_NS1_11comp_targetILNS1_3genE9ELNS1_11target_archE1100ELNS1_3gpuE3ELNS1_3repE0EEENS1_30default_config_static_selectorELNS0_4arch9wavefront6targetE0EEEvS12_, .Lfunc_end1285-_ZN7rocprim17ROCPRIM_400000_NS6detail17trampoline_kernelINS0_13select_configILj256ELj13ELNS0_17block_load_methodE3ELS4_3ELS4_3ELNS0_20block_scan_algorithmE0ELj4294967295EEENS1_25partition_config_selectorILNS1_17partition_subalgoE4EjNS0_10empty_typeEbEEZZNS1_14partition_implILS8_4ELb0ES6_15HIP_vector_typeIjLj2EENS0_17counting_iteratorIjlEEPS9_SG_NS0_5tupleIJPjSI_NS0_16reverse_iteratorISI_EEEEENSH_IJSG_SG_SG_EEES9_SI_JZNS1_25segmented_radix_sort_implINS0_14default_configELb1EPKfPfPKlPlN2at6native12_GLOBAL__N_18offset_tEEE10hipError_tPvRmT1_PNSt15iterator_traitsIS12_E10value_typeET2_T3_PNS13_IS18_E10value_typeET4_jRbjT5_S1E_jjP12ihipStream_tbEUljE_ZNSN_ISO_Lb1ESQ_SR_ST_SU_SY_EESZ_S10_S11_S12_S16_S17_S18_S1B_S1C_jS1D_jS1E_S1E_jjS1G_bEUljE0_EEESZ_S10_S11_S18_S1C_S1E_T6_T7_T9_mT8_S1G_bDpT10_ENKUlT_T0_E_clISt17integral_constantIbLb0EES1T_IbLb1EEEEDaS1P_S1Q_EUlS1P_E_NS1_11comp_targetILNS1_3genE9ELNS1_11target_archE1100ELNS1_3gpuE3ELNS1_3repE0EEENS1_30default_config_static_selectorELNS0_4arch9wavefront6targetE0EEEvS12_
                                        ; -- End function
	.set _ZN7rocprim17ROCPRIM_400000_NS6detail17trampoline_kernelINS0_13select_configILj256ELj13ELNS0_17block_load_methodE3ELS4_3ELS4_3ELNS0_20block_scan_algorithmE0ELj4294967295EEENS1_25partition_config_selectorILNS1_17partition_subalgoE4EjNS0_10empty_typeEbEEZZNS1_14partition_implILS8_4ELb0ES6_15HIP_vector_typeIjLj2EENS0_17counting_iteratorIjlEEPS9_SG_NS0_5tupleIJPjSI_NS0_16reverse_iteratorISI_EEEEENSH_IJSG_SG_SG_EEES9_SI_JZNS1_25segmented_radix_sort_implINS0_14default_configELb1EPKfPfPKlPlN2at6native12_GLOBAL__N_18offset_tEEE10hipError_tPvRmT1_PNSt15iterator_traitsIS12_E10value_typeET2_T3_PNS13_IS18_E10value_typeET4_jRbjT5_S1E_jjP12ihipStream_tbEUljE_ZNSN_ISO_Lb1ESQ_SR_ST_SU_SY_EESZ_S10_S11_S12_S16_S17_S18_S1B_S1C_jS1D_jS1E_S1E_jjS1G_bEUljE0_EEESZ_S10_S11_S18_S1C_S1E_T6_T7_T9_mT8_S1G_bDpT10_ENKUlT_T0_E_clISt17integral_constantIbLb0EES1T_IbLb1EEEEDaS1P_S1Q_EUlS1P_E_NS1_11comp_targetILNS1_3genE9ELNS1_11target_archE1100ELNS1_3gpuE3ELNS1_3repE0EEENS1_30default_config_static_selectorELNS0_4arch9wavefront6targetE0EEEvS12_.num_vgpr, 0
	.set _ZN7rocprim17ROCPRIM_400000_NS6detail17trampoline_kernelINS0_13select_configILj256ELj13ELNS0_17block_load_methodE3ELS4_3ELS4_3ELNS0_20block_scan_algorithmE0ELj4294967295EEENS1_25partition_config_selectorILNS1_17partition_subalgoE4EjNS0_10empty_typeEbEEZZNS1_14partition_implILS8_4ELb0ES6_15HIP_vector_typeIjLj2EENS0_17counting_iteratorIjlEEPS9_SG_NS0_5tupleIJPjSI_NS0_16reverse_iteratorISI_EEEEENSH_IJSG_SG_SG_EEES9_SI_JZNS1_25segmented_radix_sort_implINS0_14default_configELb1EPKfPfPKlPlN2at6native12_GLOBAL__N_18offset_tEEE10hipError_tPvRmT1_PNSt15iterator_traitsIS12_E10value_typeET2_T3_PNS13_IS18_E10value_typeET4_jRbjT5_S1E_jjP12ihipStream_tbEUljE_ZNSN_ISO_Lb1ESQ_SR_ST_SU_SY_EESZ_S10_S11_S12_S16_S17_S18_S1B_S1C_jS1D_jS1E_S1E_jjS1G_bEUljE0_EEESZ_S10_S11_S18_S1C_S1E_T6_T7_T9_mT8_S1G_bDpT10_ENKUlT_T0_E_clISt17integral_constantIbLb0EES1T_IbLb1EEEEDaS1P_S1Q_EUlS1P_E_NS1_11comp_targetILNS1_3genE9ELNS1_11target_archE1100ELNS1_3gpuE3ELNS1_3repE0EEENS1_30default_config_static_selectorELNS0_4arch9wavefront6targetE0EEEvS12_.num_agpr, 0
	.set _ZN7rocprim17ROCPRIM_400000_NS6detail17trampoline_kernelINS0_13select_configILj256ELj13ELNS0_17block_load_methodE3ELS4_3ELS4_3ELNS0_20block_scan_algorithmE0ELj4294967295EEENS1_25partition_config_selectorILNS1_17partition_subalgoE4EjNS0_10empty_typeEbEEZZNS1_14partition_implILS8_4ELb0ES6_15HIP_vector_typeIjLj2EENS0_17counting_iteratorIjlEEPS9_SG_NS0_5tupleIJPjSI_NS0_16reverse_iteratorISI_EEEEENSH_IJSG_SG_SG_EEES9_SI_JZNS1_25segmented_radix_sort_implINS0_14default_configELb1EPKfPfPKlPlN2at6native12_GLOBAL__N_18offset_tEEE10hipError_tPvRmT1_PNSt15iterator_traitsIS12_E10value_typeET2_T3_PNS13_IS18_E10value_typeET4_jRbjT5_S1E_jjP12ihipStream_tbEUljE_ZNSN_ISO_Lb1ESQ_SR_ST_SU_SY_EESZ_S10_S11_S12_S16_S17_S18_S1B_S1C_jS1D_jS1E_S1E_jjS1G_bEUljE0_EEESZ_S10_S11_S18_S1C_S1E_T6_T7_T9_mT8_S1G_bDpT10_ENKUlT_T0_E_clISt17integral_constantIbLb0EES1T_IbLb1EEEEDaS1P_S1Q_EUlS1P_E_NS1_11comp_targetILNS1_3genE9ELNS1_11target_archE1100ELNS1_3gpuE3ELNS1_3repE0EEENS1_30default_config_static_selectorELNS0_4arch9wavefront6targetE0EEEvS12_.numbered_sgpr, 0
	.set _ZN7rocprim17ROCPRIM_400000_NS6detail17trampoline_kernelINS0_13select_configILj256ELj13ELNS0_17block_load_methodE3ELS4_3ELS4_3ELNS0_20block_scan_algorithmE0ELj4294967295EEENS1_25partition_config_selectorILNS1_17partition_subalgoE4EjNS0_10empty_typeEbEEZZNS1_14partition_implILS8_4ELb0ES6_15HIP_vector_typeIjLj2EENS0_17counting_iteratorIjlEEPS9_SG_NS0_5tupleIJPjSI_NS0_16reverse_iteratorISI_EEEEENSH_IJSG_SG_SG_EEES9_SI_JZNS1_25segmented_radix_sort_implINS0_14default_configELb1EPKfPfPKlPlN2at6native12_GLOBAL__N_18offset_tEEE10hipError_tPvRmT1_PNSt15iterator_traitsIS12_E10value_typeET2_T3_PNS13_IS18_E10value_typeET4_jRbjT5_S1E_jjP12ihipStream_tbEUljE_ZNSN_ISO_Lb1ESQ_SR_ST_SU_SY_EESZ_S10_S11_S12_S16_S17_S18_S1B_S1C_jS1D_jS1E_S1E_jjS1G_bEUljE0_EEESZ_S10_S11_S18_S1C_S1E_T6_T7_T9_mT8_S1G_bDpT10_ENKUlT_T0_E_clISt17integral_constantIbLb0EES1T_IbLb1EEEEDaS1P_S1Q_EUlS1P_E_NS1_11comp_targetILNS1_3genE9ELNS1_11target_archE1100ELNS1_3gpuE3ELNS1_3repE0EEENS1_30default_config_static_selectorELNS0_4arch9wavefront6targetE0EEEvS12_.num_named_barrier, 0
	.set _ZN7rocprim17ROCPRIM_400000_NS6detail17trampoline_kernelINS0_13select_configILj256ELj13ELNS0_17block_load_methodE3ELS4_3ELS4_3ELNS0_20block_scan_algorithmE0ELj4294967295EEENS1_25partition_config_selectorILNS1_17partition_subalgoE4EjNS0_10empty_typeEbEEZZNS1_14partition_implILS8_4ELb0ES6_15HIP_vector_typeIjLj2EENS0_17counting_iteratorIjlEEPS9_SG_NS0_5tupleIJPjSI_NS0_16reverse_iteratorISI_EEEEENSH_IJSG_SG_SG_EEES9_SI_JZNS1_25segmented_radix_sort_implINS0_14default_configELb1EPKfPfPKlPlN2at6native12_GLOBAL__N_18offset_tEEE10hipError_tPvRmT1_PNSt15iterator_traitsIS12_E10value_typeET2_T3_PNS13_IS18_E10value_typeET4_jRbjT5_S1E_jjP12ihipStream_tbEUljE_ZNSN_ISO_Lb1ESQ_SR_ST_SU_SY_EESZ_S10_S11_S12_S16_S17_S18_S1B_S1C_jS1D_jS1E_S1E_jjS1G_bEUljE0_EEESZ_S10_S11_S18_S1C_S1E_T6_T7_T9_mT8_S1G_bDpT10_ENKUlT_T0_E_clISt17integral_constantIbLb0EES1T_IbLb1EEEEDaS1P_S1Q_EUlS1P_E_NS1_11comp_targetILNS1_3genE9ELNS1_11target_archE1100ELNS1_3gpuE3ELNS1_3repE0EEENS1_30default_config_static_selectorELNS0_4arch9wavefront6targetE0EEEvS12_.private_seg_size, 0
	.set _ZN7rocprim17ROCPRIM_400000_NS6detail17trampoline_kernelINS0_13select_configILj256ELj13ELNS0_17block_load_methodE3ELS4_3ELS4_3ELNS0_20block_scan_algorithmE0ELj4294967295EEENS1_25partition_config_selectorILNS1_17partition_subalgoE4EjNS0_10empty_typeEbEEZZNS1_14partition_implILS8_4ELb0ES6_15HIP_vector_typeIjLj2EENS0_17counting_iteratorIjlEEPS9_SG_NS0_5tupleIJPjSI_NS0_16reverse_iteratorISI_EEEEENSH_IJSG_SG_SG_EEES9_SI_JZNS1_25segmented_radix_sort_implINS0_14default_configELb1EPKfPfPKlPlN2at6native12_GLOBAL__N_18offset_tEEE10hipError_tPvRmT1_PNSt15iterator_traitsIS12_E10value_typeET2_T3_PNS13_IS18_E10value_typeET4_jRbjT5_S1E_jjP12ihipStream_tbEUljE_ZNSN_ISO_Lb1ESQ_SR_ST_SU_SY_EESZ_S10_S11_S12_S16_S17_S18_S1B_S1C_jS1D_jS1E_S1E_jjS1G_bEUljE0_EEESZ_S10_S11_S18_S1C_S1E_T6_T7_T9_mT8_S1G_bDpT10_ENKUlT_T0_E_clISt17integral_constantIbLb0EES1T_IbLb1EEEEDaS1P_S1Q_EUlS1P_E_NS1_11comp_targetILNS1_3genE9ELNS1_11target_archE1100ELNS1_3gpuE3ELNS1_3repE0EEENS1_30default_config_static_selectorELNS0_4arch9wavefront6targetE0EEEvS12_.uses_vcc, 0
	.set _ZN7rocprim17ROCPRIM_400000_NS6detail17trampoline_kernelINS0_13select_configILj256ELj13ELNS0_17block_load_methodE3ELS4_3ELS4_3ELNS0_20block_scan_algorithmE0ELj4294967295EEENS1_25partition_config_selectorILNS1_17partition_subalgoE4EjNS0_10empty_typeEbEEZZNS1_14partition_implILS8_4ELb0ES6_15HIP_vector_typeIjLj2EENS0_17counting_iteratorIjlEEPS9_SG_NS0_5tupleIJPjSI_NS0_16reverse_iteratorISI_EEEEENSH_IJSG_SG_SG_EEES9_SI_JZNS1_25segmented_radix_sort_implINS0_14default_configELb1EPKfPfPKlPlN2at6native12_GLOBAL__N_18offset_tEEE10hipError_tPvRmT1_PNSt15iterator_traitsIS12_E10value_typeET2_T3_PNS13_IS18_E10value_typeET4_jRbjT5_S1E_jjP12ihipStream_tbEUljE_ZNSN_ISO_Lb1ESQ_SR_ST_SU_SY_EESZ_S10_S11_S12_S16_S17_S18_S1B_S1C_jS1D_jS1E_S1E_jjS1G_bEUljE0_EEESZ_S10_S11_S18_S1C_S1E_T6_T7_T9_mT8_S1G_bDpT10_ENKUlT_T0_E_clISt17integral_constantIbLb0EES1T_IbLb1EEEEDaS1P_S1Q_EUlS1P_E_NS1_11comp_targetILNS1_3genE9ELNS1_11target_archE1100ELNS1_3gpuE3ELNS1_3repE0EEENS1_30default_config_static_selectorELNS0_4arch9wavefront6targetE0EEEvS12_.uses_flat_scratch, 0
	.set _ZN7rocprim17ROCPRIM_400000_NS6detail17trampoline_kernelINS0_13select_configILj256ELj13ELNS0_17block_load_methodE3ELS4_3ELS4_3ELNS0_20block_scan_algorithmE0ELj4294967295EEENS1_25partition_config_selectorILNS1_17partition_subalgoE4EjNS0_10empty_typeEbEEZZNS1_14partition_implILS8_4ELb0ES6_15HIP_vector_typeIjLj2EENS0_17counting_iteratorIjlEEPS9_SG_NS0_5tupleIJPjSI_NS0_16reverse_iteratorISI_EEEEENSH_IJSG_SG_SG_EEES9_SI_JZNS1_25segmented_radix_sort_implINS0_14default_configELb1EPKfPfPKlPlN2at6native12_GLOBAL__N_18offset_tEEE10hipError_tPvRmT1_PNSt15iterator_traitsIS12_E10value_typeET2_T3_PNS13_IS18_E10value_typeET4_jRbjT5_S1E_jjP12ihipStream_tbEUljE_ZNSN_ISO_Lb1ESQ_SR_ST_SU_SY_EESZ_S10_S11_S12_S16_S17_S18_S1B_S1C_jS1D_jS1E_S1E_jjS1G_bEUljE0_EEESZ_S10_S11_S18_S1C_S1E_T6_T7_T9_mT8_S1G_bDpT10_ENKUlT_T0_E_clISt17integral_constantIbLb0EES1T_IbLb1EEEEDaS1P_S1Q_EUlS1P_E_NS1_11comp_targetILNS1_3genE9ELNS1_11target_archE1100ELNS1_3gpuE3ELNS1_3repE0EEENS1_30default_config_static_selectorELNS0_4arch9wavefront6targetE0EEEvS12_.has_dyn_sized_stack, 0
	.set _ZN7rocprim17ROCPRIM_400000_NS6detail17trampoline_kernelINS0_13select_configILj256ELj13ELNS0_17block_load_methodE3ELS4_3ELS4_3ELNS0_20block_scan_algorithmE0ELj4294967295EEENS1_25partition_config_selectorILNS1_17partition_subalgoE4EjNS0_10empty_typeEbEEZZNS1_14partition_implILS8_4ELb0ES6_15HIP_vector_typeIjLj2EENS0_17counting_iteratorIjlEEPS9_SG_NS0_5tupleIJPjSI_NS0_16reverse_iteratorISI_EEEEENSH_IJSG_SG_SG_EEES9_SI_JZNS1_25segmented_radix_sort_implINS0_14default_configELb1EPKfPfPKlPlN2at6native12_GLOBAL__N_18offset_tEEE10hipError_tPvRmT1_PNSt15iterator_traitsIS12_E10value_typeET2_T3_PNS13_IS18_E10value_typeET4_jRbjT5_S1E_jjP12ihipStream_tbEUljE_ZNSN_ISO_Lb1ESQ_SR_ST_SU_SY_EESZ_S10_S11_S12_S16_S17_S18_S1B_S1C_jS1D_jS1E_S1E_jjS1G_bEUljE0_EEESZ_S10_S11_S18_S1C_S1E_T6_T7_T9_mT8_S1G_bDpT10_ENKUlT_T0_E_clISt17integral_constantIbLb0EES1T_IbLb1EEEEDaS1P_S1Q_EUlS1P_E_NS1_11comp_targetILNS1_3genE9ELNS1_11target_archE1100ELNS1_3gpuE3ELNS1_3repE0EEENS1_30default_config_static_selectorELNS0_4arch9wavefront6targetE0EEEvS12_.has_recursion, 0
	.set _ZN7rocprim17ROCPRIM_400000_NS6detail17trampoline_kernelINS0_13select_configILj256ELj13ELNS0_17block_load_methodE3ELS4_3ELS4_3ELNS0_20block_scan_algorithmE0ELj4294967295EEENS1_25partition_config_selectorILNS1_17partition_subalgoE4EjNS0_10empty_typeEbEEZZNS1_14partition_implILS8_4ELb0ES6_15HIP_vector_typeIjLj2EENS0_17counting_iteratorIjlEEPS9_SG_NS0_5tupleIJPjSI_NS0_16reverse_iteratorISI_EEEEENSH_IJSG_SG_SG_EEES9_SI_JZNS1_25segmented_radix_sort_implINS0_14default_configELb1EPKfPfPKlPlN2at6native12_GLOBAL__N_18offset_tEEE10hipError_tPvRmT1_PNSt15iterator_traitsIS12_E10value_typeET2_T3_PNS13_IS18_E10value_typeET4_jRbjT5_S1E_jjP12ihipStream_tbEUljE_ZNSN_ISO_Lb1ESQ_SR_ST_SU_SY_EESZ_S10_S11_S12_S16_S17_S18_S1B_S1C_jS1D_jS1E_S1E_jjS1G_bEUljE0_EEESZ_S10_S11_S18_S1C_S1E_T6_T7_T9_mT8_S1G_bDpT10_ENKUlT_T0_E_clISt17integral_constantIbLb0EES1T_IbLb1EEEEDaS1P_S1Q_EUlS1P_E_NS1_11comp_targetILNS1_3genE9ELNS1_11target_archE1100ELNS1_3gpuE3ELNS1_3repE0EEENS1_30default_config_static_selectorELNS0_4arch9wavefront6targetE0EEEvS12_.has_indirect_call, 0
	.section	.AMDGPU.csdata,"",@progbits
; Kernel info:
; codeLenInByte = 0
; TotalNumSgprs: 0
; NumVgprs: 0
; ScratchSize: 0
; MemoryBound: 0
; FloatMode: 240
; IeeeMode: 1
; LDSByteSize: 0 bytes/workgroup (compile time only)
; SGPRBlocks: 0
; VGPRBlocks: 0
; NumSGPRsForWavesPerEU: 1
; NumVGPRsForWavesPerEU: 1
; NamedBarCnt: 0
; Occupancy: 16
; WaveLimiterHint : 0
; COMPUTE_PGM_RSRC2:SCRATCH_EN: 0
; COMPUTE_PGM_RSRC2:USER_SGPR: 2
; COMPUTE_PGM_RSRC2:TRAP_HANDLER: 0
; COMPUTE_PGM_RSRC2:TGID_X_EN: 1
; COMPUTE_PGM_RSRC2:TGID_Y_EN: 0
; COMPUTE_PGM_RSRC2:TGID_Z_EN: 0
; COMPUTE_PGM_RSRC2:TIDIG_COMP_CNT: 0
	.section	.text._ZN7rocprim17ROCPRIM_400000_NS6detail17trampoline_kernelINS0_13select_configILj256ELj13ELNS0_17block_load_methodE3ELS4_3ELS4_3ELNS0_20block_scan_algorithmE0ELj4294967295EEENS1_25partition_config_selectorILNS1_17partition_subalgoE4EjNS0_10empty_typeEbEEZZNS1_14partition_implILS8_4ELb0ES6_15HIP_vector_typeIjLj2EENS0_17counting_iteratorIjlEEPS9_SG_NS0_5tupleIJPjSI_NS0_16reverse_iteratorISI_EEEEENSH_IJSG_SG_SG_EEES9_SI_JZNS1_25segmented_radix_sort_implINS0_14default_configELb1EPKfPfPKlPlN2at6native12_GLOBAL__N_18offset_tEEE10hipError_tPvRmT1_PNSt15iterator_traitsIS12_E10value_typeET2_T3_PNS13_IS18_E10value_typeET4_jRbjT5_S1E_jjP12ihipStream_tbEUljE_ZNSN_ISO_Lb1ESQ_SR_ST_SU_SY_EESZ_S10_S11_S12_S16_S17_S18_S1B_S1C_jS1D_jS1E_S1E_jjS1G_bEUljE0_EEESZ_S10_S11_S18_S1C_S1E_T6_T7_T9_mT8_S1G_bDpT10_ENKUlT_T0_E_clISt17integral_constantIbLb0EES1T_IbLb1EEEEDaS1P_S1Q_EUlS1P_E_NS1_11comp_targetILNS1_3genE8ELNS1_11target_archE1030ELNS1_3gpuE2ELNS1_3repE0EEENS1_30default_config_static_selectorELNS0_4arch9wavefront6targetE0EEEvS12_,"axG",@progbits,_ZN7rocprim17ROCPRIM_400000_NS6detail17trampoline_kernelINS0_13select_configILj256ELj13ELNS0_17block_load_methodE3ELS4_3ELS4_3ELNS0_20block_scan_algorithmE0ELj4294967295EEENS1_25partition_config_selectorILNS1_17partition_subalgoE4EjNS0_10empty_typeEbEEZZNS1_14partition_implILS8_4ELb0ES6_15HIP_vector_typeIjLj2EENS0_17counting_iteratorIjlEEPS9_SG_NS0_5tupleIJPjSI_NS0_16reverse_iteratorISI_EEEEENSH_IJSG_SG_SG_EEES9_SI_JZNS1_25segmented_radix_sort_implINS0_14default_configELb1EPKfPfPKlPlN2at6native12_GLOBAL__N_18offset_tEEE10hipError_tPvRmT1_PNSt15iterator_traitsIS12_E10value_typeET2_T3_PNS13_IS18_E10value_typeET4_jRbjT5_S1E_jjP12ihipStream_tbEUljE_ZNSN_ISO_Lb1ESQ_SR_ST_SU_SY_EESZ_S10_S11_S12_S16_S17_S18_S1B_S1C_jS1D_jS1E_S1E_jjS1G_bEUljE0_EEESZ_S10_S11_S18_S1C_S1E_T6_T7_T9_mT8_S1G_bDpT10_ENKUlT_T0_E_clISt17integral_constantIbLb0EES1T_IbLb1EEEEDaS1P_S1Q_EUlS1P_E_NS1_11comp_targetILNS1_3genE8ELNS1_11target_archE1030ELNS1_3gpuE2ELNS1_3repE0EEENS1_30default_config_static_selectorELNS0_4arch9wavefront6targetE0EEEvS12_,comdat
	.globl	_ZN7rocprim17ROCPRIM_400000_NS6detail17trampoline_kernelINS0_13select_configILj256ELj13ELNS0_17block_load_methodE3ELS4_3ELS4_3ELNS0_20block_scan_algorithmE0ELj4294967295EEENS1_25partition_config_selectorILNS1_17partition_subalgoE4EjNS0_10empty_typeEbEEZZNS1_14partition_implILS8_4ELb0ES6_15HIP_vector_typeIjLj2EENS0_17counting_iteratorIjlEEPS9_SG_NS0_5tupleIJPjSI_NS0_16reverse_iteratorISI_EEEEENSH_IJSG_SG_SG_EEES9_SI_JZNS1_25segmented_radix_sort_implINS0_14default_configELb1EPKfPfPKlPlN2at6native12_GLOBAL__N_18offset_tEEE10hipError_tPvRmT1_PNSt15iterator_traitsIS12_E10value_typeET2_T3_PNS13_IS18_E10value_typeET4_jRbjT5_S1E_jjP12ihipStream_tbEUljE_ZNSN_ISO_Lb1ESQ_SR_ST_SU_SY_EESZ_S10_S11_S12_S16_S17_S18_S1B_S1C_jS1D_jS1E_S1E_jjS1G_bEUljE0_EEESZ_S10_S11_S18_S1C_S1E_T6_T7_T9_mT8_S1G_bDpT10_ENKUlT_T0_E_clISt17integral_constantIbLb0EES1T_IbLb1EEEEDaS1P_S1Q_EUlS1P_E_NS1_11comp_targetILNS1_3genE8ELNS1_11target_archE1030ELNS1_3gpuE2ELNS1_3repE0EEENS1_30default_config_static_selectorELNS0_4arch9wavefront6targetE0EEEvS12_ ; -- Begin function _ZN7rocprim17ROCPRIM_400000_NS6detail17trampoline_kernelINS0_13select_configILj256ELj13ELNS0_17block_load_methodE3ELS4_3ELS4_3ELNS0_20block_scan_algorithmE0ELj4294967295EEENS1_25partition_config_selectorILNS1_17partition_subalgoE4EjNS0_10empty_typeEbEEZZNS1_14partition_implILS8_4ELb0ES6_15HIP_vector_typeIjLj2EENS0_17counting_iteratorIjlEEPS9_SG_NS0_5tupleIJPjSI_NS0_16reverse_iteratorISI_EEEEENSH_IJSG_SG_SG_EEES9_SI_JZNS1_25segmented_radix_sort_implINS0_14default_configELb1EPKfPfPKlPlN2at6native12_GLOBAL__N_18offset_tEEE10hipError_tPvRmT1_PNSt15iterator_traitsIS12_E10value_typeET2_T3_PNS13_IS18_E10value_typeET4_jRbjT5_S1E_jjP12ihipStream_tbEUljE_ZNSN_ISO_Lb1ESQ_SR_ST_SU_SY_EESZ_S10_S11_S12_S16_S17_S18_S1B_S1C_jS1D_jS1E_S1E_jjS1G_bEUljE0_EEESZ_S10_S11_S18_S1C_S1E_T6_T7_T9_mT8_S1G_bDpT10_ENKUlT_T0_E_clISt17integral_constantIbLb0EES1T_IbLb1EEEEDaS1P_S1Q_EUlS1P_E_NS1_11comp_targetILNS1_3genE8ELNS1_11target_archE1030ELNS1_3gpuE2ELNS1_3repE0EEENS1_30default_config_static_selectorELNS0_4arch9wavefront6targetE0EEEvS12_
	.p2align	8
	.type	_ZN7rocprim17ROCPRIM_400000_NS6detail17trampoline_kernelINS0_13select_configILj256ELj13ELNS0_17block_load_methodE3ELS4_3ELS4_3ELNS0_20block_scan_algorithmE0ELj4294967295EEENS1_25partition_config_selectorILNS1_17partition_subalgoE4EjNS0_10empty_typeEbEEZZNS1_14partition_implILS8_4ELb0ES6_15HIP_vector_typeIjLj2EENS0_17counting_iteratorIjlEEPS9_SG_NS0_5tupleIJPjSI_NS0_16reverse_iteratorISI_EEEEENSH_IJSG_SG_SG_EEES9_SI_JZNS1_25segmented_radix_sort_implINS0_14default_configELb1EPKfPfPKlPlN2at6native12_GLOBAL__N_18offset_tEEE10hipError_tPvRmT1_PNSt15iterator_traitsIS12_E10value_typeET2_T3_PNS13_IS18_E10value_typeET4_jRbjT5_S1E_jjP12ihipStream_tbEUljE_ZNSN_ISO_Lb1ESQ_SR_ST_SU_SY_EESZ_S10_S11_S12_S16_S17_S18_S1B_S1C_jS1D_jS1E_S1E_jjS1G_bEUljE0_EEESZ_S10_S11_S18_S1C_S1E_T6_T7_T9_mT8_S1G_bDpT10_ENKUlT_T0_E_clISt17integral_constantIbLb0EES1T_IbLb1EEEEDaS1P_S1Q_EUlS1P_E_NS1_11comp_targetILNS1_3genE8ELNS1_11target_archE1030ELNS1_3gpuE2ELNS1_3repE0EEENS1_30default_config_static_selectorELNS0_4arch9wavefront6targetE0EEEvS12_,@function
_ZN7rocprim17ROCPRIM_400000_NS6detail17trampoline_kernelINS0_13select_configILj256ELj13ELNS0_17block_load_methodE3ELS4_3ELS4_3ELNS0_20block_scan_algorithmE0ELj4294967295EEENS1_25partition_config_selectorILNS1_17partition_subalgoE4EjNS0_10empty_typeEbEEZZNS1_14partition_implILS8_4ELb0ES6_15HIP_vector_typeIjLj2EENS0_17counting_iteratorIjlEEPS9_SG_NS0_5tupleIJPjSI_NS0_16reverse_iteratorISI_EEEEENSH_IJSG_SG_SG_EEES9_SI_JZNS1_25segmented_radix_sort_implINS0_14default_configELb1EPKfPfPKlPlN2at6native12_GLOBAL__N_18offset_tEEE10hipError_tPvRmT1_PNSt15iterator_traitsIS12_E10value_typeET2_T3_PNS13_IS18_E10value_typeET4_jRbjT5_S1E_jjP12ihipStream_tbEUljE_ZNSN_ISO_Lb1ESQ_SR_ST_SU_SY_EESZ_S10_S11_S12_S16_S17_S18_S1B_S1C_jS1D_jS1E_S1E_jjS1G_bEUljE0_EEESZ_S10_S11_S18_S1C_S1E_T6_T7_T9_mT8_S1G_bDpT10_ENKUlT_T0_E_clISt17integral_constantIbLb0EES1T_IbLb1EEEEDaS1P_S1Q_EUlS1P_E_NS1_11comp_targetILNS1_3genE8ELNS1_11target_archE1030ELNS1_3gpuE2ELNS1_3repE0EEENS1_30default_config_static_selectorELNS0_4arch9wavefront6targetE0EEEvS12_: ; @_ZN7rocprim17ROCPRIM_400000_NS6detail17trampoline_kernelINS0_13select_configILj256ELj13ELNS0_17block_load_methodE3ELS4_3ELS4_3ELNS0_20block_scan_algorithmE0ELj4294967295EEENS1_25partition_config_selectorILNS1_17partition_subalgoE4EjNS0_10empty_typeEbEEZZNS1_14partition_implILS8_4ELb0ES6_15HIP_vector_typeIjLj2EENS0_17counting_iteratorIjlEEPS9_SG_NS0_5tupleIJPjSI_NS0_16reverse_iteratorISI_EEEEENSH_IJSG_SG_SG_EEES9_SI_JZNS1_25segmented_radix_sort_implINS0_14default_configELb1EPKfPfPKlPlN2at6native12_GLOBAL__N_18offset_tEEE10hipError_tPvRmT1_PNSt15iterator_traitsIS12_E10value_typeET2_T3_PNS13_IS18_E10value_typeET4_jRbjT5_S1E_jjP12ihipStream_tbEUljE_ZNSN_ISO_Lb1ESQ_SR_ST_SU_SY_EESZ_S10_S11_S12_S16_S17_S18_S1B_S1C_jS1D_jS1E_S1E_jjS1G_bEUljE0_EEESZ_S10_S11_S18_S1C_S1E_T6_T7_T9_mT8_S1G_bDpT10_ENKUlT_T0_E_clISt17integral_constantIbLb0EES1T_IbLb1EEEEDaS1P_S1Q_EUlS1P_E_NS1_11comp_targetILNS1_3genE8ELNS1_11target_archE1030ELNS1_3gpuE2ELNS1_3repE0EEENS1_30default_config_static_selectorELNS0_4arch9wavefront6targetE0EEEvS12_
; %bb.0:
	.section	.rodata,"a",@progbits
	.p2align	6, 0x0
	.amdhsa_kernel _ZN7rocprim17ROCPRIM_400000_NS6detail17trampoline_kernelINS0_13select_configILj256ELj13ELNS0_17block_load_methodE3ELS4_3ELS4_3ELNS0_20block_scan_algorithmE0ELj4294967295EEENS1_25partition_config_selectorILNS1_17partition_subalgoE4EjNS0_10empty_typeEbEEZZNS1_14partition_implILS8_4ELb0ES6_15HIP_vector_typeIjLj2EENS0_17counting_iteratorIjlEEPS9_SG_NS0_5tupleIJPjSI_NS0_16reverse_iteratorISI_EEEEENSH_IJSG_SG_SG_EEES9_SI_JZNS1_25segmented_radix_sort_implINS0_14default_configELb1EPKfPfPKlPlN2at6native12_GLOBAL__N_18offset_tEEE10hipError_tPvRmT1_PNSt15iterator_traitsIS12_E10value_typeET2_T3_PNS13_IS18_E10value_typeET4_jRbjT5_S1E_jjP12ihipStream_tbEUljE_ZNSN_ISO_Lb1ESQ_SR_ST_SU_SY_EESZ_S10_S11_S12_S16_S17_S18_S1B_S1C_jS1D_jS1E_S1E_jjS1G_bEUljE0_EEESZ_S10_S11_S18_S1C_S1E_T6_T7_T9_mT8_S1G_bDpT10_ENKUlT_T0_E_clISt17integral_constantIbLb0EES1T_IbLb1EEEEDaS1P_S1Q_EUlS1P_E_NS1_11comp_targetILNS1_3genE8ELNS1_11target_archE1030ELNS1_3gpuE2ELNS1_3repE0EEENS1_30default_config_static_selectorELNS0_4arch9wavefront6targetE0EEEvS12_
		.amdhsa_group_segment_fixed_size 0
		.amdhsa_private_segment_fixed_size 0
		.amdhsa_kernarg_size 184
		.amdhsa_user_sgpr_count 2
		.amdhsa_user_sgpr_dispatch_ptr 0
		.amdhsa_user_sgpr_queue_ptr 0
		.amdhsa_user_sgpr_kernarg_segment_ptr 1
		.amdhsa_user_sgpr_dispatch_id 0
		.amdhsa_user_sgpr_kernarg_preload_length 0
		.amdhsa_user_sgpr_kernarg_preload_offset 0
		.amdhsa_user_sgpr_private_segment_size 0
		.amdhsa_wavefront_size32 1
		.amdhsa_uses_dynamic_stack 0
		.amdhsa_enable_private_segment 0
		.amdhsa_system_sgpr_workgroup_id_x 1
		.amdhsa_system_sgpr_workgroup_id_y 0
		.amdhsa_system_sgpr_workgroup_id_z 0
		.amdhsa_system_sgpr_workgroup_info 0
		.amdhsa_system_vgpr_workitem_id 0
		.amdhsa_next_free_vgpr 1
		.amdhsa_next_free_sgpr 1
		.amdhsa_named_barrier_count 0
		.amdhsa_reserve_vcc 0
		.amdhsa_float_round_mode_32 0
		.amdhsa_float_round_mode_16_64 0
		.amdhsa_float_denorm_mode_32 3
		.amdhsa_float_denorm_mode_16_64 3
		.amdhsa_fp16_overflow 0
		.amdhsa_memory_ordered 1
		.amdhsa_forward_progress 1
		.amdhsa_inst_pref_size 0
		.amdhsa_round_robin_scheduling 0
		.amdhsa_exception_fp_ieee_invalid_op 0
		.amdhsa_exception_fp_denorm_src 0
		.amdhsa_exception_fp_ieee_div_zero 0
		.amdhsa_exception_fp_ieee_overflow 0
		.amdhsa_exception_fp_ieee_underflow 0
		.amdhsa_exception_fp_ieee_inexact 0
		.amdhsa_exception_int_div_zero 0
	.end_amdhsa_kernel
	.section	.text._ZN7rocprim17ROCPRIM_400000_NS6detail17trampoline_kernelINS0_13select_configILj256ELj13ELNS0_17block_load_methodE3ELS4_3ELS4_3ELNS0_20block_scan_algorithmE0ELj4294967295EEENS1_25partition_config_selectorILNS1_17partition_subalgoE4EjNS0_10empty_typeEbEEZZNS1_14partition_implILS8_4ELb0ES6_15HIP_vector_typeIjLj2EENS0_17counting_iteratorIjlEEPS9_SG_NS0_5tupleIJPjSI_NS0_16reverse_iteratorISI_EEEEENSH_IJSG_SG_SG_EEES9_SI_JZNS1_25segmented_radix_sort_implINS0_14default_configELb1EPKfPfPKlPlN2at6native12_GLOBAL__N_18offset_tEEE10hipError_tPvRmT1_PNSt15iterator_traitsIS12_E10value_typeET2_T3_PNS13_IS18_E10value_typeET4_jRbjT5_S1E_jjP12ihipStream_tbEUljE_ZNSN_ISO_Lb1ESQ_SR_ST_SU_SY_EESZ_S10_S11_S12_S16_S17_S18_S1B_S1C_jS1D_jS1E_S1E_jjS1G_bEUljE0_EEESZ_S10_S11_S18_S1C_S1E_T6_T7_T9_mT8_S1G_bDpT10_ENKUlT_T0_E_clISt17integral_constantIbLb0EES1T_IbLb1EEEEDaS1P_S1Q_EUlS1P_E_NS1_11comp_targetILNS1_3genE8ELNS1_11target_archE1030ELNS1_3gpuE2ELNS1_3repE0EEENS1_30default_config_static_selectorELNS0_4arch9wavefront6targetE0EEEvS12_,"axG",@progbits,_ZN7rocprim17ROCPRIM_400000_NS6detail17trampoline_kernelINS0_13select_configILj256ELj13ELNS0_17block_load_methodE3ELS4_3ELS4_3ELNS0_20block_scan_algorithmE0ELj4294967295EEENS1_25partition_config_selectorILNS1_17partition_subalgoE4EjNS0_10empty_typeEbEEZZNS1_14partition_implILS8_4ELb0ES6_15HIP_vector_typeIjLj2EENS0_17counting_iteratorIjlEEPS9_SG_NS0_5tupleIJPjSI_NS0_16reverse_iteratorISI_EEEEENSH_IJSG_SG_SG_EEES9_SI_JZNS1_25segmented_radix_sort_implINS0_14default_configELb1EPKfPfPKlPlN2at6native12_GLOBAL__N_18offset_tEEE10hipError_tPvRmT1_PNSt15iterator_traitsIS12_E10value_typeET2_T3_PNS13_IS18_E10value_typeET4_jRbjT5_S1E_jjP12ihipStream_tbEUljE_ZNSN_ISO_Lb1ESQ_SR_ST_SU_SY_EESZ_S10_S11_S12_S16_S17_S18_S1B_S1C_jS1D_jS1E_S1E_jjS1G_bEUljE0_EEESZ_S10_S11_S18_S1C_S1E_T6_T7_T9_mT8_S1G_bDpT10_ENKUlT_T0_E_clISt17integral_constantIbLb0EES1T_IbLb1EEEEDaS1P_S1Q_EUlS1P_E_NS1_11comp_targetILNS1_3genE8ELNS1_11target_archE1030ELNS1_3gpuE2ELNS1_3repE0EEENS1_30default_config_static_selectorELNS0_4arch9wavefront6targetE0EEEvS12_,comdat
.Lfunc_end1286:
	.size	_ZN7rocprim17ROCPRIM_400000_NS6detail17trampoline_kernelINS0_13select_configILj256ELj13ELNS0_17block_load_methodE3ELS4_3ELS4_3ELNS0_20block_scan_algorithmE0ELj4294967295EEENS1_25partition_config_selectorILNS1_17partition_subalgoE4EjNS0_10empty_typeEbEEZZNS1_14partition_implILS8_4ELb0ES6_15HIP_vector_typeIjLj2EENS0_17counting_iteratorIjlEEPS9_SG_NS0_5tupleIJPjSI_NS0_16reverse_iteratorISI_EEEEENSH_IJSG_SG_SG_EEES9_SI_JZNS1_25segmented_radix_sort_implINS0_14default_configELb1EPKfPfPKlPlN2at6native12_GLOBAL__N_18offset_tEEE10hipError_tPvRmT1_PNSt15iterator_traitsIS12_E10value_typeET2_T3_PNS13_IS18_E10value_typeET4_jRbjT5_S1E_jjP12ihipStream_tbEUljE_ZNSN_ISO_Lb1ESQ_SR_ST_SU_SY_EESZ_S10_S11_S12_S16_S17_S18_S1B_S1C_jS1D_jS1E_S1E_jjS1G_bEUljE0_EEESZ_S10_S11_S18_S1C_S1E_T6_T7_T9_mT8_S1G_bDpT10_ENKUlT_T0_E_clISt17integral_constantIbLb0EES1T_IbLb1EEEEDaS1P_S1Q_EUlS1P_E_NS1_11comp_targetILNS1_3genE8ELNS1_11target_archE1030ELNS1_3gpuE2ELNS1_3repE0EEENS1_30default_config_static_selectorELNS0_4arch9wavefront6targetE0EEEvS12_, .Lfunc_end1286-_ZN7rocprim17ROCPRIM_400000_NS6detail17trampoline_kernelINS0_13select_configILj256ELj13ELNS0_17block_load_methodE3ELS4_3ELS4_3ELNS0_20block_scan_algorithmE0ELj4294967295EEENS1_25partition_config_selectorILNS1_17partition_subalgoE4EjNS0_10empty_typeEbEEZZNS1_14partition_implILS8_4ELb0ES6_15HIP_vector_typeIjLj2EENS0_17counting_iteratorIjlEEPS9_SG_NS0_5tupleIJPjSI_NS0_16reverse_iteratorISI_EEEEENSH_IJSG_SG_SG_EEES9_SI_JZNS1_25segmented_radix_sort_implINS0_14default_configELb1EPKfPfPKlPlN2at6native12_GLOBAL__N_18offset_tEEE10hipError_tPvRmT1_PNSt15iterator_traitsIS12_E10value_typeET2_T3_PNS13_IS18_E10value_typeET4_jRbjT5_S1E_jjP12ihipStream_tbEUljE_ZNSN_ISO_Lb1ESQ_SR_ST_SU_SY_EESZ_S10_S11_S12_S16_S17_S18_S1B_S1C_jS1D_jS1E_S1E_jjS1G_bEUljE0_EEESZ_S10_S11_S18_S1C_S1E_T6_T7_T9_mT8_S1G_bDpT10_ENKUlT_T0_E_clISt17integral_constantIbLb0EES1T_IbLb1EEEEDaS1P_S1Q_EUlS1P_E_NS1_11comp_targetILNS1_3genE8ELNS1_11target_archE1030ELNS1_3gpuE2ELNS1_3repE0EEENS1_30default_config_static_selectorELNS0_4arch9wavefront6targetE0EEEvS12_
                                        ; -- End function
	.set _ZN7rocprim17ROCPRIM_400000_NS6detail17trampoline_kernelINS0_13select_configILj256ELj13ELNS0_17block_load_methodE3ELS4_3ELS4_3ELNS0_20block_scan_algorithmE0ELj4294967295EEENS1_25partition_config_selectorILNS1_17partition_subalgoE4EjNS0_10empty_typeEbEEZZNS1_14partition_implILS8_4ELb0ES6_15HIP_vector_typeIjLj2EENS0_17counting_iteratorIjlEEPS9_SG_NS0_5tupleIJPjSI_NS0_16reverse_iteratorISI_EEEEENSH_IJSG_SG_SG_EEES9_SI_JZNS1_25segmented_radix_sort_implINS0_14default_configELb1EPKfPfPKlPlN2at6native12_GLOBAL__N_18offset_tEEE10hipError_tPvRmT1_PNSt15iterator_traitsIS12_E10value_typeET2_T3_PNS13_IS18_E10value_typeET4_jRbjT5_S1E_jjP12ihipStream_tbEUljE_ZNSN_ISO_Lb1ESQ_SR_ST_SU_SY_EESZ_S10_S11_S12_S16_S17_S18_S1B_S1C_jS1D_jS1E_S1E_jjS1G_bEUljE0_EEESZ_S10_S11_S18_S1C_S1E_T6_T7_T9_mT8_S1G_bDpT10_ENKUlT_T0_E_clISt17integral_constantIbLb0EES1T_IbLb1EEEEDaS1P_S1Q_EUlS1P_E_NS1_11comp_targetILNS1_3genE8ELNS1_11target_archE1030ELNS1_3gpuE2ELNS1_3repE0EEENS1_30default_config_static_selectorELNS0_4arch9wavefront6targetE0EEEvS12_.num_vgpr, 0
	.set _ZN7rocprim17ROCPRIM_400000_NS6detail17trampoline_kernelINS0_13select_configILj256ELj13ELNS0_17block_load_methodE3ELS4_3ELS4_3ELNS0_20block_scan_algorithmE0ELj4294967295EEENS1_25partition_config_selectorILNS1_17partition_subalgoE4EjNS0_10empty_typeEbEEZZNS1_14partition_implILS8_4ELb0ES6_15HIP_vector_typeIjLj2EENS0_17counting_iteratorIjlEEPS9_SG_NS0_5tupleIJPjSI_NS0_16reverse_iteratorISI_EEEEENSH_IJSG_SG_SG_EEES9_SI_JZNS1_25segmented_radix_sort_implINS0_14default_configELb1EPKfPfPKlPlN2at6native12_GLOBAL__N_18offset_tEEE10hipError_tPvRmT1_PNSt15iterator_traitsIS12_E10value_typeET2_T3_PNS13_IS18_E10value_typeET4_jRbjT5_S1E_jjP12ihipStream_tbEUljE_ZNSN_ISO_Lb1ESQ_SR_ST_SU_SY_EESZ_S10_S11_S12_S16_S17_S18_S1B_S1C_jS1D_jS1E_S1E_jjS1G_bEUljE0_EEESZ_S10_S11_S18_S1C_S1E_T6_T7_T9_mT8_S1G_bDpT10_ENKUlT_T0_E_clISt17integral_constantIbLb0EES1T_IbLb1EEEEDaS1P_S1Q_EUlS1P_E_NS1_11comp_targetILNS1_3genE8ELNS1_11target_archE1030ELNS1_3gpuE2ELNS1_3repE0EEENS1_30default_config_static_selectorELNS0_4arch9wavefront6targetE0EEEvS12_.num_agpr, 0
	.set _ZN7rocprim17ROCPRIM_400000_NS6detail17trampoline_kernelINS0_13select_configILj256ELj13ELNS0_17block_load_methodE3ELS4_3ELS4_3ELNS0_20block_scan_algorithmE0ELj4294967295EEENS1_25partition_config_selectorILNS1_17partition_subalgoE4EjNS0_10empty_typeEbEEZZNS1_14partition_implILS8_4ELb0ES6_15HIP_vector_typeIjLj2EENS0_17counting_iteratorIjlEEPS9_SG_NS0_5tupleIJPjSI_NS0_16reverse_iteratorISI_EEEEENSH_IJSG_SG_SG_EEES9_SI_JZNS1_25segmented_radix_sort_implINS0_14default_configELb1EPKfPfPKlPlN2at6native12_GLOBAL__N_18offset_tEEE10hipError_tPvRmT1_PNSt15iterator_traitsIS12_E10value_typeET2_T3_PNS13_IS18_E10value_typeET4_jRbjT5_S1E_jjP12ihipStream_tbEUljE_ZNSN_ISO_Lb1ESQ_SR_ST_SU_SY_EESZ_S10_S11_S12_S16_S17_S18_S1B_S1C_jS1D_jS1E_S1E_jjS1G_bEUljE0_EEESZ_S10_S11_S18_S1C_S1E_T6_T7_T9_mT8_S1G_bDpT10_ENKUlT_T0_E_clISt17integral_constantIbLb0EES1T_IbLb1EEEEDaS1P_S1Q_EUlS1P_E_NS1_11comp_targetILNS1_3genE8ELNS1_11target_archE1030ELNS1_3gpuE2ELNS1_3repE0EEENS1_30default_config_static_selectorELNS0_4arch9wavefront6targetE0EEEvS12_.numbered_sgpr, 0
	.set _ZN7rocprim17ROCPRIM_400000_NS6detail17trampoline_kernelINS0_13select_configILj256ELj13ELNS0_17block_load_methodE3ELS4_3ELS4_3ELNS0_20block_scan_algorithmE0ELj4294967295EEENS1_25partition_config_selectorILNS1_17partition_subalgoE4EjNS0_10empty_typeEbEEZZNS1_14partition_implILS8_4ELb0ES6_15HIP_vector_typeIjLj2EENS0_17counting_iteratorIjlEEPS9_SG_NS0_5tupleIJPjSI_NS0_16reverse_iteratorISI_EEEEENSH_IJSG_SG_SG_EEES9_SI_JZNS1_25segmented_radix_sort_implINS0_14default_configELb1EPKfPfPKlPlN2at6native12_GLOBAL__N_18offset_tEEE10hipError_tPvRmT1_PNSt15iterator_traitsIS12_E10value_typeET2_T3_PNS13_IS18_E10value_typeET4_jRbjT5_S1E_jjP12ihipStream_tbEUljE_ZNSN_ISO_Lb1ESQ_SR_ST_SU_SY_EESZ_S10_S11_S12_S16_S17_S18_S1B_S1C_jS1D_jS1E_S1E_jjS1G_bEUljE0_EEESZ_S10_S11_S18_S1C_S1E_T6_T7_T9_mT8_S1G_bDpT10_ENKUlT_T0_E_clISt17integral_constantIbLb0EES1T_IbLb1EEEEDaS1P_S1Q_EUlS1P_E_NS1_11comp_targetILNS1_3genE8ELNS1_11target_archE1030ELNS1_3gpuE2ELNS1_3repE0EEENS1_30default_config_static_selectorELNS0_4arch9wavefront6targetE0EEEvS12_.num_named_barrier, 0
	.set _ZN7rocprim17ROCPRIM_400000_NS6detail17trampoline_kernelINS0_13select_configILj256ELj13ELNS0_17block_load_methodE3ELS4_3ELS4_3ELNS0_20block_scan_algorithmE0ELj4294967295EEENS1_25partition_config_selectorILNS1_17partition_subalgoE4EjNS0_10empty_typeEbEEZZNS1_14partition_implILS8_4ELb0ES6_15HIP_vector_typeIjLj2EENS0_17counting_iteratorIjlEEPS9_SG_NS0_5tupleIJPjSI_NS0_16reverse_iteratorISI_EEEEENSH_IJSG_SG_SG_EEES9_SI_JZNS1_25segmented_radix_sort_implINS0_14default_configELb1EPKfPfPKlPlN2at6native12_GLOBAL__N_18offset_tEEE10hipError_tPvRmT1_PNSt15iterator_traitsIS12_E10value_typeET2_T3_PNS13_IS18_E10value_typeET4_jRbjT5_S1E_jjP12ihipStream_tbEUljE_ZNSN_ISO_Lb1ESQ_SR_ST_SU_SY_EESZ_S10_S11_S12_S16_S17_S18_S1B_S1C_jS1D_jS1E_S1E_jjS1G_bEUljE0_EEESZ_S10_S11_S18_S1C_S1E_T6_T7_T9_mT8_S1G_bDpT10_ENKUlT_T0_E_clISt17integral_constantIbLb0EES1T_IbLb1EEEEDaS1P_S1Q_EUlS1P_E_NS1_11comp_targetILNS1_3genE8ELNS1_11target_archE1030ELNS1_3gpuE2ELNS1_3repE0EEENS1_30default_config_static_selectorELNS0_4arch9wavefront6targetE0EEEvS12_.private_seg_size, 0
	.set _ZN7rocprim17ROCPRIM_400000_NS6detail17trampoline_kernelINS0_13select_configILj256ELj13ELNS0_17block_load_methodE3ELS4_3ELS4_3ELNS0_20block_scan_algorithmE0ELj4294967295EEENS1_25partition_config_selectorILNS1_17partition_subalgoE4EjNS0_10empty_typeEbEEZZNS1_14partition_implILS8_4ELb0ES6_15HIP_vector_typeIjLj2EENS0_17counting_iteratorIjlEEPS9_SG_NS0_5tupleIJPjSI_NS0_16reverse_iteratorISI_EEEEENSH_IJSG_SG_SG_EEES9_SI_JZNS1_25segmented_radix_sort_implINS0_14default_configELb1EPKfPfPKlPlN2at6native12_GLOBAL__N_18offset_tEEE10hipError_tPvRmT1_PNSt15iterator_traitsIS12_E10value_typeET2_T3_PNS13_IS18_E10value_typeET4_jRbjT5_S1E_jjP12ihipStream_tbEUljE_ZNSN_ISO_Lb1ESQ_SR_ST_SU_SY_EESZ_S10_S11_S12_S16_S17_S18_S1B_S1C_jS1D_jS1E_S1E_jjS1G_bEUljE0_EEESZ_S10_S11_S18_S1C_S1E_T6_T7_T9_mT8_S1G_bDpT10_ENKUlT_T0_E_clISt17integral_constantIbLb0EES1T_IbLb1EEEEDaS1P_S1Q_EUlS1P_E_NS1_11comp_targetILNS1_3genE8ELNS1_11target_archE1030ELNS1_3gpuE2ELNS1_3repE0EEENS1_30default_config_static_selectorELNS0_4arch9wavefront6targetE0EEEvS12_.uses_vcc, 0
	.set _ZN7rocprim17ROCPRIM_400000_NS6detail17trampoline_kernelINS0_13select_configILj256ELj13ELNS0_17block_load_methodE3ELS4_3ELS4_3ELNS0_20block_scan_algorithmE0ELj4294967295EEENS1_25partition_config_selectorILNS1_17partition_subalgoE4EjNS0_10empty_typeEbEEZZNS1_14partition_implILS8_4ELb0ES6_15HIP_vector_typeIjLj2EENS0_17counting_iteratorIjlEEPS9_SG_NS0_5tupleIJPjSI_NS0_16reverse_iteratorISI_EEEEENSH_IJSG_SG_SG_EEES9_SI_JZNS1_25segmented_radix_sort_implINS0_14default_configELb1EPKfPfPKlPlN2at6native12_GLOBAL__N_18offset_tEEE10hipError_tPvRmT1_PNSt15iterator_traitsIS12_E10value_typeET2_T3_PNS13_IS18_E10value_typeET4_jRbjT5_S1E_jjP12ihipStream_tbEUljE_ZNSN_ISO_Lb1ESQ_SR_ST_SU_SY_EESZ_S10_S11_S12_S16_S17_S18_S1B_S1C_jS1D_jS1E_S1E_jjS1G_bEUljE0_EEESZ_S10_S11_S18_S1C_S1E_T6_T7_T9_mT8_S1G_bDpT10_ENKUlT_T0_E_clISt17integral_constantIbLb0EES1T_IbLb1EEEEDaS1P_S1Q_EUlS1P_E_NS1_11comp_targetILNS1_3genE8ELNS1_11target_archE1030ELNS1_3gpuE2ELNS1_3repE0EEENS1_30default_config_static_selectorELNS0_4arch9wavefront6targetE0EEEvS12_.uses_flat_scratch, 0
	.set _ZN7rocprim17ROCPRIM_400000_NS6detail17trampoline_kernelINS0_13select_configILj256ELj13ELNS0_17block_load_methodE3ELS4_3ELS4_3ELNS0_20block_scan_algorithmE0ELj4294967295EEENS1_25partition_config_selectorILNS1_17partition_subalgoE4EjNS0_10empty_typeEbEEZZNS1_14partition_implILS8_4ELb0ES6_15HIP_vector_typeIjLj2EENS0_17counting_iteratorIjlEEPS9_SG_NS0_5tupleIJPjSI_NS0_16reverse_iteratorISI_EEEEENSH_IJSG_SG_SG_EEES9_SI_JZNS1_25segmented_radix_sort_implINS0_14default_configELb1EPKfPfPKlPlN2at6native12_GLOBAL__N_18offset_tEEE10hipError_tPvRmT1_PNSt15iterator_traitsIS12_E10value_typeET2_T3_PNS13_IS18_E10value_typeET4_jRbjT5_S1E_jjP12ihipStream_tbEUljE_ZNSN_ISO_Lb1ESQ_SR_ST_SU_SY_EESZ_S10_S11_S12_S16_S17_S18_S1B_S1C_jS1D_jS1E_S1E_jjS1G_bEUljE0_EEESZ_S10_S11_S18_S1C_S1E_T6_T7_T9_mT8_S1G_bDpT10_ENKUlT_T0_E_clISt17integral_constantIbLb0EES1T_IbLb1EEEEDaS1P_S1Q_EUlS1P_E_NS1_11comp_targetILNS1_3genE8ELNS1_11target_archE1030ELNS1_3gpuE2ELNS1_3repE0EEENS1_30default_config_static_selectorELNS0_4arch9wavefront6targetE0EEEvS12_.has_dyn_sized_stack, 0
	.set _ZN7rocprim17ROCPRIM_400000_NS6detail17trampoline_kernelINS0_13select_configILj256ELj13ELNS0_17block_load_methodE3ELS4_3ELS4_3ELNS0_20block_scan_algorithmE0ELj4294967295EEENS1_25partition_config_selectorILNS1_17partition_subalgoE4EjNS0_10empty_typeEbEEZZNS1_14partition_implILS8_4ELb0ES6_15HIP_vector_typeIjLj2EENS0_17counting_iteratorIjlEEPS9_SG_NS0_5tupleIJPjSI_NS0_16reverse_iteratorISI_EEEEENSH_IJSG_SG_SG_EEES9_SI_JZNS1_25segmented_radix_sort_implINS0_14default_configELb1EPKfPfPKlPlN2at6native12_GLOBAL__N_18offset_tEEE10hipError_tPvRmT1_PNSt15iterator_traitsIS12_E10value_typeET2_T3_PNS13_IS18_E10value_typeET4_jRbjT5_S1E_jjP12ihipStream_tbEUljE_ZNSN_ISO_Lb1ESQ_SR_ST_SU_SY_EESZ_S10_S11_S12_S16_S17_S18_S1B_S1C_jS1D_jS1E_S1E_jjS1G_bEUljE0_EEESZ_S10_S11_S18_S1C_S1E_T6_T7_T9_mT8_S1G_bDpT10_ENKUlT_T0_E_clISt17integral_constantIbLb0EES1T_IbLb1EEEEDaS1P_S1Q_EUlS1P_E_NS1_11comp_targetILNS1_3genE8ELNS1_11target_archE1030ELNS1_3gpuE2ELNS1_3repE0EEENS1_30default_config_static_selectorELNS0_4arch9wavefront6targetE0EEEvS12_.has_recursion, 0
	.set _ZN7rocprim17ROCPRIM_400000_NS6detail17trampoline_kernelINS0_13select_configILj256ELj13ELNS0_17block_load_methodE3ELS4_3ELS4_3ELNS0_20block_scan_algorithmE0ELj4294967295EEENS1_25partition_config_selectorILNS1_17partition_subalgoE4EjNS0_10empty_typeEbEEZZNS1_14partition_implILS8_4ELb0ES6_15HIP_vector_typeIjLj2EENS0_17counting_iteratorIjlEEPS9_SG_NS0_5tupleIJPjSI_NS0_16reverse_iteratorISI_EEEEENSH_IJSG_SG_SG_EEES9_SI_JZNS1_25segmented_radix_sort_implINS0_14default_configELb1EPKfPfPKlPlN2at6native12_GLOBAL__N_18offset_tEEE10hipError_tPvRmT1_PNSt15iterator_traitsIS12_E10value_typeET2_T3_PNS13_IS18_E10value_typeET4_jRbjT5_S1E_jjP12ihipStream_tbEUljE_ZNSN_ISO_Lb1ESQ_SR_ST_SU_SY_EESZ_S10_S11_S12_S16_S17_S18_S1B_S1C_jS1D_jS1E_S1E_jjS1G_bEUljE0_EEESZ_S10_S11_S18_S1C_S1E_T6_T7_T9_mT8_S1G_bDpT10_ENKUlT_T0_E_clISt17integral_constantIbLb0EES1T_IbLb1EEEEDaS1P_S1Q_EUlS1P_E_NS1_11comp_targetILNS1_3genE8ELNS1_11target_archE1030ELNS1_3gpuE2ELNS1_3repE0EEENS1_30default_config_static_selectorELNS0_4arch9wavefront6targetE0EEEvS12_.has_indirect_call, 0
	.section	.AMDGPU.csdata,"",@progbits
; Kernel info:
; codeLenInByte = 0
; TotalNumSgprs: 0
; NumVgprs: 0
; ScratchSize: 0
; MemoryBound: 0
; FloatMode: 240
; IeeeMode: 1
; LDSByteSize: 0 bytes/workgroup (compile time only)
; SGPRBlocks: 0
; VGPRBlocks: 0
; NumSGPRsForWavesPerEU: 1
; NumVGPRsForWavesPerEU: 1
; NamedBarCnt: 0
; Occupancy: 16
; WaveLimiterHint : 0
; COMPUTE_PGM_RSRC2:SCRATCH_EN: 0
; COMPUTE_PGM_RSRC2:USER_SGPR: 2
; COMPUTE_PGM_RSRC2:TRAP_HANDLER: 0
; COMPUTE_PGM_RSRC2:TGID_X_EN: 1
; COMPUTE_PGM_RSRC2:TGID_Y_EN: 0
; COMPUTE_PGM_RSRC2:TGID_Z_EN: 0
; COMPUTE_PGM_RSRC2:TIDIG_COMP_CNT: 0
	.section	.text._ZN7rocprim17ROCPRIM_400000_NS6detail17trampoline_kernelINS0_13select_configILj256ELj13ELNS0_17block_load_methodE3ELS4_3ELS4_3ELNS0_20block_scan_algorithmE0ELj4294967295EEENS1_25partition_config_selectorILNS1_17partition_subalgoE3EjNS0_10empty_typeEbEEZZNS1_14partition_implILS8_3ELb0ES6_jNS0_17counting_iteratorIjlEEPS9_SE_NS0_5tupleIJPjSE_EEENSF_IJSE_SE_EEES9_SG_JZNS1_25segmented_radix_sort_implINS0_14default_configELb1EPKfPfPKlPlN2at6native12_GLOBAL__N_18offset_tEEE10hipError_tPvRmT1_PNSt15iterator_traitsISY_E10value_typeET2_T3_PNSZ_IS14_E10value_typeET4_jRbjT5_S1A_jjP12ihipStream_tbEUljE_EEESV_SW_SX_S14_S18_S1A_T6_T7_T9_mT8_S1C_bDpT10_ENKUlT_T0_E_clISt17integral_constantIbLb0EES1P_EEDaS1K_S1L_EUlS1K_E_NS1_11comp_targetILNS1_3genE0ELNS1_11target_archE4294967295ELNS1_3gpuE0ELNS1_3repE0EEENS1_30default_config_static_selectorELNS0_4arch9wavefront6targetE0EEEvSY_,"axG",@progbits,_ZN7rocprim17ROCPRIM_400000_NS6detail17trampoline_kernelINS0_13select_configILj256ELj13ELNS0_17block_load_methodE3ELS4_3ELS4_3ELNS0_20block_scan_algorithmE0ELj4294967295EEENS1_25partition_config_selectorILNS1_17partition_subalgoE3EjNS0_10empty_typeEbEEZZNS1_14partition_implILS8_3ELb0ES6_jNS0_17counting_iteratorIjlEEPS9_SE_NS0_5tupleIJPjSE_EEENSF_IJSE_SE_EEES9_SG_JZNS1_25segmented_radix_sort_implINS0_14default_configELb1EPKfPfPKlPlN2at6native12_GLOBAL__N_18offset_tEEE10hipError_tPvRmT1_PNSt15iterator_traitsISY_E10value_typeET2_T3_PNSZ_IS14_E10value_typeET4_jRbjT5_S1A_jjP12ihipStream_tbEUljE_EEESV_SW_SX_S14_S18_S1A_T6_T7_T9_mT8_S1C_bDpT10_ENKUlT_T0_E_clISt17integral_constantIbLb0EES1P_EEDaS1K_S1L_EUlS1K_E_NS1_11comp_targetILNS1_3genE0ELNS1_11target_archE4294967295ELNS1_3gpuE0ELNS1_3repE0EEENS1_30default_config_static_selectorELNS0_4arch9wavefront6targetE0EEEvSY_,comdat
	.globl	_ZN7rocprim17ROCPRIM_400000_NS6detail17trampoline_kernelINS0_13select_configILj256ELj13ELNS0_17block_load_methodE3ELS4_3ELS4_3ELNS0_20block_scan_algorithmE0ELj4294967295EEENS1_25partition_config_selectorILNS1_17partition_subalgoE3EjNS0_10empty_typeEbEEZZNS1_14partition_implILS8_3ELb0ES6_jNS0_17counting_iteratorIjlEEPS9_SE_NS0_5tupleIJPjSE_EEENSF_IJSE_SE_EEES9_SG_JZNS1_25segmented_radix_sort_implINS0_14default_configELb1EPKfPfPKlPlN2at6native12_GLOBAL__N_18offset_tEEE10hipError_tPvRmT1_PNSt15iterator_traitsISY_E10value_typeET2_T3_PNSZ_IS14_E10value_typeET4_jRbjT5_S1A_jjP12ihipStream_tbEUljE_EEESV_SW_SX_S14_S18_S1A_T6_T7_T9_mT8_S1C_bDpT10_ENKUlT_T0_E_clISt17integral_constantIbLb0EES1P_EEDaS1K_S1L_EUlS1K_E_NS1_11comp_targetILNS1_3genE0ELNS1_11target_archE4294967295ELNS1_3gpuE0ELNS1_3repE0EEENS1_30default_config_static_selectorELNS0_4arch9wavefront6targetE0EEEvSY_ ; -- Begin function _ZN7rocprim17ROCPRIM_400000_NS6detail17trampoline_kernelINS0_13select_configILj256ELj13ELNS0_17block_load_methodE3ELS4_3ELS4_3ELNS0_20block_scan_algorithmE0ELj4294967295EEENS1_25partition_config_selectorILNS1_17partition_subalgoE3EjNS0_10empty_typeEbEEZZNS1_14partition_implILS8_3ELb0ES6_jNS0_17counting_iteratorIjlEEPS9_SE_NS0_5tupleIJPjSE_EEENSF_IJSE_SE_EEES9_SG_JZNS1_25segmented_radix_sort_implINS0_14default_configELb1EPKfPfPKlPlN2at6native12_GLOBAL__N_18offset_tEEE10hipError_tPvRmT1_PNSt15iterator_traitsISY_E10value_typeET2_T3_PNSZ_IS14_E10value_typeET4_jRbjT5_S1A_jjP12ihipStream_tbEUljE_EEESV_SW_SX_S14_S18_S1A_T6_T7_T9_mT8_S1C_bDpT10_ENKUlT_T0_E_clISt17integral_constantIbLb0EES1P_EEDaS1K_S1L_EUlS1K_E_NS1_11comp_targetILNS1_3genE0ELNS1_11target_archE4294967295ELNS1_3gpuE0ELNS1_3repE0EEENS1_30default_config_static_selectorELNS0_4arch9wavefront6targetE0EEEvSY_
	.p2align	8
	.type	_ZN7rocprim17ROCPRIM_400000_NS6detail17trampoline_kernelINS0_13select_configILj256ELj13ELNS0_17block_load_methodE3ELS4_3ELS4_3ELNS0_20block_scan_algorithmE0ELj4294967295EEENS1_25partition_config_selectorILNS1_17partition_subalgoE3EjNS0_10empty_typeEbEEZZNS1_14partition_implILS8_3ELb0ES6_jNS0_17counting_iteratorIjlEEPS9_SE_NS0_5tupleIJPjSE_EEENSF_IJSE_SE_EEES9_SG_JZNS1_25segmented_radix_sort_implINS0_14default_configELb1EPKfPfPKlPlN2at6native12_GLOBAL__N_18offset_tEEE10hipError_tPvRmT1_PNSt15iterator_traitsISY_E10value_typeET2_T3_PNSZ_IS14_E10value_typeET4_jRbjT5_S1A_jjP12ihipStream_tbEUljE_EEESV_SW_SX_S14_S18_S1A_T6_T7_T9_mT8_S1C_bDpT10_ENKUlT_T0_E_clISt17integral_constantIbLb0EES1P_EEDaS1K_S1L_EUlS1K_E_NS1_11comp_targetILNS1_3genE0ELNS1_11target_archE4294967295ELNS1_3gpuE0ELNS1_3repE0EEENS1_30default_config_static_selectorELNS0_4arch9wavefront6targetE0EEEvSY_,@function
_ZN7rocprim17ROCPRIM_400000_NS6detail17trampoline_kernelINS0_13select_configILj256ELj13ELNS0_17block_load_methodE3ELS4_3ELS4_3ELNS0_20block_scan_algorithmE0ELj4294967295EEENS1_25partition_config_selectorILNS1_17partition_subalgoE3EjNS0_10empty_typeEbEEZZNS1_14partition_implILS8_3ELb0ES6_jNS0_17counting_iteratorIjlEEPS9_SE_NS0_5tupleIJPjSE_EEENSF_IJSE_SE_EEES9_SG_JZNS1_25segmented_radix_sort_implINS0_14default_configELb1EPKfPfPKlPlN2at6native12_GLOBAL__N_18offset_tEEE10hipError_tPvRmT1_PNSt15iterator_traitsISY_E10value_typeET2_T3_PNSZ_IS14_E10value_typeET4_jRbjT5_S1A_jjP12ihipStream_tbEUljE_EEESV_SW_SX_S14_S18_S1A_T6_T7_T9_mT8_S1C_bDpT10_ENKUlT_T0_E_clISt17integral_constantIbLb0EES1P_EEDaS1K_S1L_EUlS1K_E_NS1_11comp_targetILNS1_3genE0ELNS1_11target_archE4294967295ELNS1_3gpuE0ELNS1_3repE0EEENS1_30default_config_static_selectorELNS0_4arch9wavefront6targetE0EEEvSY_: ; @_ZN7rocprim17ROCPRIM_400000_NS6detail17trampoline_kernelINS0_13select_configILj256ELj13ELNS0_17block_load_methodE3ELS4_3ELS4_3ELNS0_20block_scan_algorithmE0ELj4294967295EEENS1_25partition_config_selectorILNS1_17partition_subalgoE3EjNS0_10empty_typeEbEEZZNS1_14partition_implILS8_3ELb0ES6_jNS0_17counting_iteratorIjlEEPS9_SE_NS0_5tupleIJPjSE_EEENSF_IJSE_SE_EEES9_SG_JZNS1_25segmented_radix_sort_implINS0_14default_configELb1EPKfPfPKlPlN2at6native12_GLOBAL__N_18offset_tEEE10hipError_tPvRmT1_PNSt15iterator_traitsISY_E10value_typeET2_T3_PNSZ_IS14_E10value_typeET4_jRbjT5_S1A_jjP12ihipStream_tbEUljE_EEESV_SW_SX_S14_S18_S1A_T6_T7_T9_mT8_S1C_bDpT10_ENKUlT_T0_E_clISt17integral_constantIbLb0EES1P_EEDaS1K_S1L_EUlS1K_E_NS1_11comp_targetILNS1_3genE0ELNS1_11target_archE4294967295ELNS1_3gpuE0ELNS1_3repE0EEENS1_30default_config_static_selectorELNS0_4arch9wavefront6targetE0EEEvSY_
; %bb.0:
	s_clause 0x4
	s_load_b128 s[8:11], s[0:1], 0x48
	s_load_b32 s2, s[0:1], 0x70
	s_load_b64 s[12:13], s[0:1], 0x10
	s_load_b64 s[14:15], s[0:1], 0x58
	s_load_b32 s20, s[0:1], 0x8
	s_bfe_u32 s3, ttmp6, 0x4000c
	s_and_b32 s4, ttmp6, 15
	s_add_co_i32 s3, s3, 1
	s_getreg_b32 s5, hwreg(HW_REG_IB_STS2, 6, 4)
	s_mul_i32 s3, ttmp9, s3
	s_mov_b32 s17, 0
	s_add_co_i32 s16, s4, s3
	s_cmp_eq_u32 s5, 0
	s_clause 0x1
	s_load_b32 s3, s[0:1], 0x88
	s_load_b128 s[4:7], s[0:1], 0x78
	s_cselect_b32 s24, ttmp9, s16
	v_lshlrev_b32_e32 v19, 2, v0
	s_wait_kmcnt 0x0
	s_load_b64 s[18:19], s[10:11], 0x0
	s_mul_i32 s16, s2, 0xd00
	s_add_co_i32 s2, s2, -1
	s_add_co_i32 s21, s16, s12
	s_wait_xcnt 0x0
	s_add_nc_u64 s[10:11], s[12:13], s[16:17]
	s_sub_co_i32 s23, s14, s21
	v_cmp_gt_u64_e64 s11, s[14:15], s[10:11]
	s_addk_co_i32 s23, 0xd00
	s_cmp_eq_u32 s24, s2
	s_mul_i32 s10, s24, 0xd00
	s_cselect_b32 s22, -1, 0
	s_cmp_lg_u32 s24, s2
	s_mov_b32 s17, -1
	s_cselect_b32 s2, -1, 0
	s_add_co_i32 s16, s20, s10
	s_or_b32 s11, s2, s11
	s_add_co_i32 s16, s16, s12
	s_and_b32 vcc_lo, exec_lo, s11
	v_add_nc_u32_e32 v1, s16, v0
	s_cbranch_vccz .LBB1287_2
; %bb.1:
	s_delay_alu instid0(VALU_DEP_1)
	v_add_nc_u32_e32 v2, 0x100, v1
	v_add_nc_u32_e32 v3, 0x200, v1
	;; [unrolled: 1-line block ×12, first 2 shown]
	ds_store_2addr_stride64_b32 v19, v1, v2 offset1:4
	ds_store_2addr_stride64_b32 v19, v3, v4 offset0:8 offset1:12
	ds_store_2addr_stride64_b32 v19, v5, v6 offset0:16 offset1:20
	;; [unrolled: 1-line block ×5, first 2 shown]
	ds_store_b32 v19, v13 offset:12288
	s_wait_dscnt 0x0
	s_barrier_signal -1
	s_mov_b32 s17, 0
	s_barrier_wait -1
.LBB1287_2:
	v_cmp_gt_u32_e64 s2, s23, v0
	v_or_b32_e32 v40, 0x100, v0
	v_or_b32_e32 v38, 0x200, v0
	;; [unrolled: 1-line block ×12, first 2 shown]
	s_and_not1_b32 vcc_lo, exec_lo, s17
	s_cbranch_vccnz .LBB1287_4
; %bb.3:
	v_dual_add_nc_u32 v2, s16, v40 :: v_dual_cndmask_b32 v1, 0, v1, s2
	v_cmp_gt_u32_e32 vcc_lo, s23, v40
	v_dual_add_nc_u32 v3, s16, v38 :: v_dual_add_nc_u32 v4, s16, v36
	v_dual_add_nc_u32 v7, s16, v30 :: v_dual_add_nc_u32 v8, s16, v28
	s_delay_alu instid0(VALU_DEP_4)
	v_cndmask_b32_e32 v2, 0, v2, vcc_lo
	v_cmp_gt_u32_e32 vcc_lo, s23, v38
	v_dual_add_nc_u32 v11, s16, v22 :: v_dual_add_nc_u32 v12, s16, v20
	v_cndmask_b32_e32 v3, 0, v3, vcc_lo
	v_cmp_gt_u32_e32 vcc_lo, s23, v36
	v_dual_cndmask_b32 v4, 0, v4 :: v_dual_add_nc_u32 v5, s16, v34
	v_cmp_gt_u32_e32 vcc_lo, s23, v34
	s_delay_alu instid0(VALU_DEP_2) | instskip(SKIP_1) | instid1(VALU_DEP_2)
	v_dual_cndmask_b32 v5, 0, v5 :: v_dual_add_nc_u32 v6, s16, v32
	v_cmp_gt_u32_e32 vcc_lo, s23, v32
	v_cndmask_b32_e32 v6, 0, v6, vcc_lo
	v_cmp_gt_u32_e32 vcc_lo, s23, v30
	v_cndmask_b32_e32 v7, 0, v7, vcc_lo
	v_cmp_gt_u32_e32 vcc_lo, s23, v28
	v_dual_cndmask_b32 v8, 0, v8 :: v_dual_add_nc_u32 v9, s16, v26
	v_cmp_gt_u32_e32 vcc_lo, s23, v26
	s_delay_alu instid0(VALU_DEP_2) | instskip(SKIP_1) | instid1(VALU_DEP_2)
	v_dual_cndmask_b32 v9, 0, v9 :: v_dual_add_nc_u32 v10, s16, v24
	v_cmp_gt_u32_e32 vcc_lo, s23, v24
	v_cndmask_b32_e32 v10, 0, v10, vcc_lo
	v_cmp_gt_u32_e32 vcc_lo, s23, v22
	v_cndmask_b32_e32 v11, 0, v11, vcc_lo
	v_cmp_gt_u32_e32 vcc_lo, s23, v20
	v_dual_cndmask_b32 v12, 0, v12 :: v_dual_add_nc_u32 v13, s16, v18
	v_cmp_gt_u32_e32 vcc_lo, s23, v18
	s_delay_alu instid0(VALU_DEP_2)
	v_cndmask_b32_e32 v13, 0, v13, vcc_lo
	ds_store_2addr_stride64_b32 v19, v1, v2 offset1:4
	ds_store_2addr_stride64_b32 v19, v3, v4 offset0:8 offset1:12
	ds_store_2addr_stride64_b32 v19, v5, v6 offset0:16 offset1:20
	;; [unrolled: 1-line block ×5, first 2 shown]
	ds_store_b32 v19, v13 offset:12288
	s_wait_dscnt 0x0
	s_barrier_signal -1
	s_barrier_wait -1
.LBB1287_4:
	v_mul_u32_u24_e32 v23, 13, v0
	v_cndmask_b32_e64 v21, 0, 1, s11
	s_and_not1_b32 vcc_lo, exec_lo, s11
	s_delay_alu instid0(VALU_DEP_2)
	v_lshlrev_b32_e32 v2, 2, v23
	ds_load_2addr_b32 v[50:51], v2 offset0:2 offset1:3
	ds_load_2addr_b32 v[46:47], v2 offset0:6 offset1:7
	;; [unrolled: 1-line block ×3, first 2 shown]
	ds_load_2addr_b32 v[52:53], v2 offset1:1
	ds_load_2addr_b32 v[42:43], v2 offset0:10 offset1:11
	ds_load_b32 v1, v2 offset:48
	ds_load_2addr_b32 v[44:45], v2 offset0:8 offset1:9
	s_wait_dscnt 0x0
	s_barrier_signal -1
	s_barrier_wait -1
	s_cbranch_vccnz .LBB1287_6
; %bb.5:
	v_dual_add_nc_u32 v2, s5, v51 :: v_dual_add_nc_u32 v3, s5, v53
	v_dual_add_nc_u32 v4, s5, v52 :: v_dual_add_nc_u32 v5, s5, v50
	;; [unrolled: 1-line block ×4, first 2 shown]
	s_delay_alu instid0(VALU_DEP_3) | instskip(NEXT) | instid1(VALU_DEP_4)
	v_mul_lo_u32 v5, v5, s4
	v_mul_lo_u32 v4, v4, s4
	;; [unrolled: 1-line block ×8, first 2 shown]
	v_dual_add_nc_u32 v10, s5, v48 :: v_dual_add_nc_u32 v11, s7, v48
	v_dual_add_nc_u32 v14, s7, v43 :: v_dual_add_nc_u32 v15, s5, v42
	;; [unrolled: 1-line block ×3, first 2 shown]
	s_delay_alu instid0(VALU_DEP_3)
	v_mul_lo_u32 v10, v10, s4
	v_dual_sub_nc_u32 v2, v2, v6 :: v_dual_sub_nc_u32 v3, v3, v7
	v_dual_sub_nc_u32 v4, v4, v8 :: v_dual_sub_nc_u32 v5, v5, v9
	v_dual_add_nc_u32 v6, s5, v49 :: v_dual_add_nc_u32 v7, s7, v49
	v_dual_add_nc_u32 v8, s5, v47 :: v_dual_add_nc_u32 v9, s7, v47
	v_mul_lo_u32 v11, v11, s6
	s_delay_alu instid0(VALU_DEP_3) | instskip(NEXT) | instid1(VALU_DEP_4)
	v_mul_lo_u32 v6, v6, s4
	v_mul_lo_u32 v7, v7, s6
	s_delay_alu instid0(VALU_DEP_4)
	v_mul_lo_u32 v8, v8, s4
	v_mul_lo_u32 v9, v9, s6
	v_cmp_lt_u32_e32 vcc_lo, s3, v2
	v_dual_add_nc_u32 v12, s5, v46 :: v_dual_add_nc_u32 v13, s5, v44
	v_mul_lo_u32 v14, v14, s6
	v_mul_lo_u32 v16, v16, s6
	v_cndmask_b32_e64 v2, 0, 1, vcc_lo
	v_cmp_lt_u32_e32 vcc_lo, s3, v3
	v_mul_lo_u32 v13, v13, s4
	v_dual_sub_nc_u32 v6, v6, v7 :: v_dual_add_nc_u32 v7, s7, v46
	v_dual_sub_nc_u32 v8, v8, v9 :: v_dual_sub_nc_u32 v9, v10, v11
	v_dual_add_nc_u32 v11, s5, v45 :: v_dual_add_nc_u32 v10, s5, v43
	v_cndmask_b32_e64 v3, 0, 1, vcc_lo
	s_delay_alu instid0(VALU_DEP_4)
	v_cmp_lt_u32_e32 vcc_lo, s3, v6
	v_mul_lo_u32 v12, v12, s4
	v_mul_lo_u32 v7, v7, s6
	;; [unrolled: 1-line block ×4, first 2 shown]
	v_cndmask_b32_e64 v6, 0, 1, vcc_lo
	v_cmp_lt_u32_e32 vcc_lo, s3, v8
	v_lshlrev_b16 v3, 8, v3
	v_add_nc_u32_e32 v25, s7, v42
	v_mul_lo_u32 v17, v17, s6
	v_lshlrev_b16 v6, 8, v6
	v_cndmask_b32_e64 v8, 0, 1, vcc_lo
	v_cmp_lt_u32_e32 vcc_lo, s3, v4
	v_dual_sub_nc_u32 v7, v12, v7 :: v_dual_sub_nc_u32 v10, v10, v14
	v_mul_lo_u32 v12, v15, s4
	v_mul_lo_u32 v15, v25, s6
	v_dual_add_nc_u32 v25, s7, v1 :: v_dual_lshrrev_b32 v3, 8, v3
	v_sub_nc_u32_e32 v11, v11, v16
	v_cndmask_b32_e64 v4, 0, 1, vcc_lo
	v_cmp_lt_u32_e32 vcc_lo, s3, v10
	v_dual_lshrrev_b32 v6, 8, v6 :: v_dual_add_nc_u32 v14, s5, v1
	v_mul_lo_u32 v16, v25, s6
	v_lshlrev_b16 v2, 8, v2
	v_cndmask_b32_e64 v10, 0, 1, vcc_lo
	v_cmp_lt_u32_e32 vcc_lo, s3, v11
	v_mul_lo_u32 v14, v14, s4
	v_dual_sub_nc_u32 v13, v13, v17 :: v_dual_sub_nc_u32 v12, v12, v15
	v_lshlrev_b16 v3, 8, v3
	v_cndmask_b32_e64 v11, 0, 1, vcc_lo
	v_cmp_lt_u32_e32 vcc_lo, s3, v5
	v_lshrrev_b32_e32 v2, 8, v2
	v_lshlrev_b16 v8, 8, v8
	v_or_b32_e32 v3, v4, v3
	v_lshlrev_b16 v4, 8, v10
	v_cndmask_b32_e64 v5, 0, 1, vcc_lo
	v_cmp_lt_u32_e32 vcc_lo, s3, v9
	v_lshlrev_b16 v10, 8, v11
	v_sub_nc_u32_e32 v11, v14, v16
	v_lshlrev_b16 v2, 8, v2
	v_lshrrev_b32_e32 v4, 8, v4
	v_cndmask_b32_e64 v9, 0, 1, vcc_lo
	v_cmp_lt_u32_e32 vcc_lo, s3, v7
	v_lshrrev_b32_e32 v10, 8, v10
	v_lshlrev_b16 v6, 8, v6
	v_or_b32_e32 v2, v5, v2
	v_lshlrev_b16 v4, 8, v4
	v_cndmask_b32_e64 v7, 0, 1, vcc_lo
	v_cmp_lt_u32_e32 vcc_lo, s3, v13
	v_lshlrev_b16 v10, 8, v10
	v_or_b32_e32 v5, v9, v6
	v_and_b32_e32 v3, 0xffff, v3
	v_dual_lshlrev_b32 v2, 16, v2 :: v_dual_bitop2_b32 v6, v7, v8 bitop3:0x54
	v_cndmask_b32_e64 v13, 0, 1, vcc_lo
	v_cmp_lt_u32_e32 vcc_lo, s3, v12
	s_delay_alu instid0(VALU_DEP_3) | instskip(SKIP_4) | instid1(VALU_DEP_4)
	v_lshlrev_b32_e32 v6, 16, v6
	v_and_b32_e32 v5, 0xffff, v5
	v_or_b32_e32 v35, v3, v2
	v_cndmask_b32_e64 v12, 0, 1, vcc_lo
	v_cmp_lt_u32_e32 vcc_lo, s3, v11
	v_or_b32_e32 v31, v5, v6
	s_delay_alu instid0(VALU_DEP_3) | instskip(SKIP_2) | instid1(VALU_DEP_3)
	v_or_b32_e32 v4, v12, v4
	v_or_b32_e32 v7, v13, v10
	v_cndmask_b32_e64 v25, 0, 1, vcc_lo
	v_lshlrev_b32_e32 v4, 16, v4
	s_delay_alu instid0(VALU_DEP_3) | instskip(NEXT) | instid1(VALU_DEP_1)
	v_and_b32_e32 v7, 0xffff, v7
	v_or_b32_e32 v27, v7, v4
	s_load_b64 s[20:21], s[0:1], 0x68
	s_cbranch_execz .LBB1287_7
	s_branch .LBB1287_34
.LBB1287_6:
                                        ; implicit-def: $vgpr25
                                        ; implicit-def: $vgpr27
                                        ; implicit-def: $vgpr31
                                        ; implicit-def: $vgpr35
	s_load_b64 s[20:21], s[0:1], 0x68
.LBB1287_7:
	v_dual_mov_b32 v3, 0 :: v_dual_mov_b32 v2, 0
	s_mov_b32 s2, exec_lo
	v_cmpx_gt_u32_e64 s23, v23
	s_cbranch_execz .LBB1287_9
; %bb.8:
	v_dual_add_nc_u32 v2, s5, v52 :: v_dual_add_nc_u32 v4, s7, v52
	s_delay_alu instid0(VALU_DEP_1) | instskip(NEXT) | instid1(VALU_DEP_2)
	v_mul_lo_u32 v2, v2, s4
	v_mul_lo_u32 v4, v4, s6
	s_delay_alu instid0(VALU_DEP_1) | instskip(NEXT) | instid1(VALU_DEP_1)
	v_sub_nc_u32_e32 v2, v2, v4
	v_cmp_lt_u32_e32 vcc_lo, s3, v2
	v_cndmask_b32_e64 v2, 0, 1, vcc_lo
.LBB1287_9:
	s_or_b32 exec_lo, exec_lo, s2
	v_add_nc_u32_e32 v4, 1, v23
	s_mov_b32 s2, exec_lo
	s_delay_alu instid0(VALU_DEP_1)
	v_cmpx_gt_u32_e64 s23, v4
	s_cbranch_execz .LBB1287_11
; %bb.10:
	v_dual_add_nc_u32 v3, s5, v53 :: v_dual_add_nc_u32 v4, s7, v53
	s_delay_alu instid0(VALU_DEP_1) | instskip(NEXT) | instid1(VALU_DEP_2)
	v_mul_lo_u32 v3, v3, s4
	v_mul_lo_u32 v4, v4, s6
	s_delay_alu instid0(VALU_DEP_1) | instskip(NEXT) | instid1(VALU_DEP_1)
	v_sub_nc_u32_e32 v3, v3, v4
	v_cmp_lt_u32_e32 vcc_lo, s3, v3
	v_cndmask_b32_e64 v3, 0, 1, vcc_lo
.LBB1287_11:
	s_or_b32 exec_lo, exec_lo, s2
	v_dual_mov_b32 v5, 0 :: v_dual_add_nc_u32 v4, 2, v23
	s_delay_alu instid0(VALU_DEP_1)
	v_cmp_gt_u32_e32 vcc_lo, s23, v4
	v_mov_b32_e32 v4, 0
	s_and_saveexec_b32 s2, vcc_lo
	s_cbranch_execz .LBB1287_13
; %bb.12:
	v_dual_add_nc_u32 v4, s5, v50 :: v_dual_add_nc_u32 v6, s7, v50
	s_delay_alu instid0(VALU_DEP_1) | instskip(NEXT) | instid1(VALU_DEP_2)
	v_mul_lo_u32 v4, v4, s4
	v_mul_lo_u32 v6, v6, s6
	s_delay_alu instid0(VALU_DEP_1) | instskip(NEXT) | instid1(VALU_DEP_1)
	v_sub_nc_u32_e32 v4, v4, v6
	v_cmp_lt_u32_e32 vcc_lo, s3, v4
	v_cndmask_b32_e64 v4, 0, 1, vcc_lo
.LBB1287_13:
	s_or_b32 exec_lo, exec_lo, s2
	v_add_nc_u32_e32 v6, 3, v23
	s_mov_b32 s2, exec_lo
	s_delay_alu instid0(VALU_DEP_1)
	v_cmpx_gt_u32_e64 s23, v6
	s_cbranch_execz .LBB1287_15
; %bb.14:
	v_dual_add_nc_u32 v5, s5, v51 :: v_dual_add_nc_u32 v6, s7, v51
	s_delay_alu instid0(VALU_DEP_1) | instskip(NEXT) | instid1(VALU_DEP_2)
	v_mul_lo_u32 v5, v5, s4
	v_mul_lo_u32 v6, v6, s6
	s_delay_alu instid0(VALU_DEP_1) | instskip(NEXT) | instid1(VALU_DEP_1)
	v_sub_nc_u32_e32 v5, v5, v6
	v_cmp_lt_u32_e32 vcc_lo, s3, v5
	v_cndmask_b32_e64 v5, 0, 1, vcc_lo
.LBB1287_15:
	s_or_b32 exec_lo, exec_lo, s2
	v_dual_mov_b32 v7, 0 :: v_dual_add_nc_u32 v6, 4, v23
	s_delay_alu instid0(VALU_DEP_1)
	v_cmp_gt_u32_e32 vcc_lo, s23, v6
	v_mov_b32_e32 v6, 0
	s_and_saveexec_b32 s2, vcc_lo
	;; [unrolled: 33-line block ×5, first 2 shown]
	s_cbranch_execz .LBB1287_29
; %bb.28:
	v_dual_add_nc_u32 v12, s5, v42 :: v_dual_add_nc_u32 v14, s7, v42
	s_delay_alu instid0(VALU_DEP_1) | instskip(NEXT) | instid1(VALU_DEP_2)
	v_mul_lo_u32 v12, v12, s4
	v_mul_lo_u32 v14, v14, s6
	s_delay_alu instid0(VALU_DEP_1) | instskip(NEXT) | instid1(VALU_DEP_1)
	v_sub_nc_u32_e32 v12, v12, v14
	v_cmp_lt_u32_e32 vcc_lo, s3, v12
	v_cndmask_b32_e64 v12, 0, 1, vcc_lo
.LBB1287_29:
	s_or_b32 exec_lo, exec_lo, s2
	v_add_nc_u32_e32 v14, 11, v23
	s_mov_b32 s2, exec_lo
	s_delay_alu instid0(VALU_DEP_1)
	v_cmpx_gt_u32_e64 s23, v14
	s_cbranch_execz .LBB1287_31
; %bb.30:
	v_dual_add_nc_u32 v13, s5, v43 :: v_dual_add_nc_u32 v14, s7, v43
	s_delay_alu instid0(VALU_DEP_1) | instskip(NEXT) | instid1(VALU_DEP_2)
	v_mul_lo_u32 v13, v13, s4
	v_mul_lo_u32 v14, v14, s6
	s_delay_alu instid0(VALU_DEP_1) | instskip(NEXT) | instid1(VALU_DEP_1)
	v_sub_nc_u32_e32 v13, v13, v14
	v_cmp_lt_u32_e32 vcc_lo, s3, v13
	v_cndmask_b32_e64 v13, 0, 1, vcc_lo
.LBB1287_31:
	s_or_b32 exec_lo, exec_lo, s2
	v_dual_mov_b32 v25, 0 :: v_dual_add_nc_u32 v14, 12, v23
	s_mov_b32 s2, exec_lo
	s_delay_alu instid0(VALU_DEP_1)
	v_cmpx_gt_u32_e64 s23, v14
	s_cbranch_execz .LBB1287_33
; %bb.32:
	v_dual_add_nc_u32 v14, s7, v1 :: v_dual_add_nc_u32 v15, s5, v1
	s_delay_alu instid0(VALU_DEP_1) | instskip(NEXT) | instid1(VALU_DEP_2)
	v_mul_lo_u32 v14, v14, s6
	v_mul_lo_u32 v15, v15, s4
	s_delay_alu instid0(VALU_DEP_1) | instskip(NEXT) | instid1(VALU_DEP_1)
	v_sub_nc_u32_e32 v14, v15, v14
	v_cmp_lt_u32_e32 vcc_lo, s3, v14
	v_cndmask_b32_e64 v25, 0, 1, vcc_lo
.LBB1287_33:
	s_or_b32 exec_lo, exec_lo, s2
	v_lshlrev_b16 v5, 8, v5
	v_lshlrev_b16 v7, 8, v7
	;; [unrolled: 1-line block ×5, first 2 shown]
	v_or_b32_e32 v4, v4, v5
	v_or_b32_e32 v5, v6, v7
	;; [unrolled: 1-line block ×3, first 2 shown]
	s_delay_alu instid0(VALU_DEP_4) | instskip(NEXT) | instid1(VALU_DEP_3)
	v_or_b32_e32 v7, v10, v11
	v_and_b32_e32 v5, 0xffff, v5
	s_delay_alu instid0(VALU_DEP_3) | instskip(SKIP_3) | instid1(VALU_DEP_4)
	v_dual_lshlrev_b32 v6, 16, v6 :: v_dual_bitop2_b32 v2, v2, v3 bitop3:0x54
	v_lshlrev_b32_e32 v4, 16, v4
	v_lshlrev_b16 v3, 8, v13
	v_and_b32_e32 v7, 0xffff, v7
	v_or_b32_e32 v31, v5, v6
	v_and_b32_e32 v2, 0xffff, v2
	s_delay_alu instid0(VALU_DEP_4) | instskip(NEXT) | instid1(VALU_DEP_1)
	v_or_b32_e32 v3, v12, v3
	v_dual_lshlrev_b32 v3, 16, v3 :: v_dual_bitop2_b32 v35, v2, v4 bitop3:0x54
	s_delay_alu instid0(VALU_DEP_1)
	v_or_b32_e32 v27, v7, v3
.LBB1287_34:
	s_delay_alu instid0(VALU_DEP_2)
	v_bfe_u32 v39, v35, 16, 8
	v_bfe_u32 v41, v35, 8, 8
	v_and_b32_e32 v55, 0xff, v35
	v_and_b32_e32 v56, 0xff, v31
	v_mbcnt_lo_u32_b32 v62, -1, 0
	v_lshrrev_b32_e32 v37, 24, v35
	v_bfe_u32 v57, v31, 16, 8
	v_add3_u32 v2, v41, v55, v39
	v_bfe_u32 v58, v31, 8, 8
	v_and_b32_e32 v4, 15, v62
	s_load_b64 s[16:17], s[0:1], 0x28
	v_dual_lshrrev_b32 v33, 24, v31 :: v_dual_lshrrev_b32 v63, 5, v0
	v_add3_u32 v2, v2, v37, v56
	v_and_b32_e32 v59, 0xff, v27
	v_bfe_u32 v60, v27, 16, 8
	v_bfe_u32 v61, v27, 8, 8
	v_dual_lshrrev_b32 v29, 24, v27 :: v_dual_bitop2_b32 v5, 31, v0 bitop3:0x54
	v_add3_u32 v2, v2, v58, v57
	v_and_b32_e32 v3, 0xff, v25
	v_and_b32_e32 v6, 16, v62
	v_cmp_eq_u32_e64 s5, 0, v4
	v_cmp_lt_u32_e64 s4, 1, v4
	v_add3_u32 v2, v2, v33, v59
	v_cmp_lt_u32_e64 s3, 3, v4
	v_cmp_lt_u32_e64 s2, 7, v4
	s_wait_xcnt 0x0
	v_cmp_eq_u32_e64 s1, 0, v6
	v_cmp_eq_u32_e64 s0, v0, v5
	v_add3_u32 v2, v2, v61, v60
	s_cmp_lg_u32 s24, 0
	s_mov_b32 s6, -1
	s_delay_alu instid0(VALU_DEP_1)
	v_add3_u32 v64, v2, v29, v3
	s_cbranch_scc0 .LBB1287_56
; %bb.35:
	s_delay_alu instid0(VALU_DEP_1) | instskip(NEXT) | instid1(VALU_DEP_1)
	v_mov_b32_dpp v2, v64 row_shr:1 row_mask:0xf bank_mask:0xf
	v_cndmask_b32_e64 v2, v2, 0, s5
	s_delay_alu instid0(VALU_DEP_1) | instskip(NEXT) | instid1(VALU_DEP_1)
	v_add_nc_u32_e32 v2, v2, v64
	v_mov_b32_dpp v3, v2 row_shr:2 row_mask:0xf bank_mask:0xf
	s_delay_alu instid0(VALU_DEP_1) | instskip(NEXT) | instid1(VALU_DEP_1)
	v_cndmask_b32_e64 v3, 0, v3, s4
	v_add_nc_u32_e32 v2, v2, v3
	s_delay_alu instid0(VALU_DEP_1) | instskip(NEXT) | instid1(VALU_DEP_1)
	v_mov_b32_dpp v3, v2 row_shr:4 row_mask:0xf bank_mask:0xf
	v_cndmask_b32_e64 v3, 0, v3, s3
	s_delay_alu instid0(VALU_DEP_1) | instskip(NEXT) | instid1(VALU_DEP_1)
	v_add_nc_u32_e32 v2, v2, v3
	v_mov_b32_dpp v3, v2 row_shr:8 row_mask:0xf bank_mask:0xf
	s_delay_alu instid0(VALU_DEP_1) | instskip(NEXT) | instid1(VALU_DEP_1)
	v_cndmask_b32_e64 v3, 0, v3, s2
	v_add_nc_u32_e32 v2, v2, v3
	ds_swizzle_b32 v3, v2 offset:swizzle(BROADCAST,32,15)
	s_wait_dscnt 0x0
	v_cndmask_b32_e64 v3, v3, 0, s1
	s_delay_alu instid0(VALU_DEP_1)
	v_add_nc_u32_e32 v2, v2, v3
	s_and_saveexec_b32 s6, s0
; %bb.36:
	v_lshlrev_b32_e32 v3, 2, v63
	ds_store_b32 v3, v2
; %bb.37:
	s_or_b32 exec_lo, exec_lo, s6
	s_delay_alu instid0(SALU_CYCLE_1)
	s_mov_b32 s6, exec_lo
	s_wait_dscnt 0x0
	s_barrier_signal -1
	s_barrier_wait -1
	v_cmpx_gt_u32_e32 8, v0
	s_cbranch_execz .LBB1287_39
; %bb.38:
	ds_load_b32 v3, v19
	s_wait_dscnt 0x0
	v_mov_b32_dpp v5, v3 row_shr:1 row_mask:0xf bank_mask:0xf
	v_and_b32_e32 v4, 7, v62
	s_delay_alu instid0(VALU_DEP_1) | instskip(NEXT) | instid1(VALU_DEP_3)
	v_cmp_ne_u32_e32 vcc_lo, 0, v4
	v_cndmask_b32_e32 v5, 0, v5, vcc_lo
	v_cmp_lt_u32_e32 vcc_lo, 1, v4
	s_delay_alu instid0(VALU_DEP_2) | instskip(NEXT) | instid1(VALU_DEP_1)
	v_add_nc_u32_e32 v3, v5, v3
	v_mov_b32_dpp v5, v3 row_shr:2 row_mask:0xf bank_mask:0xf
	s_delay_alu instid0(VALU_DEP_1) | instskip(SKIP_1) | instid1(VALU_DEP_2)
	v_cndmask_b32_e32 v5, 0, v5, vcc_lo
	v_cmp_lt_u32_e32 vcc_lo, 3, v4
	v_add_nc_u32_e32 v3, v3, v5
	s_delay_alu instid0(VALU_DEP_1) | instskip(NEXT) | instid1(VALU_DEP_1)
	v_mov_b32_dpp v5, v3 row_shr:4 row_mask:0xf bank_mask:0xf
	v_cndmask_b32_e32 v4, 0, v5, vcc_lo
	s_delay_alu instid0(VALU_DEP_1)
	v_add_nc_u32_e32 v3, v3, v4
	ds_store_b32 v19, v3
.LBB1287_39:
	s_or_b32 exec_lo, exec_lo, s6
	s_delay_alu instid0(SALU_CYCLE_1)
	s_mov_b32 s7, exec_lo
	v_cmp_gt_u32_e32 vcc_lo, 32, v0
	s_wait_dscnt 0x0
	s_barrier_signal -1
	s_barrier_wait -1
                                        ; implicit-def: $vgpr10
	v_cmpx_lt_u32_e32 31, v0
	s_cbranch_execz .LBB1287_41
; %bb.40:
	v_lshl_add_u32 v3, v63, 2, -4
	ds_load_b32 v10, v3
	s_wait_dscnt 0x0
	v_add_nc_u32_e32 v2, v10, v2
.LBB1287_41:
	s_or_b32 exec_lo, exec_lo, s7
	v_sub_co_u32 v3, s6, v62, 1
	s_delay_alu instid0(VALU_DEP_1) | instskip(NEXT) | instid1(VALU_DEP_1)
	v_cmp_gt_i32_e64 s7, 0, v3
	v_cndmask_b32_e64 v3, v3, v62, s7
	s_delay_alu instid0(VALU_DEP_1)
	v_lshlrev_b32_e32 v3, 2, v3
	ds_bpermute_b32 v11, v3, v2
	s_and_saveexec_b32 s7, vcc_lo
	s_cbranch_execz .LBB1287_61
; %bb.42:
	v_mov_b32_e32 v9, 0
	ds_load_b32 v2, v9 offset:28
	s_and_saveexec_b32 s11, s6
	s_cbranch_execz .LBB1287_44
; %bb.43:
	s_add_co_i32 s25, s24, 32
	s_delay_alu instid0(SALU_CYCLE_1)
	v_dual_mov_b32 v3, 1 :: v_dual_mov_b32 v4, s25
	s_wait_dscnt 0x0
	s_wait_kmcnt 0x0
	global_store_b64 v4, v[2:3], s[20:21] scale_offset scope:SCOPE_DEV
.LBB1287_44:
	s_wait_xcnt 0x0
	s_or_b32 exec_lo, exec_lo, s11
	v_xad_u32 v4, v62, -1, s24
	s_mov_b32 s25, 0
	s_mov_b32 s11, exec_lo
	s_delay_alu instid0(VALU_DEP_1)
	v_add_nc_u32_e32 v8, 32, v4
	s_wait_kmcnt 0x0
	global_load_b64 v[6:7], v8, s[20:21] scale_offset scope:SCOPE_DEV
	s_wait_loadcnt 0x0
	v_and_b32_e32 v3, 0xff, v7
	s_wait_xcnt 0x0
	s_delay_alu instid0(VALU_DEP_1)
	v_cmpx_eq_u16_e32 0, v3
	s_cbranch_execz .LBB1287_48
; %bb.45:
	v_lshl_add_u64 v[8:9], v[8:9], 3, s[20:21]
.LBB1287_46:                            ; =>This Inner Loop Header: Depth=1
	global_load_b64 v[6:7], v[8:9], off scope:SCOPE_DEV
	s_wait_loadcnt 0x0
	v_and_b32_e32 v3, 0xff, v7
	s_delay_alu instid0(VALU_DEP_1)
	v_cmp_ne_u16_e32 vcc_lo, 0, v3
	s_or_b32 s25, vcc_lo, s25
	s_wait_xcnt 0x0
	s_and_not1_b32 exec_lo, exec_lo, s25
	s_cbranch_execnz .LBB1287_46
; %bb.47:
	s_or_b32 exec_lo, exec_lo, s25
.LBB1287_48:
	s_delay_alu instid0(SALU_CYCLE_1)
	s_or_b32 exec_lo, exec_lo, s11
	v_cmp_ne_u32_e32 vcc_lo, 31, v62
	v_lshlrev_b32_e64 v13, v62, -1
	v_dual_add_nc_u32 v15, 2, v62 :: v_dual_add_nc_u32 v17, 4, v62
	v_dual_add_nc_u32 v65, 8, v62 :: v_dual_add_nc_u32 v67, 16, v62
	v_add_co_ci_u32_e64 v3, null, 0, v62, vcc_lo
	v_lshl_or_b32 v66, v62, 2, 64
	s_delay_alu instid0(VALU_DEP_2)
	v_lshlrev_b32_e32 v12, 2, v3
	v_and_b32_e32 v3, 0xff, v7
	ds_bpermute_b32 v5, v12, v6
	v_cmp_eq_u16_e32 vcc_lo, 2, v3
	v_and_or_b32 v3, vcc_lo, v13, 0x80000000
	v_cmp_gt_u32_e32 vcc_lo, 30, v62
	s_delay_alu instid0(VALU_DEP_2) | instskip(SKIP_1) | instid1(VALU_DEP_2)
	v_ctz_i32_b32_e32 v3, v3
	v_cndmask_b32_e64 v8, 0, 2, vcc_lo
	v_cmp_lt_u32_e32 vcc_lo, v62, v3
	s_delay_alu instid0(VALU_DEP_2)
	v_add_lshl_u32 v14, v8, v62, 2
	s_wait_dscnt 0x0
	v_cndmask_b32_e32 v5, 0, v5, vcc_lo
	v_cmp_gt_u32_e32 vcc_lo, 28, v62
	v_cndmask_b32_e64 v8, 0, 4, vcc_lo
	v_cmp_le_u32_e32 vcc_lo, v15, v3
	s_delay_alu instid0(VALU_DEP_4) | instskip(NEXT) | instid1(VALU_DEP_3)
	v_add_nc_u32_e32 v5, v5, v6
	v_add_lshl_u32 v16, v8, v62, 2
	ds_bpermute_b32 v6, v14, v5
	s_wait_dscnt 0x0
	v_cndmask_b32_e32 v6, 0, v6, vcc_lo
	v_cmp_gt_u32_e32 vcc_lo, 24, v62
	v_cndmask_b32_e64 v8, 0, 8, vcc_lo
	v_cmp_le_u32_e32 vcc_lo, v17, v3
	s_delay_alu instid0(VALU_DEP_4) | instskip(NEXT) | instid1(VALU_DEP_3)
	v_add_nc_u32_e32 v5, v5, v6
	v_add_lshl_u32 v54, v8, v62, 2
	ds_bpermute_b32 v6, v16, v5
	s_wait_dscnt 0x0
	v_cndmask_b32_e32 v6, 0, v6, vcc_lo
	v_cmp_le_u32_e32 vcc_lo, v65, v3
	s_delay_alu instid0(VALU_DEP_2) | instskip(SKIP_4) | instid1(VALU_DEP_2)
	v_add_nc_u32_e32 v5, v5, v6
	ds_bpermute_b32 v6, v54, v5
	s_wait_dscnt 0x0
	v_cndmask_b32_e32 v6, 0, v6, vcc_lo
	v_cmp_le_u32_e32 vcc_lo, v67, v3
	v_add_nc_u32_e32 v5, v5, v6
	ds_bpermute_b32 v6, v66, v5
	s_wait_dscnt 0x0
	v_cndmask_b32_e32 v3, 0, v6, vcc_lo
	s_delay_alu instid0(VALU_DEP_1)
	v_dual_mov_b32 v5, 0 :: v_dual_add_nc_u32 v6, v5, v3
	s_branch .LBB1287_52
.LBB1287_49:                            ;   in Loop: Header=BB1287_52 Depth=1
	s_or_b32 exec_lo, exec_lo, s25
.LBB1287_50:                            ;   in Loop: Header=BB1287_52 Depth=1
	s_delay_alu instid0(SALU_CYCLE_1)
	s_or_b32 exec_lo, exec_lo, s11
	v_and_b32_e32 v8, 0xff, v7
	ds_bpermute_b32 v9, v12, v6
	v_subrev_nc_u32_e32 v4, 32, v4
	s_mov_b32 s11, 0
	v_cmp_eq_u16_e32 vcc_lo, 2, v8
	v_and_or_b32 v8, vcc_lo, v13, 0x80000000
	s_delay_alu instid0(VALU_DEP_1) | instskip(NEXT) | instid1(VALU_DEP_1)
	v_ctz_i32_b32_e32 v8, v8
	v_cmp_lt_u32_e32 vcc_lo, v62, v8
	s_wait_dscnt 0x0
	v_cndmask_b32_e32 v9, 0, v9, vcc_lo
	v_cmp_le_u32_e32 vcc_lo, v15, v8
	s_delay_alu instid0(VALU_DEP_2) | instskip(SKIP_4) | instid1(VALU_DEP_2)
	v_add_nc_u32_e32 v6, v9, v6
	ds_bpermute_b32 v9, v14, v6
	s_wait_dscnt 0x0
	v_cndmask_b32_e32 v9, 0, v9, vcc_lo
	v_cmp_le_u32_e32 vcc_lo, v17, v8
	v_add_nc_u32_e32 v6, v6, v9
	ds_bpermute_b32 v9, v16, v6
	s_wait_dscnt 0x0
	v_cndmask_b32_e32 v9, 0, v9, vcc_lo
	v_cmp_le_u32_e32 vcc_lo, v65, v8
	s_delay_alu instid0(VALU_DEP_2) | instskip(SKIP_4) | instid1(VALU_DEP_2)
	v_add_nc_u32_e32 v6, v6, v9
	ds_bpermute_b32 v9, v54, v6
	s_wait_dscnt 0x0
	v_cndmask_b32_e32 v9, 0, v9, vcc_lo
	v_cmp_le_u32_e32 vcc_lo, v67, v8
	v_add_nc_u32_e32 v6, v6, v9
	ds_bpermute_b32 v9, v66, v6
	s_wait_dscnt 0x0
	v_cndmask_b32_e32 v8, 0, v9, vcc_lo
	s_delay_alu instid0(VALU_DEP_1)
	v_add3_u32 v6, v8, v3, v6
.LBB1287_51:                            ;   in Loop: Header=BB1287_52 Depth=1
	s_and_b32 vcc_lo, exec_lo, s11
	s_cbranch_vccnz .LBB1287_57
.LBB1287_52:                            ; =>This Loop Header: Depth=1
                                        ;     Child Loop BB1287_55 Depth 2
	v_and_b32_e32 v3, 0xff, v7
	s_mov_b32 s11, -1
                                        ; implicit-def: $vgpr7
	s_delay_alu instid0(VALU_DEP_1)
	v_cmp_ne_u16_e32 vcc_lo, 2, v3
	v_mov_b32_e32 v3, v6
                                        ; implicit-def: $vgpr6
	s_cmp_lg_u32 vcc_lo, exec_lo
	s_cbranch_scc1 .LBB1287_51
; %bb.53:                               ;   in Loop: Header=BB1287_52 Depth=1
	global_load_b64 v[6:7], v4, s[20:21] scale_offset scope:SCOPE_DEV
	s_mov_b32 s11, exec_lo
	s_wait_loadcnt 0x0
	v_and_b32_e32 v8, 0xff, v7
	s_wait_xcnt 0x0
	s_delay_alu instid0(VALU_DEP_1)
	v_cmpx_eq_u16_e32 0, v8
	s_cbranch_execz .LBB1287_50
; %bb.54:                               ;   in Loop: Header=BB1287_52 Depth=1
	v_lshl_add_u64 v[8:9], v[4:5], 3, s[20:21]
	s_mov_b32 s25, 0
.LBB1287_55:                            ;   Parent Loop BB1287_52 Depth=1
                                        ; =>  This Inner Loop Header: Depth=2
	global_load_b64 v[6:7], v[8:9], off scope:SCOPE_DEV
	s_wait_loadcnt 0x0
	v_and_b32_e32 v68, 0xff, v7
	s_delay_alu instid0(VALU_DEP_1)
	v_cmp_ne_u16_e32 vcc_lo, 0, v68
	s_or_b32 s25, vcc_lo, s25
	s_wait_xcnt 0x0
	s_and_not1_b32 exec_lo, exec_lo, s25
	s_cbranch_execnz .LBB1287_55
	s_branch .LBB1287_49
.LBB1287_56:
                                        ; implicit-def: $vgpr2_vgpr3_vgpr4_vgpr5_vgpr6_vgpr7_vgpr8_vgpr9_vgpr10_vgpr11_vgpr12_vgpr13_vgpr14_vgpr15_vgpr16_vgpr17
                                        ; implicit-def: $vgpr54
                                        ; implicit-def: $vgpr16
	s_and_b32 vcc_lo, exec_lo, s6
	s_cbranch_vccnz .LBB1287_62
	s_branch .LBB1287_71
.LBB1287_57:
	s_and_saveexec_b32 s11, s6
	s_cbranch_execz .LBB1287_59
; %bb.58:
	s_add_co_i32 s24, s24, 32
	v_dual_mov_b32 v5, 2 :: v_dual_add_nc_u32 v4, v3, v2
	v_dual_mov_b32 v6, s24 :: v_dual_mov_b32 v7, 0
	global_store_b64 v6, v[4:5], s[20:21] scale_offset scope:SCOPE_DEV
	ds_store_b64 v7, v[2:3] offset:13312
.LBB1287_59:
	s_wait_xcnt 0x0
	s_or_b32 exec_lo, exec_lo, s11
	v_cmp_eq_u32_e32 vcc_lo, 0, v0
	s_and_b32 exec_lo, exec_lo, vcc_lo
; %bb.60:
	v_mov_b32_e32 v2, 0
	ds_store_b32 v2, v3 offset:28
.LBB1287_61:
	s_or_b32 exec_lo, exec_lo, s7
	s_wait_dscnt 0x0
	v_dual_mov_b32 v12, 0 :: v_dual_cndmask_b32 v3, v11, v10, s6
	s_wait_storecnt 0x0
	s_barrier_signal -1
	s_barrier_wait -1
	ds_load_b32 v2, v12 offset:28
	v_cmp_ne_u32_e32 vcc_lo, 0, v0
	s_wait_dscnt 0x0
	s_barrier_signal -1
	s_barrier_wait -1
	v_cndmask_b32_e32 v3, 0, v3, vcc_lo
	ds_load_b64 v[16:17], v12 offset:13312
	v_add_nc_u32_e32 v2, v2, v3
	s_wait_dscnt 0x0
	s_delay_alu instid0(VALU_DEP_1) | instskip(NEXT) | instid1(VALU_DEP_1)
	v_dual_mov_b32 v54, v17 :: v_dual_add_nc_u32 v3, v2, v55
	v_add_nc_u32_e32 v4, v3, v41
	s_delay_alu instid0(VALU_DEP_1) | instskip(NEXT) | instid1(VALU_DEP_1)
	v_add_nc_u32_e32 v5, v4, v39
	v_add_nc_u32_e32 v6, v5, v37
	s_delay_alu instid0(VALU_DEP_1) | instskip(NEXT) | instid1(VALU_DEP_1)
	v_add_nc_u32_e32 v7, v6, v56
	;; [unrolled: 3-line block ×5, first 2 shown]
	v_add_nc_u32_e32 v14, v13, v29
	s_branch .LBB1287_71
.LBB1287_62:
	v_mov_b32_dpp v2, v64 row_shr:1 row_mask:0xf bank_mask:0xf
	s_delay_alu instid0(VALU_DEP_1) | instskip(NEXT) | instid1(VALU_DEP_1)
	v_cndmask_b32_e64 v2, v2, 0, s5
	v_add_nc_u32_e32 v2, v2, v64
	s_delay_alu instid0(VALU_DEP_1) | instskip(NEXT) | instid1(VALU_DEP_1)
	v_mov_b32_dpp v3, v2 row_shr:2 row_mask:0xf bank_mask:0xf
	v_cndmask_b32_e64 v3, 0, v3, s4
	s_delay_alu instid0(VALU_DEP_1) | instskip(NEXT) | instid1(VALU_DEP_1)
	v_add_nc_u32_e32 v2, v2, v3
	v_mov_b32_dpp v3, v2 row_shr:4 row_mask:0xf bank_mask:0xf
	s_delay_alu instid0(VALU_DEP_1) | instskip(NEXT) | instid1(VALU_DEP_1)
	v_cndmask_b32_e64 v3, 0, v3, s3
	v_add_nc_u32_e32 v2, v2, v3
	s_delay_alu instid0(VALU_DEP_1) | instskip(NEXT) | instid1(VALU_DEP_1)
	v_mov_b32_dpp v3, v2 row_shr:8 row_mask:0xf bank_mask:0xf
	v_cndmask_b32_e64 v3, 0, v3, s2
	s_delay_alu instid0(VALU_DEP_1) | instskip(SKIP_3) | instid1(VALU_DEP_1)
	v_add_nc_u32_e32 v2, v2, v3
	ds_swizzle_b32 v3, v2 offset:swizzle(BROADCAST,32,15)
	s_wait_dscnt 0x0
	v_cndmask_b32_e64 v3, v3, 0, s1
	v_add_nc_u32_e32 v2, v2, v3
	s_and_saveexec_b32 s1, s0
; %bb.63:
	v_lshlrev_b32_e32 v3, 2, v63
	ds_store_b32 v3, v2
; %bb.64:
	s_or_b32 exec_lo, exec_lo, s1
	s_delay_alu instid0(SALU_CYCLE_1)
	s_mov_b32 s0, exec_lo
	s_wait_dscnt 0x0
	s_barrier_signal -1
	s_barrier_wait -1
	v_cmpx_gt_u32_e32 8, v0
	s_cbranch_execz .LBB1287_66
; %bb.65:
	ds_load_b32 v3, v19
	s_wait_dscnt 0x0
	v_mov_b32_dpp v5, v3 row_shr:1 row_mask:0xf bank_mask:0xf
	v_and_b32_e32 v4, 7, v62
	s_delay_alu instid0(VALU_DEP_1) | instskip(NEXT) | instid1(VALU_DEP_3)
	v_cmp_ne_u32_e32 vcc_lo, 0, v4
	v_cndmask_b32_e32 v5, 0, v5, vcc_lo
	v_cmp_lt_u32_e32 vcc_lo, 1, v4
	s_delay_alu instid0(VALU_DEP_2) | instskip(NEXT) | instid1(VALU_DEP_1)
	v_add_nc_u32_e32 v3, v5, v3
	v_mov_b32_dpp v5, v3 row_shr:2 row_mask:0xf bank_mask:0xf
	s_delay_alu instid0(VALU_DEP_1) | instskip(SKIP_1) | instid1(VALU_DEP_2)
	v_cndmask_b32_e32 v5, 0, v5, vcc_lo
	v_cmp_lt_u32_e32 vcc_lo, 3, v4
	v_add_nc_u32_e32 v3, v3, v5
	s_delay_alu instid0(VALU_DEP_1) | instskip(NEXT) | instid1(VALU_DEP_1)
	v_mov_b32_dpp v5, v3 row_shr:4 row_mask:0xf bank_mask:0xf
	v_cndmask_b32_e32 v4, 0, v5, vcc_lo
	s_delay_alu instid0(VALU_DEP_1)
	v_add_nc_u32_e32 v3, v3, v4
	ds_store_b32 v19, v3
.LBB1287_66:
	s_or_b32 exec_lo, exec_lo, s0
	v_dual_mov_b32 v4, 0 :: v_dual_mov_b32 v3, 0
	s_mov_b32 s0, exec_lo
	s_wait_dscnt 0x0
	s_barrier_signal -1
	s_barrier_wait -1
	v_cmpx_lt_u32_e32 31, v0
; %bb.67:
	v_lshl_add_u32 v3, v63, 2, -4
	ds_load_b32 v3, v3
; %bb.68:
	s_or_b32 exec_lo, exec_lo, s0
	v_sub_co_u32 v5, vcc_lo, v62, 1
	ds_load_b32 v16, v4 offset:28
	v_cmp_gt_i32_e64 s0, 0, v5
	s_delay_alu instid0(VALU_DEP_1) | instskip(SKIP_3) | instid1(VALU_DEP_3)
	v_cndmask_b32_e64 v5, v5, v62, s0
	s_wait_dscnt 0x1
	v_add_nc_u32_e32 v2, v3, v2
	v_cmp_eq_u32_e64 s0, 0, v0
	v_lshlrev_b32_e32 v5, 2, v5
	ds_bpermute_b32 v2, v5, v2
	s_and_saveexec_b32 s1, s0
	s_cbranch_execz .LBB1287_70
; %bb.69:
	v_dual_mov_b32 v4, 0 :: v_dual_mov_b32 v17, 2
	s_wait_dscnt 0x1
	s_wait_kmcnt 0x0
	global_store_b64 v4, v[16:17], s[20:21] offset:256 scope:SCOPE_DEV
.LBB1287_70:
	s_wait_xcnt 0x0
	s_or_b32 exec_lo, exec_lo, s1
	s_wait_dscnt 0x0
	v_cndmask_b32_e32 v2, v2, v3, vcc_lo
	s_wait_storecnt 0x0
	s_barrier_signal -1
	s_barrier_wait -1
	s_delay_alu instid0(VALU_DEP_1) | instskip(NEXT) | instid1(VALU_DEP_1)
	v_cndmask_b32_e64 v2, v2, 0, s0
	v_dual_mov_b32 v54, 0 :: v_dual_add_nc_u32 v3, v2, v55
	s_delay_alu instid0(VALU_DEP_1) | instskip(NEXT) | instid1(VALU_DEP_1)
	v_add_nc_u32_e32 v4, v3, v41
	v_add_nc_u32_e32 v5, v4, v39
	s_delay_alu instid0(VALU_DEP_1) | instskip(NEXT) | instid1(VALU_DEP_1)
	v_add_nc_u32_e32 v6, v5, v37
	v_add_nc_u32_e32 v7, v6, v56
	;; [unrolled: 3-line block ×5, first 2 shown]
	s_delay_alu instid0(VALU_DEP_1)
	v_add_nc_u32_e32 v14, v13, v29
.LBB1287_71:
	v_dual_lshrrev_b32 v55, 16, v35 :: v_dual_lshrrev_b32 v56, 8, v35
	v_dual_add_nc_u32 v23, v16, v23 :: v_dual_sub_nc_u32 v3, v3, v54
	v_dual_sub_nc_u32 v2, v2, v54 :: v_dual_bitop2_b32 v35, 1, v35 bitop3:0x40
	s_delay_alu instid0(VALU_DEP_3) | instskip(NEXT) | instid1(VALU_DEP_4)
	v_dual_sub_nc_u32 v4, v4, v54 :: v_dual_bitop2_b32 v56, 1, v56 bitop3:0x40
	v_and_b32_e32 v55, 1, v55
	s_delay_alu instid0(VALU_DEP_3) | instskip(NEXT) | instid1(VALU_DEP_4)
	v_dual_sub_nc_u32 v57, v23, v3 :: v_dual_sub_nc_u32 v58, v23, v2
	v_cmp_eq_u32_e32 vcc_lo, 1, v35
	s_delay_alu instid0(VALU_DEP_4) | instskip(NEXT) | instid1(VALU_DEP_3)
	v_dual_sub_nc_u32 v5, v5, v54 :: v_dual_sub_nc_u32 v59, v23, v4
	v_dual_add_nc_u32 v57, 1, v57 :: v_dual_sub_nc_u32 v6, v6, v54
	s_delay_alu instid0(VALU_DEP_4) | instskip(SKIP_1) | instid1(VALU_DEP_4)
	v_cndmask_b32_e32 v2, v58, v2, vcc_lo
	v_cmp_eq_u32_e32 vcc_lo, 1, v56
	v_dual_sub_nc_u32 v35, v23, v5 :: v_dual_add_nc_u32 v56, 2, v59
	v_dual_lshrrev_b32 v41, 8, v31 :: v_dual_lshrrev_b32 v39, 16, v31
	v_dual_cndmask_b32 v3, v57, v3, vcc_lo :: v_dual_bitop2_b32 v37, 1, v37 bitop3:0x40
	v_lshlrev_b32_e32 v2, 2, v2
	v_cmp_eq_u32_e32 vcc_lo, 1, v55
	v_add_nc_u32_e32 v35, 3, v35
	s_delay_alu instid0(VALU_DEP_4)
	v_lshlrev_b32_e32 v3, 2, v3
	v_dual_lshrrev_b32 v15, 16, v27 :: v_dual_lshrrev_b32 v17, 8, v27
	v_cndmask_b32_e32 v4, v56, v4, vcc_lo
	v_cmp_eq_u32_e32 vcc_lo, 1, v37
	ds_store_b32 v2, v52
	ds_store_b32 v3, v53
	v_dual_lshlrev_b32 v3, 2, v4 :: v_dual_cndmask_b32 v5, v35, v5, vcc_lo
	s_delay_alu instid0(VALU_DEP_1) | instskip(SKIP_1) | instid1(VALU_DEP_2)
	v_dual_sub_nc_u32 v2, v23, v6 :: v_dual_lshlrev_b32 v4, 2, v5
	v_dual_sub_nc_u32 v5, v7, v54 :: v_dual_bitop2_b32 v7, 1, v31 bitop3:0x40
	v_add_nc_u32_e32 v2, 4, v2
	ds_store_b32 v3, v50
	ds_store_b32 v4, v51
	v_sub_nc_u32_e32 v3, v23, v5
	v_cmp_eq_u32_e32 vcc_lo, 1, v7
	s_delay_alu instid0(VALU_DEP_2) | instskip(SKIP_1) | instid1(VALU_DEP_2)
	v_dual_sub_nc_u32 v4, v8, v54 :: v_dual_add_nc_u32 v3, 5, v3
	v_dual_cndmask_b32 v2, v2, v6, vcc_lo :: v_dual_bitop2_b32 v6, 1, v41 bitop3:0x40
	v_dual_sub_nc_u32 v7, v9, v54 :: v_dual_sub_nc_u32 v8, v23, v4
	s_delay_alu instid0(VALU_DEP_2) | instskip(NEXT) | instid1(VALU_DEP_2)
	v_cmp_eq_u32_e32 vcc_lo, 1, v6
	v_dual_lshlrev_b32 v2, 2, v2 :: v_dual_add_nc_u32 v8, 6, v8
	v_cndmask_b32_e32 v3, v3, v5, vcc_lo
	s_delay_alu instid0(VALU_DEP_4)
	v_sub_nc_u32_e32 v5, v23, v7
	v_and_b32_e32 v6, 1, v39
	ds_store_b32 v2, v48
	v_dual_lshlrev_b32 v3, 2, v3 :: v_dual_add_nc_u32 v5, 7, v5
	v_cmp_eq_u32_e32 vcc_lo, 1, v6
	v_dual_sub_nc_u32 v6, v11, v54 :: v_dual_bitop2_b32 v2, 1, v33 bitop3:0x40
	ds_store_b32 v3, v49
	v_cndmask_b32_e32 v4, v8, v4, vcc_lo
	v_cmp_eq_u32_e32 vcc_lo, 1, v2
	s_delay_alu instid0(VALU_DEP_2)
	v_dual_lshlrev_b32 v4, 2, v4 :: v_dual_cndmask_b32 v2, v5, v7, vcc_lo
	v_dual_sub_nc_u32 v5, v10, v54 :: v_dual_bitop2_b32 v7, 1, v17 bitop3:0x40
	v_sub_nc_u32_e32 v3, v23, v6
	ds_store_b32 v4, v46
	v_dual_sub_nc_u32 v4, v23, v5 :: v_dual_lshlrev_b32 v2, 2, v2
	v_add_nc_u32_e32 v3, 9, v3
	v_cmp_eq_u32_e32 vcc_lo, 1, v7
	s_delay_alu instid0(VALU_DEP_3) | instskip(SKIP_3) | instid1(VALU_DEP_2)
	v_dual_sub_nc_u32 v7, v12, v54 :: v_dual_add_nc_u32 v4, 8, v4
	ds_store_b32 v2, v47
	v_dual_cndmask_b32 v3, v3, v6, vcc_lo :: v_dual_bitop2_b32 v2, 1, v27 bitop3:0x40
	v_dual_sub_nc_u32 v6, v13, v54 :: v_dual_sub_nc_u32 v8, v14, v54
	v_cmp_eq_u32_e32 vcc_lo, 1, v2
	v_dual_cndmask_b32 v2, v4, v5 :: v_dual_sub_nc_u32 v5, v23, v7
	s_delay_alu instid0(VALU_DEP_3) | instskip(SKIP_1) | instid1(VALU_DEP_3)
	v_dual_sub_nc_u32 v4, v23, v6 :: v_dual_sub_nc_u32 v9, v23, v8
	v_and_b32_e32 v10, 1, v15
	v_dual_lshlrev_b32 v2, 2, v2 :: v_dual_bitop2_b32 v12, 1, v25 bitop3:0x40
	s_delay_alu instid0(VALU_DEP_3) | instskip(NEXT) | instid1(VALU_DEP_1)
	v_dual_add_nc_u32 v4, 11, v4 :: v_dual_bitop2_b32 v11, 1, v29 bitop3:0x40
	v_cmp_eq_u32_e32 vcc_lo, 1, v11
	s_delay_alu instid0(VALU_DEP_2) | instskip(SKIP_3) | instid1(VALU_DEP_1)
	v_cndmask_b32_e32 v4, v4, v6, vcc_lo
	v_cmp_eq_u32_e32 vcc_lo, 1, v10
	v_add_nc_u32_e32 v9, 12, v9
	v_add_nc_u32_e32 v5, 10, v5
	v_cndmask_b32_e32 v5, v5, v7, vcc_lo
	v_cmp_eq_u32_e32 vcc_lo, 1, v12
	s_delay_alu instid0(VALU_DEP_2) | instskip(SKIP_3) | instid1(VALU_DEP_3)
	v_dual_lshlrev_b32 v3, 2, v3 :: v_dual_lshlrev_b32 v5, 2, v5
	v_cndmask_b32_e32 v6, v9, v8, vcc_lo
	v_lshlrev_b32_e32 v4, 2, v4
	v_cmp_ne_u32_e32 vcc_lo, 1, v21
	v_lshlrev_b32_e32 v6, 2, v6
	ds_store_b32 v2, v44
	ds_store_b32 v3, v45
	;; [unrolled: 1-line block ×5, first 2 shown]
	s_wait_dscnt 0x0
	s_barrier_signal -1
	s_barrier_wait -1
	ds_load_2addr_stride64_b32 v[14:15], v19 offset1:4
	ds_load_2addr_stride64_b32 v[12:13], v19 offset0:8 offset1:12
	ds_load_2addr_stride64_b32 v[10:11], v19 offset0:16 offset1:20
	;; [unrolled: 1-line block ×5, first 2 shown]
	ds_load_b32 v46, v19 offset:12288
	v_mov_b32_e32 v1, 0
	s_and_b32 vcc_lo, exec_lo, vcc_lo
	s_delay_alu instid0(VALU_DEP_1) | instskip(SKIP_3) | instid1(VALU_DEP_3)
	v_dual_mov_b32 v29, v1 :: v_dual_mov_b32 v55, v1
	v_dual_mov_b32 v41, v1 :: v_dual_mov_b32 v39, v1
	;; [unrolled: 1-line block ×3, first 2 shown]
	s_wait_kmcnt 0x0
	v_add_nc_u64_e32 v[2:3], s[18:19], v[54:55]
	v_dual_mov_b32 v33, v1 :: v_dual_mov_b32 v31, v1
	v_dual_mov_b32 v27, v1 :: v_dual_mov_b32 v25, v1
	;; [unrolled: 1-line block ×3, first 2 shown]
	v_mov_b32_e32 v19, v1
	s_cbranch_vccnz .LBB1287_125
; %bb.72:
	v_mov_b32_e32 v17, v1
	s_mov_b32 s11, 0
	v_sub_nc_u64_e64 v[42:43], v[2:3], s[12:13]
	s_sub_nc_u64 s[0:1], s[14:15], s[10:11]
	s_delay_alu instid0(VALU_DEP_2) | instid1(SALU_CYCLE_1)
	v_add_nc_u64_e32 v[44:45], s[0:1], v[16:17]
	s_mov_b32 s0, exec_lo
	s_delay_alu instid0(VALU_DEP_1)
	v_add_nc_u64_e32 v[42:43], v[44:45], v[42:43]
                                        ; implicit-def: $vgpr44_vgpr45
	v_cmpx_ge_u32_e64 v0, v16
	s_xor_b32 s0, exec_lo, s0
; %bb.73:
	v_not_b32_e32 v44, v0
	s_delay_alu instid0(VALU_DEP_1) | instskip(NEXT) | instid1(VALU_DEP_1)
	v_ashrrev_i32_e32 v45, 31, v44
	v_add_nc_u64_e32 v[44:45], v[42:43], v[44:45]
; %bb.74:
	s_and_not1_saveexec_b32 s0, s0
; %bb.75:
	v_add_nc_u64_e32 v[44:45], v[2:3], v[0:1]
; %bb.76:
	s_or_b32 exec_lo, exec_lo, s0
	s_delay_alu instid0(VALU_DEP_1)
	v_lshl_add_u64 v[44:45], v[44:45], 2, s[16:17]
	s_mov_b32 s0, exec_lo
	s_wait_dscnt 0x6
	global_store_b32 v[44:45], v14, off
                                        ; implicit-def: $vgpr44_vgpr45
	s_wait_xcnt 0x0
	v_cmpx_ge_u32_e64 v40, v16
	s_xor_b32 s0, exec_lo, s0
; %bb.77:
	v_xor_b32_e32 v44, 0xfffffeff, v0
	s_delay_alu instid0(VALU_DEP_1) | instskip(NEXT) | instid1(VALU_DEP_1)
	v_ashrrev_i32_e32 v45, 31, v44
	v_add_nc_u64_e32 v[44:45], v[42:43], v[44:45]
; %bb.78:
	s_and_not1_saveexec_b32 s0, s0
; %bb.79:
	v_add_nc_u64_e32 v[44:45], v[2:3], v[40:41]
; %bb.80:
	s_or_b32 exec_lo, exec_lo, s0
	s_delay_alu instid0(VALU_DEP_1)
	v_lshl_add_u64 v[44:45], v[44:45], 2, s[16:17]
	s_mov_b32 s0, exec_lo
	global_store_b32 v[44:45], v15, off
                                        ; implicit-def: $vgpr44_vgpr45
	s_wait_xcnt 0x0
	v_cmpx_ge_u32_e64 v38, v16
	s_xor_b32 s0, exec_lo, s0
; %bb.81:
	v_xor_b32_e32 v44, 0xfffffdff, v0
	s_delay_alu instid0(VALU_DEP_1) | instskip(NEXT) | instid1(VALU_DEP_1)
	v_ashrrev_i32_e32 v45, 31, v44
	v_add_nc_u64_e32 v[44:45], v[42:43], v[44:45]
; %bb.82:
	s_and_not1_saveexec_b32 s0, s0
; %bb.83:
	v_add_nc_u64_e32 v[44:45], v[2:3], v[38:39]
; %bb.84:
	s_or_b32 exec_lo, exec_lo, s0
	s_delay_alu instid0(VALU_DEP_1)
	v_lshl_add_u64 v[44:45], v[44:45], 2, s[16:17]
	s_mov_b32 s0, exec_lo
	s_wait_dscnt 0x5
	global_store_b32 v[44:45], v12, off
                                        ; implicit-def: $vgpr44_vgpr45
	s_wait_xcnt 0x0
	v_cmpx_ge_u32_e64 v36, v16
	s_xor_b32 s0, exec_lo, s0
; %bb.85:
	v_xor_b32_e32 v44, 0xfffffcff, v0
	s_delay_alu instid0(VALU_DEP_1) | instskip(NEXT) | instid1(VALU_DEP_1)
	v_ashrrev_i32_e32 v45, 31, v44
	v_add_nc_u64_e32 v[44:45], v[42:43], v[44:45]
; %bb.86:
	s_and_not1_saveexec_b32 s0, s0
; %bb.87:
	v_add_nc_u64_e32 v[44:45], v[2:3], v[36:37]
; %bb.88:
	s_or_b32 exec_lo, exec_lo, s0
	s_delay_alu instid0(VALU_DEP_1)
	v_lshl_add_u64 v[44:45], v[44:45], 2, s[16:17]
	s_mov_b32 s0, exec_lo
	global_store_b32 v[44:45], v13, off
                                        ; implicit-def: $vgpr44_vgpr45
	s_wait_xcnt 0x0
	v_cmpx_ge_u32_e64 v34, v16
	s_xor_b32 s0, exec_lo, s0
; %bb.89:
	v_xor_b32_e32 v44, 0xfffffbff, v0
	;; [unrolled: 39-line block ×6, first 2 shown]
	s_delay_alu instid0(VALU_DEP_1) | instskip(NEXT) | instid1(VALU_DEP_1)
	v_ashrrev_i32_e32 v45, 31, v44
	v_add_nc_u64_e32 v[44:45], v[42:43], v[44:45]
; %bb.122:
	s_and_not1_saveexec_b32 s0, s0
; %bb.123:
	v_add_nc_u64_e32 v[44:45], v[2:3], v[18:19]
; %bb.124:
	s_or_b32 exec_lo, exec_lo, s0
	s_mov_b32 s0, -1
	s_branch .LBB1287_205
.LBB1287_125:
	s_mov_b32 s0, 0
                                        ; implicit-def: $vgpr44_vgpr45
	s_cbranch_execz .LBB1287_205
; %bb.126:
	s_mov_b32 s11, 0
	v_mov_b32_e32 v17, 0
	s_add_nc_u64 s[2:3], s[12:13], s[10:11]
	s_mov_b32 s1, exec_lo
	s_sub_nc_u64 s[2:3], s[14:15], s[2:3]
	s_delay_alu instid0(VALU_DEP_1) | instid1(SALU_CYCLE_1)
	v_add_nc_u64_e32 v[42:43], s[2:3], v[16:17]
	s_delay_alu instid0(VALU_DEP_1)
	v_add_nc_u64_e32 v[42:43], v[42:43], v[2:3]
	v_cmpx_gt_u32_e64 s23, v0
	s_cbranch_execz .LBB1287_162
; %bb.127:
	s_mov_b32 s2, exec_lo
                                        ; implicit-def: $vgpr44_vgpr45
	v_cmpx_ge_u32_e64 v0, v16
	s_xor_b32 s2, exec_lo, s2
; %bb.128:
	v_not_b32_e32 v44, v0
	s_delay_alu instid0(VALU_DEP_1) | instskip(NEXT) | instid1(VALU_DEP_1)
	v_ashrrev_i32_e32 v45, 31, v44
	v_add_nc_u64_e32 v[44:45], v[42:43], v[44:45]
; %bb.129:
	s_and_not1_saveexec_b32 s2, s2
; %bb.130:
	v_add_nc_u64_e32 v[44:45], v[2:3], v[0:1]
; %bb.131:
	s_or_b32 exec_lo, exec_lo, s2
	s_delay_alu instid0(VALU_DEP_1) | instskip(SKIP_4) | instid1(SALU_CYCLE_1)
	v_lshl_add_u64 v[44:45], v[44:45], 2, s[16:17]
	s_wait_dscnt 0x6
	global_store_b32 v[44:45], v14, off
	s_wait_xcnt 0x0
	s_or_b32 exec_lo, exec_lo, s1
	s_mov_b32 s1, exec_lo
	v_cmpx_gt_u32_e64 s23, v40
	s_cbranch_execnz .LBB1287_163
.LBB1287_132:
	s_or_b32 exec_lo, exec_lo, s1
	s_delay_alu instid0(SALU_CYCLE_1)
	s_mov_b32 s1, exec_lo
	v_cmpx_gt_u32_e64 s23, v38
	s_cbranch_execz .LBB1287_168
.LBB1287_133:
	s_mov_b32 s2, exec_lo
                                        ; implicit-def: $vgpr14_vgpr15
	v_cmpx_ge_u32_e64 v38, v16
	s_xor_b32 s2, exec_lo, s2
	s_cbranch_execz .LBB1287_135
; %bb.134:
	s_wait_dscnt 0x6
	v_xor_b32_e32 v14, 0xfffffdff, v0
                                        ; implicit-def: $vgpr38_vgpr39
	s_delay_alu instid0(VALU_DEP_1) | instskip(NEXT) | instid1(VALU_DEP_1)
	v_ashrrev_i32_e32 v15, 31, v14
	v_add_nc_u64_e32 v[14:15], v[42:43], v[14:15]
.LBB1287_135:
	s_and_not1_saveexec_b32 s2, s2
	s_cbranch_execz .LBB1287_137
; %bb.136:
	s_wait_dscnt 0x6
	v_add_nc_u64_e32 v[14:15], v[2:3], v[38:39]
.LBB1287_137:
	s_or_b32 exec_lo, exec_lo, s2
	s_wait_dscnt 0x6
	s_delay_alu instid0(VALU_DEP_1) | instskip(SKIP_4) | instid1(SALU_CYCLE_1)
	v_lshl_add_u64 v[14:15], v[14:15], 2, s[16:17]
	s_wait_dscnt 0x5
	global_store_b32 v[14:15], v12, off
	s_wait_xcnt 0x0
	s_or_b32 exec_lo, exec_lo, s1
	s_mov_b32 s1, exec_lo
	v_cmpx_gt_u32_e64 s23, v36
	s_cbranch_execnz .LBB1287_169
.LBB1287_138:
	s_or_b32 exec_lo, exec_lo, s1
	s_delay_alu instid0(SALU_CYCLE_1)
	s_mov_b32 s1, exec_lo
	v_cmpx_gt_u32_e64 s23, v34
	s_cbranch_execz .LBB1287_174
.LBB1287_139:
	s_mov_b32 s2, exec_lo
                                        ; implicit-def: $vgpr12_vgpr13
	v_cmpx_ge_u32_e64 v34, v16
	s_xor_b32 s2, exec_lo, s2
	s_cbranch_execz .LBB1287_141
; %bb.140:
	s_wait_dscnt 0x5
	v_xor_b32_e32 v12, 0xfffffbff, v0
                                        ; implicit-def: $vgpr34_vgpr35
	s_delay_alu instid0(VALU_DEP_1) | instskip(NEXT) | instid1(VALU_DEP_1)
	v_ashrrev_i32_e32 v13, 31, v12
	v_add_nc_u64_e32 v[12:13], v[42:43], v[12:13]
.LBB1287_141:
	s_and_not1_saveexec_b32 s2, s2
	s_cbranch_execz .LBB1287_143
; %bb.142:
	s_wait_dscnt 0x5
	v_add_nc_u64_e32 v[12:13], v[2:3], v[34:35]
.LBB1287_143:
	s_or_b32 exec_lo, exec_lo, s2
	s_wait_dscnt 0x5
	s_delay_alu instid0(VALU_DEP_1) | instskip(SKIP_4) | instid1(SALU_CYCLE_1)
	v_lshl_add_u64 v[12:13], v[12:13], 2, s[16:17]
	s_wait_dscnt 0x4
	global_store_b32 v[12:13], v10, off
	s_wait_xcnt 0x0
	s_or_b32 exec_lo, exec_lo, s1
	s_mov_b32 s1, exec_lo
	v_cmpx_gt_u32_e64 s23, v32
	s_cbranch_execnz .LBB1287_175
.LBB1287_144:
	s_or_b32 exec_lo, exec_lo, s1
	s_delay_alu instid0(SALU_CYCLE_1)
	s_mov_b32 s1, exec_lo
	v_cmpx_gt_u32_e64 s23, v30
	s_cbranch_execz .LBB1287_180
.LBB1287_145:
	s_mov_b32 s2, exec_lo
                                        ; implicit-def: $vgpr10_vgpr11
	v_cmpx_ge_u32_e64 v30, v16
	s_xor_b32 s2, exec_lo, s2
	s_cbranch_execz .LBB1287_147
; %bb.146:
	s_wait_dscnt 0x4
	v_xor_b32_e32 v10, 0xfffff9ff, v0
                                        ; implicit-def: $vgpr30_vgpr31
	s_delay_alu instid0(VALU_DEP_1) | instskip(NEXT) | instid1(VALU_DEP_1)
	v_ashrrev_i32_e32 v11, 31, v10
	v_add_nc_u64_e32 v[10:11], v[42:43], v[10:11]
.LBB1287_147:
	s_and_not1_saveexec_b32 s2, s2
	s_cbranch_execz .LBB1287_149
; %bb.148:
	s_wait_dscnt 0x4
	v_add_nc_u64_e32 v[10:11], v[2:3], v[30:31]
.LBB1287_149:
	s_or_b32 exec_lo, exec_lo, s2
	s_wait_dscnt 0x4
	s_delay_alu instid0(VALU_DEP_1) | instskip(SKIP_4) | instid1(SALU_CYCLE_1)
	v_lshl_add_u64 v[10:11], v[10:11], 2, s[16:17]
	s_wait_dscnt 0x3
	global_store_b32 v[10:11], v8, off
	s_wait_xcnt 0x0
	s_or_b32 exec_lo, exec_lo, s1
	s_mov_b32 s1, exec_lo
	v_cmpx_gt_u32_e64 s23, v28
	s_cbranch_execnz .LBB1287_181
.LBB1287_150:
	s_or_b32 exec_lo, exec_lo, s1
	s_delay_alu instid0(SALU_CYCLE_1)
	s_mov_b32 s1, exec_lo
	v_cmpx_gt_u32_e64 s23, v26
	s_cbranch_execz .LBB1287_186
.LBB1287_151:
	s_mov_b32 s2, exec_lo
                                        ; implicit-def: $vgpr8_vgpr9
	v_cmpx_ge_u32_e64 v26, v16
	s_xor_b32 s2, exec_lo, s2
	s_cbranch_execz .LBB1287_153
; %bb.152:
	s_wait_dscnt 0x3
	v_xor_b32_e32 v8, 0xfffff7ff, v0
                                        ; implicit-def: $vgpr26_vgpr27
	s_delay_alu instid0(VALU_DEP_1) | instskip(NEXT) | instid1(VALU_DEP_1)
	v_ashrrev_i32_e32 v9, 31, v8
	v_add_nc_u64_e32 v[8:9], v[42:43], v[8:9]
.LBB1287_153:
	s_and_not1_saveexec_b32 s2, s2
	s_cbranch_execz .LBB1287_155
; %bb.154:
	s_wait_dscnt 0x3
	v_add_nc_u64_e32 v[8:9], v[2:3], v[26:27]
.LBB1287_155:
	s_or_b32 exec_lo, exec_lo, s2
	s_wait_dscnt 0x3
	s_delay_alu instid0(VALU_DEP_1) | instskip(SKIP_4) | instid1(SALU_CYCLE_1)
	v_lshl_add_u64 v[8:9], v[8:9], 2, s[16:17]
	s_wait_dscnt 0x2
	global_store_b32 v[8:9], v6, off
	s_wait_xcnt 0x0
	s_or_b32 exec_lo, exec_lo, s1
	s_mov_b32 s1, exec_lo
	v_cmpx_gt_u32_e64 s23, v24
	s_cbranch_execnz .LBB1287_187
.LBB1287_156:
	s_or_b32 exec_lo, exec_lo, s1
	s_delay_alu instid0(SALU_CYCLE_1)
	s_mov_b32 s1, exec_lo
	v_cmpx_gt_u32_e64 s23, v22
	s_cbranch_execz .LBB1287_192
.LBB1287_157:
	s_mov_b32 s2, exec_lo
                                        ; implicit-def: $vgpr6_vgpr7
	v_cmpx_ge_u32_e64 v22, v16
	s_xor_b32 s2, exec_lo, s2
	s_cbranch_execz .LBB1287_159
; %bb.158:
	s_wait_dscnt 0x2
	v_xor_b32_e32 v6, 0xfffff5ff, v0
                                        ; implicit-def: $vgpr22_vgpr23
	s_delay_alu instid0(VALU_DEP_1) | instskip(NEXT) | instid1(VALU_DEP_1)
	v_ashrrev_i32_e32 v7, 31, v6
	v_add_nc_u64_e32 v[6:7], v[42:43], v[6:7]
.LBB1287_159:
	s_and_not1_saveexec_b32 s2, s2
	s_cbranch_execz .LBB1287_161
; %bb.160:
	s_wait_dscnt 0x2
	v_add_nc_u64_e32 v[6:7], v[2:3], v[22:23]
.LBB1287_161:
	s_or_b32 exec_lo, exec_lo, s2
	s_wait_dscnt 0x2
	s_delay_alu instid0(VALU_DEP_1) | instskip(SKIP_4) | instid1(SALU_CYCLE_1)
	v_lshl_add_u64 v[6:7], v[6:7], 2, s[16:17]
	s_wait_dscnt 0x1
	global_store_b32 v[6:7], v4, off
	s_wait_xcnt 0x0
	s_or_b32 exec_lo, exec_lo, s1
	s_mov_b32 s1, exec_lo
	v_cmpx_gt_u32_e64 s23, v20
	s_cbranch_execz .LBB1287_198
	s_branch .LBB1287_193
.LBB1287_162:
	s_or_b32 exec_lo, exec_lo, s1
	s_delay_alu instid0(SALU_CYCLE_1)
	s_mov_b32 s1, exec_lo
	v_cmpx_gt_u32_e64 s23, v40
	s_cbranch_execz .LBB1287_132
.LBB1287_163:
	s_mov_b32 s2, exec_lo
                                        ; implicit-def: $vgpr44_vgpr45
	v_cmpx_ge_u32_e64 v40, v16
	s_xor_b32 s2, exec_lo, s2
; %bb.164:
	v_xor_b32_e32 v40, 0xfffffeff, v0
	s_delay_alu instid0(VALU_DEP_1) | instskip(NEXT) | instid1(VALU_DEP_1)
	v_ashrrev_i32_e32 v41, 31, v40
	v_add_nc_u64_e32 v[44:45], v[42:43], v[40:41]
                                        ; implicit-def: $vgpr40_vgpr41
; %bb.165:
	s_and_not1_saveexec_b32 s2, s2
; %bb.166:
	v_add_nc_u64_e32 v[44:45], v[2:3], v[40:41]
; %bb.167:
	s_or_b32 exec_lo, exec_lo, s2
	s_delay_alu instid0(VALU_DEP_1) | instskip(SKIP_4) | instid1(SALU_CYCLE_1)
	v_lshl_add_u64 v[40:41], v[44:45], 2, s[16:17]
	s_wait_dscnt 0x6
	global_store_b32 v[40:41], v15, off
	s_wait_xcnt 0x0
	s_or_b32 exec_lo, exec_lo, s1
	s_mov_b32 s1, exec_lo
	v_cmpx_gt_u32_e64 s23, v38
	s_cbranch_execnz .LBB1287_133
.LBB1287_168:
	s_or_b32 exec_lo, exec_lo, s1
	s_delay_alu instid0(SALU_CYCLE_1)
	s_mov_b32 s1, exec_lo
	v_cmpx_gt_u32_e64 s23, v36
	s_cbranch_execz .LBB1287_138
.LBB1287_169:
	s_mov_b32 s2, exec_lo
                                        ; implicit-def: $vgpr14_vgpr15
	v_cmpx_ge_u32_e64 v36, v16
	s_xor_b32 s2, exec_lo, s2
	s_cbranch_execz .LBB1287_171
; %bb.170:
	s_wait_dscnt 0x6
	v_xor_b32_e32 v14, 0xfffffcff, v0
                                        ; implicit-def: $vgpr36_vgpr37
	s_delay_alu instid0(VALU_DEP_1) | instskip(NEXT) | instid1(VALU_DEP_1)
	v_ashrrev_i32_e32 v15, 31, v14
	v_add_nc_u64_e32 v[14:15], v[42:43], v[14:15]
.LBB1287_171:
	s_and_not1_saveexec_b32 s2, s2
	s_cbranch_execz .LBB1287_173
; %bb.172:
	s_wait_dscnt 0x6
	v_add_nc_u64_e32 v[14:15], v[2:3], v[36:37]
.LBB1287_173:
	s_or_b32 exec_lo, exec_lo, s2
	s_wait_dscnt 0x6
	s_delay_alu instid0(VALU_DEP_1) | instskip(SKIP_4) | instid1(SALU_CYCLE_1)
	v_lshl_add_u64 v[14:15], v[14:15], 2, s[16:17]
	s_wait_dscnt 0x5
	global_store_b32 v[14:15], v13, off
	s_wait_xcnt 0x0
	s_or_b32 exec_lo, exec_lo, s1
	s_mov_b32 s1, exec_lo
	v_cmpx_gt_u32_e64 s23, v34
	s_cbranch_execnz .LBB1287_139
.LBB1287_174:
	s_or_b32 exec_lo, exec_lo, s1
	s_delay_alu instid0(SALU_CYCLE_1)
	s_mov_b32 s1, exec_lo
	v_cmpx_gt_u32_e64 s23, v32
	s_cbranch_execz .LBB1287_144
.LBB1287_175:
	s_mov_b32 s2, exec_lo
                                        ; implicit-def: $vgpr12_vgpr13
	v_cmpx_ge_u32_e64 v32, v16
	s_xor_b32 s2, exec_lo, s2
	s_cbranch_execz .LBB1287_177
; %bb.176:
	s_wait_dscnt 0x5
	v_xor_b32_e32 v12, 0xfffffaff, v0
                                        ; implicit-def: $vgpr32_vgpr33
	s_delay_alu instid0(VALU_DEP_1) | instskip(NEXT) | instid1(VALU_DEP_1)
	v_ashrrev_i32_e32 v13, 31, v12
	v_add_nc_u64_e32 v[12:13], v[42:43], v[12:13]
.LBB1287_177:
	s_and_not1_saveexec_b32 s2, s2
	s_cbranch_execz .LBB1287_179
; %bb.178:
	s_wait_dscnt 0x5
	v_add_nc_u64_e32 v[12:13], v[2:3], v[32:33]
.LBB1287_179:
	s_or_b32 exec_lo, exec_lo, s2
	s_wait_dscnt 0x5
	s_delay_alu instid0(VALU_DEP_1) | instskip(SKIP_4) | instid1(SALU_CYCLE_1)
	v_lshl_add_u64 v[12:13], v[12:13], 2, s[16:17]
	s_wait_dscnt 0x4
	global_store_b32 v[12:13], v11, off
	s_wait_xcnt 0x0
	s_or_b32 exec_lo, exec_lo, s1
	s_mov_b32 s1, exec_lo
	v_cmpx_gt_u32_e64 s23, v30
	s_cbranch_execnz .LBB1287_145
.LBB1287_180:
	s_or_b32 exec_lo, exec_lo, s1
	s_delay_alu instid0(SALU_CYCLE_1)
	s_mov_b32 s1, exec_lo
	v_cmpx_gt_u32_e64 s23, v28
	s_cbranch_execz .LBB1287_150
.LBB1287_181:
	s_mov_b32 s2, exec_lo
                                        ; implicit-def: $vgpr10_vgpr11
	v_cmpx_ge_u32_e64 v28, v16
	s_xor_b32 s2, exec_lo, s2
	s_cbranch_execz .LBB1287_183
; %bb.182:
	s_wait_dscnt 0x4
	v_xor_b32_e32 v10, 0xfffff8ff, v0
                                        ; implicit-def: $vgpr28_vgpr29
	s_delay_alu instid0(VALU_DEP_1) | instskip(NEXT) | instid1(VALU_DEP_1)
	v_ashrrev_i32_e32 v11, 31, v10
	v_add_nc_u64_e32 v[10:11], v[42:43], v[10:11]
.LBB1287_183:
	s_and_not1_saveexec_b32 s2, s2
	s_cbranch_execz .LBB1287_185
; %bb.184:
	s_wait_dscnt 0x4
	v_add_nc_u64_e32 v[10:11], v[2:3], v[28:29]
.LBB1287_185:
	s_or_b32 exec_lo, exec_lo, s2
	s_wait_dscnt 0x4
	s_delay_alu instid0(VALU_DEP_1) | instskip(SKIP_4) | instid1(SALU_CYCLE_1)
	v_lshl_add_u64 v[10:11], v[10:11], 2, s[16:17]
	s_wait_dscnt 0x3
	global_store_b32 v[10:11], v9, off
	s_wait_xcnt 0x0
	s_or_b32 exec_lo, exec_lo, s1
	s_mov_b32 s1, exec_lo
	v_cmpx_gt_u32_e64 s23, v26
	s_cbranch_execnz .LBB1287_151
.LBB1287_186:
	s_or_b32 exec_lo, exec_lo, s1
	s_delay_alu instid0(SALU_CYCLE_1)
	s_mov_b32 s1, exec_lo
	v_cmpx_gt_u32_e64 s23, v24
	s_cbranch_execz .LBB1287_156
.LBB1287_187:
	s_mov_b32 s2, exec_lo
                                        ; implicit-def: $vgpr8_vgpr9
	v_cmpx_ge_u32_e64 v24, v16
	s_xor_b32 s2, exec_lo, s2
	s_cbranch_execz .LBB1287_189
; %bb.188:
	s_wait_dscnt 0x3
	v_xor_b32_e32 v8, 0xfffff6ff, v0
                                        ; implicit-def: $vgpr24_vgpr25
	s_delay_alu instid0(VALU_DEP_1) | instskip(NEXT) | instid1(VALU_DEP_1)
	v_ashrrev_i32_e32 v9, 31, v8
	v_add_nc_u64_e32 v[8:9], v[42:43], v[8:9]
.LBB1287_189:
	s_and_not1_saveexec_b32 s2, s2
	s_cbranch_execz .LBB1287_191
; %bb.190:
	s_wait_dscnt 0x3
	v_add_nc_u64_e32 v[8:9], v[2:3], v[24:25]
.LBB1287_191:
	s_or_b32 exec_lo, exec_lo, s2
	s_wait_dscnt 0x3
	s_delay_alu instid0(VALU_DEP_1) | instskip(SKIP_4) | instid1(SALU_CYCLE_1)
	v_lshl_add_u64 v[8:9], v[8:9], 2, s[16:17]
	s_wait_dscnt 0x2
	global_store_b32 v[8:9], v7, off
	s_wait_xcnt 0x0
	s_or_b32 exec_lo, exec_lo, s1
	s_mov_b32 s1, exec_lo
	v_cmpx_gt_u32_e64 s23, v22
	s_cbranch_execnz .LBB1287_157
.LBB1287_192:
	s_or_b32 exec_lo, exec_lo, s1
	s_delay_alu instid0(SALU_CYCLE_1)
	s_mov_b32 s1, exec_lo
	v_cmpx_gt_u32_e64 s23, v20
	s_cbranch_execz .LBB1287_198
.LBB1287_193:
	s_mov_b32 s2, exec_lo
                                        ; implicit-def: $vgpr6_vgpr7
	v_cmpx_ge_u32_e64 v20, v16
	s_xor_b32 s2, exec_lo, s2
	s_cbranch_execz .LBB1287_195
; %bb.194:
	s_wait_dscnt 0x2
	v_xor_b32_e32 v6, 0xfffff4ff, v0
                                        ; implicit-def: $vgpr20_vgpr21
	s_delay_alu instid0(VALU_DEP_1) | instskip(NEXT) | instid1(VALU_DEP_1)
	v_ashrrev_i32_e32 v7, 31, v6
	v_add_nc_u64_e32 v[6:7], v[42:43], v[6:7]
.LBB1287_195:
	s_and_not1_saveexec_b32 s2, s2
	s_cbranch_execz .LBB1287_197
; %bb.196:
	s_wait_dscnt 0x2
	v_add_nc_u64_e32 v[6:7], v[2:3], v[20:21]
.LBB1287_197:
	s_or_b32 exec_lo, exec_lo, s2
	s_wait_dscnt 0x2
	s_delay_alu instid0(VALU_DEP_1)
	v_lshl_add_u64 v[6:7], v[6:7], 2, s[16:17]
	s_wait_dscnt 0x1
	global_store_b32 v[6:7], v5, off
.LBB1287_198:
	s_wait_xcnt 0x0
	s_or_b32 exec_lo, exec_lo, s1
	s_delay_alu instid0(SALU_CYCLE_1)
	s_mov_b32 s1, exec_lo
                                        ; implicit-def: $vgpr44_vgpr45
	v_cmpx_gt_u32_e64 s23, v18
	s_cbranch_execz .LBB1287_204
; %bb.199:
	s_mov_b32 s2, exec_lo
                                        ; implicit-def: $vgpr44_vgpr45
	v_cmpx_ge_u32_e64 v18, v16
	s_xor_b32 s2, exec_lo, s2
	s_cbranch_execz .LBB1287_201
; %bb.200:
	s_wait_dscnt 0x1
	v_xor_b32_e32 v4, 0xfffff3ff, v0
                                        ; implicit-def: $vgpr18_vgpr19
	s_delay_alu instid0(VALU_DEP_1) | instskip(NEXT) | instid1(VALU_DEP_1)
	v_ashrrev_i32_e32 v5, 31, v4
	v_add_nc_u64_e32 v[44:45], v[42:43], v[4:5]
.LBB1287_201:
	s_and_not1_saveexec_b32 s2, s2
; %bb.202:
	v_add_nc_u64_e32 v[44:45], v[2:3], v[18:19]
; %bb.203:
	s_or_b32 exec_lo, exec_lo, s2
	s_delay_alu instid0(SALU_CYCLE_1)
	s_or_b32 s0, s0, exec_lo
.LBB1287_204:
	s_or_b32 exec_lo, exec_lo, s1
.LBB1287_205:
	s_and_saveexec_b32 s1, s0
	s_cbranch_execz .LBB1287_207
; %bb.206:
	s_wait_dscnt 0x1
	v_lshl_add_u64 v[4:5], v[44:45], 2, s[16:17]
	s_wait_dscnt 0x0
	global_store_b32 v[4:5], v46, off
.LBB1287_207:
	s_wait_xcnt 0x0
	s_or_b32 exec_lo, exec_lo, s1
	v_cmp_eq_u32_e32 vcc_lo, 0, v0
	s_and_b32 s0, vcc_lo, s22
	s_delay_alu instid0(SALU_CYCLE_1)
	s_and_saveexec_b32 s1, s0
	s_cbranch_execz .LBB1287_209
; %bb.208:
	v_mov_b32_e32 v17, 0
	s_delay_alu instid0(VALU_DEP_1)
	v_add_nc_u64_e32 v[0:1], v[2:3], v[16:17]
	global_store_b64 v17, v[0:1], s[8:9]
.LBB1287_209:
	s_sendmsg sendmsg(MSG_DEALLOC_VGPRS)
	s_endpgm
	.section	.rodata,"a",@progbits
	.p2align	6, 0x0
	.amdhsa_kernel _ZN7rocprim17ROCPRIM_400000_NS6detail17trampoline_kernelINS0_13select_configILj256ELj13ELNS0_17block_load_methodE3ELS4_3ELS4_3ELNS0_20block_scan_algorithmE0ELj4294967295EEENS1_25partition_config_selectorILNS1_17partition_subalgoE3EjNS0_10empty_typeEbEEZZNS1_14partition_implILS8_3ELb0ES6_jNS0_17counting_iteratorIjlEEPS9_SE_NS0_5tupleIJPjSE_EEENSF_IJSE_SE_EEES9_SG_JZNS1_25segmented_radix_sort_implINS0_14default_configELb1EPKfPfPKlPlN2at6native12_GLOBAL__N_18offset_tEEE10hipError_tPvRmT1_PNSt15iterator_traitsISY_E10value_typeET2_T3_PNSZ_IS14_E10value_typeET4_jRbjT5_S1A_jjP12ihipStream_tbEUljE_EEESV_SW_SX_S14_S18_S1A_T6_T7_T9_mT8_S1C_bDpT10_ENKUlT_T0_E_clISt17integral_constantIbLb0EES1P_EEDaS1K_S1L_EUlS1K_E_NS1_11comp_targetILNS1_3genE0ELNS1_11target_archE4294967295ELNS1_3gpuE0ELNS1_3repE0EEENS1_30default_config_static_selectorELNS0_4arch9wavefront6targetE0EEEvSY_
		.amdhsa_group_segment_fixed_size 13320
		.amdhsa_private_segment_fixed_size 0
		.amdhsa_kernarg_size 144
		.amdhsa_user_sgpr_count 2
		.amdhsa_user_sgpr_dispatch_ptr 0
		.amdhsa_user_sgpr_queue_ptr 0
		.amdhsa_user_sgpr_kernarg_segment_ptr 1
		.amdhsa_user_sgpr_dispatch_id 0
		.amdhsa_user_sgpr_kernarg_preload_length 0
		.amdhsa_user_sgpr_kernarg_preload_offset 0
		.amdhsa_user_sgpr_private_segment_size 0
		.amdhsa_wavefront_size32 1
		.amdhsa_uses_dynamic_stack 0
		.amdhsa_enable_private_segment 0
		.amdhsa_system_sgpr_workgroup_id_x 1
		.amdhsa_system_sgpr_workgroup_id_y 0
		.amdhsa_system_sgpr_workgroup_id_z 0
		.amdhsa_system_sgpr_workgroup_info 0
		.amdhsa_system_vgpr_workitem_id 0
		.amdhsa_next_free_vgpr 69
		.amdhsa_next_free_sgpr 26
		.amdhsa_named_barrier_count 0
		.amdhsa_reserve_vcc 1
		.amdhsa_float_round_mode_32 0
		.amdhsa_float_round_mode_16_64 0
		.amdhsa_float_denorm_mode_32 3
		.amdhsa_float_denorm_mode_16_64 3
		.amdhsa_fp16_overflow 0
		.amdhsa_memory_ordered 1
		.amdhsa_forward_progress 1
		.amdhsa_inst_pref_size 70
		.amdhsa_round_robin_scheduling 0
		.amdhsa_exception_fp_ieee_invalid_op 0
		.amdhsa_exception_fp_denorm_src 0
		.amdhsa_exception_fp_ieee_div_zero 0
		.amdhsa_exception_fp_ieee_overflow 0
		.amdhsa_exception_fp_ieee_underflow 0
		.amdhsa_exception_fp_ieee_inexact 0
		.amdhsa_exception_int_div_zero 0
	.end_amdhsa_kernel
	.section	.text._ZN7rocprim17ROCPRIM_400000_NS6detail17trampoline_kernelINS0_13select_configILj256ELj13ELNS0_17block_load_methodE3ELS4_3ELS4_3ELNS0_20block_scan_algorithmE0ELj4294967295EEENS1_25partition_config_selectorILNS1_17partition_subalgoE3EjNS0_10empty_typeEbEEZZNS1_14partition_implILS8_3ELb0ES6_jNS0_17counting_iteratorIjlEEPS9_SE_NS0_5tupleIJPjSE_EEENSF_IJSE_SE_EEES9_SG_JZNS1_25segmented_radix_sort_implINS0_14default_configELb1EPKfPfPKlPlN2at6native12_GLOBAL__N_18offset_tEEE10hipError_tPvRmT1_PNSt15iterator_traitsISY_E10value_typeET2_T3_PNSZ_IS14_E10value_typeET4_jRbjT5_S1A_jjP12ihipStream_tbEUljE_EEESV_SW_SX_S14_S18_S1A_T6_T7_T9_mT8_S1C_bDpT10_ENKUlT_T0_E_clISt17integral_constantIbLb0EES1P_EEDaS1K_S1L_EUlS1K_E_NS1_11comp_targetILNS1_3genE0ELNS1_11target_archE4294967295ELNS1_3gpuE0ELNS1_3repE0EEENS1_30default_config_static_selectorELNS0_4arch9wavefront6targetE0EEEvSY_,"axG",@progbits,_ZN7rocprim17ROCPRIM_400000_NS6detail17trampoline_kernelINS0_13select_configILj256ELj13ELNS0_17block_load_methodE3ELS4_3ELS4_3ELNS0_20block_scan_algorithmE0ELj4294967295EEENS1_25partition_config_selectorILNS1_17partition_subalgoE3EjNS0_10empty_typeEbEEZZNS1_14partition_implILS8_3ELb0ES6_jNS0_17counting_iteratorIjlEEPS9_SE_NS0_5tupleIJPjSE_EEENSF_IJSE_SE_EEES9_SG_JZNS1_25segmented_radix_sort_implINS0_14default_configELb1EPKfPfPKlPlN2at6native12_GLOBAL__N_18offset_tEEE10hipError_tPvRmT1_PNSt15iterator_traitsISY_E10value_typeET2_T3_PNSZ_IS14_E10value_typeET4_jRbjT5_S1A_jjP12ihipStream_tbEUljE_EEESV_SW_SX_S14_S18_S1A_T6_T7_T9_mT8_S1C_bDpT10_ENKUlT_T0_E_clISt17integral_constantIbLb0EES1P_EEDaS1K_S1L_EUlS1K_E_NS1_11comp_targetILNS1_3genE0ELNS1_11target_archE4294967295ELNS1_3gpuE0ELNS1_3repE0EEENS1_30default_config_static_selectorELNS0_4arch9wavefront6targetE0EEEvSY_,comdat
.Lfunc_end1287:
	.size	_ZN7rocprim17ROCPRIM_400000_NS6detail17trampoline_kernelINS0_13select_configILj256ELj13ELNS0_17block_load_methodE3ELS4_3ELS4_3ELNS0_20block_scan_algorithmE0ELj4294967295EEENS1_25partition_config_selectorILNS1_17partition_subalgoE3EjNS0_10empty_typeEbEEZZNS1_14partition_implILS8_3ELb0ES6_jNS0_17counting_iteratorIjlEEPS9_SE_NS0_5tupleIJPjSE_EEENSF_IJSE_SE_EEES9_SG_JZNS1_25segmented_radix_sort_implINS0_14default_configELb1EPKfPfPKlPlN2at6native12_GLOBAL__N_18offset_tEEE10hipError_tPvRmT1_PNSt15iterator_traitsISY_E10value_typeET2_T3_PNSZ_IS14_E10value_typeET4_jRbjT5_S1A_jjP12ihipStream_tbEUljE_EEESV_SW_SX_S14_S18_S1A_T6_T7_T9_mT8_S1C_bDpT10_ENKUlT_T0_E_clISt17integral_constantIbLb0EES1P_EEDaS1K_S1L_EUlS1K_E_NS1_11comp_targetILNS1_3genE0ELNS1_11target_archE4294967295ELNS1_3gpuE0ELNS1_3repE0EEENS1_30default_config_static_selectorELNS0_4arch9wavefront6targetE0EEEvSY_, .Lfunc_end1287-_ZN7rocprim17ROCPRIM_400000_NS6detail17trampoline_kernelINS0_13select_configILj256ELj13ELNS0_17block_load_methodE3ELS4_3ELS4_3ELNS0_20block_scan_algorithmE0ELj4294967295EEENS1_25partition_config_selectorILNS1_17partition_subalgoE3EjNS0_10empty_typeEbEEZZNS1_14partition_implILS8_3ELb0ES6_jNS0_17counting_iteratorIjlEEPS9_SE_NS0_5tupleIJPjSE_EEENSF_IJSE_SE_EEES9_SG_JZNS1_25segmented_radix_sort_implINS0_14default_configELb1EPKfPfPKlPlN2at6native12_GLOBAL__N_18offset_tEEE10hipError_tPvRmT1_PNSt15iterator_traitsISY_E10value_typeET2_T3_PNSZ_IS14_E10value_typeET4_jRbjT5_S1A_jjP12ihipStream_tbEUljE_EEESV_SW_SX_S14_S18_S1A_T6_T7_T9_mT8_S1C_bDpT10_ENKUlT_T0_E_clISt17integral_constantIbLb0EES1P_EEDaS1K_S1L_EUlS1K_E_NS1_11comp_targetILNS1_3genE0ELNS1_11target_archE4294967295ELNS1_3gpuE0ELNS1_3repE0EEENS1_30default_config_static_selectorELNS0_4arch9wavefront6targetE0EEEvSY_
                                        ; -- End function
	.set _ZN7rocprim17ROCPRIM_400000_NS6detail17trampoline_kernelINS0_13select_configILj256ELj13ELNS0_17block_load_methodE3ELS4_3ELS4_3ELNS0_20block_scan_algorithmE0ELj4294967295EEENS1_25partition_config_selectorILNS1_17partition_subalgoE3EjNS0_10empty_typeEbEEZZNS1_14partition_implILS8_3ELb0ES6_jNS0_17counting_iteratorIjlEEPS9_SE_NS0_5tupleIJPjSE_EEENSF_IJSE_SE_EEES9_SG_JZNS1_25segmented_radix_sort_implINS0_14default_configELb1EPKfPfPKlPlN2at6native12_GLOBAL__N_18offset_tEEE10hipError_tPvRmT1_PNSt15iterator_traitsISY_E10value_typeET2_T3_PNSZ_IS14_E10value_typeET4_jRbjT5_S1A_jjP12ihipStream_tbEUljE_EEESV_SW_SX_S14_S18_S1A_T6_T7_T9_mT8_S1C_bDpT10_ENKUlT_T0_E_clISt17integral_constantIbLb0EES1P_EEDaS1K_S1L_EUlS1K_E_NS1_11comp_targetILNS1_3genE0ELNS1_11target_archE4294967295ELNS1_3gpuE0ELNS1_3repE0EEENS1_30default_config_static_selectorELNS0_4arch9wavefront6targetE0EEEvSY_.num_vgpr, 69
	.set _ZN7rocprim17ROCPRIM_400000_NS6detail17trampoline_kernelINS0_13select_configILj256ELj13ELNS0_17block_load_methodE3ELS4_3ELS4_3ELNS0_20block_scan_algorithmE0ELj4294967295EEENS1_25partition_config_selectorILNS1_17partition_subalgoE3EjNS0_10empty_typeEbEEZZNS1_14partition_implILS8_3ELb0ES6_jNS0_17counting_iteratorIjlEEPS9_SE_NS0_5tupleIJPjSE_EEENSF_IJSE_SE_EEES9_SG_JZNS1_25segmented_radix_sort_implINS0_14default_configELb1EPKfPfPKlPlN2at6native12_GLOBAL__N_18offset_tEEE10hipError_tPvRmT1_PNSt15iterator_traitsISY_E10value_typeET2_T3_PNSZ_IS14_E10value_typeET4_jRbjT5_S1A_jjP12ihipStream_tbEUljE_EEESV_SW_SX_S14_S18_S1A_T6_T7_T9_mT8_S1C_bDpT10_ENKUlT_T0_E_clISt17integral_constantIbLb0EES1P_EEDaS1K_S1L_EUlS1K_E_NS1_11comp_targetILNS1_3genE0ELNS1_11target_archE4294967295ELNS1_3gpuE0ELNS1_3repE0EEENS1_30default_config_static_selectorELNS0_4arch9wavefront6targetE0EEEvSY_.num_agpr, 0
	.set _ZN7rocprim17ROCPRIM_400000_NS6detail17trampoline_kernelINS0_13select_configILj256ELj13ELNS0_17block_load_methodE3ELS4_3ELS4_3ELNS0_20block_scan_algorithmE0ELj4294967295EEENS1_25partition_config_selectorILNS1_17partition_subalgoE3EjNS0_10empty_typeEbEEZZNS1_14partition_implILS8_3ELb0ES6_jNS0_17counting_iteratorIjlEEPS9_SE_NS0_5tupleIJPjSE_EEENSF_IJSE_SE_EEES9_SG_JZNS1_25segmented_radix_sort_implINS0_14default_configELb1EPKfPfPKlPlN2at6native12_GLOBAL__N_18offset_tEEE10hipError_tPvRmT1_PNSt15iterator_traitsISY_E10value_typeET2_T3_PNSZ_IS14_E10value_typeET4_jRbjT5_S1A_jjP12ihipStream_tbEUljE_EEESV_SW_SX_S14_S18_S1A_T6_T7_T9_mT8_S1C_bDpT10_ENKUlT_T0_E_clISt17integral_constantIbLb0EES1P_EEDaS1K_S1L_EUlS1K_E_NS1_11comp_targetILNS1_3genE0ELNS1_11target_archE4294967295ELNS1_3gpuE0ELNS1_3repE0EEENS1_30default_config_static_selectorELNS0_4arch9wavefront6targetE0EEEvSY_.numbered_sgpr, 26
	.set _ZN7rocprim17ROCPRIM_400000_NS6detail17trampoline_kernelINS0_13select_configILj256ELj13ELNS0_17block_load_methodE3ELS4_3ELS4_3ELNS0_20block_scan_algorithmE0ELj4294967295EEENS1_25partition_config_selectorILNS1_17partition_subalgoE3EjNS0_10empty_typeEbEEZZNS1_14partition_implILS8_3ELb0ES6_jNS0_17counting_iteratorIjlEEPS9_SE_NS0_5tupleIJPjSE_EEENSF_IJSE_SE_EEES9_SG_JZNS1_25segmented_radix_sort_implINS0_14default_configELb1EPKfPfPKlPlN2at6native12_GLOBAL__N_18offset_tEEE10hipError_tPvRmT1_PNSt15iterator_traitsISY_E10value_typeET2_T3_PNSZ_IS14_E10value_typeET4_jRbjT5_S1A_jjP12ihipStream_tbEUljE_EEESV_SW_SX_S14_S18_S1A_T6_T7_T9_mT8_S1C_bDpT10_ENKUlT_T0_E_clISt17integral_constantIbLb0EES1P_EEDaS1K_S1L_EUlS1K_E_NS1_11comp_targetILNS1_3genE0ELNS1_11target_archE4294967295ELNS1_3gpuE0ELNS1_3repE0EEENS1_30default_config_static_selectorELNS0_4arch9wavefront6targetE0EEEvSY_.num_named_barrier, 0
	.set _ZN7rocprim17ROCPRIM_400000_NS6detail17trampoline_kernelINS0_13select_configILj256ELj13ELNS0_17block_load_methodE3ELS4_3ELS4_3ELNS0_20block_scan_algorithmE0ELj4294967295EEENS1_25partition_config_selectorILNS1_17partition_subalgoE3EjNS0_10empty_typeEbEEZZNS1_14partition_implILS8_3ELb0ES6_jNS0_17counting_iteratorIjlEEPS9_SE_NS0_5tupleIJPjSE_EEENSF_IJSE_SE_EEES9_SG_JZNS1_25segmented_radix_sort_implINS0_14default_configELb1EPKfPfPKlPlN2at6native12_GLOBAL__N_18offset_tEEE10hipError_tPvRmT1_PNSt15iterator_traitsISY_E10value_typeET2_T3_PNSZ_IS14_E10value_typeET4_jRbjT5_S1A_jjP12ihipStream_tbEUljE_EEESV_SW_SX_S14_S18_S1A_T6_T7_T9_mT8_S1C_bDpT10_ENKUlT_T0_E_clISt17integral_constantIbLb0EES1P_EEDaS1K_S1L_EUlS1K_E_NS1_11comp_targetILNS1_3genE0ELNS1_11target_archE4294967295ELNS1_3gpuE0ELNS1_3repE0EEENS1_30default_config_static_selectorELNS0_4arch9wavefront6targetE0EEEvSY_.private_seg_size, 0
	.set _ZN7rocprim17ROCPRIM_400000_NS6detail17trampoline_kernelINS0_13select_configILj256ELj13ELNS0_17block_load_methodE3ELS4_3ELS4_3ELNS0_20block_scan_algorithmE0ELj4294967295EEENS1_25partition_config_selectorILNS1_17partition_subalgoE3EjNS0_10empty_typeEbEEZZNS1_14partition_implILS8_3ELb0ES6_jNS0_17counting_iteratorIjlEEPS9_SE_NS0_5tupleIJPjSE_EEENSF_IJSE_SE_EEES9_SG_JZNS1_25segmented_radix_sort_implINS0_14default_configELb1EPKfPfPKlPlN2at6native12_GLOBAL__N_18offset_tEEE10hipError_tPvRmT1_PNSt15iterator_traitsISY_E10value_typeET2_T3_PNSZ_IS14_E10value_typeET4_jRbjT5_S1A_jjP12ihipStream_tbEUljE_EEESV_SW_SX_S14_S18_S1A_T6_T7_T9_mT8_S1C_bDpT10_ENKUlT_T0_E_clISt17integral_constantIbLb0EES1P_EEDaS1K_S1L_EUlS1K_E_NS1_11comp_targetILNS1_3genE0ELNS1_11target_archE4294967295ELNS1_3gpuE0ELNS1_3repE0EEENS1_30default_config_static_selectorELNS0_4arch9wavefront6targetE0EEEvSY_.uses_vcc, 1
	.set _ZN7rocprim17ROCPRIM_400000_NS6detail17trampoline_kernelINS0_13select_configILj256ELj13ELNS0_17block_load_methodE3ELS4_3ELS4_3ELNS0_20block_scan_algorithmE0ELj4294967295EEENS1_25partition_config_selectorILNS1_17partition_subalgoE3EjNS0_10empty_typeEbEEZZNS1_14partition_implILS8_3ELb0ES6_jNS0_17counting_iteratorIjlEEPS9_SE_NS0_5tupleIJPjSE_EEENSF_IJSE_SE_EEES9_SG_JZNS1_25segmented_radix_sort_implINS0_14default_configELb1EPKfPfPKlPlN2at6native12_GLOBAL__N_18offset_tEEE10hipError_tPvRmT1_PNSt15iterator_traitsISY_E10value_typeET2_T3_PNSZ_IS14_E10value_typeET4_jRbjT5_S1A_jjP12ihipStream_tbEUljE_EEESV_SW_SX_S14_S18_S1A_T6_T7_T9_mT8_S1C_bDpT10_ENKUlT_T0_E_clISt17integral_constantIbLb0EES1P_EEDaS1K_S1L_EUlS1K_E_NS1_11comp_targetILNS1_3genE0ELNS1_11target_archE4294967295ELNS1_3gpuE0ELNS1_3repE0EEENS1_30default_config_static_selectorELNS0_4arch9wavefront6targetE0EEEvSY_.uses_flat_scratch, 0
	.set _ZN7rocprim17ROCPRIM_400000_NS6detail17trampoline_kernelINS0_13select_configILj256ELj13ELNS0_17block_load_methodE3ELS4_3ELS4_3ELNS0_20block_scan_algorithmE0ELj4294967295EEENS1_25partition_config_selectorILNS1_17partition_subalgoE3EjNS0_10empty_typeEbEEZZNS1_14partition_implILS8_3ELb0ES6_jNS0_17counting_iteratorIjlEEPS9_SE_NS0_5tupleIJPjSE_EEENSF_IJSE_SE_EEES9_SG_JZNS1_25segmented_radix_sort_implINS0_14default_configELb1EPKfPfPKlPlN2at6native12_GLOBAL__N_18offset_tEEE10hipError_tPvRmT1_PNSt15iterator_traitsISY_E10value_typeET2_T3_PNSZ_IS14_E10value_typeET4_jRbjT5_S1A_jjP12ihipStream_tbEUljE_EEESV_SW_SX_S14_S18_S1A_T6_T7_T9_mT8_S1C_bDpT10_ENKUlT_T0_E_clISt17integral_constantIbLb0EES1P_EEDaS1K_S1L_EUlS1K_E_NS1_11comp_targetILNS1_3genE0ELNS1_11target_archE4294967295ELNS1_3gpuE0ELNS1_3repE0EEENS1_30default_config_static_selectorELNS0_4arch9wavefront6targetE0EEEvSY_.has_dyn_sized_stack, 0
	.set _ZN7rocprim17ROCPRIM_400000_NS6detail17trampoline_kernelINS0_13select_configILj256ELj13ELNS0_17block_load_methodE3ELS4_3ELS4_3ELNS0_20block_scan_algorithmE0ELj4294967295EEENS1_25partition_config_selectorILNS1_17partition_subalgoE3EjNS0_10empty_typeEbEEZZNS1_14partition_implILS8_3ELb0ES6_jNS0_17counting_iteratorIjlEEPS9_SE_NS0_5tupleIJPjSE_EEENSF_IJSE_SE_EEES9_SG_JZNS1_25segmented_radix_sort_implINS0_14default_configELb1EPKfPfPKlPlN2at6native12_GLOBAL__N_18offset_tEEE10hipError_tPvRmT1_PNSt15iterator_traitsISY_E10value_typeET2_T3_PNSZ_IS14_E10value_typeET4_jRbjT5_S1A_jjP12ihipStream_tbEUljE_EEESV_SW_SX_S14_S18_S1A_T6_T7_T9_mT8_S1C_bDpT10_ENKUlT_T0_E_clISt17integral_constantIbLb0EES1P_EEDaS1K_S1L_EUlS1K_E_NS1_11comp_targetILNS1_3genE0ELNS1_11target_archE4294967295ELNS1_3gpuE0ELNS1_3repE0EEENS1_30default_config_static_selectorELNS0_4arch9wavefront6targetE0EEEvSY_.has_recursion, 0
	.set _ZN7rocprim17ROCPRIM_400000_NS6detail17trampoline_kernelINS0_13select_configILj256ELj13ELNS0_17block_load_methodE3ELS4_3ELS4_3ELNS0_20block_scan_algorithmE0ELj4294967295EEENS1_25partition_config_selectorILNS1_17partition_subalgoE3EjNS0_10empty_typeEbEEZZNS1_14partition_implILS8_3ELb0ES6_jNS0_17counting_iteratorIjlEEPS9_SE_NS0_5tupleIJPjSE_EEENSF_IJSE_SE_EEES9_SG_JZNS1_25segmented_radix_sort_implINS0_14default_configELb1EPKfPfPKlPlN2at6native12_GLOBAL__N_18offset_tEEE10hipError_tPvRmT1_PNSt15iterator_traitsISY_E10value_typeET2_T3_PNSZ_IS14_E10value_typeET4_jRbjT5_S1A_jjP12ihipStream_tbEUljE_EEESV_SW_SX_S14_S18_S1A_T6_T7_T9_mT8_S1C_bDpT10_ENKUlT_T0_E_clISt17integral_constantIbLb0EES1P_EEDaS1K_S1L_EUlS1K_E_NS1_11comp_targetILNS1_3genE0ELNS1_11target_archE4294967295ELNS1_3gpuE0ELNS1_3repE0EEENS1_30default_config_static_selectorELNS0_4arch9wavefront6targetE0EEEvSY_.has_indirect_call, 0
	.section	.AMDGPU.csdata,"",@progbits
; Kernel info:
; codeLenInByte = 8920
; TotalNumSgprs: 28
; NumVgprs: 69
; ScratchSize: 0
; MemoryBound: 0
; FloatMode: 240
; IeeeMode: 1
; LDSByteSize: 13320 bytes/workgroup (compile time only)
; SGPRBlocks: 0
; VGPRBlocks: 4
; NumSGPRsForWavesPerEU: 28
; NumVGPRsForWavesPerEU: 69
; NamedBarCnt: 0
; Occupancy: 12
; WaveLimiterHint : 0
; COMPUTE_PGM_RSRC2:SCRATCH_EN: 0
; COMPUTE_PGM_RSRC2:USER_SGPR: 2
; COMPUTE_PGM_RSRC2:TRAP_HANDLER: 0
; COMPUTE_PGM_RSRC2:TGID_X_EN: 1
; COMPUTE_PGM_RSRC2:TGID_Y_EN: 0
; COMPUTE_PGM_RSRC2:TGID_Z_EN: 0
; COMPUTE_PGM_RSRC2:TIDIG_COMP_CNT: 0
	.section	.text._ZN7rocprim17ROCPRIM_400000_NS6detail17trampoline_kernelINS0_13select_configILj256ELj13ELNS0_17block_load_methodE3ELS4_3ELS4_3ELNS0_20block_scan_algorithmE0ELj4294967295EEENS1_25partition_config_selectorILNS1_17partition_subalgoE3EjNS0_10empty_typeEbEEZZNS1_14partition_implILS8_3ELb0ES6_jNS0_17counting_iteratorIjlEEPS9_SE_NS0_5tupleIJPjSE_EEENSF_IJSE_SE_EEES9_SG_JZNS1_25segmented_radix_sort_implINS0_14default_configELb1EPKfPfPKlPlN2at6native12_GLOBAL__N_18offset_tEEE10hipError_tPvRmT1_PNSt15iterator_traitsISY_E10value_typeET2_T3_PNSZ_IS14_E10value_typeET4_jRbjT5_S1A_jjP12ihipStream_tbEUljE_EEESV_SW_SX_S14_S18_S1A_T6_T7_T9_mT8_S1C_bDpT10_ENKUlT_T0_E_clISt17integral_constantIbLb0EES1P_EEDaS1K_S1L_EUlS1K_E_NS1_11comp_targetILNS1_3genE5ELNS1_11target_archE942ELNS1_3gpuE9ELNS1_3repE0EEENS1_30default_config_static_selectorELNS0_4arch9wavefront6targetE0EEEvSY_,"axG",@progbits,_ZN7rocprim17ROCPRIM_400000_NS6detail17trampoline_kernelINS0_13select_configILj256ELj13ELNS0_17block_load_methodE3ELS4_3ELS4_3ELNS0_20block_scan_algorithmE0ELj4294967295EEENS1_25partition_config_selectorILNS1_17partition_subalgoE3EjNS0_10empty_typeEbEEZZNS1_14partition_implILS8_3ELb0ES6_jNS0_17counting_iteratorIjlEEPS9_SE_NS0_5tupleIJPjSE_EEENSF_IJSE_SE_EEES9_SG_JZNS1_25segmented_radix_sort_implINS0_14default_configELb1EPKfPfPKlPlN2at6native12_GLOBAL__N_18offset_tEEE10hipError_tPvRmT1_PNSt15iterator_traitsISY_E10value_typeET2_T3_PNSZ_IS14_E10value_typeET4_jRbjT5_S1A_jjP12ihipStream_tbEUljE_EEESV_SW_SX_S14_S18_S1A_T6_T7_T9_mT8_S1C_bDpT10_ENKUlT_T0_E_clISt17integral_constantIbLb0EES1P_EEDaS1K_S1L_EUlS1K_E_NS1_11comp_targetILNS1_3genE5ELNS1_11target_archE942ELNS1_3gpuE9ELNS1_3repE0EEENS1_30default_config_static_selectorELNS0_4arch9wavefront6targetE0EEEvSY_,comdat
	.globl	_ZN7rocprim17ROCPRIM_400000_NS6detail17trampoline_kernelINS0_13select_configILj256ELj13ELNS0_17block_load_methodE3ELS4_3ELS4_3ELNS0_20block_scan_algorithmE0ELj4294967295EEENS1_25partition_config_selectorILNS1_17partition_subalgoE3EjNS0_10empty_typeEbEEZZNS1_14partition_implILS8_3ELb0ES6_jNS0_17counting_iteratorIjlEEPS9_SE_NS0_5tupleIJPjSE_EEENSF_IJSE_SE_EEES9_SG_JZNS1_25segmented_radix_sort_implINS0_14default_configELb1EPKfPfPKlPlN2at6native12_GLOBAL__N_18offset_tEEE10hipError_tPvRmT1_PNSt15iterator_traitsISY_E10value_typeET2_T3_PNSZ_IS14_E10value_typeET4_jRbjT5_S1A_jjP12ihipStream_tbEUljE_EEESV_SW_SX_S14_S18_S1A_T6_T7_T9_mT8_S1C_bDpT10_ENKUlT_T0_E_clISt17integral_constantIbLb0EES1P_EEDaS1K_S1L_EUlS1K_E_NS1_11comp_targetILNS1_3genE5ELNS1_11target_archE942ELNS1_3gpuE9ELNS1_3repE0EEENS1_30default_config_static_selectorELNS0_4arch9wavefront6targetE0EEEvSY_ ; -- Begin function _ZN7rocprim17ROCPRIM_400000_NS6detail17trampoline_kernelINS0_13select_configILj256ELj13ELNS0_17block_load_methodE3ELS4_3ELS4_3ELNS0_20block_scan_algorithmE0ELj4294967295EEENS1_25partition_config_selectorILNS1_17partition_subalgoE3EjNS0_10empty_typeEbEEZZNS1_14partition_implILS8_3ELb0ES6_jNS0_17counting_iteratorIjlEEPS9_SE_NS0_5tupleIJPjSE_EEENSF_IJSE_SE_EEES9_SG_JZNS1_25segmented_radix_sort_implINS0_14default_configELb1EPKfPfPKlPlN2at6native12_GLOBAL__N_18offset_tEEE10hipError_tPvRmT1_PNSt15iterator_traitsISY_E10value_typeET2_T3_PNSZ_IS14_E10value_typeET4_jRbjT5_S1A_jjP12ihipStream_tbEUljE_EEESV_SW_SX_S14_S18_S1A_T6_T7_T9_mT8_S1C_bDpT10_ENKUlT_T0_E_clISt17integral_constantIbLb0EES1P_EEDaS1K_S1L_EUlS1K_E_NS1_11comp_targetILNS1_3genE5ELNS1_11target_archE942ELNS1_3gpuE9ELNS1_3repE0EEENS1_30default_config_static_selectorELNS0_4arch9wavefront6targetE0EEEvSY_
	.p2align	8
	.type	_ZN7rocprim17ROCPRIM_400000_NS6detail17trampoline_kernelINS0_13select_configILj256ELj13ELNS0_17block_load_methodE3ELS4_3ELS4_3ELNS0_20block_scan_algorithmE0ELj4294967295EEENS1_25partition_config_selectorILNS1_17partition_subalgoE3EjNS0_10empty_typeEbEEZZNS1_14partition_implILS8_3ELb0ES6_jNS0_17counting_iteratorIjlEEPS9_SE_NS0_5tupleIJPjSE_EEENSF_IJSE_SE_EEES9_SG_JZNS1_25segmented_radix_sort_implINS0_14default_configELb1EPKfPfPKlPlN2at6native12_GLOBAL__N_18offset_tEEE10hipError_tPvRmT1_PNSt15iterator_traitsISY_E10value_typeET2_T3_PNSZ_IS14_E10value_typeET4_jRbjT5_S1A_jjP12ihipStream_tbEUljE_EEESV_SW_SX_S14_S18_S1A_T6_T7_T9_mT8_S1C_bDpT10_ENKUlT_T0_E_clISt17integral_constantIbLb0EES1P_EEDaS1K_S1L_EUlS1K_E_NS1_11comp_targetILNS1_3genE5ELNS1_11target_archE942ELNS1_3gpuE9ELNS1_3repE0EEENS1_30default_config_static_selectorELNS0_4arch9wavefront6targetE0EEEvSY_,@function
_ZN7rocprim17ROCPRIM_400000_NS6detail17trampoline_kernelINS0_13select_configILj256ELj13ELNS0_17block_load_methodE3ELS4_3ELS4_3ELNS0_20block_scan_algorithmE0ELj4294967295EEENS1_25partition_config_selectorILNS1_17partition_subalgoE3EjNS0_10empty_typeEbEEZZNS1_14partition_implILS8_3ELb0ES6_jNS0_17counting_iteratorIjlEEPS9_SE_NS0_5tupleIJPjSE_EEENSF_IJSE_SE_EEES9_SG_JZNS1_25segmented_radix_sort_implINS0_14default_configELb1EPKfPfPKlPlN2at6native12_GLOBAL__N_18offset_tEEE10hipError_tPvRmT1_PNSt15iterator_traitsISY_E10value_typeET2_T3_PNSZ_IS14_E10value_typeET4_jRbjT5_S1A_jjP12ihipStream_tbEUljE_EEESV_SW_SX_S14_S18_S1A_T6_T7_T9_mT8_S1C_bDpT10_ENKUlT_T0_E_clISt17integral_constantIbLb0EES1P_EEDaS1K_S1L_EUlS1K_E_NS1_11comp_targetILNS1_3genE5ELNS1_11target_archE942ELNS1_3gpuE9ELNS1_3repE0EEENS1_30default_config_static_selectorELNS0_4arch9wavefront6targetE0EEEvSY_: ; @_ZN7rocprim17ROCPRIM_400000_NS6detail17trampoline_kernelINS0_13select_configILj256ELj13ELNS0_17block_load_methodE3ELS4_3ELS4_3ELNS0_20block_scan_algorithmE0ELj4294967295EEENS1_25partition_config_selectorILNS1_17partition_subalgoE3EjNS0_10empty_typeEbEEZZNS1_14partition_implILS8_3ELb0ES6_jNS0_17counting_iteratorIjlEEPS9_SE_NS0_5tupleIJPjSE_EEENSF_IJSE_SE_EEES9_SG_JZNS1_25segmented_radix_sort_implINS0_14default_configELb1EPKfPfPKlPlN2at6native12_GLOBAL__N_18offset_tEEE10hipError_tPvRmT1_PNSt15iterator_traitsISY_E10value_typeET2_T3_PNSZ_IS14_E10value_typeET4_jRbjT5_S1A_jjP12ihipStream_tbEUljE_EEESV_SW_SX_S14_S18_S1A_T6_T7_T9_mT8_S1C_bDpT10_ENKUlT_T0_E_clISt17integral_constantIbLb0EES1P_EEDaS1K_S1L_EUlS1K_E_NS1_11comp_targetILNS1_3genE5ELNS1_11target_archE942ELNS1_3gpuE9ELNS1_3repE0EEENS1_30default_config_static_selectorELNS0_4arch9wavefront6targetE0EEEvSY_
; %bb.0:
	.section	.rodata,"a",@progbits
	.p2align	6, 0x0
	.amdhsa_kernel _ZN7rocprim17ROCPRIM_400000_NS6detail17trampoline_kernelINS0_13select_configILj256ELj13ELNS0_17block_load_methodE3ELS4_3ELS4_3ELNS0_20block_scan_algorithmE0ELj4294967295EEENS1_25partition_config_selectorILNS1_17partition_subalgoE3EjNS0_10empty_typeEbEEZZNS1_14partition_implILS8_3ELb0ES6_jNS0_17counting_iteratorIjlEEPS9_SE_NS0_5tupleIJPjSE_EEENSF_IJSE_SE_EEES9_SG_JZNS1_25segmented_radix_sort_implINS0_14default_configELb1EPKfPfPKlPlN2at6native12_GLOBAL__N_18offset_tEEE10hipError_tPvRmT1_PNSt15iterator_traitsISY_E10value_typeET2_T3_PNSZ_IS14_E10value_typeET4_jRbjT5_S1A_jjP12ihipStream_tbEUljE_EEESV_SW_SX_S14_S18_S1A_T6_T7_T9_mT8_S1C_bDpT10_ENKUlT_T0_E_clISt17integral_constantIbLb0EES1P_EEDaS1K_S1L_EUlS1K_E_NS1_11comp_targetILNS1_3genE5ELNS1_11target_archE942ELNS1_3gpuE9ELNS1_3repE0EEENS1_30default_config_static_selectorELNS0_4arch9wavefront6targetE0EEEvSY_
		.amdhsa_group_segment_fixed_size 0
		.amdhsa_private_segment_fixed_size 0
		.amdhsa_kernarg_size 144
		.amdhsa_user_sgpr_count 2
		.amdhsa_user_sgpr_dispatch_ptr 0
		.amdhsa_user_sgpr_queue_ptr 0
		.amdhsa_user_sgpr_kernarg_segment_ptr 1
		.amdhsa_user_sgpr_dispatch_id 0
		.amdhsa_user_sgpr_kernarg_preload_length 0
		.amdhsa_user_sgpr_kernarg_preload_offset 0
		.amdhsa_user_sgpr_private_segment_size 0
		.amdhsa_wavefront_size32 1
		.amdhsa_uses_dynamic_stack 0
		.amdhsa_enable_private_segment 0
		.amdhsa_system_sgpr_workgroup_id_x 1
		.amdhsa_system_sgpr_workgroup_id_y 0
		.amdhsa_system_sgpr_workgroup_id_z 0
		.amdhsa_system_sgpr_workgroup_info 0
		.amdhsa_system_vgpr_workitem_id 0
		.amdhsa_next_free_vgpr 1
		.amdhsa_next_free_sgpr 1
		.amdhsa_named_barrier_count 0
		.amdhsa_reserve_vcc 0
		.amdhsa_float_round_mode_32 0
		.amdhsa_float_round_mode_16_64 0
		.amdhsa_float_denorm_mode_32 3
		.amdhsa_float_denorm_mode_16_64 3
		.amdhsa_fp16_overflow 0
		.amdhsa_memory_ordered 1
		.amdhsa_forward_progress 1
		.amdhsa_inst_pref_size 0
		.amdhsa_round_robin_scheduling 0
		.amdhsa_exception_fp_ieee_invalid_op 0
		.amdhsa_exception_fp_denorm_src 0
		.amdhsa_exception_fp_ieee_div_zero 0
		.amdhsa_exception_fp_ieee_overflow 0
		.amdhsa_exception_fp_ieee_underflow 0
		.amdhsa_exception_fp_ieee_inexact 0
		.amdhsa_exception_int_div_zero 0
	.end_amdhsa_kernel
	.section	.text._ZN7rocprim17ROCPRIM_400000_NS6detail17trampoline_kernelINS0_13select_configILj256ELj13ELNS0_17block_load_methodE3ELS4_3ELS4_3ELNS0_20block_scan_algorithmE0ELj4294967295EEENS1_25partition_config_selectorILNS1_17partition_subalgoE3EjNS0_10empty_typeEbEEZZNS1_14partition_implILS8_3ELb0ES6_jNS0_17counting_iteratorIjlEEPS9_SE_NS0_5tupleIJPjSE_EEENSF_IJSE_SE_EEES9_SG_JZNS1_25segmented_radix_sort_implINS0_14default_configELb1EPKfPfPKlPlN2at6native12_GLOBAL__N_18offset_tEEE10hipError_tPvRmT1_PNSt15iterator_traitsISY_E10value_typeET2_T3_PNSZ_IS14_E10value_typeET4_jRbjT5_S1A_jjP12ihipStream_tbEUljE_EEESV_SW_SX_S14_S18_S1A_T6_T7_T9_mT8_S1C_bDpT10_ENKUlT_T0_E_clISt17integral_constantIbLb0EES1P_EEDaS1K_S1L_EUlS1K_E_NS1_11comp_targetILNS1_3genE5ELNS1_11target_archE942ELNS1_3gpuE9ELNS1_3repE0EEENS1_30default_config_static_selectorELNS0_4arch9wavefront6targetE0EEEvSY_,"axG",@progbits,_ZN7rocprim17ROCPRIM_400000_NS6detail17trampoline_kernelINS0_13select_configILj256ELj13ELNS0_17block_load_methodE3ELS4_3ELS4_3ELNS0_20block_scan_algorithmE0ELj4294967295EEENS1_25partition_config_selectorILNS1_17partition_subalgoE3EjNS0_10empty_typeEbEEZZNS1_14partition_implILS8_3ELb0ES6_jNS0_17counting_iteratorIjlEEPS9_SE_NS0_5tupleIJPjSE_EEENSF_IJSE_SE_EEES9_SG_JZNS1_25segmented_radix_sort_implINS0_14default_configELb1EPKfPfPKlPlN2at6native12_GLOBAL__N_18offset_tEEE10hipError_tPvRmT1_PNSt15iterator_traitsISY_E10value_typeET2_T3_PNSZ_IS14_E10value_typeET4_jRbjT5_S1A_jjP12ihipStream_tbEUljE_EEESV_SW_SX_S14_S18_S1A_T6_T7_T9_mT8_S1C_bDpT10_ENKUlT_T0_E_clISt17integral_constantIbLb0EES1P_EEDaS1K_S1L_EUlS1K_E_NS1_11comp_targetILNS1_3genE5ELNS1_11target_archE942ELNS1_3gpuE9ELNS1_3repE0EEENS1_30default_config_static_selectorELNS0_4arch9wavefront6targetE0EEEvSY_,comdat
.Lfunc_end1288:
	.size	_ZN7rocprim17ROCPRIM_400000_NS6detail17trampoline_kernelINS0_13select_configILj256ELj13ELNS0_17block_load_methodE3ELS4_3ELS4_3ELNS0_20block_scan_algorithmE0ELj4294967295EEENS1_25partition_config_selectorILNS1_17partition_subalgoE3EjNS0_10empty_typeEbEEZZNS1_14partition_implILS8_3ELb0ES6_jNS0_17counting_iteratorIjlEEPS9_SE_NS0_5tupleIJPjSE_EEENSF_IJSE_SE_EEES9_SG_JZNS1_25segmented_radix_sort_implINS0_14default_configELb1EPKfPfPKlPlN2at6native12_GLOBAL__N_18offset_tEEE10hipError_tPvRmT1_PNSt15iterator_traitsISY_E10value_typeET2_T3_PNSZ_IS14_E10value_typeET4_jRbjT5_S1A_jjP12ihipStream_tbEUljE_EEESV_SW_SX_S14_S18_S1A_T6_T7_T9_mT8_S1C_bDpT10_ENKUlT_T0_E_clISt17integral_constantIbLb0EES1P_EEDaS1K_S1L_EUlS1K_E_NS1_11comp_targetILNS1_3genE5ELNS1_11target_archE942ELNS1_3gpuE9ELNS1_3repE0EEENS1_30default_config_static_selectorELNS0_4arch9wavefront6targetE0EEEvSY_, .Lfunc_end1288-_ZN7rocprim17ROCPRIM_400000_NS6detail17trampoline_kernelINS0_13select_configILj256ELj13ELNS0_17block_load_methodE3ELS4_3ELS4_3ELNS0_20block_scan_algorithmE0ELj4294967295EEENS1_25partition_config_selectorILNS1_17partition_subalgoE3EjNS0_10empty_typeEbEEZZNS1_14partition_implILS8_3ELb0ES6_jNS0_17counting_iteratorIjlEEPS9_SE_NS0_5tupleIJPjSE_EEENSF_IJSE_SE_EEES9_SG_JZNS1_25segmented_radix_sort_implINS0_14default_configELb1EPKfPfPKlPlN2at6native12_GLOBAL__N_18offset_tEEE10hipError_tPvRmT1_PNSt15iterator_traitsISY_E10value_typeET2_T3_PNSZ_IS14_E10value_typeET4_jRbjT5_S1A_jjP12ihipStream_tbEUljE_EEESV_SW_SX_S14_S18_S1A_T6_T7_T9_mT8_S1C_bDpT10_ENKUlT_T0_E_clISt17integral_constantIbLb0EES1P_EEDaS1K_S1L_EUlS1K_E_NS1_11comp_targetILNS1_3genE5ELNS1_11target_archE942ELNS1_3gpuE9ELNS1_3repE0EEENS1_30default_config_static_selectorELNS0_4arch9wavefront6targetE0EEEvSY_
                                        ; -- End function
	.set _ZN7rocprim17ROCPRIM_400000_NS6detail17trampoline_kernelINS0_13select_configILj256ELj13ELNS0_17block_load_methodE3ELS4_3ELS4_3ELNS0_20block_scan_algorithmE0ELj4294967295EEENS1_25partition_config_selectorILNS1_17partition_subalgoE3EjNS0_10empty_typeEbEEZZNS1_14partition_implILS8_3ELb0ES6_jNS0_17counting_iteratorIjlEEPS9_SE_NS0_5tupleIJPjSE_EEENSF_IJSE_SE_EEES9_SG_JZNS1_25segmented_radix_sort_implINS0_14default_configELb1EPKfPfPKlPlN2at6native12_GLOBAL__N_18offset_tEEE10hipError_tPvRmT1_PNSt15iterator_traitsISY_E10value_typeET2_T3_PNSZ_IS14_E10value_typeET4_jRbjT5_S1A_jjP12ihipStream_tbEUljE_EEESV_SW_SX_S14_S18_S1A_T6_T7_T9_mT8_S1C_bDpT10_ENKUlT_T0_E_clISt17integral_constantIbLb0EES1P_EEDaS1K_S1L_EUlS1K_E_NS1_11comp_targetILNS1_3genE5ELNS1_11target_archE942ELNS1_3gpuE9ELNS1_3repE0EEENS1_30default_config_static_selectorELNS0_4arch9wavefront6targetE0EEEvSY_.num_vgpr, 0
	.set _ZN7rocprim17ROCPRIM_400000_NS6detail17trampoline_kernelINS0_13select_configILj256ELj13ELNS0_17block_load_methodE3ELS4_3ELS4_3ELNS0_20block_scan_algorithmE0ELj4294967295EEENS1_25partition_config_selectorILNS1_17partition_subalgoE3EjNS0_10empty_typeEbEEZZNS1_14partition_implILS8_3ELb0ES6_jNS0_17counting_iteratorIjlEEPS9_SE_NS0_5tupleIJPjSE_EEENSF_IJSE_SE_EEES9_SG_JZNS1_25segmented_radix_sort_implINS0_14default_configELb1EPKfPfPKlPlN2at6native12_GLOBAL__N_18offset_tEEE10hipError_tPvRmT1_PNSt15iterator_traitsISY_E10value_typeET2_T3_PNSZ_IS14_E10value_typeET4_jRbjT5_S1A_jjP12ihipStream_tbEUljE_EEESV_SW_SX_S14_S18_S1A_T6_T7_T9_mT8_S1C_bDpT10_ENKUlT_T0_E_clISt17integral_constantIbLb0EES1P_EEDaS1K_S1L_EUlS1K_E_NS1_11comp_targetILNS1_3genE5ELNS1_11target_archE942ELNS1_3gpuE9ELNS1_3repE0EEENS1_30default_config_static_selectorELNS0_4arch9wavefront6targetE0EEEvSY_.num_agpr, 0
	.set _ZN7rocprim17ROCPRIM_400000_NS6detail17trampoline_kernelINS0_13select_configILj256ELj13ELNS0_17block_load_methodE3ELS4_3ELS4_3ELNS0_20block_scan_algorithmE0ELj4294967295EEENS1_25partition_config_selectorILNS1_17partition_subalgoE3EjNS0_10empty_typeEbEEZZNS1_14partition_implILS8_3ELb0ES6_jNS0_17counting_iteratorIjlEEPS9_SE_NS0_5tupleIJPjSE_EEENSF_IJSE_SE_EEES9_SG_JZNS1_25segmented_radix_sort_implINS0_14default_configELb1EPKfPfPKlPlN2at6native12_GLOBAL__N_18offset_tEEE10hipError_tPvRmT1_PNSt15iterator_traitsISY_E10value_typeET2_T3_PNSZ_IS14_E10value_typeET4_jRbjT5_S1A_jjP12ihipStream_tbEUljE_EEESV_SW_SX_S14_S18_S1A_T6_T7_T9_mT8_S1C_bDpT10_ENKUlT_T0_E_clISt17integral_constantIbLb0EES1P_EEDaS1K_S1L_EUlS1K_E_NS1_11comp_targetILNS1_3genE5ELNS1_11target_archE942ELNS1_3gpuE9ELNS1_3repE0EEENS1_30default_config_static_selectorELNS0_4arch9wavefront6targetE0EEEvSY_.numbered_sgpr, 0
	.set _ZN7rocprim17ROCPRIM_400000_NS6detail17trampoline_kernelINS0_13select_configILj256ELj13ELNS0_17block_load_methodE3ELS4_3ELS4_3ELNS0_20block_scan_algorithmE0ELj4294967295EEENS1_25partition_config_selectorILNS1_17partition_subalgoE3EjNS0_10empty_typeEbEEZZNS1_14partition_implILS8_3ELb0ES6_jNS0_17counting_iteratorIjlEEPS9_SE_NS0_5tupleIJPjSE_EEENSF_IJSE_SE_EEES9_SG_JZNS1_25segmented_radix_sort_implINS0_14default_configELb1EPKfPfPKlPlN2at6native12_GLOBAL__N_18offset_tEEE10hipError_tPvRmT1_PNSt15iterator_traitsISY_E10value_typeET2_T3_PNSZ_IS14_E10value_typeET4_jRbjT5_S1A_jjP12ihipStream_tbEUljE_EEESV_SW_SX_S14_S18_S1A_T6_T7_T9_mT8_S1C_bDpT10_ENKUlT_T0_E_clISt17integral_constantIbLb0EES1P_EEDaS1K_S1L_EUlS1K_E_NS1_11comp_targetILNS1_3genE5ELNS1_11target_archE942ELNS1_3gpuE9ELNS1_3repE0EEENS1_30default_config_static_selectorELNS0_4arch9wavefront6targetE0EEEvSY_.num_named_barrier, 0
	.set _ZN7rocprim17ROCPRIM_400000_NS6detail17trampoline_kernelINS0_13select_configILj256ELj13ELNS0_17block_load_methodE3ELS4_3ELS4_3ELNS0_20block_scan_algorithmE0ELj4294967295EEENS1_25partition_config_selectorILNS1_17partition_subalgoE3EjNS0_10empty_typeEbEEZZNS1_14partition_implILS8_3ELb0ES6_jNS0_17counting_iteratorIjlEEPS9_SE_NS0_5tupleIJPjSE_EEENSF_IJSE_SE_EEES9_SG_JZNS1_25segmented_radix_sort_implINS0_14default_configELb1EPKfPfPKlPlN2at6native12_GLOBAL__N_18offset_tEEE10hipError_tPvRmT1_PNSt15iterator_traitsISY_E10value_typeET2_T3_PNSZ_IS14_E10value_typeET4_jRbjT5_S1A_jjP12ihipStream_tbEUljE_EEESV_SW_SX_S14_S18_S1A_T6_T7_T9_mT8_S1C_bDpT10_ENKUlT_T0_E_clISt17integral_constantIbLb0EES1P_EEDaS1K_S1L_EUlS1K_E_NS1_11comp_targetILNS1_3genE5ELNS1_11target_archE942ELNS1_3gpuE9ELNS1_3repE0EEENS1_30default_config_static_selectorELNS0_4arch9wavefront6targetE0EEEvSY_.private_seg_size, 0
	.set _ZN7rocprim17ROCPRIM_400000_NS6detail17trampoline_kernelINS0_13select_configILj256ELj13ELNS0_17block_load_methodE3ELS4_3ELS4_3ELNS0_20block_scan_algorithmE0ELj4294967295EEENS1_25partition_config_selectorILNS1_17partition_subalgoE3EjNS0_10empty_typeEbEEZZNS1_14partition_implILS8_3ELb0ES6_jNS0_17counting_iteratorIjlEEPS9_SE_NS0_5tupleIJPjSE_EEENSF_IJSE_SE_EEES9_SG_JZNS1_25segmented_radix_sort_implINS0_14default_configELb1EPKfPfPKlPlN2at6native12_GLOBAL__N_18offset_tEEE10hipError_tPvRmT1_PNSt15iterator_traitsISY_E10value_typeET2_T3_PNSZ_IS14_E10value_typeET4_jRbjT5_S1A_jjP12ihipStream_tbEUljE_EEESV_SW_SX_S14_S18_S1A_T6_T7_T9_mT8_S1C_bDpT10_ENKUlT_T0_E_clISt17integral_constantIbLb0EES1P_EEDaS1K_S1L_EUlS1K_E_NS1_11comp_targetILNS1_3genE5ELNS1_11target_archE942ELNS1_3gpuE9ELNS1_3repE0EEENS1_30default_config_static_selectorELNS0_4arch9wavefront6targetE0EEEvSY_.uses_vcc, 0
	.set _ZN7rocprim17ROCPRIM_400000_NS6detail17trampoline_kernelINS0_13select_configILj256ELj13ELNS0_17block_load_methodE3ELS4_3ELS4_3ELNS0_20block_scan_algorithmE0ELj4294967295EEENS1_25partition_config_selectorILNS1_17partition_subalgoE3EjNS0_10empty_typeEbEEZZNS1_14partition_implILS8_3ELb0ES6_jNS0_17counting_iteratorIjlEEPS9_SE_NS0_5tupleIJPjSE_EEENSF_IJSE_SE_EEES9_SG_JZNS1_25segmented_radix_sort_implINS0_14default_configELb1EPKfPfPKlPlN2at6native12_GLOBAL__N_18offset_tEEE10hipError_tPvRmT1_PNSt15iterator_traitsISY_E10value_typeET2_T3_PNSZ_IS14_E10value_typeET4_jRbjT5_S1A_jjP12ihipStream_tbEUljE_EEESV_SW_SX_S14_S18_S1A_T6_T7_T9_mT8_S1C_bDpT10_ENKUlT_T0_E_clISt17integral_constantIbLb0EES1P_EEDaS1K_S1L_EUlS1K_E_NS1_11comp_targetILNS1_3genE5ELNS1_11target_archE942ELNS1_3gpuE9ELNS1_3repE0EEENS1_30default_config_static_selectorELNS0_4arch9wavefront6targetE0EEEvSY_.uses_flat_scratch, 0
	.set _ZN7rocprim17ROCPRIM_400000_NS6detail17trampoline_kernelINS0_13select_configILj256ELj13ELNS0_17block_load_methodE3ELS4_3ELS4_3ELNS0_20block_scan_algorithmE0ELj4294967295EEENS1_25partition_config_selectorILNS1_17partition_subalgoE3EjNS0_10empty_typeEbEEZZNS1_14partition_implILS8_3ELb0ES6_jNS0_17counting_iteratorIjlEEPS9_SE_NS0_5tupleIJPjSE_EEENSF_IJSE_SE_EEES9_SG_JZNS1_25segmented_radix_sort_implINS0_14default_configELb1EPKfPfPKlPlN2at6native12_GLOBAL__N_18offset_tEEE10hipError_tPvRmT1_PNSt15iterator_traitsISY_E10value_typeET2_T3_PNSZ_IS14_E10value_typeET4_jRbjT5_S1A_jjP12ihipStream_tbEUljE_EEESV_SW_SX_S14_S18_S1A_T6_T7_T9_mT8_S1C_bDpT10_ENKUlT_T0_E_clISt17integral_constantIbLb0EES1P_EEDaS1K_S1L_EUlS1K_E_NS1_11comp_targetILNS1_3genE5ELNS1_11target_archE942ELNS1_3gpuE9ELNS1_3repE0EEENS1_30default_config_static_selectorELNS0_4arch9wavefront6targetE0EEEvSY_.has_dyn_sized_stack, 0
	.set _ZN7rocprim17ROCPRIM_400000_NS6detail17trampoline_kernelINS0_13select_configILj256ELj13ELNS0_17block_load_methodE3ELS4_3ELS4_3ELNS0_20block_scan_algorithmE0ELj4294967295EEENS1_25partition_config_selectorILNS1_17partition_subalgoE3EjNS0_10empty_typeEbEEZZNS1_14partition_implILS8_3ELb0ES6_jNS0_17counting_iteratorIjlEEPS9_SE_NS0_5tupleIJPjSE_EEENSF_IJSE_SE_EEES9_SG_JZNS1_25segmented_radix_sort_implINS0_14default_configELb1EPKfPfPKlPlN2at6native12_GLOBAL__N_18offset_tEEE10hipError_tPvRmT1_PNSt15iterator_traitsISY_E10value_typeET2_T3_PNSZ_IS14_E10value_typeET4_jRbjT5_S1A_jjP12ihipStream_tbEUljE_EEESV_SW_SX_S14_S18_S1A_T6_T7_T9_mT8_S1C_bDpT10_ENKUlT_T0_E_clISt17integral_constantIbLb0EES1P_EEDaS1K_S1L_EUlS1K_E_NS1_11comp_targetILNS1_3genE5ELNS1_11target_archE942ELNS1_3gpuE9ELNS1_3repE0EEENS1_30default_config_static_selectorELNS0_4arch9wavefront6targetE0EEEvSY_.has_recursion, 0
	.set _ZN7rocprim17ROCPRIM_400000_NS6detail17trampoline_kernelINS0_13select_configILj256ELj13ELNS0_17block_load_methodE3ELS4_3ELS4_3ELNS0_20block_scan_algorithmE0ELj4294967295EEENS1_25partition_config_selectorILNS1_17partition_subalgoE3EjNS0_10empty_typeEbEEZZNS1_14partition_implILS8_3ELb0ES6_jNS0_17counting_iteratorIjlEEPS9_SE_NS0_5tupleIJPjSE_EEENSF_IJSE_SE_EEES9_SG_JZNS1_25segmented_radix_sort_implINS0_14default_configELb1EPKfPfPKlPlN2at6native12_GLOBAL__N_18offset_tEEE10hipError_tPvRmT1_PNSt15iterator_traitsISY_E10value_typeET2_T3_PNSZ_IS14_E10value_typeET4_jRbjT5_S1A_jjP12ihipStream_tbEUljE_EEESV_SW_SX_S14_S18_S1A_T6_T7_T9_mT8_S1C_bDpT10_ENKUlT_T0_E_clISt17integral_constantIbLb0EES1P_EEDaS1K_S1L_EUlS1K_E_NS1_11comp_targetILNS1_3genE5ELNS1_11target_archE942ELNS1_3gpuE9ELNS1_3repE0EEENS1_30default_config_static_selectorELNS0_4arch9wavefront6targetE0EEEvSY_.has_indirect_call, 0
	.section	.AMDGPU.csdata,"",@progbits
; Kernel info:
; codeLenInByte = 0
; TotalNumSgprs: 0
; NumVgprs: 0
; ScratchSize: 0
; MemoryBound: 0
; FloatMode: 240
; IeeeMode: 1
; LDSByteSize: 0 bytes/workgroup (compile time only)
; SGPRBlocks: 0
; VGPRBlocks: 0
; NumSGPRsForWavesPerEU: 1
; NumVGPRsForWavesPerEU: 1
; NamedBarCnt: 0
; Occupancy: 16
; WaveLimiterHint : 0
; COMPUTE_PGM_RSRC2:SCRATCH_EN: 0
; COMPUTE_PGM_RSRC2:USER_SGPR: 2
; COMPUTE_PGM_RSRC2:TRAP_HANDLER: 0
; COMPUTE_PGM_RSRC2:TGID_X_EN: 1
; COMPUTE_PGM_RSRC2:TGID_Y_EN: 0
; COMPUTE_PGM_RSRC2:TGID_Z_EN: 0
; COMPUTE_PGM_RSRC2:TIDIG_COMP_CNT: 0
	.section	.text._ZN7rocprim17ROCPRIM_400000_NS6detail17trampoline_kernelINS0_13select_configILj256ELj13ELNS0_17block_load_methodE3ELS4_3ELS4_3ELNS0_20block_scan_algorithmE0ELj4294967295EEENS1_25partition_config_selectorILNS1_17partition_subalgoE3EjNS0_10empty_typeEbEEZZNS1_14partition_implILS8_3ELb0ES6_jNS0_17counting_iteratorIjlEEPS9_SE_NS0_5tupleIJPjSE_EEENSF_IJSE_SE_EEES9_SG_JZNS1_25segmented_radix_sort_implINS0_14default_configELb1EPKfPfPKlPlN2at6native12_GLOBAL__N_18offset_tEEE10hipError_tPvRmT1_PNSt15iterator_traitsISY_E10value_typeET2_T3_PNSZ_IS14_E10value_typeET4_jRbjT5_S1A_jjP12ihipStream_tbEUljE_EEESV_SW_SX_S14_S18_S1A_T6_T7_T9_mT8_S1C_bDpT10_ENKUlT_T0_E_clISt17integral_constantIbLb0EES1P_EEDaS1K_S1L_EUlS1K_E_NS1_11comp_targetILNS1_3genE4ELNS1_11target_archE910ELNS1_3gpuE8ELNS1_3repE0EEENS1_30default_config_static_selectorELNS0_4arch9wavefront6targetE0EEEvSY_,"axG",@progbits,_ZN7rocprim17ROCPRIM_400000_NS6detail17trampoline_kernelINS0_13select_configILj256ELj13ELNS0_17block_load_methodE3ELS4_3ELS4_3ELNS0_20block_scan_algorithmE0ELj4294967295EEENS1_25partition_config_selectorILNS1_17partition_subalgoE3EjNS0_10empty_typeEbEEZZNS1_14partition_implILS8_3ELb0ES6_jNS0_17counting_iteratorIjlEEPS9_SE_NS0_5tupleIJPjSE_EEENSF_IJSE_SE_EEES9_SG_JZNS1_25segmented_radix_sort_implINS0_14default_configELb1EPKfPfPKlPlN2at6native12_GLOBAL__N_18offset_tEEE10hipError_tPvRmT1_PNSt15iterator_traitsISY_E10value_typeET2_T3_PNSZ_IS14_E10value_typeET4_jRbjT5_S1A_jjP12ihipStream_tbEUljE_EEESV_SW_SX_S14_S18_S1A_T6_T7_T9_mT8_S1C_bDpT10_ENKUlT_T0_E_clISt17integral_constantIbLb0EES1P_EEDaS1K_S1L_EUlS1K_E_NS1_11comp_targetILNS1_3genE4ELNS1_11target_archE910ELNS1_3gpuE8ELNS1_3repE0EEENS1_30default_config_static_selectorELNS0_4arch9wavefront6targetE0EEEvSY_,comdat
	.globl	_ZN7rocprim17ROCPRIM_400000_NS6detail17trampoline_kernelINS0_13select_configILj256ELj13ELNS0_17block_load_methodE3ELS4_3ELS4_3ELNS0_20block_scan_algorithmE0ELj4294967295EEENS1_25partition_config_selectorILNS1_17partition_subalgoE3EjNS0_10empty_typeEbEEZZNS1_14partition_implILS8_3ELb0ES6_jNS0_17counting_iteratorIjlEEPS9_SE_NS0_5tupleIJPjSE_EEENSF_IJSE_SE_EEES9_SG_JZNS1_25segmented_radix_sort_implINS0_14default_configELb1EPKfPfPKlPlN2at6native12_GLOBAL__N_18offset_tEEE10hipError_tPvRmT1_PNSt15iterator_traitsISY_E10value_typeET2_T3_PNSZ_IS14_E10value_typeET4_jRbjT5_S1A_jjP12ihipStream_tbEUljE_EEESV_SW_SX_S14_S18_S1A_T6_T7_T9_mT8_S1C_bDpT10_ENKUlT_T0_E_clISt17integral_constantIbLb0EES1P_EEDaS1K_S1L_EUlS1K_E_NS1_11comp_targetILNS1_3genE4ELNS1_11target_archE910ELNS1_3gpuE8ELNS1_3repE0EEENS1_30default_config_static_selectorELNS0_4arch9wavefront6targetE0EEEvSY_ ; -- Begin function _ZN7rocprim17ROCPRIM_400000_NS6detail17trampoline_kernelINS0_13select_configILj256ELj13ELNS0_17block_load_methodE3ELS4_3ELS4_3ELNS0_20block_scan_algorithmE0ELj4294967295EEENS1_25partition_config_selectorILNS1_17partition_subalgoE3EjNS0_10empty_typeEbEEZZNS1_14partition_implILS8_3ELb0ES6_jNS0_17counting_iteratorIjlEEPS9_SE_NS0_5tupleIJPjSE_EEENSF_IJSE_SE_EEES9_SG_JZNS1_25segmented_radix_sort_implINS0_14default_configELb1EPKfPfPKlPlN2at6native12_GLOBAL__N_18offset_tEEE10hipError_tPvRmT1_PNSt15iterator_traitsISY_E10value_typeET2_T3_PNSZ_IS14_E10value_typeET4_jRbjT5_S1A_jjP12ihipStream_tbEUljE_EEESV_SW_SX_S14_S18_S1A_T6_T7_T9_mT8_S1C_bDpT10_ENKUlT_T0_E_clISt17integral_constantIbLb0EES1P_EEDaS1K_S1L_EUlS1K_E_NS1_11comp_targetILNS1_3genE4ELNS1_11target_archE910ELNS1_3gpuE8ELNS1_3repE0EEENS1_30default_config_static_selectorELNS0_4arch9wavefront6targetE0EEEvSY_
	.p2align	8
	.type	_ZN7rocprim17ROCPRIM_400000_NS6detail17trampoline_kernelINS0_13select_configILj256ELj13ELNS0_17block_load_methodE3ELS4_3ELS4_3ELNS0_20block_scan_algorithmE0ELj4294967295EEENS1_25partition_config_selectorILNS1_17partition_subalgoE3EjNS0_10empty_typeEbEEZZNS1_14partition_implILS8_3ELb0ES6_jNS0_17counting_iteratorIjlEEPS9_SE_NS0_5tupleIJPjSE_EEENSF_IJSE_SE_EEES9_SG_JZNS1_25segmented_radix_sort_implINS0_14default_configELb1EPKfPfPKlPlN2at6native12_GLOBAL__N_18offset_tEEE10hipError_tPvRmT1_PNSt15iterator_traitsISY_E10value_typeET2_T3_PNSZ_IS14_E10value_typeET4_jRbjT5_S1A_jjP12ihipStream_tbEUljE_EEESV_SW_SX_S14_S18_S1A_T6_T7_T9_mT8_S1C_bDpT10_ENKUlT_T0_E_clISt17integral_constantIbLb0EES1P_EEDaS1K_S1L_EUlS1K_E_NS1_11comp_targetILNS1_3genE4ELNS1_11target_archE910ELNS1_3gpuE8ELNS1_3repE0EEENS1_30default_config_static_selectorELNS0_4arch9wavefront6targetE0EEEvSY_,@function
_ZN7rocprim17ROCPRIM_400000_NS6detail17trampoline_kernelINS0_13select_configILj256ELj13ELNS0_17block_load_methodE3ELS4_3ELS4_3ELNS0_20block_scan_algorithmE0ELj4294967295EEENS1_25partition_config_selectorILNS1_17partition_subalgoE3EjNS0_10empty_typeEbEEZZNS1_14partition_implILS8_3ELb0ES6_jNS0_17counting_iteratorIjlEEPS9_SE_NS0_5tupleIJPjSE_EEENSF_IJSE_SE_EEES9_SG_JZNS1_25segmented_radix_sort_implINS0_14default_configELb1EPKfPfPKlPlN2at6native12_GLOBAL__N_18offset_tEEE10hipError_tPvRmT1_PNSt15iterator_traitsISY_E10value_typeET2_T3_PNSZ_IS14_E10value_typeET4_jRbjT5_S1A_jjP12ihipStream_tbEUljE_EEESV_SW_SX_S14_S18_S1A_T6_T7_T9_mT8_S1C_bDpT10_ENKUlT_T0_E_clISt17integral_constantIbLb0EES1P_EEDaS1K_S1L_EUlS1K_E_NS1_11comp_targetILNS1_3genE4ELNS1_11target_archE910ELNS1_3gpuE8ELNS1_3repE0EEENS1_30default_config_static_selectorELNS0_4arch9wavefront6targetE0EEEvSY_: ; @_ZN7rocprim17ROCPRIM_400000_NS6detail17trampoline_kernelINS0_13select_configILj256ELj13ELNS0_17block_load_methodE3ELS4_3ELS4_3ELNS0_20block_scan_algorithmE0ELj4294967295EEENS1_25partition_config_selectorILNS1_17partition_subalgoE3EjNS0_10empty_typeEbEEZZNS1_14partition_implILS8_3ELb0ES6_jNS0_17counting_iteratorIjlEEPS9_SE_NS0_5tupleIJPjSE_EEENSF_IJSE_SE_EEES9_SG_JZNS1_25segmented_radix_sort_implINS0_14default_configELb1EPKfPfPKlPlN2at6native12_GLOBAL__N_18offset_tEEE10hipError_tPvRmT1_PNSt15iterator_traitsISY_E10value_typeET2_T3_PNSZ_IS14_E10value_typeET4_jRbjT5_S1A_jjP12ihipStream_tbEUljE_EEESV_SW_SX_S14_S18_S1A_T6_T7_T9_mT8_S1C_bDpT10_ENKUlT_T0_E_clISt17integral_constantIbLb0EES1P_EEDaS1K_S1L_EUlS1K_E_NS1_11comp_targetILNS1_3genE4ELNS1_11target_archE910ELNS1_3gpuE8ELNS1_3repE0EEENS1_30default_config_static_selectorELNS0_4arch9wavefront6targetE0EEEvSY_
; %bb.0:
	.section	.rodata,"a",@progbits
	.p2align	6, 0x0
	.amdhsa_kernel _ZN7rocprim17ROCPRIM_400000_NS6detail17trampoline_kernelINS0_13select_configILj256ELj13ELNS0_17block_load_methodE3ELS4_3ELS4_3ELNS0_20block_scan_algorithmE0ELj4294967295EEENS1_25partition_config_selectorILNS1_17partition_subalgoE3EjNS0_10empty_typeEbEEZZNS1_14partition_implILS8_3ELb0ES6_jNS0_17counting_iteratorIjlEEPS9_SE_NS0_5tupleIJPjSE_EEENSF_IJSE_SE_EEES9_SG_JZNS1_25segmented_radix_sort_implINS0_14default_configELb1EPKfPfPKlPlN2at6native12_GLOBAL__N_18offset_tEEE10hipError_tPvRmT1_PNSt15iterator_traitsISY_E10value_typeET2_T3_PNSZ_IS14_E10value_typeET4_jRbjT5_S1A_jjP12ihipStream_tbEUljE_EEESV_SW_SX_S14_S18_S1A_T6_T7_T9_mT8_S1C_bDpT10_ENKUlT_T0_E_clISt17integral_constantIbLb0EES1P_EEDaS1K_S1L_EUlS1K_E_NS1_11comp_targetILNS1_3genE4ELNS1_11target_archE910ELNS1_3gpuE8ELNS1_3repE0EEENS1_30default_config_static_selectorELNS0_4arch9wavefront6targetE0EEEvSY_
		.amdhsa_group_segment_fixed_size 0
		.amdhsa_private_segment_fixed_size 0
		.amdhsa_kernarg_size 144
		.amdhsa_user_sgpr_count 2
		.amdhsa_user_sgpr_dispatch_ptr 0
		.amdhsa_user_sgpr_queue_ptr 0
		.amdhsa_user_sgpr_kernarg_segment_ptr 1
		.amdhsa_user_sgpr_dispatch_id 0
		.amdhsa_user_sgpr_kernarg_preload_length 0
		.amdhsa_user_sgpr_kernarg_preload_offset 0
		.amdhsa_user_sgpr_private_segment_size 0
		.amdhsa_wavefront_size32 1
		.amdhsa_uses_dynamic_stack 0
		.amdhsa_enable_private_segment 0
		.amdhsa_system_sgpr_workgroup_id_x 1
		.amdhsa_system_sgpr_workgroup_id_y 0
		.amdhsa_system_sgpr_workgroup_id_z 0
		.amdhsa_system_sgpr_workgroup_info 0
		.amdhsa_system_vgpr_workitem_id 0
		.amdhsa_next_free_vgpr 1
		.amdhsa_next_free_sgpr 1
		.amdhsa_named_barrier_count 0
		.amdhsa_reserve_vcc 0
		.amdhsa_float_round_mode_32 0
		.amdhsa_float_round_mode_16_64 0
		.amdhsa_float_denorm_mode_32 3
		.amdhsa_float_denorm_mode_16_64 3
		.amdhsa_fp16_overflow 0
		.amdhsa_memory_ordered 1
		.amdhsa_forward_progress 1
		.amdhsa_inst_pref_size 0
		.amdhsa_round_robin_scheduling 0
		.amdhsa_exception_fp_ieee_invalid_op 0
		.amdhsa_exception_fp_denorm_src 0
		.amdhsa_exception_fp_ieee_div_zero 0
		.amdhsa_exception_fp_ieee_overflow 0
		.amdhsa_exception_fp_ieee_underflow 0
		.amdhsa_exception_fp_ieee_inexact 0
		.amdhsa_exception_int_div_zero 0
	.end_amdhsa_kernel
	.section	.text._ZN7rocprim17ROCPRIM_400000_NS6detail17trampoline_kernelINS0_13select_configILj256ELj13ELNS0_17block_load_methodE3ELS4_3ELS4_3ELNS0_20block_scan_algorithmE0ELj4294967295EEENS1_25partition_config_selectorILNS1_17partition_subalgoE3EjNS0_10empty_typeEbEEZZNS1_14partition_implILS8_3ELb0ES6_jNS0_17counting_iteratorIjlEEPS9_SE_NS0_5tupleIJPjSE_EEENSF_IJSE_SE_EEES9_SG_JZNS1_25segmented_radix_sort_implINS0_14default_configELb1EPKfPfPKlPlN2at6native12_GLOBAL__N_18offset_tEEE10hipError_tPvRmT1_PNSt15iterator_traitsISY_E10value_typeET2_T3_PNSZ_IS14_E10value_typeET4_jRbjT5_S1A_jjP12ihipStream_tbEUljE_EEESV_SW_SX_S14_S18_S1A_T6_T7_T9_mT8_S1C_bDpT10_ENKUlT_T0_E_clISt17integral_constantIbLb0EES1P_EEDaS1K_S1L_EUlS1K_E_NS1_11comp_targetILNS1_3genE4ELNS1_11target_archE910ELNS1_3gpuE8ELNS1_3repE0EEENS1_30default_config_static_selectorELNS0_4arch9wavefront6targetE0EEEvSY_,"axG",@progbits,_ZN7rocprim17ROCPRIM_400000_NS6detail17trampoline_kernelINS0_13select_configILj256ELj13ELNS0_17block_load_methodE3ELS4_3ELS4_3ELNS0_20block_scan_algorithmE0ELj4294967295EEENS1_25partition_config_selectorILNS1_17partition_subalgoE3EjNS0_10empty_typeEbEEZZNS1_14partition_implILS8_3ELb0ES6_jNS0_17counting_iteratorIjlEEPS9_SE_NS0_5tupleIJPjSE_EEENSF_IJSE_SE_EEES9_SG_JZNS1_25segmented_radix_sort_implINS0_14default_configELb1EPKfPfPKlPlN2at6native12_GLOBAL__N_18offset_tEEE10hipError_tPvRmT1_PNSt15iterator_traitsISY_E10value_typeET2_T3_PNSZ_IS14_E10value_typeET4_jRbjT5_S1A_jjP12ihipStream_tbEUljE_EEESV_SW_SX_S14_S18_S1A_T6_T7_T9_mT8_S1C_bDpT10_ENKUlT_T0_E_clISt17integral_constantIbLb0EES1P_EEDaS1K_S1L_EUlS1K_E_NS1_11comp_targetILNS1_3genE4ELNS1_11target_archE910ELNS1_3gpuE8ELNS1_3repE0EEENS1_30default_config_static_selectorELNS0_4arch9wavefront6targetE0EEEvSY_,comdat
.Lfunc_end1289:
	.size	_ZN7rocprim17ROCPRIM_400000_NS6detail17trampoline_kernelINS0_13select_configILj256ELj13ELNS0_17block_load_methodE3ELS4_3ELS4_3ELNS0_20block_scan_algorithmE0ELj4294967295EEENS1_25partition_config_selectorILNS1_17partition_subalgoE3EjNS0_10empty_typeEbEEZZNS1_14partition_implILS8_3ELb0ES6_jNS0_17counting_iteratorIjlEEPS9_SE_NS0_5tupleIJPjSE_EEENSF_IJSE_SE_EEES9_SG_JZNS1_25segmented_radix_sort_implINS0_14default_configELb1EPKfPfPKlPlN2at6native12_GLOBAL__N_18offset_tEEE10hipError_tPvRmT1_PNSt15iterator_traitsISY_E10value_typeET2_T3_PNSZ_IS14_E10value_typeET4_jRbjT5_S1A_jjP12ihipStream_tbEUljE_EEESV_SW_SX_S14_S18_S1A_T6_T7_T9_mT8_S1C_bDpT10_ENKUlT_T0_E_clISt17integral_constantIbLb0EES1P_EEDaS1K_S1L_EUlS1K_E_NS1_11comp_targetILNS1_3genE4ELNS1_11target_archE910ELNS1_3gpuE8ELNS1_3repE0EEENS1_30default_config_static_selectorELNS0_4arch9wavefront6targetE0EEEvSY_, .Lfunc_end1289-_ZN7rocprim17ROCPRIM_400000_NS6detail17trampoline_kernelINS0_13select_configILj256ELj13ELNS0_17block_load_methodE3ELS4_3ELS4_3ELNS0_20block_scan_algorithmE0ELj4294967295EEENS1_25partition_config_selectorILNS1_17partition_subalgoE3EjNS0_10empty_typeEbEEZZNS1_14partition_implILS8_3ELb0ES6_jNS0_17counting_iteratorIjlEEPS9_SE_NS0_5tupleIJPjSE_EEENSF_IJSE_SE_EEES9_SG_JZNS1_25segmented_radix_sort_implINS0_14default_configELb1EPKfPfPKlPlN2at6native12_GLOBAL__N_18offset_tEEE10hipError_tPvRmT1_PNSt15iterator_traitsISY_E10value_typeET2_T3_PNSZ_IS14_E10value_typeET4_jRbjT5_S1A_jjP12ihipStream_tbEUljE_EEESV_SW_SX_S14_S18_S1A_T6_T7_T9_mT8_S1C_bDpT10_ENKUlT_T0_E_clISt17integral_constantIbLb0EES1P_EEDaS1K_S1L_EUlS1K_E_NS1_11comp_targetILNS1_3genE4ELNS1_11target_archE910ELNS1_3gpuE8ELNS1_3repE0EEENS1_30default_config_static_selectorELNS0_4arch9wavefront6targetE0EEEvSY_
                                        ; -- End function
	.set _ZN7rocprim17ROCPRIM_400000_NS6detail17trampoline_kernelINS0_13select_configILj256ELj13ELNS0_17block_load_methodE3ELS4_3ELS4_3ELNS0_20block_scan_algorithmE0ELj4294967295EEENS1_25partition_config_selectorILNS1_17partition_subalgoE3EjNS0_10empty_typeEbEEZZNS1_14partition_implILS8_3ELb0ES6_jNS0_17counting_iteratorIjlEEPS9_SE_NS0_5tupleIJPjSE_EEENSF_IJSE_SE_EEES9_SG_JZNS1_25segmented_radix_sort_implINS0_14default_configELb1EPKfPfPKlPlN2at6native12_GLOBAL__N_18offset_tEEE10hipError_tPvRmT1_PNSt15iterator_traitsISY_E10value_typeET2_T3_PNSZ_IS14_E10value_typeET4_jRbjT5_S1A_jjP12ihipStream_tbEUljE_EEESV_SW_SX_S14_S18_S1A_T6_T7_T9_mT8_S1C_bDpT10_ENKUlT_T0_E_clISt17integral_constantIbLb0EES1P_EEDaS1K_S1L_EUlS1K_E_NS1_11comp_targetILNS1_3genE4ELNS1_11target_archE910ELNS1_3gpuE8ELNS1_3repE0EEENS1_30default_config_static_selectorELNS0_4arch9wavefront6targetE0EEEvSY_.num_vgpr, 0
	.set _ZN7rocprim17ROCPRIM_400000_NS6detail17trampoline_kernelINS0_13select_configILj256ELj13ELNS0_17block_load_methodE3ELS4_3ELS4_3ELNS0_20block_scan_algorithmE0ELj4294967295EEENS1_25partition_config_selectorILNS1_17partition_subalgoE3EjNS0_10empty_typeEbEEZZNS1_14partition_implILS8_3ELb0ES6_jNS0_17counting_iteratorIjlEEPS9_SE_NS0_5tupleIJPjSE_EEENSF_IJSE_SE_EEES9_SG_JZNS1_25segmented_radix_sort_implINS0_14default_configELb1EPKfPfPKlPlN2at6native12_GLOBAL__N_18offset_tEEE10hipError_tPvRmT1_PNSt15iterator_traitsISY_E10value_typeET2_T3_PNSZ_IS14_E10value_typeET4_jRbjT5_S1A_jjP12ihipStream_tbEUljE_EEESV_SW_SX_S14_S18_S1A_T6_T7_T9_mT8_S1C_bDpT10_ENKUlT_T0_E_clISt17integral_constantIbLb0EES1P_EEDaS1K_S1L_EUlS1K_E_NS1_11comp_targetILNS1_3genE4ELNS1_11target_archE910ELNS1_3gpuE8ELNS1_3repE0EEENS1_30default_config_static_selectorELNS0_4arch9wavefront6targetE0EEEvSY_.num_agpr, 0
	.set _ZN7rocprim17ROCPRIM_400000_NS6detail17trampoline_kernelINS0_13select_configILj256ELj13ELNS0_17block_load_methodE3ELS4_3ELS4_3ELNS0_20block_scan_algorithmE0ELj4294967295EEENS1_25partition_config_selectorILNS1_17partition_subalgoE3EjNS0_10empty_typeEbEEZZNS1_14partition_implILS8_3ELb0ES6_jNS0_17counting_iteratorIjlEEPS9_SE_NS0_5tupleIJPjSE_EEENSF_IJSE_SE_EEES9_SG_JZNS1_25segmented_radix_sort_implINS0_14default_configELb1EPKfPfPKlPlN2at6native12_GLOBAL__N_18offset_tEEE10hipError_tPvRmT1_PNSt15iterator_traitsISY_E10value_typeET2_T3_PNSZ_IS14_E10value_typeET4_jRbjT5_S1A_jjP12ihipStream_tbEUljE_EEESV_SW_SX_S14_S18_S1A_T6_T7_T9_mT8_S1C_bDpT10_ENKUlT_T0_E_clISt17integral_constantIbLb0EES1P_EEDaS1K_S1L_EUlS1K_E_NS1_11comp_targetILNS1_3genE4ELNS1_11target_archE910ELNS1_3gpuE8ELNS1_3repE0EEENS1_30default_config_static_selectorELNS0_4arch9wavefront6targetE0EEEvSY_.numbered_sgpr, 0
	.set _ZN7rocprim17ROCPRIM_400000_NS6detail17trampoline_kernelINS0_13select_configILj256ELj13ELNS0_17block_load_methodE3ELS4_3ELS4_3ELNS0_20block_scan_algorithmE0ELj4294967295EEENS1_25partition_config_selectorILNS1_17partition_subalgoE3EjNS0_10empty_typeEbEEZZNS1_14partition_implILS8_3ELb0ES6_jNS0_17counting_iteratorIjlEEPS9_SE_NS0_5tupleIJPjSE_EEENSF_IJSE_SE_EEES9_SG_JZNS1_25segmented_radix_sort_implINS0_14default_configELb1EPKfPfPKlPlN2at6native12_GLOBAL__N_18offset_tEEE10hipError_tPvRmT1_PNSt15iterator_traitsISY_E10value_typeET2_T3_PNSZ_IS14_E10value_typeET4_jRbjT5_S1A_jjP12ihipStream_tbEUljE_EEESV_SW_SX_S14_S18_S1A_T6_T7_T9_mT8_S1C_bDpT10_ENKUlT_T0_E_clISt17integral_constantIbLb0EES1P_EEDaS1K_S1L_EUlS1K_E_NS1_11comp_targetILNS1_3genE4ELNS1_11target_archE910ELNS1_3gpuE8ELNS1_3repE0EEENS1_30default_config_static_selectorELNS0_4arch9wavefront6targetE0EEEvSY_.num_named_barrier, 0
	.set _ZN7rocprim17ROCPRIM_400000_NS6detail17trampoline_kernelINS0_13select_configILj256ELj13ELNS0_17block_load_methodE3ELS4_3ELS4_3ELNS0_20block_scan_algorithmE0ELj4294967295EEENS1_25partition_config_selectorILNS1_17partition_subalgoE3EjNS0_10empty_typeEbEEZZNS1_14partition_implILS8_3ELb0ES6_jNS0_17counting_iteratorIjlEEPS9_SE_NS0_5tupleIJPjSE_EEENSF_IJSE_SE_EEES9_SG_JZNS1_25segmented_radix_sort_implINS0_14default_configELb1EPKfPfPKlPlN2at6native12_GLOBAL__N_18offset_tEEE10hipError_tPvRmT1_PNSt15iterator_traitsISY_E10value_typeET2_T3_PNSZ_IS14_E10value_typeET4_jRbjT5_S1A_jjP12ihipStream_tbEUljE_EEESV_SW_SX_S14_S18_S1A_T6_T7_T9_mT8_S1C_bDpT10_ENKUlT_T0_E_clISt17integral_constantIbLb0EES1P_EEDaS1K_S1L_EUlS1K_E_NS1_11comp_targetILNS1_3genE4ELNS1_11target_archE910ELNS1_3gpuE8ELNS1_3repE0EEENS1_30default_config_static_selectorELNS0_4arch9wavefront6targetE0EEEvSY_.private_seg_size, 0
	.set _ZN7rocprim17ROCPRIM_400000_NS6detail17trampoline_kernelINS0_13select_configILj256ELj13ELNS0_17block_load_methodE3ELS4_3ELS4_3ELNS0_20block_scan_algorithmE0ELj4294967295EEENS1_25partition_config_selectorILNS1_17partition_subalgoE3EjNS0_10empty_typeEbEEZZNS1_14partition_implILS8_3ELb0ES6_jNS0_17counting_iteratorIjlEEPS9_SE_NS0_5tupleIJPjSE_EEENSF_IJSE_SE_EEES9_SG_JZNS1_25segmented_radix_sort_implINS0_14default_configELb1EPKfPfPKlPlN2at6native12_GLOBAL__N_18offset_tEEE10hipError_tPvRmT1_PNSt15iterator_traitsISY_E10value_typeET2_T3_PNSZ_IS14_E10value_typeET4_jRbjT5_S1A_jjP12ihipStream_tbEUljE_EEESV_SW_SX_S14_S18_S1A_T6_T7_T9_mT8_S1C_bDpT10_ENKUlT_T0_E_clISt17integral_constantIbLb0EES1P_EEDaS1K_S1L_EUlS1K_E_NS1_11comp_targetILNS1_3genE4ELNS1_11target_archE910ELNS1_3gpuE8ELNS1_3repE0EEENS1_30default_config_static_selectorELNS0_4arch9wavefront6targetE0EEEvSY_.uses_vcc, 0
	.set _ZN7rocprim17ROCPRIM_400000_NS6detail17trampoline_kernelINS0_13select_configILj256ELj13ELNS0_17block_load_methodE3ELS4_3ELS4_3ELNS0_20block_scan_algorithmE0ELj4294967295EEENS1_25partition_config_selectorILNS1_17partition_subalgoE3EjNS0_10empty_typeEbEEZZNS1_14partition_implILS8_3ELb0ES6_jNS0_17counting_iteratorIjlEEPS9_SE_NS0_5tupleIJPjSE_EEENSF_IJSE_SE_EEES9_SG_JZNS1_25segmented_radix_sort_implINS0_14default_configELb1EPKfPfPKlPlN2at6native12_GLOBAL__N_18offset_tEEE10hipError_tPvRmT1_PNSt15iterator_traitsISY_E10value_typeET2_T3_PNSZ_IS14_E10value_typeET4_jRbjT5_S1A_jjP12ihipStream_tbEUljE_EEESV_SW_SX_S14_S18_S1A_T6_T7_T9_mT8_S1C_bDpT10_ENKUlT_T0_E_clISt17integral_constantIbLb0EES1P_EEDaS1K_S1L_EUlS1K_E_NS1_11comp_targetILNS1_3genE4ELNS1_11target_archE910ELNS1_3gpuE8ELNS1_3repE0EEENS1_30default_config_static_selectorELNS0_4arch9wavefront6targetE0EEEvSY_.uses_flat_scratch, 0
	.set _ZN7rocprim17ROCPRIM_400000_NS6detail17trampoline_kernelINS0_13select_configILj256ELj13ELNS0_17block_load_methodE3ELS4_3ELS4_3ELNS0_20block_scan_algorithmE0ELj4294967295EEENS1_25partition_config_selectorILNS1_17partition_subalgoE3EjNS0_10empty_typeEbEEZZNS1_14partition_implILS8_3ELb0ES6_jNS0_17counting_iteratorIjlEEPS9_SE_NS0_5tupleIJPjSE_EEENSF_IJSE_SE_EEES9_SG_JZNS1_25segmented_radix_sort_implINS0_14default_configELb1EPKfPfPKlPlN2at6native12_GLOBAL__N_18offset_tEEE10hipError_tPvRmT1_PNSt15iterator_traitsISY_E10value_typeET2_T3_PNSZ_IS14_E10value_typeET4_jRbjT5_S1A_jjP12ihipStream_tbEUljE_EEESV_SW_SX_S14_S18_S1A_T6_T7_T9_mT8_S1C_bDpT10_ENKUlT_T0_E_clISt17integral_constantIbLb0EES1P_EEDaS1K_S1L_EUlS1K_E_NS1_11comp_targetILNS1_3genE4ELNS1_11target_archE910ELNS1_3gpuE8ELNS1_3repE0EEENS1_30default_config_static_selectorELNS0_4arch9wavefront6targetE0EEEvSY_.has_dyn_sized_stack, 0
	.set _ZN7rocprim17ROCPRIM_400000_NS6detail17trampoline_kernelINS0_13select_configILj256ELj13ELNS0_17block_load_methodE3ELS4_3ELS4_3ELNS0_20block_scan_algorithmE0ELj4294967295EEENS1_25partition_config_selectorILNS1_17partition_subalgoE3EjNS0_10empty_typeEbEEZZNS1_14partition_implILS8_3ELb0ES6_jNS0_17counting_iteratorIjlEEPS9_SE_NS0_5tupleIJPjSE_EEENSF_IJSE_SE_EEES9_SG_JZNS1_25segmented_radix_sort_implINS0_14default_configELb1EPKfPfPKlPlN2at6native12_GLOBAL__N_18offset_tEEE10hipError_tPvRmT1_PNSt15iterator_traitsISY_E10value_typeET2_T3_PNSZ_IS14_E10value_typeET4_jRbjT5_S1A_jjP12ihipStream_tbEUljE_EEESV_SW_SX_S14_S18_S1A_T6_T7_T9_mT8_S1C_bDpT10_ENKUlT_T0_E_clISt17integral_constantIbLb0EES1P_EEDaS1K_S1L_EUlS1K_E_NS1_11comp_targetILNS1_3genE4ELNS1_11target_archE910ELNS1_3gpuE8ELNS1_3repE0EEENS1_30default_config_static_selectorELNS0_4arch9wavefront6targetE0EEEvSY_.has_recursion, 0
	.set _ZN7rocprim17ROCPRIM_400000_NS6detail17trampoline_kernelINS0_13select_configILj256ELj13ELNS0_17block_load_methodE3ELS4_3ELS4_3ELNS0_20block_scan_algorithmE0ELj4294967295EEENS1_25partition_config_selectorILNS1_17partition_subalgoE3EjNS0_10empty_typeEbEEZZNS1_14partition_implILS8_3ELb0ES6_jNS0_17counting_iteratorIjlEEPS9_SE_NS0_5tupleIJPjSE_EEENSF_IJSE_SE_EEES9_SG_JZNS1_25segmented_radix_sort_implINS0_14default_configELb1EPKfPfPKlPlN2at6native12_GLOBAL__N_18offset_tEEE10hipError_tPvRmT1_PNSt15iterator_traitsISY_E10value_typeET2_T3_PNSZ_IS14_E10value_typeET4_jRbjT5_S1A_jjP12ihipStream_tbEUljE_EEESV_SW_SX_S14_S18_S1A_T6_T7_T9_mT8_S1C_bDpT10_ENKUlT_T0_E_clISt17integral_constantIbLb0EES1P_EEDaS1K_S1L_EUlS1K_E_NS1_11comp_targetILNS1_3genE4ELNS1_11target_archE910ELNS1_3gpuE8ELNS1_3repE0EEENS1_30default_config_static_selectorELNS0_4arch9wavefront6targetE0EEEvSY_.has_indirect_call, 0
	.section	.AMDGPU.csdata,"",@progbits
; Kernel info:
; codeLenInByte = 0
; TotalNumSgprs: 0
; NumVgprs: 0
; ScratchSize: 0
; MemoryBound: 0
; FloatMode: 240
; IeeeMode: 1
; LDSByteSize: 0 bytes/workgroup (compile time only)
; SGPRBlocks: 0
; VGPRBlocks: 0
; NumSGPRsForWavesPerEU: 1
; NumVGPRsForWavesPerEU: 1
; NamedBarCnt: 0
; Occupancy: 16
; WaveLimiterHint : 0
; COMPUTE_PGM_RSRC2:SCRATCH_EN: 0
; COMPUTE_PGM_RSRC2:USER_SGPR: 2
; COMPUTE_PGM_RSRC2:TRAP_HANDLER: 0
; COMPUTE_PGM_RSRC2:TGID_X_EN: 1
; COMPUTE_PGM_RSRC2:TGID_Y_EN: 0
; COMPUTE_PGM_RSRC2:TGID_Z_EN: 0
; COMPUTE_PGM_RSRC2:TIDIG_COMP_CNT: 0
	.section	.text._ZN7rocprim17ROCPRIM_400000_NS6detail17trampoline_kernelINS0_13select_configILj256ELj13ELNS0_17block_load_methodE3ELS4_3ELS4_3ELNS0_20block_scan_algorithmE0ELj4294967295EEENS1_25partition_config_selectorILNS1_17partition_subalgoE3EjNS0_10empty_typeEbEEZZNS1_14partition_implILS8_3ELb0ES6_jNS0_17counting_iteratorIjlEEPS9_SE_NS0_5tupleIJPjSE_EEENSF_IJSE_SE_EEES9_SG_JZNS1_25segmented_radix_sort_implINS0_14default_configELb1EPKfPfPKlPlN2at6native12_GLOBAL__N_18offset_tEEE10hipError_tPvRmT1_PNSt15iterator_traitsISY_E10value_typeET2_T3_PNSZ_IS14_E10value_typeET4_jRbjT5_S1A_jjP12ihipStream_tbEUljE_EEESV_SW_SX_S14_S18_S1A_T6_T7_T9_mT8_S1C_bDpT10_ENKUlT_T0_E_clISt17integral_constantIbLb0EES1P_EEDaS1K_S1L_EUlS1K_E_NS1_11comp_targetILNS1_3genE3ELNS1_11target_archE908ELNS1_3gpuE7ELNS1_3repE0EEENS1_30default_config_static_selectorELNS0_4arch9wavefront6targetE0EEEvSY_,"axG",@progbits,_ZN7rocprim17ROCPRIM_400000_NS6detail17trampoline_kernelINS0_13select_configILj256ELj13ELNS0_17block_load_methodE3ELS4_3ELS4_3ELNS0_20block_scan_algorithmE0ELj4294967295EEENS1_25partition_config_selectorILNS1_17partition_subalgoE3EjNS0_10empty_typeEbEEZZNS1_14partition_implILS8_3ELb0ES6_jNS0_17counting_iteratorIjlEEPS9_SE_NS0_5tupleIJPjSE_EEENSF_IJSE_SE_EEES9_SG_JZNS1_25segmented_radix_sort_implINS0_14default_configELb1EPKfPfPKlPlN2at6native12_GLOBAL__N_18offset_tEEE10hipError_tPvRmT1_PNSt15iterator_traitsISY_E10value_typeET2_T3_PNSZ_IS14_E10value_typeET4_jRbjT5_S1A_jjP12ihipStream_tbEUljE_EEESV_SW_SX_S14_S18_S1A_T6_T7_T9_mT8_S1C_bDpT10_ENKUlT_T0_E_clISt17integral_constantIbLb0EES1P_EEDaS1K_S1L_EUlS1K_E_NS1_11comp_targetILNS1_3genE3ELNS1_11target_archE908ELNS1_3gpuE7ELNS1_3repE0EEENS1_30default_config_static_selectorELNS0_4arch9wavefront6targetE0EEEvSY_,comdat
	.globl	_ZN7rocprim17ROCPRIM_400000_NS6detail17trampoline_kernelINS0_13select_configILj256ELj13ELNS0_17block_load_methodE3ELS4_3ELS4_3ELNS0_20block_scan_algorithmE0ELj4294967295EEENS1_25partition_config_selectorILNS1_17partition_subalgoE3EjNS0_10empty_typeEbEEZZNS1_14partition_implILS8_3ELb0ES6_jNS0_17counting_iteratorIjlEEPS9_SE_NS0_5tupleIJPjSE_EEENSF_IJSE_SE_EEES9_SG_JZNS1_25segmented_radix_sort_implINS0_14default_configELb1EPKfPfPKlPlN2at6native12_GLOBAL__N_18offset_tEEE10hipError_tPvRmT1_PNSt15iterator_traitsISY_E10value_typeET2_T3_PNSZ_IS14_E10value_typeET4_jRbjT5_S1A_jjP12ihipStream_tbEUljE_EEESV_SW_SX_S14_S18_S1A_T6_T7_T9_mT8_S1C_bDpT10_ENKUlT_T0_E_clISt17integral_constantIbLb0EES1P_EEDaS1K_S1L_EUlS1K_E_NS1_11comp_targetILNS1_3genE3ELNS1_11target_archE908ELNS1_3gpuE7ELNS1_3repE0EEENS1_30default_config_static_selectorELNS0_4arch9wavefront6targetE0EEEvSY_ ; -- Begin function _ZN7rocprim17ROCPRIM_400000_NS6detail17trampoline_kernelINS0_13select_configILj256ELj13ELNS0_17block_load_methodE3ELS4_3ELS4_3ELNS0_20block_scan_algorithmE0ELj4294967295EEENS1_25partition_config_selectorILNS1_17partition_subalgoE3EjNS0_10empty_typeEbEEZZNS1_14partition_implILS8_3ELb0ES6_jNS0_17counting_iteratorIjlEEPS9_SE_NS0_5tupleIJPjSE_EEENSF_IJSE_SE_EEES9_SG_JZNS1_25segmented_radix_sort_implINS0_14default_configELb1EPKfPfPKlPlN2at6native12_GLOBAL__N_18offset_tEEE10hipError_tPvRmT1_PNSt15iterator_traitsISY_E10value_typeET2_T3_PNSZ_IS14_E10value_typeET4_jRbjT5_S1A_jjP12ihipStream_tbEUljE_EEESV_SW_SX_S14_S18_S1A_T6_T7_T9_mT8_S1C_bDpT10_ENKUlT_T0_E_clISt17integral_constantIbLb0EES1P_EEDaS1K_S1L_EUlS1K_E_NS1_11comp_targetILNS1_3genE3ELNS1_11target_archE908ELNS1_3gpuE7ELNS1_3repE0EEENS1_30default_config_static_selectorELNS0_4arch9wavefront6targetE0EEEvSY_
	.p2align	8
	.type	_ZN7rocprim17ROCPRIM_400000_NS6detail17trampoline_kernelINS0_13select_configILj256ELj13ELNS0_17block_load_methodE3ELS4_3ELS4_3ELNS0_20block_scan_algorithmE0ELj4294967295EEENS1_25partition_config_selectorILNS1_17partition_subalgoE3EjNS0_10empty_typeEbEEZZNS1_14partition_implILS8_3ELb0ES6_jNS0_17counting_iteratorIjlEEPS9_SE_NS0_5tupleIJPjSE_EEENSF_IJSE_SE_EEES9_SG_JZNS1_25segmented_radix_sort_implINS0_14default_configELb1EPKfPfPKlPlN2at6native12_GLOBAL__N_18offset_tEEE10hipError_tPvRmT1_PNSt15iterator_traitsISY_E10value_typeET2_T3_PNSZ_IS14_E10value_typeET4_jRbjT5_S1A_jjP12ihipStream_tbEUljE_EEESV_SW_SX_S14_S18_S1A_T6_T7_T9_mT8_S1C_bDpT10_ENKUlT_T0_E_clISt17integral_constantIbLb0EES1P_EEDaS1K_S1L_EUlS1K_E_NS1_11comp_targetILNS1_3genE3ELNS1_11target_archE908ELNS1_3gpuE7ELNS1_3repE0EEENS1_30default_config_static_selectorELNS0_4arch9wavefront6targetE0EEEvSY_,@function
_ZN7rocprim17ROCPRIM_400000_NS6detail17trampoline_kernelINS0_13select_configILj256ELj13ELNS0_17block_load_methodE3ELS4_3ELS4_3ELNS0_20block_scan_algorithmE0ELj4294967295EEENS1_25partition_config_selectorILNS1_17partition_subalgoE3EjNS0_10empty_typeEbEEZZNS1_14partition_implILS8_3ELb0ES6_jNS0_17counting_iteratorIjlEEPS9_SE_NS0_5tupleIJPjSE_EEENSF_IJSE_SE_EEES9_SG_JZNS1_25segmented_radix_sort_implINS0_14default_configELb1EPKfPfPKlPlN2at6native12_GLOBAL__N_18offset_tEEE10hipError_tPvRmT1_PNSt15iterator_traitsISY_E10value_typeET2_T3_PNSZ_IS14_E10value_typeET4_jRbjT5_S1A_jjP12ihipStream_tbEUljE_EEESV_SW_SX_S14_S18_S1A_T6_T7_T9_mT8_S1C_bDpT10_ENKUlT_T0_E_clISt17integral_constantIbLb0EES1P_EEDaS1K_S1L_EUlS1K_E_NS1_11comp_targetILNS1_3genE3ELNS1_11target_archE908ELNS1_3gpuE7ELNS1_3repE0EEENS1_30default_config_static_selectorELNS0_4arch9wavefront6targetE0EEEvSY_: ; @_ZN7rocprim17ROCPRIM_400000_NS6detail17trampoline_kernelINS0_13select_configILj256ELj13ELNS0_17block_load_methodE3ELS4_3ELS4_3ELNS0_20block_scan_algorithmE0ELj4294967295EEENS1_25partition_config_selectorILNS1_17partition_subalgoE3EjNS0_10empty_typeEbEEZZNS1_14partition_implILS8_3ELb0ES6_jNS0_17counting_iteratorIjlEEPS9_SE_NS0_5tupleIJPjSE_EEENSF_IJSE_SE_EEES9_SG_JZNS1_25segmented_radix_sort_implINS0_14default_configELb1EPKfPfPKlPlN2at6native12_GLOBAL__N_18offset_tEEE10hipError_tPvRmT1_PNSt15iterator_traitsISY_E10value_typeET2_T3_PNSZ_IS14_E10value_typeET4_jRbjT5_S1A_jjP12ihipStream_tbEUljE_EEESV_SW_SX_S14_S18_S1A_T6_T7_T9_mT8_S1C_bDpT10_ENKUlT_T0_E_clISt17integral_constantIbLb0EES1P_EEDaS1K_S1L_EUlS1K_E_NS1_11comp_targetILNS1_3genE3ELNS1_11target_archE908ELNS1_3gpuE7ELNS1_3repE0EEENS1_30default_config_static_selectorELNS0_4arch9wavefront6targetE0EEEvSY_
; %bb.0:
	.section	.rodata,"a",@progbits
	.p2align	6, 0x0
	.amdhsa_kernel _ZN7rocprim17ROCPRIM_400000_NS6detail17trampoline_kernelINS0_13select_configILj256ELj13ELNS0_17block_load_methodE3ELS4_3ELS4_3ELNS0_20block_scan_algorithmE0ELj4294967295EEENS1_25partition_config_selectorILNS1_17partition_subalgoE3EjNS0_10empty_typeEbEEZZNS1_14partition_implILS8_3ELb0ES6_jNS0_17counting_iteratorIjlEEPS9_SE_NS0_5tupleIJPjSE_EEENSF_IJSE_SE_EEES9_SG_JZNS1_25segmented_radix_sort_implINS0_14default_configELb1EPKfPfPKlPlN2at6native12_GLOBAL__N_18offset_tEEE10hipError_tPvRmT1_PNSt15iterator_traitsISY_E10value_typeET2_T3_PNSZ_IS14_E10value_typeET4_jRbjT5_S1A_jjP12ihipStream_tbEUljE_EEESV_SW_SX_S14_S18_S1A_T6_T7_T9_mT8_S1C_bDpT10_ENKUlT_T0_E_clISt17integral_constantIbLb0EES1P_EEDaS1K_S1L_EUlS1K_E_NS1_11comp_targetILNS1_3genE3ELNS1_11target_archE908ELNS1_3gpuE7ELNS1_3repE0EEENS1_30default_config_static_selectorELNS0_4arch9wavefront6targetE0EEEvSY_
		.amdhsa_group_segment_fixed_size 0
		.amdhsa_private_segment_fixed_size 0
		.amdhsa_kernarg_size 144
		.amdhsa_user_sgpr_count 2
		.amdhsa_user_sgpr_dispatch_ptr 0
		.amdhsa_user_sgpr_queue_ptr 0
		.amdhsa_user_sgpr_kernarg_segment_ptr 1
		.amdhsa_user_sgpr_dispatch_id 0
		.amdhsa_user_sgpr_kernarg_preload_length 0
		.amdhsa_user_sgpr_kernarg_preload_offset 0
		.amdhsa_user_sgpr_private_segment_size 0
		.amdhsa_wavefront_size32 1
		.amdhsa_uses_dynamic_stack 0
		.amdhsa_enable_private_segment 0
		.amdhsa_system_sgpr_workgroup_id_x 1
		.amdhsa_system_sgpr_workgroup_id_y 0
		.amdhsa_system_sgpr_workgroup_id_z 0
		.amdhsa_system_sgpr_workgroup_info 0
		.amdhsa_system_vgpr_workitem_id 0
		.amdhsa_next_free_vgpr 1
		.amdhsa_next_free_sgpr 1
		.amdhsa_named_barrier_count 0
		.amdhsa_reserve_vcc 0
		.amdhsa_float_round_mode_32 0
		.amdhsa_float_round_mode_16_64 0
		.amdhsa_float_denorm_mode_32 3
		.amdhsa_float_denorm_mode_16_64 3
		.amdhsa_fp16_overflow 0
		.amdhsa_memory_ordered 1
		.amdhsa_forward_progress 1
		.amdhsa_inst_pref_size 0
		.amdhsa_round_robin_scheduling 0
		.amdhsa_exception_fp_ieee_invalid_op 0
		.amdhsa_exception_fp_denorm_src 0
		.amdhsa_exception_fp_ieee_div_zero 0
		.amdhsa_exception_fp_ieee_overflow 0
		.amdhsa_exception_fp_ieee_underflow 0
		.amdhsa_exception_fp_ieee_inexact 0
		.amdhsa_exception_int_div_zero 0
	.end_amdhsa_kernel
	.section	.text._ZN7rocprim17ROCPRIM_400000_NS6detail17trampoline_kernelINS0_13select_configILj256ELj13ELNS0_17block_load_methodE3ELS4_3ELS4_3ELNS0_20block_scan_algorithmE0ELj4294967295EEENS1_25partition_config_selectorILNS1_17partition_subalgoE3EjNS0_10empty_typeEbEEZZNS1_14partition_implILS8_3ELb0ES6_jNS0_17counting_iteratorIjlEEPS9_SE_NS0_5tupleIJPjSE_EEENSF_IJSE_SE_EEES9_SG_JZNS1_25segmented_radix_sort_implINS0_14default_configELb1EPKfPfPKlPlN2at6native12_GLOBAL__N_18offset_tEEE10hipError_tPvRmT1_PNSt15iterator_traitsISY_E10value_typeET2_T3_PNSZ_IS14_E10value_typeET4_jRbjT5_S1A_jjP12ihipStream_tbEUljE_EEESV_SW_SX_S14_S18_S1A_T6_T7_T9_mT8_S1C_bDpT10_ENKUlT_T0_E_clISt17integral_constantIbLb0EES1P_EEDaS1K_S1L_EUlS1K_E_NS1_11comp_targetILNS1_3genE3ELNS1_11target_archE908ELNS1_3gpuE7ELNS1_3repE0EEENS1_30default_config_static_selectorELNS0_4arch9wavefront6targetE0EEEvSY_,"axG",@progbits,_ZN7rocprim17ROCPRIM_400000_NS6detail17trampoline_kernelINS0_13select_configILj256ELj13ELNS0_17block_load_methodE3ELS4_3ELS4_3ELNS0_20block_scan_algorithmE0ELj4294967295EEENS1_25partition_config_selectorILNS1_17partition_subalgoE3EjNS0_10empty_typeEbEEZZNS1_14partition_implILS8_3ELb0ES6_jNS0_17counting_iteratorIjlEEPS9_SE_NS0_5tupleIJPjSE_EEENSF_IJSE_SE_EEES9_SG_JZNS1_25segmented_radix_sort_implINS0_14default_configELb1EPKfPfPKlPlN2at6native12_GLOBAL__N_18offset_tEEE10hipError_tPvRmT1_PNSt15iterator_traitsISY_E10value_typeET2_T3_PNSZ_IS14_E10value_typeET4_jRbjT5_S1A_jjP12ihipStream_tbEUljE_EEESV_SW_SX_S14_S18_S1A_T6_T7_T9_mT8_S1C_bDpT10_ENKUlT_T0_E_clISt17integral_constantIbLb0EES1P_EEDaS1K_S1L_EUlS1K_E_NS1_11comp_targetILNS1_3genE3ELNS1_11target_archE908ELNS1_3gpuE7ELNS1_3repE0EEENS1_30default_config_static_selectorELNS0_4arch9wavefront6targetE0EEEvSY_,comdat
.Lfunc_end1290:
	.size	_ZN7rocprim17ROCPRIM_400000_NS6detail17trampoline_kernelINS0_13select_configILj256ELj13ELNS0_17block_load_methodE3ELS4_3ELS4_3ELNS0_20block_scan_algorithmE0ELj4294967295EEENS1_25partition_config_selectorILNS1_17partition_subalgoE3EjNS0_10empty_typeEbEEZZNS1_14partition_implILS8_3ELb0ES6_jNS0_17counting_iteratorIjlEEPS9_SE_NS0_5tupleIJPjSE_EEENSF_IJSE_SE_EEES9_SG_JZNS1_25segmented_radix_sort_implINS0_14default_configELb1EPKfPfPKlPlN2at6native12_GLOBAL__N_18offset_tEEE10hipError_tPvRmT1_PNSt15iterator_traitsISY_E10value_typeET2_T3_PNSZ_IS14_E10value_typeET4_jRbjT5_S1A_jjP12ihipStream_tbEUljE_EEESV_SW_SX_S14_S18_S1A_T6_T7_T9_mT8_S1C_bDpT10_ENKUlT_T0_E_clISt17integral_constantIbLb0EES1P_EEDaS1K_S1L_EUlS1K_E_NS1_11comp_targetILNS1_3genE3ELNS1_11target_archE908ELNS1_3gpuE7ELNS1_3repE0EEENS1_30default_config_static_selectorELNS0_4arch9wavefront6targetE0EEEvSY_, .Lfunc_end1290-_ZN7rocprim17ROCPRIM_400000_NS6detail17trampoline_kernelINS0_13select_configILj256ELj13ELNS0_17block_load_methodE3ELS4_3ELS4_3ELNS0_20block_scan_algorithmE0ELj4294967295EEENS1_25partition_config_selectorILNS1_17partition_subalgoE3EjNS0_10empty_typeEbEEZZNS1_14partition_implILS8_3ELb0ES6_jNS0_17counting_iteratorIjlEEPS9_SE_NS0_5tupleIJPjSE_EEENSF_IJSE_SE_EEES9_SG_JZNS1_25segmented_radix_sort_implINS0_14default_configELb1EPKfPfPKlPlN2at6native12_GLOBAL__N_18offset_tEEE10hipError_tPvRmT1_PNSt15iterator_traitsISY_E10value_typeET2_T3_PNSZ_IS14_E10value_typeET4_jRbjT5_S1A_jjP12ihipStream_tbEUljE_EEESV_SW_SX_S14_S18_S1A_T6_T7_T9_mT8_S1C_bDpT10_ENKUlT_T0_E_clISt17integral_constantIbLb0EES1P_EEDaS1K_S1L_EUlS1K_E_NS1_11comp_targetILNS1_3genE3ELNS1_11target_archE908ELNS1_3gpuE7ELNS1_3repE0EEENS1_30default_config_static_selectorELNS0_4arch9wavefront6targetE0EEEvSY_
                                        ; -- End function
	.set _ZN7rocprim17ROCPRIM_400000_NS6detail17trampoline_kernelINS0_13select_configILj256ELj13ELNS0_17block_load_methodE3ELS4_3ELS4_3ELNS0_20block_scan_algorithmE0ELj4294967295EEENS1_25partition_config_selectorILNS1_17partition_subalgoE3EjNS0_10empty_typeEbEEZZNS1_14partition_implILS8_3ELb0ES6_jNS0_17counting_iteratorIjlEEPS9_SE_NS0_5tupleIJPjSE_EEENSF_IJSE_SE_EEES9_SG_JZNS1_25segmented_radix_sort_implINS0_14default_configELb1EPKfPfPKlPlN2at6native12_GLOBAL__N_18offset_tEEE10hipError_tPvRmT1_PNSt15iterator_traitsISY_E10value_typeET2_T3_PNSZ_IS14_E10value_typeET4_jRbjT5_S1A_jjP12ihipStream_tbEUljE_EEESV_SW_SX_S14_S18_S1A_T6_T7_T9_mT8_S1C_bDpT10_ENKUlT_T0_E_clISt17integral_constantIbLb0EES1P_EEDaS1K_S1L_EUlS1K_E_NS1_11comp_targetILNS1_3genE3ELNS1_11target_archE908ELNS1_3gpuE7ELNS1_3repE0EEENS1_30default_config_static_selectorELNS0_4arch9wavefront6targetE0EEEvSY_.num_vgpr, 0
	.set _ZN7rocprim17ROCPRIM_400000_NS6detail17trampoline_kernelINS0_13select_configILj256ELj13ELNS0_17block_load_methodE3ELS4_3ELS4_3ELNS0_20block_scan_algorithmE0ELj4294967295EEENS1_25partition_config_selectorILNS1_17partition_subalgoE3EjNS0_10empty_typeEbEEZZNS1_14partition_implILS8_3ELb0ES6_jNS0_17counting_iteratorIjlEEPS9_SE_NS0_5tupleIJPjSE_EEENSF_IJSE_SE_EEES9_SG_JZNS1_25segmented_radix_sort_implINS0_14default_configELb1EPKfPfPKlPlN2at6native12_GLOBAL__N_18offset_tEEE10hipError_tPvRmT1_PNSt15iterator_traitsISY_E10value_typeET2_T3_PNSZ_IS14_E10value_typeET4_jRbjT5_S1A_jjP12ihipStream_tbEUljE_EEESV_SW_SX_S14_S18_S1A_T6_T7_T9_mT8_S1C_bDpT10_ENKUlT_T0_E_clISt17integral_constantIbLb0EES1P_EEDaS1K_S1L_EUlS1K_E_NS1_11comp_targetILNS1_3genE3ELNS1_11target_archE908ELNS1_3gpuE7ELNS1_3repE0EEENS1_30default_config_static_selectorELNS0_4arch9wavefront6targetE0EEEvSY_.num_agpr, 0
	.set _ZN7rocprim17ROCPRIM_400000_NS6detail17trampoline_kernelINS0_13select_configILj256ELj13ELNS0_17block_load_methodE3ELS4_3ELS4_3ELNS0_20block_scan_algorithmE0ELj4294967295EEENS1_25partition_config_selectorILNS1_17partition_subalgoE3EjNS0_10empty_typeEbEEZZNS1_14partition_implILS8_3ELb0ES6_jNS0_17counting_iteratorIjlEEPS9_SE_NS0_5tupleIJPjSE_EEENSF_IJSE_SE_EEES9_SG_JZNS1_25segmented_radix_sort_implINS0_14default_configELb1EPKfPfPKlPlN2at6native12_GLOBAL__N_18offset_tEEE10hipError_tPvRmT1_PNSt15iterator_traitsISY_E10value_typeET2_T3_PNSZ_IS14_E10value_typeET4_jRbjT5_S1A_jjP12ihipStream_tbEUljE_EEESV_SW_SX_S14_S18_S1A_T6_T7_T9_mT8_S1C_bDpT10_ENKUlT_T0_E_clISt17integral_constantIbLb0EES1P_EEDaS1K_S1L_EUlS1K_E_NS1_11comp_targetILNS1_3genE3ELNS1_11target_archE908ELNS1_3gpuE7ELNS1_3repE0EEENS1_30default_config_static_selectorELNS0_4arch9wavefront6targetE0EEEvSY_.numbered_sgpr, 0
	.set _ZN7rocprim17ROCPRIM_400000_NS6detail17trampoline_kernelINS0_13select_configILj256ELj13ELNS0_17block_load_methodE3ELS4_3ELS4_3ELNS0_20block_scan_algorithmE0ELj4294967295EEENS1_25partition_config_selectorILNS1_17partition_subalgoE3EjNS0_10empty_typeEbEEZZNS1_14partition_implILS8_3ELb0ES6_jNS0_17counting_iteratorIjlEEPS9_SE_NS0_5tupleIJPjSE_EEENSF_IJSE_SE_EEES9_SG_JZNS1_25segmented_radix_sort_implINS0_14default_configELb1EPKfPfPKlPlN2at6native12_GLOBAL__N_18offset_tEEE10hipError_tPvRmT1_PNSt15iterator_traitsISY_E10value_typeET2_T3_PNSZ_IS14_E10value_typeET4_jRbjT5_S1A_jjP12ihipStream_tbEUljE_EEESV_SW_SX_S14_S18_S1A_T6_T7_T9_mT8_S1C_bDpT10_ENKUlT_T0_E_clISt17integral_constantIbLb0EES1P_EEDaS1K_S1L_EUlS1K_E_NS1_11comp_targetILNS1_3genE3ELNS1_11target_archE908ELNS1_3gpuE7ELNS1_3repE0EEENS1_30default_config_static_selectorELNS0_4arch9wavefront6targetE0EEEvSY_.num_named_barrier, 0
	.set _ZN7rocprim17ROCPRIM_400000_NS6detail17trampoline_kernelINS0_13select_configILj256ELj13ELNS0_17block_load_methodE3ELS4_3ELS4_3ELNS0_20block_scan_algorithmE0ELj4294967295EEENS1_25partition_config_selectorILNS1_17partition_subalgoE3EjNS0_10empty_typeEbEEZZNS1_14partition_implILS8_3ELb0ES6_jNS0_17counting_iteratorIjlEEPS9_SE_NS0_5tupleIJPjSE_EEENSF_IJSE_SE_EEES9_SG_JZNS1_25segmented_radix_sort_implINS0_14default_configELb1EPKfPfPKlPlN2at6native12_GLOBAL__N_18offset_tEEE10hipError_tPvRmT1_PNSt15iterator_traitsISY_E10value_typeET2_T3_PNSZ_IS14_E10value_typeET4_jRbjT5_S1A_jjP12ihipStream_tbEUljE_EEESV_SW_SX_S14_S18_S1A_T6_T7_T9_mT8_S1C_bDpT10_ENKUlT_T0_E_clISt17integral_constantIbLb0EES1P_EEDaS1K_S1L_EUlS1K_E_NS1_11comp_targetILNS1_3genE3ELNS1_11target_archE908ELNS1_3gpuE7ELNS1_3repE0EEENS1_30default_config_static_selectorELNS0_4arch9wavefront6targetE0EEEvSY_.private_seg_size, 0
	.set _ZN7rocprim17ROCPRIM_400000_NS6detail17trampoline_kernelINS0_13select_configILj256ELj13ELNS0_17block_load_methodE3ELS4_3ELS4_3ELNS0_20block_scan_algorithmE0ELj4294967295EEENS1_25partition_config_selectorILNS1_17partition_subalgoE3EjNS0_10empty_typeEbEEZZNS1_14partition_implILS8_3ELb0ES6_jNS0_17counting_iteratorIjlEEPS9_SE_NS0_5tupleIJPjSE_EEENSF_IJSE_SE_EEES9_SG_JZNS1_25segmented_radix_sort_implINS0_14default_configELb1EPKfPfPKlPlN2at6native12_GLOBAL__N_18offset_tEEE10hipError_tPvRmT1_PNSt15iterator_traitsISY_E10value_typeET2_T3_PNSZ_IS14_E10value_typeET4_jRbjT5_S1A_jjP12ihipStream_tbEUljE_EEESV_SW_SX_S14_S18_S1A_T6_T7_T9_mT8_S1C_bDpT10_ENKUlT_T0_E_clISt17integral_constantIbLb0EES1P_EEDaS1K_S1L_EUlS1K_E_NS1_11comp_targetILNS1_3genE3ELNS1_11target_archE908ELNS1_3gpuE7ELNS1_3repE0EEENS1_30default_config_static_selectorELNS0_4arch9wavefront6targetE0EEEvSY_.uses_vcc, 0
	.set _ZN7rocprim17ROCPRIM_400000_NS6detail17trampoline_kernelINS0_13select_configILj256ELj13ELNS0_17block_load_methodE3ELS4_3ELS4_3ELNS0_20block_scan_algorithmE0ELj4294967295EEENS1_25partition_config_selectorILNS1_17partition_subalgoE3EjNS0_10empty_typeEbEEZZNS1_14partition_implILS8_3ELb0ES6_jNS0_17counting_iteratorIjlEEPS9_SE_NS0_5tupleIJPjSE_EEENSF_IJSE_SE_EEES9_SG_JZNS1_25segmented_radix_sort_implINS0_14default_configELb1EPKfPfPKlPlN2at6native12_GLOBAL__N_18offset_tEEE10hipError_tPvRmT1_PNSt15iterator_traitsISY_E10value_typeET2_T3_PNSZ_IS14_E10value_typeET4_jRbjT5_S1A_jjP12ihipStream_tbEUljE_EEESV_SW_SX_S14_S18_S1A_T6_T7_T9_mT8_S1C_bDpT10_ENKUlT_T0_E_clISt17integral_constantIbLb0EES1P_EEDaS1K_S1L_EUlS1K_E_NS1_11comp_targetILNS1_3genE3ELNS1_11target_archE908ELNS1_3gpuE7ELNS1_3repE0EEENS1_30default_config_static_selectorELNS0_4arch9wavefront6targetE0EEEvSY_.uses_flat_scratch, 0
	.set _ZN7rocprim17ROCPRIM_400000_NS6detail17trampoline_kernelINS0_13select_configILj256ELj13ELNS0_17block_load_methodE3ELS4_3ELS4_3ELNS0_20block_scan_algorithmE0ELj4294967295EEENS1_25partition_config_selectorILNS1_17partition_subalgoE3EjNS0_10empty_typeEbEEZZNS1_14partition_implILS8_3ELb0ES6_jNS0_17counting_iteratorIjlEEPS9_SE_NS0_5tupleIJPjSE_EEENSF_IJSE_SE_EEES9_SG_JZNS1_25segmented_radix_sort_implINS0_14default_configELb1EPKfPfPKlPlN2at6native12_GLOBAL__N_18offset_tEEE10hipError_tPvRmT1_PNSt15iterator_traitsISY_E10value_typeET2_T3_PNSZ_IS14_E10value_typeET4_jRbjT5_S1A_jjP12ihipStream_tbEUljE_EEESV_SW_SX_S14_S18_S1A_T6_T7_T9_mT8_S1C_bDpT10_ENKUlT_T0_E_clISt17integral_constantIbLb0EES1P_EEDaS1K_S1L_EUlS1K_E_NS1_11comp_targetILNS1_3genE3ELNS1_11target_archE908ELNS1_3gpuE7ELNS1_3repE0EEENS1_30default_config_static_selectorELNS0_4arch9wavefront6targetE0EEEvSY_.has_dyn_sized_stack, 0
	.set _ZN7rocprim17ROCPRIM_400000_NS6detail17trampoline_kernelINS0_13select_configILj256ELj13ELNS0_17block_load_methodE3ELS4_3ELS4_3ELNS0_20block_scan_algorithmE0ELj4294967295EEENS1_25partition_config_selectorILNS1_17partition_subalgoE3EjNS0_10empty_typeEbEEZZNS1_14partition_implILS8_3ELb0ES6_jNS0_17counting_iteratorIjlEEPS9_SE_NS0_5tupleIJPjSE_EEENSF_IJSE_SE_EEES9_SG_JZNS1_25segmented_radix_sort_implINS0_14default_configELb1EPKfPfPKlPlN2at6native12_GLOBAL__N_18offset_tEEE10hipError_tPvRmT1_PNSt15iterator_traitsISY_E10value_typeET2_T3_PNSZ_IS14_E10value_typeET4_jRbjT5_S1A_jjP12ihipStream_tbEUljE_EEESV_SW_SX_S14_S18_S1A_T6_T7_T9_mT8_S1C_bDpT10_ENKUlT_T0_E_clISt17integral_constantIbLb0EES1P_EEDaS1K_S1L_EUlS1K_E_NS1_11comp_targetILNS1_3genE3ELNS1_11target_archE908ELNS1_3gpuE7ELNS1_3repE0EEENS1_30default_config_static_selectorELNS0_4arch9wavefront6targetE0EEEvSY_.has_recursion, 0
	.set _ZN7rocprim17ROCPRIM_400000_NS6detail17trampoline_kernelINS0_13select_configILj256ELj13ELNS0_17block_load_methodE3ELS4_3ELS4_3ELNS0_20block_scan_algorithmE0ELj4294967295EEENS1_25partition_config_selectorILNS1_17partition_subalgoE3EjNS0_10empty_typeEbEEZZNS1_14partition_implILS8_3ELb0ES6_jNS0_17counting_iteratorIjlEEPS9_SE_NS0_5tupleIJPjSE_EEENSF_IJSE_SE_EEES9_SG_JZNS1_25segmented_radix_sort_implINS0_14default_configELb1EPKfPfPKlPlN2at6native12_GLOBAL__N_18offset_tEEE10hipError_tPvRmT1_PNSt15iterator_traitsISY_E10value_typeET2_T3_PNSZ_IS14_E10value_typeET4_jRbjT5_S1A_jjP12ihipStream_tbEUljE_EEESV_SW_SX_S14_S18_S1A_T6_T7_T9_mT8_S1C_bDpT10_ENKUlT_T0_E_clISt17integral_constantIbLb0EES1P_EEDaS1K_S1L_EUlS1K_E_NS1_11comp_targetILNS1_3genE3ELNS1_11target_archE908ELNS1_3gpuE7ELNS1_3repE0EEENS1_30default_config_static_selectorELNS0_4arch9wavefront6targetE0EEEvSY_.has_indirect_call, 0
	.section	.AMDGPU.csdata,"",@progbits
; Kernel info:
; codeLenInByte = 0
; TotalNumSgprs: 0
; NumVgprs: 0
; ScratchSize: 0
; MemoryBound: 0
; FloatMode: 240
; IeeeMode: 1
; LDSByteSize: 0 bytes/workgroup (compile time only)
; SGPRBlocks: 0
; VGPRBlocks: 0
; NumSGPRsForWavesPerEU: 1
; NumVGPRsForWavesPerEU: 1
; NamedBarCnt: 0
; Occupancy: 16
; WaveLimiterHint : 0
; COMPUTE_PGM_RSRC2:SCRATCH_EN: 0
; COMPUTE_PGM_RSRC2:USER_SGPR: 2
; COMPUTE_PGM_RSRC2:TRAP_HANDLER: 0
; COMPUTE_PGM_RSRC2:TGID_X_EN: 1
; COMPUTE_PGM_RSRC2:TGID_Y_EN: 0
; COMPUTE_PGM_RSRC2:TGID_Z_EN: 0
; COMPUTE_PGM_RSRC2:TIDIG_COMP_CNT: 0
	.section	.text._ZN7rocprim17ROCPRIM_400000_NS6detail17trampoline_kernelINS0_13select_configILj256ELj13ELNS0_17block_load_methodE3ELS4_3ELS4_3ELNS0_20block_scan_algorithmE0ELj4294967295EEENS1_25partition_config_selectorILNS1_17partition_subalgoE3EjNS0_10empty_typeEbEEZZNS1_14partition_implILS8_3ELb0ES6_jNS0_17counting_iteratorIjlEEPS9_SE_NS0_5tupleIJPjSE_EEENSF_IJSE_SE_EEES9_SG_JZNS1_25segmented_radix_sort_implINS0_14default_configELb1EPKfPfPKlPlN2at6native12_GLOBAL__N_18offset_tEEE10hipError_tPvRmT1_PNSt15iterator_traitsISY_E10value_typeET2_T3_PNSZ_IS14_E10value_typeET4_jRbjT5_S1A_jjP12ihipStream_tbEUljE_EEESV_SW_SX_S14_S18_S1A_T6_T7_T9_mT8_S1C_bDpT10_ENKUlT_T0_E_clISt17integral_constantIbLb0EES1P_EEDaS1K_S1L_EUlS1K_E_NS1_11comp_targetILNS1_3genE2ELNS1_11target_archE906ELNS1_3gpuE6ELNS1_3repE0EEENS1_30default_config_static_selectorELNS0_4arch9wavefront6targetE0EEEvSY_,"axG",@progbits,_ZN7rocprim17ROCPRIM_400000_NS6detail17trampoline_kernelINS0_13select_configILj256ELj13ELNS0_17block_load_methodE3ELS4_3ELS4_3ELNS0_20block_scan_algorithmE0ELj4294967295EEENS1_25partition_config_selectorILNS1_17partition_subalgoE3EjNS0_10empty_typeEbEEZZNS1_14partition_implILS8_3ELb0ES6_jNS0_17counting_iteratorIjlEEPS9_SE_NS0_5tupleIJPjSE_EEENSF_IJSE_SE_EEES9_SG_JZNS1_25segmented_radix_sort_implINS0_14default_configELb1EPKfPfPKlPlN2at6native12_GLOBAL__N_18offset_tEEE10hipError_tPvRmT1_PNSt15iterator_traitsISY_E10value_typeET2_T3_PNSZ_IS14_E10value_typeET4_jRbjT5_S1A_jjP12ihipStream_tbEUljE_EEESV_SW_SX_S14_S18_S1A_T6_T7_T9_mT8_S1C_bDpT10_ENKUlT_T0_E_clISt17integral_constantIbLb0EES1P_EEDaS1K_S1L_EUlS1K_E_NS1_11comp_targetILNS1_3genE2ELNS1_11target_archE906ELNS1_3gpuE6ELNS1_3repE0EEENS1_30default_config_static_selectorELNS0_4arch9wavefront6targetE0EEEvSY_,comdat
	.globl	_ZN7rocprim17ROCPRIM_400000_NS6detail17trampoline_kernelINS0_13select_configILj256ELj13ELNS0_17block_load_methodE3ELS4_3ELS4_3ELNS0_20block_scan_algorithmE0ELj4294967295EEENS1_25partition_config_selectorILNS1_17partition_subalgoE3EjNS0_10empty_typeEbEEZZNS1_14partition_implILS8_3ELb0ES6_jNS0_17counting_iteratorIjlEEPS9_SE_NS0_5tupleIJPjSE_EEENSF_IJSE_SE_EEES9_SG_JZNS1_25segmented_radix_sort_implINS0_14default_configELb1EPKfPfPKlPlN2at6native12_GLOBAL__N_18offset_tEEE10hipError_tPvRmT1_PNSt15iterator_traitsISY_E10value_typeET2_T3_PNSZ_IS14_E10value_typeET4_jRbjT5_S1A_jjP12ihipStream_tbEUljE_EEESV_SW_SX_S14_S18_S1A_T6_T7_T9_mT8_S1C_bDpT10_ENKUlT_T0_E_clISt17integral_constantIbLb0EES1P_EEDaS1K_S1L_EUlS1K_E_NS1_11comp_targetILNS1_3genE2ELNS1_11target_archE906ELNS1_3gpuE6ELNS1_3repE0EEENS1_30default_config_static_selectorELNS0_4arch9wavefront6targetE0EEEvSY_ ; -- Begin function _ZN7rocprim17ROCPRIM_400000_NS6detail17trampoline_kernelINS0_13select_configILj256ELj13ELNS0_17block_load_methodE3ELS4_3ELS4_3ELNS0_20block_scan_algorithmE0ELj4294967295EEENS1_25partition_config_selectorILNS1_17partition_subalgoE3EjNS0_10empty_typeEbEEZZNS1_14partition_implILS8_3ELb0ES6_jNS0_17counting_iteratorIjlEEPS9_SE_NS0_5tupleIJPjSE_EEENSF_IJSE_SE_EEES9_SG_JZNS1_25segmented_radix_sort_implINS0_14default_configELb1EPKfPfPKlPlN2at6native12_GLOBAL__N_18offset_tEEE10hipError_tPvRmT1_PNSt15iterator_traitsISY_E10value_typeET2_T3_PNSZ_IS14_E10value_typeET4_jRbjT5_S1A_jjP12ihipStream_tbEUljE_EEESV_SW_SX_S14_S18_S1A_T6_T7_T9_mT8_S1C_bDpT10_ENKUlT_T0_E_clISt17integral_constantIbLb0EES1P_EEDaS1K_S1L_EUlS1K_E_NS1_11comp_targetILNS1_3genE2ELNS1_11target_archE906ELNS1_3gpuE6ELNS1_3repE0EEENS1_30default_config_static_selectorELNS0_4arch9wavefront6targetE0EEEvSY_
	.p2align	8
	.type	_ZN7rocprim17ROCPRIM_400000_NS6detail17trampoline_kernelINS0_13select_configILj256ELj13ELNS0_17block_load_methodE3ELS4_3ELS4_3ELNS0_20block_scan_algorithmE0ELj4294967295EEENS1_25partition_config_selectorILNS1_17partition_subalgoE3EjNS0_10empty_typeEbEEZZNS1_14partition_implILS8_3ELb0ES6_jNS0_17counting_iteratorIjlEEPS9_SE_NS0_5tupleIJPjSE_EEENSF_IJSE_SE_EEES9_SG_JZNS1_25segmented_radix_sort_implINS0_14default_configELb1EPKfPfPKlPlN2at6native12_GLOBAL__N_18offset_tEEE10hipError_tPvRmT1_PNSt15iterator_traitsISY_E10value_typeET2_T3_PNSZ_IS14_E10value_typeET4_jRbjT5_S1A_jjP12ihipStream_tbEUljE_EEESV_SW_SX_S14_S18_S1A_T6_T7_T9_mT8_S1C_bDpT10_ENKUlT_T0_E_clISt17integral_constantIbLb0EES1P_EEDaS1K_S1L_EUlS1K_E_NS1_11comp_targetILNS1_3genE2ELNS1_11target_archE906ELNS1_3gpuE6ELNS1_3repE0EEENS1_30default_config_static_selectorELNS0_4arch9wavefront6targetE0EEEvSY_,@function
_ZN7rocprim17ROCPRIM_400000_NS6detail17trampoline_kernelINS0_13select_configILj256ELj13ELNS0_17block_load_methodE3ELS4_3ELS4_3ELNS0_20block_scan_algorithmE0ELj4294967295EEENS1_25partition_config_selectorILNS1_17partition_subalgoE3EjNS0_10empty_typeEbEEZZNS1_14partition_implILS8_3ELb0ES6_jNS0_17counting_iteratorIjlEEPS9_SE_NS0_5tupleIJPjSE_EEENSF_IJSE_SE_EEES9_SG_JZNS1_25segmented_radix_sort_implINS0_14default_configELb1EPKfPfPKlPlN2at6native12_GLOBAL__N_18offset_tEEE10hipError_tPvRmT1_PNSt15iterator_traitsISY_E10value_typeET2_T3_PNSZ_IS14_E10value_typeET4_jRbjT5_S1A_jjP12ihipStream_tbEUljE_EEESV_SW_SX_S14_S18_S1A_T6_T7_T9_mT8_S1C_bDpT10_ENKUlT_T0_E_clISt17integral_constantIbLb0EES1P_EEDaS1K_S1L_EUlS1K_E_NS1_11comp_targetILNS1_3genE2ELNS1_11target_archE906ELNS1_3gpuE6ELNS1_3repE0EEENS1_30default_config_static_selectorELNS0_4arch9wavefront6targetE0EEEvSY_: ; @_ZN7rocprim17ROCPRIM_400000_NS6detail17trampoline_kernelINS0_13select_configILj256ELj13ELNS0_17block_load_methodE3ELS4_3ELS4_3ELNS0_20block_scan_algorithmE0ELj4294967295EEENS1_25partition_config_selectorILNS1_17partition_subalgoE3EjNS0_10empty_typeEbEEZZNS1_14partition_implILS8_3ELb0ES6_jNS0_17counting_iteratorIjlEEPS9_SE_NS0_5tupleIJPjSE_EEENSF_IJSE_SE_EEES9_SG_JZNS1_25segmented_radix_sort_implINS0_14default_configELb1EPKfPfPKlPlN2at6native12_GLOBAL__N_18offset_tEEE10hipError_tPvRmT1_PNSt15iterator_traitsISY_E10value_typeET2_T3_PNSZ_IS14_E10value_typeET4_jRbjT5_S1A_jjP12ihipStream_tbEUljE_EEESV_SW_SX_S14_S18_S1A_T6_T7_T9_mT8_S1C_bDpT10_ENKUlT_T0_E_clISt17integral_constantIbLb0EES1P_EEDaS1K_S1L_EUlS1K_E_NS1_11comp_targetILNS1_3genE2ELNS1_11target_archE906ELNS1_3gpuE6ELNS1_3repE0EEENS1_30default_config_static_selectorELNS0_4arch9wavefront6targetE0EEEvSY_
; %bb.0:
	.section	.rodata,"a",@progbits
	.p2align	6, 0x0
	.amdhsa_kernel _ZN7rocprim17ROCPRIM_400000_NS6detail17trampoline_kernelINS0_13select_configILj256ELj13ELNS0_17block_load_methodE3ELS4_3ELS4_3ELNS0_20block_scan_algorithmE0ELj4294967295EEENS1_25partition_config_selectorILNS1_17partition_subalgoE3EjNS0_10empty_typeEbEEZZNS1_14partition_implILS8_3ELb0ES6_jNS0_17counting_iteratorIjlEEPS9_SE_NS0_5tupleIJPjSE_EEENSF_IJSE_SE_EEES9_SG_JZNS1_25segmented_radix_sort_implINS0_14default_configELb1EPKfPfPKlPlN2at6native12_GLOBAL__N_18offset_tEEE10hipError_tPvRmT1_PNSt15iterator_traitsISY_E10value_typeET2_T3_PNSZ_IS14_E10value_typeET4_jRbjT5_S1A_jjP12ihipStream_tbEUljE_EEESV_SW_SX_S14_S18_S1A_T6_T7_T9_mT8_S1C_bDpT10_ENKUlT_T0_E_clISt17integral_constantIbLb0EES1P_EEDaS1K_S1L_EUlS1K_E_NS1_11comp_targetILNS1_3genE2ELNS1_11target_archE906ELNS1_3gpuE6ELNS1_3repE0EEENS1_30default_config_static_selectorELNS0_4arch9wavefront6targetE0EEEvSY_
		.amdhsa_group_segment_fixed_size 0
		.amdhsa_private_segment_fixed_size 0
		.amdhsa_kernarg_size 144
		.amdhsa_user_sgpr_count 2
		.amdhsa_user_sgpr_dispatch_ptr 0
		.amdhsa_user_sgpr_queue_ptr 0
		.amdhsa_user_sgpr_kernarg_segment_ptr 1
		.amdhsa_user_sgpr_dispatch_id 0
		.amdhsa_user_sgpr_kernarg_preload_length 0
		.amdhsa_user_sgpr_kernarg_preload_offset 0
		.amdhsa_user_sgpr_private_segment_size 0
		.amdhsa_wavefront_size32 1
		.amdhsa_uses_dynamic_stack 0
		.amdhsa_enable_private_segment 0
		.amdhsa_system_sgpr_workgroup_id_x 1
		.amdhsa_system_sgpr_workgroup_id_y 0
		.amdhsa_system_sgpr_workgroup_id_z 0
		.amdhsa_system_sgpr_workgroup_info 0
		.amdhsa_system_vgpr_workitem_id 0
		.amdhsa_next_free_vgpr 1
		.amdhsa_next_free_sgpr 1
		.amdhsa_named_barrier_count 0
		.amdhsa_reserve_vcc 0
		.amdhsa_float_round_mode_32 0
		.amdhsa_float_round_mode_16_64 0
		.amdhsa_float_denorm_mode_32 3
		.amdhsa_float_denorm_mode_16_64 3
		.amdhsa_fp16_overflow 0
		.amdhsa_memory_ordered 1
		.amdhsa_forward_progress 1
		.amdhsa_inst_pref_size 0
		.amdhsa_round_robin_scheduling 0
		.amdhsa_exception_fp_ieee_invalid_op 0
		.amdhsa_exception_fp_denorm_src 0
		.amdhsa_exception_fp_ieee_div_zero 0
		.amdhsa_exception_fp_ieee_overflow 0
		.amdhsa_exception_fp_ieee_underflow 0
		.amdhsa_exception_fp_ieee_inexact 0
		.amdhsa_exception_int_div_zero 0
	.end_amdhsa_kernel
	.section	.text._ZN7rocprim17ROCPRIM_400000_NS6detail17trampoline_kernelINS0_13select_configILj256ELj13ELNS0_17block_load_methodE3ELS4_3ELS4_3ELNS0_20block_scan_algorithmE0ELj4294967295EEENS1_25partition_config_selectorILNS1_17partition_subalgoE3EjNS0_10empty_typeEbEEZZNS1_14partition_implILS8_3ELb0ES6_jNS0_17counting_iteratorIjlEEPS9_SE_NS0_5tupleIJPjSE_EEENSF_IJSE_SE_EEES9_SG_JZNS1_25segmented_radix_sort_implINS0_14default_configELb1EPKfPfPKlPlN2at6native12_GLOBAL__N_18offset_tEEE10hipError_tPvRmT1_PNSt15iterator_traitsISY_E10value_typeET2_T3_PNSZ_IS14_E10value_typeET4_jRbjT5_S1A_jjP12ihipStream_tbEUljE_EEESV_SW_SX_S14_S18_S1A_T6_T7_T9_mT8_S1C_bDpT10_ENKUlT_T0_E_clISt17integral_constantIbLb0EES1P_EEDaS1K_S1L_EUlS1K_E_NS1_11comp_targetILNS1_3genE2ELNS1_11target_archE906ELNS1_3gpuE6ELNS1_3repE0EEENS1_30default_config_static_selectorELNS0_4arch9wavefront6targetE0EEEvSY_,"axG",@progbits,_ZN7rocprim17ROCPRIM_400000_NS6detail17trampoline_kernelINS0_13select_configILj256ELj13ELNS0_17block_load_methodE3ELS4_3ELS4_3ELNS0_20block_scan_algorithmE0ELj4294967295EEENS1_25partition_config_selectorILNS1_17partition_subalgoE3EjNS0_10empty_typeEbEEZZNS1_14partition_implILS8_3ELb0ES6_jNS0_17counting_iteratorIjlEEPS9_SE_NS0_5tupleIJPjSE_EEENSF_IJSE_SE_EEES9_SG_JZNS1_25segmented_radix_sort_implINS0_14default_configELb1EPKfPfPKlPlN2at6native12_GLOBAL__N_18offset_tEEE10hipError_tPvRmT1_PNSt15iterator_traitsISY_E10value_typeET2_T3_PNSZ_IS14_E10value_typeET4_jRbjT5_S1A_jjP12ihipStream_tbEUljE_EEESV_SW_SX_S14_S18_S1A_T6_T7_T9_mT8_S1C_bDpT10_ENKUlT_T0_E_clISt17integral_constantIbLb0EES1P_EEDaS1K_S1L_EUlS1K_E_NS1_11comp_targetILNS1_3genE2ELNS1_11target_archE906ELNS1_3gpuE6ELNS1_3repE0EEENS1_30default_config_static_selectorELNS0_4arch9wavefront6targetE0EEEvSY_,comdat
.Lfunc_end1291:
	.size	_ZN7rocprim17ROCPRIM_400000_NS6detail17trampoline_kernelINS0_13select_configILj256ELj13ELNS0_17block_load_methodE3ELS4_3ELS4_3ELNS0_20block_scan_algorithmE0ELj4294967295EEENS1_25partition_config_selectorILNS1_17partition_subalgoE3EjNS0_10empty_typeEbEEZZNS1_14partition_implILS8_3ELb0ES6_jNS0_17counting_iteratorIjlEEPS9_SE_NS0_5tupleIJPjSE_EEENSF_IJSE_SE_EEES9_SG_JZNS1_25segmented_radix_sort_implINS0_14default_configELb1EPKfPfPKlPlN2at6native12_GLOBAL__N_18offset_tEEE10hipError_tPvRmT1_PNSt15iterator_traitsISY_E10value_typeET2_T3_PNSZ_IS14_E10value_typeET4_jRbjT5_S1A_jjP12ihipStream_tbEUljE_EEESV_SW_SX_S14_S18_S1A_T6_T7_T9_mT8_S1C_bDpT10_ENKUlT_T0_E_clISt17integral_constantIbLb0EES1P_EEDaS1K_S1L_EUlS1K_E_NS1_11comp_targetILNS1_3genE2ELNS1_11target_archE906ELNS1_3gpuE6ELNS1_3repE0EEENS1_30default_config_static_selectorELNS0_4arch9wavefront6targetE0EEEvSY_, .Lfunc_end1291-_ZN7rocprim17ROCPRIM_400000_NS6detail17trampoline_kernelINS0_13select_configILj256ELj13ELNS0_17block_load_methodE3ELS4_3ELS4_3ELNS0_20block_scan_algorithmE0ELj4294967295EEENS1_25partition_config_selectorILNS1_17partition_subalgoE3EjNS0_10empty_typeEbEEZZNS1_14partition_implILS8_3ELb0ES6_jNS0_17counting_iteratorIjlEEPS9_SE_NS0_5tupleIJPjSE_EEENSF_IJSE_SE_EEES9_SG_JZNS1_25segmented_radix_sort_implINS0_14default_configELb1EPKfPfPKlPlN2at6native12_GLOBAL__N_18offset_tEEE10hipError_tPvRmT1_PNSt15iterator_traitsISY_E10value_typeET2_T3_PNSZ_IS14_E10value_typeET4_jRbjT5_S1A_jjP12ihipStream_tbEUljE_EEESV_SW_SX_S14_S18_S1A_T6_T7_T9_mT8_S1C_bDpT10_ENKUlT_T0_E_clISt17integral_constantIbLb0EES1P_EEDaS1K_S1L_EUlS1K_E_NS1_11comp_targetILNS1_3genE2ELNS1_11target_archE906ELNS1_3gpuE6ELNS1_3repE0EEENS1_30default_config_static_selectorELNS0_4arch9wavefront6targetE0EEEvSY_
                                        ; -- End function
	.set _ZN7rocprim17ROCPRIM_400000_NS6detail17trampoline_kernelINS0_13select_configILj256ELj13ELNS0_17block_load_methodE3ELS4_3ELS4_3ELNS0_20block_scan_algorithmE0ELj4294967295EEENS1_25partition_config_selectorILNS1_17partition_subalgoE3EjNS0_10empty_typeEbEEZZNS1_14partition_implILS8_3ELb0ES6_jNS0_17counting_iteratorIjlEEPS9_SE_NS0_5tupleIJPjSE_EEENSF_IJSE_SE_EEES9_SG_JZNS1_25segmented_radix_sort_implINS0_14default_configELb1EPKfPfPKlPlN2at6native12_GLOBAL__N_18offset_tEEE10hipError_tPvRmT1_PNSt15iterator_traitsISY_E10value_typeET2_T3_PNSZ_IS14_E10value_typeET4_jRbjT5_S1A_jjP12ihipStream_tbEUljE_EEESV_SW_SX_S14_S18_S1A_T6_T7_T9_mT8_S1C_bDpT10_ENKUlT_T0_E_clISt17integral_constantIbLb0EES1P_EEDaS1K_S1L_EUlS1K_E_NS1_11comp_targetILNS1_3genE2ELNS1_11target_archE906ELNS1_3gpuE6ELNS1_3repE0EEENS1_30default_config_static_selectorELNS0_4arch9wavefront6targetE0EEEvSY_.num_vgpr, 0
	.set _ZN7rocprim17ROCPRIM_400000_NS6detail17trampoline_kernelINS0_13select_configILj256ELj13ELNS0_17block_load_methodE3ELS4_3ELS4_3ELNS0_20block_scan_algorithmE0ELj4294967295EEENS1_25partition_config_selectorILNS1_17partition_subalgoE3EjNS0_10empty_typeEbEEZZNS1_14partition_implILS8_3ELb0ES6_jNS0_17counting_iteratorIjlEEPS9_SE_NS0_5tupleIJPjSE_EEENSF_IJSE_SE_EEES9_SG_JZNS1_25segmented_radix_sort_implINS0_14default_configELb1EPKfPfPKlPlN2at6native12_GLOBAL__N_18offset_tEEE10hipError_tPvRmT1_PNSt15iterator_traitsISY_E10value_typeET2_T3_PNSZ_IS14_E10value_typeET4_jRbjT5_S1A_jjP12ihipStream_tbEUljE_EEESV_SW_SX_S14_S18_S1A_T6_T7_T9_mT8_S1C_bDpT10_ENKUlT_T0_E_clISt17integral_constantIbLb0EES1P_EEDaS1K_S1L_EUlS1K_E_NS1_11comp_targetILNS1_3genE2ELNS1_11target_archE906ELNS1_3gpuE6ELNS1_3repE0EEENS1_30default_config_static_selectorELNS0_4arch9wavefront6targetE0EEEvSY_.num_agpr, 0
	.set _ZN7rocprim17ROCPRIM_400000_NS6detail17trampoline_kernelINS0_13select_configILj256ELj13ELNS0_17block_load_methodE3ELS4_3ELS4_3ELNS0_20block_scan_algorithmE0ELj4294967295EEENS1_25partition_config_selectorILNS1_17partition_subalgoE3EjNS0_10empty_typeEbEEZZNS1_14partition_implILS8_3ELb0ES6_jNS0_17counting_iteratorIjlEEPS9_SE_NS0_5tupleIJPjSE_EEENSF_IJSE_SE_EEES9_SG_JZNS1_25segmented_radix_sort_implINS0_14default_configELb1EPKfPfPKlPlN2at6native12_GLOBAL__N_18offset_tEEE10hipError_tPvRmT1_PNSt15iterator_traitsISY_E10value_typeET2_T3_PNSZ_IS14_E10value_typeET4_jRbjT5_S1A_jjP12ihipStream_tbEUljE_EEESV_SW_SX_S14_S18_S1A_T6_T7_T9_mT8_S1C_bDpT10_ENKUlT_T0_E_clISt17integral_constantIbLb0EES1P_EEDaS1K_S1L_EUlS1K_E_NS1_11comp_targetILNS1_3genE2ELNS1_11target_archE906ELNS1_3gpuE6ELNS1_3repE0EEENS1_30default_config_static_selectorELNS0_4arch9wavefront6targetE0EEEvSY_.numbered_sgpr, 0
	.set _ZN7rocprim17ROCPRIM_400000_NS6detail17trampoline_kernelINS0_13select_configILj256ELj13ELNS0_17block_load_methodE3ELS4_3ELS4_3ELNS0_20block_scan_algorithmE0ELj4294967295EEENS1_25partition_config_selectorILNS1_17partition_subalgoE3EjNS0_10empty_typeEbEEZZNS1_14partition_implILS8_3ELb0ES6_jNS0_17counting_iteratorIjlEEPS9_SE_NS0_5tupleIJPjSE_EEENSF_IJSE_SE_EEES9_SG_JZNS1_25segmented_radix_sort_implINS0_14default_configELb1EPKfPfPKlPlN2at6native12_GLOBAL__N_18offset_tEEE10hipError_tPvRmT1_PNSt15iterator_traitsISY_E10value_typeET2_T3_PNSZ_IS14_E10value_typeET4_jRbjT5_S1A_jjP12ihipStream_tbEUljE_EEESV_SW_SX_S14_S18_S1A_T6_T7_T9_mT8_S1C_bDpT10_ENKUlT_T0_E_clISt17integral_constantIbLb0EES1P_EEDaS1K_S1L_EUlS1K_E_NS1_11comp_targetILNS1_3genE2ELNS1_11target_archE906ELNS1_3gpuE6ELNS1_3repE0EEENS1_30default_config_static_selectorELNS0_4arch9wavefront6targetE0EEEvSY_.num_named_barrier, 0
	.set _ZN7rocprim17ROCPRIM_400000_NS6detail17trampoline_kernelINS0_13select_configILj256ELj13ELNS0_17block_load_methodE3ELS4_3ELS4_3ELNS0_20block_scan_algorithmE0ELj4294967295EEENS1_25partition_config_selectorILNS1_17partition_subalgoE3EjNS0_10empty_typeEbEEZZNS1_14partition_implILS8_3ELb0ES6_jNS0_17counting_iteratorIjlEEPS9_SE_NS0_5tupleIJPjSE_EEENSF_IJSE_SE_EEES9_SG_JZNS1_25segmented_radix_sort_implINS0_14default_configELb1EPKfPfPKlPlN2at6native12_GLOBAL__N_18offset_tEEE10hipError_tPvRmT1_PNSt15iterator_traitsISY_E10value_typeET2_T3_PNSZ_IS14_E10value_typeET4_jRbjT5_S1A_jjP12ihipStream_tbEUljE_EEESV_SW_SX_S14_S18_S1A_T6_T7_T9_mT8_S1C_bDpT10_ENKUlT_T0_E_clISt17integral_constantIbLb0EES1P_EEDaS1K_S1L_EUlS1K_E_NS1_11comp_targetILNS1_3genE2ELNS1_11target_archE906ELNS1_3gpuE6ELNS1_3repE0EEENS1_30default_config_static_selectorELNS0_4arch9wavefront6targetE0EEEvSY_.private_seg_size, 0
	.set _ZN7rocprim17ROCPRIM_400000_NS6detail17trampoline_kernelINS0_13select_configILj256ELj13ELNS0_17block_load_methodE3ELS4_3ELS4_3ELNS0_20block_scan_algorithmE0ELj4294967295EEENS1_25partition_config_selectorILNS1_17partition_subalgoE3EjNS0_10empty_typeEbEEZZNS1_14partition_implILS8_3ELb0ES6_jNS0_17counting_iteratorIjlEEPS9_SE_NS0_5tupleIJPjSE_EEENSF_IJSE_SE_EEES9_SG_JZNS1_25segmented_radix_sort_implINS0_14default_configELb1EPKfPfPKlPlN2at6native12_GLOBAL__N_18offset_tEEE10hipError_tPvRmT1_PNSt15iterator_traitsISY_E10value_typeET2_T3_PNSZ_IS14_E10value_typeET4_jRbjT5_S1A_jjP12ihipStream_tbEUljE_EEESV_SW_SX_S14_S18_S1A_T6_T7_T9_mT8_S1C_bDpT10_ENKUlT_T0_E_clISt17integral_constantIbLb0EES1P_EEDaS1K_S1L_EUlS1K_E_NS1_11comp_targetILNS1_3genE2ELNS1_11target_archE906ELNS1_3gpuE6ELNS1_3repE0EEENS1_30default_config_static_selectorELNS0_4arch9wavefront6targetE0EEEvSY_.uses_vcc, 0
	.set _ZN7rocprim17ROCPRIM_400000_NS6detail17trampoline_kernelINS0_13select_configILj256ELj13ELNS0_17block_load_methodE3ELS4_3ELS4_3ELNS0_20block_scan_algorithmE0ELj4294967295EEENS1_25partition_config_selectorILNS1_17partition_subalgoE3EjNS0_10empty_typeEbEEZZNS1_14partition_implILS8_3ELb0ES6_jNS0_17counting_iteratorIjlEEPS9_SE_NS0_5tupleIJPjSE_EEENSF_IJSE_SE_EEES9_SG_JZNS1_25segmented_radix_sort_implINS0_14default_configELb1EPKfPfPKlPlN2at6native12_GLOBAL__N_18offset_tEEE10hipError_tPvRmT1_PNSt15iterator_traitsISY_E10value_typeET2_T3_PNSZ_IS14_E10value_typeET4_jRbjT5_S1A_jjP12ihipStream_tbEUljE_EEESV_SW_SX_S14_S18_S1A_T6_T7_T9_mT8_S1C_bDpT10_ENKUlT_T0_E_clISt17integral_constantIbLb0EES1P_EEDaS1K_S1L_EUlS1K_E_NS1_11comp_targetILNS1_3genE2ELNS1_11target_archE906ELNS1_3gpuE6ELNS1_3repE0EEENS1_30default_config_static_selectorELNS0_4arch9wavefront6targetE0EEEvSY_.uses_flat_scratch, 0
	.set _ZN7rocprim17ROCPRIM_400000_NS6detail17trampoline_kernelINS0_13select_configILj256ELj13ELNS0_17block_load_methodE3ELS4_3ELS4_3ELNS0_20block_scan_algorithmE0ELj4294967295EEENS1_25partition_config_selectorILNS1_17partition_subalgoE3EjNS0_10empty_typeEbEEZZNS1_14partition_implILS8_3ELb0ES6_jNS0_17counting_iteratorIjlEEPS9_SE_NS0_5tupleIJPjSE_EEENSF_IJSE_SE_EEES9_SG_JZNS1_25segmented_radix_sort_implINS0_14default_configELb1EPKfPfPKlPlN2at6native12_GLOBAL__N_18offset_tEEE10hipError_tPvRmT1_PNSt15iterator_traitsISY_E10value_typeET2_T3_PNSZ_IS14_E10value_typeET4_jRbjT5_S1A_jjP12ihipStream_tbEUljE_EEESV_SW_SX_S14_S18_S1A_T6_T7_T9_mT8_S1C_bDpT10_ENKUlT_T0_E_clISt17integral_constantIbLb0EES1P_EEDaS1K_S1L_EUlS1K_E_NS1_11comp_targetILNS1_3genE2ELNS1_11target_archE906ELNS1_3gpuE6ELNS1_3repE0EEENS1_30default_config_static_selectorELNS0_4arch9wavefront6targetE0EEEvSY_.has_dyn_sized_stack, 0
	.set _ZN7rocprim17ROCPRIM_400000_NS6detail17trampoline_kernelINS0_13select_configILj256ELj13ELNS0_17block_load_methodE3ELS4_3ELS4_3ELNS0_20block_scan_algorithmE0ELj4294967295EEENS1_25partition_config_selectorILNS1_17partition_subalgoE3EjNS0_10empty_typeEbEEZZNS1_14partition_implILS8_3ELb0ES6_jNS0_17counting_iteratorIjlEEPS9_SE_NS0_5tupleIJPjSE_EEENSF_IJSE_SE_EEES9_SG_JZNS1_25segmented_radix_sort_implINS0_14default_configELb1EPKfPfPKlPlN2at6native12_GLOBAL__N_18offset_tEEE10hipError_tPvRmT1_PNSt15iterator_traitsISY_E10value_typeET2_T3_PNSZ_IS14_E10value_typeET4_jRbjT5_S1A_jjP12ihipStream_tbEUljE_EEESV_SW_SX_S14_S18_S1A_T6_T7_T9_mT8_S1C_bDpT10_ENKUlT_T0_E_clISt17integral_constantIbLb0EES1P_EEDaS1K_S1L_EUlS1K_E_NS1_11comp_targetILNS1_3genE2ELNS1_11target_archE906ELNS1_3gpuE6ELNS1_3repE0EEENS1_30default_config_static_selectorELNS0_4arch9wavefront6targetE0EEEvSY_.has_recursion, 0
	.set _ZN7rocprim17ROCPRIM_400000_NS6detail17trampoline_kernelINS0_13select_configILj256ELj13ELNS0_17block_load_methodE3ELS4_3ELS4_3ELNS0_20block_scan_algorithmE0ELj4294967295EEENS1_25partition_config_selectorILNS1_17partition_subalgoE3EjNS0_10empty_typeEbEEZZNS1_14partition_implILS8_3ELb0ES6_jNS0_17counting_iteratorIjlEEPS9_SE_NS0_5tupleIJPjSE_EEENSF_IJSE_SE_EEES9_SG_JZNS1_25segmented_radix_sort_implINS0_14default_configELb1EPKfPfPKlPlN2at6native12_GLOBAL__N_18offset_tEEE10hipError_tPvRmT1_PNSt15iterator_traitsISY_E10value_typeET2_T3_PNSZ_IS14_E10value_typeET4_jRbjT5_S1A_jjP12ihipStream_tbEUljE_EEESV_SW_SX_S14_S18_S1A_T6_T7_T9_mT8_S1C_bDpT10_ENKUlT_T0_E_clISt17integral_constantIbLb0EES1P_EEDaS1K_S1L_EUlS1K_E_NS1_11comp_targetILNS1_3genE2ELNS1_11target_archE906ELNS1_3gpuE6ELNS1_3repE0EEENS1_30default_config_static_selectorELNS0_4arch9wavefront6targetE0EEEvSY_.has_indirect_call, 0
	.section	.AMDGPU.csdata,"",@progbits
; Kernel info:
; codeLenInByte = 0
; TotalNumSgprs: 0
; NumVgprs: 0
; ScratchSize: 0
; MemoryBound: 0
; FloatMode: 240
; IeeeMode: 1
; LDSByteSize: 0 bytes/workgroup (compile time only)
; SGPRBlocks: 0
; VGPRBlocks: 0
; NumSGPRsForWavesPerEU: 1
; NumVGPRsForWavesPerEU: 1
; NamedBarCnt: 0
; Occupancy: 16
; WaveLimiterHint : 0
; COMPUTE_PGM_RSRC2:SCRATCH_EN: 0
; COMPUTE_PGM_RSRC2:USER_SGPR: 2
; COMPUTE_PGM_RSRC2:TRAP_HANDLER: 0
; COMPUTE_PGM_RSRC2:TGID_X_EN: 1
; COMPUTE_PGM_RSRC2:TGID_Y_EN: 0
; COMPUTE_PGM_RSRC2:TGID_Z_EN: 0
; COMPUTE_PGM_RSRC2:TIDIG_COMP_CNT: 0
	.section	.text._ZN7rocprim17ROCPRIM_400000_NS6detail17trampoline_kernelINS0_13select_configILj256ELj13ELNS0_17block_load_methodE3ELS4_3ELS4_3ELNS0_20block_scan_algorithmE0ELj4294967295EEENS1_25partition_config_selectorILNS1_17partition_subalgoE3EjNS0_10empty_typeEbEEZZNS1_14partition_implILS8_3ELb0ES6_jNS0_17counting_iteratorIjlEEPS9_SE_NS0_5tupleIJPjSE_EEENSF_IJSE_SE_EEES9_SG_JZNS1_25segmented_radix_sort_implINS0_14default_configELb1EPKfPfPKlPlN2at6native12_GLOBAL__N_18offset_tEEE10hipError_tPvRmT1_PNSt15iterator_traitsISY_E10value_typeET2_T3_PNSZ_IS14_E10value_typeET4_jRbjT5_S1A_jjP12ihipStream_tbEUljE_EEESV_SW_SX_S14_S18_S1A_T6_T7_T9_mT8_S1C_bDpT10_ENKUlT_T0_E_clISt17integral_constantIbLb0EES1P_EEDaS1K_S1L_EUlS1K_E_NS1_11comp_targetILNS1_3genE10ELNS1_11target_archE1200ELNS1_3gpuE4ELNS1_3repE0EEENS1_30default_config_static_selectorELNS0_4arch9wavefront6targetE0EEEvSY_,"axG",@progbits,_ZN7rocprim17ROCPRIM_400000_NS6detail17trampoline_kernelINS0_13select_configILj256ELj13ELNS0_17block_load_methodE3ELS4_3ELS4_3ELNS0_20block_scan_algorithmE0ELj4294967295EEENS1_25partition_config_selectorILNS1_17partition_subalgoE3EjNS0_10empty_typeEbEEZZNS1_14partition_implILS8_3ELb0ES6_jNS0_17counting_iteratorIjlEEPS9_SE_NS0_5tupleIJPjSE_EEENSF_IJSE_SE_EEES9_SG_JZNS1_25segmented_radix_sort_implINS0_14default_configELb1EPKfPfPKlPlN2at6native12_GLOBAL__N_18offset_tEEE10hipError_tPvRmT1_PNSt15iterator_traitsISY_E10value_typeET2_T3_PNSZ_IS14_E10value_typeET4_jRbjT5_S1A_jjP12ihipStream_tbEUljE_EEESV_SW_SX_S14_S18_S1A_T6_T7_T9_mT8_S1C_bDpT10_ENKUlT_T0_E_clISt17integral_constantIbLb0EES1P_EEDaS1K_S1L_EUlS1K_E_NS1_11comp_targetILNS1_3genE10ELNS1_11target_archE1200ELNS1_3gpuE4ELNS1_3repE0EEENS1_30default_config_static_selectorELNS0_4arch9wavefront6targetE0EEEvSY_,comdat
	.globl	_ZN7rocprim17ROCPRIM_400000_NS6detail17trampoline_kernelINS0_13select_configILj256ELj13ELNS0_17block_load_methodE3ELS4_3ELS4_3ELNS0_20block_scan_algorithmE0ELj4294967295EEENS1_25partition_config_selectorILNS1_17partition_subalgoE3EjNS0_10empty_typeEbEEZZNS1_14partition_implILS8_3ELb0ES6_jNS0_17counting_iteratorIjlEEPS9_SE_NS0_5tupleIJPjSE_EEENSF_IJSE_SE_EEES9_SG_JZNS1_25segmented_radix_sort_implINS0_14default_configELb1EPKfPfPKlPlN2at6native12_GLOBAL__N_18offset_tEEE10hipError_tPvRmT1_PNSt15iterator_traitsISY_E10value_typeET2_T3_PNSZ_IS14_E10value_typeET4_jRbjT5_S1A_jjP12ihipStream_tbEUljE_EEESV_SW_SX_S14_S18_S1A_T6_T7_T9_mT8_S1C_bDpT10_ENKUlT_T0_E_clISt17integral_constantIbLb0EES1P_EEDaS1K_S1L_EUlS1K_E_NS1_11comp_targetILNS1_3genE10ELNS1_11target_archE1200ELNS1_3gpuE4ELNS1_3repE0EEENS1_30default_config_static_selectorELNS0_4arch9wavefront6targetE0EEEvSY_ ; -- Begin function _ZN7rocprim17ROCPRIM_400000_NS6detail17trampoline_kernelINS0_13select_configILj256ELj13ELNS0_17block_load_methodE3ELS4_3ELS4_3ELNS0_20block_scan_algorithmE0ELj4294967295EEENS1_25partition_config_selectorILNS1_17partition_subalgoE3EjNS0_10empty_typeEbEEZZNS1_14partition_implILS8_3ELb0ES6_jNS0_17counting_iteratorIjlEEPS9_SE_NS0_5tupleIJPjSE_EEENSF_IJSE_SE_EEES9_SG_JZNS1_25segmented_radix_sort_implINS0_14default_configELb1EPKfPfPKlPlN2at6native12_GLOBAL__N_18offset_tEEE10hipError_tPvRmT1_PNSt15iterator_traitsISY_E10value_typeET2_T3_PNSZ_IS14_E10value_typeET4_jRbjT5_S1A_jjP12ihipStream_tbEUljE_EEESV_SW_SX_S14_S18_S1A_T6_T7_T9_mT8_S1C_bDpT10_ENKUlT_T0_E_clISt17integral_constantIbLb0EES1P_EEDaS1K_S1L_EUlS1K_E_NS1_11comp_targetILNS1_3genE10ELNS1_11target_archE1200ELNS1_3gpuE4ELNS1_3repE0EEENS1_30default_config_static_selectorELNS0_4arch9wavefront6targetE0EEEvSY_
	.p2align	8
	.type	_ZN7rocprim17ROCPRIM_400000_NS6detail17trampoline_kernelINS0_13select_configILj256ELj13ELNS0_17block_load_methodE3ELS4_3ELS4_3ELNS0_20block_scan_algorithmE0ELj4294967295EEENS1_25partition_config_selectorILNS1_17partition_subalgoE3EjNS0_10empty_typeEbEEZZNS1_14partition_implILS8_3ELb0ES6_jNS0_17counting_iteratorIjlEEPS9_SE_NS0_5tupleIJPjSE_EEENSF_IJSE_SE_EEES9_SG_JZNS1_25segmented_radix_sort_implINS0_14default_configELb1EPKfPfPKlPlN2at6native12_GLOBAL__N_18offset_tEEE10hipError_tPvRmT1_PNSt15iterator_traitsISY_E10value_typeET2_T3_PNSZ_IS14_E10value_typeET4_jRbjT5_S1A_jjP12ihipStream_tbEUljE_EEESV_SW_SX_S14_S18_S1A_T6_T7_T9_mT8_S1C_bDpT10_ENKUlT_T0_E_clISt17integral_constantIbLb0EES1P_EEDaS1K_S1L_EUlS1K_E_NS1_11comp_targetILNS1_3genE10ELNS1_11target_archE1200ELNS1_3gpuE4ELNS1_3repE0EEENS1_30default_config_static_selectorELNS0_4arch9wavefront6targetE0EEEvSY_,@function
_ZN7rocprim17ROCPRIM_400000_NS6detail17trampoline_kernelINS0_13select_configILj256ELj13ELNS0_17block_load_methodE3ELS4_3ELS4_3ELNS0_20block_scan_algorithmE0ELj4294967295EEENS1_25partition_config_selectorILNS1_17partition_subalgoE3EjNS0_10empty_typeEbEEZZNS1_14partition_implILS8_3ELb0ES6_jNS0_17counting_iteratorIjlEEPS9_SE_NS0_5tupleIJPjSE_EEENSF_IJSE_SE_EEES9_SG_JZNS1_25segmented_radix_sort_implINS0_14default_configELb1EPKfPfPKlPlN2at6native12_GLOBAL__N_18offset_tEEE10hipError_tPvRmT1_PNSt15iterator_traitsISY_E10value_typeET2_T3_PNSZ_IS14_E10value_typeET4_jRbjT5_S1A_jjP12ihipStream_tbEUljE_EEESV_SW_SX_S14_S18_S1A_T6_T7_T9_mT8_S1C_bDpT10_ENKUlT_T0_E_clISt17integral_constantIbLb0EES1P_EEDaS1K_S1L_EUlS1K_E_NS1_11comp_targetILNS1_3genE10ELNS1_11target_archE1200ELNS1_3gpuE4ELNS1_3repE0EEENS1_30default_config_static_selectorELNS0_4arch9wavefront6targetE0EEEvSY_: ; @_ZN7rocprim17ROCPRIM_400000_NS6detail17trampoline_kernelINS0_13select_configILj256ELj13ELNS0_17block_load_methodE3ELS4_3ELS4_3ELNS0_20block_scan_algorithmE0ELj4294967295EEENS1_25partition_config_selectorILNS1_17partition_subalgoE3EjNS0_10empty_typeEbEEZZNS1_14partition_implILS8_3ELb0ES6_jNS0_17counting_iteratorIjlEEPS9_SE_NS0_5tupleIJPjSE_EEENSF_IJSE_SE_EEES9_SG_JZNS1_25segmented_radix_sort_implINS0_14default_configELb1EPKfPfPKlPlN2at6native12_GLOBAL__N_18offset_tEEE10hipError_tPvRmT1_PNSt15iterator_traitsISY_E10value_typeET2_T3_PNSZ_IS14_E10value_typeET4_jRbjT5_S1A_jjP12ihipStream_tbEUljE_EEESV_SW_SX_S14_S18_S1A_T6_T7_T9_mT8_S1C_bDpT10_ENKUlT_T0_E_clISt17integral_constantIbLb0EES1P_EEDaS1K_S1L_EUlS1K_E_NS1_11comp_targetILNS1_3genE10ELNS1_11target_archE1200ELNS1_3gpuE4ELNS1_3repE0EEENS1_30default_config_static_selectorELNS0_4arch9wavefront6targetE0EEEvSY_
; %bb.0:
	.section	.rodata,"a",@progbits
	.p2align	6, 0x0
	.amdhsa_kernel _ZN7rocprim17ROCPRIM_400000_NS6detail17trampoline_kernelINS0_13select_configILj256ELj13ELNS0_17block_load_methodE3ELS4_3ELS4_3ELNS0_20block_scan_algorithmE0ELj4294967295EEENS1_25partition_config_selectorILNS1_17partition_subalgoE3EjNS0_10empty_typeEbEEZZNS1_14partition_implILS8_3ELb0ES6_jNS0_17counting_iteratorIjlEEPS9_SE_NS0_5tupleIJPjSE_EEENSF_IJSE_SE_EEES9_SG_JZNS1_25segmented_radix_sort_implINS0_14default_configELb1EPKfPfPKlPlN2at6native12_GLOBAL__N_18offset_tEEE10hipError_tPvRmT1_PNSt15iterator_traitsISY_E10value_typeET2_T3_PNSZ_IS14_E10value_typeET4_jRbjT5_S1A_jjP12ihipStream_tbEUljE_EEESV_SW_SX_S14_S18_S1A_T6_T7_T9_mT8_S1C_bDpT10_ENKUlT_T0_E_clISt17integral_constantIbLb0EES1P_EEDaS1K_S1L_EUlS1K_E_NS1_11comp_targetILNS1_3genE10ELNS1_11target_archE1200ELNS1_3gpuE4ELNS1_3repE0EEENS1_30default_config_static_selectorELNS0_4arch9wavefront6targetE0EEEvSY_
		.amdhsa_group_segment_fixed_size 0
		.amdhsa_private_segment_fixed_size 0
		.amdhsa_kernarg_size 144
		.amdhsa_user_sgpr_count 2
		.amdhsa_user_sgpr_dispatch_ptr 0
		.amdhsa_user_sgpr_queue_ptr 0
		.amdhsa_user_sgpr_kernarg_segment_ptr 1
		.amdhsa_user_sgpr_dispatch_id 0
		.amdhsa_user_sgpr_kernarg_preload_length 0
		.amdhsa_user_sgpr_kernarg_preload_offset 0
		.amdhsa_user_sgpr_private_segment_size 0
		.amdhsa_wavefront_size32 1
		.amdhsa_uses_dynamic_stack 0
		.amdhsa_enable_private_segment 0
		.amdhsa_system_sgpr_workgroup_id_x 1
		.amdhsa_system_sgpr_workgroup_id_y 0
		.amdhsa_system_sgpr_workgroup_id_z 0
		.amdhsa_system_sgpr_workgroup_info 0
		.amdhsa_system_vgpr_workitem_id 0
		.amdhsa_next_free_vgpr 1
		.amdhsa_next_free_sgpr 1
		.amdhsa_named_barrier_count 0
		.amdhsa_reserve_vcc 0
		.amdhsa_float_round_mode_32 0
		.amdhsa_float_round_mode_16_64 0
		.amdhsa_float_denorm_mode_32 3
		.amdhsa_float_denorm_mode_16_64 3
		.amdhsa_fp16_overflow 0
		.amdhsa_memory_ordered 1
		.amdhsa_forward_progress 1
		.amdhsa_inst_pref_size 0
		.amdhsa_round_robin_scheduling 0
		.amdhsa_exception_fp_ieee_invalid_op 0
		.amdhsa_exception_fp_denorm_src 0
		.amdhsa_exception_fp_ieee_div_zero 0
		.amdhsa_exception_fp_ieee_overflow 0
		.amdhsa_exception_fp_ieee_underflow 0
		.amdhsa_exception_fp_ieee_inexact 0
		.amdhsa_exception_int_div_zero 0
	.end_amdhsa_kernel
	.section	.text._ZN7rocprim17ROCPRIM_400000_NS6detail17trampoline_kernelINS0_13select_configILj256ELj13ELNS0_17block_load_methodE3ELS4_3ELS4_3ELNS0_20block_scan_algorithmE0ELj4294967295EEENS1_25partition_config_selectorILNS1_17partition_subalgoE3EjNS0_10empty_typeEbEEZZNS1_14partition_implILS8_3ELb0ES6_jNS0_17counting_iteratorIjlEEPS9_SE_NS0_5tupleIJPjSE_EEENSF_IJSE_SE_EEES9_SG_JZNS1_25segmented_radix_sort_implINS0_14default_configELb1EPKfPfPKlPlN2at6native12_GLOBAL__N_18offset_tEEE10hipError_tPvRmT1_PNSt15iterator_traitsISY_E10value_typeET2_T3_PNSZ_IS14_E10value_typeET4_jRbjT5_S1A_jjP12ihipStream_tbEUljE_EEESV_SW_SX_S14_S18_S1A_T6_T7_T9_mT8_S1C_bDpT10_ENKUlT_T0_E_clISt17integral_constantIbLb0EES1P_EEDaS1K_S1L_EUlS1K_E_NS1_11comp_targetILNS1_3genE10ELNS1_11target_archE1200ELNS1_3gpuE4ELNS1_3repE0EEENS1_30default_config_static_selectorELNS0_4arch9wavefront6targetE0EEEvSY_,"axG",@progbits,_ZN7rocprim17ROCPRIM_400000_NS6detail17trampoline_kernelINS0_13select_configILj256ELj13ELNS0_17block_load_methodE3ELS4_3ELS4_3ELNS0_20block_scan_algorithmE0ELj4294967295EEENS1_25partition_config_selectorILNS1_17partition_subalgoE3EjNS0_10empty_typeEbEEZZNS1_14partition_implILS8_3ELb0ES6_jNS0_17counting_iteratorIjlEEPS9_SE_NS0_5tupleIJPjSE_EEENSF_IJSE_SE_EEES9_SG_JZNS1_25segmented_radix_sort_implINS0_14default_configELb1EPKfPfPKlPlN2at6native12_GLOBAL__N_18offset_tEEE10hipError_tPvRmT1_PNSt15iterator_traitsISY_E10value_typeET2_T3_PNSZ_IS14_E10value_typeET4_jRbjT5_S1A_jjP12ihipStream_tbEUljE_EEESV_SW_SX_S14_S18_S1A_T6_T7_T9_mT8_S1C_bDpT10_ENKUlT_T0_E_clISt17integral_constantIbLb0EES1P_EEDaS1K_S1L_EUlS1K_E_NS1_11comp_targetILNS1_3genE10ELNS1_11target_archE1200ELNS1_3gpuE4ELNS1_3repE0EEENS1_30default_config_static_selectorELNS0_4arch9wavefront6targetE0EEEvSY_,comdat
.Lfunc_end1292:
	.size	_ZN7rocprim17ROCPRIM_400000_NS6detail17trampoline_kernelINS0_13select_configILj256ELj13ELNS0_17block_load_methodE3ELS4_3ELS4_3ELNS0_20block_scan_algorithmE0ELj4294967295EEENS1_25partition_config_selectorILNS1_17partition_subalgoE3EjNS0_10empty_typeEbEEZZNS1_14partition_implILS8_3ELb0ES6_jNS0_17counting_iteratorIjlEEPS9_SE_NS0_5tupleIJPjSE_EEENSF_IJSE_SE_EEES9_SG_JZNS1_25segmented_radix_sort_implINS0_14default_configELb1EPKfPfPKlPlN2at6native12_GLOBAL__N_18offset_tEEE10hipError_tPvRmT1_PNSt15iterator_traitsISY_E10value_typeET2_T3_PNSZ_IS14_E10value_typeET4_jRbjT5_S1A_jjP12ihipStream_tbEUljE_EEESV_SW_SX_S14_S18_S1A_T6_T7_T9_mT8_S1C_bDpT10_ENKUlT_T0_E_clISt17integral_constantIbLb0EES1P_EEDaS1K_S1L_EUlS1K_E_NS1_11comp_targetILNS1_3genE10ELNS1_11target_archE1200ELNS1_3gpuE4ELNS1_3repE0EEENS1_30default_config_static_selectorELNS0_4arch9wavefront6targetE0EEEvSY_, .Lfunc_end1292-_ZN7rocprim17ROCPRIM_400000_NS6detail17trampoline_kernelINS0_13select_configILj256ELj13ELNS0_17block_load_methodE3ELS4_3ELS4_3ELNS0_20block_scan_algorithmE0ELj4294967295EEENS1_25partition_config_selectorILNS1_17partition_subalgoE3EjNS0_10empty_typeEbEEZZNS1_14partition_implILS8_3ELb0ES6_jNS0_17counting_iteratorIjlEEPS9_SE_NS0_5tupleIJPjSE_EEENSF_IJSE_SE_EEES9_SG_JZNS1_25segmented_radix_sort_implINS0_14default_configELb1EPKfPfPKlPlN2at6native12_GLOBAL__N_18offset_tEEE10hipError_tPvRmT1_PNSt15iterator_traitsISY_E10value_typeET2_T3_PNSZ_IS14_E10value_typeET4_jRbjT5_S1A_jjP12ihipStream_tbEUljE_EEESV_SW_SX_S14_S18_S1A_T6_T7_T9_mT8_S1C_bDpT10_ENKUlT_T0_E_clISt17integral_constantIbLb0EES1P_EEDaS1K_S1L_EUlS1K_E_NS1_11comp_targetILNS1_3genE10ELNS1_11target_archE1200ELNS1_3gpuE4ELNS1_3repE0EEENS1_30default_config_static_selectorELNS0_4arch9wavefront6targetE0EEEvSY_
                                        ; -- End function
	.set _ZN7rocprim17ROCPRIM_400000_NS6detail17trampoline_kernelINS0_13select_configILj256ELj13ELNS0_17block_load_methodE3ELS4_3ELS4_3ELNS0_20block_scan_algorithmE0ELj4294967295EEENS1_25partition_config_selectorILNS1_17partition_subalgoE3EjNS0_10empty_typeEbEEZZNS1_14partition_implILS8_3ELb0ES6_jNS0_17counting_iteratorIjlEEPS9_SE_NS0_5tupleIJPjSE_EEENSF_IJSE_SE_EEES9_SG_JZNS1_25segmented_radix_sort_implINS0_14default_configELb1EPKfPfPKlPlN2at6native12_GLOBAL__N_18offset_tEEE10hipError_tPvRmT1_PNSt15iterator_traitsISY_E10value_typeET2_T3_PNSZ_IS14_E10value_typeET4_jRbjT5_S1A_jjP12ihipStream_tbEUljE_EEESV_SW_SX_S14_S18_S1A_T6_T7_T9_mT8_S1C_bDpT10_ENKUlT_T0_E_clISt17integral_constantIbLb0EES1P_EEDaS1K_S1L_EUlS1K_E_NS1_11comp_targetILNS1_3genE10ELNS1_11target_archE1200ELNS1_3gpuE4ELNS1_3repE0EEENS1_30default_config_static_selectorELNS0_4arch9wavefront6targetE0EEEvSY_.num_vgpr, 0
	.set _ZN7rocprim17ROCPRIM_400000_NS6detail17trampoline_kernelINS0_13select_configILj256ELj13ELNS0_17block_load_methodE3ELS4_3ELS4_3ELNS0_20block_scan_algorithmE0ELj4294967295EEENS1_25partition_config_selectorILNS1_17partition_subalgoE3EjNS0_10empty_typeEbEEZZNS1_14partition_implILS8_3ELb0ES6_jNS0_17counting_iteratorIjlEEPS9_SE_NS0_5tupleIJPjSE_EEENSF_IJSE_SE_EEES9_SG_JZNS1_25segmented_radix_sort_implINS0_14default_configELb1EPKfPfPKlPlN2at6native12_GLOBAL__N_18offset_tEEE10hipError_tPvRmT1_PNSt15iterator_traitsISY_E10value_typeET2_T3_PNSZ_IS14_E10value_typeET4_jRbjT5_S1A_jjP12ihipStream_tbEUljE_EEESV_SW_SX_S14_S18_S1A_T6_T7_T9_mT8_S1C_bDpT10_ENKUlT_T0_E_clISt17integral_constantIbLb0EES1P_EEDaS1K_S1L_EUlS1K_E_NS1_11comp_targetILNS1_3genE10ELNS1_11target_archE1200ELNS1_3gpuE4ELNS1_3repE0EEENS1_30default_config_static_selectorELNS0_4arch9wavefront6targetE0EEEvSY_.num_agpr, 0
	.set _ZN7rocprim17ROCPRIM_400000_NS6detail17trampoline_kernelINS0_13select_configILj256ELj13ELNS0_17block_load_methodE3ELS4_3ELS4_3ELNS0_20block_scan_algorithmE0ELj4294967295EEENS1_25partition_config_selectorILNS1_17partition_subalgoE3EjNS0_10empty_typeEbEEZZNS1_14partition_implILS8_3ELb0ES6_jNS0_17counting_iteratorIjlEEPS9_SE_NS0_5tupleIJPjSE_EEENSF_IJSE_SE_EEES9_SG_JZNS1_25segmented_radix_sort_implINS0_14default_configELb1EPKfPfPKlPlN2at6native12_GLOBAL__N_18offset_tEEE10hipError_tPvRmT1_PNSt15iterator_traitsISY_E10value_typeET2_T3_PNSZ_IS14_E10value_typeET4_jRbjT5_S1A_jjP12ihipStream_tbEUljE_EEESV_SW_SX_S14_S18_S1A_T6_T7_T9_mT8_S1C_bDpT10_ENKUlT_T0_E_clISt17integral_constantIbLb0EES1P_EEDaS1K_S1L_EUlS1K_E_NS1_11comp_targetILNS1_3genE10ELNS1_11target_archE1200ELNS1_3gpuE4ELNS1_3repE0EEENS1_30default_config_static_selectorELNS0_4arch9wavefront6targetE0EEEvSY_.numbered_sgpr, 0
	.set _ZN7rocprim17ROCPRIM_400000_NS6detail17trampoline_kernelINS0_13select_configILj256ELj13ELNS0_17block_load_methodE3ELS4_3ELS4_3ELNS0_20block_scan_algorithmE0ELj4294967295EEENS1_25partition_config_selectorILNS1_17partition_subalgoE3EjNS0_10empty_typeEbEEZZNS1_14partition_implILS8_3ELb0ES6_jNS0_17counting_iteratorIjlEEPS9_SE_NS0_5tupleIJPjSE_EEENSF_IJSE_SE_EEES9_SG_JZNS1_25segmented_radix_sort_implINS0_14default_configELb1EPKfPfPKlPlN2at6native12_GLOBAL__N_18offset_tEEE10hipError_tPvRmT1_PNSt15iterator_traitsISY_E10value_typeET2_T3_PNSZ_IS14_E10value_typeET4_jRbjT5_S1A_jjP12ihipStream_tbEUljE_EEESV_SW_SX_S14_S18_S1A_T6_T7_T9_mT8_S1C_bDpT10_ENKUlT_T0_E_clISt17integral_constantIbLb0EES1P_EEDaS1K_S1L_EUlS1K_E_NS1_11comp_targetILNS1_3genE10ELNS1_11target_archE1200ELNS1_3gpuE4ELNS1_3repE0EEENS1_30default_config_static_selectorELNS0_4arch9wavefront6targetE0EEEvSY_.num_named_barrier, 0
	.set _ZN7rocprim17ROCPRIM_400000_NS6detail17trampoline_kernelINS0_13select_configILj256ELj13ELNS0_17block_load_methodE3ELS4_3ELS4_3ELNS0_20block_scan_algorithmE0ELj4294967295EEENS1_25partition_config_selectorILNS1_17partition_subalgoE3EjNS0_10empty_typeEbEEZZNS1_14partition_implILS8_3ELb0ES6_jNS0_17counting_iteratorIjlEEPS9_SE_NS0_5tupleIJPjSE_EEENSF_IJSE_SE_EEES9_SG_JZNS1_25segmented_radix_sort_implINS0_14default_configELb1EPKfPfPKlPlN2at6native12_GLOBAL__N_18offset_tEEE10hipError_tPvRmT1_PNSt15iterator_traitsISY_E10value_typeET2_T3_PNSZ_IS14_E10value_typeET4_jRbjT5_S1A_jjP12ihipStream_tbEUljE_EEESV_SW_SX_S14_S18_S1A_T6_T7_T9_mT8_S1C_bDpT10_ENKUlT_T0_E_clISt17integral_constantIbLb0EES1P_EEDaS1K_S1L_EUlS1K_E_NS1_11comp_targetILNS1_3genE10ELNS1_11target_archE1200ELNS1_3gpuE4ELNS1_3repE0EEENS1_30default_config_static_selectorELNS0_4arch9wavefront6targetE0EEEvSY_.private_seg_size, 0
	.set _ZN7rocprim17ROCPRIM_400000_NS6detail17trampoline_kernelINS0_13select_configILj256ELj13ELNS0_17block_load_methodE3ELS4_3ELS4_3ELNS0_20block_scan_algorithmE0ELj4294967295EEENS1_25partition_config_selectorILNS1_17partition_subalgoE3EjNS0_10empty_typeEbEEZZNS1_14partition_implILS8_3ELb0ES6_jNS0_17counting_iteratorIjlEEPS9_SE_NS0_5tupleIJPjSE_EEENSF_IJSE_SE_EEES9_SG_JZNS1_25segmented_radix_sort_implINS0_14default_configELb1EPKfPfPKlPlN2at6native12_GLOBAL__N_18offset_tEEE10hipError_tPvRmT1_PNSt15iterator_traitsISY_E10value_typeET2_T3_PNSZ_IS14_E10value_typeET4_jRbjT5_S1A_jjP12ihipStream_tbEUljE_EEESV_SW_SX_S14_S18_S1A_T6_T7_T9_mT8_S1C_bDpT10_ENKUlT_T0_E_clISt17integral_constantIbLb0EES1P_EEDaS1K_S1L_EUlS1K_E_NS1_11comp_targetILNS1_3genE10ELNS1_11target_archE1200ELNS1_3gpuE4ELNS1_3repE0EEENS1_30default_config_static_selectorELNS0_4arch9wavefront6targetE0EEEvSY_.uses_vcc, 0
	.set _ZN7rocprim17ROCPRIM_400000_NS6detail17trampoline_kernelINS0_13select_configILj256ELj13ELNS0_17block_load_methodE3ELS4_3ELS4_3ELNS0_20block_scan_algorithmE0ELj4294967295EEENS1_25partition_config_selectorILNS1_17partition_subalgoE3EjNS0_10empty_typeEbEEZZNS1_14partition_implILS8_3ELb0ES6_jNS0_17counting_iteratorIjlEEPS9_SE_NS0_5tupleIJPjSE_EEENSF_IJSE_SE_EEES9_SG_JZNS1_25segmented_radix_sort_implINS0_14default_configELb1EPKfPfPKlPlN2at6native12_GLOBAL__N_18offset_tEEE10hipError_tPvRmT1_PNSt15iterator_traitsISY_E10value_typeET2_T3_PNSZ_IS14_E10value_typeET4_jRbjT5_S1A_jjP12ihipStream_tbEUljE_EEESV_SW_SX_S14_S18_S1A_T6_T7_T9_mT8_S1C_bDpT10_ENKUlT_T0_E_clISt17integral_constantIbLb0EES1P_EEDaS1K_S1L_EUlS1K_E_NS1_11comp_targetILNS1_3genE10ELNS1_11target_archE1200ELNS1_3gpuE4ELNS1_3repE0EEENS1_30default_config_static_selectorELNS0_4arch9wavefront6targetE0EEEvSY_.uses_flat_scratch, 0
	.set _ZN7rocprim17ROCPRIM_400000_NS6detail17trampoline_kernelINS0_13select_configILj256ELj13ELNS0_17block_load_methodE3ELS4_3ELS4_3ELNS0_20block_scan_algorithmE0ELj4294967295EEENS1_25partition_config_selectorILNS1_17partition_subalgoE3EjNS0_10empty_typeEbEEZZNS1_14partition_implILS8_3ELb0ES6_jNS0_17counting_iteratorIjlEEPS9_SE_NS0_5tupleIJPjSE_EEENSF_IJSE_SE_EEES9_SG_JZNS1_25segmented_radix_sort_implINS0_14default_configELb1EPKfPfPKlPlN2at6native12_GLOBAL__N_18offset_tEEE10hipError_tPvRmT1_PNSt15iterator_traitsISY_E10value_typeET2_T3_PNSZ_IS14_E10value_typeET4_jRbjT5_S1A_jjP12ihipStream_tbEUljE_EEESV_SW_SX_S14_S18_S1A_T6_T7_T9_mT8_S1C_bDpT10_ENKUlT_T0_E_clISt17integral_constantIbLb0EES1P_EEDaS1K_S1L_EUlS1K_E_NS1_11comp_targetILNS1_3genE10ELNS1_11target_archE1200ELNS1_3gpuE4ELNS1_3repE0EEENS1_30default_config_static_selectorELNS0_4arch9wavefront6targetE0EEEvSY_.has_dyn_sized_stack, 0
	.set _ZN7rocprim17ROCPRIM_400000_NS6detail17trampoline_kernelINS0_13select_configILj256ELj13ELNS0_17block_load_methodE3ELS4_3ELS4_3ELNS0_20block_scan_algorithmE0ELj4294967295EEENS1_25partition_config_selectorILNS1_17partition_subalgoE3EjNS0_10empty_typeEbEEZZNS1_14partition_implILS8_3ELb0ES6_jNS0_17counting_iteratorIjlEEPS9_SE_NS0_5tupleIJPjSE_EEENSF_IJSE_SE_EEES9_SG_JZNS1_25segmented_radix_sort_implINS0_14default_configELb1EPKfPfPKlPlN2at6native12_GLOBAL__N_18offset_tEEE10hipError_tPvRmT1_PNSt15iterator_traitsISY_E10value_typeET2_T3_PNSZ_IS14_E10value_typeET4_jRbjT5_S1A_jjP12ihipStream_tbEUljE_EEESV_SW_SX_S14_S18_S1A_T6_T7_T9_mT8_S1C_bDpT10_ENKUlT_T0_E_clISt17integral_constantIbLb0EES1P_EEDaS1K_S1L_EUlS1K_E_NS1_11comp_targetILNS1_3genE10ELNS1_11target_archE1200ELNS1_3gpuE4ELNS1_3repE0EEENS1_30default_config_static_selectorELNS0_4arch9wavefront6targetE0EEEvSY_.has_recursion, 0
	.set _ZN7rocprim17ROCPRIM_400000_NS6detail17trampoline_kernelINS0_13select_configILj256ELj13ELNS0_17block_load_methodE3ELS4_3ELS4_3ELNS0_20block_scan_algorithmE0ELj4294967295EEENS1_25partition_config_selectorILNS1_17partition_subalgoE3EjNS0_10empty_typeEbEEZZNS1_14partition_implILS8_3ELb0ES6_jNS0_17counting_iteratorIjlEEPS9_SE_NS0_5tupleIJPjSE_EEENSF_IJSE_SE_EEES9_SG_JZNS1_25segmented_radix_sort_implINS0_14default_configELb1EPKfPfPKlPlN2at6native12_GLOBAL__N_18offset_tEEE10hipError_tPvRmT1_PNSt15iterator_traitsISY_E10value_typeET2_T3_PNSZ_IS14_E10value_typeET4_jRbjT5_S1A_jjP12ihipStream_tbEUljE_EEESV_SW_SX_S14_S18_S1A_T6_T7_T9_mT8_S1C_bDpT10_ENKUlT_T0_E_clISt17integral_constantIbLb0EES1P_EEDaS1K_S1L_EUlS1K_E_NS1_11comp_targetILNS1_3genE10ELNS1_11target_archE1200ELNS1_3gpuE4ELNS1_3repE0EEENS1_30default_config_static_selectorELNS0_4arch9wavefront6targetE0EEEvSY_.has_indirect_call, 0
	.section	.AMDGPU.csdata,"",@progbits
; Kernel info:
; codeLenInByte = 0
; TotalNumSgprs: 0
; NumVgprs: 0
; ScratchSize: 0
; MemoryBound: 0
; FloatMode: 240
; IeeeMode: 1
; LDSByteSize: 0 bytes/workgroup (compile time only)
; SGPRBlocks: 0
; VGPRBlocks: 0
; NumSGPRsForWavesPerEU: 1
; NumVGPRsForWavesPerEU: 1
; NamedBarCnt: 0
; Occupancy: 16
; WaveLimiterHint : 0
; COMPUTE_PGM_RSRC2:SCRATCH_EN: 0
; COMPUTE_PGM_RSRC2:USER_SGPR: 2
; COMPUTE_PGM_RSRC2:TRAP_HANDLER: 0
; COMPUTE_PGM_RSRC2:TGID_X_EN: 1
; COMPUTE_PGM_RSRC2:TGID_Y_EN: 0
; COMPUTE_PGM_RSRC2:TGID_Z_EN: 0
; COMPUTE_PGM_RSRC2:TIDIG_COMP_CNT: 0
	.section	.text._ZN7rocprim17ROCPRIM_400000_NS6detail17trampoline_kernelINS0_13select_configILj256ELj13ELNS0_17block_load_methodE3ELS4_3ELS4_3ELNS0_20block_scan_algorithmE0ELj4294967295EEENS1_25partition_config_selectorILNS1_17partition_subalgoE3EjNS0_10empty_typeEbEEZZNS1_14partition_implILS8_3ELb0ES6_jNS0_17counting_iteratorIjlEEPS9_SE_NS0_5tupleIJPjSE_EEENSF_IJSE_SE_EEES9_SG_JZNS1_25segmented_radix_sort_implINS0_14default_configELb1EPKfPfPKlPlN2at6native12_GLOBAL__N_18offset_tEEE10hipError_tPvRmT1_PNSt15iterator_traitsISY_E10value_typeET2_T3_PNSZ_IS14_E10value_typeET4_jRbjT5_S1A_jjP12ihipStream_tbEUljE_EEESV_SW_SX_S14_S18_S1A_T6_T7_T9_mT8_S1C_bDpT10_ENKUlT_T0_E_clISt17integral_constantIbLb0EES1P_EEDaS1K_S1L_EUlS1K_E_NS1_11comp_targetILNS1_3genE9ELNS1_11target_archE1100ELNS1_3gpuE3ELNS1_3repE0EEENS1_30default_config_static_selectorELNS0_4arch9wavefront6targetE0EEEvSY_,"axG",@progbits,_ZN7rocprim17ROCPRIM_400000_NS6detail17trampoline_kernelINS0_13select_configILj256ELj13ELNS0_17block_load_methodE3ELS4_3ELS4_3ELNS0_20block_scan_algorithmE0ELj4294967295EEENS1_25partition_config_selectorILNS1_17partition_subalgoE3EjNS0_10empty_typeEbEEZZNS1_14partition_implILS8_3ELb0ES6_jNS0_17counting_iteratorIjlEEPS9_SE_NS0_5tupleIJPjSE_EEENSF_IJSE_SE_EEES9_SG_JZNS1_25segmented_radix_sort_implINS0_14default_configELb1EPKfPfPKlPlN2at6native12_GLOBAL__N_18offset_tEEE10hipError_tPvRmT1_PNSt15iterator_traitsISY_E10value_typeET2_T3_PNSZ_IS14_E10value_typeET4_jRbjT5_S1A_jjP12ihipStream_tbEUljE_EEESV_SW_SX_S14_S18_S1A_T6_T7_T9_mT8_S1C_bDpT10_ENKUlT_T0_E_clISt17integral_constantIbLb0EES1P_EEDaS1K_S1L_EUlS1K_E_NS1_11comp_targetILNS1_3genE9ELNS1_11target_archE1100ELNS1_3gpuE3ELNS1_3repE0EEENS1_30default_config_static_selectorELNS0_4arch9wavefront6targetE0EEEvSY_,comdat
	.globl	_ZN7rocprim17ROCPRIM_400000_NS6detail17trampoline_kernelINS0_13select_configILj256ELj13ELNS0_17block_load_methodE3ELS4_3ELS4_3ELNS0_20block_scan_algorithmE0ELj4294967295EEENS1_25partition_config_selectorILNS1_17partition_subalgoE3EjNS0_10empty_typeEbEEZZNS1_14partition_implILS8_3ELb0ES6_jNS0_17counting_iteratorIjlEEPS9_SE_NS0_5tupleIJPjSE_EEENSF_IJSE_SE_EEES9_SG_JZNS1_25segmented_radix_sort_implINS0_14default_configELb1EPKfPfPKlPlN2at6native12_GLOBAL__N_18offset_tEEE10hipError_tPvRmT1_PNSt15iterator_traitsISY_E10value_typeET2_T3_PNSZ_IS14_E10value_typeET4_jRbjT5_S1A_jjP12ihipStream_tbEUljE_EEESV_SW_SX_S14_S18_S1A_T6_T7_T9_mT8_S1C_bDpT10_ENKUlT_T0_E_clISt17integral_constantIbLb0EES1P_EEDaS1K_S1L_EUlS1K_E_NS1_11comp_targetILNS1_3genE9ELNS1_11target_archE1100ELNS1_3gpuE3ELNS1_3repE0EEENS1_30default_config_static_selectorELNS0_4arch9wavefront6targetE0EEEvSY_ ; -- Begin function _ZN7rocprim17ROCPRIM_400000_NS6detail17trampoline_kernelINS0_13select_configILj256ELj13ELNS0_17block_load_methodE3ELS4_3ELS4_3ELNS0_20block_scan_algorithmE0ELj4294967295EEENS1_25partition_config_selectorILNS1_17partition_subalgoE3EjNS0_10empty_typeEbEEZZNS1_14partition_implILS8_3ELb0ES6_jNS0_17counting_iteratorIjlEEPS9_SE_NS0_5tupleIJPjSE_EEENSF_IJSE_SE_EEES9_SG_JZNS1_25segmented_radix_sort_implINS0_14default_configELb1EPKfPfPKlPlN2at6native12_GLOBAL__N_18offset_tEEE10hipError_tPvRmT1_PNSt15iterator_traitsISY_E10value_typeET2_T3_PNSZ_IS14_E10value_typeET4_jRbjT5_S1A_jjP12ihipStream_tbEUljE_EEESV_SW_SX_S14_S18_S1A_T6_T7_T9_mT8_S1C_bDpT10_ENKUlT_T0_E_clISt17integral_constantIbLb0EES1P_EEDaS1K_S1L_EUlS1K_E_NS1_11comp_targetILNS1_3genE9ELNS1_11target_archE1100ELNS1_3gpuE3ELNS1_3repE0EEENS1_30default_config_static_selectorELNS0_4arch9wavefront6targetE0EEEvSY_
	.p2align	8
	.type	_ZN7rocprim17ROCPRIM_400000_NS6detail17trampoline_kernelINS0_13select_configILj256ELj13ELNS0_17block_load_methodE3ELS4_3ELS4_3ELNS0_20block_scan_algorithmE0ELj4294967295EEENS1_25partition_config_selectorILNS1_17partition_subalgoE3EjNS0_10empty_typeEbEEZZNS1_14partition_implILS8_3ELb0ES6_jNS0_17counting_iteratorIjlEEPS9_SE_NS0_5tupleIJPjSE_EEENSF_IJSE_SE_EEES9_SG_JZNS1_25segmented_radix_sort_implINS0_14default_configELb1EPKfPfPKlPlN2at6native12_GLOBAL__N_18offset_tEEE10hipError_tPvRmT1_PNSt15iterator_traitsISY_E10value_typeET2_T3_PNSZ_IS14_E10value_typeET4_jRbjT5_S1A_jjP12ihipStream_tbEUljE_EEESV_SW_SX_S14_S18_S1A_T6_T7_T9_mT8_S1C_bDpT10_ENKUlT_T0_E_clISt17integral_constantIbLb0EES1P_EEDaS1K_S1L_EUlS1K_E_NS1_11comp_targetILNS1_3genE9ELNS1_11target_archE1100ELNS1_3gpuE3ELNS1_3repE0EEENS1_30default_config_static_selectorELNS0_4arch9wavefront6targetE0EEEvSY_,@function
_ZN7rocprim17ROCPRIM_400000_NS6detail17trampoline_kernelINS0_13select_configILj256ELj13ELNS0_17block_load_methodE3ELS4_3ELS4_3ELNS0_20block_scan_algorithmE0ELj4294967295EEENS1_25partition_config_selectorILNS1_17partition_subalgoE3EjNS0_10empty_typeEbEEZZNS1_14partition_implILS8_3ELb0ES6_jNS0_17counting_iteratorIjlEEPS9_SE_NS0_5tupleIJPjSE_EEENSF_IJSE_SE_EEES9_SG_JZNS1_25segmented_radix_sort_implINS0_14default_configELb1EPKfPfPKlPlN2at6native12_GLOBAL__N_18offset_tEEE10hipError_tPvRmT1_PNSt15iterator_traitsISY_E10value_typeET2_T3_PNSZ_IS14_E10value_typeET4_jRbjT5_S1A_jjP12ihipStream_tbEUljE_EEESV_SW_SX_S14_S18_S1A_T6_T7_T9_mT8_S1C_bDpT10_ENKUlT_T0_E_clISt17integral_constantIbLb0EES1P_EEDaS1K_S1L_EUlS1K_E_NS1_11comp_targetILNS1_3genE9ELNS1_11target_archE1100ELNS1_3gpuE3ELNS1_3repE0EEENS1_30default_config_static_selectorELNS0_4arch9wavefront6targetE0EEEvSY_: ; @_ZN7rocprim17ROCPRIM_400000_NS6detail17trampoline_kernelINS0_13select_configILj256ELj13ELNS0_17block_load_methodE3ELS4_3ELS4_3ELNS0_20block_scan_algorithmE0ELj4294967295EEENS1_25partition_config_selectorILNS1_17partition_subalgoE3EjNS0_10empty_typeEbEEZZNS1_14partition_implILS8_3ELb0ES6_jNS0_17counting_iteratorIjlEEPS9_SE_NS0_5tupleIJPjSE_EEENSF_IJSE_SE_EEES9_SG_JZNS1_25segmented_radix_sort_implINS0_14default_configELb1EPKfPfPKlPlN2at6native12_GLOBAL__N_18offset_tEEE10hipError_tPvRmT1_PNSt15iterator_traitsISY_E10value_typeET2_T3_PNSZ_IS14_E10value_typeET4_jRbjT5_S1A_jjP12ihipStream_tbEUljE_EEESV_SW_SX_S14_S18_S1A_T6_T7_T9_mT8_S1C_bDpT10_ENKUlT_T0_E_clISt17integral_constantIbLb0EES1P_EEDaS1K_S1L_EUlS1K_E_NS1_11comp_targetILNS1_3genE9ELNS1_11target_archE1100ELNS1_3gpuE3ELNS1_3repE0EEENS1_30default_config_static_selectorELNS0_4arch9wavefront6targetE0EEEvSY_
; %bb.0:
	.section	.rodata,"a",@progbits
	.p2align	6, 0x0
	.amdhsa_kernel _ZN7rocprim17ROCPRIM_400000_NS6detail17trampoline_kernelINS0_13select_configILj256ELj13ELNS0_17block_load_methodE3ELS4_3ELS4_3ELNS0_20block_scan_algorithmE0ELj4294967295EEENS1_25partition_config_selectorILNS1_17partition_subalgoE3EjNS0_10empty_typeEbEEZZNS1_14partition_implILS8_3ELb0ES6_jNS0_17counting_iteratorIjlEEPS9_SE_NS0_5tupleIJPjSE_EEENSF_IJSE_SE_EEES9_SG_JZNS1_25segmented_radix_sort_implINS0_14default_configELb1EPKfPfPKlPlN2at6native12_GLOBAL__N_18offset_tEEE10hipError_tPvRmT1_PNSt15iterator_traitsISY_E10value_typeET2_T3_PNSZ_IS14_E10value_typeET4_jRbjT5_S1A_jjP12ihipStream_tbEUljE_EEESV_SW_SX_S14_S18_S1A_T6_T7_T9_mT8_S1C_bDpT10_ENKUlT_T0_E_clISt17integral_constantIbLb0EES1P_EEDaS1K_S1L_EUlS1K_E_NS1_11comp_targetILNS1_3genE9ELNS1_11target_archE1100ELNS1_3gpuE3ELNS1_3repE0EEENS1_30default_config_static_selectorELNS0_4arch9wavefront6targetE0EEEvSY_
		.amdhsa_group_segment_fixed_size 0
		.amdhsa_private_segment_fixed_size 0
		.amdhsa_kernarg_size 144
		.amdhsa_user_sgpr_count 2
		.amdhsa_user_sgpr_dispatch_ptr 0
		.amdhsa_user_sgpr_queue_ptr 0
		.amdhsa_user_sgpr_kernarg_segment_ptr 1
		.amdhsa_user_sgpr_dispatch_id 0
		.amdhsa_user_sgpr_kernarg_preload_length 0
		.amdhsa_user_sgpr_kernarg_preload_offset 0
		.amdhsa_user_sgpr_private_segment_size 0
		.amdhsa_wavefront_size32 1
		.amdhsa_uses_dynamic_stack 0
		.amdhsa_enable_private_segment 0
		.amdhsa_system_sgpr_workgroup_id_x 1
		.amdhsa_system_sgpr_workgroup_id_y 0
		.amdhsa_system_sgpr_workgroup_id_z 0
		.amdhsa_system_sgpr_workgroup_info 0
		.amdhsa_system_vgpr_workitem_id 0
		.amdhsa_next_free_vgpr 1
		.amdhsa_next_free_sgpr 1
		.amdhsa_named_barrier_count 0
		.amdhsa_reserve_vcc 0
		.amdhsa_float_round_mode_32 0
		.amdhsa_float_round_mode_16_64 0
		.amdhsa_float_denorm_mode_32 3
		.amdhsa_float_denorm_mode_16_64 3
		.amdhsa_fp16_overflow 0
		.amdhsa_memory_ordered 1
		.amdhsa_forward_progress 1
		.amdhsa_inst_pref_size 0
		.amdhsa_round_robin_scheduling 0
		.amdhsa_exception_fp_ieee_invalid_op 0
		.amdhsa_exception_fp_denorm_src 0
		.amdhsa_exception_fp_ieee_div_zero 0
		.amdhsa_exception_fp_ieee_overflow 0
		.amdhsa_exception_fp_ieee_underflow 0
		.amdhsa_exception_fp_ieee_inexact 0
		.amdhsa_exception_int_div_zero 0
	.end_amdhsa_kernel
	.section	.text._ZN7rocprim17ROCPRIM_400000_NS6detail17trampoline_kernelINS0_13select_configILj256ELj13ELNS0_17block_load_methodE3ELS4_3ELS4_3ELNS0_20block_scan_algorithmE0ELj4294967295EEENS1_25partition_config_selectorILNS1_17partition_subalgoE3EjNS0_10empty_typeEbEEZZNS1_14partition_implILS8_3ELb0ES6_jNS0_17counting_iteratorIjlEEPS9_SE_NS0_5tupleIJPjSE_EEENSF_IJSE_SE_EEES9_SG_JZNS1_25segmented_radix_sort_implINS0_14default_configELb1EPKfPfPKlPlN2at6native12_GLOBAL__N_18offset_tEEE10hipError_tPvRmT1_PNSt15iterator_traitsISY_E10value_typeET2_T3_PNSZ_IS14_E10value_typeET4_jRbjT5_S1A_jjP12ihipStream_tbEUljE_EEESV_SW_SX_S14_S18_S1A_T6_T7_T9_mT8_S1C_bDpT10_ENKUlT_T0_E_clISt17integral_constantIbLb0EES1P_EEDaS1K_S1L_EUlS1K_E_NS1_11comp_targetILNS1_3genE9ELNS1_11target_archE1100ELNS1_3gpuE3ELNS1_3repE0EEENS1_30default_config_static_selectorELNS0_4arch9wavefront6targetE0EEEvSY_,"axG",@progbits,_ZN7rocprim17ROCPRIM_400000_NS6detail17trampoline_kernelINS0_13select_configILj256ELj13ELNS0_17block_load_methodE3ELS4_3ELS4_3ELNS0_20block_scan_algorithmE0ELj4294967295EEENS1_25partition_config_selectorILNS1_17partition_subalgoE3EjNS0_10empty_typeEbEEZZNS1_14partition_implILS8_3ELb0ES6_jNS0_17counting_iteratorIjlEEPS9_SE_NS0_5tupleIJPjSE_EEENSF_IJSE_SE_EEES9_SG_JZNS1_25segmented_radix_sort_implINS0_14default_configELb1EPKfPfPKlPlN2at6native12_GLOBAL__N_18offset_tEEE10hipError_tPvRmT1_PNSt15iterator_traitsISY_E10value_typeET2_T3_PNSZ_IS14_E10value_typeET4_jRbjT5_S1A_jjP12ihipStream_tbEUljE_EEESV_SW_SX_S14_S18_S1A_T6_T7_T9_mT8_S1C_bDpT10_ENKUlT_T0_E_clISt17integral_constantIbLb0EES1P_EEDaS1K_S1L_EUlS1K_E_NS1_11comp_targetILNS1_3genE9ELNS1_11target_archE1100ELNS1_3gpuE3ELNS1_3repE0EEENS1_30default_config_static_selectorELNS0_4arch9wavefront6targetE0EEEvSY_,comdat
.Lfunc_end1293:
	.size	_ZN7rocprim17ROCPRIM_400000_NS6detail17trampoline_kernelINS0_13select_configILj256ELj13ELNS0_17block_load_methodE3ELS4_3ELS4_3ELNS0_20block_scan_algorithmE0ELj4294967295EEENS1_25partition_config_selectorILNS1_17partition_subalgoE3EjNS0_10empty_typeEbEEZZNS1_14partition_implILS8_3ELb0ES6_jNS0_17counting_iteratorIjlEEPS9_SE_NS0_5tupleIJPjSE_EEENSF_IJSE_SE_EEES9_SG_JZNS1_25segmented_radix_sort_implINS0_14default_configELb1EPKfPfPKlPlN2at6native12_GLOBAL__N_18offset_tEEE10hipError_tPvRmT1_PNSt15iterator_traitsISY_E10value_typeET2_T3_PNSZ_IS14_E10value_typeET4_jRbjT5_S1A_jjP12ihipStream_tbEUljE_EEESV_SW_SX_S14_S18_S1A_T6_T7_T9_mT8_S1C_bDpT10_ENKUlT_T0_E_clISt17integral_constantIbLb0EES1P_EEDaS1K_S1L_EUlS1K_E_NS1_11comp_targetILNS1_3genE9ELNS1_11target_archE1100ELNS1_3gpuE3ELNS1_3repE0EEENS1_30default_config_static_selectorELNS0_4arch9wavefront6targetE0EEEvSY_, .Lfunc_end1293-_ZN7rocprim17ROCPRIM_400000_NS6detail17trampoline_kernelINS0_13select_configILj256ELj13ELNS0_17block_load_methodE3ELS4_3ELS4_3ELNS0_20block_scan_algorithmE0ELj4294967295EEENS1_25partition_config_selectorILNS1_17partition_subalgoE3EjNS0_10empty_typeEbEEZZNS1_14partition_implILS8_3ELb0ES6_jNS0_17counting_iteratorIjlEEPS9_SE_NS0_5tupleIJPjSE_EEENSF_IJSE_SE_EEES9_SG_JZNS1_25segmented_radix_sort_implINS0_14default_configELb1EPKfPfPKlPlN2at6native12_GLOBAL__N_18offset_tEEE10hipError_tPvRmT1_PNSt15iterator_traitsISY_E10value_typeET2_T3_PNSZ_IS14_E10value_typeET4_jRbjT5_S1A_jjP12ihipStream_tbEUljE_EEESV_SW_SX_S14_S18_S1A_T6_T7_T9_mT8_S1C_bDpT10_ENKUlT_T0_E_clISt17integral_constantIbLb0EES1P_EEDaS1K_S1L_EUlS1K_E_NS1_11comp_targetILNS1_3genE9ELNS1_11target_archE1100ELNS1_3gpuE3ELNS1_3repE0EEENS1_30default_config_static_selectorELNS0_4arch9wavefront6targetE0EEEvSY_
                                        ; -- End function
	.set _ZN7rocprim17ROCPRIM_400000_NS6detail17trampoline_kernelINS0_13select_configILj256ELj13ELNS0_17block_load_methodE3ELS4_3ELS4_3ELNS0_20block_scan_algorithmE0ELj4294967295EEENS1_25partition_config_selectorILNS1_17partition_subalgoE3EjNS0_10empty_typeEbEEZZNS1_14partition_implILS8_3ELb0ES6_jNS0_17counting_iteratorIjlEEPS9_SE_NS0_5tupleIJPjSE_EEENSF_IJSE_SE_EEES9_SG_JZNS1_25segmented_radix_sort_implINS0_14default_configELb1EPKfPfPKlPlN2at6native12_GLOBAL__N_18offset_tEEE10hipError_tPvRmT1_PNSt15iterator_traitsISY_E10value_typeET2_T3_PNSZ_IS14_E10value_typeET4_jRbjT5_S1A_jjP12ihipStream_tbEUljE_EEESV_SW_SX_S14_S18_S1A_T6_T7_T9_mT8_S1C_bDpT10_ENKUlT_T0_E_clISt17integral_constantIbLb0EES1P_EEDaS1K_S1L_EUlS1K_E_NS1_11comp_targetILNS1_3genE9ELNS1_11target_archE1100ELNS1_3gpuE3ELNS1_3repE0EEENS1_30default_config_static_selectorELNS0_4arch9wavefront6targetE0EEEvSY_.num_vgpr, 0
	.set _ZN7rocprim17ROCPRIM_400000_NS6detail17trampoline_kernelINS0_13select_configILj256ELj13ELNS0_17block_load_methodE3ELS4_3ELS4_3ELNS0_20block_scan_algorithmE0ELj4294967295EEENS1_25partition_config_selectorILNS1_17partition_subalgoE3EjNS0_10empty_typeEbEEZZNS1_14partition_implILS8_3ELb0ES6_jNS0_17counting_iteratorIjlEEPS9_SE_NS0_5tupleIJPjSE_EEENSF_IJSE_SE_EEES9_SG_JZNS1_25segmented_radix_sort_implINS0_14default_configELb1EPKfPfPKlPlN2at6native12_GLOBAL__N_18offset_tEEE10hipError_tPvRmT1_PNSt15iterator_traitsISY_E10value_typeET2_T3_PNSZ_IS14_E10value_typeET4_jRbjT5_S1A_jjP12ihipStream_tbEUljE_EEESV_SW_SX_S14_S18_S1A_T6_T7_T9_mT8_S1C_bDpT10_ENKUlT_T0_E_clISt17integral_constantIbLb0EES1P_EEDaS1K_S1L_EUlS1K_E_NS1_11comp_targetILNS1_3genE9ELNS1_11target_archE1100ELNS1_3gpuE3ELNS1_3repE0EEENS1_30default_config_static_selectorELNS0_4arch9wavefront6targetE0EEEvSY_.num_agpr, 0
	.set _ZN7rocprim17ROCPRIM_400000_NS6detail17trampoline_kernelINS0_13select_configILj256ELj13ELNS0_17block_load_methodE3ELS4_3ELS4_3ELNS0_20block_scan_algorithmE0ELj4294967295EEENS1_25partition_config_selectorILNS1_17partition_subalgoE3EjNS0_10empty_typeEbEEZZNS1_14partition_implILS8_3ELb0ES6_jNS0_17counting_iteratorIjlEEPS9_SE_NS0_5tupleIJPjSE_EEENSF_IJSE_SE_EEES9_SG_JZNS1_25segmented_radix_sort_implINS0_14default_configELb1EPKfPfPKlPlN2at6native12_GLOBAL__N_18offset_tEEE10hipError_tPvRmT1_PNSt15iterator_traitsISY_E10value_typeET2_T3_PNSZ_IS14_E10value_typeET4_jRbjT5_S1A_jjP12ihipStream_tbEUljE_EEESV_SW_SX_S14_S18_S1A_T6_T7_T9_mT8_S1C_bDpT10_ENKUlT_T0_E_clISt17integral_constantIbLb0EES1P_EEDaS1K_S1L_EUlS1K_E_NS1_11comp_targetILNS1_3genE9ELNS1_11target_archE1100ELNS1_3gpuE3ELNS1_3repE0EEENS1_30default_config_static_selectorELNS0_4arch9wavefront6targetE0EEEvSY_.numbered_sgpr, 0
	.set _ZN7rocprim17ROCPRIM_400000_NS6detail17trampoline_kernelINS0_13select_configILj256ELj13ELNS0_17block_load_methodE3ELS4_3ELS4_3ELNS0_20block_scan_algorithmE0ELj4294967295EEENS1_25partition_config_selectorILNS1_17partition_subalgoE3EjNS0_10empty_typeEbEEZZNS1_14partition_implILS8_3ELb0ES6_jNS0_17counting_iteratorIjlEEPS9_SE_NS0_5tupleIJPjSE_EEENSF_IJSE_SE_EEES9_SG_JZNS1_25segmented_radix_sort_implINS0_14default_configELb1EPKfPfPKlPlN2at6native12_GLOBAL__N_18offset_tEEE10hipError_tPvRmT1_PNSt15iterator_traitsISY_E10value_typeET2_T3_PNSZ_IS14_E10value_typeET4_jRbjT5_S1A_jjP12ihipStream_tbEUljE_EEESV_SW_SX_S14_S18_S1A_T6_T7_T9_mT8_S1C_bDpT10_ENKUlT_T0_E_clISt17integral_constantIbLb0EES1P_EEDaS1K_S1L_EUlS1K_E_NS1_11comp_targetILNS1_3genE9ELNS1_11target_archE1100ELNS1_3gpuE3ELNS1_3repE0EEENS1_30default_config_static_selectorELNS0_4arch9wavefront6targetE0EEEvSY_.num_named_barrier, 0
	.set _ZN7rocprim17ROCPRIM_400000_NS6detail17trampoline_kernelINS0_13select_configILj256ELj13ELNS0_17block_load_methodE3ELS4_3ELS4_3ELNS0_20block_scan_algorithmE0ELj4294967295EEENS1_25partition_config_selectorILNS1_17partition_subalgoE3EjNS0_10empty_typeEbEEZZNS1_14partition_implILS8_3ELb0ES6_jNS0_17counting_iteratorIjlEEPS9_SE_NS0_5tupleIJPjSE_EEENSF_IJSE_SE_EEES9_SG_JZNS1_25segmented_radix_sort_implINS0_14default_configELb1EPKfPfPKlPlN2at6native12_GLOBAL__N_18offset_tEEE10hipError_tPvRmT1_PNSt15iterator_traitsISY_E10value_typeET2_T3_PNSZ_IS14_E10value_typeET4_jRbjT5_S1A_jjP12ihipStream_tbEUljE_EEESV_SW_SX_S14_S18_S1A_T6_T7_T9_mT8_S1C_bDpT10_ENKUlT_T0_E_clISt17integral_constantIbLb0EES1P_EEDaS1K_S1L_EUlS1K_E_NS1_11comp_targetILNS1_3genE9ELNS1_11target_archE1100ELNS1_3gpuE3ELNS1_3repE0EEENS1_30default_config_static_selectorELNS0_4arch9wavefront6targetE0EEEvSY_.private_seg_size, 0
	.set _ZN7rocprim17ROCPRIM_400000_NS6detail17trampoline_kernelINS0_13select_configILj256ELj13ELNS0_17block_load_methodE3ELS4_3ELS4_3ELNS0_20block_scan_algorithmE0ELj4294967295EEENS1_25partition_config_selectorILNS1_17partition_subalgoE3EjNS0_10empty_typeEbEEZZNS1_14partition_implILS8_3ELb0ES6_jNS0_17counting_iteratorIjlEEPS9_SE_NS0_5tupleIJPjSE_EEENSF_IJSE_SE_EEES9_SG_JZNS1_25segmented_radix_sort_implINS0_14default_configELb1EPKfPfPKlPlN2at6native12_GLOBAL__N_18offset_tEEE10hipError_tPvRmT1_PNSt15iterator_traitsISY_E10value_typeET2_T3_PNSZ_IS14_E10value_typeET4_jRbjT5_S1A_jjP12ihipStream_tbEUljE_EEESV_SW_SX_S14_S18_S1A_T6_T7_T9_mT8_S1C_bDpT10_ENKUlT_T0_E_clISt17integral_constantIbLb0EES1P_EEDaS1K_S1L_EUlS1K_E_NS1_11comp_targetILNS1_3genE9ELNS1_11target_archE1100ELNS1_3gpuE3ELNS1_3repE0EEENS1_30default_config_static_selectorELNS0_4arch9wavefront6targetE0EEEvSY_.uses_vcc, 0
	.set _ZN7rocprim17ROCPRIM_400000_NS6detail17trampoline_kernelINS0_13select_configILj256ELj13ELNS0_17block_load_methodE3ELS4_3ELS4_3ELNS0_20block_scan_algorithmE0ELj4294967295EEENS1_25partition_config_selectorILNS1_17partition_subalgoE3EjNS0_10empty_typeEbEEZZNS1_14partition_implILS8_3ELb0ES6_jNS0_17counting_iteratorIjlEEPS9_SE_NS0_5tupleIJPjSE_EEENSF_IJSE_SE_EEES9_SG_JZNS1_25segmented_radix_sort_implINS0_14default_configELb1EPKfPfPKlPlN2at6native12_GLOBAL__N_18offset_tEEE10hipError_tPvRmT1_PNSt15iterator_traitsISY_E10value_typeET2_T3_PNSZ_IS14_E10value_typeET4_jRbjT5_S1A_jjP12ihipStream_tbEUljE_EEESV_SW_SX_S14_S18_S1A_T6_T7_T9_mT8_S1C_bDpT10_ENKUlT_T0_E_clISt17integral_constantIbLb0EES1P_EEDaS1K_S1L_EUlS1K_E_NS1_11comp_targetILNS1_3genE9ELNS1_11target_archE1100ELNS1_3gpuE3ELNS1_3repE0EEENS1_30default_config_static_selectorELNS0_4arch9wavefront6targetE0EEEvSY_.uses_flat_scratch, 0
	.set _ZN7rocprim17ROCPRIM_400000_NS6detail17trampoline_kernelINS0_13select_configILj256ELj13ELNS0_17block_load_methodE3ELS4_3ELS4_3ELNS0_20block_scan_algorithmE0ELj4294967295EEENS1_25partition_config_selectorILNS1_17partition_subalgoE3EjNS0_10empty_typeEbEEZZNS1_14partition_implILS8_3ELb0ES6_jNS0_17counting_iteratorIjlEEPS9_SE_NS0_5tupleIJPjSE_EEENSF_IJSE_SE_EEES9_SG_JZNS1_25segmented_radix_sort_implINS0_14default_configELb1EPKfPfPKlPlN2at6native12_GLOBAL__N_18offset_tEEE10hipError_tPvRmT1_PNSt15iterator_traitsISY_E10value_typeET2_T3_PNSZ_IS14_E10value_typeET4_jRbjT5_S1A_jjP12ihipStream_tbEUljE_EEESV_SW_SX_S14_S18_S1A_T6_T7_T9_mT8_S1C_bDpT10_ENKUlT_T0_E_clISt17integral_constantIbLb0EES1P_EEDaS1K_S1L_EUlS1K_E_NS1_11comp_targetILNS1_3genE9ELNS1_11target_archE1100ELNS1_3gpuE3ELNS1_3repE0EEENS1_30default_config_static_selectorELNS0_4arch9wavefront6targetE0EEEvSY_.has_dyn_sized_stack, 0
	.set _ZN7rocprim17ROCPRIM_400000_NS6detail17trampoline_kernelINS0_13select_configILj256ELj13ELNS0_17block_load_methodE3ELS4_3ELS4_3ELNS0_20block_scan_algorithmE0ELj4294967295EEENS1_25partition_config_selectorILNS1_17partition_subalgoE3EjNS0_10empty_typeEbEEZZNS1_14partition_implILS8_3ELb0ES6_jNS0_17counting_iteratorIjlEEPS9_SE_NS0_5tupleIJPjSE_EEENSF_IJSE_SE_EEES9_SG_JZNS1_25segmented_radix_sort_implINS0_14default_configELb1EPKfPfPKlPlN2at6native12_GLOBAL__N_18offset_tEEE10hipError_tPvRmT1_PNSt15iterator_traitsISY_E10value_typeET2_T3_PNSZ_IS14_E10value_typeET4_jRbjT5_S1A_jjP12ihipStream_tbEUljE_EEESV_SW_SX_S14_S18_S1A_T6_T7_T9_mT8_S1C_bDpT10_ENKUlT_T0_E_clISt17integral_constantIbLb0EES1P_EEDaS1K_S1L_EUlS1K_E_NS1_11comp_targetILNS1_3genE9ELNS1_11target_archE1100ELNS1_3gpuE3ELNS1_3repE0EEENS1_30default_config_static_selectorELNS0_4arch9wavefront6targetE0EEEvSY_.has_recursion, 0
	.set _ZN7rocprim17ROCPRIM_400000_NS6detail17trampoline_kernelINS0_13select_configILj256ELj13ELNS0_17block_load_methodE3ELS4_3ELS4_3ELNS0_20block_scan_algorithmE0ELj4294967295EEENS1_25partition_config_selectorILNS1_17partition_subalgoE3EjNS0_10empty_typeEbEEZZNS1_14partition_implILS8_3ELb0ES6_jNS0_17counting_iteratorIjlEEPS9_SE_NS0_5tupleIJPjSE_EEENSF_IJSE_SE_EEES9_SG_JZNS1_25segmented_radix_sort_implINS0_14default_configELb1EPKfPfPKlPlN2at6native12_GLOBAL__N_18offset_tEEE10hipError_tPvRmT1_PNSt15iterator_traitsISY_E10value_typeET2_T3_PNSZ_IS14_E10value_typeET4_jRbjT5_S1A_jjP12ihipStream_tbEUljE_EEESV_SW_SX_S14_S18_S1A_T6_T7_T9_mT8_S1C_bDpT10_ENKUlT_T0_E_clISt17integral_constantIbLb0EES1P_EEDaS1K_S1L_EUlS1K_E_NS1_11comp_targetILNS1_3genE9ELNS1_11target_archE1100ELNS1_3gpuE3ELNS1_3repE0EEENS1_30default_config_static_selectorELNS0_4arch9wavefront6targetE0EEEvSY_.has_indirect_call, 0
	.section	.AMDGPU.csdata,"",@progbits
; Kernel info:
; codeLenInByte = 0
; TotalNumSgprs: 0
; NumVgprs: 0
; ScratchSize: 0
; MemoryBound: 0
; FloatMode: 240
; IeeeMode: 1
; LDSByteSize: 0 bytes/workgroup (compile time only)
; SGPRBlocks: 0
; VGPRBlocks: 0
; NumSGPRsForWavesPerEU: 1
; NumVGPRsForWavesPerEU: 1
; NamedBarCnt: 0
; Occupancy: 16
; WaveLimiterHint : 0
; COMPUTE_PGM_RSRC2:SCRATCH_EN: 0
; COMPUTE_PGM_RSRC2:USER_SGPR: 2
; COMPUTE_PGM_RSRC2:TRAP_HANDLER: 0
; COMPUTE_PGM_RSRC2:TGID_X_EN: 1
; COMPUTE_PGM_RSRC2:TGID_Y_EN: 0
; COMPUTE_PGM_RSRC2:TGID_Z_EN: 0
; COMPUTE_PGM_RSRC2:TIDIG_COMP_CNT: 0
	.section	.text._ZN7rocprim17ROCPRIM_400000_NS6detail17trampoline_kernelINS0_13select_configILj256ELj13ELNS0_17block_load_methodE3ELS4_3ELS4_3ELNS0_20block_scan_algorithmE0ELj4294967295EEENS1_25partition_config_selectorILNS1_17partition_subalgoE3EjNS0_10empty_typeEbEEZZNS1_14partition_implILS8_3ELb0ES6_jNS0_17counting_iteratorIjlEEPS9_SE_NS0_5tupleIJPjSE_EEENSF_IJSE_SE_EEES9_SG_JZNS1_25segmented_radix_sort_implINS0_14default_configELb1EPKfPfPKlPlN2at6native12_GLOBAL__N_18offset_tEEE10hipError_tPvRmT1_PNSt15iterator_traitsISY_E10value_typeET2_T3_PNSZ_IS14_E10value_typeET4_jRbjT5_S1A_jjP12ihipStream_tbEUljE_EEESV_SW_SX_S14_S18_S1A_T6_T7_T9_mT8_S1C_bDpT10_ENKUlT_T0_E_clISt17integral_constantIbLb0EES1P_EEDaS1K_S1L_EUlS1K_E_NS1_11comp_targetILNS1_3genE8ELNS1_11target_archE1030ELNS1_3gpuE2ELNS1_3repE0EEENS1_30default_config_static_selectorELNS0_4arch9wavefront6targetE0EEEvSY_,"axG",@progbits,_ZN7rocprim17ROCPRIM_400000_NS6detail17trampoline_kernelINS0_13select_configILj256ELj13ELNS0_17block_load_methodE3ELS4_3ELS4_3ELNS0_20block_scan_algorithmE0ELj4294967295EEENS1_25partition_config_selectorILNS1_17partition_subalgoE3EjNS0_10empty_typeEbEEZZNS1_14partition_implILS8_3ELb0ES6_jNS0_17counting_iteratorIjlEEPS9_SE_NS0_5tupleIJPjSE_EEENSF_IJSE_SE_EEES9_SG_JZNS1_25segmented_radix_sort_implINS0_14default_configELb1EPKfPfPKlPlN2at6native12_GLOBAL__N_18offset_tEEE10hipError_tPvRmT1_PNSt15iterator_traitsISY_E10value_typeET2_T3_PNSZ_IS14_E10value_typeET4_jRbjT5_S1A_jjP12ihipStream_tbEUljE_EEESV_SW_SX_S14_S18_S1A_T6_T7_T9_mT8_S1C_bDpT10_ENKUlT_T0_E_clISt17integral_constantIbLb0EES1P_EEDaS1K_S1L_EUlS1K_E_NS1_11comp_targetILNS1_3genE8ELNS1_11target_archE1030ELNS1_3gpuE2ELNS1_3repE0EEENS1_30default_config_static_selectorELNS0_4arch9wavefront6targetE0EEEvSY_,comdat
	.globl	_ZN7rocprim17ROCPRIM_400000_NS6detail17trampoline_kernelINS0_13select_configILj256ELj13ELNS0_17block_load_methodE3ELS4_3ELS4_3ELNS0_20block_scan_algorithmE0ELj4294967295EEENS1_25partition_config_selectorILNS1_17partition_subalgoE3EjNS0_10empty_typeEbEEZZNS1_14partition_implILS8_3ELb0ES6_jNS0_17counting_iteratorIjlEEPS9_SE_NS0_5tupleIJPjSE_EEENSF_IJSE_SE_EEES9_SG_JZNS1_25segmented_radix_sort_implINS0_14default_configELb1EPKfPfPKlPlN2at6native12_GLOBAL__N_18offset_tEEE10hipError_tPvRmT1_PNSt15iterator_traitsISY_E10value_typeET2_T3_PNSZ_IS14_E10value_typeET4_jRbjT5_S1A_jjP12ihipStream_tbEUljE_EEESV_SW_SX_S14_S18_S1A_T6_T7_T9_mT8_S1C_bDpT10_ENKUlT_T0_E_clISt17integral_constantIbLb0EES1P_EEDaS1K_S1L_EUlS1K_E_NS1_11comp_targetILNS1_3genE8ELNS1_11target_archE1030ELNS1_3gpuE2ELNS1_3repE0EEENS1_30default_config_static_selectorELNS0_4arch9wavefront6targetE0EEEvSY_ ; -- Begin function _ZN7rocprim17ROCPRIM_400000_NS6detail17trampoline_kernelINS0_13select_configILj256ELj13ELNS0_17block_load_methodE3ELS4_3ELS4_3ELNS0_20block_scan_algorithmE0ELj4294967295EEENS1_25partition_config_selectorILNS1_17partition_subalgoE3EjNS0_10empty_typeEbEEZZNS1_14partition_implILS8_3ELb0ES6_jNS0_17counting_iteratorIjlEEPS9_SE_NS0_5tupleIJPjSE_EEENSF_IJSE_SE_EEES9_SG_JZNS1_25segmented_radix_sort_implINS0_14default_configELb1EPKfPfPKlPlN2at6native12_GLOBAL__N_18offset_tEEE10hipError_tPvRmT1_PNSt15iterator_traitsISY_E10value_typeET2_T3_PNSZ_IS14_E10value_typeET4_jRbjT5_S1A_jjP12ihipStream_tbEUljE_EEESV_SW_SX_S14_S18_S1A_T6_T7_T9_mT8_S1C_bDpT10_ENKUlT_T0_E_clISt17integral_constantIbLb0EES1P_EEDaS1K_S1L_EUlS1K_E_NS1_11comp_targetILNS1_3genE8ELNS1_11target_archE1030ELNS1_3gpuE2ELNS1_3repE0EEENS1_30default_config_static_selectorELNS0_4arch9wavefront6targetE0EEEvSY_
	.p2align	8
	.type	_ZN7rocprim17ROCPRIM_400000_NS6detail17trampoline_kernelINS0_13select_configILj256ELj13ELNS0_17block_load_methodE3ELS4_3ELS4_3ELNS0_20block_scan_algorithmE0ELj4294967295EEENS1_25partition_config_selectorILNS1_17partition_subalgoE3EjNS0_10empty_typeEbEEZZNS1_14partition_implILS8_3ELb0ES6_jNS0_17counting_iteratorIjlEEPS9_SE_NS0_5tupleIJPjSE_EEENSF_IJSE_SE_EEES9_SG_JZNS1_25segmented_radix_sort_implINS0_14default_configELb1EPKfPfPKlPlN2at6native12_GLOBAL__N_18offset_tEEE10hipError_tPvRmT1_PNSt15iterator_traitsISY_E10value_typeET2_T3_PNSZ_IS14_E10value_typeET4_jRbjT5_S1A_jjP12ihipStream_tbEUljE_EEESV_SW_SX_S14_S18_S1A_T6_T7_T9_mT8_S1C_bDpT10_ENKUlT_T0_E_clISt17integral_constantIbLb0EES1P_EEDaS1K_S1L_EUlS1K_E_NS1_11comp_targetILNS1_3genE8ELNS1_11target_archE1030ELNS1_3gpuE2ELNS1_3repE0EEENS1_30default_config_static_selectorELNS0_4arch9wavefront6targetE0EEEvSY_,@function
_ZN7rocprim17ROCPRIM_400000_NS6detail17trampoline_kernelINS0_13select_configILj256ELj13ELNS0_17block_load_methodE3ELS4_3ELS4_3ELNS0_20block_scan_algorithmE0ELj4294967295EEENS1_25partition_config_selectorILNS1_17partition_subalgoE3EjNS0_10empty_typeEbEEZZNS1_14partition_implILS8_3ELb0ES6_jNS0_17counting_iteratorIjlEEPS9_SE_NS0_5tupleIJPjSE_EEENSF_IJSE_SE_EEES9_SG_JZNS1_25segmented_radix_sort_implINS0_14default_configELb1EPKfPfPKlPlN2at6native12_GLOBAL__N_18offset_tEEE10hipError_tPvRmT1_PNSt15iterator_traitsISY_E10value_typeET2_T3_PNSZ_IS14_E10value_typeET4_jRbjT5_S1A_jjP12ihipStream_tbEUljE_EEESV_SW_SX_S14_S18_S1A_T6_T7_T9_mT8_S1C_bDpT10_ENKUlT_T0_E_clISt17integral_constantIbLb0EES1P_EEDaS1K_S1L_EUlS1K_E_NS1_11comp_targetILNS1_3genE8ELNS1_11target_archE1030ELNS1_3gpuE2ELNS1_3repE0EEENS1_30default_config_static_selectorELNS0_4arch9wavefront6targetE0EEEvSY_: ; @_ZN7rocprim17ROCPRIM_400000_NS6detail17trampoline_kernelINS0_13select_configILj256ELj13ELNS0_17block_load_methodE3ELS4_3ELS4_3ELNS0_20block_scan_algorithmE0ELj4294967295EEENS1_25partition_config_selectorILNS1_17partition_subalgoE3EjNS0_10empty_typeEbEEZZNS1_14partition_implILS8_3ELb0ES6_jNS0_17counting_iteratorIjlEEPS9_SE_NS0_5tupleIJPjSE_EEENSF_IJSE_SE_EEES9_SG_JZNS1_25segmented_radix_sort_implINS0_14default_configELb1EPKfPfPKlPlN2at6native12_GLOBAL__N_18offset_tEEE10hipError_tPvRmT1_PNSt15iterator_traitsISY_E10value_typeET2_T3_PNSZ_IS14_E10value_typeET4_jRbjT5_S1A_jjP12ihipStream_tbEUljE_EEESV_SW_SX_S14_S18_S1A_T6_T7_T9_mT8_S1C_bDpT10_ENKUlT_T0_E_clISt17integral_constantIbLb0EES1P_EEDaS1K_S1L_EUlS1K_E_NS1_11comp_targetILNS1_3genE8ELNS1_11target_archE1030ELNS1_3gpuE2ELNS1_3repE0EEENS1_30default_config_static_selectorELNS0_4arch9wavefront6targetE0EEEvSY_
; %bb.0:
	.section	.rodata,"a",@progbits
	.p2align	6, 0x0
	.amdhsa_kernel _ZN7rocprim17ROCPRIM_400000_NS6detail17trampoline_kernelINS0_13select_configILj256ELj13ELNS0_17block_load_methodE3ELS4_3ELS4_3ELNS0_20block_scan_algorithmE0ELj4294967295EEENS1_25partition_config_selectorILNS1_17partition_subalgoE3EjNS0_10empty_typeEbEEZZNS1_14partition_implILS8_3ELb0ES6_jNS0_17counting_iteratorIjlEEPS9_SE_NS0_5tupleIJPjSE_EEENSF_IJSE_SE_EEES9_SG_JZNS1_25segmented_radix_sort_implINS0_14default_configELb1EPKfPfPKlPlN2at6native12_GLOBAL__N_18offset_tEEE10hipError_tPvRmT1_PNSt15iterator_traitsISY_E10value_typeET2_T3_PNSZ_IS14_E10value_typeET4_jRbjT5_S1A_jjP12ihipStream_tbEUljE_EEESV_SW_SX_S14_S18_S1A_T6_T7_T9_mT8_S1C_bDpT10_ENKUlT_T0_E_clISt17integral_constantIbLb0EES1P_EEDaS1K_S1L_EUlS1K_E_NS1_11comp_targetILNS1_3genE8ELNS1_11target_archE1030ELNS1_3gpuE2ELNS1_3repE0EEENS1_30default_config_static_selectorELNS0_4arch9wavefront6targetE0EEEvSY_
		.amdhsa_group_segment_fixed_size 0
		.amdhsa_private_segment_fixed_size 0
		.amdhsa_kernarg_size 144
		.amdhsa_user_sgpr_count 2
		.amdhsa_user_sgpr_dispatch_ptr 0
		.amdhsa_user_sgpr_queue_ptr 0
		.amdhsa_user_sgpr_kernarg_segment_ptr 1
		.amdhsa_user_sgpr_dispatch_id 0
		.amdhsa_user_sgpr_kernarg_preload_length 0
		.amdhsa_user_sgpr_kernarg_preload_offset 0
		.amdhsa_user_sgpr_private_segment_size 0
		.amdhsa_wavefront_size32 1
		.amdhsa_uses_dynamic_stack 0
		.amdhsa_enable_private_segment 0
		.amdhsa_system_sgpr_workgroup_id_x 1
		.amdhsa_system_sgpr_workgroup_id_y 0
		.amdhsa_system_sgpr_workgroup_id_z 0
		.amdhsa_system_sgpr_workgroup_info 0
		.amdhsa_system_vgpr_workitem_id 0
		.amdhsa_next_free_vgpr 1
		.amdhsa_next_free_sgpr 1
		.amdhsa_named_barrier_count 0
		.amdhsa_reserve_vcc 0
		.amdhsa_float_round_mode_32 0
		.amdhsa_float_round_mode_16_64 0
		.amdhsa_float_denorm_mode_32 3
		.amdhsa_float_denorm_mode_16_64 3
		.amdhsa_fp16_overflow 0
		.amdhsa_memory_ordered 1
		.amdhsa_forward_progress 1
		.amdhsa_inst_pref_size 0
		.amdhsa_round_robin_scheduling 0
		.amdhsa_exception_fp_ieee_invalid_op 0
		.amdhsa_exception_fp_denorm_src 0
		.amdhsa_exception_fp_ieee_div_zero 0
		.amdhsa_exception_fp_ieee_overflow 0
		.amdhsa_exception_fp_ieee_underflow 0
		.amdhsa_exception_fp_ieee_inexact 0
		.amdhsa_exception_int_div_zero 0
	.end_amdhsa_kernel
	.section	.text._ZN7rocprim17ROCPRIM_400000_NS6detail17trampoline_kernelINS0_13select_configILj256ELj13ELNS0_17block_load_methodE3ELS4_3ELS4_3ELNS0_20block_scan_algorithmE0ELj4294967295EEENS1_25partition_config_selectorILNS1_17partition_subalgoE3EjNS0_10empty_typeEbEEZZNS1_14partition_implILS8_3ELb0ES6_jNS0_17counting_iteratorIjlEEPS9_SE_NS0_5tupleIJPjSE_EEENSF_IJSE_SE_EEES9_SG_JZNS1_25segmented_radix_sort_implINS0_14default_configELb1EPKfPfPKlPlN2at6native12_GLOBAL__N_18offset_tEEE10hipError_tPvRmT1_PNSt15iterator_traitsISY_E10value_typeET2_T3_PNSZ_IS14_E10value_typeET4_jRbjT5_S1A_jjP12ihipStream_tbEUljE_EEESV_SW_SX_S14_S18_S1A_T6_T7_T9_mT8_S1C_bDpT10_ENKUlT_T0_E_clISt17integral_constantIbLb0EES1P_EEDaS1K_S1L_EUlS1K_E_NS1_11comp_targetILNS1_3genE8ELNS1_11target_archE1030ELNS1_3gpuE2ELNS1_3repE0EEENS1_30default_config_static_selectorELNS0_4arch9wavefront6targetE0EEEvSY_,"axG",@progbits,_ZN7rocprim17ROCPRIM_400000_NS6detail17trampoline_kernelINS0_13select_configILj256ELj13ELNS0_17block_load_methodE3ELS4_3ELS4_3ELNS0_20block_scan_algorithmE0ELj4294967295EEENS1_25partition_config_selectorILNS1_17partition_subalgoE3EjNS0_10empty_typeEbEEZZNS1_14partition_implILS8_3ELb0ES6_jNS0_17counting_iteratorIjlEEPS9_SE_NS0_5tupleIJPjSE_EEENSF_IJSE_SE_EEES9_SG_JZNS1_25segmented_radix_sort_implINS0_14default_configELb1EPKfPfPKlPlN2at6native12_GLOBAL__N_18offset_tEEE10hipError_tPvRmT1_PNSt15iterator_traitsISY_E10value_typeET2_T3_PNSZ_IS14_E10value_typeET4_jRbjT5_S1A_jjP12ihipStream_tbEUljE_EEESV_SW_SX_S14_S18_S1A_T6_T7_T9_mT8_S1C_bDpT10_ENKUlT_T0_E_clISt17integral_constantIbLb0EES1P_EEDaS1K_S1L_EUlS1K_E_NS1_11comp_targetILNS1_3genE8ELNS1_11target_archE1030ELNS1_3gpuE2ELNS1_3repE0EEENS1_30default_config_static_selectorELNS0_4arch9wavefront6targetE0EEEvSY_,comdat
.Lfunc_end1294:
	.size	_ZN7rocprim17ROCPRIM_400000_NS6detail17trampoline_kernelINS0_13select_configILj256ELj13ELNS0_17block_load_methodE3ELS4_3ELS4_3ELNS0_20block_scan_algorithmE0ELj4294967295EEENS1_25partition_config_selectorILNS1_17partition_subalgoE3EjNS0_10empty_typeEbEEZZNS1_14partition_implILS8_3ELb0ES6_jNS0_17counting_iteratorIjlEEPS9_SE_NS0_5tupleIJPjSE_EEENSF_IJSE_SE_EEES9_SG_JZNS1_25segmented_radix_sort_implINS0_14default_configELb1EPKfPfPKlPlN2at6native12_GLOBAL__N_18offset_tEEE10hipError_tPvRmT1_PNSt15iterator_traitsISY_E10value_typeET2_T3_PNSZ_IS14_E10value_typeET4_jRbjT5_S1A_jjP12ihipStream_tbEUljE_EEESV_SW_SX_S14_S18_S1A_T6_T7_T9_mT8_S1C_bDpT10_ENKUlT_T0_E_clISt17integral_constantIbLb0EES1P_EEDaS1K_S1L_EUlS1K_E_NS1_11comp_targetILNS1_3genE8ELNS1_11target_archE1030ELNS1_3gpuE2ELNS1_3repE0EEENS1_30default_config_static_selectorELNS0_4arch9wavefront6targetE0EEEvSY_, .Lfunc_end1294-_ZN7rocprim17ROCPRIM_400000_NS6detail17trampoline_kernelINS0_13select_configILj256ELj13ELNS0_17block_load_methodE3ELS4_3ELS4_3ELNS0_20block_scan_algorithmE0ELj4294967295EEENS1_25partition_config_selectorILNS1_17partition_subalgoE3EjNS0_10empty_typeEbEEZZNS1_14partition_implILS8_3ELb0ES6_jNS0_17counting_iteratorIjlEEPS9_SE_NS0_5tupleIJPjSE_EEENSF_IJSE_SE_EEES9_SG_JZNS1_25segmented_radix_sort_implINS0_14default_configELb1EPKfPfPKlPlN2at6native12_GLOBAL__N_18offset_tEEE10hipError_tPvRmT1_PNSt15iterator_traitsISY_E10value_typeET2_T3_PNSZ_IS14_E10value_typeET4_jRbjT5_S1A_jjP12ihipStream_tbEUljE_EEESV_SW_SX_S14_S18_S1A_T6_T7_T9_mT8_S1C_bDpT10_ENKUlT_T0_E_clISt17integral_constantIbLb0EES1P_EEDaS1K_S1L_EUlS1K_E_NS1_11comp_targetILNS1_3genE8ELNS1_11target_archE1030ELNS1_3gpuE2ELNS1_3repE0EEENS1_30default_config_static_selectorELNS0_4arch9wavefront6targetE0EEEvSY_
                                        ; -- End function
	.set _ZN7rocprim17ROCPRIM_400000_NS6detail17trampoline_kernelINS0_13select_configILj256ELj13ELNS0_17block_load_methodE3ELS4_3ELS4_3ELNS0_20block_scan_algorithmE0ELj4294967295EEENS1_25partition_config_selectorILNS1_17partition_subalgoE3EjNS0_10empty_typeEbEEZZNS1_14partition_implILS8_3ELb0ES6_jNS0_17counting_iteratorIjlEEPS9_SE_NS0_5tupleIJPjSE_EEENSF_IJSE_SE_EEES9_SG_JZNS1_25segmented_radix_sort_implINS0_14default_configELb1EPKfPfPKlPlN2at6native12_GLOBAL__N_18offset_tEEE10hipError_tPvRmT1_PNSt15iterator_traitsISY_E10value_typeET2_T3_PNSZ_IS14_E10value_typeET4_jRbjT5_S1A_jjP12ihipStream_tbEUljE_EEESV_SW_SX_S14_S18_S1A_T6_T7_T9_mT8_S1C_bDpT10_ENKUlT_T0_E_clISt17integral_constantIbLb0EES1P_EEDaS1K_S1L_EUlS1K_E_NS1_11comp_targetILNS1_3genE8ELNS1_11target_archE1030ELNS1_3gpuE2ELNS1_3repE0EEENS1_30default_config_static_selectorELNS0_4arch9wavefront6targetE0EEEvSY_.num_vgpr, 0
	.set _ZN7rocprim17ROCPRIM_400000_NS6detail17trampoline_kernelINS0_13select_configILj256ELj13ELNS0_17block_load_methodE3ELS4_3ELS4_3ELNS0_20block_scan_algorithmE0ELj4294967295EEENS1_25partition_config_selectorILNS1_17partition_subalgoE3EjNS0_10empty_typeEbEEZZNS1_14partition_implILS8_3ELb0ES6_jNS0_17counting_iteratorIjlEEPS9_SE_NS0_5tupleIJPjSE_EEENSF_IJSE_SE_EEES9_SG_JZNS1_25segmented_radix_sort_implINS0_14default_configELb1EPKfPfPKlPlN2at6native12_GLOBAL__N_18offset_tEEE10hipError_tPvRmT1_PNSt15iterator_traitsISY_E10value_typeET2_T3_PNSZ_IS14_E10value_typeET4_jRbjT5_S1A_jjP12ihipStream_tbEUljE_EEESV_SW_SX_S14_S18_S1A_T6_T7_T9_mT8_S1C_bDpT10_ENKUlT_T0_E_clISt17integral_constantIbLb0EES1P_EEDaS1K_S1L_EUlS1K_E_NS1_11comp_targetILNS1_3genE8ELNS1_11target_archE1030ELNS1_3gpuE2ELNS1_3repE0EEENS1_30default_config_static_selectorELNS0_4arch9wavefront6targetE0EEEvSY_.num_agpr, 0
	.set _ZN7rocprim17ROCPRIM_400000_NS6detail17trampoline_kernelINS0_13select_configILj256ELj13ELNS0_17block_load_methodE3ELS4_3ELS4_3ELNS0_20block_scan_algorithmE0ELj4294967295EEENS1_25partition_config_selectorILNS1_17partition_subalgoE3EjNS0_10empty_typeEbEEZZNS1_14partition_implILS8_3ELb0ES6_jNS0_17counting_iteratorIjlEEPS9_SE_NS0_5tupleIJPjSE_EEENSF_IJSE_SE_EEES9_SG_JZNS1_25segmented_radix_sort_implINS0_14default_configELb1EPKfPfPKlPlN2at6native12_GLOBAL__N_18offset_tEEE10hipError_tPvRmT1_PNSt15iterator_traitsISY_E10value_typeET2_T3_PNSZ_IS14_E10value_typeET4_jRbjT5_S1A_jjP12ihipStream_tbEUljE_EEESV_SW_SX_S14_S18_S1A_T6_T7_T9_mT8_S1C_bDpT10_ENKUlT_T0_E_clISt17integral_constantIbLb0EES1P_EEDaS1K_S1L_EUlS1K_E_NS1_11comp_targetILNS1_3genE8ELNS1_11target_archE1030ELNS1_3gpuE2ELNS1_3repE0EEENS1_30default_config_static_selectorELNS0_4arch9wavefront6targetE0EEEvSY_.numbered_sgpr, 0
	.set _ZN7rocprim17ROCPRIM_400000_NS6detail17trampoline_kernelINS0_13select_configILj256ELj13ELNS0_17block_load_methodE3ELS4_3ELS4_3ELNS0_20block_scan_algorithmE0ELj4294967295EEENS1_25partition_config_selectorILNS1_17partition_subalgoE3EjNS0_10empty_typeEbEEZZNS1_14partition_implILS8_3ELb0ES6_jNS0_17counting_iteratorIjlEEPS9_SE_NS0_5tupleIJPjSE_EEENSF_IJSE_SE_EEES9_SG_JZNS1_25segmented_radix_sort_implINS0_14default_configELb1EPKfPfPKlPlN2at6native12_GLOBAL__N_18offset_tEEE10hipError_tPvRmT1_PNSt15iterator_traitsISY_E10value_typeET2_T3_PNSZ_IS14_E10value_typeET4_jRbjT5_S1A_jjP12ihipStream_tbEUljE_EEESV_SW_SX_S14_S18_S1A_T6_T7_T9_mT8_S1C_bDpT10_ENKUlT_T0_E_clISt17integral_constantIbLb0EES1P_EEDaS1K_S1L_EUlS1K_E_NS1_11comp_targetILNS1_3genE8ELNS1_11target_archE1030ELNS1_3gpuE2ELNS1_3repE0EEENS1_30default_config_static_selectorELNS0_4arch9wavefront6targetE0EEEvSY_.num_named_barrier, 0
	.set _ZN7rocprim17ROCPRIM_400000_NS6detail17trampoline_kernelINS0_13select_configILj256ELj13ELNS0_17block_load_methodE3ELS4_3ELS4_3ELNS0_20block_scan_algorithmE0ELj4294967295EEENS1_25partition_config_selectorILNS1_17partition_subalgoE3EjNS0_10empty_typeEbEEZZNS1_14partition_implILS8_3ELb0ES6_jNS0_17counting_iteratorIjlEEPS9_SE_NS0_5tupleIJPjSE_EEENSF_IJSE_SE_EEES9_SG_JZNS1_25segmented_radix_sort_implINS0_14default_configELb1EPKfPfPKlPlN2at6native12_GLOBAL__N_18offset_tEEE10hipError_tPvRmT1_PNSt15iterator_traitsISY_E10value_typeET2_T3_PNSZ_IS14_E10value_typeET4_jRbjT5_S1A_jjP12ihipStream_tbEUljE_EEESV_SW_SX_S14_S18_S1A_T6_T7_T9_mT8_S1C_bDpT10_ENKUlT_T0_E_clISt17integral_constantIbLb0EES1P_EEDaS1K_S1L_EUlS1K_E_NS1_11comp_targetILNS1_3genE8ELNS1_11target_archE1030ELNS1_3gpuE2ELNS1_3repE0EEENS1_30default_config_static_selectorELNS0_4arch9wavefront6targetE0EEEvSY_.private_seg_size, 0
	.set _ZN7rocprim17ROCPRIM_400000_NS6detail17trampoline_kernelINS0_13select_configILj256ELj13ELNS0_17block_load_methodE3ELS4_3ELS4_3ELNS0_20block_scan_algorithmE0ELj4294967295EEENS1_25partition_config_selectorILNS1_17partition_subalgoE3EjNS0_10empty_typeEbEEZZNS1_14partition_implILS8_3ELb0ES6_jNS0_17counting_iteratorIjlEEPS9_SE_NS0_5tupleIJPjSE_EEENSF_IJSE_SE_EEES9_SG_JZNS1_25segmented_radix_sort_implINS0_14default_configELb1EPKfPfPKlPlN2at6native12_GLOBAL__N_18offset_tEEE10hipError_tPvRmT1_PNSt15iterator_traitsISY_E10value_typeET2_T3_PNSZ_IS14_E10value_typeET4_jRbjT5_S1A_jjP12ihipStream_tbEUljE_EEESV_SW_SX_S14_S18_S1A_T6_T7_T9_mT8_S1C_bDpT10_ENKUlT_T0_E_clISt17integral_constantIbLb0EES1P_EEDaS1K_S1L_EUlS1K_E_NS1_11comp_targetILNS1_3genE8ELNS1_11target_archE1030ELNS1_3gpuE2ELNS1_3repE0EEENS1_30default_config_static_selectorELNS0_4arch9wavefront6targetE0EEEvSY_.uses_vcc, 0
	.set _ZN7rocprim17ROCPRIM_400000_NS6detail17trampoline_kernelINS0_13select_configILj256ELj13ELNS0_17block_load_methodE3ELS4_3ELS4_3ELNS0_20block_scan_algorithmE0ELj4294967295EEENS1_25partition_config_selectorILNS1_17partition_subalgoE3EjNS0_10empty_typeEbEEZZNS1_14partition_implILS8_3ELb0ES6_jNS0_17counting_iteratorIjlEEPS9_SE_NS0_5tupleIJPjSE_EEENSF_IJSE_SE_EEES9_SG_JZNS1_25segmented_radix_sort_implINS0_14default_configELb1EPKfPfPKlPlN2at6native12_GLOBAL__N_18offset_tEEE10hipError_tPvRmT1_PNSt15iterator_traitsISY_E10value_typeET2_T3_PNSZ_IS14_E10value_typeET4_jRbjT5_S1A_jjP12ihipStream_tbEUljE_EEESV_SW_SX_S14_S18_S1A_T6_T7_T9_mT8_S1C_bDpT10_ENKUlT_T0_E_clISt17integral_constantIbLb0EES1P_EEDaS1K_S1L_EUlS1K_E_NS1_11comp_targetILNS1_3genE8ELNS1_11target_archE1030ELNS1_3gpuE2ELNS1_3repE0EEENS1_30default_config_static_selectorELNS0_4arch9wavefront6targetE0EEEvSY_.uses_flat_scratch, 0
	.set _ZN7rocprim17ROCPRIM_400000_NS6detail17trampoline_kernelINS0_13select_configILj256ELj13ELNS0_17block_load_methodE3ELS4_3ELS4_3ELNS0_20block_scan_algorithmE0ELj4294967295EEENS1_25partition_config_selectorILNS1_17partition_subalgoE3EjNS0_10empty_typeEbEEZZNS1_14partition_implILS8_3ELb0ES6_jNS0_17counting_iteratorIjlEEPS9_SE_NS0_5tupleIJPjSE_EEENSF_IJSE_SE_EEES9_SG_JZNS1_25segmented_radix_sort_implINS0_14default_configELb1EPKfPfPKlPlN2at6native12_GLOBAL__N_18offset_tEEE10hipError_tPvRmT1_PNSt15iterator_traitsISY_E10value_typeET2_T3_PNSZ_IS14_E10value_typeET4_jRbjT5_S1A_jjP12ihipStream_tbEUljE_EEESV_SW_SX_S14_S18_S1A_T6_T7_T9_mT8_S1C_bDpT10_ENKUlT_T0_E_clISt17integral_constantIbLb0EES1P_EEDaS1K_S1L_EUlS1K_E_NS1_11comp_targetILNS1_3genE8ELNS1_11target_archE1030ELNS1_3gpuE2ELNS1_3repE0EEENS1_30default_config_static_selectorELNS0_4arch9wavefront6targetE0EEEvSY_.has_dyn_sized_stack, 0
	.set _ZN7rocprim17ROCPRIM_400000_NS6detail17trampoline_kernelINS0_13select_configILj256ELj13ELNS0_17block_load_methodE3ELS4_3ELS4_3ELNS0_20block_scan_algorithmE0ELj4294967295EEENS1_25partition_config_selectorILNS1_17partition_subalgoE3EjNS0_10empty_typeEbEEZZNS1_14partition_implILS8_3ELb0ES6_jNS0_17counting_iteratorIjlEEPS9_SE_NS0_5tupleIJPjSE_EEENSF_IJSE_SE_EEES9_SG_JZNS1_25segmented_radix_sort_implINS0_14default_configELb1EPKfPfPKlPlN2at6native12_GLOBAL__N_18offset_tEEE10hipError_tPvRmT1_PNSt15iterator_traitsISY_E10value_typeET2_T3_PNSZ_IS14_E10value_typeET4_jRbjT5_S1A_jjP12ihipStream_tbEUljE_EEESV_SW_SX_S14_S18_S1A_T6_T7_T9_mT8_S1C_bDpT10_ENKUlT_T0_E_clISt17integral_constantIbLb0EES1P_EEDaS1K_S1L_EUlS1K_E_NS1_11comp_targetILNS1_3genE8ELNS1_11target_archE1030ELNS1_3gpuE2ELNS1_3repE0EEENS1_30default_config_static_selectorELNS0_4arch9wavefront6targetE0EEEvSY_.has_recursion, 0
	.set _ZN7rocprim17ROCPRIM_400000_NS6detail17trampoline_kernelINS0_13select_configILj256ELj13ELNS0_17block_load_methodE3ELS4_3ELS4_3ELNS0_20block_scan_algorithmE0ELj4294967295EEENS1_25partition_config_selectorILNS1_17partition_subalgoE3EjNS0_10empty_typeEbEEZZNS1_14partition_implILS8_3ELb0ES6_jNS0_17counting_iteratorIjlEEPS9_SE_NS0_5tupleIJPjSE_EEENSF_IJSE_SE_EEES9_SG_JZNS1_25segmented_radix_sort_implINS0_14default_configELb1EPKfPfPKlPlN2at6native12_GLOBAL__N_18offset_tEEE10hipError_tPvRmT1_PNSt15iterator_traitsISY_E10value_typeET2_T3_PNSZ_IS14_E10value_typeET4_jRbjT5_S1A_jjP12ihipStream_tbEUljE_EEESV_SW_SX_S14_S18_S1A_T6_T7_T9_mT8_S1C_bDpT10_ENKUlT_T0_E_clISt17integral_constantIbLb0EES1P_EEDaS1K_S1L_EUlS1K_E_NS1_11comp_targetILNS1_3genE8ELNS1_11target_archE1030ELNS1_3gpuE2ELNS1_3repE0EEENS1_30default_config_static_selectorELNS0_4arch9wavefront6targetE0EEEvSY_.has_indirect_call, 0
	.section	.AMDGPU.csdata,"",@progbits
; Kernel info:
; codeLenInByte = 0
; TotalNumSgprs: 0
; NumVgprs: 0
; ScratchSize: 0
; MemoryBound: 0
; FloatMode: 240
; IeeeMode: 1
; LDSByteSize: 0 bytes/workgroup (compile time only)
; SGPRBlocks: 0
; VGPRBlocks: 0
; NumSGPRsForWavesPerEU: 1
; NumVGPRsForWavesPerEU: 1
; NamedBarCnt: 0
; Occupancy: 16
; WaveLimiterHint : 0
; COMPUTE_PGM_RSRC2:SCRATCH_EN: 0
; COMPUTE_PGM_RSRC2:USER_SGPR: 2
; COMPUTE_PGM_RSRC2:TRAP_HANDLER: 0
; COMPUTE_PGM_RSRC2:TGID_X_EN: 1
; COMPUTE_PGM_RSRC2:TGID_Y_EN: 0
; COMPUTE_PGM_RSRC2:TGID_Z_EN: 0
; COMPUTE_PGM_RSRC2:TIDIG_COMP_CNT: 0
	.section	.text._ZN7rocprim17ROCPRIM_400000_NS6detail17trampoline_kernelINS0_13select_configILj256ELj13ELNS0_17block_load_methodE3ELS4_3ELS4_3ELNS0_20block_scan_algorithmE0ELj4294967295EEENS1_25partition_config_selectorILNS1_17partition_subalgoE3EjNS0_10empty_typeEbEEZZNS1_14partition_implILS8_3ELb0ES6_jNS0_17counting_iteratorIjlEEPS9_SE_NS0_5tupleIJPjSE_EEENSF_IJSE_SE_EEES9_SG_JZNS1_25segmented_radix_sort_implINS0_14default_configELb1EPKfPfPKlPlN2at6native12_GLOBAL__N_18offset_tEEE10hipError_tPvRmT1_PNSt15iterator_traitsISY_E10value_typeET2_T3_PNSZ_IS14_E10value_typeET4_jRbjT5_S1A_jjP12ihipStream_tbEUljE_EEESV_SW_SX_S14_S18_S1A_T6_T7_T9_mT8_S1C_bDpT10_ENKUlT_T0_E_clISt17integral_constantIbLb1EES1P_EEDaS1K_S1L_EUlS1K_E_NS1_11comp_targetILNS1_3genE0ELNS1_11target_archE4294967295ELNS1_3gpuE0ELNS1_3repE0EEENS1_30default_config_static_selectorELNS0_4arch9wavefront6targetE0EEEvSY_,"axG",@progbits,_ZN7rocprim17ROCPRIM_400000_NS6detail17trampoline_kernelINS0_13select_configILj256ELj13ELNS0_17block_load_methodE3ELS4_3ELS4_3ELNS0_20block_scan_algorithmE0ELj4294967295EEENS1_25partition_config_selectorILNS1_17partition_subalgoE3EjNS0_10empty_typeEbEEZZNS1_14partition_implILS8_3ELb0ES6_jNS0_17counting_iteratorIjlEEPS9_SE_NS0_5tupleIJPjSE_EEENSF_IJSE_SE_EEES9_SG_JZNS1_25segmented_radix_sort_implINS0_14default_configELb1EPKfPfPKlPlN2at6native12_GLOBAL__N_18offset_tEEE10hipError_tPvRmT1_PNSt15iterator_traitsISY_E10value_typeET2_T3_PNSZ_IS14_E10value_typeET4_jRbjT5_S1A_jjP12ihipStream_tbEUljE_EEESV_SW_SX_S14_S18_S1A_T6_T7_T9_mT8_S1C_bDpT10_ENKUlT_T0_E_clISt17integral_constantIbLb1EES1P_EEDaS1K_S1L_EUlS1K_E_NS1_11comp_targetILNS1_3genE0ELNS1_11target_archE4294967295ELNS1_3gpuE0ELNS1_3repE0EEENS1_30default_config_static_selectorELNS0_4arch9wavefront6targetE0EEEvSY_,comdat
	.globl	_ZN7rocprim17ROCPRIM_400000_NS6detail17trampoline_kernelINS0_13select_configILj256ELj13ELNS0_17block_load_methodE3ELS4_3ELS4_3ELNS0_20block_scan_algorithmE0ELj4294967295EEENS1_25partition_config_selectorILNS1_17partition_subalgoE3EjNS0_10empty_typeEbEEZZNS1_14partition_implILS8_3ELb0ES6_jNS0_17counting_iteratorIjlEEPS9_SE_NS0_5tupleIJPjSE_EEENSF_IJSE_SE_EEES9_SG_JZNS1_25segmented_radix_sort_implINS0_14default_configELb1EPKfPfPKlPlN2at6native12_GLOBAL__N_18offset_tEEE10hipError_tPvRmT1_PNSt15iterator_traitsISY_E10value_typeET2_T3_PNSZ_IS14_E10value_typeET4_jRbjT5_S1A_jjP12ihipStream_tbEUljE_EEESV_SW_SX_S14_S18_S1A_T6_T7_T9_mT8_S1C_bDpT10_ENKUlT_T0_E_clISt17integral_constantIbLb1EES1P_EEDaS1K_S1L_EUlS1K_E_NS1_11comp_targetILNS1_3genE0ELNS1_11target_archE4294967295ELNS1_3gpuE0ELNS1_3repE0EEENS1_30default_config_static_selectorELNS0_4arch9wavefront6targetE0EEEvSY_ ; -- Begin function _ZN7rocprim17ROCPRIM_400000_NS6detail17trampoline_kernelINS0_13select_configILj256ELj13ELNS0_17block_load_methodE3ELS4_3ELS4_3ELNS0_20block_scan_algorithmE0ELj4294967295EEENS1_25partition_config_selectorILNS1_17partition_subalgoE3EjNS0_10empty_typeEbEEZZNS1_14partition_implILS8_3ELb0ES6_jNS0_17counting_iteratorIjlEEPS9_SE_NS0_5tupleIJPjSE_EEENSF_IJSE_SE_EEES9_SG_JZNS1_25segmented_radix_sort_implINS0_14default_configELb1EPKfPfPKlPlN2at6native12_GLOBAL__N_18offset_tEEE10hipError_tPvRmT1_PNSt15iterator_traitsISY_E10value_typeET2_T3_PNSZ_IS14_E10value_typeET4_jRbjT5_S1A_jjP12ihipStream_tbEUljE_EEESV_SW_SX_S14_S18_S1A_T6_T7_T9_mT8_S1C_bDpT10_ENKUlT_T0_E_clISt17integral_constantIbLb1EES1P_EEDaS1K_S1L_EUlS1K_E_NS1_11comp_targetILNS1_3genE0ELNS1_11target_archE4294967295ELNS1_3gpuE0ELNS1_3repE0EEENS1_30default_config_static_selectorELNS0_4arch9wavefront6targetE0EEEvSY_
	.p2align	8
	.type	_ZN7rocprim17ROCPRIM_400000_NS6detail17trampoline_kernelINS0_13select_configILj256ELj13ELNS0_17block_load_methodE3ELS4_3ELS4_3ELNS0_20block_scan_algorithmE0ELj4294967295EEENS1_25partition_config_selectorILNS1_17partition_subalgoE3EjNS0_10empty_typeEbEEZZNS1_14partition_implILS8_3ELb0ES6_jNS0_17counting_iteratorIjlEEPS9_SE_NS0_5tupleIJPjSE_EEENSF_IJSE_SE_EEES9_SG_JZNS1_25segmented_radix_sort_implINS0_14default_configELb1EPKfPfPKlPlN2at6native12_GLOBAL__N_18offset_tEEE10hipError_tPvRmT1_PNSt15iterator_traitsISY_E10value_typeET2_T3_PNSZ_IS14_E10value_typeET4_jRbjT5_S1A_jjP12ihipStream_tbEUljE_EEESV_SW_SX_S14_S18_S1A_T6_T7_T9_mT8_S1C_bDpT10_ENKUlT_T0_E_clISt17integral_constantIbLb1EES1P_EEDaS1K_S1L_EUlS1K_E_NS1_11comp_targetILNS1_3genE0ELNS1_11target_archE4294967295ELNS1_3gpuE0ELNS1_3repE0EEENS1_30default_config_static_selectorELNS0_4arch9wavefront6targetE0EEEvSY_,@function
_ZN7rocprim17ROCPRIM_400000_NS6detail17trampoline_kernelINS0_13select_configILj256ELj13ELNS0_17block_load_methodE3ELS4_3ELS4_3ELNS0_20block_scan_algorithmE0ELj4294967295EEENS1_25partition_config_selectorILNS1_17partition_subalgoE3EjNS0_10empty_typeEbEEZZNS1_14partition_implILS8_3ELb0ES6_jNS0_17counting_iteratorIjlEEPS9_SE_NS0_5tupleIJPjSE_EEENSF_IJSE_SE_EEES9_SG_JZNS1_25segmented_radix_sort_implINS0_14default_configELb1EPKfPfPKlPlN2at6native12_GLOBAL__N_18offset_tEEE10hipError_tPvRmT1_PNSt15iterator_traitsISY_E10value_typeET2_T3_PNSZ_IS14_E10value_typeET4_jRbjT5_S1A_jjP12ihipStream_tbEUljE_EEESV_SW_SX_S14_S18_S1A_T6_T7_T9_mT8_S1C_bDpT10_ENKUlT_T0_E_clISt17integral_constantIbLb1EES1P_EEDaS1K_S1L_EUlS1K_E_NS1_11comp_targetILNS1_3genE0ELNS1_11target_archE4294967295ELNS1_3gpuE0ELNS1_3repE0EEENS1_30default_config_static_selectorELNS0_4arch9wavefront6targetE0EEEvSY_: ; @_ZN7rocprim17ROCPRIM_400000_NS6detail17trampoline_kernelINS0_13select_configILj256ELj13ELNS0_17block_load_methodE3ELS4_3ELS4_3ELNS0_20block_scan_algorithmE0ELj4294967295EEENS1_25partition_config_selectorILNS1_17partition_subalgoE3EjNS0_10empty_typeEbEEZZNS1_14partition_implILS8_3ELb0ES6_jNS0_17counting_iteratorIjlEEPS9_SE_NS0_5tupleIJPjSE_EEENSF_IJSE_SE_EEES9_SG_JZNS1_25segmented_radix_sort_implINS0_14default_configELb1EPKfPfPKlPlN2at6native12_GLOBAL__N_18offset_tEEE10hipError_tPvRmT1_PNSt15iterator_traitsISY_E10value_typeET2_T3_PNSZ_IS14_E10value_typeET4_jRbjT5_S1A_jjP12ihipStream_tbEUljE_EEESV_SW_SX_S14_S18_S1A_T6_T7_T9_mT8_S1C_bDpT10_ENKUlT_T0_E_clISt17integral_constantIbLb1EES1P_EEDaS1K_S1L_EUlS1K_E_NS1_11comp_targetILNS1_3genE0ELNS1_11target_archE4294967295ELNS1_3gpuE0ELNS1_3repE0EEENS1_30default_config_static_selectorELNS0_4arch9wavefront6targetE0EEEvSY_
; %bb.0:
	s_endpgm
	.section	.rodata,"a",@progbits
	.p2align	6, 0x0
	.amdhsa_kernel _ZN7rocprim17ROCPRIM_400000_NS6detail17trampoline_kernelINS0_13select_configILj256ELj13ELNS0_17block_load_methodE3ELS4_3ELS4_3ELNS0_20block_scan_algorithmE0ELj4294967295EEENS1_25partition_config_selectorILNS1_17partition_subalgoE3EjNS0_10empty_typeEbEEZZNS1_14partition_implILS8_3ELb0ES6_jNS0_17counting_iteratorIjlEEPS9_SE_NS0_5tupleIJPjSE_EEENSF_IJSE_SE_EEES9_SG_JZNS1_25segmented_radix_sort_implINS0_14default_configELb1EPKfPfPKlPlN2at6native12_GLOBAL__N_18offset_tEEE10hipError_tPvRmT1_PNSt15iterator_traitsISY_E10value_typeET2_T3_PNSZ_IS14_E10value_typeET4_jRbjT5_S1A_jjP12ihipStream_tbEUljE_EEESV_SW_SX_S14_S18_S1A_T6_T7_T9_mT8_S1C_bDpT10_ENKUlT_T0_E_clISt17integral_constantIbLb1EES1P_EEDaS1K_S1L_EUlS1K_E_NS1_11comp_targetILNS1_3genE0ELNS1_11target_archE4294967295ELNS1_3gpuE0ELNS1_3repE0EEENS1_30default_config_static_selectorELNS0_4arch9wavefront6targetE0EEEvSY_
		.amdhsa_group_segment_fixed_size 0
		.amdhsa_private_segment_fixed_size 0
		.amdhsa_kernarg_size 152
		.amdhsa_user_sgpr_count 2
		.amdhsa_user_sgpr_dispatch_ptr 0
		.amdhsa_user_sgpr_queue_ptr 0
		.amdhsa_user_sgpr_kernarg_segment_ptr 1
		.amdhsa_user_sgpr_dispatch_id 0
		.amdhsa_user_sgpr_kernarg_preload_length 0
		.amdhsa_user_sgpr_kernarg_preload_offset 0
		.amdhsa_user_sgpr_private_segment_size 0
		.amdhsa_wavefront_size32 1
		.amdhsa_uses_dynamic_stack 0
		.amdhsa_enable_private_segment 0
		.amdhsa_system_sgpr_workgroup_id_x 1
		.amdhsa_system_sgpr_workgroup_id_y 0
		.amdhsa_system_sgpr_workgroup_id_z 0
		.amdhsa_system_sgpr_workgroup_info 0
		.amdhsa_system_vgpr_workitem_id 0
		.amdhsa_next_free_vgpr 1
		.amdhsa_next_free_sgpr 1
		.amdhsa_named_barrier_count 0
		.amdhsa_reserve_vcc 0
		.amdhsa_float_round_mode_32 0
		.amdhsa_float_round_mode_16_64 0
		.amdhsa_float_denorm_mode_32 3
		.amdhsa_float_denorm_mode_16_64 3
		.amdhsa_fp16_overflow 0
		.amdhsa_memory_ordered 1
		.amdhsa_forward_progress 1
		.amdhsa_inst_pref_size 1
		.amdhsa_round_robin_scheduling 0
		.amdhsa_exception_fp_ieee_invalid_op 0
		.amdhsa_exception_fp_denorm_src 0
		.amdhsa_exception_fp_ieee_div_zero 0
		.amdhsa_exception_fp_ieee_overflow 0
		.amdhsa_exception_fp_ieee_underflow 0
		.amdhsa_exception_fp_ieee_inexact 0
		.amdhsa_exception_int_div_zero 0
	.end_amdhsa_kernel
	.section	.text._ZN7rocprim17ROCPRIM_400000_NS6detail17trampoline_kernelINS0_13select_configILj256ELj13ELNS0_17block_load_methodE3ELS4_3ELS4_3ELNS0_20block_scan_algorithmE0ELj4294967295EEENS1_25partition_config_selectorILNS1_17partition_subalgoE3EjNS0_10empty_typeEbEEZZNS1_14partition_implILS8_3ELb0ES6_jNS0_17counting_iteratorIjlEEPS9_SE_NS0_5tupleIJPjSE_EEENSF_IJSE_SE_EEES9_SG_JZNS1_25segmented_radix_sort_implINS0_14default_configELb1EPKfPfPKlPlN2at6native12_GLOBAL__N_18offset_tEEE10hipError_tPvRmT1_PNSt15iterator_traitsISY_E10value_typeET2_T3_PNSZ_IS14_E10value_typeET4_jRbjT5_S1A_jjP12ihipStream_tbEUljE_EEESV_SW_SX_S14_S18_S1A_T6_T7_T9_mT8_S1C_bDpT10_ENKUlT_T0_E_clISt17integral_constantIbLb1EES1P_EEDaS1K_S1L_EUlS1K_E_NS1_11comp_targetILNS1_3genE0ELNS1_11target_archE4294967295ELNS1_3gpuE0ELNS1_3repE0EEENS1_30default_config_static_selectorELNS0_4arch9wavefront6targetE0EEEvSY_,"axG",@progbits,_ZN7rocprim17ROCPRIM_400000_NS6detail17trampoline_kernelINS0_13select_configILj256ELj13ELNS0_17block_load_methodE3ELS4_3ELS4_3ELNS0_20block_scan_algorithmE0ELj4294967295EEENS1_25partition_config_selectorILNS1_17partition_subalgoE3EjNS0_10empty_typeEbEEZZNS1_14partition_implILS8_3ELb0ES6_jNS0_17counting_iteratorIjlEEPS9_SE_NS0_5tupleIJPjSE_EEENSF_IJSE_SE_EEES9_SG_JZNS1_25segmented_radix_sort_implINS0_14default_configELb1EPKfPfPKlPlN2at6native12_GLOBAL__N_18offset_tEEE10hipError_tPvRmT1_PNSt15iterator_traitsISY_E10value_typeET2_T3_PNSZ_IS14_E10value_typeET4_jRbjT5_S1A_jjP12ihipStream_tbEUljE_EEESV_SW_SX_S14_S18_S1A_T6_T7_T9_mT8_S1C_bDpT10_ENKUlT_T0_E_clISt17integral_constantIbLb1EES1P_EEDaS1K_S1L_EUlS1K_E_NS1_11comp_targetILNS1_3genE0ELNS1_11target_archE4294967295ELNS1_3gpuE0ELNS1_3repE0EEENS1_30default_config_static_selectorELNS0_4arch9wavefront6targetE0EEEvSY_,comdat
.Lfunc_end1295:
	.size	_ZN7rocprim17ROCPRIM_400000_NS6detail17trampoline_kernelINS0_13select_configILj256ELj13ELNS0_17block_load_methodE3ELS4_3ELS4_3ELNS0_20block_scan_algorithmE0ELj4294967295EEENS1_25partition_config_selectorILNS1_17partition_subalgoE3EjNS0_10empty_typeEbEEZZNS1_14partition_implILS8_3ELb0ES6_jNS0_17counting_iteratorIjlEEPS9_SE_NS0_5tupleIJPjSE_EEENSF_IJSE_SE_EEES9_SG_JZNS1_25segmented_radix_sort_implINS0_14default_configELb1EPKfPfPKlPlN2at6native12_GLOBAL__N_18offset_tEEE10hipError_tPvRmT1_PNSt15iterator_traitsISY_E10value_typeET2_T3_PNSZ_IS14_E10value_typeET4_jRbjT5_S1A_jjP12ihipStream_tbEUljE_EEESV_SW_SX_S14_S18_S1A_T6_T7_T9_mT8_S1C_bDpT10_ENKUlT_T0_E_clISt17integral_constantIbLb1EES1P_EEDaS1K_S1L_EUlS1K_E_NS1_11comp_targetILNS1_3genE0ELNS1_11target_archE4294967295ELNS1_3gpuE0ELNS1_3repE0EEENS1_30default_config_static_selectorELNS0_4arch9wavefront6targetE0EEEvSY_, .Lfunc_end1295-_ZN7rocprim17ROCPRIM_400000_NS6detail17trampoline_kernelINS0_13select_configILj256ELj13ELNS0_17block_load_methodE3ELS4_3ELS4_3ELNS0_20block_scan_algorithmE0ELj4294967295EEENS1_25partition_config_selectorILNS1_17partition_subalgoE3EjNS0_10empty_typeEbEEZZNS1_14partition_implILS8_3ELb0ES6_jNS0_17counting_iteratorIjlEEPS9_SE_NS0_5tupleIJPjSE_EEENSF_IJSE_SE_EEES9_SG_JZNS1_25segmented_radix_sort_implINS0_14default_configELb1EPKfPfPKlPlN2at6native12_GLOBAL__N_18offset_tEEE10hipError_tPvRmT1_PNSt15iterator_traitsISY_E10value_typeET2_T3_PNSZ_IS14_E10value_typeET4_jRbjT5_S1A_jjP12ihipStream_tbEUljE_EEESV_SW_SX_S14_S18_S1A_T6_T7_T9_mT8_S1C_bDpT10_ENKUlT_T0_E_clISt17integral_constantIbLb1EES1P_EEDaS1K_S1L_EUlS1K_E_NS1_11comp_targetILNS1_3genE0ELNS1_11target_archE4294967295ELNS1_3gpuE0ELNS1_3repE0EEENS1_30default_config_static_selectorELNS0_4arch9wavefront6targetE0EEEvSY_
                                        ; -- End function
	.set _ZN7rocprim17ROCPRIM_400000_NS6detail17trampoline_kernelINS0_13select_configILj256ELj13ELNS0_17block_load_methodE3ELS4_3ELS4_3ELNS0_20block_scan_algorithmE0ELj4294967295EEENS1_25partition_config_selectorILNS1_17partition_subalgoE3EjNS0_10empty_typeEbEEZZNS1_14partition_implILS8_3ELb0ES6_jNS0_17counting_iteratorIjlEEPS9_SE_NS0_5tupleIJPjSE_EEENSF_IJSE_SE_EEES9_SG_JZNS1_25segmented_radix_sort_implINS0_14default_configELb1EPKfPfPKlPlN2at6native12_GLOBAL__N_18offset_tEEE10hipError_tPvRmT1_PNSt15iterator_traitsISY_E10value_typeET2_T3_PNSZ_IS14_E10value_typeET4_jRbjT5_S1A_jjP12ihipStream_tbEUljE_EEESV_SW_SX_S14_S18_S1A_T6_T7_T9_mT8_S1C_bDpT10_ENKUlT_T0_E_clISt17integral_constantIbLb1EES1P_EEDaS1K_S1L_EUlS1K_E_NS1_11comp_targetILNS1_3genE0ELNS1_11target_archE4294967295ELNS1_3gpuE0ELNS1_3repE0EEENS1_30default_config_static_selectorELNS0_4arch9wavefront6targetE0EEEvSY_.num_vgpr, 0
	.set _ZN7rocprim17ROCPRIM_400000_NS6detail17trampoline_kernelINS0_13select_configILj256ELj13ELNS0_17block_load_methodE3ELS4_3ELS4_3ELNS0_20block_scan_algorithmE0ELj4294967295EEENS1_25partition_config_selectorILNS1_17partition_subalgoE3EjNS0_10empty_typeEbEEZZNS1_14partition_implILS8_3ELb0ES6_jNS0_17counting_iteratorIjlEEPS9_SE_NS0_5tupleIJPjSE_EEENSF_IJSE_SE_EEES9_SG_JZNS1_25segmented_radix_sort_implINS0_14default_configELb1EPKfPfPKlPlN2at6native12_GLOBAL__N_18offset_tEEE10hipError_tPvRmT1_PNSt15iterator_traitsISY_E10value_typeET2_T3_PNSZ_IS14_E10value_typeET4_jRbjT5_S1A_jjP12ihipStream_tbEUljE_EEESV_SW_SX_S14_S18_S1A_T6_T7_T9_mT8_S1C_bDpT10_ENKUlT_T0_E_clISt17integral_constantIbLb1EES1P_EEDaS1K_S1L_EUlS1K_E_NS1_11comp_targetILNS1_3genE0ELNS1_11target_archE4294967295ELNS1_3gpuE0ELNS1_3repE0EEENS1_30default_config_static_selectorELNS0_4arch9wavefront6targetE0EEEvSY_.num_agpr, 0
	.set _ZN7rocprim17ROCPRIM_400000_NS6detail17trampoline_kernelINS0_13select_configILj256ELj13ELNS0_17block_load_methodE3ELS4_3ELS4_3ELNS0_20block_scan_algorithmE0ELj4294967295EEENS1_25partition_config_selectorILNS1_17partition_subalgoE3EjNS0_10empty_typeEbEEZZNS1_14partition_implILS8_3ELb0ES6_jNS0_17counting_iteratorIjlEEPS9_SE_NS0_5tupleIJPjSE_EEENSF_IJSE_SE_EEES9_SG_JZNS1_25segmented_radix_sort_implINS0_14default_configELb1EPKfPfPKlPlN2at6native12_GLOBAL__N_18offset_tEEE10hipError_tPvRmT1_PNSt15iterator_traitsISY_E10value_typeET2_T3_PNSZ_IS14_E10value_typeET4_jRbjT5_S1A_jjP12ihipStream_tbEUljE_EEESV_SW_SX_S14_S18_S1A_T6_T7_T9_mT8_S1C_bDpT10_ENKUlT_T0_E_clISt17integral_constantIbLb1EES1P_EEDaS1K_S1L_EUlS1K_E_NS1_11comp_targetILNS1_3genE0ELNS1_11target_archE4294967295ELNS1_3gpuE0ELNS1_3repE0EEENS1_30default_config_static_selectorELNS0_4arch9wavefront6targetE0EEEvSY_.numbered_sgpr, 0
	.set _ZN7rocprim17ROCPRIM_400000_NS6detail17trampoline_kernelINS0_13select_configILj256ELj13ELNS0_17block_load_methodE3ELS4_3ELS4_3ELNS0_20block_scan_algorithmE0ELj4294967295EEENS1_25partition_config_selectorILNS1_17partition_subalgoE3EjNS0_10empty_typeEbEEZZNS1_14partition_implILS8_3ELb0ES6_jNS0_17counting_iteratorIjlEEPS9_SE_NS0_5tupleIJPjSE_EEENSF_IJSE_SE_EEES9_SG_JZNS1_25segmented_radix_sort_implINS0_14default_configELb1EPKfPfPKlPlN2at6native12_GLOBAL__N_18offset_tEEE10hipError_tPvRmT1_PNSt15iterator_traitsISY_E10value_typeET2_T3_PNSZ_IS14_E10value_typeET4_jRbjT5_S1A_jjP12ihipStream_tbEUljE_EEESV_SW_SX_S14_S18_S1A_T6_T7_T9_mT8_S1C_bDpT10_ENKUlT_T0_E_clISt17integral_constantIbLb1EES1P_EEDaS1K_S1L_EUlS1K_E_NS1_11comp_targetILNS1_3genE0ELNS1_11target_archE4294967295ELNS1_3gpuE0ELNS1_3repE0EEENS1_30default_config_static_selectorELNS0_4arch9wavefront6targetE0EEEvSY_.num_named_barrier, 0
	.set _ZN7rocprim17ROCPRIM_400000_NS6detail17trampoline_kernelINS0_13select_configILj256ELj13ELNS0_17block_load_methodE3ELS4_3ELS4_3ELNS0_20block_scan_algorithmE0ELj4294967295EEENS1_25partition_config_selectorILNS1_17partition_subalgoE3EjNS0_10empty_typeEbEEZZNS1_14partition_implILS8_3ELb0ES6_jNS0_17counting_iteratorIjlEEPS9_SE_NS0_5tupleIJPjSE_EEENSF_IJSE_SE_EEES9_SG_JZNS1_25segmented_radix_sort_implINS0_14default_configELb1EPKfPfPKlPlN2at6native12_GLOBAL__N_18offset_tEEE10hipError_tPvRmT1_PNSt15iterator_traitsISY_E10value_typeET2_T3_PNSZ_IS14_E10value_typeET4_jRbjT5_S1A_jjP12ihipStream_tbEUljE_EEESV_SW_SX_S14_S18_S1A_T6_T7_T9_mT8_S1C_bDpT10_ENKUlT_T0_E_clISt17integral_constantIbLb1EES1P_EEDaS1K_S1L_EUlS1K_E_NS1_11comp_targetILNS1_3genE0ELNS1_11target_archE4294967295ELNS1_3gpuE0ELNS1_3repE0EEENS1_30default_config_static_selectorELNS0_4arch9wavefront6targetE0EEEvSY_.private_seg_size, 0
	.set _ZN7rocprim17ROCPRIM_400000_NS6detail17trampoline_kernelINS0_13select_configILj256ELj13ELNS0_17block_load_methodE3ELS4_3ELS4_3ELNS0_20block_scan_algorithmE0ELj4294967295EEENS1_25partition_config_selectorILNS1_17partition_subalgoE3EjNS0_10empty_typeEbEEZZNS1_14partition_implILS8_3ELb0ES6_jNS0_17counting_iteratorIjlEEPS9_SE_NS0_5tupleIJPjSE_EEENSF_IJSE_SE_EEES9_SG_JZNS1_25segmented_radix_sort_implINS0_14default_configELb1EPKfPfPKlPlN2at6native12_GLOBAL__N_18offset_tEEE10hipError_tPvRmT1_PNSt15iterator_traitsISY_E10value_typeET2_T3_PNSZ_IS14_E10value_typeET4_jRbjT5_S1A_jjP12ihipStream_tbEUljE_EEESV_SW_SX_S14_S18_S1A_T6_T7_T9_mT8_S1C_bDpT10_ENKUlT_T0_E_clISt17integral_constantIbLb1EES1P_EEDaS1K_S1L_EUlS1K_E_NS1_11comp_targetILNS1_3genE0ELNS1_11target_archE4294967295ELNS1_3gpuE0ELNS1_3repE0EEENS1_30default_config_static_selectorELNS0_4arch9wavefront6targetE0EEEvSY_.uses_vcc, 0
	.set _ZN7rocprim17ROCPRIM_400000_NS6detail17trampoline_kernelINS0_13select_configILj256ELj13ELNS0_17block_load_methodE3ELS4_3ELS4_3ELNS0_20block_scan_algorithmE0ELj4294967295EEENS1_25partition_config_selectorILNS1_17partition_subalgoE3EjNS0_10empty_typeEbEEZZNS1_14partition_implILS8_3ELb0ES6_jNS0_17counting_iteratorIjlEEPS9_SE_NS0_5tupleIJPjSE_EEENSF_IJSE_SE_EEES9_SG_JZNS1_25segmented_radix_sort_implINS0_14default_configELb1EPKfPfPKlPlN2at6native12_GLOBAL__N_18offset_tEEE10hipError_tPvRmT1_PNSt15iterator_traitsISY_E10value_typeET2_T3_PNSZ_IS14_E10value_typeET4_jRbjT5_S1A_jjP12ihipStream_tbEUljE_EEESV_SW_SX_S14_S18_S1A_T6_T7_T9_mT8_S1C_bDpT10_ENKUlT_T0_E_clISt17integral_constantIbLb1EES1P_EEDaS1K_S1L_EUlS1K_E_NS1_11comp_targetILNS1_3genE0ELNS1_11target_archE4294967295ELNS1_3gpuE0ELNS1_3repE0EEENS1_30default_config_static_selectorELNS0_4arch9wavefront6targetE0EEEvSY_.uses_flat_scratch, 0
	.set _ZN7rocprim17ROCPRIM_400000_NS6detail17trampoline_kernelINS0_13select_configILj256ELj13ELNS0_17block_load_methodE3ELS4_3ELS4_3ELNS0_20block_scan_algorithmE0ELj4294967295EEENS1_25partition_config_selectorILNS1_17partition_subalgoE3EjNS0_10empty_typeEbEEZZNS1_14partition_implILS8_3ELb0ES6_jNS0_17counting_iteratorIjlEEPS9_SE_NS0_5tupleIJPjSE_EEENSF_IJSE_SE_EEES9_SG_JZNS1_25segmented_radix_sort_implINS0_14default_configELb1EPKfPfPKlPlN2at6native12_GLOBAL__N_18offset_tEEE10hipError_tPvRmT1_PNSt15iterator_traitsISY_E10value_typeET2_T3_PNSZ_IS14_E10value_typeET4_jRbjT5_S1A_jjP12ihipStream_tbEUljE_EEESV_SW_SX_S14_S18_S1A_T6_T7_T9_mT8_S1C_bDpT10_ENKUlT_T0_E_clISt17integral_constantIbLb1EES1P_EEDaS1K_S1L_EUlS1K_E_NS1_11comp_targetILNS1_3genE0ELNS1_11target_archE4294967295ELNS1_3gpuE0ELNS1_3repE0EEENS1_30default_config_static_selectorELNS0_4arch9wavefront6targetE0EEEvSY_.has_dyn_sized_stack, 0
	.set _ZN7rocprim17ROCPRIM_400000_NS6detail17trampoline_kernelINS0_13select_configILj256ELj13ELNS0_17block_load_methodE3ELS4_3ELS4_3ELNS0_20block_scan_algorithmE0ELj4294967295EEENS1_25partition_config_selectorILNS1_17partition_subalgoE3EjNS0_10empty_typeEbEEZZNS1_14partition_implILS8_3ELb0ES6_jNS0_17counting_iteratorIjlEEPS9_SE_NS0_5tupleIJPjSE_EEENSF_IJSE_SE_EEES9_SG_JZNS1_25segmented_radix_sort_implINS0_14default_configELb1EPKfPfPKlPlN2at6native12_GLOBAL__N_18offset_tEEE10hipError_tPvRmT1_PNSt15iterator_traitsISY_E10value_typeET2_T3_PNSZ_IS14_E10value_typeET4_jRbjT5_S1A_jjP12ihipStream_tbEUljE_EEESV_SW_SX_S14_S18_S1A_T6_T7_T9_mT8_S1C_bDpT10_ENKUlT_T0_E_clISt17integral_constantIbLb1EES1P_EEDaS1K_S1L_EUlS1K_E_NS1_11comp_targetILNS1_3genE0ELNS1_11target_archE4294967295ELNS1_3gpuE0ELNS1_3repE0EEENS1_30default_config_static_selectorELNS0_4arch9wavefront6targetE0EEEvSY_.has_recursion, 0
	.set _ZN7rocprim17ROCPRIM_400000_NS6detail17trampoline_kernelINS0_13select_configILj256ELj13ELNS0_17block_load_methodE3ELS4_3ELS4_3ELNS0_20block_scan_algorithmE0ELj4294967295EEENS1_25partition_config_selectorILNS1_17partition_subalgoE3EjNS0_10empty_typeEbEEZZNS1_14partition_implILS8_3ELb0ES6_jNS0_17counting_iteratorIjlEEPS9_SE_NS0_5tupleIJPjSE_EEENSF_IJSE_SE_EEES9_SG_JZNS1_25segmented_radix_sort_implINS0_14default_configELb1EPKfPfPKlPlN2at6native12_GLOBAL__N_18offset_tEEE10hipError_tPvRmT1_PNSt15iterator_traitsISY_E10value_typeET2_T3_PNSZ_IS14_E10value_typeET4_jRbjT5_S1A_jjP12ihipStream_tbEUljE_EEESV_SW_SX_S14_S18_S1A_T6_T7_T9_mT8_S1C_bDpT10_ENKUlT_T0_E_clISt17integral_constantIbLb1EES1P_EEDaS1K_S1L_EUlS1K_E_NS1_11comp_targetILNS1_3genE0ELNS1_11target_archE4294967295ELNS1_3gpuE0ELNS1_3repE0EEENS1_30default_config_static_selectorELNS0_4arch9wavefront6targetE0EEEvSY_.has_indirect_call, 0
	.section	.AMDGPU.csdata,"",@progbits
; Kernel info:
; codeLenInByte = 4
; TotalNumSgprs: 0
; NumVgprs: 0
; ScratchSize: 0
; MemoryBound: 0
; FloatMode: 240
; IeeeMode: 1
; LDSByteSize: 0 bytes/workgroup (compile time only)
; SGPRBlocks: 0
; VGPRBlocks: 0
; NumSGPRsForWavesPerEU: 1
; NumVGPRsForWavesPerEU: 1
; NamedBarCnt: 0
; Occupancy: 16
; WaveLimiterHint : 0
; COMPUTE_PGM_RSRC2:SCRATCH_EN: 0
; COMPUTE_PGM_RSRC2:USER_SGPR: 2
; COMPUTE_PGM_RSRC2:TRAP_HANDLER: 0
; COMPUTE_PGM_RSRC2:TGID_X_EN: 1
; COMPUTE_PGM_RSRC2:TGID_Y_EN: 0
; COMPUTE_PGM_RSRC2:TGID_Z_EN: 0
; COMPUTE_PGM_RSRC2:TIDIG_COMP_CNT: 0
	.section	.text._ZN7rocprim17ROCPRIM_400000_NS6detail17trampoline_kernelINS0_13select_configILj256ELj13ELNS0_17block_load_methodE3ELS4_3ELS4_3ELNS0_20block_scan_algorithmE0ELj4294967295EEENS1_25partition_config_selectorILNS1_17partition_subalgoE3EjNS0_10empty_typeEbEEZZNS1_14partition_implILS8_3ELb0ES6_jNS0_17counting_iteratorIjlEEPS9_SE_NS0_5tupleIJPjSE_EEENSF_IJSE_SE_EEES9_SG_JZNS1_25segmented_radix_sort_implINS0_14default_configELb1EPKfPfPKlPlN2at6native12_GLOBAL__N_18offset_tEEE10hipError_tPvRmT1_PNSt15iterator_traitsISY_E10value_typeET2_T3_PNSZ_IS14_E10value_typeET4_jRbjT5_S1A_jjP12ihipStream_tbEUljE_EEESV_SW_SX_S14_S18_S1A_T6_T7_T9_mT8_S1C_bDpT10_ENKUlT_T0_E_clISt17integral_constantIbLb1EES1P_EEDaS1K_S1L_EUlS1K_E_NS1_11comp_targetILNS1_3genE5ELNS1_11target_archE942ELNS1_3gpuE9ELNS1_3repE0EEENS1_30default_config_static_selectorELNS0_4arch9wavefront6targetE0EEEvSY_,"axG",@progbits,_ZN7rocprim17ROCPRIM_400000_NS6detail17trampoline_kernelINS0_13select_configILj256ELj13ELNS0_17block_load_methodE3ELS4_3ELS4_3ELNS0_20block_scan_algorithmE0ELj4294967295EEENS1_25partition_config_selectorILNS1_17partition_subalgoE3EjNS0_10empty_typeEbEEZZNS1_14partition_implILS8_3ELb0ES6_jNS0_17counting_iteratorIjlEEPS9_SE_NS0_5tupleIJPjSE_EEENSF_IJSE_SE_EEES9_SG_JZNS1_25segmented_radix_sort_implINS0_14default_configELb1EPKfPfPKlPlN2at6native12_GLOBAL__N_18offset_tEEE10hipError_tPvRmT1_PNSt15iterator_traitsISY_E10value_typeET2_T3_PNSZ_IS14_E10value_typeET4_jRbjT5_S1A_jjP12ihipStream_tbEUljE_EEESV_SW_SX_S14_S18_S1A_T6_T7_T9_mT8_S1C_bDpT10_ENKUlT_T0_E_clISt17integral_constantIbLb1EES1P_EEDaS1K_S1L_EUlS1K_E_NS1_11comp_targetILNS1_3genE5ELNS1_11target_archE942ELNS1_3gpuE9ELNS1_3repE0EEENS1_30default_config_static_selectorELNS0_4arch9wavefront6targetE0EEEvSY_,comdat
	.globl	_ZN7rocprim17ROCPRIM_400000_NS6detail17trampoline_kernelINS0_13select_configILj256ELj13ELNS0_17block_load_methodE3ELS4_3ELS4_3ELNS0_20block_scan_algorithmE0ELj4294967295EEENS1_25partition_config_selectorILNS1_17partition_subalgoE3EjNS0_10empty_typeEbEEZZNS1_14partition_implILS8_3ELb0ES6_jNS0_17counting_iteratorIjlEEPS9_SE_NS0_5tupleIJPjSE_EEENSF_IJSE_SE_EEES9_SG_JZNS1_25segmented_radix_sort_implINS0_14default_configELb1EPKfPfPKlPlN2at6native12_GLOBAL__N_18offset_tEEE10hipError_tPvRmT1_PNSt15iterator_traitsISY_E10value_typeET2_T3_PNSZ_IS14_E10value_typeET4_jRbjT5_S1A_jjP12ihipStream_tbEUljE_EEESV_SW_SX_S14_S18_S1A_T6_T7_T9_mT8_S1C_bDpT10_ENKUlT_T0_E_clISt17integral_constantIbLb1EES1P_EEDaS1K_S1L_EUlS1K_E_NS1_11comp_targetILNS1_3genE5ELNS1_11target_archE942ELNS1_3gpuE9ELNS1_3repE0EEENS1_30default_config_static_selectorELNS0_4arch9wavefront6targetE0EEEvSY_ ; -- Begin function _ZN7rocprim17ROCPRIM_400000_NS6detail17trampoline_kernelINS0_13select_configILj256ELj13ELNS0_17block_load_methodE3ELS4_3ELS4_3ELNS0_20block_scan_algorithmE0ELj4294967295EEENS1_25partition_config_selectorILNS1_17partition_subalgoE3EjNS0_10empty_typeEbEEZZNS1_14partition_implILS8_3ELb0ES6_jNS0_17counting_iteratorIjlEEPS9_SE_NS0_5tupleIJPjSE_EEENSF_IJSE_SE_EEES9_SG_JZNS1_25segmented_radix_sort_implINS0_14default_configELb1EPKfPfPKlPlN2at6native12_GLOBAL__N_18offset_tEEE10hipError_tPvRmT1_PNSt15iterator_traitsISY_E10value_typeET2_T3_PNSZ_IS14_E10value_typeET4_jRbjT5_S1A_jjP12ihipStream_tbEUljE_EEESV_SW_SX_S14_S18_S1A_T6_T7_T9_mT8_S1C_bDpT10_ENKUlT_T0_E_clISt17integral_constantIbLb1EES1P_EEDaS1K_S1L_EUlS1K_E_NS1_11comp_targetILNS1_3genE5ELNS1_11target_archE942ELNS1_3gpuE9ELNS1_3repE0EEENS1_30default_config_static_selectorELNS0_4arch9wavefront6targetE0EEEvSY_
	.p2align	8
	.type	_ZN7rocprim17ROCPRIM_400000_NS6detail17trampoline_kernelINS0_13select_configILj256ELj13ELNS0_17block_load_methodE3ELS4_3ELS4_3ELNS0_20block_scan_algorithmE0ELj4294967295EEENS1_25partition_config_selectorILNS1_17partition_subalgoE3EjNS0_10empty_typeEbEEZZNS1_14partition_implILS8_3ELb0ES6_jNS0_17counting_iteratorIjlEEPS9_SE_NS0_5tupleIJPjSE_EEENSF_IJSE_SE_EEES9_SG_JZNS1_25segmented_radix_sort_implINS0_14default_configELb1EPKfPfPKlPlN2at6native12_GLOBAL__N_18offset_tEEE10hipError_tPvRmT1_PNSt15iterator_traitsISY_E10value_typeET2_T3_PNSZ_IS14_E10value_typeET4_jRbjT5_S1A_jjP12ihipStream_tbEUljE_EEESV_SW_SX_S14_S18_S1A_T6_T7_T9_mT8_S1C_bDpT10_ENKUlT_T0_E_clISt17integral_constantIbLb1EES1P_EEDaS1K_S1L_EUlS1K_E_NS1_11comp_targetILNS1_3genE5ELNS1_11target_archE942ELNS1_3gpuE9ELNS1_3repE0EEENS1_30default_config_static_selectorELNS0_4arch9wavefront6targetE0EEEvSY_,@function
_ZN7rocprim17ROCPRIM_400000_NS6detail17trampoline_kernelINS0_13select_configILj256ELj13ELNS0_17block_load_methodE3ELS4_3ELS4_3ELNS0_20block_scan_algorithmE0ELj4294967295EEENS1_25partition_config_selectorILNS1_17partition_subalgoE3EjNS0_10empty_typeEbEEZZNS1_14partition_implILS8_3ELb0ES6_jNS0_17counting_iteratorIjlEEPS9_SE_NS0_5tupleIJPjSE_EEENSF_IJSE_SE_EEES9_SG_JZNS1_25segmented_radix_sort_implINS0_14default_configELb1EPKfPfPKlPlN2at6native12_GLOBAL__N_18offset_tEEE10hipError_tPvRmT1_PNSt15iterator_traitsISY_E10value_typeET2_T3_PNSZ_IS14_E10value_typeET4_jRbjT5_S1A_jjP12ihipStream_tbEUljE_EEESV_SW_SX_S14_S18_S1A_T6_T7_T9_mT8_S1C_bDpT10_ENKUlT_T0_E_clISt17integral_constantIbLb1EES1P_EEDaS1K_S1L_EUlS1K_E_NS1_11comp_targetILNS1_3genE5ELNS1_11target_archE942ELNS1_3gpuE9ELNS1_3repE0EEENS1_30default_config_static_selectorELNS0_4arch9wavefront6targetE0EEEvSY_: ; @_ZN7rocprim17ROCPRIM_400000_NS6detail17trampoline_kernelINS0_13select_configILj256ELj13ELNS0_17block_load_methodE3ELS4_3ELS4_3ELNS0_20block_scan_algorithmE0ELj4294967295EEENS1_25partition_config_selectorILNS1_17partition_subalgoE3EjNS0_10empty_typeEbEEZZNS1_14partition_implILS8_3ELb0ES6_jNS0_17counting_iteratorIjlEEPS9_SE_NS0_5tupleIJPjSE_EEENSF_IJSE_SE_EEES9_SG_JZNS1_25segmented_radix_sort_implINS0_14default_configELb1EPKfPfPKlPlN2at6native12_GLOBAL__N_18offset_tEEE10hipError_tPvRmT1_PNSt15iterator_traitsISY_E10value_typeET2_T3_PNSZ_IS14_E10value_typeET4_jRbjT5_S1A_jjP12ihipStream_tbEUljE_EEESV_SW_SX_S14_S18_S1A_T6_T7_T9_mT8_S1C_bDpT10_ENKUlT_T0_E_clISt17integral_constantIbLb1EES1P_EEDaS1K_S1L_EUlS1K_E_NS1_11comp_targetILNS1_3genE5ELNS1_11target_archE942ELNS1_3gpuE9ELNS1_3repE0EEENS1_30default_config_static_selectorELNS0_4arch9wavefront6targetE0EEEvSY_
; %bb.0:
	.section	.rodata,"a",@progbits
	.p2align	6, 0x0
	.amdhsa_kernel _ZN7rocprim17ROCPRIM_400000_NS6detail17trampoline_kernelINS0_13select_configILj256ELj13ELNS0_17block_load_methodE3ELS4_3ELS4_3ELNS0_20block_scan_algorithmE0ELj4294967295EEENS1_25partition_config_selectorILNS1_17partition_subalgoE3EjNS0_10empty_typeEbEEZZNS1_14partition_implILS8_3ELb0ES6_jNS0_17counting_iteratorIjlEEPS9_SE_NS0_5tupleIJPjSE_EEENSF_IJSE_SE_EEES9_SG_JZNS1_25segmented_radix_sort_implINS0_14default_configELb1EPKfPfPKlPlN2at6native12_GLOBAL__N_18offset_tEEE10hipError_tPvRmT1_PNSt15iterator_traitsISY_E10value_typeET2_T3_PNSZ_IS14_E10value_typeET4_jRbjT5_S1A_jjP12ihipStream_tbEUljE_EEESV_SW_SX_S14_S18_S1A_T6_T7_T9_mT8_S1C_bDpT10_ENKUlT_T0_E_clISt17integral_constantIbLb1EES1P_EEDaS1K_S1L_EUlS1K_E_NS1_11comp_targetILNS1_3genE5ELNS1_11target_archE942ELNS1_3gpuE9ELNS1_3repE0EEENS1_30default_config_static_selectorELNS0_4arch9wavefront6targetE0EEEvSY_
		.amdhsa_group_segment_fixed_size 0
		.amdhsa_private_segment_fixed_size 0
		.amdhsa_kernarg_size 152
		.amdhsa_user_sgpr_count 2
		.amdhsa_user_sgpr_dispatch_ptr 0
		.amdhsa_user_sgpr_queue_ptr 0
		.amdhsa_user_sgpr_kernarg_segment_ptr 1
		.amdhsa_user_sgpr_dispatch_id 0
		.amdhsa_user_sgpr_kernarg_preload_length 0
		.amdhsa_user_sgpr_kernarg_preload_offset 0
		.amdhsa_user_sgpr_private_segment_size 0
		.amdhsa_wavefront_size32 1
		.amdhsa_uses_dynamic_stack 0
		.amdhsa_enable_private_segment 0
		.amdhsa_system_sgpr_workgroup_id_x 1
		.amdhsa_system_sgpr_workgroup_id_y 0
		.amdhsa_system_sgpr_workgroup_id_z 0
		.amdhsa_system_sgpr_workgroup_info 0
		.amdhsa_system_vgpr_workitem_id 0
		.amdhsa_next_free_vgpr 1
		.amdhsa_next_free_sgpr 1
		.amdhsa_named_barrier_count 0
		.amdhsa_reserve_vcc 0
		.amdhsa_float_round_mode_32 0
		.amdhsa_float_round_mode_16_64 0
		.amdhsa_float_denorm_mode_32 3
		.amdhsa_float_denorm_mode_16_64 3
		.amdhsa_fp16_overflow 0
		.amdhsa_memory_ordered 1
		.amdhsa_forward_progress 1
		.amdhsa_inst_pref_size 0
		.amdhsa_round_robin_scheduling 0
		.amdhsa_exception_fp_ieee_invalid_op 0
		.amdhsa_exception_fp_denorm_src 0
		.amdhsa_exception_fp_ieee_div_zero 0
		.amdhsa_exception_fp_ieee_overflow 0
		.amdhsa_exception_fp_ieee_underflow 0
		.amdhsa_exception_fp_ieee_inexact 0
		.amdhsa_exception_int_div_zero 0
	.end_amdhsa_kernel
	.section	.text._ZN7rocprim17ROCPRIM_400000_NS6detail17trampoline_kernelINS0_13select_configILj256ELj13ELNS0_17block_load_methodE3ELS4_3ELS4_3ELNS0_20block_scan_algorithmE0ELj4294967295EEENS1_25partition_config_selectorILNS1_17partition_subalgoE3EjNS0_10empty_typeEbEEZZNS1_14partition_implILS8_3ELb0ES6_jNS0_17counting_iteratorIjlEEPS9_SE_NS0_5tupleIJPjSE_EEENSF_IJSE_SE_EEES9_SG_JZNS1_25segmented_radix_sort_implINS0_14default_configELb1EPKfPfPKlPlN2at6native12_GLOBAL__N_18offset_tEEE10hipError_tPvRmT1_PNSt15iterator_traitsISY_E10value_typeET2_T3_PNSZ_IS14_E10value_typeET4_jRbjT5_S1A_jjP12ihipStream_tbEUljE_EEESV_SW_SX_S14_S18_S1A_T6_T7_T9_mT8_S1C_bDpT10_ENKUlT_T0_E_clISt17integral_constantIbLb1EES1P_EEDaS1K_S1L_EUlS1K_E_NS1_11comp_targetILNS1_3genE5ELNS1_11target_archE942ELNS1_3gpuE9ELNS1_3repE0EEENS1_30default_config_static_selectorELNS0_4arch9wavefront6targetE0EEEvSY_,"axG",@progbits,_ZN7rocprim17ROCPRIM_400000_NS6detail17trampoline_kernelINS0_13select_configILj256ELj13ELNS0_17block_load_methodE3ELS4_3ELS4_3ELNS0_20block_scan_algorithmE0ELj4294967295EEENS1_25partition_config_selectorILNS1_17partition_subalgoE3EjNS0_10empty_typeEbEEZZNS1_14partition_implILS8_3ELb0ES6_jNS0_17counting_iteratorIjlEEPS9_SE_NS0_5tupleIJPjSE_EEENSF_IJSE_SE_EEES9_SG_JZNS1_25segmented_radix_sort_implINS0_14default_configELb1EPKfPfPKlPlN2at6native12_GLOBAL__N_18offset_tEEE10hipError_tPvRmT1_PNSt15iterator_traitsISY_E10value_typeET2_T3_PNSZ_IS14_E10value_typeET4_jRbjT5_S1A_jjP12ihipStream_tbEUljE_EEESV_SW_SX_S14_S18_S1A_T6_T7_T9_mT8_S1C_bDpT10_ENKUlT_T0_E_clISt17integral_constantIbLb1EES1P_EEDaS1K_S1L_EUlS1K_E_NS1_11comp_targetILNS1_3genE5ELNS1_11target_archE942ELNS1_3gpuE9ELNS1_3repE0EEENS1_30default_config_static_selectorELNS0_4arch9wavefront6targetE0EEEvSY_,comdat
.Lfunc_end1296:
	.size	_ZN7rocprim17ROCPRIM_400000_NS6detail17trampoline_kernelINS0_13select_configILj256ELj13ELNS0_17block_load_methodE3ELS4_3ELS4_3ELNS0_20block_scan_algorithmE0ELj4294967295EEENS1_25partition_config_selectorILNS1_17partition_subalgoE3EjNS0_10empty_typeEbEEZZNS1_14partition_implILS8_3ELb0ES6_jNS0_17counting_iteratorIjlEEPS9_SE_NS0_5tupleIJPjSE_EEENSF_IJSE_SE_EEES9_SG_JZNS1_25segmented_radix_sort_implINS0_14default_configELb1EPKfPfPKlPlN2at6native12_GLOBAL__N_18offset_tEEE10hipError_tPvRmT1_PNSt15iterator_traitsISY_E10value_typeET2_T3_PNSZ_IS14_E10value_typeET4_jRbjT5_S1A_jjP12ihipStream_tbEUljE_EEESV_SW_SX_S14_S18_S1A_T6_T7_T9_mT8_S1C_bDpT10_ENKUlT_T0_E_clISt17integral_constantIbLb1EES1P_EEDaS1K_S1L_EUlS1K_E_NS1_11comp_targetILNS1_3genE5ELNS1_11target_archE942ELNS1_3gpuE9ELNS1_3repE0EEENS1_30default_config_static_selectorELNS0_4arch9wavefront6targetE0EEEvSY_, .Lfunc_end1296-_ZN7rocprim17ROCPRIM_400000_NS6detail17trampoline_kernelINS0_13select_configILj256ELj13ELNS0_17block_load_methodE3ELS4_3ELS4_3ELNS0_20block_scan_algorithmE0ELj4294967295EEENS1_25partition_config_selectorILNS1_17partition_subalgoE3EjNS0_10empty_typeEbEEZZNS1_14partition_implILS8_3ELb0ES6_jNS0_17counting_iteratorIjlEEPS9_SE_NS0_5tupleIJPjSE_EEENSF_IJSE_SE_EEES9_SG_JZNS1_25segmented_radix_sort_implINS0_14default_configELb1EPKfPfPKlPlN2at6native12_GLOBAL__N_18offset_tEEE10hipError_tPvRmT1_PNSt15iterator_traitsISY_E10value_typeET2_T3_PNSZ_IS14_E10value_typeET4_jRbjT5_S1A_jjP12ihipStream_tbEUljE_EEESV_SW_SX_S14_S18_S1A_T6_T7_T9_mT8_S1C_bDpT10_ENKUlT_T0_E_clISt17integral_constantIbLb1EES1P_EEDaS1K_S1L_EUlS1K_E_NS1_11comp_targetILNS1_3genE5ELNS1_11target_archE942ELNS1_3gpuE9ELNS1_3repE0EEENS1_30default_config_static_selectorELNS0_4arch9wavefront6targetE0EEEvSY_
                                        ; -- End function
	.set _ZN7rocprim17ROCPRIM_400000_NS6detail17trampoline_kernelINS0_13select_configILj256ELj13ELNS0_17block_load_methodE3ELS4_3ELS4_3ELNS0_20block_scan_algorithmE0ELj4294967295EEENS1_25partition_config_selectorILNS1_17partition_subalgoE3EjNS0_10empty_typeEbEEZZNS1_14partition_implILS8_3ELb0ES6_jNS0_17counting_iteratorIjlEEPS9_SE_NS0_5tupleIJPjSE_EEENSF_IJSE_SE_EEES9_SG_JZNS1_25segmented_radix_sort_implINS0_14default_configELb1EPKfPfPKlPlN2at6native12_GLOBAL__N_18offset_tEEE10hipError_tPvRmT1_PNSt15iterator_traitsISY_E10value_typeET2_T3_PNSZ_IS14_E10value_typeET4_jRbjT5_S1A_jjP12ihipStream_tbEUljE_EEESV_SW_SX_S14_S18_S1A_T6_T7_T9_mT8_S1C_bDpT10_ENKUlT_T0_E_clISt17integral_constantIbLb1EES1P_EEDaS1K_S1L_EUlS1K_E_NS1_11comp_targetILNS1_3genE5ELNS1_11target_archE942ELNS1_3gpuE9ELNS1_3repE0EEENS1_30default_config_static_selectorELNS0_4arch9wavefront6targetE0EEEvSY_.num_vgpr, 0
	.set _ZN7rocprim17ROCPRIM_400000_NS6detail17trampoline_kernelINS0_13select_configILj256ELj13ELNS0_17block_load_methodE3ELS4_3ELS4_3ELNS0_20block_scan_algorithmE0ELj4294967295EEENS1_25partition_config_selectorILNS1_17partition_subalgoE3EjNS0_10empty_typeEbEEZZNS1_14partition_implILS8_3ELb0ES6_jNS0_17counting_iteratorIjlEEPS9_SE_NS0_5tupleIJPjSE_EEENSF_IJSE_SE_EEES9_SG_JZNS1_25segmented_radix_sort_implINS0_14default_configELb1EPKfPfPKlPlN2at6native12_GLOBAL__N_18offset_tEEE10hipError_tPvRmT1_PNSt15iterator_traitsISY_E10value_typeET2_T3_PNSZ_IS14_E10value_typeET4_jRbjT5_S1A_jjP12ihipStream_tbEUljE_EEESV_SW_SX_S14_S18_S1A_T6_T7_T9_mT8_S1C_bDpT10_ENKUlT_T0_E_clISt17integral_constantIbLb1EES1P_EEDaS1K_S1L_EUlS1K_E_NS1_11comp_targetILNS1_3genE5ELNS1_11target_archE942ELNS1_3gpuE9ELNS1_3repE0EEENS1_30default_config_static_selectorELNS0_4arch9wavefront6targetE0EEEvSY_.num_agpr, 0
	.set _ZN7rocprim17ROCPRIM_400000_NS6detail17trampoline_kernelINS0_13select_configILj256ELj13ELNS0_17block_load_methodE3ELS4_3ELS4_3ELNS0_20block_scan_algorithmE0ELj4294967295EEENS1_25partition_config_selectorILNS1_17partition_subalgoE3EjNS0_10empty_typeEbEEZZNS1_14partition_implILS8_3ELb0ES6_jNS0_17counting_iteratorIjlEEPS9_SE_NS0_5tupleIJPjSE_EEENSF_IJSE_SE_EEES9_SG_JZNS1_25segmented_radix_sort_implINS0_14default_configELb1EPKfPfPKlPlN2at6native12_GLOBAL__N_18offset_tEEE10hipError_tPvRmT1_PNSt15iterator_traitsISY_E10value_typeET2_T3_PNSZ_IS14_E10value_typeET4_jRbjT5_S1A_jjP12ihipStream_tbEUljE_EEESV_SW_SX_S14_S18_S1A_T6_T7_T9_mT8_S1C_bDpT10_ENKUlT_T0_E_clISt17integral_constantIbLb1EES1P_EEDaS1K_S1L_EUlS1K_E_NS1_11comp_targetILNS1_3genE5ELNS1_11target_archE942ELNS1_3gpuE9ELNS1_3repE0EEENS1_30default_config_static_selectorELNS0_4arch9wavefront6targetE0EEEvSY_.numbered_sgpr, 0
	.set _ZN7rocprim17ROCPRIM_400000_NS6detail17trampoline_kernelINS0_13select_configILj256ELj13ELNS0_17block_load_methodE3ELS4_3ELS4_3ELNS0_20block_scan_algorithmE0ELj4294967295EEENS1_25partition_config_selectorILNS1_17partition_subalgoE3EjNS0_10empty_typeEbEEZZNS1_14partition_implILS8_3ELb0ES6_jNS0_17counting_iteratorIjlEEPS9_SE_NS0_5tupleIJPjSE_EEENSF_IJSE_SE_EEES9_SG_JZNS1_25segmented_radix_sort_implINS0_14default_configELb1EPKfPfPKlPlN2at6native12_GLOBAL__N_18offset_tEEE10hipError_tPvRmT1_PNSt15iterator_traitsISY_E10value_typeET2_T3_PNSZ_IS14_E10value_typeET4_jRbjT5_S1A_jjP12ihipStream_tbEUljE_EEESV_SW_SX_S14_S18_S1A_T6_T7_T9_mT8_S1C_bDpT10_ENKUlT_T0_E_clISt17integral_constantIbLb1EES1P_EEDaS1K_S1L_EUlS1K_E_NS1_11comp_targetILNS1_3genE5ELNS1_11target_archE942ELNS1_3gpuE9ELNS1_3repE0EEENS1_30default_config_static_selectorELNS0_4arch9wavefront6targetE0EEEvSY_.num_named_barrier, 0
	.set _ZN7rocprim17ROCPRIM_400000_NS6detail17trampoline_kernelINS0_13select_configILj256ELj13ELNS0_17block_load_methodE3ELS4_3ELS4_3ELNS0_20block_scan_algorithmE0ELj4294967295EEENS1_25partition_config_selectorILNS1_17partition_subalgoE3EjNS0_10empty_typeEbEEZZNS1_14partition_implILS8_3ELb0ES6_jNS0_17counting_iteratorIjlEEPS9_SE_NS0_5tupleIJPjSE_EEENSF_IJSE_SE_EEES9_SG_JZNS1_25segmented_radix_sort_implINS0_14default_configELb1EPKfPfPKlPlN2at6native12_GLOBAL__N_18offset_tEEE10hipError_tPvRmT1_PNSt15iterator_traitsISY_E10value_typeET2_T3_PNSZ_IS14_E10value_typeET4_jRbjT5_S1A_jjP12ihipStream_tbEUljE_EEESV_SW_SX_S14_S18_S1A_T6_T7_T9_mT8_S1C_bDpT10_ENKUlT_T0_E_clISt17integral_constantIbLb1EES1P_EEDaS1K_S1L_EUlS1K_E_NS1_11comp_targetILNS1_3genE5ELNS1_11target_archE942ELNS1_3gpuE9ELNS1_3repE0EEENS1_30default_config_static_selectorELNS0_4arch9wavefront6targetE0EEEvSY_.private_seg_size, 0
	.set _ZN7rocprim17ROCPRIM_400000_NS6detail17trampoline_kernelINS0_13select_configILj256ELj13ELNS0_17block_load_methodE3ELS4_3ELS4_3ELNS0_20block_scan_algorithmE0ELj4294967295EEENS1_25partition_config_selectorILNS1_17partition_subalgoE3EjNS0_10empty_typeEbEEZZNS1_14partition_implILS8_3ELb0ES6_jNS0_17counting_iteratorIjlEEPS9_SE_NS0_5tupleIJPjSE_EEENSF_IJSE_SE_EEES9_SG_JZNS1_25segmented_radix_sort_implINS0_14default_configELb1EPKfPfPKlPlN2at6native12_GLOBAL__N_18offset_tEEE10hipError_tPvRmT1_PNSt15iterator_traitsISY_E10value_typeET2_T3_PNSZ_IS14_E10value_typeET4_jRbjT5_S1A_jjP12ihipStream_tbEUljE_EEESV_SW_SX_S14_S18_S1A_T6_T7_T9_mT8_S1C_bDpT10_ENKUlT_T0_E_clISt17integral_constantIbLb1EES1P_EEDaS1K_S1L_EUlS1K_E_NS1_11comp_targetILNS1_3genE5ELNS1_11target_archE942ELNS1_3gpuE9ELNS1_3repE0EEENS1_30default_config_static_selectorELNS0_4arch9wavefront6targetE0EEEvSY_.uses_vcc, 0
	.set _ZN7rocprim17ROCPRIM_400000_NS6detail17trampoline_kernelINS0_13select_configILj256ELj13ELNS0_17block_load_methodE3ELS4_3ELS4_3ELNS0_20block_scan_algorithmE0ELj4294967295EEENS1_25partition_config_selectorILNS1_17partition_subalgoE3EjNS0_10empty_typeEbEEZZNS1_14partition_implILS8_3ELb0ES6_jNS0_17counting_iteratorIjlEEPS9_SE_NS0_5tupleIJPjSE_EEENSF_IJSE_SE_EEES9_SG_JZNS1_25segmented_radix_sort_implINS0_14default_configELb1EPKfPfPKlPlN2at6native12_GLOBAL__N_18offset_tEEE10hipError_tPvRmT1_PNSt15iterator_traitsISY_E10value_typeET2_T3_PNSZ_IS14_E10value_typeET4_jRbjT5_S1A_jjP12ihipStream_tbEUljE_EEESV_SW_SX_S14_S18_S1A_T6_T7_T9_mT8_S1C_bDpT10_ENKUlT_T0_E_clISt17integral_constantIbLb1EES1P_EEDaS1K_S1L_EUlS1K_E_NS1_11comp_targetILNS1_3genE5ELNS1_11target_archE942ELNS1_3gpuE9ELNS1_3repE0EEENS1_30default_config_static_selectorELNS0_4arch9wavefront6targetE0EEEvSY_.uses_flat_scratch, 0
	.set _ZN7rocprim17ROCPRIM_400000_NS6detail17trampoline_kernelINS0_13select_configILj256ELj13ELNS0_17block_load_methodE3ELS4_3ELS4_3ELNS0_20block_scan_algorithmE0ELj4294967295EEENS1_25partition_config_selectorILNS1_17partition_subalgoE3EjNS0_10empty_typeEbEEZZNS1_14partition_implILS8_3ELb0ES6_jNS0_17counting_iteratorIjlEEPS9_SE_NS0_5tupleIJPjSE_EEENSF_IJSE_SE_EEES9_SG_JZNS1_25segmented_radix_sort_implINS0_14default_configELb1EPKfPfPKlPlN2at6native12_GLOBAL__N_18offset_tEEE10hipError_tPvRmT1_PNSt15iterator_traitsISY_E10value_typeET2_T3_PNSZ_IS14_E10value_typeET4_jRbjT5_S1A_jjP12ihipStream_tbEUljE_EEESV_SW_SX_S14_S18_S1A_T6_T7_T9_mT8_S1C_bDpT10_ENKUlT_T0_E_clISt17integral_constantIbLb1EES1P_EEDaS1K_S1L_EUlS1K_E_NS1_11comp_targetILNS1_3genE5ELNS1_11target_archE942ELNS1_3gpuE9ELNS1_3repE0EEENS1_30default_config_static_selectorELNS0_4arch9wavefront6targetE0EEEvSY_.has_dyn_sized_stack, 0
	.set _ZN7rocprim17ROCPRIM_400000_NS6detail17trampoline_kernelINS0_13select_configILj256ELj13ELNS0_17block_load_methodE3ELS4_3ELS4_3ELNS0_20block_scan_algorithmE0ELj4294967295EEENS1_25partition_config_selectorILNS1_17partition_subalgoE3EjNS0_10empty_typeEbEEZZNS1_14partition_implILS8_3ELb0ES6_jNS0_17counting_iteratorIjlEEPS9_SE_NS0_5tupleIJPjSE_EEENSF_IJSE_SE_EEES9_SG_JZNS1_25segmented_radix_sort_implINS0_14default_configELb1EPKfPfPKlPlN2at6native12_GLOBAL__N_18offset_tEEE10hipError_tPvRmT1_PNSt15iterator_traitsISY_E10value_typeET2_T3_PNSZ_IS14_E10value_typeET4_jRbjT5_S1A_jjP12ihipStream_tbEUljE_EEESV_SW_SX_S14_S18_S1A_T6_T7_T9_mT8_S1C_bDpT10_ENKUlT_T0_E_clISt17integral_constantIbLb1EES1P_EEDaS1K_S1L_EUlS1K_E_NS1_11comp_targetILNS1_3genE5ELNS1_11target_archE942ELNS1_3gpuE9ELNS1_3repE0EEENS1_30default_config_static_selectorELNS0_4arch9wavefront6targetE0EEEvSY_.has_recursion, 0
	.set _ZN7rocprim17ROCPRIM_400000_NS6detail17trampoline_kernelINS0_13select_configILj256ELj13ELNS0_17block_load_methodE3ELS4_3ELS4_3ELNS0_20block_scan_algorithmE0ELj4294967295EEENS1_25partition_config_selectorILNS1_17partition_subalgoE3EjNS0_10empty_typeEbEEZZNS1_14partition_implILS8_3ELb0ES6_jNS0_17counting_iteratorIjlEEPS9_SE_NS0_5tupleIJPjSE_EEENSF_IJSE_SE_EEES9_SG_JZNS1_25segmented_radix_sort_implINS0_14default_configELb1EPKfPfPKlPlN2at6native12_GLOBAL__N_18offset_tEEE10hipError_tPvRmT1_PNSt15iterator_traitsISY_E10value_typeET2_T3_PNSZ_IS14_E10value_typeET4_jRbjT5_S1A_jjP12ihipStream_tbEUljE_EEESV_SW_SX_S14_S18_S1A_T6_T7_T9_mT8_S1C_bDpT10_ENKUlT_T0_E_clISt17integral_constantIbLb1EES1P_EEDaS1K_S1L_EUlS1K_E_NS1_11comp_targetILNS1_3genE5ELNS1_11target_archE942ELNS1_3gpuE9ELNS1_3repE0EEENS1_30default_config_static_selectorELNS0_4arch9wavefront6targetE0EEEvSY_.has_indirect_call, 0
	.section	.AMDGPU.csdata,"",@progbits
; Kernel info:
; codeLenInByte = 0
; TotalNumSgprs: 0
; NumVgprs: 0
; ScratchSize: 0
; MemoryBound: 0
; FloatMode: 240
; IeeeMode: 1
; LDSByteSize: 0 bytes/workgroup (compile time only)
; SGPRBlocks: 0
; VGPRBlocks: 0
; NumSGPRsForWavesPerEU: 1
; NumVGPRsForWavesPerEU: 1
; NamedBarCnt: 0
; Occupancy: 16
; WaveLimiterHint : 0
; COMPUTE_PGM_RSRC2:SCRATCH_EN: 0
; COMPUTE_PGM_RSRC2:USER_SGPR: 2
; COMPUTE_PGM_RSRC2:TRAP_HANDLER: 0
; COMPUTE_PGM_RSRC2:TGID_X_EN: 1
; COMPUTE_PGM_RSRC2:TGID_Y_EN: 0
; COMPUTE_PGM_RSRC2:TGID_Z_EN: 0
; COMPUTE_PGM_RSRC2:TIDIG_COMP_CNT: 0
	.section	.text._ZN7rocprim17ROCPRIM_400000_NS6detail17trampoline_kernelINS0_13select_configILj256ELj13ELNS0_17block_load_methodE3ELS4_3ELS4_3ELNS0_20block_scan_algorithmE0ELj4294967295EEENS1_25partition_config_selectorILNS1_17partition_subalgoE3EjNS0_10empty_typeEbEEZZNS1_14partition_implILS8_3ELb0ES6_jNS0_17counting_iteratorIjlEEPS9_SE_NS0_5tupleIJPjSE_EEENSF_IJSE_SE_EEES9_SG_JZNS1_25segmented_radix_sort_implINS0_14default_configELb1EPKfPfPKlPlN2at6native12_GLOBAL__N_18offset_tEEE10hipError_tPvRmT1_PNSt15iterator_traitsISY_E10value_typeET2_T3_PNSZ_IS14_E10value_typeET4_jRbjT5_S1A_jjP12ihipStream_tbEUljE_EEESV_SW_SX_S14_S18_S1A_T6_T7_T9_mT8_S1C_bDpT10_ENKUlT_T0_E_clISt17integral_constantIbLb1EES1P_EEDaS1K_S1L_EUlS1K_E_NS1_11comp_targetILNS1_3genE4ELNS1_11target_archE910ELNS1_3gpuE8ELNS1_3repE0EEENS1_30default_config_static_selectorELNS0_4arch9wavefront6targetE0EEEvSY_,"axG",@progbits,_ZN7rocprim17ROCPRIM_400000_NS6detail17trampoline_kernelINS0_13select_configILj256ELj13ELNS0_17block_load_methodE3ELS4_3ELS4_3ELNS0_20block_scan_algorithmE0ELj4294967295EEENS1_25partition_config_selectorILNS1_17partition_subalgoE3EjNS0_10empty_typeEbEEZZNS1_14partition_implILS8_3ELb0ES6_jNS0_17counting_iteratorIjlEEPS9_SE_NS0_5tupleIJPjSE_EEENSF_IJSE_SE_EEES9_SG_JZNS1_25segmented_radix_sort_implINS0_14default_configELb1EPKfPfPKlPlN2at6native12_GLOBAL__N_18offset_tEEE10hipError_tPvRmT1_PNSt15iterator_traitsISY_E10value_typeET2_T3_PNSZ_IS14_E10value_typeET4_jRbjT5_S1A_jjP12ihipStream_tbEUljE_EEESV_SW_SX_S14_S18_S1A_T6_T7_T9_mT8_S1C_bDpT10_ENKUlT_T0_E_clISt17integral_constantIbLb1EES1P_EEDaS1K_S1L_EUlS1K_E_NS1_11comp_targetILNS1_3genE4ELNS1_11target_archE910ELNS1_3gpuE8ELNS1_3repE0EEENS1_30default_config_static_selectorELNS0_4arch9wavefront6targetE0EEEvSY_,comdat
	.globl	_ZN7rocprim17ROCPRIM_400000_NS6detail17trampoline_kernelINS0_13select_configILj256ELj13ELNS0_17block_load_methodE3ELS4_3ELS4_3ELNS0_20block_scan_algorithmE0ELj4294967295EEENS1_25partition_config_selectorILNS1_17partition_subalgoE3EjNS0_10empty_typeEbEEZZNS1_14partition_implILS8_3ELb0ES6_jNS0_17counting_iteratorIjlEEPS9_SE_NS0_5tupleIJPjSE_EEENSF_IJSE_SE_EEES9_SG_JZNS1_25segmented_radix_sort_implINS0_14default_configELb1EPKfPfPKlPlN2at6native12_GLOBAL__N_18offset_tEEE10hipError_tPvRmT1_PNSt15iterator_traitsISY_E10value_typeET2_T3_PNSZ_IS14_E10value_typeET4_jRbjT5_S1A_jjP12ihipStream_tbEUljE_EEESV_SW_SX_S14_S18_S1A_T6_T7_T9_mT8_S1C_bDpT10_ENKUlT_T0_E_clISt17integral_constantIbLb1EES1P_EEDaS1K_S1L_EUlS1K_E_NS1_11comp_targetILNS1_3genE4ELNS1_11target_archE910ELNS1_3gpuE8ELNS1_3repE0EEENS1_30default_config_static_selectorELNS0_4arch9wavefront6targetE0EEEvSY_ ; -- Begin function _ZN7rocprim17ROCPRIM_400000_NS6detail17trampoline_kernelINS0_13select_configILj256ELj13ELNS0_17block_load_methodE3ELS4_3ELS4_3ELNS0_20block_scan_algorithmE0ELj4294967295EEENS1_25partition_config_selectorILNS1_17partition_subalgoE3EjNS0_10empty_typeEbEEZZNS1_14partition_implILS8_3ELb0ES6_jNS0_17counting_iteratorIjlEEPS9_SE_NS0_5tupleIJPjSE_EEENSF_IJSE_SE_EEES9_SG_JZNS1_25segmented_radix_sort_implINS0_14default_configELb1EPKfPfPKlPlN2at6native12_GLOBAL__N_18offset_tEEE10hipError_tPvRmT1_PNSt15iterator_traitsISY_E10value_typeET2_T3_PNSZ_IS14_E10value_typeET4_jRbjT5_S1A_jjP12ihipStream_tbEUljE_EEESV_SW_SX_S14_S18_S1A_T6_T7_T9_mT8_S1C_bDpT10_ENKUlT_T0_E_clISt17integral_constantIbLb1EES1P_EEDaS1K_S1L_EUlS1K_E_NS1_11comp_targetILNS1_3genE4ELNS1_11target_archE910ELNS1_3gpuE8ELNS1_3repE0EEENS1_30default_config_static_selectorELNS0_4arch9wavefront6targetE0EEEvSY_
	.p2align	8
	.type	_ZN7rocprim17ROCPRIM_400000_NS6detail17trampoline_kernelINS0_13select_configILj256ELj13ELNS0_17block_load_methodE3ELS4_3ELS4_3ELNS0_20block_scan_algorithmE0ELj4294967295EEENS1_25partition_config_selectorILNS1_17partition_subalgoE3EjNS0_10empty_typeEbEEZZNS1_14partition_implILS8_3ELb0ES6_jNS0_17counting_iteratorIjlEEPS9_SE_NS0_5tupleIJPjSE_EEENSF_IJSE_SE_EEES9_SG_JZNS1_25segmented_radix_sort_implINS0_14default_configELb1EPKfPfPKlPlN2at6native12_GLOBAL__N_18offset_tEEE10hipError_tPvRmT1_PNSt15iterator_traitsISY_E10value_typeET2_T3_PNSZ_IS14_E10value_typeET4_jRbjT5_S1A_jjP12ihipStream_tbEUljE_EEESV_SW_SX_S14_S18_S1A_T6_T7_T9_mT8_S1C_bDpT10_ENKUlT_T0_E_clISt17integral_constantIbLb1EES1P_EEDaS1K_S1L_EUlS1K_E_NS1_11comp_targetILNS1_3genE4ELNS1_11target_archE910ELNS1_3gpuE8ELNS1_3repE0EEENS1_30default_config_static_selectorELNS0_4arch9wavefront6targetE0EEEvSY_,@function
_ZN7rocprim17ROCPRIM_400000_NS6detail17trampoline_kernelINS0_13select_configILj256ELj13ELNS0_17block_load_methodE3ELS4_3ELS4_3ELNS0_20block_scan_algorithmE0ELj4294967295EEENS1_25partition_config_selectorILNS1_17partition_subalgoE3EjNS0_10empty_typeEbEEZZNS1_14partition_implILS8_3ELb0ES6_jNS0_17counting_iteratorIjlEEPS9_SE_NS0_5tupleIJPjSE_EEENSF_IJSE_SE_EEES9_SG_JZNS1_25segmented_radix_sort_implINS0_14default_configELb1EPKfPfPKlPlN2at6native12_GLOBAL__N_18offset_tEEE10hipError_tPvRmT1_PNSt15iterator_traitsISY_E10value_typeET2_T3_PNSZ_IS14_E10value_typeET4_jRbjT5_S1A_jjP12ihipStream_tbEUljE_EEESV_SW_SX_S14_S18_S1A_T6_T7_T9_mT8_S1C_bDpT10_ENKUlT_T0_E_clISt17integral_constantIbLb1EES1P_EEDaS1K_S1L_EUlS1K_E_NS1_11comp_targetILNS1_3genE4ELNS1_11target_archE910ELNS1_3gpuE8ELNS1_3repE0EEENS1_30default_config_static_selectorELNS0_4arch9wavefront6targetE0EEEvSY_: ; @_ZN7rocprim17ROCPRIM_400000_NS6detail17trampoline_kernelINS0_13select_configILj256ELj13ELNS0_17block_load_methodE3ELS4_3ELS4_3ELNS0_20block_scan_algorithmE0ELj4294967295EEENS1_25partition_config_selectorILNS1_17partition_subalgoE3EjNS0_10empty_typeEbEEZZNS1_14partition_implILS8_3ELb0ES6_jNS0_17counting_iteratorIjlEEPS9_SE_NS0_5tupleIJPjSE_EEENSF_IJSE_SE_EEES9_SG_JZNS1_25segmented_radix_sort_implINS0_14default_configELb1EPKfPfPKlPlN2at6native12_GLOBAL__N_18offset_tEEE10hipError_tPvRmT1_PNSt15iterator_traitsISY_E10value_typeET2_T3_PNSZ_IS14_E10value_typeET4_jRbjT5_S1A_jjP12ihipStream_tbEUljE_EEESV_SW_SX_S14_S18_S1A_T6_T7_T9_mT8_S1C_bDpT10_ENKUlT_T0_E_clISt17integral_constantIbLb1EES1P_EEDaS1K_S1L_EUlS1K_E_NS1_11comp_targetILNS1_3genE4ELNS1_11target_archE910ELNS1_3gpuE8ELNS1_3repE0EEENS1_30default_config_static_selectorELNS0_4arch9wavefront6targetE0EEEvSY_
; %bb.0:
	.section	.rodata,"a",@progbits
	.p2align	6, 0x0
	.amdhsa_kernel _ZN7rocprim17ROCPRIM_400000_NS6detail17trampoline_kernelINS0_13select_configILj256ELj13ELNS0_17block_load_methodE3ELS4_3ELS4_3ELNS0_20block_scan_algorithmE0ELj4294967295EEENS1_25partition_config_selectorILNS1_17partition_subalgoE3EjNS0_10empty_typeEbEEZZNS1_14partition_implILS8_3ELb0ES6_jNS0_17counting_iteratorIjlEEPS9_SE_NS0_5tupleIJPjSE_EEENSF_IJSE_SE_EEES9_SG_JZNS1_25segmented_radix_sort_implINS0_14default_configELb1EPKfPfPKlPlN2at6native12_GLOBAL__N_18offset_tEEE10hipError_tPvRmT1_PNSt15iterator_traitsISY_E10value_typeET2_T3_PNSZ_IS14_E10value_typeET4_jRbjT5_S1A_jjP12ihipStream_tbEUljE_EEESV_SW_SX_S14_S18_S1A_T6_T7_T9_mT8_S1C_bDpT10_ENKUlT_T0_E_clISt17integral_constantIbLb1EES1P_EEDaS1K_S1L_EUlS1K_E_NS1_11comp_targetILNS1_3genE4ELNS1_11target_archE910ELNS1_3gpuE8ELNS1_3repE0EEENS1_30default_config_static_selectorELNS0_4arch9wavefront6targetE0EEEvSY_
		.amdhsa_group_segment_fixed_size 0
		.amdhsa_private_segment_fixed_size 0
		.amdhsa_kernarg_size 152
		.amdhsa_user_sgpr_count 2
		.amdhsa_user_sgpr_dispatch_ptr 0
		.amdhsa_user_sgpr_queue_ptr 0
		.amdhsa_user_sgpr_kernarg_segment_ptr 1
		.amdhsa_user_sgpr_dispatch_id 0
		.amdhsa_user_sgpr_kernarg_preload_length 0
		.amdhsa_user_sgpr_kernarg_preload_offset 0
		.amdhsa_user_sgpr_private_segment_size 0
		.amdhsa_wavefront_size32 1
		.amdhsa_uses_dynamic_stack 0
		.amdhsa_enable_private_segment 0
		.amdhsa_system_sgpr_workgroup_id_x 1
		.amdhsa_system_sgpr_workgroup_id_y 0
		.amdhsa_system_sgpr_workgroup_id_z 0
		.amdhsa_system_sgpr_workgroup_info 0
		.amdhsa_system_vgpr_workitem_id 0
		.amdhsa_next_free_vgpr 1
		.amdhsa_next_free_sgpr 1
		.amdhsa_named_barrier_count 0
		.amdhsa_reserve_vcc 0
		.amdhsa_float_round_mode_32 0
		.amdhsa_float_round_mode_16_64 0
		.amdhsa_float_denorm_mode_32 3
		.amdhsa_float_denorm_mode_16_64 3
		.amdhsa_fp16_overflow 0
		.amdhsa_memory_ordered 1
		.amdhsa_forward_progress 1
		.amdhsa_inst_pref_size 0
		.amdhsa_round_robin_scheduling 0
		.amdhsa_exception_fp_ieee_invalid_op 0
		.amdhsa_exception_fp_denorm_src 0
		.amdhsa_exception_fp_ieee_div_zero 0
		.amdhsa_exception_fp_ieee_overflow 0
		.amdhsa_exception_fp_ieee_underflow 0
		.amdhsa_exception_fp_ieee_inexact 0
		.amdhsa_exception_int_div_zero 0
	.end_amdhsa_kernel
	.section	.text._ZN7rocprim17ROCPRIM_400000_NS6detail17trampoline_kernelINS0_13select_configILj256ELj13ELNS0_17block_load_methodE3ELS4_3ELS4_3ELNS0_20block_scan_algorithmE0ELj4294967295EEENS1_25partition_config_selectorILNS1_17partition_subalgoE3EjNS0_10empty_typeEbEEZZNS1_14partition_implILS8_3ELb0ES6_jNS0_17counting_iteratorIjlEEPS9_SE_NS0_5tupleIJPjSE_EEENSF_IJSE_SE_EEES9_SG_JZNS1_25segmented_radix_sort_implINS0_14default_configELb1EPKfPfPKlPlN2at6native12_GLOBAL__N_18offset_tEEE10hipError_tPvRmT1_PNSt15iterator_traitsISY_E10value_typeET2_T3_PNSZ_IS14_E10value_typeET4_jRbjT5_S1A_jjP12ihipStream_tbEUljE_EEESV_SW_SX_S14_S18_S1A_T6_T7_T9_mT8_S1C_bDpT10_ENKUlT_T0_E_clISt17integral_constantIbLb1EES1P_EEDaS1K_S1L_EUlS1K_E_NS1_11comp_targetILNS1_3genE4ELNS1_11target_archE910ELNS1_3gpuE8ELNS1_3repE0EEENS1_30default_config_static_selectorELNS0_4arch9wavefront6targetE0EEEvSY_,"axG",@progbits,_ZN7rocprim17ROCPRIM_400000_NS6detail17trampoline_kernelINS0_13select_configILj256ELj13ELNS0_17block_load_methodE3ELS4_3ELS4_3ELNS0_20block_scan_algorithmE0ELj4294967295EEENS1_25partition_config_selectorILNS1_17partition_subalgoE3EjNS0_10empty_typeEbEEZZNS1_14partition_implILS8_3ELb0ES6_jNS0_17counting_iteratorIjlEEPS9_SE_NS0_5tupleIJPjSE_EEENSF_IJSE_SE_EEES9_SG_JZNS1_25segmented_radix_sort_implINS0_14default_configELb1EPKfPfPKlPlN2at6native12_GLOBAL__N_18offset_tEEE10hipError_tPvRmT1_PNSt15iterator_traitsISY_E10value_typeET2_T3_PNSZ_IS14_E10value_typeET4_jRbjT5_S1A_jjP12ihipStream_tbEUljE_EEESV_SW_SX_S14_S18_S1A_T6_T7_T9_mT8_S1C_bDpT10_ENKUlT_T0_E_clISt17integral_constantIbLb1EES1P_EEDaS1K_S1L_EUlS1K_E_NS1_11comp_targetILNS1_3genE4ELNS1_11target_archE910ELNS1_3gpuE8ELNS1_3repE0EEENS1_30default_config_static_selectorELNS0_4arch9wavefront6targetE0EEEvSY_,comdat
.Lfunc_end1297:
	.size	_ZN7rocprim17ROCPRIM_400000_NS6detail17trampoline_kernelINS0_13select_configILj256ELj13ELNS0_17block_load_methodE3ELS4_3ELS4_3ELNS0_20block_scan_algorithmE0ELj4294967295EEENS1_25partition_config_selectorILNS1_17partition_subalgoE3EjNS0_10empty_typeEbEEZZNS1_14partition_implILS8_3ELb0ES6_jNS0_17counting_iteratorIjlEEPS9_SE_NS0_5tupleIJPjSE_EEENSF_IJSE_SE_EEES9_SG_JZNS1_25segmented_radix_sort_implINS0_14default_configELb1EPKfPfPKlPlN2at6native12_GLOBAL__N_18offset_tEEE10hipError_tPvRmT1_PNSt15iterator_traitsISY_E10value_typeET2_T3_PNSZ_IS14_E10value_typeET4_jRbjT5_S1A_jjP12ihipStream_tbEUljE_EEESV_SW_SX_S14_S18_S1A_T6_T7_T9_mT8_S1C_bDpT10_ENKUlT_T0_E_clISt17integral_constantIbLb1EES1P_EEDaS1K_S1L_EUlS1K_E_NS1_11comp_targetILNS1_3genE4ELNS1_11target_archE910ELNS1_3gpuE8ELNS1_3repE0EEENS1_30default_config_static_selectorELNS0_4arch9wavefront6targetE0EEEvSY_, .Lfunc_end1297-_ZN7rocprim17ROCPRIM_400000_NS6detail17trampoline_kernelINS0_13select_configILj256ELj13ELNS0_17block_load_methodE3ELS4_3ELS4_3ELNS0_20block_scan_algorithmE0ELj4294967295EEENS1_25partition_config_selectorILNS1_17partition_subalgoE3EjNS0_10empty_typeEbEEZZNS1_14partition_implILS8_3ELb0ES6_jNS0_17counting_iteratorIjlEEPS9_SE_NS0_5tupleIJPjSE_EEENSF_IJSE_SE_EEES9_SG_JZNS1_25segmented_radix_sort_implINS0_14default_configELb1EPKfPfPKlPlN2at6native12_GLOBAL__N_18offset_tEEE10hipError_tPvRmT1_PNSt15iterator_traitsISY_E10value_typeET2_T3_PNSZ_IS14_E10value_typeET4_jRbjT5_S1A_jjP12ihipStream_tbEUljE_EEESV_SW_SX_S14_S18_S1A_T6_T7_T9_mT8_S1C_bDpT10_ENKUlT_T0_E_clISt17integral_constantIbLb1EES1P_EEDaS1K_S1L_EUlS1K_E_NS1_11comp_targetILNS1_3genE4ELNS1_11target_archE910ELNS1_3gpuE8ELNS1_3repE0EEENS1_30default_config_static_selectorELNS0_4arch9wavefront6targetE0EEEvSY_
                                        ; -- End function
	.set _ZN7rocprim17ROCPRIM_400000_NS6detail17trampoline_kernelINS0_13select_configILj256ELj13ELNS0_17block_load_methodE3ELS4_3ELS4_3ELNS0_20block_scan_algorithmE0ELj4294967295EEENS1_25partition_config_selectorILNS1_17partition_subalgoE3EjNS0_10empty_typeEbEEZZNS1_14partition_implILS8_3ELb0ES6_jNS0_17counting_iteratorIjlEEPS9_SE_NS0_5tupleIJPjSE_EEENSF_IJSE_SE_EEES9_SG_JZNS1_25segmented_radix_sort_implINS0_14default_configELb1EPKfPfPKlPlN2at6native12_GLOBAL__N_18offset_tEEE10hipError_tPvRmT1_PNSt15iterator_traitsISY_E10value_typeET2_T3_PNSZ_IS14_E10value_typeET4_jRbjT5_S1A_jjP12ihipStream_tbEUljE_EEESV_SW_SX_S14_S18_S1A_T6_T7_T9_mT8_S1C_bDpT10_ENKUlT_T0_E_clISt17integral_constantIbLb1EES1P_EEDaS1K_S1L_EUlS1K_E_NS1_11comp_targetILNS1_3genE4ELNS1_11target_archE910ELNS1_3gpuE8ELNS1_3repE0EEENS1_30default_config_static_selectorELNS0_4arch9wavefront6targetE0EEEvSY_.num_vgpr, 0
	.set _ZN7rocprim17ROCPRIM_400000_NS6detail17trampoline_kernelINS0_13select_configILj256ELj13ELNS0_17block_load_methodE3ELS4_3ELS4_3ELNS0_20block_scan_algorithmE0ELj4294967295EEENS1_25partition_config_selectorILNS1_17partition_subalgoE3EjNS0_10empty_typeEbEEZZNS1_14partition_implILS8_3ELb0ES6_jNS0_17counting_iteratorIjlEEPS9_SE_NS0_5tupleIJPjSE_EEENSF_IJSE_SE_EEES9_SG_JZNS1_25segmented_radix_sort_implINS0_14default_configELb1EPKfPfPKlPlN2at6native12_GLOBAL__N_18offset_tEEE10hipError_tPvRmT1_PNSt15iterator_traitsISY_E10value_typeET2_T3_PNSZ_IS14_E10value_typeET4_jRbjT5_S1A_jjP12ihipStream_tbEUljE_EEESV_SW_SX_S14_S18_S1A_T6_T7_T9_mT8_S1C_bDpT10_ENKUlT_T0_E_clISt17integral_constantIbLb1EES1P_EEDaS1K_S1L_EUlS1K_E_NS1_11comp_targetILNS1_3genE4ELNS1_11target_archE910ELNS1_3gpuE8ELNS1_3repE0EEENS1_30default_config_static_selectorELNS0_4arch9wavefront6targetE0EEEvSY_.num_agpr, 0
	.set _ZN7rocprim17ROCPRIM_400000_NS6detail17trampoline_kernelINS0_13select_configILj256ELj13ELNS0_17block_load_methodE3ELS4_3ELS4_3ELNS0_20block_scan_algorithmE0ELj4294967295EEENS1_25partition_config_selectorILNS1_17partition_subalgoE3EjNS0_10empty_typeEbEEZZNS1_14partition_implILS8_3ELb0ES6_jNS0_17counting_iteratorIjlEEPS9_SE_NS0_5tupleIJPjSE_EEENSF_IJSE_SE_EEES9_SG_JZNS1_25segmented_radix_sort_implINS0_14default_configELb1EPKfPfPKlPlN2at6native12_GLOBAL__N_18offset_tEEE10hipError_tPvRmT1_PNSt15iterator_traitsISY_E10value_typeET2_T3_PNSZ_IS14_E10value_typeET4_jRbjT5_S1A_jjP12ihipStream_tbEUljE_EEESV_SW_SX_S14_S18_S1A_T6_T7_T9_mT8_S1C_bDpT10_ENKUlT_T0_E_clISt17integral_constantIbLb1EES1P_EEDaS1K_S1L_EUlS1K_E_NS1_11comp_targetILNS1_3genE4ELNS1_11target_archE910ELNS1_3gpuE8ELNS1_3repE0EEENS1_30default_config_static_selectorELNS0_4arch9wavefront6targetE0EEEvSY_.numbered_sgpr, 0
	.set _ZN7rocprim17ROCPRIM_400000_NS6detail17trampoline_kernelINS0_13select_configILj256ELj13ELNS0_17block_load_methodE3ELS4_3ELS4_3ELNS0_20block_scan_algorithmE0ELj4294967295EEENS1_25partition_config_selectorILNS1_17partition_subalgoE3EjNS0_10empty_typeEbEEZZNS1_14partition_implILS8_3ELb0ES6_jNS0_17counting_iteratorIjlEEPS9_SE_NS0_5tupleIJPjSE_EEENSF_IJSE_SE_EEES9_SG_JZNS1_25segmented_radix_sort_implINS0_14default_configELb1EPKfPfPKlPlN2at6native12_GLOBAL__N_18offset_tEEE10hipError_tPvRmT1_PNSt15iterator_traitsISY_E10value_typeET2_T3_PNSZ_IS14_E10value_typeET4_jRbjT5_S1A_jjP12ihipStream_tbEUljE_EEESV_SW_SX_S14_S18_S1A_T6_T7_T9_mT8_S1C_bDpT10_ENKUlT_T0_E_clISt17integral_constantIbLb1EES1P_EEDaS1K_S1L_EUlS1K_E_NS1_11comp_targetILNS1_3genE4ELNS1_11target_archE910ELNS1_3gpuE8ELNS1_3repE0EEENS1_30default_config_static_selectorELNS0_4arch9wavefront6targetE0EEEvSY_.num_named_barrier, 0
	.set _ZN7rocprim17ROCPRIM_400000_NS6detail17trampoline_kernelINS0_13select_configILj256ELj13ELNS0_17block_load_methodE3ELS4_3ELS4_3ELNS0_20block_scan_algorithmE0ELj4294967295EEENS1_25partition_config_selectorILNS1_17partition_subalgoE3EjNS0_10empty_typeEbEEZZNS1_14partition_implILS8_3ELb0ES6_jNS0_17counting_iteratorIjlEEPS9_SE_NS0_5tupleIJPjSE_EEENSF_IJSE_SE_EEES9_SG_JZNS1_25segmented_radix_sort_implINS0_14default_configELb1EPKfPfPKlPlN2at6native12_GLOBAL__N_18offset_tEEE10hipError_tPvRmT1_PNSt15iterator_traitsISY_E10value_typeET2_T3_PNSZ_IS14_E10value_typeET4_jRbjT5_S1A_jjP12ihipStream_tbEUljE_EEESV_SW_SX_S14_S18_S1A_T6_T7_T9_mT8_S1C_bDpT10_ENKUlT_T0_E_clISt17integral_constantIbLb1EES1P_EEDaS1K_S1L_EUlS1K_E_NS1_11comp_targetILNS1_3genE4ELNS1_11target_archE910ELNS1_3gpuE8ELNS1_3repE0EEENS1_30default_config_static_selectorELNS0_4arch9wavefront6targetE0EEEvSY_.private_seg_size, 0
	.set _ZN7rocprim17ROCPRIM_400000_NS6detail17trampoline_kernelINS0_13select_configILj256ELj13ELNS0_17block_load_methodE3ELS4_3ELS4_3ELNS0_20block_scan_algorithmE0ELj4294967295EEENS1_25partition_config_selectorILNS1_17partition_subalgoE3EjNS0_10empty_typeEbEEZZNS1_14partition_implILS8_3ELb0ES6_jNS0_17counting_iteratorIjlEEPS9_SE_NS0_5tupleIJPjSE_EEENSF_IJSE_SE_EEES9_SG_JZNS1_25segmented_radix_sort_implINS0_14default_configELb1EPKfPfPKlPlN2at6native12_GLOBAL__N_18offset_tEEE10hipError_tPvRmT1_PNSt15iterator_traitsISY_E10value_typeET2_T3_PNSZ_IS14_E10value_typeET4_jRbjT5_S1A_jjP12ihipStream_tbEUljE_EEESV_SW_SX_S14_S18_S1A_T6_T7_T9_mT8_S1C_bDpT10_ENKUlT_T0_E_clISt17integral_constantIbLb1EES1P_EEDaS1K_S1L_EUlS1K_E_NS1_11comp_targetILNS1_3genE4ELNS1_11target_archE910ELNS1_3gpuE8ELNS1_3repE0EEENS1_30default_config_static_selectorELNS0_4arch9wavefront6targetE0EEEvSY_.uses_vcc, 0
	.set _ZN7rocprim17ROCPRIM_400000_NS6detail17trampoline_kernelINS0_13select_configILj256ELj13ELNS0_17block_load_methodE3ELS4_3ELS4_3ELNS0_20block_scan_algorithmE0ELj4294967295EEENS1_25partition_config_selectorILNS1_17partition_subalgoE3EjNS0_10empty_typeEbEEZZNS1_14partition_implILS8_3ELb0ES6_jNS0_17counting_iteratorIjlEEPS9_SE_NS0_5tupleIJPjSE_EEENSF_IJSE_SE_EEES9_SG_JZNS1_25segmented_radix_sort_implINS0_14default_configELb1EPKfPfPKlPlN2at6native12_GLOBAL__N_18offset_tEEE10hipError_tPvRmT1_PNSt15iterator_traitsISY_E10value_typeET2_T3_PNSZ_IS14_E10value_typeET4_jRbjT5_S1A_jjP12ihipStream_tbEUljE_EEESV_SW_SX_S14_S18_S1A_T6_T7_T9_mT8_S1C_bDpT10_ENKUlT_T0_E_clISt17integral_constantIbLb1EES1P_EEDaS1K_S1L_EUlS1K_E_NS1_11comp_targetILNS1_3genE4ELNS1_11target_archE910ELNS1_3gpuE8ELNS1_3repE0EEENS1_30default_config_static_selectorELNS0_4arch9wavefront6targetE0EEEvSY_.uses_flat_scratch, 0
	.set _ZN7rocprim17ROCPRIM_400000_NS6detail17trampoline_kernelINS0_13select_configILj256ELj13ELNS0_17block_load_methodE3ELS4_3ELS4_3ELNS0_20block_scan_algorithmE0ELj4294967295EEENS1_25partition_config_selectorILNS1_17partition_subalgoE3EjNS0_10empty_typeEbEEZZNS1_14partition_implILS8_3ELb0ES6_jNS0_17counting_iteratorIjlEEPS9_SE_NS0_5tupleIJPjSE_EEENSF_IJSE_SE_EEES9_SG_JZNS1_25segmented_radix_sort_implINS0_14default_configELb1EPKfPfPKlPlN2at6native12_GLOBAL__N_18offset_tEEE10hipError_tPvRmT1_PNSt15iterator_traitsISY_E10value_typeET2_T3_PNSZ_IS14_E10value_typeET4_jRbjT5_S1A_jjP12ihipStream_tbEUljE_EEESV_SW_SX_S14_S18_S1A_T6_T7_T9_mT8_S1C_bDpT10_ENKUlT_T0_E_clISt17integral_constantIbLb1EES1P_EEDaS1K_S1L_EUlS1K_E_NS1_11comp_targetILNS1_3genE4ELNS1_11target_archE910ELNS1_3gpuE8ELNS1_3repE0EEENS1_30default_config_static_selectorELNS0_4arch9wavefront6targetE0EEEvSY_.has_dyn_sized_stack, 0
	.set _ZN7rocprim17ROCPRIM_400000_NS6detail17trampoline_kernelINS0_13select_configILj256ELj13ELNS0_17block_load_methodE3ELS4_3ELS4_3ELNS0_20block_scan_algorithmE0ELj4294967295EEENS1_25partition_config_selectorILNS1_17partition_subalgoE3EjNS0_10empty_typeEbEEZZNS1_14partition_implILS8_3ELb0ES6_jNS0_17counting_iteratorIjlEEPS9_SE_NS0_5tupleIJPjSE_EEENSF_IJSE_SE_EEES9_SG_JZNS1_25segmented_radix_sort_implINS0_14default_configELb1EPKfPfPKlPlN2at6native12_GLOBAL__N_18offset_tEEE10hipError_tPvRmT1_PNSt15iterator_traitsISY_E10value_typeET2_T3_PNSZ_IS14_E10value_typeET4_jRbjT5_S1A_jjP12ihipStream_tbEUljE_EEESV_SW_SX_S14_S18_S1A_T6_T7_T9_mT8_S1C_bDpT10_ENKUlT_T0_E_clISt17integral_constantIbLb1EES1P_EEDaS1K_S1L_EUlS1K_E_NS1_11comp_targetILNS1_3genE4ELNS1_11target_archE910ELNS1_3gpuE8ELNS1_3repE0EEENS1_30default_config_static_selectorELNS0_4arch9wavefront6targetE0EEEvSY_.has_recursion, 0
	.set _ZN7rocprim17ROCPRIM_400000_NS6detail17trampoline_kernelINS0_13select_configILj256ELj13ELNS0_17block_load_methodE3ELS4_3ELS4_3ELNS0_20block_scan_algorithmE0ELj4294967295EEENS1_25partition_config_selectorILNS1_17partition_subalgoE3EjNS0_10empty_typeEbEEZZNS1_14partition_implILS8_3ELb0ES6_jNS0_17counting_iteratorIjlEEPS9_SE_NS0_5tupleIJPjSE_EEENSF_IJSE_SE_EEES9_SG_JZNS1_25segmented_radix_sort_implINS0_14default_configELb1EPKfPfPKlPlN2at6native12_GLOBAL__N_18offset_tEEE10hipError_tPvRmT1_PNSt15iterator_traitsISY_E10value_typeET2_T3_PNSZ_IS14_E10value_typeET4_jRbjT5_S1A_jjP12ihipStream_tbEUljE_EEESV_SW_SX_S14_S18_S1A_T6_T7_T9_mT8_S1C_bDpT10_ENKUlT_T0_E_clISt17integral_constantIbLb1EES1P_EEDaS1K_S1L_EUlS1K_E_NS1_11comp_targetILNS1_3genE4ELNS1_11target_archE910ELNS1_3gpuE8ELNS1_3repE0EEENS1_30default_config_static_selectorELNS0_4arch9wavefront6targetE0EEEvSY_.has_indirect_call, 0
	.section	.AMDGPU.csdata,"",@progbits
; Kernel info:
; codeLenInByte = 0
; TotalNumSgprs: 0
; NumVgprs: 0
; ScratchSize: 0
; MemoryBound: 0
; FloatMode: 240
; IeeeMode: 1
; LDSByteSize: 0 bytes/workgroup (compile time only)
; SGPRBlocks: 0
; VGPRBlocks: 0
; NumSGPRsForWavesPerEU: 1
; NumVGPRsForWavesPerEU: 1
; NamedBarCnt: 0
; Occupancy: 16
; WaveLimiterHint : 0
; COMPUTE_PGM_RSRC2:SCRATCH_EN: 0
; COMPUTE_PGM_RSRC2:USER_SGPR: 2
; COMPUTE_PGM_RSRC2:TRAP_HANDLER: 0
; COMPUTE_PGM_RSRC2:TGID_X_EN: 1
; COMPUTE_PGM_RSRC2:TGID_Y_EN: 0
; COMPUTE_PGM_RSRC2:TGID_Z_EN: 0
; COMPUTE_PGM_RSRC2:TIDIG_COMP_CNT: 0
	.section	.text._ZN7rocprim17ROCPRIM_400000_NS6detail17trampoline_kernelINS0_13select_configILj256ELj13ELNS0_17block_load_methodE3ELS4_3ELS4_3ELNS0_20block_scan_algorithmE0ELj4294967295EEENS1_25partition_config_selectorILNS1_17partition_subalgoE3EjNS0_10empty_typeEbEEZZNS1_14partition_implILS8_3ELb0ES6_jNS0_17counting_iteratorIjlEEPS9_SE_NS0_5tupleIJPjSE_EEENSF_IJSE_SE_EEES9_SG_JZNS1_25segmented_radix_sort_implINS0_14default_configELb1EPKfPfPKlPlN2at6native12_GLOBAL__N_18offset_tEEE10hipError_tPvRmT1_PNSt15iterator_traitsISY_E10value_typeET2_T3_PNSZ_IS14_E10value_typeET4_jRbjT5_S1A_jjP12ihipStream_tbEUljE_EEESV_SW_SX_S14_S18_S1A_T6_T7_T9_mT8_S1C_bDpT10_ENKUlT_T0_E_clISt17integral_constantIbLb1EES1P_EEDaS1K_S1L_EUlS1K_E_NS1_11comp_targetILNS1_3genE3ELNS1_11target_archE908ELNS1_3gpuE7ELNS1_3repE0EEENS1_30default_config_static_selectorELNS0_4arch9wavefront6targetE0EEEvSY_,"axG",@progbits,_ZN7rocprim17ROCPRIM_400000_NS6detail17trampoline_kernelINS0_13select_configILj256ELj13ELNS0_17block_load_methodE3ELS4_3ELS4_3ELNS0_20block_scan_algorithmE0ELj4294967295EEENS1_25partition_config_selectorILNS1_17partition_subalgoE3EjNS0_10empty_typeEbEEZZNS1_14partition_implILS8_3ELb0ES6_jNS0_17counting_iteratorIjlEEPS9_SE_NS0_5tupleIJPjSE_EEENSF_IJSE_SE_EEES9_SG_JZNS1_25segmented_radix_sort_implINS0_14default_configELb1EPKfPfPKlPlN2at6native12_GLOBAL__N_18offset_tEEE10hipError_tPvRmT1_PNSt15iterator_traitsISY_E10value_typeET2_T3_PNSZ_IS14_E10value_typeET4_jRbjT5_S1A_jjP12ihipStream_tbEUljE_EEESV_SW_SX_S14_S18_S1A_T6_T7_T9_mT8_S1C_bDpT10_ENKUlT_T0_E_clISt17integral_constantIbLb1EES1P_EEDaS1K_S1L_EUlS1K_E_NS1_11comp_targetILNS1_3genE3ELNS1_11target_archE908ELNS1_3gpuE7ELNS1_3repE0EEENS1_30default_config_static_selectorELNS0_4arch9wavefront6targetE0EEEvSY_,comdat
	.globl	_ZN7rocprim17ROCPRIM_400000_NS6detail17trampoline_kernelINS0_13select_configILj256ELj13ELNS0_17block_load_methodE3ELS4_3ELS4_3ELNS0_20block_scan_algorithmE0ELj4294967295EEENS1_25partition_config_selectorILNS1_17partition_subalgoE3EjNS0_10empty_typeEbEEZZNS1_14partition_implILS8_3ELb0ES6_jNS0_17counting_iteratorIjlEEPS9_SE_NS0_5tupleIJPjSE_EEENSF_IJSE_SE_EEES9_SG_JZNS1_25segmented_radix_sort_implINS0_14default_configELb1EPKfPfPKlPlN2at6native12_GLOBAL__N_18offset_tEEE10hipError_tPvRmT1_PNSt15iterator_traitsISY_E10value_typeET2_T3_PNSZ_IS14_E10value_typeET4_jRbjT5_S1A_jjP12ihipStream_tbEUljE_EEESV_SW_SX_S14_S18_S1A_T6_T7_T9_mT8_S1C_bDpT10_ENKUlT_T0_E_clISt17integral_constantIbLb1EES1P_EEDaS1K_S1L_EUlS1K_E_NS1_11comp_targetILNS1_3genE3ELNS1_11target_archE908ELNS1_3gpuE7ELNS1_3repE0EEENS1_30default_config_static_selectorELNS0_4arch9wavefront6targetE0EEEvSY_ ; -- Begin function _ZN7rocprim17ROCPRIM_400000_NS6detail17trampoline_kernelINS0_13select_configILj256ELj13ELNS0_17block_load_methodE3ELS4_3ELS4_3ELNS0_20block_scan_algorithmE0ELj4294967295EEENS1_25partition_config_selectorILNS1_17partition_subalgoE3EjNS0_10empty_typeEbEEZZNS1_14partition_implILS8_3ELb0ES6_jNS0_17counting_iteratorIjlEEPS9_SE_NS0_5tupleIJPjSE_EEENSF_IJSE_SE_EEES9_SG_JZNS1_25segmented_radix_sort_implINS0_14default_configELb1EPKfPfPKlPlN2at6native12_GLOBAL__N_18offset_tEEE10hipError_tPvRmT1_PNSt15iterator_traitsISY_E10value_typeET2_T3_PNSZ_IS14_E10value_typeET4_jRbjT5_S1A_jjP12ihipStream_tbEUljE_EEESV_SW_SX_S14_S18_S1A_T6_T7_T9_mT8_S1C_bDpT10_ENKUlT_T0_E_clISt17integral_constantIbLb1EES1P_EEDaS1K_S1L_EUlS1K_E_NS1_11comp_targetILNS1_3genE3ELNS1_11target_archE908ELNS1_3gpuE7ELNS1_3repE0EEENS1_30default_config_static_selectorELNS0_4arch9wavefront6targetE0EEEvSY_
	.p2align	8
	.type	_ZN7rocprim17ROCPRIM_400000_NS6detail17trampoline_kernelINS0_13select_configILj256ELj13ELNS0_17block_load_methodE3ELS4_3ELS4_3ELNS0_20block_scan_algorithmE0ELj4294967295EEENS1_25partition_config_selectorILNS1_17partition_subalgoE3EjNS0_10empty_typeEbEEZZNS1_14partition_implILS8_3ELb0ES6_jNS0_17counting_iteratorIjlEEPS9_SE_NS0_5tupleIJPjSE_EEENSF_IJSE_SE_EEES9_SG_JZNS1_25segmented_radix_sort_implINS0_14default_configELb1EPKfPfPKlPlN2at6native12_GLOBAL__N_18offset_tEEE10hipError_tPvRmT1_PNSt15iterator_traitsISY_E10value_typeET2_T3_PNSZ_IS14_E10value_typeET4_jRbjT5_S1A_jjP12ihipStream_tbEUljE_EEESV_SW_SX_S14_S18_S1A_T6_T7_T9_mT8_S1C_bDpT10_ENKUlT_T0_E_clISt17integral_constantIbLb1EES1P_EEDaS1K_S1L_EUlS1K_E_NS1_11comp_targetILNS1_3genE3ELNS1_11target_archE908ELNS1_3gpuE7ELNS1_3repE0EEENS1_30default_config_static_selectorELNS0_4arch9wavefront6targetE0EEEvSY_,@function
_ZN7rocprim17ROCPRIM_400000_NS6detail17trampoline_kernelINS0_13select_configILj256ELj13ELNS0_17block_load_methodE3ELS4_3ELS4_3ELNS0_20block_scan_algorithmE0ELj4294967295EEENS1_25partition_config_selectorILNS1_17partition_subalgoE3EjNS0_10empty_typeEbEEZZNS1_14partition_implILS8_3ELb0ES6_jNS0_17counting_iteratorIjlEEPS9_SE_NS0_5tupleIJPjSE_EEENSF_IJSE_SE_EEES9_SG_JZNS1_25segmented_radix_sort_implINS0_14default_configELb1EPKfPfPKlPlN2at6native12_GLOBAL__N_18offset_tEEE10hipError_tPvRmT1_PNSt15iterator_traitsISY_E10value_typeET2_T3_PNSZ_IS14_E10value_typeET4_jRbjT5_S1A_jjP12ihipStream_tbEUljE_EEESV_SW_SX_S14_S18_S1A_T6_T7_T9_mT8_S1C_bDpT10_ENKUlT_T0_E_clISt17integral_constantIbLb1EES1P_EEDaS1K_S1L_EUlS1K_E_NS1_11comp_targetILNS1_3genE3ELNS1_11target_archE908ELNS1_3gpuE7ELNS1_3repE0EEENS1_30default_config_static_selectorELNS0_4arch9wavefront6targetE0EEEvSY_: ; @_ZN7rocprim17ROCPRIM_400000_NS6detail17trampoline_kernelINS0_13select_configILj256ELj13ELNS0_17block_load_methodE3ELS4_3ELS4_3ELNS0_20block_scan_algorithmE0ELj4294967295EEENS1_25partition_config_selectorILNS1_17partition_subalgoE3EjNS0_10empty_typeEbEEZZNS1_14partition_implILS8_3ELb0ES6_jNS0_17counting_iteratorIjlEEPS9_SE_NS0_5tupleIJPjSE_EEENSF_IJSE_SE_EEES9_SG_JZNS1_25segmented_radix_sort_implINS0_14default_configELb1EPKfPfPKlPlN2at6native12_GLOBAL__N_18offset_tEEE10hipError_tPvRmT1_PNSt15iterator_traitsISY_E10value_typeET2_T3_PNSZ_IS14_E10value_typeET4_jRbjT5_S1A_jjP12ihipStream_tbEUljE_EEESV_SW_SX_S14_S18_S1A_T6_T7_T9_mT8_S1C_bDpT10_ENKUlT_T0_E_clISt17integral_constantIbLb1EES1P_EEDaS1K_S1L_EUlS1K_E_NS1_11comp_targetILNS1_3genE3ELNS1_11target_archE908ELNS1_3gpuE7ELNS1_3repE0EEENS1_30default_config_static_selectorELNS0_4arch9wavefront6targetE0EEEvSY_
; %bb.0:
	.section	.rodata,"a",@progbits
	.p2align	6, 0x0
	.amdhsa_kernel _ZN7rocprim17ROCPRIM_400000_NS6detail17trampoline_kernelINS0_13select_configILj256ELj13ELNS0_17block_load_methodE3ELS4_3ELS4_3ELNS0_20block_scan_algorithmE0ELj4294967295EEENS1_25partition_config_selectorILNS1_17partition_subalgoE3EjNS0_10empty_typeEbEEZZNS1_14partition_implILS8_3ELb0ES6_jNS0_17counting_iteratorIjlEEPS9_SE_NS0_5tupleIJPjSE_EEENSF_IJSE_SE_EEES9_SG_JZNS1_25segmented_radix_sort_implINS0_14default_configELb1EPKfPfPKlPlN2at6native12_GLOBAL__N_18offset_tEEE10hipError_tPvRmT1_PNSt15iterator_traitsISY_E10value_typeET2_T3_PNSZ_IS14_E10value_typeET4_jRbjT5_S1A_jjP12ihipStream_tbEUljE_EEESV_SW_SX_S14_S18_S1A_T6_T7_T9_mT8_S1C_bDpT10_ENKUlT_T0_E_clISt17integral_constantIbLb1EES1P_EEDaS1K_S1L_EUlS1K_E_NS1_11comp_targetILNS1_3genE3ELNS1_11target_archE908ELNS1_3gpuE7ELNS1_3repE0EEENS1_30default_config_static_selectorELNS0_4arch9wavefront6targetE0EEEvSY_
		.amdhsa_group_segment_fixed_size 0
		.amdhsa_private_segment_fixed_size 0
		.amdhsa_kernarg_size 152
		.amdhsa_user_sgpr_count 2
		.amdhsa_user_sgpr_dispatch_ptr 0
		.amdhsa_user_sgpr_queue_ptr 0
		.amdhsa_user_sgpr_kernarg_segment_ptr 1
		.amdhsa_user_sgpr_dispatch_id 0
		.amdhsa_user_sgpr_kernarg_preload_length 0
		.amdhsa_user_sgpr_kernarg_preload_offset 0
		.amdhsa_user_sgpr_private_segment_size 0
		.amdhsa_wavefront_size32 1
		.amdhsa_uses_dynamic_stack 0
		.amdhsa_enable_private_segment 0
		.amdhsa_system_sgpr_workgroup_id_x 1
		.amdhsa_system_sgpr_workgroup_id_y 0
		.amdhsa_system_sgpr_workgroup_id_z 0
		.amdhsa_system_sgpr_workgroup_info 0
		.amdhsa_system_vgpr_workitem_id 0
		.amdhsa_next_free_vgpr 1
		.amdhsa_next_free_sgpr 1
		.amdhsa_named_barrier_count 0
		.amdhsa_reserve_vcc 0
		.amdhsa_float_round_mode_32 0
		.amdhsa_float_round_mode_16_64 0
		.amdhsa_float_denorm_mode_32 3
		.amdhsa_float_denorm_mode_16_64 3
		.amdhsa_fp16_overflow 0
		.amdhsa_memory_ordered 1
		.amdhsa_forward_progress 1
		.amdhsa_inst_pref_size 0
		.amdhsa_round_robin_scheduling 0
		.amdhsa_exception_fp_ieee_invalid_op 0
		.amdhsa_exception_fp_denorm_src 0
		.amdhsa_exception_fp_ieee_div_zero 0
		.amdhsa_exception_fp_ieee_overflow 0
		.amdhsa_exception_fp_ieee_underflow 0
		.amdhsa_exception_fp_ieee_inexact 0
		.amdhsa_exception_int_div_zero 0
	.end_amdhsa_kernel
	.section	.text._ZN7rocprim17ROCPRIM_400000_NS6detail17trampoline_kernelINS0_13select_configILj256ELj13ELNS0_17block_load_methodE3ELS4_3ELS4_3ELNS0_20block_scan_algorithmE0ELj4294967295EEENS1_25partition_config_selectorILNS1_17partition_subalgoE3EjNS0_10empty_typeEbEEZZNS1_14partition_implILS8_3ELb0ES6_jNS0_17counting_iteratorIjlEEPS9_SE_NS0_5tupleIJPjSE_EEENSF_IJSE_SE_EEES9_SG_JZNS1_25segmented_radix_sort_implINS0_14default_configELb1EPKfPfPKlPlN2at6native12_GLOBAL__N_18offset_tEEE10hipError_tPvRmT1_PNSt15iterator_traitsISY_E10value_typeET2_T3_PNSZ_IS14_E10value_typeET4_jRbjT5_S1A_jjP12ihipStream_tbEUljE_EEESV_SW_SX_S14_S18_S1A_T6_T7_T9_mT8_S1C_bDpT10_ENKUlT_T0_E_clISt17integral_constantIbLb1EES1P_EEDaS1K_S1L_EUlS1K_E_NS1_11comp_targetILNS1_3genE3ELNS1_11target_archE908ELNS1_3gpuE7ELNS1_3repE0EEENS1_30default_config_static_selectorELNS0_4arch9wavefront6targetE0EEEvSY_,"axG",@progbits,_ZN7rocprim17ROCPRIM_400000_NS6detail17trampoline_kernelINS0_13select_configILj256ELj13ELNS0_17block_load_methodE3ELS4_3ELS4_3ELNS0_20block_scan_algorithmE0ELj4294967295EEENS1_25partition_config_selectorILNS1_17partition_subalgoE3EjNS0_10empty_typeEbEEZZNS1_14partition_implILS8_3ELb0ES6_jNS0_17counting_iteratorIjlEEPS9_SE_NS0_5tupleIJPjSE_EEENSF_IJSE_SE_EEES9_SG_JZNS1_25segmented_radix_sort_implINS0_14default_configELb1EPKfPfPKlPlN2at6native12_GLOBAL__N_18offset_tEEE10hipError_tPvRmT1_PNSt15iterator_traitsISY_E10value_typeET2_T3_PNSZ_IS14_E10value_typeET4_jRbjT5_S1A_jjP12ihipStream_tbEUljE_EEESV_SW_SX_S14_S18_S1A_T6_T7_T9_mT8_S1C_bDpT10_ENKUlT_T0_E_clISt17integral_constantIbLb1EES1P_EEDaS1K_S1L_EUlS1K_E_NS1_11comp_targetILNS1_3genE3ELNS1_11target_archE908ELNS1_3gpuE7ELNS1_3repE0EEENS1_30default_config_static_selectorELNS0_4arch9wavefront6targetE0EEEvSY_,comdat
.Lfunc_end1298:
	.size	_ZN7rocprim17ROCPRIM_400000_NS6detail17trampoline_kernelINS0_13select_configILj256ELj13ELNS0_17block_load_methodE3ELS4_3ELS4_3ELNS0_20block_scan_algorithmE0ELj4294967295EEENS1_25partition_config_selectorILNS1_17partition_subalgoE3EjNS0_10empty_typeEbEEZZNS1_14partition_implILS8_3ELb0ES6_jNS0_17counting_iteratorIjlEEPS9_SE_NS0_5tupleIJPjSE_EEENSF_IJSE_SE_EEES9_SG_JZNS1_25segmented_radix_sort_implINS0_14default_configELb1EPKfPfPKlPlN2at6native12_GLOBAL__N_18offset_tEEE10hipError_tPvRmT1_PNSt15iterator_traitsISY_E10value_typeET2_T3_PNSZ_IS14_E10value_typeET4_jRbjT5_S1A_jjP12ihipStream_tbEUljE_EEESV_SW_SX_S14_S18_S1A_T6_T7_T9_mT8_S1C_bDpT10_ENKUlT_T0_E_clISt17integral_constantIbLb1EES1P_EEDaS1K_S1L_EUlS1K_E_NS1_11comp_targetILNS1_3genE3ELNS1_11target_archE908ELNS1_3gpuE7ELNS1_3repE0EEENS1_30default_config_static_selectorELNS0_4arch9wavefront6targetE0EEEvSY_, .Lfunc_end1298-_ZN7rocprim17ROCPRIM_400000_NS6detail17trampoline_kernelINS0_13select_configILj256ELj13ELNS0_17block_load_methodE3ELS4_3ELS4_3ELNS0_20block_scan_algorithmE0ELj4294967295EEENS1_25partition_config_selectorILNS1_17partition_subalgoE3EjNS0_10empty_typeEbEEZZNS1_14partition_implILS8_3ELb0ES6_jNS0_17counting_iteratorIjlEEPS9_SE_NS0_5tupleIJPjSE_EEENSF_IJSE_SE_EEES9_SG_JZNS1_25segmented_radix_sort_implINS0_14default_configELb1EPKfPfPKlPlN2at6native12_GLOBAL__N_18offset_tEEE10hipError_tPvRmT1_PNSt15iterator_traitsISY_E10value_typeET2_T3_PNSZ_IS14_E10value_typeET4_jRbjT5_S1A_jjP12ihipStream_tbEUljE_EEESV_SW_SX_S14_S18_S1A_T6_T7_T9_mT8_S1C_bDpT10_ENKUlT_T0_E_clISt17integral_constantIbLb1EES1P_EEDaS1K_S1L_EUlS1K_E_NS1_11comp_targetILNS1_3genE3ELNS1_11target_archE908ELNS1_3gpuE7ELNS1_3repE0EEENS1_30default_config_static_selectorELNS0_4arch9wavefront6targetE0EEEvSY_
                                        ; -- End function
	.set _ZN7rocprim17ROCPRIM_400000_NS6detail17trampoline_kernelINS0_13select_configILj256ELj13ELNS0_17block_load_methodE3ELS4_3ELS4_3ELNS0_20block_scan_algorithmE0ELj4294967295EEENS1_25partition_config_selectorILNS1_17partition_subalgoE3EjNS0_10empty_typeEbEEZZNS1_14partition_implILS8_3ELb0ES6_jNS0_17counting_iteratorIjlEEPS9_SE_NS0_5tupleIJPjSE_EEENSF_IJSE_SE_EEES9_SG_JZNS1_25segmented_radix_sort_implINS0_14default_configELb1EPKfPfPKlPlN2at6native12_GLOBAL__N_18offset_tEEE10hipError_tPvRmT1_PNSt15iterator_traitsISY_E10value_typeET2_T3_PNSZ_IS14_E10value_typeET4_jRbjT5_S1A_jjP12ihipStream_tbEUljE_EEESV_SW_SX_S14_S18_S1A_T6_T7_T9_mT8_S1C_bDpT10_ENKUlT_T0_E_clISt17integral_constantIbLb1EES1P_EEDaS1K_S1L_EUlS1K_E_NS1_11comp_targetILNS1_3genE3ELNS1_11target_archE908ELNS1_3gpuE7ELNS1_3repE0EEENS1_30default_config_static_selectorELNS0_4arch9wavefront6targetE0EEEvSY_.num_vgpr, 0
	.set _ZN7rocprim17ROCPRIM_400000_NS6detail17trampoline_kernelINS0_13select_configILj256ELj13ELNS0_17block_load_methodE3ELS4_3ELS4_3ELNS0_20block_scan_algorithmE0ELj4294967295EEENS1_25partition_config_selectorILNS1_17partition_subalgoE3EjNS0_10empty_typeEbEEZZNS1_14partition_implILS8_3ELb0ES6_jNS0_17counting_iteratorIjlEEPS9_SE_NS0_5tupleIJPjSE_EEENSF_IJSE_SE_EEES9_SG_JZNS1_25segmented_radix_sort_implINS0_14default_configELb1EPKfPfPKlPlN2at6native12_GLOBAL__N_18offset_tEEE10hipError_tPvRmT1_PNSt15iterator_traitsISY_E10value_typeET2_T3_PNSZ_IS14_E10value_typeET4_jRbjT5_S1A_jjP12ihipStream_tbEUljE_EEESV_SW_SX_S14_S18_S1A_T6_T7_T9_mT8_S1C_bDpT10_ENKUlT_T0_E_clISt17integral_constantIbLb1EES1P_EEDaS1K_S1L_EUlS1K_E_NS1_11comp_targetILNS1_3genE3ELNS1_11target_archE908ELNS1_3gpuE7ELNS1_3repE0EEENS1_30default_config_static_selectorELNS0_4arch9wavefront6targetE0EEEvSY_.num_agpr, 0
	.set _ZN7rocprim17ROCPRIM_400000_NS6detail17trampoline_kernelINS0_13select_configILj256ELj13ELNS0_17block_load_methodE3ELS4_3ELS4_3ELNS0_20block_scan_algorithmE0ELj4294967295EEENS1_25partition_config_selectorILNS1_17partition_subalgoE3EjNS0_10empty_typeEbEEZZNS1_14partition_implILS8_3ELb0ES6_jNS0_17counting_iteratorIjlEEPS9_SE_NS0_5tupleIJPjSE_EEENSF_IJSE_SE_EEES9_SG_JZNS1_25segmented_radix_sort_implINS0_14default_configELb1EPKfPfPKlPlN2at6native12_GLOBAL__N_18offset_tEEE10hipError_tPvRmT1_PNSt15iterator_traitsISY_E10value_typeET2_T3_PNSZ_IS14_E10value_typeET4_jRbjT5_S1A_jjP12ihipStream_tbEUljE_EEESV_SW_SX_S14_S18_S1A_T6_T7_T9_mT8_S1C_bDpT10_ENKUlT_T0_E_clISt17integral_constantIbLb1EES1P_EEDaS1K_S1L_EUlS1K_E_NS1_11comp_targetILNS1_3genE3ELNS1_11target_archE908ELNS1_3gpuE7ELNS1_3repE0EEENS1_30default_config_static_selectorELNS0_4arch9wavefront6targetE0EEEvSY_.numbered_sgpr, 0
	.set _ZN7rocprim17ROCPRIM_400000_NS6detail17trampoline_kernelINS0_13select_configILj256ELj13ELNS0_17block_load_methodE3ELS4_3ELS4_3ELNS0_20block_scan_algorithmE0ELj4294967295EEENS1_25partition_config_selectorILNS1_17partition_subalgoE3EjNS0_10empty_typeEbEEZZNS1_14partition_implILS8_3ELb0ES6_jNS0_17counting_iteratorIjlEEPS9_SE_NS0_5tupleIJPjSE_EEENSF_IJSE_SE_EEES9_SG_JZNS1_25segmented_radix_sort_implINS0_14default_configELb1EPKfPfPKlPlN2at6native12_GLOBAL__N_18offset_tEEE10hipError_tPvRmT1_PNSt15iterator_traitsISY_E10value_typeET2_T3_PNSZ_IS14_E10value_typeET4_jRbjT5_S1A_jjP12ihipStream_tbEUljE_EEESV_SW_SX_S14_S18_S1A_T6_T7_T9_mT8_S1C_bDpT10_ENKUlT_T0_E_clISt17integral_constantIbLb1EES1P_EEDaS1K_S1L_EUlS1K_E_NS1_11comp_targetILNS1_3genE3ELNS1_11target_archE908ELNS1_3gpuE7ELNS1_3repE0EEENS1_30default_config_static_selectorELNS0_4arch9wavefront6targetE0EEEvSY_.num_named_barrier, 0
	.set _ZN7rocprim17ROCPRIM_400000_NS6detail17trampoline_kernelINS0_13select_configILj256ELj13ELNS0_17block_load_methodE3ELS4_3ELS4_3ELNS0_20block_scan_algorithmE0ELj4294967295EEENS1_25partition_config_selectorILNS1_17partition_subalgoE3EjNS0_10empty_typeEbEEZZNS1_14partition_implILS8_3ELb0ES6_jNS0_17counting_iteratorIjlEEPS9_SE_NS0_5tupleIJPjSE_EEENSF_IJSE_SE_EEES9_SG_JZNS1_25segmented_radix_sort_implINS0_14default_configELb1EPKfPfPKlPlN2at6native12_GLOBAL__N_18offset_tEEE10hipError_tPvRmT1_PNSt15iterator_traitsISY_E10value_typeET2_T3_PNSZ_IS14_E10value_typeET4_jRbjT5_S1A_jjP12ihipStream_tbEUljE_EEESV_SW_SX_S14_S18_S1A_T6_T7_T9_mT8_S1C_bDpT10_ENKUlT_T0_E_clISt17integral_constantIbLb1EES1P_EEDaS1K_S1L_EUlS1K_E_NS1_11comp_targetILNS1_3genE3ELNS1_11target_archE908ELNS1_3gpuE7ELNS1_3repE0EEENS1_30default_config_static_selectorELNS0_4arch9wavefront6targetE0EEEvSY_.private_seg_size, 0
	.set _ZN7rocprim17ROCPRIM_400000_NS6detail17trampoline_kernelINS0_13select_configILj256ELj13ELNS0_17block_load_methodE3ELS4_3ELS4_3ELNS0_20block_scan_algorithmE0ELj4294967295EEENS1_25partition_config_selectorILNS1_17partition_subalgoE3EjNS0_10empty_typeEbEEZZNS1_14partition_implILS8_3ELb0ES6_jNS0_17counting_iteratorIjlEEPS9_SE_NS0_5tupleIJPjSE_EEENSF_IJSE_SE_EEES9_SG_JZNS1_25segmented_radix_sort_implINS0_14default_configELb1EPKfPfPKlPlN2at6native12_GLOBAL__N_18offset_tEEE10hipError_tPvRmT1_PNSt15iterator_traitsISY_E10value_typeET2_T3_PNSZ_IS14_E10value_typeET4_jRbjT5_S1A_jjP12ihipStream_tbEUljE_EEESV_SW_SX_S14_S18_S1A_T6_T7_T9_mT8_S1C_bDpT10_ENKUlT_T0_E_clISt17integral_constantIbLb1EES1P_EEDaS1K_S1L_EUlS1K_E_NS1_11comp_targetILNS1_3genE3ELNS1_11target_archE908ELNS1_3gpuE7ELNS1_3repE0EEENS1_30default_config_static_selectorELNS0_4arch9wavefront6targetE0EEEvSY_.uses_vcc, 0
	.set _ZN7rocprim17ROCPRIM_400000_NS6detail17trampoline_kernelINS0_13select_configILj256ELj13ELNS0_17block_load_methodE3ELS4_3ELS4_3ELNS0_20block_scan_algorithmE0ELj4294967295EEENS1_25partition_config_selectorILNS1_17partition_subalgoE3EjNS0_10empty_typeEbEEZZNS1_14partition_implILS8_3ELb0ES6_jNS0_17counting_iteratorIjlEEPS9_SE_NS0_5tupleIJPjSE_EEENSF_IJSE_SE_EEES9_SG_JZNS1_25segmented_radix_sort_implINS0_14default_configELb1EPKfPfPKlPlN2at6native12_GLOBAL__N_18offset_tEEE10hipError_tPvRmT1_PNSt15iterator_traitsISY_E10value_typeET2_T3_PNSZ_IS14_E10value_typeET4_jRbjT5_S1A_jjP12ihipStream_tbEUljE_EEESV_SW_SX_S14_S18_S1A_T6_T7_T9_mT8_S1C_bDpT10_ENKUlT_T0_E_clISt17integral_constantIbLb1EES1P_EEDaS1K_S1L_EUlS1K_E_NS1_11comp_targetILNS1_3genE3ELNS1_11target_archE908ELNS1_3gpuE7ELNS1_3repE0EEENS1_30default_config_static_selectorELNS0_4arch9wavefront6targetE0EEEvSY_.uses_flat_scratch, 0
	.set _ZN7rocprim17ROCPRIM_400000_NS6detail17trampoline_kernelINS0_13select_configILj256ELj13ELNS0_17block_load_methodE3ELS4_3ELS4_3ELNS0_20block_scan_algorithmE0ELj4294967295EEENS1_25partition_config_selectorILNS1_17partition_subalgoE3EjNS0_10empty_typeEbEEZZNS1_14partition_implILS8_3ELb0ES6_jNS0_17counting_iteratorIjlEEPS9_SE_NS0_5tupleIJPjSE_EEENSF_IJSE_SE_EEES9_SG_JZNS1_25segmented_radix_sort_implINS0_14default_configELb1EPKfPfPKlPlN2at6native12_GLOBAL__N_18offset_tEEE10hipError_tPvRmT1_PNSt15iterator_traitsISY_E10value_typeET2_T3_PNSZ_IS14_E10value_typeET4_jRbjT5_S1A_jjP12ihipStream_tbEUljE_EEESV_SW_SX_S14_S18_S1A_T6_T7_T9_mT8_S1C_bDpT10_ENKUlT_T0_E_clISt17integral_constantIbLb1EES1P_EEDaS1K_S1L_EUlS1K_E_NS1_11comp_targetILNS1_3genE3ELNS1_11target_archE908ELNS1_3gpuE7ELNS1_3repE0EEENS1_30default_config_static_selectorELNS0_4arch9wavefront6targetE0EEEvSY_.has_dyn_sized_stack, 0
	.set _ZN7rocprim17ROCPRIM_400000_NS6detail17trampoline_kernelINS0_13select_configILj256ELj13ELNS0_17block_load_methodE3ELS4_3ELS4_3ELNS0_20block_scan_algorithmE0ELj4294967295EEENS1_25partition_config_selectorILNS1_17partition_subalgoE3EjNS0_10empty_typeEbEEZZNS1_14partition_implILS8_3ELb0ES6_jNS0_17counting_iteratorIjlEEPS9_SE_NS0_5tupleIJPjSE_EEENSF_IJSE_SE_EEES9_SG_JZNS1_25segmented_radix_sort_implINS0_14default_configELb1EPKfPfPKlPlN2at6native12_GLOBAL__N_18offset_tEEE10hipError_tPvRmT1_PNSt15iterator_traitsISY_E10value_typeET2_T3_PNSZ_IS14_E10value_typeET4_jRbjT5_S1A_jjP12ihipStream_tbEUljE_EEESV_SW_SX_S14_S18_S1A_T6_T7_T9_mT8_S1C_bDpT10_ENKUlT_T0_E_clISt17integral_constantIbLb1EES1P_EEDaS1K_S1L_EUlS1K_E_NS1_11comp_targetILNS1_3genE3ELNS1_11target_archE908ELNS1_3gpuE7ELNS1_3repE0EEENS1_30default_config_static_selectorELNS0_4arch9wavefront6targetE0EEEvSY_.has_recursion, 0
	.set _ZN7rocprim17ROCPRIM_400000_NS6detail17trampoline_kernelINS0_13select_configILj256ELj13ELNS0_17block_load_methodE3ELS4_3ELS4_3ELNS0_20block_scan_algorithmE0ELj4294967295EEENS1_25partition_config_selectorILNS1_17partition_subalgoE3EjNS0_10empty_typeEbEEZZNS1_14partition_implILS8_3ELb0ES6_jNS0_17counting_iteratorIjlEEPS9_SE_NS0_5tupleIJPjSE_EEENSF_IJSE_SE_EEES9_SG_JZNS1_25segmented_radix_sort_implINS0_14default_configELb1EPKfPfPKlPlN2at6native12_GLOBAL__N_18offset_tEEE10hipError_tPvRmT1_PNSt15iterator_traitsISY_E10value_typeET2_T3_PNSZ_IS14_E10value_typeET4_jRbjT5_S1A_jjP12ihipStream_tbEUljE_EEESV_SW_SX_S14_S18_S1A_T6_T7_T9_mT8_S1C_bDpT10_ENKUlT_T0_E_clISt17integral_constantIbLb1EES1P_EEDaS1K_S1L_EUlS1K_E_NS1_11comp_targetILNS1_3genE3ELNS1_11target_archE908ELNS1_3gpuE7ELNS1_3repE0EEENS1_30default_config_static_selectorELNS0_4arch9wavefront6targetE0EEEvSY_.has_indirect_call, 0
	.section	.AMDGPU.csdata,"",@progbits
; Kernel info:
; codeLenInByte = 0
; TotalNumSgprs: 0
; NumVgprs: 0
; ScratchSize: 0
; MemoryBound: 0
; FloatMode: 240
; IeeeMode: 1
; LDSByteSize: 0 bytes/workgroup (compile time only)
; SGPRBlocks: 0
; VGPRBlocks: 0
; NumSGPRsForWavesPerEU: 1
; NumVGPRsForWavesPerEU: 1
; NamedBarCnt: 0
; Occupancy: 16
; WaveLimiterHint : 0
; COMPUTE_PGM_RSRC2:SCRATCH_EN: 0
; COMPUTE_PGM_RSRC2:USER_SGPR: 2
; COMPUTE_PGM_RSRC2:TRAP_HANDLER: 0
; COMPUTE_PGM_RSRC2:TGID_X_EN: 1
; COMPUTE_PGM_RSRC2:TGID_Y_EN: 0
; COMPUTE_PGM_RSRC2:TGID_Z_EN: 0
; COMPUTE_PGM_RSRC2:TIDIG_COMP_CNT: 0
	.section	.text._ZN7rocprim17ROCPRIM_400000_NS6detail17trampoline_kernelINS0_13select_configILj256ELj13ELNS0_17block_load_methodE3ELS4_3ELS4_3ELNS0_20block_scan_algorithmE0ELj4294967295EEENS1_25partition_config_selectorILNS1_17partition_subalgoE3EjNS0_10empty_typeEbEEZZNS1_14partition_implILS8_3ELb0ES6_jNS0_17counting_iteratorIjlEEPS9_SE_NS0_5tupleIJPjSE_EEENSF_IJSE_SE_EEES9_SG_JZNS1_25segmented_radix_sort_implINS0_14default_configELb1EPKfPfPKlPlN2at6native12_GLOBAL__N_18offset_tEEE10hipError_tPvRmT1_PNSt15iterator_traitsISY_E10value_typeET2_T3_PNSZ_IS14_E10value_typeET4_jRbjT5_S1A_jjP12ihipStream_tbEUljE_EEESV_SW_SX_S14_S18_S1A_T6_T7_T9_mT8_S1C_bDpT10_ENKUlT_T0_E_clISt17integral_constantIbLb1EES1P_EEDaS1K_S1L_EUlS1K_E_NS1_11comp_targetILNS1_3genE2ELNS1_11target_archE906ELNS1_3gpuE6ELNS1_3repE0EEENS1_30default_config_static_selectorELNS0_4arch9wavefront6targetE0EEEvSY_,"axG",@progbits,_ZN7rocprim17ROCPRIM_400000_NS6detail17trampoline_kernelINS0_13select_configILj256ELj13ELNS0_17block_load_methodE3ELS4_3ELS4_3ELNS0_20block_scan_algorithmE0ELj4294967295EEENS1_25partition_config_selectorILNS1_17partition_subalgoE3EjNS0_10empty_typeEbEEZZNS1_14partition_implILS8_3ELb0ES6_jNS0_17counting_iteratorIjlEEPS9_SE_NS0_5tupleIJPjSE_EEENSF_IJSE_SE_EEES9_SG_JZNS1_25segmented_radix_sort_implINS0_14default_configELb1EPKfPfPKlPlN2at6native12_GLOBAL__N_18offset_tEEE10hipError_tPvRmT1_PNSt15iterator_traitsISY_E10value_typeET2_T3_PNSZ_IS14_E10value_typeET4_jRbjT5_S1A_jjP12ihipStream_tbEUljE_EEESV_SW_SX_S14_S18_S1A_T6_T7_T9_mT8_S1C_bDpT10_ENKUlT_T0_E_clISt17integral_constantIbLb1EES1P_EEDaS1K_S1L_EUlS1K_E_NS1_11comp_targetILNS1_3genE2ELNS1_11target_archE906ELNS1_3gpuE6ELNS1_3repE0EEENS1_30default_config_static_selectorELNS0_4arch9wavefront6targetE0EEEvSY_,comdat
	.globl	_ZN7rocprim17ROCPRIM_400000_NS6detail17trampoline_kernelINS0_13select_configILj256ELj13ELNS0_17block_load_methodE3ELS4_3ELS4_3ELNS0_20block_scan_algorithmE0ELj4294967295EEENS1_25partition_config_selectorILNS1_17partition_subalgoE3EjNS0_10empty_typeEbEEZZNS1_14partition_implILS8_3ELb0ES6_jNS0_17counting_iteratorIjlEEPS9_SE_NS0_5tupleIJPjSE_EEENSF_IJSE_SE_EEES9_SG_JZNS1_25segmented_radix_sort_implINS0_14default_configELb1EPKfPfPKlPlN2at6native12_GLOBAL__N_18offset_tEEE10hipError_tPvRmT1_PNSt15iterator_traitsISY_E10value_typeET2_T3_PNSZ_IS14_E10value_typeET4_jRbjT5_S1A_jjP12ihipStream_tbEUljE_EEESV_SW_SX_S14_S18_S1A_T6_T7_T9_mT8_S1C_bDpT10_ENKUlT_T0_E_clISt17integral_constantIbLb1EES1P_EEDaS1K_S1L_EUlS1K_E_NS1_11comp_targetILNS1_3genE2ELNS1_11target_archE906ELNS1_3gpuE6ELNS1_3repE0EEENS1_30default_config_static_selectorELNS0_4arch9wavefront6targetE0EEEvSY_ ; -- Begin function _ZN7rocprim17ROCPRIM_400000_NS6detail17trampoline_kernelINS0_13select_configILj256ELj13ELNS0_17block_load_methodE3ELS4_3ELS4_3ELNS0_20block_scan_algorithmE0ELj4294967295EEENS1_25partition_config_selectorILNS1_17partition_subalgoE3EjNS0_10empty_typeEbEEZZNS1_14partition_implILS8_3ELb0ES6_jNS0_17counting_iteratorIjlEEPS9_SE_NS0_5tupleIJPjSE_EEENSF_IJSE_SE_EEES9_SG_JZNS1_25segmented_radix_sort_implINS0_14default_configELb1EPKfPfPKlPlN2at6native12_GLOBAL__N_18offset_tEEE10hipError_tPvRmT1_PNSt15iterator_traitsISY_E10value_typeET2_T3_PNSZ_IS14_E10value_typeET4_jRbjT5_S1A_jjP12ihipStream_tbEUljE_EEESV_SW_SX_S14_S18_S1A_T6_T7_T9_mT8_S1C_bDpT10_ENKUlT_T0_E_clISt17integral_constantIbLb1EES1P_EEDaS1K_S1L_EUlS1K_E_NS1_11comp_targetILNS1_3genE2ELNS1_11target_archE906ELNS1_3gpuE6ELNS1_3repE0EEENS1_30default_config_static_selectorELNS0_4arch9wavefront6targetE0EEEvSY_
	.p2align	8
	.type	_ZN7rocprim17ROCPRIM_400000_NS6detail17trampoline_kernelINS0_13select_configILj256ELj13ELNS0_17block_load_methodE3ELS4_3ELS4_3ELNS0_20block_scan_algorithmE0ELj4294967295EEENS1_25partition_config_selectorILNS1_17partition_subalgoE3EjNS0_10empty_typeEbEEZZNS1_14partition_implILS8_3ELb0ES6_jNS0_17counting_iteratorIjlEEPS9_SE_NS0_5tupleIJPjSE_EEENSF_IJSE_SE_EEES9_SG_JZNS1_25segmented_radix_sort_implINS0_14default_configELb1EPKfPfPKlPlN2at6native12_GLOBAL__N_18offset_tEEE10hipError_tPvRmT1_PNSt15iterator_traitsISY_E10value_typeET2_T3_PNSZ_IS14_E10value_typeET4_jRbjT5_S1A_jjP12ihipStream_tbEUljE_EEESV_SW_SX_S14_S18_S1A_T6_T7_T9_mT8_S1C_bDpT10_ENKUlT_T0_E_clISt17integral_constantIbLb1EES1P_EEDaS1K_S1L_EUlS1K_E_NS1_11comp_targetILNS1_3genE2ELNS1_11target_archE906ELNS1_3gpuE6ELNS1_3repE0EEENS1_30default_config_static_selectorELNS0_4arch9wavefront6targetE0EEEvSY_,@function
_ZN7rocprim17ROCPRIM_400000_NS6detail17trampoline_kernelINS0_13select_configILj256ELj13ELNS0_17block_load_methodE3ELS4_3ELS4_3ELNS0_20block_scan_algorithmE0ELj4294967295EEENS1_25partition_config_selectorILNS1_17partition_subalgoE3EjNS0_10empty_typeEbEEZZNS1_14partition_implILS8_3ELb0ES6_jNS0_17counting_iteratorIjlEEPS9_SE_NS0_5tupleIJPjSE_EEENSF_IJSE_SE_EEES9_SG_JZNS1_25segmented_radix_sort_implINS0_14default_configELb1EPKfPfPKlPlN2at6native12_GLOBAL__N_18offset_tEEE10hipError_tPvRmT1_PNSt15iterator_traitsISY_E10value_typeET2_T3_PNSZ_IS14_E10value_typeET4_jRbjT5_S1A_jjP12ihipStream_tbEUljE_EEESV_SW_SX_S14_S18_S1A_T6_T7_T9_mT8_S1C_bDpT10_ENKUlT_T0_E_clISt17integral_constantIbLb1EES1P_EEDaS1K_S1L_EUlS1K_E_NS1_11comp_targetILNS1_3genE2ELNS1_11target_archE906ELNS1_3gpuE6ELNS1_3repE0EEENS1_30default_config_static_selectorELNS0_4arch9wavefront6targetE0EEEvSY_: ; @_ZN7rocprim17ROCPRIM_400000_NS6detail17trampoline_kernelINS0_13select_configILj256ELj13ELNS0_17block_load_methodE3ELS4_3ELS4_3ELNS0_20block_scan_algorithmE0ELj4294967295EEENS1_25partition_config_selectorILNS1_17partition_subalgoE3EjNS0_10empty_typeEbEEZZNS1_14partition_implILS8_3ELb0ES6_jNS0_17counting_iteratorIjlEEPS9_SE_NS0_5tupleIJPjSE_EEENSF_IJSE_SE_EEES9_SG_JZNS1_25segmented_radix_sort_implINS0_14default_configELb1EPKfPfPKlPlN2at6native12_GLOBAL__N_18offset_tEEE10hipError_tPvRmT1_PNSt15iterator_traitsISY_E10value_typeET2_T3_PNSZ_IS14_E10value_typeET4_jRbjT5_S1A_jjP12ihipStream_tbEUljE_EEESV_SW_SX_S14_S18_S1A_T6_T7_T9_mT8_S1C_bDpT10_ENKUlT_T0_E_clISt17integral_constantIbLb1EES1P_EEDaS1K_S1L_EUlS1K_E_NS1_11comp_targetILNS1_3genE2ELNS1_11target_archE906ELNS1_3gpuE6ELNS1_3repE0EEENS1_30default_config_static_selectorELNS0_4arch9wavefront6targetE0EEEvSY_
; %bb.0:
	.section	.rodata,"a",@progbits
	.p2align	6, 0x0
	.amdhsa_kernel _ZN7rocprim17ROCPRIM_400000_NS6detail17trampoline_kernelINS0_13select_configILj256ELj13ELNS0_17block_load_methodE3ELS4_3ELS4_3ELNS0_20block_scan_algorithmE0ELj4294967295EEENS1_25partition_config_selectorILNS1_17partition_subalgoE3EjNS0_10empty_typeEbEEZZNS1_14partition_implILS8_3ELb0ES6_jNS0_17counting_iteratorIjlEEPS9_SE_NS0_5tupleIJPjSE_EEENSF_IJSE_SE_EEES9_SG_JZNS1_25segmented_radix_sort_implINS0_14default_configELb1EPKfPfPKlPlN2at6native12_GLOBAL__N_18offset_tEEE10hipError_tPvRmT1_PNSt15iterator_traitsISY_E10value_typeET2_T3_PNSZ_IS14_E10value_typeET4_jRbjT5_S1A_jjP12ihipStream_tbEUljE_EEESV_SW_SX_S14_S18_S1A_T6_T7_T9_mT8_S1C_bDpT10_ENKUlT_T0_E_clISt17integral_constantIbLb1EES1P_EEDaS1K_S1L_EUlS1K_E_NS1_11comp_targetILNS1_3genE2ELNS1_11target_archE906ELNS1_3gpuE6ELNS1_3repE0EEENS1_30default_config_static_selectorELNS0_4arch9wavefront6targetE0EEEvSY_
		.amdhsa_group_segment_fixed_size 0
		.amdhsa_private_segment_fixed_size 0
		.amdhsa_kernarg_size 152
		.amdhsa_user_sgpr_count 2
		.amdhsa_user_sgpr_dispatch_ptr 0
		.amdhsa_user_sgpr_queue_ptr 0
		.amdhsa_user_sgpr_kernarg_segment_ptr 1
		.amdhsa_user_sgpr_dispatch_id 0
		.amdhsa_user_sgpr_kernarg_preload_length 0
		.amdhsa_user_sgpr_kernarg_preload_offset 0
		.amdhsa_user_sgpr_private_segment_size 0
		.amdhsa_wavefront_size32 1
		.amdhsa_uses_dynamic_stack 0
		.amdhsa_enable_private_segment 0
		.amdhsa_system_sgpr_workgroup_id_x 1
		.amdhsa_system_sgpr_workgroup_id_y 0
		.amdhsa_system_sgpr_workgroup_id_z 0
		.amdhsa_system_sgpr_workgroup_info 0
		.amdhsa_system_vgpr_workitem_id 0
		.amdhsa_next_free_vgpr 1
		.amdhsa_next_free_sgpr 1
		.amdhsa_named_barrier_count 0
		.amdhsa_reserve_vcc 0
		.amdhsa_float_round_mode_32 0
		.amdhsa_float_round_mode_16_64 0
		.amdhsa_float_denorm_mode_32 3
		.amdhsa_float_denorm_mode_16_64 3
		.amdhsa_fp16_overflow 0
		.amdhsa_memory_ordered 1
		.amdhsa_forward_progress 1
		.amdhsa_inst_pref_size 0
		.amdhsa_round_robin_scheduling 0
		.amdhsa_exception_fp_ieee_invalid_op 0
		.amdhsa_exception_fp_denorm_src 0
		.amdhsa_exception_fp_ieee_div_zero 0
		.amdhsa_exception_fp_ieee_overflow 0
		.amdhsa_exception_fp_ieee_underflow 0
		.amdhsa_exception_fp_ieee_inexact 0
		.amdhsa_exception_int_div_zero 0
	.end_amdhsa_kernel
	.section	.text._ZN7rocprim17ROCPRIM_400000_NS6detail17trampoline_kernelINS0_13select_configILj256ELj13ELNS0_17block_load_methodE3ELS4_3ELS4_3ELNS0_20block_scan_algorithmE0ELj4294967295EEENS1_25partition_config_selectorILNS1_17partition_subalgoE3EjNS0_10empty_typeEbEEZZNS1_14partition_implILS8_3ELb0ES6_jNS0_17counting_iteratorIjlEEPS9_SE_NS0_5tupleIJPjSE_EEENSF_IJSE_SE_EEES9_SG_JZNS1_25segmented_radix_sort_implINS0_14default_configELb1EPKfPfPKlPlN2at6native12_GLOBAL__N_18offset_tEEE10hipError_tPvRmT1_PNSt15iterator_traitsISY_E10value_typeET2_T3_PNSZ_IS14_E10value_typeET4_jRbjT5_S1A_jjP12ihipStream_tbEUljE_EEESV_SW_SX_S14_S18_S1A_T6_T7_T9_mT8_S1C_bDpT10_ENKUlT_T0_E_clISt17integral_constantIbLb1EES1P_EEDaS1K_S1L_EUlS1K_E_NS1_11comp_targetILNS1_3genE2ELNS1_11target_archE906ELNS1_3gpuE6ELNS1_3repE0EEENS1_30default_config_static_selectorELNS0_4arch9wavefront6targetE0EEEvSY_,"axG",@progbits,_ZN7rocprim17ROCPRIM_400000_NS6detail17trampoline_kernelINS0_13select_configILj256ELj13ELNS0_17block_load_methodE3ELS4_3ELS4_3ELNS0_20block_scan_algorithmE0ELj4294967295EEENS1_25partition_config_selectorILNS1_17partition_subalgoE3EjNS0_10empty_typeEbEEZZNS1_14partition_implILS8_3ELb0ES6_jNS0_17counting_iteratorIjlEEPS9_SE_NS0_5tupleIJPjSE_EEENSF_IJSE_SE_EEES9_SG_JZNS1_25segmented_radix_sort_implINS0_14default_configELb1EPKfPfPKlPlN2at6native12_GLOBAL__N_18offset_tEEE10hipError_tPvRmT1_PNSt15iterator_traitsISY_E10value_typeET2_T3_PNSZ_IS14_E10value_typeET4_jRbjT5_S1A_jjP12ihipStream_tbEUljE_EEESV_SW_SX_S14_S18_S1A_T6_T7_T9_mT8_S1C_bDpT10_ENKUlT_T0_E_clISt17integral_constantIbLb1EES1P_EEDaS1K_S1L_EUlS1K_E_NS1_11comp_targetILNS1_3genE2ELNS1_11target_archE906ELNS1_3gpuE6ELNS1_3repE0EEENS1_30default_config_static_selectorELNS0_4arch9wavefront6targetE0EEEvSY_,comdat
.Lfunc_end1299:
	.size	_ZN7rocprim17ROCPRIM_400000_NS6detail17trampoline_kernelINS0_13select_configILj256ELj13ELNS0_17block_load_methodE3ELS4_3ELS4_3ELNS0_20block_scan_algorithmE0ELj4294967295EEENS1_25partition_config_selectorILNS1_17partition_subalgoE3EjNS0_10empty_typeEbEEZZNS1_14partition_implILS8_3ELb0ES6_jNS0_17counting_iteratorIjlEEPS9_SE_NS0_5tupleIJPjSE_EEENSF_IJSE_SE_EEES9_SG_JZNS1_25segmented_radix_sort_implINS0_14default_configELb1EPKfPfPKlPlN2at6native12_GLOBAL__N_18offset_tEEE10hipError_tPvRmT1_PNSt15iterator_traitsISY_E10value_typeET2_T3_PNSZ_IS14_E10value_typeET4_jRbjT5_S1A_jjP12ihipStream_tbEUljE_EEESV_SW_SX_S14_S18_S1A_T6_T7_T9_mT8_S1C_bDpT10_ENKUlT_T0_E_clISt17integral_constantIbLb1EES1P_EEDaS1K_S1L_EUlS1K_E_NS1_11comp_targetILNS1_3genE2ELNS1_11target_archE906ELNS1_3gpuE6ELNS1_3repE0EEENS1_30default_config_static_selectorELNS0_4arch9wavefront6targetE0EEEvSY_, .Lfunc_end1299-_ZN7rocprim17ROCPRIM_400000_NS6detail17trampoline_kernelINS0_13select_configILj256ELj13ELNS0_17block_load_methodE3ELS4_3ELS4_3ELNS0_20block_scan_algorithmE0ELj4294967295EEENS1_25partition_config_selectorILNS1_17partition_subalgoE3EjNS0_10empty_typeEbEEZZNS1_14partition_implILS8_3ELb0ES6_jNS0_17counting_iteratorIjlEEPS9_SE_NS0_5tupleIJPjSE_EEENSF_IJSE_SE_EEES9_SG_JZNS1_25segmented_radix_sort_implINS0_14default_configELb1EPKfPfPKlPlN2at6native12_GLOBAL__N_18offset_tEEE10hipError_tPvRmT1_PNSt15iterator_traitsISY_E10value_typeET2_T3_PNSZ_IS14_E10value_typeET4_jRbjT5_S1A_jjP12ihipStream_tbEUljE_EEESV_SW_SX_S14_S18_S1A_T6_T7_T9_mT8_S1C_bDpT10_ENKUlT_T0_E_clISt17integral_constantIbLb1EES1P_EEDaS1K_S1L_EUlS1K_E_NS1_11comp_targetILNS1_3genE2ELNS1_11target_archE906ELNS1_3gpuE6ELNS1_3repE0EEENS1_30default_config_static_selectorELNS0_4arch9wavefront6targetE0EEEvSY_
                                        ; -- End function
	.set _ZN7rocprim17ROCPRIM_400000_NS6detail17trampoline_kernelINS0_13select_configILj256ELj13ELNS0_17block_load_methodE3ELS4_3ELS4_3ELNS0_20block_scan_algorithmE0ELj4294967295EEENS1_25partition_config_selectorILNS1_17partition_subalgoE3EjNS0_10empty_typeEbEEZZNS1_14partition_implILS8_3ELb0ES6_jNS0_17counting_iteratorIjlEEPS9_SE_NS0_5tupleIJPjSE_EEENSF_IJSE_SE_EEES9_SG_JZNS1_25segmented_radix_sort_implINS0_14default_configELb1EPKfPfPKlPlN2at6native12_GLOBAL__N_18offset_tEEE10hipError_tPvRmT1_PNSt15iterator_traitsISY_E10value_typeET2_T3_PNSZ_IS14_E10value_typeET4_jRbjT5_S1A_jjP12ihipStream_tbEUljE_EEESV_SW_SX_S14_S18_S1A_T6_T7_T9_mT8_S1C_bDpT10_ENKUlT_T0_E_clISt17integral_constantIbLb1EES1P_EEDaS1K_S1L_EUlS1K_E_NS1_11comp_targetILNS1_3genE2ELNS1_11target_archE906ELNS1_3gpuE6ELNS1_3repE0EEENS1_30default_config_static_selectorELNS0_4arch9wavefront6targetE0EEEvSY_.num_vgpr, 0
	.set _ZN7rocprim17ROCPRIM_400000_NS6detail17trampoline_kernelINS0_13select_configILj256ELj13ELNS0_17block_load_methodE3ELS4_3ELS4_3ELNS0_20block_scan_algorithmE0ELj4294967295EEENS1_25partition_config_selectorILNS1_17partition_subalgoE3EjNS0_10empty_typeEbEEZZNS1_14partition_implILS8_3ELb0ES6_jNS0_17counting_iteratorIjlEEPS9_SE_NS0_5tupleIJPjSE_EEENSF_IJSE_SE_EEES9_SG_JZNS1_25segmented_radix_sort_implINS0_14default_configELb1EPKfPfPKlPlN2at6native12_GLOBAL__N_18offset_tEEE10hipError_tPvRmT1_PNSt15iterator_traitsISY_E10value_typeET2_T3_PNSZ_IS14_E10value_typeET4_jRbjT5_S1A_jjP12ihipStream_tbEUljE_EEESV_SW_SX_S14_S18_S1A_T6_T7_T9_mT8_S1C_bDpT10_ENKUlT_T0_E_clISt17integral_constantIbLb1EES1P_EEDaS1K_S1L_EUlS1K_E_NS1_11comp_targetILNS1_3genE2ELNS1_11target_archE906ELNS1_3gpuE6ELNS1_3repE0EEENS1_30default_config_static_selectorELNS0_4arch9wavefront6targetE0EEEvSY_.num_agpr, 0
	.set _ZN7rocprim17ROCPRIM_400000_NS6detail17trampoline_kernelINS0_13select_configILj256ELj13ELNS0_17block_load_methodE3ELS4_3ELS4_3ELNS0_20block_scan_algorithmE0ELj4294967295EEENS1_25partition_config_selectorILNS1_17partition_subalgoE3EjNS0_10empty_typeEbEEZZNS1_14partition_implILS8_3ELb0ES6_jNS0_17counting_iteratorIjlEEPS9_SE_NS0_5tupleIJPjSE_EEENSF_IJSE_SE_EEES9_SG_JZNS1_25segmented_radix_sort_implINS0_14default_configELb1EPKfPfPKlPlN2at6native12_GLOBAL__N_18offset_tEEE10hipError_tPvRmT1_PNSt15iterator_traitsISY_E10value_typeET2_T3_PNSZ_IS14_E10value_typeET4_jRbjT5_S1A_jjP12ihipStream_tbEUljE_EEESV_SW_SX_S14_S18_S1A_T6_T7_T9_mT8_S1C_bDpT10_ENKUlT_T0_E_clISt17integral_constantIbLb1EES1P_EEDaS1K_S1L_EUlS1K_E_NS1_11comp_targetILNS1_3genE2ELNS1_11target_archE906ELNS1_3gpuE6ELNS1_3repE0EEENS1_30default_config_static_selectorELNS0_4arch9wavefront6targetE0EEEvSY_.numbered_sgpr, 0
	.set _ZN7rocprim17ROCPRIM_400000_NS6detail17trampoline_kernelINS0_13select_configILj256ELj13ELNS0_17block_load_methodE3ELS4_3ELS4_3ELNS0_20block_scan_algorithmE0ELj4294967295EEENS1_25partition_config_selectorILNS1_17partition_subalgoE3EjNS0_10empty_typeEbEEZZNS1_14partition_implILS8_3ELb0ES6_jNS0_17counting_iteratorIjlEEPS9_SE_NS0_5tupleIJPjSE_EEENSF_IJSE_SE_EEES9_SG_JZNS1_25segmented_radix_sort_implINS0_14default_configELb1EPKfPfPKlPlN2at6native12_GLOBAL__N_18offset_tEEE10hipError_tPvRmT1_PNSt15iterator_traitsISY_E10value_typeET2_T3_PNSZ_IS14_E10value_typeET4_jRbjT5_S1A_jjP12ihipStream_tbEUljE_EEESV_SW_SX_S14_S18_S1A_T6_T7_T9_mT8_S1C_bDpT10_ENKUlT_T0_E_clISt17integral_constantIbLb1EES1P_EEDaS1K_S1L_EUlS1K_E_NS1_11comp_targetILNS1_3genE2ELNS1_11target_archE906ELNS1_3gpuE6ELNS1_3repE0EEENS1_30default_config_static_selectorELNS0_4arch9wavefront6targetE0EEEvSY_.num_named_barrier, 0
	.set _ZN7rocprim17ROCPRIM_400000_NS6detail17trampoline_kernelINS0_13select_configILj256ELj13ELNS0_17block_load_methodE3ELS4_3ELS4_3ELNS0_20block_scan_algorithmE0ELj4294967295EEENS1_25partition_config_selectorILNS1_17partition_subalgoE3EjNS0_10empty_typeEbEEZZNS1_14partition_implILS8_3ELb0ES6_jNS0_17counting_iteratorIjlEEPS9_SE_NS0_5tupleIJPjSE_EEENSF_IJSE_SE_EEES9_SG_JZNS1_25segmented_radix_sort_implINS0_14default_configELb1EPKfPfPKlPlN2at6native12_GLOBAL__N_18offset_tEEE10hipError_tPvRmT1_PNSt15iterator_traitsISY_E10value_typeET2_T3_PNSZ_IS14_E10value_typeET4_jRbjT5_S1A_jjP12ihipStream_tbEUljE_EEESV_SW_SX_S14_S18_S1A_T6_T7_T9_mT8_S1C_bDpT10_ENKUlT_T0_E_clISt17integral_constantIbLb1EES1P_EEDaS1K_S1L_EUlS1K_E_NS1_11comp_targetILNS1_3genE2ELNS1_11target_archE906ELNS1_3gpuE6ELNS1_3repE0EEENS1_30default_config_static_selectorELNS0_4arch9wavefront6targetE0EEEvSY_.private_seg_size, 0
	.set _ZN7rocprim17ROCPRIM_400000_NS6detail17trampoline_kernelINS0_13select_configILj256ELj13ELNS0_17block_load_methodE3ELS4_3ELS4_3ELNS0_20block_scan_algorithmE0ELj4294967295EEENS1_25partition_config_selectorILNS1_17partition_subalgoE3EjNS0_10empty_typeEbEEZZNS1_14partition_implILS8_3ELb0ES6_jNS0_17counting_iteratorIjlEEPS9_SE_NS0_5tupleIJPjSE_EEENSF_IJSE_SE_EEES9_SG_JZNS1_25segmented_radix_sort_implINS0_14default_configELb1EPKfPfPKlPlN2at6native12_GLOBAL__N_18offset_tEEE10hipError_tPvRmT1_PNSt15iterator_traitsISY_E10value_typeET2_T3_PNSZ_IS14_E10value_typeET4_jRbjT5_S1A_jjP12ihipStream_tbEUljE_EEESV_SW_SX_S14_S18_S1A_T6_T7_T9_mT8_S1C_bDpT10_ENKUlT_T0_E_clISt17integral_constantIbLb1EES1P_EEDaS1K_S1L_EUlS1K_E_NS1_11comp_targetILNS1_3genE2ELNS1_11target_archE906ELNS1_3gpuE6ELNS1_3repE0EEENS1_30default_config_static_selectorELNS0_4arch9wavefront6targetE0EEEvSY_.uses_vcc, 0
	.set _ZN7rocprim17ROCPRIM_400000_NS6detail17trampoline_kernelINS0_13select_configILj256ELj13ELNS0_17block_load_methodE3ELS4_3ELS4_3ELNS0_20block_scan_algorithmE0ELj4294967295EEENS1_25partition_config_selectorILNS1_17partition_subalgoE3EjNS0_10empty_typeEbEEZZNS1_14partition_implILS8_3ELb0ES6_jNS0_17counting_iteratorIjlEEPS9_SE_NS0_5tupleIJPjSE_EEENSF_IJSE_SE_EEES9_SG_JZNS1_25segmented_radix_sort_implINS0_14default_configELb1EPKfPfPKlPlN2at6native12_GLOBAL__N_18offset_tEEE10hipError_tPvRmT1_PNSt15iterator_traitsISY_E10value_typeET2_T3_PNSZ_IS14_E10value_typeET4_jRbjT5_S1A_jjP12ihipStream_tbEUljE_EEESV_SW_SX_S14_S18_S1A_T6_T7_T9_mT8_S1C_bDpT10_ENKUlT_T0_E_clISt17integral_constantIbLb1EES1P_EEDaS1K_S1L_EUlS1K_E_NS1_11comp_targetILNS1_3genE2ELNS1_11target_archE906ELNS1_3gpuE6ELNS1_3repE0EEENS1_30default_config_static_selectorELNS0_4arch9wavefront6targetE0EEEvSY_.uses_flat_scratch, 0
	.set _ZN7rocprim17ROCPRIM_400000_NS6detail17trampoline_kernelINS0_13select_configILj256ELj13ELNS0_17block_load_methodE3ELS4_3ELS4_3ELNS0_20block_scan_algorithmE0ELj4294967295EEENS1_25partition_config_selectorILNS1_17partition_subalgoE3EjNS0_10empty_typeEbEEZZNS1_14partition_implILS8_3ELb0ES6_jNS0_17counting_iteratorIjlEEPS9_SE_NS0_5tupleIJPjSE_EEENSF_IJSE_SE_EEES9_SG_JZNS1_25segmented_radix_sort_implINS0_14default_configELb1EPKfPfPKlPlN2at6native12_GLOBAL__N_18offset_tEEE10hipError_tPvRmT1_PNSt15iterator_traitsISY_E10value_typeET2_T3_PNSZ_IS14_E10value_typeET4_jRbjT5_S1A_jjP12ihipStream_tbEUljE_EEESV_SW_SX_S14_S18_S1A_T6_T7_T9_mT8_S1C_bDpT10_ENKUlT_T0_E_clISt17integral_constantIbLb1EES1P_EEDaS1K_S1L_EUlS1K_E_NS1_11comp_targetILNS1_3genE2ELNS1_11target_archE906ELNS1_3gpuE6ELNS1_3repE0EEENS1_30default_config_static_selectorELNS0_4arch9wavefront6targetE0EEEvSY_.has_dyn_sized_stack, 0
	.set _ZN7rocprim17ROCPRIM_400000_NS6detail17trampoline_kernelINS0_13select_configILj256ELj13ELNS0_17block_load_methodE3ELS4_3ELS4_3ELNS0_20block_scan_algorithmE0ELj4294967295EEENS1_25partition_config_selectorILNS1_17partition_subalgoE3EjNS0_10empty_typeEbEEZZNS1_14partition_implILS8_3ELb0ES6_jNS0_17counting_iteratorIjlEEPS9_SE_NS0_5tupleIJPjSE_EEENSF_IJSE_SE_EEES9_SG_JZNS1_25segmented_radix_sort_implINS0_14default_configELb1EPKfPfPKlPlN2at6native12_GLOBAL__N_18offset_tEEE10hipError_tPvRmT1_PNSt15iterator_traitsISY_E10value_typeET2_T3_PNSZ_IS14_E10value_typeET4_jRbjT5_S1A_jjP12ihipStream_tbEUljE_EEESV_SW_SX_S14_S18_S1A_T6_T7_T9_mT8_S1C_bDpT10_ENKUlT_T0_E_clISt17integral_constantIbLb1EES1P_EEDaS1K_S1L_EUlS1K_E_NS1_11comp_targetILNS1_3genE2ELNS1_11target_archE906ELNS1_3gpuE6ELNS1_3repE0EEENS1_30default_config_static_selectorELNS0_4arch9wavefront6targetE0EEEvSY_.has_recursion, 0
	.set _ZN7rocprim17ROCPRIM_400000_NS6detail17trampoline_kernelINS0_13select_configILj256ELj13ELNS0_17block_load_methodE3ELS4_3ELS4_3ELNS0_20block_scan_algorithmE0ELj4294967295EEENS1_25partition_config_selectorILNS1_17partition_subalgoE3EjNS0_10empty_typeEbEEZZNS1_14partition_implILS8_3ELb0ES6_jNS0_17counting_iteratorIjlEEPS9_SE_NS0_5tupleIJPjSE_EEENSF_IJSE_SE_EEES9_SG_JZNS1_25segmented_radix_sort_implINS0_14default_configELb1EPKfPfPKlPlN2at6native12_GLOBAL__N_18offset_tEEE10hipError_tPvRmT1_PNSt15iterator_traitsISY_E10value_typeET2_T3_PNSZ_IS14_E10value_typeET4_jRbjT5_S1A_jjP12ihipStream_tbEUljE_EEESV_SW_SX_S14_S18_S1A_T6_T7_T9_mT8_S1C_bDpT10_ENKUlT_T0_E_clISt17integral_constantIbLb1EES1P_EEDaS1K_S1L_EUlS1K_E_NS1_11comp_targetILNS1_3genE2ELNS1_11target_archE906ELNS1_3gpuE6ELNS1_3repE0EEENS1_30default_config_static_selectorELNS0_4arch9wavefront6targetE0EEEvSY_.has_indirect_call, 0
	.section	.AMDGPU.csdata,"",@progbits
; Kernel info:
; codeLenInByte = 0
; TotalNumSgprs: 0
; NumVgprs: 0
; ScratchSize: 0
; MemoryBound: 0
; FloatMode: 240
; IeeeMode: 1
; LDSByteSize: 0 bytes/workgroup (compile time only)
; SGPRBlocks: 0
; VGPRBlocks: 0
; NumSGPRsForWavesPerEU: 1
; NumVGPRsForWavesPerEU: 1
; NamedBarCnt: 0
; Occupancy: 16
; WaveLimiterHint : 0
; COMPUTE_PGM_RSRC2:SCRATCH_EN: 0
; COMPUTE_PGM_RSRC2:USER_SGPR: 2
; COMPUTE_PGM_RSRC2:TRAP_HANDLER: 0
; COMPUTE_PGM_RSRC2:TGID_X_EN: 1
; COMPUTE_PGM_RSRC2:TGID_Y_EN: 0
; COMPUTE_PGM_RSRC2:TGID_Z_EN: 0
; COMPUTE_PGM_RSRC2:TIDIG_COMP_CNT: 0
	.section	.text._ZN7rocprim17ROCPRIM_400000_NS6detail17trampoline_kernelINS0_13select_configILj256ELj13ELNS0_17block_load_methodE3ELS4_3ELS4_3ELNS0_20block_scan_algorithmE0ELj4294967295EEENS1_25partition_config_selectorILNS1_17partition_subalgoE3EjNS0_10empty_typeEbEEZZNS1_14partition_implILS8_3ELb0ES6_jNS0_17counting_iteratorIjlEEPS9_SE_NS0_5tupleIJPjSE_EEENSF_IJSE_SE_EEES9_SG_JZNS1_25segmented_radix_sort_implINS0_14default_configELb1EPKfPfPKlPlN2at6native12_GLOBAL__N_18offset_tEEE10hipError_tPvRmT1_PNSt15iterator_traitsISY_E10value_typeET2_T3_PNSZ_IS14_E10value_typeET4_jRbjT5_S1A_jjP12ihipStream_tbEUljE_EEESV_SW_SX_S14_S18_S1A_T6_T7_T9_mT8_S1C_bDpT10_ENKUlT_T0_E_clISt17integral_constantIbLb1EES1P_EEDaS1K_S1L_EUlS1K_E_NS1_11comp_targetILNS1_3genE10ELNS1_11target_archE1200ELNS1_3gpuE4ELNS1_3repE0EEENS1_30default_config_static_selectorELNS0_4arch9wavefront6targetE0EEEvSY_,"axG",@progbits,_ZN7rocprim17ROCPRIM_400000_NS6detail17trampoline_kernelINS0_13select_configILj256ELj13ELNS0_17block_load_methodE3ELS4_3ELS4_3ELNS0_20block_scan_algorithmE0ELj4294967295EEENS1_25partition_config_selectorILNS1_17partition_subalgoE3EjNS0_10empty_typeEbEEZZNS1_14partition_implILS8_3ELb0ES6_jNS0_17counting_iteratorIjlEEPS9_SE_NS0_5tupleIJPjSE_EEENSF_IJSE_SE_EEES9_SG_JZNS1_25segmented_radix_sort_implINS0_14default_configELb1EPKfPfPKlPlN2at6native12_GLOBAL__N_18offset_tEEE10hipError_tPvRmT1_PNSt15iterator_traitsISY_E10value_typeET2_T3_PNSZ_IS14_E10value_typeET4_jRbjT5_S1A_jjP12ihipStream_tbEUljE_EEESV_SW_SX_S14_S18_S1A_T6_T7_T9_mT8_S1C_bDpT10_ENKUlT_T0_E_clISt17integral_constantIbLb1EES1P_EEDaS1K_S1L_EUlS1K_E_NS1_11comp_targetILNS1_3genE10ELNS1_11target_archE1200ELNS1_3gpuE4ELNS1_3repE0EEENS1_30default_config_static_selectorELNS0_4arch9wavefront6targetE0EEEvSY_,comdat
	.globl	_ZN7rocprim17ROCPRIM_400000_NS6detail17trampoline_kernelINS0_13select_configILj256ELj13ELNS0_17block_load_methodE3ELS4_3ELS4_3ELNS0_20block_scan_algorithmE0ELj4294967295EEENS1_25partition_config_selectorILNS1_17partition_subalgoE3EjNS0_10empty_typeEbEEZZNS1_14partition_implILS8_3ELb0ES6_jNS0_17counting_iteratorIjlEEPS9_SE_NS0_5tupleIJPjSE_EEENSF_IJSE_SE_EEES9_SG_JZNS1_25segmented_radix_sort_implINS0_14default_configELb1EPKfPfPKlPlN2at6native12_GLOBAL__N_18offset_tEEE10hipError_tPvRmT1_PNSt15iterator_traitsISY_E10value_typeET2_T3_PNSZ_IS14_E10value_typeET4_jRbjT5_S1A_jjP12ihipStream_tbEUljE_EEESV_SW_SX_S14_S18_S1A_T6_T7_T9_mT8_S1C_bDpT10_ENKUlT_T0_E_clISt17integral_constantIbLb1EES1P_EEDaS1K_S1L_EUlS1K_E_NS1_11comp_targetILNS1_3genE10ELNS1_11target_archE1200ELNS1_3gpuE4ELNS1_3repE0EEENS1_30default_config_static_selectorELNS0_4arch9wavefront6targetE0EEEvSY_ ; -- Begin function _ZN7rocprim17ROCPRIM_400000_NS6detail17trampoline_kernelINS0_13select_configILj256ELj13ELNS0_17block_load_methodE3ELS4_3ELS4_3ELNS0_20block_scan_algorithmE0ELj4294967295EEENS1_25partition_config_selectorILNS1_17partition_subalgoE3EjNS0_10empty_typeEbEEZZNS1_14partition_implILS8_3ELb0ES6_jNS0_17counting_iteratorIjlEEPS9_SE_NS0_5tupleIJPjSE_EEENSF_IJSE_SE_EEES9_SG_JZNS1_25segmented_radix_sort_implINS0_14default_configELb1EPKfPfPKlPlN2at6native12_GLOBAL__N_18offset_tEEE10hipError_tPvRmT1_PNSt15iterator_traitsISY_E10value_typeET2_T3_PNSZ_IS14_E10value_typeET4_jRbjT5_S1A_jjP12ihipStream_tbEUljE_EEESV_SW_SX_S14_S18_S1A_T6_T7_T9_mT8_S1C_bDpT10_ENKUlT_T0_E_clISt17integral_constantIbLb1EES1P_EEDaS1K_S1L_EUlS1K_E_NS1_11comp_targetILNS1_3genE10ELNS1_11target_archE1200ELNS1_3gpuE4ELNS1_3repE0EEENS1_30default_config_static_selectorELNS0_4arch9wavefront6targetE0EEEvSY_
	.p2align	8
	.type	_ZN7rocprim17ROCPRIM_400000_NS6detail17trampoline_kernelINS0_13select_configILj256ELj13ELNS0_17block_load_methodE3ELS4_3ELS4_3ELNS0_20block_scan_algorithmE0ELj4294967295EEENS1_25partition_config_selectorILNS1_17partition_subalgoE3EjNS0_10empty_typeEbEEZZNS1_14partition_implILS8_3ELb0ES6_jNS0_17counting_iteratorIjlEEPS9_SE_NS0_5tupleIJPjSE_EEENSF_IJSE_SE_EEES9_SG_JZNS1_25segmented_radix_sort_implINS0_14default_configELb1EPKfPfPKlPlN2at6native12_GLOBAL__N_18offset_tEEE10hipError_tPvRmT1_PNSt15iterator_traitsISY_E10value_typeET2_T3_PNSZ_IS14_E10value_typeET4_jRbjT5_S1A_jjP12ihipStream_tbEUljE_EEESV_SW_SX_S14_S18_S1A_T6_T7_T9_mT8_S1C_bDpT10_ENKUlT_T0_E_clISt17integral_constantIbLb1EES1P_EEDaS1K_S1L_EUlS1K_E_NS1_11comp_targetILNS1_3genE10ELNS1_11target_archE1200ELNS1_3gpuE4ELNS1_3repE0EEENS1_30default_config_static_selectorELNS0_4arch9wavefront6targetE0EEEvSY_,@function
_ZN7rocprim17ROCPRIM_400000_NS6detail17trampoline_kernelINS0_13select_configILj256ELj13ELNS0_17block_load_methodE3ELS4_3ELS4_3ELNS0_20block_scan_algorithmE0ELj4294967295EEENS1_25partition_config_selectorILNS1_17partition_subalgoE3EjNS0_10empty_typeEbEEZZNS1_14partition_implILS8_3ELb0ES6_jNS0_17counting_iteratorIjlEEPS9_SE_NS0_5tupleIJPjSE_EEENSF_IJSE_SE_EEES9_SG_JZNS1_25segmented_radix_sort_implINS0_14default_configELb1EPKfPfPKlPlN2at6native12_GLOBAL__N_18offset_tEEE10hipError_tPvRmT1_PNSt15iterator_traitsISY_E10value_typeET2_T3_PNSZ_IS14_E10value_typeET4_jRbjT5_S1A_jjP12ihipStream_tbEUljE_EEESV_SW_SX_S14_S18_S1A_T6_T7_T9_mT8_S1C_bDpT10_ENKUlT_T0_E_clISt17integral_constantIbLb1EES1P_EEDaS1K_S1L_EUlS1K_E_NS1_11comp_targetILNS1_3genE10ELNS1_11target_archE1200ELNS1_3gpuE4ELNS1_3repE0EEENS1_30default_config_static_selectorELNS0_4arch9wavefront6targetE0EEEvSY_: ; @_ZN7rocprim17ROCPRIM_400000_NS6detail17trampoline_kernelINS0_13select_configILj256ELj13ELNS0_17block_load_methodE3ELS4_3ELS4_3ELNS0_20block_scan_algorithmE0ELj4294967295EEENS1_25partition_config_selectorILNS1_17partition_subalgoE3EjNS0_10empty_typeEbEEZZNS1_14partition_implILS8_3ELb0ES6_jNS0_17counting_iteratorIjlEEPS9_SE_NS0_5tupleIJPjSE_EEENSF_IJSE_SE_EEES9_SG_JZNS1_25segmented_radix_sort_implINS0_14default_configELb1EPKfPfPKlPlN2at6native12_GLOBAL__N_18offset_tEEE10hipError_tPvRmT1_PNSt15iterator_traitsISY_E10value_typeET2_T3_PNSZ_IS14_E10value_typeET4_jRbjT5_S1A_jjP12ihipStream_tbEUljE_EEESV_SW_SX_S14_S18_S1A_T6_T7_T9_mT8_S1C_bDpT10_ENKUlT_T0_E_clISt17integral_constantIbLb1EES1P_EEDaS1K_S1L_EUlS1K_E_NS1_11comp_targetILNS1_3genE10ELNS1_11target_archE1200ELNS1_3gpuE4ELNS1_3repE0EEENS1_30default_config_static_selectorELNS0_4arch9wavefront6targetE0EEEvSY_
; %bb.0:
	.section	.rodata,"a",@progbits
	.p2align	6, 0x0
	.amdhsa_kernel _ZN7rocprim17ROCPRIM_400000_NS6detail17trampoline_kernelINS0_13select_configILj256ELj13ELNS0_17block_load_methodE3ELS4_3ELS4_3ELNS0_20block_scan_algorithmE0ELj4294967295EEENS1_25partition_config_selectorILNS1_17partition_subalgoE3EjNS0_10empty_typeEbEEZZNS1_14partition_implILS8_3ELb0ES6_jNS0_17counting_iteratorIjlEEPS9_SE_NS0_5tupleIJPjSE_EEENSF_IJSE_SE_EEES9_SG_JZNS1_25segmented_radix_sort_implINS0_14default_configELb1EPKfPfPKlPlN2at6native12_GLOBAL__N_18offset_tEEE10hipError_tPvRmT1_PNSt15iterator_traitsISY_E10value_typeET2_T3_PNSZ_IS14_E10value_typeET4_jRbjT5_S1A_jjP12ihipStream_tbEUljE_EEESV_SW_SX_S14_S18_S1A_T6_T7_T9_mT8_S1C_bDpT10_ENKUlT_T0_E_clISt17integral_constantIbLb1EES1P_EEDaS1K_S1L_EUlS1K_E_NS1_11comp_targetILNS1_3genE10ELNS1_11target_archE1200ELNS1_3gpuE4ELNS1_3repE0EEENS1_30default_config_static_selectorELNS0_4arch9wavefront6targetE0EEEvSY_
		.amdhsa_group_segment_fixed_size 0
		.amdhsa_private_segment_fixed_size 0
		.amdhsa_kernarg_size 152
		.amdhsa_user_sgpr_count 2
		.amdhsa_user_sgpr_dispatch_ptr 0
		.amdhsa_user_sgpr_queue_ptr 0
		.amdhsa_user_sgpr_kernarg_segment_ptr 1
		.amdhsa_user_sgpr_dispatch_id 0
		.amdhsa_user_sgpr_kernarg_preload_length 0
		.amdhsa_user_sgpr_kernarg_preload_offset 0
		.amdhsa_user_sgpr_private_segment_size 0
		.amdhsa_wavefront_size32 1
		.amdhsa_uses_dynamic_stack 0
		.amdhsa_enable_private_segment 0
		.amdhsa_system_sgpr_workgroup_id_x 1
		.amdhsa_system_sgpr_workgroup_id_y 0
		.amdhsa_system_sgpr_workgroup_id_z 0
		.amdhsa_system_sgpr_workgroup_info 0
		.amdhsa_system_vgpr_workitem_id 0
		.amdhsa_next_free_vgpr 1
		.amdhsa_next_free_sgpr 1
		.amdhsa_named_barrier_count 0
		.amdhsa_reserve_vcc 0
		.amdhsa_float_round_mode_32 0
		.amdhsa_float_round_mode_16_64 0
		.amdhsa_float_denorm_mode_32 3
		.amdhsa_float_denorm_mode_16_64 3
		.amdhsa_fp16_overflow 0
		.amdhsa_memory_ordered 1
		.amdhsa_forward_progress 1
		.amdhsa_inst_pref_size 0
		.amdhsa_round_robin_scheduling 0
		.amdhsa_exception_fp_ieee_invalid_op 0
		.amdhsa_exception_fp_denorm_src 0
		.amdhsa_exception_fp_ieee_div_zero 0
		.amdhsa_exception_fp_ieee_overflow 0
		.amdhsa_exception_fp_ieee_underflow 0
		.amdhsa_exception_fp_ieee_inexact 0
		.amdhsa_exception_int_div_zero 0
	.end_amdhsa_kernel
	.section	.text._ZN7rocprim17ROCPRIM_400000_NS6detail17trampoline_kernelINS0_13select_configILj256ELj13ELNS0_17block_load_methodE3ELS4_3ELS4_3ELNS0_20block_scan_algorithmE0ELj4294967295EEENS1_25partition_config_selectorILNS1_17partition_subalgoE3EjNS0_10empty_typeEbEEZZNS1_14partition_implILS8_3ELb0ES6_jNS0_17counting_iteratorIjlEEPS9_SE_NS0_5tupleIJPjSE_EEENSF_IJSE_SE_EEES9_SG_JZNS1_25segmented_radix_sort_implINS0_14default_configELb1EPKfPfPKlPlN2at6native12_GLOBAL__N_18offset_tEEE10hipError_tPvRmT1_PNSt15iterator_traitsISY_E10value_typeET2_T3_PNSZ_IS14_E10value_typeET4_jRbjT5_S1A_jjP12ihipStream_tbEUljE_EEESV_SW_SX_S14_S18_S1A_T6_T7_T9_mT8_S1C_bDpT10_ENKUlT_T0_E_clISt17integral_constantIbLb1EES1P_EEDaS1K_S1L_EUlS1K_E_NS1_11comp_targetILNS1_3genE10ELNS1_11target_archE1200ELNS1_3gpuE4ELNS1_3repE0EEENS1_30default_config_static_selectorELNS0_4arch9wavefront6targetE0EEEvSY_,"axG",@progbits,_ZN7rocprim17ROCPRIM_400000_NS6detail17trampoline_kernelINS0_13select_configILj256ELj13ELNS0_17block_load_methodE3ELS4_3ELS4_3ELNS0_20block_scan_algorithmE0ELj4294967295EEENS1_25partition_config_selectorILNS1_17partition_subalgoE3EjNS0_10empty_typeEbEEZZNS1_14partition_implILS8_3ELb0ES6_jNS0_17counting_iteratorIjlEEPS9_SE_NS0_5tupleIJPjSE_EEENSF_IJSE_SE_EEES9_SG_JZNS1_25segmented_radix_sort_implINS0_14default_configELb1EPKfPfPKlPlN2at6native12_GLOBAL__N_18offset_tEEE10hipError_tPvRmT1_PNSt15iterator_traitsISY_E10value_typeET2_T3_PNSZ_IS14_E10value_typeET4_jRbjT5_S1A_jjP12ihipStream_tbEUljE_EEESV_SW_SX_S14_S18_S1A_T6_T7_T9_mT8_S1C_bDpT10_ENKUlT_T0_E_clISt17integral_constantIbLb1EES1P_EEDaS1K_S1L_EUlS1K_E_NS1_11comp_targetILNS1_3genE10ELNS1_11target_archE1200ELNS1_3gpuE4ELNS1_3repE0EEENS1_30default_config_static_selectorELNS0_4arch9wavefront6targetE0EEEvSY_,comdat
.Lfunc_end1300:
	.size	_ZN7rocprim17ROCPRIM_400000_NS6detail17trampoline_kernelINS0_13select_configILj256ELj13ELNS0_17block_load_methodE3ELS4_3ELS4_3ELNS0_20block_scan_algorithmE0ELj4294967295EEENS1_25partition_config_selectorILNS1_17partition_subalgoE3EjNS0_10empty_typeEbEEZZNS1_14partition_implILS8_3ELb0ES6_jNS0_17counting_iteratorIjlEEPS9_SE_NS0_5tupleIJPjSE_EEENSF_IJSE_SE_EEES9_SG_JZNS1_25segmented_radix_sort_implINS0_14default_configELb1EPKfPfPKlPlN2at6native12_GLOBAL__N_18offset_tEEE10hipError_tPvRmT1_PNSt15iterator_traitsISY_E10value_typeET2_T3_PNSZ_IS14_E10value_typeET4_jRbjT5_S1A_jjP12ihipStream_tbEUljE_EEESV_SW_SX_S14_S18_S1A_T6_T7_T9_mT8_S1C_bDpT10_ENKUlT_T0_E_clISt17integral_constantIbLb1EES1P_EEDaS1K_S1L_EUlS1K_E_NS1_11comp_targetILNS1_3genE10ELNS1_11target_archE1200ELNS1_3gpuE4ELNS1_3repE0EEENS1_30default_config_static_selectorELNS0_4arch9wavefront6targetE0EEEvSY_, .Lfunc_end1300-_ZN7rocprim17ROCPRIM_400000_NS6detail17trampoline_kernelINS0_13select_configILj256ELj13ELNS0_17block_load_methodE3ELS4_3ELS4_3ELNS0_20block_scan_algorithmE0ELj4294967295EEENS1_25partition_config_selectorILNS1_17partition_subalgoE3EjNS0_10empty_typeEbEEZZNS1_14partition_implILS8_3ELb0ES6_jNS0_17counting_iteratorIjlEEPS9_SE_NS0_5tupleIJPjSE_EEENSF_IJSE_SE_EEES9_SG_JZNS1_25segmented_radix_sort_implINS0_14default_configELb1EPKfPfPKlPlN2at6native12_GLOBAL__N_18offset_tEEE10hipError_tPvRmT1_PNSt15iterator_traitsISY_E10value_typeET2_T3_PNSZ_IS14_E10value_typeET4_jRbjT5_S1A_jjP12ihipStream_tbEUljE_EEESV_SW_SX_S14_S18_S1A_T6_T7_T9_mT8_S1C_bDpT10_ENKUlT_T0_E_clISt17integral_constantIbLb1EES1P_EEDaS1K_S1L_EUlS1K_E_NS1_11comp_targetILNS1_3genE10ELNS1_11target_archE1200ELNS1_3gpuE4ELNS1_3repE0EEENS1_30default_config_static_selectorELNS0_4arch9wavefront6targetE0EEEvSY_
                                        ; -- End function
	.set _ZN7rocprim17ROCPRIM_400000_NS6detail17trampoline_kernelINS0_13select_configILj256ELj13ELNS0_17block_load_methodE3ELS4_3ELS4_3ELNS0_20block_scan_algorithmE0ELj4294967295EEENS1_25partition_config_selectorILNS1_17partition_subalgoE3EjNS0_10empty_typeEbEEZZNS1_14partition_implILS8_3ELb0ES6_jNS0_17counting_iteratorIjlEEPS9_SE_NS0_5tupleIJPjSE_EEENSF_IJSE_SE_EEES9_SG_JZNS1_25segmented_radix_sort_implINS0_14default_configELb1EPKfPfPKlPlN2at6native12_GLOBAL__N_18offset_tEEE10hipError_tPvRmT1_PNSt15iterator_traitsISY_E10value_typeET2_T3_PNSZ_IS14_E10value_typeET4_jRbjT5_S1A_jjP12ihipStream_tbEUljE_EEESV_SW_SX_S14_S18_S1A_T6_T7_T9_mT8_S1C_bDpT10_ENKUlT_T0_E_clISt17integral_constantIbLb1EES1P_EEDaS1K_S1L_EUlS1K_E_NS1_11comp_targetILNS1_3genE10ELNS1_11target_archE1200ELNS1_3gpuE4ELNS1_3repE0EEENS1_30default_config_static_selectorELNS0_4arch9wavefront6targetE0EEEvSY_.num_vgpr, 0
	.set _ZN7rocprim17ROCPRIM_400000_NS6detail17trampoline_kernelINS0_13select_configILj256ELj13ELNS0_17block_load_methodE3ELS4_3ELS4_3ELNS0_20block_scan_algorithmE0ELj4294967295EEENS1_25partition_config_selectorILNS1_17partition_subalgoE3EjNS0_10empty_typeEbEEZZNS1_14partition_implILS8_3ELb0ES6_jNS0_17counting_iteratorIjlEEPS9_SE_NS0_5tupleIJPjSE_EEENSF_IJSE_SE_EEES9_SG_JZNS1_25segmented_radix_sort_implINS0_14default_configELb1EPKfPfPKlPlN2at6native12_GLOBAL__N_18offset_tEEE10hipError_tPvRmT1_PNSt15iterator_traitsISY_E10value_typeET2_T3_PNSZ_IS14_E10value_typeET4_jRbjT5_S1A_jjP12ihipStream_tbEUljE_EEESV_SW_SX_S14_S18_S1A_T6_T7_T9_mT8_S1C_bDpT10_ENKUlT_T0_E_clISt17integral_constantIbLb1EES1P_EEDaS1K_S1L_EUlS1K_E_NS1_11comp_targetILNS1_3genE10ELNS1_11target_archE1200ELNS1_3gpuE4ELNS1_3repE0EEENS1_30default_config_static_selectorELNS0_4arch9wavefront6targetE0EEEvSY_.num_agpr, 0
	.set _ZN7rocprim17ROCPRIM_400000_NS6detail17trampoline_kernelINS0_13select_configILj256ELj13ELNS0_17block_load_methodE3ELS4_3ELS4_3ELNS0_20block_scan_algorithmE0ELj4294967295EEENS1_25partition_config_selectorILNS1_17partition_subalgoE3EjNS0_10empty_typeEbEEZZNS1_14partition_implILS8_3ELb0ES6_jNS0_17counting_iteratorIjlEEPS9_SE_NS0_5tupleIJPjSE_EEENSF_IJSE_SE_EEES9_SG_JZNS1_25segmented_radix_sort_implINS0_14default_configELb1EPKfPfPKlPlN2at6native12_GLOBAL__N_18offset_tEEE10hipError_tPvRmT1_PNSt15iterator_traitsISY_E10value_typeET2_T3_PNSZ_IS14_E10value_typeET4_jRbjT5_S1A_jjP12ihipStream_tbEUljE_EEESV_SW_SX_S14_S18_S1A_T6_T7_T9_mT8_S1C_bDpT10_ENKUlT_T0_E_clISt17integral_constantIbLb1EES1P_EEDaS1K_S1L_EUlS1K_E_NS1_11comp_targetILNS1_3genE10ELNS1_11target_archE1200ELNS1_3gpuE4ELNS1_3repE0EEENS1_30default_config_static_selectorELNS0_4arch9wavefront6targetE0EEEvSY_.numbered_sgpr, 0
	.set _ZN7rocprim17ROCPRIM_400000_NS6detail17trampoline_kernelINS0_13select_configILj256ELj13ELNS0_17block_load_methodE3ELS4_3ELS4_3ELNS0_20block_scan_algorithmE0ELj4294967295EEENS1_25partition_config_selectorILNS1_17partition_subalgoE3EjNS0_10empty_typeEbEEZZNS1_14partition_implILS8_3ELb0ES6_jNS0_17counting_iteratorIjlEEPS9_SE_NS0_5tupleIJPjSE_EEENSF_IJSE_SE_EEES9_SG_JZNS1_25segmented_radix_sort_implINS0_14default_configELb1EPKfPfPKlPlN2at6native12_GLOBAL__N_18offset_tEEE10hipError_tPvRmT1_PNSt15iterator_traitsISY_E10value_typeET2_T3_PNSZ_IS14_E10value_typeET4_jRbjT5_S1A_jjP12ihipStream_tbEUljE_EEESV_SW_SX_S14_S18_S1A_T6_T7_T9_mT8_S1C_bDpT10_ENKUlT_T0_E_clISt17integral_constantIbLb1EES1P_EEDaS1K_S1L_EUlS1K_E_NS1_11comp_targetILNS1_3genE10ELNS1_11target_archE1200ELNS1_3gpuE4ELNS1_3repE0EEENS1_30default_config_static_selectorELNS0_4arch9wavefront6targetE0EEEvSY_.num_named_barrier, 0
	.set _ZN7rocprim17ROCPRIM_400000_NS6detail17trampoline_kernelINS0_13select_configILj256ELj13ELNS0_17block_load_methodE3ELS4_3ELS4_3ELNS0_20block_scan_algorithmE0ELj4294967295EEENS1_25partition_config_selectorILNS1_17partition_subalgoE3EjNS0_10empty_typeEbEEZZNS1_14partition_implILS8_3ELb0ES6_jNS0_17counting_iteratorIjlEEPS9_SE_NS0_5tupleIJPjSE_EEENSF_IJSE_SE_EEES9_SG_JZNS1_25segmented_radix_sort_implINS0_14default_configELb1EPKfPfPKlPlN2at6native12_GLOBAL__N_18offset_tEEE10hipError_tPvRmT1_PNSt15iterator_traitsISY_E10value_typeET2_T3_PNSZ_IS14_E10value_typeET4_jRbjT5_S1A_jjP12ihipStream_tbEUljE_EEESV_SW_SX_S14_S18_S1A_T6_T7_T9_mT8_S1C_bDpT10_ENKUlT_T0_E_clISt17integral_constantIbLb1EES1P_EEDaS1K_S1L_EUlS1K_E_NS1_11comp_targetILNS1_3genE10ELNS1_11target_archE1200ELNS1_3gpuE4ELNS1_3repE0EEENS1_30default_config_static_selectorELNS0_4arch9wavefront6targetE0EEEvSY_.private_seg_size, 0
	.set _ZN7rocprim17ROCPRIM_400000_NS6detail17trampoline_kernelINS0_13select_configILj256ELj13ELNS0_17block_load_methodE3ELS4_3ELS4_3ELNS0_20block_scan_algorithmE0ELj4294967295EEENS1_25partition_config_selectorILNS1_17partition_subalgoE3EjNS0_10empty_typeEbEEZZNS1_14partition_implILS8_3ELb0ES6_jNS0_17counting_iteratorIjlEEPS9_SE_NS0_5tupleIJPjSE_EEENSF_IJSE_SE_EEES9_SG_JZNS1_25segmented_radix_sort_implINS0_14default_configELb1EPKfPfPKlPlN2at6native12_GLOBAL__N_18offset_tEEE10hipError_tPvRmT1_PNSt15iterator_traitsISY_E10value_typeET2_T3_PNSZ_IS14_E10value_typeET4_jRbjT5_S1A_jjP12ihipStream_tbEUljE_EEESV_SW_SX_S14_S18_S1A_T6_T7_T9_mT8_S1C_bDpT10_ENKUlT_T0_E_clISt17integral_constantIbLb1EES1P_EEDaS1K_S1L_EUlS1K_E_NS1_11comp_targetILNS1_3genE10ELNS1_11target_archE1200ELNS1_3gpuE4ELNS1_3repE0EEENS1_30default_config_static_selectorELNS0_4arch9wavefront6targetE0EEEvSY_.uses_vcc, 0
	.set _ZN7rocprim17ROCPRIM_400000_NS6detail17trampoline_kernelINS0_13select_configILj256ELj13ELNS0_17block_load_methodE3ELS4_3ELS4_3ELNS0_20block_scan_algorithmE0ELj4294967295EEENS1_25partition_config_selectorILNS1_17partition_subalgoE3EjNS0_10empty_typeEbEEZZNS1_14partition_implILS8_3ELb0ES6_jNS0_17counting_iteratorIjlEEPS9_SE_NS0_5tupleIJPjSE_EEENSF_IJSE_SE_EEES9_SG_JZNS1_25segmented_radix_sort_implINS0_14default_configELb1EPKfPfPKlPlN2at6native12_GLOBAL__N_18offset_tEEE10hipError_tPvRmT1_PNSt15iterator_traitsISY_E10value_typeET2_T3_PNSZ_IS14_E10value_typeET4_jRbjT5_S1A_jjP12ihipStream_tbEUljE_EEESV_SW_SX_S14_S18_S1A_T6_T7_T9_mT8_S1C_bDpT10_ENKUlT_T0_E_clISt17integral_constantIbLb1EES1P_EEDaS1K_S1L_EUlS1K_E_NS1_11comp_targetILNS1_3genE10ELNS1_11target_archE1200ELNS1_3gpuE4ELNS1_3repE0EEENS1_30default_config_static_selectorELNS0_4arch9wavefront6targetE0EEEvSY_.uses_flat_scratch, 0
	.set _ZN7rocprim17ROCPRIM_400000_NS6detail17trampoline_kernelINS0_13select_configILj256ELj13ELNS0_17block_load_methodE3ELS4_3ELS4_3ELNS0_20block_scan_algorithmE0ELj4294967295EEENS1_25partition_config_selectorILNS1_17partition_subalgoE3EjNS0_10empty_typeEbEEZZNS1_14partition_implILS8_3ELb0ES6_jNS0_17counting_iteratorIjlEEPS9_SE_NS0_5tupleIJPjSE_EEENSF_IJSE_SE_EEES9_SG_JZNS1_25segmented_radix_sort_implINS0_14default_configELb1EPKfPfPKlPlN2at6native12_GLOBAL__N_18offset_tEEE10hipError_tPvRmT1_PNSt15iterator_traitsISY_E10value_typeET2_T3_PNSZ_IS14_E10value_typeET4_jRbjT5_S1A_jjP12ihipStream_tbEUljE_EEESV_SW_SX_S14_S18_S1A_T6_T7_T9_mT8_S1C_bDpT10_ENKUlT_T0_E_clISt17integral_constantIbLb1EES1P_EEDaS1K_S1L_EUlS1K_E_NS1_11comp_targetILNS1_3genE10ELNS1_11target_archE1200ELNS1_3gpuE4ELNS1_3repE0EEENS1_30default_config_static_selectorELNS0_4arch9wavefront6targetE0EEEvSY_.has_dyn_sized_stack, 0
	.set _ZN7rocprim17ROCPRIM_400000_NS6detail17trampoline_kernelINS0_13select_configILj256ELj13ELNS0_17block_load_methodE3ELS4_3ELS4_3ELNS0_20block_scan_algorithmE0ELj4294967295EEENS1_25partition_config_selectorILNS1_17partition_subalgoE3EjNS0_10empty_typeEbEEZZNS1_14partition_implILS8_3ELb0ES6_jNS0_17counting_iteratorIjlEEPS9_SE_NS0_5tupleIJPjSE_EEENSF_IJSE_SE_EEES9_SG_JZNS1_25segmented_radix_sort_implINS0_14default_configELb1EPKfPfPKlPlN2at6native12_GLOBAL__N_18offset_tEEE10hipError_tPvRmT1_PNSt15iterator_traitsISY_E10value_typeET2_T3_PNSZ_IS14_E10value_typeET4_jRbjT5_S1A_jjP12ihipStream_tbEUljE_EEESV_SW_SX_S14_S18_S1A_T6_T7_T9_mT8_S1C_bDpT10_ENKUlT_T0_E_clISt17integral_constantIbLb1EES1P_EEDaS1K_S1L_EUlS1K_E_NS1_11comp_targetILNS1_3genE10ELNS1_11target_archE1200ELNS1_3gpuE4ELNS1_3repE0EEENS1_30default_config_static_selectorELNS0_4arch9wavefront6targetE0EEEvSY_.has_recursion, 0
	.set _ZN7rocprim17ROCPRIM_400000_NS6detail17trampoline_kernelINS0_13select_configILj256ELj13ELNS0_17block_load_methodE3ELS4_3ELS4_3ELNS0_20block_scan_algorithmE0ELj4294967295EEENS1_25partition_config_selectorILNS1_17partition_subalgoE3EjNS0_10empty_typeEbEEZZNS1_14partition_implILS8_3ELb0ES6_jNS0_17counting_iteratorIjlEEPS9_SE_NS0_5tupleIJPjSE_EEENSF_IJSE_SE_EEES9_SG_JZNS1_25segmented_radix_sort_implINS0_14default_configELb1EPKfPfPKlPlN2at6native12_GLOBAL__N_18offset_tEEE10hipError_tPvRmT1_PNSt15iterator_traitsISY_E10value_typeET2_T3_PNSZ_IS14_E10value_typeET4_jRbjT5_S1A_jjP12ihipStream_tbEUljE_EEESV_SW_SX_S14_S18_S1A_T6_T7_T9_mT8_S1C_bDpT10_ENKUlT_T0_E_clISt17integral_constantIbLb1EES1P_EEDaS1K_S1L_EUlS1K_E_NS1_11comp_targetILNS1_3genE10ELNS1_11target_archE1200ELNS1_3gpuE4ELNS1_3repE0EEENS1_30default_config_static_selectorELNS0_4arch9wavefront6targetE0EEEvSY_.has_indirect_call, 0
	.section	.AMDGPU.csdata,"",@progbits
; Kernel info:
; codeLenInByte = 0
; TotalNumSgprs: 0
; NumVgprs: 0
; ScratchSize: 0
; MemoryBound: 0
; FloatMode: 240
; IeeeMode: 1
; LDSByteSize: 0 bytes/workgroup (compile time only)
; SGPRBlocks: 0
; VGPRBlocks: 0
; NumSGPRsForWavesPerEU: 1
; NumVGPRsForWavesPerEU: 1
; NamedBarCnt: 0
; Occupancy: 16
; WaveLimiterHint : 0
; COMPUTE_PGM_RSRC2:SCRATCH_EN: 0
; COMPUTE_PGM_RSRC2:USER_SGPR: 2
; COMPUTE_PGM_RSRC2:TRAP_HANDLER: 0
; COMPUTE_PGM_RSRC2:TGID_X_EN: 1
; COMPUTE_PGM_RSRC2:TGID_Y_EN: 0
; COMPUTE_PGM_RSRC2:TGID_Z_EN: 0
; COMPUTE_PGM_RSRC2:TIDIG_COMP_CNT: 0
	.section	.text._ZN7rocprim17ROCPRIM_400000_NS6detail17trampoline_kernelINS0_13select_configILj256ELj13ELNS0_17block_load_methodE3ELS4_3ELS4_3ELNS0_20block_scan_algorithmE0ELj4294967295EEENS1_25partition_config_selectorILNS1_17partition_subalgoE3EjNS0_10empty_typeEbEEZZNS1_14partition_implILS8_3ELb0ES6_jNS0_17counting_iteratorIjlEEPS9_SE_NS0_5tupleIJPjSE_EEENSF_IJSE_SE_EEES9_SG_JZNS1_25segmented_radix_sort_implINS0_14default_configELb1EPKfPfPKlPlN2at6native12_GLOBAL__N_18offset_tEEE10hipError_tPvRmT1_PNSt15iterator_traitsISY_E10value_typeET2_T3_PNSZ_IS14_E10value_typeET4_jRbjT5_S1A_jjP12ihipStream_tbEUljE_EEESV_SW_SX_S14_S18_S1A_T6_T7_T9_mT8_S1C_bDpT10_ENKUlT_T0_E_clISt17integral_constantIbLb1EES1P_EEDaS1K_S1L_EUlS1K_E_NS1_11comp_targetILNS1_3genE9ELNS1_11target_archE1100ELNS1_3gpuE3ELNS1_3repE0EEENS1_30default_config_static_selectorELNS0_4arch9wavefront6targetE0EEEvSY_,"axG",@progbits,_ZN7rocprim17ROCPRIM_400000_NS6detail17trampoline_kernelINS0_13select_configILj256ELj13ELNS0_17block_load_methodE3ELS4_3ELS4_3ELNS0_20block_scan_algorithmE0ELj4294967295EEENS1_25partition_config_selectorILNS1_17partition_subalgoE3EjNS0_10empty_typeEbEEZZNS1_14partition_implILS8_3ELb0ES6_jNS0_17counting_iteratorIjlEEPS9_SE_NS0_5tupleIJPjSE_EEENSF_IJSE_SE_EEES9_SG_JZNS1_25segmented_radix_sort_implINS0_14default_configELb1EPKfPfPKlPlN2at6native12_GLOBAL__N_18offset_tEEE10hipError_tPvRmT1_PNSt15iterator_traitsISY_E10value_typeET2_T3_PNSZ_IS14_E10value_typeET4_jRbjT5_S1A_jjP12ihipStream_tbEUljE_EEESV_SW_SX_S14_S18_S1A_T6_T7_T9_mT8_S1C_bDpT10_ENKUlT_T0_E_clISt17integral_constantIbLb1EES1P_EEDaS1K_S1L_EUlS1K_E_NS1_11comp_targetILNS1_3genE9ELNS1_11target_archE1100ELNS1_3gpuE3ELNS1_3repE0EEENS1_30default_config_static_selectorELNS0_4arch9wavefront6targetE0EEEvSY_,comdat
	.globl	_ZN7rocprim17ROCPRIM_400000_NS6detail17trampoline_kernelINS0_13select_configILj256ELj13ELNS0_17block_load_methodE3ELS4_3ELS4_3ELNS0_20block_scan_algorithmE0ELj4294967295EEENS1_25partition_config_selectorILNS1_17partition_subalgoE3EjNS0_10empty_typeEbEEZZNS1_14partition_implILS8_3ELb0ES6_jNS0_17counting_iteratorIjlEEPS9_SE_NS0_5tupleIJPjSE_EEENSF_IJSE_SE_EEES9_SG_JZNS1_25segmented_radix_sort_implINS0_14default_configELb1EPKfPfPKlPlN2at6native12_GLOBAL__N_18offset_tEEE10hipError_tPvRmT1_PNSt15iterator_traitsISY_E10value_typeET2_T3_PNSZ_IS14_E10value_typeET4_jRbjT5_S1A_jjP12ihipStream_tbEUljE_EEESV_SW_SX_S14_S18_S1A_T6_T7_T9_mT8_S1C_bDpT10_ENKUlT_T0_E_clISt17integral_constantIbLb1EES1P_EEDaS1K_S1L_EUlS1K_E_NS1_11comp_targetILNS1_3genE9ELNS1_11target_archE1100ELNS1_3gpuE3ELNS1_3repE0EEENS1_30default_config_static_selectorELNS0_4arch9wavefront6targetE0EEEvSY_ ; -- Begin function _ZN7rocprim17ROCPRIM_400000_NS6detail17trampoline_kernelINS0_13select_configILj256ELj13ELNS0_17block_load_methodE3ELS4_3ELS4_3ELNS0_20block_scan_algorithmE0ELj4294967295EEENS1_25partition_config_selectorILNS1_17partition_subalgoE3EjNS0_10empty_typeEbEEZZNS1_14partition_implILS8_3ELb0ES6_jNS0_17counting_iteratorIjlEEPS9_SE_NS0_5tupleIJPjSE_EEENSF_IJSE_SE_EEES9_SG_JZNS1_25segmented_radix_sort_implINS0_14default_configELb1EPKfPfPKlPlN2at6native12_GLOBAL__N_18offset_tEEE10hipError_tPvRmT1_PNSt15iterator_traitsISY_E10value_typeET2_T3_PNSZ_IS14_E10value_typeET4_jRbjT5_S1A_jjP12ihipStream_tbEUljE_EEESV_SW_SX_S14_S18_S1A_T6_T7_T9_mT8_S1C_bDpT10_ENKUlT_T0_E_clISt17integral_constantIbLb1EES1P_EEDaS1K_S1L_EUlS1K_E_NS1_11comp_targetILNS1_3genE9ELNS1_11target_archE1100ELNS1_3gpuE3ELNS1_3repE0EEENS1_30default_config_static_selectorELNS0_4arch9wavefront6targetE0EEEvSY_
	.p2align	8
	.type	_ZN7rocprim17ROCPRIM_400000_NS6detail17trampoline_kernelINS0_13select_configILj256ELj13ELNS0_17block_load_methodE3ELS4_3ELS4_3ELNS0_20block_scan_algorithmE0ELj4294967295EEENS1_25partition_config_selectorILNS1_17partition_subalgoE3EjNS0_10empty_typeEbEEZZNS1_14partition_implILS8_3ELb0ES6_jNS0_17counting_iteratorIjlEEPS9_SE_NS0_5tupleIJPjSE_EEENSF_IJSE_SE_EEES9_SG_JZNS1_25segmented_radix_sort_implINS0_14default_configELb1EPKfPfPKlPlN2at6native12_GLOBAL__N_18offset_tEEE10hipError_tPvRmT1_PNSt15iterator_traitsISY_E10value_typeET2_T3_PNSZ_IS14_E10value_typeET4_jRbjT5_S1A_jjP12ihipStream_tbEUljE_EEESV_SW_SX_S14_S18_S1A_T6_T7_T9_mT8_S1C_bDpT10_ENKUlT_T0_E_clISt17integral_constantIbLb1EES1P_EEDaS1K_S1L_EUlS1K_E_NS1_11comp_targetILNS1_3genE9ELNS1_11target_archE1100ELNS1_3gpuE3ELNS1_3repE0EEENS1_30default_config_static_selectorELNS0_4arch9wavefront6targetE0EEEvSY_,@function
_ZN7rocprim17ROCPRIM_400000_NS6detail17trampoline_kernelINS0_13select_configILj256ELj13ELNS0_17block_load_methodE3ELS4_3ELS4_3ELNS0_20block_scan_algorithmE0ELj4294967295EEENS1_25partition_config_selectorILNS1_17partition_subalgoE3EjNS0_10empty_typeEbEEZZNS1_14partition_implILS8_3ELb0ES6_jNS0_17counting_iteratorIjlEEPS9_SE_NS0_5tupleIJPjSE_EEENSF_IJSE_SE_EEES9_SG_JZNS1_25segmented_radix_sort_implINS0_14default_configELb1EPKfPfPKlPlN2at6native12_GLOBAL__N_18offset_tEEE10hipError_tPvRmT1_PNSt15iterator_traitsISY_E10value_typeET2_T3_PNSZ_IS14_E10value_typeET4_jRbjT5_S1A_jjP12ihipStream_tbEUljE_EEESV_SW_SX_S14_S18_S1A_T6_T7_T9_mT8_S1C_bDpT10_ENKUlT_T0_E_clISt17integral_constantIbLb1EES1P_EEDaS1K_S1L_EUlS1K_E_NS1_11comp_targetILNS1_3genE9ELNS1_11target_archE1100ELNS1_3gpuE3ELNS1_3repE0EEENS1_30default_config_static_selectorELNS0_4arch9wavefront6targetE0EEEvSY_: ; @_ZN7rocprim17ROCPRIM_400000_NS6detail17trampoline_kernelINS0_13select_configILj256ELj13ELNS0_17block_load_methodE3ELS4_3ELS4_3ELNS0_20block_scan_algorithmE0ELj4294967295EEENS1_25partition_config_selectorILNS1_17partition_subalgoE3EjNS0_10empty_typeEbEEZZNS1_14partition_implILS8_3ELb0ES6_jNS0_17counting_iteratorIjlEEPS9_SE_NS0_5tupleIJPjSE_EEENSF_IJSE_SE_EEES9_SG_JZNS1_25segmented_radix_sort_implINS0_14default_configELb1EPKfPfPKlPlN2at6native12_GLOBAL__N_18offset_tEEE10hipError_tPvRmT1_PNSt15iterator_traitsISY_E10value_typeET2_T3_PNSZ_IS14_E10value_typeET4_jRbjT5_S1A_jjP12ihipStream_tbEUljE_EEESV_SW_SX_S14_S18_S1A_T6_T7_T9_mT8_S1C_bDpT10_ENKUlT_T0_E_clISt17integral_constantIbLb1EES1P_EEDaS1K_S1L_EUlS1K_E_NS1_11comp_targetILNS1_3genE9ELNS1_11target_archE1100ELNS1_3gpuE3ELNS1_3repE0EEENS1_30default_config_static_selectorELNS0_4arch9wavefront6targetE0EEEvSY_
; %bb.0:
	.section	.rodata,"a",@progbits
	.p2align	6, 0x0
	.amdhsa_kernel _ZN7rocprim17ROCPRIM_400000_NS6detail17trampoline_kernelINS0_13select_configILj256ELj13ELNS0_17block_load_methodE3ELS4_3ELS4_3ELNS0_20block_scan_algorithmE0ELj4294967295EEENS1_25partition_config_selectorILNS1_17partition_subalgoE3EjNS0_10empty_typeEbEEZZNS1_14partition_implILS8_3ELb0ES6_jNS0_17counting_iteratorIjlEEPS9_SE_NS0_5tupleIJPjSE_EEENSF_IJSE_SE_EEES9_SG_JZNS1_25segmented_radix_sort_implINS0_14default_configELb1EPKfPfPKlPlN2at6native12_GLOBAL__N_18offset_tEEE10hipError_tPvRmT1_PNSt15iterator_traitsISY_E10value_typeET2_T3_PNSZ_IS14_E10value_typeET4_jRbjT5_S1A_jjP12ihipStream_tbEUljE_EEESV_SW_SX_S14_S18_S1A_T6_T7_T9_mT8_S1C_bDpT10_ENKUlT_T0_E_clISt17integral_constantIbLb1EES1P_EEDaS1K_S1L_EUlS1K_E_NS1_11comp_targetILNS1_3genE9ELNS1_11target_archE1100ELNS1_3gpuE3ELNS1_3repE0EEENS1_30default_config_static_selectorELNS0_4arch9wavefront6targetE0EEEvSY_
		.amdhsa_group_segment_fixed_size 0
		.amdhsa_private_segment_fixed_size 0
		.amdhsa_kernarg_size 152
		.amdhsa_user_sgpr_count 2
		.amdhsa_user_sgpr_dispatch_ptr 0
		.amdhsa_user_sgpr_queue_ptr 0
		.amdhsa_user_sgpr_kernarg_segment_ptr 1
		.amdhsa_user_sgpr_dispatch_id 0
		.amdhsa_user_sgpr_kernarg_preload_length 0
		.amdhsa_user_sgpr_kernarg_preload_offset 0
		.amdhsa_user_sgpr_private_segment_size 0
		.amdhsa_wavefront_size32 1
		.amdhsa_uses_dynamic_stack 0
		.amdhsa_enable_private_segment 0
		.amdhsa_system_sgpr_workgroup_id_x 1
		.amdhsa_system_sgpr_workgroup_id_y 0
		.amdhsa_system_sgpr_workgroup_id_z 0
		.amdhsa_system_sgpr_workgroup_info 0
		.amdhsa_system_vgpr_workitem_id 0
		.amdhsa_next_free_vgpr 1
		.amdhsa_next_free_sgpr 1
		.amdhsa_named_barrier_count 0
		.amdhsa_reserve_vcc 0
		.amdhsa_float_round_mode_32 0
		.amdhsa_float_round_mode_16_64 0
		.amdhsa_float_denorm_mode_32 3
		.amdhsa_float_denorm_mode_16_64 3
		.amdhsa_fp16_overflow 0
		.amdhsa_memory_ordered 1
		.amdhsa_forward_progress 1
		.amdhsa_inst_pref_size 0
		.amdhsa_round_robin_scheduling 0
		.amdhsa_exception_fp_ieee_invalid_op 0
		.amdhsa_exception_fp_denorm_src 0
		.amdhsa_exception_fp_ieee_div_zero 0
		.amdhsa_exception_fp_ieee_overflow 0
		.amdhsa_exception_fp_ieee_underflow 0
		.amdhsa_exception_fp_ieee_inexact 0
		.amdhsa_exception_int_div_zero 0
	.end_amdhsa_kernel
	.section	.text._ZN7rocprim17ROCPRIM_400000_NS6detail17trampoline_kernelINS0_13select_configILj256ELj13ELNS0_17block_load_methodE3ELS4_3ELS4_3ELNS0_20block_scan_algorithmE0ELj4294967295EEENS1_25partition_config_selectorILNS1_17partition_subalgoE3EjNS0_10empty_typeEbEEZZNS1_14partition_implILS8_3ELb0ES6_jNS0_17counting_iteratorIjlEEPS9_SE_NS0_5tupleIJPjSE_EEENSF_IJSE_SE_EEES9_SG_JZNS1_25segmented_radix_sort_implINS0_14default_configELb1EPKfPfPKlPlN2at6native12_GLOBAL__N_18offset_tEEE10hipError_tPvRmT1_PNSt15iterator_traitsISY_E10value_typeET2_T3_PNSZ_IS14_E10value_typeET4_jRbjT5_S1A_jjP12ihipStream_tbEUljE_EEESV_SW_SX_S14_S18_S1A_T6_T7_T9_mT8_S1C_bDpT10_ENKUlT_T0_E_clISt17integral_constantIbLb1EES1P_EEDaS1K_S1L_EUlS1K_E_NS1_11comp_targetILNS1_3genE9ELNS1_11target_archE1100ELNS1_3gpuE3ELNS1_3repE0EEENS1_30default_config_static_selectorELNS0_4arch9wavefront6targetE0EEEvSY_,"axG",@progbits,_ZN7rocprim17ROCPRIM_400000_NS6detail17trampoline_kernelINS0_13select_configILj256ELj13ELNS0_17block_load_methodE3ELS4_3ELS4_3ELNS0_20block_scan_algorithmE0ELj4294967295EEENS1_25partition_config_selectorILNS1_17partition_subalgoE3EjNS0_10empty_typeEbEEZZNS1_14partition_implILS8_3ELb0ES6_jNS0_17counting_iteratorIjlEEPS9_SE_NS0_5tupleIJPjSE_EEENSF_IJSE_SE_EEES9_SG_JZNS1_25segmented_radix_sort_implINS0_14default_configELb1EPKfPfPKlPlN2at6native12_GLOBAL__N_18offset_tEEE10hipError_tPvRmT1_PNSt15iterator_traitsISY_E10value_typeET2_T3_PNSZ_IS14_E10value_typeET4_jRbjT5_S1A_jjP12ihipStream_tbEUljE_EEESV_SW_SX_S14_S18_S1A_T6_T7_T9_mT8_S1C_bDpT10_ENKUlT_T0_E_clISt17integral_constantIbLb1EES1P_EEDaS1K_S1L_EUlS1K_E_NS1_11comp_targetILNS1_3genE9ELNS1_11target_archE1100ELNS1_3gpuE3ELNS1_3repE0EEENS1_30default_config_static_selectorELNS0_4arch9wavefront6targetE0EEEvSY_,comdat
.Lfunc_end1301:
	.size	_ZN7rocprim17ROCPRIM_400000_NS6detail17trampoline_kernelINS0_13select_configILj256ELj13ELNS0_17block_load_methodE3ELS4_3ELS4_3ELNS0_20block_scan_algorithmE0ELj4294967295EEENS1_25partition_config_selectorILNS1_17partition_subalgoE3EjNS0_10empty_typeEbEEZZNS1_14partition_implILS8_3ELb0ES6_jNS0_17counting_iteratorIjlEEPS9_SE_NS0_5tupleIJPjSE_EEENSF_IJSE_SE_EEES9_SG_JZNS1_25segmented_radix_sort_implINS0_14default_configELb1EPKfPfPKlPlN2at6native12_GLOBAL__N_18offset_tEEE10hipError_tPvRmT1_PNSt15iterator_traitsISY_E10value_typeET2_T3_PNSZ_IS14_E10value_typeET4_jRbjT5_S1A_jjP12ihipStream_tbEUljE_EEESV_SW_SX_S14_S18_S1A_T6_T7_T9_mT8_S1C_bDpT10_ENKUlT_T0_E_clISt17integral_constantIbLb1EES1P_EEDaS1K_S1L_EUlS1K_E_NS1_11comp_targetILNS1_3genE9ELNS1_11target_archE1100ELNS1_3gpuE3ELNS1_3repE0EEENS1_30default_config_static_selectorELNS0_4arch9wavefront6targetE0EEEvSY_, .Lfunc_end1301-_ZN7rocprim17ROCPRIM_400000_NS6detail17trampoline_kernelINS0_13select_configILj256ELj13ELNS0_17block_load_methodE3ELS4_3ELS4_3ELNS0_20block_scan_algorithmE0ELj4294967295EEENS1_25partition_config_selectorILNS1_17partition_subalgoE3EjNS0_10empty_typeEbEEZZNS1_14partition_implILS8_3ELb0ES6_jNS0_17counting_iteratorIjlEEPS9_SE_NS0_5tupleIJPjSE_EEENSF_IJSE_SE_EEES9_SG_JZNS1_25segmented_radix_sort_implINS0_14default_configELb1EPKfPfPKlPlN2at6native12_GLOBAL__N_18offset_tEEE10hipError_tPvRmT1_PNSt15iterator_traitsISY_E10value_typeET2_T3_PNSZ_IS14_E10value_typeET4_jRbjT5_S1A_jjP12ihipStream_tbEUljE_EEESV_SW_SX_S14_S18_S1A_T6_T7_T9_mT8_S1C_bDpT10_ENKUlT_T0_E_clISt17integral_constantIbLb1EES1P_EEDaS1K_S1L_EUlS1K_E_NS1_11comp_targetILNS1_3genE9ELNS1_11target_archE1100ELNS1_3gpuE3ELNS1_3repE0EEENS1_30default_config_static_selectorELNS0_4arch9wavefront6targetE0EEEvSY_
                                        ; -- End function
	.set _ZN7rocprim17ROCPRIM_400000_NS6detail17trampoline_kernelINS0_13select_configILj256ELj13ELNS0_17block_load_methodE3ELS4_3ELS4_3ELNS0_20block_scan_algorithmE0ELj4294967295EEENS1_25partition_config_selectorILNS1_17partition_subalgoE3EjNS0_10empty_typeEbEEZZNS1_14partition_implILS8_3ELb0ES6_jNS0_17counting_iteratorIjlEEPS9_SE_NS0_5tupleIJPjSE_EEENSF_IJSE_SE_EEES9_SG_JZNS1_25segmented_radix_sort_implINS0_14default_configELb1EPKfPfPKlPlN2at6native12_GLOBAL__N_18offset_tEEE10hipError_tPvRmT1_PNSt15iterator_traitsISY_E10value_typeET2_T3_PNSZ_IS14_E10value_typeET4_jRbjT5_S1A_jjP12ihipStream_tbEUljE_EEESV_SW_SX_S14_S18_S1A_T6_T7_T9_mT8_S1C_bDpT10_ENKUlT_T0_E_clISt17integral_constantIbLb1EES1P_EEDaS1K_S1L_EUlS1K_E_NS1_11comp_targetILNS1_3genE9ELNS1_11target_archE1100ELNS1_3gpuE3ELNS1_3repE0EEENS1_30default_config_static_selectorELNS0_4arch9wavefront6targetE0EEEvSY_.num_vgpr, 0
	.set _ZN7rocprim17ROCPRIM_400000_NS6detail17trampoline_kernelINS0_13select_configILj256ELj13ELNS0_17block_load_methodE3ELS4_3ELS4_3ELNS0_20block_scan_algorithmE0ELj4294967295EEENS1_25partition_config_selectorILNS1_17partition_subalgoE3EjNS0_10empty_typeEbEEZZNS1_14partition_implILS8_3ELb0ES6_jNS0_17counting_iteratorIjlEEPS9_SE_NS0_5tupleIJPjSE_EEENSF_IJSE_SE_EEES9_SG_JZNS1_25segmented_radix_sort_implINS0_14default_configELb1EPKfPfPKlPlN2at6native12_GLOBAL__N_18offset_tEEE10hipError_tPvRmT1_PNSt15iterator_traitsISY_E10value_typeET2_T3_PNSZ_IS14_E10value_typeET4_jRbjT5_S1A_jjP12ihipStream_tbEUljE_EEESV_SW_SX_S14_S18_S1A_T6_T7_T9_mT8_S1C_bDpT10_ENKUlT_T0_E_clISt17integral_constantIbLb1EES1P_EEDaS1K_S1L_EUlS1K_E_NS1_11comp_targetILNS1_3genE9ELNS1_11target_archE1100ELNS1_3gpuE3ELNS1_3repE0EEENS1_30default_config_static_selectorELNS0_4arch9wavefront6targetE0EEEvSY_.num_agpr, 0
	.set _ZN7rocprim17ROCPRIM_400000_NS6detail17trampoline_kernelINS0_13select_configILj256ELj13ELNS0_17block_load_methodE3ELS4_3ELS4_3ELNS0_20block_scan_algorithmE0ELj4294967295EEENS1_25partition_config_selectorILNS1_17partition_subalgoE3EjNS0_10empty_typeEbEEZZNS1_14partition_implILS8_3ELb0ES6_jNS0_17counting_iteratorIjlEEPS9_SE_NS0_5tupleIJPjSE_EEENSF_IJSE_SE_EEES9_SG_JZNS1_25segmented_radix_sort_implINS0_14default_configELb1EPKfPfPKlPlN2at6native12_GLOBAL__N_18offset_tEEE10hipError_tPvRmT1_PNSt15iterator_traitsISY_E10value_typeET2_T3_PNSZ_IS14_E10value_typeET4_jRbjT5_S1A_jjP12ihipStream_tbEUljE_EEESV_SW_SX_S14_S18_S1A_T6_T7_T9_mT8_S1C_bDpT10_ENKUlT_T0_E_clISt17integral_constantIbLb1EES1P_EEDaS1K_S1L_EUlS1K_E_NS1_11comp_targetILNS1_3genE9ELNS1_11target_archE1100ELNS1_3gpuE3ELNS1_3repE0EEENS1_30default_config_static_selectorELNS0_4arch9wavefront6targetE0EEEvSY_.numbered_sgpr, 0
	.set _ZN7rocprim17ROCPRIM_400000_NS6detail17trampoline_kernelINS0_13select_configILj256ELj13ELNS0_17block_load_methodE3ELS4_3ELS4_3ELNS0_20block_scan_algorithmE0ELj4294967295EEENS1_25partition_config_selectorILNS1_17partition_subalgoE3EjNS0_10empty_typeEbEEZZNS1_14partition_implILS8_3ELb0ES6_jNS0_17counting_iteratorIjlEEPS9_SE_NS0_5tupleIJPjSE_EEENSF_IJSE_SE_EEES9_SG_JZNS1_25segmented_radix_sort_implINS0_14default_configELb1EPKfPfPKlPlN2at6native12_GLOBAL__N_18offset_tEEE10hipError_tPvRmT1_PNSt15iterator_traitsISY_E10value_typeET2_T3_PNSZ_IS14_E10value_typeET4_jRbjT5_S1A_jjP12ihipStream_tbEUljE_EEESV_SW_SX_S14_S18_S1A_T6_T7_T9_mT8_S1C_bDpT10_ENKUlT_T0_E_clISt17integral_constantIbLb1EES1P_EEDaS1K_S1L_EUlS1K_E_NS1_11comp_targetILNS1_3genE9ELNS1_11target_archE1100ELNS1_3gpuE3ELNS1_3repE0EEENS1_30default_config_static_selectorELNS0_4arch9wavefront6targetE0EEEvSY_.num_named_barrier, 0
	.set _ZN7rocprim17ROCPRIM_400000_NS6detail17trampoline_kernelINS0_13select_configILj256ELj13ELNS0_17block_load_methodE3ELS4_3ELS4_3ELNS0_20block_scan_algorithmE0ELj4294967295EEENS1_25partition_config_selectorILNS1_17partition_subalgoE3EjNS0_10empty_typeEbEEZZNS1_14partition_implILS8_3ELb0ES6_jNS0_17counting_iteratorIjlEEPS9_SE_NS0_5tupleIJPjSE_EEENSF_IJSE_SE_EEES9_SG_JZNS1_25segmented_radix_sort_implINS0_14default_configELb1EPKfPfPKlPlN2at6native12_GLOBAL__N_18offset_tEEE10hipError_tPvRmT1_PNSt15iterator_traitsISY_E10value_typeET2_T3_PNSZ_IS14_E10value_typeET4_jRbjT5_S1A_jjP12ihipStream_tbEUljE_EEESV_SW_SX_S14_S18_S1A_T6_T7_T9_mT8_S1C_bDpT10_ENKUlT_T0_E_clISt17integral_constantIbLb1EES1P_EEDaS1K_S1L_EUlS1K_E_NS1_11comp_targetILNS1_3genE9ELNS1_11target_archE1100ELNS1_3gpuE3ELNS1_3repE0EEENS1_30default_config_static_selectorELNS0_4arch9wavefront6targetE0EEEvSY_.private_seg_size, 0
	.set _ZN7rocprim17ROCPRIM_400000_NS6detail17trampoline_kernelINS0_13select_configILj256ELj13ELNS0_17block_load_methodE3ELS4_3ELS4_3ELNS0_20block_scan_algorithmE0ELj4294967295EEENS1_25partition_config_selectorILNS1_17partition_subalgoE3EjNS0_10empty_typeEbEEZZNS1_14partition_implILS8_3ELb0ES6_jNS0_17counting_iteratorIjlEEPS9_SE_NS0_5tupleIJPjSE_EEENSF_IJSE_SE_EEES9_SG_JZNS1_25segmented_radix_sort_implINS0_14default_configELb1EPKfPfPKlPlN2at6native12_GLOBAL__N_18offset_tEEE10hipError_tPvRmT1_PNSt15iterator_traitsISY_E10value_typeET2_T3_PNSZ_IS14_E10value_typeET4_jRbjT5_S1A_jjP12ihipStream_tbEUljE_EEESV_SW_SX_S14_S18_S1A_T6_T7_T9_mT8_S1C_bDpT10_ENKUlT_T0_E_clISt17integral_constantIbLb1EES1P_EEDaS1K_S1L_EUlS1K_E_NS1_11comp_targetILNS1_3genE9ELNS1_11target_archE1100ELNS1_3gpuE3ELNS1_3repE0EEENS1_30default_config_static_selectorELNS0_4arch9wavefront6targetE0EEEvSY_.uses_vcc, 0
	.set _ZN7rocprim17ROCPRIM_400000_NS6detail17trampoline_kernelINS0_13select_configILj256ELj13ELNS0_17block_load_methodE3ELS4_3ELS4_3ELNS0_20block_scan_algorithmE0ELj4294967295EEENS1_25partition_config_selectorILNS1_17partition_subalgoE3EjNS0_10empty_typeEbEEZZNS1_14partition_implILS8_3ELb0ES6_jNS0_17counting_iteratorIjlEEPS9_SE_NS0_5tupleIJPjSE_EEENSF_IJSE_SE_EEES9_SG_JZNS1_25segmented_radix_sort_implINS0_14default_configELb1EPKfPfPKlPlN2at6native12_GLOBAL__N_18offset_tEEE10hipError_tPvRmT1_PNSt15iterator_traitsISY_E10value_typeET2_T3_PNSZ_IS14_E10value_typeET4_jRbjT5_S1A_jjP12ihipStream_tbEUljE_EEESV_SW_SX_S14_S18_S1A_T6_T7_T9_mT8_S1C_bDpT10_ENKUlT_T0_E_clISt17integral_constantIbLb1EES1P_EEDaS1K_S1L_EUlS1K_E_NS1_11comp_targetILNS1_3genE9ELNS1_11target_archE1100ELNS1_3gpuE3ELNS1_3repE0EEENS1_30default_config_static_selectorELNS0_4arch9wavefront6targetE0EEEvSY_.uses_flat_scratch, 0
	.set _ZN7rocprim17ROCPRIM_400000_NS6detail17trampoline_kernelINS0_13select_configILj256ELj13ELNS0_17block_load_methodE3ELS4_3ELS4_3ELNS0_20block_scan_algorithmE0ELj4294967295EEENS1_25partition_config_selectorILNS1_17partition_subalgoE3EjNS0_10empty_typeEbEEZZNS1_14partition_implILS8_3ELb0ES6_jNS0_17counting_iteratorIjlEEPS9_SE_NS0_5tupleIJPjSE_EEENSF_IJSE_SE_EEES9_SG_JZNS1_25segmented_radix_sort_implINS0_14default_configELb1EPKfPfPKlPlN2at6native12_GLOBAL__N_18offset_tEEE10hipError_tPvRmT1_PNSt15iterator_traitsISY_E10value_typeET2_T3_PNSZ_IS14_E10value_typeET4_jRbjT5_S1A_jjP12ihipStream_tbEUljE_EEESV_SW_SX_S14_S18_S1A_T6_T7_T9_mT8_S1C_bDpT10_ENKUlT_T0_E_clISt17integral_constantIbLb1EES1P_EEDaS1K_S1L_EUlS1K_E_NS1_11comp_targetILNS1_3genE9ELNS1_11target_archE1100ELNS1_3gpuE3ELNS1_3repE0EEENS1_30default_config_static_selectorELNS0_4arch9wavefront6targetE0EEEvSY_.has_dyn_sized_stack, 0
	.set _ZN7rocprim17ROCPRIM_400000_NS6detail17trampoline_kernelINS0_13select_configILj256ELj13ELNS0_17block_load_methodE3ELS4_3ELS4_3ELNS0_20block_scan_algorithmE0ELj4294967295EEENS1_25partition_config_selectorILNS1_17partition_subalgoE3EjNS0_10empty_typeEbEEZZNS1_14partition_implILS8_3ELb0ES6_jNS0_17counting_iteratorIjlEEPS9_SE_NS0_5tupleIJPjSE_EEENSF_IJSE_SE_EEES9_SG_JZNS1_25segmented_radix_sort_implINS0_14default_configELb1EPKfPfPKlPlN2at6native12_GLOBAL__N_18offset_tEEE10hipError_tPvRmT1_PNSt15iterator_traitsISY_E10value_typeET2_T3_PNSZ_IS14_E10value_typeET4_jRbjT5_S1A_jjP12ihipStream_tbEUljE_EEESV_SW_SX_S14_S18_S1A_T6_T7_T9_mT8_S1C_bDpT10_ENKUlT_T0_E_clISt17integral_constantIbLb1EES1P_EEDaS1K_S1L_EUlS1K_E_NS1_11comp_targetILNS1_3genE9ELNS1_11target_archE1100ELNS1_3gpuE3ELNS1_3repE0EEENS1_30default_config_static_selectorELNS0_4arch9wavefront6targetE0EEEvSY_.has_recursion, 0
	.set _ZN7rocprim17ROCPRIM_400000_NS6detail17trampoline_kernelINS0_13select_configILj256ELj13ELNS0_17block_load_methodE3ELS4_3ELS4_3ELNS0_20block_scan_algorithmE0ELj4294967295EEENS1_25partition_config_selectorILNS1_17partition_subalgoE3EjNS0_10empty_typeEbEEZZNS1_14partition_implILS8_3ELb0ES6_jNS0_17counting_iteratorIjlEEPS9_SE_NS0_5tupleIJPjSE_EEENSF_IJSE_SE_EEES9_SG_JZNS1_25segmented_radix_sort_implINS0_14default_configELb1EPKfPfPKlPlN2at6native12_GLOBAL__N_18offset_tEEE10hipError_tPvRmT1_PNSt15iterator_traitsISY_E10value_typeET2_T3_PNSZ_IS14_E10value_typeET4_jRbjT5_S1A_jjP12ihipStream_tbEUljE_EEESV_SW_SX_S14_S18_S1A_T6_T7_T9_mT8_S1C_bDpT10_ENKUlT_T0_E_clISt17integral_constantIbLb1EES1P_EEDaS1K_S1L_EUlS1K_E_NS1_11comp_targetILNS1_3genE9ELNS1_11target_archE1100ELNS1_3gpuE3ELNS1_3repE0EEENS1_30default_config_static_selectorELNS0_4arch9wavefront6targetE0EEEvSY_.has_indirect_call, 0
	.section	.AMDGPU.csdata,"",@progbits
; Kernel info:
; codeLenInByte = 0
; TotalNumSgprs: 0
; NumVgprs: 0
; ScratchSize: 0
; MemoryBound: 0
; FloatMode: 240
; IeeeMode: 1
; LDSByteSize: 0 bytes/workgroup (compile time only)
; SGPRBlocks: 0
; VGPRBlocks: 0
; NumSGPRsForWavesPerEU: 1
; NumVGPRsForWavesPerEU: 1
; NamedBarCnt: 0
; Occupancy: 16
; WaveLimiterHint : 0
; COMPUTE_PGM_RSRC2:SCRATCH_EN: 0
; COMPUTE_PGM_RSRC2:USER_SGPR: 2
; COMPUTE_PGM_RSRC2:TRAP_HANDLER: 0
; COMPUTE_PGM_RSRC2:TGID_X_EN: 1
; COMPUTE_PGM_RSRC2:TGID_Y_EN: 0
; COMPUTE_PGM_RSRC2:TGID_Z_EN: 0
; COMPUTE_PGM_RSRC2:TIDIG_COMP_CNT: 0
	.section	.text._ZN7rocprim17ROCPRIM_400000_NS6detail17trampoline_kernelINS0_13select_configILj256ELj13ELNS0_17block_load_methodE3ELS4_3ELS4_3ELNS0_20block_scan_algorithmE0ELj4294967295EEENS1_25partition_config_selectorILNS1_17partition_subalgoE3EjNS0_10empty_typeEbEEZZNS1_14partition_implILS8_3ELb0ES6_jNS0_17counting_iteratorIjlEEPS9_SE_NS0_5tupleIJPjSE_EEENSF_IJSE_SE_EEES9_SG_JZNS1_25segmented_radix_sort_implINS0_14default_configELb1EPKfPfPKlPlN2at6native12_GLOBAL__N_18offset_tEEE10hipError_tPvRmT1_PNSt15iterator_traitsISY_E10value_typeET2_T3_PNSZ_IS14_E10value_typeET4_jRbjT5_S1A_jjP12ihipStream_tbEUljE_EEESV_SW_SX_S14_S18_S1A_T6_T7_T9_mT8_S1C_bDpT10_ENKUlT_T0_E_clISt17integral_constantIbLb1EES1P_EEDaS1K_S1L_EUlS1K_E_NS1_11comp_targetILNS1_3genE8ELNS1_11target_archE1030ELNS1_3gpuE2ELNS1_3repE0EEENS1_30default_config_static_selectorELNS0_4arch9wavefront6targetE0EEEvSY_,"axG",@progbits,_ZN7rocprim17ROCPRIM_400000_NS6detail17trampoline_kernelINS0_13select_configILj256ELj13ELNS0_17block_load_methodE3ELS4_3ELS4_3ELNS0_20block_scan_algorithmE0ELj4294967295EEENS1_25partition_config_selectorILNS1_17partition_subalgoE3EjNS0_10empty_typeEbEEZZNS1_14partition_implILS8_3ELb0ES6_jNS0_17counting_iteratorIjlEEPS9_SE_NS0_5tupleIJPjSE_EEENSF_IJSE_SE_EEES9_SG_JZNS1_25segmented_radix_sort_implINS0_14default_configELb1EPKfPfPKlPlN2at6native12_GLOBAL__N_18offset_tEEE10hipError_tPvRmT1_PNSt15iterator_traitsISY_E10value_typeET2_T3_PNSZ_IS14_E10value_typeET4_jRbjT5_S1A_jjP12ihipStream_tbEUljE_EEESV_SW_SX_S14_S18_S1A_T6_T7_T9_mT8_S1C_bDpT10_ENKUlT_T0_E_clISt17integral_constantIbLb1EES1P_EEDaS1K_S1L_EUlS1K_E_NS1_11comp_targetILNS1_3genE8ELNS1_11target_archE1030ELNS1_3gpuE2ELNS1_3repE0EEENS1_30default_config_static_selectorELNS0_4arch9wavefront6targetE0EEEvSY_,comdat
	.globl	_ZN7rocprim17ROCPRIM_400000_NS6detail17trampoline_kernelINS0_13select_configILj256ELj13ELNS0_17block_load_methodE3ELS4_3ELS4_3ELNS0_20block_scan_algorithmE0ELj4294967295EEENS1_25partition_config_selectorILNS1_17partition_subalgoE3EjNS0_10empty_typeEbEEZZNS1_14partition_implILS8_3ELb0ES6_jNS0_17counting_iteratorIjlEEPS9_SE_NS0_5tupleIJPjSE_EEENSF_IJSE_SE_EEES9_SG_JZNS1_25segmented_radix_sort_implINS0_14default_configELb1EPKfPfPKlPlN2at6native12_GLOBAL__N_18offset_tEEE10hipError_tPvRmT1_PNSt15iterator_traitsISY_E10value_typeET2_T3_PNSZ_IS14_E10value_typeET4_jRbjT5_S1A_jjP12ihipStream_tbEUljE_EEESV_SW_SX_S14_S18_S1A_T6_T7_T9_mT8_S1C_bDpT10_ENKUlT_T0_E_clISt17integral_constantIbLb1EES1P_EEDaS1K_S1L_EUlS1K_E_NS1_11comp_targetILNS1_3genE8ELNS1_11target_archE1030ELNS1_3gpuE2ELNS1_3repE0EEENS1_30default_config_static_selectorELNS0_4arch9wavefront6targetE0EEEvSY_ ; -- Begin function _ZN7rocprim17ROCPRIM_400000_NS6detail17trampoline_kernelINS0_13select_configILj256ELj13ELNS0_17block_load_methodE3ELS4_3ELS4_3ELNS0_20block_scan_algorithmE0ELj4294967295EEENS1_25partition_config_selectorILNS1_17partition_subalgoE3EjNS0_10empty_typeEbEEZZNS1_14partition_implILS8_3ELb0ES6_jNS0_17counting_iteratorIjlEEPS9_SE_NS0_5tupleIJPjSE_EEENSF_IJSE_SE_EEES9_SG_JZNS1_25segmented_radix_sort_implINS0_14default_configELb1EPKfPfPKlPlN2at6native12_GLOBAL__N_18offset_tEEE10hipError_tPvRmT1_PNSt15iterator_traitsISY_E10value_typeET2_T3_PNSZ_IS14_E10value_typeET4_jRbjT5_S1A_jjP12ihipStream_tbEUljE_EEESV_SW_SX_S14_S18_S1A_T6_T7_T9_mT8_S1C_bDpT10_ENKUlT_T0_E_clISt17integral_constantIbLb1EES1P_EEDaS1K_S1L_EUlS1K_E_NS1_11comp_targetILNS1_3genE8ELNS1_11target_archE1030ELNS1_3gpuE2ELNS1_3repE0EEENS1_30default_config_static_selectorELNS0_4arch9wavefront6targetE0EEEvSY_
	.p2align	8
	.type	_ZN7rocprim17ROCPRIM_400000_NS6detail17trampoline_kernelINS0_13select_configILj256ELj13ELNS0_17block_load_methodE3ELS4_3ELS4_3ELNS0_20block_scan_algorithmE0ELj4294967295EEENS1_25partition_config_selectorILNS1_17partition_subalgoE3EjNS0_10empty_typeEbEEZZNS1_14partition_implILS8_3ELb0ES6_jNS0_17counting_iteratorIjlEEPS9_SE_NS0_5tupleIJPjSE_EEENSF_IJSE_SE_EEES9_SG_JZNS1_25segmented_radix_sort_implINS0_14default_configELb1EPKfPfPKlPlN2at6native12_GLOBAL__N_18offset_tEEE10hipError_tPvRmT1_PNSt15iterator_traitsISY_E10value_typeET2_T3_PNSZ_IS14_E10value_typeET4_jRbjT5_S1A_jjP12ihipStream_tbEUljE_EEESV_SW_SX_S14_S18_S1A_T6_T7_T9_mT8_S1C_bDpT10_ENKUlT_T0_E_clISt17integral_constantIbLb1EES1P_EEDaS1K_S1L_EUlS1K_E_NS1_11comp_targetILNS1_3genE8ELNS1_11target_archE1030ELNS1_3gpuE2ELNS1_3repE0EEENS1_30default_config_static_selectorELNS0_4arch9wavefront6targetE0EEEvSY_,@function
_ZN7rocprim17ROCPRIM_400000_NS6detail17trampoline_kernelINS0_13select_configILj256ELj13ELNS0_17block_load_methodE3ELS4_3ELS4_3ELNS0_20block_scan_algorithmE0ELj4294967295EEENS1_25partition_config_selectorILNS1_17partition_subalgoE3EjNS0_10empty_typeEbEEZZNS1_14partition_implILS8_3ELb0ES6_jNS0_17counting_iteratorIjlEEPS9_SE_NS0_5tupleIJPjSE_EEENSF_IJSE_SE_EEES9_SG_JZNS1_25segmented_radix_sort_implINS0_14default_configELb1EPKfPfPKlPlN2at6native12_GLOBAL__N_18offset_tEEE10hipError_tPvRmT1_PNSt15iterator_traitsISY_E10value_typeET2_T3_PNSZ_IS14_E10value_typeET4_jRbjT5_S1A_jjP12ihipStream_tbEUljE_EEESV_SW_SX_S14_S18_S1A_T6_T7_T9_mT8_S1C_bDpT10_ENKUlT_T0_E_clISt17integral_constantIbLb1EES1P_EEDaS1K_S1L_EUlS1K_E_NS1_11comp_targetILNS1_3genE8ELNS1_11target_archE1030ELNS1_3gpuE2ELNS1_3repE0EEENS1_30default_config_static_selectorELNS0_4arch9wavefront6targetE0EEEvSY_: ; @_ZN7rocprim17ROCPRIM_400000_NS6detail17trampoline_kernelINS0_13select_configILj256ELj13ELNS0_17block_load_methodE3ELS4_3ELS4_3ELNS0_20block_scan_algorithmE0ELj4294967295EEENS1_25partition_config_selectorILNS1_17partition_subalgoE3EjNS0_10empty_typeEbEEZZNS1_14partition_implILS8_3ELb0ES6_jNS0_17counting_iteratorIjlEEPS9_SE_NS0_5tupleIJPjSE_EEENSF_IJSE_SE_EEES9_SG_JZNS1_25segmented_radix_sort_implINS0_14default_configELb1EPKfPfPKlPlN2at6native12_GLOBAL__N_18offset_tEEE10hipError_tPvRmT1_PNSt15iterator_traitsISY_E10value_typeET2_T3_PNSZ_IS14_E10value_typeET4_jRbjT5_S1A_jjP12ihipStream_tbEUljE_EEESV_SW_SX_S14_S18_S1A_T6_T7_T9_mT8_S1C_bDpT10_ENKUlT_T0_E_clISt17integral_constantIbLb1EES1P_EEDaS1K_S1L_EUlS1K_E_NS1_11comp_targetILNS1_3genE8ELNS1_11target_archE1030ELNS1_3gpuE2ELNS1_3repE0EEENS1_30default_config_static_selectorELNS0_4arch9wavefront6targetE0EEEvSY_
; %bb.0:
	.section	.rodata,"a",@progbits
	.p2align	6, 0x0
	.amdhsa_kernel _ZN7rocprim17ROCPRIM_400000_NS6detail17trampoline_kernelINS0_13select_configILj256ELj13ELNS0_17block_load_methodE3ELS4_3ELS4_3ELNS0_20block_scan_algorithmE0ELj4294967295EEENS1_25partition_config_selectorILNS1_17partition_subalgoE3EjNS0_10empty_typeEbEEZZNS1_14partition_implILS8_3ELb0ES6_jNS0_17counting_iteratorIjlEEPS9_SE_NS0_5tupleIJPjSE_EEENSF_IJSE_SE_EEES9_SG_JZNS1_25segmented_radix_sort_implINS0_14default_configELb1EPKfPfPKlPlN2at6native12_GLOBAL__N_18offset_tEEE10hipError_tPvRmT1_PNSt15iterator_traitsISY_E10value_typeET2_T3_PNSZ_IS14_E10value_typeET4_jRbjT5_S1A_jjP12ihipStream_tbEUljE_EEESV_SW_SX_S14_S18_S1A_T6_T7_T9_mT8_S1C_bDpT10_ENKUlT_T0_E_clISt17integral_constantIbLb1EES1P_EEDaS1K_S1L_EUlS1K_E_NS1_11comp_targetILNS1_3genE8ELNS1_11target_archE1030ELNS1_3gpuE2ELNS1_3repE0EEENS1_30default_config_static_selectorELNS0_4arch9wavefront6targetE0EEEvSY_
		.amdhsa_group_segment_fixed_size 0
		.amdhsa_private_segment_fixed_size 0
		.amdhsa_kernarg_size 152
		.amdhsa_user_sgpr_count 2
		.amdhsa_user_sgpr_dispatch_ptr 0
		.amdhsa_user_sgpr_queue_ptr 0
		.amdhsa_user_sgpr_kernarg_segment_ptr 1
		.amdhsa_user_sgpr_dispatch_id 0
		.amdhsa_user_sgpr_kernarg_preload_length 0
		.amdhsa_user_sgpr_kernarg_preload_offset 0
		.amdhsa_user_sgpr_private_segment_size 0
		.amdhsa_wavefront_size32 1
		.amdhsa_uses_dynamic_stack 0
		.amdhsa_enable_private_segment 0
		.amdhsa_system_sgpr_workgroup_id_x 1
		.amdhsa_system_sgpr_workgroup_id_y 0
		.amdhsa_system_sgpr_workgroup_id_z 0
		.amdhsa_system_sgpr_workgroup_info 0
		.amdhsa_system_vgpr_workitem_id 0
		.amdhsa_next_free_vgpr 1
		.amdhsa_next_free_sgpr 1
		.amdhsa_named_barrier_count 0
		.amdhsa_reserve_vcc 0
		.amdhsa_float_round_mode_32 0
		.amdhsa_float_round_mode_16_64 0
		.amdhsa_float_denorm_mode_32 3
		.amdhsa_float_denorm_mode_16_64 3
		.amdhsa_fp16_overflow 0
		.amdhsa_memory_ordered 1
		.amdhsa_forward_progress 1
		.amdhsa_inst_pref_size 0
		.amdhsa_round_robin_scheduling 0
		.amdhsa_exception_fp_ieee_invalid_op 0
		.amdhsa_exception_fp_denorm_src 0
		.amdhsa_exception_fp_ieee_div_zero 0
		.amdhsa_exception_fp_ieee_overflow 0
		.amdhsa_exception_fp_ieee_underflow 0
		.amdhsa_exception_fp_ieee_inexact 0
		.amdhsa_exception_int_div_zero 0
	.end_amdhsa_kernel
	.section	.text._ZN7rocprim17ROCPRIM_400000_NS6detail17trampoline_kernelINS0_13select_configILj256ELj13ELNS0_17block_load_methodE3ELS4_3ELS4_3ELNS0_20block_scan_algorithmE0ELj4294967295EEENS1_25partition_config_selectorILNS1_17partition_subalgoE3EjNS0_10empty_typeEbEEZZNS1_14partition_implILS8_3ELb0ES6_jNS0_17counting_iteratorIjlEEPS9_SE_NS0_5tupleIJPjSE_EEENSF_IJSE_SE_EEES9_SG_JZNS1_25segmented_radix_sort_implINS0_14default_configELb1EPKfPfPKlPlN2at6native12_GLOBAL__N_18offset_tEEE10hipError_tPvRmT1_PNSt15iterator_traitsISY_E10value_typeET2_T3_PNSZ_IS14_E10value_typeET4_jRbjT5_S1A_jjP12ihipStream_tbEUljE_EEESV_SW_SX_S14_S18_S1A_T6_T7_T9_mT8_S1C_bDpT10_ENKUlT_T0_E_clISt17integral_constantIbLb1EES1P_EEDaS1K_S1L_EUlS1K_E_NS1_11comp_targetILNS1_3genE8ELNS1_11target_archE1030ELNS1_3gpuE2ELNS1_3repE0EEENS1_30default_config_static_selectorELNS0_4arch9wavefront6targetE0EEEvSY_,"axG",@progbits,_ZN7rocprim17ROCPRIM_400000_NS6detail17trampoline_kernelINS0_13select_configILj256ELj13ELNS0_17block_load_methodE3ELS4_3ELS4_3ELNS0_20block_scan_algorithmE0ELj4294967295EEENS1_25partition_config_selectorILNS1_17partition_subalgoE3EjNS0_10empty_typeEbEEZZNS1_14partition_implILS8_3ELb0ES6_jNS0_17counting_iteratorIjlEEPS9_SE_NS0_5tupleIJPjSE_EEENSF_IJSE_SE_EEES9_SG_JZNS1_25segmented_radix_sort_implINS0_14default_configELb1EPKfPfPKlPlN2at6native12_GLOBAL__N_18offset_tEEE10hipError_tPvRmT1_PNSt15iterator_traitsISY_E10value_typeET2_T3_PNSZ_IS14_E10value_typeET4_jRbjT5_S1A_jjP12ihipStream_tbEUljE_EEESV_SW_SX_S14_S18_S1A_T6_T7_T9_mT8_S1C_bDpT10_ENKUlT_T0_E_clISt17integral_constantIbLb1EES1P_EEDaS1K_S1L_EUlS1K_E_NS1_11comp_targetILNS1_3genE8ELNS1_11target_archE1030ELNS1_3gpuE2ELNS1_3repE0EEENS1_30default_config_static_selectorELNS0_4arch9wavefront6targetE0EEEvSY_,comdat
.Lfunc_end1302:
	.size	_ZN7rocprim17ROCPRIM_400000_NS6detail17trampoline_kernelINS0_13select_configILj256ELj13ELNS0_17block_load_methodE3ELS4_3ELS4_3ELNS0_20block_scan_algorithmE0ELj4294967295EEENS1_25partition_config_selectorILNS1_17partition_subalgoE3EjNS0_10empty_typeEbEEZZNS1_14partition_implILS8_3ELb0ES6_jNS0_17counting_iteratorIjlEEPS9_SE_NS0_5tupleIJPjSE_EEENSF_IJSE_SE_EEES9_SG_JZNS1_25segmented_radix_sort_implINS0_14default_configELb1EPKfPfPKlPlN2at6native12_GLOBAL__N_18offset_tEEE10hipError_tPvRmT1_PNSt15iterator_traitsISY_E10value_typeET2_T3_PNSZ_IS14_E10value_typeET4_jRbjT5_S1A_jjP12ihipStream_tbEUljE_EEESV_SW_SX_S14_S18_S1A_T6_T7_T9_mT8_S1C_bDpT10_ENKUlT_T0_E_clISt17integral_constantIbLb1EES1P_EEDaS1K_S1L_EUlS1K_E_NS1_11comp_targetILNS1_3genE8ELNS1_11target_archE1030ELNS1_3gpuE2ELNS1_3repE0EEENS1_30default_config_static_selectorELNS0_4arch9wavefront6targetE0EEEvSY_, .Lfunc_end1302-_ZN7rocprim17ROCPRIM_400000_NS6detail17trampoline_kernelINS0_13select_configILj256ELj13ELNS0_17block_load_methodE3ELS4_3ELS4_3ELNS0_20block_scan_algorithmE0ELj4294967295EEENS1_25partition_config_selectorILNS1_17partition_subalgoE3EjNS0_10empty_typeEbEEZZNS1_14partition_implILS8_3ELb0ES6_jNS0_17counting_iteratorIjlEEPS9_SE_NS0_5tupleIJPjSE_EEENSF_IJSE_SE_EEES9_SG_JZNS1_25segmented_radix_sort_implINS0_14default_configELb1EPKfPfPKlPlN2at6native12_GLOBAL__N_18offset_tEEE10hipError_tPvRmT1_PNSt15iterator_traitsISY_E10value_typeET2_T3_PNSZ_IS14_E10value_typeET4_jRbjT5_S1A_jjP12ihipStream_tbEUljE_EEESV_SW_SX_S14_S18_S1A_T6_T7_T9_mT8_S1C_bDpT10_ENKUlT_T0_E_clISt17integral_constantIbLb1EES1P_EEDaS1K_S1L_EUlS1K_E_NS1_11comp_targetILNS1_3genE8ELNS1_11target_archE1030ELNS1_3gpuE2ELNS1_3repE0EEENS1_30default_config_static_selectorELNS0_4arch9wavefront6targetE0EEEvSY_
                                        ; -- End function
	.set _ZN7rocprim17ROCPRIM_400000_NS6detail17trampoline_kernelINS0_13select_configILj256ELj13ELNS0_17block_load_methodE3ELS4_3ELS4_3ELNS0_20block_scan_algorithmE0ELj4294967295EEENS1_25partition_config_selectorILNS1_17partition_subalgoE3EjNS0_10empty_typeEbEEZZNS1_14partition_implILS8_3ELb0ES6_jNS0_17counting_iteratorIjlEEPS9_SE_NS0_5tupleIJPjSE_EEENSF_IJSE_SE_EEES9_SG_JZNS1_25segmented_radix_sort_implINS0_14default_configELb1EPKfPfPKlPlN2at6native12_GLOBAL__N_18offset_tEEE10hipError_tPvRmT1_PNSt15iterator_traitsISY_E10value_typeET2_T3_PNSZ_IS14_E10value_typeET4_jRbjT5_S1A_jjP12ihipStream_tbEUljE_EEESV_SW_SX_S14_S18_S1A_T6_T7_T9_mT8_S1C_bDpT10_ENKUlT_T0_E_clISt17integral_constantIbLb1EES1P_EEDaS1K_S1L_EUlS1K_E_NS1_11comp_targetILNS1_3genE8ELNS1_11target_archE1030ELNS1_3gpuE2ELNS1_3repE0EEENS1_30default_config_static_selectorELNS0_4arch9wavefront6targetE0EEEvSY_.num_vgpr, 0
	.set _ZN7rocprim17ROCPRIM_400000_NS6detail17trampoline_kernelINS0_13select_configILj256ELj13ELNS0_17block_load_methodE3ELS4_3ELS4_3ELNS0_20block_scan_algorithmE0ELj4294967295EEENS1_25partition_config_selectorILNS1_17partition_subalgoE3EjNS0_10empty_typeEbEEZZNS1_14partition_implILS8_3ELb0ES6_jNS0_17counting_iteratorIjlEEPS9_SE_NS0_5tupleIJPjSE_EEENSF_IJSE_SE_EEES9_SG_JZNS1_25segmented_radix_sort_implINS0_14default_configELb1EPKfPfPKlPlN2at6native12_GLOBAL__N_18offset_tEEE10hipError_tPvRmT1_PNSt15iterator_traitsISY_E10value_typeET2_T3_PNSZ_IS14_E10value_typeET4_jRbjT5_S1A_jjP12ihipStream_tbEUljE_EEESV_SW_SX_S14_S18_S1A_T6_T7_T9_mT8_S1C_bDpT10_ENKUlT_T0_E_clISt17integral_constantIbLb1EES1P_EEDaS1K_S1L_EUlS1K_E_NS1_11comp_targetILNS1_3genE8ELNS1_11target_archE1030ELNS1_3gpuE2ELNS1_3repE0EEENS1_30default_config_static_selectorELNS0_4arch9wavefront6targetE0EEEvSY_.num_agpr, 0
	.set _ZN7rocprim17ROCPRIM_400000_NS6detail17trampoline_kernelINS0_13select_configILj256ELj13ELNS0_17block_load_methodE3ELS4_3ELS4_3ELNS0_20block_scan_algorithmE0ELj4294967295EEENS1_25partition_config_selectorILNS1_17partition_subalgoE3EjNS0_10empty_typeEbEEZZNS1_14partition_implILS8_3ELb0ES6_jNS0_17counting_iteratorIjlEEPS9_SE_NS0_5tupleIJPjSE_EEENSF_IJSE_SE_EEES9_SG_JZNS1_25segmented_radix_sort_implINS0_14default_configELb1EPKfPfPKlPlN2at6native12_GLOBAL__N_18offset_tEEE10hipError_tPvRmT1_PNSt15iterator_traitsISY_E10value_typeET2_T3_PNSZ_IS14_E10value_typeET4_jRbjT5_S1A_jjP12ihipStream_tbEUljE_EEESV_SW_SX_S14_S18_S1A_T6_T7_T9_mT8_S1C_bDpT10_ENKUlT_T0_E_clISt17integral_constantIbLb1EES1P_EEDaS1K_S1L_EUlS1K_E_NS1_11comp_targetILNS1_3genE8ELNS1_11target_archE1030ELNS1_3gpuE2ELNS1_3repE0EEENS1_30default_config_static_selectorELNS0_4arch9wavefront6targetE0EEEvSY_.numbered_sgpr, 0
	.set _ZN7rocprim17ROCPRIM_400000_NS6detail17trampoline_kernelINS0_13select_configILj256ELj13ELNS0_17block_load_methodE3ELS4_3ELS4_3ELNS0_20block_scan_algorithmE0ELj4294967295EEENS1_25partition_config_selectorILNS1_17partition_subalgoE3EjNS0_10empty_typeEbEEZZNS1_14partition_implILS8_3ELb0ES6_jNS0_17counting_iteratorIjlEEPS9_SE_NS0_5tupleIJPjSE_EEENSF_IJSE_SE_EEES9_SG_JZNS1_25segmented_radix_sort_implINS0_14default_configELb1EPKfPfPKlPlN2at6native12_GLOBAL__N_18offset_tEEE10hipError_tPvRmT1_PNSt15iterator_traitsISY_E10value_typeET2_T3_PNSZ_IS14_E10value_typeET4_jRbjT5_S1A_jjP12ihipStream_tbEUljE_EEESV_SW_SX_S14_S18_S1A_T6_T7_T9_mT8_S1C_bDpT10_ENKUlT_T0_E_clISt17integral_constantIbLb1EES1P_EEDaS1K_S1L_EUlS1K_E_NS1_11comp_targetILNS1_3genE8ELNS1_11target_archE1030ELNS1_3gpuE2ELNS1_3repE0EEENS1_30default_config_static_selectorELNS0_4arch9wavefront6targetE0EEEvSY_.num_named_barrier, 0
	.set _ZN7rocprim17ROCPRIM_400000_NS6detail17trampoline_kernelINS0_13select_configILj256ELj13ELNS0_17block_load_methodE3ELS4_3ELS4_3ELNS0_20block_scan_algorithmE0ELj4294967295EEENS1_25partition_config_selectorILNS1_17partition_subalgoE3EjNS0_10empty_typeEbEEZZNS1_14partition_implILS8_3ELb0ES6_jNS0_17counting_iteratorIjlEEPS9_SE_NS0_5tupleIJPjSE_EEENSF_IJSE_SE_EEES9_SG_JZNS1_25segmented_radix_sort_implINS0_14default_configELb1EPKfPfPKlPlN2at6native12_GLOBAL__N_18offset_tEEE10hipError_tPvRmT1_PNSt15iterator_traitsISY_E10value_typeET2_T3_PNSZ_IS14_E10value_typeET4_jRbjT5_S1A_jjP12ihipStream_tbEUljE_EEESV_SW_SX_S14_S18_S1A_T6_T7_T9_mT8_S1C_bDpT10_ENKUlT_T0_E_clISt17integral_constantIbLb1EES1P_EEDaS1K_S1L_EUlS1K_E_NS1_11comp_targetILNS1_3genE8ELNS1_11target_archE1030ELNS1_3gpuE2ELNS1_3repE0EEENS1_30default_config_static_selectorELNS0_4arch9wavefront6targetE0EEEvSY_.private_seg_size, 0
	.set _ZN7rocprim17ROCPRIM_400000_NS6detail17trampoline_kernelINS0_13select_configILj256ELj13ELNS0_17block_load_methodE3ELS4_3ELS4_3ELNS0_20block_scan_algorithmE0ELj4294967295EEENS1_25partition_config_selectorILNS1_17partition_subalgoE3EjNS0_10empty_typeEbEEZZNS1_14partition_implILS8_3ELb0ES6_jNS0_17counting_iteratorIjlEEPS9_SE_NS0_5tupleIJPjSE_EEENSF_IJSE_SE_EEES9_SG_JZNS1_25segmented_radix_sort_implINS0_14default_configELb1EPKfPfPKlPlN2at6native12_GLOBAL__N_18offset_tEEE10hipError_tPvRmT1_PNSt15iterator_traitsISY_E10value_typeET2_T3_PNSZ_IS14_E10value_typeET4_jRbjT5_S1A_jjP12ihipStream_tbEUljE_EEESV_SW_SX_S14_S18_S1A_T6_T7_T9_mT8_S1C_bDpT10_ENKUlT_T0_E_clISt17integral_constantIbLb1EES1P_EEDaS1K_S1L_EUlS1K_E_NS1_11comp_targetILNS1_3genE8ELNS1_11target_archE1030ELNS1_3gpuE2ELNS1_3repE0EEENS1_30default_config_static_selectorELNS0_4arch9wavefront6targetE0EEEvSY_.uses_vcc, 0
	.set _ZN7rocprim17ROCPRIM_400000_NS6detail17trampoline_kernelINS0_13select_configILj256ELj13ELNS0_17block_load_methodE3ELS4_3ELS4_3ELNS0_20block_scan_algorithmE0ELj4294967295EEENS1_25partition_config_selectorILNS1_17partition_subalgoE3EjNS0_10empty_typeEbEEZZNS1_14partition_implILS8_3ELb0ES6_jNS0_17counting_iteratorIjlEEPS9_SE_NS0_5tupleIJPjSE_EEENSF_IJSE_SE_EEES9_SG_JZNS1_25segmented_radix_sort_implINS0_14default_configELb1EPKfPfPKlPlN2at6native12_GLOBAL__N_18offset_tEEE10hipError_tPvRmT1_PNSt15iterator_traitsISY_E10value_typeET2_T3_PNSZ_IS14_E10value_typeET4_jRbjT5_S1A_jjP12ihipStream_tbEUljE_EEESV_SW_SX_S14_S18_S1A_T6_T7_T9_mT8_S1C_bDpT10_ENKUlT_T0_E_clISt17integral_constantIbLb1EES1P_EEDaS1K_S1L_EUlS1K_E_NS1_11comp_targetILNS1_3genE8ELNS1_11target_archE1030ELNS1_3gpuE2ELNS1_3repE0EEENS1_30default_config_static_selectorELNS0_4arch9wavefront6targetE0EEEvSY_.uses_flat_scratch, 0
	.set _ZN7rocprim17ROCPRIM_400000_NS6detail17trampoline_kernelINS0_13select_configILj256ELj13ELNS0_17block_load_methodE3ELS4_3ELS4_3ELNS0_20block_scan_algorithmE0ELj4294967295EEENS1_25partition_config_selectorILNS1_17partition_subalgoE3EjNS0_10empty_typeEbEEZZNS1_14partition_implILS8_3ELb0ES6_jNS0_17counting_iteratorIjlEEPS9_SE_NS0_5tupleIJPjSE_EEENSF_IJSE_SE_EEES9_SG_JZNS1_25segmented_radix_sort_implINS0_14default_configELb1EPKfPfPKlPlN2at6native12_GLOBAL__N_18offset_tEEE10hipError_tPvRmT1_PNSt15iterator_traitsISY_E10value_typeET2_T3_PNSZ_IS14_E10value_typeET4_jRbjT5_S1A_jjP12ihipStream_tbEUljE_EEESV_SW_SX_S14_S18_S1A_T6_T7_T9_mT8_S1C_bDpT10_ENKUlT_T0_E_clISt17integral_constantIbLb1EES1P_EEDaS1K_S1L_EUlS1K_E_NS1_11comp_targetILNS1_3genE8ELNS1_11target_archE1030ELNS1_3gpuE2ELNS1_3repE0EEENS1_30default_config_static_selectorELNS0_4arch9wavefront6targetE0EEEvSY_.has_dyn_sized_stack, 0
	.set _ZN7rocprim17ROCPRIM_400000_NS6detail17trampoline_kernelINS0_13select_configILj256ELj13ELNS0_17block_load_methodE3ELS4_3ELS4_3ELNS0_20block_scan_algorithmE0ELj4294967295EEENS1_25partition_config_selectorILNS1_17partition_subalgoE3EjNS0_10empty_typeEbEEZZNS1_14partition_implILS8_3ELb0ES6_jNS0_17counting_iteratorIjlEEPS9_SE_NS0_5tupleIJPjSE_EEENSF_IJSE_SE_EEES9_SG_JZNS1_25segmented_radix_sort_implINS0_14default_configELb1EPKfPfPKlPlN2at6native12_GLOBAL__N_18offset_tEEE10hipError_tPvRmT1_PNSt15iterator_traitsISY_E10value_typeET2_T3_PNSZ_IS14_E10value_typeET4_jRbjT5_S1A_jjP12ihipStream_tbEUljE_EEESV_SW_SX_S14_S18_S1A_T6_T7_T9_mT8_S1C_bDpT10_ENKUlT_T0_E_clISt17integral_constantIbLb1EES1P_EEDaS1K_S1L_EUlS1K_E_NS1_11comp_targetILNS1_3genE8ELNS1_11target_archE1030ELNS1_3gpuE2ELNS1_3repE0EEENS1_30default_config_static_selectorELNS0_4arch9wavefront6targetE0EEEvSY_.has_recursion, 0
	.set _ZN7rocprim17ROCPRIM_400000_NS6detail17trampoline_kernelINS0_13select_configILj256ELj13ELNS0_17block_load_methodE3ELS4_3ELS4_3ELNS0_20block_scan_algorithmE0ELj4294967295EEENS1_25partition_config_selectorILNS1_17partition_subalgoE3EjNS0_10empty_typeEbEEZZNS1_14partition_implILS8_3ELb0ES6_jNS0_17counting_iteratorIjlEEPS9_SE_NS0_5tupleIJPjSE_EEENSF_IJSE_SE_EEES9_SG_JZNS1_25segmented_radix_sort_implINS0_14default_configELb1EPKfPfPKlPlN2at6native12_GLOBAL__N_18offset_tEEE10hipError_tPvRmT1_PNSt15iterator_traitsISY_E10value_typeET2_T3_PNSZ_IS14_E10value_typeET4_jRbjT5_S1A_jjP12ihipStream_tbEUljE_EEESV_SW_SX_S14_S18_S1A_T6_T7_T9_mT8_S1C_bDpT10_ENKUlT_T0_E_clISt17integral_constantIbLb1EES1P_EEDaS1K_S1L_EUlS1K_E_NS1_11comp_targetILNS1_3genE8ELNS1_11target_archE1030ELNS1_3gpuE2ELNS1_3repE0EEENS1_30default_config_static_selectorELNS0_4arch9wavefront6targetE0EEEvSY_.has_indirect_call, 0
	.section	.AMDGPU.csdata,"",@progbits
; Kernel info:
; codeLenInByte = 0
; TotalNumSgprs: 0
; NumVgprs: 0
; ScratchSize: 0
; MemoryBound: 0
; FloatMode: 240
; IeeeMode: 1
; LDSByteSize: 0 bytes/workgroup (compile time only)
; SGPRBlocks: 0
; VGPRBlocks: 0
; NumSGPRsForWavesPerEU: 1
; NumVGPRsForWavesPerEU: 1
; NamedBarCnt: 0
; Occupancy: 16
; WaveLimiterHint : 0
; COMPUTE_PGM_RSRC2:SCRATCH_EN: 0
; COMPUTE_PGM_RSRC2:USER_SGPR: 2
; COMPUTE_PGM_RSRC2:TRAP_HANDLER: 0
; COMPUTE_PGM_RSRC2:TGID_X_EN: 1
; COMPUTE_PGM_RSRC2:TGID_Y_EN: 0
; COMPUTE_PGM_RSRC2:TGID_Z_EN: 0
; COMPUTE_PGM_RSRC2:TIDIG_COMP_CNT: 0
	.section	.text._ZN7rocprim17ROCPRIM_400000_NS6detail17trampoline_kernelINS0_13select_configILj256ELj13ELNS0_17block_load_methodE3ELS4_3ELS4_3ELNS0_20block_scan_algorithmE0ELj4294967295EEENS1_25partition_config_selectorILNS1_17partition_subalgoE3EjNS0_10empty_typeEbEEZZNS1_14partition_implILS8_3ELb0ES6_jNS0_17counting_iteratorIjlEEPS9_SE_NS0_5tupleIJPjSE_EEENSF_IJSE_SE_EEES9_SG_JZNS1_25segmented_radix_sort_implINS0_14default_configELb1EPKfPfPKlPlN2at6native12_GLOBAL__N_18offset_tEEE10hipError_tPvRmT1_PNSt15iterator_traitsISY_E10value_typeET2_T3_PNSZ_IS14_E10value_typeET4_jRbjT5_S1A_jjP12ihipStream_tbEUljE_EEESV_SW_SX_S14_S18_S1A_T6_T7_T9_mT8_S1C_bDpT10_ENKUlT_T0_E_clISt17integral_constantIbLb1EES1O_IbLb0EEEEDaS1K_S1L_EUlS1K_E_NS1_11comp_targetILNS1_3genE0ELNS1_11target_archE4294967295ELNS1_3gpuE0ELNS1_3repE0EEENS1_30default_config_static_selectorELNS0_4arch9wavefront6targetE0EEEvSY_,"axG",@progbits,_ZN7rocprim17ROCPRIM_400000_NS6detail17trampoline_kernelINS0_13select_configILj256ELj13ELNS0_17block_load_methodE3ELS4_3ELS4_3ELNS0_20block_scan_algorithmE0ELj4294967295EEENS1_25partition_config_selectorILNS1_17partition_subalgoE3EjNS0_10empty_typeEbEEZZNS1_14partition_implILS8_3ELb0ES6_jNS0_17counting_iteratorIjlEEPS9_SE_NS0_5tupleIJPjSE_EEENSF_IJSE_SE_EEES9_SG_JZNS1_25segmented_radix_sort_implINS0_14default_configELb1EPKfPfPKlPlN2at6native12_GLOBAL__N_18offset_tEEE10hipError_tPvRmT1_PNSt15iterator_traitsISY_E10value_typeET2_T3_PNSZ_IS14_E10value_typeET4_jRbjT5_S1A_jjP12ihipStream_tbEUljE_EEESV_SW_SX_S14_S18_S1A_T6_T7_T9_mT8_S1C_bDpT10_ENKUlT_T0_E_clISt17integral_constantIbLb1EES1O_IbLb0EEEEDaS1K_S1L_EUlS1K_E_NS1_11comp_targetILNS1_3genE0ELNS1_11target_archE4294967295ELNS1_3gpuE0ELNS1_3repE0EEENS1_30default_config_static_selectorELNS0_4arch9wavefront6targetE0EEEvSY_,comdat
	.globl	_ZN7rocprim17ROCPRIM_400000_NS6detail17trampoline_kernelINS0_13select_configILj256ELj13ELNS0_17block_load_methodE3ELS4_3ELS4_3ELNS0_20block_scan_algorithmE0ELj4294967295EEENS1_25partition_config_selectorILNS1_17partition_subalgoE3EjNS0_10empty_typeEbEEZZNS1_14partition_implILS8_3ELb0ES6_jNS0_17counting_iteratorIjlEEPS9_SE_NS0_5tupleIJPjSE_EEENSF_IJSE_SE_EEES9_SG_JZNS1_25segmented_radix_sort_implINS0_14default_configELb1EPKfPfPKlPlN2at6native12_GLOBAL__N_18offset_tEEE10hipError_tPvRmT1_PNSt15iterator_traitsISY_E10value_typeET2_T3_PNSZ_IS14_E10value_typeET4_jRbjT5_S1A_jjP12ihipStream_tbEUljE_EEESV_SW_SX_S14_S18_S1A_T6_T7_T9_mT8_S1C_bDpT10_ENKUlT_T0_E_clISt17integral_constantIbLb1EES1O_IbLb0EEEEDaS1K_S1L_EUlS1K_E_NS1_11comp_targetILNS1_3genE0ELNS1_11target_archE4294967295ELNS1_3gpuE0ELNS1_3repE0EEENS1_30default_config_static_selectorELNS0_4arch9wavefront6targetE0EEEvSY_ ; -- Begin function _ZN7rocprim17ROCPRIM_400000_NS6detail17trampoline_kernelINS0_13select_configILj256ELj13ELNS0_17block_load_methodE3ELS4_3ELS4_3ELNS0_20block_scan_algorithmE0ELj4294967295EEENS1_25partition_config_selectorILNS1_17partition_subalgoE3EjNS0_10empty_typeEbEEZZNS1_14partition_implILS8_3ELb0ES6_jNS0_17counting_iteratorIjlEEPS9_SE_NS0_5tupleIJPjSE_EEENSF_IJSE_SE_EEES9_SG_JZNS1_25segmented_radix_sort_implINS0_14default_configELb1EPKfPfPKlPlN2at6native12_GLOBAL__N_18offset_tEEE10hipError_tPvRmT1_PNSt15iterator_traitsISY_E10value_typeET2_T3_PNSZ_IS14_E10value_typeET4_jRbjT5_S1A_jjP12ihipStream_tbEUljE_EEESV_SW_SX_S14_S18_S1A_T6_T7_T9_mT8_S1C_bDpT10_ENKUlT_T0_E_clISt17integral_constantIbLb1EES1O_IbLb0EEEEDaS1K_S1L_EUlS1K_E_NS1_11comp_targetILNS1_3genE0ELNS1_11target_archE4294967295ELNS1_3gpuE0ELNS1_3repE0EEENS1_30default_config_static_selectorELNS0_4arch9wavefront6targetE0EEEvSY_
	.p2align	8
	.type	_ZN7rocprim17ROCPRIM_400000_NS6detail17trampoline_kernelINS0_13select_configILj256ELj13ELNS0_17block_load_methodE3ELS4_3ELS4_3ELNS0_20block_scan_algorithmE0ELj4294967295EEENS1_25partition_config_selectorILNS1_17partition_subalgoE3EjNS0_10empty_typeEbEEZZNS1_14partition_implILS8_3ELb0ES6_jNS0_17counting_iteratorIjlEEPS9_SE_NS0_5tupleIJPjSE_EEENSF_IJSE_SE_EEES9_SG_JZNS1_25segmented_radix_sort_implINS0_14default_configELb1EPKfPfPKlPlN2at6native12_GLOBAL__N_18offset_tEEE10hipError_tPvRmT1_PNSt15iterator_traitsISY_E10value_typeET2_T3_PNSZ_IS14_E10value_typeET4_jRbjT5_S1A_jjP12ihipStream_tbEUljE_EEESV_SW_SX_S14_S18_S1A_T6_T7_T9_mT8_S1C_bDpT10_ENKUlT_T0_E_clISt17integral_constantIbLb1EES1O_IbLb0EEEEDaS1K_S1L_EUlS1K_E_NS1_11comp_targetILNS1_3genE0ELNS1_11target_archE4294967295ELNS1_3gpuE0ELNS1_3repE0EEENS1_30default_config_static_selectorELNS0_4arch9wavefront6targetE0EEEvSY_,@function
_ZN7rocprim17ROCPRIM_400000_NS6detail17trampoline_kernelINS0_13select_configILj256ELj13ELNS0_17block_load_methodE3ELS4_3ELS4_3ELNS0_20block_scan_algorithmE0ELj4294967295EEENS1_25partition_config_selectorILNS1_17partition_subalgoE3EjNS0_10empty_typeEbEEZZNS1_14partition_implILS8_3ELb0ES6_jNS0_17counting_iteratorIjlEEPS9_SE_NS0_5tupleIJPjSE_EEENSF_IJSE_SE_EEES9_SG_JZNS1_25segmented_radix_sort_implINS0_14default_configELb1EPKfPfPKlPlN2at6native12_GLOBAL__N_18offset_tEEE10hipError_tPvRmT1_PNSt15iterator_traitsISY_E10value_typeET2_T3_PNSZ_IS14_E10value_typeET4_jRbjT5_S1A_jjP12ihipStream_tbEUljE_EEESV_SW_SX_S14_S18_S1A_T6_T7_T9_mT8_S1C_bDpT10_ENKUlT_T0_E_clISt17integral_constantIbLb1EES1O_IbLb0EEEEDaS1K_S1L_EUlS1K_E_NS1_11comp_targetILNS1_3genE0ELNS1_11target_archE4294967295ELNS1_3gpuE0ELNS1_3repE0EEENS1_30default_config_static_selectorELNS0_4arch9wavefront6targetE0EEEvSY_: ; @_ZN7rocprim17ROCPRIM_400000_NS6detail17trampoline_kernelINS0_13select_configILj256ELj13ELNS0_17block_load_methodE3ELS4_3ELS4_3ELNS0_20block_scan_algorithmE0ELj4294967295EEENS1_25partition_config_selectorILNS1_17partition_subalgoE3EjNS0_10empty_typeEbEEZZNS1_14partition_implILS8_3ELb0ES6_jNS0_17counting_iteratorIjlEEPS9_SE_NS0_5tupleIJPjSE_EEENSF_IJSE_SE_EEES9_SG_JZNS1_25segmented_radix_sort_implINS0_14default_configELb1EPKfPfPKlPlN2at6native12_GLOBAL__N_18offset_tEEE10hipError_tPvRmT1_PNSt15iterator_traitsISY_E10value_typeET2_T3_PNSZ_IS14_E10value_typeET4_jRbjT5_S1A_jjP12ihipStream_tbEUljE_EEESV_SW_SX_S14_S18_S1A_T6_T7_T9_mT8_S1C_bDpT10_ENKUlT_T0_E_clISt17integral_constantIbLb1EES1O_IbLb0EEEEDaS1K_S1L_EUlS1K_E_NS1_11comp_targetILNS1_3genE0ELNS1_11target_archE4294967295ELNS1_3gpuE0ELNS1_3repE0EEENS1_30default_config_static_selectorELNS0_4arch9wavefront6targetE0EEEvSY_
; %bb.0:
	s_endpgm
	.section	.rodata,"a",@progbits
	.p2align	6, 0x0
	.amdhsa_kernel _ZN7rocprim17ROCPRIM_400000_NS6detail17trampoline_kernelINS0_13select_configILj256ELj13ELNS0_17block_load_methodE3ELS4_3ELS4_3ELNS0_20block_scan_algorithmE0ELj4294967295EEENS1_25partition_config_selectorILNS1_17partition_subalgoE3EjNS0_10empty_typeEbEEZZNS1_14partition_implILS8_3ELb0ES6_jNS0_17counting_iteratorIjlEEPS9_SE_NS0_5tupleIJPjSE_EEENSF_IJSE_SE_EEES9_SG_JZNS1_25segmented_radix_sort_implINS0_14default_configELb1EPKfPfPKlPlN2at6native12_GLOBAL__N_18offset_tEEE10hipError_tPvRmT1_PNSt15iterator_traitsISY_E10value_typeET2_T3_PNSZ_IS14_E10value_typeET4_jRbjT5_S1A_jjP12ihipStream_tbEUljE_EEESV_SW_SX_S14_S18_S1A_T6_T7_T9_mT8_S1C_bDpT10_ENKUlT_T0_E_clISt17integral_constantIbLb1EES1O_IbLb0EEEEDaS1K_S1L_EUlS1K_E_NS1_11comp_targetILNS1_3genE0ELNS1_11target_archE4294967295ELNS1_3gpuE0ELNS1_3repE0EEENS1_30default_config_static_selectorELNS0_4arch9wavefront6targetE0EEEvSY_
		.amdhsa_group_segment_fixed_size 0
		.amdhsa_private_segment_fixed_size 0
		.amdhsa_kernarg_size 144
		.amdhsa_user_sgpr_count 2
		.amdhsa_user_sgpr_dispatch_ptr 0
		.amdhsa_user_sgpr_queue_ptr 0
		.amdhsa_user_sgpr_kernarg_segment_ptr 1
		.amdhsa_user_sgpr_dispatch_id 0
		.amdhsa_user_sgpr_kernarg_preload_length 0
		.amdhsa_user_sgpr_kernarg_preload_offset 0
		.amdhsa_user_sgpr_private_segment_size 0
		.amdhsa_wavefront_size32 1
		.amdhsa_uses_dynamic_stack 0
		.amdhsa_enable_private_segment 0
		.amdhsa_system_sgpr_workgroup_id_x 1
		.amdhsa_system_sgpr_workgroup_id_y 0
		.amdhsa_system_sgpr_workgroup_id_z 0
		.amdhsa_system_sgpr_workgroup_info 0
		.amdhsa_system_vgpr_workitem_id 0
		.amdhsa_next_free_vgpr 1
		.amdhsa_next_free_sgpr 1
		.amdhsa_named_barrier_count 0
		.amdhsa_reserve_vcc 0
		.amdhsa_float_round_mode_32 0
		.amdhsa_float_round_mode_16_64 0
		.amdhsa_float_denorm_mode_32 3
		.amdhsa_float_denorm_mode_16_64 3
		.amdhsa_fp16_overflow 0
		.amdhsa_memory_ordered 1
		.amdhsa_forward_progress 1
		.amdhsa_inst_pref_size 1
		.amdhsa_round_robin_scheduling 0
		.amdhsa_exception_fp_ieee_invalid_op 0
		.amdhsa_exception_fp_denorm_src 0
		.amdhsa_exception_fp_ieee_div_zero 0
		.amdhsa_exception_fp_ieee_overflow 0
		.amdhsa_exception_fp_ieee_underflow 0
		.amdhsa_exception_fp_ieee_inexact 0
		.amdhsa_exception_int_div_zero 0
	.end_amdhsa_kernel
	.section	.text._ZN7rocprim17ROCPRIM_400000_NS6detail17trampoline_kernelINS0_13select_configILj256ELj13ELNS0_17block_load_methodE3ELS4_3ELS4_3ELNS0_20block_scan_algorithmE0ELj4294967295EEENS1_25partition_config_selectorILNS1_17partition_subalgoE3EjNS0_10empty_typeEbEEZZNS1_14partition_implILS8_3ELb0ES6_jNS0_17counting_iteratorIjlEEPS9_SE_NS0_5tupleIJPjSE_EEENSF_IJSE_SE_EEES9_SG_JZNS1_25segmented_radix_sort_implINS0_14default_configELb1EPKfPfPKlPlN2at6native12_GLOBAL__N_18offset_tEEE10hipError_tPvRmT1_PNSt15iterator_traitsISY_E10value_typeET2_T3_PNSZ_IS14_E10value_typeET4_jRbjT5_S1A_jjP12ihipStream_tbEUljE_EEESV_SW_SX_S14_S18_S1A_T6_T7_T9_mT8_S1C_bDpT10_ENKUlT_T0_E_clISt17integral_constantIbLb1EES1O_IbLb0EEEEDaS1K_S1L_EUlS1K_E_NS1_11comp_targetILNS1_3genE0ELNS1_11target_archE4294967295ELNS1_3gpuE0ELNS1_3repE0EEENS1_30default_config_static_selectorELNS0_4arch9wavefront6targetE0EEEvSY_,"axG",@progbits,_ZN7rocprim17ROCPRIM_400000_NS6detail17trampoline_kernelINS0_13select_configILj256ELj13ELNS0_17block_load_methodE3ELS4_3ELS4_3ELNS0_20block_scan_algorithmE0ELj4294967295EEENS1_25partition_config_selectorILNS1_17partition_subalgoE3EjNS0_10empty_typeEbEEZZNS1_14partition_implILS8_3ELb0ES6_jNS0_17counting_iteratorIjlEEPS9_SE_NS0_5tupleIJPjSE_EEENSF_IJSE_SE_EEES9_SG_JZNS1_25segmented_radix_sort_implINS0_14default_configELb1EPKfPfPKlPlN2at6native12_GLOBAL__N_18offset_tEEE10hipError_tPvRmT1_PNSt15iterator_traitsISY_E10value_typeET2_T3_PNSZ_IS14_E10value_typeET4_jRbjT5_S1A_jjP12ihipStream_tbEUljE_EEESV_SW_SX_S14_S18_S1A_T6_T7_T9_mT8_S1C_bDpT10_ENKUlT_T0_E_clISt17integral_constantIbLb1EES1O_IbLb0EEEEDaS1K_S1L_EUlS1K_E_NS1_11comp_targetILNS1_3genE0ELNS1_11target_archE4294967295ELNS1_3gpuE0ELNS1_3repE0EEENS1_30default_config_static_selectorELNS0_4arch9wavefront6targetE0EEEvSY_,comdat
.Lfunc_end1303:
	.size	_ZN7rocprim17ROCPRIM_400000_NS6detail17trampoline_kernelINS0_13select_configILj256ELj13ELNS0_17block_load_methodE3ELS4_3ELS4_3ELNS0_20block_scan_algorithmE0ELj4294967295EEENS1_25partition_config_selectorILNS1_17partition_subalgoE3EjNS0_10empty_typeEbEEZZNS1_14partition_implILS8_3ELb0ES6_jNS0_17counting_iteratorIjlEEPS9_SE_NS0_5tupleIJPjSE_EEENSF_IJSE_SE_EEES9_SG_JZNS1_25segmented_radix_sort_implINS0_14default_configELb1EPKfPfPKlPlN2at6native12_GLOBAL__N_18offset_tEEE10hipError_tPvRmT1_PNSt15iterator_traitsISY_E10value_typeET2_T3_PNSZ_IS14_E10value_typeET4_jRbjT5_S1A_jjP12ihipStream_tbEUljE_EEESV_SW_SX_S14_S18_S1A_T6_T7_T9_mT8_S1C_bDpT10_ENKUlT_T0_E_clISt17integral_constantIbLb1EES1O_IbLb0EEEEDaS1K_S1L_EUlS1K_E_NS1_11comp_targetILNS1_3genE0ELNS1_11target_archE4294967295ELNS1_3gpuE0ELNS1_3repE0EEENS1_30default_config_static_selectorELNS0_4arch9wavefront6targetE0EEEvSY_, .Lfunc_end1303-_ZN7rocprim17ROCPRIM_400000_NS6detail17trampoline_kernelINS0_13select_configILj256ELj13ELNS0_17block_load_methodE3ELS4_3ELS4_3ELNS0_20block_scan_algorithmE0ELj4294967295EEENS1_25partition_config_selectorILNS1_17partition_subalgoE3EjNS0_10empty_typeEbEEZZNS1_14partition_implILS8_3ELb0ES6_jNS0_17counting_iteratorIjlEEPS9_SE_NS0_5tupleIJPjSE_EEENSF_IJSE_SE_EEES9_SG_JZNS1_25segmented_radix_sort_implINS0_14default_configELb1EPKfPfPKlPlN2at6native12_GLOBAL__N_18offset_tEEE10hipError_tPvRmT1_PNSt15iterator_traitsISY_E10value_typeET2_T3_PNSZ_IS14_E10value_typeET4_jRbjT5_S1A_jjP12ihipStream_tbEUljE_EEESV_SW_SX_S14_S18_S1A_T6_T7_T9_mT8_S1C_bDpT10_ENKUlT_T0_E_clISt17integral_constantIbLb1EES1O_IbLb0EEEEDaS1K_S1L_EUlS1K_E_NS1_11comp_targetILNS1_3genE0ELNS1_11target_archE4294967295ELNS1_3gpuE0ELNS1_3repE0EEENS1_30default_config_static_selectorELNS0_4arch9wavefront6targetE0EEEvSY_
                                        ; -- End function
	.set _ZN7rocprim17ROCPRIM_400000_NS6detail17trampoline_kernelINS0_13select_configILj256ELj13ELNS0_17block_load_methodE3ELS4_3ELS4_3ELNS0_20block_scan_algorithmE0ELj4294967295EEENS1_25partition_config_selectorILNS1_17partition_subalgoE3EjNS0_10empty_typeEbEEZZNS1_14partition_implILS8_3ELb0ES6_jNS0_17counting_iteratorIjlEEPS9_SE_NS0_5tupleIJPjSE_EEENSF_IJSE_SE_EEES9_SG_JZNS1_25segmented_radix_sort_implINS0_14default_configELb1EPKfPfPKlPlN2at6native12_GLOBAL__N_18offset_tEEE10hipError_tPvRmT1_PNSt15iterator_traitsISY_E10value_typeET2_T3_PNSZ_IS14_E10value_typeET4_jRbjT5_S1A_jjP12ihipStream_tbEUljE_EEESV_SW_SX_S14_S18_S1A_T6_T7_T9_mT8_S1C_bDpT10_ENKUlT_T0_E_clISt17integral_constantIbLb1EES1O_IbLb0EEEEDaS1K_S1L_EUlS1K_E_NS1_11comp_targetILNS1_3genE0ELNS1_11target_archE4294967295ELNS1_3gpuE0ELNS1_3repE0EEENS1_30default_config_static_selectorELNS0_4arch9wavefront6targetE0EEEvSY_.num_vgpr, 0
	.set _ZN7rocprim17ROCPRIM_400000_NS6detail17trampoline_kernelINS0_13select_configILj256ELj13ELNS0_17block_load_methodE3ELS4_3ELS4_3ELNS0_20block_scan_algorithmE0ELj4294967295EEENS1_25partition_config_selectorILNS1_17partition_subalgoE3EjNS0_10empty_typeEbEEZZNS1_14partition_implILS8_3ELb0ES6_jNS0_17counting_iteratorIjlEEPS9_SE_NS0_5tupleIJPjSE_EEENSF_IJSE_SE_EEES9_SG_JZNS1_25segmented_radix_sort_implINS0_14default_configELb1EPKfPfPKlPlN2at6native12_GLOBAL__N_18offset_tEEE10hipError_tPvRmT1_PNSt15iterator_traitsISY_E10value_typeET2_T3_PNSZ_IS14_E10value_typeET4_jRbjT5_S1A_jjP12ihipStream_tbEUljE_EEESV_SW_SX_S14_S18_S1A_T6_T7_T9_mT8_S1C_bDpT10_ENKUlT_T0_E_clISt17integral_constantIbLb1EES1O_IbLb0EEEEDaS1K_S1L_EUlS1K_E_NS1_11comp_targetILNS1_3genE0ELNS1_11target_archE4294967295ELNS1_3gpuE0ELNS1_3repE0EEENS1_30default_config_static_selectorELNS0_4arch9wavefront6targetE0EEEvSY_.num_agpr, 0
	.set _ZN7rocprim17ROCPRIM_400000_NS6detail17trampoline_kernelINS0_13select_configILj256ELj13ELNS0_17block_load_methodE3ELS4_3ELS4_3ELNS0_20block_scan_algorithmE0ELj4294967295EEENS1_25partition_config_selectorILNS1_17partition_subalgoE3EjNS0_10empty_typeEbEEZZNS1_14partition_implILS8_3ELb0ES6_jNS0_17counting_iteratorIjlEEPS9_SE_NS0_5tupleIJPjSE_EEENSF_IJSE_SE_EEES9_SG_JZNS1_25segmented_radix_sort_implINS0_14default_configELb1EPKfPfPKlPlN2at6native12_GLOBAL__N_18offset_tEEE10hipError_tPvRmT1_PNSt15iterator_traitsISY_E10value_typeET2_T3_PNSZ_IS14_E10value_typeET4_jRbjT5_S1A_jjP12ihipStream_tbEUljE_EEESV_SW_SX_S14_S18_S1A_T6_T7_T9_mT8_S1C_bDpT10_ENKUlT_T0_E_clISt17integral_constantIbLb1EES1O_IbLb0EEEEDaS1K_S1L_EUlS1K_E_NS1_11comp_targetILNS1_3genE0ELNS1_11target_archE4294967295ELNS1_3gpuE0ELNS1_3repE0EEENS1_30default_config_static_selectorELNS0_4arch9wavefront6targetE0EEEvSY_.numbered_sgpr, 0
	.set _ZN7rocprim17ROCPRIM_400000_NS6detail17trampoline_kernelINS0_13select_configILj256ELj13ELNS0_17block_load_methodE3ELS4_3ELS4_3ELNS0_20block_scan_algorithmE0ELj4294967295EEENS1_25partition_config_selectorILNS1_17partition_subalgoE3EjNS0_10empty_typeEbEEZZNS1_14partition_implILS8_3ELb0ES6_jNS0_17counting_iteratorIjlEEPS9_SE_NS0_5tupleIJPjSE_EEENSF_IJSE_SE_EEES9_SG_JZNS1_25segmented_radix_sort_implINS0_14default_configELb1EPKfPfPKlPlN2at6native12_GLOBAL__N_18offset_tEEE10hipError_tPvRmT1_PNSt15iterator_traitsISY_E10value_typeET2_T3_PNSZ_IS14_E10value_typeET4_jRbjT5_S1A_jjP12ihipStream_tbEUljE_EEESV_SW_SX_S14_S18_S1A_T6_T7_T9_mT8_S1C_bDpT10_ENKUlT_T0_E_clISt17integral_constantIbLb1EES1O_IbLb0EEEEDaS1K_S1L_EUlS1K_E_NS1_11comp_targetILNS1_3genE0ELNS1_11target_archE4294967295ELNS1_3gpuE0ELNS1_3repE0EEENS1_30default_config_static_selectorELNS0_4arch9wavefront6targetE0EEEvSY_.num_named_barrier, 0
	.set _ZN7rocprim17ROCPRIM_400000_NS6detail17trampoline_kernelINS0_13select_configILj256ELj13ELNS0_17block_load_methodE3ELS4_3ELS4_3ELNS0_20block_scan_algorithmE0ELj4294967295EEENS1_25partition_config_selectorILNS1_17partition_subalgoE3EjNS0_10empty_typeEbEEZZNS1_14partition_implILS8_3ELb0ES6_jNS0_17counting_iteratorIjlEEPS9_SE_NS0_5tupleIJPjSE_EEENSF_IJSE_SE_EEES9_SG_JZNS1_25segmented_radix_sort_implINS0_14default_configELb1EPKfPfPKlPlN2at6native12_GLOBAL__N_18offset_tEEE10hipError_tPvRmT1_PNSt15iterator_traitsISY_E10value_typeET2_T3_PNSZ_IS14_E10value_typeET4_jRbjT5_S1A_jjP12ihipStream_tbEUljE_EEESV_SW_SX_S14_S18_S1A_T6_T7_T9_mT8_S1C_bDpT10_ENKUlT_T0_E_clISt17integral_constantIbLb1EES1O_IbLb0EEEEDaS1K_S1L_EUlS1K_E_NS1_11comp_targetILNS1_3genE0ELNS1_11target_archE4294967295ELNS1_3gpuE0ELNS1_3repE0EEENS1_30default_config_static_selectorELNS0_4arch9wavefront6targetE0EEEvSY_.private_seg_size, 0
	.set _ZN7rocprim17ROCPRIM_400000_NS6detail17trampoline_kernelINS0_13select_configILj256ELj13ELNS0_17block_load_methodE3ELS4_3ELS4_3ELNS0_20block_scan_algorithmE0ELj4294967295EEENS1_25partition_config_selectorILNS1_17partition_subalgoE3EjNS0_10empty_typeEbEEZZNS1_14partition_implILS8_3ELb0ES6_jNS0_17counting_iteratorIjlEEPS9_SE_NS0_5tupleIJPjSE_EEENSF_IJSE_SE_EEES9_SG_JZNS1_25segmented_radix_sort_implINS0_14default_configELb1EPKfPfPKlPlN2at6native12_GLOBAL__N_18offset_tEEE10hipError_tPvRmT1_PNSt15iterator_traitsISY_E10value_typeET2_T3_PNSZ_IS14_E10value_typeET4_jRbjT5_S1A_jjP12ihipStream_tbEUljE_EEESV_SW_SX_S14_S18_S1A_T6_T7_T9_mT8_S1C_bDpT10_ENKUlT_T0_E_clISt17integral_constantIbLb1EES1O_IbLb0EEEEDaS1K_S1L_EUlS1K_E_NS1_11comp_targetILNS1_3genE0ELNS1_11target_archE4294967295ELNS1_3gpuE0ELNS1_3repE0EEENS1_30default_config_static_selectorELNS0_4arch9wavefront6targetE0EEEvSY_.uses_vcc, 0
	.set _ZN7rocprim17ROCPRIM_400000_NS6detail17trampoline_kernelINS0_13select_configILj256ELj13ELNS0_17block_load_methodE3ELS4_3ELS4_3ELNS0_20block_scan_algorithmE0ELj4294967295EEENS1_25partition_config_selectorILNS1_17partition_subalgoE3EjNS0_10empty_typeEbEEZZNS1_14partition_implILS8_3ELb0ES6_jNS0_17counting_iteratorIjlEEPS9_SE_NS0_5tupleIJPjSE_EEENSF_IJSE_SE_EEES9_SG_JZNS1_25segmented_radix_sort_implINS0_14default_configELb1EPKfPfPKlPlN2at6native12_GLOBAL__N_18offset_tEEE10hipError_tPvRmT1_PNSt15iterator_traitsISY_E10value_typeET2_T3_PNSZ_IS14_E10value_typeET4_jRbjT5_S1A_jjP12ihipStream_tbEUljE_EEESV_SW_SX_S14_S18_S1A_T6_T7_T9_mT8_S1C_bDpT10_ENKUlT_T0_E_clISt17integral_constantIbLb1EES1O_IbLb0EEEEDaS1K_S1L_EUlS1K_E_NS1_11comp_targetILNS1_3genE0ELNS1_11target_archE4294967295ELNS1_3gpuE0ELNS1_3repE0EEENS1_30default_config_static_selectorELNS0_4arch9wavefront6targetE0EEEvSY_.uses_flat_scratch, 0
	.set _ZN7rocprim17ROCPRIM_400000_NS6detail17trampoline_kernelINS0_13select_configILj256ELj13ELNS0_17block_load_methodE3ELS4_3ELS4_3ELNS0_20block_scan_algorithmE0ELj4294967295EEENS1_25partition_config_selectorILNS1_17partition_subalgoE3EjNS0_10empty_typeEbEEZZNS1_14partition_implILS8_3ELb0ES6_jNS0_17counting_iteratorIjlEEPS9_SE_NS0_5tupleIJPjSE_EEENSF_IJSE_SE_EEES9_SG_JZNS1_25segmented_radix_sort_implINS0_14default_configELb1EPKfPfPKlPlN2at6native12_GLOBAL__N_18offset_tEEE10hipError_tPvRmT1_PNSt15iterator_traitsISY_E10value_typeET2_T3_PNSZ_IS14_E10value_typeET4_jRbjT5_S1A_jjP12ihipStream_tbEUljE_EEESV_SW_SX_S14_S18_S1A_T6_T7_T9_mT8_S1C_bDpT10_ENKUlT_T0_E_clISt17integral_constantIbLb1EES1O_IbLb0EEEEDaS1K_S1L_EUlS1K_E_NS1_11comp_targetILNS1_3genE0ELNS1_11target_archE4294967295ELNS1_3gpuE0ELNS1_3repE0EEENS1_30default_config_static_selectorELNS0_4arch9wavefront6targetE0EEEvSY_.has_dyn_sized_stack, 0
	.set _ZN7rocprim17ROCPRIM_400000_NS6detail17trampoline_kernelINS0_13select_configILj256ELj13ELNS0_17block_load_methodE3ELS4_3ELS4_3ELNS0_20block_scan_algorithmE0ELj4294967295EEENS1_25partition_config_selectorILNS1_17partition_subalgoE3EjNS0_10empty_typeEbEEZZNS1_14partition_implILS8_3ELb0ES6_jNS0_17counting_iteratorIjlEEPS9_SE_NS0_5tupleIJPjSE_EEENSF_IJSE_SE_EEES9_SG_JZNS1_25segmented_radix_sort_implINS0_14default_configELb1EPKfPfPKlPlN2at6native12_GLOBAL__N_18offset_tEEE10hipError_tPvRmT1_PNSt15iterator_traitsISY_E10value_typeET2_T3_PNSZ_IS14_E10value_typeET4_jRbjT5_S1A_jjP12ihipStream_tbEUljE_EEESV_SW_SX_S14_S18_S1A_T6_T7_T9_mT8_S1C_bDpT10_ENKUlT_T0_E_clISt17integral_constantIbLb1EES1O_IbLb0EEEEDaS1K_S1L_EUlS1K_E_NS1_11comp_targetILNS1_3genE0ELNS1_11target_archE4294967295ELNS1_3gpuE0ELNS1_3repE0EEENS1_30default_config_static_selectorELNS0_4arch9wavefront6targetE0EEEvSY_.has_recursion, 0
	.set _ZN7rocprim17ROCPRIM_400000_NS6detail17trampoline_kernelINS0_13select_configILj256ELj13ELNS0_17block_load_methodE3ELS4_3ELS4_3ELNS0_20block_scan_algorithmE0ELj4294967295EEENS1_25partition_config_selectorILNS1_17partition_subalgoE3EjNS0_10empty_typeEbEEZZNS1_14partition_implILS8_3ELb0ES6_jNS0_17counting_iteratorIjlEEPS9_SE_NS0_5tupleIJPjSE_EEENSF_IJSE_SE_EEES9_SG_JZNS1_25segmented_radix_sort_implINS0_14default_configELb1EPKfPfPKlPlN2at6native12_GLOBAL__N_18offset_tEEE10hipError_tPvRmT1_PNSt15iterator_traitsISY_E10value_typeET2_T3_PNSZ_IS14_E10value_typeET4_jRbjT5_S1A_jjP12ihipStream_tbEUljE_EEESV_SW_SX_S14_S18_S1A_T6_T7_T9_mT8_S1C_bDpT10_ENKUlT_T0_E_clISt17integral_constantIbLb1EES1O_IbLb0EEEEDaS1K_S1L_EUlS1K_E_NS1_11comp_targetILNS1_3genE0ELNS1_11target_archE4294967295ELNS1_3gpuE0ELNS1_3repE0EEENS1_30default_config_static_selectorELNS0_4arch9wavefront6targetE0EEEvSY_.has_indirect_call, 0
	.section	.AMDGPU.csdata,"",@progbits
; Kernel info:
; codeLenInByte = 4
; TotalNumSgprs: 0
; NumVgprs: 0
; ScratchSize: 0
; MemoryBound: 0
; FloatMode: 240
; IeeeMode: 1
; LDSByteSize: 0 bytes/workgroup (compile time only)
; SGPRBlocks: 0
; VGPRBlocks: 0
; NumSGPRsForWavesPerEU: 1
; NumVGPRsForWavesPerEU: 1
; NamedBarCnt: 0
; Occupancy: 16
; WaveLimiterHint : 0
; COMPUTE_PGM_RSRC2:SCRATCH_EN: 0
; COMPUTE_PGM_RSRC2:USER_SGPR: 2
; COMPUTE_PGM_RSRC2:TRAP_HANDLER: 0
; COMPUTE_PGM_RSRC2:TGID_X_EN: 1
; COMPUTE_PGM_RSRC2:TGID_Y_EN: 0
; COMPUTE_PGM_RSRC2:TGID_Z_EN: 0
; COMPUTE_PGM_RSRC2:TIDIG_COMP_CNT: 0
	.section	.text._ZN7rocprim17ROCPRIM_400000_NS6detail17trampoline_kernelINS0_13select_configILj256ELj13ELNS0_17block_load_methodE3ELS4_3ELS4_3ELNS0_20block_scan_algorithmE0ELj4294967295EEENS1_25partition_config_selectorILNS1_17partition_subalgoE3EjNS0_10empty_typeEbEEZZNS1_14partition_implILS8_3ELb0ES6_jNS0_17counting_iteratorIjlEEPS9_SE_NS0_5tupleIJPjSE_EEENSF_IJSE_SE_EEES9_SG_JZNS1_25segmented_radix_sort_implINS0_14default_configELb1EPKfPfPKlPlN2at6native12_GLOBAL__N_18offset_tEEE10hipError_tPvRmT1_PNSt15iterator_traitsISY_E10value_typeET2_T3_PNSZ_IS14_E10value_typeET4_jRbjT5_S1A_jjP12ihipStream_tbEUljE_EEESV_SW_SX_S14_S18_S1A_T6_T7_T9_mT8_S1C_bDpT10_ENKUlT_T0_E_clISt17integral_constantIbLb1EES1O_IbLb0EEEEDaS1K_S1L_EUlS1K_E_NS1_11comp_targetILNS1_3genE5ELNS1_11target_archE942ELNS1_3gpuE9ELNS1_3repE0EEENS1_30default_config_static_selectorELNS0_4arch9wavefront6targetE0EEEvSY_,"axG",@progbits,_ZN7rocprim17ROCPRIM_400000_NS6detail17trampoline_kernelINS0_13select_configILj256ELj13ELNS0_17block_load_methodE3ELS4_3ELS4_3ELNS0_20block_scan_algorithmE0ELj4294967295EEENS1_25partition_config_selectorILNS1_17partition_subalgoE3EjNS0_10empty_typeEbEEZZNS1_14partition_implILS8_3ELb0ES6_jNS0_17counting_iteratorIjlEEPS9_SE_NS0_5tupleIJPjSE_EEENSF_IJSE_SE_EEES9_SG_JZNS1_25segmented_radix_sort_implINS0_14default_configELb1EPKfPfPKlPlN2at6native12_GLOBAL__N_18offset_tEEE10hipError_tPvRmT1_PNSt15iterator_traitsISY_E10value_typeET2_T3_PNSZ_IS14_E10value_typeET4_jRbjT5_S1A_jjP12ihipStream_tbEUljE_EEESV_SW_SX_S14_S18_S1A_T6_T7_T9_mT8_S1C_bDpT10_ENKUlT_T0_E_clISt17integral_constantIbLb1EES1O_IbLb0EEEEDaS1K_S1L_EUlS1K_E_NS1_11comp_targetILNS1_3genE5ELNS1_11target_archE942ELNS1_3gpuE9ELNS1_3repE0EEENS1_30default_config_static_selectorELNS0_4arch9wavefront6targetE0EEEvSY_,comdat
	.globl	_ZN7rocprim17ROCPRIM_400000_NS6detail17trampoline_kernelINS0_13select_configILj256ELj13ELNS0_17block_load_methodE3ELS4_3ELS4_3ELNS0_20block_scan_algorithmE0ELj4294967295EEENS1_25partition_config_selectorILNS1_17partition_subalgoE3EjNS0_10empty_typeEbEEZZNS1_14partition_implILS8_3ELb0ES6_jNS0_17counting_iteratorIjlEEPS9_SE_NS0_5tupleIJPjSE_EEENSF_IJSE_SE_EEES9_SG_JZNS1_25segmented_radix_sort_implINS0_14default_configELb1EPKfPfPKlPlN2at6native12_GLOBAL__N_18offset_tEEE10hipError_tPvRmT1_PNSt15iterator_traitsISY_E10value_typeET2_T3_PNSZ_IS14_E10value_typeET4_jRbjT5_S1A_jjP12ihipStream_tbEUljE_EEESV_SW_SX_S14_S18_S1A_T6_T7_T9_mT8_S1C_bDpT10_ENKUlT_T0_E_clISt17integral_constantIbLb1EES1O_IbLb0EEEEDaS1K_S1L_EUlS1K_E_NS1_11comp_targetILNS1_3genE5ELNS1_11target_archE942ELNS1_3gpuE9ELNS1_3repE0EEENS1_30default_config_static_selectorELNS0_4arch9wavefront6targetE0EEEvSY_ ; -- Begin function _ZN7rocprim17ROCPRIM_400000_NS6detail17trampoline_kernelINS0_13select_configILj256ELj13ELNS0_17block_load_methodE3ELS4_3ELS4_3ELNS0_20block_scan_algorithmE0ELj4294967295EEENS1_25partition_config_selectorILNS1_17partition_subalgoE3EjNS0_10empty_typeEbEEZZNS1_14partition_implILS8_3ELb0ES6_jNS0_17counting_iteratorIjlEEPS9_SE_NS0_5tupleIJPjSE_EEENSF_IJSE_SE_EEES9_SG_JZNS1_25segmented_radix_sort_implINS0_14default_configELb1EPKfPfPKlPlN2at6native12_GLOBAL__N_18offset_tEEE10hipError_tPvRmT1_PNSt15iterator_traitsISY_E10value_typeET2_T3_PNSZ_IS14_E10value_typeET4_jRbjT5_S1A_jjP12ihipStream_tbEUljE_EEESV_SW_SX_S14_S18_S1A_T6_T7_T9_mT8_S1C_bDpT10_ENKUlT_T0_E_clISt17integral_constantIbLb1EES1O_IbLb0EEEEDaS1K_S1L_EUlS1K_E_NS1_11comp_targetILNS1_3genE5ELNS1_11target_archE942ELNS1_3gpuE9ELNS1_3repE0EEENS1_30default_config_static_selectorELNS0_4arch9wavefront6targetE0EEEvSY_
	.p2align	8
	.type	_ZN7rocprim17ROCPRIM_400000_NS6detail17trampoline_kernelINS0_13select_configILj256ELj13ELNS0_17block_load_methodE3ELS4_3ELS4_3ELNS0_20block_scan_algorithmE0ELj4294967295EEENS1_25partition_config_selectorILNS1_17partition_subalgoE3EjNS0_10empty_typeEbEEZZNS1_14partition_implILS8_3ELb0ES6_jNS0_17counting_iteratorIjlEEPS9_SE_NS0_5tupleIJPjSE_EEENSF_IJSE_SE_EEES9_SG_JZNS1_25segmented_radix_sort_implINS0_14default_configELb1EPKfPfPKlPlN2at6native12_GLOBAL__N_18offset_tEEE10hipError_tPvRmT1_PNSt15iterator_traitsISY_E10value_typeET2_T3_PNSZ_IS14_E10value_typeET4_jRbjT5_S1A_jjP12ihipStream_tbEUljE_EEESV_SW_SX_S14_S18_S1A_T6_T7_T9_mT8_S1C_bDpT10_ENKUlT_T0_E_clISt17integral_constantIbLb1EES1O_IbLb0EEEEDaS1K_S1L_EUlS1K_E_NS1_11comp_targetILNS1_3genE5ELNS1_11target_archE942ELNS1_3gpuE9ELNS1_3repE0EEENS1_30default_config_static_selectorELNS0_4arch9wavefront6targetE0EEEvSY_,@function
_ZN7rocprim17ROCPRIM_400000_NS6detail17trampoline_kernelINS0_13select_configILj256ELj13ELNS0_17block_load_methodE3ELS4_3ELS4_3ELNS0_20block_scan_algorithmE0ELj4294967295EEENS1_25partition_config_selectorILNS1_17partition_subalgoE3EjNS0_10empty_typeEbEEZZNS1_14partition_implILS8_3ELb0ES6_jNS0_17counting_iteratorIjlEEPS9_SE_NS0_5tupleIJPjSE_EEENSF_IJSE_SE_EEES9_SG_JZNS1_25segmented_radix_sort_implINS0_14default_configELb1EPKfPfPKlPlN2at6native12_GLOBAL__N_18offset_tEEE10hipError_tPvRmT1_PNSt15iterator_traitsISY_E10value_typeET2_T3_PNSZ_IS14_E10value_typeET4_jRbjT5_S1A_jjP12ihipStream_tbEUljE_EEESV_SW_SX_S14_S18_S1A_T6_T7_T9_mT8_S1C_bDpT10_ENKUlT_T0_E_clISt17integral_constantIbLb1EES1O_IbLb0EEEEDaS1K_S1L_EUlS1K_E_NS1_11comp_targetILNS1_3genE5ELNS1_11target_archE942ELNS1_3gpuE9ELNS1_3repE0EEENS1_30default_config_static_selectorELNS0_4arch9wavefront6targetE0EEEvSY_: ; @_ZN7rocprim17ROCPRIM_400000_NS6detail17trampoline_kernelINS0_13select_configILj256ELj13ELNS0_17block_load_methodE3ELS4_3ELS4_3ELNS0_20block_scan_algorithmE0ELj4294967295EEENS1_25partition_config_selectorILNS1_17partition_subalgoE3EjNS0_10empty_typeEbEEZZNS1_14partition_implILS8_3ELb0ES6_jNS0_17counting_iteratorIjlEEPS9_SE_NS0_5tupleIJPjSE_EEENSF_IJSE_SE_EEES9_SG_JZNS1_25segmented_radix_sort_implINS0_14default_configELb1EPKfPfPKlPlN2at6native12_GLOBAL__N_18offset_tEEE10hipError_tPvRmT1_PNSt15iterator_traitsISY_E10value_typeET2_T3_PNSZ_IS14_E10value_typeET4_jRbjT5_S1A_jjP12ihipStream_tbEUljE_EEESV_SW_SX_S14_S18_S1A_T6_T7_T9_mT8_S1C_bDpT10_ENKUlT_T0_E_clISt17integral_constantIbLb1EES1O_IbLb0EEEEDaS1K_S1L_EUlS1K_E_NS1_11comp_targetILNS1_3genE5ELNS1_11target_archE942ELNS1_3gpuE9ELNS1_3repE0EEENS1_30default_config_static_selectorELNS0_4arch9wavefront6targetE0EEEvSY_
; %bb.0:
	.section	.rodata,"a",@progbits
	.p2align	6, 0x0
	.amdhsa_kernel _ZN7rocprim17ROCPRIM_400000_NS6detail17trampoline_kernelINS0_13select_configILj256ELj13ELNS0_17block_load_methodE3ELS4_3ELS4_3ELNS0_20block_scan_algorithmE0ELj4294967295EEENS1_25partition_config_selectorILNS1_17partition_subalgoE3EjNS0_10empty_typeEbEEZZNS1_14partition_implILS8_3ELb0ES6_jNS0_17counting_iteratorIjlEEPS9_SE_NS0_5tupleIJPjSE_EEENSF_IJSE_SE_EEES9_SG_JZNS1_25segmented_radix_sort_implINS0_14default_configELb1EPKfPfPKlPlN2at6native12_GLOBAL__N_18offset_tEEE10hipError_tPvRmT1_PNSt15iterator_traitsISY_E10value_typeET2_T3_PNSZ_IS14_E10value_typeET4_jRbjT5_S1A_jjP12ihipStream_tbEUljE_EEESV_SW_SX_S14_S18_S1A_T6_T7_T9_mT8_S1C_bDpT10_ENKUlT_T0_E_clISt17integral_constantIbLb1EES1O_IbLb0EEEEDaS1K_S1L_EUlS1K_E_NS1_11comp_targetILNS1_3genE5ELNS1_11target_archE942ELNS1_3gpuE9ELNS1_3repE0EEENS1_30default_config_static_selectorELNS0_4arch9wavefront6targetE0EEEvSY_
		.amdhsa_group_segment_fixed_size 0
		.amdhsa_private_segment_fixed_size 0
		.amdhsa_kernarg_size 144
		.amdhsa_user_sgpr_count 2
		.amdhsa_user_sgpr_dispatch_ptr 0
		.amdhsa_user_sgpr_queue_ptr 0
		.amdhsa_user_sgpr_kernarg_segment_ptr 1
		.amdhsa_user_sgpr_dispatch_id 0
		.amdhsa_user_sgpr_kernarg_preload_length 0
		.amdhsa_user_sgpr_kernarg_preload_offset 0
		.amdhsa_user_sgpr_private_segment_size 0
		.amdhsa_wavefront_size32 1
		.amdhsa_uses_dynamic_stack 0
		.amdhsa_enable_private_segment 0
		.amdhsa_system_sgpr_workgroup_id_x 1
		.amdhsa_system_sgpr_workgroup_id_y 0
		.amdhsa_system_sgpr_workgroup_id_z 0
		.amdhsa_system_sgpr_workgroup_info 0
		.amdhsa_system_vgpr_workitem_id 0
		.amdhsa_next_free_vgpr 1
		.amdhsa_next_free_sgpr 1
		.amdhsa_named_barrier_count 0
		.amdhsa_reserve_vcc 0
		.amdhsa_float_round_mode_32 0
		.amdhsa_float_round_mode_16_64 0
		.amdhsa_float_denorm_mode_32 3
		.amdhsa_float_denorm_mode_16_64 3
		.amdhsa_fp16_overflow 0
		.amdhsa_memory_ordered 1
		.amdhsa_forward_progress 1
		.amdhsa_inst_pref_size 0
		.amdhsa_round_robin_scheduling 0
		.amdhsa_exception_fp_ieee_invalid_op 0
		.amdhsa_exception_fp_denorm_src 0
		.amdhsa_exception_fp_ieee_div_zero 0
		.amdhsa_exception_fp_ieee_overflow 0
		.amdhsa_exception_fp_ieee_underflow 0
		.amdhsa_exception_fp_ieee_inexact 0
		.amdhsa_exception_int_div_zero 0
	.end_amdhsa_kernel
	.section	.text._ZN7rocprim17ROCPRIM_400000_NS6detail17trampoline_kernelINS0_13select_configILj256ELj13ELNS0_17block_load_methodE3ELS4_3ELS4_3ELNS0_20block_scan_algorithmE0ELj4294967295EEENS1_25partition_config_selectorILNS1_17partition_subalgoE3EjNS0_10empty_typeEbEEZZNS1_14partition_implILS8_3ELb0ES6_jNS0_17counting_iteratorIjlEEPS9_SE_NS0_5tupleIJPjSE_EEENSF_IJSE_SE_EEES9_SG_JZNS1_25segmented_radix_sort_implINS0_14default_configELb1EPKfPfPKlPlN2at6native12_GLOBAL__N_18offset_tEEE10hipError_tPvRmT1_PNSt15iterator_traitsISY_E10value_typeET2_T3_PNSZ_IS14_E10value_typeET4_jRbjT5_S1A_jjP12ihipStream_tbEUljE_EEESV_SW_SX_S14_S18_S1A_T6_T7_T9_mT8_S1C_bDpT10_ENKUlT_T0_E_clISt17integral_constantIbLb1EES1O_IbLb0EEEEDaS1K_S1L_EUlS1K_E_NS1_11comp_targetILNS1_3genE5ELNS1_11target_archE942ELNS1_3gpuE9ELNS1_3repE0EEENS1_30default_config_static_selectorELNS0_4arch9wavefront6targetE0EEEvSY_,"axG",@progbits,_ZN7rocprim17ROCPRIM_400000_NS6detail17trampoline_kernelINS0_13select_configILj256ELj13ELNS0_17block_load_methodE3ELS4_3ELS4_3ELNS0_20block_scan_algorithmE0ELj4294967295EEENS1_25partition_config_selectorILNS1_17partition_subalgoE3EjNS0_10empty_typeEbEEZZNS1_14partition_implILS8_3ELb0ES6_jNS0_17counting_iteratorIjlEEPS9_SE_NS0_5tupleIJPjSE_EEENSF_IJSE_SE_EEES9_SG_JZNS1_25segmented_radix_sort_implINS0_14default_configELb1EPKfPfPKlPlN2at6native12_GLOBAL__N_18offset_tEEE10hipError_tPvRmT1_PNSt15iterator_traitsISY_E10value_typeET2_T3_PNSZ_IS14_E10value_typeET4_jRbjT5_S1A_jjP12ihipStream_tbEUljE_EEESV_SW_SX_S14_S18_S1A_T6_T7_T9_mT8_S1C_bDpT10_ENKUlT_T0_E_clISt17integral_constantIbLb1EES1O_IbLb0EEEEDaS1K_S1L_EUlS1K_E_NS1_11comp_targetILNS1_3genE5ELNS1_11target_archE942ELNS1_3gpuE9ELNS1_3repE0EEENS1_30default_config_static_selectorELNS0_4arch9wavefront6targetE0EEEvSY_,comdat
.Lfunc_end1304:
	.size	_ZN7rocprim17ROCPRIM_400000_NS6detail17trampoline_kernelINS0_13select_configILj256ELj13ELNS0_17block_load_methodE3ELS4_3ELS4_3ELNS0_20block_scan_algorithmE0ELj4294967295EEENS1_25partition_config_selectorILNS1_17partition_subalgoE3EjNS0_10empty_typeEbEEZZNS1_14partition_implILS8_3ELb0ES6_jNS0_17counting_iteratorIjlEEPS9_SE_NS0_5tupleIJPjSE_EEENSF_IJSE_SE_EEES9_SG_JZNS1_25segmented_radix_sort_implINS0_14default_configELb1EPKfPfPKlPlN2at6native12_GLOBAL__N_18offset_tEEE10hipError_tPvRmT1_PNSt15iterator_traitsISY_E10value_typeET2_T3_PNSZ_IS14_E10value_typeET4_jRbjT5_S1A_jjP12ihipStream_tbEUljE_EEESV_SW_SX_S14_S18_S1A_T6_T7_T9_mT8_S1C_bDpT10_ENKUlT_T0_E_clISt17integral_constantIbLb1EES1O_IbLb0EEEEDaS1K_S1L_EUlS1K_E_NS1_11comp_targetILNS1_3genE5ELNS1_11target_archE942ELNS1_3gpuE9ELNS1_3repE0EEENS1_30default_config_static_selectorELNS0_4arch9wavefront6targetE0EEEvSY_, .Lfunc_end1304-_ZN7rocprim17ROCPRIM_400000_NS6detail17trampoline_kernelINS0_13select_configILj256ELj13ELNS0_17block_load_methodE3ELS4_3ELS4_3ELNS0_20block_scan_algorithmE0ELj4294967295EEENS1_25partition_config_selectorILNS1_17partition_subalgoE3EjNS0_10empty_typeEbEEZZNS1_14partition_implILS8_3ELb0ES6_jNS0_17counting_iteratorIjlEEPS9_SE_NS0_5tupleIJPjSE_EEENSF_IJSE_SE_EEES9_SG_JZNS1_25segmented_radix_sort_implINS0_14default_configELb1EPKfPfPKlPlN2at6native12_GLOBAL__N_18offset_tEEE10hipError_tPvRmT1_PNSt15iterator_traitsISY_E10value_typeET2_T3_PNSZ_IS14_E10value_typeET4_jRbjT5_S1A_jjP12ihipStream_tbEUljE_EEESV_SW_SX_S14_S18_S1A_T6_T7_T9_mT8_S1C_bDpT10_ENKUlT_T0_E_clISt17integral_constantIbLb1EES1O_IbLb0EEEEDaS1K_S1L_EUlS1K_E_NS1_11comp_targetILNS1_3genE5ELNS1_11target_archE942ELNS1_3gpuE9ELNS1_3repE0EEENS1_30default_config_static_selectorELNS0_4arch9wavefront6targetE0EEEvSY_
                                        ; -- End function
	.set _ZN7rocprim17ROCPRIM_400000_NS6detail17trampoline_kernelINS0_13select_configILj256ELj13ELNS0_17block_load_methodE3ELS4_3ELS4_3ELNS0_20block_scan_algorithmE0ELj4294967295EEENS1_25partition_config_selectorILNS1_17partition_subalgoE3EjNS0_10empty_typeEbEEZZNS1_14partition_implILS8_3ELb0ES6_jNS0_17counting_iteratorIjlEEPS9_SE_NS0_5tupleIJPjSE_EEENSF_IJSE_SE_EEES9_SG_JZNS1_25segmented_radix_sort_implINS0_14default_configELb1EPKfPfPKlPlN2at6native12_GLOBAL__N_18offset_tEEE10hipError_tPvRmT1_PNSt15iterator_traitsISY_E10value_typeET2_T3_PNSZ_IS14_E10value_typeET4_jRbjT5_S1A_jjP12ihipStream_tbEUljE_EEESV_SW_SX_S14_S18_S1A_T6_T7_T9_mT8_S1C_bDpT10_ENKUlT_T0_E_clISt17integral_constantIbLb1EES1O_IbLb0EEEEDaS1K_S1L_EUlS1K_E_NS1_11comp_targetILNS1_3genE5ELNS1_11target_archE942ELNS1_3gpuE9ELNS1_3repE0EEENS1_30default_config_static_selectorELNS0_4arch9wavefront6targetE0EEEvSY_.num_vgpr, 0
	.set _ZN7rocprim17ROCPRIM_400000_NS6detail17trampoline_kernelINS0_13select_configILj256ELj13ELNS0_17block_load_methodE3ELS4_3ELS4_3ELNS0_20block_scan_algorithmE0ELj4294967295EEENS1_25partition_config_selectorILNS1_17partition_subalgoE3EjNS0_10empty_typeEbEEZZNS1_14partition_implILS8_3ELb0ES6_jNS0_17counting_iteratorIjlEEPS9_SE_NS0_5tupleIJPjSE_EEENSF_IJSE_SE_EEES9_SG_JZNS1_25segmented_radix_sort_implINS0_14default_configELb1EPKfPfPKlPlN2at6native12_GLOBAL__N_18offset_tEEE10hipError_tPvRmT1_PNSt15iterator_traitsISY_E10value_typeET2_T3_PNSZ_IS14_E10value_typeET4_jRbjT5_S1A_jjP12ihipStream_tbEUljE_EEESV_SW_SX_S14_S18_S1A_T6_T7_T9_mT8_S1C_bDpT10_ENKUlT_T0_E_clISt17integral_constantIbLb1EES1O_IbLb0EEEEDaS1K_S1L_EUlS1K_E_NS1_11comp_targetILNS1_3genE5ELNS1_11target_archE942ELNS1_3gpuE9ELNS1_3repE0EEENS1_30default_config_static_selectorELNS0_4arch9wavefront6targetE0EEEvSY_.num_agpr, 0
	.set _ZN7rocprim17ROCPRIM_400000_NS6detail17trampoline_kernelINS0_13select_configILj256ELj13ELNS0_17block_load_methodE3ELS4_3ELS4_3ELNS0_20block_scan_algorithmE0ELj4294967295EEENS1_25partition_config_selectorILNS1_17partition_subalgoE3EjNS0_10empty_typeEbEEZZNS1_14partition_implILS8_3ELb0ES6_jNS0_17counting_iteratorIjlEEPS9_SE_NS0_5tupleIJPjSE_EEENSF_IJSE_SE_EEES9_SG_JZNS1_25segmented_radix_sort_implINS0_14default_configELb1EPKfPfPKlPlN2at6native12_GLOBAL__N_18offset_tEEE10hipError_tPvRmT1_PNSt15iterator_traitsISY_E10value_typeET2_T3_PNSZ_IS14_E10value_typeET4_jRbjT5_S1A_jjP12ihipStream_tbEUljE_EEESV_SW_SX_S14_S18_S1A_T6_T7_T9_mT8_S1C_bDpT10_ENKUlT_T0_E_clISt17integral_constantIbLb1EES1O_IbLb0EEEEDaS1K_S1L_EUlS1K_E_NS1_11comp_targetILNS1_3genE5ELNS1_11target_archE942ELNS1_3gpuE9ELNS1_3repE0EEENS1_30default_config_static_selectorELNS0_4arch9wavefront6targetE0EEEvSY_.numbered_sgpr, 0
	.set _ZN7rocprim17ROCPRIM_400000_NS6detail17trampoline_kernelINS0_13select_configILj256ELj13ELNS0_17block_load_methodE3ELS4_3ELS4_3ELNS0_20block_scan_algorithmE0ELj4294967295EEENS1_25partition_config_selectorILNS1_17partition_subalgoE3EjNS0_10empty_typeEbEEZZNS1_14partition_implILS8_3ELb0ES6_jNS0_17counting_iteratorIjlEEPS9_SE_NS0_5tupleIJPjSE_EEENSF_IJSE_SE_EEES9_SG_JZNS1_25segmented_radix_sort_implINS0_14default_configELb1EPKfPfPKlPlN2at6native12_GLOBAL__N_18offset_tEEE10hipError_tPvRmT1_PNSt15iterator_traitsISY_E10value_typeET2_T3_PNSZ_IS14_E10value_typeET4_jRbjT5_S1A_jjP12ihipStream_tbEUljE_EEESV_SW_SX_S14_S18_S1A_T6_T7_T9_mT8_S1C_bDpT10_ENKUlT_T0_E_clISt17integral_constantIbLb1EES1O_IbLb0EEEEDaS1K_S1L_EUlS1K_E_NS1_11comp_targetILNS1_3genE5ELNS1_11target_archE942ELNS1_3gpuE9ELNS1_3repE0EEENS1_30default_config_static_selectorELNS0_4arch9wavefront6targetE0EEEvSY_.num_named_barrier, 0
	.set _ZN7rocprim17ROCPRIM_400000_NS6detail17trampoline_kernelINS0_13select_configILj256ELj13ELNS0_17block_load_methodE3ELS4_3ELS4_3ELNS0_20block_scan_algorithmE0ELj4294967295EEENS1_25partition_config_selectorILNS1_17partition_subalgoE3EjNS0_10empty_typeEbEEZZNS1_14partition_implILS8_3ELb0ES6_jNS0_17counting_iteratorIjlEEPS9_SE_NS0_5tupleIJPjSE_EEENSF_IJSE_SE_EEES9_SG_JZNS1_25segmented_radix_sort_implINS0_14default_configELb1EPKfPfPKlPlN2at6native12_GLOBAL__N_18offset_tEEE10hipError_tPvRmT1_PNSt15iterator_traitsISY_E10value_typeET2_T3_PNSZ_IS14_E10value_typeET4_jRbjT5_S1A_jjP12ihipStream_tbEUljE_EEESV_SW_SX_S14_S18_S1A_T6_T7_T9_mT8_S1C_bDpT10_ENKUlT_T0_E_clISt17integral_constantIbLb1EES1O_IbLb0EEEEDaS1K_S1L_EUlS1K_E_NS1_11comp_targetILNS1_3genE5ELNS1_11target_archE942ELNS1_3gpuE9ELNS1_3repE0EEENS1_30default_config_static_selectorELNS0_4arch9wavefront6targetE0EEEvSY_.private_seg_size, 0
	.set _ZN7rocprim17ROCPRIM_400000_NS6detail17trampoline_kernelINS0_13select_configILj256ELj13ELNS0_17block_load_methodE3ELS4_3ELS4_3ELNS0_20block_scan_algorithmE0ELj4294967295EEENS1_25partition_config_selectorILNS1_17partition_subalgoE3EjNS0_10empty_typeEbEEZZNS1_14partition_implILS8_3ELb0ES6_jNS0_17counting_iteratorIjlEEPS9_SE_NS0_5tupleIJPjSE_EEENSF_IJSE_SE_EEES9_SG_JZNS1_25segmented_radix_sort_implINS0_14default_configELb1EPKfPfPKlPlN2at6native12_GLOBAL__N_18offset_tEEE10hipError_tPvRmT1_PNSt15iterator_traitsISY_E10value_typeET2_T3_PNSZ_IS14_E10value_typeET4_jRbjT5_S1A_jjP12ihipStream_tbEUljE_EEESV_SW_SX_S14_S18_S1A_T6_T7_T9_mT8_S1C_bDpT10_ENKUlT_T0_E_clISt17integral_constantIbLb1EES1O_IbLb0EEEEDaS1K_S1L_EUlS1K_E_NS1_11comp_targetILNS1_3genE5ELNS1_11target_archE942ELNS1_3gpuE9ELNS1_3repE0EEENS1_30default_config_static_selectorELNS0_4arch9wavefront6targetE0EEEvSY_.uses_vcc, 0
	.set _ZN7rocprim17ROCPRIM_400000_NS6detail17trampoline_kernelINS0_13select_configILj256ELj13ELNS0_17block_load_methodE3ELS4_3ELS4_3ELNS0_20block_scan_algorithmE0ELj4294967295EEENS1_25partition_config_selectorILNS1_17partition_subalgoE3EjNS0_10empty_typeEbEEZZNS1_14partition_implILS8_3ELb0ES6_jNS0_17counting_iteratorIjlEEPS9_SE_NS0_5tupleIJPjSE_EEENSF_IJSE_SE_EEES9_SG_JZNS1_25segmented_radix_sort_implINS0_14default_configELb1EPKfPfPKlPlN2at6native12_GLOBAL__N_18offset_tEEE10hipError_tPvRmT1_PNSt15iterator_traitsISY_E10value_typeET2_T3_PNSZ_IS14_E10value_typeET4_jRbjT5_S1A_jjP12ihipStream_tbEUljE_EEESV_SW_SX_S14_S18_S1A_T6_T7_T9_mT8_S1C_bDpT10_ENKUlT_T0_E_clISt17integral_constantIbLb1EES1O_IbLb0EEEEDaS1K_S1L_EUlS1K_E_NS1_11comp_targetILNS1_3genE5ELNS1_11target_archE942ELNS1_3gpuE9ELNS1_3repE0EEENS1_30default_config_static_selectorELNS0_4arch9wavefront6targetE0EEEvSY_.uses_flat_scratch, 0
	.set _ZN7rocprim17ROCPRIM_400000_NS6detail17trampoline_kernelINS0_13select_configILj256ELj13ELNS0_17block_load_methodE3ELS4_3ELS4_3ELNS0_20block_scan_algorithmE0ELj4294967295EEENS1_25partition_config_selectorILNS1_17partition_subalgoE3EjNS0_10empty_typeEbEEZZNS1_14partition_implILS8_3ELb0ES6_jNS0_17counting_iteratorIjlEEPS9_SE_NS0_5tupleIJPjSE_EEENSF_IJSE_SE_EEES9_SG_JZNS1_25segmented_radix_sort_implINS0_14default_configELb1EPKfPfPKlPlN2at6native12_GLOBAL__N_18offset_tEEE10hipError_tPvRmT1_PNSt15iterator_traitsISY_E10value_typeET2_T3_PNSZ_IS14_E10value_typeET4_jRbjT5_S1A_jjP12ihipStream_tbEUljE_EEESV_SW_SX_S14_S18_S1A_T6_T7_T9_mT8_S1C_bDpT10_ENKUlT_T0_E_clISt17integral_constantIbLb1EES1O_IbLb0EEEEDaS1K_S1L_EUlS1K_E_NS1_11comp_targetILNS1_3genE5ELNS1_11target_archE942ELNS1_3gpuE9ELNS1_3repE0EEENS1_30default_config_static_selectorELNS0_4arch9wavefront6targetE0EEEvSY_.has_dyn_sized_stack, 0
	.set _ZN7rocprim17ROCPRIM_400000_NS6detail17trampoline_kernelINS0_13select_configILj256ELj13ELNS0_17block_load_methodE3ELS4_3ELS4_3ELNS0_20block_scan_algorithmE0ELj4294967295EEENS1_25partition_config_selectorILNS1_17partition_subalgoE3EjNS0_10empty_typeEbEEZZNS1_14partition_implILS8_3ELb0ES6_jNS0_17counting_iteratorIjlEEPS9_SE_NS0_5tupleIJPjSE_EEENSF_IJSE_SE_EEES9_SG_JZNS1_25segmented_radix_sort_implINS0_14default_configELb1EPKfPfPKlPlN2at6native12_GLOBAL__N_18offset_tEEE10hipError_tPvRmT1_PNSt15iterator_traitsISY_E10value_typeET2_T3_PNSZ_IS14_E10value_typeET4_jRbjT5_S1A_jjP12ihipStream_tbEUljE_EEESV_SW_SX_S14_S18_S1A_T6_T7_T9_mT8_S1C_bDpT10_ENKUlT_T0_E_clISt17integral_constantIbLb1EES1O_IbLb0EEEEDaS1K_S1L_EUlS1K_E_NS1_11comp_targetILNS1_3genE5ELNS1_11target_archE942ELNS1_3gpuE9ELNS1_3repE0EEENS1_30default_config_static_selectorELNS0_4arch9wavefront6targetE0EEEvSY_.has_recursion, 0
	.set _ZN7rocprim17ROCPRIM_400000_NS6detail17trampoline_kernelINS0_13select_configILj256ELj13ELNS0_17block_load_methodE3ELS4_3ELS4_3ELNS0_20block_scan_algorithmE0ELj4294967295EEENS1_25partition_config_selectorILNS1_17partition_subalgoE3EjNS0_10empty_typeEbEEZZNS1_14partition_implILS8_3ELb0ES6_jNS0_17counting_iteratorIjlEEPS9_SE_NS0_5tupleIJPjSE_EEENSF_IJSE_SE_EEES9_SG_JZNS1_25segmented_radix_sort_implINS0_14default_configELb1EPKfPfPKlPlN2at6native12_GLOBAL__N_18offset_tEEE10hipError_tPvRmT1_PNSt15iterator_traitsISY_E10value_typeET2_T3_PNSZ_IS14_E10value_typeET4_jRbjT5_S1A_jjP12ihipStream_tbEUljE_EEESV_SW_SX_S14_S18_S1A_T6_T7_T9_mT8_S1C_bDpT10_ENKUlT_T0_E_clISt17integral_constantIbLb1EES1O_IbLb0EEEEDaS1K_S1L_EUlS1K_E_NS1_11comp_targetILNS1_3genE5ELNS1_11target_archE942ELNS1_3gpuE9ELNS1_3repE0EEENS1_30default_config_static_selectorELNS0_4arch9wavefront6targetE0EEEvSY_.has_indirect_call, 0
	.section	.AMDGPU.csdata,"",@progbits
; Kernel info:
; codeLenInByte = 0
; TotalNumSgprs: 0
; NumVgprs: 0
; ScratchSize: 0
; MemoryBound: 0
; FloatMode: 240
; IeeeMode: 1
; LDSByteSize: 0 bytes/workgroup (compile time only)
; SGPRBlocks: 0
; VGPRBlocks: 0
; NumSGPRsForWavesPerEU: 1
; NumVGPRsForWavesPerEU: 1
; NamedBarCnt: 0
; Occupancy: 16
; WaveLimiterHint : 0
; COMPUTE_PGM_RSRC2:SCRATCH_EN: 0
; COMPUTE_PGM_RSRC2:USER_SGPR: 2
; COMPUTE_PGM_RSRC2:TRAP_HANDLER: 0
; COMPUTE_PGM_RSRC2:TGID_X_EN: 1
; COMPUTE_PGM_RSRC2:TGID_Y_EN: 0
; COMPUTE_PGM_RSRC2:TGID_Z_EN: 0
; COMPUTE_PGM_RSRC2:TIDIG_COMP_CNT: 0
	.section	.text._ZN7rocprim17ROCPRIM_400000_NS6detail17trampoline_kernelINS0_13select_configILj256ELj13ELNS0_17block_load_methodE3ELS4_3ELS4_3ELNS0_20block_scan_algorithmE0ELj4294967295EEENS1_25partition_config_selectorILNS1_17partition_subalgoE3EjNS0_10empty_typeEbEEZZNS1_14partition_implILS8_3ELb0ES6_jNS0_17counting_iteratorIjlEEPS9_SE_NS0_5tupleIJPjSE_EEENSF_IJSE_SE_EEES9_SG_JZNS1_25segmented_radix_sort_implINS0_14default_configELb1EPKfPfPKlPlN2at6native12_GLOBAL__N_18offset_tEEE10hipError_tPvRmT1_PNSt15iterator_traitsISY_E10value_typeET2_T3_PNSZ_IS14_E10value_typeET4_jRbjT5_S1A_jjP12ihipStream_tbEUljE_EEESV_SW_SX_S14_S18_S1A_T6_T7_T9_mT8_S1C_bDpT10_ENKUlT_T0_E_clISt17integral_constantIbLb1EES1O_IbLb0EEEEDaS1K_S1L_EUlS1K_E_NS1_11comp_targetILNS1_3genE4ELNS1_11target_archE910ELNS1_3gpuE8ELNS1_3repE0EEENS1_30default_config_static_selectorELNS0_4arch9wavefront6targetE0EEEvSY_,"axG",@progbits,_ZN7rocprim17ROCPRIM_400000_NS6detail17trampoline_kernelINS0_13select_configILj256ELj13ELNS0_17block_load_methodE3ELS4_3ELS4_3ELNS0_20block_scan_algorithmE0ELj4294967295EEENS1_25partition_config_selectorILNS1_17partition_subalgoE3EjNS0_10empty_typeEbEEZZNS1_14partition_implILS8_3ELb0ES6_jNS0_17counting_iteratorIjlEEPS9_SE_NS0_5tupleIJPjSE_EEENSF_IJSE_SE_EEES9_SG_JZNS1_25segmented_radix_sort_implINS0_14default_configELb1EPKfPfPKlPlN2at6native12_GLOBAL__N_18offset_tEEE10hipError_tPvRmT1_PNSt15iterator_traitsISY_E10value_typeET2_T3_PNSZ_IS14_E10value_typeET4_jRbjT5_S1A_jjP12ihipStream_tbEUljE_EEESV_SW_SX_S14_S18_S1A_T6_T7_T9_mT8_S1C_bDpT10_ENKUlT_T0_E_clISt17integral_constantIbLb1EES1O_IbLb0EEEEDaS1K_S1L_EUlS1K_E_NS1_11comp_targetILNS1_3genE4ELNS1_11target_archE910ELNS1_3gpuE8ELNS1_3repE0EEENS1_30default_config_static_selectorELNS0_4arch9wavefront6targetE0EEEvSY_,comdat
	.globl	_ZN7rocprim17ROCPRIM_400000_NS6detail17trampoline_kernelINS0_13select_configILj256ELj13ELNS0_17block_load_methodE3ELS4_3ELS4_3ELNS0_20block_scan_algorithmE0ELj4294967295EEENS1_25partition_config_selectorILNS1_17partition_subalgoE3EjNS0_10empty_typeEbEEZZNS1_14partition_implILS8_3ELb0ES6_jNS0_17counting_iteratorIjlEEPS9_SE_NS0_5tupleIJPjSE_EEENSF_IJSE_SE_EEES9_SG_JZNS1_25segmented_radix_sort_implINS0_14default_configELb1EPKfPfPKlPlN2at6native12_GLOBAL__N_18offset_tEEE10hipError_tPvRmT1_PNSt15iterator_traitsISY_E10value_typeET2_T3_PNSZ_IS14_E10value_typeET4_jRbjT5_S1A_jjP12ihipStream_tbEUljE_EEESV_SW_SX_S14_S18_S1A_T6_T7_T9_mT8_S1C_bDpT10_ENKUlT_T0_E_clISt17integral_constantIbLb1EES1O_IbLb0EEEEDaS1K_S1L_EUlS1K_E_NS1_11comp_targetILNS1_3genE4ELNS1_11target_archE910ELNS1_3gpuE8ELNS1_3repE0EEENS1_30default_config_static_selectorELNS0_4arch9wavefront6targetE0EEEvSY_ ; -- Begin function _ZN7rocprim17ROCPRIM_400000_NS6detail17trampoline_kernelINS0_13select_configILj256ELj13ELNS0_17block_load_methodE3ELS4_3ELS4_3ELNS0_20block_scan_algorithmE0ELj4294967295EEENS1_25partition_config_selectorILNS1_17partition_subalgoE3EjNS0_10empty_typeEbEEZZNS1_14partition_implILS8_3ELb0ES6_jNS0_17counting_iteratorIjlEEPS9_SE_NS0_5tupleIJPjSE_EEENSF_IJSE_SE_EEES9_SG_JZNS1_25segmented_radix_sort_implINS0_14default_configELb1EPKfPfPKlPlN2at6native12_GLOBAL__N_18offset_tEEE10hipError_tPvRmT1_PNSt15iterator_traitsISY_E10value_typeET2_T3_PNSZ_IS14_E10value_typeET4_jRbjT5_S1A_jjP12ihipStream_tbEUljE_EEESV_SW_SX_S14_S18_S1A_T6_T7_T9_mT8_S1C_bDpT10_ENKUlT_T0_E_clISt17integral_constantIbLb1EES1O_IbLb0EEEEDaS1K_S1L_EUlS1K_E_NS1_11comp_targetILNS1_3genE4ELNS1_11target_archE910ELNS1_3gpuE8ELNS1_3repE0EEENS1_30default_config_static_selectorELNS0_4arch9wavefront6targetE0EEEvSY_
	.p2align	8
	.type	_ZN7rocprim17ROCPRIM_400000_NS6detail17trampoline_kernelINS0_13select_configILj256ELj13ELNS0_17block_load_methodE3ELS4_3ELS4_3ELNS0_20block_scan_algorithmE0ELj4294967295EEENS1_25partition_config_selectorILNS1_17partition_subalgoE3EjNS0_10empty_typeEbEEZZNS1_14partition_implILS8_3ELb0ES6_jNS0_17counting_iteratorIjlEEPS9_SE_NS0_5tupleIJPjSE_EEENSF_IJSE_SE_EEES9_SG_JZNS1_25segmented_radix_sort_implINS0_14default_configELb1EPKfPfPKlPlN2at6native12_GLOBAL__N_18offset_tEEE10hipError_tPvRmT1_PNSt15iterator_traitsISY_E10value_typeET2_T3_PNSZ_IS14_E10value_typeET4_jRbjT5_S1A_jjP12ihipStream_tbEUljE_EEESV_SW_SX_S14_S18_S1A_T6_T7_T9_mT8_S1C_bDpT10_ENKUlT_T0_E_clISt17integral_constantIbLb1EES1O_IbLb0EEEEDaS1K_S1L_EUlS1K_E_NS1_11comp_targetILNS1_3genE4ELNS1_11target_archE910ELNS1_3gpuE8ELNS1_3repE0EEENS1_30default_config_static_selectorELNS0_4arch9wavefront6targetE0EEEvSY_,@function
_ZN7rocprim17ROCPRIM_400000_NS6detail17trampoline_kernelINS0_13select_configILj256ELj13ELNS0_17block_load_methodE3ELS4_3ELS4_3ELNS0_20block_scan_algorithmE0ELj4294967295EEENS1_25partition_config_selectorILNS1_17partition_subalgoE3EjNS0_10empty_typeEbEEZZNS1_14partition_implILS8_3ELb0ES6_jNS0_17counting_iteratorIjlEEPS9_SE_NS0_5tupleIJPjSE_EEENSF_IJSE_SE_EEES9_SG_JZNS1_25segmented_radix_sort_implINS0_14default_configELb1EPKfPfPKlPlN2at6native12_GLOBAL__N_18offset_tEEE10hipError_tPvRmT1_PNSt15iterator_traitsISY_E10value_typeET2_T3_PNSZ_IS14_E10value_typeET4_jRbjT5_S1A_jjP12ihipStream_tbEUljE_EEESV_SW_SX_S14_S18_S1A_T6_T7_T9_mT8_S1C_bDpT10_ENKUlT_T0_E_clISt17integral_constantIbLb1EES1O_IbLb0EEEEDaS1K_S1L_EUlS1K_E_NS1_11comp_targetILNS1_3genE4ELNS1_11target_archE910ELNS1_3gpuE8ELNS1_3repE0EEENS1_30default_config_static_selectorELNS0_4arch9wavefront6targetE0EEEvSY_: ; @_ZN7rocprim17ROCPRIM_400000_NS6detail17trampoline_kernelINS0_13select_configILj256ELj13ELNS0_17block_load_methodE3ELS4_3ELS4_3ELNS0_20block_scan_algorithmE0ELj4294967295EEENS1_25partition_config_selectorILNS1_17partition_subalgoE3EjNS0_10empty_typeEbEEZZNS1_14partition_implILS8_3ELb0ES6_jNS0_17counting_iteratorIjlEEPS9_SE_NS0_5tupleIJPjSE_EEENSF_IJSE_SE_EEES9_SG_JZNS1_25segmented_radix_sort_implINS0_14default_configELb1EPKfPfPKlPlN2at6native12_GLOBAL__N_18offset_tEEE10hipError_tPvRmT1_PNSt15iterator_traitsISY_E10value_typeET2_T3_PNSZ_IS14_E10value_typeET4_jRbjT5_S1A_jjP12ihipStream_tbEUljE_EEESV_SW_SX_S14_S18_S1A_T6_T7_T9_mT8_S1C_bDpT10_ENKUlT_T0_E_clISt17integral_constantIbLb1EES1O_IbLb0EEEEDaS1K_S1L_EUlS1K_E_NS1_11comp_targetILNS1_3genE4ELNS1_11target_archE910ELNS1_3gpuE8ELNS1_3repE0EEENS1_30default_config_static_selectorELNS0_4arch9wavefront6targetE0EEEvSY_
; %bb.0:
	.section	.rodata,"a",@progbits
	.p2align	6, 0x0
	.amdhsa_kernel _ZN7rocprim17ROCPRIM_400000_NS6detail17trampoline_kernelINS0_13select_configILj256ELj13ELNS0_17block_load_methodE3ELS4_3ELS4_3ELNS0_20block_scan_algorithmE0ELj4294967295EEENS1_25partition_config_selectorILNS1_17partition_subalgoE3EjNS0_10empty_typeEbEEZZNS1_14partition_implILS8_3ELb0ES6_jNS0_17counting_iteratorIjlEEPS9_SE_NS0_5tupleIJPjSE_EEENSF_IJSE_SE_EEES9_SG_JZNS1_25segmented_radix_sort_implINS0_14default_configELb1EPKfPfPKlPlN2at6native12_GLOBAL__N_18offset_tEEE10hipError_tPvRmT1_PNSt15iterator_traitsISY_E10value_typeET2_T3_PNSZ_IS14_E10value_typeET4_jRbjT5_S1A_jjP12ihipStream_tbEUljE_EEESV_SW_SX_S14_S18_S1A_T6_T7_T9_mT8_S1C_bDpT10_ENKUlT_T0_E_clISt17integral_constantIbLb1EES1O_IbLb0EEEEDaS1K_S1L_EUlS1K_E_NS1_11comp_targetILNS1_3genE4ELNS1_11target_archE910ELNS1_3gpuE8ELNS1_3repE0EEENS1_30default_config_static_selectorELNS0_4arch9wavefront6targetE0EEEvSY_
		.amdhsa_group_segment_fixed_size 0
		.amdhsa_private_segment_fixed_size 0
		.amdhsa_kernarg_size 144
		.amdhsa_user_sgpr_count 2
		.amdhsa_user_sgpr_dispatch_ptr 0
		.amdhsa_user_sgpr_queue_ptr 0
		.amdhsa_user_sgpr_kernarg_segment_ptr 1
		.amdhsa_user_sgpr_dispatch_id 0
		.amdhsa_user_sgpr_kernarg_preload_length 0
		.amdhsa_user_sgpr_kernarg_preload_offset 0
		.amdhsa_user_sgpr_private_segment_size 0
		.amdhsa_wavefront_size32 1
		.amdhsa_uses_dynamic_stack 0
		.amdhsa_enable_private_segment 0
		.amdhsa_system_sgpr_workgroup_id_x 1
		.amdhsa_system_sgpr_workgroup_id_y 0
		.amdhsa_system_sgpr_workgroup_id_z 0
		.amdhsa_system_sgpr_workgroup_info 0
		.amdhsa_system_vgpr_workitem_id 0
		.amdhsa_next_free_vgpr 1
		.amdhsa_next_free_sgpr 1
		.amdhsa_named_barrier_count 0
		.amdhsa_reserve_vcc 0
		.amdhsa_float_round_mode_32 0
		.amdhsa_float_round_mode_16_64 0
		.amdhsa_float_denorm_mode_32 3
		.amdhsa_float_denorm_mode_16_64 3
		.amdhsa_fp16_overflow 0
		.amdhsa_memory_ordered 1
		.amdhsa_forward_progress 1
		.amdhsa_inst_pref_size 0
		.amdhsa_round_robin_scheduling 0
		.amdhsa_exception_fp_ieee_invalid_op 0
		.amdhsa_exception_fp_denorm_src 0
		.amdhsa_exception_fp_ieee_div_zero 0
		.amdhsa_exception_fp_ieee_overflow 0
		.amdhsa_exception_fp_ieee_underflow 0
		.amdhsa_exception_fp_ieee_inexact 0
		.amdhsa_exception_int_div_zero 0
	.end_amdhsa_kernel
	.section	.text._ZN7rocprim17ROCPRIM_400000_NS6detail17trampoline_kernelINS0_13select_configILj256ELj13ELNS0_17block_load_methodE3ELS4_3ELS4_3ELNS0_20block_scan_algorithmE0ELj4294967295EEENS1_25partition_config_selectorILNS1_17partition_subalgoE3EjNS0_10empty_typeEbEEZZNS1_14partition_implILS8_3ELb0ES6_jNS0_17counting_iteratorIjlEEPS9_SE_NS0_5tupleIJPjSE_EEENSF_IJSE_SE_EEES9_SG_JZNS1_25segmented_radix_sort_implINS0_14default_configELb1EPKfPfPKlPlN2at6native12_GLOBAL__N_18offset_tEEE10hipError_tPvRmT1_PNSt15iterator_traitsISY_E10value_typeET2_T3_PNSZ_IS14_E10value_typeET4_jRbjT5_S1A_jjP12ihipStream_tbEUljE_EEESV_SW_SX_S14_S18_S1A_T6_T7_T9_mT8_S1C_bDpT10_ENKUlT_T0_E_clISt17integral_constantIbLb1EES1O_IbLb0EEEEDaS1K_S1L_EUlS1K_E_NS1_11comp_targetILNS1_3genE4ELNS1_11target_archE910ELNS1_3gpuE8ELNS1_3repE0EEENS1_30default_config_static_selectorELNS0_4arch9wavefront6targetE0EEEvSY_,"axG",@progbits,_ZN7rocprim17ROCPRIM_400000_NS6detail17trampoline_kernelINS0_13select_configILj256ELj13ELNS0_17block_load_methodE3ELS4_3ELS4_3ELNS0_20block_scan_algorithmE0ELj4294967295EEENS1_25partition_config_selectorILNS1_17partition_subalgoE3EjNS0_10empty_typeEbEEZZNS1_14partition_implILS8_3ELb0ES6_jNS0_17counting_iteratorIjlEEPS9_SE_NS0_5tupleIJPjSE_EEENSF_IJSE_SE_EEES9_SG_JZNS1_25segmented_radix_sort_implINS0_14default_configELb1EPKfPfPKlPlN2at6native12_GLOBAL__N_18offset_tEEE10hipError_tPvRmT1_PNSt15iterator_traitsISY_E10value_typeET2_T3_PNSZ_IS14_E10value_typeET4_jRbjT5_S1A_jjP12ihipStream_tbEUljE_EEESV_SW_SX_S14_S18_S1A_T6_T7_T9_mT8_S1C_bDpT10_ENKUlT_T0_E_clISt17integral_constantIbLb1EES1O_IbLb0EEEEDaS1K_S1L_EUlS1K_E_NS1_11comp_targetILNS1_3genE4ELNS1_11target_archE910ELNS1_3gpuE8ELNS1_3repE0EEENS1_30default_config_static_selectorELNS0_4arch9wavefront6targetE0EEEvSY_,comdat
.Lfunc_end1305:
	.size	_ZN7rocprim17ROCPRIM_400000_NS6detail17trampoline_kernelINS0_13select_configILj256ELj13ELNS0_17block_load_methodE3ELS4_3ELS4_3ELNS0_20block_scan_algorithmE0ELj4294967295EEENS1_25partition_config_selectorILNS1_17partition_subalgoE3EjNS0_10empty_typeEbEEZZNS1_14partition_implILS8_3ELb0ES6_jNS0_17counting_iteratorIjlEEPS9_SE_NS0_5tupleIJPjSE_EEENSF_IJSE_SE_EEES9_SG_JZNS1_25segmented_radix_sort_implINS0_14default_configELb1EPKfPfPKlPlN2at6native12_GLOBAL__N_18offset_tEEE10hipError_tPvRmT1_PNSt15iterator_traitsISY_E10value_typeET2_T3_PNSZ_IS14_E10value_typeET4_jRbjT5_S1A_jjP12ihipStream_tbEUljE_EEESV_SW_SX_S14_S18_S1A_T6_T7_T9_mT8_S1C_bDpT10_ENKUlT_T0_E_clISt17integral_constantIbLb1EES1O_IbLb0EEEEDaS1K_S1L_EUlS1K_E_NS1_11comp_targetILNS1_3genE4ELNS1_11target_archE910ELNS1_3gpuE8ELNS1_3repE0EEENS1_30default_config_static_selectorELNS0_4arch9wavefront6targetE0EEEvSY_, .Lfunc_end1305-_ZN7rocprim17ROCPRIM_400000_NS6detail17trampoline_kernelINS0_13select_configILj256ELj13ELNS0_17block_load_methodE3ELS4_3ELS4_3ELNS0_20block_scan_algorithmE0ELj4294967295EEENS1_25partition_config_selectorILNS1_17partition_subalgoE3EjNS0_10empty_typeEbEEZZNS1_14partition_implILS8_3ELb0ES6_jNS0_17counting_iteratorIjlEEPS9_SE_NS0_5tupleIJPjSE_EEENSF_IJSE_SE_EEES9_SG_JZNS1_25segmented_radix_sort_implINS0_14default_configELb1EPKfPfPKlPlN2at6native12_GLOBAL__N_18offset_tEEE10hipError_tPvRmT1_PNSt15iterator_traitsISY_E10value_typeET2_T3_PNSZ_IS14_E10value_typeET4_jRbjT5_S1A_jjP12ihipStream_tbEUljE_EEESV_SW_SX_S14_S18_S1A_T6_T7_T9_mT8_S1C_bDpT10_ENKUlT_T0_E_clISt17integral_constantIbLb1EES1O_IbLb0EEEEDaS1K_S1L_EUlS1K_E_NS1_11comp_targetILNS1_3genE4ELNS1_11target_archE910ELNS1_3gpuE8ELNS1_3repE0EEENS1_30default_config_static_selectorELNS0_4arch9wavefront6targetE0EEEvSY_
                                        ; -- End function
	.set _ZN7rocprim17ROCPRIM_400000_NS6detail17trampoline_kernelINS0_13select_configILj256ELj13ELNS0_17block_load_methodE3ELS4_3ELS4_3ELNS0_20block_scan_algorithmE0ELj4294967295EEENS1_25partition_config_selectorILNS1_17partition_subalgoE3EjNS0_10empty_typeEbEEZZNS1_14partition_implILS8_3ELb0ES6_jNS0_17counting_iteratorIjlEEPS9_SE_NS0_5tupleIJPjSE_EEENSF_IJSE_SE_EEES9_SG_JZNS1_25segmented_radix_sort_implINS0_14default_configELb1EPKfPfPKlPlN2at6native12_GLOBAL__N_18offset_tEEE10hipError_tPvRmT1_PNSt15iterator_traitsISY_E10value_typeET2_T3_PNSZ_IS14_E10value_typeET4_jRbjT5_S1A_jjP12ihipStream_tbEUljE_EEESV_SW_SX_S14_S18_S1A_T6_T7_T9_mT8_S1C_bDpT10_ENKUlT_T0_E_clISt17integral_constantIbLb1EES1O_IbLb0EEEEDaS1K_S1L_EUlS1K_E_NS1_11comp_targetILNS1_3genE4ELNS1_11target_archE910ELNS1_3gpuE8ELNS1_3repE0EEENS1_30default_config_static_selectorELNS0_4arch9wavefront6targetE0EEEvSY_.num_vgpr, 0
	.set _ZN7rocprim17ROCPRIM_400000_NS6detail17trampoline_kernelINS0_13select_configILj256ELj13ELNS0_17block_load_methodE3ELS4_3ELS4_3ELNS0_20block_scan_algorithmE0ELj4294967295EEENS1_25partition_config_selectorILNS1_17partition_subalgoE3EjNS0_10empty_typeEbEEZZNS1_14partition_implILS8_3ELb0ES6_jNS0_17counting_iteratorIjlEEPS9_SE_NS0_5tupleIJPjSE_EEENSF_IJSE_SE_EEES9_SG_JZNS1_25segmented_radix_sort_implINS0_14default_configELb1EPKfPfPKlPlN2at6native12_GLOBAL__N_18offset_tEEE10hipError_tPvRmT1_PNSt15iterator_traitsISY_E10value_typeET2_T3_PNSZ_IS14_E10value_typeET4_jRbjT5_S1A_jjP12ihipStream_tbEUljE_EEESV_SW_SX_S14_S18_S1A_T6_T7_T9_mT8_S1C_bDpT10_ENKUlT_T0_E_clISt17integral_constantIbLb1EES1O_IbLb0EEEEDaS1K_S1L_EUlS1K_E_NS1_11comp_targetILNS1_3genE4ELNS1_11target_archE910ELNS1_3gpuE8ELNS1_3repE0EEENS1_30default_config_static_selectorELNS0_4arch9wavefront6targetE0EEEvSY_.num_agpr, 0
	.set _ZN7rocprim17ROCPRIM_400000_NS6detail17trampoline_kernelINS0_13select_configILj256ELj13ELNS0_17block_load_methodE3ELS4_3ELS4_3ELNS0_20block_scan_algorithmE0ELj4294967295EEENS1_25partition_config_selectorILNS1_17partition_subalgoE3EjNS0_10empty_typeEbEEZZNS1_14partition_implILS8_3ELb0ES6_jNS0_17counting_iteratorIjlEEPS9_SE_NS0_5tupleIJPjSE_EEENSF_IJSE_SE_EEES9_SG_JZNS1_25segmented_radix_sort_implINS0_14default_configELb1EPKfPfPKlPlN2at6native12_GLOBAL__N_18offset_tEEE10hipError_tPvRmT1_PNSt15iterator_traitsISY_E10value_typeET2_T3_PNSZ_IS14_E10value_typeET4_jRbjT5_S1A_jjP12ihipStream_tbEUljE_EEESV_SW_SX_S14_S18_S1A_T6_T7_T9_mT8_S1C_bDpT10_ENKUlT_T0_E_clISt17integral_constantIbLb1EES1O_IbLb0EEEEDaS1K_S1L_EUlS1K_E_NS1_11comp_targetILNS1_3genE4ELNS1_11target_archE910ELNS1_3gpuE8ELNS1_3repE0EEENS1_30default_config_static_selectorELNS0_4arch9wavefront6targetE0EEEvSY_.numbered_sgpr, 0
	.set _ZN7rocprim17ROCPRIM_400000_NS6detail17trampoline_kernelINS0_13select_configILj256ELj13ELNS0_17block_load_methodE3ELS4_3ELS4_3ELNS0_20block_scan_algorithmE0ELj4294967295EEENS1_25partition_config_selectorILNS1_17partition_subalgoE3EjNS0_10empty_typeEbEEZZNS1_14partition_implILS8_3ELb0ES6_jNS0_17counting_iteratorIjlEEPS9_SE_NS0_5tupleIJPjSE_EEENSF_IJSE_SE_EEES9_SG_JZNS1_25segmented_radix_sort_implINS0_14default_configELb1EPKfPfPKlPlN2at6native12_GLOBAL__N_18offset_tEEE10hipError_tPvRmT1_PNSt15iterator_traitsISY_E10value_typeET2_T3_PNSZ_IS14_E10value_typeET4_jRbjT5_S1A_jjP12ihipStream_tbEUljE_EEESV_SW_SX_S14_S18_S1A_T6_T7_T9_mT8_S1C_bDpT10_ENKUlT_T0_E_clISt17integral_constantIbLb1EES1O_IbLb0EEEEDaS1K_S1L_EUlS1K_E_NS1_11comp_targetILNS1_3genE4ELNS1_11target_archE910ELNS1_3gpuE8ELNS1_3repE0EEENS1_30default_config_static_selectorELNS0_4arch9wavefront6targetE0EEEvSY_.num_named_barrier, 0
	.set _ZN7rocprim17ROCPRIM_400000_NS6detail17trampoline_kernelINS0_13select_configILj256ELj13ELNS0_17block_load_methodE3ELS4_3ELS4_3ELNS0_20block_scan_algorithmE0ELj4294967295EEENS1_25partition_config_selectorILNS1_17partition_subalgoE3EjNS0_10empty_typeEbEEZZNS1_14partition_implILS8_3ELb0ES6_jNS0_17counting_iteratorIjlEEPS9_SE_NS0_5tupleIJPjSE_EEENSF_IJSE_SE_EEES9_SG_JZNS1_25segmented_radix_sort_implINS0_14default_configELb1EPKfPfPKlPlN2at6native12_GLOBAL__N_18offset_tEEE10hipError_tPvRmT1_PNSt15iterator_traitsISY_E10value_typeET2_T3_PNSZ_IS14_E10value_typeET4_jRbjT5_S1A_jjP12ihipStream_tbEUljE_EEESV_SW_SX_S14_S18_S1A_T6_T7_T9_mT8_S1C_bDpT10_ENKUlT_T0_E_clISt17integral_constantIbLb1EES1O_IbLb0EEEEDaS1K_S1L_EUlS1K_E_NS1_11comp_targetILNS1_3genE4ELNS1_11target_archE910ELNS1_3gpuE8ELNS1_3repE0EEENS1_30default_config_static_selectorELNS0_4arch9wavefront6targetE0EEEvSY_.private_seg_size, 0
	.set _ZN7rocprim17ROCPRIM_400000_NS6detail17trampoline_kernelINS0_13select_configILj256ELj13ELNS0_17block_load_methodE3ELS4_3ELS4_3ELNS0_20block_scan_algorithmE0ELj4294967295EEENS1_25partition_config_selectorILNS1_17partition_subalgoE3EjNS0_10empty_typeEbEEZZNS1_14partition_implILS8_3ELb0ES6_jNS0_17counting_iteratorIjlEEPS9_SE_NS0_5tupleIJPjSE_EEENSF_IJSE_SE_EEES9_SG_JZNS1_25segmented_radix_sort_implINS0_14default_configELb1EPKfPfPKlPlN2at6native12_GLOBAL__N_18offset_tEEE10hipError_tPvRmT1_PNSt15iterator_traitsISY_E10value_typeET2_T3_PNSZ_IS14_E10value_typeET4_jRbjT5_S1A_jjP12ihipStream_tbEUljE_EEESV_SW_SX_S14_S18_S1A_T6_T7_T9_mT8_S1C_bDpT10_ENKUlT_T0_E_clISt17integral_constantIbLb1EES1O_IbLb0EEEEDaS1K_S1L_EUlS1K_E_NS1_11comp_targetILNS1_3genE4ELNS1_11target_archE910ELNS1_3gpuE8ELNS1_3repE0EEENS1_30default_config_static_selectorELNS0_4arch9wavefront6targetE0EEEvSY_.uses_vcc, 0
	.set _ZN7rocprim17ROCPRIM_400000_NS6detail17trampoline_kernelINS0_13select_configILj256ELj13ELNS0_17block_load_methodE3ELS4_3ELS4_3ELNS0_20block_scan_algorithmE0ELj4294967295EEENS1_25partition_config_selectorILNS1_17partition_subalgoE3EjNS0_10empty_typeEbEEZZNS1_14partition_implILS8_3ELb0ES6_jNS0_17counting_iteratorIjlEEPS9_SE_NS0_5tupleIJPjSE_EEENSF_IJSE_SE_EEES9_SG_JZNS1_25segmented_radix_sort_implINS0_14default_configELb1EPKfPfPKlPlN2at6native12_GLOBAL__N_18offset_tEEE10hipError_tPvRmT1_PNSt15iterator_traitsISY_E10value_typeET2_T3_PNSZ_IS14_E10value_typeET4_jRbjT5_S1A_jjP12ihipStream_tbEUljE_EEESV_SW_SX_S14_S18_S1A_T6_T7_T9_mT8_S1C_bDpT10_ENKUlT_T0_E_clISt17integral_constantIbLb1EES1O_IbLb0EEEEDaS1K_S1L_EUlS1K_E_NS1_11comp_targetILNS1_3genE4ELNS1_11target_archE910ELNS1_3gpuE8ELNS1_3repE0EEENS1_30default_config_static_selectorELNS0_4arch9wavefront6targetE0EEEvSY_.uses_flat_scratch, 0
	.set _ZN7rocprim17ROCPRIM_400000_NS6detail17trampoline_kernelINS0_13select_configILj256ELj13ELNS0_17block_load_methodE3ELS4_3ELS4_3ELNS0_20block_scan_algorithmE0ELj4294967295EEENS1_25partition_config_selectorILNS1_17partition_subalgoE3EjNS0_10empty_typeEbEEZZNS1_14partition_implILS8_3ELb0ES6_jNS0_17counting_iteratorIjlEEPS9_SE_NS0_5tupleIJPjSE_EEENSF_IJSE_SE_EEES9_SG_JZNS1_25segmented_radix_sort_implINS0_14default_configELb1EPKfPfPKlPlN2at6native12_GLOBAL__N_18offset_tEEE10hipError_tPvRmT1_PNSt15iterator_traitsISY_E10value_typeET2_T3_PNSZ_IS14_E10value_typeET4_jRbjT5_S1A_jjP12ihipStream_tbEUljE_EEESV_SW_SX_S14_S18_S1A_T6_T7_T9_mT8_S1C_bDpT10_ENKUlT_T0_E_clISt17integral_constantIbLb1EES1O_IbLb0EEEEDaS1K_S1L_EUlS1K_E_NS1_11comp_targetILNS1_3genE4ELNS1_11target_archE910ELNS1_3gpuE8ELNS1_3repE0EEENS1_30default_config_static_selectorELNS0_4arch9wavefront6targetE0EEEvSY_.has_dyn_sized_stack, 0
	.set _ZN7rocprim17ROCPRIM_400000_NS6detail17trampoline_kernelINS0_13select_configILj256ELj13ELNS0_17block_load_methodE3ELS4_3ELS4_3ELNS0_20block_scan_algorithmE0ELj4294967295EEENS1_25partition_config_selectorILNS1_17partition_subalgoE3EjNS0_10empty_typeEbEEZZNS1_14partition_implILS8_3ELb0ES6_jNS0_17counting_iteratorIjlEEPS9_SE_NS0_5tupleIJPjSE_EEENSF_IJSE_SE_EEES9_SG_JZNS1_25segmented_radix_sort_implINS0_14default_configELb1EPKfPfPKlPlN2at6native12_GLOBAL__N_18offset_tEEE10hipError_tPvRmT1_PNSt15iterator_traitsISY_E10value_typeET2_T3_PNSZ_IS14_E10value_typeET4_jRbjT5_S1A_jjP12ihipStream_tbEUljE_EEESV_SW_SX_S14_S18_S1A_T6_T7_T9_mT8_S1C_bDpT10_ENKUlT_T0_E_clISt17integral_constantIbLb1EES1O_IbLb0EEEEDaS1K_S1L_EUlS1K_E_NS1_11comp_targetILNS1_3genE4ELNS1_11target_archE910ELNS1_3gpuE8ELNS1_3repE0EEENS1_30default_config_static_selectorELNS0_4arch9wavefront6targetE0EEEvSY_.has_recursion, 0
	.set _ZN7rocprim17ROCPRIM_400000_NS6detail17trampoline_kernelINS0_13select_configILj256ELj13ELNS0_17block_load_methodE3ELS4_3ELS4_3ELNS0_20block_scan_algorithmE0ELj4294967295EEENS1_25partition_config_selectorILNS1_17partition_subalgoE3EjNS0_10empty_typeEbEEZZNS1_14partition_implILS8_3ELb0ES6_jNS0_17counting_iteratorIjlEEPS9_SE_NS0_5tupleIJPjSE_EEENSF_IJSE_SE_EEES9_SG_JZNS1_25segmented_radix_sort_implINS0_14default_configELb1EPKfPfPKlPlN2at6native12_GLOBAL__N_18offset_tEEE10hipError_tPvRmT1_PNSt15iterator_traitsISY_E10value_typeET2_T3_PNSZ_IS14_E10value_typeET4_jRbjT5_S1A_jjP12ihipStream_tbEUljE_EEESV_SW_SX_S14_S18_S1A_T6_T7_T9_mT8_S1C_bDpT10_ENKUlT_T0_E_clISt17integral_constantIbLb1EES1O_IbLb0EEEEDaS1K_S1L_EUlS1K_E_NS1_11comp_targetILNS1_3genE4ELNS1_11target_archE910ELNS1_3gpuE8ELNS1_3repE0EEENS1_30default_config_static_selectorELNS0_4arch9wavefront6targetE0EEEvSY_.has_indirect_call, 0
	.section	.AMDGPU.csdata,"",@progbits
; Kernel info:
; codeLenInByte = 0
; TotalNumSgprs: 0
; NumVgprs: 0
; ScratchSize: 0
; MemoryBound: 0
; FloatMode: 240
; IeeeMode: 1
; LDSByteSize: 0 bytes/workgroup (compile time only)
; SGPRBlocks: 0
; VGPRBlocks: 0
; NumSGPRsForWavesPerEU: 1
; NumVGPRsForWavesPerEU: 1
; NamedBarCnt: 0
; Occupancy: 16
; WaveLimiterHint : 0
; COMPUTE_PGM_RSRC2:SCRATCH_EN: 0
; COMPUTE_PGM_RSRC2:USER_SGPR: 2
; COMPUTE_PGM_RSRC2:TRAP_HANDLER: 0
; COMPUTE_PGM_RSRC2:TGID_X_EN: 1
; COMPUTE_PGM_RSRC2:TGID_Y_EN: 0
; COMPUTE_PGM_RSRC2:TGID_Z_EN: 0
; COMPUTE_PGM_RSRC2:TIDIG_COMP_CNT: 0
	.section	.text._ZN7rocprim17ROCPRIM_400000_NS6detail17trampoline_kernelINS0_13select_configILj256ELj13ELNS0_17block_load_methodE3ELS4_3ELS4_3ELNS0_20block_scan_algorithmE0ELj4294967295EEENS1_25partition_config_selectorILNS1_17partition_subalgoE3EjNS0_10empty_typeEbEEZZNS1_14partition_implILS8_3ELb0ES6_jNS0_17counting_iteratorIjlEEPS9_SE_NS0_5tupleIJPjSE_EEENSF_IJSE_SE_EEES9_SG_JZNS1_25segmented_radix_sort_implINS0_14default_configELb1EPKfPfPKlPlN2at6native12_GLOBAL__N_18offset_tEEE10hipError_tPvRmT1_PNSt15iterator_traitsISY_E10value_typeET2_T3_PNSZ_IS14_E10value_typeET4_jRbjT5_S1A_jjP12ihipStream_tbEUljE_EEESV_SW_SX_S14_S18_S1A_T6_T7_T9_mT8_S1C_bDpT10_ENKUlT_T0_E_clISt17integral_constantIbLb1EES1O_IbLb0EEEEDaS1K_S1L_EUlS1K_E_NS1_11comp_targetILNS1_3genE3ELNS1_11target_archE908ELNS1_3gpuE7ELNS1_3repE0EEENS1_30default_config_static_selectorELNS0_4arch9wavefront6targetE0EEEvSY_,"axG",@progbits,_ZN7rocprim17ROCPRIM_400000_NS6detail17trampoline_kernelINS0_13select_configILj256ELj13ELNS0_17block_load_methodE3ELS4_3ELS4_3ELNS0_20block_scan_algorithmE0ELj4294967295EEENS1_25partition_config_selectorILNS1_17partition_subalgoE3EjNS0_10empty_typeEbEEZZNS1_14partition_implILS8_3ELb0ES6_jNS0_17counting_iteratorIjlEEPS9_SE_NS0_5tupleIJPjSE_EEENSF_IJSE_SE_EEES9_SG_JZNS1_25segmented_radix_sort_implINS0_14default_configELb1EPKfPfPKlPlN2at6native12_GLOBAL__N_18offset_tEEE10hipError_tPvRmT1_PNSt15iterator_traitsISY_E10value_typeET2_T3_PNSZ_IS14_E10value_typeET4_jRbjT5_S1A_jjP12ihipStream_tbEUljE_EEESV_SW_SX_S14_S18_S1A_T6_T7_T9_mT8_S1C_bDpT10_ENKUlT_T0_E_clISt17integral_constantIbLb1EES1O_IbLb0EEEEDaS1K_S1L_EUlS1K_E_NS1_11comp_targetILNS1_3genE3ELNS1_11target_archE908ELNS1_3gpuE7ELNS1_3repE0EEENS1_30default_config_static_selectorELNS0_4arch9wavefront6targetE0EEEvSY_,comdat
	.globl	_ZN7rocprim17ROCPRIM_400000_NS6detail17trampoline_kernelINS0_13select_configILj256ELj13ELNS0_17block_load_methodE3ELS4_3ELS4_3ELNS0_20block_scan_algorithmE0ELj4294967295EEENS1_25partition_config_selectorILNS1_17partition_subalgoE3EjNS0_10empty_typeEbEEZZNS1_14partition_implILS8_3ELb0ES6_jNS0_17counting_iteratorIjlEEPS9_SE_NS0_5tupleIJPjSE_EEENSF_IJSE_SE_EEES9_SG_JZNS1_25segmented_radix_sort_implINS0_14default_configELb1EPKfPfPKlPlN2at6native12_GLOBAL__N_18offset_tEEE10hipError_tPvRmT1_PNSt15iterator_traitsISY_E10value_typeET2_T3_PNSZ_IS14_E10value_typeET4_jRbjT5_S1A_jjP12ihipStream_tbEUljE_EEESV_SW_SX_S14_S18_S1A_T6_T7_T9_mT8_S1C_bDpT10_ENKUlT_T0_E_clISt17integral_constantIbLb1EES1O_IbLb0EEEEDaS1K_S1L_EUlS1K_E_NS1_11comp_targetILNS1_3genE3ELNS1_11target_archE908ELNS1_3gpuE7ELNS1_3repE0EEENS1_30default_config_static_selectorELNS0_4arch9wavefront6targetE0EEEvSY_ ; -- Begin function _ZN7rocprim17ROCPRIM_400000_NS6detail17trampoline_kernelINS0_13select_configILj256ELj13ELNS0_17block_load_methodE3ELS4_3ELS4_3ELNS0_20block_scan_algorithmE0ELj4294967295EEENS1_25partition_config_selectorILNS1_17partition_subalgoE3EjNS0_10empty_typeEbEEZZNS1_14partition_implILS8_3ELb0ES6_jNS0_17counting_iteratorIjlEEPS9_SE_NS0_5tupleIJPjSE_EEENSF_IJSE_SE_EEES9_SG_JZNS1_25segmented_radix_sort_implINS0_14default_configELb1EPKfPfPKlPlN2at6native12_GLOBAL__N_18offset_tEEE10hipError_tPvRmT1_PNSt15iterator_traitsISY_E10value_typeET2_T3_PNSZ_IS14_E10value_typeET4_jRbjT5_S1A_jjP12ihipStream_tbEUljE_EEESV_SW_SX_S14_S18_S1A_T6_T7_T9_mT8_S1C_bDpT10_ENKUlT_T0_E_clISt17integral_constantIbLb1EES1O_IbLb0EEEEDaS1K_S1L_EUlS1K_E_NS1_11comp_targetILNS1_3genE3ELNS1_11target_archE908ELNS1_3gpuE7ELNS1_3repE0EEENS1_30default_config_static_selectorELNS0_4arch9wavefront6targetE0EEEvSY_
	.p2align	8
	.type	_ZN7rocprim17ROCPRIM_400000_NS6detail17trampoline_kernelINS0_13select_configILj256ELj13ELNS0_17block_load_methodE3ELS4_3ELS4_3ELNS0_20block_scan_algorithmE0ELj4294967295EEENS1_25partition_config_selectorILNS1_17partition_subalgoE3EjNS0_10empty_typeEbEEZZNS1_14partition_implILS8_3ELb0ES6_jNS0_17counting_iteratorIjlEEPS9_SE_NS0_5tupleIJPjSE_EEENSF_IJSE_SE_EEES9_SG_JZNS1_25segmented_radix_sort_implINS0_14default_configELb1EPKfPfPKlPlN2at6native12_GLOBAL__N_18offset_tEEE10hipError_tPvRmT1_PNSt15iterator_traitsISY_E10value_typeET2_T3_PNSZ_IS14_E10value_typeET4_jRbjT5_S1A_jjP12ihipStream_tbEUljE_EEESV_SW_SX_S14_S18_S1A_T6_T7_T9_mT8_S1C_bDpT10_ENKUlT_T0_E_clISt17integral_constantIbLb1EES1O_IbLb0EEEEDaS1K_S1L_EUlS1K_E_NS1_11comp_targetILNS1_3genE3ELNS1_11target_archE908ELNS1_3gpuE7ELNS1_3repE0EEENS1_30default_config_static_selectorELNS0_4arch9wavefront6targetE0EEEvSY_,@function
_ZN7rocprim17ROCPRIM_400000_NS6detail17trampoline_kernelINS0_13select_configILj256ELj13ELNS0_17block_load_methodE3ELS4_3ELS4_3ELNS0_20block_scan_algorithmE0ELj4294967295EEENS1_25partition_config_selectorILNS1_17partition_subalgoE3EjNS0_10empty_typeEbEEZZNS1_14partition_implILS8_3ELb0ES6_jNS0_17counting_iteratorIjlEEPS9_SE_NS0_5tupleIJPjSE_EEENSF_IJSE_SE_EEES9_SG_JZNS1_25segmented_radix_sort_implINS0_14default_configELb1EPKfPfPKlPlN2at6native12_GLOBAL__N_18offset_tEEE10hipError_tPvRmT1_PNSt15iterator_traitsISY_E10value_typeET2_T3_PNSZ_IS14_E10value_typeET4_jRbjT5_S1A_jjP12ihipStream_tbEUljE_EEESV_SW_SX_S14_S18_S1A_T6_T7_T9_mT8_S1C_bDpT10_ENKUlT_T0_E_clISt17integral_constantIbLb1EES1O_IbLb0EEEEDaS1K_S1L_EUlS1K_E_NS1_11comp_targetILNS1_3genE3ELNS1_11target_archE908ELNS1_3gpuE7ELNS1_3repE0EEENS1_30default_config_static_selectorELNS0_4arch9wavefront6targetE0EEEvSY_: ; @_ZN7rocprim17ROCPRIM_400000_NS6detail17trampoline_kernelINS0_13select_configILj256ELj13ELNS0_17block_load_methodE3ELS4_3ELS4_3ELNS0_20block_scan_algorithmE0ELj4294967295EEENS1_25partition_config_selectorILNS1_17partition_subalgoE3EjNS0_10empty_typeEbEEZZNS1_14partition_implILS8_3ELb0ES6_jNS0_17counting_iteratorIjlEEPS9_SE_NS0_5tupleIJPjSE_EEENSF_IJSE_SE_EEES9_SG_JZNS1_25segmented_radix_sort_implINS0_14default_configELb1EPKfPfPKlPlN2at6native12_GLOBAL__N_18offset_tEEE10hipError_tPvRmT1_PNSt15iterator_traitsISY_E10value_typeET2_T3_PNSZ_IS14_E10value_typeET4_jRbjT5_S1A_jjP12ihipStream_tbEUljE_EEESV_SW_SX_S14_S18_S1A_T6_T7_T9_mT8_S1C_bDpT10_ENKUlT_T0_E_clISt17integral_constantIbLb1EES1O_IbLb0EEEEDaS1K_S1L_EUlS1K_E_NS1_11comp_targetILNS1_3genE3ELNS1_11target_archE908ELNS1_3gpuE7ELNS1_3repE0EEENS1_30default_config_static_selectorELNS0_4arch9wavefront6targetE0EEEvSY_
; %bb.0:
	.section	.rodata,"a",@progbits
	.p2align	6, 0x0
	.amdhsa_kernel _ZN7rocprim17ROCPRIM_400000_NS6detail17trampoline_kernelINS0_13select_configILj256ELj13ELNS0_17block_load_methodE3ELS4_3ELS4_3ELNS0_20block_scan_algorithmE0ELj4294967295EEENS1_25partition_config_selectorILNS1_17partition_subalgoE3EjNS0_10empty_typeEbEEZZNS1_14partition_implILS8_3ELb0ES6_jNS0_17counting_iteratorIjlEEPS9_SE_NS0_5tupleIJPjSE_EEENSF_IJSE_SE_EEES9_SG_JZNS1_25segmented_radix_sort_implINS0_14default_configELb1EPKfPfPKlPlN2at6native12_GLOBAL__N_18offset_tEEE10hipError_tPvRmT1_PNSt15iterator_traitsISY_E10value_typeET2_T3_PNSZ_IS14_E10value_typeET4_jRbjT5_S1A_jjP12ihipStream_tbEUljE_EEESV_SW_SX_S14_S18_S1A_T6_T7_T9_mT8_S1C_bDpT10_ENKUlT_T0_E_clISt17integral_constantIbLb1EES1O_IbLb0EEEEDaS1K_S1L_EUlS1K_E_NS1_11comp_targetILNS1_3genE3ELNS1_11target_archE908ELNS1_3gpuE7ELNS1_3repE0EEENS1_30default_config_static_selectorELNS0_4arch9wavefront6targetE0EEEvSY_
		.amdhsa_group_segment_fixed_size 0
		.amdhsa_private_segment_fixed_size 0
		.amdhsa_kernarg_size 144
		.amdhsa_user_sgpr_count 2
		.amdhsa_user_sgpr_dispatch_ptr 0
		.amdhsa_user_sgpr_queue_ptr 0
		.amdhsa_user_sgpr_kernarg_segment_ptr 1
		.amdhsa_user_sgpr_dispatch_id 0
		.amdhsa_user_sgpr_kernarg_preload_length 0
		.amdhsa_user_sgpr_kernarg_preload_offset 0
		.amdhsa_user_sgpr_private_segment_size 0
		.amdhsa_wavefront_size32 1
		.amdhsa_uses_dynamic_stack 0
		.amdhsa_enable_private_segment 0
		.amdhsa_system_sgpr_workgroup_id_x 1
		.amdhsa_system_sgpr_workgroup_id_y 0
		.amdhsa_system_sgpr_workgroup_id_z 0
		.amdhsa_system_sgpr_workgroup_info 0
		.amdhsa_system_vgpr_workitem_id 0
		.amdhsa_next_free_vgpr 1
		.amdhsa_next_free_sgpr 1
		.amdhsa_named_barrier_count 0
		.amdhsa_reserve_vcc 0
		.amdhsa_float_round_mode_32 0
		.amdhsa_float_round_mode_16_64 0
		.amdhsa_float_denorm_mode_32 3
		.amdhsa_float_denorm_mode_16_64 3
		.amdhsa_fp16_overflow 0
		.amdhsa_memory_ordered 1
		.amdhsa_forward_progress 1
		.amdhsa_inst_pref_size 0
		.amdhsa_round_robin_scheduling 0
		.amdhsa_exception_fp_ieee_invalid_op 0
		.amdhsa_exception_fp_denorm_src 0
		.amdhsa_exception_fp_ieee_div_zero 0
		.amdhsa_exception_fp_ieee_overflow 0
		.amdhsa_exception_fp_ieee_underflow 0
		.amdhsa_exception_fp_ieee_inexact 0
		.amdhsa_exception_int_div_zero 0
	.end_amdhsa_kernel
	.section	.text._ZN7rocprim17ROCPRIM_400000_NS6detail17trampoline_kernelINS0_13select_configILj256ELj13ELNS0_17block_load_methodE3ELS4_3ELS4_3ELNS0_20block_scan_algorithmE0ELj4294967295EEENS1_25partition_config_selectorILNS1_17partition_subalgoE3EjNS0_10empty_typeEbEEZZNS1_14partition_implILS8_3ELb0ES6_jNS0_17counting_iteratorIjlEEPS9_SE_NS0_5tupleIJPjSE_EEENSF_IJSE_SE_EEES9_SG_JZNS1_25segmented_radix_sort_implINS0_14default_configELb1EPKfPfPKlPlN2at6native12_GLOBAL__N_18offset_tEEE10hipError_tPvRmT1_PNSt15iterator_traitsISY_E10value_typeET2_T3_PNSZ_IS14_E10value_typeET4_jRbjT5_S1A_jjP12ihipStream_tbEUljE_EEESV_SW_SX_S14_S18_S1A_T6_T7_T9_mT8_S1C_bDpT10_ENKUlT_T0_E_clISt17integral_constantIbLb1EES1O_IbLb0EEEEDaS1K_S1L_EUlS1K_E_NS1_11comp_targetILNS1_3genE3ELNS1_11target_archE908ELNS1_3gpuE7ELNS1_3repE0EEENS1_30default_config_static_selectorELNS0_4arch9wavefront6targetE0EEEvSY_,"axG",@progbits,_ZN7rocprim17ROCPRIM_400000_NS6detail17trampoline_kernelINS0_13select_configILj256ELj13ELNS0_17block_load_methodE3ELS4_3ELS4_3ELNS0_20block_scan_algorithmE0ELj4294967295EEENS1_25partition_config_selectorILNS1_17partition_subalgoE3EjNS0_10empty_typeEbEEZZNS1_14partition_implILS8_3ELb0ES6_jNS0_17counting_iteratorIjlEEPS9_SE_NS0_5tupleIJPjSE_EEENSF_IJSE_SE_EEES9_SG_JZNS1_25segmented_radix_sort_implINS0_14default_configELb1EPKfPfPKlPlN2at6native12_GLOBAL__N_18offset_tEEE10hipError_tPvRmT1_PNSt15iterator_traitsISY_E10value_typeET2_T3_PNSZ_IS14_E10value_typeET4_jRbjT5_S1A_jjP12ihipStream_tbEUljE_EEESV_SW_SX_S14_S18_S1A_T6_T7_T9_mT8_S1C_bDpT10_ENKUlT_T0_E_clISt17integral_constantIbLb1EES1O_IbLb0EEEEDaS1K_S1L_EUlS1K_E_NS1_11comp_targetILNS1_3genE3ELNS1_11target_archE908ELNS1_3gpuE7ELNS1_3repE0EEENS1_30default_config_static_selectorELNS0_4arch9wavefront6targetE0EEEvSY_,comdat
.Lfunc_end1306:
	.size	_ZN7rocprim17ROCPRIM_400000_NS6detail17trampoline_kernelINS0_13select_configILj256ELj13ELNS0_17block_load_methodE3ELS4_3ELS4_3ELNS0_20block_scan_algorithmE0ELj4294967295EEENS1_25partition_config_selectorILNS1_17partition_subalgoE3EjNS0_10empty_typeEbEEZZNS1_14partition_implILS8_3ELb0ES6_jNS0_17counting_iteratorIjlEEPS9_SE_NS0_5tupleIJPjSE_EEENSF_IJSE_SE_EEES9_SG_JZNS1_25segmented_radix_sort_implINS0_14default_configELb1EPKfPfPKlPlN2at6native12_GLOBAL__N_18offset_tEEE10hipError_tPvRmT1_PNSt15iterator_traitsISY_E10value_typeET2_T3_PNSZ_IS14_E10value_typeET4_jRbjT5_S1A_jjP12ihipStream_tbEUljE_EEESV_SW_SX_S14_S18_S1A_T6_T7_T9_mT8_S1C_bDpT10_ENKUlT_T0_E_clISt17integral_constantIbLb1EES1O_IbLb0EEEEDaS1K_S1L_EUlS1K_E_NS1_11comp_targetILNS1_3genE3ELNS1_11target_archE908ELNS1_3gpuE7ELNS1_3repE0EEENS1_30default_config_static_selectorELNS0_4arch9wavefront6targetE0EEEvSY_, .Lfunc_end1306-_ZN7rocprim17ROCPRIM_400000_NS6detail17trampoline_kernelINS0_13select_configILj256ELj13ELNS0_17block_load_methodE3ELS4_3ELS4_3ELNS0_20block_scan_algorithmE0ELj4294967295EEENS1_25partition_config_selectorILNS1_17partition_subalgoE3EjNS0_10empty_typeEbEEZZNS1_14partition_implILS8_3ELb0ES6_jNS0_17counting_iteratorIjlEEPS9_SE_NS0_5tupleIJPjSE_EEENSF_IJSE_SE_EEES9_SG_JZNS1_25segmented_radix_sort_implINS0_14default_configELb1EPKfPfPKlPlN2at6native12_GLOBAL__N_18offset_tEEE10hipError_tPvRmT1_PNSt15iterator_traitsISY_E10value_typeET2_T3_PNSZ_IS14_E10value_typeET4_jRbjT5_S1A_jjP12ihipStream_tbEUljE_EEESV_SW_SX_S14_S18_S1A_T6_T7_T9_mT8_S1C_bDpT10_ENKUlT_T0_E_clISt17integral_constantIbLb1EES1O_IbLb0EEEEDaS1K_S1L_EUlS1K_E_NS1_11comp_targetILNS1_3genE3ELNS1_11target_archE908ELNS1_3gpuE7ELNS1_3repE0EEENS1_30default_config_static_selectorELNS0_4arch9wavefront6targetE0EEEvSY_
                                        ; -- End function
	.set _ZN7rocprim17ROCPRIM_400000_NS6detail17trampoline_kernelINS0_13select_configILj256ELj13ELNS0_17block_load_methodE3ELS4_3ELS4_3ELNS0_20block_scan_algorithmE0ELj4294967295EEENS1_25partition_config_selectorILNS1_17partition_subalgoE3EjNS0_10empty_typeEbEEZZNS1_14partition_implILS8_3ELb0ES6_jNS0_17counting_iteratorIjlEEPS9_SE_NS0_5tupleIJPjSE_EEENSF_IJSE_SE_EEES9_SG_JZNS1_25segmented_radix_sort_implINS0_14default_configELb1EPKfPfPKlPlN2at6native12_GLOBAL__N_18offset_tEEE10hipError_tPvRmT1_PNSt15iterator_traitsISY_E10value_typeET2_T3_PNSZ_IS14_E10value_typeET4_jRbjT5_S1A_jjP12ihipStream_tbEUljE_EEESV_SW_SX_S14_S18_S1A_T6_T7_T9_mT8_S1C_bDpT10_ENKUlT_T0_E_clISt17integral_constantIbLb1EES1O_IbLb0EEEEDaS1K_S1L_EUlS1K_E_NS1_11comp_targetILNS1_3genE3ELNS1_11target_archE908ELNS1_3gpuE7ELNS1_3repE0EEENS1_30default_config_static_selectorELNS0_4arch9wavefront6targetE0EEEvSY_.num_vgpr, 0
	.set _ZN7rocprim17ROCPRIM_400000_NS6detail17trampoline_kernelINS0_13select_configILj256ELj13ELNS0_17block_load_methodE3ELS4_3ELS4_3ELNS0_20block_scan_algorithmE0ELj4294967295EEENS1_25partition_config_selectorILNS1_17partition_subalgoE3EjNS0_10empty_typeEbEEZZNS1_14partition_implILS8_3ELb0ES6_jNS0_17counting_iteratorIjlEEPS9_SE_NS0_5tupleIJPjSE_EEENSF_IJSE_SE_EEES9_SG_JZNS1_25segmented_radix_sort_implINS0_14default_configELb1EPKfPfPKlPlN2at6native12_GLOBAL__N_18offset_tEEE10hipError_tPvRmT1_PNSt15iterator_traitsISY_E10value_typeET2_T3_PNSZ_IS14_E10value_typeET4_jRbjT5_S1A_jjP12ihipStream_tbEUljE_EEESV_SW_SX_S14_S18_S1A_T6_T7_T9_mT8_S1C_bDpT10_ENKUlT_T0_E_clISt17integral_constantIbLb1EES1O_IbLb0EEEEDaS1K_S1L_EUlS1K_E_NS1_11comp_targetILNS1_3genE3ELNS1_11target_archE908ELNS1_3gpuE7ELNS1_3repE0EEENS1_30default_config_static_selectorELNS0_4arch9wavefront6targetE0EEEvSY_.num_agpr, 0
	.set _ZN7rocprim17ROCPRIM_400000_NS6detail17trampoline_kernelINS0_13select_configILj256ELj13ELNS0_17block_load_methodE3ELS4_3ELS4_3ELNS0_20block_scan_algorithmE0ELj4294967295EEENS1_25partition_config_selectorILNS1_17partition_subalgoE3EjNS0_10empty_typeEbEEZZNS1_14partition_implILS8_3ELb0ES6_jNS0_17counting_iteratorIjlEEPS9_SE_NS0_5tupleIJPjSE_EEENSF_IJSE_SE_EEES9_SG_JZNS1_25segmented_radix_sort_implINS0_14default_configELb1EPKfPfPKlPlN2at6native12_GLOBAL__N_18offset_tEEE10hipError_tPvRmT1_PNSt15iterator_traitsISY_E10value_typeET2_T3_PNSZ_IS14_E10value_typeET4_jRbjT5_S1A_jjP12ihipStream_tbEUljE_EEESV_SW_SX_S14_S18_S1A_T6_T7_T9_mT8_S1C_bDpT10_ENKUlT_T0_E_clISt17integral_constantIbLb1EES1O_IbLb0EEEEDaS1K_S1L_EUlS1K_E_NS1_11comp_targetILNS1_3genE3ELNS1_11target_archE908ELNS1_3gpuE7ELNS1_3repE0EEENS1_30default_config_static_selectorELNS0_4arch9wavefront6targetE0EEEvSY_.numbered_sgpr, 0
	.set _ZN7rocprim17ROCPRIM_400000_NS6detail17trampoline_kernelINS0_13select_configILj256ELj13ELNS0_17block_load_methodE3ELS4_3ELS4_3ELNS0_20block_scan_algorithmE0ELj4294967295EEENS1_25partition_config_selectorILNS1_17partition_subalgoE3EjNS0_10empty_typeEbEEZZNS1_14partition_implILS8_3ELb0ES6_jNS0_17counting_iteratorIjlEEPS9_SE_NS0_5tupleIJPjSE_EEENSF_IJSE_SE_EEES9_SG_JZNS1_25segmented_radix_sort_implINS0_14default_configELb1EPKfPfPKlPlN2at6native12_GLOBAL__N_18offset_tEEE10hipError_tPvRmT1_PNSt15iterator_traitsISY_E10value_typeET2_T3_PNSZ_IS14_E10value_typeET4_jRbjT5_S1A_jjP12ihipStream_tbEUljE_EEESV_SW_SX_S14_S18_S1A_T6_T7_T9_mT8_S1C_bDpT10_ENKUlT_T0_E_clISt17integral_constantIbLb1EES1O_IbLb0EEEEDaS1K_S1L_EUlS1K_E_NS1_11comp_targetILNS1_3genE3ELNS1_11target_archE908ELNS1_3gpuE7ELNS1_3repE0EEENS1_30default_config_static_selectorELNS0_4arch9wavefront6targetE0EEEvSY_.num_named_barrier, 0
	.set _ZN7rocprim17ROCPRIM_400000_NS6detail17trampoline_kernelINS0_13select_configILj256ELj13ELNS0_17block_load_methodE3ELS4_3ELS4_3ELNS0_20block_scan_algorithmE0ELj4294967295EEENS1_25partition_config_selectorILNS1_17partition_subalgoE3EjNS0_10empty_typeEbEEZZNS1_14partition_implILS8_3ELb0ES6_jNS0_17counting_iteratorIjlEEPS9_SE_NS0_5tupleIJPjSE_EEENSF_IJSE_SE_EEES9_SG_JZNS1_25segmented_radix_sort_implINS0_14default_configELb1EPKfPfPKlPlN2at6native12_GLOBAL__N_18offset_tEEE10hipError_tPvRmT1_PNSt15iterator_traitsISY_E10value_typeET2_T3_PNSZ_IS14_E10value_typeET4_jRbjT5_S1A_jjP12ihipStream_tbEUljE_EEESV_SW_SX_S14_S18_S1A_T6_T7_T9_mT8_S1C_bDpT10_ENKUlT_T0_E_clISt17integral_constantIbLb1EES1O_IbLb0EEEEDaS1K_S1L_EUlS1K_E_NS1_11comp_targetILNS1_3genE3ELNS1_11target_archE908ELNS1_3gpuE7ELNS1_3repE0EEENS1_30default_config_static_selectorELNS0_4arch9wavefront6targetE0EEEvSY_.private_seg_size, 0
	.set _ZN7rocprim17ROCPRIM_400000_NS6detail17trampoline_kernelINS0_13select_configILj256ELj13ELNS0_17block_load_methodE3ELS4_3ELS4_3ELNS0_20block_scan_algorithmE0ELj4294967295EEENS1_25partition_config_selectorILNS1_17partition_subalgoE3EjNS0_10empty_typeEbEEZZNS1_14partition_implILS8_3ELb0ES6_jNS0_17counting_iteratorIjlEEPS9_SE_NS0_5tupleIJPjSE_EEENSF_IJSE_SE_EEES9_SG_JZNS1_25segmented_radix_sort_implINS0_14default_configELb1EPKfPfPKlPlN2at6native12_GLOBAL__N_18offset_tEEE10hipError_tPvRmT1_PNSt15iterator_traitsISY_E10value_typeET2_T3_PNSZ_IS14_E10value_typeET4_jRbjT5_S1A_jjP12ihipStream_tbEUljE_EEESV_SW_SX_S14_S18_S1A_T6_T7_T9_mT8_S1C_bDpT10_ENKUlT_T0_E_clISt17integral_constantIbLb1EES1O_IbLb0EEEEDaS1K_S1L_EUlS1K_E_NS1_11comp_targetILNS1_3genE3ELNS1_11target_archE908ELNS1_3gpuE7ELNS1_3repE0EEENS1_30default_config_static_selectorELNS0_4arch9wavefront6targetE0EEEvSY_.uses_vcc, 0
	.set _ZN7rocprim17ROCPRIM_400000_NS6detail17trampoline_kernelINS0_13select_configILj256ELj13ELNS0_17block_load_methodE3ELS4_3ELS4_3ELNS0_20block_scan_algorithmE0ELj4294967295EEENS1_25partition_config_selectorILNS1_17partition_subalgoE3EjNS0_10empty_typeEbEEZZNS1_14partition_implILS8_3ELb0ES6_jNS0_17counting_iteratorIjlEEPS9_SE_NS0_5tupleIJPjSE_EEENSF_IJSE_SE_EEES9_SG_JZNS1_25segmented_radix_sort_implINS0_14default_configELb1EPKfPfPKlPlN2at6native12_GLOBAL__N_18offset_tEEE10hipError_tPvRmT1_PNSt15iterator_traitsISY_E10value_typeET2_T3_PNSZ_IS14_E10value_typeET4_jRbjT5_S1A_jjP12ihipStream_tbEUljE_EEESV_SW_SX_S14_S18_S1A_T6_T7_T9_mT8_S1C_bDpT10_ENKUlT_T0_E_clISt17integral_constantIbLb1EES1O_IbLb0EEEEDaS1K_S1L_EUlS1K_E_NS1_11comp_targetILNS1_3genE3ELNS1_11target_archE908ELNS1_3gpuE7ELNS1_3repE0EEENS1_30default_config_static_selectorELNS0_4arch9wavefront6targetE0EEEvSY_.uses_flat_scratch, 0
	.set _ZN7rocprim17ROCPRIM_400000_NS6detail17trampoline_kernelINS0_13select_configILj256ELj13ELNS0_17block_load_methodE3ELS4_3ELS4_3ELNS0_20block_scan_algorithmE0ELj4294967295EEENS1_25partition_config_selectorILNS1_17partition_subalgoE3EjNS0_10empty_typeEbEEZZNS1_14partition_implILS8_3ELb0ES6_jNS0_17counting_iteratorIjlEEPS9_SE_NS0_5tupleIJPjSE_EEENSF_IJSE_SE_EEES9_SG_JZNS1_25segmented_radix_sort_implINS0_14default_configELb1EPKfPfPKlPlN2at6native12_GLOBAL__N_18offset_tEEE10hipError_tPvRmT1_PNSt15iterator_traitsISY_E10value_typeET2_T3_PNSZ_IS14_E10value_typeET4_jRbjT5_S1A_jjP12ihipStream_tbEUljE_EEESV_SW_SX_S14_S18_S1A_T6_T7_T9_mT8_S1C_bDpT10_ENKUlT_T0_E_clISt17integral_constantIbLb1EES1O_IbLb0EEEEDaS1K_S1L_EUlS1K_E_NS1_11comp_targetILNS1_3genE3ELNS1_11target_archE908ELNS1_3gpuE7ELNS1_3repE0EEENS1_30default_config_static_selectorELNS0_4arch9wavefront6targetE0EEEvSY_.has_dyn_sized_stack, 0
	.set _ZN7rocprim17ROCPRIM_400000_NS6detail17trampoline_kernelINS0_13select_configILj256ELj13ELNS0_17block_load_methodE3ELS4_3ELS4_3ELNS0_20block_scan_algorithmE0ELj4294967295EEENS1_25partition_config_selectorILNS1_17partition_subalgoE3EjNS0_10empty_typeEbEEZZNS1_14partition_implILS8_3ELb0ES6_jNS0_17counting_iteratorIjlEEPS9_SE_NS0_5tupleIJPjSE_EEENSF_IJSE_SE_EEES9_SG_JZNS1_25segmented_radix_sort_implINS0_14default_configELb1EPKfPfPKlPlN2at6native12_GLOBAL__N_18offset_tEEE10hipError_tPvRmT1_PNSt15iterator_traitsISY_E10value_typeET2_T3_PNSZ_IS14_E10value_typeET4_jRbjT5_S1A_jjP12ihipStream_tbEUljE_EEESV_SW_SX_S14_S18_S1A_T6_T7_T9_mT8_S1C_bDpT10_ENKUlT_T0_E_clISt17integral_constantIbLb1EES1O_IbLb0EEEEDaS1K_S1L_EUlS1K_E_NS1_11comp_targetILNS1_3genE3ELNS1_11target_archE908ELNS1_3gpuE7ELNS1_3repE0EEENS1_30default_config_static_selectorELNS0_4arch9wavefront6targetE0EEEvSY_.has_recursion, 0
	.set _ZN7rocprim17ROCPRIM_400000_NS6detail17trampoline_kernelINS0_13select_configILj256ELj13ELNS0_17block_load_methodE3ELS4_3ELS4_3ELNS0_20block_scan_algorithmE0ELj4294967295EEENS1_25partition_config_selectorILNS1_17partition_subalgoE3EjNS0_10empty_typeEbEEZZNS1_14partition_implILS8_3ELb0ES6_jNS0_17counting_iteratorIjlEEPS9_SE_NS0_5tupleIJPjSE_EEENSF_IJSE_SE_EEES9_SG_JZNS1_25segmented_radix_sort_implINS0_14default_configELb1EPKfPfPKlPlN2at6native12_GLOBAL__N_18offset_tEEE10hipError_tPvRmT1_PNSt15iterator_traitsISY_E10value_typeET2_T3_PNSZ_IS14_E10value_typeET4_jRbjT5_S1A_jjP12ihipStream_tbEUljE_EEESV_SW_SX_S14_S18_S1A_T6_T7_T9_mT8_S1C_bDpT10_ENKUlT_T0_E_clISt17integral_constantIbLb1EES1O_IbLb0EEEEDaS1K_S1L_EUlS1K_E_NS1_11comp_targetILNS1_3genE3ELNS1_11target_archE908ELNS1_3gpuE7ELNS1_3repE0EEENS1_30default_config_static_selectorELNS0_4arch9wavefront6targetE0EEEvSY_.has_indirect_call, 0
	.section	.AMDGPU.csdata,"",@progbits
; Kernel info:
; codeLenInByte = 0
; TotalNumSgprs: 0
; NumVgprs: 0
; ScratchSize: 0
; MemoryBound: 0
; FloatMode: 240
; IeeeMode: 1
; LDSByteSize: 0 bytes/workgroup (compile time only)
; SGPRBlocks: 0
; VGPRBlocks: 0
; NumSGPRsForWavesPerEU: 1
; NumVGPRsForWavesPerEU: 1
; NamedBarCnt: 0
; Occupancy: 16
; WaveLimiterHint : 0
; COMPUTE_PGM_RSRC2:SCRATCH_EN: 0
; COMPUTE_PGM_RSRC2:USER_SGPR: 2
; COMPUTE_PGM_RSRC2:TRAP_HANDLER: 0
; COMPUTE_PGM_RSRC2:TGID_X_EN: 1
; COMPUTE_PGM_RSRC2:TGID_Y_EN: 0
; COMPUTE_PGM_RSRC2:TGID_Z_EN: 0
; COMPUTE_PGM_RSRC2:TIDIG_COMP_CNT: 0
	.section	.text._ZN7rocprim17ROCPRIM_400000_NS6detail17trampoline_kernelINS0_13select_configILj256ELj13ELNS0_17block_load_methodE3ELS4_3ELS4_3ELNS0_20block_scan_algorithmE0ELj4294967295EEENS1_25partition_config_selectorILNS1_17partition_subalgoE3EjNS0_10empty_typeEbEEZZNS1_14partition_implILS8_3ELb0ES6_jNS0_17counting_iteratorIjlEEPS9_SE_NS0_5tupleIJPjSE_EEENSF_IJSE_SE_EEES9_SG_JZNS1_25segmented_radix_sort_implINS0_14default_configELb1EPKfPfPKlPlN2at6native12_GLOBAL__N_18offset_tEEE10hipError_tPvRmT1_PNSt15iterator_traitsISY_E10value_typeET2_T3_PNSZ_IS14_E10value_typeET4_jRbjT5_S1A_jjP12ihipStream_tbEUljE_EEESV_SW_SX_S14_S18_S1A_T6_T7_T9_mT8_S1C_bDpT10_ENKUlT_T0_E_clISt17integral_constantIbLb1EES1O_IbLb0EEEEDaS1K_S1L_EUlS1K_E_NS1_11comp_targetILNS1_3genE2ELNS1_11target_archE906ELNS1_3gpuE6ELNS1_3repE0EEENS1_30default_config_static_selectorELNS0_4arch9wavefront6targetE0EEEvSY_,"axG",@progbits,_ZN7rocprim17ROCPRIM_400000_NS6detail17trampoline_kernelINS0_13select_configILj256ELj13ELNS0_17block_load_methodE3ELS4_3ELS4_3ELNS0_20block_scan_algorithmE0ELj4294967295EEENS1_25partition_config_selectorILNS1_17partition_subalgoE3EjNS0_10empty_typeEbEEZZNS1_14partition_implILS8_3ELb0ES6_jNS0_17counting_iteratorIjlEEPS9_SE_NS0_5tupleIJPjSE_EEENSF_IJSE_SE_EEES9_SG_JZNS1_25segmented_radix_sort_implINS0_14default_configELb1EPKfPfPKlPlN2at6native12_GLOBAL__N_18offset_tEEE10hipError_tPvRmT1_PNSt15iterator_traitsISY_E10value_typeET2_T3_PNSZ_IS14_E10value_typeET4_jRbjT5_S1A_jjP12ihipStream_tbEUljE_EEESV_SW_SX_S14_S18_S1A_T6_T7_T9_mT8_S1C_bDpT10_ENKUlT_T0_E_clISt17integral_constantIbLb1EES1O_IbLb0EEEEDaS1K_S1L_EUlS1K_E_NS1_11comp_targetILNS1_3genE2ELNS1_11target_archE906ELNS1_3gpuE6ELNS1_3repE0EEENS1_30default_config_static_selectorELNS0_4arch9wavefront6targetE0EEEvSY_,comdat
	.globl	_ZN7rocprim17ROCPRIM_400000_NS6detail17trampoline_kernelINS0_13select_configILj256ELj13ELNS0_17block_load_methodE3ELS4_3ELS4_3ELNS0_20block_scan_algorithmE0ELj4294967295EEENS1_25partition_config_selectorILNS1_17partition_subalgoE3EjNS0_10empty_typeEbEEZZNS1_14partition_implILS8_3ELb0ES6_jNS0_17counting_iteratorIjlEEPS9_SE_NS0_5tupleIJPjSE_EEENSF_IJSE_SE_EEES9_SG_JZNS1_25segmented_radix_sort_implINS0_14default_configELb1EPKfPfPKlPlN2at6native12_GLOBAL__N_18offset_tEEE10hipError_tPvRmT1_PNSt15iterator_traitsISY_E10value_typeET2_T3_PNSZ_IS14_E10value_typeET4_jRbjT5_S1A_jjP12ihipStream_tbEUljE_EEESV_SW_SX_S14_S18_S1A_T6_T7_T9_mT8_S1C_bDpT10_ENKUlT_T0_E_clISt17integral_constantIbLb1EES1O_IbLb0EEEEDaS1K_S1L_EUlS1K_E_NS1_11comp_targetILNS1_3genE2ELNS1_11target_archE906ELNS1_3gpuE6ELNS1_3repE0EEENS1_30default_config_static_selectorELNS0_4arch9wavefront6targetE0EEEvSY_ ; -- Begin function _ZN7rocprim17ROCPRIM_400000_NS6detail17trampoline_kernelINS0_13select_configILj256ELj13ELNS0_17block_load_methodE3ELS4_3ELS4_3ELNS0_20block_scan_algorithmE0ELj4294967295EEENS1_25partition_config_selectorILNS1_17partition_subalgoE3EjNS0_10empty_typeEbEEZZNS1_14partition_implILS8_3ELb0ES6_jNS0_17counting_iteratorIjlEEPS9_SE_NS0_5tupleIJPjSE_EEENSF_IJSE_SE_EEES9_SG_JZNS1_25segmented_radix_sort_implINS0_14default_configELb1EPKfPfPKlPlN2at6native12_GLOBAL__N_18offset_tEEE10hipError_tPvRmT1_PNSt15iterator_traitsISY_E10value_typeET2_T3_PNSZ_IS14_E10value_typeET4_jRbjT5_S1A_jjP12ihipStream_tbEUljE_EEESV_SW_SX_S14_S18_S1A_T6_T7_T9_mT8_S1C_bDpT10_ENKUlT_T0_E_clISt17integral_constantIbLb1EES1O_IbLb0EEEEDaS1K_S1L_EUlS1K_E_NS1_11comp_targetILNS1_3genE2ELNS1_11target_archE906ELNS1_3gpuE6ELNS1_3repE0EEENS1_30default_config_static_selectorELNS0_4arch9wavefront6targetE0EEEvSY_
	.p2align	8
	.type	_ZN7rocprim17ROCPRIM_400000_NS6detail17trampoline_kernelINS0_13select_configILj256ELj13ELNS0_17block_load_methodE3ELS4_3ELS4_3ELNS0_20block_scan_algorithmE0ELj4294967295EEENS1_25partition_config_selectorILNS1_17partition_subalgoE3EjNS0_10empty_typeEbEEZZNS1_14partition_implILS8_3ELb0ES6_jNS0_17counting_iteratorIjlEEPS9_SE_NS0_5tupleIJPjSE_EEENSF_IJSE_SE_EEES9_SG_JZNS1_25segmented_radix_sort_implINS0_14default_configELb1EPKfPfPKlPlN2at6native12_GLOBAL__N_18offset_tEEE10hipError_tPvRmT1_PNSt15iterator_traitsISY_E10value_typeET2_T3_PNSZ_IS14_E10value_typeET4_jRbjT5_S1A_jjP12ihipStream_tbEUljE_EEESV_SW_SX_S14_S18_S1A_T6_T7_T9_mT8_S1C_bDpT10_ENKUlT_T0_E_clISt17integral_constantIbLb1EES1O_IbLb0EEEEDaS1K_S1L_EUlS1K_E_NS1_11comp_targetILNS1_3genE2ELNS1_11target_archE906ELNS1_3gpuE6ELNS1_3repE0EEENS1_30default_config_static_selectorELNS0_4arch9wavefront6targetE0EEEvSY_,@function
_ZN7rocprim17ROCPRIM_400000_NS6detail17trampoline_kernelINS0_13select_configILj256ELj13ELNS0_17block_load_methodE3ELS4_3ELS4_3ELNS0_20block_scan_algorithmE0ELj4294967295EEENS1_25partition_config_selectorILNS1_17partition_subalgoE3EjNS0_10empty_typeEbEEZZNS1_14partition_implILS8_3ELb0ES6_jNS0_17counting_iteratorIjlEEPS9_SE_NS0_5tupleIJPjSE_EEENSF_IJSE_SE_EEES9_SG_JZNS1_25segmented_radix_sort_implINS0_14default_configELb1EPKfPfPKlPlN2at6native12_GLOBAL__N_18offset_tEEE10hipError_tPvRmT1_PNSt15iterator_traitsISY_E10value_typeET2_T3_PNSZ_IS14_E10value_typeET4_jRbjT5_S1A_jjP12ihipStream_tbEUljE_EEESV_SW_SX_S14_S18_S1A_T6_T7_T9_mT8_S1C_bDpT10_ENKUlT_T0_E_clISt17integral_constantIbLb1EES1O_IbLb0EEEEDaS1K_S1L_EUlS1K_E_NS1_11comp_targetILNS1_3genE2ELNS1_11target_archE906ELNS1_3gpuE6ELNS1_3repE0EEENS1_30default_config_static_selectorELNS0_4arch9wavefront6targetE0EEEvSY_: ; @_ZN7rocprim17ROCPRIM_400000_NS6detail17trampoline_kernelINS0_13select_configILj256ELj13ELNS0_17block_load_methodE3ELS4_3ELS4_3ELNS0_20block_scan_algorithmE0ELj4294967295EEENS1_25partition_config_selectorILNS1_17partition_subalgoE3EjNS0_10empty_typeEbEEZZNS1_14partition_implILS8_3ELb0ES6_jNS0_17counting_iteratorIjlEEPS9_SE_NS0_5tupleIJPjSE_EEENSF_IJSE_SE_EEES9_SG_JZNS1_25segmented_radix_sort_implINS0_14default_configELb1EPKfPfPKlPlN2at6native12_GLOBAL__N_18offset_tEEE10hipError_tPvRmT1_PNSt15iterator_traitsISY_E10value_typeET2_T3_PNSZ_IS14_E10value_typeET4_jRbjT5_S1A_jjP12ihipStream_tbEUljE_EEESV_SW_SX_S14_S18_S1A_T6_T7_T9_mT8_S1C_bDpT10_ENKUlT_T0_E_clISt17integral_constantIbLb1EES1O_IbLb0EEEEDaS1K_S1L_EUlS1K_E_NS1_11comp_targetILNS1_3genE2ELNS1_11target_archE906ELNS1_3gpuE6ELNS1_3repE0EEENS1_30default_config_static_selectorELNS0_4arch9wavefront6targetE0EEEvSY_
; %bb.0:
	.section	.rodata,"a",@progbits
	.p2align	6, 0x0
	.amdhsa_kernel _ZN7rocprim17ROCPRIM_400000_NS6detail17trampoline_kernelINS0_13select_configILj256ELj13ELNS0_17block_load_methodE3ELS4_3ELS4_3ELNS0_20block_scan_algorithmE0ELj4294967295EEENS1_25partition_config_selectorILNS1_17partition_subalgoE3EjNS0_10empty_typeEbEEZZNS1_14partition_implILS8_3ELb0ES6_jNS0_17counting_iteratorIjlEEPS9_SE_NS0_5tupleIJPjSE_EEENSF_IJSE_SE_EEES9_SG_JZNS1_25segmented_radix_sort_implINS0_14default_configELb1EPKfPfPKlPlN2at6native12_GLOBAL__N_18offset_tEEE10hipError_tPvRmT1_PNSt15iterator_traitsISY_E10value_typeET2_T3_PNSZ_IS14_E10value_typeET4_jRbjT5_S1A_jjP12ihipStream_tbEUljE_EEESV_SW_SX_S14_S18_S1A_T6_T7_T9_mT8_S1C_bDpT10_ENKUlT_T0_E_clISt17integral_constantIbLb1EES1O_IbLb0EEEEDaS1K_S1L_EUlS1K_E_NS1_11comp_targetILNS1_3genE2ELNS1_11target_archE906ELNS1_3gpuE6ELNS1_3repE0EEENS1_30default_config_static_selectorELNS0_4arch9wavefront6targetE0EEEvSY_
		.amdhsa_group_segment_fixed_size 0
		.amdhsa_private_segment_fixed_size 0
		.amdhsa_kernarg_size 144
		.amdhsa_user_sgpr_count 2
		.amdhsa_user_sgpr_dispatch_ptr 0
		.amdhsa_user_sgpr_queue_ptr 0
		.amdhsa_user_sgpr_kernarg_segment_ptr 1
		.amdhsa_user_sgpr_dispatch_id 0
		.amdhsa_user_sgpr_kernarg_preload_length 0
		.amdhsa_user_sgpr_kernarg_preload_offset 0
		.amdhsa_user_sgpr_private_segment_size 0
		.amdhsa_wavefront_size32 1
		.amdhsa_uses_dynamic_stack 0
		.amdhsa_enable_private_segment 0
		.amdhsa_system_sgpr_workgroup_id_x 1
		.amdhsa_system_sgpr_workgroup_id_y 0
		.amdhsa_system_sgpr_workgroup_id_z 0
		.amdhsa_system_sgpr_workgroup_info 0
		.amdhsa_system_vgpr_workitem_id 0
		.amdhsa_next_free_vgpr 1
		.amdhsa_next_free_sgpr 1
		.amdhsa_named_barrier_count 0
		.amdhsa_reserve_vcc 0
		.amdhsa_float_round_mode_32 0
		.amdhsa_float_round_mode_16_64 0
		.amdhsa_float_denorm_mode_32 3
		.amdhsa_float_denorm_mode_16_64 3
		.amdhsa_fp16_overflow 0
		.amdhsa_memory_ordered 1
		.amdhsa_forward_progress 1
		.amdhsa_inst_pref_size 0
		.amdhsa_round_robin_scheduling 0
		.amdhsa_exception_fp_ieee_invalid_op 0
		.amdhsa_exception_fp_denorm_src 0
		.amdhsa_exception_fp_ieee_div_zero 0
		.amdhsa_exception_fp_ieee_overflow 0
		.amdhsa_exception_fp_ieee_underflow 0
		.amdhsa_exception_fp_ieee_inexact 0
		.amdhsa_exception_int_div_zero 0
	.end_amdhsa_kernel
	.section	.text._ZN7rocprim17ROCPRIM_400000_NS6detail17trampoline_kernelINS0_13select_configILj256ELj13ELNS0_17block_load_methodE3ELS4_3ELS4_3ELNS0_20block_scan_algorithmE0ELj4294967295EEENS1_25partition_config_selectorILNS1_17partition_subalgoE3EjNS0_10empty_typeEbEEZZNS1_14partition_implILS8_3ELb0ES6_jNS0_17counting_iteratorIjlEEPS9_SE_NS0_5tupleIJPjSE_EEENSF_IJSE_SE_EEES9_SG_JZNS1_25segmented_radix_sort_implINS0_14default_configELb1EPKfPfPKlPlN2at6native12_GLOBAL__N_18offset_tEEE10hipError_tPvRmT1_PNSt15iterator_traitsISY_E10value_typeET2_T3_PNSZ_IS14_E10value_typeET4_jRbjT5_S1A_jjP12ihipStream_tbEUljE_EEESV_SW_SX_S14_S18_S1A_T6_T7_T9_mT8_S1C_bDpT10_ENKUlT_T0_E_clISt17integral_constantIbLb1EES1O_IbLb0EEEEDaS1K_S1L_EUlS1K_E_NS1_11comp_targetILNS1_3genE2ELNS1_11target_archE906ELNS1_3gpuE6ELNS1_3repE0EEENS1_30default_config_static_selectorELNS0_4arch9wavefront6targetE0EEEvSY_,"axG",@progbits,_ZN7rocprim17ROCPRIM_400000_NS6detail17trampoline_kernelINS0_13select_configILj256ELj13ELNS0_17block_load_methodE3ELS4_3ELS4_3ELNS0_20block_scan_algorithmE0ELj4294967295EEENS1_25partition_config_selectorILNS1_17partition_subalgoE3EjNS0_10empty_typeEbEEZZNS1_14partition_implILS8_3ELb0ES6_jNS0_17counting_iteratorIjlEEPS9_SE_NS0_5tupleIJPjSE_EEENSF_IJSE_SE_EEES9_SG_JZNS1_25segmented_radix_sort_implINS0_14default_configELb1EPKfPfPKlPlN2at6native12_GLOBAL__N_18offset_tEEE10hipError_tPvRmT1_PNSt15iterator_traitsISY_E10value_typeET2_T3_PNSZ_IS14_E10value_typeET4_jRbjT5_S1A_jjP12ihipStream_tbEUljE_EEESV_SW_SX_S14_S18_S1A_T6_T7_T9_mT8_S1C_bDpT10_ENKUlT_T0_E_clISt17integral_constantIbLb1EES1O_IbLb0EEEEDaS1K_S1L_EUlS1K_E_NS1_11comp_targetILNS1_3genE2ELNS1_11target_archE906ELNS1_3gpuE6ELNS1_3repE0EEENS1_30default_config_static_selectorELNS0_4arch9wavefront6targetE0EEEvSY_,comdat
.Lfunc_end1307:
	.size	_ZN7rocprim17ROCPRIM_400000_NS6detail17trampoline_kernelINS0_13select_configILj256ELj13ELNS0_17block_load_methodE3ELS4_3ELS4_3ELNS0_20block_scan_algorithmE0ELj4294967295EEENS1_25partition_config_selectorILNS1_17partition_subalgoE3EjNS0_10empty_typeEbEEZZNS1_14partition_implILS8_3ELb0ES6_jNS0_17counting_iteratorIjlEEPS9_SE_NS0_5tupleIJPjSE_EEENSF_IJSE_SE_EEES9_SG_JZNS1_25segmented_radix_sort_implINS0_14default_configELb1EPKfPfPKlPlN2at6native12_GLOBAL__N_18offset_tEEE10hipError_tPvRmT1_PNSt15iterator_traitsISY_E10value_typeET2_T3_PNSZ_IS14_E10value_typeET4_jRbjT5_S1A_jjP12ihipStream_tbEUljE_EEESV_SW_SX_S14_S18_S1A_T6_T7_T9_mT8_S1C_bDpT10_ENKUlT_T0_E_clISt17integral_constantIbLb1EES1O_IbLb0EEEEDaS1K_S1L_EUlS1K_E_NS1_11comp_targetILNS1_3genE2ELNS1_11target_archE906ELNS1_3gpuE6ELNS1_3repE0EEENS1_30default_config_static_selectorELNS0_4arch9wavefront6targetE0EEEvSY_, .Lfunc_end1307-_ZN7rocprim17ROCPRIM_400000_NS6detail17trampoline_kernelINS0_13select_configILj256ELj13ELNS0_17block_load_methodE3ELS4_3ELS4_3ELNS0_20block_scan_algorithmE0ELj4294967295EEENS1_25partition_config_selectorILNS1_17partition_subalgoE3EjNS0_10empty_typeEbEEZZNS1_14partition_implILS8_3ELb0ES6_jNS0_17counting_iteratorIjlEEPS9_SE_NS0_5tupleIJPjSE_EEENSF_IJSE_SE_EEES9_SG_JZNS1_25segmented_radix_sort_implINS0_14default_configELb1EPKfPfPKlPlN2at6native12_GLOBAL__N_18offset_tEEE10hipError_tPvRmT1_PNSt15iterator_traitsISY_E10value_typeET2_T3_PNSZ_IS14_E10value_typeET4_jRbjT5_S1A_jjP12ihipStream_tbEUljE_EEESV_SW_SX_S14_S18_S1A_T6_T7_T9_mT8_S1C_bDpT10_ENKUlT_T0_E_clISt17integral_constantIbLb1EES1O_IbLb0EEEEDaS1K_S1L_EUlS1K_E_NS1_11comp_targetILNS1_3genE2ELNS1_11target_archE906ELNS1_3gpuE6ELNS1_3repE0EEENS1_30default_config_static_selectorELNS0_4arch9wavefront6targetE0EEEvSY_
                                        ; -- End function
	.set _ZN7rocprim17ROCPRIM_400000_NS6detail17trampoline_kernelINS0_13select_configILj256ELj13ELNS0_17block_load_methodE3ELS4_3ELS4_3ELNS0_20block_scan_algorithmE0ELj4294967295EEENS1_25partition_config_selectorILNS1_17partition_subalgoE3EjNS0_10empty_typeEbEEZZNS1_14partition_implILS8_3ELb0ES6_jNS0_17counting_iteratorIjlEEPS9_SE_NS0_5tupleIJPjSE_EEENSF_IJSE_SE_EEES9_SG_JZNS1_25segmented_radix_sort_implINS0_14default_configELb1EPKfPfPKlPlN2at6native12_GLOBAL__N_18offset_tEEE10hipError_tPvRmT1_PNSt15iterator_traitsISY_E10value_typeET2_T3_PNSZ_IS14_E10value_typeET4_jRbjT5_S1A_jjP12ihipStream_tbEUljE_EEESV_SW_SX_S14_S18_S1A_T6_T7_T9_mT8_S1C_bDpT10_ENKUlT_T0_E_clISt17integral_constantIbLb1EES1O_IbLb0EEEEDaS1K_S1L_EUlS1K_E_NS1_11comp_targetILNS1_3genE2ELNS1_11target_archE906ELNS1_3gpuE6ELNS1_3repE0EEENS1_30default_config_static_selectorELNS0_4arch9wavefront6targetE0EEEvSY_.num_vgpr, 0
	.set _ZN7rocprim17ROCPRIM_400000_NS6detail17trampoline_kernelINS0_13select_configILj256ELj13ELNS0_17block_load_methodE3ELS4_3ELS4_3ELNS0_20block_scan_algorithmE0ELj4294967295EEENS1_25partition_config_selectorILNS1_17partition_subalgoE3EjNS0_10empty_typeEbEEZZNS1_14partition_implILS8_3ELb0ES6_jNS0_17counting_iteratorIjlEEPS9_SE_NS0_5tupleIJPjSE_EEENSF_IJSE_SE_EEES9_SG_JZNS1_25segmented_radix_sort_implINS0_14default_configELb1EPKfPfPKlPlN2at6native12_GLOBAL__N_18offset_tEEE10hipError_tPvRmT1_PNSt15iterator_traitsISY_E10value_typeET2_T3_PNSZ_IS14_E10value_typeET4_jRbjT5_S1A_jjP12ihipStream_tbEUljE_EEESV_SW_SX_S14_S18_S1A_T6_T7_T9_mT8_S1C_bDpT10_ENKUlT_T0_E_clISt17integral_constantIbLb1EES1O_IbLb0EEEEDaS1K_S1L_EUlS1K_E_NS1_11comp_targetILNS1_3genE2ELNS1_11target_archE906ELNS1_3gpuE6ELNS1_3repE0EEENS1_30default_config_static_selectorELNS0_4arch9wavefront6targetE0EEEvSY_.num_agpr, 0
	.set _ZN7rocprim17ROCPRIM_400000_NS6detail17trampoline_kernelINS0_13select_configILj256ELj13ELNS0_17block_load_methodE3ELS4_3ELS4_3ELNS0_20block_scan_algorithmE0ELj4294967295EEENS1_25partition_config_selectorILNS1_17partition_subalgoE3EjNS0_10empty_typeEbEEZZNS1_14partition_implILS8_3ELb0ES6_jNS0_17counting_iteratorIjlEEPS9_SE_NS0_5tupleIJPjSE_EEENSF_IJSE_SE_EEES9_SG_JZNS1_25segmented_radix_sort_implINS0_14default_configELb1EPKfPfPKlPlN2at6native12_GLOBAL__N_18offset_tEEE10hipError_tPvRmT1_PNSt15iterator_traitsISY_E10value_typeET2_T3_PNSZ_IS14_E10value_typeET4_jRbjT5_S1A_jjP12ihipStream_tbEUljE_EEESV_SW_SX_S14_S18_S1A_T6_T7_T9_mT8_S1C_bDpT10_ENKUlT_T0_E_clISt17integral_constantIbLb1EES1O_IbLb0EEEEDaS1K_S1L_EUlS1K_E_NS1_11comp_targetILNS1_3genE2ELNS1_11target_archE906ELNS1_3gpuE6ELNS1_3repE0EEENS1_30default_config_static_selectorELNS0_4arch9wavefront6targetE0EEEvSY_.numbered_sgpr, 0
	.set _ZN7rocprim17ROCPRIM_400000_NS6detail17trampoline_kernelINS0_13select_configILj256ELj13ELNS0_17block_load_methodE3ELS4_3ELS4_3ELNS0_20block_scan_algorithmE0ELj4294967295EEENS1_25partition_config_selectorILNS1_17partition_subalgoE3EjNS0_10empty_typeEbEEZZNS1_14partition_implILS8_3ELb0ES6_jNS0_17counting_iteratorIjlEEPS9_SE_NS0_5tupleIJPjSE_EEENSF_IJSE_SE_EEES9_SG_JZNS1_25segmented_radix_sort_implINS0_14default_configELb1EPKfPfPKlPlN2at6native12_GLOBAL__N_18offset_tEEE10hipError_tPvRmT1_PNSt15iterator_traitsISY_E10value_typeET2_T3_PNSZ_IS14_E10value_typeET4_jRbjT5_S1A_jjP12ihipStream_tbEUljE_EEESV_SW_SX_S14_S18_S1A_T6_T7_T9_mT8_S1C_bDpT10_ENKUlT_T0_E_clISt17integral_constantIbLb1EES1O_IbLb0EEEEDaS1K_S1L_EUlS1K_E_NS1_11comp_targetILNS1_3genE2ELNS1_11target_archE906ELNS1_3gpuE6ELNS1_3repE0EEENS1_30default_config_static_selectorELNS0_4arch9wavefront6targetE0EEEvSY_.num_named_barrier, 0
	.set _ZN7rocprim17ROCPRIM_400000_NS6detail17trampoline_kernelINS0_13select_configILj256ELj13ELNS0_17block_load_methodE3ELS4_3ELS4_3ELNS0_20block_scan_algorithmE0ELj4294967295EEENS1_25partition_config_selectorILNS1_17partition_subalgoE3EjNS0_10empty_typeEbEEZZNS1_14partition_implILS8_3ELb0ES6_jNS0_17counting_iteratorIjlEEPS9_SE_NS0_5tupleIJPjSE_EEENSF_IJSE_SE_EEES9_SG_JZNS1_25segmented_radix_sort_implINS0_14default_configELb1EPKfPfPKlPlN2at6native12_GLOBAL__N_18offset_tEEE10hipError_tPvRmT1_PNSt15iterator_traitsISY_E10value_typeET2_T3_PNSZ_IS14_E10value_typeET4_jRbjT5_S1A_jjP12ihipStream_tbEUljE_EEESV_SW_SX_S14_S18_S1A_T6_T7_T9_mT8_S1C_bDpT10_ENKUlT_T0_E_clISt17integral_constantIbLb1EES1O_IbLb0EEEEDaS1K_S1L_EUlS1K_E_NS1_11comp_targetILNS1_3genE2ELNS1_11target_archE906ELNS1_3gpuE6ELNS1_3repE0EEENS1_30default_config_static_selectorELNS0_4arch9wavefront6targetE0EEEvSY_.private_seg_size, 0
	.set _ZN7rocprim17ROCPRIM_400000_NS6detail17trampoline_kernelINS0_13select_configILj256ELj13ELNS0_17block_load_methodE3ELS4_3ELS4_3ELNS0_20block_scan_algorithmE0ELj4294967295EEENS1_25partition_config_selectorILNS1_17partition_subalgoE3EjNS0_10empty_typeEbEEZZNS1_14partition_implILS8_3ELb0ES6_jNS0_17counting_iteratorIjlEEPS9_SE_NS0_5tupleIJPjSE_EEENSF_IJSE_SE_EEES9_SG_JZNS1_25segmented_radix_sort_implINS0_14default_configELb1EPKfPfPKlPlN2at6native12_GLOBAL__N_18offset_tEEE10hipError_tPvRmT1_PNSt15iterator_traitsISY_E10value_typeET2_T3_PNSZ_IS14_E10value_typeET4_jRbjT5_S1A_jjP12ihipStream_tbEUljE_EEESV_SW_SX_S14_S18_S1A_T6_T7_T9_mT8_S1C_bDpT10_ENKUlT_T0_E_clISt17integral_constantIbLb1EES1O_IbLb0EEEEDaS1K_S1L_EUlS1K_E_NS1_11comp_targetILNS1_3genE2ELNS1_11target_archE906ELNS1_3gpuE6ELNS1_3repE0EEENS1_30default_config_static_selectorELNS0_4arch9wavefront6targetE0EEEvSY_.uses_vcc, 0
	.set _ZN7rocprim17ROCPRIM_400000_NS6detail17trampoline_kernelINS0_13select_configILj256ELj13ELNS0_17block_load_methodE3ELS4_3ELS4_3ELNS0_20block_scan_algorithmE0ELj4294967295EEENS1_25partition_config_selectorILNS1_17partition_subalgoE3EjNS0_10empty_typeEbEEZZNS1_14partition_implILS8_3ELb0ES6_jNS0_17counting_iteratorIjlEEPS9_SE_NS0_5tupleIJPjSE_EEENSF_IJSE_SE_EEES9_SG_JZNS1_25segmented_radix_sort_implINS0_14default_configELb1EPKfPfPKlPlN2at6native12_GLOBAL__N_18offset_tEEE10hipError_tPvRmT1_PNSt15iterator_traitsISY_E10value_typeET2_T3_PNSZ_IS14_E10value_typeET4_jRbjT5_S1A_jjP12ihipStream_tbEUljE_EEESV_SW_SX_S14_S18_S1A_T6_T7_T9_mT8_S1C_bDpT10_ENKUlT_T0_E_clISt17integral_constantIbLb1EES1O_IbLb0EEEEDaS1K_S1L_EUlS1K_E_NS1_11comp_targetILNS1_3genE2ELNS1_11target_archE906ELNS1_3gpuE6ELNS1_3repE0EEENS1_30default_config_static_selectorELNS0_4arch9wavefront6targetE0EEEvSY_.uses_flat_scratch, 0
	.set _ZN7rocprim17ROCPRIM_400000_NS6detail17trampoline_kernelINS0_13select_configILj256ELj13ELNS0_17block_load_methodE3ELS4_3ELS4_3ELNS0_20block_scan_algorithmE0ELj4294967295EEENS1_25partition_config_selectorILNS1_17partition_subalgoE3EjNS0_10empty_typeEbEEZZNS1_14partition_implILS8_3ELb0ES6_jNS0_17counting_iteratorIjlEEPS9_SE_NS0_5tupleIJPjSE_EEENSF_IJSE_SE_EEES9_SG_JZNS1_25segmented_radix_sort_implINS0_14default_configELb1EPKfPfPKlPlN2at6native12_GLOBAL__N_18offset_tEEE10hipError_tPvRmT1_PNSt15iterator_traitsISY_E10value_typeET2_T3_PNSZ_IS14_E10value_typeET4_jRbjT5_S1A_jjP12ihipStream_tbEUljE_EEESV_SW_SX_S14_S18_S1A_T6_T7_T9_mT8_S1C_bDpT10_ENKUlT_T0_E_clISt17integral_constantIbLb1EES1O_IbLb0EEEEDaS1K_S1L_EUlS1K_E_NS1_11comp_targetILNS1_3genE2ELNS1_11target_archE906ELNS1_3gpuE6ELNS1_3repE0EEENS1_30default_config_static_selectorELNS0_4arch9wavefront6targetE0EEEvSY_.has_dyn_sized_stack, 0
	.set _ZN7rocprim17ROCPRIM_400000_NS6detail17trampoline_kernelINS0_13select_configILj256ELj13ELNS0_17block_load_methodE3ELS4_3ELS4_3ELNS0_20block_scan_algorithmE0ELj4294967295EEENS1_25partition_config_selectorILNS1_17partition_subalgoE3EjNS0_10empty_typeEbEEZZNS1_14partition_implILS8_3ELb0ES6_jNS0_17counting_iteratorIjlEEPS9_SE_NS0_5tupleIJPjSE_EEENSF_IJSE_SE_EEES9_SG_JZNS1_25segmented_radix_sort_implINS0_14default_configELb1EPKfPfPKlPlN2at6native12_GLOBAL__N_18offset_tEEE10hipError_tPvRmT1_PNSt15iterator_traitsISY_E10value_typeET2_T3_PNSZ_IS14_E10value_typeET4_jRbjT5_S1A_jjP12ihipStream_tbEUljE_EEESV_SW_SX_S14_S18_S1A_T6_T7_T9_mT8_S1C_bDpT10_ENKUlT_T0_E_clISt17integral_constantIbLb1EES1O_IbLb0EEEEDaS1K_S1L_EUlS1K_E_NS1_11comp_targetILNS1_3genE2ELNS1_11target_archE906ELNS1_3gpuE6ELNS1_3repE0EEENS1_30default_config_static_selectorELNS0_4arch9wavefront6targetE0EEEvSY_.has_recursion, 0
	.set _ZN7rocprim17ROCPRIM_400000_NS6detail17trampoline_kernelINS0_13select_configILj256ELj13ELNS0_17block_load_methodE3ELS4_3ELS4_3ELNS0_20block_scan_algorithmE0ELj4294967295EEENS1_25partition_config_selectorILNS1_17partition_subalgoE3EjNS0_10empty_typeEbEEZZNS1_14partition_implILS8_3ELb0ES6_jNS0_17counting_iteratorIjlEEPS9_SE_NS0_5tupleIJPjSE_EEENSF_IJSE_SE_EEES9_SG_JZNS1_25segmented_radix_sort_implINS0_14default_configELb1EPKfPfPKlPlN2at6native12_GLOBAL__N_18offset_tEEE10hipError_tPvRmT1_PNSt15iterator_traitsISY_E10value_typeET2_T3_PNSZ_IS14_E10value_typeET4_jRbjT5_S1A_jjP12ihipStream_tbEUljE_EEESV_SW_SX_S14_S18_S1A_T6_T7_T9_mT8_S1C_bDpT10_ENKUlT_T0_E_clISt17integral_constantIbLb1EES1O_IbLb0EEEEDaS1K_S1L_EUlS1K_E_NS1_11comp_targetILNS1_3genE2ELNS1_11target_archE906ELNS1_3gpuE6ELNS1_3repE0EEENS1_30default_config_static_selectorELNS0_4arch9wavefront6targetE0EEEvSY_.has_indirect_call, 0
	.section	.AMDGPU.csdata,"",@progbits
; Kernel info:
; codeLenInByte = 0
; TotalNumSgprs: 0
; NumVgprs: 0
; ScratchSize: 0
; MemoryBound: 0
; FloatMode: 240
; IeeeMode: 1
; LDSByteSize: 0 bytes/workgroup (compile time only)
; SGPRBlocks: 0
; VGPRBlocks: 0
; NumSGPRsForWavesPerEU: 1
; NumVGPRsForWavesPerEU: 1
; NamedBarCnt: 0
; Occupancy: 16
; WaveLimiterHint : 0
; COMPUTE_PGM_RSRC2:SCRATCH_EN: 0
; COMPUTE_PGM_RSRC2:USER_SGPR: 2
; COMPUTE_PGM_RSRC2:TRAP_HANDLER: 0
; COMPUTE_PGM_RSRC2:TGID_X_EN: 1
; COMPUTE_PGM_RSRC2:TGID_Y_EN: 0
; COMPUTE_PGM_RSRC2:TGID_Z_EN: 0
; COMPUTE_PGM_RSRC2:TIDIG_COMP_CNT: 0
	.section	.text._ZN7rocprim17ROCPRIM_400000_NS6detail17trampoline_kernelINS0_13select_configILj256ELj13ELNS0_17block_load_methodE3ELS4_3ELS4_3ELNS0_20block_scan_algorithmE0ELj4294967295EEENS1_25partition_config_selectorILNS1_17partition_subalgoE3EjNS0_10empty_typeEbEEZZNS1_14partition_implILS8_3ELb0ES6_jNS0_17counting_iteratorIjlEEPS9_SE_NS0_5tupleIJPjSE_EEENSF_IJSE_SE_EEES9_SG_JZNS1_25segmented_radix_sort_implINS0_14default_configELb1EPKfPfPKlPlN2at6native12_GLOBAL__N_18offset_tEEE10hipError_tPvRmT1_PNSt15iterator_traitsISY_E10value_typeET2_T3_PNSZ_IS14_E10value_typeET4_jRbjT5_S1A_jjP12ihipStream_tbEUljE_EEESV_SW_SX_S14_S18_S1A_T6_T7_T9_mT8_S1C_bDpT10_ENKUlT_T0_E_clISt17integral_constantIbLb1EES1O_IbLb0EEEEDaS1K_S1L_EUlS1K_E_NS1_11comp_targetILNS1_3genE10ELNS1_11target_archE1200ELNS1_3gpuE4ELNS1_3repE0EEENS1_30default_config_static_selectorELNS0_4arch9wavefront6targetE0EEEvSY_,"axG",@progbits,_ZN7rocprim17ROCPRIM_400000_NS6detail17trampoline_kernelINS0_13select_configILj256ELj13ELNS0_17block_load_methodE3ELS4_3ELS4_3ELNS0_20block_scan_algorithmE0ELj4294967295EEENS1_25partition_config_selectorILNS1_17partition_subalgoE3EjNS0_10empty_typeEbEEZZNS1_14partition_implILS8_3ELb0ES6_jNS0_17counting_iteratorIjlEEPS9_SE_NS0_5tupleIJPjSE_EEENSF_IJSE_SE_EEES9_SG_JZNS1_25segmented_radix_sort_implINS0_14default_configELb1EPKfPfPKlPlN2at6native12_GLOBAL__N_18offset_tEEE10hipError_tPvRmT1_PNSt15iterator_traitsISY_E10value_typeET2_T3_PNSZ_IS14_E10value_typeET4_jRbjT5_S1A_jjP12ihipStream_tbEUljE_EEESV_SW_SX_S14_S18_S1A_T6_T7_T9_mT8_S1C_bDpT10_ENKUlT_T0_E_clISt17integral_constantIbLb1EES1O_IbLb0EEEEDaS1K_S1L_EUlS1K_E_NS1_11comp_targetILNS1_3genE10ELNS1_11target_archE1200ELNS1_3gpuE4ELNS1_3repE0EEENS1_30default_config_static_selectorELNS0_4arch9wavefront6targetE0EEEvSY_,comdat
	.globl	_ZN7rocprim17ROCPRIM_400000_NS6detail17trampoline_kernelINS0_13select_configILj256ELj13ELNS0_17block_load_methodE3ELS4_3ELS4_3ELNS0_20block_scan_algorithmE0ELj4294967295EEENS1_25partition_config_selectorILNS1_17partition_subalgoE3EjNS0_10empty_typeEbEEZZNS1_14partition_implILS8_3ELb0ES6_jNS0_17counting_iteratorIjlEEPS9_SE_NS0_5tupleIJPjSE_EEENSF_IJSE_SE_EEES9_SG_JZNS1_25segmented_radix_sort_implINS0_14default_configELb1EPKfPfPKlPlN2at6native12_GLOBAL__N_18offset_tEEE10hipError_tPvRmT1_PNSt15iterator_traitsISY_E10value_typeET2_T3_PNSZ_IS14_E10value_typeET4_jRbjT5_S1A_jjP12ihipStream_tbEUljE_EEESV_SW_SX_S14_S18_S1A_T6_T7_T9_mT8_S1C_bDpT10_ENKUlT_T0_E_clISt17integral_constantIbLb1EES1O_IbLb0EEEEDaS1K_S1L_EUlS1K_E_NS1_11comp_targetILNS1_3genE10ELNS1_11target_archE1200ELNS1_3gpuE4ELNS1_3repE0EEENS1_30default_config_static_selectorELNS0_4arch9wavefront6targetE0EEEvSY_ ; -- Begin function _ZN7rocprim17ROCPRIM_400000_NS6detail17trampoline_kernelINS0_13select_configILj256ELj13ELNS0_17block_load_methodE3ELS4_3ELS4_3ELNS0_20block_scan_algorithmE0ELj4294967295EEENS1_25partition_config_selectorILNS1_17partition_subalgoE3EjNS0_10empty_typeEbEEZZNS1_14partition_implILS8_3ELb0ES6_jNS0_17counting_iteratorIjlEEPS9_SE_NS0_5tupleIJPjSE_EEENSF_IJSE_SE_EEES9_SG_JZNS1_25segmented_radix_sort_implINS0_14default_configELb1EPKfPfPKlPlN2at6native12_GLOBAL__N_18offset_tEEE10hipError_tPvRmT1_PNSt15iterator_traitsISY_E10value_typeET2_T3_PNSZ_IS14_E10value_typeET4_jRbjT5_S1A_jjP12ihipStream_tbEUljE_EEESV_SW_SX_S14_S18_S1A_T6_T7_T9_mT8_S1C_bDpT10_ENKUlT_T0_E_clISt17integral_constantIbLb1EES1O_IbLb0EEEEDaS1K_S1L_EUlS1K_E_NS1_11comp_targetILNS1_3genE10ELNS1_11target_archE1200ELNS1_3gpuE4ELNS1_3repE0EEENS1_30default_config_static_selectorELNS0_4arch9wavefront6targetE0EEEvSY_
	.p2align	8
	.type	_ZN7rocprim17ROCPRIM_400000_NS6detail17trampoline_kernelINS0_13select_configILj256ELj13ELNS0_17block_load_methodE3ELS4_3ELS4_3ELNS0_20block_scan_algorithmE0ELj4294967295EEENS1_25partition_config_selectorILNS1_17partition_subalgoE3EjNS0_10empty_typeEbEEZZNS1_14partition_implILS8_3ELb0ES6_jNS0_17counting_iteratorIjlEEPS9_SE_NS0_5tupleIJPjSE_EEENSF_IJSE_SE_EEES9_SG_JZNS1_25segmented_radix_sort_implINS0_14default_configELb1EPKfPfPKlPlN2at6native12_GLOBAL__N_18offset_tEEE10hipError_tPvRmT1_PNSt15iterator_traitsISY_E10value_typeET2_T3_PNSZ_IS14_E10value_typeET4_jRbjT5_S1A_jjP12ihipStream_tbEUljE_EEESV_SW_SX_S14_S18_S1A_T6_T7_T9_mT8_S1C_bDpT10_ENKUlT_T0_E_clISt17integral_constantIbLb1EES1O_IbLb0EEEEDaS1K_S1L_EUlS1K_E_NS1_11comp_targetILNS1_3genE10ELNS1_11target_archE1200ELNS1_3gpuE4ELNS1_3repE0EEENS1_30default_config_static_selectorELNS0_4arch9wavefront6targetE0EEEvSY_,@function
_ZN7rocprim17ROCPRIM_400000_NS6detail17trampoline_kernelINS0_13select_configILj256ELj13ELNS0_17block_load_methodE3ELS4_3ELS4_3ELNS0_20block_scan_algorithmE0ELj4294967295EEENS1_25partition_config_selectorILNS1_17partition_subalgoE3EjNS0_10empty_typeEbEEZZNS1_14partition_implILS8_3ELb0ES6_jNS0_17counting_iteratorIjlEEPS9_SE_NS0_5tupleIJPjSE_EEENSF_IJSE_SE_EEES9_SG_JZNS1_25segmented_radix_sort_implINS0_14default_configELb1EPKfPfPKlPlN2at6native12_GLOBAL__N_18offset_tEEE10hipError_tPvRmT1_PNSt15iterator_traitsISY_E10value_typeET2_T3_PNSZ_IS14_E10value_typeET4_jRbjT5_S1A_jjP12ihipStream_tbEUljE_EEESV_SW_SX_S14_S18_S1A_T6_T7_T9_mT8_S1C_bDpT10_ENKUlT_T0_E_clISt17integral_constantIbLb1EES1O_IbLb0EEEEDaS1K_S1L_EUlS1K_E_NS1_11comp_targetILNS1_3genE10ELNS1_11target_archE1200ELNS1_3gpuE4ELNS1_3repE0EEENS1_30default_config_static_selectorELNS0_4arch9wavefront6targetE0EEEvSY_: ; @_ZN7rocprim17ROCPRIM_400000_NS6detail17trampoline_kernelINS0_13select_configILj256ELj13ELNS0_17block_load_methodE3ELS4_3ELS4_3ELNS0_20block_scan_algorithmE0ELj4294967295EEENS1_25partition_config_selectorILNS1_17partition_subalgoE3EjNS0_10empty_typeEbEEZZNS1_14partition_implILS8_3ELb0ES6_jNS0_17counting_iteratorIjlEEPS9_SE_NS0_5tupleIJPjSE_EEENSF_IJSE_SE_EEES9_SG_JZNS1_25segmented_radix_sort_implINS0_14default_configELb1EPKfPfPKlPlN2at6native12_GLOBAL__N_18offset_tEEE10hipError_tPvRmT1_PNSt15iterator_traitsISY_E10value_typeET2_T3_PNSZ_IS14_E10value_typeET4_jRbjT5_S1A_jjP12ihipStream_tbEUljE_EEESV_SW_SX_S14_S18_S1A_T6_T7_T9_mT8_S1C_bDpT10_ENKUlT_T0_E_clISt17integral_constantIbLb1EES1O_IbLb0EEEEDaS1K_S1L_EUlS1K_E_NS1_11comp_targetILNS1_3genE10ELNS1_11target_archE1200ELNS1_3gpuE4ELNS1_3repE0EEENS1_30default_config_static_selectorELNS0_4arch9wavefront6targetE0EEEvSY_
; %bb.0:
	.section	.rodata,"a",@progbits
	.p2align	6, 0x0
	.amdhsa_kernel _ZN7rocprim17ROCPRIM_400000_NS6detail17trampoline_kernelINS0_13select_configILj256ELj13ELNS0_17block_load_methodE3ELS4_3ELS4_3ELNS0_20block_scan_algorithmE0ELj4294967295EEENS1_25partition_config_selectorILNS1_17partition_subalgoE3EjNS0_10empty_typeEbEEZZNS1_14partition_implILS8_3ELb0ES6_jNS0_17counting_iteratorIjlEEPS9_SE_NS0_5tupleIJPjSE_EEENSF_IJSE_SE_EEES9_SG_JZNS1_25segmented_radix_sort_implINS0_14default_configELb1EPKfPfPKlPlN2at6native12_GLOBAL__N_18offset_tEEE10hipError_tPvRmT1_PNSt15iterator_traitsISY_E10value_typeET2_T3_PNSZ_IS14_E10value_typeET4_jRbjT5_S1A_jjP12ihipStream_tbEUljE_EEESV_SW_SX_S14_S18_S1A_T6_T7_T9_mT8_S1C_bDpT10_ENKUlT_T0_E_clISt17integral_constantIbLb1EES1O_IbLb0EEEEDaS1K_S1L_EUlS1K_E_NS1_11comp_targetILNS1_3genE10ELNS1_11target_archE1200ELNS1_3gpuE4ELNS1_3repE0EEENS1_30default_config_static_selectorELNS0_4arch9wavefront6targetE0EEEvSY_
		.amdhsa_group_segment_fixed_size 0
		.amdhsa_private_segment_fixed_size 0
		.amdhsa_kernarg_size 144
		.amdhsa_user_sgpr_count 2
		.amdhsa_user_sgpr_dispatch_ptr 0
		.amdhsa_user_sgpr_queue_ptr 0
		.amdhsa_user_sgpr_kernarg_segment_ptr 1
		.amdhsa_user_sgpr_dispatch_id 0
		.amdhsa_user_sgpr_kernarg_preload_length 0
		.amdhsa_user_sgpr_kernarg_preload_offset 0
		.amdhsa_user_sgpr_private_segment_size 0
		.amdhsa_wavefront_size32 1
		.amdhsa_uses_dynamic_stack 0
		.amdhsa_enable_private_segment 0
		.amdhsa_system_sgpr_workgroup_id_x 1
		.amdhsa_system_sgpr_workgroup_id_y 0
		.amdhsa_system_sgpr_workgroup_id_z 0
		.amdhsa_system_sgpr_workgroup_info 0
		.amdhsa_system_vgpr_workitem_id 0
		.amdhsa_next_free_vgpr 1
		.amdhsa_next_free_sgpr 1
		.amdhsa_named_barrier_count 0
		.amdhsa_reserve_vcc 0
		.amdhsa_float_round_mode_32 0
		.amdhsa_float_round_mode_16_64 0
		.amdhsa_float_denorm_mode_32 3
		.amdhsa_float_denorm_mode_16_64 3
		.amdhsa_fp16_overflow 0
		.amdhsa_memory_ordered 1
		.amdhsa_forward_progress 1
		.amdhsa_inst_pref_size 0
		.amdhsa_round_robin_scheduling 0
		.amdhsa_exception_fp_ieee_invalid_op 0
		.amdhsa_exception_fp_denorm_src 0
		.amdhsa_exception_fp_ieee_div_zero 0
		.amdhsa_exception_fp_ieee_overflow 0
		.amdhsa_exception_fp_ieee_underflow 0
		.amdhsa_exception_fp_ieee_inexact 0
		.amdhsa_exception_int_div_zero 0
	.end_amdhsa_kernel
	.section	.text._ZN7rocprim17ROCPRIM_400000_NS6detail17trampoline_kernelINS0_13select_configILj256ELj13ELNS0_17block_load_methodE3ELS4_3ELS4_3ELNS0_20block_scan_algorithmE0ELj4294967295EEENS1_25partition_config_selectorILNS1_17partition_subalgoE3EjNS0_10empty_typeEbEEZZNS1_14partition_implILS8_3ELb0ES6_jNS0_17counting_iteratorIjlEEPS9_SE_NS0_5tupleIJPjSE_EEENSF_IJSE_SE_EEES9_SG_JZNS1_25segmented_radix_sort_implINS0_14default_configELb1EPKfPfPKlPlN2at6native12_GLOBAL__N_18offset_tEEE10hipError_tPvRmT1_PNSt15iterator_traitsISY_E10value_typeET2_T3_PNSZ_IS14_E10value_typeET4_jRbjT5_S1A_jjP12ihipStream_tbEUljE_EEESV_SW_SX_S14_S18_S1A_T6_T7_T9_mT8_S1C_bDpT10_ENKUlT_T0_E_clISt17integral_constantIbLb1EES1O_IbLb0EEEEDaS1K_S1L_EUlS1K_E_NS1_11comp_targetILNS1_3genE10ELNS1_11target_archE1200ELNS1_3gpuE4ELNS1_3repE0EEENS1_30default_config_static_selectorELNS0_4arch9wavefront6targetE0EEEvSY_,"axG",@progbits,_ZN7rocprim17ROCPRIM_400000_NS6detail17trampoline_kernelINS0_13select_configILj256ELj13ELNS0_17block_load_methodE3ELS4_3ELS4_3ELNS0_20block_scan_algorithmE0ELj4294967295EEENS1_25partition_config_selectorILNS1_17partition_subalgoE3EjNS0_10empty_typeEbEEZZNS1_14partition_implILS8_3ELb0ES6_jNS0_17counting_iteratorIjlEEPS9_SE_NS0_5tupleIJPjSE_EEENSF_IJSE_SE_EEES9_SG_JZNS1_25segmented_radix_sort_implINS0_14default_configELb1EPKfPfPKlPlN2at6native12_GLOBAL__N_18offset_tEEE10hipError_tPvRmT1_PNSt15iterator_traitsISY_E10value_typeET2_T3_PNSZ_IS14_E10value_typeET4_jRbjT5_S1A_jjP12ihipStream_tbEUljE_EEESV_SW_SX_S14_S18_S1A_T6_T7_T9_mT8_S1C_bDpT10_ENKUlT_T0_E_clISt17integral_constantIbLb1EES1O_IbLb0EEEEDaS1K_S1L_EUlS1K_E_NS1_11comp_targetILNS1_3genE10ELNS1_11target_archE1200ELNS1_3gpuE4ELNS1_3repE0EEENS1_30default_config_static_selectorELNS0_4arch9wavefront6targetE0EEEvSY_,comdat
.Lfunc_end1308:
	.size	_ZN7rocprim17ROCPRIM_400000_NS6detail17trampoline_kernelINS0_13select_configILj256ELj13ELNS0_17block_load_methodE3ELS4_3ELS4_3ELNS0_20block_scan_algorithmE0ELj4294967295EEENS1_25partition_config_selectorILNS1_17partition_subalgoE3EjNS0_10empty_typeEbEEZZNS1_14partition_implILS8_3ELb0ES6_jNS0_17counting_iteratorIjlEEPS9_SE_NS0_5tupleIJPjSE_EEENSF_IJSE_SE_EEES9_SG_JZNS1_25segmented_radix_sort_implINS0_14default_configELb1EPKfPfPKlPlN2at6native12_GLOBAL__N_18offset_tEEE10hipError_tPvRmT1_PNSt15iterator_traitsISY_E10value_typeET2_T3_PNSZ_IS14_E10value_typeET4_jRbjT5_S1A_jjP12ihipStream_tbEUljE_EEESV_SW_SX_S14_S18_S1A_T6_T7_T9_mT8_S1C_bDpT10_ENKUlT_T0_E_clISt17integral_constantIbLb1EES1O_IbLb0EEEEDaS1K_S1L_EUlS1K_E_NS1_11comp_targetILNS1_3genE10ELNS1_11target_archE1200ELNS1_3gpuE4ELNS1_3repE0EEENS1_30default_config_static_selectorELNS0_4arch9wavefront6targetE0EEEvSY_, .Lfunc_end1308-_ZN7rocprim17ROCPRIM_400000_NS6detail17trampoline_kernelINS0_13select_configILj256ELj13ELNS0_17block_load_methodE3ELS4_3ELS4_3ELNS0_20block_scan_algorithmE0ELj4294967295EEENS1_25partition_config_selectorILNS1_17partition_subalgoE3EjNS0_10empty_typeEbEEZZNS1_14partition_implILS8_3ELb0ES6_jNS0_17counting_iteratorIjlEEPS9_SE_NS0_5tupleIJPjSE_EEENSF_IJSE_SE_EEES9_SG_JZNS1_25segmented_radix_sort_implINS0_14default_configELb1EPKfPfPKlPlN2at6native12_GLOBAL__N_18offset_tEEE10hipError_tPvRmT1_PNSt15iterator_traitsISY_E10value_typeET2_T3_PNSZ_IS14_E10value_typeET4_jRbjT5_S1A_jjP12ihipStream_tbEUljE_EEESV_SW_SX_S14_S18_S1A_T6_T7_T9_mT8_S1C_bDpT10_ENKUlT_T0_E_clISt17integral_constantIbLb1EES1O_IbLb0EEEEDaS1K_S1L_EUlS1K_E_NS1_11comp_targetILNS1_3genE10ELNS1_11target_archE1200ELNS1_3gpuE4ELNS1_3repE0EEENS1_30default_config_static_selectorELNS0_4arch9wavefront6targetE0EEEvSY_
                                        ; -- End function
	.set _ZN7rocprim17ROCPRIM_400000_NS6detail17trampoline_kernelINS0_13select_configILj256ELj13ELNS0_17block_load_methodE3ELS4_3ELS4_3ELNS0_20block_scan_algorithmE0ELj4294967295EEENS1_25partition_config_selectorILNS1_17partition_subalgoE3EjNS0_10empty_typeEbEEZZNS1_14partition_implILS8_3ELb0ES6_jNS0_17counting_iteratorIjlEEPS9_SE_NS0_5tupleIJPjSE_EEENSF_IJSE_SE_EEES9_SG_JZNS1_25segmented_radix_sort_implINS0_14default_configELb1EPKfPfPKlPlN2at6native12_GLOBAL__N_18offset_tEEE10hipError_tPvRmT1_PNSt15iterator_traitsISY_E10value_typeET2_T3_PNSZ_IS14_E10value_typeET4_jRbjT5_S1A_jjP12ihipStream_tbEUljE_EEESV_SW_SX_S14_S18_S1A_T6_T7_T9_mT8_S1C_bDpT10_ENKUlT_T0_E_clISt17integral_constantIbLb1EES1O_IbLb0EEEEDaS1K_S1L_EUlS1K_E_NS1_11comp_targetILNS1_3genE10ELNS1_11target_archE1200ELNS1_3gpuE4ELNS1_3repE0EEENS1_30default_config_static_selectorELNS0_4arch9wavefront6targetE0EEEvSY_.num_vgpr, 0
	.set _ZN7rocprim17ROCPRIM_400000_NS6detail17trampoline_kernelINS0_13select_configILj256ELj13ELNS0_17block_load_methodE3ELS4_3ELS4_3ELNS0_20block_scan_algorithmE0ELj4294967295EEENS1_25partition_config_selectorILNS1_17partition_subalgoE3EjNS0_10empty_typeEbEEZZNS1_14partition_implILS8_3ELb0ES6_jNS0_17counting_iteratorIjlEEPS9_SE_NS0_5tupleIJPjSE_EEENSF_IJSE_SE_EEES9_SG_JZNS1_25segmented_radix_sort_implINS0_14default_configELb1EPKfPfPKlPlN2at6native12_GLOBAL__N_18offset_tEEE10hipError_tPvRmT1_PNSt15iterator_traitsISY_E10value_typeET2_T3_PNSZ_IS14_E10value_typeET4_jRbjT5_S1A_jjP12ihipStream_tbEUljE_EEESV_SW_SX_S14_S18_S1A_T6_T7_T9_mT8_S1C_bDpT10_ENKUlT_T0_E_clISt17integral_constantIbLb1EES1O_IbLb0EEEEDaS1K_S1L_EUlS1K_E_NS1_11comp_targetILNS1_3genE10ELNS1_11target_archE1200ELNS1_3gpuE4ELNS1_3repE0EEENS1_30default_config_static_selectorELNS0_4arch9wavefront6targetE0EEEvSY_.num_agpr, 0
	.set _ZN7rocprim17ROCPRIM_400000_NS6detail17trampoline_kernelINS0_13select_configILj256ELj13ELNS0_17block_load_methodE3ELS4_3ELS4_3ELNS0_20block_scan_algorithmE0ELj4294967295EEENS1_25partition_config_selectorILNS1_17partition_subalgoE3EjNS0_10empty_typeEbEEZZNS1_14partition_implILS8_3ELb0ES6_jNS0_17counting_iteratorIjlEEPS9_SE_NS0_5tupleIJPjSE_EEENSF_IJSE_SE_EEES9_SG_JZNS1_25segmented_radix_sort_implINS0_14default_configELb1EPKfPfPKlPlN2at6native12_GLOBAL__N_18offset_tEEE10hipError_tPvRmT1_PNSt15iterator_traitsISY_E10value_typeET2_T3_PNSZ_IS14_E10value_typeET4_jRbjT5_S1A_jjP12ihipStream_tbEUljE_EEESV_SW_SX_S14_S18_S1A_T6_T7_T9_mT8_S1C_bDpT10_ENKUlT_T0_E_clISt17integral_constantIbLb1EES1O_IbLb0EEEEDaS1K_S1L_EUlS1K_E_NS1_11comp_targetILNS1_3genE10ELNS1_11target_archE1200ELNS1_3gpuE4ELNS1_3repE0EEENS1_30default_config_static_selectorELNS0_4arch9wavefront6targetE0EEEvSY_.numbered_sgpr, 0
	.set _ZN7rocprim17ROCPRIM_400000_NS6detail17trampoline_kernelINS0_13select_configILj256ELj13ELNS0_17block_load_methodE3ELS4_3ELS4_3ELNS0_20block_scan_algorithmE0ELj4294967295EEENS1_25partition_config_selectorILNS1_17partition_subalgoE3EjNS0_10empty_typeEbEEZZNS1_14partition_implILS8_3ELb0ES6_jNS0_17counting_iteratorIjlEEPS9_SE_NS0_5tupleIJPjSE_EEENSF_IJSE_SE_EEES9_SG_JZNS1_25segmented_radix_sort_implINS0_14default_configELb1EPKfPfPKlPlN2at6native12_GLOBAL__N_18offset_tEEE10hipError_tPvRmT1_PNSt15iterator_traitsISY_E10value_typeET2_T3_PNSZ_IS14_E10value_typeET4_jRbjT5_S1A_jjP12ihipStream_tbEUljE_EEESV_SW_SX_S14_S18_S1A_T6_T7_T9_mT8_S1C_bDpT10_ENKUlT_T0_E_clISt17integral_constantIbLb1EES1O_IbLb0EEEEDaS1K_S1L_EUlS1K_E_NS1_11comp_targetILNS1_3genE10ELNS1_11target_archE1200ELNS1_3gpuE4ELNS1_3repE0EEENS1_30default_config_static_selectorELNS0_4arch9wavefront6targetE0EEEvSY_.num_named_barrier, 0
	.set _ZN7rocprim17ROCPRIM_400000_NS6detail17trampoline_kernelINS0_13select_configILj256ELj13ELNS0_17block_load_methodE3ELS4_3ELS4_3ELNS0_20block_scan_algorithmE0ELj4294967295EEENS1_25partition_config_selectorILNS1_17partition_subalgoE3EjNS0_10empty_typeEbEEZZNS1_14partition_implILS8_3ELb0ES6_jNS0_17counting_iteratorIjlEEPS9_SE_NS0_5tupleIJPjSE_EEENSF_IJSE_SE_EEES9_SG_JZNS1_25segmented_radix_sort_implINS0_14default_configELb1EPKfPfPKlPlN2at6native12_GLOBAL__N_18offset_tEEE10hipError_tPvRmT1_PNSt15iterator_traitsISY_E10value_typeET2_T3_PNSZ_IS14_E10value_typeET4_jRbjT5_S1A_jjP12ihipStream_tbEUljE_EEESV_SW_SX_S14_S18_S1A_T6_T7_T9_mT8_S1C_bDpT10_ENKUlT_T0_E_clISt17integral_constantIbLb1EES1O_IbLb0EEEEDaS1K_S1L_EUlS1K_E_NS1_11comp_targetILNS1_3genE10ELNS1_11target_archE1200ELNS1_3gpuE4ELNS1_3repE0EEENS1_30default_config_static_selectorELNS0_4arch9wavefront6targetE0EEEvSY_.private_seg_size, 0
	.set _ZN7rocprim17ROCPRIM_400000_NS6detail17trampoline_kernelINS0_13select_configILj256ELj13ELNS0_17block_load_methodE3ELS4_3ELS4_3ELNS0_20block_scan_algorithmE0ELj4294967295EEENS1_25partition_config_selectorILNS1_17partition_subalgoE3EjNS0_10empty_typeEbEEZZNS1_14partition_implILS8_3ELb0ES6_jNS0_17counting_iteratorIjlEEPS9_SE_NS0_5tupleIJPjSE_EEENSF_IJSE_SE_EEES9_SG_JZNS1_25segmented_radix_sort_implINS0_14default_configELb1EPKfPfPKlPlN2at6native12_GLOBAL__N_18offset_tEEE10hipError_tPvRmT1_PNSt15iterator_traitsISY_E10value_typeET2_T3_PNSZ_IS14_E10value_typeET4_jRbjT5_S1A_jjP12ihipStream_tbEUljE_EEESV_SW_SX_S14_S18_S1A_T6_T7_T9_mT8_S1C_bDpT10_ENKUlT_T0_E_clISt17integral_constantIbLb1EES1O_IbLb0EEEEDaS1K_S1L_EUlS1K_E_NS1_11comp_targetILNS1_3genE10ELNS1_11target_archE1200ELNS1_3gpuE4ELNS1_3repE0EEENS1_30default_config_static_selectorELNS0_4arch9wavefront6targetE0EEEvSY_.uses_vcc, 0
	.set _ZN7rocprim17ROCPRIM_400000_NS6detail17trampoline_kernelINS0_13select_configILj256ELj13ELNS0_17block_load_methodE3ELS4_3ELS4_3ELNS0_20block_scan_algorithmE0ELj4294967295EEENS1_25partition_config_selectorILNS1_17partition_subalgoE3EjNS0_10empty_typeEbEEZZNS1_14partition_implILS8_3ELb0ES6_jNS0_17counting_iteratorIjlEEPS9_SE_NS0_5tupleIJPjSE_EEENSF_IJSE_SE_EEES9_SG_JZNS1_25segmented_radix_sort_implINS0_14default_configELb1EPKfPfPKlPlN2at6native12_GLOBAL__N_18offset_tEEE10hipError_tPvRmT1_PNSt15iterator_traitsISY_E10value_typeET2_T3_PNSZ_IS14_E10value_typeET4_jRbjT5_S1A_jjP12ihipStream_tbEUljE_EEESV_SW_SX_S14_S18_S1A_T6_T7_T9_mT8_S1C_bDpT10_ENKUlT_T0_E_clISt17integral_constantIbLb1EES1O_IbLb0EEEEDaS1K_S1L_EUlS1K_E_NS1_11comp_targetILNS1_3genE10ELNS1_11target_archE1200ELNS1_3gpuE4ELNS1_3repE0EEENS1_30default_config_static_selectorELNS0_4arch9wavefront6targetE0EEEvSY_.uses_flat_scratch, 0
	.set _ZN7rocprim17ROCPRIM_400000_NS6detail17trampoline_kernelINS0_13select_configILj256ELj13ELNS0_17block_load_methodE3ELS4_3ELS4_3ELNS0_20block_scan_algorithmE0ELj4294967295EEENS1_25partition_config_selectorILNS1_17partition_subalgoE3EjNS0_10empty_typeEbEEZZNS1_14partition_implILS8_3ELb0ES6_jNS0_17counting_iteratorIjlEEPS9_SE_NS0_5tupleIJPjSE_EEENSF_IJSE_SE_EEES9_SG_JZNS1_25segmented_radix_sort_implINS0_14default_configELb1EPKfPfPKlPlN2at6native12_GLOBAL__N_18offset_tEEE10hipError_tPvRmT1_PNSt15iterator_traitsISY_E10value_typeET2_T3_PNSZ_IS14_E10value_typeET4_jRbjT5_S1A_jjP12ihipStream_tbEUljE_EEESV_SW_SX_S14_S18_S1A_T6_T7_T9_mT8_S1C_bDpT10_ENKUlT_T0_E_clISt17integral_constantIbLb1EES1O_IbLb0EEEEDaS1K_S1L_EUlS1K_E_NS1_11comp_targetILNS1_3genE10ELNS1_11target_archE1200ELNS1_3gpuE4ELNS1_3repE0EEENS1_30default_config_static_selectorELNS0_4arch9wavefront6targetE0EEEvSY_.has_dyn_sized_stack, 0
	.set _ZN7rocprim17ROCPRIM_400000_NS6detail17trampoline_kernelINS0_13select_configILj256ELj13ELNS0_17block_load_methodE3ELS4_3ELS4_3ELNS0_20block_scan_algorithmE0ELj4294967295EEENS1_25partition_config_selectorILNS1_17partition_subalgoE3EjNS0_10empty_typeEbEEZZNS1_14partition_implILS8_3ELb0ES6_jNS0_17counting_iteratorIjlEEPS9_SE_NS0_5tupleIJPjSE_EEENSF_IJSE_SE_EEES9_SG_JZNS1_25segmented_radix_sort_implINS0_14default_configELb1EPKfPfPKlPlN2at6native12_GLOBAL__N_18offset_tEEE10hipError_tPvRmT1_PNSt15iterator_traitsISY_E10value_typeET2_T3_PNSZ_IS14_E10value_typeET4_jRbjT5_S1A_jjP12ihipStream_tbEUljE_EEESV_SW_SX_S14_S18_S1A_T6_T7_T9_mT8_S1C_bDpT10_ENKUlT_T0_E_clISt17integral_constantIbLb1EES1O_IbLb0EEEEDaS1K_S1L_EUlS1K_E_NS1_11comp_targetILNS1_3genE10ELNS1_11target_archE1200ELNS1_3gpuE4ELNS1_3repE0EEENS1_30default_config_static_selectorELNS0_4arch9wavefront6targetE0EEEvSY_.has_recursion, 0
	.set _ZN7rocprim17ROCPRIM_400000_NS6detail17trampoline_kernelINS0_13select_configILj256ELj13ELNS0_17block_load_methodE3ELS4_3ELS4_3ELNS0_20block_scan_algorithmE0ELj4294967295EEENS1_25partition_config_selectorILNS1_17partition_subalgoE3EjNS0_10empty_typeEbEEZZNS1_14partition_implILS8_3ELb0ES6_jNS0_17counting_iteratorIjlEEPS9_SE_NS0_5tupleIJPjSE_EEENSF_IJSE_SE_EEES9_SG_JZNS1_25segmented_radix_sort_implINS0_14default_configELb1EPKfPfPKlPlN2at6native12_GLOBAL__N_18offset_tEEE10hipError_tPvRmT1_PNSt15iterator_traitsISY_E10value_typeET2_T3_PNSZ_IS14_E10value_typeET4_jRbjT5_S1A_jjP12ihipStream_tbEUljE_EEESV_SW_SX_S14_S18_S1A_T6_T7_T9_mT8_S1C_bDpT10_ENKUlT_T0_E_clISt17integral_constantIbLb1EES1O_IbLb0EEEEDaS1K_S1L_EUlS1K_E_NS1_11comp_targetILNS1_3genE10ELNS1_11target_archE1200ELNS1_3gpuE4ELNS1_3repE0EEENS1_30default_config_static_selectorELNS0_4arch9wavefront6targetE0EEEvSY_.has_indirect_call, 0
	.section	.AMDGPU.csdata,"",@progbits
; Kernel info:
; codeLenInByte = 0
; TotalNumSgprs: 0
; NumVgprs: 0
; ScratchSize: 0
; MemoryBound: 0
; FloatMode: 240
; IeeeMode: 1
; LDSByteSize: 0 bytes/workgroup (compile time only)
; SGPRBlocks: 0
; VGPRBlocks: 0
; NumSGPRsForWavesPerEU: 1
; NumVGPRsForWavesPerEU: 1
; NamedBarCnt: 0
; Occupancy: 16
; WaveLimiterHint : 0
; COMPUTE_PGM_RSRC2:SCRATCH_EN: 0
; COMPUTE_PGM_RSRC2:USER_SGPR: 2
; COMPUTE_PGM_RSRC2:TRAP_HANDLER: 0
; COMPUTE_PGM_RSRC2:TGID_X_EN: 1
; COMPUTE_PGM_RSRC2:TGID_Y_EN: 0
; COMPUTE_PGM_RSRC2:TGID_Z_EN: 0
; COMPUTE_PGM_RSRC2:TIDIG_COMP_CNT: 0
	.section	.text._ZN7rocprim17ROCPRIM_400000_NS6detail17trampoline_kernelINS0_13select_configILj256ELj13ELNS0_17block_load_methodE3ELS4_3ELS4_3ELNS0_20block_scan_algorithmE0ELj4294967295EEENS1_25partition_config_selectorILNS1_17partition_subalgoE3EjNS0_10empty_typeEbEEZZNS1_14partition_implILS8_3ELb0ES6_jNS0_17counting_iteratorIjlEEPS9_SE_NS0_5tupleIJPjSE_EEENSF_IJSE_SE_EEES9_SG_JZNS1_25segmented_radix_sort_implINS0_14default_configELb1EPKfPfPKlPlN2at6native12_GLOBAL__N_18offset_tEEE10hipError_tPvRmT1_PNSt15iterator_traitsISY_E10value_typeET2_T3_PNSZ_IS14_E10value_typeET4_jRbjT5_S1A_jjP12ihipStream_tbEUljE_EEESV_SW_SX_S14_S18_S1A_T6_T7_T9_mT8_S1C_bDpT10_ENKUlT_T0_E_clISt17integral_constantIbLb1EES1O_IbLb0EEEEDaS1K_S1L_EUlS1K_E_NS1_11comp_targetILNS1_3genE9ELNS1_11target_archE1100ELNS1_3gpuE3ELNS1_3repE0EEENS1_30default_config_static_selectorELNS0_4arch9wavefront6targetE0EEEvSY_,"axG",@progbits,_ZN7rocprim17ROCPRIM_400000_NS6detail17trampoline_kernelINS0_13select_configILj256ELj13ELNS0_17block_load_methodE3ELS4_3ELS4_3ELNS0_20block_scan_algorithmE0ELj4294967295EEENS1_25partition_config_selectorILNS1_17partition_subalgoE3EjNS0_10empty_typeEbEEZZNS1_14partition_implILS8_3ELb0ES6_jNS0_17counting_iteratorIjlEEPS9_SE_NS0_5tupleIJPjSE_EEENSF_IJSE_SE_EEES9_SG_JZNS1_25segmented_radix_sort_implINS0_14default_configELb1EPKfPfPKlPlN2at6native12_GLOBAL__N_18offset_tEEE10hipError_tPvRmT1_PNSt15iterator_traitsISY_E10value_typeET2_T3_PNSZ_IS14_E10value_typeET4_jRbjT5_S1A_jjP12ihipStream_tbEUljE_EEESV_SW_SX_S14_S18_S1A_T6_T7_T9_mT8_S1C_bDpT10_ENKUlT_T0_E_clISt17integral_constantIbLb1EES1O_IbLb0EEEEDaS1K_S1L_EUlS1K_E_NS1_11comp_targetILNS1_3genE9ELNS1_11target_archE1100ELNS1_3gpuE3ELNS1_3repE0EEENS1_30default_config_static_selectorELNS0_4arch9wavefront6targetE0EEEvSY_,comdat
	.globl	_ZN7rocprim17ROCPRIM_400000_NS6detail17trampoline_kernelINS0_13select_configILj256ELj13ELNS0_17block_load_methodE3ELS4_3ELS4_3ELNS0_20block_scan_algorithmE0ELj4294967295EEENS1_25partition_config_selectorILNS1_17partition_subalgoE3EjNS0_10empty_typeEbEEZZNS1_14partition_implILS8_3ELb0ES6_jNS0_17counting_iteratorIjlEEPS9_SE_NS0_5tupleIJPjSE_EEENSF_IJSE_SE_EEES9_SG_JZNS1_25segmented_radix_sort_implINS0_14default_configELb1EPKfPfPKlPlN2at6native12_GLOBAL__N_18offset_tEEE10hipError_tPvRmT1_PNSt15iterator_traitsISY_E10value_typeET2_T3_PNSZ_IS14_E10value_typeET4_jRbjT5_S1A_jjP12ihipStream_tbEUljE_EEESV_SW_SX_S14_S18_S1A_T6_T7_T9_mT8_S1C_bDpT10_ENKUlT_T0_E_clISt17integral_constantIbLb1EES1O_IbLb0EEEEDaS1K_S1L_EUlS1K_E_NS1_11comp_targetILNS1_3genE9ELNS1_11target_archE1100ELNS1_3gpuE3ELNS1_3repE0EEENS1_30default_config_static_selectorELNS0_4arch9wavefront6targetE0EEEvSY_ ; -- Begin function _ZN7rocprim17ROCPRIM_400000_NS6detail17trampoline_kernelINS0_13select_configILj256ELj13ELNS0_17block_load_methodE3ELS4_3ELS4_3ELNS0_20block_scan_algorithmE0ELj4294967295EEENS1_25partition_config_selectorILNS1_17partition_subalgoE3EjNS0_10empty_typeEbEEZZNS1_14partition_implILS8_3ELb0ES6_jNS0_17counting_iteratorIjlEEPS9_SE_NS0_5tupleIJPjSE_EEENSF_IJSE_SE_EEES9_SG_JZNS1_25segmented_radix_sort_implINS0_14default_configELb1EPKfPfPKlPlN2at6native12_GLOBAL__N_18offset_tEEE10hipError_tPvRmT1_PNSt15iterator_traitsISY_E10value_typeET2_T3_PNSZ_IS14_E10value_typeET4_jRbjT5_S1A_jjP12ihipStream_tbEUljE_EEESV_SW_SX_S14_S18_S1A_T6_T7_T9_mT8_S1C_bDpT10_ENKUlT_T0_E_clISt17integral_constantIbLb1EES1O_IbLb0EEEEDaS1K_S1L_EUlS1K_E_NS1_11comp_targetILNS1_3genE9ELNS1_11target_archE1100ELNS1_3gpuE3ELNS1_3repE0EEENS1_30default_config_static_selectorELNS0_4arch9wavefront6targetE0EEEvSY_
	.p2align	8
	.type	_ZN7rocprim17ROCPRIM_400000_NS6detail17trampoline_kernelINS0_13select_configILj256ELj13ELNS0_17block_load_methodE3ELS4_3ELS4_3ELNS0_20block_scan_algorithmE0ELj4294967295EEENS1_25partition_config_selectorILNS1_17partition_subalgoE3EjNS0_10empty_typeEbEEZZNS1_14partition_implILS8_3ELb0ES6_jNS0_17counting_iteratorIjlEEPS9_SE_NS0_5tupleIJPjSE_EEENSF_IJSE_SE_EEES9_SG_JZNS1_25segmented_radix_sort_implINS0_14default_configELb1EPKfPfPKlPlN2at6native12_GLOBAL__N_18offset_tEEE10hipError_tPvRmT1_PNSt15iterator_traitsISY_E10value_typeET2_T3_PNSZ_IS14_E10value_typeET4_jRbjT5_S1A_jjP12ihipStream_tbEUljE_EEESV_SW_SX_S14_S18_S1A_T6_T7_T9_mT8_S1C_bDpT10_ENKUlT_T0_E_clISt17integral_constantIbLb1EES1O_IbLb0EEEEDaS1K_S1L_EUlS1K_E_NS1_11comp_targetILNS1_3genE9ELNS1_11target_archE1100ELNS1_3gpuE3ELNS1_3repE0EEENS1_30default_config_static_selectorELNS0_4arch9wavefront6targetE0EEEvSY_,@function
_ZN7rocprim17ROCPRIM_400000_NS6detail17trampoline_kernelINS0_13select_configILj256ELj13ELNS0_17block_load_methodE3ELS4_3ELS4_3ELNS0_20block_scan_algorithmE0ELj4294967295EEENS1_25partition_config_selectorILNS1_17partition_subalgoE3EjNS0_10empty_typeEbEEZZNS1_14partition_implILS8_3ELb0ES6_jNS0_17counting_iteratorIjlEEPS9_SE_NS0_5tupleIJPjSE_EEENSF_IJSE_SE_EEES9_SG_JZNS1_25segmented_radix_sort_implINS0_14default_configELb1EPKfPfPKlPlN2at6native12_GLOBAL__N_18offset_tEEE10hipError_tPvRmT1_PNSt15iterator_traitsISY_E10value_typeET2_T3_PNSZ_IS14_E10value_typeET4_jRbjT5_S1A_jjP12ihipStream_tbEUljE_EEESV_SW_SX_S14_S18_S1A_T6_T7_T9_mT8_S1C_bDpT10_ENKUlT_T0_E_clISt17integral_constantIbLb1EES1O_IbLb0EEEEDaS1K_S1L_EUlS1K_E_NS1_11comp_targetILNS1_3genE9ELNS1_11target_archE1100ELNS1_3gpuE3ELNS1_3repE0EEENS1_30default_config_static_selectorELNS0_4arch9wavefront6targetE0EEEvSY_: ; @_ZN7rocprim17ROCPRIM_400000_NS6detail17trampoline_kernelINS0_13select_configILj256ELj13ELNS0_17block_load_methodE3ELS4_3ELS4_3ELNS0_20block_scan_algorithmE0ELj4294967295EEENS1_25partition_config_selectorILNS1_17partition_subalgoE3EjNS0_10empty_typeEbEEZZNS1_14partition_implILS8_3ELb0ES6_jNS0_17counting_iteratorIjlEEPS9_SE_NS0_5tupleIJPjSE_EEENSF_IJSE_SE_EEES9_SG_JZNS1_25segmented_radix_sort_implINS0_14default_configELb1EPKfPfPKlPlN2at6native12_GLOBAL__N_18offset_tEEE10hipError_tPvRmT1_PNSt15iterator_traitsISY_E10value_typeET2_T3_PNSZ_IS14_E10value_typeET4_jRbjT5_S1A_jjP12ihipStream_tbEUljE_EEESV_SW_SX_S14_S18_S1A_T6_T7_T9_mT8_S1C_bDpT10_ENKUlT_T0_E_clISt17integral_constantIbLb1EES1O_IbLb0EEEEDaS1K_S1L_EUlS1K_E_NS1_11comp_targetILNS1_3genE9ELNS1_11target_archE1100ELNS1_3gpuE3ELNS1_3repE0EEENS1_30default_config_static_selectorELNS0_4arch9wavefront6targetE0EEEvSY_
; %bb.0:
	.section	.rodata,"a",@progbits
	.p2align	6, 0x0
	.amdhsa_kernel _ZN7rocprim17ROCPRIM_400000_NS6detail17trampoline_kernelINS0_13select_configILj256ELj13ELNS0_17block_load_methodE3ELS4_3ELS4_3ELNS0_20block_scan_algorithmE0ELj4294967295EEENS1_25partition_config_selectorILNS1_17partition_subalgoE3EjNS0_10empty_typeEbEEZZNS1_14partition_implILS8_3ELb0ES6_jNS0_17counting_iteratorIjlEEPS9_SE_NS0_5tupleIJPjSE_EEENSF_IJSE_SE_EEES9_SG_JZNS1_25segmented_radix_sort_implINS0_14default_configELb1EPKfPfPKlPlN2at6native12_GLOBAL__N_18offset_tEEE10hipError_tPvRmT1_PNSt15iterator_traitsISY_E10value_typeET2_T3_PNSZ_IS14_E10value_typeET4_jRbjT5_S1A_jjP12ihipStream_tbEUljE_EEESV_SW_SX_S14_S18_S1A_T6_T7_T9_mT8_S1C_bDpT10_ENKUlT_T0_E_clISt17integral_constantIbLb1EES1O_IbLb0EEEEDaS1K_S1L_EUlS1K_E_NS1_11comp_targetILNS1_3genE9ELNS1_11target_archE1100ELNS1_3gpuE3ELNS1_3repE0EEENS1_30default_config_static_selectorELNS0_4arch9wavefront6targetE0EEEvSY_
		.amdhsa_group_segment_fixed_size 0
		.amdhsa_private_segment_fixed_size 0
		.amdhsa_kernarg_size 144
		.amdhsa_user_sgpr_count 2
		.amdhsa_user_sgpr_dispatch_ptr 0
		.amdhsa_user_sgpr_queue_ptr 0
		.amdhsa_user_sgpr_kernarg_segment_ptr 1
		.amdhsa_user_sgpr_dispatch_id 0
		.amdhsa_user_sgpr_kernarg_preload_length 0
		.amdhsa_user_sgpr_kernarg_preload_offset 0
		.amdhsa_user_sgpr_private_segment_size 0
		.amdhsa_wavefront_size32 1
		.amdhsa_uses_dynamic_stack 0
		.amdhsa_enable_private_segment 0
		.amdhsa_system_sgpr_workgroup_id_x 1
		.amdhsa_system_sgpr_workgroup_id_y 0
		.amdhsa_system_sgpr_workgroup_id_z 0
		.amdhsa_system_sgpr_workgroup_info 0
		.amdhsa_system_vgpr_workitem_id 0
		.amdhsa_next_free_vgpr 1
		.amdhsa_next_free_sgpr 1
		.amdhsa_named_barrier_count 0
		.amdhsa_reserve_vcc 0
		.amdhsa_float_round_mode_32 0
		.amdhsa_float_round_mode_16_64 0
		.amdhsa_float_denorm_mode_32 3
		.amdhsa_float_denorm_mode_16_64 3
		.amdhsa_fp16_overflow 0
		.amdhsa_memory_ordered 1
		.amdhsa_forward_progress 1
		.amdhsa_inst_pref_size 0
		.amdhsa_round_robin_scheduling 0
		.amdhsa_exception_fp_ieee_invalid_op 0
		.amdhsa_exception_fp_denorm_src 0
		.amdhsa_exception_fp_ieee_div_zero 0
		.amdhsa_exception_fp_ieee_overflow 0
		.amdhsa_exception_fp_ieee_underflow 0
		.amdhsa_exception_fp_ieee_inexact 0
		.amdhsa_exception_int_div_zero 0
	.end_amdhsa_kernel
	.section	.text._ZN7rocprim17ROCPRIM_400000_NS6detail17trampoline_kernelINS0_13select_configILj256ELj13ELNS0_17block_load_methodE3ELS4_3ELS4_3ELNS0_20block_scan_algorithmE0ELj4294967295EEENS1_25partition_config_selectorILNS1_17partition_subalgoE3EjNS0_10empty_typeEbEEZZNS1_14partition_implILS8_3ELb0ES6_jNS0_17counting_iteratorIjlEEPS9_SE_NS0_5tupleIJPjSE_EEENSF_IJSE_SE_EEES9_SG_JZNS1_25segmented_radix_sort_implINS0_14default_configELb1EPKfPfPKlPlN2at6native12_GLOBAL__N_18offset_tEEE10hipError_tPvRmT1_PNSt15iterator_traitsISY_E10value_typeET2_T3_PNSZ_IS14_E10value_typeET4_jRbjT5_S1A_jjP12ihipStream_tbEUljE_EEESV_SW_SX_S14_S18_S1A_T6_T7_T9_mT8_S1C_bDpT10_ENKUlT_T0_E_clISt17integral_constantIbLb1EES1O_IbLb0EEEEDaS1K_S1L_EUlS1K_E_NS1_11comp_targetILNS1_3genE9ELNS1_11target_archE1100ELNS1_3gpuE3ELNS1_3repE0EEENS1_30default_config_static_selectorELNS0_4arch9wavefront6targetE0EEEvSY_,"axG",@progbits,_ZN7rocprim17ROCPRIM_400000_NS6detail17trampoline_kernelINS0_13select_configILj256ELj13ELNS0_17block_load_methodE3ELS4_3ELS4_3ELNS0_20block_scan_algorithmE0ELj4294967295EEENS1_25partition_config_selectorILNS1_17partition_subalgoE3EjNS0_10empty_typeEbEEZZNS1_14partition_implILS8_3ELb0ES6_jNS0_17counting_iteratorIjlEEPS9_SE_NS0_5tupleIJPjSE_EEENSF_IJSE_SE_EEES9_SG_JZNS1_25segmented_radix_sort_implINS0_14default_configELb1EPKfPfPKlPlN2at6native12_GLOBAL__N_18offset_tEEE10hipError_tPvRmT1_PNSt15iterator_traitsISY_E10value_typeET2_T3_PNSZ_IS14_E10value_typeET4_jRbjT5_S1A_jjP12ihipStream_tbEUljE_EEESV_SW_SX_S14_S18_S1A_T6_T7_T9_mT8_S1C_bDpT10_ENKUlT_T0_E_clISt17integral_constantIbLb1EES1O_IbLb0EEEEDaS1K_S1L_EUlS1K_E_NS1_11comp_targetILNS1_3genE9ELNS1_11target_archE1100ELNS1_3gpuE3ELNS1_3repE0EEENS1_30default_config_static_selectorELNS0_4arch9wavefront6targetE0EEEvSY_,comdat
.Lfunc_end1309:
	.size	_ZN7rocprim17ROCPRIM_400000_NS6detail17trampoline_kernelINS0_13select_configILj256ELj13ELNS0_17block_load_methodE3ELS4_3ELS4_3ELNS0_20block_scan_algorithmE0ELj4294967295EEENS1_25partition_config_selectorILNS1_17partition_subalgoE3EjNS0_10empty_typeEbEEZZNS1_14partition_implILS8_3ELb0ES6_jNS0_17counting_iteratorIjlEEPS9_SE_NS0_5tupleIJPjSE_EEENSF_IJSE_SE_EEES9_SG_JZNS1_25segmented_radix_sort_implINS0_14default_configELb1EPKfPfPKlPlN2at6native12_GLOBAL__N_18offset_tEEE10hipError_tPvRmT1_PNSt15iterator_traitsISY_E10value_typeET2_T3_PNSZ_IS14_E10value_typeET4_jRbjT5_S1A_jjP12ihipStream_tbEUljE_EEESV_SW_SX_S14_S18_S1A_T6_T7_T9_mT8_S1C_bDpT10_ENKUlT_T0_E_clISt17integral_constantIbLb1EES1O_IbLb0EEEEDaS1K_S1L_EUlS1K_E_NS1_11comp_targetILNS1_3genE9ELNS1_11target_archE1100ELNS1_3gpuE3ELNS1_3repE0EEENS1_30default_config_static_selectorELNS0_4arch9wavefront6targetE0EEEvSY_, .Lfunc_end1309-_ZN7rocprim17ROCPRIM_400000_NS6detail17trampoline_kernelINS0_13select_configILj256ELj13ELNS0_17block_load_methodE3ELS4_3ELS4_3ELNS0_20block_scan_algorithmE0ELj4294967295EEENS1_25partition_config_selectorILNS1_17partition_subalgoE3EjNS0_10empty_typeEbEEZZNS1_14partition_implILS8_3ELb0ES6_jNS0_17counting_iteratorIjlEEPS9_SE_NS0_5tupleIJPjSE_EEENSF_IJSE_SE_EEES9_SG_JZNS1_25segmented_radix_sort_implINS0_14default_configELb1EPKfPfPKlPlN2at6native12_GLOBAL__N_18offset_tEEE10hipError_tPvRmT1_PNSt15iterator_traitsISY_E10value_typeET2_T3_PNSZ_IS14_E10value_typeET4_jRbjT5_S1A_jjP12ihipStream_tbEUljE_EEESV_SW_SX_S14_S18_S1A_T6_T7_T9_mT8_S1C_bDpT10_ENKUlT_T0_E_clISt17integral_constantIbLb1EES1O_IbLb0EEEEDaS1K_S1L_EUlS1K_E_NS1_11comp_targetILNS1_3genE9ELNS1_11target_archE1100ELNS1_3gpuE3ELNS1_3repE0EEENS1_30default_config_static_selectorELNS0_4arch9wavefront6targetE0EEEvSY_
                                        ; -- End function
	.set _ZN7rocprim17ROCPRIM_400000_NS6detail17trampoline_kernelINS0_13select_configILj256ELj13ELNS0_17block_load_methodE3ELS4_3ELS4_3ELNS0_20block_scan_algorithmE0ELj4294967295EEENS1_25partition_config_selectorILNS1_17partition_subalgoE3EjNS0_10empty_typeEbEEZZNS1_14partition_implILS8_3ELb0ES6_jNS0_17counting_iteratorIjlEEPS9_SE_NS0_5tupleIJPjSE_EEENSF_IJSE_SE_EEES9_SG_JZNS1_25segmented_radix_sort_implINS0_14default_configELb1EPKfPfPKlPlN2at6native12_GLOBAL__N_18offset_tEEE10hipError_tPvRmT1_PNSt15iterator_traitsISY_E10value_typeET2_T3_PNSZ_IS14_E10value_typeET4_jRbjT5_S1A_jjP12ihipStream_tbEUljE_EEESV_SW_SX_S14_S18_S1A_T6_T7_T9_mT8_S1C_bDpT10_ENKUlT_T0_E_clISt17integral_constantIbLb1EES1O_IbLb0EEEEDaS1K_S1L_EUlS1K_E_NS1_11comp_targetILNS1_3genE9ELNS1_11target_archE1100ELNS1_3gpuE3ELNS1_3repE0EEENS1_30default_config_static_selectorELNS0_4arch9wavefront6targetE0EEEvSY_.num_vgpr, 0
	.set _ZN7rocprim17ROCPRIM_400000_NS6detail17trampoline_kernelINS0_13select_configILj256ELj13ELNS0_17block_load_methodE3ELS4_3ELS4_3ELNS0_20block_scan_algorithmE0ELj4294967295EEENS1_25partition_config_selectorILNS1_17partition_subalgoE3EjNS0_10empty_typeEbEEZZNS1_14partition_implILS8_3ELb0ES6_jNS0_17counting_iteratorIjlEEPS9_SE_NS0_5tupleIJPjSE_EEENSF_IJSE_SE_EEES9_SG_JZNS1_25segmented_radix_sort_implINS0_14default_configELb1EPKfPfPKlPlN2at6native12_GLOBAL__N_18offset_tEEE10hipError_tPvRmT1_PNSt15iterator_traitsISY_E10value_typeET2_T3_PNSZ_IS14_E10value_typeET4_jRbjT5_S1A_jjP12ihipStream_tbEUljE_EEESV_SW_SX_S14_S18_S1A_T6_T7_T9_mT8_S1C_bDpT10_ENKUlT_T0_E_clISt17integral_constantIbLb1EES1O_IbLb0EEEEDaS1K_S1L_EUlS1K_E_NS1_11comp_targetILNS1_3genE9ELNS1_11target_archE1100ELNS1_3gpuE3ELNS1_3repE0EEENS1_30default_config_static_selectorELNS0_4arch9wavefront6targetE0EEEvSY_.num_agpr, 0
	.set _ZN7rocprim17ROCPRIM_400000_NS6detail17trampoline_kernelINS0_13select_configILj256ELj13ELNS0_17block_load_methodE3ELS4_3ELS4_3ELNS0_20block_scan_algorithmE0ELj4294967295EEENS1_25partition_config_selectorILNS1_17partition_subalgoE3EjNS0_10empty_typeEbEEZZNS1_14partition_implILS8_3ELb0ES6_jNS0_17counting_iteratorIjlEEPS9_SE_NS0_5tupleIJPjSE_EEENSF_IJSE_SE_EEES9_SG_JZNS1_25segmented_radix_sort_implINS0_14default_configELb1EPKfPfPKlPlN2at6native12_GLOBAL__N_18offset_tEEE10hipError_tPvRmT1_PNSt15iterator_traitsISY_E10value_typeET2_T3_PNSZ_IS14_E10value_typeET4_jRbjT5_S1A_jjP12ihipStream_tbEUljE_EEESV_SW_SX_S14_S18_S1A_T6_T7_T9_mT8_S1C_bDpT10_ENKUlT_T0_E_clISt17integral_constantIbLb1EES1O_IbLb0EEEEDaS1K_S1L_EUlS1K_E_NS1_11comp_targetILNS1_3genE9ELNS1_11target_archE1100ELNS1_3gpuE3ELNS1_3repE0EEENS1_30default_config_static_selectorELNS0_4arch9wavefront6targetE0EEEvSY_.numbered_sgpr, 0
	.set _ZN7rocprim17ROCPRIM_400000_NS6detail17trampoline_kernelINS0_13select_configILj256ELj13ELNS0_17block_load_methodE3ELS4_3ELS4_3ELNS0_20block_scan_algorithmE0ELj4294967295EEENS1_25partition_config_selectorILNS1_17partition_subalgoE3EjNS0_10empty_typeEbEEZZNS1_14partition_implILS8_3ELb0ES6_jNS0_17counting_iteratorIjlEEPS9_SE_NS0_5tupleIJPjSE_EEENSF_IJSE_SE_EEES9_SG_JZNS1_25segmented_radix_sort_implINS0_14default_configELb1EPKfPfPKlPlN2at6native12_GLOBAL__N_18offset_tEEE10hipError_tPvRmT1_PNSt15iterator_traitsISY_E10value_typeET2_T3_PNSZ_IS14_E10value_typeET4_jRbjT5_S1A_jjP12ihipStream_tbEUljE_EEESV_SW_SX_S14_S18_S1A_T6_T7_T9_mT8_S1C_bDpT10_ENKUlT_T0_E_clISt17integral_constantIbLb1EES1O_IbLb0EEEEDaS1K_S1L_EUlS1K_E_NS1_11comp_targetILNS1_3genE9ELNS1_11target_archE1100ELNS1_3gpuE3ELNS1_3repE0EEENS1_30default_config_static_selectorELNS0_4arch9wavefront6targetE0EEEvSY_.num_named_barrier, 0
	.set _ZN7rocprim17ROCPRIM_400000_NS6detail17trampoline_kernelINS0_13select_configILj256ELj13ELNS0_17block_load_methodE3ELS4_3ELS4_3ELNS0_20block_scan_algorithmE0ELj4294967295EEENS1_25partition_config_selectorILNS1_17partition_subalgoE3EjNS0_10empty_typeEbEEZZNS1_14partition_implILS8_3ELb0ES6_jNS0_17counting_iteratorIjlEEPS9_SE_NS0_5tupleIJPjSE_EEENSF_IJSE_SE_EEES9_SG_JZNS1_25segmented_radix_sort_implINS0_14default_configELb1EPKfPfPKlPlN2at6native12_GLOBAL__N_18offset_tEEE10hipError_tPvRmT1_PNSt15iterator_traitsISY_E10value_typeET2_T3_PNSZ_IS14_E10value_typeET4_jRbjT5_S1A_jjP12ihipStream_tbEUljE_EEESV_SW_SX_S14_S18_S1A_T6_T7_T9_mT8_S1C_bDpT10_ENKUlT_T0_E_clISt17integral_constantIbLb1EES1O_IbLb0EEEEDaS1K_S1L_EUlS1K_E_NS1_11comp_targetILNS1_3genE9ELNS1_11target_archE1100ELNS1_3gpuE3ELNS1_3repE0EEENS1_30default_config_static_selectorELNS0_4arch9wavefront6targetE0EEEvSY_.private_seg_size, 0
	.set _ZN7rocprim17ROCPRIM_400000_NS6detail17trampoline_kernelINS0_13select_configILj256ELj13ELNS0_17block_load_methodE3ELS4_3ELS4_3ELNS0_20block_scan_algorithmE0ELj4294967295EEENS1_25partition_config_selectorILNS1_17partition_subalgoE3EjNS0_10empty_typeEbEEZZNS1_14partition_implILS8_3ELb0ES6_jNS0_17counting_iteratorIjlEEPS9_SE_NS0_5tupleIJPjSE_EEENSF_IJSE_SE_EEES9_SG_JZNS1_25segmented_radix_sort_implINS0_14default_configELb1EPKfPfPKlPlN2at6native12_GLOBAL__N_18offset_tEEE10hipError_tPvRmT1_PNSt15iterator_traitsISY_E10value_typeET2_T3_PNSZ_IS14_E10value_typeET4_jRbjT5_S1A_jjP12ihipStream_tbEUljE_EEESV_SW_SX_S14_S18_S1A_T6_T7_T9_mT8_S1C_bDpT10_ENKUlT_T0_E_clISt17integral_constantIbLb1EES1O_IbLb0EEEEDaS1K_S1L_EUlS1K_E_NS1_11comp_targetILNS1_3genE9ELNS1_11target_archE1100ELNS1_3gpuE3ELNS1_3repE0EEENS1_30default_config_static_selectorELNS0_4arch9wavefront6targetE0EEEvSY_.uses_vcc, 0
	.set _ZN7rocprim17ROCPRIM_400000_NS6detail17trampoline_kernelINS0_13select_configILj256ELj13ELNS0_17block_load_methodE3ELS4_3ELS4_3ELNS0_20block_scan_algorithmE0ELj4294967295EEENS1_25partition_config_selectorILNS1_17partition_subalgoE3EjNS0_10empty_typeEbEEZZNS1_14partition_implILS8_3ELb0ES6_jNS0_17counting_iteratorIjlEEPS9_SE_NS0_5tupleIJPjSE_EEENSF_IJSE_SE_EEES9_SG_JZNS1_25segmented_radix_sort_implINS0_14default_configELb1EPKfPfPKlPlN2at6native12_GLOBAL__N_18offset_tEEE10hipError_tPvRmT1_PNSt15iterator_traitsISY_E10value_typeET2_T3_PNSZ_IS14_E10value_typeET4_jRbjT5_S1A_jjP12ihipStream_tbEUljE_EEESV_SW_SX_S14_S18_S1A_T6_T7_T9_mT8_S1C_bDpT10_ENKUlT_T0_E_clISt17integral_constantIbLb1EES1O_IbLb0EEEEDaS1K_S1L_EUlS1K_E_NS1_11comp_targetILNS1_3genE9ELNS1_11target_archE1100ELNS1_3gpuE3ELNS1_3repE0EEENS1_30default_config_static_selectorELNS0_4arch9wavefront6targetE0EEEvSY_.uses_flat_scratch, 0
	.set _ZN7rocprim17ROCPRIM_400000_NS6detail17trampoline_kernelINS0_13select_configILj256ELj13ELNS0_17block_load_methodE3ELS4_3ELS4_3ELNS0_20block_scan_algorithmE0ELj4294967295EEENS1_25partition_config_selectorILNS1_17partition_subalgoE3EjNS0_10empty_typeEbEEZZNS1_14partition_implILS8_3ELb0ES6_jNS0_17counting_iteratorIjlEEPS9_SE_NS0_5tupleIJPjSE_EEENSF_IJSE_SE_EEES9_SG_JZNS1_25segmented_radix_sort_implINS0_14default_configELb1EPKfPfPKlPlN2at6native12_GLOBAL__N_18offset_tEEE10hipError_tPvRmT1_PNSt15iterator_traitsISY_E10value_typeET2_T3_PNSZ_IS14_E10value_typeET4_jRbjT5_S1A_jjP12ihipStream_tbEUljE_EEESV_SW_SX_S14_S18_S1A_T6_T7_T9_mT8_S1C_bDpT10_ENKUlT_T0_E_clISt17integral_constantIbLb1EES1O_IbLb0EEEEDaS1K_S1L_EUlS1K_E_NS1_11comp_targetILNS1_3genE9ELNS1_11target_archE1100ELNS1_3gpuE3ELNS1_3repE0EEENS1_30default_config_static_selectorELNS0_4arch9wavefront6targetE0EEEvSY_.has_dyn_sized_stack, 0
	.set _ZN7rocprim17ROCPRIM_400000_NS6detail17trampoline_kernelINS0_13select_configILj256ELj13ELNS0_17block_load_methodE3ELS4_3ELS4_3ELNS0_20block_scan_algorithmE0ELj4294967295EEENS1_25partition_config_selectorILNS1_17partition_subalgoE3EjNS0_10empty_typeEbEEZZNS1_14partition_implILS8_3ELb0ES6_jNS0_17counting_iteratorIjlEEPS9_SE_NS0_5tupleIJPjSE_EEENSF_IJSE_SE_EEES9_SG_JZNS1_25segmented_radix_sort_implINS0_14default_configELb1EPKfPfPKlPlN2at6native12_GLOBAL__N_18offset_tEEE10hipError_tPvRmT1_PNSt15iterator_traitsISY_E10value_typeET2_T3_PNSZ_IS14_E10value_typeET4_jRbjT5_S1A_jjP12ihipStream_tbEUljE_EEESV_SW_SX_S14_S18_S1A_T6_T7_T9_mT8_S1C_bDpT10_ENKUlT_T0_E_clISt17integral_constantIbLb1EES1O_IbLb0EEEEDaS1K_S1L_EUlS1K_E_NS1_11comp_targetILNS1_3genE9ELNS1_11target_archE1100ELNS1_3gpuE3ELNS1_3repE0EEENS1_30default_config_static_selectorELNS0_4arch9wavefront6targetE0EEEvSY_.has_recursion, 0
	.set _ZN7rocprim17ROCPRIM_400000_NS6detail17trampoline_kernelINS0_13select_configILj256ELj13ELNS0_17block_load_methodE3ELS4_3ELS4_3ELNS0_20block_scan_algorithmE0ELj4294967295EEENS1_25partition_config_selectorILNS1_17partition_subalgoE3EjNS0_10empty_typeEbEEZZNS1_14partition_implILS8_3ELb0ES6_jNS0_17counting_iteratorIjlEEPS9_SE_NS0_5tupleIJPjSE_EEENSF_IJSE_SE_EEES9_SG_JZNS1_25segmented_radix_sort_implINS0_14default_configELb1EPKfPfPKlPlN2at6native12_GLOBAL__N_18offset_tEEE10hipError_tPvRmT1_PNSt15iterator_traitsISY_E10value_typeET2_T3_PNSZ_IS14_E10value_typeET4_jRbjT5_S1A_jjP12ihipStream_tbEUljE_EEESV_SW_SX_S14_S18_S1A_T6_T7_T9_mT8_S1C_bDpT10_ENKUlT_T0_E_clISt17integral_constantIbLb1EES1O_IbLb0EEEEDaS1K_S1L_EUlS1K_E_NS1_11comp_targetILNS1_3genE9ELNS1_11target_archE1100ELNS1_3gpuE3ELNS1_3repE0EEENS1_30default_config_static_selectorELNS0_4arch9wavefront6targetE0EEEvSY_.has_indirect_call, 0
	.section	.AMDGPU.csdata,"",@progbits
; Kernel info:
; codeLenInByte = 0
; TotalNumSgprs: 0
; NumVgprs: 0
; ScratchSize: 0
; MemoryBound: 0
; FloatMode: 240
; IeeeMode: 1
; LDSByteSize: 0 bytes/workgroup (compile time only)
; SGPRBlocks: 0
; VGPRBlocks: 0
; NumSGPRsForWavesPerEU: 1
; NumVGPRsForWavesPerEU: 1
; NamedBarCnt: 0
; Occupancy: 16
; WaveLimiterHint : 0
; COMPUTE_PGM_RSRC2:SCRATCH_EN: 0
; COMPUTE_PGM_RSRC2:USER_SGPR: 2
; COMPUTE_PGM_RSRC2:TRAP_HANDLER: 0
; COMPUTE_PGM_RSRC2:TGID_X_EN: 1
; COMPUTE_PGM_RSRC2:TGID_Y_EN: 0
; COMPUTE_PGM_RSRC2:TGID_Z_EN: 0
; COMPUTE_PGM_RSRC2:TIDIG_COMP_CNT: 0
	.section	.text._ZN7rocprim17ROCPRIM_400000_NS6detail17trampoline_kernelINS0_13select_configILj256ELj13ELNS0_17block_load_methodE3ELS4_3ELS4_3ELNS0_20block_scan_algorithmE0ELj4294967295EEENS1_25partition_config_selectorILNS1_17partition_subalgoE3EjNS0_10empty_typeEbEEZZNS1_14partition_implILS8_3ELb0ES6_jNS0_17counting_iteratorIjlEEPS9_SE_NS0_5tupleIJPjSE_EEENSF_IJSE_SE_EEES9_SG_JZNS1_25segmented_radix_sort_implINS0_14default_configELb1EPKfPfPKlPlN2at6native12_GLOBAL__N_18offset_tEEE10hipError_tPvRmT1_PNSt15iterator_traitsISY_E10value_typeET2_T3_PNSZ_IS14_E10value_typeET4_jRbjT5_S1A_jjP12ihipStream_tbEUljE_EEESV_SW_SX_S14_S18_S1A_T6_T7_T9_mT8_S1C_bDpT10_ENKUlT_T0_E_clISt17integral_constantIbLb1EES1O_IbLb0EEEEDaS1K_S1L_EUlS1K_E_NS1_11comp_targetILNS1_3genE8ELNS1_11target_archE1030ELNS1_3gpuE2ELNS1_3repE0EEENS1_30default_config_static_selectorELNS0_4arch9wavefront6targetE0EEEvSY_,"axG",@progbits,_ZN7rocprim17ROCPRIM_400000_NS6detail17trampoline_kernelINS0_13select_configILj256ELj13ELNS0_17block_load_methodE3ELS4_3ELS4_3ELNS0_20block_scan_algorithmE0ELj4294967295EEENS1_25partition_config_selectorILNS1_17partition_subalgoE3EjNS0_10empty_typeEbEEZZNS1_14partition_implILS8_3ELb0ES6_jNS0_17counting_iteratorIjlEEPS9_SE_NS0_5tupleIJPjSE_EEENSF_IJSE_SE_EEES9_SG_JZNS1_25segmented_radix_sort_implINS0_14default_configELb1EPKfPfPKlPlN2at6native12_GLOBAL__N_18offset_tEEE10hipError_tPvRmT1_PNSt15iterator_traitsISY_E10value_typeET2_T3_PNSZ_IS14_E10value_typeET4_jRbjT5_S1A_jjP12ihipStream_tbEUljE_EEESV_SW_SX_S14_S18_S1A_T6_T7_T9_mT8_S1C_bDpT10_ENKUlT_T0_E_clISt17integral_constantIbLb1EES1O_IbLb0EEEEDaS1K_S1L_EUlS1K_E_NS1_11comp_targetILNS1_3genE8ELNS1_11target_archE1030ELNS1_3gpuE2ELNS1_3repE0EEENS1_30default_config_static_selectorELNS0_4arch9wavefront6targetE0EEEvSY_,comdat
	.globl	_ZN7rocprim17ROCPRIM_400000_NS6detail17trampoline_kernelINS0_13select_configILj256ELj13ELNS0_17block_load_methodE3ELS4_3ELS4_3ELNS0_20block_scan_algorithmE0ELj4294967295EEENS1_25partition_config_selectorILNS1_17partition_subalgoE3EjNS0_10empty_typeEbEEZZNS1_14partition_implILS8_3ELb0ES6_jNS0_17counting_iteratorIjlEEPS9_SE_NS0_5tupleIJPjSE_EEENSF_IJSE_SE_EEES9_SG_JZNS1_25segmented_radix_sort_implINS0_14default_configELb1EPKfPfPKlPlN2at6native12_GLOBAL__N_18offset_tEEE10hipError_tPvRmT1_PNSt15iterator_traitsISY_E10value_typeET2_T3_PNSZ_IS14_E10value_typeET4_jRbjT5_S1A_jjP12ihipStream_tbEUljE_EEESV_SW_SX_S14_S18_S1A_T6_T7_T9_mT8_S1C_bDpT10_ENKUlT_T0_E_clISt17integral_constantIbLb1EES1O_IbLb0EEEEDaS1K_S1L_EUlS1K_E_NS1_11comp_targetILNS1_3genE8ELNS1_11target_archE1030ELNS1_3gpuE2ELNS1_3repE0EEENS1_30default_config_static_selectorELNS0_4arch9wavefront6targetE0EEEvSY_ ; -- Begin function _ZN7rocprim17ROCPRIM_400000_NS6detail17trampoline_kernelINS0_13select_configILj256ELj13ELNS0_17block_load_methodE3ELS4_3ELS4_3ELNS0_20block_scan_algorithmE0ELj4294967295EEENS1_25partition_config_selectorILNS1_17partition_subalgoE3EjNS0_10empty_typeEbEEZZNS1_14partition_implILS8_3ELb0ES6_jNS0_17counting_iteratorIjlEEPS9_SE_NS0_5tupleIJPjSE_EEENSF_IJSE_SE_EEES9_SG_JZNS1_25segmented_radix_sort_implINS0_14default_configELb1EPKfPfPKlPlN2at6native12_GLOBAL__N_18offset_tEEE10hipError_tPvRmT1_PNSt15iterator_traitsISY_E10value_typeET2_T3_PNSZ_IS14_E10value_typeET4_jRbjT5_S1A_jjP12ihipStream_tbEUljE_EEESV_SW_SX_S14_S18_S1A_T6_T7_T9_mT8_S1C_bDpT10_ENKUlT_T0_E_clISt17integral_constantIbLb1EES1O_IbLb0EEEEDaS1K_S1L_EUlS1K_E_NS1_11comp_targetILNS1_3genE8ELNS1_11target_archE1030ELNS1_3gpuE2ELNS1_3repE0EEENS1_30default_config_static_selectorELNS0_4arch9wavefront6targetE0EEEvSY_
	.p2align	8
	.type	_ZN7rocprim17ROCPRIM_400000_NS6detail17trampoline_kernelINS0_13select_configILj256ELj13ELNS0_17block_load_methodE3ELS4_3ELS4_3ELNS0_20block_scan_algorithmE0ELj4294967295EEENS1_25partition_config_selectorILNS1_17partition_subalgoE3EjNS0_10empty_typeEbEEZZNS1_14partition_implILS8_3ELb0ES6_jNS0_17counting_iteratorIjlEEPS9_SE_NS0_5tupleIJPjSE_EEENSF_IJSE_SE_EEES9_SG_JZNS1_25segmented_radix_sort_implINS0_14default_configELb1EPKfPfPKlPlN2at6native12_GLOBAL__N_18offset_tEEE10hipError_tPvRmT1_PNSt15iterator_traitsISY_E10value_typeET2_T3_PNSZ_IS14_E10value_typeET4_jRbjT5_S1A_jjP12ihipStream_tbEUljE_EEESV_SW_SX_S14_S18_S1A_T6_T7_T9_mT8_S1C_bDpT10_ENKUlT_T0_E_clISt17integral_constantIbLb1EES1O_IbLb0EEEEDaS1K_S1L_EUlS1K_E_NS1_11comp_targetILNS1_3genE8ELNS1_11target_archE1030ELNS1_3gpuE2ELNS1_3repE0EEENS1_30default_config_static_selectorELNS0_4arch9wavefront6targetE0EEEvSY_,@function
_ZN7rocprim17ROCPRIM_400000_NS6detail17trampoline_kernelINS0_13select_configILj256ELj13ELNS0_17block_load_methodE3ELS4_3ELS4_3ELNS0_20block_scan_algorithmE0ELj4294967295EEENS1_25partition_config_selectorILNS1_17partition_subalgoE3EjNS0_10empty_typeEbEEZZNS1_14partition_implILS8_3ELb0ES6_jNS0_17counting_iteratorIjlEEPS9_SE_NS0_5tupleIJPjSE_EEENSF_IJSE_SE_EEES9_SG_JZNS1_25segmented_radix_sort_implINS0_14default_configELb1EPKfPfPKlPlN2at6native12_GLOBAL__N_18offset_tEEE10hipError_tPvRmT1_PNSt15iterator_traitsISY_E10value_typeET2_T3_PNSZ_IS14_E10value_typeET4_jRbjT5_S1A_jjP12ihipStream_tbEUljE_EEESV_SW_SX_S14_S18_S1A_T6_T7_T9_mT8_S1C_bDpT10_ENKUlT_T0_E_clISt17integral_constantIbLb1EES1O_IbLb0EEEEDaS1K_S1L_EUlS1K_E_NS1_11comp_targetILNS1_3genE8ELNS1_11target_archE1030ELNS1_3gpuE2ELNS1_3repE0EEENS1_30default_config_static_selectorELNS0_4arch9wavefront6targetE0EEEvSY_: ; @_ZN7rocprim17ROCPRIM_400000_NS6detail17trampoline_kernelINS0_13select_configILj256ELj13ELNS0_17block_load_methodE3ELS4_3ELS4_3ELNS0_20block_scan_algorithmE0ELj4294967295EEENS1_25partition_config_selectorILNS1_17partition_subalgoE3EjNS0_10empty_typeEbEEZZNS1_14partition_implILS8_3ELb0ES6_jNS0_17counting_iteratorIjlEEPS9_SE_NS0_5tupleIJPjSE_EEENSF_IJSE_SE_EEES9_SG_JZNS1_25segmented_radix_sort_implINS0_14default_configELb1EPKfPfPKlPlN2at6native12_GLOBAL__N_18offset_tEEE10hipError_tPvRmT1_PNSt15iterator_traitsISY_E10value_typeET2_T3_PNSZ_IS14_E10value_typeET4_jRbjT5_S1A_jjP12ihipStream_tbEUljE_EEESV_SW_SX_S14_S18_S1A_T6_T7_T9_mT8_S1C_bDpT10_ENKUlT_T0_E_clISt17integral_constantIbLb1EES1O_IbLb0EEEEDaS1K_S1L_EUlS1K_E_NS1_11comp_targetILNS1_3genE8ELNS1_11target_archE1030ELNS1_3gpuE2ELNS1_3repE0EEENS1_30default_config_static_selectorELNS0_4arch9wavefront6targetE0EEEvSY_
; %bb.0:
	.section	.rodata,"a",@progbits
	.p2align	6, 0x0
	.amdhsa_kernel _ZN7rocprim17ROCPRIM_400000_NS6detail17trampoline_kernelINS0_13select_configILj256ELj13ELNS0_17block_load_methodE3ELS4_3ELS4_3ELNS0_20block_scan_algorithmE0ELj4294967295EEENS1_25partition_config_selectorILNS1_17partition_subalgoE3EjNS0_10empty_typeEbEEZZNS1_14partition_implILS8_3ELb0ES6_jNS0_17counting_iteratorIjlEEPS9_SE_NS0_5tupleIJPjSE_EEENSF_IJSE_SE_EEES9_SG_JZNS1_25segmented_radix_sort_implINS0_14default_configELb1EPKfPfPKlPlN2at6native12_GLOBAL__N_18offset_tEEE10hipError_tPvRmT1_PNSt15iterator_traitsISY_E10value_typeET2_T3_PNSZ_IS14_E10value_typeET4_jRbjT5_S1A_jjP12ihipStream_tbEUljE_EEESV_SW_SX_S14_S18_S1A_T6_T7_T9_mT8_S1C_bDpT10_ENKUlT_T0_E_clISt17integral_constantIbLb1EES1O_IbLb0EEEEDaS1K_S1L_EUlS1K_E_NS1_11comp_targetILNS1_3genE8ELNS1_11target_archE1030ELNS1_3gpuE2ELNS1_3repE0EEENS1_30default_config_static_selectorELNS0_4arch9wavefront6targetE0EEEvSY_
		.amdhsa_group_segment_fixed_size 0
		.amdhsa_private_segment_fixed_size 0
		.amdhsa_kernarg_size 144
		.amdhsa_user_sgpr_count 2
		.amdhsa_user_sgpr_dispatch_ptr 0
		.amdhsa_user_sgpr_queue_ptr 0
		.amdhsa_user_sgpr_kernarg_segment_ptr 1
		.amdhsa_user_sgpr_dispatch_id 0
		.amdhsa_user_sgpr_kernarg_preload_length 0
		.amdhsa_user_sgpr_kernarg_preload_offset 0
		.amdhsa_user_sgpr_private_segment_size 0
		.amdhsa_wavefront_size32 1
		.amdhsa_uses_dynamic_stack 0
		.amdhsa_enable_private_segment 0
		.amdhsa_system_sgpr_workgroup_id_x 1
		.amdhsa_system_sgpr_workgroup_id_y 0
		.amdhsa_system_sgpr_workgroup_id_z 0
		.amdhsa_system_sgpr_workgroup_info 0
		.amdhsa_system_vgpr_workitem_id 0
		.amdhsa_next_free_vgpr 1
		.amdhsa_next_free_sgpr 1
		.amdhsa_named_barrier_count 0
		.amdhsa_reserve_vcc 0
		.amdhsa_float_round_mode_32 0
		.amdhsa_float_round_mode_16_64 0
		.amdhsa_float_denorm_mode_32 3
		.amdhsa_float_denorm_mode_16_64 3
		.amdhsa_fp16_overflow 0
		.amdhsa_memory_ordered 1
		.amdhsa_forward_progress 1
		.amdhsa_inst_pref_size 0
		.amdhsa_round_robin_scheduling 0
		.amdhsa_exception_fp_ieee_invalid_op 0
		.amdhsa_exception_fp_denorm_src 0
		.amdhsa_exception_fp_ieee_div_zero 0
		.amdhsa_exception_fp_ieee_overflow 0
		.amdhsa_exception_fp_ieee_underflow 0
		.amdhsa_exception_fp_ieee_inexact 0
		.amdhsa_exception_int_div_zero 0
	.end_amdhsa_kernel
	.section	.text._ZN7rocprim17ROCPRIM_400000_NS6detail17trampoline_kernelINS0_13select_configILj256ELj13ELNS0_17block_load_methodE3ELS4_3ELS4_3ELNS0_20block_scan_algorithmE0ELj4294967295EEENS1_25partition_config_selectorILNS1_17partition_subalgoE3EjNS0_10empty_typeEbEEZZNS1_14partition_implILS8_3ELb0ES6_jNS0_17counting_iteratorIjlEEPS9_SE_NS0_5tupleIJPjSE_EEENSF_IJSE_SE_EEES9_SG_JZNS1_25segmented_radix_sort_implINS0_14default_configELb1EPKfPfPKlPlN2at6native12_GLOBAL__N_18offset_tEEE10hipError_tPvRmT1_PNSt15iterator_traitsISY_E10value_typeET2_T3_PNSZ_IS14_E10value_typeET4_jRbjT5_S1A_jjP12ihipStream_tbEUljE_EEESV_SW_SX_S14_S18_S1A_T6_T7_T9_mT8_S1C_bDpT10_ENKUlT_T0_E_clISt17integral_constantIbLb1EES1O_IbLb0EEEEDaS1K_S1L_EUlS1K_E_NS1_11comp_targetILNS1_3genE8ELNS1_11target_archE1030ELNS1_3gpuE2ELNS1_3repE0EEENS1_30default_config_static_selectorELNS0_4arch9wavefront6targetE0EEEvSY_,"axG",@progbits,_ZN7rocprim17ROCPRIM_400000_NS6detail17trampoline_kernelINS0_13select_configILj256ELj13ELNS0_17block_load_methodE3ELS4_3ELS4_3ELNS0_20block_scan_algorithmE0ELj4294967295EEENS1_25partition_config_selectorILNS1_17partition_subalgoE3EjNS0_10empty_typeEbEEZZNS1_14partition_implILS8_3ELb0ES6_jNS0_17counting_iteratorIjlEEPS9_SE_NS0_5tupleIJPjSE_EEENSF_IJSE_SE_EEES9_SG_JZNS1_25segmented_radix_sort_implINS0_14default_configELb1EPKfPfPKlPlN2at6native12_GLOBAL__N_18offset_tEEE10hipError_tPvRmT1_PNSt15iterator_traitsISY_E10value_typeET2_T3_PNSZ_IS14_E10value_typeET4_jRbjT5_S1A_jjP12ihipStream_tbEUljE_EEESV_SW_SX_S14_S18_S1A_T6_T7_T9_mT8_S1C_bDpT10_ENKUlT_T0_E_clISt17integral_constantIbLb1EES1O_IbLb0EEEEDaS1K_S1L_EUlS1K_E_NS1_11comp_targetILNS1_3genE8ELNS1_11target_archE1030ELNS1_3gpuE2ELNS1_3repE0EEENS1_30default_config_static_selectorELNS0_4arch9wavefront6targetE0EEEvSY_,comdat
.Lfunc_end1310:
	.size	_ZN7rocprim17ROCPRIM_400000_NS6detail17trampoline_kernelINS0_13select_configILj256ELj13ELNS0_17block_load_methodE3ELS4_3ELS4_3ELNS0_20block_scan_algorithmE0ELj4294967295EEENS1_25partition_config_selectorILNS1_17partition_subalgoE3EjNS0_10empty_typeEbEEZZNS1_14partition_implILS8_3ELb0ES6_jNS0_17counting_iteratorIjlEEPS9_SE_NS0_5tupleIJPjSE_EEENSF_IJSE_SE_EEES9_SG_JZNS1_25segmented_radix_sort_implINS0_14default_configELb1EPKfPfPKlPlN2at6native12_GLOBAL__N_18offset_tEEE10hipError_tPvRmT1_PNSt15iterator_traitsISY_E10value_typeET2_T3_PNSZ_IS14_E10value_typeET4_jRbjT5_S1A_jjP12ihipStream_tbEUljE_EEESV_SW_SX_S14_S18_S1A_T6_T7_T9_mT8_S1C_bDpT10_ENKUlT_T0_E_clISt17integral_constantIbLb1EES1O_IbLb0EEEEDaS1K_S1L_EUlS1K_E_NS1_11comp_targetILNS1_3genE8ELNS1_11target_archE1030ELNS1_3gpuE2ELNS1_3repE0EEENS1_30default_config_static_selectorELNS0_4arch9wavefront6targetE0EEEvSY_, .Lfunc_end1310-_ZN7rocprim17ROCPRIM_400000_NS6detail17trampoline_kernelINS0_13select_configILj256ELj13ELNS0_17block_load_methodE3ELS4_3ELS4_3ELNS0_20block_scan_algorithmE0ELj4294967295EEENS1_25partition_config_selectorILNS1_17partition_subalgoE3EjNS0_10empty_typeEbEEZZNS1_14partition_implILS8_3ELb0ES6_jNS0_17counting_iteratorIjlEEPS9_SE_NS0_5tupleIJPjSE_EEENSF_IJSE_SE_EEES9_SG_JZNS1_25segmented_radix_sort_implINS0_14default_configELb1EPKfPfPKlPlN2at6native12_GLOBAL__N_18offset_tEEE10hipError_tPvRmT1_PNSt15iterator_traitsISY_E10value_typeET2_T3_PNSZ_IS14_E10value_typeET4_jRbjT5_S1A_jjP12ihipStream_tbEUljE_EEESV_SW_SX_S14_S18_S1A_T6_T7_T9_mT8_S1C_bDpT10_ENKUlT_T0_E_clISt17integral_constantIbLb1EES1O_IbLb0EEEEDaS1K_S1L_EUlS1K_E_NS1_11comp_targetILNS1_3genE8ELNS1_11target_archE1030ELNS1_3gpuE2ELNS1_3repE0EEENS1_30default_config_static_selectorELNS0_4arch9wavefront6targetE0EEEvSY_
                                        ; -- End function
	.set _ZN7rocprim17ROCPRIM_400000_NS6detail17trampoline_kernelINS0_13select_configILj256ELj13ELNS0_17block_load_methodE3ELS4_3ELS4_3ELNS0_20block_scan_algorithmE0ELj4294967295EEENS1_25partition_config_selectorILNS1_17partition_subalgoE3EjNS0_10empty_typeEbEEZZNS1_14partition_implILS8_3ELb0ES6_jNS0_17counting_iteratorIjlEEPS9_SE_NS0_5tupleIJPjSE_EEENSF_IJSE_SE_EEES9_SG_JZNS1_25segmented_radix_sort_implINS0_14default_configELb1EPKfPfPKlPlN2at6native12_GLOBAL__N_18offset_tEEE10hipError_tPvRmT1_PNSt15iterator_traitsISY_E10value_typeET2_T3_PNSZ_IS14_E10value_typeET4_jRbjT5_S1A_jjP12ihipStream_tbEUljE_EEESV_SW_SX_S14_S18_S1A_T6_T7_T9_mT8_S1C_bDpT10_ENKUlT_T0_E_clISt17integral_constantIbLb1EES1O_IbLb0EEEEDaS1K_S1L_EUlS1K_E_NS1_11comp_targetILNS1_3genE8ELNS1_11target_archE1030ELNS1_3gpuE2ELNS1_3repE0EEENS1_30default_config_static_selectorELNS0_4arch9wavefront6targetE0EEEvSY_.num_vgpr, 0
	.set _ZN7rocprim17ROCPRIM_400000_NS6detail17trampoline_kernelINS0_13select_configILj256ELj13ELNS0_17block_load_methodE3ELS4_3ELS4_3ELNS0_20block_scan_algorithmE0ELj4294967295EEENS1_25partition_config_selectorILNS1_17partition_subalgoE3EjNS0_10empty_typeEbEEZZNS1_14partition_implILS8_3ELb0ES6_jNS0_17counting_iteratorIjlEEPS9_SE_NS0_5tupleIJPjSE_EEENSF_IJSE_SE_EEES9_SG_JZNS1_25segmented_radix_sort_implINS0_14default_configELb1EPKfPfPKlPlN2at6native12_GLOBAL__N_18offset_tEEE10hipError_tPvRmT1_PNSt15iterator_traitsISY_E10value_typeET2_T3_PNSZ_IS14_E10value_typeET4_jRbjT5_S1A_jjP12ihipStream_tbEUljE_EEESV_SW_SX_S14_S18_S1A_T6_T7_T9_mT8_S1C_bDpT10_ENKUlT_T0_E_clISt17integral_constantIbLb1EES1O_IbLb0EEEEDaS1K_S1L_EUlS1K_E_NS1_11comp_targetILNS1_3genE8ELNS1_11target_archE1030ELNS1_3gpuE2ELNS1_3repE0EEENS1_30default_config_static_selectorELNS0_4arch9wavefront6targetE0EEEvSY_.num_agpr, 0
	.set _ZN7rocprim17ROCPRIM_400000_NS6detail17trampoline_kernelINS0_13select_configILj256ELj13ELNS0_17block_load_methodE3ELS4_3ELS4_3ELNS0_20block_scan_algorithmE0ELj4294967295EEENS1_25partition_config_selectorILNS1_17partition_subalgoE3EjNS0_10empty_typeEbEEZZNS1_14partition_implILS8_3ELb0ES6_jNS0_17counting_iteratorIjlEEPS9_SE_NS0_5tupleIJPjSE_EEENSF_IJSE_SE_EEES9_SG_JZNS1_25segmented_radix_sort_implINS0_14default_configELb1EPKfPfPKlPlN2at6native12_GLOBAL__N_18offset_tEEE10hipError_tPvRmT1_PNSt15iterator_traitsISY_E10value_typeET2_T3_PNSZ_IS14_E10value_typeET4_jRbjT5_S1A_jjP12ihipStream_tbEUljE_EEESV_SW_SX_S14_S18_S1A_T6_T7_T9_mT8_S1C_bDpT10_ENKUlT_T0_E_clISt17integral_constantIbLb1EES1O_IbLb0EEEEDaS1K_S1L_EUlS1K_E_NS1_11comp_targetILNS1_3genE8ELNS1_11target_archE1030ELNS1_3gpuE2ELNS1_3repE0EEENS1_30default_config_static_selectorELNS0_4arch9wavefront6targetE0EEEvSY_.numbered_sgpr, 0
	.set _ZN7rocprim17ROCPRIM_400000_NS6detail17trampoline_kernelINS0_13select_configILj256ELj13ELNS0_17block_load_methodE3ELS4_3ELS4_3ELNS0_20block_scan_algorithmE0ELj4294967295EEENS1_25partition_config_selectorILNS1_17partition_subalgoE3EjNS0_10empty_typeEbEEZZNS1_14partition_implILS8_3ELb0ES6_jNS0_17counting_iteratorIjlEEPS9_SE_NS0_5tupleIJPjSE_EEENSF_IJSE_SE_EEES9_SG_JZNS1_25segmented_radix_sort_implINS0_14default_configELb1EPKfPfPKlPlN2at6native12_GLOBAL__N_18offset_tEEE10hipError_tPvRmT1_PNSt15iterator_traitsISY_E10value_typeET2_T3_PNSZ_IS14_E10value_typeET4_jRbjT5_S1A_jjP12ihipStream_tbEUljE_EEESV_SW_SX_S14_S18_S1A_T6_T7_T9_mT8_S1C_bDpT10_ENKUlT_T0_E_clISt17integral_constantIbLb1EES1O_IbLb0EEEEDaS1K_S1L_EUlS1K_E_NS1_11comp_targetILNS1_3genE8ELNS1_11target_archE1030ELNS1_3gpuE2ELNS1_3repE0EEENS1_30default_config_static_selectorELNS0_4arch9wavefront6targetE0EEEvSY_.num_named_barrier, 0
	.set _ZN7rocprim17ROCPRIM_400000_NS6detail17trampoline_kernelINS0_13select_configILj256ELj13ELNS0_17block_load_methodE3ELS4_3ELS4_3ELNS0_20block_scan_algorithmE0ELj4294967295EEENS1_25partition_config_selectorILNS1_17partition_subalgoE3EjNS0_10empty_typeEbEEZZNS1_14partition_implILS8_3ELb0ES6_jNS0_17counting_iteratorIjlEEPS9_SE_NS0_5tupleIJPjSE_EEENSF_IJSE_SE_EEES9_SG_JZNS1_25segmented_radix_sort_implINS0_14default_configELb1EPKfPfPKlPlN2at6native12_GLOBAL__N_18offset_tEEE10hipError_tPvRmT1_PNSt15iterator_traitsISY_E10value_typeET2_T3_PNSZ_IS14_E10value_typeET4_jRbjT5_S1A_jjP12ihipStream_tbEUljE_EEESV_SW_SX_S14_S18_S1A_T6_T7_T9_mT8_S1C_bDpT10_ENKUlT_T0_E_clISt17integral_constantIbLb1EES1O_IbLb0EEEEDaS1K_S1L_EUlS1K_E_NS1_11comp_targetILNS1_3genE8ELNS1_11target_archE1030ELNS1_3gpuE2ELNS1_3repE0EEENS1_30default_config_static_selectorELNS0_4arch9wavefront6targetE0EEEvSY_.private_seg_size, 0
	.set _ZN7rocprim17ROCPRIM_400000_NS6detail17trampoline_kernelINS0_13select_configILj256ELj13ELNS0_17block_load_methodE3ELS4_3ELS4_3ELNS0_20block_scan_algorithmE0ELj4294967295EEENS1_25partition_config_selectorILNS1_17partition_subalgoE3EjNS0_10empty_typeEbEEZZNS1_14partition_implILS8_3ELb0ES6_jNS0_17counting_iteratorIjlEEPS9_SE_NS0_5tupleIJPjSE_EEENSF_IJSE_SE_EEES9_SG_JZNS1_25segmented_radix_sort_implINS0_14default_configELb1EPKfPfPKlPlN2at6native12_GLOBAL__N_18offset_tEEE10hipError_tPvRmT1_PNSt15iterator_traitsISY_E10value_typeET2_T3_PNSZ_IS14_E10value_typeET4_jRbjT5_S1A_jjP12ihipStream_tbEUljE_EEESV_SW_SX_S14_S18_S1A_T6_T7_T9_mT8_S1C_bDpT10_ENKUlT_T0_E_clISt17integral_constantIbLb1EES1O_IbLb0EEEEDaS1K_S1L_EUlS1K_E_NS1_11comp_targetILNS1_3genE8ELNS1_11target_archE1030ELNS1_3gpuE2ELNS1_3repE0EEENS1_30default_config_static_selectorELNS0_4arch9wavefront6targetE0EEEvSY_.uses_vcc, 0
	.set _ZN7rocprim17ROCPRIM_400000_NS6detail17trampoline_kernelINS0_13select_configILj256ELj13ELNS0_17block_load_methodE3ELS4_3ELS4_3ELNS0_20block_scan_algorithmE0ELj4294967295EEENS1_25partition_config_selectorILNS1_17partition_subalgoE3EjNS0_10empty_typeEbEEZZNS1_14partition_implILS8_3ELb0ES6_jNS0_17counting_iteratorIjlEEPS9_SE_NS0_5tupleIJPjSE_EEENSF_IJSE_SE_EEES9_SG_JZNS1_25segmented_radix_sort_implINS0_14default_configELb1EPKfPfPKlPlN2at6native12_GLOBAL__N_18offset_tEEE10hipError_tPvRmT1_PNSt15iterator_traitsISY_E10value_typeET2_T3_PNSZ_IS14_E10value_typeET4_jRbjT5_S1A_jjP12ihipStream_tbEUljE_EEESV_SW_SX_S14_S18_S1A_T6_T7_T9_mT8_S1C_bDpT10_ENKUlT_T0_E_clISt17integral_constantIbLb1EES1O_IbLb0EEEEDaS1K_S1L_EUlS1K_E_NS1_11comp_targetILNS1_3genE8ELNS1_11target_archE1030ELNS1_3gpuE2ELNS1_3repE0EEENS1_30default_config_static_selectorELNS0_4arch9wavefront6targetE0EEEvSY_.uses_flat_scratch, 0
	.set _ZN7rocprim17ROCPRIM_400000_NS6detail17trampoline_kernelINS0_13select_configILj256ELj13ELNS0_17block_load_methodE3ELS4_3ELS4_3ELNS0_20block_scan_algorithmE0ELj4294967295EEENS1_25partition_config_selectorILNS1_17partition_subalgoE3EjNS0_10empty_typeEbEEZZNS1_14partition_implILS8_3ELb0ES6_jNS0_17counting_iteratorIjlEEPS9_SE_NS0_5tupleIJPjSE_EEENSF_IJSE_SE_EEES9_SG_JZNS1_25segmented_radix_sort_implINS0_14default_configELb1EPKfPfPKlPlN2at6native12_GLOBAL__N_18offset_tEEE10hipError_tPvRmT1_PNSt15iterator_traitsISY_E10value_typeET2_T3_PNSZ_IS14_E10value_typeET4_jRbjT5_S1A_jjP12ihipStream_tbEUljE_EEESV_SW_SX_S14_S18_S1A_T6_T7_T9_mT8_S1C_bDpT10_ENKUlT_T0_E_clISt17integral_constantIbLb1EES1O_IbLb0EEEEDaS1K_S1L_EUlS1K_E_NS1_11comp_targetILNS1_3genE8ELNS1_11target_archE1030ELNS1_3gpuE2ELNS1_3repE0EEENS1_30default_config_static_selectorELNS0_4arch9wavefront6targetE0EEEvSY_.has_dyn_sized_stack, 0
	.set _ZN7rocprim17ROCPRIM_400000_NS6detail17trampoline_kernelINS0_13select_configILj256ELj13ELNS0_17block_load_methodE3ELS4_3ELS4_3ELNS0_20block_scan_algorithmE0ELj4294967295EEENS1_25partition_config_selectorILNS1_17partition_subalgoE3EjNS0_10empty_typeEbEEZZNS1_14partition_implILS8_3ELb0ES6_jNS0_17counting_iteratorIjlEEPS9_SE_NS0_5tupleIJPjSE_EEENSF_IJSE_SE_EEES9_SG_JZNS1_25segmented_radix_sort_implINS0_14default_configELb1EPKfPfPKlPlN2at6native12_GLOBAL__N_18offset_tEEE10hipError_tPvRmT1_PNSt15iterator_traitsISY_E10value_typeET2_T3_PNSZ_IS14_E10value_typeET4_jRbjT5_S1A_jjP12ihipStream_tbEUljE_EEESV_SW_SX_S14_S18_S1A_T6_T7_T9_mT8_S1C_bDpT10_ENKUlT_T0_E_clISt17integral_constantIbLb1EES1O_IbLb0EEEEDaS1K_S1L_EUlS1K_E_NS1_11comp_targetILNS1_3genE8ELNS1_11target_archE1030ELNS1_3gpuE2ELNS1_3repE0EEENS1_30default_config_static_selectorELNS0_4arch9wavefront6targetE0EEEvSY_.has_recursion, 0
	.set _ZN7rocprim17ROCPRIM_400000_NS6detail17trampoline_kernelINS0_13select_configILj256ELj13ELNS0_17block_load_methodE3ELS4_3ELS4_3ELNS0_20block_scan_algorithmE0ELj4294967295EEENS1_25partition_config_selectorILNS1_17partition_subalgoE3EjNS0_10empty_typeEbEEZZNS1_14partition_implILS8_3ELb0ES6_jNS0_17counting_iteratorIjlEEPS9_SE_NS0_5tupleIJPjSE_EEENSF_IJSE_SE_EEES9_SG_JZNS1_25segmented_radix_sort_implINS0_14default_configELb1EPKfPfPKlPlN2at6native12_GLOBAL__N_18offset_tEEE10hipError_tPvRmT1_PNSt15iterator_traitsISY_E10value_typeET2_T3_PNSZ_IS14_E10value_typeET4_jRbjT5_S1A_jjP12ihipStream_tbEUljE_EEESV_SW_SX_S14_S18_S1A_T6_T7_T9_mT8_S1C_bDpT10_ENKUlT_T0_E_clISt17integral_constantIbLb1EES1O_IbLb0EEEEDaS1K_S1L_EUlS1K_E_NS1_11comp_targetILNS1_3genE8ELNS1_11target_archE1030ELNS1_3gpuE2ELNS1_3repE0EEENS1_30default_config_static_selectorELNS0_4arch9wavefront6targetE0EEEvSY_.has_indirect_call, 0
	.section	.AMDGPU.csdata,"",@progbits
; Kernel info:
; codeLenInByte = 0
; TotalNumSgprs: 0
; NumVgprs: 0
; ScratchSize: 0
; MemoryBound: 0
; FloatMode: 240
; IeeeMode: 1
; LDSByteSize: 0 bytes/workgroup (compile time only)
; SGPRBlocks: 0
; VGPRBlocks: 0
; NumSGPRsForWavesPerEU: 1
; NumVGPRsForWavesPerEU: 1
; NamedBarCnt: 0
; Occupancy: 16
; WaveLimiterHint : 0
; COMPUTE_PGM_RSRC2:SCRATCH_EN: 0
; COMPUTE_PGM_RSRC2:USER_SGPR: 2
; COMPUTE_PGM_RSRC2:TRAP_HANDLER: 0
; COMPUTE_PGM_RSRC2:TGID_X_EN: 1
; COMPUTE_PGM_RSRC2:TGID_Y_EN: 0
; COMPUTE_PGM_RSRC2:TGID_Z_EN: 0
; COMPUTE_PGM_RSRC2:TIDIG_COMP_CNT: 0
	.section	.text._ZN7rocprim17ROCPRIM_400000_NS6detail17trampoline_kernelINS0_13select_configILj256ELj13ELNS0_17block_load_methodE3ELS4_3ELS4_3ELNS0_20block_scan_algorithmE0ELj4294967295EEENS1_25partition_config_selectorILNS1_17partition_subalgoE3EjNS0_10empty_typeEbEEZZNS1_14partition_implILS8_3ELb0ES6_jNS0_17counting_iteratorIjlEEPS9_SE_NS0_5tupleIJPjSE_EEENSF_IJSE_SE_EEES9_SG_JZNS1_25segmented_radix_sort_implINS0_14default_configELb1EPKfPfPKlPlN2at6native12_GLOBAL__N_18offset_tEEE10hipError_tPvRmT1_PNSt15iterator_traitsISY_E10value_typeET2_T3_PNSZ_IS14_E10value_typeET4_jRbjT5_S1A_jjP12ihipStream_tbEUljE_EEESV_SW_SX_S14_S18_S1A_T6_T7_T9_mT8_S1C_bDpT10_ENKUlT_T0_E_clISt17integral_constantIbLb0EES1O_IbLb1EEEEDaS1K_S1L_EUlS1K_E_NS1_11comp_targetILNS1_3genE0ELNS1_11target_archE4294967295ELNS1_3gpuE0ELNS1_3repE0EEENS1_30default_config_static_selectorELNS0_4arch9wavefront6targetE0EEEvSY_,"axG",@progbits,_ZN7rocprim17ROCPRIM_400000_NS6detail17trampoline_kernelINS0_13select_configILj256ELj13ELNS0_17block_load_methodE3ELS4_3ELS4_3ELNS0_20block_scan_algorithmE0ELj4294967295EEENS1_25partition_config_selectorILNS1_17partition_subalgoE3EjNS0_10empty_typeEbEEZZNS1_14partition_implILS8_3ELb0ES6_jNS0_17counting_iteratorIjlEEPS9_SE_NS0_5tupleIJPjSE_EEENSF_IJSE_SE_EEES9_SG_JZNS1_25segmented_radix_sort_implINS0_14default_configELb1EPKfPfPKlPlN2at6native12_GLOBAL__N_18offset_tEEE10hipError_tPvRmT1_PNSt15iterator_traitsISY_E10value_typeET2_T3_PNSZ_IS14_E10value_typeET4_jRbjT5_S1A_jjP12ihipStream_tbEUljE_EEESV_SW_SX_S14_S18_S1A_T6_T7_T9_mT8_S1C_bDpT10_ENKUlT_T0_E_clISt17integral_constantIbLb0EES1O_IbLb1EEEEDaS1K_S1L_EUlS1K_E_NS1_11comp_targetILNS1_3genE0ELNS1_11target_archE4294967295ELNS1_3gpuE0ELNS1_3repE0EEENS1_30default_config_static_selectorELNS0_4arch9wavefront6targetE0EEEvSY_,comdat
	.globl	_ZN7rocprim17ROCPRIM_400000_NS6detail17trampoline_kernelINS0_13select_configILj256ELj13ELNS0_17block_load_methodE3ELS4_3ELS4_3ELNS0_20block_scan_algorithmE0ELj4294967295EEENS1_25partition_config_selectorILNS1_17partition_subalgoE3EjNS0_10empty_typeEbEEZZNS1_14partition_implILS8_3ELb0ES6_jNS0_17counting_iteratorIjlEEPS9_SE_NS0_5tupleIJPjSE_EEENSF_IJSE_SE_EEES9_SG_JZNS1_25segmented_radix_sort_implINS0_14default_configELb1EPKfPfPKlPlN2at6native12_GLOBAL__N_18offset_tEEE10hipError_tPvRmT1_PNSt15iterator_traitsISY_E10value_typeET2_T3_PNSZ_IS14_E10value_typeET4_jRbjT5_S1A_jjP12ihipStream_tbEUljE_EEESV_SW_SX_S14_S18_S1A_T6_T7_T9_mT8_S1C_bDpT10_ENKUlT_T0_E_clISt17integral_constantIbLb0EES1O_IbLb1EEEEDaS1K_S1L_EUlS1K_E_NS1_11comp_targetILNS1_3genE0ELNS1_11target_archE4294967295ELNS1_3gpuE0ELNS1_3repE0EEENS1_30default_config_static_selectorELNS0_4arch9wavefront6targetE0EEEvSY_ ; -- Begin function _ZN7rocprim17ROCPRIM_400000_NS6detail17trampoline_kernelINS0_13select_configILj256ELj13ELNS0_17block_load_methodE3ELS4_3ELS4_3ELNS0_20block_scan_algorithmE0ELj4294967295EEENS1_25partition_config_selectorILNS1_17partition_subalgoE3EjNS0_10empty_typeEbEEZZNS1_14partition_implILS8_3ELb0ES6_jNS0_17counting_iteratorIjlEEPS9_SE_NS0_5tupleIJPjSE_EEENSF_IJSE_SE_EEES9_SG_JZNS1_25segmented_radix_sort_implINS0_14default_configELb1EPKfPfPKlPlN2at6native12_GLOBAL__N_18offset_tEEE10hipError_tPvRmT1_PNSt15iterator_traitsISY_E10value_typeET2_T3_PNSZ_IS14_E10value_typeET4_jRbjT5_S1A_jjP12ihipStream_tbEUljE_EEESV_SW_SX_S14_S18_S1A_T6_T7_T9_mT8_S1C_bDpT10_ENKUlT_T0_E_clISt17integral_constantIbLb0EES1O_IbLb1EEEEDaS1K_S1L_EUlS1K_E_NS1_11comp_targetILNS1_3genE0ELNS1_11target_archE4294967295ELNS1_3gpuE0ELNS1_3repE0EEENS1_30default_config_static_selectorELNS0_4arch9wavefront6targetE0EEEvSY_
	.p2align	8
	.type	_ZN7rocprim17ROCPRIM_400000_NS6detail17trampoline_kernelINS0_13select_configILj256ELj13ELNS0_17block_load_methodE3ELS4_3ELS4_3ELNS0_20block_scan_algorithmE0ELj4294967295EEENS1_25partition_config_selectorILNS1_17partition_subalgoE3EjNS0_10empty_typeEbEEZZNS1_14partition_implILS8_3ELb0ES6_jNS0_17counting_iteratorIjlEEPS9_SE_NS0_5tupleIJPjSE_EEENSF_IJSE_SE_EEES9_SG_JZNS1_25segmented_radix_sort_implINS0_14default_configELb1EPKfPfPKlPlN2at6native12_GLOBAL__N_18offset_tEEE10hipError_tPvRmT1_PNSt15iterator_traitsISY_E10value_typeET2_T3_PNSZ_IS14_E10value_typeET4_jRbjT5_S1A_jjP12ihipStream_tbEUljE_EEESV_SW_SX_S14_S18_S1A_T6_T7_T9_mT8_S1C_bDpT10_ENKUlT_T0_E_clISt17integral_constantIbLb0EES1O_IbLb1EEEEDaS1K_S1L_EUlS1K_E_NS1_11comp_targetILNS1_3genE0ELNS1_11target_archE4294967295ELNS1_3gpuE0ELNS1_3repE0EEENS1_30default_config_static_selectorELNS0_4arch9wavefront6targetE0EEEvSY_,@function
_ZN7rocprim17ROCPRIM_400000_NS6detail17trampoline_kernelINS0_13select_configILj256ELj13ELNS0_17block_load_methodE3ELS4_3ELS4_3ELNS0_20block_scan_algorithmE0ELj4294967295EEENS1_25partition_config_selectorILNS1_17partition_subalgoE3EjNS0_10empty_typeEbEEZZNS1_14partition_implILS8_3ELb0ES6_jNS0_17counting_iteratorIjlEEPS9_SE_NS0_5tupleIJPjSE_EEENSF_IJSE_SE_EEES9_SG_JZNS1_25segmented_radix_sort_implINS0_14default_configELb1EPKfPfPKlPlN2at6native12_GLOBAL__N_18offset_tEEE10hipError_tPvRmT1_PNSt15iterator_traitsISY_E10value_typeET2_T3_PNSZ_IS14_E10value_typeET4_jRbjT5_S1A_jjP12ihipStream_tbEUljE_EEESV_SW_SX_S14_S18_S1A_T6_T7_T9_mT8_S1C_bDpT10_ENKUlT_T0_E_clISt17integral_constantIbLb0EES1O_IbLb1EEEEDaS1K_S1L_EUlS1K_E_NS1_11comp_targetILNS1_3genE0ELNS1_11target_archE4294967295ELNS1_3gpuE0ELNS1_3repE0EEENS1_30default_config_static_selectorELNS0_4arch9wavefront6targetE0EEEvSY_: ; @_ZN7rocprim17ROCPRIM_400000_NS6detail17trampoline_kernelINS0_13select_configILj256ELj13ELNS0_17block_load_methodE3ELS4_3ELS4_3ELNS0_20block_scan_algorithmE0ELj4294967295EEENS1_25partition_config_selectorILNS1_17partition_subalgoE3EjNS0_10empty_typeEbEEZZNS1_14partition_implILS8_3ELb0ES6_jNS0_17counting_iteratorIjlEEPS9_SE_NS0_5tupleIJPjSE_EEENSF_IJSE_SE_EEES9_SG_JZNS1_25segmented_radix_sort_implINS0_14default_configELb1EPKfPfPKlPlN2at6native12_GLOBAL__N_18offset_tEEE10hipError_tPvRmT1_PNSt15iterator_traitsISY_E10value_typeET2_T3_PNSZ_IS14_E10value_typeET4_jRbjT5_S1A_jjP12ihipStream_tbEUljE_EEESV_SW_SX_S14_S18_S1A_T6_T7_T9_mT8_S1C_bDpT10_ENKUlT_T0_E_clISt17integral_constantIbLb0EES1O_IbLb1EEEEDaS1K_S1L_EUlS1K_E_NS1_11comp_targetILNS1_3genE0ELNS1_11target_archE4294967295ELNS1_3gpuE0ELNS1_3repE0EEENS1_30default_config_static_selectorELNS0_4arch9wavefront6targetE0EEEvSY_
; %bb.0:
	s_clause 0x5
	s_load_b64 s[16:17], s[0:1], 0x10
	s_load_b128 s[12:15], s[0:1], 0x48
	s_load_b64 s[18:19], s[0:1], 0x58
	s_load_b64 s[20:21], s[0:1], 0x68
	s_load_b32 s3, s[0:1], 0x90
	s_load_b128 s[4:7], s[0:1], 0x80
	v_cmp_eq_u32_e64 s2, 0, v0
	s_and_saveexec_b32 s8, s2
	s_cbranch_execz .LBB1311_4
; %bb.1:
	s_mov_b32 s10, exec_lo
	s_mov_b32 s9, exec_lo
	v_mbcnt_lo_u32_b32 v1, s10, 0
                                        ; implicit-def: $vgpr2
	s_delay_alu instid0(VALU_DEP_1)
	v_cmpx_eq_u32_e32 0, v1
	s_cbranch_execz .LBB1311_3
; %bb.2:
	s_load_b64 s[22:23], s[0:1], 0x78
	s_bcnt1_i32_b32 s10, s10
	s_delay_alu instid0(SALU_CYCLE_1)
	v_dual_mov_b32 v2, 0 :: v_dual_mov_b32 v3, s10
	s_wait_xcnt 0x0
	s_wait_kmcnt 0x0
	global_atomic_add_u32 v2, v2, v3, s[22:23] th:TH_ATOMIC_RETURN scope:SCOPE_DEV
.LBB1311_3:
	s_wait_xcnt 0x0
	s_or_b32 exec_lo, exec_lo, s9
	s_wait_loadcnt 0x0
	v_readfirstlane_b32 s9, v2
	s_delay_alu instid0(VALU_DEP_1)
	v_dual_mov_b32 v2, 0 :: v_dual_add_nc_u32 v1, s9, v1
	ds_store_b32 v2, v1
.LBB1311_4:
	s_or_b32 exec_lo, exec_lo, s8
	v_dual_mov_b32 v1, 0 :: v_dual_lshlrev_b32 v19, 2, v0
	s_clause 0x2
	s_load_b32 s8, s[0:1], 0x8
	s_load_b64 s[10:11], s[0:1], 0x28
	s_load_b32 s9, s[0:1], 0x70
	s_wait_dscnt 0x0
	s_barrier_signal -1
	s_barrier_wait -1
	ds_load_b32 v4, v1
	s_wait_dscnt 0x0
	s_barrier_signal -1
	s_barrier_wait -1
	s_wait_kmcnt 0x0
	global_load_b64 v[42:43], v1, s[14:15]
	s_mov_b32 s1, 0
	s_add_co_i32 s8, s8, s16
	s_mul_i32 s0, s9, 0xd00
	s_add_co_i32 s9, s9, -1
	s_wait_xcnt 0x0
	s_add_nc_u64 s[14:15], s[16:17], s[0:1]
	s_add_co_i32 s0, s0, s16
	v_cmp_gt_u64_e64 s1, s[18:19], s[14:15]
	v_readfirstlane_b32 s23, v4
	s_sub_co_i32 s22, s18, s0
	v_cmp_ne_u32_e32 vcc_lo, s9, v4
	s_addk_co_i32 s22, 0xd00
	s_mov_b32 s15, -1
	s_cmp_eq_u32 s23, s9
	s_mul_i32 s14, s23, 0xd00
	s_cselect_b32 s9, -1, 0
	s_or_b32 s1, s1, vcc_lo
	s_delay_alu instid0(SALU_CYCLE_1)
	s_and_b32 vcc_lo, exec_lo, s1
	s_cbranch_vccz .LBB1311_6
; %bb.5:
	v_add3_u32 v1, s14, s8, v0
	s_mov_b32 s15, 0
	s_delay_alu instid0(VALU_DEP_1)
	v_add_nc_u32_e32 v2, 0x100, v1
	v_add_nc_u32_e32 v3, 0x200, v1
	;; [unrolled: 1-line block ×12, first 2 shown]
	ds_store_2addr_stride64_b32 v19, v1, v2 offset1:4
	ds_store_2addr_stride64_b32 v19, v3, v5 offset0:8 offset1:12
	ds_store_2addr_stride64_b32 v19, v6, v7 offset0:16 offset1:20
	;; [unrolled: 1-line block ×5, first 2 shown]
	ds_store_b32 v19, v14 offset:12288
	s_wait_loadcnt_dscnt 0x0
	s_barrier_signal -1
	s_barrier_wait -1
.LBB1311_6:
	v_cmp_gt_u32_e64 s0, s22, v0
	v_or_b32_e32 v40, 0x100, v0
	v_or_b32_e32 v38, 0x200, v0
	;; [unrolled: 1-line block ×12, first 2 shown]
	s_and_not1_b32 vcc_lo, exec_lo, s15
	s_cbranch_vccnz .LBB1311_8
; %bb.7:
	s_add_co_i32 s8, s14, s8
	v_cmp_gt_u32_e32 vcc_lo, s22, v40
	v_dual_add_nc_u32 v1, s8, v0 :: v_dual_add_nc_u32 v3, s8, v38
	v_dual_add_nc_u32 v2, s8, v40 :: v_dual_add_nc_u32 v8, s8, v30
	s_delay_alu instid0(VALU_DEP_2) | instskip(NEXT) | instid1(VALU_DEP_2)
	v_dual_add_nc_u32 v9, s8, v28 :: v_dual_cndmask_b32 v1, 0, v1, s0
	v_dual_cndmask_b32 v2, 0, v2 :: v_dual_add_nc_u32 v5, s8, v36
	v_cmp_gt_u32_e32 vcc_lo, s22, v38
	v_dual_add_nc_u32 v12, s8, v22 :: v_dual_add_nc_u32 v13, s8, v20
	v_dual_add_nc_u32 v6, s8, v34 :: v_dual_add_nc_u32 v7, s8, v32
	v_cndmask_b32_e32 v3, 0, v3, vcc_lo
	v_cmp_gt_u32_e32 vcc_lo, s22, v36
	v_dual_add_nc_u32 v10, s8, v26 :: v_dual_add_nc_u32 v11, s8, v24
	v_cndmask_b32_e32 v5, 0, v5, vcc_lo
	v_cmp_gt_u32_e32 vcc_lo, s22, v34
	v_cndmask_b32_e32 v6, 0, v6, vcc_lo
	v_cmp_gt_u32_e32 vcc_lo, s22, v32
	;; [unrolled: 2-line block ×7, first 2 shown]
	v_dual_add_nc_u32 v14, s8, v18 :: v_dual_cndmask_b32 v12, 0, v12, vcc_lo
	v_cmp_gt_u32_e32 vcc_lo, s22, v20
	v_cndmask_b32_e32 v13, 0, v13, vcc_lo
	v_cmp_gt_u32_e32 vcc_lo, s22, v18
	s_delay_alu instid0(VALU_DEP_4)
	v_cndmask_b32_e32 v14, 0, v14, vcc_lo
	ds_store_2addr_stride64_b32 v19, v1, v2 offset1:4
	ds_store_2addr_stride64_b32 v19, v3, v5 offset0:8 offset1:12
	ds_store_2addr_stride64_b32 v19, v6, v7 offset0:16 offset1:20
	;; [unrolled: 1-line block ×5, first 2 shown]
	ds_store_b32 v19, v14 offset:12288
	s_wait_loadcnt_dscnt 0x0
	s_barrier_signal -1
	s_barrier_wait -1
.LBB1311_8:
	v_mul_u32_u24_e32 v23, 13, v0
	s_wait_loadcnt 0x0
	v_cndmask_b32_e64 v21, 0, 1, s1
	s_and_not1_b32 vcc_lo, exec_lo, s1
	s_delay_alu instid0(VALU_DEP_2)
	v_lshlrev_b32_e32 v2, 2, v23
	ds_load_2addr_b32 v[52:53], v2 offset0:2 offset1:3
	ds_load_2addr_b32 v[48:49], v2 offset0:6 offset1:7
	;; [unrolled: 1-line block ×3, first 2 shown]
	ds_load_2addr_b32 v[54:55], v2 offset1:1
	ds_load_2addr_b32 v[44:45], v2 offset0:10 offset1:11
	ds_load_b32 v1, v2 offset:48
	ds_load_2addr_b32 v[46:47], v2 offset0:8 offset1:9
	s_wait_dscnt 0x0
	s_barrier_signal -1
	s_barrier_wait -1
	s_cbranch_vccnz .LBB1311_10
; %bb.9:
	v_dual_add_nc_u32 v2, s5, v53 :: v_dual_add_nc_u32 v3, s5, v55
	v_dual_add_nc_u32 v5, s5, v54 :: v_dual_add_nc_u32 v6, s5, v52
	v_dual_add_nc_u32 v7, s7, v53 :: v_dual_add_nc_u32 v8, s7, v55
	v_dual_add_nc_u32 v9, s7, v54 :: v_dual_add_nc_u32 v10, s7, v52
	s_delay_alu instid0(VALU_DEP_3) | instskip(NEXT) | instid1(VALU_DEP_4)
	v_mul_lo_u32 v6, v6, s4
	v_mul_lo_u32 v5, v5, s4
	;; [unrolled: 1-line block ×8, first 2 shown]
	v_dual_add_nc_u32 v11, s5, v50 :: v_dual_add_nc_u32 v12, s7, v50
	v_dual_add_nc_u32 v13, s5, v48 :: v_dual_add_nc_u32 v15, s7, v45
	v_add_nc_u32_e32 v16, s5, v44
	s_delay_alu instid0(VALU_DEP_3) | instskip(NEXT) | instid1(VALU_DEP_4)
	v_mul_lo_u32 v11, v11, s4
	v_mul_lo_u32 v12, v12, s6
	v_dual_sub_nc_u32 v2, v2, v7 :: v_dual_sub_nc_u32 v3, v3, v8
	v_dual_sub_nc_u32 v5, v5, v9 :: v_dual_sub_nc_u32 v6, v6, v10
	v_dual_add_nc_u32 v7, s5, v51 :: v_dual_add_nc_u32 v8, s7, v51
	v_dual_add_nc_u32 v9, s5, v49 :: v_dual_add_nc_u32 v10, s7, v49
	s_delay_alu instid0(VALU_DEP_4) | instskip(NEXT) | instid1(VALU_DEP_3)
	v_cmp_lt_u32_e32 vcc_lo, s3, v2
	v_mul_lo_u32 v7, v7, s4
	s_delay_alu instid0(VALU_DEP_4) | instskip(NEXT) | instid1(VALU_DEP_4)
	v_mul_lo_u32 v8, v8, s6
	v_mul_lo_u32 v9, v9, s4
	;; [unrolled: 1-line block ×3, first 2 shown]
	v_cndmask_b32_e64 v2, 0, 1, vcc_lo
	v_cmp_lt_u32_e32 vcc_lo, s3, v3
	v_dual_add_nc_u32 v17, s7, v47 :: v_dual_add_nc_u32 v25, s7, v46
	v_mul_lo_u32 v15, v15, s6
	v_add_nc_u32_e32 v14, s5, v46
	v_cndmask_b32_e64 v3, 0, 1, vcc_lo
	s_delay_alu instid0(VALU_DEP_4) | instskip(SKIP_4) | instid1(VALU_DEP_3)
	v_mul_lo_u32 v17, v17, s6
	v_sub_nc_u32_e32 v7, v7, v8
	v_dual_add_nc_u32 v8, s7, v48 :: v_dual_sub_nc_u32 v9, v9, v10
	v_dual_sub_nc_u32 v10, v11, v12 :: v_dual_add_nc_u32 v11, s5, v45
	v_mul_lo_u32 v13, v13, s4
	v_mul_lo_u32 v8, v8, s6
	v_add_nc_u32_e32 v12, s5, v47
	v_cmp_lt_u32_e32 vcc_lo, s3, v7
	v_mul_lo_u32 v11, v11, s4
	v_lshlrev_b16 v3, 8, v3
	v_mul_lo_u32 v14, v14, s4
	v_mul_lo_u32 v12, v12, s4
	v_cndmask_b32_e64 v7, 0, 1, vcc_lo
	v_cmp_lt_u32_e32 vcc_lo, s3, v9
	v_lshrrev_b32_e32 v3, 8, v3
	v_mul_lo_u32 v25, v25, s6
	v_sub_nc_u32_e32 v8, v13, v8
	v_lshlrev_b16 v7, 8, v7
	v_cndmask_b32_e64 v9, 0, 1, vcc_lo
	v_sub_nc_u32_e32 v11, v11, v15
	v_cmp_lt_u32_e32 vcc_lo, s3, v5
	s_delay_alu instid0(VALU_DEP_4)
	v_dual_add_nc_u32 v27, s7, v44 :: v_dual_lshrrev_b32 v7, 8, v7
	v_sub_nc_u32_e32 v12, v12, v17
	v_mul_lo_u32 v13, v16, s4
	v_cndmask_b32_e64 v5, 0, 1, vcc_lo
	v_cmp_lt_u32_e32 vcc_lo, s3, v11
	v_mul_lo_u32 v16, v27, s6
	v_dual_add_nc_u32 v15, s5, v1 :: v_dual_add_nc_u32 v27, s7, v1
	v_lshlrev_b16 v2, 8, v2
	v_cndmask_b32_e64 v11, 0, 1, vcc_lo
	v_cmp_lt_u32_e32 vcc_lo, s3, v12
	s_delay_alu instid0(VALU_DEP_4)
	v_mul_lo_u32 v15, v15, s4
	v_mul_lo_u32 v17, v27, s6
	v_sub_nc_u32_e32 v14, v14, v25
	v_lshlrev_b16 v3, 8, v3
	v_cndmask_b32_e64 v12, 0, 1, vcc_lo
	v_cmp_lt_u32_e32 vcc_lo, s3, v6
	v_dual_sub_nc_u32 v13, v13, v16 :: v_dual_lshrrev_b32 v2, 8, v2
	s_delay_alu instid0(VALU_DEP_4)
	v_or_b32_e32 v3, v5, v3
	v_lshlrev_b16 v5, 8, v11
	v_cndmask_b32_e64 v6, 0, 1, vcc_lo
	v_cmp_lt_u32_e32 vcc_lo, s3, v10
	v_lshlrev_b16 v11, 8, v12
	v_lshlrev_b16 v9, 8, v9
	v_sub_nc_u32_e32 v12, v15, v17
	v_lshlrev_b16 v2, 8, v2
	v_cndmask_b32_e64 v10, 0, 1, vcc_lo
	v_cmp_lt_u32_e32 vcc_lo, s3, v8
	v_lshlrev_b16 v7, 8, v7
	v_dual_lshrrev_b32 v11, 8, v11 :: v_dual_lshrrev_b32 v5, 8, v5
	v_or_b32_e32 v2, v6, v2
	v_cndmask_b32_e64 v8, 0, 1, vcc_lo
	v_cmp_lt_u32_e32 vcc_lo, s3, v14
	s_delay_alu instid0(VALU_DEP_4)
	v_lshlrev_b16 v11, 8, v11
	v_lshlrev_b16 v5, 8, v5
	v_dual_lshlrev_b32 v2, 16, v2 :: v_dual_bitop2_b32 v6, v10, v7 bitop3:0x54
	v_cndmask_b32_e64 v14, 0, 1, vcc_lo
	v_cmp_lt_u32_e32 vcc_lo, s3, v13
	v_or_b32_e32 v7, v8, v9
	v_and_b32_e32 v3, 0xffff, v3
	v_and_b32_e32 v6, 0xffff, v6
	v_cndmask_b32_e64 v13, 0, 1, vcc_lo
	s_delay_alu instid0(VALU_DEP_4) | instskip(SKIP_2) | instid1(VALU_DEP_4)
	v_lshlrev_b32_e32 v7, 16, v7
	v_cmp_lt_u32_e32 vcc_lo, s3, v12
	v_or_b32_e32 v35, v3, v2
	v_or_b32_e32 v5, v13, v5
	;; [unrolled: 1-line block ×3, first 2 shown]
	v_cndmask_b32_e64 v25, 0, 1, vcc_lo
	s_delay_alu instid0(VALU_DEP_3) | instskip(NEXT) | instid1(VALU_DEP_3)
	v_dual_lshlrev_b32 v5, 16, v5 :: v_dual_bitop2_b32 v31, v6, v7 bitop3:0x54
	v_and_b32_e32 v8, 0xffff, v8
	s_delay_alu instid0(VALU_DEP_1)
	v_or_b32_e32 v27, v8, v5
	s_cbranch_execz .LBB1311_11
	s_branch .LBB1311_38
.LBB1311_10:
                                        ; implicit-def: $vgpr25
                                        ; implicit-def: $vgpr27
                                        ; implicit-def: $vgpr31
                                        ; implicit-def: $vgpr35
.LBB1311_11:
	v_dual_mov_b32 v3, 0 :: v_dual_mov_b32 v2, 0
	s_mov_b32 s0, exec_lo
	v_cmpx_gt_u32_e64 s22, v23
	s_cbranch_execz .LBB1311_13
; %bb.12:
	v_dual_add_nc_u32 v2, s5, v54 :: v_dual_add_nc_u32 v5, s7, v54
	s_delay_alu instid0(VALU_DEP_1) | instskip(NEXT) | instid1(VALU_DEP_2)
	v_mul_lo_u32 v2, v2, s4
	v_mul_lo_u32 v5, v5, s6
	s_delay_alu instid0(VALU_DEP_1) | instskip(NEXT) | instid1(VALU_DEP_1)
	v_sub_nc_u32_e32 v2, v2, v5
	v_cmp_lt_u32_e32 vcc_lo, s3, v2
	v_cndmask_b32_e64 v2, 0, 1, vcc_lo
.LBB1311_13:
	s_or_b32 exec_lo, exec_lo, s0
	v_add_nc_u32_e32 v5, 1, v23
	s_mov_b32 s0, exec_lo
	s_delay_alu instid0(VALU_DEP_1)
	v_cmpx_gt_u32_e64 s22, v5
	s_cbranch_execz .LBB1311_15
; %bb.14:
	v_dual_add_nc_u32 v3, s5, v55 :: v_dual_add_nc_u32 v5, s7, v55
	s_delay_alu instid0(VALU_DEP_1) | instskip(NEXT) | instid1(VALU_DEP_2)
	v_mul_lo_u32 v3, v3, s4
	v_mul_lo_u32 v5, v5, s6
	s_delay_alu instid0(VALU_DEP_1) | instskip(NEXT) | instid1(VALU_DEP_1)
	v_sub_nc_u32_e32 v3, v3, v5
	v_cmp_lt_u32_e32 vcc_lo, s3, v3
	v_cndmask_b32_e64 v3, 0, 1, vcc_lo
.LBB1311_15:
	s_or_b32 exec_lo, exec_lo, s0
	v_dual_mov_b32 v6, 0 :: v_dual_add_nc_u32 v5, 2, v23
	s_delay_alu instid0(VALU_DEP_1)
	v_cmp_gt_u32_e32 vcc_lo, s22, v5
	v_mov_b32_e32 v5, 0
	s_and_saveexec_b32 s0, vcc_lo
	s_cbranch_execz .LBB1311_17
; %bb.16:
	v_dual_add_nc_u32 v5, s5, v52 :: v_dual_add_nc_u32 v7, s7, v52
	s_delay_alu instid0(VALU_DEP_1) | instskip(NEXT) | instid1(VALU_DEP_2)
	v_mul_lo_u32 v5, v5, s4
	v_mul_lo_u32 v7, v7, s6
	s_delay_alu instid0(VALU_DEP_1) | instskip(NEXT) | instid1(VALU_DEP_1)
	v_sub_nc_u32_e32 v5, v5, v7
	v_cmp_lt_u32_e32 vcc_lo, s3, v5
	v_cndmask_b32_e64 v5, 0, 1, vcc_lo
.LBB1311_17:
	s_or_b32 exec_lo, exec_lo, s0
	v_add_nc_u32_e32 v7, 3, v23
	s_mov_b32 s0, exec_lo
	s_delay_alu instid0(VALU_DEP_1)
	v_cmpx_gt_u32_e64 s22, v7
	s_cbranch_execz .LBB1311_19
; %bb.18:
	v_dual_add_nc_u32 v6, s5, v53 :: v_dual_add_nc_u32 v7, s7, v53
	s_delay_alu instid0(VALU_DEP_1) | instskip(NEXT) | instid1(VALU_DEP_2)
	v_mul_lo_u32 v6, v6, s4
	v_mul_lo_u32 v7, v7, s6
	s_delay_alu instid0(VALU_DEP_1) | instskip(NEXT) | instid1(VALU_DEP_1)
	v_sub_nc_u32_e32 v6, v6, v7
	v_cmp_lt_u32_e32 vcc_lo, s3, v6
	v_cndmask_b32_e64 v6, 0, 1, vcc_lo
.LBB1311_19:
	s_or_b32 exec_lo, exec_lo, s0
	v_dual_mov_b32 v8, 0 :: v_dual_add_nc_u32 v7, 4, v23
	s_delay_alu instid0(VALU_DEP_1)
	v_cmp_gt_u32_e32 vcc_lo, s22, v7
	v_mov_b32_e32 v7, 0
	s_and_saveexec_b32 s0, vcc_lo
	;; [unrolled: 33-line block ×5, first 2 shown]
	s_cbranch_execz .LBB1311_33
; %bb.32:
	v_dual_add_nc_u32 v13, s5, v44 :: v_dual_add_nc_u32 v15, s7, v44
	s_delay_alu instid0(VALU_DEP_1) | instskip(NEXT) | instid1(VALU_DEP_2)
	v_mul_lo_u32 v13, v13, s4
	v_mul_lo_u32 v15, v15, s6
	s_delay_alu instid0(VALU_DEP_1) | instskip(NEXT) | instid1(VALU_DEP_1)
	v_sub_nc_u32_e32 v13, v13, v15
	v_cmp_lt_u32_e32 vcc_lo, s3, v13
	v_cndmask_b32_e64 v13, 0, 1, vcc_lo
.LBB1311_33:
	s_or_b32 exec_lo, exec_lo, s0
	v_add_nc_u32_e32 v15, 11, v23
	s_mov_b32 s0, exec_lo
	s_delay_alu instid0(VALU_DEP_1)
	v_cmpx_gt_u32_e64 s22, v15
	s_cbranch_execz .LBB1311_35
; %bb.34:
	v_dual_add_nc_u32 v14, s5, v45 :: v_dual_add_nc_u32 v15, s7, v45
	s_delay_alu instid0(VALU_DEP_1) | instskip(NEXT) | instid1(VALU_DEP_2)
	v_mul_lo_u32 v14, v14, s4
	v_mul_lo_u32 v15, v15, s6
	s_delay_alu instid0(VALU_DEP_1) | instskip(NEXT) | instid1(VALU_DEP_1)
	v_sub_nc_u32_e32 v14, v14, v15
	v_cmp_lt_u32_e32 vcc_lo, s3, v14
	v_cndmask_b32_e64 v14, 0, 1, vcc_lo
.LBB1311_35:
	s_or_b32 exec_lo, exec_lo, s0
	v_dual_add_nc_u32 v15, 12, v23 :: v_dual_mov_b32 v25, 0
	s_mov_b32 s0, exec_lo
	s_delay_alu instid0(VALU_DEP_1)
	v_cmpx_gt_u32_e64 s22, v15
	s_cbranch_execz .LBB1311_37
; %bb.36:
	v_dual_add_nc_u32 v15, s7, v1 :: v_dual_add_nc_u32 v16, s5, v1
	s_delay_alu instid0(VALU_DEP_1) | instskip(NEXT) | instid1(VALU_DEP_2)
	v_mul_lo_u32 v15, v15, s6
	v_mul_lo_u32 v16, v16, s4
	s_delay_alu instid0(VALU_DEP_1) | instskip(NEXT) | instid1(VALU_DEP_1)
	v_sub_nc_u32_e32 v15, v16, v15
	v_cmp_lt_u32_e32 vcc_lo, s3, v15
	v_cndmask_b32_e64 v25, 0, 1, vcc_lo
.LBB1311_37:
	s_or_b32 exec_lo, exec_lo, s0
	v_lshlrev_b16 v6, 8, v6
	v_lshlrev_b16 v8, 8, v8
	;; [unrolled: 1-line block ×5, first 2 shown]
	v_or_b32_e32 v5, v5, v6
	v_or_b32_e32 v6, v7, v8
	;; [unrolled: 1-line block ×3, first 2 shown]
	s_delay_alu instid0(VALU_DEP_1) | instskip(NEXT) | instid1(VALU_DEP_4)
	v_dual_lshlrev_b32 v7, 16, v7 :: v_dual_bitop2_b32 v8, v11, v12 bitop3:0x54
	v_dual_lshlrev_b32 v5, 16, v5 :: v_dual_bitop2_b32 v2, v2, v3 bitop3:0x54
	v_lshlrev_b16 v3, 8, v14
	s_delay_alu instid0(VALU_DEP_3) | instskip(NEXT) | instid1(VALU_DEP_3)
	v_and_b32_e32 v8, 0xffff, v8
	v_and_b32_e32 v2, 0xffff, v2
	s_delay_alu instid0(VALU_DEP_3) | instskip(NEXT) | instid1(VALU_DEP_1)
	v_or_b32_e32 v3, v13, v3
	v_dual_lshlrev_b32 v3, 16, v3 :: v_dual_bitop2_b32 v35, v2, v5 bitop3:0x54
	v_and_b32_e32 v6, 0xffff, v6
	s_delay_alu instid0(VALU_DEP_2) | instskip(NEXT) | instid1(VALU_DEP_2)
	v_or_b32_e32 v27, v8, v3
	v_or_b32_e32 v31, v6, v7
.LBB1311_38:
	s_delay_alu instid0(VALU_DEP_4) | instskip(SKIP_2) | instid1(VALU_DEP_4)
	v_bfe_u32 v39, v35, 16, 8
	v_bfe_u32 v41, v35, 8, 8
	v_and_b32_e32 v57, 0xff, v35
	v_and_b32_e32 v58, 0xff, v31
	v_mbcnt_lo_u32_b32 v64, -1, 0
	v_lshrrev_b32_e32 v37, 24, v35
	v_bfe_u32 v59, v31, 16, 8
	v_add3_u32 v2, v41, v57, v39
	v_bfe_u32 v60, v31, 8, 8
	v_dual_lshrrev_b32 v33, 24, v31 :: v_dual_bitop2_b32 v5, 15, v64 bitop3:0x40
	v_lshrrev_b32_e32 v65, 5, v0
	s_delay_alu instid0(VALU_DEP_4)
	v_add3_u32 v2, v2, v37, v58
	v_and_b32_e32 v61, 0xff, v27
	v_bfe_u32 v62, v27, 16, 8
	v_bfe_u32 v63, v27, 8, 8
	v_dual_lshrrev_b32 v29, 24, v27 :: v_dual_bitop2_b32 v6, 31, v0 bitop3:0x54
	v_add3_u32 v2, v2, v60, v59
	v_and_b32_e32 v3, 0xff, v25
	v_and_b32_e32 v7, 16, v64
	v_cmp_ne_u32_e32 vcc_lo, 0, v4
	v_cmp_eq_u32_e64 s6, 0, v5
	v_add3_u32 v2, v2, v33, v61
	v_cmp_lt_u32_e64 s5, 1, v5
	v_cmp_lt_u32_e64 s4, 3, v5
	;; [unrolled: 1-line block ×3, first 2 shown]
	v_cmp_eq_u32_e64 s1, 0, v7
	v_add3_u32 v2, v2, v63, v62
	v_cmp_eq_u32_e64 s0, v0, v6
	s_mov_b32 s7, -1
	v_add3_u32 v66, v2, v29, v3
	s_cbranch_vccz .LBB1311_60
; %bb.39:
	s_delay_alu instid0(VALU_DEP_1) | instskip(NEXT) | instid1(VALU_DEP_1)
	v_mov_b32_dpp v2, v66 row_shr:1 row_mask:0xf bank_mask:0xf
	v_cndmask_b32_e64 v2, v2, 0, s6
	s_delay_alu instid0(VALU_DEP_1) | instskip(NEXT) | instid1(VALU_DEP_1)
	v_add_nc_u32_e32 v2, v2, v66
	v_mov_b32_dpp v3, v2 row_shr:2 row_mask:0xf bank_mask:0xf
	s_delay_alu instid0(VALU_DEP_1) | instskip(NEXT) | instid1(VALU_DEP_1)
	v_cndmask_b32_e64 v3, 0, v3, s5
	v_add_nc_u32_e32 v2, v2, v3
	s_delay_alu instid0(VALU_DEP_1) | instskip(NEXT) | instid1(VALU_DEP_1)
	v_mov_b32_dpp v3, v2 row_shr:4 row_mask:0xf bank_mask:0xf
	v_cndmask_b32_e64 v3, 0, v3, s4
	s_delay_alu instid0(VALU_DEP_1) | instskip(NEXT) | instid1(VALU_DEP_1)
	v_add_nc_u32_e32 v2, v2, v3
	v_mov_b32_dpp v3, v2 row_shr:8 row_mask:0xf bank_mask:0xf
	s_delay_alu instid0(VALU_DEP_1) | instskip(NEXT) | instid1(VALU_DEP_1)
	v_cndmask_b32_e64 v3, 0, v3, s3
	v_add_nc_u32_e32 v2, v2, v3
	ds_swizzle_b32 v3, v2 offset:swizzle(BROADCAST,32,15)
	s_wait_dscnt 0x0
	v_cndmask_b32_e64 v3, v3, 0, s1
	s_delay_alu instid0(VALU_DEP_1)
	v_add_nc_u32_e32 v2, v2, v3
	s_and_saveexec_b32 s7, s0
; %bb.40:
	v_lshlrev_b32_e32 v3, 2, v65
	ds_store_b32 v3, v2
; %bb.41:
	s_or_b32 exec_lo, exec_lo, s7
	s_delay_alu instid0(SALU_CYCLE_1)
	s_mov_b32 s7, exec_lo
	s_wait_dscnt 0x0
	s_barrier_signal -1
	s_barrier_wait -1
	v_cmpx_gt_u32_e32 8, v0
	s_cbranch_execz .LBB1311_43
; %bb.42:
	ds_load_b32 v3, v19
	s_wait_dscnt 0x0
	v_mov_b32_dpp v6, v3 row_shr:1 row_mask:0xf bank_mask:0xf
	v_and_b32_e32 v5, 7, v64
	s_delay_alu instid0(VALU_DEP_1) | instskip(NEXT) | instid1(VALU_DEP_3)
	v_cmp_ne_u32_e32 vcc_lo, 0, v5
	v_cndmask_b32_e32 v6, 0, v6, vcc_lo
	v_cmp_lt_u32_e32 vcc_lo, 1, v5
	s_delay_alu instid0(VALU_DEP_2) | instskip(NEXT) | instid1(VALU_DEP_1)
	v_add_nc_u32_e32 v3, v6, v3
	v_mov_b32_dpp v6, v3 row_shr:2 row_mask:0xf bank_mask:0xf
	s_delay_alu instid0(VALU_DEP_1) | instskip(SKIP_1) | instid1(VALU_DEP_2)
	v_cndmask_b32_e32 v6, 0, v6, vcc_lo
	v_cmp_lt_u32_e32 vcc_lo, 3, v5
	v_add_nc_u32_e32 v3, v3, v6
	s_delay_alu instid0(VALU_DEP_1) | instskip(NEXT) | instid1(VALU_DEP_1)
	v_mov_b32_dpp v6, v3 row_shr:4 row_mask:0xf bank_mask:0xf
	v_cndmask_b32_e32 v5, 0, v6, vcc_lo
	s_delay_alu instid0(VALU_DEP_1)
	v_add_nc_u32_e32 v3, v3, v5
	ds_store_b32 v19, v3
.LBB1311_43:
	s_or_b32 exec_lo, exec_lo, s7
	s_delay_alu instid0(SALU_CYCLE_1)
	s_mov_b32 s8, exec_lo
	v_cmp_gt_u32_e32 vcc_lo, 32, v0
	s_wait_dscnt 0x0
	s_barrier_signal -1
	s_barrier_wait -1
                                        ; implicit-def: $vgpr10
	v_cmpx_lt_u32_e32 31, v0
	s_cbranch_execz .LBB1311_45
; %bb.44:
	v_lshl_add_u32 v3, v65, 2, -4
	ds_load_b32 v10, v3
	s_wait_dscnt 0x0
	v_add_nc_u32_e32 v2, v10, v2
.LBB1311_45:
	s_or_b32 exec_lo, exec_lo, s8
	v_sub_co_u32 v3, s7, v64, 1
	s_delay_alu instid0(VALU_DEP_1) | instskip(NEXT) | instid1(VALU_DEP_1)
	v_cmp_gt_i32_e64 s8, 0, v3
	v_cndmask_b32_e64 v3, v3, v64, s8
	s_delay_alu instid0(VALU_DEP_1)
	v_lshlrev_b32_e32 v3, 2, v3
	ds_bpermute_b32 v11, v3, v2
	s_and_saveexec_b32 s8, vcc_lo
	s_cbranch_execz .LBB1311_65
; %bb.46:
	v_dual_mov_b32 v9, 0 :: v_dual_add_nc_u32 v12, 32, v4
	ds_load_b32 v2, v9 offset:28
	s_and_saveexec_b32 s15, s7
	s_cbranch_execz .LBB1311_48
; %bb.47:
	v_mov_b32_e32 v3, 1
	s_wait_dscnt 0x0
	global_store_b64 v12, v[2:3], s[20:21] scale_offset scope:SCOPE_DEV
.LBB1311_48:
	s_wait_xcnt 0x0
	s_or_b32 exec_lo, exec_lo, s15
	v_xad_u32 v4, v64, -1, v4
	s_mov_b32 s23, 0
	s_mov_b32 s15, exec_lo
	s_delay_alu instid0(VALU_DEP_1) | instskip(SKIP_4) | instid1(VALU_DEP_1)
	v_add_nc_u32_e32 v8, 32, v4
	global_load_b64 v[6:7], v8, s[20:21] scale_offset scope:SCOPE_DEV
	s_wait_loadcnt 0x0
	v_and_b32_e32 v3, 0xff, v7
	s_wait_xcnt 0x0
	v_cmpx_eq_u16_e32 0, v3
	s_cbranch_execz .LBB1311_52
; %bb.49:
	v_lshl_add_u64 v[8:9], v[8:9], 3, s[20:21]
.LBB1311_50:                            ; =>This Inner Loop Header: Depth=1
	global_load_b64 v[6:7], v[8:9], off scope:SCOPE_DEV
	s_wait_loadcnt 0x0
	v_and_b32_e32 v3, 0xff, v7
	s_delay_alu instid0(VALU_DEP_1)
	v_cmp_ne_u16_e32 vcc_lo, 0, v3
	s_or_b32 s23, vcc_lo, s23
	s_wait_xcnt 0x0
	s_and_not1_b32 exec_lo, exec_lo, s23
	s_cbranch_execnz .LBB1311_50
; %bb.51:
	s_or_b32 exec_lo, exec_lo, s23
.LBB1311_52:
	s_delay_alu instid0(SALU_CYCLE_1)
	s_or_b32 exec_lo, exec_lo, s15
	v_cmp_ne_u32_e32 vcc_lo, 31, v64
	v_lshlrev_b32_e64 v14, v64, -1
	v_lshl_or_b32 v69, v64, 2, 64
	v_dual_add_nc_u32 v16, 2, v64 :: v_dual_add_nc_u32 v56, 4, v64
	v_add_co_ci_u32_e64 v3, null, 0, v64, vcc_lo
	v_dual_add_nc_u32 v68, 8, v64 :: v_dual_add_nc_u32 v70, 16, v64
	s_delay_alu instid0(VALU_DEP_2)
	v_lshlrev_b32_e32 v13, 2, v3
	v_and_b32_e32 v3, 0xff, v7
	ds_bpermute_b32 v5, v13, v6
	v_cmp_eq_u16_e32 vcc_lo, 2, v3
	v_and_or_b32 v3, vcc_lo, v14, 0x80000000
	v_cmp_gt_u32_e32 vcc_lo, 30, v64
	s_delay_alu instid0(VALU_DEP_2) | instskip(SKIP_1) | instid1(VALU_DEP_2)
	v_ctz_i32_b32_e32 v3, v3
	v_cndmask_b32_e64 v8, 0, 2, vcc_lo
	v_cmp_lt_u32_e32 vcc_lo, v64, v3
	s_delay_alu instid0(VALU_DEP_2) | instskip(SKIP_3) | instid1(VALU_DEP_2)
	v_add_lshl_u32 v15, v8, v64, 2
	s_wait_dscnt 0x0
	v_cndmask_b32_e32 v5, 0, v5, vcc_lo
	v_cmp_gt_u32_e32 vcc_lo, 28, v64
	v_add_nc_u32_e32 v5, v5, v6
	v_cndmask_b32_e64 v8, 0, 4, vcc_lo
	v_cmp_le_u32_e32 vcc_lo, v16, v3
	ds_bpermute_b32 v6, v15, v5
	v_add_lshl_u32 v17, v8, v64, 2
	s_wait_dscnt 0x0
	v_cndmask_b32_e32 v6, 0, v6, vcc_lo
	v_cmp_gt_u32_e32 vcc_lo, 24, v64
	v_cndmask_b32_e64 v8, 0, 8, vcc_lo
	v_cmp_le_u32_e32 vcc_lo, v56, v3
	s_delay_alu instid0(VALU_DEP_4) | instskip(NEXT) | instid1(VALU_DEP_3)
	v_add_nc_u32_e32 v5, v5, v6
	v_add_lshl_u32 v67, v8, v64, 2
	ds_bpermute_b32 v6, v17, v5
	s_wait_dscnt 0x0
	v_cndmask_b32_e32 v6, 0, v6, vcc_lo
	v_cmp_le_u32_e32 vcc_lo, v68, v3
	s_delay_alu instid0(VALU_DEP_2) | instskip(SKIP_4) | instid1(VALU_DEP_2)
	v_add_nc_u32_e32 v5, v5, v6
	ds_bpermute_b32 v6, v67, v5
	s_wait_dscnt 0x0
	v_cndmask_b32_e32 v6, 0, v6, vcc_lo
	v_cmp_le_u32_e32 vcc_lo, v70, v3
	v_add_nc_u32_e32 v5, v5, v6
	ds_bpermute_b32 v6, v69, v5
	s_wait_dscnt 0x0
	v_cndmask_b32_e32 v3, 0, v6, vcc_lo
	s_delay_alu instid0(VALU_DEP_1)
	v_dual_mov_b32 v5, 0 :: v_dual_add_nc_u32 v6, v5, v3
	s_branch .LBB1311_56
.LBB1311_53:                            ;   in Loop: Header=BB1311_56 Depth=1
	s_or_b32 exec_lo, exec_lo, s23
.LBB1311_54:                            ;   in Loop: Header=BB1311_56 Depth=1
	s_delay_alu instid0(SALU_CYCLE_1)
	s_or_b32 exec_lo, exec_lo, s15
	v_and_b32_e32 v8, 0xff, v7
	ds_bpermute_b32 v9, v13, v6
	v_subrev_nc_u32_e32 v4, 32, v4
	s_mov_b32 s15, 0
	v_cmp_eq_u16_e32 vcc_lo, 2, v8
	v_and_or_b32 v8, vcc_lo, v14, 0x80000000
	s_delay_alu instid0(VALU_DEP_1) | instskip(NEXT) | instid1(VALU_DEP_1)
	v_ctz_i32_b32_e32 v8, v8
	v_cmp_lt_u32_e32 vcc_lo, v64, v8
	s_wait_dscnt 0x0
	v_cndmask_b32_e32 v9, 0, v9, vcc_lo
	v_cmp_le_u32_e32 vcc_lo, v16, v8
	s_delay_alu instid0(VALU_DEP_2) | instskip(SKIP_4) | instid1(VALU_DEP_2)
	v_add_nc_u32_e32 v6, v9, v6
	ds_bpermute_b32 v9, v15, v6
	s_wait_dscnt 0x0
	v_cndmask_b32_e32 v9, 0, v9, vcc_lo
	v_cmp_le_u32_e32 vcc_lo, v56, v8
	v_add_nc_u32_e32 v6, v6, v9
	ds_bpermute_b32 v9, v17, v6
	s_wait_dscnt 0x0
	v_cndmask_b32_e32 v9, 0, v9, vcc_lo
	v_cmp_le_u32_e32 vcc_lo, v68, v8
	s_delay_alu instid0(VALU_DEP_2) | instskip(SKIP_4) | instid1(VALU_DEP_2)
	v_add_nc_u32_e32 v6, v6, v9
	ds_bpermute_b32 v9, v67, v6
	s_wait_dscnt 0x0
	v_cndmask_b32_e32 v9, 0, v9, vcc_lo
	v_cmp_le_u32_e32 vcc_lo, v70, v8
	v_add_nc_u32_e32 v6, v6, v9
	ds_bpermute_b32 v9, v69, v6
	s_wait_dscnt 0x0
	v_cndmask_b32_e32 v8, 0, v9, vcc_lo
	s_delay_alu instid0(VALU_DEP_1)
	v_add3_u32 v6, v8, v3, v6
.LBB1311_55:                            ;   in Loop: Header=BB1311_56 Depth=1
	s_and_b32 vcc_lo, exec_lo, s15
	s_cbranch_vccnz .LBB1311_61
.LBB1311_56:                            ; =>This Loop Header: Depth=1
                                        ;     Child Loop BB1311_59 Depth 2
	v_and_b32_e32 v3, 0xff, v7
	s_mov_b32 s15, -1
                                        ; implicit-def: $vgpr7
	s_delay_alu instid0(VALU_DEP_1)
	v_cmp_ne_u16_e32 vcc_lo, 2, v3
	v_mov_b32_e32 v3, v6
                                        ; implicit-def: $vgpr6
	s_cmp_lg_u32 vcc_lo, exec_lo
	s_cbranch_scc1 .LBB1311_55
; %bb.57:                               ;   in Loop: Header=BB1311_56 Depth=1
	global_load_b64 v[6:7], v4, s[20:21] scale_offset scope:SCOPE_DEV
	s_mov_b32 s15, exec_lo
	s_wait_loadcnt 0x0
	v_and_b32_e32 v8, 0xff, v7
	s_wait_xcnt 0x0
	s_delay_alu instid0(VALU_DEP_1)
	v_cmpx_eq_u16_e32 0, v8
	s_cbranch_execz .LBB1311_54
; %bb.58:                               ;   in Loop: Header=BB1311_56 Depth=1
	v_lshl_add_u64 v[8:9], v[4:5], 3, s[20:21]
	s_mov_b32 s23, 0
.LBB1311_59:                            ;   Parent Loop BB1311_56 Depth=1
                                        ; =>  This Inner Loop Header: Depth=2
	global_load_b64 v[6:7], v[8:9], off scope:SCOPE_DEV
	s_wait_loadcnt 0x0
	v_and_b32_e32 v71, 0xff, v7
	s_delay_alu instid0(VALU_DEP_1)
	v_cmp_ne_u16_e32 vcc_lo, 0, v71
	s_or_b32 s23, vcc_lo, s23
	s_wait_xcnt 0x0
	s_and_not1_b32 exec_lo, exec_lo, s23
	s_cbranch_execnz .LBB1311_59
	s_branch .LBB1311_53
.LBB1311_60:
                                        ; implicit-def: $vgpr2_vgpr3_vgpr4_vgpr5_vgpr6_vgpr7_vgpr8_vgpr9_vgpr10_vgpr11_vgpr12_vgpr13_vgpr14_vgpr15_vgpr16_vgpr17
                                        ; implicit-def: $vgpr56
                                        ; implicit-def: $vgpr16
	s_and_b32 vcc_lo, exec_lo, s7
	s_cbranch_vccnz .LBB1311_66
	s_branch .LBB1311_75
.LBB1311_61:
	s_and_saveexec_b32 s15, s7
	s_cbranch_execz .LBB1311_63
; %bb.62:
	v_dual_mov_b32 v5, 2 :: v_dual_add_nc_u32 v4, v3, v2
	v_mov_b32_e32 v6, 0
	global_store_b64 v12, v[4:5], s[20:21] scale_offset scope:SCOPE_DEV
	ds_store_b64 v6, v[2:3] offset:13312
.LBB1311_63:
	s_wait_xcnt 0x0
	s_or_b32 exec_lo, exec_lo, s15
	s_delay_alu instid0(SALU_CYCLE_1)
	s_and_b32 exec_lo, exec_lo, s2
; %bb.64:
	v_mov_b32_e32 v2, 0
	ds_store_b32 v2, v3 offset:28
.LBB1311_65:
	s_or_b32 exec_lo, exec_lo, s8
	s_wait_dscnt 0x0
	v_dual_mov_b32 v12, 0 :: v_dual_cndmask_b32 v3, v11, v10, s7
	s_wait_storecnt 0x0
	s_barrier_signal -1
	s_barrier_wait -1
	ds_load_b32 v2, v12 offset:28
	v_cndmask_b32_e64 v3, v3, 0, s2
	s_wait_dscnt 0x0
	s_barrier_signal -1
	s_barrier_wait -1
	ds_load_b64 v[16:17], v12 offset:13312
	v_add_nc_u32_e32 v2, v2, v3
	s_wait_dscnt 0x0
	s_delay_alu instid0(VALU_DEP_1) | instskip(NEXT) | instid1(VALU_DEP_1)
	v_dual_mov_b32 v56, v17 :: v_dual_add_nc_u32 v3, v2, v57
	v_add_nc_u32_e32 v4, v3, v41
	s_delay_alu instid0(VALU_DEP_1) | instskip(NEXT) | instid1(VALU_DEP_1)
	v_add_nc_u32_e32 v5, v4, v39
	v_add_nc_u32_e32 v6, v5, v37
	s_delay_alu instid0(VALU_DEP_1) | instskip(NEXT) | instid1(VALU_DEP_1)
	v_add_nc_u32_e32 v7, v6, v58
	;; [unrolled: 3-line block ×5, first 2 shown]
	v_add_nc_u32_e32 v14, v13, v29
	s_branch .LBB1311_75
.LBB1311_66:
	v_mov_b32_dpp v2, v66 row_shr:1 row_mask:0xf bank_mask:0xf
	s_delay_alu instid0(VALU_DEP_1) | instskip(NEXT) | instid1(VALU_DEP_1)
	v_cndmask_b32_e64 v2, v2, 0, s6
	v_add_nc_u32_e32 v2, v2, v66
	s_delay_alu instid0(VALU_DEP_1) | instskip(NEXT) | instid1(VALU_DEP_1)
	v_mov_b32_dpp v3, v2 row_shr:2 row_mask:0xf bank_mask:0xf
	v_cndmask_b32_e64 v3, 0, v3, s5
	s_delay_alu instid0(VALU_DEP_1) | instskip(NEXT) | instid1(VALU_DEP_1)
	v_add_nc_u32_e32 v2, v2, v3
	v_mov_b32_dpp v3, v2 row_shr:4 row_mask:0xf bank_mask:0xf
	s_delay_alu instid0(VALU_DEP_1) | instskip(NEXT) | instid1(VALU_DEP_1)
	v_cndmask_b32_e64 v3, 0, v3, s4
	v_add_nc_u32_e32 v2, v2, v3
	s_delay_alu instid0(VALU_DEP_1) | instskip(NEXT) | instid1(VALU_DEP_1)
	v_mov_b32_dpp v3, v2 row_shr:8 row_mask:0xf bank_mask:0xf
	v_cndmask_b32_e64 v3, 0, v3, s3
	s_delay_alu instid0(VALU_DEP_1) | instskip(SKIP_3) | instid1(VALU_DEP_1)
	v_add_nc_u32_e32 v2, v2, v3
	ds_swizzle_b32 v3, v2 offset:swizzle(BROADCAST,32,15)
	s_wait_dscnt 0x0
	v_cndmask_b32_e64 v3, v3, 0, s1
	v_add_nc_u32_e32 v2, v2, v3
	s_and_saveexec_b32 s1, s0
; %bb.67:
	v_lshlrev_b32_e32 v3, 2, v65
	ds_store_b32 v3, v2
; %bb.68:
	s_or_b32 exec_lo, exec_lo, s1
	s_delay_alu instid0(SALU_CYCLE_1)
	s_mov_b32 s0, exec_lo
	s_wait_dscnt 0x0
	s_barrier_signal -1
	s_barrier_wait -1
	v_cmpx_gt_u32_e32 8, v0
	s_cbranch_execz .LBB1311_70
; %bb.69:
	ds_load_b32 v3, v19
	s_wait_dscnt 0x0
	v_mov_b32_dpp v5, v3 row_shr:1 row_mask:0xf bank_mask:0xf
	v_and_b32_e32 v4, 7, v64
	s_delay_alu instid0(VALU_DEP_1) | instskip(NEXT) | instid1(VALU_DEP_3)
	v_cmp_ne_u32_e32 vcc_lo, 0, v4
	v_cndmask_b32_e32 v5, 0, v5, vcc_lo
	v_cmp_lt_u32_e32 vcc_lo, 1, v4
	s_delay_alu instid0(VALU_DEP_2) | instskip(NEXT) | instid1(VALU_DEP_1)
	v_add_nc_u32_e32 v3, v5, v3
	v_mov_b32_dpp v5, v3 row_shr:2 row_mask:0xf bank_mask:0xf
	s_delay_alu instid0(VALU_DEP_1) | instskip(SKIP_1) | instid1(VALU_DEP_2)
	v_cndmask_b32_e32 v5, 0, v5, vcc_lo
	v_cmp_lt_u32_e32 vcc_lo, 3, v4
	v_add_nc_u32_e32 v3, v3, v5
	s_delay_alu instid0(VALU_DEP_1) | instskip(NEXT) | instid1(VALU_DEP_1)
	v_mov_b32_dpp v5, v3 row_shr:4 row_mask:0xf bank_mask:0xf
	v_cndmask_b32_e32 v4, 0, v5, vcc_lo
	s_delay_alu instid0(VALU_DEP_1)
	v_add_nc_u32_e32 v3, v3, v4
	ds_store_b32 v19, v3
.LBB1311_70:
	s_or_b32 exec_lo, exec_lo, s0
	v_dual_mov_b32 v4, 0 :: v_dual_mov_b32 v3, 0
	s_mov_b32 s0, exec_lo
	s_wait_dscnt 0x0
	s_barrier_signal -1
	s_barrier_wait -1
	v_cmpx_lt_u32_e32 31, v0
; %bb.71:
	v_lshl_add_u32 v3, v65, 2, -4
	ds_load_b32 v3, v3
; %bb.72:
	s_or_b32 exec_lo, exec_lo, s0
	v_sub_co_u32 v5, vcc_lo, v64, 1
	ds_load_b32 v16, v4 offset:28
	s_wait_dscnt 0x1
	v_add_nc_u32_e32 v2, v3, v2
	v_cmp_gt_i32_e64 s0, 0, v5
	s_delay_alu instid0(VALU_DEP_1) | instskip(NEXT) | instid1(VALU_DEP_1)
	v_cndmask_b32_e64 v5, v5, v64, s0
	v_lshlrev_b32_e32 v5, 2, v5
	ds_bpermute_b32 v2, v5, v2
	s_and_saveexec_b32 s0, s2
	s_cbranch_execz .LBB1311_74
; %bb.73:
	v_dual_mov_b32 v4, 0 :: v_dual_mov_b32 v17, 2
	s_wait_dscnt 0x1
	global_store_b64 v4, v[16:17], s[20:21] offset:256 scope:SCOPE_DEV
.LBB1311_74:
	s_wait_xcnt 0x0
	s_or_b32 exec_lo, exec_lo, s0
	s_wait_dscnt 0x0
	v_cndmask_b32_e32 v2, v2, v3, vcc_lo
	s_wait_storecnt 0x0
	s_barrier_signal -1
	s_barrier_wait -1
	s_delay_alu instid0(VALU_DEP_1) | instskip(NEXT) | instid1(VALU_DEP_1)
	v_cndmask_b32_e64 v2, v2, 0, s2
	v_dual_mov_b32 v56, 0 :: v_dual_add_nc_u32 v3, v2, v57
	s_delay_alu instid0(VALU_DEP_1) | instskip(NEXT) | instid1(VALU_DEP_1)
	v_add_nc_u32_e32 v4, v3, v41
	v_add_nc_u32_e32 v5, v4, v39
	s_delay_alu instid0(VALU_DEP_1) | instskip(NEXT) | instid1(VALU_DEP_1)
	v_add_nc_u32_e32 v6, v5, v37
	v_add_nc_u32_e32 v7, v6, v58
	;; [unrolled: 3-line block ×5, first 2 shown]
	s_delay_alu instid0(VALU_DEP_1)
	v_add_nc_u32_e32 v14, v13, v29
.LBB1311_75:
	v_dual_lshrrev_b32 v57, 16, v35 :: v_dual_lshrrev_b32 v58, 8, v35
	v_dual_add_nc_u32 v23, v16, v23 :: v_dual_sub_nc_u32 v3, v3, v56
	v_dual_sub_nc_u32 v2, v2, v56 :: v_dual_bitop2_b32 v35, 1, v35 bitop3:0x40
	s_delay_alu instid0(VALU_DEP_3) | instskip(NEXT) | instid1(VALU_DEP_3)
	v_dual_sub_nc_u32 v4, v4, v56 :: v_dual_bitop2_b32 v58, 1, v58 bitop3:0x40
	v_dual_sub_nc_u32 v59, v23, v3 :: v_dual_bitop2_b32 v57, 1, v57 bitop3:0x40
	s_delay_alu instid0(VALU_DEP_3) | instskip(NEXT) | instid1(VALU_DEP_4)
	v_dual_sub_nc_u32 v60, v23, v2 :: v_dual_sub_nc_u32 v5, v5, v56
	v_cmp_eq_u32_e32 vcc_lo, 1, v35
	s_delay_alu instid0(VALU_DEP_3) | instskip(SKIP_1) | instid1(VALU_DEP_4)
	v_dual_sub_nc_u32 v61, v23, v4 :: v_dual_add_nc_u32 v59, 1, v59
	v_dual_lshrrev_b32 v41, 8, v31 :: v_dual_lshrrev_b32 v39, 16, v31
	v_cndmask_b32_e32 v2, v60, v2, vcc_lo
	v_cmp_eq_u32_e32 vcc_lo, 1, v58
	v_dual_lshrrev_b32 v15, 16, v27 :: v_dual_lshrrev_b32 v17, 8, v27
	v_cndmask_b32_e32 v3, v59, v3, vcc_lo
	s_delay_alu instid0(VALU_DEP_4)
	v_dual_sub_nc_u32 v35, v23, v5 :: v_dual_lshlrev_b32 v2, 2, v2
	v_and_b32_e32 v37, 1, v37
	v_add_nc_u32_e32 v58, 2, v61
	v_cmp_eq_u32_e32 vcc_lo, 1, v57
	v_lshlrev_b32_e32 v3, 2, v3
	v_add_nc_u32_e32 v35, 3, v35
	ds_store_b32 v2, v54
	ds_store_b32 v3, v55
	v_cndmask_b32_e32 v4, v58, v4, vcc_lo
	v_cmp_eq_u32_e32 vcc_lo, 1, v37
	v_dual_cndmask_b32 v5, v35, v5 :: v_dual_sub_nc_u32 v6, v6, v56
	s_delay_alu instid0(VALU_DEP_1) | instskip(NEXT) | instid1(VALU_DEP_2)
	v_dual_lshlrev_b32 v3, 2, v4 :: v_dual_lshlrev_b32 v4, 2, v5
	v_sub_nc_u32_e32 v2, v23, v6
	v_dual_sub_nc_u32 v5, v7, v56 :: v_dual_bitop2_b32 v7, 1, v31 bitop3:0x40
	s_delay_alu instid0(VALU_DEP_2)
	v_add_nc_u32_e32 v2, 4, v2
	ds_store_b32 v3, v52
	ds_store_b32 v4, v53
	v_cmp_eq_u32_e32 vcc_lo, 1, v7
	v_dual_sub_nc_u32 v4, v8, v56 :: v_dual_cndmask_b32 v2, v2, v6, vcc_lo
	v_sub_nc_u32_e32 v3, v23, v5
	v_dual_sub_nc_u32 v7, v9, v56 :: v_dual_bitop2_b32 v6, 1, v41 bitop3:0x40
	s_delay_alu instid0(VALU_DEP_2) | instskip(NEXT) | instid1(VALU_DEP_2)
	v_dual_lshlrev_b32 v2, 2, v2 :: v_dual_add_nc_u32 v3, 5, v3
	v_cmp_eq_u32_e32 vcc_lo, 1, v6
	v_dual_sub_nc_u32 v8, v23, v4 :: v_dual_bitop2_b32 v6, 1, v39 bitop3:0x40
	ds_store_b32 v2, v50
	v_and_b32_e32 v2, 1, v33
	v_cndmask_b32_e32 v3, v3, v5, vcc_lo
	v_dual_sub_nc_u32 v5, v23, v7 :: v_dual_add_nc_u32 v8, 6, v8
	v_cmp_eq_u32_e32 vcc_lo, 1, v6
	s_delay_alu instid0(VALU_DEP_3) | instskip(NEXT) | instid1(VALU_DEP_3)
	v_dual_sub_nc_u32 v6, v11, v56 :: v_dual_lshlrev_b32 v3, 2, v3
	v_dual_cndmask_b32 v4, v8, v4 :: v_dual_add_nc_u32 v5, 7, v5
	v_cmp_eq_u32_e32 vcc_lo, 1, v2
	ds_store_b32 v3, v51
	v_dual_sub_nc_u32 v3, v23, v6 :: v_dual_sub_nc_u32 v8, v14, v56
	v_dual_lshlrev_b32 v4, 2, v4 :: v_dual_cndmask_b32 v2, v5, v7, vcc_lo
	v_dual_sub_nc_u32 v5, v10, v56 :: v_dual_bitop2_b32 v7, 1, v17 bitop3:0x40
	s_delay_alu instid0(VALU_DEP_3)
	v_add_nc_u32_e32 v3, 9, v3
	ds_store_b32 v4, v48
	v_dual_lshlrev_b32 v2, 2, v2 :: v_dual_sub_nc_u32 v4, v23, v5
	v_cmp_eq_u32_e32 vcc_lo, 1, v7
	v_sub_nc_u32_e32 v7, v12, v56
	v_sub_nc_u32_e32 v9, v23, v8
	ds_store_b32 v2, v49
	v_dual_add_nc_u32 v4, 8, v4 :: v_dual_bitop2_b32 v2, 1, v27 bitop3:0x40
	v_dual_cndmask_b32 v3, v3, v6 :: v_dual_sub_nc_u32 v6, v13, v56
	s_delay_alu instid0(VALU_DEP_2) | instskip(NEXT) | instid1(VALU_DEP_2)
	v_cmp_eq_u32_e32 vcc_lo, 1, v2
	v_dual_cndmask_b32 v2, v4, v5, vcc_lo :: v_dual_sub_nc_u32 v4, v23, v6
	v_and_b32_e32 v10, 1, v15
	v_dual_sub_nc_u32 v5, v23, v7 :: v_dual_bitop2_b32 v12, 1, v25 bitop3:0x40
	s_delay_alu instid0(VALU_DEP_3) | instskip(SKIP_1) | instid1(VALU_DEP_1)
	v_dual_lshlrev_b32 v2, 2, v2 :: v_dual_add_nc_u32 v4, 11, v4
	v_and_b32_e32 v11, 1, v29
	v_cmp_eq_u32_e32 vcc_lo, 1, v11
	s_delay_alu instid0(VALU_DEP_3) | instskip(SKIP_3) | instid1(VALU_DEP_1)
	v_cndmask_b32_e32 v4, v4, v6, vcc_lo
	v_cmp_eq_u32_e32 vcc_lo, 1, v10
	v_add_nc_u32_e32 v9, 12, v9
	v_add_nc_u32_e32 v5, 10, v5
	v_cndmask_b32_e32 v5, v5, v7, vcc_lo
	v_cmp_eq_u32_e32 vcc_lo, 1, v12
	s_delay_alu instid0(VALU_DEP_2) | instskip(SKIP_3) | instid1(VALU_DEP_3)
	v_dual_lshlrev_b32 v3, 2, v3 :: v_dual_lshlrev_b32 v5, 2, v5
	v_cndmask_b32_e32 v6, v9, v8, vcc_lo
	v_lshlrev_b32_e32 v4, 2, v4
	v_cmp_ne_u32_e32 vcc_lo, 1, v21
	v_lshlrev_b32_e32 v6, 2, v6
	ds_store_b32 v2, v46
	ds_store_b32 v3, v47
	;; [unrolled: 1-line block ×5, first 2 shown]
	s_wait_dscnt 0x0
	s_barrier_signal -1
	s_barrier_wait -1
	ds_load_2addr_stride64_b32 v[14:15], v19 offset1:4
	ds_load_2addr_stride64_b32 v[12:13], v19 offset0:8 offset1:12
	ds_load_2addr_stride64_b32 v[10:11], v19 offset0:16 offset1:20
	;; [unrolled: 1-line block ×5, first 2 shown]
	ds_load_b32 v46, v19 offset:12288
	v_mov_b32_e32 v1, 0
	s_and_b32 vcc_lo, exec_lo, vcc_lo
	s_delay_alu instid0(VALU_DEP_1) | instskip(SKIP_2) | instid1(VALU_DEP_3)
	v_dual_mov_b32 v29, v1 :: v_dual_mov_b32 v57, v1
	v_dual_mov_b32 v41, v1 :: v_dual_mov_b32 v39, v1
	;; [unrolled: 1-line block ×3, first 2 shown]
	v_add_nc_u64_e32 v[2:3], v[42:43], v[56:57]
	v_dual_mov_b32 v33, v1 :: v_dual_mov_b32 v31, v1
	v_dual_mov_b32 v27, v1 :: v_dual_mov_b32 v25, v1
	v_dual_mov_b32 v23, v1 :: v_dual_mov_b32 v21, v1
	v_mov_b32_e32 v19, v1
	s_cbranch_vccnz .LBB1311_132
; %bb.76:
	v_mov_b32_e32 v17, v1
	s_mov_b32 s15, 0
	v_sub_nc_u64_e64 v[42:43], v[2:3], s[16:17]
	s_sub_nc_u64 s[0:1], s[18:19], s[14:15]
	s_delay_alu instid0(VALU_DEP_2) | instid1(SALU_CYCLE_1)
	v_add_nc_u64_e32 v[44:45], s[0:1], v[16:17]
	s_mov_b32 s0, exec_lo
	s_delay_alu instid0(VALU_DEP_1)
	v_add_nc_u64_e32 v[42:43], v[44:45], v[42:43]
                                        ; implicit-def: $vgpr44_vgpr45
	v_cmpx_ge_u32_e64 v0, v16
	s_xor_b32 s0, exec_lo, s0
; %bb.77:
	v_not_b32_e32 v44, v0
	s_delay_alu instid0(VALU_DEP_1) | instskip(NEXT) | instid1(VALU_DEP_1)
	v_ashrrev_i32_e32 v45, 31, v44
	v_add_nc_u64_e32 v[44:45], v[42:43], v[44:45]
; %bb.78:
	s_and_not1_saveexec_b32 s0, s0
; %bb.79:
	v_add_nc_u64_e32 v[44:45], v[2:3], v[0:1]
; %bb.80:
	s_or_b32 exec_lo, exec_lo, s0
	s_delay_alu instid0(VALU_DEP_1)
	v_lshl_add_u64 v[44:45], v[44:45], 2, s[10:11]
	s_mov_b32 s0, exec_lo
	s_wait_dscnt 0x6
	global_store_b32 v[44:45], v14, off
                                        ; implicit-def: $vgpr44_vgpr45
	s_wait_xcnt 0x0
	v_cmpx_ge_u32_e64 v40, v16
	s_xor_b32 s0, exec_lo, s0
; %bb.81:
	v_xor_b32_e32 v44, 0xfffffeff, v0
	s_delay_alu instid0(VALU_DEP_1) | instskip(NEXT) | instid1(VALU_DEP_1)
	v_ashrrev_i32_e32 v45, 31, v44
	v_add_nc_u64_e32 v[44:45], v[42:43], v[44:45]
; %bb.82:
	s_and_not1_saveexec_b32 s0, s0
; %bb.83:
	v_add_nc_u64_e32 v[44:45], v[2:3], v[40:41]
; %bb.84:
	s_or_b32 exec_lo, exec_lo, s0
	s_delay_alu instid0(VALU_DEP_1)
	v_lshl_add_u64 v[44:45], v[44:45], 2, s[10:11]
	s_mov_b32 s0, exec_lo
	global_store_b32 v[44:45], v15, off
                                        ; implicit-def: $vgpr44_vgpr45
	s_wait_xcnt 0x0
	v_cmpx_ge_u32_e64 v38, v16
	s_xor_b32 s0, exec_lo, s0
; %bb.85:
	v_xor_b32_e32 v44, 0xfffffdff, v0
	s_delay_alu instid0(VALU_DEP_1) | instskip(NEXT) | instid1(VALU_DEP_1)
	v_ashrrev_i32_e32 v45, 31, v44
	v_add_nc_u64_e32 v[44:45], v[42:43], v[44:45]
; %bb.86:
	s_and_not1_saveexec_b32 s0, s0
; %bb.87:
	v_add_nc_u64_e32 v[44:45], v[2:3], v[38:39]
; %bb.88:
	s_or_b32 exec_lo, exec_lo, s0
	s_delay_alu instid0(VALU_DEP_1)
	v_lshl_add_u64 v[44:45], v[44:45], 2, s[10:11]
	s_mov_b32 s0, exec_lo
	s_wait_dscnt 0x5
	global_store_b32 v[44:45], v12, off
                                        ; implicit-def: $vgpr44_vgpr45
	s_wait_xcnt 0x0
	v_cmpx_ge_u32_e64 v36, v16
	s_xor_b32 s0, exec_lo, s0
; %bb.89:
	v_xor_b32_e32 v44, 0xfffffcff, v0
	s_delay_alu instid0(VALU_DEP_1) | instskip(NEXT) | instid1(VALU_DEP_1)
	v_ashrrev_i32_e32 v45, 31, v44
	v_add_nc_u64_e32 v[44:45], v[42:43], v[44:45]
; %bb.90:
	s_and_not1_saveexec_b32 s0, s0
; %bb.91:
	v_add_nc_u64_e32 v[44:45], v[2:3], v[36:37]
; %bb.92:
	s_or_b32 exec_lo, exec_lo, s0
	s_delay_alu instid0(VALU_DEP_1)
	v_lshl_add_u64 v[44:45], v[44:45], 2, s[10:11]
	s_mov_b32 s0, exec_lo
	global_store_b32 v[44:45], v13, off
                                        ; implicit-def: $vgpr44_vgpr45
	s_wait_xcnt 0x0
	v_cmpx_ge_u32_e64 v34, v16
	s_xor_b32 s0, exec_lo, s0
; %bb.93:
	v_xor_b32_e32 v44, 0xfffffbff, v0
	;; [unrolled: 39-line block ×6, first 2 shown]
	s_delay_alu instid0(VALU_DEP_1) | instskip(NEXT) | instid1(VALU_DEP_1)
	v_ashrrev_i32_e32 v45, 31, v44
	v_add_nc_u64_e32 v[44:45], v[42:43], v[44:45]
; %bb.126:
	s_and_not1_saveexec_b32 s0, s0
; %bb.127:
	v_add_nc_u64_e32 v[44:45], v[2:3], v[18:19]
; %bb.128:
	s_or_b32 exec_lo, exec_lo, s0
	s_mov_b32 s0, -1
.LBB1311_129:
	s_delay_alu instid0(SALU_CYCLE_1)
	s_and_saveexec_b32 s1, s0
	s_cbranch_execz .LBB1311_212
.LBB1311_130:
	s_delay_alu instid0(VALU_DEP_1)
	v_lshl_add_u64 v[0:1], v[44:45], 2, s[10:11]
	s_wait_dscnt 0x0
	global_store_b32 v[0:1], v46, off
	s_wait_xcnt 0x0
	s_or_b32 exec_lo, exec_lo, s1
	s_and_b32 s0, s2, s9
	s_delay_alu instid0(SALU_CYCLE_1)
	s_and_saveexec_b32 s1, s0
	s_cbranch_execnz .LBB1311_213
.LBB1311_131:
	s_sendmsg sendmsg(MSG_DEALLOC_VGPRS)
	s_endpgm
.LBB1311_132:
	s_mov_b32 s0, 0
                                        ; implicit-def: $vgpr44_vgpr45
	s_cbranch_execz .LBB1311_129
; %bb.133:
	s_mov_b32 s15, 0
	v_mov_b32_e32 v17, 0
	s_add_nc_u64 s[4:5], s[16:17], s[14:15]
	s_mov_b32 s1, exec_lo
	s_sub_nc_u64 s[4:5], s[18:19], s[4:5]
	s_delay_alu instid0(VALU_DEP_1) | instid1(SALU_CYCLE_1)
	v_add_nc_u64_e32 v[42:43], s[4:5], v[16:17]
	s_delay_alu instid0(VALU_DEP_1)
	v_add_nc_u64_e32 v[42:43], v[42:43], v[2:3]
	v_cmpx_gt_u32_e64 s22, v0
	s_cbranch_execz .LBB1311_169
; %bb.134:
	s_mov_b32 s3, exec_lo
                                        ; implicit-def: $vgpr44_vgpr45
	v_cmpx_ge_u32_e64 v0, v16
	s_xor_b32 s3, exec_lo, s3
; %bb.135:
	v_not_b32_e32 v44, v0
	s_delay_alu instid0(VALU_DEP_1) | instskip(NEXT) | instid1(VALU_DEP_1)
	v_ashrrev_i32_e32 v45, 31, v44
	v_add_nc_u64_e32 v[44:45], v[42:43], v[44:45]
; %bb.136:
	s_and_not1_saveexec_b32 s3, s3
; %bb.137:
	v_add_nc_u64_e32 v[44:45], v[2:3], v[0:1]
; %bb.138:
	s_or_b32 exec_lo, exec_lo, s3
	s_delay_alu instid0(VALU_DEP_1) | instskip(SKIP_4) | instid1(SALU_CYCLE_1)
	v_lshl_add_u64 v[44:45], v[44:45], 2, s[10:11]
	s_wait_dscnt 0x6
	global_store_b32 v[44:45], v14, off
	s_wait_xcnt 0x0
	s_or_b32 exec_lo, exec_lo, s1
	s_mov_b32 s1, exec_lo
	v_cmpx_gt_u32_e64 s22, v40
	s_cbranch_execnz .LBB1311_170
.LBB1311_139:
	s_or_b32 exec_lo, exec_lo, s1
	s_delay_alu instid0(SALU_CYCLE_1)
	s_mov_b32 s1, exec_lo
	v_cmpx_gt_u32_e64 s22, v38
	s_cbranch_execz .LBB1311_175
.LBB1311_140:
	s_mov_b32 s3, exec_lo
                                        ; implicit-def: $vgpr14_vgpr15
	v_cmpx_ge_u32_e64 v38, v16
	s_xor_b32 s3, exec_lo, s3
	s_cbranch_execz .LBB1311_142
; %bb.141:
	s_wait_dscnt 0x6
	v_xor_b32_e32 v14, 0xfffffdff, v0
                                        ; implicit-def: $vgpr38_vgpr39
	s_delay_alu instid0(VALU_DEP_1) | instskip(NEXT) | instid1(VALU_DEP_1)
	v_ashrrev_i32_e32 v15, 31, v14
	v_add_nc_u64_e32 v[14:15], v[42:43], v[14:15]
.LBB1311_142:
	s_and_not1_saveexec_b32 s3, s3
	s_cbranch_execz .LBB1311_144
; %bb.143:
	s_wait_dscnt 0x6
	v_add_nc_u64_e32 v[14:15], v[2:3], v[38:39]
.LBB1311_144:
	s_or_b32 exec_lo, exec_lo, s3
	s_wait_dscnt 0x6
	s_delay_alu instid0(VALU_DEP_1) | instskip(SKIP_4) | instid1(SALU_CYCLE_1)
	v_lshl_add_u64 v[14:15], v[14:15], 2, s[10:11]
	s_wait_dscnt 0x5
	global_store_b32 v[14:15], v12, off
	s_wait_xcnt 0x0
	s_or_b32 exec_lo, exec_lo, s1
	s_mov_b32 s1, exec_lo
	v_cmpx_gt_u32_e64 s22, v36
	s_cbranch_execnz .LBB1311_176
.LBB1311_145:
	s_or_b32 exec_lo, exec_lo, s1
	s_delay_alu instid0(SALU_CYCLE_1)
	s_mov_b32 s1, exec_lo
	v_cmpx_gt_u32_e64 s22, v34
	s_cbranch_execz .LBB1311_181
.LBB1311_146:
	s_mov_b32 s3, exec_lo
                                        ; implicit-def: $vgpr12_vgpr13
	v_cmpx_ge_u32_e64 v34, v16
	s_xor_b32 s3, exec_lo, s3
	s_cbranch_execz .LBB1311_148
; %bb.147:
	s_wait_dscnt 0x5
	v_xor_b32_e32 v12, 0xfffffbff, v0
                                        ; implicit-def: $vgpr34_vgpr35
	s_delay_alu instid0(VALU_DEP_1) | instskip(NEXT) | instid1(VALU_DEP_1)
	v_ashrrev_i32_e32 v13, 31, v12
	v_add_nc_u64_e32 v[12:13], v[42:43], v[12:13]
.LBB1311_148:
	s_and_not1_saveexec_b32 s3, s3
	s_cbranch_execz .LBB1311_150
; %bb.149:
	s_wait_dscnt 0x5
	v_add_nc_u64_e32 v[12:13], v[2:3], v[34:35]
.LBB1311_150:
	s_or_b32 exec_lo, exec_lo, s3
	s_wait_dscnt 0x5
	s_delay_alu instid0(VALU_DEP_1) | instskip(SKIP_4) | instid1(SALU_CYCLE_1)
	v_lshl_add_u64 v[12:13], v[12:13], 2, s[10:11]
	s_wait_dscnt 0x4
	global_store_b32 v[12:13], v10, off
	s_wait_xcnt 0x0
	s_or_b32 exec_lo, exec_lo, s1
	s_mov_b32 s1, exec_lo
	v_cmpx_gt_u32_e64 s22, v32
	s_cbranch_execnz .LBB1311_182
.LBB1311_151:
	s_or_b32 exec_lo, exec_lo, s1
	s_delay_alu instid0(SALU_CYCLE_1)
	s_mov_b32 s1, exec_lo
	v_cmpx_gt_u32_e64 s22, v30
	s_cbranch_execz .LBB1311_187
.LBB1311_152:
	s_mov_b32 s3, exec_lo
                                        ; implicit-def: $vgpr10_vgpr11
	v_cmpx_ge_u32_e64 v30, v16
	s_xor_b32 s3, exec_lo, s3
	s_cbranch_execz .LBB1311_154
; %bb.153:
	s_wait_dscnt 0x4
	v_xor_b32_e32 v10, 0xfffff9ff, v0
                                        ; implicit-def: $vgpr30_vgpr31
	s_delay_alu instid0(VALU_DEP_1) | instskip(NEXT) | instid1(VALU_DEP_1)
	v_ashrrev_i32_e32 v11, 31, v10
	v_add_nc_u64_e32 v[10:11], v[42:43], v[10:11]
.LBB1311_154:
	s_and_not1_saveexec_b32 s3, s3
	s_cbranch_execz .LBB1311_156
; %bb.155:
	s_wait_dscnt 0x4
	v_add_nc_u64_e32 v[10:11], v[2:3], v[30:31]
.LBB1311_156:
	s_or_b32 exec_lo, exec_lo, s3
	s_wait_dscnt 0x4
	s_delay_alu instid0(VALU_DEP_1) | instskip(SKIP_4) | instid1(SALU_CYCLE_1)
	v_lshl_add_u64 v[10:11], v[10:11], 2, s[10:11]
	s_wait_dscnt 0x3
	global_store_b32 v[10:11], v8, off
	s_wait_xcnt 0x0
	s_or_b32 exec_lo, exec_lo, s1
	s_mov_b32 s1, exec_lo
	v_cmpx_gt_u32_e64 s22, v28
	s_cbranch_execnz .LBB1311_188
.LBB1311_157:
	s_or_b32 exec_lo, exec_lo, s1
	s_delay_alu instid0(SALU_CYCLE_1)
	s_mov_b32 s1, exec_lo
	v_cmpx_gt_u32_e64 s22, v26
	s_cbranch_execz .LBB1311_193
.LBB1311_158:
	s_mov_b32 s3, exec_lo
                                        ; implicit-def: $vgpr8_vgpr9
	v_cmpx_ge_u32_e64 v26, v16
	s_xor_b32 s3, exec_lo, s3
	s_cbranch_execz .LBB1311_160
; %bb.159:
	s_wait_dscnt 0x3
	v_xor_b32_e32 v8, 0xfffff7ff, v0
                                        ; implicit-def: $vgpr26_vgpr27
	s_delay_alu instid0(VALU_DEP_1) | instskip(NEXT) | instid1(VALU_DEP_1)
	v_ashrrev_i32_e32 v9, 31, v8
	v_add_nc_u64_e32 v[8:9], v[42:43], v[8:9]
.LBB1311_160:
	s_and_not1_saveexec_b32 s3, s3
	s_cbranch_execz .LBB1311_162
; %bb.161:
	s_wait_dscnt 0x3
	v_add_nc_u64_e32 v[8:9], v[2:3], v[26:27]
.LBB1311_162:
	s_or_b32 exec_lo, exec_lo, s3
	s_wait_dscnt 0x3
	s_delay_alu instid0(VALU_DEP_1) | instskip(SKIP_4) | instid1(SALU_CYCLE_1)
	v_lshl_add_u64 v[8:9], v[8:9], 2, s[10:11]
	s_wait_dscnt 0x2
	global_store_b32 v[8:9], v6, off
	s_wait_xcnt 0x0
	s_or_b32 exec_lo, exec_lo, s1
	s_mov_b32 s1, exec_lo
	v_cmpx_gt_u32_e64 s22, v24
	s_cbranch_execnz .LBB1311_194
.LBB1311_163:
	s_or_b32 exec_lo, exec_lo, s1
	s_delay_alu instid0(SALU_CYCLE_1)
	s_mov_b32 s1, exec_lo
	v_cmpx_gt_u32_e64 s22, v22
	s_cbranch_execz .LBB1311_199
.LBB1311_164:
	s_mov_b32 s3, exec_lo
                                        ; implicit-def: $vgpr6_vgpr7
	v_cmpx_ge_u32_e64 v22, v16
	s_xor_b32 s3, exec_lo, s3
	s_cbranch_execz .LBB1311_166
; %bb.165:
	s_wait_dscnt 0x2
	v_xor_b32_e32 v6, 0xfffff5ff, v0
                                        ; implicit-def: $vgpr22_vgpr23
	s_delay_alu instid0(VALU_DEP_1) | instskip(NEXT) | instid1(VALU_DEP_1)
	v_ashrrev_i32_e32 v7, 31, v6
	v_add_nc_u64_e32 v[6:7], v[42:43], v[6:7]
.LBB1311_166:
	s_and_not1_saveexec_b32 s3, s3
	s_cbranch_execz .LBB1311_168
; %bb.167:
	s_wait_dscnt 0x2
	v_add_nc_u64_e32 v[6:7], v[2:3], v[22:23]
.LBB1311_168:
	s_or_b32 exec_lo, exec_lo, s3
	s_wait_dscnt 0x2
	s_delay_alu instid0(VALU_DEP_1) | instskip(SKIP_4) | instid1(SALU_CYCLE_1)
	v_lshl_add_u64 v[6:7], v[6:7], 2, s[10:11]
	s_wait_dscnt 0x1
	global_store_b32 v[6:7], v4, off
	s_wait_xcnt 0x0
	s_or_b32 exec_lo, exec_lo, s1
	s_mov_b32 s1, exec_lo
	v_cmpx_gt_u32_e64 s22, v20
	s_cbranch_execz .LBB1311_205
	s_branch .LBB1311_200
.LBB1311_169:
	s_or_b32 exec_lo, exec_lo, s1
	s_delay_alu instid0(SALU_CYCLE_1)
	s_mov_b32 s1, exec_lo
	v_cmpx_gt_u32_e64 s22, v40
	s_cbranch_execz .LBB1311_139
.LBB1311_170:
	s_mov_b32 s3, exec_lo
                                        ; implicit-def: $vgpr44_vgpr45
	v_cmpx_ge_u32_e64 v40, v16
	s_xor_b32 s3, exec_lo, s3
; %bb.171:
	v_xor_b32_e32 v40, 0xfffffeff, v0
	s_delay_alu instid0(VALU_DEP_1) | instskip(NEXT) | instid1(VALU_DEP_1)
	v_ashrrev_i32_e32 v41, 31, v40
	v_add_nc_u64_e32 v[44:45], v[42:43], v[40:41]
                                        ; implicit-def: $vgpr40_vgpr41
; %bb.172:
	s_and_not1_saveexec_b32 s3, s3
; %bb.173:
	v_add_nc_u64_e32 v[44:45], v[2:3], v[40:41]
; %bb.174:
	s_or_b32 exec_lo, exec_lo, s3
	s_delay_alu instid0(VALU_DEP_1) | instskip(SKIP_4) | instid1(SALU_CYCLE_1)
	v_lshl_add_u64 v[40:41], v[44:45], 2, s[10:11]
	s_wait_dscnt 0x6
	global_store_b32 v[40:41], v15, off
	s_wait_xcnt 0x0
	s_or_b32 exec_lo, exec_lo, s1
	s_mov_b32 s1, exec_lo
	v_cmpx_gt_u32_e64 s22, v38
	s_cbranch_execnz .LBB1311_140
.LBB1311_175:
	s_or_b32 exec_lo, exec_lo, s1
	s_delay_alu instid0(SALU_CYCLE_1)
	s_mov_b32 s1, exec_lo
	v_cmpx_gt_u32_e64 s22, v36
	s_cbranch_execz .LBB1311_145
.LBB1311_176:
	s_mov_b32 s3, exec_lo
                                        ; implicit-def: $vgpr14_vgpr15
	v_cmpx_ge_u32_e64 v36, v16
	s_xor_b32 s3, exec_lo, s3
	s_cbranch_execz .LBB1311_178
; %bb.177:
	s_wait_dscnt 0x6
	v_xor_b32_e32 v14, 0xfffffcff, v0
                                        ; implicit-def: $vgpr36_vgpr37
	s_delay_alu instid0(VALU_DEP_1) | instskip(NEXT) | instid1(VALU_DEP_1)
	v_ashrrev_i32_e32 v15, 31, v14
	v_add_nc_u64_e32 v[14:15], v[42:43], v[14:15]
.LBB1311_178:
	s_and_not1_saveexec_b32 s3, s3
	s_cbranch_execz .LBB1311_180
; %bb.179:
	s_wait_dscnt 0x6
	v_add_nc_u64_e32 v[14:15], v[2:3], v[36:37]
.LBB1311_180:
	s_or_b32 exec_lo, exec_lo, s3
	s_wait_dscnt 0x6
	s_delay_alu instid0(VALU_DEP_1) | instskip(SKIP_4) | instid1(SALU_CYCLE_1)
	v_lshl_add_u64 v[14:15], v[14:15], 2, s[10:11]
	s_wait_dscnt 0x5
	global_store_b32 v[14:15], v13, off
	s_wait_xcnt 0x0
	s_or_b32 exec_lo, exec_lo, s1
	s_mov_b32 s1, exec_lo
	v_cmpx_gt_u32_e64 s22, v34
	s_cbranch_execnz .LBB1311_146
.LBB1311_181:
	s_or_b32 exec_lo, exec_lo, s1
	s_delay_alu instid0(SALU_CYCLE_1)
	s_mov_b32 s1, exec_lo
	v_cmpx_gt_u32_e64 s22, v32
	s_cbranch_execz .LBB1311_151
.LBB1311_182:
	s_mov_b32 s3, exec_lo
                                        ; implicit-def: $vgpr12_vgpr13
	v_cmpx_ge_u32_e64 v32, v16
	s_xor_b32 s3, exec_lo, s3
	s_cbranch_execz .LBB1311_184
; %bb.183:
	s_wait_dscnt 0x5
	v_xor_b32_e32 v12, 0xfffffaff, v0
                                        ; implicit-def: $vgpr32_vgpr33
	s_delay_alu instid0(VALU_DEP_1) | instskip(NEXT) | instid1(VALU_DEP_1)
	v_ashrrev_i32_e32 v13, 31, v12
	v_add_nc_u64_e32 v[12:13], v[42:43], v[12:13]
.LBB1311_184:
	s_and_not1_saveexec_b32 s3, s3
	s_cbranch_execz .LBB1311_186
; %bb.185:
	s_wait_dscnt 0x5
	v_add_nc_u64_e32 v[12:13], v[2:3], v[32:33]
.LBB1311_186:
	s_or_b32 exec_lo, exec_lo, s3
	s_wait_dscnt 0x5
	s_delay_alu instid0(VALU_DEP_1) | instskip(SKIP_4) | instid1(SALU_CYCLE_1)
	v_lshl_add_u64 v[12:13], v[12:13], 2, s[10:11]
	s_wait_dscnt 0x4
	global_store_b32 v[12:13], v11, off
	s_wait_xcnt 0x0
	s_or_b32 exec_lo, exec_lo, s1
	s_mov_b32 s1, exec_lo
	v_cmpx_gt_u32_e64 s22, v30
	s_cbranch_execnz .LBB1311_152
.LBB1311_187:
	s_or_b32 exec_lo, exec_lo, s1
	s_delay_alu instid0(SALU_CYCLE_1)
	s_mov_b32 s1, exec_lo
	v_cmpx_gt_u32_e64 s22, v28
	s_cbranch_execz .LBB1311_157
.LBB1311_188:
	s_mov_b32 s3, exec_lo
                                        ; implicit-def: $vgpr10_vgpr11
	v_cmpx_ge_u32_e64 v28, v16
	s_xor_b32 s3, exec_lo, s3
	s_cbranch_execz .LBB1311_190
; %bb.189:
	s_wait_dscnt 0x4
	v_xor_b32_e32 v10, 0xfffff8ff, v0
                                        ; implicit-def: $vgpr28_vgpr29
	s_delay_alu instid0(VALU_DEP_1) | instskip(NEXT) | instid1(VALU_DEP_1)
	v_ashrrev_i32_e32 v11, 31, v10
	v_add_nc_u64_e32 v[10:11], v[42:43], v[10:11]
.LBB1311_190:
	s_and_not1_saveexec_b32 s3, s3
	s_cbranch_execz .LBB1311_192
; %bb.191:
	s_wait_dscnt 0x4
	v_add_nc_u64_e32 v[10:11], v[2:3], v[28:29]
.LBB1311_192:
	s_or_b32 exec_lo, exec_lo, s3
	s_wait_dscnt 0x4
	s_delay_alu instid0(VALU_DEP_1) | instskip(SKIP_4) | instid1(SALU_CYCLE_1)
	v_lshl_add_u64 v[10:11], v[10:11], 2, s[10:11]
	s_wait_dscnt 0x3
	global_store_b32 v[10:11], v9, off
	s_wait_xcnt 0x0
	s_or_b32 exec_lo, exec_lo, s1
	s_mov_b32 s1, exec_lo
	v_cmpx_gt_u32_e64 s22, v26
	s_cbranch_execnz .LBB1311_158
.LBB1311_193:
	s_or_b32 exec_lo, exec_lo, s1
	s_delay_alu instid0(SALU_CYCLE_1)
	s_mov_b32 s1, exec_lo
	v_cmpx_gt_u32_e64 s22, v24
	s_cbranch_execz .LBB1311_163
.LBB1311_194:
	s_mov_b32 s3, exec_lo
                                        ; implicit-def: $vgpr8_vgpr9
	v_cmpx_ge_u32_e64 v24, v16
	s_xor_b32 s3, exec_lo, s3
	s_cbranch_execz .LBB1311_196
; %bb.195:
	s_wait_dscnt 0x3
	v_xor_b32_e32 v8, 0xfffff6ff, v0
                                        ; implicit-def: $vgpr24_vgpr25
	s_delay_alu instid0(VALU_DEP_1) | instskip(NEXT) | instid1(VALU_DEP_1)
	v_ashrrev_i32_e32 v9, 31, v8
	v_add_nc_u64_e32 v[8:9], v[42:43], v[8:9]
.LBB1311_196:
	s_and_not1_saveexec_b32 s3, s3
	s_cbranch_execz .LBB1311_198
; %bb.197:
	s_wait_dscnt 0x3
	v_add_nc_u64_e32 v[8:9], v[2:3], v[24:25]
.LBB1311_198:
	s_or_b32 exec_lo, exec_lo, s3
	s_wait_dscnt 0x3
	s_delay_alu instid0(VALU_DEP_1) | instskip(SKIP_4) | instid1(SALU_CYCLE_1)
	v_lshl_add_u64 v[8:9], v[8:9], 2, s[10:11]
	s_wait_dscnt 0x2
	global_store_b32 v[8:9], v7, off
	s_wait_xcnt 0x0
	s_or_b32 exec_lo, exec_lo, s1
	s_mov_b32 s1, exec_lo
	v_cmpx_gt_u32_e64 s22, v22
	s_cbranch_execnz .LBB1311_164
.LBB1311_199:
	s_or_b32 exec_lo, exec_lo, s1
	s_delay_alu instid0(SALU_CYCLE_1)
	s_mov_b32 s1, exec_lo
	v_cmpx_gt_u32_e64 s22, v20
	s_cbranch_execz .LBB1311_205
.LBB1311_200:
	s_mov_b32 s3, exec_lo
                                        ; implicit-def: $vgpr6_vgpr7
	v_cmpx_ge_u32_e64 v20, v16
	s_xor_b32 s3, exec_lo, s3
	s_cbranch_execz .LBB1311_202
; %bb.201:
	s_wait_dscnt 0x2
	v_xor_b32_e32 v6, 0xfffff4ff, v0
                                        ; implicit-def: $vgpr20_vgpr21
	s_delay_alu instid0(VALU_DEP_1) | instskip(NEXT) | instid1(VALU_DEP_1)
	v_ashrrev_i32_e32 v7, 31, v6
	v_add_nc_u64_e32 v[6:7], v[42:43], v[6:7]
.LBB1311_202:
	s_and_not1_saveexec_b32 s3, s3
	s_cbranch_execz .LBB1311_204
; %bb.203:
	s_wait_dscnt 0x2
	v_add_nc_u64_e32 v[6:7], v[2:3], v[20:21]
.LBB1311_204:
	s_or_b32 exec_lo, exec_lo, s3
	s_wait_dscnt 0x2
	s_delay_alu instid0(VALU_DEP_1)
	v_lshl_add_u64 v[6:7], v[6:7], 2, s[10:11]
	s_wait_dscnt 0x1
	global_store_b32 v[6:7], v5, off
.LBB1311_205:
	s_wait_xcnt 0x0
	s_or_b32 exec_lo, exec_lo, s1
	s_delay_alu instid0(SALU_CYCLE_1)
	s_mov_b32 s1, exec_lo
                                        ; implicit-def: $vgpr44_vgpr45
	v_cmpx_gt_u32_e64 s22, v18
	s_cbranch_execz .LBB1311_211
; %bb.206:
	s_mov_b32 s3, exec_lo
                                        ; implicit-def: $vgpr44_vgpr45
	v_cmpx_ge_u32_e64 v18, v16
	s_xor_b32 s3, exec_lo, s3
; %bb.207:
	v_xor_b32_e32 v0, 0xfffff3ff, v0
                                        ; implicit-def: $vgpr18_vgpr19
	s_delay_alu instid0(VALU_DEP_1) | instskip(NEXT) | instid1(VALU_DEP_1)
	v_ashrrev_i32_e32 v1, 31, v0
	v_add_nc_u64_e32 v[44:45], v[42:43], v[0:1]
; %bb.208:
	s_and_not1_saveexec_b32 s3, s3
; %bb.209:
	v_add_nc_u64_e32 v[44:45], v[2:3], v[18:19]
; %bb.210:
	s_or_b32 exec_lo, exec_lo, s3
	s_delay_alu instid0(SALU_CYCLE_1)
	s_or_b32 s0, s0, exec_lo
.LBB1311_211:
	s_or_b32 exec_lo, exec_lo, s1
	s_and_saveexec_b32 s1, s0
	s_cbranch_execnz .LBB1311_130
.LBB1311_212:
	s_or_b32 exec_lo, exec_lo, s1
	s_and_b32 s0, s2, s9
	s_delay_alu instid0(SALU_CYCLE_1)
	s_and_saveexec_b32 s1, s0
	s_cbranch_execz .LBB1311_131
.LBB1311_213:
	v_mov_b32_e32 v17, 0
	s_delay_alu instid0(VALU_DEP_1)
	v_add_nc_u64_e32 v[0:1], v[2:3], v[16:17]
	global_store_b64 v17, v[0:1], s[12:13]
	s_sendmsg sendmsg(MSG_DEALLOC_VGPRS)
	s_endpgm
	.section	.rodata,"a",@progbits
	.p2align	6, 0x0
	.amdhsa_kernel _ZN7rocprim17ROCPRIM_400000_NS6detail17trampoline_kernelINS0_13select_configILj256ELj13ELNS0_17block_load_methodE3ELS4_3ELS4_3ELNS0_20block_scan_algorithmE0ELj4294967295EEENS1_25partition_config_selectorILNS1_17partition_subalgoE3EjNS0_10empty_typeEbEEZZNS1_14partition_implILS8_3ELb0ES6_jNS0_17counting_iteratorIjlEEPS9_SE_NS0_5tupleIJPjSE_EEENSF_IJSE_SE_EEES9_SG_JZNS1_25segmented_radix_sort_implINS0_14default_configELb1EPKfPfPKlPlN2at6native12_GLOBAL__N_18offset_tEEE10hipError_tPvRmT1_PNSt15iterator_traitsISY_E10value_typeET2_T3_PNSZ_IS14_E10value_typeET4_jRbjT5_S1A_jjP12ihipStream_tbEUljE_EEESV_SW_SX_S14_S18_S1A_T6_T7_T9_mT8_S1C_bDpT10_ENKUlT_T0_E_clISt17integral_constantIbLb0EES1O_IbLb1EEEEDaS1K_S1L_EUlS1K_E_NS1_11comp_targetILNS1_3genE0ELNS1_11target_archE4294967295ELNS1_3gpuE0ELNS1_3repE0EEENS1_30default_config_static_selectorELNS0_4arch9wavefront6targetE0EEEvSY_
		.amdhsa_group_segment_fixed_size 13320
		.amdhsa_private_segment_fixed_size 0
		.amdhsa_kernarg_size 152
		.amdhsa_user_sgpr_count 2
		.amdhsa_user_sgpr_dispatch_ptr 0
		.amdhsa_user_sgpr_queue_ptr 0
		.amdhsa_user_sgpr_kernarg_segment_ptr 1
		.amdhsa_user_sgpr_dispatch_id 0
		.amdhsa_user_sgpr_kernarg_preload_length 0
		.amdhsa_user_sgpr_kernarg_preload_offset 0
		.amdhsa_user_sgpr_private_segment_size 0
		.amdhsa_wavefront_size32 1
		.amdhsa_uses_dynamic_stack 0
		.amdhsa_enable_private_segment 0
		.amdhsa_system_sgpr_workgroup_id_x 1
		.amdhsa_system_sgpr_workgroup_id_y 0
		.amdhsa_system_sgpr_workgroup_id_z 0
		.amdhsa_system_sgpr_workgroup_info 0
		.amdhsa_system_vgpr_workitem_id 0
		.amdhsa_next_free_vgpr 72
		.amdhsa_next_free_sgpr 24
		.amdhsa_named_barrier_count 0
		.amdhsa_reserve_vcc 1
		.amdhsa_float_round_mode_32 0
		.amdhsa_float_round_mode_16_64 0
		.amdhsa_float_denorm_mode_32 3
		.amdhsa_float_denorm_mode_16_64 3
		.amdhsa_fp16_overflow 0
		.amdhsa_memory_ordered 1
		.amdhsa_forward_progress 1
		.amdhsa_inst_pref_size 71
		.amdhsa_round_robin_scheduling 0
		.amdhsa_exception_fp_ieee_invalid_op 0
		.amdhsa_exception_fp_denorm_src 0
		.amdhsa_exception_fp_ieee_div_zero 0
		.amdhsa_exception_fp_ieee_overflow 0
		.amdhsa_exception_fp_ieee_underflow 0
		.amdhsa_exception_fp_ieee_inexact 0
		.amdhsa_exception_int_div_zero 0
	.end_amdhsa_kernel
	.section	.text._ZN7rocprim17ROCPRIM_400000_NS6detail17trampoline_kernelINS0_13select_configILj256ELj13ELNS0_17block_load_methodE3ELS4_3ELS4_3ELNS0_20block_scan_algorithmE0ELj4294967295EEENS1_25partition_config_selectorILNS1_17partition_subalgoE3EjNS0_10empty_typeEbEEZZNS1_14partition_implILS8_3ELb0ES6_jNS0_17counting_iteratorIjlEEPS9_SE_NS0_5tupleIJPjSE_EEENSF_IJSE_SE_EEES9_SG_JZNS1_25segmented_radix_sort_implINS0_14default_configELb1EPKfPfPKlPlN2at6native12_GLOBAL__N_18offset_tEEE10hipError_tPvRmT1_PNSt15iterator_traitsISY_E10value_typeET2_T3_PNSZ_IS14_E10value_typeET4_jRbjT5_S1A_jjP12ihipStream_tbEUljE_EEESV_SW_SX_S14_S18_S1A_T6_T7_T9_mT8_S1C_bDpT10_ENKUlT_T0_E_clISt17integral_constantIbLb0EES1O_IbLb1EEEEDaS1K_S1L_EUlS1K_E_NS1_11comp_targetILNS1_3genE0ELNS1_11target_archE4294967295ELNS1_3gpuE0ELNS1_3repE0EEENS1_30default_config_static_selectorELNS0_4arch9wavefront6targetE0EEEvSY_,"axG",@progbits,_ZN7rocprim17ROCPRIM_400000_NS6detail17trampoline_kernelINS0_13select_configILj256ELj13ELNS0_17block_load_methodE3ELS4_3ELS4_3ELNS0_20block_scan_algorithmE0ELj4294967295EEENS1_25partition_config_selectorILNS1_17partition_subalgoE3EjNS0_10empty_typeEbEEZZNS1_14partition_implILS8_3ELb0ES6_jNS0_17counting_iteratorIjlEEPS9_SE_NS0_5tupleIJPjSE_EEENSF_IJSE_SE_EEES9_SG_JZNS1_25segmented_radix_sort_implINS0_14default_configELb1EPKfPfPKlPlN2at6native12_GLOBAL__N_18offset_tEEE10hipError_tPvRmT1_PNSt15iterator_traitsISY_E10value_typeET2_T3_PNSZ_IS14_E10value_typeET4_jRbjT5_S1A_jjP12ihipStream_tbEUljE_EEESV_SW_SX_S14_S18_S1A_T6_T7_T9_mT8_S1C_bDpT10_ENKUlT_T0_E_clISt17integral_constantIbLb0EES1O_IbLb1EEEEDaS1K_S1L_EUlS1K_E_NS1_11comp_targetILNS1_3genE0ELNS1_11target_archE4294967295ELNS1_3gpuE0ELNS1_3repE0EEENS1_30default_config_static_selectorELNS0_4arch9wavefront6targetE0EEEvSY_,comdat
.Lfunc_end1311:
	.size	_ZN7rocprim17ROCPRIM_400000_NS6detail17trampoline_kernelINS0_13select_configILj256ELj13ELNS0_17block_load_methodE3ELS4_3ELS4_3ELNS0_20block_scan_algorithmE0ELj4294967295EEENS1_25partition_config_selectorILNS1_17partition_subalgoE3EjNS0_10empty_typeEbEEZZNS1_14partition_implILS8_3ELb0ES6_jNS0_17counting_iteratorIjlEEPS9_SE_NS0_5tupleIJPjSE_EEENSF_IJSE_SE_EEES9_SG_JZNS1_25segmented_radix_sort_implINS0_14default_configELb1EPKfPfPKlPlN2at6native12_GLOBAL__N_18offset_tEEE10hipError_tPvRmT1_PNSt15iterator_traitsISY_E10value_typeET2_T3_PNSZ_IS14_E10value_typeET4_jRbjT5_S1A_jjP12ihipStream_tbEUljE_EEESV_SW_SX_S14_S18_S1A_T6_T7_T9_mT8_S1C_bDpT10_ENKUlT_T0_E_clISt17integral_constantIbLb0EES1O_IbLb1EEEEDaS1K_S1L_EUlS1K_E_NS1_11comp_targetILNS1_3genE0ELNS1_11target_archE4294967295ELNS1_3gpuE0ELNS1_3repE0EEENS1_30default_config_static_selectorELNS0_4arch9wavefront6targetE0EEEvSY_, .Lfunc_end1311-_ZN7rocprim17ROCPRIM_400000_NS6detail17trampoline_kernelINS0_13select_configILj256ELj13ELNS0_17block_load_methodE3ELS4_3ELS4_3ELNS0_20block_scan_algorithmE0ELj4294967295EEENS1_25partition_config_selectorILNS1_17partition_subalgoE3EjNS0_10empty_typeEbEEZZNS1_14partition_implILS8_3ELb0ES6_jNS0_17counting_iteratorIjlEEPS9_SE_NS0_5tupleIJPjSE_EEENSF_IJSE_SE_EEES9_SG_JZNS1_25segmented_radix_sort_implINS0_14default_configELb1EPKfPfPKlPlN2at6native12_GLOBAL__N_18offset_tEEE10hipError_tPvRmT1_PNSt15iterator_traitsISY_E10value_typeET2_T3_PNSZ_IS14_E10value_typeET4_jRbjT5_S1A_jjP12ihipStream_tbEUljE_EEESV_SW_SX_S14_S18_S1A_T6_T7_T9_mT8_S1C_bDpT10_ENKUlT_T0_E_clISt17integral_constantIbLb0EES1O_IbLb1EEEEDaS1K_S1L_EUlS1K_E_NS1_11comp_targetILNS1_3genE0ELNS1_11target_archE4294967295ELNS1_3gpuE0ELNS1_3repE0EEENS1_30default_config_static_selectorELNS0_4arch9wavefront6targetE0EEEvSY_
                                        ; -- End function
	.set _ZN7rocprim17ROCPRIM_400000_NS6detail17trampoline_kernelINS0_13select_configILj256ELj13ELNS0_17block_load_methodE3ELS4_3ELS4_3ELNS0_20block_scan_algorithmE0ELj4294967295EEENS1_25partition_config_selectorILNS1_17partition_subalgoE3EjNS0_10empty_typeEbEEZZNS1_14partition_implILS8_3ELb0ES6_jNS0_17counting_iteratorIjlEEPS9_SE_NS0_5tupleIJPjSE_EEENSF_IJSE_SE_EEES9_SG_JZNS1_25segmented_radix_sort_implINS0_14default_configELb1EPKfPfPKlPlN2at6native12_GLOBAL__N_18offset_tEEE10hipError_tPvRmT1_PNSt15iterator_traitsISY_E10value_typeET2_T3_PNSZ_IS14_E10value_typeET4_jRbjT5_S1A_jjP12ihipStream_tbEUljE_EEESV_SW_SX_S14_S18_S1A_T6_T7_T9_mT8_S1C_bDpT10_ENKUlT_T0_E_clISt17integral_constantIbLb0EES1O_IbLb1EEEEDaS1K_S1L_EUlS1K_E_NS1_11comp_targetILNS1_3genE0ELNS1_11target_archE4294967295ELNS1_3gpuE0ELNS1_3repE0EEENS1_30default_config_static_selectorELNS0_4arch9wavefront6targetE0EEEvSY_.num_vgpr, 72
	.set _ZN7rocprim17ROCPRIM_400000_NS6detail17trampoline_kernelINS0_13select_configILj256ELj13ELNS0_17block_load_methodE3ELS4_3ELS4_3ELNS0_20block_scan_algorithmE0ELj4294967295EEENS1_25partition_config_selectorILNS1_17partition_subalgoE3EjNS0_10empty_typeEbEEZZNS1_14partition_implILS8_3ELb0ES6_jNS0_17counting_iteratorIjlEEPS9_SE_NS0_5tupleIJPjSE_EEENSF_IJSE_SE_EEES9_SG_JZNS1_25segmented_radix_sort_implINS0_14default_configELb1EPKfPfPKlPlN2at6native12_GLOBAL__N_18offset_tEEE10hipError_tPvRmT1_PNSt15iterator_traitsISY_E10value_typeET2_T3_PNSZ_IS14_E10value_typeET4_jRbjT5_S1A_jjP12ihipStream_tbEUljE_EEESV_SW_SX_S14_S18_S1A_T6_T7_T9_mT8_S1C_bDpT10_ENKUlT_T0_E_clISt17integral_constantIbLb0EES1O_IbLb1EEEEDaS1K_S1L_EUlS1K_E_NS1_11comp_targetILNS1_3genE0ELNS1_11target_archE4294967295ELNS1_3gpuE0ELNS1_3repE0EEENS1_30default_config_static_selectorELNS0_4arch9wavefront6targetE0EEEvSY_.num_agpr, 0
	.set _ZN7rocprim17ROCPRIM_400000_NS6detail17trampoline_kernelINS0_13select_configILj256ELj13ELNS0_17block_load_methodE3ELS4_3ELS4_3ELNS0_20block_scan_algorithmE0ELj4294967295EEENS1_25partition_config_selectorILNS1_17partition_subalgoE3EjNS0_10empty_typeEbEEZZNS1_14partition_implILS8_3ELb0ES6_jNS0_17counting_iteratorIjlEEPS9_SE_NS0_5tupleIJPjSE_EEENSF_IJSE_SE_EEES9_SG_JZNS1_25segmented_radix_sort_implINS0_14default_configELb1EPKfPfPKlPlN2at6native12_GLOBAL__N_18offset_tEEE10hipError_tPvRmT1_PNSt15iterator_traitsISY_E10value_typeET2_T3_PNSZ_IS14_E10value_typeET4_jRbjT5_S1A_jjP12ihipStream_tbEUljE_EEESV_SW_SX_S14_S18_S1A_T6_T7_T9_mT8_S1C_bDpT10_ENKUlT_T0_E_clISt17integral_constantIbLb0EES1O_IbLb1EEEEDaS1K_S1L_EUlS1K_E_NS1_11comp_targetILNS1_3genE0ELNS1_11target_archE4294967295ELNS1_3gpuE0ELNS1_3repE0EEENS1_30default_config_static_selectorELNS0_4arch9wavefront6targetE0EEEvSY_.numbered_sgpr, 24
	.set _ZN7rocprim17ROCPRIM_400000_NS6detail17trampoline_kernelINS0_13select_configILj256ELj13ELNS0_17block_load_methodE3ELS4_3ELS4_3ELNS0_20block_scan_algorithmE0ELj4294967295EEENS1_25partition_config_selectorILNS1_17partition_subalgoE3EjNS0_10empty_typeEbEEZZNS1_14partition_implILS8_3ELb0ES6_jNS0_17counting_iteratorIjlEEPS9_SE_NS0_5tupleIJPjSE_EEENSF_IJSE_SE_EEES9_SG_JZNS1_25segmented_radix_sort_implINS0_14default_configELb1EPKfPfPKlPlN2at6native12_GLOBAL__N_18offset_tEEE10hipError_tPvRmT1_PNSt15iterator_traitsISY_E10value_typeET2_T3_PNSZ_IS14_E10value_typeET4_jRbjT5_S1A_jjP12ihipStream_tbEUljE_EEESV_SW_SX_S14_S18_S1A_T6_T7_T9_mT8_S1C_bDpT10_ENKUlT_T0_E_clISt17integral_constantIbLb0EES1O_IbLb1EEEEDaS1K_S1L_EUlS1K_E_NS1_11comp_targetILNS1_3genE0ELNS1_11target_archE4294967295ELNS1_3gpuE0ELNS1_3repE0EEENS1_30default_config_static_selectorELNS0_4arch9wavefront6targetE0EEEvSY_.num_named_barrier, 0
	.set _ZN7rocprim17ROCPRIM_400000_NS6detail17trampoline_kernelINS0_13select_configILj256ELj13ELNS0_17block_load_methodE3ELS4_3ELS4_3ELNS0_20block_scan_algorithmE0ELj4294967295EEENS1_25partition_config_selectorILNS1_17partition_subalgoE3EjNS0_10empty_typeEbEEZZNS1_14partition_implILS8_3ELb0ES6_jNS0_17counting_iteratorIjlEEPS9_SE_NS0_5tupleIJPjSE_EEENSF_IJSE_SE_EEES9_SG_JZNS1_25segmented_radix_sort_implINS0_14default_configELb1EPKfPfPKlPlN2at6native12_GLOBAL__N_18offset_tEEE10hipError_tPvRmT1_PNSt15iterator_traitsISY_E10value_typeET2_T3_PNSZ_IS14_E10value_typeET4_jRbjT5_S1A_jjP12ihipStream_tbEUljE_EEESV_SW_SX_S14_S18_S1A_T6_T7_T9_mT8_S1C_bDpT10_ENKUlT_T0_E_clISt17integral_constantIbLb0EES1O_IbLb1EEEEDaS1K_S1L_EUlS1K_E_NS1_11comp_targetILNS1_3genE0ELNS1_11target_archE4294967295ELNS1_3gpuE0ELNS1_3repE0EEENS1_30default_config_static_selectorELNS0_4arch9wavefront6targetE0EEEvSY_.private_seg_size, 0
	.set _ZN7rocprim17ROCPRIM_400000_NS6detail17trampoline_kernelINS0_13select_configILj256ELj13ELNS0_17block_load_methodE3ELS4_3ELS4_3ELNS0_20block_scan_algorithmE0ELj4294967295EEENS1_25partition_config_selectorILNS1_17partition_subalgoE3EjNS0_10empty_typeEbEEZZNS1_14partition_implILS8_3ELb0ES6_jNS0_17counting_iteratorIjlEEPS9_SE_NS0_5tupleIJPjSE_EEENSF_IJSE_SE_EEES9_SG_JZNS1_25segmented_radix_sort_implINS0_14default_configELb1EPKfPfPKlPlN2at6native12_GLOBAL__N_18offset_tEEE10hipError_tPvRmT1_PNSt15iterator_traitsISY_E10value_typeET2_T3_PNSZ_IS14_E10value_typeET4_jRbjT5_S1A_jjP12ihipStream_tbEUljE_EEESV_SW_SX_S14_S18_S1A_T6_T7_T9_mT8_S1C_bDpT10_ENKUlT_T0_E_clISt17integral_constantIbLb0EES1O_IbLb1EEEEDaS1K_S1L_EUlS1K_E_NS1_11comp_targetILNS1_3genE0ELNS1_11target_archE4294967295ELNS1_3gpuE0ELNS1_3repE0EEENS1_30default_config_static_selectorELNS0_4arch9wavefront6targetE0EEEvSY_.uses_vcc, 1
	.set _ZN7rocprim17ROCPRIM_400000_NS6detail17trampoline_kernelINS0_13select_configILj256ELj13ELNS0_17block_load_methodE3ELS4_3ELS4_3ELNS0_20block_scan_algorithmE0ELj4294967295EEENS1_25partition_config_selectorILNS1_17partition_subalgoE3EjNS0_10empty_typeEbEEZZNS1_14partition_implILS8_3ELb0ES6_jNS0_17counting_iteratorIjlEEPS9_SE_NS0_5tupleIJPjSE_EEENSF_IJSE_SE_EEES9_SG_JZNS1_25segmented_radix_sort_implINS0_14default_configELb1EPKfPfPKlPlN2at6native12_GLOBAL__N_18offset_tEEE10hipError_tPvRmT1_PNSt15iterator_traitsISY_E10value_typeET2_T3_PNSZ_IS14_E10value_typeET4_jRbjT5_S1A_jjP12ihipStream_tbEUljE_EEESV_SW_SX_S14_S18_S1A_T6_T7_T9_mT8_S1C_bDpT10_ENKUlT_T0_E_clISt17integral_constantIbLb0EES1O_IbLb1EEEEDaS1K_S1L_EUlS1K_E_NS1_11comp_targetILNS1_3genE0ELNS1_11target_archE4294967295ELNS1_3gpuE0ELNS1_3repE0EEENS1_30default_config_static_selectorELNS0_4arch9wavefront6targetE0EEEvSY_.uses_flat_scratch, 0
	.set _ZN7rocprim17ROCPRIM_400000_NS6detail17trampoline_kernelINS0_13select_configILj256ELj13ELNS0_17block_load_methodE3ELS4_3ELS4_3ELNS0_20block_scan_algorithmE0ELj4294967295EEENS1_25partition_config_selectorILNS1_17partition_subalgoE3EjNS0_10empty_typeEbEEZZNS1_14partition_implILS8_3ELb0ES6_jNS0_17counting_iteratorIjlEEPS9_SE_NS0_5tupleIJPjSE_EEENSF_IJSE_SE_EEES9_SG_JZNS1_25segmented_radix_sort_implINS0_14default_configELb1EPKfPfPKlPlN2at6native12_GLOBAL__N_18offset_tEEE10hipError_tPvRmT1_PNSt15iterator_traitsISY_E10value_typeET2_T3_PNSZ_IS14_E10value_typeET4_jRbjT5_S1A_jjP12ihipStream_tbEUljE_EEESV_SW_SX_S14_S18_S1A_T6_T7_T9_mT8_S1C_bDpT10_ENKUlT_T0_E_clISt17integral_constantIbLb0EES1O_IbLb1EEEEDaS1K_S1L_EUlS1K_E_NS1_11comp_targetILNS1_3genE0ELNS1_11target_archE4294967295ELNS1_3gpuE0ELNS1_3repE0EEENS1_30default_config_static_selectorELNS0_4arch9wavefront6targetE0EEEvSY_.has_dyn_sized_stack, 0
	.set _ZN7rocprim17ROCPRIM_400000_NS6detail17trampoline_kernelINS0_13select_configILj256ELj13ELNS0_17block_load_methodE3ELS4_3ELS4_3ELNS0_20block_scan_algorithmE0ELj4294967295EEENS1_25partition_config_selectorILNS1_17partition_subalgoE3EjNS0_10empty_typeEbEEZZNS1_14partition_implILS8_3ELb0ES6_jNS0_17counting_iteratorIjlEEPS9_SE_NS0_5tupleIJPjSE_EEENSF_IJSE_SE_EEES9_SG_JZNS1_25segmented_radix_sort_implINS0_14default_configELb1EPKfPfPKlPlN2at6native12_GLOBAL__N_18offset_tEEE10hipError_tPvRmT1_PNSt15iterator_traitsISY_E10value_typeET2_T3_PNSZ_IS14_E10value_typeET4_jRbjT5_S1A_jjP12ihipStream_tbEUljE_EEESV_SW_SX_S14_S18_S1A_T6_T7_T9_mT8_S1C_bDpT10_ENKUlT_T0_E_clISt17integral_constantIbLb0EES1O_IbLb1EEEEDaS1K_S1L_EUlS1K_E_NS1_11comp_targetILNS1_3genE0ELNS1_11target_archE4294967295ELNS1_3gpuE0ELNS1_3repE0EEENS1_30default_config_static_selectorELNS0_4arch9wavefront6targetE0EEEvSY_.has_recursion, 0
	.set _ZN7rocprim17ROCPRIM_400000_NS6detail17trampoline_kernelINS0_13select_configILj256ELj13ELNS0_17block_load_methodE3ELS4_3ELS4_3ELNS0_20block_scan_algorithmE0ELj4294967295EEENS1_25partition_config_selectorILNS1_17partition_subalgoE3EjNS0_10empty_typeEbEEZZNS1_14partition_implILS8_3ELb0ES6_jNS0_17counting_iteratorIjlEEPS9_SE_NS0_5tupleIJPjSE_EEENSF_IJSE_SE_EEES9_SG_JZNS1_25segmented_radix_sort_implINS0_14default_configELb1EPKfPfPKlPlN2at6native12_GLOBAL__N_18offset_tEEE10hipError_tPvRmT1_PNSt15iterator_traitsISY_E10value_typeET2_T3_PNSZ_IS14_E10value_typeET4_jRbjT5_S1A_jjP12ihipStream_tbEUljE_EEESV_SW_SX_S14_S18_S1A_T6_T7_T9_mT8_S1C_bDpT10_ENKUlT_T0_E_clISt17integral_constantIbLb0EES1O_IbLb1EEEEDaS1K_S1L_EUlS1K_E_NS1_11comp_targetILNS1_3genE0ELNS1_11target_archE4294967295ELNS1_3gpuE0ELNS1_3repE0EEENS1_30default_config_static_selectorELNS0_4arch9wavefront6targetE0EEEvSY_.has_indirect_call, 0
	.section	.AMDGPU.csdata,"",@progbits
; Kernel info:
; codeLenInByte = 9040
; TotalNumSgprs: 26
; NumVgprs: 72
; ScratchSize: 0
; MemoryBound: 0
; FloatMode: 240
; IeeeMode: 1
; LDSByteSize: 13320 bytes/workgroup (compile time only)
; SGPRBlocks: 0
; VGPRBlocks: 4
; NumSGPRsForWavesPerEU: 26
; NumVGPRsForWavesPerEU: 72
; NamedBarCnt: 0
; Occupancy: 12
; WaveLimiterHint : 0
; COMPUTE_PGM_RSRC2:SCRATCH_EN: 0
; COMPUTE_PGM_RSRC2:USER_SGPR: 2
; COMPUTE_PGM_RSRC2:TRAP_HANDLER: 0
; COMPUTE_PGM_RSRC2:TGID_X_EN: 1
; COMPUTE_PGM_RSRC2:TGID_Y_EN: 0
; COMPUTE_PGM_RSRC2:TGID_Z_EN: 0
; COMPUTE_PGM_RSRC2:TIDIG_COMP_CNT: 0
	.section	.text._ZN7rocprim17ROCPRIM_400000_NS6detail17trampoline_kernelINS0_13select_configILj256ELj13ELNS0_17block_load_methodE3ELS4_3ELS4_3ELNS0_20block_scan_algorithmE0ELj4294967295EEENS1_25partition_config_selectorILNS1_17partition_subalgoE3EjNS0_10empty_typeEbEEZZNS1_14partition_implILS8_3ELb0ES6_jNS0_17counting_iteratorIjlEEPS9_SE_NS0_5tupleIJPjSE_EEENSF_IJSE_SE_EEES9_SG_JZNS1_25segmented_radix_sort_implINS0_14default_configELb1EPKfPfPKlPlN2at6native12_GLOBAL__N_18offset_tEEE10hipError_tPvRmT1_PNSt15iterator_traitsISY_E10value_typeET2_T3_PNSZ_IS14_E10value_typeET4_jRbjT5_S1A_jjP12ihipStream_tbEUljE_EEESV_SW_SX_S14_S18_S1A_T6_T7_T9_mT8_S1C_bDpT10_ENKUlT_T0_E_clISt17integral_constantIbLb0EES1O_IbLb1EEEEDaS1K_S1L_EUlS1K_E_NS1_11comp_targetILNS1_3genE5ELNS1_11target_archE942ELNS1_3gpuE9ELNS1_3repE0EEENS1_30default_config_static_selectorELNS0_4arch9wavefront6targetE0EEEvSY_,"axG",@progbits,_ZN7rocprim17ROCPRIM_400000_NS6detail17trampoline_kernelINS0_13select_configILj256ELj13ELNS0_17block_load_methodE3ELS4_3ELS4_3ELNS0_20block_scan_algorithmE0ELj4294967295EEENS1_25partition_config_selectorILNS1_17partition_subalgoE3EjNS0_10empty_typeEbEEZZNS1_14partition_implILS8_3ELb0ES6_jNS0_17counting_iteratorIjlEEPS9_SE_NS0_5tupleIJPjSE_EEENSF_IJSE_SE_EEES9_SG_JZNS1_25segmented_radix_sort_implINS0_14default_configELb1EPKfPfPKlPlN2at6native12_GLOBAL__N_18offset_tEEE10hipError_tPvRmT1_PNSt15iterator_traitsISY_E10value_typeET2_T3_PNSZ_IS14_E10value_typeET4_jRbjT5_S1A_jjP12ihipStream_tbEUljE_EEESV_SW_SX_S14_S18_S1A_T6_T7_T9_mT8_S1C_bDpT10_ENKUlT_T0_E_clISt17integral_constantIbLb0EES1O_IbLb1EEEEDaS1K_S1L_EUlS1K_E_NS1_11comp_targetILNS1_3genE5ELNS1_11target_archE942ELNS1_3gpuE9ELNS1_3repE0EEENS1_30default_config_static_selectorELNS0_4arch9wavefront6targetE0EEEvSY_,comdat
	.globl	_ZN7rocprim17ROCPRIM_400000_NS6detail17trampoline_kernelINS0_13select_configILj256ELj13ELNS0_17block_load_methodE3ELS4_3ELS4_3ELNS0_20block_scan_algorithmE0ELj4294967295EEENS1_25partition_config_selectorILNS1_17partition_subalgoE3EjNS0_10empty_typeEbEEZZNS1_14partition_implILS8_3ELb0ES6_jNS0_17counting_iteratorIjlEEPS9_SE_NS0_5tupleIJPjSE_EEENSF_IJSE_SE_EEES9_SG_JZNS1_25segmented_radix_sort_implINS0_14default_configELb1EPKfPfPKlPlN2at6native12_GLOBAL__N_18offset_tEEE10hipError_tPvRmT1_PNSt15iterator_traitsISY_E10value_typeET2_T3_PNSZ_IS14_E10value_typeET4_jRbjT5_S1A_jjP12ihipStream_tbEUljE_EEESV_SW_SX_S14_S18_S1A_T6_T7_T9_mT8_S1C_bDpT10_ENKUlT_T0_E_clISt17integral_constantIbLb0EES1O_IbLb1EEEEDaS1K_S1L_EUlS1K_E_NS1_11comp_targetILNS1_3genE5ELNS1_11target_archE942ELNS1_3gpuE9ELNS1_3repE0EEENS1_30default_config_static_selectorELNS0_4arch9wavefront6targetE0EEEvSY_ ; -- Begin function _ZN7rocprim17ROCPRIM_400000_NS6detail17trampoline_kernelINS0_13select_configILj256ELj13ELNS0_17block_load_methodE3ELS4_3ELS4_3ELNS0_20block_scan_algorithmE0ELj4294967295EEENS1_25partition_config_selectorILNS1_17partition_subalgoE3EjNS0_10empty_typeEbEEZZNS1_14partition_implILS8_3ELb0ES6_jNS0_17counting_iteratorIjlEEPS9_SE_NS0_5tupleIJPjSE_EEENSF_IJSE_SE_EEES9_SG_JZNS1_25segmented_radix_sort_implINS0_14default_configELb1EPKfPfPKlPlN2at6native12_GLOBAL__N_18offset_tEEE10hipError_tPvRmT1_PNSt15iterator_traitsISY_E10value_typeET2_T3_PNSZ_IS14_E10value_typeET4_jRbjT5_S1A_jjP12ihipStream_tbEUljE_EEESV_SW_SX_S14_S18_S1A_T6_T7_T9_mT8_S1C_bDpT10_ENKUlT_T0_E_clISt17integral_constantIbLb0EES1O_IbLb1EEEEDaS1K_S1L_EUlS1K_E_NS1_11comp_targetILNS1_3genE5ELNS1_11target_archE942ELNS1_3gpuE9ELNS1_3repE0EEENS1_30default_config_static_selectorELNS0_4arch9wavefront6targetE0EEEvSY_
	.p2align	8
	.type	_ZN7rocprim17ROCPRIM_400000_NS6detail17trampoline_kernelINS0_13select_configILj256ELj13ELNS0_17block_load_methodE3ELS4_3ELS4_3ELNS0_20block_scan_algorithmE0ELj4294967295EEENS1_25partition_config_selectorILNS1_17partition_subalgoE3EjNS0_10empty_typeEbEEZZNS1_14partition_implILS8_3ELb0ES6_jNS0_17counting_iteratorIjlEEPS9_SE_NS0_5tupleIJPjSE_EEENSF_IJSE_SE_EEES9_SG_JZNS1_25segmented_radix_sort_implINS0_14default_configELb1EPKfPfPKlPlN2at6native12_GLOBAL__N_18offset_tEEE10hipError_tPvRmT1_PNSt15iterator_traitsISY_E10value_typeET2_T3_PNSZ_IS14_E10value_typeET4_jRbjT5_S1A_jjP12ihipStream_tbEUljE_EEESV_SW_SX_S14_S18_S1A_T6_T7_T9_mT8_S1C_bDpT10_ENKUlT_T0_E_clISt17integral_constantIbLb0EES1O_IbLb1EEEEDaS1K_S1L_EUlS1K_E_NS1_11comp_targetILNS1_3genE5ELNS1_11target_archE942ELNS1_3gpuE9ELNS1_3repE0EEENS1_30default_config_static_selectorELNS0_4arch9wavefront6targetE0EEEvSY_,@function
_ZN7rocprim17ROCPRIM_400000_NS6detail17trampoline_kernelINS0_13select_configILj256ELj13ELNS0_17block_load_methodE3ELS4_3ELS4_3ELNS0_20block_scan_algorithmE0ELj4294967295EEENS1_25partition_config_selectorILNS1_17partition_subalgoE3EjNS0_10empty_typeEbEEZZNS1_14partition_implILS8_3ELb0ES6_jNS0_17counting_iteratorIjlEEPS9_SE_NS0_5tupleIJPjSE_EEENSF_IJSE_SE_EEES9_SG_JZNS1_25segmented_radix_sort_implINS0_14default_configELb1EPKfPfPKlPlN2at6native12_GLOBAL__N_18offset_tEEE10hipError_tPvRmT1_PNSt15iterator_traitsISY_E10value_typeET2_T3_PNSZ_IS14_E10value_typeET4_jRbjT5_S1A_jjP12ihipStream_tbEUljE_EEESV_SW_SX_S14_S18_S1A_T6_T7_T9_mT8_S1C_bDpT10_ENKUlT_T0_E_clISt17integral_constantIbLb0EES1O_IbLb1EEEEDaS1K_S1L_EUlS1K_E_NS1_11comp_targetILNS1_3genE5ELNS1_11target_archE942ELNS1_3gpuE9ELNS1_3repE0EEENS1_30default_config_static_selectorELNS0_4arch9wavefront6targetE0EEEvSY_: ; @_ZN7rocprim17ROCPRIM_400000_NS6detail17trampoline_kernelINS0_13select_configILj256ELj13ELNS0_17block_load_methodE3ELS4_3ELS4_3ELNS0_20block_scan_algorithmE0ELj4294967295EEENS1_25partition_config_selectorILNS1_17partition_subalgoE3EjNS0_10empty_typeEbEEZZNS1_14partition_implILS8_3ELb0ES6_jNS0_17counting_iteratorIjlEEPS9_SE_NS0_5tupleIJPjSE_EEENSF_IJSE_SE_EEES9_SG_JZNS1_25segmented_radix_sort_implINS0_14default_configELb1EPKfPfPKlPlN2at6native12_GLOBAL__N_18offset_tEEE10hipError_tPvRmT1_PNSt15iterator_traitsISY_E10value_typeET2_T3_PNSZ_IS14_E10value_typeET4_jRbjT5_S1A_jjP12ihipStream_tbEUljE_EEESV_SW_SX_S14_S18_S1A_T6_T7_T9_mT8_S1C_bDpT10_ENKUlT_T0_E_clISt17integral_constantIbLb0EES1O_IbLb1EEEEDaS1K_S1L_EUlS1K_E_NS1_11comp_targetILNS1_3genE5ELNS1_11target_archE942ELNS1_3gpuE9ELNS1_3repE0EEENS1_30default_config_static_selectorELNS0_4arch9wavefront6targetE0EEEvSY_
; %bb.0:
	.section	.rodata,"a",@progbits
	.p2align	6, 0x0
	.amdhsa_kernel _ZN7rocprim17ROCPRIM_400000_NS6detail17trampoline_kernelINS0_13select_configILj256ELj13ELNS0_17block_load_methodE3ELS4_3ELS4_3ELNS0_20block_scan_algorithmE0ELj4294967295EEENS1_25partition_config_selectorILNS1_17partition_subalgoE3EjNS0_10empty_typeEbEEZZNS1_14partition_implILS8_3ELb0ES6_jNS0_17counting_iteratorIjlEEPS9_SE_NS0_5tupleIJPjSE_EEENSF_IJSE_SE_EEES9_SG_JZNS1_25segmented_radix_sort_implINS0_14default_configELb1EPKfPfPKlPlN2at6native12_GLOBAL__N_18offset_tEEE10hipError_tPvRmT1_PNSt15iterator_traitsISY_E10value_typeET2_T3_PNSZ_IS14_E10value_typeET4_jRbjT5_S1A_jjP12ihipStream_tbEUljE_EEESV_SW_SX_S14_S18_S1A_T6_T7_T9_mT8_S1C_bDpT10_ENKUlT_T0_E_clISt17integral_constantIbLb0EES1O_IbLb1EEEEDaS1K_S1L_EUlS1K_E_NS1_11comp_targetILNS1_3genE5ELNS1_11target_archE942ELNS1_3gpuE9ELNS1_3repE0EEENS1_30default_config_static_selectorELNS0_4arch9wavefront6targetE0EEEvSY_
		.amdhsa_group_segment_fixed_size 0
		.amdhsa_private_segment_fixed_size 0
		.amdhsa_kernarg_size 152
		.amdhsa_user_sgpr_count 2
		.amdhsa_user_sgpr_dispatch_ptr 0
		.amdhsa_user_sgpr_queue_ptr 0
		.amdhsa_user_sgpr_kernarg_segment_ptr 1
		.amdhsa_user_sgpr_dispatch_id 0
		.amdhsa_user_sgpr_kernarg_preload_length 0
		.amdhsa_user_sgpr_kernarg_preload_offset 0
		.amdhsa_user_sgpr_private_segment_size 0
		.amdhsa_wavefront_size32 1
		.amdhsa_uses_dynamic_stack 0
		.amdhsa_enable_private_segment 0
		.amdhsa_system_sgpr_workgroup_id_x 1
		.amdhsa_system_sgpr_workgroup_id_y 0
		.amdhsa_system_sgpr_workgroup_id_z 0
		.amdhsa_system_sgpr_workgroup_info 0
		.amdhsa_system_vgpr_workitem_id 0
		.amdhsa_next_free_vgpr 1
		.amdhsa_next_free_sgpr 1
		.amdhsa_named_barrier_count 0
		.amdhsa_reserve_vcc 0
		.amdhsa_float_round_mode_32 0
		.amdhsa_float_round_mode_16_64 0
		.amdhsa_float_denorm_mode_32 3
		.amdhsa_float_denorm_mode_16_64 3
		.amdhsa_fp16_overflow 0
		.amdhsa_memory_ordered 1
		.amdhsa_forward_progress 1
		.amdhsa_inst_pref_size 0
		.amdhsa_round_robin_scheduling 0
		.amdhsa_exception_fp_ieee_invalid_op 0
		.amdhsa_exception_fp_denorm_src 0
		.amdhsa_exception_fp_ieee_div_zero 0
		.amdhsa_exception_fp_ieee_overflow 0
		.amdhsa_exception_fp_ieee_underflow 0
		.amdhsa_exception_fp_ieee_inexact 0
		.amdhsa_exception_int_div_zero 0
	.end_amdhsa_kernel
	.section	.text._ZN7rocprim17ROCPRIM_400000_NS6detail17trampoline_kernelINS0_13select_configILj256ELj13ELNS0_17block_load_methodE3ELS4_3ELS4_3ELNS0_20block_scan_algorithmE0ELj4294967295EEENS1_25partition_config_selectorILNS1_17partition_subalgoE3EjNS0_10empty_typeEbEEZZNS1_14partition_implILS8_3ELb0ES6_jNS0_17counting_iteratorIjlEEPS9_SE_NS0_5tupleIJPjSE_EEENSF_IJSE_SE_EEES9_SG_JZNS1_25segmented_radix_sort_implINS0_14default_configELb1EPKfPfPKlPlN2at6native12_GLOBAL__N_18offset_tEEE10hipError_tPvRmT1_PNSt15iterator_traitsISY_E10value_typeET2_T3_PNSZ_IS14_E10value_typeET4_jRbjT5_S1A_jjP12ihipStream_tbEUljE_EEESV_SW_SX_S14_S18_S1A_T6_T7_T9_mT8_S1C_bDpT10_ENKUlT_T0_E_clISt17integral_constantIbLb0EES1O_IbLb1EEEEDaS1K_S1L_EUlS1K_E_NS1_11comp_targetILNS1_3genE5ELNS1_11target_archE942ELNS1_3gpuE9ELNS1_3repE0EEENS1_30default_config_static_selectorELNS0_4arch9wavefront6targetE0EEEvSY_,"axG",@progbits,_ZN7rocprim17ROCPRIM_400000_NS6detail17trampoline_kernelINS0_13select_configILj256ELj13ELNS0_17block_load_methodE3ELS4_3ELS4_3ELNS0_20block_scan_algorithmE0ELj4294967295EEENS1_25partition_config_selectorILNS1_17partition_subalgoE3EjNS0_10empty_typeEbEEZZNS1_14partition_implILS8_3ELb0ES6_jNS0_17counting_iteratorIjlEEPS9_SE_NS0_5tupleIJPjSE_EEENSF_IJSE_SE_EEES9_SG_JZNS1_25segmented_radix_sort_implINS0_14default_configELb1EPKfPfPKlPlN2at6native12_GLOBAL__N_18offset_tEEE10hipError_tPvRmT1_PNSt15iterator_traitsISY_E10value_typeET2_T3_PNSZ_IS14_E10value_typeET4_jRbjT5_S1A_jjP12ihipStream_tbEUljE_EEESV_SW_SX_S14_S18_S1A_T6_T7_T9_mT8_S1C_bDpT10_ENKUlT_T0_E_clISt17integral_constantIbLb0EES1O_IbLb1EEEEDaS1K_S1L_EUlS1K_E_NS1_11comp_targetILNS1_3genE5ELNS1_11target_archE942ELNS1_3gpuE9ELNS1_3repE0EEENS1_30default_config_static_selectorELNS0_4arch9wavefront6targetE0EEEvSY_,comdat
.Lfunc_end1312:
	.size	_ZN7rocprim17ROCPRIM_400000_NS6detail17trampoline_kernelINS0_13select_configILj256ELj13ELNS0_17block_load_methodE3ELS4_3ELS4_3ELNS0_20block_scan_algorithmE0ELj4294967295EEENS1_25partition_config_selectorILNS1_17partition_subalgoE3EjNS0_10empty_typeEbEEZZNS1_14partition_implILS8_3ELb0ES6_jNS0_17counting_iteratorIjlEEPS9_SE_NS0_5tupleIJPjSE_EEENSF_IJSE_SE_EEES9_SG_JZNS1_25segmented_radix_sort_implINS0_14default_configELb1EPKfPfPKlPlN2at6native12_GLOBAL__N_18offset_tEEE10hipError_tPvRmT1_PNSt15iterator_traitsISY_E10value_typeET2_T3_PNSZ_IS14_E10value_typeET4_jRbjT5_S1A_jjP12ihipStream_tbEUljE_EEESV_SW_SX_S14_S18_S1A_T6_T7_T9_mT8_S1C_bDpT10_ENKUlT_T0_E_clISt17integral_constantIbLb0EES1O_IbLb1EEEEDaS1K_S1L_EUlS1K_E_NS1_11comp_targetILNS1_3genE5ELNS1_11target_archE942ELNS1_3gpuE9ELNS1_3repE0EEENS1_30default_config_static_selectorELNS0_4arch9wavefront6targetE0EEEvSY_, .Lfunc_end1312-_ZN7rocprim17ROCPRIM_400000_NS6detail17trampoline_kernelINS0_13select_configILj256ELj13ELNS0_17block_load_methodE3ELS4_3ELS4_3ELNS0_20block_scan_algorithmE0ELj4294967295EEENS1_25partition_config_selectorILNS1_17partition_subalgoE3EjNS0_10empty_typeEbEEZZNS1_14partition_implILS8_3ELb0ES6_jNS0_17counting_iteratorIjlEEPS9_SE_NS0_5tupleIJPjSE_EEENSF_IJSE_SE_EEES9_SG_JZNS1_25segmented_radix_sort_implINS0_14default_configELb1EPKfPfPKlPlN2at6native12_GLOBAL__N_18offset_tEEE10hipError_tPvRmT1_PNSt15iterator_traitsISY_E10value_typeET2_T3_PNSZ_IS14_E10value_typeET4_jRbjT5_S1A_jjP12ihipStream_tbEUljE_EEESV_SW_SX_S14_S18_S1A_T6_T7_T9_mT8_S1C_bDpT10_ENKUlT_T0_E_clISt17integral_constantIbLb0EES1O_IbLb1EEEEDaS1K_S1L_EUlS1K_E_NS1_11comp_targetILNS1_3genE5ELNS1_11target_archE942ELNS1_3gpuE9ELNS1_3repE0EEENS1_30default_config_static_selectorELNS0_4arch9wavefront6targetE0EEEvSY_
                                        ; -- End function
	.set _ZN7rocprim17ROCPRIM_400000_NS6detail17trampoline_kernelINS0_13select_configILj256ELj13ELNS0_17block_load_methodE3ELS4_3ELS4_3ELNS0_20block_scan_algorithmE0ELj4294967295EEENS1_25partition_config_selectorILNS1_17partition_subalgoE3EjNS0_10empty_typeEbEEZZNS1_14partition_implILS8_3ELb0ES6_jNS0_17counting_iteratorIjlEEPS9_SE_NS0_5tupleIJPjSE_EEENSF_IJSE_SE_EEES9_SG_JZNS1_25segmented_radix_sort_implINS0_14default_configELb1EPKfPfPKlPlN2at6native12_GLOBAL__N_18offset_tEEE10hipError_tPvRmT1_PNSt15iterator_traitsISY_E10value_typeET2_T3_PNSZ_IS14_E10value_typeET4_jRbjT5_S1A_jjP12ihipStream_tbEUljE_EEESV_SW_SX_S14_S18_S1A_T6_T7_T9_mT8_S1C_bDpT10_ENKUlT_T0_E_clISt17integral_constantIbLb0EES1O_IbLb1EEEEDaS1K_S1L_EUlS1K_E_NS1_11comp_targetILNS1_3genE5ELNS1_11target_archE942ELNS1_3gpuE9ELNS1_3repE0EEENS1_30default_config_static_selectorELNS0_4arch9wavefront6targetE0EEEvSY_.num_vgpr, 0
	.set _ZN7rocprim17ROCPRIM_400000_NS6detail17trampoline_kernelINS0_13select_configILj256ELj13ELNS0_17block_load_methodE3ELS4_3ELS4_3ELNS0_20block_scan_algorithmE0ELj4294967295EEENS1_25partition_config_selectorILNS1_17partition_subalgoE3EjNS0_10empty_typeEbEEZZNS1_14partition_implILS8_3ELb0ES6_jNS0_17counting_iteratorIjlEEPS9_SE_NS0_5tupleIJPjSE_EEENSF_IJSE_SE_EEES9_SG_JZNS1_25segmented_radix_sort_implINS0_14default_configELb1EPKfPfPKlPlN2at6native12_GLOBAL__N_18offset_tEEE10hipError_tPvRmT1_PNSt15iterator_traitsISY_E10value_typeET2_T3_PNSZ_IS14_E10value_typeET4_jRbjT5_S1A_jjP12ihipStream_tbEUljE_EEESV_SW_SX_S14_S18_S1A_T6_T7_T9_mT8_S1C_bDpT10_ENKUlT_T0_E_clISt17integral_constantIbLb0EES1O_IbLb1EEEEDaS1K_S1L_EUlS1K_E_NS1_11comp_targetILNS1_3genE5ELNS1_11target_archE942ELNS1_3gpuE9ELNS1_3repE0EEENS1_30default_config_static_selectorELNS0_4arch9wavefront6targetE0EEEvSY_.num_agpr, 0
	.set _ZN7rocprim17ROCPRIM_400000_NS6detail17trampoline_kernelINS0_13select_configILj256ELj13ELNS0_17block_load_methodE3ELS4_3ELS4_3ELNS0_20block_scan_algorithmE0ELj4294967295EEENS1_25partition_config_selectorILNS1_17partition_subalgoE3EjNS0_10empty_typeEbEEZZNS1_14partition_implILS8_3ELb0ES6_jNS0_17counting_iteratorIjlEEPS9_SE_NS0_5tupleIJPjSE_EEENSF_IJSE_SE_EEES9_SG_JZNS1_25segmented_radix_sort_implINS0_14default_configELb1EPKfPfPKlPlN2at6native12_GLOBAL__N_18offset_tEEE10hipError_tPvRmT1_PNSt15iterator_traitsISY_E10value_typeET2_T3_PNSZ_IS14_E10value_typeET4_jRbjT5_S1A_jjP12ihipStream_tbEUljE_EEESV_SW_SX_S14_S18_S1A_T6_T7_T9_mT8_S1C_bDpT10_ENKUlT_T0_E_clISt17integral_constantIbLb0EES1O_IbLb1EEEEDaS1K_S1L_EUlS1K_E_NS1_11comp_targetILNS1_3genE5ELNS1_11target_archE942ELNS1_3gpuE9ELNS1_3repE0EEENS1_30default_config_static_selectorELNS0_4arch9wavefront6targetE0EEEvSY_.numbered_sgpr, 0
	.set _ZN7rocprim17ROCPRIM_400000_NS6detail17trampoline_kernelINS0_13select_configILj256ELj13ELNS0_17block_load_methodE3ELS4_3ELS4_3ELNS0_20block_scan_algorithmE0ELj4294967295EEENS1_25partition_config_selectorILNS1_17partition_subalgoE3EjNS0_10empty_typeEbEEZZNS1_14partition_implILS8_3ELb0ES6_jNS0_17counting_iteratorIjlEEPS9_SE_NS0_5tupleIJPjSE_EEENSF_IJSE_SE_EEES9_SG_JZNS1_25segmented_radix_sort_implINS0_14default_configELb1EPKfPfPKlPlN2at6native12_GLOBAL__N_18offset_tEEE10hipError_tPvRmT1_PNSt15iterator_traitsISY_E10value_typeET2_T3_PNSZ_IS14_E10value_typeET4_jRbjT5_S1A_jjP12ihipStream_tbEUljE_EEESV_SW_SX_S14_S18_S1A_T6_T7_T9_mT8_S1C_bDpT10_ENKUlT_T0_E_clISt17integral_constantIbLb0EES1O_IbLb1EEEEDaS1K_S1L_EUlS1K_E_NS1_11comp_targetILNS1_3genE5ELNS1_11target_archE942ELNS1_3gpuE9ELNS1_3repE0EEENS1_30default_config_static_selectorELNS0_4arch9wavefront6targetE0EEEvSY_.num_named_barrier, 0
	.set _ZN7rocprim17ROCPRIM_400000_NS6detail17trampoline_kernelINS0_13select_configILj256ELj13ELNS0_17block_load_methodE3ELS4_3ELS4_3ELNS0_20block_scan_algorithmE0ELj4294967295EEENS1_25partition_config_selectorILNS1_17partition_subalgoE3EjNS0_10empty_typeEbEEZZNS1_14partition_implILS8_3ELb0ES6_jNS0_17counting_iteratorIjlEEPS9_SE_NS0_5tupleIJPjSE_EEENSF_IJSE_SE_EEES9_SG_JZNS1_25segmented_radix_sort_implINS0_14default_configELb1EPKfPfPKlPlN2at6native12_GLOBAL__N_18offset_tEEE10hipError_tPvRmT1_PNSt15iterator_traitsISY_E10value_typeET2_T3_PNSZ_IS14_E10value_typeET4_jRbjT5_S1A_jjP12ihipStream_tbEUljE_EEESV_SW_SX_S14_S18_S1A_T6_T7_T9_mT8_S1C_bDpT10_ENKUlT_T0_E_clISt17integral_constantIbLb0EES1O_IbLb1EEEEDaS1K_S1L_EUlS1K_E_NS1_11comp_targetILNS1_3genE5ELNS1_11target_archE942ELNS1_3gpuE9ELNS1_3repE0EEENS1_30default_config_static_selectorELNS0_4arch9wavefront6targetE0EEEvSY_.private_seg_size, 0
	.set _ZN7rocprim17ROCPRIM_400000_NS6detail17trampoline_kernelINS0_13select_configILj256ELj13ELNS0_17block_load_methodE3ELS4_3ELS4_3ELNS0_20block_scan_algorithmE0ELj4294967295EEENS1_25partition_config_selectorILNS1_17partition_subalgoE3EjNS0_10empty_typeEbEEZZNS1_14partition_implILS8_3ELb0ES6_jNS0_17counting_iteratorIjlEEPS9_SE_NS0_5tupleIJPjSE_EEENSF_IJSE_SE_EEES9_SG_JZNS1_25segmented_radix_sort_implINS0_14default_configELb1EPKfPfPKlPlN2at6native12_GLOBAL__N_18offset_tEEE10hipError_tPvRmT1_PNSt15iterator_traitsISY_E10value_typeET2_T3_PNSZ_IS14_E10value_typeET4_jRbjT5_S1A_jjP12ihipStream_tbEUljE_EEESV_SW_SX_S14_S18_S1A_T6_T7_T9_mT8_S1C_bDpT10_ENKUlT_T0_E_clISt17integral_constantIbLb0EES1O_IbLb1EEEEDaS1K_S1L_EUlS1K_E_NS1_11comp_targetILNS1_3genE5ELNS1_11target_archE942ELNS1_3gpuE9ELNS1_3repE0EEENS1_30default_config_static_selectorELNS0_4arch9wavefront6targetE0EEEvSY_.uses_vcc, 0
	.set _ZN7rocprim17ROCPRIM_400000_NS6detail17trampoline_kernelINS0_13select_configILj256ELj13ELNS0_17block_load_methodE3ELS4_3ELS4_3ELNS0_20block_scan_algorithmE0ELj4294967295EEENS1_25partition_config_selectorILNS1_17partition_subalgoE3EjNS0_10empty_typeEbEEZZNS1_14partition_implILS8_3ELb0ES6_jNS0_17counting_iteratorIjlEEPS9_SE_NS0_5tupleIJPjSE_EEENSF_IJSE_SE_EEES9_SG_JZNS1_25segmented_radix_sort_implINS0_14default_configELb1EPKfPfPKlPlN2at6native12_GLOBAL__N_18offset_tEEE10hipError_tPvRmT1_PNSt15iterator_traitsISY_E10value_typeET2_T3_PNSZ_IS14_E10value_typeET4_jRbjT5_S1A_jjP12ihipStream_tbEUljE_EEESV_SW_SX_S14_S18_S1A_T6_T7_T9_mT8_S1C_bDpT10_ENKUlT_T0_E_clISt17integral_constantIbLb0EES1O_IbLb1EEEEDaS1K_S1L_EUlS1K_E_NS1_11comp_targetILNS1_3genE5ELNS1_11target_archE942ELNS1_3gpuE9ELNS1_3repE0EEENS1_30default_config_static_selectorELNS0_4arch9wavefront6targetE0EEEvSY_.uses_flat_scratch, 0
	.set _ZN7rocprim17ROCPRIM_400000_NS6detail17trampoline_kernelINS0_13select_configILj256ELj13ELNS0_17block_load_methodE3ELS4_3ELS4_3ELNS0_20block_scan_algorithmE0ELj4294967295EEENS1_25partition_config_selectorILNS1_17partition_subalgoE3EjNS0_10empty_typeEbEEZZNS1_14partition_implILS8_3ELb0ES6_jNS0_17counting_iteratorIjlEEPS9_SE_NS0_5tupleIJPjSE_EEENSF_IJSE_SE_EEES9_SG_JZNS1_25segmented_radix_sort_implINS0_14default_configELb1EPKfPfPKlPlN2at6native12_GLOBAL__N_18offset_tEEE10hipError_tPvRmT1_PNSt15iterator_traitsISY_E10value_typeET2_T3_PNSZ_IS14_E10value_typeET4_jRbjT5_S1A_jjP12ihipStream_tbEUljE_EEESV_SW_SX_S14_S18_S1A_T6_T7_T9_mT8_S1C_bDpT10_ENKUlT_T0_E_clISt17integral_constantIbLb0EES1O_IbLb1EEEEDaS1K_S1L_EUlS1K_E_NS1_11comp_targetILNS1_3genE5ELNS1_11target_archE942ELNS1_3gpuE9ELNS1_3repE0EEENS1_30default_config_static_selectorELNS0_4arch9wavefront6targetE0EEEvSY_.has_dyn_sized_stack, 0
	.set _ZN7rocprim17ROCPRIM_400000_NS6detail17trampoline_kernelINS0_13select_configILj256ELj13ELNS0_17block_load_methodE3ELS4_3ELS4_3ELNS0_20block_scan_algorithmE0ELj4294967295EEENS1_25partition_config_selectorILNS1_17partition_subalgoE3EjNS0_10empty_typeEbEEZZNS1_14partition_implILS8_3ELb0ES6_jNS0_17counting_iteratorIjlEEPS9_SE_NS0_5tupleIJPjSE_EEENSF_IJSE_SE_EEES9_SG_JZNS1_25segmented_radix_sort_implINS0_14default_configELb1EPKfPfPKlPlN2at6native12_GLOBAL__N_18offset_tEEE10hipError_tPvRmT1_PNSt15iterator_traitsISY_E10value_typeET2_T3_PNSZ_IS14_E10value_typeET4_jRbjT5_S1A_jjP12ihipStream_tbEUljE_EEESV_SW_SX_S14_S18_S1A_T6_T7_T9_mT8_S1C_bDpT10_ENKUlT_T0_E_clISt17integral_constantIbLb0EES1O_IbLb1EEEEDaS1K_S1L_EUlS1K_E_NS1_11comp_targetILNS1_3genE5ELNS1_11target_archE942ELNS1_3gpuE9ELNS1_3repE0EEENS1_30default_config_static_selectorELNS0_4arch9wavefront6targetE0EEEvSY_.has_recursion, 0
	.set _ZN7rocprim17ROCPRIM_400000_NS6detail17trampoline_kernelINS0_13select_configILj256ELj13ELNS0_17block_load_methodE3ELS4_3ELS4_3ELNS0_20block_scan_algorithmE0ELj4294967295EEENS1_25partition_config_selectorILNS1_17partition_subalgoE3EjNS0_10empty_typeEbEEZZNS1_14partition_implILS8_3ELb0ES6_jNS0_17counting_iteratorIjlEEPS9_SE_NS0_5tupleIJPjSE_EEENSF_IJSE_SE_EEES9_SG_JZNS1_25segmented_radix_sort_implINS0_14default_configELb1EPKfPfPKlPlN2at6native12_GLOBAL__N_18offset_tEEE10hipError_tPvRmT1_PNSt15iterator_traitsISY_E10value_typeET2_T3_PNSZ_IS14_E10value_typeET4_jRbjT5_S1A_jjP12ihipStream_tbEUljE_EEESV_SW_SX_S14_S18_S1A_T6_T7_T9_mT8_S1C_bDpT10_ENKUlT_T0_E_clISt17integral_constantIbLb0EES1O_IbLb1EEEEDaS1K_S1L_EUlS1K_E_NS1_11comp_targetILNS1_3genE5ELNS1_11target_archE942ELNS1_3gpuE9ELNS1_3repE0EEENS1_30default_config_static_selectorELNS0_4arch9wavefront6targetE0EEEvSY_.has_indirect_call, 0
	.section	.AMDGPU.csdata,"",@progbits
; Kernel info:
; codeLenInByte = 0
; TotalNumSgprs: 0
; NumVgprs: 0
; ScratchSize: 0
; MemoryBound: 0
; FloatMode: 240
; IeeeMode: 1
; LDSByteSize: 0 bytes/workgroup (compile time only)
; SGPRBlocks: 0
; VGPRBlocks: 0
; NumSGPRsForWavesPerEU: 1
; NumVGPRsForWavesPerEU: 1
; NamedBarCnt: 0
; Occupancy: 16
; WaveLimiterHint : 0
; COMPUTE_PGM_RSRC2:SCRATCH_EN: 0
; COMPUTE_PGM_RSRC2:USER_SGPR: 2
; COMPUTE_PGM_RSRC2:TRAP_HANDLER: 0
; COMPUTE_PGM_RSRC2:TGID_X_EN: 1
; COMPUTE_PGM_RSRC2:TGID_Y_EN: 0
; COMPUTE_PGM_RSRC2:TGID_Z_EN: 0
; COMPUTE_PGM_RSRC2:TIDIG_COMP_CNT: 0
	.section	.text._ZN7rocprim17ROCPRIM_400000_NS6detail17trampoline_kernelINS0_13select_configILj256ELj13ELNS0_17block_load_methodE3ELS4_3ELS4_3ELNS0_20block_scan_algorithmE0ELj4294967295EEENS1_25partition_config_selectorILNS1_17partition_subalgoE3EjNS0_10empty_typeEbEEZZNS1_14partition_implILS8_3ELb0ES6_jNS0_17counting_iteratorIjlEEPS9_SE_NS0_5tupleIJPjSE_EEENSF_IJSE_SE_EEES9_SG_JZNS1_25segmented_radix_sort_implINS0_14default_configELb1EPKfPfPKlPlN2at6native12_GLOBAL__N_18offset_tEEE10hipError_tPvRmT1_PNSt15iterator_traitsISY_E10value_typeET2_T3_PNSZ_IS14_E10value_typeET4_jRbjT5_S1A_jjP12ihipStream_tbEUljE_EEESV_SW_SX_S14_S18_S1A_T6_T7_T9_mT8_S1C_bDpT10_ENKUlT_T0_E_clISt17integral_constantIbLb0EES1O_IbLb1EEEEDaS1K_S1L_EUlS1K_E_NS1_11comp_targetILNS1_3genE4ELNS1_11target_archE910ELNS1_3gpuE8ELNS1_3repE0EEENS1_30default_config_static_selectorELNS0_4arch9wavefront6targetE0EEEvSY_,"axG",@progbits,_ZN7rocprim17ROCPRIM_400000_NS6detail17trampoline_kernelINS0_13select_configILj256ELj13ELNS0_17block_load_methodE3ELS4_3ELS4_3ELNS0_20block_scan_algorithmE0ELj4294967295EEENS1_25partition_config_selectorILNS1_17partition_subalgoE3EjNS0_10empty_typeEbEEZZNS1_14partition_implILS8_3ELb0ES6_jNS0_17counting_iteratorIjlEEPS9_SE_NS0_5tupleIJPjSE_EEENSF_IJSE_SE_EEES9_SG_JZNS1_25segmented_radix_sort_implINS0_14default_configELb1EPKfPfPKlPlN2at6native12_GLOBAL__N_18offset_tEEE10hipError_tPvRmT1_PNSt15iterator_traitsISY_E10value_typeET2_T3_PNSZ_IS14_E10value_typeET4_jRbjT5_S1A_jjP12ihipStream_tbEUljE_EEESV_SW_SX_S14_S18_S1A_T6_T7_T9_mT8_S1C_bDpT10_ENKUlT_T0_E_clISt17integral_constantIbLb0EES1O_IbLb1EEEEDaS1K_S1L_EUlS1K_E_NS1_11comp_targetILNS1_3genE4ELNS1_11target_archE910ELNS1_3gpuE8ELNS1_3repE0EEENS1_30default_config_static_selectorELNS0_4arch9wavefront6targetE0EEEvSY_,comdat
	.globl	_ZN7rocprim17ROCPRIM_400000_NS6detail17trampoline_kernelINS0_13select_configILj256ELj13ELNS0_17block_load_methodE3ELS4_3ELS4_3ELNS0_20block_scan_algorithmE0ELj4294967295EEENS1_25partition_config_selectorILNS1_17partition_subalgoE3EjNS0_10empty_typeEbEEZZNS1_14partition_implILS8_3ELb0ES6_jNS0_17counting_iteratorIjlEEPS9_SE_NS0_5tupleIJPjSE_EEENSF_IJSE_SE_EEES9_SG_JZNS1_25segmented_radix_sort_implINS0_14default_configELb1EPKfPfPKlPlN2at6native12_GLOBAL__N_18offset_tEEE10hipError_tPvRmT1_PNSt15iterator_traitsISY_E10value_typeET2_T3_PNSZ_IS14_E10value_typeET4_jRbjT5_S1A_jjP12ihipStream_tbEUljE_EEESV_SW_SX_S14_S18_S1A_T6_T7_T9_mT8_S1C_bDpT10_ENKUlT_T0_E_clISt17integral_constantIbLb0EES1O_IbLb1EEEEDaS1K_S1L_EUlS1K_E_NS1_11comp_targetILNS1_3genE4ELNS1_11target_archE910ELNS1_3gpuE8ELNS1_3repE0EEENS1_30default_config_static_selectorELNS0_4arch9wavefront6targetE0EEEvSY_ ; -- Begin function _ZN7rocprim17ROCPRIM_400000_NS6detail17trampoline_kernelINS0_13select_configILj256ELj13ELNS0_17block_load_methodE3ELS4_3ELS4_3ELNS0_20block_scan_algorithmE0ELj4294967295EEENS1_25partition_config_selectorILNS1_17partition_subalgoE3EjNS0_10empty_typeEbEEZZNS1_14partition_implILS8_3ELb0ES6_jNS0_17counting_iteratorIjlEEPS9_SE_NS0_5tupleIJPjSE_EEENSF_IJSE_SE_EEES9_SG_JZNS1_25segmented_radix_sort_implINS0_14default_configELb1EPKfPfPKlPlN2at6native12_GLOBAL__N_18offset_tEEE10hipError_tPvRmT1_PNSt15iterator_traitsISY_E10value_typeET2_T3_PNSZ_IS14_E10value_typeET4_jRbjT5_S1A_jjP12ihipStream_tbEUljE_EEESV_SW_SX_S14_S18_S1A_T6_T7_T9_mT8_S1C_bDpT10_ENKUlT_T0_E_clISt17integral_constantIbLb0EES1O_IbLb1EEEEDaS1K_S1L_EUlS1K_E_NS1_11comp_targetILNS1_3genE4ELNS1_11target_archE910ELNS1_3gpuE8ELNS1_3repE0EEENS1_30default_config_static_selectorELNS0_4arch9wavefront6targetE0EEEvSY_
	.p2align	8
	.type	_ZN7rocprim17ROCPRIM_400000_NS6detail17trampoline_kernelINS0_13select_configILj256ELj13ELNS0_17block_load_methodE3ELS4_3ELS4_3ELNS0_20block_scan_algorithmE0ELj4294967295EEENS1_25partition_config_selectorILNS1_17partition_subalgoE3EjNS0_10empty_typeEbEEZZNS1_14partition_implILS8_3ELb0ES6_jNS0_17counting_iteratorIjlEEPS9_SE_NS0_5tupleIJPjSE_EEENSF_IJSE_SE_EEES9_SG_JZNS1_25segmented_radix_sort_implINS0_14default_configELb1EPKfPfPKlPlN2at6native12_GLOBAL__N_18offset_tEEE10hipError_tPvRmT1_PNSt15iterator_traitsISY_E10value_typeET2_T3_PNSZ_IS14_E10value_typeET4_jRbjT5_S1A_jjP12ihipStream_tbEUljE_EEESV_SW_SX_S14_S18_S1A_T6_T7_T9_mT8_S1C_bDpT10_ENKUlT_T0_E_clISt17integral_constantIbLb0EES1O_IbLb1EEEEDaS1K_S1L_EUlS1K_E_NS1_11comp_targetILNS1_3genE4ELNS1_11target_archE910ELNS1_3gpuE8ELNS1_3repE0EEENS1_30default_config_static_selectorELNS0_4arch9wavefront6targetE0EEEvSY_,@function
_ZN7rocprim17ROCPRIM_400000_NS6detail17trampoline_kernelINS0_13select_configILj256ELj13ELNS0_17block_load_methodE3ELS4_3ELS4_3ELNS0_20block_scan_algorithmE0ELj4294967295EEENS1_25partition_config_selectorILNS1_17partition_subalgoE3EjNS0_10empty_typeEbEEZZNS1_14partition_implILS8_3ELb0ES6_jNS0_17counting_iteratorIjlEEPS9_SE_NS0_5tupleIJPjSE_EEENSF_IJSE_SE_EEES9_SG_JZNS1_25segmented_radix_sort_implINS0_14default_configELb1EPKfPfPKlPlN2at6native12_GLOBAL__N_18offset_tEEE10hipError_tPvRmT1_PNSt15iterator_traitsISY_E10value_typeET2_T3_PNSZ_IS14_E10value_typeET4_jRbjT5_S1A_jjP12ihipStream_tbEUljE_EEESV_SW_SX_S14_S18_S1A_T6_T7_T9_mT8_S1C_bDpT10_ENKUlT_T0_E_clISt17integral_constantIbLb0EES1O_IbLb1EEEEDaS1K_S1L_EUlS1K_E_NS1_11comp_targetILNS1_3genE4ELNS1_11target_archE910ELNS1_3gpuE8ELNS1_3repE0EEENS1_30default_config_static_selectorELNS0_4arch9wavefront6targetE0EEEvSY_: ; @_ZN7rocprim17ROCPRIM_400000_NS6detail17trampoline_kernelINS0_13select_configILj256ELj13ELNS0_17block_load_methodE3ELS4_3ELS4_3ELNS0_20block_scan_algorithmE0ELj4294967295EEENS1_25partition_config_selectorILNS1_17partition_subalgoE3EjNS0_10empty_typeEbEEZZNS1_14partition_implILS8_3ELb0ES6_jNS0_17counting_iteratorIjlEEPS9_SE_NS0_5tupleIJPjSE_EEENSF_IJSE_SE_EEES9_SG_JZNS1_25segmented_radix_sort_implINS0_14default_configELb1EPKfPfPKlPlN2at6native12_GLOBAL__N_18offset_tEEE10hipError_tPvRmT1_PNSt15iterator_traitsISY_E10value_typeET2_T3_PNSZ_IS14_E10value_typeET4_jRbjT5_S1A_jjP12ihipStream_tbEUljE_EEESV_SW_SX_S14_S18_S1A_T6_T7_T9_mT8_S1C_bDpT10_ENKUlT_T0_E_clISt17integral_constantIbLb0EES1O_IbLb1EEEEDaS1K_S1L_EUlS1K_E_NS1_11comp_targetILNS1_3genE4ELNS1_11target_archE910ELNS1_3gpuE8ELNS1_3repE0EEENS1_30default_config_static_selectorELNS0_4arch9wavefront6targetE0EEEvSY_
; %bb.0:
	.section	.rodata,"a",@progbits
	.p2align	6, 0x0
	.amdhsa_kernel _ZN7rocprim17ROCPRIM_400000_NS6detail17trampoline_kernelINS0_13select_configILj256ELj13ELNS0_17block_load_methodE3ELS4_3ELS4_3ELNS0_20block_scan_algorithmE0ELj4294967295EEENS1_25partition_config_selectorILNS1_17partition_subalgoE3EjNS0_10empty_typeEbEEZZNS1_14partition_implILS8_3ELb0ES6_jNS0_17counting_iteratorIjlEEPS9_SE_NS0_5tupleIJPjSE_EEENSF_IJSE_SE_EEES9_SG_JZNS1_25segmented_radix_sort_implINS0_14default_configELb1EPKfPfPKlPlN2at6native12_GLOBAL__N_18offset_tEEE10hipError_tPvRmT1_PNSt15iterator_traitsISY_E10value_typeET2_T3_PNSZ_IS14_E10value_typeET4_jRbjT5_S1A_jjP12ihipStream_tbEUljE_EEESV_SW_SX_S14_S18_S1A_T6_T7_T9_mT8_S1C_bDpT10_ENKUlT_T0_E_clISt17integral_constantIbLb0EES1O_IbLb1EEEEDaS1K_S1L_EUlS1K_E_NS1_11comp_targetILNS1_3genE4ELNS1_11target_archE910ELNS1_3gpuE8ELNS1_3repE0EEENS1_30default_config_static_selectorELNS0_4arch9wavefront6targetE0EEEvSY_
		.amdhsa_group_segment_fixed_size 0
		.amdhsa_private_segment_fixed_size 0
		.amdhsa_kernarg_size 152
		.amdhsa_user_sgpr_count 2
		.amdhsa_user_sgpr_dispatch_ptr 0
		.amdhsa_user_sgpr_queue_ptr 0
		.amdhsa_user_sgpr_kernarg_segment_ptr 1
		.amdhsa_user_sgpr_dispatch_id 0
		.amdhsa_user_sgpr_kernarg_preload_length 0
		.amdhsa_user_sgpr_kernarg_preload_offset 0
		.amdhsa_user_sgpr_private_segment_size 0
		.amdhsa_wavefront_size32 1
		.amdhsa_uses_dynamic_stack 0
		.amdhsa_enable_private_segment 0
		.amdhsa_system_sgpr_workgroup_id_x 1
		.amdhsa_system_sgpr_workgroup_id_y 0
		.amdhsa_system_sgpr_workgroup_id_z 0
		.amdhsa_system_sgpr_workgroup_info 0
		.amdhsa_system_vgpr_workitem_id 0
		.amdhsa_next_free_vgpr 1
		.amdhsa_next_free_sgpr 1
		.amdhsa_named_barrier_count 0
		.amdhsa_reserve_vcc 0
		.amdhsa_float_round_mode_32 0
		.amdhsa_float_round_mode_16_64 0
		.amdhsa_float_denorm_mode_32 3
		.amdhsa_float_denorm_mode_16_64 3
		.amdhsa_fp16_overflow 0
		.amdhsa_memory_ordered 1
		.amdhsa_forward_progress 1
		.amdhsa_inst_pref_size 0
		.amdhsa_round_robin_scheduling 0
		.amdhsa_exception_fp_ieee_invalid_op 0
		.amdhsa_exception_fp_denorm_src 0
		.amdhsa_exception_fp_ieee_div_zero 0
		.amdhsa_exception_fp_ieee_overflow 0
		.amdhsa_exception_fp_ieee_underflow 0
		.amdhsa_exception_fp_ieee_inexact 0
		.amdhsa_exception_int_div_zero 0
	.end_amdhsa_kernel
	.section	.text._ZN7rocprim17ROCPRIM_400000_NS6detail17trampoline_kernelINS0_13select_configILj256ELj13ELNS0_17block_load_methodE3ELS4_3ELS4_3ELNS0_20block_scan_algorithmE0ELj4294967295EEENS1_25partition_config_selectorILNS1_17partition_subalgoE3EjNS0_10empty_typeEbEEZZNS1_14partition_implILS8_3ELb0ES6_jNS0_17counting_iteratorIjlEEPS9_SE_NS0_5tupleIJPjSE_EEENSF_IJSE_SE_EEES9_SG_JZNS1_25segmented_radix_sort_implINS0_14default_configELb1EPKfPfPKlPlN2at6native12_GLOBAL__N_18offset_tEEE10hipError_tPvRmT1_PNSt15iterator_traitsISY_E10value_typeET2_T3_PNSZ_IS14_E10value_typeET4_jRbjT5_S1A_jjP12ihipStream_tbEUljE_EEESV_SW_SX_S14_S18_S1A_T6_T7_T9_mT8_S1C_bDpT10_ENKUlT_T0_E_clISt17integral_constantIbLb0EES1O_IbLb1EEEEDaS1K_S1L_EUlS1K_E_NS1_11comp_targetILNS1_3genE4ELNS1_11target_archE910ELNS1_3gpuE8ELNS1_3repE0EEENS1_30default_config_static_selectorELNS0_4arch9wavefront6targetE0EEEvSY_,"axG",@progbits,_ZN7rocprim17ROCPRIM_400000_NS6detail17trampoline_kernelINS0_13select_configILj256ELj13ELNS0_17block_load_methodE3ELS4_3ELS4_3ELNS0_20block_scan_algorithmE0ELj4294967295EEENS1_25partition_config_selectorILNS1_17partition_subalgoE3EjNS0_10empty_typeEbEEZZNS1_14partition_implILS8_3ELb0ES6_jNS0_17counting_iteratorIjlEEPS9_SE_NS0_5tupleIJPjSE_EEENSF_IJSE_SE_EEES9_SG_JZNS1_25segmented_radix_sort_implINS0_14default_configELb1EPKfPfPKlPlN2at6native12_GLOBAL__N_18offset_tEEE10hipError_tPvRmT1_PNSt15iterator_traitsISY_E10value_typeET2_T3_PNSZ_IS14_E10value_typeET4_jRbjT5_S1A_jjP12ihipStream_tbEUljE_EEESV_SW_SX_S14_S18_S1A_T6_T7_T9_mT8_S1C_bDpT10_ENKUlT_T0_E_clISt17integral_constantIbLb0EES1O_IbLb1EEEEDaS1K_S1L_EUlS1K_E_NS1_11comp_targetILNS1_3genE4ELNS1_11target_archE910ELNS1_3gpuE8ELNS1_3repE0EEENS1_30default_config_static_selectorELNS0_4arch9wavefront6targetE0EEEvSY_,comdat
.Lfunc_end1313:
	.size	_ZN7rocprim17ROCPRIM_400000_NS6detail17trampoline_kernelINS0_13select_configILj256ELj13ELNS0_17block_load_methodE3ELS4_3ELS4_3ELNS0_20block_scan_algorithmE0ELj4294967295EEENS1_25partition_config_selectorILNS1_17partition_subalgoE3EjNS0_10empty_typeEbEEZZNS1_14partition_implILS8_3ELb0ES6_jNS0_17counting_iteratorIjlEEPS9_SE_NS0_5tupleIJPjSE_EEENSF_IJSE_SE_EEES9_SG_JZNS1_25segmented_radix_sort_implINS0_14default_configELb1EPKfPfPKlPlN2at6native12_GLOBAL__N_18offset_tEEE10hipError_tPvRmT1_PNSt15iterator_traitsISY_E10value_typeET2_T3_PNSZ_IS14_E10value_typeET4_jRbjT5_S1A_jjP12ihipStream_tbEUljE_EEESV_SW_SX_S14_S18_S1A_T6_T7_T9_mT8_S1C_bDpT10_ENKUlT_T0_E_clISt17integral_constantIbLb0EES1O_IbLb1EEEEDaS1K_S1L_EUlS1K_E_NS1_11comp_targetILNS1_3genE4ELNS1_11target_archE910ELNS1_3gpuE8ELNS1_3repE0EEENS1_30default_config_static_selectorELNS0_4arch9wavefront6targetE0EEEvSY_, .Lfunc_end1313-_ZN7rocprim17ROCPRIM_400000_NS6detail17trampoline_kernelINS0_13select_configILj256ELj13ELNS0_17block_load_methodE3ELS4_3ELS4_3ELNS0_20block_scan_algorithmE0ELj4294967295EEENS1_25partition_config_selectorILNS1_17partition_subalgoE3EjNS0_10empty_typeEbEEZZNS1_14partition_implILS8_3ELb0ES6_jNS0_17counting_iteratorIjlEEPS9_SE_NS0_5tupleIJPjSE_EEENSF_IJSE_SE_EEES9_SG_JZNS1_25segmented_radix_sort_implINS0_14default_configELb1EPKfPfPKlPlN2at6native12_GLOBAL__N_18offset_tEEE10hipError_tPvRmT1_PNSt15iterator_traitsISY_E10value_typeET2_T3_PNSZ_IS14_E10value_typeET4_jRbjT5_S1A_jjP12ihipStream_tbEUljE_EEESV_SW_SX_S14_S18_S1A_T6_T7_T9_mT8_S1C_bDpT10_ENKUlT_T0_E_clISt17integral_constantIbLb0EES1O_IbLb1EEEEDaS1K_S1L_EUlS1K_E_NS1_11comp_targetILNS1_3genE4ELNS1_11target_archE910ELNS1_3gpuE8ELNS1_3repE0EEENS1_30default_config_static_selectorELNS0_4arch9wavefront6targetE0EEEvSY_
                                        ; -- End function
	.set _ZN7rocprim17ROCPRIM_400000_NS6detail17trampoline_kernelINS0_13select_configILj256ELj13ELNS0_17block_load_methodE3ELS4_3ELS4_3ELNS0_20block_scan_algorithmE0ELj4294967295EEENS1_25partition_config_selectorILNS1_17partition_subalgoE3EjNS0_10empty_typeEbEEZZNS1_14partition_implILS8_3ELb0ES6_jNS0_17counting_iteratorIjlEEPS9_SE_NS0_5tupleIJPjSE_EEENSF_IJSE_SE_EEES9_SG_JZNS1_25segmented_radix_sort_implINS0_14default_configELb1EPKfPfPKlPlN2at6native12_GLOBAL__N_18offset_tEEE10hipError_tPvRmT1_PNSt15iterator_traitsISY_E10value_typeET2_T3_PNSZ_IS14_E10value_typeET4_jRbjT5_S1A_jjP12ihipStream_tbEUljE_EEESV_SW_SX_S14_S18_S1A_T6_T7_T9_mT8_S1C_bDpT10_ENKUlT_T0_E_clISt17integral_constantIbLb0EES1O_IbLb1EEEEDaS1K_S1L_EUlS1K_E_NS1_11comp_targetILNS1_3genE4ELNS1_11target_archE910ELNS1_3gpuE8ELNS1_3repE0EEENS1_30default_config_static_selectorELNS0_4arch9wavefront6targetE0EEEvSY_.num_vgpr, 0
	.set _ZN7rocprim17ROCPRIM_400000_NS6detail17trampoline_kernelINS0_13select_configILj256ELj13ELNS0_17block_load_methodE3ELS4_3ELS4_3ELNS0_20block_scan_algorithmE0ELj4294967295EEENS1_25partition_config_selectorILNS1_17partition_subalgoE3EjNS0_10empty_typeEbEEZZNS1_14partition_implILS8_3ELb0ES6_jNS0_17counting_iteratorIjlEEPS9_SE_NS0_5tupleIJPjSE_EEENSF_IJSE_SE_EEES9_SG_JZNS1_25segmented_radix_sort_implINS0_14default_configELb1EPKfPfPKlPlN2at6native12_GLOBAL__N_18offset_tEEE10hipError_tPvRmT1_PNSt15iterator_traitsISY_E10value_typeET2_T3_PNSZ_IS14_E10value_typeET4_jRbjT5_S1A_jjP12ihipStream_tbEUljE_EEESV_SW_SX_S14_S18_S1A_T6_T7_T9_mT8_S1C_bDpT10_ENKUlT_T0_E_clISt17integral_constantIbLb0EES1O_IbLb1EEEEDaS1K_S1L_EUlS1K_E_NS1_11comp_targetILNS1_3genE4ELNS1_11target_archE910ELNS1_3gpuE8ELNS1_3repE0EEENS1_30default_config_static_selectorELNS0_4arch9wavefront6targetE0EEEvSY_.num_agpr, 0
	.set _ZN7rocprim17ROCPRIM_400000_NS6detail17trampoline_kernelINS0_13select_configILj256ELj13ELNS0_17block_load_methodE3ELS4_3ELS4_3ELNS0_20block_scan_algorithmE0ELj4294967295EEENS1_25partition_config_selectorILNS1_17partition_subalgoE3EjNS0_10empty_typeEbEEZZNS1_14partition_implILS8_3ELb0ES6_jNS0_17counting_iteratorIjlEEPS9_SE_NS0_5tupleIJPjSE_EEENSF_IJSE_SE_EEES9_SG_JZNS1_25segmented_radix_sort_implINS0_14default_configELb1EPKfPfPKlPlN2at6native12_GLOBAL__N_18offset_tEEE10hipError_tPvRmT1_PNSt15iterator_traitsISY_E10value_typeET2_T3_PNSZ_IS14_E10value_typeET4_jRbjT5_S1A_jjP12ihipStream_tbEUljE_EEESV_SW_SX_S14_S18_S1A_T6_T7_T9_mT8_S1C_bDpT10_ENKUlT_T0_E_clISt17integral_constantIbLb0EES1O_IbLb1EEEEDaS1K_S1L_EUlS1K_E_NS1_11comp_targetILNS1_3genE4ELNS1_11target_archE910ELNS1_3gpuE8ELNS1_3repE0EEENS1_30default_config_static_selectorELNS0_4arch9wavefront6targetE0EEEvSY_.numbered_sgpr, 0
	.set _ZN7rocprim17ROCPRIM_400000_NS6detail17trampoline_kernelINS0_13select_configILj256ELj13ELNS0_17block_load_methodE3ELS4_3ELS4_3ELNS0_20block_scan_algorithmE0ELj4294967295EEENS1_25partition_config_selectorILNS1_17partition_subalgoE3EjNS0_10empty_typeEbEEZZNS1_14partition_implILS8_3ELb0ES6_jNS0_17counting_iteratorIjlEEPS9_SE_NS0_5tupleIJPjSE_EEENSF_IJSE_SE_EEES9_SG_JZNS1_25segmented_radix_sort_implINS0_14default_configELb1EPKfPfPKlPlN2at6native12_GLOBAL__N_18offset_tEEE10hipError_tPvRmT1_PNSt15iterator_traitsISY_E10value_typeET2_T3_PNSZ_IS14_E10value_typeET4_jRbjT5_S1A_jjP12ihipStream_tbEUljE_EEESV_SW_SX_S14_S18_S1A_T6_T7_T9_mT8_S1C_bDpT10_ENKUlT_T0_E_clISt17integral_constantIbLb0EES1O_IbLb1EEEEDaS1K_S1L_EUlS1K_E_NS1_11comp_targetILNS1_3genE4ELNS1_11target_archE910ELNS1_3gpuE8ELNS1_3repE0EEENS1_30default_config_static_selectorELNS0_4arch9wavefront6targetE0EEEvSY_.num_named_barrier, 0
	.set _ZN7rocprim17ROCPRIM_400000_NS6detail17trampoline_kernelINS0_13select_configILj256ELj13ELNS0_17block_load_methodE3ELS4_3ELS4_3ELNS0_20block_scan_algorithmE0ELj4294967295EEENS1_25partition_config_selectorILNS1_17partition_subalgoE3EjNS0_10empty_typeEbEEZZNS1_14partition_implILS8_3ELb0ES6_jNS0_17counting_iteratorIjlEEPS9_SE_NS0_5tupleIJPjSE_EEENSF_IJSE_SE_EEES9_SG_JZNS1_25segmented_radix_sort_implINS0_14default_configELb1EPKfPfPKlPlN2at6native12_GLOBAL__N_18offset_tEEE10hipError_tPvRmT1_PNSt15iterator_traitsISY_E10value_typeET2_T3_PNSZ_IS14_E10value_typeET4_jRbjT5_S1A_jjP12ihipStream_tbEUljE_EEESV_SW_SX_S14_S18_S1A_T6_T7_T9_mT8_S1C_bDpT10_ENKUlT_T0_E_clISt17integral_constantIbLb0EES1O_IbLb1EEEEDaS1K_S1L_EUlS1K_E_NS1_11comp_targetILNS1_3genE4ELNS1_11target_archE910ELNS1_3gpuE8ELNS1_3repE0EEENS1_30default_config_static_selectorELNS0_4arch9wavefront6targetE0EEEvSY_.private_seg_size, 0
	.set _ZN7rocprim17ROCPRIM_400000_NS6detail17trampoline_kernelINS0_13select_configILj256ELj13ELNS0_17block_load_methodE3ELS4_3ELS4_3ELNS0_20block_scan_algorithmE0ELj4294967295EEENS1_25partition_config_selectorILNS1_17partition_subalgoE3EjNS0_10empty_typeEbEEZZNS1_14partition_implILS8_3ELb0ES6_jNS0_17counting_iteratorIjlEEPS9_SE_NS0_5tupleIJPjSE_EEENSF_IJSE_SE_EEES9_SG_JZNS1_25segmented_radix_sort_implINS0_14default_configELb1EPKfPfPKlPlN2at6native12_GLOBAL__N_18offset_tEEE10hipError_tPvRmT1_PNSt15iterator_traitsISY_E10value_typeET2_T3_PNSZ_IS14_E10value_typeET4_jRbjT5_S1A_jjP12ihipStream_tbEUljE_EEESV_SW_SX_S14_S18_S1A_T6_T7_T9_mT8_S1C_bDpT10_ENKUlT_T0_E_clISt17integral_constantIbLb0EES1O_IbLb1EEEEDaS1K_S1L_EUlS1K_E_NS1_11comp_targetILNS1_3genE4ELNS1_11target_archE910ELNS1_3gpuE8ELNS1_3repE0EEENS1_30default_config_static_selectorELNS0_4arch9wavefront6targetE0EEEvSY_.uses_vcc, 0
	.set _ZN7rocprim17ROCPRIM_400000_NS6detail17trampoline_kernelINS0_13select_configILj256ELj13ELNS0_17block_load_methodE3ELS4_3ELS4_3ELNS0_20block_scan_algorithmE0ELj4294967295EEENS1_25partition_config_selectorILNS1_17partition_subalgoE3EjNS0_10empty_typeEbEEZZNS1_14partition_implILS8_3ELb0ES6_jNS0_17counting_iteratorIjlEEPS9_SE_NS0_5tupleIJPjSE_EEENSF_IJSE_SE_EEES9_SG_JZNS1_25segmented_radix_sort_implINS0_14default_configELb1EPKfPfPKlPlN2at6native12_GLOBAL__N_18offset_tEEE10hipError_tPvRmT1_PNSt15iterator_traitsISY_E10value_typeET2_T3_PNSZ_IS14_E10value_typeET4_jRbjT5_S1A_jjP12ihipStream_tbEUljE_EEESV_SW_SX_S14_S18_S1A_T6_T7_T9_mT8_S1C_bDpT10_ENKUlT_T0_E_clISt17integral_constantIbLb0EES1O_IbLb1EEEEDaS1K_S1L_EUlS1K_E_NS1_11comp_targetILNS1_3genE4ELNS1_11target_archE910ELNS1_3gpuE8ELNS1_3repE0EEENS1_30default_config_static_selectorELNS0_4arch9wavefront6targetE0EEEvSY_.uses_flat_scratch, 0
	.set _ZN7rocprim17ROCPRIM_400000_NS6detail17trampoline_kernelINS0_13select_configILj256ELj13ELNS0_17block_load_methodE3ELS4_3ELS4_3ELNS0_20block_scan_algorithmE0ELj4294967295EEENS1_25partition_config_selectorILNS1_17partition_subalgoE3EjNS0_10empty_typeEbEEZZNS1_14partition_implILS8_3ELb0ES6_jNS0_17counting_iteratorIjlEEPS9_SE_NS0_5tupleIJPjSE_EEENSF_IJSE_SE_EEES9_SG_JZNS1_25segmented_radix_sort_implINS0_14default_configELb1EPKfPfPKlPlN2at6native12_GLOBAL__N_18offset_tEEE10hipError_tPvRmT1_PNSt15iterator_traitsISY_E10value_typeET2_T3_PNSZ_IS14_E10value_typeET4_jRbjT5_S1A_jjP12ihipStream_tbEUljE_EEESV_SW_SX_S14_S18_S1A_T6_T7_T9_mT8_S1C_bDpT10_ENKUlT_T0_E_clISt17integral_constantIbLb0EES1O_IbLb1EEEEDaS1K_S1L_EUlS1K_E_NS1_11comp_targetILNS1_3genE4ELNS1_11target_archE910ELNS1_3gpuE8ELNS1_3repE0EEENS1_30default_config_static_selectorELNS0_4arch9wavefront6targetE0EEEvSY_.has_dyn_sized_stack, 0
	.set _ZN7rocprim17ROCPRIM_400000_NS6detail17trampoline_kernelINS0_13select_configILj256ELj13ELNS0_17block_load_methodE3ELS4_3ELS4_3ELNS0_20block_scan_algorithmE0ELj4294967295EEENS1_25partition_config_selectorILNS1_17partition_subalgoE3EjNS0_10empty_typeEbEEZZNS1_14partition_implILS8_3ELb0ES6_jNS0_17counting_iteratorIjlEEPS9_SE_NS0_5tupleIJPjSE_EEENSF_IJSE_SE_EEES9_SG_JZNS1_25segmented_radix_sort_implINS0_14default_configELb1EPKfPfPKlPlN2at6native12_GLOBAL__N_18offset_tEEE10hipError_tPvRmT1_PNSt15iterator_traitsISY_E10value_typeET2_T3_PNSZ_IS14_E10value_typeET4_jRbjT5_S1A_jjP12ihipStream_tbEUljE_EEESV_SW_SX_S14_S18_S1A_T6_T7_T9_mT8_S1C_bDpT10_ENKUlT_T0_E_clISt17integral_constantIbLb0EES1O_IbLb1EEEEDaS1K_S1L_EUlS1K_E_NS1_11comp_targetILNS1_3genE4ELNS1_11target_archE910ELNS1_3gpuE8ELNS1_3repE0EEENS1_30default_config_static_selectorELNS0_4arch9wavefront6targetE0EEEvSY_.has_recursion, 0
	.set _ZN7rocprim17ROCPRIM_400000_NS6detail17trampoline_kernelINS0_13select_configILj256ELj13ELNS0_17block_load_methodE3ELS4_3ELS4_3ELNS0_20block_scan_algorithmE0ELj4294967295EEENS1_25partition_config_selectorILNS1_17partition_subalgoE3EjNS0_10empty_typeEbEEZZNS1_14partition_implILS8_3ELb0ES6_jNS0_17counting_iteratorIjlEEPS9_SE_NS0_5tupleIJPjSE_EEENSF_IJSE_SE_EEES9_SG_JZNS1_25segmented_radix_sort_implINS0_14default_configELb1EPKfPfPKlPlN2at6native12_GLOBAL__N_18offset_tEEE10hipError_tPvRmT1_PNSt15iterator_traitsISY_E10value_typeET2_T3_PNSZ_IS14_E10value_typeET4_jRbjT5_S1A_jjP12ihipStream_tbEUljE_EEESV_SW_SX_S14_S18_S1A_T6_T7_T9_mT8_S1C_bDpT10_ENKUlT_T0_E_clISt17integral_constantIbLb0EES1O_IbLb1EEEEDaS1K_S1L_EUlS1K_E_NS1_11comp_targetILNS1_3genE4ELNS1_11target_archE910ELNS1_3gpuE8ELNS1_3repE0EEENS1_30default_config_static_selectorELNS0_4arch9wavefront6targetE0EEEvSY_.has_indirect_call, 0
	.section	.AMDGPU.csdata,"",@progbits
; Kernel info:
; codeLenInByte = 0
; TotalNumSgprs: 0
; NumVgprs: 0
; ScratchSize: 0
; MemoryBound: 0
; FloatMode: 240
; IeeeMode: 1
; LDSByteSize: 0 bytes/workgroup (compile time only)
; SGPRBlocks: 0
; VGPRBlocks: 0
; NumSGPRsForWavesPerEU: 1
; NumVGPRsForWavesPerEU: 1
; NamedBarCnt: 0
; Occupancy: 16
; WaveLimiterHint : 0
; COMPUTE_PGM_RSRC2:SCRATCH_EN: 0
; COMPUTE_PGM_RSRC2:USER_SGPR: 2
; COMPUTE_PGM_RSRC2:TRAP_HANDLER: 0
; COMPUTE_PGM_RSRC2:TGID_X_EN: 1
; COMPUTE_PGM_RSRC2:TGID_Y_EN: 0
; COMPUTE_PGM_RSRC2:TGID_Z_EN: 0
; COMPUTE_PGM_RSRC2:TIDIG_COMP_CNT: 0
	.section	.text._ZN7rocprim17ROCPRIM_400000_NS6detail17trampoline_kernelINS0_13select_configILj256ELj13ELNS0_17block_load_methodE3ELS4_3ELS4_3ELNS0_20block_scan_algorithmE0ELj4294967295EEENS1_25partition_config_selectorILNS1_17partition_subalgoE3EjNS0_10empty_typeEbEEZZNS1_14partition_implILS8_3ELb0ES6_jNS0_17counting_iteratorIjlEEPS9_SE_NS0_5tupleIJPjSE_EEENSF_IJSE_SE_EEES9_SG_JZNS1_25segmented_radix_sort_implINS0_14default_configELb1EPKfPfPKlPlN2at6native12_GLOBAL__N_18offset_tEEE10hipError_tPvRmT1_PNSt15iterator_traitsISY_E10value_typeET2_T3_PNSZ_IS14_E10value_typeET4_jRbjT5_S1A_jjP12ihipStream_tbEUljE_EEESV_SW_SX_S14_S18_S1A_T6_T7_T9_mT8_S1C_bDpT10_ENKUlT_T0_E_clISt17integral_constantIbLb0EES1O_IbLb1EEEEDaS1K_S1L_EUlS1K_E_NS1_11comp_targetILNS1_3genE3ELNS1_11target_archE908ELNS1_3gpuE7ELNS1_3repE0EEENS1_30default_config_static_selectorELNS0_4arch9wavefront6targetE0EEEvSY_,"axG",@progbits,_ZN7rocprim17ROCPRIM_400000_NS6detail17trampoline_kernelINS0_13select_configILj256ELj13ELNS0_17block_load_methodE3ELS4_3ELS4_3ELNS0_20block_scan_algorithmE0ELj4294967295EEENS1_25partition_config_selectorILNS1_17partition_subalgoE3EjNS0_10empty_typeEbEEZZNS1_14partition_implILS8_3ELb0ES6_jNS0_17counting_iteratorIjlEEPS9_SE_NS0_5tupleIJPjSE_EEENSF_IJSE_SE_EEES9_SG_JZNS1_25segmented_radix_sort_implINS0_14default_configELb1EPKfPfPKlPlN2at6native12_GLOBAL__N_18offset_tEEE10hipError_tPvRmT1_PNSt15iterator_traitsISY_E10value_typeET2_T3_PNSZ_IS14_E10value_typeET4_jRbjT5_S1A_jjP12ihipStream_tbEUljE_EEESV_SW_SX_S14_S18_S1A_T6_T7_T9_mT8_S1C_bDpT10_ENKUlT_T0_E_clISt17integral_constantIbLb0EES1O_IbLb1EEEEDaS1K_S1L_EUlS1K_E_NS1_11comp_targetILNS1_3genE3ELNS1_11target_archE908ELNS1_3gpuE7ELNS1_3repE0EEENS1_30default_config_static_selectorELNS0_4arch9wavefront6targetE0EEEvSY_,comdat
	.globl	_ZN7rocprim17ROCPRIM_400000_NS6detail17trampoline_kernelINS0_13select_configILj256ELj13ELNS0_17block_load_methodE3ELS4_3ELS4_3ELNS0_20block_scan_algorithmE0ELj4294967295EEENS1_25partition_config_selectorILNS1_17partition_subalgoE3EjNS0_10empty_typeEbEEZZNS1_14partition_implILS8_3ELb0ES6_jNS0_17counting_iteratorIjlEEPS9_SE_NS0_5tupleIJPjSE_EEENSF_IJSE_SE_EEES9_SG_JZNS1_25segmented_radix_sort_implINS0_14default_configELb1EPKfPfPKlPlN2at6native12_GLOBAL__N_18offset_tEEE10hipError_tPvRmT1_PNSt15iterator_traitsISY_E10value_typeET2_T3_PNSZ_IS14_E10value_typeET4_jRbjT5_S1A_jjP12ihipStream_tbEUljE_EEESV_SW_SX_S14_S18_S1A_T6_T7_T9_mT8_S1C_bDpT10_ENKUlT_T0_E_clISt17integral_constantIbLb0EES1O_IbLb1EEEEDaS1K_S1L_EUlS1K_E_NS1_11comp_targetILNS1_3genE3ELNS1_11target_archE908ELNS1_3gpuE7ELNS1_3repE0EEENS1_30default_config_static_selectorELNS0_4arch9wavefront6targetE0EEEvSY_ ; -- Begin function _ZN7rocprim17ROCPRIM_400000_NS6detail17trampoline_kernelINS0_13select_configILj256ELj13ELNS0_17block_load_methodE3ELS4_3ELS4_3ELNS0_20block_scan_algorithmE0ELj4294967295EEENS1_25partition_config_selectorILNS1_17partition_subalgoE3EjNS0_10empty_typeEbEEZZNS1_14partition_implILS8_3ELb0ES6_jNS0_17counting_iteratorIjlEEPS9_SE_NS0_5tupleIJPjSE_EEENSF_IJSE_SE_EEES9_SG_JZNS1_25segmented_radix_sort_implINS0_14default_configELb1EPKfPfPKlPlN2at6native12_GLOBAL__N_18offset_tEEE10hipError_tPvRmT1_PNSt15iterator_traitsISY_E10value_typeET2_T3_PNSZ_IS14_E10value_typeET4_jRbjT5_S1A_jjP12ihipStream_tbEUljE_EEESV_SW_SX_S14_S18_S1A_T6_T7_T9_mT8_S1C_bDpT10_ENKUlT_T0_E_clISt17integral_constantIbLb0EES1O_IbLb1EEEEDaS1K_S1L_EUlS1K_E_NS1_11comp_targetILNS1_3genE3ELNS1_11target_archE908ELNS1_3gpuE7ELNS1_3repE0EEENS1_30default_config_static_selectorELNS0_4arch9wavefront6targetE0EEEvSY_
	.p2align	8
	.type	_ZN7rocprim17ROCPRIM_400000_NS6detail17trampoline_kernelINS0_13select_configILj256ELj13ELNS0_17block_load_methodE3ELS4_3ELS4_3ELNS0_20block_scan_algorithmE0ELj4294967295EEENS1_25partition_config_selectorILNS1_17partition_subalgoE3EjNS0_10empty_typeEbEEZZNS1_14partition_implILS8_3ELb0ES6_jNS0_17counting_iteratorIjlEEPS9_SE_NS0_5tupleIJPjSE_EEENSF_IJSE_SE_EEES9_SG_JZNS1_25segmented_radix_sort_implINS0_14default_configELb1EPKfPfPKlPlN2at6native12_GLOBAL__N_18offset_tEEE10hipError_tPvRmT1_PNSt15iterator_traitsISY_E10value_typeET2_T3_PNSZ_IS14_E10value_typeET4_jRbjT5_S1A_jjP12ihipStream_tbEUljE_EEESV_SW_SX_S14_S18_S1A_T6_T7_T9_mT8_S1C_bDpT10_ENKUlT_T0_E_clISt17integral_constantIbLb0EES1O_IbLb1EEEEDaS1K_S1L_EUlS1K_E_NS1_11comp_targetILNS1_3genE3ELNS1_11target_archE908ELNS1_3gpuE7ELNS1_3repE0EEENS1_30default_config_static_selectorELNS0_4arch9wavefront6targetE0EEEvSY_,@function
_ZN7rocprim17ROCPRIM_400000_NS6detail17trampoline_kernelINS0_13select_configILj256ELj13ELNS0_17block_load_methodE3ELS4_3ELS4_3ELNS0_20block_scan_algorithmE0ELj4294967295EEENS1_25partition_config_selectorILNS1_17partition_subalgoE3EjNS0_10empty_typeEbEEZZNS1_14partition_implILS8_3ELb0ES6_jNS0_17counting_iteratorIjlEEPS9_SE_NS0_5tupleIJPjSE_EEENSF_IJSE_SE_EEES9_SG_JZNS1_25segmented_radix_sort_implINS0_14default_configELb1EPKfPfPKlPlN2at6native12_GLOBAL__N_18offset_tEEE10hipError_tPvRmT1_PNSt15iterator_traitsISY_E10value_typeET2_T3_PNSZ_IS14_E10value_typeET4_jRbjT5_S1A_jjP12ihipStream_tbEUljE_EEESV_SW_SX_S14_S18_S1A_T6_T7_T9_mT8_S1C_bDpT10_ENKUlT_T0_E_clISt17integral_constantIbLb0EES1O_IbLb1EEEEDaS1K_S1L_EUlS1K_E_NS1_11comp_targetILNS1_3genE3ELNS1_11target_archE908ELNS1_3gpuE7ELNS1_3repE0EEENS1_30default_config_static_selectorELNS0_4arch9wavefront6targetE0EEEvSY_: ; @_ZN7rocprim17ROCPRIM_400000_NS6detail17trampoline_kernelINS0_13select_configILj256ELj13ELNS0_17block_load_methodE3ELS4_3ELS4_3ELNS0_20block_scan_algorithmE0ELj4294967295EEENS1_25partition_config_selectorILNS1_17partition_subalgoE3EjNS0_10empty_typeEbEEZZNS1_14partition_implILS8_3ELb0ES6_jNS0_17counting_iteratorIjlEEPS9_SE_NS0_5tupleIJPjSE_EEENSF_IJSE_SE_EEES9_SG_JZNS1_25segmented_radix_sort_implINS0_14default_configELb1EPKfPfPKlPlN2at6native12_GLOBAL__N_18offset_tEEE10hipError_tPvRmT1_PNSt15iterator_traitsISY_E10value_typeET2_T3_PNSZ_IS14_E10value_typeET4_jRbjT5_S1A_jjP12ihipStream_tbEUljE_EEESV_SW_SX_S14_S18_S1A_T6_T7_T9_mT8_S1C_bDpT10_ENKUlT_T0_E_clISt17integral_constantIbLb0EES1O_IbLb1EEEEDaS1K_S1L_EUlS1K_E_NS1_11comp_targetILNS1_3genE3ELNS1_11target_archE908ELNS1_3gpuE7ELNS1_3repE0EEENS1_30default_config_static_selectorELNS0_4arch9wavefront6targetE0EEEvSY_
; %bb.0:
	.section	.rodata,"a",@progbits
	.p2align	6, 0x0
	.amdhsa_kernel _ZN7rocprim17ROCPRIM_400000_NS6detail17trampoline_kernelINS0_13select_configILj256ELj13ELNS0_17block_load_methodE3ELS4_3ELS4_3ELNS0_20block_scan_algorithmE0ELj4294967295EEENS1_25partition_config_selectorILNS1_17partition_subalgoE3EjNS0_10empty_typeEbEEZZNS1_14partition_implILS8_3ELb0ES6_jNS0_17counting_iteratorIjlEEPS9_SE_NS0_5tupleIJPjSE_EEENSF_IJSE_SE_EEES9_SG_JZNS1_25segmented_radix_sort_implINS0_14default_configELb1EPKfPfPKlPlN2at6native12_GLOBAL__N_18offset_tEEE10hipError_tPvRmT1_PNSt15iterator_traitsISY_E10value_typeET2_T3_PNSZ_IS14_E10value_typeET4_jRbjT5_S1A_jjP12ihipStream_tbEUljE_EEESV_SW_SX_S14_S18_S1A_T6_T7_T9_mT8_S1C_bDpT10_ENKUlT_T0_E_clISt17integral_constantIbLb0EES1O_IbLb1EEEEDaS1K_S1L_EUlS1K_E_NS1_11comp_targetILNS1_3genE3ELNS1_11target_archE908ELNS1_3gpuE7ELNS1_3repE0EEENS1_30default_config_static_selectorELNS0_4arch9wavefront6targetE0EEEvSY_
		.amdhsa_group_segment_fixed_size 0
		.amdhsa_private_segment_fixed_size 0
		.amdhsa_kernarg_size 152
		.amdhsa_user_sgpr_count 2
		.amdhsa_user_sgpr_dispatch_ptr 0
		.amdhsa_user_sgpr_queue_ptr 0
		.amdhsa_user_sgpr_kernarg_segment_ptr 1
		.amdhsa_user_sgpr_dispatch_id 0
		.amdhsa_user_sgpr_kernarg_preload_length 0
		.amdhsa_user_sgpr_kernarg_preload_offset 0
		.amdhsa_user_sgpr_private_segment_size 0
		.amdhsa_wavefront_size32 1
		.amdhsa_uses_dynamic_stack 0
		.amdhsa_enable_private_segment 0
		.amdhsa_system_sgpr_workgroup_id_x 1
		.amdhsa_system_sgpr_workgroup_id_y 0
		.amdhsa_system_sgpr_workgroup_id_z 0
		.amdhsa_system_sgpr_workgroup_info 0
		.amdhsa_system_vgpr_workitem_id 0
		.amdhsa_next_free_vgpr 1
		.amdhsa_next_free_sgpr 1
		.amdhsa_named_barrier_count 0
		.amdhsa_reserve_vcc 0
		.amdhsa_float_round_mode_32 0
		.amdhsa_float_round_mode_16_64 0
		.amdhsa_float_denorm_mode_32 3
		.amdhsa_float_denorm_mode_16_64 3
		.amdhsa_fp16_overflow 0
		.amdhsa_memory_ordered 1
		.amdhsa_forward_progress 1
		.amdhsa_inst_pref_size 0
		.amdhsa_round_robin_scheduling 0
		.amdhsa_exception_fp_ieee_invalid_op 0
		.amdhsa_exception_fp_denorm_src 0
		.amdhsa_exception_fp_ieee_div_zero 0
		.amdhsa_exception_fp_ieee_overflow 0
		.amdhsa_exception_fp_ieee_underflow 0
		.amdhsa_exception_fp_ieee_inexact 0
		.amdhsa_exception_int_div_zero 0
	.end_amdhsa_kernel
	.section	.text._ZN7rocprim17ROCPRIM_400000_NS6detail17trampoline_kernelINS0_13select_configILj256ELj13ELNS0_17block_load_methodE3ELS4_3ELS4_3ELNS0_20block_scan_algorithmE0ELj4294967295EEENS1_25partition_config_selectorILNS1_17partition_subalgoE3EjNS0_10empty_typeEbEEZZNS1_14partition_implILS8_3ELb0ES6_jNS0_17counting_iteratorIjlEEPS9_SE_NS0_5tupleIJPjSE_EEENSF_IJSE_SE_EEES9_SG_JZNS1_25segmented_radix_sort_implINS0_14default_configELb1EPKfPfPKlPlN2at6native12_GLOBAL__N_18offset_tEEE10hipError_tPvRmT1_PNSt15iterator_traitsISY_E10value_typeET2_T3_PNSZ_IS14_E10value_typeET4_jRbjT5_S1A_jjP12ihipStream_tbEUljE_EEESV_SW_SX_S14_S18_S1A_T6_T7_T9_mT8_S1C_bDpT10_ENKUlT_T0_E_clISt17integral_constantIbLb0EES1O_IbLb1EEEEDaS1K_S1L_EUlS1K_E_NS1_11comp_targetILNS1_3genE3ELNS1_11target_archE908ELNS1_3gpuE7ELNS1_3repE0EEENS1_30default_config_static_selectorELNS0_4arch9wavefront6targetE0EEEvSY_,"axG",@progbits,_ZN7rocprim17ROCPRIM_400000_NS6detail17trampoline_kernelINS0_13select_configILj256ELj13ELNS0_17block_load_methodE3ELS4_3ELS4_3ELNS0_20block_scan_algorithmE0ELj4294967295EEENS1_25partition_config_selectorILNS1_17partition_subalgoE3EjNS0_10empty_typeEbEEZZNS1_14partition_implILS8_3ELb0ES6_jNS0_17counting_iteratorIjlEEPS9_SE_NS0_5tupleIJPjSE_EEENSF_IJSE_SE_EEES9_SG_JZNS1_25segmented_radix_sort_implINS0_14default_configELb1EPKfPfPKlPlN2at6native12_GLOBAL__N_18offset_tEEE10hipError_tPvRmT1_PNSt15iterator_traitsISY_E10value_typeET2_T3_PNSZ_IS14_E10value_typeET4_jRbjT5_S1A_jjP12ihipStream_tbEUljE_EEESV_SW_SX_S14_S18_S1A_T6_T7_T9_mT8_S1C_bDpT10_ENKUlT_T0_E_clISt17integral_constantIbLb0EES1O_IbLb1EEEEDaS1K_S1L_EUlS1K_E_NS1_11comp_targetILNS1_3genE3ELNS1_11target_archE908ELNS1_3gpuE7ELNS1_3repE0EEENS1_30default_config_static_selectorELNS0_4arch9wavefront6targetE0EEEvSY_,comdat
.Lfunc_end1314:
	.size	_ZN7rocprim17ROCPRIM_400000_NS6detail17trampoline_kernelINS0_13select_configILj256ELj13ELNS0_17block_load_methodE3ELS4_3ELS4_3ELNS0_20block_scan_algorithmE0ELj4294967295EEENS1_25partition_config_selectorILNS1_17partition_subalgoE3EjNS0_10empty_typeEbEEZZNS1_14partition_implILS8_3ELb0ES6_jNS0_17counting_iteratorIjlEEPS9_SE_NS0_5tupleIJPjSE_EEENSF_IJSE_SE_EEES9_SG_JZNS1_25segmented_radix_sort_implINS0_14default_configELb1EPKfPfPKlPlN2at6native12_GLOBAL__N_18offset_tEEE10hipError_tPvRmT1_PNSt15iterator_traitsISY_E10value_typeET2_T3_PNSZ_IS14_E10value_typeET4_jRbjT5_S1A_jjP12ihipStream_tbEUljE_EEESV_SW_SX_S14_S18_S1A_T6_T7_T9_mT8_S1C_bDpT10_ENKUlT_T0_E_clISt17integral_constantIbLb0EES1O_IbLb1EEEEDaS1K_S1L_EUlS1K_E_NS1_11comp_targetILNS1_3genE3ELNS1_11target_archE908ELNS1_3gpuE7ELNS1_3repE0EEENS1_30default_config_static_selectorELNS0_4arch9wavefront6targetE0EEEvSY_, .Lfunc_end1314-_ZN7rocprim17ROCPRIM_400000_NS6detail17trampoline_kernelINS0_13select_configILj256ELj13ELNS0_17block_load_methodE3ELS4_3ELS4_3ELNS0_20block_scan_algorithmE0ELj4294967295EEENS1_25partition_config_selectorILNS1_17partition_subalgoE3EjNS0_10empty_typeEbEEZZNS1_14partition_implILS8_3ELb0ES6_jNS0_17counting_iteratorIjlEEPS9_SE_NS0_5tupleIJPjSE_EEENSF_IJSE_SE_EEES9_SG_JZNS1_25segmented_radix_sort_implINS0_14default_configELb1EPKfPfPKlPlN2at6native12_GLOBAL__N_18offset_tEEE10hipError_tPvRmT1_PNSt15iterator_traitsISY_E10value_typeET2_T3_PNSZ_IS14_E10value_typeET4_jRbjT5_S1A_jjP12ihipStream_tbEUljE_EEESV_SW_SX_S14_S18_S1A_T6_T7_T9_mT8_S1C_bDpT10_ENKUlT_T0_E_clISt17integral_constantIbLb0EES1O_IbLb1EEEEDaS1K_S1L_EUlS1K_E_NS1_11comp_targetILNS1_3genE3ELNS1_11target_archE908ELNS1_3gpuE7ELNS1_3repE0EEENS1_30default_config_static_selectorELNS0_4arch9wavefront6targetE0EEEvSY_
                                        ; -- End function
	.set _ZN7rocprim17ROCPRIM_400000_NS6detail17trampoline_kernelINS0_13select_configILj256ELj13ELNS0_17block_load_methodE3ELS4_3ELS4_3ELNS0_20block_scan_algorithmE0ELj4294967295EEENS1_25partition_config_selectorILNS1_17partition_subalgoE3EjNS0_10empty_typeEbEEZZNS1_14partition_implILS8_3ELb0ES6_jNS0_17counting_iteratorIjlEEPS9_SE_NS0_5tupleIJPjSE_EEENSF_IJSE_SE_EEES9_SG_JZNS1_25segmented_radix_sort_implINS0_14default_configELb1EPKfPfPKlPlN2at6native12_GLOBAL__N_18offset_tEEE10hipError_tPvRmT1_PNSt15iterator_traitsISY_E10value_typeET2_T3_PNSZ_IS14_E10value_typeET4_jRbjT5_S1A_jjP12ihipStream_tbEUljE_EEESV_SW_SX_S14_S18_S1A_T6_T7_T9_mT8_S1C_bDpT10_ENKUlT_T0_E_clISt17integral_constantIbLb0EES1O_IbLb1EEEEDaS1K_S1L_EUlS1K_E_NS1_11comp_targetILNS1_3genE3ELNS1_11target_archE908ELNS1_3gpuE7ELNS1_3repE0EEENS1_30default_config_static_selectorELNS0_4arch9wavefront6targetE0EEEvSY_.num_vgpr, 0
	.set _ZN7rocprim17ROCPRIM_400000_NS6detail17trampoline_kernelINS0_13select_configILj256ELj13ELNS0_17block_load_methodE3ELS4_3ELS4_3ELNS0_20block_scan_algorithmE0ELj4294967295EEENS1_25partition_config_selectorILNS1_17partition_subalgoE3EjNS0_10empty_typeEbEEZZNS1_14partition_implILS8_3ELb0ES6_jNS0_17counting_iteratorIjlEEPS9_SE_NS0_5tupleIJPjSE_EEENSF_IJSE_SE_EEES9_SG_JZNS1_25segmented_radix_sort_implINS0_14default_configELb1EPKfPfPKlPlN2at6native12_GLOBAL__N_18offset_tEEE10hipError_tPvRmT1_PNSt15iterator_traitsISY_E10value_typeET2_T3_PNSZ_IS14_E10value_typeET4_jRbjT5_S1A_jjP12ihipStream_tbEUljE_EEESV_SW_SX_S14_S18_S1A_T6_T7_T9_mT8_S1C_bDpT10_ENKUlT_T0_E_clISt17integral_constantIbLb0EES1O_IbLb1EEEEDaS1K_S1L_EUlS1K_E_NS1_11comp_targetILNS1_3genE3ELNS1_11target_archE908ELNS1_3gpuE7ELNS1_3repE0EEENS1_30default_config_static_selectorELNS0_4arch9wavefront6targetE0EEEvSY_.num_agpr, 0
	.set _ZN7rocprim17ROCPRIM_400000_NS6detail17trampoline_kernelINS0_13select_configILj256ELj13ELNS0_17block_load_methodE3ELS4_3ELS4_3ELNS0_20block_scan_algorithmE0ELj4294967295EEENS1_25partition_config_selectorILNS1_17partition_subalgoE3EjNS0_10empty_typeEbEEZZNS1_14partition_implILS8_3ELb0ES6_jNS0_17counting_iteratorIjlEEPS9_SE_NS0_5tupleIJPjSE_EEENSF_IJSE_SE_EEES9_SG_JZNS1_25segmented_radix_sort_implINS0_14default_configELb1EPKfPfPKlPlN2at6native12_GLOBAL__N_18offset_tEEE10hipError_tPvRmT1_PNSt15iterator_traitsISY_E10value_typeET2_T3_PNSZ_IS14_E10value_typeET4_jRbjT5_S1A_jjP12ihipStream_tbEUljE_EEESV_SW_SX_S14_S18_S1A_T6_T7_T9_mT8_S1C_bDpT10_ENKUlT_T0_E_clISt17integral_constantIbLb0EES1O_IbLb1EEEEDaS1K_S1L_EUlS1K_E_NS1_11comp_targetILNS1_3genE3ELNS1_11target_archE908ELNS1_3gpuE7ELNS1_3repE0EEENS1_30default_config_static_selectorELNS0_4arch9wavefront6targetE0EEEvSY_.numbered_sgpr, 0
	.set _ZN7rocprim17ROCPRIM_400000_NS6detail17trampoline_kernelINS0_13select_configILj256ELj13ELNS0_17block_load_methodE3ELS4_3ELS4_3ELNS0_20block_scan_algorithmE0ELj4294967295EEENS1_25partition_config_selectorILNS1_17partition_subalgoE3EjNS0_10empty_typeEbEEZZNS1_14partition_implILS8_3ELb0ES6_jNS0_17counting_iteratorIjlEEPS9_SE_NS0_5tupleIJPjSE_EEENSF_IJSE_SE_EEES9_SG_JZNS1_25segmented_radix_sort_implINS0_14default_configELb1EPKfPfPKlPlN2at6native12_GLOBAL__N_18offset_tEEE10hipError_tPvRmT1_PNSt15iterator_traitsISY_E10value_typeET2_T3_PNSZ_IS14_E10value_typeET4_jRbjT5_S1A_jjP12ihipStream_tbEUljE_EEESV_SW_SX_S14_S18_S1A_T6_T7_T9_mT8_S1C_bDpT10_ENKUlT_T0_E_clISt17integral_constantIbLb0EES1O_IbLb1EEEEDaS1K_S1L_EUlS1K_E_NS1_11comp_targetILNS1_3genE3ELNS1_11target_archE908ELNS1_3gpuE7ELNS1_3repE0EEENS1_30default_config_static_selectorELNS0_4arch9wavefront6targetE0EEEvSY_.num_named_barrier, 0
	.set _ZN7rocprim17ROCPRIM_400000_NS6detail17trampoline_kernelINS0_13select_configILj256ELj13ELNS0_17block_load_methodE3ELS4_3ELS4_3ELNS0_20block_scan_algorithmE0ELj4294967295EEENS1_25partition_config_selectorILNS1_17partition_subalgoE3EjNS0_10empty_typeEbEEZZNS1_14partition_implILS8_3ELb0ES6_jNS0_17counting_iteratorIjlEEPS9_SE_NS0_5tupleIJPjSE_EEENSF_IJSE_SE_EEES9_SG_JZNS1_25segmented_radix_sort_implINS0_14default_configELb1EPKfPfPKlPlN2at6native12_GLOBAL__N_18offset_tEEE10hipError_tPvRmT1_PNSt15iterator_traitsISY_E10value_typeET2_T3_PNSZ_IS14_E10value_typeET4_jRbjT5_S1A_jjP12ihipStream_tbEUljE_EEESV_SW_SX_S14_S18_S1A_T6_T7_T9_mT8_S1C_bDpT10_ENKUlT_T0_E_clISt17integral_constantIbLb0EES1O_IbLb1EEEEDaS1K_S1L_EUlS1K_E_NS1_11comp_targetILNS1_3genE3ELNS1_11target_archE908ELNS1_3gpuE7ELNS1_3repE0EEENS1_30default_config_static_selectorELNS0_4arch9wavefront6targetE0EEEvSY_.private_seg_size, 0
	.set _ZN7rocprim17ROCPRIM_400000_NS6detail17trampoline_kernelINS0_13select_configILj256ELj13ELNS0_17block_load_methodE3ELS4_3ELS4_3ELNS0_20block_scan_algorithmE0ELj4294967295EEENS1_25partition_config_selectorILNS1_17partition_subalgoE3EjNS0_10empty_typeEbEEZZNS1_14partition_implILS8_3ELb0ES6_jNS0_17counting_iteratorIjlEEPS9_SE_NS0_5tupleIJPjSE_EEENSF_IJSE_SE_EEES9_SG_JZNS1_25segmented_radix_sort_implINS0_14default_configELb1EPKfPfPKlPlN2at6native12_GLOBAL__N_18offset_tEEE10hipError_tPvRmT1_PNSt15iterator_traitsISY_E10value_typeET2_T3_PNSZ_IS14_E10value_typeET4_jRbjT5_S1A_jjP12ihipStream_tbEUljE_EEESV_SW_SX_S14_S18_S1A_T6_T7_T9_mT8_S1C_bDpT10_ENKUlT_T0_E_clISt17integral_constantIbLb0EES1O_IbLb1EEEEDaS1K_S1L_EUlS1K_E_NS1_11comp_targetILNS1_3genE3ELNS1_11target_archE908ELNS1_3gpuE7ELNS1_3repE0EEENS1_30default_config_static_selectorELNS0_4arch9wavefront6targetE0EEEvSY_.uses_vcc, 0
	.set _ZN7rocprim17ROCPRIM_400000_NS6detail17trampoline_kernelINS0_13select_configILj256ELj13ELNS0_17block_load_methodE3ELS4_3ELS4_3ELNS0_20block_scan_algorithmE0ELj4294967295EEENS1_25partition_config_selectorILNS1_17partition_subalgoE3EjNS0_10empty_typeEbEEZZNS1_14partition_implILS8_3ELb0ES6_jNS0_17counting_iteratorIjlEEPS9_SE_NS0_5tupleIJPjSE_EEENSF_IJSE_SE_EEES9_SG_JZNS1_25segmented_radix_sort_implINS0_14default_configELb1EPKfPfPKlPlN2at6native12_GLOBAL__N_18offset_tEEE10hipError_tPvRmT1_PNSt15iterator_traitsISY_E10value_typeET2_T3_PNSZ_IS14_E10value_typeET4_jRbjT5_S1A_jjP12ihipStream_tbEUljE_EEESV_SW_SX_S14_S18_S1A_T6_T7_T9_mT8_S1C_bDpT10_ENKUlT_T0_E_clISt17integral_constantIbLb0EES1O_IbLb1EEEEDaS1K_S1L_EUlS1K_E_NS1_11comp_targetILNS1_3genE3ELNS1_11target_archE908ELNS1_3gpuE7ELNS1_3repE0EEENS1_30default_config_static_selectorELNS0_4arch9wavefront6targetE0EEEvSY_.uses_flat_scratch, 0
	.set _ZN7rocprim17ROCPRIM_400000_NS6detail17trampoline_kernelINS0_13select_configILj256ELj13ELNS0_17block_load_methodE3ELS4_3ELS4_3ELNS0_20block_scan_algorithmE0ELj4294967295EEENS1_25partition_config_selectorILNS1_17partition_subalgoE3EjNS0_10empty_typeEbEEZZNS1_14partition_implILS8_3ELb0ES6_jNS0_17counting_iteratorIjlEEPS9_SE_NS0_5tupleIJPjSE_EEENSF_IJSE_SE_EEES9_SG_JZNS1_25segmented_radix_sort_implINS0_14default_configELb1EPKfPfPKlPlN2at6native12_GLOBAL__N_18offset_tEEE10hipError_tPvRmT1_PNSt15iterator_traitsISY_E10value_typeET2_T3_PNSZ_IS14_E10value_typeET4_jRbjT5_S1A_jjP12ihipStream_tbEUljE_EEESV_SW_SX_S14_S18_S1A_T6_T7_T9_mT8_S1C_bDpT10_ENKUlT_T0_E_clISt17integral_constantIbLb0EES1O_IbLb1EEEEDaS1K_S1L_EUlS1K_E_NS1_11comp_targetILNS1_3genE3ELNS1_11target_archE908ELNS1_3gpuE7ELNS1_3repE0EEENS1_30default_config_static_selectorELNS0_4arch9wavefront6targetE0EEEvSY_.has_dyn_sized_stack, 0
	.set _ZN7rocprim17ROCPRIM_400000_NS6detail17trampoline_kernelINS0_13select_configILj256ELj13ELNS0_17block_load_methodE3ELS4_3ELS4_3ELNS0_20block_scan_algorithmE0ELj4294967295EEENS1_25partition_config_selectorILNS1_17partition_subalgoE3EjNS0_10empty_typeEbEEZZNS1_14partition_implILS8_3ELb0ES6_jNS0_17counting_iteratorIjlEEPS9_SE_NS0_5tupleIJPjSE_EEENSF_IJSE_SE_EEES9_SG_JZNS1_25segmented_radix_sort_implINS0_14default_configELb1EPKfPfPKlPlN2at6native12_GLOBAL__N_18offset_tEEE10hipError_tPvRmT1_PNSt15iterator_traitsISY_E10value_typeET2_T3_PNSZ_IS14_E10value_typeET4_jRbjT5_S1A_jjP12ihipStream_tbEUljE_EEESV_SW_SX_S14_S18_S1A_T6_T7_T9_mT8_S1C_bDpT10_ENKUlT_T0_E_clISt17integral_constantIbLb0EES1O_IbLb1EEEEDaS1K_S1L_EUlS1K_E_NS1_11comp_targetILNS1_3genE3ELNS1_11target_archE908ELNS1_3gpuE7ELNS1_3repE0EEENS1_30default_config_static_selectorELNS0_4arch9wavefront6targetE0EEEvSY_.has_recursion, 0
	.set _ZN7rocprim17ROCPRIM_400000_NS6detail17trampoline_kernelINS0_13select_configILj256ELj13ELNS0_17block_load_methodE3ELS4_3ELS4_3ELNS0_20block_scan_algorithmE0ELj4294967295EEENS1_25partition_config_selectorILNS1_17partition_subalgoE3EjNS0_10empty_typeEbEEZZNS1_14partition_implILS8_3ELb0ES6_jNS0_17counting_iteratorIjlEEPS9_SE_NS0_5tupleIJPjSE_EEENSF_IJSE_SE_EEES9_SG_JZNS1_25segmented_radix_sort_implINS0_14default_configELb1EPKfPfPKlPlN2at6native12_GLOBAL__N_18offset_tEEE10hipError_tPvRmT1_PNSt15iterator_traitsISY_E10value_typeET2_T3_PNSZ_IS14_E10value_typeET4_jRbjT5_S1A_jjP12ihipStream_tbEUljE_EEESV_SW_SX_S14_S18_S1A_T6_T7_T9_mT8_S1C_bDpT10_ENKUlT_T0_E_clISt17integral_constantIbLb0EES1O_IbLb1EEEEDaS1K_S1L_EUlS1K_E_NS1_11comp_targetILNS1_3genE3ELNS1_11target_archE908ELNS1_3gpuE7ELNS1_3repE0EEENS1_30default_config_static_selectorELNS0_4arch9wavefront6targetE0EEEvSY_.has_indirect_call, 0
	.section	.AMDGPU.csdata,"",@progbits
; Kernel info:
; codeLenInByte = 0
; TotalNumSgprs: 0
; NumVgprs: 0
; ScratchSize: 0
; MemoryBound: 0
; FloatMode: 240
; IeeeMode: 1
; LDSByteSize: 0 bytes/workgroup (compile time only)
; SGPRBlocks: 0
; VGPRBlocks: 0
; NumSGPRsForWavesPerEU: 1
; NumVGPRsForWavesPerEU: 1
; NamedBarCnt: 0
; Occupancy: 16
; WaveLimiterHint : 0
; COMPUTE_PGM_RSRC2:SCRATCH_EN: 0
; COMPUTE_PGM_RSRC2:USER_SGPR: 2
; COMPUTE_PGM_RSRC2:TRAP_HANDLER: 0
; COMPUTE_PGM_RSRC2:TGID_X_EN: 1
; COMPUTE_PGM_RSRC2:TGID_Y_EN: 0
; COMPUTE_PGM_RSRC2:TGID_Z_EN: 0
; COMPUTE_PGM_RSRC2:TIDIG_COMP_CNT: 0
	.section	.text._ZN7rocprim17ROCPRIM_400000_NS6detail17trampoline_kernelINS0_13select_configILj256ELj13ELNS0_17block_load_methodE3ELS4_3ELS4_3ELNS0_20block_scan_algorithmE0ELj4294967295EEENS1_25partition_config_selectorILNS1_17partition_subalgoE3EjNS0_10empty_typeEbEEZZNS1_14partition_implILS8_3ELb0ES6_jNS0_17counting_iteratorIjlEEPS9_SE_NS0_5tupleIJPjSE_EEENSF_IJSE_SE_EEES9_SG_JZNS1_25segmented_radix_sort_implINS0_14default_configELb1EPKfPfPKlPlN2at6native12_GLOBAL__N_18offset_tEEE10hipError_tPvRmT1_PNSt15iterator_traitsISY_E10value_typeET2_T3_PNSZ_IS14_E10value_typeET4_jRbjT5_S1A_jjP12ihipStream_tbEUljE_EEESV_SW_SX_S14_S18_S1A_T6_T7_T9_mT8_S1C_bDpT10_ENKUlT_T0_E_clISt17integral_constantIbLb0EES1O_IbLb1EEEEDaS1K_S1L_EUlS1K_E_NS1_11comp_targetILNS1_3genE2ELNS1_11target_archE906ELNS1_3gpuE6ELNS1_3repE0EEENS1_30default_config_static_selectorELNS0_4arch9wavefront6targetE0EEEvSY_,"axG",@progbits,_ZN7rocprim17ROCPRIM_400000_NS6detail17trampoline_kernelINS0_13select_configILj256ELj13ELNS0_17block_load_methodE3ELS4_3ELS4_3ELNS0_20block_scan_algorithmE0ELj4294967295EEENS1_25partition_config_selectorILNS1_17partition_subalgoE3EjNS0_10empty_typeEbEEZZNS1_14partition_implILS8_3ELb0ES6_jNS0_17counting_iteratorIjlEEPS9_SE_NS0_5tupleIJPjSE_EEENSF_IJSE_SE_EEES9_SG_JZNS1_25segmented_radix_sort_implINS0_14default_configELb1EPKfPfPKlPlN2at6native12_GLOBAL__N_18offset_tEEE10hipError_tPvRmT1_PNSt15iterator_traitsISY_E10value_typeET2_T3_PNSZ_IS14_E10value_typeET4_jRbjT5_S1A_jjP12ihipStream_tbEUljE_EEESV_SW_SX_S14_S18_S1A_T6_T7_T9_mT8_S1C_bDpT10_ENKUlT_T0_E_clISt17integral_constantIbLb0EES1O_IbLb1EEEEDaS1K_S1L_EUlS1K_E_NS1_11comp_targetILNS1_3genE2ELNS1_11target_archE906ELNS1_3gpuE6ELNS1_3repE0EEENS1_30default_config_static_selectorELNS0_4arch9wavefront6targetE0EEEvSY_,comdat
	.globl	_ZN7rocprim17ROCPRIM_400000_NS6detail17trampoline_kernelINS0_13select_configILj256ELj13ELNS0_17block_load_methodE3ELS4_3ELS4_3ELNS0_20block_scan_algorithmE0ELj4294967295EEENS1_25partition_config_selectorILNS1_17partition_subalgoE3EjNS0_10empty_typeEbEEZZNS1_14partition_implILS8_3ELb0ES6_jNS0_17counting_iteratorIjlEEPS9_SE_NS0_5tupleIJPjSE_EEENSF_IJSE_SE_EEES9_SG_JZNS1_25segmented_radix_sort_implINS0_14default_configELb1EPKfPfPKlPlN2at6native12_GLOBAL__N_18offset_tEEE10hipError_tPvRmT1_PNSt15iterator_traitsISY_E10value_typeET2_T3_PNSZ_IS14_E10value_typeET4_jRbjT5_S1A_jjP12ihipStream_tbEUljE_EEESV_SW_SX_S14_S18_S1A_T6_T7_T9_mT8_S1C_bDpT10_ENKUlT_T0_E_clISt17integral_constantIbLb0EES1O_IbLb1EEEEDaS1K_S1L_EUlS1K_E_NS1_11comp_targetILNS1_3genE2ELNS1_11target_archE906ELNS1_3gpuE6ELNS1_3repE0EEENS1_30default_config_static_selectorELNS0_4arch9wavefront6targetE0EEEvSY_ ; -- Begin function _ZN7rocprim17ROCPRIM_400000_NS6detail17trampoline_kernelINS0_13select_configILj256ELj13ELNS0_17block_load_methodE3ELS4_3ELS4_3ELNS0_20block_scan_algorithmE0ELj4294967295EEENS1_25partition_config_selectorILNS1_17partition_subalgoE3EjNS0_10empty_typeEbEEZZNS1_14partition_implILS8_3ELb0ES6_jNS0_17counting_iteratorIjlEEPS9_SE_NS0_5tupleIJPjSE_EEENSF_IJSE_SE_EEES9_SG_JZNS1_25segmented_radix_sort_implINS0_14default_configELb1EPKfPfPKlPlN2at6native12_GLOBAL__N_18offset_tEEE10hipError_tPvRmT1_PNSt15iterator_traitsISY_E10value_typeET2_T3_PNSZ_IS14_E10value_typeET4_jRbjT5_S1A_jjP12ihipStream_tbEUljE_EEESV_SW_SX_S14_S18_S1A_T6_T7_T9_mT8_S1C_bDpT10_ENKUlT_T0_E_clISt17integral_constantIbLb0EES1O_IbLb1EEEEDaS1K_S1L_EUlS1K_E_NS1_11comp_targetILNS1_3genE2ELNS1_11target_archE906ELNS1_3gpuE6ELNS1_3repE0EEENS1_30default_config_static_selectorELNS0_4arch9wavefront6targetE0EEEvSY_
	.p2align	8
	.type	_ZN7rocprim17ROCPRIM_400000_NS6detail17trampoline_kernelINS0_13select_configILj256ELj13ELNS0_17block_load_methodE3ELS4_3ELS4_3ELNS0_20block_scan_algorithmE0ELj4294967295EEENS1_25partition_config_selectorILNS1_17partition_subalgoE3EjNS0_10empty_typeEbEEZZNS1_14partition_implILS8_3ELb0ES6_jNS0_17counting_iteratorIjlEEPS9_SE_NS0_5tupleIJPjSE_EEENSF_IJSE_SE_EEES9_SG_JZNS1_25segmented_radix_sort_implINS0_14default_configELb1EPKfPfPKlPlN2at6native12_GLOBAL__N_18offset_tEEE10hipError_tPvRmT1_PNSt15iterator_traitsISY_E10value_typeET2_T3_PNSZ_IS14_E10value_typeET4_jRbjT5_S1A_jjP12ihipStream_tbEUljE_EEESV_SW_SX_S14_S18_S1A_T6_T7_T9_mT8_S1C_bDpT10_ENKUlT_T0_E_clISt17integral_constantIbLb0EES1O_IbLb1EEEEDaS1K_S1L_EUlS1K_E_NS1_11comp_targetILNS1_3genE2ELNS1_11target_archE906ELNS1_3gpuE6ELNS1_3repE0EEENS1_30default_config_static_selectorELNS0_4arch9wavefront6targetE0EEEvSY_,@function
_ZN7rocprim17ROCPRIM_400000_NS6detail17trampoline_kernelINS0_13select_configILj256ELj13ELNS0_17block_load_methodE3ELS4_3ELS4_3ELNS0_20block_scan_algorithmE0ELj4294967295EEENS1_25partition_config_selectorILNS1_17partition_subalgoE3EjNS0_10empty_typeEbEEZZNS1_14partition_implILS8_3ELb0ES6_jNS0_17counting_iteratorIjlEEPS9_SE_NS0_5tupleIJPjSE_EEENSF_IJSE_SE_EEES9_SG_JZNS1_25segmented_radix_sort_implINS0_14default_configELb1EPKfPfPKlPlN2at6native12_GLOBAL__N_18offset_tEEE10hipError_tPvRmT1_PNSt15iterator_traitsISY_E10value_typeET2_T3_PNSZ_IS14_E10value_typeET4_jRbjT5_S1A_jjP12ihipStream_tbEUljE_EEESV_SW_SX_S14_S18_S1A_T6_T7_T9_mT8_S1C_bDpT10_ENKUlT_T0_E_clISt17integral_constantIbLb0EES1O_IbLb1EEEEDaS1K_S1L_EUlS1K_E_NS1_11comp_targetILNS1_3genE2ELNS1_11target_archE906ELNS1_3gpuE6ELNS1_3repE0EEENS1_30default_config_static_selectorELNS0_4arch9wavefront6targetE0EEEvSY_: ; @_ZN7rocprim17ROCPRIM_400000_NS6detail17trampoline_kernelINS0_13select_configILj256ELj13ELNS0_17block_load_methodE3ELS4_3ELS4_3ELNS0_20block_scan_algorithmE0ELj4294967295EEENS1_25partition_config_selectorILNS1_17partition_subalgoE3EjNS0_10empty_typeEbEEZZNS1_14partition_implILS8_3ELb0ES6_jNS0_17counting_iteratorIjlEEPS9_SE_NS0_5tupleIJPjSE_EEENSF_IJSE_SE_EEES9_SG_JZNS1_25segmented_radix_sort_implINS0_14default_configELb1EPKfPfPKlPlN2at6native12_GLOBAL__N_18offset_tEEE10hipError_tPvRmT1_PNSt15iterator_traitsISY_E10value_typeET2_T3_PNSZ_IS14_E10value_typeET4_jRbjT5_S1A_jjP12ihipStream_tbEUljE_EEESV_SW_SX_S14_S18_S1A_T6_T7_T9_mT8_S1C_bDpT10_ENKUlT_T0_E_clISt17integral_constantIbLb0EES1O_IbLb1EEEEDaS1K_S1L_EUlS1K_E_NS1_11comp_targetILNS1_3genE2ELNS1_11target_archE906ELNS1_3gpuE6ELNS1_3repE0EEENS1_30default_config_static_selectorELNS0_4arch9wavefront6targetE0EEEvSY_
; %bb.0:
	.section	.rodata,"a",@progbits
	.p2align	6, 0x0
	.amdhsa_kernel _ZN7rocprim17ROCPRIM_400000_NS6detail17trampoline_kernelINS0_13select_configILj256ELj13ELNS0_17block_load_methodE3ELS4_3ELS4_3ELNS0_20block_scan_algorithmE0ELj4294967295EEENS1_25partition_config_selectorILNS1_17partition_subalgoE3EjNS0_10empty_typeEbEEZZNS1_14partition_implILS8_3ELb0ES6_jNS0_17counting_iteratorIjlEEPS9_SE_NS0_5tupleIJPjSE_EEENSF_IJSE_SE_EEES9_SG_JZNS1_25segmented_radix_sort_implINS0_14default_configELb1EPKfPfPKlPlN2at6native12_GLOBAL__N_18offset_tEEE10hipError_tPvRmT1_PNSt15iterator_traitsISY_E10value_typeET2_T3_PNSZ_IS14_E10value_typeET4_jRbjT5_S1A_jjP12ihipStream_tbEUljE_EEESV_SW_SX_S14_S18_S1A_T6_T7_T9_mT8_S1C_bDpT10_ENKUlT_T0_E_clISt17integral_constantIbLb0EES1O_IbLb1EEEEDaS1K_S1L_EUlS1K_E_NS1_11comp_targetILNS1_3genE2ELNS1_11target_archE906ELNS1_3gpuE6ELNS1_3repE0EEENS1_30default_config_static_selectorELNS0_4arch9wavefront6targetE0EEEvSY_
		.amdhsa_group_segment_fixed_size 0
		.amdhsa_private_segment_fixed_size 0
		.amdhsa_kernarg_size 152
		.amdhsa_user_sgpr_count 2
		.amdhsa_user_sgpr_dispatch_ptr 0
		.amdhsa_user_sgpr_queue_ptr 0
		.amdhsa_user_sgpr_kernarg_segment_ptr 1
		.amdhsa_user_sgpr_dispatch_id 0
		.amdhsa_user_sgpr_kernarg_preload_length 0
		.amdhsa_user_sgpr_kernarg_preload_offset 0
		.amdhsa_user_sgpr_private_segment_size 0
		.amdhsa_wavefront_size32 1
		.amdhsa_uses_dynamic_stack 0
		.amdhsa_enable_private_segment 0
		.amdhsa_system_sgpr_workgroup_id_x 1
		.amdhsa_system_sgpr_workgroup_id_y 0
		.amdhsa_system_sgpr_workgroup_id_z 0
		.amdhsa_system_sgpr_workgroup_info 0
		.amdhsa_system_vgpr_workitem_id 0
		.amdhsa_next_free_vgpr 1
		.amdhsa_next_free_sgpr 1
		.amdhsa_named_barrier_count 0
		.amdhsa_reserve_vcc 0
		.amdhsa_float_round_mode_32 0
		.amdhsa_float_round_mode_16_64 0
		.amdhsa_float_denorm_mode_32 3
		.amdhsa_float_denorm_mode_16_64 3
		.amdhsa_fp16_overflow 0
		.amdhsa_memory_ordered 1
		.amdhsa_forward_progress 1
		.amdhsa_inst_pref_size 0
		.amdhsa_round_robin_scheduling 0
		.amdhsa_exception_fp_ieee_invalid_op 0
		.amdhsa_exception_fp_denorm_src 0
		.amdhsa_exception_fp_ieee_div_zero 0
		.amdhsa_exception_fp_ieee_overflow 0
		.amdhsa_exception_fp_ieee_underflow 0
		.amdhsa_exception_fp_ieee_inexact 0
		.amdhsa_exception_int_div_zero 0
	.end_amdhsa_kernel
	.section	.text._ZN7rocprim17ROCPRIM_400000_NS6detail17trampoline_kernelINS0_13select_configILj256ELj13ELNS0_17block_load_methodE3ELS4_3ELS4_3ELNS0_20block_scan_algorithmE0ELj4294967295EEENS1_25partition_config_selectorILNS1_17partition_subalgoE3EjNS0_10empty_typeEbEEZZNS1_14partition_implILS8_3ELb0ES6_jNS0_17counting_iteratorIjlEEPS9_SE_NS0_5tupleIJPjSE_EEENSF_IJSE_SE_EEES9_SG_JZNS1_25segmented_radix_sort_implINS0_14default_configELb1EPKfPfPKlPlN2at6native12_GLOBAL__N_18offset_tEEE10hipError_tPvRmT1_PNSt15iterator_traitsISY_E10value_typeET2_T3_PNSZ_IS14_E10value_typeET4_jRbjT5_S1A_jjP12ihipStream_tbEUljE_EEESV_SW_SX_S14_S18_S1A_T6_T7_T9_mT8_S1C_bDpT10_ENKUlT_T0_E_clISt17integral_constantIbLb0EES1O_IbLb1EEEEDaS1K_S1L_EUlS1K_E_NS1_11comp_targetILNS1_3genE2ELNS1_11target_archE906ELNS1_3gpuE6ELNS1_3repE0EEENS1_30default_config_static_selectorELNS0_4arch9wavefront6targetE0EEEvSY_,"axG",@progbits,_ZN7rocprim17ROCPRIM_400000_NS6detail17trampoline_kernelINS0_13select_configILj256ELj13ELNS0_17block_load_methodE3ELS4_3ELS4_3ELNS0_20block_scan_algorithmE0ELj4294967295EEENS1_25partition_config_selectorILNS1_17partition_subalgoE3EjNS0_10empty_typeEbEEZZNS1_14partition_implILS8_3ELb0ES6_jNS0_17counting_iteratorIjlEEPS9_SE_NS0_5tupleIJPjSE_EEENSF_IJSE_SE_EEES9_SG_JZNS1_25segmented_radix_sort_implINS0_14default_configELb1EPKfPfPKlPlN2at6native12_GLOBAL__N_18offset_tEEE10hipError_tPvRmT1_PNSt15iterator_traitsISY_E10value_typeET2_T3_PNSZ_IS14_E10value_typeET4_jRbjT5_S1A_jjP12ihipStream_tbEUljE_EEESV_SW_SX_S14_S18_S1A_T6_T7_T9_mT8_S1C_bDpT10_ENKUlT_T0_E_clISt17integral_constantIbLb0EES1O_IbLb1EEEEDaS1K_S1L_EUlS1K_E_NS1_11comp_targetILNS1_3genE2ELNS1_11target_archE906ELNS1_3gpuE6ELNS1_3repE0EEENS1_30default_config_static_selectorELNS0_4arch9wavefront6targetE0EEEvSY_,comdat
.Lfunc_end1315:
	.size	_ZN7rocprim17ROCPRIM_400000_NS6detail17trampoline_kernelINS0_13select_configILj256ELj13ELNS0_17block_load_methodE3ELS4_3ELS4_3ELNS0_20block_scan_algorithmE0ELj4294967295EEENS1_25partition_config_selectorILNS1_17partition_subalgoE3EjNS0_10empty_typeEbEEZZNS1_14partition_implILS8_3ELb0ES6_jNS0_17counting_iteratorIjlEEPS9_SE_NS0_5tupleIJPjSE_EEENSF_IJSE_SE_EEES9_SG_JZNS1_25segmented_radix_sort_implINS0_14default_configELb1EPKfPfPKlPlN2at6native12_GLOBAL__N_18offset_tEEE10hipError_tPvRmT1_PNSt15iterator_traitsISY_E10value_typeET2_T3_PNSZ_IS14_E10value_typeET4_jRbjT5_S1A_jjP12ihipStream_tbEUljE_EEESV_SW_SX_S14_S18_S1A_T6_T7_T9_mT8_S1C_bDpT10_ENKUlT_T0_E_clISt17integral_constantIbLb0EES1O_IbLb1EEEEDaS1K_S1L_EUlS1K_E_NS1_11comp_targetILNS1_3genE2ELNS1_11target_archE906ELNS1_3gpuE6ELNS1_3repE0EEENS1_30default_config_static_selectorELNS0_4arch9wavefront6targetE0EEEvSY_, .Lfunc_end1315-_ZN7rocprim17ROCPRIM_400000_NS6detail17trampoline_kernelINS0_13select_configILj256ELj13ELNS0_17block_load_methodE3ELS4_3ELS4_3ELNS0_20block_scan_algorithmE0ELj4294967295EEENS1_25partition_config_selectorILNS1_17partition_subalgoE3EjNS0_10empty_typeEbEEZZNS1_14partition_implILS8_3ELb0ES6_jNS0_17counting_iteratorIjlEEPS9_SE_NS0_5tupleIJPjSE_EEENSF_IJSE_SE_EEES9_SG_JZNS1_25segmented_radix_sort_implINS0_14default_configELb1EPKfPfPKlPlN2at6native12_GLOBAL__N_18offset_tEEE10hipError_tPvRmT1_PNSt15iterator_traitsISY_E10value_typeET2_T3_PNSZ_IS14_E10value_typeET4_jRbjT5_S1A_jjP12ihipStream_tbEUljE_EEESV_SW_SX_S14_S18_S1A_T6_T7_T9_mT8_S1C_bDpT10_ENKUlT_T0_E_clISt17integral_constantIbLb0EES1O_IbLb1EEEEDaS1K_S1L_EUlS1K_E_NS1_11comp_targetILNS1_3genE2ELNS1_11target_archE906ELNS1_3gpuE6ELNS1_3repE0EEENS1_30default_config_static_selectorELNS0_4arch9wavefront6targetE0EEEvSY_
                                        ; -- End function
	.set _ZN7rocprim17ROCPRIM_400000_NS6detail17trampoline_kernelINS0_13select_configILj256ELj13ELNS0_17block_load_methodE3ELS4_3ELS4_3ELNS0_20block_scan_algorithmE0ELj4294967295EEENS1_25partition_config_selectorILNS1_17partition_subalgoE3EjNS0_10empty_typeEbEEZZNS1_14partition_implILS8_3ELb0ES6_jNS0_17counting_iteratorIjlEEPS9_SE_NS0_5tupleIJPjSE_EEENSF_IJSE_SE_EEES9_SG_JZNS1_25segmented_radix_sort_implINS0_14default_configELb1EPKfPfPKlPlN2at6native12_GLOBAL__N_18offset_tEEE10hipError_tPvRmT1_PNSt15iterator_traitsISY_E10value_typeET2_T3_PNSZ_IS14_E10value_typeET4_jRbjT5_S1A_jjP12ihipStream_tbEUljE_EEESV_SW_SX_S14_S18_S1A_T6_T7_T9_mT8_S1C_bDpT10_ENKUlT_T0_E_clISt17integral_constantIbLb0EES1O_IbLb1EEEEDaS1K_S1L_EUlS1K_E_NS1_11comp_targetILNS1_3genE2ELNS1_11target_archE906ELNS1_3gpuE6ELNS1_3repE0EEENS1_30default_config_static_selectorELNS0_4arch9wavefront6targetE0EEEvSY_.num_vgpr, 0
	.set _ZN7rocprim17ROCPRIM_400000_NS6detail17trampoline_kernelINS0_13select_configILj256ELj13ELNS0_17block_load_methodE3ELS4_3ELS4_3ELNS0_20block_scan_algorithmE0ELj4294967295EEENS1_25partition_config_selectorILNS1_17partition_subalgoE3EjNS0_10empty_typeEbEEZZNS1_14partition_implILS8_3ELb0ES6_jNS0_17counting_iteratorIjlEEPS9_SE_NS0_5tupleIJPjSE_EEENSF_IJSE_SE_EEES9_SG_JZNS1_25segmented_radix_sort_implINS0_14default_configELb1EPKfPfPKlPlN2at6native12_GLOBAL__N_18offset_tEEE10hipError_tPvRmT1_PNSt15iterator_traitsISY_E10value_typeET2_T3_PNSZ_IS14_E10value_typeET4_jRbjT5_S1A_jjP12ihipStream_tbEUljE_EEESV_SW_SX_S14_S18_S1A_T6_T7_T9_mT8_S1C_bDpT10_ENKUlT_T0_E_clISt17integral_constantIbLb0EES1O_IbLb1EEEEDaS1K_S1L_EUlS1K_E_NS1_11comp_targetILNS1_3genE2ELNS1_11target_archE906ELNS1_3gpuE6ELNS1_3repE0EEENS1_30default_config_static_selectorELNS0_4arch9wavefront6targetE0EEEvSY_.num_agpr, 0
	.set _ZN7rocprim17ROCPRIM_400000_NS6detail17trampoline_kernelINS0_13select_configILj256ELj13ELNS0_17block_load_methodE3ELS4_3ELS4_3ELNS0_20block_scan_algorithmE0ELj4294967295EEENS1_25partition_config_selectorILNS1_17partition_subalgoE3EjNS0_10empty_typeEbEEZZNS1_14partition_implILS8_3ELb0ES6_jNS0_17counting_iteratorIjlEEPS9_SE_NS0_5tupleIJPjSE_EEENSF_IJSE_SE_EEES9_SG_JZNS1_25segmented_radix_sort_implINS0_14default_configELb1EPKfPfPKlPlN2at6native12_GLOBAL__N_18offset_tEEE10hipError_tPvRmT1_PNSt15iterator_traitsISY_E10value_typeET2_T3_PNSZ_IS14_E10value_typeET4_jRbjT5_S1A_jjP12ihipStream_tbEUljE_EEESV_SW_SX_S14_S18_S1A_T6_T7_T9_mT8_S1C_bDpT10_ENKUlT_T0_E_clISt17integral_constantIbLb0EES1O_IbLb1EEEEDaS1K_S1L_EUlS1K_E_NS1_11comp_targetILNS1_3genE2ELNS1_11target_archE906ELNS1_3gpuE6ELNS1_3repE0EEENS1_30default_config_static_selectorELNS0_4arch9wavefront6targetE0EEEvSY_.numbered_sgpr, 0
	.set _ZN7rocprim17ROCPRIM_400000_NS6detail17trampoline_kernelINS0_13select_configILj256ELj13ELNS0_17block_load_methodE3ELS4_3ELS4_3ELNS0_20block_scan_algorithmE0ELj4294967295EEENS1_25partition_config_selectorILNS1_17partition_subalgoE3EjNS0_10empty_typeEbEEZZNS1_14partition_implILS8_3ELb0ES6_jNS0_17counting_iteratorIjlEEPS9_SE_NS0_5tupleIJPjSE_EEENSF_IJSE_SE_EEES9_SG_JZNS1_25segmented_radix_sort_implINS0_14default_configELb1EPKfPfPKlPlN2at6native12_GLOBAL__N_18offset_tEEE10hipError_tPvRmT1_PNSt15iterator_traitsISY_E10value_typeET2_T3_PNSZ_IS14_E10value_typeET4_jRbjT5_S1A_jjP12ihipStream_tbEUljE_EEESV_SW_SX_S14_S18_S1A_T6_T7_T9_mT8_S1C_bDpT10_ENKUlT_T0_E_clISt17integral_constantIbLb0EES1O_IbLb1EEEEDaS1K_S1L_EUlS1K_E_NS1_11comp_targetILNS1_3genE2ELNS1_11target_archE906ELNS1_3gpuE6ELNS1_3repE0EEENS1_30default_config_static_selectorELNS0_4arch9wavefront6targetE0EEEvSY_.num_named_barrier, 0
	.set _ZN7rocprim17ROCPRIM_400000_NS6detail17trampoline_kernelINS0_13select_configILj256ELj13ELNS0_17block_load_methodE3ELS4_3ELS4_3ELNS0_20block_scan_algorithmE0ELj4294967295EEENS1_25partition_config_selectorILNS1_17partition_subalgoE3EjNS0_10empty_typeEbEEZZNS1_14partition_implILS8_3ELb0ES6_jNS0_17counting_iteratorIjlEEPS9_SE_NS0_5tupleIJPjSE_EEENSF_IJSE_SE_EEES9_SG_JZNS1_25segmented_radix_sort_implINS0_14default_configELb1EPKfPfPKlPlN2at6native12_GLOBAL__N_18offset_tEEE10hipError_tPvRmT1_PNSt15iterator_traitsISY_E10value_typeET2_T3_PNSZ_IS14_E10value_typeET4_jRbjT5_S1A_jjP12ihipStream_tbEUljE_EEESV_SW_SX_S14_S18_S1A_T6_T7_T9_mT8_S1C_bDpT10_ENKUlT_T0_E_clISt17integral_constantIbLb0EES1O_IbLb1EEEEDaS1K_S1L_EUlS1K_E_NS1_11comp_targetILNS1_3genE2ELNS1_11target_archE906ELNS1_3gpuE6ELNS1_3repE0EEENS1_30default_config_static_selectorELNS0_4arch9wavefront6targetE0EEEvSY_.private_seg_size, 0
	.set _ZN7rocprim17ROCPRIM_400000_NS6detail17trampoline_kernelINS0_13select_configILj256ELj13ELNS0_17block_load_methodE3ELS4_3ELS4_3ELNS0_20block_scan_algorithmE0ELj4294967295EEENS1_25partition_config_selectorILNS1_17partition_subalgoE3EjNS0_10empty_typeEbEEZZNS1_14partition_implILS8_3ELb0ES6_jNS0_17counting_iteratorIjlEEPS9_SE_NS0_5tupleIJPjSE_EEENSF_IJSE_SE_EEES9_SG_JZNS1_25segmented_radix_sort_implINS0_14default_configELb1EPKfPfPKlPlN2at6native12_GLOBAL__N_18offset_tEEE10hipError_tPvRmT1_PNSt15iterator_traitsISY_E10value_typeET2_T3_PNSZ_IS14_E10value_typeET4_jRbjT5_S1A_jjP12ihipStream_tbEUljE_EEESV_SW_SX_S14_S18_S1A_T6_T7_T9_mT8_S1C_bDpT10_ENKUlT_T0_E_clISt17integral_constantIbLb0EES1O_IbLb1EEEEDaS1K_S1L_EUlS1K_E_NS1_11comp_targetILNS1_3genE2ELNS1_11target_archE906ELNS1_3gpuE6ELNS1_3repE0EEENS1_30default_config_static_selectorELNS0_4arch9wavefront6targetE0EEEvSY_.uses_vcc, 0
	.set _ZN7rocprim17ROCPRIM_400000_NS6detail17trampoline_kernelINS0_13select_configILj256ELj13ELNS0_17block_load_methodE3ELS4_3ELS4_3ELNS0_20block_scan_algorithmE0ELj4294967295EEENS1_25partition_config_selectorILNS1_17partition_subalgoE3EjNS0_10empty_typeEbEEZZNS1_14partition_implILS8_3ELb0ES6_jNS0_17counting_iteratorIjlEEPS9_SE_NS0_5tupleIJPjSE_EEENSF_IJSE_SE_EEES9_SG_JZNS1_25segmented_radix_sort_implINS0_14default_configELb1EPKfPfPKlPlN2at6native12_GLOBAL__N_18offset_tEEE10hipError_tPvRmT1_PNSt15iterator_traitsISY_E10value_typeET2_T3_PNSZ_IS14_E10value_typeET4_jRbjT5_S1A_jjP12ihipStream_tbEUljE_EEESV_SW_SX_S14_S18_S1A_T6_T7_T9_mT8_S1C_bDpT10_ENKUlT_T0_E_clISt17integral_constantIbLb0EES1O_IbLb1EEEEDaS1K_S1L_EUlS1K_E_NS1_11comp_targetILNS1_3genE2ELNS1_11target_archE906ELNS1_3gpuE6ELNS1_3repE0EEENS1_30default_config_static_selectorELNS0_4arch9wavefront6targetE0EEEvSY_.uses_flat_scratch, 0
	.set _ZN7rocprim17ROCPRIM_400000_NS6detail17trampoline_kernelINS0_13select_configILj256ELj13ELNS0_17block_load_methodE3ELS4_3ELS4_3ELNS0_20block_scan_algorithmE0ELj4294967295EEENS1_25partition_config_selectorILNS1_17partition_subalgoE3EjNS0_10empty_typeEbEEZZNS1_14partition_implILS8_3ELb0ES6_jNS0_17counting_iteratorIjlEEPS9_SE_NS0_5tupleIJPjSE_EEENSF_IJSE_SE_EEES9_SG_JZNS1_25segmented_radix_sort_implINS0_14default_configELb1EPKfPfPKlPlN2at6native12_GLOBAL__N_18offset_tEEE10hipError_tPvRmT1_PNSt15iterator_traitsISY_E10value_typeET2_T3_PNSZ_IS14_E10value_typeET4_jRbjT5_S1A_jjP12ihipStream_tbEUljE_EEESV_SW_SX_S14_S18_S1A_T6_T7_T9_mT8_S1C_bDpT10_ENKUlT_T0_E_clISt17integral_constantIbLb0EES1O_IbLb1EEEEDaS1K_S1L_EUlS1K_E_NS1_11comp_targetILNS1_3genE2ELNS1_11target_archE906ELNS1_3gpuE6ELNS1_3repE0EEENS1_30default_config_static_selectorELNS0_4arch9wavefront6targetE0EEEvSY_.has_dyn_sized_stack, 0
	.set _ZN7rocprim17ROCPRIM_400000_NS6detail17trampoline_kernelINS0_13select_configILj256ELj13ELNS0_17block_load_methodE3ELS4_3ELS4_3ELNS0_20block_scan_algorithmE0ELj4294967295EEENS1_25partition_config_selectorILNS1_17partition_subalgoE3EjNS0_10empty_typeEbEEZZNS1_14partition_implILS8_3ELb0ES6_jNS0_17counting_iteratorIjlEEPS9_SE_NS0_5tupleIJPjSE_EEENSF_IJSE_SE_EEES9_SG_JZNS1_25segmented_radix_sort_implINS0_14default_configELb1EPKfPfPKlPlN2at6native12_GLOBAL__N_18offset_tEEE10hipError_tPvRmT1_PNSt15iterator_traitsISY_E10value_typeET2_T3_PNSZ_IS14_E10value_typeET4_jRbjT5_S1A_jjP12ihipStream_tbEUljE_EEESV_SW_SX_S14_S18_S1A_T6_T7_T9_mT8_S1C_bDpT10_ENKUlT_T0_E_clISt17integral_constantIbLb0EES1O_IbLb1EEEEDaS1K_S1L_EUlS1K_E_NS1_11comp_targetILNS1_3genE2ELNS1_11target_archE906ELNS1_3gpuE6ELNS1_3repE0EEENS1_30default_config_static_selectorELNS0_4arch9wavefront6targetE0EEEvSY_.has_recursion, 0
	.set _ZN7rocprim17ROCPRIM_400000_NS6detail17trampoline_kernelINS0_13select_configILj256ELj13ELNS0_17block_load_methodE3ELS4_3ELS4_3ELNS0_20block_scan_algorithmE0ELj4294967295EEENS1_25partition_config_selectorILNS1_17partition_subalgoE3EjNS0_10empty_typeEbEEZZNS1_14partition_implILS8_3ELb0ES6_jNS0_17counting_iteratorIjlEEPS9_SE_NS0_5tupleIJPjSE_EEENSF_IJSE_SE_EEES9_SG_JZNS1_25segmented_radix_sort_implINS0_14default_configELb1EPKfPfPKlPlN2at6native12_GLOBAL__N_18offset_tEEE10hipError_tPvRmT1_PNSt15iterator_traitsISY_E10value_typeET2_T3_PNSZ_IS14_E10value_typeET4_jRbjT5_S1A_jjP12ihipStream_tbEUljE_EEESV_SW_SX_S14_S18_S1A_T6_T7_T9_mT8_S1C_bDpT10_ENKUlT_T0_E_clISt17integral_constantIbLb0EES1O_IbLb1EEEEDaS1K_S1L_EUlS1K_E_NS1_11comp_targetILNS1_3genE2ELNS1_11target_archE906ELNS1_3gpuE6ELNS1_3repE0EEENS1_30default_config_static_selectorELNS0_4arch9wavefront6targetE0EEEvSY_.has_indirect_call, 0
	.section	.AMDGPU.csdata,"",@progbits
; Kernel info:
; codeLenInByte = 0
; TotalNumSgprs: 0
; NumVgprs: 0
; ScratchSize: 0
; MemoryBound: 0
; FloatMode: 240
; IeeeMode: 1
; LDSByteSize: 0 bytes/workgroup (compile time only)
; SGPRBlocks: 0
; VGPRBlocks: 0
; NumSGPRsForWavesPerEU: 1
; NumVGPRsForWavesPerEU: 1
; NamedBarCnt: 0
; Occupancy: 16
; WaveLimiterHint : 0
; COMPUTE_PGM_RSRC2:SCRATCH_EN: 0
; COMPUTE_PGM_RSRC2:USER_SGPR: 2
; COMPUTE_PGM_RSRC2:TRAP_HANDLER: 0
; COMPUTE_PGM_RSRC2:TGID_X_EN: 1
; COMPUTE_PGM_RSRC2:TGID_Y_EN: 0
; COMPUTE_PGM_RSRC2:TGID_Z_EN: 0
; COMPUTE_PGM_RSRC2:TIDIG_COMP_CNT: 0
	.section	.text._ZN7rocprim17ROCPRIM_400000_NS6detail17trampoline_kernelINS0_13select_configILj256ELj13ELNS0_17block_load_methodE3ELS4_3ELS4_3ELNS0_20block_scan_algorithmE0ELj4294967295EEENS1_25partition_config_selectorILNS1_17partition_subalgoE3EjNS0_10empty_typeEbEEZZNS1_14partition_implILS8_3ELb0ES6_jNS0_17counting_iteratorIjlEEPS9_SE_NS0_5tupleIJPjSE_EEENSF_IJSE_SE_EEES9_SG_JZNS1_25segmented_radix_sort_implINS0_14default_configELb1EPKfPfPKlPlN2at6native12_GLOBAL__N_18offset_tEEE10hipError_tPvRmT1_PNSt15iterator_traitsISY_E10value_typeET2_T3_PNSZ_IS14_E10value_typeET4_jRbjT5_S1A_jjP12ihipStream_tbEUljE_EEESV_SW_SX_S14_S18_S1A_T6_T7_T9_mT8_S1C_bDpT10_ENKUlT_T0_E_clISt17integral_constantIbLb0EES1O_IbLb1EEEEDaS1K_S1L_EUlS1K_E_NS1_11comp_targetILNS1_3genE10ELNS1_11target_archE1200ELNS1_3gpuE4ELNS1_3repE0EEENS1_30default_config_static_selectorELNS0_4arch9wavefront6targetE0EEEvSY_,"axG",@progbits,_ZN7rocprim17ROCPRIM_400000_NS6detail17trampoline_kernelINS0_13select_configILj256ELj13ELNS0_17block_load_methodE3ELS4_3ELS4_3ELNS0_20block_scan_algorithmE0ELj4294967295EEENS1_25partition_config_selectorILNS1_17partition_subalgoE3EjNS0_10empty_typeEbEEZZNS1_14partition_implILS8_3ELb0ES6_jNS0_17counting_iteratorIjlEEPS9_SE_NS0_5tupleIJPjSE_EEENSF_IJSE_SE_EEES9_SG_JZNS1_25segmented_radix_sort_implINS0_14default_configELb1EPKfPfPKlPlN2at6native12_GLOBAL__N_18offset_tEEE10hipError_tPvRmT1_PNSt15iterator_traitsISY_E10value_typeET2_T3_PNSZ_IS14_E10value_typeET4_jRbjT5_S1A_jjP12ihipStream_tbEUljE_EEESV_SW_SX_S14_S18_S1A_T6_T7_T9_mT8_S1C_bDpT10_ENKUlT_T0_E_clISt17integral_constantIbLb0EES1O_IbLb1EEEEDaS1K_S1L_EUlS1K_E_NS1_11comp_targetILNS1_3genE10ELNS1_11target_archE1200ELNS1_3gpuE4ELNS1_3repE0EEENS1_30default_config_static_selectorELNS0_4arch9wavefront6targetE0EEEvSY_,comdat
	.globl	_ZN7rocprim17ROCPRIM_400000_NS6detail17trampoline_kernelINS0_13select_configILj256ELj13ELNS0_17block_load_methodE3ELS4_3ELS4_3ELNS0_20block_scan_algorithmE0ELj4294967295EEENS1_25partition_config_selectorILNS1_17partition_subalgoE3EjNS0_10empty_typeEbEEZZNS1_14partition_implILS8_3ELb0ES6_jNS0_17counting_iteratorIjlEEPS9_SE_NS0_5tupleIJPjSE_EEENSF_IJSE_SE_EEES9_SG_JZNS1_25segmented_radix_sort_implINS0_14default_configELb1EPKfPfPKlPlN2at6native12_GLOBAL__N_18offset_tEEE10hipError_tPvRmT1_PNSt15iterator_traitsISY_E10value_typeET2_T3_PNSZ_IS14_E10value_typeET4_jRbjT5_S1A_jjP12ihipStream_tbEUljE_EEESV_SW_SX_S14_S18_S1A_T6_T7_T9_mT8_S1C_bDpT10_ENKUlT_T0_E_clISt17integral_constantIbLb0EES1O_IbLb1EEEEDaS1K_S1L_EUlS1K_E_NS1_11comp_targetILNS1_3genE10ELNS1_11target_archE1200ELNS1_3gpuE4ELNS1_3repE0EEENS1_30default_config_static_selectorELNS0_4arch9wavefront6targetE0EEEvSY_ ; -- Begin function _ZN7rocprim17ROCPRIM_400000_NS6detail17trampoline_kernelINS0_13select_configILj256ELj13ELNS0_17block_load_methodE3ELS4_3ELS4_3ELNS0_20block_scan_algorithmE0ELj4294967295EEENS1_25partition_config_selectorILNS1_17partition_subalgoE3EjNS0_10empty_typeEbEEZZNS1_14partition_implILS8_3ELb0ES6_jNS0_17counting_iteratorIjlEEPS9_SE_NS0_5tupleIJPjSE_EEENSF_IJSE_SE_EEES9_SG_JZNS1_25segmented_radix_sort_implINS0_14default_configELb1EPKfPfPKlPlN2at6native12_GLOBAL__N_18offset_tEEE10hipError_tPvRmT1_PNSt15iterator_traitsISY_E10value_typeET2_T3_PNSZ_IS14_E10value_typeET4_jRbjT5_S1A_jjP12ihipStream_tbEUljE_EEESV_SW_SX_S14_S18_S1A_T6_T7_T9_mT8_S1C_bDpT10_ENKUlT_T0_E_clISt17integral_constantIbLb0EES1O_IbLb1EEEEDaS1K_S1L_EUlS1K_E_NS1_11comp_targetILNS1_3genE10ELNS1_11target_archE1200ELNS1_3gpuE4ELNS1_3repE0EEENS1_30default_config_static_selectorELNS0_4arch9wavefront6targetE0EEEvSY_
	.p2align	8
	.type	_ZN7rocprim17ROCPRIM_400000_NS6detail17trampoline_kernelINS0_13select_configILj256ELj13ELNS0_17block_load_methodE3ELS4_3ELS4_3ELNS0_20block_scan_algorithmE0ELj4294967295EEENS1_25partition_config_selectorILNS1_17partition_subalgoE3EjNS0_10empty_typeEbEEZZNS1_14partition_implILS8_3ELb0ES6_jNS0_17counting_iteratorIjlEEPS9_SE_NS0_5tupleIJPjSE_EEENSF_IJSE_SE_EEES9_SG_JZNS1_25segmented_radix_sort_implINS0_14default_configELb1EPKfPfPKlPlN2at6native12_GLOBAL__N_18offset_tEEE10hipError_tPvRmT1_PNSt15iterator_traitsISY_E10value_typeET2_T3_PNSZ_IS14_E10value_typeET4_jRbjT5_S1A_jjP12ihipStream_tbEUljE_EEESV_SW_SX_S14_S18_S1A_T6_T7_T9_mT8_S1C_bDpT10_ENKUlT_T0_E_clISt17integral_constantIbLb0EES1O_IbLb1EEEEDaS1K_S1L_EUlS1K_E_NS1_11comp_targetILNS1_3genE10ELNS1_11target_archE1200ELNS1_3gpuE4ELNS1_3repE0EEENS1_30default_config_static_selectorELNS0_4arch9wavefront6targetE0EEEvSY_,@function
_ZN7rocprim17ROCPRIM_400000_NS6detail17trampoline_kernelINS0_13select_configILj256ELj13ELNS0_17block_load_methodE3ELS4_3ELS4_3ELNS0_20block_scan_algorithmE0ELj4294967295EEENS1_25partition_config_selectorILNS1_17partition_subalgoE3EjNS0_10empty_typeEbEEZZNS1_14partition_implILS8_3ELb0ES6_jNS0_17counting_iteratorIjlEEPS9_SE_NS0_5tupleIJPjSE_EEENSF_IJSE_SE_EEES9_SG_JZNS1_25segmented_radix_sort_implINS0_14default_configELb1EPKfPfPKlPlN2at6native12_GLOBAL__N_18offset_tEEE10hipError_tPvRmT1_PNSt15iterator_traitsISY_E10value_typeET2_T3_PNSZ_IS14_E10value_typeET4_jRbjT5_S1A_jjP12ihipStream_tbEUljE_EEESV_SW_SX_S14_S18_S1A_T6_T7_T9_mT8_S1C_bDpT10_ENKUlT_T0_E_clISt17integral_constantIbLb0EES1O_IbLb1EEEEDaS1K_S1L_EUlS1K_E_NS1_11comp_targetILNS1_3genE10ELNS1_11target_archE1200ELNS1_3gpuE4ELNS1_3repE0EEENS1_30default_config_static_selectorELNS0_4arch9wavefront6targetE0EEEvSY_: ; @_ZN7rocprim17ROCPRIM_400000_NS6detail17trampoline_kernelINS0_13select_configILj256ELj13ELNS0_17block_load_methodE3ELS4_3ELS4_3ELNS0_20block_scan_algorithmE0ELj4294967295EEENS1_25partition_config_selectorILNS1_17partition_subalgoE3EjNS0_10empty_typeEbEEZZNS1_14partition_implILS8_3ELb0ES6_jNS0_17counting_iteratorIjlEEPS9_SE_NS0_5tupleIJPjSE_EEENSF_IJSE_SE_EEES9_SG_JZNS1_25segmented_radix_sort_implINS0_14default_configELb1EPKfPfPKlPlN2at6native12_GLOBAL__N_18offset_tEEE10hipError_tPvRmT1_PNSt15iterator_traitsISY_E10value_typeET2_T3_PNSZ_IS14_E10value_typeET4_jRbjT5_S1A_jjP12ihipStream_tbEUljE_EEESV_SW_SX_S14_S18_S1A_T6_T7_T9_mT8_S1C_bDpT10_ENKUlT_T0_E_clISt17integral_constantIbLb0EES1O_IbLb1EEEEDaS1K_S1L_EUlS1K_E_NS1_11comp_targetILNS1_3genE10ELNS1_11target_archE1200ELNS1_3gpuE4ELNS1_3repE0EEENS1_30default_config_static_selectorELNS0_4arch9wavefront6targetE0EEEvSY_
; %bb.0:
	.section	.rodata,"a",@progbits
	.p2align	6, 0x0
	.amdhsa_kernel _ZN7rocprim17ROCPRIM_400000_NS6detail17trampoline_kernelINS0_13select_configILj256ELj13ELNS0_17block_load_methodE3ELS4_3ELS4_3ELNS0_20block_scan_algorithmE0ELj4294967295EEENS1_25partition_config_selectorILNS1_17partition_subalgoE3EjNS0_10empty_typeEbEEZZNS1_14partition_implILS8_3ELb0ES6_jNS0_17counting_iteratorIjlEEPS9_SE_NS0_5tupleIJPjSE_EEENSF_IJSE_SE_EEES9_SG_JZNS1_25segmented_radix_sort_implINS0_14default_configELb1EPKfPfPKlPlN2at6native12_GLOBAL__N_18offset_tEEE10hipError_tPvRmT1_PNSt15iterator_traitsISY_E10value_typeET2_T3_PNSZ_IS14_E10value_typeET4_jRbjT5_S1A_jjP12ihipStream_tbEUljE_EEESV_SW_SX_S14_S18_S1A_T6_T7_T9_mT8_S1C_bDpT10_ENKUlT_T0_E_clISt17integral_constantIbLb0EES1O_IbLb1EEEEDaS1K_S1L_EUlS1K_E_NS1_11comp_targetILNS1_3genE10ELNS1_11target_archE1200ELNS1_3gpuE4ELNS1_3repE0EEENS1_30default_config_static_selectorELNS0_4arch9wavefront6targetE0EEEvSY_
		.amdhsa_group_segment_fixed_size 0
		.amdhsa_private_segment_fixed_size 0
		.amdhsa_kernarg_size 152
		.amdhsa_user_sgpr_count 2
		.amdhsa_user_sgpr_dispatch_ptr 0
		.amdhsa_user_sgpr_queue_ptr 0
		.amdhsa_user_sgpr_kernarg_segment_ptr 1
		.amdhsa_user_sgpr_dispatch_id 0
		.amdhsa_user_sgpr_kernarg_preload_length 0
		.amdhsa_user_sgpr_kernarg_preload_offset 0
		.amdhsa_user_sgpr_private_segment_size 0
		.amdhsa_wavefront_size32 1
		.amdhsa_uses_dynamic_stack 0
		.amdhsa_enable_private_segment 0
		.amdhsa_system_sgpr_workgroup_id_x 1
		.amdhsa_system_sgpr_workgroup_id_y 0
		.amdhsa_system_sgpr_workgroup_id_z 0
		.amdhsa_system_sgpr_workgroup_info 0
		.amdhsa_system_vgpr_workitem_id 0
		.amdhsa_next_free_vgpr 1
		.amdhsa_next_free_sgpr 1
		.amdhsa_named_barrier_count 0
		.amdhsa_reserve_vcc 0
		.amdhsa_float_round_mode_32 0
		.amdhsa_float_round_mode_16_64 0
		.amdhsa_float_denorm_mode_32 3
		.amdhsa_float_denorm_mode_16_64 3
		.amdhsa_fp16_overflow 0
		.amdhsa_memory_ordered 1
		.amdhsa_forward_progress 1
		.amdhsa_inst_pref_size 0
		.amdhsa_round_robin_scheduling 0
		.amdhsa_exception_fp_ieee_invalid_op 0
		.amdhsa_exception_fp_denorm_src 0
		.amdhsa_exception_fp_ieee_div_zero 0
		.amdhsa_exception_fp_ieee_overflow 0
		.amdhsa_exception_fp_ieee_underflow 0
		.amdhsa_exception_fp_ieee_inexact 0
		.amdhsa_exception_int_div_zero 0
	.end_amdhsa_kernel
	.section	.text._ZN7rocprim17ROCPRIM_400000_NS6detail17trampoline_kernelINS0_13select_configILj256ELj13ELNS0_17block_load_methodE3ELS4_3ELS4_3ELNS0_20block_scan_algorithmE0ELj4294967295EEENS1_25partition_config_selectorILNS1_17partition_subalgoE3EjNS0_10empty_typeEbEEZZNS1_14partition_implILS8_3ELb0ES6_jNS0_17counting_iteratorIjlEEPS9_SE_NS0_5tupleIJPjSE_EEENSF_IJSE_SE_EEES9_SG_JZNS1_25segmented_radix_sort_implINS0_14default_configELb1EPKfPfPKlPlN2at6native12_GLOBAL__N_18offset_tEEE10hipError_tPvRmT1_PNSt15iterator_traitsISY_E10value_typeET2_T3_PNSZ_IS14_E10value_typeET4_jRbjT5_S1A_jjP12ihipStream_tbEUljE_EEESV_SW_SX_S14_S18_S1A_T6_T7_T9_mT8_S1C_bDpT10_ENKUlT_T0_E_clISt17integral_constantIbLb0EES1O_IbLb1EEEEDaS1K_S1L_EUlS1K_E_NS1_11comp_targetILNS1_3genE10ELNS1_11target_archE1200ELNS1_3gpuE4ELNS1_3repE0EEENS1_30default_config_static_selectorELNS0_4arch9wavefront6targetE0EEEvSY_,"axG",@progbits,_ZN7rocprim17ROCPRIM_400000_NS6detail17trampoline_kernelINS0_13select_configILj256ELj13ELNS0_17block_load_methodE3ELS4_3ELS4_3ELNS0_20block_scan_algorithmE0ELj4294967295EEENS1_25partition_config_selectorILNS1_17partition_subalgoE3EjNS0_10empty_typeEbEEZZNS1_14partition_implILS8_3ELb0ES6_jNS0_17counting_iteratorIjlEEPS9_SE_NS0_5tupleIJPjSE_EEENSF_IJSE_SE_EEES9_SG_JZNS1_25segmented_radix_sort_implINS0_14default_configELb1EPKfPfPKlPlN2at6native12_GLOBAL__N_18offset_tEEE10hipError_tPvRmT1_PNSt15iterator_traitsISY_E10value_typeET2_T3_PNSZ_IS14_E10value_typeET4_jRbjT5_S1A_jjP12ihipStream_tbEUljE_EEESV_SW_SX_S14_S18_S1A_T6_T7_T9_mT8_S1C_bDpT10_ENKUlT_T0_E_clISt17integral_constantIbLb0EES1O_IbLb1EEEEDaS1K_S1L_EUlS1K_E_NS1_11comp_targetILNS1_3genE10ELNS1_11target_archE1200ELNS1_3gpuE4ELNS1_3repE0EEENS1_30default_config_static_selectorELNS0_4arch9wavefront6targetE0EEEvSY_,comdat
.Lfunc_end1316:
	.size	_ZN7rocprim17ROCPRIM_400000_NS6detail17trampoline_kernelINS0_13select_configILj256ELj13ELNS0_17block_load_methodE3ELS4_3ELS4_3ELNS0_20block_scan_algorithmE0ELj4294967295EEENS1_25partition_config_selectorILNS1_17partition_subalgoE3EjNS0_10empty_typeEbEEZZNS1_14partition_implILS8_3ELb0ES6_jNS0_17counting_iteratorIjlEEPS9_SE_NS0_5tupleIJPjSE_EEENSF_IJSE_SE_EEES9_SG_JZNS1_25segmented_radix_sort_implINS0_14default_configELb1EPKfPfPKlPlN2at6native12_GLOBAL__N_18offset_tEEE10hipError_tPvRmT1_PNSt15iterator_traitsISY_E10value_typeET2_T3_PNSZ_IS14_E10value_typeET4_jRbjT5_S1A_jjP12ihipStream_tbEUljE_EEESV_SW_SX_S14_S18_S1A_T6_T7_T9_mT8_S1C_bDpT10_ENKUlT_T0_E_clISt17integral_constantIbLb0EES1O_IbLb1EEEEDaS1K_S1L_EUlS1K_E_NS1_11comp_targetILNS1_3genE10ELNS1_11target_archE1200ELNS1_3gpuE4ELNS1_3repE0EEENS1_30default_config_static_selectorELNS0_4arch9wavefront6targetE0EEEvSY_, .Lfunc_end1316-_ZN7rocprim17ROCPRIM_400000_NS6detail17trampoline_kernelINS0_13select_configILj256ELj13ELNS0_17block_load_methodE3ELS4_3ELS4_3ELNS0_20block_scan_algorithmE0ELj4294967295EEENS1_25partition_config_selectorILNS1_17partition_subalgoE3EjNS0_10empty_typeEbEEZZNS1_14partition_implILS8_3ELb0ES6_jNS0_17counting_iteratorIjlEEPS9_SE_NS0_5tupleIJPjSE_EEENSF_IJSE_SE_EEES9_SG_JZNS1_25segmented_radix_sort_implINS0_14default_configELb1EPKfPfPKlPlN2at6native12_GLOBAL__N_18offset_tEEE10hipError_tPvRmT1_PNSt15iterator_traitsISY_E10value_typeET2_T3_PNSZ_IS14_E10value_typeET4_jRbjT5_S1A_jjP12ihipStream_tbEUljE_EEESV_SW_SX_S14_S18_S1A_T6_T7_T9_mT8_S1C_bDpT10_ENKUlT_T0_E_clISt17integral_constantIbLb0EES1O_IbLb1EEEEDaS1K_S1L_EUlS1K_E_NS1_11comp_targetILNS1_3genE10ELNS1_11target_archE1200ELNS1_3gpuE4ELNS1_3repE0EEENS1_30default_config_static_selectorELNS0_4arch9wavefront6targetE0EEEvSY_
                                        ; -- End function
	.set _ZN7rocprim17ROCPRIM_400000_NS6detail17trampoline_kernelINS0_13select_configILj256ELj13ELNS0_17block_load_methodE3ELS4_3ELS4_3ELNS0_20block_scan_algorithmE0ELj4294967295EEENS1_25partition_config_selectorILNS1_17partition_subalgoE3EjNS0_10empty_typeEbEEZZNS1_14partition_implILS8_3ELb0ES6_jNS0_17counting_iteratorIjlEEPS9_SE_NS0_5tupleIJPjSE_EEENSF_IJSE_SE_EEES9_SG_JZNS1_25segmented_radix_sort_implINS0_14default_configELb1EPKfPfPKlPlN2at6native12_GLOBAL__N_18offset_tEEE10hipError_tPvRmT1_PNSt15iterator_traitsISY_E10value_typeET2_T3_PNSZ_IS14_E10value_typeET4_jRbjT5_S1A_jjP12ihipStream_tbEUljE_EEESV_SW_SX_S14_S18_S1A_T6_T7_T9_mT8_S1C_bDpT10_ENKUlT_T0_E_clISt17integral_constantIbLb0EES1O_IbLb1EEEEDaS1K_S1L_EUlS1K_E_NS1_11comp_targetILNS1_3genE10ELNS1_11target_archE1200ELNS1_3gpuE4ELNS1_3repE0EEENS1_30default_config_static_selectorELNS0_4arch9wavefront6targetE0EEEvSY_.num_vgpr, 0
	.set _ZN7rocprim17ROCPRIM_400000_NS6detail17trampoline_kernelINS0_13select_configILj256ELj13ELNS0_17block_load_methodE3ELS4_3ELS4_3ELNS0_20block_scan_algorithmE0ELj4294967295EEENS1_25partition_config_selectorILNS1_17partition_subalgoE3EjNS0_10empty_typeEbEEZZNS1_14partition_implILS8_3ELb0ES6_jNS0_17counting_iteratorIjlEEPS9_SE_NS0_5tupleIJPjSE_EEENSF_IJSE_SE_EEES9_SG_JZNS1_25segmented_radix_sort_implINS0_14default_configELb1EPKfPfPKlPlN2at6native12_GLOBAL__N_18offset_tEEE10hipError_tPvRmT1_PNSt15iterator_traitsISY_E10value_typeET2_T3_PNSZ_IS14_E10value_typeET4_jRbjT5_S1A_jjP12ihipStream_tbEUljE_EEESV_SW_SX_S14_S18_S1A_T6_T7_T9_mT8_S1C_bDpT10_ENKUlT_T0_E_clISt17integral_constantIbLb0EES1O_IbLb1EEEEDaS1K_S1L_EUlS1K_E_NS1_11comp_targetILNS1_3genE10ELNS1_11target_archE1200ELNS1_3gpuE4ELNS1_3repE0EEENS1_30default_config_static_selectorELNS0_4arch9wavefront6targetE0EEEvSY_.num_agpr, 0
	.set _ZN7rocprim17ROCPRIM_400000_NS6detail17trampoline_kernelINS0_13select_configILj256ELj13ELNS0_17block_load_methodE3ELS4_3ELS4_3ELNS0_20block_scan_algorithmE0ELj4294967295EEENS1_25partition_config_selectorILNS1_17partition_subalgoE3EjNS0_10empty_typeEbEEZZNS1_14partition_implILS8_3ELb0ES6_jNS0_17counting_iteratorIjlEEPS9_SE_NS0_5tupleIJPjSE_EEENSF_IJSE_SE_EEES9_SG_JZNS1_25segmented_radix_sort_implINS0_14default_configELb1EPKfPfPKlPlN2at6native12_GLOBAL__N_18offset_tEEE10hipError_tPvRmT1_PNSt15iterator_traitsISY_E10value_typeET2_T3_PNSZ_IS14_E10value_typeET4_jRbjT5_S1A_jjP12ihipStream_tbEUljE_EEESV_SW_SX_S14_S18_S1A_T6_T7_T9_mT8_S1C_bDpT10_ENKUlT_T0_E_clISt17integral_constantIbLb0EES1O_IbLb1EEEEDaS1K_S1L_EUlS1K_E_NS1_11comp_targetILNS1_3genE10ELNS1_11target_archE1200ELNS1_3gpuE4ELNS1_3repE0EEENS1_30default_config_static_selectorELNS0_4arch9wavefront6targetE0EEEvSY_.numbered_sgpr, 0
	.set _ZN7rocprim17ROCPRIM_400000_NS6detail17trampoline_kernelINS0_13select_configILj256ELj13ELNS0_17block_load_methodE3ELS4_3ELS4_3ELNS0_20block_scan_algorithmE0ELj4294967295EEENS1_25partition_config_selectorILNS1_17partition_subalgoE3EjNS0_10empty_typeEbEEZZNS1_14partition_implILS8_3ELb0ES6_jNS0_17counting_iteratorIjlEEPS9_SE_NS0_5tupleIJPjSE_EEENSF_IJSE_SE_EEES9_SG_JZNS1_25segmented_radix_sort_implINS0_14default_configELb1EPKfPfPKlPlN2at6native12_GLOBAL__N_18offset_tEEE10hipError_tPvRmT1_PNSt15iterator_traitsISY_E10value_typeET2_T3_PNSZ_IS14_E10value_typeET4_jRbjT5_S1A_jjP12ihipStream_tbEUljE_EEESV_SW_SX_S14_S18_S1A_T6_T7_T9_mT8_S1C_bDpT10_ENKUlT_T0_E_clISt17integral_constantIbLb0EES1O_IbLb1EEEEDaS1K_S1L_EUlS1K_E_NS1_11comp_targetILNS1_3genE10ELNS1_11target_archE1200ELNS1_3gpuE4ELNS1_3repE0EEENS1_30default_config_static_selectorELNS0_4arch9wavefront6targetE0EEEvSY_.num_named_barrier, 0
	.set _ZN7rocprim17ROCPRIM_400000_NS6detail17trampoline_kernelINS0_13select_configILj256ELj13ELNS0_17block_load_methodE3ELS4_3ELS4_3ELNS0_20block_scan_algorithmE0ELj4294967295EEENS1_25partition_config_selectorILNS1_17partition_subalgoE3EjNS0_10empty_typeEbEEZZNS1_14partition_implILS8_3ELb0ES6_jNS0_17counting_iteratorIjlEEPS9_SE_NS0_5tupleIJPjSE_EEENSF_IJSE_SE_EEES9_SG_JZNS1_25segmented_radix_sort_implINS0_14default_configELb1EPKfPfPKlPlN2at6native12_GLOBAL__N_18offset_tEEE10hipError_tPvRmT1_PNSt15iterator_traitsISY_E10value_typeET2_T3_PNSZ_IS14_E10value_typeET4_jRbjT5_S1A_jjP12ihipStream_tbEUljE_EEESV_SW_SX_S14_S18_S1A_T6_T7_T9_mT8_S1C_bDpT10_ENKUlT_T0_E_clISt17integral_constantIbLb0EES1O_IbLb1EEEEDaS1K_S1L_EUlS1K_E_NS1_11comp_targetILNS1_3genE10ELNS1_11target_archE1200ELNS1_3gpuE4ELNS1_3repE0EEENS1_30default_config_static_selectorELNS0_4arch9wavefront6targetE0EEEvSY_.private_seg_size, 0
	.set _ZN7rocprim17ROCPRIM_400000_NS6detail17trampoline_kernelINS0_13select_configILj256ELj13ELNS0_17block_load_methodE3ELS4_3ELS4_3ELNS0_20block_scan_algorithmE0ELj4294967295EEENS1_25partition_config_selectorILNS1_17partition_subalgoE3EjNS0_10empty_typeEbEEZZNS1_14partition_implILS8_3ELb0ES6_jNS0_17counting_iteratorIjlEEPS9_SE_NS0_5tupleIJPjSE_EEENSF_IJSE_SE_EEES9_SG_JZNS1_25segmented_radix_sort_implINS0_14default_configELb1EPKfPfPKlPlN2at6native12_GLOBAL__N_18offset_tEEE10hipError_tPvRmT1_PNSt15iterator_traitsISY_E10value_typeET2_T3_PNSZ_IS14_E10value_typeET4_jRbjT5_S1A_jjP12ihipStream_tbEUljE_EEESV_SW_SX_S14_S18_S1A_T6_T7_T9_mT8_S1C_bDpT10_ENKUlT_T0_E_clISt17integral_constantIbLb0EES1O_IbLb1EEEEDaS1K_S1L_EUlS1K_E_NS1_11comp_targetILNS1_3genE10ELNS1_11target_archE1200ELNS1_3gpuE4ELNS1_3repE0EEENS1_30default_config_static_selectorELNS0_4arch9wavefront6targetE0EEEvSY_.uses_vcc, 0
	.set _ZN7rocprim17ROCPRIM_400000_NS6detail17trampoline_kernelINS0_13select_configILj256ELj13ELNS0_17block_load_methodE3ELS4_3ELS4_3ELNS0_20block_scan_algorithmE0ELj4294967295EEENS1_25partition_config_selectorILNS1_17partition_subalgoE3EjNS0_10empty_typeEbEEZZNS1_14partition_implILS8_3ELb0ES6_jNS0_17counting_iteratorIjlEEPS9_SE_NS0_5tupleIJPjSE_EEENSF_IJSE_SE_EEES9_SG_JZNS1_25segmented_radix_sort_implINS0_14default_configELb1EPKfPfPKlPlN2at6native12_GLOBAL__N_18offset_tEEE10hipError_tPvRmT1_PNSt15iterator_traitsISY_E10value_typeET2_T3_PNSZ_IS14_E10value_typeET4_jRbjT5_S1A_jjP12ihipStream_tbEUljE_EEESV_SW_SX_S14_S18_S1A_T6_T7_T9_mT8_S1C_bDpT10_ENKUlT_T0_E_clISt17integral_constantIbLb0EES1O_IbLb1EEEEDaS1K_S1L_EUlS1K_E_NS1_11comp_targetILNS1_3genE10ELNS1_11target_archE1200ELNS1_3gpuE4ELNS1_3repE0EEENS1_30default_config_static_selectorELNS0_4arch9wavefront6targetE0EEEvSY_.uses_flat_scratch, 0
	.set _ZN7rocprim17ROCPRIM_400000_NS6detail17trampoline_kernelINS0_13select_configILj256ELj13ELNS0_17block_load_methodE3ELS4_3ELS4_3ELNS0_20block_scan_algorithmE0ELj4294967295EEENS1_25partition_config_selectorILNS1_17partition_subalgoE3EjNS0_10empty_typeEbEEZZNS1_14partition_implILS8_3ELb0ES6_jNS0_17counting_iteratorIjlEEPS9_SE_NS0_5tupleIJPjSE_EEENSF_IJSE_SE_EEES9_SG_JZNS1_25segmented_radix_sort_implINS0_14default_configELb1EPKfPfPKlPlN2at6native12_GLOBAL__N_18offset_tEEE10hipError_tPvRmT1_PNSt15iterator_traitsISY_E10value_typeET2_T3_PNSZ_IS14_E10value_typeET4_jRbjT5_S1A_jjP12ihipStream_tbEUljE_EEESV_SW_SX_S14_S18_S1A_T6_T7_T9_mT8_S1C_bDpT10_ENKUlT_T0_E_clISt17integral_constantIbLb0EES1O_IbLb1EEEEDaS1K_S1L_EUlS1K_E_NS1_11comp_targetILNS1_3genE10ELNS1_11target_archE1200ELNS1_3gpuE4ELNS1_3repE0EEENS1_30default_config_static_selectorELNS0_4arch9wavefront6targetE0EEEvSY_.has_dyn_sized_stack, 0
	.set _ZN7rocprim17ROCPRIM_400000_NS6detail17trampoline_kernelINS0_13select_configILj256ELj13ELNS0_17block_load_methodE3ELS4_3ELS4_3ELNS0_20block_scan_algorithmE0ELj4294967295EEENS1_25partition_config_selectorILNS1_17partition_subalgoE3EjNS0_10empty_typeEbEEZZNS1_14partition_implILS8_3ELb0ES6_jNS0_17counting_iteratorIjlEEPS9_SE_NS0_5tupleIJPjSE_EEENSF_IJSE_SE_EEES9_SG_JZNS1_25segmented_radix_sort_implINS0_14default_configELb1EPKfPfPKlPlN2at6native12_GLOBAL__N_18offset_tEEE10hipError_tPvRmT1_PNSt15iterator_traitsISY_E10value_typeET2_T3_PNSZ_IS14_E10value_typeET4_jRbjT5_S1A_jjP12ihipStream_tbEUljE_EEESV_SW_SX_S14_S18_S1A_T6_T7_T9_mT8_S1C_bDpT10_ENKUlT_T0_E_clISt17integral_constantIbLb0EES1O_IbLb1EEEEDaS1K_S1L_EUlS1K_E_NS1_11comp_targetILNS1_3genE10ELNS1_11target_archE1200ELNS1_3gpuE4ELNS1_3repE0EEENS1_30default_config_static_selectorELNS0_4arch9wavefront6targetE0EEEvSY_.has_recursion, 0
	.set _ZN7rocprim17ROCPRIM_400000_NS6detail17trampoline_kernelINS0_13select_configILj256ELj13ELNS0_17block_load_methodE3ELS4_3ELS4_3ELNS0_20block_scan_algorithmE0ELj4294967295EEENS1_25partition_config_selectorILNS1_17partition_subalgoE3EjNS0_10empty_typeEbEEZZNS1_14partition_implILS8_3ELb0ES6_jNS0_17counting_iteratorIjlEEPS9_SE_NS0_5tupleIJPjSE_EEENSF_IJSE_SE_EEES9_SG_JZNS1_25segmented_radix_sort_implINS0_14default_configELb1EPKfPfPKlPlN2at6native12_GLOBAL__N_18offset_tEEE10hipError_tPvRmT1_PNSt15iterator_traitsISY_E10value_typeET2_T3_PNSZ_IS14_E10value_typeET4_jRbjT5_S1A_jjP12ihipStream_tbEUljE_EEESV_SW_SX_S14_S18_S1A_T6_T7_T9_mT8_S1C_bDpT10_ENKUlT_T0_E_clISt17integral_constantIbLb0EES1O_IbLb1EEEEDaS1K_S1L_EUlS1K_E_NS1_11comp_targetILNS1_3genE10ELNS1_11target_archE1200ELNS1_3gpuE4ELNS1_3repE0EEENS1_30default_config_static_selectorELNS0_4arch9wavefront6targetE0EEEvSY_.has_indirect_call, 0
	.section	.AMDGPU.csdata,"",@progbits
; Kernel info:
; codeLenInByte = 0
; TotalNumSgprs: 0
; NumVgprs: 0
; ScratchSize: 0
; MemoryBound: 0
; FloatMode: 240
; IeeeMode: 1
; LDSByteSize: 0 bytes/workgroup (compile time only)
; SGPRBlocks: 0
; VGPRBlocks: 0
; NumSGPRsForWavesPerEU: 1
; NumVGPRsForWavesPerEU: 1
; NamedBarCnt: 0
; Occupancy: 16
; WaveLimiterHint : 0
; COMPUTE_PGM_RSRC2:SCRATCH_EN: 0
; COMPUTE_PGM_RSRC2:USER_SGPR: 2
; COMPUTE_PGM_RSRC2:TRAP_HANDLER: 0
; COMPUTE_PGM_RSRC2:TGID_X_EN: 1
; COMPUTE_PGM_RSRC2:TGID_Y_EN: 0
; COMPUTE_PGM_RSRC2:TGID_Z_EN: 0
; COMPUTE_PGM_RSRC2:TIDIG_COMP_CNT: 0
	.section	.text._ZN7rocprim17ROCPRIM_400000_NS6detail17trampoline_kernelINS0_13select_configILj256ELj13ELNS0_17block_load_methodE3ELS4_3ELS4_3ELNS0_20block_scan_algorithmE0ELj4294967295EEENS1_25partition_config_selectorILNS1_17partition_subalgoE3EjNS0_10empty_typeEbEEZZNS1_14partition_implILS8_3ELb0ES6_jNS0_17counting_iteratorIjlEEPS9_SE_NS0_5tupleIJPjSE_EEENSF_IJSE_SE_EEES9_SG_JZNS1_25segmented_radix_sort_implINS0_14default_configELb1EPKfPfPKlPlN2at6native12_GLOBAL__N_18offset_tEEE10hipError_tPvRmT1_PNSt15iterator_traitsISY_E10value_typeET2_T3_PNSZ_IS14_E10value_typeET4_jRbjT5_S1A_jjP12ihipStream_tbEUljE_EEESV_SW_SX_S14_S18_S1A_T6_T7_T9_mT8_S1C_bDpT10_ENKUlT_T0_E_clISt17integral_constantIbLb0EES1O_IbLb1EEEEDaS1K_S1L_EUlS1K_E_NS1_11comp_targetILNS1_3genE9ELNS1_11target_archE1100ELNS1_3gpuE3ELNS1_3repE0EEENS1_30default_config_static_selectorELNS0_4arch9wavefront6targetE0EEEvSY_,"axG",@progbits,_ZN7rocprim17ROCPRIM_400000_NS6detail17trampoline_kernelINS0_13select_configILj256ELj13ELNS0_17block_load_methodE3ELS4_3ELS4_3ELNS0_20block_scan_algorithmE0ELj4294967295EEENS1_25partition_config_selectorILNS1_17partition_subalgoE3EjNS0_10empty_typeEbEEZZNS1_14partition_implILS8_3ELb0ES6_jNS0_17counting_iteratorIjlEEPS9_SE_NS0_5tupleIJPjSE_EEENSF_IJSE_SE_EEES9_SG_JZNS1_25segmented_radix_sort_implINS0_14default_configELb1EPKfPfPKlPlN2at6native12_GLOBAL__N_18offset_tEEE10hipError_tPvRmT1_PNSt15iterator_traitsISY_E10value_typeET2_T3_PNSZ_IS14_E10value_typeET4_jRbjT5_S1A_jjP12ihipStream_tbEUljE_EEESV_SW_SX_S14_S18_S1A_T6_T7_T9_mT8_S1C_bDpT10_ENKUlT_T0_E_clISt17integral_constantIbLb0EES1O_IbLb1EEEEDaS1K_S1L_EUlS1K_E_NS1_11comp_targetILNS1_3genE9ELNS1_11target_archE1100ELNS1_3gpuE3ELNS1_3repE0EEENS1_30default_config_static_selectorELNS0_4arch9wavefront6targetE0EEEvSY_,comdat
	.globl	_ZN7rocprim17ROCPRIM_400000_NS6detail17trampoline_kernelINS0_13select_configILj256ELj13ELNS0_17block_load_methodE3ELS4_3ELS4_3ELNS0_20block_scan_algorithmE0ELj4294967295EEENS1_25partition_config_selectorILNS1_17partition_subalgoE3EjNS0_10empty_typeEbEEZZNS1_14partition_implILS8_3ELb0ES6_jNS0_17counting_iteratorIjlEEPS9_SE_NS0_5tupleIJPjSE_EEENSF_IJSE_SE_EEES9_SG_JZNS1_25segmented_radix_sort_implINS0_14default_configELb1EPKfPfPKlPlN2at6native12_GLOBAL__N_18offset_tEEE10hipError_tPvRmT1_PNSt15iterator_traitsISY_E10value_typeET2_T3_PNSZ_IS14_E10value_typeET4_jRbjT5_S1A_jjP12ihipStream_tbEUljE_EEESV_SW_SX_S14_S18_S1A_T6_T7_T9_mT8_S1C_bDpT10_ENKUlT_T0_E_clISt17integral_constantIbLb0EES1O_IbLb1EEEEDaS1K_S1L_EUlS1K_E_NS1_11comp_targetILNS1_3genE9ELNS1_11target_archE1100ELNS1_3gpuE3ELNS1_3repE0EEENS1_30default_config_static_selectorELNS0_4arch9wavefront6targetE0EEEvSY_ ; -- Begin function _ZN7rocprim17ROCPRIM_400000_NS6detail17trampoline_kernelINS0_13select_configILj256ELj13ELNS0_17block_load_methodE3ELS4_3ELS4_3ELNS0_20block_scan_algorithmE0ELj4294967295EEENS1_25partition_config_selectorILNS1_17partition_subalgoE3EjNS0_10empty_typeEbEEZZNS1_14partition_implILS8_3ELb0ES6_jNS0_17counting_iteratorIjlEEPS9_SE_NS0_5tupleIJPjSE_EEENSF_IJSE_SE_EEES9_SG_JZNS1_25segmented_radix_sort_implINS0_14default_configELb1EPKfPfPKlPlN2at6native12_GLOBAL__N_18offset_tEEE10hipError_tPvRmT1_PNSt15iterator_traitsISY_E10value_typeET2_T3_PNSZ_IS14_E10value_typeET4_jRbjT5_S1A_jjP12ihipStream_tbEUljE_EEESV_SW_SX_S14_S18_S1A_T6_T7_T9_mT8_S1C_bDpT10_ENKUlT_T0_E_clISt17integral_constantIbLb0EES1O_IbLb1EEEEDaS1K_S1L_EUlS1K_E_NS1_11comp_targetILNS1_3genE9ELNS1_11target_archE1100ELNS1_3gpuE3ELNS1_3repE0EEENS1_30default_config_static_selectorELNS0_4arch9wavefront6targetE0EEEvSY_
	.p2align	8
	.type	_ZN7rocprim17ROCPRIM_400000_NS6detail17trampoline_kernelINS0_13select_configILj256ELj13ELNS0_17block_load_methodE3ELS4_3ELS4_3ELNS0_20block_scan_algorithmE0ELj4294967295EEENS1_25partition_config_selectorILNS1_17partition_subalgoE3EjNS0_10empty_typeEbEEZZNS1_14partition_implILS8_3ELb0ES6_jNS0_17counting_iteratorIjlEEPS9_SE_NS0_5tupleIJPjSE_EEENSF_IJSE_SE_EEES9_SG_JZNS1_25segmented_radix_sort_implINS0_14default_configELb1EPKfPfPKlPlN2at6native12_GLOBAL__N_18offset_tEEE10hipError_tPvRmT1_PNSt15iterator_traitsISY_E10value_typeET2_T3_PNSZ_IS14_E10value_typeET4_jRbjT5_S1A_jjP12ihipStream_tbEUljE_EEESV_SW_SX_S14_S18_S1A_T6_T7_T9_mT8_S1C_bDpT10_ENKUlT_T0_E_clISt17integral_constantIbLb0EES1O_IbLb1EEEEDaS1K_S1L_EUlS1K_E_NS1_11comp_targetILNS1_3genE9ELNS1_11target_archE1100ELNS1_3gpuE3ELNS1_3repE0EEENS1_30default_config_static_selectorELNS0_4arch9wavefront6targetE0EEEvSY_,@function
_ZN7rocprim17ROCPRIM_400000_NS6detail17trampoline_kernelINS0_13select_configILj256ELj13ELNS0_17block_load_methodE3ELS4_3ELS4_3ELNS0_20block_scan_algorithmE0ELj4294967295EEENS1_25partition_config_selectorILNS1_17partition_subalgoE3EjNS0_10empty_typeEbEEZZNS1_14partition_implILS8_3ELb0ES6_jNS0_17counting_iteratorIjlEEPS9_SE_NS0_5tupleIJPjSE_EEENSF_IJSE_SE_EEES9_SG_JZNS1_25segmented_radix_sort_implINS0_14default_configELb1EPKfPfPKlPlN2at6native12_GLOBAL__N_18offset_tEEE10hipError_tPvRmT1_PNSt15iterator_traitsISY_E10value_typeET2_T3_PNSZ_IS14_E10value_typeET4_jRbjT5_S1A_jjP12ihipStream_tbEUljE_EEESV_SW_SX_S14_S18_S1A_T6_T7_T9_mT8_S1C_bDpT10_ENKUlT_T0_E_clISt17integral_constantIbLb0EES1O_IbLb1EEEEDaS1K_S1L_EUlS1K_E_NS1_11comp_targetILNS1_3genE9ELNS1_11target_archE1100ELNS1_3gpuE3ELNS1_3repE0EEENS1_30default_config_static_selectorELNS0_4arch9wavefront6targetE0EEEvSY_: ; @_ZN7rocprim17ROCPRIM_400000_NS6detail17trampoline_kernelINS0_13select_configILj256ELj13ELNS0_17block_load_methodE3ELS4_3ELS4_3ELNS0_20block_scan_algorithmE0ELj4294967295EEENS1_25partition_config_selectorILNS1_17partition_subalgoE3EjNS0_10empty_typeEbEEZZNS1_14partition_implILS8_3ELb0ES6_jNS0_17counting_iteratorIjlEEPS9_SE_NS0_5tupleIJPjSE_EEENSF_IJSE_SE_EEES9_SG_JZNS1_25segmented_radix_sort_implINS0_14default_configELb1EPKfPfPKlPlN2at6native12_GLOBAL__N_18offset_tEEE10hipError_tPvRmT1_PNSt15iterator_traitsISY_E10value_typeET2_T3_PNSZ_IS14_E10value_typeET4_jRbjT5_S1A_jjP12ihipStream_tbEUljE_EEESV_SW_SX_S14_S18_S1A_T6_T7_T9_mT8_S1C_bDpT10_ENKUlT_T0_E_clISt17integral_constantIbLb0EES1O_IbLb1EEEEDaS1K_S1L_EUlS1K_E_NS1_11comp_targetILNS1_3genE9ELNS1_11target_archE1100ELNS1_3gpuE3ELNS1_3repE0EEENS1_30default_config_static_selectorELNS0_4arch9wavefront6targetE0EEEvSY_
; %bb.0:
	.section	.rodata,"a",@progbits
	.p2align	6, 0x0
	.amdhsa_kernel _ZN7rocprim17ROCPRIM_400000_NS6detail17trampoline_kernelINS0_13select_configILj256ELj13ELNS0_17block_load_methodE3ELS4_3ELS4_3ELNS0_20block_scan_algorithmE0ELj4294967295EEENS1_25partition_config_selectorILNS1_17partition_subalgoE3EjNS0_10empty_typeEbEEZZNS1_14partition_implILS8_3ELb0ES6_jNS0_17counting_iteratorIjlEEPS9_SE_NS0_5tupleIJPjSE_EEENSF_IJSE_SE_EEES9_SG_JZNS1_25segmented_radix_sort_implINS0_14default_configELb1EPKfPfPKlPlN2at6native12_GLOBAL__N_18offset_tEEE10hipError_tPvRmT1_PNSt15iterator_traitsISY_E10value_typeET2_T3_PNSZ_IS14_E10value_typeET4_jRbjT5_S1A_jjP12ihipStream_tbEUljE_EEESV_SW_SX_S14_S18_S1A_T6_T7_T9_mT8_S1C_bDpT10_ENKUlT_T0_E_clISt17integral_constantIbLb0EES1O_IbLb1EEEEDaS1K_S1L_EUlS1K_E_NS1_11comp_targetILNS1_3genE9ELNS1_11target_archE1100ELNS1_3gpuE3ELNS1_3repE0EEENS1_30default_config_static_selectorELNS0_4arch9wavefront6targetE0EEEvSY_
		.amdhsa_group_segment_fixed_size 0
		.amdhsa_private_segment_fixed_size 0
		.amdhsa_kernarg_size 152
		.amdhsa_user_sgpr_count 2
		.amdhsa_user_sgpr_dispatch_ptr 0
		.amdhsa_user_sgpr_queue_ptr 0
		.amdhsa_user_sgpr_kernarg_segment_ptr 1
		.amdhsa_user_sgpr_dispatch_id 0
		.amdhsa_user_sgpr_kernarg_preload_length 0
		.amdhsa_user_sgpr_kernarg_preload_offset 0
		.amdhsa_user_sgpr_private_segment_size 0
		.amdhsa_wavefront_size32 1
		.amdhsa_uses_dynamic_stack 0
		.amdhsa_enable_private_segment 0
		.amdhsa_system_sgpr_workgroup_id_x 1
		.amdhsa_system_sgpr_workgroup_id_y 0
		.amdhsa_system_sgpr_workgroup_id_z 0
		.amdhsa_system_sgpr_workgroup_info 0
		.amdhsa_system_vgpr_workitem_id 0
		.amdhsa_next_free_vgpr 1
		.amdhsa_next_free_sgpr 1
		.amdhsa_named_barrier_count 0
		.amdhsa_reserve_vcc 0
		.amdhsa_float_round_mode_32 0
		.amdhsa_float_round_mode_16_64 0
		.amdhsa_float_denorm_mode_32 3
		.amdhsa_float_denorm_mode_16_64 3
		.amdhsa_fp16_overflow 0
		.amdhsa_memory_ordered 1
		.amdhsa_forward_progress 1
		.amdhsa_inst_pref_size 0
		.amdhsa_round_robin_scheduling 0
		.amdhsa_exception_fp_ieee_invalid_op 0
		.amdhsa_exception_fp_denorm_src 0
		.amdhsa_exception_fp_ieee_div_zero 0
		.amdhsa_exception_fp_ieee_overflow 0
		.amdhsa_exception_fp_ieee_underflow 0
		.amdhsa_exception_fp_ieee_inexact 0
		.amdhsa_exception_int_div_zero 0
	.end_amdhsa_kernel
	.section	.text._ZN7rocprim17ROCPRIM_400000_NS6detail17trampoline_kernelINS0_13select_configILj256ELj13ELNS0_17block_load_methodE3ELS4_3ELS4_3ELNS0_20block_scan_algorithmE0ELj4294967295EEENS1_25partition_config_selectorILNS1_17partition_subalgoE3EjNS0_10empty_typeEbEEZZNS1_14partition_implILS8_3ELb0ES6_jNS0_17counting_iteratorIjlEEPS9_SE_NS0_5tupleIJPjSE_EEENSF_IJSE_SE_EEES9_SG_JZNS1_25segmented_radix_sort_implINS0_14default_configELb1EPKfPfPKlPlN2at6native12_GLOBAL__N_18offset_tEEE10hipError_tPvRmT1_PNSt15iterator_traitsISY_E10value_typeET2_T3_PNSZ_IS14_E10value_typeET4_jRbjT5_S1A_jjP12ihipStream_tbEUljE_EEESV_SW_SX_S14_S18_S1A_T6_T7_T9_mT8_S1C_bDpT10_ENKUlT_T0_E_clISt17integral_constantIbLb0EES1O_IbLb1EEEEDaS1K_S1L_EUlS1K_E_NS1_11comp_targetILNS1_3genE9ELNS1_11target_archE1100ELNS1_3gpuE3ELNS1_3repE0EEENS1_30default_config_static_selectorELNS0_4arch9wavefront6targetE0EEEvSY_,"axG",@progbits,_ZN7rocprim17ROCPRIM_400000_NS6detail17trampoline_kernelINS0_13select_configILj256ELj13ELNS0_17block_load_methodE3ELS4_3ELS4_3ELNS0_20block_scan_algorithmE0ELj4294967295EEENS1_25partition_config_selectorILNS1_17partition_subalgoE3EjNS0_10empty_typeEbEEZZNS1_14partition_implILS8_3ELb0ES6_jNS0_17counting_iteratorIjlEEPS9_SE_NS0_5tupleIJPjSE_EEENSF_IJSE_SE_EEES9_SG_JZNS1_25segmented_radix_sort_implINS0_14default_configELb1EPKfPfPKlPlN2at6native12_GLOBAL__N_18offset_tEEE10hipError_tPvRmT1_PNSt15iterator_traitsISY_E10value_typeET2_T3_PNSZ_IS14_E10value_typeET4_jRbjT5_S1A_jjP12ihipStream_tbEUljE_EEESV_SW_SX_S14_S18_S1A_T6_T7_T9_mT8_S1C_bDpT10_ENKUlT_T0_E_clISt17integral_constantIbLb0EES1O_IbLb1EEEEDaS1K_S1L_EUlS1K_E_NS1_11comp_targetILNS1_3genE9ELNS1_11target_archE1100ELNS1_3gpuE3ELNS1_3repE0EEENS1_30default_config_static_selectorELNS0_4arch9wavefront6targetE0EEEvSY_,comdat
.Lfunc_end1317:
	.size	_ZN7rocprim17ROCPRIM_400000_NS6detail17trampoline_kernelINS0_13select_configILj256ELj13ELNS0_17block_load_methodE3ELS4_3ELS4_3ELNS0_20block_scan_algorithmE0ELj4294967295EEENS1_25partition_config_selectorILNS1_17partition_subalgoE3EjNS0_10empty_typeEbEEZZNS1_14partition_implILS8_3ELb0ES6_jNS0_17counting_iteratorIjlEEPS9_SE_NS0_5tupleIJPjSE_EEENSF_IJSE_SE_EEES9_SG_JZNS1_25segmented_radix_sort_implINS0_14default_configELb1EPKfPfPKlPlN2at6native12_GLOBAL__N_18offset_tEEE10hipError_tPvRmT1_PNSt15iterator_traitsISY_E10value_typeET2_T3_PNSZ_IS14_E10value_typeET4_jRbjT5_S1A_jjP12ihipStream_tbEUljE_EEESV_SW_SX_S14_S18_S1A_T6_T7_T9_mT8_S1C_bDpT10_ENKUlT_T0_E_clISt17integral_constantIbLb0EES1O_IbLb1EEEEDaS1K_S1L_EUlS1K_E_NS1_11comp_targetILNS1_3genE9ELNS1_11target_archE1100ELNS1_3gpuE3ELNS1_3repE0EEENS1_30default_config_static_selectorELNS0_4arch9wavefront6targetE0EEEvSY_, .Lfunc_end1317-_ZN7rocprim17ROCPRIM_400000_NS6detail17trampoline_kernelINS0_13select_configILj256ELj13ELNS0_17block_load_methodE3ELS4_3ELS4_3ELNS0_20block_scan_algorithmE0ELj4294967295EEENS1_25partition_config_selectorILNS1_17partition_subalgoE3EjNS0_10empty_typeEbEEZZNS1_14partition_implILS8_3ELb0ES6_jNS0_17counting_iteratorIjlEEPS9_SE_NS0_5tupleIJPjSE_EEENSF_IJSE_SE_EEES9_SG_JZNS1_25segmented_radix_sort_implINS0_14default_configELb1EPKfPfPKlPlN2at6native12_GLOBAL__N_18offset_tEEE10hipError_tPvRmT1_PNSt15iterator_traitsISY_E10value_typeET2_T3_PNSZ_IS14_E10value_typeET4_jRbjT5_S1A_jjP12ihipStream_tbEUljE_EEESV_SW_SX_S14_S18_S1A_T6_T7_T9_mT8_S1C_bDpT10_ENKUlT_T0_E_clISt17integral_constantIbLb0EES1O_IbLb1EEEEDaS1K_S1L_EUlS1K_E_NS1_11comp_targetILNS1_3genE9ELNS1_11target_archE1100ELNS1_3gpuE3ELNS1_3repE0EEENS1_30default_config_static_selectorELNS0_4arch9wavefront6targetE0EEEvSY_
                                        ; -- End function
	.set _ZN7rocprim17ROCPRIM_400000_NS6detail17trampoline_kernelINS0_13select_configILj256ELj13ELNS0_17block_load_methodE3ELS4_3ELS4_3ELNS0_20block_scan_algorithmE0ELj4294967295EEENS1_25partition_config_selectorILNS1_17partition_subalgoE3EjNS0_10empty_typeEbEEZZNS1_14partition_implILS8_3ELb0ES6_jNS0_17counting_iteratorIjlEEPS9_SE_NS0_5tupleIJPjSE_EEENSF_IJSE_SE_EEES9_SG_JZNS1_25segmented_radix_sort_implINS0_14default_configELb1EPKfPfPKlPlN2at6native12_GLOBAL__N_18offset_tEEE10hipError_tPvRmT1_PNSt15iterator_traitsISY_E10value_typeET2_T3_PNSZ_IS14_E10value_typeET4_jRbjT5_S1A_jjP12ihipStream_tbEUljE_EEESV_SW_SX_S14_S18_S1A_T6_T7_T9_mT8_S1C_bDpT10_ENKUlT_T0_E_clISt17integral_constantIbLb0EES1O_IbLb1EEEEDaS1K_S1L_EUlS1K_E_NS1_11comp_targetILNS1_3genE9ELNS1_11target_archE1100ELNS1_3gpuE3ELNS1_3repE0EEENS1_30default_config_static_selectorELNS0_4arch9wavefront6targetE0EEEvSY_.num_vgpr, 0
	.set _ZN7rocprim17ROCPRIM_400000_NS6detail17trampoline_kernelINS0_13select_configILj256ELj13ELNS0_17block_load_methodE3ELS4_3ELS4_3ELNS0_20block_scan_algorithmE0ELj4294967295EEENS1_25partition_config_selectorILNS1_17partition_subalgoE3EjNS0_10empty_typeEbEEZZNS1_14partition_implILS8_3ELb0ES6_jNS0_17counting_iteratorIjlEEPS9_SE_NS0_5tupleIJPjSE_EEENSF_IJSE_SE_EEES9_SG_JZNS1_25segmented_radix_sort_implINS0_14default_configELb1EPKfPfPKlPlN2at6native12_GLOBAL__N_18offset_tEEE10hipError_tPvRmT1_PNSt15iterator_traitsISY_E10value_typeET2_T3_PNSZ_IS14_E10value_typeET4_jRbjT5_S1A_jjP12ihipStream_tbEUljE_EEESV_SW_SX_S14_S18_S1A_T6_T7_T9_mT8_S1C_bDpT10_ENKUlT_T0_E_clISt17integral_constantIbLb0EES1O_IbLb1EEEEDaS1K_S1L_EUlS1K_E_NS1_11comp_targetILNS1_3genE9ELNS1_11target_archE1100ELNS1_3gpuE3ELNS1_3repE0EEENS1_30default_config_static_selectorELNS0_4arch9wavefront6targetE0EEEvSY_.num_agpr, 0
	.set _ZN7rocprim17ROCPRIM_400000_NS6detail17trampoline_kernelINS0_13select_configILj256ELj13ELNS0_17block_load_methodE3ELS4_3ELS4_3ELNS0_20block_scan_algorithmE0ELj4294967295EEENS1_25partition_config_selectorILNS1_17partition_subalgoE3EjNS0_10empty_typeEbEEZZNS1_14partition_implILS8_3ELb0ES6_jNS0_17counting_iteratorIjlEEPS9_SE_NS0_5tupleIJPjSE_EEENSF_IJSE_SE_EEES9_SG_JZNS1_25segmented_radix_sort_implINS0_14default_configELb1EPKfPfPKlPlN2at6native12_GLOBAL__N_18offset_tEEE10hipError_tPvRmT1_PNSt15iterator_traitsISY_E10value_typeET2_T3_PNSZ_IS14_E10value_typeET4_jRbjT5_S1A_jjP12ihipStream_tbEUljE_EEESV_SW_SX_S14_S18_S1A_T6_T7_T9_mT8_S1C_bDpT10_ENKUlT_T0_E_clISt17integral_constantIbLb0EES1O_IbLb1EEEEDaS1K_S1L_EUlS1K_E_NS1_11comp_targetILNS1_3genE9ELNS1_11target_archE1100ELNS1_3gpuE3ELNS1_3repE0EEENS1_30default_config_static_selectorELNS0_4arch9wavefront6targetE0EEEvSY_.numbered_sgpr, 0
	.set _ZN7rocprim17ROCPRIM_400000_NS6detail17trampoline_kernelINS0_13select_configILj256ELj13ELNS0_17block_load_methodE3ELS4_3ELS4_3ELNS0_20block_scan_algorithmE0ELj4294967295EEENS1_25partition_config_selectorILNS1_17partition_subalgoE3EjNS0_10empty_typeEbEEZZNS1_14partition_implILS8_3ELb0ES6_jNS0_17counting_iteratorIjlEEPS9_SE_NS0_5tupleIJPjSE_EEENSF_IJSE_SE_EEES9_SG_JZNS1_25segmented_radix_sort_implINS0_14default_configELb1EPKfPfPKlPlN2at6native12_GLOBAL__N_18offset_tEEE10hipError_tPvRmT1_PNSt15iterator_traitsISY_E10value_typeET2_T3_PNSZ_IS14_E10value_typeET4_jRbjT5_S1A_jjP12ihipStream_tbEUljE_EEESV_SW_SX_S14_S18_S1A_T6_T7_T9_mT8_S1C_bDpT10_ENKUlT_T0_E_clISt17integral_constantIbLb0EES1O_IbLb1EEEEDaS1K_S1L_EUlS1K_E_NS1_11comp_targetILNS1_3genE9ELNS1_11target_archE1100ELNS1_3gpuE3ELNS1_3repE0EEENS1_30default_config_static_selectorELNS0_4arch9wavefront6targetE0EEEvSY_.num_named_barrier, 0
	.set _ZN7rocprim17ROCPRIM_400000_NS6detail17trampoline_kernelINS0_13select_configILj256ELj13ELNS0_17block_load_methodE3ELS4_3ELS4_3ELNS0_20block_scan_algorithmE0ELj4294967295EEENS1_25partition_config_selectorILNS1_17partition_subalgoE3EjNS0_10empty_typeEbEEZZNS1_14partition_implILS8_3ELb0ES6_jNS0_17counting_iteratorIjlEEPS9_SE_NS0_5tupleIJPjSE_EEENSF_IJSE_SE_EEES9_SG_JZNS1_25segmented_radix_sort_implINS0_14default_configELb1EPKfPfPKlPlN2at6native12_GLOBAL__N_18offset_tEEE10hipError_tPvRmT1_PNSt15iterator_traitsISY_E10value_typeET2_T3_PNSZ_IS14_E10value_typeET4_jRbjT5_S1A_jjP12ihipStream_tbEUljE_EEESV_SW_SX_S14_S18_S1A_T6_T7_T9_mT8_S1C_bDpT10_ENKUlT_T0_E_clISt17integral_constantIbLb0EES1O_IbLb1EEEEDaS1K_S1L_EUlS1K_E_NS1_11comp_targetILNS1_3genE9ELNS1_11target_archE1100ELNS1_3gpuE3ELNS1_3repE0EEENS1_30default_config_static_selectorELNS0_4arch9wavefront6targetE0EEEvSY_.private_seg_size, 0
	.set _ZN7rocprim17ROCPRIM_400000_NS6detail17trampoline_kernelINS0_13select_configILj256ELj13ELNS0_17block_load_methodE3ELS4_3ELS4_3ELNS0_20block_scan_algorithmE0ELj4294967295EEENS1_25partition_config_selectorILNS1_17partition_subalgoE3EjNS0_10empty_typeEbEEZZNS1_14partition_implILS8_3ELb0ES6_jNS0_17counting_iteratorIjlEEPS9_SE_NS0_5tupleIJPjSE_EEENSF_IJSE_SE_EEES9_SG_JZNS1_25segmented_radix_sort_implINS0_14default_configELb1EPKfPfPKlPlN2at6native12_GLOBAL__N_18offset_tEEE10hipError_tPvRmT1_PNSt15iterator_traitsISY_E10value_typeET2_T3_PNSZ_IS14_E10value_typeET4_jRbjT5_S1A_jjP12ihipStream_tbEUljE_EEESV_SW_SX_S14_S18_S1A_T6_T7_T9_mT8_S1C_bDpT10_ENKUlT_T0_E_clISt17integral_constantIbLb0EES1O_IbLb1EEEEDaS1K_S1L_EUlS1K_E_NS1_11comp_targetILNS1_3genE9ELNS1_11target_archE1100ELNS1_3gpuE3ELNS1_3repE0EEENS1_30default_config_static_selectorELNS0_4arch9wavefront6targetE0EEEvSY_.uses_vcc, 0
	.set _ZN7rocprim17ROCPRIM_400000_NS6detail17trampoline_kernelINS0_13select_configILj256ELj13ELNS0_17block_load_methodE3ELS4_3ELS4_3ELNS0_20block_scan_algorithmE0ELj4294967295EEENS1_25partition_config_selectorILNS1_17partition_subalgoE3EjNS0_10empty_typeEbEEZZNS1_14partition_implILS8_3ELb0ES6_jNS0_17counting_iteratorIjlEEPS9_SE_NS0_5tupleIJPjSE_EEENSF_IJSE_SE_EEES9_SG_JZNS1_25segmented_radix_sort_implINS0_14default_configELb1EPKfPfPKlPlN2at6native12_GLOBAL__N_18offset_tEEE10hipError_tPvRmT1_PNSt15iterator_traitsISY_E10value_typeET2_T3_PNSZ_IS14_E10value_typeET4_jRbjT5_S1A_jjP12ihipStream_tbEUljE_EEESV_SW_SX_S14_S18_S1A_T6_T7_T9_mT8_S1C_bDpT10_ENKUlT_T0_E_clISt17integral_constantIbLb0EES1O_IbLb1EEEEDaS1K_S1L_EUlS1K_E_NS1_11comp_targetILNS1_3genE9ELNS1_11target_archE1100ELNS1_3gpuE3ELNS1_3repE0EEENS1_30default_config_static_selectorELNS0_4arch9wavefront6targetE0EEEvSY_.uses_flat_scratch, 0
	.set _ZN7rocprim17ROCPRIM_400000_NS6detail17trampoline_kernelINS0_13select_configILj256ELj13ELNS0_17block_load_methodE3ELS4_3ELS4_3ELNS0_20block_scan_algorithmE0ELj4294967295EEENS1_25partition_config_selectorILNS1_17partition_subalgoE3EjNS0_10empty_typeEbEEZZNS1_14partition_implILS8_3ELb0ES6_jNS0_17counting_iteratorIjlEEPS9_SE_NS0_5tupleIJPjSE_EEENSF_IJSE_SE_EEES9_SG_JZNS1_25segmented_radix_sort_implINS0_14default_configELb1EPKfPfPKlPlN2at6native12_GLOBAL__N_18offset_tEEE10hipError_tPvRmT1_PNSt15iterator_traitsISY_E10value_typeET2_T3_PNSZ_IS14_E10value_typeET4_jRbjT5_S1A_jjP12ihipStream_tbEUljE_EEESV_SW_SX_S14_S18_S1A_T6_T7_T9_mT8_S1C_bDpT10_ENKUlT_T0_E_clISt17integral_constantIbLb0EES1O_IbLb1EEEEDaS1K_S1L_EUlS1K_E_NS1_11comp_targetILNS1_3genE9ELNS1_11target_archE1100ELNS1_3gpuE3ELNS1_3repE0EEENS1_30default_config_static_selectorELNS0_4arch9wavefront6targetE0EEEvSY_.has_dyn_sized_stack, 0
	.set _ZN7rocprim17ROCPRIM_400000_NS6detail17trampoline_kernelINS0_13select_configILj256ELj13ELNS0_17block_load_methodE3ELS4_3ELS4_3ELNS0_20block_scan_algorithmE0ELj4294967295EEENS1_25partition_config_selectorILNS1_17partition_subalgoE3EjNS0_10empty_typeEbEEZZNS1_14partition_implILS8_3ELb0ES6_jNS0_17counting_iteratorIjlEEPS9_SE_NS0_5tupleIJPjSE_EEENSF_IJSE_SE_EEES9_SG_JZNS1_25segmented_radix_sort_implINS0_14default_configELb1EPKfPfPKlPlN2at6native12_GLOBAL__N_18offset_tEEE10hipError_tPvRmT1_PNSt15iterator_traitsISY_E10value_typeET2_T3_PNSZ_IS14_E10value_typeET4_jRbjT5_S1A_jjP12ihipStream_tbEUljE_EEESV_SW_SX_S14_S18_S1A_T6_T7_T9_mT8_S1C_bDpT10_ENKUlT_T0_E_clISt17integral_constantIbLb0EES1O_IbLb1EEEEDaS1K_S1L_EUlS1K_E_NS1_11comp_targetILNS1_3genE9ELNS1_11target_archE1100ELNS1_3gpuE3ELNS1_3repE0EEENS1_30default_config_static_selectorELNS0_4arch9wavefront6targetE0EEEvSY_.has_recursion, 0
	.set _ZN7rocprim17ROCPRIM_400000_NS6detail17trampoline_kernelINS0_13select_configILj256ELj13ELNS0_17block_load_methodE3ELS4_3ELS4_3ELNS0_20block_scan_algorithmE0ELj4294967295EEENS1_25partition_config_selectorILNS1_17partition_subalgoE3EjNS0_10empty_typeEbEEZZNS1_14partition_implILS8_3ELb0ES6_jNS0_17counting_iteratorIjlEEPS9_SE_NS0_5tupleIJPjSE_EEENSF_IJSE_SE_EEES9_SG_JZNS1_25segmented_radix_sort_implINS0_14default_configELb1EPKfPfPKlPlN2at6native12_GLOBAL__N_18offset_tEEE10hipError_tPvRmT1_PNSt15iterator_traitsISY_E10value_typeET2_T3_PNSZ_IS14_E10value_typeET4_jRbjT5_S1A_jjP12ihipStream_tbEUljE_EEESV_SW_SX_S14_S18_S1A_T6_T7_T9_mT8_S1C_bDpT10_ENKUlT_T0_E_clISt17integral_constantIbLb0EES1O_IbLb1EEEEDaS1K_S1L_EUlS1K_E_NS1_11comp_targetILNS1_3genE9ELNS1_11target_archE1100ELNS1_3gpuE3ELNS1_3repE0EEENS1_30default_config_static_selectorELNS0_4arch9wavefront6targetE0EEEvSY_.has_indirect_call, 0
	.section	.AMDGPU.csdata,"",@progbits
; Kernel info:
; codeLenInByte = 0
; TotalNumSgprs: 0
; NumVgprs: 0
; ScratchSize: 0
; MemoryBound: 0
; FloatMode: 240
; IeeeMode: 1
; LDSByteSize: 0 bytes/workgroup (compile time only)
; SGPRBlocks: 0
; VGPRBlocks: 0
; NumSGPRsForWavesPerEU: 1
; NumVGPRsForWavesPerEU: 1
; NamedBarCnt: 0
; Occupancy: 16
; WaveLimiterHint : 0
; COMPUTE_PGM_RSRC2:SCRATCH_EN: 0
; COMPUTE_PGM_RSRC2:USER_SGPR: 2
; COMPUTE_PGM_RSRC2:TRAP_HANDLER: 0
; COMPUTE_PGM_RSRC2:TGID_X_EN: 1
; COMPUTE_PGM_RSRC2:TGID_Y_EN: 0
; COMPUTE_PGM_RSRC2:TGID_Z_EN: 0
; COMPUTE_PGM_RSRC2:TIDIG_COMP_CNT: 0
	.section	.text._ZN7rocprim17ROCPRIM_400000_NS6detail17trampoline_kernelINS0_13select_configILj256ELj13ELNS0_17block_load_methodE3ELS4_3ELS4_3ELNS0_20block_scan_algorithmE0ELj4294967295EEENS1_25partition_config_selectorILNS1_17partition_subalgoE3EjNS0_10empty_typeEbEEZZNS1_14partition_implILS8_3ELb0ES6_jNS0_17counting_iteratorIjlEEPS9_SE_NS0_5tupleIJPjSE_EEENSF_IJSE_SE_EEES9_SG_JZNS1_25segmented_radix_sort_implINS0_14default_configELb1EPKfPfPKlPlN2at6native12_GLOBAL__N_18offset_tEEE10hipError_tPvRmT1_PNSt15iterator_traitsISY_E10value_typeET2_T3_PNSZ_IS14_E10value_typeET4_jRbjT5_S1A_jjP12ihipStream_tbEUljE_EEESV_SW_SX_S14_S18_S1A_T6_T7_T9_mT8_S1C_bDpT10_ENKUlT_T0_E_clISt17integral_constantIbLb0EES1O_IbLb1EEEEDaS1K_S1L_EUlS1K_E_NS1_11comp_targetILNS1_3genE8ELNS1_11target_archE1030ELNS1_3gpuE2ELNS1_3repE0EEENS1_30default_config_static_selectorELNS0_4arch9wavefront6targetE0EEEvSY_,"axG",@progbits,_ZN7rocprim17ROCPRIM_400000_NS6detail17trampoline_kernelINS0_13select_configILj256ELj13ELNS0_17block_load_methodE3ELS4_3ELS4_3ELNS0_20block_scan_algorithmE0ELj4294967295EEENS1_25partition_config_selectorILNS1_17partition_subalgoE3EjNS0_10empty_typeEbEEZZNS1_14partition_implILS8_3ELb0ES6_jNS0_17counting_iteratorIjlEEPS9_SE_NS0_5tupleIJPjSE_EEENSF_IJSE_SE_EEES9_SG_JZNS1_25segmented_radix_sort_implINS0_14default_configELb1EPKfPfPKlPlN2at6native12_GLOBAL__N_18offset_tEEE10hipError_tPvRmT1_PNSt15iterator_traitsISY_E10value_typeET2_T3_PNSZ_IS14_E10value_typeET4_jRbjT5_S1A_jjP12ihipStream_tbEUljE_EEESV_SW_SX_S14_S18_S1A_T6_T7_T9_mT8_S1C_bDpT10_ENKUlT_T0_E_clISt17integral_constantIbLb0EES1O_IbLb1EEEEDaS1K_S1L_EUlS1K_E_NS1_11comp_targetILNS1_3genE8ELNS1_11target_archE1030ELNS1_3gpuE2ELNS1_3repE0EEENS1_30default_config_static_selectorELNS0_4arch9wavefront6targetE0EEEvSY_,comdat
	.globl	_ZN7rocprim17ROCPRIM_400000_NS6detail17trampoline_kernelINS0_13select_configILj256ELj13ELNS0_17block_load_methodE3ELS4_3ELS4_3ELNS0_20block_scan_algorithmE0ELj4294967295EEENS1_25partition_config_selectorILNS1_17partition_subalgoE3EjNS0_10empty_typeEbEEZZNS1_14partition_implILS8_3ELb0ES6_jNS0_17counting_iteratorIjlEEPS9_SE_NS0_5tupleIJPjSE_EEENSF_IJSE_SE_EEES9_SG_JZNS1_25segmented_radix_sort_implINS0_14default_configELb1EPKfPfPKlPlN2at6native12_GLOBAL__N_18offset_tEEE10hipError_tPvRmT1_PNSt15iterator_traitsISY_E10value_typeET2_T3_PNSZ_IS14_E10value_typeET4_jRbjT5_S1A_jjP12ihipStream_tbEUljE_EEESV_SW_SX_S14_S18_S1A_T6_T7_T9_mT8_S1C_bDpT10_ENKUlT_T0_E_clISt17integral_constantIbLb0EES1O_IbLb1EEEEDaS1K_S1L_EUlS1K_E_NS1_11comp_targetILNS1_3genE8ELNS1_11target_archE1030ELNS1_3gpuE2ELNS1_3repE0EEENS1_30default_config_static_selectorELNS0_4arch9wavefront6targetE0EEEvSY_ ; -- Begin function _ZN7rocprim17ROCPRIM_400000_NS6detail17trampoline_kernelINS0_13select_configILj256ELj13ELNS0_17block_load_methodE3ELS4_3ELS4_3ELNS0_20block_scan_algorithmE0ELj4294967295EEENS1_25partition_config_selectorILNS1_17partition_subalgoE3EjNS0_10empty_typeEbEEZZNS1_14partition_implILS8_3ELb0ES6_jNS0_17counting_iteratorIjlEEPS9_SE_NS0_5tupleIJPjSE_EEENSF_IJSE_SE_EEES9_SG_JZNS1_25segmented_radix_sort_implINS0_14default_configELb1EPKfPfPKlPlN2at6native12_GLOBAL__N_18offset_tEEE10hipError_tPvRmT1_PNSt15iterator_traitsISY_E10value_typeET2_T3_PNSZ_IS14_E10value_typeET4_jRbjT5_S1A_jjP12ihipStream_tbEUljE_EEESV_SW_SX_S14_S18_S1A_T6_T7_T9_mT8_S1C_bDpT10_ENKUlT_T0_E_clISt17integral_constantIbLb0EES1O_IbLb1EEEEDaS1K_S1L_EUlS1K_E_NS1_11comp_targetILNS1_3genE8ELNS1_11target_archE1030ELNS1_3gpuE2ELNS1_3repE0EEENS1_30default_config_static_selectorELNS0_4arch9wavefront6targetE0EEEvSY_
	.p2align	8
	.type	_ZN7rocprim17ROCPRIM_400000_NS6detail17trampoline_kernelINS0_13select_configILj256ELj13ELNS0_17block_load_methodE3ELS4_3ELS4_3ELNS0_20block_scan_algorithmE0ELj4294967295EEENS1_25partition_config_selectorILNS1_17partition_subalgoE3EjNS0_10empty_typeEbEEZZNS1_14partition_implILS8_3ELb0ES6_jNS0_17counting_iteratorIjlEEPS9_SE_NS0_5tupleIJPjSE_EEENSF_IJSE_SE_EEES9_SG_JZNS1_25segmented_radix_sort_implINS0_14default_configELb1EPKfPfPKlPlN2at6native12_GLOBAL__N_18offset_tEEE10hipError_tPvRmT1_PNSt15iterator_traitsISY_E10value_typeET2_T3_PNSZ_IS14_E10value_typeET4_jRbjT5_S1A_jjP12ihipStream_tbEUljE_EEESV_SW_SX_S14_S18_S1A_T6_T7_T9_mT8_S1C_bDpT10_ENKUlT_T0_E_clISt17integral_constantIbLb0EES1O_IbLb1EEEEDaS1K_S1L_EUlS1K_E_NS1_11comp_targetILNS1_3genE8ELNS1_11target_archE1030ELNS1_3gpuE2ELNS1_3repE0EEENS1_30default_config_static_selectorELNS0_4arch9wavefront6targetE0EEEvSY_,@function
_ZN7rocprim17ROCPRIM_400000_NS6detail17trampoline_kernelINS0_13select_configILj256ELj13ELNS0_17block_load_methodE3ELS4_3ELS4_3ELNS0_20block_scan_algorithmE0ELj4294967295EEENS1_25partition_config_selectorILNS1_17partition_subalgoE3EjNS0_10empty_typeEbEEZZNS1_14partition_implILS8_3ELb0ES6_jNS0_17counting_iteratorIjlEEPS9_SE_NS0_5tupleIJPjSE_EEENSF_IJSE_SE_EEES9_SG_JZNS1_25segmented_radix_sort_implINS0_14default_configELb1EPKfPfPKlPlN2at6native12_GLOBAL__N_18offset_tEEE10hipError_tPvRmT1_PNSt15iterator_traitsISY_E10value_typeET2_T3_PNSZ_IS14_E10value_typeET4_jRbjT5_S1A_jjP12ihipStream_tbEUljE_EEESV_SW_SX_S14_S18_S1A_T6_T7_T9_mT8_S1C_bDpT10_ENKUlT_T0_E_clISt17integral_constantIbLb0EES1O_IbLb1EEEEDaS1K_S1L_EUlS1K_E_NS1_11comp_targetILNS1_3genE8ELNS1_11target_archE1030ELNS1_3gpuE2ELNS1_3repE0EEENS1_30default_config_static_selectorELNS0_4arch9wavefront6targetE0EEEvSY_: ; @_ZN7rocprim17ROCPRIM_400000_NS6detail17trampoline_kernelINS0_13select_configILj256ELj13ELNS0_17block_load_methodE3ELS4_3ELS4_3ELNS0_20block_scan_algorithmE0ELj4294967295EEENS1_25partition_config_selectorILNS1_17partition_subalgoE3EjNS0_10empty_typeEbEEZZNS1_14partition_implILS8_3ELb0ES6_jNS0_17counting_iteratorIjlEEPS9_SE_NS0_5tupleIJPjSE_EEENSF_IJSE_SE_EEES9_SG_JZNS1_25segmented_radix_sort_implINS0_14default_configELb1EPKfPfPKlPlN2at6native12_GLOBAL__N_18offset_tEEE10hipError_tPvRmT1_PNSt15iterator_traitsISY_E10value_typeET2_T3_PNSZ_IS14_E10value_typeET4_jRbjT5_S1A_jjP12ihipStream_tbEUljE_EEESV_SW_SX_S14_S18_S1A_T6_T7_T9_mT8_S1C_bDpT10_ENKUlT_T0_E_clISt17integral_constantIbLb0EES1O_IbLb1EEEEDaS1K_S1L_EUlS1K_E_NS1_11comp_targetILNS1_3genE8ELNS1_11target_archE1030ELNS1_3gpuE2ELNS1_3repE0EEENS1_30default_config_static_selectorELNS0_4arch9wavefront6targetE0EEEvSY_
; %bb.0:
	.section	.rodata,"a",@progbits
	.p2align	6, 0x0
	.amdhsa_kernel _ZN7rocprim17ROCPRIM_400000_NS6detail17trampoline_kernelINS0_13select_configILj256ELj13ELNS0_17block_load_methodE3ELS4_3ELS4_3ELNS0_20block_scan_algorithmE0ELj4294967295EEENS1_25partition_config_selectorILNS1_17partition_subalgoE3EjNS0_10empty_typeEbEEZZNS1_14partition_implILS8_3ELb0ES6_jNS0_17counting_iteratorIjlEEPS9_SE_NS0_5tupleIJPjSE_EEENSF_IJSE_SE_EEES9_SG_JZNS1_25segmented_radix_sort_implINS0_14default_configELb1EPKfPfPKlPlN2at6native12_GLOBAL__N_18offset_tEEE10hipError_tPvRmT1_PNSt15iterator_traitsISY_E10value_typeET2_T3_PNSZ_IS14_E10value_typeET4_jRbjT5_S1A_jjP12ihipStream_tbEUljE_EEESV_SW_SX_S14_S18_S1A_T6_T7_T9_mT8_S1C_bDpT10_ENKUlT_T0_E_clISt17integral_constantIbLb0EES1O_IbLb1EEEEDaS1K_S1L_EUlS1K_E_NS1_11comp_targetILNS1_3genE8ELNS1_11target_archE1030ELNS1_3gpuE2ELNS1_3repE0EEENS1_30default_config_static_selectorELNS0_4arch9wavefront6targetE0EEEvSY_
		.amdhsa_group_segment_fixed_size 0
		.amdhsa_private_segment_fixed_size 0
		.amdhsa_kernarg_size 152
		.amdhsa_user_sgpr_count 2
		.amdhsa_user_sgpr_dispatch_ptr 0
		.amdhsa_user_sgpr_queue_ptr 0
		.amdhsa_user_sgpr_kernarg_segment_ptr 1
		.amdhsa_user_sgpr_dispatch_id 0
		.amdhsa_user_sgpr_kernarg_preload_length 0
		.amdhsa_user_sgpr_kernarg_preload_offset 0
		.amdhsa_user_sgpr_private_segment_size 0
		.amdhsa_wavefront_size32 1
		.amdhsa_uses_dynamic_stack 0
		.amdhsa_enable_private_segment 0
		.amdhsa_system_sgpr_workgroup_id_x 1
		.amdhsa_system_sgpr_workgroup_id_y 0
		.amdhsa_system_sgpr_workgroup_id_z 0
		.amdhsa_system_sgpr_workgroup_info 0
		.amdhsa_system_vgpr_workitem_id 0
		.amdhsa_next_free_vgpr 1
		.amdhsa_next_free_sgpr 1
		.amdhsa_named_barrier_count 0
		.amdhsa_reserve_vcc 0
		.amdhsa_float_round_mode_32 0
		.amdhsa_float_round_mode_16_64 0
		.amdhsa_float_denorm_mode_32 3
		.amdhsa_float_denorm_mode_16_64 3
		.amdhsa_fp16_overflow 0
		.amdhsa_memory_ordered 1
		.amdhsa_forward_progress 1
		.amdhsa_inst_pref_size 0
		.amdhsa_round_robin_scheduling 0
		.amdhsa_exception_fp_ieee_invalid_op 0
		.amdhsa_exception_fp_denorm_src 0
		.amdhsa_exception_fp_ieee_div_zero 0
		.amdhsa_exception_fp_ieee_overflow 0
		.amdhsa_exception_fp_ieee_underflow 0
		.amdhsa_exception_fp_ieee_inexact 0
		.amdhsa_exception_int_div_zero 0
	.end_amdhsa_kernel
	.section	.text._ZN7rocprim17ROCPRIM_400000_NS6detail17trampoline_kernelINS0_13select_configILj256ELj13ELNS0_17block_load_methodE3ELS4_3ELS4_3ELNS0_20block_scan_algorithmE0ELj4294967295EEENS1_25partition_config_selectorILNS1_17partition_subalgoE3EjNS0_10empty_typeEbEEZZNS1_14partition_implILS8_3ELb0ES6_jNS0_17counting_iteratorIjlEEPS9_SE_NS0_5tupleIJPjSE_EEENSF_IJSE_SE_EEES9_SG_JZNS1_25segmented_radix_sort_implINS0_14default_configELb1EPKfPfPKlPlN2at6native12_GLOBAL__N_18offset_tEEE10hipError_tPvRmT1_PNSt15iterator_traitsISY_E10value_typeET2_T3_PNSZ_IS14_E10value_typeET4_jRbjT5_S1A_jjP12ihipStream_tbEUljE_EEESV_SW_SX_S14_S18_S1A_T6_T7_T9_mT8_S1C_bDpT10_ENKUlT_T0_E_clISt17integral_constantIbLb0EES1O_IbLb1EEEEDaS1K_S1L_EUlS1K_E_NS1_11comp_targetILNS1_3genE8ELNS1_11target_archE1030ELNS1_3gpuE2ELNS1_3repE0EEENS1_30default_config_static_selectorELNS0_4arch9wavefront6targetE0EEEvSY_,"axG",@progbits,_ZN7rocprim17ROCPRIM_400000_NS6detail17trampoline_kernelINS0_13select_configILj256ELj13ELNS0_17block_load_methodE3ELS4_3ELS4_3ELNS0_20block_scan_algorithmE0ELj4294967295EEENS1_25partition_config_selectorILNS1_17partition_subalgoE3EjNS0_10empty_typeEbEEZZNS1_14partition_implILS8_3ELb0ES6_jNS0_17counting_iteratorIjlEEPS9_SE_NS0_5tupleIJPjSE_EEENSF_IJSE_SE_EEES9_SG_JZNS1_25segmented_radix_sort_implINS0_14default_configELb1EPKfPfPKlPlN2at6native12_GLOBAL__N_18offset_tEEE10hipError_tPvRmT1_PNSt15iterator_traitsISY_E10value_typeET2_T3_PNSZ_IS14_E10value_typeET4_jRbjT5_S1A_jjP12ihipStream_tbEUljE_EEESV_SW_SX_S14_S18_S1A_T6_T7_T9_mT8_S1C_bDpT10_ENKUlT_T0_E_clISt17integral_constantIbLb0EES1O_IbLb1EEEEDaS1K_S1L_EUlS1K_E_NS1_11comp_targetILNS1_3genE8ELNS1_11target_archE1030ELNS1_3gpuE2ELNS1_3repE0EEENS1_30default_config_static_selectorELNS0_4arch9wavefront6targetE0EEEvSY_,comdat
.Lfunc_end1318:
	.size	_ZN7rocprim17ROCPRIM_400000_NS6detail17trampoline_kernelINS0_13select_configILj256ELj13ELNS0_17block_load_methodE3ELS4_3ELS4_3ELNS0_20block_scan_algorithmE0ELj4294967295EEENS1_25partition_config_selectorILNS1_17partition_subalgoE3EjNS0_10empty_typeEbEEZZNS1_14partition_implILS8_3ELb0ES6_jNS0_17counting_iteratorIjlEEPS9_SE_NS0_5tupleIJPjSE_EEENSF_IJSE_SE_EEES9_SG_JZNS1_25segmented_radix_sort_implINS0_14default_configELb1EPKfPfPKlPlN2at6native12_GLOBAL__N_18offset_tEEE10hipError_tPvRmT1_PNSt15iterator_traitsISY_E10value_typeET2_T3_PNSZ_IS14_E10value_typeET4_jRbjT5_S1A_jjP12ihipStream_tbEUljE_EEESV_SW_SX_S14_S18_S1A_T6_T7_T9_mT8_S1C_bDpT10_ENKUlT_T0_E_clISt17integral_constantIbLb0EES1O_IbLb1EEEEDaS1K_S1L_EUlS1K_E_NS1_11comp_targetILNS1_3genE8ELNS1_11target_archE1030ELNS1_3gpuE2ELNS1_3repE0EEENS1_30default_config_static_selectorELNS0_4arch9wavefront6targetE0EEEvSY_, .Lfunc_end1318-_ZN7rocprim17ROCPRIM_400000_NS6detail17trampoline_kernelINS0_13select_configILj256ELj13ELNS0_17block_load_methodE3ELS4_3ELS4_3ELNS0_20block_scan_algorithmE0ELj4294967295EEENS1_25partition_config_selectorILNS1_17partition_subalgoE3EjNS0_10empty_typeEbEEZZNS1_14partition_implILS8_3ELb0ES6_jNS0_17counting_iteratorIjlEEPS9_SE_NS0_5tupleIJPjSE_EEENSF_IJSE_SE_EEES9_SG_JZNS1_25segmented_radix_sort_implINS0_14default_configELb1EPKfPfPKlPlN2at6native12_GLOBAL__N_18offset_tEEE10hipError_tPvRmT1_PNSt15iterator_traitsISY_E10value_typeET2_T3_PNSZ_IS14_E10value_typeET4_jRbjT5_S1A_jjP12ihipStream_tbEUljE_EEESV_SW_SX_S14_S18_S1A_T6_T7_T9_mT8_S1C_bDpT10_ENKUlT_T0_E_clISt17integral_constantIbLb0EES1O_IbLb1EEEEDaS1K_S1L_EUlS1K_E_NS1_11comp_targetILNS1_3genE8ELNS1_11target_archE1030ELNS1_3gpuE2ELNS1_3repE0EEENS1_30default_config_static_selectorELNS0_4arch9wavefront6targetE0EEEvSY_
                                        ; -- End function
	.set _ZN7rocprim17ROCPRIM_400000_NS6detail17trampoline_kernelINS0_13select_configILj256ELj13ELNS0_17block_load_methodE3ELS4_3ELS4_3ELNS0_20block_scan_algorithmE0ELj4294967295EEENS1_25partition_config_selectorILNS1_17partition_subalgoE3EjNS0_10empty_typeEbEEZZNS1_14partition_implILS8_3ELb0ES6_jNS0_17counting_iteratorIjlEEPS9_SE_NS0_5tupleIJPjSE_EEENSF_IJSE_SE_EEES9_SG_JZNS1_25segmented_radix_sort_implINS0_14default_configELb1EPKfPfPKlPlN2at6native12_GLOBAL__N_18offset_tEEE10hipError_tPvRmT1_PNSt15iterator_traitsISY_E10value_typeET2_T3_PNSZ_IS14_E10value_typeET4_jRbjT5_S1A_jjP12ihipStream_tbEUljE_EEESV_SW_SX_S14_S18_S1A_T6_T7_T9_mT8_S1C_bDpT10_ENKUlT_T0_E_clISt17integral_constantIbLb0EES1O_IbLb1EEEEDaS1K_S1L_EUlS1K_E_NS1_11comp_targetILNS1_3genE8ELNS1_11target_archE1030ELNS1_3gpuE2ELNS1_3repE0EEENS1_30default_config_static_selectorELNS0_4arch9wavefront6targetE0EEEvSY_.num_vgpr, 0
	.set _ZN7rocprim17ROCPRIM_400000_NS6detail17trampoline_kernelINS0_13select_configILj256ELj13ELNS0_17block_load_methodE3ELS4_3ELS4_3ELNS0_20block_scan_algorithmE0ELj4294967295EEENS1_25partition_config_selectorILNS1_17partition_subalgoE3EjNS0_10empty_typeEbEEZZNS1_14partition_implILS8_3ELb0ES6_jNS0_17counting_iteratorIjlEEPS9_SE_NS0_5tupleIJPjSE_EEENSF_IJSE_SE_EEES9_SG_JZNS1_25segmented_radix_sort_implINS0_14default_configELb1EPKfPfPKlPlN2at6native12_GLOBAL__N_18offset_tEEE10hipError_tPvRmT1_PNSt15iterator_traitsISY_E10value_typeET2_T3_PNSZ_IS14_E10value_typeET4_jRbjT5_S1A_jjP12ihipStream_tbEUljE_EEESV_SW_SX_S14_S18_S1A_T6_T7_T9_mT8_S1C_bDpT10_ENKUlT_T0_E_clISt17integral_constantIbLb0EES1O_IbLb1EEEEDaS1K_S1L_EUlS1K_E_NS1_11comp_targetILNS1_3genE8ELNS1_11target_archE1030ELNS1_3gpuE2ELNS1_3repE0EEENS1_30default_config_static_selectorELNS0_4arch9wavefront6targetE0EEEvSY_.num_agpr, 0
	.set _ZN7rocprim17ROCPRIM_400000_NS6detail17trampoline_kernelINS0_13select_configILj256ELj13ELNS0_17block_load_methodE3ELS4_3ELS4_3ELNS0_20block_scan_algorithmE0ELj4294967295EEENS1_25partition_config_selectorILNS1_17partition_subalgoE3EjNS0_10empty_typeEbEEZZNS1_14partition_implILS8_3ELb0ES6_jNS0_17counting_iteratorIjlEEPS9_SE_NS0_5tupleIJPjSE_EEENSF_IJSE_SE_EEES9_SG_JZNS1_25segmented_radix_sort_implINS0_14default_configELb1EPKfPfPKlPlN2at6native12_GLOBAL__N_18offset_tEEE10hipError_tPvRmT1_PNSt15iterator_traitsISY_E10value_typeET2_T3_PNSZ_IS14_E10value_typeET4_jRbjT5_S1A_jjP12ihipStream_tbEUljE_EEESV_SW_SX_S14_S18_S1A_T6_T7_T9_mT8_S1C_bDpT10_ENKUlT_T0_E_clISt17integral_constantIbLb0EES1O_IbLb1EEEEDaS1K_S1L_EUlS1K_E_NS1_11comp_targetILNS1_3genE8ELNS1_11target_archE1030ELNS1_3gpuE2ELNS1_3repE0EEENS1_30default_config_static_selectorELNS0_4arch9wavefront6targetE0EEEvSY_.numbered_sgpr, 0
	.set _ZN7rocprim17ROCPRIM_400000_NS6detail17trampoline_kernelINS0_13select_configILj256ELj13ELNS0_17block_load_methodE3ELS4_3ELS4_3ELNS0_20block_scan_algorithmE0ELj4294967295EEENS1_25partition_config_selectorILNS1_17partition_subalgoE3EjNS0_10empty_typeEbEEZZNS1_14partition_implILS8_3ELb0ES6_jNS0_17counting_iteratorIjlEEPS9_SE_NS0_5tupleIJPjSE_EEENSF_IJSE_SE_EEES9_SG_JZNS1_25segmented_radix_sort_implINS0_14default_configELb1EPKfPfPKlPlN2at6native12_GLOBAL__N_18offset_tEEE10hipError_tPvRmT1_PNSt15iterator_traitsISY_E10value_typeET2_T3_PNSZ_IS14_E10value_typeET4_jRbjT5_S1A_jjP12ihipStream_tbEUljE_EEESV_SW_SX_S14_S18_S1A_T6_T7_T9_mT8_S1C_bDpT10_ENKUlT_T0_E_clISt17integral_constantIbLb0EES1O_IbLb1EEEEDaS1K_S1L_EUlS1K_E_NS1_11comp_targetILNS1_3genE8ELNS1_11target_archE1030ELNS1_3gpuE2ELNS1_3repE0EEENS1_30default_config_static_selectorELNS0_4arch9wavefront6targetE0EEEvSY_.num_named_barrier, 0
	.set _ZN7rocprim17ROCPRIM_400000_NS6detail17trampoline_kernelINS0_13select_configILj256ELj13ELNS0_17block_load_methodE3ELS4_3ELS4_3ELNS0_20block_scan_algorithmE0ELj4294967295EEENS1_25partition_config_selectorILNS1_17partition_subalgoE3EjNS0_10empty_typeEbEEZZNS1_14partition_implILS8_3ELb0ES6_jNS0_17counting_iteratorIjlEEPS9_SE_NS0_5tupleIJPjSE_EEENSF_IJSE_SE_EEES9_SG_JZNS1_25segmented_radix_sort_implINS0_14default_configELb1EPKfPfPKlPlN2at6native12_GLOBAL__N_18offset_tEEE10hipError_tPvRmT1_PNSt15iterator_traitsISY_E10value_typeET2_T3_PNSZ_IS14_E10value_typeET4_jRbjT5_S1A_jjP12ihipStream_tbEUljE_EEESV_SW_SX_S14_S18_S1A_T6_T7_T9_mT8_S1C_bDpT10_ENKUlT_T0_E_clISt17integral_constantIbLb0EES1O_IbLb1EEEEDaS1K_S1L_EUlS1K_E_NS1_11comp_targetILNS1_3genE8ELNS1_11target_archE1030ELNS1_3gpuE2ELNS1_3repE0EEENS1_30default_config_static_selectorELNS0_4arch9wavefront6targetE0EEEvSY_.private_seg_size, 0
	.set _ZN7rocprim17ROCPRIM_400000_NS6detail17trampoline_kernelINS0_13select_configILj256ELj13ELNS0_17block_load_methodE3ELS4_3ELS4_3ELNS0_20block_scan_algorithmE0ELj4294967295EEENS1_25partition_config_selectorILNS1_17partition_subalgoE3EjNS0_10empty_typeEbEEZZNS1_14partition_implILS8_3ELb0ES6_jNS0_17counting_iteratorIjlEEPS9_SE_NS0_5tupleIJPjSE_EEENSF_IJSE_SE_EEES9_SG_JZNS1_25segmented_radix_sort_implINS0_14default_configELb1EPKfPfPKlPlN2at6native12_GLOBAL__N_18offset_tEEE10hipError_tPvRmT1_PNSt15iterator_traitsISY_E10value_typeET2_T3_PNSZ_IS14_E10value_typeET4_jRbjT5_S1A_jjP12ihipStream_tbEUljE_EEESV_SW_SX_S14_S18_S1A_T6_T7_T9_mT8_S1C_bDpT10_ENKUlT_T0_E_clISt17integral_constantIbLb0EES1O_IbLb1EEEEDaS1K_S1L_EUlS1K_E_NS1_11comp_targetILNS1_3genE8ELNS1_11target_archE1030ELNS1_3gpuE2ELNS1_3repE0EEENS1_30default_config_static_selectorELNS0_4arch9wavefront6targetE0EEEvSY_.uses_vcc, 0
	.set _ZN7rocprim17ROCPRIM_400000_NS6detail17trampoline_kernelINS0_13select_configILj256ELj13ELNS0_17block_load_methodE3ELS4_3ELS4_3ELNS0_20block_scan_algorithmE0ELj4294967295EEENS1_25partition_config_selectorILNS1_17partition_subalgoE3EjNS0_10empty_typeEbEEZZNS1_14partition_implILS8_3ELb0ES6_jNS0_17counting_iteratorIjlEEPS9_SE_NS0_5tupleIJPjSE_EEENSF_IJSE_SE_EEES9_SG_JZNS1_25segmented_radix_sort_implINS0_14default_configELb1EPKfPfPKlPlN2at6native12_GLOBAL__N_18offset_tEEE10hipError_tPvRmT1_PNSt15iterator_traitsISY_E10value_typeET2_T3_PNSZ_IS14_E10value_typeET4_jRbjT5_S1A_jjP12ihipStream_tbEUljE_EEESV_SW_SX_S14_S18_S1A_T6_T7_T9_mT8_S1C_bDpT10_ENKUlT_T0_E_clISt17integral_constantIbLb0EES1O_IbLb1EEEEDaS1K_S1L_EUlS1K_E_NS1_11comp_targetILNS1_3genE8ELNS1_11target_archE1030ELNS1_3gpuE2ELNS1_3repE0EEENS1_30default_config_static_selectorELNS0_4arch9wavefront6targetE0EEEvSY_.uses_flat_scratch, 0
	.set _ZN7rocprim17ROCPRIM_400000_NS6detail17trampoline_kernelINS0_13select_configILj256ELj13ELNS0_17block_load_methodE3ELS4_3ELS4_3ELNS0_20block_scan_algorithmE0ELj4294967295EEENS1_25partition_config_selectorILNS1_17partition_subalgoE3EjNS0_10empty_typeEbEEZZNS1_14partition_implILS8_3ELb0ES6_jNS0_17counting_iteratorIjlEEPS9_SE_NS0_5tupleIJPjSE_EEENSF_IJSE_SE_EEES9_SG_JZNS1_25segmented_radix_sort_implINS0_14default_configELb1EPKfPfPKlPlN2at6native12_GLOBAL__N_18offset_tEEE10hipError_tPvRmT1_PNSt15iterator_traitsISY_E10value_typeET2_T3_PNSZ_IS14_E10value_typeET4_jRbjT5_S1A_jjP12ihipStream_tbEUljE_EEESV_SW_SX_S14_S18_S1A_T6_T7_T9_mT8_S1C_bDpT10_ENKUlT_T0_E_clISt17integral_constantIbLb0EES1O_IbLb1EEEEDaS1K_S1L_EUlS1K_E_NS1_11comp_targetILNS1_3genE8ELNS1_11target_archE1030ELNS1_3gpuE2ELNS1_3repE0EEENS1_30default_config_static_selectorELNS0_4arch9wavefront6targetE0EEEvSY_.has_dyn_sized_stack, 0
	.set _ZN7rocprim17ROCPRIM_400000_NS6detail17trampoline_kernelINS0_13select_configILj256ELj13ELNS0_17block_load_methodE3ELS4_3ELS4_3ELNS0_20block_scan_algorithmE0ELj4294967295EEENS1_25partition_config_selectorILNS1_17partition_subalgoE3EjNS0_10empty_typeEbEEZZNS1_14partition_implILS8_3ELb0ES6_jNS0_17counting_iteratorIjlEEPS9_SE_NS0_5tupleIJPjSE_EEENSF_IJSE_SE_EEES9_SG_JZNS1_25segmented_radix_sort_implINS0_14default_configELb1EPKfPfPKlPlN2at6native12_GLOBAL__N_18offset_tEEE10hipError_tPvRmT1_PNSt15iterator_traitsISY_E10value_typeET2_T3_PNSZ_IS14_E10value_typeET4_jRbjT5_S1A_jjP12ihipStream_tbEUljE_EEESV_SW_SX_S14_S18_S1A_T6_T7_T9_mT8_S1C_bDpT10_ENKUlT_T0_E_clISt17integral_constantIbLb0EES1O_IbLb1EEEEDaS1K_S1L_EUlS1K_E_NS1_11comp_targetILNS1_3genE8ELNS1_11target_archE1030ELNS1_3gpuE2ELNS1_3repE0EEENS1_30default_config_static_selectorELNS0_4arch9wavefront6targetE0EEEvSY_.has_recursion, 0
	.set _ZN7rocprim17ROCPRIM_400000_NS6detail17trampoline_kernelINS0_13select_configILj256ELj13ELNS0_17block_load_methodE3ELS4_3ELS4_3ELNS0_20block_scan_algorithmE0ELj4294967295EEENS1_25partition_config_selectorILNS1_17partition_subalgoE3EjNS0_10empty_typeEbEEZZNS1_14partition_implILS8_3ELb0ES6_jNS0_17counting_iteratorIjlEEPS9_SE_NS0_5tupleIJPjSE_EEENSF_IJSE_SE_EEES9_SG_JZNS1_25segmented_radix_sort_implINS0_14default_configELb1EPKfPfPKlPlN2at6native12_GLOBAL__N_18offset_tEEE10hipError_tPvRmT1_PNSt15iterator_traitsISY_E10value_typeET2_T3_PNSZ_IS14_E10value_typeET4_jRbjT5_S1A_jjP12ihipStream_tbEUljE_EEESV_SW_SX_S14_S18_S1A_T6_T7_T9_mT8_S1C_bDpT10_ENKUlT_T0_E_clISt17integral_constantIbLb0EES1O_IbLb1EEEEDaS1K_S1L_EUlS1K_E_NS1_11comp_targetILNS1_3genE8ELNS1_11target_archE1030ELNS1_3gpuE2ELNS1_3repE0EEENS1_30default_config_static_selectorELNS0_4arch9wavefront6targetE0EEEvSY_.has_indirect_call, 0
	.section	.AMDGPU.csdata,"",@progbits
; Kernel info:
; codeLenInByte = 0
; TotalNumSgprs: 0
; NumVgprs: 0
; ScratchSize: 0
; MemoryBound: 0
; FloatMode: 240
; IeeeMode: 1
; LDSByteSize: 0 bytes/workgroup (compile time only)
; SGPRBlocks: 0
; VGPRBlocks: 0
; NumSGPRsForWavesPerEU: 1
; NumVGPRsForWavesPerEU: 1
; NamedBarCnt: 0
; Occupancy: 16
; WaveLimiterHint : 0
; COMPUTE_PGM_RSRC2:SCRATCH_EN: 0
; COMPUTE_PGM_RSRC2:USER_SGPR: 2
; COMPUTE_PGM_RSRC2:TRAP_HANDLER: 0
; COMPUTE_PGM_RSRC2:TGID_X_EN: 1
; COMPUTE_PGM_RSRC2:TGID_Y_EN: 0
; COMPUTE_PGM_RSRC2:TGID_Z_EN: 0
; COMPUTE_PGM_RSRC2:TIDIG_COMP_CNT: 0
	.text
	.p2align	2                               ; -- Begin function _ZN7rocprim17ROCPRIM_400000_NS6detail40segmented_radix_sort_single_block_helperIflLj256ELj17ELb1EE4sortIPKfPfPKlPlEEbT_T0_T1_T2_jjjjRNS3_12storage_typeE
	.type	_ZN7rocprim17ROCPRIM_400000_NS6detail40segmented_radix_sort_single_block_helperIflLj256ELj17ELb1EE4sortIPKfPfPKlPlEEbT_T0_T1_T2_jjjjRNS3_12storage_typeE,@function
_ZN7rocprim17ROCPRIM_400000_NS6detail40segmented_radix_sort_single_block_helperIflLj256ELj17ELb1EE4sortIPKfPfPKlPlEEbT_T0_T1_T2_jjjjRNS3_12storage_typeE: ; @_ZN7rocprim17ROCPRIM_400000_NS6detail40segmented_radix_sort_single_block_helperIflLj256ELj17ELb1EE4sortIPKfPfPKlPlEEbT_T0_T1_T2_jjjjRNS3_12storage_typeE
; %bb.0:
	s_wait_loadcnt_dscnt 0x0
	s_wait_kmcnt 0x0
	s_set_vgpr_msb 64                       ;  msbs: dst=1 src0=0 src1=0 src2=0
	v_sub_nc_u32_e32 v10 /*v266*/, v9, v8
	s_mov_b32 s21, exec_lo
	s_set_vgpr_msb 4                        ;  msbs: dst=0 src0=0 src1=1 src2=0
	s_delay_alu instid0(VALU_DEP_1)
	v_cmpx_gt_u32_e32 0x1101, v10 /*v266*/
	s_set_vgpr_msb 0                        ;  msbs: dst=0 src0=0 src1=0 src2=0
	s_cbranch_execz .LBB1319_382
; %bb.1:
	v_bfe_u32 v9, v31, 10, 10
	v_bfe_u32 v14, v31, 20, 10
	v_and_b32_e32 v22, 0x3ff, v31
	v_mbcnt_lo_u32_b32 v68, -1, 0
	s_getreg_b32 s22, hwreg(HW_REG_IB_STS2, 6, 4)
	s_mov_b32 s0, exec_lo
	s_set_vgpr_msb 4                        ;  msbs: dst=0 src0=0 src1=1 src2=0
	v_cmpx_lt_u32_e32 0x800, v10 /*v266*/
	s_xor_b32 s20, exec_lo, s0
	s_set_vgpr_msb 0                        ;  msbs: dst=0 src0=0 src1=0 src2=0
	s_cbranch_execz .LBB1319_151
; %bb.2:
	s_load_b64 s[0:1], s[8:9], 0x0
	s_bfe_u32 s3, ttmp6, 0x4000c
	s_bfe_u32 s5, ttmp6, 0x40010
	s_and_b32 s4, ttmp7, 0xffff
	s_add_co_i32 s3, s3, 1
	s_add_co_i32 s5, s5, 1
	s_and_b32 s2, ttmp6, 15
	s_bfe_u32 s6, ttmp6, 0x40004
	s_mul_i32 s3, ttmp9, s3
	s_mul_i32 s5, s4, s5
	s_add_co_i32 s2, s2, s3
	s_add_co_i32 s6, s6, s5
	s_cmp_eq_u32 s22, 0
	s_mov_b32 s3, 0
	s_cselect_b32 s2, ttmp9, s2
	s_cselect_b32 s4, s4, s6
	s_wait_kmcnt 0x0
	s_cmp_lt_u32 s2, s0
	s_cselect_b32 s2, 12, 18
	s_cmp_lt_u32 s4, s1
	s_mov_b32 s1, s3
	s_cselect_b32 s0, 14, 20
	s_delay_alu instid0(SALU_CYCLE_1)
	s_add_nc_u64 s[0:1], s[8:9], s[0:1]
	s_load_u16 s4, s[0:1], 0x0
	s_wait_xcnt 0x0
	s_add_nc_u64 s[0:1], s[8:9], s[2:3]
	s_load_u16 s0, s[0:1], 0x0
	s_wait_kmcnt 0x0
	v_mad_u32_u24 v9, v14, s4, v9
	v_lshlrev_b32_e32 v14, 2, v68
	s_delay_alu instid0(VALU_DEP_2) | instskip(SKIP_1) | instid1(VALU_DEP_1)
	v_mad_u32 v38, v9, s0, v22
	v_mov_b32_e32 v9, 0
	v_lshl_add_u64 v[16:17], v[8:9], 2, v[0:1]
	v_dual_mov_b32 v15, v9 :: v_dual_mov_b32 v1, v9
	s_delay_alu instid0(VALU_DEP_4) | instskip(NEXT) | instid1(VALU_DEP_2)
	v_and_b32_e32 v18, 0xffffffe0, v38
	v_add_nc_u64_e32 v[14:15], v[16:17], v[14:15]
	v_dual_mov_b32 v17, -1 :: v_dual_mov_b32 v16, -1
	s_delay_alu instid0(VALU_DEP_3) | instskip(NEXT) | instid1(VALU_DEP_1)
	v_lshl_add_u32 v0, v18, 4, v18
	v_or_b32_e32 v33, v0, v68
	s_delay_alu instid0(VALU_DEP_4) | instskip(SKIP_1) | instid1(VALU_DEP_2)
	v_lshl_add_u64 v[14:15], v[0:1], 2, v[14:15]
	s_set_vgpr_msb 4                        ;  msbs: dst=0 src0=0 src1=1 src2=0
	v_cmp_lt_u32_e32 vcc_lo, v33, v10 /*v266*/
	s_and_saveexec_b32 s0, vcc_lo
	s_set_vgpr_msb 0                        ;  msbs: dst=0 src0=0 src1=0 src2=0
	s_cbranch_execz .LBB1319_4
; %bb.3:
	flat_load_b32 v17, v[14:15]
.LBB1319_4:
	s_wait_xcnt 0x0
	s_or_b32 exec_lo, exec_lo, s0
	v_add_nc_u32_e32 v18, 32, v33
	s_set_vgpr_msb 4                        ;  msbs: dst=0 src0=0 src1=1 src2=0
	s_delay_alu instid0(VALU_DEP_1)
	v_cmp_lt_u32_e64 s0, v18, v10 /*v266*/
	s_and_saveexec_b32 s1, s0
	s_set_vgpr_msb 0                        ;  msbs: dst=0 src0=0 src1=0 src2=0
	s_cbranch_execz .LBB1319_6
; %bb.5:
	flat_load_b32 v16, v[14:15] offset:128
.LBB1319_6:
	s_wait_xcnt 0x0
	s_or_b32 exec_lo, exec_lo, s1
	v_dual_mov_b32 v18, -1 :: v_dual_add_nc_u32 v19, 64, v33
	s_set_vgpr_msb 4                        ;  msbs: dst=0 src0=0 src1=1 src2=0
	s_delay_alu instid0(VALU_DEP_1)
	v_cmp_lt_u32_e64 s1, v19, v10 /*v266*/
	v_mov_b32_e32 v19, -1
	s_and_saveexec_b32 s2, s1
	s_set_vgpr_msb 0                        ;  msbs: dst=0 src0=0 src1=0 src2=0
	s_cbranch_execz .LBB1319_8
; %bb.7:
	flat_load_b32 v19, v[14:15] offset:256
.LBB1319_8:
	s_wait_xcnt 0x0
	s_or_b32 exec_lo, exec_lo, s2
	v_add_nc_u32_e32 v20, 0x60, v33
	s_set_vgpr_msb 4                        ;  msbs: dst=0 src0=0 src1=1 src2=0
	s_delay_alu instid0(VALU_DEP_1)
	v_cmp_lt_u32_e64 s2, v20, v10 /*v266*/
	s_and_saveexec_b32 s3, s2
	s_set_vgpr_msb 0                        ;  msbs: dst=0 src0=0 src1=0 src2=0
	s_cbranch_execz .LBB1319_10
; %bb.9:
	flat_load_b32 v18, v[14:15] offset:384
.LBB1319_10:
	s_wait_xcnt 0x0
	s_or_b32 exec_lo, exec_lo, s3
	v_dual_mov_b32 v20, -1 :: v_dual_add_nc_u32 v21, 0x80, v33
	s_set_vgpr_msb 4                        ;  msbs: dst=0 src0=0 src1=1 src2=0
	s_delay_alu instid0(VALU_DEP_1)
	v_cmp_lt_u32_e64 s3, v21, v10 /*v266*/
	v_mov_b32_e32 v21, -1
	s_and_saveexec_b32 s4, s3
	s_set_vgpr_msb 0                        ;  msbs: dst=0 src0=0 src1=0 src2=0
	s_cbranch_execz .LBB1319_12
; %bb.11:
	flat_load_b32 v21, v[14:15] offset:512
.LBB1319_12:
	;; [unrolled: 25-line block ×7, first 2 shown]
	s_wait_xcnt 0x0
	s_or_b32 exec_lo, exec_lo, s16
	v_add_nc_u32_e32 v34, 0x1e0, v33
	s_set_vgpr_msb 4                        ;  msbs: dst=0 src0=0 src1=1 src2=0
	s_delay_alu instid0(VALU_DEP_1)
	v_cmp_lt_u32_e64 s16, v34, v10 /*v266*/
	s_and_saveexec_b32 s17, s16
	s_set_vgpr_msb 0                        ;  msbs: dst=0 src0=0 src1=0 src2=0
	s_cbranch_execz .LBB1319_34
; %bb.33:
	flat_load_b32 v31, v[14:15] offset:1920
.LBB1319_34:
	s_wait_xcnt 0x0
	s_or_b32 exec_lo, exec_lo, s17
	v_add_nc_u32_e32 v33, 0x200, v33
	s_set_vgpr_msb 4                        ;  msbs: dst=0 src0=0 src1=1 src2=0
	s_delay_alu instid0(VALU_DEP_1)
	v_cmp_lt_u32_e64 s17, v33, v10 /*v266*/
	v_mov_b32_e32 v33, -1
	s_and_saveexec_b32 s18, s17
	s_set_vgpr_msb 0                        ;  msbs: dst=0 src0=0 src1=0 src2=0
	s_cbranch_execz .LBB1319_36
; %bb.35:
	flat_load_b32 v33, v[14:15] offset:2048
.LBB1319_36:
	s_wait_xcnt 0x0
	s_or_b32 exec_lo, exec_lo, s18
	v_lshl_add_u64 v[4:5], v[8:9], 3, v[4:5]
	v_dual_mov_b32 v15, 0 :: v_dual_lshlrev_b32 v14, 3, v68
                                        ; implicit-def: $vgpr70_vgpr71
	s_delay_alu instid0(VALU_DEP_1) | instskip(NEXT) | instid1(VALU_DEP_1)
	v_add_nc_u64_e32 v[4:5], v[4:5], v[14:15]
	v_lshl_add_u64 v[0:1], v[0:1], 3, v[4:5]
	s_and_saveexec_b32 s18, vcc_lo
	s_cbranch_execnz .LBB1319_204
; %bb.37:
	s_or_b32 exec_lo, exec_lo, s18
                                        ; implicit-def: $vgpr80_vgpr81
	s_and_saveexec_b32 s18, s0
	s_cbranch_execnz .LBB1319_205
.LBB1319_38:
	s_or_b32 exec_lo, exec_lo, s18
                                        ; implicit-def: $vgpr82_vgpr83
	s_and_saveexec_b32 s0, s1
	s_cbranch_execnz .LBB1319_206
.LBB1319_39:
	s_or_b32 exec_lo, exec_lo, s0
                                        ; implicit-def: $vgpr84_vgpr85
	s_and_saveexec_b32 s0, s2
	s_cbranch_execnz .LBB1319_207
.LBB1319_40:
	s_or_b32 exec_lo, exec_lo, s0
                                        ; implicit-def: $vgpr86_vgpr87
	s_and_saveexec_b32 s0, s3
	s_cbranch_execnz .LBB1319_208
.LBB1319_41:
	s_or_b32 exec_lo, exec_lo, s0
                                        ; implicit-def: $vgpr96_vgpr97
	s_and_saveexec_b32 s0, s4
	s_cbranch_execnz .LBB1319_209
.LBB1319_42:
	s_or_b32 exec_lo, exec_lo, s0
                                        ; implicit-def: $vgpr98_vgpr99
	s_and_saveexec_b32 s0, s5
	s_cbranch_execnz .LBB1319_210
.LBB1319_43:
	s_or_b32 exec_lo, exec_lo, s0
                                        ; implicit-def: $vgpr100_vgpr101
	s_and_saveexec_b32 s0, s6
	s_cbranch_execnz .LBB1319_211
.LBB1319_44:
	s_or_b32 exec_lo, exec_lo, s0
                                        ; implicit-def: $vgpr102_vgpr103
	s_and_saveexec_b32 s0, s7
	s_cbranch_execnz .LBB1319_212
.LBB1319_45:
	s_or_b32 exec_lo, exec_lo, s0
                                        ; implicit-def: $vgpr112_vgpr113
	s_and_saveexec_b32 s0, s10
	s_cbranch_execnz .LBB1319_213
.LBB1319_46:
	s_or_b32 exec_lo, exec_lo, s0
                                        ; implicit-def: $vgpr114_vgpr115
	s_and_saveexec_b32 s0, s11
	s_cbranch_execnz .LBB1319_214
.LBB1319_47:
	s_or_b32 exec_lo, exec_lo, s0
                                        ; implicit-def: $vgpr118_vgpr119
	s_and_saveexec_b32 s0, s12
	s_cbranch_execnz .LBB1319_215
.LBB1319_48:
	s_or_b32 exec_lo, exec_lo, s0
                                        ; implicit-def: $vgpr130_vgpr131
	s_and_saveexec_b32 s0, s13
	s_cbranch_execnz .LBB1319_216
.LBB1319_49:
	s_or_b32 exec_lo, exec_lo, s0
                                        ; implicit-def: $vgpr116_vgpr117
	s_and_saveexec_b32 s0, s14
	s_cbranch_execnz .LBB1319_217
.LBB1319_50:
	s_or_b32 exec_lo, exec_lo, s0
                                        ; implicit-def: $vgpr128_vgpr129
	s_and_saveexec_b32 s0, s15
	s_cbranch_execnz .LBB1319_218
.LBB1319_51:
	s_or_b32 exec_lo, exec_lo, s0
                                        ; implicit-def: $vgpr132_vgpr133
	s_and_saveexec_b32 s0, s16
	s_cbranch_execnz .LBB1319_219
.LBB1319_52:
	s_or_b32 exec_lo, exec_lo, s0
                                        ; implicit-def: $vgpr182_vgpr183
	s_and_saveexec_b32 s0, s17
	s_cbranch_execz .LBB1319_54
.LBB1319_53:
	flat_load_b64 v[182:183], v[0:1] offset:4096
.LBB1319_54:
	s_wait_xcnt 0x0
	s_or_b32 exec_lo, exec_lo, s0
	s_wait_loadcnt_dscnt 0x0
	v_cmp_gt_i32_e32 vcc_lo, 0, v17
	s_get_pc_i64 s[0:1]
	s_add_nc_u64 s[0:1], s[0:1], _ZN7rocprim17ROCPRIM_400000_NS16block_radix_sortIfLj256ELj17ElLj1ELj1ELj8ELNS0_26block_radix_rank_algorithmE2ELNS0_18block_padding_hintE2ELNS0_4arch9wavefront6targetE0EE19radix_bits_per_passE@rel64+4
	v_and_b32_e32 v15, 7, v68
	s_load_b32 s23, s[0:1], 0x0
	v_mov_b64_e32 v[52:53], 0
	v_cndmask_b32_e64 v0, 0x7fffffff, 0, vcc_lo
	v_cmp_gt_i32_e32 vcc_lo, 0, v16
	v_cmp_lt_u32_e64 s7, 31, v22
	v_cmp_eq_u32_e64 s10, 0, v22
	v_cmp_eq_u32_e64 s11, 0, v15
	v_xor_b32_e32 v209, v0, v17
	v_cndmask_b32_e64 v1, 0x7fffffff, 0, vcc_lo
	v_cmp_gt_i32_e32 vcc_lo, 0, v19
	v_cmp_lt_u32_e64 s12, 1, v15
	v_cmp_lt_u32_e64 s13, 3, v15
	s_set_vgpr_msb 64                       ;  msbs: dst=1 src0=0 src1=0 src2=0
	v_sub_nc_u32_e32 v46 /*v302*/, v11, v10
	s_set_vgpr_msb 0                        ;  msbs: dst=0 src0=0 src1=0 src2=0
	v_xor_b32_e32 v163, v1, v16
	v_cndmask_b32_e64 v4, 0x7fffffff, 0, vcc_lo
	v_cmp_gt_i32_e32 vcc_lo, 0, v18
	s_mov_b32 s24, 0
	s_wait_storecnt 0x0
	s_barrier_signal -1
	v_xor_b32_e32 v165, v4, v19
	v_cndmask_b32_e64 v5, 0x7fffffff, 0, vcc_lo
	v_cmp_gt_i32_e32 vcc_lo, 0, v21
	s_barrier_wait -1
	s_delay_alu instid0(VALU_DEP_2) | instskip(SKIP_2) | instid1(VALU_DEP_2)
	v_xor_b32_e32 v167, v5, v18
	v_cndmask_b32_e64 v0, 0x7fffffff, 0, vcc_lo
	v_cmp_gt_i32_e32 vcc_lo, 0, v20
	v_xor_b32_e32 v197, v0, v21
	v_cndmask_b32_e64 v1, 0x7fffffff, 0, vcc_lo
	v_cmp_gt_i32_e32 vcc_lo, 0, v24
	s_delay_alu instid0(VALU_DEP_2) | instskip(SKIP_2) | instid1(VALU_DEP_2)
	v_xor_b32_e32 v181, v1, v20
	v_cndmask_b32_e64 v4, 0x7fffffff, 0, vcc_lo
	v_cmp_gt_i32_e32 vcc_lo, 0, v23
	v_xor_b32_e32 v193, v4, v24
	v_cndmask_b32_e64 v5, 0x7fffffff, 0, vcc_lo
	v_cmp_gt_i32_e32 vcc_lo, 0, v26
	;; [unrolled: 7-line block ×5, first 2 shown]
	v_lshl_add_u32 v5, v22, 5, v12
	s_delay_alu instid0(VALU_DEP_3) | instskip(SKIP_3) | instid1(VALU_DEP_3)
	v_xor_b32_e32 v145, v14, v29
	v_cndmask_b32_e64 v0, 0x7fffffff, 0, vcc_lo
	v_cmp_gt_i32_e32 vcc_lo, 0, v31
	v_sub_co_u32 v14, s2, v68, 1
	v_dual_add_nc_u32 v23, 32, v5 :: v_dual_bitop2_b32 v149, v0, v32 bitop3:0x14
	v_cndmask_b32_e64 v1, 0x7fffffff, 0, vcc_lo
	v_cmp_gt_i32_e32 vcc_lo, 0, v33
	v_and_b32_e32 v0, 0x3e0, v22
	v_cmp_gt_i32_e64 s6, 0, v14
	s_delay_alu instid0(VALU_DEP_4)
	v_dual_add_nc_u32 v39, 36, v5 :: v_dual_bitop2_b32 v161, v1, v31 bitop3:0x14
	v_cndmask_b32_e64 v4, 0x7fffffff, 0, vcc_lo
	v_and_b32_e32 v1, 15, v68
	s_set_vgpr_msb 64                       ;  msbs: dst=1 src0=0 src1=0 src2=0
	v_dual_add_nc_u32 v11 /*v267*/, 40, v5 :: v_dual_add_nc_u32 v12 /*v268*/, 44, v5
	v_dual_add_nc_u32 v13 /*v269*/, 48, v5 :: v_dual_add_nc_u32 v14 /*v270*/, 52, v5
	s_set_vgpr_msb 0                        ;  msbs: dst=0 src0=0 src1=0 src2=0
	v_xor_b32_e32 v151, v4, v33
	v_min_u32_e32 v4, 0xe0, v0
	v_mul_u32_u24_e32 v0, 17, v0
	v_cmp_eq_u32_e32 vcc_lo, 0, v1
	s_wait_xcnt 0x0
	v_cmp_lt_u32_e64 s0, 1, v1
	v_cmp_lt_u32_e64 s1, 3, v1
	v_or_b32_e32 v4, 31, v4
	v_or_b32_e32 v0, v68, v0
	v_cmp_lt_u32_e64 s3, 7, v1
	v_cndmask_b32_e64 v1, v14, v68, s6
	s_set_vgpr_msb 64                       ;  msbs: dst=1 src0=0 src1=0 src2=0
	v_dual_add_nc_u32 v15 /*v271*/, 56, v5 :: v_dual_add_nc_u32 v16 /*v272*/, 60, v5
	v_cmp_eq_u32_e64 s5, v22, v4
	s_set_vgpr_msb 0                        ;  msbs: dst=0 src0=0 src1=0 src2=0
	v_dual_lshrrev_b32 v4, 3, v22 :: v_dual_lshlrev_b32 v14, 2, v0
	s_set_vgpr_msb 64                       ;  msbs: dst=1 src0=0 src1=0 src2=0
	v_dual_lshrrev_b32 v17 /*v273*/, 5, v38 :: v_dual_lshlrev_b32 v18 /*v274*/, 2, v1
	s_set_vgpr_msb 0                        ;  msbs: dst=0 src0=0 src1=0 src2=0
	v_and_b32_e32 v5, 16, v68
	v_and_b32_e32 v4, 0x7c, v4
	s_set_vgpr_msb 64                       ;  msbs: dst=1 src0=0 src1=0 src2=0
	v_add_nc_u32_e32 v20 /*v276*/, v12, v14
	s_set_vgpr_msb 0                        ;  msbs: dst=0 src0=0 src1=0 src2=0
	v_dual_mov_b32 v1, 0 :: v_dual_lshlrev_b32 v0, 2, v22
	v_cmp_eq_u32_e64 s4, 0, v5
	s_set_vgpr_msb 64                       ;  msbs: dst=1 src0=0 src1=0 src2=0
	v_add_nc_u32_e32 v19 /*v275*/, v12, v4
	s_set_vgpr_msb 0x41                     ;  msbs: dst=1 src0=1 src1=0 src2=0
	v_add_nc_u32_e32 v25 /*v281*/, v20 /*v276*/, v14
	v_cmp_gt_u32_e64 s6, 8, v22
	s_set_vgpr_msb 0                        ;  msbs: dst=0 src0=0 src1=0 src2=0
	v_add_nc_u64_e32 v[4:5], v[12:13], v[0:1]
	s_set_vgpr_msb 4                        ;  msbs: dst=0 src0=0 src1=1 src2=0
	v_add_nc_u32_e32 v5, 0x400, v20 /*v276*/
	s_set_vgpr_msb 0x44                     ;  msbs: dst=1 src0=0 src1=1 src2=0
	v_add_nc_u32_e32 v21 /*v277*/, 0x480, v20 /*v276*/
	v_add_nc_u32_e32 v22 /*v278*/, 0x500, v20 /*v276*/
	;; [unrolled: 1-line block ×24, first 2 shown]
	s_set_vgpr_msb 0                        ;  msbs: dst=0 src0=0 src1=0 src2=0
	s_branch .LBB1319_56
.LBB1319_55:                            ;   in Loop: Header=BB1319_56 Depth=1
	s_or_b32 exec_lo, exec_lo, s15
	s_delay_alu instid0(SALU_CYCLE_1) | instskip(NEXT) | instid1(SALU_CYCLE_1)
	s_and_b32 s14, exec_lo, s16
	s_or_b32 s24, s14, s24
	s_delay_alu instid0(SALU_CYCLE_1)
	s_and_not1_b32 exec_lo, exec_lo, s24
	s_cbranch_execz .LBB1319_98
.LBB1319_56:                            ; =>This Inner Loop Header: Depth=1
	s_set_vgpr_msb 64                       ;  msbs: dst=1 src0=0 src1=0 src2=0
	v_dual_mov_b32 v47 /*v303*/, v209 :: v_dual_mov_b32 v50 /*v306*/, v163
	s_wait_kmcnt 0x0
	s_set_vgpr_msb 4                        ;  msbs: dst=0 src0=0 src1=1 src2=0
	v_min_u32_e32 v0, s23, v46 /*v302*/
	v_mov_b64_e32 v[48:49], v[80:81]
	v_mov_b64_e32 v[50:51], v[70:71]
	v_cmp_ne_u32_e64 s14, 0x80000000, v47 /*v303*/
	v_mov_b64_e32 v[36:37], v[82:83]
	v_lshlrev_b32_e64 v80, v0, -1
	v_mov_b64_e32 v[34:35], v[84:85]
	v_mov_b64_e32 v[32:33], v[86:87]
	v_cndmask_b32_e64 v68, 0x7fffffff, v47 /*v303*/, s14
	v_mov_b64_e32 v[30:31], v[96:97]
	v_mov_b64_e32 v[28:29], v[98:99]
	;; [unrolled: 1-line block ×4, first 2 shown]
	s_set_vgpr_msb 0                        ;  msbs: dst=0 src0=0 src1=0 src2=0
	v_lshrrev_b32_e32 v0, v10, v68
	v_mov_b64_e32 v[16:17], v[112:113]
	v_mov_b64_e32 v[26:27], v[114:115]
	;; [unrolled: 1-line block ×4, first 2 shown]
	v_bitop3_b32 v70, v0, v80, v0 bitop3:0x30
	v_mov_b64_e32 v[66:67], v[116:117]
	v_mov_b64_e32 v[64:65], v[128:129]
	;; [unrolled: 1-line block ×4, first 2 shown]
	v_lshlrev_b32_e32 v71, 30, v70
	v_bitop3_b32 v0, v0, 1, v80 bitop3:0x40
	v_lshlrev_b32_e32 v85, 25, v70
	s_set_vgpr_msb 64                       ;  msbs: dst=1 src0=0 src1=0 src2=0
	v_dual_mov_b32 v49 /*v305*/, v165 :: v_dual_mov_b32 v48 /*v304*/, v167
	s_set_vgpr_msb 0                        ;  msbs: dst=0 src0=0 src1=0 src2=0
	v_not_b32_e32 v82, v71
	v_add_co_u32 v0, s14, v0, -1
	s_delay_alu instid0(VALU_DEP_1)
	v_cndmask_b32_e64 v81, 0, 1, s14
	v_cmp_gt_i32_e64 s15, 0, v71
	s_set_vgpr_msb 64                       ;  msbs: dst=1 src0=0 src1=0 src2=0
	v_dual_mov_b32 v51 /*v307*/, v197 :: v_dual_mov_b32 v53 /*v309*/, v181
	v_dual_mov_b32 v52 /*v308*/, v193 :: v_dual_mov_b32 v55 /*v311*/, v177
	v_cmp_ne_u32_e64 s14, 0, v81
	s_set_vgpr_msb 0                        ;  msbs: dst=0 src0=0 src1=0 src2=0
	v_lshlrev_b32_e32 v81, 29, v70
	v_ashrrev_i32_e32 v71, 31, v82
	v_lshlrev_b32_e32 v82, 28, v70
	s_set_vgpr_msb 64                       ;  msbs: dst=1 src0=0 src1=0 src2=0
	v_dual_mov_b32 v54 /*v310*/, v179 :: v_dual_mov_b32 v56 /*v312*/, v199
	s_set_vgpr_msb 0                        ;  msbs: dst=0 src0=0 src1=0 src2=0
	v_not_b32_e32 v83, v81
	v_xor_b32_e32 v0, s14, v0
	v_xor_b32_e32 v71, s15, v71
	v_not_b32_e32 v84, v82
	v_cmp_gt_i32_e64 s14, 0, v81
	v_dual_ashrrev_i32 v81, 31, v83 :: v_dual_lshlrev_b32 v83, 27, v70
	v_cmp_gt_i32_e64 s15, 0, v82
	s_delay_alu instid0(VALU_DEP_4) | instskip(SKIP_1) | instid1(VALU_DEP_4)
	v_ashrrev_i32_e32 v82, 31, v84
	v_bitop3_b32 v0, v0, v71, exec_lo bitop3:0x80
	v_dual_lshlrev_b32 v71, 26, v70 :: v_dual_bitop2_b32 v81, s14, v81 bitop3:0x14
	v_not_b32_e32 v84, v83
	s_delay_alu instid0(VALU_DEP_4) | instskip(SKIP_1) | instid1(VALU_DEP_4)
	v_xor_b32_e32 v82, s15, v82
	v_cmp_gt_i32_e64 s14, 0, v83
	v_not_b32_e32 v83, v71
	v_cmp_gt_i32_e64 s15, 0, v71
	v_dual_ashrrev_i32 v84, 31, v84 :: v_dual_lshlrev_b32 v71, 24, v70
	v_bitop3_b32 v0, v0, v82, v81 bitop3:0x80
	s_delay_alu instid0(VALU_DEP_4) | instskip(SKIP_1) | instid1(VALU_DEP_4)
	v_ashrrev_i32_e32 v83, 31, v83
	v_not_b32_e32 v81, v85
	v_xor_b32_e32 v82, s14, v84
	v_not_b32_e32 v84, v71
	v_cmp_gt_i32_e64 s14, 0, v85
	s_delay_alu instid0(VALU_DEP_4) | instskip(SKIP_1) | instid1(VALU_DEP_4)
	v_dual_ashrrev_i32 v81, 31, v81 :: v_dual_bitop2_b32 v83, s15, v83 bitop3:0x14
	v_cmp_gt_i32_e64 s15, 0, v71
	v_ashrrev_i32_e32 v71, 31, v84
	s_set_vgpr_msb 64                       ;  msbs: dst=1 src0=0 src1=0 src2=0
	v_dual_mov_b32 v57 /*v313*/, v195 :: v_dual_mov_b32 v59 /*v315*/, v135
	s_set_vgpr_msb 0                        ;  msbs: dst=0 src0=0 src1=0 src2=0
	v_bitop3_b32 v82, v0, v83, v82 bitop3:0x80
	v_xor_b32_e32 v81, s14, v81
	v_xor_b32_e32 v71, s15, v71
	s_set_vgpr_msb 16                       ;  msbs: dst=0 src0=0 src1=0 src2=1
	v_lshl_add_u32 v0, v70, 3, v17 /*v273*/
	s_set_vgpr_msb 64                       ;  msbs: dst=1 src0=0 src1=0 src2=0
	v_dual_mov_b32 v58 /*v314*/, v147 :: v_dual_mov_b32 v62 /*v318*/, v145
	v_dual_mov_b32 v61 /*v317*/, v149 :: v_dual_mov_b32 v60 /*v316*/, v161
	s_set_vgpr_msb 0                        ;  msbs: dst=0 src0=0 src1=0 src2=0
	v_bitop3_b32 v81, v82, v71, v81 bitop3:0x80
	v_lshl_add_u64 v[70:71], v[0:1], 2, v[12:13]
	s_set_vgpr_msb 64                       ;  msbs: dst=1 src0=0 src1=0 src2=0
	v_mov_b32_e32 v63 /*v319*/, v151
	ds_store_b64 v23, v[52:53]
	s_set_vgpr_msb 1                        ;  msbs: dst=0 src0=1 src1=0 src2=0
	ds_store_b64 v11 /*v267*/, v[52:53]
	ds_store_b64 v13 /*v269*/, v[52:53]
	;; [unrolled: 1-line block ×3, first 2 shown]
	s_set_vgpr_msb 0                        ;  msbs: dst=0 src0=0 src1=0 src2=0
	v_mbcnt_lo_u32_b32 v0, v81, 0
	v_add_nc_u64_e32 v[70:71], 32, v[70:71]
	v_cmp_ne_u32_e64 s15, 0, v81
	s_wait_dscnt 0x0
	s_barrier_signal -1
	v_cmp_eq_u32_e64 s14, 0, v0
	s_barrier_wait -1
	; wave barrier
	s_and_b32 s15, s15, s14
	s_delay_alu instid0(SALU_CYCLE_1)
	s_and_saveexec_b32 s14, s15
; %bb.57:                               ;   in Loop: Header=BB1319_56 Depth=1
	v_bcnt_u32_b32 v71, v81, 0
	ds_store_b32 v70, v71
; %bb.58:                               ;   in Loop: Header=BB1319_56 Depth=1
	s_or_b32 exec_lo, exec_lo, s14
	s_set_vgpr_msb 4                        ;  msbs: dst=0 src0=0 src1=1 src2=0
	v_cmp_ne_u32_e64 s14, 0x80000000, v50 /*v306*/
	v_not_b32_e32 v87, v80
	; wave barrier
	s_delay_alu instid0(VALU_DEP_2) | instskip(SKIP_1) | instid1(VALU_DEP_1)
	v_cndmask_b32_e64 v71, 0x7fffffff, v50 /*v306*/, s14
	s_set_vgpr_msb 0                        ;  msbs: dst=0 src0=0 src1=0 src2=0
	v_lshrrev_b32_e32 v71, v10, v71
	s_delay_alu instid0(VALU_DEP_1) | instskip(NEXT) | instid1(VALU_DEP_1)
	v_and_b32_e32 v80, v71, v87
	v_lshlrev_b32_e32 v83, 30, v80
	v_bitop3_b32 v71, v71, 1, v87 bitop3:0x80
	s_delay_alu instid0(VALU_DEP_2) | instskip(NEXT) | instid1(VALU_DEP_2)
	v_cmp_gt_i32_e64 s15, 0, v83
	v_add_co_u32 v71, s14, v71, -1
	s_delay_alu instid0(VALU_DEP_1) | instskip(NEXT) | instid1(VALU_DEP_1)
	v_cndmask_b32_e64 v82, 0, 1, s14
	v_cmp_ne_u32_e64 s14, 0, v82
	v_not_b32_e32 v82, v83
	s_delay_alu instid0(VALU_DEP_1)
	v_dual_ashrrev_i32 v82, 31, v82 :: v_dual_lshlrev_b32 v84, 29, v80
	v_dual_lshlrev_b32 v85, 28, v80 :: v_dual_lshlrev_b32 v86, 27, v80
	v_lshlrev_b32_e32 v96, 26, v80
	s_set_vgpr_msb 16                       ;  msbs: dst=0 src0=0 src1=0 src2=1
	v_lshl_add_u32 v81, v80, 3, v17 /*v273*/
	v_cmp_gt_i32_e64 s16, 0, v84
	v_not_b32_e32 v83, v84
	v_not_b32_e32 v84, v85
	v_cmp_gt_i32_e64 s17, 0, v85
	v_not_b32_e32 v85, v86
	v_xor_b32_e32 v71, s14, v71
	v_dual_ashrrev_i32 v83, 31, v83 :: v_dual_bitop2_b32 v82, s15, v82 bitop3:0x14
	v_ashrrev_i32_e32 v84, 31, v84
	v_dual_lshlrev_b32 v97, 25, v80 :: v_dual_lshlrev_b32 v80, 24, v80
	v_cmp_gt_i32_e64 s18, 0, v86
	v_not_b32_e32 v86, v96
	v_dual_ashrrev_i32 v85, 31, v85 :: v_dual_bitop2_b32 v83, s16, v83 bitop3:0x14
	v_xor_b32_e32 v84, s17, v84
	v_bitop3_b32 v71, v71, v82, exec_lo bitop3:0x80
	v_cmp_gt_i32_e64 s14, 0, v96
	v_ashrrev_i32_e32 v82, 31, v86
	v_not_b32_e32 v86, v97
	v_xor_b32_e32 v85, s18, v85
	s_set_vgpr_msb 0                        ;  msbs: dst=0 src0=0 src1=0 src2=0
	v_bitop3_b32 v71, v71, v84, v83 bitop3:0x80
	v_not_b32_e32 v83, v80
	v_xor_b32_e32 v82, s14, v82
	v_cmp_gt_i32_e64 s14, 0, v97
	v_ashrrev_i32_e32 v84, 31, v86
	v_cmp_gt_i32_e64 s15, 0, v80
	v_ashrrev_i32_e32 v80, 31, v83
	v_lshl_add_u32 v81, v81, 2, v12
	v_bitop3_b32 v82, v71, v82, v85 bitop3:0x80
	v_xor_b32_e32 v83, s14, v84
	s_delay_alu instid0(VALU_DEP_4) | instskip(SKIP_3) | instid1(VALU_DEP_1)
	v_xor_b32_e32 v80, s15, v80
	ds_load_b32 v71, v81 offset:32
	v_add_nc_u32_e32 v81, 32, v81
	; wave barrier
	v_bitop3_b32 v82, v82, v80, v83 bitop3:0x80
	v_mbcnt_lo_u32_b32 v80, v82, 0
	v_cmp_ne_u32_e64 s15, 0, v82
	s_delay_alu instid0(VALU_DEP_2) | instskip(SKIP_1) | instid1(SALU_CYCLE_1)
	v_cmp_eq_u32_e64 s14, 0, v80
	s_and_b32 s15, s15, s14
	s_and_saveexec_b32 s14, s15
	s_cbranch_execz .LBB1319_60
; %bb.59:                               ;   in Loop: Header=BB1319_56 Depth=1
	s_wait_dscnt 0x0
	v_bcnt_u32_b32 v82, v82, v71
	ds_store_b32 v81, v82
.LBB1319_60:                            ;   in Loop: Header=BB1319_56 Depth=1
	s_or_b32 exec_lo, exec_lo, s14
	s_set_vgpr_msb 4                        ;  msbs: dst=0 src0=0 src1=1 src2=0
	v_cmp_ne_u32_e64 s14, 0x80000000, v49 /*v305*/
	; wave barrier
	s_delay_alu instid0(VALU_DEP_1) | instskip(SKIP_1) | instid1(VALU_DEP_1)
	v_cndmask_b32_e64 v82, 0x7fffffff, v49 /*v305*/, s14
	s_set_vgpr_msb 0                        ;  msbs: dst=0 src0=0 src1=0 src2=0
	v_lshrrev_b32_e32 v82, v10, v82
	s_delay_alu instid0(VALU_DEP_1) | instskip(NEXT) | instid1(VALU_DEP_1)
	v_and_b32_e32 v83, v82, v87
	v_lshlrev_b32_e32 v86, 30, v83
	v_bitop3_b32 v82, v82, 1, v87 bitop3:0x80
	s_delay_alu instid0(VALU_DEP_2) | instskip(NEXT) | instid1(VALU_DEP_2)
	v_cmp_gt_i32_e64 s15, 0, v86
	v_add_co_u32 v82, s14, v82, -1
	s_delay_alu instid0(VALU_DEP_1) | instskip(NEXT) | instid1(VALU_DEP_1)
	v_cndmask_b32_e64 v85, 0, 1, s14
	v_cmp_ne_u32_e64 s14, 0, v85
	v_not_b32_e32 v85, v86
	s_delay_alu instid0(VALU_DEP_1)
	v_dual_ashrrev_i32 v85, 31, v85 :: v_dual_lshlrev_b32 v96, 29, v83
	v_dual_lshlrev_b32 v97, 28, v83 :: v_dual_lshlrev_b32 v98, 27, v83
	v_lshlrev_b32_e32 v99, 26, v83
	s_set_vgpr_msb 16                       ;  msbs: dst=0 src0=0 src1=0 src2=1
	v_lshl_add_u32 v84, v83, 3, v17 /*v273*/
	v_cmp_gt_i32_e64 s16, 0, v96
	v_not_b32_e32 v86, v96
	v_not_b32_e32 v96, v97
	v_dual_lshlrev_b32 v100, 25, v83 :: v_dual_lshlrev_b32 v83, 24, v83
	v_cmp_gt_i32_e64 s17, 0, v97
	v_cmp_gt_i32_e64 s18, 0, v98
	v_not_b32_e32 v97, v98
	v_dual_ashrrev_i32 v96, 31, v96 :: v_dual_bitop2_b32 v82, s14, v82 bitop3:0x14
	v_dual_ashrrev_i32 v86, 31, v86 :: v_dual_bitop2_b32 v85, s15, v85 bitop3:0x14
	v_not_b32_e32 v98, v99
	v_cmp_gt_i32_e64 s19, 0, v99
	s_delay_alu instid0(VALU_DEP_3)
	v_dual_ashrrev_i32 v97, 31, v97 :: v_dual_bitop2_b32 v86, s16, v86 bitop3:0x14
	v_xor_b32_e32 v96, s17, v96
	v_bitop3_b32 v82, v82, v85, exec_lo bitop3:0x80
	v_ashrrev_i32_e32 v85, 31, v98
	v_not_b32_e32 v98, v100
	v_not_b32_e32 v99, v83
	v_xor_b32_e32 v97, s18, v97
	s_set_vgpr_msb 0                        ;  msbs: dst=0 src0=0 src1=0 src2=0
	v_bitop3_b32 v82, v82, v96, v86 bitop3:0x80
	v_xor_b32_e32 v85, s19, v85
	v_cmp_gt_i32_e64 s14, 0, v100
	v_ashrrev_i32_e32 v86, 31, v98
	v_cmp_gt_i32_e64 s15, 0, v83
	v_ashrrev_i32_e32 v83, 31, v99
	v_lshl_add_u32 v84, v84, 2, v12
	v_bitop3_b32 v85, v82, v85, v97 bitop3:0x80
	v_xor_b32_e32 v86, s14, v86
	s_delay_alu instid0(VALU_DEP_4) | instskip(SKIP_3) | instid1(VALU_DEP_1)
	v_xor_b32_e32 v83, s15, v83
	ds_load_b32 v82, v84 offset:32
	v_add_nc_u32_e32 v84, 32, v84
	; wave barrier
	v_bitop3_b32 v85, v85, v83, v86 bitop3:0x80
	v_mbcnt_lo_u32_b32 v83, v85, 0
	v_cmp_ne_u32_e64 s15, 0, v85
	s_delay_alu instid0(VALU_DEP_2) | instskip(SKIP_1) | instid1(SALU_CYCLE_1)
	v_cmp_eq_u32_e64 s14, 0, v83
	s_and_b32 s15, s15, s14
	s_and_saveexec_b32 s14, s15
	s_cbranch_execz .LBB1319_62
; %bb.61:                               ;   in Loop: Header=BB1319_56 Depth=1
	s_wait_dscnt 0x0
	v_bcnt_u32_b32 v85, v85, v82
	ds_store_b32 v84, v85
.LBB1319_62:                            ;   in Loop: Header=BB1319_56 Depth=1
	s_or_b32 exec_lo, exec_lo, s14
	s_set_vgpr_msb 4                        ;  msbs: dst=0 src0=0 src1=1 src2=0
	v_cmp_ne_u32_e64 s14, 0x80000000, v48 /*v304*/
	; wave barrier
	s_delay_alu instid0(VALU_DEP_1) | instskip(SKIP_1) | instid1(VALU_DEP_1)
	v_cndmask_b32_e64 v85, 0x7fffffff, v48 /*v304*/, s14
	s_set_vgpr_msb 0                        ;  msbs: dst=0 src0=0 src1=0 src2=0
	v_lshrrev_b32_e32 v85, v10, v85
	s_delay_alu instid0(VALU_DEP_1) | instskip(NEXT) | instid1(VALU_DEP_1)
	v_and_b32_e32 v86, v85, v87
	v_lshlrev_b32_e32 v98, 30, v86
	v_bitop3_b32 v85, v85, 1, v87 bitop3:0x80
	s_delay_alu instid0(VALU_DEP_2) | instskip(NEXT) | instid1(VALU_DEP_2)
	v_cmp_gt_i32_e64 s15, 0, v98
	v_add_co_u32 v85, s14, v85, -1
	s_delay_alu instid0(VALU_DEP_1) | instskip(NEXT) | instid1(VALU_DEP_1)
	v_cndmask_b32_e64 v97, 0, 1, s14
	v_cmp_ne_u32_e64 s14, 0, v97
	v_not_b32_e32 v97, v98
	s_delay_alu instid0(VALU_DEP_1)
	v_dual_ashrrev_i32 v97, 31, v97 :: v_dual_lshlrev_b32 v99, 29, v86
	v_dual_lshlrev_b32 v100, 28, v86 :: v_dual_lshlrev_b32 v101, 27, v86
	v_lshlrev_b32_e32 v102, 26, v86
	s_set_vgpr_msb 16                       ;  msbs: dst=0 src0=0 src1=0 src2=1
	v_lshl_add_u32 v96, v86, 3, v17 /*v273*/
	v_cmp_gt_i32_e64 s16, 0, v99
	v_not_b32_e32 v98, v99
	v_not_b32_e32 v99, v100
	v_dual_lshlrev_b32 v103, 25, v86 :: v_dual_lshlrev_b32 v86, 24, v86
	v_cmp_gt_i32_e64 s17, 0, v100
	v_cmp_gt_i32_e64 s18, 0, v101
	v_not_b32_e32 v100, v101
	v_dual_ashrrev_i32 v98, 31, v98 :: v_dual_bitop2_b32 v85, s14, v85 bitop3:0x14
	v_dual_ashrrev_i32 v99, 31, v99 :: v_dual_bitop2_b32 v97, s15, v97 bitop3:0x14
	v_not_b32_e32 v101, v102
	v_cmp_gt_i32_e64 s19, 0, v102
	s_delay_alu instid0(VALU_DEP_4) | instskip(NEXT) | instid1(VALU_DEP_4)
	v_dual_ashrrev_i32 v100, 31, v100 :: v_dual_bitop2_b32 v98, s16, v98 bitop3:0x14
	v_xor_b32_e32 v99, s17, v99
	v_bitop3_b32 v85, v85, v97, exec_lo bitop3:0x80
	v_ashrrev_i32_e32 v97, 31, v101
	v_not_b32_e32 v101, v103
	v_not_b32_e32 v102, v86
	v_xor_b32_e32 v100, s18, v100
	s_set_vgpr_msb 0                        ;  msbs: dst=0 src0=0 src1=0 src2=0
	v_bitop3_b32 v85, v85, v99, v98 bitop3:0x80
	v_xor_b32_e32 v97, s19, v97
	v_cmp_gt_i32_e64 s14, 0, v103
	v_ashrrev_i32_e32 v98, 31, v101
	v_cmp_gt_i32_e64 s15, 0, v86
	v_ashrrev_i32_e32 v86, 31, v102
	v_lshl_add_u32 v96, v96, 2, v12
	v_bitop3_b32 v97, v85, v97, v100 bitop3:0x80
	v_xor_b32_e32 v98, s14, v98
	s_delay_alu instid0(VALU_DEP_4) | instskip(SKIP_3) | instid1(VALU_DEP_1)
	v_xor_b32_e32 v86, s15, v86
	ds_load_b32 v85, v96 offset:32
	v_add_nc_u32_e32 v96, 32, v96
	; wave barrier
	v_bitop3_b32 v97, v97, v86, v98 bitop3:0x80
	v_mbcnt_lo_u32_b32 v86, v97, 0
	v_cmp_ne_u32_e64 s15, 0, v97
	s_delay_alu instid0(VALU_DEP_2) | instskip(SKIP_1) | instid1(SALU_CYCLE_1)
	v_cmp_eq_u32_e64 s14, 0, v86
	s_and_b32 s15, s15, s14
	s_and_saveexec_b32 s14, s15
	s_cbranch_execz .LBB1319_64
; %bb.63:                               ;   in Loop: Header=BB1319_56 Depth=1
	s_wait_dscnt 0x0
	v_bcnt_u32_b32 v97, v97, v85
	ds_store_b32 v96, v97
.LBB1319_64:                            ;   in Loop: Header=BB1319_56 Depth=1
	s_or_b32 exec_lo, exec_lo, s14
	s_set_vgpr_msb 4                        ;  msbs: dst=0 src0=0 src1=1 src2=0
	v_cmp_ne_u32_e64 s14, 0x80000000, v51 /*v307*/
	; wave barrier
	s_delay_alu instid0(VALU_DEP_1) | instskip(SKIP_1) | instid1(VALU_DEP_1)
	v_cndmask_b32_e64 v97, 0x7fffffff, v51 /*v307*/, s14
	s_set_vgpr_msb 0                        ;  msbs: dst=0 src0=0 src1=0 src2=0
	v_lshrrev_b32_e32 v97, v10, v97
	s_delay_alu instid0(VALU_DEP_1) | instskip(NEXT) | instid1(VALU_DEP_1)
	v_and_b32_e32 v98, v97, v87
	v_lshlrev_b32_e32 v101, 30, v98
	v_bitop3_b32 v97, v97, 1, v87 bitop3:0x80
	s_delay_alu instid0(VALU_DEP_2) | instskip(NEXT) | instid1(VALU_DEP_2)
	v_cmp_gt_i32_e64 s15, 0, v101
	v_add_co_u32 v97, s14, v97, -1
	s_delay_alu instid0(VALU_DEP_1) | instskip(NEXT) | instid1(VALU_DEP_1)
	v_cndmask_b32_e64 v100, 0, 1, s14
	v_cmp_ne_u32_e64 s14, 0, v100
	v_not_b32_e32 v100, v101
	s_delay_alu instid0(VALU_DEP_1)
	v_dual_ashrrev_i32 v100, 31, v100 :: v_dual_lshlrev_b32 v102, 29, v98
	v_dual_lshlrev_b32 v103, 28, v98 :: v_dual_lshlrev_b32 v112, 27, v98
	v_lshlrev_b32_e32 v113, 26, v98
	s_set_vgpr_msb 16                       ;  msbs: dst=0 src0=0 src1=0 src2=1
	v_lshl_add_u32 v99, v98, 3, v17 /*v273*/
	v_cmp_gt_i32_e64 s16, 0, v102
	v_not_b32_e32 v101, v102
	v_not_b32_e32 v102, v103
	v_dual_lshlrev_b32 v114, 25, v98 :: v_dual_lshlrev_b32 v98, 24, v98
	v_cmp_gt_i32_e64 s17, 0, v103
	v_cmp_gt_i32_e64 s18, 0, v112
	v_not_b32_e32 v103, v112
	v_dual_ashrrev_i32 v102, 31, v102 :: v_dual_bitop2_b32 v97, s14, v97 bitop3:0x14
	v_dual_ashrrev_i32 v101, 31, v101 :: v_dual_bitop2_b32 v100, s15, v100 bitop3:0x14
	v_not_b32_e32 v112, v113
	v_cmp_gt_i32_e64 s19, 0, v113
	s_delay_alu instid0(VALU_DEP_3)
	v_dual_ashrrev_i32 v103, 31, v103 :: v_dual_bitop2_b32 v101, s16, v101 bitop3:0x14
	v_xor_b32_e32 v102, s17, v102
	v_bitop3_b32 v97, v97, v100, exec_lo bitop3:0x80
	v_ashrrev_i32_e32 v100, 31, v112
	v_not_b32_e32 v112, v114
	v_not_b32_e32 v113, v98
	v_xor_b32_e32 v103, s18, v103
	s_set_vgpr_msb 0                        ;  msbs: dst=0 src0=0 src1=0 src2=0
	v_bitop3_b32 v97, v97, v102, v101 bitop3:0x80
	v_xor_b32_e32 v100, s19, v100
	v_cmp_gt_i32_e64 s14, 0, v114
	v_ashrrev_i32_e32 v101, 31, v112
	v_cmp_gt_i32_e64 s15, 0, v98
	v_ashrrev_i32_e32 v98, 31, v113
	v_lshl_add_u32 v99, v99, 2, v12
	v_bitop3_b32 v100, v97, v100, v103 bitop3:0x80
	v_xor_b32_e32 v101, s14, v101
	s_delay_alu instid0(VALU_DEP_4) | instskip(SKIP_3) | instid1(VALU_DEP_1)
	v_xor_b32_e32 v98, s15, v98
	ds_load_b32 v97, v99 offset:32
	v_add_nc_u32_e32 v99, 32, v99
	; wave barrier
	v_bitop3_b32 v100, v100, v98, v101 bitop3:0x80
	v_mbcnt_lo_u32_b32 v98, v100, 0
	v_cmp_ne_u32_e64 s15, 0, v100
	s_delay_alu instid0(VALU_DEP_2) | instskip(SKIP_1) | instid1(SALU_CYCLE_1)
	v_cmp_eq_u32_e64 s14, 0, v98
	s_and_b32 s15, s15, s14
	s_and_saveexec_b32 s14, s15
	s_cbranch_execz .LBB1319_66
; %bb.65:                               ;   in Loop: Header=BB1319_56 Depth=1
	s_wait_dscnt 0x0
	v_bcnt_u32_b32 v100, v100, v97
	ds_store_b32 v99, v100
.LBB1319_66:                            ;   in Loop: Header=BB1319_56 Depth=1
	s_or_b32 exec_lo, exec_lo, s14
	s_set_vgpr_msb 4                        ;  msbs: dst=0 src0=0 src1=1 src2=0
	v_cmp_ne_u32_e64 s14, 0x80000000, v53 /*v309*/
	; wave barrier
	s_delay_alu instid0(VALU_DEP_1) | instskip(SKIP_1) | instid1(VALU_DEP_1)
	v_cndmask_b32_e64 v100, 0x7fffffff, v53 /*v309*/, s14
	s_set_vgpr_msb 0                        ;  msbs: dst=0 src0=0 src1=0 src2=0
	v_lshrrev_b32_e32 v100, v10, v100
	s_delay_alu instid0(VALU_DEP_1) | instskip(NEXT) | instid1(VALU_DEP_1)
	v_and_b32_e32 v101, v100, v87
	v_lshlrev_b32_e32 v112, 30, v101
	v_bitop3_b32 v100, v100, 1, v87 bitop3:0x80
	v_lshlrev_b32_e32 v113, 29, v101
	s_delay_alu instid0(VALU_DEP_3) | instskip(NEXT) | instid1(VALU_DEP_3)
	v_cmp_gt_i32_e64 s15, 0, v112
	v_add_co_u32 v100, s14, v100, -1
	s_delay_alu instid0(VALU_DEP_1) | instskip(NEXT) | instid1(VALU_DEP_1)
	v_cndmask_b32_e64 v103, 0, 1, s14
	v_cmp_ne_u32_e64 s14, 0, v103
	v_not_b32_e32 v103, v112
	v_not_b32_e32 v112, v113
	s_delay_alu instid0(VALU_DEP_2) | instskip(NEXT) | instid1(VALU_DEP_2)
	v_dual_ashrrev_i32 v103, 31, v103 :: v_dual_bitop2_b32 v100, s14, v100 bitop3:0x14
	v_dual_ashrrev_i32 v112, 31, v112 :: v_dual_lshlrev_b32 v114, 28, v101
	v_dual_lshlrev_b32 v115, 27, v101 :: v_dual_lshlrev_b32 v116, 26, v101
	v_cmp_gt_i32_e64 s16, 0, v113
	s_set_vgpr_msb 16                       ;  msbs: dst=0 src0=0 src1=0 src2=1
	v_lshl_add_u32 v102, v101, 3, v17 /*v273*/
	v_not_b32_e32 v113, v114
	v_dual_lshlrev_b32 v117, 25, v101 :: v_dual_lshlrev_b32 v101, 24, v101
	v_cmp_gt_i32_e64 s17, 0, v114
	v_cmp_gt_i32_e64 s18, 0, v115
	v_not_b32_e32 v114, v115
	v_dual_ashrrev_i32 v113, 31, v113 :: v_dual_bitop2_b32 v103, s15, v103 bitop3:0x14
	v_not_b32_e32 v115, v116
	v_cmp_gt_i32_e64 s19, 0, v116
	s_delay_alu instid0(VALU_DEP_4) | instskip(NEXT) | instid1(VALU_DEP_4)
	v_dual_ashrrev_i32 v114, 31, v114 :: v_dual_bitop2_b32 v112, s16, v112 bitop3:0x14
	v_xor_b32_e32 v113, s17, v113
	v_bitop3_b32 v100, v100, v103, exec_lo bitop3:0x80
	v_ashrrev_i32_e32 v103, 31, v115
	v_not_b32_e32 v115, v117
	v_not_b32_e32 v116, v101
	v_xor_b32_e32 v114, s18, v114
	s_set_vgpr_msb 0                        ;  msbs: dst=0 src0=0 src1=0 src2=0
	v_bitop3_b32 v100, v100, v113, v112 bitop3:0x80
	v_xor_b32_e32 v103, s19, v103
	v_cmp_gt_i32_e64 s14, 0, v117
	v_ashrrev_i32_e32 v112, 31, v115
	v_cmp_gt_i32_e64 s15, 0, v101
	v_ashrrev_i32_e32 v101, 31, v116
	v_lshl_add_u32 v102, v102, 2, v12
	v_bitop3_b32 v103, v100, v103, v114 bitop3:0x80
	v_xor_b32_e32 v112, s14, v112
	s_delay_alu instid0(VALU_DEP_4) | instskip(SKIP_3) | instid1(VALU_DEP_1)
	v_xor_b32_e32 v101, s15, v101
	ds_load_b32 v100, v102 offset:32
	v_add_nc_u32_e32 v102, 32, v102
	; wave barrier
	v_bitop3_b32 v103, v103, v101, v112 bitop3:0x80
	v_mbcnt_lo_u32_b32 v101, v103, 0
	v_cmp_ne_u32_e64 s15, 0, v103
	s_delay_alu instid0(VALU_DEP_2) | instskip(SKIP_1) | instid1(SALU_CYCLE_1)
	v_cmp_eq_u32_e64 s14, 0, v101
	s_and_b32 s15, s15, s14
	s_and_saveexec_b32 s14, s15
	s_cbranch_execz .LBB1319_68
; %bb.67:                               ;   in Loop: Header=BB1319_56 Depth=1
	s_wait_dscnt 0x0
	v_bcnt_u32_b32 v103, v103, v100
	ds_store_b32 v102, v103
.LBB1319_68:                            ;   in Loop: Header=BB1319_56 Depth=1
	s_or_b32 exec_lo, exec_lo, s14
	s_set_vgpr_msb 4                        ;  msbs: dst=0 src0=0 src1=1 src2=0
	v_cmp_ne_u32_e64 s14, 0x80000000, v52 /*v308*/
	; wave barrier
	s_delay_alu instid0(VALU_DEP_1) | instskip(SKIP_1) | instid1(VALU_DEP_1)
	v_cndmask_b32_e64 v103, 0x7fffffff, v52 /*v308*/, s14
	s_set_vgpr_msb 0                        ;  msbs: dst=0 src0=0 src1=0 src2=0
	v_lshrrev_b32_e32 v103, v10, v103
	s_delay_alu instid0(VALU_DEP_1) | instskip(NEXT) | instid1(VALU_DEP_1)
	v_and_b32_e32 v112, v103, v87
	v_lshlrev_b32_e32 v115, 30, v112
	v_bitop3_b32 v103, v103, 1, v87 bitop3:0x80
	s_delay_alu instid0(VALU_DEP_2) | instskip(NEXT) | instid1(VALU_DEP_2)
	v_cmp_gt_i32_e64 s15, 0, v115
	v_add_co_u32 v103, s14, v103, -1
	s_delay_alu instid0(VALU_DEP_1) | instskip(NEXT) | instid1(VALU_DEP_1)
	v_cndmask_b32_e64 v114, 0, 1, s14
	v_cmp_ne_u32_e64 s14, 0, v114
	v_not_b32_e32 v114, v115
	s_delay_alu instid0(VALU_DEP_1)
	v_dual_ashrrev_i32 v114, 31, v114 :: v_dual_lshlrev_b32 v116, 29, v112
	v_dual_lshlrev_b32 v117, 28, v112 :: v_dual_lshlrev_b32 v118, 27, v112
	v_lshlrev_b32_e32 v119, 26, v112
	s_set_vgpr_msb 16                       ;  msbs: dst=0 src0=0 src1=0 src2=1
	v_lshl_add_u32 v113, v112, 3, v17 /*v273*/
	v_cmp_gt_i32_e64 s16, 0, v116
	v_not_b32_e32 v115, v116
	v_not_b32_e32 v116, v117
	v_dual_lshlrev_b32 v128, 25, v112 :: v_dual_lshlrev_b32 v112, 24, v112
	v_cmp_gt_i32_e64 s17, 0, v117
	v_cmp_gt_i32_e64 s18, 0, v118
	v_not_b32_e32 v117, v118
	v_dual_ashrrev_i32 v116, 31, v116 :: v_dual_bitop2_b32 v103, s14, v103 bitop3:0x14
	v_dual_ashrrev_i32 v115, 31, v115 :: v_dual_bitop2_b32 v114, s15, v114 bitop3:0x14
	v_not_b32_e32 v118, v119
	v_cmp_gt_i32_e64 s19, 0, v119
	s_delay_alu instid0(VALU_DEP_3)
	v_dual_ashrrev_i32 v117, 31, v117 :: v_dual_bitop2_b32 v115, s16, v115 bitop3:0x14
	v_xor_b32_e32 v116, s17, v116
	v_bitop3_b32 v103, v103, v114, exec_lo bitop3:0x80
	v_ashrrev_i32_e32 v114, 31, v118
	v_not_b32_e32 v118, v128
	v_not_b32_e32 v119, v112
	v_xor_b32_e32 v117, s18, v117
	s_set_vgpr_msb 0                        ;  msbs: dst=0 src0=0 src1=0 src2=0
	v_bitop3_b32 v103, v103, v116, v115 bitop3:0x80
	v_xor_b32_e32 v114, s19, v114
	v_cmp_gt_i32_e64 s14, 0, v128
	v_ashrrev_i32_e32 v115, 31, v118
	v_cmp_gt_i32_e64 s15, 0, v112
	v_ashrrev_i32_e32 v112, 31, v119
	v_lshl_add_u32 v113, v113, 2, v12
	v_bitop3_b32 v114, v103, v114, v117 bitop3:0x80
	v_xor_b32_e32 v115, s14, v115
	s_delay_alu instid0(VALU_DEP_4) | instskip(SKIP_3) | instid1(VALU_DEP_1)
	v_xor_b32_e32 v112, s15, v112
	ds_load_b32 v103, v113 offset:32
	v_add_nc_u32_e32 v113, 32, v113
	; wave barrier
	v_bitop3_b32 v114, v114, v112, v115 bitop3:0x80
	v_mbcnt_lo_u32_b32 v112, v114, 0
	v_cmp_ne_u32_e64 s15, 0, v114
	s_delay_alu instid0(VALU_DEP_2) | instskip(SKIP_1) | instid1(SALU_CYCLE_1)
	v_cmp_eq_u32_e64 s14, 0, v112
	s_and_b32 s15, s15, s14
	s_and_saveexec_b32 s14, s15
	s_cbranch_execz .LBB1319_70
; %bb.69:                               ;   in Loop: Header=BB1319_56 Depth=1
	s_wait_dscnt 0x0
	v_bcnt_u32_b32 v114, v114, v103
	ds_store_b32 v113, v114
.LBB1319_70:                            ;   in Loop: Header=BB1319_56 Depth=1
	s_or_b32 exec_lo, exec_lo, s14
	s_set_vgpr_msb 4                        ;  msbs: dst=0 src0=0 src1=1 src2=0
	v_cmp_ne_u32_e64 s14, 0x80000000, v55 /*v311*/
	; wave barrier
	s_delay_alu instid0(VALU_DEP_1) | instskip(SKIP_1) | instid1(VALU_DEP_1)
	v_cndmask_b32_e64 v114, 0x7fffffff, v55 /*v311*/, s14
	s_set_vgpr_msb 0                        ;  msbs: dst=0 src0=0 src1=0 src2=0
	v_lshrrev_b32_e32 v114, v10, v114
	s_delay_alu instid0(VALU_DEP_1) | instskip(NEXT) | instid1(VALU_DEP_1)
	v_and_b32_e32 v115, v114, v87
	v_lshlrev_b32_e32 v118, 30, v115
	v_bitop3_b32 v114, v114, 1, v87 bitop3:0x80
	s_delay_alu instid0(VALU_DEP_2) | instskip(NEXT) | instid1(VALU_DEP_2)
	v_cmp_gt_i32_e64 s15, 0, v118
	v_add_co_u32 v114, s14, v114, -1
	s_delay_alu instid0(VALU_DEP_1) | instskip(NEXT) | instid1(VALU_DEP_1)
	v_cndmask_b32_e64 v117, 0, 1, s14
	v_cmp_ne_u32_e64 s14, 0, v117
	v_not_b32_e32 v117, v118
	s_delay_alu instid0(VALU_DEP_1)
	v_dual_ashrrev_i32 v117, 31, v117 :: v_dual_lshlrev_b32 v119, 29, v115
	v_dual_lshlrev_b32 v128, 28, v115 :: v_dual_lshlrev_b32 v129, 27, v115
	v_lshlrev_b32_e32 v130, 26, v115
	s_set_vgpr_msb 16                       ;  msbs: dst=0 src0=0 src1=0 src2=1
	v_lshl_add_u32 v116, v115, 3, v17 /*v273*/
	v_cmp_gt_i32_e64 s16, 0, v119
	v_not_b32_e32 v118, v119
	v_not_b32_e32 v119, v128
	v_dual_lshlrev_b32 v131, 25, v115 :: v_dual_lshlrev_b32 v115, 24, v115
	v_cmp_gt_i32_e64 s17, 0, v128
	v_cmp_gt_i32_e64 s18, 0, v129
	v_not_b32_e32 v128, v129
	v_dual_ashrrev_i32 v119, 31, v119 :: v_dual_bitop2_b32 v114, s14, v114 bitop3:0x14
	v_dual_ashrrev_i32 v118, 31, v118 :: v_dual_bitop2_b32 v117, s15, v117 bitop3:0x14
	v_not_b32_e32 v129, v130
	v_cmp_gt_i32_e64 s19, 0, v130
	s_delay_alu instid0(VALU_DEP_3)
	v_dual_ashrrev_i32 v128, 31, v128 :: v_dual_bitop2_b32 v118, s16, v118 bitop3:0x14
	v_xor_b32_e32 v119, s17, v119
	v_bitop3_b32 v114, v114, v117, exec_lo bitop3:0x80
	v_ashrrev_i32_e32 v117, 31, v129
	v_not_b32_e32 v129, v131
	v_not_b32_e32 v130, v115
	v_xor_b32_e32 v128, s18, v128
	s_set_vgpr_msb 0                        ;  msbs: dst=0 src0=0 src1=0 src2=0
	v_bitop3_b32 v114, v114, v119, v118 bitop3:0x80
	v_xor_b32_e32 v117, s19, v117
	v_cmp_gt_i32_e64 s14, 0, v131
	v_ashrrev_i32_e32 v118, 31, v129
	v_cmp_gt_i32_e64 s15, 0, v115
	v_ashrrev_i32_e32 v115, 31, v130
	v_lshl_add_u32 v116, v116, 2, v12
	v_bitop3_b32 v117, v114, v117, v128 bitop3:0x80
	v_xor_b32_e32 v118, s14, v118
	s_delay_alu instid0(VALU_DEP_4) | instskip(SKIP_3) | instid1(VALU_DEP_1)
	v_xor_b32_e32 v115, s15, v115
	ds_load_b32 v114, v116 offset:32
	v_add_nc_u32_e32 v116, 32, v116
	; wave barrier
	v_bitop3_b32 v117, v117, v115, v118 bitop3:0x80
	v_mbcnt_lo_u32_b32 v115, v117, 0
	v_cmp_ne_u32_e64 s15, 0, v117
	s_delay_alu instid0(VALU_DEP_2) | instskip(SKIP_1) | instid1(SALU_CYCLE_1)
	v_cmp_eq_u32_e64 s14, 0, v115
	s_and_b32 s15, s15, s14
	s_and_saveexec_b32 s14, s15
	s_cbranch_execz .LBB1319_72
; %bb.71:                               ;   in Loop: Header=BB1319_56 Depth=1
	s_wait_dscnt 0x0
	v_bcnt_u32_b32 v117, v117, v114
	ds_store_b32 v116, v117
.LBB1319_72:                            ;   in Loop: Header=BB1319_56 Depth=1
	s_or_b32 exec_lo, exec_lo, s14
	s_set_vgpr_msb 4                        ;  msbs: dst=0 src0=0 src1=1 src2=0
	v_cmp_ne_u32_e64 s14, 0x80000000, v54 /*v310*/
	; wave barrier
	s_delay_alu instid0(VALU_DEP_1) | instskip(SKIP_1) | instid1(VALU_DEP_1)
	v_cndmask_b32_e64 v117, 0x7fffffff, v54 /*v310*/, s14
	s_set_vgpr_msb 0                        ;  msbs: dst=0 src0=0 src1=0 src2=0
	v_lshrrev_b32_e32 v117, v10, v117
	s_delay_alu instid0(VALU_DEP_1) | instskip(NEXT) | instid1(VALU_DEP_1)
	v_and_b32_e32 v118, v117, v87
	v_lshlrev_b32_e32 v129, 30, v118
	v_bitop3_b32 v117, v117, 1, v87 bitop3:0x80
	s_delay_alu instid0(VALU_DEP_2) | instskip(NEXT) | instid1(VALU_DEP_2)
	v_cmp_gt_i32_e64 s15, 0, v129
	v_add_co_u32 v117, s14, v117, -1
	s_delay_alu instid0(VALU_DEP_1) | instskip(NEXT) | instid1(VALU_DEP_1)
	v_cndmask_b32_e64 v128, 0, 1, s14
	v_cmp_ne_u32_e64 s14, 0, v128
	v_not_b32_e32 v128, v129
	s_delay_alu instid0(VALU_DEP_1)
	v_dual_ashrrev_i32 v128, 31, v128 :: v_dual_lshlrev_b32 v130, 29, v118
	v_dual_lshlrev_b32 v131, 28, v118 :: v_dual_lshlrev_b32 v132, 27, v118
	v_lshlrev_b32_e32 v133, 26, v118
	s_set_vgpr_msb 16                       ;  msbs: dst=0 src0=0 src1=0 src2=1
	v_lshl_add_u32 v119, v118, 3, v17 /*v273*/
	v_cmp_gt_i32_e64 s16, 0, v130
	v_not_b32_e32 v129, v130
	v_not_b32_e32 v130, v131
	v_dual_lshlrev_b32 v134, 25, v118 :: v_dual_lshlrev_b32 v118, 24, v118
	v_cmp_gt_i32_e64 s17, 0, v131
	v_cmp_gt_i32_e64 s18, 0, v132
	v_not_b32_e32 v131, v132
	v_dual_ashrrev_i32 v130, 31, v130 :: v_dual_bitop2_b32 v117, s14, v117 bitop3:0x14
	v_dual_ashrrev_i32 v129, 31, v129 :: v_dual_bitop2_b32 v128, s15, v128 bitop3:0x14
	v_not_b32_e32 v132, v133
	v_cmp_gt_i32_e64 s19, 0, v133
	s_delay_alu instid0(VALU_DEP_3)
	v_dual_ashrrev_i32 v131, 31, v131 :: v_dual_bitop2_b32 v129, s16, v129 bitop3:0x14
	v_xor_b32_e32 v130, s17, v130
	v_bitop3_b32 v117, v117, v128, exec_lo bitop3:0x80
	v_ashrrev_i32_e32 v128, 31, v132
	v_not_b32_e32 v132, v134
	v_not_b32_e32 v133, v118
	v_xor_b32_e32 v131, s18, v131
	s_set_vgpr_msb 0                        ;  msbs: dst=0 src0=0 src1=0 src2=0
	v_bitop3_b32 v117, v117, v130, v129 bitop3:0x80
	v_xor_b32_e32 v128, s19, v128
	v_cmp_gt_i32_e64 s14, 0, v134
	v_ashrrev_i32_e32 v129, 31, v132
	v_cmp_gt_i32_e64 s15, 0, v118
	v_ashrrev_i32_e32 v118, 31, v133
	v_lshl_add_u32 v119, v119, 2, v12
	v_bitop3_b32 v128, v117, v128, v131 bitop3:0x80
	v_xor_b32_e32 v129, s14, v129
	s_delay_alu instid0(VALU_DEP_4) | instskip(SKIP_3) | instid1(VALU_DEP_1)
	v_xor_b32_e32 v118, s15, v118
	ds_load_b32 v117, v119 offset:32
	v_add_nc_u32_e32 v119, 32, v119
	; wave barrier
	v_bitop3_b32 v128, v128, v118, v129 bitop3:0x80
	v_mbcnt_lo_u32_b32 v118, v128, 0
	v_cmp_ne_u32_e64 s15, 0, v128
	s_delay_alu instid0(VALU_DEP_2) | instskip(SKIP_1) | instid1(SALU_CYCLE_1)
	v_cmp_eq_u32_e64 s14, 0, v118
	s_and_b32 s15, s15, s14
	s_and_saveexec_b32 s14, s15
	s_cbranch_execz .LBB1319_74
; %bb.73:                               ;   in Loop: Header=BB1319_56 Depth=1
	s_wait_dscnt 0x0
	v_bcnt_u32_b32 v128, v128, v117
	ds_store_b32 v119, v128
.LBB1319_74:                            ;   in Loop: Header=BB1319_56 Depth=1
	s_or_b32 exec_lo, exec_lo, s14
	s_set_vgpr_msb 4                        ;  msbs: dst=0 src0=0 src1=1 src2=0
	v_cmp_ne_u32_e64 s14, 0x80000000, v56 /*v312*/
	; wave barrier
	s_delay_alu instid0(VALU_DEP_1) | instskip(SKIP_1) | instid1(VALU_DEP_1)
	v_cndmask_b32_e64 v128, 0x7fffffff, v56 /*v312*/, s14
	s_set_vgpr_msb 0                        ;  msbs: dst=0 src0=0 src1=0 src2=0
	v_lshrrev_b32_e32 v128, v10, v128
	s_delay_alu instid0(VALU_DEP_1) | instskip(NEXT) | instid1(VALU_DEP_1)
	v_and_b32_e32 v129, v128, v87
	v_lshlrev_b32_e32 v132, 30, v129
	v_bitop3_b32 v128, v128, 1, v87 bitop3:0x80
	v_lshlrev_b32_e32 v133, 29, v129
	s_delay_alu instid0(VALU_DEP_3) | instskip(NEXT) | instid1(VALU_DEP_3)
	v_cmp_gt_i32_e64 s15, 0, v132
	v_add_co_u32 v128, s14, v128, -1
	s_delay_alu instid0(VALU_DEP_1) | instskip(NEXT) | instid1(VALU_DEP_1)
	v_cndmask_b32_e64 v131, 0, 1, s14
	v_cmp_ne_u32_e64 s14, 0, v131
	v_not_b32_e32 v131, v132
	v_not_b32_e32 v132, v133
	s_delay_alu instid0(VALU_DEP_2) | instskip(NEXT) | instid1(VALU_DEP_2)
	v_dual_ashrrev_i32 v131, 31, v131 :: v_dual_bitop2_b32 v128, s14, v128 bitop3:0x14
	v_dual_ashrrev_i32 v132, 31, v132 :: v_dual_lshlrev_b32 v134, 28, v129
	v_dual_lshlrev_b32 v135, 27, v129 :: v_dual_lshlrev_b32 v144, 26, v129
	v_cmp_gt_i32_e64 s16, 0, v133
	s_set_vgpr_msb 16                       ;  msbs: dst=0 src0=0 src1=0 src2=1
	v_lshl_add_u32 v130, v129, 3, v17 /*v273*/
	v_not_b32_e32 v133, v134
	v_dual_lshlrev_b32 v145, 25, v129 :: v_dual_lshlrev_b32 v129, 24, v129
	v_cmp_gt_i32_e64 s17, 0, v134
	v_cmp_gt_i32_e64 s18, 0, v135
	v_not_b32_e32 v134, v135
	v_dual_ashrrev_i32 v133, 31, v133 :: v_dual_bitop2_b32 v131, s15, v131 bitop3:0x14
	v_not_b32_e32 v135, v144
	v_cmp_gt_i32_e64 s19, 0, v144
	s_delay_alu instid0(VALU_DEP_4) | instskip(NEXT) | instid1(VALU_DEP_4)
	v_dual_ashrrev_i32 v134, 31, v134 :: v_dual_bitop2_b32 v132, s16, v132 bitop3:0x14
	v_xor_b32_e32 v133, s17, v133
	v_bitop3_b32 v128, v128, v131, exec_lo bitop3:0x80
	v_ashrrev_i32_e32 v131, 31, v135
	v_not_b32_e32 v135, v145
	v_not_b32_e32 v144, v129
	v_xor_b32_e32 v134, s18, v134
	s_set_vgpr_msb 0                        ;  msbs: dst=0 src0=0 src1=0 src2=0
	v_bitop3_b32 v128, v128, v133, v132 bitop3:0x80
	v_xor_b32_e32 v131, s19, v131
	v_cmp_gt_i32_e64 s14, 0, v145
	v_ashrrev_i32_e32 v132, 31, v135
	v_cmp_gt_i32_e64 s15, 0, v129
	v_ashrrev_i32_e32 v129, 31, v144
	v_lshl_add_u32 v130, v130, 2, v12
	v_bitop3_b32 v131, v128, v131, v134 bitop3:0x80
	v_xor_b32_e32 v132, s14, v132
	s_delay_alu instid0(VALU_DEP_4) | instskip(SKIP_3) | instid1(VALU_DEP_1)
	v_xor_b32_e32 v129, s15, v129
	ds_load_b32 v128, v130 offset:32
	v_add_nc_u32_e32 v130, 32, v130
	; wave barrier
	v_bitop3_b32 v131, v131, v129, v132 bitop3:0x80
	v_mbcnt_lo_u32_b32 v129, v131, 0
	v_cmp_ne_u32_e64 s15, 0, v131
	s_delay_alu instid0(VALU_DEP_2) | instskip(SKIP_1) | instid1(SALU_CYCLE_1)
	v_cmp_eq_u32_e64 s14, 0, v129
	s_and_b32 s15, s15, s14
	s_and_saveexec_b32 s14, s15
	s_cbranch_execz .LBB1319_76
; %bb.75:                               ;   in Loop: Header=BB1319_56 Depth=1
	s_wait_dscnt 0x0
	v_bcnt_u32_b32 v131, v131, v128
	ds_store_b32 v130, v131
.LBB1319_76:                            ;   in Loop: Header=BB1319_56 Depth=1
	s_or_b32 exec_lo, exec_lo, s14
	s_set_vgpr_msb 4                        ;  msbs: dst=0 src0=0 src1=1 src2=0
	v_cmp_ne_u32_e64 s14, 0x80000000, v57 /*v313*/
	; wave barrier
	s_delay_alu instid0(VALU_DEP_1) | instskip(SKIP_1) | instid1(VALU_DEP_1)
	v_cndmask_b32_e64 v131, 0x7fffffff, v57 /*v313*/, s14
	s_set_vgpr_msb 0                        ;  msbs: dst=0 src0=0 src1=0 src2=0
	v_lshrrev_b32_e32 v131, v10, v131
	s_delay_alu instid0(VALU_DEP_1) | instskip(NEXT) | instid1(VALU_DEP_1)
	v_and_b32_e32 v132, v131, v87
	v_lshlrev_b32_e32 v135, 30, v132
	v_bitop3_b32 v131, v131, 1, v87 bitop3:0x80
	s_delay_alu instid0(VALU_DEP_2) | instskip(NEXT) | instid1(VALU_DEP_2)
	v_cmp_gt_i32_e64 s15, 0, v135
	v_add_co_u32 v131, s14, v131, -1
	s_delay_alu instid0(VALU_DEP_1) | instskip(NEXT) | instid1(VALU_DEP_1)
	v_cndmask_b32_e64 v134, 0, 1, s14
	v_cmp_ne_u32_e64 s14, 0, v134
	v_not_b32_e32 v134, v135
	s_delay_alu instid0(VALU_DEP_1)
	v_dual_ashrrev_i32 v134, 31, v134 :: v_dual_lshlrev_b32 v144, 29, v132
	v_dual_lshlrev_b32 v145, 28, v132 :: v_dual_lshlrev_b32 v146, 27, v132
	v_lshlrev_b32_e32 v147, 26, v132
	s_set_vgpr_msb 16                       ;  msbs: dst=0 src0=0 src1=0 src2=1
	v_lshl_add_u32 v133, v132, 3, v17 /*v273*/
	v_cmp_gt_i32_e64 s16, 0, v144
	v_not_b32_e32 v135, v144
	v_not_b32_e32 v144, v145
	v_dual_lshlrev_b32 v148, 25, v132 :: v_dual_lshlrev_b32 v132, 24, v132
	v_cmp_gt_i32_e64 s17, 0, v145
	v_cmp_gt_i32_e64 s18, 0, v146
	v_not_b32_e32 v145, v146
	v_dual_ashrrev_i32 v144, 31, v144 :: v_dual_bitop2_b32 v131, s14, v131 bitop3:0x14
	v_dual_ashrrev_i32 v135, 31, v135 :: v_dual_bitop2_b32 v134, s15, v134 bitop3:0x14
	v_not_b32_e32 v146, v147
	v_cmp_gt_i32_e64 s19, 0, v147
	s_delay_alu instid0(VALU_DEP_3)
	v_dual_ashrrev_i32 v145, 31, v145 :: v_dual_bitop2_b32 v135, s16, v135 bitop3:0x14
	v_xor_b32_e32 v144, s17, v144
	v_bitop3_b32 v131, v131, v134, exec_lo bitop3:0x80
	v_ashrrev_i32_e32 v134, 31, v146
	v_not_b32_e32 v146, v148
	v_not_b32_e32 v147, v132
	v_xor_b32_e32 v145, s18, v145
	s_set_vgpr_msb 0                        ;  msbs: dst=0 src0=0 src1=0 src2=0
	v_bitop3_b32 v131, v131, v144, v135 bitop3:0x80
	v_xor_b32_e32 v134, s19, v134
	v_cmp_gt_i32_e64 s14, 0, v148
	v_ashrrev_i32_e32 v135, 31, v146
	v_cmp_gt_i32_e64 s15, 0, v132
	v_ashrrev_i32_e32 v132, 31, v147
	v_lshl_add_u32 v133, v133, 2, v12
	v_bitop3_b32 v134, v131, v134, v145 bitop3:0x80
	v_xor_b32_e32 v135, s14, v135
	s_delay_alu instid0(VALU_DEP_4) | instskip(SKIP_3) | instid1(VALU_DEP_1)
	v_xor_b32_e32 v132, s15, v132
	ds_load_b32 v131, v133 offset:32
	v_add_nc_u32_e32 v133, 32, v133
	; wave barrier
	v_bitop3_b32 v134, v134, v132, v135 bitop3:0x80
	v_mbcnt_lo_u32_b32 v132, v134, 0
	v_cmp_ne_u32_e64 s15, 0, v134
	s_delay_alu instid0(VALU_DEP_2) | instskip(SKIP_1) | instid1(SALU_CYCLE_1)
	v_cmp_eq_u32_e64 s14, 0, v132
	s_and_b32 s15, s15, s14
	s_and_saveexec_b32 s14, s15
	s_cbranch_execz .LBB1319_78
; %bb.77:                               ;   in Loop: Header=BB1319_56 Depth=1
	s_wait_dscnt 0x0
	v_bcnt_u32_b32 v134, v134, v131
	ds_store_b32 v133, v134
.LBB1319_78:                            ;   in Loop: Header=BB1319_56 Depth=1
	s_or_b32 exec_lo, exec_lo, s14
	s_set_vgpr_msb 4                        ;  msbs: dst=0 src0=0 src1=1 src2=0
	v_cmp_ne_u32_e64 s14, 0x80000000, v59 /*v315*/
	; wave barrier
	s_delay_alu instid0(VALU_DEP_1) | instskip(SKIP_1) | instid1(VALU_DEP_1)
	v_cndmask_b32_e64 v134, 0x7fffffff, v59 /*v315*/, s14
	s_set_vgpr_msb 0                        ;  msbs: dst=0 src0=0 src1=0 src2=0
	v_lshrrev_b32_e32 v134, v10, v134
	s_delay_alu instid0(VALU_DEP_1) | instskip(NEXT) | instid1(VALU_DEP_1)
	v_and_b32_e32 v135, v134, v87
	v_lshlrev_b32_e32 v146, 30, v135
	v_bitop3_b32 v134, v134, 1, v87 bitop3:0x80
	s_delay_alu instid0(VALU_DEP_2) | instskip(NEXT) | instid1(VALU_DEP_2)
	v_cmp_gt_i32_e64 s15, 0, v146
	v_add_co_u32 v134, s14, v134, -1
	s_delay_alu instid0(VALU_DEP_1) | instskip(NEXT) | instid1(VALU_DEP_1)
	v_cndmask_b32_e64 v145, 0, 1, s14
	v_cmp_ne_u32_e64 s14, 0, v145
	v_not_b32_e32 v145, v146
	s_delay_alu instid0(VALU_DEP_1)
	v_dual_ashrrev_i32 v145, 31, v145 :: v_dual_lshlrev_b32 v147, 29, v135
	v_dual_lshlrev_b32 v148, 28, v135 :: v_dual_lshlrev_b32 v149, 27, v135
	v_lshlrev_b32_e32 v150, 26, v135
	s_set_vgpr_msb 16                       ;  msbs: dst=0 src0=0 src1=0 src2=1
	v_lshl_add_u32 v144, v135, 3, v17 /*v273*/
	v_cmp_gt_i32_e64 s16, 0, v147
	v_not_b32_e32 v146, v147
	v_not_b32_e32 v147, v148
	v_dual_lshlrev_b32 v151, 25, v135 :: v_dual_lshlrev_b32 v135, 24, v135
	v_cmp_gt_i32_e64 s17, 0, v148
	v_cmp_gt_i32_e64 s18, 0, v149
	v_not_b32_e32 v148, v149
	v_dual_ashrrev_i32 v147, 31, v147 :: v_dual_bitop2_b32 v134, s14, v134 bitop3:0x14
	v_dual_ashrrev_i32 v146, 31, v146 :: v_dual_bitop2_b32 v145, s15, v145 bitop3:0x14
	v_not_b32_e32 v149, v150
	v_cmp_gt_i32_e64 s19, 0, v150
	s_delay_alu instid0(VALU_DEP_3)
	v_dual_ashrrev_i32 v148, 31, v148 :: v_dual_bitop2_b32 v146, s16, v146 bitop3:0x14
	v_xor_b32_e32 v147, s17, v147
	v_bitop3_b32 v134, v134, v145, exec_lo bitop3:0x80
	v_ashrrev_i32_e32 v145, 31, v149
	v_not_b32_e32 v149, v151
	v_not_b32_e32 v150, v135
	v_xor_b32_e32 v148, s18, v148
	s_set_vgpr_msb 0                        ;  msbs: dst=0 src0=0 src1=0 src2=0
	v_bitop3_b32 v134, v134, v147, v146 bitop3:0x80
	v_xor_b32_e32 v145, s19, v145
	v_cmp_gt_i32_e64 s14, 0, v151
	v_ashrrev_i32_e32 v146, 31, v149
	v_cmp_gt_i32_e64 s15, 0, v135
	v_ashrrev_i32_e32 v135, 31, v150
	v_lshl_add_u32 v144, v144, 2, v12
	v_bitop3_b32 v134, v134, v145, v148 bitop3:0x80
	v_xor_b32_e32 v145, s14, v146
	s_delay_alu instid0(VALU_DEP_4) | instskip(SKIP_3) | instid1(VALU_DEP_2)
	v_xor_b32_e32 v135, s15, v135
	ds_load_b32 v164, v144 offset:32
	; wave barrier
	v_bitop3_b32 v135, v134, v135, v145 bitop3:0x80
	v_add_nc_u32_e32 v134, 32, v144
	v_mbcnt_lo_u32_b32 v176, v135, 0
	v_cmp_ne_u32_e64 s15, 0, v135
	s_delay_alu instid0(VALU_DEP_2) | instskip(SKIP_1) | instid1(SALU_CYCLE_1)
	v_cmp_eq_u32_e64 s14, 0, v176
	s_and_b32 s15, s15, s14
	s_and_saveexec_b32 s14, s15
	s_cbranch_execz .LBB1319_80
; %bb.79:                               ;   in Loop: Header=BB1319_56 Depth=1
	s_wait_dscnt 0x0
	v_bcnt_u32_b32 v135, v135, v164
	ds_store_b32 v134, v135
.LBB1319_80:                            ;   in Loop: Header=BB1319_56 Depth=1
	s_or_b32 exec_lo, exec_lo, s14
	s_set_vgpr_msb 4                        ;  msbs: dst=0 src0=0 src1=1 src2=0
	v_cmp_ne_u32_e64 s14, 0x80000000, v58 /*v314*/
	; wave barrier
	s_delay_alu instid0(VALU_DEP_1) | instskip(SKIP_1) | instid1(VALU_DEP_1)
	v_cndmask_b32_e64 v135, 0x7fffffff, v58 /*v314*/, s14
	s_set_vgpr_msb 0                        ;  msbs: dst=0 src0=0 src1=0 src2=0
	v_lshrrev_b32_e32 v135, v10, v135
	s_delay_alu instid0(VALU_DEP_1) | instskip(NEXT) | instid1(VALU_DEP_1)
	v_and_b32_e32 v144, v135, v87
	v_lshlrev_b32_e32 v147, 30, v144
	v_bitop3_b32 v135, v135, 1, v87 bitop3:0x80
	s_delay_alu instid0(VALU_DEP_2) | instskip(NEXT) | instid1(VALU_DEP_2)
	v_cmp_gt_i32_e64 s15, 0, v147
	v_add_co_u32 v135, s14, v135, -1
	s_delay_alu instid0(VALU_DEP_1) | instskip(NEXT) | instid1(VALU_DEP_1)
	v_cndmask_b32_e64 v146, 0, 1, s14
	v_cmp_ne_u32_e64 s14, 0, v146
	v_not_b32_e32 v146, v147
	s_delay_alu instid0(VALU_DEP_1)
	v_dual_ashrrev_i32 v146, 31, v146 :: v_dual_lshlrev_b32 v148, 29, v144
	v_dual_lshlrev_b32 v149, 28, v144 :: v_dual_lshlrev_b32 v150, 27, v144
	v_lshlrev_b32_e32 v151, 26, v144
	s_set_vgpr_msb 16                       ;  msbs: dst=0 src0=0 src1=0 src2=1
	v_lshl_add_u32 v145, v144, 3, v17 /*v273*/
	v_cmp_gt_i32_e64 s16, 0, v148
	v_not_b32_e32 v147, v148
	v_not_b32_e32 v148, v149
	v_dual_lshlrev_b32 v160, 25, v144 :: v_dual_lshlrev_b32 v144, 24, v144
	v_cmp_gt_i32_e64 s17, 0, v149
	v_cmp_gt_i32_e64 s18, 0, v150
	v_not_b32_e32 v149, v150
	v_dual_ashrrev_i32 v148, 31, v148 :: v_dual_bitop2_b32 v135, s14, v135 bitop3:0x14
	v_dual_ashrrev_i32 v147, 31, v147 :: v_dual_bitop2_b32 v146, s15, v146 bitop3:0x14
	v_not_b32_e32 v150, v151
	v_cmp_gt_i32_e64 s19, 0, v151
	s_delay_alu instid0(VALU_DEP_3)
	v_dual_ashrrev_i32 v149, 31, v149 :: v_dual_bitop2_b32 v147, s16, v147 bitop3:0x14
	v_xor_b32_e32 v148, s17, v148
	v_bitop3_b32 v135, v135, v146, exec_lo bitop3:0x80
	v_ashrrev_i32_e32 v146, 31, v150
	v_not_b32_e32 v150, v160
	v_not_b32_e32 v151, v144
	v_xor_b32_e32 v149, s18, v149
	s_set_vgpr_msb 0                        ;  msbs: dst=0 src0=0 src1=0 src2=0
	v_bitop3_b32 v135, v135, v148, v147 bitop3:0x80
	v_xor_b32_e32 v146, s19, v146
	v_cmp_gt_i32_e64 s14, 0, v160
	v_ashrrev_i32_e32 v147, 31, v150
	v_cmp_gt_i32_e64 s15, 0, v144
	v_ashrrev_i32_e32 v144, 31, v151
	v_lshl_add_u32 v145, v145, 2, v12
	v_bitop3_b32 v135, v135, v146, v149 bitop3:0x80
	v_xor_b32_e32 v146, s14, v147
	s_delay_alu instid0(VALU_DEP_4) | instskip(SKIP_3) | instid1(VALU_DEP_2)
	v_xor_b32_e32 v144, s15, v144
	ds_load_b32 v182, v145 offset:32
	; wave barrier
	v_bitop3_b32 v135, v135, v144, v146 bitop3:0x80
	v_add_nc_u32_e32 v144, 32, v145
	v_mbcnt_lo_u32_b32 v183, v135, 0
	v_cmp_ne_u32_e64 s15, 0, v135
	s_delay_alu instid0(VALU_DEP_2) | instskip(SKIP_1) | instid1(SALU_CYCLE_1)
	v_cmp_eq_u32_e64 s14, 0, v183
	s_and_b32 s15, s15, s14
	s_and_saveexec_b32 s14, s15
	s_cbranch_execz .LBB1319_82
; %bb.81:                               ;   in Loop: Header=BB1319_56 Depth=1
	s_wait_dscnt 0x0
	v_bcnt_u32_b32 v135, v135, v182
	ds_store_b32 v144, v135
.LBB1319_82:                            ;   in Loop: Header=BB1319_56 Depth=1
	s_or_b32 exec_lo, exec_lo, s14
	s_set_vgpr_msb 4                        ;  msbs: dst=0 src0=0 src1=1 src2=0
	v_cmp_ne_u32_e64 s14, 0x80000000, v62 /*v318*/
	; wave barrier
	s_delay_alu instid0(VALU_DEP_1) | instskip(SKIP_1) | instid1(VALU_DEP_1)
	v_cndmask_b32_e64 v135, 0x7fffffff, v62 /*v318*/, s14
	s_set_vgpr_msb 0                        ;  msbs: dst=0 src0=0 src1=0 src2=0
	v_lshrrev_b32_e32 v135, v10, v135
	s_delay_alu instid0(VALU_DEP_1) | instskip(NEXT) | instid1(VALU_DEP_1)
	v_and_b32_e32 v145, v135, v87
	v_lshlrev_b32_e32 v148, 30, v145
	v_bitop3_b32 v135, v135, 1, v87 bitop3:0x80
	v_lshlrev_b32_e32 v149, 29, v145
	s_delay_alu instid0(VALU_DEP_3) | instskip(NEXT) | instid1(VALU_DEP_3)
	v_cmp_gt_i32_e64 s15, 0, v148
	v_add_co_u32 v135, s14, v135, -1
	s_delay_alu instid0(VALU_DEP_1) | instskip(NEXT) | instid1(VALU_DEP_1)
	v_cndmask_b32_e64 v147, 0, 1, s14
	v_cmp_ne_u32_e64 s14, 0, v147
	v_not_b32_e32 v147, v148
	v_not_b32_e32 v148, v149
	s_delay_alu instid0(VALU_DEP_1)
	v_dual_ashrrev_i32 v148, 31, v148 :: v_dual_lshlrev_b32 v150, 28, v145
	s_set_vgpr_msb 16                       ;  msbs: dst=0 src0=0 src1=0 src2=1
	v_lshl_add_u32 v146, v145, 3, v17 /*v273*/
	v_dual_lshlrev_b32 v151, 27, v145 :: v_dual_lshlrev_b32 v160, 26, v145
	v_dual_lshlrev_b32 v161, 25, v145 :: v_dual_lshlrev_b32 v145, 24, v145
	v_cmp_gt_i32_e64 s16, 0, v149
	v_not_b32_e32 v149, v150
	v_ashrrev_i32_e32 v147, 31, v147
	v_cmp_gt_i32_e64 s17, 0, v150
	v_cmp_gt_i32_e64 s18, 0, v151
	v_not_b32_e32 v150, v151
	v_cmp_gt_i32_e64 s19, 0, v160
	v_dual_ashrrev_i32 v149, 31, v149 :: v_dual_bitop2_b32 v135, s14, v135 bitop3:0x14
	v_not_b32_e32 v151, v160
	v_not_b32_e32 v160, v145
	v_dual_ashrrev_i32 v150, 31, v150 :: v_dual_bitop2_b32 v147, s15, v147 bitop3:0x14
	v_xor_b32_e32 v148, s16, v148
	v_cmp_gt_i32_e64 s15, 0, v145
	s_delay_alu instid0(VALU_DEP_4) | instskip(NEXT) | instid1(VALU_DEP_4)
	v_ashrrev_i32_e32 v145, 31, v160
	v_bitop3_b32 v135, v135, v147, exec_lo bitop3:0x80
	v_ashrrev_i32_e32 v147, 31, v151
	v_not_b32_e32 v151, v161
	v_xor_b32_e32 v149, s17, v149
	v_xor_b32_e32 v150, s18, v150
	v_cmp_gt_i32_e64 s14, 0, v161
	s_set_vgpr_msb 0                        ;  msbs: dst=0 src0=0 src1=0 src2=0
	v_lshl_add_u32 v146, v146, 2, v12
	v_xor_b32_e32 v147, s19, v147
	v_bitop3_b32 v135, v135, v149, v148 bitop3:0x80
	v_dual_ashrrev_i32 v148, 31, v151 :: v_dual_bitop2_b32 v145, s15, v145 bitop3:0x14
	ds_load_b32 v192, v146 offset:32
	v_add_nc_u32_e32 v146, 32, v146
	v_bitop3_b32 v135, v135, v147, v150 bitop3:0x80
	v_xor_b32_e32 v147, s14, v148
	; wave barrier
	s_delay_alu instid0(VALU_DEP_1) | instskip(NEXT) | instid1(VALU_DEP_1)
	v_bitop3_b32 v135, v135, v145, v147 bitop3:0x80
	v_mbcnt_lo_u32_b32 v196, v135, 0
	v_cmp_ne_u32_e64 s15, 0, v135
	s_delay_alu instid0(VALU_DEP_2) | instskip(SKIP_1) | instid1(SALU_CYCLE_1)
	v_cmp_eq_u32_e64 s14, 0, v196
	s_and_b32 s15, s15, s14
	s_and_saveexec_b32 s14, s15
	s_cbranch_execz .LBB1319_84
; %bb.83:                               ;   in Loop: Header=BB1319_56 Depth=1
	s_wait_dscnt 0x0
	v_bcnt_u32_b32 v135, v135, v192
	ds_store_b32 v146, v135
.LBB1319_84:                            ;   in Loop: Header=BB1319_56 Depth=1
	s_or_b32 exec_lo, exec_lo, s14
	s_set_vgpr_msb 4                        ;  msbs: dst=0 src0=0 src1=1 src2=0
	v_cmp_ne_u32_e64 s14, 0x80000000, v61 /*v317*/
	; wave barrier
	s_delay_alu instid0(VALU_DEP_1) | instskip(SKIP_1) | instid1(VALU_DEP_1)
	v_cndmask_b32_e64 v135, 0x7fffffff, v61 /*v317*/, s14
	s_set_vgpr_msb 0                        ;  msbs: dst=0 src0=0 src1=0 src2=0
	v_lshrrev_b32_e32 v135, v10, v135
	s_delay_alu instid0(VALU_DEP_1) | instskip(NEXT) | instid1(VALU_DEP_1)
	v_and_b32_e32 v145, v135, v87
	v_lshlrev_b32_e32 v149, 30, v145
	v_bitop3_b32 v135, v135, 1, v87 bitop3:0x80
	s_delay_alu instid0(VALU_DEP_2) | instskip(NEXT) | instid1(VALU_DEP_2)
	v_cmp_gt_i32_e64 s15, 0, v149
	v_add_co_u32 v135, s14, v135, -1
	s_delay_alu instid0(VALU_DEP_1) | instskip(NEXT) | instid1(VALU_DEP_1)
	v_cndmask_b32_e64 v148, 0, 1, s14
	v_cmp_ne_u32_e64 s14, 0, v148
	v_not_b32_e32 v148, v149
	s_delay_alu instid0(VALU_DEP_1)
	v_dual_ashrrev_i32 v148, 31, v148 :: v_dual_lshlrev_b32 v150, 29, v145
	v_dual_lshlrev_b32 v151, 28, v145 :: v_dual_lshlrev_b32 v160, 27, v145
	v_lshlrev_b32_e32 v161, 26, v145
	s_set_vgpr_msb 16                       ;  msbs: dst=0 src0=0 src1=0 src2=1
	v_lshl_add_u32 v147, v145, 3, v17 /*v273*/
	v_cmp_gt_i32_e64 s16, 0, v150
	v_not_b32_e32 v149, v150
	v_not_b32_e32 v150, v151
	v_dual_lshlrev_b32 v162, 25, v145 :: v_dual_lshlrev_b32 v145, 24, v145
	v_cmp_gt_i32_e64 s17, 0, v151
	v_cmp_gt_i32_e64 s18, 0, v160
	v_not_b32_e32 v151, v160
	v_dual_ashrrev_i32 v149, 31, v149 :: v_dual_bitop2_b32 v135, s14, v135 bitop3:0x14
	v_dual_ashrrev_i32 v150, 31, v150 :: v_dual_bitop2_b32 v148, s15, v148 bitop3:0x14
	v_not_b32_e32 v160, v161
	v_cmp_gt_i32_e64 s19, 0, v161
	s_delay_alu instid0(VALU_DEP_4) | instskip(NEXT) | instid1(VALU_DEP_4)
	v_dual_ashrrev_i32 v151, 31, v151 :: v_dual_bitop2_b32 v149, s16, v149 bitop3:0x14
	v_xor_b32_e32 v150, s17, v150
	v_bitop3_b32 v135, v135, v148, exec_lo bitop3:0x80
	v_ashrrev_i32_e32 v148, 31, v160
	v_not_b32_e32 v160, v162
	v_not_b32_e32 v161, v145
	v_xor_b32_e32 v151, s18, v151
	s_set_vgpr_msb 0                        ;  msbs: dst=0 src0=0 src1=0 src2=0
	v_bitop3_b32 v135, v135, v150, v149 bitop3:0x80
	v_xor_b32_e32 v148, s19, v148
	v_cmp_gt_i32_e64 s14, 0, v162
	v_ashrrev_i32_e32 v149, 31, v160
	v_cmp_gt_i32_e64 s15, 0, v145
	v_ashrrev_i32_e32 v145, 31, v161
	v_lshl_add_u32 v147, v147, 2, v12
	v_bitop3_b32 v135, v135, v148, v151 bitop3:0x80
	v_xor_b32_e32 v148, s14, v149
	s_delay_alu instid0(VALU_DEP_4) | instskip(SKIP_3) | instid1(VALU_DEP_2)
	v_xor_b32_e32 v145, s15, v145
	ds_load_b32 v198, v147 offset:32
	; wave barrier
	v_bitop3_b32 v135, v135, v145, v148 bitop3:0x80
	v_add_nc_u32_e32 v148, 32, v147
	v_mbcnt_lo_u32_b32 v208, v135, 0
	v_cmp_ne_u32_e64 s15, 0, v135
	s_delay_alu instid0(VALU_DEP_2) | instskip(SKIP_1) | instid1(SALU_CYCLE_1)
	v_cmp_eq_u32_e64 s14, 0, v208
	s_and_b32 s15, s15, s14
	s_and_saveexec_b32 s14, s15
	s_cbranch_execz .LBB1319_86
; %bb.85:                               ;   in Loop: Header=BB1319_56 Depth=1
	s_wait_dscnt 0x0
	v_bcnt_u32_b32 v135, v135, v198
	ds_store_b32 v148, v135
.LBB1319_86:                            ;   in Loop: Header=BB1319_56 Depth=1
	s_or_b32 exec_lo, exec_lo, s14
	s_set_vgpr_msb 4                        ;  msbs: dst=0 src0=0 src1=1 src2=0
	v_cmp_ne_u32_e64 s14, 0x80000000, v60 /*v316*/
	; wave barrier
	s_delay_alu instid0(VALU_DEP_1) | instskip(SKIP_1) | instid1(VALU_DEP_1)
	v_cndmask_b32_e64 v135, 0x7fffffff, v60 /*v316*/, s14
	s_set_vgpr_msb 0                        ;  msbs: dst=0 src0=0 src1=0 src2=0
	v_lshrrev_b32_e32 v135, v10, v135
	s_delay_alu instid0(VALU_DEP_1) | instskip(NEXT) | instid1(VALU_DEP_1)
	v_and_b32_e32 v145, v135, v87
	v_lshlrev_b32_e32 v150, 30, v145
	v_bitop3_b32 v135, v135, 1, v87 bitop3:0x80
	s_delay_alu instid0(VALU_DEP_2) | instskip(NEXT) | instid1(VALU_DEP_2)
	v_cmp_gt_i32_e64 s15, 0, v150
	v_add_co_u32 v135, s14, v135, -1
	s_delay_alu instid0(VALU_DEP_1) | instskip(NEXT) | instid1(VALU_DEP_1)
	v_cndmask_b32_e64 v149, 0, 1, s14
	v_cmp_ne_u32_e64 s14, 0, v149
	v_not_b32_e32 v149, v150
	s_delay_alu instid0(VALU_DEP_1) | instskip(SKIP_4) | instid1(VALU_DEP_3)
	v_ashrrev_i32_e32 v149, 31, v149
	v_dual_lshlrev_b32 v151, 29, v145 :: v_dual_lshlrev_b32 v160, 28, v145
	v_dual_lshlrev_b32 v161, 27, v145 :: v_dual_lshlrev_b32 v162, 26, v145
	s_set_vgpr_msb 16                       ;  msbs: dst=0 src0=0 src1=0 src2=1
	v_lshl_add_u32 v147, v145, 3, v17 /*v273*/
	v_cmp_gt_i32_e64 s16, 0, v151
	v_not_b32_e32 v150, v151
	v_not_b32_e32 v151, v160
	v_dual_lshlrev_b32 v163, 25, v145 :: v_dual_lshlrev_b32 v145, 24, v145
	v_cmp_gt_i32_e64 s17, 0, v160
	v_cmp_gt_i32_e64 s18, 0, v161
	v_not_b32_e32 v160, v161
	v_dual_ashrrev_i32 v150, 31, v150 :: v_dual_bitop2_b32 v135, s14, v135 bitop3:0x14
	v_dual_ashrrev_i32 v151, 31, v151 :: v_dual_bitop2_b32 v149, s15, v149 bitop3:0x14
	v_not_b32_e32 v161, v162
	v_cmp_gt_i32_e64 s19, 0, v162
	s_delay_alu instid0(VALU_DEP_4) | instskip(NEXT) | instid1(VALU_DEP_4)
	v_dual_ashrrev_i32 v160, 31, v160 :: v_dual_bitop2_b32 v150, s16, v150 bitop3:0x14
	v_xor_b32_e32 v151, s17, v151
	v_bitop3_b32 v135, v135, v149, exec_lo bitop3:0x80
	v_ashrrev_i32_e32 v149, 31, v161
	v_not_b32_e32 v161, v163
	v_not_b32_e32 v162, v145
	v_xor_b32_e32 v160, s18, v160
	s_set_vgpr_msb 0                        ;  msbs: dst=0 src0=0 src1=0 src2=0
	v_bitop3_b32 v135, v135, v151, v150 bitop3:0x80
	v_xor_b32_e32 v149, s19, v149
	v_cmp_gt_i32_e64 s14, 0, v163
	v_ashrrev_i32_e32 v150, 31, v161
	v_cmp_gt_i32_e64 s15, 0, v145
	v_ashrrev_i32_e32 v145, 31, v162
	v_lshl_add_u32 v147, v147, 2, v12
	v_bitop3_b32 v135, v135, v149, v160 bitop3:0x80
	v_xor_b32_e32 v149, s14, v150
	s_delay_alu instid0(VALU_DEP_4) | instskip(SKIP_3) | instid1(VALU_DEP_1)
	v_xor_b32_e32 v145, s15, v145
	ds_load_b32 v209, v147 offset:32
	v_add_nc_u32_e32 v150, 32, v147
	; wave barrier
	v_bitop3_b32 v135, v135, v145, v149 bitop3:0x80
	v_mbcnt_lo_u32_b32 v210, v135, 0
	v_cmp_ne_u32_e64 s15, 0, v135
	s_delay_alu instid0(VALU_DEP_2) | instskip(SKIP_1) | instid1(SALU_CYCLE_1)
	v_cmp_eq_u32_e64 s14, 0, v210
	s_and_b32 s15, s15, s14
	s_and_saveexec_b32 s14, s15
	s_cbranch_execz .LBB1319_88
; %bb.87:                               ;   in Loop: Header=BB1319_56 Depth=1
	s_wait_dscnt 0x0
	v_bcnt_u32_b32 v135, v135, v209
	ds_store_b32 v150, v135
.LBB1319_88:                            ;   in Loop: Header=BB1319_56 Depth=1
	s_or_b32 exec_lo, exec_lo, s14
	s_set_vgpr_msb 4                        ;  msbs: dst=0 src0=0 src1=1 src2=0
	v_cmp_ne_u32_e64 s14, 0x80000000, v63 /*v319*/
	; wave barrier
	s_delay_alu instid0(VALU_DEP_1) | instskip(SKIP_1) | instid1(VALU_DEP_1)
	v_cndmask_b32_e64 v135, 0x7fffffff, v63 /*v319*/, s14
	s_set_vgpr_msb 0                        ;  msbs: dst=0 src0=0 src1=0 src2=0
	v_lshrrev_b32_e32 v135, v10, v135
	s_delay_alu instid0(VALU_DEP_1) | instskip(NEXT) | instid1(VALU_DEP_1)
	v_and_b32_e32 v145, v135, v87
	v_lshlrev_b32_e32 v149, 30, v145
	v_bitop3_b32 v87, v135, 1, v87 bitop3:0x80
	v_lshlrev_b32_e32 v151, 29, v145
	s_delay_alu instid0(VALU_DEP_3) | instskip(NEXT) | instid1(VALU_DEP_3)
	v_cmp_gt_i32_e64 s15, 0, v149
	v_add_co_u32 v87, s14, v87, -1
	s_delay_alu instid0(VALU_DEP_1) | instskip(NEXT) | instid1(VALU_DEP_1)
	v_cndmask_b32_e64 v147, 0, 1, s14
	v_cmp_ne_u32_e64 s14, 0, v147
	v_not_b32_e32 v147, v149
	v_not_b32_e32 v149, v151
	s_delay_alu instid0(VALU_DEP_1)
	v_ashrrev_i32_e32 v149, 31, v149
	v_dual_lshlrev_b32 v160, 28, v145 :: v_dual_lshlrev_b32 v161, 27, v145
	v_lshlrev_b32_e32 v162, 26, v145
	v_cmp_gt_i32_e64 s16, 0, v151
	s_set_vgpr_msb 16                       ;  msbs: dst=0 src0=0 src1=0 src2=1
	v_lshl_add_u32 v135, v145, 3, v17 /*v273*/
	v_cmp_gt_i32_e64 s17, 0, v160
	v_not_b32_e32 v151, v160
	v_not_b32_e32 v160, v161
	v_dual_ashrrev_i32 v147, 31, v147 :: v_dual_lshlrev_b32 v163, 25, v145
	v_lshlrev_b32_e32 v145, 24, v145
	v_cmp_gt_i32_e64 s18, 0, v161
	v_dual_ashrrev_i32 v151, 31, v151 :: v_dual_bitop2_b32 v149, s16, v149 bitop3:0x14
	v_not_b32_e32 v161, v162
	v_dual_ashrrev_i32 v160, 31, v160 :: v_dual_bitop2_b32 v87, s14, v87 bitop3:0x14
	v_xor_b32_e32 v147, s15, v147
	v_cmp_gt_i32_e64 s19, 0, v162
	v_not_b32_e32 v162, v145
	v_xor_b32_e32 v151, s17, v151
	v_xor_b32_e32 v160, s18, v160
	v_bitop3_b32 v87, v87, v147, exec_lo bitop3:0x80
	v_ashrrev_i32_e32 v147, 31, v161
	v_not_b32_e32 v161, v163
	v_cmp_gt_i32_e64 s14, 0, v163
	v_cmp_gt_i32_e64 s15, 0, v145
	v_ashrrev_i32_e32 v145, 31, v162
	s_set_vgpr_msb 0                        ;  msbs: dst=0 src0=0 src1=0 src2=0
	v_bitop3_b32 v87, v87, v151, v149 bitop3:0x80
	v_dual_ashrrev_i32 v149, 31, v161 :: v_dual_bitop2_b32 v147, s19, v147 bitop3:0x14
	v_lshl_add_u32 v151, v135, 2, v12
	v_xor_b32_e32 v145, s15, v145
	s_delay_alu instid0(VALU_DEP_3) | instskip(NEXT) | instid1(VALU_DEP_3)
	v_bitop3_b32 v135, v87, v147, v160 bitop3:0x80
	v_dual_add_nc_u32 v160, 32, v151 :: v_dual_bitop2_b32 v147, s14, v149 bitop3:0x14
	ds_load_b32 v87, v151 offset:32
	; wave barrier
	v_bitop3_b32 v135, v135, v145, v147 bitop3:0x80
	s_delay_alu instid0(VALU_DEP_1) | instskip(SKIP_1) | instid1(VALU_DEP_2)
	v_mbcnt_lo_u32_b32 v211, v135, 0
	v_cmp_ne_u32_e64 s15, 0, v135
	v_cmp_eq_u32_e64 s14, 0, v211
	s_and_b32 s15, s15, s14
	s_delay_alu instid0(SALU_CYCLE_1)
	s_and_saveexec_b32 s14, s15
	s_cbranch_execz .LBB1319_90
; %bb.89:                               ;   in Loop: Header=BB1319_56 Depth=1
	s_wait_dscnt 0x0
	v_bcnt_u32_b32 v135, v135, v87
	ds_store_b32 v160, v135
.LBB1319_90:                            ;   in Loop: Header=BB1319_56 Depth=1
	s_or_b32 exec_lo, exec_lo, s14
	; wave barrier
	s_wait_dscnt 0x0
	s_barrier_signal -1
	s_barrier_wait -1
	ds_load_b32 v145, v23
	ds_load_b32 v149, v39
	s_set_vgpr_msb 1                        ;  msbs: dst=0 src0=1 src1=0 src2=0
	ds_load_b32 v135, v11 /*v267*/
	ds_load_b32 v147, v12 /*v268*/
	;; [unrolled: 1-line block ×6, first 2 shown]
	s_wait_dscnt 0x6
	s_set_vgpr_msb 0                        ;  msbs: dst=0 src0=0 src1=0 src2=0
	v_add_nc_u32_e32 v161, v149, v145
	s_wait_dscnt 0x4
	s_delay_alu instid0(VALU_DEP_1) | instskip(SKIP_1) | instid1(VALU_DEP_1)
	v_add3_u32 v161, v161, v135, v147
	s_wait_dscnt 0x2
	v_add3_u32 v161, v161, v165, v166
	s_wait_dscnt 0x0
	s_delay_alu instid0(VALU_DEP_1) | instskip(NEXT) | instid1(VALU_DEP_1)
	v_add3_u32 v151, v161, v162, v151
	v_mov_b32_dpp v161, v151 row_shr:1 row_mask:0xf bank_mask:0xf
	s_delay_alu instid0(VALU_DEP_1) | instskip(NEXT) | instid1(VALU_DEP_1)
	v_cndmask_b32_e64 v161, v161, 0, vcc_lo
	v_add_nc_u32_e32 v151, v161, v151
	s_delay_alu instid0(VALU_DEP_1) | instskip(NEXT) | instid1(VALU_DEP_1)
	v_mov_b32_dpp v161, v151 row_shr:2 row_mask:0xf bank_mask:0xf
	v_cndmask_b32_e64 v161, 0, v161, s0
	s_delay_alu instid0(VALU_DEP_1) | instskip(NEXT) | instid1(VALU_DEP_1)
	v_add_nc_u32_e32 v151, v151, v161
	v_mov_b32_dpp v161, v151 row_shr:4 row_mask:0xf bank_mask:0xf
	s_delay_alu instid0(VALU_DEP_1) | instskip(NEXT) | instid1(VALU_DEP_1)
	v_cndmask_b32_e64 v161, 0, v161, s1
	v_add_nc_u32_e32 v151, v151, v161
	s_delay_alu instid0(VALU_DEP_1) | instskip(NEXT) | instid1(VALU_DEP_1)
	v_mov_b32_dpp v161, v151 row_shr:8 row_mask:0xf bank_mask:0xf
	v_cndmask_b32_e64 v161, 0, v161, s3
	s_delay_alu instid0(VALU_DEP_1) | instskip(SKIP_3) | instid1(VALU_DEP_1)
	v_add_nc_u32_e32 v151, v151, v161
	ds_swizzle_b32 v161, v151 offset:swizzle(BROADCAST,32,15)
	s_wait_dscnt 0x0
	v_cndmask_b32_e64 v161, v161, 0, s4
	v_add_nc_u32_e32 v151, v151, v161
	s_and_saveexec_b32 s14, s5
; %bb.91:                               ;   in Loop: Header=BB1319_56 Depth=1
	s_set_vgpr_msb 1                        ;  msbs: dst=0 src0=1 src1=0 src2=0
	ds_store_b32 v19 /*v275*/, v151
; %bb.92:                               ;   in Loop: Header=BB1319_56 Depth=1
	s_or_b32 exec_lo, exec_lo, s14
	s_wait_dscnt 0x0
	s_barrier_signal -1
	s_barrier_wait -1
	s_and_saveexec_b32 s14, s6
	s_set_vgpr_msb 0                        ;  msbs: dst=0 src0=0 src1=0 src2=0
	s_cbranch_execz .LBB1319_94
; %bb.93:                               ;   in Loop: Header=BB1319_56 Depth=1
	ds_load_b32 v161, v4
	s_wait_dscnt 0x0
	v_mov_b32_dpp v163, v161 row_shr:1 row_mask:0xf bank_mask:0xf
	s_delay_alu instid0(VALU_DEP_1) | instskip(NEXT) | instid1(VALU_DEP_1)
	v_cndmask_b32_e64 v163, v163, 0, s11
	v_add_nc_u32_e32 v161, v163, v161
	s_delay_alu instid0(VALU_DEP_1) | instskip(NEXT) | instid1(VALU_DEP_1)
	v_mov_b32_dpp v163, v161 row_shr:2 row_mask:0xf bank_mask:0xf
	v_cndmask_b32_e64 v163, 0, v163, s12
	s_delay_alu instid0(VALU_DEP_1) | instskip(NEXT) | instid1(VALU_DEP_1)
	v_add_nc_u32_e32 v161, v161, v163
	v_mov_b32_dpp v163, v161 row_shr:4 row_mask:0xf bank_mask:0xf
	s_delay_alu instid0(VALU_DEP_1) | instskip(NEXT) | instid1(VALU_DEP_1)
	v_cndmask_b32_e64 v163, 0, v163, s13
	v_add_nc_u32_e32 v161, v161, v163
	ds_store_b32 v4, v161
.LBB1319_94:                            ;   in Loop: Header=BB1319_56 Depth=1
	s_or_b32 exec_lo, exec_lo, s14
	v_mov_b32_e32 v161, 0
	s_wait_dscnt 0x0
	s_barrier_signal -1
	s_barrier_wait -1
	s_and_saveexec_b32 s14, s7
; %bb.95:                               ;   in Loop: Header=BB1319_56 Depth=1
	s_set_vgpr_msb 4                        ;  msbs: dst=0 src0=0 src1=1 src2=0
	v_add_nc_u32_e32 v161, -4, v19 /*v275*/
	ds_load_b32 v161, v161
; %bb.96:                               ;   in Loop: Header=BB1319_56 Depth=1
	s_or_b32 exec_lo, exec_lo, s14
	s_wait_dscnt 0x0
	s_set_vgpr_msb 0                        ;  msbs: dst=0 src0=0 src1=0 src2=0
	v_add_nc_u32_e32 v151, v161, v151
	v_dual_mov_b32 v163, v1 :: v_dual_mov_b32 v179, v1
	v_dual_mov_b32 v181, v1 :: v_dual_mov_b32 v195, v1
	s_set_vgpr_msb 1                        ;  msbs: dst=0 src0=1 src1=0 src2=0
	ds_bpermute_b32 v151, v18 /*v274*/, v151
	s_mov_b32 s16, -1
	s_set_vgpr_msb 0                        ;  msbs: dst=0 src0=0 src1=0 src2=0
	v_dual_mov_b32 v177, v1 :: v_dual_add_nc_u32 v10, 8, v10
	s_delay_alu instid0(VALU_DEP_1) | instskip(SKIP_2) | instid1(VALU_DEP_1)
	v_cmp_lt_u32_e64 s14, v10, v11
	s_wait_dscnt 0x0
	v_dual_cndmask_b32 v151, v151, v161, s2 :: v_dual_mov_b32 v161, v1
	v_cndmask_b32_e64 v178, v151, 0, s10
	s_delay_alu instid0(VALU_DEP_1) | instskip(NEXT) | instid1(VALU_DEP_1)
	v_dual_mov_b32 v151, v1 :: v_dual_add_nc_u32 v180, v178, v145
	v_dual_mov_b32 v145, v1 :: v_dual_add_nc_u32 v194, v180, v149
	ds_store_b32 v23, v178
	ds_store_b32 v39, v180
	s_set_vgpr_msb 1                        ;  msbs: dst=0 src0=1 src1=0 src2=0
	ds_store_b32 v11 /*v267*/, v194
	s_set_vgpr_msb 0                        ;  msbs: dst=0 src0=0 src1=0 src2=0
	v_dual_mov_b32 v149, v1 :: v_dual_add_nc_u32 v197, v194, v135
	v_mov_b32_e32 v135, v1
	s_delay_alu instid0(VALU_DEP_2) | instskip(SKIP_1) | instid1(VALU_DEP_2)
	v_add_nc_u32_e32 v199, v197, v147
	v_dual_mov_b32 v167, v1 :: v_dual_mov_b32 v147, v1
	v_dual_mov_b32 v165, v1 :: v_dual_add_nc_u32 v212, v199, v165
	s_delay_alu instid0(VALU_DEP_1) | instskip(NEXT) | instid1(VALU_DEP_1)
	v_dual_mov_b32 v193, v1 :: v_dual_add_nc_u32 v166, v212, v166
	v_add_nc_u32_e32 v162, v166, v162
	s_set_vgpr_msb 1                        ;  msbs: dst=0 src0=1 src1=0 src2=0
	ds_store_b32 v12 /*v268*/, v197
	ds_store_b32 v13 /*v269*/, v199
	;; [unrolled: 1-line block ×5, first 2 shown]
	s_wait_dscnt 0x0
	s_barrier_signal -1
	s_barrier_wait -1
	s_set_vgpr_msb 0                        ;  msbs: dst=0 src0=0 src1=0 src2=0
	ds_load_b32 v70, v70
	ds_load_b32 v81, v81
	;; [unrolled: 1-line block ×17, first 2 shown]
	v_dual_mov_b32 v197, v1 :: v_dual_mov_b32 v199, v1
	s_wait_dscnt 0x0
	v_add_nc_u32_e32 v0, v70, v0
	v_add3_u32 v150, v80, v71, v81
	v_add3_u32 v134, v83, v82, v84
	;; [unrolled: 1-line block ×16, first 2 shown]
	s_set_vgpr_msb 64                       ;  msbs: dst=1 src0=0 src1=0 src2=0
	v_lshl_add_u64 v[8:9] /*v[264:265]*/, v[0:1], 2, v[12:13]
	v_lshl_add_u64 v[6:7] /*v[262:263]*/, v[150:151], 2, v[12:13]
	v_lshl_add_u64 v[4:5] /*v[260:261]*/, v[134:135], 2, v[12:13]
	v_lshl_add_u64 v[2:3] /*v[258:259]*/, v[144:145], 2, v[12:13]
	v_lshl_add_u64 v[0:1] /*v[256:257]*/, v[148:149], 2, v[12:13]
	s_set_vgpr_msb 0                        ;  msbs: dst=0 src0=0 src1=0 src2=0
	v_lshl_add_u64 v[246:247], v[162:163], 2, v[12:13]
	v_lshl_add_u64 v[244:245], v[178:179], 2, v[12:13]
	v_lshl_add_u64 v[242:243], v[146:147], 2, v[12:13]
	v_lshl_add_u64 v[240:241], v[160:161], 2, v[12:13]
	v_lshl_add_u64 v[230:231], v[166:167], 2, v[12:13]
	v_lshl_add_u64 v[228:229], v[180:181], 2, v[12:13]
	v_lshl_add_u64 v[226:227], v[194:195], 2, v[12:13]
	v_lshl_add_u64 v[224:225], v[164:165], 2, v[12:13]
	v_lshl_add_u64 v[214:215], v[176:177], 2, v[12:13]
	v_lshl_add_u64 v[212:213], v[192:193], 2, v[12:13]
	v_lshl_add_u64 v[210:211], v[196:197], 2, v[12:13]
	v_lshl_add_u64 v[208:209], v[198:199], 2, v[12:13]
                                        ; implicit-def: $vgpr70_vgpr71
                                        ; implicit-def: $vgpr80_vgpr81
                                        ; implicit-def: $vgpr82_vgpr83
                                        ; implicit-def: $vgpr84_vgpr85
                                        ; implicit-def: $vgpr86_vgpr87
                                        ; implicit-def: $vgpr96_vgpr97
                                        ; implicit-def: $vgpr98_vgpr99
                                        ; implicit-def: $vgpr100_vgpr101
                                        ; implicit-def: $vgpr102_vgpr103
                                        ; implicit-def: $vgpr112_vgpr113
                                        ; implicit-def: $vgpr114_vgpr115
                                        ; implicit-def: $vgpr118_vgpr119
                                        ; implicit-def: $vgpr130_vgpr131
                                        ; implicit-def: $vgpr116_vgpr117
                                        ; implicit-def: $vgpr128_vgpr129
                                        ; implicit-def: $vgpr132_vgpr133
                                        ; implicit-def: $vgpr182_vgpr183
                                        ; implicit-def: $vgpr209
                                        ; implicit-def: $vgpr163
                                        ; implicit-def: $vgpr165
                                        ; implicit-def: $vgpr167
                                        ; implicit-def: $vgpr197
                                        ; implicit-def: $vgpr181
                                        ; implicit-def: $vgpr193
                                        ; implicit-def: $vgpr177
                                        ; implicit-def: $vgpr179
                                        ; implicit-def: $vgpr199
                                        ; implicit-def: $vgpr195
                                        ; implicit-def: $vgpr135
                                        ; implicit-def: $vgpr147
                                        ; implicit-def: $vgpr145
                                        ; implicit-def: $vgpr149
                                        ; implicit-def: $vgpr161
                                        ; implicit-def: $vgpr151
	s_and_saveexec_b32 s15, s14
	s_cbranch_execz .LBB1319_55
; %bb.97:                               ;   in Loop: Header=BB1319_56 Depth=1
	s_set_vgpr_msb 5                        ;  msbs: dst=0 src0=1 src1=1 src2=0
	v_add_nc_u32_e32 v70, 0x80, v20 /*v276*/
	v_add_nc_u32_e32 v71, 0x100, v20 /*v276*/
	s_barrier_signal -1
	s_barrier_wait -1
	ds_store_b32 v8 /*v264*/, v47 /*v303*/
	ds_store_b32 v6 /*v262*/, v50 /*v306*/
	;; [unrolled: 1-line block ×5, first 2 shown]
	s_set_vgpr_msb 4                        ;  msbs: dst=0 src0=0 src1=1 src2=0
	ds_store_b32 v246, v53 /*v309*/
	ds_store_b32 v244, v52 /*v308*/
	;; [unrolled: 1-line block ×12, first 2 shown]
	s_wait_dscnt 0x0
	s_barrier_signal -1
	s_barrier_wait -1
	s_set_vgpr_msb 1                        ;  msbs: dst=0 src0=1 src1=0 src2=0
	ds_load_b32 v209, v20 /*v276*/
	s_set_vgpr_msb 4                        ;  msbs: dst=0 src0=0 src1=1 src2=0
	ds_load_b32 v163, v70
	ds_load_b32 v165, v71
	v_add_nc_u32_e32 v70, 0x180, v20 /*v276*/
	v_add_nc_u32_e32 v71, 0x200, v20 /*v276*/
	;; [unrolled: 1-line block ×5, first 2 shown]
	ds_load_b32 v167, v70
	ds_load_b32 v197, v71
	;; [unrolled: 1-line block ×6, first 2 shown]
	s_set_vgpr_msb 1                        ;  msbs: dst=0 src0=1 src1=0 src2=0
	ds_load_b32 v199, v21 /*v277*/
	ds_load_b32 v195, v22 /*v278*/
	ds_load_b32 v135, v23 /*v279*/
	ds_load_b32 v147, v24 /*v280*/
	ds_load_b32 v145, v26 /*v282*/
	ds_load_b32 v149, v27 /*v283*/
	ds_load_b32 v161, v28 /*v284*/
	ds_load_b32 v151, v29 /*v285*/
	s_set_vgpr_msb 16                       ;  msbs: dst=0 src0=0 src1=0 src2=1
	v_lshl_add_u32 v70, v0, 2, v8 /*v264*/
	v_lshl_add_u32 v71, v150, 2, v6 /*v262*/
	s_wait_dscnt 0x0
	s_barrier_signal -1
	s_barrier_wait -1
	ds_store_b64 v70, v[50:51]
	ds_store_b64 v71, v[48:49]
	v_lshl_add_u32 v70, v134, 2, v4 /*v260*/
	v_lshl_add_u32 v71, v144, 2, v2 /*v258*/
	;; [unrolled: 1-line block ×3, first 2 shown]
	s_set_vgpr_msb 0                        ;  msbs: dst=0 src0=0 src1=0 src2=0
	v_lshl_add_u32 v81, v162, 2, v246
	v_lshl_add_u32 v82, v178, 2, v244
	ds_store_b64 v70, v[36:37]
	ds_store_b64 v71, v[34:35]
	ds_store_b64 v80, v[32:33]
	ds_store_b64 v81, v[30:31]
	ds_store_b64 v82, v[28:29]
	v_lshl_add_u32 v70, v146, 2, v242
	v_lshl_add_u32 v71, v160, 2, v240
	;; [unrolled: 1-line block ×5, first 2 shown]
	ds_store_b64 v70, v[20:21]
	ds_store_b64 v71, v[18:19]
	;; [unrolled: 1-line block ×5, first 2 shown]
	v_lshl_add_u32 v70, v164, 2, v224
	v_lshl_add_u32 v71, v176, 2, v214
	;; [unrolled: 1-line block ×5, first 2 shown]
	ds_store_b64 v70, v[14:15]
	ds_store_b64 v71, v[66:67]
	;; [unrolled: 1-line block ×5, first 2 shown]
	s_wait_dscnt 0x0
	s_barrier_signal -1
	s_barrier_wait -1
	s_set_vgpr_msb 1                        ;  msbs: dst=0 src0=1 src1=0 src2=0
	ds_load_b64 v[70:71], v25 /*v281*/
	ds_load_b64 v[80:81], v30 /*v286*/
	;; [unrolled: 1-line block ×17, first 2 shown]
	s_set_vgpr_msb 0x44                     ;  msbs: dst=1 src0=0 src1=1 src2=0
	v_add_nc_u32_e32 v46 /*v302*/, -8, v46 /*v302*/
	s_xor_b32 s16, exec_lo, -1
	s_wait_dscnt 0x0
	s_barrier_signal -1
	s_barrier_wait -1
	s_set_vgpr_msb 0                        ;  msbs: dst=0 src0=0 src1=0 src2=0
	s_branch .LBB1319_55
.LBB1319_98:
	s_or_b32 exec_lo, exec_lo, s24
	s_set_vgpr_msb 16                       ;  msbs: dst=0 src0=0 src1=0 src2=1
	v_lshl_add_u32 v0, v0, 2, v8 /*v264*/
	v_lshl_add_u32 v1, v150, 2, v6 /*v262*/
	s_barrier_signal -1
	s_barrier_wait -1
	s_set_vgpr_msb 5                        ;  msbs: dst=0 src0=1 src1=1 src2=0
	ds_store_b32 v8 /*v264*/, v47 /*v303*/
	ds_store_b32 v6 /*v262*/, v50 /*v306*/
	;; [unrolled: 1-line block ×5, first 2 shown]
	s_set_vgpr_msb 4                        ;  msbs: dst=0 src0=0 src1=1 src2=0
	ds_store_b32 v246, v53 /*v309*/
	ds_store_b32 v244, v52 /*v308*/
	;; [unrolled: 1-line block ×12, first 2 shown]
	s_wait_dscnt 0x0
	s_barrier_signal -1
	s_barrier_wait -1
	ds_load_2addr_stride64_b32 v[98:99], v4 offset1:4
	ds_load_2addr_stride64_b32 v[96:97], v4 offset0:8 offset1:12
	ds_load_2addr_stride64_b32 v[86:87], v4 offset0:16 offset1:20
	;; [unrolled: 1-line block ×7, first 2 shown]
	ds_load_b32 v4, v4 offset:16384
	s_wait_dscnt 0x0
	s_barrier_signal -1
	s_barrier_wait -1
	s_set_vgpr_msb 16                       ;  msbs: dst=0 src0=0 src1=0 src2=1
	ds_store_b64 v0, v[50:51]
	ds_store_b64 v1, v[48:49]
	v_lshl_add_u32 v0, v134, 2, v4 /*v260*/
	v_lshl_add_u32 v1, v144, 2, v2 /*v258*/
	;; [unrolled: 1-line block ×3, first 2 shown]
	s_set_vgpr_msb 0                        ;  msbs: dst=0 src0=0 src1=0 src2=0
	v_lshl_add_u32 v10, v162, 2, v246
	v_lshl_add_u32 v11, v178, 2, v244
	ds_store_b64 v0, v[36:37]
	ds_store_b64 v1, v[34:35]
	;; [unrolled: 1-line block ×5, first 2 shown]
	v_lshl_add_u32 v0, v146, 2, v242
	v_lshl_add_u32 v1, v160, 2, v240
	;; [unrolled: 1-line block ×5, first 2 shown]
	ds_store_b64 v0, v[20:21]
	ds_store_b64 v1, v[18:19]
	;; [unrolled: 1-line block ×5, first 2 shown]
	v_lshl_add_u32 v0, v164, 2, v224
	v_lshl_add_u32 v1, v176, 2, v214
	;; [unrolled: 1-line block ×5, first 2 shown]
	ds_store_b64 v0, v[14:15]
	ds_store_b64 v1, v[66:67]
	;; [unrolled: 1-line block ×5, first 2 shown]
	v_lshl_add_u32 v0, v22, 3, v12
	s_wait_dscnt 0x0
	s_barrier_signal -1
	s_barrier_wait -1
	ds_load_2addr_stride64_b64 v[48:51], v0 offset1:4
	ds_load_2addr_stride64_b64 v[34:37], v0 offset0:8 offset1:12
	ds_load_2addr_stride64_b64 v[30:33], v0 offset0:16 offset1:20
	;; [unrolled: 1-line block ×7, first 2 shown]
	ds_load_b64 v[0:1], v0 offset:32768
	v_lshl_add_u64 v[2:3], v[8:9], 2, v[2:3]
	v_mov_b32_e32 v39, 0
	s_set_vgpr_msb 4                        ;  msbs: dst=0 src0=0 src1=1 src2=0
	v_cmp_lt_u32_e32 vcc_lo, v38, v10 /*v266*/
	s_wait_dscnt 0x0
	s_barrier_signal -1
	s_barrier_wait -1
	v_lshl_add_u64 v[2:3], v[38:39], 2, v[2:3]
	s_and_saveexec_b32 s1, vcc_lo
	s_set_vgpr_msb 0                        ;  msbs: dst=0 src0=0 src1=0 src2=0
	s_cbranch_execz .LBB1319_100
; %bb.99:
	v_cmp_gt_i32_e64 s0, 0, v98
	s_delay_alu instid0(VALU_DEP_1) | instskip(NEXT) | instid1(VALU_DEP_1)
	v_cndmask_b32_e64 v5, 0x7fffffff, 0, s0
	v_xor_b32_e32 v5, v5, v98
	flat_store_b32 v[2:3], v5
.LBB1319_100:
	s_wait_xcnt 0x0
	s_or_b32 exec_lo, exec_lo, s1
	v_add_nc_u32_e32 v5, 0x100, v38
	s_set_vgpr_msb 4                        ;  msbs: dst=0 src0=0 src1=1 src2=0
	s_delay_alu instid0(VALU_DEP_1)
	v_cmp_lt_u32_e64 s0, v5, v10 /*v266*/
	s_and_saveexec_b32 s2, s0
	s_set_vgpr_msb 0                        ;  msbs: dst=0 src0=0 src1=0 src2=0
	s_cbranch_execz .LBB1319_102
; %bb.101:
	v_cmp_gt_i32_e64 s1, 0, v99
	s_delay_alu instid0(VALU_DEP_1) | instskip(NEXT) | instid1(VALU_DEP_1)
	v_cndmask_b32_e64 v5, 0x7fffffff, 0, s1
	v_xor_b32_e32 v5, v5, v99
	flat_store_b32 v[2:3], v5 offset:1024
.LBB1319_102:
	s_wait_xcnt 0x0
	s_or_b32 exec_lo, exec_lo, s2
	v_add_nc_u32_e32 v5, 0x200, v38
	s_set_vgpr_msb 4                        ;  msbs: dst=0 src0=0 src1=1 src2=0
	s_delay_alu instid0(VALU_DEP_1)
	v_cmp_lt_u32_e64 s1, v5, v10 /*v266*/
	s_and_saveexec_b32 s3, s1
	s_set_vgpr_msb 0                        ;  msbs: dst=0 src0=0 src1=0 src2=0
	s_cbranch_execz .LBB1319_104
; %bb.103:
	v_cmp_gt_i32_e64 s2, 0, v96
	s_delay_alu instid0(VALU_DEP_1) | instskip(NEXT) | instid1(VALU_DEP_1)
	v_cndmask_b32_e64 v5, 0x7fffffff, 0, s2
	v_xor_b32_e32 v5, v5, v96
	flat_store_b32 v[2:3], v5 offset:2048
.LBB1319_104:
	s_wait_xcnt 0x0
	s_or_b32 exec_lo, exec_lo, s3
	v_add_nc_u32_e32 v5, 0x300, v38
	s_set_vgpr_msb 4                        ;  msbs: dst=0 src0=0 src1=1 src2=0
	s_delay_alu instid0(VALU_DEP_1)
	v_cmp_lt_u32_e64 s2, v5, v10 /*v266*/
	s_and_saveexec_b32 s4, s2
	s_set_vgpr_msb 0                        ;  msbs: dst=0 src0=0 src1=0 src2=0
	s_cbranch_execz .LBB1319_106
; %bb.105:
	v_cmp_gt_i32_e64 s3, 0, v97
	s_delay_alu instid0(VALU_DEP_1) | instskip(NEXT) | instid1(VALU_DEP_1)
	v_cndmask_b32_e64 v5, 0x7fffffff, 0, s3
	v_xor_b32_e32 v5, v5, v97
	flat_store_b32 v[2:3], v5 offset:3072
.LBB1319_106:
	s_wait_xcnt 0x0
	s_or_b32 exec_lo, exec_lo, s4
	v_add_nc_u32_e32 v5, 0x400, v38
	s_set_vgpr_msb 4                        ;  msbs: dst=0 src0=0 src1=1 src2=0
	s_delay_alu instid0(VALU_DEP_1)
	v_cmp_lt_u32_e64 s3, v5, v10 /*v266*/
	s_and_saveexec_b32 s5, s3
	s_set_vgpr_msb 0                        ;  msbs: dst=0 src0=0 src1=0 src2=0
	s_cbranch_execz .LBB1319_108
; %bb.107:
	v_cmp_gt_i32_e64 s4, 0, v86
	s_delay_alu instid0(VALU_DEP_1) | instskip(NEXT) | instid1(VALU_DEP_1)
	v_cndmask_b32_e64 v5, 0x7fffffff, 0, s4
	v_xor_b32_e32 v5, v5, v86
	flat_store_b32 v[2:3], v5 offset:4096
.LBB1319_108:
	s_wait_xcnt 0x0
	s_or_b32 exec_lo, exec_lo, s5
	v_add_nc_u32_e32 v5, 0x500, v38
	s_set_vgpr_msb 4                        ;  msbs: dst=0 src0=0 src1=1 src2=0
	s_delay_alu instid0(VALU_DEP_1)
	v_cmp_lt_u32_e64 s4, v5, v10 /*v266*/
	s_and_saveexec_b32 s6, s4
	s_set_vgpr_msb 0                        ;  msbs: dst=0 src0=0 src1=0 src2=0
	s_cbranch_execz .LBB1319_110
; %bb.109:
	v_cmp_gt_i32_e64 s5, 0, v87
	s_delay_alu instid0(VALU_DEP_1) | instskip(NEXT) | instid1(VALU_DEP_1)
	v_cndmask_b32_e64 v5, 0x7fffffff, 0, s5
	v_xor_b32_e32 v5, v5, v87
	flat_store_b32 v[2:3], v5 offset:5120
.LBB1319_110:
	s_wait_xcnt 0x0
	s_or_b32 exec_lo, exec_lo, s6
	v_add_nc_u32_e32 v5, 0x600, v38
	s_set_vgpr_msb 4                        ;  msbs: dst=0 src0=0 src1=1 src2=0
	s_delay_alu instid0(VALU_DEP_1)
	v_cmp_lt_u32_e64 s5, v5, v10 /*v266*/
	s_and_saveexec_b32 s7, s5
	s_set_vgpr_msb 0                        ;  msbs: dst=0 src0=0 src1=0 src2=0
	s_cbranch_execz .LBB1319_112
; %bb.111:
	v_cmp_gt_i32_e64 s6, 0, v84
	s_delay_alu instid0(VALU_DEP_1) | instskip(NEXT) | instid1(VALU_DEP_1)
	v_cndmask_b32_e64 v5, 0x7fffffff, 0, s6
	v_xor_b32_e32 v5, v5, v84
	flat_store_b32 v[2:3], v5 offset:6144
.LBB1319_112:
	s_wait_xcnt 0x0
	s_or_b32 exec_lo, exec_lo, s7
	v_add_nc_u32_e32 v5, 0x700, v38
	s_set_vgpr_msb 4                        ;  msbs: dst=0 src0=0 src1=1 src2=0
	s_delay_alu instid0(VALU_DEP_1)
	v_cmp_lt_u32_e64 s6, v5, v10 /*v266*/
	s_and_saveexec_b32 s10, s6
	s_set_vgpr_msb 0                        ;  msbs: dst=0 src0=0 src1=0 src2=0
	s_cbranch_execz .LBB1319_114
; %bb.113:
	v_cmp_gt_i32_e64 s7, 0, v85
	s_delay_alu instid0(VALU_DEP_1) | instskip(NEXT) | instid1(VALU_DEP_1)
	v_cndmask_b32_e64 v5, 0x7fffffff, 0, s7
	v_xor_b32_e32 v5, v5, v85
	flat_store_b32 v[2:3], v5 offset:7168
.LBB1319_114:
	s_wait_xcnt 0x0
	s_or_b32 exec_lo, exec_lo, s10
	v_add_nc_u32_e32 v5, 0x800, v38
	s_set_vgpr_msb 4                        ;  msbs: dst=0 src0=0 src1=1 src2=0
	s_delay_alu instid0(VALU_DEP_1)
	v_cmp_lt_u32_e64 s7, v5, v10 /*v266*/
	s_and_saveexec_b32 s11, s7
	s_set_vgpr_msb 0                        ;  msbs: dst=0 src0=0 src1=0 src2=0
	s_cbranch_execz .LBB1319_116
; %bb.115:
	v_cmp_gt_i32_e64 s10, 0, v82
	s_delay_alu instid0(VALU_DEP_1) | instskip(NEXT) | instid1(VALU_DEP_1)
	v_cndmask_b32_e64 v5, 0x7fffffff, 0, s10
	v_xor_b32_e32 v5, v5, v82
	flat_store_b32 v[2:3], v5 offset:8192
.LBB1319_116:
	s_wait_xcnt 0x0
	s_or_b32 exec_lo, exec_lo, s11
	v_add_nc_u32_e32 v5, 0x900, v38
	s_set_vgpr_msb 4                        ;  msbs: dst=0 src0=0 src1=1 src2=0
	s_delay_alu instid0(VALU_DEP_1)
	v_cmp_lt_u32_e64 s10, v5, v10 /*v266*/
	s_and_saveexec_b32 s12, s10
	s_set_vgpr_msb 0                        ;  msbs: dst=0 src0=0 src1=0 src2=0
	s_cbranch_execz .LBB1319_118
; %bb.117:
	v_cmp_gt_i32_e64 s11, 0, v83
	s_delay_alu instid0(VALU_DEP_1) | instskip(NEXT) | instid1(VALU_DEP_1)
	v_cndmask_b32_e64 v5, 0x7fffffff, 0, s11
	v_xor_b32_e32 v5, v5, v83
	flat_store_b32 v[2:3], v5 offset:9216
.LBB1319_118:
	s_wait_xcnt 0x0
	s_or_b32 exec_lo, exec_lo, s12
	v_add_nc_u32_e32 v5, 0xa00, v38
	s_set_vgpr_msb 4                        ;  msbs: dst=0 src0=0 src1=1 src2=0
	s_delay_alu instid0(VALU_DEP_1)
	v_cmp_lt_u32_e64 s11, v5, v10 /*v266*/
	s_and_saveexec_b32 s13, s11
	s_set_vgpr_msb 0                        ;  msbs: dst=0 src0=0 src1=0 src2=0
	s_cbranch_execz .LBB1319_120
; %bb.119:
	v_cmp_gt_i32_e64 s12, 0, v80
	s_delay_alu instid0(VALU_DEP_1) | instskip(NEXT) | instid1(VALU_DEP_1)
	v_cndmask_b32_e64 v5, 0x7fffffff, 0, s12
	v_xor_b32_e32 v5, v5, v80
	flat_store_b32 v[2:3], v5 offset:10240
.LBB1319_120:
	s_wait_xcnt 0x0
	s_or_b32 exec_lo, exec_lo, s13
	v_add_nc_u32_e32 v5, 0xb00, v38
	s_set_vgpr_msb 4                        ;  msbs: dst=0 src0=0 src1=1 src2=0
	s_delay_alu instid0(VALU_DEP_1)
	v_cmp_lt_u32_e64 s12, v5, v10 /*v266*/
	s_and_saveexec_b32 s14, s12
	s_set_vgpr_msb 0                        ;  msbs: dst=0 src0=0 src1=0 src2=0
	s_cbranch_execz .LBB1319_122
; %bb.121:
	v_cmp_gt_i32_e64 s13, 0, v81
	s_delay_alu instid0(VALU_DEP_1) | instskip(NEXT) | instid1(VALU_DEP_1)
	v_cndmask_b32_e64 v5, 0x7fffffff, 0, s13
	v_xor_b32_e32 v5, v5, v81
	flat_store_b32 v[2:3], v5 offset:11264
.LBB1319_122:
	s_wait_xcnt 0x0
	s_or_b32 exec_lo, exec_lo, s14
	v_add_nc_u32_e32 v5, 0xc00, v38
	s_set_vgpr_msb 4                        ;  msbs: dst=0 src0=0 src1=1 src2=0
	s_delay_alu instid0(VALU_DEP_1)
	v_cmp_lt_u32_e64 s13, v5, v10 /*v266*/
	s_and_saveexec_b32 s15, s13
	s_set_vgpr_msb 0                        ;  msbs: dst=0 src0=0 src1=0 src2=0
	s_cbranch_execz .LBB1319_124
; %bb.123:
	v_cmp_gt_i32_e64 s14, 0, v70
	s_delay_alu instid0(VALU_DEP_1) | instskip(NEXT) | instid1(VALU_DEP_1)
	v_cndmask_b32_e64 v5, 0x7fffffff, 0, s14
	v_xor_b32_e32 v5, v5, v70
	flat_store_b32 v[2:3], v5 offset:12288
.LBB1319_124:
	s_wait_xcnt 0x0
	s_or_b32 exec_lo, exec_lo, s15
	v_add_nc_u32_e32 v5, 0xd00, v38
	s_set_vgpr_msb 4                        ;  msbs: dst=0 src0=0 src1=1 src2=0
	s_delay_alu instid0(VALU_DEP_1)
	v_cmp_lt_u32_e64 s14, v5, v10 /*v266*/
	s_and_saveexec_b32 s16, s14
	s_set_vgpr_msb 0                        ;  msbs: dst=0 src0=0 src1=0 src2=0
	s_cbranch_execz .LBB1319_126
; %bb.125:
	v_cmp_gt_i32_e64 s15, 0, v71
	s_delay_alu instid0(VALU_DEP_1) | instskip(NEXT) | instid1(VALU_DEP_1)
	v_cndmask_b32_e64 v5, 0x7fffffff, 0, s15
	v_xor_b32_e32 v5, v5, v71
	flat_store_b32 v[2:3], v5 offset:13312
.LBB1319_126:
	s_wait_xcnt 0x0
	s_or_b32 exec_lo, exec_lo, s16
	v_add_nc_u32_e32 v5, 0xe00, v38
	s_set_vgpr_msb 4                        ;  msbs: dst=0 src0=0 src1=1 src2=0
	s_delay_alu instid0(VALU_DEP_1)
	v_cmp_lt_u32_e64 s15, v5, v10 /*v266*/
	s_and_saveexec_b32 s17, s15
	s_set_vgpr_msb 0                        ;  msbs: dst=0 src0=0 src1=0 src2=0
	s_cbranch_execz .LBB1319_128
; %bb.127:
	v_cmp_gt_i32_e64 s16, 0, v52
	s_delay_alu instid0(VALU_DEP_1) | instskip(NEXT) | instid1(VALU_DEP_1)
	v_cndmask_b32_e64 v5, 0x7fffffff, 0, s16
	v_xor_b32_e32 v5, v5, v52
	flat_store_b32 v[2:3], v5 offset:14336
.LBB1319_128:
	s_wait_xcnt 0x0
	s_or_b32 exec_lo, exec_lo, s17
	v_add_nc_u32_e32 v5, 0xf00, v38
	s_set_vgpr_msb 4                        ;  msbs: dst=0 src0=0 src1=1 src2=0
	s_delay_alu instid0(VALU_DEP_1)
	v_cmp_lt_u32_e64 s16, v5, v10 /*v266*/
	s_and_saveexec_b32 s18, s16
	s_set_vgpr_msb 0                        ;  msbs: dst=0 src0=0 src1=0 src2=0
	s_cbranch_execz .LBB1319_130
; %bb.129:
	v_cmp_gt_i32_e64 s17, 0, v53
	s_delay_alu instid0(VALU_DEP_1) | instskip(NEXT) | instid1(VALU_DEP_1)
	v_cndmask_b32_e64 v5, 0x7fffffff, 0, s17
	v_xor_b32_e32 v5, v5, v53
	flat_store_b32 v[2:3], v5 offset:15360
.LBB1319_130:
	s_wait_xcnt 0x0
	s_or_b32 exec_lo, exec_lo, s18
	v_add_nc_u32_e32 v5, 0x1000, v38
	s_set_vgpr_msb 4                        ;  msbs: dst=0 src0=0 src1=1 src2=0
	s_delay_alu instid0(VALU_DEP_1)
	v_cmp_lt_u32_e64 s17, v5, v10 /*v266*/
	s_and_saveexec_b32 s19, s17
	s_set_vgpr_msb 0                        ;  msbs: dst=0 src0=0 src1=0 src2=0
	s_cbranch_execz .LBB1319_132
; %bb.131:
	v_cmp_gt_i32_e64 s18, 0, v4
	s_delay_alu instid0(VALU_DEP_1) | instskip(NEXT) | instid1(VALU_DEP_1)
	v_cndmask_b32_e64 v5, 0x7fffffff, 0, s18
	v_xor_b32_e32 v4, v5, v4
	flat_store_b32 v[2:3], v4 offset:16384
.LBB1319_132:
	s_wait_xcnt 0x0
	s_or_b32 exec_lo, exec_lo, s19
	v_lshl_add_u64 v[2:3], v[8:9], 3, v[6:7]
	s_delay_alu instid0(VALU_DEP_1)
	v_lshl_add_u64 v[2:3], v[38:39], 3, v[2:3]
	s_and_saveexec_b32 s18, vcc_lo
	s_cbranch_execnz .LBB1319_220
; %bb.133:
	s_or_b32 exec_lo, exec_lo, s18
	s_and_saveexec_b32 s18, s0
	s_cbranch_execnz .LBB1319_221
.LBB1319_134:
	s_or_b32 exec_lo, exec_lo, s18
	s_and_saveexec_b32 s0, s1
	s_cbranch_execnz .LBB1319_222
.LBB1319_135:
	s_or_b32 exec_lo, exec_lo, s0
	s_and_saveexec_b32 s0, s2
	s_cbranch_execnz .LBB1319_223
.LBB1319_136:
	s_or_b32 exec_lo, exec_lo, s0
	s_and_saveexec_b32 s0, s3
	s_cbranch_execnz .LBB1319_224
.LBB1319_137:
	s_or_b32 exec_lo, exec_lo, s0
	s_and_saveexec_b32 s0, s4
	s_cbranch_execnz .LBB1319_225
.LBB1319_138:
	s_or_b32 exec_lo, exec_lo, s0
	s_and_saveexec_b32 s0, s5
	s_cbranch_execnz .LBB1319_226
.LBB1319_139:
	s_or_b32 exec_lo, exec_lo, s0
	s_and_saveexec_b32 s0, s6
	s_cbranch_execnz .LBB1319_227
.LBB1319_140:
	s_or_b32 exec_lo, exec_lo, s0
	s_and_saveexec_b32 s0, s7
	s_cbranch_execnz .LBB1319_228
.LBB1319_141:
	s_or_b32 exec_lo, exec_lo, s0
	s_and_saveexec_b32 s0, s10
	s_cbranch_execnz .LBB1319_229
.LBB1319_142:
	s_or_b32 exec_lo, exec_lo, s0
	s_and_saveexec_b32 s0, s11
	s_cbranch_execnz .LBB1319_230
.LBB1319_143:
	s_or_b32 exec_lo, exec_lo, s0
	s_and_saveexec_b32 s0, s12
	s_cbranch_execnz .LBB1319_231
.LBB1319_144:
	s_or_b32 exec_lo, exec_lo, s0
	s_and_saveexec_b32 s0, s13
	s_cbranch_execnz .LBB1319_232
.LBB1319_145:
	s_or_b32 exec_lo, exec_lo, s0
	s_and_saveexec_b32 s0, s14
	s_cbranch_execnz .LBB1319_233
.LBB1319_146:
	s_or_b32 exec_lo, exec_lo, s0
	s_and_saveexec_b32 s0, s15
	s_cbranch_execnz .LBB1319_234
.LBB1319_147:
	s_or_b32 exec_lo, exec_lo, s0
	s_and_saveexec_b32 s0, s16
	s_cbranch_execnz .LBB1319_235
.LBB1319_148:
	s_or_b32 exec_lo, exec_lo, s0
	s_and_saveexec_b32 s0, s17
	s_cbranch_execz .LBB1319_150
.LBB1319_149:
	flat_store_b64 v[2:3], v[0:1] offset:32768
.LBB1319_150:
	s_wait_xcnt 0x0
	s_or_b32 exec_lo, exec_lo, s0
                                        ; implicit-def: $vgpr266
                                        ; implicit-def: $vgpr8
                                        ; implicit-def: $vgpr10
                                        ; implicit-def: $vgpr11
                                        ; implicit-def: $vgpr0_vgpr1
                                        ; implicit-def: $vgpr2_vgpr3
                                        ; implicit-def: $vgpr4_vgpr5
                                        ; implicit-def: $vgpr6_vgpr7
                                        ; implicit-def: $vgpr12_vgpr13
                                        ; implicit-def: $vgpr9
                                        ; implicit-def: $vgpr14
                                        ; implicit-def: $vgpr22
                                        ; implicit-def: $vgpr68
.LBB1319_151:
	s_and_not1_saveexec_b32 s0, s20
	s_cbranch_execz .LBB1319_382
; %bb.152:
	s_mov_b32 s0, exec_lo
	s_set_vgpr_msb 4                        ;  msbs: dst=0 src0=0 src1=1 src2=0
	v_cmpx_lt_u32_e32 0x400, v10 /*v266*/
	s_xor_b32 s20, exec_lo, s0
	s_set_vgpr_msb 0                        ;  msbs: dst=0 src0=0 src1=0 src2=0
	s_cbranch_execz .LBB1319_262
; %bb.153:
	s_load_b64 s[0:1], s[8:9], 0x0
	s_bfe_u32 s3, ttmp6, 0x4000c
	s_bfe_u32 s5, ttmp6, 0x40010
	s_and_b32 s4, ttmp7, 0xffff
	s_add_co_i32 s3, s3, 1
	s_add_co_i32 s5, s5, 1
	s_and_b32 s2, ttmp6, 15
	s_bfe_u32 s6, ttmp6, 0x40004
	s_mul_i32 s3, ttmp9, s3
	s_mul_i32 s5, s4, s5
	s_add_co_i32 s2, s2, s3
	s_add_co_i32 s6, s6, s5
	s_cmp_eq_u32 s22, 0
	s_mov_b32 s3, 0
	s_cselect_b32 s2, ttmp9, s2
	s_cselect_b32 s4, s4, s6
	v_lshlrev_b32_e32 v16, 2, v68
	s_wait_kmcnt 0x0
	s_cmp_lt_u32 s2, s0
	s_cselect_b32 s2, 12, 18
	s_cmp_lt_u32 s4, s1
	s_mov_b32 s1, s3
	s_cselect_b32 s0, 14, 20
	s_delay_alu instid0(SALU_CYCLE_1)
	s_add_nc_u64 s[0:1], s[8:9], s[0:1]
	s_load_u16 s4, s[0:1], 0x0
	s_wait_xcnt 0x0
	s_add_nc_u64 s[0:1], s[8:9], s[2:3]
	s_load_u16 s0, s[0:1], 0x0
	s_wait_kmcnt 0x0
	v_mad_u32_u24 v9, v14, s4, v9
	s_delay_alu instid0(VALU_DEP_1) | instskip(SKIP_1) | instid1(VALU_DEP_1)
	v_mad_u32 v26, v9, s0, v22
	v_dual_mov_b32 v9, 0 :: v_dual_mov_b32 v14, -1
	v_lshl_add_u64 v[18:19], v[8:9], 2, v[0:1]
	v_dual_mov_b32 v17, v9 :: v_dual_mov_b32 v1, v9
	s_delay_alu instid0(VALU_DEP_4) | instskip(NEXT) | instid1(VALU_DEP_2)
	v_lshlrev_b32_e32 v15, 3, v26
	v_add_nc_u64_e32 v[24:25], v[18:19], v[16:17]
	v_dual_mov_b32 v18, v14 :: v_dual_mov_b32 v19, v14
	v_mov_b32_e32 v16, v14
	s_delay_alu instid0(VALU_DEP_4) | instskip(SKIP_2) | instid1(VALU_DEP_3)
	v_and_b32_e32 v0, 0xffffff00, v15
	v_dual_mov_b32 v17, v14 :: v_dual_mov_b32 v15, v14
	v_dual_mov_b32 v20, v14 :: v_dual_mov_b32 v21, v14
	v_or_b32_e32 v23, v0, v68
	v_lshl_add_u64 v[24:25], v[0:1], 2, v[24:25]
	s_set_vgpr_msb 4                        ;  msbs: dst=0 src0=0 src1=1 src2=0
	s_delay_alu instid0(VALU_DEP_2)
	v_cmp_lt_u32_e32 vcc_lo, v23, v10 /*v266*/
	s_and_saveexec_b32 s0, vcc_lo
	s_set_vgpr_msb 0                        ;  msbs: dst=0 src0=0 src1=0 src2=0
	s_cbranch_execz .LBB1319_155
; %bb.154:
	flat_load_b32 v28, v[24:25]
	v_dual_mov_b32 v29, v14 :: v_dual_mov_b32 v30, v14
	v_dual_mov_b32 v31, v14 :: v_dual_mov_b32 v32, v14
	;; [unrolled: 1-line block ×3, first 2 shown]
	v_mov_b32_e32 v35, v14
	s_wait_loadcnt_dscnt 0x0
	v_mov_b64_e32 v[14:15], v[28:29]
	v_mov_b64_e32 v[16:17], v[30:31]
	v_mov_b64_e32 v[18:19], v[32:33]
	v_mov_b64_e32 v[20:21], v[34:35]
.LBB1319_155:
	s_wait_xcnt 0x0
	s_or_b32 exec_lo, exec_lo, s0
	v_or_b32_e32 v27, 32, v23
	s_set_vgpr_msb 4                        ;  msbs: dst=0 src0=0 src1=1 src2=0
	s_delay_alu instid0(VALU_DEP_1)
	v_cmp_lt_u32_e64 s0, v27, v10 /*v266*/
	s_and_saveexec_b32 s1, s0
	s_set_vgpr_msb 0                        ;  msbs: dst=0 src0=0 src1=0 src2=0
	s_cbranch_execz .LBB1319_157
; %bb.156:
	flat_load_b32 v15, v[24:25] offset:128
.LBB1319_157:
	s_wait_xcnt 0x0
	s_or_b32 exec_lo, exec_lo, s1
	v_or_b32_e32 v27, 64, v23
	s_set_vgpr_msb 4                        ;  msbs: dst=0 src0=0 src1=1 src2=0
	s_delay_alu instid0(VALU_DEP_1)
	v_cmp_lt_u32_e64 s1, v27, v10 /*v266*/
	s_and_saveexec_b32 s2, s1
	s_set_vgpr_msb 0                        ;  msbs: dst=0 src0=0 src1=0 src2=0
	s_cbranch_execz .LBB1319_159
; %bb.158:
	flat_load_b32 v16, v[24:25] offset:256
.LBB1319_159:
	s_wait_xcnt 0x0
	s_or_b32 exec_lo, exec_lo, s2
	v_or_b32_e32 v27, 0x60, v23
	s_set_vgpr_msb 4                        ;  msbs: dst=0 src0=0 src1=1 src2=0
	s_delay_alu instid0(VALU_DEP_1)
	v_cmp_lt_u32_e64 s2, v27, v10 /*v266*/
	s_and_saveexec_b32 s3, s2
	s_set_vgpr_msb 0                        ;  msbs: dst=0 src0=0 src1=0 src2=0
	s_cbranch_execz .LBB1319_161
; %bb.160:
	flat_load_b32 v17, v[24:25] offset:384
.LBB1319_161:
	s_wait_xcnt 0x0
	s_or_b32 exec_lo, exec_lo, s3
	v_or_b32_e32 v27, 0x80, v23
	s_set_vgpr_msb 4                        ;  msbs: dst=0 src0=0 src1=1 src2=0
	s_delay_alu instid0(VALU_DEP_1)
	v_cmp_lt_u32_e64 s3, v27, v10 /*v266*/
	s_and_saveexec_b32 s4, s3
	s_set_vgpr_msb 0                        ;  msbs: dst=0 src0=0 src1=0 src2=0
	s_cbranch_execz .LBB1319_163
; %bb.162:
	flat_load_b32 v18, v[24:25] offset:512
.LBB1319_163:
	s_wait_xcnt 0x0
	s_or_b32 exec_lo, exec_lo, s4
	v_or_b32_e32 v27, 0xa0, v23
	s_set_vgpr_msb 4                        ;  msbs: dst=0 src0=0 src1=1 src2=0
	s_delay_alu instid0(VALU_DEP_1)
	v_cmp_lt_u32_e64 s4, v27, v10 /*v266*/
	s_and_saveexec_b32 s5, s4
	s_set_vgpr_msb 0                        ;  msbs: dst=0 src0=0 src1=0 src2=0
	s_cbranch_execz .LBB1319_165
; %bb.164:
	flat_load_b32 v19, v[24:25] offset:640
.LBB1319_165:
	s_wait_xcnt 0x0
	s_or_b32 exec_lo, exec_lo, s5
	v_or_b32_e32 v27, 0xc0, v23
	s_set_vgpr_msb 4                        ;  msbs: dst=0 src0=0 src1=1 src2=0
	s_delay_alu instid0(VALU_DEP_1)
	v_cmp_lt_u32_e64 s5, v27, v10 /*v266*/
	s_and_saveexec_b32 s6, s5
	s_set_vgpr_msb 0                        ;  msbs: dst=0 src0=0 src1=0 src2=0
	s_cbranch_execz .LBB1319_167
; %bb.166:
	flat_load_b32 v20, v[24:25] offset:768
.LBB1319_167:
	s_wait_xcnt 0x0
	s_or_b32 exec_lo, exec_lo, s6
	v_or_b32_e32 v23, 0xe0, v23
	s_set_vgpr_msb 4                        ;  msbs: dst=0 src0=0 src1=1 src2=0
	s_delay_alu instid0(VALU_DEP_1)
	v_cmp_lt_u32_e64 s6, v23, v10 /*v266*/
	s_and_saveexec_b32 s7, s6
	s_set_vgpr_msb 0                        ;  msbs: dst=0 src0=0 src1=0 src2=0
	s_cbranch_execz .LBB1319_169
; %bb.168:
	flat_load_b32 v21, v[24:25] offset:896
.LBB1319_169:
	s_wait_xcnt 0x0
	s_or_b32 exec_lo, exec_lo, s7
	v_lshl_add_u64 v[4:5], v[8:9], 3, v[4:5]
	v_dual_mov_b32 v25, 0 :: v_dual_lshlrev_b32 v24, 3, v68
                                        ; implicit-def: $vgpr52_vgpr53
	s_delay_alu instid0(VALU_DEP_1) | instskip(NEXT) | instid1(VALU_DEP_1)
	v_add_nc_u64_e32 v[4:5], v[4:5], v[24:25]
	v_lshl_add_u64 v[0:1], v[0:1], 3, v[4:5]
	s_and_saveexec_b32 s7, vcc_lo
	s_cbranch_execnz .LBB1319_295
; %bb.170:
	s_or_b32 exec_lo, exec_lo, s7
                                        ; implicit-def: $vgpr64_vgpr65
	s_and_saveexec_b32 s7, s0
	s_cbranch_execnz .LBB1319_296
.LBB1319_171:
	s_or_b32 exec_lo, exec_lo, s7
                                        ; implicit-def: $vgpr36_vgpr37
	s_and_saveexec_b32 s0, s1
	s_cbranch_execnz .LBB1319_297
.LBB1319_172:
	s_or_b32 exec_lo, exec_lo, s0
                                        ; implicit-def: $vgpr38_vgpr39
	s_and_saveexec_b32 s0, s2
	s_cbranch_execnz .LBB1319_298
.LBB1319_173:
	s_or_b32 exec_lo, exec_lo, s0
                                        ; implicit-def: $vgpr48_vgpr49
	s_and_saveexec_b32 s0, s3
	s_cbranch_execnz .LBB1319_299
.LBB1319_174:
	s_or_b32 exec_lo, exec_lo, s0
                                        ; implicit-def: $vgpr50_vgpr51
	s_and_saveexec_b32 s0, s4
	s_cbranch_execnz .LBB1319_300
.LBB1319_175:
	s_or_b32 exec_lo, exec_lo, s0
                                        ; implicit-def: $vgpr54_vgpr55
	s_and_saveexec_b32 s0, s5
	s_cbranch_execnz .LBB1319_301
.LBB1319_176:
	s_or_b32 exec_lo, exec_lo, s0
                                        ; implicit-def: $vgpr66_vgpr67
	s_and_saveexec_b32 s0, s6
	s_cbranch_execz .LBB1319_178
.LBB1319_177:
	flat_load_b64 v[66:67], v[0:1] offset:1792
.LBB1319_178:
	s_wait_xcnt 0x0
	s_or_b32 exec_lo, exec_lo, s0
	v_cmp_gt_i32_e32 vcc_lo, 0, v14
	s_get_pc_i64 s[0:1]
	s_add_nc_u64 s[0:1], s[0:1], _ZN7rocprim17ROCPRIM_400000_NS16block_radix_sortIfLj256ELj8ElLj1ELj1ELj8ELNS0_26block_radix_rank_algorithmE2ELNS0_18block_padding_hintE2ELNS0_4arch9wavefront6targetE0EE19radix_bits_per_passE@rel64+4
	v_cmp_lt_u32_e64 s7, 31, v22
	s_load_b32 s23, s[0:1], 0x0
	v_cmp_eq_u32_e64 s10, 0, v22
	v_cndmask_b32_e64 v0, 0x7fffffff, 0, vcc_lo
	s_wait_loadcnt_dscnt 0x0
	v_cmp_gt_i32_e32 vcc_lo, 0, v15
	v_sub_nc_u32_e32 v179, v11, v10
	s_mov_b32 s24, 0
	s_wait_storecnt 0x0
	v_xor_b32_e32 v99, v0, v14
	v_cndmask_b32_e64 v1, 0x7fffffff, 0, vcc_lo
	v_cmp_gt_i32_e32 vcc_lo, 0, v16
	s_wait_xcnt 0x0
	v_sub_co_u32 v14, s1, v68, 1
	s_barrier_signal -1
	v_xor_b32_e32 v69, v1, v15
	v_cndmask_b32_e64 v4, 0x7fffffff, 0, vcc_lo
	v_cmp_gt_i32_e32 vcc_lo, 0, v17
	v_cmp_gt_i32_e64 s6, 0, v14
	v_lshrrev_b32_e32 v144, 5, v26
	s_barrier_wait -1
	v_xor_b32_e32 v71, v4, v16
	v_cndmask_b32_e64 v5, 0x7fffffff, 0, vcc_lo
	v_cmp_gt_i32_e32 vcc_lo, 0, v18
	v_and_b32_e32 v15, 7, v68
	v_cndmask_b32_e64 v23, 0x7fffffff, 0, vcc_lo
	v_cmp_gt_i32_e32 vcc_lo, 0, v19
	s_delay_alu instid0(VALU_DEP_3) | instskip(SKIP_4) | instid1(VALU_DEP_2)
	v_cmp_eq_u32_e64 s11, 0, v15
	v_cmp_lt_u32_e64 s12, 1, v15
	v_cmp_lt_u32_e64 s13, 3, v15
	v_cndmask_b32_e64 v0, 0x7fffffff, 0, vcc_lo
	v_cmp_gt_i32_e32 vcc_lo, 0, v20
	v_xor_b32_e32 v85, v0, v19
	v_cndmask_b32_e64 v1, 0x7fffffff, 0, vcc_lo
	v_cmp_gt_i32_e32 vcc_lo, 0, v21
	v_lshl_add_u32 v0, v22, 5, v12
	v_xor_b32_e32 v81, v5, v17
	v_xor_b32_e32 v83, v23, v18
	;; [unrolled: 1-line block ×3, first 2 shown]
	v_cndmask_b32_e64 v4, 0x7fffffff, 0, vcc_lo
	v_dual_add_nc_u32 v23, 32, v0 :: v_dual_add_nc_u32 v27, 36, v0
	v_dual_add_nc_u32 v130, 40, v0 :: v_dual_add_nc_u32 v131, 44, v0
	s_delay_alu instid0(VALU_DEP_3) | instskip(SKIP_3) | instid1(VALU_DEP_3)
	v_dual_add_nc_u32 v132, 48, v0 :: v_dual_bitop2_b32 v97, v4, v21 bitop3:0x14
	v_and_b32_e32 v4, 0x3e0, v22
	v_dual_add_nc_u32 v133, 52, v0 :: v_dual_add_nc_u32 v134, 56, v0
	v_dual_add_nc_u32 v135, 60, v0 :: v_dual_lshlrev_b32 v1, 3, v22
	v_min_u32_e32 v0, 0xe0, v4
	v_and_b32_e32 v5, 15, v68
	v_and_b32_e32 v4, 16, v68
	s_delay_alu instid0(VALU_DEP_3) | instskip(NEXT) | instid1(VALU_DEP_1)
	v_or_b32_e32 v0, 31, v0
	v_cmp_eq_u32_e64 s5, v22, v0
	v_cndmask_b32_e64 v0, v14, v68, s6
	v_cmp_eq_u32_e32 vcc_lo, 0, v5
	v_cmp_lt_u32_e64 s0, 1, v5
	v_cmp_lt_u32_e64 s2, 3, v5
	;; [unrolled: 1-line block ×3, first 2 shown]
	v_and_or_b32 v5, 0x1f00, v1, v68
	v_mov_b32_e32 v1, 0
	v_cmp_eq_u32_e64 s4, 0, v4
	v_dual_lshrrev_b32 v4, 3, v22 :: v_dual_lshlrev_b32 v145, 2, v0
	s_delay_alu instid0(VALU_DEP_4) | instskip(SKIP_1) | instid1(VALU_DEP_3)
	v_dual_lshlrev_b32 v0, 2, v22 :: v_dual_lshlrev_b32 v14, 2, v5
	v_cmp_gt_u32_e64 s6, 8, v22
	v_and_b32_e32 v4, 0x7c, v4
	s_delay_alu instid0(VALU_DEP_1) | instskip(NEXT) | instid1(VALU_DEP_4)
	v_add_nc_u32_e32 v146, v12, v4
	v_add_nc_u64_e32 v[4:5], v[12:13], v[0:1]
	v_add_nc_u32_e32 v5, v12, v14
	s_delay_alu instid0(VALU_DEP_3) | instskip(NEXT) | instid1(VALU_DEP_2)
	v_add_nc_u32_e32 v147, -4, v146
	v_add_nc_u32_e32 v151, v5, v14
	v_mov_b64_e32 v[14:15], 0
	v_add_nc_u32_e32 v148, 0x80, v5
	v_add_nc_u32_e32 v149, 0x100, v5
	;; [unrolled: 1-line block ×14, first 2 shown]
	s_branch .LBB1319_180
.LBB1319_179:                           ;   in Loop: Header=BB1319_180 Depth=1
	s_or_b32 exec_lo, exec_lo, s15
	s_delay_alu instid0(SALU_CYCLE_1) | instskip(NEXT) | instid1(SALU_CYCLE_1)
	s_and_b32 s14, exec_lo, s16
	s_or_b32 s24, s14, s24
	s_delay_alu instid0(SALU_CYCLE_1)
	s_and_not1_b32 exec_lo, exec_lo, s24
	s_cbranch_execz .LBB1319_236
.LBB1319_180:                           ; =>This Inner Loop Header: Depth=1
	v_dual_mov_b32 v180, v99 :: v_dual_mov_b32 v181, v97
	s_wait_kmcnt 0x0
	v_min_u32_e32 v0, s23, v179
	v_mov_b64_e32 v[34:35], v[36:37]
	v_mov_b64_e32 v[18:19], v[64:65]
	v_cmp_ne_u32_e64 s14, 0x80000000, v180
	v_dual_mov_b32 v182, v87 :: v_dual_mov_b32 v183, v85
	v_lshlrev_b32_e64 v68, v0, -1
	v_dual_mov_b32 v193, v81 :: v_dual_mov_b32 v194, v71
	s_delay_alu instid0(VALU_DEP_4)
	v_cndmask_b32_e64 v16, 0x7fffffff, v180, s14
	ds_store_b64 v23, v[14:15]
	ds_store_b64 v130, v[14:15]
	;; [unrolled: 1-line block ×4, first 2 shown]
	s_wait_dscnt 0x0
	v_dual_mov_b32 v192, v83 :: v_dual_lshrrev_b32 v0, v10, v16
	v_mov_b64_e32 v[16:17], v[52:53]
	s_barrier_signal -1
	s_barrier_wait -1
	s_delay_alu instid0(VALU_DEP_2) | instskip(SKIP_2) | instid1(VALU_DEP_3)
	v_bitop3_b32 v20, v0, 1, v68 bitop3:0x40
	v_bitop3_b32 v0, v0, v68, v0 bitop3:0x30
	v_mov_b32_e32 v195, v69
	; wave barrier
	v_add_co_u32 v20, s14, v20, -1
	s_delay_alu instid0(VALU_DEP_1) | instskip(NEXT) | instid1(VALU_DEP_4)
	v_cndmask_b32_e64 v21, 0, 1, s14
	v_dual_lshlrev_b32 v24, 30, v0 :: v_dual_lshlrev_b32 v25, 29, v0
	v_lshlrev_b32_e32 v28, 28, v0
	s_delay_alu instid0(VALU_DEP_3) | instskip(NEXT) | instid1(VALU_DEP_3)
	v_cmp_ne_u32_e64 s14, 0, v21
	v_not_b32_e32 v21, v24
	v_lshlrev_b32_e32 v29, 27, v0
	v_cmp_gt_i32_e64 s15, 0, v24
	v_cmp_gt_i32_e64 s16, 0, v25
	v_not_b32_e32 v24, v25
	v_not_b32_e32 v25, v28
	v_ashrrev_i32_e32 v21, 31, v21
	v_cmp_gt_i32_e64 s17, 0, v28
	v_xor_b32_e32 v20, s14, v20
	s_delay_alu instid0(VALU_DEP_4) | instskip(NEXT) | instid1(VALU_DEP_4)
	v_dual_ashrrev_i32 v24, 31, v24 :: v_dual_ashrrev_i32 v25, 31, v25
	v_dual_lshlrev_b32 v28, 26, v0 :: v_dual_bitop2_b32 v21, s15, v21 bitop3:0x14
	v_not_b32_e32 v30, v29
	s_delay_alu instid0(VALU_DEP_3) | instskip(NEXT) | instid1(VALU_DEP_4)
	v_xor_b32_e32 v24, s16, v24
	v_xor_b32_e32 v25, s17, v25
	s_delay_alu instid0(VALU_DEP_4)
	v_bitop3_b32 v20, v20, v21, exec_lo bitop3:0x80
	v_cmp_gt_i32_e64 s14, 0, v29
	v_not_b32_e32 v21, v28
	v_dual_ashrrev_i32 v29, 31, v30 :: v_dual_lshlrev_b32 v30, 25, v0
	v_cmp_gt_i32_e64 s15, 0, v28
	v_lshlrev_b32_e32 v28, 24, v0
	v_bitop3_b32 v24, v20, v25, v24 bitop3:0x80
	s_delay_alu instid0(VALU_DEP_4)
	v_xor_b32_e32 v25, s14, v29
	v_not_b32_e32 v20, v30
	v_ashrrev_i32_e32 v21, 31, v21
	v_not_b32_e32 v29, v28
	v_cmp_gt_i32_e64 s14, 0, v30
	v_lshl_add_u32 v0, v0, 3, v144
	s_delay_alu instid0(VALU_DEP_4) | instskip(SKIP_3) | instid1(VALU_DEP_4)
	v_dual_ashrrev_i32 v30, 31, v20 :: v_dual_bitop2_b32 v31, s15, v21 bitop3:0x14
	v_cmp_gt_i32_e64 s15, 0, v28
	v_ashrrev_i32_e32 v28, 31, v29
	v_mov_b64_e32 v[20:21], v[38:39]
	v_xor_b32_e32 v33, s14, v30
	v_bitop3_b32 v32, v24, v31, v25 bitop3:0x80
	v_mov_b64_e32 v[30:31], v[48:49]
	v_xor_b32_e32 v36, s15, v28
	v_mov_b64_e32 v[28:29], v[50:51]
	v_mov_b64_e32 v[24:25], v[54:55]
	s_delay_alu instid0(VALU_DEP_3) | instskip(SKIP_2) | instid1(VALU_DEP_3)
	v_bitop3_b32 v38, v32, v36, v33 bitop3:0x80
	v_lshl_add_u64 v[36:37], v[0:1], 2, v[12:13]
	v_mov_b64_e32 v[32:33], v[66:67]
	v_mbcnt_lo_u32_b32 v0, v38, 0
	s_delay_alu instid0(VALU_DEP_3) | instskip(SKIP_1) | instid1(VALU_DEP_3)
	v_add_nc_u64_e32 v[36:37], 32, v[36:37]
	v_cmp_ne_u32_e64 s15, 0, v38
	v_cmp_eq_u32_e64 s14, 0, v0
	s_and_b32 s15, s15, s14
	s_delay_alu instid0(SALU_CYCLE_1)
	s_and_saveexec_b32 s14, s15
; %bb.181:                              ;   in Loop: Header=BB1319_180 Depth=1
	v_bcnt_u32_b32 v37, v38, 0
	ds_store_b32 v36, v37
; %bb.182:                              ;   in Loop: Header=BB1319_180 Depth=1
	s_or_b32 exec_lo, exec_lo, s14
	v_cmp_ne_u32_e64 s14, 0x80000000, v195
	v_not_b32_e32 v51, v68
	; wave barrier
	s_delay_alu instid0(VALU_DEP_2) | instskip(NEXT) | instid1(VALU_DEP_1)
	v_cndmask_b32_e64 v37, 0x7fffffff, v195, s14
	v_lshrrev_b32_e32 v37, v10, v37
	s_delay_alu instid0(VALU_DEP_1) | instskip(NEXT) | instid1(VALU_DEP_1)
	v_and_b32_e32 v38, v37, v51
	v_lshlrev_b32_e32 v49, 30, v38
	v_bitop3_b32 v37, v37, 1, v51 bitop3:0x80
	s_delay_alu instid0(VALU_DEP_2) | instskip(NEXT) | instid1(VALU_DEP_2)
	v_cmp_gt_i32_e64 s15, 0, v49
	v_add_co_u32 v37, s14, v37, -1
	s_delay_alu instid0(VALU_DEP_1) | instskip(NEXT) | instid1(VALU_DEP_1)
	v_cndmask_b32_e64 v48, 0, 1, s14
	v_cmp_ne_u32_e64 s14, 0, v48
	v_not_b32_e32 v48, v49
	s_delay_alu instid0(VALU_DEP_1) | instskip(SKIP_3) | instid1(VALU_DEP_4)
	v_dual_ashrrev_i32 v48, 31, v48 :: v_dual_lshlrev_b32 v50, 29, v38
	v_dual_lshlrev_b32 v52, 28, v38 :: v_dual_lshlrev_b32 v53, 27, v38
	v_lshlrev_b32_e32 v54, 26, v38
	v_lshl_add_u32 v39, v38, 3, v144
	v_cmp_gt_i32_e64 s16, 0, v50
	v_not_b32_e32 v49, v50
	v_not_b32_e32 v50, v52
	v_cmp_gt_i32_e64 s17, 0, v52
	v_not_b32_e32 v52, v53
	v_xor_b32_e32 v37, s14, v37
	v_dual_ashrrev_i32 v49, 31, v49 :: v_dual_bitop2_b32 v48, s15, v48 bitop3:0x14
	v_ashrrev_i32_e32 v50, 31, v50
	v_dual_lshlrev_b32 v55, 25, v38 :: v_dual_lshlrev_b32 v38, 24, v38
	v_cmp_gt_i32_e64 s18, 0, v53
	v_not_b32_e32 v53, v54
	v_dual_ashrrev_i32 v52, 31, v52 :: v_dual_bitop2_b32 v49, s16, v49 bitop3:0x14
	v_xor_b32_e32 v50, s17, v50
	v_bitop3_b32 v37, v37, v48, exec_lo bitop3:0x80
	v_cmp_gt_i32_e64 s14, 0, v54
	v_ashrrev_i32_e32 v48, 31, v53
	v_not_b32_e32 v53, v55
	v_xor_b32_e32 v52, s18, v52
	v_bitop3_b32 v37, v37, v50, v49 bitop3:0x80
	v_not_b32_e32 v49, v38
	v_xor_b32_e32 v48, s14, v48
	v_cmp_gt_i32_e64 s14, 0, v55
	v_ashrrev_i32_e32 v50, 31, v53
	v_cmp_gt_i32_e64 s15, 0, v38
	v_ashrrev_i32_e32 v38, 31, v49
	v_lshl_add_u32 v39, v39, 2, v12
	v_bitop3_b32 v48, v37, v48, v52 bitop3:0x80
	v_xor_b32_e32 v49, s14, v50
	s_delay_alu instid0(VALU_DEP_4) | instskip(SKIP_3) | instid1(VALU_DEP_1)
	v_xor_b32_e32 v38, s15, v38
	ds_load_b32 v37, v39 offset:32
	v_add_nc_u32_e32 v39, 32, v39
	; wave barrier
	v_bitop3_b32 v48, v48, v38, v49 bitop3:0x80
	v_mbcnt_lo_u32_b32 v38, v48, 0
	v_cmp_ne_u32_e64 s15, 0, v48
	s_delay_alu instid0(VALU_DEP_2) | instskip(SKIP_1) | instid1(SALU_CYCLE_1)
	v_cmp_eq_u32_e64 s14, 0, v38
	s_and_b32 s15, s15, s14
	s_and_saveexec_b32 s14, s15
	s_cbranch_execz .LBB1319_184
; %bb.183:                              ;   in Loop: Header=BB1319_180 Depth=1
	s_wait_dscnt 0x0
	v_bcnt_u32_b32 v48, v48, v37
	ds_store_b32 v39, v48
.LBB1319_184:                           ;   in Loop: Header=BB1319_180 Depth=1
	s_or_b32 exec_lo, exec_lo, s14
	v_cmp_ne_u32_e64 s14, 0x80000000, v194
	; wave barrier
	s_delay_alu instid0(VALU_DEP_1) | instskip(NEXT) | instid1(VALU_DEP_1)
	v_cndmask_b32_e64 v48, 0x7fffffff, v194, s14
	v_lshrrev_b32_e32 v48, v10, v48
	s_delay_alu instid0(VALU_DEP_1) | instskip(NEXT) | instid1(VALU_DEP_1)
	v_and_b32_e32 v49, v48, v51
	v_lshlrev_b32_e32 v53, 30, v49
	v_bitop3_b32 v48, v48, 1, v51 bitop3:0x80
	s_delay_alu instid0(VALU_DEP_2) | instskip(NEXT) | instid1(VALU_DEP_2)
	v_cmp_gt_i32_e64 s15, 0, v53
	v_add_co_u32 v48, s14, v48, -1
	s_delay_alu instid0(VALU_DEP_1) | instskip(NEXT) | instid1(VALU_DEP_1)
	v_cndmask_b32_e64 v52, 0, 1, s14
	v_cmp_ne_u32_e64 s14, 0, v52
	v_not_b32_e32 v52, v53
	s_delay_alu instid0(VALU_DEP_1) | instskip(SKIP_3) | instid1(VALU_DEP_4)
	v_dual_ashrrev_i32 v52, 31, v52 :: v_dual_lshlrev_b32 v54, 29, v49
	v_dual_lshlrev_b32 v55, 28, v49 :: v_dual_lshlrev_b32 v64, 27, v49
	v_lshlrev_b32_e32 v65, 26, v49
	v_lshl_add_u32 v50, v49, 3, v144
	v_cmp_gt_i32_e64 s16, 0, v54
	v_not_b32_e32 v53, v54
	v_not_b32_e32 v54, v55
	v_dual_lshlrev_b32 v66, 25, v49 :: v_dual_lshlrev_b32 v49, 24, v49
	v_cmp_gt_i32_e64 s17, 0, v55
	v_cmp_gt_i32_e64 s18, 0, v64
	v_not_b32_e32 v55, v64
	v_dual_ashrrev_i32 v53, 31, v53 :: v_dual_bitop2_b32 v48, s14, v48 bitop3:0x14
	v_dual_ashrrev_i32 v54, 31, v54 :: v_dual_bitop2_b32 v52, s15, v52 bitop3:0x14
	v_not_b32_e32 v64, v65
	v_cmp_gt_i32_e64 s19, 0, v65
	s_delay_alu instid0(VALU_DEP_4) | instskip(NEXT) | instid1(VALU_DEP_4)
	v_dual_ashrrev_i32 v55, 31, v55 :: v_dual_bitop2_b32 v53, s16, v53 bitop3:0x14
	v_xor_b32_e32 v54, s17, v54
	v_bitop3_b32 v48, v48, v52, exec_lo bitop3:0x80
	v_ashrrev_i32_e32 v52, 31, v64
	v_not_b32_e32 v64, v66
	v_not_b32_e32 v65, v49
	v_xor_b32_e32 v55, s18, v55
	v_bitop3_b32 v48, v48, v54, v53 bitop3:0x80
	v_xor_b32_e32 v52, s19, v52
	v_cmp_gt_i32_e64 s14, 0, v66
	v_ashrrev_i32_e32 v53, 31, v64
	v_cmp_gt_i32_e64 s15, 0, v49
	v_ashrrev_i32_e32 v49, 31, v65
	v_lshl_add_u32 v50, v50, 2, v12
	v_bitop3_b32 v52, v48, v52, v55 bitop3:0x80
	v_xor_b32_e32 v53, s14, v53
	s_delay_alu instid0(VALU_DEP_4) | instskip(SKIP_3) | instid1(VALU_DEP_1)
	v_xor_b32_e32 v49, s15, v49
	ds_load_b32 v48, v50 offset:32
	v_add_nc_u32_e32 v50, 32, v50
	; wave barrier
	v_bitop3_b32 v52, v52, v49, v53 bitop3:0x80
	v_mbcnt_lo_u32_b32 v49, v52, 0
	v_cmp_ne_u32_e64 s15, 0, v52
	s_delay_alu instid0(VALU_DEP_2) | instskip(SKIP_1) | instid1(SALU_CYCLE_1)
	v_cmp_eq_u32_e64 s14, 0, v49
	s_and_b32 s15, s15, s14
	s_and_saveexec_b32 s14, s15
	s_cbranch_execz .LBB1319_186
; %bb.185:                              ;   in Loop: Header=BB1319_180 Depth=1
	s_wait_dscnt 0x0
	v_bcnt_u32_b32 v52, v52, v48
	ds_store_b32 v50, v52
.LBB1319_186:                           ;   in Loop: Header=BB1319_180 Depth=1
	s_or_b32 exec_lo, exec_lo, s14
	v_cmp_ne_u32_e64 s14, 0x80000000, v193
	; wave barrier
	s_delay_alu instid0(VALU_DEP_1) | instskip(NEXT) | instid1(VALU_DEP_1)
	v_cndmask_b32_e64 v52, 0x7fffffff, v193, s14
	v_lshrrev_b32_e32 v52, v10, v52
	s_delay_alu instid0(VALU_DEP_1) | instskip(NEXT) | instid1(VALU_DEP_1)
	v_and_b32_e32 v53, v52, v51
	v_lshlrev_b32_e32 v64, 30, v53
	v_bitop3_b32 v52, v52, 1, v51 bitop3:0x80
	v_lshlrev_b32_e32 v65, 29, v53
	s_delay_alu instid0(VALU_DEP_3) | instskip(NEXT) | instid1(VALU_DEP_3)
	v_cmp_gt_i32_e64 s15, 0, v64
	v_add_co_u32 v52, s14, v52, -1
	s_delay_alu instid0(VALU_DEP_1) | instskip(NEXT) | instid1(VALU_DEP_1)
	v_cndmask_b32_e64 v55, 0, 1, s14
	v_cmp_ne_u32_e64 s14, 0, v55
	v_not_b32_e32 v55, v64
	v_not_b32_e32 v64, v65
	s_delay_alu instid0(VALU_DEP_2) | instskip(NEXT) | instid1(VALU_DEP_2)
	v_dual_ashrrev_i32 v55, 31, v55 :: v_dual_bitop2_b32 v52, s14, v52 bitop3:0x14
	v_dual_ashrrev_i32 v64, 31, v64 :: v_dual_lshlrev_b32 v66, 28, v53
	v_dual_lshlrev_b32 v67, 27, v53 :: v_dual_lshlrev_b32 v68, 26, v53
	v_cmp_gt_i32_e64 s16, 0, v65
	v_lshl_add_u32 v54, v53, 3, v144
	s_delay_alu instid0(VALU_DEP_4)
	v_not_b32_e32 v65, v66
	v_dual_lshlrev_b32 v69, 25, v53 :: v_dual_lshlrev_b32 v53, 24, v53
	v_cmp_gt_i32_e64 s17, 0, v66
	v_cmp_gt_i32_e64 s18, 0, v67
	v_not_b32_e32 v66, v67
	v_dual_ashrrev_i32 v65, 31, v65 :: v_dual_bitop2_b32 v55, s15, v55 bitop3:0x14
	v_not_b32_e32 v67, v68
	v_cmp_gt_i32_e64 s19, 0, v68
	s_delay_alu instid0(VALU_DEP_4) | instskip(NEXT) | instid1(VALU_DEP_4)
	v_dual_ashrrev_i32 v66, 31, v66 :: v_dual_bitop2_b32 v64, s16, v64 bitop3:0x14
	v_xor_b32_e32 v65, s17, v65
	v_bitop3_b32 v52, v52, v55, exec_lo bitop3:0x80
	v_ashrrev_i32_e32 v55, 31, v67
	v_not_b32_e32 v67, v69
	v_not_b32_e32 v68, v53
	v_xor_b32_e32 v66, s18, v66
	v_bitop3_b32 v52, v52, v65, v64 bitop3:0x80
	v_xor_b32_e32 v55, s19, v55
	v_cmp_gt_i32_e64 s14, 0, v69
	v_ashrrev_i32_e32 v64, 31, v67
	v_cmp_gt_i32_e64 s15, 0, v53
	v_ashrrev_i32_e32 v53, 31, v68
	v_lshl_add_u32 v54, v54, 2, v12
	v_bitop3_b32 v55, v52, v55, v66 bitop3:0x80
	v_xor_b32_e32 v64, s14, v64
	s_delay_alu instid0(VALU_DEP_4) | instskip(SKIP_3) | instid1(VALU_DEP_1)
	v_xor_b32_e32 v53, s15, v53
	ds_load_b32 v52, v54 offset:32
	v_add_nc_u32_e32 v54, 32, v54
	; wave barrier
	v_bitop3_b32 v55, v55, v53, v64 bitop3:0x80
	v_mbcnt_lo_u32_b32 v53, v55, 0
	v_cmp_ne_u32_e64 s15, 0, v55
	s_delay_alu instid0(VALU_DEP_2) | instskip(SKIP_1) | instid1(SALU_CYCLE_1)
	v_cmp_eq_u32_e64 s14, 0, v53
	s_and_b32 s15, s15, s14
	s_and_saveexec_b32 s14, s15
	s_cbranch_execz .LBB1319_188
; %bb.187:                              ;   in Loop: Header=BB1319_180 Depth=1
	s_wait_dscnt 0x0
	v_bcnt_u32_b32 v55, v55, v52
	ds_store_b32 v54, v55
.LBB1319_188:                           ;   in Loop: Header=BB1319_180 Depth=1
	s_or_b32 exec_lo, exec_lo, s14
	v_cmp_ne_u32_e64 s14, 0x80000000, v192
	; wave barrier
	s_delay_alu instid0(VALU_DEP_1) | instskip(NEXT) | instid1(VALU_DEP_1)
	v_cndmask_b32_e64 v55, 0x7fffffff, v192, s14
	v_lshrrev_b32_e32 v55, v10, v55
	s_delay_alu instid0(VALU_DEP_1) | instskip(NEXT) | instid1(VALU_DEP_1)
	v_and_b32_e32 v64, v55, v51
	v_lshlrev_b32_e32 v67, 30, v64
	v_bitop3_b32 v55, v55, 1, v51 bitop3:0x80
	s_delay_alu instid0(VALU_DEP_2) | instskip(NEXT) | instid1(VALU_DEP_2)
	v_cmp_gt_i32_e64 s15, 0, v67
	v_add_co_u32 v55, s14, v55, -1
	s_delay_alu instid0(VALU_DEP_1) | instskip(NEXT) | instid1(VALU_DEP_1)
	v_cndmask_b32_e64 v66, 0, 1, s14
	v_cmp_ne_u32_e64 s14, 0, v66
	v_not_b32_e32 v66, v67
	s_delay_alu instid0(VALU_DEP_1) | instskip(SKIP_3) | instid1(VALU_DEP_4)
	v_dual_ashrrev_i32 v66, 31, v66 :: v_dual_lshlrev_b32 v68, 29, v64
	v_dual_lshlrev_b32 v69, 28, v64 :: v_dual_lshlrev_b32 v70, 27, v64
	v_lshlrev_b32_e32 v71, 26, v64
	v_lshl_add_u32 v65, v64, 3, v144
	v_cmp_gt_i32_e64 s16, 0, v68
	v_not_b32_e32 v67, v68
	v_not_b32_e32 v68, v69
	v_dual_lshlrev_b32 v80, 25, v64 :: v_dual_lshlrev_b32 v64, 24, v64
	v_cmp_gt_i32_e64 s17, 0, v69
	v_cmp_gt_i32_e64 s18, 0, v70
	v_not_b32_e32 v69, v70
	v_dual_ashrrev_i32 v68, 31, v68 :: v_dual_bitop2_b32 v55, s14, v55 bitop3:0x14
	v_dual_ashrrev_i32 v67, 31, v67 :: v_dual_bitop2_b32 v66, s15, v66 bitop3:0x14
	v_not_b32_e32 v70, v71
	v_cmp_gt_i32_e64 s19, 0, v71
	s_delay_alu instid0(VALU_DEP_3)
	v_dual_ashrrev_i32 v69, 31, v69 :: v_dual_bitop2_b32 v67, s16, v67 bitop3:0x14
	v_xor_b32_e32 v68, s17, v68
	v_bitop3_b32 v55, v55, v66, exec_lo bitop3:0x80
	v_ashrrev_i32_e32 v66, 31, v70
	v_not_b32_e32 v70, v80
	v_not_b32_e32 v71, v64
	v_xor_b32_e32 v69, s18, v69
	v_bitop3_b32 v55, v55, v68, v67 bitop3:0x80
	v_xor_b32_e32 v66, s19, v66
	v_cmp_gt_i32_e64 s14, 0, v80
	v_ashrrev_i32_e32 v67, 31, v70
	v_cmp_gt_i32_e64 s15, 0, v64
	v_ashrrev_i32_e32 v64, 31, v71
	v_lshl_add_u32 v65, v65, 2, v12
	v_bitop3_b32 v66, v55, v66, v69 bitop3:0x80
	v_xor_b32_e32 v67, s14, v67
	s_delay_alu instid0(VALU_DEP_4) | instskip(SKIP_3) | instid1(VALU_DEP_1)
	v_xor_b32_e32 v64, s15, v64
	ds_load_b32 v55, v65 offset:32
	v_add_nc_u32_e32 v65, 32, v65
	; wave barrier
	v_bitop3_b32 v66, v66, v64, v67 bitop3:0x80
	v_mbcnt_lo_u32_b32 v64, v66, 0
	v_cmp_ne_u32_e64 s15, 0, v66
	s_delay_alu instid0(VALU_DEP_2) | instskip(SKIP_1) | instid1(SALU_CYCLE_1)
	v_cmp_eq_u32_e64 s14, 0, v64
	s_and_b32 s15, s15, s14
	s_and_saveexec_b32 s14, s15
	s_cbranch_execz .LBB1319_190
; %bb.189:                              ;   in Loop: Header=BB1319_180 Depth=1
	s_wait_dscnt 0x0
	v_bcnt_u32_b32 v66, v66, v55
	ds_store_b32 v65, v66
.LBB1319_190:                           ;   in Loop: Header=BB1319_180 Depth=1
	s_or_b32 exec_lo, exec_lo, s14
	v_cmp_ne_u32_e64 s14, 0x80000000, v183
	; wave barrier
	s_delay_alu instid0(VALU_DEP_1) | instskip(NEXT) | instid1(VALU_DEP_1)
	v_cndmask_b32_e64 v66, 0x7fffffff, v183, s14
	v_lshrrev_b32_e32 v66, v10, v66
	s_delay_alu instid0(VALU_DEP_1) | instskip(NEXT) | instid1(VALU_DEP_1)
	v_and_b32_e32 v67, v66, v51
	v_lshlrev_b32_e32 v70, 30, v67
	v_bitop3_b32 v66, v66, 1, v51 bitop3:0x80
	s_delay_alu instid0(VALU_DEP_2) | instskip(NEXT) | instid1(VALU_DEP_2)
	v_cmp_gt_i32_e64 s15, 0, v70
	v_add_co_u32 v66, s14, v66, -1
	s_delay_alu instid0(VALU_DEP_1) | instskip(NEXT) | instid1(VALU_DEP_1)
	v_cndmask_b32_e64 v69, 0, 1, s14
	v_cmp_ne_u32_e64 s14, 0, v69
	v_not_b32_e32 v69, v70
	s_delay_alu instid0(VALU_DEP_1) | instskip(SKIP_3) | instid1(VALU_DEP_4)
	v_dual_ashrrev_i32 v69, 31, v69 :: v_dual_lshlrev_b32 v71, 29, v67
	v_dual_lshlrev_b32 v80, 28, v67 :: v_dual_lshlrev_b32 v81, 27, v67
	v_lshlrev_b32_e32 v82, 26, v67
	v_lshl_add_u32 v68, v67, 3, v144
	v_cmp_gt_i32_e64 s16, 0, v71
	v_not_b32_e32 v70, v71
	v_not_b32_e32 v71, v80
	v_dual_lshlrev_b32 v83, 25, v67 :: v_dual_lshlrev_b32 v67, 24, v67
	v_cmp_gt_i32_e64 s17, 0, v80
	v_cmp_gt_i32_e64 s18, 0, v81
	v_not_b32_e32 v80, v81
	v_dual_ashrrev_i32 v71, 31, v71 :: v_dual_bitop2_b32 v66, s14, v66 bitop3:0x14
	v_dual_ashrrev_i32 v70, 31, v70 :: v_dual_bitop2_b32 v69, s15, v69 bitop3:0x14
	v_not_b32_e32 v81, v82
	v_cmp_gt_i32_e64 s19, 0, v82
	s_delay_alu instid0(VALU_DEP_3)
	v_dual_ashrrev_i32 v80, 31, v80 :: v_dual_bitop2_b32 v70, s16, v70 bitop3:0x14
	v_xor_b32_e32 v71, s17, v71
	v_bitop3_b32 v66, v66, v69, exec_lo bitop3:0x80
	v_ashrrev_i32_e32 v69, 31, v81
	v_not_b32_e32 v81, v83
	v_not_b32_e32 v82, v67
	v_xor_b32_e32 v80, s18, v80
	v_bitop3_b32 v66, v66, v71, v70 bitop3:0x80
	v_xor_b32_e32 v69, s19, v69
	v_cmp_gt_i32_e64 s14, 0, v83
	v_ashrrev_i32_e32 v70, 31, v81
	v_cmp_gt_i32_e64 s15, 0, v67
	v_ashrrev_i32_e32 v67, 31, v82
	v_lshl_add_u32 v68, v68, 2, v12
	v_bitop3_b32 v69, v66, v69, v80 bitop3:0x80
	v_xor_b32_e32 v70, s14, v70
	s_delay_alu instid0(VALU_DEP_4) | instskip(SKIP_3) | instid1(VALU_DEP_1)
	v_xor_b32_e32 v67, s15, v67
	ds_load_b32 v66, v68 offset:32
	v_add_nc_u32_e32 v68, 32, v68
	; wave barrier
	v_bitop3_b32 v69, v69, v67, v70 bitop3:0x80
	v_mbcnt_lo_u32_b32 v67, v69, 0
	v_cmp_ne_u32_e64 s15, 0, v69
	s_delay_alu instid0(VALU_DEP_2) | instskip(SKIP_1) | instid1(SALU_CYCLE_1)
	v_cmp_eq_u32_e64 s14, 0, v67
	s_and_b32 s15, s15, s14
	s_and_saveexec_b32 s14, s15
	s_cbranch_execz .LBB1319_192
; %bb.191:                              ;   in Loop: Header=BB1319_180 Depth=1
	s_wait_dscnt 0x0
	v_bcnt_u32_b32 v69, v69, v66
	ds_store_b32 v68, v69
.LBB1319_192:                           ;   in Loop: Header=BB1319_180 Depth=1
	s_or_b32 exec_lo, exec_lo, s14
	v_cmp_ne_u32_e64 s14, 0x80000000, v182
	; wave barrier
	s_delay_alu instid0(VALU_DEP_1) | instskip(NEXT) | instid1(VALU_DEP_1)
	v_cndmask_b32_e64 v69, 0x7fffffff, v182, s14
	v_lshrrev_b32_e32 v69, v10, v69
	s_delay_alu instid0(VALU_DEP_1) | instskip(NEXT) | instid1(VALU_DEP_1)
	v_and_b32_e32 v70, v69, v51
	v_lshlrev_b32_e32 v81, 30, v70
	v_bitop3_b32 v69, v69, 1, v51 bitop3:0x80
	s_delay_alu instid0(VALU_DEP_2) | instskip(NEXT) | instid1(VALU_DEP_2)
	v_cmp_gt_i32_e64 s15, 0, v81
	v_add_co_u32 v69, s14, v69, -1
	s_delay_alu instid0(VALU_DEP_1) | instskip(NEXT) | instid1(VALU_DEP_1)
	v_cndmask_b32_e64 v80, 0, 1, s14
	v_cmp_ne_u32_e64 s14, 0, v80
	v_not_b32_e32 v80, v81
	s_delay_alu instid0(VALU_DEP_1) | instskip(SKIP_3) | instid1(VALU_DEP_4)
	v_dual_ashrrev_i32 v80, 31, v80 :: v_dual_lshlrev_b32 v82, 29, v70
	v_dual_lshlrev_b32 v83, 28, v70 :: v_dual_lshlrev_b32 v84, 27, v70
	v_lshlrev_b32_e32 v85, 26, v70
	v_lshl_add_u32 v71, v70, 3, v144
	v_cmp_gt_i32_e64 s16, 0, v82
	v_not_b32_e32 v81, v82
	v_not_b32_e32 v82, v83
	v_dual_lshlrev_b32 v86, 25, v70 :: v_dual_lshlrev_b32 v70, 24, v70
	v_cmp_gt_i32_e64 s17, 0, v83
	v_cmp_gt_i32_e64 s18, 0, v84
	v_not_b32_e32 v83, v84
	v_dual_ashrrev_i32 v82, 31, v82 :: v_dual_bitop2_b32 v69, s14, v69 bitop3:0x14
	v_dual_ashrrev_i32 v81, 31, v81 :: v_dual_bitop2_b32 v80, s15, v80 bitop3:0x14
	v_not_b32_e32 v84, v85
	v_cmp_gt_i32_e64 s19, 0, v85
	s_delay_alu instid0(VALU_DEP_3)
	v_dual_ashrrev_i32 v83, 31, v83 :: v_dual_bitop2_b32 v81, s16, v81 bitop3:0x14
	v_xor_b32_e32 v82, s17, v82
	v_bitop3_b32 v69, v69, v80, exec_lo bitop3:0x80
	v_ashrrev_i32_e32 v80, 31, v84
	v_not_b32_e32 v84, v86
	v_not_b32_e32 v85, v70
	v_xor_b32_e32 v83, s18, v83
	v_bitop3_b32 v69, v69, v82, v81 bitop3:0x80
	v_xor_b32_e32 v80, s19, v80
	v_cmp_gt_i32_e64 s14, 0, v86
	v_ashrrev_i32_e32 v81, 31, v84
	v_cmp_gt_i32_e64 s15, 0, v70
	v_ashrrev_i32_e32 v70, 31, v85
	v_lshl_add_u32 v71, v71, 2, v12
	v_bitop3_b32 v69, v69, v80, v83 bitop3:0x80
	v_xor_b32_e32 v80, s14, v81
	s_delay_alu instid0(VALU_DEP_4) | instskip(SKIP_3) | instid1(VALU_DEP_2)
	v_xor_b32_e32 v70, s15, v70
	ds_load_b32 v84, v71 offset:32
	; wave barrier
	v_bitop3_b32 v70, v69, v70, v80 bitop3:0x80
	v_add_nc_u32_e32 v69, 32, v71
	v_mbcnt_lo_u32_b32 v96, v70, 0
	v_cmp_ne_u32_e64 s15, 0, v70
	s_delay_alu instid0(VALU_DEP_2) | instskip(SKIP_1) | instid1(SALU_CYCLE_1)
	v_cmp_eq_u32_e64 s14, 0, v96
	s_and_b32 s15, s15, s14
	s_and_saveexec_b32 s14, s15
	s_cbranch_execz .LBB1319_194
; %bb.193:                              ;   in Loop: Header=BB1319_180 Depth=1
	s_wait_dscnt 0x0
	v_bcnt_u32_b32 v70, v70, v84
	ds_store_b32 v69, v70
.LBB1319_194:                           ;   in Loop: Header=BB1319_180 Depth=1
	s_or_b32 exec_lo, exec_lo, s14
	v_cmp_ne_u32_e64 s14, 0x80000000, v181
	; wave barrier
	s_delay_alu instid0(VALU_DEP_1) | instskip(NEXT) | instid1(VALU_DEP_1)
	v_cndmask_b32_e64 v70, 0x7fffffff, v181, s14
	v_lshrrev_b32_e32 v70, v10, v70
	s_delay_alu instid0(VALU_DEP_1) | instskip(NEXT) | instid1(VALU_DEP_1)
	v_and_b32_e32 v71, v70, v51
	v_lshlrev_b32_e32 v81, 30, v71
	v_bitop3_b32 v51, v70, 1, v51 bitop3:0x80
	s_delay_alu instid0(VALU_DEP_2) | instskip(NEXT) | instid1(VALU_DEP_2)
	v_cmp_gt_i32_e64 s15, 0, v81
	v_add_co_u32 v51, s14, v51, -1
	s_delay_alu instid0(VALU_DEP_1) | instskip(NEXT) | instid1(VALU_DEP_1)
	v_cndmask_b32_e64 v80, 0, 1, s14
	v_cmp_ne_u32_e64 s14, 0, v80
	v_not_b32_e32 v80, v81
	s_delay_alu instid0(VALU_DEP_1) | instskip(SKIP_3) | instid1(VALU_DEP_4)
	v_dual_ashrrev_i32 v80, 31, v80 :: v_dual_lshlrev_b32 v82, 29, v71
	v_dual_lshlrev_b32 v83, 28, v71 :: v_dual_lshlrev_b32 v85, 27, v71
	v_lshlrev_b32_e32 v86, 26, v71
	v_lshl_add_u32 v70, v71, 3, v144
	v_cmp_gt_i32_e64 s16, 0, v82
	v_not_b32_e32 v81, v82
	v_not_b32_e32 v82, v83
	v_dual_lshlrev_b32 v87, 25, v71 :: v_dual_lshlrev_b32 v71, 24, v71
	v_cmp_gt_i32_e64 s17, 0, v83
	v_cmp_gt_i32_e64 s18, 0, v85
	v_not_b32_e32 v83, v85
	v_dual_ashrrev_i32 v81, 31, v81 :: v_dual_bitop2_b32 v51, s14, v51 bitop3:0x14
	v_dual_ashrrev_i32 v82, 31, v82 :: v_dual_bitop2_b32 v80, s15, v80 bitop3:0x14
	v_not_b32_e32 v85, v86
	v_cmp_gt_i32_e64 s19, 0, v86
	s_delay_alu instid0(VALU_DEP_4) | instskip(NEXT) | instid1(VALU_DEP_4)
	v_dual_ashrrev_i32 v83, 31, v83 :: v_dual_bitop2_b32 v81, s16, v81 bitop3:0x14
	v_xor_b32_e32 v82, s17, v82
	v_bitop3_b32 v51, v51, v80, exec_lo bitop3:0x80
	v_ashrrev_i32_e32 v80, 31, v85
	v_not_b32_e32 v85, v87
	v_not_b32_e32 v86, v71
	v_xor_b32_e32 v83, s18, v83
	v_bitop3_b32 v51, v51, v82, v81 bitop3:0x80
	v_xor_b32_e32 v80, s19, v80
	v_cmp_gt_i32_e64 s14, 0, v87
	v_ashrrev_i32_e32 v81, 31, v85
	v_cmp_gt_i32_e64 s15, 0, v71
	v_ashrrev_i32_e32 v71, 31, v86
	v_lshl_add_u32 v70, v70, 2, v12
	v_bitop3_b32 v80, v51, v80, v83 bitop3:0x80
	v_xor_b32_e32 v81, s14, v81
	s_delay_alu instid0(VALU_DEP_4) | instskip(SKIP_3) | instid1(VALU_DEP_1)
	v_xor_b32_e32 v71, s15, v71
	ds_load_b32 v51, v70 offset:32
	v_add_nc_u32_e32 v70, 32, v70
	; wave barrier
	v_bitop3_b32 v71, v80, v71, v81 bitop3:0x80
	v_mbcnt_lo_u32_b32 v98, v71, 0
	v_cmp_ne_u32_e64 s15, 0, v71
	s_delay_alu instid0(VALU_DEP_2) | instskip(SKIP_1) | instid1(SALU_CYCLE_1)
	v_cmp_eq_u32_e64 s14, 0, v98
	s_and_b32 s15, s15, s14
	s_and_saveexec_b32 s14, s15
	s_cbranch_execz .LBB1319_196
; %bb.195:                              ;   in Loop: Header=BB1319_180 Depth=1
	s_wait_dscnt 0x0
	v_bcnt_u32_b32 v71, v71, v51
	ds_store_b32 v70, v71
.LBB1319_196:                           ;   in Loop: Header=BB1319_180 Depth=1
	s_or_b32 exec_lo, exec_lo, s14
	; wave barrier
	s_wait_dscnt 0x0
	s_barrier_signal -1
	s_barrier_wait -1
	ds_load_b32 v80, v23
	ds_load_b32 v81, v27
	;; [unrolled: 1-line block ×8, first 2 shown]
	s_wait_dscnt 0x6
	v_add_nc_u32_e32 v97, v81, v80
	s_wait_dscnt 0x4
	s_delay_alu instid0(VALU_DEP_1) | instskip(SKIP_1) | instid1(VALU_DEP_1)
	v_add3_u32 v97, v97, v82, v83
	s_wait_dscnt 0x2
	v_add3_u32 v97, v97, v85, v86
	s_wait_dscnt 0x0
	s_delay_alu instid0(VALU_DEP_1) | instskip(NEXT) | instid1(VALU_DEP_1)
	v_add3_u32 v87, v97, v71, v87
	v_mov_b32_dpp v97, v87 row_shr:1 row_mask:0xf bank_mask:0xf
	s_delay_alu instid0(VALU_DEP_1) | instskip(NEXT) | instid1(VALU_DEP_1)
	v_cndmask_b32_e64 v97, v97, 0, vcc_lo
	v_add_nc_u32_e32 v87, v97, v87
	s_delay_alu instid0(VALU_DEP_1) | instskip(NEXT) | instid1(VALU_DEP_1)
	v_mov_b32_dpp v97, v87 row_shr:2 row_mask:0xf bank_mask:0xf
	v_cndmask_b32_e64 v97, 0, v97, s0
	s_delay_alu instid0(VALU_DEP_1) | instskip(NEXT) | instid1(VALU_DEP_1)
	v_add_nc_u32_e32 v87, v87, v97
	v_mov_b32_dpp v97, v87 row_shr:4 row_mask:0xf bank_mask:0xf
	s_delay_alu instid0(VALU_DEP_1) | instskip(NEXT) | instid1(VALU_DEP_1)
	v_cndmask_b32_e64 v97, 0, v97, s2
	v_add_nc_u32_e32 v87, v87, v97
	s_delay_alu instid0(VALU_DEP_1) | instskip(NEXT) | instid1(VALU_DEP_1)
	v_mov_b32_dpp v97, v87 row_shr:8 row_mask:0xf bank_mask:0xf
	v_cndmask_b32_e64 v97, 0, v97, s3
	s_delay_alu instid0(VALU_DEP_1) | instskip(SKIP_3) | instid1(VALU_DEP_1)
	v_add_nc_u32_e32 v87, v87, v97
	ds_swizzle_b32 v97, v87 offset:swizzle(BROADCAST,32,15)
	s_wait_dscnt 0x0
	v_cndmask_b32_e64 v97, v97, 0, s4
	v_add_nc_u32_e32 v87, v87, v97
	s_and_saveexec_b32 s14, s5
; %bb.197:                              ;   in Loop: Header=BB1319_180 Depth=1
	ds_store_b32 v146, v87
; %bb.198:                              ;   in Loop: Header=BB1319_180 Depth=1
	s_or_b32 exec_lo, exec_lo, s14
	s_wait_dscnt 0x0
	s_barrier_signal -1
	s_barrier_wait -1
	s_and_saveexec_b32 s14, s6
	s_cbranch_execz .LBB1319_200
; %bb.199:                              ;   in Loop: Header=BB1319_180 Depth=1
	ds_load_b32 v97, v4
	s_wait_dscnt 0x0
	v_mov_b32_dpp v99, v97 row_shr:1 row_mask:0xf bank_mask:0xf
	s_delay_alu instid0(VALU_DEP_1) | instskip(NEXT) | instid1(VALU_DEP_1)
	v_cndmask_b32_e64 v99, v99, 0, s11
	v_add_nc_u32_e32 v97, v99, v97
	s_delay_alu instid0(VALU_DEP_1) | instskip(NEXT) | instid1(VALU_DEP_1)
	v_mov_b32_dpp v99, v97 row_shr:2 row_mask:0xf bank_mask:0xf
	v_cndmask_b32_e64 v99, 0, v99, s12
	s_delay_alu instid0(VALU_DEP_1) | instskip(NEXT) | instid1(VALU_DEP_1)
	v_add_nc_u32_e32 v97, v97, v99
	v_mov_b32_dpp v99, v97 row_shr:4 row_mask:0xf bank_mask:0xf
	s_delay_alu instid0(VALU_DEP_1) | instskip(NEXT) | instid1(VALU_DEP_1)
	v_cndmask_b32_e64 v99, 0, v99, s13
	v_add_nc_u32_e32 v97, v97, v99
	ds_store_b32 v4, v97
.LBB1319_200:                           ;   in Loop: Header=BB1319_180 Depth=1
	s_or_b32 exec_lo, exec_lo, s14
	v_mov_b32_e32 v97, 0
	s_wait_dscnt 0x0
	s_barrier_signal -1
	s_barrier_wait -1
	s_and_saveexec_b32 s14, s7
; %bb.201:                              ;   in Loop: Header=BB1319_180 Depth=1
	ds_load_b32 v97, v147
; %bb.202:                              ;   in Loop: Header=BB1319_180 Depth=1
	s_or_b32 exec_lo, exec_lo, s14
	s_wait_dscnt 0x0
	v_dual_add_nc_u32 v87, v97, v87 :: v_dual_add_nc_u32 v10, 8, v10
	s_mov_b32 s16, -1
	ds_bpermute_b32 v87, v145, v87
	s_wait_dscnt 0x0
	v_dual_cndmask_b32 v87, v87, v97, s1 :: v_dual_mov_b32 v97, v1
	s_delay_alu instid0(VALU_DEP_1) | instskip(NEXT) | instid1(VALU_DEP_1)
	v_cndmask_b32_e64 v87, v87, 0, s10
	v_add_nc_u32_e32 v80, v87, v80
	s_delay_alu instid0(VALU_DEP_1) | instskip(NEXT) | instid1(VALU_DEP_1)
	v_add_nc_u32_e32 v81, v80, v81
	v_add_nc_u32_e32 v82, v81, v82
	s_delay_alu instid0(VALU_DEP_1)
	v_add_nc_u32_e32 v83, v82, v83
	ds_store_b32 v23, v87
	ds_store_b32 v27, v80
	;; [unrolled: 1-line block ×3, first 2 shown]
	v_dual_mov_b32 v87, v1 :: v_dual_mov_b32 v81, v1
	v_add_nc_u32_e32 v85, v83, v85
	s_delay_alu instid0(VALU_DEP_1) | instskip(NEXT) | instid1(VALU_DEP_1)
	v_add_nc_u32_e32 v86, v85, v86
	v_add_nc_u32_e32 v71, v86, v71
	ds_store_b32 v131, v82
	ds_store_b32 v132, v83
	;; [unrolled: 1-line block ×5, first 2 shown]
	s_wait_dscnt 0x0
	s_barrier_signal -1
	s_barrier_wait -1
	ds_load_b32 v36, v36
	ds_load_b32 v39, v39
	;; [unrolled: 1-line block ×8, first 2 shown]
	v_dual_mov_b32 v83, v1 :: v_dual_mov_b32 v69, v1
	v_dual_mov_b32 v71, v1 :: v_dual_mov_b32 v85, v1
	v_cmp_lt_u32_e64 s14, v10, v11
	s_wait_dscnt 0x0
	v_add_nc_u32_e32 v0, v36, v0
	v_add3_u32 v82, v38, v37, v39
	v_add3_u32 v86, v49, v48, v50
	;; [unrolled: 1-line block ×7, first 2 shown]
	v_lshl_add_u64 v[128:129], v[0:1], 2, v[12:13]
	v_lshl_add_u64 v[118:119], v[82:83], 2, v[12:13]
	;; [unrolled: 1-line block ×8, first 2 shown]
                                        ; implicit-def: $vgpr97
                                        ; implicit-def: $vgpr87
                                        ; implicit-def: $vgpr85
                                        ; implicit-def: $vgpr83
                                        ; implicit-def: $vgpr81
                                        ; implicit-def: $vgpr71
                                        ; implicit-def: $vgpr69
                                        ; implicit-def: $vgpr99
                                        ; implicit-def: $vgpr52_vgpr53
                                        ; implicit-def: $vgpr64_vgpr65
                                        ; implicit-def: $vgpr36_vgpr37
                                        ; implicit-def: $vgpr38_vgpr39
                                        ; implicit-def: $vgpr48_vgpr49
                                        ; implicit-def: $vgpr50_vgpr51
                                        ; implicit-def: $vgpr54_vgpr55
                                        ; implicit-def: $vgpr66_vgpr67
	s_and_saveexec_b32 s15, s14
	s_cbranch_execz .LBB1319_179
; %bb.203:                              ;   in Loop: Header=BB1319_180 Depth=1
	v_lshl_add_u32 v36, v0, 2, v128
	v_lshl_add_u32 v37, v82, 2, v118
	;; [unrolled: 1-line block ×3, first 2 shown]
	s_barrier_signal -1
	s_barrier_wait -1
	ds_store_b32 v128, v180
	ds_store_b32 v118, v195
	;; [unrolled: 1-line block ×8, first 2 shown]
	s_wait_dscnt 0x0
	s_barrier_signal -1
	s_barrier_wait -1
	ds_load_b32 v99, v5
	ds_load_b32 v69, v148
	;; [unrolled: 1-line block ×8, first 2 shown]
	s_wait_dscnt 0x0
	s_barrier_signal -1
	s_barrier_wait -1
	ds_store_b64 v36, v[16:17]
	ds_store_b64 v37, v[18:19]
	;; [unrolled: 1-line block ×3, first 2 shown]
	v_lshl_add_u32 v36, v68, 2, v114
	v_lshl_add_u32 v37, v70, 2, v112
	;; [unrolled: 1-line block ×5, first 2 shown]
	ds_store_b64 v36, v[20:21]
	ds_store_b64 v37, v[30:31]
	;; [unrolled: 1-line block ×5, first 2 shown]
	s_wait_dscnt 0x0
	s_barrier_signal -1
	s_barrier_wait -1
	ds_load_b64 v[52:53], v151
	ds_load_b64 v[64:65], v164
	;; [unrolled: 1-line block ×8, first 2 shown]
	v_add_nc_u32_e32 v179, -8, v179
	s_xor_b32 s16, exec_lo, -1
	s_wait_dscnt 0x0
	s_barrier_signal -1
	s_barrier_wait -1
	s_branch .LBB1319_179
.LBB1319_204:
	flat_load_b64 v[70:71], v[0:1]
	s_wait_xcnt 0x0
	s_or_b32 exec_lo, exec_lo, s18
                                        ; implicit-def: $vgpr80_vgpr81
	s_and_saveexec_b32 s18, s0
	s_cbranch_execz .LBB1319_38
.LBB1319_205:
	flat_load_b64 v[80:81], v[0:1] offset:256
	s_wait_xcnt 0x0
	s_or_b32 exec_lo, exec_lo, s18
                                        ; implicit-def: $vgpr82_vgpr83
	s_and_saveexec_b32 s0, s1
	s_cbranch_execz .LBB1319_39
.LBB1319_206:
	flat_load_b64 v[82:83], v[0:1] offset:512
	s_wait_xcnt 0x0
	s_or_b32 exec_lo, exec_lo, s0
                                        ; implicit-def: $vgpr84_vgpr85
	s_and_saveexec_b32 s0, s2
	s_cbranch_execz .LBB1319_40
.LBB1319_207:
	flat_load_b64 v[84:85], v[0:1] offset:768
	s_wait_xcnt 0x0
	s_or_b32 exec_lo, exec_lo, s0
                                        ; implicit-def: $vgpr86_vgpr87
	s_and_saveexec_b32 s0, s3
	s_cbranch_execz .LBB1319_41
.LBB1319_208:
	flat_load_b64 v[86:87], v[0:1] offset:1024
	s_wait_xcnt 0x0
	s_or_b32 exec_lo, exec_lo, s0
                                        ; implicit-def: $vgpr96_vgpr97
	s_and_saveexec_b32 s0, s4
	s_cbranch_execz .LBB1319_42
.LBB1319_209:
	flat_load_b64 v[96:97], v[0:1] offset:1280
	s_wait_xcnt 0x0
	s_or_b32 exec_lo, exec_lo, s0
                                        ; implicit-def: $vgpr98_vgpr99
	s_and_saveexec_b32 s0, s5
	s_cbranch_execz .LBB1319_43
.LBB1319_210:
	flat_load_b64 v[98:99], v[0:1] offset:1536
	s_wait_xcnt 0x0
	s_or_b32 exec_lo, exec_lo, s0
                                        ; implicit-def: $vgpr100_vgpr101
	s_and_saveexec_b32 s0, s6
	s_cbranch_execz .LBB1319_44
.LBB1319_211:
	flat_load_b64 v[100:101], v[0:1] offset:1792
	s_wait_xcnt 0x0
	s_or_b32 exec_lo, exec_lo, s0
                                        ; implicit-def: $vgpr102_vgpr103
	s_and_saveexec_b32 s0, s7
	s_cbranch_execz .LBB1319_45
.LBB1319_212:
	flat_load_b64 v[102:103], v[0:1] offset:2048
	s_wait_xcnt 0x0
	s_or_b32 exec_lo, exec_lo, s0
                                        ; implicit-def: $vgpr112_vgpr113
	s_and_saveexec_b32 s0, s10
	s_cbranch_execz .LBB1319_46
.LBB1319_213:
	flat_load_b64 v[112:113], v[0:1] offset:2304
	s_wait_xcnt 0x0
	s_or_b32 exec_lo, exec_lo, s0
                                        ; implicit-def: $vgpr114_vgpr115
	s_and_saveexec_b32 s0, s11
	s_cbranch_execz .LBB1319_47
.LBB1319_214:
	flat_load_b64 v[114:115], v[0:1] offset:2560
	s_wait_xcnt 0x0
	s_or_b32 exec_lo, exec_lo, s0
                                        ; implicit-def: $vgpr118_vgpr119
	s_and_saveexec_b32 s0, s12
	s_cbranch_execz .LBB1319_48
.LBB1319_215:
	flat_load_b64 v[118:119], v[0:1] offset:2816
	s_wait_xcnt 0x0
	s_or_b32 exec_lo, exec_lo, s0
                                        ; implicit-def: $vgpr130_vgpr131
	s_and_saveexec_b32 s0, s13
	s_cbranch_execz .LBB1319_49
.LBB1319_216:
	flat_load_b64 v[130:131], v[0:1] offset:3072
	s_wait_xcnt 0x0
	s_or_b32 exec_lo, exec_lo, s0
                                        ; implicit-def: $vgpr116_vgpr117
	s_and_saveexec_b32 s0, s14
	s_cbranch_execz .LBB1319_50
.LBB1319_217:
	flat_load_b64 v[116:117], v[0:1] offset:3328
	s_wait_xcnt 0x0
	s_or_b32 exec_lo, exec_lo, s0
                                        ; implicit-def: $vgpr128_vgpr129
	s_and_saveexec_b32 s0, s15
	s_cbranch_execz .LBB1319_51
.LBB1319_218:
	flat_load_b64 v[128:129], v[0:1] offset:3584
	s_wait_xcnt 0x0
	s_or_b32 exec_lo, exec_lo, s0
                                        ; implicit-def: $vgpr132_vgpr133
	s_and_saveexec_b32 s0, s16
	s_cbranch_execz .LBB1319_52
.LBB1319_219:
	flat_load_b64 v[132:133], v[0:1] offset:3840
	s_wait_xcnt 0x0
	s_or_b32 exec_lo, exec_lo, s0
                                        ; implicit-def: $vgpr182_vgpr183
	s_and_saveexec_b32 s0, s17
	s_cbranch_execnz .LBB1319_53
	s_branch .LBB1319_54
.LBB1319_220:
	flat_store_b64 v[2:3], v[48:49]
	s_wait_xcnt 0x0
	s_or_b32 exec_lo, exec_lo, s18
	s_and_saveexec_b32 s18, s0
	s_cbranch_execz .LBB1319_134
.LBB1319_221:
	flat_store_b64 v[2:3], v[50:51] offset:2048
	s_wait_xcnt 0x0
	s_or_b32 exec_lo, exec_lo, s18
	s_and_saveexec_b32 s0, s1
	s_cbranch_execz .LBB1319_135
.LBB1319_222:
	flat_store_b64 v[2:3], v[34:35] offset:4096
	s_wait_xcnt 0x0
	s_or_b32 exec_lo, exec_lo, s0
	s_and_saveexec_b32 s0, s2
	s_cbranch_execz .LBB1319_136
.LBB1319_223:
	flat_store_b64 v[2:3], v[36:37] offset:6144
	s_wait_xcnt 0x0
	s_or_b32 exec_lo, exec_lo, s0
	s_and_saveexec_b32 s0, s3
	s_cbranch_execz .LBB1319_137
.LBB1319_224:
	flat_store_b64 v[2:3], v[30:31] offset:8192
	s_wait_xcnt 0x0
	s_or_b32 exec_lo, exec_lo, s0
	s_and_saveexec_b32 s0, s4
	s_cbranch_execz .LBB1319_138
.LBB1319_225:
	flat_store_b64 v[2:3], v[32:33] offset:10240
	s_wait_xcnt 0x0
	s_or_b32 exec_lo, exec_lo, s0
	s_and_saveexec_b32 s0, s5
	s_cbranch_execz .LBB1319_139
.LBB1319_226:
	flat_store_b64 v[2:3], v[26:27] offset:12288
	s_wait_xcnt 0x0
	s_or_b32 exec_lo, exec_lo, s0
	s_and_saveexec_b32 s0, s6
	s_cbranch_execz .LBB1319_140
.LBB1319_227:
	flat_store_b64 v[2:3], v[28:29] offset:14336
	s_wait_xcnt 0x0
	s_or_b32 exec_lo, exec_lo, s0
	s_and_saveexec_b32 s0, s7
	s_cbranch_execz .LBB1319_141
.LBB1319_228:
	flat_store_b64 v[2:3], v[22:23] offset:16384
	s_wait_xcnt 0x0
	s_or_b32 exec_lo, exec_lo, s0
	s_and_saveexec_b32 s0, s10
	s_cbranch_execz .LBB1319_142
.LBB1319_229:
	flat_store_b64 v[2:3], v[24:25] offset:18432
	s_wait_xcnt 0x0
	s_or_b32 exec_lo, exec_lo, s0
	s_and_saveexec_b32 s0, s11
	s_cbranch_execz .LBB1319_143
.LBB1319_230:
	flat_store_b64 v[2:3], v[18:19] offset:20480
	s_wait_xcnt 0x0
	s_or_b32 exec_lo, exec_lo, s0
	s_and_saveexec_b32 s0, s12
	s_cbranch_execz .LBB1319_144
.LBB1319_231:
	flat_store_b64 v[2:3], v[20:21] offset:22528
	s_wait_xcnt 0x0
	s_or_b32 exec_lo, exec_lo, s0
	s_and_saveexec_b32 s0, s13
	s_cbranch_execz .LBB1319_145
.LBB1319_232:
	flat_store_b64 v[2:3], v[14:15] offset:24576
	s_wait_xcnt 0x0
	s_or_b32 exec_lo, exec_lo, s0
	s_and_saveexec_b32 s0, s14
	s_cbranch_execz .LBB1319_146
.LBB1319_233:
	flat_store_b64 v[2:3], v[16:17] offset:26624
	s_wait_xcnt 0x0
	s_or_b32 exec_lo, exec_lo, s0
	s_and_saveexec_b32 s0, s15
	s_cbranch_execz .LBB1319_147
.LBB1319_234:
	flat_store_b64 v[2:3], v[10:11] offset:28672
	s_wait_xcnt 0x0
	s_or_b32 exec_lo, exec_lo, s0
	s_and_saveexec_b32 s0, s16
	s_cbranch_execz .LBB1319_148
.LBB1319_235:
	flat_store_b64 v[2:3], v[12:13] offset:30720
	s_wait_xcnt 0x0
	s_or_b32 exec_lo, exec_lo, s0
	s_and_saveexec_b32 s0, s17
	s_cbranch_execnz .LBB1319_149
	s_branch .LBB1319_150
.LBB1319_236:
	s_or_b32 exec_lo, exec_lo, s24
	v_lshl_add_u32 v0, v0, 2, v128
	v_lshl_add_u32 v1, v82, 2, v118
	;; [unrolled: 1-line block ×3, first 2 shown]
	s_barrier_signal -1
	s_barrier_wait -1
	ds_store_b32 v128, v180
	ds_store_b32 v118, v195
	;; [unrolled: 1-line block ×8, first 2 shown]
	s_wait_dscnt 0x0
	s_barrier_signal -1
	s_barrier_wait -1
	ds_load_2addr_stride64_b32 v[48:49], v4 offset1:4
	ds_load_2addr_stride64_b32 v[38:39], v4 offset0:8 offset1:12
	ds_load_2addr_stride64_b32 v[36:37], v4 offset0:16 offset1:20
	;; [unrolled: 1-line block ×3, first 2 shown]
	s_wait_dscnt 0x0
	s_barrier_signal -1
	s_barrier_wait -1
	ds_store_b64 v0, v[16:17]
	ds_store_b64 v1, v[18:19]
	ds_store_b64 v10, v[34:35]
	v_lshl_add_u32 v0, v68, 2, v114
	v_lshl_add_u32 v1, v70, 2, v112
	;; [unrolled: 1-line block ×5, first 2 shown]
	ds_store_b64 v0, v[20:21]
	ds_store_b64 v1, v[30:31]
	;; [unrolled: 1-line block ×5, first 2 shown]
	v_lshl_add_u32 v0, v22, 3, v12
	s_wait_dscnt 0x0
	s_barrier_signal -1
	s_barrier_wait -1
	ds_load_2addr_stride64_b64 v[22:25], v0 offset1:4
	ds_load_2addr_stride64_b64 v[18:21], v0 offset0:8 offset1:12
	ds_load_2addr_stride64_b64 v[14:17], v0 offset0:16 offset1:20
	;; [unrolled: 1-line block ×3, first 2 shown]
	v_lshl_add_u64 v[0:1], v[8:9], 2, v[2:3]
	v_mov_b32_e32 v27, 0
	s_set_vgpr_msb 4                        ;  msbs: dst=0 src0=0 src1=1 src2=0
	v_cmp_lt_u32_e32 vcc_lo, v26, v10 /*v266*/
	s_wait_dscnt 0x0
	s_barrier_signal -1
	s_barrier_wait -1
	v_lshl_add_u64 v[0:1], v[26:27], 2, v[0:1]
	s_and_saveexec_b32 s1, vcc_lo
	s_set_vgpr_msb 0                        ;  msbs: dst=0 src0=0 src1=0 src2=0
	s_cbranch_execz .LBB1319_238
; %bb.237:
	v_cmp_gt_i32_e64 s0, 0, v48
	s_delay_alu instid0(VALU_DEP_1) | instskip(NEXT) | instid1(VALU_DEP_1)
	v_cndmask_b32_e64 v2, 0x7fffffff, 0, s0
	v_xor_b32_e32 v2, v2, v48
	flat_store_b32 v[0:1], v2
.LBB1319_238:
	s_wait_xcnt 0x0
	s_or_b32 exec_lo, exec_lo, s1
	v_add_nc_u32_e32 v2, 0x100, v26
	s_set_vgpr_msb 4                        ;  msbs: dst=0 src0=0 src1=1 src2=0
	s_delay_alu instid0(VALU_DEP_1)
	v_cmp_lt_u32_e64 s0, v2, v10 /*v266*/
	s_and_saveexec_b32 s2, s0
	s_set_vgpr_msb 0                        ;  msbs: dst=0 src0=0 src1=0 src2=0
	s_cbranch_execz .LBB1319_240
; %bb.239:
	v_cmp_gt_i32_e64 s1, 0, v49
	s_delay_alu instid0(VALU_DEP_1) | instskip(NEXT) | instid1(VALU_DEP_1)
	v_cndmask_b32_e64 v2, 0x7fffffff, 0, s1
	v_xor_b32_e32 v2, v2, v49
	flat_store_b32 v[0:1], v2 offset:1024
.LBB1319_240:
	s_wait_xcnt 0x0
	s_or_b32 exec_lo, exec_lo, s2
	v_add_nc_u32_e32 v2, 0x200, v26
	s_set_vgpr_msb 4                        ;  msbs: dst=0 src0=0 src1=1 src2=0
	s_delay_alu instid0(VALU_DEP_1)
	v_cmp_lt_u32_e64 s1, v2, v10 /*v266*/
	s_and_saveexec_b32 s3, s1
	s_set_vgpr_msb 0                        ;  msbs: dst=0 src0=0 src1=0 src2=0
	s_cbranch_execz .LBB1319_242
; %bb.241:
	v_cmp_gt_i32_e64 s2, 0, v38
	s_delay_alu instid0(VALU_DEP_1) | instskip(NEXT) | instid1(VALU_DEP_1)
	v_cndmask_b32_e64 v2, 0x7fffffff, 0, s2
	v_xor_b32_e32 v2, v2, v38
	flat_store_b32 v[0:1], v2 offset:2048
.LBB1319_242:
	s_wait_xcnt 0x0
	s_or_b32 exec_lo, exec_lo, s3
	v_add_nc_u32_e32 v2, 0x300, v26
	s_set_vgpr_msb 4                        ;  msbs: dst=0 src0=0 src1=1 src2=0
	s_delay_alu instid0(VALU_DEP_1)
	v_cmp_lt_u32_e64 s2, v2, v10 /*v266*/
	s_and_saveexec_b32 s4, s2
	s_set_vgpr_msb 0                        ;  msbs: dst=0 src0=0 src1=0 src2=0
	s_cbranch_execz .LBB1319_244
; %bb.243:
	v_cmp_gt_i32_e64 s3, 0, v39
	s_delay_alu instid0(VALU_DEP_1) | instskip(NEXT) | instid1(VALU_DEP_1)
	v_cndmask_b32_e64 v2, 0x7fffffff, 0, s3
	v_xor_b32_e32 v2, v2, v39
	flat_store_b32 v[0:1], v2 offset:3072
.LBB1319_244:
	s_wait_xcnt 0x0
	s_or_b32 exec_lo, exec_lo, s4
	v_add_nc_u32_e32 v2, 0x400, v26
	s_set_vgpr_msb 4                        ;  msbs: dst=0 src0=0 src1=1 src2=0
	s_delay_alu instid0(VALU_DEP_1)
	v_cmp_lt_u32_e64 s3, v2, v10 /*v266*/
	s_and_saveexec_b32 s5, s3
	s_set_vgpr_msb 0                        ;  msbs: dst=0 src0=0 src1=0 src2=0
	s_cbranch_execz .LBB1319_246
; %bb.245:
	v_cmp_gt_i32_e64 s4, 0, v36
	s_delay_alu instid0(VALU_DEP_1) | instskip(NEXT) | instid1(VALU_DEP_1)
	v_cndmask_b32_e64 v2, 0x7fffffff, 0, s4
	v_xor_b32_e32 v2, v2, v36
	flat_store_b32 v[0:1], v2 offset:4096
.LBB1319_246:
	s_wait_xcnt 0x0
	s_or_b32 exec_lo, exec_lo, s5
	v_add_nc_u32_e32 v2, 0x500, v26
	s_set_vgpr_msb 4                        ;  msbs: dst=0 src0=0 src1=1 src2=0
	s_delay_alu instid0(VALU_DEP_1)
	v_cmp_lt_u32_e64 s4, v2, v10 /*v266*/
	s_and_saveexec_b32 s6, s4
	s_set_vgpr_msb 0                        ;  msbs: dst=0 src0=0 src1=0 src2=0
	s_cbranch_execz .LBB1319_248
; %bb.247:
	v_cmp_gt_i32_e64 s5, 0, v37
	s_delay_alu instid0(VALU_DEP_1) | instskip(NEXT) | instid1(VALU_DEP_1)
	v_cndmask_b32_e64 v2, 0x7fffffff, 0, s5
	v_xor_b32_e32 v2, v2, v37
	flat_store_b32 v[0:1], v2 offset:5120
.LBB1319_248:
	s_wait_xcnt 0x0
	s_or_b32 exec_lo, exec_lo, s6
	v_add_nc_u32_e32 v2, 0x600, v26
	s_set_vgpr_msb 4                        ;  msbs: dst=0 src0=0 src1=1 src2=0
	s_delay_alu instid0(VALU_DEP_1)
	v_cmp_lt_u32_e64 s5, v2, v10 /*v266*/
	s_and_saveexec_b32 s7, s5
	s_set_vgpr_msb 0                        ;  msbs: dst=0 src0=0 src1=0 src2=0
	s_cbranch_execz .LBB1319_250
; %bb.249:
	v_cmp_gt_i32_e64 s6, 0, v4
	s_delay_alu instid0(VALU_DEP_1) | instskip(NEXT) | instid1(VALU_DEP_1)
	v_cndmask_b32_e64 v2, 0x7fffffff, 0, s6
	v_xor_b32_e32 v2, v2, v4
	flat_store_b32 v[0:1], v2 offset:6144
.LBB1319_250:
	s_wait_xcnt 0x0
	s_or_b32 exec_lo, exec_lo, s7
	v_add_nc_u32_e32 v2, 0x700, v26
	s_set_vgpr_msb 4                        ;  msbs: dst=0 src0=0 src1=1 src2=0
	s_delay_alu instid0(VALU_DEP_1)
	v_cmp_lt_u32_e64 s6, v2, v10 /*v266*/
	s_and_saveexec_b32 s10, s6
	s_set_vgpr_msb 0                        ;  msbs: dst=0 src0=0 src1=0 src2=0
	s_cbranch_execz .LBB1319_252
; %bb.251:
	v_cmp_gt_i32_e64 s7, 0, v5
	s_delay_alu instid0(VALU_DEP_1) | instskip(NEXT) | instid1(VALU_DEP_1)
	v_cndmask_b32_e64 v2, 0x7fffffff, 0, s7
	v_xor_b32_e32 v2, v2, v5
	flat_store_b32 v[0:1], v2 offset:7168
.LBB1319_252:
	s_wait_xcnt 0x0
	s_or_b32 exec_lo, exec_lo, s10
	v_lshl_add_u64 v[0:1], v[8:9], 3, v[6:7]
	s_delay_alu instid0(VALU_DEP_1)
	v_lshl_add_u64 v[0:1], v[26:27], 3, v[0:1]
	s_and_saveexec_b32 s7, vcc_lo
	s_cbranch_execnz .LBB1319_302
; %bb.253:
	s_or_b32 exec_lo, exec_lo, s7
	s_and_saveexec_b32 s7, s0
	s_cbranch_execnz .LBB1319_303
.LBB1319_254:
	s_or_b32 exec_lo, exec_lo, s7
	s_and_saveexec_b32 s0, s1
	s_cbranch_execnz .LBB1319_304
.LBB1319_255:
	s_or_b32 exec_lo, exec_lo, s0
	s_and_saveexec_b32 s0, s2
	s_cbranch_execnz .LBB1319_305
.LBB1319_256:
	s_or_b32 exec_lo, exec_lo, s0
	s_and_saveexec_b32 s0, s3
	s_cbranch_execnz .LBB1319_306
.LBB1319_257:
	s_or_b32 exec_lo, exec_lo, s0
	s_and_saveexec_b32 s0, s4
	s_cbranch_execnz .LBB1319_307
.LBB1319_258:
	s_or_b32 exec_lo, exec_lo, s0
	s_and_saveexec_b32 s0, s5
	s_cbranch_execnz .LBB1319_308
.LBB1319_259:
	s_or_b32 exec_lo, exec_lo, s0
	s_and_saveexec_b32 s0, s6
	s_cbranch_execz .LBB1319_261
.LBB1319_260:
	flat_store_b64 v[0:1], v[12:13] offset:14336
.LBB1319_261:
	s_wait_xcnt 0x0
	s_or_b32 exec_lo, exec_lo, s0
                                        ; implicit-def: $vgpr266
                                        ; implicit-def: $vgpr8
                                        ; implicit-def: $vgpr10
                                        ; implicit-def: $vgpr11
                                        ; implicit-def: $vgpr0_vgpr1
                                        ; implicit-def: $vgpr2_vgpr3
                                        ; implicit-def: $vgpr4_vgpr5
                                        ; implicit-def: $vgpr6_vgpr7
                                        ; implicit-def: $vgpr12_vgpr13
                                        ; implicit-def: $vgpr9
                                        ; implicit-def: $vgpr14
                                        ; implicit-def: $vgpr22
                                        ; implicit-def: $vgpr68
.LBB1319_262:
	s_and_not1_saveexec_b32 s0, s20
	s_cbranch_execz .LBB1319_382
; %bb.263:
	s_mov_b32 s0, exec_lo
	s_set_vgpr_msb 4                        ;  msbs: dst=0 src0=0 src1=1 src2=0
	v_cmpx_lt_u32_e32 0x200, v10 /*v266*/
	s_xor_b32 s23, exec_lo, s0
	s_set_vgpr_msb 0                        ;  msbs: dst=0 src0=0 src1=0 src2=0
	s_cbranch_execz .LBB1319_323
; %bb.264:
	s_load_b64 s[0:1], s[8:9], 0x0
	s_bfe_u32 s3, ttmp6, 0x4000c
	s_bfe_u32 s5, ttmp6, 0x40010
	s_and_b32 s4, ttmp7, 0xffff
	s_add_co_i32 s3, s3, 1
	s_add_co_i32 s5, s5, 1
	s_and_b32 s2, ttmp6, 15
	s_bfe_u32 s6, ttmp6, 0x40004
	s_mul_i32 s3, ttmp9, s3
	s_mul_i32 s5, s4, s5
	s_add_co_i32 s2, s2, s3
	s_add_co_i32 s6, s6, s5
	s_cmp_eq_u32 s22, 0
	s_mov_b32 s3, 0
	s_cselect_b32 s2, ttmp9, s2
	s_cselect_b32 s4, s4, s6
	v_lshlrev_b32_e32 v16, 2, v68
	s_wait_kmcnt 0x0
	s_cmp_lt_u32 s2, s0
	s_cselect_b32 s2, 12, 18
	s_cmp_lt_u32 s4, s1
	s_mov_b32 s1, s3
	s_cselect_b32 s0, 14, 20
	s_delay_alu instid0(SALU_CYCLE_1)
	s_add_nc_u64 s[0:1], s[8:9], s[0:1]
	s_load_u16 s4, s[0:1], 0x0
	s_wait_xcnt 0x0
	s_add_nc_u64 s[0:1], s[8:9], s[2:3]
	s_load_u16 s0, s[0:1], 0x0
	s_wait_kmcnt 0x0
	v_mad_u32_u24 v9, v14, s4, v9
	s_delay_alu instid0(VALU_DEP_1) | instskip(SKIP_1) | instid1(VALU_DEP_1)
	v_mad_u32 v18, v9, s0, v22
	v_mov_b32_e32 v9, 0
	v_lshl_add_u64 v[20:21], v[8:9], 2, v[0:1]
	v_dual_mov_b32 v17, v9 :: v_dual_mov_b32 v1, v9
	s_delay_alu instid0(VALU_DEP_4) | instskip(NEXT) | instid1(VALU_DEP_2)
	v_lshlrev_b32_e32 v14, 2, v18
	v_add_nc_u64_e32 v[20:21], v[20:21], v[16:17]
	s_delay_alu instid0(VALU_DEP_2) | instskip(NEXT) | instid1(VALU_DEP_1)
	v_and_b32_e32 v0, 0xffffff80, v14
	v_dual_mov_b32 v14, -1 :: v_dual_bitop2_b32 v19, v0, v68 bitop3:0x54
	s_delay_alu instid0(VALU_DEP_1)
	v_dual_mov_b32 v15, v14 :: v_dual_mov_b32 v16, v14
	v_mov_b32_e32 v17, v14
	v_lshl_add_u64 v[20:21], v[0:1], 2, v[20:21]
	s_set_vgpr_msb 4                        ;  msbs: dst=0 src0=0 src1=1 src2=0
	v_cmp_lt_u32_e32 vcc_lo, v19, v10 /*v266*/
	s_and_saveexec_b32 s0, vcc_lo
	s_set_vgpr_msb 0                        ;  msbs: dst=0 src0=0 src1=0 src2=0
	s_cbranch_execz .LBB1319_266
; %bb.265:
	flat_load_b32 v24, v[20:21]
	v_dual_mov_b32 v25, v14 :: v_dual_mov_b32 v26, v14
	v_mov_b32_e32 v27, v14
	s_wait_loadcnt_dscnt 0x0
	s_delay_alu instid0(VALU_DEP_2) | instskip(NEXT) | instid1(VALU_DEP_2)
	v_mov_b64_e32 v[14:15], v[24:25]
	v_mov_b64_e32 v[16:17], v[26:27]
.LBB1319_266:
	s_wait_xcnt 0x0
	s_or_b32 exec_lo, exec_lo, s0
	v_or_b32_e32 v23, 32, v19
	s_set_vgpr_msb 4                        ;  msbs: dst=0 src0=0 src1=1 src2=0
	s_delay_alu instid0(VALU_DEP_1)
	v_cmp_lt_u32_e64 s0, v23, v10 /*v266*/
	s_and_saveexec_b32 s1, s0
	s_set_vgpr_msb 0                        ;  msbs: dst=0 src0=0 src1=0 src2=0
	s_cbranch_execz .LBB1319_268
; %bb.267:
	flat_load_b32 v15, v[20:21] offset:128
.LBB1319_268:
	s_wait_xcnt 0x0
	s_or_b32 exec_lo, exec_lo, s1
	v_or_b32_e32 v23, 64, v19
	s_set_vgpr_msb 4                        ;  msbs: dst=0 src0=0 src1=1 src2=0
	s_delay_alu instid0(VALU_DEP_1)
	v_cmp_lt_u32_e64 s1, v23, v10 /*v266*/
	s_and_saveexec_b32 s2, s1
	s_set_vgpr_msb 0                        ;  msbs: dst=0 src0=0 src1=0 src2=0
	s_cbranch_execz .LBB1319_270
; %bb.269:
	flat_load_b32 v16, v[20:21] offset:256
.LBB1319_270:
	;; [unrolled: 12-line block ×3, first 2 shown]
	s_wait_xcnt 0x0
	s_or_b32 exec_lo, exec_lo, s3
	v_lshl_add_u64 v[4:5], v[8:9], 3, v[4:5]
	v_dual_mov_b32 v21, 0 :: v_dual_lshlrev_b32 v20, 3, v68
                                        ; implicit-def: $vgpr28_vgpr29
	s_delay_alu instid0(VALU_DEP_1) | instskip(NEXT) | instid1(VALU_DEP_1)
	v_add_nc_u64_e32 v[4:5], v[4:5], v[20:21]
	v_lshl_add_u64 v[0:1], v[0:1], 3, v[4:5]
	s_and_saveexec_b32 s3, vcc_lo
	s_cbranch_execnz .LBB1319_347
; %bb.273:
	s_or_b32 exec_lo, exec_lo, s3
                                        ; implicit-def: $vgpr30_vgpr31
	s_and_saveexec_b32 s3, s0
	s_cbranch_execnz .LBB1319_348
.LBB1319_274:
	s_or_b32 exec_lo, exec_lo, s3
                                        ; implicit-def: $vgpr32_vgpr33
	s_and_saveexec_b32 s0, s1
	s_cbranch_execnz .LBB1319_349
.LBB1319_275:
	s_or_b32 exec_lo, exec_lo, s0
                                        ; implicit-def: $vgpr34_vgpr35
	s_and_saveexec_b32 s0, s2
	s_cbranch_execz .LBB1319_277
.LBB1319_276:
	flat_load_b64 v[34:35], v[0:1] offset:768
.LBB1319_277:
	s_wait_xcnt 0x0
	s_or_b32 exec_lo, exec_lo, s0
	v_cmp_gt_i32_e32 vcc_lo, 0, v14
	v_lshl_add_u32 v5, v22, 5, v12
	s_get_pc_i64 s[0:1]
	s_add_nc_u64 s[0:1], s[0:1], _ZN7rocprim17ROCPRIM_400000_NS16block_radix_sortIfLj256ELj4ElLj1ELj1ELj8ELNS0_26block_radix_rank_algorithmE2ELNS0_18block_padding_hintE2ELNS0_4arch9wavefront6targetE0EE19radix_bits_per_passE@rel64+4
	v_cmp_lt_u32_e64 s7, 31, v22
	s_load_b32 s24, s[0:1], 0x0
	v_cndmask_b32_e64 v0, 0x7fffffff, 0, vcc_lo
	s_wait_loadcnt_dscnt 0x0
	v_cmp_gt_i32_e32 vcc_lo, 0, v15
	v_dual_add_nc_u32 v67, 44, v5 :: v_dual_add_nc_u32 v69, 48, v5
	s_delay_alu instid0(VALU_DEP_3) | instskip(SKIP_4) | instid1(VALU_DEP_3)
	v_dual_add_nc_u32 v70, 52, v5 :: v_dual_bitop2_b32 v51, v0, v14 bitop3:0x14
	v_add_nc_u32_e32 v19, 32, v5
	v_cndmask_b32_e64 v1, 0x7fffffff, 0, vcc_lo
	v_cmp_gt_i32_e32 vcc_lo, 0, v16
	v_sub_co_u32 v14, s2, v68, 1
	v_dual_add_nc_u32 v23, 36, v5 :: v_dual_bitop2_b32 v37, v1, v15 bitop3:0x14
	v_cndmask_b32_e64 v0, 0x7fffffff, 0, vcc_lo
	v_cmp_gt_i32_e32 vcc_lo, 0, v17
	v_dual_add_nc_u32 v66, 40, v5 :: v_dual_add_nc_u32 v71, 56, v5
	s_delay_alu instid0(VALU_DEP_3)
	v_dual_add_nc_u32 v80, 60, v5 :: v_dual_bitop2_b32 v39, v0, v16 bitop3:0x14
	v_and_b32_e32 v0, 0x3e0, v22
	v_cndmask_b32_e64 v4, 0x7fffffff, 0, vcc_lo
	v_and_b32_e32 v1, 15, v68
	v_cmp_gt_i32_e64 s6, 0, v14
	v_lshrrev_b32_e32 v81, 5, v18
	v_min_u32_e32 v0, 0xe0, v0
	v_xor_b32_e32 v49, v4, v17
	v_and_b32_e32 v4, 16, v68
	v_cmp_eq_u32_e32 vcc_lo, 0, v1
	s_wait_xcnt 0x0
	v_cmp_lt_u32_e64 s0, 1, v1
	v_dual_lshlrev_b32 v0, 2, v22 :: v_dual_bitop2_b32 v5, 31, v0 bitop3:0x54
	v_cmp_eq_u32_e64 s4, 0, v4
	v_lshrrev_b32_e32 v4, 3, v22
	v_cmp_lt_u32_e64 s1, 3, v1
	s_delay_alu instid0(VALU_DEP_4)
	v_cmp_eq_u32_e64 s5, v22, v5
	v_and_or_b32 v5, 0xf80, v0, v68
	v_cmp_lt_u32_e64 s3, 7, v1
	v_cndmask_b32_e64 v1, v14, v68, s6
	v_and_b32_e32 v4, 0x7c, v4
	v_cmp_gt_u32_e64 s6, 8, v22
	v_dual_lshlrev_b32 v14, 2, v5 :: v_dual_bitop2_b32 v15, 7, v68 bitop3:0x40
	s_delay_alu instid0(VALU_DEP_4) | instskip(SKIP_1) | instid1(VALU_DEP_3)
	v_dual_mov_b32 v1, 0 :: v_dual_lshlrev_b32 v82, 2, v1
	v_cmp_eq_u32_e64 s10, 0, v22
	v_dual_add_nc_u32 v83, v12, v14 :: v_dual_add_nc_u32 v68, v12, v4
	s_delay_alu instid0(VALU_DEP_4) | instskip(NEXT) | instid1(VALU_DEP_4)
	v_cmp_eq_u32_e64 s11, 0, v15
	v_add_nc_u64_e32 v[4:5], v[12:13], v[0:1]
	v_cmp_lt_u32_e64 s12, 1, v15
	s_delay_alu instid0(VALU_DEP_4)
	v_add_nc_u32_e32 v5, v83, v14
	v_cmp_lt_u32_e64 s13, 3, v15
	v_mov_b64_e32 v[14:15], 0
	v_dual_add_nc_u32 v84, -4, v68 :: v_dual_sub_nc_u32 v99, v11, v10
	v_add_nc_u32_e32 v85, 0x80, v83
	v_add_nc_u32_e32 v86, 0x100, v83
	v_add_nc_u32_e32 v87, 0x180, v83
	v_add_nc_u32_e32 v96, 0x100, v5
	v_add_nc_u32_e32 v97, 0x200, v5
	v_add_nc_u32_e32 v98, 0x300, v5
	s_mov_b32 s25, 0
	s_wait_storecnt 0x0
	s_barrier_signal -1
	s_barrier_wait -1
	s_branch .LBB1319_279
.LBB1319_278:                           ;   in Loop: Header=BB1319_279 Depth=1
	s_or_b32 exec_lo, exec_lo, s15
	s_delay_alu instid0(SALU_CYCLE_1) | instskip(NEXT) | instid1(SALU_CYCLE_1)
	s_and_b32 s14, exec_lo, s16
	s_or_b32 s25, s14, s25
	s_delay_alu instid0(SALU_CYCLE_1)
	s_and_not1_b32 exec_lo, exec_lo, s25
	s_cbranch_execz .LBB1319_309
.LBB1319_279:                           ; =>This Inner Loop Header: Depth=1
	v_mov_b32_e32 v100, v51
	s_wait_kmcnt 0x0
	v_min_u32_e32 v0, s24, v99
	ds_store_b64 v19, v[14:15]
	ds_store_b64 v66, v[14:15]
	;; [unrolled: 1-line block ×4, first 2 shown]
	s_wait_dscnt 0x0
	v_cmp_ne_u32_e64 s14, 0x80000000, v100
	v_lshlrev_b32_e64 v36, v0, -1
	s_barrier_signal -1
	s_barrier_wait -1
	s_delay_alu instid0(VALU_DEP_2) | instskip(NEXT) | instid1(VALU_DEP_1)
	v_cndmask_b32_e64 v16, 0x7fffffff, v100, s14
	; wave barrier
	v_dual_mov_b32 v102, v39 :: v_dual_lshrrev_b32 v0, v10, v16
	s_delay_alu instid0(VALU_DEP_1) | instskip(SKIP_2) | instid1(VALU_DEP_3)
	v_bitop3_b32 v16, v0, 1, v36 bitop3:0x40
	v_bitop3_b32 v0, v0, v36, v0 bitop3:0x30
	v_mov_b32_e32 v101, v49
	v_add_co_u32 v16, s14, v16, -1
	s_delay_alu instid0(VALU_DEP_1) | instskip(NEXT) | instid1(VALU_DEP_4)
	v_cndmask_b32_e64 v17, 0, 1, s14
	v_dual_lshlrev_b32 v20, 30, v0 :: v_dual_lshlrev_b32 v21, 29, v0
	v_dual_lshlrev_b32 v24, 28, v0 :: v_dual_lshlrev_b32 v25, 27, v0
	v_lshlrev_b32_e32 v26, 26, v0
	s_delay_alu instid0(VALU_DEP_4) | instskip(NEXT) | instid1(VALU_DEP_4)
	v_cmp_ne_u32_e64 s14, 0, v17
	v_not_b32_e32 v17, v20
	v_cmp_gt_i32_e64 s15, 0, v20
	v_cmp_gt_i32_e64 s16, 0, v21
	v_not_b32_e32 v20, v21
	v_not_b32_e32 v21, v24
	v_dual_ashrrev_i32 v17, 31, v17 :: v_dual_bitop2_b32 v16, s14, v16 bitop3:0x14
	v_dual_lshlrev_b32 v27, 25, v0 :: v_dual_lshlrev_b32 v38, 24, v0
	v_cmp_gt_i32_e64 s17, 0, v24
	v_cmp_gt_i32_e64 s18, 0, v25
	v_not_b32_e32 v24, v25
	v_not_b32_e32 v25, v26
	v_dual_ashrrev_i32 v20, 31, v20 :: v_dual_ashrrev_i32 v21, 31, v21
	s_delay_alu instid0(VALU_DEP_3) | instskip(SKIP_1) | instid1(VALU_DEP_3)
	v_dual_ashrrev_i32 v24, 31, v24 :: v_dual_bitop2_b32 v17, s15, v17 bitop3:0x14
	v_cmp_gt_i32_e64 s19, 0, v26
	v_dual_ashrrev_i32 v25, 31, v25 :: v_dual_bitop2_b32 v20, s16, v20 bitop3:0x14
	s_delay_alu instid0(VALU_DEP_3) | instskip(SKIP_4) | instid1(VALU_DEP_4)
	v_bitop3_b32 v16, v16, v17, exec_lo bitop3:0x80
	v_not_b32_e32 v17, v27
	v_not_b32_e32 v26, v38
	v_xor_b32_e32 v21, s17, v21
	v_cmp_gt_i32_e64 s20, 0, v27
	v_dual_ashrrev_i32 v17, 31, v17 :: v_dual_bitop2_b32 v24, s18, v24 bitop3:0x14
	v_xor_b32_e32 v25, s19, v25
	s_delay_alu instid0(VALU_DEP_4) | instskip(SKIP_3) | instid1(VALU_DEP_4)
	v_bitop3_b32 v16, v16, v21, v20 bitop3:0x80
	v_cmp_gt_i32_e64 s14, 0, v38
	v_dual_mov_b32 v103, v37 :: v_dual_ashrrev_i32 v20, 31, v26
	v_xor_b32_e32 v27, s20, v17
	v_bitop3_b32 v26, v16, v25, v24 bitop3:0x80
	v_lshl_add_u32 v0, v0, 3, v81
	s_delay_alu instid0(VALU_DEP_4)
	v_xor_b32_e32 v37, s14, v20
	v_mov_b64_e32 v[20:21], v[30:31]
	v_mov_b64_e32 v[24:25], v[28:29]
	;; [unrolled: 1-line block ×3, first 2 shown]
	v_lshl_add_u64 v[28:29], v[0:1], 2, v[12:13]
	v_bitop3_b32 v30, v26, v37, v27 bitop3:0x80
	v_mov_b64_e32 v[26:27], v[34:35]
	s_delay_alu instid0(VALU_DEP_3) | instskip(NEXT) | instid1(VALU_DEP_3)
	v_add_nc_u64_e32 v[28:29], 32, v[28:29]
	v_mbcnt_lo_u32_b32 v0, v30, 0
	v_cmp_ne_u32_e64 s15, 0, v30
	s_delay_alu instid0(VALU_DEP_2) | instskip(SKIP_1) | instid1(SALU_CYCLE_1)
	v_cmp_eq_u32_e64 s14, 0, v0
	s_and_b32 s15, s15, s14
	s_and_saveexec_b32 s14, s15
; %bb.280:                              ;   in Loop: Header=BB1319_279 Depth=1
	v_bcnt_u32_b32 v29, v30, 0
	ds_store_b32 v28, v29
; %bb.281:                              ;   in Loop: Header=BB1319_279 Depth=1
	s_or_b32 exec_lo, exec_lo, s14
	v_cmp_ne_u32_e64 s14, 0x80000000, v103
	v_not_b32_e32 v35, v36
	; wave barrier
	s_delay_alu instid0(VALU_DEP_2) | instskip(NEXT) | instid1(VALU_DEP_1)
	v_cndmask_b32_e64 v29, 0x7fffffff, v103, s14
	v_lshrrev_b32_e32 v29, v10, v29
	s_delay_alu instid0(VALU_DEP_1) | instskip(NEXT) | instid1(VALU_DEP_1)
	v_and_b32_e32 v30, v29, v35
	v_lshlrev_b32_e32 v33, 30, v30
	v_bitop3_b32 v29, v29, 1, v35 bitop3:0x80
	s_delay_alu instid0(VALU_DEP_2) | instskip(NEXT) | instid1(VALU_DEP_2)
	v_cmp_gt_i32_e64 s15, 0, v33
	v_add_co_u32 v29, s14, v29, -1
	s_delay_alu instid0(VALU_DEP_1) | instskip(NEXT) | instid1(VALU_DEP_1)
	v_cndmask_b32_e64 v32, 0, 1, s14
	v_cmp_ne_u32_e64 s14, 0, v32
	v_not_b32_e32 v32, v33
	s_delay_alu instid0(VALU_DEP_1) | instskip(SKIP_3) | instid1(VALU_DEP_4)
	v_dual_ashrrev_i32 v32, 31, v32 :: v_dual_lshlrev_b32 v34, 29, v30
	v_dual_lshlrev_b32 v36, 28, v30 :: v_dual_lshlrev_b32 v37, 27, v30
	v_lshlrev_b32_e32 v38, 26, v30
	v_lshl_add_u32 v31, v30, 3, v81
	v_cmp_gt_i32_e64 s16, 0, v34
	v_not_b32_e32 v33, v34
	v_not_b32_e32 v34, v36
	v_cmp_gt_i32_e64 s17, 0, v36
	v_not_b32_e32 v36, v37
	v_xor_b32_e32 v29, s14, v29
	v_dual_ashrrev_i32 v33, 31, v33 :: v_dual_bitop2_b32 v32, s15, v32 bitop3:0x14
	v_ashrrev_i32_e32 v34, 31, v34
	v_dual_lshlrev_b32 v39, 25, v30 :: v_dual_lshlrev_b32 v30, 24, v30
	v_cmp_gt_i32_e64 s18, 0, v37
	v_not_b32_e32 v37, v38
	v_dual_ashrrev_i32 v36, 31, v36 :: v_dual_bitop2_b32 v33, s16, v33 bitop3:0x14
	v_xor_b32_e32 v34, s17, v34
	v_bitop3_b32 v29, v29, v32, exec_lo bitop3:0x80
	v_cmp_gt_i32_e64 s14, 0, v38
	v_ashrrev_i32_e32 v32, 31, v37
	v_not_b32_e32 v37, v39
	v_xor_b32_e32 v36, s18, v36
	v_bitop3_b32 v29, v29, v34, v33 bitop3:0x80
	v_not_b32_e32 v33, v30
	v_xor_b32_e32 v32, s14, v32
	v_cmp_gt_i32_e64 s14, 0, v39
	v_ashrrev_i32_e32 v34, 31, v37
	v_cmp_gt_i32_e64 s15, 0, v30
	v_ashrrev_i32_e32 v30, 31, v33
	v_lshl_add_u32 v31, v31, 2, v12
	v_bitop3_b32 v32, v29, v32, v36 bitop3:0x80
	v_xor_b32_e32 v33, s14, v34
	s_delay_alu instid0(VALU_DEP_4) | instskip(SKIP_3) | instid1(VALU_DEP_1)
	v_xor_b32_e32 v30, s15, v30
	ds_load_b32 v29, v31 offset:32
	v_add_nc_u32_e32 v31, 32, v31
	; wave barrier
	v_bitop3_b32 v32, v32, v30, v33 bitop3:0x80
	v_mbcnt_lo_u32_b32 v30, v32, 0
	v_cmp_ne_u32_e64 s15, 0, v32
	s_delay_alu instid0(VALU_DEP_2) | instskip(SKIP_1) | instid1(SALU_CYCLE_1)
	v_cmp_eq_u32_e64 s14, 0, v30
	s_and_b32 s15, s15, s14
	s_and_saveexec_b32 s14, s15
	s_cbranch_execz .LBB1319_283
; %bb.282:                              ;   in Loop: Header=BB1319_279 Depth=1
	s_wait_dscnt 0x0
	v_bcnt_u32_b32 v32, v32, v29
	ds_store_b32 v31, v32
.LBB1319_283:                           ;   in Loop: Header=BB1319_279 Depth=1
	s_or_b32 exec_lo, exec_lo, s14
	v_cmp_ne_u32_e64 s14, 0x80000000, v102
	; wave barrier
	s_delay_alu instid0(VALU_DEP_1) | instskip(NEXT) | instid1(VALU_DEP_1)
	v_cndmask_b32_e64 v32, 0x7fffffff, v102, s14
	v_lshrrev_b32_e32 v32, v10, v32
	s_delay_alu instid0(VALU_DEP_1) | instskip(NEXT) | instid1(VALU_DEP_1)
	v_and_b32_e32 v33, v32, v35
	v_lshlrev_b32_e32 v37, 30, v33
	v_bitop3_b32 v32, v32, 1, v35 bitop3:0x80
	s_delay_alu instid0(VALU_DEP_2) | instskip(NEXT) | instid1(VALU_DEP_2)
	v_cmp_gt_i32_e64 s15, 0, v37
	v_add_co_u32 v32, s14, v32, -1
	s_delay_alu instid0(VALU_DEP_1) | instskip(NEXT) | instid1(VALU_DEP_1)
	v_cndmask_b32_e64 v36, 0, 1, s14
	v_cmp_ne_u32_e64 s14, 0, v36
	v_not_b32_e32 v36, v37
	s_delay_alu instid0(VALU_DEP_1) | instskip(SKIP_3) | instid1(VALU_DEP_4)
	v_dual_ashrrev_i32 v36, 31, v36 :: v_dual_lshlrev_b32 v38, 29, v33
	v_dual_lshlrev_b32 v39, 28, v33 :: v_dual_lshlrev_b32 v48, 27, v33
	v_lshlrev_b32_e32 v49, 26, v33
	v_lshl_add_u32 v34, v33, 3, v81
	v_cmp_gt_i32_e64 s16, 0, v38
	v_not_b32_e32 v37, v38
	v_not_b32_e32 v38, v39
	v_dual_lshlrev_b32 v50, 25, v33 :: v_dual_lshlrev_b32 v33, 24, v33
	v_cmp_gt_i32_e64 s17, 0, v39
	v_cmp_gt_i32_e64 s18, 0, v48
	v_not_b32_e32 v39, v48
	v_dual_ashrrev_i32 v37, 31, v37 :: v_dual_bitop2_b32 v32, s14, v32 bitop3:0x14
	v_dual_ashrrev_i32 v38, 31, v38 :: v_dual_bitop2_b32 v36, s15, v36 bitop3:0x14
	v_not_b32_e32 v48, v49
	v_cmp_gt_i32_e64 s19, 0, v49
	s_delay_alu instid0(VALU_DEP_4) | instskip(NEXT) | instid1(VALU_DEP_4)
	v_dual_ashrrev_i32 v39, 31, v39 :: v_dual_bitop2_b32 v37, s16, v37 bitop3:0x14
	v_xor_b32_e32 v38, s17, v38
	v_bitop3_b32 v32, v32, v36, exec_lo bitop3:0x80
	v_ashrrev_i32_e32 v36, 31, v48
	v_not_b32_e32 v48, v50
	v_not_b32_e32 v49, v33
	v_xor_b32_e32 v39, s18, v39
	v_bitop3_b32 v32, v32, v38, v37 bitop3:0x80
	v_xor_b32_e32 v36, s19, v36
	v_cmp_gt_i32_e64 s14, 0, v50
	v_ashrrev_i32_e32 v37, 31, v48
	v_cmp_gt_i32_e64 s15, 0, v33
	v_ashrrev_i32_e32 v33, 31, v49
	v_lshl_add_u32 v34, v34, 2, v12
	v_bitop3_b32 v36, v32, v36, v39 bitop3:0x80
	v_xor_b32_e32 v37, s14, v37
	s_delay_alu instid0(VALU_DEP_4) | instskip(SKIP_3) | instid1(VALU_DEP_1)
	v_xor_b32_e32 v33, s15, v33
	ds_load_b32 v32, v34 offset:32
	v_add_nc_u32_e32 v34, 32, v34
	; wave barrier
	v_bitop3_b32 v36, v36, v33, v37 bitop3:0x80
	v_mbcnt_lo_u32_b32 v33, v36, 0
	v_cmp_ne_u32_e64 s15, 0, v36
	s_delay_alu instid0(VALU_DEP_2) | instskip(SKIP_1) | instid1(SALU_CYCLE_1)
	v_cmp_eq_u32_e64 s14, 0, v33
	s_and_b32 s15, s15, s14
	s_and_saveexec_b32 s14, s15
	s_cbranch_execz .LBB1319_285
; %bb.284:                              ;   in Loop: Header=BB1319_279 Depth=1
	s_wait_dscnt 0x0
	v_bcnt_u32_b32 v36, v36, v32
	ds_store_b32 v34, v36
.LBB1319_285:                           ;   in Loop: Header=BB1319_279 Depth=1
	s_or_b32 exec_lo, exec_lo, s14
	v_cmp_ne_u32_e64 s14, 0x80000000, v101
	; wave barrier
	s_delay_alu instid0(VALU_DEP_1) | instskip(NEXT) | instid1(VALU_DEP_1)
	v_cndmask_b32_e64 v36, 0x7fffffff, v101, s14
	v_lshrrev_b32_e32 v36, v10, v36
	s_delay_alu instid0(VALU_DEP_1) | instskip(NEXT) | instid1(VALU_DEP_1)
	v_and_b32_e32 v37, v36, v35
	v_lshlrev_b32_e32 v39, 30, v37
	v_bitop3_b32 v35, v36, 1, v35 bitop3:0x80
	s_delay_alu instid0(VALU_DEP_2) | instskip(NEXT) | instid1(VALU_DEP_2)
	v_cmp_gt_i32_e64 s15, 0, v39
	v_add_co_u32 v35, s14, v35, -1
	s_delay_alu instid0(VALU_DEP_1) | instskip(NEXT) | instid1(VALU_DEP_1)
	v_cndmask_b32_e64 v38, 0, 1, s14
	v_cmp_ne_u32_e64 s14, 0, v38
	v_not_b32_e32 v38, v39
	s_delay_alu instid0(VALU_DEP_1) | instskip(SKIP_3) | instid1(VALU_DEP_4)
	v_dual_ashrrev_i32 v38, 31, v38 :: v_dual_lshlrev_b32 v48, 29, v37
	v_dual_lshlrev_b32 v49, 28, v37 :: v_dual_lshlrev_b32 v50, 27, v37
	v_lshlrev_b32_e32 v51, 26, v37
	v_lshl_add_u32 v36, v37, 3, v81
	v_cmp_gt_i32_e64 s16, 0, v48
	v_not_b32_e32 v39, v48
	v_not_b32_e32 v48, v49
	v_dual_lshlrev_b32 v52, 25, v37 :: v_dual_lshlrev_b32 v37, 24, v37
	v_cmp_gt_i32_e64 s17, 0, v49
	v_cmp_gt_i32_e64 s18, 0, v50
	v_not_b32_e32 v49, v50
	v_dual_ashrrev_i32 v48, 31, v48 :: v_dual_bitop2_b32 v35, s14, v35 bitop3:0x14
	v_dual_ashrrev_i32 v39, 31, v39 :: v_dual_bitop2_b32 v38, s15, v38 bitop3:0x14
	v_not_b32_e32 v50, v51
	v_cmp_gt_i32_e64 s19, 0, v51
	s_delay_alu instid0(VALU_DEP_3)
	v_dual_ashrrev_i32 v49, 31, v49 :: v_dual_bitop2_b32 v39, s16, v39 bitop3:0x14
	v_xor_b32_e32 v48, s17, v48
	v_bitop3_b32 v35, v35, v38, exec_lo bitop3:0x80
	v_ashrrev_i32_e32 v38, 31, v50
	v_not_b32_e32 v50, v52
	v_not_b32_e32 v51, v37
	v_xor_b32_e32 v49, s18, v49
	v_bitop3_b32 v35, v35, v48, v39 bitop3:0x80
	v_xor_b32_e32 v38, s19, v38
	v_cmp_gt_i32_e64 s14, 0, v52
	v_ashrrev_i32_e32 v39, 31, v50
	v_cmp_gt_i32_e64 s15, 0, v37
	v_ashrrev_i32_e32 v37, 31, v51
	v_lshl_add_u32 v36, v36, 2, v12
	v_bitop3_b32 v38, v35, v38, v49 bitop3:0x80
	v_xor_b32_e32 v39, s14, v39
	s_delay_alu instid0(VALU_DEP_4) | instskip(SKIP_3) | instid1(VALU_DEP_1)
	v_xor_b32_e32 v37, s15, v37
	ds_load_b32 v35, v36 offset:32
	v_add_nc_u32_e32 v36, 32, v36
	; wave barrier
	v_bitop3_b32 v37, v38, v37, v39 bitop3:0x80
	v_mbcnt_lo_u32_b32 v48, v37, 0
	v_cmp_ne_u32_e64 s15, 0, v37
	s_delay_alu instid0(VALU_DEP_2) | instskip(SKIP_1) | instid1(SALU_CYCLE_1)
	v_cmp_eq_u32_e64 s14, 0, v48
	s_and_b32 s15, s15, s14
	s_and_saveexec_b32 s14, s15
	s_cbranch_execz .LBB1319_287
; %bb.286:                              ;   in Loop: Header=BB1319_279 Depth=1
	s_wait_dscnt 0x0
	v_bcnt_u32_b32 v37, v37, v35
	ds_store_b32 v36, v37
.LBB1319_287:                           ;   in Loop: Header=BB1319_279 Depth=1
	s_or_b32 exec_lo, exec_lo, s14
	; wave barrier
	s_wait_dscnt 0x0
	s_barrier_signal -1
	s_barrier_wait -1
	ds_load_b32 v38, v19
	ds_load_b32 v39, v23
	;; [unrolled: 1-line block ×8, first 2 shown]
	s_wait_dscnt 0x6
	v_add_nc_u32_e32 v54, v39, v38
	s_wait_dscnt 0x4
	s_delay_alu instid0(VALU_DEP_1) | instskip(SKIP_1) | instid1(VALU_DEP_1)
	v_add3_u32 v54, v54, v49, v50
	s_wait_dscnt 0x2
	v_add3_u32 v54, v54, v51, v52
	s_wait_dscnt 0x0
	s_delay_alu instid0(VALU_DEP_1) | instskip(NEXT) | instid1(VALU_DEP_1)
	v_add3_u32 v53, v54, v37, v53
	v_mov_b32_dpp v54, v53 row_shr:1 row_mask:0xf bank_mask:0xf
	s_delay_alu instid0(VALU_DEP_1) | instskip(NEXT) | instid1(VALU_DEP_1)
	v_cndmask_b32_e64 v54, v54, 0, vcc_lo
	v_add_nc_u32_e32 v53, v54, v53
	s_delay_alu instid0(VALU_DEP_1) | instskip(NEXT) | instid1(VALU_DEP_1)
	v_mov_b32_dpp v54, v53 row_shr:2 row_mask:0xf bank_mask:0xf
	v_cndmask_b32_e64 v54, 0, v54, s0
	s_delay_alu instid0(VALU_DEP_1) | instskip(NEXT) | instid1(VALU_DEP_1)
	v_add_nc_u32_e32 v53, v53, v54
	v_mov_b32_dpp v54, v53 row_shr:4 row_mask:0xf bank_mask:0xf
	s_delay_alu instid0(VALU_DEP_1) | instskip(NEXT) | instid1(VALU_DEP_1)
	v_cndmask_b32_e64 v54, 0, v54, s1
	v_add_nc_u32_e32 v53, v53, v54
	s_delay_alu instid0(VALU_DEP_1) | instskip(NEXT) | instid1(VALU_DEP_1)
	v_mov_b32_dpp v54, v53 row_shr:8 row_mask:0xf bank_mask:0xf
	v_cndmask_b32_e64 v54, 0, v54, s3
	s_delay_alu instid0(VALU_DEP_1) | instskip(SKIP_3) | instid1(VALU_DEP_1)
	v_add_nc_u32_e32 v53, v53, v54
	ds_swizzle_b32 v54, v53 offset:swizzle(BROADCAST,32,15)
	s_wait_dscnt 0x0
	v_cndmask_b32_e64 v54, v54, 0, s4
	v_add_nc_u32_e32 v53, v53, v54
	s_and_saveexec_b32 s14, s5
; %bb.288:                              ;   in Loop: Header=BB1319_279 Depth=1
	ds_store_b32 v68, v53
; %bb.289:                              ;   in Loop: Header=BB1319_279 Depth=1
	s_or_b32 exec_lo, exec_lo, s14
	s_wait_dscnt 0x0
	s_barrier_signal -1
	s_barrier_wait -1
	s_and_saveexec_b32 s14, s6
	s_cbranch_execz .LBB1319_291
; %bb.290:                              ;   in Loop: Header=BB1319_279 Depth=1
	ds_load_b32 v54, v4
	s_wait_dscnt 0x0
	v_mov_b32_dpp v55, v54 row_shr:1 row_mask:0xf bank_mask:0xf
	s_delay_alu instid0(VALU_DEP_1) | instskip(NEXT) | instid1(VALU_DEP_1)
	v_cndmask_b32_e64 v55, v55, 0, s11
	v_add_nc_u32_e32 v54, v55, v54
	s_delay_alu instid0(VALU_DEP_1) | instskip(NEXT) | instid1(VALU_DEP_1)
	v_mov_b32_dpp v55, v54 row_shr:2 row_mask:0xf bank_mask:0xf
	v_cndmask_b32_e64 v55, 0, v55, s12
	s_delay_alu instid0(VALU_DEP_1) | instskip(NEXT) | instid1(VALU_DEP_1)
	v_add_nc_u32_e32 v54, v54, v55
	v_mov_b32_dpp v55, v54 row_shr:4 row_mask:0xf bank_mask:0xf
	s_delay_alu instid0(VALU_DEP_1) | instskip(NEXT) | instid1(VALU_DEP_1)
	v_cndmask_b32_e64 v55, 0, v55, s13
	v_add_nc_u32_e32 v54, v54, v55
	ds_store_b32 v4, v54
.LBB1319_291:                           ;   in Loop: Header=BB1319_279 Depth=1
	s_or_b32 exec_lo, exec_lo, s14
	v_mov_b32_e32 v54, 0
	s_wait_dscnt 0x0
	s_barrier_signal -1
	s_barrier_wait -1
	s_and_saveexec_b32 s14, s7
; %bb.292:                              ;   in Loop: Header=BB1319_279 Depth=1
	ds_load_b32 v54, v84
; %bb.293:                              ;   in Loop: Header=BB1319_279 Depth=1
	s_or_b32 exec_lo, exec_lo, s14
	s_wait_dscnt 0x0
	v_add_nc_u32_e32 v53, v54, v53
	s_mov_b32 s16, -1
	s_mov_b32 s15, exec_lo
	v_add_nc_u32_e32 v10, 8, v10
	ds_bpermute_b32 v53, v82, v53
	s_wait_dscnt 0x0
	v_cndmask_b32_e64 v53, v53, v54, s2
	s_delay_alu instid0(VALU_DEP_1) | instskip(NEXT) | instid1(VALU_DEP_1)
	v_cndmask_b32_e64 v53, v53, 0, s10
	v_add_nc_u32_e32 v38, v53, v38
	s_delay_alu instid0(VALU_DEP_1) | instskip(NEXT) | instid1(VALU_DEP_1)
	v_add_nc_u32_e32 v39, v38, v39
	v_add_nc_u32_e32 v49, v39, v49
	ds_store_b32 v19, v53
	ds_store_b32 v23, v38
	;; [unrolled: 1-line block ×3, first 2 shown]
	v_mov_b32_e32 v39, v1
	v_add_nc_u32_e32 v50, v49, v50
	s_delay_alu instid0(VALU_DEP_1) | instskip(NEXT) | instid1(VALU_DEP_1)
	v_add_nc_u32_e32 v51, v50, v51
	v_add_nc_u32_e32 v52, v51, v52
	s_delay_alu instid0(VALU_DEP_1)
	v_add_nc_u32_e32 v37, v52, v37
	ds_store_b32 v67, v49
	ds_store_b32 v69, v50
	;; [unrolled: 1-line block ×5, first 2 shown]
	s_wait_dscnt 0x0
	s_barrier_signal -1
	s_barrier_wait -1
	ds_load_b32 v28, v28
	ds_load_b32 v31, v31
	;; [unrolled: 1-line block ×4, first 2 shown]
	v_dual_mov_b32 v37, v1 :: v_dual_mov_b32 v49, v1
	s_wait_dscnt 0x0
	v_add_nc_u32_e32 v0, v28, v0
	v_add3_u32 v36, v30, v29, v31
	v_add3_u32 v38, v33, v32, v34
	;; [unrolled: 1-line block ×3, first 2 shown]
                                        ; implicit-def: $vgpr28_vgpr29
                                        ; implicit-def: $vgpr30_vgpr31
                                        ; implicit-def: $vgpr32_vgpr33
                                        ; implicit-def: $vgpr34_vgpr35
	s_delay_alu instid0(VALU_DEP_4) | instskip(NEXT) | instid1(VALU_DEP_4)
	v_lshl_add_u64 v[64:65], v[0:1], 2, v[12:13]
	v_lshl_add_u64 v[54:55], v[36:37], 2, v[12:13]
	s_delay_alu instid0(VALU_DEP_4) | instskip(NEXT) | instid1(VALU_DEP_4)
	v_lshl_add_u64 v[52:53], v[38:39], 2, v[12:13]
	v_lshl_add_u64 v[50:51], v[48:49], 2, v[12:13]
                                        ; implicit-def: $vgpr49
                                        ; implicit-def: $vgpr39
                                        ; implicit-def: $vgpr37
                                        ; implicit-def: $vgpr51
	v_cmpx_lt_u32_e64 v10, v11
	s_cbranch_execz .LBB1319_278
; %bb.294:                              ;   in Loop: Header=BB1319_279 Depth=1
	v_lshl_add_u32 v28, v0, 2, v64
	v_lshl_add_u32 v29, v36, 2, v54
	;; [unrolled: 1-line block ×4, first 2 shown]
	s_barrier_signal -1
	s_barrier_wait -1
	ds_store_b32 v64, v100
	ds_store_b32 v54, v103
	;; [unrolled: 1-line block ×4, first 2 shown]
	s_wait_dscnt 0x0
	s_barrier_signal -1
	s_barrier_wait -1
	ds_load_b32 v51, v83
	ds_load_b32 v37, v85
	;; [unrolled: 1-line block ×4, first 2 shown]
	s_wait_dscnt 0x0
	s_barrier_signal -1
	s_barrier_wait -1
	ds_store_b64 v28, v[24:25]
	ds_store_b64 v29, v[20:21]
	;; [unrolled: 1-line block ×4, first 2 shown]
	s_wait_dscnt 0x0
	s_barrier_signal -1
	s_barrier_wait -1
	ds_load_b64 v[28:29], v5
	ds_load_b64 v[30:31], v96
	;; [unrolled: 1-line block ×4, first 2 shown]
	v_add_nc_u32_e32 v99, -8, v99
	s_xor_b32 s16, exec_lo, -1
	s_wait_dscnt 0x0
	s_barrier_signal -1
	s_barrier_wait -1
	s_branch .LBB1319_278
.LBB1319_295:
	flat_load_b64 v[52:53], v[0:1]
	s_wait_xcnt 0x0
	s_or_b32 exec_lo, exec_lo, s7
                                        ; implicit-def: $vgpr64_vgpr65
	s_and_saveexec_b32 s7, s0
	s_cbranch_execz .LBB1319_171
.LBB1319_296:
	flat_load_b64 v[64:65], v[0:1] offset:256
	s_wait_xcnt 0x0
	s_or_b32 exec_lo, exec_lo, s7
                                        ; implicit-def: $vgpr36_vgpr37
	s_and_saveexec_b32 s0, s1
	s_cbranch_execz .LBB1319_172
.LBB1319_297:
	flat_load_b64 v[36:37], v[0:1] offset:512
	s_wait_xcnt 0x0
	s_or_b32 exec_lo, exec_lo, s0
                                        ; implicit-def: $vgpr38_vgpr39
	s_and_saveexec_b32 s0, s2
	s_cbranch_execz .LBB1319_173
.LBB1319_298:
	flat_load_b64 v[38:39], v[0:1] offset:768
	s_wait_xcnt 0x0
	s_or_b32 exec_lo, exec_lo, s0
                                        ; implicit-def: $vgpr48_vgpr49
	s_and_saveexec_b32 s0, s3
	s_cbranch_execz .LBB1319_174
.LBB1319_299:
	flat_load_b64 v[48:49], v[0:1] offset:1024
	s_wait_xcnt 0x0
	s_or_b32 exec_lo, exec_lo, s0
                                        ; implicit-def: $vgpr50_vgpr51
	s_and_saveexec_b32 s0, s4
	s_cbranch_execz .LBB1319_175
.LBB1319_300:
	flat_load_b64 v[50:51], v[0:1] offset:1280
	s_wait_xcnt 0x0
	s_or_b32 exec_lo, exec_lo, s0
                                        ; implicit-def: $vgpr54_vgpr55
	s_and_saveexec_b32 s0, s5
	s_cbranch_execz .LBB1319_176
.LBB1319_301:
	flat_load_b64 v[54:55], v[0:1] offset:1536
	s_wait_xcnt 0x0
	s_or_b32 exec_lo, exec_lo, s0
                                        ; implicit-def: $vgpr66_vgpr67
	s_and_saveexec_b32 s0, s6
	s_cbranch_execnz .LBB1319_177
	s_branch .LBB1319_178
.LBB1319_302:
	flat_store_b64 v[0:1], v[22:23]
	s_wait_xcnt 0x0
	s_or_b32 exec_lo, exec_lo, s7
	s_and_saveexec_b32 s7, s0
	s_cbranch_execz .LBB1319_254
.LBB1319_303:
	flat_store_b64 v[0:1], v[24:25] offset:2048
	s_wait_xcnt 0x0
	s_or_b32 exec_lo, exec_lo, s7
	s_and_saveexec_b32 s0, s1
	s_cbranch_execz .LBB1319_255
.LBB1319_304:
	flat_store_b64 v[0:1], v[18:19] offset:4096
	s_wait_xcnt 0x0
	s_or_b32 exec_lo, exec_lo, s0
	s_and_saveexec_b32 s0, s2
	s_cbranch_execz .LBB1319_256
.LBB1319_305:
	flat_store_b64 v[0:1], v[20:21] offset:6144
	s_wait_xcnt 0x0
	s_or_b32 exec_lo, exec_lo, s0
	s_and_saveexec_b32 s0, s3
	s_cbranch_execz .LBB1319_257
.LBB1319_306:
	flat_store_b64 v[0:1], v[14:15] offset:8192
	s_wait_xcnt 0x0
	s_or_b32 exec_lo, exec_lo, s0
	s_and_saveexec_b32 s0, s4
	s_cbranch_execz .LBB1319_258
.LBB1319_307:
	flat_store_b64 v[0:1], v[16:17] offset:10240
	s_wait_xcnt 0x0
	s_or_b32 exec_lo, exec_lo, s0
	s_and_saveexec_b32 s0, s5
	s_cbranch_execz .LBB1319_259
.LBB1319_308:
	flat_store_b64 v[0:1], v[10:11] offset:12288
	s_wait_xcnt 0x0
	s_or_b32 exec_lo, exec_lo, s0
	s_and_saveexec_b32 s0, s6
	s_cbranch_execnz .LBB1319_260
	s_branch .LBB1319_261
.LBB1319_309:
	s_or_b32 exec_lo, exec_lo, s25
	v_lshl_add_u32 v0, v0, 2, v64
	v_lshl_add_u32 v1, v36, 2, v54
	;; [unrolled: 1-line block ×4, first 2 shown]
	s_barrier_signal -1
	s_barrier_wait -1
	ds_store_b32 v64, v100
	ds_store_b32 v54, v103
	;; [unrolled: 1-line block ×4, first 2 shown]
	s_wait_dscnt 0x0
	s_barrier_signal -1
	s_barrier_wait -1
	ds_load_2addr_stride64_b32 v[28:29], v4 offset1:4
	ds_load_2addr_stride64_b32 v[4:5], v4 offset0:8 offset1:12
	s_wait_dscnt 0x0
	s_barrier_signal -1
	s_barrier_wait -1
	ds_store_b64 v0, v[24:25]
	ds_store_b64 v1, v[20:21]
	;; [unrolled: 1-line block ×4, first 2 shown]
	v_lshl_add_u32 v0, v22, 3, v12
	s_wait_dscnt 0x0
	s_barrier_signal -1
	s_barrier_wait -1
	ds_load_2addr_stride64_b64 v[14:17], v0 offset1:4
	ds_load_2addr_stride64_b64 v[10:13], v0 offset0:8 offset1:12
	v_lshl_add_u64 v[0:1], v[8:9], 2, v[2:3]
	v_mov_b32_e32 v19, 0
	s_set_vgpr_msb 4                        ;  msbs: dst=0 src0=0 src1=1 src2=0
	v_cmp_lt_u32_e32 vcc_lo, v18, v10 /*v266*/
	s_wait_dscnt 0x0
	s_barrier_signal -1
	s_barrier_wait -1
	v_lshl_add_u64 v[0:1], v[18:19], 2, v[0:1]
	s_and_saveexec_b32 s1, vcc_lo
	s_set_vgpr_msb 0                        ;  msbs: dst=0 src0=0 src1=0 src2=0
	s_cbranch_execz .LBB1319_311
; %bb.310:
	v_cmp_gt_i32_e64 s0, 0, v28
	s_delay_alu instid0(VALU_DEP_1) | instskip(NEXT) | instid1(VALU_DEP_1)
	v_cndmask_b32_e64 v2, 0x7fffffff, 0, s0
	v_xor_b32_e32 v2, v2, v28
	flat_store_b32 v[0:1], v2
.LBB1319_311:
	s_wait_xcnt 0x0
	s_or_b32 exec_lo, exec_lo, s1
	v_add_nc_u32_e32 v2, 0x100, v18
	s_set_vgpr_msb 4                        ;  msbs: dst=0 src0=0 src1=1 src2=0
	s_delay_alu instid0(VALU_DEP_1)
	v_cmp_lt_u32_e64 s0, v2, v10 /*v266*/
	s_and_saveexec_b32 s2, s0
	s_set_vgpr_msb 0                        ;  msbs: dst=0 src0=0 src1=0 src2=0
	s_cbranch_execz .LBB1319_313
; %bb.312:
	v_cmp_gt_i32_e64 s1, 0, v29
	s_delay_alu instid0(VALU_DEP_1) | instskip(NEXT) | instid1(VALU_DEP_1)
	v_cndmask_b32_e64 v2, 0x7fffffff, 0, s1
	v_xor_b32_e32 v2, v2, v29
	flat_store_b32 v[0:1], v2 offset:1024
.LBB1319_313:
	s_wait_xcnt 0x0
	s_or_b32 exec_lo, exec_lo, s2
	v_add_nc_u32_e32 v2, 0x200, v18
	s_set_vgpr_msb 4                        ;  msbs: dst=0 src0=0 src1=1 src2=0
	s_delay_alu instid0(VALU_DEP_1)
	v_cmp_lt_u32_e64 s1, v2, v10 /*v266*/
	s_and_saveexec_b32 s3, s1
	s_set_vgpr_msb 0                        ;  msbs: dst=0 src0=0 src1=0 src2=0
	s_cbranch_execz .LBB1319_315
; %bb.314:
	v_cmp_gt_i32_e64 s2, 0, v4
	s_delay_alu instid0(VALU_DEP_1) | instskip(NEXT) | instid1(VALU_DEP_1)
	v_cndmask_b32_e64 v2, 0x7fffffff, 0, s2
	v_xor_b32_e32 v2, v2, v4
	flat_store_b32 v[0:1], v2 offset:2048
.LBB1319_315:
	;; [unrolled: 16-line block ×3, first 2 shown]
	s_wait_xcnt 0x0
	s_or_b32 exec_lo, exec_lo, s4
	v_lshl_add_u64 v[0:1], v[8:9], 3, v[6:7]
	s_delay_alu instid0(VALU_DEP_1)
	v_lshl_add_u64 v[0:1], v[18:19], 3, v[0:1]
	s_and_saveexec_b32 s3, vcc_lo
	s_cbranch_execnz .LBB1319_350
; %bb.318:
	s_or_b32 exec_lo, exec_lo, s3
	s_and_saveexec_b32 s3, s0
	s_cbranch_execnz .LBB1319_351
.LBB1319_319:
	s_or_b32 exec_lo, exec_lo, s3
	s_and_saveexec_b32 s0, s1
	s_cbranch_execnz .LBB1319_352
.LBB1319_320:
	s_or_b32 exec_lo, exec_lo, s0
	s_and_saveexec_b32 s0, s2
	s_cbranch_execz .LBB1319_322
.LBB1319_321:
	flat_store_b64 v[0:1], v[12:13] offset:6144
.LBB1319_322:
	s_wait_xcnt 0x0
	s_or_b32 exec_lo, exec_lo, s0
                                        ; implicit-def: $vgpr266
                                        ; implicit-def: $vgpr8
                                        ; implicit-def: $vgpr10
                                        ; implicit-def: $vgpr11
                                        ; implicit-def: $vgpr0_vgpr1
                                        ; implicit-def: $vgpr2_vgpr3
                                        ; implicit-def: $vgpr4_vgpr5
                                        ; implicit-def: $vgpr6_vgpr7
                                        ; implicit-def: $vgpr12_vgpr13
                                        ; implicit-def: $vgpr9
                                        ; implicit-def: $vgpr14
                                        ; implicit-def: $vgpr22
                                        ; implicit-def: $vgpr68
.LBB1319_323:
	s_and_not1_saveexec_b32 s0, s23
	s_cbranch_execz .LBB1319_382
; %bb.324:
	s_load_b64 s[0:1], s[8:9], 0x0
	s_bfe_u32 s3, ttmp6, 0x4000c
	s_bfe_u32 s5, ttmp6, 0x40010
	s_and_b32 s4, ttmp7, 0xffff
	s_add_co_i32 s3, s3, 1
	s_add_co_i32 s5, s5, 1
	s_and_b32 s2, ttmp6, 15
	s_bfe_u32 s6, ttmp6, 0x40004
	s_mul_i32 s3, ttmp9, s3
	s_mul_i32 s5, s4, s5
	s_add_co_i32 s2, s2, s3
	s_add_co_i32 s6, s6, s5
	s_cmp_eq_u32 s22, 0
	s_cselect_b32 s2, ttmp9, s2
	s_cselect_b32 s3, s4, s6
	s_wait_kmcnt 0x0
	s_cmp_lt_u32 s2, s0
	s_cselect_b32 s0, 12, 18
	s_cmp_lt_u32 s3, s1
	s_mov_b32 s1, 0
	s_cselect_b32 s2, 14, 20
	s_mov_b32 s3, s1
	s_add_nc_u64 s[0:1], s[8:9], s[0:1]
	s_add_nc_u64 s[2:3], s[8:9], s[2:3]
	s_clause 0x1
	s_load_u16 s0, s[0:1], 0x0
	s_nop 0
	s_load_u16 s2, s[2:3], 0x0
	s_wait_kmcnt 0x0
	v_mad_u32_u24 v9, v14, s2, v9
	s_delay_alu instid0(VALU_DEP_1)
	v_mad_u32 v14, v9, s0, v22
	v_mov_b32_e32 v9, 0
	s_mov_b32 s0, exec_lo
	s_set_vgpr_msb 4                        ;  msbs: dst=0 src0=0 src1=1 src2=0
	v_cmpx_lt_u32_e32 0x100, v10 /*v266*/
	s_xor_b32 s18, exec_lo, s0
	s_set_vgpr_msb 0                        ;  msbs: dst=0 src0=0 src1=0 src2=0
	s_cbranch_execz .LBB1319_362
; %bb.325:
	s_delay_alu instid0(VALU_DEP_3) | instskip(SKIP_2) | instid1(VALU_DEP_3)
	v_dual_lshlrev_b32 v15, 1, v14 :: v_dual_lshlrev_b32 v18, 2, v68
	v_lshl_add_u64 v[0:1], v[8:9], 2, v[0:1]
	v_dual_mov_b32 v19, v9 :: v_dual_mov_b32 v17, v9
	v_and_b32_e32 v16, 0xffffffc0, v15
	s_delay_alu instid0(VALU_DEP_2) | instskip(SKIP_1) | instid1(VALU_DEP_3)
	v_add_nc_u64_e32 v[18:19], v[0:1], v[18:19]
	v_mov_b64_e32 v[0:1], -1
	v_or_b32_e32 v15, v68, v16
	s_delay_alu instid0(VALU_DEP_3) | instskip(SKIP_1) | instid1(VALU_DEP_2)
	v_lshl_add_u64 v[18:19], v[16:17], 2, v[18:19]
	s_set_vgpr_msb 4                        ;  msbs: dst=0 src0=0 src1=1 src2=0
	v_cmp_lt_u32_e32 vcc_lo, v15, v10 /*v266*/
	s_and_saveexec_b32 s0, vcc_lo
	s_set_vgpr_msb 0                        ;  msbs: dst=0 src0=0 src1=0 src2=0
	s_cbranch_execz .LBB1319_327
; %bb.326:
	flat_load_b32 v0, v[18:19]
	v_mov_b32_e32 v1, -1
.LBB1319_327:
	s_wait_xcnt 0x0
	s_or_b32 exec_lo, exec_lo, s0
	v_or_b32_e32 v15, 32, v15
	s_set_vgpr_msb 4                        ;  msbs: dst=0 src0=0 src1=1 src2=0
	s_delay_alu instid0(VALU_DEP_1)
	v_cmp_lt_u32_e64 s0, v15, v10 /*v266*/
	s_and_saveexec_b32 s1, s0
	s_set_vgpr_msb 0                        ;  msbs: dst=0 src0=0 src1=0 src2=0
	s_cbranch_execz .LBB1319_329
; %bb.328:
	flat_load_b32 v1, v[18:19] offset:128
.LBB1319_329:
	s_wait_xcnt 0x0
	s_or_b32 exec_lo, exec_lo, s1
	v_lshl_add_u64 v[4:5], v[8:9], 3, v[4:5]
	v_dual_mov_b32 v19, 0 :: v_dual_lshlrev_b32 v18, 3, v68
	v_mov_b64_e32 v[26:27], 0
	v_mov_b64_e32 v[24:25], 0
	s_delay_alu instid0(VALU_DEP_3) | instskip(NEXT) | instid1(VALU_DEP_1)
	v_add_nc_u64_e32 v[4:5], v[4:5], v[18:19]
	v_lshl_add_u64 v[4:5], v[16:17], 3, v[4:5]
	s_and_saveexec_b32 s1, vcc_lo
	s_cbranch_execz .LBB1319_331
; %bb.330:
	flat_load_b64 v[24:25], v[4:5]
.LBB1319_331:
	s_wait_xcnt 0x0
	s_or_b32 exec_lo, exec_lo, s1
	s_and_saveexec_b32 s1, s0
	s_cbranch_execz .LBB1319_333
; %bb.332:
	flat_load_b64 v[26:27], v[4:5] offset:256
.LBB1319_333:
	s_wait_xcnt 0x0
	s_or_b32 exec_lo, exec_lo, s1
	s_wait_loadcnt_dscnt 0x0
	v_cmp_gt_i32_e32 vcc_lo, 0, v0
	v_lshl_add_u32 v16, v22, 5, v12
	s_get_pc_i64 s[0:1]
	s_add_nc_u64 s[0:1], s[0:1], _ZN7rocprim17ROCPRIM_400000_NS16block_radix_sortIfLj256ELj2ElLj1ELj1ELj8ELNS0_26block_radix_rank_algorithmE2ELNS0_18block_padding_hintE2ELNS0_4arch9wavefront6targetE0EE19radix_bits_per_passE@rel64+4
	v_cmp_lt_u32_e64 s7, 31, v22
	s_load_b32 s19, s[0:1], 0x0
	v_cndmask_b32_e64 v4, 0x7fffffff, 0, vcc_lo
	v_cmp_gt_i32_e32 vcc_lo, 0, v1
	v_dual_add_nc_u32 v39, 60, v16 :: v_dual_add_nc_u32 v23, 36, v16
	v_add_nc_u32_e32 v34, 40, v16
	s_delay_alu instid0(VALU_DEP_4) | instskip(SKIP_3) | instid1(VALU_DEP_3)
	v_dual_lshrrev_b32 v48, 5, v14 :: v_dual_bitop2_b32 v31, v4, v0 bitop3:0x14
	v_cndmask_b32_e64 v5, 0x7fffffff, 0, vcc_lo
	v_and_b32_e32 v0, 0x3e0, v22
	v_dual_add_nc_u32 v35, 44, v16 :: v_dual_add_nc_u32 v36, 48, v16
	v_dual_add_nc_u32 v15, 32, v16 :: v_dual_bitop2_b32 v29, v5, v1 bitop3:0x14
	s_delay_alu instid0(VALU_DEP_3) | instskip(SKIP_2) | instid1(VALU_DEP_3)
	v_min_u32_e32 v0, 0xe0, v0
	v_sub_co_u32 v5, s2, v68, 1
	v_dual_add_nc_u32 v37, 52, v16 :: v_dual_add_nc_u32 v38, 56, v16
	v_or_b32_e32 v0, 31, v0
	s_delay_alu instid0(VALU_DEP_3)
	v_cmp_gt_i32_e64 s6, 0, v5
	v_and_b32_e32 v1, 15, v68
	v_cmp_eq_u32_e64 s8, 0, v22
	s_mov_b32 s20, 0
	v_cmp_eq_u32_e64 s5, v22, v0
	v_cndmask_b32_e64 v0, v5, v68, s6
	v_cmp_eq_u32_e32 vcc_lo, 0, v1
	s_wait_xcnt 0x0
	v_cmp_lt_u32_e64 s0, 1, v1
	v_cmp_lt_u32_e64 s1, 3, v1
	;; [unrolled: 1-line block ×3, first 2 shown]
	v_dual_lshlrev_b32 v1, 1, v22 :: v_dual_lshlrev_b32 v49, 2, v0
	v_dual_lshlrev_b32 v0, 2, v22 :: v_dual_bitop2_b32 v17, 7, v68 bitop3:0x40
	v_cmp_gt_u32_e64 s6, 8, v22
	s_delay_alu instid0(VALU_DEP_3)
	v_and_or_b32 v1, 0x7c0, v1, v68
	v_and_b32_e32 v4, 16, v68
	s_wait_storecnt 0x0
	v_cmp_eq_u32_e64 s9, 0, v17
	v_cmp_lt_u32_e64 s10, 1, v17
	v_lshlrev_b32_e32 v16, 2, v1
	v_cmp_eq_u32_e64 s4, 0, v4
	v_dual_mov_b32 v1, 0 :: v_dual_lshrrev_b32 v4, 3, v22
	v_sub_nc_u32_e32 v55, v11, v10
	v_cmp_lt_u32_e64 s11, 3, v17
	s_barrier_signal -1
	s_delay_alu instid0(VALU_DEP_3) | instskip(SKIP_1) | instid1(VALU_DEP_1)
	v_and_b32_e32 v4, 0x7c, v4
	s_barrier_wait -1
	v_add_nc_u32_e32 v51, v12, v4
	v_add_nc_u32_e32 v50, v12, v16
	v_add_nc_u64_e32 v[4:5], v[12:13], v[0:1]
	s_delay_alu instid0(VALU_DEP_2) | instskip(SKIP_2) | instid1(VALU_DEP_3)
	v_dual_add_nc_u32 v52, -4, v51 :: v_dual_add_nc_u32 v5, v50, v16
	v_mov_b64_e32 v[16:17], 0
	v_add_nc_u32_e32 v53, 0x80, v50
	v_add_nc_u32_e32 v54, 0x100, v5
	s_branch .LBB1319_335
.LBB1319_334:                           ;   in Loop: Header=BB1319_335 Depth=1
	s_or_b32 exec_lo, exec_lo, s13
	s_delay_alu instid0(SALU_CYCLE_1) | instskip(NEXT) | instid1(SALU_CYCLE_1)
	s_and_b32 s12, exec_lo, s14
	s_or_b32 s20, s12, s20
	s_delay_alu instid0(SALU_CYCLE_1)
	s_and_not1_b32 exec_lo, exec_lo, s20
	s_cbranch_execz .LBB1319_353
.LBB1319_335:                           ; =>This Inner Loop Header: Depth=1
	v_mov_b32_e32 v64, v31
	s_wait_kmcnt 0x0
	v_min_u32_e32 v0, s19, v55
	ds_store_b64 v15, v[16:17]
	ds_store_b64 v34, v[16:17]
	ds_store_b64 v36, v[16:17]
	ds_store_b64 v38, v[16:17]
	s_wait_dscnt 0x0
	v_cmp_ne_u32_e64 s12, 0x80000000, v64
	v_lshlrev_b32_e64 v28, v0, -1
	s_barrier_signal -1
	s_barrier_wait -1
	s_delay_alu instid0(VALU_DEP_2) | instskip(NEXT) | instid1(VALU_DEP_1)
	v_cndmask_b32_e64 v18, 0x7fffffff, v64, s12
	; wave barrier
	v_lshrrev_b32_e32 v0, v10, v18
	s_delay_alu instid0(VALU_DEP_1) | instskip(SKIP_1) | instid1(VALU_DEP_2)
	v_bitop3_b32 v18, v0, 1, v28 bitop3:0x40
	v_bitop3_b32 v0, v0, v28, v0 bitop3:0x30
	v_add_co_u32 v18, s12, v18, -1
	s_delay_alu instid0(VALU_DEP_1) | instskip(NEXT) | instid1(VALU_DEP_3)
	v_cndmask_b32_e64 v19, 0, 1, s12
	v_dual_lshlrev_b32 v20, 30, v0 :: v_dual_lshlrev_b32 v21, 29, v0
	v_dual_lshlrev_b32 v30, 28, v0 :: v_dual_lshlrev_b32 v31, 27, v0
	s_delay_alu instid0(VALU_DEP_3) | instskip(NEXT) | instid1(VALU_DEP_3)
	v_cmp_ne_u32_e64 s12, 0, v19
	v_not_b32_e32 v19, v20
	v_dual_lshlrev_b32 v32, 26, v0 :: v_dual_lshlrev_b32 v33, 25, v0
	v_lshlrev_b32_e32 v65, 24, v0
	v_cmp_gt_i32_e64 s13, 0, v20
	v_cmp_gt_i32_e64 s14, 0, v21
	v_not_b32_e32 v20, v21
	v_not_b32_e32 v21, v30
	v_ashrrev_i32_e32 v19, 31, v19
	v_cmp_gt_i32_e64 s15, 0, v30
	v_cmp_gt_i32_e64 s16, 0, v31
	v_not_b32_e32 v30, v31
	v_cmp_gt_i32_e64 s17, 0, v32
	v_not_b32_e32 v31, v32
	v_not_b32_e32 v32, v33
	v_dual_ashrrev_i32 v20, 31, v20 :: v_dual_bitop2_b32 v18, s12, v18 bitop3:0x14
	v_dual_ashrrev_i32 v21, 31, v21 :: v_dual_ashrrev_i32 v30, 31, v30
	s_delay_alu instid0(VALU_DEP_3) | instskip(NEXT) | instid1(VALU_DEP_3)
	v_dual_ashrrev_i32 v32, 31, v32 :: v_dual_bitop2_b32 v19, s13, v19 bitop3:0x14
	v_dual_ashrrev_i32 v31, 31, v31 :: v_dual_bitop2_b32 v20, s14, v20 bitop3:0x14
	s_delay_alu instid0(VALU_DEP_3) | instskip(NEXT) | instid1(VALU_DEP_3)
	v_xor_b32_e32 v30, s16, v30
	v_bitop3_b32 v18, v18, v19, exec_lo bitop3:0x80
	v_not_b32_e32 v19, v65
	v_xor_b32_e32 v21, s15, v21
	v_xor_b32_e32 v31, s17, v31
	v_cmp_gt_i32_e64 s12, 0, v33
	v_cmp_gt_i32_e64 s13, 0, v65
	v_ashrrev_i32_e32 v19, 31, v19
	v_bitop3_b32 v18, v18, v21, v20 bitop3:0x80
	s_delay_alu instid0(VALU_DEP_4) | instskip(SKIP_1) | instid1(VALU_DEP_4)
	v_dual_mov_b32 v65, v29 :: v_dual_bitop2_b32 v20, s12, v32 bitop3:0x14
	v_lshl_add_u32 v0, v0, 3, v48
	v_xor_b32_e32 v21, s13, v19
	s_delay_alu instid0(VALU_DEP_4) | instskip(SKIP_1) | instid1(VALU_DEP_2)
	v_bitop3_b32 v30, v18, v31, v30 bitop3:0x80
	v_mov_b64_e32 v[18:19], v[26:27]
	v_bitop3_b32 v26, v30, v21, v20 bitop3:0x80
	v_mov_b64_e32 v[20:21], v[24:25]
	v_lshl_add_u64 v[24:25], v[0:1], 2, v[12:13]
	s_delay_alu instid0(VALU_DEP_3) | instskip(SKIP_1) | instid1(VALU_DEP_3)
	v_mbcnt_lo_u32_b32 v0, v26, 0
	v_cmp_ne_u32_e64 s13, 0, v26
	v_add_nc_u64_e32 v[24:25], 32, v[24:25]
	s_delay_alu instid0(VALU_DEP_3) | instskip(SKIP_1) | instid1(SALU_CYCLE_1)
	v_cmp_eq_u32_e64 s12, 0, v0
	s_and_b32 s13, s13, s12
	s_and_saveexec_b32 s12, s13
; %bb.336:                              ;   in Loop: Header=BB1319_335 Depth=1
	v_bcnt_u32_b32 v25, v26, 0
	ds_store_b32 v24, v25
; %bb.337:                              ;   in Loop: Header=BB1319_335 Depth=1
	s_or_b32 exec_lo, exec_lo, s12
	v_cmp_ne_u32_e64 s12, 0x80000000, v65
	v_not_b32_e32 v26, v28
	; wave barrier
	s_delay_alu instid0(VALU_DEP_2) | instskip(NEXT) | instid1(VALU_DEP_1)
	v_cndmask_b32_e64 v25, 0x7fffffff, v65, s12
	v_lshrrev_b32_e32 v25, v10, v25
	s_delay_alu instid0(VALU_DEP_1) | instskip(NEXT) | instid1(VALU_DEP_1)
	v_and_b32_e32 v27, v25, v26
	v_lshlrev_b32_e32 v29, 30, v27
	v_bitop3_b32 v25, v25, 1, v26 bitop3:0x80
	s_delay_alu instid0(VALU_DEP_2) | instskip(NEXT) | instid1(VALU_DEP_2)
	v_cmp_gt_i32_e64 s13, 0, v29
	v_add_co_u32 v25, s12, v25, -1
	s_delay_alu instid0(VALU_DEP_1) | instskip(NEXT) | instid1(VALU_DEP_1)
	v_cndmask_b32_e64 v28, 0, 1, s12
	v_cmp_ne_u32_e64 s12, 0, v28
	v_not_b32_e32 v28, v29
	s_delay_alu instid0(VALU_DEP_1) | instskip(SKIP_3) | instid1(VALU_DEP_4)
	v_dual_ashrrev_i32 v28, 31, v28 :: v_dual_lshlrev_b32 v30, 29, v27
	v_dual_lshlrev_b32 v31, 28, v27 :: v_dual_lshlrev_b32 v32, 27, v27
	v_lshlrev_b32_e32 v33, 26, v27
	v_lshl_add_u32 v26, v27, 3, v48
	v_cmp_gt_i32_e64 s14, 0, v30
	v_not_b32_e32 v29, v30
	v_not_b32_e32 v30, v31
	v_cmp_gt_i32_e64 s15, 0, v31
	v_not_b32_e32 v31, v32
	v_xor_b32_e32 v25, s12, v25
	v_dual_ashrrev_i32 v29, 31, v29 :: v_dual_bitop2_b32 v28, s13, v28 bitop3:0x14
	v_dual_ashrrev_i32 v30, 31, v30 :: v_dual_lshlrev_b32 v66, 25, v27
	v_lshlrev_b32_e32 v27, 24, v27
	v_cmp_gt_i32_e64 s16, 0, v32
	v_not_b32_e32 v32, v33
	v_dual_ashrrev_i32 v31, 31, v31 :: v_dual_bitop2_b32 v29, s14, v29 bitop3:0x14
	v_xor_b32_e32 v30, s15, v30
	v_bitop3_b32 v25, v25, v28, exec_lo bitop3:0x80
	v_cmp_gt_i32_e64 s12, 0, v33
	v_ashrrev_i32_e32 v28, 31, v32
	v_not_b32_e32 v32, v66
	v_xor_b32_e32 v31, s16, v31
	v_bitop3_b32 v25, v25, v30, v29 bitop3:0x80
	v_not_b32_e32 v29, v27
	v_xor_b32_e32 v28, s12, v28
	v_cmp_gt_i32_e64 s12, 0, v66
	v_ashrrev_i32_e32 v30, 31, v32
	v_cmp_gt_i32_e64 s13, 0, v27
	v_ashrrev_i32_e32 v27, 31, v29
	v_lshl_add_u32 v29, v26, 2, v12
	v_bitop3_b32 v26, v25, v28, v31 bitop3:0x80
	v_xor_b32_e32 v28, s12, v30
	s_delay_alu instid0(VALU_DEP_4) | instskip(SKIP_3) | instid1(VALU_DEP_2)
	v_xor_b32_e32 v27, s13, v27
	ds_load_b32 v25, v29 offset:32
	; wave barrier
	v_bitop3_b32 v28, v26, v27, v28 bitop3:0x80
	v_add_nc_u32_e32 v27, 32, v29
	v_mbcnt_lo_u32_b32 v26, v28, 0
	v_cmp_ne_u32_e64 s13, 0, v28
	s_delay_alu instid0(VALU_DEP_2) | instskip(SKIP_1) | instid1(SALU_CYCLE_1)
	v_cmp_eq_u32_e64 s12, 0, v26
	s_and_b32 s13, s13, s12
	s_and_saveexec_b32 s12, s13
	s_cbranch_execz .LBB1319_339
; %bb.338:                              ;   in Loop: Header=BB1319_335 Depth=1
	s_wait_dscnt 0x0
	v_bcnt_u32_b32 v28, v28, v25
	ds_store_b32 v27, v28
.LBB1319_339:                           ;   in Loop: Header=BB1319_335 Depth=1
	s_or_b32 exec_lo, exec_lo, s12
	; wave barrier
	s_wait_dscnt 0x0
	s_barrier_signal -1
	s_barrier_wait -1
	ds_load_b32 v29, v15
	ds_load_b32 v30, v23
	;; [unrolled: 1-line block ×8, first 2 shown]
	s_wait_dscnt 0x6
	v_add_nc_u32_e32 v68, v30, v29
	s_wait_dscnt 0x4
	s_delay_alu instid0(VALU_DEP_1) | instskip(SKIP_1) | instid1(VALU_DEP_1)
	v_add3_u32 v68, v68, v31, v32
	s_wait_dscnt 0x2
	v_add3_u32 v68, v68, v33, v66
	s_wait_dscnt 0x0
	s_delay_alu instid0(VALU_DEP_1) | instskip(NEXT) | instid1(VALU_DEP_1)
	v_add3_u32 v67, v68, v28, v67
	v_mov_b32_dpp v68, v67 row_shr:1 row_mask:0xf bank_mask:0xf
	s_delay_alu instid0(VALU_DEP_1) | instskip(NEXT) | instid1(VALU_DEP_1)
	v_cndmask_b32_e64 v68, v68, 0, vcc_lo
	v_add_nc_u32_e32 v67, v68, v67
	s_delay_alu instid0(VALU_DEP_1) | instskip(NEXT) | instid1(VALU_DEP_1)
	v_mov_b32_dpp v68, v67 row_shr:2 row_mask:0xf bank_mask:0xf
	v_cndmask_b32_e64 v68, 0, v68, s0
	s_delay_alu instid0(VALU_DEP_1) | instskip(NEXT) | instid1(VALU_DEP_1)
	v_add_nc_u32_e32 v67, v67, v68
	v_mov_b32_dpp v68, v67 row_shr:4 row_mask:0xf bank_mask:0xf
	s_delay_alu instid0(VALU_DEP_1) | instskip(NEXT) | instid1(VALU_DEP_1)
	v_cndmask_b32_e64 v68, 0, v68, s1
	v_add_nc_u32_e32 v67, v67, v68
	s_delay_alu instid0(VALU_DEP_1) | instskip(NEXT) | instid1(VALU_DEP_1)
	v_mov_b32_dpp v68, v67 row_shr:8 row_mask:0xf bank_mask:0xf
	v_cndmask_b32_e64 v68, 0, v68, s3
	s_delay_alu instid0(VALU_DEP_1) | instskip(SKIP_3) | instid1(VALU_DEP_1)
	v_add_nc_u32_e32 v67, v67, v68
	ds_swizzle_b32 v68, v67 offset:swizzle(BROADCAST,32,15)
	s_wait_dscnt 0x0
	v_cndmask_b32_e64 v68, v68, 0, s4
	v_add_nc_u32_e32 v67, v67, v68
	s_and_saveexec_b32 s12, s5
; %bb.340:                              ;   in Loop: Header=BB1319_335 Depth=1
	ds_store_b32 v51, v67
; %bb.341:                              ;   in Loop: Header=BB1319_335 Depth=1
	s_or_b32 exec_lo, exec_lo, s12
	s_wait_dscnt 0x0
	s_barrier_signal -1
	s_barrier_wait -1
	s_and_saveexec_b32 s12, s6
	s_cbranch_execz .LBB1319_343
; %bb.342:                              ;   in Loop: Header=BB1319_335 Depth=1
	ds_load_b32 v68, v4
	s_wait_dscnt 0x0
	v_mov_b32_dpp v69, v68 row_shr:1 row_mask:0xf bank_mask:0xf
	s_delay_alu instid0(VALU_DEP_1) | instskip(NEXT) | instid1(VALU_DEP_1)
	v_cndmask_b32_e64 v69, v69, 0, s9
	v_add_nc_u32_e32 v68, v69, v68
	s_delay_alu instid0(VALU_DEP_1) | instskip(NEXT) | instid1(VALU_DEP_1)
	v_mov_b32_dpp v69, v68 row_shr:2 row_mask:0xf bank_mask:0xf
	v_cndmask_b32_e64 v69, 0, v69, s10
	s_delay_alu instid0(VALU_DEP_1) | instskip(NEXT) | instid1(VALU_DEP_1)
	v_add_nc_u32_e32 v68, v68, v69
	v_mov_b32_dpp v69, v68 row_shr:4 row_mask:0xf bank_mask:0xf
	s_delay_alu instid0(VALU_DEP_1) | instskip(NEXT) | instid1(VALU_DEP_1)
	v_cndmask_b32_e64 v69, 0, v69, s11
	v_add_nc_u32_e32 v68, v68, v69
	ds_store_b32 v4, v68
.LBB1319_343:                           ;   in Loop: Header=BB1319_335 Depth=1
	s_or_b32 exec_lo, exec_lo, s12
	v_mov_b32_e32 v68, 0
	s_wait_dscnt 0x0
	s_barrier_signal -1
	s_barrier_wait -1
	s_and_saveexec_b32 s12, s7
; %bb.344:                              ;   in Loop: Header=BB1319_335 Depth=1
	ds_load_b32 v68, v52
; %bb.345:                              ;   in Loop: Header=BB1319_335 Depth=1
	s_or_b32 exec_lo, exec_lo, s12
	s_wait_dscnt 0x0
	v_add_nc_u32_e32 v67, v68, v67
	s_mov_b32 s14, -1
	s_mov_b32 s13, exec_lo
	v_add_nc_u32_e32 v10, 8, v10
	ds_bpermute_b32 v67, v49, v67
	s_wait_dscnt 0x0
	v_cndmask_b32_e64 v67, v67, v68, s2
	s_delay_alu instid0(VALU_DEP_1) | instskip(NEXT) | instid1(VALU_DEP_1)
	v_cndmask_b32_e64 v67, v67, 0, s8
	v_add_nc_u32_e32 v29, v67, v29
	s_delay_alu instid0(VALU_DEP_1) | instskip(NEXT) | instid1(VALU_DEP_1)
	v_add_nc_u32_e32 v30, v29, v30
	v_add_nc_u32_e32 v31, v30, v31
	s_delay_alu instid0(VALU_DEP_1) | instskip(NEXT) | instid1(VALU_DEP_1)
	v_add_nc_u32_e32 v32, v31, v32
	v_add_nc_u32_e32 v33, v32, v33
	s_delay_alu instid0(VALU_DEP_1)
	v_add_nc_u32_e32 v66, v33, v66
	ds_store_b32 v15, v67
	ds_store_b32 v23, v29
	;; [unrolled: 1-line block ×3, first 2 shown]
	v_add_nc_u32_e32 v28, v66, v28
	ds_store_b32 v35, v31
	ds_store_b32 v36, v32
	;; [unrolled: 1-line block ×5, first 2 shown]
	s_wait_dscnt 0x0
	s_barrier_signal -1
	s_barrier_wait -1
	ds_load_b32 v24, v24
	ds_load_b32 v27, v27
	v_mov_b32_e32 v29, v1
	s_wait_dscnt 0x0
	v_add_nc_u32_e32 v0, v24, v0
	v_add3_u32 v28, v26, v25, v27
                                        ; implicit-def: $vgpr26_vgpr27
                                        ; implicit-def: $vgpr24_vgpr25
	s_delay_alu instid0(VALU_DEP_2) | instskip(NEXT) | instid1(VALU_DEP_2)
	v_lshl_add_u64 v[32:33], v[0:1], 2, v[12:13]
	v_lshl_add_u64 v[30:31], v[28:29], 2, v[12:13]
                                        ; implicit-def: $vgpr29
                                        ; implicit-def: $vgpr31
	v_cmpx_lt_u32_e64 v10, v11
	s_cbranch_execz .LBB1319_334
; %bb.346:                              ;   in Loop: Header=BB1319_335 Depth=1
	s_delay_alu instid0(VALU_DEP_3) | instskip(NEXT) | instid1(VALU_DEP_3)
	v_lshl_add_u32 v24, v0, 2, v32
	v_lshl_add_u32 v25, v28, 2, v30
	s_barrier_signal -1
	s_barrier_wait -1
	ds_store_b32 v32, v64
	ds_store_b32 v30, v65
	s_wait_dscnt 0x0
	s_barrier_signal -1
	s_barrier_wait -1
	ds_load_b32 v31, v50
	ds_load_b32 v29, v53
	s_wait_dscnt 0x0
	s_barrier_signal -1
	s_barrier_wait -1
	ds_store_b64 v24, v[20:21]
	ds_store_b64 v25, v[18:19]
	s_wait_dscnt 0x0
	s_barrier_signal -1
	s_barrier_wait -1
	ds_load_b64 v[24:25], v5
	ds_load_b64 v[26:27], v54
	v_add_nc_u32_e32 v55, -8, v55
	s_xor_b32 s14, exec_lo, -1
	s_wait_dscnt 0x0
	s_barrier_signal -1
	s_barrier_wait -1
	s_branch .LBB1319_334
.LBB1319_347:
	flat_load_b64 v[28:29], v[0:1]
	s_wait_xcnt 0x0
	s_or_b32 exec_lo, exec_lo, s3
                                        ; implicit-def: $vgpr30_vgpr31
	s_and_saveexec_b32 s3, s0
	s_cbranch_execz .LBB1319_274
.LBB1319_348:
	flat_load_b64 v[30:31], v[0:1] offset:256
	s_wait_xcnt 0x0
	s_or_b32 exec_lo, exec_lo, s3
                                        ; implicit-def: $vgpr32_vgpr33
	s_and_saveexec_b32 s0, s1
	s_cbranch_execz .LBB1319_275
.LBB1319_349:
	flat_load_b64 v[32:33], v[0:1] offset:512
	s_wait_xcnt 0x0
	s_or_b32 exec_lo, exec_lo, s0
                                        ; implicit-def: $vgpr34_vgpr35
	s_and_saveexec_b32 s0, s2
	s_cbranch_execnz .LBB1319_276
	s_branch .LBB1319_277
.LBB1319_350:
	flat_store_b64 v[0:1], v[14:15]
	s_wait_xcnt 0x0
	s_or_b32 exec_lo, exec_lo, s3
	s_and_saveexec_b32 s3, s0
	s_cbranch_execz .LBB1319_319
.LBB1319_351:
	flat_store_b64 v[0:1], v[16:17] offset:2048
	s_wait_xcnt 0x0
	s_or_b32 exec_lo, exec_lo, s3
	s_and_saveexec_b32 s0, s1
	s_cbranch_execz .LBB1319_320
.LBB1319_352:
	flat_store_b64 v[0:1], v[10:11] offset:4096
	s_wait_xcnt 0x0
	s_or_b32 exec_lo, exec_lo, s0
	s_and_saveexec_b32 s0, s2
	s_cbranch_execnz .LBB1319_321
	s_branch .LBB1319_322
.LBB1319_353:
	s_or_b32 exec_lo, exec_lo, s20
	v_lshl_add_u32 v0, v0, 2, v32
	v_lshl_add_u32 v1, v28, 2, v30
	s_barrier_signal -1
	s_barrier_wait -1
	ds_store_b32 v32, v64
	ds_store_b32 v30, v65
	s_wait_dscnt 0x0
	s_barrier_signal -1
	s_barrier_wait -1
	ds_load_2addr_stride64_b32 v[4:5], v4 offset1:4
	s_wait_dscnt 0x0
	s_barrier_signal -1
	s_barrier_wait -1
	ds_store_b64 v0, v[20:21]
	ds_store_b64 v1, v[18:19]
	v_lshl_add_u32 v0, v22, 3, v12
	s_wait_dscnt 0x0
	s_barrier_signal -1
	s_barrier_wait -1
	ds_load_2addr_stride64_b64 v[10:13], v0 offset1:4
	v_lshl_add_u64 v[0:1], v[8:9], 2, v[2:3]
	v_mov_b32_e32 v15, 0
	s_set_vgpr_msb 4                        ;  msbs: dst=0 src0=0 src1=1 src2=0
	v_cmp_lt_u32_e32 vcc_lo, v14, v10 /*v266*/
	s_wait_dscnt 0x0
	s_barrier_signal -1
	s_barrier_wait -1
	v_lshl_add_u64 v[0:1], v[14:15], 2, v[0:1]
	s_and_saveexec_b32 s1, vcc_lo
	s_set_vgpr_msb 0                        ;  msbs: dst=0 src0=0 src1=0 src2=0
	s_cbranch_execz .LBB1319_355
; %bb.354:
	v_cmp_gt_i32_e64 s0, 0, v4
	s_delay_alu instid0(VALU_DEP_1) | instskip(NEXT) | instid1(VALU_DEP_1)
	v_cndmask_b32_e64 v2, 0x7fffffff, 0, s0
	v_xor_b32_e32 v2, v2, v4
	flat_store_b32 v[0:1], v2
.LBB1319_355:
	s_wait_xcnt 0x0
	s_or_b32 exec_lo, exec_lo, s1
	v_add_nc_u32_e32 v2, 0x100, v14
	s_set_vgpr_msb 4                        ;  msbs: dst=0 src0=0 src1=1 src2=0
	s_delay_alu instid0(VALU_DEP_1)
	v_cmp_lt_u32_e64 s0, v2, v10 /*v266*/
	s_and_saveexec_b32 s2, s0
	s_set_vgpr_msb 0                        ;  msbs: dst=0 src0=0 src1=0 src2=0
	s_cbranch_execz .LBB1319_357
; %bb.356:
	v_cmp_gt_i32_e64 s1, 0, v5
	s_delay_alu instid0(VALU_DEP_1) | instskip(NEXT) | instid1(VALU_DEP_1)
	v_cndmask_b32_e64 v2, 0x7fffffff, 0, s1
	v_xor_b32_e32 v2, v2, v5
	flat_store_b32 v[0:1], v2 offset:1024
.LBB1319_357:
	s_wait_xcnt 0x0
	s_or_b32 exec_lo, exec_lo, s2
	v_lshl_add_u64 v[0:1], v[8:9], 3, v[6:7]
	s_delay_alu instid0(VALU_DEP_1)
	v_lshl_add_u64 v[0:1], v[14:15], 3, v[0:1]
	s_and_saveexec_b32 s1, vcc_lo
	s_cbranch_execz .LBB1319_359
; %bb.358:
	flat_store_b64 v[0:1], v[10:11]
.LBB1319_359:
	s_wait_xcnt 0x0
	s_or_b32 exec_lo, exec_lo, s1
	s_and_saveexec_b32 s1, s0
	s_cbranch_execz .LBB1319_361
; %bb.360:
	flat_store_b64 v[0:1], v[12:13] offset:2048
.LBB1319_361:
	s_wait_xcnt 0x0
	s_or_b32 exec_lo, exec_lo, s1
                                        ; implicit-def: $vgpr14
                                        ; implicit-def: $vgpr8_vgpr9
                                        ; implicit-def: $vgpr266
                                        ; implicit-def: $vgpr10
                                        ; implicit-def: $vgpr11
                                        ; implicit-def: $vgpr0_vgpr1
                                        ; implicit-def: $vgpr2_vgpr3
                                        ; implicit-def: $vgpr4_vgpr5
                                        ; implicit-def: $vgpr6_vgpr7
                                        ; implicit-def: $vgpr12_vgpr13
                                        ; implicit-def: $vgpr22
                                        ; implicit-def: $vgpr68
.LBB1319_362:
	s_and_not1_saveexec_b32 s0, s18
	s_cbranch_execz .LBB1319_382
; %bb.363:
	s_delay_alu instid0(VALU_DEP_3) | instskip(NEXT) | instid1(VALU_DEP_1)
	v_and_b32_e32 v18, 0xffffffe0, v14
	v_dual_mov_b32 v15, -1 :: v_dual_bitop2_b32 v16, v68, v18 bitop3:0x54
	s_set_vgpr_msb 4                        ;  msbs: dst=0 src0=0 src1=1 src2=0
	s_delay_alu instid0(VALU_DEP_1)
	v_cmp_lt_u32_e32 vcc_lo, v16, v10 /*v266*/
	s_and_saveexec_b32 s0, vcc_lo
	s_set_vgpr_msb 0                        ;  msbs: dst=0 src0=0 src1=0 src2=0
	s_cbranch_execz .LBB1319_365
; %bb.364:
	v_lshl_add_u64 v[0:1], v[8:9], 2, v[0:1]
	v_dual_mov_b32 v17, 0 :: v_dual_lshlrev_b32 v16, 2, v68
	s_delay_alu instid0(VALU_DEP_1) | instskip(SKIP_1) | instid1(VALU_DEP_1)
	v_add_nc_u64_e32 v[0:1], v[0:1], v[16:17]
	v_mov_b32_e32 v19, v17
	v_lshl_add_u64 v[0:1], v[18:19], 2, v[0:1]
	flat_load_b32 v15, v[0:1]
.LBB1319_365:
	s_wait_xcnt 0x0
	s_or_b32 exec_lo, exec_lo, s0
                                        ; implicit-def: $vgpr16_vgpr17
	s_and_saveexec_b32 s0, vcc_lo
	s_cbranch_execz .LBB1319_367
; %bb.366:
	v_lshl_add_u64 v[0:1], v[8:9], 3, v[4:5]
	v_dual_mov_b32 v5, 0 :: v_dual_lshlrev_b32 v4, 3, v68
	s_delay_alu instid0(VALU_DEP_1) | instskip(SKIP_1) | instid1(VALU_DEP_1)
	v_add_nc_u64_e32 v[0:1], v[0:1], v[4:5]
	v_mov_b32_e32 v19, v5
	v_lshl_add_u64 v[0:1], v[18:19], 3, v[0:1]
	flat_load_b64 v[16:17], v[0:1]
.LBB1319_367:
	s_wait_xcnt 0x0
	s_or_b32 exec_lo, exec_lo, s0
	s_wait_loadcnt_dscnt 0x0
	v_cmp_gt_i32_e32 vcc_lo, 0, v15
	v_lshl_add_u32 v1, v22, 5, v12
	v_and_b32_e32 v4, 0x3e0, v22
	v_sub_co_u32 v19, s2, v68, 1
	v_cndmask_b32_e64 v0, 0x7fffffff, 0, vcc_lo
	s_delay_alu instid0(VALU_DEP_4) | instskip(SKIP_1) | instid1(VALU_DEP_3)
	v_dual_add_nc_u32 v23, 36, v1 :: v_dual_add_nc_u32 v26, 40, v1
	v_dual_add_nc_u32 v27, 44, v1 :: v_dual_add_nc_u32 v28, 48, v1
	v_dual_add_nc_u32 v15, 32, v1 :: v_dual_bitop2_b32 v0, v0, v15 bitop3:0x14
	v_dual_add_nc_u32 v29, 52, v1 :: v_dual_bitop2_b32 v5, 15, v68 bitop3:0x40
	v_dual_add_nc_u32 v30, 56, v1 :: v_dual_add_nc_u32 v31, 60, v1
	v_min_u32_e32 v1, 0xe0, v4
	v_cmp_gt_i32_e64 s6, 0, v19
	s_get_pc_i64 s[0:1]
	s_add_nc_u64 s[0:1], s[0:1], _ZN7rocprim17ROCPRIM_400000_NS16block_radix_sortIfLj256ELj1ElLj1ELj1ELj8ELNS0_26block_radix_rank_algorithmE2ELNS0_18block_padding_hintE2ELNS0_4arch9wavefront6targetE0EE19radix_bits_per_passE@rel64+4
	v_dual_lshrrev_b32 v32, 5, v14 :: v_dual_bitop2_b32 v18, 16, v68 bitop3:0x40
	v_or_b32_e32 v1, 31, v1
	s_load_b32 s18, s[0:1], 0x0
	v_cmp_eq_u32_e32 vcc_lo, 0, v5
	s_wait_xcnt 0x0
	v_cmp_lt_u32_e64 s0, 1, v5
	v_cmp_lt_u32_e64 s1, 3, v5
	;; [unrolled: 1-line block ×3, first 2 shown]
	v_cndmask_b32_e64 v5, v19, v68, s6
	v_cmp_eq_u32_e64 s5, v22, v1
	v_dual_lshrrev_b32 v1, 3, v22 :: v_dual_bitop2_b32 v4, v68, v4 bitop3:0x54
	v_cmp_eq_u32_e64 s4, 0, v18
	s_delay_alu instid0(VALU_DEP_4) | instskip(NEXT) | instid1(VALU_DEP_3)
	v_dual_lshlrev_b32 v34, 2, v5 :: v_dual_bitop2_b32 v5, 7, v68 bitop3:0x40
	v_and_b32_e32 v1, 0x7c, v1
	s_delay_alu instid0(VALU_DEP_4)
	v_lshlrev_b32_e32 v18, 2, v4
	v_cmp_gt_u32_e64 s6, 8, v22
	v_cmp_lt_u32_e64 s7, 31, v22
	v_cmp_eq_u32_e64 s9, 0, v5
	v_dual_add_nc_u32 v35, v12, v1 :: v_dual_mov_b32 v1, 0
	v_add_nc_u32_e32 v36, v12, v18
	v_cmp_lt_u32_e64 s10, 1, v5
	v_cmp_lt_u32_e64 s11, 3, v5
	v_mov_b64_e32 v[4:5], 0
	v_cmp_eq_u32_e64 s8, 0, v22
	v_lshl_add_u32 v33, v22, 2, v12
	v_dual_add_nc_u32 v37, -4, v35 :: v_dual_add_nc_u32 v38, v36, v18
	v_sub_nc_u32_e32 v39, v11, v10
	s_mov_b32 s19, 0
	s_wait_storecnt 0x0
	s_barrier_signal -1
	s_barrier_wait -1
	s_branch .LBB1319_369
.LBB1319_368:                           ;   in Loop: Header=BB1319_369 Depth=1
	s_or_b32 exec_lo, exec_lo, s13
	s_delay_alu instid0(SALU_CYCLE_1) | instskip(NEXT) | instid1(SALU_CYCLE_1)
	s_and_b32 s12, exec_lo, s14
	s_or_b32 s19, s12, s19
	s_delay_alu instid0(SALU_CYCLE_1)
	s_and_not1_b32 exec_lo, exec_lo, s19
	s_cbranch_execz .LBB1319_379
.LBB1319_369:                           ; =>This Inner Loop Header: Depth=1
	v_mov_b32_e32 v48, v0
	s_wait_kmcnt 0x0
	v_min_u32_e32 v0, s18, v39
	ds_store_b64 v15, v[4:5]
	ds_store_b64 v26, v[4:5]
	;; [unrolled: 1-line block ×4, first 2 shown]
	s_wait_dscnt 0x0
	v_cmp_ne_u32_e64 s12, 0x80000000, v48
	v_lshlrev_b32_e64 v0, v0, -1
	s_barrier_signal -1
	s_barrier_wait -1
	s_delay_alu instid0(VALU_DEP_2) | instskip(NEXT) | instid1(VALU_DEP_1)
	v_cndmask_b32_e64 v18, 0x7fffffff, v48, s12
	; wave barrier
	v_lshrrev_b32_e32 v18, v10, v18
	s_delay_alu instid0(VALU_DEP_1) | instskip(SKIP_1) | instid1(VALU_DEP_2)
	v_bitop3_b32 v19, v18, 1, v0 bitop3:0x40
	v_bitop3_b32 v0, v18, v0, v18 bitop3:0x30
	v_add_co_u32 v18, s12, v19, -1
	s_delay_alu instid0(VALU_DEP_1) | instskip(NEXT) | instid1(VALU_DEP_3)
	v_cndmask_b32_e64 v19, 0, 1, s12
	v_dual_lshlrev_b32 v20, 30, v0 :: v_dual_lshlrev_b32 v21, 29, v0
	v_dual_lshlrev_b32 v24, 28, v0 :: v_dual_lshlrev_b32 v25, 27, v0
	s_delay_alu instid0(VALU_DEP_3) | instskip(NEXT) | instid1(VALU_DEP_3)
	v_cmp_ne_u32_e64 s12, 0, v19
	v_not_b32_e32 v19, v20
	v_dual_lshlrev_b32 v49, 26, v0 :: v_dual_lshlrev_b32 v50, 25, v0
	v_lshlrev_b32_e32 v51, 24, v0
	v_cmp_gt_i32_e64 s13, 0, v20
	v_cmp_gt_i32_e64 s14, 0, v21
	v_not_b32_e32 v20, v21
	v_not_b32_e32 v21, v24
	v_ashrrev_i32_e32 v19, 31, v19
	v_cmp_gt_i32_e64 s15, 0, v24
	v_cmp_gt_i32_e64 s16, 0, v25
	v_not_b32_e32 v24, v25
	v_not_b32_e32 v25, v49
	v_dual_ashrrev_i32 v20, 31, v20 :: v_dual_bitop2_b32 v18, s12, v18 bitop3:0x14
	s_delay_alu instid0(VALU_DEP_3) | instskip(NEXT) | instid1(VALU_DEP_3)
	v_dual_ashrrev_i32 v21, 31, v21 :: v_dual_ashrrev_i32 v24, 31, v24
	v_dual_ashrrev_i32 v25, 31, v25 :: v_dual_bitop2_b32 v19, s13, v19 bitop3:0x14
	v_cmp_gt_i32_e64 s17, 0, v49
	v_not_b32_e32 v49, v50
	v_xor_b32_e32 v20, s14, v20
	s_delay_alu instid0(VALU_DEP_4)
	v_bitop3_b32 v18, v18, v19, exec_lo bitop3:0x80
	v_not_b32_e32 v19, v51
	v_xor_b32_e32 v21, s15, v21
	v_xor_b32_e32 v24, s16, v24
	;; [unrolled: 1-line block ×3, first 2 shown]
	v_cmp_gt_i32_e64 s12, 0, v50
	v_ashrrev_i32_e32 v49, 31, v49
	v_cmp_gt_i32_e64 s13, 0, v51
	v_ashrrev_i32_e32 v19, 31, v19
	v_bitop3_b32 v18, v18, v21, v20 bitop3:0x80
	v_lshl_add_u32 v0, v0, 3, v32
	v_xor_b32_e32 v20, s12, v49
	s_delay_alu instid0(VALU_DEP_4) | instskip(NEXT) | instid1(VALU_DEP_4)
	v_xor_b32_e32 v19, s13, v19
	v_bitop3_b32 v18, v18, v25, v24 bitop3:0x80
	s_delay_alu instid0(VALU_DEP_1) | instskip(SKIP_2) | instid1(VALU_DEP_3)
	v_bitop3_b32 v20, v18, v19, v20 bitop3:0x80
	v_mov_b64_e32 v[18:19], v[16:17]
	v_lshl_add_u64 v[16:17], v[0:1], 2, v[12:13]
	v_mbcnt_lo_u32_b32 v0, v20, 0
	v_cmp_ne_u32_e64 s13, 0, v20
	s_delay_alu instid0(VALU_DEP_3) | instskip(NEXT) | instid1(VALU_DEP_3)
	v_add_nc_u64_e32 v[16:17], 32, v[16:17]
	v_cmp_eq_u32_e64 s12, 0, v0
	s_and_b32 s13, s13, s12
	s_delay_alu instid0(SALU_CYCLE_1)
	s_and_saveexec_b32 s12, s13
; %bb.370:                              ;   in Loop: Header=BB1319_369 Depth=1
	v_bcnt_u32_b32 v17, v20, 0
	ds_store_b32 v16, v17
; %bb.371:                              ;   in Loop: Header=BB1319_369 Depth=1
	s_or_b32 exec_lo, exec_lo, s12
	; wave barrier
	s_wait_dscnt 0x0
	s_barrier_signal -1
	s_barrier_wait -1
	ds_load_b32 v20, v15
	ds_load_b32 v21, v23
	;; [unrolled: 1-line block ×8, first 2 shown]
	s_wait_dscnt 0x6
	v_add_nc_u32_e32 v52, v21, v20
	s_wait_dscnt 0x4
	s_delay_alu instid0(VALU_DEP_1) | instskip(SKIP_1) | instid1(VALU_DEP_1)
	v_add3_u32 v52, v52, v24, v25
	s_wait_dscnt 0x2
	v_add3_u32 v52, v52, v49, v50
	s_wait_dscnt 0x0
	s_delay_alu instid0(VALU_DEP_1) | instskip(NEXT) | instid1(VALU_DEP_1)
	v_add3_u32 v51, v52, v17, v51
	v_mov_b32_dpp v52, v51 row_shr:1 row_mask:0xf bank_mask:0xf
	s_delay_alu instid0(VALU_DEP_1) | instskip(NEXT) | instid1(VALU_DEP_1)
	v_cndmask_b32_e64 v52, v52, 0, vcc_lo
	v_add_nc_u32_e32 v51, v52, v51
	s_delay_alu instid0(VALU_DEP_1) | instskip(NEXT) | instid1(VALU_DEP_1)
	v_mov_b32_dpp v52, v51 row_shr:2 row_mask:0xf bank_mask:0xf
	v_cndmask_b32_e64 v52, 0, v52, s0
	s_delay_alu instid0(VALU_DEP_1) | instskip(NEXT) | instid1(VALU_DEP_1)
	v_add_nc_u32_e32 v51, v51, v52
	v_mov_b32_dpp v52, v51 row_shr:4 row_mask:0xf bank_mask:0xf
	s_delay_alu instid0(VALU_DEP_1) | instskip(NEXT) | instid1(VALU_DEP_1)
	v_cndmask_b32_e64 v52, 0, v52, s1
	v_add_nc_u32_e32 v51, v51, v52
	s_delay_alu instid0(VALU_DEP_1) | instskip(NEXT) | instid1(VALU_DEP_1)
	v_mov_b32_dpp v52, v51 row_shr:8 row_mask:0xf bank_mask:0xf
	v_cndmask_b32_e64 v52, 0, v52, s3
	s_delay_alu instid0(VALU_DEP_1) | instskip(SKIP_3) | instid1(VALU_DEP_1)
	v_add_nc_u32_e32 v51, v51, v52
	ds_swizzle_b32 v52, v51 offset:swizzle(BROADCAST,32,15)
	s_wait_dscnt 0x0
	v_cndmask_b32_e64 v52, v52, 0, s4
	v_add_nc_u32_e32 v51, v51, v52
	s_and_saveexec_b32 s12, s5
; %bb.372:                              ;   in Loop: Header=BB1319_369 Depth=1
	ds_store_b32 v35, v51
; %bb.373:                              ;   in Loop: Header=BB1319_369 Depth=1
	s_or_b32 exec_lo, exec_lo, s12
	s_wait_dscnt 0x0
	s_barrier_signal -1
	s_barrier_wait -1
	s_and_saveexec_b32 s12, s6
	s_cbranch_execz .LBB1319_375
; %bb.374:                              ;   in Loop: Header=BB1319_369 Depth=1
	ds_load_b32 v52, v33
	s_wait_dscnt 0x0
	v_mov_b32_dpp v53, v52 row_shr:1 row_mask:0xf bank_mask:0xf
	s_delay_alu instid0(VALU_DEP_1) | instskip(NEXT) | instid1(VALU_DEP_1)
	v_cndmask_b32_e64 v53, v53, 0, s9
	v_add_nc_u32_e32 v52, v53, v52
	s_delay_alu instid0(VALU_DEP_1) | instskip(NEXT) | instid1(VALU_DEP_1)
	v_mov_b32_dpp v53, v52 row_shr:2 row_mask:0xf bank_mask:0xf
	v_cndmask_b32_e64 v53, 0, v53, s10
	s_delay_alu instid0(VALU_DEP_1) | instskip(NEXT) | instid1(VALU_DEP_1)
	v_add_nc_u32_e32 v52, v52, v53
	v_mov_b32_dpp v53, v52 row_shr:4 row_mask:0xf bank_mask:0xf
	s_delay_alu instid0(VALU_DEP_1) | instskip(NEXT) | instid1(VALU_DEP_1)
	v_cndmask_b32_e64 v53, 0, v53, s11
	v_add_nc_u32_e32 v52, v52, v53
	ds_store_b32 v33, v52
.LBB1319_375:                           ;   in Loop: Header=BB1319_369 Depth=1
	s_or_b32 exec_lo, exec_lo, s12
	v_mov_b32_e32 v52, 0
	s_wait_dscnt 0x0
	s_barrier_signal -1
	s_barrier_wait -1
	s_and_saveexec_b32 s12, s7
; %bb.376:                              ;   in Loop: Header=BB1319_369 Depth=1
	ds_load_b32 v52, v37
; %bb.377:                              ;   in Loop: Header=BB1319_369 Depth=1
	s_or_b32 exec_lo, exec_lo, s12
	s_wait_dscnt 0x0
	v_add_nc_u32_e32 v51, v52, v51
	s_mov_b32 s14, -1
	s_mov_b32 s13, exec_lo
	v_add_nc_u32_e32 v10, 8, v10
	ds_bpermute_b32 v51, v34, v51
	s_wait_dscnt 0x0
	v_cndmask_b32_e64 v51, v51, v52, s2
	s_delay_alu instid0(VALU_DEP_1) | instskip(NEXT) | instid1(VALU_DEP_1)
	v_cndmask_b32_e64 v51, v51, 0, s8
	v_add_nc_u32_e32 v20, v51, v20
	s_delay_alu instid0(VALU_DEP_1) | instskip(NEXT) | instid1(VALU_DEP_1)
	v_add_nc_u32_e32 v21, v20, v21
	v_add_nc_u32_e32 v24, v21, v24
	s_delay_alu instid0(VALU_DEP_1) | instskip(SKIP_4) | instid1(VALU_DEP_1)
	v_add_nc_u32_e32 v25, v24, v25
	ds_store_b32 v15, v51
	ds_store_b32 v23, v20
	;; [unrolled: 1-line block ×3, first 2 shown]
	v_add_nc_u32_e32 v49, v25, v49
	v_add_nc_u32_e32 v50, v49, v50
	s_delay_alu instid0(VALU_DEP_1)
	v_add_nc_u32_e32 v17, v50, v17
	ds_store_b32 v27, v24
	ds_store_b32 v28, v25
	;; [unrolled: 1-line block ×5, first 2 shown]
	s_wait_dscnt 0x0
	s_barrier_signal -1
	s_barrier_wait -1
	ds_load_b32 v16, v16
	s_wait_dscnt 0x0
	v_add_nc_u32_e32 v0, v16, v0
	s_delay_alu instid0(VALU_DEP_1) | instskip(NEXT) | instid1(VALU_DEP_1)
	v_lshlrev_b64_e32 v[16:17], 2, v[0:1]
                                        ; implicit-def: $vgpr0
	v_add_nc_u64_e32 v[24:25], v[12:13], v[16:17]
	s_delay_alu instid0(VALU_DEP_1)
	v_add_nc_u64_e32 v[20:21], v[24:25], v[16:17]
                                        ; implicit-def: $vgpr16_vgpr17
	v_cmpx_lt_u32_e64 v10, v11
	s_cbranch_execz .LBB1319_368
; %bb.378:                              ;   in Loop: Header=BB1319_369 Depth=1
	s_barrier_signal -1
	s_barrier_wait -1
	ds_store_b32 v24, v48
	s_wait_dscnt 0x0
	s_barrier_signal -1
	s_barrier_wait -1
	ds_load_b32 v0, v36
	s_wait_dscnt 0x0
	s_barrier_signal -1
	s_barrier_wait -1
	ds_store_b64 v20, v[18:19]
	s_wait_dscnt 0x0
	s_barrier_signal -1
	s_barrier_wait -1
	ds_load_b64 v[16:17], v38
	v_add_nc_u32_e32 v39, -8, v39
	s_xor_b32 s14, exec_lo, -1
	s_wait_dscnt 0x0
	s_barrier_signal -1
	s_barrier_wait -1
	s_branch .LBB1319_368
.LBB1319_379:
	s_or_b32 exec_lo, exec_lo, s19
	v_lshl_add_u32 v0, v22, 3, v12
	s_barrier_signal -1
	s_barrier_wait -1
	ds_store_b32 v24, v48
	s_wait_dscnt 0x0
	s_barrier_signal -1
	s_barrier_wait -1
	ds_load_b32 v4, v33
	s_wait_dscnt 0x0
	s_barrier_signal -1
	s_barrier_wait -1
	ds_store_b64 v20, v[18:19]
	s_wait_dscnt 0x0
	s_barrier_signal -1
	s_barrier_wait -1
	ds_load_b64 v[0:1], v0
	s_mov_b32 s0, exec_lo
	s_wait_dscnt 0x0
	s_barrier_signal -1
	s_barrier_wait -1
	s_set_vgpr_msb 4                        ;  msbs: dst=0 src0=0 src1=1 src2=0
	v_cmpx_lt_u32_e64 v14, v10 /*v266*/
	s_set_vgpr_msb 0                        ;  msbs: dst=0 src0=0 src1=0 src2=0
	s_cbranch_execz .LBB1319_381
; %bb.380:
	v_cmp_gt_i32_e32 vcc_lo, 0, v4
	v_lshl_add_u64 v[2:3], v[8:9], 2, v[2:3]
	v_lshl_add_u64 v[6:7], v[8:9], 3, v[6:7]
	v_cndmask_b32_e64 v5, 0x7fffffff, 0, vcc_lo
	s_delay_alu instid0(VALU_DEP_1) | instskip(NEXT) | instid1(VALU_DEP_1)
	v_dual_mov_b32 v15, 0 :: v_dual_bitop2_b32 v8, v5, v4 bitop3:0x14
	v_lshl_add_u64 v[2:3], v[14:15], 2, v[2:3]
	s_delay_alu instid0(VALU_DEP_4)
	v_lshl_add_u64 v[4:5], v[14:15], 3, v[6:7]
	flat_store_b32 v[2:3], v8
	flat_store_b64 v[4:5], v[0:1]
.LBB1319_381:
	s_wait_xcnt 0x0
	s_or_b32 exec_lo, exec_lo, s0
.LBB1319_382:
	s_delay_alu instid0(SALU_CYCLE_1)
	s_or_b32 exec_lo, exec_lo, s21
	s_wait_dscnt 0x0
	s_set_pc_i64 s[30:31]
.Lfunc_end1319:
	.size	_ZN7rocprim17ROCPRIM_400000_NS6detail40segmented_radix_sort_single_block_helperIflLj256ELj17ELb1EE4sortIPKfPfPKlPlEEbT_T0_T1_T2_jjjjRNS3_12storage_typeE, .Lfunc_end1319-_ZN7rocprim17ROCPRIM_400000_NS6detail40segmented_radix_sort_single_block_helperIflLj256ELj17ELb1EE4sortIPKfPfPKlPlEEbT_T0_T1_T2_jjjjRNS3_12storage_typeE
                                        ; -- End function
	.set .L_ZN7rocprim17ROCPRIM_400000_NS6detail40segmented_radix_sort_single_block_helperIflLj256ELj17ELb1EE4sortIPKfPfPKlPlEEbT_T0_T1_T2_jjjjRNS3_12storage_typeE.num_vgpr, 320
	.set .L_ZN7rocprim17ROCPRIM_400000_NS6detail40segmented_radix_sort_single_block_helperIflLj256ELj17ELb1EE4sortIPKfPfPKlPlEEbT_T0_T1_T2_jjjjRNS3_12storage_typeE.num_agpr, 0
	.set .L_ZN7rocprim17ROCPRIM_400000_NS6detail40segmented_radix_sort_single_block_helperIflLj256ELj17ELb1EE4sortIPKfPfPKlPlEEbT_T0_T1_T2_jjjjRNS3_12storage_typeE.numbered_sgpr, 32
	.set .L_ZN7rocprim17ROCPRIM_400000_NS6detail40segmented_radix_sort_single_block_helperIflLj256ELj17ELb1EE4sortIPKfPfPKlPlEEbT_T0_T1_T2_jjjjRNS3_12storage_typeE.num_named_barrier, 0
	.set .L_ZN7rocprim17ROCPRIM_400000_NS6detail40segmented_radix_sort_single_block_helperIflLj256ELj17ELb1EE4sortIPKfPfPKlPlEEbT_T0_T1_T2_jjjjRNS3_12storage_typeE.private_seg_size, 0
	.set .L_ZN7rocprim17ROCPRIM_400000_NS6detail40segmented_radix_sort_single_block_helperIflLj256ELj17ELb1EE4sortIPKfPfPKlPlEEbT_T0_T1_T2_jjjjRNS3_12storage_typeE.uses_vcc, 1
	.set .L_ZN7rocprim17ROCPRIM_400000_NS6detail40segmented_radix_sort_single_block_helperIflLj256ELj17ELb1EE4sortIPKfPfPKlPlEEbT_T0_T1_T2_jjjjRNS3_12storage_typeE.uses_flat_scratch, 0
	.set .L_ZN7rocprim17ROCPRIM_400000_NS6detail40segmented_radix_sort_single_block_helperIflLj256ELj17ELb1EE4sortIPKfPfPKlPlEEbT_T0_T1_T2_jjjjRNS3_12storage_typeE.has_dyn_sized_stack, 0
	.set .L_ZN7rocprim17ROCPRIM_400000_NS6detail40segmented_radix_sort_single_block_helperIflLj256ELj17ELb1EE4sortIPKfPfPKlPlEEbT_T0_T1_T2_jjjjRNS3_12storage_typeE.has_recursion, 0
	.set .L_ZN7rocprim17ROCPRIM_400000_NS6detail40segmented_radix_sort_single_block_helperIflLj256ELj17ELb1EE4sortIPKfPfPKlPlEEbT_T0_T1_T2_jjjjRNS3_12storage_typeE.has_indirect_call, 0
	.section	.AMDGPU.csdata,"",@progbits
; Function info:
; codeLenInByte = 32764
; TotalNumSgprs: 34
; NumVgprs: 320
; ScratchSize: 0
; MemoryBound: 1
	.section	.text._ZN7rocprim17ROCPRIM_400000_NS6detail17trampoline_kernelINS0_14default_configENS1_36segmented_radix_sort_config_selectorIflEEZNS1_25segmented_radix_sort_implIS3_Lb1EPKfPfPKlPlN2at6native12_GLOBAL__N_18offset_tEEE10hipError_tPvRmT1_PNSt15iterator_traitsISK_E10value_typeET2_T3_PNSL_ISQ_E10value_typeET4_jRbjT5_SW_jjP12ihipStream_tbEUlT_E_NS1_11comp_targetILNS1_3genE0ELNS1_11target_archE4294967295ELNS1_3gpuE0ELNS1_3repE0EEENS1_30default_config_static_selectorELNS0_4arch9wavefront6targetE0EEEvSK_,"axG",@progbits,_ZN7rocprim17ROCPRIM_400000_NS6detail17trampoline_kernelINS0_14default_configENS1_36segmented_radix_sort_config_selectorIflEEZNS1_25segmented_radix_sort_implIS3_Lb1EPKfPfPKlPlN2at6native12_GLOBAL__N_18offset_tEEE10hipError_tPvRmT1_PNSt15iterator_traitsISK_E10value_typeET2_T3_PNSL_ISQ_E10value_typeET4_jRbjT5_SW_jjP12ihipStream_tbEUlT_E_NS1_11comp_targetILNS1_3genE0ELNS1_11target_archE4294967295ELNS1_3gpuE0ELNS1_3repE0EEENS1_30default_config_static_selectorELNS0_4arch9wavefront6targetE0EEEvSK_,comdat
	.globl	_ZN7rocprim17ROCPRIM_400000_NS6detail17trampoline_kernelINS0_14default_configENS1_36segmented_radix_sort_config_selectorIflEEZNS1_25segmented_radix_sort_implIS3_Lb1EPKfPfPKlPlN2at6native12_GLOBAL__N_18offset_tEEE10hipError_tPvRmT1_PNSt15iterator_traitsISK_E10value_typeET2_T3_PNSL_ISQ_E10value_typeET4_jRbjT5_SW_jjP12ihipStream_tbEUlT_E_NS1_11comp_targetILNS1_3genE0ELNS1_11target_archE4294967295ELNS1_3gpuE0ELNS1_3repE0EEENS1_30default_config_static_selectorELNS0_4arch9wavefront6targetE0EEEvSK_ ; -- Begin function _ZN7rocprim17ROCPRIM_400000_NS6detail17trampoline_kernelINS0_14default_configENS1_36segmented_radix_sort_config_selectorIflEEZNS1_25segmented_radix_sort_implIS3_Lb1EPKfPfPKlPlN2at6native12_GLOBAL__N_18offset_tEEE10hipError_tPvRmT1_PNSt15iterator_traitsISK_E10value_typeET2_T3_PNSL_ISQ_E10value_typeET4_jRbjT5_SW_jjP12ihipStream_tbEUlT_E_NS1_11comp_targetILNS1_3genE0ELNS1_11target_archE4294967295ELNS1_3gpuE0ELNS1_3repE0EEENS1_30default_config_static_selectorELNS0_4arch9wavefront6targetE0EEEvSK_
	.p2align	8
	.type	_ZN7rocprim17ROCPRIM_400000_NS6detail17trampoline_kernelINS0_14default_configENS1_36segmented_radix_sort_config_selectorIflEEZNS1_25segmented_radix_sort_implIS3_Lb1EPKfPfPKlPlN2at6native12_GLOBAL__N_18offset_tEEE10hipError_tPvRmT1_PNSt15iterator_traitsISK_E10value_typeET2_T3_PNSL_ISQ_E10value_typeET4_jRbjT5_SW_jjP12ihipStream_tbEUlT_E_NS1_11comp_targetILNS1_3genE0ELNS1_11target_archE4294967295ELNS1_3gpuE0ELNS1_3repE0EEENS1_30default_config_static_selectorELNS0_4arch9wavefront6targetE0EEEvSK_,@function
_ZN7rocprim17ROCPRIM_400000_NS6detail17trampoline_kernelINS0_14default_configENS1_36segmented_radix_sort_config_selectorIflEEZNS1_25segmented_radix_sort_implIS3_Lb1EPKfPfPKlPlN2at6native12_GLOBAL__N_18offset_tEEE10hipError_tPvRmT1_PNSt15iterator_traitsISK_E10value_typeET2_T3_PNSL_ISQ_E10value_typeET4_jRbjT5_SW_jjP12ihipStream_tbEUlT_E_NS1_11comp_targetILNS1_3genE0ELNS1_11target_archE4294967295ELNS1_3gpuE0ELNS1_3repE0EEENS1_30default_config_static_selectorELNS0_4arch9wavefront6targetE0EEEvSK_: ; @_ZN7rocprim17ROCPRIM_400000_NS6detail17trampoline_kernelINS0_14default_configENS1_36segmented_radix_sort_config_selectorIflEEZNS1_25segmented_radix_sort_implIS3_Lb1EPKfPfPKlPlN2at6native12_GLOBAL__N_18offset_tEEE10hipError_tPvRmT1_PNSt15iterator_traitsISK_E10value_typeET2_T3_PNSL_ISQ_E10value_typeET4_jRbjT5_SW_jjP12ihipStream_tbEUlT_E_NS1_11comp_targetILNS1_3genE0ELNS1_11target_archE4294967295ELNS1_3gpuE0ELNS1_3repE0EEENS1_30default_config_static_selectorELNS0_4arch9wavefront6targetE0EEEvSK_
; %bb.0:
	s_load_b64 s[8:9], s[2:3], 0x38
	s_bfe_u32 s4, ttmp6, 0x4000c
	s_and_b32 s5, ttmp6, 15
	s_add_co_i32 s4, s4, 1
	s_getreg_b32 s33, hwreg(HW_REG_IB_STS2, 6, 4)
	s_mul_i32 s4, ttmp9, s4
	s_mov_b32 s32, 0
	s_add_co_i32 s5, s5, s4
	s_cmp_eq_u32 s33, 0
	s_cselect_b32 s51, ttmp9, s5
	s_load_b128 s[4:7], s[2:3], 0x40
	s_wait_kmcnt 0x0
	s_load_b32 s10, s[8:9], s51 offset:0x0 scale_offset
	s_wait_kmcnt 0x0
	s_add_co_i32 s54, s10, s7
	s_add_co_i32 s55, s10, s5
	s_mul_i32 s54, s54, s6
	s_mul_i32 s55, s55, s4
	s_delay_alu instid0(SALU_CYCLE_1)
	s_cmp_le_u32 s54, s55
	s_cbranch_scc1 .LBB1320_1254
; %bb.1:
	s_clause 0x3
	s_load_b32 s4, s[2:3], 0x30
	s_load_b128 s[44:47], s[2:3], 0x20
	s_load_b96 s[48:50], s[2:3], 0x50
	s_load_b256 s[36:43], s[2:3], 0x0
	s_wait_kmcnt 0x0
	s_bitcmp1_b32 s4, 0
	s_mov_b32 s4, -1
	s_cselect_b32 s56, -1, 0
	s_sub_co_i32 s57, s54, s55
	s_delay_alu instid0(SALU_CYCLE_1)
	s_cmp_lt_u32 s57, 0x1101
	s_cbranch_scc0 .LBB1320_7
; %bb.2:
	v_cndmask_b32_e64 v1, 0, 1, s56
	s_and_b32 s4, s48, 1
	s_get_pc_i64 s[26:27]
	s_add_nc_u64 s[26:27], s[26:27], _ZN7rocprim17ROCPRIM_400000_NS6detail40segmented_radix_sort_single_block_helperIflLj256ELj17ELb1EE4sortIPKfPfPKlPlEEbT_T0_T1_T2_jjjjRNS3_12storage_typeE@rel64+4
	s_delay_alu instid0(VALU_DEP_1)
	v_cmp_ne_u32_e32 vcc_lo, s4, v1
	s_mov_b32 s4, -1
	s_cbranch_vccnz .LBB1320_4
; %bb.3:
	s_mov_b64 s[4:5], src_shared_base
	v_dual_mov_b32 v31, v0 :: v_dual_mov_b32 v40, v0
	v_dual_mov_b32 v0, s36 :: v_dual_mov_b32 v1, s37
	;; [unrolled: 1-line block ×8, first 2 shown]
	s_add_nc_u64 s[8:9], s[2:3], 0x60
	s_mov_b64 s[6:7], s[0:1]
	s_mov_b64 s[28:29], s[2:3]
	;; [unrolled: 1-line block ×3, first 2 shown]
	s_swap_pc_i64 s[30:31], s[26:27]
	v_mov_b32_e32 v0, v40
	s_mov_b64 s[0:1], s[34:35]
	s_mov_b64 s[2:3], s[28:29]
	s_mov_b32 s4, 0
.LBB1320_4:
	s_delay_alu instid0(SALU_CYCLE_1)
	s_and_not1_b32 vcc_lo, exec_lo, s4
	s_cbranch_vccnz .LBB1320_6
; %bb.5:
	s_mov_b64 s[4:5], src_shared_base
	v_dual_mov_b32 v31, v0 :: v_dual_mov_b32 v40, v0
	v_dual_mov_b32 v0, s36 :: v_dual_mov_b32 v1, s37
	;; [unrolled: 1-line block ×8, first 2 shown]
	s_add_nc_u64 s[8:9], s[2:3], 0x60
	s_mov_b64 s[6:7], s[0:1]
	s_mov_b64 s[28:29], s[2:3]
	s_swap_pc_i64 s[30:31], s[26:27]
	v_mov_b32_e32 v0, v40
	s_mov_b64 s[2:3], s[28:29]
.LBB1320_6:
	s_mov_b32 s4, 0
.LBB1320_7:
	s_delay_alu instid0(SALU_CYCLE_1)
	s_and_not1_b32 vcc_lo, exec_lo, s4
	s_cbranch_vccnz .LBB1320_1254
; %bb.8:
	s_cmp_ge_u32 s49, s50
	s_cbranch_scc1 .LBB1320_1254
; %bb.9:
	v_and_b32_e32 v2, 0x3ff, v0
	v_dual_mov_b32 v1, 0 :: v_dual_bitop2_b32 v6, 3, v0 bitop3:0x40
	v_and_b32_e32 v7, 0xe0, v0
	s_delay_alu instid0(VALU_DEP_3) | instskip(NEXT) | instid1(VALU_DEP_3)
	v_dual_lshrrev_b32 v9, 3, v0 :: v_dual_lshlrev_b32 v4, 2, v2
	v_dual_mov_b32 v5, v1 :: v_dual_lshlrev_b32 v84, 2, v6
	s_delay_alu instid0(VALU_DEP_3) | instskip(SKIP_1) | instid1(VALU_DEP_4)
	v_min_u32_e32 v8, 0x60, v7
	v_mul_u32_u24_e32 v18, 17, v7
	v_mad_u32_u24 v85, v2, 12, v4
	v_and_b32_e32 v83, 28, v9
	v_mbcnt_lo_u32_b32 v95, -1, 0
	v_or_b32_e32 v8, 31, v8
	s_bfe_u32 s6, ttmp6, 0x40010
	v_dual_add_nc_u32 v90, v85, v4 :: v_dual_bitop2_b32 v6, 31, v7 bitop3:0x54
	v_lshlrev_b32_e32 v7, 4, v2
	v_dual_mov_b32 v17, v1 :: v_dual_add_nc_u32 v88, 0x89fc, v83
	v_bfe_u32 v89, v0, 20, 10
	s_add_nc_u64 s[52:53], s[2:3], 0x60
	v_bfe_u32 v91, v0, 10, 10
	v_sub_nc_u32_e32 v92, v90, v7
	v_cmp_eq_u32_e64 s2, v2, v6
	v_dual_add_nc_u32 v6, 1, v2 :: v_dual_bitop2_b32 v97, 15, v95 bitop3:0x40
	v_dual_lshlrev_b32 v0, 3, v18 :: v_dual_lshlrev_b32 v16, 2, v18
	s_add_co_i32 s6, s6, 1
	v_dual_lshlrev_b32 v24, 2, v95 :: v_dual_bitop2_b32 v101, v95, v18 bitop3:0x54
	s_mul_i32 s6, ttmp7, s6
	s_bfe_u32 s7, ttmp6, 0x40004
	v_cmp_eq_u32_e64 s1, v2, v8
	s_add_co_i32 s9, s7, s6
	v_mul_u32_u24_e32 v93, 36, v6
	v_cmp_ne_u32_e64 s7, 0x80, v6
	v_add_nc_u64_e32 v[6:7], s[46:47], v[0:1]
	v_add_nc_u64_e32 v[8:9], s[40:41], v[16:17]
	;; [unrolled: 1-line block ×9, first 2 shown]
	v_or_b32_e32 v3, 0x100, v2
	v_or_b32_e32 v68, 0x200, v2
	;; [unrolled: 1-line block ×16, first 2 shown]
	v_cmp_gt_u32_e64 s0, 0x80, v2
	v_or_b32_e32 v86, 0x8a00, v83
	v_cmp_gt_u32_e64 s4, 4, v2
	v_dual_mov_b32 v96, 1 :: v_dual_add_nc_u32 v87, 0x8a00, v4
	v_cmp_lt_u32_e64 s5, 31, v2
	v_cmp_gt_u32_e64 s3, 8, v2
	v_cmp_eq_u32_e64 s6, 0, v2
	v_lshl_add_u32 v94, v2, 5, v92
	v_bfe_i32 v98, v95, 4, 1
	v_dual_lshlrev_b32 v0, 3, v95 :: v_dual_bitop2_b32 v99, 16, v95 bitop3:0x40
	v_dual_add_nc_u32 v104, 32, v101 :: v_dual_bitop2_b32 v100, 3, v95 bitop3:0x40
	v_sub_co_u32 v102, s8, v95, 1
	v_dual_add_nc_u32 v105, 64, v101 :: v_dual_bitop2_b32 v103, 7, v95 bitop3:0x40
	v_add_nc_u32_e32 v106, 0x60, v101
	v_add_nc_u32_e32 v107, 0x80, v101
	;; [unrolled: 1-line block ×14, first 2 shown]
	s_cmp_eq_u32 s33, 0
	s_mov_b32 s43, 0
	s_cselect_b32 s35, ttmp7, s9
	s_mov_b32 s48, s49
	s_branch .LBB1320_12
.LBB1320_10:                            ;   in Loop: Header=BB1320_12 Depth=1
	s_wait_dscnt 0x0
	s_barrier_signal -1
	s_barrier_wait -1
.LBB1320_11:                            ;   in Loop: Header=BB1320_12 Depth=1
	s_add_co_i32 s48, s48, 7
	s_delay_alu instid0(SALU_CYCLE_1)
	s_cmp_ge_u32 s48, s50
	s_cbranch_scc1 .LBB1320_1254
.LBB1320_12:                            ; =>This Loop Header: Depth=1
                                        ;     Child Loop BB1320_16 Depth 2
                                        ;     Child Loop BB1320_100 Depth 2
	;; [unrolled: 1-line block ×8, first 2 shown]
	s_sub_co_i32 s9, s50, s48
	s_xor_b32 s56, s56, -1
	s_min_u32 s9, s9, 7
	ds_store_2addr_stride64_b32 v4, v1, v1 offset1:4
	s_lshl_b32 s9, -1, s9
	s_wait_storecnt_dscnt 0x0
	s_not_b32 s58, s9
	s_cmp_lg_u32 s48, s49
	s_mov_b32 s9, -1
	s_cbranch_scc0 .LBB1320_634
; %bb.13:                               ;   in Loop: Header=BB1320_12 Depth=1
	s_and_b32 vcc_lo, exec_lo, s56
	s_cbranch_vccz .LBB1320_323
; %bb.14:                               ;   in Loop: Header=BB1320_12 Depth=1
	s_mov_b32 s9, s57
	s_mov_b32 s42, s55
	s_barrier_signal -1
	s_barrier_wait -1
                                        ; implicit-def: $vgpr25
                                        ; implicit-def: $vgpr26
                                        ; implicit-def: $vgpr27
                                        ; implicit-def: $vgpr28
                                        ; implicit-def: $vgpr29
                                        ; implicit-def: $vgpr30
                                        ; implicit-def: $vgpr31
                                        ; implicit-def: $vgpr32
                                        ; implicit-def: $vgpr33
                                        ; implicit-def: $vgpr34
                                        ; implicit-def: $vgpr35
                                        ; implicit-def: $vgpr36
                                        ; implicit-def: $vgpr37
                                        ; implicit-def: $vgpr38
                                        ; implicit-def: $vgpr39
                                        ; implicit-def: $vgpr40
                                        ; implicit-def: $vgpr41
	s_branch .LBB1320_16
.LBB1320_15:                            ;   in Loop: Header=BB1320_16 Depth=2
	s_or_b32 exec_lo, exec_lo, s10
	s_addk_co_i32 s9, 0xef00
	s_cmp_ge_u32 s12, s54
	s_mov_b32 s42, s12
	s_cbranch_scc1 .LBB1320_88
.LBB1320_16:                            ;   Parent Loop BB1320_12 Depth=1
                                        ; =>  This Inner Loop Header: Depth=2
	s_add_co_i32 s12, s42, 0x1100
	s_mov_b32 s10, -1
	s_cmp_gt_u32 s12, s54
                                        ; implicit-def: $vgpr42
                                        ; implicit-def: $vgpr43
                                        ; implicit-def: $vgpr44
                                        ; implicit-def: $vgpr45
                                        ; implicit-def: $vgpr46
                                        ; implicit-def: $vgpr47
                                        ; implicit-def: $vgpr48
                                        ; implicit-def: $vgpr49
                                        ; implicit-def: $vgpr50
                                        ; implicit-def: $vgpr51
                                        ; implicit-def: $vgpr52
                                        ; implicit-def: $vgpr53
                                        ; implicit-def: $vgpr54
                                        ; implicit-def: $vgpr55
                                        ; implicit-def: $vgpr56
                                        ; implicit-def: $vgpr57
                                        ; implicit-def: $vgpr58
	s_cbranch_scc1 .LBB1320_18
; %bb.17:                               ;   in Loop: Header=BB1320_16 Depth=2
	v_lshl_add_u64 v[60:61], s[42:43], 2, v[18:19]
	s_mov_b32 s10, 0
	s_clause 0x10
	global_load_b32 v42, v[60:61], off
	global_load_b32 v43, v[60:61], off offset:1024
	global_load_b32 v44, v[60:61], off offset:2048
	;; [unrolled: 1-line block ×16, first 2 shown]
.LBB1320_18:                            ;   in Loop: Header=BB1320_16 Depth=2
	s_and_not1_b32 vcc_lo, exec_lo, s10
	s_movk_i32 s10, 0x1100
	s_cbranch_vccnz .LBB1320_38
; %bb.19:                               ;   in Loop: Header=BB1320_16 Depth=2
	s_lshl_b64 s[10:11], s[42:43], 2
	s_mov_b32 s13, exec_lo
	s_add_nc_u64 s[10:11], s[40:41], s[10:11]
	s_wait_xcnt 0x0
	v_cmpx_gt_u32_e64 s9, v2
	s_cbranch_execnz .LBB1320_72
; %bb.20:                               ;   in Loop: Header=BB1320_16 Depth=2
	s_or_b32 exec_lo, exec_lo, s13
	s_delay_alu instid0(SALU_CYCLE_1)
	s_mov_b32 s13, exec_lo
	v_cmpx_gt_u32_e64 s9, v3
	s_cbranch_execnz .LBB1320_73
.LBB1320_21:                            ;   in Loop: Header=BB1320_16 Depth=2
	s_or_b32 exec_lo, exec_lo, s13
	s_delay_alu instid0(SALU_CYCLE_1)
	s_mov_b32 s13, exec_lo
	v_cmpx_gt_u32_e64 s9, v68
	s_cbranch_execnz .LBB1320_74
.LBB1320_22:                            ;   in Loop: Header=BB1320_16 Depth=2
	s_or_b32 exec_lo, exec_lo, s13
	s_delay_alu instid0(SALU_CYCLE_1)
	s_mov_b32 s13, exec_lo
	v_cmpx_gt_u32_e64 s9, v69
	s_cbranch_execnz .LBB1320_75
.LBB1320_23:                            ;   in Loop: Header=BB1320_16 Depth=2
	s_or_b32 exec_lo, exec_lo, s13
	s_delay_alu instid0(SALU_CYCLE_1)
	s_mov_b32 s13, exec_lo
	v_cmpx_gt_u32_e64 s9, v70
	s_cbranch_execnz .LBB1320_76
.LBB1320_24:                            ;   in Loop: Header=BB1320_16 Depth=2
	s_or_b32 exec_lo, exec_lo, s13
	s_delay_alu instid0(SALU_CYCLE_1)
	s_mov_b32 s13, exec_lo
	v_cmpx_gt_u32_e64 s9, v71
	s_cbranch_execnz .LBB1320_77
.LBB1320_25:                            ;   in Loop: Header=BB1320_16 Depth=2
	s_or_b32 exec_lo, exec_lo, s13
	s_delay_alu instid0(SALU_CYCLE_1)
	s_mov_b32 s13, exec_lo
	v_cmpx_gt_u32_e64 s9, v72
	s_cbranch_execnz .LBB1320_78
.LBB1320_26:                            ;   in Loop: Header=BB1320_16 Depth=2
	s_or_b32 exec_lo, exec_lo, s13
	s_delay_alu instid0(SALU_CYCLE_1)
	s_mov_b32 s13, exec_lo
	v_cmpx_gt_u32_e64 s9, v73
	s_cbranch_execnz .LBB1320_79
.LBB1320_27:                            ;   in Loop: Header=BB1320_16 Depth=2
	s_or_b32 exec_lo, exec_lo, s13
	s_delay_alu instid0(SALU_CYCLE_1)
	s_mov_b32 s13, exec_lo
	v_cmpx_gt_u32_e64 s9, v74
	s_cbranch_execnz .LBB1320_80
.LBB1320_28:                            ;   in Loop: Header=BB1320_16 Depth=2
	s_or_b32 exec_lo, exec_lo, s13
	s_delay_alu instid0(SALU_CYCLE_1)
	s_mov_b32 s13, exec_lo
	v_cmpx_gt_u32_e64 s9, v75
	s_cbranch_execnz .LBB1320_81
.LBB1320_29:                            ;   in Loop: Header=BB1320_16 Depth=2
	s_or_b32 exec_lo, exec_lo, s13
	s_delay_alu instid0(SALU_CYCLE_1)
	s_mov_b32 s13, exec_lo
	v_cmpx_gt_u32_e64 s9, v76
	s_cbranch_execnz .LBB1320_82
.LBB1320_30:                            ;   in Loop: Header=BB1320_16 Depth=2
	s_or_b32 exec_lo, exec_lo, s13
	s_delay_alu instid0(SALU_CYCLE_1)
	s_mov_b32 s13, exec_lo
	v_cmpx_gt_u32_e64 s9, v77
	s_cbranch_execnz .LBB1320_83
.LBB1320_31:                            ;   in Loop: Header=BB1320_16 Depth=2
	s_or_b32 exec_lo, exec_lo, s13
	s_delay_alu instid0(SALU_CYCLE_1)
	s_mov_b32 s13, exec_lo
	v_cmpx_gt_u32_e64 s9, v78
	s_cbranch_execnz .LBB1320_84
.LBB1320_32:                            ;   in Loop: Header=BB1320_16 Depth=2
	s_or_b32 exec_lo, exec_lo, s13
	s_delay_alu instid0(SALU_CYCLE_1)
	s_mov_b32 s13, exec_lo
	v_cmpx_gt_u32_e64 s9, v79
	s_cbranch_execnz .LBB1320_85
.LBB1320_33:                            ;   in Loop: Header=BB1320_16 Depth=2
	s_or_b32 exec_lo, exec_lo, s13
	s_delay_alu instid0(SALU_CYCLE_1)
	s_mov_b32 s13, exec_lo
	v_cmpx_gt_u32_e64 s9, v80
	s_cbranch_execnz .LBB1320_86
.LBB1320_34:                            ;   in Loop: Header=BB1320_16 Depth=2
	s_or_b32 exec_lo, exec_lo, s13
	s_delay_alu instid0(SALU_CYCLE_1)
	s_mov_b32 s13, exec_lo
	v_cmpx_gt_u32_e64 s9, v81
	s_cbranch_execnz .LBB1320_87
.LBB1320_35:                            ;   in Loop: Header=BB1320_16 Depth=2
	s_or_b32 exec_lo, exec_lo, s13
	s_delay_alu instid0(SALU_CYCLE_1)
	s_mov_b32 s13, exec_lo
	v_cmpx_gt_u32_e64 s9, v82
	s_cbranch_execz .LBB1320_37
.LBB1320_36:                            ;   in Loop: Header=BB1320_16 Depth=2
	global_load_b32 v25, v2, s[10:11] offset:16384 scale_offset
.LBB1320_37:                            ;   in Loop: Header=BB1320_16 Depth=2
	s_wait_xcnt 0x0
	s_or_b32 exec_lo, exec_lo, s13
	s_wait_loadcnt 0x0
	v_dual_mov_b32 v42, v41 :: v_dual_mov_b32 v43, v40
	v_dual_mov_b32 v44, v39 :: v_dual_mov_b32 v45, v38
	;; [unrolled: 1-line block ×8, first 2 shown]
	v_mov_b32_e32 v58, v25
	s_mov_b32 s10, s9
.LBB1320_38:                            ;   in Loop: Header=BB1320_16 Depth=2
	s_wait_loadcnt 0x0
	s_delay_alu instid0(VALU_DEP_1)
	v_dual_mov_b32 v25, v58 :: v_dual_mov_b32 v26, v57
	v_dual_mov_b32 v27, v56 :: v_dual_mov_b32 v28, v55
	;; [unrolled: 1-line block ×8, first 2 shown]
	v_mov_b32_e32 v41, v42
	s_mov_b32 s11, exec_lo
	s_wait_xcnt 0x0
	v_cmpx_gt_u32_e64 s10, v2
	s_cbranch_execnz .LBB1320_55
; %bb.39:                               ;   in Loop: Header=BB1320_16 Depth=2
	s_or_b32 exec_lo, exec_lo, s11
	s_delay_alu instid0(SALU_CYCLE_1)
	s_mov_b32 s11, exec_lo
	v_cmpx_gt_u32_e64 s10, v3
	s_cbranch_execnz .LBB1320_56
.LBB1320_40:                            ;   in Loop: Header=BB1320_16 Depth=2
	s_or_b32 exec_lo, exec_lo, s11
	s_delay_alu instid0(SALU_CYCLE_1)
	s_mov_b32 s11, exec_lo
	v_cmpx_gt_u32_e64 s10, v68
	s_cbranch_execnz .LBB1320_57
.LBB1320_41:                            ;   in Loop: Header=BB1320_16 Depth=2
	s_or_b32 exec_lo, exec_lo, s11
	s_delay_alu instid0(SALU_CYCLE_1)
	s_mov_b32 s11, exec_lo
	v_cmpx_gt_u32_e64 s10, v69
	s_cbranch_execnz .LBB1320_58
.LBB1320_42:                            ;   in Loop: Header=BB1320_16 Depth=2
	s_or_b32 exec_lo, exec_lo, s11
	s_delay_alu instid0(SALU_CYCLE_1)
	s_mov_b32 s11, exec_lo
	v_cmpx_gt_u32_e64 s10, v70
	s_cbranch_execnz .LBB1320_59
.LBB1320_43:                            ;   in Loop: Header=BB1320_16 Depth=2
	s_or_b32 exec_lo, exec_lo, s11
	s_delay_alu instid0(SALU_CYCLE_1)
	s_mov_b32 s11, exec_lo
	v_cmpx_gt_u32_e64 s10, v71
	s_cbranch_execnz .LBB1320_60
.LBB1320_44:                            ;   in Loop: Header=BB1320_16 Depth=2
	s_or_b32 exec_lo, exec_lo, s11
	s_delay_alu instid0(SALU_CYCLE_1)
	s_mov_b32 s11, exec_lo
	v_cmpx_gt_u32_e64 s10, v72
	s_cbranch_execnz .LBB1320_61
.LBB1320_45:                            ;   in Loop: Header=BB1320_16 Depth=2
	s_or_b32 exec_lo, exec_lo, s11
	s_delay_alu instid0(SALU_CYCLE_1)
	s_mov_b32 s11, exec_lo
	v_cmpx_gt_u32_e64 s10, v73
	s_cbranch_execnz .LBB1320_62
.LBB1320_46:                            ;   in Loop: Header=BB1320_16 Depth=2
	s_or_b32 exec_lo, exec_lo, s11
	s_delay_alu instid0(SALU_CYCLE_1)
	s_mov_b32 s11, exec_lo
	v_cmpx_gt_u32_e64 s10, v74
	s_cbranch_execnz .LBB1320_63
.LBB1320_47:                            ;   in Loop: Header=BB1320_16 Depth=2
	s_or_b32 exec_lo, exec_lo, s11
	s_delay_alu instid0(SALU_CYCLE_1)
	s_mov_b32 s11, exec_lo
	v_cmpx_gt_u32_e64 s10, v75
	s_cbranch_execnz .LBB1320_64
.LBB1320_48:                            ;   in Loop: Header=BB1320_16 Depth=2
	s_or_b32 exec_lo, exec_lo, s11
	s_delay_alu instid0(SALU_CYCLE_1)
	s_mov_b32 s11, exec_lo
	v_cmpx_gt_u32_e64 s10, v76
	s_cbranch_execnz .LBB1320_65
.LBB1320_49:                            ;   in Loop: Header=BB1320_16 Depth=2
	s_or_b32 exec_lo, exec_lo, s11
	s_delay_alu instid0(SALU_CYCLE_1)
	s_mov_b32 s11, exec_lo
	v_cmpx_gt_u32_e64 s10, v77
	s_cbranch_execnz .LBB1320_66
.LBB1320_50:                            ;   in Loop: Header=BB1320_16 Depth=2
	s_or_b32 exec_lo, exec_lo, s11
	s_delay_alu instid0(SALU_CYCLE_1)
	s_mov_b32 s11, exec_lo
	v_cmpx_gt_u32_e64 s10, v78
	s_cbranch_execnz .LBB1320_67
.LBB1320_51:                            ;   in Loop: Header=BB1320_16 Depth=2
	s_or_b32 exec_lo, exec_lo, s11
	s_delay_alu instid0(SALU_CYCLE_1)
	s_mov_b32 s11, exec_lo
	v_cmpx_gt_u32_e64 s10, v79
	s_cbranch_execnz .LBB1320_68
.LBB1320_52:                            ;   in Loop: Header=BB1320_16 Depth=2
	s_or_b32 exec_lo, exec_lo, s11
	s_delay_alu instid0(SALU_CYCLE_1)
	s_mov_b32 s11, exec_lo
	v_cmpx_gt_u32_e64 s10, v80
	s_cbranch_execnz .LBB1320_69
.LBB1320_53:                            ;   in Loop: Header=BB1320_16 Depth=2
	s_or_b32 exec_lo, exec_lo, s11
	s_delay_alu instid0(SALU_CYCLE_1)
	s_mov_b32 s11, exec_lo
	v_cmpx_gt_u32_e64 s10, v81
	s_cbranch_execnz .LBB1320_70
.LBB1320_54:                            ;   in Loop: Header=BB1320_16 Depth=2
	s_or_b32 exec_lo, exec_lo, s11
	v_cmp_gt_u32_e32 vcc_lo, s10, v82
	s_and_saveexec_b32 s10, vcc_lo
	s_cbranch_execz .LBB1320_15
	s_branch .LBB1320_71
.LBB1320_55:                            ;   in Loop: Header=BB1320_16 Depth=2
	v_cmp_gt_i32_e32 vcc_lo, 0, v41
	v_cndmask_b32_e64 v42, 0x7fffffff, 0, vcc_lo
	s_delay_alu instid0(VALU_DEP_1) | instskip(NEXT) | instid1(VALU_DEP_1)
	v_xor_b32_e32 v42, v42, v41
	v_cmp_ne_u32_e32 vcc_lo, 0x80000000, v42
	v_cndmask_b32_e32 v42, 0x7fffffff, v42, vcc_lo
	s_delay_alu instid0(VALU_DEP_1) | instskip(NEXT) | instid1(VALU_DEP_1)
	v_lshrrev_b32_e32 v42, s48, v42
	v_and_b32_e32 v42, s58, v42
	s_delay_alu instid0(VALU_DEP_1) | instskip(SKIP_2) | instid1(SALU_CYCLE_1)
	v_lshl_or_b32 v42, v42, 4, v84
	ds_add_u32 v42, v96
	s_or_b32 exec_lo, exec_lo, s11
	s_mov_b32 s11, exec_lo
	v_cmpx_gt_u32_e64 s10, v3
	s_cbranch_execz .LBB1320_40
.LBB1320_56:                            ;   in Loop: Header=BB1320_16 Depth=2
	v_cmp_gt_i32_e32 vcc_lo, 0, v40
	v_cndmask_b32_e64 v42, 0x7fffffff, 0, vcc_lo
	s_delay_alu instid0(VALU_DEP_1) | instskip(NEXT) | instid1(VALU_DEP_1)
	v_xor_b32_e32 v42, v42, v40
	v_cmp_ne_u32_e32 vcc_lo, 0x80000000, v42
	v_cndmask_b32_e32 v42, 0x7fffffff, v42, vcc_lo
	s_delay_alu instid0(VALU_DEP_1) | instskip(NEXT) | instid1(VALU_DEP_1)
	v_lshrrev_b32_e32 v42, s48, v42
	v_and_b32_e32 v42, s58, v42
	s_delay_alu instid0(VALU_DEP_1) | instskip(SKIP_2) | instid1(SALU_CYCLE_1)
	v_lshl_or_b32 v42, v42, 4, v84
	ds_add_u32 v42, v96
	s_or_b32 exec_lo, exec_lo, s11
	s_mov_b32 s11, exec_lo
	v_cmpx_gt_u32_e64 s10, v68
	s_cbranch_execz .LBB1320_41
.LBB1320_57:                            ;   in Loop: Header=BB1320_16 Depth=2
	v_cmp_gt_i32_e32 vcc_lo, 0, v39
	v_cndmask_b32_e64 v42, 0x7fffffff, 0, vcc_lo
	s_delay_alu instid0(VALU_DEP_1) | instskip(NEXT) | instid1(VALU_DEP_1)
	v_xor_b32_e32 v42, v42, v39
	v_cmp_ne_u32_e32 vcc_lo, 0x80000000, v42
	v_cndmask_b32_e32 v42, 0x7fffffff, v42, vcc_lo
	s_delay_alu instid0(VALU_DEP_1) | instskip(NEXT) | instid1(VALU_DEP_1)
	v_lshrrev_b32_e32 v42, s48, v42
	v_and_b32_e32 v42, s58, v42
	s_delay_alu instid0(VALU_DEP_1) | instskip(SKIP_2) | instid1(SALU_CYCLE_1)
	v_lshl_or_b32 v42, v42, 4, v84
	ds_add_u32 v42, v96
	s_or_b32 exec_lo, exec_lo, s11
	s_mov_b32 s11, exec_lo
	v_cmpx_gt_u32_e64 s10, v69
	s_cbranch_execz .LBB1320_42
.LBB1320_58:                            ;   in Loop: Header=BB1320_16 Depth=2
	v_cmp_gt_i32_e32 vcc_lo, 0, v38
	v_cndmask_b32_e64 v42, 0x7fffffff, 0, vcc_lo
	s_delay_alu instid0(VALU_DEP_1) | instskip(NEXT) | instid1(VALU_DEP_1)
	v_xor_b32_e32 v42, v42, v38
	v_cmp_ne_u32_e32 vcc_lo, 0x80000000, v42
	v_cndmask_b32_e32 v42, 0x7fffffff, v42, vcc_lo
	s_delay_alu instid0(VALU_DEP_1) | instskip(NEXT) | instid1(VALU_DEP_1)
	v_lshrrev_b32_e32 v42, s48, v42
	v_and_b32_e32 v42, s58, v42
	s_delay_alu instid0(VALU_DEP_1) | instskip(SKIP_2) | instid1(SALU_CYCLE_1)
	v_lshl_or_b32 v42, v42, 4, v84
	ds_add_u32 v42, v96
	s_or_b32 exec_lo, exec_lo, s11
	s_mov_b32 s11, exec_lo
	v_cmpx_gt_u32_e64 s10, v70
	s_cbranch_execz .LBB1320_43
.LBB1320_59:                            ;   in Loop: Header=BB1320_16 Depth=2
	v_cmp_gt_i32_e32 vcc_lo, 0, v37
	v_cndmask_b32_e64 v42, 0x7fffffff, 0, vcc_lo
	s_delay_alu instid0(VALU_DEP_1) | instskip(NEXT) | instid1(VALU_DEP_1)
	v_xor_b32_e32 v42, v42, v37
	v_cmp_ne_u32_e32 vcc_lo, 0x80000000, v42
	v_cndmask_b32_e32 v42, 0x7fffffff, v42, vcc_lo
	s_delay_alu instid0(VALU_DEP_1) | instskip(NEXT) | instid1(VALU_DEP_1)
	v_lshrrev_b32_e32 v42, s48, v42
	v_and_b32_e32 v42, s58, v42
	s_delay_alu instid0(VALU_DEP_1) | instskip(SKIP_2) | instid1(SALU_CYCLE_1)
	v_lshl_or_b32 v42, v42, 4, v84
	ds_add_u32 v42, v96
	s_or_b32 exec_lo, exec_lo, s11
	s_mov_b32 s11, exec_lo
	v_cmpx_gt_u32_e64 s10, v71
	s_cbranch_execz .LBB1320_44
.LBB1320_60:                            ;   in Loop: Header=BB1320_16 Depth=2
	v_cmp_gt_i32_e32 vcc_lo, 0, v36
	v_cndmask_b32_e64 v42, 0x7fffffff, 0, vcc_lo
	s_delay_alu instid0(VALU_DEP_1) | instskip(NEXT) | instid1(VALU_DEP_1)
	v_xor_b32_e32 v42, v42, v36
	v_cmp_ne_u32_e32 vcc_lo, 0x80000000, v42
	v_cndmask_b32_e32 v42, 0x7fffffff, v42, vcc_lo
	s_delay_alu instid0(VALU_DEP_1) | instskip(NEXT) | instid1(VALU_DEP_1)
	v_lshrrev_b32_e32 v42, s48, v42
	v_and_b32_e32 v42, s58, v42
	s_delay_alu instid0(VALU_DEP_1) | instskip(SKIP_2) | instid1(SALU_CYCLE_1)
	v_lshl_or_b32 v42, v42, 4, v84
	ds_add_u32 v42, v96
	s_or_b32 exec_lo, exec_lo, s11
	s_mov_b32 s11, exec_lo
	v_cmpx_gt_u32_e64 s10, v72
	s_cbranch_execz .LBB1320_45
.LBB1320_61:                            ;   in Loop: Header=BB1320_16 Depth=2
	v_cmp_gt_i32_e32 vcc_lo, 0, v35
	v_cndmask_b32_e64 v42, 0x7fffffff, 0, vcc_lo
	s_delay_alu instid0(VALU_DEP_1) | instskip(NEXT) | instid1(VALU_DEP_1)
	v_xor_b32_e32 v42, v42, v35
	v_cmp_ne_u32_e32 vcc_lo, 0x80000000, v42
	v_cndmask_b32_e32 v42, 0x7fffffff, v42, vcc_lo
	s_delay_alu instid0(VALU_DEP_1) | instskip(NEXT) | instid1(VALU_DEP_1)
	v_lshrrev_b32_e32 v42, s48, v42
	v_and_b32_e32 v42, s58, v42
	s_delay_alu instid0(VALU_DEP_1) | instskip(SKIP_2) | instid1(SALU_CYCLE_1)
	v_lshl_or_b32 v42, v42, 4, v84
	ds_add_u32 v42, v96
	s_or_b32 exec_lo, exec_lo, s11
	s_mov_b32 s11, exec_lo
	v_cmpx_gt_u32_e64 s10, v73
	s_cbranch_execz .LBB1320_46
.LBB1320_62:                            ;   in Loop: Header=BB1320_16 Depth=2
	v_cmp_gt_i32_e32 vcc_lo, 0, v34
	v_cndmask_b32_e64 v42, 0x7fffffff, 0, vcc_lo
	s_delay_alu instid0(VALU_DEP_1) | instskip(NEXT) | instid1(VALU_DEP_1)
	v_xor_b32_e32 v42, v42, v34
	v_cmp_ne_u32_e32 vcc_lo, 0x80000000, v42
	v_cndmask_b32_e32 v42, 0x7fffffff, v42, vcc_lo
	s_delay_alu instid0(VALU_DEP_1) | instskip(NEXT) | instid1(VALU_DEP_1)
	v_lshrrev_b32_e32 v42, s48, v42
	v_and_b32_e32 v42, s58, v42
	s_delay_alu instid0(VALU_DEP_1) | instskip(SKIP_2) | instid1(SALU_CYCLE_1)
	v_lshl_or_b32 v42, v42, 4, v84
	ds_add_u32 v42, v96
	s_or_b32 exec_lo, exec_lo, s11
	s_mov_b32 s11, exec_lo
	v_cmpx_gt_u32_e64 s10, v74
	s_cbranch_execz .LBB1320_47
.LBB1320_63:                            ;   in Loop: Header=BB1320_16 Depth=2
	v_cmp_gt_i32_e32 vcc_lo, 0, v33
	v_cndmask_b32_e64 v42, 0x7fffffff, 0, vcc_lo
	s_delay_alu instid0(VALU_DEP_1) | instskip(NEXT) | instid1(VALU_DEP_1)
	v_xor_b32_e32 v42, v42, v33
	v_cmp_ne_u32_e32 vcc_lo, 0x80000000, v42
	v_cndmask_b32_e32 v42, 0x7fffffff, v42, vcc_lo
	s_delay_alu instid0(VALU_DEP_1) | instskip(NEXT) | instid1(VALU_DEP_1)
	v_lshrrev_b32_e32 v42, s48, v42
	v_and_b32_e32 v42, s58, v42
	s_delay_alu instid0(VALU_DEP_1) | instskip(SKIP_2) | instid1(SALU_CYCLE_1)
	v_lshl_or_b32 v42, v42, 4, v84
	ds_add_u32 v42, v96
	s_or_b32 exec_lo, exec_lo, s11
	s_mov_b32 s11, exec_lo
	v_cmpx_gt_u32_e64 s10, v75
	s_cbranch_execz .LBB1320_48
.LBB1320_64:                            ;   in Loop: Header=BB1320_16 Depth=2
	v_cmp_gt_i32_e32 vcc_lo, 0, v32
	v_cndmask_b32_e64 v42, 0x7fffffff, 0, vcc_lo
	s_delay_alu instid0(VALU_DEP_1) | instskip(NEXT) | instid1(VALU_DEP_1)
	v_xor_b32_e32 v42, v42, v32
	v_cmp_ne_u32_e32 vcc_lo, 0x80000000, v42
	v_cndmask_b32_e32 v42, 0x7fffffff, v42, vcc_lo
	s_delay_alu instid0(VALU_DEP_1) | instskip(NEXT) | instid1(VALU_DEP_1)
	v_lshrrev_b32_e32 v42, s48, v42
	v_and_b32_e32 v42, s58, v42
	s_delay_alu instid0(VALU_DEP_1) | instskip(SKIP_2) | instid1(SALU_CYCLE_1)
	v_lshl_or_b32 v42, v42, 4, v84
	ds_add_u32 v42, v96
	s_or_b32 exec_lo, exec_lo, s11
	s_mov_b32 s11, exec_lo
	v_cmpx_gt_u32_e64 s10, v76
	s_cbranch_execz .LBB1320_49
.LBB1320_65:                            ;   in Loop: Header=BB1320_16 Depth=2
	v_cmp_gt_i32_e32 vcc_lo, 0, v31
	v_cndmask_b32_e64 v42, 0x7fffffff, 0, vcc_lo
	s_delay_alu instid0(VALU_DEP_1) | instskip(NEXT) | instid1(VALU_DEP_1)
	v_xor_b32_e32 v42, v42, v31
	v_cmp_ne_u32_e32 vcc_lo, 0x80000000, v42
	v_cndmask_b32_e32 v42, 0x7fffffff, v42, vcc_lo
	s_delay_alu instid0(VALU_DEP_1) | instskip(NEXT) | instid1(VALU_DEP_1)
	v_lshrrev_b32_e32 v42, s48, v42
	v_and_b32_e32 v42, s58, v42
	s_delay_alu instid0(VALU_DEP_1) | instskip(SKIP_2) | instid1(SALU_CYCLE_1)
	v_lshl_or_b32 v42, v42, 4, v84
	ds_add_u32 v42, v96
	s_or_b32 exec_lo, exec_lo, s11
	s_mov_b32 s11, exec_lo
	v_cmpx_gt_u32_e64 s10, v77
	s_cbranch_execz .LBB1320_50
.LBB1320_66:                            ;   in Loop: Header=BB1320_16 Depth=2
	v_cmp_gt_i32_e32 vcc_lo, 0, v30
	v_cndmask_b32_e64 v42, 0x7fffffff, 0, vcc_lo
	s_delay_alu instid0(VALU_DEP_1) | instskip(NEXT) | instid1(VALU_DEP_1)
	v_xor_b32_e32 v42, v42, v30
	v_cmp_ne_u32_e32 vcc_lo, 0x80000000, v42
	v_cndmask_b32_e32 v42, 0x7fffffff, v42, vcc_lo
	s_delay_alu instid0(VALU_DEP_1) | instskip(NEXT) | instid1(VALU_DEP_1)
	v_lshrrev_b32_e32 v42, s48, v42
	v_and_b32_e32 v42, s58, v42
	s_delay_alu instid0(VALU_DEP_1) | instskip(SKIP_2) | instid1(SALU_CYCLE_1)
	v_lshl_or_b32 v42, v42, 4, v84
	ds_add_u32 v42, v96
	s_or_b32 exec_lo, exec_lo, s11
	s_mov_b32 s11, exec_lo
	v_cmpx_gt_u32_e64 s10, v78
	s_cbranch_execz .LBB1320_51
.LBB1320_67:                            ;   in Loop: Header=BB1320_16 Depth=2
	v_cmp_gt_i32_e32 vcc_lo, 0, v29
	v_cndmask_b32_e64 v42, 0x7fffffff, 0, vcc_lo
	s_delay_alu instid0(VALU_DEP_1) | instskip(NEXT) | instid1(VALU_DEP_1)
	v_xor_b32_e32 v42, v42, v29
	v_cmp_ne_u32_e32 vcc_lo, 0x80000000, v42
	v_cndmask_b32_e32 v42, 0x7fffffff, v42, vcc_lo
	s_delay_alu instid0(VALU_DEP_1) | instskip(NEXT) | instid1(VALU_DEP_1)
	v_lshrrev_b32_e32 v42, s48, v42
	v_and_b32_e32 v42, s58, v42
	s_delay_alu instid0(VALU_DEP_1) | instskip(SKIP_2) | instid1(SALU_CYCLE_1)
	v_lshl_or_b32 v42, v42, 4, v84
	ds_add_u32 v42, v96
	s_or_b32 exec_lo, exec_lo, s11
	s_mov_b32 s11, exec_lo
	v_cmpx_gt_u32_e64 s10, v79
	s_cbranch_execz .LBB1320_52
.LBB1320_68:                            ;   in Loop: Header=BB1320_16 Depth=2
	v_cmp_gt_i32_e32 vcc_lo, 0, v28
	v_cndmask_b32_e64 v42, 0x7fffffff, 0, vcc_lo
	s_delay_alu instid0(VALU_DEP_1) | instskip(NEXT) | instid1(VALU_DEP_1)
	v_xor_b32_e32 v42, v42, v28
	v_cmp_ne_u32_e32 vcc_lo, 0x80000000, v42
	v_cndmask_b32_e32 v42, 0x7fffffff, v42, vcc_lo
	s_delay_alu instid0(VALU_DEP_1) | instskip(NEXT) | instid1(VALU_DEP_1)
	v_lshrrev_b32_e32 v42, s48, v42
	v_and_b32_e32 v42, s58, v42
	s_delay_alu instid0(VALU_DEP_1) | instskip(SKIP_2) | instid1(SALU_CYCLE_1)
	v_lshl_or_b32 v42, v42, 4, v84
	ds_add_u32 v42, v96
	s_or_b32 exec_lo, exec_lo, s11
	s_mov_b32 s11, exec_lo
	v_cmpx_gt_u32_e64 s10, v80
	s_cbranch_execz .LBB1320_53
.LBB1320_69:                            ;   in Loop: Header=BB1320_16 Depth=2
	v_cmp_gt_i32_e32 vcc_lo, 0, v27
	v_cndmask_b32_e64 v42, 0x7fffffff, 0, vcc_lo
	s_delay_alu instid0(VALU_DEP_1) | instskip(NEXT) | instid1(VALU_DEP_1)
	v_xor_b32_e32 v42, v42, v27
	v_cmp_ne_u32_e32 vcc_lo, 0x80000000, v42
	v_cndmask_b32_e32 v42, 0x7fffffff, v42, vcc_lo
	s_delay_alu instid0(VALU_DEP_1) | instskip(NEXT) | instid1(VALU_DEP_1)
	v_lshrrev_b32_e32 v42, s48, v42
	v_and_b32_e32 v42, s58, v42
	s_delay_alu instid0(VALU_DEP_1) | instskip(SKIP_2) | instid1(SALU_CYCLE_1)
	v_lshl_or_b32 v42, v42, 4, v84
	ds_add_u32 v42, v96
	s_or_b32 exec_lo, exec_lo, s11
	s_mov_b32 s11, exec_lo
	v_cmpx_gt_u32_e64 s10, v81
	s_cbranch_execz .LBB1320_54
.LBB1320_70:                            ;   in Loop: Header=BB1320_16 Depth=2
	v_cmp_gt_i32_e32 vcc_lo, 0, v26
	v_cndmask_b32_e64 v42, 0x7fffffff, 0, vcc_lo
	s_delay_alu instid0(VALU_DEP_1) | instskip(NEXT) | instid1(VALU_DEP_1)
	v_xor_b32_e32 v42, v42, v26
	v_cmp_ne_u32_e32 vcc_lo, 0x80000000, v42
	v_cndmask_b32_e32 v42, 0x7fffffff, v42, vcc_lo
	s_delay_alu instid0(VALU_DEP_1) | instskip(NEXT) | instid1(VALU_DEP_1)
	v_lshrrev_b32_e32 v42, s48, v42
	v_and_b32_e32 v42, s58, v42
	s_delay_alu instid0(VALU_DEP_1)
	v_lshl_or_b32 v42, v42, 4, v84
	ds_add_u32 v42, v96
	s_or_b32 exec_lo, exec_lo, s11
	v_cmp_gt_u32_e32 vcc_lo, s10, v82
	s_and_saveexec_b32 s10, vcc_lo
	s_cbranch_execz .LBB1320_15
.LBB1320_71:                            ;   in Loop: Header=BB1320_16 Depth=2
	v_cmp_gt_i32_e32 vcc_lo, 0, v25
	v_cndmask_b32_e64 v42, 0x7fffffff, 0, vcc_lo
	s_delay_alu instid0(VALU_DEP_1) | instskip(NEXT) | instid1(VALU_DEP_1)
	v_xor_b32_e32 v42, v42, v25
	v_cmp_ne_u32_e32 vcc_lo, 0x80000000, v42
	v_cndmask_b32_e32 v42, 0x7fffffff, v42, vcc_lo
	s_delay_alu instid0(VALU_DEP_1) | instskip(NEXT) | instid1(VALU_DEP_1)
	v_lshrrev_b32_e32 v42, s48, v42
	v_and_b32_e32 v42, s58, v42
	s_delay_alu instid0(VALU_DEP_1)
	v_lshl_or_b32 v42, v42, 4, v84
	ds_add_u32 v42, v96
	s_branch .LBB1320_15
.LBB1320_72:                            ;   in Loop: Header=BB1320_16 Depth=2
	global_load_b32 v41, v2, s[10:11] scale_offset
	s_wait_xcnt 0x0
	s_or_b32 exec_lo, exec_lo, s13
	s_delay_alu instid0(SALU_CYCLE_1)
	s_mov_b32 s13, exec_lo
	v_cmpx_gt_u32_e64 s9, v3
	s_cbranch_execz .LBB1320_21
.LBB1320_73:                            ;   in Loop: Header=BB1320_16 Depth=2
	global_load_b32 v40, v2, s[10:11] offset:1024 scale_offset
	s_wait_xcnt 0x0
	s_or_b32 exec_lo, exec_lo, s13
	s_delay_alu instid0(SALU_CYCLE_1)
	s_mov_b32 s13, exec_lo
	v_cmpx_gt_u32_e64 s9, v68
	s_cbranch_execz .LBB1320_22
.LBB1320_74:                            ;   in Loop: Header=BB1320_16 Depth=2
	global_load_b32 v39, v2, s[10:11] offset:2048 scale_offset
	s_wait_xcnt 0x0
	s_or_b32 exec_lo, exec_lo, s13
	s_delay_alu instid0(SALU_CYCLE_1)
	s_mov_b32 s13, exec_lo
	v_cmpx_gt_u32_e64 s9, v69
	s_cbranch_execz .LBB1320_23
.LBB1320_75:                            ;   in Loop: Header=BB1320_16 Depth=2
	global_load_b32 v38, v2, s[10:11] offset:3072 scale_offset
	s_wait_xcnt 0x0
	s_or_b32 exec_lo, exec_lo, s13
	s_delay_alu instid0(SALU_CYCLE_1)
	s_mov_b32 s13, exec_lo
	v_cmpx_gt_u32_e64 s9, v70
	s_cbranch_execz .LBB1320_24
.LBB1320_76:                            ;   in Loop: Header=BB1320_16 Depth=2
	global_load_b32 v37, v2, s[10:11] offset:4096 scale_offset
	s_wait_xcnt 0x0
	s_or_b32 exec_lo, exec_lo, s13
	s_delay_alu instid0(SALU_CYCLE_1)
	s_mov_b32 s13, exec_lo
	v_cmpx_gt_u32_e64 s9, v71
	s_cbranch_execz .LBB1320_25
.LBB1320_77:                            ;   in Loop: Header=BB1320_16 Depth=2
	global_load_b32 v36, v2, s[10:11] offset:5120 scale_offset
	s_wait_xcnt 0x0
	s_or_b32 exec_lo, exec_lo, s13
	s_delay_alu instid0(SALU_CYCLE_1)
	s_mov_b32 s13, exec_lo
	v_cmpx_gt_u32_e64 s9, v72
	s_cbranch_execz .LBB1320_26
.LBB1320_78:                            ;   in Loop: Header=BB1320_16 Depth=2
	global_load_b32 v35, v2, s[10:11] offset:6144 scale_offset
	s_wait_xcnt 0x0
	s_or_b32 exec_lo, exec_lo, s13
	s_delay_alu instid0(SALU_CYCLE_1)
	s_mov_b32 s13, exec_lo
	v_cmpx_gt_u32_e64 s9, v73
	s_cbranch_execz .LBB1320_27
.LBB1320_79:                            ;   in Loop: Header=BB1320_16 Depth=2
	global_load_b32 v34, v2, s[10:11] offset:7168 scale_offset
	s_wait_xcnt 0x0
	s_or_b32 exec_lo, exec_lo, s13
	s_delay_alu instid0(SALU_CYCLE_1)
	s_mov_b32 s13, exec_lo
	v_cmpx_gt_u32_e64 s9, v74
	s_cbranch_execz .LBB1320_28
.LBB1320_80:                            ;   in Loop: Header=BB1320_16 Depth=2
	global_load_b32 v33, v2, s[10:11] offset:8192 scale_offset
	s_wait_xcnt 0x0
	s_or_b32 exec_lo, exec_lo, s13
	s_delay_alu instid0(SALU_CYCLE_1)
	s_mov_b32 s13, exec_lo
	v_cmpx_gt_u32_e64 s9, v75
	s_cbranch_execz .LBB1320_29
.LBB1320_81:                            ;   in Loop: Header=BB1320_16 Depth=2
	global_load_b32 v32, v2, s[10:11] offset:9216 scale_offset
	s_wait_xcnt 0x0
	s_or_b32 exec_lo, exec_lo, s13
	s_delay_alu instid0(SALU_CYCLE_1)
	s_mov_b32 s13, exec_lo
	v_cmpx_gt_u32_e64 s9, v76
	s_cbranch_execz .LBB1320_30
.LBB1320_82:                            ;   in Loop: Header=BB1320_16 Depth=2
	global_load_b32 v31, v2, s[10:11] offset:10240 scale_offset
	s_wait_xcnt 0x0
	s_or_b32 exec_lo, exec_lo, s13
	s_delay_alu instid0(SALU_CYCLE_1)
	s_mov_b32 s13, exec_lo
	v_cmpx_gt_u32_e64 s9, v77
	s_cbranch_execz .LBB1320_31
.LBB1320_83:                            ;   in Loop: Header=BB1320_16 Depth=2
	global_load_b32 v30, v2, s[10:11] offset:11264 scale_offset
	s_wait_xcnt 0x0
	s_or_b32 exec_lo, exec_lo, s13
	s_delay_alu instid0(SALU_CYCLE_1)
	s_mov_b32 s13, exec_lo
	v_cmpx_gt_u32_e64 s9, v78
	s_cbranch_execz .LBB1320_32
.LBB1320_84:                            ;   in Loop: Header=BB1320_16 Depth=2
	global_load_b32 v29, v2, s[10:11] offset:12288 scale_offset
	s_wait_xcnt 0x0
	s_or_b32 exec_lo, exec_lo, s13
	s_delay_alu instid0(SALU_CYCLE_1)
	s_mov_b32 s13, exec_lo
	v_cmpx_gt_u32_e64 s9, v79
	s_cbranch_execz .LBB1320_33
.LBB1320_85:                            ;   in Loop: Header=BB1320_16 Depth=2
	global_load_b32 v28, v2, s[10:11] offset:13312 scale_offset
	s_wait_xcnt 0x0
	s_or_b32 exec_lo, exec_lo, s13
	s_delay_alu instid0(SALU_CYCLE_1)
	s_mov_b32 s13, exec_lo
	v_cmpx_gt_u32_e64 s9, v80
	s_cbranch_execz .LBB1320_34
.LBB1320_86:                            ;   in Loop: Header=BB1320_16 Depth=2
	global_load_b32 v27, v2, s[10:11] offset:14336 scale_offset
	s_wait_xcnt 0x0
	s_or_b32 exec_lo, exec_lo, s13
	s_delay_alu instid0(SALU_CYCLE_1)
	s_mov_b32 s13, exec_lo
	v_cmpx_gt_u32_e64 s9, v81
	s_cbranch_execz .LBB1320_35
.LBB1320_87:                            ;   in Loop: Header=BB1320_16 Depth=2
	global_load_b32 v26, v2, s[10:11] offset:15360 scale_offset
	s_wait_xcnt 0x0
	s_or_b32 exec_lo, exec_lo, s13
	s_delay_alu instid0(SALU_CYCLE_1)
	s_mov_b32 s13, exec_lo
	v_cmpx_gt_u32_e64 s9, v82
	s_cbranch_execnz .LBB1320_36
	s_branch .LBB1320_37
.LBB1320_88:                            ;   in Loop: Header=BB1320_12 Depth=1
	v_mov_b32_e32 v25, 0
	s_wait_dscnt 0x0
	s_barrier_signal -1
	s_barrier_wait -1
	s_and_saveexec_b32 s9, s0
	s_cbranch_execz .LBB1320_90
; %bb.89:                               ;   in Loop: Header=BB1320_12 Depth=1
	ds_load_2addr_b64 v[26:29], v85 offset1:1
	s_wait_dscnt 0x0
	v_add_nc_u32_e32 v25, v27, v26
	s_delay_alu instid0(VALU_DEP_1)
	v_add3_u32 v25, v25, v28, v29
.LBB1320_90:                            ;   in Loop: Header=BB1320_12 Depth=1
	s_or_b32 exec_lo, exec_lo, s9
	s_delay_alu instid0(VALU_DEP_1)
	v_mov_b32_dpp v26, v25 row_shr:1 row_mask:0xf bank_mask:0xf
	v_cmp_eq_u32_e64 s9, 0, v97
	v_cmp_lt_u32_e64 s10, 1, v97
	v_cmp_lt_u32_e64 s11, 3, v97
	;; [unrolled: 1-line block ×3, first 2 shown]
	v_cmp_eq_u32_e64 s13, 0, v99
	v_cndmask_b32_e64 v26, v26, 0, s9
	s_delay_alu instid0(VALU_DEP_1) | instskip(NEXT) | instid1(VALU_DEP_1)
	v_add_nc_u32_e32 v25, v26, v25
	v_mov_b32_dpp v26, v25 row_shr:2 row_mask:0xf bank_mask:0xf
	s_delay_alu instid0(VALU_DEP_1) | instskip(NEXT) | instid1(VALU_DEP_1)
	v_cndmask_b32_e64 v26, 0, v26, s10
	v_add_nc_u32_e32 v25, v25, v26
	s_delay_alu instid0(VALU_DEP_1) | instskip(NEXT) | instid1(VALU_DEP_1)
	v_mov_b32_dpp v26, v25 row_shr:4 row_mask:0xf bank_mask:0xf
	v_cndmask_b32_e64 v26, 0, v26, s11
	s_delay_alu instid0(VALU_DEP_1) | instskip(NEXT) | instid1(VALU_DEP_1)
	v_add_nc_u32_e32 v25, v25, v26
	v_mov_b32_dpp v26, v25 row_shr:8 row_mask:0xf bank_mask:0xf
	s_delay_alu instid0(VALU_DEP_1) | instskip(NEXT) | instid1(VALU_DEP_1)
	v_cndmask_b32_e64 v26, 0, v26, s12
	v_add_nc_u32_e32 v25, v25, v26
	ds_swizzle_b32 v26, v25 offset:swizzle(BROADCAST,32,15)
	s_wait_dscnt 0x0
	v_and_b32_e32 v26, v98, v26
	s_delay_alu instid0(VALU_DEP_1)
	v_add_nc_u32_e32 v25, v25, v26
	s_and_saveexec_b32 s14, s1
; %bb.91:                               ;   in Loop: Header=BB1320_12 Depth=1
	ds_store_b32 v86, v25
; %bb.92:                               ;   in Loop: Header=BB1320_12 Depth=1
	s_or_b32 exec_lo, exec_lo, s14
	s_wait_dscnt 0x0
	s_barrier_signal -1
	s_barrier_wait -1
	s_and_saveexec_b32 s14, s4
	s_cbranch_execz .LBB1320_94
; %bb.93:                               ;   in Loop: Header=BB1320_12 Depth=1
	ds_load_b32 v26, v87
	v_cmp_ne_u32_e32 vcc_lo, 0, v100
	s_wait_dscnt 0x0
	v_mov_b32_dpp v27, v26 row_shr:1 row_mask:0xf bank_mask:0xf
	s_delay_alu instid0(VALU_DEP_1) | instskip(SKIP_1) | instid1(VALU_DEP_2)
	v_cndmask_b32_e32 v27, 0, v27, vcc_lo
	v_cmp_lt_u32_e32 vcc_lo, 1, v100
	v_add_nc_u32_e32 v26, v27, v26
	s_delay_alu instid0(VALU_DEP_1) | instskip(NEXT) | instid1(VALU_DEP_1)
	v_mov_b32_dpp v27, v26 row_shr:2 row_mask:0xf bank_mask:0xf
	v_cndmask_b32_e32 v27, 0, v27, vcc_lo
	s_delay_alu instid0(VALU_DEP_1)
	v_add_nc_u32_e32 v26, v26, v27
	ds_store_b32 v87, v26
.LBB1320_94:                            ;   in Loop: Header=BB1320_12 Depth=1
	s_or_b32 exec_lo, exec_lo, s14
	v_mov_b32_e32 v26, 0
	s_wait_dscnt 0x0
	s_barrier_signal -1
	s_barrier_wait -1
	s_and_saveexec_b32 s14, s5
; %bb.95:                               ;   in Loop: Header=BB1320_12 Depth=1
	ds_load_b32 v26, v88
; %bb.96:                               ;   in Loop: Header=BB1320_12 Depth=1
	s_or_b32 exec_lo, exec_lo, s14
	v_cmp_gt_i32_e32 vcc_lo, 0, v102
	s_wait_dscnt 0x0
	s_barrier_signal -1
	s_barrier_wait -1
	v_cndmask_b32_e32 v27, v102, v95, vcc_lo
	s_delay_alu instid0(VALU_DEP_1)
	v_dual_add_nc_u32 v25, v26, v25 :: v_dual_lshlrev_b32 v119, 2, v27
	ds_bpermute_b32 v25, v119, v25
	s_and_saveexec_b32 s14, s0
	s_cbranch_execz .LBB1320_98
; %bb.97:                               ;   in Loop: Header=BB1320_12 Depth=1
	s_wait_dscnt 0x0
	v_cndmask_b32_e64 v25, v25, v26, s8
	s_delay_alu instid0(VALU_DEP_1)
	v_add_nc_u32_e32 v25, s55, v25
	ds_store_b32 v4, v25
.LBB1320_98:                            ;   in Loop: Header=BB1320_12 Depth=1
	s_or_b32 exec_lo, exec_lo, s14
	s_clause 0x1
	s_load_b32 s14, s[52:53], 0x4
	s_load_b32 s16, s[52:53], 0xc
	s_mov_b32 s59, s57
                                        ; implicit-def: $vgpr32_vgpr33
                                        ; implicit-def: $vgpr34_vgpr35
                                        ; implicit-def: $vgpr36_vgpr37
                                        ; implicit-def: $vgpr38_vgpr39
                                        ; implicit-def: $vgpr40_vgpr41
                                        ; implicit-def: $vgpr42_vgpr43
                                        ; implicit-def: $vgpr44_vgpr45
                                        ; implicit-def: $vgpr46_vgpr47
                                        ; implicit-def: $vgpr48_vgpr49
                                        ; implicit-def: $vgpr50_vgpr51
                                        ; implicit-def: $vgpr52_vgpr53
                                        ; implicit-def: $vgpr54_vgpr55
                                        ; implicit-def: $vgpr56_vgpr57
                                        ; implicit-def: $vgpr58_vgpr59
                                        ; implicit-def: $vgpr60_vgpr61
                                        ; implicit-def: $vgpr62_vgpr63
                                        ; implicit-def: $vgpr120
                                        ; implicit-def: $vgpr121
                                        ; implicit-def: $vgpr122
                                        ; implicit-def: $vgpr123
                                        ; implicit-def: $vgpr124
                                        ; implicit-def: $vgpr125
                                        ; implicit-def: $vgpr126
                                        ; implicit-def: $vgpr127
                                        ; implicit-def: $vgpr128
                                        ; implicit-def: $vgpr129
                                        ; implicit-def: $vgpr130
                                        ; implicit-def: $vgpr131
                                        ; implicit-def: $vgpr132
                                        ; implicit-def: $vgpr134
                                        ; implicit-def: $vgpr135
                                        ; implicit-def: $vgpr136
                                        ; implicit-def: $vgpr137
                                        ; implicit-def: $vgpr133
                                        ; implicit-def: $vgpr138
	s_wait_kmcnt 0x0
	s_cmp_lt_u32 s35, s14
	s_cselect_b32 s42, 14, 20
	s_delay_alu instid0(SALU_CYCLE_1)
	s_add_nc_u64 s[14:15], s[52:53], s[42:43]
	s_mov_b32 s42, s55
	s_load_u16 s14, s[14:15], 0x0
	s_wait_xcnt 0x0
	v_cmp_lt_u32_e64 s15, 1, v103
	s_wait_dscnt 0x0
	s_wait_kmcnt 0x0
	v_mad_u32_u24 v25, v89, s14, v91
	s_and_b32 s14, s16, 0xffff
	v_cmp_lt_u32_e64 s16, 3, v103
	s_delay_alu instid0(VALU_DEP_2) | instskip(SKIP_2) | instid1(VALU_DEP_3)
	v_mad_u32 v26, v25, s14, v2
	v_mov_b32_e32 v25, v1
	v_cmp_eq_u32_e64 s14, 0, v103
	v_lshrrev_b32_e32 v30, 3, v26
	v_add_nc_u64_e32 v[26:27], v[6:7], v[0:1]
	s_delay_alu instid0(VALU_DEP_4) | instskip(NEXT) | instid1(VALU_DEP_3)
	v_add_nc_u64_e32 v[28:29], v[8:9], v[24:25]
	v_and_b32_e32 v25, 0x1ffffffc, v30
                                        ; implicit-def: $vgpr30_vgpr31
	s_branch .LBB1320_100
.LBB1320_99:                            ;   in Loop: Header=BB1320_100 Depth=2
	s_or_b32 exec_lo, exec_lo, s17
	s_addk_co_i32 s59, 0xef00
	s_cmp_lt_u32 s60, s54
	s_mov_b32 s42, s60
	s_cbranch_scc0 .LBB1320_322
.LBB1320_100:                           ;   Parent Loop BB1320_12 Depth=1
                                        ; =>  This Inner Loop Header: Depth=2
	s_add_co_i32 s60, s42, 0x1100
	s_delay_alu instid0(SALU_CYCLE_1)
	s_cmp_gt_u32 s60, s54
	s_cbranch_scc1 .LBB1320_102
; %bb.101:                              ;   in Loop: Header=BB1320_100 Depth=2
	s_delay_alu instid0(VALU_DEP_2)
	v_lshl_add_u64 v[64:65], s[42:43], 2, v[28:29]
	s_mov_b32 s17, -1
	s_clause 0xf
	global_load_b32 v140, v[64:65], off
	global_load_b32 v142, v[64:65], off offset:128
	global_load_b32 v144, v[64:65], off offset:256
	;; [unrolled: 1-line block ×15, first 2 shown]
	s_movk_i32 s18, 0x1100
	s_cbranch_execz .LBB1320_103
	s_branch .LBB1320_136
.LBB1320_102:                           ;   in Loop: Header=BB1320_100 Depth=2
	s_mov_b32 s17, 0
                                        ; implicit-def: $vgpr140
                                        ; implicit-def: $vgpr142
                                        ; implicit-def: $vgpr144
                                        ; implicit-def: $vgpr148
                                        ; implicit-def: $vgpr153
                                        ; implicit-def: $vgpr158
                                        ; implicit-def: $vgpr163
                                        ; implicit-def: $vgpr168
                                        ; implicit-def: $vgpr173
                                        ; implicit-def: $vgpr171
                                        ; implicit-def: $vgpr166
                                        ; implicit-def: $vgpr161
                                        ; implicit-def: $vgpr157
                                        ; implicit-def: $vgpr152
                                        ; implicit-def: $vgpr67
                                        ; implicit-def: $vgpr66
	s_movk_i32 s18, 0x1100
.LBB1320_103:                           ;   in Loop: Header=BB1320_100 Depth=2
	s_wait_xcnt 0x0
	v_lshl_add_u64 v[64:65], s[42:43], 2, v[28:29]
	s_wait_loadcnt 0xe
	v_dual_mov_b32 v142, -1 :: v_dual_mov_b32 v140, -1
	s_mov_b32 s17, exec_lo
	v_cmpx_gt_u32_e64 s59, v101
	s_cbranch_execz .LBB1320_105
; %bb.104:                              ;   in Loop: Header=BB1320_100 Depth=2
	global_load_b32 v140, v[64:65], off
.LBB1320_105:                           ;   in Loop: Header=BB1320_100 Depth=2
	s_wait_xcnt 0x0
	s_or_b32 exec_lo, exec_lo, s17
	s_delay_alu instid0(SALU_CYCLE_1)
	s_mov_b32 s17, exec_lo
	v_cmpx_gt_u32_e64 s59, v104
	s_cbranch_execz .LBB1320_107
; %bb.106:                              ;   in Loop: Header=BB1320_100 Depth=2
	global_load_b32 v142, v[64:65], off offset:128
.LBB1320_107:                           ;   in Loop: Header=BB1320_100 Depth=2
	s_wait_xcnt 0x0
	s_or_b32 exec_lo, exec_lo, s17
	s_wait_loadcnt 0xc
	v_dual_mov_b32 v148, -1 :: v_dual_mov_b32 v144, -1
	s_mov_b32 s17, exec_lo
	v_cmpx_gt_u32_e64 s59, v105
	s_cbranch_execz .LBB1320_109
; %bb.108:                              ;   in Loop: Header=BB1320_100 Depth=2
	global_load_b32 v144, v[64:65], off offset:256
.LBB1320_109:                           ;   in Loop: Header=BB1320_100 Depth=2
	s_wait_xcnt 0x0
	s_or_b32 exec_lo, exec_lo, s17
	s_delay_alu instid0(SALU_CYCLE_1)
	s_mov_b32 s17, exec_lo
	v_cmpx_gt_u32_e64 s59, v106
	s_cbranch_execz .LBB1320_111
; %bb.110:                              ;   in Loop: Header=BB1320_100 Depth=2
	global_load_b32 v148, v[64:65], off offset:384
.LBB1320_111:                           ;   in Loop: Header=BB1320_100 Depth=2
	s_wait_xcnt 0x0
	s_or_b32 exec_lo, exec_lo, s17
	s_wait_loadcnt 0xa
	v_dual_mov_b32 v158, -1 :: v_dual_mov_b32 v153, -1
	s_mov_b32 s17, exec_lo
	v_cmpx_gt_u32_e64 s59, v107
	s_cbranch_execz .LBB1320_113
; %bb.112:                              ;   in Loop: Header=BB1320_100 Depth=2
	global_load_b32 v153, v[64:65], off offset:512
.LBB1320_113:                           ;   in Loop: Header=BB1320_100 Depth=2
	s_wait_xcnt 0x0
	s_or_b32 exec_lo, exec_lo, s17
	s_delay_alu instid0(SALU_CYCLE_1)
	s_mov_b32 s17, exec_lo
	v_cmpx_gt_u32_e64 s59, v108
	s_cbranch_execz .LBB1320_115
; %bb.114:                              ;   in Loop: Header=BB1320_100 Depth=2
	global_load_b32 v158, v[64:65], off offset:640
.LBB1320_115:                           ;   in Loop: Header=BB1320_100 Depth=2
	s_wait_xcnt 0x0
	s_or_b32 exec_lo, exec_lo, s17
	s_wait_loadcnt 0x8
	v_dual_mov_b32 v168, -1 :: v_dual_mov_b32 v163, -1
	s_mov_b32 s17, exec_lo
	v_cmpx_gt_u32_e64 s59, v109
	s_cbranch_execz .LBB1320_117
; %bb.116:                              ;   in Loop: Header=BB1320_100 Depth=2
	global_load_b32 v163, v[64:65], off offset:768
.LBB1320_117:                           ;   in Loop: Header=BB1320_100 Depth=2
	s_wait_xcnt 0x0
	s_or_b32 exec_lo, exec_lo, s17
	s_delay_alu instid0(SALU_CYCLE_1)
	s_mov_b32 s17, exec_lo
	v_cmpx_gt_u32_e64 s59, v110
	s_cbranch_execz .LBB1320_119
; %bb.118:                              ;   in Loop: Header=BB1320_100 Depth=2
	global_load_b32 v168, v[64:65], off offset:896
.LBB1320_119:                           ;   in Loop: Header=BB1320_100 Depth=2
	s_wait_xcnt 0x0
	s_or_b32 exec_lo, exec_lo, s17
	s_wait_loadcnt 0x6
	v_dual_mov_b32 v171, -1 :: v_dual_mov_b32 v173, -1
	s_mov_b32 s17, exec_lo
	v_cmpx_gt_u32_e64 s59, v111
	s_cbranch_execz .LBB1320_121
; %bb.120:                              ;   in Loop: Header=BB1320_100 Depth=2
	global_load_b32 v173, v[64:65], off offset:1024
.LBB1320_121:                           ;   in Loop: Header=BB1320_100 Depth=2
	s_wait_xcnt 0x0
	s_or_b32 exec_lo, exec_lo, s17
	s_delay_alu instid0(SALU_CYCLE_1)
	s_mov_b32 s17, exec_lo
	v_cmpx_gt_u32_e64 s59, v112
	s_cbranch_execz .LBB1320_123
; %bb.122:                              ;   in Loop: Header=BB1320_100 Depth=2
	global_load_b32 v171, v[64:65], off offset:1152
.LBB1320_123:                           ;   in Loop: Header=BB1320_100 Depth=2
	s_wait_xcnt 0x0
	s_or_b32 exec_lo, exec_lo, s17
	s_wait_loadcnt 0x4
	v_dual_mov_b32 v161, -1 :: v_dual_mov_b32 v166, -1
	s_mov_b32 s17, exec_lo
	v_cmpx_gt_u32_e64 s59, v113
	s_cbranch_execz .LBB1320_125
; %bb.124:                              ;   in Loop: Header=BB1320_100 Depth=2
	global_load_b32 v166, v[64:65], off offset:1280
.LBB1320_125:                           ;   in Loop: Header=BB1320_100 Depth=2
	s_wait_xcnt 0x0
	s_or_b32 exec_lo, exec_lo, s17
	s_delay_alu instid0(SALU_CYCLE_1)
	s_mov_b32 s17, exec_lo
	v_cmpx_gt_u32_e64 s59, v114
	s_cbranch_execz .LBB1320_127
; %bb.126:                              ;   in Loop: Header=BB1320_100 Depth=2
	global_load_b32 v161, v[64:65], off offset:1408
.LBB1320_127:                           ;   in Loop: Header=BB1320_100 Depth=2
	s_wait_xcnt 0x0
	s_or_b32 exec_lo, exec_lo, s17
	s_wait_loadcnt 0x2
	v_dual_mov_b32 v152, -1 :: v_dual_mov_b32 v157, -1
	s_mov_b32 s17, exec_lo
	v_cmpx_gt_u32_e64 s59, v115
	s_cbranch_execz .LBB1320_129
; %bb.128:                              ;   in Loop: Header=BB1320_100 Depth=2
	global_load_b32 v157, v[64:65], off offset:1536
.LBB1320_129:                           ;   in Loop: Header=BB1320_100 Depth=2
	s_wait_xcnt 0x0
	s_or_b32 exec_lo, exec_lo, s17
	s_delay_alu instid0(SALU_CYCLE_1)
	s_mov_b32 s17, exec_lo
	v_cmpx_gt_u32_e64 s59, v116
	s_cbranch_execz .LBB1320_131
; %bb.130:                              ;   in Loop: Header=BB1320_100 Depth=2
	global_load_b32 v152, v[64:65], off offset:1664
.LBB1320_131:                           ;   in Loop: Header=BB1320_100 Depth=2
	s_wait_xcnt 0x0
	s_or_b32 exec_lo, exec_lo, s17
	s_wait_loadcnt 0x0
	v_dual_mov_b32 v66, -1 :: v_dual_mov_b32 v67, -1
	s_mov_b32 s17, exec_lo
	v_cmpx_gt_u32_e64 s59, v117
	s_cbranch_execz .LBB1320_133
; %bb.132:                              ;   in Loop: Header=BB1320_100 Depth=2
	global_load_b32 v67, v[64:65], off offset:1792
.LBB1320_133:                           ;   in Loop: Header=BB1320_100 Depth=2
	s_wait_xcnt 0x0
	s_or_b32 exec_lo, exec_lo, s17
	s_delay_alu instid0(SALU_CYCLE_1)
	s_mov_b32 s17, exec_lo
	v_cmpx_gt_u32_e64 s59, v118
	s_cbranch_execz .LBB1320_135
; %bb.134:                              ;   in Loop: Header=BB1320_100 Depth=2
	global_load_b32 v66, v[64:65], off offset:1920
.LBB1320_135:                           ;   in Loop: Header=BB1320_100 Depth=2
	s_wait_xcnt 0x0
	s_or_b32 exec_lo, exec_lo, s17
	v_cmp_gt_u32_e64 s17, s59, v5
	s_sub_co_i32 s18, s54, s42
.LBB1320_136:                           ;   in Loop: Header=BB1320_100 Depth=2
	s_wait_xcnt 0x0
	v_dual_mov_b32 v64, -1 :: v_dual_mov_b32 v139, s59
	s_and_saveexec_b32 s19, s17
	s_cbranch_execz .LBB1320_138
; %bb.137:                              ;   in Loop: Header=BB1320_100 Depth=2
	v_lshl_add_u64 v[64:65], s[42:43], 2, v[28:29]
	v_mov_b32_e32 v139, s18
	global_load_b32 v64, v[64:65], off offset:2048
.LBB1320_138:                           ;   in Loop: Header=BB1320_100 Depth=2
	s_wait_xcnt 0x0
	s_or_b32 exec_lo, exec_lo, s19
	s_wait_loadcnt 0xf
	v_cmp_gt_i32_e32 vcc_lo, 0, v140
	ds_store_2addr_b32 v90, v1, v1 offset0:136 offset1:137
	ds_store_2addr_b32 v90, v1, v1 offset0:138 offset1:139
	ds_store_b32 v90, v1 offset:560
	s_wait_loadcnt_dscnt 0x0
	s_barrier_signal -1
	s_barrier_wait -1
	v_cndmask_b32_e64 v65, 0x7fffffff, 0, vcc_lo
	; wave barrier
	s_delay_alu instid0(VALU_DEP_1) | instskip(NEXT) | instid1(VALU_DEP_1)
	v_xor_b32_e32 v140, v65, v140
	v_cmp_ne_u32_e32 vcc_lo, 0x80000000, v140
	v_cndmask_b32_e32 v65, 0x7fffffff, v140, vcc_lo
	s_delay_alu instid0(VALU_DEP_1) | instskip(NEXT) | instid1(VALU_DEP_1)
	v_lshrrev_b32_e32 v65, s48, v65
	v_bitop3_b32 v141, v65, 1, s58 bitop3:0x80
	v_and_b32_e32 v143, s58, v65
	s_delay_alu instid0(VALU_DEP_2) | instskip(NEXT) | instid1(VALU_DEP_1)
	v_add_co_u32 v65, s17, v141, -1
	v_cndmask_b32_e64 v141, 0, 1, s17
	s_delay_alu instid0(VALU_DEP_3) | instskip(SKIP_1) | instid1(VALU_DEP_3)
	v_dual_lshlrev_b32 v145, 30, v143 :: v_dual_lshlrev_b32 v147, 28, v143
	v_lshlrev_b32_e32 v146, 29, v143
	v_cmp_ne_u32_e32 vcc_lo, 0, v141
	s_delay_alu instid0(VALU_DEP_3) | instskip(SKIP_1) | instid1(VALU_DEP_4)
	v_cmp_gt_i32_e64 s17, 0, v145
	v_not_b32_e32 v141, v145
	v_cmp_gt_i32_e64 s18, 0, v146
	v_not_b32_e32 v145, v146
	v_not_b32_e32 v146, v147
	v_cmp_gt_i32_e64 s19, 0, v147
	v_ashrrev_i32_e32 v141, 31, v141
	v_bitop3_b32 v65, vcc_lo, exec_lo, v65 bitop3:0x48
	s_delay_alu instid0(VALU_DEP_4) | instskip(SKIP_2) | instid1(VALU_DEP_3)
	v_dual_ashrrev_i32 v146, 31, v146 :: v_dual_lshlrev_b32 v149, 27, v143
	v_dual_lshlrev_b32 v150, 26, v143 :: v_dual_lshlrev_b32 v151, 25, v143
	v_mul_u32_u24_e32 v143, 36, v143
	v_xor_b32_e32 v146, s19, v146
	s_delay_alu instid0(VALU_DEP_4)
	v_not_b32_e32 v147, v149
	v_ashrrev_i32_e32 v145, 31, v145
	v_cmp_gt_i32_e64 s20, 0, v149
	v_cmp_gt_i32_e64 s21, 0, v150
	v_not_b32_e32 v149, v150
	v_not_b32_e32 v150, v151
	v_dual_ashrrev_i32 v147, 31, v147 :: v_dual_bitop2_b32 v141, s17, v141 bitop3:0x14
	v_dual_add_nc_u32 v143, v25, v143 :: v_dual_bitop2_b32 v145, s18, v145 bitop3:0x14
	v_cmp_gt_i32_e64 s22, 0, v151
	s_delay_alu instid0(VALU_DEP_4) | instskip(NEXT) | instid1(VALU_DEP_4)
	v_dual_ashrrev_i32 v149, 31, v149 :: v_dual_ashrrev_i32 v150, 31, v150
	v_xor_b32_e32 v147, s20, v147
	s_delay_alu instid0(VALU_DEP_4) | instskip(NEXT) | instid1(VALU_DEP_3)
	v_bitop3_b32 v65, v65, v145, v141 bitop3:0x80
	v_xor_b32_e32 v141, s21, v149
	s_delay_alu instid0(VALU_DEP_4) | instskip(NEXT) | instid1(VALU_DEP_3)
	v_xor_b32_e32 v145, s22, v150
	v_bitop3_b32 v65, v65, v147, v146 bitop3:0x80
	s_delay_alu instid0(VALU_DEP_1) | instskip(NEXT) | instid1(VALU_DEP_1)
	v_bitop3_b32 v65, v65, v145, v141 bitop3:0x80
	v_mbcnt_lo_u32_b32 v141, v65, 0
	v_cmp_ne_u32_e64 s17, 0, v65
	s_delay_alu instid0(VALU_DEP_2) | instskip(SKIP_1) | instid1(SALU_CYCLE_1)
	v_cmp_eq_u32_e32 vcc_lo, 0, v141
	s_and_b32 s18, s17, vcc_lo
	s_and_saveexec_b32 s17, s18
; %bb.139:                              ;   in Loop: Header=BB1320_100 Depth=2
	v_bcnt_u32_b32 v65, v65, 0
	ds_store_b32 v143, v65 offset:544
; %bb.140:                              ;   in Loop: Header=BB1320_100 Depth=2
	s_or_b32 exec_lo, exec_lo, s17
	v_cmp_gt_i32_e32 vcc_lo, 0, v142
	; wave barrier
	v_cndmask_b32_e64 v65, 0x7fffffff, 0, vcc_lo
	s_delay_alu instid0(VALU_DEP_1) | instskip(NEXT) | instid1(VALU_DEP_1)
	v_xor_b32_e32 v142, v65, v142
	v_cmp_ne_u32_e32 vcc_lo, 0x80000000, v142
	v_cndmask_b32_e32 v65, 0x7fffffff, v142, vcc_lo
	s_delay_alu instid0(VALU_DEP_1) | instskip(NEXT) | instid1(VALU_DEP_1)
	v_lshrrev_b32_e32 v65, s48, v65
	v_bitop3_b32 v145, v65, 1, s58 bitop3:0x80
	v_and_b32_e32 v147, s58, v65
	s_delay_alu instid0(VALU_DEP_2) | instskip(NEXT) | instid1(VALU_DEP_1)
	v_add_co_u32 v65, s17, v145, -1
	v_cndmask_b32_e64 v145, 0, 1, s17
	s_delay_alu instid0(VALU_DEP_3) | instskip(NEXT) | instid1(VALU_DEP_2)
	v_dual_lshlrev_b32 v146, 30, v147 :: v_dual_lshlrev_b32 v149, 29, v147
	v_cmp_ne_u32_e32 vcc_lo, 0, v145
	s_delay_alu instid0(VALU_DEP_2) | instskip(SKIP_1) | instid1(VALU_DEP_4)
	v_cmp_gt_i32_e64 s17, 0, v146
	v_not_b32_e32 v145, v146
	v_not_b32_e32 v146, v149
	v_bitop3_b32 v65, vcc_lo, exec_lo, v65 bitop3:0x48
	s_delay_alu instid0(VALU_DEP_2) | instskip(SKIP_3) | instid1(VALU_DEP_3)
	v_dual_ashrrev_i32 v145, 31, v145 :: v_dual_ashrrev_i32 v146, 31, v146
	v_dual_lshlrev_b32 v150, 28, v147 :: v_dual_lshlrev_b32 v151, 27, v147
	v_dual_lshlrev_b32 v154, 26, v147 :: v_dual_lshlrev_b32 v155, 25, v147
	v_cmp_gt_i32_e64 s18, 0, v149
	v_cmp_gt_i32_e64 s19, 0, v150
	v_not_b32_e32 v149, v150
	v_not_b32_e32 v150, v151
	v_cmp_gt_i32_e64 s20, 0, v151
	v_cmp_gt_i32_e64 s21, 0, v154
	v_not_b32_e32 v151, v154
	v_not_b32_e32 v154, v155
	v_dual_ashrrev_i32 v149, 31, v149 :: v_dual_ashrrev_i32 v150, 31, v150
	s_delay_alu instid0(VALU_DEP_3) | instskip(SKIP_2) | instid1(VALU_DEP_4)
	v_dual_ashrrev_i32 v151, 31, v151 :: v_dual_bitop2_b32 v145, s17, v145 bitop3:0x14
	v_xor_b32_e32 v146, s18, v146
	v_cmp_gt_i32_e64 s22, 0, v155
	v_dual_ashrrev_i32 v154, 31, v154 :: v_dual_bitop2_b32 v149, s19, v149 bitop3:0x14
	v_xor_b32_e32 v150, s20, v150
	s_delay_alu instid0(VALU_DEP_4)
	v_bitop3_b32 v65, v65, v146, v145 bitop3:0x80
	v_mad_u32_u24 v145, v147, 36, v25
	v_xor_b32_e32 v146, s21, v151
	v_xor_b32_e32 v151, s22, v154
	v_mul_u32_u24_e32 v147, 36, v147
	v_bitop3_b32 v65, v65, v150, v149 bitop3:0x80
	ds_load_b32 v145, v145 offset:544
	; wave barrier
	v_add_nc_u32_e32 v147, v25, v147
	v_bitop3_b32 v65, v65, v151, v146 bitop3:0x80
	s_delay_alu instid0(VALU_DEP_1) | instskip(SKIP_1) | instid1(VALU_DEP_2)
	v_mbcnt_lo_u32_b32 v146, v65, 0
	v_cmp_ne_u32_e64 s17, 0, v65
	v_cmp_eq_u32_e32 vcc_lo, 0, v146
	s_and_b32 s18, s17, vcc_lo
	s_delay_alu instid0(SALU_CYCLE_1)
	s_and_saveexec_b32 s17, s18
	s_cbranch_execz .LBB1320_142
; %bb.141:                              ;   in Loop: Header=BB1320_100 Depth=2
	s_wait_dscnt 0x0
	v_bcnt_u32_b32 v65, v65, v145
	ds_store_b32 v147, v65 offset:544
.LBB1320_142:                           ;   in Loop: Header=BB1320_100 Depth=2
	s_or_b32 exec_lo, exec_lo, s17
	v_cmp_gt_i32_e32 vcc_lo, 0, v144
	; wave barrier
	v_cndmask_b32_e64 v65, 0x7fffffff, 0, vcc_lo
	s_delay_alu instid0(VALU_DEP_1) | instskip(NEXT) | instid1(VALU_DEP_1)
	v_xor_b32_e32 v144, v65, v144
	v_cmp_ne_u32_e32 vcc_lo, 0x80000000, v144
	v_cndmask_b32_e32 v65, 0x7fffffff, v144, vcc_lo
	s_delay_alu instid0(VALU_DEP_1) | instskip(NEXT) | instid1(VALU_DEP_1)
	v_lshrrev_b32_e32 v65, s48, v65
	v_bitop3_b32 v149, v65, 1, s58 bitop3:0x80
	v_and_b32_e32 v151, s58, v65
	s_delay_alu instid0(VALU_DEP_2) | instskip(NEXT) | instid1(VALU_DEP_1)
	v_add_co_u32 v65, s17, v149, -1
	v_cndmask_b32_e64 v149, 0, 1, s17
	s_delay_alu instid0(VALU_DEP_3) | instskip(NEXT) | instid1(VALU_DEP_2)
	v_dual_lshlrev_b32 v150, 30, v151 :: v_dual_lshlrev_b32 v154, 29, v151
	v_cmp_ne_u32_e32 vcc_lo, 0, v149
	s_delay_alu instid0(VALU_DEP_2) | instskip(SKIP_1) | instid1(VALU_DEP_4)
	v_cmp_gt_i32_e64 s17, 0, v150
	v_not_b32_e32 v149, v150
	v_not_b32_e32 v150, v154
	v_bitop3_b32 v65, vcc_lo, exec_lo, v65 bitop3:0x48
	s_delay_alu instid0(VALU_DEP_2) | instskip(SKIP_3) | instid1(VALU_DEP_3)
	v_dual_ashrrev_i32 v149, 31, v149 :: v_dual_ashrrev_i32 v150, 31, v150
	v_dual_lshlrev_b32 v155, 28, v151 :: v_dual_lshlrev_b32 v156, 27, v151
	v_dual_lshlrev_b32 v159, 26, v151 :: v_dual_lshlrev_b32 v160, 25, v151
	v_cmp_gt_i32_e64 s18, 0, v154
	v_cmp_gt_i32_e64 s19, 0, v155
	v_not_b32_e32 v154, v155
	v_not_b32_e32 v155, v156
	v_cmp_gt_i32_e64 s20, 0, v156
	v_cmp_gt_i32_e64 s21, 0, v159
	v_not_b32_e32 v156, v159
	v_not_b32_e32 v159, v160
	v_dual_ashrrev_i32 v154, 31, v154 :: v_dual_ashrrev_i32 v155, 31, v155
	s_delay_alu instid0(VALU_DEP_3) | instskip(NEXT) | instid1(VALU_DEP_3)
	v_dual_ashrrev_i32 v156, 31, v156 :: v_dual_bitop2_b32 v149, s17, v149 bitop3:0x14
	v_dual_ashrrev_i32 v159, 31, v159 :: v_dual_bitop2_b32 v150, s18, v150 bitop3:0x14
	v_cmp_gt_i32_e64 s22, 0, v160
	s_delay_alu instid0(VALU_DEP_4) | instskip(NEXT) | instid1(VALU_DEP_3)
	v_xor_b32_e32 v155, s20, v155
	v_bitop3_b32 v65, v65, v150, v149 bitop3:0x80
	v_mad_u32_u24 v149, v151, 36, v25
	v_mul_u32_u24_e32 v151, 36, v151
	v_xor_b32_e32 v154, s19, v154
	v_xor_b32_e32 v150, s21, v156
	;; [unrolled: 1-line block ×3, first 2 shown]
	ds_load_b32 v149, v149 offset:544
	v_add_nc_u32_e32 v151, v25, v151
	v_bitop3_b32 v65, v65, v155, v154 bitop3:0x80
	; wave barrier
	s_delay_alu instid0(VALU_DEP_1) | instskip(NEXT) | instid1(VALU_DEP_1)
	v_bitop3_b32 v65, v65, v156, v150 bitop3:0x80
	v_mbcnt_lo_u32_b32 v150, v65, 0
	v_cmp_ne_u32_e64 s17, 0, v65
	s_delay_alu instid0(VALU_DEP_2) | instskip(SKIP_1) | instid1(SALU_CYCLE_1)
	v_cmp_eq_u32_e32 vcc_lo, 0, v150
	s_and_b32 s18, s17, vcc_lo
	s_and_saveexec_b32 s17, s18
	s_cbranch_execz .LBB1320_144
; %bb.143:                              ;   in Loop: Header=BB1320_100 Depth=2
	s_wait_dscnt 0x0
	v_bcnt_u32_b32 v65, v65, v149
	ds_store_b32 v151, v65 offset:544
.LBB1320_144:                           ;   in Loop: Header=BB1320_100 Depth=2
	s_or_b32 exec_lo, exec_lo, s17
	v_cmp_gt_i32_e32 vcc_lo, 0, v148
	; wave barrier
	v_cndmask_b32_e64 v65, 0x7fffffff, 0, vcc_lo
	s_delay_alu instid0(VALU_DEP_1) | instskip(NEXT) | instid1(VALU_DEP_1)
	v_xor_b32_e32 v148, v65, v148
	v_cmp_ne_u32_e32 vcc_lo, 0x80000000, v148
	v_cndmask_b32_e32 v65, 0x7fffffff, v148, vcc_lo
	s_delay_alu instid0(VALU_DEP_1) | instskip(NEXT) | instid1(VALU_DEP_1)
	v_lshrrev_b32_e32 v65, s48, v65
	v_bitop3_b32 v154, v65, 1, s58 bitop3:0x80
	v_and_b32_e32 v156, s58, v65
	s_delay_alu instid0(VALU_DEP_2) | instskip(NEXT) | instid1(VALU_DEP_1)
	v_add_co_u32 v65, s17, v154, -1
	v_cndmask_b32_e64 v154, 0, 1, s17
	s_delay_alu instid0(VALU_DEP_3) | instskip(NEXT) | instid1(VALU_DEP_2)
	v_dual_lshlrev_b32 v155, 30, v156 :: v_dual_lshlrev_b32 v159, 29, v156
	v_cmp_ne_u32_e32 vcc_lo, 0, v154
	s_delay_alu instid0(VALU_DEP_2) | instskip(SKIP_1) | instid1(VALU_DEP_4)
	v_cmp_gt_i32_e64 s17, 0, v155
	v_not_b32_e32 v154, v155
	v_not_b32_e32 v155, v159
	v_cmp_gt_i32_e64 s18, 0, v159
	v_bitop3_b32 v65, vcc_lo, exec_lo, v65 bitop3:0x48
	s_delay_alu instid0(VALU_DEP_3) | instskip(SKIP_2) | instid1(VALU_DEP_2)
	v_dual_ashrrev_i32 v154, 31, v154 :: v_dual_ashrrev_i32 v155, 31, v155
	v_dual_lshlrev_b32 v160, 28, v156 :: v_dual_lshlrev_b32 v162, 27, v156
	v_dual_lshlrev_b32 v164, 26, v156 :: v_dual_lshlrev_b32 v165, 25, v156
	v_cmp_gt_i32_e64 s19, 0, v160
	v_not_b32_e32 v159, v160
	s_delay_alu instid0(VALU_DEP_4)
	v_not_b32_e32 v160, v162
	v_cmp_gt_i32_e64 s20, 0, v162
	v_cmp_gt_i32_e64 s21, 0, v164
	v_not_b32_e32 v162, v164
	v_not_b32_e32 v164, v165
	v_dual_ashrrev_i32 v159, 31, v159 :: v_dual_ashrrev_i32 v160, 31, v160
	v_xor_b32_e32 v154, s17, v154
	s_delay_alu instid0(VALU_DEP_4) | instskip(SKIP_3) | instid1(VALU_DEP_4)
	v_dual_ashrrev_i32 v162, 31, v162 :: v_dual_bitop2_b32 v155, s18, v155 bitop3:0x14
	v_cmp_gt_i32_e64 s22, 0, v165
	v_ashrrev_i32_e32 v164, 31, v164
	v_xor_b32_e32 v160, s20, v160
	v_bitop3_b32 v65, v65, v155, v154 bitop3:0x80
	v_mad_u32_u24 v154, v156, 36, v25
	v_mul_u32_u24_e32 v156, 36, v156
	v_xor_b32_e32 v159, s19, v159
	v_xor_b32_e32 v155, s21, v162
	;; [unrolled: 1-line block ×3, first 2 shown]
	ds_load_b32 v154, v154 offset:544
	v_add_nc_u32_e32 v156, v25, v156
	v_bitop3_b32 v65, v65, v160, v159 bitop3:0x80
	; wave barrier
	s_delay_alu instid0(VALU_DEP_1) | instskip(NEXT) | instid1(VALU_DEP_1)
	v_bitop3_b32 v65, v65, v162, v155 bitop3:0x80
	v_mbcnt_lo_u32_b32 v155, v65, 0
	v_cmp_ne_u32_e64 s17, 0, v65
	s_delay_alu instid0(VALU_DEP_2) | instskip(SKIP_1) | instid1(SALU_CYCLE_1)
	v_cmp_eq_u32_e32 vcc_lo, 0, v155
	s_and_b32 s18, s17, vcc_lo
	s_and_saveexec_b32 s17, s18
	s_cbranch_execz .LBB1320_146
; %bb.145:                              ;   in Loop: Header=BB1320_100 Depth=2
	s_wait_dscnt 0x0
	v_bcnt_u32_b32 v65, v65, v154
	ds_store_b32 v156, v65 offset:544
.LBB1320_146:                           ;   in Loop: Header=BB1320_100 Depth=2
	s_or_b32 exec_lo, exec_lo, s17
	v_cmp_gt_i32_e32 vcc_lo, 0, v153
	; wave barrier
	v_cndmask_b32_e64 v65, 0x7fffffff, 0, vcc_lo
	s_delay_alu instid0(VALU_DEP_1) | instskip(NEXT) | instid1(VALU_DEP_1)
	v_xor_b32_e32 v153, v65, v153
	v_cmp_ne_u32_e32 vcc_lo, 0x80000000, v153
	v_cndmask_b32_e32 v65, 0x7fffffff, v153, vcc_lo
	s_delay_alu instid0(VALU_DEP_1) | instskip(NEXT) | instid1(VALU_DEP_1)
	v_lshrrev_b32_e32 v65, s48, v65
	v_and_b32_e32 v162, s58, v65
	s_delay_alu instid0(VALU_DEP_1) | instskip(SKIP_2) | instid1(VALU_DEP_3)
	v_lshlrev_b32_e32 v165, 28, v162
	v_bitop3_b32 v159, v65, 1, s58 bitop3:0x80
	v_lshlrev_b32_e32 v160, 30, v162
	v_cmp_gt_i32_e64 s19, 0, v165
	s_delay_alu instid0(VALU_DEP_3) | instskip(NEXT) | instid1(VALU_DEP_1)
	v_add_co_u32 v65, s17, v159, -1
	v_cndmask_b32_e64 v159, 0, 1, s17
	s_delay_alu instid0(VALU_DEP_4) | instskip(NEXT) | instid1(VALU_DEP_2)
	v_cmp_gt_i32_e64 s17, 0, v160
	v_cmp_ne_u32_e32 vcc_lo, 0, v159
	v_not_b32_e32 v159, v160
	v_bitop3_b32 v65, vcc_lo, exec_lo, v65 bitop3:0x48
	s_delay_alu instid0(VALU_DEP_2) | instskip(SKIP_1) | instid1(VALU_DEP_2)
	v_dual_ashrrev_i32 v159, 31, v159 :: v_dual_lshlrev_b32 v164, 29, v162
	v_dual_lshlrev_b32 v167, 27, v162 :: v_dual_lshlrev_b32 v169, 26, v162
	v_not_b32_e32 v160, v164
	v_lshlrev_b32_e32 v170, 25, v162
	v_cmp_gt_i32_e64 s18, 0, v164
	v_not_b32_e32 v164, v165
	v_not_b32_e32 v165, v167
	v_ashrrev_i32_e32 v160, 31, v160
	v_cmp_gt_i32_e64 s20, 0, v167
	v_cmp_gt_i32_e64 s21, 0, v169
	v_not_b32_e32 v167, v169
	v_not_b32_e32 v169, v170
	v_dual_ashrrev_i32 v164, 31, v164 :: v_dual_ashrrev_i32 v165, 31, v165
	v_xor_b32_e32 v159, s17, v159
	s_delay_alu instid0(VALU_DEP_4) | instskip(SKIP_3) | instid1(VALU_DEP_4)
	v_dual_ashrrev_i32 v167, 31, v167 :: v_dual_bitop2_b32 v160, s18, v160 bitop3:0x14
	v_cmp_gt_i32_e64 s22, 0, v170
	v_ashrrev_i32_e32 v169, 31, v169
	v_xor_b32_e32 v165, s20, v165
	v_bitop3_b32 v65, v65, v160, v159 bitop3:0x80
	v_mad_u32_u24 v159, v162, 36, v25
	v_mul_u32_u24_e32 v162, 36, v162
	v_xor_b32_e32 v164, s19, v164
	v_xor_b32_e32 v160, s21, v167
	;; [unrolled: 1-line block ×3, first 2 shown]
	ds_load_b32 v159, v159 offset:544
	v_add_nc_u32_e32 v162, v25, v162
	v_bitop3_b32 v65, v65, v165, v164 bitop3:0x80
	; wave barrier
	s_delay_alu instid0(VALU_DEP_1) | instskip(NEXT) | instid1(VALU_DEP_1)
	v_bitop3_b32 v65, v65, v167, v160 bitop3:0x80
	v_mbcnt_lo_u32_b32 v160, v65, 0
	v_cmp_ne_u32_e64 s17, 0, v65
	s_delay_alu instid0(VALU_DEP_2) | instskip(SKIP_1) | instid1(SALU_CYCLE_1)
	v_cmp_eq_u32_e32 vcc_lo, 0, v160
	s_and_b32 s18, s17, vcc_lo
	s_and_saveexec_b32 s17, s18
	s_cbranch_execz .LBB1320_148
; %bb.147:                              ;   in Loop: Header=BB1320_100 Depth=2
	s_wait_dscnt 0x0
	v_bcnt_u32_b32 v65, v65, v159
	ds_store_b32 v162, v65 offset:544
.LBB1320_148:                           ;   in Loop: Header=BB1320_100 Depth=2
	s_or_b32 exec_lo, exec_lo, s17
	v_cmp_gt_i32_e32 vcc_lo, 0, v158
	; wave barrier
	v_cndmask_b32_e64 v65, 0x7fffffff, 0, vcc_lo
	s_delay_alu instid0(VALU_DEP_1) | instskip(NEXT) | instid1(VALU_DEP_1)
	v_xor_b32_e32 v158, v65, v158
	v_cmp_ne_u32_e32 vcc_lo, 0x80000000, v158
	v_cndmask_b32_e32 v65, 0x7fffffff, v158, vcc_lo
	s_delay_alu instid0(VALU_DEP_1) | instskip(NEXT) | instid1(VALU_DEP_1)
	v_lshrrev_b32_e32 v65, s48, v65
	v_bitop3_b32 v164, v65, 1, s58 bitop3:0x80
	v_and_b32_e32 v167, s58, v65
	s_delay_alu instid0(VALU_DEP_2) | instskip(NEXT) | instid1(VALU_DEP_1)
	v_add_co_u32 v65, s17, v164, -1
	v_cndmask_b32_e64 v164, 0, 1, s17
	s_delay_alu instid0(VALU_DEP_3) | instskip(NEXT) | instid1(VALU_DEP_2)
	v_lshlrev_b32_e32 v165, 30, v167
	v_cmp_ne_u32_e32 vcc_lo, 0, v164
	s_delay_alu instid0(VALU_DEP_2) | instskip(SKIP_1) | instid1(VALU_DEP_2)
	v_not_b32_e32 v164, v165
	v_bitop3_b32 v65, vcc_lo, exec_lo, v65 bitop3:0x48
	v_dual_ashrrev_i32 v164, 31, v164 :: v_dual_lshlrev_b32 v169, 29, v167
	v_dual_lshlrev_b32 v170, 28, v167 :: v_dual_lshlrev_b32 v172, 27, v167
	v_lshlrev_b32_e32 v174, 26, v167
	v_cmp_gt_i32_e64 s17, 0, v165
	s_delay_alu instid0(VALU_DEP_4)
	v_not_b32_e32 v165, v169
	v_lshlrev_b32_e32 v175, 25, v167
	v_cmp_gt_i32_e64 s18, 0, v169
	v_cmp_gt_i32_e64 s19, 0, v170
	v_not_b32_e32 v169, v170
	v_not_b32_e32 v170, v172
	v_ashrrev_i32_e32 v165, 31, v165
	v_cmp_gt_i32_e64 s20, 0, v172
	v_cmp_gt_i32_e64 s21, 0, v174
	v_not_b32_e32 v172, v174
	v_not_b32_e32 v174, v175
	v_dual_ashrrev_i32 v169, 31, v169 :: v_dual_ashrrev_i32 v170, 31, v170
	v_xor_b32_e32 v164, s17, v164
	s_delay_alu instid0(VALU_DEP_4) | instskip(SKIP_3) | instid1(VALU_DEP_4)
	v_dual_ashrrev_i32 v172, 31, v172 :: v_dual_bitop2_b32 v165, s18, v165 bitop3:0x14
	v_cmp_gt_i32_e64 s22, 0, v175
	v_ashrrev_i32_e32 v174, 31, v174
	v_xor_b32_e32 v170, s20, v170
	v_bitop3_b32 v65, v65, v165, v164 bitop3:0x80
	v_mad_u32_u24 v164, v167, 36, v25
	v_mul_u32_u24_e32 v167, 36, v167
	v_xor_b32_e32 v169, s19, v169
	v_xor_b32_e32 v165, s21, v172
	;; [unrolled: 1-line block ×3, first 2 shown]
	ds_load_b32 v164, v164 offset:544
	v_add_nc_u32_e32 v167, v25, v167
	v_bitop3_b32 v65, v65, v170, v169 bitop3:0x80
	; wave barrier
	s_delay_alu instid0(VALU_DEP_1) | instskip(NEXT) | instid1(VALU_DEP_1)
	v_bitop3_b32 v65, v65, v172, v165 bitop3:0x80
	v_mbcnt_lo_u32_b32 v165, v65, 0
	v_cmp_ne_u32_e64 s17, 0, v65
	s_delay_alu instid0(VALU_DEP_2) | instskip(SKIP_1) | instid1(SALU_CYCLE_1)
	v_cmp_eq_u32_e32 vcc_lo, 0, v165
	s_and_b32 s18, s17, vcc_lo
	s_and_saveexec_b32 s17, s18
	s_cbranch_execz .LBB1320_150
; %bb.149:                              ;   in Loop: Header=BB1320_100 Depth=2
	s_wait_dscnt 0x0
	v_bcnt_u32_b32 v65, v65, v164
	ds_store_b32 v167, v65 offset:544
.LBB1320_150:                           ;   in Loop: Header=BB1320_100 Depth=2
	s_or_b32 exec_lo, exec_lo, s17
	v_cmp_gt_i32_e32 vcc_lo, 0, v163
	; wave barrier
	v_cndmask_b32_e64 v65, 0x7fffffff, 0, vcc_lo
	s_delay_alu instid0(VALU_DEP_1) | instskip(NEXT) | instid1(VALU_DEP_1)
	v_xor_b32_e32 v163, v65, v163
	v_cmp_ne_u32_e32 vcc_lo, 0x80000000, v163
	v_cndmask_b32_e32 v65, 0x7fffffff, v163, vcc_lo
	s_delay_alu instid0(VALU_DEP_1) | instskip(NEXT) | instid1(VALU_DEP_1)
	v_lshrrev_b32_e32 v65, s48, v65
	v_bitop3_b32 v169, v65, 1, s58 bitop3:0x80
	v_and_b32_e32 v172, s58, v65
	s_delay_alu instid0(VALU_DEP_2) | instskip(NEXT) | instid1(VALU_DEP_1)
	v_add_co_u32 v65, s17, v169, -1
	v_cndmask_b32_e64 v169, 0, 1, s17
	s_delay_alu instid0(VALU_DEP_3) | instskip(NEXT) | instid1(VALU_DEP_2)
	v_dual_lshlrev_b32 v170, 30, v172 :: v_dual_lshlrev_b32 v174, 29, v172
	v_cmp_ne_u32_e32 vcc_lo, 0, v169
	s_delay_alu instid0(VALU_DEP_2) | instskip(SKIP_1) | instid1(VALU_DEP_4)
	v_cmp_gt_i32_e64 s17, 0, v170
	v_not_b32_e32 v169, v170
	v_not_b32_e32 v170, v174
	v_bitop3_b32 v65, vcc_lo, exec_lo, v65 bitop3:0x48
	s_delay_alu instid0(VALU_DEP_2) | instskip(SKIP_3) | instid1(VALU_DEP_3)
	v_dual_ashrrev_i32 v169, 31, v169 :: v_dual_ashrrev_i32 v170, 31, v170
	v_dual_lshlrev_b32 v175, 28, v172 :: v_dual_lshlrev_b32 v176, 27, v172
	v_dual_lshlrev_b32 v177, 26, v172 :: v_dual_lshlrev_b32 v178, 25, v172
	v_cmp_gt_i32_e64 s18, 0, v174
	v_cmp_gt_i32_e64 s19, 0, v175
	v_not_b32_e32 v174, v175
	v_not_b32_e32 v175, v176
	v_cmp_gt_i32_e64 s20, 0, v176
	v_cmp_gt_i32_e64 s21, 0, v177
	v_not_b32_e32 v176, v177
	v_not_b32_e32 v177, v178
	v_dual_ashrrev_i32 v174, 31, v174 :: v_dual_ashrrev_i32 v175, 31, v175
	s_delay_alu instid0(VALU_DEP_3) | instskip(NEXT) | instid1(VALU_DEP_3)
	v_dual_ashrrev_i32 v176, 31, v176 :: v_dual_bitop2_b32 v169, s17, v169 bitop3:0x14
	v_dual_ashrrev_i32 v177, 31, v177 :: v_dual_bitop2_b32 v170, s18, v170 bitop3:0x14
	v_cmp_gt_i32_e64 s22, 0, v178
	s_delay_alu instid0(VALU_DEP_4) | instskip(NEXT) | instid1(VALU_DEP_3)
	v_xor_b32_e32 v175, s20, v175
	v_bitop3_b32 v65, v65, v170, v169 bitop3:0x80
	v_mad_u32_u24 v169, v172, 36, v25
	v_mul_u32_u24_e32 v172, 36, v172
	v_xor_b32_e32 v174, s19, v174
	v_xor_b32_e32 v170, s21, v176
	;; [unrolled: 1-line block ×3, first 2 shown]
	ds_load_b32 v169, v169 offset:544
	v_add_nc_u32_e32 v172, v25, v172
	v_bitop3_b32 v65, v65, v175, v174 bitop3:0x80
	; wave barrier
	s_delay_alu instid0(VALU_DEP_1) | instskip(NEXT) | instid1(VALU_DEP_1)
	v_bitop3_b32 v65, v65, v176, v170 bitop3:0x80
	v_mbcnt_lo_u32_b32 v170, v65, 0
	v_cmp_ne_u32_e64 s17, 0, v65
	s_delay_alu instid0(VALU_DEP_2) | instskip(SKIP_1) | instid1(SALU_CYCLE_1)
	v_cmp_eq_u32_e32 vcc_lo, 0, v170
	s_and_b32 s18, s17, vcc_lo
	s_and_saveexec_b32 s17, s18
	s_cbranch_execz .LBB1320_152
; %bb.151:                              ;   in Loop: Header=BB1320_100 Depth=2
	s_wait_dscnt 0x0
	v_bcnt_u32_b32 v65, v65, v169
	ds_store_b32 v172, v65 offset:544
.LBB1320_152:                           ;   in Loop: Header=BB1320_100 Depth=2
	s_or_b32 exec_lo, exec_lo, s17
	v_cmp_gt_i32_e32 vcc_lo, 0, v168
	; wave barrier
	v_cndmask_b32_e64 v65, 0x7fffffff, 0, vcc_lo
	s_delay_alu instid0(VALU_DEP_1) | instskip(NEXT) | instid1(VALU_DEP_1)
	v_xor_b32_e32 v168, v65, v168
	v_cmp_ne_u32_e32 vcc_lo, 0x80000000, v168
	v_cndmask_b32_e32 v65, 0x7fffffff, v168, vcc_lo
	s_delay_alu instid0(VALU_DEP_1) | instskip(NEXT) | instid1(VALU_DEP_1)
	v_lshrrev_b32_e32 v65, s48, v65
	v_bitop3_b32 v174, v65, 1, s58 bitop3:0x80
	v_and_b32_e32 v176, s58, v65
	s_delay_alu instid0(VALU_DEP_2) | instskip(NEXT) | instid1(VALU_DEP_1)
	v_add_co_u32 v65, s17, v174, -1
	v_cndmask_b32_e64 v174, 0, 1, s17
	s_delay_alu instid0(VALU_DEP_3) | instskip(NEXT) | instid1(VALU_DEP_2)
	v_dual_lshlrev_b32 v175, 30, v176 :: v_dual_lshlrev_b32 v177, 29, v176
	v_cmp_ne_u32_e32 vcc_lo, 0, v174
	s_delay_alu instid0(VALU_DEP_2) | instskip(SKIP_1) | instid1(VALU_DEP_4)
	v_cmp_gt_i32_e64 s17, 0, v175
	v_not_b32_e32 v174, v175
	v_not_b32_e32 v175, v177
	v_cmp_gt_i32_e64 s18, 0, v177
	v_bitop3_b32 v65, vcc_lo, exec_lo, v65 bitop3:0x48
	s_delay_alu instid0(VALU_DEP_3) | instskip(SKIP_2) | instid1(VALU_DEP_2)
	v_dual_ashrrev_i32 v174, 31, v174 :: v_dual_ashrrev_i32 v175, 31, v175
	v_dual_lshlrev_b32 v178, 28, v176 :: v_dual_lshlrev_b32 v179, 27, v176
	v_dual_lshlrev_b32 v180, 26, v176 :: v_dual_lshlrev_b32 v181, 25, v176
	v_cmp_gt_i32_e64 s19, 0, v178
	v_not_b32_e32 v177, v178
	s_delay_alu instid0(VALU_DEP_4)
	v_not_b32_e32 v178, v179
	v_cmp_gt_i32_e64 s20, 0, v179
	v_cmp_gt_i32_e64 s21, 0, v180
	v_not_b32_e32 v179, v180
	v_not_b32_e32 v180, v181
	v_dual_ashrrev_i32 v177, 31, v177 :: v_dual_ashrrev_i32 v178, 31, v178
	s_delay_alu instid0(VALU_DEP_3) | instskip(NEXT) | instid1(VALU_DEP_3)
	v_dual_ashrrev_i32 v179, 31, v179 :: v_dual_bitop2_b32 v174, s17, v174 bitop3:0x14
	v_dual_ashrrev_i32 v180, 31, v180 :: v_dual_bitop2_b32 v175, s18, v175 bitop3:0x14
	v_cmp_gt_i32_e64 s22, 0, v181
	s_delay_alu instid0(VALU_DEP_4) | instskip(NEXT) | instid1(VALU_DEP_3)
	v_xor_b32_e32 v178, s20, v178
	v_bitop3_b32 v65, v65, v175, v174 bitop3:0x80
	v_mad_u32_u24 v174, v176, 36, v25
	v_mul_u32_u24_e32 v176, 36, v176
	v_xor_b32_e32 v177, s19, v177
	v_xor_b32_e32 v175, s21, v179
	;; [unrolled: 1-line block ×3, first 2 shown]
	ds_load_b32 v174, v174 offset:544
	v_add_nc_u32_e32 v176, v25, v176
	v_bitop3_b32 v65, v65, v178, v177 bitop3:0x80
	; wave barrier
	s_delay_alu instid0(VALU_DEP_1) | instskip(NEXT) | instid1(VALU_DEP_1)
	v_bitop3_b32 v65, v65, v179, v175 bitop3:0x80
	v_mbcnt_lo_u32_b32 v175, v65, 0
	v_cmp_ne_u32_e64 s17, 0, v65
	s_delay_alu instid0(VALU_DEP_2) | instskip(SKIP_1) | instid1(SALU_CYCLE_1)
	v_cmp_eq_u32_e32 vcc_lo, 0, v175
	s_and_b32 s18, s17, vcc_lo
	s_and_saveexec_b32 s17, s18
	s_cbranch_execz .LBB1320_154
; %bb.153:                              ;   in Loop: Header=BB1320_100 Depth=2
	s_wait_dscnt 0x0
	v_bcnt_u32_b32 v65, v65, v174
	ds_store_b32 v176, v65 offset:544
.LBB1320_154:                           ;   in Loop: Header=BB1320_100 Depth=2
	s_or_b32 exec_lo, exec_lo, s17
	v_cmp_gt_i32_e32 vcc_lo, 0, v173
	; wave barrier
	v_cndmask_b32_e64 v65, 0x7fffffff, 0, vcc_lo
	s_delay_alu instid0(VALU_DEP_1) | instskip(NEXT) | instid1(VALU_DEP_1)
	v_xor_b32_e32 v173, v65, v173
	v_cmp_ne_u32_e32 vcc_lo, 0x80000000, v173
	v_cndmask_b32_e32 v65, 0x7fffffff, v173, vcc_lo
	s_delay_alu instid0(VALU_DEP_1) | instskip(NEXT) | instid1(VALU_DEP_1)
	v_lshrrev_b32_e32 v65, s48, v65
	v_and_b32_e32 v179, s58, v65
	s_delay_alu instid0(VALU_DEP_1) | instskip(SKIP_2) | instid1(VALU_DEP_3)
	v_lshlrev_b32_e32 v181, 28, v179
	v_bitop3_b32 v177, v65, 1, s58 bitop3:0x80
	v_dual_lshlrev_b32 v178, 30, v179 :: v_dual_lshlrev_b32 v180, 29, v179
	v_cmp_gt_i32_e64 s19, 0, v181
	s_delay_alu instid0(VALU_DEP_3) | instskip(NEXT) | instid1(VALU_DEP_1)
	v_add_co_u32 v65, s17, v177, -1
	v_cndmask_b32_e64 v177, 0, 1, s17
	s_delay_alu instid0(VALU_DEP_4) | instskip(SKIP_1) | instid1(VALU_DEP_3)
	v_cmp_gt_i32_e64 s17, 0, v178
	v_cmp_gt_i32_e64 s18, 0, v180
	v_cmp_ne_u32_e32 vcc_lo, 0, v177
	v_not_b32_e32 v177, v178
	v_not_b32_e32 v178, v180
	;; [unrolled: 1-line block ×3, first 2 shown]
	v_bitop3_b32 v65, vcc_lo, exec_lo, v65 bitop3:0x48
	s_delay_alu instid0(VALU_DEP_3) | instskip(SKIP_2) | instid1(VALU_DEP_2)
	v_dual_ashrrev_i32 v177, 31, v177 :: v_dual_ashrrev_i32 v178, 31, v178
	v_dual_lshlrev_b32 v182, 27, v179 :: v_dual_lshlrev_b32 v183, 26, v179
	v_lshlrev_b32_e32 v184, 25, v179
	v_not_b32_e32 v181, v182
	v_cmp_gt_i32_e64 s20, 0, v182
	s_delay_alu instid0(VALU_DEP_4) | instskip(SKIP_3) | instid1(VALU_DEP_3)
	v_cmp_gt_i32_e64 s21, 0, v183
	v_not_b32_e32 v182, v183
	v_not_b32_e32 v183, v184
	v_dual_ashrrev_i32 v180, 31, v180 :: v_dual_ashrrev_i32 v181, 31, v181
	v_dual_ashrrev_i32 v182, 31, v182 :: v_dual_bitop2_b32 v177, s17, v177 bitop3:0x14
	s_delay_alu instid0(VALU_DEP_3) | instskip(SKIP_1) | instid1(VALU_DEP_4)
	v_dual_ashrrev_i32 v183, 31, v183 :: v_dual_bitop2_b32 v178, s18, v178 bitop3:0x14
	v_cmp_gt_i32_e64 s22, 0, v184
	v_xor_b32_e32 v181, s20, v181
	s_delay_alu instid0(VALU_DEP_3)
	v_bitop3_b32 v65, v65, v178, v177 bitop3:0x80
	v_mad_u32_u24 v177, v179, 36, v25
	v_mul_u32_u24_e32 v179, 36, v179
	v_xor_b32_e32 v180, s19, v180
	v_xor_b32_e32 v178, s21, v182
	;; [unrolled: 1-line block ×3, first 2 shown]
	ds_load_b32 v177, v177 offset:544
	v_add_nc_u32_e32 v179, v25, v179
	v_bitop3_b32 v65, v65, v181, v180 bitop3:0x80
	; wave barrier
	s_delay_alu instid0(VALU_DEP_1) | instskip(NEXT) | instid1(VALU_DEP_1)
	v_bitop3_b32 v65, v65, v182, v178 bitop3:0x80
	v_mbcnt_lo_u32_b32 v178, v65, 0
	v_cmp_ne_u32_e64 s17, 0, v65
	s_delay_alu instid0(VALU_DEP_2) | instskip(SKIP_1) | instid1(SALU_CYCLE_1)
	v_cmp_eq_u32_e32 vcc_lo, 0, v178
	s_and_b32 s18, s17, vcc_lo
	s_and_saveexec_b32 s17, s18
	s_cbranch_execz .LBB1320_156
; %bb.155:                              ;   in Loop: Header=BB1320_100 Depth=2
	s_wait_dscnt 0x0
	v_bcnt_u32_b32 v65, v65, v177
	ds_store_b32 v179, v65 offset:544
.LBB1320_156:                           ;   in Loop: Header=BB1320_100 Depth=2
	s_or_b32 exec_lo, exec_lo, s17
	v_cmp_gt_i32_e32 vcc_lo, 0, v171
	; wave barrier
	v_cndmask_b32_e64 v65, 0x7fffffff, 0, vcc_lo
	s_delay_alu instid0(VALU_DEP_1) | instskip(NEXT) | instid1(VALU_DEP_1)
	v_xor_b32_e32 v171, v65, v171
	v_cmp_ne_u32_e32 vcc_lo, 0x80000000, v171
	v_cndmask_b32_e32 v65, 0x7fffffff, v171, vcc_lo
	s_delay_alu instid0(VALU_DEP_1) | instskip(NEXT) | instid1(VALU_DEP_1)
	v_lshrrev_b32_e32 v65, s48, v65
	v_bitop3_b32 v180, v65, 1, s58 bitop3:0x80
	v_and_b32_e32 v182, s58, v65
	s_delay_alu instid0(VALU_DEP_2) | instskip(NEXT) | instid1(VALU_DEP_1)
	v_add_co_u32 v65, s17, v180, -1
	v_cndmask_b32_e64 v180, 0, 1, s17
	s_delay_alu instid0(VALU_DEP_3) | instskip(NEXT) | instid1(VALU_DEP_2)
	v_lshlrev_b32_e32 v181, 30, v182
	v_cmp_ne_u32_e32 vcc_lo, 0, v180
	s_delay_alu instid0(VALU_DEP_2) | instskip(SKIP_1) | instid1(VALU_DEP_2)
	v_not_b32_e32 v180, v181
	v_bitop3_b32 v65, vcc_lo, exec_lo, v65 bitop3:0x48
	v_dual_ashrrev_i32 v180, 31, v180 :: v_dual_lshlrev_b32 v183, 29, v182
	v_dual_lshlrev_b32 v184, 28, v182 :: v_dual_lshlrev_b32 v185, 27, v182
	v_lshlrev_b32_e32 v186, 26, v182
	v_cmp_gt_i32_e64 s17, 0, v181
	s_delay_alu instid0(VALU_DEP_4)
	v_not_b32_e32 v181, v183
	v_lshlrev_b32_e32 v187, 25, v182
	v_cmp_gt_i32_e64 s18, 0, v183
	v_cmp_gt_i32_e64 s19, 0, v184
	v_not_b32_e32 v183, v184
	v_not_b32_e32 v184, v185
	v_ashrrev_i32_e32 v181, 31, v181
	v_cmp_gt_i32_e64 s20, 0, v185
	v_cmp_gt_i32_e64 s21, 0, v186
	v_not_b32_e32 v185, v186
	v_not_b32_e32 v186, v187
	v_dual_ashrrev_i32 v183, 31, v183 :: v_dual_ashrrev_i32 v184, 31, v184
	s_delay_alu instid0(VALU_DEP_3) | instskip(NEXT) | instid1(VALU_DEP_3)
	v_dual_ashrrev_i32 v185, 31, v185 :: v_dual_bitop2_b32 v180, s17, v180 bitop3:0x14
	v_dual_ashrrev_i32 v186, 31, v186 :: v_dual_bitop2_b32 v181, s18, v181 bitop3:0x14
	v_cmp_gt_i32_e64 s22, 0, v187
	s_delay_alu instid0(VALU_DEP_4) | instskip(NEXT) | instid1(VALU_DEP_3)
	v_xor_b32_e32 v184, s20, v184
	v_bitop3_b32 v65, v65, v181, v180 bitop3:0x80
	v_mad_u32_u24 v180, v182, 36, v25
	v_mul_u32_u24_e32 v182, 36, v182
	v_xor_b32_e32 v183, s19, v183
	v_xor_b32_e32 v181, s21, v185
	;; [unrolled: 1-line block ×3, first 2 shown]
	ds_load_b32 v180, v180 offset:544
	v_add_nc_u32_e32 v182, v25, v182
	v_bitop3_b32 v65, v65, v184, v183 bitop3:0x80
	; wave barrier
	s_delay_alu instid0(VALU_DEP_1) | instskip(NEXT) | instid1(VALU_DEP_1)
	v_bitop3_b32 v65, v65, v185, v181 bitop3:0x80
	v_mbcnt_lo_u32_b32 v181, v65, 0
	v_cmp_ne_u32_e64 s17, 0, v65
	s_delay_alu instid0(VALU_DEP_2) | instskip(SKIP_1) | instid1(SALU_CYCLE_1)
	v_cmp_eq_u32_e32 vcc_lo, 0, v181
	s_and_b32 s18, s17, vcc_lo
	s_and_saveexec_b32 s17, s18
	s_cbranch_execz .LBB1320_158
; %bb.157:                              ;   in Loop: Header=BB1320_100 Depth=2
	s_wait_dscnt 0x0
	v_bcnt_u32_b32 v65, v65, v180
	ds_store_b32 v182, v65 offset:544
.LBB1320_158:                           ;   in Loop: Header=BB1320_100 Depth=2
	s_or_b32 exec_lo, exec_lo, s17
	v_cmp_gt_i32_e32 vcc_lo, 0, v166
	; wave barrier
	v_cndmask_b32_e64 v65, 0x7fffffff, 0, vcc_lo
	s_delay_alu instid0(VALU_DEP_1) | instskip(NEXT) | instid1(VALU_DEP_1)
	v_xor_b32_e32 v166, v65, v166
	v_cmp_ne_u32_e32 vcc_lo, 0x80000000, v166
	v_cndmask_b32_e32 v65, 0x7fffffff, v166, vcc_lo
	s_delay_alu instid0(VALU_DEP_1) | instskip(NEXT) | instid1(VALU_DEP_1)
	v_lshrrev_b32_e32 v65, s48, v65
	v_bitop3_b32 v183, v65, 1, s58 bitop3:0x80
	v_and_b32_e32 v186, s58, v65
	s_delay_alu instid0(VALU_DEP_2) | instskip(NEXT) | instid1(VALU_DEP_1)
	v_add_co_u32 v65, s17, v183, -1
	v_cndmask_b32_e64 v183, 0, 1, s17
	s_delay_alu instid0(VALU_DEP_3) | instskip(NEXT) | instid1(VALU_DEP_2)
	v_lshlrev_b32_e32 v184, 30, v186
	v_cmp_ne_u32_e32 vcc_lo, 0, v183
	s_delay_alu instid0(VALU_DEP_2) | instskip(SKIP_1) | instid1(VALU_DEP_2)
	v_not_b32_e32 v183, v184
	v_bitop3_b32 v65, vcc_lo, exec_lo, v65 bitop3:0x48
	v_dual_ashrrev_i32 v183, 31, v183 :: v_dual_lshlrev_b32 v185, 29, v186
	v_cmp_gt_i32_e64 s17, 0, v184
	v_dual_lshlrev_b32 v187, 28, v186 :: v_dual_lshlrev_b32 v188, 27, v186
	v_dual_lshlrev_b32 v189, 26, v186 :: v_dual_lshlrev_b32 v190, 25, v186
	s_delay_alu instid0(VALU_DEP_4) | instskip(SKIP_1) | instid1(VALU_DEP_4)
	v_not_b32_e32 v184, v185
	v_cmp_gt_i32_e64 s18, 0, v185
	v_cmp_gt_i32_e64 s19, 0, v187
	v_not_b32_e32 v185, v187
	v_cmp_gt_i32_e64 s20, 0, v188
	v_ashrrev_i32_e32 v184, 31, v184
	v_not_b32_e32 v187, v188
	v_cmp_gt_i32_e64 s21, 0, v189
	v_not_b32_e32 v188, v189
	v_not_b32_e32 v189, v190
	v_xor_b32_e32 v183, s17, v183
	v_dual_ashrrev_i32 v185, 31, v185 :: v_dual_bitop2_b32 v184, s18, v184 bitop3:0x14
	s_delay_alu instid0(VALU_DEP_4) | instskip(NEXT) | instid1(VALU_DEP_4)
	v_dual_ashrrev_i32 v187, 31, v187 :: v_dual_ashrrev_i32 v188, 31, v188
	v_ashrrev_i32_e32 v189, 31, v189
	s_delay_alu instid0(VALU_DEP_3)
	v_bitop3_b32 v65, v65, v184, v183 bitop3:0x80
	v_mad_u32_u24 v183, v186, 36, v25
	v_cmp_gt_i32_e64 s22, 0, v190
	v_xor_b32_e32 v187, s20, v187
	v_xor_b32_e32 v188, s21, v188
	ds_load_b32 v184, v183 offset:544
	v_mul_u32_u24_e32 v183, 36, v186
	v_xor_b32_e32 v185, s19, v185
	v_xor_b32_e32 v189, s22, v189
	; wave barrier
	s_delay_alu instid0(VALU_DEP_3) | instskip(NEXT) | instid1(VALU_DEP_3)
	v_add_nc_u32_e32 v186, v25, v183
	v_bitop3_b32 v65, v65, v187, v185 bitop3:0x80
	s_delay_alu instid0(VALU_DEP_1) | instskip(NEXT) | instid1(VALU_DEP_1)
	v_bitop3_b32 v65, v65, v189, v188 bitop3:0x80
	v_mbcnt_lo_u32_b32 v185, v65, 0
	v_cmp_ne_u32_e64 s17, 0, v65
	s_delay_alu instid0(VALU_DEP_2) | instskip(SKIP_1) | instid1(SALU_CYCLE_1)
	v_cmp_eq_u32_e32 vcc_lo, 0, v185
	s_and_b32 s18, s17, vcc_lo
	s_and_saveexec_b32 s17, s18
	s_cbranch_execz .LBB1320_160
; %bb.159:                              ;   in Loop: Header=BB1320_100 Depth=2
	s_wait_dscnt 0x0
	v_bcnt_u32_b32 v65, v65, v184
	ds_store_b32 v186, v65 offset:544
.LBB1320_160:                           ;   in Loop: Header=BB1320_100 Depth=2
	s_or_b32 exec_lo, exec_lo, s17
	v_cmp_gt_i32_e32 vcc_lo, 0, v161
	; wave barrier
	v_cndmask_b32_e64 v65, 0x7fffffff, 0, vcc_lo
	s_delay_alu instid0(VALU_DEP_1) | instskip(NEXT) | instid1(VALU_DEP_1)
	v_xor_b32_e32 v183, v65, v161
	v_cmp_ne_u32_e32 vcc_lo, 0x80000000, v183
	v_cndmask_b32_e32 v65, 0x7fffffff, v183, vcc_lo
	s_delay_alu instid0(VALU_DEP_1) | instskip(NEXT) | instid1(VALU_DEP_1)
	v_lshrrev_b32_e32 v65, s48, v65
	v_and_b32_e32 v187, s58, v65
	s_delay_alu instid0(VALU_DEP_1) | instskip(SKIP_3) | instid1(VALU_DEP_4)
	v_lshlrev_b32_e32 v189, 29, v187
	v_bitop3_b32 v161, v65, 1, s58 bitop3:0x80
	v_dual_lshlrev_b32 v188, 30, v187 :: v_dual_lshlrev_b32 v190, 28, v187
	v_lshlrev_b32_e32 v191, 27, v187
	v_cmp_gt_i32_e64 s18, 0, v189
	s_delay_alu instid0(VALU_DEP_4) | instskip(NEXT) | instid1(VALU_DEP_1)
	v_add_co_u32 v65, s17, v161, -1
	v_cndmask_b32_e64 v161, 0, 1, s17
	v_cmp_gt_i32_e64 s17, 0, v188
	v_cmp_gt_i32_e64 s19, 0, v190
	;; [unrolled: 1-line block ×3, first 2 shown]
	s_delay_alu instid0(VALU_DEP_4)
	v_cmp_ne_u32_e32 vcc_lo, 0, v161
	v_not_b32_e32 v161, v188
	v_not_b32_e32 v188, v189
	;; [unrolled: 1-line block ×4, first 2 shown]
	v_bitop3_b32 v65, vcc_lo, exec_lo, v65 bitop3:0x48
	s_delay_alu instid0(VALU_DEP_4) | instskip(NEXT) | instid1(VALU_DEP_3)
	v_dual_ashrrev_i32 v188, 31, v188 :: v_dual_ashrrev_i32 v161, 31, v161
	v_dual_ashrrev_i32 v190, 31, v190 :: v_dual_lshlrev_b32 v192, 26, v187
	s_delay_alu instid0(VALU_DEP_2) | instskip(NEXT) | instid1(VALU_DEP_2)
	v_dual_lshlrev_b32 v193, 25, v187 :: v_dual_bitop2_b32 v188, s18, v188 bitop3:0x14
	v_cmp_gt_i32_e64 s21, 0, v192
	v_not_b32_e32 v191, v192
	s_delay_alu instid0(VALU_DEP_3) | instskip(SKIP_3) | instid1(VALU_DEP_4)
	v_not_b32_e32 v192, v193
	v_xor_b32_e32 v161, s17, v161
	v_ashrrev_i32_e32 v189, 31, v189
	v_cmp_gt_i32_e64 s22, 0, v193
	v_dual_ashrrev_i32 v191, 31, v191 :: v_dual_ashrrev_i32 v192, 31, v192
	s_delay_alu instid0(VALU_DEP_4) | instskip(SKIP_2) | instid1(VALU_DEP_4)
	v_bitop3_b32 v65, v65, v188, v161 bitop3:0x80
	v_mad_u32_u24 v161, v187, 36, v25
	v_xor_b32_e32 v189, s19, v189
	v_xor_b32_e32 v191, s21, v191
	;; [unrolled: 1-line block ×3, first 2 shown]
	ds_load_b32 v188, v161 offset:544
	v_mul_u32_u24_e32 v161, 36, v187
	v_xor_b32_e32 v190, s20, v190
	; wave barrier
	s_delay_alu instid0(VALU_DEP_2) | instskip(NEXT) | instid1(VALU_DEP_2)
	v_add_nc_u32_e32 v161, v25, v161
	v_bitop3_b32 v65, v65, v190, v189 bitop3:0x80
	s_delay_alu instid0(VALU_DEP_1) | instskip(NEXT) | instid1(VALU_DEP_1)
	v_bitop3_b32 v65, v65, v192, v191 bitop3:0x80
	v_mbcnt_lo_u32_b32 v189, v65, 0
	v_cmp_ne_u32_e64 s17, 0, v65
	s_delay_alu instid0(VALU_DEP_2) | instskip(SKIP_1) | instid1(SALU_CYCLE_1)
	v_cmp_eq_u32_e32 vcc_lo, 0, v189
	s_and_b32 s18, s17, vcc_lo
	s_and_saveexec_b32 s17, s18
	s_cbranch_execz .LBB1320_162
; %bb.161:                              ;   in Loop: Header=BB1320_100 Depth=2
	s_wait_dscnt 0x0
	v_bcnt_u32_b32 v65, v65, v188
	ds_store_b32 v161, v65 offset:544
.LBB1320_162:                           ;   in Loop: Header=BB1320_100 Depth=2
	s_or_b32 exec_lo, exec_lo, s17
	v_cmp_gt_i32_e32 vcc_lo, 0, v157
	; wave barrier
	v_cndmask_b32_e64 v65, 0x7fffffff, 0, vcc_lo
	s_delay_alu instid0(VALU_DEP_1) | instskip(NEXT) | instid1(VALU_DEP_1)
	v_xor_b32_e32 v187, v65, v157
	v_cmp_ne_u32_e32 vcc_lo, 0x80000000, v187
	v_cndmask_b32_e32 v65, 0x7fffffff, v187, vcc_lo
	s_delay_alu instid0(VALU_DEP_1) | instskip(NEXT) | instid1(VALU_DEP_1)
	v_lshrrev_b32_e32 v65, s48, v65
	v_and_b32_e32 v190, s58, v65
	s_delay_alu instid0(VALU_DEP_1) | instskip(SKIP_2) | instid1(VALU_DEP_3)
	v_lshlrev_b32_e32 v193, 28, v190
	v_bitop3_b32 v157, v65, 1, s58 bitop3:0x80
	v_dual_lshlrev_b32 v191, 30, v190 :: v_dual_lshlrev_b32 v192, 29, v190
	v_cmp_gt_i32_e64 s19, 0, v193
	s_delay_alu instid0(VALU_DEP_3) | instskip(NEXT) | instid1(VALU_DEP_1)
	v_add_co_u32 v65, s17, v157, -1
	v_cndmask_b32_e64 v157, 0, 1, s17
	s_delay_alu instid0(VALU_DEP_4) | instskip(SKIP_1) | instid1(VALU_DEP_3)
	v_cmp_gt_i32_e64 s17, 0, v191
	v_cmp_gt_i32_e64 s18, 0, v192
	v_cmp_ne_u32_e32 vcc_lo, 0, v157
	v_not_b32_e32 v157, v191
	v_not_b32_e32 v191, v192
	;; [unrolled: 1-line block ×3, first 2 shown]
	v_bitop3_b32 v65, vcc_lo, exec_lo, v65 bitop3:0x48
	s_delay_alu instid0(VALU_DEP_3) | instskip(SKIP_1) | instid1(VALU_DEP_2)
	v_dual_ashrrev_i32 v157, 31, v157 :: v_dual_ashrrev_i32 v191, 31, v191
	v_dual_lshlrev_b32 v194, 27, v190 :: v_dual_lshlrev_b32 v195, 26, v190
	v_dual_lshlrev_b32 v196, 25, v190 :: v_dual_bitop2_b32 v191, s18, v191 bitop3:0x14
	s_delay_alu instid0(VALU_DEP_2) | instskip(SKIP_1) | instid1(VALU_DEP_4)
	v_not_b32_e32 v193, v194
	v_cmp_gt_i32_e64 s20, 0, v194
	v_cmp_gt_i32_e64 s21, 0, v195
	v_not_b32_e32 v194, v195
	v_not_b32_e32 v195, v196
	v_dual_ashrrev_i32 v192, 31, v192 :: v_dual_ashrrev_i32 v193, 31, v193
	s_delay_alu instid0(VALU_DEP_3) | instskip(SKIP_1) | instid1(VALU_DEP_3)
	v_dual_ashrrev_i32 v194, 31, v194 :: v_dual_bitop2_b32 v157, s17, v157 bitop3:0x14
	v_cmp_gt_i32_e64 s22, 0, v196
	v_dual_ashrrev_i32 v195, 31, v195 :: v_dual_bitop2_b32 v192, s19, v192 bitop3:0x14
	s_delay_alu instid0(VALU_DEP_4) | instskip(NEXT) | instid1(VALU_DEP_4)
	v_xor_b32_e32 v193, s20, v193
	v_bitop3_b32 v65, v65, v191, v157 bitop3:0x80
	v_mad_u32_u24 v157, v190, 36, v25
	v_xor_b32_e32 v194, s21, v194
	v_xor_b32_e32 v195, s22, v195
	s_delay_alu instid0(VALU_DEP_4) | instskip(SKIP_3) | instid1(VALU_DEP_2)
	v_bitop3_b32 v65, v65, v193, v192 bitop3:0x80
	ds_load_b32 v191, v157 offset:544
	v_mul_u32_u24_e32 v157, 36, v190
	; wave barrier
	v_bitop3_b32 v65, v65, v195, v194 bitop3:0x80
	v_add_nc_u32_e32 v157, v25, v157
	s_delay_alu instid0(VALU_DEP_2) | instskip(SKIP_1) | instid1(VALU_DEP_2)
	v_mbcnt_lo_u32_b32 v192, v65, 0
	v_cmp_ne_u32_e64 s17, 0, v65
	v_cmp_eq_u32_e32 vcc_lo, 0, v192
	s_and_b32 s18, s17, vcc_lo
	s_delay_alu instid0(SALU_CYCLE_1)
	s_and_saveexec_b32 s17, s18
	s_cbranch_execz .LBB1320_164
; %bb.163:                              ;   in Loop: Header=BB1320_100 Depth=2
	s_wait_dscnt 0x0
	v_bcnt_u32_b32 v65, v65, v191
	ds_store_b32 v157, v65 offset:544
.LBB1320_164:                           ;   in Loop: Header=BB1320_100 Depth=2
	s_or_b32 exec_lo, exec_lo, s17
	v_cmp_gt_i32_e32 vcc_lo, 0, v152
	; wave barrier
	v_cndmask_b32_e64 v65, 0x7fffffff, 0, vcc_lo
	s_delay_alu instid0(VALU_DEP_1) | instskip(NEXT) | instid1(VALU_DEP_1)
	v_xor_b32_e32 v190, v65, v152
	v_cmp_ne_u32_e32 vcc_lo, 0x80000000, v190
	v_cndmask_b32_e32 v65, 0x7fffffff, v190, vcc_lo
	s_delay_alu instid0(VALU_DEP_1) | instskip(NEXT) | instid1(VALU_DEP_1)
	v_lshrrev_b32_e32 v65, s48, v65
	v_bitop3_b32 v152, v65, 1, s58 bitop3:0x80
	v_and_b32_e32 v193, s58, v65
	s_delay_alu instid0(VALU_DEP_2) | instskip(NEXT) | instid1(VALU_DEP_1)
	v_add_co_u32 v65, s17, v152, -1
	v_cndmask_b32_e64 v152, 0, 1, s17
	s_delay_alu instid0(VALU_DEP_3) | instskip(NEXT) | instid1(VALU_DEP_2)
	v_lshlrev_b32_e32 v194, 30, v193
	v_cmp_ne_u32_e32 vcc_lo, 0, v152
	s_delay_alu instid0(VALU_DEP_2) | instskip(SKIP_2) | instid1(VALU_DEP_3)
	v_not_b32_e32 v152, v194
	v_cmp_gt_i32_e64 s17, 0, v194
	v_bitop3_b32 v65, vcc_lo, exec_lo, v65 bitop3:0x48
	v_dual_ashrrev_i32 v152, 31, v152 :: v_dual_lshlrev_b32 v195, 29, v193
	v_dual_lshlrev_b32 v196, 28, v193 :: v_dual_lshlrev_b32 v197, 27, v193
	v_lshlrev_b32_e32 v198, 26, v193
	s_delay_alu instid0(VALU_DEP_3)
	v_not_b32_e32 v194, v195
	v_lshlrev_b32_e32 v199, 25, v193
	v_cmp_gt_i32_e64 s18, 0, v195
	v_cmp_gt_i32_e64 s19, 0, v196
	v_not_b32_e32 v195, v196
	v_not_b32_e32 v196, v197
	v_ashrrev_i32_e32 v194, 31, v194
	v_cmp_gt_i32_e64 s20, 0, v197
	v_cmp_gt_i32_e64 s21, 0, v198
	v_not_b32_e32 v197, v198
	v_not_b32_e32 v198, v199
	v_dual_ashrrev_i32 v195, 31, v195 :: v_dual_ashrrev_i32 v196, 31, v196
	s_delay_alu instid0(VALU_DEP_3) | instskip(SKIP_2) | instid1(VALU_DEP_4)
	v_dual_ashrrev_i32 v197, 31, v197 :: v_dual_bitop2_b32 v152, s17, v152 bitop3:0x14
	v_xor_b32_e32 v194, s18, v194
	v_cmp_gt_i32_e64 s22, 0, v199
	v_dual_ashrrev_i32 v198, 31, v198 :: v_dual_bitop2_b32 v195, s19, v195 bitop3:0x14
	v_xor_b32_e32 v196, s20, v196
	s_delay_alu instid0(VALU_DEP_4) | instskip(SKIP_3) | instid1(VALU_DEP_4)
	v_bitop3_b32 v65, v65, v194, v152 bitop3:0x80
	v_mad_u32_u24 v152, v193, 36, v25
	v_xor_b32_e32 v197, s21, v197
	v_xor_b32_e32 v198, s22, v198
	v_bitop3_b32 v65, v65, v196, v195 bitop3:0x80
	ds_load_b32 v194, v152 offset:544
	v_mul_u32_u24_e32 v152, 36, v193
	; wave barrier
	v_bitop3_b32 v65, v65, v198, v197 bitop3:0x80
	s_delay_alu instid0(VALU_DEP_2) | instskip(NEXT) | instid1(VALU_DEP_2)
	v_add_nc_u32_e32 v152, v25, v152
	v_mbcnt_lo_u32_b32 v195, v65, 0
	v_cmp_ne_u32_e64 s17, 0, v65
	s_delay_alu instid0(VALU_DEP_2) | instskip(SKIP_1) | instid1(SALU_CYCLE_1)
	v_cmp_eq_u32_e32 vcc_lo, 0, v195
	s_and_b32 s18, s17, vcc_lo
	s_and_saveexec_b32 s17, s18
	s_cbranch_execz .LBB1320_166
; %bb.165:                              ;   in Loop: Header=BB1320_100 Depth=2
	s_wait_dscnt 0x0
	v_bcnt_u32_b32 v65, v65, v194
	ds_store_b32 v152, v65 offset:544
.LBB1320_166:                           ;   in Loop: Header=BB1320_100 Depth=2
	s_or_b32 exec_lo, exec_lo, s17
	v_cmp_gt_i32_e32 vcc_lo, 0, v67
	; wave barrier
	v_cndmask_b32_e64 v65, 0x7fffffff, 0, vcc_lo
	s_delay_alu instid0(VALU_DEP_1) | instskip(NEXT) | instid1(VALU_DEP_1)
	v_xor_b32_e32 v193, v65, v67
	v_cmp_ne_u32_e32 vcc_lo, 0x80000000, v193
	v_cndmask_b32_e32 v65, 0x7fffffff, v193, vcc_lo
	s_delay_alu instid0(VALU_DEP_1) | instskip(NEXT) | instid1(VALU_DEP_1)
	v_lshrrev_b32_e32 v65, s48, v65
	v_bitop3_b32 v67, v65, 1, s58 bitop3:0x80
	v_and_b32_e32 v196, s58, v65
	s_delay_alu instid0(VALU_DEP_2) | instskip(NEXT) | instid1(VALU_DEP_1)
	v_add_co_u32 v65, s17, v67, -1
	v_cndmask_b32_e64 v67, 0, 1, s17
	s_delay_alu instid0(VALU_DEP_3) | instskip(NEXT) | instid1(VALU_DEP_2)
	v_lshlrev_b32_e32 v197, 30, v196
	v_cmp_ne_u32_e32 vcc_lo, 0, v67
	s_delay_alu instid0(VALU_DEP_2) | instskip(SKIP_1) | instid1(VALU_DEP_2)
	v_not_b32_e32 v67, v197
	v_bitop3_b32 v65, vcc_lo, exec_lo, v65 bitop3:0x48
	v_dual_ashrrev_i32 v67, 31, v67 :: v_dual_lshlrev_b32 v198, 29, v196
	v_dual_lshlrev_b32 v199, 28, v196 :: v_dual_lshlrev_b32 v200, 27, v196
	v_lshlrev_b32_e32 v201, 26, v196
	v_cmp_gt_i32_e64 s17, 0, v197
	s_delay_alu instid0(VALU_DEP_4)
	v_not_b32_e32 v197, v198
	v_lshlrev_b32_e32 v202, 25, v196
	v_cmp_gt_i32_e64 s18, 0, v198
	v_cmp_gt_i32_e64 s19, 0, v199
	v_not_b32_e32 v198, v199
	v_not_b32_e32 v199, v200
	v_ashrrev_i32_e32 v197, 31, v197
	v_cmp_gt_i32_e64 s20, 0, v200
	v_cmp_gt_i32_e64 s21, 0, v201
	v_not_b32_e32 v200, v201
	v_not_b32_e32 v201, v202
	v_dual_ashrrev_i32 v198, 31, v198 :: v_dual_ashrrev_i32 v199, 31, v199
	s_delay_alu instid0(VALU_DEP_3) | instskip(SKIP_2) | instid1(VALU_DEP_4)
	v_dual_ashrrev_i32 v200, 31, v200 :: v_dual_bitop2_b32 v67, s17, v67 bitop3:0x14
	v_xor_b32_e32 v197, s18, v197
	v_cmp_gt_i32_e64 s22, 0, v202
	v_dual_ashrrev_i32 v201, 31, v201 :: v_dual_bitop2_b32 v198, s19, v198 bitop3:0x14
	v_xor_b32_e32 v199, s20, v199
	s_delay_alu instid0(VALU_DEP_4) | instskip(SKIP_3) | instid1(VALU_DEP_4)
	v_bitop3_b32 v65, v65, v197, v67 bitop3:0x80
	v_mad_u32_u24 v67, v196, 36, v25
	v_xor_b32_e32 v200, s21, v200
	v_xor_b32_e32 v201, s22, v201
	v_bitop3_b32 v65, v65, v199, v198 bitop3:0x80
	ds_load_b32 v197, v67 offset:544
	v_mul_u32_u24_e32 v67, 36, v196
	; wave barrier
	v_bitop3_b32 v65, v65, v201, v200 bitop3:0x80
	s_delay_alu instid0(VALU_DEP_2) | instskip(NEXT) | instid1(VALU_DEP_2)
	v_add_nc_u32_e32 v199, v25, v67
	v_mbcnt_lo_u32_b32 v198, v65, 0
	v_cmp_ne_u32_e64 s17, 0, v65
	s_delay_alu instid0(VALU_DEP_2) | instskip(SKIP_1) | instid1(SALU_CYCLE_1)
	v_cmp_eq_u32_e32 vcc_lo, 0, v198
	s_and_b32 s18, s17, vcc_lo
	s_and_saveexec_b32 s17, s18
	s_cbranch_execz .LBB1320_168
; %bb.167:                              ;   in Loop: Header=BB1320_100 Depth=2
	s_wait_dscnt 0x0
	v_bcnt_u32_b32 v65, v65, v197
	ds_store_b32 v199, v65 offset:544
.LBB1320_168:                           ;   in Loop: Header=BB1320_100 Depth=2
	s_or_b32 exec_lo, exec_lo, s17
	v_cmp_gt_i32_e32 vcc_lo, 0, v66
	; wave barrier
	v_cndmask_b32_e64 v65, 0x7fffffff, 0, vcc_lo
	s_delay_alu instid0(VALU_DEP_1) | instskip(NEXT) | instid1(VALU_DEP_1)
	v_xor_b32_e32 v196, v65, v66
	v_cmp_ne_u32_e32 vcc_lo, 0x80000000, v196
	v_cndmask_b32_e32 v65, 0x7fffffff, v196, vcc_lo
	s_delay_alu instid0(VALU_DEP_1) | instskip(NEXT) | instid1(VALU_DEP_1)
	v_lshrrev_b32_e32 v65, s48, v65
	v_bitop3_b32 v66, v65, 1, s58 bitop3:0x80
	v_and_b32_e32 v67, s58, v65
	s_delay_alu instid0(VALU_DEP_2) | instskip(NEXT) | instid1(VALU_DEP_1)
	v_add_co_u32 v65, s17, v66, -1
	v_cndmask_b32_e64 v66, 0, 1, s17
	s_delay_alu instid0(VALU_DEP_3) | instskip(NEXT) | instid1(VALU_DEP_2)
	v_lshlrev_b32_e32 v200, 30, v67
	v_cmp_ne_u32_e32 vcc_lo, 0, v66
	s_delay_alu instid0(VALU_DEP_2) | instskip(SKIP_2) | instid1(VALU_DEP_3)
	v_not_b32_e32 v66, v200
	v_cmp_gt_i32_e64 s17, 0, v200
	v_bitop3_b32 v65, vcc_lo, exec_lo, v65 bitop3:0x48
	v_dual_ashrrev_i32 v66, 31, v66 :: v_dual_lshlrev_b32 v201, 29, v67
	v_dual_lshlrev_b32 v202, 28, v67 :: v_dual_lshlrev_b32 v203, 27, v67
	v_lshlrev_b32_e32 v204, 26, v67
	s_delay_alu instid0(VALU_DEP_3)
	v_not_b32_e32 v200, v201
	v_lshlrev_b32_e32 v205, 25, v67
	v_cmp_gt_i32_e64 s18, 0, v201
	v_cmp_gt_i32_e64 s19, 0, v202
	v_not_b32_e32 v201, v202
	v_not_b32_e32 v202, v203
	v_ashrrev_i32_e32 v200, 31, v200
	v_cmp_gt_i32_e64 s20, 0, v203
	v_cmp_gt_i32_e64 s21, 0, v204
	v_not_b32_e32 v203, v204
	v_not_b32_e32 v204, v205
	v_dual_ashrrev_i32 v201, 31, v201 :: v_dual_ashrrev_i32 v202, 31, v202
	s_delay_alu instid0(VALU_DEP_3) | instskip(SKIP_2) | instid1(VALU_DEP_4)
	v_dual_ashrrev_i32 v203, 31, v203 :: v_dual_bitop2_b32 v66, s17, v66 bitop3:0x14
	v_xor_b32_e32 v200, s18, v200
	v_cmp_gt_i32_e64 s22, 0, v205
	v_dual_ashrrev_i32 v204, 31, v204 :: v_dual_bitop2_b32 v201, s19, v201 bitop3:0x14
	v_xor_b32_e32 v202, s20, v202
	s_delay_alu instid0(VALU_DEP_4) | instskip(SKIP_3) | instid1(VALU_DEP_4)
	v_bitop3_b32 v65, v65, v200, v66 bitop3:0x80
	v_mad_u32_u24 v66, v67, 36, v25
	v_xor_b32_e32 v200, s21, v203
	v_xor_b32_e32 v203, s22, v204
	v_bitop3_b32 v65, v65, v202, v201 bitop3:0x80
	ds_load_b32 v201, v66 offset:544
	v_mul_u32_u24_e32 v66, 36, v67
	; wave barrier
	v_bitop3_b32 v65, v65, v203, v200 bitop3:0x80
	s_delay_alu instid0(VALU_DEP_2) | instskip(NEXT) | instid1(VALU_DEP_2)
	v_add_nc_u32_e32 v203, v25, v66
	v_mbcnt_lo_u32_b32 v202, v65, 0
	v_cmp_ne_u32_e64 s17, 0, v65
	s_delay_alu instid0(VALU_DEP_2) | instskip(SKIP_1) | instid1(SALU_CYCLE_1)
	v_cmp_eq_u32_e32 vcc_lo, 0, v202
	s_and_b32 s18, s17, vcc_lo
	s_and_saveexec_b32 s17, s18
	s_cbranch_execz .LBB1320_170
; %bb.169:                              ;   in Loop: Header=BB1320_100 Depth=2
	s_wait_dscnt 0x0
	v_bcnt_u32_b32 v65, v65, v201
	ds_store_b32 v203, v65 offset:544
.LBB1320_170:                           ;   in Loop: Header=BB1320_100 Depth=2
	s_or_b32 exec_lo, exec_lo, s17
	v_cmp_gt_i32_e32 vcc_lo, 0, v64
	; wave barrier
	v_cndmask_b32_e64 v65, 0x7fffffff, 0, vcc_lo
	s_delay_alu instid0(VALU_DEP_1) | instskip(NEXT) | instid1(VALU_DEP_1)
	v_xor_b32_e32 v200, v65, v64
	v_cmp_ne_u32_e32 vcc_lo, 0x80000000, v200
	v_cndmask_b32_e32 v64, 0x7fffffff, v200, vcc_lo
	s_delay_alu instid0(VALU_DEP_1) | instskip(NEXT) | instid1(VALU_DEP_1)
	v_lshrrev_b32_e32 v64, s48, v64
	v_bitop3_b32 v65, v64, 1, s58 bitop3:0x80
	v_and_b32_e32 v66, s58, v64
	s_delay_alu instid0(VALU_DEP_2) | instskip(NEXT) | instid1(VALU_DEP_1)
	v_add_co_u32 v64, s17, v65, -1
	v_cndmask_b32_e64 v65, 0, 1, s17
	s_delay_alu instid0(VALU_DEP_3) | instskip(NEXT) | instid1(VALU_DEP_2)
	v_lshlrev_b32_e32 v67, 30, v66
	v_cmp_ne_u32_e32 vcc_lo, 0, v65
	s_delay_alu instid0(VALU_DEP_2) | instskip(SKIP_2) | instid1(VALU_DEP_3)
	v_not_b32_e32 v65, v67
	v_cmp_gt_i32_e64 s17, 0, v67
	v_bitop3_b32 v64, vcc_lo, exec_lo, v64 bitop3:0x48
	v_dual_ashrrev_i32 v65, 31, v65 :: v_dual_lshlrev_b32 v204, 29, v66
	v_dual_lshlrev_b32 v205, 28, v66 :: v_dual_lshlrev_b32 v206, 27, v66
	v_lshlrev_b32_e32 v207, 26, v66
	s_delay_alu instid0(VALU_DEP_3)
	v_not_b32_e32 v67, v204
	v_lshlrev_b32_e32 v208, 25, v66
	v_cmp_gt_i32_e64 s18, 0, v204
	v_cmp_gt_i32_e64 s19, 0, v205
	v_not_b32_e32 v204, v205
	v_not_b32_e32 v205, v206
	v_ashrrev_i32_e32 v67, 31, v67
	v_cmp_gt_i32_e64 s20, 0, v206
	v_cmp_gt_i32_e64 s21, 0, v207
	v_not_b32_e32 v206, v207
	v_not_b32_e32 v207, v208
	v_dual_ashrrev_i32 v204, 31, v204 :: v_dual_ashrrev_i32 v205, 31, v205
	s_delay_alu instid0(VALU_DEP_3) | instskip(SKIP_2) | instid1(VALU_DEP_4)
	v_dual_ashrrev_i32 v206, 31, v206 :: v_dual_bitop2_b32 v65, s17, v65 bitop3:0x14
	v_xor_b32_e32 v67, s18, v67
	v_cmp_gt_i32_e64 s22, 0, v208
	v_dual_ashrrev_i32 v207, 31, v207 :: v_dual_bitop2_b32 v204, s19, v204 bitop3:0x14
	v_xor_b32_e32 v205, s20, v205
	s_delay_alu instid0(VALU_DEP_4) | instskip(SKIP_3) | instid1(VALU_DEP_4)
	v_bitop3_b32 v64, v64, v67, v65 bitop3:0x80
	v_mad_u32_u24 v65, v66, 36, v25
	v_xor_b32_e32 v67, s21, v206
	v_xor_b32_e32 v206, s22, v207
	v_bitop3_b32 v64, v64, v205, v204 bitop3:0x80
	ds_load_b32 v204, v65 offset:544
	v_mul_u32_u24_e32 v65, 36, v66
	; wave barrier
	v_bitop3_b32 v64, v64, v206, v67 bitop3:0x80
	s_delay_alu instid0(VALU_DEP_2) | instskip(NEXT) | instid1(VALU_DEP_2)
	v_add_nc_u32_e32 v206, v25, v65
	v_mbcnt_lo_u32_b32 v205, v64, 0
	v_cmp_ne_u32_e64 s17, 0, v64
	s_delay_alu instid0(VALU_DEP_2) | instskip(SKIP_1) | instid1(SALU_CYCLE_1)
	v_cmp_eq_u32_e32 vcc_lo, 0, v205
	s_and_b32 s18, s17, vcc_lo
	s_and_saveexec_b32 s17, s18
	s_cbranch_execz .LBB1320_172
; %bb.171:                              ;   in Loop: Header=BB1320_100 Depth=2
	s_wait_dscnt 0x0
	v_bcnt_u32_b32 v64, v64, v204
	ds_store_b32 v206, v64 offset:544
.LBB1320_172:                           ;   in Loop: Header=BB1320_100 Depth=2
	s_or_b32 exec_lo, exec_lo, s17
	; wave barrier
	s_wait_dscnt 0x0
	s_barrier_signal -1
	s_barrier_wait -1
	ds_load_2addr_b32 v[66:67], v90 offset0:136 offset1:137
	ds_load_2addr_b32 v[64:65], v90 offset0:138 offset1:139
	ds_load_b32 v207, v90 offset:560
	s_wait_dscnt 0x1
	v_add3_u32 v208, v67, v66, v64
	s_wait_dscnt 0x0
	s_delay_alu instid0(VALU_DEP_1) | instskip(NEXT) | instid1(VALU_DEP_1)
	v_add3_u32 v207, v208, v65, v207
	v_mov_b32_dpp v208, v207 row_shr:1 row_mask:0xf bank_mask:0xf
	s_delay_alu instid0(VALU_DEP_1) | instskip(NEXT) | instid1(VALU_DEP_1)
	v_cndmask_b32_e64 v208, v208, 0, s9
	v_add_nc_u32_e32 v207, v208, v207
	s_delay_alu instid0(VALU_DEP_1) | instskip(NEXT) | instid1(VALU_DEP_1)
	v_mov_b32_dpp v208, v207 row_shr:2 row_mask:0xf bank_mask:0xf
	v_cndmask_b32_e64 v208, 0, v208, s10
	s_delay_alu instid0(VALU_DEP_1) | instskip(NEXT) | instid1(VALU_DEP_1)
	v_add_nc_u32_e32 v207, v207, v208
	v_mov_b32_dpp v208, v207 row_shr:4 row_mask:0xf bank_mask:0xf
	s_delay_alu instid0(VALU_DEP_1) | instskip(NEXT) | instid1(VALU_DEP_1)
	v_cndmask_b32_e64 v208, 0, v208, s11
	v_add_nc_u32_e32 v207, v207, v208
	s_delay_alu instid0(VALU_DEP_1) | instskip(NEXT) | instid1(VALU_DEP_1)
	v_mov_b32_dpp v208, v207 row_shr:8 row_mask:0xf bank_mask:0xf
	v_cndmask_b32_e64 v208, 0, v208, s12
	s_delay_alu instid0(VALU_DEP_1) | instskip(SKIP_3) | instid1(VALU_DEP_1)
	v_add_nc_u32_e32 v207, v207, v208
	ds_swizzle_b32 v208, v207 offset:swizzle(BROADCAST,32,15)
	s_wait_dscnt 0x0
	v_cndmask_b32_e64 v208, v208, 0, s13
	v_add_nc_u32_e32 v207, v207, v208
	s_and_saveexec_b32 s17, s2
; %bb.173:                              ;   in Loop: Header=BB1320_100 Depth=2
	ds_store_b32 v83, v207 offset:512
; %bb.174:                              ;   in Loop: Header=BB1320_100 Depth=2
	s_or_b32 exec_lo, exec_lo, s17
	s_wait_dscnt 0x0
	s_barrier_signal -1
	s_barrier_wait -1
	s_and_saveexec_b32 s17, s3
	s_cbranch_execz .LBB1320_176
; %bb.175:                              ;   in Loop: Header=BB1320_100 Depth=2
	ds_load_b32 v208, v92 offset:512
	s_wait_dscnt 0x0
	v_mov_b32_dpp v209, v208 row_shr:1 row_mask:0xf bank_mask:0xf
	s_delay_alu instid0(VALU_DEP_1) | instskip(NEXT) | instid1(VALU_DEP_1)
	v_cndmask_b32_e64 v209, v209, 0, s14
	v_add_nc_u32_e32 v208, v209, v208
	s_delay_alu instid0(VALU_DEP_1) | instskip(NEXT) | instid1(VALU_DEP_1)
	v_mov_b32_dpp v209, v208 row_shr:2 row_mask:0xf bank_mask:0xf
	v_cndmask_b32_e64 v209, 0, v209, s15
	s_delay_alu instid0(VALU_DEP_1) | instskip(NEXT) | instid1(VALU_DEP_1)
	v_add_nc_u32_e32 v208, v208, v209
	v_mov_b32_dpp v209, v208 row_shr:4 row_mask:0xf bank_mask:0xf
	s_delay_alu instid0(VALU_DEP_1) | instskip(NEXT) | instid1(VALU_DEP_1)
	v_cndmask_b32_e64 v209, 0, v209, s16
	v_add_nc_u32_e32 v208, v208, v209
	ds_store_b32 v92, v208 offset:512
.LBB1320_176:                           ;   in Loop: Header=BB1320_100 Depth=2
	s_or_b32 exec_lo, exec_lo, s17
	v_mov_b32_e32 v208, 0
	s_wait_dscnt 0x0
	s_barrier_signal -1
	s_barrier_wait -1
	s_and_saveexec_b32 s17, s5
; %bb.177:                              ;   in Loop: Header=BB1320_100 Depth=2
	ds_load_b32 v208, v83 offset:508
; %bb.178:                              ;   in Loop: Header=BB1320_100 Depth=2
	s_or_b32 exec_lo, exec_lo, s17
	s_wait_dscnt 0x0
	v_add_nc_u32_e32 v207, v208, v207
	ds_bpermute_b32 v207, v119, v207
	s_wait_dscnt 0x0
	v_cndmask_b32_e64 v207, v207, v208, s8
	s_delay_alu instid0(VALU_DEP_1) | instskip(NEXT) | instid1(VALU_DEP_1)
	v_cndmask_b32_e64 v207, v207, 0, s6
	v_add_nc_u32_e32 v66, v207, v66
	s_delay_alu instid0(VALU_DEP_1) | instskip(NEXT) | instid1(VALU_DEP_1)
	v_add_nc_u32_e32 v67, v66, v67
	v_add_nc_u32_e32 v64, v67, v64
	s_delay_alu instid0(VALU_DEP_1)
	v_add_nc_u32_e32 v65, v64, v65
	ds_store_2addr_b32 v90, v207, v66 offset0:136 offset1:137
	ds_store_2addr_b32 v90, v67, v64 offset0:138 offset1:139
	ds_store_b32 v90, v65 offset:560
	s_wait_dscnt 0x0
	s_barrier_signal -1
	s_barrier_wait -1
	ds_load_b32 v66, v143 offset:544
	ds_load_b32 v67, v147 offset:544
	;; [unrolled: 1-line block ×17, first 2 shown]
	s_and_saveexec_b32 s17, s0
	s_cbranch_execz .LBB1320_182
; %bb.179:                              ;   in Loop: Header=BB1320_100 Depth=2
	ds_load_b32 v133, v94 offset:544
	v_mov_b32_e32 v138, 0x1100
	s_and_saveexec_b32 s18, s7
; %bb.180:                              ;   in Loop: Header=BB1320_100 Depth=2
	ds_load_b32 v138, v93 offset:544
; %bb.181:                              ;   in Loop: Header=BB1320_100 Depth=2
	s_or_b32 exec_lo, exec_lo, s18
	s_wait_dscnt 0x0
	v_sub_nc_u32_e32 v138, v138, v133
.LBB1320_182:                           ;   in Loop: Header=BB1320_100 Depth=2
	s_or_b32 exec_lo, exec_lo, s17
	s_wait_dscnt 0x0
	s_barrier_signal -1
	s_barrier_wait -1
	s_and_saveexec_b32 s17, s0
	s_cbranch_execz .LBB1320_184
; %bb.183:                              ;   in Loop: Header=BB1320_100 Depth=2
	ds_load_b32 v152, v4
	s_wait_dscnt 0x0
	v_sub_nc_u32_e32 v152, v152, v133
	ds_store_b32 v4, v152
.LBB1320_184:                           ;   in Loop: Header=BB1320_100 Depth=2
	s_or_b32 exec_lo, exec_lo, s17
	v_add3_u32 v156, v155, v154, v147
	v_add_nc_u32_e32 v162, v66, v141
	v_add3_u32 v161, v146, v145, v67
	v_add3_u32 v157, v150, v149, v143
	;; [unrolled: 1-line block ×4, first 2 shown]
	v_dual_lshlrev_b32 v65, 2, v156 :: v_dual_lshlrev_b32 v159, 2, v162
	v_lshlrev_b32_e32 v160, 2, v161
	v_add3_u32 v154, v165, v164, v207
	v_add3_u32 v152, v170, v169, v172
	;; [unrolled: 1-line block ×4, first 2 shown]
	v_lshlrev_b32_e32 v64, 2, v157
	v_add3_u32 v150, v178, v177, v179
	v_add3_u32 v149, v181, v180, v182
	ds_store_b32 v159, v140 offset:512
	ds_store_b32 v160, v142 offset:512
	v_lshlrev_b32_e32 v140, 2, v155
	v_add3_u32 v147, v185, v184, v186
	v_dual_lshlrev_b32 v142, 2, v154 :: v_dual_lshlrev_b32 v159, 2, v152
	v_add3_u32 v146, v189, v188, v208
	v_add3_u32 v67, v192, v191, v209
	ds_store_b32 v64, v144 offset:512
	ds_store_b32 v65, v148 offset:512
	;; [unrolled: 1-line block ×5, first 2 shown]
	v_dual_lshlrev_b32 v64, 2, v151 :: v_dual_lshlrev_b32 v65, 2, v150
	v_add3_u32 v66, v195, v194, v210
	v_dual_lshlrev_b32 v140, 2, v149 :: v_dual_lshlrev_b32 v142, 2, v147
	v_add3_u32 v141, v205, v204, v167
	v_lshlrev_b32_e32 v144, 2, v146
	ds_store_b32 v64, v168 offset:512
	ds_store_b32 v65, v173 offset:512
	;; [unrolled: 1-line block ×5, first 2 shown]
	v_lshlrev_b32_e32 v64, 2, v67
	v_cmp_lt_u32_e32 vcc_lo, v2, v139
	v_dual_lshlrev_b32 v65, 2, v66 :: v_dual_lshlrev_b32 v140, 2, v145
	v_dual_lshlrev_b32 v142, 2, v143 :: v_dual_lshlrev_b32 v144, 2, v141
	ds_store_b32 v64, v187 offset:512
	ds_store_b32 v65, v190 offset:512
	;; [unrolled: 1-line block ×5, first 2 shown]
	s_wait_dscnt 0x0
	s_barrier_signal -1
	s_barrier_wait -1
	s_and_saveexec_b32 s18, vcc_lo
	s_cbranch_execnz .LBB1320_257
; %bb.185:                              ;   in Loop: Header=BB1320_100 Depth=2
	s_or_b32 exec_lo, exec_lo, s18
	v_cmp_lt_u32_e64 s17, v3, v139
	s_and_saveexec_b32 s19, s17
	s_cbranch_execnz .LBB1320_258
.LBB1320_186:                           ;   in Loop: Header=BB1320_100 Depth=2
	s_or_b32 exec_lo, exec_lo, s19
	v_cmp_lt_u32_e64 s18, v68, v139
	s_and_saveexec_b32 s20, s18
	s_cbranch_execnz .LBB1320_259
.LBB1320_187:                           ;   in Loop: Header=BB1320_100 Depth=2
	s_or_b32 exec_lo, exec_lo, s20
	v_cmp_lt_u32_e64 s19, v69, v139
	s_and_saveexec_b32 s21, s19
	s_cbranch_execnz .LBB1320_260
.LBB1320_188:                           ;   in Loop: Header=BB1320_100 Depth=2
	s_or_b32 exec_lo, exec_lo, s21
	v_cmp_lt_u32_e64 s20, v70, v139
	s_and_saveexec_b32 s22, s20
	s_cbranch_execnz .LBB1320_261
.LBB1320_189:                           ;   in Loop: Header=BB1320_100 Depth=2
	s_or_b32 exec_lo, exec_lo, s22
	v_cmp_lt_u32_e64 s21, v71, v139
	s_and_saveexec_b32 s23, s21
	s_cbranch_execnz .LBB1320_262
.LBB1320_190:                           ;   in Loop: Header=BB1320_100 Depth=2
	s_or_b32 exec_lo, exec_lo, s23
	v_cmp_lt_u32_e64 s22, v72, v139
	s_and_saveexec_b32 s24, s22
	s_cbranch_execnz .LBB1320_263
.LBB1320_191:                           ;   in Loop: Header=BB1320_100 Depth=2
	s_or_b32 exec_lo, exec_lo, s24
	v_cmp_lt_u32_e64 s23, v73, v139
	s_and_saveexec_b32 s25, s23
	s_cbranch_execnz .LBB1320_264
.LBB1320_192:                           ;   in Loop: Header=BB1320_100 Depth=2
	s_or_b32 exec_lo, exec_lo, s25
	v_cmp_lt_u32_e64 s24, v74, v139
	s_and_saveexec_b32 s26, s24
	s_cbranch_execnz .LBB1320_265
.LBB1320_193:                           ;   in Loop: Header=BB1320_100 Depth=2
	s_or_b32 exec_lo, exec_lo, s26
	v_cmp_lt_u32_e64 s25, v75, v139
	s_and_saveexec_b32 s27, s25
	s_cbranch_execnz .LBB1320_266
.LBB1320_194:                           ;   in Loop: Header=BB1320_100 Depth=2
	s_or_b32 exec_lo, exec_lo, s27
	v_cmp_lt_u32_e64 s26, v76, v139
	s_and_saveexec_b32 s28, s26
	s_cbranch_execnz .LBB1320_267
.LBB1320_195:                           ;   in Loop: Header=BB1320_100 Depth=2
	s_or_b32 exec_lo, exec_lo, s28
	v_cmp_lt_u32_e64 s27, v77, v139
	s_and_saveexec_b32 s29, s27
	s_cbranch_execnz .LBB1320_268
.LBB1320_196:                           ;   in Loop: Header=BB1320_100 Depth=2
	s_or_b32 exec_lo, exec_lo, s29
	v_cmp_lt_u32_e64 s28, v78, v139
	s_and_saveexec_b32 s30, s28
	s_cbranch_execnz .LBB1320_269
.LBB1320_197:                           ;   in Loop: Header=BB1320_100 Depth=2
	s_or_b32 exec_lo, exec_lo, s30
	v_cmp_lt_u32_e64 s29, v79, v139
	s_and_saveexec_b32 s31, s29
	s_cbranch_execnz .LBB1320_270
.LBB1320_198:                           ;   in Loop: Header=BB1320_100 Depth=2
	s_or_b32 exec_lo, exec_lo, s31
	v_cmp_lt_u32_e64 s30, v80, v139
	s_and_saveexec_b32 s33, s30
	s_cbranch_execnz .LBB1320_271
.LBB1320_199:                           ;   in Loop: Header=BB1320_100 Depth=2
	s_or_b32 exec_lo, exec_lo, s33
	v_cmp_lt_u32_e64 s31, v81, v139
	s_and_saveexec_b32 s34, s31
	s_cbranch_execnz .LBB1320_272
.LBB1320_200:                           ;   in Loop: Header=BB1320_100 Depth=2
	s_or_b32 exec_lo, exec_lo, s34
	v_cmp_lt_u32_e64 s33, v82, v139
	s_and_saveexec_b32 s61, s33
	s_cbranch_execz .LBB1320_202
.LBB1320_201:                           ;   in Loop: Header=BB1320_100 Depth=2
	ds_load_b32 v64, v92 offset:16896
	s_wait_dscnt 0x0
	v_cmp_ne_u32_e64 s34, 0x80000000, v64
	s_delay_alu instid0(VALU_DEP_1) | instskip(SKIP_1) | instid1(VALU_DEP_1)
	v_cndmask_b32_e64 v65, 0x7fffffff, v64, s34
	v_cmp_gt_i32_e64 s34, 0, v64
	v_cndmask_b32_e64 v140, 0x7fffffff, 0, s34
	s_delay_alu instid0(VALU_DEP_1) | instskip(NEXT) | instid1(VALU_DEP_1)
	v_dual_lshrrev_b32 v65, s48, v65 :: v_dual_bitop2_b32 v64, v140, v64 bitop3:0x14
	v_and_b32_e32 v65, s58, v65
	s_delay_alu instid0(VALU_DEP_1)
	v_lshlrev_b32_e32 v65, 2, v65
	ds_load_b32 v65, v65
	s_wait_dscnt 0x0
	v_add_nc_u32_e32 v65, v65, v82
	global_store_b32 v65, v64, s[38:39] scale_offset
.LBB1320_202:                           ;   in Loop: Header=BB1320_100 Depth=2
	s_wait_xcnt 0x0
	s_or_b32 exec_lo, exec_lo, s61
	v_lshl_add_u64 v[64:65], s[42:43], 3, v[26:27]
	v_cmp_lt_u32_e64 s34, v101, v139
	s_and_saveexec_b32 s42, s34
	s_delay_alu instid0(SALU_CYCLE_1)
	s_xor_b32 s34, exec_lo, s42
	s_cbranch_execnz .LBB1320_273
; %bb.203:                              ;   in Loop: Header=BB1320_100 Depth=2
	s_or_b32 exec_lo, exec_lo, s34
	s_delay_alu instid0(SALU_CYCLE_1)
	s_mov_b32 s42, exec_lo
	v_cmpx_lt_u32_e64 v104, v139
	s_cbranch_execnz .LBB1320_274
.LBB1320_204:                           ;   in Loop: Header=BB1320_100 Depth=2
	s_or_b32 exec_lo, exec_lo, s42
	s_delay_alu instid0(SALU_CYCLE_1)
	s_mov_b32 s42, exec_lo
	v_cmpx_lt_u32_e64 v105, v139
	s_cbranch_execnz .LBB1320_275
.LBB1320_205:                           ;   in Loop: Header=BB1320_100 Depth=2
	s_or_b32 exec_lo, exec_lo, s42
	s_delay_alu instid0(SALU_CYCLE_1)
	s_mov_b32 s42, exec_lo
	v_cmpx_lt_u32_e64 v106, v139
	s_cbranch_execnz .LBB1320_276
.LBB1320_206:                           ;   in Loop: Header=BB1320_100 Depth=2
	s_or_b32 exec_lo, exec_lo, s42
	s_delay_alu instid0(SALU_CYCLE_1)
	s_mov_b32 s42, exec_lo
	v_cmpx_lt_u32_e64 v107, v139
	s_cbranch_execnz .LBB1320_277
.LBB1320_207:                           ;   in Loop: Header=BB1320_100 Depth=2
	s_or_b32 exec_lo, exec_lo, s42
	s_delay_alu instid0(SALU_CYCLE_1)
	s_mov_b32 s42, exec_lo
	v_cmpx_lt_u32_e64 v108, v139
	s_cbranch_execnz .LBB1320_278
.LBB1320_208:                           ;   in Loop: Header=BB1320_100 Depth=2
	s_or_b32 exec_lo, exec_lo, s42
	s_delay_alu instid0(SALU_CYCLE_1)
	s_mov_b32 s42, exec_lo
	v_cmpx_lt_u32_e64 v109, v139
	s_cbranch_execnz .LBB1320_279
.LBB1320_209:                           ;   in Loop: Header=BB1320_100 Depth=2
	s_or_b32 exec_lo, exec_lo, s42
	s_delay_alu instid0(SALU_CYCLE_1)
	s_mov_b32 s42, exec_lo
	v_cmpx_lt_u32_e64 v110, v139
	s_cbranch_execnz .LBB1320_280
.LBB1320_210:                           ;   in Loop: Header=BB1320_100 Depth=2
	s_or_b32 exec_lo, exec_lo, s42
	s_delay_alu instid0(SALU_CYCLE_1)
	s_mov_b32 s42, exec_lo
	v_cmpx_lt_u32_e64 v111, v139
	s_cbranch_execnz .LBB1320_281
.LBB1320_211:                           ;   in Loop: Header=BB1320_100 Depth=2
	s_or_b32 exec_lo, exec_lo, s42
	s_delay_alu instid0(SALU_CYCLE_1)
	s_mov_b32 s42, exec_lo
	v_cmpx_lt_u32_e64 v112, v139
	s_cbranch_execnz .LBB1320_282
.LBB1320_212:                           ;   in Loop: Header=BB1320_100 Depth=2
	s_or_b32 exec_lo, exec_lo, s42
	s_delay_alu instid0(SALU_CYCLE_1)
	s_mov_b32 s42, exec_lo
	v_cmpx_lt_u32_e64 v113, v139
	s_cbranch_execnz .LBB1320_283
.LBB1320_213:                           ;   in Loop: Header=BB1320_100 Depth=2
	s_or_b32 exec_lo, exec_lo, s42
	s_delay_alu instid0(SALU_CYCLE_1)
	s_mov_b32 s42, exec_lo
	v_cmpx_lt_u32_e64 v114, v139
	s_cbranch_execnz .LBB1320_284
.LBB1320_214:                           ;   in Loop: Header=BB1320_100 Depth=2
	s_or_b32 exec_lo, exec_lo, s42
	s_delay_alu instid0(SALU_CYCLE_1)
	s_mov_b32 s42, exec_lo
	v_cmpx_lt_u32_e64 v115, v139
	s_cbranch_execnz .LBB1320_285
.LBB1320_215:                           ;   in Loop: Header=BB1320_100 Depth=2
	s_or_b32 exec_lo, exec_lo, s42
	s_delay_alu instid0(SALU_CYCLE_1)
	s_mov_b32 s42, exec_lo
	v_cmpx_lt_u32_e64 v116, v139
	s_cbranch_execnz .LBB1320_286
.LBB1320_216:                           ;   in Loop: Header=BB1320_100 Depth=2
	s_or_b32 exec_lo, exec_lo, s42
	s_delay_alu instid0(SALU_CYCLE_1)
	s_mov_b32 s42, exec_lo
	v_cmpx_lt_u32_e64 v117, v139
	s_cbranch_execnz .LBB1320_287
.LBB1320_217:                           ;   in Loop: Header=BB1320_100 Depth=2
	s_or_b32 exec_lo, exec_lo, s42
	s_delay_alu instid0(SALU_CYCLE_1)
	s_mov_b32 s42, exec_lo
	v_cmpx_lt_u32_e64 v118, v139
	s_cbranch_execnz .LBB1320_288
.LBB1320_218:                           ;   in Loop: Header=BB1320_100 Depth=2
	s_or_b32 exec_lo, exec_lo, s42
	s_delay_alu instid0(SALU_CYCLE_1)
	s_mov_b32 s42, exec_lo
	v_cmpx_lt_u32_e64 v5, v139
	s_cbranch_execnz .LBB1320_289
.LBB1320_219:                           ;   in Loop: Header=BB1320_100 Depth=2
	s_or_b32 exec_lo, exec_lo, s42
	s_and_saveexec_b32 s42, vcc_lo
	s_cbranch_execnz .LBB1320_290
.LBB1320_220:                           ;   in Loop: Header=BB1320_100 Depth=2
	s_or_b32 exec_lo, exec_lo, s42
	s_and_saveexec_b32 s42, s17
	s_cbranch_execnz .LBB1320_291
.LBB1320_221:                           ;   in Loop: Header=BB1320_100 Depth=2
	s_or_b32 exec_lo, exec_lo, s42
	s_and_saveexec_b32 s42, s18
	s_cbranch_execnz .LBB1320_292
.LBB1320_222:                           ;   in Loop: Header=BB1320_100 Depth=2
	s_or_b32 exec_lo, exec_lo, s42
	s_and_saveexec_b32 s42, s19
	s_cbranch_execnz .LBB1320_293
.LBB1320_223:                           ;   in Loop: Header=BB1320_100 Depth=2
	s_or_b32 exec_lo, exec_lo, s42
	s_and_saveexec_b32 s42, s20
	s_cbranch_execnz .LBB1320_294
.LBB1320_224:                           ;   in Loop: Header=BB1320_100 Depth=2
	s_or_b32 exec_lo, exec_lo, s42
	s_and_saveexec_b32 s42, s21
	s_cbranch_execnz .LBB1320_295
.LBB1320_225:                           ;   in Loop: Header=BB1320_100 Depth=2
	s_or_b32 exec_lo, exec_lo, s42
	s_and_saveexec_b32 s42, s22
	s_cbranch_execnz .LBB1320_296
.LBB1320_226:                           ;   in Loop: Header=BB1320_100 Depth=2
	s_or_b32 exec_lo, exec_lo, s42
	s_and_saveexec_b32 s42, s23
	s_cbranch_execnz .LBB1320_297
.LBB1320_227:                           ;   in Loop: Header=BB1320_100 Depth=2
	s_or_b32 exec_lo, exec_lo, s42
	s_and_saveexec_b32 s42, s24
	s_cbranch_execnz .LBB1320_298
.LBB1320_228:                           ;   in Loop: Header=BB1320_100 Depth=2
	s_or_b32 exec_lo, exec_lo, s42
	s_and_saveexec_b32 s42, s25
	s_cbranch_execnz .LBB1320_299
.LBB1320_229:                           ;   in Loop: Header=BB1320_100 Depth=2
	s_or_b32 exec_lo, exec_lo, s42
	s_and_saveexec_b32 s42, s26
	s_cbranch_execnz .LBB1320_300
.LBB1320_230:                           ;   in Loop: Header=BB1320_100 Depth=2
	s_or_b32 exec_lo, exec_lo, s42
	s_and_saveexec_b32 s42, s27
	s_cbranch_execnz .LBB1320_301
.LBB1320_231:                           ;   in Loop: Header=BB1320_100 Depth=2
	s_or_b32 exec_lo, exec_lo, s42
	s_and_saveexec_b32 s42, s28
	s_cbranch_execnz .LBB1320_302
.LBB1320_232:                           ;   in Loop: Header=BB1320_100 Depth=2
	s_or_b32 exec_lo, exec_lo, s42
	s_and_saveexec_b32 s42, s29
	s_cbranch_execnz .LBB1320_303
.LBB1320_233:                           ;   in Loop: Header=BB1320_100 Depth=2
	s_or_b32 exec_lo, exec_lo, s42
	s_and_saveexec_b32 s42, s30
	s_cbranch_execnz .LBB1320_304
.LBB1320_234:                           ;   in Loop: Header=BB1320_100 Depth=2
	s_or_b32 exec_lo, exec_lo, s42
	s_and_saveexec_b32 s42, s31
	s_cbranch_execnz .LBB1320_305
.LBB1320_235:                           ;   in Loop: Header=BB1320_100 Depth=2
	s_or_b32 exec_lo, exec_lo, s42
	s_and_saveexec_b32 s42, s33
	s_cbranch_execz .LBB1320_237
.LBB1320_236:                           ;   in Loop: Header=BB1320_100 Depth=2
	ds_load_b32 v64, v92 offset:16896
	s_wait_dscnt 0x0
	v_cmp_ne_u32_e64 s34, 0x80000000, v64
	s_delay_alu instid0(VALU_DEP_1) | instskip(NEXT) | instid1(VALU_DEP_1)
	v_cndmask_b32_e64 v64, 0x7fffffff, v64, s34
	v_lshrrev_b32_e32 v64, s48, v64
	s_delay_alu instid0(VALU_DEP_1)
	v_and_b32_e32 v120, s58, v64
.LBB1320_237:                           ;   in Loop: Header=BB1320_100 Depth=2
	s_or_b32 exec_lo, exec_lo, s42
	v_dual_lshlrev_b32 v64, 3, v162 :: v_dual_lshlrev_b32 v65, 3, v161
	s_wait_loadcnt 0x0
	s_wait_storecnt 0x0
	s_barrier_signal -1
	s_barrier_wait -1
	ds_store_b64 v64, v[62:63] offset:512
	ds_store_b64 v65, v[60:61] offset:512
	v_dual_lshlrev_b32 v64, 3, v157 :: v_dual_lshlrev_b32 v65, 3, v156
	v_dual_lshlrev_b32 v139, 3, v155 :: v_dual_lshlrev_b32 v140, 3, v154
	v_lshlrev_b32_e32 v142, 3, v152
	ds_store_b64 v64, v[58:59] offset:512
	ds_store_b64 v65, v[56:57] offset:512
	ds_store_b64 v139, v[54:55] offset:512
	ds_store_b64 v140, v[52:53] offset:512
	ds_store_b64 v142, v[50:51] offset:512
	v_dual_lshlrev_b32 v64, 3, v151 :: v_dual_lshlrev_b32 v65, 3, v150
	v_dual_lshlrev_b32 v139, 3, v149 :: v_dual_lshlrev_b32 v140, 3, v147
	v_lshlrev_b32_e32 v142, 3, v146
	ds_store_b64 v64, v[48:49] offset:512
	ds_store_b64 v65, v[46:47] offset:512
	ds_store_b64 v139, v[44:45] offset:512
	;; [unrolled: 8-line block ×3, first 2 shown]
	ds_store_b64 v67, v[32:33] offset:512
	ds_store_b64 v139, v[30:31] offset:512
	s_wait_dscnt 0x0
	s_barrier_signal -1
	s_barrier_wait -1
	s_and_saveexec_b32 s34, vcc_lo
	s_cbranch_execnz .LBB1320_306
; %bb.238:                              ;   in Loop: Header=BB1320_100 Depth=2
	s_or_b32 exec_lo, exec_lo, s34
	s_and_saveexec_b32 s34, s17
	s_cbranch_execnz .LBB1320_307
.LBB1320_239:                           ;   in Loop: Header=BB1320_100 Depth=2
	s_or_b32 exec_lo, exec_lo, s34
	s_and_saveexec_b32 s17, s18
	s_cbranch_execnz .LBB1320_308
.LBB1320_240:                           ;   in Loop: Header=BB1320_100 Depth=2
	s_or_b32 exec_lo, exec_lo, s17
	s_and_saveexec_b32 s17, s19
	s_cbranch_execnz .LBB1320_309
.LBB1320_241:                           ;   in Loop: Header=BB1320_100 Depth=2
	s_or_b32 exec_lo, exec_lo, s17
	s_and_saveexec_b32 s17, s20
	s_cbranch_execnz .LBB1320_310
.LBB1320_242:                           ;   in Loop: Header=BB1320_100 Depth=2
	s_or_b32 exec_lo, exec_lo, s17
	s_and_saveexec_b32 s17, s21
	s_cbranch_execnz .LBB1320_311
.LBB1320_243:                           ;   in Loop: Header=BB1320_100 Depth=2
	s_or_b32 exec_lo, exec_lo, s17
	s_and_saveexec_b32 s17, s22
	s_cbranch_execnz .LBB1320_312
.LBB1320_244:                           ;   in Loop: Header=BB1320_100 Depth=2
	s_or_b32 exec_lo, exec_lo, s17
	s_and_saveexec_b32 s17, s23
	s_cbranch_execnz .LBB1320_313
.LBB1320_245:                           ;   in Loop: Header=BB1320_100 Depth=2
	s_or_b32 exec_lo, exec_lo, s17
	s_and_saveexec_b32 s17, s24
	s_cbranch_execnz .LBB1320_314
.LBB1320_246:                           ;   in Loop: Header=BB1320_100 Depth=2
	s_or_b32 exec_lo, exec_lo, s17
	s_and_saveexec_b32 s17, s25
	s_cbranch_execnz .LBB1320_315
.LBB1320_247:                           ;   in Loop: Header=BB1320_100 Depth=2
	s_or_b32 exec_lo, exec_lo, s17
	s_and_saveexec_b32 s17, s26
	s_cbranch_execnz .LBB1320_316
.LBB1320_248:                           ;   in Loop: Header=BB1320_100 Depth=2
	s_or_b32 exec_lo, exec_lo, s17
	s_and_saveexec_b32 s17, s27
	s_cbranch_execnz .LBB1320_317
.LBB1320_249:                           ;   in Loop: Header=BB1320_100 Depth=2
	s_or_b32 exec_lo, exec_lo, s17
	s_and_saveexec_b32 s17, s28
	s_cbranch_execnz .LBB1320_318
.LBB1320_250:                           ;   in Loop: Header=BB1320_100 Depth=2
	s_or_b32 exec_lo, exec_lo, s17
	s_and_saveexec_b32 s17, s29
	s_cbranch_execnz .LBB1320_319
.LBB1320_251:                           ;   in Loop: Header=BB1320_100 Depth=2
	s_or_b32 exec_lo, exec_lo, s17
	s_and_saveexec_b32 s17, s30
	s_cbranch_execnz .LBB1320_320
.LBB1320_252:                           ;   in Loop: Header=BB1320_100 Depth=2
	s_or_b32 exec_lo, exec_lo, s17
	s_and_saveexec_b32 s17, s31
	s_cbranch_execnz .LBB1320_321
.LBB1320_253:                           ;   in Loop: Header=BB1320_100 Depth=2
	s_or_b32 exec_lo, exec_lo, s17
	s_and_saveexec_b32 s17, s33
	s_cbranch_execz .LBB1320_255
.LBB1320_254:                           ;   in Loop: Header=BB1320_100 Depth=2
	v_lshlrev_b32_e32 v64, 2, v120
	v_add_nc_u32_e32 v65, v92, v4
	ds_load_b32 v66, v64
	ds_load_b64 v[64:65], v65 offset:33280
	s_wait_dscnt 0x1
	v_add_nc_u32_e32 v66, v66, v82
	s_wait_dscnt 0x0
	global_store_b64 v66, v[64:65], s[44:45] scale_offset
.LBB1320_255:                           ;   in Loop: Header=BB1320_100 Depth=2
	s_wait_xcnt 0x0
	s_or_b32 exec_lo, exec_lo, s17
	s_wait_storecnt 0x0
	s_barrier_signal -1
	s_barrier_wait -1
	s_and_saveexec_b32 s17, s0
	s_cbranch_execz .LBB1320_99
; %bb.256:                              ;   in Loop: Header=BB1320_100 Depth=2
	ds_load_b32 v64, v4
	s_wait_dscnt 0x0
	v_add3_u32 v64, v133, v138, v64
	ds_store_b32 v4, v64
	s_branch .LBB1320_99
.LBB1320_257:                           ;   in Loop: Header=BB1320_100 Depth=2
	ds_load_b32 v64, v92 offset:512
	s_wait_dscnt 0x0
	v_cmp_ne_u32_e64 s17, 0x80000000, v64
	s_delay_alu instid0(VALU_DEP_1) | instskip(SKIP_1) | instid1(VALU_DEP_1)
	v_cndmask_b32_e64 v65, 0x7fffffff, v64, s17
	v_cmp_gt_i32_e64 s17, 0, v64
	v_cndmask_b32_e64 v140, 0x7fffffff, 0, s17
	s_delay_alu instid0(VALU_DEP_1) | instskip(NEXT) | instid1(VALU_DEP_1)
	v_dual_lshrrev_b32 v65, s48, v65 :: v_dual_bitop2_b32 v64, v140, v64 bitop3:0x14
	v_and_b32_e32 v65, s58, v65
	s_delay_alu instid0(VALU_DEP_1)
	v_lshlrev_b32_e32 v65, 2, v65
	ds_load_b32 v65, v65
	s_wait_dscnt 0x0
	v_add_nc_u32_e32 v65, v65, v2
	global_store_b32 v65, v64, s[38:39] scale_offset
	s_wait_xcnt 0x0
	s_or_b32 exec_lo, exec_lo, s18
	v_cmp_lt_u32_e64 s17, v3, v139
	s_and_saveexec_b32 s19, s17
	s_cbranch_execz .LBB1320_186
.LBB1320_258:                           ;   in Loop: Header=BB1320_100 Depth=2
	ds_load_b32 v64, v92 offset:1536
	s_wait_dscnt 0x0
	v_cmp_ne_u32_e64 s18, 0x80000000, v64
	s_delay_alu instid0(VALU_DEP_1) | instskip(SKIP_1) | instid1(VALU_DEP_1)
	v_cndmask_b32_e64 v65, 0x7fffffff, v64, s18
	v_cmp_gt_i32_e64 s18, 0, v64
	v_cndmask_b32_e64 v140, 0x7fffffff, 0, s18
	s_delay_alu instid0(VALU_DEP_1) | instskip(NEXT) | instid1(VALU_DEP_1)
	v_dual_lshrrev_b32 v65, s48, v65 :: v_dual_bitop2_b32 v64, v140, v64 bitop3:0x14
	v_and_b32_e32 v65, s58, v65
	s_delay_alu instid0(VALU_DEP_1)
	v_lshlrev_b32_e32 v65, 2, v65
	ds_load_b32 v65, v65
	s_wait_dscnt 0x0
	v_add_nc_u32_e32 v65, v65, v3
	global_store_b32 v65, v64, s[38:39] scale_offset
	s_wait_xcnt 0x0
	s_or_b32 exec_lo, exec_lo, s19
	v_cmp_lt_u32_e64 s18, v68, v139
	s_and_saveexec_b32 s20, s18
	s_cbranch_execz .LBB1320_187
.LBB1320_259:                           ;   in Loop: Header=BB1320_100 Depth=2
	ds_load_b32 v64, v92 offset:2560
	s_wait_dscnt 0x0
	v_cmp_ne_u32_e64 s19, 0x80000000, v64
	s_delay_alu instid0(VALU_DEP_1) | instskip(SKIP_1) | instid1(VALU_DEP_1)
	v_cndmask_b32_e64 v65, 0x7fffffff, v64, s19
	v_cmp_gt_i32_e64 s19, 0, v64
	v_cndmask_b32_e64 v140, 0x7fffffff, 0, s19
	s_delay_alu instid0(VALU_DEP_1) | instskip(NEXT) | instid1(VALU_DEP_1)
	v_dual_lshrrev_b32 v65, s48, v65 :: v_dual_bitop2_b32 v64, v140, v64 bitop3:0x14
	v_and_b32_e32 v65, s58, v65
	s_delay_alu instid0(VALU_DEP_1)
	v_lshlrev_b32_e32 v65, 2, v65
	ds_load_b32 v65, v65
	s_wait_dscnt 0x0
	v_add_nc_u32_e32 v65, v65, v68
	global_store_b32 v65, v64, s[38:39] scale_offset
	s_wait_xcnt 0x0
	s_or_b32 exec_lo, exec_lo, s20
	v_cmp_lt_u32_e64 s19, v69, v139
	s_and_saveexec_b32 s21, s19
	s_cbranch_execz .LBB1320_188
.LBB1320_260:                           ;   in Loop: Header=BB1320_100 Depth=2
	ds_load_b32 v64, v92 offset:3584
	s_wait_dscnt 0x0
	v_cmp_ne_u32_e64 s20, 0x80000000, v64
	s_delay_alu instid0(VALU_DEP_1) | instskip(SKIP_1) | instid1(VALU_DEP_1)
	v_cndmask_b32_e64 v65, 0x7fffffff, v64, s20
	v_cmp_gt_i32_e64 s20, 0, v64
	v_cndmask_b32_e64 v140, 0x7fffffff, 0, s20
	s_delay_alu instid0(VALU_DEP_1) | instskip(NEXT) | instid1(VALU_DEP_1)
	v_dual_lshrrev_b32 v65, s48, v65 :: v_dual_bitop2_b32 v64, v140, v64 bitop3:0x14
	v_and_b32_e32 v65, s58, v65
	s_delay_alu instid0(VALU_DEP_1)
	v_lshlrev_b32_e32 v65, 2, v65
	ds_load_b32 v65, v65
	s_wait_dscnt 0x0
	v_add_nc_u32_e32 v65, v65, v69
	global_store_b32 v65, v64, s[38:39] scale_offset
	s_wait_xcnt 0x0
	s_or_b32 exec_lo, exec_lo, s21
	v_cmp_lt_u32_e64 s20, v70, v139
	s_and_saveexec_b32 s22, s20
	s_cbranch_execz .LBB1320_189
.LBB1320_261:                           ;   in Loop: Header=BB1320_100 Depth=2
	ds_load_b32 v64, v92 offset:4608
	s_wait_dscnt 0x0
	v_cmp_ne_u32_e64 s21, 0x80000000, v64
	s_delay_alu instid0(VALU_DEP_1) | instskip(SKIP_1) | instid1(VALU_DEP_1)
	v_cndmask_b32_e64 v65, 0x7fffffff, v64, s21
	v_cmp_gt_i32_e64 s21, 0, v64
	v_cndmask_b32_e64 v140, 0x7fffffff, 0, s21
	s_delay_alu instid0(VALU_DEP_1) | instskip(NEXT) | instid1(VALU_DEP_1)
	v_dual_lshrrev_b32 v65, s48, v65 :: v_dual_bitop2_b32 v64, v140, v64 bitop3:0x14
	v_and_b32_e32 v65, s58, v65
	s_delay_alu instid0(VALU_DEP_1)
	v_lshlrev_b32_e32 v65, 2, v65
	ds_load_b32 v65, v65
	s_wait_dscnt 0x0
	v_add_nc_u32_e32 v65, v65, v70
	global_store_b32 v65, v64, s[38:39] scale_offset
	s_wait_xcnt 0x0
	s_or_b32 exec_lo, exec_lo, s22
	v_cmp_lt_u32_e64 s21, v71, v139
	s_and_saveexec_b32 s23, s21
	s_cbranch_execz .LBB1320_190
.LBB1320_262:                           ;   in Loop: Header=BB1320_100 Depth=2
	ds_load_b32 v64, v92 offset:5632
	s_wait_dscnt 0x0
	v_cmp_ne_u32_e64 s22, 0x80000000, v64
	s_delay_alu instid0(VALU_DEP_1) | instskip(SKIP_1) | instid1(VALU_DEP_1)
	v_cndmask_b32_e64 v65, 0x7fffffff, v64, s22
	v_cmp_gt_i32_e64 s22, 0, v64
	v_cndmask_b32_e64 v140, 0x7fffffff, 0, s22
	s_delay_alu instid0(VALU_DEP_1) | instskip(NEXT) | instid1(VALU_DEP_1)
	v_dual_lshrrev_b32 v65, s48, v65 :: v_dual_bitop2_b32 v64, v140, v64 bitop3:0x14
	v_and_b32_e32 v65, s58, v65
	s_delay_alu instid0(VALU_DEP_1)
	v_lshlrev_b32_e32 v65, 2, v65
	ds_load_b32 v65, v65
	s_wait_dscnt 0x0
	v_add_nc_u32_e32 v65, v65, v71
	global_store_b32 v65, v64, s[38:39] scale_offset
	s_wait_xcnt 0x0
	s_or_b32 exec_lo, exec_lo, s23
	v_cmp_lt_u32_e64 s22, v72, v139
	s_and_saveexec_b32 s24, s22
	s_cbranch_execz .LBB1320_191
.LBB1320_263:                           ;   in Loop: Header=BB1320_100 Depth=2
	ds_load_b32 v64, v92 offset:6656
	s_wait_dscnt 0x0
	v_cmp_ne_u32_e64 s23, 0x80000000, v64
	s_delay_alu instid0(VALU_DEP_1) | instskip(SKIP_1) | instid1(VALU_DEP_1)
	v_cndmask_b32_e64 v65, 0x7fffffff, v64, s23
	v_cmp_gt_i32_e64 s23, 0, v64
	v_cndmask_b32_e64 v140, 0x7fffffff, 0, s23
	s_delay_alu instid0(VALU_DEP_1) | instskip(NEXT) | instid1(VALU_DEP_1)
	v_dual_lshrrev_b32 v65, s48, v65 :: v_dual_bitop2_b32 v64, v140, v64 bitop3:0x14
	v_and_b32_e32 v65, s58, v65
	s_delay_alu instid0(VALU_DEP_1)
	v_lshlrev_b32_e32 v65, 2, v65
	ds_load_b32 v65, v65
	s_wait_dscnt 0x0
	v_add_nc_u32_e32 v65, v65, v72
	global_store_b32 v65, v64, s[38:39] scale_offset
	s_wait_xcnt 0x0
	s_or_b32 exec_lo, exec_lo, s24
	v_cmp_lt_u32_e64 s23, v73, v139
	s_and_saveexec_b32 s25, s23
	s_cbranch_execz .LBB1320_192
.LBB1320_264:                           ;   in Loop: Header=BB1320_100 Depth=2
	ds_load_b32 v64, v92 offset:7680
	s_wait_dscnt 0x0
	v_cmp_ne_u32_e64 s24, 0x80000000, v64
	s_delay_alu instid0(VALU_DEP_1) | instskip(SKIP_1) | instid1(VALU_DEP_1)
	v_cndmask_b32_e64 v65, 0x7fffffff, v64, s24
	v_cmp_gt_i32_e64 s24, 0, v64
	v_cndmask_b32_e64 v140, 0x7fffffff, 0, s24
	s_delay_alu instid0(VALU_DEP_1) | instskip(NEXT) | instid1(VALU_DEP_1)
	v_dual_lshrrev_b32 v65, s48, v65 :: v_dual_bitop2_b32 v64, v140, v64 bitop3:0x14
	v_and_b32_e32 v65, s58, v65
	s_delay_alu instid0(VALU_DEP_1)
	v_lshlrev_b32_e32 v65, 2, v65
	ds_load_b32 v65, v65
	s_wait_dscnt 0x0
	v_add_nc_u32_e32 v65, v65, v73
	global_store_b32 v65, v64, s[38:39] scale_offset
	s_wait_xcnt 0x0
	s_or_b32 exec_lo, exec_lo, s25
	v_cmp_lt_u32_e64 s24, v74, v139
	s_and_saveexec_b32 s26, s24
	s_cbranch_execz .LBB1320_193
.LBB1320_265:                           ;   in Loop: Header=BB1320_100 Depth=2
	ds_load_b32 v64, v92 offset:8704
	s_wait_dscnt 0x0
	v_cmp_ne_u32_e64 s25, 0x80000000, v64
	s_delay_alu instid0(VALU_DEP_1) | instskip(SKIP_1) | instid1(VALU_DEP_1)
	v_cndmask_b32_e64 v65, 0x7fffffff, v64, s25
	v_cmp_gt_i32_e64 s25, 0, v64
	v_cndmask_b32_e64 v140, 0x7fffffff, 0, s25
	s_delay_alu instid0(VALU_DEP_1) | instskip(NEXT) | instid1(VALU_DEP_1)
	v_dual_lshrrev_b32 v65, s48, v65 :: v_dual_bitop2_b32 v64, v140, v64 bitop3:0x14
	v_and_b32_e32 v65, s58, v65
	s_delay_alu instid0(VALU_DEP_1)
	v_lshlrev_b32_e32 v65, 2, v65
	ds_load_b32 v65, v65
	s_wait_dscnt 0x0
	v_add_nc_u32_e32 v65, v65, v74
	global_store_b32 v65, v64, s[38:39] scale_offset
	s_wait_xcnt 0x0
	s_or_b32 exec_lo, exec_lo, s26
	v_cmp_lt_u32_e64 s25, v75, v139
	s_and_saveexec_b32 s27, s25
	s_cbranch_execz .LBB1320_194
.LBB1320_266:                           ;   in Loop: Header=BB1320_100 Depth=2
	ds_load_b32 v64, v92 offset:9728
	s_wait_dscnt 0x0
	v_cmp_ne_u32_e64 s26, 0x80000000, v64
	s_delay_alu instid0(VALU_DEP_1) | instskip(SKIP_1) | instid1(VALU_DEP_1)
	v_cndmask_b32_e64 v65, 0x7fffffff, v64, s26
	v_cmp_gt_i32_e64 s26, 0, v64
	v_cndmask_b32_e64 v140, 0x7fffffff, 0, s26
	s_delay_alu instid0(VALU_DEP_1) | instskip(NEXT) | instid1(VALU_DEP_1)
	v_dual_lshrrev_b32 v65, s48, v65 :: v_dual_bitop2_b32 v64, v140, v64 bitop3:0x14
	v_and_b32_e32 v65, s58, v65
	s_delay_alu instid0(VALU_DEP_1)
	v_lshlrev_b32_e32 v65, 2, v65
	ds_load_b32 v65, v65
	s_wait_dscnt 0x0
	v_add_nc_u32_e32 v65, v65, v75
	global_store_b32 v65, v64, s[38:39] scale_offset
	s_wait_xcnt 0x0
	s_or_b32 exec_lo, exec_lo, s27
	v_cmp_lt_u32_e64 s26, v76, v139
	s_and_saveexec_b32 s28, s26
	s_cbranch_execz .LBB1320_195
.LBB1320_267:                           ;   in Loop: Header=BB1320_100 Depth=2
	ds_load_b32 v64, v92 offset:10752
	s_wait_dscnt 0x0
	v_cmp_ne_u32_e64 s27, 0x80000000, v64
	s_delay_alu instid0(VALU_DEP_1) | instskip(SKIP_1) | instid1(VALU_DEP_1)
	v_cndmask_b32_e64 v65, 0x7fffffff, v64, s27
	v_cmp_gt_i32_e64 s27, 0, v64
	v_cndmask_b32_e64 v140, 0x7fffffff, 0, s27
	s_delay_alu instid0(VALU_DEP_1) | instskip(NEXT) | instid1(VALU_DEP_1)
	v_dual_lshrrev_b32 v65, s48, v65 :: v_dual_bitop2_b32 v64, v140, v64 bitop3:0x14
	v_and_b32_e32 v65, s58, v65
	s_delay_alu instid0(VALU_DEP_1)
	v_lshlrev_b32_e32 v65, 2, v65
	ds_load_b32 v65, v65
	s_wait_dscnt 0x0
	v_add_nc_u32_e32 v65, v65, v76
	global_store_b32 v65, v64, s[38:39] scale_offset
	s_wait_xcnt 0x0
	s_or_b32 exec_lo, exec_lo, s28
	v_cmp_lt_u32_e64 s27, v77, v139
	s_and_saveexec_b32 s29, s27
	s_cbranch_execz .LBB1320_196
.LBB1320_268:                           ;   in Loop: Header=BB1320_100 Depth=2
	ds_load_b32 v64, v92 offset:11776
	s_wait_dscnt 0x0
	v_cmp_ne_u32_e64 s28, 0x80000000, v64
	s_delay_alu instid0(VALU_DEP_1) | instskip(SKIP_1) | instid1(VALU_DEP_1)
	v_cndmask_b32_e64 v65, 0x7fffffff, v64, s28
	v_cmp_gt_i32_e64 s28, 0, v64
	v_cndmask_b32_e64 v140, 0x7fffffff, 0, s28
	s_delay_alu instid0(VALU_DEP_1) | instskip(NEXT) | instid1(VALU_DEP_1)
	v_dual_lshrrev_b32 v65, s48, v65 :: v_dual_bitop2_b32 v64, v140, v64 bitop3:0x14
	v_and_b32_e32 v65, s58, v65
	s_delay_alu instid0(VALU_DEP_1)
	v_lshlrev_b32_e32 v65, 2, v65
	ds_load_b32 v65, v65
	s_wait_dscnt 0x0
	v_add_nc_u32_e32 v65, v65, v77
	global_store_b32 v65, v64, s[38:39] scale_offset
	s_wait_xcnt 0x0
	s_or_b32 exec_lo, exec_lo, s29
	v_cmp_lt_u32_e64 s28, v78, v139
	s_and_saveexec_b32 s30, s28
	s_cbranch_execz .LBB1320_197
.LBB1320_269:                           ;   in Loop: Header=BB1320_100 Depth=2
	ds_load_b32 v64, v92 offset:12800
	s_wait_dscnt 0x0
	v_cmp_ne_u32_e64 s29, 0x80000000, v64
	s_delay_alu instid0(VALU_DEP_1) | instskip(SKIP_1) | instid1(VALU_DEP_1)
	v_cndmask_b32_e64 v65, 0x7fffffff, v64, s29
	v_cmp_gt_i32_e64 s29, 0, v64
	v_cndmask_b32_e64 v140, 0x7fffffff, 0, s29
	s_delay_alu instid0(VALU_DEP_1) | instskip(NEXT) | instid1(VALU_DEP_1)
	v_dual_lshrrev_b32 v65, s48, v65 :: v_dual_bitop2_b32 v64, v140, v64 bitop3:0x14
	v_and_b32_e32 v65, s58, v65
	s_delay_alu instid0(VALU_DEP_1)
	v_lshlrev_b32_e32 v65, 2, v65
	ds_load_b32 v65, v65
	s_wait_dscnt 0x0
	v_add_nc_u32_e32 v65, v65, v78
	global_store_b32 v65, v64, s[38:39] scale_offset
	s_wait_xcnt 0x0
	s_or_b32 exec_lo, exec_lo, s30
	v_cmp_lt_u32_e64 s29, v79, v139
	s_and_saveexec_b32 s31, s29
	s_cbranch_execz .LBB1320_198
.LBB1320_270:                           ;   in Loop: Header=BB1320_100 Depth=2
	ds_load_b32 v64, v92 offset:13824
	s_wait_dscnt 0x0
	v_cmp_ne_u32_e64 s30, 0x80000000, v64
	s_delay_alu instid0(VALU_DEP_1) | instskip(SKIP_1) | instid1(VALU_DEP_1)
	v_cndmask_b32_e64 v65, 0x7fffffff, v64, s30
	v_cmp_gt_i32_e64 s30, 0, v64
	v_cndmask_b32_e64 v140, 0x7fffffff, 0, s30
	s_delay_alu instid0(VALU_DEP_1) | instskip(NEXT) | instid1(VALU_DEP_1)
	v_dual_lshrrev_b32 v65, s48, v65 :: v_dual_bitop2_b32 v64, v140, v64 bitop3:0x14
	v_and_b32_e32 v65, s58, v65
	s_delay_alu instid0(VALU_DEP_1)
	v_lshlrev_b32_e32 v65, 2, v65
	ds_load_b32 v65, v65
	s_wait_dscnt 0x0
	v_add_nc_u32_e32 v65, v65, v79
	global_store_b32 v65, v64, s[38:39] scale_offset
	s_wait_xcnt 0x0
	s_or_b32 exec_lo, exec_lo, s31
	v_cmp_lt_u32_e64 s30, v80, v139
	s_and_saveexec_b32 s33, s30
	s_cbranch_execz .LBB1320_199
.LBB1320_271:                           ;   in Loop: Header=BB1320_100 Depth=2
	ds_load_b32 v64, v92 offset:14848
	s_wait_dscnt 0x0
	v_cmp_ne_u32_e64 s31, 0x80000000, v64
	s_delay_alu instid0(VALU_DEP_1) | instskip(SKIP_1) | instid1(VALU_DEP_1)
	v_cndmask_b32_e64 v65, 0x7fffffff, v64, s31
	v_cmp_gt_i32_e64 s31, 0, v64
	v_cndmask_b32_e64 v140, 0x7fffffff, 0, s31
	s_delay_alu instid0(VALU_DEP_1) | instskip(NEXT) | instid1(VALU_DEP_1)
	v_dual_lshrrev_b32 v65, s48, v65 :: v_dual_bitop2_b32 v64, v140, v64 bitop3:0x14
	v_and_b32_e32 v65, s58, v65
	s_delay_alu instid0(VALU_DEP_1)
	v_lshlrev_b32_e32 v65, 2, v65
	ds_load_b32 v65, v65
	s_wait_dscnt 0x0
	v_add_nc_u32_e32 v65, v65, v80
	global_store_b32 v65, v64, s[38:39] scale_offset
	s_wait_xcnt 0x0
	s_or_b32 exec_lo, exec_lo, s33
	v_cmp_lt_u32_e64 s31, v81, v139
	s_and_saveexec_b32 s34, s31
	s_cbranch_execz .LBB1320_200
.LBB1320_272:                           ;   in Loop: Header=BB1320_100 Depth=2
	ds_load_b32 v64, v92 offset:15872
	s_wait_dscnt 0x0
	v_cmp_ne_u32_e64 s33, 0x80000000, v64
	s_delay_alu instid0(VALU_DEP_1) | instskip(SKIP_1) | instid1(VALU_DEP_1)
	v_cndmask_b32_e64 v65, 0x7fffffff, v64, s33
	v_cmp_gt_i32_e64 s33, 0, v64
	v_cndmask_b32_e64 v140, 0x7fffffff, 0, s33
	s_delay_alu instid0(VALU_DEP_1) | instskip(NEXT) | instid1(VALU_DEP_1)
	v_dual_lshrrev_b32 v65, s48, v65 :: v_dual_bitop2_b32 v64, v140, v64 bitop3:0x14
	v_and_b32_e32 v65, s58, v65
	s_delay_alu instid0(VALU_DEP_1)
	v_lshlrev_b32_e32 v65, 2, v65
	ds_load_b32 v65, v65
	s_wait_dscnt 0x0
	v_add_nc_u32_e32 v65, v65, v81
	global_store_b32 v65, v64, s[38:39] scale_offset
	s_wait_xcnt 0x0
	s_or_b32 exec_lo, exec_lo, s34
	v_cmp_lt_u32_e64 s33, v82, v139
	s_and_saveexec_b32 s61, s33
	s_cbranch_execnz .LBB1320_201
	s_branch .LBB1320_202
.LBB1320_273:                           ;   in Loop: Header=BB1320_100 Depth=2
	global_load_b64 v[62:63], v[64:65], off
	s_wait_xcnt 0x0
	s_or_b32 exec_lo, exec_lo, s34
	s_delay_alu instid0(SALU_CYCLE_1)
	s_mov_b32 s42, exec_lo
	v_cmpx_lt_u32_e64 v104, v139
	s_cbranch_execz .LBB1320_204
.LBB1320_274:                           ;   in Loop: Header=BB1320_100 Depth=2
	global_load_b64 v[60:61], v[64:65], off offset:256
	s_wait_xcnt 0x0
	s_or_b32 exec_lo, exec_lo, s42
	s_delay_alu instid0(SALU_CYCLE_1)
	s_mov_b32 s42, exec_lo
	v_cmpx_lt_u32_e64 v105, v139
	s_cbranch_execz .LBB1320_205
.LBB1320_275:                           ;   in Loop: Header=BB1320_100 Depth=2
	global_load_b64 v[58:59], v[64:65], off offset:512
	s_wait_xcnt 0x0
	s_or_b32 exec_lo, exec_lo, s42
	s_delay_alu instid0(SALU_CYCLE_1)
	s_mov_b32 s42, exec_lo
	v_cmpx_lt_u32_e64 v106, v139
	s_cbranch_execz .LBB1320_206
.LBB1320_276:                           ;   in Loop: Header=BB1320_100 Depth=2
	global_load_b64 v[56:57], v[64:65], off offset:768
	s_wait_xcnt 0x0
	s_or_b32 exec_lo, exec_lo, s42
	s_delay_alu instid0(SALU_CYCLE_1)
	s_mov_b32 s42, exec_lo
	v_cmpx_lt_u32_e64 v107, v139
	s_cbranch_execz .LBB1320_207
.LBB1320_277:                           ;   in Loop: Header=BB1320_100 Depth=2
	global_load_b64 v[54:55], v[64:65], off offset:1024
	s_wait_xcnt 0x0
	s_or_b32 exec_lo, exec_lo, s42
	s_delay_alu instid0(SALU_CYCLE_1)
	s_mov_b32 s42, exec_lo
	v_cmpx_lt_u32_e64 v108, v139
	s_cbranch_execz .LBB1320_208
.LBB1320_278:                           ;   in Loop: Header=BB1320_100 Depth=2
	global_load_b64 v[52:53], v[64:65], off offset:1280
	s_wait_xcnt 0x0
	s_or_b32 exec_lo, exec_lo, s42
	s_delay_alu instid0(SALU_CYCLE_1)
	s_mov_b32 s42, exec_lo
	v_cmpx_lt_u32_e64 v109, v139
	s_cbranch_execz .LBB1320_209
.LBB1320_279:                           ;   in Loop: Header=BB1320_100 Depth=2
	global_load_b64 v[50:51], v[64:65], off offset:1536
	s_wait_xcnt 0x0
	s_or_b32 exec_lo, exec_lo, s42
	s_delay_alu instid0(SALU_CYCLE_1)
	s_mov_b32 s42, exec_lo
	v_cmpx_lt_u32_e64 v110, v139
	s_cbranch_execz .LBB1320_210
.LBB1320_280:                           ;   in Loop: Header=BB1320_100 Depth=2
	global_load_b64 v[48:49], v[64:65], off offset:1792
	s_wait_xcnt 0x0
	s_or_b32 exec_lo, exec_lo, s42
	s_delay_alu instid0(SALU_CYCLE_1)
	s_mov_b32 s42, exec_lo
	v_cmpx_lt_u32_e64 v111, v139
	s_cbranch_execz .LBB1320_211
.LBB1320_281:                           ;   in Loop: Header=BB1320_100 Depth=2
	global_load_b64 v[46:47], v[64:65], off offset:2048
	s_wait_xcnt 0x0
	s_or_b32 exec_lo, exec_lo, s42
	s_delay_alu instid0(SALU_CYCLE_1)
	s_mov_b32 s42, exec_lo
	v_cmpx_lt_u32_e64 v112, v139
	s_cbranch_execz .LBB1320_212
.LBB1320_282:                           ;   in Loop: Header=BB1320_100 Depth=2
	global_load_b64 v[44:45], v[64:65], off offset:2304
	s_wait_xcnt 0x0
	s_or_b32 exec_lo, exec_lo, s42
	s_delay_alu instid0(SALU_CYCLE_1)
	s_mov_b32 s42, exec_lo
	v_cmpx_lt_u32_e64 v113, v139
	s_cbranch_execz .LBB1320_213
.LBB1320_283:                           ;   in Loop: Header=BB1320_100 Depth=2
	global_load_b64 v[42:43], v[64:65], off offset:2560
	s_wait_xcnt 0x0
	s_or_b32 exec_lo, exec_lo, s42
	s_delay_alu instid0(SALU_CYCLE_1)
	s_mov_b32 s42, exec_lo
	v_cmpx_lt_u32_e64 v114, v139
	s_cbranch_execz .LBB1320_214
.LBB1320_284:                           ;   in Loop: Header=BB1320_100 Depth=2
	global_load_b64 v[40:41], v[64:65], off offset:2816
	s_wait_xcnt 0x0
	s_or_b32 exec_lo, exec_lo, s42
	s_delay_alu instid0(SALU_CYCLE_1)
	s_mov_b32 s42, exec_lo
	v_cmpx_lt_u32_e64 v115, v139
	s_cbranch_execz .LBB1320_215
.LBB1320_285:                           ;   in Loop: Header=BB1320_100 Depth=2
	global_load_b64 v[38:39], v[64:65], off offset:3072
	s_wait_xcnt 0x0
	s_or_b32 exec_lo, exec_lo, s42
	s_delay_alu instid0(SALU_CYCLE_1)
	s_mov_b32 s42, exec_lo
	v_cmpx_lt_u32_e64 v116, v139
	s_cbranch_execz .LBB1320_216
.LBB1320_286:                           ;   in Loop: Header=BB1320_100 Depth=2
	global_load_b64 v[36:37], v[64:65], off offset:3328
	s_wait_xcnt 0x0
	s_or_b32 exec_lo, exec_lo, s42
	s_delay_alu instid0(SALU_CYCLE_1)
	s_mov_b32 s42, exec_lo
	v_cmpx_lt_u32_e64 v117, v139
	s_cbranch_execz .LBB1320_217
.LBB1320_287:                           ;   in Loop: Header=BB1320_100 Depth=2
	global_load_b64 v[34:35], v[64:65], off offset:3584
	s_wait_xcnt 0x0
	s_or_b32 exec_lo, exec_lo, s42
	s_delay_alu instid0(SALU_CYCLE_1)
	s_mov_b32 s42, exec_lo
	v_cmpx_lt_u32_e64 v118, v139
	s_cbranch_execz .LBB1320_218
.LBB1320_288:                           ;   in Loop: Header=BB1320_100 Depth=2
	global_load_b64 v[32:33], v[64:65], off offset:3840
	s_wait_xcnt 0x0
	s_or_b32 exec_lo, exec_lo, s42
	s_delay_alu instid0(SALU_CYCLE_1)
	s_mov_b32 s42, exec_lo
	v_cmpx_lt_u32_e64 v5, v139
	s_cbranch_execz .LBB1320_219
.LBB1320_289:                           ;   in Loop: Header=BB1320_100 Depth=2
	global_load_b64 v[30:31], v[64:65], off offset:4096
	s_wait_xcnt 0x0
	s_or_b32 exec_lo, exec_lo, s42
	s_and_saveexec_b32 s42, vcc_lo
	s_cbranch_execz .LBB1320_220
.LBB1320_290:                           ;   in Loop: Header=BB1320_100 Depth=2
	ds_load_b32 v64, v92 offset:512
	s_wait_dscnt 0x0
	v_cmp_ne_u32_e64 s34, 0x80000000, v64
	s_delay_alu instid0(VALU_DEP_1) | instskip(NEXT) | instid1(VALU_DEP_1)
	v_cndmask_b32_e64 v64, 0x7fffffff, v64, s34
	v_lshrrev_b32_e32 v64, s48, v64
	s_delay_alu instid0(VALU_DEP_1)
	v_and_b32_e32 v137, s58, v64
	s_or_b32 exec_lo, exec_lo, s42
	s_and_saveexec_b32 s42, s17
	s_cbranch_execz .LBB1320_221
.LBB1320_291:                           ;   in Loop: Header=BB1320_100 Depth=2
	ds_load_b32 v64, v92 offset:1536
	s_wait_dscnt 0x0
	v_cmp_ne_u32_e64 s34, 0x80000000, v64
	s_delay_alu instid0(VALU_DEP_1) | instskip(NEXT) | instid1(VALU_DEP_1)
	v_cndmask_b32_e64 v64, 0x7fffffff, v64, s34
	v_lshrrev_b32_e32 v64, s48, v64
	s_delay_alu instid0(VALU_DEP_1)
	v_and_b32_e32 v136, s58, v64
	s_or_b32 exec_lo, exec_lo, s42
	s_and_saveexec_b32 s42, s18
	s_cbranch_execz .LBB1320_222
.LBB1320_292:                           ;   in Loop: Header=BB1320_100 Depth=2
	ds_load_b32 v64, v92 offset:2560
	s_wait_dscnt 0x0
	v_cmp_ne_u32_e64 s34, 0x80000000, v64
	s_delay_alu instid0(VALU_DEP_1) | instskip(NEXT) | instid1(VALU_DEP_1)
	v_cndmask_b32_e64 v64, 0x7fffffff, v64, s34
	v_lshrrev_b32_e32 v64, s48, v64
	s_delay_alu instid0(VALU_DEP_1)
	v_and_b32_e32 v135, s58, v64
	s_or_b32 exec_lo, exec_lo, s42
	s_and_saveexec_b32 s42, s19
	s_cbranch_execz .LBB1320_223
.LBB1320_293:                           ;   in Loop: Header=BB1320_100 Depth=2
	ds_load_b32 v64, v92 offset:3584
	s_wait_dscnt 0x0
	v_cmp_ne_u32_e64 s34, 0x80000000, v64
	s_delay_alu instid0(VALU_DEP_1) | instskip(NEXT) | instid1(VALU_DEP_1)
	v_cndmask_b32_e64 v64, 0x7fffffff, v64, s34
	v_lshrrev_b32_e32 v64, s48, v64
	s_delay_alu instid0(VALU_DEP_1)
	v_and_b32_e32 v134, s58, v64
	s_or_b32 exec_lo, exec_lo, s42
	s_and_saveexec_b32 s42, s20
	s_cbranch_execz .LBB1320_224
.LBB1320_294:                           ;   in Loop: Header=BB1320_100 Depth=2
	ds_load_b32 v64, v92 offset:4608
	s_wait_dscnt 0x0
	v_cmp_ne_u32_e64 s34, 0x80000000, v64
	s_delay_alu instid0(VALU_DEP_1) | instskip(NEXT) | instid1(VALU_DEP_1)
	v_cndmask_b32_e64 v64, 0x7fffffff, v64, s34
	v_lshrrev_b32_e32 v64, s48, v64
	s_delay_alu instid0(VALU_DEP_1)
	v_and_b32_e32 v132, s58, v64
	s_or_b32 exec_lo, exec_lo, s42
	s_and_saveexec_b32 s42, s21
	s_cbranch_execz .LBB1320_225
.LBB1320_295:                           ;   in Loop: Header=BB1320_100 Depth=2
	ds_load_b32 v64, v92 offset:5632
	s_wait_dscnt 0x0
	v_cmp_ne_u32_e64 s34, 0x80000000, v64
	s_delay_alu instid0(VALU_DEP_1) | instskip(NEXT) | instid1(VALU_DEP_1)
	v_cndmask_b32_e64 v64, 0x7fffffff, v64, s34
	v_lshrrev_b32_e32 v64, s48, v64
	s_delay_alu instid0(VALU_DEP_1)
	v_and_b32_e32 v131, s58, v64
	s_or_b32 exec_lo, exec_lo, s42
	s_and_saveexec_b32 s42, s22
	s_cbranch_execz .LBB1320_226
.LBB1320_296:                           ;   in Loop: Header=BB1320_100 Depth=2
	ds_load_b32 v64, v92 offset:6656
	s_wait_dscnt 0x0
	v_cmp_ne_u32_e64 s34, 0x80000000, v64
	s_delay_alu instid0(VALU_DEP_1) | instskip(NEXT) | instid1(VALU_DEP_1)
	v_cndmask_b32_e64 v64, 0x7fffffff, v64, s34
	v_lshrrev_b32_e32 v64, s48, v64
	s_delay_alu instid0(VALU_DEP_1)
	v_and_b32_e32 v130, s58, v64
	s_or_b32 exec_lo, exec_lo, s42
	s_and_saveexec_b32 s42, s23
	s_cbranch_execz .LBB1320_227
.LBB1320_297:                           ;   in Loop: Header=BB1320_100 Depth=2
	ds_load_b32 v64, v92 offset:7680
	s_wait_dscnt 0x0
	v_cmp_ne_u32_e64 s34, 0x80000000, v64
	s_delay_alu instid0(VALU_DEP_1) | instskip(NEXT) | instid1(VALU_DEP_1)
	v_cndmask_b32_e64 v64, 0x7fffffff, v64, s34
	v_lshrrev_b32_e32 v64, s48, v64
	s_delay_alu instid0(VALU_DEP_1)
	v_and_b32_e32 v129, s58, v64
	s_or_b32 exec_lo, exec_lo, s42
	s_and_saveexec_b32 s42, s24
	s_cbranch_execz .LBB1320_228
.LBB1320_298:                           ;   in Loop: Header=BB1320_100 Depth=2
	ds_load_b32 v64, v92 offset:8704
	s_wait_dscnt 0x0
	v_cmp_ne_u32_e64 s34, 0x80000000, v64
	s_delay_alu instid0(VALU_DEP_1) | instskip(NEXT) | instid1(VALU_DEP_1)
	v_cndmask_b32_e64 v64, 0x7fffffff, v64, s34
	v_lshrrev_b32_e32 v64, s48, v64
	s_delay_alu instid0(VALU_DEP_1)
	v_and_b32_e32 v128, s58, v64
	s_or_b32 exec_lo, exec_lo, s42
	s_and_saveexec_b32 s42, s25
	s_cbranch_execz .LBB1320_229
.LBB1320_299:                           ;   in Loop: Header=BB1320_100 Depth=2
	ds_load_b32 v64, v92 offset:9728
	s_wait_dscnt 0x0
	v_cmp_ne_u32_e64 s34, 0x80000000, v64
	s_delay_alu instid0(VALU_DEP_1) | instskip(NEXT) | instid1(VALU_DEP_1)
	v_cndmask_b32_e64 v64, 0x7fffffff, v64, s34
	v_lshrrev_b32_e32 v64, s48, v64
	s_delay_alu instid0(VALU_DEP_1)
	v_and_b32_e32 v127, s58, v64
	s_or_b32 exec_lo, exec_lo, s42
	s_and_saveexec_b32 s42, s26
	s_cbranch_execz .LBB1320_230
.LBB1320_300:                           ;   in Loop: Header=BB1320_100 Depth=2
	ds_load_b32 v64, v92 offset:10752
	s_wait_dscnt 0x0
	v_cmp_ne_u32_e64 s34, 0x80000000, v64
	s_delay_alu instid0(VALU_DEP_1) | instskip(NEXT) | instid1(VALU_DEP_1)
	v_cndmask_b32_e64 v64, 0x7fffffff, v64, s34
	v_lshrrev_b32_e32 v64, s48, v64
	s_delay_alu instid0(VALU_DEP_1)
	v_and_b32_e32 v126, s58, v64
	s_or_b32 exec_lo, exec_lo, s42
	s_and_saveexec_b32 s42, s27
	s_cbranch_execz .LBB1320_231
.LBB1320_301:                           ;   in Loop: Header=BB1320_100 Depth=2
	ds_load_b32 v64, v92 offset:11776
	s_wait_dscnt 0x0
	v_cmp_ne_u32_e64 s34, 0x80000000, v64
	s_delay_alu instid0(VALU_DEP_1) | instskip(NEXT) | instid1(VALU_DEP_1)
	v_cndmask_b32_e64 v64, 0x7fffffff, v64, s34
	v_lshrrev_b32_e32 v64, s48, v64
	s_delay_alu instid0(VALU_DEP_1)
	v_and_b32_e32 v125, s58, v64
	s_or_b32 exec_lo, exec_lo, s42
	s_and_saveexec_b32 s42, s28
	s_cbranch_execz .LBB1320_232
.LBB1320_302:                           ;   in Loop: Header=BB1320_100 Depth=2
	ds_load_b32 v64, v92 offset:12800
	s_wait_dscnt 0x0
	v_cmp_ne_u32_e64 s34, 0x80000000, v64
	s_delay_alu instid0(VALU_DEP_1) | instskip(NEXT) | instid1(VALU_DEP_1)
	v_cndmask_b32_e64 v64, 0x7fffffff, v64, s34
	v_lshrrev_b32_e32 v64, s48, v64
	s_delay_alu instid0(VALU_DEP_1)
	v_and_b32_e32 v124, s58, v64
	s_or_b32 exec_lo, exec_lo, s42
	s_and_saveexec_b32 s42, s29
	s_cbranch_execz .LBB1320_233
.LBB1320_303:                           ;   in Loop: Header=BB1320_100 Depth=2
	ds_load_b32 v64, v92 offset:13824
	s_wait_dscnt 0x0
	v_cmp_ne_u32_e64 s34, 0x80000000, v64
	s_delay_alu instid0(VALU_DEP_1) | instskip(NEXT) | instid1(VALU_DEP_1)
	v_cndmask_b32_e64 v64, 0x7fffffff, v64, s34
	v_lshrrev_b32_e32 v64, s48, v64
	s_delay_alu instid0(VALU_DEP_1)
	v_and_b32_e32 v123, s58, v64
	s_or_b32 exec_lo, exec_lo, s42
	s_and_saveexec_b32 s42, s30
	s_cbranch_execz .LBB1320_234
.LBB1320_304:                           ;   in Loop: Header=BB1320_100 Depth=2
	ds_load_b32 v64, v92 offset:14848
	s_wait_dscnt 0x0
	v_cmp_ne_u32_e64 s34, 0x80000000, v64
	s_delay_alu instid0(VALU_DEP_1) | instskip(NEXT) | instid1(VALU_DEP_1)
	v_cndmask_b32_e64 v64, 0x7fffffff, v64, s34
	v_lshrrev_b32_e32 v64, s48, v64
	s_delay_alu instid0(VALU_DEP_1)
	v_and_b32_e32 v122, s58, v64
	s_or_b32 exec_lo, exec_lo, s42
	s_and_saveexec_b32 s42, s31
	s_cbranch_execz .LBB1320_235
.LBB1320_305:                           ;   in Loop: Header=BB1320_100 Depth=2
	ds_load_b32 v64, v92 offset:15872
	s_wait_dscnt 0x0
	v_cmp_ne_u32_e64 s34, 0x80000000, v64
	s_delay_alu instid0(VALU_DEP_1) | instskip(NEXT) | instid1(VALU_DEP_1)
	v_cndmask_b32_e64 v64, 0x7fffffff, v64, s34
	v_lshrrev_b32_e32 v64, s48, v64
	s_delay_alu instid0(VALU_DEP_1)
	v_and_b32_e32 v121, s58, v64
	s_or_b32 exec_lo, exec_lo, s42
	s_and_saveexec_b32 s42, s33
	s_cbranch_execnz .LBB1320_236
	s_branch .LBB1320_237
.LBB1320_306:                           ;   in Loop: Header=BB1320_100 Depth=2
	v_dual_lshlrev_b32 v64, 2, v137 :: v_dual_add_nc_u32 v65, v92, v4
	ds_load_b32 v66, v64
	ds_load_b64 v[64:65], v65 offset:512
	s_wait_dscnt 0x1
	v_add_nc_u32_e32 v66, v66, v2
	s_wait_dscnt 0x0
	global_store_b64 v66, v[64:65], s[44:45] scale_offset
	s_wait_xcnt 0x0
	s_or_b32 exec_lo, exec_lo, s34
	s_and_saveexec_b32 s34, s17
	s_cbranch_execz .LBB1320_239
.LBB1320_307:                           ;   in Loop: Header=BB1320_100 Depth=2
	v_lshlrev_b32_e32 v64, 2, v136
	v_add_nc_u32_e32 v65, v92, v4
	ds_load_b32 v66, v64
	ds_load_b64 v[64:65], v65 offset:2560
	s_wait_dscnt 0x1
	v_add_nc_u32_e32 v66, v66, v3
	s_wait_dscnt 0x0
	global_store_b64 v66, v[64:65], s[44:45] scale_offset
	s_wait_xcnt 0x0
	s_or_b32 exec_lo, exec_lo, s34
	s_and_saveexec_b32 s17, s18
	s_cbranch_execz .LBB1320_240
.LBB1320_308:                           ;   in Loop: Header=BB1320_100 Depth=2
	v_dual_lshlrev_b32 v64, 2, v135 :: v_dual_add_nc_u32 v65, v92, v4
	ds_load_b32 v66, v64
	ds_load_b64 v[64:65], v65 offset:4608
	s_wait_dscnt 0x1
	v_add_nc_u32_e32 v66, v66, v68
	s_wait_dscnt 0x0
	global_store_b64 v66, v[64:65], s[44:45] scale_offset
	s_wait_xcnt 0x0
	s_or_b32 exec_lo, exec_lo, s17
	s_and_saveexec_b32 s17, s19
	s_cbranch_execz .LBB1320_241
.LBB1320_309:                           ;   in Loop: Header=BB1320_100 Depth=2
	v_dual_lshlrev_b32 v64, 2, v134 :: v_dual_add_nc_u32 v65, v92, v4
	ds_load_b32 v66, v64
	ds_load_b64 v[64:65], v65 offset:6656
	s_wait_dscnt 0x1
	v_add_nc_u32_e32 v66, v66, v69
	s_wait_dscnt 0x0
	global_store_b64 v66, v[64:65], s[44:45] scale_offset
	s_wait_xcnt 0x0
	s_or_b32 exec_lo, exec_lo, s17
	s_and_saveexec_b32 s17, s20
	s_cbranch_execz .LBB1320_242
.LBB1320_310:                           ;   in Loop: Header=BB1320_100 Depth=2
	v_lshlrev_b32_e32 v64, 2, v132
	v_add_nc_u32_e32 v65, v92, v4
	ds_load_b32 v66, v64
	ds_load_b64 v[64:65], v65 offset:8704
	s_wait_dscnt 0x1
	v_add_nc_u32_e32 v66, v66, v70
	s_wait_dscnt 0x0
	global_store_b64 v66, v[64:65], s[44:45] scale_offset
	s_wait_xcnt 0x0
	s_or_b32 exec_lo, exec_lo, s17
	s_and_saveexec_b32 s17, s21
	s_cbranch_execz .LBB1320_243
.LBB1320_311:                           ;   in Loop: Header=BB1320_100 Depth=2
	v_dual_lshlrev_b32 v64, 2, v131 :: v_dual_add_nc_u32 v65, v92, v4
	ds_load_b32 v66, v64
	ds_load_b64 v[64:65], v65 offset:10752
	s_wait_dscnt 0x1
	v_add_nc_u32_e32 v66, v66, v71
	s_wait_dscnt 0x0
	global_store_b64 v66, v[64:65], s[44:45] scale_offset
	s_wait_xcnt 0x0
	s_or_b32 exec_lo, exec_lo, s17
	s_and_saveexec_b32 s17, s22
	s_cbranch_execz .LBB1320_244
.LBB1320_312:                           ;   in Loop: Header=BB1320_100 Depth=2
	v_dual_lshlrev_b32 v64, 2, v130 :: v_dual_add_nc_u32 v65, v92, v4
	ds_load_b32 v66, v64
	ds_load_b64 v[64:65], v65 offset:12800
	s_wait_dscnt 0x1
	v_add_nc_u32_e32 v66, v66, v72
	s_wait_dscnt 0x0
	global_store_b64 v66, v[64:65], s[44:45] scale_offset
	s_wait_xcnt 0x0
	s_or_b32 exec_lo, exec_lo, s17
	s_and_saveexec_b32 s17, s23
	s_cbranch_execz .LBB1320_245
.LBB1320_313:                           ;   in Loop: Header=BB1320_100 Depth=2
	v_dual_lshlrev_b32 v64, 2, v129 :: v_dual_add_nc_u32 v65, v92, v4
	ds_load_b32 v66, v64
	ds_load_b64 v[64:65], v65 offset:14848
	s_wait_dscnt 0x1
	v_add_nc_u32_e32 v66, v66, v73
	s_wait_dscnt 0x0
	global_store_b64 v66, v[64:65], s[44:45] scale_offset
	s_wait_xcnt 0x0
	s_or_b32 exec_lo, exec_lo, s17
	s_and_saveexec_b32 s17, s24
	s_cbranch_execz .LBB1320_246
.LBB1320_314:                           ;   in Loop: Header=BB1320_100 Depth=2
	v_lshlrev_b32_e32 v64, 2, v128
	v_add_nc_u32_e32 v65, v92, v4
	ds_load_b32 v66, v64
	ds_load_b64 v[64:65], v65 offset:16896
	s_wait_dscnt 0x1
	v_add_nc_u32_e32 v66, v66, v74
	s_wait_dscnt 0x0
	global_store_b64 v66, v[64:65], s[44:45] scale_offset
	s_wait_xcnt 0x0
	s_or_b32 exec_lo, exec_lo, s17
	s_and_saveexec_b32 s17, s25
	s_cbranch_execz .LBB1320_247
.LBB1320_315:                           ;   in Loop: Header=BB1320_100 Depth=2
	v_dual_lshlrev_b32 v64, 2, v127 :: v_dual_add_nc_u32 v65, v92, v4
	ds_load_b32 v66, v64
	ds_load_b64 v[64:65], v65 offset:18944
	s_wait_dscnt 0x1
	v_add_nc_u32_e32 v66, v66, v75
	s_wait_dscnt 0x0
	global_store_b64 v66, v[64:65], s[44:45] scale_offset
	s_wait_xcnt 0x0
	s_or_b32 exec_lo, exec_lo, s17
	s_and_saveexec_b32 s17, s26
	s_cbranch_execz .LBB1320_248
.LBB1320_316:                           ;   in Loop: Header=BB1320_100 Depth=2
	v_dual_lshlrev_b32 v64, 2, v126 :: v_dual_add_nc_u32 v65, v92, v4
	ds_load_b32 v66, v64
	ds_load_b64 v[64:65], v65 offset:20992
	s_wait_dscnt 0x1
	v_add_nc_u32_e32 v66, v66, v76
	s_wait_dscnt 0x0
	global_store_b64 v66, v[64:65], s[44:45] scale_offset
	s_wait_xcnt 0x0
	s_or_b32 exec_lo, exec_lo, s17
	s_and_saveexec_b32 s17, s27
	s_cbranch_execz .LBB1320_249
.LBB1320_317:                           ;   in Loop: Header=BB1320_100 Depth=2
	v_dual_lshlrev_b32 v64, 2, v125 :: v_dual_add_nc_u32 v65, v92, v4
	ds_load_b32 v66, v64
	ds_load_b64 v[64:65], v65 offset:23040
	s_wait_dscnt 0x1
	v_add_nc_u32_e32 v66, v66, v77
	s_wait_dscnt 0x0
	global_store_b64 v66, v[64:65], s[44:45] scale_offset
	s_wait_xcnt 0x0
	s_or_b32 exec_lo, exec_lo, s17
	s_and_saveexec_b32 s17, s28
	s_cbranch_execz .LBB1320_250
.LBB1320_318:                           ;   in Loop: Header=BB1320_100 Depth=2
	v_lshlrev_b32_e32 v64, 2, v124
	v_add_nc_u32_e32 v65, v92, v4
	ds_load_b32 v66, v64
	ds_load_b64 v[64:65], v65 offset:25088
	s_wait_dscnt 0x1
	v_add_nc_u32_e32 v66, v66, v78
	s_wait_dscnt 0x0
	global_store_b64 v66, v[64:65], s[44:45] scale_offset
	s_wait_xcnt 0x0
	s_or_b32 exec_lo, exec_lo, s17
	s_and_saveexec_b32 s17, s29
	s_cbranch_execz .LBB1320_251
.LBB1320_319:                           ;   in Loop: Header=BB1320_100 Depth=2
	v_dual_lshlrev_b32 v64, 2, v123 :: v_dual_add_nc_u32 v65, v92, v4
	ds_load_b32 v66, v64
	ds_load_b64 v[64:65], v65 offset:27136
	s_wait_dscnt 0x1
	v_add_nc_u32_e32 v66, v66, v79
	s_wait_dscnt 0x0
	global_store_b64 v66, v[64:65], s[44:45] scale_offset
	s_wait_xcnt 0x0
	s_or_b32 exec_lo, exec_lo, s17
	s_and_saveexec_b32 s17, s30
	s_cbranch_execz .LBB1320_252
.LBB1320_320:                           ;   in Loop: Header=BB1320_100 Depth=2
	v_dual_lshlrev_b32 v64, 2, v122 :: v_dual_add_nc_u32 v65, v92, v4
	ds_load_b32 v66, v64
	ds_load_b64 v[64:65], v65 offset:29184
	s_wait_dscnt 0x1
	v_add_nc_u32_e32 v66, v66, v80
	s_wait_dscnt 0x0
	global_store_b64 v66, v[64:65], s[44:45] scale_offset
	s_wait_xcnt 0x0
	s_or_b32 exec_lo, exec_lo, s17
	s_and_saveexec_b32 s17, s31
	s_cbranch_execz .LBB1320_253
.LBB1320_321:                           ;   in Loop: Header=BB1320_100 Depth=2
	v_dual_lshlrev_b32 v64, 2, v121 :: v_dual_add_nc_u32 v65, v92, v4
	ds_load_b32 v66, v64
	ds_load_b64 v[64:65], v65 offset:31232
	s_wait_dscnt 0x1
	v_add_nc_u32_e32 v66, v66, v81
	s_wait_dscnt 0x0
	global_store_b64 v66, v[64:65], s[44:45] scale_offset
	s_wait_xcnt 0x0
	s_or_b32 exec_lo, exec_lo, s17
	s_and_saveexec_b32 s17, s33
	s_cbranch_execnz .LBB1320_254
	s_branch .LBB1320_255
.LBB1320_322:                           ;   in Loop: Header=BB1320_12 Depth=1
	s_wait_dscnt 0x0
	s_barrier_signal -1
	s_mov_b32 s9, 0
	s_barrier_wait -1
.LBB1320_323:                           ;   in Loop: Header=BB1320_12 Depth=1
	s_and_b32 vcc_lo, exec_lo, s9
	s_cbranch_vccz .LBB1320_633
; %bb.324:                              ;   in Loop: Header=BB1320_12 Depth=1
	s_mov_b32 s9, s57
	s_mov_b32 s42, s55
	s_barrier_signal -1
	s_barrier_wait -1
                                        ; implicit-def: $vgpr25
                                        ; implicit-def: $vgpr26
                                        ; implicit-def: $vgpr27
                                        ; implicit-def: $vgpr28
                                        ; implicit-def: $vgpr29
                                        ; implicit-def: $vgpr30
                                        ; implicit-def: $vgpr31
                                        ; implicit-def: $vgpr32
                                        ; implicit-def: $vgpr33
                                        ; implicit-def: $vgpr34
                                        ; implicit-def: $vgpr35
                                        ; implicit-def: $vgpr36
                                        ; implicit-def: $vgpr37
                                        ; implicit-def: $vgpr38
                                        ; implicit-def: $vgpr39
                                        ; implicit-def: $vgpr40
                                        ; implicit-def: $vgpr41
	s_branch .LBB1320_326
.LBB1320_325:                           ;   in Loop: Header=BB1320_326 Depth=2
	s_or_b32 exec_lo, exec_lo, s10
	s_addk_co_i32 s9, 0xef00
	s_cmp_ge_u32 s12, s54
	s_mov_b32 s42, s12
	s_cbranch_scc1 .LBB1320_398
.LBB1320_326:                           ;   Parent Loop BB1320_12 Depth=1
                                        ; =>  This Inner Loop Header: Depth=2
	s_add_co_i32 s12, s42, 0x1100
	s_mov_b32 s10, -1
	s_cmp_gt_u32 s12, s54
                                        ; implicit-def: $vgpr42
                                        ; implicit-def: $vgpr43
                                        ; implicit-def: $vgpr44
                                        ; implicit-def: $vgpr45
                                        ; implicit-def: $vgpr46
                                        ; implicit-def: $vgpr47
                                        ; implicit-def: $vgpr48
                                        ; implicit-def: $vgpr49
                                        ; implicit-def: $vgpr50
                                        ; implicit-def: $vgpr51
                                        ; implicit-def: $vgpr52
                                        ; implicit-def: $vgpr53
                                        ; implicit-def: $vgpr54
                                        ; implicit-def: $vgpr55
                                        ; implicit-def: $vgpr56
                                        ; implicit-def: $vgpr57
                                        ; implicit-def: $vgpr58
	s_cbranch_scc1 .LBB1320_328
; %bb.327:                              ;   in Loop: Header=BB1320_326 Depth=2
	v_lshl_add_u64 v[60:61], s[42:43], 2, v[20:21]
	s_mov_b32 s10, 0
	s_clause 0x10
	global_load_b32 v42, v[60:61], off
	global_load_b32 v43, v[60:61], off offset:1024
	global_load_b32 v44, v[60:61], off offset:2048
	;; [unrolled: 1-line block ×16, first 2 shown]
.LBB1320_328:                           ;   in Loop: Header=BB1320_326 Depth=2
	s_and_not1_b32 vcc_lo, exec_lo, s10
	s_movk_i32 s10, 0x1100
	s_cbranch_vccnz .LBB1320_348
; %bb.329:                              ;   in Loop: Header=BB1320_326 Depth=2
	s_lshl_b64 s[10:11], s[42:43], 2
	s_mov_b32 s13, exec_lo
	s_add_nc_u64 s[10:11], s[38:39], s[10:11]
	s_wait_xcnt 0x0
	v_cmpx_gt_u32_e64 s9, v2
	s_cbranch_execnz .LBB1320_382
; %bb.330:                              ;   in Loop: Header=BB1320_326 Depth=2
	s_or_b32 exec_lo, exec_lo, s13
	s_delay_alu instid0(SALU_CYCLE_1)
	s_mov_b32 s13, exec_lo
	v_cmpx_gt_u32_e64 s9, v3
	s_cbranch_execnz .LBB1320_383
.LBB1320_331:                           ;   in Loop: Header=BB1320_326 Depth=2
	s_or_b32 exec_lo, exec_lo, s13
	s_delay_alu instid0(SALU_CYCLE_1)
	s_mov_b32 s13, exec_lo
	v_cmpx_gt_u32_e64 s9, v68
	s_cbranch_execnz .LBB1320_384
.LBB1320_332:                           ;   in Loop: Header=BB1320_326 Depth=2
	s_or_b32 exec_lo, exec_lo, s13
	s_delay_alu instid0(SALU_CYCLE_1)
	s_mov_b32 s13, exec_lo
	v_cmpx_gt_u32_e64 s9, v69
	s_cbranch_execnz .LBB1320_385
.LBB1320_333:                           ;   in Loop: Header=BB1320_326 Depth=2
	s_or_b32 exec_lo, exec_lo, s13
	s_delay_alu instid0(SALU_CYCLE_1)
	s_mov_b32 s13, exec_lo
	v_cmpx_gt_u32_e64 s9, v70
	s_cbranch_execnz .LBB1320_386
.LBB1320_334:                           ;   in Loop: Header=BB1320_326 Depth=2
	s_or_b32 exec_lo, exec_lo, s13
	s_delay_alu instid0(SALU_CYCLE_1)
	s_mov_b32 s13, exec_lo
	v_cmpx_gt_u32_e64 s9, v71
	s_cbranch_execnz .LBB1320_387
.LBB1320_335:                           ;   in Loop: Header=BB1320_326 Depth=2
	s_or_b32 exec_lo, exec_lo, s13
	s_delay_alu instid0(SALU_CYCLE_1)
	s_mov_b32 s13, exec_lo
	v_cmpx_gt_u32_e64 s9, v72
	s_cbranch_execnz .LBB1320_388
.LBB1320_336:                           ;   in Loop: Header=BB1320_326 Depth=2
	s_or_b32 exec_lo, exec_lo, s13
	s_delay_alu instid0(SALU_CYCLE_1)
	s_mov_b32 s13, exec_lo
	v_cmpx_gt_u32_e64 s9, v73
	s_cbranch_execnz .LBB1320_389
.LBB1320_337:                           ;   in Loop: Header=BB1320_326 Depth=2
	s_or_b32 exec_lo, exec_lo, s13
	s_delay_alu instid0(SALU_CYCLE_1)
	s_mov_b32 s13, exec_lo
	v_cmpx_gt_u32_e64 s9, v74
	s_cbranch_execnz .LBB1320_390
.LBB1320_338:                           ;   in Loop: Header=BB1320_326 Depth=2
	s_or_b32 exec_lo, exec_lo, s13
	s_delay_alu instid0(SALU_CYCLE_1)
	s_mov_b32 s13, exec_lo
	v_cmpx_gt_u32_e64 s9, v75
	s_cbranch_execnz .LBB1320_391
.LBB1320_339:                           ;   in Loop: Header=BB1320_326 Depth=2
	s_or_b32 exec_lo, exec_lo, s13
	s_delay_alu instid0(SALU_CYCLE_1)
	s_mov_b32 s13, exec_lo
	v_cmpx_gt_u32_e64 s9, v76
	s_cbranch_execnz .LBB1320_392
.LBB1320_340:                           ;   in Loop: Header=BB1320_326 Depth=2
	s_or_b32 exec_lo, exec_lo, s13
	s_delay_alu instid0(SALU_CYCLE_1)
	s_mov_b32 s13, exec_lo
	v_cmpx_gt_u32_e64 s9, v77
	s_cbranch_execnz .LBB1320_393
.LBB1320_341:                           ;   in Loop: Header=BB1320_326 Depth=2
	s_or_b32 exec_lo, exec_lo, s13
	s_delay_alu instid0(SALU_CYCLE_1)
	s_mov_b32 s13, exec_lo
	v_cmpx_gt_u32_e64 s9, v78
	s_cbranch_execnz .LBB1320_394
.LBB1320_342:                           ;   in Loop: Header=BB1320_326 Depth=2
	s_or_b32 exec_lo, exec_lo, s13
	s_delay_alu instid0(SALU_CYCLE_1)
	s_mov_b32 s13, exec_lo
	v_cmpx_gt_u32_e64 s9, v79
	s_cbranch_execnz .LBB1320_395
.LBB1320_343:                           ;   in Loop: Header=BB1320_326 Depth=2
	s_or_b32 exec_lo, exec_lo, s13
	s_delay_alu instid0(SALU_CYCLE_1)
	s_mov_b32 s13, exec_lo
	v_cmpx_gt_u32_e64 s9, v80
	s_cbranch_execnz .LBB1320_396
.LBB1320_344:                           ;   in Loop: Header=BB1320_326 Depth=2
	s_or_b32 exec_lo, exec_lo, s13
	s_delay_alu instid0(SALU_CYCLE_1)
	s_mov_b32 s13, exec_lo
	v_cmpx_gt_u32_e64 s9, v81
	s_cbranch_execnz .LBB1320_397
.LBB1320_345:                           ;   in Loop: Header=BB1320_326 Depth=2
	s_or_b32 exec_lo, exec_lo, s13
	s_delay_alu instid0(SALU_CYCLE_1)
	s_mov_b32 s13, exec_lo
	v_cmpx_gt_u32_e64 s9, v82
	s_cbranch_execz .LBB1320_347
.LBB1320_346:                           ;   in Loop: Header=BB1320_326 Depth=2
	global_load_b32 v25, v2, s[10:11] offset:16384 scale_offset
.LBB1320_347:                           ;   in Loop: Header=BB1320_326 Depth=2
	s_wait_xcnt 0x0
	s_or_b32 exec_lo, exec_lo, s13
	s_wait_loadcnt 0x0
	v_dual_mov_b32 v42, v41 :: v_dual_mov_b32 v43, v40
	v_dual_mov_b32 v44, v39 :: v_dual_mov_b32 v45, v38
	;; [unrolled: 1-line block ×8, first 2 shown]
	v_mov_b32_e32 v58, v25
	s_mov_b32 s10, s9
.LBB1320_348:                           ;   in Loop: Header=BB1320_326 Depth=2
	s_wait_loadcnt 0x0
	s_delay_alu instid0(VALU_DEP_1)
	v_dual_mov_b32 v25, v58 :: v_dual_mov_b32 v26, v57
	v_dual_mov_b32 v27, v56 :: v_dual_mov_b32 v28, v55
	;; [unrolled: 1-line block ×8, first 2 shown]
	v_mov_b32_e32 v41, v42
	s_mov_b32 s11, exec_lo
	s_wait_xcnt 0x0
	v_cmpx_gt_u32_e64 s10, v2
	s_cbranch_execnz .LBB1320_365
; %bb.349:                              ;   in Loop: Header=BB1320_326 Depth=2
	s_or_b32 exec_lo, exec_lo, s11
	s_delay_alu instid0(SALU_CYCLE_1)
	s_mov_b32 s11, exec_lo
	v_cmpx_gt_u32_e64 s10, v3
	s_cbranch_execnz .LBB1320_366
.LBB1320_350:                           ;   in Loop: Header=BB1320_326 Depth=2
	s_or_b32 exec_lo, exec_lo, s11
	s_delay_alu instid0(SALU_CYCLE_1)
	s_mov_b32 s11, exec_lo
	v_cmpx_gt_u32_e64 s10, v68
	s_cbranch_execnz .LBB1320_367
.LBB1320_351:                           ;   in Loop: Header=BB1320_326 Depth=2
	s_or_b32 exec_lo, exec_lo, s11
	s_delay_alu instid0(SALU_CYCLE_1)
	s_mov_b32 s11, exec_lo
	v_cmpx_gt_u32_e64 s10, v69
	s_cbranch_execnz .LBB1320_368
.LBB1320_352:                           ;   in Loop: Header=BB1320_326 Depth=2
	s_or_b32 exec_lo, exec_lo, s11
	s_delay_alu instid0(SALU_CYCLE_1)
	s_mov_b32 s11, exec_lo
	v_cmpx_gt_u32_e64 s10, v70
	s_cbranch_execnz .LBB1320_369
.LBB1320_353:                           ;   in Loop: Header=BB1320_326 Depth=2
	s_or_b32 exec_lo, exec_lo, s11
	s_delay_alu instid0(SALU_CYCLE_1)
	s_mov_b32 s11, exec_lo
	v_cmpx_gt_u32_e64 s10, v71
	s_cbranch_execnz .LBB1320_370
.LBB1320_354:                           ;   in Loop: Header=BB1320_326 Depth=2
	s_or_b32 exec_lo, exec_lo, s11
	s_delay_alu instid0(SALU_CYCLE_1)
	s_mov_b32 s11, exec_lo
	v_cmpx_gt_u32_e64 s10, v72
	s_cbranch_execnz .LBB1320_371
.LBB1320_355:                           ;   in Loop: Header=BB1320_326 Depth=2
	s_or_b32 exec_lo, exec_lo, s11
	s_delay_alu instid0(SALU_CYCLE_1)
	s_mov_b32 s11, exec_lo
	v_cmpx_gt_u32_e64 s10, v73
	s_cbranch_execnz .LBB1320_372
.LBB1320_356:                           ;   in Loop: Header=BB1320_326 Depth=2
	s_or_b32 exec_lo, exec_lo, s11
	s_delay_alu instid0(SALU_CYCLE_1)
	s_mov_b32 s11, exec_lo
	v_cmpx_gt_u32_e64 s10, v74
	s_cbranch_execnz .LBB1320_373
.LBB1320_357:                           ;   in Loop: Header=BB1320_326 Depth=2
	s_or_b32 exec_lo, exec_lo, s11
	s_delay_alu instid0(SALU_CYCLE_1)
	s_mov_b32 s11, exec_lo
	v_cmpx_gt_u32_e64 s10, v75
	s_cbranch_execnz .LBB1320_374
.LBB1320_358:                           ;   in Loop: Header=BB1320_326 Depth=2
	s_or_b32 exec_lo, exec_lo, s11
	s_delay_alu instid0(SALU_CYCLE_1)
	s_mov_b32 s11, exec_lo
	v_cmpx_gt_u32_e64 s10, v76
	s_cbranch_execnz .LBB1320_375
.LBB1320_359:                           ;   in Loop: Header=BB1320_326 Depth=2
	s_or_b32 exec_lo, exec_lo, s11
	s_delay_alu instid0(SALU_CYCLE_1)
	s_mov_b32 s11, exec_lo
	v_cmpx_gt_u32_e64 s10, v77
	s_cbranch_execnz .LBB1320_376
.LBB1320_360:                           ;   in Loop: Header=BB1320_326 Depth=2
	s_or_b32 exec_lo, exec_lo, s11
	s_delay_alu instid0(SALU_CYCLE_1)
	s_mov_b32 s11, exec_lo
	v_cmpx_gt_u32_e64 s10, v78
	s_cbranch_execnz .LBB1320_377
.LBB1320_361:                           ;   in Loop: Header=BB1320_326 Depth=2
	s_or_b32 exec_lo, exec_lo, s11
	s_delay_alu instid0(SALU_CYCLE_1)
	s_mov_b32 s11, exec_lo
	v_cmpx_gt_u32_e64 s10, v79
	s_cbranch_execnz .LBB1320_378
.LBB1320_362:                           ;   in Loop: Header=BB1320_326 Depth=2
	s_or_b32 exec_lo, exec_lo, s11
	s_delay_alu instid0(SALU_CYCLE_1)
	s_mov_b32 s11, exec_lo
	v_cmpx_gt_u32_e64 s10, v80
	s_cbranch_execnz .LBB1320_379
.LBB1320_363:                           ;   in Loop: Header=BB1320_326 Depth=2
	s_or_b32 exec_lo, exec_lo, s11
	s_delay_alu instid0(SALU_CYCLE_1)
	s_mov_b32 s11, exec_lo
	v_cmpx_gt_u32_e64 s10, v81
	s_cbranch_execnz .LBB1320_380
.LBB1320_364:                           ;   in Loop: Header=BB1320_326 Depth=2
	s_or_b32 exec_lo, exec_lo, s11
	v_cmp_gt_u32_e32 vcc_lo, s10, v82
	s_and_saveexec_b32 s10, vcc_lo
	s_cbranch_execz .LBB1320_325
	s_branch .LBB1320_381
.LBB1320_365:                           ;   in Loop: Header=BB1320_326 Depth=2
	v_cmp_gt_i32_e32 vcc_lo, 0, v41
	v_cndmask_b32_e64 v42, 0x7fffffff, 0, vcc_lo
	s_delay_alu instid0(VALU_DEP_1) | instskip(NEXT) | instid1(VALU_DEP_1)
	v_xor_b32_e32 v42, v42, v41
	v_cmp_ne_u32_e32 vcc_lo, 0x80000000, v42
	v_cndmask_b32_e32 v42, 0x7fffffff, v42, vcc_lo
	s_delay_alu instid0(VALU_DEP_1) | instskip(NEXT) | instid1(VALU_DEP_1)
	v_lshrrev_b32_e32 v42, s48, v42
	v_and_b32_e32 v42, s58, v42
	s_delay_alu instid0(VALU_DEP_1) | instskip(SKIP_2) | instid1(SALU_CYCLE_1)
	v_lshl_or_b32 v42, v42, 4, v84
	ds_add_u32 v42, v96
	s_or_b32 exec_lo, exec_lo, s11
	s_mov_b32 s11, exec_lo
	v_cmpx_gt_u32_e64 s10, v3
	s_cbranch_execz .LBB1320_350
.LBB1320_366:                           ;   in Loop: Header=BB1320_326 Depth=2
	v_cmp_gt_i32_e32 vcc_lo, 0, v40
	v_cndmask_b32_e64 v42, 0x7fffffff, 0, vcc_lo
	s_delay_alu instid0(VALU_DEP_1) | instskip(NEXT) | instid1(VALU_DEP_1)
	v_xor_b32_e32 v42, v42, v40
	v_cmp_ne_u32_e32 vcc_lo, 0x80000000, v42
	v_cndmask_b32_e32 v42, 0x7fffffff, v42, vcc_lo
	s_delay_alu instid0(VALU_DEP_1) | instskip(NEXT) | instid1(VALU_DEP_1)
	v_lshrrev_b32_e32 v42, s48, v42
	v_and_b32_e32 v42, s58, v42
	s_delay_alu instid0(VALU_DEP_1) | instskip(SKIP_2) | instid1(SALU_CYCLE_1)
	v_lshl_or_b32 v42, v42, 4, v84
	ds_add_u32 v42, v96
	s_or_b32 exec_lo, exec_lo, s11
	s_mov_b32 s11, exec_lo
	v_cmpx_gt_u32_e64 s10, v68
	s_cbranch_execz .LBB1320_351
.LBB1320_367:                           ;   in Loop: Header=BB1320_326 Depth=2
	v_cmp_gt_i32_e32 vcc_lo, 0, v39
	v_cndmask_b32_e64 v42, 0x7fffffff, 0, vcc_lo
	s_delay_alu instid0(VALU_DEP_1) | instskip(NEXT) | instid1(VALU_DEP_1)
	v_xor_b32_e32 v42, v42, v39
	v_cmp_ne_u32_e32 vcc_lo, 0x80000000, v42
	v_cndmask_b32_e32 v42, 0x7fffffff, v42, vcc_lo
	s_delay_alu instid0(VALU_DEP_1) | instskip(NEXT) | instid1(VALU_DEP_1)
	v_lshrrev_b32_e32 v42, s48, v42
	v_and_b32_e32 v42, s58, v42
	s_delay_alu instid0(VALU_DEP_1) | instskip(SKIP_2) | instid1(SALU_CYCLE_1)
	v_lshl_or_b32 v42, v42, 4, v84
	ds_add_u32 v42, v96
	s_or_b32 exec_lo, exec_lo, s11
	s_mov_b32 s11, exec_lo
	v_cmpx_gt_u32_e64 s10, v69
	s_cbranch_execz .LBB1320_352
.LBB1320_368:                           ;   in Loop: Header=BB1320_326 Depth=2
	v_cmp_gt_i32_e32 vcc_lo, 0, v38
	v_cndmask_b32_e64 v42, 0x7fffffff, 0, vcc_lo
	s_delay_alu instid0(VALU_DEP_1) | instskip(NEXT) | instid1(VALU_DEP_1)
	v_xor_b32_e32 v42, v42, v38
	v_cmp_ne_u32_e32 vcc_lo, 0x80000000, v42
	v_cndmask_b32_e32 v42, 0x7fffffff, v42, vcc_lo
	s_delay_alu instid0(VALU_DEP_1) | instskip(NEXT) | instid1(VALU_DEP_1)
	v_lshrrev_b32_e32 v42, s48, v42
	v_and_b32_e32 v42, s58, v42
	s_delay_alu instid0(VALU_DEP_1) | instskip(SKIP_2) | instid1(SALU_CYCLE_1)
	v_lshl_or_b32 v42, v42, 4, v84
	ds_add_u32 v42, v96
	s_or_b32 exec_lo, exec_lo, s11
	s_mov_b32 s11, exec_lo
	v_cmpx_gt_u32_e64 s10, v70
	s_cbranch_execz .LBB1320_353
.LBB1320_369:                           ;   in Loop: Header=BB1320_326 Depth=2
	v_cmp_gt_i32_e32 vcc_lo, 0, v37
	v_cndmask_b32_e64 v42, 0x7fffffff, 0, vcc_lo
	s_delay_alu instid0(VALU_DEP_1) | instskip(NEXT) | instid1(VALU_DEP_1)
	v_xor_b32_e32 v42, v42, v37
	v_cmp_ne_u32_e32 vcc_lo, 0x80000000, v42
	v_cndmask_b32_e32 v42, 0x7fffffff, v42, vcc_lo
	s_delay_alu instid0(VALU_DEP_1) | instskip(NEXT) | instid1(VALU_DEP_1)
	v_lshrrev_b32_e32 v42, s48, v42
	v_and_b32_e32 v42, s58, v42
	s_delay_alu instid0(VALU_DEP_1) | instskip(SKIP_2) | instid1(SALU_CYCLE_1)
	v_lshl_or_b32 v42, v42, 4, v84
	ds_add_u32 v42, v96
	s_or_b32 exec_lo, exec_lo, s11
	s_mov_b32 s11, exec_lo
	v_cmpx_gt_u32_e64 s10, v71
	s_cbranch_execz .LBB1320_354
.LBB1320_370:                           ;   in Loop: Header=BB1320_326 Depth=2
	v_cmp_gt_i32_e32 vcc_lo, 0, v36
	v_cndmask_b32_e64 v42, 0x7fffffff, 0, vcc_lo
	s_delay_alu instid0(VALU_DEP_1) | instskip(NEXT) | instid1(VALU_DEP_1)
	v_xor_b32_e32 v42, v42, v36
	v_cmp_ne_u32_e32 vcc_lo, 0x80000000, v42
	v_cndmask_b32_e32 v42, 0x7fffffff, v42, vcc_lo
	s_delay_alu instid0(VALU_DEP_1) | instskip(NEXT) | instid1(VALU_DEP_1)
	v_lshrrev_b32_e32 v42, s48, v42
	v_and_b32_e32 v42, s58, v42
	s_delay_alu instid0(VALU_DEP_1) | instskip(SKIP_2) | instid1(SALU_CYCLE_1)
	v_lshl_or_b32 v42, v42, 4, v84
	ds_add_u32 v42, v96
	s_or_b32 exec_lo, exec_lo, s11
	s_mov_b32 s11, exec_lo
	v_cmpx_gt_u32_e64 s10, v72
	s_cbranch_execz .LBB1320_355
.LBB1320_371:                           ;   in Loop: Header=BB1320_326 Depth=2
	v_cmp_gt_i32_e32 vcc_lo, 0, v35
	v_cndmask_b32_e64 v42, 0x7fffffff, 0, vcc_lo
	s_delay_alu instid0(VALU_DEP_1) | instskip(NEXT) | instid1(VALU_DEP_1)
	v_xor_b32_e32 v42, v42, v35
	v_cmp_ne_u32_e32 vcc_lo, 0x80000000, v42
	v_cndmask_b32_e32 v42, 0x7fffffff, v42, vcc_lo
	s_delay_alu instid0(VALU_DEP_1) | instskip(NEXT) | instid1(VALU_DEP_1)
	v_lshrrev_b32_e32 v42, s48, v42
	v_and_b32_e32 v42, s58, v42
	s_delay_alu instid0(VALU_DEP_1) | instskip(SKIP_2) | instid1(SALU_CYCLE_1)
	v_lshl_or_b32 v42, v42, 4, v84
	ds_add_u32 v42, v96
	s_or_b32 exec_lo, exec_lo, s11
	s_mov_b32 s11, exec_lo
	v_cmpx_gt_u32_e64 s10, v73
	s_cbranch_execz .LBB1320_356
.LBB1320_372:                           ;   in Loop: Header=BB1320_326 Depth=2
	v_cmp_gt_i32_e32 vcc_lo, 0, v34
	v_cndmask_b32_e64 v42, 0x7fffffff, 0, vcc_lo
	s_delay_alu instid0(VALU_DEP_1) | instskip(NEXT) | instid1(VALU_DEP_1)
	v_xor_b32_e32 v42, v42, v34
	v_cmp_ne_u32_e32 vcc_lo, 0x80000000, v42
	v_cndmask_b32_e32 v42, 0x7fffffff, v42, vcc_lo
	s_delay_alu instid0(VALU_DEP_1) | instskip(NEXT) | instid1(VALU_DEP_1)
	v_lshrrev_b32_e32 v42, s48, v42
	v_and_b32_e32 v42, s58, v42
	s_delay_alu instid0(VALU_DEP_1) | instskip(SKIP_2) | instid1(SALU_CYCLE_1)
	v_lshl_or_b32 v42, v42, 4, v84
	ds_add_u32 v42, v96
	s_or_b32 exec_lo, exec_lo, s11
	s_mov_b32 s11, exec_lo
	v_cmpx_gt_u32_e64 s10, v74
	s_cbranch_execz .LBB1320_357
.LBB1320_373:                           ;   in Loop: Header=BB1320_326 Depth=2
	v_cmp_gt_i32_e32 vcc_lo, 0, v33
	v_cndmask_b32_e64 v42, 0x7fffffff, 0, vcc_lo
	s_delay_alu instid0(VALU_DEP_1) | instskip(NEXT) | instid1(VALU_DEP_1)
	v_xor_b32_e32 v42, v42, v33
	v_cmp_ne_u32_e32 vcc_lo, 0x80000000, v42
	v_cndmask_b32_e32 v42, 0x7fffffff, v42, vcc_lo
	s_delay_alu instid0(VALU_DEP_1) | instskip(NEXT) | instid1(VALU_DEP_1)
	v_lshrrev_b32_e32 v42, s48, v42
	v_and_b32_e32 v42, s58, v42
	s_delay_alu instid0(VALU_DEP_1) | instskip(SKIP_2) | instid1(SALU_CYCLE_1)
	v_lshl_or_b32 v42, v42, 4, v84
	ds_add_u32 v42, v96
	s_or_b32 exec_lo, exec_lo, s11
	s_mov_b32 s11, exec_lo
	v_cmpx_gt_u32_e64 s10, v75
	s_cbranch_execz .LBB1320_358
.LBB1320_374:                           ;   in Loop: Header=BB1320_326 Depth=2
	v_cmp_gt_i32_e32 vcc_lo, 0, v32
	v_cndmask_b32_e64 v42, 0x7fffffff, 0, vcc_lo
	s_delay_alu instid0(VALU_DEP_1) | instskip(NEXT) | instid1(VALU_DEP_1)
	v_xor_b32_e32 v42, v42, v32
	v_cmp_ne_u32_e32 vcc_lo, 0x80000000, v42
	v_cndmask_b32_e32 v42, 0x7fffffff, v42, vcc_lo
	s_delay_alu instid0(VALU_DEP_1) | instskip(NEXT) | instid1(VALU_DEP_1)
	v_lshrrev_b32_e32 v42, s48, v42
	v_and_b32_e32 v42, s58, v42
	s_delay_alu instid0(VALU_DEP_1) | instskip(SKIP_2) | instid1(SALU_CYCLE_1)
	v_lshl_or_b32 v42, v42, 4, v84
	ds_add_u32 v42, v96
	s_or_b32 exec_lo, exec_lo, s11
	s_mov_b32 s11, exec_lo
	v_cmpx_gt_u32_e64 s10, v76
	s_cbranch_execz .LBB1320_359
.LBB1320_375:                           ;   in Loop: Header=BB1320_326 Depth=2
	v_cmp_gt_i32_e32 vcc_lo, 0, v31
	v_cndmask_b32_e64 v42, 0x7fffffff, 0, vcc_lo
	s_delay_alu instid0(VALU_DEP_1) | instskip(NEXT) | instid1(VALU_DEP_1)
	v_xor_b32_e32 v42, v42, v31
	v_cmp_ne_u32_e32 vcc_lo, 0x80000000, v42
	v_cndmask_b32_e32 v42, 0x7fffffff, v42, vcc_lo
	s_delay_alu instid0(VALU_DEP_1) | instskip(NEXT) | instid1(VALU_DEP_1)
	v_lshrrev_b32_e32 v42, s48, v42
	v_and_b32_e32 v42, s58, v42
	s_delay_alu instid0(VALU_DEP_1) | instskip(SKIP_2) | instid1(SALU_CYCLE_1)
	v_lshl_or_b32 v42, v42, 4, v84
	ds_add_u32 v42, v96
	s_or_b32 exec_lo, exec_lo, s11
	s_mov_b32 s11, exec_lo
	v_cmpx_gt_u32_e64 s10, v77
	s_cbranch_execz .LBB1320_360
.LBB1320_376:                           ;   in Loop: Header=BB1320_326 Depth=2
	v_cmp_gt_i32_e32 vcc_lo, 0, v30
	v_cndmask_b32_e64 v42, 0x7fffffff, 0, vcc_lo
	s_delay_alu instid0(VALU_DEP_1) | instskip(NEXT) | instid1(VALU_DEP_1)
	v_xor_b32_e32 v42, v42, v30
	v_cmp_ne_u32_e32 vcc_lo, 0x80000000, v42
	v_cndmask_b32_e32 v42, 0x7fffffff, v42, vcc_lo
	s_delay_alu instid0(VALU_DEP_1) | instskip(NEXT) | instid1(VALU_DEP_1)
	v_lshrrev_b32_e32 v42, s48, v42
	v_and_b32_e32 v42, s58, v42
	s_delay_alu instid0(VALU_DEP_1) | instskip(SKIP_2) | instid1(SALU_CYCLE_1)
	v_lshl_or_b32 v42, v42, 4, v84
	ds_add_u32 v42, v96
	s_or_b32 exec_lo, exec_lo, s11
	s_mov_b32 s11, exec_lo
	v_cmpx_gt_u32_e64 s10, v78
	s_cbranch_execz .LBB1320_361
.LBB1320_377:                           ;   in Loop: Header=BB1320_326 Depth=2
	v_cmp_gt_i32_e32 vcc_lo, 0, v29
	v_cndmask_b32_e64 v42, 0x7fffffff, 0, vcc_lo
	s_delay_alu instid0(VALU_DEP_1) | instskip(NEXT) | instid1(VALU_DEP_1)
	v_xor_b32_e32 v42, v42, v29
	v_cmp_ne_u32_e32 vcc_lo, 0x80000000, v42
	v_cndmask_b32_e32 v42, 0x7fffffff, v42, vcc_lo
	s_delay_alu instid0(VALU_DEP_1) | instskip(NEXT) | instid1(VALU_DEP_1)
	v_lshrrev_b32_e32 v42, s48, v42
	v_and_b32_e32 v42, s58, v42
	s_delay_alu instid0(VALU_DEP_1) | instskip(SKIP_2) | instid1(SALU_CYCLE_1)
	v_lshl_or_b32 v42, v42, 4, v84
	ds_add_u32 v42, v96
	s_or_b32 exec_lo, exec_lo, s11
	s_mov_b32 s11, exec_lo
	v_cmpx_gt_u32_e64 s10, v79
	s_cbranch_execz .LBB1320_362
.LBB1320_378:                           ;   in Loop: Header=BB1320_326 Depth=2
	v_cmp_gt_i32_e32 vcc_lo, 0, v28
	v_cndmask_b32_e64 v42, 0x7fffffff, 0, vcc_lo
	s_delay_alu instid0(VALU_DEP_1) | instskip(NEXT) | instid1(VALU_DEP_1)
	v_xor_b32_e32 v42, v42, v28
	v_cmp_ne_u32_e32 vcc_lo, 0x80000000, v42
	v_cndmask_b32_e32 v42, 0x7fffffff, v42, vcc_lo
	s_delay_alu instid0(VALU_DEP_1) | instskip(NEXT) | instid1(VALU_DEP_1)
	v_lshrrev_b32_e32 v42, s48, v42
	v_and_b32_e32 v42, s58, v42
	s_delay_alu instid0(VALU_DEP_1) | instskip(SKIP_2) | instid1(SALU_CYCLE_1)
	v_lshl_or_b32 v42, v42, 4, v84
	ds_add_u32 v42, v96
	s_or_b32 exec_lo, exec_lo, s11
	s_mov_b32 s11, exec_lo
	v_cmpx_gt_u32_e64 s10, v80
	s_cbranch_execz .LBB1320_363
.LBB1320_379:                           ;   in Loop: Header=BB1320_326 Depth=2
	v_cmp_gt_i32_e32 vcc_lo, 0, v27
	v_cndmask_b32_e64 v42, 0x7fffffff, 0, vcc_lo
	s_delay_alu instid0(VALU_DEP_1) | instskip(NEXT) | instid1(VALU_DEP_1)
	v_xor_b32_e32 v42, v42, v27
	v_cmp_ne_u32_e32 vcc_lo, 0x80000000, v42
	v_cndmask_b32_e32 v42, 0x7fffffff, v42, vcc_lo
	s_delay_alu instid0(VALU_DEP_1) | instskip(NEXT) | instid1(VALU_DEP_1)
	v_lshrrev_b32_e32 v42, s48, v42
	v_and_b32_e32 v42, s58, v42
	s_delay_alu instid0(VALU_DEP_1) | instskip(SKIP_2) | instid1(SALU_CYCLE_1)
	v_lshl_or_b32 v42, v42, 4, v84
	ds_add_u32 v42, v96
	s_or_b32 exec_lo, exec_lo, s11
	s_mov_b32 s11, exec_lo
	v_cmpx_gt_u32_e64 s10, v81
	s_cbranch_execz .LBB1320_364
.LBB1320_380:                           ;   in Loop: Header=BB1320_326 Depth=2
	v_cmp_gt_i32_e32 vcc_lo, 0, v26
	v_cndmask_b32_e64 v42, 0x7fffffff, 0, vcc_lo
	s_delay_alu instid0(VALU_DEP_1) | instskip(NEXT) | instid1(VALU_DEP_1)
	v_xor_b32_e32 v42, v42, v26
	v_cmp_ne_u32_e32 vcc_lo, 0x80000000, v42
	v_cndmask_b32_e32 v42, 0x7fffffff, v42, vcc_lo
	s_delay_alu instid0(VALU_DEP_1) | instskip(NEXT) | instid1(VALU_DEP_1)
	v_lshrrev_b32_e32 v42, s48, v42
	v_and_b32_e32 v42, s58, v42
	s_delay_alu instid0(VALU_DEP_1)
	v_lshl_or_b32 v42, v42, 4, v84
	ds_add_u32 v42, v96
	s_or_b32 exec_lo, exec_lo, s11
	v_cmp_gt_u32_e32 vcc_lo, s10, v82
	s_and_saveexec_b32 s10, vcc_lo
	s_cbranch_execz .LBB1320_325
.LBB1320_381:                           ;   in Loop: Header=BB1320_326 Depth=2
	v_cmp_gt_i32_e32 vcc_lo, 0, v25
	v_cndmask_b32_e64 v42, 0x7fffffff, 0, vcc_lo
	s_delay_alu instid0(VALU_DEP_1) | instskip(NEXT) | instid1(VALU_DEP_1)
	v_xor_b32_e32 v42, v42, v25
	v_cmp_ne_u32_e32 vcc_lo, 0x80000000, v42
	v_cndmask_b32_e32 v42, 0x7fffffff, v42, vcc_lo
	s_delay_alu instid0(VALU_DEP_1) | instskip(NEXT) | instid1(VALU_DEP_1)
	v_lshrrev_b32_e32 v42, s48, v42
	v_and_b32_e32 v42, s58, v42
	s_delay_alu instid0(VALU_DEP_1)
	v_lshl_or_b32 v42, v42, 4, v84
	ds_add_u32 v42, v96
	s_branch .LBB1320_325
.LBB1320_382:                           ;   in Loop: Header=BB1320_326 Depth=2
	global_load_b32 v41, v2, s[10:11] scale_offset
	s_wait_xcnt 0x0
	s_or_b32 exec_lo, exec_lo, s13
	s_delay_alu instid0(SALU_CYCLE_1)
	s_mov_b32 s13, exec_lo
	v_cmpx_gt_u32_e64 s9, v3
	s_cbranch_execz .LBB1320_331
.LBB1320_383:                           ;   in Loop: Header=BB1320_326 Depth=2
	global_load_b32 v40, v2, s[10:11] offset:1024 scale_offset
	s_wait_xcnt 0x0
	s_or_b32 exec_lo, exec_lo, s13
	s_delay_alu instid0(SALU_CYCLE_1)
	s_mov_b32 s13, exec_lo
	v_cmpx_gt_u32_e64 s9, v68
	s_cbranch_execz .LBB1320_332
.LBB1320_384:                           ;   in Loop: Header=BB1320_326 Depth=2
	global_load_b32 v39, v2, s[10:11] offset:2048 scale_offset
	s_wait_xcnt 0x0
	s_or_b32 exec_lo, exec_lo, s13
	s_delay_alu instid0(SALU_CYCLE_1)
	s_mov_b32 s13, exec_lo
	v_cmpx_gt_u32_e64 s9, v69
	s_cbranch_execz .LBB1320_333
.LBB1320_385:                           ;   in Loop: Header=BB1320_326 Depth=2
	global_load_b32 v38, v2, s[10:11] offset:3072 scale_offset
	s_wait_xcnt 0x0
	s_or_b32 exec_lo, exec_lo, s13
	s_delay_alu instid0(SALU_CYCLE_1)
	s_mov_b32 s13, exec_lo
	v_cmpx_gt_u32_e64 s9, v70
	s_cbranch_execz .LBB1320_334
.LBB1320_386:                           ;   in Loop: Header=BB1320_326 Depth=2
	global_load_b32 v37, v2, s[10:11] offset:4096 scale_offset
	s_wait_xcnt 0x0
	s_or_b32 exec_lo, exec_lo, s13
	s_delay_alu instid0(SALU_CYCLE_1)
	s_mov_b32 s13, exec_lo
	v_cmpx_gt_u32_e64 s9, v71
	s_cbranch_execz .LBB1320_335
.LBB1320_387:                           ;   in Loop: Header=BB1320_326 Depth=2
	global_load_b32 v36, v2, s[10:11] offset:5120 scale_offset
	s_wait_xcnt 0x0
	s_or_b32 exec_lo, exec_lo, s13
	s_delay_alu instid0(SALU_CYCLE_1)
	s_mov_b32 s13, exec_lo
	v_cmpx_gt_u32_e64 s9, v72
	s_cbranch_execz .LBB1320_336
.LBB1320_388:                           ;   in Loop: Header=BB1320_326 Depth=2
	global_load_b32 v35, v2, s[10:11] offset:6144 scale_offset
	s_wait_xcnt 0x0
	s_or_b32 exec_lo, exec_lo, s13
	s_delay_alu instid0(SALU_CYCLE_1)
	s_mov_b32 s13, exec_lo
	v_cmpx_gt_u32_e64 s9, v73
	s_cbranch_execz .LBB1320_337
.LBB1320_389:                           ;   in Loop: Header=BB1320_326 Depth=2
	global_load_b32 v34, v2, s[10:11] offset:7168 scale_offset
	s_wait_xcnt 0x0
	s_or_b32 exec_lo, exec_lo, s13
	s_delay_alu instid0(SALU_CYCLE_1)
	s_mov_b32 s13, exec_lo
	v_cmpx_gt_u32_e64 s9, v74
	s_cbranch_execz .LBB1320_338
.LBB1320_390:                           ;   in Loop: Header=BB1320_326 Depth=2
	global_load_b32 v33, v2, s[10:11] offset:8192 scale_offset
	s_wait_xcnt 0x0
	s_or_b32 exec_lo, exec_lo, s13
	s_delay_alu instid0(SALU_CYCLE_1)
	s_mov_b32 s13, exec_lo
	v_cmpx_gt_u32_e64 s9, v75
	s_cbranch_execz .LBB1320_339
.LBB1320_391:                           ;   in Loop: Header=BB1320_326 Depth=2
	global_load_b32 v32, v2, s[10:11] offset:9216 scale_offset
	s_wait_xcnt 0x0
	s_or_b32 exec_lo, exec_lo, s13
	s_delay_alu instid0(SALU_CYCLE_1)
	s_mov_b32 s13, exec_lo
	v_cmpx_gt_u32_e64 s9, v76
	s_cbranch_execz .LBB1320_340
.LBB1320_392:                           ;   in Loop: Header=BB1320_326 Depth=2
	global_load_b32 v31, v2, s[10:11] offset:10240 scale_offset
	s_wait_xcnt 0x0
	s_or_b32 exec_lo, exec_lo, s13
	s_delay_alu instid0(SALU_CYCLE_1)
	s_mov_b32 s13, exec_lo
	v_cmpx_gt_u32_e64 s9, v77
	s_cbranch_execz .LBB1320_341
.LBB1320_393:                           ;   in Loop: Header=BB1320_326 Depth=2
	global_load_b32 v30, v2, s[10:11] offset:11264 scale_offset
	s_wait_xcnt 0x0
	s_or_b32 exec_lo, exec_lo, s13
	s_delay_alu instid0(SALU_CYCLE_1)
	s_mov_b32 s13, exec_lo
	v_cmpx_gt_u32_e64 s9, v78
	s_cbranch_execz .LBB1320_342
.LBB1320_394:                           ;   in Loop: Header=BB1320_326 Depth=2
	global_load_b32 v29, v2, s[10:11] offset:12288 scale_offset
	s_wait_xcnt 0x0
	s_or_b32 exec_lo, exec_lo, s13
	s_delay_alu instid0(SALU_CYCLE_1)
	s_mov_b32 s13, exec_lo
	v_cmpx_gt_u32_e64 s9, v79
	s_cbranch_execz .LBB1320_343
.LBB1320_395:                           ;   in Loop: Header=BB1320_326 Depth=2
	global_load_b32 v28, v2, s[10:11] offset:13312 scale_offset
	s_wait_xcnt 0x0
	s_or_b32 exec_lo, exec_lo, s13
	s_delay_alu instid0(SALU_CYCLE_1)
	s_mov_b32 s13, exec_lo
	v_cmpx_gt_u32_e64 s9, v80
	s_cbranch_execz .LBB1320_344
.LBB1320_396:                           ;   in Loop: Header=BB1320_326 Depth=2
	global_load_b32 v27, v2, s[10:11] offset:14336 scale_offset
	s_wait_xcnt 0x0
	s_or_b32 exec_lo, exec_lo, s13
	s_delay_alu instid0(SALU_CYCLE_1)
	s_mov_b32 s13, exec_lo
	v_cmpx_gt_u32_e64 s9, v81
	s_cbranch_execz .LBB1320_345
.LBB1320_397:                           ;   in Loop: Header=BB1320_326 Depth=2
	global_load_b32 v26, v2, s[10:11] offset:15360 scale_offset
	s_wait_xcnt 0x0
	s_or_b32 exec_lo, exec_lo, s13
	s_delay_alu instid0(SALU_CYCLE_1)
	s_mov_b32 s13, exec_lo
	v_cmpx_gt_u32_e64 s9, v82
	s_cbranch_execnz .LBB1320_346
	s_branch .LBB1320_347
.LBB1320_398:                           ;   in Loop: Header=BB1320_12 Depth=1
	v_mov_b32_e32 v25, 0
	s_wait_dscnt 0x0
	s_barrier_signal -1
	s_barrier_wait -1
	s_and_saveexec_b32 s9, s0
	s_cbranch_execz .LBB1320_400
; %bb.399:                              ;   in Loop: Header=BB1320_12 Depth=1
	ds_load_2addr_b64 v[26:29], v85 offset1:1
	s_wait_dscnt 0x0
	v_add_nc_u32_e32 v25, v27, v26
	s_delay_alu instid0(VALU_DEP_1)
	v_add3_u32 v25, v25, v28, v29
.LBB1320_400:                           ;   in Loop: Header=BB1320_12 Depth=1
	s_or_b32 exec_lo, exec_lo, s9
	s_delay_alu instid0(VALU_DEP_1)
	v_mov_b32_dpp v26, v25 row_shr:1 row_mask:0xf bank_mask:0xf
	v_cmp_eq_u32_e64 s9, 0, v97
	v_cmp_lt_u32_e64 s10, 1, v97
	v_cmp_lt_u32_e64 s11, 3, v97
	;; [unrolled: 1-line block ×3, first 2 shown]
	v_cmp_eq_u32_e64 s13, 0, v99
	v_cndmask_b32_e64 v26, v26, 0, s9
	s_delay_alu instid0(VALU_DEP_1) | instskip(NEXT) | instid1(VALU_DEP_1)
	v_add_nc_u32_e32 v25, v26, v25
	v_mov_b32_dpp v26, v25 row_shr:2 row_mask:0xf bank_mask:0xf
	s_delay_alu instid0(VALU_DEP_1) | instskip(NEXT) | instid1(VALU_DEP_1)
	v_cndmask_b32_e64 v26, 0, v26, s10
	v_add_nc_u32_e32 v25, v25, v26
	s_delay_alu instid0(VALU_DEP_1) | instskip(NEXT) | instid1(VALU_DEP_1)
	v_mov_b32_dpp v26, v25 row_shr:4 row_mask:0xf bank_mask:0xf
	v_cndmask_b32_e64 v26, 0, v26, s11
	s_delay_alu instid0(VALU_DEP_1) | instskip(NEXT) | instid1(VALU_DEP_1)
	v_add_nc_u32_e32 v25, v25, v26
	v_mov_b32_dpp v26, v25 row_shr:8 row_mask:0xf bank_mask:0xf
	s_delay_alu instid0(VALU_DEP_1) | instskip(NEXT) | instid1(VALU_DEP_1)
	v_cndmask_b32_e64 v26, 0, v26, s12
	v_add_nc_u32_e32 v25, v25, v26
	ds_swizzle_b32 v26, v25 offset:swizzle(BROADCAST,32,15)
	s_wait_dscnt 0x0
	v_and_b32_e32 v26, v98, v26
	s_delay_alu instid0(VALU_DEP_1)
	v_add_nc_u32_e32 v25, v25, v26
	s_and_saveexec_b32 s14, s1
; %bb.401:                              ;   in Loop: Header=BB1320_12 Depth=1
	ds_store_b32 v86, v25
; %bb.402:                              ;   in Loop: Header=BB1320_12 Depth=1
	s_or_b32 exec_lo, exec_lo, s14
	s_wait_dscnt 0x0
	s_barrier_signal -1
	s_barrier_wait -1
	s_and_saveexec_b32 s14, s4
	s_cbranch_execz .LBB1320_404
; %bb.403:                              ;   in Loop: Header=BB1320_12 Depth=1
	ds_load_b32 v26, v87
	v_cmp_ne_u32_e32 vcc_lo, 0, v100
	s_wait_dscnt 0x0
	v_mov_b32_dpp v27, v26 row_shr:1 row_mask:0xf bank_mask:0xf
	s_delay_alu instid0(VALU_DEP_1) | instskip(SKIP_1) | instid1(VALU_DEP_2)
	v_cndmask_b32_e32 v27, 0, v27, vcc_lo
	v_cmp_lt_u32_e32 vcc_lo, 1, v100
	v_add_nc_u32_e32 v26, v27, v26
	s_delay_alu instid0(VALU_DEP_1) | instskip(NEXT) | instid1(VALU_DEP_1)
	v_mov_b32_dpp v27, v26 row_shr:2 row_mask:0xf bank_mask:0xf
	v_cndmask_b32_e32 v27, 0, v27, vcc_lo
	s_delay_alu instid0(VALU_DEP_1)
	v_add_nc_u32_e32 v26, v26, v27
	ds_store_b32 v87, v26
.LBB1320_404:                           ;   in Loop: Header=BB1320_12 Depth=1
	s_or_b32 exec_lo, exec_lo, s14
	v_mov_b32_e32 v26, 0
	s_wait_dscnt 0x0
	s_barrier_signal -1
	s_barrier_wait -1
	s_and_saveexec_b32 s14, s5
; %bb.405:                              ;   in Loop: Header=BB1320_12 Depth=1
	ds_load_b32 v26, v88
; %bb.406:                              ;   in Loop: Header=BB1320_12 Depth=1
	s_or_b32 exec_lo, exec_lo, s14
	v_cmp_gt_i32_e32 vcc_lo, 0, v102
	s_wait_dscnt 0x0
	s_barrier_signal -1
	s_barrier_wait -1
	v_cndmask_b32_e32 v27, v102, v95, vcc_lo
	s_delay_alu instid0(VALU_DEP_1)
	v_dual_add_nc_u32 v25, v26, v25 :: v_dual_lshlrev_b32 v119, 2, v27
	ds_bpermute_b32 v25, v119, v25
	s_and_saveexec_b32 s14, s0
	s_cbranch_execz .LBB1320_408
; %bb.407:                              ;   in Loop: Header=BB1320_12 Depth=1
	s_wait_dscnt 0x0
	v_cndmask_b32_e64 v25, v25, v26, s8
	s_delay_alu instid0(VALU_DEP_1)
	v_add_nc_u32_e32 v25, s55, v25
	ds_store_b32 v4, v25
.LBB1320_408:                           ;   in Loop: Header=BB1320_12 Depth=1
	s_or_b32 exec_lo, exec_lo, s14
	s_load_b64 s[14:15], s[52:53], 0x0
	s_mov_b32 s59, s57
                                        ; implicit-def: $vgpr32_vgpr33
                                        ; implicit-def: $vgpr34_vgpr35
                                        ; implicit-def: $vgpr36_vgpr37
                                        ; implicit-def: $vgpr38_vgpr39
                                        ; implicit-def: $vgpr40_vgpr41
                                        ; implicit-def: $vgpr42_vgpr43
                                        ; implicit-def: $vgpr44_vgpr45
                                        ; implicit-def: $vgpr46_vgpr47
                                        ; implicit-def: $vgpr48_vgpr49
                                        ; implicit-def: $vgpr50_vgpr51
                                        ; implicit-def: $vgpr52_vgpr53
                                        ; implicit-def: $vgpr54_vgpr55
                                        ; implicit-def: $vgpr56_vgpr57
                                        ; implicit-def: $vgpr58_vgpr59
                                        ; implicit-def: $vgpr60_vgpr61
                                        ; implicit-def: $vgpr62_vgpr63
                                        ; implicit-def: $vgpr120
                                        ; implicit-def: $vgpr121
                                        ; implicit-def: $vgpr122
                                        ; implicit-def: $vgpr123
                                        ; implicit-def: $vgpr124
                                        ; implicit-def: $vgpr125
                                        ; implicit-def: $vgpr126
                                        ; implicit-def: $vgpr127
                                        ; implicit-def: $vgpr128
                                        ; implicit-def: $vgpr129
                                        ; implicit-def: $vgpr130
                                        ; implicit-def: $vgpr131
                                        ; implicit-def: $vgpr132
                                        ; implicit-def: $vgpr134
                                        ; implicit-def: $vgpr135
                                        ; implicit-def: $vgpr136
                                        ; implicit-def: $vgpr137
                                        ; implicit-def: $vgpr133
                                        ; implicit-def: $vgpr138
	s_wait_kmcnt 0x0
	s_cmp_lt_u32 s51, s14
	s_cselect_b32 s42, 12, 18
	s_cmp_lt_u32 s35, s15
	s_mov_b32 s15, s43
	s_cselect_b32 s14, 14, 20
	s_delay_alu instid0(SALU_CYCLE_1)
	s_add_nc_u64 s[14:15], s[52:53], s[14:15]
	s_load_u16 s16, s[14:15], 0x0
	s_wait_xcnt 0x0
	s_add_nc_u64 s[14:15], s[52:53], s[42:43]
	s_mov_b32 s42, s55
	s_load_u16 s14, s[14:15], 0x0
	s_wait_xcnt 0x0
	v_cmp_lt_u32_e64 s15, 1, v103
	s_wait_dscnt 0x0
	s_wait_kmcnt 0x0
	v_mad_u32_u24 v25, v89, s16, v91
	v_cmp_lt_u32_e64 s16, 3, v103
	s_delay_alu instid0(VALU_DEP_2) | instskip(SKIP_2) | instid1(VALU_DEP_3)
	v_mad_u32 v26, v25, s14, v2
	v_mov_b32_e32 v25, v1
	v_cmp_eq_u32_e64 s14, 0, v103
	v_lshrrev_b32_e32 v30, 3, v26
	v_add_nc_u64_e32 v[26:27], v[10:11], v[0:1]
	s_delay_alu instid0(VALU_DEP_4) | instskip(NEXT) | instid1(VALU_DEP_3)
	v_add_nc_u64_e32 v[28:29], v[12:13], v[24:25]
	v_and_b32_e32 v25, 0x1ffffffc, v30
                                        ; implicit-def: $vgpr30_vgpr31
	s_branch .LBB1320_410
.LBB1320_409:                           ;   in Loop: Header=BB1320_410 Depth=2
	s_or_b32 exec_lo, exec_lo, s17
	s_addk_co_i32 s59, 0xef00
	s_cmp_lt_u32 s60, s54
	s_mov_b32 s42, s60
	s_cbranch_scc0 .LBB1320_632
.LBB1320_410:                           ;   Parent Loop BB1320_12 Depth=1
                                        ; =>  This Inner Loop Header: Depth=2
	s_add_co_i32 s60, s42, 0x1100
	s_delay_alu instid0(SALU_CYCLE_1)
	s_cmp_gt_u32 s60, s54
	s_cbranch_scc1 .LBB1320_412
; %bb.411:                              ;   in Loop: Header=BB1320_410 Depth=2
	s_delay_alu instid0(VALU_DEP_2)
	v_lshl_add_u64 v[64:65], s[42:43], 2, v[28:29]
	s_mov_b32 s17, -1
	s_clause 0xf
	global_load_b32 v140, v[64:65], off
	global_load_b32 v142, v[64:65], off offset:128
	global_load_b32 v144, v[64:65], off offset:256
	;; [unrolled: 1-line block ×15, first 2 shown]
	s_movk_i32 s18, 0x1100
	s_cbranch_execz .LBB1320_413
	s_branch .LBB1320_446
.LBB1320_412:                           ;   in Loop: Header=BB1320_410 Depth=2
	s_mov_b32 s17, 0
                                        ; implicit-def: $vgpr140
                                        ; implicit-def: $vgpr142
                                        ; implicit-def: $vgpr144
                                        ; implicit-def: $vgpr148
                                        ; implicit-def: $vgpr153
                                        ; implicit-def: $vgpr158
                                        ; implicit-def: $vgpr163
                                        ; implicit-def: $vgpr168
                                        ; implicit-def: $vgpr173
                                        ; implicit-def: $vgpr171
                                        ; implicit-def: $vgpr166
                                        ; implicit-def: $vgpr161
                                        ; implicit-def: $vgpr157
                                        ; implicit-def: $vgpr152
                                        ; implicit-def: $vgpr67
                                        ; implicit-def: $vgpr66
	s_movk_i32 s18, 0x1100
.LBB1320_413:                           ;   in Loop: Header=BB1320_410 Depth=2
	s_wait_xcnt 0x0
	v_lshl_add_u64 v[64:65], s[42:43], 2, v[28:29]
	s_wait_loadcnt 0xe
	v_dual_mov_b32 v142, -1 :: v_dual_mov_b32 v140, -1
	s_mov_b32 s17, exec_lo
	v_cmpx_gt_u32_e64 s59, v101
	s_cbranch_execz .LBB1320_415
; %bb.414:                              ;   in Loop: Header=BB1320_410 Depth=2
	global_load_b32 v140, v[64:65], off
.LBB1320_415:                           ;   in Loop: Header=BB1320_410 Depth=2
	s_wait_xcnt 0x0
	s_or_b32 exec_lo, exec_lo, s17
	s_delay_alu instid0(SALU_CYCLE_1)
	s_mov_b32 s17, exec_lo
	v_cmpx_gt_u32_e64 s59, v104
	s_cbranch_execz .LBB1320_417
; %bb.416:                              ;   in Loop: Header=BB1320_410 Depth=2
	global_load_b32 v142, v[64:65], off offset:128
.LBB1320_417:                           ;   in Loop: Header=BB1320_410 Depth=2
	s_wait_xcnt 0x0
	s_or_b32 exec_lo, exec_lo, s17
	s_wait_loadcnt 0xc
	v_dual_mov_b32 v148, -1 :: v_dual_mov_b32 v144, -1
	s_mov_b32 s17, exec_lo
	v_cmpx_gt_u32_e64 s59, v105
	s_cbranch_execz .LBB1320_419
; %bb.418:                              ;   in Loop: Header=BB1320_410 Depth=2
	global_load_b32 v144, v[64:65], off offset:256
.LBB1320_419:                           ;   in Loop: Header=BB1320_410 Depth=2
	s_wait_xcnt 0x0
	s_or_b32 exec_lo, exec_lo, s17
	s_delay_alu instid0(SALU_CYCLE_1)
	s_mov_b32 s17, exec_lo
	v_cmpx_gt_u32_e64 s59, v106
	s_cbranch_execz .LBB1320_421
; %bb.420:                              ;   in Loop: Header=BB1320_410 Depth=2
	global_load_b32 v148, v[64:65], off offset:384
.LBB1320_421:                           ;   in Loop: Header=BB1320_410 Depth=2
	s_wait_xcnt 0x0
	s_or_b32 exec_lo, exec_lo, s17
	s_wait_loadcnt 0xa
	v_dual_mov_b32 v158, -1 :: v_dual_mov_b32 v153, -1
	s_mov_b32 s17, exec_lo
	v_cmpx_gt_u32_e64 s59, v107
	s_cbranch_execz .LBB1320_423
; %bb.422:                              ;   in Loop: Header=BB1320_410 Depth=2
	global_load_b32 v153, v[64:65], off offset:512
.LBB1320_423:                           ;   in Loop: Header=BB1320_410 Depth=2
	;; [unrolled: 19-line block ×7, first 2 shown]
	s_wait_xcnt 0x0
	s_or_b32 exec_lo, exec_lo, s17
	s_delay_alu instid0(SALU_CYCLE_1)
	s_mov_b32 s17, exec_lo
	v_cmpx_gt_u32_e64 s59, v118
	s_cbranch_execz .LBB1320_445
; %bb.444:                              ;   in Loop: Header=BB1320_410 Depth=2
	global_load_b32 v66, v[64:65], off offset:1920
.LBB1320_445:                           ;   in Loop: Header=BB1320_410 Depth=2
	s_wait_xcnt 0x0
	s_or_b32 exec_lo, exec_lo, s17
	v_cmp_gt_u32_e64 s17, s59, v5
	s_sub_co_i32 s18, s54, s42
.LBB1320_446:                           ;   in Loop: Header=BB1320_410 Depth=2
	s_wait_xcnt 0x0
	v_dual_mov_b32 v64, -1 :: v_dual_mov_b32 v139, s59
	s_and_saveexec_b32 s19, s17
	s_cbranch_execz .LBB1320_448
; %bb.447:                              ;   in Loop: Header=BB1320_410 Depth=2
	v_lshl_add_u64 v[64:65], s[42:43], 2, v[28:29]
	v_mov_b32_e32 v139, s18
	global_load_b32 v64, v[64:65], off offset:2048
.LBB1320_448:                           ;   in Loop: Header=BB1320_410 Depth=2
	s_wait_xcnt 0x0
	s_or_b32 exec_lo, exec_lo, s19
	s_wait_loadcnt 0xf
	v_cmp_gt_i32_e32 vcc_lo, 0, v140
	ds_store_2addr_b32 v90, v1, v1 offset0:136 offset1:137
	ds_store_2addr_b32 v90, v1, v1 offset0:138 offset1:139
	ds_store_b32 v90, v1 offset:560
	s_wait_loadcnt_dscnt 0x0
	s_barrier_signal -1
	s_barrier_wait -1
	v_cndmask_b32_e64 v65, 0x7fffffff, 0, vcc_lo
	; wave barrier
	s_delay_alu instid0(VALU_DEP_1) | instskip(NEXT) | instid1(VALU_DEP_1)
	v_xor_b32_e32 v140, v65, v140
	v_cmp_ne_u32_e32 vcc_lo, 0x80000000, v140
	v_cndmask_b32_e32 v65, 0x7fffffff, v140, vcc_lo
	s_delay_alu instid0(VALU_DEP_1) | instskip(NEXT) | instid1(VALU_DEP_1)
	v_lshrrev_b32_e32 v65, s48, v65
	v_bitop3_b32 v141, v65, 1, s58 bitop3:0x80
	v_and_b32_e32 v143, s58, v65
	s_delay_alu instid0(VALU_DEP_2) | instskip(NEXT) | instid1(VALU_DEP_1)
	v_add_co_u32 v65, s17, v141, -1
	v_cndmask_b32_e64 v141, 0, 1, s17
	s_delay_alu instid0(VALU_DEP_3) | instskip(SKIP_1) | instid1(VALU_DEP_3)
	v_dual_lshlrev_b32 v145, 30, v143 :: v_dual_lshlrev_b32 v147, 28, v143
	v_lshlrev_b32_e32 v146, 29, v143
	v_cmp_ne_u32_e32 vcc_lo, 0, v141
	s_delay_alu instid0(VALU_DEP_3) | instskip(SKIP_1) | instid1(VALU_DEP_4)
	v_cmp_gt_i32_e64 s17, 0, v145
	v_not_b32_e32 v141, v145
	v_cmp_gt_i32_e64 s18, 0, v146
	v_not_b32_e32 v145, v146
	v_not_b32_e32 v146, v147
	v_cmp_gt_i32_e64 s19, 0, v147
	v_ashrrev_i32_e32 v141, 31, v141
	v_bitop3_b32 v65, vcc_lo, exec_lo, v65 bitop3:0x48
	s_delay_alu instid0(VALU_DEP_4) | instskip(SKIP_2) | instid1(VALU_DEP_3)
	v_dual_ashrrev_i32 v146, 31, v146 :: v_dual_lshlrev_b32 v149, 27, v143
	v_dual_lshlrev_b32 v150, 26, v143 :: v_dual_lshlrev_b32 v151, 25, v143
	v_mul_u32_u24_e32 v143, 36, v143
	v_xor_b32_e32 v146, s19, v146
	s_delay_alu instid0(VALU_DEP_4)
	v_not_b32_e32 v147, v149
	v_ashrrev_i32_e32 v145, 31, v145
	v_cmp_gt_i32_e64 s20, 0, v149
	v_cmp_gt_i32_e64 s21, 0, v150
	v_not_b32_e32 v149, v150
	v_not_b32_e32 v150, v151
	v_dual_ashrrev_i32 v147, 31, v147 :: v_dual_bitop2_b32 v141, s17, v141 bitop3:0x14
	v_dual_add_nc_u32 v143, v25, v143 :: v_dual_bitop2_b32 v145, s18, v145 bitop3:0x14
	v_cmp_gt_i32_e64 s22, 0, v151
	s_delay_alu instid0(VALU_DEP_4) | instskip(NEXT) | instid1(VALU_DEP_4)
	v_dual_ashrrev_i32 v149, 31, v149 :: v_dual_ashrrev_i32 v150, 31, v150
	v_xor_b32_e32 v147, s20, v147
	s_delay_alu instid0(VALU_DEP_4) | instskip(NEXT) | instid1(VALU_DEP_3)
	v_bitop3_b32 v65, v65, v145, v141 bitop3:0x80
	v_xor_b32_e32 v141, s21, v149
	s_delay_alu instid0(VALU_DEP_4) | instskip(NEXT) | instid1(VALU_DEP_3)
	v_xor_b32_e32 v145, s22, v150
	v_bitop3_b32 v65, v65, v147, v146 bitop3:0x80
	s_delay_alu instid0(VALU_DEP_1) | instskip(NEXT) | instid1(VALU_DEP_1)
	v_bitop3_b32 v65, v65, v145, v141 bitop3:0x80
	v_mbcnt_lo_u32_b32 v141, v65, 0
	v_cmp_ne_u32_e64 s17, 0, v65
	s_delay_alu instid0(VALU_DEP_2) | instskip(SKIP_1) | instid1(SALU_CYCLE_1)
	v_cmp_eq_u32_e32 vcc_lo, 0, v141
	s_and_b32 s18, s17, vcc_lo
	s_and_saveexec_b32 s17, s18
; %bb.449:                              ;   in Loop: Header=BB1320_410 Depth=2
	v_bcnt_u32_b32 v65, v65, 0
	ds_store_b32 v143, v65 offset:544
; %bb.450:                              ;   in Loop: Header=BB1320_410 Depth=2
	s_or_b32 exec_lo, exec_lo, s17
	v_cmp_gt_i32_e32 vcc_lo, 0, v142
	; wave barrier
	v_cndmask_b32_e64 v65, 0x7fffffff, 0, vcc_lo
	s_delay_alu instid0(VALU_DEP_1) | instskip(NEXT) | instid1(VALU_DEP_1)
	v_xor_b32_e32 v142, v65, v142
	v_cmp_ne_u32_e32 vcc_lo, 0x80000000, v142
	v_cndmask_b32_e32 v65, 0x7fffffff, v142, vcc_lo
	s_delay_alu instid0(VALU_DEP_1) | instskip(NEXT) | instid1(VALU_DEP_1)
	v_lshrrev_b32_e32 v65, s48, v65
	v_bitop3_b32 v145, v65, 1, s58 bitop3:0x80
	v_and_b32_e32 v147, s58, v65
	s_delay_alu instid0(VALU_DEP_2) | instskip(NEXT) | instid1(VALU_DEP_1)
	v_add_co_u32 v65, s17, v145, -1
	v_cndmask_b32_e64 v145, 0, 1, s17
	s_delay_alu instid0(VALU_DEP_3) | instskip(NEXT) | instid1(VALU_DEP_2)
	v_dual_lshlrev_b32 v146, 30, v147 :: v_dual_lshlrev_b32 v149, 29, v147
	v_cmp_ne_u32_e32 vcc_lo, 0, v145
	s_delay_alu instid0(VALU_DEP_2) | instskip(SKIP_1) | instid1(VALU_DEP_4)
	v_cmp_gt_i32_e64 s17, 0, v146
	v_not_b32_e32 v145, v146
	v_not_b32_e32 v146, v149
	v_bitop3_b32 v65, vcc_lo, exec_lo, v65 bitop3:0x48
	s_delay_alu instid0(VALU_DEP_2) | instskip(SKIP_3) | instid1(VALU_DEP_3)
	v_dual_ashrrev_i32 v145, 31, v145 :: v_dual_ashrrev_i32 v146, 31, v146
	v_dual_lshlrev_b32 v150, 28, v147 :: v_dual_lshlrev_b32 v151, 27, v147
	v_dual_lshlrev_b32 v154, 26, v147 :: v_dual_lshlrev_b32 v155, 25, v147
	v_cmp_gt_i32_e64 s18, 0, v149
	v_cmp_gt_i32_e64 s19, 0, v150
	v_not_b32_e32 v149, v150
	v_not_b32_e32 v150, v151
	v_cmp_gt_i32_e64 s20, 0, v151
	v_cmp_gt_i32_e64 s21, 0, v154
	v_not_b32_e32 v151, v154
	v_not_b32_e32 v154, v155
	v_dual_ashrrev_i32 v149, 31, v149 :: v_dual_ashrrev_i32 v150, 31, v150
	s_delay_alu instid0(VALU_DEP_3) | instskip(SKIP_2) | instid1(VALU_DEP_4)
	v_dual_ashrrev_i32 v151, 31, v151 :: v_dual_bitop2_b32 v145, s17, v145 bitop3:0x14
	v_xor_b32_e32 v146, s18, v146
	v_cmp_gt_i32_e64 s22, 0, v155
	v_dual_ashrrev_i32 v154, 31, v154 :: v_dual_bitop2_b32 v149, s19, v149 bitop3:0x14
	v_xor_b32_e32 v150, s20, v150
	s_delay_alu instid0(VALU_DEP_4)
	v_bitop3_b32 v65, v65, v146, v145 bitop3:0x80
	v_mad_u32_u24 v145, v147, 36, v25
	v_xor_b32_e32 v146, s21, v151
	v_xor_b32_e32 v151, s22, v154
	v_mul_u32_u24_e32 v147, 36, v147
	v_bitop3_b32 v65, v65, v150, v149 bitop3:0x80
	ds_load_b32 v145, v145 offset:544
	; wave barrier
	v_add_nc_u32_e32 v147, v25, v147
	v_bitop3_b32 v65, v65, v151, v146 bitop3:0x80
	s_delay_alu instid0(VALU_DEP_1) | instskip(SKIP_1) | instid1(VALU_DEP_2)
	v_mbcnt_lo_u32_b32 v146, v65, 0
	v_cmp_ne_u32_e64 s17, 0, v65
	v_cmp_eq_u32_e32 vcc_lo, 0, v146
	s_and_b32 s18, s17, vcc_lo
	s_delay_alu instid0(SALU_CYCLE_1)
	s_and_saveexec_b32 s17, s18
	s_cbranch_execz .LBB1320_452
; %bb.451:                              ;   in Loop: Header=BB1320_410 Depth=2
	s_wait_dscnt 0x0
	v_bcnt_u32_b32 v65, v65, v145
	ds_store_b32 v147, v65 offset:544
.LBB1320_452:                           ;   in Loop: Header=BB1320_410 Depth=2
	s_or_b32 exec_lo, exec_lo, s17
	v_cmp_gt_i32_e32 vcc_lo, 0, v144
	; wave barrier
	v_cndmask_b32_e64 v65, 0x7fffffff, 0, vcc_lo
	s_delay_alu instid0(VALU_DEP_1) | instskip(NEXT) | instid1(VALU_DEP_1)
	v_xor_b32_e32 v144, v65, v144
	v_cmp_ne_u32_e32 vcc_lo, 0x80000000, v144
	v_cndmask_b32_e32 v65, 0x7fffffff, v144, vcc_lo
	s_delay_alu instid0(VALU_DEP_1) | instskip(NEXT) | instid1(VALU_DEP_1)
	v_lshrrev_b32_e32 v65, s48, v65
	v_bitop3_b32 v149, v65, 1, s58 bitop3:0x80
	v_and_b32_e32 v151, s58, v65
	s_delay_alu instid0(VALU_DEP_2) | instskip(NEXT) | instid1(VALU_DEP_1)
	v_add_co_u32 v65, s17, v149, -1
	v_cndmask_b32_e64 v149, 0, 1, s17
	s_delay_alu instid0(VALU_DEP_3) | instskip(NEXT) | instid1(VALU_DEP_2)
	v_dual_lshlrev_b32 v150, 30, v151 :: v_dual_lshlrev_b32 v154, 29, v151
	v_cmp_ne_u32_e32 vcc_lo, 0, v149
	s_delay_alu instid0(VALU_DEP_2) | instskip(SKIP_1) | instid1(VALU_DEP_4)
	v_cmp_gt_i32_e64 s17, 0, v150
	v_not_b32_e32 v149, v150
	v_not_b32_e32 v150, v154
	v_bitop3_b32 v65, vcc_lo, exec_lo, v65 bitop3:0x48
	s_delay_alu instid0(VALU_DEP_2) | instskip(SKIP_3) | instid1(VALU_DEP_3)
	v_dual_ashrrev_i32 v149, 31, v149 :: v_dual_ashrrev_i32 v150, 31, v150
	v_dual_lshlrev_b32 v155, 28, v151 :: v_dual_lshlrev_b32 v156, 27, v151
	v_dual_lshlrev_b32 v159, 26, v151 :: v_dual_lshlrev_b32 v160, 25, v151
	v_cmp_gt_i32_e64 s18, 0, v154
	v_cmp_gt_i32_e64 s19, 0, v155
	v_not_b32_e32 v154, v155
	v_not_b32_e32 v155, v156
	v_cmp_gt_i32_e64 s20, 0, v156
	v_cmp_gt_i32_e64 s21, 0, v159
	v_not_b32_e32 v156, v159
	v_not_b32_e32 v159, v160
	v_dual_ashrrev_i32 v154, 31, v154 :: v_dual_ashrrev_i32 v155, 31, v155
	s_delay_alu instid0(VALU_DEP_3) | instskip(NEXT) | instid1(VALU_DEP_3)
	v_dual_ashrrev_i32 v156, 31, v156 :: v_dual_bitop2_b32 v149, s17, v149 bitop3:0x14
	v_dual_ashrrev_i32 v159, 31, v159 :: v_dual_bitop2_b32 v150, s18, v150 bitop3:0x14
	v_cmp_gt_i32_e64 s22, 0, v160
	s_delay_alu instid0(VALU_DEP_4) | instskip(NEXT) | instid1(VALU_DEP_3)
	v_xor_b32_e32 v155, s20, v155
	v_bitop3_b32 v65, v65, v150, v149 bitop3:0x80
	v_mad_u32_u24 v149, v151, 36, v25
	v_mul_u32_u24_e32 v151, 36, v151
	v_xor_b32_e32 v154, s19, v154
	v_xor_b32_e32 v150, s21, v156
	;; [unrolled: 1-line block ×3, first 2 shown]
	ds_load_b32 v149, v149 offset:544
	v_add_nc_u32_e32 v151, v25, v151
	v_bitop3_b32 v65, v65, v155, v154 bitop3:0x80
	; wave barrier
	s_delay_alu instid0(VALU_DEP_1) | instskip(NEXT) | instid1(VALU_DEP_1)
	v_bitop3_b32 v65, v65, v156, v150 bitop3:0x80
	v_mbcnt_lo_u32_b32 v150, v65, 0
	v_cmp_ne_u32_e64 s17, 0, v65
	s_delay_alu instid0(VALU_DEP_2) | instskip(SKIP_1) | instid1(SALU_CYCLE_1)
	v_cmp_eq_u32_e32 vcc_lo, 0, v150
	s_and_b32 s18, s17, vcc_lo
	s_and_saveexec_b32 s17, s18
	s_cbranch_execz .LBB1320_454
; %bb.453:                              ;   in Loop: Header=BB1320_410 Depth=2
	s_wait_dscnt 0x0
	v_bcnt_u32_b32 v65, v65, v149
	ds_store_b32 v151, v65 offset:544
.LBB1320_454:                           ;   in Loop: Header=BB1320_410 Depth=2
	s_or_b32 exec_lo, exec_lo, s17
	v_cmp_gt_i32_e32 vcc_lo, 0, v148
	; wave barrier
	v_cndmask_b32_e64 v65, 0x7fffffff, 0, vcc_lo
	s_delay_alu instid0(VALU_DEP_1) | instskip(NEXT) | instid1(VALU_DEP_1)
	v_xor_b32_e32 v148, v65, v148
	v_cmp_ne_u32_e32 vcc_lo, 0x80000000, v148
	v_cndmask_b32_e32 v65, 0x7fffffff, v148, vcc_lo
	s_delay_alu instid0(VALU_DEP_1) | instskip(NEXT) | instid1(VALU_DEP_1)
	v_lshrrev_b32_e32 v65, s48, v65
	v_bitop3_b32 v154, v65, 1, s58 bitop3:0x80
	v_and_b32_e32 v156, s58, v65
	s_delay_alu instid0(VALU_DEP_2) | instskip(NEXT) | instid1(VALU_DEP_1)
	v_add_co_u32 v65, s17, v154, -1
	v_cndmask_b32_e64 v154, 0, 1, s17
	s_delay_alu instid0(VALU_DEP_3) | instskip(NEXT) | instid1(VALU_DEP_2)
	v_dual_lshlrev_b32 v155, 30, v156 :: v_dual_lshlrev_b32 v159, 29, v156
	v_cmp_ne_u32_e32 vcc_lo, 0, v154
	s_delay_alu instid0(VALU_DEP_2) | instskip(SKIP_1) | instid1(VALU_DEP_4)
	v_cmp_gt_i32_e64 s17, 0, v155
	v_not_b32_e32 v154, v155
	v_not_b32_e32 v155, v159
	v_cmp_gt_i32_e64 s18, 0, v159
	v_bitop3_b32 v65, vcc_lo, exec_lo, v65 bitop3:0x48
	s_delay_alu instid0(VALU_DEP_3) | instskip(SKIP_2) | instid1(VALU_DEP_2)
	v_dual_ashrrev_i32 v154, 31, v154 :: v_dual_ashrrev_i32 v155, 31, v155
	v_dual_lshlrev_b32 v160, 28, v156 :: v_dual_lshlrev_b32 v162, 27, v156
	v_dual_lshlrev_b32 v164, 26, v156 :: v_dual_lshlrev_b32 v165, 25, v156
	v_cmp_gt_i32_e64 s19, 0, v160
	v_not_b32_e32 v159, v160
	s_delay_alu instid0(VALU_DEP_4)
	v_not_b32_e32 v160, v162
	v_cmp_gt_i32_e64 s20, 0, v162
	v_cmp_gt_i32_e64 s21, 0, v164
	v_not_b32_e32 v162, v164
	v_not_b32_e32 v164, v165
	v_dual_ashrrev_i32 v159, 31, v159 :: v_dual_ashrrev_i32 v160, 31, v160
	v_xor_b32_e32 v154, s17, v154
	s_delay_alu instid0(VALU_DEP_4) | instskip(SKIP_3) | instid1(VALU_DEP_4)
	v_dual_ashrrev_i32 v162, 31, v162 :: v_dual_bitop2_b32 v155, s18, v155 bitop3:0x14
	v_cmp_gt_i32_e64 s22, 0, v165
	v_ashrrev_i32_e32 v164, 31, v164
	v_xor_b32_e32 v160, s20, v160
	v_bitop3_b32 v65, v65, v155, v154 bitop3:0x80
	v_mad_u32_u24 v154, v156, 36, v25
	v_mul_u32_u24_e32 v156, 36, v156
	v_xor_b32_e32 v159, s19, v159
	v_xor_b32_e32 v155, s21, v162
	;; [unrolled: 1-line block ×3, first 2 shown]
	ds_load_b32 v154, v154 offset:544
	v_add_nc_u32_e32 v156, v25, v156
	v_bitop3_b32 v65, v65, v160, v159 bitop3:0x80
	; wave barrier
	s_delay_alu instid0(VALU_DEP_1) | instskip(NEXT) | instid1(VALU_DEP_1)
	v_bitop3_b32 v65, v65, v162, v155 bitop3:0x80
	v_mbcnt_lo_u32_b32 v155, v65, 0
	v_cmp_ne_u32_e64 s17, 0, v65
	s_delay_alu instid0(VALU_DEP_2) | instskip(SKIP_1) | instid1(SALU_CYCLE_1)
	v_cmp_eq_u32_e32 vcc_lo, 0, v155
	s_and_b32 s18, s17, vcc_lo
	s_and_saveexec_b32 s17, s18
	s_cbranch_execz .LBB1320_456
; %bb.455:                              ;   in Loop: Header=BB1320_410 Depth=2
	s_wait_dscnt 0x0
	v_bcnt_u32_b32 v65, v65, v154
	ds_store_b32 v156, v65 offset:544
.LBB1320_456:                           ;   in Loop: Header=BB1320_410 Depth=2
	s_or_b32 exec_lo, exec_lo, s17
	v_cmp_gt_i32_e32 vcc_lo, 0, v153
	; wave barrier
	v_cndmask_b32_e64 v65, 0x7fffffff, 0, vcc_lo
	s_delay_alu instid0(VALU_DEP_1) | instskip(NEXT) | instid1(VALU_DEP_1)
	v_xor_b32_e32 v153, v65, v153
	v_cmp_ne_u32_e32 vcc_lo, 0x80000000, v153
	v_cndmask_b32_e32 v65, 0x7fffffff, v153, vcc_lo
	s_delay_alu instid0(VALU_DEP_1) | instskip(NEXT) | instid1(VALU_DEP_1)
	v_lshrrev_b32_e32 v65, s48, v65
	v_and_b32_e32 v162, s58, v65
	s_delay_alu instid0(VALU_DEP_1) | instskip(SKIP_2) | instid1(VALU_DEP_3)
	v_lshlrev_b32_e32 v165, 28, v162
	v_bitop3_b32 v159, v65, 1, s58 bitop3:0x80
	v_lshlrev_b32_e32 v160, 30, v162
	v_cmp_gt_i32_e64 s19, 0, v165
	s_delay_alu instid0(VALU_DEP_3) | instskip(NEXT) | instid1(VALU_DEP_1)
	v_add_co_u32 v65, s17, v159, -1
	v_cndmask_b32_e64 v159, 0, 1, s17
	s_delay_alu instid0(VALU_DEP_4) | instskip(NEXT) | instid1(VALU_DEP_2)
	v_cmp_gt_i32_e64 s17, 0, v160
	v_cmp_ne_u32_e32 vcc_lo, 0, v159
	v_not_b32_e32 v159, v160
	v_bitop3_b32 v65, vcc_lo, exec_lo, v65 bitop3:0x48
	s_delay_alu instid0(VALU_DEP_2) | instskip(SKIP_1) | instid1(VALU_DEP_2)
	v_dual_ashrrev_i32 v159, 31, v159 :: v_dual_lshlrev_b32 v164, 29, v162
	v_dual_lshlrev_b32 v167, 27, v162 :: v_dual_lshlrev_b32 v169, 26, v162
	v_not_b32_e32 v160, v164
	v_lshlrev_b32_e32 v170, 25, v162
	v_cmp_gt_i32_e64 s18, 0, v164
	v_not_b32_e32 v164, v165
	v_not_b32_e32 v165, v167
	v_ashrrev_i32_e32 v160, 31, v160
	v_cmp_gt_i32_e64 s20, 0, v167
	v_cmp_gt_i32_e64 s21, 0, v169
	v_not_b32_e32 v167, v169
	v_not_b32_e32 v169, v170
	v_dual_ashrrev_i32 v164, 31, v164 :: v_dual_ashrrev_i32 v165, 31, v165
	v_xor_b32_e32 v159, s17, v159
	s_delay_alu instid0(VALU_DEP_4) | instskip(SKIP_3) | instid1(VALU_DEP_4)
	v_dual_ashrrev_i32 v167, 31, v167 :: v_dual_bitop2_b32 v160, s18, v160 bitop3:0x14
	v_cmp_gt_i32_e64 s22, 0, v170
	v_ashrrev_i32_e32 v169, 31, v169
	v_xor_b32_e32 v165, s20, v165
	v_bitop3_b32 v65, v65, v160, v159 bitop3:0x80
	v_mad_u32_u24 v159, v162, 36, v25
	v_mul_u32_u24_e32 v162, 36, v162
	v_xor_b32_e32 v164, s19, v164
	v_xor_b32_e32 v160, s21, v167
	;; [unrolled: 1-line block ×3, first 2 shown]
	ds_load_b32 v159, v159 offset:544
	v_add_nc_u32_e32 v162, v25, v162
	v_bitop3_b32 v65, v65, v165, v164 bitop3:0x80
	; wave barrier
	s_delay_alu instid0(VALU_DEP_1) | instskip(NEXT) | instid1(VALU_DEP_1)
	v_bitop3_b32 v65, v65, v167, v160 bitop3:0x80
	v_mbcnt_lo_u32_b32 v160, v65, 0
	v_cmp_ne_u32_e64 s17, 0, v65
	s_delay_alu instid0(VALU_DEP_2) | instskip(SKIP_1) | instid1(SALU_CYCLE_1)
	v_cmp_eq_u32_e32 vcc_lo, 0, v160
	s_and_b32 s18, s17, vcc_lo
	s_and_saveexec_b32 s17, s18
	s_cbranch_execz .LBB1320_458
; %bb.457:                              ;   in Loop: Header=BB1320_410 Depth=2
	s_wait_dscnt 0x0
	v_bcnt_u32_b32 v65, v65, v159
	ds_store_b32 v162, v65 offset:544
.LBB1320_458:                           ;   in Loop: Header=BB1320_410 Depth=2
	s_or_b32 exec_lo, exec_lo, s17
	v_cmp_gt_i32_e32 vcc_lo, 0, v158
	; wave barrier
	v_cndmask_b32_e64 v65, 0x7fffffff, 0, vcc_lo
	s_delay_alu instid0(VALU_DEP_1) | instskip(NEXT) | instid1(VALU_DEP_1)
	v_xor_b32_e32 v158, v65, v158
	v_cmp_ne_u32_e32 vcc_lo, 0x80000000, v158
	v_cndmask_b32_e32 v65, 0x7fffffff, v158, vcc_lo
	s_delay_alu instid0(VALU_DEP_1) | instskip(NEXT) | instid1(VALU_DEP_1)
	v_lshrrev_b32_e32 v65, s48, v65
	v_bitop3_b32 v164, v65, 1, s58 bitop3:0x80
	v_and_b32_e32 v167, s58, v65
	s_delay_alu instid0(VALU_DEP_2) | instskip(NEXT) | instid1(VALU_DEP_1)
	v_add_co_u32 v65, s17, v164, -1
	v_cndmask_b32_e64 v164, 0, 1, s17
	s_delay_alu instid0(VALU_DEP_3) | instskip(NEXT) | instid1(VALU_DEP_2)
	v_lshlrev_b32_e32 v165, 30, v167
	v_cmp_ne_u32_e32 vcc_lo, 0, v164
	s_delay_alu instid0(VALU_DEP_2) | instskip(SKIP_1) | instid1(VALU_DEP_2)
	v_not_b32_e32 v164, v165
	v_bitop3_b32 v65, vcc_lo, exec_lo, v65 bitop3:0x48
	v_dual_ashrrev_i32 v164, 31, v164 :: v_dual_lshlrev_b32 v169, 29, v167
	v_dual_lshlrev_b32 v170, 28, v167 :: v_dual_lshlrev_b32 v172, 27, v167
	v_lshlrev_b32_e32 v174, 26, v167
	v_cmp_gt_i32_e64 s17, 0, v165
	s_delay_alu instid0(VALU_DEP_4)
	v_not_b32_e32 v165, v169
	v_lshlrev_b32_e32 v175, 25, v167
	v_cmp_gt_i32_e64 s18, 0, v169
	v_cmp_gt_i32_e64 s19, 0, v170
	v_not_b32_e32 v169, v170
	v_not_b32_e32 v170, v172
	v_ashrrev_i32_e32 v165, 31, v165
	v_cmp_gt_i32_e64 s20, 0, v172
	v_cmp_gt_i32_e64 s21, 0, v174
	v_not_b32_e32 v172, v174
	v_not_b32_e32 v174, v175
	v_dual_ashrrev_i32 v169, 31, v169 :: v_dual_ashrrev_i32 v170, 31, v170
	v_xor_b32_e32 v164, s17, v164
	s_delay_alu instid0(VALU_DEP_4) | instskip(SKIP_3) | instid1(VALU_DEP_4)
	v_dual_ashrrev_i32 v172, 31, v172 :: v_dual_bitop2_b32 v165, s18, v165 bitop3:0x14
	v_cmp_gt_i32_e64 s22, 0, v175
	v_ashrrev_i32_e32 v174, 31, v174
	v_xor_b32_e32 v170, s20, v170
	v_bitop3_b32 v65, v65, v165, v164 bitop3:0x80
	v_mad_u32_u24 v164, v167, 36, v25
	v_mul_u32_u24_e32 v167, 36, v167
	v_xor_b32_e32 v169, s19, v169
	v_xor_b32_e32 v165, s21, v172
	;; [unrolled: 1-line block ×3, first 2 shown]
	ds_load_b32 v164, v164 offset:544
	v_add_nc_u32_e32 v167, v25, v167
	v_bitop3_b32 v65, v65, v170, v169 bitop3:0x80
	; wave barrier
	s_delay_alu instid0(VALU_DEP_1) | instskip(NEXT) | instid1(VALU_DEP_1)
	v_bitop3_b32 v65, v65, v172, v165 bitop3:0x80
	v_mbcnt_lo_u32_b32 v165, v65, 0
	v_cmp_ne_u32_e64 s17, 0, v65
	s_delay_alu instid0(VALU_DEP_2) | instskip(SKIP_1) | instid1(SALU_CYCLE_1)
	v_cmp_eq_u32_e32 vcc_lo, 0, v165
	s_and_b32 s18, s17, vcc_lo
	s_and_saveexec_b32 s17, s18
	s_cbranch_execz .LBB1320_460
; %bb.459:                              ;   in Loop: Header=BB1320_410 Depth=2
	s_wait_dscnt 0x0
	v_bcnt_u32_b32 v65, v65, v164
	ds_store_b32 v167, v65 offset:544
.LBB1320_460:                           ;   in Loop: Header=BB1320_410 Depth=2
	s_or_b32 exec_lo, exec_lo, s17
	v_cmp_gt_i32_e32 vcc_lo, 0, v163
	; wave barrier
	v_cndmask_b32_e64 v65, 0x7fffffff, 0, vcc_lo
	s_delay_alu instid0(VALU_DEP_1) | instskip(NEXT) | instid1(VALU_DEP_1)
	v_xor_b32_e32 v163, v65, v163
	v_cmp_ne_u32_e32 vcc_lo, 0x80000000, v163
	v_cndmask_b32_e32 v65, 0x7fffffff, v163, vcc_lo
	s_delay_alu instid0(VALU_DEP_1) | instskip(NEXT) | instid1(VALU_DEP_1)
	v_lshrrev_b32_e32 v65, s48, v65
	v_bitop3_b32 v169, v65, 1, s58 bitop3:0x80
	v_and_b32_e32 v172, s58, v65
	s_delay_alu instid0(VALU_DEP_2) | instskip(NEXT) | instid1(VALU_DEP_1)
	v_add_co_u32 v65, s17, v169, -1
	v_cndmask_b32_e64 v169, 0, 1, s17
	s_delay_alu instid0(VALU_DEP_3) | instskip(NEXT) | instid1(VALU_DEP_2)
	v_dual_lshlrev_b32 v170, 30, v172 :: v_dual_lshlrev_b32 v174, 29, v172
	v_cmp_ne_u32_e32 vcc_lo, 0, v169
	s_delay_alu instid0(VALU_DEP_2) | instskip(SKIP_1) | instid1(VALU_DEP_4)
	v_cmp_gt_i32_e64 s17, 0, v170
	v_not_b32_e32 v169, v170
	v_not_b32_e32 v170, v174
	v_bitop3_b32 v65, vcc_lo, exec_lo, v65 bitop3:0x48
	s_delay_alu instid0(VALU_DEP_2) | instskip(SKIP_3) | instid1(VALU_DEP_3)
	v_dual_ashrrev_i32 v169, 31, v169 :: v_dual_ashrrev_i32 v170, 31, v170
	v_dual_lshlrev_b32 v175, 28, v172 :: v_dual_lshlrev_b32 v176, 27, v172
	v_dual_lshlrev_b32 v177, 26, v172 :: v_dual_lshlrev_b32 v178, 25, v172
	v_cmp_gt_i32_e64 s18, 0, v174
	v_cmp_gt_i32_e64 s19, 0, v175
	v_not_b32_e32 v174, v175
	v_not_b32_e32 v175, v176
	v_cmp_gt_i32_e64 s20, 0, v176
	v_cmp_gt_i32_e64 s21, 0, v177
	v_not_b32_e32 v176, v177
	v_not_b32_e32 v177, v178
	v_dual_ashrrev_i32 v174, 31, v174 :: v_dual_ashrrev_i32 v175, 31, v175
	s_delay_alu instid0(VALU_DEP_3) | instskip(NEXT) | instid1(VALU_DEP_3)
	v_dual_ashrrev_i32 v176, 31, v176 :: v_dual_bitop2_b32 v169, s17, v169 bitop3:0x14
	v_dual_ashrrev_i32 v177, 31, v177 :: v_dual_bitop2_b32 v170, s18, v170 bitop3:0x14
	v_cmp_gt_i32_e64 s22, 0, v178
	s_delay_alu instid0(VALU_DEP_4) | instskip(NEXT) | instid1(VALU_DEP_3)
	v_xor_b32_e32 v175, s20, v175
	v_bitop3_b32 v65, v65, v170, v169 bitop3:0x80
	v_mad_u32_u24 v169, v172, 36, v25
	v_mul_u32_u24_e32 v172, 36, v172
	v_xor_b32_e32 v174, s19, v174
	v_xor_b32_e32 v170, s21, v176
	;; [unrolled: 1-line block ×3, first 2 shown]
	ds_load_b32 v169, v169 offset:544
	v_add_nc_u32_e32 v172, v25, v172
	v_bitop3_b32 v65, v65, v175, v174 bitop3:0x80
	; wave barrier
	s_delay_alu instid0(VALU_DEP_1) | instskip(NEXT) | instid1(VALU_DEP_1)
	v_bitop3_b32 v65, v65, v176, v170 bitop3:0x80
	v_mbcnt_lo_u32_b32 v170, v65, 0
	v_cmp_ne_u32_e64 s17, 0, v65
	s_delay_alu instid0(VALU_DEP_2) | instskip(SKIP_1) | instid1(SALU_CYCLE_1)
	v_cmp_eq_u32_e32 vcc_lo, 0, v170
	s_and_b32 s18, s17, vcc_lo
	s_and_saveexec_b32 s17, s18
	s_cbranch_execz .LBB1320_462
; %bb.461:                              ;   in Loop: Header=BB1320_410 Depth=2
	s_wait_dscnt 0x0
	v_bcnt_u32_b32 v65, v65, v169
	ds_store_b32 v172, v65 offset:544
.LBB1320_462:                           ;   in Loop: Header=BB1320_410 Depth=2
	s_or_b32 exec_lo, exec_lo, s17
	v_cmp_gt_i32_e32 vcc_lo, 0, v168
	; wave barrier
	v_cndmask_b32_e64 v65, 0x7fffffff, 0, vcc_lo
	s_delay_alu instid0(VALU_DEP_1) | instskip(NEXT) | instid1(VALU_DEP_1)
	v_xor_b32_e32 v168, v65, v168
	v_cmp_ne_u32_e32 vcc_lo, 0x80000000, v168
	v_cndmask_b32_e32 v65, 0x7fffffff, v168, vcc_lo
	s_delay_alu instid0(VALU_DEP_1) | instskip(NEXT) | instid1(VALU_DEP_1)
	v_lshrrev_b32_e32 v65, s48, v65
	v_bitop3_b32 v174, v65, 1, s58 bitop3:0x80
	v_and_b32_e32 v176, s58, v65
	s_delay_alu instid0(VALU_DEP_2) | instskip(NEXT) | instid1(VALU_DEP_1)
	v_add_co_u32 v65, s17, v174, -1
	v_cndmask_b32_e64 v174, 0, 1, s17
	s_delay_alu instid0(VALU_DEP_3) | instskip(NEXT) | instid1(VALU_DEP_2)
	v_dual_lshlrev_b32 v175, 30, v176 :: v_dual_lshlrev_b32 v177, 29, v176
	v_cmp_ne_u32_e32 vcc_lo, 0, v174
	s_delay_alu instid0(VALU_DEP_2) | instskip(SKIP_1) | instid1(VALU_DEP_4)
	v_cmp_gt_i32_e64 s17, 0, v175
	v_not_b32_e32 v174, v175
	v_not_b32_e32 v175, v177
	v_cmp_gt_i32_e64 s18, 0, v177
	v_bitop3_b32 v65, vcc_lo, exec_lo, v65 bitop3:0x48
	s_delay_alu instid0(VALU_DEP_3) | instskip(SKIP_2) | instid1(VALU_DEP_2)
	v_dual_ashrrev_i32 v174, 31, v174 :: v_dual_ashrrev_i32 v175, 31, v175
	v_dual_lshlrev_b32 v178, 28, v176 :: v_dual_lshlrev_b32 v179, 27, v176
	v_dual_lshlrev_b32 v180, 26, v176 :: v_dual_lshlrev_b32 v181, 25, v176
	v_cmp_gt_i32_e64 s19, 0, v178
	v_not_b32_e32 v177, v178
	s_delay_alu instid0(VALU_DEP_4)
	v_not_b32_e32 v178, v179
	v_cmp_gt_i32_e64 s20, 0, v179
	v_cmp_gt_i32_e64 s21, 0, v180
	v_not_b32_e32 v179, v180
	v_not_b32_e32 v180, v181
	v_dual_ashrrev_i32 v177, 31, v177 :: v_dual_ashrrev_i32 v178, 31, v178
	s_delay_alu instid0(VALU_DEP_3) | instskip(NEXT) | instid1(VALU_DEP_3)
	v_dual_ashrrev_i32 v179, 31, v179 :: v_dual_bitop2_b32 v174, s17, v174 bitop3:0x14
	v_dual_ashrrev_i32 v180, 31, v180 :: v_dual_bitop2_b32 v175, s18, v175 bitop3:0x14
	v_cmp_gt_i32_e64 s22, 0, v181
	s_delay_alu instid0(VALU_DEP_4) | instskip(NEXT) | instid1(VALU_DEP_3)
	v_xor_b32_e32 v178, s20, v178
	v_bitop3_b32 v65, v65, v175, v174 bitop3:0x80
	v_mad_u32_u24 v174, v176, 36, v25
	v_mul_u32_u24_e32 v176, 36, v176
	v_xor_b32_e32 v177, s19, v177
	v_xor_b32_e32 v175, s21, v179
	v_xor_b32_e32 v179, s22, v180
	ds_load_b32 v174, v174 offset:544
	v_add_nc_u32_e32 v176, v25, v176
	v_bitop3_b32 v65, v65, v178, v177 bitop3:0x80
	; wave barrier
	s_delay_alu instid0(VALU_DEP_1) | instskip(NEXT) | instid1(VALU_DEP_1)
	v_bitop3_b32 v65, v65, v179, v175 bitop3:0x80
	v_mbcnt_lo_u32_b32 v175, v65, 0
	v_cmp_ne_u32_e64 s17, 0, v65
	s_delay_alu instid0(VALU_DEP_2) | instskip(SKIP_1) | instid1(SALU_CYCLE_1)
	v_cmp_eq_u32_e32 vcc_lo, 0, v175
	s_and_b32 s18, s17, vcc_lo
	s_and_saveexec_b32 s17, s18
	s_cbranch_execz .LBB1320_464
; %bb.463:                              ;   in Loop: Header=BB1320_410 Depth=2
	s_wait_dscnt 0x0
	v_bcnt_u32_b32 v65, v65, v174
	ds_store_b32 v176, v65 offset:544
.LBB1320_464:                           ;   in Loop: Header=BB1320_410 Depth=2
	s_or_b32 exec_lo, exec_lo, s17
	v_cmp_gt_i32_e32 vcc_lo, 0, v173
	; wave barrier
	v_cndmask_b32_e64 v65, 0x7fffffff, 0, vcc_lo
	s_delay_alu instid0(VALU_DEP_1) | instskip(NEXT) | instid1(VALU_DEP_1)
	v_xor_b32_e32 v173, v65, v173
	v_cmp_ne_u32_e32 vcc_lo, 0x80000000, v173
	v_cndmask_b32_e32 v65, 0x7fffffff, v173, vcc_lo
	s_delay_alu instid0(VALU_DEP_1) | instskip(NEXT) | instid1(VALU_DEP_1)
	v_lshrrev_b32_e32 v65, s48, v65
	v_and_b32_e32 v179, s58, v65
	s_delay_alu instid0(VALU_DEP_1) | instskip(SKIP_2) | instid1(VALU_DEP_3)
	v_lshlrev_b32_e32 v181, 28, v179
	v_bitop3_b32 v177, v65, 1, s58 bitop3:0x80
	v_dual_lshlrev_b32 v178, 30, v179 :: v_dual_lshlrev_b32 v180, 29, v179
	v_cmp_gt_i32_e64 s19, 0, v181
	s_delay_alu instid0(VALU_DEP_3) | instskip(NEXT) | instid1(VALU_DEP_1)
	v_add_co_u32 v65, s17, v177, -1
	v_cndmask_b32_e64 v177, 0, 1, s17
	s_delay_alu instid0(VALU_DEP_4) | instskip(SKIP_1) | instid1(VALU_DEP_3)
	v_cmp_gt_i32_e64 s17, 0, v178
	v_cmp_gt_i32_e64 s18, 0, v180
	v_cmp_ne_u32_e32 vcc_lo, 0, v177
	v_not_b32_e32 v177, v178
	v_not_b32_e32 v178, v180
	;; [unrolled: 1-line block ×3, first 2 shown]
	v_bitop3_b32 v65, vcc_lo, exec_lo, v65 bitop3:0x48
	s_delay_alu instid0(VALU_DEP_3) | instskip(SKIP_2) | instid1(VALU_DEP_2)
	v_dual_ashrrev_i32 v177, 31, v177 :: v_dual_ashrrev_i32 v178, 31, v178
	v_dual_lshlrev_b32 v182, 27, v179 :: v_dual_lshlrev_b32 v183, 26, v179
	v_lshlrev_b32_e32 v184, 25, v179
	v_not_b32_e32 v181, v182
	v_cmp_gt_i32_e64 s20, 0, v182
	s_delay_alu instid0(VALU_DEP_4) | instskip(SKIP_3) | instid1(VALU_DEP_3)
	v_cmp_gt_i32_e64 s21, 0, v183
	v_not_b32_e32 v182, v183
	v_not_b32_e32 v183, v184
	v_dual_ashrrev_i32 v180, 31, v180 :: v_dual_ashrrev_i32 v181, 31, v181
	v_dual_ashrrev_i32 v182, 31, v182 :: v_dual_bitop2_b32 v177, s17, v177 bitop3:0x14
	s_delay_alu instid0(VALU_DEP_3) | instskip(SKIP_1) | instid1(VALU_DEP_4)
	v_dual_ashrrev_i32 v183, 31, v183 :: v_dual_bitop2_b32 v178, s18, v178 bitop3:0x14
	v_cmp_gt_i32_e64 s22, 0, v184
	v_xor_b32_e32 v181, s20, v181
	s_delay_alu instid0(VALU_DEP_3)
	v_bitop3_b32 v65, v65, v178, v177 bitop3:0x80
	v_mad_u32_u24 v177, v179, 36, v25
	v_mul_u32_u24_e32 v179, 36, v179
	v_xor_b32_e32 v180, s19, v180
	v_xor_b32_e32 v178, s21, v182
	;; [unrolled: 1-line block ×3, first 2 shown]
	ds_load_b32 v177, v177 offset:544
	v_add_nc_u32_e32 v179, v25, v179
	v_bitop3_b32 v65, v65, v181, v180 bitop3:0x80
	; wave barrier
	s_delay_alu instid0(VALU_DEP_1) | instskip(NEXT) | instid1(VALU_DEP_1)
	v_bitop3_b32 v65, v65, v182, v178 bitop3:0x80
	v_mbcnt_lo_u32_b32 v178, v65, 0
	v_cmp_ne_u32_e64 s17, 0, v65
	s_delay_alu instid0(VALU_DEP_2) | instskip(SKIP_1) | instid1(SALU_CYCLE_1)
	v_cmp_eq_u32_e32 vcc_lo, 0, v178
	s_and_b32 s18, s17, vcc_lo
	s_and_saveexec_b32 s17, s18
	s_cbranch_execz .LBB1320_466
; %bb.465:                              ;   in Loop: Header=BB1320_410 Depth=2
	s_wait_dscnt 0x0
	v_bcnt_u32_b32 v65, v65, v177
	ds_store_b32 v179, v65 offset:544
.LBB1320_466:                           ;   in Loop: Header=BB1320_410 Depth=2
	s_or_b32 exec_lo, exec_lo, s17
	v_cmp_gt_i32_e32 vcc_lo, 0, v171
	; wave barrier
	v_cndmask_b32_e64 v65, 0x7fffffff, 0, vcc_lo
	s_delay_alu instid0(VALU_DEP_1) | instskip(NEXT) | instid1(VALU_DEP_1)
	v_xor_b32_e32 v171, v65, v171
	v_cmp_ne_u32_e32 vcc_lo, 0x80000000, v171
	v_cndmask_b32_e32 v65, 0x7fffffff, v171, vcc_lo
	s_delay_alu instid0(VALU_DEP_1) | instskip(NEXT) | instid1(VALU_DEP_1)
	v_lshrrev_b32_e32 v65, s48, v65
	v_bitop3_b32 v180, v65, 1, s58 bitop3:0x80
	v_and_b32_e32 v182, s58, v65
	s_delay_alu instid0(VALU_DEP_2) | instskip(NEXT) | instid1(VALU_DEP_1)
	v_add_co_u32 v65, s17, v180, -1
	v_cndmask_b32_e64 v180, 0, 1, s17
	s_delay_alu instid0(VALU_DEP_3) | instskip(NEXT) | instid1(VALU_DEP_2)
	v_lshlrev_b32_e32 v181, 30, v182
	v_cmp_ne_u32_e32 vcc_lo, 0, v180
	s_delay_alu instid0(VALU_DEP_2) | instskip(SKIP_1) | instid1(VALU_DEP_2)
	v_not_b32_e32 v180, v181
	v_bitop3_b32 v65, vcc_lo, exec_lo, v65 bitop3:0x48
	v_dual_ashrrev_i32 v180, 31, v180 :: v_dual_lshlrev_b32 v183, 29, v182
	v_dual_lshlrev_b32 v184, 28, v182 :: v_dual_lshlrev_b32 v185, 27, v182
	v_lshlrev_b32_e32 v186, 26, v182
	v_cmp_gt_i32_e64 s17, 0, v181
	s_delay_alu instid0(VALU_DEP_4)
	v_not_b32_e32 v181, v183
	v_lshlrev_b32_e32 v187, 25, v182
	v_cmp_gt_i32_e64 s18, 0, v183
	v_cmp_gt_i32_e64 s19, 0, v184
	v_not_b32_e32 v183, v184
	v_not_b32_e32 v184, v185
	v_ashrrev_i32_e32 v181, 31, v181
	v_cmp_gt_i32_e64 s20, 0, v185
	v_cmp_gt_i32_e64 s21, 0, v186
	v_not_b32_e32 v185, v186
	v_not_b32_e32 v186, v187
	v_dual_ashrrev_i32 v183, 31, v183 :: v_dual_ashrrev_i32 v184, 31, v184
	s_delay_alu instid0(VALU_DEP_3) | instskip(NEXT) | instid1(VALU_DEP_3)
	v_dual_ashrrev_i32 v185, 31, v185 :: v_dual_bitop2_b32 v180, s17, v180 bitop3:0x14
	v_dual_ashrrev_i32 v186, 31, v186 :: v_dual_bitop2_b32 v181, s18, v181 bitop3:0x14
	v_cmp_gt_i32_e64 s22, 0, v187
	s_delay_alu instid0(VALU_DEP_4) | instskip(NEXT) | instid1(VALU_DEP_3)
	v_xor_b32_e32 v184, s20, v184
	v_bitop3_b32 v65, v65, v181, v180 bitop3:0x80
	v_mad_u32_u24 v180, v182, 36, v25
	v_mul_u32_u24_e32 v182, 36, v182
	v_xor_b32_e32 v183, s19, v183
	v_xor_b32_e32 v181, s21, v185
	v_xor_b32_e32 v185, s22, v186
	ds_load_b32 v180, v180 offset:544
	v_add_nc_u32_e32 v182, v25, v182
	v_bitop3_b32 v65, v65, v184, v183 bitop3:0x80
	; wave barrier
	s_delay_alu instid0(VALU_DEP_1) | instskip(NEXT) | instid1(VALU_DEP_1)
	v_bitop3_b32 v65, v65, v185, v181 bitop3:0x80
	v_mbcnt_lo_u32_b32 v181, v65, 0
	v_cmp_ne_u32_e64 s17, 0, v65
	s_delay_alu instid0(VALU_DEP_2) | instskip(SKIP_1) | instid1(SALU_CYCLE_1)
	v_cmp_eq_u32_e32 vcc_lo, 0, v181
	s_and_b32 s18, s17, vcc_lo
	s_and_saveexec_b32 s17, s18
	s_cbranch_execz .LBB1320_468
; %bb.467:                              ;   in Loop: Header=BB1320_410 Depth=2
	s_wait_dscnt 0x0
	v_bcnt_u32_b32 v65, v65, v180
	ds_store_b32 v182, v65 offset:544
.LBB1320_468:                           ;   in Loop: Header=BB1320_410 Depth=2
	s_or_b32 exec_lo, exec_lo, s17
	v_cmp_gt_i32_e32 vcc_lo, 0, v166
	; wave barrier
	v_cndmask_b32_e64 v65, 0x7fffffff, 0, vcc_lo
	s_delay_alu instid0(VALU_DEP_1) | instskip(NEXT) | instid1(VALU_DEP_1)
	v_xor_b32_e32 v166, v65, v166
	v_cmp_ne_u32_e32 vcc_lo, 0x80000000, v166
	v_cndmask_b32_e32 v65, 0x7fffffff, v166, vcc_lo
	s_delay_alu instid0(VALU_DEP_1) | instskip(NEXT) | instid1(VALU_DEP_1)
	v_lshrrev_b32_e32 v65, s48, v65
	v_bitop3_b32 v183, v65, 1, s58 bitop3:0x80
	v_and_b32_e32 v186, s58, v65
	s_delay_alu instid0(VALU_DEP_2) | instskip(NEXT) | instid1(VALU_DEP_1)
	v_add_co_u32 v65, s17, v183, -1
	v_cndmask_b32_e64 v183, 0, 1, s17
	s_delay_alu instid0(VALU_DEP_3) | instskip(NEXT) | instid1(VALU_DEP_2)
	v_lshlrev_b32_e32 v184, 30, v186
	v_cmp_ne_u32_e32 vcc_lo, 0, v183
	s_delay_alu instid0(VALU_DEP_2) | instskip(SKIP_1) | instid1(VALU_DEP_2)
	v_not_b32_e32 v183, v184
	v_bitop3_b32 v65, vcc_lo, exec_lo, v65 bitop3:0x48
	v_dual_ashrrev_i32 v183, 31, v183 :: v_dual_lshlrev_b32 v185, 29, v186
	v_cmp_gt_i32_e64 s17, 0, v184
	v_dual_lshlrev_b32 v187, 28, v186 :: v_dual_lshlrev_b32 v188, 27, v186
	v_dual_lshlrev_b32 v189, 26, v186 :: v_dual_lshlrev_b32 v190, 25, v186
	s_delay_alu instid0(VALU_DEP_4) | instskip(SKIP_1) | instid1(VALU_DEP_4)
	v_not_b32_e32 v184, v185
	v_cmp_gt_i32_e64 s18, 0, v185
	v_cmp_gt_i32_e64 s19, 0, v187
	v_not_b32_e32 v185, v187
	v_cmp_gt_i32_e64 s20, 0, v188
	v_ashrrev_i32_e32 v184, 31, v184
	v_not_b32_e32 v187, v188
	v_cmp_gt_i32_e64 s21, 0, v189
	v_not_b32_e32 v188, v189
	v_not_b32_e32 v189, v190
	v_xor_b32_e32 v183, s17, v183
	v_dual_ashrrev_i32 v185, 31, v185 :: v_dual_bitop2_b32 v184, s18, v184 bitop3:0x14
	s_delay_alu instid0(VALU_DEP_4) | instskip(NEXT) | instid1(VALU_DEP_4)
	v_dual_ashrrev_i32 v187, 31, v187 :: v_dual_ashrrev_i32 v188, 31, v188
	v_ashrrev_i32_e32 v189, 31, v189
	s_delay_alu instid0(VALU_DEP_3)
	v_bitop3_b32 v65, v65, v184, v183 bitop3:0x80
	v_mad_u32_u24 v183, v186, 36, v25
	v_cmp_gt_i32_e64 s22, 0, v190
	v_xor_b32_e32 v187, s20, v187
	v_xor_b32_e32 v188, s21, v188
	ds_load_b32 v184, v183 offset:544
	v_mul_u32_u24_e32 v183, 36, v186
	v_xor_b32_e32 v185, s19, v185
	v_xor_b32_e32 v189, s22, v189
	; wave barrier
	s_delay_alu instid0(VALU_DEP_3) | instskip(NEXT) | instid1(VALU_DEP_3)
	v_add_nc_u32_e32 v186, v25, v183
	v_bitop3_b32 v65, v65, v187, v185 bitop3:0x80
	s_delay_alu instid0(VALU_DEP_1) | instskip(NEXT) | instid1(VALU_DEP_1)
	v_bitop3_b32 v65, v65, v189, v188 bitop3:0x80
	v_mbcnt_lo_u32_b32 v185, v65, 0
	v_cmp_ne_u32_e64 s17, 0, v65
	s_delay_alu instid0(VALU_DEP_2) | instskip(SKIP_1) | instid1(SALU_CYCLE_1)
	v_cmp_eq_u32_e32 vcc_lo, 0, v185
	s_and_b32 s18, s17, vcc_lo
	s_and_saveexec_b32 s17, s18
	s_cbranch_execz .LBB1320_470
; %bb.469:                              ;   in Loop: Header=BB1320_410 Depth=2
	s_wait_dscnt 0x0
	v_bcnt_u32_b32 v65, v65, v184
	ds_store_b32 v186, v65 offset:544
.LBB1320_470:                           ;   in Loop: Header=BB1320_410 Depth=2
	s_or_b32 exec_lo, exec_lo, s17
	v_cmp_gt_i32_e32 vcc_lo, 0, v161
	; wave barrier
	v_cndmask_b32_e64 v65, 0x7fffffff, 0, vcc_lo
	s_delay_alu instid0(VALU_DEP_1) | instskip(NEXT) | instid1(VALU_DEP_1)
	v_xor_b32_e32 v183, v65, v161
	v_cmp_ne_u32_e32 vcc_lo, 0x80000000, v183
	v_cndmask_b32_e32 v65, 0x7fffffff, v183, vcc_lo
	s_delay_alu instid0(VALU_DEP_1) | instskip(NEXT) | instid1(VALU_DEP_1)
	v_lshrrev_b32_e32 v65, s48, v65
	v_and_b32_e32 v187, s58, v65
	s_delay_alu instid0(VALU_DEP_1) | instskip(SKIP_3) | instid1(VALU_DEP_4)
	v_lshlrev_b32_e32 v189, 29, v187
	v_bitop3_b32 v161, v65, 1, s58 bitop3:0x80
	v_dual_lshlrev_b32 v188, 30, v187 :: v_dual_lshlrev_b32 v190, 28, v187
	v_lshlrev_b32_e32 v191, 27, v187
	v_cmp_gt_i32_e64 s18, 0, v189
	s_delay_alu instid0(VALU_DEP_4) | instskip(NEXT) | instid1(VALU_DEP_1)
	v_add_co_u32 v65, s17, v161, -1
	v_cndmask_b32_e64 v161, 0, 1, s17
	v_cmp_gt_i32_e64 s17, 0, v188
	v_cmp_gt_i32_e64 s19, 0, v190
	;; [unrolled: 1-line block ×3, first 2 shown]
	s_delay_alu instid0(VALU_DEP_4)
	v_cmp_ne_u32_e32 vcc_lo, 0, v161
	v_not_b32_e32 v161, v188
	v_not_b32_e32 v188, v189
	;; [unrolled: 1-line block ×4, first 2 shown]
	v_bitop3_b32 v65, vcc_lo, exec_lo, v65 bitop3:0x48
	s_delay_alu instid0(VALU_DEP_4) | instskip(NEXT) | instid1(VALU_DEP_3)
	v_dual_ashrrev_i32 v188, 31, v188 :: v_dual_ashrrev_i32 v161, 31, v161
	v_dual_ashrrev_i32 v190, 31, v190 :: v_dual_lshlrev_b32 v192, 26, v187
	s_delay_alu instid0(VALU_DEP_2) | instskip(NEXT) | instid1(VALU_DEP_2)
	v_dual_lshlrev_b32 v193, 25, v187 :: v_dual_bitop2_b32 v188, s18, v188 bitop3:0x14
	v_cmp_gt_i32_e64 s21, 0, v192
	v_not_b32_e32 v191, v192
	s_delay_alu instid0(VALU_DEP_3) | instskip(SKIP_3) | instid1(VALU_DEP_4)
	v_not_b32_e32 v192, v193
	v_xor_b32_e32 v161, s17, v161
	v_ashrrev_i32_e32 v189, 31, v189
	v_cmp_gt_i32_e64 s22, 0, v193
	v_dual_ashrrev_i32 v191, 31, v191 :: v_dual_ashrrev_i32 v192, 31, v192
	s_delay_alu instid0(VALU_DEP_4) | instskip(SKIP_2) | instid1(VALU_DEP_4)
	v_bitop3_b32 v65, v65, v188, v161 bitop3:0x80
	v_mad_u32_u24 v161, v187, 36, v25
	v_xor_b32_e32 v189, s19, v189
	v_xor_b32_e32 v191, s21, v191
	;; [unrolled: 1-line block ×3, first 2 shown]
	ds_load_b32 v188, v161 offset:544
	v_mul_u32_u24_e32 v161, 36, v187
	v_xor_b32_e32 v190, s20, v190
	; wave barrier
	s_delay_alu instid0(VALU_DEP_2) | instskip(NEXT) | instid1(VALU_DEP_2)
	v_add_nc_u32_e32 v161, v25, v161
	v_bitop3_b32 v65, v65, v190, v189 bitop3:0x80
	s_delay_alu instid0(VALU_DEP_1) | instskip(NEXT) | instid1(VALU_DEP_1)
	v_bitop3_b32 v65, v65, v192, v191 bitop3:0x80
	v_mbcnt_lo_u32_b32 v189, v65, 0
	v_cmp_ne_u32_e64 s17, 0, v65
	s_delay_alu instid0(VALU_DEP_2) | instskip(SKIP_1) | instid1(SALU_CYCLE_1)
	v_cmp_eq_u32_e32 vcc_lo, 0, v189
	s_and_b32 s18, s17, vcc_lo
	s_and_saveexec_b32 s17, s18
	s_cbranch_execz .LBB1320_472
; %bb.471:                              ;   in Loop: Header=BB1320_410 Depth=2
	s_wait_dscnt 0x0
	v_bcnt_u32_b32 v65, v65, v188
	ds_store_b32 v161, v65 offset:544
.LBB1320_472:                           ;   in Loop: Header=BB1320_410 Depth=2
	s_or_b32 exec_lo, exec_lo, s17
	v_cmp_gt_i32_e32 vcc_lo, 0, v157
	; wave barrier
	v_cndmask_b32_e64 v65, 0x7fffffff, 0, vcc_lo
	s_delay_alu instid0(VALU_DEP_1) | instskip(NEXT) | instid1(VALU_DEP_1)
	v_xor_b32_e32 v187, v65, v157
	v_cmp_ne_u32_e32 vcc_lo, 0x80000000, v187
	v_cndmask_b32_e32 v65, 0x7fffffff, v187, vcc_lo
	s_delay_alu instid0(VALU_DEP_1) | instskip(NEXT) | instid1(VALU_DEP_1)
	v_lshrrev_b32_e32 v65, s48, v65
	v_and_b32_e32 v190, s58, v65
	s_delay_alu instid0(VALU_DEP_1) | instskip(SKIP_2) | instid1(VALU_DEP_3)
	v_lshlrev_b32_e32 v193, 28, v190
	v_bitop3_b32 v157, v65, 1, s58 bitop3:0x80
	v_dual_lshlrev_b32 v191, 30, v190 :: v_dual_lshlrev_b32 v192, 29, v190
	v_cmp_gt_i32_e64 s19, 0, v193
	s_delay_alu instid0(VALU_DEP_3) | instskip(NEXT) | instid1(VALU_DEP_1)
	v_add_co_u32 v65, s17, v157, -1
	v_cndmask_b32_e64 v157, 0, 1, s17
	s_delay_alu instid0(VALU_DEP_4) | instskip(SKIP_1) | instid1(VALU_DEP_3)
	v_cmp_gt_i32_e64 s17, 0, v191
	v_cmp_gt_i32_e64 s18, 0, v192
	v_cmp_ne_u32_e32 vcc_lo, 0, v157
	v_not_b32_e32 v157, v191
	v_not_b32_e32 v191, v192
	;; [unrolled: 1-line block ×3, first 2 shown]
	v_bitop3_b32 v65, vcc_lo, exec_lo, v65 bitop3:0x48
	s_delay_alu instid0(VALU_DEP_3) | instskip(SKIP_1) | instid1(VALU_DEP_2)
	v_dual_ashrrev_i32 v157, 31, v157 :: v_dual_ashrrev_i32 v191, 31, v191
	v_dual_lshlrev_b32 v194, 27, v190 :: v_dual_lshlrev_b32 v195, 26, v190
	v_dual_lshlrev_b32 v196, 25, v190 :: v_dual_bitop2_b32 v191, s18, v191 bitop3:0x14
	s_delay_alu instid0(VALU_DEP_2) | instskip(SKIP_1) | instid1(VALU_DEP_4)
	v_not_b32_e32 v193, v194
	v_cmp_gt_i32_e64 s20, 0, v194
	v_cmp_gt_i32_e64 s21, 0, v195
	v_not_b32_e32 v194, v195
	v_not_b32_e32 v195, v196
	v_dual_ashrrev_i32 v192, 31, v192 :: v_dual_ashrrev_i32 v193, 31, v193
	s_delay_alu instid0(VALU_DEP_3) | instskip(SKIP_1) | instid1(VALU_DEP_3)
	v_dual_ashrrev_i32 v194, 31, v194 :: v_dual_bitop2_b32 v157, s17, v157 bitop3:0x14
	v_cmp_gt_i32_e64 s22, 0, v196
	v_dual_ashrrev_i32 v195, 31, v195 :: v_dual_bitop2_b32 v192, s19, v192 bitop3:0x14
	s_delay_alu instid0(VALU_DEP_4) | instskip(NEXT) | instid1(VALU_DEP_4)
	v_xor_b32_e32 v193, s20, v193
	v_bitop3_b32 v65, v65, v191, v157 bitop3:0x80
	v_mad_u32_u24 v157, v190, 36, v25
	v_xor_b32_e32 v194, s21, v194
	v_xor_b32_e32 v195, s22, v195
	s_delay_alu instid0(VALU_DEP_4) | instskip(SKIP_3) | instid1(VALU_DEP_2)
	v_bitop3_b32 v65, v65, v193, v192 bitop3:0x80
	ds_load_b32 v191, v157 offset:544
	v_mul_u32_u24_e32 v157, 36, v190
	; wave barrier
	v_bitop3_b32 v65, v65, v195, v194 bitop3:0x80
	v_add_nc_u32_e32 v157, v25, v157
	s_delay_alu instid0(VALU_DEP_2) | instskip(SKIP_1) | instid1(VALU_DEP_2)
	v_mbcnt_lo_u32_b32 v192, v65, 0
	v_cmp_ne_u32_e64 s17, 0, v65
	v_cmp_eq_u32_e32 vcc_lo, 0, v192
	s_and_b32 s18, s17, vcc_lo
	s_delay_alu instid0(SALU_CYCLE_1)
	s_and_saveexec_b32 s17, s18
	s_cbranch_execz .LBB1320_474
; %bb.473:                              ;   in Loop: Header=BB1320_410 Depth=2
	s_wait_dscnt 0x0
	v_bcnt_u32_b32 v65, v65, v191
	ds_store_b32 v157, v65 offset:544
.LBB1320_474:                           ;   in Loop: Header=BB1320_410 Depth=2
	s_or_b32 exec_lo, exec_lo, s17
	v_cmp_gt_i32_e32 vcc_lo, 0, v152
	; wave barrier
	v_cndmask_b32_e64 v65, 0x7fffffff, 0, vcc_lo
	s_delay_alu instid0(VALU_DEP_1) | instskip(NEXT) | instid1(VALU_DEP_1)
	v_xor_b32_e32 v190, v65, v152
	v_cmp_ne_u32_e32 vcc_lo, 0x80000000, v190
	v_cndmask_b32_e32 v65, 0x7fffffff, v190, vcc_lo
	s_delay_alu instid0(VALU_DEP_1) | instskip(NEXT) | instid1(VALU_DEP_1)
	v_lshrrev_b32_e32 v65, s48, v65
	v_bitop3_b32 v152, v65, 1, s58 bitop3:0x80
	v_and_b32_e32 v193, s58, v65
	s_delay_alu instid0(VALU_DEP_2) | instskip(NEXT) | instid1(VALU_DEP_1)
	v_add_co_u32 v65, s17, v152, -1
	v_cndmask_b32_e64 v152, 0, 1, s17
	s_delay_alu instid0(VALU_DEP_3) | instskip(NEXT) | instid1(VALU_DEP_2)
	v_lshlrev_b32_e32 v194, 30, v193
	v_cmp_ne_u32_e32 vcc_lo, 0, v152
	s_delay_alu instid0(VALU_DEP_2) | instskip(SKIP_2) | instid1(VALU_DEP_3)
	v_not_b32_e32 v152, v194
	v_cmp_gt_i32_e64 s17, 0, v194
	v_bitop3_b32 v65, vcc_lo, exec_lo, v65 bitop3:0x48
	v_dual_ashrrev_i32 v152, 31, v152 :: v_dual_lshlrev_b32 v195, 29, v193
	v_dual_lshlrev_b32 v196, 28, v193 :: v_dual_lshlrev_b32 v197, 27, v193
	v_lshlrev_b32_e32 v198, 26, v193
	s_delay_alu instid0(VALU_DEP_3)
	v_not_b32_e32 v194, v195
	v_lshlrev_b32_e32 v199, 25, v193
	v_cmp_gt_i32_e64 s18, 0, v195
	v_cmp_gt_i32_e64 s19, 0, v196
	v_not_b32_e32 v195, v196
	v_not_b32_e32 v196, v197
	v_ashrrev_i32_e32 v194, 31, v194
	v_cmp_gt_i32_e64 s20, 0, v197
	v_cmp_gt_i32_e64 s21, 0, v198
	v_not_b32_e32 v197, v198
	v_not_b32_e32 v198, v199
	v_dual_ashrrev_i32 v195, 31, v195 :: v_dual_ashrrev_i32 v196, 31, v196
	s_delay_alu instid0(VALU_DEP_3) | instskip(SKIP_2) | instid1(VALU_DEP_4)
	v_dual_ashrrev_i32 v197, 31, v197 :: v_dual_bitop2_b32 v152, s17, v152 bitop3:0x14
	v_xor_b32_e32 v194, s18, v194
	v_cmp_gt_i32_e64 s22, 0, v199
	v_dual_ashrrev_i32 v198, 31, v198 :: v_dual_bitop2_b32 v195, s19, v195 bitop3:0x14
	v_xor_b32_e32 v196, s20, v196
	s_delay_alu instid0(VALU_DEP_4) | instskip(SKIP_3) | instid1(VALU_DEP_4)
	v_bitop3_b32 v65, v65, v194, v152 bitop3:0x80
	v_mad_u32_u24 v152, v193, 36, v25
	v_xor_b32_e32 v197, s21, v197
	v_xor_b32_e32 v198, s22, v198
	v_bitop3_b32 v65, v65, v196, v195 bitop3:0x80
	ds_load_b32 v194, v152 offset:544
	v_mul_u32_u24_e32 v152, 36, v193
	; wave barrier
	v_bitop3_b32 v65, v65, v198, v197 bitop3:0x80
	s_delay_alu instid0(VALU_DEP_2) | instskip(NEXT) | instid1(VALU_DEP_2)
	v_add_nc_u32_e32 v152, v25, v152
	v_mbcnt_lo_u32_b32 v195, v65, 0
	v_cmp_ne_u32_e64 s17, 0, v65
	s_delay_alu instid0(VALU_DEP_2) | instskip(SKIP_1) | instid1(SALU_CYCLE_1)
	v_cmp_eq_u32_e32 vcc_lo, 0, v195
	s_and_b32 s18, s17, vcc_lo
	s_and_saveexec_b32 s17, s18
	s_cbranch_execz .LBB1320_476
; %bb.475:                              ;   in Loop: Header=BB1320_410 Depth=2
	s_wait_dscnt 0x0
	v_bcnt_u32_b32 v65, v65, v194
	ds_store_b32 v152, v65 offset:544
.LBB1320_476:                           ;   in Loop: Header=BB1320_410 Depth=2
	s_or_b32 exec_lo, exec_lo, s17
	v_cmp_gt_i32_e32 vcc_lo, 0, v67
	; wave barrier
	v_cndmask_b32_e64 v65, 0x7fffffff, 0, vcc_lo
	s_delay_alu instid0(VALU_DEP_1) | instskip(NEXT) | instid1(VALU_DEP_1)
	v_xor_b32_e32 v193, v65, v67
	v_cmp_ne_u32_e32 vcc_lo, 0x80000000, v193
	v_cndmask_b32_e32 v65, 0x7fffffff, v193, vcc_lo
	s_delay_alu instid0(VALU_DEP_1) | instskip(NEXT) | instid1(VALU_DEP_1)
	v_lshrrev_b32_e32 v65, s48, v65
	v_bitop3_b32 v67, v65, 1, s58 bitop3:0x80
	v_and_b32_e32 v196, s58, v65
	s_delay_alu instid0(VALU_DEP_2) | instskip(NEXT) | instid1(VALU_DEP_1)
	v_add_co_u32 v65, s17, v67, -1
	v_cndmask_b32_e64 v67, 0, 1, s17
	s_delay_alu instid0(VALU_DEP_3) | instskip(NEXT) | instid1(VALU_DEP_2)
	v_lshlrev_b32_e32 v197, 30, v196
	v_cmp_ne_u32_e32 vcc_lo, 0, v67
	s_delay_alu instid0(VALU_DEP_2) | instskip(SKIP_1) | instid1(VALU_DEP_2)
	v_not_b32_e32 v67, v197
	v_bitop3_b32 v65, vcc_lo, exec_lo, v65 bitop3:0x48
	v_dual_ashrrev_i32 v67, 31, v67 :: v_dual_lshlrev_b32 v198, 29, v196
	v_dual_lshlrev_b32 v199, 28, v196 :: v_dual_lshlrev_b32 v200, 27, v196
	v_lshlrev_b32_e32 v201, 26, v196
	v_cmp_gt_i32_e64 s17, 0, v197
	s_delay_alu instid0(VALU_DEP_4)
	v_not_b32_e32 v197, v198
	v_lshlrev_b32_e32 v202, 25, v196
	v_cmp_gt_i32_e64 s18, 0, v198
	v_cmp_gt_i32_e64 s19, 0, v199
	v_not_b32_e32 v198, v199
	v_not_b32_e32 v199, v200
	v_ashrrev_i32_e32 v197, 31, v197
	v_cmp_gt_i32_e64 s20, 0, v200
	v_cmp_gt_i32_e64 s21, 0, v201
	v_not_b32_e32 v200, v201
	v_not_b32_e32 v201, v202
	v_dual_ashrrev_i32 v198, 31, v198 :: v_dual_ashrrev_i32 v199, 31, v199
	s_delay_alu instid0(VALU_DEP_3) | instskip(SKIP_2) | instid1(VALU_DEP_4)
	v_dual_ashrrev_i32 v200, 31, v200 :: v_dual_bitop2_b32 v67, s17, v67 bitop3:0x14
	v_xor_b32_e32 v197, s18, v197
	v_cmp_gt_i32_e64 s22, 0, v202
	v_dual_ashrrev_i32 v201, 31, v201 :: v_dual_bitop2_b32 v198, s19, v198 bitop3:0x14
	v_xor_b32_e32 v199, s20, v199
	s_delay_alu instid0(VALU_DEP_4) | instskip(SKIP_3) | instid1(VALU_DEP_4)
	v_bitop3_b32 v65, v65, v197, v67 bitop3:0x80
	v_mad_u32_u24 v67, v196, 36, v25
	v_xor_b32_e32 v200, s21, v200
	v_xor_b32_e32 v201, s22, v201
	v_bitop3_b32 v65, v65, v199, v198 bitop3:0x80
	ds_load_b32 v197, v67 offset:544
	v_mul_u32_u24_e32 v67, 36, v196
	; wave barrier
	v_bitop3_b32 v65, v65, v201, v200 bitop3:0x80
	s_delay_alu instid0(VALU_DEP_2) | instskip(NEXT) | instid1(VALU_DEP_2)
	v_add_nc_u32_e32 v199, v25, v67
	v_mbcnt_lo_u32_b32 v198, v65, 0
	v_cmp_ne_u32_e64 s17, 0, v65
	s_delay_alu instid0(VALU_DEP_2) | instskip(SKIP_1) | instid1(SALU_CYCLE_1)
	v_cmp_eq_u32_e32 vcc_lo, 0, v198
	s_and_b32 s18, s17, vcc_lo
	s_and_saveexec_b32 s17, s18
	s_cbranch_execz .LBB1320_478
; %bb.477:                              ;   in Loop: Header=BB1320_410 Depth=2
	s_wait_dscnt 0x0
	v_bcnt_u32_b32 v65, v65, v197
	ds_store_b32 v199, v65 offset:544
.LBB1320_478:                           ;   in Loop: Header=BB1320_410 Depth=2
	s_or_b32 exec_lo, exec_lo, s17
	v_cmp_gt_i32_e32 vcc_lo, 0, v66
	; wave barrier
	v_cndmask_b32_e64 v65, 0x7fffffff, 0, vcc_lo
	s_delay_alu instid0(VALU_DEP_1) | instskip(NEXT) | instid1(VALU_DEP_1)
	v_xor_b32_e32 v196, v65, v66
	v_cmp_ne_u32_e32 vcc_lo, 0x80000000, v196
	v_cndmask_b32_e32 v65, 0x7fffffff, v196, vcc_lo
	s_delay_alu instid0(VALU_DEP_1) | instskip(NEXT) | instid1(VALU_DEP_1)
	v_lshrrev_b32_e32 v65, s48, v65
	v_bitop3_b32 v66, v65, 1, s58 bitop3:0x80
	v_and_b32_e32 v67, s58, v65
	s_delay_alu instid0(VALU_DEP_2) | instskip(NEXT) | instid1(VALU_DEP_1)
	v_add_co_u32 v65, s17, v66, -1
	v_cndmask_b32_e64 v66, 0, 1, s17
	s_delay_alu instid0(VALU_DEP_3) | instskip(NEXT) | instid1(VALU_DEP_2)
	v_lshlrev_b32_e32 v200, 30, v67
	v_cmp_ne_u32_e32 vcc_lo, 0, v66
	s_delay_alu instid0(VALU_DEP_2) | instskip(SKIP_2) | instid1(VALU_DEP_3)
	v_not_b32_e32 v66, v200
	v_cmp_gt_i32_e64 s17, 0, v200
	v_bitop3_b32 v65, vcc_lo, exec_lo, v65 bitop3:0x48
	v_dual_ashrrev_i32 v66, 31, v66 :: v_dual_lshlrev_b32 v201, 29, v67
	v_dual_lshlrev_b32 v202, 28, v67 :: v_dual_lshlrev_b32 v203, 27, v67
	v_lshlrev_b32_e32 v204, 26, v67
	s_delay_alu instid0(VALU_DEP_3)
	v_not_b32_e32 v200, v201
	v_lshlrev_b32_e32 v205, 25, v67
	v_cmp_gt_i32_e64 s18, 0, v201
	v_cmp_gt_i32_e64 s19, 0, v202
	v_not_b32_e32 v201, v202
	v_not_b32_e32 v202, v203
	v_ashrrev_i32_e32 v200, 31, v200
	v_cmp_gt_i32_e64 s20, 0, v203
	v_cmp_gt_i32_e64 s21, 0, v204
	v_not_b32_e32 v203, v204
	v_not_b32_e32 v204, v205
	v_dual_ashrrev_i32 v201, 31, v201 :: v_dual_ashrrev_i32 v202, 31, v202
	s_delay_alu instid0(VALU_DEP_3) | instskip(SKIP_2) | instid1(VALU_DEP_4)
	v_dual_ashrrev_i32 v203, 31, v203 :: v_dual_bitop2_b32 v66, s17, v66 bitop3:0x14
	v_xor_b32_e32 v200, s18, v200
	v_cmp_gt_i32_e64 s22, 0, v205
	v_dual_ashrrev_i32 v204, 31, v204 :: v_dual_bitop2_b32 v201, s19, v201 bitop3:0x14
	v_xor_b32_e32 v202, s20, v202
	s_delay_alu instid0(VALU_DEP_4) | instskip(SKIP_3) | instid1(VALU_DEP_4)
	v_bitop3_b32 v65, v65, v200, v66 bitop3:0x80
	v_mad_u32_u24 v66, v67, 36, v25
	v_xor_b32_e32 v200, s21, v203
	v_xor_b32_e32 v203, s22, v204
	v_bitop3_b32 v65, v65, v202, v201 bitop3:0x80
	ds_load_b32 v201, v66 offset:544
	v_mul_u32_u24_e32 v66, 36, v67
	; wave barrier
	v_bitop3_b32 v65, v65, v203, v200 bitop3:0x80
	s_delay_alu instid0(VALU_DEP_2) | instskip(NEXT) | instid1(VALU_DEP_2)
	v_add_nc_u32_e32 v203, v25, v66
	v_mbcnt_lo_u32_b32 v202, v65, 0
	v_cmp_ne_u32_e64 s17, 0, v65
	s_delay_alu instid0(VALU_DEP_2) | instskip(SKIP_1) | instid1(SALU_CYCLE_1)
	v_cmp_eq_u32_e32 vcc_lo, 0, v202
	s_and_b32 s18, s17, vcc_lo
	s_and_saveexec_b32 s17, s18
	s_cbranch_execz .LBB1320_480
; %bb.479:                              ;   in Loop: Header=BB1320_410 Depth=2
	s_wait_dscnt 0x0
	v_bcnt_u32_b32 v65, v65, v201
	ds_store_b32 v203, v65 offset:544
.LBB1320_480:                           ;   in Loop: Header=BB1320_410 Depth=2
	s_or_b32 exec_lo, exec_lo, s17
	v_cmp_gt_i32_e32 vcc_lo, 0, v64
	; wave barrier
	v_cndmask_b32_e64 v65, 0x7fffffff, 0, vcc_lo
	s_delay_alu instid0(VALU_DEP_1) | instskip(NEXT) | instid1(VALU_DEP_1)
	v_xor_b32_e32 v200, v65, v64
	v_cmp_ne_u32_e32 vcc_lo, 0x80000000, v200
	v_cndmask_b32_e32 v64, 0x7fffffff, v200, vcc_lo
	s_delay_alu instid0(VALU_DEP_1) | instskip(NEXT) | instid1(VALU_DEP_1)
	v_lshrrev_b32_e32 v64, s48, v64
	v_bitop3_b32 v65, v64, 1, s58 bitop3:0x80
	v_and_b32_e32 v66, s58, v64
	s_delay_alu instid0(VALU_DEP_2) | instskip(NEXT) | instid1(VALU_DEP_1)
	v_add_co_u32 v64, s17, v65, -1
	v_cndmask_b32_e64 v65, 0, 1, s17
	s_delay_alu instid0(VALU_DEP_3) | instskip(NEXT) | instid1(VALU_DEP_2)
	v_lshlrev_b32_e32 v67, 30, v66
	v_cmp_ne_u32_e32 vcc_lo, 0, v65
	s_delay_alu instid0(VALU_DEP_2) | instskip(SKIP_2) | instid1(VALU_DEP_3)
	v_not_b32_e32 v65, v67
	v_cmp_gt_i32_e64 s17, 0, v67
	v_bitop3_b32 v64, vcc_lo, exec_lo, v64 bitop3:0x48
	v_dual_ashrrev_i32 v65, 31, v65 :: v_dual_lshlrev_b32 v204, 29, v66
	v_dual_lshlrev_b32 v205, 28, v66 :: v_dual_lshlrev_b32 v206, 27, v66
	v_lshlrev_b32_e32 v207, 26, v66
	s_delay_alu instid0(VALU_DEP_3)
	v_not_b32_e32 v67, v204
	v_lshlrev_b32_e32 v208, 25, v66
	v_cmp_gt_i32_e64 s18, 0, v204
	v_cmp_gt_i32_e64 s19, 0, v205
	v_not_b32_e32 v204, v205
	v_not_b32_e32 v205, v206
	v_ashrrev_i32_e32 v67, 31, v67
	v_cmp_gt_i32_e64 s20, 0, v206
	v_cmp_gt_i32_e64 s21, 0, v207
	v_not_b32_e32 v206, v207
	v_not_b32_e32 v207, v208
	v_dual_ashrrev_i32 v204, 31, v204 :: v_dual_ashrrev_i32 v205, 31, v205
	s_delay_alu instid0(VALU_DEP_3) | instskip(SKIP_2) | instid1(VALU_DEP_4)
	v_dual_ashrrev_i32 v206, 31, v206 :: v_dual_bitop2_b32 v65, s17, v65 bitop3:0x14
	v_xor_b32_e32 v67, s18, v67
	v_cmp_gt_i32_e64 s22, 0, v208
	v_dual_ashrrev_i32 v207, 31, v207 :: v_dual_bitop2_b32 v204, s19, v204 bitop3:0x14
	v_xor_b32_e32 v205, s20, v205
	s_delay_alu instid0(VALU_DEP_4) | instskip(SKIP_3) | instid1(VALU_DEP_4)
	v_bitop3_b32 v64, v64, v67, v65 bitop3:0x80
	v_mad_u32_u24 v65, v66, 36, v25
	v_xor_b32_e32 v67, s21, v206
	v_xor_b32_e32 v206, s22, v207
	v_bitop3_b32 v64, v64, v205, v204 bitop3:0x80
	ds_load_b32 v204, v65 offset:544
	v_mul_u32_u24_e32 v65, 36, v66
	; wave barrier
	v_bitop3_b32 v64, v64, v206, v67 bitop3:0x80
	s_delay_alu instid0(VALU_DEP_2) | instskip(NEXT) | instid1(VALU_DEP_2)
	v_add_nc_u32_e32 v206, v25, v65
	v_mbcnt_lo_u32_b32 v205, v64, 0
	v_cmp_ne_u32_e64 s17, 0, v64
	s_delay_alu instid0(VALU_DEP_2) | instskip(SKIP_1) | instid1(SALU_CYCLE_1)
	v_cmp_eq_u32_e32 vcc_lo, 0, v205
	s_and_b32 s18, s17, vcc_lo
	s_and_saveexec_b32 s17, s18
	s_cbranch_execz .LBB1320_482
; %bb.481:                              ;   in Loop: Header=BB1320_410 Depth=2
	s_wait_dscnt 0x0
	v_bcnt_u32_b32 v64, v64, v204
	ds_store_b32 v206, v64 offset:544
.LBB1320_482:                           ;   in Loop: Header=BB1320_410 Depth=2
	s_or_b32 exec_lo, exec_lo, s17
	; wave barrier
	s_wait_dscnt 0x0
	s_barrier_signal -1
	s_barrier_wait -1
	ds_load_2addr_b32 v[66:67], v90 offset0:136 offset1:137
	ds_load_2addr_b32 v[64:65], v90 offset0:138 offset1:139
	ds_load_b32 v207, v90 offset:560
	s_wait_dscnt 0x1
	v_add3_u32 v208, v67, v66, v64
	s_wait_dscnt 0x0
	s_delay_alu instid0(VALU_DEP_1) | instskip(NEXT) | instid1(VALU_DEP_1)
	v_add3_u32 v207, v208, v65, v207
	v_mov_b32_dpp v208, v207 row_shr:1 row_mask:0xf bank_mask:0xf
	s_delay_alu instid0(VALU_DEP_1) | instskip(NEXT) | instid1(VALU_DEP_1)
	v_cndmask_b32_e64 v208, v208, 0, s9
	v_add_nc_u32_e32 v207, v208, v207
	s_delay_alu instid0(VALU_DEP_1) | instskip(NEXT) | instid1(VALU_DEP_1)
	v_mov_b32_dpp v208, v207 row_shr:2 row_mask:0xf bank_mask:0xf
	v_cndmask_b32_e64 v208, 0, v208, s10
	s_delay_alu instid0(VALU_DEP_1) | instskip(NEXT) | instid1(VALU_DEP_1)
	v_add_nc_u32_e32 v207, v207, v208
	v_mov_b32_dpp v208, v207 row_shr:4 row_mask:0xf bank_mask:0xf
	s_delay_alu instid0(VALU_DEP_1) | instskip(NEXT) | instid1(VALU_DEP_1)
	v_cndmask_b32_e64 v208, 0, v208, s11
	v_add_nc_u32_e32 v207, v207, v208
	s_delay_alu instid0(VALU_DEP_1) | instskip(NEXT) | instid1(VALU_DEP_1)
	v_mov_b32_dpp v208, v207 row_shr:8 row_mask:0xf bank_mask:0xf
	v_cndmask_b32_e64 v208, 0, v208, s12
	s_delay_alu instid0(VALU_DEP_1) | instskip(SKIP_3) | instid1(VALU_DEP_1)
	v_add_nc_u32_e32 v207, v207, v208
	ds_swizzle_b32 v208, v207 offset:swizzle(BROADCAST,32,15)
	s_wait_dscnt 0x0
	v_cndmask_b32_e64 v208, v208, 0, s13
	v_add_nc_u32_e32 v207, v207, v208
	s_and_saveexec_b32 s17, s2
; %bb.483:                              ;   in Loop: Header=BB1320_410 Depth=2
	ds_store_b32 v83, v207 offset:512
; %bb.484:                              ;   in Loop: Header=BB1320_410 Depth=2
	s_or_b32 exec_lo, exec_lo, s17
	s_wait_dscnt 0x0
	s_barrier_signal -1
	s_barrier_wait -1
	s_and_saveexec_b32 s17, s3
	s_cbranch_execz .LBB1320_486
; %bb.485:                              ;   in Loop: Header=BB1320_410 Depth=2
	ds_load_b32 v208, v92 offset:512
	s_wait_dscnt 0x0
	v_mov_b32_dpp v209, v208 row_shr:1 row_mask:0xf bank_mask:0xf
	s_delay_alu instid0(VALU_DEP_1) | instskip(NEXT) | instid1(VALU_DEP_1)
	v_cndmask_b32_e64 v209, v209, 0, s14
	v_add_nc_u32_e32 v208, v209, v208
	s_delay_alu instid0(VALU_DEP_1) | instskip(NEXT) | instid1(VALU_DEP_1)
	v_mov_b32_dpp v209, v208 row_shr:2 row_mask:0xf bank_mask:0xf
	v_cndmask_b32_e64 v209, 0, v209, s15
	s_delay_alu instid0(VALU_DEP_1) | instskip(NEXT) | instid1(VALU_DEP_1)
	v_add_nc_u32_e32 v208, v208, v209
	v_mov_b32_dpp v209, v208 row_shr:4 row_mask:0xf bank_mask:0xf
	s_delay_alu instid0(VALU_DEP_1) | instskip(NEXT) | instid1(VALU_DEP_1)
	v_cndmask_b32_e64 v209, 0, v209, s16
	v_add_nc_u32_e32 v208, v208, v209
	ds_store_b32 v92, v208 offset:512
.LBB1320_486:                           ;   in Loop: Header=BB1320_410 Depth=2
	s_or_b32 exec_lo, exec_lo, s17
	v_mov_b32_e32 v208, 0
	s_wait_dscnt 0x0
	s_barrier_signal -1
	s_barrier_wait -1
	s_and_saveexec_b32 s17, s5
; %bb.487:                              ;   in Loop: Header=BB1320_410 Depth=2
	ds_load_b32 v208, v83 offset:508
; %bb.488:                              ;   in Loop: Header=BB1320_410 Depth=2
	s_or_b32 exec_lo, exec_lo, s17
	s_wait_dscnt 0x0
	v_add_nc_u32_e32 v207, v208, v207
	ds_bpermute_b32 v207, v119, v207
	s_wait_dscnt 0x0
	v_cndmask_b32_e64 v207, v207, v208, s8
	s_delay_alu instid0(VALU_DEP_1) | instskip(NEXT) | instid1(VALU_DEP_1)
	v_cndmask_b32_e64 v207, v207, 0, s6
	v_add_nc_u32_e32 v66, v207, v66
	s_delay_alu instid0(VALU_DEP_1) | instskip(NEXT) | instid1(VALU_DEP_1)
	v_add_nc_u32_e32 v67, v66, v67
	v_add_nc_u32_e32 v64, v67, v64
	s_delay_alu instid0(VALU_DEP_1)
	v_add_nc_u32_e32 v65, v64, v65
	ds_store_2addr_b32 v90, v207, v66 offset0:136 offset1:137
	ds_store_2addr_b32 v90, v67, v64 offset0:138 offset1:139
	ds_store_b32 v90, v65 offset:560
	s_wait_dscnt 0x0
	s_barrier_signal -1
	s_barrier_wait -1
	ds_load_b32 v66, v143 offset:544
	ds_load_b32 v67, v147 offset:544
	;; [unrolled: 1-line block ×17, first 2 shown]
	s_and_saveexec_b32 s17, s0
	s_cbranch_execz .LBB1320_492
; %bb.489:                              ;   in Loop: Header=BB1320_410 Depth=2
	ds_load_b32 v133, v94 offset:544
	v_mov_b32_e32 v138, 0x1100
	s_and_saveexec_b32 s18, s7
; %bb.490:                              ;   in Loop: Header=BB1320_410 Depth=2
	ds_load_b32 v138, v93 offset:544
; %bb.491:                              ;   in Loop: Header=BB1320_410 Depth=2
	s_or_b32 exec_lo, exec_lo, s18
	s_wait_dscnt 0x0
	v_sub_nc_u32_e32 v138, v138, v133
.LBB1320_492:                           ;   in Loop: Header=BB1320_410 Depth=2
	s_or_b32 exec_lo, exec_lo, s17
	s_wait_dscnt 0x0
	s_barrier_signal -1
	s_barrier_wait -1
	s_and_saveexec_b32 s17, s0
	s_cbranch_execz .LBB1320_494
; %bb.493:                              ;   in Loop: Header=BB1320_410 Depth=2
	ds_load_b32 v152, v4
	s_wait_dscnt 0x0
	v_sub_nc_u32_e32 v152, v152, v133
	ds_store_b32 v4, v152
.LBB1320_494:                           ;   in Loop: Header=BB1320_410 Depth=2
	s_or_b32 exec_lo, exec_lo, s17
	v_add3_u32 v156, v155, v154, v147
	v_add_nc_u32_e32 v162, v66, v141
	v_add3_u32 v161, v146, v145, v67
	v_add3_u32 v157, v150, v149, v143
	;; [unrolled: 1-line block ×4, first 2 shown]
	v_dual_lshlrev_b32 v65, 2, v156 :: v_dual_lshlrev_b32 v159, 2, v162
	v_lshlrev_b32_e32 v160, 2, v161
	v_add3_u32 v154, v165, v164, v207
	v_add3_u32 v152, v170, v169, v172
	;; [unrolled: 1-line block ×4, first 2 shown]
	v_lshlrev_b32_e32 v64, 2, v157
	v_add3_u32 v150, v178, v177, v179
	v_add3_u32 v149, v181, v180, v182
	ds_store_b32 v159, v140 offset:512
	ds_store_b32 v160, v142 offset:512
	v_lshlrev_b32_e32 v140, 2, v155
	v_add3_u32 v147, v185, v184, v186
	v_dual_lshlrev_b32 v142, 2, v154 :: v_dual_lshlrev_b32 v159, 2, v152
	v_add3_u32 v146, v189, v188, v208
	v_add3_u32 v67, v192, v191, v209
	ds_store_b32 v64, v144 offset:512
	ds_store_b32 v65, v148 offset:512
	;; [unrolled: 1-line block ×5, first 2 shown]
	v_dual_lshlrev_b32 v64, 2, v151 :: v_dual_lshlrev_b32 v65, 2, v150
	v_add3_u32 v66, v195, v194, v210
	v_dual_lshlrev_b32 v140, 2, v149 :: v_dual_lshlrev_b32 v142, 2, v147
	v_add3_u32 v141, v205, v204, v167
	v_lshlrev_b32_e32 v144, 2, v146
	ds_store_b32 v64, v168 offset:512
	ds_store_b32 v65, v173 offset:512
	;; [unrolled: 1-line block ×5, first 2 shown]
	v_lshlrev_b32_e32 v64, 2, v67
	v_cmp_lt_u32_e32 vcc_lo, v2, v139
	v_dual_lshlrev_b32 v65, 2, v66 :: v_dual_lshlrev_b32 v140, 2, v145
	v_dual_lshlrev_b32 v142, 2, v143 :: v_dual_lshlrev_b32 v144, 2, v141
	ds_store_b32 v64, v187 offset:512
	ds_store_b32 v65, v190 offset:512
	;; [unrolled: 1-line block ×5, first 2 shown]
	s_wait_dscnt 0x0
	s_barrier_signal -1
	s_barrier_wait -1
	s_and_saveexec_b32 s18, vcc_lo
	s_cbranch_execnz .LBB1320_567
; %bb.495:                              ;   in Loop: Header=BB1320_410 Depth=2
	s_or_b32 exec_lo, exec_lo, s18
	v_cmp_lt_u32_e64 s17, v3, v139
	s_and_saveexec_b32 s19, s17
	s_cbranch_execnz .LBB1320_568
.LBB1320_496:                           ;   in Loop: Header=BB1320_410 Depth=2
	s_or_b32 exec_lo, exec_lo, s19
	v_cmp_lt_u32_e64 s18, v68, v139
	s_and_saveexec_b32 s20, s18
	s_cbranch_execnz .LBB1320_569
.LBB1320_497:                           ;   in Loop: Header=BB1320_410 Depth=2
	s_or_b32 exec_lo, exec_lo, s20
	v_cmp_lt_u32_e64 s19, v69, v139
	s_and_saveexec_b32 s21, s19
	s_cbranch_execnz .LBB1320_570
.LBB1320_498:                           ;   in Loop: Header=BB1320_410 Depth=2
	s_or_b32 exec_lo, exec_lo, s21
	v_cmp_lt_u32_e64 s20, v70, v139
	s_and_saveexec_b32 s22, s20
	s_cbranch_execnz .LBB1320_571
.LBB1320_499:                           ;   in Loop: Header=BB1320_410 Depth=2
	s_or_b32 exec_lo, exec_lo, s22
	v_cmp_lt_u32_e64 s21, v71, v139
	s_and_saveexec_b32 s23, s21
	s_cbranch_execnz .LBB1320_572
.LBB1320_500:                           ;   in Loop: Header=BB1320_410 Depth=2
	s_or_b32 exec_lo, exec_lo, s23
	v_cmp_lt_u32_e64 s22, v72, v139
	s_and_saveexec_b32 s24, s22
	s_cbranch_execnz .LBB1320_573
.LBB1320_501:                           ;   in Loop: Header=BB1320_410 Depth=2
	s_or_b32 exec_lo, exec_lo, s24
	v_cmp_lt_u32_e64 s23, v73, v139
	s_and_saveexec_b32 s25, s23
	s_cbranch_execnz .LBB1320_574
.LBB1320_502:                           ;   in Loop: Header=BB1320_410 Depth=2
	s_or_b32 exec_lo, exec_lo, s25
	v_cmp_lt_u32_e64 s24, v74, v139
	s_and_saveexec_b32 s26, s24
	s_cbranch_execnz .LBB1320_575
.LBB1320_503:                           ;   in Loop: Header=BB1320_410 Depth=2
	s_or_b32 exec_lo, exec_lo, s26
	v_cmp_lt_u32_e64 s25, v75, v139
	s_and_saveexec_b32 s27, s25
	s_cbranch_execnz .LBB1320_576
.LBB1320_504:                           ;   in Loop: Header=BB1320_410 Depth=2
	s_or_b32 exec_lo, exec_lo, s27
	v_cmp_lt_u32_e64 s26, v76, v139
	s_and_saveexec_b32 s28, s26
	s_cbranch_execnz .LBB1320_577
.LBB1320_505:                           ;   in Loop: Header=BB1320_410 Depth=2
	s_or_b32 exec_lo, exec_lo, s28
	v_cmp_lt_u32_e64 s27, v77, v139
	s_and_saveexec_b32 s29, s27
	s_cbranch_execnz .LBB1320_578
.LBB1320_506:                           ;   in Loop: Header=BB1320_410 Depth=2
	s_or_b32 exec_lo, exec_lo, s29
	v_cmp_lt_u32_e64 s28, v78, v139
	s_and_saveexec_b32 s30, s28
	s_cbranch_execnz .LBB1320_579
.LBB1320_507:                           ;   in Loop: Header=BB1320_410 Depth=2
	s_or_b32 exec_lo, exec_lo, s30
	v_cmp_lt_u32_e64 s29, v79, v139
	s_and_saveexec_b32 s31, s29
	s_cbranch_execnz .LBB1320_580
.LBB1320_508:                           ;   in Loop: Header=BB1320_410 Depth=2
	s_or_b32 exec_lo, exec_lo, s31
	v_cmp_lt_u32_e64 s30, v80, v139
	s_and_saveexec_b32 s33, s30
	s_cbranch_execnz .LBB1320_581
.LBB1320_509:                           ;   in Loop: Header=BB1320_410 Depth=2
	s_or_b32 exec_lo, exec_lo, s33
	v_cmp_lt_u32_e64 s31, v81, v139
	s_and_saveexec_b32 s34, s31
	s_cbranch_execnz .LBB1320_582
.LBB1320_510:                           ;   in Loop: Header=BB1320_410 Depth=2
	s_or_b32 exec_lo, exec_lo, s34
	v_cmp_lt_u32_e64 s33, v82, v139
	s_and_saveexec_b32 s61, s33
	s_cbranch_execz .LBB1320_512
.LBB1320_511:                           ;   in Loop: Header=BB1320_410 Depth=2
	ds_load_b32 v64, v92 offset:16896
	s_wait_dscnt 0x0
	v_cmp_ne_u32_e64 s34, 0x80000000, v64
	s_delay_alu instid0(VALU_DEP_1) | instskip(SKIP_1) | instid1(VALU_DEP_1)
	v_cndmask_b32_e64 v65, 0x7fffffff, v64, s34
	v_cmp_gt_i32_e64 s34, 0, v64
	v_cndmask_b32_e64 v140, 0x7fffffff, 0, s34
	s_delay_alu instid0(VALU_DEP_1) | instskip(NEXT) | instid1(VALU_DEP_1)
	v_dual_lshrrev_b32 v65, s48, v65 :: v_dual_bitop2_b32 v64, v140, v64 bitop3:0x14
	v_and_b32_e32 v65, s58, v65
	s_delay_alu instid0(VALU_DEP_1)
	v_lshlrev_b32_e32 v65, 2, v65
	ds_load_b32 v65, v65
	s_wait_dscnt 0x0
	v_add_nc_u32_e32 v65, v65, v82
	global_store_b32 v65, v64, s[40:41] scale_offset
.LBB1320_512:                           ;   in Loop: Header=BB1320_410 Depth=2
	s_wait_xcnt 0x0
	s_or_b32 exec_lo, exec_lo, s61
	v_lshl_add_u64 v[64:65], s[42:43], 3, v[26:27]
	v_cmp_lt_u32_e64 s34, v101, v139
	s_and_saveexec_b32 s42, s34
	s_delay_alu instid0(SALU_CYCLE_1)
	s_xor_b32 s34, exec_lo, s42
	s_cbranch_execnz .LBB1320_583
; %bb.513:                              ;   in Loop: Header=BB1320_410 Depth=2
	s_or_b32 exec_lo, exec_lo, s34
	s_delay_alu instid0(SALU_CYCLE_1)
	s_mov_b32 s42, exec_lo
	v_cmpx_lt_u32_e64 v104, v139
	s_cbranch_execnz .LBB1320_584
.LBB1320_514:                           ;   in Loop: Header=BB1320_410 Depth=2
	s_or_b32 exec_lo, exec_lo, s42
	s_delay_alu instid0(SALU_CYCLE_1)
	s_mov_b32 s42, exec_lo
	v_cmpx_lt_u32_e64 v105, v139
	s_cbranch_execnz .LBB1320_585
.LBB1320_515:                           ;   in Loop: Header=BB1320_410 Depth=2
	s_or_b32 exec_lo, exec_lo, s42
	s_delay_alu instid0(SALU_CYCLE_1)
	s_mov_b32 s42, exec_lo
	v_cmpx_lt_u32_e64 v106, v139
	s_cbranch_execnz .LBB1320_586
.LBB1320_516:                           ;   in Loop: Header=BB1320_410 Depth=2
	s_or_b32 exec_lo, exec_lo, s42
	s_delay_alu instid0(SALU_CYCLE_1)
	s_mov_b32 s42, exec_lo
	v_cmpx_lt_u32_e64 v107, v139
	s_cbranch_execnz .LBB1320_587
.LBB1320_517:                           ;   in Loop: Header=BB1320_410 Depth=2
	s_or_b32 exec_lo, exec_lo, s42
	s_delay_alu instid0(SALU_CYCLE_1)
	s_mov_b32 s42, exec_lo
	v_cmpx_lt_u32_e64 v108, v139
	s_cbranch_execnz .LBB1320_588
.LBB1320_518:                           ;   in Loop: Header=BB1320_410 Depth=2
	s_or_b32 exec_lo, exec_lo, s42
	s_delay_alu instid0(SALU_CYCLE_1)
	s_mov_b32 s42, exec_lo
	v_cmpx_lt_u32_e64 v109, v139
	s_cbranch_execnz .LBB1320_589
.LBB1320_519:                           ;   in Loop: Header=BB1320_410 Depth=2
	s_or_b32 exec_lo, exec_lo, s42
	s_delay_alu instid0(SALU_CYCLE_1)
	s_mov_b32 s42, exec_lo
	v_cmpx_lt_u32_e64 v110, v139
	s_cbranch_execnz .LBB1320_590
.LBB1320_520:                           ;   in Loop: Header=BB1320_410 Depth=2
	s_or_b32 exec_lo, exec_lo, s42
	s_delay_alu instid0(SALU_CYCLE_1)
	s_mov_b32 s42, exec_lo
	v_cmpx_lt_u32_e64 v111, v139
	s_cbranch_execnz .LBB1320_591
.LBB1320_521:                           ;   in Loop: Header=BB1320_410 Depth=2
	s_or_b32 exec_lo, exec_lo, s42
	s_delay_alu instid0(SALU_CYCLE_1)
	s_mov_b32 s42, exec_lo
	v_cmpx_lt_u32_e64 v112, v139
	s_cbranch_execnz .LBB1320_592
.LBB1320_522:                           ;   in Loop: Header=BB1320_410 Depth=2
	s_or_b32 exec_lo, exec_lo, s42
	s_delay_alu instid0(SALU_CYCLE_1)
	s_mov_b32 s42, exec_lo
	v_cmpx_lt_u32_e64 v113, v139
	s_cbranch_execnz .LBB1320_593
.LBB1320_523:                           ;   in Loop: Header=BB1320_410 Depth=2
	s_or_b32 exec_lo, exec_lo, s42
	s_delay_alu instid0(SALU_CYCLE_1)
	s_mov_b32 s42, exec_lo
	v_cmpx_lt_u32_e64 v114, v139
	s_cbranch_execnz .LBB1320_594
.LBB1320_524:                           ;   in Loop: Header=BB1320_410 Depth=2
	s_or_b32 exec_lo, exec_lo, s42
	s_delay_alu instid0(SALU_CYCLE_1)
	s_mov_b32 s42, exec_lo
	v_cmpx_lt_u32_e64 v115, v139
	s_cbranch_execnz .LBB1320_595
.LBB1320_525:                           ;   in Loop: Header=BB1320_410 Depth=2
	s_or_b32 exec_lo, exec_lo, s42
	s_delay_alu instid0(SALU_CYCLE_1)
	s_mov_b32 s42, exec_lo
	v_cmpx_lt_u32_e64 v116, v139
	s_cbranch_execnz .LBB1320_596
.LBB1320_526:                           ;   in Loop: Header=BB1320_410 Depth=2
	s_or_b32 exec_lo, exec_lo, s42
	s_delay_alu instid0(SALU_CYCLE_1)
	s_mov_b32 s42, exec_lo
	v_cmpx_lt_u32_e64 v117, v139
	s_cbranch_execnz .LBB1320_597
.LBB1320_527:                           ;   in Loop: Header=BB1320_410 Depth=2
	s_or_b32 exec_lo, exec_lo, s42
	s_delay_alu instid0(SALU_CYCLE_1)
	s_mov_b32 s42, exec_lo
	v_cmpx_lt_u32_e64 v118, v139
	s_cbranch_execnz .LBB1320_598
.LBB1320_528:                           ;   in Loop: Header=BB1320_410 Depth=2
	s_or_b32 exec_lo, exec_lo, s42
	s_delay_alu instid0(SALU_CYCLE_1)
	s_mov_b32 s42, exec_lo
	v_cmpx_lt_u32_e64 v5, v139
	s_cbranch_execnz .LBB1320_599
.LBB1320_529:                           ;   in Loop: Header=BB1320_410 Depth=2
	s_or_b32 exec_lo, exec_lo, s42
	s_and_saveexec_b32 s42, vcc_lo
	s_cbranch_execnz .LBB1320_600
.LBB1320_530:                           ;   in Loop: Header=BB1320_410 Depth=2
	s_or_b32 exec_lo, exec_lo, s42
	s_and_saveexec_b32 s42, s17
	s_cbranch_execnz .LBB1320_601
.LBB1320_531:                           ;   in Loop: Header=BB1320_410 Depth=2
	s_or_b32 exec_lo, exec_lo, s42
	s_and_saveexec_b32 s42, s18
	s_cbranch_execnz .LBB1320_602
.LBB1320_532:                           ;   in Loop: Header=BB1320_410 Depth=2
	s_or_b32 exec_lo, exec_lo, s42
	s_and_saveexec_b32 s42, s19
	s_cbranch_execnz .LBB1320_603
.LBB1320_533:                           ;   in Loop: Header=BB1320_410 Depth=2
	s_or_b32 exec_lo, exec_lo, s42
	s_and_saveexec_b32 s42, s20
	s_cbranch_execnz .LBB1320_604
.LBB1320_534:                           ;   in Loop: Header=BB1320_410 Depth=2
	s_or_b32 exec_lo, exec_lo, s42
	s_and_saveexec_b32 s42, s21
	s_cbranch_execnz .LBB1320_605
.LBB1320_535:                           ;   in Loop: Header=BB1320_410 Depth=2
	s_or_b32 exec_lo, exec_lo, s42
	s_and_saveexec_b32 s42, s22
	s_cbranch_execnz .LBB1320_606
.LBB1320_536:                           ;   in Loop: Header=BB1320_410 Depth=2
	s_or_b32 exec_lo, exec_lo, s42
	s_and_saveexec_b32 s42, s23
	s_cbranch_execnz .LBB1320_607
.LBB1320_537:                           ;   in Loop: Header=BB1320_410 Depth=2
	s_or_b32 exec_lo, exec_lo, s42
	s_and_saveexec_b32 s42, s24
	s_cbranch_execnz .LBB1320_608
.LBB1320_538:                           ;   in Loop: Header=BB1320_410 Depth=2
	s_or_b32 exec_lo, exec_lo, s42
	s_and_saveexec_b32 s42, s25
	s_cbranch_execnz .LBB1320_609
.LBB1320_539:                           ;   in Loop: Header=BB1320_410 Depth=2
	s_or_b32 exec_lo, exec_lo, s42
	s_and_saveexec_b32 s42, s26
	s_cbranch_execnz .LBB1320_610
.LBB1320_540:                           ;   in Loop: Header=BB1320_410 Depth=2
	s_or_b32 exec_lo, exec_lo, s42
	s_and_saveexec_b32 s42, s27
	s_cbranch_execnz .LBB1320_611
.LBB1320_541:                           ;   in Loop: Header=BB1320_410 Depth=2
	s_or_b32 exec_lo, exec_lo, s42
	s_and_saveexec_b32 s42, s28
	s_cbranch_execnz .LBB1320_612
.LBB1320_542:                           ;   in Loop: Header=BB1320_410 Depth=2
	s_or_b32 exec_lo, exec_lo, s42
	s_and_saveexec_b32 s42, s29
	s_cbranch_execnz .LBB1320_613
.LBB1320_543:                           ;   in Loop: Header=BB1320_410 Depth=2
	s_or_b32 exec_lo, exec_lo, s42
	s_and_saveexec_b32 s42, s30
	s_cbranch_execnz .LBB1320_614
.LBB1320_544:                           ;   in Loop: Header=BB1320_410 Depth=2
	s_or_b32 exec_lo, exec_lo, s42
	s_and_saveexec_b32 s42, s31
	s_cbranch_execnz .LBB1320_615
.LBB1320_545:                           ;   in Loop: Header=BB1320_410 Depth=2
	s_or_b32 exec_lo, exec_lo, s42
	s_and_saveexec_b32 s42, s33
	s_cbranch_execz .LBB1320_547
.LBB1320_546:                           ;   in Loop: Header=BB1320_410 Depth=2
	ds_load_b32 v64, v92 offset:16896
	s_wait_dscnt 0x0
	v_cmp_ne_u32_e64 s34, 0x80000000, v64
	s_delay_alu instid0(VALU_DEP_1) | instskip(NEXT) | instid1(VALU_DEP_1)
	v_cndmask_b32_e64 v64, 0x7fffffff, v64, s34
	v_lshrrev_b32_e32 v64, s48, v64
	s_delay_alu instid0(VALU_DEP_1)
	v_and_b32_e32 v120, s58, v64
.LBB1320_547:                           ;   in Loop: Header=BB1320_410 Depth=2
	s_or_b32 exec_lo, exec_lo, s42
	v_dual_lshlrev_b32 v64, 3, v162 :: v_dual_lshlrev_b32 v65, 3, v161
	s_wait_loadcnt 0x0
	s_wait_storecnt 0x0
	s_barrier_signal -1
	s_barrier_wait -1
	ds_store_b64 v64, v[62:63] offset:512
	ds_store_b64 v65, v[60:61] offset:512
	v_dual_lshlrev_b32 v64, 3, v157 :: v_dual_lshlrev_b32 v65, 3, v156
	v_dual_lshlrev_b32 v139, 3, v155 :: v_dual_lshlrev_b32 v140, 3, v154
	v_lshlrev_b32_e32 v142, 3, v152
	ds_store_b64 v64, v[58:59] offset:512
	ds_store_b64 v65, v[56:57] offset:512
	ds_store_b64 v139, v[54:55] offset:512
	ds_store_b64 v140, v[52:53] offset:512
	ds_store_b64 v142, v[50:51] offset:512
	v_dual_lshlrev_b32 v64, 3, v151 :: v_dual_lshlrev_b32 v65, 3, v150
	v_dual_lshlrev_b32 v139, 3, v149 :: v_dual_lshlrev_b32 v140, 3, v147
	v_lshlrev_b32_e32 v142, 3, v146
	ds_store_b64 v64, v[48:49] offset:512
	ds_store_b64 v65, v[46:47] offset:512
	ds_store_b64 v139, v[44:45] offset:512
	;; [unrolled: 8-line block ×3, first 2 shown]
	ds_store_b64 v67, v[32:33] offset:512
	ds_store_b64 v139, v[30:31] offset:512
	s_wait_dscnt 0x0
	s_barrier_signal -1
	s_barrier_wait -1
	s_and_saveexec_b32 s34, vcc_lo
	s_cbranch_execnz .LBB1320_616
; %bb.548:                              ;   in Loop: Header=BB1320_410 Depth=2
	s_or_b32 exec_lo, exec_lo, s34
	s_and_saveexec_b32 s34, s17
	s_cbranch_execnz .LBB1320_617
.LBB1320_549:                           ;   in Loop: Header=BB1320_410 Depth=2
	s_or_b32 exec_lo, exec_lo, s34
	s_and_saveexec_b32 s17, s18
	s_cbranch_execnz .LBB1320_618
.LBB1320_550:                           ;   in Loop: Header=BB1320_410 Depth=2
	s_or_b32 exec_lo, exec_lo, s17
	s_and_saveexec_b32 s17, s19
	s_cbranch_execnz .LBB1320_619
.LBB1320_551:                           ;   in Loop: Header=BB1320_410 Depth=2
	s_or_b32 exec_lo, exec_lo, s17
	s_and_saveexec_b32 s17, s20
	s_cbranch_execnz .LBB1320_620
.LBB1320_552:                           ;   in Loop: Header=BB1320_410 Depth=2
	s_or_b32 exec_lo, exec_lo, s17
	s_and_saveexec_b32 s17, s21
	s_cbranch_execnz .LBB1320_621
.LBB1320_553:                           ;   in Loop: Header=BB1320_410 Depth=2
	s_or_b32 exec_lo, exec_lo, s17
	s_and_saveexec_b32 s17, s22
	s_cbranch_execnz .LBB1320_622
.LBB1320_554:                           ;   in Loop: Header=BB1320_410 Depth=2
	s_or_b32 exec_lo, exec_lo, s17
	s_and_saveexec_b32 s17, s23
	s_cbranch_execnz .LBB1320_623
.LBB1320_555:                           ;   in Loop: Header=BB1320_410 Depth=2
	s_or_b32 exec_lo, exec_lo, s17
	s_and_saveexec_b32 s17, s24
	s_cbranch_execnz .LBB1320_624
.LBB1320_556:                           ;   in Loop: Header=BB1320_410 Depth=2
	s_or_b32 exec_lo, exec_lo, s17
	s_and_saveexec_b32 s17, s25
	s_cbranch_execnz .LBB1320_625
.LBB1320_557:                           ;   in Loop: Header=BB1320_410 Depth=2
	s_or_b32 exec_lo, exec_lo, s17
	s_and_saveexec_b32 s17, s26
	s_cbranch_execnz .LBB1320_626
.LBB1320_558:                           ;   in Loop: Header=BB1320_410 Depth=2
	s_or_b32 exec_lo, exec_lo, s17
	s_and_saveexec_b32 s17, s27
	s_cbranch_execnz .LBB1320_627
.LBB1320_559:                           ;   in Loop: Header=BB1320_410 Depth=2
	s_or_b32 exec_lo, exec_lo, s17
	s_and_saveexec_b32 s17, s28
	s_cbranch_execnz .LBB1320_628
.LBB1320_560:                           ;   in Loop: Header=BB1320_410 Depth=2
	s_or_b32 exec_lo, exec_lo, s17
	s_and_saveexec_b32 s17, s29
	s_cbranch_execnz .LBB1320_629
.LBB1320_561:                           ;   in Loop: Header=BB1320_410 Depth=2
	s_or_b32 exec_lo, exec_lo, s17
	s_and_saveexec_b32 s17, s30
	s_cbranch_execnz .LBB1320_630
.LBB1320_562:                           ;   in Loop: Header=BB1320_410 Depth=2
	s_or_b32 exec_lo, exec_lo, s17
	s_and_saveexec_b32 s17, s31
	s_cbranch_execnz .LBB1320_631
.LBB1320_563:                           ;   in Loop: Header=BB1320_410 Depth=2
	s_or_b32 exec_lo, exec_lo, s17
	s_and_saveexec_b32 s17, s33
	s_cbranch_execz .LBB1320_565
.LBB1320_564:                           ;   in Loop: Header=BB1320_410 Depth=2
	v_lshlrev_b32_e32 v64, 2, v120
	v_add_nc_u32_e32 v65, v92, v4
	ds_load_b32 v66, v64
	ds_load_b64 v[64:65], v65 offset:33280
	s_wait_dscnt 0x1
	v_add_nc_u32_e32 v66, v66, v82
	s_wait_dscnt 0x0
	global_store_b64 v66, v[64:65], s[46:47] scale_offset
.LBB1320_565:                           ;   in Loop: Header=BB1320_410 Depth=2
	s_wait_xcnt 0x0
	s_or_b32 exec_lo, exec_lo, s17
	s_wait_storecnt 0x0
	s_barrier_signal -1
	s_barrier_wait -1
	s_and_saveexec_b32 s17, s0
	s_cbranch_execz .LBB1320_409
; %bb.566:                              ;   in Loop: Header=BB1320_410 Depth=2
	ds_load_b32 v64, v4
	s_wait_dscnt 0x0
	v_add3_u32 v64, v133, v138, v64
	ds_store_b32 v4, v64
	s_branch .LBB1320_409
.LBB1320_567:                           ;   in Loop: Header=BB1320_410 Depth=2
	ds_load_b32 v64, v92 offset:512
	s_wait_dscnt 0x0
	v_cmp_ne_u32_e64 s17, 0x80000000, v64
	s_delay_alu instid0(VALU_DEP_1) | instskip(SKIP_1) | instid1(VALU_DEP_1)
	v_cndmask_b32_e64 v65, 0x7fffffff, v64, s17
	v_cmp_gt_i32_e64 s17, 0, v64
	v_cndmask_b32_e64 v140, 0x7fffffff, 0, s17
	s_delay_alu instid0(VALU_DEP_1) | instskip(NEXT) | instid1(VALU_DEP_1)
	v_dual_lshrrev_b32 v65, s48, v65 :: v_dual_bitop2_b32 v64, v140, v64 bitop3:0x14
	v_and_b32_e32 v65, s58, v65
	s_delay_alu instid0(VALU_DEP_1)
	v_lshlrev_b32_e32 v65, 2, v65
	ds_load_b32 v65, v65
	s_wait_dscnt 0x0
	v_add_nc_u32_e32 v65, v65, v2
	global_store_b32 v65, v64, s[40:41] scale_offset
	s_wait_xcnt 0x0
	s_or_b32 exec_lo, exec_lo, s18
	v_cmp_lt_u32_e64 s17, v3, v139
	s_and_saveexec_b32 s19, s17
	s_cbranch_execz .LBB1320_496
.LBB1320_568:                           ;   in Loop: Header=BB1320_410 Depth=2
	ds_load_b32 v64, v92 offset:1536
	s_wait_dscnt 0x0
	v_cmp_ne_u32_e64 s18, 0x80000000, v64
	s_delay_alu instid0(VALU_DEP_1) | instskip(SKIP_1) | instid1(VALU_DEP_1)
	v_cndmask_b32_e64 v65, 0x7fffffff, v64, s18
	v_cmp_gt_i32_e64 s18, 0, v64
	v_cndmask_b32_e64 v140, 0x7fffffff, 0, s18
	s_delay_alu instid0(VALU_DEP_1) | instskip(NEXT) | instid1(VALU_DEP_1)
	v_dual_lshrrev_b32 v65, s48, v65 :: v_dual_bitop2_b32 v64, v140, v64 bitop3:0x14
	v_and_b32_e32 v65, s58, v65
	s_delay_alu instid0(VALU_DEP_1)
	v_lshlrev_b32_e32 v65, 2, v65
	ds_load_b32 v65, v65
	s_wait_dscnt 0x0
	v_add_nc_u32_e32 v65, v65, v3
	global_store_b32 v65, v64, s[40:41] scale_offset
	s_wait_xcnt 0x0
	s_or_b32 exec_lo, exec_lo, s19
	v_cmp_lt_u32_e64 s18, v68, v139
	s_and_saveexec_b32 s20, s18
	s_cbranch_execz .LBB1320_497
.LBB1320_569:                           ;   in Loop: Header=BB1320_410 Depth=2
	ds_load_b32 v64, v92 offset:2560
	s_wait_dscnt 0x0
	v_cmp_ne_u32_e64 s19, 0x80000000, v64
	s_delay_alu instid0(VALU_DEP_1) | instskip(SKIP_1) | instid1(VALU_DEP_1)
	v_cndmask_b32_e64 v65, 0x7fffffff, v64, s19
	v_cmp_gt_i32_e64 s19, 0, v64
	v_cndmask_b32_e64 v140, 0x7fffffff, 0, s19
	s_delay_alu instid0(VALU_DEP_1) | instskip(NEXT) | instid1(VALU_DEP_1)
	v_dual_lshrrev_b32 v65, s48, v65 :: v_dual_bitop2_b32 v64, v140, v64 bitop3:0x14
	v_and_b32_e32 v65, s58, v65
	s_delay_alu instid0(VALU_DEP_1)
	v_lshlrev_b32_e32 v65, 2, v65
	ds_load_b32 v65, v65
	s_wait_dscnt 0x0
	v_add_nc_u32_e32 v65, v65, v68
	global_store_b32 v65, v64, s[40:41] scale_offset
	s_wait_xcnt 0x0
	s_or_b32 exec_lo, exec_lo, s20
	v_cmp_lt_u32_e64 s19, v69, v139
	s_and_saveexec_b32 s21, s19
	s_cbranch_execz .LBB1320_498
.LBB1320_570:                           ;   in Loop: Header=BB1320_410 Depth=2
	ds_load_b32 v64, v92 offset:3584
	s_wait_dscnt 0x0
	v_cmp_ne_u32_e64 s20, 0x80000000, v64
	s_delay_alu instid0(VALU_DEP_1) | instskip(SKIP_1) | instid1(VALU_DEP_1)
	v_cndmask_b32_e64 v65, 0x7fffffff, v64, s20
	v_cmp_gt_i32_e64 s20, 0, v64
	v_cndmask_b32_e64 v140, 0x7fffffff, 0, s20
	s_delay_alu instid0(VALU_DEP_1) | instskip(NEXT) | instid1(VALU_DEP_1)
	v_dual_lshrrev_b32 v65, s48, v65 :: v_dual_bitop2_b32 v64, v140, v64 bitop3:0x14
	v_and_b32_e32 v65, s58, v65
	s_delay_alu instid0(VALU_DEP_1)
	v_lshlrev_b32_e32 v65, 2, v65
	ds_load_b32 v65, v65
	s_wait_dscnt 0x0
	v_add_nc_u32_e32 v65, v65, v69
	global_store_b32 v65, v64, s[40:41] scale_offset
	s_wait_xcnt 0x0
	s_or_b32 exec_lo, exec_lo, s21
	v_cmp_lt_u32_e64 s20, v70, v139
	s_and_saveexec_b32 s22, s20
	s_cbranch_execz .LBB1320_499
.LBB1320_571:                           ;   in Loop: Header=BB1320_410 Depth=2
	ds_load_b32 v64, v92 offset:4608
	s_wait_dscnt 0x0
	v_cmp_ne_u32_e64 s21, 0x80000000, v64
	s_delay_alu instid0(VALU_DEP_1) | instskip(SKIP_1) | instid1(VALU_DEP_1)
	v_cndmask_b32_e64 v65, 0x7fffffff, v64, s21
	v_cmp_gt_i32_e64 s21, 0, v64
	v_cndmask_b32_e64 v140, 0x7fffffff, 0, s21
	s_delay_alu instid0(VALU_DEP_1) | instskip(NEXT) | instid1(VALU_DEP_1)
	v_dual_lshrrev_b32 v65, s48, v65 :: v_dual_bitop2_b32 v64, v140, v64 bitop3:0x14
	v_and_b32_e32 v65, s58, v65
	s_delay_alu instid0(VALU_DEP_1)
	v_lshlrev_b32_e32 v65, 2, v65
	ds_load_b32 v65, v65
	s_wait_dscnt 0x0
	v_add_nc_u32_e32 v65, v65, v70
	global_store_b32 v65, v64, s[40:41] scale_offset
	s_wait_xcnt 0x0
	s_or_b32 exec_lo, exec_lo, s22
	v_cmp_lt_u32_e64 s21, v71, v139
	s_and_saveexec_b32 s23, s21
	s_cbranch_execz .LBB1320_500
.LBB1320_572:                           ;   in Loop: Header=BB1320_410 Depth=2
	ds_load_b32 v64, v92 offset:5632
	s_wait_dscnt 0x0
	v_cmp_ne_u32_e64 s22, 0x80000000, v64
	s_delay_alu instid0(VALU_DEP_1) | instskip(SKIP_1) | instid1(VALU_DEP_1)
	v_cndmask_b32_e64 v65, 0x7fffffff, v64, s22
	v_cmp_gt_i32_e64 s22, 0, v64
	v_cndmask_b32_e64 v140, 0x7fffffff, 0, s22
	s_delay_alu instid0(VALU_DEP_1) | instskip(NEXT) | instid1(VALU_DEP_1)
	v_dual_lshrrev_b32 v65, s48, v65 :: v_dual_bitop2_b32 v64, v140, v64 bitop3:0x14
	v_and_b32_e32 v65, s58, v65
	s_delay_alu instid0(VALU_DEP_1)
	v_lshlrev_b32_e32 v65, 2, v65
	ds_load_b32 v65, v65
	s_wait_dscnt 0x0
	v_add_nc_u32_e32 v65, v65, v71
	global_store_b32 v65, v64, s[40:41] scale_offset
	s_wait_xcnt 0x0
	s_or_b32 exec_lo, exec_lo, s23
	v_cmp_lt_u32_e64 s22, v72, v139
	s_and_saveexec_b32 s24, s22
	s_cbranch_execz .LBB1320_501
.LBB1320_573:                           ;   in Loop: Header=BB1320_410 Depth=2
	ds_load_b32 v64, v92 offset:6656
	s_wait_dscnt 0x0
	v_cmp_ne_u32_e64 s23, 0x80000000, v64
	s_delay_alu instid0(VALU_DEP_1) | instskip(SKIP_1) | instid1(VALU_DEP_1)
	v_cndmask_b32_e64 v65, 0x7fffffff, v64, s23
	v_cmp_gt_i32_e64 s23, 0, v64
	v_cndmask_b32_e64 v140, 0x7fffffff, 0, s23
	s_delay_alu instid0(VALU_DEP_1) | instskip(NEXT) | instid1(VALU_DEP_1)
	v_dual_lshrrev_b32 v65, s48, v65 :: v_dual_bitop2_b32 v64, v140, v64 bitop3:0x14
	v_and_b32_e32 v65, s58, v65
	s_delay_alu instid0(VALU_DEP_1)
	v_lshlrev_b32_e32 v65, 2, v65
	ds_load_b32 v65, v65
	s_wait_dscnt 0x0
	v_add_nc_u32_e32 v65, v65, v72
	global_store_b32 v65, v64, s[40:41] scale_offset
	s_wait_xcnt 0x0
	s_or_b32 exec_lo, exec_lo, s24
	v_cmp_lt_u32_e64 s23, v73, v139
	s_and_saveexec_b32 s25, s23
	s_cbranch_execz .LBB1320_502
.LBB1320_574:                           ;   in Loop: Header=BB1320_410 Depth=2
	ds_load_b32 v64, v92 offset:7680
	s_wait_dscnt 0x0
	v_cmp_ne_u32_e64 s24, 0x80000000, v64
	s_delay_alu instid0(VALU_DEP_1) | instskip(SKIP_1) | instid1(VALU_DEP_1)
	v_cndmask_b32_e64 v65, 0x7fffffff, v64, s24
	v_cmp_gt_i32_e64 s24, 0, v64
	v_cndmask_b32_e64 v140, 0x7fffffff, 0, s24
	s_delay_alu instid0(VALU_DEP_1) | instskip(NEXT) | instid1(VALU_DEP_1)
	v_dual_lshrrev_b32 v65, s48, v65 :: v_dual_bitop2_b32 v64, v140, v64 bitop3:0x14
	v_and_b32_e32 v65, s58, v65
	s_delay_alu instid0(VALU_DEP_1)
	v_lshlrev_b32_e32 v65, 2, v65
	ds_load_b32 v65, v65
	s_wait_dscnt 0x0
	v_add_nc_u32_e32 v65, v65, v73
	global_store_b32 v65, v64, s[40:41] scale_offset
	s_wait_xcnt 0x0
	s_or_b32 exec_lo, exec_lo, s25
	v_cmp_lt_u32_e64 s24, v74, v139
	s_and_saveexec_b32 s26, s24
	s_cbranch_execz .LBB1320_503
.LBB1320_575:                           ;   in Loop: Header=BB1320_410 Depth=2
	ds_load_b32 v64, v92 offset:8704
	s_wait_dscnt 0x0
	v_cmp_ne_u32_e64 s25, 0x80000000, v64
	s_delay_alu instid0(VALU_DEP_1) | instskip(SKIP_1) | instid1(VALU_DEP_1)
	v_cndmask_b32_e64 v65, 0x7fffffff, v64, s25
	v_cmp_gt_i32_e64 s25, 0, v64
	v_cndmask_b32_e64 v140, 0x7fffffff, 0, s25
	s_delay_alu instid0(VALU_DEP_1) | instskip(NEXT) | instid1(VALU_DEP_1)
	v_dual_lshrrev_b32 v65, s48, v65 :: v_dual_bitop2_b32 v64, v140, v64 bitop3:0x14
	v_and_b32_e32 v65, s58, v65
	s_delay_alu instid0(VALU_DEP_1)
	v_lshlrev_b32_e32 v65, 2, v65
	ds_load_b32 v65, v65
	s_wait_dscnt 0x0
	v_add_nc_u32_e32 v65, v65, v74
	global_store_b32 v65, v64, s[40:41] scale_offset
	s_wait_xcnt 0x0
	s_or_b32 exec_lo, exec_lo, s26
	v_cmp_lt_u32_e64 s25, v75, v139
	s_and_saveexec_b32 s27, s25
	s_cbranch_execz .LBB1320_504
.LBB1320_576:                           ;   in Loop: Header=BB1320_410 Depth=2
	ds_load_b32 v64, v92 offset:9728
	s_wait_dscnt 0x0
	v_cmp_ne_u32_e64 s26, 0x80000000, v64
	s_delay_alu instid0(VALU_DEP_1) | instskip(SKIP_1) | instid1(VALU_DEP_1)
	v_cndmask_b32_e64 v65, 0x7fffffff, v64, s26
	v_cmp_gt_i32_e64 s26, 0, v64
	v_cndmask_b32_e64 v140, 0x7fffffff, 0, s26
	s_delay_alu instid0(VALU_DEP_1) | instskip(NEXT) | instid1(VALU_DEP_1)
	v_dual_lshrrev_b32 v65, s48, v65 :: v_dual_bitop2_b32 v64, v140, v64 bitop3:0x14
	v_and_b32_e32 v65, s58, v65
	s_delay_alu instid0(VALU_DEP_1)
	v_lshlrev_b32_e32 v65, 2, v65
	ds_load_b32 v65, v65
	s_wait_dscnt 0x0
	v_add_nc_u32_e32 v65, v65, v75
	global_store_b32 v65, v64, s[40:41] scale_offset
	s_wait_xcnt 0x0
	s_or_b32 exec_lo, exec_lo, s27
	v_cmp_lt_u32_e64 s26, v76, v139
	s_and_saveexec_b32 s28, s26
	s_cbranch_execz .LBB1320_505
.LBB1320_577:                           ;   in Loop: Header=BB1320_410 Depth=2
	ds_load_b32 v64, v92 offset:10752
	s_wait_dscnt 0x0
	v_cmp_ne_u32_e64 s27, 0x80000000, v64
	s_delay_alu instid0(VALU_DEP_1) | instskip(SKIP_1) | instid1(VALU_DEP_1)
	v_cndmask_b32_e64 v65, 0x7fffffff, v64, s27
	v_cmp_gt_i32_e64 s27, 0, v64
	v_cndmask_b32_e64 v140, 0x7fffffff, 0, s27
	s_delay_alu instid0(VALU_DEP_1) | instskip(NEXT) | instid1(VALU_DEP_1)
	v_dual_lshrrev_b32 v65, s48, v65 :: v_dual_bitop2_b32 v64, v140, v64 bitop3:0x14
	v_and_b32_e32 v65, s58, v65
	s_delay_alu instid0(VALU_DEP_1)
	v_lshlrev_b32_e32 v65, 2, v65
	ds_load_b32 v65, v65
	s_wait_dscnt 0x0
	v_add_nc_u32_e32 v65, v65, v76
	global_store_b32 v65, v64, s[40:41] scale_offset
	s_wait_xcnt 0x0
	s_or_b32 exec_lo, exec_lo, s28
	v_cmp_lt_u32_e64 s27, v77, v139
	s_and_saveexec_b32 s29, s27
	s_cbranch_execz .LBB1320_506
.LBB1320_578:                           ;   in Loop: Header=BB1320_410 Depth=2
	ds_load_b32 v64, v92 offset:11776
	s_wait_dscnt 0x0
	v_cmp_ne_u32_e64 s28, 0x80000000, v64
	s_delay_alu instid0(VALU_DEP_1) | instskip(SKIP_1) | instid1(VALU_DEP_1)
	v_cndmask_b32_e64 v65, 0x7fffffff, v64, s28
	v_cmp_gt_i32_e64 s28, 0, v64
	v_cndmask_b32_e64 v140, 0x7fffffff, 0, s28
	s_delay_alu instid0(VALU_DEP_1) | instskip(NEXT) | instid1(VALU_DEP_1)
	v_dual_lshrrev_b32 v65, s48, v65 :: v_dual_bitop2_b32 v64, v140, v64 bitop3:0x14
	v_and_b32_e32 v65, s58, v65
	s_delay_alu instid0(VALU_DEP_1)
	v_lshlrev_b32_e32 v65, 2, v65
	ds_load_b32 v65, v65
	s_wait_dscnt 0x0
	v_add_nc_u32_e32 v65, v65, v77
	global_store_b32 v65, v64, s[40:41] scale_offset
	s_wait_xcnt 0x0
	s_or_b32 exec_lo, exec_lo, s29
	v_cmp_lt_u32_e64 s28, v78, v139
	s_and_saveexec_b32 s30, s28
	s_cbranch_execz .LBB1320_507
.LBB1320_579:                           ;   in Loop: Header=BB1320_410 Depth=2
	ds_load_b32 v64, v92 offset:12800
	s_wait_dscnt 0x0
	v_cmp_ne_u32_e64 s29, 0x80000000, v64
	s_delay_alu instid0(VALU_DEP_1) | instskip(SKIP_1) | instid1(VALU_DEP_1)
	v_cndmask_b32_e64 v65, 0x7fffffff, v64, s29
	v_cmp_gt_i32_e64 s29, 0, v64
	v_cndmask_b32_e64 v140, 0x7fffffff, 0, s29
	s_delay_alu instid0(VALU_DEP_1) | instskip(NEXT) | instid1(VALU_DEP_1)
	v_dual_lshrrev_b32 v65, s48, v65 :: v_dual_bitop2_b32 v64, v140, v64 bitop3:0x14
	v_and_b32_e32 v65, s58, v65
	s_delay_alu instid0(VALU_DEP_1)
	v_lshlrev_b32_e32 v65, 2, v65
	ds_load_b32 v65, v65
	s_wait_dscnt 0x0
	v_add_nc_u32_e32 v65, v65, v78
	global_store_b32 v65, v64, s[40:41] scale_offset
	s_wait_xcnt 0x0
	s_or_b32 exec_lo, exec_lo, s30
	v_cmp_lt_u32_e64 s29, v79, v139
	s_and_saveexec_b32 s31, s29
	s_cbranch_execz .LBB1320_508
.LBB1320_580:                           ;   in Loop: Header=BB1320_410 Depth=2
	ds_load_b32 v64, v92 offset:13824
	s_wait_dscnt 0x0
	v_cmp_ne_u32_e64 s30, 0x80000000, v64
	s_delay_alu instid0(VALU_DEP_1) | instskip(SKIP_1) | instid1(VALU_DEP_1)
	v_cndmask_b32_e64 v65, 0x7fffffff, v64, s30
	v_cmp_gt_i32_e64 s30, 0, v64
	v_cndmask_b32_e64 v140, 0x7fffffff, 0, s30
	s_delay_alu instid0(VALU_DEP_1) | instskip(NEXT) | instid1(VALU_DEP_1)
	v_dual_lshrrev_b32 v65, s48, v65 :: v_dual_bitop2_b32 v64, v140, v64 bitop3:0x14
	v_and_b32_e32 v65, s58, v65
	s_delay_alu instid0(VALU_DEP_1)
	v_lshlrev_b32_e32 v65, 2, v65
	ds_load_b32 v65, v65
	s_wait_dscnt 0x0
	v_add_nc_u32_e32 v65, v65, v79
	global_store_b32 v65, v64, s[40:41] scale_offset
	s_wait_xcnt 0x0
	s_or_b32 exec_lo, exec_lo, s31
	v_cmp_lt_u32_e64 s30, v80, v139
	s_and_saveexec_b32 s33, s30
	s_cbranch_execz .LBB1320_509
.LBB1320_581:                           ;   in Loop: Header=BB1320_410 Depth=2
	ds_load_b32 v64, v92 offset:14848
	s_wait_dscnt 0x0
	v_cmp_ne_u32_e64 s31, 0x80000000, v64
	s_delay_alu instid0(VALU_DEP_1) | instskip(SKIP_1) | instid1(VALU_DEP_1)
	v_cndmask_b32_e64 v65, 0x7fffffff, v64, s31
	v_cmp_gt_i32_e64 s31, 0, v64
	v_cndmask_b32_e64 v140, 0x7fffffff, 0, s31
	s_delay_alu instid0(VALU_DEP_1) | instskip(NEXT) | instid1(VALU_DEP_1)
	v_dual_lshrrev_b32 v65, s48, v65 :: v_dual_bitop2_b32 v64, v140, v64 bitop3:0x14
	v_and_b32_e32 v65, s58, v65
	s_delay_alu instid0(VALU_DEP_1)
	v_lshlrev_b32_e32 v65, 2, v65
	ds_load_b32 v65, v65
	s_wait_dscnt 0x0
	v_add_nc_u32_e32 v65, v65, v80
	global_store_b32 v65, v64, s[40:41] scale_offset
	s_wait_xcnt 0x0
	s_or_b32 exec_lo, exec_lo, s33
	v_cmp_lt_u32_e64 s31, v81, v139
	s_and_saveexec_b32 s34, s31
	s_cbranch_execz .LBB1320_510
.LBB1320_582:                           ;   in Loop: Header=BB1320_410 Depth=2
	ds_load_b32 v64, v92 offset:15872
	s_wait_dscnt 0x0
	v_cmp_ne_u32_e64 s33, 0x80000000, v64
	s_delay_alu instid0(VALU_DEP_1) | instskip(SKIP_1) | instid1(VALU_DEP_1)
	v_cndmask_b32_e64 v65, 0x7fffffff, v64, s33
	v_cmp_gt_i32_e64 s33, 0, v64
	v_cndmask_b32_e64 v140, 0x7fffffff, 0, s33
	s_delay_alu instid0(VALU_DEP_1) | instskip(NEXT) | instid1(VALU_DEP_1)
	v_dual_lshrrev_b32 v65, s48, v65 :: v_dual_bitop2_b32 v64, v140, v64 bitop3:0x14
	v_and_b32_e32 v65, s58, v65
	s_delay_alu instid0(VALU_DEP_1)
	v_lshlrev_b32_e32 v65, 2, v65
	ds_load_b32 v65, v65
	s_wait_dscnt 0x0
	v_add_nc_u32_e32 v65, v65, v81
	global_store_b32 v65, v64, s[40:41] scale_offset
	s_wait_xcnt 0x0
	s_or_b32 exec_lo, exec_lo, s34
	v_cmp_lt_u32_e64 s33, v82, v139
	s_and_saveexec_b32 s61, s33
	s_cbranch_execnz .LBB1320_511
	s_branch .LBB1320_512
.LBB1320_583:                           ;   in Loop: Header=BB1320_410 Depth=2
	global_load_b64 v[62:63], v[64:65], off
	s_wait_xcnt 0x0
	s_or_b32 exec_lo, exec_lo, s34
	s_delay_alu instid0(SALU_CYCLE_1)
	s_mov_b32 s42, exec_lo
	v_cmpx_lt_u32_e64 v104, v139
	s_cbranch_execz .LBB1320_514
.LBB1320_584:                           ;   in Loop: Header=BB1320_410 Depth=2
	global_load_b64 v[60:61], v[64:65], off offset:256
	s_wait_xcnt 0x0
	s_or_b32 exec_lo, exec_lo, s42
	s_delay_alu instid0(SALU_CYCLE_1)
	s_mov_b32 s42, exec_lo
	v_cmpx_lt_u32_e64 v105, v139
	s_cbranch_execz .LBB1320_515
.LBB1320_585:                           ;   in Loop: Header=BB1320_410 Depth=2
	global_load_b64 v[58:59], v[64:65], off offset:512
	s_wait_xcnt 0x0
	s_or_b32 exec_lo, exec_lo, s42
	s_delay_alu instid0(SALU_CYCLE_1)
	s_mov_b32 s42, exec_lo
	v_cmpx_lt_u32_e64 v106, v139
	s_cbranch_execz .LBB1320_516
.LBB1320_586:                           ;   in Loop: Header=BB1320_410 Depth=2
	global_load_b64 v[56:57], v[64:65], off offset:768
	s_wait_xcnt 0x0
	s_or_b32 exec_lo, exec_lo, s42
	s_delay_alu instid0(SALU_CYCLE_1)
	s_mov_b32 s42, exec_lo
	v_cmpx_lt_u32_e64 v107, v139
	s_cbranch_execz .LBB1320_517
.LBB1320_587:                           ;   in Loop: Header=BB1320_410 Depth=2
	global_load_b64 v[54:55], v[64:65], off offset:1024
	s_wait_xcnt 0x0
	s_or_b32 exec_lo, exec_lo, s42
	s_delay_alu instid0(SALU_CYCLE_1)
	s_mov_b32 s42, exec_lo
	v_cmpx_lt_u32_e64 v108, v139
	s_cbranch_execz .LBB1320_518
.LBB1320_588:                           ;   in Loop: Header=BB1320_410 Depth=2
	global_load_b64 v[52:53], v[64:65], off offset:1280
	s_wait_xcnt 0x0
	s_or_b32 exec_lo, exec_lo, s42
	s_delay_alu instid0(SALU_CYCLE_1)
	s_mov_b32 s42, exec_lo
	v_cmpx_lt_u32_e64 v109, v139
	s_cbranch_execz .LBB1320_519
.LBB1320_589:                           ;   in Loop: Header=BB1320_410 Depth=2
	global_load_b64 v[50:51], v[64:65], off offset:1536
	s_wait_xcnt 0x0
	s_or_b32 exec_lo, exec_lo, s42
	s_delay_alu instid0(SALU_CYCLE_1)
	s_mov_b32 s42, exec_lo
	v_cmpx_lt_u32_e64 v110, v139
	s_cbranch_execz .LBB1320_520
.LBB1320_590:                           ;   in Loop: Header=BB1320_410 Depth=2
	global_load_b64 v[48:49], v[64:65], off offset:1792
	s_wait_xcnt 0x0
	s_or_b32 exec_lo, exec_lo, s42
	s_delay_alu instid0(SALU_CYCLE_1)
	s_mov_b32 s42, exec_lo
	v_cmpx_lt_u32_e64 v111, v139
	s_cbranch_execz .LBB1320_521
.LBB1320_591:                           ;   in Loop: Header=BB1320_410 Depth=2
	global_load_b64 v[46:47], v[64:65], off offset:2048
	s_wait_xcnt 0x0
	s_or_b32 exec_lo, exec_lo, s42
	s_delay_alu instid0(SALU_CYCLE_1)
	s_mov_b32 s42, exec_lo
	v_cmpx_lt_u32_e64 v112, v139
	s_cbranch_execz .LBB1320_522
.LBB1320_592:                           ;   in Loop: Header=BB1320_410 Depth=2
	global_load_b64 v[44:45], v[64:65], off offset:2304
	s_wait_xcnt 0x0
	s_or_b32 exec_lo, exec_lo, s42
	s_delay_alu instid0(SALU_CYCLE_1)
	s_mov_b32 s42, exec_lo
	v_cmpx_lt_u32_e64 v113, v139
	s_cbranch_execz .LBB1320_523
.LBB1320_593:                           ;   in Loop: Header=BB1320_410 Depth=2
	global_load_b64 v[42:43], v[64:65], off offset:2560
	s_wait_xcnt 0x0
	s_or_b32 exec_lo, exec_lo, s42
	s_delay_alu instid0(SALU_CYCLE_1)
	s_mov_b32 s42, exec_lo
	v_cmpx_lt_u32_e64 v114, v139
	s_cbranch_execz .LBB1320_524
.LBB1320_594:                           ;   in Loop: Header=BB1320_410 Depth=2
	global_load_b64 v[40:41], v[64:65], off offset:2816
	s_wait_xcnt 0x0
	s_or_b32 exec_lo, exec_lo, s42
	s_delay_alu instid0(SALU_CYCLE_1)
	s_mov_b32 s42, exec_lo
	v_cmpx_lt_u32_e64 v115, v139
	s_cbranch_execz .LBB1320_525
.LBB1320_595:                           ;   in Loop: Header=BB1320_410 Depth=2
	global_load_b64 v[38:39], v[64:65], off offset:3072
	s_wait_xcnt 0x0
	s_or_b32 exec_lo, exec_lo, s42
	s_delay_alu instid0(SALU_CYCLE_1)
	s_mov_b32 s42, exec_lo
	v_cmpx_lt_u32_e64 v116, v139
	s_cbranch_execz .LBB1320_526
.LBB1320_596:                           ;   in Loop: Header=BB1320_410 Depth=2
	global_load_b64 v[36:37], v[64:65], off offset:3328
	s_wait_xcnt 0x0
	s_or_b32 exec_lo, exec_lo, s42
	s_delay_alu instid0(SALU_CYCLE_1)
	s_mov_b32 s42, exec_lo
	v_cmpx_lt_u32_e64 v117, v139
	s_cbranch_execz .LBB1320_527
.LBB1320_597:                           ;   in Loop: Header=BB1320_410 Depth=2
	global_load_b64 v[34:35], v[64:65], off offset:3584
	s_wait_xcnt 0x0
	s_or_b32 exec_lo, exec_lo, s42
	s_delay_alu instid0(SALU_CYCLE_1)
	s_mov_b32 s42, exec_lo
	v_cmpx_lt_u32_e64 v118, v139
	s_cbranch_execz .LBB1320_528
.LBB1320_598:                           ;   in Loop: Header=BB1320_410 Depth=2
	global_load_b64 v[32:33], v[64:65], off offset:3840
	s_wait_xcnt 0x0
	s_or_b32 exec_lo, exec_lo, s42
	s_delay_alu instid0(SALU_CYCLE_1)
	s_mov_b32 s42, exec_lo
	v_cmpx_lt_u32_e64 v5, v139
	s_cbranch_execz .LBB1320_529
.LBB1320_599:                           ;   in Loop: Header=BB1320_410 Depth=2
	global_load_b64 v[30:31], v[64:65], off offset:4096
	s_wait_xcnt 0x0
	s_or_b32 exec_lo, exec_lo, s42
	s_and_saveexec_b32 s42, vcc_lo
	s_cbranch_execz .LBB1320_530
.LBB1320_600:                           ;   in Loop: Header=BB1320_410 Depth=2
	ds_load_b32 v64, v92 offset:512
	s_wait_dscnt 0x0
	v_cmp_ne_u32_e64 s34, 0x80000000, v64
	s_delay_alu instid0(VALU_DEP_1) | instskip(NEXT) | instid1(VALU_DEP_1)
	v_cndmask_b32_e64 v64, 0x7fffffff, v64, s34
	v_lshrrev_b32_e32 v64, s48, v64
	s_delay_alu instid0(VALU_DEP_1)
	v_and_b32_e32 v137, s58, v64
	s_or_b32 exec_lo, exec_lo, s42
	s_and_saveexec_b32 s42, s17
	s_cbranch_execz .LBB1320_531
.LBB1320_601:                           ;   in Loop: Header=BB1320_410 Depth=2
	ds_load_b32 v64, v92 offset:1536
	s_wait_dscnt 0x0
	v_cmp_ne_u32_e64 s34, 0x80000000, v64
	s_delay_alu instid0(VALU_DEP_1) | instskip(NEXT) | instid1(VALU_DEP_1)
	v_cndmask_b32_e64 v64, 0x7fffffff, v64, s34
	v_lshrrev_b32_e32 v64, s48, v64
	s_delay_alu instid0(VALU_DEP_1)
	v_and_b32_e32 v136, s58, v64
	s_or_b32 exec_lo, exec_lo, s42
	s_and_saveexec_b32 s42, s18
	s_cbranch_execz .LBB1320_532
.LBB1320_602:                           ;   in Loop: Header=BB1320_410 Depth=2
	ds_load_b32 v64, v92 offset:2560
	s_wait_dscnt 0x0
	v_cmp_ne_u32_e64 s34, 0x80000000, v64
	s_delay_alu instid0(VALU_DEP_1) | instskip(NEXT) | instid1(VALU_DEP_1)
	v_cndmask_b32_e64 v64, 0x7fffffff, v64, s34
	v_lshrrev_b32_e32 v64, s48, v64
	s_delay_alu instid0(VALU_DEP_1)
	v_and_b32_e32 v135, s58, v64
	s_or_b32 exec_lo, exec_lo, s42
	s_and_saveexec_b32 s42, s19
	s_cbranch_execz .LBB1320_533
.LBB1320_603:                           ;   in Loop: Header=BB1320_410 Depth=2
	ds_load_b32 v64, v92 offset:3584
	s_wait_dscnt 0x0
	v_cmp_ne_u32_e64 s34, 0x80000000, v64
	s_delay_alu instid0(VALU_DEP_1) | instskip(NEXT) | instid1(VALU_DEP_1)
	v_cndmask_b32_e64 v64, 0x7fffffff, v64, s34
	v_lshrrev_b32_e32 v64, s48, v64
	s_delay_alu instid0(VALU_DEP_1)
	v_and_b32_e32 v134, s58, v64
	s_or_b32 exec_lo, exec_lo, s42
	s_and_saveexec_b32 s42, s20
	s_cbranch_execz .LBB1320_534
.LBB1320_604:                           ;   in Loop: Header=BB1320_410 Depth=2
	ds_load_b32 v64, v92 offset:4608
	s_wait_dscnt 0x0
	v_cmp_ne_u32_e64 s34, 0x80000000, v64
	s_delay_alu instid0(VALU_DEP_1) | instskip(NEXT) | instid1(VALU_DEP_1)
	v_cndmask_b32_e64 v64, 0x7fffffff, v64, s34
	v_lshrrev_b32_e32 v64, s48, v64
	s_delay_alu instid0(VALU_DEP_1)
	v_and_b32_e32 v132, s58, v64
	s_or_b32 exec_lo, exec_lo, s42
	s_and_saveexec_b32 s42, s21
	s_cbranch_execz .LBB1320_535
.LBB1320_605:                           ;   in Loop: Header=BB1320_410 Depth=2
	ds_load_b32 v64, v92 offset:5632
	s_wait_dscnt 0x0
	v_cmp_ne_u32_e64 s34, 0x80000000, v64
	s_delay_alu instid0(VALU_DEP_1) | instskip(NEXT) | instid1(VALU_DEP_1)
	v_cndmask_b32_e64 v64, 0x7fffffff, v64, s34
	v_lshrrev_b32_e32 v64, s48, v64
	s_delay_alu instid0(VALU_DEP_1)
	v_and_b32_e32 v131, s58, v64
	s_or_b32 exec_lo, exec_lo, s42
	s_and_saveexec_b32 s42, s22
	s_cbranch_execz .LBB1320_536
.LBB1320_606:                           ;   in Loop: Header=BB1320_410 Depth=2
	ds_load_b32 v64, v92 offset:6656
	s_wait_dscnt 0x0
	v_cmp_ne_u32_e64 s34, 0x80000000, v64
	s_delay_alu instid0(VALU_DEP_1) | instskip(NEXT) | instid1(VALU_DEP_1)
	v_cndmask_b32_e64 v64, 0x7fffffff, v64, s34
	v_lshrrev_b32_e32 v64, s48, v64
	s_delay_alu instid0(VALU_DEP_1)
	v_and_b32_e32 v130, s58, v64
	s_or_b32 exec_lo, exec_lo, s42
	s_and_saveexec_b32 s42, s23
	s_cbranch_execz .LBB1320_537
.LBB1320_607:                           ;   in Loop: Header=BB1320_410 Depth=2
	ds_load_b32 v64, v92 offset:7680
	s_wait_dscnt 0x0
	v_cmp_ne_u32_e64 s34, 0x80000000, v64
	s_delay_alu instid0(VALU_DEP_1) | instskip(NEXT) | instid1(VALU_DEP_1)
	v_cndmask_b32_e64 v64, 0x7fffffff, v64, s34
	v_lshrrev_b32_e32 v64, s48, v64
	s_delay_alu instid0(VALU_DEP_1)
	v_and_b32_e32 v129, s58, v64
	s_or_b32 exec_lo, exec_lo, s42
	s_and_saveexec_b32 s42, s24
	s_cbranch_execz .LBB1320_538
.LBB1320_608:                           ;   in Loop: Header=BB1320_410 Depth=2
	ds_load_b32 v64, v92 offset:8704
	s_wait_dscnt 0x0
	v_cmp_ne_u32_e64 s34, 0x80000000, v64
	s_delay_alu instid0(VALU_DEP_1) | instskip(NEXT) | instid1(VALU_DEP_1)
	v_cndmask_b32_e64 v64, 0x7fffffff, v64, s34
	v_lshrrev_b32_e32 v64, s48, v64
	s_delay_alu instid0(VALU_DEP_1)
	v_and_b32_e32 v128, s58, v64
	s_or_b32 exec_lo, exec_lo, s42
	s_and_saveexec_b32 s42, s25
	s_cbranch_execz .LBB1320_539
.LBB1320_609:                           ;   in Loop: Header=BB1320_410 Depth=2
	ds_load_b32 v64, v92 offset:9728
	s_wait_dscnt 0x0
	v_cmp_ne_u32_e64 s34, 0x80000000, v64
	s_delay_alu instid0(VALU_DEP_1) | instskip(NEXT) | instid1(VALU_DEP_1)
	v_cndmask_b32_e64 v64, 0x7fffffff, v64, s34
	v_lshrrev_b32_e32 v64, s48, v64
	s_delay_alu instid0(VALU_DEP_1)
	v_and_b32_e32 v127, s58, v64
	s_or_b32 exec_lo, exec_lo, s42
	s_and_saveexec_b32 s42, s26
	s_cbranch_execz .LBB1320_540
.LBB1320_610:                           ;   in Loop: Header=BB1320_410 Depth=2
	ds_load_b32 v64, v92 offset:10752
	s_wait_dscnt 0x0
	v_cmp_ne_u32_e64 s34, 0x80000000, v64
	s_delay_alu instid0(VALU_DEP_1) | instskip(NEXT) | instid1(VALU_DEP_1)
	v_cndmask_b32_e64 v64, 0x7fffffff, v64, s34
	v_lshrrev_b32_e32 v64, s48, v64
	s_delay_alu instid0(VALU_DEP_1)
	v_and_b32_e32 v126, s58, v64
	s_or_b32 exec_lo, exec_lo, s42
	s_and_saveexec_b32 s42, s27
	s_cbranch_execz .LBB1320_541
.LBB1320_611:                           ;   in Loop: Header=BB1320_410 Depth=2
	ds_load_b32 v64, v92 offset:11776
	s_wait_dscnt 0x0
	v_cmp_ne_u32_e64 s34, 0x80000000, v64
	s_delay_alu instid0(VALU_DEP_1) | instskip(NEXT) | instid1(VALU_DEP_1)
	v_cndmask_b32_e64 v64, 0x7fffffff, v64, s34
	v_lshrrev_b32_e32 v64, s48, v64
	s_delay_alu instid0(VALU_DEP_1)
	v_and_b32_e32 v125, s58, v64
	s_or_b32 exec_lo, exec_lo, s42
	s_and_saveexec_b32 s42, s28
	s_cbranch_execz .LBB1320_542
.LBB1320_612:                           ;   in Loop: Header=BB1320_410 Depth=2
	ds_load_b32 v64, v92 offset:12800
	s_wait_dscnt 0x0
	v_cmp_ne_u32_e64 s34, 0x80000000, v64
	s_delay_alu instid0(VALU_DEP_1) | instskip(NEXT) | instid1(VALU_DEP_1)
	v_cndmask_b32_e64 v64, 0x7fffffff, v64, s34
	v_lshrrev_b32_e32 v64, s48, v64
	s_delay_alu instid0(VALU_DEP_1)
	v_and_b32_e32 v124, s58, v64
	s_or_b32 exec_lo, exec_lo, s42
	s_and_saveexec_b32 s42, s29
	s_cbranch_execz .LBB1320_543
.LBB1320_613:                           ;   in Loop: Header=BB1320_410 Depth=2
	ds_load_b32 v64, v92 offset:13824
	s_wait_dscnt 0x0
	v_cmp_ne_u32_e64 s34, 0x80000000, v64
	s_delay_alu instid0(VALU_DEP_1) | instskip(NEXT) | instid1(VALU_DEP_1)
	v_cndmask_b32_e64 v64, 0x7fffffff, v64, s34
	v_lshrrev_b32_e32 v64, s48, v64
	s_delay_alu instid0(VALU_DEP_1)
	v_and_b32_e32 v123, s58, v64
	s_or_b32 exec_lo, exec_lo, s42
	s_and_saveexec_b32 s42, s30
	s_cbranch_execz .LBB1320_544
.LBB1320_614:                           ;   in Loop: Header=BB1320_410 Depth=2
	ds_load_b32 v64, v92 offset:14848
	s_wait_dscnt 0x0
	v_cmp_ne_u32_e64 s34, 0x80000000, v64
	s_delay_alu instid0(VALU_DEP_1) | instskip(NEXT) | instid1(VALU_DEP_1)
	v_cndmask_b32_e64 v64, 0x7fffffff, v64, s34
	v_lshrrev_b32_e32 v64, s48, v64
	s_delay_alu instid0(VALU_DEP_1)
	v_and_b32_e32 v122, s58, v64
	s_or_b32 exec_lo, exec_lo, s42
	s_and_saveexec_b32 s42, s31
	s_cbranch_execz .LBB1320_545
.LBB1320_615:                           ;   in Loop: Header=BB1320_410 Depth=2
	ds_load_b32 v64, v92 offset:15872
	s_wait_dscnt 0x0
	v_cmp_ne_u32_e64 s34, 0x80000000, v64
	s_delay_alu instid0(VALU_DEP_1) | instskip(NEXT) | instid1(VALU_DEP_1)
	v_cndmask_b32_e64 v64, 0x7fffffff, v64, s34
	v_lshrrev_b32_e32 v64, s48, v64
	s_delay_alu instid0(VALU_DEP_1)
	v_and_b32_e32 v121, s58, v64
	s_or_b32 exec_lo, exec_lo, s42
	s_and_saveexec_b32 s42, s33
	s_cbranch_execnz .LBB1320_546
	s_branch .LBB1320_547
.LBB1320_616:                           ;   in Loop: Header=BB1320_410 Depth=2
	v_dual_lshlrev_b32 v64, 2, v137 :: v_dual_add_nc_u32 v65, v92, v4
	ds_load_b32 v66, v64
	ds_load_b64 v[64:65], v65 offset:512
	s_wait_dscnt 0x1
	v_add_nc_u32_e32 v66, v66, v2
	s_wait_dscnt 0x0
	global_store_b64 v66, v[64:65], s[46:47] scale_offset
	s_wait_xcnt 0x0
	s_or_b32 exec_lo, exec_lo, s34
	s_and_saveexec_b32 s34, s17
	s_cbranch_execz .LBB1320_549
.LBB1320_617:                           ;   in Loop: Header=BB1320_410 Depth=2
	v_lshlrev_b32_e32 v64, 2, v136
	v_add_nc_u32_e32 v65, v92, v4
	ds_load_b32 v66, v64
	ds_load_b64 v[64:65], v65 offset:2560
	s_wait_dscnt 0x1
	v_add_nc_u32_e32 v66, v66, v3
	s_wait_dscnt 0x0
	global_store_b64 v66, v[64:65], s[46:47] scale_offset
	s_wait_xcnt 0x0
	s_or_b32 exec_lo, exec_lo, s34
	s_and_saveexec_b32 s17, s18
	s_cbranch_execz .LBB1320_550
.LBB1320_618:                           ;   in Loop: Header=BB1320_410 Depth=2
	v_dual_lshlrev_b32 v64, 2, v135 :: v_dual_add_nc_u32 v65, v92, v4
	ds_load_b32 v66, v64
	ds_load_b64 v[64:65], v65 offset:4608
	s_wait_dscnt 0x1
	v_add_nc_u32_e32 v66, v66, v68
	s_wait_dscnt 0x0
	global_store_b64 v66, v[64:65], s[46:47] scale_offset
	s_wait_xcnt 0x0
	s_or_b32 exec_lo, exec_lo, s17
	s_and_saveexec_b32 s17, s19
	s_cbranch_execz .LBB1320_551
.LBB1320_619:                           ;   in Loop: Header=BB1320_410 Depth=2
	v_dual_lshlrev_b32 v64, 2, v134 :: v_dual_add_nc_u32 v65, v92, v4
	ds_load_b32 v66, v64
	ds_load_b64 v[64:65], v65 offset:6656
	s_wait_dscnt 0x1
	v_add_nc_u32_e32 v66, v66, v69
	s_wait_dscnt 0x0
	global_store_b64 v66, v[64:65], s[46:47] scale_offset
	s_wait_xcnt 0x0
	s_or_b32 exec_lo, exec_lo, s17
	s_and_saveexec_b32 s17, s20
	s_cbranch_execz .LBB1320_552
.LBB1320_620:                           ;   in Loop: Header=BB1320_410 Depth=2
	v_lshlrev_b32_e32 v64, 2, v132
	v_add_nc_u32_e32 v65, v92, v4
	ds_load_b32 v66, v64
	ds_load_b64 v[64:65], v65 offset:8704
	s_wait_dscnt 0x1
	v_add_nc_u32_e32 v66, v66, v70
	s_wait_dscnt 0x0
	global_store_b64 v66, v[64:65], s[46:47] scale_offset
	s_wait_xcnt 0x0
	s_or_b32 exec_lo, exec_lo, s17
	s_and_saveexec_b32 s17, s21
	s_cbranch_execz .LBB1320_553
.LBB1320_621:                           ;   in Loop: Header=BB1320_410 Depth=2
	v_dual_lshlrev_b32 v64, 2, v131 :: v_dual_add_nc_u32 v65, v92, v4
	ds_load_b32 v66, v64
	ds_load_b64 v[64:65], v65 offset:10752
	s_wait_dscnt 0x1
	v_add_nc_u32_e32 v66, v66, v71
	s_wait_dscnt 0x0
	global_store_b64 v66, v[64:65], s[46:47] scale_offset
	s_wait_xcnt 0x0
	s_or_b32 exec_lo, exec_lo, s17
	s_and_saveexec_b32 s17, s22
	s_cbranch_execz .LBB1320_554
.LBB1320_622:                           ;   in Loop: Header=BB1320_410 Depth=2
	v_dual_lshlrev_b32 v64, 2, v130 :: v_dual_add_nc_u32 v65, v92, v4
	ds_load_b32 v66, v64
	ds_load_b64 v[64:65], v65 offset:12800
	s_wait_dscnt 0x1
	v_add_nc_u32_e32 v66, v66, v72
	s_wait_dscnt 0x0
	global_store_b64 v66, v[64:65], s[46:47] scale_offset
	s_wait_xcnt 0x0
	s_or_b32 exec_lo, exec_lo, s17
	s_and_saveexec_b32 s17, s23
	s_cbranch_execz .LBB1320_555
.LBB1320_623:                           ;   in Loop: Header=BB1320_410 Depth=2
	v_dual_lshlrev_b32 v64, 2, v129 :: v_dual_add_nc_u32 v65, v92, v4
	ds_load_b32 v66, v64
	ds_load_b64 v[64:65], v65 offset:14848
	s_wait_dscnt 0x1
	v_add_nc_u32_e32 v66, v66, v73
	s_wait_dscnt 0x0
	global_store_b64 v66, v[64:65], s[46:47] scale_offset
	s_wait_xcnt 0x0
	s_or_b32 exec_lo, exec_lo, s17
	s_and_saveexec_b32 s17, s24
	s_cbranch_execz .LBB1320_556
.LBB1320_624:                           ;   in Loop: Header=BB1320_410 Depth=2
	v_lshlrev_b32_e32 v64, 2, v128
	v_add_nc_u32_e32 v65, v92, v4
	ds_load_b32 v66, v64
	ds_load_b64 v[64:65], v65 offset:16896
	s_wait_dscnt 0x1
	v_add_nc_u32_e32 v66, v66, v74
	s_wait_dscnt 0x0
	global_store_b64 v66, v[64:65], s[46:47] scale_offset
	s_wait_xcnt 0x0
	s_or_b32 exec_lo, exec_lo, s17
	s_and_saveexec_b32 s17, s25
	s_cbranch_execz .LBB1320_557
.LBB1320_625:                           ;   in Loop: Header=BB1320_410 Depth=2
	v_dual_lshlrev_b32 v64, 2, v127 :: v_dual_add_nc_u32 v65, v92, v4
	ds_load_b32 v66, v64
	ds_load_b64 v[64:65], v65 offset:18944
	s_wait_dscnt 0x1
	v_add_nc_u32_e32 v66, v66, v75
	s_wait_dscnt 0x0
	global_store_b64 v66, v[64:65], s[46:47] scale_offset
	s_wait_xcnt 0x0
	s_or_b32 exec_lo, exec_lo, s17
	s_and_saveexec_b32 s17, s26
	s_cbranch_execz .LBB1320_558
.LBB1320_626:                           ;   in Loop: Header=BB1320_410 Depth=2
	v_dual_lshlrev_b32 v64, 2, v126 :: v_dual_add_nc_u32 v65, v92, v4
	ds_load_b32 v66, v64
	ds_load_b64 v[64:65], v65 offset:20992
	s_wait_dscnt 0x1
	v_add_nc_u32_e32 v66, v66, v76
	s_wait_dscnt 0x0
	global_store_b64 v66, v[64:65], s[46:47] scale_offset
	s_wait_xcnt 0x0
	s_or_b32 exec_lo, exec_lo, s17
	s_and_saveexec_b32 s17, s27
	s_cbranch_execz .LBB1320_559
.LBB1320_627:                           ;   in Loop: Header=BB1320_410 Depth=2
	v_dual_lshlrev_b32 v64, 2, v125 :: v_dual_add_nc_u32 v65, v92, v4
	ds_load_b32 v66, v64
	ds_load_b64 v[64:65], v65 offset:23040
	s_wait_dscnt 0x1
	v_add_nc_u32_e32 v66, v66, v77
	s_wait_dscnt 0x0
	global_store_b64 v66, v[64:65], s[46:47] scale_offset
	s_wait_xcnt 0x0
	s_or_b32 exec_lo, exec_lo, s17
	s_and_saveexec_b32 s17, s28
	s_cbranch_execz .LBB1320_560
.LBB1320_628:                           ;   in Loop: Header=BB1320_410 Depth=2
	v_lshlrev_b32_e32 v64, 2, v124
	v_add_nc_u32_e32 v65, v92, v4
	ds_load_b32 v66, v64
	ds_load_b64 v[64:65], v65 offset:25088
	s_wait_dscnt 0x1
	v_add_nc_u32_e32 v66, v66, v78
	s_wait_dscnt 0x0
	global_store_b64 v66, v[64:65], s[46:47] scale_offset
	s_wait_xcnt 0x0
	s_or_b32 exec_lo, exec_lo, s17
	s_and_saveexec_b32 s17, s29
	s_cbranch_execz .LBB1320_561
.LBB1320_629:                           ;   in Loop: Header=BB1320_410 Depth=2
	v_dual_lshlrev_b32 v64, 2, v123 :: v_dual_add_nc_u32 v65, v92, v4
	ds_load_b32 v66, v64
	ds_load_b64 v[64:65], v65 offset:27136
	s_wait_dscnt 0x1
	v_add_nc_u32_e32 v66, v66, v79
	s_wait_dscnt 0x0
	global_store_b64 v66, v[64:65], s[46:47] scale_offset
	s_wait_xcnt 0x0
	s_or_b32 exec_lo, exec_lo, s17
	s_and_saveexec_b32 s17, s30
	s_cbranch_execz .LBB1320_562
.LBB1320_630:                           ;   in Loop: Header=BB1320_410 Depth=2
	v_dual_lshlrev_b32 v64, 2, v122 :: v_dual_add_nc_u32 v65, v92, v4
	ds_load_b32 v66, v64
	ds_load_b64 v[64:65], v65 offset:29184
	s_wait_dscnt 0x1
	v_add_nc_u32_e32 v66, v66, v80
	s_wait_dscnt 0x0
	global_store_b64 v66, v[64:65], s[46:47] scale_offset
	s_wait_xcnt 0x0
	s_or_b32 exec_lo, exec_lo, s17
	s_and_saveexec_b32 s17, s31
	s_cbranch_execz .LBB1320_563
.LBB1320_631:                           ;   in Loop: Header=BB1320_410 Depth=2
	v_dual_lshlrev_b32 v64, 2, v121 :: v_dual_add_nc_u32 v65, v92, v4
	ds_load_b32 v66, v64
	ds_load_b64 v[64:65], v65 offset:31232
	s_wait_dscnt 0x1
	v_add_nc_u32_e32 v66, v66, v81
	s_wait_dscnt 0x0
	global_store_b64 v66, v[64:65], s[46:47] scale_offset
	s_wait_xcnt 0x0
	s_or_b32 exec_lo, exec_lo, s17
	s_and_saveexec_b32 s17, s33
	s_cbranch_execnz .LBB1320_564
	s_branch .LBB1320_565
.LBB1320_632:                           ;   in Loop: Header=BB1320_12 Depth=1
	s_wait_dscnt 0x0
	s_barrier_signal -1
	s_barrier_wait -1
.LBB1320_633:                           ;   in Loop: Header=BB1320_12 Depth=1
	s_mov_b32 s9, 0
.LBB1320_634:                           ;   in Loop: Header=BB1320_12 Depth=1
	s_delay_alu instid0(SALU_CYCLE_1)
	s_and_not1_b32 vcc_lo, exec_lo, s9
	s_cbranch_vccnz .LBB1320_11
; %bb.635:                              ;   in Loop: Header=BB1320_12 Depth=1
	s_and_b32 vcc_lo, exec_lo, s56
	s_mov_b32 s9, -1
	s_cbranch_vccz .LBB1320_945
; %bb.636:                              ;   in Loop: Header=BB1320_12 Depth=1
	s_mov_b32 s9, s57
	s_mov_b32 s42, s55
	s_barrier_signal -1
	s_barrier_wait -1
                                        ; implicit-def: $vgpr25
                                        ; implicit-def: $vgpr26
                                        ; implicit-def: $vgpr27
                                        ; implicit-def: $vgpr28
                                        ; implicit-def: $vgpr29
                                        ; implicit-def: $vgpr30
                                        ; implicit-def: $vgpr31
                                        ; implicit-def: $vgpr32
                                        ; implicit-def: $vgpr33
                                        ; implicit-def: $vgpr34
                                        ; implicit-def: $vgpr35
                                        ; implicit-def: $vgpr36
                                        ; implicit-def: $vgpr37
                                        ; implicit-def: $vgpr38
                                        ; implicit-def: $vgpr39
                                        ; implicit-def: $vgpr40
                                        ; implicit-def: $vgpr41
	s_branch .LBB1320_638
.LBB1320_637:                           ;   in Loop: Header=BB1320_638 Depth=2
	s_or_b32 exec_lo, exec_lo, s10
	s_addk_co_i32 s9, 0xef00
	s_cmp_ge_u32 s12, s54
	s_mov_b32 s42, s12
	s_cbranch_scc1 .LBB1320_710
.LBB1320_638:                           ;   Parent Loop BB1320_12 Depth=1
                                        ; =>  This Inner Loop Header: Depth=2
	s_add_co_i32 s12, s42, 0x1100
	s_mov_b32 s10, -1
	s_cmp_gt_u32 s12, s54
                                        ; implicit-def: $vgpr42
                                        ; implicit-def: $vgpr43
                                        ; implicit-def: $vgpr44
                                        ; implicit-def: $vgpr45
                                        ; implicit-def: $vgpr46
                                        ; implicit-def: $vgpr47
                                        ; implicit-def: $vgpr48
                                        ; implicit-def: $vgpr49
                                        ; implicit-def: $vgpr50
                                        ; implicit-def: $vgpr51
                                        ; implicit-def: $vgpr52
                                        ; implicit-def: $vgpr53
                                        ; implicit-def: $vgpr54
                                        ; implicit-def: $vgpr55
                                        ; implicit-def: $vgpr56
                                        ; implicit-def: $vgpr57
                                        ; implicit-def: $vgpr58
	s_cbranch_scc1 .LBB1320_640
; %bb.639:                              ;   in Loop: Header=BB1320_638 Depth=2
	v_lshl_add_u64 v[60:61], s[42:43], 2, v[22:23]
	s_mov_b32 s10, 0
	s_clause 0x10
	global_load_b32 v42, v[60:61], off
	global_load_b32 v43, v[60:61], off offset:1024
	global_load_b32 v44, v[60:61], off offset:2048
	;; [unrolled: 1-line block ×16, first 2 shown]
.LBB1320_640:                           ;   in Loop: Header=BB1320_638 Depth=2
	s_and_not1_b32 vcc_lo, exec_lo, s10
	s_movk_i32 s10, 0x1100
	s_cbranch_vccnz .LBB1320_660
; %bb.641:                              ;   in Loop: Header=BB1320_638 Depth=2
	s_lshl_b64 s[10:11], s[42:43], 2
	s_mov_b32 s13, exec_lo
	s_add_nc_u64 s[10:11], s[36:37], s[10:11]
	s_wait_xcnt 0x0
	v_cmpx_gt_u32_e64 s9, v2
	s_cbranch_execnz .LBB1320_694
; %bb.642:                              ;   in Loop: Header=BB1320_638 Depth=2
	s_or_b32 exec_lo, exec_lo, s13
	s_delay_alu instid0(SALU_CYCLE_1)
	s_mov_b32 s13, exec_lo
	v_cmpx_gt_u32_e64 s9, v3
	s_cbranch_execnz .LBB1320_695
.LBB1320_643:                           ;   in Loop: Header=BB1320_638 Depth=2
	s_or_b32 exec_lo, exec_lo, s13
	s_delay_alu instid0(SALU_CYCLE_1)
	s_mov_b32 s13, exec_lo
	v_cmpx_gt_u32_e64 s9, v68
	s_cbranch_execnz .LBB1320_696
.LBB1320_644:                           ;   in Loop: Header=BB1320_638 Depth=2
	s_or_b32 exec_lo, exec_lo, s13
	s_delay_alu instid0(SALU_CYCLE_1)
	s_mov_b32 s13, exec_lo
	v_cmpx_gt_u32_e64 s9, v69
	s_cbranch_execnz .LBB1320_697
.LBB1320_645:                           ;   in Loop: Header=BB1320_638 Depth=2
	s_or_b32 exec_lo, exec_lo, s13
	s_delay_alu instid0(SALU_CYCLE_1)
	s_mov_b32 s13, exec_lo
	v_cmpx_gt_u32_e64 s9, v70
	s_cbranch_execnz .LBB1320_698
.LBB1320_646:                           ;   in Loop: Header=BB1320_638 Depth=2
	s_or_b32 exec_lo, exec_lo, s13
	s_delay_alu instid0(SALU_CYCLE_1)
	s_mov_b32 s13, exec_lo
	v_cmpx_gt_u32_e64 s9, v71
	s_cbranch_execnz .LBB1320_699
.LBB1320_647:                           ;   in Loop: Header=BB1320_638 Depth=2
	s_or_b32 exec_lo, exec_lo, s13
	s_delay_alu instid0(SALU_CYCLE_1)
	s_mov_b32 s13, exec_lo
	v_cmpx_gt_u32_e64 s9, v72
	s_cbranch_execnz .LBB1320_700
.LBB1320_648:                           ;   in Loop: Header=BB1320_638 Depth=2
	s_or_b32 exec_lo, exec_lo, s13
	s_delay_alu instid0(SALU_CYCLE_1)
	s_mov_b32 s13, exec_lo
	v_cmpx_gt_u32_e64 s9, v73
	s_cbranch_execnz .LBB1320_701
.LBB1320_649:                           ;   in Loop: Header=BB1320_638 Depth=2
	s_or_b32 exec_lo, exec_lo, s13
	s_delay_alu instid0(SALU_CYCLE_1)
	s_mov_b32 s13, exec_lo
	v_cmpx_gt_u32_e64 s9, v74
	s_cbranch_execnz .LBB1320_702
.LBB1320_650:                           ;   in Loop: Header=BB1320_638 Depth=2
	s_or_b32 exec_lo, exec_lo, s13
	s_delay_alu instid0(SALU_CYCLE_1)
	s_mov_b32 s13, exec_lo
	v_cmpx_gt_u32_e64 s9, v75
	s_cbranch_execnz .LBB1320_703
.LBB1320_651:                           ;   in Loop: Header=BB1320_638 Depth=2
	s_or_b32 exec_lo, exec_lo, s13
	s_delay_alu instid0(SALU_CYCLE_1)
	s_mov_b32 s13, exec_lo
	v_cmpx_gt_u32_e64 s9, v76
	s_cbranch_execnz .LBB1320_704
.LBB1320_652:                           ;   in Loop: Header=BB1320_638 Depth=2
	s_or_b32 exec_lo, exec_lo, s13
	s_delay_alu instid0(SALU_CYCLE_1)
	s_mov_b32 s13, exec_lo
	v_cmpx_gt_u32_e64 s9, v77
	s_cbranch_execnz .LBB1320_705
.LBB1320_653:                           ;   in Loop: Header=BB1320_638 Depth=2
	s_or_b32 exec_lo, exec_lo, s13
	s_delay_alu instid0(SALU_CYCLE_1)
	s_mov_b32 s13, exec_lo
	v_cmpx_gt_u32_e64 s9, v78
	s_cbranch_execnz .LBB1320_706
.LBB1320_654:                           ;   in Loop: Header=BB1320_638 Depth=2
	s_or_b32 exec_lo, exec_lo, s13
	s_delay_alu instid0(SALU_CYCLE_1)
	s_mov_b32 s13, exec_lo
	v_cmpx_gt_u32_e64 s9, v79
	s_cbranch_execnz .LBB1320_707
.LBB1320_655:                           ;   in Loop: Header=BB1320_638 Depth=2
	s_or_b32 exec_lo, exec_lo, s13
	s_delay_alu instid0(SALU_CYCLE_1)
	s_mov_b32 s13, exec_lo
	v_cmpx_gt_u32_e64 s9, v80
	s_cbranch_execnz .LBB1320_708
.LBB1320_656:                           ;   in Loop: Header=BB1320_638 Depth=2
	s_or_b32 exec_lo, exec_lo, s13
	s_delay_alu instid0(SALU_CYCLE_1)
	s_mov_b32 s13, exec_lo
	v_cmpx_gt_u32_e64 s9, v81
	s_cbranch_execnz .LBB1320_709
.LBB1320_657:                           ;   in Loop: Header=BB1320_638 Depth=2
	s_or_b32 exec_lo, exec_lo, s13
	s_delay_alu instid0(SALU_CYCLE_1)
	s_mov_b32 s13, exec_lo
	v_cmpx_gt_u32_e64 s9, v82
	s_cbranch_execz .LBB1320_659
.LBB1320_658:                           ;   in Loop: Header=BB1320_638 Depth=2
	global_load_b32 v25, v2, s[10:11] offset:16384 scale_offset
.LBB1320_659:                           ;   in Loop: Header=BB1320_638 Depth=2
	s_wait_xcnt 0x0
	s_or_b32 exec_lo, exec_lo, s13
	s_wait_loadcnt 0x0
	v_dual_mov_b32 v42, v41 :: v_dual_mov_b32 v43, v40
	v_dual_mov_b32 v44, v39 :: v_dual_mov_b32 v45, v38
	;; [unrolled: 1-line block ×8, first 2 shown]
	v_mov_b32_e32 v58, v25
	s_mov_b32 s10, s9
.LBB1320_660:                           ;   in Loop: Header=BB1320_638 Depth=2
	s_wait_loadcnt 0x0
	s_delay_alu instid0(VALU_DEP_1)
	v_dual_mov_b32 v25, v58 :: v_dual_mov_b32 v26, v57
	v_dual_mov_b32 v27, v56 :: v_dual_mov_b32 v28, v55
	;; [unrolled: 1-line block ×8, first 2 shown]
	v_mov_b32_e32 v41, v42
	s_mov_b32 s11, exec_lo
	s_wait_xcnt 0x0
	v_cmpx_gt_u32_e64 s10, v2
	s_cbranch_execnz .LBB1320_677
; %bb.661:                              ;   in Loop: Header=BB1320_638 Depth=2
	s_or_b32 exec_lo, exec_lo, s11
	s_delay_alu instid0(SALU_CYCLE_1)
	s_mov_b32 s11, exec_lo
	v_cmpx_gt_u32_e64 s10, v3
	s_cbranch_execnz .LBB1320_678
.LBB1320_662:                           ;   in Loop: Header=BB1320_638 Depth=2
	s_or_b32 exec_lo, exec_lo, s11
	s_delay_alu instid0(SALU_CYCLE_1)
	s_mov_b32 s11, exec_lo
	v_cmpx_gt_u32_e64 s10, v68
	s_cbranch_execnz .LBB1320_679
.LBB1320_663:                           ;   in Loop: Header=BB1320_638 Depth=2
	s_or_b32 exec_lo, exec_lo, s11
	s_delay_alu instid0(SALU_CYCLE_1)
	s_mov_b32 s11, exec_lo
	v_cmpx_gt_u32_e64 s10, v69
	s_cbranch_execnz .LBB1320_680
.LBB1320_664:                           ;   in Loop: Header=BB1320_638 Depth=2
	s_or_b32 exec_lo, exec_lo, s11
	s_delay_alu instid0(SALU_CYCLE_1)
	s_mov_b32 s11, exec_lo
	v_cmpx_gt_u32_e64 s10, v70
	s_cbranch_execnz .LBB1320_681
.LBB1320_665:                           ;   in Loop: Header=BB1320_638 Depth=2
	s_or_b32 exec_lo, exec_lo, s11
	s_delay_alu instid0(SALU_CYCLE_1)
	s_mov_b32 s11, exec_lo
	v_cmpx_gt_u32_e64 s10, v71
	s_cbranch_execnz .LBB1320_682
.LBB1320_666:                           ;   in Loop: Header=BB1320_638 Depth=2
	s_or_b32 exec_lo, exec_lo, s11
	s_delay_alu instid0(SALU_CYCLE_1)
	s_mov_b32 s11, exec_lo
	v_cmpx_gt_u32_e64 s10, v72
	s_cbranch_execnz .LBB1320_683
.LBB1320_667:                           ;   in Loop: Header=BB1320_638 Depth=2
	s_or_b32 exec_lo, exec_lo, s11
	s_delay_alu instid0(SALU_CYCLE_1)
	s_mov_b32 s11, exec_lo
	v_cmpx_gt_u32_e64 s10, v73
	s_cbranch_execnz .LBB1320_684
.LBB1320_668:                           ;   in Loop: Header=BB1320_638 Depth=2
	s_or_b32 exec_lo, exec_lo, s11
	s_delay_alu instid0(SALU_CYCLE_1)
	s_mov_b32 s11, exec_lo
	v_cmpx_gt_u32_e64 s10, v74
	s_cbranch_execnz .LBB1320_685
.LBB1320_669:                           ;   in Loop: Header=BB1320_638 Depth=2
	s_or_b32 exec_lo, exec_lo, s11
	s_delay_alu instid0(SALU_CYCLE_1)
	s_mov_b32 s11, exec_lo
	v_cmpx_gt_u32_e64 s10, v75
	s_cbranch_execnz .LBB1320_686
.LBB1320_670:                           ;   in Loop: Header=BB1320_638 Depth=2
	s_or_b32 exec_lo, exec_lo, s11
	s_delay_alu instid0(SALU_CYCLE_1)
	s_mov_b32 s11, exec_lo
	v_cmpx_gt_u32_e64 s10, v76
	s_cbranch_execnz .LBB1320_687
.LBB1320_671:                           ;   in Loop: Header=BB1320_638 Depth=2
	s_or_b32 exec_lo, exec_lo, s11
	s_delay_alu instid0(SALU_CYCLE_1)
	s_mov_b32 s11, exec_lo
	v_cmpx_gt_u32_e64 s10, v77
	s_cbranch_execnz .LBB1320_688
.LBB1320_672:                           ;   in Loop: Header=BB1320_638 Depth=2
	s_or_b32 exec_lo, exec_lo, s11
	s_delay_alu instid0(SALU_CYCLE_1)
	s_mov_b32 s11, exec_lo
	v_cmpx_gt_u32_e64 s10, v78
	s_cbranch_execnz .LBB1320_689
.LBB1320_673:                           ;   in Loop: Header=BB1320_638 Depth=2
	s_or_b32 exec_lo, exec_lo, s11
	s_delay_alu instid0(SALU_CYCLE_1)
	s_mov_b32 s11, exec_lo
	v_cmpx_gt_u32_e64 s10, v79
	s_cbranch_execnz .LBB1320_690
.LBB1320_674:                           ;   in Loop: Header=BB1320_638 Depth=2
	s_or_b32 exec_lo, exec_lo, s11
	s_delay_alu instid0(SALU_CYCLE_1)
	s_mov_b32 s11, exec_lo
	v_cmpx_gt_u32_e64 s10, v80
	s_cbranch_execnz .LBB1320_691
.LBB1320_675:                           ;   in Loop: Header=BB1320_638 Depth=2
	s_or_b32 exec_lo, exec_lo, s11
	s_delay_alu instid0(SALU_CYCLE_1)
	s_mov_b32 s11, exec_lo
	v_cmpx_gt_u32_e64 s10, v81
	s_cbranch_execnz .LBB1320_692
.LBB1320_676:                           ;   in Loop: Header=BB1320_638 Depth=2
	s_or_b32 exec_lo, exec_lo, s11
	v_cmp_gt_u32_e32 vcc_lo, s10, v82
	s_and_saveexec_b32 s10, vcc_lo
	s_cbranch_execz .LBB1320_637
	s_branch .LBB1320_693
.LBB1320_677:                           ;   in Loop: Header=BB1320_638 Depth=2
	v_cmp_gt_i32_e32 vcc_lo, 0, v41
	v_cndmask_b32_e64 v42, 0x7fffffff, 0, vcc_lo
	s_delay_alu instid0(VALU_DEP_1) | instskip(NEXT) | instid1(VALU_DEP_1)
	v_xor_b32_e32 v42, v42, v41
	v_cmp_ne_u32_e32 vcc_lo, 0x80000000, v42
	v_cndmask_b32_e32 v42, 0x7fffffff, v42, vcc_lo
	s_delay_alu instid0(VALU_DEP_1) | instskip(NEXT) | instid1(VALU_DEP_1)
	v_lshrrev_b32_e32 v42, s49, v42
	v_and_b32_e32 v42, s58, v42
	s_delay_alu instid0(VALU_DEP_1) | instskip(SKIP_2) | instid1(SALU_CYCLE_1)
	v_lshl_or_b32 v42, v42, 4, v84
	ds_add_u32 v42, v96
	s_or_b32 exec_lo, exec_lo, s11
	s_mov_b32 s11, exec_lo
	v_cmpx_gt_u32_e64 s10, v3
	s_cbranch_execz .LBB1320_662
.LBB1320_678:                           ;   in Loop: Header=BB1320_638 Depth=2
	v_cmp_gt_i32_e32 vcc_lo, 0, v40
	v_cndmask_b32_e64 v42, 0x7fffffff, 0, vcc_lo
	s_delay_alu instid0(VALU_DEP_1) | instskip(NEXT) | instid1(VALU_DEP_1)
	v_xor_b32_e32 v42, v42, v40
	v_cmp_ne_u32_e32 vcc_lo, 0x80000000, v42
	v_cndmask_b32_e32 v42, 0x7fffffff, v42, vcc_lo
	s_delay_alu instid0(VALU_DEP_1) | instskip(NEXT) | instid1(VALU_DEP_1)
	v_lshrrev_b32_e32 v42, s49, v42
	v_and_b32_e32 v42, s58, v42
	s_delay_alu instid0(VALU_DEP_1) | instskip(SKIP_2) | instid1(SALU_CYCLE_1)
	v_lshl_or_b32 v42, v42, 4, v84
	ds_add_u32 v42, v96
	s_or_b32 exec_lo, exec_lo, s11
	s_mov_b32 s11, exec_lo
	v_cmpx_gt_u32_e64 s10, v68
	s_cbranch_execz .LBB1320_663
.LBB1320_679:                           ;   in Loop: Header=BB1320_638 Depth=2
	v_cmp_gt_i32_e32 vcc_lo, 0, v39
	v_cndmask_b32_e64 v42, 0x7fffffff, 0, vcc_lo
	s_delay_alu instid0(VALU_DEP_1) | instskip(NEXT) | instid1(VALU_DEP_1)
	v_xor_b32_e32 v42, v42, v39
	v_cmp_ne_u32_e32 vcc_lo, 0x80000000, v42
	v_cndmask_b32_e32 v42, 0x7fffffff, v42, vcc_lo
	s_delay_alu instid0(VALU_DEP_1) | instskip(NEXT) | instid1(VALU_DEP_1)
	v_lshrrev_b32_e32 v42, s49, v42
	v_and_b32_e32 v42, s58, v42
	s_delay_alu instid0(VALU_DEP_1) | instskip(SKIP_2) | instid1(SALU_CYCLE_1)
	v_lshl_or_b32 v42, v42, 4, v84
	ds_add_u32 v42, v96
	s_or_b32 exec_lo, exec_lo, s11
	s_mov_b32 s11, exec_lo
	v_cmpx_gt_u32_e64 s10, v69
	s_cbranch_execz .LBB1320_664
.LBB1320_680:                           ;   in Loop: Header=BB1320_638 Depth=2
	v_cmp_gt_i32_e32 vcc_lo, 0, v38
	v_cndmask_b32_e64 v42, 0x7fffffff, 0, vcc_lo
	s_delay_alu instid0(VALU_DEP_1) | instskip(NEXT) | instid1(VALU_DEP_1)
	v_xor_b32_e32 v42, v42, v38
	v_cmp_ne_u32_e32 vcc_lo, 0x80000000, v42
	v_cndmask_b32_e32 v42, 0x7fffffff, v42, vcc_lo
	s_delay_alu instid0(VALU_DEP_1) | instskip(NEXT) | instid1(VALU_DEP_1)
	v_lshrrev_b32_e32 v42, s49, v42
	v_and_b32_e32 v42, s58, v42
	s_delay_alu instid0(VALU_DEP_1) | instskip(SKIP_2) | instid1(SALU_CYCLE_1)
	v_lshl_or_b32 v42, v42, 4, v84
	ds_add_u32 v42, v96
	s_or_b32 exec_lo, exec_lo, s11
	s_mov_b32 s11, exec_lo
	v_cmpx_gt_u32_e64 s10, v70
	s_cbranch_execz .LBB1320_665
.LBB1320_681:                           ;   in Loop: Header=BB1320_638 Depth=2
	v_cmp_gt_i32_e32 vcc_lo, 0, v37
	v_cndmask_b32_e64 v42, 0x7fffffff, 0, vcc_lo
	s_delay_alu instid0(VALU_DEP_1) | instskip(NEXT) | instid1(VALU_DEP_1)
	v_xor_b32_e32 v42, v42, v37
	v_cmp_ne_u32_e32 vcc_lo, 0x80000000, v42
	v_cndmask_b32_e32 v42, 0x7fffffff, v42, vcc_lo
	s_delay_alu instid0(VALU_DEP_1) | instskip(NEXT) | instid1(VALU_DEP_1)
	v_lshrrev_b32_e32 v42, s49, v42
	v_and_b32_e32 v42, s58, v42
	s_delay_alu instid0(VALU_DEP_1) | instskip(SKIP_2) | instid1(SALU_CYCLE_1)
	v_lshl_or_b32 v42, v42, 4, v84
	ds_add_u32 v42, v96
	s_or_b32 exec_lo, exec_lo, s11
	s_mov_b32 s11, exec_lo
	v_cmpx_gt_u32_e64 s10, v71
	s_cbranch_execz .LBB1320_666
.LBB1320_682:                           ;   in Loop: Header=BB1320_638 Depth=2
	v_cmp_gt_i32_e32 vcc_lo, 0, v36
	v_cndmask_b32_e64 v42, 0x7fffffff, 0, vcc_lo
	s_delay_alu instid0(VALU_DEP_1) | instskip(NEXT) | instid1(VALU_DEP_1)
	v_xor_b32_e32 v42, v42, v36
	v_cmp_ne_u32_e32 vcc_lo, 0x80000000, v42
	v_cndmask_b32_e32 v42, 0x7fffffff, v42, vcc_lo
	s_delay_alu instid0(VALU_DEP_1) | instskip(NEXT) | instid1(VALU_DEP_1)
	v_lshrrev_b32_e32 v42, s49, v42
	v_and_b32_e32 v42, s58, v42
	s_delay_alu instid0(VALU_DEP_1) | instskip(SKIP_2) | instid1(SALU_CYCLE_1)
	v_lshl_or_b32 v42, v42, 4, v84
	ds_add_u32 v42, v96
	s_or_b32 exec_lo, exec_lo, s11
	s_mov_b32 s11, exec_lo
	v_cmpx_gt_u32_e64 s10, v72
	s_cbranch_execz .LBB1320_667
.LBB1320_683:                           ;   in Loop: Header=BB1320_638 Depth=2
	v_cmp_gt_i32_e32 vcc_lo, 0, v35
	v_cndmask_b32_e64 v42, 0x7fffffff, 0, vcc_lo
	s_delay_alu instid0(VALU_DEP_1) | instskip(NEXT) | instid1(VALU_DEP_1)
	v_xor_b32_e32 v42, v42, v35
	v_cmp_ne_u32_e32 vcc_lo, 0x80000000, v42
	v_cndmask_b32_e32 v42, 0x7fffffff, v42, vcc_lo
	s_delay_alu instid0(VALU_DEP_1) | instskip(NEXT) | instid1(VALU_DEP_1)
	v_lshrrev_b32_e32 v42, s49, v42
	v_and_b32_e32 v42, s58, v42
	s_delay_alu instid0(VALU_DEP_1) | instskip(SKIP_2) | instid1(SALU_CYCLE_1)
	v_lshl_or_b32 v42, v42, 4, v84
	ds_add_u32 v42, v96
	s_or_b32 exec_lo, exec_lo, s11
	s_mov_b32 s11, exec_lo
	v_cmpx_gt_u32_e64 s10, v73
	s_cbranch_execz .LBB1320_668
.LBB1320_684:                           ;   in Loop: Header=BB1320_638 Depth=2
	v_cmp_gt_i32_e32 vcc_lo, 0, v34
	v_cndmask_b32_e64 v42, 0x7fffffff, 0, vcc_lo
	s_delay_alu instid0(VALU_DEP_1) | instskip(NEXT) | instid1(VALU_DEP_1)
	v_xor_b32_e32 v42, v42, v34
	v_cmp_ne_u32_e32 vcc_lo, 0x80000000, v42
	v_cndmask_b32_e32 v42, 0x7fffffff, v42, vcc_lo
	s_delay_alu instid0(VALU_DEP_1) | instskip(NEXT) | instid1(VALU_DEP_1)
	v_lshrrev_b32_e32 v42, s49, v42
	v_and_b32_e32 v42, s58, v42
	s_delay_alu instid0(VALU_DEP_1) | instskip(SKIP_2) | instid1(SALU_CYCLE_1)
	v_lshl_or_b32 v42, v42, 4, v84
	ds_add_u32 v42, v96
	s_or_b32 exec_lo, exec_lo, s11
	s_mov_b32 s11, exec_lo
	v_cmpx_gt_u32_e64 s10, v74
	s_cbranch_execz .LBB1320_669
.LBB1320_685:                           ;   in Loop: Header=BB1320_638 Depth=2
	v_cmp_gt_i32_e32 vcc_lo, 0, v33
	v_cndmask_b32_e64 v42, 0x7fffffff, 0, vcc_lo
	s_delay_alu instid0(VALU_DEP_1) | instskip(NEXT) | instid1(VALU_DEP_1)
	v_xor_b32_e32 v42, v42, v33
	v_cmp_ne_u32_e32 vcc_lo, 0x80000000, v42
	v_cndmask_b32_e32 v42, 0x7fffffff, v42, vcc_lo
	s_delay_alu instid0(VALU_DEP_1) | instskip(NEXT) | instid1(VALU_DEP_1)
	v_lshrrev_b32_e32 v42, s49, v42
	v_and_b32_e32 v42, s58, v42
	s_delay_alu instid0(VALU_DEP_1) | instskip(SKIP_2) | instid1(SALU_CYCLE_1)
	v_lshl_or_b32 v42, v42, 4, v84
	ds_add_u32 v42, v96
	s_or_b32 exec_lo, exec_lo, s11
	s_mov_b32 s11, exec_lo
	v_cmpx_gt_u32_e64 s10, v75
	s_cbranch_execz .LBB1320_670
.LBB1320_686:                           ;   in Loop: Header=BB1320_638 Depth=2
	v_cmp_gt_i32_e32 vcc_lo, 0, v32
	v_cndmask_b32_e64 v42, 0x7fffffff, 0, vcc_lo
	s_delay_alu instid0(VALU_DEP_1) | instskip(NEXT) | instid1(VALU_DEP_1)
	v_xor_b32_e32 v42, v42, v32
	v_cmp_ne_u32_e32 vcc_lo, 0x80000000, v42
	v_cndmask_b32_e32 v42, 0x7fffffff, v42, vcc_lo
	s_delay_alu instid0(VALU_DEP_1) | instskip(NEXT) | instid1(VALU_DEP_1)
	v_lshrrev_b32_e32 v42, s49, v42
	v_and_b32_e32 v42, s58, v42
	s_delay_alu instid0(VALU_DEP_1) | instskip(SKIP_2) | instid1(SALU_CYCLE_1)
	v_lshl_or_b32 v42, v42, 4, v84
	ds_add_u32 v42, v96
	s_or_b32 exec_lo, exec_lo, s11
	s_mov_b32 s11, exec_lo
	v_cmpx_gt_u32_e64 s10, v76
	s_cbranch_execz .LBB1320_671
.LBB1320_687:                           ;   in Loop: Header=BB1320_638 Depth=2
	v_cmp_gt_i32_e32 vcc_lo, 0, v31
	v_cndmask_b32_e64 v42, 0x7fffffff, 0, vcc_lo
	s_delay_alu instid0(VALU_DEP_1) | instskip(NEXT) | instid1(VALU_DEP_1)
	v_xor_b32_e32 v42, v42, v31
	v_cmp_ne_u32_e32 vcc_lo, 0x80000000, v42
	v_cndmask_b32_e32 v42, 0x7fffffff, v42, vcc_lo
	s_delay_alu instid0(VALU_DEP_1) | instskip(NEXT) | instid1(VALU_DEP_1)
	v_lshrrev_b32_e32 v42, s49, v42
	v_and_b32_e32 v42, s58, v42
	s_delay_alu instid0(VALU_DEP_1) | instskip(SKIP_2) | instid1(SALU_CYCLE_1)
	v_lshl_or_b32 v42, v42, 4, v84
	ds_add_u32 v42, v96
	s_or_b32 exec_lo, exec_lo, s11
	s_mov_b32 s11, exec_lo
	v_cmpx_gt_u32_e64 s10, v77
	s_cbranch_execz .LBB1320_672
.LBB1320_688:                           ;   in Loop: Header=BB1320_638 Depth=2
	v_cmp_gt_i32_e32 vcc_lo, 0, v30
	v_cndmask_b32_e64 v42, 0x7fffffff, 0, vcc_lo
	s_delay_alu instid0(VALU_DEP_1) | instskip(NEXT) | instid1(VALU_DEP_1)
	v_xor_b32_e32 v42, v42, v30
	v_cmp_ne_u32_e32 vcc_lo, 0x80000000, v42
	v_cndmask_b32_e32 v42, 0x7fffffff, v42, vcc_lo
	s_delay_alu instid0(VALU_DEP_1) | instskip(NEXT) | instid1(VALU_DEP_1)
	v_lshrrev_b32_e32 v42, s49, v42
	v_and_b32_e32 v42, s58, v42
	s_delay_alu instid0(VALU_DEP_1) | instskip(SKIP_2) | instid1(SALU_CYCLE_1)
	v_lshl_or_b32 v42, v42, 4, v84
	ds_add_u32 v42, v96
	s_or_b32 exec_lo, exec_lo, s11
	s_mov_b32 s11, exec_lo
	v_cmpx_gt_u32_e64 s10, v78
	s_cbranch_execz .LBB1320_673
.LBB1320_689:                           ;   in Loop: Header=BB1320_638 Depth=2
	v_cmp_gt_i32_e32 vcc_lo, 0, v29
	v_cndmask_b32_e64 v42, 0x7fffffff, 0, vcc_lo
	s_delay_alu instid0(VALU_DEP_1) | instskip(NEXT) | instid1(VALU_DEP_1)
	v_xor_b32_e32 v42, v42, v29
	v_cmp_ne_u32_e32 vcc_lo, 0x80000000, v42
	v_cndmask_b32_e32 v42, 0x7fffffff, v42, vcc_lo
	s_delay_alu instid0(VALU_DEP_1) | instskip(NEXT) | instid1(VALU_DEP_1)
	v_lshrrev_b32_e32 v42, s49, v42
	v_and_b32_e32 v42, s58, v42
	s_delay_alu instid0(VALU_DEP_1) | instskip(SKIP_2) | instid1(SALU_CYCLE_1)
	v_lshl_or_b32 v42, v42, 4, v84
	ds_add_u32 v42, v96
	s_or_b32 exec_lo, exec_lo, s11
	s_mov_b32 s11, exec_lo
	v_cmpx_gt_u32_e64 s10, v79
	s_cbranch_execz .LBB1320_674
.LBB1320_690:                           ;   in Loop: Header=BB1320_638 Depth=2
	v_cmp_gt_i32_e32 vcc_lo, 0, v28
	v_cndmask_b32_e64 v42, 0x7fffffff, 0, vcc_lo
	s_delay_alu instid0(VALU_DEP_1) | instskip(NEXT) | instid1(VALU_DEP_1)
	v_xor_b32_e32 v42, v42, v28
	v_cmp_ne_u32_e32 vcc_lo, 0x80000000, v42
	v_cndmask_b32_e32 v42, 0x7fffffff, v42, vcc_lo
	s_delay_alu instid0(VALU_DEP_1) | instskip(NEXT) | instid1(VALU_DEP_1)
	v_lshrrev_b32_e32 v42, s49, v42
	v_and_b32_e32 v42, s58, v42
	s_delay_alu instid0(VALU_DEP_1) | instskip(SKIP_2) | instid1(SALU_CYCLE_1)
	v_lshl_or_b32 v42, v42, 4, v84
	ds_add_u32 v42, v96
	s_or_b32 exec_lo, exec_lo, s11
	s_mov_b32 s11, exec_lo
	v_cmpx_gt_u32_e64 s10, v80
	s_cbranch_execz .LBB1320_675
.LBB1320_691:                           ;   in Loop: Header=BB1320_638 Depth=2
	v_cmp_gt_i32_e32 vcc_lo, 0, v27
	v_cndmask_b32_e64 v42, 0x7fffffff, 0, vcc_lo
	s_delay_alu instid0(VALU_DEP_1) | instskip(NEXT) | instid1(VALU_DEP_1)
	v_xor_b32_e32 v42, v42, v27
	v_cmp_ne_u32_e32 vcc_lo, 0x80000000, v42
	v_cndmask_b32_e32 v42, 0x7fffffff, v42, vcc_lo
	s_delay_alu instid0(VALU_DEP_1) | instskip(NEXT) | instid1(VALU_DEP_1)
	v_lshrrev_b32_e32 v42, s49, v42
	v_and_b32_e32 v42, s58, v42
	s_delay_alu instid0(VALU_DEP_1) | instskip(SKIP_2) | instid1(SALU_CYCLE_1)
	v_lshl_or_b32 v42, v42, 4, v84
	ds_add_u32 v42, v96
	s_or_b32 exec_lo, exec_lo, s11
	s_mov_b32 s11, exec_lo
	v_cmpx_gt_u32_e64 s10, v81
	s_cbranch_execz .LBB1320_676
.LBB1320_692:                           ;   in Loop: Header=BB1320_638 Depth=2
	v_cmp_gt_i32_e32 vcc_lo, 0, v26
	v_cndmask_b32_e64 v42, 0x7fffffff, 0, vcc_lo
	s_delay_alu instid0(VALU_DEP_1) | instskip(NEXT) | instid1(VALU_DEP_1)
	v_xor_b32_e32 v42, v42, v26
	v_cmp_ne_u32_e32 vcc_lo, 0x80000000, v42
	v_cndmask_b32_e32 v42, 0x7fffffff, v42, vcc_lo
	s_delay_alu instid0(VALU_DEP_1) | instskip(NEXT) | instid1(VALU_DEP_1)
	v_lshrrev_b32_e32 v42, s49, v42
	v_and_b32_e32 v42, s58, v42
	s_delay_alu instid0(VALU_DEP_1)
	v_lshl_or_b32 v42, v42, 4, v84
	ds_add_u32 v42, v96
	s_or_b32 exec_lo, exec_lo, s11
	v_cmp_gt_u32_e32 vcc_lo, s10, v82
	s_and_saveexec_b32 s10, vcc_lo
	s_cbranch_execz .LBB1320_637
.LBB1320_693:                           ;   in Loop: Header=BB1320_638 Depth=2
	v_cmp_gt_i32_e32 vcc_lo, 0, v25
	v_cndmask_b32_e64 v42, 0x7fffffff, 0, vcc_lo
	s_delay_alu instid0(VALU_DEP_1) | instskip(NEXT) | instid1(VALU_DEP_1)
	v_xor_b32_e32 v42, v42, v25
	v_cmp_ne_u32_e32 vcc_lo, 0x80000000, v42
	v_cndmask_b32_e32 v42, 0x7fffffff, v42, vcc_lo
	s_delay_alu instid0(VALU_DEP_1) | instskip(NEXT) | instid1(VALU_DEP_1)
	v_lshrrev_b32_e32 v42, s49, v42
	v_and_b32_e32 v42, s58, v42
	s_delay_alu instid0(VALU_DEP_1)
	v_lshl_or_b32 v42, v42, 4, v84
	ds_add_u32 v42, v96
	s_branch .LBB1320_637
.LBB1320_694:                           ;   in Loop: Header=BB1320_638 Depth=2
	global_load_b32 v41, v2, s[10:11] scale_offset
	s_wait_xcnt 0x0
	s_or_b32 exec_lo, exec_lo, s13
	s_delay_alu instid0(SALU_CYCLE_1)
	s_mov_b32 s13, exec_lo
	v_cmpx_gt_u32_e64 s9, v3
	s_cbranch_execz .LBB1320_643
.LBB1320_695:                           ;   in Loop: Header=BB1320_638 Depth=2
	global_load_b32 v40, v2, s[10:11] offset:1024 scale_offset
	s_wait_xcnt 0x0
	s_or_b32 exec_lo, exec_lo, s13
	s_delay_alu instid0(SALU_CYCLE_1)
	s_mov_b32 s13, exec_lo
	v_cmpx_gt_u32_e64 s9, v68
	s_cbranch_execz .LBB1320_644
.LBB1320_696:                           ;   in Loop: Header=BB1320_638 Depth=2
	global_load_b32 v39, v2, s[10:11] offset:2048 scale_offset
	s_wait_xcnt 0x0
	s_or_b32 exec_lo, exec_lo, s13
	s_delay_alu instid0(SALU_CYCLE_1)
	s_mov_b32 s13, exec_lo
	v_cmpx_gt_u32_e64 s9, v69
	s_cbranch_execz .LBB1320_645
.LBB1320_697:                           ;   in Loop: Header=BB1320_638 Depth=2
	global_load_b32 v38, v2, s[10:11] offset:3072 scale_offset
	s_wait_xcnt 0x0
	s_or_b32 exec_lo, exec_lo, s13
	s_delay_alu instid0(SALU_CYCLE_1)
	s_mov_b32 s13, exec_lo
	v_cmpx_gt_u32_e64 s9, v70
	s_cbranch_execz .LBB1320_646
.LBB1320_698:                           ;   in Loop: Header=BB1320_638 Depth=2
	global_load_b32 v37, v2, s[10:11] offset:4096 scale_offset
	s_wait_xcnt 0x0
	s_or_b32 exec_lo, exec_lo, s13
	s_delay_alu instid0(SALU_CYCLE_1)
	s_mov_b32 s13, exec_lo
	v_cmpx_gt_u32_e64 s9, v71
	s_cbranch_execz .LBB1320_647
.LBB1320_699:                           ;   in Loop: Header=BB1320_638 Depth=2
	global_load_b32 v36, v2, s[10:11] offset:5120 scale_offset
	s_wait_xcnt 0x0
	s_or_b32 exec_lo, exec_lo, s13
	s_delay_alu instid0(SALU_CYCLE_1)
	s_mov_b32 s13, exec_lo
	v_cmpx_gt_u32_e64 s9, v72
	s_cbranch_execz .LBB1320_648
.LBB1320_700:                           ;   in Loop: Header=BB1320_638 Depth=2
	global_load_b32 v35, v2, s[10:11] offset:6144 scale_offset
	s_wait_xcnt 0x0
	s_or_b32 exec_lo, exec_lo, s13
	s_delay_alu instid0(SALU_CYCLE_1)
	s_mov_b32 s13, exec_lo
	v_cmpx_gt_u32_e64 s9, v73
	s_cbranch_execz .LBB1320_649
.LBB1320_701:                           ;   in Loop: Header=BB1320_638 Depth=2
	global_load_b32 v34, v2, s[10:11] offset:7168 scale_offset
	s_wait_xcnt 0x0
	s_or_b32 exec_lo, exec_lo, s13
	s_delay_alu instid0(SALU_CYCLE_1)
	s_mov_b32 s13, exec_lo
	v_cmpx_gt_u32_e64 s9, v74
	s_cbranch_execz .LBB1320_650
.LBB1320_702:                           ;   in Loop: Header=BB1320_638 Depth=2
	global_load_b32 v33, v2, s[10:11] offset:8192 scale_offset
	s_wait_xcnt 0x0
	s_or_b32 exec_lo, exec_lo, s13
	s_delay_alu instid0(SALU_CYCLE_1)
	s_mov_b32 s13, exec_lo
	v_cmpx_gt_u32_e64 s9, v75
	s_cbranch_execz .LBB1320_651
.LBB1320_703:                           ;   in Loop: Header=BB1320_638 Depth=2
	global_load_b32 v32, v2, s[10:11] offset:9216 scale_offset
	s_wait_xcnt 0x0
	s_or_b32 exec_lo, exec_lo, s13
	s_delay_alu instid0(SALU_CYCLE_1)
	s_mov_b32 s13, exec_lo
	v_cmpx_gt_u32_e64 s9, v76
	s_cbranch_execz .LBB1320_652
.LBB1320_704:                           ;   in Loop: Header=BB1320_638 Depth=2
	global_load_b32 v31, v2, s[10:11] offset:10240 scale_offset
	s_wait_xcnt 0x0
	s_or_b32 exec_lo, exec_lo, s13
	s_delay_alu instid0(SALU_CYCLE_1)
	s_mov_b32 s13, exec_lo
	v_cmpx_gt_u32_e64 s9, v77
	s_cbranch_execz .LBB1320_653
.LBB1320_705:                           ;   in Loop: Header=BB1320_638 Depth=2
	global_load_b32 v30, v2, s[10:11] offset:11264 scale_offset
	s_wait_xcnt 0x0
	s_or_b32 exec_lo, exec_lo, s13
	s_delay_alu instid0(SALU_CYCLE_1)
	s_mov_b32 s13, exec_lo
	v_cmpx_gt_u32_e64 s9, v78
	s_cbranch_execz .LBB1320_654
.LBB1320_706:                           ;   in Loop: Header=BB1320_638 Depth=2
	global_load_b32 v29, v2, s[10:11] offset:12288 scale_offset
	s_wait_xcnt 0x0
	s_or_b32 exec_lo, exec_lo, s13
	s_delay_alu instid0(SALU_CYCLE_1)
	s_mov_b32 s13, exec_lo
	v_cmpx_gt_u32_e64 s9, v79
	s_cbranch_execz .LBB1320_655
.LBB1320_707:                           ;   in Loop: Header=BB1320_638 Depth=2
	global_load_b32 v28, v2, s[10:11] offset:13312 scale_offset
	s_wait_xcnt 0x0
	s_or_b32 exec_lo, exec_lo, s13
	s_delay_alu instid0(SALU_CYCLE_1)
	s_mov_b32 s13, exec_lo
	v_cmpx_gt_u32_e64 s9, v80
	s_cbranch_execz .LBB1320_656
.LBB1320_708:                           ;   in Loop: Header=BB1320_638 Depth=2
	global_load_b32 v27, v2, s[10:11] offset:14336 scale_offset
	s_wait_xcnt 0x0
	s_or_b32 exec_lo, exec_lo, s13
	s_delay_alu instid0(SALU_CYCLE_1)
	s_mov_b32 s13, exec_lo
	v_cmpx_gt_u32_e64 s9, v81
	s_cbranch_execz .LBB1320_657
.LBB1320_709:                           ;   in Loop: Header=BB1320_638 Depth=2
	global_load_b32 v26, v2, s[10:11] offset:15360 scale_offset
	s_wait_xcnt 0x0
	s_or_b32 exec_lo, exec_lo, s13
	s_delay_alu instid0(SALU_CYCLE_1)
	s_mov_b32 s13, exec_lo
	v_cmpx_gt_u32_e64 s9, v82
	s_cbranch_execnz .LBB1320_658
	s_branch .LBB1320_659
.LBB1320_710:                           ;   in Loop: Header=BB1320_12 Depth=1
	v_mov_b32_e32 v25, 0
	s_wait_dscnt 0x0
	s_barrier_signal -1
	s_barrier_wait -1
	s_and_saveexec_b32 s9, s0
	s_cbranch_execz .LBB1320_712
; %bb.711:                              ;   in Loop: Header=BB1320_12 Depth=1
	ds_load_2addr_b64 v[26:29], v85 offset1:1
	s_wait_dscnt 0x0
	v_add_nc_u32_e32 v25, v27, v26
	s_delay_alu instid0(VALU_DEP_1)
	v_add3_u32 v25, v25, v28, v29
.LBB1320_712:                           ;   in Loop: Header=BB1320_12 Depth=1
	s_or_b32 exec_lo, exec_lo, s9
	s_delay_alu instid0(VALU_DEP_1)
	v_mov_b32_dpp v26, v25 row_shr:1 row_mask:0xf bank_mask:0xf
	v_cmp_eq_u32_e64 s9, 0, v97
	v_cmp_lt_u32_e64 s10, 1, v97
	v_cmp_lt_u32_e64 s11, 3, v97
	;; [unrolled: 1-line block ×3, first 2 shown]
	v_cmp_eq_u32_e64 s13, 0, v99
	v_cndmask_b32_e64 v26, v26, 0, s9
	s_delay_alu instid0(VALU_DEP_1) | instskip(NEXT) | instid1(VALU_DEP_1)
	v_add_nc_u32_e32 v25, v26, v25
	v_mov_b32_dpp v26, v25 row_shr:2 row_mask:0xf bank_mask:0xf
	s_delay_alu instid0(VALU_DEP_1) | instskip(NEXT) | instid1(VALU_DEP_1)
	v_cndmask_b32_e64 v26, 0, v26, s10
	v_add_nc_u32_e32 v25, v25, v26
	s_delay_alu instid0(VALU_DEP_1) | instskip(NEXT) | instid1(VALU_DEP_1)
	v_mov_b32_dpp v26, v25 row_shr:4 row_mask:0xf bank_mask:0xf
	v_cndmask_b32_e64 v26, 0, v26, s11
	s_delay_alu instid0(VALU_DEP_1) | instskip(NEXT) | instid1(VALU_DEP_1)
	v_add_nc_u32_e32 v25, v25, v26
	v_mov_b32_dpp v26, v25 row_shr:8 row_mask:0xf bank_mask:0xf
	s_delay_alu instid0(VALU_DEP_1) | instskip(NEXT) | instid1(VALU_DEP_1)
	v_cndmask_b32_e64 v26, 0, v26, s12
	v_add_nc_u32_e32 v25, v25, v26
	ds_swizzle_b32 v26, v25 offset:swizzle(BROADCAST,32,15)
	s_wait_dscnt 0x0
	v_and_b32_e32 v26, v98, v26
	s_delay_alu instid0(VALU_DEP_1)
	v_add_nc_u32_e32 v25, v25, v26
	s_and_saveexec_b32 s14, s1
; %bb.713:                              ;   in Loop: Header=BB1320_12 Depth=1
	ds_store_b32 v86, v25
; %bb.714:                              ;   in Loop: Header=BB1320_12 Depth=1
	s_or_b32 exec_lo, exec_lo, s14
	s_wait_dscnt 0x0
	s_barrier_signal -1
	s_barrier_wait -1
	s_and_saveexec_b32 s14, s4
	s_cbranch_execz .LBB1320_716
; %bb.715:                              ;   in Loop: Header=BB1320_12 Depth=1
	ds_load_b32 v26, v87
	v_cmp_ne_u32_e32 vcc_lo, 0, v100
	s_wait_dscnt 0x0
	v_mov_b32_dpp v27, v26 row_shr:1 row_mask:0xf bank_mask:0xf
	s_delay_alu instid0(VALU_DEP_1) | instskip(SKIP_1) | instid1(VALU_DEP_2)
	v_cndmask_b32_e32 v27, 0, v27, vcc_lo
	v_cmp_lt_u32_e32 vcc_lo, 1, v100
	v_add_nc_u32_e32 v26, v27, v26
	s_delay_alu instid0(VALU_DEP_1) | instskip(NEXT) | instid1(VALU_DEP_1)
	v_mov_b32_dpp v27, v26 row_shr:2 row_mask:0xf bank_mask:0xf
	v_cndmask_b32_e32 v27, 0, v27, vcc_lo
	s_delay_alu instid0(VALU_DEP_1)
	v_add_nc_u32_e32 v26, v26, v27
	ds_store_b32 v87, v26
.LBB1320_716:                           ;   in Loop: Header=BB1320_12 Depth=1
	s_or_b32 exec_lo, exec_lo, s14
	v_mov_b32_e32 v26, 0
	s_wait_dscnt 0x0
	s_barrier_signal -1
	s_barrier_wait -1
	s_and_saveexec_b32 s14, s5
; %bb.717:                              ;   in Loop: Header=BB1320_12 Depth=1
	ds_load_b32 v26, v88
; %bb.718:                              ;   in Loop: Header=BB1320_12 Depth=1
	s_or_b32 exec_lo, exec_lo, s14
	v_cmp_gt_i32_e32 vcc_lo, 0, v102
	s_wait_dscnt 0x0
	s_barrier_signal -1
	s_barrier_wait -1
	v_cndmask_b32_e32 v27, v102, v95, vcc_lo
	s_delay_alu instid0(VALU_DEP_1)
	v_dual_add_nc_u32 v25, v26, v25 :: v_dual_lshlrev_b32 v119, 2, v27
	ds_bpermute_b32 v25, v119, v25
	s_and_saveexec_b32 s14, s0
	s_cbranch_execz .LBB1320_720
; %bb.719:                              ;   in Loop: Header=BB1320_12 Depth=1
	s_wait_dscnt 0x0
	v_cndmask_b32_e64 v25, v25, v26, s8
	s_delay_alu instid0(VALU_DEP_1)
	v_add_nc_u32_e32 v25, s55, v25
	ds_store_b32 v4, v25
.LBB1320_720:                           ;   in Loop: Header=BB1320_12 Depth=1
	s_or_b32 exec_lo, exec_lo, s14
	s_load_b64 s[14:15], s[52:53], 0x0
	s_mov_b32 s59, s57
                                        ; implicit-def: $vgpr32_vgpr33
                                        ; implicit-def: $vgpr34_vgpr35
                                        ; implicit-def: $vgpr36_vgpr37
                                        ; implicit-def: $vgpr38_vgpr39
                                        ; implicit-def: $vgpr40_vgpr41
                                        ; implicit-def: $vgpr42_vgpr43
                                        ; implicit-def: $vgpr44_vgpr45
                                        ; implicit-def: $vgpr46_vgpr47
                                        ; implicit-def: $vgpr48_vgpr49
                                        ; implicit-def: $vgpr50_vgpr51
                                        ; implicit-def: $vgpr52_vgpr53
                                        ; implicit-def: $vgpr54_vgpr55
                                        ; implicit-def: $vgpr56_vgpr57
                                        ; implicit-def: $vgpr58_vgpr59
                                        ; implicit-def: $vgpr60_vgpr61
                                        ; implicit-def: $vgpr62_vgpr63
                                        ; implicit-def: $vgpr120
                                        ; implicit-def: $vgpr121
                                        ; implicit-def: $vgpr122
                                        ; implicit-def: $vgpr123
                                        ; implicit-def: $vgpr124
                                        ; implicit-def: $vgpr125
                                        ; implicit-def: $vgpr126
                                        ; implicit-def: $vgpr127
                                        ; implicit-def: $vgpr128
                                        ; implicit-def: $vgpr129
                                        ; implicit-def: $vgpr130
                                        ; implicit-def: $vgpr131
                                        ; implicit-def: $vgpr132
                                        ; implicit-def: $vgpr134
                                        ; implicit-def: $vgpr135
                                        ; implicit-def: $vgpr136
                                        ; implicit-def: $vgpr137
                                        ; implicit-def: $vgpr133
                                        ; implicit-def: $vgpr138
	s_wait_kmcnt 0x0
	s_cmp_lt_u32 s51, s14
	s_cselect_b32 s42, 12, 18
	s_cmp_lt_u32 s35, s15
	s_mov_b32 s15, s43
	s_cselect_b32 s14, 14, 20
	s_delay_alu instid0(SALU_CYCLE_1)
	s_add_nc_u64 s[14:15], s[52:53], s[14:15]
	s_load_u16 s16, s[14:15], 0x0
	s_wait_xcnt 0x0
	s_add_nc_u64 s[14:15], s[52:53], s[42:43]
	s_mov_b32 s42, s55
	s_load_u16 s14, s[14:15], 0x0
	s_wait_xcnt 0x0
	v_cmp_lt_u32_e64 s15, 1, v103
	s_wait_dscnt 0x0
	s_wait_kmcnt 0x0
	v_mad_u32_u24 v25, v89, s16, v91
	v_cmp_lt_u32_e64 s16, 3, v103
	s_delay_alu instid0(VALU_DEP_2) | instskip(SKIP_2) | instid1(VALU_DEP_3)
	v_mad_u32 v26, v25, s14, v2
	v_mov_b32_e32 v25, v1
	v_cmp_eq_u32_e64 s14, 0, v103
	v_lshrrev_b32_e32 v30, 3, v26
	v_add_nc_u64_e32 v[26:27], v[14:15], v[0:1]
	s_delay_alu instid0(VALU_DEP_4) | instskip(NEXT) | instid1(VALU_DEP_3)
	v_add_nc_u64_e32 v[28:29], v[16:17], v[24:25]
	v_and_b32_e32 v25, 0x1ffffffc, v30
                                        ; implicit-def: $vgpr30_vgpr31
	s_branch .LBB1320_722
.LBB1320_721:                           ;   in Loop: Header=BB1320_722 Depth=2
	s_or_b32 exec_lo, exec_lo, s17
	s_addk_co_i32 s59, 0xef00
	s_cmp_lt_u32 s60, s54
	s_mov_b32 s42, s60
	s_cbranch_scc0 .LBB1320_944
.LBB1320_722:                           ;   Parent Loop BB1320_12 Depth=1
                                        ; =>  This Inner Loop Header: Depth=2
	s_add_co_i32 s60, s42, 0x1100
	s_delay_alu instid0(SALU_CYCLE_1)
	s_cmp_gt_u32 s60, s54
	s_cbranch_scc1 .LBB1320_724
; %bb.723:                              ;   in Loop: Header=BB1320_722 Depth=2
	s_delay_alu instid0(VALU_DEP_2)
	v_lshl_add_u64 v[64:65], s[42:43], 2, v[28:29]
	s_mov_b32 s17, -1
	s_clause 0xf
	global_load_b32 v140, v[64:65], off
	global_load_b32 v142, v[64:65], off offset:128
	global_load_b32 v144, v[64:65], off offset:256
	;; [unrolled: 1-line block ×15, first 2 shown]
	s_movk_i32 s18, 0x1100
	s_cbranch_execz .LBB1320_725
	s_branch .LBB1320_758
.LBB1320_724:                           ;   in Loop: Header=BB1320_722 Depth=2
	s_mov_b32 s17, 0
                                        ; implicit-def: $vgpr140
                                        ; implicit-def: $vgpr142
                                        ; implicit-def: $vgpr144
                                        ; implicit-def: $vgpr148
                                        ; implicit-def: $vgpr153
                                        ; implicit-def: $vgpr158
                                        ; implicit-def: $vgpr163
                                        ; implicit-def: $vgpr168
                                        ; implicit-def: $vgpr173
                                        ; implicit-def: $vgpr171
                                        ; implicit-def: $vgpr166
                                        ; implicit-def: $vgpr161
                                        ; implicit-def: $vgpr157
                                        ; implicit-def: $vgpr152
                                        ; implicit-def: $vgpr67
                                        ; implicit-def: $vgpr66
	s_movk_i32 s18, 0x1100
.LBB1320_725:                           ;   in Loop: Header=BB1320_722 Depth=2
	s_wait_xcnt 0x0
	v_lshl_add_u64 v[64:65], s[42:43], 2, v[28:29]
	s_wait_loadcnt 0xe
	v_dual_mov_b32 v142, -1 :: v_dual_mov_b32 v140, -1
	s_mov_b32 s17, exec_lo
	v_cmpx_gt_u32_e64 s59, v101
	s_cbranch_execz .LBB1320_727
; %bb.726:                              ;   in Loop: Header=BB1320_722 Depth=2
	global_load_b32 v140, v[64:65], off
.LBB1320_727:                           ;   in Loop: Header=BB1320_722 Depth=2
	s_wait_xcnt 0x0
	s_or_b32 exec_lo, exec_lo, s17
	s_delay_alu instid0(SALU_CYCLE_1)
	s_mov_b32 s17, exec_lo
	v_cmpx_gt_u32_e64 s59, v104
	s_cbranch_execz .LBB1320_729
; %bb.728:                              ;   in Loop: Header=BB1320_722 Depth=2
	global_load_b32 v142, v[64:65], off offset:128
.LBB1320_729:                           ;   in Loop: Header=BB1320_722 Depth=2
	s_wait_xcnt 0x0
	s_or_b32 exec_lo, exec_lo, s17
	s_wait_loadcnt 0xc
	v_dual_mov_b32 v148, -1 :: v_dual_mov_b32 v144, -1
	s_mov_b32 s17, exec_lo
	v_cmpx_gt_u32_e64 s59, v105
	s_cbranch_execz .LBB1320_731
; %bb.730:                              ;   in Loop: Header=BB1320_722 Depth=2
	global_load_b32 v144, v[64:65], off offset:256
.LBB1320_731:                           ;   in Loop: Header=BB1320_722 Depth=2
	s_wait_xcnt 0x0
	s_or_b32 exec_lo, exec_lo, s17
	s_delay_alu instid0(SALU_CYCLE_1)
	s_mov_b32 s17, exec_lo
	v_cmpx_gt_u32_e64 s59, v106
	s_cbranch_execz .LBB1320_733
; %bb.732:                              ;   in Loop: Header=BB1320_722 Depth=2
	global_load_b32 v148, v[64:65], off offset:384
.LBB1320_733:                           ;   in Loop: Header=BB1320_722 Depth=2
	s_wait_xcnt 0x0
	s_or_b32 exec_lo, exec_lo, s17
	s_wait_loadcnt 0xa
	v_dual_mov_b32 v158, -1 :: v_dual_mov_b32 v153, -1
	s_mov_b32 s17, exec_lo
	v_cmpx_gt_u32_e64 s59, v107
	s_cbranch_execz .LBB1320_735
; %bb.734:                              ;   in Loop: Header=BB1320_722 Depth=2
	global_load_b32 v153, v[64:65], off offset:512
.LBB1320_735:                           ;   in Loop: Header=BB1320_722 Depth=2
	;; [unrolled: 19-line block ×7, first 2 shown]
	s_wait_xcnt 0x0
	s_or_b32 exec_lo, exec_lo, s17
	s_delay_alu instid0(SALU_CYCLE_1)
	s_mov_b32 s17, exec_lo
	v_cmpx_gt_u32_e64 s59, v118
	s_cbranch_execz .LBB1320_757
; %bb.756:                              ;   in Loop: Header=BB1320_722 Depth=2
	global_load_b32 v66, v[64:65], off offset:1920
.LBB1320_757:                           ;   in Loop: Header=BB1320_722 Depth=2
	s_wait_xcnt 0x0
	s_or_b32 exec_lo, exec_lo, s17
	v_cmp_gt_u32_e64 s17, s59, v5
	s_sub_co_i32 s18, s54, s42
.LBB1320_758:                           ;   in Loop: Header=BB1320_722 Depth=2
	s_wait_xcnt 0x0
	v_dual_mov_b32 v64, -1 :: v_dual_mov_b32 v139, s59
	s_and_saveexec_b32 s19, s17
	s_cbranch_execz .LBB1320_760
; %bb.759:                              ;   in Loop: Header=BB1320_722 Depth=2
	v_lshl_add_u64 v[64:65], s[42:43], 2, v[28:29]
	v_mov_b32_e32 v139, s18
	global_load_b32 v64, v[64:65], off offset:2048
.LBB1320_760:                           ;   in Loop: Header=BB1320_722 Depth=2
	s_wait_xcnt 0x0
	s_or_b32 exec_lo, exec_lo, s19
	s_wait_loadcnt 0xf
	v_cmp_gt_i32_e32 vcc_lo, 0, v140
	ds_store_2addr_b32 v90, v1, v1 offset0:136 offset1:137
	ds_store_2addr_b32 v90, v1, v1 offset0:138 offset1:139
	ds_store_b32 v90, v1 offset:560
	s_wait_loadcnt_dscnt 0x0
	s_barrier_signal -1
	s_barrier_wait -1
	v_cndmask_b32_e64 v65, 0x7fffffff, 0, vcc_lo
	; wave barrier
	s_delay_alu instid0(VALU_DEP_1) | instskip(NEXT) | instid1(VALU_DEP_1)
	v_xor_b32_e32 v140, v65, v140
	v_cmp_ne_u32_e32 vcc_lo, 0x80000000, v140
	v_cndmask_b32_e32 v65, 0x7fffffff, v140, vcc_lo
	s_delay_alu instid0(VALU_DEP_1) | instskip(NEXT) | instid1(VALU_DEP_1)
	v_lshrrev_b32_e32 v65, s49, v65
	v_bitop3_b32 v141, v65, 1, s58 bitop3:0x80
	v_and_b32_e32 v143, s58, v65
	s_delay_alu instid0(VALU_DEP_2) | instskip(NEXT) | instid1(VALU_DEP_1)
	v_add_co_u32 v65, s17, v141, -1
	v_cndmask_b32_e64 v141, 0, 1, s17
	s_delay_alu instid0(VALU_DEP_3) | instskip(SKIP_1) | instid1(VALU_DEP_3)
	v_dual_lshlrev_b32 v145, 30, v143 :: v_dual_lshlrev_b32 v147, 28, v143
	v_lshlrev_b32_e32 v146, 29, v143
	v_cmp_ne_u32_e32 vcc_lo, 0, v141
	s_delay_alu instid0(VALU_DEP_3) | instskip(SKIP_1) | instid1(VALU_DEP_4)
	v_cmp_gt_i32_e64 s17, 0, v145
	v_not_b32_e32 v141, v145
	v_cmp_gt_i32_e64 s18, 0, v146
	v_not_b32_e32 v145, v146
	v_not_b32_e32 v146, v147
	v_cmp_gt_i32_e64 s19, 0, v147
	v_ashrrev_i32_e32 v141, 31, v141
	v_bitop3_b32 v65, vcc_lo, exec_lo, v65 bitop3:0x48
	s_delay_alu instid0(VALU_DEP_4) | instskip(SKIP_2) | instid1(VALU_DEP_3)
	v_dual_ashrrev_i32 v146, 31, v146 :: v_dual_lshlrev_b32 v149, 27, v143
	v_dual_lshlrev_b32 v150, 26, v143 :: v_dual_lshlrev_b32 v151, 25, v143
	v_mul_u32_u24_e32 v143, 36, v143
	v_xor_b32_e32 v146, s19, v146
	s_delay_alu instid0(VALU_DEP_4)
	v_not_b32_e32 v147, v149
	v_ashrrev_i32_e32 v145, 31, v145
	v_cmp_gt_i32_e64 s20, 0, v149
	v_cmp_gt_i32_e64 s21, 0, v150
	v_not_b32_e32 v149, v150
	v_not_b32_e32 v150, v151
	v_dual_ashrrev_i32 v147, 31, v147 :: v_dual_bitop2_b32 v141, s17, v141 bitop3:0x14
	v_dual_add_nc_u32 v143, v25, v143 :: v_dual_bitop2_b32 v145, s18, v145 bitop3:0x14
	v_cmp_gt_i32_e64 s22, 0, v151
	s_delay_alu instid0(VALU_DEP_4) | instskip(NEXT) | instid1(VALU_DEP_4)
	v_dual_ashrrev_i32 v149, 31, v149 :: v_dual_ashrrev_i32 v150, 31, v150
	v_xor_b32_e32 v147, s20, v147
	s_delay_alu instid0(VALU_DEP_4) | instskip(NEXT) | instid1(VALU_DEP_3)
	v_bitop3_b32 v65, v65, v145, v141 bitop3:0x80
	v_xor_b32_e32 v141, s21, v149
	s_delay_alu instid0(VALU_DEP_4) | instskip(NEXT) | instid1(VALU_DEP_3)
	v_xor_b32_e32 v145, s22, v150
	v_bitop3_b32 v65, v65, v147, v146 bitop3:0x80
	s_delay_alu instid0(VALU_DEP_1) | instskip(NEXT) | instid1(VALU_DEP_1)
	v_bitop3_b32 v65, v65, v145, v141 bitop3:0x80
	v_mbcnt_lo_u32_b32 v141, v65, 0
	v_cmp_ne_u32_e64 s17, 0, v65
	s_delay_alu instid0(VALU_DEP_2) | instskip(SKIP_1) | instid1(SALU_CYCLE_1)
	v_cmp_eq_u32_e32 vcc_lo, 0, v141
	s_and_b32 s18, s17, vcc_lo
	s_and_saveexec_b32 s17, s18
; %bb.761:                              ;   in Loop: Header=BB1320_722 Depth=2
	v_bcnt_u32_b32 v65, v65, 0
	ds_store_b32 v143, v65 offset:544
; %bb.762:                              ;   in Loop: Header=BB1320_722 Depth=2
	s_or_b32 exec_lo, exec_lo, s17
	v_cmp_gt_i32_e32 vcc_lo, 0, v142
	; wave barrier
	v_cndmask_b32_e64 v65, 0x7fffffff, 0, vcc_lo
	s_delay_alu instid0(VALU_DEP_1) | instskip(NEXT) | instid1(VALU_DEP_1)
	v_xor_b32_e32 v142, v65, v142
	v_cmp_ne_u32_e32 vcc_lo, 0x80000000, v142
	v_cndmask_b32_e32 v65, 0x7fffffff, v142, vcc_lo
	s_delay_alu instid0(VALU_DEP_1) | instskip(NEXT) | instid1(VALU_DEP_1)
	v_lshrrev_b32_e32 v65, s49, v65
	v_bitop3_b32 v145, v65, 1, s58 bitop3:0x80
	v_and_b32_e32 v147, s58, v65
	s_delay_alu instid0(VALU_DEP_2) | instskip(NEXT) | instid1(VALU_DEP_1)
	v_add_co_u32 v65, s17, v145, -1
	v_cndmask_b32_e64 v145, 0, 1, s17
	s_delay_alu instid0(VALU_DEP_3) | instskip(NEXT) | instid1(VALU_DEP_2)
	v_dual_lshlrev_b32 v146, 30, v147 :: v_dual_lshlrev_b32 v149, 29, v147
	v_cmp_ne_u32_e32 vcc_lo, 0, v145
	s_delay_alu instid0(VALU_DEP_2) | instskip(SKIP_1) | instid1(VALU_DEP_4)
	v_cmp_gt_i32_e64 s17, 0, v146
	v_not_b32_e32 v145, v146
	v_not_b32_e32 v146, v149
	v_bitop3_b32 v65, vcc_lo, exec_lo, v65 bitop3:0x48
	s_delay_alu instid0(VALU_DEP_2) | instskip(SKIP_3) | instid1(VALU_DEP_3)
	v_dual_ashrrev_i32 v145, 31, v145 :: v_dual_ashrrev_i32 v146, 31, v146
	v_dual_lshlrev_b32 v150, 28, v147 :: v_dual_lshlrev_b32 v151, 27, v147
	v_dual_lshlrev_b32 v154, 26, v147 :: v_dual_lshlrev_b32 v155, 25, v147
	v_cmp_gt_i32_e64 s18, 0, v149
	v_cmp_gt_i32_e64 s19, 0, v150
	v_not_b32_e32 v149, v150
	v_not_b32_e32 v150, v151
	v_cmp_gt_i32_e64 s20, 0, v151
	v_cmp_gt_i32_e64 s21, 0, v154
	v_not_b32_e32 v151, v154
	v_not_b32_e32 v154, v155
	v_dual_ashrrev_i32 v149, 31, v149 :: v_dual_ashrrev_i32 v150, 31, v150
	s_delay_alu instid0(VALU_DEP_3) | instskip(SKIP_2) | instid1(VALU_DEP_4)
	v_dual_ashrrev_i32 v151, 31, v151 :: v_dual_bitop2_b32 v145, s17, v145 bitop3:0x14
	v_xor_b32_e32 v146, s18, v146
	v_cmp_gt_i32_e64 s22, 0, v155
	v_dual_ashrrev_i32 v154, 31, v154 :: v_dual_bitop2_b32 v149, s19, v149 bitop3:0x14
	v_xor_b32_e32 v150, s20, v150
	s_delay_alu instid0(VALU_DEP_4)
	v_bitop3_b32 v65, v65, v146, v145 bitop3:0x80
	v_mad_u32_u24 v145, v147, 36, v25
	v_xor_b32_e32 v146, s21, v151
	v_xor_b32_e32 v151, s22, v154
	v_mul_u32_u24_e32 v147, 36, v147
	v_bitop3_b32 v65, v65, v150, v149 bitop3:0x80
	ds_load_b32 v145, v145 offset:544
	; wave barrier
	v_add_nc_u32_e32 v147, v25, v147
	v_bitop3_b32 v65, v65, v151, v146 bitop3:0x80
	s_delay_alu instid0(VALU_DEP_1) | instskip(SKIP_1) | instid1(VALU_DEP_2)
	v_mbcnt_lo_u32_b32 v146, v65, 0
	v_cmp_ne_u32_e64 s17, 0, v65
	v_cmp_eq_u32_e32 vcc_lo, 0, v146
	s_and_b32 s18, s17, vcc_lo
	s_delay_alu instid0(SALU_CYCLE_1)
	s_and_saveexec_b32 s17, s18
	s_cbranch_execz .LBB1320_764
; %bb.763:                              ;   in Loop: Header=BB1320_722 Depth=2
	s_wait_dscnt 0x0
	v_bcnt_u32_b32 v65, v65, v145
	ds_store_b32 v147, v65 offset:544
.LBB1320_764:                           ;   in Loop: Header=BB1320_722 Depth=2
	s_or_b32 exec_lo, exec_lo, s17
	v_cmp_gt_i32_e32 vcc_lo, 0, v144
	; wave barrier
	v_cndmask_b32_e64 v65, 0x7fffffff, 0, vcc_lo
	s_delay_alu instid0(VALU_DEP_1) | instskip(NEXT) | instid1(VALU_DEP_1)
	v_xor_b32_e32 v144, v65, v144
	v_cmp_ne_u32_e32 vcc_lo, 0x80000000, v144
	v_cndmask_b32_e32 v65, 0x7fffffff, v144, vcc_lo
	s_delay_alu instid0(VALU_DEP_1) | instskip(NEXT) | instid1(VALU_DEP_1)
	v_lshrrev_b32_e32 v65, s49, v65
	v_bitop3_b32 v149, v65, 1, s58 bitop3:0x80
	v_and_b32_e32 v151, s58, v65
	s_delay_alu instid0(VALU_DEP_2) | instskip(NEXT) | instid1(VALU_DEP_1)
	v_add_co_u32 v65, s17, v149, -1
	v_cndmask_b32_e64 v149, 0, 1, s17
	s_delay_alu instid0(VALU_DEP_3) | instskip(NEXT) | instid1(VALU_DEP_2)
	v_dual_lshlrev_b32 v150, 30, v151 :: v_dual_lshlrev_b32 v154, 29, v151
	v_cmp_ne_u32_e32 vcc_lo, 0, v149
	s_delay_alu instid0(VALU_DEP_2) | instskip(SKIP_1) | instid1(VALU_DEP_4)
	v_cmp_gt_i32_e64 s17, 0, v150
	v_not_b32_e32 v149, v150
	v_not_b32_e32 v150, v154
	v_bitop3_b32 v65, vcc_lo, exec_lo, v65 bitop3:0x48
	s_delay_alu instid0(VALU_DEP_2) | instskip(SKIP_3) | instid1(VALU_DEP_3)
	v_dual_ashrrev_i32 v149, 31, v149 :: v_dual_ashrrev_i32 v150, 31, v150
	v_dual_lshlrev_b32 v155, 28, v151 :: v_dual_lshlrev_b32 v156, 27, v151
	v_dual_lshlrev_b32 v159, 26, v151 :: v_dual_lshlrev_b32 v160, 25, v151
	v_cmp_gt_i32_e64 s18, 0, v154
	v_cmp_gt_i32_e64 s19, 0, v155
	v_not_b32_e32 v154, v155
	v_not_b32_e32 v155, v156
	v_cmp_gt_i32_e64 s20, 0, v156
	v_cmp_gt_i32_e64 s21, 0, v159
	v_not_b32_e32 v156, v159
	v_not_b32_e32 v159, v160
	v_dual_ashrrev_i32 v154, 31, v154 :: v_dual_ashrrev_i32 v155, 31, v155
	s_delay_alu instid0(VALU_DEP_3) | instskip(NEXT) | instid1(VALU_DEP_3)
	v_dual_ashrrev_i32 v156, 31, v156 :: v_dual_bitop2_b32 v149, s17, v149 bitop3:0x14
	v_dual_ashrrev_i32 v159, 31, v159 :: v_dual_bitop2_b32 v150, s18, v150 bitop3:0x14
	v_cmp_gt_i32_e64 s22, 0, v160
	s_delay_alu instid0(VALU_DEP_4) | instskip(NEXT) | instid1(VALU_DEP_3)
	v_xor_b32_e32 v155, s20, v155
	v_bitop3_b32 v65, v65, v150, v149 bitop3:0x80
	v_mad_u32_u24 v149, v151, 36, v25
	v_mul_u32_u24_e32 v151, 36, v151
	v_xor_b32_e32 v154, s19, v154
	v_xor_b32_e32 v150, s21, v156
	;; [unrolled: 1-line block ×3, first 2 shown]
	ds_load_b32 v149, v149 offset:544
	v_add_nc_u32_e32 v151, v25, v151
	v_bitop3_b32 v65, v65, v155, v154 bitop3:0x80
	; wave barrier
	s_delay_alu instid0(VALU_DEP_1) | instskip(NEXT) | instid1(VALU_DEP_1)
	v_bitop3_b32 v65, v65, v156, v150 bitop3:0x80
	v_mbcnt_lo_u32_b32 v150, v65, 0
	v_cmp_ne_u32_e64 s17, 0, v65
	s_delay_alu instid0(VALU_DEP_2) | instskip(SKIP_1) | instid1(SALU_CYCLE_1)
	v_cmp_eq_u32_e32 vcc_lo, 0, v150
	s_and_b32 s18, s17, vcc_lo
	s_and_saveexec_b32 s17, s18
	s_cbranch_execz .LBB1320_766
; %bb.765:                              ;   in Loop: Header=BB1320_722 Depth=2
	s_wait_dscnt 0x0
	v_bcnt_u32_b32 v65, v65, v149
	ds_store_b32 v151, v65 offset:544
.LBB1320_766:                           ;   in Loop: Header=BB1320_722 Depth=2
	s_or_b32 exec_lo, exec_lo, s17
	v_cmp_gt_i32_e32 vcc_lo, 0, v148
	; wave barrier
	v_cndmask_b32_e64 v65, 0x7fffffff, 0, vcc_lo
	s_delay_alu instid0(VALU_DEP_1) | instskip(NEXT) | instid1(VALU_DEP_1)
	v_xor_b32_e32 v148, v65, v148
	v_cmp_ne_u32_e32 vcc_lo, 0x80000000, v148
	v_cndmask_b32_e32 v65, 0x7fffffff, v148, vcc_lo
	s_delay_alu instid0(VALU_DEP_1) | instskip(NEXT) | instid1(VALU_DEP_1)
	v_lshrrev_b32_e32 v65, s49, v65
	v_bitop3_b32 v154, v65, 1, s58 bitop3:0x80
	v_and_b32_e32 v156, s58, v65
	s_delay_alu instid0(VALU_DEP_2) | instskip(NEXT) | instid1(VALU_DEP_1)
	v_add_co_u32 v65, s17, v154, -1
	v_cndmask_b32_e64 v154, 0, 1, s17
	s_delay_alu instid0(VALU_DEP_3) | instskip(NEXT) | instid1(VALU_DEP_2)
	v_dual_lshlrev_b32 v155, 30, v156 :: v_dual_lshlrev_b32 v159, 29, v156
	v_cmp_ne_u32_e32 vcc_lo, 0, v154
	s_delay_alu instid0(VALU_DEP_2) | instskip(SKIP_1) | instid1(VALU_DEP_4)
	v_cmp_gt_i32_e64 s17, 0, v155
	v_not_b32_e32 v154, v155
	v_not_b32_e32 v155, v159
	v_cmp_gt_i32_e64 s18, 0, v159
	v_bitop3_b32 v65, vcc_lo, exec_lo, v65 bitop3:0x48
	s_delay_alu instid0(VALU_DEP_3) | instskip(SKIP_2) | instid1(VALU_DEP_2)
	v_dual_ashrrev_i32 v154, 31, v154 :: v_dual_ashrrev_i32 v155, 31, v155
	v_dual_lshlrev_b32 v160, 28, v156 :: v_dual_lshlrev_b32 v162, 27, v156
	v_dual_lshlrev_b32 v164, 26, v156 :: v_dual_lshlrev_b32 v165, 25, v156
	v_cmp_gt_i32_e64 s19, 0, v160
	v_not_b32_e32 v159, v160
	s_delay_alu instid0(VALU_DEP_4)
	v_not_b32_e32 v160, v162
	v_cmp_gt_i32_e64 s20, 0, v162
	v_cmp_gt_i32_e64 s21, 0, v164
	v_not_b32_e32 v162, v164
	v_not_b32_e32 v164, v165
	v_dual_ashrrev_i32 v159, 31, v159 :: v_dual_ashrrev_i32 v160, 31, v160
	v_xor_b32_e32 v154, s17, v154
	s_delay_alu instid0(VALU_DEP_4) | instskip(SKIP_3) | instid1(VALU_DEP_4)
	v_dual_ashrrev_i32 v162, 31, v162 :: v_dual_bitop2_b32 v155, s18, v155 bitop3:0x14
	v_cmp_gt_i32_e64 s22, 0, v165
	v_ashrrev_i32_e32 v164, 31, v164
	v_xor_b32_e32 v160, s20, v160
	v_bitop3_b32 v65, v65, v155, v154 bitop3:0x80
	v_mad_u32_u24 v154, v156, 36, v25
	v_mul_u32_u24_e32 v156, 36, v156
	v_xor_b32_e32 v159, s19, v159
	v_xor_b32_e32 v155, s21, v162
	;; [unrolled: 1-line block ×3, first 2 shown]
	ds_load_b32 v154, v154 offset:544
	v_add_nc_u32_e32 v156, v25, v156
	v_bitop3_b32 v65, v65, v160, v159 bitop3:0x80
	; wave barrier
	s_delay_alu instid0(VALU_DEP_1) | instskip(NEXT) | instid1(VALU_DEP_1)
	v_bitop3_b32 v65, v65, v162, v155 bitop3:0x80
	v_mbcnt_lo_u32_b32 v155, v65, 0
	v_cmp_ne_u32_e64 s17, 0, v65
	s_delay_alu instid0(VALU_DEP_2) | instskip(SKIP_1) | instid1(SALU_CYCLE_1)
	v_cmp_eq_u32_e32 vcc_lo, 0, v155
	s_and_b32 s18, s17, vcc_lo
	s_and_saveexec_b32 s17, s18
	s_cbranch_execz .LBB1320_768
; %bb.767:                              ;   in Loop: Header=BB1320_722 Depth=2
	s_wait_dscnt 0x0
	v_bcnt_u32_b32 v65, v65, v154
	ds_store_b32 v156, v65 offset:544
.LBB1320_768:                           ;   in Loop: Header=BB1320_722 Depth=2
	s_or_b32 exec_lo, exec_lo, s17
	v_cmp_gt_i32_e32 vcc_lo, 0, v153
	; wave barrier
	v_cndmask_b32_e64 v65, 0x7fffffff, 0, vcc_lo
	s_delay_alu instid0(VALU_DEP_1) | instskip(NEXT) | instid1(VALU_DEP_1)
	v_xor_b32_e32 v153, v65, v153
	v_cmp_ne_u32_e32 vcc_lo, 0x80000000, v153
	v_cndmask_b32_e32 v65, 0x7fffffff, v153, vcc_lo
	s_delay_alu instid0(VALU_DEP_1) | instskip(NEXT) | instid1(VALU_DEP_1)
	v_lshrrev_b32_e32 v65, s49, v65
	v_and_b32_e32 v162, s58, v65
	s_delay_alu instid0(VALU_DEP_1) | instskip(SKIP_2) | instid1(VALU_DEP_3)
	v_lshlrev_b32_e32 v165, 28, v162
	v_bitop3_b32 v159, v65, 1, s58 bitop3:0x80
	v_lshlrev_b32_e32 v160, 30, v162
	v_cmp_gt_i32_e64 s19, 0, v165
	s_delay_alu instid0(VALU_DEP_3) | instskip(NEXT) | instid1(VALU_DEP_1)
	v_add_co_u32 v65, s17, v159, -1
	v_cndmask_b32_e64 v159, 0, 1, s17
	s_delay_alu instid0(VALU_DEP_4) | instskip(NEXT) | instid1(VALU_DEP_2)
	v_cmp_gt_i32_e64 s17, 0, v160
	v_cmp_ne_u32_e32 vcc_lo, 0, v159
	v_not_b32_e32 v159, v160
	v_bitop3_b32 v65, vcc_lo, exec_lo, v65 bitop3:0x48
	s_delay_alu instid0(VALU_DEP_2) | instskip(SKIP_1) | instid1(VALU_DEP_2)
	v_dual_ashrrev_i32 v159, 31, v159 :: v_dual_lshlrev_b32 v164, 29, v162
	v_dual_lshlrev_b32 v167, 27, v162 :: v_dual_lshlrev_b32 v169, 26, v162
	v_not_b32_e32 v160, v164
	v_lshlrev_b32_e32 v170, 25, v162
	v_cmp_gt_i32_e64 s18, 0, v164
	v_not_b32_e32 v164, v165
	v_not_b32_e32 v165, v167
	v_ashrrev_i32_e32 v160, 31, v160
	v_cmp_gt_i32_e64 s20, 0, v167
	v_cmp_gt_i32_e64 s21, 0, v169
	v_not_b32_e32 v167, v169
	v_not_b32_e32 v169, v170
	v_dual_ashrrev_i32 v164, 31, v164 :: v_dual_ashrrev_i32 v165, 31, v165
	v_xor_b32_e32 v159, s17, v159
	s_delay_alu instid0(VALU_DEP_4) | instskip(SKIP_3) | instid1(VALU_DEP_4)
	v_dual_ashrrev_i32 v167, 31, v167 :: v_dual_bitop2_b32 v160, s18, v160 bitop3:0x14
	v_cmp_gt_i32_e64 s22, 0, v170
	v_ashrrev_i32_e32 v169, 31, v169
	v_xor_b32_e32 v165, s20, v165
	v_bitop3_b32 v65, v65, v160, v159 bitop3:0x80
	v_mad_u32_u24 v159, v162, 36, v25
	v_mul_u32_u24_e32 v162, 36, v162
	v_xor_b32_e32 v164, s19, v164
	v_xor_b32_e32 v160, s21, v167
	;; [unrolled: 1-line block ×3, first 2 shown]
	ds_load_b32 v159, v159 offset:544
	v_add_nc_u32_e32 v162, v25, v162
	v_bitop3_b32 v65, v65, v165, v164 bitop3:0x80
	; wave barrier
	s_delay_alu instid0(VALU_DEP_1) | instskip(NEXT) | instid1(VALU_DEP_1)
	v_bitop3_b32 v65, v65, v167, v160 bitop3:0x80
	v_mbcnt_lo_u32_b32 v160, v65, 0
	v_cmp_ne_u32_e64 s17, 0, v65
	s_delay_alu instid0(VALU_DEP_2) | instskip(SKIP_1) | instid1(SALU_CYCLE_1)
	v_cmp_eq_u32_e32 vcc_lo, 0, v160
	s_and_b32 s18, s17, vcc_lo
	s_and_saveexec_b32 s17, s18
	s_cbranch_execz .LBB1320_770
; %bb.769:                              ;   in Loop: Header=BB1320_722 Depth=2
	s_wait_dscnt 0x0
	v_bcnt_u32_b32 v65, v65, v159
	ds_store_b32 v162, v65 offset:544
.LBB1320_770:                           ;   in Loop: Header=BB1320_722 Depth=2
	s_or_b32 exec_lo, exec_lo, s17
	v_cmp_gt_i32_e32 vcc_lo, 0, v158
	; wave barrier
	v_cndmask_b32_e64 v65, 0x7fffffff, 0, vcc_lo
	s_delay_alu instid0(VALU_DEP_1) | instskip(NEXT) | instid1(VALU_DEP_1)
	v_xor_b32_e32 v158, v65, v158
	v_cmp_ne_u32_e32 vcc_lo, 0x80000000, v158
	v_cndmask_b32_e32 v65, 0x7fffffff, v158, vcc_lo
	s_delay_alu instid0(VALU_DEP_1) | instskip(NEXT) | instid1(VALU_DEP_1)
	v_lshrrev_b32_e32 v65, s49, v65
	v_bitop3_b32 v164, v65, 1, s58 bitop3:0x80
	v_and_b32_e32 v167, s58, v65
	s_delay_alu instid0(VALU_DEP_2) | instskip(NEXT) | instid1(VALU_DEP_1)
	v_add_co_u32 v65, s17, v164, -1
	v_cndmask_b32_e64 v164, 0, 1, s17
	s_delay_alu instid0(VALU_DEP_3) | instskip(NEXT) | instid1(VALU_DEP_2)
	v_lshlrev_b32_e32 v165, 30, v167
	v_cmp_ne_u32_e32 vcc_lo, 0, v164
	s_delay_alu instid0(VALU_DEP_2) | instskip(SKIP_1) | instid1(VALU_DEP_2)
	v_not_b32_e32 v164, v165
	v_bitop3_b32 v65, vcc_lo, exec_lo, v65 bitop3:0x48
	v_dual_ashrrev_i32 v164, 31, v164 :: v_dual_lshlrev_b32 v169, 29, v167
	v_dual_lshlrev_b32 v170, 28, v167 :: v_dual_lshlrev_b32 v172, 27, v167
	v_lshlrev_b32_e32 v174, 26, v167
	v_cmp_gt_i32_e64 s17, 0, v165
	s_delay_alu instid0(VALU_DEP_4)
	v_not_b32_e32 v165, v169
	v_lshlrev_b32_e32 v175, 25, v167
	v_cmp_gt_i32_e64 s18, 0, v169
	v_cmp_gt_i32_e64 s19, 0, v170
	v_not_b32_e32 v169, v170
	v_not_b32_e32 v170, v172
	v_ashrrev_i32_e32 v165, 31, v165
	v_cmp_gt_i32_e64 s20, 0, v172
	v_cmp_gt_i32_e64 s21, 0, v174
	v_not_b32_e32 v172, v174
	v_not_b32_e32 v174, v175
	v_dual_ashrrev_i32 v169, 31, v169 :: v_dual_ashrrev_i32 v170, 31, v170
	v_xor_b32_e32 v164, s17, v164
	s_delay_alu instid0(VALU_DEP_4) | instskip(SKIP_3) | instid1(VALU_DEP_4)
	v_dual_ashrrev_i32 v172, 31, v172 :: v_dual_bitop2_b32 v165, s18, v165 bitop3:0x14
	v_cmp_gt_i32_e64 s22, 0, v175
	v_ashrrev_i32_e32 v174, 31, v174
	v_xor_b32_e32 v170, s20, v170
	v_bitop3_b32 v65, v65, v165, v164 bitop3:0x80
	v_mad_u32_u24 v164, v167, 36, v25
	v_mul_u32_u24_e32 v167, 36, v167
	v_xor_b32_e32 v169, s19, v169
	v_xor_b32_e32 v165, s21, v172
	;; [unrolled: 1-line block ×3, first 2 shown]
	ds_load_b32 v164, v164 offset:544
	v_add_nc_u32_e32 v167, v25, v167
	v_bitop3_b32 v65, v65, v170, v169 bitop3:0x80
	; wave barrier
	s_delay_alu instid0(VALU_DEP_1) | instskip(NEXT) | instid1(VALU_DEP_1)
	v_bitop3_b32 v65, v65, v172, v165 bitop3:0x80
	v_mbcnt_lo_u32_b32 v165, v65, 0
	v_cmp_ne_u32_e64 s17, 0, v65
	s_delay_alu instid0(VALU_DEP_2) | instskip(SKIP_1) | instid1(SALU_CYCLE_1)
	v_cmp_eq_u32_e32 vcc_lo, 0, v165
	s_and_b32 s18, s17, vcc_lo
	s_and_saveexec_b32 s17, s18
	s_cbranch_execz .LBB1320_772
; %bb.771:                              ;   in Loop: Header=BB1320_722 Depth=2
	s_wait_dscnt 0x0
	v_bcnt_u32_b32 v65, v65, v164
	ds_store_b32 v167, v65 offset:544
.LBB1320_772:                           ;   in Loop: Header=BB1320_722 Depth=2
	s_or_b32 exec_lo, exec_lo, s17
	v_cmp_gt_i32_e32 vcc_lo, 0, v163
	; wave barrier
	v_cndmask_b32_e64 v65, 0x7fffffff, 0, vcc_lo
	s_delay_alu instid0(VALU_DEP_1) | instskip(NEXT) | instid1(VALU_DEP_1)
	v_xor_b32_e32 v163, v65, v163
	v_cmp_ne_u32_e32 vcc_lo, 0x80000000, v163
	v_cndmask_b32_e32 v65, 0x7fffffff, v163, vcc_lo
	s_delay_alu instid0(VALU_DEP_1) | instskip(NEXT) | instid1(VALU_DEP_1)
	v_lshrrev_b32_e32 v65, s49, v65
	v_bitop3_b32 v169, v65, 1, s58 bitop3:0x80
	v_and_b32_e32 v172, s58, v65
	s_delay_alu instid0(VALU_DEP_2) | instskip(NEXT) | instid1(VALU_DEP_1)
	v_add_co_u32 v65, s17, v169, -1
	v_cndmask_b32_e64 v169, 0, 1, s17
	s_delay_alu instid0(VALU_DEP_3) | instskip(NEXT) | instid1(VALU_DEP_2)
	v_dual_lshlrev_b32 v170, 30, v172 :: v_dual_lshlrev_b32 v174, 29, v172
	v_cmp_ne_u32_e32 vcc_lo, 0, v169
	s_delay_alu instid0(VALU_DEP_2) | instskip(SKIP_1) | instid1(VALU_DEP_4)
	v_cmp_gt_i32_e64 s17, 0, v170
	v_not_b32_e32 v169, v170
	v_not_b32_e32 v170, v174
	v_bitop3_b32 v65, vcc_lo, exec_lo, v65 bitop3:0x48
	s_delay_alu instid0(VALU_DEP_2) | instskip(SKIP_3) | instid1(VALU_DEP_3)
	v_dual_ashrrev_i32 v169, 31, v169 :: v_dual_ashrrev_i32 v170, 31, v170
	v_dual_lshlrev_b32 v175, 28, v172 :: v_dual_lshlrev_b32 v176, 27, v172
	v_dual_lshlrev_b32 v177, 26, v172 :: v_dual_lshlrev_b32 v178, 25, v172
	v_cmp_gt_i32_e64 s18, 0, v174
	v_cmp_gt_i32_e64 s19, 0, v175
	v_not_b32_e32 v174, v175
	v_not_b32_e32 v175, v176
	v_cmp_gt_i32_e64 s20, 0, v176
	v_cmp_gt_i32_e64 s21, 0, v177
	v_not_b32_e32 v176, v177
	v_not_b32_e32 v177, v178
	v_dual_ashrrev_i32 v174, 31, v174 :: v_dual_ashrrev_i32 v175, 31, v175
	s_delay_alu instid0(VALU_DEP_3) | instskip(NEXT) | instid1(VALU_DEP_3)
	v_dual_ashrrev_i32 v176, 31, v176 :: v_dual_bitop2_b32 v169, s17, v169 bitop3:0x14
	v_dual_ashrrev_i32 v177, 31, v177 :: v_dual_bitop2_b32 v170, s18, v170 bitop3:0x14
	v_cmp_gt_i32_e64 s22, 0, v178
	s_delay_alu instid0(VALU_DEP_4) | instskip(NEXT) | instid1(VALU_DEP_3)
	v_xor_b32_e32 v175, s20, v175
	v_bitop3_b32 v65, v65, v170, v169 bitop3:0x80
	v_mad_u32_u24 v169, v172, 36, v25
	v_mul_u32_u24_e32 v172, 36, v172
	v_xor_b32_e32 v174, s19, v174
	v_xor_b32_e32 v170, s21, v176
	;; [unrolled: 1-line block ×3, first 2 shown]
	ds_load_b32 v169, v169 offset:544
	v_add_nc_u32_e32 v172, v25, v172
	v_bitop3_b32 v65, v65, v175, v174 bitop3:0x80
	; wave barrier
	s_delay_alu instid0(VALU_DEP_1) | instskip(NEXT) | instid1(VALU_DEP_1)
	v_bitop3_b32 v65, v65, v176, v170 bitop3:0x80
	v_mbcnt_lo_u32_b32 v170, v65, 0
	v_cmp_ne_u32_e64 s17, 0, v65
	s_delay_alu instid0(VALU_DEP_2) | instskip(SKIP_1) | instid1(SALU_CYCLE_1)
	v_cmp_eq_u32_e32 vcc_lo, 0, v170
	s_and_b32 s18, s17, vcc_lo
	s_and_saveexec_b32 s17, s18
	s_cbranch_execz .LBB1320_774
; %bb.773:                              ;   in Loop: Header=BB1320_722 Depth=2
	s_wait_dscnt 0x0
	v_bcnt_u32_b32 v65, v65, v169
	ds_store_b32 v172, v65 offset:544
.LBB1320_774:                           ;   in Loop: Header=BB1320_722 Depth=2
	s_or_b32 exec_lo, exec_lo, s17
	v_cmp_gt_i32_e32 vcc_lo, 0, v168
	; wave barrier
	v_cndmask_b32_e64 v65, 0x7fffffff, 0, vcc_lo
	s_delay_alu instid0(VALU_DEP_1) | instskip(NEXT) | instid1(VALU_DEP_1)
	v_xor_b32_e32 v168, v65, v168
	v_cmp_ne_u32_e32 vcc_lo, 0x80000000, v168
	v_cndmask_b32_e32 v65, 0x7fffffff, v168, vcc_lo
	s_delay_alu instid0(VALU_DEP_1) | instskip(NEXT) | instid1(VALU_DEP_1)
	v_lshrrev_b32_e32 v65, s49, v65
	v_bitop3_b32 v174, v65, 1, s58 bitop3:0x80
	v_and_b32_e32 v176, s58, v65
	s_delay_alu instid0(VALU_DEP_2) | instskip(NEXT) | instid1(VALU_DEP_1)
	v_add_co_u32 v65, s17, v174, -1
	v_cndmask_b32_e64 v174, 0, 1, s17
	s_delay_alu instid0(VALU_DEP_3) | instskip(NEXT) | instid1(VALU_DEP_2)
	v_dual_lshlrev_b32 v175, 30, v176 :: v_dual_lshlrev_b32 v177, 29, v176
	v_cmp_ne_u32_e32 vcc_lo, 0, v174
	s_delay_alu instid0(VALU_DEP_2) | instskip(SKIP_1) | instid1(VALU_DEP_4)
	v_cmp_gt_i32_e64 s17, 0, v175
	v_not_b32_e32 v174, v175
	v_not_b32_e32 v175, v177
	v_cmp_gt_i32_e64 s18, 0, v177
	v_bitop3_b32 v65, vcc_lo, exec_lo, v65 bitop3:0x48
	s_delay_alu instid0(VALU_DEP_3) | instskip(SKIP_2) | instid1(VALU_DEP_2)
	v_dual_ashrrev_i32 v174, 31, v174 :: v_dual_ashrrev_i32 v175, 31, v175
	v_dual_lshlrev_b32 v178, 28, v176 :: v_dual_lshlrev_b32 v179, 27, v176
	v_dual_lshlrev_b32 v180, 26, v176 :: v_dual_lshlrev_b32 v181, 25, v176
	v_cmp_gt_i32_e64 s19, 0, v178
	v_not_b32_e32 v177, v178
	s_delay_alu instid0(VALU_DEP_4)
	v_not_b32_e32 v178, v179
	v_cmp_gt_i32_e64 s20, 0, v179
	v_cmp_gt_i32_e64 s21, 0, v180
	v_not_b32_e32 v179, v180
	v_not_b32_e32 v180, v181
	v_dual_ashrrev_i32 v177, 31, v177 :: v_dual_ashrrev_i32 v178, 31, v178
	s_delay_alu instid0(VALU_DEP_3) | instskip(NEXT) | instid1(VALU_DEP_3)
	v_dual_ashrrev_i32 v179, 31, v179 :: v_dual_bitop2_b32 v174, s17, v174 bitop3:0x14
	v_dual_ashrrev_i32 v180, 31, v180 :: v_dual_bitop2_b32 v175, s18, v175 bitop3:0x14
	v_cmp_gt_i32_e64 s22, 0, v181
	s_delay_alu instid0(VALU_DEP_4) | instskip(NEXT) | instid1(VALU_DEP_3)
	v_xor_b32_e32 v178, s20, v178
	v_bitop3_b32 v65, v65, v175, v174 bitop3:0x80
	v_mad_u32_u24 v174, v176, 36, v25
	v_mul_u32_u24_e32 v176, 36, v176
	v_xor_b32_e32 v177, s19, v177
	v_xor_b32_e32 v175, s21, v179
	;; [unrolled: 1-line block ×3, first 2 shown]
	ds_load_b32 v174, v174 offset:544
	v_add_nc_u32_e32 v176, v25, v176
	v_bitop3_b32 v65, v65, v178, v177 bitop3:0x80
	; wave barrier
	s_delay_alu instid0(VALU_DEP_1) | instskip(NEXT) | instid1(VALU_DEP_1)
	v_bitop3_b32 v65, v65, v179, v175 bitop3:0x80
	v_mbcnt_lo_u32_b32 v175, v65, 0
	v_cmp_ne_u32_e64 s17, 0, v65
	s_delay_alu instid0(VALU_DEP_2) | instskip(SKIP_1) | instid1(SALU_CYCLE_1)
	v_cmp_eq_u32_e32 vcc_lo, 0, v175
	s_and_b32 s18, s17, vcc_lo
	s_and_saveexec_b32 s17, s18
	s_cbranch_execz .LBB1320_776
; %bb.775:                              ;   in Loop: Header=BB1320_722 Depth=2
	s_wait_dscnt 0x0
	v_bcnt_u32_b32 v65, v65, v174
	ds_store_b32 v176, v65 offset:544
.LBB1320_776:                           ;   in Loop: Header=BB1320_722 Depth=2
	s_or_b32 exec_lo, exec_lo, s17
	v_cmp_gt_i32_e32 vcc_lo, 0, v173
	; wave barrier
	v_cndmask_b32_e64 v65, 0x7fffffff, 0, vcc_lo
	s_delay_alu instid0(VALU_DEP_1) | instskip(NEXT) | instid1(VALU_DEP_1)
	v_xor_b32_e32 v173, v65, v173
	v_cmp_ne_u32_e32 vcc_lo, 0x80000000, v173
	v_cndmask_b32_e32 v65, 0x7fffffff, v173, vcc_lo
	s_delay_alu instid0(VALU_DEP_1) | instskip(NEXT) | instid1(VALU_DEP_1)
	v_lshrrev_b32_e32 v65, s49, v65
	v_and_b32_e32 v179, s58, v65
	s_delay_alu instid0(VALU_DEP_1) | instskip(SKIP_2) | instid1(VALU_DEP_3)
	v_lshlrev_b32_e32 v181, 28, v179
	v_bitop3_b32 v177, v65, 1, s58 bitop3:0x80
	v_dual_lshlrev_b32 v178, 30, v179 :: v_dual_lshlrev_b32 v180, 29, v179
	v_cmp_gt_i32_e64 s19, 0, v181
	s_delay_alu instid0(VALU_DEP_3) | instskip(NEXT) | instid1(VALU_DEP_1)
	v_add_co_u32 v65, s17, v177, -1
	v_cndmask_b32_e64 v177, 0, 1, s17
	s_delay_alu instid0(VALU_DEP_4) | instskip(SKIP_1) | instid1(VALU_DEP_3)
	v_cmp_gt_i32_e64 s17, 0, v178
	v_cmp_gt_i32_e64 s18, 0, v180
	v_cmp_ne_u32_e32 vcc_lo, 0, v177
	v_not_b32_e32 v177, v178
	v_not_b32_e32 v178, v180
	;; [unrolled: 1-line block ×3, first 2 shown]
	v_bitop3_b32 v65, vcc_lo, exec_lo, v65 bitop3:0x48
	s_delay_alu instid0(VALU_DEP_3) | instskip(SKIP_2) | instid1(VALU_DEP_2)
	v_dual_ashrrev_i32 v177, 31, v177 :: v_dual_ashrrev_i32 v178, 31, v178
	v_dual_lshlrev_b32 v182, 27, v179 :: v_dual_lshlrev_b32 v183, 26, v179
	v_lshlrev_b32_e32 v184, 25, v179
	v_not_b32_e32 v181, v182
	v_cmp_gt_i32_e64 s20, 0, v182
	s_delay_alu instid0(VALU_DEP_4) | instskip(SKIP_3) | instid1(VALU_DEP_3)
	v_cmp_gt_i32_e64 s21, 0, v183
	v_not_b32_e32 v182, v183
	v_not_b32_e32 v183, v184
	v_dual_ashrrev_i32 v180, 31, v180 :: v_dual_ashrrev_i32 v181, 31, v181
	v_dual_ashrrev_i32 v182, 31, v182 :: v_dual_bitop2_b32 v177, s17, v177 bitop3:0x14
	s_delay_alu instid0(VALU_DEP_3) | instskip(SKIP_1) | instid1(VALU_DEP_4)
	v_dual_ashrrev_i32 v183, 31, v183 :: v_dual_bitop2_b32 v178, s18, v178 bitop3:0x14
	v_cmp_gt_i32_e64 s22, 0, v184
	v_xor_b32_e32 v181, s20, v181
	s_delay_alu instid0(VALU_DEP_3)
	v_bitop3_b32 v65, v65, v178, v177 bitop3:0x80
	v_mad_u32_u24 v177, v179, 36, v25
	v_mul_u32_u24_e32 v179, 36, v179
	v_xor_b32_e32 v180, s19, v180
	v_xor_b32_e32 v178, s21, v182
	;; [unrolled: 1-line block ×3, first 2 shown]
	ds_load_b32 v177, v177 offset:544
	v_add_nc_u32_e32 v179, v25, v179
	v_bitop3_b32 v65, v65, v181, v180 bitop3:0x80
	; wave barrier
	s_delay_alu instid0(VALU_DEP_1) | instskip(NEXT) | instid1(VALU_DEP_1)
	v_bitop3_b32 v65, v65, v182, v178 bitop3:0x80
	v_mbcnt_lo_u32_b32 v178, v65, 0
	v_cmp_ne_u32_e64 s17, 0, v65
	s_delay_alu instid0(VALU_DEP_2) | instskip(SKIP_1) | instid1(SALU_CYCLE_1)
	v_cmp_eq_u32_e32 vcc_lo, 0, v178
	s_and_b32 s18, s17, vcc_lo
	s_and_saveexec_b32 s17, s18
	s_cbranch_execz .LBB1320_778
; %bb.777:                              ;   in Loop: Header=BB1320_722 Depth=2
	s_wait_dscnt 0x0
	v_bcnt_u32_b32 v65, v65, v177
	ds_store_b32 v179, v65 offset:544
.LBB1320_778:                           ;   in Loop: Header=BB1320_722 Depth=2
	s_or_b32 exec_lo, exec_lo, s17
	v_cmp_gt_i32_e32 vcc_lo, 0, v171
	; wave barrier
	v_cndmask_b32_e64 v65, 0x7fffffff, 0, vcc_lo
	s_delay_alu instid0(VALU_DEP_1) | instskip(NEXT) | instid1(VALU_DEP_1)
	v_xor_b32_e32 v171, v65, v171
	v_cmp_ne_u32_e32 vcc_lo, 0x80000000, v171
	v_cndmask_b32_e32 v65, 0x7fffffff, v171, vcc_lo
	s_delay_alu instid0(VALU_DEP_1) | instskip(NEXT) | instid1(VALU_DEP_1)
	v_lshrrev_b32_e32 v65, s49, v65
	v_bitop3_b32 v180, v65, 1, s58 bitop3:0x80
	v_and_b32_e32 v182, s58, v65
	s_delay_alu instid0(VALU_DEP_2) | instskip(NEXT) | instid1(VALU_DEP_1)
	v_add_co_u32 v65, s17, v180, -1
	v_cndmask_b32_e64 v180, 0, 1, s17
	s_delay_alu instid0(VALU_DEP_3) | instskip(NEXT) | instid1(VALU_DEP_2)
	v_lshlrev_b32_e32 v181, 30, v182
	v_cmp_ne_u32_e32 vcc_lo, 0, v180
	s_delay_alu instid0(VALU_DEP_2) | instskip(SKIP_1) | instid1(VALU_DEP_2)
	v_not_b32_e32 v180, v181
	v_bitop3_b32 v65, vcc_lo, exec_lo, v65 bitop3:0x48
	v_dual_ashrrev_i32 v180, 31, v180 :: v_dual_lshlrev_b32 v183, 29, v182
	v_dual_lshlrev_b32 v184, 28, v182 :: v_dual_lshlrev_b32 v185, 27, v182
	v_lshlrev_b32_e32 v186, 26, v182
	v_cmp_gt_i32_e64 s17, 0, v181
	s_delay_alu instid0(VALU_DEP_4)
	v_not_b32_e32 v181, v183
	v_lshlrev_b32_e32 v187, 25, v182
	v_cmp_gt_i32_e64 s18, 0, v183
	v_cmp_gt_i32_e64 s19, 0, v184
	v_not_b32_e32 v183, v184
	v_not_b32_e32 v184, v185
	v_ashrrev_i32_e32 v181, 31, v181
	v_cmp_gt_i32_e64 s20, 0, v185
	v_cmp_gt_i32_e64 s21, 0, v186
	v_not_b32_e32 v185, v186
	v_not_b32_e32 v186, v187
	v_dual_ashrrev_i32 v183, 31, v183 :: v_dual_ashrrev_i32 v184, 31, v184
	s_delay_alu instid0(VALU_DEP_3) | instskip(NEXT) | instid1(VALU_DEP_3)
	v_dual_ashrrev_i32 v185, 31, v185 :: v_dual_bitop2_b32 v180, s17, v180 bitop3:0x14
	v_dual_ashrrev_i32 v186, 31, v186 :: v_dual_bitop2_b32 v181, s18, v181 bitop3:0x14
	v_cmp_gt_i32_e64 s22, 0, v187
	s_delay_alu instid0(VALU_DEP_4) | instskip(NEXT) | instid1(VALU_DEP_3)
	v_xor_b32_e32 v184, s20, v184
	v_bitop3_b32 v65, v65, v181, v180 bitop3:0x80
	v_mad_u32_u24 v180, v182, 36, v25
	v_mul_u32_u24_e32 v182, 36, v182
	v_xor_b32_e32 v183, s19, v183
	v_xor_b32_e32 v181, s21, v185
	v_xor_b32_e32 v185, s22, v186
	ds_load_b32 v180, v180 offset:544
	v_add_nc_u32_e32 v182, v25, v182
	v_bitop3_b32 v65, v65, v184, v183 bitop3:0x80
	; wave barrier
	s_delay_alu instid0(VALU_DEP_1) | instskip(NEXT) | instid1(VALU_DEP_1)
	v_bitop3_b32 v65, v65, v185, v181 bitop3:0x80
	v_mbcnt_lo_u32_b32 v181, v65, 0
	v_cmp_ne_u32_e64 s17, 0, v65
	s_delay_alu instid0(VALU_DEP_2) | instskip(SKIP_1) | instid1(SALU_CYCLE_1)
	v_cmp_eq_u32_e32 vcc_lo, 0, v181
	s_and_b32 s18, s17, vcc_lo
	s_and_saveexec_b32 s17, s18
	s_cbranch_execz .LBB1320_780
; %bb.779:                              ;   in Loop: Header=BB1320_722 Depth=2
	s_wait_dscnt 0x0
	v_bcnt_u32_b32 v65, v65, v180
	ds_store_b32 v182, v65 offset:544
.LBB1320_780:                           ;   in Loop: Header=BB1320_722 Depth=2
	s_or_b32 exec_lo, exec_lo, s17
	v_cmp_gt_i32_e32 vcc_lo, 0, v166
	; wave barrier
	v_cndmask_b32_e64 v65, 0x7fffffff, 0, vcc_lo
	s_delay_alu instid0(VALU_DEP_1) | instskip(NEXT) | instid1(VALU_DEP_1)
	v_xor_b32_e32 v166, v65, v166
	v_cmp_ne_u32_e32 vcc_lo, 0x80000000, v166
	v_cndmask_b32_e32 v65, 0x7fffffff, v166, vcc_lo
	s_delay_alu instid0(VALU_DEP_1) | instskip(NEXT) | instid1(VALU_DEP_1)
	v_lshrrev_b32_e32 v65, s49, v65
	v_bitop3_b32 v183, v65, 1, s58 bitop3:0x80
	v_and_b32_e32 v186, s58, v65
	s_delay_alu instid0(VALU_DEP_2) | instskip(NEXT) | instid1(VALU_DEP_1)
	v_add_co_u32 v65, s17, v183, -1
	v_cndmask_b32_e64 v183, 0, 1, s17
	s_delay_alu instid0(VALU_DEP_3) | instskip(NEXT) | instid1(VALU_DEP_2)
	v_lshlrev_b32_e32 v184, 30, v186
	v_cmp_ne_u32_e32 vcc_lo, 0, v183
	s_delay_alu instid0(VALU_DEP_2) | instskip(SKIP_1) | instid1(VALU_DEP_2)
	v_not_b32_e32 v183, v184
	v_bitop3_b32 v65, vcc_lo, exec_lo, v65 bitop3:0x48
	v_dual_ashrrev_i32 v183, 31, v183 :: v_dual_lshlrev_b32 v185, 29, v186
	v_cmp_gt_i32_e64 s17, 0, v184
	v_dual_lshlrev_b32 v187, 28, v186 :: v_dual_lshlrev_b32 v188, 27, v186
	v_dual_lshlrev_b32 v189, 26, v186 :: v_dual_lshlrev_b32 v190, 25, v186
	s_delay_alu instid0(VALU_DEP_4) | instskip(SKIP_1) | instid1(VALU_DEP_4)
	v_not_b32_e32 v184, v185
	v_cmp_gt_i32_e64 s18, 0, v185
	v_cmp_gt_i32_e64 s19, 0, v187
	v_not_b32_e32 v185, v187
	v_cmp_gt_i32_e64 s20, 0, v188
	v_ashrrev_i32_e32 v184, 31, v184
	v_not_b32_e32 v187, v188
	v_cmp_gt_i32_e64 s21, 0, v189
	v_not_b32_e32 v188, v189
	v_not_b32_e32 v189, v190
	v_xor_b32_e32 v183, s17, v183
	v_dual_ashrrev_i32 v185, 31, v185 :: v_dual_bitop2_b32 v184, s18, v184 bitop3:0x14
	s_delay_alu instid0(VALU_DEP_4) | instskip(NEXT) | instid1(VALU_DEP_4)
	v_dual_ashrrev_i32 v187, 31, v187 :: v_dual_ashrrev_i32 v188, 31, v188
	v_ashrrev_i32_e32 v189, 31, v189
	s_delay_alu instid0(VALU_DEP_3)
	v_bitop3_b32 v65, v65, v184, v183 bitop3:0x80
	v_mad_u32_u24 v183, v186, 36, v25
	v_cmp_gt_i32_e64 s22, 0, v190
	v_xor_b32_e32 v187, s20, v187
	v_xor_b32_e32 v188, s21, v188
	ds_load_b32 v184, v183 offset:544
	v_mul_u32_u24_e32 v183, 36, v186
	v_xor_b32_e32 v185, s19, v185
	v_xor_b32_e32 v189, s22, v189
	; wave barrier
	s_delay_alu instid0(VALU_DEP_3) | instskip(NEXT) | instid1(VALU_DEP_3)
	v_add_nc_u32_e32 v186, v25, v183
	v_bitop3_b32 v65, v65, v187, v185 bitop3:0x80
	s_delay_alu instid0(VALU_DEP_1) | instskip(NEXT) | instid1(VALU_DEP_1)
	v_bitop3_b32 v65, v65, v189, v188 bitop3:0x80
	v_mbcnt_lo_u32_b32 v185, v65, 0
	v_cmp_ne_u32_e64 s17, 0, v65
	s_delay_alu instid0(VALU_DEP_2) | instskip(SKIP_1) | instid1(SALU_CYCLE_1)
	v_cmp_eq_u32_e32 vcc_lo, 0, v185
	s_and_b32 s18, s17, vcc_lo
	s_and_saveexec_b32 s17, s18
	s_cbranch_execz .LBB1320_782
; %bb.781:                              ;   in Loop: Header=BB1320_722 Depth=2
	s_wait_dscnt 0x0
	v_bcnt_u32_b32 v65, v65, v184
	ds_store_b32 v186, v65 offset:544
.LBB1320_782:                           ;   in Loop: Header=BB1320_722 Depth=2
	s_or_b32 exec_lo, exec_lo, s17
	v_cmp_gt_i32_e32 vcc_lo, 0, v161
	; wave barrier
	v_cndmask_b32_e64 v65, 0x7fffffff, 0, vcc_lo
	s_delay_alu instid0(VALU_DEP_1) | instskip(NEXT) | instid1(VALU_DEP_1)
	v_xor_b32_e32 v183, v65, v161
	v_cmp_ne_u32_e32 vcc_lo, 0x80000000, v183
	v_cndmask_b32_e32 v65, 0x7fffffff, v183, vcc_lo
	s_delay_alu instid0(VALU_DEP_1) | instskip(NEXT) | instid1(VALU_DEP_1)
	v_lshrrev_b32_e32 v65, s49, v65
	v_and_b32_e32 v187, s58, v65
	s_delay_alu instid0(VALU_DEP_1) | instskip(SKIP_3) | instid1(VALU_DEP_4)
	v_lshlrev_b32_e32 v189, 29, v187
	v_bitop3_b32 v161, v65, 1, s58 bitop3:0x80
	v_dual_lshlrev_b32 v188, 30, v187 :: v_dual_lshlrev_b32 v190, 28, v187
	v_lshlrev_b32_e32 v191, 27, v187
	v_cmp_gt_i32_e64 s18, 0, v189
	s_delay_alu instid0(VALU_DEP_4) | instskip(NEXT) | instid1(VALU_DEP_1)
	v_add_co_u32 v65, s17, v161, -1
	v_cndmask_b32_e64 v161, 0, 1, s17
	v_cmp_gt_i32_e64 s17, 0, v188
	v_cmp_gt_i32_e64 s19, 0, v190
	;; [unrolled: 1-line block ×3, first 2 shown]
	s_delay_alu instid0(VALU_DEP_4)
	v_cmp_ne_u32_e32 vcc_lo, 0, v161
	v_not_b32_e32 v161, v188
	v_not_b32_e32 v188, v189
	;; [unrolled: 1-line block ×4, first 2 shown]
	v_bitop3_b32 v65, vcc_lo, exec_lo, v65 bitop3:0x48
	s_delay_alu instid0(VALU_DEP_4) | instskip(NEXT) | instid1(VALU_DEP_3)
	v_dual_ashrrev_i32 v188, 31, v188 :: v_dual_ashrrev_i32 v161, 31, v161
	v_dual_ashrrev_i32 v190, 31, v190 :: v_dual_lshlrev_b32 v192, 26, v187
	s_delay_alu instid0(VALU_DEP_2) | instskip(NEXT) | instid1(VALU_DEP_2)
	v_dual_lshlrev_b32 v193, 25, v187 :: v_dual_bitop2_b32 v188, s18, v188 bitop3:0x14
	v_cmp_gt_i32_e64 s21, 0, v192
	v_not_b32_e32 v191, v192
	s_delay_alu instid0(VALU_DEP_3) | instskip(SKIP_3) | instid1(VALU_DEP_4)
	v_not_b32_e32 v192, v193
	v_xor_b32_e32 v161, s17, v161
	v_ashrrev_i32_e32 v189, 31, v189
	v_cmp_gt_i32_e64 s22, 0, v193
	v_dual_ashrrev_i32 v191, 31, v191 :: v_dual_ashrrev_i32 v192, 31, v192
	s_delay_alu instid0(VALU_DEP_4) | instskip(SKIP_2) | instid1(VALU_DEP_4)
	v_bitop3_b32 v65, v65, v188, v161 bitop3:0x80
	v_mad_u32_u24 v161, v187, 36, v25
	v_xor_b32_e32 v189, s19, v189
	v_xor_b32_e32 v191, s21, v191
	;; [unrolled: 1-line block ×3, first 2 shown]
	ds_load_b32 v188, v161 offset:544
	v_mul_u32_u24_e32 v161, 36, v187
	v_xor_b32_e32 v190, s20, v190
	; wave barrier
	s_delay_alu instid0(VALU_DEP_2) | instskip(NEXT) | instid1(VALU_DEP_2)
	v_add_nc_u32_e32 v161, v25, v161
	v_bitop3_b32 v65, v65, v190, v189 bitop3:0x80
	s_delay_alu instid0(VALU_DEP_1) | instskip(NEXT) | instid1(VALU_DEP_1)
	v_bitop3_b32 v65, v65, v192, v191 bitop3:0x80
	v_mbcnt_lo_u32_b32 v189, v65, 0
	v_cmp_ne_u32_e64 s17, 0, v65
	s_delay_alu instid0(VALU_DEP_2) | instskip(SKIP_1) | instid1(SALU_CYCLE_1)
	v_cmp_eq_u32_e32 vcc_lo, 0, v189
	s_and_b32 s18, s17, vcc_lo
	s_and_saveexec_b32 s17, s18
	s_cbranch_execz .LBB1320_784
; %bb.783:                              ;   in Loop: Header=BB1320_722 Depth=2
	s_wait_dscnt 0x0
	v_bcnt_u32_b32 v65, v65, v188
	ds_store_b32 v161, v65 offset:544
.LBB1320_784:                           ;   in Loop: Header=BB1320_722 Depth=2
	s_or_b32 exec_lo, exec_lo, s17
	v_cmp_gt_i32_e32 vcc_lo, 0, v157
	; wave barrier
	v_cndmask_b32_e64 v65, 0x7fffffff, 0, vcc_lo
	s_delay_alu instid0(VALU_DEP_1) | instskip(NEXT) | instid1(VALU_DEP_1)
	v_xor_b32_e32 v187, v65, v157
	v_cmp_ne_u32_e32 vcc_lo, 0x80000000, v187
	v_cndmask_b32_e32 v65, 0x7fffffff, v187, vcc_lo
	s_delay_alu instid0(VALU_DEP_1) | instskip(NEXT) | instid1(VALU_DEP_1)
	v_lshrrev_b32_e32 v65, s49, v65
	v_and_b32_e32 v190, s58, v65
	s_delay_alu instid0(VALU_DEP_1) | instskip(SKIP_2) | instid1(VALU_DEP_3)
	v_lshlrev_b32_e32 v193, 28, v190
	v_bitop3_b32 v157, v65, 1, s58 bitop3:0x80
	v_dual_lshlrev_b32 v191, 30, v190 :: v_dual_lshlrev_b32 v192, 29, v190
	v_cmp_gt_i32_e64 s19, 0, v193
	s_delay_alu instid0(VALU_DEP_3) | instskip(NEXT) | instid1(VALU_DEP_1)
	v_add_co_u32 v65, s17, v157, -1
	v_cndmask_b32_e64 v157, 0, 1, s17
	s_delay_alu instid0(VALU_DEP_4) | instskip(SKIP_1) | instid1(VALU_DEP_3)
	v_cmp_gt_i32_e64 s17, 0, v191
	v_cmp_gt_i32_e64 s18, 0, v192
	v_cmp_ne_u32_e32 vcc_lo, 0, v157
	v_not_b32_e32 v157, v191
	v_not_b32_e32 v191, v192
	;; [unrolled: 1-line block ×3, first 2 shown]
	v_bitop3_b32 v65, vcc_lo, exec_lo, v65 bitop3:0x48
	s_delay_alu instid0(VALU_DEP_3) | instskip(SKIP_1) | instid1(VALU_DEP_2)
	v_dual_ashrrev_i32 v157, 31, v157 :: v_dual_ashrrev_i32 v191, 31, v191
	v_dual_lshlrev_b32 v194, 27, v190 :: v_dual_lshlrev_b32 v195, 26, v190
	v_dual_lshlrev_b32 v196, 25, v190 :: v_dual_bitop2_b32 v191, s18, v191 bitop3:0x14
	s_delay_alu instid0(VALU_DEP_2) | instskip(SKIP_1) | instid1(VALU_DEP_4)
	v_not_b32_e32 v193, v194
	v_cmp_gt_i32_e64 s20, 0, v194
	v_cmp_gt_i32_e64 s21, 0, v195
	v_not_b32_e32 v194, v195
	v_not_b32_e32 v195, v196
	v_dual_ashrrev_i32 v192, 31, v192 :: v_dual_ashrrev_i32 v193, 31, v193
	s_delay_alu instid0(VALU_DEP_3) | instskip(SKIP_1) | instid1(VALU_DEP_3)
	v_dual_ashrrev_i32 v194, 31, v194 :: v_dual_bitop2_b32 v157, s17, v157 bitop3:0x14
	v_cmp_gt_i32_e64 s22, 0, v196
	v_dual_ashrrev_i32 v195, 31, v195 :: v_dual_bitop2_b32 v192, s19, v192 bitop3:0x14
	s_delay_alu instid0(VALU_DEP_4) | instskip(NEXT) | instid1(VALU_DEP_4)
	v_xor_b32_e32 v193, s20, v193
	v_bitop3_b32 v65, v65, v191, v157 bitop3:0x80
	v_mad_u32_u24 v157, v190, 36, v25
	v_xor_b32_e32 v194, s21, v194
	v_xor_b32_e32 v195, s22, v195
	s_delay_alu instid0(VALU_DEP_4) | instskip(SKIP_3) | instid1(VALU_DEP_2)
	v_bitop3_b32 v65, v65, v193, v192 bitop3:0x80
	ds_load_b32 v191, v157 offset:544
	v_mul_u32_u24_e32 v157, 36, v190
	; wave barrier
	v_bitop3_b32 v65, v65, v195, v194 bitop3:0x80
	v_add_nc_u32_e32 v157, v25, v157
	s_delay_alu instid0(VALU_DEP_2) | instskip(SKIP_1) | instid1(VALU_DEP_2)
	v_mbcnt_lo_u32_b32 v192, v65, 0
	v_cmp_ne_u32_e64 s17, 0, v65
	v_cmp_eq_u32_e32 vcc_lo, 0, v192
	s_and_b32 s18, s17, vcc_lo
	s_delay_alu instid0(SALU_CYCLE_1)
	s_and_saveexec_b32 s17, s18
	s_cbranch_execz .LBB1320_786
; %bb.785:                              ;   in Loop: Header=BB1320_722 Depth=2
	s_wait_dscnt 0x0
	v_bcnt_u32_b32 v65, v65, v191
	ds_store_b32 v157, v65 offset:544
.LBB1320_786:                           ;   in Loop: Header=BB1320_722 Depth=2
	s_or_b32 exec_lo, exec_lo, s17
	v_cmp_gt_i32_e32 vcc_lo, 0, v152
	; wave barrier
	v_cndmask_b32_e64 v65, 0x7fffffff, 0, vcc_lo
	s_delay_alu instid0(VALU_DEP_1) | instskip(NEXT) | instid1(VALU_DEP_1)
	v_xor_b32_e32 v190, v65, v152
	v_cmp_ne_u32_e32 vcc_lo, 0x80000000, v190
	v_cndmask_b32_e32 v65, 0x7fffffff, v190, vcc_lo
	s_delay_alu instid0(VALU_DEP_1) | instskip(NEXT) | instid1(VALU_DEP_1)
	v_lshrrev_b32_e32 v65, s49, v65
	v_bitop3_b32 v152, v65, 1, s58 bitop3:0x80
	v_and_b32_e32 v193, s58, v65
	s_delay_alu instid0(VALU_DEP_2) | instskip(NEXT) | instid1(VALU_DEP_1)
	v_add_co_u32 v65, s17, v152, -1
	v_cndmask_b32_e64 v152, 0, 1, s17
	s_delay_alu instid0(VALU_DEP_3) | instskip(NEXT) | instid1(VALU_DEP_2)
	v_lshlrev_b32_e32 v194, 30, v193
	v_cmp_ne_u32_e32 vcc_lo, 0, v152
	s_delay_alu instid0(VALU_DEP_2) | instskip(SKIP_2) | instid1(VALU_DEP_3)
	v_not_b32_e32 v152, v194
	v_cmp_gt_i32_e64 s17, 0, v194
	v_bitop3_b32 v65, vcc_lo, exec_lo, v65 bitop3:0x48
	v_dual_ashrrev_i32 v152, 31, v152 :: v_dual_lshlrev_b32 v195, 29, v193
	v_dual_lshlrev_b32 v196, 28, v193 :: v_dual_lshlrev_b32 v197, 27, v193
	v_lshlrev_b32_e32 v198, 26, v193
	s_delay_alu instid0(VALU_DEP_3)
	v_not_b32_e32 v194, v195
	v_lshlrev_b32_e32 v199, 25, v193
	v_cmp_gt_i32_e64 s18, 0, v195
	v_cmp_gt_i32_e64 s19, 0, v196
	v_not_b32_e32 v195, v196
	v_not_b32_e32 v196, v197
	v_ashrrev_i32_e32 v194, 31, v194
	v_cmp_gt_i32_e64 s20, 0, v197
	v_cmp_gt_i32_e64 s21, 0, v198
	v_not_b32_e32 v197, v198
	v_not_b32_e32 v198, v199
	v_dual_ashrrev_i32 v195, 31, v195 :: v_dual_ashrrev_i32 v196, 31, v196
	s_delay_alu instid0(VALU_DEP_3) | instskip(SKIP_2) | instid1(VALU_DEP_4)
	v_dual_ashrrev_i32 v197, 31, v197 :: v_dual_bitop2_b32 v152, s17, v152 bitop3:0x14
	v_xor_b32_e32 v194, s18, v194
	v_cmp_gt_i32_e64 s22, 0, v199
	v_dual_ashrrev_i32 v198, 31, v198 :: v_dual_bitop2_b32 v195, s19, v195 bitop3:0x14
	v_xor_b32_e32 v196, s20, v196
	s_delay_alu instid0(VALU_DEP_4) | instskip(SKIP_3) | instid1(VALU_DEP_4)
	v_bitop3_b32 v65, v65, v194, v152 bitop3:0x80
	v_mad_u32_u24 v152, v193, 36, v25
	v_xor_b32_e32 v197, s21, v197
	v_xor_b32_e32 v198, s22, v198
	v_bitop3_b32 v65, v65, v196, v195 bitop3:0x80
	ds_load_b32 v194, v152 offset:544
	v_mul_u32_u24_e32 v152, 36, v193
	; wave barrier
	v_bitop3_b32 v65, v65, v198, v197 bitop3:0x80
	s_delay_alu instid0(VALU_DEP_2) | instskip(NEXT) | instid1(VALU_DEP_2)
	v_add_nc_u32_e32 v152, v25, v152
	v_mbcnt_lo_u32_b32 v195, v65, 0
	v_cmp_ne_u32_e64 s17, 0, v65
	s_delay_alu instid0(VALU_DEP_2) | instskip(SKIP_1) | instid1(SALU_CYCLE_1)
	v_cmp_eq_u32_e32 vcc_lo, 0, v195
	s_and_b32 s18, s17, vcc_lo
	s_and_saveexec_b32 s17, s18
	s_cbranch_execz .LBB1320_788
; %bb.787:                              ;   in Loop: Header=BB1320_722 Depth=2
	s_wait_dscnt 0x0
	v_bcnt_u32_b32 v65, v65, v194
	ds_store_b32 v152, v65 offset:544
.LBB1320_788:                           ;   in Loop: Header=BB1320_722 Depth=2
	s_or_b32 exec_lo, exec_lo, s17
	v_cmp_gt_i32_e32 vcc_lo, 0, v67
	; wave barrier
	v_cndmask_b32_e64 v65, 0x7fffffff, 0, vcc_lo
	s_delay_alu instid0(VALU_DEP_1) | instskip(NEXT) | instid1(VALU_DEP_1)
	v_xor_b32_e32 v193, v65, v67
	v_cmp_ne_u32_e32 vcc_lo, 0x80000000, v193
	v_cndmask_b32_e32 v65, 0x7fffffff, v193, vcc_lo
	s_delay_alu instid0(VALU_DEP_1) | instskip(NEXT) | instid1(VALU_DEP_1)
	v_lshrrev_b32_e32 v65, s49, v65
	v_bitop3_b32 v67, v65, 1, s58 bitop3:0x80
	v_and_b32_e32 v196, s58, v65
	s_delay_alu instid0(VALU_DEP_2) | instskip(NEXT) | instid1(VALU_DEP_1)
	v_add_co_u32 v65, s17, v67, -1
	v_cndmask_b32_e64 v67, 0, 1, s17
	s_delay_alu instid0(VALU_DEP_3) | instskip(NEXT) | instid1(VALU_DEP_2)
	v_lshlrev_b32_e32 v197, 30, v196
	v_cmp_ne_u32_e32 vcc_lo, 0, v67
	s_delay_alu instid0(VALU_DEP_2) | instskip(SKIP_1) | instid1(VALU_DEP_2)
	v_not_b32_e32 v67, v197
	v_bitop3_b32 v65, vcc_lo, exec_lo, v65 bitop3:0x48
	v_dual_ashrrev_i32 v67, 31, v67 :: v_dual_lshlrev_b32 v198, 29, v196
	v_dual_lshlrev_b32 v199, 28, v196 :: v_dual_lshlrev_b32 v200, 27, v196
	v_lshlrev_b32_e32 v201, 26, v196
	v_cmp_gt_i32_e64 s17, 0, v197
	s_delay_alu instid0(VALU_DEP_4)
	v_not_b32_e32 v197, v198
	v_lshlrev_b32_e32 v202, 25, v196
	v_cmp_gt_i32_e64 s18, 0, v198
	v_cmp_gt_i32_e64 s19, 0, v199
	v_not_b32_e32 v198, v199
	v_not_b32_e32 v199, v200
	v_ashrrev_i32_e32 v197, 31, v197
	v_cmp_gt_i32_e64 s20, 0, v200
	v_cmp_gt_i32_e64 s21, 0, v201
	v_not_b32_e32 v200, v201
	v_not_b32_e32 v201, v202
	v_dual_ashrrev_i32 v198, 31, v198 :: v_dual_ashrrev_i32 v199, 31, v199
	s_delay_alu instid0(VALU_DEP_3) | instskip(SKIP_2) | instid1(VALU_DEP_4)
	v_dual_ashrrev_i32 v200, 31, v200 :: v_dual_bitop2_b32 v67, s17, v67 bitop3:0x14
	v_xor_b32_e32 v197, s18, v197
	v_cmp_gt_i32_e64 s22, 0, v202
	v_dual_ashrrev_i32 v201, 31, v201 :: v_dual_bitop2_b32 v198, s19, v198 bitop3:0x14
	v_xor_b32_e32 v199, s20, v199
	s_delay_alu instid0(VALU_DEP_4) | instskip(SKIP_3) | instid1(VALU_DEP_4)
	v_bitop3_b32 v65, v65, v197, v67 bitop3:0x80
	v_mad_u32_u24 v67, v196, 36, v25
	v_xor_b32_e32 v200, s21, v200
	v_xor_b32_e32 v201, s22, v201
	v_bitop3_b32 v65, v65, v199, v198 bitop3:0x80
	ds_load_b32 v197, v67 offset:544
	v_mul_u32_u24_e32 v67, 36, v196
	; wave barrier
	v_bitop3_b32 v65, v65, v201, v200 bitop3:0x80
	s_delay_alu instid0(VALU_DEP_2) | instskip(NEXT) | instid1(VALU_DEP_2)
	v_add_nc_u32_e32 v199, v25, v67
	v_mbcnt_lo_u32_b32 v198, v65, 0
	v_cmp_ne_u32_e64 s17, 0, v65
	s_delay_alu instid0(VALU_DEP_2) | instskip(SKIP_1) | instid1(SALU_CYCLE_1)
	v_cmp_eq_u32_e32 vcc_lo, 0, v198
	s_and_b32 s18, s17, vcc_lo
	s_and_saveexec_b32 s17, s18
	s_cbranch_execz .LBB1320_790
; %bb.789:                              ;   in Loop: Header=BB1320_722 Depth=2
	s_wait_dscnt 0x0
	v_bcnt_u32_b32 v65, v65, v197
	ds_store_b32 v199, v65 offset:544
.LBB1320_790:                           ;   in Loop: Header=BB1320_722 Depth=2
	s_or_b32 exec_lo, exec_lo, s17
	v_cmp_gt_i32_e32 vcc_lo, 0, v66
	; wave barrier
	v_cndmask_b32_e64 v65, 0x7fffffff, 0, vcc_lo
	s_delay_alu instid0(VALU_DEP_1) | instskip(NEXT) | instid1(VALU_DEP_1)
	v_xor_b32_e32 v196, v65, v66
	v_cmp_ne_u32_e32 vcc_lo, 0x80000000, v196
	v_cndmask_b32_e32 v65, 0x7fffffff, v196, vcc_lo
	s_delay_alu instid0(VALU_DEP_1) | instskip(NEXT) | instid1(VALU_DEP_1)
	v_lshrrev_b32_e32 v65, s49, v65
	v_bitop3_b32 v66, v65, 1, s58 bitop3:0x80
	v_and_b32_e32 v67, s58, v65
	s_delay_alu instid0(VALU_DEP_2) | instskip(NEXT) | instid1(VALU_DEP_1)
	v_add_co_u32 v65, s17, v66, -1
	v_cndmask_b32_e64 v66, 0, 1, s17
	s_delay_alu instid0(VALU_DEP_3) | instskip(NEXT) | instid1(VALU_DEP_2)
	v_lshlrev_b32_e32 v200, 30, v67
	v_cmp_ne_u32_e32 vcc_lo, 0, v66
	s_delay_alu instid0(VALU_DEP_2) | instskip(SKIP_2) | instid1(VALU_DEP_3)
	v_not_b32_e32 v66, v200
	v_cmp_gt_i32_e64 s17, 0, v200
	v_bitop3_b32 v65, vcc_lo, exec_lo, v65 bitop3:0x48
	v_dual_ashrrev_i32 v66, 31, v66 :: v_dual_lshlrev_b32 v201, 29, v67
	v_dual_lshlrev_b32 v202, 28, v67 :: v_dual_lshlrev_b32 v203, 27, v67
	v_lshlrev_b32_e32 v204, 26, v67
	s_delay_alu instid0(VALU_DEP_3)
	v_not_b32_e32 v200, v201
	v_lshlrev_b32_e32 v205, 25, v67
	v_cmp_gt_i32_e64 s18, 0, v201
	v_cmp_gt_i32_e64 s19, 0, v202
	v_not_b32_e32 v201, v202
	v_not_b32_e32 v202, v203
	v_ashrrev_i32_e32 v200, 31, v200
	v_cmp_gt_i32_e64 s20, 0, v203
	v_cmp_gt_i32_e64 s21, 0, v204
	v_not_b32_e32 v203, v204
	v_not_b32_e32 v204, v205
	v_dual_ashrrev_i32 v201, 31, v201 :: v_dual_ashrrev_i32 v202, 31, v202
	s_delay_alu instid0(VALU_DEP_3) | instskip(SKIP_2) | instid1(VALU_DEP_4)
	v_dual_ashrrev_i32 v203, 31, v203 :: v_dual_bitop2_b32 v66, s17, v66 bitop3:0x14
	v_xor_b32_e32 v200, s18, v200
	v_cmp_gt_i32_e64 s22, 0, v205
	v_dual_ashrrev_i32 v204, 31, v204 :: v_dual_bitop2_b32 v201, s19, v201 bitop3:0x14
	v_xor_b32_e32 v202, s20, v202
	s_delay_alu instid0(VALU_DEP_4) | instskip(SKIP_3) | instid1(VALU_DEP_4)
	v_bitop3_b32 v65, v65, v200, v66 bitop3:0x80
	v_mad_u32_u24 v66, v67, 36, v25
	v_xor_b32_e32 v200, s21, v203
	v_xor_b32_e32 v203, s22, v204
	v_bitop3_b32 v65, v65, v202, v201 bitop3:0x80
	ds_load_b32 v201, v66 offset:544
	v_mul_u32_u24_e32 v66, 36, v67
	; wave barrier
	v_bitop3_b32 v65, v65, v203, v200 bitop3:0x80
	s_delay_alu instid0(VALU_DEP_2) | instskip(NEXT) | instid1(VALU_DEP_2)
	v_add_nc_u32_e32 v203, v25, v66
	v_mbcnt_lo_u32_b32 v202, v65, 0
	v_cmp_ne_u32_e64 s17, 0, v65
	s_delay_alu instid0(VALU_DEP_2) | instskip(SKIP_1) | instid1(SALU_CYCLE_1)
	v_cmp_eq_u32_e32 vcc_lo, 0, v202
	s_and_b32 s18, s17, vcc_lo
	s_and_saveexec_b32 s17, s18
	s_cbranch_execz .LBB1320_792
; %bb.791:                              ;   in Loop: Header=BB1320_722 Depth=2
	s_wait_dscnt 0x0
	v_bcnt_u32_b32 v65, v65, v201
	ds_store_b32 v203, v65 offset:544
.LBB1320_792:                           ;   in Loop: Header=BB1320_722 Depth=2
	s_or_b32 exec_lo, exec_lo, s17
	v_cmp_gt_i32_e32 vcc_lo, 0, v64
	; wave barrier
	v_cndmask_b32_e64 v65, 0x7fffffff, 0, vcc_lo
	s_delay_alu instid0(VALU_DEP_1) | instskip(NEXT) | instid1(VALU_DEP_1)
	v_xor_b32_e32 v200, v65, v64
	v_cmp_ne_u32_e32 vcc_lo, 0x80000000, v200
	v_cndmask_b32_e32 v64, 0x7fffffff, v200, vcc_lo
	s_delay_alu instid0(VALU_DEP_1) | instskip(NEXT) | instid1(VALU_DEP_1)
	v_lshrrev_b32_e32 v64, s49, v64
	v_bitop3_b32 v65, v64, 1, s58 bitop3:0x80
	v_and_b32_e32 v66, s58, v64
	s_delay_alu instid0(VALU_DEP_2) | instskip(NEXT) | instid1(VALU_DEP_1)
	v_add_co_u32 v64, s17, v65, -1
	v_cndmask_b32_e64 v65, 0, 1, s17
	s_delay_alu instid0(VALU_DEP_3) | instskip(NEXT) | instid1(VALU_DEP_2)
	v_lshlrev_b32_e32 v67, 30, v66
	v_cmp_ne_u32_e32 vcc_lo, 0, v65
	s_delay_alu instid0(VALU_DEP_2) | instskip(SKIP_2) | instid1(VALU_DEP_3)
	v_not_b32_e32 v65, v67
	v_cmp_gt_i32_e64 s17, 0, v67
	v_bitop3_b32 v64, vcc_lo, exec_lo, v64 bitop3:0x48
	v_dual_ashrrev_i32 v65, 31, v65 :: v_dual_lshlrev_b32 v204, 29, v66
	v_dual_lshlrev_b32 v205, 28, v66 :: v_dual_lshlrev_b32 v206, 27, v66
	v_lshlrev_b32_e32 v207, 26, v66
	s_delay_alu instid0(VALU_DEP_3)
	v_not_b32_e32 v67, v204
	v_lshlrev_b32_e32 v208, 25, v66
	v_cmp_gt_i32_e64 s18, 0, v204
	v_cmp_gt_i32_e64 s19, 0, v205
	v_not_b32_e32 v204, v205
	v_not_b32_e32 v205, v206
	v_ashrrev_i32_e32 v67, 31, v67
	v_cmp_gt_i32_e64 s20, 0, v206
	v_cmp_gt_i32_e64 s21, 0, v207
	v_not_b32_e32 v206, v207
	v_not_b32_e32 v207, v208
	v_dual_ashrrev_i32 v204, 31, v204 :: v_dual_ashrrev_i32 v205, 31, v205
	s_delay_alu instid0(VALU_DEP_3) | instskip(SKIP_2) | instid1(VALU_DEP_4)
	v_dual_ashrrev_i32 v206, 31, v206 :: v_dual_bitop2_b32 v65, s17, v65 bitop3:0x14
	v_xor_b32_e32 v67, s18, v67
	v_cmp_gt_i32_e64 s22, 0, v208
	v_dual_ashrrev_i32 v207, 31, v207 :: v_dual_bitop2_b32 v204, s19, v204 bitop3:0x14
	v_xor_b32_e32 v205, s20, v205
	s_delay_alu instid0(VALU_DEP_4) | instskip(SKIP_3) | instid1(VALU_DEP_4)
	v_bitop3_b32 v64, v64, v67, v65 bitop3:0x80
	v_mad_u32_u24 v65, v66, 36, v25
	v_xor_b32_e32 v67, s21, v206
	v_xor_b32_e32 v206, s22, v207
	v_bitop3_b32 v64, v64, v205, v204 bitop3:0x80
	ds_load_b32 v204, v65 offset:544
	v_mul_u32_u24_e32 v65, 36, v66
	; wave barrier
	v_bitop3_b32 v64, v64, v206, v67 bitop3:0x80
	s_delay_alu instid0(VALU_DEP_2) | instskip(NEXT) | instid1(VALU_DEP_2)
	v_add_nc_u32_e32 v206, v25, v65
	v_mbcnt_lo_u32_b32 v205, v64, 0
	v_cmp_ne_u32_e64 s17, 0, v64
	s_delay_alu instid0(VALU_DEP_2) | instskip(SKIP_1) | instid1(SALU_CYCLE_1)
	v_cmp_eq_u32_e32 vcc_lo, 0, v205
	s_and_b32 s18, s17, vcc_lo
	s_and_saveexec_b32 s17, s18
	s_cbranch_execz .LBB1320_794
; %bb.793:                              ;   in Loop: Header=BB1320_722 Depth=2
	s_wait_dscnt 0x0
	v_bcnt_u32_b32 v64, v64, v204
	ds_store_b32 v206, v64 offset:544
.LBB1320_794:                           ;   in Loop: Header=BB1320_722 Depth=2
	s_or_b32 exec_lo, exec_lo, s17
	; wave barrier
	s_wait_dscnt 0x0
	s_barrier_signal -1
	s_barrier_wait -1
	ds_load_2addr_b32 v[66:67], v90 offset0:136 offset1:137
	ds_load_2addr_b32 v[64:65], v90 offset0:138 offset1:139
	ds_load_b32 v207, v90 offset:560
	s_wait_dscnt 0x1
	v_add3_u32 v208, v67, v66, v64
	s_wait_dscnt 0x0
	s_delay_alu instid0(VALU_DEP_1) | instskip(NEXT) | instid1(VALU_DEP_1)
	v_add3_u32 v207, v208, v65, v207
	v_mov_b32_dpp v208, v207 row_shr:1 row_mask:0xf bank_mask:0xf
	s_delay_alu instid0(VALU_DEP_1) | instskip(NEXT) | instid1(VALU_DEP_1)
	v_cndmask_b32_e64 v208, v208, 0, s9
	v_add_nc_u32_e32 v207, v208, v207
	s_delay_alu instid0(VALU_DEP_1) | instskip(NEXT) | instid1(VALU_DEP_1)
	v_mov_b32_dpp v208, v207 row_shr:2 row_mask:0xf bank_mask:0xf
	v_cndmask_b32_e64 v208, 0, v208, s10
	s_delay_alu instid0(VALU_DEP_1) | instskip(NEXT) | instid1(VALU_DEP_1)
	v_add_nc_u32_e32 v207, v207, v208
	v_mov_b32_dpp v208, v207 row_shr:4 row_mask:0xf bank_mask:0xf
	s_delay_alu instid0(VALU_DEP_1) | instskip(NEXT) | instid1(VALU_DEP_1)
	v_cndmask_b32_e64 v208, 0, v208, s11
	v_add_nc_u32_e32 v207, v207, v208
	s_delay_alu instid0(VALU_DEP_1) | instskip(NEXT) | instid1(VALU_DEP_1)
	v_mov_b32_dpp v208, v207 row_shr:8 row_mask:0xf bank_mask:0xf
	v_cndmask_b32_e64 v208, 0, v208, s12
	s_delay_alu instid0(VALU_DEP_1) | instskip(SKIP_3) | instid1(VALU_DEP_1)
	v_add_nc_u32_e32 v207, v207, v208
	ds_swizzle_b32 v208, v207 offset:swizzle(BROADCAST,32,15)
	s_wait_dscnt 0x0
	v_cndmask_b32_e64 v208, v208, 0, s13
	v_add_nc_u32_e32 v207, v207, v208
	s_and_saveexec_b32 s17, s2
; %bb.795:                              ;   in Loop: Header=BB1320_722 Depth=2
	ds_store_b32 v83, v207 offset:512
; %bb.796:                              ;   in Loop: Header=BB1320_722 Depth=2
	s_or_b32 exec_lo, exec_lo, s17
	s_wait_dscnt 0x0
	s_barrier_signal -1
	s_barrier_wait -1
	s_and_saveexec_b32 s17, s3
	s_cbranch_execz .LBB1320_798
; %bb.797:                              ;   in Loop: Header=BB1320_722 Depth=2
	ds_load_b32 v208, v92 offset:512
	s_wait_dscnt 0x0
	v_mov_b32_dpp v209, v208 row_shr:1 row_mask:0xf bank_mask:0xf
	s_delay_alu instid0(VALU_DEP_1) | instskip(NEXT) | instid1(VALU_DEP_1)
	v_cndmask_b32_e64 v209, v209, 0, s14
	v_add_nc_u32_e32 v208, v209, v208
	s_delay_alu instid0(VALU_DEP_1) | instskip(NEXT) | instid1(VALU_DEP_1)
	v_mov_b32_dpp v209, v208 row_shr:2 row_mask:0xf bank_mask:0xf
	v_cndmask_b32_e64 v209, 0, v209, s15
	s_delay_alu instid0(VALU_DEP_1) | instskip(NEXT) | instid1(VALU_DEP_1)
	v_add_nc_u32_e32 v208, v208, v209
	v_mov_b32_dpp v209, v208 row_shr:4 row_mask:0xf bank_mask:0xf
	s_delay_alu instid0(VALU_DEP_1) | instskip(NEXT) | instid1(VALU_DEP_1)
	v_cndmask_b32_e64 v209, 0, v209, s16
	v_add_nc_u32_e32 v208, v208, v209
	ds_store_b32 v92, v208 offset:512
.LBB1320_798:                           ;   in Loop: Header=BB1320_722 Depth=2
	s_or_b32 exec_lo, exec_lo, s17
	v_mov_b32_e32 v208, 0
	s_wait_dscnt 0x0
	s_barrier_signal -1
	s_barrier_wait -1
	s_and_saveexec_b32 s17, s5
; %bb.799:                              ;   in Loop: Header=BB1320_722 Depth=2
	ds_load_b32 v208, v83 offset:508
; %bb.800:                              ;   in Loop: Header=BB1320_722 Depth=2
	s_or_b32 exec_lo, exec_lo, s17
	s_wait_dscnt 0x0
	v_add_nc_u32_e32 v207, v208, v207
	ds_bpermute_b32 v207, v119, v207
	s_wait_dscnt 0x0
	v_cndmask_b32_e64 v207, v207, v208, s8
	s_delay_alu instid0(VALU_DEP_1) | instskip(NEXT) | instid1(VALU_DEP_1)
	v_cndmask_b32_e64 v207, v207, 0, s6
	v_add_nc_u32_e32 v66, v207, v66
	s_delay_alu instid0(VALU_DEP_1) | instskip(NEXT) | instid1(VALU_DEP_1)
	v_add_nc_u32_e32 v67, v66, v67
	v_add_nc_u32_e32 v64, v67, v64
	s_delay_alu instid0(VALU_DEP_1)
	v_add_nc_u32_e32 v65, v64, v65
	ds_store_2addr_b32 v90, v207, v66 offset0:136 offset1:137
	ds_store_2addr_b32 v90, v67, v64 offset0:138 offset1:139
	ds_store_b32 v90, v65 offset:560
	s_wait_dscnt 0x0
	s_barrier_signal -1
	s_barrier_wait -1
	ds_load_b32 v66, v143 offset:544
	ds_load_b32 v67, v147 offset:544
	;; [unrolled: 1-line block ×17, first 2 shown]
	s_and_saveexec_b32 s17, s0
	s_cbranch_execz .LBB1320_804
; %bb.801:                              ;   in Loop: Header=BB1320_722 Depth=2
	ds_load_b32 v133, v94 offset:544
	v_mov_b32_e32 v138, 0x1100
	s_and_saveexec_b32 s18, s7
; %bb.802:                              ;   in Loop: Header=BB1320_722 Depth=2
	ds_load_b32 v138, v93 offset:544
; %bb.803:                              ;   in Loop: Header=BB1320_722 Depth=2
	s_or_b32 exec_lo, exec_lo, s18
	s_wait_dscnt 0x0
	v_sub_nc_u32_e32 v138, v138, v133
.LBB1320_804:                           ;   in Loop: Header=BB1320_722 Depth=2
	s_or_b32 exec_lo, exec_lo, s17
	s_wait_dscnt 0x0
	s_barrier_signal -1
	s_barrier_wait -1
	s_and_saveexec_b32 s17, s0
	s_cbranch_execz .LBB1320_806
; %bb.805:                              ;   in Loop: Header=BB1320_722 Depth=2
	ds_load_b32 v152, v4
	s_wait_dscnt 0x0
	v_sub_nc_u32_e32 v152, v152, v133
	ds_store_b32 v4, v152
.LBB1320_806:                           ;   in Loop: Header=BB1320_722 Depth=2
	s_or_b32 exec_lo, exec_lo, s17
	v_add3_u32 v156, v155, v154, v147
	v_add_nc_u32_e32 v162, v66, v141
	v_add3_u32 v161, v146, v145, v67
	v_add3_u32 v157, v150, v149, v143
	;; [unrolled: 1-line block ×4, first 2 shown]
	v_dual_lshlrev_b32 v65, 2, v156 :: v_dual_lshlrev_b32 v159, 2, v162
	v_lshlrev_b32_e32 v160, 2, v161
	v_add3_u32 v154, v165, v164, v207
	v_add3_u32 v152, v170, v169, v172
	;; [unrolled: 1-line block ×4, first 2 shown]
	v_lshlrev_b32_e32 v64, 2, v157
	v_add3_u32 v150, v178, v177, v179
	v_add3_u32 v149, v181, v180, v182
	ds_store_b32 v159, v140 offset:512
	ds_store_b32 v160, v142 offset:512
	v_lshlrev_b32_e32 v140, 2, v155
	v_add3_u32 v147, v185, v184, v186
	v_dual_lshlrev_b32 v142, 2, v154 :: v_dual_lshlrev_b32 v159, 2, v152
	v_add3_u32 v146, v189, v188, v208
	v_add3_u32 v67, v192, v191, v209
	ds_store_b32 v64, v144 offset:512
	ds_store_b32 v65, v148 offset:512
	;; [unrolled: 1-line block ×5, first 2 shown]
	v_dual_lshlrev_b32 v64, 2, v151 :: v_dual_lshlrev_b32 v65, 2, v150
	v_add3_u32 v66, v195, v194, v210
	v_dual_lshlrev_b32 v140, 2, v149 :: v_dual_lshlrev_b32 v142, 2, v147
	v_add3_u32 v141, v205, v204, v167
	v_lshlrev_b32_e32 v144, 2, v146
	ds_store_b32 v64, v168 offset:512
	ds_store_b32 v65, v173 offset:512
	;; [unrolled: 1-line block ×5, first 2 shown]
	v_lshlrev_b32_e32 v64, 2, v67
	v_cmp_lt_u32_e32 vcc_lo, v2, v139
	v_dual_lshlrev_b32 v65, 2, v66 :: v_dual_lshlrev_b32 v140, 2, v145
	v_dual_lshlrev_b32 v142, 2, v143 :: v_dual_lshlrev_b32 v144, 2, v141
	ds_store_b32 v64, v187 offset:512
	ds_store_b32 v65, v190 offset:512
	;; [unrolled: 1-line block ×5, first 2 shown]
	s_wait_dscnt 0x0
	s_barrier_signal -1
	s_barrier_wait -1
	s_and_saveexec_b32 s18, vcc_lo
	s_cbranch_execnz .LBB1320_879
; %bb.807:                              ;   in Loop: Header=BB1320_722 Depth=2
	s_or_b32 exec_lo, exec_lo, s18
	v_cmp_lt_u32_e64 s17, v3, v139
	s_and_saveexec_b32 s19, s17
	s_cbranch_execnz .LBB1320_880
.LBB1320_808:                           ;   in Loop: Header=BB1320_722 Depth=2
	s_or_b32 exec_lo, exec_lo, s19
	v_cmp_lt_u32_e64 s18, v68, v139
	s_and_saveexec_b32 s20, s18
	s_cbranch_execnz .LBB1320_881
.LBB1320_809:                           ;   in Loop: Header=BB1320_722 Depth=2
	s_or_b32 exec_lo, exec_lo, s20
	v_cmp_lt_u32_e64 s19, v69, v139
	s_and_saveexec_b32 s21, s19
	s_cbranch_execnz .LBB1320_882
.LBB1320_810:                           ;   in Loop: Header=BB1320_722 Depth=2
	s_or_b32 exec_lo, exec_lo, s21
	v_cmp_lt_u32_e64 s20, v70, v139
	s_and_saveexec_b32 s22, s20
	s_cbranch_execnz .LBB1320_883
.LBB1320_811:                           ;   in Loop: Header=BB1320_722 Depth=2
	s_or_b32 exec_lo, exec_lo, s22
	v_cmp_lt_u32_e64 s21, v71, v139
	s_and_saveexec_b32 s23, s21
	s_cbranch_execnz .LBB1320_884
.LBB1320_812:                           ;   in Loop: Header=BB1320_722 Depth=2
	s_or_b32 exec_lo, exec_lo, s23
	v_cmp_lt_u32_e64 s22, v72, v139
	s_and_saveexec_b32 s24, s22
	s_cbranch_execnz .LBB1320_885
.LBB1320_813:                           ;   in Loop: Header=BB1320_722 Depth=2
	s_or_b32 exec_lo, exec_lo, s24
	v_cmp_lt_u32_e64 s23, v73, v139
	s_and_saveexec_b32 s25, s23
	s_cbranch_execnz .LBB1320_886
.LBB1320_814:                           ;   in Loop: Header=BB1320_722 Depth=2
	s_or_b32 exec_lo, exec_lo, s25
	v_cmp_lt_u32_e64 s24, v74, v139
	s_and_saveexec_b32 s26, s24
	s_cbranch_execnz .LBB1320_887
.LBB1320_815:                           ;   in Loop: Header=BB1320_722 Depth=2
	s_or_b32 exec_lo, exec_lo, s26
	v_cmp_lt_u32_e64 s25, v75, v139
	s_and_saveexec_b32 s27, s25
	s_cbranch_execnz .LBB1320_888
.LBB1320_816:                           ;   in Loop: Header=BB1320_722 Depth=2
	s_or_b32 exec_lo, exec_lo, s27
	v_cmp_lt_u32_e64 s26, v76, v139
	s_and_saveexec_b32 s28, s26
	s_cbranch_execnz .LBB1320_889
.LBB1320_817:                           ;   in Loop: Header=BB1320_722 Depth=2
	s_or_b32 exec_lo, exec_lo, s28
	v_cmp_lt_u32_e64 s27, v77, v139
	s_and_saveexec_b32 s29, s27
	s_cbranch_execnz .LBB1320_890
.LBB1320_818:                           ;   in Loop: Header=BB1320_722 Depth=2
	s_or_b32 exec_lo, exec_lo, s29
	v_cmp_lt_u32_e64 s28, v78, v139
	s_and_saveexec_b32 s30, s28
	s_cbranch_execnz .LBB1320_891
.LBB1320_819:                           ;   in Loop: Header=BB1320_722 Depth=2
	s_or_b32 exec_lo, exec_lo, s30
	v_cmp_lt_u32_e64 s29, v79, v139
	s_and_saveexec_b32 s31, s29
	s_cbranch_execnz .LBB1320_892
.LBB1320_820:                           ;   in Loop: Header=BB1320_722 Depth=2
	s_or_b32 exec_lo, exec_lo, s31
	v_cmp_lt_u32_e64 s30, v80, v139
	s_and_saveexec_b32 s33, s30
	s_cbranch_execnz .LBB1320_893
.LBB1320_821:                           ;   in Loop: Header=BB1320_722 Depth=2
	s_or_b32 exec_lo, exec_lo, s33
	v_cmp_lt_u32_e64 s31, v81, v139
	s_and_saveexec_b32 s34, s31
	s_cbranch_execnz .LBB1320_894
.LBB1320_822:                           ;   in Loop: Header=BB1320_722 Depth=2
	s_or_b32 exec_lo, exec_lo, s34
	v_cmp_lt_u32_e64 s33, v82, v139
	s_and_saveexec_b32 s61, s33
	s_cbranch_execz .LBB1320_824
.LBB1320_823:                           ;   in Loop: Header=BB1320_722 Depth=2
	ds_load_b32 v64, v92 offset:16896
	s_wait_dscnt 0x0
	v_cmp_ne_u32_e64 s34, 0x80000000, v64
	s_delay_alu instid0(VALU_DEP_1) | instskip(SKIP_1) | instid1(VALU_DEP_1)
	v_cndmask_b32_e64 v65, 0x7fffffff, v64, s34
	v_cmp_gt_i32_e64 s34, 0, v64
	v_cndmask_b32_e64 v140, 0x7fffffff, 0, s34
	s_delay_alu instid0(VALU_DEP_1) | instskip(NEXT) | instid1(VALU_DEP_1)
	v_dual_lshrrev_b32 v65, s49, v65 :: v_dual_bitop2_b32 v64, v140, v64 bitop3:0x14
	v_and_b32_e32 v65, s58, v65
	s_delay_alu instid0(VALU_DEP_1)
	v_lshlrev_b32_e32 v65, 2, v65
	ds_load_b32 v65, v65
	s_wait_dscnt 0x0
	v_add_nc_u32_e32 v65, v65, v82
	global_store_b32 v65, v64, s[38:39] scale_offset
.LBB1320_824:                           ;   in Loop: Header=BB1320_722 Depth=2
	s_wait_xcnt 0x0
	s_or_b32 exec_lo, exec_lo, s61
	v_lshl_add_u64 v[64:65], s[42:43], 3, v[26:27]
	v_cmp_lt_u32_e64 s34, v101, v139
	s_and_saveexec_b32 s42, s34
	s_delay_alu instid0(SALU_CYCLE_1)
	s_xor_b32 s34, exec_lo, s42
	s_cbranch_execnz .LBB1320_895
; %bb.825:                              ;   in Loop: Header=BB1320_722 Depth=2
	s_or_b32 exec_lo, exec_lo, s34
	s_delay_alu instid0(SALU_CYCLE_1)
	s_mov_b32 s42, exec_lo
	v_cmpx_lt_u32_e64 v104, v139
	s_cbranch_execnz .LBB1320_896
.LBB1320_826:                           ;   in Loop: Header=BB1320_722 Depth=2
	s_or_b32 exec_lo, exec_lo, s42
	s_delay_alu instid0(SALU_CYCLE_1)
	s_mov_b32 s42, exec_lo
	v_cmpx_lt_u32_e64 v105, v139
	s_cbranch_execnz .LBB1320_897
.LBB1320_827:                           ;   in Loop: Header=BB1320_722 Depth=2
	s_or_b32 exec_lo, exec_lo, s42
	s_delay_alu instid0(SALU_CYCLE_1)
	s_mov_b32 s42, exec_lo
	v_cmpx_lt_u32_e64 v106, v139
	s_cbranch_execnz .LBB1320_898
.LBB1320_828:                           ;   in Loop: Header=BB1320_722 Depth=2
	s_or_b32 exec_lo, exec_lo, s42
	s_delay_alu instid0(SALU_CYCLE_1)
	s_mov_b32 s42, exec_lo
	v_cmpx_lt_u32_e64 v107, v139
	s_cbranch_execnz .LBB1320_899
.LBB1320_829:                           ;   in Loop: Header=BB1320_722 Depth=2
	s_or_b32 exec_lo, exec_lo, s42
	s_delay_alu instid0(SALU_CYCLE_1)
	s_mov_b32 s42, exec_lo
	v_cmpx_lt_u32_e64 v108, v139
	s_cbranch_execnz .LBB1320_900
.LBB1320_830:                           ;   in Loop: Header=BB1320_722 Depth=2
	s_or_b32 exec_lo, exec_lo, s42
	s_delay_alu instid0(SALU_CYCLE_1)
	s_mov_b32 s42, exec_lo
	v_cmpx_lt_u32_e64 v109, v139
	s_cbranch_execnz .LBB1320_901
.LBB1320_831:                           ;   in Loop: Header=BB1320_722 Depth=2
	s_or_b32 exec_lo, exec_lo, s42
	s_delay_alu instid0(SALU_CYCLE_1)
	s_mov_b32 s42, exec_lo
	v_cmpx_lt_u32_e64 v110, v139
	s_cbranch_execnz .LBB1320_902
.LBB1320_832:                           ;   in Loop: Header=BB1320_722 Depth=2
	s_or_b32 exec_lo, exec_lo, s42
	s_delay_alu instid0(SALU_CYCLE_1)
	s_mov_b32 s42, exec_lo
	v_cmpx_lt_u32_e64 v111, v139
	s_cbranch_execnz .LBB1320_903
.LBB1320_833:                           ;   in Loop: Header=BB1320_722 Depth=2
	s_or_b32 exec_lo, exec_lo, s42
	s_delay_alu instid0(SALU_CYCLE_1)
	s_mov_b32 s42, exec_lo
	v_cmpx_lt_u32_e64 v112, v139
	s_cbranch_execnz .LBB1320_904
.LBB1320_834:                           ;   in Loop: Header=BB1320_722 Depth=2
	s_or_b32 exec_lo, exec_lo, s42
	s_delay_alu instid0(SALU_CYCLE_1)
	s_mov_b32 s42, exec_lo
	v_cmpx_lt_u32_e64 v113, v139
	s_cbranch_execnz .LBB1320_905
.LBB1320_835:                           ;   in Loop: Header=BB1320_722 Depth=2
	s_or_b32 exec_lo, exec_lo, s42
	s_delay_alu instid0(SALU_CYCLE_1)
	s_mov_b32 s42, exec_lo
	v_cmpx_lt_u32_e64 v114, v139
	s_cbranch_execnz .LBB1320_906
.LBB1320_836:                           ;   in Loop: Header=BB1320_722 Depth=2
	s_or_b32 exec_lo, exec_lo, s42
	s_delay_alu instid0(SALU_CYCLE_1)
	s_mov_b32 s42, exec_lo
	v_cmpx_lt_u32_e64 v115, v139
	s_cbranch_execnz .LBB1320_907
.LBB1320_837:                           ;   in Loop: Header=BB1320_722 Depth=2
	s_or_b32 exec_lo, exec_lo, s42
	s_delay_alu instid0(SALU_CYCLE_1)
	s_mov_b32 s42, exec_lo
	v_cmpx_lt_u32_e64 v116, v139
	s_cbranch_execnz .LBB1320_908
.LBB1320_838:                           ;   in Loop: Header=BB1320_722 Depth=2
	s_or_b32 exec_lo, exec_lo, s42
	s_delay_alu instid0(SALU_CYCLE_1)
	s_mov_b32 s42, exec_lo
	v_cmpx_lt_u32_e64 v117, v139
	s_cbranch_execnz .LBB1320_909
.LBB1320_839:                           ;   in Loop: Header=BB1320_722 Depth=2
	s_or_b32 exec_lo, exec_lo, s42
	s_delay_alu instid0(SALU_CYCLE_1)
	s_mov_b32 s42, exec_lo
	v_cmpx_lt_u32_e64 v118, v139
	s_cbranch_execnz .LBB1320_910
.LBB1320_840:                           ;   in Loop: Header=BB1320_722 Depth=2
	s_or_b32 exec_lo, exec_lo, s42
	s_delay_alu instid0(SALU_CYCLE_1)
	s_mov_b32 s42, exec_lo
	v_cmpx_lt_u32_e64 v5, v139
	s_cbranch_execnz .LBB1320_911
.LBB1320_841:                           ;   in Loop: Header=BB1320_722 Depth=2
	s_or_b32 exec_lo, exec_lo, s42
	s_and_saveexec_b32 s42, vcc_lo
	s_cbranch_execnz .LBB1320_912
.LBB1320_842:                           ;   in Loop: Header=BB1320_722 Depth=2
	s_or_b32 exec_lo, exec_lo, s42
	s_and_saveexec_b32 s42, s17
	s_cbranch_execnz .LBB1320_913
.LBB1320_843:                           ;   in Loop: Header=BB1320_722 Depth=2
	s_or_b32 exec_lo, exec_lo, s42
	s_and_saveexec_b32 s42, s18
	s_cbranch_execnz .LBB1320_914
.LBB1320_844:                           ;   in Loop: Header=BB1320_722 Depth=2
	s_or_b32 exec_lo, exec_lo, s42
	s_and_saveexec_b32 s42, s19
	s_cbranch_execnz .LBB1320_915
.LBB1320_845:                           ;   in Loop: Header=BB1320_722 Depth=2
	s_or_b32 exec_lo, exec_lo, s42
	s_and_saveexec_b32 s42, s20
	s_cbranch_execnz .LBB1320_916
.LBB1320_846:                           ;   in Loop: Header=BB1320_722 Depth=2
	s_or_b32 exec_lo, exec_lo, s42
	s_and_saveexec_b32 s42, s21
	s_cbranch_execnz .LBB1320_917
.LBB1320_847:                           ;   in Loop: Header=BB1320_722 Depth=2
	s_or_b32 exec_lo, exec_lo, s42
	s_and_saveexec_b32 s42, s22
	s_cbranch_execnz .LBB1320_918
.LBB1320_848:                           ;   in Loop: Header=BB1320_722 Depth=2
	s_or_b32 exec_lo, exec_lo, s42
	s_and_saveexec_b32 s42, s23
	s_cbranch_execnz .LBB1320_919
.LBB1320_849:                           ;   in Loop: Header=BB1320_722 Depth=2
	s_or_b32 exec_lo, exec_lo, s42
	s_and_saveexec_b32 s42, s24
	s_cbranch_execnz .LBB1320_920
.LBB1320_850:                           ;   in Loop: Header=BB1320_722 Depth=2
	s_or_b32 exec_lo, exec_lo, s42
	s_and_saveexec_b32 s42, s25
	s_cbranch_execnz .LBB1320_921
.LBB1320_851:                           ;   in Loop: Header=BB1320_722 Depth=2
	s_or_b32 exec_lo, exec_lo, s42
	s_and_saveexec_b32 s42, s26
	s_cbranch_execnz .LBB1320_922
.LBB1320_852:                           ;   in Loop: Header=BB1320_722 Depth=2
	s_or_b32 exec_lo, exec_lo, s42
	s_and_saveexec_b32 s42, s27
	s_cbranch_execnz .LBB1320_923
.LBB1320_853:                           ;   in Loop: Header=BB1320_722 Depth=2
	s_or_b32 exec_lo, exec_lo, s42
	s_and_saveexec_b32 s42, s28
	s_cbranch_execnz .LBB1320_924
.LBB1320_854:                           ;   in Loop: Header=BB1320_722 Depth=2
	s_or_b32 exec_lo, exec_lo, s42
	s_and_saveexec_b32 s42, s29
	s_cbranch_execnz .LBB1320_925
.LBB1320_855:                           ;   in Loop: Header=BB1320_722 Depth=2
	s_or_b32 exec_lo, exec_lo, s42
	s_and_saveexec_b32 s42, s30
	s_cbranch_execnz .LBB1320_926
.LBB1320_856:                           ;   in Loop: Header=BB1320_722 Depth=2
	s_or_b32 exec_lo, exec_lo, s42
	s_and_saveexec_b32 s42, s31
	s_cbranch_execnz .LBB1320_927
.LBB1320_857:                           ;   in Loop: Header=BB1320_722 Depth=2
	s_or_b32 exec_lo, exec_lo, s42
	s_and_saveexec_b32 s42, s33
	s_cbranch_execz .LBB1320_859
.LBB1320_858:                           ;   in Loop: Header=BB1320_722 Depth=2
	ds_load_b32 v64, v92 offset:16896
	s_wait_dscnt 0x0
	v_cmp_ne_u32_e64 s34, 0x80000000, v64
	s_delay_alu instid0(VALU_DEP_1) | instskip(NEXT) | instid1(VALU_DEP_1)
	v_cndmask_b32_e64 v64, 0x7fffffff, v64, s34
	v_lshrrev_b32_e32 v64, s49, v64
	s_delay_alu instid0(VALU_DEP_1)
	v_and_b32_e32 v120, s58, v64
.LBB1320_859:                           ;   in Loop: Header=BB1320_722 Depth=2
	s_or_b32 exec_lo, exec_lo, s42
	v_dual_lshlrev_b32 v64, 3, v162 :: v_dual_lshlrev_b32 v65, 3, v161
	s_wait_loadcnt 0x0
	s_wait_storecnt 0x0
	s_barrier_signal -1
	s_barrier_wait -1
	ds_store_b64 v64, v[62:63] offset:512
	ds_store_b64 v65, v[60:61] offset:512
	v_dual_lshlrev_b32 v64, 3, v157 :: v_dual_lshlrev_b32 v65, 3, v156
	v_dual_lshlrev_b32 v139, 3, v155 :: v_dual_lshlrev_b32 v140, 3, v154
	v_lshlrev_b32_e32 v142, 3, v152
	ds_store_b64 v64, v[58:59] offset:512
	ds_store_b64 v65, v[56:57] offset:512
	ds_store_b64 v139, v[54:55] offset:512
	ds_store_b64 v140, v[52:53] offset:512
	ds_store_b64 v142, v[50:51] offset:512
	v_dual_lshlrev_b32 v64, 3, v151 :: v_dual_lshlrev_b32 v65, 3, v150
	v_dual_lshlrev_b32 v139, 3, v149 :: v_dual_lshlrev_b32 v140, 3, v147
	v_lshlrev_b32_e32 v142, 3, v146
	ds_store_b64 v64, v[48:49] offset:512
	ds_store_b64 v65, v[46:47] offset:512
	ds_store_b64 v139, v[44:45] offset:512
	;; [unrolled: 8-line block ×3, first 2 shown]
	ds_store_b64 v67, v[32:33] offset:512
	ds_store_b64 v139, v[30:31] offset:512
	s_wait_dscnt 0x0
	s_barrier_signal -1
	s_barrier_wait -1
	s_and_saveexec_b32 s34, vcc_lo
	s_cbranch_execnz .LBB1320_928
; %bb.860:                              ;   in Loop: Header=BB1320_722 Depth=2
	s_or_b32 exec_lo, exec_lo, s34
	s_and_saveexec_b32 s34, s17
	s_cbranch_execnz .LBB1320_929
.LBB1320_861:                           ;   in Loop: Header=BB1320_722 Depth=2
	s_or_b32 exec_lo, exec_lo, s34
	s_and_saveexec_b32 s17, s18
	s_cbranch_execnz .LBB1320_930
.LBB1320_862:                           ;   in Loop: Header=BB1320_722 Depth=2
	s_or_b32 exec_lo, exec_lo, s17
	s_and_saveexec_b32 s17, s19
	s_cbranch_execnz .LBB1320_931
.LBB1320_863:                           ;   in Loop: Header=BB1320_722 Depth=2
	s_or_b32 exec_lo, exec_lo, s17
	s_and_saveexec_b32 s17, s20
	s_cbranch_execnz .LBB1320_932
.LBB1320_864:                           ;   in Loop: Header=BB1320_722 Depth=2
	s_or_b32 exec_lo, exec_lo, s17
	s_and_saveexec_b32 s17, s21
	s_cbranch_execnz .LBB1320_933
.LBB1320_865:                           ;   in Loop: Header=BB1320_722 Depth=2
	s_or_b32 exec_lo, exec_lo, s17
	s_and_saveexec_b32 s17, s22
	s_cbranch_execnz .LBB1320_934
.LBB1320_866:                           ;   in Loop: Header=BB1320_722 Depth=2
	s_or_b32 exec_lo, exec_lo, s17
	s_and_saveexec_b32 s17, s23
	s_cbranch_execnz .LBB1320_935
.LBB1320_867:                           ;   in Loop: Header=BB1320_722 Depth=2
	s_or_b32 exec_lo, exec_lo, s17
	s_and_saveexec_b32 s17, s24
	s_cbranch_execnz .LBB1320_936
.LBB1320_868:                           ;   in Loop: Header=BB1320_722 Depth=2
	s_or_b32 exec_lo, exec_lo, s17
	s_and_saveexec_b32 s17, s25
	s_cbranch_execnz .LBB1320_937
.LBB1320_869:                           ;   in Loop: Header=BB1320_722 Depth=2
	s_or_b32 exec_lo, exec_lo, s17
	s_and_saveexec_b32 s17, s26
	s_cbranch_execnz .LBB1320_938
.LBB1320_870:                           ;   in Loop: Header=BB1320_722 Depth=2
	s_or_b32 exec_lo, exec_lo, s17
	s_and_saveexec_b32 s17, s27
	s_cbranch_execnz .LBB1320_939
.LBB1320_871:                           ;   in Loop: Header=BB1320_722 Depth=2
	s_or_b32 exec_lo, exec_lo, s17
	s_and_saveexec_b32 s17, s28
	s_cbranch_execnz .LBB1320_940
.LBB1320_872:                           ;   in Loop: Header=BB1320_722 Depth=2
	s_or_b32 exec_lo, exec_lo, s17
	s_and_saveexec_b32 s17, s29
	s_cbranch_execnz .LBB1320_941
.LBB1320_873:                           ;   in Loop: Header=BB1320_722 Depth=2
	s_or_b32 exec_lo, exec_lo, s17
	s_and_saveexec_b32 s17, s30
	s_cbranch_execnz .LBB1320_942
.LBB1320_874:                           ;   in Loop: Header=BB1320_722 Depth=2
	s_or_b32 exec_lo, exec_lo, s17
	s_and_saveexec_b32 s17, s31
	s_cbranch_execnz .LBB1320_943
.LBB1320_875:                           ;   in Loop: Header=BB1320_722 Depth=2
	s_or_b32 exec_lo, exec_lo, s17
	s_and_saveexec_b32 s17, s33
	s_cbranch_execz .LBB1320_877
.LBB1320_876:                           ;   in Loop: Header=BB1320_722 Depth=2
	v_lshlrev_b32_e32 v64, 2, v120
	v_add_nc_u32_e32 v65, v92, v4
	ds_load_b32 v66, v64
	ds_load_b64 v[64:65], v65 offset:33280
	s_wait_dscnt 0x1
	v_add_nc_u32_e32 v66, v66, v82
	s_wait_dscnt 0x0
	global_store_b64 v66, v[64:65], s[44:45] scale_offset
.LBB1320_877:                           ;   in Loop: Header=BB1320_722 Depth=2
	s_wait_xcnt 0x0
	s_or_b32 exec_lo, exec_lo, s17
	s_wait_storecnt 0x0
	s_barrier_signal -1
	s_barrier_wait -1
	s_and_saveexec_b32 s17, s0
	s_cbranch_execz .LBB1320_721
; %bb.878:                              ;   in Loop: Header=BB1320_722 Depth=2
	ds_load_b32 v64, v4
	s_wait_dscnt 0x0
	v_add3_u32 v64, v133, v138, v64
	ds_store_b32 v4, v64
	s_branch .LBB1320_721
.LBB1320_879:                           ;   in Loop: Header=BB1320_722 Depth=2
	ds_load_b32 v64, v92 offset:512
	s_wait_dscnt 0x0
	v_cmp_ne_u32_e64 s17, 0x80000000, v64
	s_delay_alu instid0(VALU_DEP_1) | instskip(SKIP_1) | instid1(VALU_DEP_1)
	v_cndmask_b32_e64 v65, 0x7fffffff, v64, s17
	v_cmp_gt_i32_e64 s17, 0, v64
	v_cndmask_b32_e64 v140, 0x7fffffff, 0, s17
	s_delay_alu instid0(VALU_DEP_1) | instskip(NEXT) | instid1(VALU_DEP_1)
	v_dual_lshrrev_b32 v65, s49, v65 :: v_dual_bitop2_b32 v64, v140, v64 bitop3:0x14
	v_and_b32_e32 v65, s58, v65
	s_delay_alu instid0(VALU_DEP_1)
	v_lshlrev_b32_e32 v65, 2, v65
	ds_load_b32 v65, v65
	s_wait_dscnt 0x0
	v_add_nc_u32_e32 v65, v65, v2
	global_store_b32 v65, v64, s[38:39] scale_offset
	s_wait_xcnt 0x0
	s_or_b32 exec_lo, exec_lo, s18
	v_cmp_lt_u32_e64 s17, v3, v139
	s_and_saveexec_b32 s19, s17
	s_cbranch_execz .LBB1320_808
.LBB1320_880:                           ;   in Loop: Header=BB1320_722 Depth=2
	ds_load_b32 v64, v92 offset:1536
	s_wait_dscnt 0x0
	v_cmp_ne_u32_e64 s18, 0x80000000, v64
	s_delay_alu instid0(VALU_DEP_1) | instskip(SKIP_1) | instid1(VALU_DEP_1)
	v_cndmask_b32_e64 v65, 0x7fffffff, v64, s18
	v_cmp_gt_i32_e64 s18, 0, v64
	v_cndmask_b32_e64 v140, 0x7fffffff, 0, s18
	s_delay_alu instid0(VALU_DEP_1) | instskip(NEXT) | instid1(VALU_DEP_1)
	v_dual_lshrrev_b32 v65, s49, v65 :: v_dual_bitop2_b32 v64, v140, v64 bitop3:0x14
	v_and_b32_e32 v65, s58, v65
	s_delay_alu instid0(VALU_DEP_1)
	v_lshlrev_b32_e32 v65, 2, v65
	ds_load_b32 v65, v65
	s_wait_dscnt 0x0
	v_add_nc_u32_e32 v65, v65, v3
	global_store_b32 v65, v64, s[38:39] scale_offset
	s_wait_xcnt 0x0
	s_or_b32 exec_lo, exec_lo, s19
	v_cmp_lt_u32_e64 s18, v68, v139
	s_and_saveexec_b32 s20, s18
	s_cbranch_execz .LBB1320_809
.LBB1320_881:                           ;   in Loop: Header=BB1320_722 Depth=2
	ds_load_b32 v64, v92 offset:2560
	s_wait_dscnt 0x0
	v_cmp_ne_u32_e64 s19, 0x80000000, v64
	s_delay_alu instid0(VALU_DEP_1) | instskip(SKIP_1) | instid1(VALU_DEP_1)
	v_cndmask_b32_e64 v65, 0x7fffffff, v64, s19
	v_cmp_gt_i32_e64 s19, 0, v64
	v_cndmask_b32_e64 v140, 0x7fffffff, 0, s19
	s_delay_alu instid0(VALU_DEP_1) | instskip(NEXT) | instid1(VALU_DEP_1)
	v_dual_lshrrev_b32 v65, s49, v65 :: v_dual_bitop2_b32 v64, v140, v64 bitop3:0x14
	v_and_b32_e32 v65, s58, v65
	s_delay_alu instid0(VALU_DEP_1)
	v_lshlrev_b32_e32 v65, 2, v65
	ds_load_b32 v65, v65
	s_wait_dscnt 0x0
	v_add_nc_u32_e32 v65, v65, v68
	global_store_b32 v65, v64, s[38:39] scale_offset
	s_wait_xcnt 0x0
	s_or_b32 exec_lo, exec_lo, s20
	v_cmp_lt_u32_e64 s19, v69, v139
	s_and_saveexec_b32 s21, s19
	s_cbranch_execz .LBB1320_810
.LBB1320_882:                           ;   in Loop: Header=BB1320_722 Depth=2
	ds_load_b32 v64, v92 offset:3584
	s_wait_dscnt 0x0
	v_cmp_ne_u32_e64 s20, 0x80000000, v64
	s_delay_alu instid0(VALU_DEP_1) | instskip(SKIP_1) | instid1(VALU_DEP_1)
	v_cndmask_b32_e64 v65, 0x7fffffff, v64, s20
	v_cmp_gt_i32_e64 s20, 0, v64
	v_cndmask_b32_e64 v140, 0x7fffffff, 0, s20
	s_delay_alu instid0(VALU_DEP_1) | instskip(NEXT) | instid1(VALU_DEP_1)
	v_dual_lshrrev_b32 v65, s49, v65 :: v_dual_bitop2_b32 v64, v140, v64 bitop3:0x14
	v_and_b32_e32 v65, s58, v65
	s_delay_alu instid0(VALU_DEP_1)
	v_lshlrev_b32_e32 v65, 2, v65
	ds_load_b32 v65, v65
	s_wait_dscnt 0x0
	v_add_nc_u32_e32 v65, v65, v69
	global_store_b32 v65, v64, s[38:39] scale_offset
	s_wait_xcnt 0x0
	s_or_b32 exec_lo, exec_lo, s21
	v_cmp_lt_u32_e64 s20, v70, v139
	s_and_saveexec_b32 s22, s20
	s_cbranch_execz .LBB1320_811
.LBB1320_883:                           ;   in Loop: Header=BB1320_722 Depth=2
	ds_load_b32 v64, v92 offset:4608
	s_wait_dscnt 0x0
	v_cmp_ne_u32_e64 s21, 0x80000000, v64
	s_delay_alu instid0(VALU_DEP_1) | instskip(SKIP_1) | instid1(VALU_DEP_1)
	v_cndmask_b32_e64 v65, 0x7fffffff, v64, s21
	v_cmp_gt_i32_e64 s21, 0, v64
	v_cndmask_b32_e64 v140, 0x7fffffff, 0, s21
	s_delay_alu instid0(VALU_DEP_1) | instskip(NEXT) | instid1(VALU_DEP_1)
	v_dual_lshrrev_b32 v65, s49, v65 :: v_dual_bitop2_b32 v64, v140, v64 bitop3:0x14
	v_and_b32_e32 v65, s58, v65
	s_delay_alu instid0(VALU_DEP_1)
	v_lshlrev_b32_e32 v65, 2, v65
	ds_load_b32 v65, v65
	s_wait_dscnt 0x0
	v_add_nc_u32_e32 v65, v65, v70
	global_store_b32 v65, v64, s[38:39] scale_offset
	s_wait_xcnt 0x0
	s_or_b32 exec_lo, exec_lo, s22
	v_cmp_lt_u32_e64 s21, v71, v139
	s_and_saveexec_b32 s23, s21
	s_cbranch_execz .LBB1320_812
.LBB1320_884:                           ;   in Loop: Header=BB1320_722 Depth=2
	ds_load_b32 v64, v92 offset:5632
	s_wait_dscnt 0x0
	v_cmp_ne_u32_e64 s22, 0x80000000, v64
	s_delay_alu instid0(VALU_DEP_1) | instskip(SKIP_1) | instid1(VALU_DEP_1)
	v_cndmask_b32_e64 v65, 0x7fffffff, v64, s22
	v_cmp_gt_i32_e64 s22, 0, v64
	v_cndmask_b32_e64 v140, 0x7fffffff, 0, s22
	s_delay_alu instid0(VALU_DEP_1) | instskip(NEXT) | instid1(VALU_DEP_1)
	v_dual_lshrrev_b32 v65, s49, v65 :: v_dual_bitop2_b32 v64, v140, v64 bitop3:0x14
	v_and_b32_e32 v65, s58, v65
	s_delay_alu instid0(VALU_DEP_1)
	v_lshlrev_b32_e32 v65, 2, v65
	ds_load_b32 v65, v65
	s_wait_dscnt 0x0
	v_add_nc_u32_e32 v65, v65, v71
	global_store_b32 v65, v64, s[38:39] scale_offset
	s_wait_xcnt 0x0
	s_or_b32 exec_lo, exec_lo, s23
	v_cmp_lt_u32_e64 s22, v72, v139
	s_and_saveexec_b32 s24, s22
	s_cbranch_execz .LBB1320_813
.LBB1320_885:                           ;   in Loop: Header=BB1320_722 Depth=2
	ds_load_b32 v64, v92 offset:6656
	s_wait_dscnt 0x0
	v_cmp_ne_u32_e64 s23, 0x80000000, v64
	s_delay_alu instid0(VALU_DEP_1) | instskip(SKIP_1) | instid1(VALU_DEP_1)
	v_cndmask_b32_e64 v65, 0x7fffffff, v64, s23
	v_cmp_gt_i32_e64 s23, 0, v64
	v_cndmask_b32_e64 v140, 0x7fffffff, 0, s23
	s_delay_alu instid0(VALU_DEP_1) | instskip(NEXT) | instid1(VALU_DEP_1)
	v_dual_lshrrev_b32 v65, s49, v65 :: v_dual_bitop2_b32 v64, v140, v64 bitop3:0x14
	v_and_b32_e32 v65, s58, v65
	s_delay_alu instid0(VALU_DEP_1)
	v_lshlrev_b32_e32 v65, 2, v65
	ds_load_b32 v65, v65
	s_wait_dscnt 0x0
	v_add_nc_u32_e32 v65, v65, v72
	global_store_b32 v65, v64, s[38:39] scale_offset
	s_wait_xcnt 0x0
	s_or_b32 exec_lo, exec_lo, s24
	v_cmp_lt_u32_e64 s23, v73, v139
	s_and_saveexec_b32 s25, s23
	s_cbranch_execz .LBB1320_814
.LBB1320_886:                           ;   in Loop: Header=BB1320_722 Depth=2
	ds_load_b32 v64, v92 offset:7680
	s_wait_dscnt 0x0
	v_cmp_ne_u32_e64 s24, 0x80000000, v64
	s_delay_alu instid0(VALU_DEP_1) | instskip(SKIP_1) | instid1(VALU_DEP_1)
	v_cndmask_b32_e64 v65, 0x7fffffff, v64, s24
	v_cmp_gt_i32_e64 s24, 0, v64
	v_cndmask_b32_e64 v140, 0x7fffffff, 0, s24
	s_delay_alu instid0(VALU_DEP_1) | instskip(NEXT) | instid1(VALU_DEP_1)
	v_dual_lshrrev_b32 v65, s49, v65 :: v_dual_bitop2_b32 v64, v140, v64 bitop3:0x14
	v_and_b32_e32 v65, s58, v65
	s_delay_alu instid0(VALU_DEP_1)
	v_lshlrev_b32_e32 v65, 2, v65
	ds_load_b32 v65, v65
	s_wait_dscnt 0x0
	v_add_nc_u32_e32 v65, v65, v73
	global_store_b32 v65, v64, s[38:39] scale_offset
	s_wait_xcnt 0x0
	s_or_b32 exec_lo, exec_lo, s25
	v_cmp_lt_u32_e64 s24, v74, v139
	s_and_saveexec_b32 s26, s24
	s_cbranch_execz .LBB1320_815
.LBB1320_887:                           ;   in Loop: Header=BB1320_722 Depth=2
	ds_load_b32 v64, v92 offset:8704
	s_wait_dscnt 0x0
	v_cmp_ne_u32_e64 s25, 0x80000000, v64
	s_delay_alu instid0(VALU_DEP_1) | instskip(SKIP_1) | instid1(VALU_DEP_1)
	v_cndmask_b32_e64 v65, 0x7fffffff, v64, s25
	v_cmp_gt_i32_e64 s25, 0, v64
	v_cndmask_b32_e64 v140, 0x7fffffff, 0, s25
	s_delay_alu instid0(VALU_DEP_1) | instskip(NEXT) | instid1(VALU_DEP_1)
	v_dual_lshrrev_b32 v65, s49, v65 :: v_dual_bitop2_b32 v64, v140, v64 bitop3:0x14
	v_and_b32_e32 v65, s58, v65
	s_delay_alu instid0(VALU_DEP_1)
	v_lshlrev_b32_e32 v65, 2, v65
	ds_load_b32 v65, v65
	s_wait_dscnt 0x0
	v_add_nc_u32_e32 v65, v65, v74
	global_store_b32 v65, v64, s[38:39] scale_offset
	s_wait_xcnt 0x0
	s_or_b32 exec_lo, exec_lo, s26
	v_cmp_lt_u32_e64 s25, v75, v139
	s_and_saveexec_b32 s27, s25
	s_cbranch_execz .LBB1320_816
.LBB1320_888:                           ;   in Loop: Header=BB1320_722 Depth=2
	ds_load_b32 v64, v92 offset:9728
	s_wait_dscnt 0x0
	v_cmp_ne_u32_e64 s26, 0x80000000, v64
	s_delay_alu instid0(VALU_DEP_1) | instskip(SKIP_1) | instid1(VALU_DEP_1)
	v_cndmask_b32_e64 v65, 0x7fffffff, v64, s26
	v_cmp_gt_i32_e64 s26, 0, v64
	v_cndmask_b32_e64 v140, 0x7fffffff, 0, s26
	s_delay_alu instid0(VALU_DEP_1) | instskip(NEXT) | instid1(VALU_DEP_1)
	v_dual_lshrrev_b32 v65, s49, v65 :: v_dual_bitop2_b32 v64, v140, v64 bitop3:0x14
	v_and_b32_e32 v65, s58, v65
	s_delay_alu instid0(VALU_DEP_1)
	v_lshlrev_b32_e32 v65, 2, v65
	ds_load_b32 v65, v65
	s_wait_dscnt 0x0
	v_add_nc_u32_e32 v65, v65, v75
	global_store_b32 v65, v64, s[38:39] scale_offset
	s_wait_xcnt 0x0
	s_or_b32 exec_lo, exec_lo, s27
	v_cmp_lt_u32_e64 s26, v76, v139
	s_and_saveexec_b32 s28, s26
	s_cbranch_execz .LBB1320_817
.LBB1320_889:                           ;   in Loop: Header=BB1320_722 Depth=2
	ds_load_b32 v64, v92 offset:10752
	s_wait_dscnt 0x0
	v_cmp_ne_u32_e64 s27, 0x80000000, v64
	s_delay_alu instid0(VALU_DEP_1) | instskip(SKIP_1) | instid1(VALU_DEP_1)
	v_cndmask_b32_e64 v65, 0x7fffffff, v64, s27
	v_cmp_gt_i32_e64 s27, 0, v64
	v_cndmask_b32_e64 v140, 0x7fffffff, 0, s27
	s_delay_alu instid0(VALU_DEP_1) | instskip(NEXT) | instid1(VALU_DEP_1)
	v_dual_lshrrev_b32 v65, s49, v65 :: v_dual_bitop2_b32 v64, v140, v64 bitop3:0x14
	v_and_b32_e32 v65, s58, v65
	s_delay_alu instid0(VALU_DEP_1)
	v_lshlrev_b32_e32 v65, 2, v65
	ds_load_b32 v65, v65
	s_wait_dscnt 0x0
	v_add_nc_u32_e32 v65, v65, v76
	global_store_b32 v65, v64, s[38:39] scale_offset
	s_wait_xcnt 0x0
	s_or_b32 exec_lo, exec_lo, s28
	v_cmp_lt_u32_e64 s27, v77, v139
	s_and_saveexec_b32 s29, s27
	s_cbranch_execz .LBB1320_818
.LBB1320_890:                           ;   in Loop: Header=BB1320_722 Depth=2
	ds_load_b32 v64, v92 offset:11776
	s_wait_dscnt 0x0
	v_cmp_ne_u32_e64 s28, 0x80000000, v64
	s_delay_alu instid0(VALU_DEP_1) | instskip(SKIP_1) | instid1(VALU_DEP_1)
	v_cndmask_b32_e64 v65, 0x7fffffff, v64, s28
	v_cmp_gt_i32_e64 s28, 0, v64
	v_cndmask_b32_e64 v140, 0x7fffffff, 0, s28
	s_delay_alu instid0(VALU_DEP_1) | instskip(NEXT) | instid1(VALU_DEP_1)
	v_dual_lshrrev_b32 v65, s49, v65 :: v_dual_bitop2_b32 v64, v140, v64 bitop3:0x14
	v_and_b32_e32 v65, s58, v65
	s_delay_alu instid0(VALU_DEP_1)
	v_lshlrev_b32_e32 v65, 2, v65
	ds_load_b32 v65, v65
	s_wait_dscnt 0x0
	v_add_nc_u32_e32 v65, v65, v77
	global_store_b32 v65, v64, s[38:39] scale_offset
	s_wait_xcnt 0x0
	s_or_b32 exec_lo, exec_lo, s29
	v_cmp_lt_u32_e64 s28, v78, v139
	s_and_saveexec_b32 s30, s28
	s_cbranch_execz .LBB1320_819
.LBB1320_891:                           ;   in Loop: Header=BB1320_722 Depth=2
	ds_load_b32 v64, v92 offset:12800
	s_wait_dscnt 0x0
	v_cmp_ne_u32_e64 s29, 0x80000000, v64
	s_delay_alu instid0(VALU_DEP_1) | instskip(SKIP_1) | instid1(VALU_DEP_1)
	v_cndmask_b32_e64 v65, 0x7fffffff, v64, s29
	v_cmp_gt_i32_e64 s29, 0, v64
	v_cndmask_b32_e64 v140, 0x7fffffff, 0, s29
	s_delay_alu instid0(VALU_DEP_1) | instskip(NEXT) | instid1(VALU_DEP_1)
	v_dual_lshrrev_b32 v65, s49, v65 :: v_dual_bitop2_b32 v64, v140, v64 bitop3:0x14
	v_and_b32_e32 v65, s58, v65
	s_delay_alu instid0(VALU_DEP_1)
	v_lshlrev_b32_e32 v65, 2, v65
	ds_load_b32 v65, v65
	s_wait_dscnt 0x0
	v_add_nc_u32_e32 v65, v65, v78
	global_store_b32 v65, v64, s[38:39] scale_offset
	s_wait_xcnt 0x0
	s_or_b32 exec_lo, exec_lo, s30
	v_cmp_lt_u32_e64 s29, v79, v139
	s_and_saveexec_b32 s31, s29
	s_cbranch_execz .LBB1320_820
.LBB1320_892:                           ;   in Loop: Header=BB1320_722 Depth=2
	ds_load_b32 v64, v92 offset:13824
	s_wait_dscnt 0x0
	v_cmp_ne_u32_e64 s30, 0x80000000, v64
	s_delay_alu instid0(VALU_DEP_1) | instskip(SKIP_1) | instid1(VALU_DEP_1)
	v_cndmask_b32_e64 v65, 0x7fffffff, v64, s30
	v_cmp_gt_i32_e64 s30, 0, v64
	v_cndmask_b32_e64 v140, 0x7fffffff, 0, s30
	s_delay_alu instid0(VALU_DEP_1) | instskip(NEXT) | instid1(VALU_DEP_1)
	v_dual_lshrrev_b32 v65, s49, v65 :: v_dual_bitop2_b32 v64, v140, v64 bitop3:0x14
	v_and_b32_e32 v65, s58, v65
	s_delay_alu instid0(VALU_DEP_1)
	v_lshlrev_b32_e32 v65, 2, v65
	ds_load_b32 v65, v65
	s_wait_dscnt 0x0
	v_add_nc_u32_e32 v65, v65, v79
	global_store_b32 v65, v64, s[38:39] scale_offset
	s_wait_xcnt 0x0
	s_or_b32 exec_lo, exec_lo, s31
	v_cmp_lt_u32_e64 s30, v80, v139
	s_and_saveexec_b32 s33, s30
	s_cbranch_execz .LBB1320_821
.LBB1320_893:                           ;   in Loop: Header=BB1320_722 Depth=2
	ds_load_b32 v64, v92 offset:14848
	s_wait_dscnt 0x0
	v_cmp_ne_u32_e64 s31, 0x80000000, v64
	s_delay_alu instid0(VALU_DEP_1) | instskip(SKIP_1) | instid1(VALU_DEP_1)
	v_cndmask_b32_e64 v65, 0x7fffffff, v64, s31
	v_cmp_gt_i32_e64 s31, 0, v64
	v_cndmask_b32_e64 v140, 0x7fffffff, 0, s31
	s_delay_alu instid0(VALU_DEP_1) | instskip(NEXT) | instid1(VALU_DEP_1)
	v_dual_lshrrev_b32 v65, s49, v65 :: v_dual_bitop2_b32 v64, v140, v64 bitop3:0x14
	v_and_b32_e32 v65, s58, v65
	s_delay_alu instid0(VALU_DEP_1)
	v_lshlrev_b32_e32 v65, 2, v65
	ds_load_b32 v65, v65
	s_wait_dscnt 0x0
	v_add_nc_u32_e32 v65, v65, v80
	global_store_b32 v65, v64, s[38:39] scale_offset
	s_wait_xcnt 0x0
	s_or_b32 exec_lo, exec_lo, s33
	v_cmp_lt_u32_e64 s31, v81, v139
	s_and_saveexec_b32 s34, s31
	s_cbranch_execz .LBB1320_822
.LBB1320_894:                           ;   in Loop: Header=BB1320_722 Depth=2
	ds_load_b32 v64, v92 offset:15872
	s_wait_dscnt 0x0
	v_cmp_ne_u32_e64 s33, 0x80000000, v64
	s_delay_alu instid0(VALU_DEP_1) | instskip(SKIP_1) | instid1(VALU_DEP_1)
	v_cndmask_b32_e64 v65, 0x7fffffff, v64, s33
	v_cmp_gt_i32_e64 s33, 0, v64
	v_cndmask_b32_e64 v140, 0x7fffffff, 0, s33
	s_delay_alu instid0(VALU_DEP_1) | instskip(NEXT) | instid1(VALU_DEP_1)
	v_dual_lshrrev_b32 v65, s49, v65 :: v_dual_bitop2_b32 v64, v140, v64 bitop3:0x14
	v_and_b32_e32 v65, s58, v65
	s_delay_alu instid0(VALU_DEP_1)
	v_lshlrev_b32_e32 v65, 2, v65
	ds_load_b32 v65, v65
	s_wait_dscnt 0x0
	v_add_nc_u32_e32 v65, v65, v81
	global_store_b32 v65, v64, s[38:39] scale_offset
	s_wait_xcnt 0x0
	s_or_b32 exec_lo, exec_lo, s34
	v_cmp_lt_u32_e64 s33, v82, v139
	s_and_saveexec_b32 s61, s33
	s_cbranch_execnz .LBB1320_823
	s_branch .LBB1320_824
.LBB1320_895:                           ;   in Loop: Header=BB1320_722 Depth=2
	global_load_b64 v[62:63], v[64:65], off
	s_wait_xcnt 0x0
	s_or_b32 exec_lo, exec_lo, s34
	s_delay_alu instid0(SALU_CYCLE_1)
	s_mov_b32 s42, exec_lo
	v_cmpx_lt_u32_e64 v104, v139
	s_cbranch_execz .LBB1320_826
.LBB1320_896:                           ;   in Loop: Header=BB1320_722 Depth=2
	global_load_b64 v[60:61], v[64:65], off offset:256
	s_wait_xcnt 0x0
	s_or_b32 exec_lo, exec_lo, s42
	s_delay_alu instid0(SALU_CYCLE_1)
	s_mov_b32 s42, exec_lo
	v_cmpx_lt_u32_e64 v105, v139
	s_cbranch_execz .LBB1320_827
.LBB1320_897:                           ;   in Loop: Header=BB1320_722 Depth=2
	global_load_b64 v[58:59], v[64:65], off offset:512
	s_wait_xcnt 0x0
	s_or_b32 exec_lo, exec_lo, s42
	s_delay_alu instid0(SALU_CYCLE_1)
	s_mov_b32 s42, exec_lo
	v_cmpx_lt_u32_e64 v106, v139
	s_cbranch_execz .LBB1320_828
.LBB1320_898:                           ;   in Loop: Header=BB1320_722 Depth=2
	global_load_b64 v[56:57], v[64:65], off offset:768
	s_wait_xcnt 0x0
	s_or_b32 exec_lo, exec_lo, s42
	s_delay_alu instid0(SALU_CYCLE_1)
	s_mov_b32 s42, exec_lo
	v_cmpx_lt_u32_e64 v107, v139
	s_cbranch_execz .LBB1320_829
.LBB1320_899:                           ;   in Loop: Header=BB1320_722 Depth=2
	global_load_b64 v[54:55], v[64:65], off offset:1024
	s_wait_xcnt 0x0
	s_or_b32 exec_lo, exec_lo, s42
	s_delay_alu instid0(SALU_CYCLE_1)
	s_mov_b32 s42, exec_lo
	v_cmpx_lt_u32_e64 v108, v139
	s_cbranch_execz .LBB1320_830
.LBB1320_900:                           ;   in Loop: Header=BB1320_722 Depth=2
	global_load_b64 v[52:53], v[64:65], off offset:1280
	s_wait_xcnt 0x0
	s_or_b32 exec_lo, exec_lo, s42
	s_delay_alu instid0(SALU_CYCLE_1)
	s_mov_b32 s42, exec_lo
	v_cmpx_lt_u32_e64 v109, v139
	s_cbranch_execz .LBB1320_831
.LBB1320_901:                           ;   in Loop: Header=BB1320_722 Depth=2
	global_load_b64 v[50:51], v[64:65], off offset:1536
	s_wait_xcnt 0x0
	s_or_b32 exec_lo, exec_lo, s42
	s_delay_alu instid0(SALU_CYCLE_1)
	s_mov_b32 s42, exec_lo
	v_cmpx_lt_u32_e64 v110, v139
	s_cbranch_execz .LBB1320_832
.LBB1320_902:                           ;   in Loop: Header=BB1320_722 Depth=2
	global_load_b64 v[48:49], v[64:65], off offset:1792
	s_wait_xcnt 0x0
	s_or_b32 exec_lo, exec_lo, s42
	s_delay_alu instid0(SALU_CYCLE_1)
	s_mov_b32 s42, exec_lo
	v_cmpx_lt_u32_e64 v111, v139
	s_cbranch_execz .LBB1320_833
.LBB1320_903:                           ;   in Loop: Header=BB1320_722 Depth=2
	global_load_b64 v[46:47], v[64:65], off offset:2048
	s_wait_xcnt 0x0
	s_or_b32 exec_lo, exec_lo, s42
	s_delay_alu instid0(SALU_CYCLE_1)
	s_mov_b32 s42, exec_lo
	v_cmpx_lt_u32_e64 v112, v139
	s_cbranch_execz .LBB1320_834
.LBB1320_904:                           ;   in Loop: Header=BB1320_722 Depth=2
	global_load_b64 v[44:45], v[64:65], off offset:2304
	s_wait_xcnt 0x0
	s_or_b32 exec_lo, exec_lo, s42
	s_delay_alu instid0(SALU_CYCLE_1)
	s_mov_b32 s42, exec_lo
	v_cmpx_lt_u32_e64 v113, v139
	s_cbranch_execz .LBB1320_835
.LBB1320_905:                           ;   in Loop: Header=BB1320_722 Depth=2
	global_load_b64 v[42:43], v[64:65], off offset:2560
	s_wait_xcnt 0x0
	s_or_b32 exec_lo, exec_lo, s42
	s_delay_alu instid0(SALU_CYCLE_1)
	s_mov_b32 s42, exec_lo
	v_cmpx_lt_u32_e64 v114, v139
	s_cbranch_execz .LBB1320_836
.LBB1320_906:                           ;   in Loop: Header=BB1320_722 Depth=2
	global_load_b64 v[40:41], v[64:65], off offset:2816
	s_wait_xcnt 0x0
	s_or_b32 exec_lo, exec_lo, s42
	s_delay_alu instid0(SALU_CYCLE_1)
	s_mov_b32 s42, exec_lo
	v_cmpx_lt_u32_e64 v115, v139
	s_cbranch_execz .LBB1320_837
.LBB1320_907:                           ;   in Loop: Header=BB1320_722 Depth=2
	global_load_b64 v[38:39], v[64:65], off offset:3072
	s_wait_xcnt 0x0
	s_or_b32 exec_lo, exec_lo, s42
	s_delay_alu instid0(SALU_CYCLE_1)
	s_mov_b32 s42, exec_lo
	v_cmpx_lt_u32_e64 v116, v139
	s_cbranch_execz .LBB1320_838
.LBB1320_908:                           ;   in Loop: Header=BB1320_722 Depth=2
	global_load_b64 v[36:37], v[64:65], off offset:3328
	s_wait_xcnt 0x0
	s_or_b32 exec_lo, exec_lo, s42
	s_delay_alu instid0(SALU_CYCLE_1)
	s_mov_b32 s42, exec_lo
	v_cmpx_lt_u32_e64 v117, v139
	s_cbranch_execz .LBB1320_839
.LBB1320_909:                           ;   in Loop: Header=BB1320_722 Depth=2
	global_load_b64 v[34:35], v[64:65], off offset:3584
	s_wait_xcnt 0x0
	s_or_b32 exec_lo, exec_lo, s42
	s_delay_alu instid0(SALU_CYCLE_1)
	s_mov_b32 s42, exec_lo
	v_cmpx_lt_u32_e64 v118, v139
	s_cbranch_execz .LBB1320_840
.LBB1320_910:                           ;   in Loop: Header=BB1320_722 Depth=2
	global_load_b64 v[32:33], v[64:65], off offset:3840
	s_wait_xcnt 0x0
	s_or_b32 exec_lo, exec_lo, s42
	s_delay_alu instid0(SALU_CYCLE_1)
	s_mov_b32 s42, exec_lo
	v_cmpx_lt_u32_e64 v5, v139
	s_cbranch_execz .LBB1320_841
.LBB1320_911:                           ;   in Loop: Header=BB1320_722 Depth=2
	global_load_b64 v[30:31], v[64:65], off offset:4096
	s_wait_xcnt 0x0
	s_or_b32 exec_lo, exec_lo, s42
	s_and_saveexec_b32 s42, vcc_lo
	s_cbranch_execz .LBB1320_842
.LBB1320_912:                           ;   in Loop: Header=BB1320_722 Depth=2
	ds_load_b32 v64, v92 offset:512
	s_wait_dscnt 0x0
	v_cmp_ne_u32_e64 s34, 0x80000000, v64
	s_delay_alu instid0(VALU_DEP_1) | instskip(NEXT) | instid1(VALU_DEP_1)
	v_cndmask_b32_e64 v64, 0x7fffffff, v64, s34
	v_lshrrev_b32_e32 v64, s49, v64
	s_delay_alu instid0(VALU_DEP_1)
	v_and_b32_e32 v137, s58, v64
	s_or_b32 exec_lo, exec_lo, s42
	s_and_saveexec_b32 s42, s17
	s_cbranch_execz .LBB1320_843
.LBB1320_913:                           ;   in Loop: Header=BB1320_722 Depth=2
	ds_load_b32 v64, v92 offset:1536
	s_wait_dscnt 0x0
	v_cmp_ne_u32_e64 s34, 0x80000000, v64
	s_delay_alu instid0(VALU_DEP_1) | instskip(NEXT) | instid1(VALU_DEP_1)
	v_cndmask_b32_e64 v64, 0x7fffffff, v64, s34
	v_lshrrev_b32_e32 v64, s49, v64
	s_delay_alu instid0(VALU_DEP_1)
	v_and_b32_e32 v136, s58, v64
	s_or_b32 exec_lo, exec_lo, s42
	s_and_saveexec_b32 s42, s18
	s_cbranch_execz .LBB1320_844
.LBB1320_914:                           ;   in Loop: Header=BB1320_722 Depth=2
	ds_load_b32 v64, v92 offset:2560
	s_wait_dscnt 0x0
	v_cmp_ne_u32_e64 s34, 0x80000000, v64
	s_delay_alu instid0(VALU_DEP_1) | instskip(NEXT) | instid1(VALU_DEP_1)
	v_cndmask_b32_e64 v64, 0x7fffffff, v64, s34
	v_lshrrev_b32_e32 v64, s49, v64
	s_delay_alu instid0(VALU_DEP_1)
	v_and_b32_e32 v135, s58, v64
	s_or_b32 exec_lo, exec_lo, s42
	s_and_saveexec_b32 s42, s19
	s_cbranch_execz .LBB1320_845
.LBB1320_915:                           ;   in Loop: Header=BB1320_722 Depth=2
	ds_load_b32 v64, v92 offset:3584
	s_wait_dscnt 0x0
	v_cmp_ne_u32_e64 s34, 0x80000000, v64
	s_delay_alu instid0(VALU_DEP_1) | instskip(NEXT) | instid1(VALU_DEP_1)
	v_cndmask_b32_e64 v64, 0x7fffffff, v64, s34
	v_lshrrev_b32_e32 v64, s49, v64
	s_delay_alu instid0(VALU_DEP_1)
	v_and_b32_e32 v134, s58, v64
	s_or_b32 exec_lo, exec_lo, s42
	s_and_saveexec_b32 s42, s20
	s_cbranch_execz .LBB1320_846
.LBB1320_916:                           ;   in Loop: Header=BB1320_722 Depth=2
	ds_load_b32 v64, v92 offset:4608
	s_wait_dscnt 0x0
	v_cmp_ne_u32_e64 s34, 0x80000000, v64
	s_delay_alu instid0(VALU_DEP_1) | instskip(NEXT) | instid1(VALU_DEP_1)
	v_cndmask_b32_e64 v64, 0x7fffffff, v64, s34
	v_lshrrev_b32_e32 v64, s49, v64
	s_delay_alu instid0(VALU_DEP_1)
	v_and_b32_e32 v132, s58, v64
	s_or_b32 exec_lo, exec_lo, s42
	s_and_saveexec_b32 s42, s21
	s_cbranch_execz .LBB1320_847
.LBB1320_917:                           ;   in Loop: Header=BB1320_722 Depth=2
	ds_load_b32 v64, v92 offset:5632
	s_wait_dscnt 0x0
	v_cmp_ne_u32_e64 s34, 0x80000000, v64
	s_delay_alu instid0(VALU_DEP_1) | instskip(NEXT) | instid1(VALU_DEP_1)
	v_cndmask_b32_e64 v64, 0x7fffffff, v64, s34
	v_lshrrev_b32_e32 v64, s49, v64
	s_delay_alu instid0(VALU_DEP_1)
	v_and_b32_e32 v131, s58, v64
	s_or_b32 exec_lo, exec_lo, s42
	s_and_saveexec_b32 s42, s22
	s_cbranch_execz .LBB1320_848
.LBB1320_918:                           ;   in Loop: Header=BB1320_722 Depth=2
	ds_load_b32 v64, v92 offset:6656
	s_wait_dscnt 0x0
	v_cmp_ne_u32_e64 s34, 0x80000000, v64
	s_delay_alu instid0(VALU_DEP_1) | instskip(NEXT) | instid1(VALU_DEP_1)
	v_cndmask_b32_e64 v64, 0x7fffffff, v64, s34
	v_lshrrev_b32_e32 v64, s49, v64
	s_delay_alu instid0(VALU_DEP_1)
	v_and_b32_e32 v130, s58, v64
	s_or_b32 exec_lo, exec_lo, s42
	s_and_saveexec_b32 s42, s23
	s_cbranch_execz .LBB1320_849
.LBB1320_919:                           ;   in Loop: Header=BB1320_722 Depth=2
	ds_load_b32 v64, v92 offset:7680
	s_wait_dscnt 0x0
	v_cmp_ne_u32_e64 s34, 0x80000000, v64
	s_delay_alu instid0(VALU_DEP_1) | instskip(NEXT) | instid1(VALU_DEP_1)
	v_cndmask_b32_e64 v64, 0x7fffffff, v64, s34
	v_lshrrev_b32_e32 v64, s49, v64
	s_delay_alu instid0(VALU_DEP_1)
	v_and_b32_e32 v129, s58, v64
	s_or_b32 exec_lo, exec_lo, s42
	s_and_saveexec_b32 s42, s24
	s_cbranch_execz .LBB1320_850
.LBB1320_920:                           ;   in Loop: Header=BB1320_722 Depth=2
	ds_load_b32 v64, v92 offset:8704
	s_wait_dscnt 0x0
	v_cmp_ne_u32_e64 s34, 0x80000000, v64
	s_delay_alu instid0(VALU_DEP_1) | instskip(NEXT) | instid1(VALU_DEP_1)
	v_cndmask_b32_e64 v64, 0x7fffffff, v64, s34
	v_lshrrev_b32_e32 v64, s49, v64
	s_delay_alu instid0(VALU_DEP_1)
	v_and_b32_e32 v128, s58, v64
	s_or_b32 exec_lo, exec_lo, s42
	s_and_saveexec_b32 s42, s25
	s_cbranch_execz .LBB1320_851
.LBB1320_921:                           ;   in Loop: Header=BB1320_722 Depth=2
	ds_load_b32 v64, v92 offset:9728
	s_wait_dscnt 0x0
	v_cmp_ne_u32_e64 s34, 0x80000000, v64
	s_delay_alu instid0(VALU_DEP_1) | instskip(NEXT) | instid1(VALU_DEP_1)
	v_cndmask_b32_e64 v64, 0x7fffffff, v64, s34
	v_lshrrev_b32_e32 v64, s49, v64
	s_delay_alu instid0(VALU_DEP_1)
	v_and_b32_e32 v127, s58, v64
	s_or_b32 exec_lo, exec_lo, s42
	s_and_saveexec_b32 s42, s26
	s_cbranch_execz .LBB1320_852
.LBB1320_922:                           ;   in Loop: Header=BB1320_722 Depth=2
	ds_load_b32 v64, v92 offset:10752
	s_wait_dscnt 0x0
	v_cmp_ne_u32_e64 s34, 0x80000000, v64
	s_delay_alu instid0(VALU_DEP_1) | instskip(NEXT) | instid1(VALU_DEP_1)
	v_cndmask_b32_e64 v64, 0x7fffffff, v64, s34
	v_lshrrev_b32_e32 v64, s49, v64
	s_delay_alu instid0(VALU_DEP_1)
	v_and_b32_e32 v126, s58, v64
	s_or_b32 exec_lo, exec_lo, s42
	s_and_saveexec_b32 s42, s27
	s_cbranch_execz .LBB1320_853
.LBB1320_923:                           ;   in Loop: Header=BB1320_722 Depth=2
	ds_load_b32 v64, v92 offset:11776
	s_wait_dscnt 0x0
	v_cmp_ne_u32_e64 s34, 0x80000000, v64
	s_delay_alu instid0(VALU_DEP_1) | instskip(NEXT) | instid1(VALU_DEP_1)
	v_cndmask_b32_e64 v64, 0x7fffffff, v64, s34
	v_lshrrev_b32_e32 v64, s49, v64
	s_delay_alu instid0(VALU_DEP_1)
	v_and_b32_e32 v125, s58, v64
	s_or_b32 exec_lo, exec_lo, s42
	s_and_saveexec_b32 s42, s28
	s_cbranch_execz .LBB1320_854
.LBB1320_924:                           ;   in Loop: Header=BB1320_722 Depth=2
	ds_load_b32 v64, v92 offset:12800
	s_wait_dscnt 0x0
	v_cmp_ne_u32_e64 s34, 0x80000000, v64
	s_delay_alu instid0(VALU_DEP_1) | instskip(NEXT) | instid1(VALU_DEP_1)
	v_cndmask_b32_e64 v64, 0x7fffffff, v64, s34
	v_lshrrev_b32_e32 v64, s49, v64
	s_delay_alu instid0(VALU_DEP_1)
	v_and_b32_e32 v124, s58, v64
	s_or_b32 exec_lo, exec_lo, s42
	s_and_saveexec_b32 s42, s29
	s_cbranch_execz .LBB1320_855
.LBB1320_925:                           ;   in Loop: Header=BB1320_722 Depth=2
	ds_load_b32 v64, v92 offset:13824
	s_wait_dscnt 0x0
	v_cmp_ne_u32_e64 s34, 0x80000000, v64
	s_delay_alu instid0(VALU_DEP_1) | instskip(NEXT) | instid1(VALU_DEP_1)
	v_cndmask_b32_e64 v64, 0x7fffffff, v64, s34
	v_lshrrev_b32_e32 v64, s49, v64
	s_delay_alu instid0(VALU_DEP_1)
	v_and_b32_e32 v123, s58, v64
	s_or_b32 exec_lo, exec_lo, s42
	s_and_saveexec_b32 s42, s30
	s_cbranch_execz .LBB1320_856
.LBB1320_926:                           ;   in Loop: Header=BB1320_722 Depth=2
	ds_load_b32 v64, v92 offset:14848
	s_wait_dscnt 0x0
	v_cmp_ne_u32_e64 s34, 0x80000000, v64
	s_delay_alu instid0(VALU_DEP_1) | instskip(NEXT) | instid1(VALU_DEP_1)
	v_cndmask_b32_e64 v64, 0x7fffffff, v64, s34
	v_lshrrev_b32_e32 v64, s49, v64
	s_delay_alu instid0(VALU_DEP_1)
	v_and_b32_e32 v122, s58, v64
	s_or_b32 exec_lo, exec_lo, s42
	s_and_saveexec_b32 s42, s31
	s_cbranch_execz .LBB1320_857
.LBB1320_927:                           ;   in Loop: Header=BB1320_722 Depth=2
	ds_load_b32 v64, v92 offset:15872
	s_wait_dscnt 0x0
	v_cmp_ne_u32_e64 s34, 0x80000000, v64
	s_delay_alu instid0(VALU_DEP_1) | instskip(NEXT) | instid1(VALU_DEP_1)
	v_cndmask_b32_e64 v64, 0x7fffffff, v64, s34
	v_lshrrev_b32_e32 v64, s49, v64
	s_delay_alu instid0(VALU_DEP_1)
	v_and_b32_e32 v121, s58, v64
	s_or_b32 exec_lo, exec_lo, s42
	s_and_saveexec_b32 s42, s33
	s_cbranch_execnz .LBB1320_858
	s_branch .LBB1320_859
.LBB1320_928:                           ;   in Loop: Header=BB1320_722 Depth=2
	v_dual_lshlrev_b32 v64, 2, v137 :: v_dual_add_nc_u32 v65, v92, v4
	ds_load_b32 v66, v64
	ds_load_b64 v[64:65], v65 offset:512
	s_wait_dscnt 0x1
	v_add_nc_u32_e32 v66, v66, v2
	s_wait_dscnt 0x0
	global_store_b64 v66, v[64:65], s[44:45] scale_offset
	s_wait_xcnt 0x0
	s_or_b32 exec_lo, exec_lo, s34
	s_and_saveexec_b32 s34, s17
	s_cbranch_execz .LBB1320_861
.LBB1320_929:                           ;   in Loop: Header=BB1320_722 Depth=2
	v_lshlrev_b32_e32 v64, 2, v136
	v_add_nc_u32_e32 v65, v92, v4
	ds_load_b32 v66, v64
	ds_load_b64 v[64:65], v65 offset:2560
	s_wait_dscnt 0x1
	v_add_nc_u32_e32 v66, v66, v3
	s_wait_dscnt 0x0
	global_store_b64 v66, v[64:65], s[44:45] scale_offset
	s_wait_xcnt 0x0
	s_or_b32 exec_lo, exec_lo, s34
	s_and_saveexec_b32 s17, s18
	s_cbranch_execz .LBB1320_862
.LBB1320_930:                           ;   in Loop: Header=BB1320_722 Depth=2
	v_dual_lshlrev_b32 v64, 2, v135 :: v_dual_add_nc_u32 v65, v92, v4
	ds_load_b32 v66, v64
	ds_load_b64 v[64:65], v65 offset:4608
	s_wait_dscnt 0x1
	v_add_nc_u32_e32 v66, v66, v68
	s_wait_dscnt 0x0
	global_store_b64 v66, v[64:65], s[44:45] scale_offset
	s_wait_xcnt 0x0
	s_or_b32 exec_lo, exec_lo, s17
	s_and_saveexec_b32 s17, s19
	s_cbranch_execz .LBB1320_863
.LBB1320_931:                           ;   in Loop: Header=BB1320_722 Depth=2
	v_dual_lshlrev_b32 v64, 2, v134 :: v_dual_add_nc_u32 v65, v92, v4
	ds_load_b32 v66, v64
	ds_load_b64 v[64:65], v65 offset:6656
	s_wait_dscnt 0x1
	v_add_nc_u32_e32 v66, v66, v69
	s_wait_dscnt 0x0
	global_store_b64 v66, v[64:65], s[44:45] scale_offset
	s_wait_xcnt 0x0
	s_or_b32 exec_lo, exec_lo, s17
	s_and_saveexec_b32 s17, s20
	s_cbranch_execz .LBB1320_864
.LBB1320_932:                           ;   in Loop: Header=BB1320_722 Depth=2
	v_lshlrev_b32_e32 v64, 2, v132
	v_add_nc_u32_e32 v65, v92, v4
	ds_load_b32 v66, v64
	ds_load_b64 v[64:65], v65 offset:8704
	s_wait_dscnt 0x1
	v_add_nc_u32_e32 v66, v66, v70
	s_wait_dscnt 0x0
	global_store_b64 v66, v[64:65], s[44:45] scale_offset
	s_wait_xcnt 0x0
	s_or_b32 exec_lo, exec_lo, s17
	s_and_saveexec_b32 s17, s21
	s_cbranch_execz .LBB1320_865
.LBB1320_933:                           ;   in Loop: Header=BB1320_722 Depth=2
	v_dual_lshlrev_b32 v64, 2, v131 :: v_dual_add_nc_u32 v65, v92, v4
	ds_load_b32 v66, v64
	ds_load_b64 v[64:65], v65 offset:10752
	s_wait_dscnt 0x1
	v_add_nc_u32_e32 v66, v66, v71
	s_wait_dscnt 0x0
	global_store_b64 v66, v[64:65], s[44:45] scale_offset
	s_wait_xcnt 0x0
	s_or_b32 exec_lo, exec_lo, s17
	s_and_saveexec_b32 s17, s22
	s_cbranch_execz .LBB1320_866
.LBB1320_934:                           ;   in Loop: Header=BB1320_722 Depth=2
	v_dual_lshlrev_b32 v64, 2, v130 :: v_dual_add_nc_u32 v65, v92, v4
	ds_load_b32 v66, v64
	ds_load_b64 v[64:65], v65 offset:12800
	s_wait_dscnt 0x1
	v_add_nc_u32_e32 v66, v66, v72
	s_wait_dscnt 0x0
	global_store_b64 v66, v[64:65], s[44:45] scale_offset
	s_wait_xcnt 0x0
	s_or_b32 exec_lo, exec_lo, s17
	s_and_saveexec_b32 s17, s23
	s_cbranch_execz .LBB1320_867
.LBB1320_935:                           ;   in Loop: Header=BB1320_722 Depth=2
	v_dual_lshlrev_b32 v64, 2, v129 :: v_dual_add_nc_u32 v65, v92, v4
	ds_load_b32 v66, v64
	ds_load_b64 v[64:65], v65 offset:14848
	s_wait_dscnt 0x1
	v_add_nc_u32_e32 v66, v66, v73
	s_wait_dscnt 0x0
	global_store_b64 v66, v[64:65], s[44:45] scale_offset
	s_wait_xcnt 0x0
	s_or_b32 exec_lo, exec_lo, s17
	s_and_saveexec_b32 s17, s24
	s_cbranch_execz .LBB1320_868
.LBB1320_936:                           ;   in Loop: Header=BB1320_722 Depth=2
	v_lshlrev_b32_e32 v64, 2, v128
	v_add_nc_u32_e32 v65, v92, v4
	ds_load_b32 v66, v64
	ds_load_b64 v[64:65], v65 offset:16896
	s_wait_dscnt 0x1
	v_add_nc_u32_e32 v66, v66, v74
	s_wait_dscnt 0x0
	global_store_b64 v66, v[64:65], s[44:45] scale_offset
	s_wait_xcnt 0x0
	s_or_b32 exec_lo, exec_lo, s17
	s_and_saveexec_b32 s17, s25
	s_cbranch_execz .LBB1320_869
.LBB1320_937:                           ;   in Loop: Header=BB1320_722 Depth=2
	v_dual_lshlrev_b32 v64, 2, v127 :: v_dual_add_nc_u32 v65, v92, v4
	ds_load_b32 v66, v64
	ds_load_b64 v[64:65], v65 offset:18944
	s_wait_dscnt 0x1
	v_add_nc_u32_e32 v66, v66, v75
	s_wait_dscnt 0x0
	global_store_b64 v66, v[64:65], s[44:45] scale_offset
	s_wait_xcnt 0x0
	s_or_b32 exec_lo, exec_lo, s17
	s_and_saveexec_b32 s17, s26
	s_cbranch_execz .LBB1320_870
.LBB1320_938:                           ;   in Loop: Header=BB1320_722 Depth=2
	v_dual_lshlrev_b32 v64, 2, v126 :: v_dual_add_nc_u32 v65, v92, v4
	ds_load_b32 v66, v64
	ds_load_b64 v[64:65], v65 offset:20992
	s_wait_dscnt 0x1
	v_add_nc_u32_e32 v66, v66, v76
	s_wait_dscnt 0x0
	global_store_b64 v66, v[64:65], s[44:45] scale_offset
	s_wait_xcnt 0x0
	s_or_b32 exec_lo, exec_lo, s17
	s_and_saveexec_b32 s17, s27
	s_cbranch_execz .LBB1320_871
.LBB1320_939:                           ;   in Loop: Header=BB1320_722 Depth=2
	v_dual_lshlrev_b32 v64, 2, v125 :: v_dual_add_nc_u32 v65, v92, v4
	ds_load_b32 v66, v64
	ds_load_b64 v[64:65], v65 offset:23040
	s_wait_dscnt 0x1
	v_add_nc_u32_e32 v66, v66, v77
	s_wait_dscnt 0x0
	global_store_b64 v66, v[64:65], s[44:45] scale_offset
	s_wait_xcnt 0x0
	s_or_b32 exec_lo, exec_lo, s17
	s_and_saveexec_b32 s17, s28
	s_cbranch_execz .LBB1320_872
.LBB1320_940:                           ;   in Loop: Header=BB1320_722 Depth=2
	v_lshlrev_b32_e32 v64, 2, v124
	v_add_nc_u32_e32 v65, v92, v4
	ds_load_b32 v66, v64
	ds_load_b64 v[64:65], v65 offset:25088
	s_wait_dscnt 0x1
	v_add_nc_u32_e32 v66, v66, v78
	s_wait_dscnt 0x0
	global_store_b64 v66, v[64:65], s[44:45] scale_offset
	s_wait_xcnt 0x0
	s_or_b32 exec_lo, exec_lo, s17
	s_and_saveexec_b32 s17, s29
	s_cbranch_execz .LBB1320_873
.LBB1320_941:                           ;   in Loop: Header=BB1320_722 Depth=2
	v_dual_lshlrev_b32 v64, 2, v123 :: v_dual_add_nc_u32 v65, v92, v4
	ds_load_b32 v66, v64
	ds_load_b64 v[64:65], v65 offset:27136
	s_wait_dscnt 0x1
	v_add_nc_u32_e32 v66, v66, v79
	s_wait_dscnt 0x0
	global_store_b64 v66, v[64:65], s[44:45] scale_offset
	s_wait_xcnt 0x0
	s_or_b32 exec_lo, exec_lo, s17
	s_and_saveexec_b32 s17, s30
	s_cbranch_execz .LBB1320_874
.LBB1320_942:                           ;   in Loop: Header=BB1320_722 Depth=2
	v_dual_lshlrev_b32 v64, 2, v122 :: v_dual_add_nc_u32 v65, v92, v4
	ds_load_b32 v66, v64
	ds_load_b64 v[64:65], v65 offset:29184
	s_wait_dscnt 0x1
	v_add_nc_u32_e32 v66, v66, v80
	s_wait_dscnt 0x0
	global_store_b64 v66, v[64:65], s[44:45] scale_offset
	s_wait_xcnt 0x0
	s_or_b32 exec_lo, exec_lo, s17
	s_and_saveexec_b32 s17, s31
	s_cbranch_execz .LBB1320_875
.LBB1320_943:                           ;   in Loop: Header=BB1320_722 Depth=2
	v_dual_lshlrev_b32 v64, 2, v121 :: v_dual_add_nc_u32 v65, v92, v4
	ds_load_b32 v66, v64
	ds_load_b64 v[64:65], v65 offset:31232
	s_wait_dscnt 0x1
	v_add_nc_u32_e32 v66, v66, v81
	s_wait_dscnt 0x0
	global_store_b64 v66, v[64:65], s[44:45] scale_offset
	s_wait_xcnt 0x0
	s_or_b32 exec_lo, exec_lo, s17
	s_and_saveexec_b32 s17, s33
	s_cbranch_execnz .LBB1320_876
	s_branch .LBB1320_877
.LBB1320_944:                           ;   in Loop: Header=BB1320_12 Depth=1
	s_wait_dscnt 0x0
	s_barrier_signal -1
	s_mov_b32 s9, 0
	s_barrier_wait -1
.LBB1320_945:                           ;   in Loop: Header=BB1320_12 Depth=1
	s_and_b32 vcc_lo, exec_lo, s9
	s_cbranch_vccz .LBB1320_11
; %bb.946:                              ;   in Loop: Header=BB1320_12 Depth=1
	s_mov_b32 s9, s57
	s_mov_b32 s42, s55
	s_barrier_signal -1
	s_barrier_wait -1
                                        ; implicit-def: $vgpr25
                                        ; implicit-def: $vgpr26
                                        ; implicit-def: $vgpr27
                                        ; implicit-def: $vgpr28
                                        ; implicit-def: $vgpr29
                                        ; implicit-def: $vgpr30
                                        ; implicit-def: $vgpr31
                                        ; implicit-def: $vgpr32
                                        ; implicit-def: $vgpr33
                                        ; implicit-def: $vgpr34
                                        ; implicit-def: $vgpr35
                                        ; implicit-def: $vgpr36
                                        ; implicit-def: $vgpr37
                                        ; implicit-def: $vgpr38
                                        ; implicit-def: $vgpr39
                                        ; implicit-def: $vgpr40
                                        ; implicit-def: $vgpr41
	s_branch .LBB1320_948
.LBB1320_947:                           ;   in Loop: Header=BB1320_948 Depth=2
	s_or_b32 exec_lo, exec_lo, s10
	s_addk_co_i32 s9, 0xef00
	s_cmp_ge_u32 s12, s54
	s_mov_b32 s42, s12
	s_cbranch_scc1 .LBB1320_1020
.LBB1320_948:                           ;   Parent Loop BB1320_12 Depth=1
                                        ; =>  This Inner Loop Header: Depth=2
	s_add_co_i32 s12, s42, 0x1100
	s_mov_b32 s10, -1
	s_cmp_gt_u32 s12, s54
                                        ; implicit-def: $vgpr42
                                        ; implicit-def: $vgpr43
                                        ; implicit-def: $vgpr44
                                        ; implicit-def: $vgpr45
                                        ; implicit-def: $vgpr46
                                        ; implicit-def: $vgpr47
                                        ; implicit-def: $vgpr48
                                        ; implicit-def: $vgpr49
                                        ; implicit-def: $vgpr50
                                        ; implicit-def: $vgpr51
                                        ; implicit-def: $vgpr52
                                        ; implicit-def: $vgpr53
                                        ; implicit-def: $vgpr54
                                        ; implicit-def: $vgpr55
                                        ; implicit-def: $vgpr56
                                        ; implicit-def: $vgpr57
                                        ; implicit-def: $vgpr58
	s_cbranch_scc1 .LBB1320_950
; %bb.949:                              ;   in Loop: Header=BB1320_948 Depth=2
	v_lshl_add_u64 v[60:61], s[42:43], 2, v[22:23]
	s_mov_b32 s10, 0
	s_clause 0x10
	global_load_b32 v42, v[60:61], off
	global_load_b32 v43, v[60:61], off offset:1024
	global_load_b32 v44, v[60:61], off offset:2048
	;; [unrolled: 1-line block ×16, first 2 shown]
.LBB1320_950:                           ;   in Loop: Header=BB1320_948 Depth=2
	s_and_not1_b32 vcc_lo, exec_lo, s10
	s_movk_i32 s10, 0x1100
	s_cbranch_vccnz .LBB1320_970
; %bb.951:                              ;   in Loop: Header=BB1320_948 Depth=2
	s_lshl_b64 s[10:11], s[42:43], 2
	s_mov_b32 s13, exec_lo
	s_add_nc_u64 s[10:11], s[36:37], s[10:11]
	s_wait_xcnt 0x0
	v_cmpx_gt_u32_e64 s9, v2
	s_cbranch_execnz .LBB1320_1004
; %bb.952:                              ;   in Loop: Header=BB1320_948 Depth=2
	s_or_b32 exec_lo, exec_lo, s13
	s_delay_alu instid0(SALU_CYCLE_1)
	s_mov_b32 s13, exec_lo
	v_cmpx_gt_u32_e64 s9, v3
	s_cbranch_execnz .LBB1320_1005
.LBB1320_953:                           ;   in Loop: Header=BB1320_948 Depth=2
	s_or_b32 exec_lo, exec_lo, s13
	s_delay_alu instid0(SALU_CYCLE_1)
	s_mov_b32 s13, exec_lo
	v_cmpx_gt_u32_e64 s9, v68
	s_cbranch_execnz .LBB1320_1006
.LBB1320_954:                           ;   in Loop: Header=BB1320_948 Depth=2
	s_or_b32 exec_lo, exec_lo, s13
	s_delay_alu instid0(SALU_CYCLE_1)
	s_mov_b32 s13, exec_lo
	v_cmpx_gt_u32_e64 s9, v69
	s_cbranch_execnz .LBB1320_1007
.LBB1320_955:                           ;   in Loop: Header=BB1320_948 Depth=2
	s_or_b32 exec_lo, exec_lo, s13
	s_delay_alu instid0(SALU_CYCLE_1)
	s_mov_b32 s13, exec_lo
	v_cmpx_gt_u32_e64 s9, v70
	s_cbranch_execnz .LBB1320_1008
.LBB1320_956:                           ;   in Loop: Header=BB1320_948 Depth=2
	s_or_b32 exec_lo, exec_lo, s13
	s_delay_alu instid0(SALU_CYCLE_1)
	s_mov_b32 s13, exec_lo
	v_cmpx_gt_u32_e64 s9, v71
	s_cbranch_execnz .LBB1320_1009
.LBB1320_957:                           ;   in Loop: Header=BB1320_948 Depth=2
	s_or_b32 exec_lo, exec_lo, s13
	s_delay_alu instid0(SALU_CYCLE_1)
	s_mov_b32 s13, exec_lo
	v_cmpx_gt_u32_e64 s9, v72
	s_cbranch_execnz .LBB1320_1010
.LBB1320_958:                           ;   in Loop: Header=BB1320_948 Depth=2
	s_or_b32 exec_lo, exec_lo, s13
	s_delay_alu instid0(SALU_CYCLE_1)
	s_mov_b32 s13, exec_lo
	v_cmpx_gt_u32_e64 s9, v73
	s_cbranch_execnz .LBB1320_1011
.LBB1320_959:                           ;   in Loop: Header=BB1320_948 Depth=2
	s_or_b32 exec_lo, exec_lo, s13
	s_delay_alu instid0(SALU_CYCLE_1)
	s_mov_b32 s13, exec_lo
	v_cmpx_gt_u32_e64 s9, v74
	s_cbranch_execnz .LBB1320_1012
.LBB1320_960:                           ;   in Loop: Header=BB1320_948 Depth=2
	s_or_b32 exec_lo, exec_lo, s13
	s_delay_alu instid0(SALU_CYCLE_1)
	s_mov_b32 s13, exec_lo
	v_cmpx_gt_u32_e64 s9, v75
	s_cbranch_execnz .LBB1320_1013
.LBB1320_961:                           ;   in Loop: Header=BB1320_948 Depth=2
	s_or_b32 exec_lo, exec_lo, s13
	s_delay_alu instid0(SALU_CYCLE_1)
	s_mov_b32 s13, exec_lo
	v_cmpx_gt_u32_e64 s9, v76
	s_cbranch_execnz .LBB1320_1014
.LBB1320_962:                           ;   in Loop: Header=BB1320_948 Depth=2
	s_or_b32 exec_lo, exec_lo, s13
	s_delay_alu instid0(SALU_CYCLE_1)
	s_mov_b32 s13, exec_lo
	v_cmpx_gt_u32_e64 s9, v77
	s_cbranch_execnz .LBB1320_1015
.LBB1320_963:                           ;   in Loop: Header=BB1320_948 Depth=2
	s_or_b32 exec_lo, exec_lo, s13
	s_delay_alu instid0(SALU_CYCLE_1)
	s_mov_b32 s13, exec_lo
	v_cmpx_gt_u32_e64 s9, v78
	s_cbranch_execnz .LBB1320_1016
.LBB1320_964:                           ;   in Loop: Header=BB1320_948 Depth=2
	s_or_b32 exec_lo, exec_lo, s13
	s_delay_alu instid0(SALU_CYCLE_1)
	s_mov_b32 s13, exec_lo
	v_cmpx_gt_u32_e64 s9, v79
	s_cbranch_execnz .LBB1320_1017
.LBB1320_965:                           ;   in Loop: Header=BB1320_948 Depth=2
	s_or_b32 exec_lo, exec_lo, s13
	s_delay_alu instid0(SALU_CYCLE_1)
	s_mov_b32 s13, exec_lo
	v_cmpx_gt_u32_e64 s9, v80
	s_cbranch_execnz .LBB1320_1018
.LBB1320_966:                           ;   in Loop: Header=BB1320_948 Depth=2
	s_or_b32 exec_lo, exec_lo, s13
	s_delay_alu instid0(SALU_CYCLE_1)
	s_mov_b32 s13, exec_lo
	v_cmpx_gt_u32_e64 s9, v81
	s_cbranch_execnz .LBB1320_1019
.LBB1320_967:                           ;   in Loop: Header=BB1320_948 Depth=2
	s_or_b32 exec_lo, exec_lo, s13
	s_delay_alu instid0(SALU_CYCLE_1)
	s_mov_b32 s13, exec_lo
	v_cmpx_gt_u32_e64 s9, v82
	s_cbranch_execz .LBB1320_969
.LBB1320_968:                           ;   in Loop: Header=BB1320_948 Depth=2
	global_load_b32 v25, v2, s[10:11] offset:16384 scale_offset
.LBB1320_969:                           ;   in Loop: Header=BB1320_948 Depth=2
	s_wait_xcnt 0x0
	s_or_b32 exec_lo, exec_lo, s13
	s_wait_loadcnt 0x0
	v_dual_mov_b32 v42, v41 :: v_dual_mov_b32 v43, v40
	v_dual_mov_b32 v44, v39 :: v_dual_mov_b32 v45, v38
	;; [unrolled: 1-line block ×8, first 2 shown]
	v_mov_b32_e32 v58, v25
	s_mov_b32 s10, s9
.LBB1320_970:                           ;   in Loop: Header=BB1320_948 Depth=2
	s_wait_loadcnt 0x0
	s_delay_alu instid0(VALU_DEP_1)
	v_dual_mov_b32 v25, v58 :: v_dual_mov_b32 v26, v57
	v_dual_mov_b32 v27, v56 :: v_dual_mov_b32 v28, v55
	;; [unrolled: 1-line block ×8, first 2 shown]
	v_mov_b32_e32 v41, v42
	s_mov_b32 s11, exec_lo
	s_wait_xcnt 0x0
	v_cmpx_gt_u32_e64 s10, v2
	s_cbranch_execnz .LBB1320_987
; %bb.971:                              ;   in Loop: Header=BB1320_948 Depth=2
	s_or_b32 exec_lo, exec_lo, s11
	s_delay_alu instid0(SALU_CYCLE_1)
	s_mov_b32 s11, exec_lo
	v_cmpx_gt_u32_e64 s10, v3
	s_cbranch_execnz .LBB1320_988
.LBB1320_972:                           ;   in Loop: Header=BB1320_948 Depth=2
	s_or_b32 exec_lo, exec_lo, s11
	s_delay_alu instid0(SALU_CYCLE_1)
	s_mov_b32 s11, exec_lo
	v_cmpx_gt_u32_e64 s10, v68
	s_cbranch_execnz .LBB1320_989
.LBB1320_973:                           ;   in Loop: Header=BB1320_948 Depth=2
	s_or_b32 exec_lo, exec_lo, s11
	s_delay_alu instid0(SALU_CYCLE_1)
	s_mov_b32 s11, exec_lo
	v_cmpx_gt_u32_e64 s10, v69
	s_cbranch_execnz .LBB1320_990
.LBB1320_974:                           ;   in Loop: Header=BB1320_948 Depth=2
	s_or_b32 exec_lo, exec_lo, s11
	s_delay_alu instid0(SALU_CYCLE_1)
	s_mov_b32 s11, exec_lo
	v_cmpx_gt_u32_e64 s10, v70
	s_cbranch_execnz .LBB1320_991
.LBB1320_975:                           ;   in Loop: Header=BB1320_948 Depth=2
	s_or_b32 exec_lo, exec_lo, s11
	s_delay_alu instid0(SALU_CYCLE_1)
	s_mov_b32 s11, exec_lo
	v_cmpx_gt_u32_e64 s10, v71
	s_cbranch_execnz .LBB1320_992
.LBB1320_976:                           ;   in Loop: Header=BB1320_948 Depth=2
	s_or_b32 exec_lo, exec_lo, s11
	s_delay_alu instid0(SALU_CYCLE_1)
	s_mov_b32 s11, exec_lo
	v_cmpx_gt_u32_e64 s10, v72
	s_cbranch_execnz .LBB1320_993
.LBB1320_977:                           ;   in Loop: Header=BB1320_948 Depth=2
	s_or_b32 exec_lo, exec_lo, s11
	s_delay_alu instid0(SALU_CYCLE_1)
	s_mov_b32 s11, exec_lo
	v_cmpx_gt_u32_e64 s10, v73
	s_cbranch_execnz .LBB1320_994
.LBB1320_978:                           ;   in Loop: Header=BB1320_948 Depth=2
	s_or_b32 exec_lo, exec_lo, s11
	s_delay_alu instid0(SALU_CYCLE_1)
	s_mov_b32 s11, exec_lo
	v_cmpx_gt_u32_e64 s10, v74
	s_cbranch_execnz .LBB1320_995
.LBB1320_979:                           ;   in Loop: Header=BB1320_948 Depth=2
	s_or_b32 exec_lo, exec_lo, s11
	s_delay_alu instid0(SALU_CYCLE_1)
	s_mov_b32 s11, exec_lo
	v_cmpx_gt_u32_e64 s10, v75
	s_cbranch_execnz .LBB1320_996
.LBB1320_980:                           ;   in Loop: Header=BB1320_948 Depth=2
	s_or_b32 exec_lo, exec_lo, s11
	s_delay_alu instid0(SALU_CYCLE_1)
	s_mov_b32 s11, exec_lo
	v_cmpx_gt_u32_e64 s10, v76
	s_cbranch_execnz .LBB1320_997
.LBB1320_981:                           ;   in Loop: Header=BB1320_948 Depth=2
	s_or_b32 exec_lo, exec_lo, s11
	s_delay_alu instid0(SALU_CYCLE_1)
	s_mov_b32 s11, exec_lo
	v_cmpx_gt_u32_e64 s10, v77
	s_cbranch_execnz .LBB1320_998
.LBB1320_982:                           ;   in Loop: Header=BB1320_948 Depth=2
	s_or_b32 exec_lo, exec_lo, s11
	s_delay_alu instid0(SALU_CYCLE_1)
	s_mov_b32 s11, exec_lo
	v_cmpx_gt_u32_e64 s10, v78
	s_cbranch_execnz .LBB1320_999
.LBB1320_983:                           ;   in Loop: Header=BB1320_948 Depth=2
	s_or_b32 exec_lo, exec_lo, s11
	s_delay_alu instid0(SALU_CYCLE_1)
	s_mov_b32 s11, exec_lo
	v_cmpx_gt_u32_e64 s10, v79
	s_cbranch_execnz .LBB1320_1000
.LBB1320_984:                           ;   in Loop: Header=BB1320_948 Depth=2
	s_or_b32 exec_lo, exec_lo, s11
	s_delay_alu instid0(SALU_CYCLE_1)
	s_mov_b32 s11, exec_lo
	v_cmpx_gt_u32_e64 s10, v80
	s_cbranch_execnz .LBB1320_1001
.LBB1320_985:                           ;   in Loop: Header=BB1320_948 Depth=2
	s_or_b32 exec_lo, exec_lo, s11
	s_delay_alu instid0(SALU_CYCLE_1)
	s_mov_b32 s11, exec_lo
	v_cmpx_gt_u32_e64 s10, v81
	s_cbranch_execnz .LBB1320_1002
.LBB1320_986:                           ;   in Loop: Header=BB1320_948 Depth=2
	s_or_b32 exec_lo, exec_lo, s11
	v_cmp_gt_u32_e32 vcc_lo, s10, v82
	s_and_saveexec_b32 s10, vcc_lo
	s_cbranch_execz .LBB1320_947
	s_branch .LBB1320_1003
.LBB1320_987:                           ;   in Loop: Header=BB1320_948 Depth=2
	v_cmp_gt_i32_e32 vcc_lo, 0, v41
	v_cndmask_b32_e64 v42, 0x7fffffff, 0, vcc_lo
	s_delay_alu instid0(VALU_DEP_1) | instskip(NEXT) | instid1(VALU_DEP_1)
	v_xor_b32_e32 v42, v42, v41
	v_cmp_ne_u32_e32 vcc_lo, 0x80000000, v42
	v_cndmask_b32_e32 v42, 0x7fffffff, v42, vcc_lo
	s_delay_alu instid0(VALU_DEP_1) | instskip(NEXT) | instid1(VALU_DEP_1)
	v_lshrrev_b32_e32 v42, s49, v42
	v_and_b32_e32 v42, s58, v42
	s_delay_alu instid0(VALU_DEP_1) | instskip(SKIP_2) | instid1(SALU_CYCLE_1)
	v_lshl_or_b32 v42, v42, 4, v84
	ds_add_u32 v42, v96
	s_or_b32 exec_lo, exec_lo, s11
	s_mov_b32 s11, exec_lo
	v_cmpx_gt_u32_e64 s10, v3
	s_cbranch_execz .LBB1320_972
.LBB1320_988:                           ;   in Loop: Header=BB1320_948 Depth=2
	v_cmp_gt_i32_e32 vcc_lo, 0, v40
	v_cndmask_b32_e64 v42, 0x7fffffff, 0, vcc_lo
	s_delay_alu instid0(VALU_DEP_1) | instskip(NEXT) | instid1(VALU_DEP_1)
	v_xor_b32_e32 v42, v42, v40
	v_cmp_ne_u32_e32 vcc_lo, 0x80000000, v42
	v_cndmask_b32_e32 v42, 0x7fffffff, v42, vcc_lo
	s_delay_alu instid0(VALU_DEP_1) | instskip(NEXT) | instid1(VALU_DEP_1)
	v_lshrrev_b32_e32 v42, s49, v42
	v_and_b32_e32 v42, s58, v42
	s_delay_alu instid0(VALU_DEP_1) | instskip(SKIP_2) | instid1(SALU_CYCLE_1)
	v_lshl_or_b32 v42, v42, 4, v84
	ds_add_u32 v42, v96
	s_or_b32 exec_lo, exec_lo, s11
	s_mov_b32 s11, exec_lo
	v_cmpx_gt_u32_e64 s10, v68
	s_cbranch_execz .LBB1320_973
.LBB1320_989:                           ;   in Loop: Header=BB1320_948 Depth=2
	v_cmp_gt_i32_e32 vcc_lo, 0, v39
	v_cndmask_b32_e64 v42, 0x7fffffff, 0, vcc_lo
	s_delay_alu instid0(VALU_DEP_1) | instskip(NEXT) | instid1(VALU_DEP_1)
	v_xor_b32_e32 v42, v42, v39
	v_cmp_ne_u32_e32 vcc_lo, 0x80000000, v42
	v_cndmask_b32_e32 v42, 0x7fffffff, v42, vcc_lo
	s_delay_alu instid0(VALU_DEP_1) | instskip(NEXT) | instid1(VALU_DEP_1)
	v_lshrrev_b32_e32 v42, s49, v42
	v_and_b32_e32 v42, s58, v42
	s_delay_alu instid0(VALU_DEP_1) | instskip(SKIP_2) | instid1(SALU_CYCLE_1)
	v_lshl_or_b32 v42, v42, 4, v84
	ds_add_u32 v42, v96
	s_or_b32 exec_lo, exec_lo, s11
	s_mov_b32 s11, exec_lo
	v_cmpx_gt_u32_e64 s10, v69
	s_cbranch_execz .LBB1320_974
.LBB1320_990:                           ;   in Loop: Header=BB1320_948 Depth=2
	v_cmp_gt_i32_e32 vcc_lo, 0, v38
	v_cndmask_b32_e64 v42, 0x7fffffff, 0, vcc_lo
	s_delay_alu instid0(VALU_DEP_1) | instskip(NEXT) | instid1(VALU_DEP_1)
	v_xor_b32_e32 v42, v42, v38
	v_cmp_ne_u32_e32 vcc_lo, 0x80000000, v42
	v_cndmask_b32_e32 v42, 0x7fffffff, v42, vcc_lo
	s_delay_alu instid0(VALU_DEP_1) | instskip(NEXT) | instid1(VALU_DEP_1)
	v_lshrrev_b32_e32 v42, s49, v42
	v_and_b32_e32 v42, s58, v42
	s_delay_alu instid0(VALU_DEP_1) | instskip(SKIP_2) | instid1(SALU_CYCLE_1)
	v_lshl_or_b32 v42, v42, 4, v84
	ds_add_u32 v42, v96
	s_or_b32 exec_lo, exec_lo, s11
	s_mov_b32 s11, exec_lo
	v_cmpx_gt_u32_e64 s10, v70
	s_cbranch_execz .LBB1320_975
.LBB1320_991:                           ;   in Loop: Header=BB1320_948 Depth=2
	v_cmp_gt_i32_e32 vcc_lo, 0, v37
	v_cndmask_b32_e64 v42, 0x7fffffff, 0, vcc_lo
	s_delay_alu instid0(VALU_DEP_1) | instskip(NEXT) | instid1(VALU_DEP_1)
	v_xor_b32_e32 v42, v42, v37
	v_cmp_ne_u32_e32 vcc_lo, 0x80000000, v42
	v_cndmask_b32_e32 v42, 0x7fffffff, v42, vcc_lo
	s_delay_alu instid0(VALU_DEP_1) | instskip(NEXT) | instid1(VALU_DEP_1)
	v_lshrrev_b32_e32 v42, s49, v42
	v_and_b32_e32 v42, s58, v42
	s_delay_alu instid0(VALU_DEP_1) | instskip(SKIP_2) | instid1(SALU_CYCLE_1)
	v_lshl_or_b32 v42, v42, 4, v84
	ds_add_u32 v42, v96
	s_or_b32 exec_lo, exec_lo, s11
	s_mov_b32 s11, exec_lo
	v_cmpx_gt_u32_e64 s10, v71
	s_cbranch_execz .LBB1320_976
.LBB1320_992:                           ;   in Loop: Header=BB1320_948 Depth=2
	v_cmp_gt_i32_e32 vcc_lo, 0, v36
	v_cndmask_b32_e64 v42, 0x7fffffff, 0, vcc_lo
	s_delay_alu instid0(VALU_DEP_1) | instskip(NEXT) | instid1(VALU_DEP_1)
	v_xor_b32_e32 v42, v42, v36
	v_cmp_ne_u32_e32 vcc_lo, 0x80000000, v42
	v_cndmask_b32_e32 v42, 0x7fffffff, v42, vcc_lo
	s_delay_alu instid0(VALU_DEP_1) | instskip(NEXT) | instid1(VALU_DEP_1)
	v_lshrrev_b32_e32 v42, s49, v42
	v_and_b32_e32 v42, s58, v42
	s_delay_alu instid0(VALU_DEP_1) | instskip(SKIP_2) | instid1(SALU_CYCLE_1)
	v_lshl_or_b32 v42, v42, 4, v84
	ds_add_u32 v42, v96
	s_or_b32 exec_lo, exec_lo, s11
	s_mov_b32 s11, exec_lo
	v_cmpx_gt_u32_e64 s10, v72
	s_cbranch_execz .LBB1320_977
.LBB1320_993:                           ;   in Loop: Header=BB1320_948 Depth=2
	v_cmp_gt_i32_e32 vcc_lo, 0, v35
	v_cndmask_b32_e64 v42, 0x7fffffff, 0, vcc_lo
	s_delay_alu instid0(VALU_DEP_1) | instskip(NEXT) | instid1(VALU_DEP_1)
	v_xor_b32_e32 v42, v42, v35
	v_cmp_ne_u32_e32 vcc_lo, 0x80000000, v42
	v_cndmask_b32_e32 v42, 0x7fffffff, v42, vcc_lo
	s_delay_alu instid0(VALU_DEP_1) | instskip(NEXT) | instid1(VALU_DEP_1)
	v_lshrrev_b32_e32 v42, s49, v42
	v_and_b32_e32 v42, s58, v42
	s_delay_alu instid0(VALU_DEP_1) | instskip(SKIP_2) | instid1(SALU_CYCLE_1)
	v_lshl_or_b32 v42, v42, 4, v84
	ds_add_u32 v42, v96
	s_or_b32 exec_lo, exec_lo, s11
	s_mov_b32 s11, exec_lo
	v_cmpx_gt_u32_e64 s10, v73
	s_cbranch_execz .LBB1320_978
.LBB1320_994:                           ;   in Loop: Header=BB1320_948 Depth=2
	v_cmp_gt_i32_e32 vcc_lo, 0, v34
	v_cndmask_b32_e64 v42, 0x7fffffff, 0, vcc_lo
	s_delay_alu instid0(VALU_DEP_1) | instskip(NEXT) | instid1(VALU_DEP_1)
	v_xor_b32_e32 v42, v42, v34
	v_cmp_ne_u32_e32 vcc_lo, 0x80000000, v42
	v_cndmask_b32_e32 v42, 0x7fffffff, v42, vcc_lo
	s_delay_alu instid0(VALU_DEP_1) | instskip(NEXT) | instid1(VALU_DEP_1)
	v_lshrrev_b32_e32 v42, s49, v42
	v_and_b32_e32 v42, s58, v42
	s_delay_alu instid0(VALU_DEP_1) | instskip(SKIP_2) | instid1(SALU_CYCLE_1)
	v_lshl_or_b32 v42, v42, 4, v84
	ds_add_u32 v42, v96
	s_or_b32 exec_lo, exec_lo, s11
	s_mov_b32 s11, exec_lo
	v_cmpx_gt_u32_e64 s10, v74
	s_cbranch_execz .LBB1320_979
.LBB1320_995:                           ;   in Loop: Header=BB1320_948 Depth=2
	v_cmp_gt_i32_e32 vcc_lo, 0, v33
	v_cndmask_b32_e64 v42, 0x7fffffff, 0, vcc_lo
	s_delay_alu instid0(VALU_DEP_1) | instskip(NEXT) | instid1(VALU_DEP_1)
	v_xor_b32_e32 v42, v42, v33
	v_cmp_ne_u32_e32 vcc_lo, 0x80000000, v42
	v_cndmask_b32_e32 v42, 0x7fffffff, v42, vcc_lo
	s_delay_alu instid0(VALU_DEP_1) | instskip(NEXT) | instid1(VALU_DEP_1)
	v_lshrrev_b32_e32 v42, s49, v42
	v_and_b32_e32 v42, s58, v42
	s_delay_alu instid0(VALU_DEP_1) | instskip(SKIP_2) | instid1(SALU_CYCLE_1)
	v_lshl_or_b32 v42, v42, 4, v84
	ds_add_u32 v42, v96
	s_or_b32 exec_lo, exec_lo, s11
	s_mov_b32 s11, exec_lo
	v_cmpx_gt_u32_e64 s10, v75
	s_cbranch_execz .LBB1320_980
.LBB1320_996:                           ;   in Loop: Header=BB1320_948 Depth=2
	v_cmp_gt_i32_e32 vcc_lo, 0, v32
	v_cndmask_b32_e64 v42, 0x7fffffff, 0, vcc_lo
	s_delay_alu instid0(VALU_DEP_1) | instskip(NEXT) | instid1(VALU_DEP_1)
	v_xor_b32_e32 v42, v42, v32
	v_cmp_ne_u32_e32 vcc_lo, 0x80000000, v42
	v_cndmask_b32_e32 v42, 0x7fffffff, v42, vcc_lo
	s_delay_alu instid0(VALU_DEP_1) | instskip(NEXT) | instid1(VALU_DEP_1)
	v_lshrrev_b32_e32 v42, s49, v42
	v_and_b32_e32 v42, s58, v42
	s_delay_alu instid0(VALU_DEP_1) | instskip(SKIP_2) | instid1(SALU_CYCLE_1)
	v_lshl_or_b32 v42, v42, 4, v84
	ds_add_u32 v42, v96
	s_or_b32 exec_lo, exec_lo, s11
	s_mov_b32 s11, exec_lo
	v_cmpx_gt_u32_e64 s10, v76
	s_cbranch_execz .LBB1320_981
.LBB1320_997:                           ;   in Loop: Header=BB1320_948 Depth=2
	v_cmp_gt_i32_e32 vcc_lo, 0, v31
	v_cndmask_b32_e64 v42, 0x7fffffff, 0, vcc_lo
	s_delay_alu instid0(VALU_DEP_1) | instskip(NEXT) | instid1(VALU_DEP_1)
	v_xor_b32_e32 v42, v42, v31
	v_cmp_ne_u32_e32 vcc_lo, 0x80000000, v42
	v_cndmask_b32_e32 v42, 0x7fffffff, v42, vcc_lo
	s_delay_alu instid0(VALU_DEP_1) | instskip(NEXT) | instid1(VALU_DEP_1)
	v_lshrrev_b32_e32 v42, s49, v42
	v_and_b32_e32 v42, s58, v42
	s_delay_alu instid0(VALU_DEP_1) | instskip(SKIP_2) | instid1(SALU_CYCLE_1)
	v_lshl_or_b32 v42, v42, 4, v84
	ds_add_u32 v42, v96
	s_or_b32 exec_lo, exec_lo, s11
	s_mov_b32 s11, exec_lo
	v_cmpx_gt_u32_e64 s10, v77
	s_cbranch_execz .LBB1320_982
.LBB1320_998:                           ;   in Loop: Header=BB1320_948 Depth=2
	v_cmp_gt_i32_e32 vcc_lo, 0, v30
	v_cndmask_b32_e64 v42, 0x7fffffff, 0, vcc_lo
	s_delay_alu instid0(VALU_DEP_1) | instskip(NEXT) | instid1(VALU_DEP_1)
	v_xor_b32_e32 v42, v42, v30
	v_cmp_ne_u32_e32 vcc_lo, 0x80000000, v42
	v_cndmask_b32_e32 v42, 0x7fffffff, v42, vcc_lo
	s_delay_alu instid0(VALU_DEP_1) | instskip(NEXT) | instid1(VALU_DEP_1)
	v_lshrrev_b32_e32 v42, s49, v42
	v_and_b32_e32 v42, s58, v42
	s_delay_alu instid0(VALU_DEP_1) | instskip(SKIP_2) | instid1(SALU_CYCLE_1)
	v_lshl_or_b32 v42, v42, 4, v84
	ds_add_u32 v42, v96
	s_or_b32 exec_lo, exec_lo, s11
	s_mov_b32 s11, exec_lo
	v_cmpx_gt_u32_e64 s10, v78
	s_cbranch_execz .LBB1320_983
.LBB1320_999:                           ;   in Loop: Header=BB1320_948 Depth=2
	v_cmp_gt_i32_e32 vcc_lo, 0, v29
	v_cndmask_b32_e64 v42, 0x7fffffff, 0, vcc_lo
	s_delay_alu instid0(VALU_DEP_1) | instskip(NEXT) | instid1(VALU_DEP_1)
	v_xor_b32_e32 v42, v42, v29
	v_cmp_ne_u32_e32 vcc_lo, 0x80000000, v42
	v_cndmask_b32_e32 v42, 0x7fffffff, v42, vcc_lo
	s_delay_alu instid0(VALU_DEP_1) | instskip(NEXT) | instid1(VALU_DEP_1)
	v_lshrrev_b32_e32 v42, s49, v42
	v_and_b32_e32 v42, s58, v42
	s_delay_alu instid0(VALU_DEP_1) | instskip(SKIP_2) | instid1(SALU_CYCLE_1)
	v_lshl_or_b32 v42, v42, 4, v84
	ds_add_u32 v42, v96
	s_or_b32 exec_lo, exec_lo, s11
	s_mov_b32 s11, exec_lo
	v_cmpx_gt_u32_e64 s10, v79
	s_cbranch_execz .LBB1320_984
.LBB1320_1000:                          ;   in Loop: Header=BB1320_948 Depth=2
	v_cmp_gt_i32_e32 vcc_lo, 0, v28
	v_cndmask_b32_e64 v42, 0x7fffffff, 0, vcc_lo
	s_delay_alu instid0(VALU_DEP_1) | instskip(NEXT) | instid1(VALU_DEP_1)
	v_xor_b32_e32 v42, v42, v28
	v_cmp_ne_u32_e32 vcc_lo, 0x80000000, v42
	v_cndmask_b32_e32 v42, 0x7fffffff, v42, vcc_lo
	s_delay_alu instid0(VALU_DEP_1) | instskip(NEXT) | instid1(VALU_DEP_1)
	v_lshrrev_b32_e32 v42, s49, v42
	v_and_b32_e32 v42, s58, v42
	s_delay_alu instid0(VALU_DEP_1) | instskip(SKIP_2) | instid1(SALU_CYCLE_1)
	v_lshl_or_b32 v42, v42, 4, v84
	ds_add_u32 v42, v96
	s_or_b32 exec_lo, exec_lo, s11
	s_mov_b32 s11, exec_lo
	v_cmpx_gt_u32_e64 s10, v80
	s_cbranch_execz .LBB1320_985
.LBB1320_1001:                          ;   in Loop: Header=BB1320_948 Depth=2
	v_cmp_gt_i32_e32 vcc_lo, 0, v27
	v_cndmask_b32_e64 v42, 0x7fffffff, 0, vcc_lo
	s_delay_alu instid0(VALU_DEP_1) | instskip(NEXT) | instid1(VALU_DEP_1)
	v_xor_b32_e32 v42, v42, v27
	v_cmp_ne_u32_e32 vcc_lo, 0x80000000, v42
	v_cndmask_b32_e32 v42, 0x7fffffff, v42, vcc_lo
	s_delay_alu instid0(VALU_DEP_1) | instskip(NEXT) | instid1(VALU_DEP_1)
	v_lshrrev_b32_e32 v42, s49, v42
	v_and_b32_e32 v42, s58, v42
	s_delay_alu instid0(VALU_DEP_1) | instskip(SKIP_2) | instid1(SALU_CYCLE_1)
	v_lshl_or_b32 v42, v42, 4, v84
	ds_add_u32 v42, v96
	s_or_b32 exec_lo, exec_lo, s11
	s_mov_b32 s11, exec_lo
	v_cmpx_gt_u32_e64 s10, v81
	s_cbranch_execz .LBB1320_986
.LBB1320_1002:                          ;   in Loop: Header=BB1320_948 Depth=2
	v_cmp_gt_i32_e32 vcc_lo, 0, v26
	v_cndmask_b32_e64 v42, 0x7fffffff, 0, vcc_lo
	s_delay_alu instid0(VALU_DEP_1) | instskip(NEXT) | instid1(VALU_DEP_1)
	v_xor_b32_e32 v42, v42, v26
	v_cmp_ne_u32_e32 vcc_lo, 0x80000000, v42
	v_cndmask_b32_e32 v42, 0x7fffffff, v42, vcc_lo
	s_delay_alu instid0(VALU_DEP_1) | instskip(NEXT) | instid1(VALU_DEP_1)
	v_lshrrev_b32_e32 v42, s49, v42
	v_and_b32_e32 v42, s58, v42
	s_delay_alu instid0(VALU_DEP_1)
	v_lshl_or_b32 v42, v42, 4, v84
	ds_add_u32 v42, v96
	s_or_b32 exec_lo, exec_lo, s11
	v_cmp_gt_u32_e32 vcc_lo, s10, v82
	s_and_saveexec_b32 s10, vcc_lo
	s_cbranch_execz .LBB1320_947
.LBB1320_1003:                          ;   in Loop: Header=BB1320_948 Depth=2
	v_cmp_gt_i32_e32 vcc_lo, 0, v25
	v_cndmask_b32_e64 v42, 0x7fffffff, 0, vcc_lo
	s_delay_alu instid0(VALU_DEP_1) | instskip(NEXT) | instid1(VALU_DEP_1)
	v_xor_b32_e32 v42, v42, v25
	v_cmp_ne_u32_e32 vcc_lo, 0x80000000, v42
	v_cndmask_b32_e32 v42, 0x7fffffff, v42, vcc_lo
	s_delay_alu instid0(VALU_DEP_1) | instskip(NEXT) | instid1(VALU_DEP_1)
	v_lshrrev_b32_e32 v42, s49, v42
	v_and_b32_e32 v42, s58, v42
	s_delay_alu instid0(VALU_DEP_1)
	v_lshl_or_b32 v42, v42, 4, v84
	ds_add_u32 v42, v96
	s_branch .LBB1320_947
.LBB1320_1004:                          ;   in Loop: Header=BB1320_948 Depth=2
	global_load_b32 v41, v2, s[10:11] scale_offset
	s_wait_xcnt 0x0
	s_or_b32 exec_lo, exec_lo, s13
	s_delay_alu instid0(SALU_CYCLE_1)
	s_mov_b32 s13, exec_lo
	v_cmpx_gt_u32_e64 s9, v3
	s_cbranch_execz .LBB1320_953
.LBB1320_1005:                          ;   in Loop: Header=BB1320_948 Depth=2
	global_load_b32 v40, v2, s[10:11] offset:1024 scale_offset
	s_wait_xcnt 0x0
	s_or_b32 exec_lo, exec_lo, s13
	s_delay_alu instid0(SALU_CYCLE_1)
	s_mov_b32 s13, exec_lo
	v_cmpx_gt_u32_e64 s9, v68
	s_cbranch_execz .LBB1320_954
.LBB1320_1006:                          ;   in Loop: Header=BB1320_948 Depth=2
	global_load_b32 v39, v2, s[10:11] offset:2048 scale_offset
	s_wait_xcnt 0x0
	s_or_b32 exec_lo, exec_lo, s13
	s_delay_alu instid0(SALU_CYCLE_1)
	s_mov_b32 s13, exec_lo
	v_cmpx_gt_u32_e64 s9, v69
	s_cbranch_execz .LBB1320_955
.LBB1320_1007:                          ;   in Loop: Header=BB1320_948 Depth=2
	global_load_b32 v38, v2, s[10:11] offset:3072 scale_offset
	s_wait_xcnt 0x0
	s_or_b32 exec_lo, exec_lo, s13
	s_delay_alu instid0(SALU_CYCLE_1)
	s_mov_b32 s13, exec_lo
	v_cmpx_gt_u32_e64 s9, v70
	s_cbranch_execz .LBB1320_956
.LBB1320_1008:                          ;   in Loop: Header=BB1320_948 Depth=2
	global_load_b32 v37, v2, s[10:11] offset:4096 scale_offset
	s_wait_xcnt 0x0
	s_or_b32 exec_lo, exec_lo, s13
	s_delay_alu instid0(SALU_CYCLE_1)
	s_mov_b32 s13, exec_lo
	v_cmpx_gt_u32_e64 s9, v71
	s_cbranch_execz .LBB1320_957
.LBB1320_1009:                          ;   in Loop: Header=BB1320_948 Depth=2
	global_load_b32 v36, v2, s[10:11] offset:5120 scale_offset
	s_wait_xcnt 0x0
	s_or_b32 exec_lo, exec_lo, s13
	s_delay_alu instid0(SALU_CYCLE_1)
	s_mov_b32 s13, exec_lo
	v_cmpx_gt_u32_e64 s9, v72
	s_cbranch_execz .LBB1320_958
.LBB1320_1010:                          ;   in Loop: Header=BB1320_948 Depth=2
	global_load_b32 v35, v2, s[10:11] offset:6144 scale_offset
	s_wait_xcnt 0x0
	s_or_b32 exec_lo, exec_lo, s13
	s_delay_alu instid0(SALU_CYCLE_1)
	s_mov_b32 s13, exec_lo
	v_cmpx_gt_u32_e64 s9, v73
	s_cbranch_execz .LBB1320_959
.LBB1320_1011:                          ;   in Loop: Header=BB1320_948 Depth=2
	global_load_b32 v34, v2, s[10:11] offset:7168 scale_offset
	s_wait_xcnt 0x0
	s_or_b32 exec_lo, exec_lo, s13
	s_delay_alu instid0(SALU_CYCLE_1)
	s_mov_b32 s13, exec_lo
	v_cmpx_gt_u32_e64 s9, v74
	s_cbranch_execz .LBB1320_960
.LBB1320_1012:                          ;   in Loop: Header=BB1320_948 Depth=2
	global_load_b32 v33, v2, s[10:11] offset:8192 scale_offset
	s_wait_xcnt 0x0
	s_or_b32 exec_lo, exec_lo, s13
	s_delay_alu instid0(SALU_CYCLE_1)
	s_mov_b32 s13, exec_lo
	v_cmpx_gt_u32_e64 s9, v75
	s_cbranch_execz .LBB1320_961
.LBB1320_1013:                          ;   in Loop: Header=BB1320_948 Depth=2
	global_load_b32 v32, v2, s[10:11] offset:9216 scale_offset
	s_wait_xcnt 0x0
	s_or_b32 exec_lo, exec_lo, s13
	s_delay_alu instid0(SALU_CYCLE_1)
	s_mov_b32 s13, exec_lo
	v_cmpx_gt_u32_e64 s9, v76
	s_cbranch_execz .LBB1320_962
.LBB1320_1014:                          ;   in Loop: Header=BB1320_948 Depth=2
	global_load_b32 v31, v2, s[10:11] offset:10240 scale_offset
	s_wait_xcnt 0x0
	s_or_b32 exec_lo, exec_lo, s13
	s_delay_alu instid0(SALU_CYCLE_1)
	s_mov_b32 s13, exec_lo
	v_cmpx_gt_u32_e64 s9, v77
	s_cbranch_execz .LBB1320_963
.LBB1320_1015:                          ;   in Loop: Header=BB1320_948 Depth=2
	global_load_b32 v30, v2, s[10:11] offset:11264 scale_offset
	s_wait_xcnt 0x0
	s_or_b32 exec_lo, exec_lo, s13
	s_delay_alu instid0(SALU_CYCLE_1)
	s_mov_b32 s13, exec_lo
	v_cmpx_gt_u32_e64 s9, v78
	s_cbranch_execz .LBB1320_964
.LBB1320_1016:                          ;   in Loop: Header=BB1320_948 Depth=2
	global_load_b32 v29, v2, s[10:11] offset:12288 scale_offset
	s_wait_xcnt 0x0
	s_or_b32 exec_lo, exec_lo, s13
	s_delay_alu instid0(SALU_CYCLE_1)
	s_mov_b32 s13, exec_lo
	v_cmpx_gt_u32_e64 s9, v79
	s_cbranch_execz .LBB1320_965
.LBB1320_1017:                          ;   in Loop: Header=BB1320_948 Depth=2
	global_load_b32 v28, v2, s[10:11] offset:13312 scale_offset
	s_wait_xcnt 0x0
	s_or_b32 exec_lo, exec_lo, s13
	s_delay_alu instid0(SALU_CYCLE_1)
	s_mov_b32 s13, exec_lo
	v_cmpx_gt_u32_e64 s9, v80
	s_cbranch_execz .LBB1320_966
.LBB1320_1018:                          ;   in Loop: Header=BB1320_948 Depth=2
	global_load_b32 v27, v2, s[10:11] offset:14336 scale_offset
	s_wait_xcnt 0x0
	s_or_b32 exec_lo, exec_lo, s13
	s_delay_alu instid0(SALU_CYCLE_1)
	s_mov_b32 s13, exec_lo
	v_cmpx_gt_u32_e64 s9, v81
	s_cbranch_execz .LBB1320_967
.LBB1320_1019:                          ;   in Loop: Header=BB1320_948 Depth=2
	global_load_b32 v26, v2, s[10:11] offset:15360 scale_offset
	s_wait_xcnt 0x0
	s_or_b32 exec_lo, exec_lo, s13
	s_delay_alu instid0(SALU_CYCLE_1)
	s_mov_b32 s13, exec_lo
	v_cmpx_gt_u32_e64 s9, v82
	s_cbranch_execnz .LBB1320_968
	s_branch .LBB1320_969
.LBB1320_1020:                          ;   in Loop: Header=BB1320_12 Depth=1
	v_mov_b32_e32 v25, 0
	s_wait_dscnt 0x0
	s_barrier_signal -1
	s_barrier_wait -1
	s_and_saveexec_b32 s9, s0
	s_cbranch_execz .LBB1320_1022
; %bb.1021:                             ;   in Loop: Header=BB1320_12 Depth=1
	ds_load_2addr_b64 v[26:29], v85 offset1:1
	s_wait_dscnt 0x0
	v_add_nc_u32_e32 v25, v27, v26
	s_delay_alu instid0(VALU_DEP_1)
	v_add3_u32 v25, v25, v28, v29
.LBB1320_1022:                          ;   in Loop: Header=BB1320_12 Depth=1
	s_or_b32 exec_lo, exec_lo, s9
	s_delay_alu instid0(VALU_DEP_1)
	v_mov_b32_dpp v26, v25 row_shr:1 row_mask:0xf bank_mask:0xf
	v_cmp_eq_u32_e64 s9, 0, v97
	v_cmp_lt_u32_e64 s10, 1, v97
	v_cmp_lt_u32_e64 s11, 3, v97
	;; [unrolled: 1-line block ×3, first 2 shown]
	v_cmp_eq_u32_e64 s13, 0, v99
	v_cndmask_b32_e64 v26, v26, 0, s9
	s_delay_alu instid0(VALU_DEP_1) | instskip(NEXT) | instid1(VALU_DEP_1)
	v_add_nc_u32_e32 v25, v26, v25
	v_mov_b32_dpp v26, v25 row_shr:2 row_mask:0xf bank_mask:0xf
	s_delay_alu instid0(VALU_DEP_1) | instskip(NEXT) | instid1(VALU_DEP_1)
	v_cndmask_b32_e64 v26, 0, v26, s10
	v_add_nc_u32_e32 v25, v25, v26
	s_delay_alu instid0(VALU_DEP_1) | instskip(NEXT) | instid1(VALU_DEP_1)
	v_mov_b32_dpp v26, v25 row_shr:4 row_mask:0xf bank_mask:0xf
	v_cndmask_b32_e64 v26, 0, v26, s11
	s_delay_alu instid0(VALU_DEP_1) | instskip(NEXT) | instid1(VALU_DEP_1)
	v_add_nc_u32_e32 v25, v25, v26
	v_mov_b32_dpp v26, v25 row_shr:8 row_mask:0xf bank_mask:0xf
	s_delay_alu instid0(VALU_DEP_1) | instskip(NEXT) | instid1(VALU_DEP_1)
	v_cndmask_b32_e64 v26, 0, v26, s12
	v_add_nc_u32_e32 v25, v25, v26
	ds_swizzle_b32 v26, v25 offset:swizzle(BROADCAST,32,15)
	s_wait_dscnt 0x0
	v_and_b32_e32 v26, v98, v26
	s_delay_alu instid0(VALU_DEP_1)
	v_add_nc_u32_e32 v25, v25, v26
	s_and_saveexec_b32 s14, s1
; %bb.1023:                             ;   in Loop: Header=BB1320_12 Depth=1
	ds_store_b32 v86, v25
; %bb.1024:                             ;   in Loop: Header=BB1320_12 Depth=1
	s_or_b32 exec_lo, exec_lo, s14
	s_wait_dscnt 0x0
	s_barrier_signal -1
	s_barrier_wait -1
	s_and_saveexec_b32 s14, s4
	s_cbranch_execz .LBB1320_1026
; %bb.1025:                             ;   in Loop: Header=BB1320_12 Depth=1
	ds_load_b32 v26, v87
	v_cmp_ne_u32_e32 vcc_lo, 0, v100
	s_wait_dscnt 0x0
	v_mov_b32_dpp v27, v26 row_shr:1 row_mask:0xf bank_mask:0xf
	s_delay_alu instid0(VALU_DEP_1) | instskip(SKIP_1) | instid1(VALU_DEP_2)
	v_cndmask_b32_e32 v27, 0, v27, vcc_lo
	v_cmp_lt_u32_e32 vcc_lo, 1, v100
	v_add_nc_u32_e32 v26, v27, v26
	s_delay_alu instid0(VALU_DEP_1) | instskip(NEXT) | instid1(VALU_DEP_1)
	v_mov_b32_dpp v27, v26 row_shr:2 row_mask:0xf bank_mask:0xf
	v_cndmask_b32_e32 v27, 0, v27, vcc_lo
	s_delay_alu instid0(VALU_DEP_1)
	v_add_nc_u32_e32 v26, v26, v27
	ds_store_b32 v87, v26
.LBB1320_1026:                          ;   in Loop: Header=BB1320_12 Depth=1
	s_or_b32 exec_lo, exec_lo, s14
	v_mov_b32_e32 v26, 0
	s_wait_dscnt 0x0
	s_barrier_signal -1
	s_barrier_wait -1
	s_and_saveexec_b32 s14, s5
; %bb.1027:                             ;   in Loop: Header=BB1320_12 Depth=1
	ds_load_b32 v26, v88
; %bb.1028:                             ;   in Loop: Header=BB1320_12 Depth=1
	s_or_b32 exec_lo, exec_lo, s14
	v_cmp_gt_i32_e32 vcc_lo, 0, v102
	s_wait_dscnt 0x0
	s_barrier_signal -1
	s_barrier_wait -1
	v_cndmask_b32_e32 v27, v102, v95, vcc_lo
	s_delay_alu instid0(VALU_DEP_1)
	v_dual_add_nc_u32 v25, v26, v25 :: v_dual_lshlrev_b32 v119, 2, v27
	ds_bpermute_b32 v25, v119, v25
	s_and_saveexec_b32 s14, s0
	s_cbranch_execz .LBB1320_1030
; %bb.1029:                             ;   in Loop: Header=BB1320_12 Depth=1
	s_wait_dscnt 0x0
	v_cndmask_b32_e64 v25, v25, v26, s8
	s_delay_alu instid0(VALU_DEP_1)
	v_add_nc_u32_e32 v25, s55, v25
	ds_store_b32 v4, v25
.LBB1320_1030:                          ;   in Loop: Header=BB1320_12 Depth=1
	s_or_b32 exec_lo, exec_lo, s14
	s_load_b64 s[14:15], s[52:53], 0x0
	s_mov_b32 s59, s57
                                        ; implicit-def: $vgpr32_vgpr33
                                        ; implicit-def: $vgpr34_vgpr35
                                        ; implicit-def: $vgpr36_vgpr37
                                        ; implicit-def: $vgpr38_vgpr39
                                        ; implicit-def: $vgpr40_vgpr41
                                        ; implicit-def: $vgpr42_vgpr43
                                        ; implicit-def: $vgpr44_vgpr45
                                        ; implicit-def: $vgpr46_vgpr47
                                        ; implicit-def: $vgpr48_vgpr49
                                        ; implicit-def: $vgpr50_vgpr51
                                        ; implicit-def: $vgpr52_vgpr53
                                        ; implicit-def: $vgpr54_vgpr55
                                        ; implicit-def: $vgpr56_vgpr57
                                        ; implicit-def: $vgpr58_vgpr59
                                        ; implicit-def: $vgpr60_vgpr61
                                        ; implicit-def: $vgpr62_vgpr63
                                        ; implicit-def: $vgpr120
                                        ; implicit-def: $vgpr121
                                        ; implicit-def: $vgpr122
                                        ; implicit-def: $vgpr123
                                        ; implicit-def: $vgpr124
                                        ; implicit-def: $vgpr125
                                        ; implicit-def: $vgpr126
                                        ; implicit-def: $vgpr127
                                        ; implicit-def: $vgpr128
                                        ; implicit-def: $vgpr129
                                        ; implicit-def: $vgpr130
                                        ; implicit-def: $vgpr131
                                        ; implicit-def: $vgpr132
                                        ; implicit-def: $vgpr134
                                        ; implicit-def: $vgpr135
                                        ; implicit-def: $vgpr136
                                        ; implicit-def: $vgpr137
                                        ; implicit-def: $vgpr133
                                        ; implicit-def: $vgpr138
	s_wait_kmcnt 0x0
	s_cmp_lt_u32 s51, s14
	s_cselect_b32 s42, 12, 18
	s_cmp_lt_u32 s35, s15
	s_mov_b32 s15, s43
	s_cselect_b32 s14, 14, 20
	s_delay_alu instid0(SALU_CYCLE_1)
	s_add_nc_u64 s[14:15], s[52:53], s[14:15]
	s_load_u16 s16, s[14:15], 0x0
	s_wait_xcnt 0x0
	s_add_nc_u64 s[14:15], s[52:53], s[42:43]
	s_mov_b32 s42, s55
	s_load_u16 s14, s[14:15], 0x0
	s_wait_xcnt 0x0
	v_cmp_lt_u32_e64 s15, 1, v103
	s_wait_dscnt 0x0
	s_wait_kmcnt 0x0
	v_mad_u32_u24 v25, v89, s16, v91
	v_cmp_lt_u32_e64 s16, 3, v103
	s_delay_alu instid0(VALU_DEP_2) | instskip(SKIP_2) | instid1(VALU_DEP_3)
	v_mad_u32 v26, v25, s14, v2
	v_mov_b32_e32 v25, v1
	v_cmp_eq_u32_e64 s14, 0, v103
	v_lshrrev_b32_e32 v30, 3, v26
	v_add_nc_u64_e32 v[26:27], v[14:15], v[0:1]
	s_delay_alu instid0(VALU_DEP_4) | instskip(NEXT) | instid1(VALU_DEP_3)
	v_add_nc_u64_e32 v[28:29], v[16:17], v[24:25]
	v_and_b32_e32 v25, 0x1ffffffc, v30
                                        ; implicit-def: $vgpr30_vgpr31
	s_branch .LBB1320_1032
.LBB1320_1031:                          ;   in Loop: Header=BB1320_1032 Depth=2
	s_or_b32 exec_lo, exec_lo, s17
	s_addk_co_i32 s59, 0xef00
	s_cmp_lt_u32 s60, s54
	s_mov_b32 s42, s60
	s_cbranch_scc0 .LBB1320_10
.LBB1320_1032:                          ;   Parent Loop BB1320_12 Depth=1
                                        ; =>  This Inner Loop Header: Depth=2
	s_add_co_i32 s60, s42, 0x1100
	s_delay_alu instid0(SALU_CYCLE_1)
	s_cmp_gt_u32 s60, s54
	s_cbranch_scc1 .LBB1320_1034
; %bb.1033:                             ;   in Loop: Header=BB1320_1032 Depth=2
	s_delay_alu instid0(VALU_DEP_2)
	v_lshl_add_u64 v[64:65], s[42:43], 2, v[28:29]
	s_mov_b32 s17, -1
	s_clause 0xf
	global_load_b32 v140, v[64:65], off
	global_load_b32 v142, v[64:65], off offset:128
	global_load_b32 v144, v[64:65], off offset:256
	;; [unrolled: 1-line block ×15, first 2 shown]
	s_movk_i32 s18, 0x1100
	s_cbranch_execz .LBB1320_1035
	s_branch .LBB1320_1068
.LBB1320_1034:                          ;   in Loop: Header=BB1320_1032 Depth=2
	s_mov_b32 s17, 0
                                        ; implicit-def: $vgpr140
                                        ; implicit-def: $vgpr142
                                        ; implicit-def: $vgpr144
                                        ; implicit-def: $vgpr148
                                        ; implicit-def: $vgpr153
                                        ; implicit-def: $vgpr158
                                        ; implicit-def: $vgpr163
                                        ; implicit-def: $vgpr168
                                        ; implicit-def: $vgpr173
                                        ; implicit-def: $vgpr171
                                        ; implicit-def: $vgpr166
                                        ; implicit-def: $vgpr161
                                        ; implicit-def: $vgpr157
                                        ; implicit-def: $vgpr152
                                        ; implicit-def: $vgpr67
                                        ; implicit-def: $vgpr66
	s_movk_i32 s18, 0x1100
.LBB1320_1035:                          ;   in Loop: Header=BB1320_1032 Depth=2
	s_wait_xcnt 0x0
	v_lshl_add_u64 v[64:65], s[42:43], 2, v[28:29]
	s_wait_loadcnt 0xe
	v_dual_mov_b32 v142, -1 :: v_dual_mov_b32 v140, -1
	s_mov_b32 s17, exec_lo
	v_cmpx_gt_u32_e64 s59, v101
	s_cbranch_execz .LBB1320_1037
; %bb.1036:                             ;   in Loop: Header=BB1320_1032 Depth=2
	global_load_b32 v140, v[64:65], off
.LBB1320_1037:                          ;   in Loop: Header=BB1320_1032 Depth=2
	s_wait_xcnt 0x0
	s_or_b32 exec_lo, exec_lo, s17
	s_delay_alu instid0(SALU_CYCLE_1)
	s_mov_b32 s17, exec_lo
	v_cmpx_gt_u32_e64 s59, v104
	s_cbranch_execz .LBB1320_1039
; %bb.1038:                             ;   in Loop: Header=BB1320_1032 Depth=2
	global_load_b32 v142, v[64:65], off offset:128
.LBB1320_1039:                          ;   in Loop: Header=BB1320_1032 Depth=2
	s_wait_xcnt 0x0
	s_or_b32 exec_lo, exec_lo, s17
	s_wait_loadcnt 0xc
	v_dual_mov_b32 v148, -1 :: v_dual_mov_b32 v144, -1
	s_mov_b32 s17, exec_lo
	v_cmpx_gt_u32_e64 s59, v105
	s_cbranch_execz .LBB1320_1041
; %bb.1040:                             ;   in Loop: Header=BB1320_1032 Depth=2
	global_load_b32 v144, v[64:65], off offset:256
.LBB1320_1041:                          ;   in Loop: Header=BB1320_1032 Depth=2
	s_wait_xcnt 0x0
	s_or_b32 exec_lo, exec_lo, s17
	s_delay_alu instid0(SALU_CYCLE_1)
	s_mov_b32 s17, exec_lo
	v_cmpx_gt_u32_e64 s59, v106
	s_cbranch_execz .LBB1320_1043
; %bb.1042:                             ;   in Loop: Header=BB1320_1032 Depth=2
	global_load_b32 v148, v[64:65], off offset:384
.LBB1320_1043:                          ;   in Loop: Header=BB1320_1032 Depth=2
	s_wait_xcnt 0x0
	s_or_b32 exec_lo, exec_lo, s17
	s_wait_loadcnt 0xa
	v_dual_mov_b32 v158, -1 :: v_dual_mov_b32 v153, -1
	s_mov_b32 s17, exec_lo
	v_cmpx_gt_u32_e64 s59, v107
	s_cbranch_execz .LBB1320_1045
; %bb.1044:                             ;   in Loop: Header=BB1320_1032 Depth=2
	global_load_b32 v153, v[64:65], off offset:512
.LBB1320_1045:                          ;   in Loop: Header=BB1320_1032 Depth=2
	;; [unrolled: 19-line block ×7, first 2 shown]
	s_wait_xcnt 0x0
	s_or_b32 exec_lo, exec_lo, s17
	s_delay_alu instid0(SALU_CYCLE_1)
	s_mov_b32 s17, exec_lo
	v_cmpx_gt_u32_e64 s59, v118
	s_cbranch_execz .LBB1320_1067
; %bb.1066:                             ;   in Loop: Header=BB1320_1032 Depth=2
	global_load_b32 v66, v[64:65], off offset:1920
.LBB1320_1067:                          ;   in Loop: Header=BB1320_1032 Depth=2
	s_wait_xcnt 0x0
	s_or_b32 exec_lo, exec_lo, s17
	v_cmp_gt_u32_e64 s17, s59, v5
	s_sub_co_i32 s18, s54, s42
.LBB1320_1068:                          ;   in Loop: Header=BB1320_1032 Depth=2
	s_wait_xcnt 0x0
	v_dual_mov_b32 v64, -1 :: v_dual_mov_b32 v139, s59
	s_and_saveexec_b32 s19, s17
	s_cbranch_execz .LBB1320_1070
; %bb.1069:                             ;   in Loop: Header=BB1320_1032 Depth=2
	v_lshl_add_u64 v[64:65], s[42:43], 2, v[28:29]
	v_mov_b32_e32 v139, s18
	global_load_b32 v64, v[64:65], off offset:2048
.LBB1320_1070:                          ;   in Loop: Header=BB1320_1032 Depth=2
	s_wait_xcnt 0x0
	s_or_b32 exec_lo, exec_lo, s19
	s_wait_loadcnt 0xf
	v_cmp_gt_i32_e32 vcc_lo, 0, v140
	ds_store_2addr_b32 v90, v1, v1 offset0:136 offset1:137
	ds_store_2addr_b32 v90, v1, v1 offset0:138 offset1:139
	ds_store_b32 v90, v1 offset:560
	s_wait_loadcnt_dscnt 0x0
	s_barrier_signal -1
	s_barrier_wait -1
	v_cndmask_b32_e64 v65, 0x7fffffff, 0, vcc_lo
	; wave barrier
	s_delay_alu instid0(VALU_DEP_1) | instskip(NEXT) | instid1(VALU_DEP_1)
	v_xor_b32_e32 v140, v65, v140
	v_cmp_ne_u32_e32 vcc_lo, 0x80000000, v140
	v_cndmask_b32_e32 v65, 0x7fffffff, v140, vcc_lo
	s_delay_alu instid0(VALU_DEP_1) | instskip(NEXT) | instid1(VALU_DEP_1)
	v_lshrrev_b32_e32 v65, s49, v65
	v_bitop3_b32 v141, v65, 1, s58 bitop3:0x80
	v_and_b32_e32 v143, s58, v65
	s_delay_alu instid0(VALU_DEP_2) | instskip(NEXT) | instid1(VALU_DEP_1)
	v_add_co_u32 v65, s17, v141, -1
	v_cndmask_b32_e64 v141, 0, 1, s17
	s_delay_alu instid0(VALU_DEP_3) | instskip(SKIP_1) | instid1(VALU_DEP_3)
	v_dual_lshlrev_b32 v145, 30, v143 :: v_dual_lshlrev_b32 v147, 28, v143
	v_lshlrev_b32_e32 v146, 29, v143
	v_cmp_ne_u32_e32 vcc_lo, 0, v141
	s_delay_alu instid0(VALU_DEP_3) | instskip(SKIP_1) | instid1(VALU_DEP_4)
	v_cmp_gt_i32_e64 s17, 0, v145
	v_not_b32_e32 v141, v145
	v_cmp_gt_i32_e64 s18, 0, v146
	v_not_b32_e32 v145, v146
	v_not_b32_e32 v146, v147
	v_cmp_gt_i32_e64 s19, 0, v147
	v_ashrrev_i32_e32 v141, 31, v141
	v_bitop3_b32 v65, vcc_lo, exec_lo, v65 bitop3:0x48
	s_delay_alu instid0(VALU_DEP_4) | instskip(SKIP_2) | instid1(VALU_DEP_3)
	v_dual_ashrrev_i32 v146, 31, v146 :: v_dual_lshlrev_b32 v149, 27, v143
	v_dual_lshlrev_b32 v150, 26, v143 :: v_dual_lshlrev_b32 v151, 25, v143
	v_mul_u32_u24_e32 v143, 36, v143
	v_xor_b32_e32 v146, s19, v146
	s_delay_alu instid0(VALU_DEP_4)
	v_not_b32_e32 v147, v149
	v_ashrrev_i32_e32 v145, 31, v145
	v_cmp_gt_i32_e64 s20, 0, v149
	v_cmp_gt_i32_e64 s21, 0, v150
	v_not_b32_e32 v149, v150
	v_not_b32_e32 v150, v151
	v_dual_ashrrev_i32 v147, 31, v147 :: v_dual_bitop2_b32 v141, s17, v141 bitop3:0x14
	v_dual_add_nc_u32 v143, v25, v143 :: v_dual_bitop2_b32 v145, s18, v145 bitop3:0x14
	v_cmp_gt_i32_e64 s22, 0, v151
	s_delay_alu instid0(VALU_DEP_4) | instskip(NEXT) | instid1(VALU_DEP_4)
	v_dual_ashrrev_i32 v149, 31, v149 :: v_dual_ashrrev_i32 v150, 31, v150
	v_xor_b32_e32 v147, s20, v147
	s_delay_alu instid0(VALU_DEP_4) | instskip(NEXT) | instid1(VALU_DEP_3)
	v_bitop3_b32 v65, v65, v145, v141 bitop3:0x80
	v_xor_b32_e32 v141, s21, v149
	s_delay_alu instid0(VALU_DEP_4) | instskip(NEXT) | instid1(VALU_DEP_3)
	v_xor_b32_e32 v145, s22, v150
	v_bitop3_b32 v65, v65, v147, v146 bitop3:0x80
	s_delay_alu instid0(VALU_DEP_1) | instskip(NEXT) | instid1(VALU_DEP_1)
	v_bitop3_b32 v65, v65, v145, v141 bitop3:0x80
	v_mbcnt_lo_u32_b32 v141, v65, 0
	v_cmp_ne_u32_e64 s17, 0, v65
	s_delay_alu instid0(VALU_DEP_2) | instskip(SKIP_1) | instid1(SALU_CYCLE_1)
	v_cmp_eq_u32_e32 vcc_lo, 0, v141
	s_and_b32 s18, s17, vcc_lo
	s_and_saveexec_b32 s17, s18
; %bb.1071:                             ;   in Loop: Header=BB1320_1032 Depth=2
	v_bcnt_u32_b32 v65, v65, 0
	ds_store_b32 v143, v65 offset:544
; %bb.1072:                             ;   in Loop: Header=BB1320_1032 Depth=2
	s_or_b32 exec_lo, exec_lo, s17
	v_cmp_gt_i32_e32 vcc_lo, 0, v142
	; wave barrier
	v_cndmask_b32_e64 v65, 0x7fffffff, 0, vcc_lo
	s_delay_alu instid0(VALU_DEP_1) | instskip(NEXT) | instid1(VALU_DEP_1)
	v_xor_b32_e32 v142, v65, v142
	v_cmp_ne_u32_e32 vcc_lo, 0x80000000, v142
	v_cndmask_b32_e32 v65, 0x7fffffff, v142, vcc_lo
	s_delay_alu instid0(VALU_DEP_1) | instskip(NEXT) | instid1(VALU_DEP_1)
	v_lshrrev_b32_e32 v65, s49, v65
	v_bitop3_b32 v145, v65, 1, s58 bitop3:0x80
	v_and_b32_e32 v147, s58, v65
	s_delay_alu instid0(VALU_DEP_2) | instskip(NEXT) | instid1(VALU_DEP_1)
	v_add_co_u32 v65, s17, v145, -1
	v_cndmask_b32_e64 v145, 0, 1, s17
	s_delay_alu instid0(VALU_DEP_3) | instskip(NEXT) | instid1(VALU_DEP_2)
	v_dual_lshlrev_b32 v146, 30, v147 :: v_dual_lshlrev_b32 v149, 29, v147
	v_cmp_ne_u32_e32 vcc_lo, 0, v145
	s_delay_alu instid0(VALU_DEP_2) | instskip(SKIP_1) | instid1(VALU_DEP_4)
	v_cmp_gt_i32_e64 s17, 0, v146
	v_not_b32_e32 v145, v146
	v_not_b32_e32 v146, v149
	v_bitop3_b32 v65, vcc_lo, exec_lo, v65 bitop3:0x48
	s_delay_alu instid0(VALU_DEP_2) | instskip(SKIP_3) | instid1(VALU_DEP_3)
	v_dual_ashrrev_i32 v145, 31, v145 :: v_dual_ashrrev_i32 v146, 31, v146
	v_dual_lshlrev_b32 v150, 28, v147 :: v_dual_lshlrev_b32 v151, 27, v147
	v_dual_lshlrev_b32 v154, 26, v147 :: v_dual_lshlrev_b32 v155, 25, v147
	v_cmp_gt_i32_e64 s18, 0, v149
	v_cmp_gt_i32_e64 s19, 0, v150
	v_not_b32_e32 v149, v150
	v_not_b32_e32 v150, v151
	v_cmp_gt_i32_e64 s20, 0, v151
	v_cmp_gt_i32_e64 s21, 0, v154
	v_not_b32_e32 v151, v154
	v_not_b32_e32 v154, v155
	v_dual_ashrrev_i32 v149, 31, v149 :: v_dual_ashrrev_i32 v150, 31, v150
	s_delay_alu instid0(VALU_DEP_3) | instskip(SKIP_2) | instid1(VALU_DEP_4)
	v_dual_ashrrev_i32 v151, 31, v151 :: v_dual_bitop2_b32 v145, s17, v145 bitop3:0x14
	v_xor_b32_e32 v146, s18, v146
	v_cmp_gt_i32_e64 s22, 0, v155
	v_dual_ashrrev_i32 v154, 31, v154 :: v_dual_bitop2_b32 v149, s19, v149 bitop3:0x14
	v_xor_b32_e32 v150, s20, v150
	s_delay_alu instid0(VALU_DEP_4)
	v_bitop3_b32 v65, v65, v146, v145 bitop3:0x80
	v_mad_u32_u24 v145, v147, 36, v25
	v_xor_b32_e32 v146, s21, v151
	v_xor_b32_e32 v151, s22, v154
	v_mul_u32_u24_e32 v147, 36, v147
	v_bitop3_b32 v65, v65, v150, v149 bitop3:0x80
	ds_load_b32 v145, v145 offset:544
	; wave barrier
	v_add_nc_u32_e32 v147, v25, v147
	v_bitop3_b32 v65, v65, v151, v146 bitop3:0x80
	s_delay_alu instid0(VALU_DEP_1) | instskip(SKIP_1) | instid1(VALU_DEP_2)
	v_mbcnt_lo_u32_b32 v146, v65, 0
	v_cmp_ne_u32_e64 s17, 0, v65
	v_cmp_eq_u32_e32 vcc_lo, 0, v146
	s_and_b32 s18, s17, vcc_lo
	s_delay_alu instid0(SALU_CYCLE_1)
	s_and_saveexec_b32 s17, s18
	s_cbranch_execz .LBB1320_1074
; %bb.1073:                             ;   in Loop: Header=BB1320_1032 Depth=2
	s_wait_dscnt 0x0
	v_bcnt_u32_b32 v65, v65, v145
	ds_store_b32 v147, v65 offset:544
.LBB1320_1074:                          ;   in Loop: Header=BB1320_1032 Depth=2
	s_or_b32 exec_lo, exec_lo, s17
	v_cmp_gt_i32_e32 vcc_lo, 0, v144
	; wave barrier
	v_cndmask_b32_e64 v65, 0x7fffffff, 0, vcc_lo
	s_delay_alu instid0(VALU_DEP_1) | instskip(NEXT) | instid1(VALU_DEP_1)
	v_xor_b32_e32 v144, v65, v144
	v_cmp_ne_u32_e32 vcc_lo, 0x80000000, v144
	v_cndmask_b32_e32 v65, 0x7fffffff, v144, vcc_lo
	s_delay_alu instid0(VALU_DEP_1) | instskip(NEXT) | instid1(VALU_DEP_1)
	v_lshrrev_b32_e32 v65, s49, v65
	v_bitop3_b32 v149, v65, 1, s58 bitop3:0x80
	v_and_b32_e32 v151, s58, v65
	s_delay_alu instid0(VALU_DEP_2) | instskip(NEXT) | instid1(VALU_DEP_1)
	v_add_co_u32 v65, s17, v149, -1
	v_cndmask_b32_e64 v149, 0, 1, s17
	s_delay_alu instid0(VALU_DEP_3) | instskip(NEXT) | instid1(VALU_DEP_2)
	v_dual_lshlrev_b32 v150, 30, v151 :: v_dual_lshlrev_b32 v154, 29, v151
	v_cmp_ne_u32_e32 vcc_lo, 0, v149
	s_delay_alu instid0(VALU_DEP_2) | instskip(SKIP_1) | instid1(VALU_DEP_4)
	v_cmp_gt_i32_e64 s17, 0, v150
	v_not_b32_e32 v149, v150
	v_not_b32_e32 v150, v154
	v_bitop3_b32 v65, vcc_lo, exec_lo, v65 bitop3:0x48
	s_delay_alu instid0(VALU_DEP_2) | instskip(SKIP_3) | instid1(VALU_DEP_3)
	v_dual_ashrrev_i32 v149, 31, v149 :: v_dual_ashrrev_i32 v150, 31, v150
	v_dual_lshlrev_b32 v155, 28, v151 :: v_dual_lshlrev_b32 v156, 27, v151
	v_dual_lshlrev_b32 v159, 26, v151 :: v_dual_lshlrev_b32 v160, 25, v151
	v_cmp_gt_i32_e64 s18, 0, v154
	v_cmp_gt_i32_e64 s19, 0, v155
	v_not_b32_e32 v154, v155
	v_not_b32_e32 v155, v156
	v_cmp_gt_i32_e64 s20, 0, v156
	v_cmp_gt_i32_e64 s21, 0, v159
	v_not_b32_e32 v156, v159
	v_not_b32_e32 v159, v160
	v_dual_ashrrev_i32 v154, 31, v154 :: v_dual_ashrrev_i32 v155, 31, v155
	s_delay_alu instid0(VALU_DEP_3) | instskip(NEXT) | instid1(VALU_DEP_3)
	v_dual_ashrrev_i32 v156, 31, v156 :: v_dual_bitop2_b32 v149, s17, v149 bitop3:0x14
	v_dual_ashrrev_i32 v159, 31, v159 :: v_dual_bitop2_b32 v150, s18, v150 bitop3:0x14
	v_cmp_gt_i32_e64 s22, 0, v160
	s_delay_alu instid0(VALU_DEP_4) | instskip(NEXT) | instid1(VALU_DEP_3)
	v_xor_b32_e32 v155, s20, v155
	v_bitop3_b32 v65, v65, v150, v149 bitop3:0x80
	v_mad_u32_u24 v149, v151, 36, v25
	v_mul_u32_u24_e32 v151, 36, v151
	v_xor_b32_e32 v154, s19, v154
	v_xor_b32_e32 v150, s21, v156
	;; [unrolled: 1-line block ×3, first 2 shown]
	ds_load_b32 v149, v149 offset:544
	v_add_nc_u32_e32 v151, v25, v151
	v_bitop3_b32 v65, v65, v155, v154 bitop3:0x80
	; wave barrier
	s_delay_alu instid0(VALU_DEP_1) | instskip(NEXT) | instid1(VALU_DEP_1)
	v_bitop3_b32 v65, v65, v156, v150 bitop3:0x80
	v_mbcnt_lo_u32_b32 v150, v65, 0
	v_cmp_ne_u32_e64 s17, 0, v65
	s_delay_alu instid0(VALU_DEP_2) | instskip(SKIP_1) | instid1(SALU_CYCLE_1)
	v_cmp_eq_u32_e32 vcc_lo, 0, v150
	s_and_b32 s18, s17, vcc_lo
	s_and_saveexec_b32 s17, s18
	s_cbranch_execz .LBB1320_1076
; %bb.1075:                             ;   in Loop: Header=BB1320_1032 Depth=2
	s_wait_dscnt 0x0
	v_bcnt_u32_b32 v65, v65, v149
	ds_store_b32 v151, v65 offset:544
.LBB1320_1076:                          ;   in Loop: Header=BB1320_1032 Depth=2
	s_or_b32 exec_lo, exec_lo, s17
	v_cmp_gt_i32_e32 vcc_lo, 0, v148
	; wave barrier
	v_cndmask_b32_e64 v65, 0x7fffffff, 0, vcc_lo
	s_delay_alu instid0(VALU_DEP_1) | instskip(NEXT) | instid1(VALU_DEP_1)
	v_xor_b32_e32 v148, v65, v148
	v_cmp_ne_u32_e32 vcc_lo, 0x80000000, v148
	v_cndmask_b32_e32 v65, 0x7fffffff, v148, vcc_lo
	s_delay_alu instid0(VALU_DEP_1) | instskip(NEXT) | instid1(VALU_DEP_1)
	v_lshrrev_b32_e32 v65, s49, v65
	v_bitop3_b32 v154, v65, 1, s58 bitop3:0x80
	v_and_b32_e32 v156, s58, v65
	s_delay_alu instid0(VALU_DEP_2) | instskip(NEXT) | instid1(VALU_DEP_1)
	v_add_co_u32 v65, s17, v154, -1
	v_cndmask_b32_e64 v154, 0, 1, s17
	s_delay_alu instid0(VALU_DEP_3) | instskip(NEXT) | instid1(VALU_DEP_2)
	v_dual_lshlrev_b32 v155, 30, v156 :: v_dual_lshlrev_b32 v159, 29, v156
	v_cmp_ne_u32_e32 vcc_lo, 0, v154
	s_delay_alu instid0(VALU_DEP_2) | instskip(SKIP_1) | instid1(VALU_DEP_4)
	v_cmp_gt_i32_e64 s17, 0, v155
	v_not_b32_e32 v154, v155
	v_not_b32_e32 v155, v159
	v_cmp_gt_i32_e64 s18, 0, v159
	v_bitop3_b32 v65, vcc_lo, exec_lo, v65 bitop3:0x48
	s_delay_alu instid0(VALU_DEP_3) | instskip(SKIP_2) | instid1(VALU_DEP_2)
	v_dual_ashrrev_i32 v154, 31, v154 :: v_dual_ashrrev_i32 v155, 31, v155
	v_dual_lshlrev_b32 v160, 28, v156 :: v_dual_lshlrev_b32 v162, 27, v156
	v_dual_lshlrev_b32 v164, 26, v156 :: v_dual_lshlrev_b32 v165, 25, v156
	v_cmp_gt_i32_e64 s19, 0, v160
	v_not_b32_e32 v159, v160
	s_delay_alu instid0(VALU_DEP_4)
	v_not_b32_e32 v160, v162
	v_cmp_gt_i32_e64 s20, 0, v162
	v_cmp_gt_i32_e64 s21, 0, v164
	v_not_b32_e32 v162, v164
	v_not_b32_e32 v164, v165
	v_dual_ashrrev_i32 v159, 31, v159 :: v_dual_ashrrev_i32 v160, 31, v160
	v_xor_b32_e32 v154, s17, v154
	s_delay_alu instid0(VALU_DEP_4) | instskip(SKIP_3) | instid1(VALU_DEP_4)
	v_dual_ashrrev_i32 v162, 31, v162 :: v_dual_bitop2_b32 v155, s18, v155 bitop3:0x14
	v_cmp_gt_i32_e64 s22, 0, v165
	v_ashrrev_i32_e32 v164, 31, v164
	v_xor_b32_e32 v160, s20, v160
	v_bitop3_b32 v65, v65, v155, v154 bitop3:0x80
	v_mad_u32_u24 v154, v156, 36, v25
	v_mul_u32_u24_e32 v156, 36, v156
	v_xor_b32_e32 v159, s19, v159
	v_xor_b32_e32 v155, s21, v162
	;; [unrolled: 1-line block ×3, first 2 shown]
	ds_load_b32 v154, v154 offset:544
	v_add_nc_u32_e32 v156, v25, v156
	v_bitop3_b32 v65, v65, v160, v159 bitop3:0x80
	; wave barrier
	s_delay_alu instid0(VALU_DEP_1) | instskip(NEXT) | instid1(VALU_DEP_1)
	v_bitop3_b32 v65, v65, v162, v155 bitop3:0x80
	v_mbcnt_lo_u32_b32 v155, v65, 0
	v_cmp_ne_u32_e64 s17, 0, v65
	s_delay_alu instid0(VALU_DEP_2) | instskip(SKIP_1) | instid1(SALU_CYCLE_1)
	v_cmp_eq_u32_e32 vcc_lo, 0, v155
	s_and_b32 s18, s17, vcc_lo
	s_and_saveexec_b32 s17, s18
	s_cbranch_execz .LBB1320_1078
; %bb.1077:                             ;   in Loop: Header=BB1320_1032 Depth=2
	s_wait_dscnt 0x0
	v_bcnt_u32_b32 v65, v65, v154
	ds_store_b32 v156, v65 offset:544
.LBB1320_1078:                          ;   in Loop: Header=BB1320_1032 Depth=2
	s_or_b32 exec_lo, exec_lo, s17
	v_cmp_gt_i32_e32 vcc_lo, 0, v153
	; wave barrier
	v_cndmask_b32_e64 v65, 0x7fffffff, 0, vcc_lo
	s_delay_alu instid0(VALU_DEP_1) | instskip(NEXT) | instid1(VALU_DEP_1)
	v_xor_b32_e32 v153, v65, v153
	v_cmp_ne_u32_e32 vcc_lo, 0x80000000, v153
	v_cndmask_b32_e32 v65, 0x7fffffff, v153, vcc_lo
	s_delay_alu instid0(VALU_DEP_1) | instskip(NEXT) | instid1(VALU_DEP_1)
	v_lshrrev_b32_e32 v65, s49, v65
	v_and_b32_e32 v162, s58, v65
	s_delay_alu instid0(VALU_DEP_1) | instskip(SKIP_2) | instid1(VALU_DEP_3)
	v_lshlrev_b32_e32 v165, 28, v162
	v_bitop3_b32 v159, v65, 1, s58 bitop3:0x80
	v_lshlrev_b32_e32 v160, 30, v162
	v_cmp_gt_i32_e64 s19, 0, v165
	s_delay_alu instid0(VALU_DEP_3) | instskip(NEXT) | instid1(VALU_DEP_1)
	v_add_co_u32 v65, s17, v159, -1
	v_cndmask_b32_e64 v159, 0, 1, s17
	s_delay_alu instid0(VALU_DEP_4) | instskip(NEXT) | instid1(VALU_DEP_2)
	v_cmp_gt_i32_e64 s17, 0, v160
	v_cmp_ne_u32_e32 vcc_lo, 0, v159
	v_not_b32_e32 v159, v160
	v_bitop3_b32 v65, vcc_lo, exec_lo, v65 bitop3:0x48
	s_delay_alu instid0(VALU_DEP_2) | instskip(SKIP_1) | instid1(VALU_DEP_2)
	v_dual_ashrrev_i32 v159, 31, v159 :: v_dual_lshlrev_b32 v164, 29, v162
	v_dual_lshlrev_b32 v167, 27, v162 :: v_dual_lshlrev_b32 v169, 26, v162
	v_not_b32_e32 v160, v164
	v_lshlrev_b32_e32 v170, 25, v162
	v_cmp_gt_i32_e64 s18, 0, v164
	v_not_b32_e32 v164, v165
	v_not_b32_e32 v165, v167
	v_ashrrev_i32_e32 v160, 31, v160
	v_cmp_gt_i32_e64 s20, 0, v167
	v_cmp_gt_i32_e64 s21, 0, v169
	v_not_b32_e32 v167, v169
	v_not_b32_e32 v169, v170
	v_dual_ashrrev_i32 v164, 31, v164 :: v_dual_ashrrev_i32 v165, 31, v165
	v_xor_b32_e32 v159, s17, v159
	s_delay_alu instid0(VALU_DEP_4) | instskip(SKIP_3) | instid1(VALU_DEP_4)
	v_dual_ashrrev_i32 v167, 31, v167 :: v_dual_bitop2_b32 v160, s18, v160 bitop3:0x14
	v_cmp_gt_i32_e64 s22, 0, v170
	v_ashrrev_i32_e32 v169, 31, v169
	v_xor_b32_e32 v165, s20, v165
	v_bitop3_b32 v65, v65, v160, v159 bitop3:0x80
	v_mad_u32_u24 v159, v162, 36, v25
	v_mul_u32_u24_e32 v162, 36, v162
	v_xor_b32_e32 v164, s19, v164
	v_xor_b32_e32 v160, s21, v167
	;; [unrolled: 1-line block ×3, first 2 shown]
	ds_load_b32 v159, v159 offset:544
	v_add_nc_u32_e32 v162, v25, v162
	v_bitop3_b32 v65, v65, v165, v164 bitop3:0x80
	; wave barrier
	s_delay_alu instid0(VALU_DEP_1) | instskip(NEXT) | instid1(VALU_DEP_1)
	v_bitop3_b32 v65, v65, v167, v160 bitop3:0x80
	v_mbcnt_lo_u32_b32 v160, v65, 0
	v_cmp_ne_u32_e64 s17, 0, v65
	s_delay_alu instid0(VALU_DEP_2) | instskip(SKIP_1) | instid1(SALU_CYCLE_1)
	v_cmp_eq_u32_e32 vcc_lo, 0, v160
	s_and_b32 s18, s17, vcc_lo
	s_and_saveexec_b32 s17, s18
	s_cbranch_execz .LBB1320_1080
; %bb.1079:                             ;   in Loop: Header=BB1320_1032 Depth=2
	s_wait_dscnt 0x0
	v_bcnt_u32_b32 v65, v65, v159
	ds_store_b32 v162, v65 offset:544
.LBB1320_1080:                          ;   in Loop: Header=BB1320_1032 Depth=2
	s_or_b32 exec_lo, exec_lo, s17
	v_cmp_gt_i32_e32 vcc_lo, 0, v158
	; wave barrier
	v_cndmask_b32_e64 v65, 0x7fffffff, 0, vcc_lo
	s_delay_alu instid0(VALU_DEP_1) | instskip(NEXT) | instid1(VALU_DEP_1)
	v_xor_b32_e32 v158, v65, v158
	v_cmp_ne_u32_e32 vcc_lo, 0x80000000, v158
	v_cndmask_b32_e32 v65, 0x7fffffff, v158, vcc_lo
	s_delay_alu instid0(VALU_DEP_1) | instskip(NEXT) | instid1(VALU_DEP_1)
	v_lshrrev_b32_e32 v65, s49, v65
	v_bitop3_b32 v164, v65, 1, s58 bitop3:0x80
	v_and_b32_e32 v167, s58, v65
	s_delay_alu instid0(VALU_DEP_2) | instskip(NEXT) | instid1(VALU_DEP_1)
	v_add_co_u32 v65, s17, v164, -1
	v_cndmask_b32_e64 v164, 0, 1, s17
	s_delay_alu instid0(VALU_DEP_3) | instskip(NEXT) | instid1(VALU_DEP_2)
	v_lshlrev_b32_e32 v165, 30, v167
	v_cmp_ne_u32_e32 vcc_lo, 0, v164
	s_delay_alu instid0(VALU_DEP_2) | instskip(SKIP_1) | instid1(VALU_DEP_2)
	v_not_b32_e32 v164, v165
	v_bitop3_b32 v65, vcc_lo, exec_lo, v65 bitop3:0x48
	v_dual_ashrrev_i32 v164, 31, v164 :: v_dual_lshlrev_b32 v169, 29, v167
	v_dual_lshlrev_b32 v170, 28, v167 :: v_dual_lshlrev_b32 v172, 27, v167
	v_lshlrev_b32_e32 v174, 26, v167
	v_cmp_gt_i32_e64 s17, 0, v165
	s_delay_alu instid0(VALU_DEP_4)
	v_not_b32_e32 v165, v169
	v_lshlrev_b32_e32 v175, 25, v167
	v_cmp_gt_i32_e64 s18, 0, v169
	v_cmp_gt_i32_e64 s19, 0, v170
	v_not_b32_e32 v169, v170
	v_not_b32_e32 v170, v172
	v_ashrrev_i32_e32 v165, 31, v165
	v_cmp_gt_i32_e64 s20, 0, v172
	v_cmp_gt_i32_e64 s21, 0, v174
	v_not_b32_e32 v172, v174
	v_not_b32_e32 v174, v175
	v_dual_ashrrev_i32 v169, 31, v169 :: v_dual_ashrrev_i32 v170, 31, v170
	v_xor_b32_e32 v164, s17, v164
	s_delay_alu instid0(VALU_DEP_4) | instskip(SKIP_3) | instid1(VALU_DEP_4)
	v_dual_ashrrev_i32 v172, 31, v172 :: v_dual_bitop2_b32 v165, s18, v165 bitop3:0x14
	v_cmp_gt_i32_e64 s22, 0, v175
	v_ashrrev_i32_e32 v174, 31, v174
	v_xor_b32_e32 v170, s20, v170
	v_bitop3_b32 v65, v65, v165, v164 bitop3:0x80
	v_mad_u32_u24 v164, v167, 36, v25
	v_mul_u32_u24_e32 v167, 36, v167
	v_xor_b32_e32 v169, s19, v169
	v_xor_b32_e32 v165, s21, v172
	;; [unrolled: 1-line block ×3, first 2 shown]
	ds_load_b32 v164, v164 offset:544
	v_add_nc_u32_e32 v167, v25, v167
	v_bitop3_b32 v65, v65, v170, v169 bitop3:0x80
	; wave barrier
	s_delay_alu instid0(VALU_DEP_1) | instskip(NEXT) | instid1(VALU_DEP_1)
	v_bitop3_b32 v65, v65, v172, v165 bitop3:0x80
	v_mbcnt_lo_u32_b32 v165, v65, 0
	v_cmp_ne_u32_e64 s17, 0, v65
	s_delay_alu instid0(VALU_DEP_2) | instskip(SKIP_1) | instid1(SALU_CYCLE_1)
	v_cmp_eq_u32_e32 vcc_lo, 0, v165
	s_and_b32 s18, s17, vcc_lo
	s_and_saveexec_b32 s17, s18
	s_cbranch_execz .LBB1320_1082
; %bb.1081:                             ;   in Loop: Header=BB1320_1032 Depth=2
	s_wait_dscnt 0x0
	v_bcnt_u32_b32 v65, v65, v164
	ds_store_b32 v167, v65 offset:544
.LBB1320_1082:                          ;   in Loop: Header=BB1320_1032 Depth=2
	s_or_b32 exec_lo, exec_lo, s17
	v_cmp_gt_i32_e32 vcc_lo, 0, v163
	; wave barrier
	v_cndmask_b32_e64 v65, 0x7fffffff, 0, vcc_lo
	s_delay_alu instid0(VALU_DEP_1) | instskip(NEXT) | instid1(VALU_DEP_1)
	v_xor_b32_e32 v163, v65, v163
	v_cmp_ne_u32_e32 vcc_lo, 0x80000000, v163
	v_cndmask_b32_e32 v65, 0x7fffffff, v163, vcc_lo
	s_delay_alu instid0(VALU_DEP_1) | instskip(NEXT) | instid1(VALU_DEP_1)
	v_lshrrev_b32_e32 v65, s49, v65
	v_bitop3_b32 v169, v65, 1, s58 bitop3:0x80
	v_and_b32_e32 v172, s58, v65
	s_delay_alu instid0(VALU_DEP_2) | instskip(NEXT) | instid1(VALU_DEP_1)
	v_add_co_u32 v65, s17, v169, -1
	v_cndmask_b32_e64 v169, 0, 1, s17
	s_delay_alu instid0(VALU_DEP_3) | instskip(NEXT) | instid1(VALU_DEP_2)
	v_dual_lshlrev_b32 v170, 30, v172 :: v_dual_lshlrev_b32 v174, 29, v172
	v_cmp_ne_u32_e32 vcc_lo, 0, v169
	s_delay_alu instid0(VALU_DEP_2) | instskip(SKIP_1) | instid1(VALU_DEP_4)
	v_cmp_gt_i32_e64 s17, 0, v170
	v_not_b32_e32 v169, v170
	v_not_b32_e32 v170, v174
	v_bitop3_b32 v65, vcc_lo, exec_lo, v65 bitop3:0x48
	s_delay_alu instid0(VALU_DEP_2) | instskip(SKIP_3) | instid1(VALU_DEP_3)
	v_dual_ashrrev_i32 v169, 31, v169 :: v_dual_ashrrev_i32 v170, 31, v170
	v_dual_lshlrev_b32 v175, 28, v172 :: v_dual_lshlrev_b32 v176, 27, v172
	v_dual_lshlrev_b32 v177, 26, v172 :: v_dual_lshlrev_b32 v178, 25, v172
	v_cmp_gt_i32_e64 s18, 0, v174
	v_cmp_gt_i32_e64 s19, 0, v175
	v_not_b32_e32 v174, v175
	v_not_b32_e32 v175, v176
	v_cmp_gt_i32_e64 s20, 0, v176
	v_cmp_gt_i32_e64 s21, 0, v177
	v_not_b32_e32 v176, v177
	v_not_b32_e32 v177, v178
	v_dual_ashrrev_i32 v174, 31, v174 :: v_dual_ashrrev_i32 v175, 31, v175
	s_delay_alu instid0(VALU_DEP_3) | instskip(NEXT) | instid1(VALU_DEP_3)
	v_dual_ashrrev_i32 v176, 31, v176 :: v_dual_bitop2_b32 v169, s17, v169 bitop3:0x14
	v_dual_ashrrev_i32 v177, 31, v177 :: v_dual_bitop2_b32 v170, s18, v170 bitop3:0x14
	v_cmp_gt_i32_e64 s22, 0, v178
	s_delay_alu instid0(VALU_DEP_4) | instskip(NEXT) | instid1(VALU_DEP_3)
	v_xor_b32_e32 v175, s20, v175
	v_bitop3_b32 v65, v65, v170, v169 bitop3:0x80
	v_mad_u32_u24 v169, v172, 36, v25
	v_mul_u32_u24_e32 v172, 36, v172
	v_xor_b32_e32 v174, s19, v174
	v_xor_b32_e32 v170, s21, v176
	v_xor_b32_e32 v176, s22, v177
	ds_load_b32 v169, v169 offset:544
	v_add_nc_u32_e32 v172, v25, v172
	v_bitop3_b32 v65, v65, v175, v174 bitop3:0x80
	; wave barrier
	s_delay_alu instid0(VALU_DEP_1) | instskip(NEXT) | instid1(VALU_DEP_1)
	v_bitop3_b32 v65, v65, v176, v170 bitop3:0x80
	v_mbcnt_lo_u32_b32 v170, v65, 0
	v_cmp_ne_u32_e64 s17, 0, v65
	s_delay_alu instid0(VALU_DEP_2) | instskip(SKIP_1) | instid1(SALU_CYCLE_1)
	v_cmp_eq_u32_e32 vcc_lo, 0, v170
	s_and_b32 s18, s17, vcc_lo
	s_and_saveexec_b32 s17, s18
	s_cbranch_execz .LBB1320_1084
; %bb.1083:                             ;   in Loop: Header=BB1320_1032 Depth=2
	s_wait_dscnt 0x0
	v_bcnt_u32_b32 v65, v65, v169
	ds_store_b32 v172, v65 offset:544
.LBB1320_1084:                          ;   in Loop: Header=BB1320_1032 Depth=2
	s_or_b32 exec_lo, exec_lo, s17
	v_cmp_gt_i32_e32 vcc_lo, 0, v168
	; wave barrier
	v_cndmask_b32_e64 v65, 0x7fffffff, 0, vcc_lo
	s_delay_alu instid0(VALU_DEP_1) | instskip(NEXT) | instid1(VALU_DEP_1)
	v_xor_b32_e32 v168, v65, v168
	v_cmp_ne_u32_e32 vcc_lo, 0x80000000, v168
	v_cndmask_b32_e32 v65, 0x7fffffff, v168, vcc_lo
	s_delay_alu instid0(VALU_DEP_1) | instskip(NEXT) | instid1(VALU_DEP_1)
	v_lshrrev_b32_e32 v65, s49, v65
	v_bitop3_b32 v174, v65, 1, s58 bitop3:0x80
	v_and_b32_e32 v176, s58, v65
	s_delay_alu instid0(VALU_DEP_2) | instskip(NEXT) | instid1(VALU_DEP_1)
	v_add_co_u32 v65, s17, v174, -1
	v_cndmask_b32_e64 v174, 0, 1, s17
	s_delay_alu instid0(VALU_DEP_3) | instskip(NEXT) | instid1(VALU_DEP_2)
	v_dual_lshlrev_b32 v175, 30, v176 :: v_dual_lshlrev_b32 v177, 29, v176
	v_cmp_ne_u32_e32 vcc_lo, 0, v174
	s_delay_alu instid0(VALU_DEP_2) | instskip(SKIP_1) | instid1(VALU_DEP_4)
	v_cmp_gt_i32_e64 s17, 0, v175
	v_not_b32_e32 v174, v175
	v_not_b32_e32 v175, v177
	v_cmp_gt_i32_e64 s18, 0, v177
	v_bitop3_b32 v65, vcc_lo, exec_lo, v65 bitop3:0x48
	s_delay_alu instid0(VALU_DEP_3) | instskip(SKIP_2) | instid1(VALU_DEP_2)
	v_dual_ashrrev_i32 v174, 31, v174 :: v_dual_ashrrev_i32 v175, 31, v175
	v_dual_lshlrev_b32 v178, 28, v176 :: v_dual_lshlrev_b32 v179, 27, v176
	v_dual_lshlrev_b32 v180, 26, v176 :: v_dual_lshlrev_b32 v181, 25, v176
	v_cmp_gt_i32_e64 s19, 0, v178
	v_not_b32_e32 v177, v178
	s_delay_alu instid0(VALU_DEP_4)
	v_not_b32_e32 v178, v179
	v_cmp_gt_i32_e64 s20, 0, v179
	v_cmp_gt_i32_e64 s21, 0, v180
	v_not_b32_e32 v179, v180
	v_not_b32_e32 v180, v181
	v_dual_ashrrev_i32 v177, 31, v177 :: v_dual_ashrrev_i32 v178, 31, v178
	s_delay_alu instid0(VALU_DEP_3) | instskip(NEXT) | instid1(VALU_DEP_3)
	v_dual_ashrrev_i32 v179, 31, v179 :: v_dual_bitop2_b32 v174, s17, v174 bitop3:0x14
	v_dual_ashrrev_i32 v180, 31, v180 :: v_dual_bitop2_b32 v175, s18, v175 bitop3:0x14
	v_cmp_gt_i32_e64 s22, 0, v181
	s_delay_alu instid0(VALU_DEP_4) | instskip(NEXT) | instid1(VALU_DEP_3)
	v_xor_b32_e32 v178, s20, v178
	v_bitop3_b32 v65, v65, v175, v174 bitop3:0x80
	v_mad_u32_u24 v174, v176, 36, v25
	v_mul_u32_u24_e32 v176, 36, v176
	v_xor_b32_e32 v177, s19, v177
	v_xor_b32_e32 v175, s21, v179
	;; [unrolled: 1-line block ×3, first 2 shown]
	ds_load_b32 v174, v174 offset:544
	v_add_nc_u32_e32 v176, v25, v176
	v_bitop3_b32 v65, v65, v178, v177 bitop3:0x80
	; wave barrier
	s_delay_alu instid0(VALU_DEP_1) | instskip(NEXT) | instid1(VALU_DEP_1)
	v_bitop3_b32 v65, v65, v179, v175 bitop3:0x80
	v_mbcnt_lo_u32_b32 v175, v65, 0
	v_cmp_ne_u32_e64 s17, 0, v65
	s_delay_alu instid0(VALU_DEP_2) | instskip(SKIP_1) | instid1(SALU_CYCLE_1)
	v_cmp_eq_u32_e32 vcc_lo, 0, v175
	s_and_b32 s18, s17, vcc_lo
	s_and_saveexec_b32 s17, s18
	s_cbranch_execz .LBB1320_1086
; %bb.1085:                             ;   in Loop: Header=BB1320_1032 Depth=2
	s_wait_dscnt 0x0
	v_bcnt_u32_b32 v65, v65, v174
	ds_store_b32 v176, v65 offset:544
.LBB1320_1086:                          ;   in Loop: Header=BB1320_1032 Depth=2
	s_or_b32 exec_lo, exec_lo, s17
	v_cmp_gt_i32_e32 vcc_lo, 0, v173
	; wave barrier
	v_cndmask_b32_e64 v65, 0x7fffffff, 0, vcc_lo
	s_delay_alu instid0(VALU_DEP_1) | instskip(NEXT) | instid1(VALU_DEP_1)
	v_xor_b32_e32 v173, v65, v173
	v_cmp_ne_u32_e32 vcc_lo, 0x80000000, v173
	v_cndmask_b32_e32 v65, 0x7fffffff, v173, vcc_lo
	s_delay_alu instid0(VALU_DEP_1) | instskip(NEXT) | instid1(VALU_DEP_1)
	v_lshrrev_b32_e32 v65, s49, v65
	v_and_b32_e32 v179, s58, v65
	s_delay_alu instid0(VALU_DEP_1) | instskip(SKIP_2) | instid1(VALU_DEP_3)
	v_lshlrev_b32_e32 v181, 28, v179
	v_bitop3_b32 v177, v65, 1, s58 bitop3:0x80
	v_dual_lshlrev_b32 v178, 30, v179 :: v_dual_lshlrev_b32 v180, 29, v179
	v_cmp_gt_i32_e64 s19, 0, v181
	s_delay_alu instid0(VALU_DEP_3) | instskip(NEXT) | instid1(VALU_DEP_1)
	v_add_co_u32 v65, s17, v177, -1
	v_cndmask_b32_e64 v177, 0, 1, s17
	s_delay_alu instid0(VALU_DEP_4) | instskip(SKIP_1) | instid1(VALU_DEP_3)
	v_cmp_gt_i32_e64 s17, 0, v178
	v_cmp_gt_i32_e64 s18, 0, v180
	v_cmp_ne_u32_e32 vcc_lo, 0, v177
	v_not_b32_e32 v177, v178
	v_not_b32_e32 v178, v180
	;; [unrolled: 1-line block ×3, first 2 shown]
	v_bitop3_b32 v65, vcc_lo, exec_lo, v65 bitop3:0x48
	s_delay_alu instid0(VALU_DEP_3) | instskip(SKIP_2) | instid1(VALU_DEP_2)
	v_dual_ashrrev_i32 v177, 31, v177 :: v_dual_ashrrev_i32 v178, 31, v178
	v_dual_lshlrev_b32 v182, 27, v179 :: v_dual_lshlrev_b32 v183, 26, v179
	v_lshlrev_b32_e32 v184, 25, v179
	v_not_b32_e32 v181, v182
	v_cmp_gt_i32_e64 s20, 0, v182
	s_delay_alu instid0(VALU_DEP_4) | instskip(SKIP_3) | instid1(VALU_DEP_3)
	v_cmp_gt_i32_e64 s21, 0, v183
	v_not_b32_e32 v182, v183
	v_not_b32_e32 v183, v184
	v_dual_ashrrev_i32 v180, 31, v180 :: v_dual_ashrrev_i32 v181, 31, v181
	v_dual_ashrrev_i32 v182, 31, v182 :: v_dual_bitop2_b32 v177, s17, v177 bitop3:0x14
	s_delay_alu instid0(VALU_DEP_3) | instskip(SKIP_1) | instid1(VALU_DEP_4)
	v_dual_ashrrev_i32 v183, 31, v183 :: v_dual_bitop2_b32 v178, s18, v178 bitop3:0x14
	v_cmp_gt_i32_e64 s22, 0, v184
	v_xor_b32_e32 v181, s20, v181
	s_delay_alu instid0(VALU_DEP_3)
	v_bitop3_b32 v65, v65, v178, v177 bitop3:0x80
	v_mad_u32_u24 v177, v179, 36, v25
	v_mul_u32_u24_e32 v179, 36, v179
	v_xor_b32_e32 v180, s19, v180
	v_xor_b32_e32 v178, s21, v182
	;; [unrolled: 1-line block ×3, first 2 shown]
	ds_load_b32 v177, v177 offset:544
	v_add_nc_u32_e32 v179, v25, v179
	v_bitop3_b32 v65, v65, v181, v180 bitop3:0x80
	; wave barrier
	s_delay_alu instid0(VALU_DEP_1) | instskip(NEXT) | instid1(VALU_DEP_1)
	v_bitop3_b32 v65, v65, v182, v178 bitop3:0x80
	v_mbcnt_lo_u32_b32 v178, v65, 0
	v_cmp_ne_u32_e64 s17, 0, v65
	s_delay_alu instid0(VALU_DEP_2) | instskip(SKIP_1) | instid1(SALU_CYCLE_1)
	v_cmp_eq_u32_e32 vcc_lo, 0, v178
	s_and_b32 s18, s17, vcc_lo
	s_and_saveexec_b32 s17, s18
	s_cbranch_execz .LBB1320_1088
; %bb.1087:                             ;   in Loop: Header=BB1320_1032 Depth=2
	s_wait_dscnt 0x0
	v_bcnt_u32_b32 v65, v65, v177
	ds_store_b32 v179, v65 offset:544
.LBB1320_1088:                          ;   in Loop: Header=BB1320_1032 Depth=2
	s_or_b32 exec_lo, exec_lo, s17
	v_cmp_gt_i32_e32 vcc_lo, 0, v171
	; wave barrier
	v_cndmask_b32_e64 v65, 0x7fffffff, 0, vcc_lo
	s_delay_alu instid0(VALU_DEP_1) | instskip(NEXT) | instid1(VALU_DEP_1)
	v_xor_b32_e32 v171, v65, v171
	v_cmp_ne_u32_e32 vcc_lo, 0x80000000, v171
	v_cndmask_b32_e32 v65, 0x7fffffff, v171, vcc_lo
	s_delay_alu instid0(VALU_DEP_1) | instskip(NEXT) | instid1(VALU_DEP_1)
	v_lshrrev_b32_e32 v65, s49, v65
	v_bitop3_b32 v180, v65, 1, s58 bitop3:0x80
	v_and_b32_e32 v182, s58, v65
	s_delay_alu instid0(VALU_DEP_2) | instskip(NEXT) | instid1(VALU_DEP_1)
	v_add_co_u32 v65, s17, v180, -1
	v_cndmask_b32_e64 v180, 0, 1, s17
	s_delay_alu instid0(VALU_DEP_3) | instskip(NEXT) | instid1(VALU_DEP_2)
	v_lshlrev_b32_e32 v181, 30, v182
	v_cmp_ne_u32_e32 vcc_lo, 0, v180
	s_delay_alu instid0(VALU_DEP_2) | instskip(SKIP_1) | instid1(VALU_DEP_2)
	v_not_b32_e32 v180, v181
	v_bitop3_b32 v65, vcc_lo, exec_lo, v65 bitop3:0x48
	v_dual_ashrrev_i32 v180, 31, v180 :: v_dual_lshlrev_b32 v183, 29, v182
	v_dual_lshlrev_b32 v184, 28, v182 :: v_dual_lshlrev_b32 v185, 27, v182
	v_lshlrev_b32_e32 v186, 26, v182
	v_cmp_gt_i32_e64 s17, 0, v181
	s_delay_alu instid0(VALU_DEP_4)
	v_not_b32_e32 v181, v183
	v_lshlrev_b32_e32 v187, 25, v182
	v_cmp_gt_i32_e64 s18, 0, v183
	v_cmp_gt_i32_e64 s19, 0, v184
	v_not_b32_e32 v183, v184
	v_not_b32_e32 v184, v185
	v_ashrrev_i32_e32 v181, 31, v181
	v_cmp_gt_i32_e64 s20, 0, v185
	v_cmp_gt_i32_e64 s21, 0, v186
	v_not_b32_e32 v185, v186
	v_not_b32_e32 v186, v187
	v_dual_ashrrev_i32 v183, 31, v183 :: v_dual_ashrrev_i32 v184, 31, v184
	s_delay_alu instid0(VALU_DEP_3) | instskip(NEXT) | instid1(VALU_DEP_3)
	v_dual_ashrrev_i32 v185, 31, v185 :: v_dual_bitop2_b32 v180, s17, v180 bitop3:0x14
	v_dual_ashrrev_i32 v186, 31, v186 :: v_dual_bitop2_b32 v181, s18, v181 bitop3:0x14
	v_cmp_gt_i32_e64 s22, 0, v187
	s_delay_alu instid0(VALU_DEP_4) | instskip(NEXT) | instid1(VALU_DEP_3)
	v_xor_b32_e32 v184, s20, v184
	v_bitop3_b32 v65, v65, v181, v180 bitop3:0x80
	v_mad_u32_u24 v180, v182, 36, v25
	v_mul_u32_u24_e32 v182, 36, v182
	v_xor_b32_e32 v183, s19, v183
	v_xor_b32_e32 v181, s21, v185
	;; [unrolled: 1-line block ×3, first 2 shown]
	ds_load_b32 v180, v180 offset:544
	v_add_nc_u32_e32 v182, v25, v182
	v_bitop3_b32 v65, v65, v184, v183 bitop3:0x80
	; wave barrier
	s_delay_alu instid0(VALU_DEP_1) | instskip(NEXT) | instid1(VALU_DEP_1)
	v_bitop3_b32 v65, v65, v185, v181 bitop3:0x80
	v_mbcnt_lo_u32_b32 v181, v65, 0
	v_cmp_ne_u32_e64 s17, 0, v65
	s_delay_alu instid0(VALU_DEP_2) | instskip(SKIP_1) | instid1(SALU_CYCLE_1)
	v_cmp_eq_u32_e32 vcc_lo, 0, v181
	s_and_b32 s18, s17, vcc_lo
	s_and_saveexec_b32 s17, s18
	s_cbranch_execz .LBB1320_1090
; %bb.1089:                             ;   in Loop: Header=BB1320_1032 Depth=2
	s_wait_dscnt 0x0
	v_bcnt_u32_b32 v65, v65, v180
	ds_store_b32 v182, v65 offset:544
.LBB1320_1090:                          ;   in Loop: Header=BB1320_1032 Depth=2
	s_or_b32 exec_lo, exec_lo, s17
	v_cmp_gt_i32_e32 vcc_lo, 0, v166
	; wave barrier
	v_cndmask_b32_e64 v65, 0x7fffffff, 0, vcc_lo
	s_delay_alu instid0(VALU_DEP_1) | instskip(NEXT) | instid1(VALU_DEP_1)
	v_xor_b32_e32 v166, v65, v166
	v_cmp_ne_u32_e32 vcc_lo, 0x80000000, v166
	v_cndmask_b32_e32 v65, 0x7fffffff, v166, vcc_lo
	s_delay_alu instid0(VALU_DEP_1) | instskip(NEXT) | instid1(VALU_DEP_1)
	v_lshrrev_b32_e32 v65, s49, v65
	v_bitop3_b32 v183, v65, 1, s58 bitop3:0x80
	v_and_b32_e32 v186, s58, v65
	s_delay_alu instid0(VALU_DEP_2) | instskip(NEXT) | instid1(VALU_DEP_1)
	v_add_co_u32 v65, s17, v183, -1
	v_cndmask_b32_e64 v183, 0, 1, s17
	s_delay_alu instid0(VALU_DEP_3) | instskip(NEXT) | instid1(VALU_DEP_2)
	v_lshlrev_b32_e32 v184, 30, v186
	v_cmp_ne_u32_e32 vcc_lo, 0, v183
	s_delay_alu instid0(VALU_DEP_2) | instskip(SKIP_1) | instid1(VALU_DEP_2)
	v_not_b32_e32 v183, v184
	v_bitop3_b32 v65, vcc_lo, exec_lo, v65 bitop3:0x48
	v_dual_ashrrev_i32 v183, 31, v183 :: v_dual_lshlrev_b32 v185, 29, v186
	v_cmp_gt_i32_e64 s17, 0, v184
	v_dual_lshlrev_b32 v187, 28, v186 :: v_dual_lshlrev_b32 v188, 27, v186
	v_dual_lshlrev_b32 v189, 26, v186 :: v_dual_lshlrev_b32 v190, 25, v186
	s_delay_alu instid0(VALU_DEP_4) | instskip(SKIP_1) | instid1(VALU_DEP_4)
	v_not_b32_e32 v184, v185
	v_cmp_gt_i32_e64 s18, 0, v185
	v_cmp_gt_i32_e64 s19, 0, v187
	v_not_b32_e32 v185, v187
	v_cmp_gt_i32_e64 s20, 0, v188
	v_ashrrev_i32_e32 v184, 31, v184
	v_not_b32_e32 v187, v188
	v_cmp_gt_i32_e64 s21, 0, v189
	v_not_b32_e32 v188, v189
	v_not_b32_e32 v189, v190
	v_xor_b32_e32 v183, s17, v183
	v_dual_ashrrev_i32 v185, 31, v185 :: v_dual_bitop2_b32 v184, s18, v184 bitop3:0x14
	s_delay_alu instid0(VALU_DEP_4) | instskip(NEXT) | instid1(VALU_DEP_4)
	v_dual_ashrrev_i32 v187, 31, v187 :: v_dual_ashrrev_i32 v188, 31, v188
	v_ashrrev_i32_e32 v189, 31, v189
	s_delay_alu instid0(VALU_DEP_3)
	v_bitop3_b32 v65, v65, v184, v183 bitop3:0x80
	v_mad_u32_u24 v183, v186, 36, v25
	v_cmp_gt_i32_e64 s22, 0, v190
	v_xor_b32_e32 v187, s20, v187
	v_xor_b32_e32 v188, s21, v188
	ds_load_b32 v184, v183 offset:544
	v_mul_u32_u24_e32 v183, 36, v186
	v_xor_b32_e32 v185, s19, v185
	v_xor_b32_e32 v189, s22, v189
	; wave barrier
	s_delay_alu instid0(VALU_DEP_3) | instskip(NEXT) | instid1(VALU_DEP_3)
	v_add_nc_u32_e32 v186, v25, v183
	v_bitop3_b32 v65, v65, v187, v185 bitop3:0x80
	s_delay_alu instid0(VALU_DEP_1) | instskip(NEXT) | instid1(VALU_DEP_1)
	v_bitop3_b32 v65, v65, v189, v188 bitop3:0x80
	v_mbcnt_lo_u32_b32 v185, v65, 0
	v_cmp_ne_u32_e64 s17, 0, v65
	s_delay_alu instid0(VALU_DEP_2) | instskip(SKIP_1) | instid1(SALU_CYCLE_1)
	v_cmp_eq_u32_e32 vcc_lo, 0, v185
	s_and_b32 s18, s17, vcc_lo
	s_and_saveexec_b32 s17, s18
	s_cbranch_execz .LBB1320_1092
; %bb.1091:                             ;   in Loop: Header=BB1320_1032 Depth=2
	s_wait_dscnt 0x0
	v_bcnt_u32_b32 v65, v65, v184
	ds_store_b32 v186, v65 offset:544
.LBB1320_1092:                          ;   in Loop: Header=BB1320_1032 Depth=2
	s_or_b32 exec_lo, exec_lo, s17
	v_cmp_gt_i32_e32 vcc_lo, 0, v161
	; wave barrier
	v_cndmask_b32_e64 v65, 0x7fffffff, 0, vcc_lo
	s_delay_alu instid0(VALU_DEP_1) | instskip(NEXT) | instid1(VALU_DEP_1)
	v_xor_b32_e32 v183, v65, v161
	v_cmp_ne_u32_e32 vcc_lo, 0x80000000, v183
	v_cndmask_b32_e32 v65, 0x7fffffff, v183, vcc_lo
	s_delay_alu instid0(VALU_DEP_1) | instskip(NEXT) | instid1(VALU_DEP_1)
	v_lshrrev_b32_e32 v65, s49, v65
	v_and_b32_e32 v187, s58, v65
	s_delay_alu instid0(VALU_DEP_1) | instskip(NEXT) | instid1(VALU_DEP_1)
	v_lshlrev_b32_e32 v190, 27, v187
	v_cmp_gt_i32_e64 s19, 0, v190
	v_not_b32_e32 v190, v190
	s_delay_alu instid0(VALU_DEP_1) | instskip(SKIP_3) | instid1(VALU_DEP_3)
	v_dual_ashrrev_i32 v190, 31, v190 :: v_dual_lshlrev_b32 v188, 29, v187
	v_bitop3_b32 v161, v65, 1, s58 bitop3:0x80
	v_dual_lshlrev_b32 v189, 28, v187 :: v_dual_lshlrev_b32 v191, 26, v187
	v_lshlrev_b32_e32 v192, 25, v187
	v_add_co_u32 v65, s17, v161, -1
	v_lshlrev_b32_e32 v161, 30, v187
	v_cndmask_b32_e64 v193, 0, 1, s17
	v_cmp_gt_i32_e64 s17, 0, v188
	v_not_b32_e32 v188, v188
	v_cmp_gt_i32_e64 s18, 0, v189
	v_cmp_gt_i32_e32 vcc_lo, 0, v161
	v_not_b32_e32 v161, v161
	v_cmp_ne_u32_e64 s22, 0, v193
	v_ashrrev_i32_e32 v188, 31, v188
	v_not_b32_e32 v189, v189
	v_cmp_gt_i32_e64 s21, 0, v192
	v_ashrrev_i32_e32 v161, 31, v161
	v_not_b32_e32 v192, v192
	v_bitop3_b32 v65, s22, exec_lo, v65 bitop3:0x48
	v_xor_b32_e32 v188, s17, v188
	v_cmp_gt_i32_e64 s20, 0, v191
	s_delay_alu instid0(VALU_DEP_4) | instskip(SKIP_2) | instid1(VALU_DEP_3)
	v_dual_ashrrev_i32 v192, 31, v192 :: v_dual_bitop2_b32 v161, vcc_lo, v161 bitop3:0x14
	v_not_b32_e32 v191, v191
	v_ashrrev_i32_e32 v189, 31, v189
	v_bitop3_b32 v65, v65, v188, v161 bitop3:0x80
	v_mad_u32_u24 v161, v187, 36, v25
	s_delay_alu instid0(VALU_DEP_3)
	v_dual_ashrrev_i32 v191, 31, v191 :: v_dual_bitop2_b32 v189, s18, v189 bitop3:0x14
	v_xor_b32_e32 v192, s21, v192
	ds_load_b32 v188, v161 offset:544
	v_mul_u32_u24_e32 v161, 36, v187
	v_xor_b32_e32 v190, s19, v190
	v_xor_b32_e32 v191, s20, v191
	; wave barrier
	s_delay_alu instid0(VALU_DEP_3) | instskip(NEXT) | instid1(VALU_DEP_3)
	v_add_nc_u32_e32 v161, v25, v161
	v_bitop3_b32 v65, v65, v190, v189 bitop3:0x80
	s_delay_alu instid0(VALU_DEP_1) | instskip(NEXT) | instid1(VALU_DEP_1)
	v_bitop3_b32 v65, v65, v192, v191 bitop3:0x80
	v_mbcnt_lo_u32_b32 v189, v65, 0
	v_cmp_ne_u32_e64 s17, 0, v65
	s_delay_alu instid0(VALU_DEP_2) | instskip(SKIP_1) | instid1(SALU_CYCLE_1)
	v_cmp_eq_u32_e32 vcc_lo, 0, v189
	s_and_b32 s18, s17, vcc_lo
	s_and_saveexec_b32 s17, s18
	s_cbranch_execz .LBB1320_1094
; %bb.1093:                             ;   in Loop: Header=BB1320_1032 Depth=2
	s_wait_dscnt 0x0
	v_bcnt_u32_b32 v65, v65, v188
	ds_store_b32 v161, v65 offset:544
.LBB1320_1094:                          ;   in Loop: Header=BB1320_1032 Depth=2
	s_or_b32 exec_lo, exec_lo, s17
	v_cmp_gt_i32_e32 vcc_lo, 0, v157
	; wave barrier
	v_cndmask_b32_e64 v65, 0x7fffffff, 0, vcc_lo
	s_delay_alu instid0(VALU_DEP_1) | instskip(NEXT) | instid1(VALU_DEP_1)
	v_xor_b32_e32 v187, v65, v157
	v_cmp_ne_u32_e32 vcc_lo, 0x80000000, v187
	v_cndmask_b32_e32 v65, 0x7fffffff, v187, vcc_lo
	s_delay_alu instid0(VALU_DEP_1) | instskip(NEXT) | instid1(VALU_DEP_1)
	v_lshrrev_b32_e32 v65, s49, v65
	v_and_b32_e32 v190, s58, v65
	s_delay_alu instid0(VALU_DEP_1) | instskip(SKIP_2) | instid1(VALU_DEP_3)
	v_lshlrev_b32_e32 v193, 28, v190
	v_bitop3_b32 v157, v65, 1, s58 bitop3:0x80
	v_dual_lshlrev_b32 v191, 30, v190 :: v_dual_lshlrev_b32 v192, 29, v190
	v_cmp_gt_i32_e64 s19, 0, v193
	s_delay_alu instid0(VALU_DEP_3) | instskip(NEXT) | instid1(VALU_DEP_1)
	v_add_co_u32 v65, s17, v157, -1
	v_cndmask_b32_e64 v157, 0, 1, s17
	s_delay_alu instid0(VALU_DEP_4) | instskip(SKIP_1) | instid1(VALU_DEP_3)
	v_cmp_gt_i32_e64 s17, 0, v191
	v_cmp_gt_i32_e64 s18, 0, v192
	v_cmp_ne_u32_e32 vcc_lo, 0, v157
	v_not_b32_e32 v157, v191
	v_not_b32_e32 v191, v192
	;; [unrolled: 1-line block ×3, first 2 shown]
	v_bitop3_b32 v65, vcc_lo, exec_lo, v65 bitop3:0x48
	s_delay_alu instid0(VALU_DEP_3) | instskip(SKIP_1) | instid1(VALU_DEP_2)
	v_dual_ashrrev_i32 v157, 31, v157 :: v_dual_ashrrev_i32 v191, 31, v191
	v_dual_lshlrev_b32 v194, 27, v190 :: v_dual_lshlrev_b32 v195, 26, v190
	v_dual_lshlrev_b32 v196, 25, v190 :: v_dual_bitop2_b32 v191, s18, v191 bitop3:0x14
	s_delay_alu instid0(VALU_DEP_2) | instskip(SKIP_1) | instid1(VALU_DEP_4)
	v_not_b32_e32 v193, v194
	v_cmp_gt_i32_e64 s20, 0, v194
	v_cmp_gt_i32_e64 s21, 0, v195
	v_not_b32_e32 v194, v195
	v_not_b32_e32 v195, v196
	v_dual_ashrrev_i32 v192, 31, v192 :: v_dual_ashrrev_i32 v193, 31, v193
	s_delay_alu instid0(VALU_DEP_3) | instskip(SKIP_1) | instid1(VALU_DEP_3)
	v_dual_ashrrev_i32 v194, 31, v194 :: v_dual_bitop2_b32 v157, s17, v157 bitop3:0x14
	v_cmp_gt_i32_e64 s22, 0, v196
	v_dual_ashrrev_i32 v195, 31, v195 :: v_dual_bitop2_b32 v192, s19, v192 bitop3:0x14
	s_delay_alu instid0(VALU_DEP_4) | instskip(NEXT) | instid1(VALU_DEP_4)
	v_xor_b32_e32 v193, s20, v193
	v_bitop3_b32 v65, v65, v191, v157 bitop3:0x80
	v_mad_u32_u24 v157, v190, 36, v25
	v_xor_b32_e32 v194, s21, v194
	v_xor_b32_e32 v195, s22, v195
	s_delay_alu instid0(VALU_DEP_4) | instskip(SKIP_3) | instid1(VALU_DEP_2)
	v_bitop3_b32 v65, v65, v193, v192 bitop3:0x80
	ds_load_b32 v191, v157 offset:544
	v_mul_u32_u24_e32 v157, 36, v190
	; wave barrier
	v_bitop3_b32 v65, v65, v195, v194 bitop3:0x80
	v_add_nc_u32_e32 v157, v25, v157
	s_delay_alu instid0(VALU_DEP_2) | instskip(SKIP_1) | instid1(VALU_DEP_2)
	v_mbcnt_lo_u32_b32 v192, v65, 0
	v_cmp_ne_u32_e64 s17, 0, v65
	v_cmp_eq_u32_e32 vcc_lo, 0, v192
	s_and_b32 s18, s17, vcc_lo
	s_delay_alu instid0(SALU_CYCLE_1)
	s_and_saveexec_b32 s17, s18
	s_cbranch_execz .LBB1320_1096
; %bb.1095:                             ;   in Loop: Header=BB1320_1032 Depth=2
	s_wait_dscnt 0x0
	v_bcnt_u32_b32 v65, v65, v191
	ds_store_b32 v157, v65 offset:544
.LBB1320_1096:                          ;   in Loop: Header=BB1320_1032 Depth=2
	s_or_b32 exec_lo, exec_lo, s17
	v_cmp_gt_i32_e32 vcc_lo, 0, v152
	; wave barrier
	v_cndmask_b32_e64 v65, 0x7fffffff, 0, vcc_lo
	s_delay_alu instid0(VALU_DEP_1) | instskip(NEXT) | instid1(VALU_DEP_1)
	v_xor_b32_e32 v190, v65, v152
	v_cmp_ne_u32_e32 vcc_lo, 0x80000000, v190
	v_cndmask_b32_e32 v65, 0x7fffffff, v190, vcc_lo
	s_delay_alu instid0(VALU_DEP_1) | instskip(NEXT) | instid1(VALU_DEP_1)
	v_lshrrev_b32_e32 v65, s49, v65
	v_bitop3_b32 v152, v65, 1, s58 bitop3:0x80
	v_and_b32_e32 v193, s58, v65
	s_delay_alu instid0(VALU_DEP_2) | instskip(NEXT) | instid1(VALU_DEP_1)
	v_add_co_u32 v65, s17, v152, -1
	v_cndmask_b32_e64 v152, 0, 1, s17
	s_delay_alu instid0(VALU_DEP_3) | instskip(NEXT) | instid1(VALU_DEP_2)
	v_lshlrev_b32_e32 v194, 30, v193
	v_cmp_ne_u32_e32 vcc_lo, 0, v152
	s_delay_alu instid0(VALU_DEP_2) | instskip(SKIP_2) | instid1(VALU_DEP_3)
	v_not_b32_e32 v152, v194
	v_cmp_gt_i32_e64 s17, 0, v194
	v_bitop3_b32 v65, vcc_lo, exec_lo, v65 bitop3:0x48
	v_dual_ashrrev_i32 v152, 31, v152 :: v_dual_lshlrev_b32 v195, 29, v193
	v_dual_lshlrev_b32 v196, 28, v193 :: v_dual_lshlrev_b32 v197, 27, v193
	v_lshlrev_b32_e32 v198, 26, v193
	s_delay_alu instid0(VALU_DEP_3)
	v_not_b32_e32 v194, v195
	v_lshlrev_b32_e32 v199, 25, v193
	v_cmp_gt_i32_e64 s18, 0, v195
	v_cmp_gt_i32_e64 s19, 0, v196
	v_not_b32_e32 v195, v196
	v_not_b32_e32 v196, v197
	v_ashrrev_i32_e32 v194, 31, v194
	v_cmp_gt_i32_e64 s20, 0, v197
	v_cmp_gt_i32_e64 s21, 0, v198
	v_not_b32_e32 v197, v198
	v_not_b32_e32 v198, v199
	v_dual_ashrrev_i32 v195, 31, v195 :: v_dual_ashrrev_i32 v196, 31, v196
	s_delay_alu instid0(VALU_DEP_3) | instskip(SKIP_2) | instid1(VALU_DEP_4)
	v_dual_ashrrev_i32 v197, 31, v197 :: v_dual_bitop2_b32 v152, s17, v152 bitop3:0x14
	v_xor_b32_e32 v194, s18, v194
	v_cmp_gt_i32_e64 s22, 0, v199
	v_dual_ashrrev_i32 v198, 31, v198 :: v_dual_bitop2_b32 v195, s19, v195 bitop3:0x14
	v_xor_b32_e32 v196, s20, v196
	s_delay_alu instid0(VALU_DEP_4) | instskip(SKIP_3) | instid1(VALU_DEP_4)
	v_bitop3_b32 v65, v65, v194, v152 bitop3:0x80
	v_mad_u32_u24 v152, v193, 36, v25
	v_xor_b32_e32 v197, s21, v197
	v_xor_b32_e32 v198, s22, v198
	v_bitop3_b32 v65, v65, v196, v195 bitop3:0x80
	ds_load_b32 v194, v152 offset:544
	v_mul_u32_u24_e32 v152, 36, v193
	; wave barrier
	v_bitop3_b32 v65, v65, v198, v197 bitop3:0x80
	s_delay_alu instid0(VALU_DEP_2) | instskip(NEXT) | instid1(VALU_DEP_2)
	v_add_nc_u32_e32 v152, v25, v152
	v_mbcnt_lo_u32_b32 v195, v65, 0
	v_cmp_ne_u32_e64 s17, 0, v65
	s_delay_alu instid0(VALU_DEP_2) | instskip(SKIP_1) | instid1(SALU_CYCLE_1)
	v_cmp_eq_u32_e32 vcc_lo, 0, v195
	s_and_b32 s18, s17, vcc_lo
	s_and_saveexec_b32 s17, s18
	s_cbranch_execz .LBB1320_1098
; %bb.1097:                             ;   in Loop: Header=BB1320_1032 Depth=2
	s_wait_dscnt 0x0
	v_bcnt_u32_b32 v65, v65, v194
	ds_store_b32 v152, v65 offset:544
.LBB1320_1098:                          ;   in Loop: Header=BB1320_1032 Depth=2
	s_or_b32 exec_lo, exec_lo, s17
	v_cmp_gt_i32_e32 vcc_lo, 0, v67
	; wave barrier
	v_cndmask_b32_e64 v65, 0x7fffffff, 0, vcc_lo
	s_delay_alu instid0(VALU_DEP_1) | instskip(NEXT) | instid1(VALU_DEP_1)
	v_xor_b32_e32 v193, v65, v67
	v_cmp_ne_u32_e32 vcc_lo, 0x80000000, v193
	v_cndmask_b32_e32 v65, 0x7fffffff, v193, vcc_lo
	s_delay_alu instid0(VALU_DEP_1) | instskip(NEXT) | instid1(VALU_DEP_1)
	v_lshrrev_b32_e32 v65, s49, v65
	v_bitop3_b32 v67, v65, 1, s58 bitop3:0x80
	v_and_b32_e32 v196, s58, v65
	s_delay_alu instid0(VALU_DEP_2) | instskip(NEXT) | instid1(VALU_DEP_1)
	v_add_co_u32 v65, s17, v67, -1
	v_cndmask_b32_e64 v67, 0, 1, s17
	s_delay_alu instid0(VALU_DEP_3) | instskip(NEXT) | instid1(VALU_DEP_2)
	v_lshlrev_b32_e32 v197, 30, v196
	v_cmp_ne_u32_e32 vcc_lo, 0, v67
	s_delay_alu instid0(VALU_DEP_2) | instskip(SKIP_1) | instid1(VALU_DEP_2)
	v_not_b32_e32 v67, v197
	v_bitop3_b32 v65, vcc_lo, exec_lo, v65 bitop3:0x48
	v_dual_ashrrev_i32 v67, 31, v67 :: v_dual_lshlrev_b32 v198, 29, v196
	v_dual_lshlrev_b32 v199, 28, v196 :: v_dual_lshlrev_b32 v200, 27, v196
	v_lshlrev_b32_e32 v201, 26, v196
	v_cmp_gt_i32_e64 s17, 0, v197
	s_delay_alu instid0(VALU_DEP_4)
	v_not_b32_e32 v197, v198
	v_lshlrev_b32_e32 v202, 25, v196
	v_cmp_gt_i32_e64 s18, 0, v198
	v_cmp_gt_i32_e64 s19, 0, v199
	v_not_b32_e32 v198, v199
	v_not_b32_e32 v199, v200
	v_ashrrev_i32_e32 v197, 31, v197
	v_cmp_gt_i32_e64 s20, 0, v200
	v_cmp_gt_i32_e64 s21, 0, v201
	v_not_b32_e32 v200, v201
	v_not_b32_e32 v201, v202
	v_dual_ashrrev_i32 v198, 31, v198 :: v_dual_ashrrev_i32 v199, 31, v199
	s_delay_alu instid0(VALU_DEP_3) | instskip(SKIP_2) | instid1(VALU_DEP_4)
	v_dual_ashrrev_i32 v200, 31, v200 :: v_dual_bitop2_b32 v67, s17, v67 bitop3:0x14
	v_xor_b32_e32 v197, s18, v197
	v_cmp_gt_i32_e64 s22, 0, v202
	v_dual_ashrrev_i32 v201, 31, v201 :: v_dual_bitop2_b32 v198, s19, v198 bitop3:0x14
	v_xor_b32_e32 v199, s20, v199
	s_delay_alu instid0(VALU_DEP_4) | instskip(SKIP_3) | instid1(VALU_DEP_4)
	v_bitop3_b32 v65, v65, v197, v67 bitop3:0x80
	v_mad_u32_u24 v67, v196, 36, v25
	v_xor_b32_e32 v200, s21, v200
	v_xor_b32_e32 v201, s22, v201
	v_bitop3_b32 v65, v65, v199, v198 bitop3:0x80
	ds_load_b32 v197, v67 offset:544
	v_mul_u32_u24_e32 v67, 36, v196
	; wave barrier
	v_bitop3_b32 v65, v65, v201, v200 bitop3:0x80
	s_delay_alu instid0(VALU_DEP_2) | instskip(NEXT) | instid1(VALU_DEP_2)
	v_add_nc_u32_e32 v199, v25, v67
	v_mbcnt_lo_u32_b32 v198, v65, 0
	v_cmp_ne_u32_e64 s17, 0, v65
	s_delay_alu instid0(VALU_DEP_2) | instskip(SKIP_1) | instid1(SALU_CYCLE_1)
	v_cmp_eq_u32_e32 vcc_lo, 0, v198
	s_and_b32 s18, s17, vcc_lo
	s_and_saveexec_b32 s17, s18
	s_cbranch_execz .LBB1320_1100
; %bb.1099:                             ;   in Loop: Header=BB1320_1032 Depth=2
	s_wait_dscnt 0x0
	v_bcnt_u32_b32 v65, v65, v197
	ds_store_b32 v199, v65 offset:544
.LBB1320_1100:                          ;   in Loop: Header=BB1320_1032 Depth=2
	s_or_b32 exec_lo, exec_lo, s17
	v_cmp_gt_i32_e32 vcc_lo, 0, v66
	; wave barrier
	v_cndmask_b32_e64 v65, 0x7fffffff, 0, vcc_lo
	s_delay_alu instid0(VALU_DEP_1) | instskip(NEXT) | instid1(VALU_DEP_1)
	v_xor_b32_e32 v196, v65, v66
	v_cmp_ne_u32_e32 vcc_lo, 0x80000000, v196
	v_cndmask_b32_e32 v65, 0x7fffffff, v196, vcc_lo
	s_delay_alu instid0(VALU_DEP_1) | instskip(NEXT) | instid1(VALU_DEP_1)
	v_lshrrev_b32_e32 v65, s49, v65
	v_bitop3_b32 v66, v65, 1, s58 bitop3:0x80
	v_and_b32_e32 v67, s58, v65
	s_delay_alu instid0(VALU_DEP_2) | instskip(NEXT) | instid1(VALU_DEP_1)
	v_add_co_u32 v65, s17, v66, -1
	v_cndmask_b32_e64 v66, 0, 1, s17
	s_delay_alu instid0(VALU_DEP_3) | instskip(NEXT) | instid1(VALU_DEP_2)
	v_lshlrev_b32_e32 v200, 30, v67
	v_cmp_ne_u32_e32 vcc_lo, 0, v66
	s_delay_alu instid0(VALU_DEP_2) | instskip(SKIP_2) | instid1(VALU_DEP_3)
	v_not_b32_e32 v66, v200
	v_cmp_gt_i32_e64 s17, 0, v200
	v_bitop3_b32 v65, vcc_lo, exec_lo, v65 bitop3:0x48
	v_dual_ashrrev_i32 v66, 31, v66 :: v_dual_lshlrev_b32 v201, 29, v67
	v_dual_lshlrev_b32 v202, 28, v67 :: v_dual_lshlrev_b32 v203, 27, v67
	v_lshlrev_b32_e32 v204, 26, v67
	s_delay_alu instid0(VALU_DEP_3)
	v_not_b32_e32 v200, v201
	v_lshlrev_b32_e32 v205, 25, v67
	v_cmp_gt_i32_e64 s18, 0, v201
	v_cmp_gt_i32_e64 s19, 0, v202
	v_not_b32_e32 v201, v202
	v_not_b32_e32 v202, v203
	v_ashrrev_i32_e32 v200, 31, v200
	v_cmp_gt_i32_e64 s20, 0, v203
	v_cmp_gt_i32_e64 s21, 0, v204
	v_not_b32_e32 v203, v204
	v_not_b32_e32 v204, v205
	v_dual_ashrrev_i32 v201, 31, v201 :: v_dual_ashrrev_i32 v202, 31, v202
	s_delay_alu instid0(VALU_DEP_3) | instskip(SKIP_2) | instid1(VALU_DEP_4)
	v_dual_ashrrev_i32 v203, 31, v203 :: v_dual_bitop2_b32 v66, s17, v66 bitop3:0x14
	v_xor_b32_e32 v200, s18, v200
	v_cmp_gt_i32_e64 s22, 0, v205
	v_dual_ashrrev_i32 v204, 31, v204 :: v_dual_bitop2_b32 v201, s19, v201 bitop3:0x14
	v_xor_b32_e32 v202, s20, v202
	s_delay_alu instid0(VALU_DEP_4) | instskip(SKIP_3) | instid1(VALU_DEP_4)
	v_bitop3_b32 v65, v65, v200, v66 bitop3:0x80
	v_mad_u32_u24 v66, v67, 36, v25
	v_xor_b32_e32 v200, s21, v203
	v_xor_b32_e32 v203, s22, v204
	v_bitop3_b32 v65, v65, v202, v201 bitop3:0x80
	ds_load_b32 v201, v66 offset:544
	v_mul_u32_u24_e32 v66, 36, v67
	; wave barrier
	v_bitop3_b32 v65, v65, v203, v200 bitop3:0x80
	s_delay_alu instid0(VALU_DEP_2) | instskip(NEXT) | instid1(VALU_DEP_2)
	v_add_nc_u32_e32 v203, v25, v66
	v_mbcnt_lo_u32_b32 v202, v65, 0
	v_cmp_ne_u32_e64 s17, 0, v65
	s_delay_alu instid0(VALU_DEP_2) | instskip(SKIP_1) | instid1(SALU_CYCLE_1)
	v_cmp_eq_u32_e32 vcc_lo, 0, v202
	s_and_b32 s18, s17, vcc_lo
	s_and_saveexec_b32 s17, s18
	s_cbranch_execz .LBB1320_1102
; %bb.1101:                             ;   in Loop: Header=BB1320_1032 Depth=2
	s_wait_dscnt 0x0
	v_bcnt_u32_b32 v65, v65, v201
	ds_store_b32 v203, v65 offset:544
.LBB1320_1102:                          ;   in Loop: Header=BB1320_1032 Depth=2
	s_or_b32 exec_lo, exec_lo, s17
	v_cmp_gt_i32_e32 vcc_lo, 0, v64
	; wave barrier
	v_cndmask_b32_e64 v65, 0x7fffffff, 0, vcc_lo
	s_delay_alu instid0(VALU_DEP_1) | instskip(NEXT) | instid1(VALU_DEP_1)
	v_xor_b32_e32 v200, v65, v64
	v_cmp_ne_u32_e32 vcc_lo, 0x80000000, v200
	v_cndmask_b32_e32 v64, 0x7fffffff, v200, vcc_lo
	s_delay_alu instid0(VALU_DEP_1) | instskip(NEXT) | instid1(VALU_DEP_1)
	v_lshrrev_b32_e32 v64, s49, v64
	v_bitop3_b32 v65, v64, 1, s58 bitop3:0x80
	v_and_b32_e32 v66, s58, v64
	s_delay_alu instid0(VALU_DEP_2) | instskip(NEXT) | instid1(VALU_DEP_1)
	v_add_co_u32 v64, s17, v65, -1
	v_cndmask_b32_e64 v65, 0, 1, s17
	s_delay_alu instid0(VALU_DEP_3) | instskip(NEXT) | instid1(VALU_DEP_2)
	v_lshlrev_b32_e32 v67, 30, v66
	v_cmp_ne_u32_e32 vcc_lo, 0, v65
	s_delay_alu instid0(VALU_DEP_2) | instskip(SKIP_2) | instid1(VALU_DEP_3)
	v_not_b32_e32 v65, v67
	v_cmp_gt_i32_e64 s17, 0, v67
	v_bitop3_b32 v64, vcc_lo, exec_lo, v64 bitop3:0x48
	v_dual_ashrrev_i32 v65, 31, v65 :: v_dual_lshlrev_b32 v204, 29, v66
	v_dual_lshlrev_b32 v205, 28, v66 :: v_dual_lshlrev_b32 v206, 27, v66
	v_lshlrev_b32_e32 v207, 26, v66
	s_delay_alu instid0(VALU_DEP_3)
	v_not_b32_e32 v67, v204
	v_lshlrev_b32_e32 v208, 25, v66
	v_cmp_gt_i32_e64 s18, 0, v204
	v_cmp_gt_i32_e64 s19, 0, v205
	v_not_b32_e32 v204, v205
	v_not_b32_e32 v205, v206
	v_ashrrev_i32_e32 v67, 31, v67
	v_cmp_gt_i32_e64 s20, 0, v206
	v_cmp_gt_i32_e64 s21, 0, v207
	v_not_b32_e32 v206, v207
	v_not_b32_e32 v207, v208
	v_dual_ashrrev_i32 v204, 31, v204 :: v_dual_ashrrev_i32 v205, 31, v205
	s_delay_alu instid0(VALU_DEP_3) | instskip(SKIP_2) | instid1(VALU_DEP_4)
	v_dual_ashrrev_i32 v206, 31, v206 :: v_dual_bitop2_b32 v65, s17, v65 bitop3:0x14
	v_xor_b32_e32 v67, s18, v67
	v_cmp_gt_i32_e64 s22, 0, v208
	v_dual_ashrrev_i32 v207, 31, v207 :: v_dual_bitop2_b32 v204, s19, v204 bitop3:0x14
	v_xor_b32_e32 v205, s20, v205
	s_delay_alu instid0(VALU_DEP_4) | instskip(SKIP_3) | instid1(VALU_DEP_4)
	v_bitop3_b32 v64, v64, v67, v65 bitop3:0x80
	v_mad_u32_u24 v65, v66, 36, v25
	v_xor_b32_e32 v67, s21, v206
	v_xor_b32_e32 v206, s22, v207
	v_bitop3_b32 v64, v64, v205, v204 bitop3:0x80
	ds_load_b32 v204, v65 offset:544
	v_mul_u32_u24_e32 v65, 36, v66
	; wave barrier
	v_bitop3_b32 v64, v64, v206, v67 bitop3:0x80
	s_delay_alu instid0(VALU_DEP_2) | instskip(NEXT) | instid1(VALU_DEP_2)
	v_add_nc_u32_e32 v206, v25, v65
	v_mbcnt_lo_u32_b32 v205, v64, 0
	v_cmp_ne_u32_e64 s17, 0, v64
	s_delay_alu instid0(VALU_DEP_2) | instskip(SKIP_1) | instid1(SALU_CYCLE_1)
	v_cmp_eq_u32_e32 vcc_lo, 0, v205
	s_and_b32 s18, s17, vcc_lo
	s_and_saveexec_b32 s17, s18
	s_cbranch_execz .LBB1320_1104
; %bb.1103:                             ;   in Loop: Header=BB1320_1032 Depth=2
	s_wait_dscnt 0x0
	v_bcnt_u32_b32 v64, v64, v204
	ds_store_b32 v206, v64 offset:544
.LBB1320_1104:                          ;   in Loop: Header=BB1320_1032 Depth=2
	s_or_b32 exec_lo, exec_lo, s17
	; wave barrier
	s_wait_dscnt 0x0
	s_barrier_signal -1
	s_barrier_wait -1
	ds_load_2addr_b32 v[66:67], v90 offset0:136 offset1:137
	ds_load_2addr_b32 v[64:65], v90 offset0:138 offset1:139
	ds_load_b32 v207, v90 offset:560
	s_wait_dscnt 0x1
	v_add3_u32 v208, v67, v66, v64
	s_wait_dscnt 0x0
	s_delay_alu instid0(VALU_DEP_1) | instskip(NEXT) | instid1(VALU_DEP_1)
	v_add3_u32 v207, v208, v65, v207
	v_mov_b32_dpp v208, v207 row_shr:1 row_mask:0xf bank_mask:0xf
	s_delay_alu instid0(VALU_DEP_1) | instskip(NEXT) | instid1(VALU_DEP_1)
	v_cndmask_b32_e64 v208, v208, 0, s9
	v_add_nc_u32_e32 v207, v208, v207
	s_delay_alu instid0(VALU_DEP_1) | instskip(NEXT) | instid1(VALU_DEP_1)
	v_mov_b32_dpp v208, v207 row_shr:2 row_mask:0xf bank_mask:0xf
	v_cndmask_b32_e64 v208, 0, v208, s10
	s_delay_alu instid0(VALU_DEP_1) | instskip(NEXT) | instid1(VALU_DEP_1)
	v_add_nc_u32_e32 v207, v207, v208
	v_mov_b32_dpp v208, v207 row_shr:4 row_mask:0xf bank_mask:0xf
	s_delay_alu instid0(VALU_DEP_1) | instskip(NEXT) | instid1(VALU_DEP_1)
	v_cndmask_b32_e64 v208, 0, v208, s11
	v_add_nc_u32_e32 v207, v207, v208
	s_delay_alu instid0(VALU_DEP_1) | instskip(NEXT) | instid1(VALU_DEP_1)
	v_mov_b32_dpp v208, v207 row_shr:8 row_mask:0xf bank_mask:0xf
	v_cndmask_b32_e64 v208, 0, v208, s12
	s_delay_alu instid0(VALU_DEP_1) | instskip(SKIP_3) | instid1(VALU_DEP_1)
	v_add_nc_u32_e32 v207, v207, v208
	ds_swizzle_b32 v208, v207 offset:swizzle(BROADCAST,32,15)
	s_wait_dscnt 0x0
	v_cndmask_b32_e64 v208, v208, 0, s13
	v_add_nc_u32_e32 v207, v207, v208
	s_and_saveexec_b32 s17, s2
; %bb.1105:                             ;   in Loop: Header=BB1320_1032 Depth=2
	ds_store_b32 v83, v207 offset:512
; %bb.1106:                             ;   in Loop: Header=BB1320_1032 Depth=2
	s_or_b32 exec_lo, exec_lo, s17
	s_wait_dscnt 0x0
	s_barrier_signal -1
	s_barrier_wait -1
	s_and_saveexec_b32 s17, s3
	s_cbranch_execz .LBB1320_1108
; %bb.1107:                             ;   in Loop: Header=BB1320_1032 Depth=2
	ds_load_b32 v208, v92 offset:512
	s_wait_dscnt 0x0
	v_mov_b32_dpp v209, v208 row_shr:1 row_mask:0xf bank_mask:0xf
	s_delay_alu instid0(VALU_DEP_1) | instskip(NEXT) | instid1(VALU_DEP_1)
	v_cndmask_b32_e64 v209, v209, 0, s14
	v_add_nc_u32_e32 v208, v209, v208
	s_delay_alu instid0(VALU_DEP_1) | instskip(NEXT) | instid1(VALU_DEP_1)
	v_mov_b32_dpp v209, v208 row_shr:2 row_mask:0xf bank_mask:0xf
	v_cndmask_b32_e64 v209, 0, v209, s15
	s_delay_alu instid0(VALU_DEP_1) | instskip(NEXT) | instid1(VALU_DEP_1)
	v_add_nc_u32_e32 v208, v208, v209
	v_mov_b32_dpp v209, v208 row_shr:4 row_mask:0xf bank_mask:0xf
	s_delay_alu instid0(VALU_DEP_1) | instskip(NEXT) | instid1(VALU_DEP_1)
	v_cndmask_b32_e64 v209, 0, v209, s16
	v_add_nc_u32_e32 v208, v208, v209
	ds_store_b32 v92, v208 offset:512
.LBB1320_1108:                          ;   in Loop: Header=BB1320_1032 Depth=2
	s_or_b32 exec_lo, exec_lo, s17
	v_mov_b32_e32 v208, 0
	s_wait_dscnt 0x0
	s_barrier_signal -1
	s_barrier_wait -1
	s_and_saveexec_b32 s17, s5
; %bb.1109:                             ;   in Loop: Header=BB1320_1032 Depth=2
	ds_load_b32 v208, v83 offset:508
; %bb.1110:                             ;   in Loop: Header=BB1320_1032 Depth=2
	s_or_b32 exec_lo, exec_lo, s17
	s_wait_dscnt 0x0
	v_add_nc_u32_e32 v207, v208, v207
	ds_bpermute_b32 v207, v119, v207
	s_wait_dscnt 0x0
	v_cndmask_b32_e64 v207, v207, v208, s8
	s_delay_alu instid0(VALU_DEP_1) | instskip(NEXT) | instid1(VALU_DEP_1)
	v_cndmask_b32_e64 v207, v207, 0, s6
	v_add_nc_u32_e32 v66, v207, v66
	s_delay_alu instid0(VALU_DEP_1) | instskip(NEXT) | instid1(VALU_DEP_1)
	v_add_nc_u32_e32 v67, v66, v67
	v_add_nc_u32_e32 v64, v67, v64
	s_delay_alu instid0(VALU_DEP_1)
	v_add_nc_u32_e32 v65, v64, v65
	ds_store_2addr_b32 v90, v207, v66 offset0:136 offset1:137
	ds_store_2addr_b32 v90, v67, v64 offset0:138 offset1:139
	ds_store_b32 v90, v65 offset:560
	s_wait_dscnt 0x0
	s_barrier_signal -1
	s_barrier_wait -1
	ds_load_b32 v66, v143 offset:544
	ds_load_b32 v67, v147 offset:544
	;; [unrolled: 1-line block ×17, first 2 shown]
	s_and_saveexec_b32 s17, s0
	s_cbranch_execz .LBB1320_1114
; %bb.1111:                             ;   in Loop: Header=BB1320_1032 Depth=2
	ds_load_b32 v133, v94 offset:544
	v_mov_b32_e32 v138, 0x1100
	s_and_saveexec_b32 s18, s7
; %bb.1112:                             ;   in Loop: Header=BB1320_1032 Depth=2
	ds_load_b32 v138, v93 offset:544
; %bb.1113:                             ;   in Loop: Header=BB1320_1032 Depth=2
	s_or_b32 exec_lo, exec_lo, s18
	s_wait_dscnt 0x0
	v_sub_nc_u32_e32 v138, v138, v133
.LBB1320_1114:                          ;   in Loop: Header=BB1320_1032 Depth=2
	s_or_b32 exec_lo, exec_lo, s17
	s_wait_dscnt 0x0
	s_barrier_signal -1
	s_barrier_wait -1
	s_and_saveexec_b32 s17, s0
	s_cbranch_execz .LBB1320_1116
; %bb.1115:                             ;   in Loop: Header=BB1320_1032 Depth=2
	ds_load_b32 v152, v4
	s_wait_dscnt 0x0
	v_sub_nc_u32_e32 v152, v152, v133
	ds_store_b32 v4, v152
.LBB1320_1116:                          ;   in Loop: Header=BB1320_1032 Depth=2
	s_or_b32 exec_lo, exec_lo, s17
	v_add3_u32 v156, v155, v154, v147
	v_add_nc_u32_e32 v162, v66, v141
	v_add3_u32 v161, v146, v145, v67
	v_add3_u32 v157, v150, v149, v143
	;; [unrolled: 1-line block ×4, first 2 shown]
	v_dual_lshlrev_b32 v65, 2, v156 :: v_dual_lshlrev_b32 v159, 2, v162
	v_lshlrev_b32_e32 v160, 2, v161
	v_add3_u32 v154, v165, v164, v207
	v_add3_u32 v152, v170, v169, v172
	;; [unrolled: 1-line block ×4, first 2 shown]
	v_lshlrev_b32_e32 v64, 2, v157
	v_add3_u32 v150, v178, v177, v179
	v_add3_u32 v149, v181, v180, v182
	ds_store_b32 v159, v140 offset:512
	ds_store_b32 v160, v142 offset:512
	v_lshlrev_b32_e32 v140, 2, v155
	v_add3_u32 v147, v185, v184, v186
	v_dual_lshlrev_b32 v142, 2, v154 :: v_dual_lshlrev_b32 v159, 2, v152
	v_add3_u32 v146, v189, v188, v208
	v_add3_u32 v67, v192, v191, v209
	ds_store_b32 v64, v144 offset:512
	ds_store_b32 v65, v148 offset:512
	;; [unrolled: 1-line block ×5, first 2 shown]
	v_dual_lshlrev_b32 v64, 2, v151 :: v_dual_lshlrev_b32 v65, 2, v150
	v_add3_u32 v66, v195, v194, v210
	v_dual_lshlrev_b32 v140, 2, v149 :: v_dual_lshlrev_b32 v142, 2, v147
	v_add3_u32 v141, v205, v204, v167
	v_lshlrev_b32_e32 v144, 2, v146
	ds_store_b32 v64, v168 offset:512
	ds_store_b32 v65, v173 offset:512
	;; [unrolled: 1-line block ×5, first 2 shown]
	v_lshlrev_b32_e32 v64, 2, v67
	v_cmp_lt_u32_e32 vcc_lo, v2, v139
	v_dual_lshlrev_b32 v65, 2, v66 :: v_dual_lshlrev_b32 v140, 2, v145
	v_dual_lshlrev_b32 v142, 2, v143 :: v_dual_lshlrev_b32 v144, 2, v141
	ds_store_b32 v64, v187 offset:512
	ds_store_b32 v65, v190 offset:512
	;; [unrolled: 1-line block ×5, first 2 shown]
	s_wait_dscnt 0x0
	s_barrier_signal -1
	s_barrier_wait -1
	s_and_saveexec_b32 s18, vcc_lo
	s_cbranch_execnz .LBB1320_1189
; %bb.1117:                             ;   in Loop: Header=BB1320_1032 Depth=2
	s_or_b32 exec_lo, exec_lo, s18
	v_cmp_lt_u32_e64 s17, v3, v139
	s_and_saveexec_b32 s19, s17
	s_cbranch_execnz .LBB1320_1190
.LBB1320_1118:                          ;   in Loop: Header=BB1320_1032 Depth=2
	s_or_b32 exec_lo, exec_lo, s19
	v_cmp_lt_u32_e64 s18, v68, v139
	s_and_saveexec_b32 s20, s18
	s_cbranch_execnz .LBB1320_1191
.LBB1320_1119:                          ;   in Loop: Header=BB1320_1032 Depth=2
	s_or_b32 exec_lo, exec_lo, s20
	v_cmp_lt_u32_e64 s19, v69, v139
	s_and_saveexec_b32 s21, s19
	s_cbranch_execnz .LBB1320_1192
.LBB1320_1120:                          ;   in Loop: Header=BB1320_1032 Depth=2
	s_or_b32 exec_lo, exec_lo, s21
	v_cmp_lt_u32_e64 s20, v70, v139
	s_and_saveexec_b32 s22, s20
	s_cbranch_execnz .LBB1320_1193
.LBB1320_1121:                          ;   in Loop: Header=BB1320_1032 Depth=2
	s_or_b32 exec_lo, exec_lo, s22
	v_cmp_lt_u32_e64 s21, v71, v139
	s_and_saveexec_b32 s23, s21
	s_cbranch_execnz .LBB1320_1194
.LBB1320_1122:                          ;   in Loop: Header=BB1320_1032 Depth=2
	s_or_b32 exec_lo, exec_lo, s23
	v_cmp_lt_u32_e64 s22, v72, v139
	s_and_saveexec_b32 s24, s22
	s_cbranch_execnz .LBB1320_1195
.LBB1320_1123:                          ;   in Loop: Header=BB1320_1032 Depth=2
	s_or_b32 exec_lo, exec_lo, s24
	v_cmp_lt_u32_e64 s23, v73, v139
	s_and_saveexec_b32 s25, s23
	s_cbranch_execnz .LBB1320_1196
.LBB1320_1124:                          ;   in Loop: Header=BB1320_1032 Depth=2
	s_or_b32 exec_lo, exec_lo, s25
	v_cmp_lt_u32_e64 s24, v74, v139
	s_and_saveexec_b32 s26, s24
	s_cbranch_execnz .LBB1320_1197
.LBB1320_1125:                          ;   in Loop: Header=BB1320_1032 Depth=2
	s_or_b32 exec_lo, exec_lo, s26
	v_cmp_lt_u32_e64 s25, v75, v139
	s_and_saveexec_b32 s27, s25
	s_cbranch_execnz .LBB1320_1198
.LBB1320_1126:                          ;   in Loop: Header=BB1320_1032 Depth=2
	s_or_b32 exec_lo, exec_lo, s27
	v_cmp_lt_u32_e64 s26, v76, v139
	s_and_saveexec_b32 s28, s26
	s_cbranch_execnz .LBB1320_1199
.LBB1320_1127:                          ;   in Loop: Header=BB1320_1032 Depth=2
	s_or_b32 exec_lo, exec_lo, s28
	v_cmp_lt_u32_e64 s27, v77, v139
	s_and_saveexec_b32 s29, s27
	s_cbranch_execnz .LBB1320_1200
.LBB1320_1128:                          ;   in Loop: Header=BB1320_1032 Depth=2
	s_or_b32 exec_lo, exec_lo, s29
	v_cmp_lt_u32_e64 s28, v78, v139
	s_and_saveexec_b32 s30, s28
	s_cbranch_execnz .LBB1320_1201
.LBB1320_1129:                          ;   in Loop: Header=BB1320_1032 Depth=2
	s_or_b32 exec_lo, exec_lo, s30
	v_cmp_lt_u32_e64 s29, v79, v139
	s_and_saveexec_b32 s31, s29
	s_cbranch_execnz .LBB1320_1202
.LBB1320_1130:                          ;   in Loop: Header=BB1320_1032 Depth=2
	s_or_b32 exec_lo, exec_lo, s31
	v_cmp_lt_u32_e64 s30, v80, v139
	s_and_saveexec_b32 s33, s30
	s_cbranch_execnz .LBB1320_1203
.LBB1320_1131:                          ;   in Loop: Header=BB1320_1032 Depth=2
	s_or_b32 exec_lo, exec_lo, s33
	v_cmp_lt_u32_e64 s31, v81, v139
	s_and_saveexec_b32 s34, s31
	s_cbranch_execnz .LBB1320_1204
.LBB1320_1132:                          ;   in Loop: Header=BB1320_1032 Depth=2
	s_or_b32 exec_lo, exec_lo, s34
	v_cmp_lt_u32_e64 s33, v82, v139
	s_and_saveexec_b32 s61, s33
	s_cbranch_execz .LBB1320_1134
.LBB1320_1133:                          ;   in Loop: Header=BB1320_1032 Depth=2
	ds_load_b32 v64, v92 offset:16896
	s_wait_dscnt 0x0
	v_cmp_ne_u32_e64 s34, 0x80000000, v64
	s_delay_alu instid0(VALU_DEP_1) | instskip(SKIP_1) | instid1(VALU_DEP_1)
	v_cndmask_b32_e64 v65, 0x7fffffff, v64, s34
	v_cmp_gt_i32_e64 s34, 0, v64
	v_cndmask_b32_e64 v140, 0x7fffffff, 0, s34
	s_delay_alu instid0(VALU_DEP_1) | instskip(NEXT) | instid1(VALU_DEP_1)
	v_dual_lshrrev_b32 v65, s49, v65 :: v_dual_bitop2_b32 v64, v140, v64 bitop3:0x14
	v_and_b32_e32 v65, s58, v65
	s_delay_alu instid0(VALU_DEP_1)
	v_lshlrev_b32_e32 v65, 2, v65
	ds_load_b32 v65, v65
	s_wait_dscnt 0x0
	v_add_nc_u32_e32 v65, v65, v82
	global_store_b32 v65, v64, s[40:41] scale_offset
.LBB1320_1134:                          ;   in Loop: Header=BB1320_1032 Depth=2
	s_wait_xcnt 0x0
	s_or_b32 exec_lo, exec_lo, s61
	v_lshl_add_u64 v[64:65], s[42:43], 3, v[26:27]
	v_cmp_lt_u32_e64 s34, v101, v139
	s_and_saveexec_b32 s42, s34
	s_delay_alu instid0(SALU_CYCLE_1)
	s_xor_b32 s34, exec_lo, s42
	s_cbranch_execnz .LBB1320_1205
; %bb.1135:                             ;   in Loop: Header=BB1320_1032 Depth=2
	s_or_b32 exec_lo, exec_lo, s34
	s_delay_alu instid0(SALU_CYCLE_1)
	s_mov_b32 s42, exec_lo
	v_cmpx_lt_u32_e64 v104, v139
	s_cbranch_execnz .LBB1320_1206
.LBB1320_1136:                          ;   in Loop: Header=BB1320_1032 Depth=2
	s_or_b32 exec_lo, exec_lo, s42
	s_delay_alu instid0(SALU_CYCLE_1)
	s_mov_b32 s42, exec_lo
	v_cmpx_lt_u32_e64 v105, v139
	s_cbranch_execnz .LBB1320_1207
.LBB1320_1137:                          ;   in Loop: Header=BB1320_1032 Depth=2
	s_or_b32 exec_lo, exec_lo, s42
	s_delay_alu instid0(SALU_CYCLE_1)
	s_mov_b32 s42, exec_lo
	v_cmpx_lt_u32_e64 v106, v139
	s_cbranch_execnz .LBB1320_1208
.LBB1320_1138:                          ;   in Loop: Header=BB1320_1032 Depth=2
	s_or_b32 exec_lo, exec_lo, s42
	s_delay_alu instid0(SALU_CYCLE_1)
	s_mov_b32 s42, exec_lo
	v_cmpx_lt_u32_e64 v107, v139
	s_cbranch_execnz .LBB1320_1209
.LBB1320_1139:                          ;   in Loop: Header=BB1320_1032 Depth=2
	s_or_b32 exec_lo, exec_lo, s42
	s_delay_alu instid0(SALU_CYCLE_1)
	s_mov_b32 s42, exec_lo
	v_cmpx_lt_u32_e64 v108, v139
	s_cbranch_execnz .LBB1320_1210
.LBB1320_1140:                          ;   in Loop: Header=BB1320_1032 Depth=2
	s_or_b32 exec_lo, exec_lo, s42
	s_delay_alu instid0(SALU_CYCLE_1)
	s_mov_b32 s42, exec_lo
	v_cmpx_lt_u32_e64 v109, v139
	s_cbranch_execnz .LBB1320_1211
.LBB1320_1141:                          ;   in Loop: Header=BB1320_1032 Depth=2
	s_or_b32 exec_lo, exec_lo, s42
	s_delay_alu instid0(SALU_CYCLE_1)
	s_mov_b32 s42, exec_lo
	v_cmpx_lt_u32_e64 v110, v139
	s_cbranch_execnz .LBB1320_1212
.LBB1320_1142:                          ;   in Loop: Header=BB1320_1032 Depth=2
	s_or_b32 exec_lo, exec_lo, s42
	s_delay_alu instid0(SALU_CYCLE_1)
	s_mov_b32 s42, exec_lo
	v_cmpx_lt_u32_e64 v111, v139
	s_cbranch_execnz .LBB1320_1213
.LBB1320_1143:                          ;   in Loop: Header=BB1320_1032 Depth=2
	s_or_b32 exec_lo, exec_lo, s42
	s_delay_alu instid0(SALU_CYCLE_1)
	s_mov_b32 s42, exec_lo
	v_cmpx_lt_u32_e64 v112, v139
	s_cbranch_execnz .LBB1320_1214
.LBB1320_1144:                          ;   in Loop: Header=BB1320_1032 Depth=2
	s_or_b32 exec_lo, exec_lo, s42
	s_delay_alu instid0(SALU_CYCLE_1)
	s_mov_b32 s42, exec_lo
	v_cmpx_lt_u32_e64 v113, v139
	s_cbranch_execnz .LBB1320_1215
.LBB1320_1145:                          ;   in Loop: Header=BB1320_1032 Depth=2
	s_or_b32 exec_lo, exec_lo, s42
	s_delay_alu instid0(SALU_CYCLE_1)
	s_mov_b32 s42, exec_lo
	v_cmpx_lt_u32_e64 v114, v139
	s_cbranch_execnz .LBB1320_1216
.LBB1320_1146:                          ;   in Loop: Header=BB1320_1032 Depth=2
	s_or_b32 exec_lo, exec_lo, s42
	s_delay_alu instid0(SALU_CYCLE_1)
	s_mov_b32 s42, exec_lo
	v_cmpx_lt_u32_e64 v115, v139
	s_cbranch_execnz .LBB1320_1217
.LBB1320_1147:                          ;   in Loop: Header=BB1320_1032 Depth=2
	s_or_b32 exec_lo, exec_lo, s42
	s_delay_alu instid0(SALU_CYCLE_1)
	s_mov_b32 s42, exec_lo
	v_cmpx_lt_u32_e64 v116, v139
	s_cbranch_execnz .LBB1320_1218
.LBB1320_1148:                          ;   in Loop: Header=BB1320_1032 Depth=2
	s_or_b32 exec_lo, exec_lo, s42
	s_delay_alu instid0(SALU_CYCLE_1)
	s_mov_b32 s42, exec_lo
	v_cmpx_lt_u32_e64 v117, v139
	s_cbranch_execnz .LBB1320_1219
.LBB1320_1149:                          ;   in Loop: Header=BB1320_1032 Depth=2
	s_or_b32 exec_lo, exec_lo, s42
	s_delay_alu instid0(SALU_CYCLE_1)
	s_mov_b32 s42, exec_lo
	v_cmpx_lt_u32_e64 v118, v139
	s_cbranch_execnz .LBB1320_1220
.LBB1320_1150:                          ;   in Loop: Header=BB1320_1032 Depth=2
	s_or_b32 exec_lo, exec_lo, s42
	s_delay_alu instid0(SALU_CYCLE_1)
	s_mov_b32 s42, exec_lo
	v_cmpx_lt_u32_e64 v5, v139
	s_cbranch_execnz .LBB1320_1221
.LBB1320_1151:                          ;   in Loop: Header=BB1320_1032 Depth=2
	s_or_b32 exec_lo, exec_lo, s42
	s_and_saveexec_b32 s42, vcc_lo
	s_cbranch_execnz .LBB1320_1222
.LBB1320_1152:                          ;   in Loop: Header=BB1320_1032 Depth=2
	s_or_b32 exec_lo, exec_lo, s42
	s_and_saveexec_b32 s42, s17
	s_cbranch_execnz .LBB1320_1223
.LBB1320_1153:                          ;   in Loop: Header=BB1320_1032 Depth=2
	s_or_b32 exec_lo, exec_lo, s42
	s_and_saveexec_b32 s42, s18
	s_cbranch_execnz .LBB1320_1224
.LBB1320_1154:                          ;   in Loop: Header=BB1320_1032 Depth=2
	s_or_b32 exec_lo, exec_lo, s42
	s_and_saveexec_b32 s42, s19
	s_cbranch_execnz .LBB1320_1225
.LBB1320_1155:                          ;   in Loop: Header=BB1320_1032 Depth=2
	s_or_b32 exec_lo, exec_lo, s42
	s_and_saveexec_b32 s42, s20
	s_cbranch_execnz .LBB1320_1226
.LBB1320_1156:                          ;   in Loop: Header=BB1320_1032 Depth=2
	s_or_b32 exec_lo, exec_lo, s42
	s_and_saveexec_b32 s42, s21
	s_cbranch_execnz .LBB1320_1227
.LBB1320_1157:                          ;   in Loop: Header=BB1320_1032 Depth=2
	s_or_b32 exec_lo, exec_lo, s42
	s_and_saveexec_b32 s42, s22
	s_cbranch_execnz .LBB1320_1228
.LBB1320_1158:                          ;   in Loop: Header=BB1320_1032 Depth=2
	s_or_b32 exec_lo, exec_lo, s42
	s_and_saveexec_b32 s42, s23
	s_cbranch_execnz .LBB1320_1229
.LBB1320_1159:                          ;   in Loop: Header=BB1320_1032 Depth=2
	s_or_b32 exec_lo, exec_lo, s42
	s_and_saveexec_b32 s42, s24
	s_cbranch_execnz .LBB1320_1230
.LBB1320_1160:                          ;   in Loop: Header=BB1320_1032 Depth=2
	s_or_b32 exec_lo, exec_lo, s42
	s_and_saveexec_b32 s42, s25
	s_cbranch_execnz .LBB1320_1231
.LBB1320_1161:                          ;   in Loop: Header=BB1320_1032 Depth=2
	s_or_b32 exec_lo, exec_lo, s42
	s_and_saveexec_b32 s42, s26
	s_cbranch_execnz .LBB1320_1232
.LBB1320_1162:                          ;   in Loop: Header=BB1320_1032 Depth=2
	s_or_b32 exec_lo, exec_lo, s42
	s_and_saveexec_b32 s42, s27
	s_cbranch_execnz .LBB1320_1233
.LBB1320_1163:                          ;   in Loop: Header=BB1320_1032 Depth=2
	s_or_b32 exec_lo, exec_lo, s42
	s_and_saveexec_b32 s42, s28
	s_cbranch_execnz .LBB1320_1234
.LBB1320_1164:                          ;   in Loop: Header=BB1320_1032 Depth=2
	s_or_b32 exec_lo, exec_lo, s42
	s_and_saveexec_b32 s42, s29
	s_cbranch_execnz .LBB1320_1235
.LBB1320_1165:                          ;   in Loop: Header=BB1320_1032 Depth=2
	s_or_b32 exec_lo, exec_lo, s42
	s_and_saveexec_b32 s42, s30
	s_cbranch_execnz .LBB1320_1236
.LBB1320_1166:                          ;   in Loop: Header=BB1320_1032 Depth=2
	s_or_b32 exec_lo, exec_lo, s42
	s_and_saveexec_b32 s42, s31
	s_cbranch_execnz .LBB1320_1237
.LBB1320_1167:                          ;   in Loop: Header=BB1320_1032 Depth=2
	s_or_b32 exec_lo, exec_lo, s42
	s_and_saveexec_b32 s42, s33
	s_cbranch_execz .LBB1320_1169
.LBB1320_1168:                          ;   in Loop: Header=BB1320_1032 Depth=2
	ds_load_b32 v64, v92 offset:16896
	s_wait_dscnt 0x0
	v_cmp_ne_u32_e64 s34, 0x80000000, v64
	s_delay_alu instid0(VALU_DEP_1) | instskip(NEXT) | instid1(VALU_DEP_1)
	v_cndmask_b32_e64 v64, 0x7fffffff, v64, s34
	v_lshrrev_b32_e32 v64, s49, v64
	s_delay_alu instid0(VALU_DEP_1)
	v_and_b32_e32 v120, s58, v64
.LBB1320_1169:                          ;   in Loop: Header=BB1320_1032 Depth=2
	s_or_b32 exec_lo, exec_lo, s42
	v_dual_lshlrev_b32 v64, 3, v162 :: v_dual_lshlrev_b32 v65, 3, v161
	s_wait_loadcnt 0x0
	s_wait_storecnt 0x0
	s_barrier_signal -1
	s_barrier_wait -1
	ds_store_b64 v64, v[62:63] offset:512
	ds_store_b64 v65, v[60:61] offset:512
	v_dual_lshlrev_b32 v64, 3, v157 :: v_dual_lshlrev_b32 v65, 3, v156
	v_dual_lshlrev_b32 v139, 3, v155 :: v_dual_lshlrev_b32 v140, 3, v154
	v_lshlrev_b32_e32 v142, 3, v152
	ds_store_b64 v64, v[58:59] offset:512
	ds_store_b64 v65, v[56:57] offset:512
	ds_store_b64 v139, v[54:55] offset:512
	ds_store_b64 v140, v[52:53] offset:512
	ds_store_b64 v142, v[50:51] offset:512
	v_dual_lshlrev_b32 v64, 3, v151 :: v_dual_lshlrev_b32 v65, 3, v150
	v_dual_lshlrev_b32 v139, 3, v149 :: v_dual_lshlrev_b32 v140, 3, v147
	v_lshlrev_b32_e32 v142, 3, v146
	ds_store_b64 v64, v[48:49] offset:512
	ds_store_b64 v65, v[46:47] offset:512
	ds_store_b64 v139, v[44:45] offset:512
	;; [unrolled: 8-line block ×3, first 2 shown]
	ds_store_b64 v67, v[32:33] offset:512
	ds_store_b64 v139, v[30:31] offset:512
	v_add_nc_u32_e32 v64, v92, v4
	s_wait_dscnt 0x0
	s_barrier_signal -1
	s_barrier_wait -1
	s_and_saveexec_b32 s34, vcc_lo
	s_cbranch_execnz .LBB1320_1238
; %bb.1170:                             ;   in Loop: Header=BB1320_1032 Depth=2
	s_or_b32 exec_lo, exec_lo, s34
	s_and_saveexec_b32 s34, s17
	s_cbranch_execnz .LBB1320_1239
.LBB1320_1171:                          ;   in Loop: Header=BB1320_1032 Depth=2
	s_or_b32 exec_lo, exec_lo, s34
	s_and_saveexec_b32 s17, s18
	s_cbranch_execnz .LBB1320_1240
.LBB1320_1172:                          ;   in Loop: Header=BB1320_1032 Depth=2
	s_or_b32 exec_lo, exec_lo, s17
	s_and_saveexec_b32 s17, s19
	s_cbranch_execnz .LBB1320_1241
.LBB1320_1173:                          ;   in Loop: Header=BB1320_1032 Depth=2
	s_or_b32 exec_lo, exec_lo, s17
	s_and_saveexec_b32 s17, s20
	s_cbranch_execnz .LBB1320_1242
.LBB1320_1174:                          ;   in Loop: Header=BB1320_1032 Depth=2
	s_or_b32 exec_lo, exec_lo, s17
	s_and_saveexec_b32 s17, s21
	s_cbranch_execnz .LBB1320_1243
.LBB1320_1175:                          ;   in Loop: Header=BB1320_1032 Depth=2
	s_or_b32 exec_lo, exec_lo, s17
	s_and_saveexec_b32 s17, s22
	s_cbranch_execnz .LBB1320_1244
.LBB1320_1176:                          ;   in Loop: Header=BB1320_1032 Depth=2
	s_or_b32 exec_lo, exec_lo, s17
	s_and_saveexec_b32 s17, s23
	s_cbranch_execnz .LBB1320_1245
.LBB1320_1177:                          ;   in Loop: Header=BB1320_1032 Depth=2
	s_or_b32 exec_lo, exec_lo, s17
	s_and_saveexec_b32 s17, s24
	s_cbranch_execnz .LBB1320_1246
.LBB1320_1178:                          ;   in Loop: Header=BB1320_1032 Depth=2
	s_or_b32 exec_lo, exec_lo, s17
	s_and_saveexec_b32 s17, s25
	s_cbranch_execnz .LBB1320_1247
.LBB1320_1179:                          ;   in Loop: Header=BB1320_1032 Depth=2
	s_or_b32 exec_lo, exec_lo, s17
	s_and_saveexec_b32 s17, s26
	s_cbranch_execnz .LBB1320_1248
.LBB1320_1180:                          ;   in Loop: Header=BB1320_1032 Depth=2
	s_or_b32 exec_lo, exec_lo, s17
	s_and_saveexec_b32 s17, s27
	s_cbranch_execnz .LBB1320_1249
.LBB1320_1181:                          ;   in Loop: Header=BB1320_1032 Depth=2
	s_or_b32 exec_lo, exec_lo, s17
	s_and_saveexec_b32 s17, s28
	s_cbranch_execnz .LBB1320_1250
.LBB1320_1182:                          ;   in Loop: Header=BB1320_1032 Depth=2
	s_or_b32 exec_lo, exec_lo, s17
	s_and_saveexec_b32 s17, s29
	s_cbranch_execnz .LBB1320_1251
.LBB1320_1183:                          ;   in Loop: Header=BB1320_1032 Depth=2
	s_or_b32 exec_lo, exec_lo, s17
	s_and_saveexec_b32 s17, s30
	s_cbranch_execnz .LBB1320_1252
.LBB1320_1184:                          ;   in Loop: Header=BB1320_1032 Depth=2
	s_or_b32 exec_lo, exec_lo, s17
	s_and_saveexec_b32 s17, s31
	s_cbranch_execnz .LBB1320_1253
.LBB1320_1185:                          ;   in Loop: Header=BB1320_1032 Depth=2
	s_or_b32 exec_lo, exec_lo, s17
	s_and_saveexec_b32 s17, s33
	s_cbranch_execz .LBB1320_1187
.LBB1320_1186:                          ;   in Loop: Header=BB1320_1032 Depth=2
	v_lshlrev_b32_e32 v65, 2, v120
	ds_load_b32 v66, v65
	ds_load_b64 v[64:65], v64 offset:33280
	s_wait_dscnt 0x1
	v_add_nc_u32_e32 v66, v66, v82
	s_wait_dscnt 0x0
	global_store_b64 v66, v[64:65], s[46:47] scale_offset
.LBB1320_1187:                          ;   in Loop: Header=BB1320_1032 Depth=2
	s_wait_xcnt 0x0
	s_or_b32 exec_lo, exec_lo, s17
	s_wait_storecnt 0x0
	s_barrier_signal -1
	s_barrier_wait -1
	s_and_saveexec_b32 s17, s0
	s_cbranch_execz .LBB1320_1031
; %bb.1188:                             ;   in Loop: Header=BB1320_1032 Depth=2
	ds_load_b32 v64, v4
	s_wait_dscnt 0x0
	v_add3_u32 v64, v133, v138, v64
	ds_store_b32 v4, v64
	s_branch .LBB1320_1031
.LBB1320_1189:                          ;   in Loop: Header=BB1320_1032 Depth=2
	ds_load_b32 v64, v92 offset:512
	s_wait_dscnt 0x0
	v_cmp_ne_u32_e64 s17, 0x80000000, v64
	s_delay_alu instid0(VALU_DEP_1) | instskip(SKIP_1) | instid1(VALU_DEP_1)
	v_cndmask_b32_e64 v65, 0x7fffffff, v64, s17
	v_cmp_gt_i32_e64 s17, 0, v64
	v_cndmask_b32_e64 v140, 0x7fffffff, 0, s17
	s_delay_alu instid0(VALU_DEP_1) | instskip(NEXT) | instid1(VALU_DEP_1)
	v_dual_lshrrev_b32 v65, s49, v65 :: v_dual_bitop2_b32 v64, v140, v64 bitop3:0x14
	v_and_b32_e32 v65, s58, v65
	s_delay_alu instid0(VALU_DEP_1)
	v_lshlrev_b32_e32 v65, 2, v65
	ds_load_b32 v65, v65
	s_wait_dscnt 0x0
	v_add_nc_u32_e32 v65, v65, v2
	global_store_b32 v65, v64, s[40:41] scale_offset
	s_wait_xcnt 0x0
	s_or_b32 exec_lo, exec_lo, s18
	v_cmp_lt_u32_e64 s17, v3, v139
	s_and_saveexec_b32 s19, s17
	s_cbranch_execz .LBB1320_1118
.LBB1320_1190:                          ;   in Loop: Header=BB1320_1032 Depth=2
	ds_load_b32 v64, v92 offset:1536
	s_wait_dscnt 0x0
	v_cmp_ne_u32_e64 s18, 0x80000000, v64
	s_delay_alu instid0(VALU_DEP_1) | instskip(SKIP_1) | instid1(VALU_DEP_1)
	v_cndmask_b32_e64 v65, 0x7fffffff, v64, s18
	v_cmp_gt_i32_e64 s18, 0, v64
	v_cndmask_b32_e64 v140, 0x7fffffff, 0, s18
	s_delay_alu instid0(VALU_DEP_1) | instskip(NEXT) | instid1(VALU_DEP_1)
	v_dual_lshrrev_b32 v65, s49, v65 :: v_dual_bitop2_b32 v64, v140, v64 bitop3:0x14
	v_and_b32_e32 v65, s58, v65
	s_delay_alu instid0(VALU_DEP_1)
	v_lshlrev_b32_e32 v65, 2, v65
	ds_load_b32 v65, v65
	s_wait_dscnt 0x0
	v_add_nc_u32_e32 v65, v65, v3
	global_store_b32 v65, v64, s[40:41] scale_offset
	s_wait_xcnt 0x0
	s_or_b32 exec_lo, exec_lo, s19
	v_cmp_lt_u32_e64 s18, v68, v139
	s_and_saveexec_b32 s20, s18
	s_cbranch_execz .LBB1320_1119
.LBB1320_1191:                          ;   in Loop: Header=BB1320_1032 Depth=2
	ds_load_b32 v64, v92 offset:2560
	s_wait_dscnt 0x0
	v_cmp_ne_u32_e64 s19, 0x80000000, v64
	s_delay_alu instid0(VALU_DEP_1) | instskip(SKIP_1) | instid1(VALU_DEP_1)
	v_cndmask_b32_e64 v65, 0x7fffffff, v64, s19
	v_cmp_gt_i32_e64 s19, 0, v64
	v_cndmask_b32_e64 v140, 0x7fffffff, 0, s19
	s_delay_alu instid0(VALU_DEP_1) | instskip(NEXT) | instid1(VALU_DEP_1)
	v_dual_lshrrev_b32 v65, s49, v65 :: v_dual_bitop2_b32 v64, v140, v64 bitop3:0x14
	v_and_b32_e32 v65, s58, v65
	s_delay_alu instid0(VALU_DEP_1)
	v_lshlrev_b32_e32 v65, 2, v65
	ds_load_b32 v65, v65
	s_wait_dscnt 0x0
	v_add_nc_u32_e32 v65, v65, v68
	global_store_b32 v65, v64, s[40:41] scale_offset
	s_wait_xcnt 0x0
	s_or_b32 exec_lo, exec_lo, s20
	v_cmp_lt_u32_e64 s19, v69, v139
	s_and_saveexec_b32 s21, s19
	s_cbranch_execz .LBB1320_1120
.LBB1320_1192:                          ;   in Loop: Header=BB1320_1032 Depth=2
	ds_load_b32 v64, v92 offset:3584
	s_wait_dscnt 0x0
	v_cmp_ne_u32_e64 s20, 0x80000000, v64
	s_delay_alu instid0(VALU_DEP_1) | instskip(SKIP_1) | instid1(VALU_DEP_1)
	v_cndmask_b32_e64 v65, 0x7fffffff, v64, s20
	v_cmp_gt_i32_e64 s20, 0, v64
	v_cndmask_b32_e64 v140, 0x7fffffff, 0, s20
	s_delay_alu instid0(VALU_DEP_1) | instskip(NEXT) | instid1(VALU_DEP_1)
	v_dual_lshrrev_b32 v65, s49, v65 :: v_dual_bitop2_b32 v64, v140, v64 bitop3:0x14
	v_and_b32_e32 v65, s58, v65
	s_delay_alu instid0(VALU_DEP_1)
	v_lshlrev_b32_e32 v65, 2, v65
	ds_load_b32 v65, v65
	s_wait_dscnt 0x0
	v_add_nc_u32_e32 v65, v65, v69
	global_store_b32 v65, v64, s[40:41] scale_offset
	s_wait_xcnt 0x0
	s_or_b32 exec_lo, exec_lo, s21
	v_cmp_lt_u32_e64 s20, v70, v139
	s_and_saveexec_b32 s22, s20
	s_cbranch_execz .LBB1320_1121
.LBB1320_1193:                          ;   in Loop: Header=BB1320_1032 Depth=2
	ds_load_b32 v64, v92 offset:4608
	s_wait_dscnt 0x0
	v_cmp_ne_u32_e64 s21, 0x80000000, v64
	s_delay_alu instid0(VALU_DEP_1) | instskip(SKIP_1) | instid1(VALU_DEP_1)
	v_cndmask_b32_e64 v65, 0x7fffffff, v64, s21
	v_cmp_gt_i32_e64 s21, 0, v64
	v_cndmask_b32_e64 v140, 0x7fffffff, 0, s21
	s_delay_alu instid0(VALU_DEP_1) | instskip(NEXT) | instid1(VALU_DEP_1)
	v_dual_lshrrev_b32 v65, s49, v65 :: v_dual_bitop2_b32 v64, v140, v64 bitop3:0x14
	v_and_b32_e32 v65, s58, v65
	s_delay_alu instid0(VALU_DEP_1)
	v_lshlrev_b32_e32 v65, 2, v65
	ds_load_b32 v65, v65
	s_wait_dscnt 0x0
	v_add_nc_u32_e32 v65, v65, v70
	global_store_b32 v65, v64, s[40:41] scale_offset
	s_wait_xcnt 0x0
	s_or_b32 exec_lo, exec_lo, s22
	v_cmp_lt_u32_e64 s21, v71, v139
	s_and_saveexec_b32 s23, s21
	s_cbranch_execz .LBB1320_1122
.LBB1320_1194:                          ;   in Loop: Header=BB1320_1032 Depth=2
	ds_load_b32 v64, v92 offset:5632
	s_wait_dscnt 0x0
	v_cmp_ne_u32_e64 s22, 0x80000000, v64
	s_delay_alu instid0(VALU_DEP_1) | instskip(SKIP_1) | instid1(VALU_DEP_1)
	v_cndmask_b32_e64 v65, 0x7fffffff, v64, s22
	v_cmp_gt_i32_e64 s22, 0, v64
	v_cndmask_b32_e64 v140, 0x7fffffff, 0, s22
	s_delay_alu instid0(VALU_DEP_1) | instskip(NEXT) | instid1(VALU_DEP_1)
	v_dual_lshrrev_b32 v65, s49, v65 :: v_dual_bitop2_b32 v64, v140, v64 bitop3:0x14
	v_and_b32_e32 v65, s58, v65
	s_delay_alu instid0(VALU_DEP_1)
	v_lshlrev_b32_e32 v65, 2, v65
	ds_load_b32 v65, v65
	s_wait_dscnt 0x0
	v_add_nc_u32_e32 v65, v65, v71
	global_store_b32 v65, v64, s[40:41] scale_offset
	s_wait_xcnt 0x0
	s_or_b32 exec_lo, exec_lo, s23
	v_cmp_lt_u32_e64 s22, v72, v139
	s_and_saveexec_b32 s24, s22
	s_cbranch_execz .LBB1320_1123
.LBB1320_1195:                          ;   in Loop: Header=BB1320_1032 Depth=2
	ds_load_b32 v64, v92 offset:6656
	s_wait_dscnt 0x0
	v_cmp_ne_u32_e64 s23, 0x80000000, v64
	s_delay_alu instid0(VALU_DEP_1) | instskip(SKIP_1) | instid1(VALU_DEP_1)
	v_cndmask_b32_e64 v65, 0x7fffffff, v64, s23
	v_cmp_gt_i32_e64 s23, 0, v64
	v_cndmask_b32_e64 v140, 0x7fffffff, 0, s23
	s_delay_alu instid0(VALU_DEP_1) | instskip(NEXT) | instid1(VALU_DEP_1)
	v_dual_lshrrev_b32 v65, s49, v65 :: v_dual_bitop2_b32 v64, v140, v64 bitop3:0x14
	v_and_b32_e32 v65, s58, v65
	s_delay_alu instid0(VALU_DEP_1)
	v_lshlrev_b32_e32 v65, 2, v65
	ds_load_b32 v65, v65
	s_wait_dscnt 0x0
	v_add_nc_u32_e32 v65, v65, v72
	global_store_b32 v65, v64, s[40:41] scale_offset
	s_wait_xcnt 0x0
	s_or_b32 exec_lo, exec_lo, s24
	v_cmp_lt_u32_e64 s23, v73, v139
	s_and_saveexec_b32 s25, s23
	s_cbranch_execz .LBB1320_1124
.LBB1320_1196:                          ;   in Loop: Header=BB1320_1032 Depth=2
	ds_load_b32 v64, v92 offset:7680
	s_wait_dscnt 0x0
	v_cmp_ne_u32_e64 s24, 0x80000000, v64
	s_delay_alu instid0(VALU_DEP_1) | instskip(SKIP_1) | instid1(VALU_DEP_1)
	v_cndmask_b32_e64 v65, 0x7fffffff, v64, s24
	v_cmp_gt_i32_e64 s24, 0, v64
	v_cndmask_b32_e64 v140, 0x7fffffff, 0, s24
	s_delay_alu instid0(VALU_DEP_1) | instskip(NEXT) | instid1(VALU_DEP_1)
	v_dual_lshrrev_b32 v65, s49, v65 :: v_dual_bitop2_b32 v64, v140, v64 bitop3:0x14
	v_and_b32_e32 v65, s58, v65
	s_delay_alu instid0(VALU_DEP_1)
	v_lshlrev_b32_e32 v65, 2, v65
	ds_load_b32 v65, v65
	s_wait_dscnt 0x0
	v_add_nc_u32_e32 v65, v65, v73
	global_store_b32 v65, v64, s[40:41] scale_offset
	s_wait_xcnt 0x0
	s_or_b32 exec_lo, exec_lo, s25
	v_cmp_lt_u32_e64 s24, v74, v139
	s_and_saveexec_b32 s26, s24
	s_cbranch_execz .LBB1320_1125
.LBB1320_1197:                          ;   in Loop: Header=BB1320_1032 Depth=2
	ds_load_b32 v64, v92 offset:8704
	s_wait_dscnt 0x0
	v_cmp_ne_u32_e64 s25, 0x80000000, v64
	s_delay_alu instid0(VALU_DEP_1) | instskip(SKIP_1) | instid1(VALU_DEP_1)
	v_cndmask_b32_e64 v65, 0x7fffffff, v64, s25
	v_cmp_gt_i32_e64 s25, 0, v64
	v_cndmask_b32_e64 v140, 0x7fffffff, 0, s25
	s_delay_alu instid0(VALU_DEP_1) | instskip(NEXT) | instid1(VALU_DEP_1)
	v_dual_lshrrev_b32 v65, s49, v65 :: v_dual_bitop2_b32 v64, v140, v64 bitop3:0x14
	v_and_b32_e32 v65, s58, v65
	s_delay_alu instid0(VALU_DEP_1)
	v_lshlrev_b32_e32 v65, 2, v65
	ds_load_b32 v65, v65
	s_wait_dscnt 0x0
	v_add_nc_u32_e32 v65, v65, v74
	global_store_b32 v65, v64, s[40:41] scale_offset
	s_wait_xcnt 0x0
	s_or_b32 exec_lo, exec_lo, s26
	v_cmp_lt_u32_e64 s25, v75, v139
	s_and_saveexec_b32 s27, s25
	s_cbranch_execz .LBB1320_1126
.LBB1320_1198:                          ;   in Loop: Header=BB1320_1032 Depth=2
	ds_load_b32 v64, v92 offset:9728
	s_wait_dscnt 0x0
	v_cmp_ne_u32_e64 s26, 0x80000000, v64
	s_delay_alu instid0(VALU_DEP_1) | instskip(SKIP_1) | instid1(VALU_DEP_1)
	v_cndmask_b32_e64 v65, 0x7fffffff, v64, s26
	v_cmp_gt_i32_e64 s26, 0, v64
	v_cndmask_b32_e64 v140, 0x7fffffff, 0, s26
	s_delay_alu instid0(VALU_DEP_1) | instskip(NEXT) | instid1(VALU_DEP_1)
	v_dual_lshrrev_b32 v65, s49, v65 :: v_dual_bitop2_b32 v64, v140, v64 bitop3:0x14
	v_and_b32_e32 v65, s58, v65
	s_delay_alu instid0(VALU_DEP_1)
	v_lshlrev_b32_e32 v65, 2, v65
	ds_load_b32 v65, v65
	s_wait_dscnt 0x0
	v_add_nc_u32_e32 v65, v65, v75
	global_store_b32 v65, v64, s[40:41] scale_offset
	s_wait_xcnt 0x0
	s_or_b32 exec_lo, exec_lo, s27
	v_cmp_lt_u32_e64 s26, v76, v139
	s_and_saveexec_b32 s28, s26
	s_cbranch_execz .LBB1320_1127
.LBB1320_1199:                          ;   in Loop: Header=BB1320_1032 Depth=2
	ds_load_b32 v64, v92 offset:10752
	s_wait_dscnt 0x0
	v_cmp_ne_u32_e64 s27, 0x80000000, v64
	s_delay_alu instid0(VALU_DEP_1) | instskip(SKIP_1) | instid1(VALU_DEP_1)
	v_cndmask_b32_e64 v65, 0x7fffffff, v64, s27
	v_cmp_gt_i32_e64 s27, 0, v64
	v_cndmask_b32_e64 v140, 0x7fffffff, 0, s27
	s_delay_alu instid0(VALU_DEP_1) | instskip(NEXT) | instid1(VALU_DEP_1)
	v_dual_lshrrev_b32 v65, s49, v65 :: v_dual_bitop2_b32 v64, v140, v64 bitop3:0x14
	v_and_b32_e32 v65, s58, v65
	s_delay_alu instid0(VALU_DEP_1)
	v_lshlrev_b32_e32 v65, 2, v65
	ds_load_b32 v65, v65
	s_wait_dscnt 0x0
	v_add_nc_u32_e32 v65, v65, v76
	global_store_b32 v65, v64, s[40:41] scale_offset
	s_wait_xcnt 0x0
	s_or_b32 exec_lo, exec_lo, s28
	v_cmp_lt_u32_e64 s27, v77, v139
	s_and_saveexec_b32 s29, s27
	s_cbranch_execz .LBB1320_1128
.LBB1320_1200:                          ;   in Loop: Header=BB1320_1032 Depth=2
	ds_load_b32 v64, v92 offset:11776
	s_wait_dscnt 0x0
	v_cmp_ne_u32_e64 s28, 0x80000000, v64
	s_delay_alu instid0(VALU_DEP_1) | instskip(SKIP_1) | instid1(VALU_DEP_1)
	v_cndmask_b32_e64 v65, 0x7fffffff, v64, s28
	v_cmp_gt_i32_e64 s28, 0, v64
	v_cndmask_b32_e64 v140, 0x7fffffff, 0, s28
	s_delay_alu instid0(VALU_DEP_1) | instskip(NEXT) | instid1(VALU_DEP_1)
	v_dual_lshrrev_b32 v65, s49, v65 :: v_dual_bitop2_b32 v64, v140, v64 bitop3:0x14
	v_and_b32_e32 v65, s58, v65
	s_delay_alu instid0(VALU_DEP_1)
	v_lshlrev_b32_e32 v65, 2, v65
	ds_load_b32 v65, v65
	s_wait_dscnt 0x0
	v_add_nc_u32_e32 v65, v65, v77
	global_store_b32 v65, v64, s[40:41] scale_offset
	s_wait_xcnt 0x0
	s_or_b32 exec_lo, exec_lo, s29
	v_cmp_lt_u32_e64 s28, v78, v139
	s_and_saveexec_b32 s30, s28
	s_cbranch_execz .LBB1320_1129
.LBB1320_1201:                          ;   in Loop: Header=BB1320_1032 Depth=2
	ds_load_b32 v64, v92 offset:12800
	s_wait_dscnt 0x0
	v_cmp_ne_u32_e64 s29, 0x80000000, v64
	s_delay_alu instid0(VALU_DEP_1) | instskip(SKIP_1) | instid1(VALU_DEP_1)
	v_cndmask_b32_e64 v65, 0x7fffffff, v64, s29
	v_cmp_gt_i32_e64 s29, 0, v64
	v_cndmask_b32_e64 v140, 0x7fffffff, 0, s29
	s_delay_alu instid0(VALU_DEP_1) | instskip(NEXT) | instid1(VALU_DEP_1)
	v_dual_lshrrev_b32 v65, s49, v65 :: v_dual_bitop2_b32 v64, v140, v64 bitop3:0x14
	v_and_b32_e32 v65, s58, v65
	s_delay_alu instid0(VALU_DEP_1)
	v_lshlrev_b32_e32 v65, 2, v65
	ds_load_b32 v65, v65
	s_wait_dscnt 0x0
	v_add_nc_u32_e32 v65, v65, v78
	global_store_b32 v65, v64, s[40:41] scale_offset
	s_wait_xcnt 0x0
	s_or_b32 exec_lo, exec_lo, s30
	v_cmp_lt_u32_e64 s29, v79, v139
	s_and_saveexec_b32 s31, s29
	s_cbranch_execz .LBB1320_1130
.LBB1320_1202:                          ;   in Loop: Header=BB1320_1032 Depth=2
	ds_load_b32 v64, v92 offset:13824
	s_wait_dscnt 0x0
	v_cmp_ne_u32_e64 s30, 0x80000000, v64
	s_delay_alu instid0(VALU_DEP_1) | instskip(SKIP_1) | instid1(VALU_DEP_1)
	v_cndmask_b32_e64 v65, 0x7fffffff, v64, s30
	v_cmp_gt_i32_e64 s30, 0, v64
	v_cndmask_b32_e64 v140, 0x7fffffff, 0, s30
	s_delay_alu instid0(VALU_DEP_1) | instskip(NEXT) | instid1(VALU_DEP_1)
	v_dual_lshrrev_b32 v65, s49, v65 :: v_dual_bitop2_b32 v64, v140, v64 bitop3:0x14
	v_and_b32_e32 v65, s58, v65
	s_delay_alu instid0(VALU_DEP_1)
	v_lshlrev_b32_e32 v65, 2, v65
	ds_load_b32 v65, v65
	s_wait_dscnt 0x0
	v_add_nc_u32_e32 v65, v65, v79
	global_store_b32 v65, v64, s[40:41] scale_offset
	s_wait_xcnt 0x0
	s_or_b32 exec_lo, exec_lo, s31
	v_cmp_lt_u32_e64 s30, v80, v139
	s_and_saveexec_b32 s33, s30
	s_cbranch_execz .LBB1320_1131
.LBB1320_1203:                          ;   in Loop: Header=BB1320_1032 Depth=2
	ds_load_b32 v64, v92 offset:14848
	s_wait_dscnt 0x0
	v_cmp_ne_u32_e64 s31, 0x80000000, v64
	s_delay_alu instid0(VALU_DEP_1) | instskip(SKIP_1) | instid1(VALU_DEP_1)
	v_cndmask_b32_e64 v65, 0x7fffffff, v64, s31
	v_cmp_gt_i32_e64 s31, 0, v64
	v_cndmask_b32_e64 v140, 0x7fffffff, 0, s31
	s_delay_alu instid0(VALU_DEP_1) | instskip(NEXT) | instid1(VALU_DEP_1)
	v_dual_lshrrev_b32 v65, s49, v65 :: v_dual_bitop2_b32 v64, v140, v64 bitop3:0x14
	v_and_b32_e32 v65, s58, v65
	s_delay_alu instid0(VALU_DEP_1)
	v_lshlrev_b32_e32 v65, 2, v65
	ds_load_b32 v65, v65
	s_wait_dscnt 0x0
	v_add_nc_u32_e32 v65, v65, v80
	global_store_b32 v65, v64, s[40:41] scale_offset
	s_wait_xcnt 0x0
	s_or_b32 exec_lo, exec_lo, s33
	v_cmp_lt_u32_e64 s31, v81, v139
	s_and_saveexec_b32 s34, s31
	s_cbranch_execz .LBB1320_1132
.LBB1320_1204:                          ;   in Loop: Header=BB1320_1032 Depth=2
	ds_load_b32 v64, v92 offset:15872
	s_wait_dscnt 0x0
	v_cmp_ne_u32_e64 s33, 0x80000000, v64
	s_delay_alu instid0(VALU_DEP_1) | instskip(SKIP_1) | instid1(VALU_DEP_1)
	v_cndmask_b32_e64 v65, 0x7fffffff, v64, s33
	v_cmp_gt_i32_e64 s33, 0, v64
	v_cndmask_b32_e64 v140, 0x7fffffff, 0, s33
	s_delay_alu instid0(VALU_DEP_1) | instskip(NEXT) | instid1(VALU_DEP_1)
	v_dual_lshrrev_b32 v65, s49, v65 :: v_dual_bitop2_b32 v64, v140, v64 bitop3:0x14
	v_and_b32_e32 v65, s58, v65
	s_delay_alu instid0(VALU_DEP_1)
	v_lshlrev_b32_e32 v65, 2, v65
	ds_load_b32 v65, v65
	s_wait_dscnt 0x0
	v_add_nc_u32_e32 v65, v65, v81
	global_store_b32 v65, v64, s[40:41] scale_offset
	s_wait_xcnt 0x0
	s_or_b32 exec_lo, exec_lo, s34
	v_cmp_lt_u32_e64 s33, v82, v139
	s_and_saveexec_b32 s61, s33
	s_cbranch_execnz .LBB1320_1133
	s_branch .LBB1320_1134
.LBB1320_1205:                          ;   in Loop: Header=BB1320_1032 Depth=2
	global_load_b64 v[62:63], v[64:65], off
	s_wait_xcnt 0x0
	s_or_b32 exec_lo, exec_lo, s34
	s_delay_alu instid0(SALU_CYCLE_1)
	s_mov_b32 s42, exec_lo
	v_cmpx_lt_u32_e64 v104, v139
	s_cbranch_execz .LBB1320_1136
.LBB1320_1206:                          ;   in Loop: Header=BB1320_1032 Depth=2
	global_load_b64 v[60:61], v[64:65], off offset:256
	s_wait_xcnt 0x0
	s_or_b32 exec_lo, exec_lo, s42
	s_delay_alu instid0(SALU_CYCLE_1)
	s_mov_b32 s42, exec_lo
	v_cmpx_lt_u32_e64 v105, v139
	s_cbranch_execz .LBB1320_1137
.LBB1320_1207:                          ;   in Loop: Header=BB1320_1032 Depth=2
	global_load_b64 v[58:59], v[64:65], off offset:512
	s_wait_xcnt 0x0
	s_or_b32 exec_lo, exec_lo, s42
	s_delay_alu instid0(SALU_CYCLE_1)
	s_mov_b32 s42, exec_lo
	v_cmpx_lt_u32_e64 v106, v139
	s_cbranch_execz .LBB1320_1138
.LBB1320_1208:                          ;   in Loop: Header=BB1320_1032 Depth=2
	global_load_b64 v[56:57], v[64:65], off offset:768
	s_wait_xcnt 0x0
	s_or_b32 exec_lo, exec_lo, s42
	s_delay_alu instid0(SALU_CYCLE_1)
	s_mov_b32 s42, exec_lo
	v_cmpx_lt_u32_e64 v107, v139
	s_cbranch_execz .LBB1320_1139
.LBB1320_1209:                          ;   in Loop: Header=BB1320_1032 Depth=2
	global_load_b64 v[54:55], v[64:65], off offset:1024
	s_wait_xcnt 0x0
	s_or_b32 exec_lo, exec_lo, s42
	s_delay_alu instid0(SALU_CYCLE_1)
	s_mov_b32 s42, exec_lo
	v_cmpx_lt_u32_e64 v108, v139
	s_cbranch_execz .LBB1320_1140
.LBB1320_1210:                          ;   in Loop: Header=BB1320_1032 Depth=2
	global_load_b64 v[52:53], v[64:65], off offset:1280
	s_wait_xcnt 0x0
	s_or_b32 exec_lo, exec_lo, s42
	s_delay_alu instid0(SALU_CYCLE_1)
	s_mov_b32 s42, exec_lo
	v_cmpx_lt_u32_e64 v109, v139
	s_cbranch_execz .LBB1320_1141
.LBB1320_1211:                          ;   in Loop: Header=BB1320_1032 Depth=2
	global_load_b64 v[50:51], v[64:65], off offset:1536
	s_wait_xcnt 0x0
	s_or_b32 exec_lo, exec_lo, s42
	s_delay_alu instid0(SALU_CYCLE_1)
	s_mov_b32 s42, exec_lo
	v_cmpx_lt_u32_e64 v110, v139
	s_cbranch_execz .LBB1320_1142
.LBB1320_1212:                          ;   in Loop: Header=BB1320_1032 Depth=2
	global_load_b64 v[48:49], v[64:65], off offset:1792
	s_wait_xcnt 0x0
	s_or_b32 exec_lo, exec_lo, s42
	s_delay_alu instid0(SALU_CYCLE_1)
	s_mov_b32 s42, exec_lo
	v_cmpx_lt_u32_e64 v111, v139
	s_cbranch_execz .LBB1320_1143
.LBB1320_1213:                          ;   in Loop: Header=BB1320_1032 Depth=2
	global_load_b64 v[46:47], v[64:65], off offset:2048
	s_wait_xcnt 0x0
	s_or_b32 exec_lo, exec_lo, s42
	s_delay_alu instid0(SALU_CYCLE_1)
	s_mov_b32 s42, exec_lo
	v_cmpx_lt_u32_e64 v112, v139
	s_cbranch_execz .LBB1320_1144
.LBB1320_1214:                          ;   in Loop: Header=BB1320_1032 Depth=2
	global_load_b64 v[44:45], v[64:65], off offset:2304
	s_wait_xcnt 0x0
	s_or_b32 exec_lo, exec_lo, s42
	s_delay_alu instid0(SALU_CYCLE_1)
	s_mov_b32 s42, exec_lo
	v_cmpx_lt_u32_e64 v113, v139
	s_cbranch_execz .LBB1320_1145
.LBB1320_1215:                          ;   in Loop: Header=BB1320_1032 Depth=2
	global_load_b64 v[42:43], v[64:65], off offset:2560
	s_wait_xcnt 0x0
	s_or_b32 exec_lo, exec_lo, s42
	s_delay_alu instid0(SALU_CYCLE_1)
	s_mov_b32 s42, exec_lo
	v_cmpx_lt_u32_e64 v114, v139
	s_cbranch_execz .LBB1320_1146
.LBB1320_1216:                          ;   in Loop: Header=BB1320_1032 Depth=2
	global_load_b64 v[40:41], v[64:65], off offset:2816
	s_wait_xcnt 0x0
	s_or_b32 exec_lo, exec_lo, s42
	s_delay_alu instid0(SALU_CYCLE_1)
	s_mov_b32 s42, exec_lo
	v_cmpx_lt_u32_e64 v115, v139
	s_cbranch_execz .LBB1320_1147
.LBB1320_1217:                          ;   in Loop: Header=BB1320_1032 Depth=2
	global_load_b64 v[38:39], v[64:65], off offset:3072
	s_wait_xcnt 0x0
	s_or_b32 exec_lo, exec_lo, s42
	s_delay_alu instid0(SALU_CYCLE_1)
	s_mov_b32 s42, exec_lo
	v_cmpx_lt_u32_e64 v116, v139
	s_cbranch_execz .LBB1320_1148
.LBB1320_1218:                          ;   in Loop: Header=BB1320_1032 Depth=2
	global_load_b64 v[36:37], v[64:65], off offset:3328
	s_wait_xcnt 0x0
	s_or_b32 exec_lo, exec_lo, s42
	s_delay_alu instid0(SALU_CYCLE_1)
	s_mov_b32 s42, exec_lo
	v_cmpx_lt_u32_e64 v117, v139
	s_cbranch_execz .LBB1320_1149
.LBB1320_1219:                          ;   in Loop: Header=BB1320_1032 Depth=2
	global_load_b64 v[34:35], v[64:65], off offset:3584
	s_wait_xcnt 0x0
	s_or_b32 exec_lo, exec_lo, s42
	s_delay_alu instid0(SALU_CYCLE_1)
	s_mov_b32 s42, exec_lo
	v_cmpx_lt_u32_e64 v118, v139
	s_cbranch_execz .LBB1320_1150
.LBB1320_1220:                          ;   in Loop: Header=BB1320_1032 Depth=2
	global_load_b64 v[32:33], v[64:65], off offset:3840
	s_wait_xcnt 0x0
	s_or_b32 exec_lo, exec_lo, s42
	s_delay_alu instid0(SALU_CYCLE_1)
	s_mov_b32 s42, exec_lo
	v_cmpx_lt_u32_e64 v5, v139
	s_cbranch_execz .LBB1320_1151
.LBB1320_1221:                          ;   in Loop: Header=BB1320_1032 Depth=2
	global_load_b64 v[30:31], v[64:65], off offset:4096
	s_wait_xcnt 0x0
	s_or_b32 exec_lo, exec_lo, s42
	s_and_saveexec_b32 s42, vcc_lo
	s_cbranch_execz .LBB1320_1152
.LBB1320_1222:                          ;   in Loop: Header=BB1320_1032 Depth=2
	ds_load_b32 v64, v92 offset:512
	s_wait_dscnt 0x0
	v_cmp_ne_u32_e64 s34, 0x80000000, v64
	s_delay_alu instid0(VALU_DEP_1) | instskip(NEXT) | instid1(VALU_DEP_1)
	v_cndmask_b32_e64 v64, 0x7fffffff, v64, s34
	v_lshrrev_b32_e32 v64, s49, v64
	s_delay_alu instid0(VALU_DEP_1)
	v_and_b32_e32 v137, s58, v64
	s_or_b32 exec_lo, exec_lo, s42
	s_and_saveexec_b32 s42, s17
	s_cbranch_execz .LBB1320_1153
.LBB1320_1223:                          ;   in Loop: Header=BB1320_1032 Depth=2
	ds_load_b32 v64, v92 offset:1536
	s_wait_dscnt 0x0
	v_cmp_ne_u32_e64 s34, 0x80000000, v64
	s_delay_alu instid0(VALU_DEP_1) | instskip(NEXT) | instid1(VALU_DEP_1)
	v_cndmask_b32_e64 v64, 0x7fffffff, v64, s34
	v_lshrrev_b32_e32 v64, s49, v64
	s_delay_alu instid0(VALU_DEP_1)
	v_and_b32_e32 v136, s58, v64
	s_or_b32 exec_lo, exec_lo, s42
	s_and_saveexec_b32 s42, s18
	s_cbranch_execz .LBB1320_1154
.LBB1320_1224:                          ;   in Loop: Header=BB1320_1032 Depth=2
	ds_load_b32 v64, v92 offset:2560
	s_wait_dscnt 0x0
	v_cmp_ne_u32_e64 s34, 0x80000000, v64
	s_delay_alu instid0(VALU_DEP_1) | instskip(NEXT) | instid1(VALU_DEP_1)
	v_cndmask_b32_e64 v64, 0x7fffffff, v64, s34
	v_lshrrev_b32_e32 v64, s49, v64
	s_delay_alu instid0(VALU_DEP_1)
	v_and_b32_e32 v135, s58, v64
	s_or_b32 exec_lo, exec_lo, s42
	s_and_saveexec_b32 s42, s19
	s_cbranch_execz .LBB1320_1155
.LBB1320_1225:                          ;   in Loop: Header=BB1320_1032 Depth=2
	ds_load_b32 v64, v92 offset:3584
	s_wait_dscnt 0x0
	v_cmp_ne_u32_e64 s34, 0x80000000, v64
	s_delay_alu instid0(VALU_DEP_1) | instskip(NEXT) | instid1(VALU_DEP_1)
	v_cndmask_b32_e64 v64, 0x7fffffff, v64, s34
	v_lshrrev_b32_e32 v64, s49, v64
	s_delay_alu instid0(VALU_DEP_1)
	v_and_b32_e32 v134, s58, v64
	s_or_b32 exec_lo, exec_lo, s42
	s_and_saveexec_b32 s42, s20
	s_cbranch_execz .LBB1320_1156
.LBB1320_1226:                          ;   in Loop: Header=BB1320_1032 Depth=2
	ds_load_b32 v64, v92 offset:4608
	s_wait_dscnt 0x0
	v_cmp_ne_u32_e64 s34, 0x80000000, v64
	s_delay_alu instid0(VALU_DEP_1) | instskip(NEXT) | instid1(VALU_DEP_1)
	v_cndmask_b32_e64 v64, 0x7fffffff, v64, s34
	v_lshrrev_b32_e32 v64, s49, v64
	s_delay_alu instid0(VALU_DEP_1)
	v_and_b32_e32 v132, s58, v64
	s_or_b32 exec_lo, exec_lo, s42
	s_and_saveexec_b32 s42, s21
	s_cbranch_execz .LBB1320_1157
.LBB1320_1227:                          ;   in Loop: Header=BB1320_1032 Depth=2
	ds_load_b32 v64, v92 offset:5632
	s_wait_dscnt 0x0
	v_cmp_ne_u32_e64 s34, 0x80000000, v64
	s_delay_alu instid0(VALU_DEP_1) | instskip(NEXT) | instid1(VALU_DEP_1)
	v_cndmask_b32_e64 v64, 0x7fffffff, v64, s34
	v_lshrrev_b32_e32 v64, s49, v64
	s_delay_alu instid0(VALU_DEP_1)
	v_and_b32_e32 v131, s58, v64
	s_or_b32 exec_lo, exec_lo, s42
	s_and_saveexec_b32 s42, s22
	s_cbranch_execz .LBB1320_1158
.LBB1320_1228:                          ;   in Loop: Header=BB1320_1032 Depth=2
	ds_load_b32 v64, v92 offset:6656
	s_wait_dscnt 0x0
	v_cmp_ne_u32_e64 s34, 0x80000000, v64
	s_delay_alu instid0(VALU_DEP_1) | instskip(NEXT) | instid1(VALU_DEP_1)
	v_cndmask_b32_e64 v64, 0x7fffffff, v64, s34
	v_lshrrev_b32_e32 v64, s49, v64
	s_delay_alu instid0(VALU_DEP_1)
	v_and_b32_e32 v130, s58, v64
	s_or_b32 exec_lo, exec_lo, s42
	s_and_saveexec_b32 s42, s23
	s_cbranch_execz .LBB1320_1159
.LBB1320_1229:                          ;   in Loop: Header=BB1320_1032 Depth=2
	ds_load_b32 v64, v92 offset:7680
	s_wait_dscnt 0x0
	v_cmp_ne_u32_e64 s34, 0x80000000, v64
	s_delay_alu instid0(VALU_DEP_1) | instskip(NEXT) | instid1(VALU_DEP_1)
	v_cndmask_b32_e64 v64, 0x7fffffff, v64, s34
	v_lshrrev_b32_e32 v64, s49, v64
	s_delay_alu instid0(VALU_DEP_1)
	v_and_b32_e32 v129, s58, v64
	s_or_b32 exec_lo, exec_lo, s42
	s_and_saveexec_b32 s42, s24
	s_cbranch_execz .LBB1320_1160
.LBB1320_1230:                          ;   in Loop: Header=BB1320_1032 Depth=2
	ds_load_b32 v64, v92 offset:8704
	s_wait_dscnt 0x0
	v_cmp_ne_u32_e64 s34, 0x80000000, v64
	s_delay_alu instid0(VALU_DEP_1) | instskip(NEXT) | instid1(VALU_DEP_1)
	v_cndmask_b32_e64 v64, 0x7fffffff, v64, s34
	v_lshrrev_b32_e32 v64, s49, v64
	s_delay_alu instid0(VALU_DEP_1)
	v_and_b32_e32 v128, s58, v64
	s_or_b32 exec_lo, exec_lo, s42
	s_and_saveexec_b32 s42, s25
	s_cbranch_execz .LBB1320_1161
.LBB1320_1231:                          ;   in Loop: Header=BB1320_1032 Depth=2
	ds_load_b32 v64, v92 offset:9728
	s_wait_dscnt 0x0
	v_cmp_ne_u32_e64 s34, 0x80000000, v64
	s_delay_alu instid0(VALU_DEP_1) | instskip(NEXT) | instid1(VALU_DEP_1)
	v_cndmask_b32_e64 v64, 0x7fffffff, v64, s34
	v_lshrrev_b32_e32 v64, s49, v64
	s_delay_alu instid0(VALU_DEP_1)
	v_and_b32_e32 v127, s58, v64
	s_or_b32 exec_lo, exec_lo, s42
	s_and_saveexec_b32 s42, s26
	s_cbranch_execz .LBB1320_1162
.LBB1320_1232:                          ;   in Loop: Header=BB1320_1032 Depth=2
	ds_load_b32 v64, v92 offset:10752
	s_wait_dscnt 0x0
	v_cmp_ne_u32_e64 s34, 0x80000000, v64
	s_delay_alu instid0(VALU_DEP_1) | instskip(NEXT) | instid1(VALU_DEP_1)
	v_cndmask_b32_e64 v64, 0x7fffffff, v64, s34
	v_lshrrev_b32_e32 v64, s49, v64
	s_delay_alu instid0(VALU_DEP_1)
	v_and_b32_e32 v126, s58, v64
	s_or_b32 exec_lo, exec_lo, s42
	s_and_saveexec_b32 s42, s27
	s_cbranch_execz .LBB1320_1163
.LBB1320_1233:                          ;   in Loop: Header=BB1320_1032 Depth=2
	ds_load_b32 v64, v92 offset:11776
	s_wait_dscnt 0x0
	v_cmp_ne_u32_e64 s34, 0x80000000, v64
	s_delay_alu instid0(VALU_DEP_1) | instskip(NEXT) | instid1(VALU_DEP_1)
	v_cndmask_b32_e64 v64, 0x7fffffff, v64, s34
	v_lshrrev_b32_e32 v64, s49, v64
	s_delay_alu instid0(VALU_DEP_1)
	v_and_b32_e32 v125, s58, v64
	s_or_b32 exec_lo, exec_lo, s42
	s_and_saveexec_b32 s42, s28
	s_cbranch_execz .LBB1320_1164
.LBB1320_1234:                          ;   in Loop: Header=BB1320_1032 Depth=2
	ds_load_b32 v64, v92 offset:12800
	s_wait_dscnt 0x0
	v_cmp_ne_u32_e64 s34, 0x80000000, v64
	s_delay_alu instid0(VALU_DEP_1) | instskip(NEXT) | instid1(VALU_DEP_1)
	v_cndmask_b32_e64 v64, 0x7fffffff, v64, s34
	v_lshrrev_b32_e32 v64, s49, v64
	s_delay_alu instid0(VALU_DEP_1)
	v_and_b32_e32 v124, s58, v64
	s_or_b32 exec_lo, exec_lo, s42
	s_and_saveexec_b32 s42, s29
	s_cbranch_execz .LBB1320_1165
.LBB1320_1235:                          ;   in Loop: Header=BB1320_1032 Depth=2
	ds_load_b32 v64, v92 offset:13824
	s_wait_dscnt 0x0
	v_cmp_ne_u32_e64 s34, 0x80000000, v64
	s_delay_alu instid0(VALU_DEP_1) | instskip(NEXT) | instid1(VALU_DEP_1)
	v_cndmask_b32_e64 v64, 0x7fffffff, v64, s34
	v_lshrrev_b32_e32 v64, s49, v64
	s_delay_alu instid0(VALU_DEP_1)
	v_and_b32_e32 v123, s58, v64
	s_or_b32 exec_lo, exec_lo, s42
	s_and_saveexec_b32 s42, s30
	s_cbranch_execz .LBB1320_1166
.LBB1320_1236:                          ;   in Loop: Header=BB1320_1032 Depth=2
	ds_load_b32 v64, v92 offset:14848
	s_wait_dscnt 0x0
	v_cmp_ne_u32_e64 s34, 0x80000000, v64
	s_delay_alu instid0(VALU_DEP_1) | instskip(NEXT) | instid1(VALU_DEP_1)
	v_cndmask_b32_e64 v64, 0x7fffffff, v64, s34
	v_lshrrev_b32_e32 v64, s49, v64
	s_delay_alu instid0(VALU_DEP_1)
	v_and_b32_e32 v122, s58, v64
	s_or_b32 exec_lo, exec_lo, s42
	s_and_saveexec_b32 s42, s31
	s_cbranch_execz .LBB1320_1167
.LBB1320_1237:                          ;   in Loop: Header=BB1320_1032 Depth=2
	ds_load_b32 v64, v92 offset:15872
	s_wait_dscnt 0x0
	v_cmp_ne_u32_e64 s34, 0x80000000, v64
	s_delay_alu instid0(VALU_DEP_1) | instskip(NEXT) | instid1(VALU_DEP_1)
	v_cndmask_b32_e64 v64, 0x7fffffff, v64, s34
	v_lshrrev_b32_e32 v64, s49, v64
	s_delay_alu instid0(VALU_DEP_1)
	v_and_b32_e32 v121, s58, v64
	s_or_b32 exec_lo, exec_lo, s42
	s_and_saveexec_b32 s42, s33
	s_cbranch_execnz .LBB1320_1168
	s_branch .LBB1320_1169
.LBB1320_1238:                          ;   in Loop: Header=BB1320_1032 Depth=2
	v_lshlrev_b32_e32 v65, 2, v137
	ds_load_b32 v65, v65
	ds_load_b64 v[66:67], v64 offset:512
	s_wait_dscnt 0x1
	v_add_nc_u32_e32 v65, v65, v2
	s_wait_dscnt 0x0
	global_store_b64 v65, v[66:67], s[46:47] scale_offset
	s_wait_xcnt 0x0
	s_or_b32 exec_lo, exec_lo, s34
	s_and_saveexec_b32 s34, s17
	s_cbranch_execz .LBB1320_1171
.LBB1320_1239:                          ;   in Loop: Header=BB1320_1032 Depth=2
	v_lshlrev_b32_e32 v65, 2, v136
	ds_load_b32 v65, v65
	ds_load_b64 v[66:67], v64 offset:2560
	s_wait_dscnt 0x1
	v_add_nc_u32_e32 v65, v65, v3
	s_wait_dscnt 0x0
	global_store_b64 v65, v[66:67], s[46:47] scale_offset
	s_wait_xcnt 0x0
	s_or_b32 exec_lo, exec_lo, s34
	s_and_saveexec_b32 s17, s18
	s_cbranch_execz .LBB1320_1172
.LBB1320_1240:                          ;   in Loop: Header=BB1320_1032 Depth=2
	v_lshlrev_b32_e32 v65, 2, v135
	ds_load_b32 v65, v65
	ds_load_b64 v[66:67], v64 offset:4608
	s_wait_dscnt 0x1
	v_add_nc_u32_e32 v65, v65, v68
	s_wait_dscnt 0x0
	global_store_b64 v65, v[66:67], s[46:47] scale_offset
	s_wait_xcnt 0x0
	s_or_b32 exec_lo, exec_lo, s17
	s_and_saveexec_b32 s17, s19
	s_cbranch_execz .LBB1320_1173
.LBB1320_1241:                          ;   in Loop: Header=BB1320_1032 Depth=2
	v_lshlrev_b32_e32 v65, 2, v134
	ds_load_b32 v65, v65
	ds_load_b64 v[66:67], v64 offset:6656
	s_wait_dscnt 0x1
	v_add_nc_u32_e32 v65, v65, v69
	s_wait_dscnt 0x0
	global_store_b64 v65, v[66:67], s[46:47] scale_offset
	s_wait_xcnt 0x0
	s_or_b32 exec_lo, exec_lo, s17
	s_and_saveexec_b32 s17, s20
	s_cbranch_execz .LBB1320_1174
.LBB1320_1242:                          ;   in Loop: Header=BB1320_1032 Depth=2
	v_lshlrev_b32_e32 v65, 2, v132
	ds_load_b32 v65, v65
	ds_load_b64 v[66:67], v64 offset:8704
	s_wait_dscnt 0x1
	v_add_nc_u32_e32 v65, v65, v70
	s_wait_dscnt 0x0
	global_store_b64 v65, v[66:67], s[46:47] scale_offset
	s_wait_xcnt 0x0
	s_or_b32 exec_lo, exec_lo, s17
	s_and_saveexec_b32 s17, s21
	s_cbranch_execz .LBB1320_1175
.LBB1320_1243:                          ;   in Loop: Header=BB1320_1032 Depth=2
	v_lshlrev_b32_e32 v65, 2, v131
	ds_load_b32 v65, v65
	ds_load_b64 v[66:67], v64 offset:10752
	s_wait_dscnt 0x1
	v_add_nc_u32_e32 v65, v65, v71
	s_wait_dscnt 0x0
	global_store_b64 v65, v[66:67], s[46:47] scale_offset
	s_wait_xcnt 0x0
	s_or_b32 exec_lo, exec_lo, s17
	s_and_saveexec_b32 s17, s22
	s_cbranch_execz .LBB1320_1176
.LBB1320_1244:                          ;   in Loop: Header=BB1320_1032 Depth=2
	v_lshlrev_b32_e32 v65, 2, v130
	ds_load_b32 v65, v65
	ds_load_b64 v[66:67], v64 offset:12800
	s_wait_dscnt 0x1
	v_add_nc_u32_e32 v65, v65, v72
	s_wait_dscnt 0x0
	global_store_b64 v65, v[66:67], s[46:47] scale_offset
	s_wait_xcnt 0x0
	s_or_b32 exec_lo, exec_lo, s17
	s_and_saveexec_b32 s17, s23
	s_cbranch_execz .LBB1320_1177
.LBB1320_1245:                          ;   in Loop: Header=BB1320_1032 Depth=2
	v_lshlrev_b32_e32 v65, 2, v129
	ds_load_b32 v65, v65
	ds_load_b64 v[66:67], v64 offset:14848
	s_wait_dscnt 0x1
	v_add_nc_u32_e32 v65, v65, v73
	s_wait_dscnt 0x0
	global_store_b64 v65, v[66:67], s[46:47] scale_offset
	s_wait_xcnt 0x0
	s_or_b32 exec_lo, exec_lo, s17
	s_and_saveexec_b32 s17, s24
	s_cbranch_execz .LBB1320_1178
.LBB1320_1246:                          ;   in Loop: Header=BB1320_1032 Depth=2
	v_lshlrev_b32_e32 v65, 2, v128
	ds_load_b32 v65, v65
	ds_load_b64 v[66:67], v64 offset:16896
	s_wait_dscnt 0x1
	v_add_nc_u32_e32 v65, v65, v74
	s_wait_dscnt 0x0
	global_store_b64 v65, v[66:67], s[46:47] scale_offset
	s_wait_xcnt 0x0
	s_or_b32 exec_lo, exec_lo, s17
	s_and_saveexec_b32 s17, s25
	s_cbranch_execz .LBB1320_1179
.LBB1320_1247:                          ;   in Loop: Header=BB1320_1032 Depth=2
	v_lshlrev_b32_e32 v65, 2, v127
	ds_load_b32 v65, v65
	ds_load_b64 v[66:67], v64 offset:18944
	s_wait_dscnt 0x1
	v_add_nc_u32_e32 v65, v65, v75
	s_wait_dscnt 0x0
	global_store_b64 v65, v[66:67], s[46:47] scale_offset
	s_wait_xcnt 0x0
	s_or_b32 exec_lo, exec_lo, s17
	s_and_saveexec_b32 s17, s26
	s_cbranch_execz .LBB1320_1180
.LBB1320_1248:                          ;   in Loop: Header=BB1320_1032 Depth=2
	v_lshlrev_b32_e32 v65, 2, v126
	ds_load_b32 v65, v65
	ds_load_b64 v[66:67], v64 offset:20992
	s_wait_dscnt 0x1
	v_add_nc_u32_e32 v65, v65, v76
	s_wait_dscnt 0x0
	global_store_b64 v65, v[66:67], s[46:47] scale_offset
	s_wait_xcnt 0x0
	s_or_b32 exec_lo, exec_lo, s17
	s_and_saveexec_b32 s17, s27
	s_cbranch_execz .LBB1320_1181
.LBB1320_1249:                          ;   in Loop: Header=BB1320_1032 Depth=2
	v_lshlrev_b32_e32 v65, 2, v125
	ds_load_b32 v65, v65
	ds_load_b64 v[66:67], v64 offset:23040
	s_wait_dscnt 0x1
	v_add_nc_u32_e32 v65, v65, v77
	s_wait_dscnt 0x0
	global_store_b64 v65, v[66:67], s[46:47] scale_offset
	s_wait_xcnt 0x0
	s_or_b32 exec_lo, exec_lo, s17
	s_and_saveexec_b32 s17, s28
	s_cbranch_execz .LBB1320_1182
.LBB1320_1250:                          ;   in Loop: Header=BB1320_1032 Depth=2
	v_lshlrev_b32_e32 v65, 2, v124
	ds_load_b32 v65, v65
	ds_load_b64 v[66:67], v64 offset:25088
	s_wait_dscnt 0x1
	v_add_nc_u32_e32 v65, v65, v78
	s_wait_dscnt 0x0
	global_store_b64 v65, v[66:67], s[46:47] scale_offset
	s_wait_xcnt 0x0
	s_or_b32 exec_lo, exec_lo, s17
	s_and_saveexec_b32 s17, s29
	s_cbranch_execz .LBB1320_1183
.LBB1320_1251:                          ;   in Loop: Header=BB1320_1032 Depth=2
	v_lshlrev_b32_e32 v65, 2, v123
	ds_load_b32 v65, v65
	ds_load_b64 v[66:67], v64 offset:27136
	s_wait_dscnt 0x1
	v_add_nc_u32_e32 v65, v65, v79
	s_wait_dscnt 0x0
	global_store_b64 v65, v[66:67], s[46:47] scale_offset
	s_wait_xcnt 0x0
	s_or_b32 exec_lo, exec_lo, s17
	s_and_saveexec_b32 s17, s30
	s_cbranch_execz .LBB1320_1184
.LBB1320_1252:                          ;   in Loop: Header=BB1320_1032 Depth=2
	v_lshlrev_b32_e32 v65, 2, v122
	ds_load_b32 v65, v65
	ds_load_b64 v[66:67], v64 offset:29184
	s_wait_dscnt 0x1
	v_add_nc_u32_e32 v65, v65, v80
	s_wait_dscnt 0x0
	global_store_b64 v65, v[66:67], s[46:47] scale_offset
	s_wait_xcnt 0x0
	s_or_b32 exec_lo, exec_lo, s17
	s_and_saveexec_b32 s17, s31
	s_cbranch_execz .LBB1320_1185
.LBB1320_1253:                          ;   in Loop: Header=BB1320_1032 Depth=2
	v_lshlrev_b32_e32 v65, 2, v121
	ds_load_b32 v65, v65
	ds_load_b64 v[66:67], v64 offset:31232
	s_wait_dscnt 0x1
	v_add_nc_u32_e32 v65, v65, v81
	s_wait_dscnt 0x0
	global_store_b64 v65, v[66:67], s[46:47] scale_offset
	s_wait_xcnt 0x0
	s_or_b32 exec_lo, exec_lo, s17
	s_and_saveexec_b32 s17, s33
	s_cbranch_execnz .LBB1320_1186
	s_branch .LBB1320_1187
.LBB1320_1254:
	s_endpgm
	.section	.rodata,"a",@progbits
	.p2align	6, 0x0
	.amdhsa_kernel _ZN7rocprim17ROCPRIM_400000_NS6detail17trampoline_kernelINS0_14default_configENS1_36segmented_radix_sort_config_selectorIflEEZNS1_25segmented_radix_sort_implIS3_Lb1EPKfPfPKlPlN2at6native12_GLOBAL__N_18offset_tEEE10hipError_tPvRmT1_PNSt15iterator_traitsISK_E10value_typeET2_T3_PNSL_ISQ_E10value_typeET4_jRbjT5_SW_jjP12ihipStream_tbEUlT_E_NS1_11comp_targetILNS1_3genE0ELNS1_11target_archE4294967295ELNS1_3gpuE0ELNS1_3repE0EEENS1_30default_config_static_selectorELNS0_4arch9wavefront6targetE0EEEvSK_
		.amdhsa_group_segment_fixed_size 35344
		.amdhsa_private_segment_fixed_size 0
		.amdhsa_kernarg_size 352
		.amdhsa_user_sgpr_count 4
		.amdhsa_user_sgpr_dispatch_ptr 0
		.amdhsa_user_sgpr_queue_ptr 1
		.amdhsa_user_sgpr_kernarg_segment_ptr 1
		.amdhsa_user_sgpr_dispatch_id 0
		.amdhsa_user_sgpr_kernarg_preload_length 0
		.amdhsa_user_sgpr_kernarg_preload_offset 0
		.amdhsa_user_sgpr_private_segment_size 0
		.amdhsa_wavefront_size32 1
		.amdhsa_uses_dynamic_stack 0
		.amdhsa_enable_private_segment 0
		.amdhsa_system_sgpr_workgroup_id_x 1
		.amdhsa_system_sgpr_workgroup_id_y 1
		.amdhsa_system_sgpr_workgroup_id_z 0
		.amdhsa_system_sgpr_workgroup_info 0
		.amdhsa_system_vgpr_workitem_id 2
		.amdhsa_next_free_vgpr 320
		.amdhsa_next_free_sgpr 62
		.amdhsa_named_barrier_count 0
		.amdhsa_reserve_vcc 1
		.amdhsa_float_round_mode_32 0
		.amdhsa_float_round_mode_16_64 0
		.amdhsa_float_denorm_mode_32 3
		.amdhsa_float_denorm_mode_16_64 3
		.amdhsa_fp16_overflow 0
		.amdhsa_memory_ordered 1
		.amdhsa_forward_progress 1
		.amdhsa_inst_pref_size 255
		.amdhsa_round_robin_scheduling 0
		.amdhsa_exception_fp_ieee_invalid_op 0
		.amdhsa_exception_fp_denorm_src 0
		.amdhsa_exception_fp_ieee_div_zero 0
		.amdhsa_exception_fp_ieee_overflow 0
		.amdhsa_exception_fp_ieee_underflow 0
		.amdhsa_exception_fp_ieee_inexact 0
		.amdhsa_exception_int_div_zero 0
	.end_amdhsa_kernel
	.section	.text._ZN7rocprim17ROCPRIM_400000_NS6detail17trampoline_kernelINS0_14default_configENS1_36segmented_radix_sort_config_selectorIflEEZNS1_25segmented_radix_sort_implIS3_Lb1EPKfPfPKlPlN2at6native12_GLOBAL__N_18offset_tEEE10hipError_tPvRmT1_PNSt15iterator_traitsISK_E10value_typeET2_T3_PNSL_ISQ_E10value_typeET4_jRbjT5_SW_jjP12ihipStream_tbEUlT_E_NS1_11comp_targetILNS1_3genE0ELNS1_11target_archE4294967295ELNS1_3gpuE0ELNS1_3repE0EEENS1_30default_config_static_selectorELNS0_4arch9wavefront6targetE0EEEvSK_,"axG",@progbits,_ZN7rocprim17ROCPRIM_400000_NS6detail17trampoline_kernelINS0_14default_configENS1_36segmented_radix_sort_config_selectorIflEEZNS1_25segmented_radix_sort_implIS3_Lb1EPKfPfPKlPlN2at6native12_GLOBAL__N_18offset_tEEE10hipError_tPvRmT1_PNSt15iterator_traitsISK_E10value_typeET2_T3_PNSL_ISQ_E10value_typeET4_jRbjT5_SW_jjP12ihipStream_tbEUlT_E_NS1_11comp_targetILNS1_3genE0ELNS1_11target_archE4294967295ELNS1_3gpuE0ELNS1_3repE0EEENS1_30default_config_static_selectorELNS0_4arch9wavefront6targetE0EEEvSK_,comdat
.Lfunc_end1320:
	.size	_ZN7rocprim17ROCPRIM_400000_NS6detail17trampoline_kernelINS0_14default_configENS1_36segmented_radix_sort_config_selectorIflEEZNS1_25segmented_radix_sort_implIS3_Lb1EPKfPfPKlPlN2at6native12_GLOBAL__N_18offset_tEEE10hipError_tPvRmT1_PNSt15iterator_traitsISK_E10value_typeET2_T3_PNSL_ISQ_E10value_typeET4_jRbjT5_SW_jjP12ihipStream_tbEUlT_E_NS1_11comp_targetILNS1_3genE0ELNS1_11target_archE4294967295ELNS1_3gpuE0ELNS1_3repE0EEENS1_30default_config_static_selectorELNS0_4arch9wavefront6targetE0EEEvSK_, .Lfunc_end1320-_ZN7rocprim17ROCPRIM_400000_NS6detail17trampoline_kernelINS0_14default_configENS1_36segmented_radix_sort_config_selectorIflEEZNS1_25segmented_radix_sort_implIS3_Lb1EPKfPfPKlPlN2at6native12_GLOBAL__N_18offset_tEEE10hipError_tPvRmT1_PNSt15iterator_traitsISK_E10value_typeET2_T3_PNSL_ISQ_E10value_typeET4_jRbjT5_SW_jjP12ihipStream_tbEUlT_E_NS1_11comp_targetILNS1_3genE0ELNS1_11target_archE4294967295ELNS1_3gpuE0ELNS1_3repE0EEENS1_30default_config_static_selectorELNS0_4arch9wavefront6targetE0EEEvSK_
                                        ; -- End function
	.set _ZN7rocprim17ROCPRIM_400000_NS6detail17trampoline_kernelINS0_14default_configENS1_36segmented_radix_sort_config_selectorIflEEZNS1_25segmented_radix_sort_implIS3_Lb1EPKfPfPKlPlN2at6native12_GLOBAL__N_18offset_tEEE10hipError_tPvRmT1_PNSt15iterator_traitsISK_E10value_typeET2_T3_PNSL_ISQ_E10value_typeET4_jRbjT5_SW_jjP12ihipStream_tbEUlT_E_NS1_11comp_targetILNS1_3genE0ELNS1_11target_archE4294967295ELNS1_3gpuE0ELNS1_3repE0EEENS1_30default_config_static_selectorELNS0_4arch9wavefront6targetE0EEEvSK_.num_vgpr, max(211, .L_ZN7rocprim17ROCPRIM_400000_NS6detail40segmented_radix_sort_single_block_helperIflLj256ELj17ELb1EE4sortIPKfPfPKlPlEEbT_T0_T1_T2_jjjjRNS3_12storage_typeE.num_vgpr)
	.set _ZN7rocprim17ROCPRIM_400000_NS6detail17trampoline_kernelINS0_14default_configENS1_36segmented_radix_sort_config_selectorIflEEZNS1_25segmented_radix_sort_implIS3_Lb1EPKfPfPKlPlN2at6native12_GLOBAL__N_18offset_tEEE10hipError_tPvRmT1_PNSt15iterator_traitsISK_E10value_typeET2_T3_PNSL_ISQ_E10value_typeET4_jRbjT5_SW_jjP12ihipStream_tbEUlT_E_NS1_11comp_targetILNS1_3genE0ELNS1_11target_archE4294967295ELNS1_3gpuE0ELNS1_3repE0EEENS1_30default_config_static_selectorELNS0_4arch9wavefront6targetE0EEEvSK_.num_agpr, max(0, .L_ZN7rocprim17ROCPRIM_400000_NS6detail40segmented_radix_sort_single_block_helperIflLj256ELj17ELb1EE4sortIPKfPfPKlPlEEbT_T0_T1_T2_jjjjRNS3_12storage_typeE.num_agpr)
	.set _ZN7rocprim17ROCPRIM_400000_NS6detail17trampoline_kernelINS0_14default_configENS1_36segmented_radix_sort_config_selectorIflEEZNS1_25segmented_radix_sort_implIS3_Lb1EPKfPfPKlPlN2at6native12_GLOBAL__N_18offset_tEEE10hipError_tPvRmT1_PNSt15iterator_traitsISK_E10value_typeET2_T3_PNSL_ISQ_E10value_typeET4_jRbjT5_SW_jjP12ihipStream_tbEUlT_E_NS1_11comp_targetILNS1_3genE0ELNS1_11target_archE4294967295ELNS1_3gpuE0ELNS1_3repE0EEENS1_30default_config_static_selectorELNS0_4arch9wavefront6targetE0EEEvSK_.numbered_sgpr, max(62, .L_ZN7rocprim17ROCPRIM_400000_NS6detail40segmented_radix_sort_single_block_helperIflLj256ELj17ELb1EE4sortIPKfPfPKlPlEEbT_T0_T1_T2_jjjjRNS3_12storage_typeE.numbered_sgpr)
	.set _ZN7rocprim17ROCPRIM_400000_NS6detail17trampoline_kernelINS0_14default_configENS1_36segmented_radix_sort_config_selectorIflEEZNS1_25segmented_radix_sort_implIS3_Lb1EPKfPfPKlPlN2at6native12_GLOBAL__N_18offset_tEEE10hipError_tPvRmT1_PNSt15iterator_traitsISK_E10value_typeET2_T3_PNSL_ISQ_E10value_typeET4_jRbjT5_SW_jjP12ihipStream_tbEUlT_E_NS1_11comp_targetILNS1_3genE0ELNS1_11target_archE4294967295ELNS1_3gpuE0ELNS1_3repE0EEENS1_30default_config_static_selectorELNS0_4arch9wavefront6targetE0EEEvSK_.num_named_barrier, max(0, .L_ZN7rocprim17ROCPRIM_400000_NS6detail40segmented_radix_sort_single_block_helperIflLj256ELj17ELb1EE4sortIPKfPfPKlPlEEbT_T0_T1_T2_jjjjRNS3_12storage_typeE.num_named_barrier)
	.set _ZN7rocprim17ROCPRIM_400000_NS6detail17trampoline_kernelINS0_14default_configENS1_36segmented_radix_sort_config_selectorIflEEZNS1_25segmented_radix_sort_implIS3_Lb1EPKfPfPKlPlN2at6native12_GLOBAL__N_18offset_tEEE10hipError_tPvRmT1_PNSt15iterator_traitsISK_E10value_typeET2_T3_PNSL_ISQ_E10value_typeET4_jRbjT5_SW_jjP12ihipStream_tbEUlT_E_NS1_11comp_targetILNS1_3genE0ELNS1_11target_archE4294967295ELNS1_3gpuE0ELNS1_3repE0EEENS1_30default_config_static_selectorELNS0_4arch9wavefront6targetE0EEEvSK_.private_seg_size, 0+max(.L_ZN7rocprim17ROCPRIM_400000_NS6detail40segmented_radix_sort_single_block_helperIflLj256ELj17ELb1EE4sortIPKfPfPKlPlEEbT_T0_T1_T2_jjjjRNS3_12storage_typeE.private_seg_size)
	.set _ZN7rocprim17ROCPRIM_400000_NS6detail17trampoline_kernelINS0_14default_configENS1_36segmented_radix_sort_config_selectorIflEEZNS1_25segmented_radix_sort_implIS3_Lb1EPKfPfPKlPlN2at6native12_GLOBAL__N_18offset_tEEE10hipError_tPvRmT1_PNSt15iterator_traitsISK_E10value_typeET2_T3_PNSL_ISQ_E10value_typeET4_jRbjT5_SW_jjP12ihipStream_tbEUlT_E_NS1_11comp_targetILNS1_3genE0ELNS1_11target_archE4294967295ELNS1_3gpuE0ELNS1_3repE0EEENS1_30default_config_static_selectorELNS0_4arch9wavefront6targetE0EEEvSK_.uses_vcc, or(1, .L_ZN7rocprim17ROCPRIM_400000_NS6detail40segmented_radix_sort_single_block_helperIflLj256ELj17ELb1EE4sortIPKfPfPKlPlEEbT_T0_T1_T2_jjjjRNS3_12storage_typeE.uses_vcc)
	.set _ZN7rocprim17ROCPRIM_400000_NS6detail17trampoline_kernelINS0_14default_configENS1_36segmented_radix_sort_config_selectorIflEEZNS1_25segmented_radix_sort_implIS3_Lb1EPKfPfPKlPlN2at6native12_GLOBAL__N_18offset_tEEE10hipError_tPvRmT1_PNSt15iterator_traitsISK_E10value_typeET2_T3_PNSL_ISQ_E10value_typeET4_jRbjT5_SW_jjP12ihipStream_tbEUlT_E_NS1_11comp_targetILNS1_3genE0ELNS1_11target_archE4294967295ELNS1_3gpuE0ELNS1_3repE0EEENS1_30default_config_static_selectorELNS0_4arch9wavefront6targetE0EEEvSK_.uses_flat_scratch, or(0, .L_ZN7rocprim17ROCPRIM_400000_NS6detail40segmented_radix_sort_single_block_helperIflLj256ELj17ELb1EE4sortIPKfPfPKlPlEEbT_T0_T1_T2_jjjjRNS3_12storage_typeE.uses_flat_scratch)
	.set _ZN7rocprim17ROCPRIM_400000_NS6detail17trampoline_kernelINS0_14default_configENS1_36segmented_radix_sort_config_selectorIflEEZNS1_25segmented_radix_sort_implIS3_Lb1EPKfPfPKlPlN2at6native12_GLOBAL__N_18offset_tEEE10hipError_tPvRmT1_PNSt15iterator_traitsISK_E10value_typeET2_T3_PNSL_ISQ_E10value_typeET4_jRbjT5_SW_jjP12ihipStream_tbEUlT_E_NS1_11comp_targetILNS1_3genE0ELNS1_11target_archE4294967295ELNS1_3gpuE0ELNS1_3repE0EEENS1_30default_config_static_selectorELNS0_4arch9wavefront6targetE0EEEvSK_.has_dyn_sized_stack, or(0, .L_ZN7rocprim17ROCPRIM_400000_NS6detail40segmented_radix_sort_single_block_helperIflLj256ELj17ELb1EE4sortIPKfPfPKlPlEEbT_T0_T1_T2_jjjjRNS3_12storage_typeE.has_dyn_sized_stack)
	.set _ZN7rocprim17ROCPRIM_400000_NS6detail17trampoline_kernelINS0_14default_configENS1_36segmented_radix_sort_config_selectorIflEEZNS1_25segmented_radix_sort_implIS3_Lb1EPKfPfPKlPlN2at6native12_GLOBAL__N_18offset_tEEE10hipError_tPvRmT1_PNSt15iterator_traitsISK_E10value_typeET2_T3_PNSL_ISQ_E10value_typeET4_jRbjT5_SW_jjP12ihipStream_tbEUlT_E_NS1_11comp_targetILNS1_3genE0ELNS1_11target_archE4294967295ELNS1_3gpuE0ELNS1_3repE0EEENS1_30default_config_static_selectorELNS0_4arch9wavefront6targetE0EEEvSK_.has_recursion, or(0, .L_ZN7rocprim17ROCPRIM_400000_NS6detail40segmented_radix_sort_single_block_helperIflLj256ELj17ELb1EE4sortIPKfPfPKlPlEEbT_T0_T1_T2_jjjjRNS3_12storage_typeE.has_recursion)
	.set _ZN7rocprim17ROCPRIM_400000_NS6detail17trampoline_kernelINS0_14default_configENS1_36segmented_radix_sort_config_selectorIflEEZNS1_25segmented_radix_sort_implIS3_Lb1EPKfPfPKlPlN2at6native12_GLOBAL__N_18offset_tEEE10hipError_tPvRmT1_PNSt15iterator_traitsISK_E10value_typeET2_T3_PNSL_ISQ_E10value_typeET4_jRbjT5_SW_jjP12ihipStream_tbEUlT_E_NS1_11comp_targetILNS1_3genE0ELNS1_11target_archE4294967295ELNS1_3gpuE0ELNS1_3repE0EEENS1_30default_config_static_selectorELNS0_4arch9wavefront6targetE0EEEvSK_.has_indirect_call, or(0, .L_ZN7rocprim17ROCPRIM_400000_NS6detail40segmented_radix_sort_single_block_helperIflLj256ELj17ELb1EE4sortIPKfPfPKlPlEEbT_T0_T1_T2_jjjjRNS3_12storage_typeE.has_indirect_call)
	.section	.AMDGPU.csdata,"",@progbits
; Kernel info:
; codeLenInByte = 79588
; TotalNumSgprs: 64
; NumVgprs: 320
; ScratchSize: 0
; MemoryBound: 0
; FloatMode: 240
; IeeeMode: 1
; LDSByteSize: 35344 bytes/workgroup (compile time only)
; SGPRBlocks: 0
; VGPRBlocks: 19
; NumSGPRsForWavesPerEU: 64
; NumVGPRsForWavesPerEU: 320
; NamedBarCnt: 0
; Occupancy: 3
; WaveLimiterHint : 1
; COMPUTE_PGM_RSRC2:SCRATCH_EN: 0
; COMPUTE_PGM_RSRC2:USER_SGPR: 4
; COMPUTE_PGM_RSRC2:TRAP_HANDLER: 0
; COMPUTE_PGM_RSRC2:TGID_X_EN: 1
; COMPUTE_PGM_RSRC2:TGID_Y_EN: 1
; COMPUTE_PGM_RSRC2:TGID_Z_EN: 0
; COMPUTE_PGM_RSRC2:TIDIG_COMP_CNT: 2
	.section	.text._ZN7rocprim17ROCPRIM_400000_NS6detail17trampoline_kernelINS0_14default_configENS1_36segmented_radix_sort_config_selectorIflEEZNS1_25segmented_radix_sort_implIS3_Lb1EPKfPfPKlPlN2at6native12_GLOBAL__N_18offset_tEEE10hipError_tPvRmT1_PNSt15iterator_traitsISK_E10value_typeET2_T3_PNSL_ISQ_E10value_typeET4_jRbjT5_SW_jjP12ihipStream_tbEUlT_E_NS1_11comp_targetILNS1_3genE5ELNS1_11target_archE942ELNS1_3gpuE9ELNS1_3repE0EEENS1_30default_config_static_selectorELNS0_4arch9wavefront6targetE0EEEvSK_,"axG",@progbits,_ZN7rocprim17ROCPRIM_400000_NS6detail17trampoline_kernelINS0_14default_configENS1_36segmented_radix_sort_config_selectorIflEEZNS1_25segmented_radix_sort_implIS3_Lb1EPKfPfPKlPlN2at6native12_GLOBAL__N_18offset_tEEE10hipError_tPvRmT1_PNSt15iterator_traitsISK_E10value_typeET2_T3_PNSL_ISQ_E10value_typeET4_jRbjT5_SW_jjP12ihipStream_tbEUlT_E_NS1_11comp_targetILNS1_3genE5ELNS1_11target_archE942ELNS1_3gpuE9ELNS1_3repE0EEENS1_30default_config_static_selectorELNS0_4arch9wavefront6targetE0EEEvSK_,comdat
	.globl	_ZN7rocprim17ROCPRIM_400000_NS6detail17trampoline_kernelINS0_14default_configENS1_36segmented_radix_sort_config_selectorIflEEZNS1_25segmented_radix_sort_implIS3_Lb1EPKfPfPKlPlN2at6native12_GLOBAL__N_18offset_tEEE10hipError_tPvRmT1_PNSt15iterator_traitsISK_E10value_typeET2_T3_PNSL_ISQ_E10value_typeET4_jRbjT5_SW_jjP12ihipStream_tbEUlT_E_NS1_11comp_targetILNS1_3genE5ELNS1_11target_archE942ELNS1_3gpuE9ELNS1_3repE0EEENS1_30default_config_static_selectorELNS0_4arch9wavefront6targetE0EEEvSK_ ; -- Begin function _ZN7rocprim17ROCPRIM_400000_NS6detail17trampoline_kernelINS0_14default_configENS1_36segmented_radix_sort_config_selectorIflEEZNS1_25segmented_radix_sort_implIS3_Lb1EPKfPfPKlPlN2at6native12_GLOBAL__N_18offset_tEEE10hipError_tPvRmT1_PNSt15iterator_traitsISK_E10value_typeET2_T3_PNSL_ISQ_E10value_typeET4_jRbjT5_SW_jjP12ihipStream_tbEUlT_E_NS1_11comp_targetILNS1_3genE5ELNS1_11target_archE942ELNS1_3gpuE9ELNS1_3repE0EEENS1_30default_config_static_selectorELNS0_4arch9wavefront6targetE0EEEvSK_
	.p2align	8
	.type	_ZN7rocprim17ROCPRIM_400000_NS6detail17trampoline_kernelINS0_14default_configENS1_36segmented_radix_sort_config_selectorIflEEZNS1_25segmented_radix_sort_implIS3_Lb1EPKfPfPKlPlN2at6native12_GLOBAL__N_18offset_tEEE10hipError_tPvRmT1_PNSt15iterator_traitsISK_E10value_typeET2_T3_PNSL_ISQ_E10value_typeET4_jRbjT5_SW_jjP12ihipStream_tbEUlT_E_NS1_11comp_targetILNS1_3genE5ELNS1_11target_archE942ELNS1_3gpuE9ELNS1_3repE0EEENS1_30default_config_static_selectorELNS0_4arch9wavefront6targetE0EEEvSK_,@function
_ZN7rocprim17ROCPRIM_400000_NS6detail17trampoline_kernelINS0_14default_configENS1_36segmented_radix_sort_config_selectorIflEEZNS1_25segmented_radix_sort_implIS3_Lb1EPKfPfPKlPlN2at6native12_GLOBAL__N_18offset_tEEE10hipError_tPvRmT1_PNSt15iterator_traitsISK_E10value_typeET2_T3_PNSL_ISQ_E10value_typeET4_jRbjT5_SW_jjP12ihipStream_tbEUlT_E_NS1_11comp_targetILNS1_3genE5ELNS1_11target_archE942ELNS1_3gpuE9ELNS1_3repE0EEENS1_30default_config_static_selectorELNS0_4arch9wavefront6targetE0EEEvSK_: ; @_ZN7rocprim17ROCPRIM_400000_NS6detail17trampoline_kernelINS0_14default_configENS1_36segmented_radix_sort_config_selectorIflEEZNS1_25segmented_radix_sort_implIS3_Lb1EPKfPfPKlPlN2at6native12_GLOBAL__N_18offset_tEEE10hipError_tPvRmT1_PNSt15iterator_traitsISK_E10value_typeET2_T3_PNSL_ISQ_E10value_typeET4_jRbjT5_SW_jjP12ihipStream_tbEUlT_E_NS1_11comp_targetILNS1_3genE5ELNS1_11target_archE942ELNS1_3gpuE9ELNS1_3repE0EEENS1_30default_config_static_selectorELNS0_4arch9wavefront6targetE0EEEvSK_
; %bb.0:
	.section	.rodata,"a",@progbits
	.p2align	6, 0x0
	.amdhsa_kernel _ZN7rocprim17ROCPRIM_400000_NS6detail17trampoline_kernelINS0_14default_configENS1_36segmented_radix_sort_config_selectorIflEEZNS1_25segmented_radix_sort_implIS3_Lb1EPKfPfPKlPlN2at6native12_GLOBAL__N_18offset_tEEE10hipError_tPvRmT1_PNSt15iterator_traitsISK_E10value_typeET2_T3_PNSL_ISQ_E10value_typeET4_jRbjT5_SW_jjP12ihipStream_tbEUlT_E_NS1_11comp_targetILNS1_3genE5ELNS1_11target_archE942ELNS1_3gpuE9ELNS1_3repE0EEENS1_30default_config_static_selectorELNS0_4arch9wavefront6targetE0EEEvSK_
		.amdhsa_group_segment_fixed_size 0
		.amdhsa_private_segment_fixed_size 0
		.amdhsa_kernarg_size 96
		.amdhsa_user_sgpr_count 2
		.amdhsa_user_sgpr_dispatch_ptr 0
		.amdhsa_user_sgpr_queue_ptr 0
		.amdhsa_user_sgpr_kernarg_segment_ptr 1
		.amdhsa_user_sgpr_dispatch_id 0
		.amdhsa_user_sgpr_kernarg_preload_length 0
		.amdhsa_user_sgpr_kernarg_preload_offset 0
		.amdhsa_user_sgpr_private_segment_size 0
		.amdhsa_wavefront_size32 1
		.amdhsa_uses_dynamic_stack 0
		.amdhsa_enable_private_segment 0
		.amdhsa_system_sgpr_workgroup_id_x 1
		.amdhsa_system_sgpr_workgroup_id_y 0
		.amdhsa_system_sgpr_workgroup_id_z 0
		.amdhsa_system_sgpr_workgroup_info 0
		.amdhsa_system_vgpr_workitem_id 0
		.amdhsa_next_free_vgpr 1
		.amdhsa_next_free_sgpr 1
		.amdhsa_named_barrier_count 0
		.amdhsa_reserve_vcc 0
		.amdhsa_float_round_mode_32 0
		.amdhsa_float_round_mode_16_64 0
		.amdhsa_float_denorm_mode_32 3
		.amdhsa_float_denorm_mode_16_64 3
		.amdhsa_fp16_overflow 0
		.amdhsa_memory_ordered 1
		.amdhsa_forward_progress 1
		.amdhsa_inst_pref_size 0
		.amdhsa_round_robin_scheduling 0
		.amdhsa_exception_fp_ieee_invalid_op 0
		.amdhsa_exception_fp_denorm_src 0
		.amdhsa_exception_fp_ieee_div_zero 0
		.amdhsa_exception_fp_ieee_overflow 0
		.amdhsa_exception_fp_ieee_underflow 0
		.amdhsa_exception_fp_ieee_inexact 0
		.amdhsa_exception_int_div_zero 0
	.end_amdhsa_kernel
	.section	.text._ZN7rocprim17ROCPRIM_400000_NS6detail17trampoline_kernelINS0_14default_configENS1_36segmented_radix_sort_config_selectorIflEEZNS1_25segmented_radix_sort_implIS3_Lb1EPKfPfPKlPlN2at6native12_GLOBAL__N_18offset_tEEE10hipError_tPvRmT1_PNSt15iterator_traitsISK_E10value_typeET2_T3_PNSL_ISQ_E10value_typeET4_jRbjT5_SW_jjP12ihipStream_tbEUlT_E_NS1_11comp_targetILNS1_3genE5ELNS1_11target_archE942ELNS1_3gpuE9ELNS1_3repE0EEENS1_30default_config_static_selectorELNS0_4arch9wavefront6targetE0EEEvSK_,"axG",@progbits,_ZN7rocprim17ROCPRIM_400000_NS6detail17trampoline_kernelINS0_14default_configENS1_36segmented_radix_sort_config_selectorIflEEZNS1_25segmented_radix_sort_implIS3_Lb1EPKfPfPKlPlN2at6native12_GLOBAL__N_18offset_tEEE10hipError_tPvRmT1_PNSt15iterator_traitsISK_E10value_typeET2_T3_PNSL_ISQ_E10value_typeET4_jRbjT5_SW_jjP12ihipStream_tbEUlT_E_NS1_11comp_targetILNS1_3genE5ELNS1_11target_archE942ELNS1_3gpuE9ELNS1_3repE0EEENS1_30default_config_static_selectorELNS0_4arch9wavefront6targetE0EEEvSK_,comdat
.Lfunc_end1321:
	.size	_ZN7rocprim17ROCPRIM_400000_NS6detail17trampoline_kernelINS0_14default_configENS1_36segmented_radix_sort_config_selectorIflEEZNS1_25segmented_radix_sort_implIS3_Lb1EPKfPfPKlPlN2at6native12_GLOBAL__N_18offset_tEEE10hipError_tPvRmT1_PNSt15iterator_traitsISK_E10value_typeET2_T3_PNSL_ISQ_E10value_typeET4_jRbjT5_SW_jjP12ihipStream_tbEUlT_E_NS1_11comp_targetILNS1_3genE5ELNS1_11target_archE942ELNS1_3gpuE9ELNS1_3repE0EEENS1_30default_config_static_selectorELNS0_4arch9wavefront6targetE0EEEvSK_, .Lfunc_end1321-_ZN7rocprim17ROCPRIM_400000_NS6detail17trampoline_kernelINS0_14default_configENS1_36segmented_radix_sort_config_selectorIflEEZNS1_25segmented_radix_sort_implIS3_Lb1EPKfPfPKlPlN2at6native12_GLOBAL__N_18offset_tEEE10hipError_tPvRmT1_PNSt15iterator_traitsISK_E10value_typeET2_T3_PNSL_ISQ_E10value_typeET4_jRbjT5_SW_jjP12ihipStream_tbEUlT_E_NS1_11comp_targetILNS1_3genE5ELNS1_11target_archE942ELNS1_3gpuE9ELNS1_3repE0EEENS1_30default_config_static_selectorELNS0_4arch9wavefront6targetE0EEEvSK_
                                        ; -- End function
	.set _ZN7rocprim17ROCPRIM_400000_NS6detail17trampoline_kernelINS0_14default_configENS1_36segmented_radix_sort_config_selectorIflEEZNS1_25segmented_radix_sort_implIS3_Lb1EPKfPfPKlPlN2at6native12_GLOBAL__N_18offset_tEEE10hipError_tPvRmT1_PNSt15iterator_traitsISK_E10value_typeET2_T3_PNSL_ISQ_E10value_typeET4_jRbjT5_SW_jjP12ihipStream_tbEUlT_E_NS1_11comp_targetILNS1_3genE5ELNS1_11target_archE942ELNS1_3gpuE9ELNS1_3repE0EEENS1_30default_config_static_selectorELNS0_4arch9wavefront6targetE0EEEvSK_.num_vgpr, 0
	.set _ZN7rocprim17ROCPRIM_400000_NS6detail17trampoline_kernelINS0_14default_configENS1_36segmented_radix_sort_config_selectorIflEEZNS1_25segmented_radix_sort_implIS3_Lb1EPKfPfPKlPlN2at6native12_GLOBAL__N_18offset_tEEE10hipError_tPvRmT1_PNSt15iterator_traitsISK_E10value_typeET2_T3_PNSL_ISQ_E10value_typeET4_jRbjT5_SW_jjP12ihipStream_tbEUlT_E_NS1_11comp_targetILNS1_3genE5ELNS1_11target_archE942ELNS1_3gpuE9ELNS1_3repE0EEENS1_30default_config_static_selectorELNS0_4arch9wavefront6targetE0EEEvSK_.num_agpr, 0
	.set _ZN7rocprim17ROCPRIM_400000_NS6detail17trampoline_kernelINS0_14default_configENS1_36segmented_radix_sort_config_selectorIflEEZNS1_25segmented_radix_sort_implIS3_Lb1EPKfPfPKlPlN2at6native12_GLOBAL__N_18offset_tEEE10hipError_tPvRmT1_PNSt15iterator_traitsISK_E10value_typeET2_T3_PNSL_ISQ_E10value_typeET4_jRbjT5_SW_jjP12ihipStream_tbEUlT_E_NS1_11comp_targetILNS1_3genE5ELNS1_11target_archE942ELNS1_3gpuE9ELNS1_3repE0EEENS1_30default_config_static_selectorELNS0_4arch9wavefront6targetE0EEEvSK_.numbered_sgpr, 0
	.set _ZN7rocprim17ROCPRIM_400000_NS6detail17trampoline_kernelINS0_14default_configENS1_36segmented_radix_sort_config_selectorIflEEZNS1_25segmented_radix_sort_implIS3_Lb1EPKfPfPKlPlN2at6native12_GLOBAL__N_18offset_tEEE10hipError_tPvRmT1_PNSt15iterator_traitsISK_E10value_typeET2_T3_PNSL_ISQ_E10value_typeET4_jRbjT5_SW_jjP12ihipStream_tbEUlT_E_NS1_11comp_targetILNS1_3genE5ELNS1_11target_archE942ELNS1_3gpuE9ELNS1_3repE0EEENS1_30default_config_static_selectorELNS0_4arch9wavefront6targetE0EEEvSK_.num_named_barrier, 0
	.set _ZN7rocprim17ROCPRIM_400000_NS6detail17trampoline_kernelINS0_14default_configENS1_36segmented_radix_sort_config_selectorIflEEZNS1_25segmented_radix_sort_implIS3_Lb1EPKfPfPKlPlN2at6native12_GLOBAL__N_18offset_tEEE10hipError_tPvRmT1_PNSt15iterator_traitsISK_E10value_typeET2_T3_PNSL_ISQ_E10value_typeET4_jRbjT5_SW_jjP12ihipStream_tbEUlT_E_NS1_11comp_targetILNS1_3genE5ELNS1_11target_archE942ELNS1_3gpuE9ELNS1_3repE0EEENS1_30default_config_static_selectorELNS0_4arch9wavefront6targetE0EEEvSK_.private_seg_size, 0
	.set _ZN7rocprim17ROCPRIM_400000_NS6detail17trampoline_kernelINS0_14default_configENS1_36segmented_radix_sort_config_selectorIflEEZNS1_25segmented_radix_sort_implIS3_Lb1EPKfPfPKlPlN2at6native12_GLOBAL__N_18offset_tEEE10hipError_tPvRmT1_PNSt15iterator_traitsISK_E10value_typeET2_T3_PNSL_ISQ_E10value_typeET4_jRbjT5_SW_jjP12ihipStream_tbEUlT_E_NS1_11comp_targetILNS1_3genE5ELNS1_11target_archE942ELNS1_3gpuE9ELNS1_3repE0EEENS1_30default_config_static_selectorELNS0_4arch9wavefront6targetE0EEEvSK_.uses_vcc, 0
	.set _ZN7rocprim17ROCPRIM_400000_NS6detail17trampoline_kernelINS0_14default_configENS1_36segmented_radix_sort_config_selectorIflEEZNS1_25segmented_radix_sort_implIS3_Lb1EPKfPfPKlPlN2at6native12_GLOBAL__N_18offset_tEEE10hipError_tPvRmT1_PNSt15iterator_traitsISK_E10value_typeET2_T3_PNSL_ISQ_E10value_typeET4_jRbjT5_SW_jjP12ihipStream_tbEUlT_E_NS1_11comp_targetILNS1_3genE5ELNS1_11target_archE942ELNS1_3gpuE9ELNS1_3repE0EEENS1_30default_config_static_selectorELNS0_4arch9wavefront6targetE0EEEvSK_.uses_flat_scratch, 0
	.set _ZN7rocprim17ROCPRIM_400000_NS6detail17trampoline_kernelINS0_14default_configENS1_36segmented_radix_sort_config_selectorIflEEZNS1_25segmented_radix_sort_implIS3_Lb1EPKfPfPKlPlN2at6native12_GLOBAL__N_18offset_tEEE10hipError_tPvRmT1_PNSt15iterator_traitsISK_E10value_typeET2_T3_PNSL_ISQ_E10value_typeET4_jRbjT5_SW_jjP12ihipStream_tbEUlT_E_NS1_11comp_targetILNS1_3genE5ELNS1_11target_archE942ELNS1_3gpuE9ELNS1_3repE0EEENS1_30default_config_static_selectorELNS0_4arch9wavefront6targetE0EEEvSK_.has_dyn_sized_stack, 0
	.set _ZN7rocprim17ROCPRIM_400000_NS6detail17trampoline_kernelINS0_14default_configENS1_36segmented_radix_sort_config_selectorIflEEZNS1_25segmented_radix_sort_implIS3_Lb1EPKfPfPKlPlN2at6native12_GLOBAL__N_18offset_tEEE10hipError_tPvRmT1_PNSt15iterator_traitsISK_E10value_typeET2_T3_PNSL_ISQ_E10value_typeET4_jRbjT5_SW_jjP12ihipStream_tbEUlT_E_NS1_11comp_targetILNS1_3genE5ELNS1_11target_archE942ELNS1_3gpuE9ELNS1_3repE0EEENS1_30default_config_static_selectorELNS0_4arch9wavefront6targetE0EEEvSK_.has_recursion, 0
	.set _ZN7rocprim17ROCPRIM_400000_NS6detail17trampoline_kernelINS0_14default_configENS1_36segmented_radix_sort_config_selectorIflEEZNS1_25segmented_radix_sort_implIS3_Lb1EPKfPfPKlPlN2at6native12_GLOBAL__N_18offset_tEEE10hipError_tPvRmT1_PNSt15iterator_traitsISK_E10value_typeET2_T3_PNSL_ISQ_E10value_typeET4_jRbjT5_SW_jjP12ihipStream_tbEUlT_E_NS1_11comp_targetILNS1_3genE5ELNS1_11target_archE942ELNS1_3gpuE9ELNS1_3repE0EEENS1_30default_config_static_selectorELNS0_4arch9wavefront6targetE0EEEvSK_.has_indirect_call, 0
	.section	.AMDGPU.csdata,"",@progbits
; Kernel info:
; codeLenInByte = 0
; TotalNumSgprs: 0
; NumVgprs: 0
; ScratchSize: 0
; MemoryBound: 0
; FloatMode: 240
; IeeeMode: 1
; LDSByteSize: 0 bytes/workgroup (compile time only)
; SGPRBlocks: 0
; VGPRBlocks: 0
; NumSGPRsForWavesPerEU: 1
; NumVGPRsForWavesPerEU: 1
; NamedBarCnt: 0
; Occupancy: 16
; WaveLimiterHint : 0
; COMPUTE_PGM_RSRC2:SCRATCH_EN: 0
; COMPUTE_PGM_RSRC2:USER_SGPR: 2
; COMPUTE_PGM_RSRC2:TRAP_HANDLER: 0
; COMPUTE_PGM_RSRC2:TGID_X_EN: 1
; COMPUTE_PGM_RSRC2:TGID_Y_EN: 0
; COMPUTE_PGM_RSRC2:TGID_Z_EN: 0
; COMPUTE_PGM_RSRC2:TIDIG_COMP_CNT: 0
	.section	.text._ZN7rocprim17ROCPRIM_400000_NS6detail17trampoline_kernelINS0_14default_configENS1_36segmented_radix_sort_config_selectorIflEEZNS1_25segmented_radix_sort_implIS3_Lb1EPKfPfPKlPlN2at6native12_GLOBAL__N_18offset_tEEE10hipError_tPvRmT1_PNSt15iterator_traitsISK_E10value_typeET2_T3_PNSL_ISQ_E10value_typeET4_jRbjT5_SW_jjP12ihipStream_tbEUlT_E_NS1_11comp_targetILNS1_3genE4ELNS1_11target_archE910ELNS1_3gpuE8ELNS1_3repE0EEENS1_30default_config_static_selectorELNS0_4arch9wavefront6targetE0EEEvSK_,"axG",@progbits,_ZN7rocprim17ROCPRIM_400000_NS6detail17trampoline_kernelINS0_14default_configENS1_36segmented_radix_sort_config_selectorIflEEZNS1_25segmented_radix_sort_implIS3_Lb1EPKfPfPKlPlN2at6native12_GLOBAL__N_18offset_tEEE10hipError_tPvRmT1_PNSt15iterator_traitsISK_E10value_typeET2_T3_PNSL_ISQ_E10value_typeET4_jRbjT5_SW_jjP12ihipStream_tbEUlT_E_NS1_11comp_targetILNS1_3genE4ELNS1_11target_archE910ELNS1_3gpuE8ELNS1_3repE0EEENS1_30default_config_static_selectorELNS0_4arch9wavefront6targetE0EEEvSK_,comdat
	.globl	_ZN7rocprim17ROCPRIM_400000_NS6detail17trampoline_kernelINS0_14default_configENS1_36segmented_radix_sort_config_selectorIflEEZNS1_25segmented_radix_sort_implIS3_Lb1EPKfPfPKlPlN2at6native12_GLOBAL__N_18offset_tEEE10hipError_tPvRmT1_PNSt15iterator_traitsISK_E10value_typeET2_T3_PNSL_ISQ_E10value_typeET4_jRbjT5_SW_jjP12ihipStream_tbEUlT_E_NS1_11comp_targetILNS1_3genE4ELNS1_11target_archE910ELNS1_3gpuE8ELNS1_3repE0EEENS1_30default_config_static_selectorELNS0_4arch9wavefront6targetE0EEEvSK_ ; -- Begin function _ZN7rocprim17ROCPRIM_400000_NS6detail17trampoline_kernelINS0_14default_configENS1_36segmented_radix_sort_config_selectorIflEEZNS1_25segmented_radix_sort_implIS3_Lb1EPKfPfPKlPlN2at6native12_GLOBAL__N_18offset_tEEE10hipError_tPvRmT1_PNSt15iterator_traitsISK_E10value_typeET2_T3_PNSL_ISQ_E10value_typeET4_jRbjT5_SW_jjP12ihipStream_tbEUlT_E_NS1_11comp_targetILNS1_3genE4ELNS1_11target_archE910ELNS1_3gpuE8ELNS1_3repE0EEENS1_30default_config_static_selectorELNS0_4arch9wavefront6targetE0EEEvSK_
	.p2align	8
	.type	_ZN7rocprim17ROCPRIM_400000_NS6detail17trampoline_kernelINS0_14default_configENS1_36segmented_radix_sort_config_selectorIflEEZNS1_25segmented_radix_sort_implIS3_Lb1EPKfPfPKlPlN2at6native12_GLOBAL__N_18offset_tEEE10hipError_tPvRmT1_PNSt15iterator_traitsISK_E10value_typeET2_T3_PNSL_ISQ_E10value_typeET4_jRbjT5_SW_jjP12ihipStream_tbEUlT_E_NS1_11comp_targetILNS1_3genE4ELNS1_11target_archE910ELNS1_3gpuE8ELNS1_3repE0EEENS1_30default_config_static_selectorELNS0_4arch9wavefront6targetE0EEEvSK_,@function
_ZN7rocprim17ROCPRIM_400000_NS6detail17trampoline_kernelINS0_14default_configENS1_36segmented_radix_sort_config_selectorIflEEZNS1_25segmented_radix_sort_implIS3_Lb1EPKfPfPKlPlN2at6native12_GLOBAL__N_18offset_tEEE10hipError_tPvRmT1_PNSt15iterator_traitsISK_E10value_typeET2_T3_PNSL_ISQ_E10value_typeET4_jRbjT5_SW_jjP12ihipStream_tbEUlT_E_NS1_11comp_targetILNS1_3genE4ELNS1_11target_archE910ELNS1_3gpuE8ELNS1_3repE0EEENS1_30default_config_static_selectorELNS0_4arch9wavefront6targetE0EEEvSK_: ; @_ZN7rocprim17ROCPRIM_400000_NS6detail17trampoline_kernelINS0_14default_configENS1_36segmented_radix_sort_config_selectorIflEEZNS1_25segmented_radix_sort_implIS3_Lb1EPKfPfPKlPlN2at6native12_GLOBAL__N_18offset_tEEE10hipError_tPvRmT1_PNSt15iterator_traitsISK_E10value_typeET2_T3_PNSL_ISQ_E10value_typeET4_jRbjT5_SW_jjP12ihipStream_tbEUlT_E_NS1_11comp_targetILNS1_3genE4ELNS1_11target_archE910ELNS1_3gpuE8ELNS1_3repE0EEENS1_30default_config_static_selectorELNS0_4arch9wavefront6targetE0EEEvSK_
; %bb.0:
	.section	.rodata,"a",@progbits
	.p2align	6, 0x0
	.amdhsa_kernel _ZN7rocprim17ROCPRIM_400000_NS6detail17trampoline_kernelINS0_14default_configENS1_36segmented_radix_sort_config_selectorIflEEZNS1_25segmented_radix_sort_implIS3_Lb1EPKfPfPKlPlN2at6native12_GLOBAL__N_18offset_tEEE10hipError_tPvRmT1_PNSt15iterator_traitsISK_E10value_typeET2_T3_PNSL_ISQ_E10value_typeET4_jRbjT5_SW_jjP12ihipStream_tbEUlT_E_NS1_11comp_targetILNS1_3genE4ELNS1_11target_archE910ELNS1_3gpuE8ELNS1_3repE0EEENS1_30default_config_static_selectorELNS0_4arch9wavefront6targetE0EEEvSK_
		.amdhsa_group_segment_fixed_size 0
		.amdhsa_private_segment_fixed_size 0
		.amdhsa_kernarg_size 96
		.amdhsa_user_sgpr_count 2
		.amdhsa_user_sgpr_dispatch_ptr 0
		.amdhsa_user_sgpr_queue_ptr 0
		.amdhsa_user_sgpr_kernarg_segment_ptr 1
		.amdhsa_user_sgpr_dispatch_id 0
		.amdhsa_user_sgpr_kernarg_preload_length 0
		.amdhsa_user_sgpr_kernarg_preload_offset 0
		.amdhsa_user_sgpr_private_segment_size 0
		.amdhsa_wavefront_size32 1
		.amdhsa_uses_dynamic_stack 0
		.amdhsa_enable_private_segment 0
		.amdhsa_system_sgpr_workgroup_id_x 1
		.amdhsa_system_sgpr_workgroup_id_y 0
		.amdhsa_system_sgpr_workgroup_id_z 0
		.amdhsa_system_sgpr_workgroup_info 0
		.amdhsa_system_vgpr_workitem_id 0
		.amdhsa_next_free_vgpr 1
		.amdhsa_next_free_sgpr 1
		.amdhsa_named_barrier_count 0
		.amdhsa_reserve_vcc 0
		.amdhsa_float_round_mode_32 0
		.amdhsa_float_round_mode_16_64 0
		.amdhsa_float_denorm_mode_32 3
		.amdhsa_float_denorm_mode_16_64 3
		.amdhsa_fp16_overflow 0
		.amdhsa_memory_ordered 1
		.amdhsa_forward_progress 1
		.amdhsa_inst_pref_size 0
		.amdhsa_round_robin_scheduling 0
		.amdhsa_exception_fp_ieee_invalid_op 0
		.amdhsa_exception_fp_denorm_src 0
		.amdhsa_exception_fp_ieee_div_zero 0
		.amdhsa_exception_fp_ieee_overflow 0
		.amdhsa_exception_fp_ieee_underflow 0
		.amdhsa_exception_fp_ieee_inexact 0
		.amdhsa_exception_int_div_zero 0
	.end_amdhsa_kernel
	.section	.text._ZN7rocprim17ROCPRIM_400000_NS6detail17trampoline_kernelINS0_14default_configENS1_36segmented_radix_sort_config_selectorIflEEZNS1_25segmented_radix_sort_implIS3_Lb1EPKfPfPKlPlN2at6native12_GLOBAL__N_18offset_tEEE10hipError_tPvRmT1_PNSt15iterator_traitsISK_E10value_typeET2_T3_PNSL_ISQ_E10value_typeET4_jRbjT5_SW_jjP12ihipStream_tbEUlT_E_NS1_11comp_targetILNS1_3genE4ELNS1_11target_archE910ELNS1_3gpuE8ELNS1_3repE0EEENS1_30default_config_static_selectorELNS0_4arch9wavefront6targetE0EEEvSK_,"axG",@progbits,_ZN7rocprim17ROCPRIM_400000_NS6detail17trampoline_kernelINS0_14default_configENS1_36segmented_radix_sort_config_selectorIflEEZNS1_25segmented_radix_sort_implIS3_Lb1EPKfPfPKlPlN2at6native12_GLOBAL__N_18offset_tEEE10hipError_tPvRmT1_PNSt15iterator_traitsISK_E10value_typeET2_T3_PNSL_ISQ_E10value_typeET4_jRbjT5_SW_jjP12ihipStream_tbEUlT_E_NS1_11comp_targetILNS1_3genE4ELNS1_11target_archE910ELNS1_3gpuE8ELNS1_3repE0EEENS1_30default_config_static_selectorELNS0_4arch9wavefront6targetE0EEEvSK_,comdat
.Lfunc_end1322:
	.size	_ZN7rocprim17ROCPRIM_400000_NS6detail17trampoline_kernelINS0_14default_configENS1_36segmented_radix_sort_config_selectorIflEEZNS1_25segmented_radix_sort_implIS3_Lb1EPKfPfPKlPlN2at6native12_GLOBAL__N_18offset_tEEE10hipError_tPvRmT1_PNSt15iterator_traitsISK_E10value_typeET2_T3_PNSL_ISQ_E10value_typeET4_jRbjT5_SW_jjP12ihipStream_tbEUlT_E_NS1_11comp_targetILNS1_3genE4ELNS1_11target_archE910ELNS1_3gpuE8ELNS1_3repE0EEENS1_30default_config_static_selectorELNS0_4arch9wavefront6targetE0EEEvSK_, .Lfunc_end1322-_ZN7rocprim17ROCPRIM_400000_NS6detail17trampoline_kernelINS0_14default_configENS1_36segmented_radix_sort_config_selectorIflEEZNS1_25segmented_radix_sort_implIS3_Lb1EPKfPfPKlPlN2at6native12_GLOBAL__N_18offset_tEEE10hipError_tPvRmT1_PNSt15iterator_traitsISK_E10value_typeET2_T3_PNSL_ISQ_E10value_typeET4_jRbjT5_SW_jjP12ihipStream_tbEUlT_E_NS1_11comp_targetILNS1_3genE4ELNS1_11target_archE910ELNS1_3gpuE8ELNS1_3repE0EEENS1_30default_config_static_selectorELNS0_4arch9wavefront6targetE0EEEvSK_
                                        ; -- End function
	.set _ZN7rocprim17ROCPRIM_400000_NS6detail17trampoline_kernelINS0_14default_configENS1_36segmented_radix_sort_config_selectorIflEEZNS1_25segmented_radix_sort_implIS3_Lb1EPKfPfPKlPlN2at6native12_GLOBAL__N_18offset_tEEE10hipError_tPvRmT1_PNSt15iterator_traitsISK_E10value_typeET2_T3_PNSL_ISQ_E10value_typeET4_jRbjT5_SW_jjP12ihipStream_tbEUlT_E_NS1_11comp_targetILNS1_3genE4ELNS1_11target_archE910ELNS1_3gpuE8ELNS1_3repE0EEENS1_30default_config_static_selectorELNS0_4arch9wavefront6targetE0EEEvSK_.num_vgpr, 0
	.set _ZN7rocprim17ROCPRIM_400000_NS6detail17trampoline_kernelINS0_14default_configENS1_36segmented_radix_sort_config_selectorIflEEZNS1_25segmented_radix_sort_implIS3_Lb1EPKfPfPKlPlN2at6native12_GLOBAL__N_18offset_tEEE10hipError_tPvRmT1_PNSt15iterator_traitsISK_E10value_typeET2_T3_PNSL_ISQ_E10value_typeET4_jRbjT5_SW_jjP12ihipStream_tbEUlT_E_NS1_11comp_targetILNS1_3genE4ELNS1_11target_archE910ELNS1_3gpuE8ELNS1_3repE0EEENS1_30default_config_static_selectorELNS0_4arch9wavefront6targetE0EEEvSK_.num_agpr, 0
	.set _ZN7rocprim17ROCPRIM_400000_NS6detail17trampoline_kernelINS0_14default_configENS1_36segmented_radix_sort_config_selectorIflEEZNS1_25segmented_radix_sort_implIS3_Lb1EPKfPfPKlPlN2at6native12_GLOBAL__N_18offset_tEEE10hipError_tPvRmT1_PNSt15iterator_traitsISK_E10value_typeET2_T3_PNSL_ISQ_E10value_typeET4_jRbjT5_SW_jjP12ihipStream_tbEUlT_E_NS1_11comp_targetILNS1_3genE4ELNS1_11target_archE910ELNS1_3gpuE8ELNS1_3repE0EEENS1_30default_config_static_selectorELNS0_4arch9wavefront6targetE0EEEvSK_.numbered_sgpr, 0
	.set _ZN7rocprim17ROCPRIM_400000_NS6detail17trampoline_kernelINS0_14default_configENS1_36segmented_radix_sort_config_selectorIflEEZNS1_25segmented_radix_sort_implIS3_Lb1EPKfPfPKlPlN2at6native12_GLOBAL__N_18offset_tEEE10hipError_tPvRmT1_PNSt15iterator_traitsISK_E10value_typeET2_T3_PNSL_ISQ_E10value_typeET4_jRbjT5_SW_jjP12ihipStream_tbEUlT_E_NS1_11comp_targetILNS1_3genE4ELNS1_11target_archE910ELNS1_3gpuE8ELNS1_3repE0EEENS1_30default_config_static_selectorELNS0_4arch9wavefront6targetE0EEEvSK_.num_named_barrier, 0
	.set _ZN7rocprim17ROCPRIM_400000_NS6detail17trampoline_kernelINS0_14default_configENS1_36segmented_radix_sort_config_selectorIflEEZNS1_25segmented_radix_sort_implIS3_Lb1EPKfPfPKlPlN2at6native12_GLOBAL__N_18offset_tEEE10hipError_tPvRmT1_PNSt15iterator_traitsISK_E10value_typeET2_T3_PNSL_ISQ_E10value_typeET4_jRbjT5_SW_jjP12ihipStream_tbEUlT_E_NS1_11comp_targetILNS1_3genE4ELNS1_11target_archE910ELNS1_3gpuE8ELNS1_3repE0EEENS1_30default_config_static_selectorELNS0_4arch9wavefront6targetE0EEEvSK_.private_seg_size, 0
	.set _ZN7rocprim17ROCPRIM_400000_NS6detail17trampoline_kernelINS0_14default_configENS1_36segmented_radix_sort_config_selectorIflEEZNS1_25segmented_radix_sort_implIS3_Lb1EPKfPfPKlPlN2at6native12_GLOBAL__N_18offset_tEEE10hipError_tPvRmT1_PNSt15iterator_traitsISK_E10value_typeET2_T3_PNSL_ISQ_E10value_typeET4_jRbjT5_SW_jjP12ihipStream_tbEUlT_E_NS1_11comp_targetILNS1_3genE4ELNS1_11target_archE910ELNS1_3gpuE8ELNS1_3repE0EEENS1_30default_config_static_selectorELNS0_4arch9wavefront6targetE0EEEvSK_.uses_vcc, 0
	.set _ZN7rocprim17ROCPRIM_400000_NS6detail17trampoline_kernelINS0_14default_configENS1_36segmented_radix_sort_config_selectorIflEEZNS1_25segmented_radix_sort_implIS3_Lb1EPKfPfPKlPlN2at6native12_GLOBAL__N_18offset_tEEE10hipError_tPvRmT1_PNSt15iterator_traitsISK_E10value_typeET2_T3_PNSL_ISQ_E10value_typeET4_jRbjT5_SW_jjP12ihipStream_tbEUlT_E_NS1_11comp_targetILNS1_3genE4ELNS1_11target_archE910ELNS1_3gpuE8ELNS1_3repE0EEENS1_30default_config_static_selectorELNS0_4arch9wavefront6targetE0EEEvSK_.uses_flat_scratch, 0
	.set _ZN7rocprim17ROCPRIM_400000_NS6detail17trampoline_kernelINS0_14default_configENS1_36segmented_radix_sort_config_selectorIflEEZNS1_25segmented_radix_sort_implIS3_Lb1EPKfPfPKlPlN2at6native12_GLOBAL__N_18offset_tEEE10hipError_tPvRmT1_PNSt15iterator_traitsISK_E10value_typeET2_T3_PNSL_ISQ_E10value_typeET4_jRbjT5_SW_jjP12ihipStream_tbEUlT_E_NS1_11comp_targetILNS1_3genE4ELNS1_11target_archE910ELNS1_3gpuE8ELNS1_3repE0EEENS1_30default_config_static_selectorELNS0_4arch9wavefront6targetE0EEEvSK_.has_dyn_sized_stack, 0
	.set _ZN7rocprim17ROCPRIM_400000_NS6detail17trampoline_kernelINS0_14default_configENS1_36segmented_radix_sort_config_selectorIflEEZNS1_25segmented_radix_sort_implIS3_Lb1EPKfPfPKlPlN2at6native12_GLOBAL__N_18offset_tEEE10hipError_tPvRmT1_PNSt15iterator_traitsISK_E10value_typeET2_T3_PNSL_ISQ_E10value_typeET4_jRbjT5_SW_jjP12ihipStream_tbEUlT_E_NS1_11comp_targetILNS1_3genE4ELNS1_11target_archE910ELNS1_3gpuE8ELNS1_3repE0EEENS1_30default_config_static_selectorELNS0_4arch9wavefront6targetE0EEEvSK_.has_recursion, 0
	.set _ZN7rocprim17ROCPRIM_400000_NS6detail17trampoline_kernelINS0_14default_configENS1_36segmented_radix_sort_config_selectorIflEEZNS1_25segmented_radix_sort_implIS3_Lb1EPKfPfPKlPlN2at6native12_GLOBAL__N_18offset_tEEE10hipError_tPvRmT1_PNSt15iterator_traitsISK_E10value_typeET2_T3_PNSL_ISQ_E10value_typeET4_jRbjT5_SW_jjP12ihipStream_tbEUlT_E_NS1_11comp_targetILNS1_3genE4ELNS1_11target_archE910ELNS1_3gpuE8ELNS1_3repE0EEENS1_30default_config_static_selectorELNS0_4arch9wavefront6targetE0EEEvSK_.has_indirect_call, 0
	.section	.AMDGPU.csdata,"",@progbits
; Kernel info:
; codeLenInByte = 0
; TotalNumSgprs: 0
; NumVgprs: 0
; ScratchSize: 0
; MemoryBound: 0
; FloatMode: 240
; IeeeMode: 1
; LDSByteSize: 0 bytes/workgroup (compile time only)
; SGPRBlocks: 0
; VGPRBlocks: 0
; NumSGPRsForWavesPerEU: 1
; NumVGPRsForWavesPerEU: 1
; NamedBarCnt: 0
; Occupancy: 16
; WaveLimiterHint : 0
; COMPUTE_PGM_RSRC2:SCRATCH_EN: 0
; COMPUTE_PGM_RSRC2:USER_SGPR: 2
; COMPUTE_PGM_RSRC2:TRAP_HANDLER: 0
; COMPUTE_PGM_RSRC2:TGID_X_EN: 1
; COMPUTE_PGM_RSRC2:TGID_Y_EN: 0
; COMPUTE_PGM_RSRC2:TGID_Z_EN: 0
; COMPUTE_PGM_RSRC2:TIDIG_COMP_CNT: 0
	.section	.text._ZN7rocprim17ROCPRIM_400000_NS6detail17trampoline_kernelINS0_14default_configENS1_36segmented_radix_sort_config_selectorIflEEZNS1_25segmented_radix_sort_implIS3_Lb1EPKfPfPKlPlN2at6native12_GLOBAL__N_18offset_tEEE10hipError_tPvRmT1_PNSt15iterator_traitsISK_E10value_typeET2_T3_PNSL_ISQ_E10value_typeET4_jRbjT5_SW_jjP12ihipStream_tbEUlT_E_NS1_11comp_targetILNS1_3genE3ELNS1_11target_archE908ELNS1_3gpuE7ELNS1_3repE0EEENS1_30default_config_static_selectorELNS0_4arch9wavefront6targetE0EEEvSK_,"axG",@progbits,_ZN7rocprim17ROCPRIM_400000_NS6detail17trampoline_kernelINS0_14default_configENS1_36segmented_radix_sort_config_selectorIflEEZNS1_25segmented_radix_sort_implIS3_Lb1EPKfPfPKlPlN2at6native12_GLOBAL__N_18offset_tEEE10hipError_tPvRmT1_PNSt15iterator_traitsISK_E10value_typeET2_T3_PNSL_ISQ_E10value_typeET4_jRbjT5_SW_jjP12ihipStream_tbEUlT_E_NS1_11comp_targetILNS1_3genE3ELNS1_11target_archE908ELNS1_3gpuE7ELNS1_3repE0EEENS1_30default_config_static_selectorELNS0_4arch9wavefront6targetE0EEEvSK_,comdat
	.globl	_ZN7rocprim17ROCPRIM_400000_NS6detail17trampoline_kernelINS0_14default_configENS1_36segmented_radix_sort_config_selectorIflEEZNS1_25segmented_radix_sort_implIS3_Lb1EPKfPfPKlPlN2at6native12_GLOBAL__N_18offset_tEEE10hipError_tPvRmT1_PNSt15iterator_traitsISK_E10value_typeET2_T3_PNSL_ISQ_E10value_typeET4_jRbjT5_SW_jjP12ihipStream_tbEUlT_E_NS1_11comp_targetILNS1_3genE3ELNS1_11target_archE908ELNS1_3gpuE7ELNS1_3repE0EEENS1_30default_config_static_selectorELNS0_4arch9wavefront6targetE0EEEvSK_ ; -- Begin function _ZN7rocprim17ROCPRIM_400000_NS6detail17trampoline_kernelINS0_14default_configENS1_36segmented_radix_sort_config_selectorIflEEZNS1_25segmented_radix_sort_implIS3_Lb1EPKfPfPKlPlN2at6native12_GLOBAL__N_18offset_tEEE10hipError_tPvRmT1_PNSt15iterator_traitsISK_E10value_typeET2_T3_PNSL_ISQ_E10value_typeET4_jRbjT5_SW_jjP12ihipStream_tbEUlT_E_NS1_11comp_targetILNS1_3genE3ELNS1_11target_archE908ELNS1_3gpuE7ELNS1_3repE0EEENS1_30default_config_static_selectorELNS0_4arch9wavefront6targetE0EEEvSK_
	.p2align	8
	.type	_ZN7rocprim17ROCPRIM_400000_NS6detail17trampoline_kernelINS0_14default_configENS1_36segmented_radix_sort_config_selectorIflEEZNS1_25segmented_radix_sort_implIS3_Lb1EPKfPfPKlPlN2at6native12_GLOBAL__N_18offset_tEEE10hipError_tPvRmT1_PNSt15iterator_traitsISK_E10value_typeET2_T3_PNSL_ISQ_E10value_typeET4_jRbjT5_SW_jjP12ihipStream_tbEUlT_E_NS1_11comp_targetILNS1_3genE3ELNS1_11target_archE908ELNS1_3gpuE7ELNS1_3repE0EEENS1_30default_config_static_selectorELNS0_4arch9wavefront6targetE0EEEvSK_,@function
_ZN7rocprim17ROCPRIM_400000_NS6detail17trampoline_kernelINS0_14default_configENS1_36segmented_radix_sort_config_selectorIflEEZNS1_25segmented_radix_sort_implIS3_Lb1EPKfPfPKlPlN2at6native12_GLOBAL__N_18offset_tEEE10hipError_tPvRmT1_PNSt15iterator_traitsISK_E10value_typeET2_T3_PNSL_ISQ_E10value_typeET4_jRbjT5_SW_jjP12ihipStream_tbEUlT_E_NS1_11comp_targetILNS1_3genE3ELNS1_11target_archE908ELNS1_3gpuE7ELNS1_3repE0EEENS1_30default_config_static_selectorELNS0_4arch9wavefront6targetE0EEEvSK_: ; @_ZN7rocprim17ROCPRIM_400000_NS6detail17trampoline_kernelINS0_14default_configENS1_36segmented_radix_sort_config_selectorIflEEZNS1_25segmented_radix_sort_implIS3_Lb1EPKfPfPKlPlN2at6native12_GLOBAL__N_18offset_tEEE10hipError_tPvRmT1_PNSt15iterator_traitsISK_E10value_typeET2_T3_PNSL_ISQ_E10value_typeET4_jRbjT5_SW_jjP12ihipStream_tbEUlT_E_NS1_11comp_targetILNS1_3genE3ELNS1_11target_archE908ELNS1_3gpuE7ELNS1_3repE0EEENS1_30default_config_static_selectorELNS0_4arch9wavefront6targetE0EEEvSK_
; %bb.0:
	.section	.rodata,"a",@progbits
	.p2align	6, 0x0
	.amdhsa_kernel _ZN7rocprim17ROCPRIM_400000_NS6detail17trampoline_kernelINS0_14default_configENS1_36segmented_radix_sort_config_selectorIflEEZNS1_25segmented_radix_sort_implIS3_Lb1EPKfPfPKlPlN2at6native12_GLOBAL__N_18offset_tEEE10hipError_tPvRmT1_PNSt15iterator_traitsISK_E10value_typeET2_T3_PNSL_ISQ_E10value_typeET4_jRbjT5_SW_jjP12ihipStream_tbEUlT_E_NS1_11comp_targetILNS1_3genE3ELNS1_11target_archE908ELNS1_3gpuE7ELNS1_3repE0EEENS1_30default_config_static_selectorELNS0_4arch9wavefront6targetE0EEEvSK_
		.amdhsa_group_segment_fixed_size 0
		.amdhsa_private_segment_fixed_size 0
		.amdhsa_kernarg_size 96
		.amdhsa_user_sgpr_count 2
		.amdhsa_user_sgpr_dispatch_ptr 0
		.amdhsa_user_sgpr_queue_ptr 0
		.amdhsa_user_sgpr_kernarg_segment_ptr 1
		.amdhsa_user_sgpr_dispatch_id 0
		.amdhsa_user_sgpr_kernarg_preload_length 0
		.amdhsa_user_sgpr_kernarg_preload_offset 0
		.amdhsa_user_sgpr_private_segment_size 0
		.amdhsa_wavefront_size32 1
		.amdhsa_uses_dynamic_stack 0
		.amdhsa_enable_private_segment 0
		.amdhsa_system_sgpr_workgroup_id_x 1
		.amdhsa_system_sgpr_workgroup_id_y 0
		.amdhsa_system_sgpr_workgroup_id_z 0
		.amdhsa_system_sgpr_workgroup_info 0
		.amdhsa_system_vgpr_workitem_id 0
		.amdhsa_next_free_vgpr 1
		.amdhsa_next_free_sgpr 1
		.amdhsa_named_barrier_count 0
		.amdhsa_reserve_vcc 0
		.amdhsa_float_round_mode_32 0
		.amdhsa_float_round_mode_16_64 0
		.amdhsa_float_denorm_mode_32 3
		.amdhsa_float_denorm_mode_16_64 3
		.amdhsa_fp16_overflow 0
		.amdhsa_memory_ordered 1
		.amdhsa_forward_progress 1
		.amdhsa_inst_pref_size 0
		.amdhsa_round_robin_scheduling 0
		.amdhsa_exception_fp_ieee_invalid_op 0
		.amdhsa_exception_fp_denorm_src 0
		.amdhsa_exception_fp_ieee_div_zero 0
		.amdhsa_exception_fp_ieee_overflow 0
		.amdhsa_exception_fp_ieee_underflow 0
		.amdhsa_exception_fp_ieee_inexact 0
		.amdhsa_exception_int_div_zero 0
	.end_amdhsa_kernel
	.section	.text._ZN7rocprim17ROCPRIM_400000_NS6detail17trampoline_kernelINS0_14default_configENS1_36segmented_radix_sort_config_selectorIflEEZNS1_25segmented_radix_sort_implIS3_Lb1EPKfPfPKlPlN2at6native12_GLOBAL__N_18offset_tEEE10hipError_tPvRmT1_PNSt15iterator_traitsISK_E10value_typeET2_T3_PNSL_ISQ_E10value_typeET4_jRbjT5_SW_jjP12ihipStream_tbEUlT_E_NS1_11comp_targetILNS1_3genE3ELNS1_11target_archE908ELNS1_3gpuE7ELNS1_3repE0EEENS1_30default_config_static_selectorELNS0_4arch9wavefront6targetE0EEEvSK_,"axG",@progbits,_ZN7rocprim17ROCPRIM_400000_NS6detail17trampoline_kernelINS0_14default_configENS1_36segmented_radix_sort_config_selectorIflEEZNS1_25segmented_radix_sort_implIS3_Lb1EPKfPfPKlPlN2at6native12_GLOBAL__N_18offset_tEEE10hipError_tPvRmT1_PNSt15iterator_traitsISK_E10value_typeET2_T3_PNSL_ISQ_E10value_typeET4_jRbjT5_SW_jjP12ihipStream_tbEUlT_E_NS1_11comp_targetILNS1_3genE3ELNS1_11target_archE908ELNS1_3gpuE7ELNS1_3repE0EEENS1_30default_config_static_selectorELNS0_4arch9wavefront6targetE0EEEvSK_,comdat
.Lfunc_end1323:
	.size	_ZN7rocprim17ROCPRIM_400000_NS6detail17trampoline_kernelINS0_14default_configENS1_36segmented_radix_sort_config_selectorIflEEZNS1_25segmented_radix_sort_implIS3_Lb1EPKfPfPKlPlN2at6native12_GLOBAL__N_18offset_tEEE10hipError_tPvRmT1_PNSt15iterator_traitsISK_E10value_typeET2_T3_PNSL_ISQ_E10value_typeET4_jRbjT5_SW_jjP12ihipStream_tbEUlT_E_NS1_11comp_targetILNS1_3genE3ELNS1_11target_archE908ELNS1_3gpuE7ELNS1_3repE0EEENS1_30default_config_static_selectorELNS0_4arch9wavefront6targetE0EEEvSK_, .Lfunc_end1323-_ZN7rocprim17ROCPRIM_400000_NS6detail17trampoline_kernelINS0_14default_configENS1_36segmented_radix_sort_config_selectorIflEEZNS1_25segmented_radix_sort_implIS3_Lb1EPKfPfPKlPlN2at6native12_GLOBAL__N_18offset_tEEE10hipError_tPvRmT1_PNSt15iterator_traitsISK_E10value_typeET2_T3_PNSL_ISQ_E10value_typeET4_jRbjT5_SW_jjP12ihipStream_tbEUlT_E_NS1_11comp_targetILNS1_3genE3ELNS1_11target_archE908ELNS1_3gpuE7ELNS1_3repE0EEENS1_30default_config_static_selectorELNS0_4arch9wavefront6targetE0EEEvSK_
                                        ; -- End function
	.set _ZN7rocprim17ROCPRIM_400000_NS6detail17trampoline_kernelINS0_14default_configENS1_36segmented_radix_sort_config_selectorIflEEZNS1_25segmented_radix_sort_implIS3_Lb1EPKfPfPKlPlN2at6native12_GLOBAL__N_18offset_tEEE10hipError_tPvRmT1_PNSt15iterator_traitsISK_E10value_typeET2_T3_PNSL_ISQ_E10value_typeET4_jRbjT5_SW_jjP12ihipStream_tbEUlT_E_NS1_11comp_targetILNS1_3genE3ELNS1_11target_archE908ELNS1_3gpuE7ELNS1_3repE0EEENS1_30default_config_static_selectorELNS0_4arch9wavefront6targetE0EEEvSK_.num_vgpr, 0
	.set _ZN7rocprim17ROCPRIM_400000_NS6detail17trampoline_kernelINS0_14default_configENS1_36segmented_radix_sort_config_selectorIflEEZNS1_25segmented_radix_sort_implIS3_Lb1EPKfPfPKlPlN2at6native12_GLOBAL__N_18offset_tEEE10hipError_tPvRmT1_PNSt15iterator_traitsISK_E10value_typeET2_T3_PNSL_ISQ_E10value_typeET4_jRbjT5_SW_jjP12ihipStream_tbEUlT_E_NS1_11comp_targetILNS1_3genE3ELNS1_11target_archE908ELNS1_3gpuE7ELNS1_3repE0EEENS1_30default_config_static_selectorELNS0_4arch9wavefront6targetE0EEEvSK_.num_agpr, 0
	.set _ZN7rocprim17ROCPRIM_400000_NS6detail17trampoline_kernelINS0_14default_configENS1_36segmented_radix_sort_config_selectorIflEEZNS1_25segmented_radix_sort_implIS3_Lb1EPKfPfPKlPlN2at6native12_GLOBAL__N_18offset_tEEE10hipError_tPvRmT1_PNSt15iterator_traitsISK_E10value_typeET2_T3_PNSL_ISQ_E10value_typeET4_jRbjT5_SW_jjP12ihipStream_tbEUlT_E_NS1_11comp_targetILNS1_3genE3ELNS1_11target_archE908ELNS1_3gpuE7ELNS1_3repE0EEENS1_30default_config_static_selectorELNS0_4arch9wavefront6targetE0EEEvSK_.numbered_sgpr, 0
	.set _ZN7rocprim17ROCPRIM_400000_NS6detail17trampoline_kernelINS0_14default_configENS1_36segmented_radix_sort_config_selectorIflEEZNS1_25segmented_radix_sort_implIS3_Lb1EPKfPfPKlPlN2at6native12_GLOBAL__N_18offset_tEEE10hipError_tPvRmT1_PNSt15iterator_traitsISK_E10value_typeET2_T3_PNSL_ISQ_E10value_typeET4_jRbjT5_SW_jjP12ihipStream_tbEUlT_E_NS1_11comp_targetILNS1_3genE3ELNS1_11target_archE908ELNS1_3gpuE7ELNS1_3repE0EEENS1_30default_config_static_selectorELNS0_4arch9wavefront6targetE0EEEvSK_.num_named_barrier, 0
	.set _ZN7rocprim17ROCPRIM_400000_NS6detail17trampoline_kernelINS0_14default_configENS1_36segmented_radix_sort_config_selectorIflEEZNS1_25segmented_radix_sort_implIS3_Lb1EPKfPfPKlPlN2at6native12_GLOBAL__N_18offset_tEEE10hipError_tPvRmT1_PNSt15iterator_traitsISK_E10value_typeET2_T3_PNSL_ISQ_E10value_typeET4_jRbjT5_SW_jjP12ihipStream_tbEUlT_E_NS1_11comp_targetILNS1_3genE3ELNS1_11target_archE908ELNS1_3gpuE7ELNS1_3repE0EEENS1_30default_config_static_selectorELNS0_4arch9wavefront6targetE0EEEvSK_.private_seg_size, 0
	.set _ZN7rocprim17ROCPRIM_400000_NS6detail17trampoline_kernelINS0_14default_configENS1_36segmented_radix_sort_config_selectorIflEEZNS1_25segmented_radix_sort_implIS3_Lb1EPKfPfPKlPlN2at6native12_GLOBAL__N_18offset_tEEE10hipError_tPvRmT1_PNSt15iterator_traitsISK_E10value_typeET2_T3_PNSL_ISQ_E10value_typeET4_jRbjT5_SW_jjP12ihipStream_tbEUlT_E_NS1_11comp_targetILNS1_3genE3ELNS1_11target_archE908ELNS1_3gpuE7ELNS1_3repE0EEENS1_30default_config_static_selectorELNS0_4arch9wavefront6targetE0EEEvSK_.uses_vcc, 0
	.set _ZN7rocprim17ROCPRIM_400000_NS6detail17trampoline_kernelINS0_14default_configENS1_36segmented_radix_sort_config_selectorIflEEZNS1_25segmented_radix_sort_implIS3_Lb1EPKfPfPKlPlN2at6native12_GLOBAL__N_18offset_tEEE10hipError_tPvRmT1_PNSt15iterator_traitsISK_E10value_typeET2_T3_PNSL_ISQ_E10value_typeET4_jRbjT5_SW_jjP12ihipStream_tbEUlT_E_NS1_11comp_targetILNS1_3genE3ELNS1_11target_archE908ELNS1_3gpuE7ELNS1_3repE0EEENS1_30default_config_static_selectorELNS0_4arch9wavefront6targetE0EEEvSK_.uses_flat_scratch, 0
	.set _ZN7rocprim17ROCPRIM_400000_NS6detail17trampoline_kernelINS0_14default_configENS1_36segmented_radix_sort_config_selectorIflEEZNS1_25segmented_radix_sort_implIS3_Lb1EPKfPfPKlPlN2at6native12_GLOBAL__N_18offset_tEEE10hipError_tPvRmT1_PNSt15iterator_traitsISK_E10value_typeET2_T3_PNSL_ISQ_E10value_typeET4_jRbjT5_SW_jjP12ihipStream_tbEUlT_E_NS1_11comp_targetILNS1_3genE3ELNS1_11target_archE908ELNS1_3gpuE7ELNS1_3repE0EEENS1_30default_config_static_selectorELNS0_4arch9wavefront6targetE0EEEvSK_.has_dyn_sized_stack, 0
	.set _ZN7rocprim17ROCPRIM_400000_NS6detail17trampoline_kernelINS0_14default_configENS1_36segmented_radix_sort_config_selectorIflEEZNS1_25segmented_radix_sort_implIS3_Lb1EPKfPfPKlPlN2at6native12_GLOBAL__N_18offset_tEEE10hipError_tPvRmT1_PNSt15iterator_traitsISK_E10value_typeET2_T3_PNSL_ISQ_E10value_typeET4_jRbjT5_SW_jjP12ihipStream_tbEUlT_E_NS1_11comp_targetILNS1_3genE3ELNS1_11target_archE908ELNS1_3gpuE7ELNS1_3repE0EEENS1_30default_config_static_selectorELNS0_4arch9wavefront6targetE0EEEvSK_.has_recursion, 0
	.set _ZN7rocprim17ROCPRIM_400000_NS6detail17trampoline_kernelINS0_14default_configENS1_36segmented_radix_sort_config_selectorIflEEZNS1_25segmented_radix_sort_implIS3_Lb1EPKfPfPKlPlN2at6native12_GLOBAL__N_18offset_tEEE10hipError_tPvRmT1_PNSt15iterator_traitsISK_E10value_typeET2_T3_PNSL_ISQ_E10value_typeET4_jRbjT5_SW_jjP12ihipStream_tbEUlT_E_NS1_11comp_targetILNS1_3genE3ELNS1_11target_archE908ELNS1_3gpuE7ELNS1_3repE0EEENS1_30default_config_static_selectorELNS0_4arch9wavefront6targetE0EEEvSK_.has_indirect_call, 0
	.section	.AMDGPU.csdata,"",@progbits
; Kernel info:
; codeLenInByte = 0
; TotalNumSgprs: 0
; NumVgprs: 0
; ScratchSize: 0
; MemoryBound: 0
; FloatMode: 240
; IeeeMode: 1
; LDSByteSize: 0 bytes/workgroup (compile time only)
; SGPRBlocks: 0
; VGPRBlocks: 0
; NumSGPRsForWavesPerEU: 1
; NumVGPRsForWavesPerEU: 1
; NamedBarCnt: 0
; Occupancy: 16
; WaveLimiterHint : 0
; COMPUTE_PGM_RSRC2:SCRATCH_EN: 0
; COMPUTE_PGM_RSRC2:USER_SGPR: 2
; COMPUTE_PGM_RSRC2:TRAP_HANDLER: 0
; COMPUTE_PGM_RSRC2:TGID_X_EN: 1
; COMPUTE_PGM_RSRC2:TGID_Y_EN: 0
; COMPUTE_PGM_RSRC2:TGID_Z_EN: 0
; COMPUTE_PGM_RSRC2:TIDIG_COMP_CNT: 0
	.section	.text._ZN7rocprim17ROCPRIM_400000_NS6detail17trampoline_kernelINS0_14default_configENS1_36segmented_radix_sort_config_selectorIflEEZNS1_25segmented_radix_sort_implIS3_Lb1EPKfPfPKlPlN2at6native12_GLOBAL__N_18offset_tEEE10hipError_tPvRmT1_PNSt15iterator_traitsISK_E10value_typeET2_T3_PNSL_ISQ_E10value_typeET4_jRbjT5_SW_jjP12ihipStream_tbEUlT_E_NS1_11comp_targetILNS1_3genE2ELNS1_11target_archE906ELNS1_3gpuE6ELNS1_3repE0EEENS1_30default_config_static_selectorELNS0_4arch9wavefront6targetE0EEEvSK_,"axG",@progbits,_ZN7rocprim17ROCPRIM_400000_NS6detail17trampoline_kernelINS0_14default_configENS1_36segmented_radix_sort_config_selectorIflEEZNS1_25segmented_radix_sort_implIS3_Lb1EPKfPfPKlPlN2at6native12_GLOBAL__N_18offset_tEEE10hipError_tPvRmT1_PNSt15iterator_traitsISK_E10value_typeET2_T3_PNSL_ISQ_E10value_typeET4_jRbjT5_SW_jjP12ihipStream_tbEUlT_E_NS1_11comp_targetILNS1_3genE2ELNS1_11target_archE906ELNS1_3gpuE6ELNS1_3repE0EEENS1_30default_config_static_selectorELNS0_4arch9wavefront6targetE0EEEvSK_,comdat
	.globl	_ZN7rocprim17ROCPRIM_400000_NS6detail17trampoline_kernelINS0_14default_configENS1_36segmented_radix_sort_config_selectorIflEEZNS1_25segmented_radix_sort_implIS3_Lb1EPKfPfPKlPlN2at6native12_GLOBAL__N_18offset_tEEE10hipError_tPvRmT1_PNSt15iterator_traitsISK_E10value_typeET2_T3_PNSL_ISQ_E10value_typeET4_jRbjT5_SW_jjP12ihipStream_tbEUlT_E_NS1_11comp_targetILNS1_3genE2ELNS1_11target_archE906ELNS1_3gpuE6ELNS1_3repE0EEENS1_30default_config_static_selectorELNS0_4arch9wavefront6targetE0EEEvSK_ ; -- Begin function _ZN7rocprim17ROCPRIM_400000_NS6detail17trampoline_kernelINS0_14default_configENS1_36segmented_radix_sort_config_selectorIflEEZNS1_25segmented_radix_sort_implIS3_Lb1EPKfPfPKlPlN2at6native12_GLOBAL__N_18offset_tEEE10hipError_tPvRmT1_PNSt15iterator_traitsISK_E10value_typeET2_T3_PNSL_ISQ_E10value_typeET4_jRbjT5_SW_jjP12ihipStream_tbEUlT_E_NS1_11comp_targetILNS1_3genE2ELNS1_11target_archE906ELNS1_3gpuE6ELNS1_3repE0EEENS1_30default_config_static_selectorELNS0_4arch9wavefront6targetE0EEEvSK_
	.p2align	8
	.type	_ZN7rocprim17ROCPRIM_400000_NS6detail17trampoline_kernelINS0_14default_configENS1_36segmented_radix_sort_config_selectorIflEEZNS1_25segmented_radix_sort_implIS3_Lb1EPKfPfPKlPlN2at6native12_GLOBAL__N_18offset_tEEE10hipError_tPvRmT1_PNSt15iterator_traitsISK_E10value_typeET2_T3_PNSL_ISQ_E10value_typeET4_jRbjT5_SW_jjP12ihipStream_tbEUlT_E_NS1_11comp_targetILNS1_3genE2ELNS1_11target_archE906ELNS1_3gpuE6ELNS1_3repE0EEENS1_30default_config_static_selectorELNS0_4arch9wavefront6targetE0EEEvSK_,@function
_ZN7rocprim17ROCPRIM_400000_NS6detail17trampoline_kernelINS0_14default_configENS1_36segmented_radix_sort_config_selectorIflEEZNS1_25segmented_radix_sort_implIS3_Lb1EPKfPfPKlPlN2at6native12_GLOBAL__N_18offset_tEEE10hipError_tPvRmT1_PNSt15iterator_traitsISK_E10value_typeET2_T3_PNSL_ISQ_E10value_typeET4_jRbjT5_SW_jjP12ihipStream_tbEUlT_E_NS1_11comp_targetILNS1_3genE2ELNS1_11target_archE906ELNS1_3gpuE6ELNS1_3repE0EEENS1_30default_config_static_selectorELNS0_4arch9wavefront6targetE0EEEvSK_: ; @_ZN7rocprim17ROCPRIM_400000_NS6detail17trampoline_kernelINS0_14default_configENS1_36segmented_radix_sort_config_selectorIflEEZNS1_25segmented_radix_sort_implIS3_Lb1EPKfPfPKlPlN2at6native12_GLOBAL__N_18offset_tEEE10hipError_tPvRmT1_PNSt15iterator_traitsISK_E10value_typeET2_T3_PNSL_ISQ_E10value_typeET4_jRbjT5_SW_jjP12ihipStream_tbEUlT_E_NS1_11comp_targetILNS1_3genE2ELNS1_11target_archE906ELNS1_3gpuE6ELNS1_3repE0EEENS1_30default_config_static_selectorELNS0_4arch9wavefront6targetE0EEEvSK_
; %bb.0:
	.section	.rodata,"a",@progbits
	.p2align	6, 0x0
	.amdhsa_kernel _ZN7rocprim17ROCPRIM_400000_NS6detail17trampoline_kernelINS0_14default_configENS1_36segmented_radix_sort_config_selectorIflEEZNS1_25segmented_radix_sort_implIS3_Lb1EPKfPfPKlPlN2at6native12_GLOBAL__N_18offset_tEEE10hipError_tPvRmT1_PNSt15iterator_traitsISK_E10value_typeET2_T3_PNSL_ISQ_E10value_typeET4_jRbjT5_SW_jjP12ihipStream_tbEUlT_E_NS1_11comp_targetILNS1_3genE2ELNS1_11target_archE906ELNS1_3gpuE6ELNS1_3repE0EEENS1_30default_config_static_selectorELNS0_4arch9wavefront6targetE0EEEvSK_
		.amdhsa_group_segment_fixed_size 0
		.amdhsa_private_segment_fixed_size 0
		.amdhsa_kernarg_size 96
		.amdhsa_user_sgpr_count 2
		.amdhsa_user_sgpr_dispatch_ptr 0
		.amdhsa_user_sgpr_queue_ptr 0
		.amdhsa_user_sgpr_kernarg_segment_ptr 1
		.amdhsa_user_sgpr_dispatch_id 0
		.amdhsa_user_sgpr_kernarg_preload_length 0
		.amdhsa_user_sgpr_kernarg_preload_offset 0
		.amdhsa_user_sgpr_private_segment_size 0
		.amdhsa_wavefront_size32 1
		.amdhsa_uses_dynamic_stack 0
		.amdhsa_enable_private_segment 0
		.amdhsa_system_sgpr_workgroup_id_x 1
		.amdhsa_system_sgpr_workgroup_id_y 0
		.amdhsa_system_sgpr_workgroup_id_z 0
		.amdhsa_system_sgpr_workgroup_info 0
		.amdhsa_system_vgpr_workitem_id 0
		.amdhsa_next_free_vgpr 1
		.amdhsa_next_free_sgpr 1
		.amdhsa_named_barrier_count 0
		.amdhsa_reserve_vcc 0
		.amdhsa_float_round_mode_32 0
		.amdhsa_float_round_mode_16_64 0
		.amdhsa_float_denorm_mode_32 3
		.amdhsa_float_denorm_mode_16_64 3
		.amdhsa_fp16_overflow 0
		.amdhsa_memory_ordered 1
		.amdhsa_forward_progress 1
		.amdhsa_inst_pref_size 0
		.amdhsa_round_robin_scheduling 0
		.amdhsa_exception_fp_ieee_invalid_op 0
		.amdhsa_exception_fp_denorm_src 0
		.amdhsa_exception_fp_ieee_div_zero 0
		.amdhsa_exception_fp_ieee_overflow 0
		.amdhsa_exception_fp_ieee_underflow 0
		.amdhsa_exception_fp_ieee_inexact 0
		.amdhsa_exception_int_div_zero 0
	.end_amdhsa_kernel
	.section	.text._ZN7rocprim17ROCPRIM_400000_NS6detail17trampoline_kernelINS0_14default_configENS1_36segmented_radix_sort_config_selectorIflEEZNS1_25segmented_radix_sort_implIS3_Lb1EPKfPfPKlPlN2at6native12_GLOBAL__N_18offset_tEEE10hipError_tPvRmT1_PNSt15iterator_traitsISK_E10value_typeET2_T3_PNSL_ISQ_E10value_typeET4_jRbjT5_SW_jjP12ihipStream_tbEUlT_E_NS1_11comp_targetILNS1_3genE2ELNS1_11target_archE906ELNS1_3gpuE6ELNS1_3repE0EEENS1_30default_config_static_selectorELNS0_4arch9wavefront6targetE0EEEvSK_,"axG",@progbits,_ZN7rocprim17ROCPRIM_400000_NS6detail17trampoline_kernelINS0_14default_configENS1_36segmented_radix_sort_config_selectorIflEEZNS1_25segmented_radix_sort_implIS3_Lb1EPKfPfPKlPlN2at6native12_GLOBAL__N_18offset_tEEE10hipError_tPvRmT1_PNSt15iterator_traitsISK_E10value_typeET2_T3_PNSL_ISQ_E10value_typeET4_jRbjT5_SW_jjP12ihipStream_tbEUlT_E_NS1_11comp_targetILNS1_3genE2ELNS1_11target_archE906ELNS1_3gpuE6ELNS1_3repE0EEENS1_30default_config_static_selectorELNS0_4arch9wavefront6targetE0EEEvSK_,comdat
.Lfunc_end1324:
	.size	_ZN7rocprim17ROCPRIM_400000_NS6detail17trampoline_kernelINS0_14default_configENS1_36segmented_radix_sort_config_selectorIflEEZNS1_25segmented_radix_sort_implIS3_Lb1EPKfPfPKlPlN2at6native12_GLOBAL__N_18offset_tEEE10hipError_tPvRmT1_PNSt15iterator_traitsISK_E10value_typeET2_T3_PNSL_ISQ_E10value_typeET4_jRbjT5_SW_jjP12ihipStream_tbEUlT_E_NS1_11comp_targetILNS1_3genE2ELNS1_11target_archE906ELNS1_3gpuE6ELNS1_3repE0EEENS1_30default_config_static_selectorELNS0_4arch9wavefront6targetE0EEEvSK_, .Lfunc_end1324-_ZN7rocprim17ROCPRIM_400000_NS6detail17trampoline_kernelINS0_14default_configENS1_36segmented_radix_sort_config_selectorIflEEZNS1_25segmented_radix_sort_implIS3_Lb1EPKfPfPKlPlN2at6native12_GLOBAL__N_18offset_tEEE10hipError_tPvRmT1_PNSt15iterator_traitsISK_E10value_typeET2_T3_PNSL_ISQ_E10value_typeET4_jRbjT5_SW_jjP12ihipStream_tbEUlT_E_NS1_11comp_targetILNS1_3genE2ELNS1_11target_archE906ELNS1_3gpuE6ELNS1_3repE0EEENS1_30default_config_static_selectorELNS0_4arch9wavefront6targetE0EEEvSK_
                                        ; -- End function
	.set _ZN7rocprim17ROCPRIM_400000_NS6detail17trampoline_kernelINS0_14default_configENS1_36segmented_radix_sort_config_selectorIflEEZNS1_25segmented_radix_sort_implIS3_Lb1EPKfPfPKlPlN2at6native12_GLOBAL__N_18offset_tEEE10hipError_tPvRmT1_PNSt15iterator_traitsISK_E10value_typeET2_T3_PNSL_ISQ_E10value_typeET4_jRbjT5_SW_jjP12ihipStream_tbEUlT_E_NS1_11comp_targetILNS1_3genE2ELNS1_11target_archE906ELNS1_3gpuE6ELNS1_3repE0EEENS1_30default_config_static_selectorELNS0_4arch9wavefront6targetE0EEEvSK_.num_vgpr, 0
	.set _ZN7rocprim17ROCPRIM_400000_NS6detail17trampoline_kernelINS0_14default_configENS1_36segmented_radix_sort_config_selectorIflEEZNS1_25segmented_radix_sort_implIS3_Lb1EPKfPfPKlPlN2at6native12_GLOBAL__N_18offset_tEEE10hipError_tPvRmT1_PNSt15iterator_traitsISK_E10value_typeET2_T3_PNSL_ISQ_E10value_typeET4_jRbjT5_SW_jjP12ihipStream_tbEUlT_E_NS1_11comp_targetILNS1_3genE2ELNS1_11target_archE906ELNS1_3gpuE6ELNS1_3repE0EEENS1_30default_config_static_selectorELNS0_4arch9wavefront6targetE0EEEvSK_.num_agpr, 0
	.set _ZN7rocprim17ROCPRIM_400000_NS6detail17trampoline_kernelINS0_14default_configENS1_36segmented_radix_sort_config_selectorIflEEZNS1_25segmented_radix_sort_implIS3_Lb1EPKfPfPKlPlN2at6native12_GLOBAL__N_18offset_tEEE10hipError_tPvRmT1_PNSt15iterator_traitsISK_E10value_typeET2_T3_PNSL_ISQ_E10value_typeET4_jRbjT5_SW_jjP12ihipStream_tbEUlT_E_NS1_11comp_targetILNS1_3genE2ELNS1_11target_archE906ELNS1_3gpuE6ELNS1_3repE0EEENS1_30default_config_static_selectorELNS0_4arch9wavefront6targetE0EEEvSK_.numbered_sgpr, 0
	.set _ZN7rocprim17ROCPRIM_400000_NS6detail17trampoline_kernelINS0_14default_configENS1_36segmented_radix_sort_config_selectorIflEEZNS1_25segmented_radix_sort_implIS3_Lb1EPKfPfPKlPlN2at6native12_GLOBAL__N_18offset_tEEE10hipError_tPvRmT1_PNSt15iterator_traitsISK_E10value_typeET2_T3_PNSL_ISQ_E10value_typeET4_jRbjT5_SW_jjP12ihipStream_tbEUlT_E_NS1_11comp_targetILNS1_3genE2ELNS1_11target_archE906ELNS1_3gpuE6ELNS1_3repE0EEENS1_30default_config_static_selectorELNS0_4arch9wavefront6targetE0EEEvSK_.num_named_barrier, 0
	.set _ZN7rocprim17ROCPRIM_400000_NS6detail17trampoline_kernelINS0_14default_configENS1_36segmented_radix_sort_config_selectorIflEEZNS1_25segmented_radix_sort_implIS3_Lb1EPKfPfPKlPlN2at6native12_GLOBAL__N_18offset_tEEE10hipError_tPvRmT1_PNSt15iterator_traitsISK_E10value_typeET2_T3_PNSL_ISQ_E10value_typeET4_jRbjT5_SW_jjP12ihipStream_tbEUlT_E_NS1_11comp_targetILNS1_3genE2ELNS1_11target_archE906ELNS1_3gpuE6ELNS1_3repE0EEENS1_30default_config_static_selectorELNS0_4arch9wavefront6targetE0EEEvSK_.private_seg_size, 0
	.set _ZN7rocprim17ROCPRIM_400000_NS6detail17trampoline_kernelINS0_14default_configENS1_36segmented_radix_sort_config_selectorIflEEZNS1_25segmented_radix_sort_implIS3_Lb1EPKfPfPKlPlN2at6native12_GLOBAL__N_18offset_tEEE10hipError_tPvRmT1_PNSt15iterator_traitsISK_E10value_typeET2_T3_PNSL_ISQ_E10value_typeET4_jRbjT5_SW_jjP12ihipStream_tbEUlT_E_NS1_11comp_targetILNS1_3genE2ELNS1_11target_archE906ELNS1_3gpuE6ELNS1_3repE0EEENS1_30default_config_static_selectorELNS0_4arch9wavefront6targetE0EEEvSK_.uses_vcc, 0
	.set _ZN7rocprim17ROCPRIM_400000_NS6detail17trampoline_kernelINS0_14default_configENS1_36segmented_radix_sort_config_selectorIflEEZNS1_25segmented_radix_sort_implIS3_Lb1EPKfPfPKlPlN2at6native12_GLOBAL__N_18offset_tEEE10hipError_tPvRmT1_PNSt15iterator_traitsISK_E10value_typeET2_T3_PNSL_ISQ_E10value_typeET4_jRbjT5_SW_jjP12ihipStream_tbEUlT_E_NS1_11comp_targetILNS1_3genE2ELNS1_11target_archE906ELNS1_3gpuE6ELNS1_3repE0EEENS1_30default_config_static_selectorELNS0_4arch9wavefront6targetE0EEEvSK_.uses_flat_scratch, 0
	.set _ZN7rocprim17ROCPRIM_400000_NS6detail17trampoline_kernelINS0_14default_configENS1_36segmented_radix_sort_config_selectorIflEEZNS1_25segmented_radix_sort_implIS3_Lb1EPKfPfPKlPlN2at6native12_GLOBAL__N_18offset_tEEE10hipError_tPvRmT1_PNSt15iterator_traitsISK_E10value_typeET2_T3_PNSL_ISQ_E10value_typeET4_jRbjT5_SW_jjP12ihipStream_tbEUlT_E_NS1_11comp_targetILNS1_3genE2ELNS1_11target_archE906ELNS1_3gpuE6ELNS1_3repE0EEENS1_30default_config_static_selectorELNS0_4arch9wavefront6targetE0EEEvSK_.has_dyn_sized_stack, 0
	.set _ZN7rocprim17ROCPRIM_400000_NS6detail17trampoline_kernelINS0_14default_configENS1_36segmented_radix_sort_config_selectorIflEEZNS1_25segmented_radix_sort_implIS3_Lb1EPKfPfPKlPlN2at6native12_GLOBAL__N_18offset_tEEE10hipError_tPvRmT1_PNSt15iterator_traitsISK_E10value_typeET2_T3_PNSL_ISQ_E10value_typeET4_jRbjT5_SW_jjP12ihipStream_tbEUlT_E_NS1_11comp_targetILNS1_3genE2ELNS1_11target_archE906ELNS1_3gpuE6ELNS1_3repE0EEENS1_30default_config_static_selectorELNS0_4arch9wavefront6targetE0EEEvSK_.has_recursion, 0
	.set _ZN7rocprim17ROCPRIM_400000_NS6detail17trampoline_kernelINS0_14default_configENS1_36segmented_radix_sort_config_selectorIflEEZNS1_25segmented_radix_sort_implIS3_Lb1EPKfPfPKlPlN2at6native12_GLOBAL__N_18offset_tEEE10hipError_tPvRmT1_PNSt15iterator_traitsISK_E10value_typeET2_T3_PNSL_ISQ_E10value_typeET4_jRbjT5_SW_jjP12ihipStream_tbEUlT_E_NS1_11comp_targetILNS1_3genE2ELNS1_11target_archE906ELNS1_3gpuE6ELNS1_3repE0EEENS1_30default_config_static_selectorELNS0_4arch9wavefront6targetE0EEEvSK_.has_indirect_call, 0
	.section	.AMDGPU.csdata,"",@progbits
; Kernel info:
; codeLenInByte = 0
; TotalNumSgprs: 0
; NumVgprs: 0
; ScratchSize: 0
; MemoryBound: 0
; FloatMode: 240
; IeeeMode: 1
; LDSByteSize: 0 bytes/workgroup (compile time only)
; SGPRBlocks: 0
; VGPRBlocks: 0
; NumSGPRsForWavesPerEU: 1
; NumVGPRsForWavesPerEU: 1
; NamedBarCnt: 0
; Occupancy: 16
; WaveLimiterHint : 0
; COMPUTE_PGM_RSRC2:SCRATCH_EN: 0
; COMPUTE_PGM_RSRC2:USER_SGPR: 2
; COMPUTE_PGM_RSRC2:TRAP_HANDLER: 0
; COMPUTE_PGM_RSRC2:TGID_X_EN: 1
; COMPUTE_PGM_RSRC2:TGID_Y_EN: 0
; COMPUTE_PGM_RSRC2:TGID_Z_EN: 0
; COMPUTE_PGM_RSRC2:TIDIG_COMP_CNT: 0
	.section	.text._ZN7rocprim17ROCPRIM_400000_NS6detail17trampoline_kernelINS0_14default_configENS1_36segmented_radix_sort_config_selectorIflEEZNS1_25segmented_radix_sort_implIS3_Lb1EPKfPfPKlPlN2at6native12_GLOBAL__N_18offset_tEEE10hipError_tPvRmT1_PNSt15iterator_traitsISK_E10value_typeET2_T3_PNSL_ISQ_E10value_typeET4_jRbjT5_SW_jjP12ihipStream_tbEUlT_E_NS1_11comp_targetILNS1_3genE10ELNS1_11target_archE1201ELNS1_3gpuE5ELNS1_3repE0EEENS1_30default_config_static_selectorELNS0_4arch9wavefront6targetE0EEEvSK_,"axG",@progbits,_ZN7rocprim17ROCPRIM_400000_NS6detail17trampoline_kernelINS0_14default_configENS1_36segmented_radix_sort_config_selectorIflEEZNS1_25segmented_radix_sort_implIS3_Lb1EPKfPfPKlPlN2at6native12_GLOBAL__N_18offset_tEEE10hipError_tPvRmT1_PNSt15iterator_traitsISK_E10value_typeET2_T3_PNSL_ISQ_E10value_typeET4_jRbjT5_SW_jjP12ihipStream_tbEUlT_E_NS1_11comp_targetILNS1_3genE10ELNS1_11target_archE1201ELNS1_3gpuE5ELNS1_3repE0EEENS1_30default_config_static_selectorELNS0_4arch9wavefront6targetE0EEEvSK_,comdat
	.globl	_ZN7rocprim17ROCPRIM_400000_NS6detail17trampoline_kernelINS0_14default_configENS1_36segmented_radix_sort_config_selectorIflEEZNS1_25segmented_radix_sort_implIS3_Lb1EPKfPfPKlPlN2at6native12_GLOBAL__N_18offset_tEEE10hipError_tPvRmT1_PNSt15iterator_traitsISK_E10value_typeET2_T3_PNSL_ISQ_E10value_typeET4_jRbjT5_SW_jjP12ihipStream_tbEUlT_E_NS1_11comp_targetILNS1_3genE10ELNS1_11target_archE1201ELNS1_3gpuE5ELNS1_3repE0EEENS1_30default_config_static_selectorELNS0_4arch9wavefront6targetE0EEEvSK_ ; -- Begin function _ZN7rocprim17ROCPRIM_400000_NS6detail17trampoline_kernelINS0_14default_configENS1_36segmented_radix_sort_config_selectorIflEEZNS1_25segmented_radix_sort_implIS3_Lb1EPKfPfPKlPlN2at6native12_GLOBAL__N_18offset_tEEE10hipError_tPvRmT1_PNSt15iterator_traitsISK_E10value_typeET2_T3_PNSL_ISQ_E10value_typeET4_jRbjT5_SW_jjP12ihipStream_tbEUlT_E_NS1_11comp_targetILNS1_3genE10ELNS1_11target_archE1201ELNS1_3gpuE5ELNS1_3repE0EEENS1_30default_config_static_selectorELNS0_4arch9wavefront6targetE0EEEvSK_
	.p2align	8
	.type	_ZN7rocprim17ROCPRIM_400000_NS6detail17trampoline_kernelINS0_14default_configENS1_36segmented_radix_sort_config_selectorIflEEZNS1_25segmented_radix_sort_implIS3_Lb1EPKfPfPKlPlN2at6native12_GLOBAL__N_18offset_tEEE10hipError_tPvRmT1_PNSt15iterator_traitsISK_E10value_typeET2_T3_PNSL_ISQ_E10value_typeET4_jRbjT5_SW_jjP12ihipStream_tbEUlT_E_NS1_11comp_targetILNS1_3genE10ELNS1_11target_archE1201ELNS1_3gpuE5ELNS1_3repE0EEENS1_30default_config_static_selectorELNS0_4arch9wavefront6targetE0EEEvSK_,@function
_ZN7rocprim17ROCPRIM_400000_NS6detail17trampoline_kernelINS0_14default_configENS1_36segmented_radix_sort_config_selectorIflEEZNS1_25segmented_radix_sort_implIS3_Lb1EPKfPfPKlPlN2at6native12_GLOBAL__N_18offset_tEEE10hipError_tPvRmT1_PNSt15iterator_traitsISK_E10value_typeET2_T3_PNSL_ISQ_E10value_typeET4_jRbjT5_SW_jjP12ihipStream_tbEUlT_E_NS1_11comp_targetILNS1_3genE10ELNS1_11target_archE1201ELNS1_3gpuE5ELNS1_3repE0EEENS1_30default_config_static_selectorELNS0_4arch9wavefront6targetE0EEEvSK_: ; @_ZN7rocprim17ROCPRIM_400000_NS6detail17trampoline_kernelINS0_14default_configENS1_36segmented_radix_sort_config_selectorIflEEZNS1_25segmented_radix_sort_implIS3_Lb1EPKfPfPKlPlN2at6native12_GLOBAL__N_18offset_tEEE10hipError_tPvRmT1_PNSt15iterator_traitsISK_E10value_typeET2_T3_PNSL_ISQ_E10value_typeET4_jRbjT5_SW_jjP12ihipStream_tbEUlT_E_NS1_11comp_targetILNS1_3genE10ELNS1_11target_archE1201ELNS1_3gpuE5ELNS1_3repE0EEENS1_30default_config_static_selectorELNS0_4arch9wavefront6targetE0EEEvSK_
; %bb.0:
	.section	.rodata,"a",@progbits
	.p2align	6, 0x0
	.amdhsa_kernel _ZN7rocprim17ROCPRIM_400000_NS6detail17trampoline_kernelINS0_14default_configENS1_36segmented_radix_sort_config_selectorIflEEZNS1_25segmented_radix_sort_implIS3_Lb1EPKfPfPKlPlN2at6native12_GLOBAL__N_18offset_tEEE10hipError_tPvRmT1_PNSt15iterator_traitsISK_E10value_typeET2_T3_PNSL_ISQ_E10value_typeET4_jRbjT5_SW_jjP12ihipStream_tbEUlT_E_NS1_11comp_targetILNS1_3genE10ELNS1_11target_archE1201ELNS1_3gpuE5ELNS1_3repE0EEENS1_30default_config_static_selectorELNS0_4arch9wavefront6targetE0EEEvSK_
		.amdhsa_group_segment_fixed_size 0
		.amdhsa_private_segment_fixed_size 0
		.amdhsa_kernarg_size 96
		.amdhsa_user_sgpr_count 2
		.amdhsa_user_sgpr_dispatch_ptr 0
		.amdhsa_user_sgpr_queue_ptr 0
		.amdhsa_user_sgpr_kernarg_segment_ptr 1
		.amdhsa_user_sgpr_dispatch_id 0
		.amdhsa_user_sgpr_kernarg_preload_length 0
		.amdhsa_user_sgpr_kernarg_preload_offset 0
		.amdhsa_user_sgpr_private_segment_size 0
		.amdhsa_wavefront_size32 1
		.amdhsa_uses_dynamic_stack 0
		.amdhsa_enable_private_segment 0
		.amdhsa_system_sgpr_workgroup_id_x 1
		.amdhsa_system_sgpr_workgroup_id_y 0
		.amdhsa_system_sgpr_workgroup_id_z 0
		.amdhsa_system_sgpr_workgroup_info 0
		.amdhsa_system_vgpr_workitem_id 0
		.amdhsa_next_free_vgpr 1
		.amdhsa_next_free_sgpr 1
		.amdhsa_named_barrier_count 0
		.amdhsa_reserve_vcc 0
		.amdhsa_float_round_mode_32 0
		.amdhsa_float_round_mode_16_64 0
		.amdhsa_float_denorm_mode_32 3
		.amdhsa_float_denorm_mode_16_64 3
		.amdhsa_fp16_overflow 0
		.amdhsa_memory_ordered 1
		.amdhsa_forward_progress 1
		.amdhsa_inst_pref_size 0
		.amdhsa_round_robin_scheduling 0
		.amdhsa_exception_fp_ieee_invalid_op 0
		.amdhsa_exception_fp_denorm_src 0
		.amdhsa_exception_fp_ieee_div_zero 0
		.amdhsa_exception_fp_ieee_overflow 0
		.amdhsa_exception_fp_ieee_underflow 0
		.amdhsa_exception_fp_ieee_inexact 0
		.amdhsa_exception_int_div_zero 0
	.end_amdhsa_kernel
	.section	.text._ZN7rocprim17ROCPRIM_400000_NS6detail17trampoline_kernelINS0_14default_configENS1_36segmented_radix_sort_config_selectorIflEEZNS1_25segmented_radix_sort_implIS3_Lb1EPKfPfPKlPlN2at6native12_GLOBAL__N_18offset_tEEE10hipError_tPvRmT1_PNSt15iterator_traitsISK_E10value_typeET2_T3_PNSL_ISQ_E10value_typeET4_jRbjT5_SW_jjP12ihipStream_tbEUlT_E_NS1_11comp_targetILNS1_3genE10ELNS1_11target_archE1201ELNS1_3gpuE5ELNS1_3repE0EEENS1_30default_config_static_selectorELNS0_4arch9wavefront6targetE0EEEvSK_,"axG",@progbits,_ZN7rocprim17ROCPRIM_400000_NS6detail17trampoline_kernelINS0_14default_configENS1_36segmented_radix_sort_config_selectorIflEEZNS1_25segmented_radix_sort_implIS3_Lb1EPKfPfPKlPlN2at6native12_GLOBAL__N_18offset_tEEE10hipError_tPvRmT1_PNSt15iterator_traitsISK_E10value_typeET2_T3_PNSL_ISQ_E10value_typeET4_jRbjT5_SW_jjP12ihipStream_tbEUlT_E_NS1_11comp_targetILNS1_3genE10ELNS1_11target_archE1201ELNS1_3gpuE5ELNS1_3repE0EEENS1_30default_config_static_selectorELNS0_4arch9wavefront6targetE0EEEvSK_,comdat
.Lfunc_end1325:
	.size	_ZN7rocprim17ROCPRIM_400000_NS6detail17trampoline_kernelINS0_14default_configENS1_36segmented_radix_sort_config_selectorIflEEZNS1_25segmented_radix_sort_implIS3_Lb1EPKfPfPKlPlN2at6native12_GLOBAL__N_18offset_tEEE10hipError_tPvRmT1_PNSt15iterator_traitsISK_E10value_typeET2_T3_PNSL_ISQ_E10value_typeET4_jRbjT5_SW_jjP12ihipStream_tbEUlT_E_NS1_11comp_targetILNS1_3genE10ELNS1_11target_archE1201ELNS1_3gpuE5ELNS1_3repE0EEENS1_30default_config_static_selectorELNS0_4arch9wavefront6targetE0EEEvSK_, .Lfunc_end1325-_ZN7rocprim17ROCPRIM_400000_NS6detail17trampoline_kernelINS0_14default_configENS1_36segmented_radix_sort_config_selectorIflEEZNS1_25segmented_radix_sort_implIS3_Lb1EPKfPfPKlPlN2at6native12_GLOBAL__N_18offset_tEEE10hipError_tPvRmT1_PNSt15iterator_traitsISK_E10value_typeET2_T3_PNSL_ISQ_E10value_typeET4_jRbjT5_SW_jjP12ihipStream_tbEUlT_E_NS1_11comp_targetILNS1_3genE10ELNS1_11target_archE1201ELNS1_3gpuE5ELNS1_3repE0EEENS1_30default_config_static_selectorELNS0_4arch9wavefront6targetE0EEEvSK_
                                        ; -- End function
	.set _ZN7rocprim17ROCPRIM_400000_NS6detail17trampoline_kernelINS0_14default_configENS1_36segmented_radix_sort_config_selectorIflEEZNS1_25segmented_radix_sort_implIS3_Lb1EPKfPfPKlPlN2at6native12_GLOBAL__N_18offset_tEEE10hipError_tPvRmT1_PNSt15iterator_traitsISK_E10value_typeET2_T3_PNSL_ISQ_E10value_typeET4_jRbjT5_SW_jjP12ihipStream_tbEUlT_E_NS1_11comp_targetILNS1_3genE10ELNS1_11target_archE1201ELNS1_3gpuE5ELNS1_3repE0EEENS1_30default_config_static_selectorELNS0_4arch9wavefront6targetE0EEEvSK_.num_vgpr, 0
	.set _ZN7rocprim17ROCPRIM_400000_NS6detail17trampoline_kernelINS0_14default_configENS1_36segmented_radix_sort_config_selectorIflEEZNS1_25segmented_radix_sort_implIS3_Lb1EPKfPfPKlPlN2at6native12_GLOBAL__N_18offset_tEEE10hipError_tPvRmT1_PNSt15iterator_traitsISK_E10value_typeET2_T3_PNSL_ISQ_E10value_typeET4_jRbjT5_SW_jjP12ihipStream_tbEUlT_E_NS1_11comp_targetILNS1_3genE10ELNS1_11target_archE1201ELNS1_3gpuE5ELNS1_3repE0EEENS1_30default_config_static_selectorELNS0_4arch9wavefront6targetE0EEEvSK_.num_agpr, 0
	.set _ZN7rocprim17ROCPRIM_400000_NS6detail17trampoline_kernelINS0_14default_configENS1_36segmented_radix_sort_config_selectorIflEEZNS1_25segmented_radix_sort_implIS3_Lb1EPKfPfPKlPlN2at6native12_GLOBAL__N_18offset_tEEE10hipError_tPvRmT1_PNSt15iterator_traitsISK_E10value_typeET2_T3_PNSL_ISQ_E10value_typeET4_jRbjT5_SW_jjP12ihipStream_tbEUlT_E_NS1_11comp_targetILNS1_3genE10ELNS1_11target_archE1201ELNS1_3gpuE5ELNS1_3repE0EEENS1_30default_config_static_selectorELNS0_4arch9wavefront6targetE0EEEvSK_.numbered_sgpr, 0
	.set _ZN7rocprim17ROCPRIM_400000_NS6detail17trampoline_kernelINS0_14default_configENS1_36segmented_radix_sort_config_selectorIflEEZNS1_25segmented_radix_sort_implIS3_Lb1EPKfPfPKlPlN2at6native12_GLOBAL__N_18offset_tEEE10hipError_tPvRmT1_PNSt15iterator_traitsISK_E10value_typeET2_T3_PNSL_ISQ_E10value_typeET4_jRbjT5_SW_jjP12ihipStream_tbEUlT_E_NS1_11comp_targetILNS1_3genE10ELNS1_11target_archE1201ELNS1_3gpuE5ELNS1_3repE0EEENS1_30default_config_static_selectorELNS0_4arch9wavefront6targetE0EEEvSK_.num_named_barrier, 0
	.set _ZN7rocprim17ROCPRIM_400000_NS6detail17trampoline_kernelINS0_14default_configENS1_36segmented_radix_sort_config_selectorIflEEZNS1_25segmented_radix_sort_implIS3_Lb1EPKfPfPKlPlN2at6native12_GLOBAL__N_18offset_tEEE10hipError_tPvRmT1_PNSt15iterator_traitsISK_E10value_typeET2_T3_PNSL_ISQ_E10value_typeET4_jRbjT5_SW_jjP12ihipStream_tbEUlT_E_NS1_11comp_targetILNS1_3genE10ELNS1_11target_archE1201ELNS1_3gpuE5ELNS1_3repE0EEENS1_30default_config_static_selectorELNS0_4arch9wavefront6targetE0EEEvSK_.private_seg_size, 0
	.set _ZN7rocprim17ROCPRIM_400000_NS6detail17trampoline_kernelINS0_14default_configENS1_36segmented_radix_sort_config_selectorIflEEZNS1_25segmented_radix_sort_implIS3_Lb1EPKfPfPKlPlN2at6native12_GLOBAL__N_18offset_tEEE10hipError_tPvRmT1_PNSt15iterator_traitsISK_E10value_typeET2_T3_PNSL_ISQ_E10value_typeET4_jRbjT5_SW_jjP12ihipStream_tbEUlT_E_NS1_11comp_targetILNS1_3genE10ELNS1_11target_archE1201ELNS1_3gpuE5ELNS1_3repE0EEENS1_30default_config_static_selectorELNS0_4arch9wavefront6targetE0EEEvSK_.uses_vcc, 0
	.set _ZN7rocprim17ROCPRIM_400000_NS6detail17trampoline_kernelINS0_14default_configENS1_36segmented_radix_sort_config_selectorIflEEZNS1_25segmented_radix_sort_implIS3_Lb1EPKfPfPKlPlN2at6native12_GLOBAL__N_18offset_tEEE10hipError_tPvRmT1_PNSt15iterator_traitsISK_E10value_typeET2_T3_PNSL_ISQ_E10value_typeET4_jRbjT5_SW_jjP12ihipStream_tbEUlT_E_NS1_11comp_targetILNS1_3genE10ELNS1_11target_archE1201ELNS1_3gpuE5ELNS1_3repE0EEENS1_30default_config_static_selectorELNS0_4arch9wavefront6targetE0EEEvSK_.uses_flat_scratch, 0
	.set _ZN7rocprim17ROCPRIM_400000_NS6detail17trampoline_kernelINS0_14default_configENS1_36segmented_radix_sort_config_selectorIflEEZNS1_25segmented_radix_sort_implIS3_Lb1EPKfPfPKlPlN2at6native12_GLOBAL__N_18offset_tEEE10hipError_tPvRmT1_PNSt15iterator_traitsISK_E10value_typeET2_T3_PNSL_ISQ_E10value_typeET4_jRbjT5_SW_jjP12ihipStream_tbEUlT_E_NS1_11comp_targetILNS1_3genE10ELNS1_11target_archE1201ELNS1_3gpuE5ELNS1_3repE0EEENS1_30default_config_static_selectorELNS0_4arch9wavefront6targetE0EEEvSK_.has_dyn_sized_stack, 0
	.set _ZN7rocprim17ROCPRIM_400000_NS6detail17trampoline_kernelINS0_14default_configENS1_36segmented_radix_sort_config_selectorIflEEZNS1_25segmented_radix_sort_implIS3_Lb1EPKfPfPKlPlN2at6native12_GLOBAL__N_18offset_tEEE10hipError_tPvRmT1_PNSt15iterator_traitsISK_E10value_typeET2_T3_PNSL_ISQ_E10value_typeET4_jRbjT5_SW_jjP12ihipStream_tbEUlT_E_NS1_11comp_targetILNS1_3genE10ELNS1_11target_archE1201ELNS1_3gpuE5ELNS1_3repE0EEENS1_30default_config_static_selectorELNS0_4arch9wavefront6targetE0EEEvSK_.has_recursion, 0
	.set _ZN7rocprim17ROCPRIM_400000_NS6detail17trampoline_kernelINS0_14default_configENS1_36segmented_radix_sort_config_selectorIflEEZNS1_25segmented_radix_sort_implIS3_Lb1EPKfPfPKlPlN2at6native12_GLOBAL__N_18offset_tEEE10hipError_tPvRmT1_PNSt15iterator_traitsISK_E10value_typeET2_T3_PNSL_ISQ_E10value_typeET4_jRbjT5_SW_jjP12ihipStream_tbEUlT_E_NS1_11comp_targetILNS1_3genE10ELNS1_11target_archE1201ELNS1_3gpuE5ELNS1_3repE0EEENS1_30default_config_static_selectorELNS0_4arch9wavefront6targetE0EEEvSK_.has_indirect_call, 0
	.section	.AMDGPU.csdata,"",@progbits
; Kernel info:
; codeLenInByte = 0
; TotalNumSgprs: 0
; NumVgprs: 0
; ScratchSize: 0
; MemoryBound: 0
; FloatMode: 240
; IeeeMode: 1
; LDSByteSize: 0 bytes/workgroup (compile time only)
; SGPRBlocks: 0
; VGPRBlocks: 0
; NumSGPRsForWavesPerEU: 1
; NumVGPRsForWavesPerEU: 1
; NamedBarCnt: 0
; Occupancy: 16
; WaveLimiterHint : 0
; COMPUTE_PGM_RSRC2:SCRATCH_EN: 0
; COMPUTE_PGM_RSRC2:USER_SGPR: 2
; COMPUTE_PGM_RSRC2:TRAP_HANDLER: 0
; COMPUTE_PGM_RSRC2:TGID_X_EN: 1
; COMPUTE_PGM_RSRC2:TGID_Y_EN: 0
; COMPUTE_PGM_RSRC2:TGID_Z_EN: 0
; COMPUTE_PGM_RSRC2:TIDIG_COMP_CNT: 0
	.section	.text._ZN7rocprim17ROCPRIM_400000_NS6detail17trampoline_kernelINS0_14default_configENS1_36segmented_radix_sort_config_selectorIflEEZNS1_25segmented_radix_sort_implIS3_Lb1EPKfPfPKlPlN2at6native12_GLOBAL__N_18offset_tEEE10hipError_tPvRmT1_PNSt15iterator_traitsISK_E10value_typeET2_T3_PNSL_ISQ_E10value_typeET4_jRbjT5_SW_jjP12ihipStream_tbEUlT_E_NS1_11comp_targetILNS1_3genE10ELNS1_11target_archE1200ELNS1_3gpuE4ELNS1_3repE0EEENS1_30default_config_static_selectorELNS0_4arch9wavefront6targetE0EEEvSK_,"axG",@progbits,_ZN7rocprim17ROCPRIM_400000_NS6detail17trampoline_kernelINS0_14default_configENS1_36segmented_radix_sort_config_selectorIflEEZNS1_25segmented_radix_sort_implIS3_Lb1EPKfPfPKlPlN2at6native12_GLOBAL__N_18offset_tEEE10hipError_tPvRmT1_PNSt15iterator_traitsISK_E10value_typeET2_T3_PNSL_ISQ_E10value_typeET4_jRbjT5_SW_jjP12ihipStream_tbEUlT_E_NS1_11comp_targetILNS1_3genE10ELNS1_11target_archE1200ELNS1_3gpuE4ELNS1_3repE0EEENS1_30default_config_static_selectorELNS0_4arch9wavefront6targetE0EEEvSK_,comdat
	.globl	_ZN7rocprim17ROCPRIM_400000_NS6detail17trampoline_kernelINS0_14default_configENS1_36segmented_radix_sort_config_selectorIflEEZNS1_25segmented_radix_sort_implIS3_Lb1EPKfPfPKlPlN2at6native12_GLOBAL__N_18offset_tEEE10hipError_tPvRmT1_PNSt15iterator_traitsISK_E10value_typeET2_T3_PNSL_ISQ_E10value_typeET4_jRbjT5_SW_jjP12ihipStream_tbEUlT_E_NS1_11comp_targetILNS1_3genE10ELNS1_11target_archE1200ELNS1_3gpuE4ELNS1_3repE0EEENS1_30default_config_static_selectorELNS0_4arch9wavefront6targetE0EEEvSK_ ; -- Begin function _ZN7rocprim17ROCPRIM_400000_NS6detail17trampoline_kernelINS0_14default_configENS1_36segmented_radix_sort_config_selectorIflEEZNS1_25segmented_radix_sort_implIS3_Lb1EPKfPfPKlPlN2at6native12_GLOBAL__N_18offset_tEEE10hipError_tPvRmT1_PNSt15iterator_traitsISK_E10value_typeET2_T3_PNSL_ISQ_E10value_typeET4_jRbjT5_SW_jjP12ihipStream_tbEUlT_E_NS1_11comp_targetILNS1_3genE10ELNS1_11target_archE1200ELNS1_3gpuE4ELNS1_3repE0EEENS1_30default_config_static_selectorELNS0_4arch9wavefront6targetE0EEEvSK_
	.p2align	8
	.type	_ZN7rocprim17ROCPRIM_400000_NS6detail17trampoline_kernelINS0_14default_configENS1_36segmented_radix_sort_config_selectorIflEEZNS1_25segmented_radix_sort_implIS3_Lb1EPKfPfPKlPlN2at6native12_GLOBAL__N_18offset_tEEE10hipError_tPvRmT1_PNSt15iterator_traitsISK_E10value_typeET2_T3_PNSL_ISQ_E10value_typeET4_jRbjT5_SW_jjP12ihipStream_tbEUlT_E_NS1_11comp_targetILNS1_3genE10ELNS1_11target_archE1200ELNS1_3gpuE4ELNS1_3repE0EEENS1_30default_config_static_selectorELNS0_4arch9wavefront6targetE0EEEvSK_,@function
_ZN7rocprim17ROCPRIM_400000_NS6detail17trampoline_kernelINS0_14default_configENS1_36segmented_radix_sort_config_selectorIflEEZNS1_25segmented_radix_sort_implIS3_Lb1EPKfPfPKlPlN2at6native12_GLOBAL__N_18offset_tEEE10hipError_tPvRmT1_PNSt15iterator_traitsISK_E10value_typeET2_T3_PNSL_ISQ_E10value_typeET4_jRbjT5_SW_jjP12ihipStream_tbEUlT_E_NS1_11comp_targetILNS1_3genE10ELNS1_11target_archE1200ELNS1_3gpuE4ELNS1_3repE0EEENS1_30default_config_static_selectorELNS0_4arch9wavefront6targetE0EEEvSK_: ; @_ZN7rocprim17ROCPRIM_400000_NS6detail17trampoline_kernelINS0_14default_configENS1_36segmented_radix_sort_config_selectorIflEEZNS1_25segmented_radix_sort_implIS3_Lb1EPKfPfPKlPlN2at6native12_GLOBAL__N_18offset_tEEE10hipError_tPvRmT1_PNSt15iterator_traitsISK_E10value_typeET2_T3_PNSL_ISQ_E10value_typeET4_jRbjT5_SW_jjP12ihipStream_tbEUlT_E_NS1_11comp_targetILNS1_3genE10ELNS1_11target_archE1200ELNS1_3gpuE4ELNS1_3repE0EEENS1_30default_config_static_selectorELNS0_4arch9wavefront6targetE0EEEvSK_
; %bb.0:
	.section	.rodata,"a",@progbits
	.p2align	6, 0x0
	.amdhsa_kernel _ZN7rocprim17ROCPRIM_400000_NS6detail17trampoline_kernelINS0_14default_configENS1_36segmented_radix_sort_config_selectorIflEEZNS1_25segmented_radix_sort_implIS3_Lb1EPKfPfPKlPlN2at6native12_GLOBAL__N_18offset_tEEE10hipError_tPvRmT1_PNSt15iterator_traitsISK_E10value_typeET2_T3_PNSL_ISQ_E10value_typeET4_jRbjT5_SW_jjP12ihipStream_tbEUlT_E_NS1_11comp_targetILNS1_3genE10ELNS1_11target_archE1200ELNS1_3gpuE4ELNS1_3repE0EEENS1_30default_config_static_selectorELNS0_4arch9wavefront6targetE0EEEvSK_
		.amdhsa_group_segment_fixed_size 0
		.amdhsa_private_segment_fixed_size 0
		.amdhsa_kernarg_size 96
		.amdhsa_user_sgpr_count 2
		.amdhsa_user_sgpr_dispatch_ptr 0
		.amdhsa_user_sgpr_queue_ptr 0
		.amdhsa_user_sgpr_kernarg_segment_ptr 1
		.amdhsa_user_sgpr_dispatch_id 0
		.amdhsa_user_sgpr_kernarg_preload_length 0
		.amdhsa_user_sgpr_kernarg_preload_offset 0
		.amdhsa_user_sgpr_private_segment_size 0
		.amdhsa_wavefront_size32 1
		.amdhsa_uses_dynamic_stack 0
		.amdhsa_enable_private_segment 0
		.amdhsa_system_sgpr_workgroup_id_x 1
		.amdhsa_system_sgpr_workgroup_id_y 0
		.amdhsa_system_sgpr_workgroup_id_z 0
		.amdhsa_system_sgpr_workgroup_info 0
		.amdhsa_system_vgpr_workitem_id 0
		.amdhsa_next_free_vgpr 1
		.amdhsa_next_free_sgpr 1
		.amdhsa_named_barrier_count 0
		.amdhsa_reserve_vcc 0
		.amdhsa_float_round_mode_32 0
		.amdhsa_float_round_mode_16_64 0
		.amdhsa_float_denorm_mode_32 3
		.amdhsa_float_denorm_mode_16_64 3
		.amdhsa_fp16_overflow 0
		.amdhsa_memory_ordered 1
		.amdhsa_forward_progress 1
		.amdhsa_inst_pref_size 0
		.amdhsa_round_robin_scheduling 0
		.amdhsa_exception_fp_ieee_invalid_op 0
		.amdhsa_exception_fp_denorm_src 0
		.amdhsa_exception_fp_ieee_div_zero 0
		.amdhsa_exception_fp_ieee_overflow 0
		.amdhsa_exception_fp_ieee_underflow 0
		.amdhsa_exception_fp_ieee_inexact 0
		.amdhsa_exception_int_div_zero 0
	.end_amdhsa_kernel
	.section	.text._ZN7rocprim17ROCPRIM_400000_NS6detail17trampoline_kernelINS0_14default_configENS1_36segmented_radix_sort_config_selectorIflEEZNS1_25segmented_radix_sort_implIS3_Lb1EPKfPfPKlPlN2at6native12_GLOBAL__N_18offset_tEEE10hipError_tPvRmT1_PNSt15iterator_traitsISK_E10value_typeET2_T3_PNSL_ISQ_E10value_typeET4_jRbjT5_SW_jjP12ihipStream_tbEUlT_E_NS1_11comp_targetILNS1_3genE10ELNS1_11target_archE1200ELNS1_3gpuE4ELNS1_3repE0EEENS1_30default_config_static_selectorELNS0_4arch9wavefront6targetE0EEEvSK_,"axG",@progbits,_ZN7rocprim17ROCPRIM_400000_NS6detail17trampoline_kernelINS0_14default_configENS1_36segmented_radix_sort_config_selectorIflEEZNS1_25segmented_radix_sort_implIS3_Lb1EPKfPfPKlPlN2at6native12_GLOBAL__N_18offset_tEEE10hipError_tPvRmT1_PNSt15iterator_traitsISK_E10value_typeET2_T3_PNSL_ISQ_E10value_typeET4_jRbjT5_SW_jjP12ihipStream_tbEUlT_E_NS1_11comp_targetILNS1_3genE10ELNS1_11target_archE1200ELNS1_3gpuE4ELNS1_3repE0EEENS1_30default_config_static_selectorELNS0_4arch9wavefront6targetE0EEEvSK_,comdat
.Lfunc_end1326:
	.size	_ZN7rocprim17ROCPRIM_400000_NS6detail17trampoline_kernelINS0_14default_configENS1_36segmented_radix_sort_config_selectorIflEEZNS1_25segmented_radix_sort_implIS3_Lb1EPKfPfPKlPlN2at6native12_GLOBAL__N_18offset_tEEE10hipError_tPvRmT1_PNSt15iterator_traitsISK_E10value_typeET2_T3_PNSL_ISQ_E10value_typeET4_jRbjT5_SW_jjP12ihipStream_tbEUlT_E_NS1_11comp_targetILNS1_3genE10ELNS1_11target_archE1200ELNS1_3gpuE4ELNS1_3repE0EEENS1_30default_config_static_selectorELNS0_4arch9wavefront6targetE0EEEvSK_, .Lfunc_end1326-_ZN7rocprim17ROCPRIM_400000_NS6detail17trampoline_kernelINS0_14default_configENS1_36segmented_radix_sort_config_selectorIflEEZNS1_25segmented_radix_sort_implIS3_Lb1EPKfPfPKlPlN2at6native12_GLOBAL__N_18offset_tEEE10hipError_tPvRmT1_PNSt15iterator_traitsISK_E10value_typeET2_T3_PNSL_ISQ_E10value_typeET4_jRbjT5_SW_jjP12ihipStream_tbEUlT_E_NS1_11comp_targetILNS1_3genE10ELNS1_11target_archE1200ELNS1_3gpuE4ELNS1_3repE0EEENS1_30default_config_static_selectorELNS0_4arch9wavefront6targetE0EEEvSK_
                                        ; -- End function
	.set _ZN7rocprim17ROCPRIM_400000_NS6detail17trampoline_kernelINS0_14default_configENS1_36segmented_radix_sort_config_selectorIflEEZNS1_25segmented_radix_sort_implIS3_Lb1EPKfPfPKlPlN2at6native12_GLOBAL__N_18offset_tEEE10hipError_tPvRmT1_PNSt15iterator_traitsISK_E10value_typeET2_T3_PNSL_ISQ_E10value_typeET4_jRbjT5_SW_jjP12ihipStream_tbEUlT_E_NS1_11comp_targetILNS1_3genE10ELNS1_11target_archE1200ELNS1_3gpuE4ELNS1_3repE0EEENS1_30default_config_static_selectorELNS0_4arch9wavefront6targetE0EEEvSK_.num_vgpr, 0
	.set _ZN7rocprim17ROCPRIM_400000_NS6detail17trampoline_kernelINS0_14default_configENS1_36segmented_radix_sort_config_selectorIflEEZNS1_25segmented_radix_sort_implIS3_Lb1EPKfPfPKlPlN2at6native12_GLOBAL__N_18offset_tEEE10hipError_tPvRmT1_PNSt15iterator_traitsISK_E10value_typeET2_T3_PNSL_ISQ_E10value_typeET4_jRbjT5_SW_jjP12ihipStream_tbEUlT_E_NS1_11comp_targetILNS1_3genE10ELNS1_11target_archE1200ELNS1_3gpuE4ELNS1_3repE0EEENS1_30default_config_static_selectorELNS0_4arch9wavefront6targetE0EEEvSK_.num_agpr, 0
	.set _ZN7rocprim17ROCPRIM_400000_NS6detail17trampoline_kernelINS0_14default_configENS1_36segmented_radix_sort_config_selectorIflEEZNS1_25segmented_radix_sort_implIS3_Lb1EPKfPfPKlPlN2at6native12_GLOBAL__N_18offset_tEEE10hipError_tPvRmT1_PNSt15iterator_traitsISK_E10value_typeET2_T3_PNSL_ISQ_E10value_typeET4_jRbjT5_SW_jjP12ihipStream_tbEUlT_E_NS1_11comp_targetILNS1_3genE10ELNS1_11target_archE1200ELNS1_3gpuE4ELNS1_3repE0EEENS1_30default_config_static_selectorELNS0_4arch9wavefront6targetE0EEEvSK_.numbered_sgpr, 0
	.set _ZN7rocprim17ROCPRIM_400000_NS6detail17trampoline_kernelINS0_14default_configENS1_36segmented_radix_sort_config_selectorIflEEZNS1_25segmented_radix_sort_implIS3_Lb1EPKfPfPKlPlN2at6native12_GLOBAL__N_18offset_tEEE10hipError_tPvRmT1_PNSt15iterator_traitsISK_E10value_typeET2_T3_PNSL_ISQ_E10value_typeET4_jRbjT5_SW_jjP12ihipStream_tbEUlT_E_NS1_11comp_targetILNS1_3genE10ELNS1_11target_archE1200ELNS1_3gpuE4ELNS1_3repE0EEENS1_30default_config_static_selectorELNS0_4arch9wavefront6targetE0EEEvSK_.num_named_barrier, 0
	.set _ZN7rocprim17ROCPRIM_400000_NS6detail17trampoline_kernelINS0_14default_configENS1_36segmented_radix_sort_config_selectorIflEEZNS1_25segmented_radix_sort_implIS3_Lb1EPKfPfPKlPlN2at6native12_GLOBAL__N_18offset_tEEE10hipError_tPvRmT1_PNSt15iterator_traitsISK_E10value_typeET2_T3_PNSL_ISQ_E10value_typeET4_jRbjT5_SW_jjP12ihipStream_tbEUlT_E_NS1_11comp_targetILNS1_3genE10ELNS1_11target_archE1200ELNS1_3gpuE4ELNS1_3repE0EEENS1_30default_config_static_selectorELNS0_4arch9wavefront6targetE0EEEvSK_.private_seg_size, 0
	.set _ZN7rocprim17ROCPRIM_400000_NS6detail17trampoline_kernelINS0_14default_configENS1_36segmented_radix_sort_config_selectorIflEEZNS1_25segmented_radix_sort_implIS3_Lb1EPKfPfPKlPlN2at6native12_GLOBAL__N_18offset_tEEE10hipError_tPvRmT1_PNSt15iterator_traitsISK_E10value_typeET2_T3_PNSL_ISQ_E10value_typeET4_jRbjT5_SW_jjP12ihipStream_tbEUlT_E_NS1_11comp_targetILNS1_3genE10ELNS1_11target_archE1200ELNS1_3gpuE4ELNS1_3repE0EEENS1_30default_config_static_selectorELNS0_4arch9wavefront6targetE0EEEvSK_.uses_vcc, 0
	.set _ZN7rocprim17ROCPRIM_400000_NS6detail17trampoline_kernelINS0_14default_configENS1_36segmented_radix_sort_config_selectorIflEEZNS1_25segmented_radix_sort_implIS3_Lb1EPKfPfPKlPlN2at6native12_GLOBAL__N_18offset_tEEE10hipError_tPvRmT1_PNSt15iterator_traitsISK_E10value_typeET2_T3_PNSL_ISQ_E10value_typeET4_jRbjT5_SW_jjP12ihipStream_tbEUlT_E_NS1_11comp_targetILNS1_3genE10ELNS1_11target_archE1200ELNS1_3gpuE4ELNS1_3repE0EEENS1_30default_config_static_selectorELNS0_4arch9wavefront6targetE0EEEvSK_.uses_flat_scratch, 0
	.set _ZN7rocprim17ROCPRIM_400000_NS6detail17trampoline_kernelINS0_14default_configENS1_36segmented_radix_sort_config_selectorIflEEZNS1_25segmented_radix_sort_implIS3_Lb1EPKfPfPKlPlN2at6native12_GLOBAL__N_18offset_tEEE10hipError_tPvRmT1_PNSt15iterator_traitsISK_E10value_typeET2_T3_PNSL_ISQ_E10value_typeET4_jRbjT5_SW_jjP12ihipStream_tbEUlT_E_NS1_11comp_targetILNS1_3genE10ELNS1_11target_archE1200ELNS1_3gpuE4ELNS1_3repE0EEENS1_30default_config_static_selectorELNS0_4arch9wavefront6targetE0EEEvSK_.has_dyn_sized_stack, 0
	.set _ZN7rocprim17ROCPRIM_400000_NS6detail17trampoline_kernelINS0_14default_configENS1_36segmented_radix_sort_config_selectorIflEEZNS1_25segmented_radix_sort_implIS3_Lb1EPKfPfPKlPlN2at6native12_GLOBAL__N_18offset_tEEE10hipError_tPvRmT1_PNSt15iterator_traitsISK_E10value_typeET2_T3_PNSL_ISQ_E10value_typeET4_jRbjT5_SW_jjP12ihipStream_tbEUlT_E_NS1_11comp_targetILNS1_3genE10ELNS1_11target_archE1200ELNS1_3gpuE4ELNS1_3repE0EEENS1_30default_config_static_selectorELNS0_4arch9wavefront6targetE0EEEvSK_.has_recursion, 0
	.set _ZN7rocprim17ROCPRIM_400000_NS6detail17trampoline_kernelINS0_14default_configENS1_36segmented_radix_sort_config_selectorIflEEZNS1_25segmented_radix_sort_implIS3_Lb1EPKfPfPKlPlN2at6native12_GLOBAL__N_18offset_tEEE10hipError_tPvRmT1_PNSt15iterator_traitsISK_E10value_typeET2_T3_PNSL_ISQ_E10value_typeET4_jRbjT5_SW_jjP12ihipStream_tbEUlT_E_NS1_11comp_targetILNS1_3genE10ELNS1_11target_archE1200ELNS1_3gpuE4ELNS1_3repE0EEENS1_30default_config_static_selectorELNS0_4arch9wavefront6targetE0EEEvSK_.has_indirect_call, 0
	.section	.AMDGPU.csdata,"",@progbits
; Kernel info:
; codeLenInByte = 0
; TotalNumSgprs: 0
; NumVgprs: 0
; ScratchSize: 0
; MemoryBound: 0
; FloatMode: 240
; IeeeMode: 1
; LDSByteSize: 0 bytes/workgroup (compile time only)
; SGPRBlocks: 0
; VGPRBlocks: 0
; NumSGPRsForWavesPerEU: 1
; NumVGPRsForWavesPerEU: 1
; NamedBarCnt: 0
; Occupancy: 16
; WaveLimiterHint : 0
; COMPUTE_PGM_RSRC2:SCRATCH_EN: 0
; COMPUTE_PGM_RSRC2:USER_SGPR: 2
; COMPUTE_PGM_RSRC2:TRAP_HANDLER: 0
; COMPUTE_PGM_RSRC2:TGID_X_EN: 1
; COMPUTE_PGM_RSRC2:TGID_Y_EN: 0
; COMPUTE_PGM_RSRC2:TGID_Z_EN: 0
; COMPUTE_PGM_RSRC2:TIDIG_COMP_CNT: 0
	.section	.text._ZN7rocprim17ROCPRIM_400000_NS6detail17trampoline_kernelINS0_14default_configENS1_36segmented_radix_sort_config_selectorIflEEZNS1_25segmented_radix_sort_implIS3_Lb1EPKfPfPKlPlN2at6native12_GLOBAL__N_18offset_tEEE10hipError_tPvRmT1_PNSt15iterator_traitsISK_E10value_typeET2_T3_PNSL_ISQ_E10value_typeET4_jRbjT5_SW_jjP12ihipStream_tbEUlT_E_NS1_11comp_targetILNS1_3genE9ELNS1_11target_archE1100ELNS1_3gpuE3ELNS1_3repE0EEENS1_30default_config_static_selectorELNS0_4arch9wavefront6targetE0EEEvSK_,"axG",@progbits,_ZN7rocprim17ROCPRIM_400000_NS6detail17trampoline_kernelINS0_14default_configENS1_36segmented_radix_sort_config_selectorIflEEZNS1_25segmented_radix_sort_implIS3_Lb1EPKfPfPKlPlN2at6native12_GLOBAL__N_18offset_tEEE10hipError_tPvRmT1_PNSt15iterator_traitsISK_E10value_typeET2_T3_PNSL_ISQ_E10value_typeET4_jRbjT5_SW_jjP12ihipStream_tbEUlT_E_NS1_11comp_targetILNS1_3genE9ELNS1_11target_archE1100ELNS1_3gpuE3ELNS1_3repE0EEENS1_30default_config_static_selectorELNS0_4arch9wavefront6targetE0EEEvSK_,comdat
	.globl	_ZN7rocprim17ROCPRIM_400000_NS6detail17trampoline_kernelINS0_14default_configENS1_36segmented_radix_sort_config_selectorIflEEZNS1_25segmented_radix_sort_implIS3_Lb1EPKfPfPKlPlN2at6native12_GLOBAL__N_18offset_tEEE10hipError_tPvRmT1_PNSt15iterator_traitsISK_E10value_typeET2_T3_PNSL_ISQ_E10value_typeET4_jRbjT5_SW_jjP12ihipStream_tbEUlT_E_NS1_11comp_targetILNS1_3genE9ELNS1_11target_archE1100ELNS1_3gpuE3ELNS1_3repE0EEENS1_30default_config_static_selectorELNS0_4arch9wavefront6targetE0EEEvSK_ ; -- Begin function _ZN7rocprim17ROCPRIM_400000_NS6detail17trampoline_kernelINS0_14default_configENS1_36segmented_radix_sort_config_selectorIflEEZNS1_25segmented_radix_sort_implIS3_Lb1EPKfPfPKlPlN2at6native12_GLOBAL__N_18offset_tEEE10hipError_tPvRmT1_PNSt15iterator_traitsISK_E10value_typeET2_T3_PNSL_ISQ_E10value_typeET4_jRbjT5_SW_jjP12ihipStream_tbEUlT_E_NS1_11comp_targetILNS1_3genE9ELNS1_11target_archE1100ELNS1_3gpuE3ELNS1_3repE0EEENS1_30default_config_static_selectorELNS0_4arch9wavefront6targetE0EEEvSK_
	.p2align	8
	.type	_ZN7rocprim17ROCPRIM_400000_NS6detail17trampoline_kernelINS0_14default_configENS1_36segmented_radix_sort_config_selectorIflEEZNS1_25segmented_radix_sort_implIS3_Lb1EPKfPfPKlPlN2at6native12_GLOBAL__N_18offset_tEEE10hipError_tPvRmT1_PNSt15iterator_traitsISK_E10value_typeET2_T3_PNSL_ISQ_E10value_typeET4_jRbjT5_SW_jjP12ihipStream_tbEUlT_E_NS1_11comp_targetILNS1_3genE9ELNS1_11target_archE1100ELNS1_3gpuE3ELNS1_3repE0EEENS1_30default_config_static_selectorELNS0_4arch9wavefront6targetE0EEEvSK_,@function
_ZN7rocprim17ROCPRIM_400000_NS6detail17trampoline_kernelINS0_14default_configENS1_36segmented_radix_sort_config_selectorIflEEZNS1_25segmented_radix_sort_implIS3_Lb1EPKfPfPKlPlN2at6native12_GLOBAL__N_18offset_tEEE10hipError_tPvRmT1_PNSt15iterator_traitsISK_E10value_typeET2_T3_PNSL_ISQ_E10value_typeET4_jRbjT5_SW_jjP12ihipStream_tbEUlT_E_NS1_11comp_targetILNS1_3genE9ELNS1_11target_archE1100ELNS1_3gpuE3ELNS1_3repE0EEENS1_30default_config_static_selectorELNS0_4arch9wavefront6targetE0EEEvSK_: ; @_ZN7rocprim17ROCPRIM_400000_NS6detail17trampoline_kernelINS0_14default_configENS1_36segmented_radix_sort_config_selectorIflEEZNS1_25segmented_radix_sort_implIS3_Lb1EPKfPfPKlPlN2at6native12_GLOBAL__N_18offset_tEEE10hipError_tPvRmT1_PNSt15iterator_traitsISK_E10value_typeET2_T3_PNSL_ISQ_E10value_typeET4_jRbjT5_SW_jjP12ihipStream_tbEUlT_E_NS1_11comp_targetILNS1_3genE9ELNS1_11target_archE1100ELNS1_3gpuE3ELNS1_3repE0EEENS1_30default_config_static_selectorELNS0_4arch9wavefront6targetE0EEEvSK_
; %bb.0:
	.section	.rodata,"a",@progbits
	.p2align	6, 0x0
	.amdhsa_kernel _ZN7rocprim17ROCPRIM_400000_NS6detail17trampoline_kernelINS0_14default_configENS1_36segmented_radix_sort_config_selectorIflEEZNS1_25segmented_radix_sort_implIS3_Lb1EPKfPfPKlPlN2at6native12_GLOBAL__N_18offset_tEEE10hipError_tPvRmT1_PNSt15iterator_traitsISK_E10value_typeET2_T3_PNSL_ISQ_E10value_typeET4_jRbjT5_SW_jjP12ihipStream_tbEUlT_E_NS1_11comp_targetILNS1_3genE9ELNS1_11target_archE1100ELNS1_3gpuE3ELNS1_3repE0EEENS1_30default_config_static_selectorELNS0_4arch9wavefront6targetE0EEEvSK_
		.amdhsa_group_segment_fixed_size 0
		.amdhsa_private_segment_fixed_size 0
		.amdhsa_kernarg_size 96
		.amdhsa_user_sgpr_count 2
		.amdhsa_user_sgpr_dispatch_ptr 0
		.amdhsa_user_sgpr_queue_ptr 0
		.amdhsa_user_sgpr_kernarg_segment_ptr 1
		.amdhsa_user_sgpr_dispatch_id 0
		.amdhsa_user_sgpr_kernarg_preload_length 0
		.amdhsa_user_sgpr_kernarg_preload_offset 0
		.amdhsa_user_sgpr_private_segment_size 0
		.amdhsa_wavefront_size32 1
		.amdhsa_uses_dynamic_stack 0
		.amdhsa_enable_private_segment 0
		.amdhsa_system_sgpr_workgroup_id_x 1
		.amdhsa_system_sgpr_workgroup_id_y 0
		.amdhsa_system_sgpr_workgroup_id_z 0
		.amdhsa_system_sgpr_workgroup_info 0
		.amdhsa_system_vgpr_workitem_id 0
		.amdhsa_next_free_vgpr 1
		.amdhsa_next_free_sgpr 1
		.amdhsa_named_barrier_count 0
		.amdhsa_reserve_vcc 0
		.amdhsa_float_round_mode_32 0
		.amdhsa_float_round_mode_16_64 0
		.amdhsa_float_denorm_mode_32 3
		.amdhsa_float_denorm_mode_16_64 3
		.amdhsa_fp16_overflow 0
		.amdhsa_memory_ordered 1
		.amdhsa_forward_progress 1
		.amdhsa_inst_pref_size 0
		.amdhsa_round_robin_scheduling 0
		.amdhsa_exception_fp_ieee_invalid_op 0
		.amdhsa_exception_fp_denorm_src 0
		.amdhsa_exception_fp_ieee_div_zero 0
		.amdhsa_exception_fp_ieee_overflow 0
		.amdhsa_exception_fp_ieee_underflow 0
		.amdhsa_exception_fp_ieee_inexact 0
		.amdhsa_exception_int_div_zero 0
	.end_amdhsa_kernel
	.section	.text._ZN7rocprim17ROCPRIM_400000_NS6detail17trampoline_kernelINS0_14default_configENS1_36segmented_radix_sort_config_selectorIflEEZNS1_25segmented_radix_sort_implIS3_Lb1EPKfPfPKlPlN2at6native12_GLOBAL__N_18offset_tEEE10hipError_tPvRmT1_PNSt15iterator_traitsISK_E10value_typeET2_T3_PNSL_ISQ_E10value_typeET4_jRbjT5_SW_jjP12ihipStream_tbEUlT_E_NS1_11comp_targetILNS1_3genE9ELNS1_11target_archE1100ELNS1_3gpuE3ELNS1_3repE0EEENS1_30default_config_static_selectorELNS0_4arch9wavefront6targetE0EEEvSK_,"axG",@progbits,_ZN7rocprim17ROCPRIM_400000_NS6detail17trampoline_kernelINS0_14default_configENS1_36segmented_radix_sort_config_selectorIflEEZNS1_25segmented_radix_sort_implIS3_Lb1EPKfPfPKlPlN2at6native12_GLOBAL__N_18offset_tEEE10hipError_tPvRmT1_PNSt15iterator_traitsISK_E10value_typeET2_T3_PNSL_ISQ_E10value_typeET4_jRbjT5_SW_jjP12ihipStream_tbEUlT_E_NS1_11comp_targetILNS1_3genE9ELNS1_11target_archE1100ELNS1_3gpuE3ELNS1_3repE0EEENS1_30default_config_static_selectorELNS0_4arch9wavefront6targetE0EEEvSK_,comdat
.Lfunc_end1327:
	.size	_ZN7rocprim17ROCPRIM_400000_NS6detail17trampoline_kernelINS0_14default_configENS1_36segmented_radix_sort_config_selectorIflEEZNS1_25segmented_radix_sort_implIS3_Lb1EPKfPfPKlPlN2at6native12_GLOBAL__N_18offset_tEEE10hipError_tPvRmT1_PNSt15iterator_traitsISK_E10value_typeET2_T3_PNSL_ISQ_E10value_typeET4_jRbjT5_SW_jjP12ihipStream_tbEUlT_E_NS1_11comp_targetILNS1_3genE9ELNS1_11target_archE1100ELNS1_3gpuE3ELNS1_3repE0EEENS1_30default_config_static_selectorELNS0_4arch9wavefront6targetE0EEEvSK_, .Lfunc_end1327-_ZN7rocprim17ROCPRIM_400000_NS6detail17trampoline_kernelINS0_14default_configENS1_36segmented_radix_sort_config_selectorIflEEZNS1_25segmented_radix_sort_implIS3_Lb1EPKfPfPKlPlN2at6native12_GLOBAL__N_18offset_tEEE10hipError_tPvRmT1_PNSt15iterator_traitsISK_E10value_typeET2_T3_PNSL_ISQ_E10value_typeET4_jRbjT5_SW_jjP12ihipStream_tbEUlT_E_NS1_11comp_targetILNS1_3genE9ELNS1_11target_archE1100ELNS1_3gpuE3ELNS1_3repE0EEENS1_30default_config_static_selectorELNS0_4arch9wavefront6targetE0EEEvSK_
                                        ; -- End function
	.set _ZN7rocprim17ROCPRIM_400000_NS6detail17trampoline_kernelINS0_14default_configENS1_36segmented_radix_sort_config_selectorIflEEZNS1_25segmented_radix_sort_implIS3_Lb1EPKfPfPKlPlN2at6native12_GLOBAL__N_18offset_tEEE10hipError_tPvRmT1_PNSt15iterator_traitsISK_E10value_typeET2_T3_PNSL_ISQ_E10value_typeET4_jRbjT5_SW_jjP12ihipStream_tbEUlT_E_NS1_11comp_targetILNS1_3genE9ELNS1_11target_archE1100ELNS1_3gpuE3ELNS1_3repE0EEENS1_30default_config_static_selectorELNS0_4arch9wavefront6targetE0EEEvSK_.num_vgpr, 0
	.set _ZN7rocprim17ROCPRIM_400000_NS6detail17trampoline_kernelINS0_14default_configENS1_36segmented_radix_sort_config_selectorIflEEZNS1_25segmented_radix_sort_implIS3_Lb1EPKfPfPKlPlN2at6native12_GLOBAL__N_18offset_tEEE10hipError_tPvRmT1_PNSt15iterator_traitsISK_E10value_typeET2_T3_PNSL_ISQ_E10value_typeET4_jRbjT5_SW_jjP12ihipStream_tbEUlT_E_NS1_11comp_targetILNS1_3genE9ELNS1_11target_archE1100ELNS1_3gpuE3ELNS1_3repE0EEENS1_30default_config_static_selectorELNS0_4arch9wavefront6targetE0EEEvSK_.num_agpr, 0
	.set _ZN7rocprim17ROCPRIM_400000_NS6detail17trampoline_kernelINS0_14default_configENS1_36segmented_radix_sort_config_selectorIflEEZNS1_25segmented_radix_sort_implIS3_Lb1EPKfPfPKlPlN2at6native12_GLOBAL__N_18offset_tEEE10hipError_tPvRmT1_PNSt15iterator_traitsISK_E10value_typeET2_T3_PNSL_ISQ_E10value_typeET4_jRbjT5_SW_jjP12ihipStream_tbEUlT_E_NS1_11comp_targetILNS1_3genE9ELNS1_11target_archE1100ELNS1_3gpuE3ELNS1_3repE0EEENS1_30default_config_static_selectorELNS0_4arch9wavefront6targetE0EEEvSK_.numbered_sgpr, 0
	.set _ZN7rocprim17ROCPRIM_400000_NS6detail17trampoline_kernelINS0_14default_configENS1_36segmented_radix_sort_config_selectorIflEEZNS1_25segmented_radix_sort_implIS3_Lb1EPKfPfPKlPlN2at6native12_GLOBAL__N_18offset_tEEE10hipError_tPvRmT1_PNSt15iterator_traitsISK_E10value_typeET2_T3_PNSL_ISQ_E10value_typeET4_jRbjT5_SW_jjP12ihipStream_tbEUlT_E_NS1_11comp_targetILNS1_3genE9ELNS1_11target_archE1100ELNS1_3gpuE3ELNS1_3repE0EEENS1_30default_config_static_selectorELNS0_4arch9wavefront6targetE0EEEvSK_.num_named_barrier, 0
	.set _ZN7rocprim17ROCPRIM_400000_NS6detail17trampoline_kernelINS0_14default_configENS1_36segmented_radix_sort_config_selectorIflEEZNS1_25segmented_radix_sort_implIS3_Lb1EPKfPfPKlPlN2at6native12_GLOBAL__N_18offset_tEEE10hipError_tPvRmT1_PNSt15iterator_traitsISK_E10value_typeET2_T3_PNSL_ISQ_E10value_typeET4_jRbjT5_SW_jjP12ihipStream_tbEUlT_E_NS1_11comp_targetILNS1_3genE9ELNS1_11target_archE1100ELNS1_3gpuE3ELNS1_3repE0EEENS1_30default_config_static_selectorELNS0_4arch9wavefront6targetE0EEEvSK_.private_seg_size, 0
	.set _ZN7rocprim17ROCPRIM_400000_NS6detail17trampoline_kernelINS0_14default_configENS1_36segmented_radix_sort_config_selectorIflEEZNS1_25segmented_radix_sort_implIS3_Lb1EPKfPfPKlPlN2at6native12_GLOBAL__N_18offset_tEEE10hipError_tPvRmT1_PNSt15iterator_traitsISK_E10value_typeET2_T3_PNSL_ISQ_E10value_typeET4_jRbjT5_SW_jjP12ihipStream_tbEUlT_E_NS1_11comp_targetILNS1_3genE9ELNS1_11target_archE1100ELNS1_3gpuE3ELNS1_3repE0EEENS1_30default_config_static_selectorELNS0_4arch9wavefront6targetE0EEEvSK_.uses_vcc, 0
	.set _ZN7rocprim17ROCPRIM_400000_NS6detail17trampoline_kernelINS0_14default_configENS1_36segmented_radix_sort_config_selectorIflEEZNS1_25segmented_radix_sort_implIS3_Lb1EPKfPfPKlPlN2at6native12_GLOBAL__N_18offset_tEEE10hipError_tPvRmT1_PNSt15iterator_traitsISK_E10value_typeET2_T3_PNSL_ISQ_E10value_typeET4_jRbjT5_SW_jjP12ihipStream_tbEUlT_E_NS1_11comp_targetILNS1_3genE9ELNS1_11target_archE1100ELNS1_3gpuE3ELNS1_3repE0EEENS1_30default_config_static_selectorELNS0_4arch9wavefront6targetE0EEEvSK_.uses_flat_scratch, 0
	.set _ZN7rocprim17ROCPRIM_400000_NS6detail17trampoline_kernelINS0_14default_configENS1_36segmented_radix_sort_config_selectorIflEEZNS1_25segmented_radix_sort_implIS3_Lb1EPKfPfPKlPlN2at6native12_GLOBAL__N_18offset_tEEE10hipError_tPvRmT1_PNSt15iterator_traitsISK_E10value_typeET2_T3_PNSL_ISQ_E10value_typeET4_jRbjT5_SW_jjP12ihipStream_tbEUlT_E_NS1_11comp_targetILNS1_3genE9ELNS1_11target_archE1100ELNS1_3gpuE3ELNS1_3repE0EEENS1_30default_config_static_selectorELNS0_4arch9wavefront6targetE0EEEvSK_.has_dyn_sized_stack, 0
	.set _ZN7rocprim17ROCPRIM_400000_NS6detail17trampoline_kernelINS0_14default_configENS1_36segmented_radix_sort_config_selectorIflEEZNS1_25segmented_radix_sort_implIS3_Lb1EPKfPfPKlPlN2at6native12_GLOBAL__N_18offset_tEEE10hipError_tPvRmT1_PNSt15iterator_traitsISK_E10value_typeET2_T3_PNSL_ISQ_E10value_typeET4_jRbjT5_SW_jjP12ihipStream_tbEUlT_E_NS1_11comp_targetILNS1_3genE9ELNS1_11target_archE1100ELNS1_3gpuE3ELNS1_3repE0EEENS1_30default_config_static_selectorELNS0_4arch9wavefront6targetE0EEEvSK_.has_recursion, 0
	.set _ZN7rocprim17ROCPRIM_400000_NS6detail17trampoline_kernelINS0_14default_configENS1_36segmented_radix_sort_config_selectorIflEEZNS1_25segmented_radix_sort_implIS3_Lb1EPKfPfPKlPlN2at6native12_GLOBAL__N_18offset_tEEE10hipError_tPvRmT1_PNSt15iterator_traitsISK_E10value_typeET2_T3_PNSL_ISQ_E10value_typeET4_jRbjT5_SW_jjP12ihipStream_tbEUlT_E_NS1_11comp_targetILNS1_3genE9ELNS1_11target_archE1100ELNS1_3gpuE3ELNS1_3repE0EEENS1_30default_config_static_selectorELNS0_4arch9wavefront6targetE0EEEvSK_.has_indirect_call, 0
	.section	.AMDGPU.csdata,"",@progbits
; Kernel info:
; codeLenInByte = 0
; TotalNumSgprs: 0
; NumVgprs: 0
; ScratchSize: 0
; MemoryBound: 0
; FloatMode: 240
; IeeeMode: 1
; LDSByteSize: 0 bytes/workgroup (compile time only)
; SGPRBlocks: 0
; VGPRBlocks: 0
; NumSGPRsForWavesPerEU: 1
; NumVGPRsForWavesPerEU: 1
; NamedBarCnt: 0
; Occupancy: 16
; WaveLimiterHint : 0
; COMPUTE_PGM_RSRC2:SCRATCH_EN: 0
; COMPUTE_PGM_RSRC2:USER_SGPR: 2
; COMPUTE_PGM_RSRC2:TRAP_HANDLER: 0
; COMPUTE_PGM_RSRC2:TGID_X_EN: 1
; COMPUTE_PGM_RSRC2:TGID_Y_EN: 0
; COMPUTE_PGM_RSRC2:TGID_Z_EN: 0
; COMPUTE_PGM_RSRC2:TIDIG_COMP_CNT: 0
	.section	.text._ZN7rocprim17ROCPRIM_400000_NS6detail17trampoline_kernelINS0_14default_configENS1_36segmented_radix_sort_config_selectorIflEEZNS1_25segmented_radix_sort_implIS3_Lb1EPKfPfPKlPlN2at6native12_GLOBAL__N_18offset_tEEE10hipError_tPvRmT1_PNSt15iterator_traitsISK_E10value_typeET2_T3_PNSL_ISQ_E10value_typeET4_jRbjT5_SW_jjP12ihipStream_tbEUlT_E_NS1_11comp_targetILNS1_3genE8ELNS1_11target_archE1030ELNS1_3gpuE2ELNS1_3repE0EEENS1_30default_config_static_selectorELNS0_4arch9wavefront6targetE0EEEvSK_,"axG",@progbits,_ZN7rocprim17ROCPRIM_400000_NS6detail17trampoline_kernelINS0_14default_configENS1_36segmented_radix_sort_config_selectorIflEEZNS1_25segmented_radix_sort_implIS3_Lb1EPKfPfPKlPlN2at6native12_GLOBAL__N_18offset_tEEE10hipError_tPvRmT1_PNSt15iterator_traitsISK_E10value_typeET2_T3_PNSL_ISQ_E10value_typeET4_jRbjT5_SW_jjP12ihipStream_tbEUlT_E_NS1_11comp_targetILNS1_3genE8ELNS1_11target_archE1030ELNS1_3gpuE2ELNS1_3repE0EEENS1_30default_config_static_selectorELNS0_4arch9wavefront6targetE0EEEvSK_,comdat
	.globl	_ZN7rocprim17ROCPRIM_400000_NS6detail17trampoline_kernelINS0_14default_configENS1_36segmented_radix_sort_config_selectorIflEEZNS1_25segmented_radix_sort_implIS3_Lb1EPKfPfPKlPlN2at6native12_GLOBAL__N_18offset_tEEE10hipError_tPvRmT1_PNSt15iterator_traitsISK_E10value_typeET2_T3_PNSL_ISQ_E10value_typeET4_jRbjT5_SW_jjP12ihipStream_tbEUlT_E_NS1_11comp_targetILNS1_3genE8ELNS1_11target_archE1030ELNS1_3gpuE2ELNS1_3repE0EEENS1_30default_config_static_selectorELNS0_4arch9wavefront6targetE0EEEvSK_ ; -- Begin function _ZN7rocprim17ROCPRIM_400000_NS6detail17trampoline_kernelINS0_14default_configENS1_36segmented_radix_sort_config_selectorIflEEZNS1_25segmented_radix_sort_implIS3_Lb1EPKfPfPKlPlN2at6native12_GLOBAL__N_18offset_tEEE10hipError_tPvRmT1_PNSt15iterator_traitsISK_E10value_typeET2_T3_PNSL_ISQ_E10value_typeET4_jRbjT5_SW_jjP12ihipStream_tbEUlT_E_NS1_11comp_targetILNS1_3genE8ELNS1_11target_archE1030ELNS1_3gpuE2ELNS1_3repE0EEENS1_30default_config_static_selectorELNS0_4arch9wavefront6targetE0EEEvSK_
	.p2align	8
	.type	_ZN7rocprim17ROCPRIM_400000_NS6detail17trampoline_kernelINS0_14default_configENS1_36segmented_radix_sort_config_selectorIflEEZNS1_25segmented_radix_sort_implIS3_Lb1EPKfPfPKlPlN2at6native12_GLOBAL__N_18offset_tEEE10hipError_tPvRmT1_PNSt15iterator_traitsISK_E10value_typeET2_T3_PNSL_ISQ_E10value_typeET4_jRbjT5_SW_jjP12ihipStream_tbEUlT_E_NS1_11comp_targetILNS1_3genE8ELNS1_11target_archE1030ELNS1_3gpuE2ELNS1_3repE0EEENS1_30default_config_static_selectorELNS0_4arch9wavefront6targetE0EEEvSK_,@function
_ZN7rocprim17ROCPRIM_400000_NS6detail17trampoline_kernelINS0_14default_configENS1_36segmented_radix_sort_config_selectorIflEEZNS1_25segmented_radix_sort_implIS3_Lb1EPKfPfPKlPlN2at6native12_GLOBAL__N_18offset_tEEE10hipError_tPvRmT1_PNSt15iterator_traitsISK_E10value_typeET2_T3_PNSL_ISQ_E10value_typeET4_jRbjT5_SW_jjP12ihipStream_tbEUlT_E_NS1_11comp_targetILNS1_3genE8ELNS1_11target_archE1030ELNS1_3gpuE2ELNS1_3repE0EEENS1_30default_config_static_selectorELNS0_4arch9wavefront6targetE0EEEvSK_: ; @_ZN7rocprim17ROCPRIM_400000_NS6detail17trampoline_kernelINS0_14default_configENS1_36segmented_radix_sort_config_selectorIflEEZNS1_25segmented_radix_sort_implIS3_Lb1EPKfPfPKlPlN2at6native12_GLOBAL__N_18offset_tEEE10hipError_tPvRmT1_PNSt15iterator_traitsISK_E10value_typeET2_T3_PNSL_ISQ_E10value_typeET4_jRbjT5_SW_jjP12ihipStream_tbEUlT_E_NS1_11comp_targetILNS1_3genE8ELNS1_11target_archE1030ELNS1_3gpuE2ELNS1_3repE0EEENS1_30default_config_static_selectorELNS0_4arch9wavefront6targetE0EEEvSK_
; %bb.0:
	.section	.rodata,"a",@progbits
	.p2align	6, 0x0
	.amdhsa_kernel _ZN7rocprim17ROCPRIM_400000_NS6detail17trampoline_kernelINS0_14default_configENS1_36segmented_radix_sort_config_selectorIflEEZNS1_25segmented_radix_sort_implIS3_Lb1EPKfPfPKlPlN2at6native12_GLOBAL__N_18offset_tEEE10hipError_tPvRmT1_PNSt15iterator_traitsISK_E10value_typeET2_T3_PNSL_ISQ_E10value_typeET4_jRbjT5_SW_jjP12ihipStream_tbEUlT_E_NS1_11comp_targetILNS1_3genE8ELNS1_11target_archE1030ELNS1_3gpuE2ELNS1_3repE0EEENS1_30default_config_static_selectorELNS0_4arch9wavefront6targetE0EEEvSK_
		.amdhsa_group_segment_fixed_size 0
		.amdhsa_private_segment_fixed_size 0
		.amdhsa_kernarg_size 96
		.amdhsa_user_sgpr_count 2
		.amdhsa_user_sgpr_dispatch_ptr 0
		.amdhsa_user_sgpr_queue_ptr 0
		.amdhsa_user_sgpr_kernarg_segment_ptr 1
		.amdhsa_user_sgpr_dispatch_id 0
		.amdhsa_user_sgpr_kernarg_preload_length 0
		.amdhsa_user_sgpr_kernarg_preload_offset 0
		.amdhsa_user_sgpr_private_segment_size 0
		.amdhsa_wavefront_size32 1
		.amdhsa_uses_dynamic_stack 0
		.amdhsa_enable_private_segment 0
		.amdhsa_system_sgpr_workgroup_id_x 1
		.amdhsa_system_sgpr_workgroup_id_y 0
		.amdhsa_system_sgpr_workgroup_id_z 0
		.amdhsa_system_sgpr_workgroup_info 0
		.amdhsa_system_vgpr_workitem_id 0
		.amdhsa_next_free_vgpr 1
		.amdhsa_next_free_sgpr 1
		.amdhsa_named_barrier_count 0
		.amdhsa_reserve_vcc 0
		.amdhsa_float_round_mode_32 0
		.amdhsa_float_round_mode_16_64 0
		.amdhsa_float_denorm_mode_32 3
		.amdhsa_float_denorm_mode_16_64 3
		.amdhsa_fp16_overflow 0
		.amdhsa_memory_ordered 1
		.amdhsa_forward_progress 1
		.amdhsa_inst_pref_size 0
		.amdhsa_round_robin_scheduling 0
		.amdhsa_exception_fp_ieee_invalid_op 0
		.amdhsa_exception_fp_denorm_src 0
		.amdhsa_exception_fp_ieee_div_zero 0
		.amdhsa_exception_fp_ieee_overflow 0
		.amdhsa_exception_fp_ieee_underflow 0
		.amdhsa_exception_fp_ieee_inexact 0
		.amdhsa_exception_int_div_zero 0
	.end_amdhsa_kernel
	.section	.text._ZN7rocprim17ROCPRIM_400000_NS6detail17trampoline_kernelINS0_14default_configENS1_36segmented_radix_sort_config_selectorIflEEZNS1_25segmented_radix_sort_implIS3_Lb1EPKfPfPKlPlN2at6native12_GLOBAL__N_18offset_tEEE10hipError_tPvRmT1_PNSt15iterator_traitsISK_E10value_typeET2_T3_PNSL_ISQ_E10value_typeET4_jRbjT5_SW_jjP12ihipStream_tbEUlT_E_NS1_11comp_targetILNS1_3genE8ELNS1_11target_archE1030ELNS1_3gpuE2ELNS1_3repE0EEENS1_30default_config_static_selectorELNS0_4arch9wavefront6targetE0EEEvSK_,"axG",@progbits,_ZN7rocprim17ROCPRIM_400000_NS6detail17trampoline_kernelINS0_14default_configENS1_36segmented_radix_sort_config_selectorIflEEZNS1_25segmented_radix_sort_implIS3_Lb1EPKfPfPKlPlN2at6native12_GLOBAL__N_18offset_tEEE10hipError_tPvRmT1_PNSt15iterator_traitsISK_E10value_typeET2_T3_PNSL_ISQ_E10value_typeET4_jRbjT5_SW_jjP12ihipStream_tbEUlT_E_NS1_11comp_targetILNS1_3genE8ELNS1_11target_archE1030ELNS1_3gpuE2ELNS1_3repE0EEENS1_30default_config_static_selectorELNS0_4arch9wavefront6targetE0EEEvSK_,comdat
.Lfunc_end1328:
	.size	_ZN7rocprim17ROCPRIM_400000_NS6detail17trampoline_kernelINS0_14default_configENS1_36segmented_radix_sort_config_selectorIflEEZNS1_25segmented_radix_sort_implIS3_Lb1EPKfPfPKlPlN2at6native12_GLOBAL__N_18offset_tEEE10hipError_tPvRmT1_PNSt15iterator_traitsISK_E10value_typeET2_T3_PNSL_ISQ_E10value_typeET4_jRbjT5_SW_jjP12ihipStream_tbEUlT_E_NS1_11comp_targetILNS1_3genE8ELNS1_11target_archE1030ELNS1_3gpuE2ELNS1_3repE0EEENS1_30default_config_static_selectorELNS0_4arch9wavefront6targetE0EEEvSK_, .Lfunc_end1328-_ZN7rocprim17ROCPRIM_400000_NS6detail17trampoline_kernelINS0_14default_configENS1_36segmented_radix_sort_config_selectorIflEEZNS1_25segmented_radix_sort_implIS3_Lb1EPKfPfPKlPlN2at6native12_GLOBAL__N_18offset_tEEE10hipError_tPvRmT1_PNSt15iterator_traitsISK_E10value_typeET2_T3_PNSL_ISQ_E10value_typeET4_jRbjT5_SW_jjP12ihipStream_tbEUlT_E_NS1_11comp_targetILNS1_3genE8ELNS1_11target_archE1030ELNS1_3gpuE2ELNS1_3repE0EEENS1_30default_config_static_selectorELNS0_4arch9wavefront6targetE0EEEvSK_
                                        ; -- End function
	.set _ZN7rocprim17ROCPRIM_400000_NS6detail17trampoline_kernelINS0_14default_configENS1_36segmented_radix_sort_config_selectorIflEEZNS1_25segmented_radix_sort_implIS3_Lb1EPKfPfPKlPlN2at6native12_GLOBAL__N_18offset_tEEE10hipError_tPvRmT1_PNSt15iterator_traitsISK_E10value_typeET2_T3_PNSL_ISQ_E10value_typeET4_jRbjT5_SW_jjP12ihipStream_tbEUlT_E_NS1_11comp_targetILNS1_3genE8ELNS1_11target_archE1030ELNS1_3gpuE2ELNS1_3repE0EEENS1_30default_config_static_selectorELNS0_4arch9wavefront6targetE0EEEvSK_.num_vgpr, 0
	.set _ZN7rocprim17ROCPRIM_400000_NS6detail17trampoline_kernelINS0_14default_configENS1_36segmented_radix_sort_config_selectorIflEEZNS1_25segmented_radix_sort_implIS3_Lb1EPKfPfPKlPlN2at6native12_GLOBAL__N_18offset_tEEE10hipError_tPvRmT1_PNSt15iterator_traitsISK_E10value_typeET2_T3_PNSL_ISQ_E10value_typeET4_jRbjT5_SW_jjP12ihipStream_tbEUlT_E_NS1_11comp_targetILNS1_3genE8ELNS1_11target_archE1030ELNS1_3gpuE2ELNS1_3repE0EEENS1_30default_config_static_selectorELNS0_4arch9wavefront6targetE0EEEvSK_.num_agpr, 0
	.set _ZN7rocprim17ROCPRIM_400000_NS6detail17trampoline_kernelINS0_14default_configENS1_36segmented_radix_sort_config_selectorIflEEZNS1_25segmented_radix_sort_implIS3_Lb1EPKfPfPKlPlN2at6native12_GLOBAL__N_18offset_tEEE10hipError_tPvRmT1_PNSt15iterator_traitsISK_E10value_typeET2_T3_PNSL_ISQ_E10value_typeET4_jRbjT5_SW_jjP12ihipStream_tbEUlT_E_NS1_11comp_targetILNS1_3genE8ELNS1_11target_archE1030ELNS1_3gpuE2ELNS1_3repE0EEENS1_30default_config_static_selectorELNS0_4arch9wavefront6targetE0EEEvSK_.numbered_sgpr, 0
	.set _ZN7rocprim17ROCPRIM_400000_NS6detail17trampoline_kernelINS0_14default_configENS1_36segmented_radix_sort_config_selectorIflEEZNS1_25segmented_radix_sort_implIS3_Lb1EPKfPfPKlPlN2at6native12_GLOBAL__N_18offset_tEEE10hipError_tPvRmT1_PNSt15iterator_traitsISK_E10value_typeET2_T3_PNSL_ISQ_E10value_typeET4_jRbjT5_SW_jjP12ihipStream_tbEUlT_E_NS1_11comp_targetILNS1_3genE8ELNS1_11target_archE1030ELNS1_3gpuE2ELNS1_3repE0EEENS1_30default_config_static_selectorELNS0_4arch9wavefront6targetE0EEEvSK_.num_named_barrier, 0
	.set _ZN7rocprim17ROCPRIM_400000_NS6detail17trampoline_kernelINS0_14default_configENS1_36segmented_radix_sort_config_selectorIflEEZNS1_25segmented_radix_sort_implIS3_Lb1EPKfPfPKlPlN2at6native12_GLOBAL__N_18offset_tEEE10hipError_tPvRmT1_PNSt15iterator_traitsISK_E10value_typeET2_T3_PNSL_ISQ_E10value_typeET4_jRbjT5_SW_jjP12ihipStream_tbEUlT_E_NS1_11comp_targetILNS1_3genE8ELNS1_11target_archE1030ELNS1_3gpuE2ELNS1_3repE0EEENS1_30default_config_static_selectorELNS0_4arch9wavefront6targetE0EEEvSK_.private_seg_size, 0
	.set _ZN7rocprim17ROCPRIM_400000_NS6detail17trampoline_kernelINS0_14default_configENS1_36segmented_radix_sort_config_selectorIflEEZNS1_25segmented_radix_sort_implIS3_Lb1EPKfPfPKlPlN2at6native12_GLOBAL__N_18offset_tEEE10hipError_tPvRmT1_PNSt15iterator_traitsISK_E10value_typeET2_T3_PNSL_ISQ_E10value_typeET4_jRbjT5_SW_jjP12ihipStream_tbEUlT_E_NS1_11comp_targetILNS1_3genE8ELNS1_11target_archE1030ELNS1_3gpuE2ELNS1_3repE0EEENS1_30default_config_static_selectorELNS0_4arch9wavefront6targetE0EEEvSK_.uses_vcc, 0
	.set _ZN7rocprim17ROCPRIM_400000_NS6detail17trampoline_kernelINS0_14default_configENS1_36segmented_radix_sort_config_selectorIflEEZNS1_25segmented_radix_sort_implIS3_Lb1EPKfPfPKlPlN2at6native12_GLOBAL__N_18offset_tEEE10hipError_tPvRmT1_PNSt15iterator_traitsISK_E10value_typeET2_T3_PNSL_ISQ_E10value_typeET4_jRbjT5_SW_jjP12ihipStream_tbEUlT_E_NS1_11comp_targetILNS1_3genE8ELNS1_11target_archE1030ELNS1_3gpuE2ELNS1_3repE0EEENS1_30default_config_static_selectorELNS0_4arch9wavefront6targetE0EEEvSK_.uses_flat_scratch, 0
	.set _ZN7rocprim17ROCPRIM_400000_NS6detail17trampoline_kernelINS0_14default_configENS1_36segmented_radix_sort_config_selectorIflEEZNS1_25segmented_radix_sort_implIS3_Lb1EPKfPfPKlPlN2at6native12_GLOBAL__N_18offset_tEEE10hipError_tPvRmT1_PNSt15iterator_traitsISK_E10value_typeET2_T3_PNSL_ISQ_E10value_typeET4_jRbjT5_SW_jjP12ihipStream_tbEUlT_E_NS1_11comp_targetILNS1_3genE8ELNS1_11target_archE1030ELNS1_3gpuE2ELNS1_3repE0EEENS1_30default_config_static_selectorELNS0_4arch9wavefront6targetE0EEEvSK_.has_dyn_sized_stack, 0
	.set _ZN7rocprim17ROCPRIM_400000_NS6detail17trampoline_kernelINS0_14default_configENS1_36segmented_radix_sort_config_selectorIflEEZNS1_25segmented_radix_sort_implIS3_Lb1EPKfPfPKlPlN2at6native12_GLOBAL__N_18offset_tEEE10hipError_tPvRmT1_PNSt15iterator_traitsISK_E10value_typeET2_T3_PNSL_ISQ_E10value_typeET4_jRbjT5_SW_jjP12ihipStream_tbEUlT_E_NS1_11comp_targetILNS1_3genE8ELNS1_11target_archE1030ELNS1_3gpuE2ELNS1_3repE0EEENS1_30default_config_static_selectorELNS0_4arch9wavefront6targetE0EEEvSK_.has_recursion, 0
	.set _ZN7rocprim17ROCPRIM_400000_NS6detail17trampoline_kernelINS0_14default_configENS1_36segmented_radix_sort_config_selectorIflEEZNS1_25segmented_radix_sort_implIS3_Lb1EPKfPfPKlPlN2at6native12_GLOBAL__N_18offset_tEEE10hipError_tPvRmT1_PNSt15iterator_traitsISK_E10value_typeET2_T3_PNSL_ISQ_E10value_typeET4_jRbjT5_SW_jjP12ihipStream_tbEUlT_E_NS1_11comp_targetILNS1_3genE8ELNS1_11target_archE1030ELNS1_3gpuE2ELNS1_3repE0EEENS1_30default_config_static_selectorELNS0_4arch9wavefront6targetE0EEEvSK_.has_indirect_call, 0
	.section	.AMDGPU.csdata,"",@progbits
; Kernel info:
; codeLenInByte = 0
; TotalNumSgprs: 0
; NumVgprs: 0
; ScratchSize: 0
; MemoryBound: 0
; FloatMode: 240
; IeeeMode: 1
; LDSByteSize: 0 bytes/workgroup (compile time only)
; SGPRBlocks: 0
; VGPRBlocks: 0
; NumSGPRsForWavesPerEU: 1
; NumVGPRsForWavesPerEU: 1
; NamedBarCnt: 0
; Occupancy: 16
; WaveLimiterHint : 0
; COMPUTE_PGM_RSRC2:SCRATCH_EN: 0
; COMPUTE_PGM_RSRC2:USER_SGPR: 2
; COMPUTE_PGM_RSRC2:TRAP_HANDLER: 0
; COMPUTE_PGM_RSRC2:TGID_X_EN: 1
; COMPUTE_PGM_RSRC2:TGID_Y_EN: 0
; COMPUTE_PGM_RSRC2:TGID_Z_EN: 0
; COMPUTE_PGM_RSRC2:TIDIG_COMP_CNT: 0
	.text
	.p2align	2                               ; -- Begin function _ZN7rocprim17ROCPRIM_400000_NS6detail26segmented_warp_sort_helperINS1_20WarpSortHelperConfigILj32ELj4ELj256EEEflLi256ELb1EvE4sortIPKfPfPKlPlEEvT_T0_T1_T2_jjjjRNS5_12storage_typeE
	.type	_ZN7rocprim17ROCPRIM_400000_NS6detail26segmented_warp_sort_helperINS1_20WarpSortHelperConfigILj32ELj4ELj256EEEflLi256ELb1EvE4sortIPKfPfPKlPlEEvT_T0_T1_T2_jjjjRNS5_12storage_typeE,@function
_ZN7rocprim17ROCPRIM_400000_NS6detail26segmented_warp_sort_helperINS1_20WarpSortHelperConfigILj32ELj4ELj256EEEflLi256ELb1EvE4sortIPKfPfPKlPlEEvT_T0_T1_T2_jjjjRNS5_12storage_typeE: ; @_ZN7rocprim17ROCPRIM_400000_NS6detail26segmented_warp_sort_helperINS1_20WarpSortHelperConfigILj32ELj4ELj256EEEflLi256ELb1EvE4sortIPKfPfPKlPlEEvT_T0_T1_T2_jjjjRNS5_12storage_typeE
; %bb.0:
	s_wait_loadcnt_dscnt 0x0
	s_wait_kmcnt 0x0
	v_dual_mov_b32 v12, v9 :: v_dual_mov_b32 v9, 0
	v_mbcnt_lo_u32_b32 v13, -1, 0
	v_dual_mov_b32 v38, -1 :: v_dual_mov_b32 v49, -1
	s_delay_alu instid0(VALU_DEP_3) | instskip(NEXT) | instid1(VALU_DEP_4)
	v_sub_nc_u32_e32 v12, v12, v8
	v_lshl_add_u64 v[0:1], v[8:9], 2, v[0:1]
	s_delay_alu instid0(VALU_DEP_4) | instskip(SKIP_1) | instid1(VALU_DEP_2)
	v_dual_mov_b32 v15, v9 :: v_dual_lshlrev_b32 v14, 4, v13
	v_lshlrev_b32_e32 v50, 2, v13
	v_add_nc_u64_e32 v[0:1], v[0:1], v[14:15]
	s_delay_alu instid0(VALU_DEP_2)
	v_cmp_lt_u32_e32 vcc_lo, v50, v12
	s_and_saveexec_b32 s0, vcc_lo
	s_cbranch_execz .LBB1329_2
; %bb.1:
	flat_load_b32 v49, v[0:1]
.LBB1329_2:
	s_wait_xcnt 0x0
	s_or_b32 exec_lo, exec_lo, s0
	v_or_b32_e32 v13, 1, v50
	s_delay_alu instid0(VALU_DEP_1)
	v_cmp_lt_u32_e64 s0, v13, v12
	s_and_saveexec_b32 s1, s0
	s_cbranch_execz .LBB1329_4
; %bb.3:
	flat_load_b32 v38, v[0:1] offset:4
.LBB1329_4:
	s_wait_xcnt 0x0
	s_or_b32 exec_lo, exec_lo, s1
	v_dual_mov_b32 v36, -1 :: v_dual_bitop2_b32 v13, 2, v50 bitop3:0x54
	v_mov_b32_e32 v39, -1
	s_delay_alu instid0(VALU_DEP_2)
	v_cmp_lt_u32_e64 s1, v13, v12
	s_and_saveexec_b32 s2, s1
	s_cbranch_execz .LBB1329_6
; %bb.5:
	flat_load_b32 v39, v[0:1] offset:8
.LBB1329_6:
	s_wait_xcnt 0x0
	s_or_b32 exec_lo, exec_lo, s2
	v_or_b32_e32 v13, 3, v50
	s_delay_alu instid0(VALU_DEP_1)
	v_cmp_lt_u32_e64 s2, v13, v12
	s_and_saveexec_b32 s3, s2
	s_cbranch_execz .LBB1329_8
; %bb.7:
	flat_load_b32 v36, v[0:1] offset:12
.LBB1329_8:
	s_wait_xcnt 0x0
	s_or_b32 exec_lo, exec_lo, s3
	v_lshl_add_u64 v[4:5], v[8:9], 3, v[4:5]
	v_dual_mov_b32 v1, 0 :: v_dual_lshlrev_b32 v0, 3, v50
	; wave barrier
	s_delay_alu instid0(VALU_DEP_1)
	v_add_nc_u64_e32 v[4:5], v[4:5], v[0:1]
	v_dual_mov_b32 v12, v1 :: v_dual_mov_b32 v13, v1
	v_dual_mov_b32 v14, v1 :: v_dual_mov_b32 v15, v1
	;; [unrolled: 1-line block ×4, first 2 shown]
	s_and_saveexec_b32 s3, vcc_lo
	s_cbranch_execnz .LBB1329_155
; %bb.9:
	s_or_b32 exec_lo, exec_lo, s3
	s_and_saveexec_b32 s3, s0
	s_cbranch_execnz .LBB1329_156
.LBB1329_10:
	s_or_b32 exec_lo, exec_lo, s3
	s_and_saveexec_b32 s3, s1
	s_cbranch_execnz .LBB1329_157
.LBB1329_11:
	s_or_b32 exec_lo, exec_lo, s3
	s_and_saveexec_b32 s3, s2
	s_cbranch_execz .LBB1329_13
.LBB1329_12:
	flat_load_b64 v[18:19], v[4:5] offset:24
.LBB1329_13:
	s_wait_xcnt 0x0
	s_or_b32 exec_lo, exec_lo, s3
	; wave barrier
	s_load_b64 s[4:5], s[8:9], 0x0
	s_bfe_u32 s6, ttmp6, 0x4000c
	s_bfe_u32 s10, ttmp6, 0x40010
	s_and_b32 s7, ttmp7, 0xffff
	s_add_co_i32 s6, s6, 1
	s_add_co_i32 s10, s10, 1
	s_and_b32 s3, ttmp6, 15
	s_bfe_u32 s11, ttmp6, 0x40004
	s_mul_i32 s6, ttmp9, s6
	s_mul_i32 s10, s7, s10
	s_getreg_b32 s12, hwreg(HW_REG_IB_STS2, 6, 4)
	s_add_co_i32 s3, s3, s6
	s_add_co_i32 s11, s11, s10
	s_cmp_eq_u32 s12, 0
	v_bfe_u32 v1, v31, 10, 10
	s_cselect_b32 s3, ttmp9, s3
	s_cselect_b32 s10, s7, s11
	s_mov_b32 s7, 0
	v_bfe_u32 v4, v31, 20, 10
	s_wait_loadcnt_dscnt 0x0
	v_mov_b64_e32 v[20:21], v[38:39]
	s_wait_kmcnt 0x0
	s_cmp_lt_u32 s3, s4
	s_cselect_b32 s6, 12, 18
	s_cmp_lt_u32 s10, s5
	s_mov_b32 s5, s7
	s_cselect_b32 s4, 14, 20
	s_delay_alu instid0(SALU_CYCLE_1)
	s_add_nc_u64 s[4:5], s[8:9], s[4:5]
	s_load_u16 s3, s[4:5], 0x0
	s_wait_xcnt 0x0
	s_add_nc_u64 s[4:5], s[8:9], s[6:7]
	s_load_u16 s4, s[4:5], 0x0
	s_wait_xcnt 0x0
	s_mov_b32 s5, exec_lo
	s_wait_kmcnt 0x0
	v_mad_u32_u24 v1, v4, s3, v1
	v_and_b32_e32 v4, 0x3ff, v31
	s_delay_alu instid0(VALU_DEP_2) | instskip(NEXT) | instid1(VALU_DEP_1)
	v_mul_lo_u32 v1, v1, s4
	v_add_lshl_u32 v1, v1, v4, 2
	s_delay_alu instid0(VALU_DEP_1)
	v_cmpx_gt_u32_e32 0x400, v1
	s_cbranch_execz .LBB1329_25
; %bb.14:
	v_dual_mov_b32 v48, v38 :: v_dual_mov_b32 v37, v39
	s_mov_b32 s6, exec_lo
	s_delay_alu instid0(VALU_DEP_1) | instskip(NEXT) | instid1(VALU_DEP_2)
	v_pk_add_f32 v[4:5], v[48:49], 0 op_sel_hi:[1,0]
	v_pk_add_f32 v[20:21], v[36:37], 0 op_sel_hi:[1,0]
	s_delay_alu instid0(VALU_DEP_2) | instskip(NEXT) | instid1(VALU_DEP_2)
	v_dual_ashrrev_i32 v22, 31, v5 :: v_dual_ashrrev_i32 v23, 31, v4
	v_dual_ashrrev_i32 v24, 31, v21 :: v_dual_ashrrev_i32 v25, 31, v20
	s_delay_alu instid0(VALU_DEP_2) | instskip(NEXT) | instid1(VALU_DEP_3)
	v_or_b32_e32 v22, 0x80000000, v22
	v_or_b32_e32 v23, 0x80000000, v23
	s_delay_alu instid0(VALU_DEP_3) | instskip(NEXT) | instid1(VALU_DEP_4)
	v_or_b32_e32 v24, 0x80000000, v24
	v_or_b32_e32 v25, 0x80000000, v25
	s_delay_alu instid0(VALU_DEP_4) | instskip(NEXT) | instid1(VALU_DEP_4)
	v_xor_b32_e32 v22, v22, v5
	v_xor_b32_e32 v4, v23, v4
	s_delay_alu instid0(VALU_DEP_1)
	v_cmp_gt_u32_e64 s3, v4, v22
	v_xor_b32_e32 v5, v24, v21
	v_xor_b32_e32 v26, v25, v20
	v_mov_b64_e32 v[24:25], v[16:17]
	v_mov_b32_e32 v4, v39
	v_dual_cndmask_b32 v23, v15, v13, s3 :: v_dual_cndmask_b32 v22, v14, v12, s3
	v_dual_cndmask_b32 v21, v13, v15, s3 :: v_dual_cndmask_b32 v20, v12, v14, s3
	v_cmpx_gt_u32_e64 v26, v5
; %bb.15:
	v_mov_b64_e32 v[24:25], v[18:19]
	v_mov_b64_e32 v[18:19], v[16:17]
	v_dual_mov_b32 v4, v36 :: v_dual_mov_b32 v36, v39
	v_mov_b32_e32 v5, v26
; %bb.16:
	s_or_b32 exec_lo, exec_lo, s6
	v_cndmask_b32_e64 v13, v38, v49, s3
                                        ; implicit-def: $vgpr37
	s_delay_alu instid0(VALU_DEP_1) | instskip(NEXT) | instid1(VALU_DEP_1)
	v_dual_mov_b32 v26, v18 :: v_dual_add_f32 v12, 0, v13
	v_mov_b64_e32 v[34:35], v[26:27]
	v_mov_b64_e32 v[28:29], v[20:21]
	;; [unrolled: 1-line block ×4, first 2 shown]
	v_ashrrev_i32_e32 v14, 31, v12
	s_delay_alu instid0(VALU_DEP_1) | instskip(NEXT) | instid1(VALU_DEP_1)
	v_bitop3_b32 v12, v14, v12, 0x80000000 bitop3:0x36
	v_cmp_le_u32_e64 s4, v5, v12
	s_and_saveexec_b32 s6, s4
	s_delay_alu instid0(SALU_CYCLE_1)
	s_xor_b32 s4, exec_lo, s6
; %bb.17:
	v_add_f32_e32 v5, 0, v4
                                        ; implicit-def: $vgpr28_vgpr29_vgpr30_vgpr31_vgpr32_vgpr33_vgpr34_vgpr35
	s_delay_alu instid0(VALU_DEP_1) | instskip(NEXT) | instid1(VALU_DEP_1)
	v_ashrrev_i32_e32 v14, 31, v5
	v_bitop3_b32 v37, v14, v5, 0x80000000 bitop3:0x36
                                        ; implicit-def: $vgpr5
; %bb.18:
	s_or_saveexec_b32 s4, s4
	v_dual_mov_b32 v27, v19 :: v_dual_mov_b32 v30, v13
	s_xor_b32 exec_lo, exec_lo, s4
	s_cbranch_execz .LBB1329_20
; %bb.19:
	v_dual_mov_b32 v30, v24 :: v_dual_mov_b32 v31, v25
	v_dual_mov_b32 v32, v22 :: v_dual_mov_b32 v33, v23
	;; [unrolled: 1-line block ×3, first 2 shown]
	v_mov_b64_e32 v[20:21], v[28:29]
	s_delay_alu instid0(VALU_DEP_4) | instskip(NEXT) | instid1(VALU_DEP_4)
	v_mov_b64_e32 v[22:23], v[30:31]
	v_mov_b64_e32 v[24:25], v[32:33]
	v_mov_b32_e32 v37, v12
	v_mov_b64_e32 v[26:27], v[34:35]
	v_dual_mov_b32 v30, v4 :: v_dual_mov_b32 v4, v13
	v_mov_b32_e32 v12, v5
.LBB1329_20:
	s_or_b32 exec_lo, exec_lo, s4
	v_dual_cndmask_b32 v28, v49, v38, s3 :: v_dual_add_f32 v13, 0, v36
	s_delay_alu instid0(VALU_DEP_4) | instskip(SKIP_1) | instid1(VALU_DEP_2)
	v_dual_mov_b32 v17, v25 :: v_dual_mov_b32 v18, v26
	s_mov_b32 s6, exec_lo
	v_dual_add_f32 v5, 0, v28 :: v_dual_ashrrev_i32 v15, 31, v13
	s_delay_alu instid0(VALU_DEP_1) | instskip(NEXT) | instid1(VALU_DEP_2)
	v_dual_mov_b32 v16, v24 :: v_dual_ashrrev_i32 v14, 31, v5
	v_bitop3_b32 v29, v15, v13, 0x80000000 bitop3:0x36
	s_delay_alu instid0(VALU_DEP_2) | instskip(NEXT) | instid1(VALU_DEP_1)
	v_bitop3_b32 v5, v14, v5, 0x80000000 bitop3:0x36
	v_cmp_gt_u32_e64 s3, v12, v5
	v_dual_mov_b32 v19, v27 :: v_dual_mov_b32 v5, v4
	s_delay_alu instid0(VALU_DEP_2)
	v_dual_cndmask_b32 v15, v23, v21, s3 :: v_dual_cndmask_b32 v13, v21, v23, s3
	v_dual_cndmask_b32 v14, v22, v20, s3 :: v_dual_cndmask_b32 v12, v20, v22, s3
	v_cmpx_gt_u32_e64 v29, v37
; %bb.21:
	v_dual_mov_b32 v16, v26 :: v_dual_mov_b32 v17, v27
	v_dual_mov_b32 v18, v24 :: v_dual_mov_b32 v19, v25
	;; [unrolled: 1-line block ×3, first 2 shown]
	v_mov_b32_e32 v37, v29
; %bb.22:
	s_or_b32 exec_lo, exec_lo, s6
	s_delay_alu instid0(VALU_DEP_2) | instskip(NEXT) | instid1(VALU_DEP_1)
	v_dual_cndmask_b32 v4, v30, v28, s3 :: v_dual_mov_b32 v39, v5
	v_add_f32_e32 v20, 0, v4
	s_delay_alu instid0(VALU_DEP_1) | instskip(NEXT) | instid1(VALU_DEP_1)
	v_ashrrev_i32_e32 v21, 31, v20
	v_bitop3_b32 v20, v21, v20, 0x80000000 bitop3:0x36
	s_delay_alu instid0(VALU_DEP_1)
	v_cmp_gt_u32_e64 s4, v37, v20
	v_mov_b64_e32 v[20:21], v[4:5]
	s_and_saveexec_b32 s6, s4
	s_cbranch_execz .LBB1329_24
; %bb.23:
	v_dual_mov_b32 v64, v12 :: v_dual_mov_b32 v65, v13
	v_dual_mov_b32 v66, v16 :: v_dual_mov_b32 v67, v17
	;; [unrolled: 1-line block ×4, first 2 shown]
	s_delay_alu instid0(VALU_DEP_4) | instskip(NEXT) | instid1(VALU_DEP_4)
	v_mov_b64_e32 v[12:13], v[64:65]
	v_mov_b64_e32 v[14:15], v[66:67]
	s_delay_alu instid0(VALU_DEP_4)
	v_mov_b64_e32 v[16:17], v[68:69]
	v_dual_mov_b32 v20, v5 :: v_dual_mov_b32 v21, v4
	v_mov_b64_e32 v[18:19], v[70:71]
	v_dual_mov_b32 v39, v4 :: v_dual_mov_b32 v4, v5
.LBB1329_24:
	s_or_b32 exec_lo, exec_lo, s6
	v_cndmask_b32_e64 v49, v28, v30, s3
	s_delay_alu instid0(VALU_DEP_2)
	v_mov_b32_e32 v38, v4
.LBB1329_25:
	s_or_b32 exec_lo, exec_lo, s5
	v_and_b32_e32 v22, 0xffffff80, v1
	v_dual_mov_b32 v23, 0 :: v_dual_bitop2_b32 v24, 4, v50 bitop3:0x54
	v_and_b32_e32 v34, 0x78, v50
	s_mov_b32 s4, exec_lo
	s_delay_alu instid0(VALU_DEP_3) | instskip(NEXT) | instid1(VALU_DEP_3)
	v_sub_nc_u32_e64 v1, 0x400, v22 clamp
	v_lshlrev_b64_e32 v[4:5], 2, v[22:23]
	s_delay_alu instid0(VALU_DEP_2) | instskip(NEXT) | instid1(VALU_DEP_2)
	v_min_u32_e32 v32, v1, v24
	v_add_nc_u64_e32 v[10:11], v[10:11], v[4:5]
	s_delay_alu instid0(VALU_DEP_2) | instskip(NEXT) | instid1(VALU_DEP_1)
	v_add_min_u32_e64 v33, v32, 4, v1
	v_dual_sub_nc_u32 v24, v33, v32 :: v_dual_bitop2_b32 v22, 4, v50 bitop3:0x40
	s_delay_alu instid0(VALU_DEP_3) | instskip(NEXT) | instid1(VALU_DEP_2)
	v_add_nc_u64_e32 v[4:5], v[10:11], v[4:5]
	v_min_u32_e32 v35, v1, v22
	v_sub_nc_u32_e32 v22, v32, v34
	v_lshl_add_u32 v5, v50, 2, v10
	s_delay_alu instid0(VALU_DEP_3) | instskip(SKIP_1) | instid1(VALU_DEP_4)
	v_sub_nc_u32_e64 v37, v35, v24 clamp
	v_lshl_add_u32 v31, v50, 3, v4
	v_min_u32_e32 v26, v35, v22
	s_delay_alu instid0(VALU_DEP_2)
	v_add_nc_u32_e32 v22, 0x1000, v31
	ds_store_2addr_b32 v5, v20, v21 offset0:1 offset1:2
	ds_store_2addr_b32 v5, v49, v36 offset1:3
	ds_store_2addr_b64 v22, v[12:13], v[14:15] offset1:1
	ds_store_2addr_b64 v22, v[16:17], v[18:19] offset0:2 offset1:3
	; wave barrier
	v_cmpx_lt_u32_e64 v37, v26
	s_cbranch_execz .LBB1329_29
; %bb.26:
	v_lshlrev_b32_e32 v22, 2, v34
	s_mov_b32 s5, 0
	s_delay_alu instid0(VALU_DEP_1) | instskip(SKIP_1) | instid1(VALU_DEP_1)
	v_add_nc_u64_e32 v[24:25], v[10:11], v[22:23]
	v_lshlrev_b32_e32 v22, 2, v32
	v_add_nc_u64_e32 v[22:23], v[10:11], v[22:23]
.LBB1329_27:                            ; =>This Inner Loop Header: Depth=1
	v_add_nc_u32_e32 v23, v26, v37
	s_delay_alu instid0(VALU_DEP_1) | instskip(NEXT) | instid1(VALU_DEP_1)
	v_lshrrev_b32_e32 v23, 1, v23
	v_xad_u32 v25, v23, -1, v35
	v_lshl_add_u32 v27, v23, 2, v24
	s_delay_alu instid0(VALU_DEP_2) | instskip(SKIP_4) | instid1(VALU_DEP_1)
	v_lshl_add_u32 v25, v25, 2, v22
	ds_load_b32 v29, v27
	ds_load_b32 v28, v25
	s_wait_dscnt 0x0
	v_pk_add_f32 v[28:29], v[28:29], 0 op_sel_hi:[1,0]
	v_dual_ashrrev_i32 v25, 31, v29 :: v_dual_ashrrev_i32 v27, 31, v28
	s_delay_alu instid0(VALU_DEP_1) | instskip(NEXT) | instid1(VALU_DEP_2)
	v_or_b32_e32 v25, 0x80000000, v25
	v_or_b32_e32 v27, 0x80000000, v27
	s_delay_alu instid0(VALU_DEP_2) | instskip(NEXT) | instid1(VALU_DEP_2)
	v_xor_b32_e32 v25, v25, v29
	v_dual_add_nc_u32 v28, 1, v23 :: v_dual_bitop2_b32 v27, v27, v28 bitop3:0x14
	s_delay_alu instid0(VALU_DEP_1) | instskip(NEXT) | instid1(VALU_DEP_1)
	v_cmp_gt_u32_e64 s3, v27, v25
	v_dual_cndmask_b32 v26, v26, v23, s3 :: v_dual_cndmask_b32 v37, v28, v37, s3
	s_delay_alu instid0(VALU_DEP_1) | instskip(SKIP_1) | instid1(SALU_CYCLE_1)
	v_cmp_ge_u32_e64 s3, v37, v26
	s_or_b32 s5, s3, s5
	s_and_not1_b32 exec_lo, exec_lo, s5
	s_cbranch_execnz .LBB1329_27
; %bb.28:
	s_or_b32 exec_lo, exec_lo, s5
.LBB1329_29:
	s_delay_alu instid0(SALU_CYCLE_1) | instskip(SKIP_3) | instid1(VALU_DEP_3)
	s_or_b32 exec_lo, exec_lo, s4
	v_dual_add_nc_u32 v23, v32, v35 :: v_dual_add_nc_u32 v22, v37, v34
	v_add_nc_u32_e32 v27, 0x1000, v31
	v_dual_add_nc_u32 v26, 4, v5 :: v_dual_add_nc_u32 v28, 12, v5
	v_sub_nc_u32_e32 v23, v23, v37
	s_delay_alu instid0(VALU_DEP_4)
	v_cmp_le_u32_e64 s3, v22, v32
	v_add_nc_u32_e32 v29, 0x1008, v31
	v_add_nc_u32_e32 v30, 0x1010, v31
	v_add_nc_u32_e32 v31, 0x1018, v31
	v_cmp_le_u32_e64 s4, v23, v33
	s_or_b32 s3, s3, s4
	s_delay_alu instid0(SALU_CYCLE_1)
	s_and_saveexec_b32 s5, s3
	s_cbranch_execz .LBB1329_49
; %bb.30:
	v_cmp_ge_u32_e64 s3, v22, v32
	s_mov_b32 s6, exec_lo
                                        ; implicit-def: $vgpr21
	v_cmpx_lt_u32_e64 v22, v32
; %bb.31:
	v_lshl_add_u32 v12, v22, 2, v10
	ds_load_b32 v21, v12
; %bb.32:
	s_or_b32 exec_lo, exec_lo, s6
	v_cmp_ge_u32_e64 s6, v23, v33
	s_mov_b32 s7, exec_lo
	v_cmpx_lt_u32_e64 v23, v33
; %bb.33:
	v_lshl_add_u32 v12, v23, 2, v10
	ds_load_b32 v20, v12
; %bb.34:
	s_or_b32 exec_lo, exec_lo, s7
	s_nor_b32 s3, s3, s6
	s_delay_alu instid0(SALU_CYCLE_1)
	s_and_saveexec_b32 s4, s3
	s_cbranch_execz .LBB1329_36
; %bb.35:
	s_wait_dscnt 0x0
	v_pk_add_f32 v[12:13], v[20:21], 0 op_sel_hi:[1,0]
	s_and_not1_b32 s6, s6, exec_lo
	s_delay_alu instid0(VALU_DEP_1) | instskip(NEXT) | instid1(VALU_DEP_1)
	v_dual_ashrrev_i32 v14, 31, v13 :: v_dual_ashrrev_i32 v15, 31, v12
	v_or_b32_e32 v14, 0x80000000, v14
	s_delay_alu instid0(VALU_DEP_2) | instskip(NEXT) | instid1(VALU_DEP_2)
	v_or_b32_e32 v15, 0x80000000, v15
	v_xor_b32_e32 v13, v14, v13
	s_delay_alu instid0(VALU_DEP_2) | instskip(NEXT) | instid1(VALU_DEP_1)
	v_xor_b32_e32 v12, v15, v12
	v_cmp_le_u32_e64 s3, v12, v13
	s_and_b32 s3, s3, exec_lo
	s_delay_alu instid0(SALU_CYCLE_1)
	s_or_b32 s6, s6, s3
.LBB1329_36:
	s_or_b32 exec_lo, exec_lo, s4
	v_dual_cndmask_b32 v12, v23, v22, s6 :: v_dual_cndmask_b32 v13, v33, v32, s6
	s_mov_b32 s7, -1
	s_mov_b32 s4, -1
	s_mov_b32 s8, exec_lo
	s_delay_alu instid0(VALU_DEP_1) | instskip(SKIP_1) | instid1(VALU_DEP_2)
	v_add_nc_u32_e32 v14, 1, v12
	v_lshl_add_u32 v12, v12, 3, v4
	v_add_min_u32_e64 v13, v13, -1, v14
	s_delay_alu instid0(VALU_DEP_1)
	v_lshl_add_u32 v13, v13, 2, v10
	ds_load_b32 v15, v13
	ds_load_b64 v[12:13], v12 offset:4096
	v_cndmask_b32_e64 v16, v14, v23, s6
	s_wait_dscnt 0x1
	v_dual_cndmask_b32 v23, v21, v15, s6 :: v_dual_cndmask_b32 v17, v22, v14, s6
	v_cndmask_b32_e64 v22, v15, v20, s6
	s_delay_alu instid0(VALU_DEP_3)
	v_cmpx_lt_u32_e64 v16, v33
	s_cbranch_execz .LBB1329_40
; %bb.37:
	s_mov_b32 s9, 0
	s_mov_b32 s4, exec_lo
	v_cmpx_lt_u32_e64 v17, v32
; %bb.38:
	v_dual_add_f32 v14, 0, v22 :: v_dual_add_f32 v15, 0, v23
	s_delay_alu instid0(VALU_DEP_1) | instskip(NEXT) | instid1(VALU_DEP_1)
	v_dual_ashrrev_i32 v18, 31, v14 :: v_dual_ashrrev_i32 v19, 31, v15
	v_bitop3_b32 v14, v18, v14, 0x80000000 bitop3:0x36
	s_delay_alu instid0(VALU_DEP_2) | instskip(NEXT) | instid1(VALU_DEP_1)
	v_bitop3_b32 v15, v19, v15, 0x80000000 bitop3:0x36
	v_cmp_le_u32_e64 s3, v14, v15
	s_and_b32 s9, s3, exec_lo
; %bb.39:
	s_or_b32 exec_lo, exec_lo, s4
	s_delay_alu instid0(SALU_CYCLE_1)
	s_or_not1_b32 s4, s9, exec_lo
.LBB1329_40:
	s_or_b32 exec_lo, exec_lo, s8
	v_dual_cndmask_b32 v14, v16, v17, s4 :: v_dual_cndmask_b32 v15, v33, v32, s4
	s_mov_b32 s8, exec_lo
	s_delay_alu instid0(VALU_DEP_1) | instskip(SKIP_1) | instid1(VALU_DEP_2)
	v_add_nc_u32_e32 v19, 1, v14
	v_lshl_add_u32 v14, v14, 3, v4
	v_add_min_u32_e64 v15, v15, -1, v19
	s_delay_alu instid0(VALU_DEP_1)
	v_lshl_add_u32 v15, v15, 2, v10
	ds_load_b32 v25, v15
	ds_load_b64 v[14:15], v14 offset:4096
	s_wait_dscnt 0x1
	v_dual_cndmask_b32 v24, v25, v22, s4 :: v_dual_cndmask_b32 v25, v23, v25, s4
	v_dual_cndmask_b32 v18, v19, v16, s4 :: v_dual_cndmask_b32 v19, v17, v19, s4
	s_delay_alu instid0(VALU_DEP_1)
	v_cmpx_lt_u32_e64 v18, v33
	s_cbranch_execz .LBB1329_44
; %bb.41:
	s_mov_b32 s9, 0
	s_mov_b32 s7, exec_lo
	v_cmpx_lt_u32_e64 v19, v32
; %bb.42:
	v_dual_add_f32 v16, 0, v24 :: v_dual_add_f32 v17, 0, v25
	s_delay_alu instid0(VALU_DEP_1) | instskip(NEXT) | instid1(VALU_DEP_1)
	v_dual_ashrrev_i32 v34, 31, v16 :: v_dual_ashrrev_i32 v35, 31, v17
	v_bitop3_b32 v16, v34, v16, 0x80000000 bitop3:0x36
	s_delay_alu instid0(VALU_DEP_2) | instskip(NEXT) | instid1(VALU_DEP_1)
	v_bitop3_b32 v17, v35, v17, 0x80000000 bitop3:0x36
	v_cmp_le_u32_e64 s3, v16, v17
	s_and_b32 s9, s3, exec_lo
; %bb.43:
	s_or_b32 exec_lo, exec_lo, s7
	s_delay_alu instid0(SALU_CYCLE_1)
	s_or_not1_b32 s7, s9, exec_lo
.LBB1329_44:
	s_or_b32 exec_lo, exec_lo, s8
	s_delay_alu instid0(VALU_DEP_2) | instskip(SKIP_2) | instid1(VALU_DEP_1)
	v_dual_cndmask_b32 v16, v18, v19, s7 :: v_dual_cndmask_b32 v17, v33, v32, s7
	s_mov_b32 s9, -1
	s_mov_b32 s8, exec_lo
	v_add_nc_u32_e32 v34, 1, v16
	v_lshl_add_u32 v16, v16, 3, v4
	s_delay_alu instid0(VALU_DEP_2) | instskip(SKIP_1) | instid1(VALU_DEP_2)
	v_add_min_u32_e64 v17, v17, -1, v34
	v_cndmask_b32_e64 v19, v19, v34, s7
	v_lshl_add_u32 v17, v17, 2, v10
	ds_load_b32 v35, v17
	ds_load_b64 v[16:17], v16 offset:4096
	s_wait_dscnt 0x1
	v_dual_cndmask_b32 v18, v34, v18, s7 :: v_dual_cndmask_b32 v34, v35, v24, s7
	v_cndmask_b32_e64 v35, v25, v35, s7
	s_delay_alu instid0(VALU_DEP_2)
	v_cmpx_lt_u32_e64 v18, v33
	s_cbranch_execz .LBB1329_48
; %bb.45:
	s_mov_b32 s10, 0
	s_mov_b32 s9, exec_lo
	v_cmpx_lt_u32_e64 v19, v32
; %bb.46:
	v_dual_add_f32 v32, 0, v34 :: v_dual_add_f32 v33, 0, v35
	s_delay_alu instid0(VALU_DEP_1) | instskip(NEXT) | instid1(VALU_DEP_1)
	v_dual_ashrrev_i32 v36, 31, v32 :: v_dual_ashrrev_i32 v37, 31, v33
	v_bitop3_b32 v32, v36, v32, 0x80000000 bitop3:0x36
	s_delay_alu instid0(VALU_DEP_2) | instskip(NEXT) | instid1(VALU_DEP_1)
	v_bitop3_b32 v33, v37, v33, 0x80000000 bitop3:0x36
	v_cmp_le_u32_e64 s3, v32, v33
	s_and_b32 s10, s3, exec_lo
; %bb.47:
	s_or_b32 exec_lo, exec_lo, s9
	s_delay_alu instid0(SALU_CYCLE_1)
	s_or_not1_b32 s9, s10, exec_lo
.LBB1329_48:
	s_or_b32 exec_lo, exec_lo, s8
	v_dual_cndmask_b32 v18, v18, v19, s9 :: v_dual_cndmask_b32 v39, v24, v25, s7
	v_dual_cndmask_b32 v38, v22, v23, s4 :: v_dual_cndmask_b32 v49, v20, v21, s6
	v_cndmask_b32_e64 v36, v34, v35, s9
	s_delay_alu instid0(VALU_DEP_3) | instskip(NEXT) | instid1(VALU_DEP_3)
	v_lshl_add_u32 v18, v18, 3, v4
	v_mov_b64_e32 v[20:21], v[38:39]
	ds_load_b64 v[18:19], v18 offset:4096
.LBB1329_49:
	s_or_b32 exec_lo, exec_lo, s5
	v_and_b32_e32 v34, 0x70, v50
	s_mov_b32 s4, exec_lo
	; wave barrier
	ds_store_b32 v5, v49
	v_or_b32_e32 v22, 8, v34
	ds_store_b64 v27, v[12:13]
	ds_store_b64 v29, v[14:15]
	ds_store_2addr_b32 v26, v20, v21 offset1:1
	s_wait_dscnt 0x5
	ds_store_b64 v30, v[16:17]
	ds_store_b32 v28, v36
	s_wait_dscnt 0x6
	ds_store_b64 v31, v[18:19]
	; wave barrier
	v_min_u32_e32 v32, v1, v22
	v_and_b32_e32 v22, 12, v50
	s_delay_alu instid0(VALU_DEP_2) | instskip(NEXT) | instid1(VALU_DEP_2)
	v_add_min_u32_e64 v33, v32, 8, v1
	v_min_u32_e32 v35, v1, v22
	s_delay_alu instid0(VALU_DEP_2) | instskip(NEXT) | instid1(VALU_DEP_1)
	v_dual_sub_nc_u32 v23, v32, v34 :: v_dual_sub_nc_u32 v22, v33, v32
	v_min_u32_e32 v48, v35, v23
	s_delay_alu instid0(VALU_DEP_2) | instskip(NEXT) | instid1(VALU_DEP_1)
	v_sub_nc_u32_e64 v37, v35, v22 clamp
	v_cmpx_lt_u32_e64 v37, v48
	s_cbranch_execz .LBB1329_53
; %bb.50:
	v_dual_mov_b32 v25, 0 :: v_dual_lshlrev_b32 v24, 2, v34
	s_mov_b32 s5, 0
	s_delay_alu instid0(VALU_DEP_1) | instskip(SKIP_1) | instid1(VALU_DEP_1)
	v_add_nc_u64_e32 v[22:23], v[10:11], v[24:25]
	v_lshlrev_b32_e32 v24, 2, v32
	v_add_nc_u64_e32 v[24:25], v[10:11], v[24:25]
.LBB1329_51:                            ; =>This Inner Loop Header: Depth=1
	v_add_nc_u32_e32 v23, v48, v37
	s_delay_alu instid0(VALU_DEP_1) | instskip(NEXT) | instid1(VALU_DEP_1)
	v_lshrrev_b32_e32 v23, 1, v23
	v_xad_u32 v25, v23, -1, v35
	v_lshl_add_u32 v51, v23, 2, v22
	s_delay_alu instid0(VALU_DEP_2) | instskip(SKIP_4) | instid1(VALU_DEP_1)
	v_lshl_add_u32 v25, v25, 2, v24
	ds_load_b32 v53, v51
	ds_load_b32 v52, v25
	s_wait_dscnt 0x0
	v_pk_add_f32 v[52:53], v[52:53], 0 op_sel_hi:[1,0]
	v_dual_ashrrev_i32 v25, 31, v53 :: v_dual_ashrrev_i32 v51, 31, v52
	s_delay_alu instid0(VALU_DEP_1) | instskip(NEXT) | instid1(VALU_DEP_2)
	v_or_b32_e32 v25, 0x80000000, v25
	v_or_b32_e32 v51, 0x80000000, v51
	s_delay_alu instid0(VALU_DEP_2) | instskip(NEXT) | instid1(VALU_DEP_2)
	v_xor_b32_e32 v25, v25, v53
	v_dual_add_nc_u32 v52, 1, v23 :: v_dual_bitop2_b32 v51, v51, v52 bitop3:0x14
	s_delay_alu instid0(VALU_DEP_1) | instskip(NEXT) | instid1(VALU_DEP_1)
	v_cmp_gt_u32_e64 s3, v51, v25
	v_cndmask_b32_e64 v48, v48, v23, s3
	s_delay_alu instid0(VALU_DEP_3) | instskip(NEXT) | instid1(VALU_DEP_1)
	v_cndmask_b32_e64 v37, v52, v37, s3
	v_cmp_ge_u32_e64 s3, v37, v48
	s_or_b32 s5, s3, s5
	s_delay_alu instid0(SALU_CYCLE_1)
	s_and_not1_b32 exec_lo, exec_lo, s5
	s_cbranch_execnz .LBB1329_51
; %bb.52:
	s_or_b32 exec_lo, exec_lo, s5
.LBB1329_53:
	s_delay_alu instid0(SALU_CYCLE_1) | instskip(SKIP_1) | instid1(VALU_DEP_1)
	s_or_b32 exec_lo, exec_lo, s4
	v_dual_add_nc_u32 v23, v32, v35 :: v_dual_add_nc_u32 v22, v37, v34
	v_sub_nc_u32_e32 v23, v23, v37
	s_delay_alu instid0(VALU_DEP_2) | instskip(NEXT) | instid1(VALU_DEP_2)
	v_cmp_le_u32_e64 s3, v22, v32
	v_cmp_le_u32_e64 s4, v23, v33
	s_or_b32 s3, s3, s4
	s_delay_alu instid0(SALU_CYCLE_1)
	s_and_saveexec_b32 s5, s3
	s_cbranch_execz .LBB1329_73
; %bb.54:
	v_cmp_ge_u32_e64 s3, v22, v32
	s_mov_b32 s6, exec_lo
                                        ; implicit-def: $vgpr21
	v_cmpx_lt_u32_e64 v22, v32
; %bb.55:
	v_lshl_add_u32 v12, v22, 2, v10
	ds_load_b32 v21, v12
; %bb.56:
	s_or_b32 exec_lo, exec_lo, s6
	v_cmp_ge_u32_e64 s6, v23, v33
	s_mov_b32 s7, exec_lo
	v_cmpx_lt_u32_e64 v23, v33
; %bb.57:
	v_lshl_add_u32 v12, v23, 2, v10
	ds_load_b32 v20, v12
; %bb.58:
	s_or_b32 exec_lo, exec_lo, s7
	s_nor_b32 s3, s3, s6
	s_delay_alu instid0(SALU_CYCLE_1)
	s_and_saveexec_b32 s4, s3
	s_cbranch_execz .LBB1329_60
; %bb.59:
	s_wait_dscnt 0x0
	v_pk_add_f32 v[12:13], v[20:21], 0 op_sel_hi:[1,0]
	s_and_not1_b32 s6, s6, exec_lo
	s_delay_alu instid0(VALU_DEP_1) | instskip(NEXT) | instid1(VALU_DEP_1)
	v_dual_ashrrev_i32 v14, 31, v13 :: v_dual_ashrrev_i32 v15, 31, v12
	v_or_b32_e32 v14, 0x80000000, v14
	s_delay_alu instid0(VALU_DEP_2) | instskip(NEXT) | instid1(VALU_DEP_2)
	v_or_b32_e32 v15, 0x80000000, v15
	v_xor_b32_e32 v13, v14, v13
	s_delay_alu instid0(VALU_DEP_2) | instskip(NEXT) | instid1(VALU_DEP_1)
	v_xor_b32_e32 v12, v15, v12
	v_cmp_le_u32_e64 s3, v12, v13
	s_and_b32 s3, s3, exec_lo
	s_delay_alu instid0(SALU_CYCLE_1)
	s_or_b32 s6, s6, s3
.LBB1329_60:
	s_or_b32 exec_lo, exec_lo, s4
	v_dual_cndmask_b32 v12, v23, v22, s6 :: v_dual_cndmask_b32 v13, v33, v32, s6
	s_mov_b32 s7, -1
	s_mov_b32 s4, -1
	s_mov_b32 s8, exec_lo
	s_delay_alu instid0(VALU_DEP_1) | instskip(SKIP_1) | instid1(VALU_DEP_2)
	v_add_nc_u32_e32 v14, 1, v12
	v_lshl_add_u32 v12, v12, 3, v4
	v_add_min_u32_e64 v13, v13, -1, v14
	s_delay_alu instid0(VALU_DEP_1)
	v_lshl_add_u32 v13, v13, 2, v10
	ds_load_b32 v15, v13
	ds_load_b64 v[12:13], v12 offset:4096
	v_cndmask_b32_e64 v16, v14, v23, s6
	s_wait_dscnt 0x1
	v_dual_cndmask_b32 v23, v21, v15, s6 :: v_dual_cndmask_b32 v17, v22, v14, s6
	v_cndmask_b32_e64 v22, v15, v20, s6
	s_delay_alu instid0(VALU_DEP_3)
	v_cmpx_lt_u32_e64 v16, v33
	s_cbranch_execz .LBB1329_64
; %bb.61:
	s_mov_b32 s9, 0
	s_mov_b32 s4, exec_lo
	v_cmpx_lt_u32_e64 v17, v32
; %bb.62:
	v_dual_add_f32 v14, 0, v22 :: v_dual_add_f32 v15, 0, v23
	s_delay_alu instid0(VALU_DEP_1) | instskip(NEXT) | instid1(VALU_DEP_1)
	v_dual_ashrrev_i32 v18, 31, v14 :: v_dual_ashrrev_i32 v19, 31, v15
	v_bitop3_b32 v14, v18, v14, 0x80000000 bitop3:0x36
	s_delay_alu instid0(VALU_DEP_2) | instskip(NEXT) | instid1(VALU_DEP_1)
	v_bitop3_b32 v15, v19, v15, 0x80000000 bitop3:0x36
	v_cmp_le_u32_e64 s3, v14, v15
	s_and_b32 s9, s3, exec_lo
; %bb.63:
	s_or_b32 exec_lo, exec_lo, s4
	s_delay_alu instid0(SALU_CYCLE_1)
	s_or_not1_b32 s4, s9, exec_lo
.LBB1329_64:
	s_or_b32 exec_lo, exec_lo, s8
	v_dual_cndmask_b32 v14, v16, v17, s4 :: v_dual_cndmask_b32 v15, v33, v32, s4
	s_mov_b32 s8, exec_lo
	s_delay_alu instid0(VALU_DEP_1) | instskip(SKIP_1) | instid1(VALU_DEP_2)
	v_add_nc_u32_e32 v19, 1, v14
	v_lshl_add_u32 v14, v14, 3, v4
	v_add_min_u32_e64 v15, v15, -1, v19
	s_delay_alu instid0(VALU_DEP_1)
	v_lshl_add_u32 v15, v15, 2, v10
	ds_load_b32 v25, v15
	ds_load_b64 v[14:15], v14 offset:4096
	s_wait_dscnt 0x1
	v_dual_cndmask_b32 v24, v25, v22, s4 :: v_dual_cndmask_b32 v25, v23, v25, s4
	v_dual_cndmask_b32 v18, v19, v16, s4 :: v_dual_cndmask_b32 v19, v17, v19, s4
	s_delay_alu instid0(VALU_DEP_1)
	v_cmpx_lt_u32_e64 v18, v33
	s_cbranch_execz .LBB1329_68
; %bb.65:
	s_mov_b32 s9, 0
	s_mov_b32 s7, exec_lo
	v_cmpx_lt_u32_e64 v19, v32
; %bb.66:
	v_dual_add_f32 v16, 0, v24 :: v_dual_add_f32 v17, 0, v25
	s_delay_alu instid0(VALU_DEP_1) | instskip(NEXT) | instid1(VALU_DEP_1)
	v_dual_ashrrev_i32 v34, 31, v16 :: v_dual_ashrrev_i32 v35, 31, v17
	v_bitop3_b32 v16, v34, v16, 0x80000000 bitop3:0x36
	s_delay_alu instid0(VALU_DEP_2) | instskip(NEXT) | instid1(VALU_DEP_1)
	v_bitop3_b32 v17, v35, v17, 0x80000000 bitop3:0x36
	v_cmp_le_u32_e64 s3, v16, v17
	s_and_b32 s9, s3, exec_lo
; %bb.67:
	s_or_b32 exec_lo, exec_lo, s7
	s_delay_alu instid0(SALU_CYCLE_1)
	s_or_not1_b32 s7, s9, exec_lo
.LBB1329_68:
	s_or_b32 exec_lo, exec_lo, s8
	s_delay_alu instid0(VALU_DEP_2) | instskip(SKIP_2) | instid1(VALU_DEP_1)
	v_dual_cndmask_b32 v16, v18, v19, s7 :: v_dual_cndmask_b32 v17, v33, v32, s7
	s_mov_b32 s9, -1
	s_mov_b32 s8, exec_lo
	v_add_nc_u32_e32 v34, 1, v16
	v_lshl_add_u32 v16, v16, 3, v4
	s_delay_alu instid0(VALU_DEP_2) | instskip(SKIP_1) | instid1(VALU_DEP_2)
	v_add_min_u32_e64 v17, v17, -1, v34
	v_cndmask_b32_e64 v19, v19, v34, s7
	v_lshl_add_u32 v17, v17, 2, v10
	ds_load_b32 v35, v17
	ds_load_b64 v[16:17], v16 offset:4096
	s_wait_dscnt 0x1
	v_dual_cndmask_b32 v18, v34, v18, s7 :: v_dual_cndmask_b32 v34, v35, v24, s7
	v_cndmask_b32_e64 v35, v25, v35, s7
	s_delay_alu instid0(VALU_DEP_2)
	v_cmpx_lt_u32_e64 v18, v33
	s_cbranch_execz .LBB1329_72
; %bb.69:
	s_mov_b32 s10, 0
	s_mov_b32 s9, exec_lo
	v_cmpx_lt_u32_e64 v19, v32
; %bb.70:
	v_dual_add_f32 v32, 0, v34 :: v_dual_add_f32 v33, 0, v35
	s_delay_alu instid0(VALU_DEP_1) | instskip(NEXT) | instid1(VALU_DEP_1)
	v_dual_ashrrev_i32 v36, 31, v32 :: v_dual_ashrrev_i32 v37, 31, v33
	v_bitop3_b32 v32, v36, v32, 0x80000000 bitop3:0x36
	s_delay_alu instid0(VALU_DEP_2) | instskip(NEXT) | instid1(VALU_DEP_1)
	v_bitop3_b32 v33, v37, v33, 0x80000000 bitop3:0x36
	v_cmp_le_u32_e64 s3, v32, v33
	s_and_b32 s10, s3, exec_lo
; %bb.71:
	s_or_b32 exec_lo, exec_lo, s9
	s_delay_alu instid0(SALU_CYCLE_1)
	s_or_not1_b32 s9, s10, exec_lo
.LBB1329_72:
	s_or_b32 exec_lo, exec_lo, s8
	v_dual_cndmask_b32 v18, v18, v19, s9 :: v_dual_cndmask_b32 v39, v24, v25, s7
	v_dual_cndmask_b32 v38, v22, v23, s4 :: v_dual_cndmask_b32 v49, v20, v21, s6
	v_cndmask_b32_e64 v36, v34, v35, s9
	s_delay_alu instid0(VALU_DEP_3) | instskip(NEXT) | instid1(VALU_DEP_3)
	v_lshl_add_u32 v18, v18, 3, v4
	v_mov_b64_e32 v[20:21], v[38:39]
	ds_load_b64 v[18:19], v18 offset:4096
.LBB1329_73:
	s_or_b32 exec_lo, exec_lo, s5
	v_and_b32_e32 v34, 0x60, v50
	s_mov_b32 s4, exec_lo
	; wave barrier
	ds_store_b32 v5, v49
	v_or_b32_e32 v22, 16, v34
	ds_store_b64 v27, v[12:13]
	ds_store_b64 v29, v[14:15]
	ds_store_2addr_b32 v26, v20, v21 offset1:1
	s_wait_dscnt 0x5
	ds_store_b64 v30, v[16:17]
	ds_store_b32 v28, v36
	s_wait_dscnt 0x6
	ds_store_b64 v31, v[18:19]
	; wave barrier
	v_min_u32_e32 v32, v1, v22
	v_and_b32_e32 v22, 28, v50
	s_delay_alu instid0(VALU_DEP_2) | instskip(NEXT) | instid1(VALU_DEP_2)
	v_add_min_u32_e64 v33, v32, 16, v1
	v_min_u32_e32 v35, v1, v22
	s_delay_alu instid0(VALU_DEP_2) | instskip(NEXT) | instid1(VALU_DEP_1)
	v_dual_sub_nc_u32 v23, v32, v34 :: v_dual_sub_nc_u32 v22, v33, v32
	v_min_u32_e32 v48, v35, v23
	s_delay_alu instid0(VALU_DEP_2) | instskip(NEXT) | instid1(VALU_DEP_1)
	v_sub_nc_u32_e64 v37, v35, v22 clamp
	v_cmpx_lt_u32_e64 v37, v48
	s_cbranch_execz .LBB1329_77
; %bb.74:
	v_dual_mov_b32 v25, 0 :: v_dual_lshlrev_b32 v24, 2, v34
	s_mov_b32 s5, 0
	s_delay_alu instid0(VALU_DEP_1) | instskip(SKIP_1) | instid1(VALU_DEP_1)
	v_add_nc_u64_e32 v[22:23], v[10:11], v[24:25]
	v_lshlrev_b32_e32 v24, 2, v32
	v_add_nc_u64_e32 v[24:25], v[10:11], v[24:25]
.LBB1329_75:                            ; =>This Inner Loop Header: Depth=1
	v_add_nc_u32_e32 v23, v48, v37
	s_delay_alu instid0(VALU_DEP_1) | instskip(NEXT) | instid1(VALU_DEP_1)
	v_lshrrev_b32_e32 v23, 1, v23
	v_xad_u32 v25, v23, -1, v35
	v_lshl_add_u32 v51, v23, 2, v22
	s_delay_alu instid0(VALU_DEP_2) | instskip(SKIP_4) | instid1(VALU_DEP_1)
	v_lshl_add_u32 v25, v25, 2, v24
	ds_load_b32 v53, v51
	ds_load_b32 v52, v25
	s_wait_dscnt 0x0
	v_pk_add_f32 v[52:53], v[52:53], 0 op_sel_hi:[1,0]
	v_dual_ashrrev_i32 v25, 31, v53 :: v_dual_ashrrev_i32 v51, 31, v52
	s_delay_alu instid0(VALU_DEP_1) | instskip(NEXT) | instid1(VALU_DEP_2)
	v_or_b32_e32 v25, 0x80000000, v25
	v_or_b32_e32 v51, 0x80000000, v51
	s_delay_alu instid0(VALU_DEP_2) | instskip(NEXT) | instid1(VALU_DEP_2)
	v_xor_b32_e32 v25, v25, v53
	v_dual_add_nc_u32 v52, 1, v23 :: v_dual_bitop2_b32 v51, v51, v52 bitop3:0x14
	s_delay_alu instid0(VALU_DEP_1) | instskip(NEXT) | instid1(VALU_DEP_1)
	v_cmp_gt_u32_e64 s3, v51, v25
	v_cndmask_b32_e64 v48, v48, v23, s3
	s_delay_alu instid0(VALU_DEP_3) | instskip(NEXT) | instid1(VALU_DEP_1)
	v_cndmask_b32_e64 v37, v52, v37, s3
	v_cmp_ge_u32_e64 s3, v37, v48
	s_or_b32 s5, s3, s5
	s_delay_alu instid0(SALU_CYCLE_1)
	s_and_not1_b32 exec_lo, exec_lo, s5
	s_cbranch_execnz .LBB1329_75
; %bb.76:
	s_or_b32 exec_lo, exec_lo, s5
.LBB1329_77:
	s_delay_alu instid0(SALU_CYCLE_1) | instskip(SKIP_1) | instid1(VALU_DEP_1)
	s_or_b32 exec_lo, exec_lo, s4
	v_dual_add_nc_u32 v23, v32, v35 :: v_dual_add_nc_u32 v22, v37, v34
	v_sub_nc_u32_e32 v23, v23, v37
	s_delay_alu instid0(VALU_DEP_2) | instskip(NEXT) | instid1(VALU_DEP_2)
	v_cmp_le_u32_e64 s3, v22, v32
	v_cmp_le_u32_e64 s4, v23, v33
	s_or_b32 s3, s3, s4
	s_delay_alu instid0(SALU_CYCLE_1)
	s_and_saveexec_b32 s5, s3
	s_cbranch_execz .LBB1329_97
; %bb.78:
	v_cmp_ge_u32_e64 s3, v22, v32
	s_mov_b32 s6, exec_lo
                                        ; implicit-def: $vgpr21
	v_cmpx_lt_u32_e64 v22, v32
; %bb.79:
	v_lshl_add_u32 v12, v22, 2, v10
	ds_load_b32 v21, v12
; %bb.80:
	s_or_b32 exec_lo, exec_lo, s6
	v_cmp_ge_u32_e64 s6, v23, v33
	s_mov_b32 s7, exec_lo
	v_cmpx_lt_u32_e64 v23, v33
; %bb.81:
	v_lshl_add_u32 v12, v23, 2, v10
	ds_load_b32 v20, v12
; %bb.82:
	s_or_b32 exec_lo, exec_lo, s7
	s_nor_b32 s3, s3, s6
	s_delay_alu instid0(SALU_CYCLE_1)
	s_and_saveexec_b32 s4, s3
	s_cbranch_execz .LBB1329_84
; %bb.83:
	s_wait_dscnt 0x0
	v_pk_add_f32 v[12:13], v[20:21], 0 op_sel_hi:[1,0]
	s_and_not1_b32 s6, s6, exec_lo
	s_delay_alu instid0(VALU_DEP_1) | instskip(NEXT) | instid1(VALU_DEP_1)
	v_dual_ashrrev_i32 v14, 31, v13 :: v_dual_ashrrev_i32 v15, 31, v12
	v_or_b32_e32 v14, 0x80000000, v14
	s_delay_alu instid0(VALU_DEP_2) | instskip(NEXT) | instid1(VALU_DEP_2)
	v_or_b32_e32 v15, 0x80000000, v15
	v_xor_b32_e32 v13, v14, v13
	s_delay_alu instid0(VALU_DEP_2) | instskip(NEXT) | instid1(VALU_DEP_1)
	v_xor_b32_e32 v12, v15, v12
	v_cmp_le_u32_e64 s3, v12, v13
	s_and_b32 s3, s3, exec_lo
	s_delay_alu instid0(SALU_CYCLE_1)
	s_or_b32 s6, s6, s3
.LBB1329_84:
	s_or_b32 exec_lo, exec_lo, s4
	v_dual_cndmask_b32 v12, v23, v22, s6 :: v_dual_cndmask_b32 v13, v33, v32, s6
	s_mov_b32 s7, -1
	s_mov_b32 s4, -1
	s_mov_b32 s8, exec_lo
	s_delay_alu instid0(VALU_DEP_1) | instskip(SKIP_1) | instid1(VALU_DEP_2)
	v_add_nc_u32_e32 v14, 1, v12
	v_lshl_add_u32 v12, v12, 3, v4
	v_add_min_u32_e64 v13, v13, -1, v14
	s_delay_alu instid0(VALU_DEP_1)
	v_lshl_add_u32 v13, v13, 2, v10
	ds_load_b32 v15, v13
	ds_load_b64 v[12:13], v12 offset:4096
	v_cndmask_b32_e64 v16, v14, v23, s6
	s_wait_dscnt 0x1
	v_dual_cndmask_b32 v23, v21, v15, s6 :: v_dual_cndmask_b32 v17, v22, v14, s6
	v_cndmask_b32_e64 v22, v15, v20, s6
	s_delay_alu instid0(VALU_DEP_3)
	v_cmpx_lt_u32_e64 v16, v33
	s_cbranch_execz .LBB1329_88
; %bb.85:
	s_mov_b32 s9, 0
	s_mov_b32 s4, exec_lo
	v_cmpx_lt_u32_e64 v17, v32
; %bb.86:
	v_dual_add_f32 v14, 0, v22 :: v_dual_add_f32 v15, 0, v23
	s_delay_alu instid0(VALU_DEP_1) | instskip(NEXT) | instid1(VALU_DEP_1)
	v_dual_ashrrev_i32 v18, 31, v14 :: v_dual_ashrrev_i32 v19, 31, v15
	v_bitop3_b32 v14, v18, v14, 0x80000000 bitop3:0x36
	s_delay_alu instid0(VALU_DEP_2) | instskip(NEXT) | instid1(VALU_DEP_1)
	v_bitop3_b32 v15, v19, v15, 0x80000000 bitop3:0x36
	v_cmp_le_u32_e64 s3, v14, v15
	s_and_b32 s9, s3, exec_lo
; %bb.87:
	s_or_b32 exec_lo, exec_lo, s4
	s_delay_alu instid0(SALU_CYCLE_1)
	s_or_not1_b32 s4, s9, exec_lo
.LBB1329_88:
	s_or_b32 exec_lo, exec_lo, s8
	v_dual_cndmask_b32 v14, v16, v17, s4 :: v_dual_cndmask_b32 v15, v33, v32, s4
	s_mov_b32 s8, exec_lo
	s_delay_alu instid0(VALU_DEP_1) | instskip(SKIP_1) | instid1(VALU_DEP_2)
	v_add_nc_u32_e32 v19, 1, v14
	v_lshl_add_u32 v14, v14, 3, v4
	v_add_min_u32_e64 v15, v15, -1, v19
	s_delay_alu instid0(VALU_DEP_1)
	v_lshl_add_u32 v15, v15, 2, v10
	ds_load_b32 v25, v15
	ds_load_b64 v[14:15], v14 offset:4096
	s_wait_dscnt 0x1
	v_dual_cndmask_b32 v24, v25, v22, s4 :: v_dual_cndmask_b32 v25, v23, v25, s4
	v_dual_cndmask_b32 v18, v19, v16, s4 :: v_dual_cndmask_b32 v19, v17, v19, s4
	s_delay_alu instid0(VALU_DEP_1)
	v_cmpx_lt_u32_e64 v18, v33
	s_cbranch_execz .LBB1329_92
; %bb.89:
	s_mov_b32 s9, 0
	s_mov_b32 s7, exec_lo
	v_cmpx_lt_u32_e64 v19, v32
; %bb.90:
	v_dual_add_f32 v16, 0, v24 :: v_dual_add_f32 v17, 0, v25
	s_delay_alu instid0(VALU_DEP_1) | instskip(NEXT) | instid1(VALU_DEP_1)
	v_dual_ashrrev_i32 v34, 31, v16 :: v_dual_ashrrev_i32 v35, 31, v17
	v_bitop3_b32 v16, v34, v16, 0x80000000 bitop3:0x36
	s_delay_alu instid0(VALU_DEP_2) | instskip(NEXT) | instid1(VALU_DEP_1)
	v_bitop3_b32 v17, v35, v17, 0x80000000 bitop3:0x36
	v_cmp_le_u32_e64 s3, v16, v17
	s_and_b32 s9, s3, exec_lo
; %bb.91:
	s_or_b32 exec_lo, exec_lo, s7
	s_delay_alu instid0(SALU_CYCLE_1)
	s_or_not1_b32 s7, s9, exec_lo
.LBB1329_92:
	s_or_b32 exec_lo, exec_lo, s8
	s_delay_alu instid0(VALU_DEP_2) | instskip(SKIP_2) | instid1(VALU_DEP_1)
	v_dual_cndmask_b32 v16, v18, v19, s7 :: v_dual_cndmask_b32 v17, v33, v32, s7
	s_mov_b32 s9, -1
	s_mov_b32 s8, exec_lo
	v_add_nc_u32_e32 v34, 1, v16
	v_lshl_add_u32 v16, v16, 3, v4
	s_delay_alu instid0(VALU_DEP_2) | instskip(SKIP_1) | instid1(VALU_DEP_2)
	v_add_min_u32_e64 v17, v17, -1, v34
	v_cndmask_b32_e64 v19, v19, v34, s7
	v_lshl_add_u32 v17, v17, 2, v10
	ds_load_b32 v35, v17
	ds_load_b64 v[16:17], v16 offset:4096
	s_wait_dscnt 0x1
	v_dual_cndmask_b32 v18, v34, v18, s7 :: v_dual_cndmask_b32 v34, v35, v24, s7
	v_cndmask_b32_e64 v35, v25, v35, s7
	s_delay_alu instid0(VALU_DEP_2)
	v_cmpx_lt_u32_e64 v18, v33
	s_cbranch_execz .LBB1329_96
; %bb.93:
	s_mov_b32 s10, 0
	s_mov_b32 s9, exec_lo
	v_cmpx_lt_u32_e64 v19, v32
; %bb.94:
	v_dual_add_f32 v32, 0, v34 :: v_dual_add_f32 v33, 0, v35
	s_delay_alu instid0(VALU_DEP_1) | instskip(NEXT) | instid1(VALU_DEP_1)
	v_dual_ashrrev_i32 v36, 31, v32 :: v_dual_ashrrev_i32 v37, 31, v33
	v_bitop3_b32 v32, v36, v32, 0x80000000 bitop3:0x36
	s_delay_alu instid0(VALU_DEP_2) | instskip(NEXT) | instid1(VALU_DEP_1)
	v_bitop3_b32 v33, v37, v33, 0x80000000 bitop3:0x36
	v_cmp_le_u32_e64 s3, v32, v33
	s_and_b32 s10, s3, exec_lo
; %bb.95:
	s_or_b32 exec_lo, exec_lo, s9
	s_delay_alu instid0(SALU_CYCLE_1)
	s_or_not1_b32 s9, s10, exec_lo
.LBB1329_96:
	s_or_b32 exec_lo, exec_lo, s8
	v_dual_cndmask_b32 v18, v18, v19, s9 :: v_dual_cndmask_b32 v39, v24, v25, s7
	v_dual_cndmask_b32 v38, v22, v23, s4 :: v_dual_cndmask_b32 v49, v20, v21, s6
	v_cndmask_b32_e64 v36, v34, v35, s9
	s_delay_alu instid0(VALU_DEP_3) | instskip(NEXT) | instid1(VALU_DEP_3)
	v_lshl_add_u32 v18, v18, 3, v4
	v_mov_b64_e32 v[20:21], v[38:39]
	ds_load_b64 v[18:19], v18 offset:4096
.LBB1329_97:
	s_or_b32 exec_lo, exec_lo, s5
	v_and_b32_e32 v34, 64, v50
	s_mov_b32 s4, exec_lo
	; wave barrier
	ds_store_b32 v5, v49
	v_or_b32_e32 v22, 32, v34
	ds_store_b64 v27, v[12:13]
	ds_store_b64 v29, v[14:15]
	ds_store_2addr_b32 v26, v20, v21 offset1:1
	s_wait_dscnt 0x5
	ds_store_b64 v30, v[16:17]
	ds_store_b32 v28, v36
	s_wait_dscnt 0x6
	ds_store_b64 v31, v[18:19]
	; wave barrier
	v_min_u32_e32 v32, v1, v22
	v_and_b32_e32 v22, 60, v50
	s_delay_alu instid0(VALU_DEP_2) | instskip(NEXT) | instid1(VALU_DEP_2)
	v_add_min_u32_e64 v33, v32, 32, v1
	v_min_u32_e32 v35, v1, v22
	s_delay_alu instid0(VALU_DEP_2) | instskip(NEXT) | instid1(VALU_DEP_1)
	v_dual_sub_nc_u32 v22, v33, v32 :: v_dual_sub_nc_u32 v23, v32, v34
	v_sub_nc_u32_e64 v37, v35, v22 clamp
	s_delay_alu instid0(VALU_DEP_2) | instskip(NEXT) | instid1(VALU_DEP_1)
	v_min_u32_e32 v48, v35, v23
	v_cmpx_lt_u32_e64 v37, v48
	s_cbranch_execz .LBB1329_101
; %bb.98:
	v_dual_mov_b32 v25, 0 :: v_dual_lshlrev_b32 v24, 2, v34
	s_mov_b32 s5, 0
	s_delay_alu instid0(VALU_DEP_1) | instskip(SKIP_1) | instid1(VALU_DEP_1)
	v_add_nc_u64_e32 v[22:23], v[10:11], v[24:25]
	v_lshlrev_b32_e32 v24, 2, v32
	v_add_nc_u64_e32 v[24:25], v[10:11], v[24:25]
.LBB1329_99:                            ; =>This Inner Loop Header: Depth=1
	v_add_nc_u32_e32 v23, v48, v37
	s_delay_alu instid0(VALU_DEP_1) | instskip(NEXT) | instid1(VALU_DEP_1)
	v_lshrrev_b32_e32 v23, 1, v23
	v_xad_u32 v25, v23, -1, v35
	v_lshl_add_u32 v51, v23, 2, v22
	s_delay_alu instid0(VALU_DEP_2) | instskip(SKIP_4) | instid1(VALU_DEP_1)
	v_lshl_add_u32 v25, v25, 2, v24
	ds_load_b32 v53, v51
	ds_load_b32 v52, v25
	s_wait_dscnt 0x0
	v_pk_add_f32 v[52:53], v[52:53], 0 op_sel_hi:[1,0]
	v_dual_ashrrev_i32 v25, 31, v53 :: v_dual_ashrrev_i32 v51, 31, v52
	s_delay_alu instid0(VALU_DEP_1) | instskip(NEXT) | instid1(VALU_DEP_2)
	v_or_b32_e32 v25, 0x80000000, v25
	v_or_b32_e32 v51, 0x80000000, v51
	s_delay_alu instid0(VALU_DEP_2) | instskip(NEXT) | instid1(VALU_DEP_2)
	v_xor_b32_e32 v25, v25, v53
	v_dual_add_nc_u32 v52, 1, v23 :: v_dual_bitop2_b32 v51, v51, v52 bitop3:0x14
	s_delay_alu instid0(VALU_DEP_1) | instskip(NEXT) | instid1(VALU_DEP_1)
	v_cmp_gt_u32_e64 s3, v51, v25
	v_cndmask_b32_e64 v48, v48, v23, s3
	s_delay_alu instid0(VALU_DEP_3) | instskip(NEXT) | instid1(VALU_DEP_1)
	v_cndmask_b32_e64 v37, v52, v37, s3
	v_cmp_ge_u32_e64 s3, v37, v48
	s_or_b32 s5, s3, s5
	s_delay_alu instid0(SALU_CYCLE_1)
	s_and_not1_b32 exec_lo, exec_lo, s5
	s_cbranch_execnz .LBB1329_99
; %bb.100:
	s_or_b32 exec_lo, exec_lo, s5
.LBB1329_101:
	s_delay_alu instid0(SALU_CYCLE_1) | instskip(SKIP_1) | instid1(VALU_DEP_1)
	s_or_b32 exec_lo, exec_lo, s4
	v_dual_add_nc_u32 v23, v32, v35 :: v_dual_add_nc_u32 v22, v37, v34
	v_sub_nc_u32_e32 v23, v23, v37
	s_delay_alu instid0(VALU_DEP_2) | instskip(NEXT) | instid1(VALU_DEP_2)
	v_cmp_le_u32_e64 s3, v22, v32
	v_cmp_le_u32_e64 s4, v23, v33
	s_or_b32 s3, s3, s4
	s_delay_alu instid0(SALU_CYCLE_1)
	s_and_saveexec_b32 s5, s3
	s_cbranch_execz .LBB1329_121
; %bb.102:
	v_cmp_ge_u32_e64 s3, v22, v32
	s_mov_b32 s6, exec_lo
                                        ; implicit-def: $vgpr21
	v_cmpx_lt_u32_e64 v22, v32
; %bb.103:
	v_lshl_add_u32 v12, v22, 2, v10
	ds_load_b32 v21, v12
; %bb.104:
	s_or_b32 exec_lo, exec_lo, s6
	v_cmp_ge_u32_e64 s6, v23, v33
	s_mov_b32 s7, exec_lo
	v_cmpx_lt_u32_e64 v23, v33
; %bb.105:
	v_lshl_add_u32 v12, v23, 2, v10
	ds_load_b32 v20, v12
; %bb.106:
	s_or_b32 exec_lo, exec_lo, s7
	s_nor_b32 s3, s3, s6
	s_delay_alu instid0(SALU_CYCLE_1)
	s_and_saveexec_b32 s4, s3
	s_cbranch_execz .LBB1329_108
; %bb.107:
	s_wait_dscnt 0x0
	v_pk_add_f32 v[12:13], v[20:21], 0 op_sel_hi:[1,0]
	s_and_not1_b32 s6, s6, exec_lo
	s_delay_alu instid0(VALU_DEP_1) | instskip(NEXT) | instid1(VALU_DEP_1)
	v_dual_ashrrev_i32 v14, 31, v13 :: v_dual_ashrrev_i32 v15, 31, v12
	v_or_b32_e32 v14, 0x80000000, v14
	s_delay_alu instid0(VALU_DEP_2) | instskip(NEXT) | instid1(VALU_DEP_2)
	v_or_b32_e32 v15, 0x80000000, v15
	v_xor_b32_e32 v13, v14, v13
	s_delay_alu instid0(VALU_DEP_2) | instskip(NEXT) | instid1(VALU_DEP_1)
	v_xor_b32_e32 v12, v15, v12
	v_cmp_le_u32_e64 s3, v12, v13
	s_and_b32 s3, s3, exec_lo
	s_delay_alu instid0(SALU_CYCLE_1)
	s_or_b32 s6, s6, s3
.LBB1329_108:
	s_or_b32 exec_lo, exec_lo, s4
	v_dual_cndmask_b32 v12, v23, v22, s6 :: v_dual_cndmask_b32 v13, v33, v32, s6
	s_mov_b32 s7, -1
	s_mov_b32 s4, -1
	s_mov_b32 s8, exec_lo
	s_delay_alu instid0(VALU_DEP_1) | instskip(SKIP_1) | instid1(VALU_DEP_2)
	v_add_nc_u32_e32 v14, 1, v12
	v_lshl_add_u32 v12, v12, 3, v4
	v_add_min_u32_e64 v13, v13, -1, v14
	s_delay_alu instid0(VALU_DEP_1)
	v_lshl_add_u32 v13, v13, 2, v10
	ds_load_b32 v15, v13
	ds_load_b64 v[12:13], v12 offset:4096
	v_cndmask_b32_e64 v16, v14, v23, s6
	s_wait_dscnt 0x1
	v_dual_cndmask_b32 v23, v21, v15, s6 :: v_dual_cndmask_b32 v17, v22, v14, s6
	v_cndmask_b32_e64 v22, v15, v20, s6
	s_delay_alu instid0(VALU_DEP_3)
	v_cmpx_lt_u32_e64 v16, v33
	s_cbranch_execz .LBB1329_112
; %bb.109:
	s_mov_b32 s9, 0
	s_mov_b32 s4, exec_lo
	v_cmpx_lt_u32_e64 v17, v32
; %bb.110:
	v_dual_add_f32 v14, 0, v22 :: v_dual_add_f32 v15, 0, v23
	s_delay_alu instid0(VALU_DEP_1) | instskip(NEXT) | instid1(VALU_DEP_1)
	v_dual_ashrrev_i32 v18, 31, v14 :: v_dual_ashrrev_i32 v19, 31, v15
	v_bitop3_b32 v14, v18, v14, 0x80000000 bitop3:0x36
	s_delay_alu instid0(VALU_DEP_2) | instskip(NEXT) | instid1(VALU_DEP_1)
	v_bitop3_b32 v15, v19, v15, 0x80000000 bitop3:0x36
	v_cmp_le_u32_e64 s3, v14, v15
	s_and_b32 s9, s3, exec_lo
; %bb.111:
	s_or_b32 exec_lo, exec_lo, s4
	s_delay_alu instid0(SALU_CYCLE_1)
	s_or_not1_b32 s4, s9, exec_lo
.LBB1329_112:
	s_or_b32 exec_lo, exec_lo, s8
	v_dual_cndmask_b32 v14, v16, v17, s4 :: v_dual_cndmask_b32 v15, v33, v32, s4
	s_mov_b32 s8, exec_lo
	s_delay_alu instid0(VALU_DEP_1) | instskip(SKIP_1) | instid1(VALU_DEP_2)
	v_add_nc_u32_e32 v19, 1, v14
	v_lshl_add_u32 v14, v14, 3, v4
	v_add_min_u32_e64 v15, v15, -1, v19
	s_delay_alu instid0(VALU_DEP_1)
	v_lshl_add_u32 v15, v15, 2, v10
	ds_load_b32 v25, v15
	ds_load_b64 v[14:15], v14 offset:4096
	s_wait_dscnt 0x1
	v_dual_cndmask_b32 v24, v25, v22, s4 :: v_dual_cndmask_b32 v25, v23, v25, s4
	v_dual_cndmask_b32 v18, v19, v16, s4 :: v_dual_cndmask_b32 v19, v17, v19, s4
	s_delay_alu instid0(VALU_DEP_1)
	v_cmpx_lt_u32_e64 v18, v33
	s_cbranch_execz .LBB1329_116
; %bb.113:
	s_mov_b32 s9, 0
	s_mov_b32 s7, exec_lo
	v_cmpx_lt_u32_e64 v19, v32
; %bb.114:
	v_dual_add_f32 v16, 0, v24 :: v_dual_add_f32 v17, 0, v25
	s_delay_alu instid0(VALU_DEP_1) | instskip(NEXT) | instid1(VALU_DEP_1)
	v_dual_ashrrev_i32 v34, 31, v16 :: v_dual_ashrrev_i32 v35, 31, v17
	v_bitop3_b32 v16, v34, v16, 0x80000000 bitop3:0x36
	s_delay_alu instid0(VALU_DEP_2) | instskip(NEXT) | instid1(VALU_DEP_1)
	v_bitop3_b32 v17, v35, v17, 0x80000000 bitop3:0x36
	v_cmp_le_u32_e64 s3, v16, v17
	s_and_b32 s9, s3, exec_lo
; %bb.115:
	s_or_b32 exec_lo, exec_lo, s7
	s_delay_alu instid0(SALU_CYCLE_1)
	s_or_not1_b32 s7, s9, exec_lo
.LBB1329_116:
	s_or_b32 exec_lo, exec_lo, s8
	s_delay_alu instid0(VALU_DEP_2) | instskip(SKIP_2) | instid1(VALU_DEP_1)
	v_dual_cndmask_b32 v16, v18, v19, s7 :: v_dual_cndmask_b32 v17, v33, v32, s7
	s_mov_b32 s9, -1
	s_mov_b32 s8, exec_lo
	v_add_nc_u32_e32 v34, 1, v16
	v_lshl_add_u32 v16, v16, 3, v4
	s_delay_alu instid0(VALU_DEP_2) | instskip(SKIP_1) | instid1(VALU_DEP_2)
	v_add_min_u32_e64 v17, v17, -1, v34
	v_cndmask_b32_e64 v19, v19, v34, s7
	v_lshl_add_u32 v17, v17, 2, v10
	ds_load_b32 v35, v17
	ds_load_b64 v[16:17], v16 offset:4096
	s_wait_dscnt 0x1
	v_dual_cndmask_b32 v18, v34, v18, s7 :: v_dual_cndmask_b32 v34, v35, v24, s7
	v_cndmask_b32_e64 v35, v25, v35, s7
	s_delay_alu instid0(VALU_DEP_2)
	v_cmpx_lt_u32_e64 v18, v33
	s_cbranch_execz .LBB1329_120
; %bb.117:
	s_mov_b32 s10, 0
	s_mov_b32 s9, exec_lo
	v_cmpx_lt_u32_e64 v19, v32
; %bb.118:
	v_dual_add_f32 v32, 0, v34 :: v_dual_add_f32 v33, 0, v35
	s_delay_alu instid0(VALU_DEP_1) | instskip(NEXT) | instid1(VALU_DEP_1)
	v_dual_ashrrev_i32 v36, 31, v32 :: v_dual_ashrrev_i32 v37, 31, v33
	v_bitop3_b32 v32, v36, v32, 0x80000000 bitop3:0x36
	s_delay_alu instid0(VALU_DEP_2) | instskip(NEXT) | instid1(VALU_DEP_1)
	v_bitop3_b32 v33, v37, v33, 0x80000000 bitop3:0x36
	v_cmp_le_u32_e64 s3, v32, v33
	s_and_b32 s10, s3, exec_lo
; %bb.119:
	s_or_b32 exec_lo, exec_lo, s9
	s_delay_alu instid0(SALU_CYCLE_1)
	s_or_not1_b32 s9, s10, exec_lo
.LBB1329_120:
	s_or_b32 exec_lo, exec_lo, s8
	v_dual_cndmask_b32 v18, v18, v19, s9 :: v_dual_cndmask_b32 v39, v24, v25, s7
	v_dual_cndmask_b32 v38, v22, v23, s4 :: v_dual_cndmask_b32 v49, v20, v21, s6
	v_cndmask_b32_e64 v36, v34, v35, s9
	s_delay_alu instid0(VALU_DEP_3) | instskip(NEXT) | instid1(VALU_DEP_3)
	v_lshl_add_u32 v18, v18, 3, v4
	v_mov_b64_e32 v[20:21], v[38:39]
	ds_load_b64 v[18:19], v18 offset:4096
.LBB1329_121:
	s_or_b32 exec_lo, exec_lo, s5
	v_min_u32_e32 v22, 64, v1
	v_min_u32_e32 v24, v1, v50
	; wave barrier
	ds_store_b32 v5, v49
	v_add_min_u32_e64 v23, v22, 64, v1
	v_min_u32_e32 v5, v24, v22
	s_mov_b32 s4, exec_lo
	ds_store_b64 v27, v[12:13]
	ds_store_b64 v29, v[14:15]
	ds_store_2addr_b32 v26, v20, v21 offset1:1
	s_wait_dscnt 0x5
	ds_store_b64 v30, v[16:17]
	ds_store_b32 v28, v36
	s_wait_dscnt 0x6
	ds_store_b64 v31, v[18:19]
	v_sub_nc_u32_e32 v1, v23, v22
	; wave barrier
	s_delay_alu instid0(VALU_DEP_1) | instskip(NEXT) | instid1(VALU_DEP_1)
	v_sub_nc_u32_e64 v1, v24, v1 clamp
	v_cmpx_lt_u32_e64 v1, v5
	s_cbranch_execz .LBB1329_125
; %bb.122:
	v_dual_mov_b32 v21, 0 :: v_dual_lshlrev_b32 v20, 2, v22
	s_mov_b32 s5, 0
	s_delay_alu instid0(VALU_DEP_1)
	v_add_nc_u64_e32 v[20:21], v[10:11], v[20:21]
.LBB1329_123:                           ; =>This Inner Loop Header: Depth=1
	v_add_nc_u32_e32 v11, v5, v1
	s_delay_alu instid0(VALU_DEP_1) | instskip(NEXT) | instid1(VALU_DEP_1)
	v_lshrrev_b32_e32 v11, 1, v11
	v_xad_u32 v21, v11, -1, v24
	v_lshl_add_u32 v25, v11, 2, v10
	s_delay_alu instid0(VALU_DEP_2) | instskip(SKIP_4) | instid1(VALU_DEP_1)
	v_lshl_add_u32 v21, v21, 2, v20
	ds_load_b32 v27, v25
	ds_load_b32 v26, v21
	s_wait_dscnt 0x0
	v_pk_add_f32 v[26:27], v[26:27], 0 op_sel_hi:[1,0]
	v_dual_ashrrev_i32 v21, 31, v27 :: v_dual_ashrrev_i32 v25, 31, v26
	s_delay_alu instid0(VALU_DEP_1) | instskip(NEXT) | instid1(VALU_DEP_2)
	v_or_b32_e32 v21, 0x80000000, v21
	v_or_b32_e32 v25, 0x80000000, v25
	s_delay_alu instid0(VALU_DEP_1) | instskip(NEXT) | instid1(VALU_DEP_3)
	v_dual_add_nc_u32 v26, 1, v11 :: v_dual_bitop2_b32 v25, v25, v26 bitop3:0x14
	v_xor_b32_e32 v21, v21, v27
	s_delay_alu instid0(VALU_DEP_1) | instskip(NEXT) | instid1(VALU_DEP_1)
	v_cmp_gt_u32_e64 s3, v25, v21
	v_dual_cndmask_b32 v5, v5, v11, s3 :: v_dual_cndmask_b32 v1, v26, v1, s3
	s_delay_alu instid0(VALU_DEP_1) | instskip(SKIP_1) | instid1(SALU_CYCLE_1)
	v_cmp_ge_u32_e64 s3, v1, v5
	s_or_b32 s5, s3, s5
	s_and_not1_b32 exec_lo, exec_lo, s5
	s_cbranch_execnz .LBB1329_123
; %bb.124:
	s_or_b32 exec_lo, exec_lo, s5
.LBB1329_125:
	s_delay_alu instid0(SALU_CYCLE_1) | instskip(SKIP_2) | instid1(VALU_DEP_2)
	s_or_b32 exec_lo, exec_lo, s4
	v_add_nc_u32_e32 v5, v22, v24
	v_cmp_le_u32_e64 s3, v1, v22
	v_sub_nc_u32_e32 v5, v5, v1
	s_delay_alu instid0(VALU_DEP_1) | instskip(SKIP_1) | instid1(SALU_CYCLE_1)
	v_cmp_le_u32_e64 s4, v5, v23
	s_or_b32 s3, s3, s4
	s_and_saveexec_b32 s5, s3
	s_cbranch_execz .LBB1329_145
; %bb.126:
	v_cmp_ge_u32_e64 s3, v1, v22
	s_mov_b32 s6, exec_lo
                                        ; implicit-def: $vgpr21
	v_cmpx_lt_u32_e64 v1, v22
; %bb.127:
	v_lshl_add_u32 v11, v1, 2, v10
	ds_load_b32 v21, v11
; %bb.128:
	s_or_b32 exec_lo, exec_lo, s6
	v_cmp_ge_u32_e64 s6, v5, v23
	s_mov_b32 s7, exec_lo
	v_cmpx_lt_u32_e64 v5, v23
; %bb.129:
	v_lshl_add_u32 v11, v5, 2, v10
	ds_load_b32 v20, v11
; %bb.130:
	s_or_b32 exec_lo, exec_lo, s7
	s_nor_b32 s3, s3, s6
	s_delay_alu instid0(SALU_CYCLE_1)
	s_and_saveexec_b32 s4, s3
	s_cbranch_execz .LBB1329_132
; %bb.131:
	s_wait_dscnt 0x0
	v_pk_add_f32 v[12:13], v[20:21], 0 op_sel_hi:[1,0]
	s_and_not1_b32 s6, s6, exec_lo
	s_delay_alu instid0(VALU_DEP_1) | instskip(NEXT) | instid1(VALU_DEP_1)
	v_dual_ashrrev_i32 v11, 31, v13 :: v_dual_ashrrev_i32 v14, 31, v12
	v_or_b32_e32 v11, 0x80000000, v11
	s_delay_alu instid0(VALU_DEP_2) | instskip(NEXT) | instid1(VALU_DEP_2)
	v_or_b32_e32 v14, 0x80000000, v14
	v_xor_b32_e32 v11, v11, v13
	s_delay_alu instid0(VALU_DEP_2) | instskip(NEXT) | instid1(VALU_DEP_1)
	v_xor_b32_e32 v12, v14, v12
	v_cmp_le_u32_e64 s3, v12, v11
	s_and_b32 s3, s3, exec_lo
	s_delay_alu instid0(SALU_CYCLE_1)
	s_or_b32 s6, s6, s3
.LBB1329_132:
	s_or_b32 exec_lo, exec_lo, s4
	v_dual_cndmask_b32 v11, v5, v1, s6 :: v_dual_cndmask_b32 v12, v23, v22, s6
	s_mov_b32 s7, -1
	s_mov_b32 s4, -1
	s_mov_b32 s8, exec_lo
	s_delay_alu instid0(VALU_DEP_1) | instskip(SKIP_1) | instid1(VALU_DEP_2)
	v_add_nc_u32_e32 v14, 1, v11
	v_lshl_add_u32 v11, v11, 3, v4
	v_add_min_u32_e64 v12, v12, -1, v14
	v_cndmask_b32_e64 v16, v1, v14, s6
	s_delay_alu instid0(VALU_DEP_2)
	v_lshl_add_u32 v12, v12, 2, v10
	ds_load_b32 v15, v12
	ds_load_b64 v[12:13], v11 offset:4096
	s_wait_dscnt 0x1
	v_dual_cndmask_b32 v1, v15, v20, s6 :: v_dual_cndmask_b32 v11, v14, v5, s6
	v_cndmask_b32_e64 v5, v21, v15, s6
	s_delay_alu instid0(VALU_DEP_2)
	v_cmpx_lt_u32_e64 v11, v23
	s_cbranch_execz .LBB1329_136
; %bb.133:
	s_mov_b32 s9, 0
	s_mov_b32 s4, exec_lo
	v_cmpx_lt_u32_e64 v16, v22
; %bb.134:
	v_add_f32_e32 v15, 0, v5
	s_delay_alu instid0(VALU_DEP_1) | instskip(NEXT) | instid1(VALU_DEP_1)
	v_dual_add_f32 v14, 0, v1 :: v_dual_ashrrev_i32 v18, 31, v15
	v_ashrrev_i32_e32 v17, 31, v14
	s_delay_alu instid0(VALU_DEP_2) | instskip(NEXT) | instid1(VALU_DEP_2)
	v_bitop3_b32 v15, v18, v15, 0x80000000 bitop3:0x36
	v_bitop3_b32 v14, v17, v14, 0x80000000 bitop3:0x36
	s_delay_alu instid0(VALU_DEP_1)
	v_cmp_le_u32_e64 s3, v14, v15
	s_and_b32 s9, s3, exec_lo
; %bb.135:
	s_or_b32 exec_lo, exec_lo, s4
	s_delay_alu instid0(SALU_CYCLE_1)
	s_or_not1_b32 s4, s9, exec_lo
.LBB1329_136:
	s_or_b32 exec_lo, exec_lo, s8
	v_cndmask_b32_e64 v14, v11, v16, s4
	s_mov_b32 s8, exec_lo
	s_delay_alu instid0(VALU_DEP_1) | instskip(NEXT) | instid1(VALU_DEP_1)
	v_add_nc_u32_e32 v17, 1, v14
	v_dual_cndmask_b32 v15, v23, v22, s4 :: v_dual_cndmask_b32 v19, v16, v17, s4
	s_delay_alu instid0(VALU_DEP_1) | instskip(SKIP_2) | instid1(VALU_DEP_3)
	v_add_min_u32_e64 v15, v15, -1, v17
	v_cndmask_b32_e64 v18, v17, v11, s4
	v_lshl_add_u32 v14, v14, 3, v4
	v_lshl_add_u32 v15, v15, 2, v10
	ds_load_b32 v24, v15
	ds_load_b64 v[14:15], v14 offset:4096
	s_wait_dscnt 0x1
	v_dual_cndmask_b32 v11, v24, v1, s4 :: v_dual_cndmask_b32 v24, v5, v24, s4
	v_cmpx_lt_u32_e64 v18, v23
	s_cbranch_execz .LBB1329_140
; %bb.137:
	s_mov_b32 s9, 0
	s_mov_b32 s7, exec_lo
	v_cmpx_lt_u32_e64 v19, v22
; %bb.138:
	v_dual_add_f32 v16, 0, v11 :: v_dual_add_f32 v17, 0, v24
	s_delay_alu instid0(VALU_DEP_1) | instskip(NEXT) | instid1(VALU_DEP_1)
	v_dual_ashrrev_i32 v25, 31, v16 :: v_dual_ashrrev_i32 v26, 31, v17
	v_bitop3_b32 v16, v25, v16, 0x80000000 bitop3:0x36
	s_delay_alu instid0(VALU_DEP_2) | instskip(NEXT) | instid1(VALU_DEP_1)
	v_bitop3_b32 v17, v26, v17, 0x80000000 bitop3:0x36
	v_cmp_le_u32_e64 s3, v16, v17
	s_and_b32 s9, s3, exec_lo
; %bb.139:
	s_or_b32 exec_lo, exec_lo, s7
	s_delay_alu instid0(SALU_CYCLE_1)
	s_or_not1_b32 s7, s9, exec_lo
.LBB1329_140:
	s_or_b32 exec_lo, exec_lo, s8
	v_dual_cndmask_b32 v16, v18, v19, s7 :: v_dual_cndmask_b32 v17, v23, v22, s7
	s_mov_b32 s9, -1
	s_mov_b32 s8, exec_lo
	s_delay_alu instid0(VALU_DEP_1) | instskip(NEXT) | instid1(VALU_DEP_1)
	v_add_nc_u32_e32 v25, 1, v16
	v_add_min_u32_e64 v17, v17, -1, v25
	s_delay_alu instid0(VALU_DEP_1)
	v_lshl_add_u32 v10, v17, 2, v10
	ds_load_b32 v26, v10
	v_lshl_add_u32 v10, v16, 3, v4
	ds_load_b64 v[16:17], v10 offset:4096
	s_wait_dscnt 0x1
	v_dual_cndmask_b32 v10, v26, v11, s7 :: v_dual_cndmask_b32 v18, v25, v18, s7
	v_dual_cndmask_b32 v19, v19, v25, s7 :: v_dual_cndmask_b32 v25, v24, v26, s7
	s_delay_alu instid0(VALU_DEP_2)
	v_cmpx_lt_u32_e64 v18, v23
	s_cbranch_execz .LBB1329_144
; %bb.141:
	s_mov_b32 s10, 0
	s_mov_b32 s9, exec_lo
	v_cmpx_lt_u32_e64 v19, v22
; %bb.142:
	v_dual_add_f32 v22, 0, v10 :: v_dual_add_f32 v23, 0, v25
	s_delay_alu instid0(VALU_DEP_1) | instskip(NEXT) | instid1(VALU_DEP_1)
	v_dual_ashrrev_i32 v26, 31, v22 :: v_dual_ashrrev_i32 v27, 31, v23
	v_bitop3_b32 v22, v26, v22, 0x80000000 bitop3:0x36
	s_delay_alu instid0(VALU_DEP_2) | instskip(NEXT) | instid1(VALU_DEP_1)
	v_bitop3_b32 v23, v27, v23, 0x80000000 bitop3:0x36
	v_cmp_le_u32_e64 s3, v22, v23
	s_and_b32 s10, s3, exec_lo
; %bb.143:
	s_or_b32 exec_lo, exec_lo, s9
	s_delay_alu instid0(SALU_CYCLE_1)
	s_or_not1_b32 s9, s10, exec_lo
.LBB1329_144:
	s_or_b32 exec_lo, exec_lo, s8
	s_delay_alu instid0(VALU_DEP_2) | instskip(SKIP_3) | instid1(VALU_DEP_4)
	v_dual_cndmask_b32 v18, v18, v19, s9 :: v_dual_cndmask_b32 v39, v11, v24, s7
	v_cndmask_b32_e64 v38, v1, v5, s4
	v_cndmask_b32_e64 v49, v20, v21, s6
	;; [unrolled: 1-line block ×3, first 2 shown]
	v_lshl_add_u32 v4, v18, 3, v4
	ds_load_b64 v[18:19], v4 offset:4096
.LBB1329_145:
	s_or_b32 exec_lo, exec_lo, s5
	v_lshl_add_u64 v[2:3], v[8:9], 2, v[2:3]
	v_dual_mov_b32 v5, 0 :: v_dual_lshlrev_b32 v4, 2, v50
	; wave barrier
	s_wait_storecnt_dscnt 0x0
	s_barrier_signal -1
	s_delay_alu instid0(VALU_DEP_1)
	v_add_nc_u64_e32 v[2:3], v[2:3], v[4:5]
	s_barrier_wait -1
	; wave barrier
	s_and_saveexec_b32 s3, vcc_lo
	s_cbranch_execnz .LBB1329_158
; %bb.146:
	s_or_b32 exec_lo, exec_lo, s3
	s_and_saveexec_b32 s3, s0
	s_cbranch_execnz .LBB1329_159
.LBB1329_147:
	s_or_b32 exec_lo, exec_lo, s3
	s_and_saveexec_b32 s3, s1
	s_cbranch_execnz .LBB1329_160
.LBB1329_148:
	s_or_b32 exec_lo, exec_lo, s3
	s_and_saveexec_b32 s3, s2
	s_cbranch_execz .LBB1329_150
.LBB1329_149:
	flat_store_b32 v[2:3], v36 offset:12
.LBB1329_150:
	s_wait_xcnt 0x0
	s_or_b32 exec_lo, exec_lo, s3
	v_lshl_add_u64 v[2:3], v[8:9], 3, v[6:7]
	v_mov_b32_e32 v1, 0
	; wave barrier
	s_delay_alu instid0(VALU_DEP_1)
	v_add_nc_u64_e32 v[0:1], v[2:3], v[0:1]
	s_and_saveexec_b32 s3, vcc_lo
	s_cbranch_execnz .LBB1329_161
; %bb.151:
	s_or_b32 exec_lo, exec_lo, s3
	s_and_saveexec_b32 s3, s0
	s_cbranch_execnz .LBB1329_162
.LBB1329_152:
	s_or_b32 exec_lo, exec_lo, s3
	s_and_saveexec_b32 s0, s1
	s_cbranch_execnz .LBB1329_163
.LBB1329_153:
	s_or_b32 exec_lo, exec_lo, s0
	s_and_saveexec_b32 s0, s2
	s_cbranch_execnz .LBB1329_164
.LBB1329_154:
	s_or_b32 exec_lo, exec_lo, s0
	s_wait_dscnt 0x0
	s_set_pc_i64 s[30:31]
.LBB1329_155:
	flat_load_b64 v[12:13], v[4:5]
	v_dual_mov_b32 v14, v1 :: v_dual_mov_b32 v15, v1
	v_dual_mov_b32 v16, v1 :: v_dual_mov_b32 v17, v1
	;; [unrolled: 1-line block ×3, first 2 shown]
	s_wait_xcnt 0x0
	s_or_b32 exec_lo, exec_lo, s3
	s_and_saveexec_b32 s3, s0
	s_cbranch_execz .LBB1329_10
.LBB1329_156:
	flat_load_b64 v[14:15], v[4:5] offset:8
	s_wait_xcnt 0x0
	s_or_b32 exec_lo, exec_lo, s3
	s_and_saveexec_b32 s3, s1
	s_cbranch_execz .LBB1329_11
.LBB1329_157:
	flat_load_b64 v[16:17], v[4:5] offset:16
	s_wait_xcnt 0x0
	s_or_b32 exec_lo, exec_lo, s3
	s_and_saveexec_b32 s3, s2
	s_cbranch_execnz .LBB1329_12
	s_branch .LBB1329_13
.LBB1329_158:
	flat_store_b32 v[2:3], v49
	s_wait_xcnt 0x0
	s_or_b32 exec_lo, exec_lo, s3
	s_and_saveexec_b32 s3, s0
	s_cbranch_execz .LBB1329_147
.LBB1329_159:
	flat_store_b32 v[2:3], v38 offset:4
	s_wait_xcnt 0x0
	s_or_b32 exec_lo, exec_lo, s3
	s_and_saveexec_b32 s3, s1
	s_cbranch_execz .LBB1329_148
.LBB1329_160:
	flat_store_b32 v[2:3], v39 offset:8
	s_wait_xcnt 0x0
	s_or_b32 exec_lo, exec_lo, s3
	s_and_saveexec_b32 s3, s2
	s_cbranch_execnz .LBB1329_149
	s_branch .LBB1329_150
.LBB1329_161:
	flat_store_b64 v[0:1], v[12:13]
	s_wait_xcnt 0x0
	s_or_b32 exec_lo, exec_lo, s3
	s_and_saveexec_b32 s3, s0
	s_cbranch_execz .LBB1329_152
.LBB1329_162:
	flat_store_b64 v[0:1], v[14:15] offset:8
	s_wait_xcnt 0x0
	s_or_b32 exec_lo, exec_lo, s3
	s_and_saveexec_b32 s0, s1
	s_cbranch_execz .LBB1329_153
.LBB1329_163:
	flat_store_b64 v[0:1], v[16:17] offset:16
	s_wait_xcnt 0x0
	s_or_b32 exec_lo, exec_lo, s0
	s_and_saveexec_b32 s0, s2
	s_cbranch_execz .LBB1329_154
.LBB1329_164:
	flat_store_b64 v[0:1], v[18:19] offset:24
	s_wait_xcnt 0x0
	s_or_b32 exec_lo, exec_lo, s0
	s_wait_dscnt 0x0
	s_set_pc_i64 s[30:31]
.Lfunc_end1329:
	.size	_ZN7rocprim17ROCPRIM_400000_NS6detail26segmented_warp_sort_helperINS1_20WarpSortHelperConfigILj32ELj4ELj256EEEflLi256ELb1EvE4sortIPKfPfPKlPlEEvT_T0_T1_T2_jjjjRNS5_12storage_typeE, .Lfunc_end1329-_ZN7rocprim17ROCPRIM_400000_NS6detail26segmented_warp_sort_helperINS1_20WarpSortHelperConfigILj32ELj4ELj256EEEflLi256ELb1EvE4sortIPKfPfPKlPlEEvT_T0_T1_T2_jjjjRNS5_12storage_typeE
                                        ; -- End function
	.set .L_ZN7rocprim17ROCPRIM_400000_NS6detail26segmented_warp_sort_helperINS1_20WarpSortHelperConfigILj32ELj4ELj256EEEflLi256ELb1EvE4sortIPKfPfPKlPlEEvT_T0_T1_T2_jjjjRNS5_12storage_typeE.num_vgpr, 72
	.set .L_ZN7rocprim17ROCPRIM_400000_NS6detail26segmented_warp_sort_helperINS1_20WarpSortHelperConfigILj32ELj4ELj256EEEflLi256ELb1EvE4sortIPKfPfPKlPlEEvT_T0_T1_T2_jjjjRNS5_12storage_typeE.num_agpr, 0
	.set .L_ZN7rocprim17ROCPRIM_400000_NS6detail26segmented_warp_sort_helperINS1_20WarpSortHelperConfigILj32ELj4ELj256EEEflLi256ELb1EvE4sortIPKfPfPKlPlEEvT_T0_T1_T2_jjjjRNS5_12storage_typeE.numbered_sgpr, 32
	.set .L_ZN7rocprim17ROCPRIM_400000_NS6detail26segmented_warp_sort_helperINS1_20WarpSortHelperConfigILj32ELj4ELj256EEEflLi256ELb1EvE4sortIPKfPfPKlPlEEvT_T0_T1_T2_jjjjRNS5_12storage_typeE.num_named_barrier, 0
	.set .L_ZN7rocprim17ROCPRIM_400000_NS6detail26segmented_warp_sort_helperINS1_20WarpSortHelperConfigILj32ELj4ELj256EEEflLi256ELb1EvE4sortIPKfPfPKlPlEEvT_T0_T1_T2_jjjjRNS5_12storage_typeE.private_seg_size, 0
	.set .L_ZN7rocprim17ROCPRIM_400000_NS6detail26segmented_warp_sort_helperINS1_20WarpSortHelperConfigILj32ELj4ELj256EEEflLi256ELb1EvE4sortIPKfPfPKlPlEEvT_T0_T1_T2_jjjjRNS5_12storage_typeE.uses_vcc, 1
	.set .L_ZN7rocprim17ROCPRIM_400000_NS6detail26segmented_warp_sort_helperINS1_20WarpSortHelperConfigILj32ELj4ELj256EEEflLi256ELb1EvE4sortIPKfPfPKlPlEEvT_T0_T1_T2_jjjjRNS5_12storage_typeE.uses_flat_scratch, 0
	.set .L_ZN7rocprim17ROCPRIM_400000_NS6detail26segmented_warp_sort_helperINS1_20WarpSortHelperConfigILj32ELj4ELj256EEEflLi256ELb1EvE4sortIPKfPfPKlPlEEvT_T0_T1_T2_jjjjRNS5_12storage_typeE.has_dyn_sized_stack, 0
	.set .L_ZN7rocprim17ROCPRIM_400000_NS6detail26segmented_warp_sort_helperINS1_20WarpSortHelperConfigILj32ELj4ELj256EEEflLi256ELb1EvE4sortIPKfPfPKlPlEEvT_T0_T1_T2_jjjjRNS5_12storage_typeE.has_recursion, 0
	.set .L_ZN7rocprim17ROCPRIM_400000_NS6detail26segmented_warp_sort_helperINS1_20WarpSortHelperConfigILj32ELj4ELj256EEEflLi256ELb1EvE4sortIPKfPfPKlPlEEvT_T0_T1_T2_jjjjRNS5_12storage_typeE.has_indirect_call, 0
	.section	.AMDGPU.csdata,"",@progbits
; Function info:
; codeLenInByte = 8344
; TotalNumSgprs: 34
; NumVgprs: 72
; ScratchSize: 0
; MemoryBound: 1
	.section	.text._ZN7rocprim17ROCPRIM_400000_NS6detail17trampoline_kernelINS0_14default_configENS1_36segmented_radix_sort_config_selectorIflEEZNS1_25segmented_radix_sort_implIS3_Lb1EPKfPfPKlPlN2at6native12_GLOBAL__N_18offset_tEEE10hipError_tPvRmT1_PNSt15iterator_traitsISK_E10value_typeET2_T3_PNSL_ISQ_E10value_typeET4_jRbjT5_SW_jjP12ihipStream_tbEUlT_E0_NS1_11comp_targetILNS1_3genE0ELNS1_11target_archE4294967295ELNS1_3gpuE0ELNS1_3repE0EEENS1_60segmented_radix_sort_warp_sort_medium_config_static_selectorELNS0_4arch9wavefront6targetE0EEEvSK_,"axG",@progbits,_ZN7rocprim17ROCPRIM_400000_NS6detail17trampoline_kernelINS0_14default_configENS1_36segmented_radix_sort_config_selectorIflEEZNS1_25segmented_radix_sort_implIS3_Lb1EPKfPfPKlPlN2at6native12_GLOBAL__N_18offset_tEEE10hipError_tPvRmT1_PNSt15iterator_traitsISK_E10value_typeET2_T3_PNSL_ISQ_E10value_typeET4_jRbjT5_SW_jjP12ihipStream_tbEUlT_E0_NS1_11comp_targetILNS1_3genE0ELNS1_11target_archE4294967295ELNS1_3gpuE0ELNS1_3repE0EEENS1_60segmented_radix_sort_warp_sort_medium_config_static_selectorELNS0_4arch9wavefront6targetE0EEEvSK_,comdat
	.globl	_ZN7rocprim17ROCPRIM_400000_NS6detail17trampoline_kernelINS0_14default_configENS1_36segmented_radix_sort_config_selectorIflEEZNS1_25segmented_radix_sort_implIS3_Lb1EPKfPfPKlPlN2at6native12_GLOBAL__N_18offset_tEEE10hipError_tPvRmT1_PNSt15iterator_traitsISK_E10value_typeET2_T3_PNSL_ISQ_E10value_typeET4_jRbjT5_SW_jjP12ihipStream_tbEUlT_E0_NS1_11comp_targetILNS1_3genE0ELNS1_11target_archE4294967295ELNS1_3gpuE0ELNS1_3repE0EEENS1_60segmented_radix_sort_warp_sort_medium_config_static_selectorELNS0_4arch9wavefront6targetE0EEEvSK_ ; -- Begin function _ZN7rocprim17ROCPRIM_400000_NS6detail17trampoline_kernelINS0_14default_configENS1_36segmented_radix_sort_config_selectorIflEEZNS1_25segmented_radix_sort_implIS3_Lb1EPKfPfPKlPlN2at6native12_GLOBAL__N_18offset_tEEE10hipError_tPvRmT1_PNSt15iterator_traitsISK_E10value_typeET2_T3_PNSL_ISQ_E10value_typeET4_jRbjT5_SW_jjP12ihipStream_tbEUlT_E0_NS1_11comp_targetILNS1_3genE0ELNS1_11target_archE4294967295ELNS1_3gpuE0ELNS1_3repE0EEENS1_60segmented_radix_sort_warp_sort_medium_config_static_selectorELNS0_4arch9wavefront6targetE0EEEvSK_
	.p2align	8
	.type	_ZN7rocprim17ROCPRIM_400000_NS6detail17trampoline_kernelINS0_14default_configENS1_36segmented_radix_sort_config_selectorIflEEZNS1_25segmented_radix_sort_implIS3_Lb1EPKfPfPKlPlN2at6native12_GLOBAL__N_18offset_tEEE10hipError_tPvRmT1_PNSt15iterator_traitsISK_E10value_typeET2_T3_PNSL_ISQ_E10value_typeET4_jRbjT5_SW_jjP12ihipStream_tbEUlT_E0_NS1_11comp_targetILNS1_3genE0ELNS1_11target_archE4294967295ELNS1_3gpuE0ELNS1_3repE0EEENS1_60segmented_radix_sort_warp_sort_medium_config_static_selectorELNS0_4arch9wavefront6targetE0EEEvSK_,@function
_ZN7rocprim17ROCPRIM_400000_NS6detail17trampoline_kernelINS0_14default_configENS1_36segmented_radix_sort_config_selectorIflEEZNS1_25segmented_radix_sort_implIS3_Lb1EPKfPfPKlPlN2at6native12_GLOBAL__N_18offset_tEEE10hipError_tPvRmT1_PNSt15iterator_traitsISK_E10value_typeET2_T3_PNSL_ISQ_E10value_typeET4_jRbjT5_SW_jjP12ihipStream_tbEUlT_E0_NS1_11comp_targetILNS1_3genE0ELNS1_11target_archE4294967295ELNS1_3gpuE0ELNS1_3repE0EEENS1_60segmented_radix_sort_warp_sort_medium_config_static_selectorELNS0_4arch9wavefront6targetE0EEEvSK_: ; @_ZN7rocprim17ROCPRIM_400000_NS6detail17trampoline_kernelINS0_14default_configENS1_36segmented_radix_sort_config_selectorIflEEZNS1_25segmented_radix_sort_implIS3_Lb1EPKfPfPKlPlN2at6native12_GLOBAL__N_18offset_tEEE10hipError_tPvRmT1_PNSt15iterator_traitsISK_E10value_typeET2_T3_PNSL_ISQ_E10value_typeET4_jRbjT5_SW_jjP12ihipStream_tbEUlT_E0_NS1_11comp_targetILNS1_3genE0ELNS1_11target_archE4294967295ELNS1_3gpuE0ELNS1_3repE0EEENS1_60segmented_radix_sort_warp_sort_medium_config_static_selectorELNS0_4arch9wavefront6targetE0EEEvSK_
; %bb.0:
	s_load_b32 s4, s[2:3], 0x64
	v_bfe_u32 v1, v0, 10, 10
	v_bfe_u32 v2, v0, 20, 10
	v_and_b32_e32 v3, 0x3ff, v0
	s_and_b32 s6, ttmp6, 15
	s_getreg_b32 s7, hwreg(HW_REG_IB_STS2, 6, 4)
	s_mov_b32 s32, 0
	s_wait_kmcnt 0x0
	s_lshr_b32 s5, s4, 16
	s_and_b32 s4, s4, 0xffff
	v_mad_u32_u24 v1, v2, s5, v1
	s_bfe_u32 s5, ttmp6, 0x4000c
	s_delay_alu instid0(SALU_CYCLE_1) | instskip(NEXT) | instid1(SALU_CYCLE_1)
	s_add_co_i32 s5, s5, 1
	s_mul_i32 s5, ttmp9, s5
	s_delay_alu instid0(VALU_DEP_1) | instskip(SKIP_4) | instid1(VALU_DEP_1)
	v_mad_u32 v1, v1, s4, v3
	s_load_b32 s4, s[2:3], 0x34
	s_add_co_i32 s6, s6, s5
	s_cmp_eq_u32 s7, 0
	s_cselect_b32 s5, ttmp9, s6
	v_lshrrev_b32_e32 v1, 5, v1
	s_delay_alu instid0(VALU_DEP_1) | instskip(SKIP_1) | instid1(VALU_DEP_1)
	v_lshl_add_u32 v1, s5, 3, v1
	s_wait_kmcnt 0x0
	v_cmp_gt_u32_e32 vcc_lo, s4, v1
	s_and_saveexec_b32 s4, vcc_lo
	s_cbranch_execz .LBB1330_6
; %bb.1:
	s_clause 0x1
	s_load_b64 s[8:9], s[2:3], 0x38
	s_load_b128 s[4:7], s[2:3], 0x40
	s_wait_kmcnt 0x0
	global_load_b32 v1, v1, s[8:9] scale_offset
	s_wait_loadcnt 0x0
	v_dual_add_nc_u32 v2, s5, v1 :: v_dual_add_nc_u32 v1, s7, v1
	s_delay_alu instid0(VALU_DEP_1) | instskip(NEXT) | instid1(VALU_DEP_2)
	v_mul_lo_u32 v8, v2, s4
	v_mul_lo_u32 v40, v1, s6
	s_delay_alu instid0(VALU_DEP_1)
	v_cmp_gt_u32_e32 vcc_lo, v40, v8
	s_and_b32 exec_lo, exec_lo, vcc_lo
	s_cbranch_execz .LBB1330_6
; %bb.2:
	s_clause 0x2
	s_load_b32 s4, s[2:3], 0x30
	s_load_b128 s[24:27], s[2:3], 0x20
	s_load_b256 s[16:23], s[2:3], 0x0
	s_add_nc_u64 s[14:15], s[2:3], 0x58
	s_get_pc_i64 s[28:29]
	s_add_nc_u64 s[28:29], s[28:29], _ZN7rocprim17ROCPRIM_400000_NS6detail26segmented_warp_sort_helperINS1_20WarpSortHelperConfigILj32ELj4ELj256EEEflLi256ELb1EvE4sortIPKfPfPKlPlEEvT_T0_T1_T2_jjjjRNS5_12storage_typeE@rel64+4
	s_wait_kmcnt 0x0
	s_bitcmp0_b32 s4, 0
	s_mov_b32 s4, -1
	s_cbranch_scc0 .LBB1330_4
; %bb.3:
	s_mov_b64 s[2:3], src_shared_base
	v_dual_mov_b32 v31, v0 :: v_dual_mov_b32 v41, v0
	v_dual_mov_b32 v0, s16 :: v_dual_mov_b32 v1, s17
	;; [unrolled: 1-line block ×6, first 2 shown]
	v_mov_b32_e32 v11, s3
	s_mov_b64 s[6:7], s[0:1]
	s_mov_b64 s[8:9], s[14:15]
	;; [unrolled: 1-line block ×3, first 2 shown]
	s_swap_pc_i64 s[30:31], s[28:29]
	v_mov_b32_e32 v0, v41
	s_mov_b64 s[0:1], s[18:19]
	s_mov_b32 s4, 0
.LBB1330_4:
	s_delay_alu instid0(SALU_CYCLE_1)
	s_and_not1_b32 vcc_lo, exec_lo, s4
	s_cbranch_vccnz .LBB1330_6
; %bb.5:
	s_mov_b64 s[2:3], src_shared_base
	v_dual_mov_b32 v31, v0 :: v_dual_mov_b32 v0, s16
	v_dual_mov_b32 v1, s17 :: v_dual_mov_b32 v2, s20
	;; [unrolled: 1-line block ×6, first 2 shown]
	s_mov_b64 s[6:7], s[0:1]
	s_mov_b64 s[8:9], s[14:15]
	s_swap_pc_i64 s[30:31], s[28:29]
.LBB1330_6:
	s_endpgm
	.section	.rodata,"a",@progbits
	.p2align	6, 0x0
	.amdhsa_kernel _ZN7rocprim17ROCPRIM_400000_NS6detail17trampoline_kernelINS0_14default_configENS1_36segmented_radix_sort_config_selectorIflEEZNS1_25segmented_radix_sort_implIS3_Lb1EPKfPfPKlPlN2at6native12_GLOBAL__N_18offset_tEEE10hipError_tPvRmT1_PNSt15iterator_traitsISK_E10value_typeET2_T3_PNSL_ISQ_E10value_typeET4_jRbjT5_SW_jjP12ihipStream_tbEUlT_E0_NS1_11comp_targetILNS1_3genE0ELNS1_11target_archE4294967295ELNS1_3gpuE0ELNS1_3repE0EEENS1_60segmented_radix_sort_warp_sort_medium_config_static_selectorELNS0_4arch9wavefront6targetE0EEEvSK_
		.amdhsa_group_segment_fixed_size 12288
		.amdhsa_private_segment_fixed_size 0
		.amdhsa_kernarg_size 344
		.amdhsa_user_sgpr_count 4
		.amdhsa_user_sgpr_dispatch_ptr 0
		.amdhsa_user_sgpr_queue_ptr 1
		.amdhsa_user_sgpr_kernarg_segment_ptr 1
		.amdhsa_user_sgpr_dispatch_id 0
		.amdhsa_user_sgpr_kernarg_preload_length 0
		.amdhsa_user_sgpr_kernarg_preload_offset 0
		.amdhsa_user_sgpr_private_segment_size 0
		.amdhsa_wavefront_size32 1
		.amdhsa_uses_dynamic_stack 0
		.amdhsa_enable_private_segment 0
		.amdhsa_system_sgpr_workgroup_id_x 1
		.amdhsa_system_sgpr_workgroup_id_y 1
		.amdhsa_system_sgpr_workgroup_id_z 0
		.amdhsa_system_sgpr_workgroup_info 0
		.amdhsa_system_vgpr_workitem_id 2
		.amdhsa_next_free_vgpr 72
		.amdhsa_next_free_sgpr 33
		.amdhsa_named_barrier_count 0
		.amdhsa_reserve_vcc 1
		.amdhsa_float_round_mode_32 0
		.amdhsa_float_round_mode_16_64 0
		.amdhsa_float_denorm_mode_32 3
		.amdhsa_float_denorm_mode_16_64 3
		.amdhsa_fp16_overflow 0
		.amdhsa_memory_ordered 1
		.amdhsa_forward_progress 1
		.amdhsa_inst_pref_size 4
		.amdhsa_round_robin_scheduling 0
		.amdhsa_exception_fp_ieee_invalid_op 0
		.amdhsa_exception_fp_denorm_src 0
		.amdhsa_exception_fp_ieee_div_zero 0
		.amdhsa_exception_fp_ieee_overflow 0
		.amdhsa_exception_fp_ieee_underflow 0
		.amdhsa_exception_fp_ieee_inexact 0
		.amdhsa_exception_int_div_zero 0
	.end_amdhsa_kernel
	.section	.text._ZN7rocprim17ROCPRIM_400000_NS6detail17trampoline_kernelINS0_14default_configENS1_36segmented_radix_sort_config_selectorIflEEZNS1_25segmented_radix_sort_implIS3_Lb1EPKfPfPKlPlN2at6native12_GLOBAL__N_18offset_tEEE10hipError_tPvRmT1_PNSt15iterator_traitsISK_E10value_typeET2_T3_PNSL_ISQ_E10value_typeET4_jRbjT5_SW_jjP12ihipStream_tbEUlT_E0_NS1_11comp_targetILNS1_3genE0ELNS1_11target_archE4294967295ELNS1_3gpuE0ELNS1_3repE0EEENS1_60segmented_radix_sort_warp_sort_medium_config_static_selectorELNS0_4arch9wavefront6targetE0EEEvSK_,"axG",@progbits,_ZN7rocprim17ROCPRIM_400000_NS6detail17trampoline_kernelINS0_14default_configENS1_36segmented_radix_sort_config_selectorIflEEZNS1_25segmented_radix_sort_implIS3_Lb1EPKfPfPKlPlN2at6native12_GLOBAL__N_18offset_tEEE10hipError_tPvRmT1_PNSt15iterator_traitsISK_E10value_typeET2_T3_PNSL_ISQ_E10value_typeET4_jRbjT5_SW_jjP12ihipStream_tbEUlT_E0_NS1_11comp_targetILNS1_3genE0ELNS1_11target_archE4294967295ELNS1_3gpuE0ELNS1_3repE0EEENS1_60segmented_radix_sort_warp_sort_medium_config_static_selectorELNS0_4arch9wavefront6targetE0EEEvSK_,comdat
.Lfunc_end1330:
	.size	_ZN7rocprim17ROCPRIM_400000_NS6detail17trampoline_kernelINS0_14default_configENS1_36segmented_radix_sort_config_selectorIflEEZNS1_25segmented_radix_sort_implIS3_Lb1EPKfPfPKlPlN2at6native12_GLOBAL__N_18offset_tEEE10hipError_tPvRmT1_PNSt15iterator_traitsISK_E10value_typeET2_T3_PNSL_ISQ_E10value_typeET4_jRbjT5_SW_jjP12ihipStream_tbEUlT_E0_NS1_11comp_targetILNS1_3genE0ELNS1_11target_archE4294967295ELNS1_3gpuE0ELNS1_3repE0EEENS1_60segmented_radix_sort_warp_sort_medium_config_static_selectorELNS0_4arch9wavefront6targetE0EEEvSK_, .Lfunc_end1330-_ZN7rocprim17ROCPRIM_400000_NS6detail17trampoline_kernelINS0_14default_configENS1_36segmented_radix_sort_config_selectorIflEEZNS1_25segmented_radix_sort_implIS3_Lb1EPKfPfPKlPlN2at6native12_GLOBAL__N_18offset_tEEE10hipError_tPvRmT1_PNSt15iterator_traitsISK_E10value_typeET2_T3_PNSL_ISQ_E10value_typeET4_jRbjT5_SW_jjP12ihipStream_tbEUlT_E0_NS1_11comp_targetILNS1_3genE0ELNS1_11target_archE4294967295ELNS1_3gpuE0ELNS1_3repE0EEENS1_60segmented_radix_sort_warp_sort_medium_config_static_selectorELNS0_4arch9wavefront6targetE0EEEvSK_
                                        ; -- End function
	.set _ZN7rocprim17ROCPRIM_400000_NS6detail17trampoline_kernelINS0_14default_configENS1_36segmented_radix_sort_config_selectorIflEEZNS1_25segmented_radix_sort_implIS3_Lb1EPKfPfPKlPlN2at6native12_GLOBAL__N_18offset_tEEE10hipError_tPvRmT1_PNSt15iterator_traitsISK_E10value_typeET2_T3_PNSL_ISQ_E10value_typeET4_jRbjT5_SW_jjP12ihipStream_tbEUlT_E0_NS1_11comp_targetILNS1_3genE0ELNS1_11target_archE4294967295ELNS1_3gpuE0ELNS1_3repE0EEENS1_60segmented_radix_sort_warp_sort_medium_config_static_selectorELNS0_4arch9wavefront6targetE0EEEvSK_.num_vgpr, max(42, .L_ZN7rocprim17ROCPRIM_400000_NS6detail26segmented_warp_sort_helperINS1_20WarpSortHelperConfigILj32ELj4ELj256EEEflLi256ELb1EvE4sortIPKfPfPKlPlEEvT_T0_T1_T2_jjjjRNS5_12storage_typeE.num_vgpr)
	.set _ZN7rocprim17ROCPRIM_400000_NS6detail17trampoline_kernelINS0_14default_configENS1_36segmented_radix_sort_config_selectorIflEEZNS1_25segmented_radix_sort_implIS3_Lb1EPKfPfPKlPlN2at6native12_GLOBAL__N_18offset_tEEE10hipError_tPvRmT1_PNSt15iterator_traitsISK_E10value_typeET2_T3_PNSL_ISQ_E10value_typeET4_jRbjT5_SW_jjP12ihipStream_tbEUlT_E0_NS1_11comp_targetILNS1_3genE0ELNS1_11target_archE4294967295ELNS1_3gpuE0ELNS1_3repE0EEENS1_60segmented_radix_sort_warp_sort_medium_config_static_selectorELNS0_4arch9wavefront6targetE0EEEvSK_.num_agpr, max(0, .L_ZN7rocprim17ROCPRIM_400000_NS6detail26segmented_warp_sort_helperINS1_20WarpSortHelperConfigILj32ELj4ELj256EEEflLi256ELb1EvE4sortIPKfPfPKlPlEEvT_T0_T1_T2_jjjjRNS5_12storage_typeE.num_agpr)
	.set _ZN7rocprim17ROCPRIM_400000_NS6detail17trampoline_kernelINS0_14default_configENS1_36segmented_radix_sort_config_selectorIflEEZNS1_25segmented_radix_sort_implIS3_Lb1EPKfPfPKlPlN2at6native12_GLOBAL__N_18offset_tEEE10hipError_tPvRmT1_PNSt15iterator_traitsISK_E10value_typeET2_T3_PNSL_ISQ_E10value_typeET4_jRbjT5_SW_jjP12ihipStream_tbEUlT_E0_NS1_11comp_targetILNS1_3genE0ELNS1_11target_archE4294967295ELNS1_3gpuE0ELNS1_3repE0EEENS1_60segmented_radix_sort_warp_sort_medium_config_static_selectorELNS0_4arch9wavefront6targetE0EEEvSK_.numbered_sgpr, max(33, .L_ZN7rocprim17ROCPRIM_400000_NS6detail26segmented_warp_sort_helperINS1_20WarpSortHelperConfigILj32ELj4ELj256EEEflLi256ELb1EvE4sortIPKfPfPKlPlEEvT_T0_T1_T2_jjjjRNS5_12storage_typeE.numbered_sgpr)
	.set _ZN7rocprim17ROCPRIM_400000_NS6detail17trampoline_kernelINS0_14default_configENS1_36segmented_radix_sort_config_selectorIflEEZNS1_25segmented_radix_sort_implIS3_Lb1EPKfPfPKlPlN2at6native12_GLOBAL__N_18offset_tEEE10hipError_tPvRmT1_PNSt15iterator_traitsISK_E10value_typeET2_T3_PNSL_ISQ_E10value_typeET4_jRbjT5_SW_jjP12ihipStream_tbEUlT_E0_NS1_11comp_targetILNS1_3genE0ELNS1_11target_archE4294967295ELNS1_3gpuE0ELNS1_3repE0EEENS1_60segmented_radix_sort_warp_sort_medium_config_static_selectorELNS0_4arch9wavefront6targetE0EEEvSK_.num_named_barrier, max(0, .L_ZN7rocprim17ROCPRIM_400000_NS6detail26segmented_warp_sort_helperINS1_20WarpSortHelperConfigILj32ELj4ELj256EEEflLi256ELb1EvE4sortIPKfPfPKlPlEEvT_T0_T1_T2_jjjjRNS5_12storage_typeE.num_named_barrier)
	.set _ZN7rocprim17ROCPRIM_400000_NS6detail17trampoline_kernelINS0_14default_configENS1_36segmented_radix_sort_config_selectorIflEEZNS1_25segmented_radix_sort_implIS3_Lb1EPKfPfPKlPlN2at6native12_GLOBAL__N_18offset_tEEE10hipError_tPvRmT1_PNSt15iterator_traitsISK_E10value_typeET2_T3_PNSL_ISQ_E10value_typeET4_jRbjT5_SW_jjP12ihipStream_tbEUlT_E0_NS1_11comp_targetILNS1_3genE0ELNS1_11target_archE4294967295ELNS1_3gpuE0ELNS1_3repE0EEENS1_60segmented_radix_sort_warp_sort_medium_config_static_selectorELNS0_4arch9wavefront6targetE0EEEvSK_.private_seg_size, 0+max(.L_ZN7rocprim17ROCPRIM_400000_NS6detail26segmented_warp_sort_helperINS1_20WarpSortHelperConfigILj32ELj4ELj256EEEflLi256ELb1EvE4sortIPKfPfPKlPlEEvT_T0_T1_T2_jjjjRNS5_12storage_typeE.private_seg_size)
	.set _ZN7rocprim17ROCPRIM_400000_NS6detail17trampoline_kernelINS0_14default_configENS1_36segmented_radix_sort_config_selectorIflEEZNS1_25segmented_radix_sort_implIS3_Lb1EPKfPfPKlPlN2at6native12_GLOBAL__N_18offset_tEEE10hipError_tPvRmT1_PNSt15iterator_traitsISK_E10value_typeET2_T3_PNSL_ISQ_E10value_typeET4_jRbjT5_SW_jjP12ihipStream_tbEUlT_E0_NS1_11comp_targetILNS1_3genE0ELNS1_11target_archE4294967295ELNS1_3gpuE0ELNS1_3repE0EEENS1_60segmented_radix_sort_warp_sort_medium_config_static_selectorELNS0_4arch9wavefront6targetE0EEEvSK_.uses_vcc, or(1, .L_ZN7rocprim17ROCPRIM_400000_NS6detail26segmented_warp_sort_helperINS1_20WarpSortHelperConfigILj32ELj4ELj256EEEflLi256ELb1EvE4sortIPKfPfPKlPlEEvT_T0_T1_T2_jjjjRNS5_12storage_typeE.uses_vcc)
	.set _ZN7rocprim17ROCPRIM_400000_NS6detail17trampoline_kernelINS0_14default_configENS1_36segmented_radix_sort_config_selectorIflEEZNS1_25segmented_radix_sort_implIS3_Lb1EPKfPfPKlPlN2at6native12_GLOBAL__N_18offset_tEEE10hipError_tPvRmT1_PNSt15iterator_traitsISK_E10value_typeET2_T3_PNSL_ISQ_E10value_typeET4_jRbjT5_SW_jjP12ihipStream_tbEUlT_E0_NS1_11comp_targetILNS1_3genE0ELNS1_11target_archE4294967295ELNS1_3gpuE0ELNS1_3repE0EEENS1_60segmented_radix_sort_warp_sort_medium_config_static_selectorELNS0_4arch9wavefront6targetE0EEEvSK_.uses_flat_scratch, or(0, .L_ZN7rocprim17ROCPRIM_400000_NS6detail26segmented_warp_sort_helperINS1_20WarpSortHelperConfigILj32ELj4ELj256EEEflLi256ELb1EvE4sortIPKfPfPKlPlEEvT_T0_T1_T2_jjjjRNS5_12storage_typeE.uses_flat_scratch)
	.set _ZN7rocprim17ROCPRIM_400000_NS6detail17trampoline_kernelINS0_14default_configENS1_36segmented_radix_sort_config_selectorIflEEZNS1_25segmented_radix_sort_implIS3_Lb1EPKfPfPKlPlN2at6native12_GLOBAL__N_18offset_tEEE10hipError_tPvRmT1_PNSt15iterator_traitsISK_E10value_typeET2_T3_PNSL_ISQ_E10value_typeET4_jRbjT5_SW_jjP12ihipStream_tbEUlT_E0_NS1_11comp_targetILNS1_3genE0ELNS1_11target_archE4294967295ELNS1_3gpuE0ELNS1_3repE0EEENS1_60segmented_radix_sort_warp_sort_medium_config_static_selectorELNS0_4arch9wavefront6targetE0EEEvSK_.has_dyn_sized_stack, or(0, .L_ZN7rocprim17ROCPRIM_400000_NS6detail26segmented_warp_sort_helperINS1_20WarpSortHelperConfigILj32ELj4ELj256EEEflLi256ELb1EvE4sortIPKfPfPKlPlEEvT_T0_T1_T2_jjjjRNS5_12storage_typeE.has_dyn_sized_stack)
	.set _ZN7rocprim17ROCPRIM_400000_NS6detail17trampoline_kernelINS0_14default_configENS1_36segmented_radix_sort_config_selectorIflEEZNS1_25segmented_radix_sort_implIS3_Lb1EPKfPfPKlPlN2at6native12_GLOBAL__N_18offset_tEEE10hipError_tPvRmT1_PNSt15iterator_traitsISK_E10value_typeET2_T3_PNSL_ISQ_E10value_typeET4_jRbjT5_SW_jjP12ihipStream_tbEUlT_E0_NS1_11comp_targetILNS1_3genE0ELNS1_11target_archE4294967295ELNS1_3gpuE0ELNS1_3repE0EEENS1_60segmented_radix_sort_warp_sort_medium_config_static_selectorELNS0_4arch9wavefront6targetE0EEEvSK_.has_recursion, or(0, .L_ZN7rocprim17ROCPRIM_400000_NS6detail26segmented_warp_sort_helperINS1_20WarpSortHelperConfigILj32ELj4ELj256EEEflLi256ELb1EvE4sortIPKfPfPKlPlEEvT_T0_T1_T2_jjjjRNS5_12storage_typeE.has_recursion)
	.set _ZN7rocprim17ROCPRIM_400000_NS6detail17trampoline_kernelINS0_14default_configENS1_36segmented_radix_sort_config_selectorIflEEZNS1_25segmented_radix_sort_implIS3_Lb1EPKfPfPKlPlN2at6native12_GLOBAL__N_18offset_tEEE10hipError_tPvRmT1_PNSt15iterator_traitsISK_E10value_typeET2_T3_PNSL_ISQ_E10value_typeET4_jRbjT5_SW_jjP12ihipStream_tbEUlT_E0_NS1_11comp_targetILNS1_3genE0ELNS1_11target_archE4294967295ELNS1_3gpuE0ELNS1_3repE0EEENS1_60segmented_radix_sort_warp_sort_medium_config_static_selectorELNS0_4arch9wavefront6targetE0EEEvSK_.has_indirect_call, or(0, .L_ZN7rocprim17ROCPRIM_400000_NS6detail26segmented_warp_sort_helperINS1_20WarpSortHelperConfigILj32ELj4ELj256EEEflLi256ELb1EvE4sortIPKfPfPKlPlEEvT_T0_T1_T2_jjjjRNS5_12storage_typeE.has_indirect_call)
	.section	.AMDGPU.csdata,"",@progbits
; Kernel info:
; codeLenInByte = 480
; TotalNumSgprs: 35
; NumVgprs: 72
; ScratchSize: 0
; MemoryBound: 0
; FloatMode: 240
; IeeeMode: 1
; LDSByteSize: 12288 bytes/workgroup (compile time only)
; SGPRBlocks: 0
; VGPRBlocks: 4
; NumSGPRsForWavesPerEU: 35
; NumVGPRsForWavesPerEU: 72
; NamedBarCnt: 0
; Occupancy: 12
; WaveLimiterHint : 0
; COMPUTE_PGM_RSRC2:SCRATCH_EN: 0
; COMPUTE_PGM_RSRC2:USER_SGPR: 4
; COMPUTE_PGM_RSRC2:TRAP_HANDLER: 0
; COMPUTE_PGM_RSRC2:TGID_X_EN: 1
; COMPUTE_PGM_RSRC2:TGID_Y_EN: 1
; COMPUTE_PGM_RSRC2:TGID_Z_EN: 0
; COMPUTE_PGM_RSRC2:TIDIG_COMP_CNT: 2
	.section	.text._ZN7rocprim17ROCPRIM_400000_NS6detail17trampoline_kernelINS0_14default_configENS1_36segmented_radix_sort_config_selectorIflEEZNS1_25segmented_radix_sort_implIS3_Lb1EPKfPfPKlPlN2at6native12_GLOBAL__N_18offset_tEEE10hipError_tPvRmT1_PNSt15iterator_traitsISK_E10value_typeET2_T3_PNSL_ISQ_E10value_typeET4_jRbjT5_SW_jjP12ihipStream_tbEUlT_E0_NS1_11comp_targetILNS1_3genE5ELNS1_11target_archE942ELNS1_3gpuE9ELNS1_3repE0EEENS1_60segmented_radix_sort_warp_sort_medium_config_static_selectorELNS0_4arch9wavefront6targetE0EEEvSK_,"axG",@progbits,_ZN7rocprim17ROCPRIM_400000_NS6detail17trampoline_kernelINS0_14default_configENS1_36segmented_radix_sort_config_selectorIflEEZNS1_25segmented_radix_sort_implIS3_Lb1EPKfPfPKlPlN2at6native12_GLOBAL__N_18offset_tEEE10hipError_tPvRmT1_PNSt15iterator_traitsISK_E10value_typeET2_T3_PNSL_ISQ_E10value_typeET4_jRbjT5_SW_jjP12ihipStream_tbEUlT_E0_NS1_11comp_targetILNS1_3genE5ELNS1_11target_archE942ELNS1_3gpuE9ELNS1_3repE0EEENS1_60segmented_radix_sort_warp_sort_medium_config_static_selectorELNS0_4arch9wavefront6targetE0EEEvSK_,comdat
	.globl	_ZN7rocprim17ROCPRIM_400000_NS6detail17trampoline_kernelINS0_14default_configENS1_36segmented_radix_sort_config_selectorIflEEZNS1_25segmented_radix_sort_implIS3_Lb1EPKfPfPKlPlN2at6native12_GLOBAL__N_18offset_tEEE10hipError_tPvRmT1_PNSt15iterator_traitsISK_E10value_typeET2_T3_PNSL_ISQ_E10value_typeET4_jRbjT5_SW_jjP12ihipStream_tbEUlT_E0_NS1_11comp_targetILNS1_3genE5ELNS1_11target_archE942ELNS1_3gpuE9ELNS1_3repE0EEENS1_60segmented_radix_sort_warp_sort_medium_config_static_selectorELNS0_4arch9wavefront6targetE0EEEvSK_ ; -- Begin function _ZN7rocprim17ROCPRIM_400000_NS6detail17trampoline_kernelINS0_14default_configENS1_36segmented_radix_sort_config_selectorIflEEZNS1_25segmented_radix_sort_implIS3_Lb1EPKfPfPKlPlN2at6native12_GLOBAL__N_18offset_tEEE10hipError_tPvRmT1_PNSt15iterator_traitsISK_E10value_typeET2_T3_PNSL_ISQ_E10value_typeET4_jRbjT5_SW_jjP12ihipStream_tbEUlT_E0_NS1_11comp_targetILNS1_3genE5ELNS1_11target_archE942ELNS1_3gpuE9ELNS1_3repE0EEENS1_60segmented_radix_sort_warp_sort_medium_config_static_selectorELNS0_4arch9wavefront6targetE0EEEvSK_
	.p2align	8
	.type	_ZN7rocprim17ROCPRIM_400000_NS6detail17trampoline_kernelINS0_14default_configENS1_36segmented_radix_sort_config_selectorIflEEZNS1_25segmented_radix_sort_implIS3_Lb1EPKfPfPKlPlN2at6native12_GLOBAL__N_18offset_tEEE10hipError_tPvRmT1_PNSt15iterator_traitsISK_E10value_typeET2_T3_PNSL_ISQ_E10value_typeET4_jRbjT5_SW_jjP12ihipStream_tbEUlT_E0_NS1_11comp_targetILNS1_3genE5ELNS1_11target_archE942ELNS1_3gpuE9ELNS1_3repE0EEENS1_60segmented_radix_sort_warp_sort_medium_config_static_selectorELNS0_4arch9wavefront6targetE0EEEvSK_,@function
_ZN7rocprim17ROCPRIM_400000_NS6detail17trampoline_kernelINS0_14default_configENS1_36segmented_radix_sort_config_selectorIflEEZNS1_25segmented_radix_sort_implIS3_Lb1EPKfPfPKlPlN2at6native12_GLOBAL__N_18offset_tEEE10hipError_tPvRmT1_PNSt15iterator_traitsISK_E10value_typeET2_T3_PNSL_ISQ_E10value_typeET4_jRbjT5_SW_jjP12ihipStream_tbEUlT_E0_NS1_11comp_targetILNS1_3genE5ELNS1_11target_archE942ELNS1_3gpuE9ELNS1_3repE0EEENS1_60segmented_radix_sort_warp_sort_medium_config_static_selectorELNS0_4arch9wavefront6targetE0EEEvSK_: ; @_ZN7rocprim17ROCPRIM_400000_NS6detail17trampoline_kernelINS0_14default_configENS1_36segmented_radix_sort_config_selectorIflEEZNS1_25segmented_radix_sort_implIS3_Lb1EPKfPfPKlPlN2at6native12_GLOBAL__N_18offset_tEEE10hipError_tPvRmT1_PNSt15iterator_traitsISK_E10value_typeET2_T3_PNSL_ISQ_E10value_typeET4_jRbjT5_SW_jjP12ihipStream_tbEUlT_E0_NS1_11comp_targetILNS1_3genE5ELNS1_11target_archE942ELNS1_3gpuE9ELNS1_3repE0EEENS1_60segmented_radix_sort_warp_sort_medium_config_static_selectorELNS0_4arch9wavefront6targetE0EEEvSK_
; %bb.0:
	.section	.rodata,"a",@progbits
	.p2align	6, 0x0
	.amdhsa_kernel _ZN7rocprim17ROCPRIM_400000_NS6detail17trampoline_kernelINS0_14default_configENS1_36segmented_radix_sort_config_selectorIflEEZNS1_25segmented_radix_sort_implIS3_Lb1EPKfPfPKlPlN2at6native12_GLOBAL__N_18offset_tEEE10hipError_tPvRmT1_PNSt15iterator_traitsISK_E10value_typeET2_T3_PNSL_ISQ_E10value_typeET4_jRbjT5_SW_jjP12ihipStream_tbEUlT_E0_NS1_11comp_targetILNS1_3genE5ELNS1_11target_archE942ELNS1_3gpuE9ELNS1_3repE0EEENS1_60segmented_radix_sort_warp_sort_medium_config_static_selectorELNS0_4arch9wavefront6targetE0EEEvSK_
		.amdhsa_group_segment_fixed_size 0
		.amdhsa_private_segment_fixed_size 0
		.amdhsa_kernarg_size 88
		.amdhsa_user_sgpr_count 2
		.amdhsa_user_sgpr_dispatch_ptr 0
		.amdhsa_user_sgpr_queue_ptr 0
		.amdhsa_user_sgpr_kernarg_segment_ptr 1
		.amdhsa_user_sgpr_dispatch_id 0
		.amdhsa_user_sgpr_kernarg_preload_length 0
		.amdhsa_user_sgpr_kernarg_preload_offset 0
		.amdhsa_user_sgpr_private_segment_size 0
		.amdhsa_wavefront_size32 1
		.amdhsa_uses_dynamic_stack 0
		.amdhsa_enable_private_segment 0
		.amdhsa_system_sgpr_workgroup_id_x 1
		.amdhsa_system_sgpr_workgroup_id_y 0
		.amdhsa_system_sgpr_workgroup_id_z 0
		.amdhsa_system_sgpr_workgroup_info 0
		.amdhsa_system_vgpr_workitem_id 0
		.amdhsa_next_free_vgpr 1
		.amdhsa_next_free_sgpr 1
		.amdhsa_named_barrier_count 0
		.amdhsa_reserve_vcc 0
		.amdhsa_float_round_mode_32 0
		.amdhsa_float_round_mode_16_64 0
		.amdhsa_float_denorm_mode_32 3
		.amdhsa_float_denorm_mode_16_64 3
		.amdhsa_fp16_overflow 0
		.amdhsa_memory_ordered 1
		.amdhsa_forward_progress 1
		.amdhsa_inst_pref_size 0
		.amdhsa_round_robin_scheduling 0
		.amdhsa_exception_fp_ieee_invalid_op 0
		.amdhsa_exception_fp_denorm_src 0
		.amdhsa_exception_fp_ieee_div_zero 0
		.amdhsa_exception_fp_ieee_overflow 0
		.amdhsa_exception_fp_ieee_underflow 0
		.amdhsa_exception_fp_ieee_inexact 0
		.amdhsa_exception_int_div_zero 0
	.end_amdhsa_kernel
	.section	.text._ZN7rocprim17ROCPRIM_400000_NS6detail17trampoline_kernelINS0_14default_configENS1_36segmented_radix_sort_config_selectorIflEEZNS1_25segmented_radix_sort_implIS3_Lb1EPKfPfPKlPlN2at6native12_GLOBAL__N_18offset_tEEE10hipError_tPvRmT1_PNSt15iterator_traitsISK_E10value_typeET2_T3_PNSL_ISQ_E10value_typeET4_jRbjT5_SW_jjP12ihipStream_tbEUlT_E0_NS1_11comp_targetILNS1_3genE5ELNS1_11target_archE942ELNS1_3gpuE9ELNS1_3repE0EEENS1_60segmented_radix_sort_warp_sort_medium_config_static_selectorELNS0_4arch9wavefront6targetE0EEEvSK_,"axG",@progbits,_ZN7rocprim17ROCPRIM_400000_NS6detail17trampoline_kernelINS0_14default_configENS1_36segmented_radix_sort_config_selectorIflEEZNS1_25segmented_radix_sort_implIS3_Lb1EPKfPfPKlPlN2at6native12_GLOBAL__N_18offset_tEEE10hipError_tPvRmT1_PNSt15iterator_traitsISK_E10value_typeET2_T3_PNSL_ISQ_E10value_typeET4_jRbjT5_SW_jjP12ihipStream_tbEUlT_E0_NS1_11comp_targetILNS1_3genE5ELNS1_11target_archE942ELNS1_3gpuE9ELNS1_3repE0EEENS1_60segmented_radix_sort_warp_sort_medium_config_static_selectorELNS0_4arch9wavefront6targetE0EEEvSK_,comdat
.Lfunc_end1331:
	.size	_ZN7rocprim17ROCPRIM_400000_NS6detail17trampoline_kernelINS0_14default_configENS1_36segmented_radix_sort_config_selectorIflEEZNS1_25segmented_radix_sort_implIS3_Lb1EPKfPfPKlPlN2at6native12_GLOBAL__N_18offset_tEEE10hipError_tPvRmT1_PNSt15iterator_traitsISK_E10value_typeET2_T3_PNSL_ISQ_E10value_typeET4_jRbjT5_SW_jjP12ihipStream_tbEUlT_E0_NS1_11comp_targetILNS1_3genE5ELNS1_11target_archE942ELNS1_3gpuE9ELNS1_3repE0EEENS1_60segmented_radix_sort_warp_sort_medium_config_static_selectorELNS0_4arch9wavefront6targetE0EEEvSK_, .Lfunc_end1331-_ZN7rocprim17ROCPRIM_400000_NS6detail17trampoline_kernelINS0_14default_configENS1_36segmented_radix_sort_config_selectorIflEEZNS1_25segmented_radix_sort_implIS3_Lb1EPKfPfPKlPlN2at6native12_GLOBAL__N_18offset_tEEE10hipError_tPvRmT1_PNSt15iterator_traitsISK_E10value_typeET2_T3_PNSL_ISQ_E10value_typeET4_jRbjT5_SW_jjP12ihipStream_tbEUlT_E0_NS1_11comp_targetILNS1_3genE5ELNS1_11target_archE942ELNS1_3gpuE9ELNS1_3repE0EEENS1_60segmented_radix_sort_warp_sort_medium_config_static_selectorELNS0_4arch9wavefront6targetE0EEEvSK_
                                        ; -- End function
	.set _ZN7rocprim17ROCPRIM_400000_NS6detail17trampoline_kernelINS0_14default_configENS1_36segmented_radix_sort_config_selectorIflEEZNS1_25segmented_radix_sort_implIS3_Lb1EPKfPfPKlPlN2at6native12_GLOBAL__N_18offset_tEEE10hipError_tPvRmT1_PNSt15iterator_traitsISK_E10value_typeET2_T3_PNSL_ISQ_E10value_typeET4_jRbjT5_SW_jjP12ihipStream_tbEUlT_E0_NS1_11comp_targetILNS1_3genE5ELNS1_11target_archE942ELNS1_3gpuE9ELNS1_3repE0EEENS1_60segmented_radix_sort_warp_sort_medium_config_static_selectorELNS0_4arch9wavefront6targetE0EEEvSK_.num_vgpr, 0
	.set _ZN7rocprim17ROCPRIM_400000_NS6detail17trampoline_kernelINS0_14default_configENS1_36segmented_radix_sort_config_selectorIflEEZNS1_25segmented_radix_sort_implIS3_Lb1EPKfPfPKlPlN2at6native12_GLOBAL__N_18offset_tEEE10hipError_tPvRmT1_PNSt15iterator_traitsISK_E10value_typeET2_T3_PNSL_ISQ_E10value_typeET4_jRbjT5_SW_jjP12ihipStream_tbEUlT_E0_NS1_11comp_targetILNS1_3genE5ELNS1_11target_archE942ELNS1_3gpuE9ELNS1_3repE0EEENS1_60segmented_radix_sort_warp_sort_medium_config_static_selectorELNS0_4arch9wavefront6targetE0EEEvSK_.num_agpr, 0
	.set _ZN7rocprim17ROCPRIM_400000_NS6detail17trampoline_kernelINS0_14default_configENS1_36segmented_radix_sort_config_selectorIflEEZNS1_25segmented_radix_sort_implIS3_Lb1EPKfPfPKlPlN2at6native12_GLOBAL__N_18offset_tEEE10hipError_tPvRmT1_PNSt15iterator_traitsISK_E10value_typeET2_T3_PNSL_ISQ_E10value_typeET4_jRbjT5_SW_jjP12ihipStream_tbEUlT_E0_NS1_11comp_targetILNS1_3genE5ELNS1_11target_archE942ELNS1_3gpuE9ELNS1_3repE0EEENS1_60segmented_radix_sort_warp_sort_medium_config_static_selectorELNS0_4arch9wavefront6targetE0EEEvSK_.numbered_sgpr, 0
	.set _ZN7rocprim17ROCPRIM_400000_NS6detail17trampoline_kernelINS0_14default_configENS1_36segmented_radix_sort_config_selectorIflEEZNS1_25segmented_radix_sort_implIS3_Lb1EPKfPfPKlPlN2at6native12_GLOBAL__N_18offset_tEEE10hipError_tPvRmT1_PNSt15iterator_traitsISK_E10value_typeET2_T3_PNSL_ISQ_E10value_typeET4_jRbjT5_SW_jjP12ihipStream_tbEUlT_E0_NS1_11comp_targetILNS1_3genE5ELNS1_11target_archE942ELNS1_3gpuE9ELNS1_3repE0EEENS1_60segmented_radix_sort_warp_sort_medium_config_static_selectorELNS0_4arch9wavefront6targetE0EEEvSK_.num_named_barrier, 0
	.set _ZN7rocprim17ROCPRIM_400000_NS6detail17trampoline_kernelINS0_14default_configENS1_36segmented_radix_sort_config_selectorIflEEZNS1_25segmented_radix_sort_implIS3_Lb1EPKfPfPKlPlN2at6native12_GLOBAL__N_18offset_tEEE10hipError_tPvRmT1_PNSt15iterator_traitsISK_E10value_typeET2_T3_PNSL_ISQ_E10value_typeET4_jRbjT5_SW_jjP12ihipStream_tbEUlT_E0_NS1_11comp_targetILNS1_3genE5ELNS1_11target_archE942ELNS1_3gpuE9ELNS1_3repE0EEENS1_60segmented_radix_sort_warp_sort_medium_config_static_selectorELNS0_4arch9wavefront6targetE0EEEvSK_.private_seg_size, 0
	.set _ZN7rocprim17ROCPRIM_400000_NS6detail17trampoline_kernelINS0_14default_configENS1_36segmented_radix_sort_config_selectorIflEEZNS1_25segmented_radix_sort_implIS3_Lb1EPKfPfPKlPlN2at6native12_GLOBAL__N_18offset_tEEE10hipError_tPvRmT1_PNSt15iterator_traitsISK_E10value_typeET2_T3_PNSL_ISQ_E10value_typeET4_jRbjT5_SW_jjP12ihipStream_tbEUlT_E0_NS1_11comp_targetILNS1_3genE5ELNS1_11target_archE942ELNS1_3gpuE9ELNS1_3repE0EEENS1_60segmented_radix_sort_warp_sort_medium_config_static_selectorELNS0_4arch9wavefront6targetE0EEEvSK_.uses_vcc, 0
	.set _ZN7rocprim17ROCPRIM_400000_NS6detail17trampoline_kernelINS0_14default_configENS1_36segmented_radix_sort_config_selectorIflEEZNS1_25segmented_radix_sort_implIS3_Lb1EPKfPfPKlPlN2at6native12_GLOBAL__N_18offset_tEEE10hipError_tPvRmT1_PNSt15iterator_traitsISK_E10value_typeET2_T3_PNSL_ISQ_E10value_typeET4_jRbjT5_SW_jjP12ihipStream_tbEUlT_E0_NS1_11comp_targetILNS1_3genE5ELNS1_11target_archE942ELNS1_3gpuE9ELNS1_3repE0EEENS1_60segmented_radix_sort_warp_sort_medium_config_static_selectorELNS0_4arch9wavefront6targetE0EEEvSK_.uses_flat_scratch, 0
	.set _ZN7rocprim17ROCPRIM_400000_NS6detail17trampoline_kernelINS0_14default_configENS1_36segmented_radix_sort_config_selectorIflEEZNS1_25segmented_radix_sort_implIS3_Lb1EPKfPfPKlPlN2at6native12_GLOBAL__N_18offset_tEEE10hipError_tPvRmT1_PNSt15iterator_traitsISK_E10value_typeET2_T3_PNSL_ISQ_E10value_typeET4_jRbjT5_SW_jjP12ihipStream_tbEUlT_E0_NS1_11comp_targetILNS1_3genE5ELNS1_11target_archE942ELNS1_3gpuE9ELNS1_3repE0EEENS1_60segmented_radix_sort_warp_sort_medium_config_static_selectorELNS0_4arch9wavefront6targetE0EEEvSK_.has_dyn_sized_stack, 0
	.set _ZN7rocprim17ROCPRIM_400000_NS6detail17trampoline_kernelINS0_14default_configENS1_36segmented_radix_sort_config_selectorIflEEZNS1_25segmented_radix_sort_implIS3_Lb1EPKfPfPKlPlN2at6native12_GLOBAL__N_18offset_tEEE10hipError_tPvRmT1_PNSt15iterator_traitsISK_E10value_typeET2_T3_PNSL_ISQ_E10value_typeET4_jRbjT5_SW_jjP12ihipStream_tbEUlT_E0_NS1_11comp_targetILNS1_3genE5ELNS1_11target_archE942ELNS1_3gpuE9ELNS1_3repE0EEENS1_60segmented_radix_sort_warp_sort_medium_config_static_selectorELNS0_4arch9wavefront6targetE0EEEvSK_.has_recursion, 0
	.set _ZN7rocprim17ROCPRIM_400000_NS6detail17trampoline_kernelINS0_14default_configENS1_36segmented_radix_sort_config_selectorIflEEZNS1_25segmented_radix_sort_implIS3_Lb1EPKfPfPKlPlN2at6native12_GLOBAL__N_18offset_tEEE10hipError_tPvRmT1_PNSt15iterator_traitsISK_E10value_typeET2_T3_PNSL_ISQ_E10value_typeET4_jRbjT5_SW_jjP12ihipStream_tbEUlT_E0_NS1_11comp_targetILNS1_3genE5ELNS1_11target_archE942ELNS1_3gpuE9ELNS1_3repE0EEENS1_60segmented_radix_sort_warp_sort_medium_config_static_selectorELNS0_4arch9wavefront6targetE0EEEvSK_.has_indirect_call, 0
	.section	.AMDGPU.csdata,"",@progbits
; Kernel info:
; codeLenInByte = 0
; TotalNumSgprs: 0
; NumVgprs: 0
; ScratchSize: 0
; MemoryBound: 0
; FloatMode: 240
; IeeeMode: 1
; LDSByteSize: 0 bytes/workgroup (compile time only)
; SGPRBlocks: 0
; VGPRBlocks: 0
; NumSGPRsForWavesPerEU: 1
; NumVGPRsForWavesPerEU: 1
; NamedBarCnt: 0
; Occupancy: 16
; WaveLimiterHint : 0
; COMPUTE_PGM_RSRC2:SCRATCH_EN: 0
; COMPUTE_PGM_RSRC2:USER_SGPR: 2
; COMPUTE_PGM_RSRC2:TRAP_HANDLER: 0
; COMPUTE_PGM_RSRC2:TGID_X_EN: 1
; COMPUTE_PGM_RSRC2:TGID_Y_EN: 0
; COMPUTE_PGM_RSRC2:TGID_Z_EN: 0
; COMPUTE_PGM_RSRC2:TIDIG_COMP_CNT: 0
	.section	.text._ZN7rocprim17ROCPRIM_400000_NS6detail17trampoline_kernelINS0_14default_configENS1_36segmented_radix_sort_config_selectorIflEEZNS1_25segmented_radix_sort_implIS3_Lb1EPKfPfPKlPlN2at6native12_GLOBAL__N_18offset_tEEE10hipError_tPvRmT1_PNSt15iterator_traitsISK_E10value_typeET2_T3_PNSL_ISQ_E10value_typeET4_jRbjT5_SW_jjP12ihipStream_tbEUlT_E0_NS1_11comp_targetILNS1_3genE4ELNS1_11target_archE910ELNS1_3gpuE8ELNS1_3repE0EEENS1_60segmented_radix_sort_warp_sort_medium_config_static_selectorELNS0_4arch9wavefront6targetE0EEEvSK_,"axG",@progbits,_ZN7rocprim17ROCPRIM_400000_NS6detail17trampoline_kernelINS0_14default_configENS1_36segmented_radix_sort_config_selectorIflEEZNS1_25segmented_radix_sort_implIS3_Lb1EPKfPfPKlPlN2at6native12_GLOBAL__N_18offset_tEEE10hipError_tPvRmT1_PNSt15iterator_traitsISK_E10value_typeET2_T3_PNSL_ISQ_E10value_typeET4_jRbjT5_SW_jjP12ihipStream_tbEUlT_E0_NS1_11comp_targetILNS1_3genE4ELNS1_11target_archE910ELNS1_3gpuE8ELNS1_3repE0EEENS1_60segmented_radix_sort_warp_sort_medium_config_static_selectorELNS0_4arch9wavefront6targetE0EEEvSK_,comdat
	.globl	_ZN7rocprim17ROCPRIM_400000_NS6detail17trampoline_kernelINS0_14default_configENS1_36segmented_radix_sort_config_selectorIflEEZNS1_25segmented_radix_sort_implIS3_Lb1EPKfPfPKlPlN2at6native12_GLOBAL__N_18offset_tEEE10hipError_tPvRmT1_PNSt15iterator_traitsISK_E10value_typeET2_T3_PNSL_ISQ_E10value_typeET4_jRbjT5_SW_jjP12ihipStream_tbEUlT_E0_NS1_11comp_targetILNS1_3genE4ELNS1_11target_archE910ELNS1_3gpuE8ELNS1_3repE0EEENS1_60segmented_radix_sort_warp_sort_medium_config_static_selectorELNS0_4arch9wavefront6targetE0EEEvSK_ ; -- Begin function _ZN7rocprim17ROCPRIM_400000_NS6detail17trampoline_kernelINS0_14default_configENS1_36segmented_radix_sort_config_selectorIflEEZNS1_25segmented_radix_sort_implIS3_Lb1EPKfPfPKlPlN2at6native12_GLOBAL__N_18offset_tEEE10hipError_tPvRmT1_PNSt15iterator_traitsISK_E10value_typeET2_T3_PNSL_ISQ_E10value_typeET4_jRbjT5_SW_jjP12ihipStream_tbEUlT_E0_NS1_11comp_targetILNS1_3genE4ELNS1_11target_archE910ELNS1_3gpuE8ELNS1_3repE0EEENS1_60segmented_radix_sort_warp_sort_medium_config_static_selectorELNS0_4arch9wavefront6targetE0EEEvSK_
	.p2align	8
	.type	_ZN7rocprim17ROCPRIM_400000_NS6detail17trampoline_kernelINS0_14default_configENS1_36segmented_radix_sort_config_selectorIflEEZNS1_25segmented_radix_sort_implIS3_Lb1EPKfPfPKlPlN2at6native12_GLOBAL__N_18offset_tEEE10hipError_tPvRmT1_PNSt15iterator_traitsISK_E10value_typeET2_T3_PNSL_ISQ_E10value_typeET4_jRbjT5_SW_jjP12ihipStream_tbEUlT_E0_NS1_11comp_targetILNS1_3genE4ELNS1_11target_archE910ELNS1_3gpuE8ELNS1_3repE0EEENS1_60segmented_radix_sort_warp_sort_medium_config_static_selectorELNS0_4arch9wavefront6targetE0EEEvSK_,@function
_ZN7rocprim17ROCPRIM_400000_NS6detail17trampoline_kernelINS0_14default_configENS1_36segmented_radix_sort_config_selectorIflEEZNS1_25segmented_radix_sort_implIS3_Lb1EPKfPfPKlPlN2at6native12_GLOBAL__N_18offset_tEEE10hipError_tPvRmT1_PNSt15iterator_traitsISK_E10value_typeET2_T3_PNSL_ISQ_E10value_typeET4_jRbjT5_SW_jjP12ihipStream_tbEUlT_E0_NS1_11comp_targetILNS1_3genE4ELNS1_11target_archE910ELNS1_3gpuE8ELNS1_3repE0EEENS1_60segmented_radix_sort_warp_sort_medium_config_static_selectorELNS0_4arch9wavefront6targetE0EEEvSK_: ; @_ZN7rocprim17ROCPRIM_400000_NS6detail17trampoline_kernelINS0_14default_configENS1_36segmented_radix_sort_config_selectorIflEEZNS1_25segmented_radix_sort_implIS3_Lb1EPKfPfPKlPlN2at6native12_GLOBAL__N_18offset_tEEE10hipError_tPvRmT1_PNSt15iterator_traitsISK_E10value_typeET2_T3_PNSL_ISQ_E10value_typeET4_jRbjT5_SW_jjP12ihipStream_tbEUlT_E0_NS1_11comp_targetILNS1_3genE4ELNS1_11target_archE910ELNS1_3gpuE8ELNS1_3repE0EEENS1_60segmented_radix_sort_warp_sort_medium_config_static_selectorELNS0_4arch9wavefront6targetE0EEEvSK_
; %bb.0:
	.section	.rodata,"a",@progbits
	.p2align	6, 0x0
	.amdhsa_kernel _ZN7rocprim17ROCPRIM_400000_NS6detail17trampoline_kernelINS0_14default_configENS1_36segmented_radix_sort_config_selectorIflEEZNS1_25segmented_radix_sort_implIS3_Lb1EPKfPfPKlPlN2at6native12_GLOBAL__N_18offset_tEEE10hipError_tPvRmT1_PNSt15iterator_traitsISK_E10value_typeET2_T3_PNSL_ISQ_E10value_typeET4_jRbjT5_SW_jjP12ihipStream_tbEUlT_E0_NS1_11comp_targetILNS1_3genE4ELNS1_11target_archE910ELNS1_3gpuE8ELNS1_3repE0EEENS1_60segmented_radix_sort_warp_sort_medium_config_static_selectorELNS0_4arch9wavefront6targetE0EEEvSK_
		.amdhsa_group_segment_fixed_size 0
		.amdhsa_private_segment_fixed_size 0
		.amdhsa_kernarg_size 88
		.amdhsa_user_sgpr_count 2
		.amdhsa_user_sgpr_dispatch_ptr 0
		.amdhsa_user_sgpr_queue_ptr 0
		.amdhsa_user_sgpr_kernarg_segment_ptr 1
		.amdhsa_user_sgpr_dispatch_id 0
		.amdhsa_user_sgpr_kernarg_preload_length 0
		.amdhsa_user_sgpr_kernarg_preload_offset 0
		.amdhsa_user_sgpr_private_segment_size 0
		.amdhsa_wavefront_size32 1
		.amdhsa_uses_dynamic_stack 0
		.amdhsa_enable_private_segment 0
		.amdhsa_system_sgpr_workgroup_id_x 1
		.amdhsa_system_sgpr_workgroup_id_y 0
		.amdhsa_system_sgpr_workgroup_id_z 0
		.amdhsa_system_sgpr_workgroup_info 0
		.amdhsa_system_vgpr_workitem_id 0
		.amdhsa_next_free_vgpr 1
		.amdhsa_next_free_sgpr 1
		.amdhsa_named_barrier_count 0
		.amdhsa_reserve_vcc 0
		.amdhsa_float_round_mode_32 0
		.amdhsa_float_round_mode_16_64 0
		.amdhsa_float_denorm_mode_32 3
		.amdhsa_float_denorm_mode_16_64 3
		.amdhsa_fp16_overflow 0
		.amdhsa_memory_ordered 1
		.amdhsa_forward_progress 1
		.amdhsa_inst_pref_size 0
		.amdhsa_round_robin_scheduling 0
		.amdhsa_exception_fp_ieee_invalid_op 0
		.amdhsa_exception_fp_denorm_src 0
		.amdhsa_exception_fp_ieee_div_zero 0
		.amdhsa_exception_fp_ieee_overflow 0
		.amdhsa_exception_fp_ieee_underflow 0
		.amdhsa_exception_fp_ieee_inexact 0
		.amdhsa_exception_int_div_zero 0
	.end_amdhsa_kernel
	.section	.text._ZN7rocprim17ROCPRIM_400000_NS6detail17trampoline_kernelINS0_14default_configENS1_36segmented_radix_sort_config_selectorIflEEZNS1_25segmented_radix_sort_implIS3_Lb1EPKfPfPKlPlN2at6native12_GLOBAL__N_18offset_tEEE10hipError_tPvRmT1_PNSt15iterator_traitsISK_E10value_typeET2_T3_PNSL_ISQ_E10value_typeET4_jRbjT5_SW_jjP12ihipStream_tbEUlT_E0_NS1_11comp_targetILNS1_3genE4ELNS1_11target_archE910ELNS1_3gpuE8ELNS1_3repE0EEENS1_60segmented_radix_sort_warp_sort_medium_config_static_selectorELNS0_4arch9wavefront6targetE0EEEvSK_,"axG",@progbits,_ZN7rocprim17ROCPRIM_400000_NS6detail17trampoline_kernelINS0_14default_configENS1_36segmented_radix_sort_config_selectorIflEEZNS1_25segmented_radix_sort_implIS3_Lb1EPKfPfPKlPlN2at6native12_GLOBAL__N_18offset_tEEE10hipError_tPvRmT1_PNSt15iterator_traitsISK_E10value_typeET2_T3_PNSL_ISQ_E10value_typeET4_jRbjT5_SW_jjP12ihipStream_tbEUlT_E0_NS1_11comp_targetILNS1_3genE4ELNS1_11target_archE910ELNS1_3gpuE8ELNS1_3repE0EEENS1_60segmented_radix_sort_warp_sort_medium_config_static_selectorELNS0_4arch9wavefront6targetE0EEEvSK_,comdat
.Lfunc_end1332:
	.size	_ZN7rocprim17ROCPRIM_400000_NS6detail17trampoline_kernelINS0_14default_configENS1_36segmented_radix_sort_config_selectorIflEEZNS1_25segmented_radix_sort_implIS3_Lb1EPKfPfPKlPlN2at6native12_GLOBAL__N_18offset_tEEE10hipError_tPvRmT1_PNSt15iterator_traitsISK_E10value_typeET2_T3_PNSL_ISQ_E10value_typeET4_jRbjT5_SW_jjP12ihipStream_tbEUlT_E0_NS1_11comp_targetILNS1_3genE4ELNS1_11target_archE910ELNS1_3gpuE8ELNS1_3repE0EEENS1_60segmented_radix_sort_warp_sort_medium_config_static_selectorELNS0_4arch9wavefront6targetE0EEEvSK_, .Lfunc_end1332-_ZN7rocprim17ROCPRIM_400000_NS6detail17trampoline_kernelINS0_14default_configENS1_36segmented_radix_sort_config_selectorIflEEZNS1_25segmented_radix_sort_implIS3_Lb1EPKfPfPKlPlN2at6native12_GLOBAL__N_18offset_tEEE10hipError_tPvRmT1_PNSt15iterator_traitsISK_E10value_typeET2_T3_PNSL_ISQ_E10value_typeET4_jRbjT5_SW_jjP12ihipStream_tbEUlT_E0_NS1_11comp_targetILNS1_3genE4ELNS1_11target_archE910ELNS1_3gpuE8ELNS1_3repE0EEENS1_60segmented_radix_sort_warp_sort_medium_config_static_selectorELNS0_4arch9wavefront6targetE0EEEvSK_
                                        ; -- End function
	.set _ZN7rocprim17ROCPRIM_400000_NS6detail17trampoline_kernelINS0_14default_configENS1_36segmented_radix_sort_config_selectorIflEEZNS1_25segmented_radix_sort_implIS3_Lb1EPKfPfPKlPlN2at6native12_GLOBAL__N_18offset_tEEE10hipError_tPvRmT1_PNSt15iterator_traitsISK_E10value_typeET2_T3_PNSL_ISQ_E10value_typeET4_jRbjT5_SW_jjP12ihipStream_tbEUlT_E0_NS1_11comp_targetILNS1_3genE4ELNS1_11target_archE910ELNS1_3gpuE8ELNS1_3repE0EEENS1_60segmented_radix_sort_warp_sort_medium_config_static_selectorELNS0_4arch9wavefront6targetE0EEEvSK_.num_vgpr, 0
	.set _ZN7rocprim17ROCPRIM_400000_NS6detail17trampoline_kernelINS0_14default_configENS1_36segmented_radix_sort_config_selectorIflEEZNS1_25segmented_radix_sort_implIS3_Lb1EPKfPfPKlPlN2at6native12_GLOBAL__N_18offset_tEEE10hipError_tPvRmT1_PNSt15iterator_traitsISK_E10value_typeET2_T3_PNSL_ISQ_E10value_typeET4_jRbjT5_SW_jjP12ihipStream_tbEUlT_E0_NS1_11comp_targetILNS1_3genE4ELNS1_11target_archE910ELNS1_3gpuE8ELNS1_3repE0EEENS1_60segmented_radix_sort_warp_sort_medium_config_static_selectorELNS0_4arch9wavefront6targetE0EEEvSK_.num_agpr, 0
	.set _ZN7rocprim17ROCPRIM_400000_NS6detail17trampoline_kernelINS0_14default_configENS1_36segmented_radix_sort_config_selectorIflEEZNS1_25segmented_radix_sort_implIS3_Lb1EPKfPfPKlPlN2at6native12_GLOBAL__N_18offset_tEEE10hipError_tPvRmT1_PNSt15iterator_traitsISK_E10value_typeET2_T3_PNSL_ISQ_E10value_typeET4_jRbjT5_SW_jjP12ihipStream_tbEUlT_E0_NS1_11comp_targetILNS1_3genE4ELNS1_11target_archE910ELNS1_3gpuE8ELNS1_3repE0EEENS1_60segmented_radix_sort_warp_sort_medium_config_static_selectorELNS0_4arch9wavefront6targetE0EEEvSK_.numbered_sgpr, 0
	.set _ZN7rocprim17ROCPRIM_400000_NS6detail17trampoline_kernelINS0_14default_configENS1_36segmented_radix_sort_config_selectorIflEEZNS1_25segmented_radix_sort_implIS3_Lb1EPKfPfPKlPlN2at6native12_GLOBAL__N_18offset_tEEE10hipError_tPvRmT1_PNSt15iterator_traitsISK_E10value_typeET2_T3_PNSL_ISQ_E10value_typeET4_jRbjT5_SW_jjP12ihipStream_tbEUlT_E0_NS1_11comp_targetILNS1_3genE4ELNS1_11target_archE910ELNS1_3gpuE8ELNS1_3repE0EEENS1_60segmented_radix_sort_warp_sort_medium_config_static_selectorELNS0_4arch9wavefront6targetE0EEEvSK_.num_named_barrier, 0
	.set _ZN7rocprim17ROCPRIM_400000_NS6detail17trampoline_kernelINS0_14default_configENS1_36segmented_radix_sort_config_selectorIflEEZNS1_25segmented_radix_sort_implIS3_Lb1EPKfPfPKlPlN2at6native12_GLOBAL__N_18offset_tEEE10hipError_tPvRmT1_PNSt15iterator_traitsISK_E10value_typeET2_T3_PNSL_ISQ_E10value_typeET4_jRbjT5_SW_jjP12ihipStream_tbEUlT_E0_NS1_11comp_targetILNS1_3genE4ELNS1_11target_archE910ELNS1_3gpuE8ELNS1_3repE0EEENS1_60segmented_radix_sort_warp_sort_medium_config_static_selectorELNS0_4arch9wavefront6targetE0EEEvSK_.private_seg_size, 0
	.set _ZN7rocprim17ROCPRIM_400000_NS6detail17trampoline_kernelINS0_14default_configENS1_36segmented_radix_sort_config_selectorIflEEZNS1_25segmented_radix_sort_implIS3_Lb1EPKfPfPKlPlN2at6native12_GLOBAL__N_18offset_tEEE10hipError_tPvRmT1_PNSt15iterator_traitsISK_E10value_typeET2_T3_PNSL_ISQ_E10value_typeET4_jRbjT5_SW_jjP12ihipStream_tbEUlT_E0_NS1_11comp_targetILNS1_3genE4ELNS1_11target_archE910ELNS1_3gpuE8ELNS1_3repE0EEENS1_60segmented_radix_sort_warp_sort_medium_config_static_selectorELNS0_4arch9wavefront6targetE0EEEvSK_.uses_vcc, 0
	.set _ZN7rocprim17ROCPRIM_400000_NS6detail17trampoline_kernelINS0_14default_configENS1_36segmented_radix_sort_config_selectorIflEEZNS1_25segmented_radix_sort_implIS3_Lb1EPKfPfPKlPlN2at6native12_GLOBAL__N_18offset_tEEE10hipError_tPvRmT1_PNSt15iterator_traitsISK_E10value_typeET2_T3_PNSL_ISQ_E10value_typeET4_jRbjT5_SW_jjP12ihipStream_tbEUlT_E0_NS1_11comp_targetILNS1_3genE4ELNS1_11target_archE910ELNS1_3gpuE8ELNS1_3repE0EEENS1_60segmented_radix_sort_warp_sort_medium_config_static_selectorELNS0_4arch9wavefront6targetE0EEEvSK_.uses_flat_scratch, 0
	.set _ZN7rocprim17ROCPRIM_400000_NS6detail17trampoline_kernelINS0_14default_configENS1_36segmented_radix_sort_config_selectorIflEEZNS1_25segmented_radix_sort_implIS3_Lb1EPKfPfPKlPlN2at6native12_GLOBAL__N_18offset_tEEE10hipError_tPvRmT1_PNSt15iterator_traitsISK_E10value_typeET2_T3_PNSL_ISQ_E10value_typeET4_jRbjT5_SW_jjP12ihipStream_tbEUlT_E0_NS1_11comp_targetILNS1_3genE4ELNS1_11target_archE910ELNS1_3gpuE8ELNS1_3repE0EEENS1_60segmented_radix_sort_warp_sort_medium_config_static_selectorELNS0_4arch9wavefront6targetE0EEEvSK_.has_dyn_sized_stack, 0
	.set _ZN7rocprim17ROCPRIM_400000_NS6detail17trampoline_kernelINS0_14default_configENS1_36segmented_radix_sort_config_selectorIflEEZNS1_25segmented_radix_sort_implIS3_Lb1EPKfPfPKlPlN2at6native12_GLOBAL__N_18offset_tEEE10hipError_tPvRmT1_PNSt15iterator_traitsISK_E10value_typeET2_T3_PNSL_ISQ_E10value_typeET4_jRbjT5_SW_jjP12ihipStream_tbEUlT_E0_NS1_11comp_targetILNS1_3genE4ELNS1_11target_archE910ELNS1_3gpuE8ELNS1_3repE0EEENS1_60segmented_radix_sort_warp_sort_medium_config_static_selectorELNS0_4arch9wavefront6targetE0EEEvSK_.has_recursion, 0
	.set _ZN7rocprim17ROCPRIM_400000_NS6detail17trampoline_kernelINS0_14default_configENS1_36segmented_radix_sort_config_selectorIflEEZNS1_25segmented_radix_sort_implIS3_Lb1EPKfPfPKlPlN2at6native12_GLOBAL__N_18offset_tEEE10hipError_tPvRmT1_PNSt15iterator_traitsISK_E10value_typeET2_T3_PNSL_ISQ_E10value_typeET4_jRbjT5_SW_jjP12ihipStream_tbEUlT_E0_NS1_11comp_targetILNS1_3genE4ELNS1_11target_archE910ELNS1_3gpuE8ELNS1_3repE0EEENS1_60segmented_radix_sort_warp_sort_medium_config_static_selectorELNS0_4arch9wavefront6targetE0EEEvSK_.has_indirect_call, 0
	.section	.AMDGPU.csdata,"",@progbits
; Kernel info:
; codeLenInByte = 0
; TotalNumSgprs: 0
; NumVgprs: 0
; ScratchSize: 0
; MemoryBound: 0
; FloatMode: 240
; IeeeMode: 1
; LDSByteSize: 0 bytes/workgroup (compile time only)
; SGPRBlocks: 0
; VGPRBlocks: 0
; NumSGPRsForWavesPerEU: 1
; NumVGPRsForWavesPerEU: 1
; NamedBarCnt: 0
; Occupancy: 16
; WaveLimiterHint : 0
; COMPUTE_PGM_RSRC2:SCRATCH_EN: 0
; COMPUTE_PGM_RSRC2:USER_SGPR: 2
; COMPUTE_PGM_RSRC2:TRAP_HANDLER: 0
; COMPUTE_PGM_RSRC2:TGID_X_EN: 1
; COMPUTE_PGM_RSRC2:TGID_Y_EN: 0
; COMPUTE_PGM_RSRC2:TGID_Z_EN: 0
; COMPUTE_PGM_RSRC2:TIDIG_COMP_CNT: 0
	.section	.text._ZN7rocprim17ROCPRIM_400000_NS6detail17trampoline_kernelINS0_14default_configENS1_36segmented_radix_sort_config_selectorIflEEZNS1_25segmented_radix_sort_implIS3_Lb1EPKfPfPKlPlN2at6native12_GLOBAL__N_18offset_tEEE10hipError_tPvRmT1_PNSt15iterator_traitsISK_E10value_typeET2_T3_PNSL_ISQ_E10value_typeET4_jRbjT5_SW_jjP12ihipStream_tbEUlT_E0_NS1_11comp_targetILNS1_3genE3ELNS1_11target_archE908ELNS1_3gpuE7ELNS1_3repE0EEENS1_60segmented_radix_sort_warp_sort_medium_config_static_selectorELNS0_4arch9wavefront6targetE0EEEvSK_,"axG",@progbits,_ZN7rocprim17ROCPRIM_400000_NS6detail17trampoline_kernelINS0_14default_configENS1_36segmented_radix_sort_config_selectorIflEEZNS1_25segmented_radix_sort_implIS3_Lb1EPKfPfPKlPlN2at6native12_GLOBAL__N_18offset_tEEE10hipError_tPvRmT1_PNSt15iterator_traitsISK_E10value_typeET2_T3_PNSL_ISQ_E10value_typeET4_jRbjT5_SW_jjP12ihipStream_tbEUlT_E0_NS1_11comp_targetILNS1_3genE3ELNS1_11target_archE908ELNS1_3gpuE7ELNS1_3repE0EEENS1_60segmented_radix_sort_warp_sort_medium_config_static_selectorELNS0_4arch9wavefront6targetE0EEEvSK_,comdat
	.globl	_ZN7rocprim17ROCPRIM_400000_NS6detail17trampoline_kernelINS0_14default_configENS1_36segmented_radix_sort_config_selectorIflEEZNS1_25segmented_radix_sort_implIS3_Lb1EPKfPfPKlPlN2at6native12_GLOBAL__N_18offset_tEEE10hipError_tPvRmT1_PNSt15iterator_traitsISK_E10value_typeET2_T3_PNSL_ISQ_E10value_typeET4_jRbjT5_SW_jjP12ihipStream_tbEUlT_E0_NS1_11comp_targetILNS1_3genE3ELNS1_11target_archE908ELNS1_3gpuE7ELNS1_3repE0EEENS1_60segmented_radix_sort_warp_sort_medium_config_static_selectorELNS0_4arch9wavefront6targetE0EEEvSK_ ; -- Begin function _ZN7rocprim17ROCPRIM_400000_NS6detail17trampoline_kernelINS0_14default_configENS1_36segmented_radix_sort_config_selectorIflEEZNS1_25segmented_radix_sort_implIS3_Lb1EPKfPfPKlPlN2at6native12_GLOBAL__N_18offset_tEEE10hipError_tPvRmT1_PNSt15iterator_traitsISK_E10value_typeET2_T3_PNSL_ISQ_E10value_typeET4_jRbjT5_SW_jjP12ihipStream_tbEUlT_E0_NS1_11comp_targetILNS1_3genE3ELNS1_11target_archE908ELNS1_3gpuE7ELNS1_3repE0EEENS1_60segmented_radix_sort_warp_sort_medium_config_static_selectorELNS0_4arch9wavefront6targetE0EEEvSK_
	.p2align	8
	.type	_ZN7rocprim17ROCPRIM_400000_NS6detail17trampoline_kernelINS0_14default_configENS1_36segmented_radix_sort_config_selectorIflEEZNS1_25segmented_radix_sort_implIS3_Lb1EPKfPfPKlPlN2at6native12_GLOBAL__N_18offset_tEEE10hipError_tPvRmT1_PNSt15iterator_traitsISK_E10value_typeET2_T3_PNSL_ISQ_E10value_typeET4_jRbjT5_SW_jjP12ihipStream_tbEUlT_E0_NS1_11comp_targetILNS1_3genE3ELNS1_11target_archE908ELNS1_3gpuE7ELNS1_3repE0EEENS1_60segmented_radix_sort_warp_sort_medium_config_static_selectorELNS0_4arch9wavefront6targetE0EEEvSK_,@function
_ZN7rocprim17ROCPRIM_400000_NS6detail17trampoline_kernelINS0_14default_configENS1_36segmented_radix_sort_config_selectorIflEEZNS1_25segmented_radix_sort_implIS3_Lb1EPKfPfPKlPlN2at6native12_GLOBAL__N_18offset_tEEE10hipError_tPvRmT1_PNSt15iterator_traitsISK_E10value_typeET2_T3_PNSL_ISQ_E10value_typeET4_jRbjT5_SW_jjP12ihipStream_tbEUlT_E0_NS1_11comp_targetILNS1_3genE3ELNS1_11target_archE908ELNS1_3gpuE7ELNS1_3repE0EEENS1_60segmented_radix_sort_warp_sort_medium_config_static_selectorELNS0_4arch9wavefront6targetE0EEEvSK_: ; @_ZN7rocprim17ROCPRIM_400000_NS6detail17trampoline_kernelINS0_14default_configENS1_36segmented_radix_sort_config_selectorIflEEZNS1_25segmented_radix_sort_implIS3_Lb1EPKfPfPKlPlN2at6native12_GLOBAL__N_18offset_tEEE10hipError_tPvRmT1_PNSt15iterator_traitsISK_E10value_typeET2_T3_PNSL_ISQ_E10value_typeET4_jRbjT5_SW_jjP12ihipStream_tbEUlT_E0_NS1_11comp_targetILNS1_3genE3ELNS1_11target_archE908ELNS1_3gpuE7ELNS1_3repE0EEENS1_60segmented_radix_sort_warp_sort_medium_config_static_selectorELNS0_4arch9wavefront6targetE0EEEvSK_
; %bb.0:
	.section	.rodata,"a",@progbits
	.p2align	6, 0x0
	.amdhsa_kernel _ZN7rocprim17ROCPRIM_400000_NS6detail17trampoline_kernelINS0_14default_configENS1_36segmented_radix_sort_config_selectorIflEEZNS1_25segmented_radix_sort_implIS3_Lb1EPKfPfPKlPlN2at6native12_GLOBAL__N_18offset_tEEE10hipError_tPvRmT1_PNSt15iterator_traitsISK_E10value_typeET2_T3_PNSL_ISQ_E10value_typeET4_jRbjT5_SW_jjP12ihipStream_tbEUlT_E0_NS1_11comp_targetILNS1_3genE3ELNS1_11target_archE908ELNS1_3gpuE7ELNS1_3repE0EEENS1_60segmented_radix_sort_warp_sort_medium_config_static_selectorELNS0_4arch9wavefront6targetE0EEEvSK_
		.amdhsa_group_segment_fixed_size 0
		.amdhsa_private_segment_fixed_size 0
		.amdhsa_kernarg_size 88
		.amdhsa_user_sgpr_count 2
		.amdhsa_user_sgpr_dispatch_ptr 0
		.amdhsa_user_sgpr_queue_ptr 0
		.amdhsa_user_sgpr_kernarg_segment_ptr 1
		.amdhsa_user_sgpr_dispatch_id 0
		.amdhsa_user_sgpr_kernarg_preload_length 0
		.amdhsa_user_sgpr_kernarg_preload_offset 0
		.amdhsa_user_sgpr_private_segment_size 0
		.amdhsa_wavefront_size32 1
		.amdhsa_uses_dynamic_stack 0
		.amdhsa_enable_private_segment 0
		.amdhsa_system_sgpr_workgroup_id_x 1
		.amdhsa_system_sgpr_workgroup_id_y 0
		.amdhsa_system_sgpr_workgroup_id_z 0
		.amdhsa_system_sgpr_workgroup_info 0
		.amdhsa_system_vgpr_workitem_id 0
		.amdhsa_next_free_vgpr 1
		.amdhsa_next_free_sgpr 1
		.amdhsa_named_barrier_count 0
		.amdhsa_reserve_vcc 0
		.amdhsa_float_round_mode_32 0
		.amdhsa_float_round_mode_16_64 0
		.amdhsa_float_denorm_mode_32 3
		.amdhsa_float_denorm_mode_16_64 3
		.amdhsa_fp16_overflow 0
		.amdhsa_memory_ordered 1
		.amdhsa_forward_progress 1
		.amdhsa_inst_pref_size 0
		.amdhsa_round_robin_scheduling 0
		.amdhsa_exception_fp_ieee_invalid_op 0
		.amdhsa_exception_fp_denorm_src 0
		.amdhsa_exception_fp_ieee_div_zero 0
		.amdhsa_exception_fp_ieee_overflow 0
		.amdhsa_exception_fp_ieee_underflow 0
		.amdhsa_exception_fp_ieee_inexact 0
		.amdhsa_exception_int_div_zero 0
	.end_amdhsa_kernel
	.section	.text._ZN7rocprim17ROCPRIM_400000_NS6detail17trampoline_kernelINS0_14default_configENS1_36segmented_radix_sort_config_selectorIflEEZNS1_25segmented_radix_sort_implIS3_Lb1EPKfPfPKlPlN2at6native12_GLOBAL__N_18offset_tEEE10hipError_tPvRmT1_PNSt15iterator_traitsISK_E10value_typeET2_T3_PNSL_ISQ_E10value_typeET4_jRbjT5_SW_jjP12ihipStream_tbEUlT_E0_NS1_11comp_targetILNS1_3genE3ELNS1_11target_archE908ELNS1_3gpuE7ELNS1_3repE0EEENS1_60segmented_radix_sort_warp_sort_medium_config_static_selectorELNS0_4arch9wavefront6targetE0EEEvSK_,"axG",@progbits,_ZN7rocprim17ROCPRIM_400000_NS6detail17trampoline_kernelINS0_14default_configENS1_36segmented_radix_sort_config_selectorIflEEZNS1_25segmented_radix_sort_implIS3_Lb1EPKfPfPKlPlN2at6native12_GLOBAL__N_18offset_tEEE10hipError_tPvRmT1_PNSt15iterator_traitsISK_E10value_typeET2_T3_PNSL_ISQ_E10value_typeET4_jRbjT5_SW_jjP12ihipStream_tbEUlT_E0_NS1_11comp_targetILNS1_3genE3ELNS1_11target_archE908ELNS1_3gpuE7ELNS1_3repE0EEENS1_60segmented_radix_sort_warp_sort_medium_config_static_selectorELNS0_4arch9wavefront6targetE0EEEvSK_,comdat
.Lfunc_end1333:
	.size	_ZN7rocprim17ROCPRIM_400000_NS6detail17trampoline_kernelINS0_14default_configENS1_36segmented_radix_sort_config_selectorIflEEZNS1_25segmented_radix_sort_implIS3_Lb1EPKfPfPKlPlN2at6native12_GLOBAL__N_18offset_tEEE10hipError_tPvRmT1_PNSt15iterator_traitsISK_E10value_typeET2_T3_PNSL_ISQ_E10value_typeET4_jRbjT5_SW_jjP12ihipStream_tbEUlT_E0_NS1_11comp_targetILNS1_3genE3ELNS1_11target_archE908ELNS1_3gpuE7ELNS1_3repE0EEENS1_60segmented_radix_sort_warp_sort_medium_config_static_selectorELNS0_4arch9wavefront6targetE0EEEvSK_, .Lfunc_end1333-_ZN7rocprim17ROCPRIM_400000_NS6detail17trampoline_kernelINS0_14default_configENS1_36segmented_radix_sort_config_selectorIflEEZNS1_25segmented_radix_sort_implIS3_Lb1EPKfPfPKlPlN2at6native12_GLOBAL__N_18offset_tEEE10hipError_tPvRmT1_PNSt15iterator_traitsISK_E10value_typeET2_T3_PNSL_ISQ_E10value_typeET4_jRbjT5_SW_jjP12ihipStream_tbEUlT_E0_NS1_11comp_targetILNS1_3genE3ELNS1_11target_archE908ELNS1_3gpuE7ELNS1_3repE0EEENS1_60segmented_radix_sort_warp_sort_medium_config_static_selectorELNS0_4arch9wavefront6targetE0EEEvSK_
                                        ; -- End function
	.set _ZN7rocprim17ROCPRIM_400000_NS6detail17trampoline_kernelINS0_14default_configENS1_36segmented_radix_sort_config_selectorIflEEZNS1_25segmented_radix_sort_implIS3_Lb1EPKfPfPKlPlN2at6native12_GLOBAL__N_18offset_tEEE10hipError_tPvRmT1_PNSt15iterator_traitsISK_E10value_typeET2_T3_PNSL_ISQ_E10value_typeET4_jRbjT5_SW_jjP12ihipStream_tbEUlT_E0_NS1_11comp_targetILNS1_3genE3ELNS1_11target_archE908ELNS1_3gpuE7ELNS1_3repE0EEENS1_60segmented_radix_sort_warp_sort_medium_config_static_selectorELNS0_4arch9wavefront6targetE0EEEvSK_.num_vgpr, 0
	.set _ZN7rocprim17ROCPRIM_400000_NS6detail17trampoline_kernelINS0_14default_configENS1_36segmented_radix_sort_config_selectorIflEEZNS1_25segmented_radix_sort_implIS3_Lb1EPKfPfPKlPlN2at6native12_GLOBAL__N_18offset_tEEE10hipError_tPvRmT1_PNSt15iterator_traitsISK_E10value_typeET2_T3_PNSL_ISQ_E10value_typeET4_jRbjT5_SW_jjP12ihipStream_tbEUlT_E0_NS1_11comp_targetILNS1_3genE3ELNS1_11target_archE908ELNS1_3gpuE7ELNS1_3repE0EEENS1_60segmented_radix_sort_warp_sort_medium_config_static_selectorELNS0_4arch9wavefront6targetE0EEEvSK_.num_agpr, 0
	.set _ZN7rocprim17ROCPRIM_400000_NS6detail17trampoline_kernelINS0_14default_configENS1_36segmented_radix_sort_config_selectorIflEEZNS1_25segmented_radix_sort_implIS3_Lb1EPKfPfPKlPlN2at6native12_GLOBAL__N_18offset_tEEE10hipError_tPvRmT1_PNSt15iterator_traitsISK_E10value_typeET2_T3_PNSL_ISQ_E10value_typeET4_jRbjT5_SW_jjP12ihipStream_tbEUlT_E0_NS1_11comp_targetILNS1_3genE3ELNS1_11target_archE908ELNS1_3gpuE7ELNS1_3repE0EEENS1_60segmented_radix_sort_warp_sort_medium_config_static_selectorELNS0_4arch9wavefront6targetE0EEEvSK_.numbered_sgpr, 0
	.set _ZN7rocprim17ROCPRIM_400000_NS6detail17trampoline_kernelINS0_14default_configENS1_36segmented_radix_sort_config_selectorIflEEZNS1_25segmented_radix_sort_implIS3_Lb1EPKfPfPKlPlN2at6native12_GLOBAL__N_18offset_tEEE10hipError_tPvRmT1_PNSt15iterator_traitsISK_E10value_typeET2_T3_PNSL_ISQ_E10value_typeET4_jRbjT5_SW_jjP12ihipStream_tbEUlT_E0_NS1_11comp_targetILNS1_3genE3ELNS1_11target_archE908ELNS1_3gpuE7ELNS1_3repE0EEENS1_60segmented_radix_sort_warp_sort_medium_config_static_selectorELNS0_4arch9wavefront6targetE0EEEvSK_.num_named_barrier, 0
	.set _ZN7rocprim17ROCPRIM_400000_NS6detail17trampoline_kernelINS0_14default_configENS1_36segmented_radix_sort_config_selectorIflEEZNS1_25segmented_radix_sort_implIS3_Lb1EPKfPfPKlPlN2at6native12_GLOBAL__N_18offset_tEEE10hipError_tPvRmT1_PNSt15iterator_traitsISK_E10value_typeET2_T3_PNSL_ISQ_E10value_typeET4_jRbjT5_SW_jjP12ihipStream_tbEUlT_E0_NS1_11comp_targetILNS1_3genE3ELNS1_11target_archE908ELNS1_3gpuE7ELNS1_3repE0EEENS1_60segmented_radix_sort_warp_sort_medium_config_static_selectorELNS0_4arch9wavefront6targetE0EEEvSK_.private_seg_size, 0
	.set _ZN7rocprim17ROCPRIM_400000_NS6detail17trampoline_kernelINS0_14default_configENS1_36segmented_radix_sort_config_selectorIflEEZNS1_25segmented_radix_sort_implIS3_Lb1EPKfPfPKlPlN2at6native12_GLOBAL__N_18offset_tEEE10hipError_tPvRmT1_PNSt15iterator_traitsISK_E10value_typeET2_T3_PNSL_ISQ_E10value_typeET4_jRbjT5_SW_jjP12ihipStream_tbEUlT_E0_NS1_11comp_targetILNS1_3genE3ELNS1_11target_archE908ELNS1_3gpuE7ELNS1_3repE0EEENS1_60segmented_radix_sort_warp_sort_medium_config_static_selectorELNS0_4arch9wavefront6targetE0EEEvSK_.uses_vcc, 0
	.set _ZN7rocprim17ROCPRIM_400000_NS6detail17trampoline_kernelINS0_14default_configENS1_36segmented_radix_sort_config_selectorIflEEZNS1_25segmented_radix_sort_implIS3_Lb1EPKfPfPKlPlN2at6native12_GLOBAL__N_18offset_tEEE10hipError_tPvRmT1_PNSt15iterator_traitsISK_E10value_typeET2_T3_PNSL_ISQ_E10value_typeET4_jRbjT5_SW_jjP12ihipStream_tbEUlT_E0_NS1_11comp_targetILNS1_3genE3ELNS1_11target_archE908ELNS1_3gpuE7ELNS1_3repE0EEENS1_60segmented_radix_sort_warp_sort_medium_config_static_selectorELNS0_4arch9wavefront6targetE0EEEvSK_.uses_flat_scratch, 0
	.set _ZN7rocprim17ROCPRIM_400000_NS6detail17trampoline_kernelINS0_14default_configENS1_36segmented_radix_sort_config_selectorIflEEZNS1_25segmented_radix_sort_implIS3_Lb1EPKfPfPKlPlN2at6native12_GLOBAL__N_18offset_tEEE10hipError_tPvRmT1_PNSt15iterator_traitsISK_E10value_typeET2_T3_PNSL_ISQ_E10value_typeET4_jRbjT5_SW_jjP12ihipStream_tbEUlT_E0_NS1_11comp_targetILNS1_3genE3ELNS1_11target_archE908ELNS1_3gpuE7ELNS1_3repE0EEENS1_60segmented_radix_sort_warp_sort_medium_config_static_selectorELNS0_4arch9wavefront6targetE0EEEvSK_.has_dyn_sized_stack, 0
	.set _ZN7rocprim17ROCPRIM_400000_NS6detail17trampoline_kernelINS0_14default_configENS1_36segmented_radix_sort_config_selectorIflEEZNS1_25segmented_radix_sort_implIS3_Lb1EPKfPfPKlPlN2at6native12_GLOBAL__N_18offset_tEEE10hipError_tPvRmT1_PNSt15iterator_traitsISK_E10value_typeET2_T3_PNSL_ISQ_E10value_typeET4_jRbjT5_SW_jjP12ihipStream_tbEUlT_E0_NS1_11comp_targetILNS1_3genE3ELNS1_11target_archE908ELNS1_3gpuE7ELNS1_3repE0EEENS1_60segmented_radix_sort_warp_sort_medium_config_static_selectorELNS0_4arch9wavefront6targetE0EEEvSK_.has_recursion, 0
	.set _ZN7rocprim17ROCPRIM_400000_NS6detail17trampoline_kernelINS0_14default_configENS1_36segmented_radix_sort_config_selectorIflEEZNS1_25segmented_radix_sort_implIS3_Lb1EPKfPfPKlPlN2at6native12_GLOBAL__N_18offset_tEEE10hipError_tPvRmT1_PNSt15iterator_traitsISK_E10value_typeET2_T3_PNSL_ISQ_E10value_typeET4_jRbjT5_SW_jjP12ihipStream_tbEUlT_E0_NS1_11comp_targetILNS1_3genE3ELNS1_11target_archE908ELNS1_3gpuE7ELNS1_3repE0EEENS1_60segmented_radix_sort_warp_sort_medium_config_static_selectorELNS0_4arch9wavefront6targetE0EEEvSK_.has_indirect_call, 0
	.section	.AMDGPU.csdata,"",@progbits
; Kernel info:
; codeLenInByte = 0
; TotalNumSgprs: 0
; NumVgprs: 0
; ScratchSize: 0
; MemoryBound: 0
; FloatMode: 240
; IeeeMode: 1
; LDSByteSize: 0 bytes/workgroup (compile time only)
; SGPRBlocks: 0
; VGPRBlocks: 0
; NumSGPRsForWavesPerEU: 1
; NumVGPRsForWavesPerEU: 1
; NamedBarCnt: 0
; Occupancy: 16
; WaveLimiterHint : 0
; COMPUTE_PGM_RSRC2:SCRATCH_EN: 0
; COMPUTE_PGM_RSRC2:USER_SGPR: 2
; COMPUTE_PGM_RSRC2:TRAP_HANDLER: 0
; COMPUTE_PGM_RSRC2:TGID_X_EN: 1
; COMPUTE_PGM_RSRC2:TGID_Y_EN: 0
; COMPUTE_PGM_RSRC2:TGID_Z_EN: 0
; COMPUTE_PGM_RSRC2:TIDIG_COMP_CNT: 0
	.section	.text._ZN7rocprim17ROCPRIM_400000_NS6detail17trampoline_kernelINS0_14default_configENS1_36segmented_radix_sort_config_selectorIflEEZNS1_25segmented_radix_sort_implIS3_Lb1EPKfPfPKlPlN2at6native12_GLOBAL__N_18offset_tEEE10hipError_tPvRmT1_PNSt15iterator_traitsISK_E10value_typeET2_T3_PNSL_ISQ_E10value_typeET4_jRbjT5_SW_jjP12ihipStream_tbEUlT_E0_NS1_11comp_targetILNS1_3genE2ELNS1_11target_archE906ELNS1_3gpuE6ELNS1_3repE0EEENS1_60segmented_radix_sort_warp_sort_medium_config_static_selectorELNS0_4arch9wavefront6targetE0EEEvSK_,"axG",@progbits,_ZN7rocprim17ROCPRIM_400000_NS6detail17trampoline_kernelINS0_14default_configENS1_36segmented_radix_sort_config_selectorIflEEZNS1_25segmented_radix_sort_implIS3_Lb1EPKfPfPKlPlN2at6native12_GLOBAL__N_18offset_tEEE10hipError_tPvRmT1_PNSt15iterator_traitsISK_E10value_typeET2_T3_PNSL_ISQ_E10value_typeET4_jRbjT5_SW_jjP12ihipStream_tbEUlT_E0_NS1_11comp_targetILNS1_3genE2ELNS1_11target_archE906ELNS1_3gpuE6ELNS1_3repE0EEENS1_60segmented_radix_sort_warp_sort_medium_config_static_selectorELNS0_4arch9wavefront6targetE0EEEvSK_,comdat
	.globl	_ZN7rocprim17ROCPRIM_400000_NS6detail17trampoline_kernelINS0_14default_configENS1_36segmented_radix_sort_config_selectorIflEEZNS1_25segmented_radix_sort_implIS3_Lb1EPKfPfPKlPlN2at6native12_GLOBAL__N_18offset_tEEE10hipError_tPvRmT1_PNSt15iterator_traitsISK_E10value_typeET2_T3_PNSL_ISQ_E10value_typeET4_jRbjT5_SW_jjP12ihipStream_tbEUlT_E0_NS1_11comp_targetILNS1_3genE2ELNS1_11target_archE906ELNS1_3gpuE6ELNS1_3repE0EEENS1_60segmented_radix_sort_warp_sort_medium_config_static_selectorELNS0_4arch9wavefront6targetE0EEEvSK_ ; -- Begin function _ZN7rocprim17ROCPRIM_400000_NS6detail17trampoline_kernelINS0_14default_configENS1_36segmented_radix_sort_config_selectorIflEEZNS1_25segmented_radix_sort_implIS3_Lb1EPKfPfPKlPlN2at6native12_GLOBAL__N_18offset_tEEE10hipError_tPvRmT1_PNSt15iterator_traitsISK_E10value_typeET2_T3_PNSL_ISQ_E10value_typeET4_jRbjT5_SW_jjP12ihipStream_tbEUlT_E0_NS1_11comp_targetILNS1_3genE2ELNS1_11target_archE906ELNS1_3gpuE6ELNS1_3repE0EEENS1_60segmented_radix_sort_warp_sort_medium_config_static_selectorELNS0_4arch9wavefront6targetE0EEEvSK_
	.p2align	8
	.type	_ZN7rocprim17ROCPRIM_400000_NS6detail17trampoline_kernelINS0_14default_configENS1_36segmented_radix_sort_config_selectorIflEEZNS1_25segmented_radix_sort_implIS3_Lb1EPKfPfPKlPlN2at6native12_GLOBAL__N_18offset_tEEE10hipError_tPvRmT1_PNSt15iterator_traitsISK_E10value_typeET2_T3_PNSL_ISQ_E10value_typeET4_jRbjT5_SW_jjP12ihipStream_tbEUlT_E0_NS1_11comp_targetILNS1_3genE2ELNS1_11target_archE906ELNS1_3gpuE6ELNS1_3repE0EEENS1_60segmented_radix_sort_warp_sort_medium_config_static_selectorELNS0_4arch9wavefront6targetE0EEEvSK_,@function
_ZN7rocprim17ROCPRIM_400000_NS6detail17trampoline_kernelINS0_14default_configENS1_36segmented_radix_sort_config_selectorIflEEZNS1_25segmented_radix_sort_implIS3_Lb1EPKfPfPKlPlN2at6native12_GLOBAL__N_18offset_tEEE10hipError_tPvRmT1_PNSt15iterator_traitsISK_E10value_typeET2_T3_PNSL_ISQ_E10value_typeET4_jRbjT5_SW_jjP12ihipStream_tbEUlT_E0_NS1_11comp_targetILNS1_3genE2ELNS1_11target_archE906ELNS1_3gpuE6ELNS1_3repE0EEENS1_60segmented_radix_sort_warp_sort_medium_config_static_selectorELNS0_4arch9wavefront6targetE0EEEvSK_: ; @_ZN7rocprim17ROCPRIM_400000_NS6detail17trampoline_kernelINS0_14default_configENS1_36segmented_radix_sort_config_selectorIflEEZNS1_25segmented_radix_sort_implIS3_Lb1EPKfPfPKlPlN2at6native12_GLOBAL__N_18offset_tEEE10hipError_tPvRmT1_PNSt15iterator_traitsISK_E10value_typeET2_T3_PNSL_ISQ_E10value_typeET4_jRbjT5_SW_jjP12ihipStream_tbEUlT_E0_NS1_11comp_targetILNS1_3genE2ELNS1_11target_archE906ELNS1_3gpuE6ELNS1_3repE0EEENS1_60segmented_radix_sort_warp_sort_medium_config_static_selectorELNS0_4arch9wavefront6targetE0EEEvSK_
; %bb.0:
	.section	.rodata,"a",@progbits
	.p2align	6, 0x0
	.amdhsa_kernel _ZN7rocprim17ROCPRIM_400000_NS6detail17trampoline_kernelINS0_14default_configENS1_36segmented_radix_sort_config_selectorIflEEZNS1_25segmented_radix_sort_implIS3_Lb1EPKfPfPKlPlN2at6native12_GLOBAL__N_18offset_tEEE10hipError_tPvRmT1_PNSt15iterator_traitsISK_E10value_typeET2_T3_PNSL_ISQ_E10value_typeET4_jRbjT5_SW_jjP12ihipStream_tbEUlT_E0_NS1_11comp_targetILNS1_3genE2ELNS1_11target_archE906ELNS1_3gpuE6ELNS1_3repE0EEENS1_60segmented_radix_sort_warp_sort_medium_config_static_selectorELNS0_4arch9wavefront6targetE0EEEvSK_
		.amdhsa_group_segment_fixed_size 0
		.amdhsa_private_segment_fixed_size 0
		.amdhsa_kernarg_size 88
		.amdhsa_user_sgpr_count 2
		.amdhsa_user_sgpr_dispatch_ptr 0
		.amdhsa_user_sgpr_queue_ptr 0
		.amdhsa_user_sgpr_kernarg_segment_ptr 1
		.amdhsa_user_sgpr_dispatch_id 0
		.amdhsa_user_sgpr_kernarg_preload_length 0
		.amdhsa_user_sgpr_kernarg_preload_offset 0
		.amdhsa_user_sgpr_private_segment_size 0
		.amdhsa_wavefront_size32 1
		.amdhsa_uses_dynamic_stack 0
		.amdhsa_enable_private_segment 0
		.amdhsa_system_sgpr_workgroup_id_x 1
		.amdhsa_system_sgpr_workgroup_id_y 0
		.amdhsa_system_sgpr_workgroup_id_z 0
		.amdhsa_system_sgpr_workgroup_info 0
		.amdhsa_system_vgpr_workitem_id 0
		.amdhsa_next_free_vgpr 1
		.amdhsa_next_free_sgpr 1
		.amdhsa_named_barrier_count 0
		.amdhsa_reserve_vcc 0
		.amdhsa_float_round_mode_32 0
		.amdhsa_float_round_mode_16_64 0
		.amdhsa_float_denorm_mode_32 3
		.amdhsa_float_denorm_mode_16_64 3
		.amdhsa_fp16_overflow 0
		.amdhsa_memory_ordered 1
		.amdhsa_forward_progress 1
		.amdhsa_inst_pref_size 0
		.amdhsa_round_robin_scheduling 0
		.amdhsa_exception_fp_ieee_invalid_op 0
		.amdhsa_exception_fp_denorm_src 0
		.amdhsa_exception_fp_ieee_div_zero 0
		.amdhsa_exception_fp_ieee_overflow 0
		.amdhsa_exception_fp_ieee_underflow 0
		.amdhsa_exception_fp_ieee_inexact 0
		.amdhsa_exception_int_div_zero 0
	.end_amdhsa_kernel
	.section	.text._ZN7rocprim17ROCPRIM_400000_NS6detail17trampoline_kernelINS0_14default_configENS1_36segmented_radix_sort_config_selectorIflEEZNS1_25segmented_radix_sort_implIS3_Lb1EPKfPfPKlPlN2at6native12_GLOBAL__N_18offset_tEEE10hipError_tPvRmT1_PNSt15iterator_traitsISK_E10value_typeET2_T3_PNSL_ISQ_E10value_typeET4_jRbjT5_SW_jjP12ihipStream_tbEUlT_E0_NS1_11comp_targetILNS1_3genE2ELNS1_11target_archE906ELNS1_3gpuE6ELNS1_3repE0EEENS1_60segmented_radix_sort_warp_sort_medium_config_static_selectorELNS0_4arch9wavefront6targetE0EEEvSK_,"axG",@progbits,_ZN7rocprim17ROCPRIM_400000_NS6detail17trampoline_kernelINS0_14default_configENS1_36segmented_radix_sort_config_selectorIflEEZNS1_25segmented_radix_sort_implIS3_Lb1EPKfPfPKlPlN2at6native12_GLOBAL__N_18offset_tEEE10hipError_tPvRmT1_PNSt15iterator_traitsISK_E10value_typeET2_T3_PNSL_ISQ_E10value_typeET4_jRbjT5_SW_jjP12ihipStream_tbEUlT_E0_NS1_11comp_targetILNS1_3genE2ELNS1_11target_archE906ELNS1_3gpuE6ELNS1_3repE0EEENS1_60segmented_radix_sort_warp_sort_medium_config_static_selectorELNS0_4arch9wavefront6targetE0EEEvSK_,comdat
.Lfunc_end1334:
	.size	_ZN7rocprim17ROCPRIM_400000_NS6detail17trampoline_kernelINS0_14default_configENS1_36segmented_radix_sort_config_selectorIflEEZNS1_25segmented_radix_sort_implIS3_Lb1EPKfPfPKlPlN2at6native12_GLOBAL__N_18offset_tEEE10hipError_tPvRmT1_PNSt15iterator_traitsISK_E10value_typeET2_T3_PNSL_ISQ_E10value_typeET4_jRbjT5_SW_jjP12ihipStream_tbEUlT_E0_NS1_11comp_targetILNS1_3genE2ELNS1_11target_archE906ELNS1_3gpuE6ELNS1_3repE0EEENS1_60segmented_radix_sort_warp_sort_medium_config_static_selectorELNS0_4arch9wavefront6targetE0EEEvSK_, .Lfunc_end1334-_ZN7rocprim17ROCPRIM_400000_NS6detail17trampoline_kernelINS0_14default_configENS1_36segmented_radix_sort_config_selectorIflEEZNS1_25segmented_radix_sort_implIS3_Lb1EPKfPfPKlPlN2at6native12_GLOBAL__N_18offset_tEEE10hipError_tPvRmT1_PNSt15iterator_traitsISK_E10value_typeET2_T3_PNSL_ISQ_E10value_typeET4_jRbjT5_SW_jjP12ihipStream_tbEUlT_E0_NS1_11comp_targetILNS1_3genE2ELNS1_11target_archE906ELNS1_3gpuE6ELNS1_3repE0EEENS1_60segmented_radix_sort_warp_sort_medium_config_static_selectorELNS0_4arch9wavefront6targetE0EEEvSK_
                                        ; -- End function
	.set _ZN7rocprim17ROCPRIM_400000_NS6detail17trampoline_kernelINS0_14default_configENS1_36segmented_radix_sort_config_selectorIflEEZNS1_25segmented_radix_sort_implIS3_Lb1EPKfPfPKlPlN2at6native12_GLOBAL__N_18offset_tEEE10hipError_tPvRmT1_PNSt15iterator_traitsISK_E10value_typeET2_T3_PNSL_ISQ_E10value_typeET4_jRbjT5_SW_jjP12ihipStream_tbEUlT_E0_NS1_11comp_targetILNS1_3genE2ELNS1_11target_archE906ELNS1_3gpuE6ELNS1_3repE0EEENS1_60segmented_radix_sort_warp_sort_medium_config_static_selectorELNS0_4arch9wavefront6targetE0EEEvSK_.num_vgpr, 0
	.set _ZN7rocprim17ROCPRIM_400000_NS6detail17trampoline_kernelINS0_14default_configENS1_36segmented_radix_sort_config_selectorIflEEZNS1_25segmented_radix_sort_implIS3_Lb1EPKfPfPKlPlN2at6native12_GLOBAL__N_18offset_tEEE10hipError_tPvRmT1_PNSt15iterator_traitsISK_E10value_typeET2_T3_PNSL_ISQ_E10value_typeET4_jRbjT5_SW_jjP12ihipStream_tbEUlT_E0_NS1_11comp_targetILNS1_3genE2ELNS1_11target_archE906ELNS1_3gpuE6ELNS1_3repE0EEENS1_60segmented_radix_sort_warp_sort_medium_config_static_selectorELNS0_4arch9wavefront6targetE0EEEvSK_.num_agpr, 0
	.set _ZN7rocprim17ROCPRIM_400000_NS6detail17trampoline_kernelINS0_14default_configENS1_36segmented_radix_sort_config_selectorIflEEZNS1_25segmented_radix_sort_implIS3_Lb1EPKfPfPKlPlN2at6native12_GLOBAL__N_18offset_tEEE10hipError_tPvRmT1_PNSt15iterator_traitsISK_E10value_typeET2_T3_PNSL_ISQ_E10value_typeET4_jRbjT5_SW_jjP12ihipStream_tbEUlT_E0_NS1_11comp_targetILNS1_3genE2ELNS1_11target_archE906ELNS1_3gpuE6ELNS1_3repE0EEENS1_60segmented_radix_sort_warp_sort_medium_config_static_selectorELNS0_4arch9wavefront6targetE0EEEvSK_.numbered_sgpr, 0
	.set _ZN7rocprim17ROCPRIM_400000_NS6detail17trampoline_kernelINS0_14default_configENS1_36segmented_radix_sort_config_selectorIflEEZNS1_25segmented_radix_sort_implIS3_Lb1EPKfPfPKlPlN2at6native12_GLOBAL__N_18offset_tEEE10hipError_tPvRmT1_PNSt15iterator_traitsISK_E10value_typeET2_T3_PNSL_ISQ_E10value_typeET4_jRbjT5_SW_jjP12ihipStream_tbEUlT_E0_NS1_11comp_targetILNS1_3genE2ELNS1_11target_archE906ELNS1_3gpuE6ELNS1_3repE0EEENS1_60segmented_radix_sort_warp_sort_medium_config_static_selectorELNS0_4arch9wavefront6targetE0EEEvSK_.num_named_barrier, 0
	.set _ZN7rocprim17ROCPRIM_400000_NS6detail17trampoline_kernelINS0_14default_configENS1_36segmented_radix_sort_config_selectorIflEEZNS1_25segmented_radix_sort_implIS3_Lb1EPKfPfPKlPlN2at6native12_GLOBAL__N_18offset_tEEE10hipError_tPvRmT1_PNSt15iterator_traitsISK_E10value_typeET2_T3_PNSL_ISQ_E10value_typeET4_jRbjT5_SW_jjP12ihipStream_tbEUlT_E0_NS1_11comp_targetILNS1_3genE2ELNS1_11target_archE906ELNS1_3gpuE6ELNS1_3repE0EEENS1_60segmented_radix_sort_warp_sort_medium_config_static_selectorELNS0_4arch9wavefront6targetE0EEEvSK_.private_seg_size, 0
	.set _ZN7rocprim17ROCPRIM_400000_NS6detail17trampoline_kernelINS0_14default_configENS1_36segmented_radix_sort_config_selectorIflEEZNS1_25segmented_radix_sort_implIS3_Lb1EPKfPfPKlPlN2at6native12_GLOBAL__N_18offset_tEEE10hipError_tPvRmT1_PNSt15iterator_traitsISK_E10value_typeET2_T3_PNSL_ISQ_E10value_typeET4_jRbjT5_SW_jjP12ihipStream_tbEUlT_E0_NS1_11comp_targetILNS1_3genE2ELNS1_11target_archE906ELNS1_3gpuE6ELNS1_3repE0EEENS1_60segmented_radix_sort_warp_sort_medium_config_static_selectorELNS0_4arch9wavefront6targetE0EEEvSK_.uses_vcc, 0
	.set _ZN7rocprim17ROCPRIM_400000_NS6detail17trampoline_kernelINS0_14default_configENS1_36segmented_radix_sort_config_selectorIflEEZNS1_25segmented_radix_sort_implIS3_Lb1EPKfPfPKlPlN2at6native12_GLOBAL__N_18offset_tEEE10hipError_tPvRmT1_PNSt15iterator_traitsISK_E10value_typeET2_T3_PNSL_ISQ_E10value_typeET4_jRbjT5_SW_jjP12ihipStream_tbEUlT_E0_NS1_11comp_targetILNS1_3genE2ELNS1_11target_archE906ELNS1_3gpuE6ELNS1_3repE0EEENS1_60segmented_radix_sort_warp_sort_medium_config_static_selectorELNS0_4arch9wavefront6targetE0EEEvSK_.uses_flat_scratch, 0
	.set _ZN7rocprim17ROCPRIM_400000_NS6detail17trampoline_kernelINS0_14default_configENS1_36segmented_radix_sort_config_selectorIflEEZNS1_25segmented_radix_sort_implIS3_Lb1EPKfPfPKlPlN2at6native12_GLOBAL__N_18offset_tEEE10hipError_tPvRmT1_PNSt15iterator_traitsISK_E10value_typeET2_T3_PNSL_ISQ_E10value_typeET4_jRbjT5_SW_jjP12ihipStream_tbEUlT_E0_NS1_11comp_targetILNS1_3genE2ELNS1_11target_archE906ELNS1_3gpuE6ELNS1_3repE0EEENS1_60segmented_radix_sort_warp_sort_medium_config_static_selectorELNS0_4arch9wavefront6targetE0EEEvSK_.has_dyn_sized_stack, 0
	.set _ZN7rocprim17ROCPRIM_400000_NS6detail17trampoline_kernelINS0_14default_configENS1_36segmented_radix_sort_config_selectorIflEEZNS1_25segmented_radix_sort_implIS3_Lb1EPKfPfPKlPlN2at6native12_GLOBAL__N_18offset_tEEE10hipError_tPvRmT1_PNSt15iterator_traitsISK_E10value_typeET2_T3_PNSL_ISQ_E10value_typeET4_jRbjT5_SW_jjP12ihipStream_tbEUlT_E0_NS1_11comp_targetILNS1_3genE2ELNS1_11target_archE906ELNS1_3gpuE6ELNS1_3repE0EEENS1_60segmented_radix_sort_warp_sort_medium_config_static_selectorELNS0_4arch9wavefront6targetE0EEEvSK_.has_recursion, 0
	.set _ZN7rocprim17ROCPRIM_400000_NS6detail17trampoline_kernelINS0_14default_configENS1_36segmented_radix_sort_config_selectorIflEEZNS1_25segmented_radix_sort_implIS3_Lb1EPKfPfPKlPlN2at6native12_GLOBAL__N_18offset_tEEE10hipError_tPvRmT1_PNSt15iterator_traitsISK_E10value_typeET2_T3_PNSL_ISQ_E10value_typeET4_jRbjT5_SW_jjP12ihipStream_tbEUlT_E0_NS1_11comp_targetILNS1_3genE2ELNS1_11target_archE906ELNS1_3gpuE6ELNS1_3repE0EEENS1_60segmented_radix_sort_warp_sort_medium_config_static_selectorELNS0_4arch9wavefront6targetE0EEEvSK_.has_indirect_call, 0
	.section	.AMDGPU.csdata,"",@progbits
; Kernel info:
; codeLenInByte = 0
; TotalNumSgprs: 0
; NumVgprs: 0
; ScratchSize: 0
; MemoryBound: 0
; FloatMode: 240
; IeeeMode: 1
; LDSByteSize: 0 bytes/workgroup (compile time only)
; SGPRBlocks: 0
; VGPRBlocks: 0
; NumSGPRsForWavesPerEU: 1
; NumVGPRsForWavesPerEU: 1
; NamedBarCnt: 0
; Occupancy: 16
; WaveLimiterHint : 0
; COMPUTE_PGM_RSRC2:SCRATCH_EN: 0
; COMPUTE_PGM_RSRC2:USER_SGPR: 2
; COMPUTE_PGM_RSRC2:TRAP_HANDLER: 0
; COMPUTE_PGM_RSRC2:TGID_X_EN: 1
; COMPUTE_PGM_RSRC2:TGID_Y_EN: 0
; COMPUTE_PGM_RSRC2:TGID_Z_EN: 0
; COMPUTE_PGM_RSRC2:TIDIG_COMP_CNT: 0
	.section	.text._ZN7rocprim17ROCPRIM_400000_NS6detail17trampoline_kernelINS0_14default_configENS1_36segmented_radix_sort_config_selectorIflEEZNS1_25segmented_radix_sort_implIS3_Lb1EPKfPfPKlPlN2at6native12_GLOBAL__N_18offset_tEEE10hipError_tPvRmT1_PNSt15iterator_traitsISK_E10value_typeET2_T3_PNSL_ISQ_E10value_typeET4_jRbjT5_SW_jjP12ihipStream_tbEUlT_E0_NS1_11comp_targetILNS1_3genE10ELNS1_11target_archE1201ELNS1_3gpuE5ELNS1_3repE0EEENS1_60segmented_radix_sort_warp_sort_medium_config_static_selectorELNS0_4arch9wavefront6targetE0EEEvSK_,"axG",@progbits,_ZN7rocprim17ROCPRIM_400000_NS6detail17trampoline_kernelINS0_14default_configENS1_36segmented_radix_sort_config_selectorIflEEZNS1_25segmented_radix_sort_implIS3_Lb1EPKfPfPKlPlN2at6native12_GLOBAL__N_18offset_tEEE10hipError_tPvRmT1_PNSt15iterator_traitsISK_E10value_typeET2_T3_PNSL_ISQ_E10value_typeET4_jRbjT5_SW_jjP12ihipStream_tbEUlT_E0_NS1_11comp_targetILNS1_3genE10ELNS1_11target_archE1201ELNS1_3gpuE5ELNS1_3repE0EEENS1_60segmented_radix_sort_warp_sort_medium_config_static_selectorELNS0_4arch9wavefront6targetE0EEEvSK_,comdat
	.globl	_ZN7rocprim17ROCPRIM_400000_NS6detail17trampoline_kernelINS0_14default_configENS1_36segmented_radix_sort_config_selectorIflEEZNS1_25segmented_radix_sort_implIS3_Lb1EPKfPfPKlPlN2at6native12_GLOBAL__N_18offset_tEEE10hipError_tPvRmT1_PNSt15iterator_traitsISK_E10value_typeET2_T3_PNSL_ISQ_E10value_typeET4_jRbjT5_SW_jjP12ihipStream_tbEUlT_E0_NS1_11comp_targetILNS1_3genE10ELNS1_11target_archE1201ELNS1_3gpuE5ELNS1_3repE0EEENS1_60segmented_radix_sort_warp_sort_medium_config_static_selectorELNS0_4arch9wavefront6targetE0EEEvSK_ ; -- Begin function _ZN7rocprim17ROCPRIM_400000_NS6detail17trampoline_kernelINS0_14default_configENS1_36segmented_radix_sort_config_selectorIflEEZNS1_25segmented_radix_sort_implIS3_Lb1EPKfPfPKlPlN2at6native12_GLOBAL__N_18offset_tEEE10hipError_tPvRmT1_PNSt15iterator_traitsISK_E10value_typeET2_T3_PNSL_ISQ_E10value_typeET4_jRbjT5_SW_jjP12ihipStream_tbEUlT_E0_NS1_11comp_targetILNS1_3genE10ELNS1_11target_archE1201ELNS1_3gpuE5ELNS1_3repE0EEENS1_60segmented_radix_sort_warp_sort_medium_config_static_selectorELNS0_4arch9wavefront6targetE0EEEvSK_
	.p2align	8
	.type	_ZN7rocprim17ROCPRIM_400000_NS6detail17trampoline_kernelINS0_14default_configENS1_36segmented_radix_sort_config_selectorIflEEZNS1_25segmented_radix_sort_implIS3_Lb1EPKfPfPKlPlN2at6native12_GLOBAL__N_18offset_tEEE10hipError_tPvRmT1_PNSt15iterator_traitsISK_E10value_typeET2_T3_PNSL_ISQ_E10value_typeET4_jRbjT5_SW_jjP12ihipStream_tbEUlT_E0_NS1_11comp_targetILNS1_3genE10ELNS1_11target_archE1201ELNS1_3gpuE5ELNS1_3repE0EEENS1_60segmented_radix_sort_warp_sort_medium_config_static_selectorELNS0_4arch9wavefront6targetE0EEEvSK_,@function
_ZN7rocprim17ROCPRIM_400000_NS6detail17trampoline_kernelINS0_14default_configENS1_36segmented_radix_sort_config_selectorIflEEZNS1_25segmented_radix_sort_implIS3_Lb1EPKfPfPKlPlN2at6native12_GLOBAL__N_18offset_tEEE10hipError_tPvRmT1_PNSt15iterator_traitsISK_E10value_typeET2_T3_PNSL_ISQ_E10value_typeET4_jRbjT5_SW_jjP12ihipStream_tbEUlT_E0_NS1_11comp_targetILNS1_3genE10ELNS1_11target_archE1201ELNS1_3gpuE5ELNS1_3repE0EEENS1_60segmented_radix_sort_warp_sort_medium_config_static_selectorELNS0_4arch9wavefront6targetE0EEEvSK_: ; @_ZN7rocprim17ROCPRIM_400000_NS6detail17trampoline_kernelINS0_14default_configENS1_36segmented_radix_sort_config_selectorIflEEZNS1_25segmented_radix_sort_implIS3_Lb1EPKfPfPKlPlN2at6native12_GLOBAL__N_18offset_tEEE10hipError_tPvRmT1_PNSt15iterator_traitsISK_E10value_typeET2_T3_PNSL_ISQ_E10value_typeET4_jRbjT5_SW_jjP12ihipStream_tbEUlT_E0_NS1_11comp_targetILNS1_3genE10ELNS1_11target_archE1201ELNS1_3gpuE5ELNS1_3repE0EEENS1_60segmented_radix_sort_warp_sort_medium_config_static_selectorELNS0_4arch9wavefront6targetE0EEEvSK_
; %bb.0:
	.section	.rodata,"a",@progbits
	.p2align	6, 0x0
	.amdhsa_kernel _ZN7rocprim17ROCPRIM_400000_NS6detail17trampoline_kernelINS0_14default_configENS1_36segmented_radix_sort_config_selectorIflEEZNS1_25segmented_radix_sort_implIS3_Lb1EPKfPfPKlPlN2at6native12_GLOBAL__N_18offset_tEEE10hipError_tPvRmT1_PNSt15iterator_traitsISK_E10value_typeET2_T3_PNSL_ISQ_E10value_typeET4_jRbjT5_SW_jjP12ihipStream_tbEUlT_E0_NS1_11comp_targetILNS1_3genE10ELNS1_11target_archE1201ELNS1_3gpuE5ELNS1_3repE0EEENS1_60segmented_radix_sort_warp_sort_medium_config_static_selectorELNS0_4arch9wavefront6targetE0EEEvSK_
		.amdhsa_group_segment_fixed_size 0
		.amdhsa_private_segment_fixed_size 0
		.amdhsa_kernarg_size 88
		.amdhsa_user_sgpr_count 2
		.amdhsa_user_sgpr_dispatch_ptr 0
		.amdhsa_user_sgpr_queue_ptr 0
		.amdhsa_user_sgpr_kernarg_segment_ptr 1
		.amdhsa_user_sgpr_dispatch_id 0
		.amdhsa_user_sgpr_kernarg_preload_length 0
		.amdhsa_user_sgpr_kernarg_preload_offset 0
		.amdhsa_user_sgpr_private_segment_size 0
		.amdhsa_wavefront_size32 1
		.amdhsa_uses_dynamic_stack 0
		.amdhsa_enable_private_segment 0
		.amdhsa_system_sgpr_workgroup_id_x 1
		.amdhsa_system_sgpr_workgroup_id_y 0
		.amdhsa_system_sgpr_workgroup_id_z 0
		.amdhsa_system_sgpr_workgroup_info 0
		.amdhsa_system_vgpr_workitem_id 0
		.amdhsa_next_free_vgpr 1
		.amdhsa_next_free_sgpr 1
		.amdhsa_named_barrier_count 0
		.amdhsa_reserve_vcc 0
		.amdhsa_float_round_mode_32 0
		.amdhsa_float_round_mode_16_64 0
		.amdhsa_float_denorm_mode_32 3
		.amdhsa_float_denorm_mode_16_64 3
		.amdhsa_fp16_overflow 0
		.amdhsa_memory_ordered 1
		.amdhsa_forward_progress 1
		.amdhsa_inst_pref_size 0
		.amdhsa_round_robin_scheduling 0
		.amdhsa_exception_fp_ieee_invalid_op 0
		.amdhsa_exception_fp_denorm_src 0
		.amdhsa_exception_fp_ieee_div_zero 0
		.amdhsa_exception_fp_ieee_overflow 0
		.amdhsa_exception_fp_ieee_underflow 0
		.amdhsa_exception_fp_ieee_inexact 0
		.amdhsa_exception_int_div_zero 0
	.end_amdhsa_kernel
	.section	.text._ZN7rocprim17ROCPRIM_400000_NS6detail17trampoline_kernelINS0_14default_configENS1_36segmented_radix_sort_config_selectorIflEEZNS1_25segmented_radix_sort_implIS3_Lb1EPKfPfPKlPlN2at6native12_GLOBAL__N_18offset_tEEE10hipError_tPvRmT1_PNSt15iterator_traitsISK_E10value_typeET2_T3_PNSL_ISQ_E10value_typeET4_jRbjT5_SW_jjP12ihipStream_tbEUlT_E0_NS1_11comp_targetILNS1_3genE10ELNS1_11target_archE1201ELNS1_3gpuE5ELNS1_3repE0EEENS1_60segmented_radix_sort_warp_sort_medium_config_static_selectorELNS0_4arch9wavefront6targetE0EEEvSK_,"axG",@progbits,_ZN7rocprim17ROCPRIM_400000_NS6detail17trampoline_kernelINS0_14default_configENS1_36segmented_radix_sort_config_selectorIflEEZNS1_25segmented_radix_sort_implIS3_Lb1EPKfPfPKlPlN2at6native12_GLOBAL__N_18offset_tEEE10hipError_tPvRmT1_PNSt15iterator_traitsISK_E10value_typeET2_T3_PNSL_ISQ_E10value_typeET4_jRbjT5_SW_jjP12ihipStream_tbEUlT_E0_NS1_11comp_targetILNS1_3genE10ELNS1_11target_archE1201ELNS1_3gpuE5ELNS1_3repE0EEENS1_60segmented_radix_sort_warp_sort_medium_config_static_selectorELNS0_4arch9wavefront6targetE0EEEvSK_,comdat
.Lfunc_end1335:
	.size	_ZN7rocprim17ROCPRIM_400000_NS6detail17trampoline_kernelINS0_14default_configENS1_36segmented_radix_sort_config_selectorIflEEZNS1_25segmented_radix_sort_implIS3_Lb1EPKfPfPKlPlN2at6native12_GLOBAL__N_18offset_tEEE10hipError_tPvRmT1_PNSt15iterator_traitsISK_E10value_typeET2_T3_PNSL_ISQ_E10value_typeET4_jRbjT5_SW_jjP12ihipStream_tbEUlT_E0_NS1_11comp_targetILNS1_3genE10ELNS1_11target_archE1201ELNS1_3gpuE5ELNS1_3repE0EEENS1_60segmented_radix_sort_warp_sort_medium_config_static_selectorELNS0_4arch9wavefront6targetE0EEEvSK_, .Lfunc_end1335-_ZN7rocprim17ROCPRIM_400000_NS6detail17trampoline_kernelINS0_14default_configENS1_36segmented_radix_sort_config_selectorIflEEZNS1_25segmented_radix_sort_implIS3_Lb1EPKfPfPKlPlN2at6native12_GLOBAL__N_18offset_tEEE10hipError_tPvRmT1_PNSt15iterator_traitsISK_E10value_typeET2_T3_PNSL_ISQ_E10value_typeET4_jRbjT5_SW_jjP12ihipStream_tbEUlT_E0_NS1_11comp_targetILNS1_3genE10ELNS1_11target_archE1201ELNS1_3gpuE5ELNS1_3repE0EEENS1_60segmented_radix_sort_warp_sort_medium_config_static_selectorELNS0_4arch9wavefront6targetE0EEEvSK_
                                        ; -- End function
	.set _ZN7rocprim17ROCPRIM_400000_NS6detail17trampoline_kernelINS0_14default_configENS1_36segmented_radix_sort_config_selectorIflEEZNS1_25segmented_radix_sort_implIS3_Lb1EPKfPfPKlPlN2at6native12_GLOBAL__N_18offset_tEEE10hipError_tPvRmT1_PNSt15iterator_traitsISK_E10value_typeET2_T3_PNSL_ISQ_E10value_typeET4_jRbjT5_SW_jjP12ihipStream_tbEUlT_E0_NS1_11comp_targetILNS1_3genE10ELNS1_11target_archE1201ELNS1_3gpuE5ELNS1_3repE0EEENS1_60segmented_radix_sort_warp_sort_medium_config_static_selectorELNS0_4arch9wavefront6targetE0EEEvSK_.num_vgpr, 0
	.set _ZN7rocprim17ROCPRIM_400000_NS6detail17trampoline_kernelINS0_14default_configENS1_36segmented_radix_sort_config_selectorIflEEZNS1_25segmented_radix_sort_implIS3_Lb1EPKfPfPKlPlN2at6native12_GLOBAL__N_18offset_tEEE10hipError_tPvRmT1_PNSt15iterator_traitsISK_E10value_typeET2_T3_PNSL_ISQ_E10value_typeET4_jRbjT5_SW_jjP12ihipStream_tbEUlT_E0_NS1_11comp_targetILNS1_3genE10ELNS1_11target_archE1201ELNS1_3gpuE5ELNS1_3repE0EEENS1_60segmented_radix_sort_warp_sort_medium_config_static_selectorELNS0_4arch9wavefront6targetE0EEEvSK_.num_agpr, 0
	.set _ZN7rocprim17ROCPRIM_400000_NS6detail17trampoline_kernelINS0_14default_configENS1_36segmented_radix_sort_config_selectorIflEEZNS1_25segmented_radix_sort_implIS3_Lb1EPKfPfPKlPlN2at6native12_GLOBAL__N_18offset_tEEE10hipError_tPvRmT1_PNSt15iterator_traitsISK_E10value_typeET2_T3_PNSL_ISQ_E10value_typeET4_jRbjT5_SW_jjP12ihipStream_tbEUlT_E0_NS1_11comp_targetILNS1_3genE10ELNS1_11target_archE1201ELNS1_3gpuE5ELNS1_3repE0EEENS1_60segmented_radix_sort_warp_sort_medium_config_static_selectorELNS0_4arch9wavefront6targetE0EEEvSK_.numbered_sgpr, 0
	.set _ZN7rocprim17ROCPRIM_400000_NS6detail17trampoline_kernelINS0_14default_configENS1_36segmented_radix_sort_config_selectorIflEEZNS1_25segmented_radix_sort_implIS3_Lb1EPKfPfPKlPlN2at6native12_GLOBAL__N_18offset_tEEE10hipError_tPvRmT1_PNSt15iterator_traitsISK_E10value_typeET2_T3_PNSL_ISQ_E10value_typeET4_jRbjT5_SW_jjP12ihipStream_tbEUlT_E0_NS1_11comp_targetILNS1_3genE10ELNS1_11target_archE1201ELNS1_3gpuE5ELNS1_3repE0EEENS1_60segmented_radix_sort_warp_sort_medium_config_static_selectorELNS0_4arch9wavefront6targetE0EEEvSK_.num_named_barrier, 0
	.set _ZN7rocprim17ROCPRIM_400000_NS6detail17trampoline_kernelINS0_14default_configENS1_36segmented_radix_sort_config_selectorIflEEZNS1_25segmented_radix_sort_implIS3_Lb1EPKfPfPKlPlN2at6native12_GLOBAL__N_18offset_tEEE10hipError_tPvRmT1_PNSt15iterator_traitsISK_E10value_typeET2_T3_PNSL_ISQ_E10value_typeET4_jRbjT5_SW_jjP12ihipStream_tbEUlT_E0_NS1_11comp_targetILNS1_3genE10ELNS1_11target_archE1201ELNS1_3gpuE5ELNS1_3repE0EEENS1_60segmented_radix_sort_warp_sort_medium_config_static_selectorELNS0_4arch9wavefront6targetE0EEEvSK_.private_seg_size, 0
	.set _ZN7rocprim17ROCPRIM_400000_NS6detail17trampoline_kernelINS0_14default_configENS1_36segmented_radix_sort_config_selectorIflEEZNS1_25segmented_radix_sort_implIS3_Lb1EPKfPfPKlPlN2at6native12_GLOBAL__N_18offset_tEEE10hipError_tPvRmT1_PNSt15iterator_traitsISK_E10value_typeET2_T3_PNSL_ISQ_E10value_typeET4_jRbjT5_SW_jjP12ihipStream_tbEUlT_E0_NS1_11comp_targetILNS1_3genE10ELNS1_11target_archE1201ELNS1_3gpuE5ELNS1_3repE0EEENS1_60segmented_radix_sort_warp_sort_medium_config_static_selectorELNS0_4arch9wavefront6targetE0EEEvSK_.uses_vcc, 0
	.set _ZN7rocprim17ROCPRIM_400000_NS6detail17trampoline_kernelINS0_14default_configENS1_36segmented_radix_sort_config_selectorIflEEZNS1_25segmented_radix_sort_implIS3_Lb1EPKfPfPKlPlN2at6native12_GLOBAL__N_18offset_tEEE10hipError_tPvRmT1_PNSt15iterator_traitsISK_E10value_typeET2_T3_PNSL_ISQ_E10value_typeET4_jRbjT5_SW_jjP12ihipStream_tbEUlT_E0_NS1_11comp_targetILNS1_3genE10ELNS1_11target_archE1201ELNS1_3gpuE5ELNS1_3repE0EEENS1_60segmented_radix_sort_warp_sort_medium_config_static_selectorELNS0_4arch9wavefront6targetE0EEEvSK_.uses_flat_scratch, 0
	.set _ZN7rocprim17ROCPRIM_400000_NS6detail17trampoline_kernelINS0_14default_configENS1_36segmented_radix_sort_config_selectorIflEEZNS1_25segmented_radix_sort_implIS3_Lb1EPKfPfPKlPlN2at6native12_GLOBAL__N_18offset_tEEE10hipError_tPvRmT1_PNSt15iterator_traitsISK_E10value_typeET2_T3_PNSL_ISQ_E10value_typeET4_jRbjT5_SW_jjP12ihipStream_tbEUlT_E0_NS1_11comp_targetILNS1_3genE10ELNS1_11target_archE1201ELNS1_3gpuE5ELNS1_3repE0EEENS1_60segmented_radix_sort_warp_sort_medium_config_static_selectorELNS0_4arch9wavefront6targetE0EEEvSK_.has_dyn_sized_stack, 0
	.set _ZN7rocprim17ROCPRIM_400000_NS6detail17trampoline_kernelINS0_14default_configENS1_36segmented_radix_sort_config_selectorIflEEZNS1_25segmented_radix_sort_implIS3_Lb1EPKfPfPKlPlN2at6native12_GLOBAL__N_18offset_tEEE10hipError_tPvRmT1_PNSt15iterator_traitsISK_E10value_typeET2_T3_PNSL_ISQ_E10value_typeET4_jRbjT5_SW_jjP12ihipStream_tbEUlT_E0_NS1_11comp_targetILNS1_3genE10ELNS1_11target_archE1201ELNS1_3gpuE5ELNS1_3repE0EEENS1_60segmented_radix_sort_warp_sort_medium_config_static_selectorELNS0_4arch9wavefront6targetE0EEEvSK_.has_recursion, 0
	.set _ZN7rocprim17ROCPRIM_400000_NS6detail17trampoline_kernelINS0_14default_configENS1_36segmented_radix_sort_config_selectorIflEEZNS1_25segmented_radix_sort_implIS3_Lb1EPKfPfPKlPlN2at6native12_GLOBAL__N_18offset_tEEE10hipError_tPvRmT1_PNSt15iterator_traitsISK_E10value_typeET2_T3_PNSL_ISQ_E10value_typeET4_jRbjT5_SW_jjP12ihipStream_tbEUlT_E0_NS1_11comp_targetILNS1_3genE10ELNS1_11target_archE1201ELNS1_3gpuE5ELNS1_3repE0EEENS1_60segmented_radix_sort_warp_sort_medium_config_static_selectorELNS0_4arch9wavefront6targetE0EEEvSK_.has_indirect_call, 0
	.section	.AMDGPU.csdata,"",@progbits
; Kernel info:
; codeLenInByte = 0
; TotalNumSgprs: 0
; NumVgprs: 0
; ScratchSize: 0
; MemoryBound: 0
; FloatMode: 240
; IeeeMode: 1
; LDSByteSize: 0 bytes/workgroup (compile time only)
; SGPRBlocks: 0
; VGPRBlocks: 0
; NumSGPRsForWavesPerEU: 1
; NumVGPRsForWavesPerEU: 1
; NamedBarCnt: 0
; Occupancy: 16
; WaveLimiterHint : 0
; COMPUTE_PGM_RSRC2:SCRATCH_EN: 0
; COMPUTE_PGM_RSRC2:USER_SGPR: 2
; COMPUTE_PGM_RSRC2:TRAP_HANDLER: 0
; COMPUTE_PGM_RSRC2:TGID_X_EN: 1
; COMPUTE_PGM_RSRC2:TGID_Y_EN: 0
; COMPUTE_PGM_RSRC2:TGID_Z_EN: 0
; COMPUTE_PGM_RSRC2:TIDIG_COMP_CNT: 0
	.section	.text._ZN7rocprim17ROCPRIM_400000_NS6detail17trampoline_kernelINS0_14default_configENS1_36segmented_radix_sort_config_selectorIflEEZNS1_25segmented_radix_sort_implIS3_Lb1EPKfPfPKlPlN2at6native12_GLOBAL__N_18offset_tEEE10hipError_tPvRmT1_PNSt15iterator_traitsISK_E10value_typeET2_T3_PNSL_ISQ_E10value_typeET4_jRbjT5_SW_jjP12ihipStream_tbEUlT_E0_NS1_11comp_targetILNS1_3genE10ELNS1_11target_archE1200ELNS1_3gpuE4ELNS1_3repE0EEENS1_60segmented_radix_sort_warp_sort_medium_config_static_selectorELNS0_4arch9wavefront6targetE0EEEvSK_,"axG",@progbits,_ZN7rocprim17ROCPRIM_400000_NS6detail17trampoline_kernelINS0_14default_configENS1_36segmented_radix_sort_config_selectorIflEEZNS1_25segmented_radix_sort_implIS3_Lb1EPKfPfPKlPlN2at6native12_GLOBAL__N_18offset_tEEE10hipError_tPvRmT1_PNSt15iterator_traitsISK_E10value_typeET2_T3_PNSL_ISQ_E10value_typeET4_jRbjT5_SW_jjP12ihipStream_tbEUlT_E0_NS1_11comp_targetILNS1_3genE10ELNS1_11target_archE1200ELNS1_3gpuE4ELNS1_3repE0EEENS1_60segmented_radix_sort_warp_sort_medium_config_static_selectorELNS0_4arch9wavefront6targetE0EEEvSK_,comdat
	.globl	_ZN7rocprim17ROCPRIM_400000_NS6detail17trampoline_kernelINS0_14default_configENS1_36segmented_radix_sort_config_selectorIflEEZNS1_25segmented_radix_sort_implIS3_Lb1EPKfPfPKlPlN2at6native12_GLOBAL__N_18offset_tEEE10hipError_tPvRmT1_PNSt15iterator_traitsISK_E10value_typeET2_T3_PNSL_ISQ_E10value_typeET4_jRbjT5_SW_jjP12ihipStream_tbEUlT_E0_NS1_11comp_targetILNS1_3genE10ELNS1_11target_archE1200ELNS1_3gpuE4ELNS1_3repE0EEENS1_60segmented_radix_sort_warp_sort_medium_config_static_selectorELNS0_4arch9wavefront6targetE0EEEvSK_ ; -- Begin function _ZN7rocprim17ROCPRIM_400000_NS6detail17trampoline_kernelINS0_14default_configENS1_36segmented_radix_sort_config_selectorIflEEZNS1_25segmented_radix_sort_implIS3_Lb1EPKfPfPKlPlN2at6native12_GLOBAL__N_18offset_tEEE10hipError_tPvRmT1_PNSt15iterator_traitsISK_E10value_typeET2_T3_PNSL_ISQ_E10value_typeET4_jRbjT5_SW_jjP12ihipStream_tbEUlT_E0_NS1_11comp_targetILNS1_3genE10ELNS1_11target_archE1200ELNS1_3gpuE4ELNS1_3repE0EEENS1_60segmented_radix_sort_warp_sort_medium_config_static_selectorELNS0_4arch9wavefront6targetE0EEEvSK_
	.p2align	8
	.type	_ZN7rocprim17ROCPRIM_400000_NS6detail17trampoline_kernelINS0_14default_configENS1_36segmented_radix_sort_config_selectorIflEEZNS1_25segmented_radix_sort_implIS3_Lb1EPKfPfPKlPlN2at6native12_GLOBAL__N_18offset_tEEE10hipError_tPvRmT1_PNSt15iterator_traitsISK_E10value_typeET2_T3_PNSL_ISQ_E10value_typeET4_jRbjT5_SW_jjP12ihipStream_tbEUlT_E0_NS1_11comp_targetILNS1_3genE10ELNS1_11target_archE1200ELNS1_3gpuE4ELNS1_3repE0EEENS1_60segmented_radix_sort_warp_sort_medium_config_static_selectorELNS0_4arch9wavefront6targetE0EEEvSK_,@function
_ZN7rocprim17ROCPRIM_400000_NS6detail17trampoline_kernelINS0_14default_configENS1_36segmented_radix_sort_config_selectorIflEEZNS1_25segmented_radix_sort_implIS3_Lb1EPKfPfPKlPlN2at6native12_GLOBAL__N_18offset_tEEE10hipError_tPvRmT1_PNSt15iterator_traitsISK_E10value_typeET2_T3_PNSL_ISQ_E10value_typeET4_jRbjT5_SW_jjP12ihipStream_tbEUlT_E0_NS1_11comp_targetILNS1_3genE10ELNS1_11target_archE1200ELNS1_3gpuE4ELNS1_3repE0EEENS1_60segmented_radix_sort_warp_sort_medium_config_static_selectorELNS0_4arch9wavefront6targetE0EEEvSK_: ; @_ZN7rocprim17ROCPRIM_400000_NS6detail17trampoline_kernelINS0_14default_configENS1_36segmented_radix_sort_config_selectorIflEEZNS1_25segmented_radix_sort_implIS3_Lb1EPKfPfPKlPlN2at6native12_GLOBAL__N_18offset_tEEE10hipError_tPvRmT1_PNSt15iterator_traitsISK_E10value_typeET2_T3_PNSL_ISQ_E10value_typeET4_jRbjT5_SW_jjP12ihipStream_tbEUlT_E0_NS1_11comp_targetILNS1_3genE10ELNS1_11target_archE1200ELNS1_3gpuE4ELNS1_3repE0EEENS1_60segmented_radix_sort_warp_sort_medium_config_static_selectorELNS0_4arch9wavefront6targetE0EEEvSK_
; %bb.0:
	.section	.rodata,"a",@progbits
	.p2align	6, 0x0
	.amdhsa_kernel _ZN7rocprim17ROCPRIM_400000_NS6detail17trampoline_kernelINS0_14default_configENS1_36segmented_radix_sort_config_selectorIflEEZNS1_25segmented_radix_sort_implIS3_Lb1EPKfPfPKlPlN2at6native12_GLOBAL__N_18offset_tEEE10hipError_tPvRmT1_PNSt15iterator_traitsISK_E10value_typeET2_T3_PNSL_ISQ_E10value_typeET4_jRbjT5_SW_jjP12ihipStream_tbEUlT_E0_NS1_11comp_targetILNS1_3genE10ELNS1_11target_archE1200ELNS1_3gpuE4ELNS1_3repE0EEENS1_60segmented_radix_sort_warp_sort_medium_config_static_selectorELNS0_4arch9wavefront6targetE0EEEvSK_
		.amdhsa_group_segment_fixed_size 0
		.amdhsa_private_segment_fixed_size 0
		.amdhsa_kernarg_size 88
		.amdhsa_user_sgpr_count 2
		.amdhsa_user_sgpr_dispatch_ptr 0
		.amdhsa_user_sgpr_queue_ptr 0
		.amdhsa_user_sgpr_kernarg_segment_ptr 1
		.amdhsa_user_sgpr_dispatch_id 0
		.amdhsa_user_sgpr_kernarg_preload_length 0
		.amdhsa_user_sgpr_kernarg_preload_offset 0
		.amdhsa_user_sgpr_private_segment_size 0
		.amdhsa_wavefront_size32 1
		.amdhsa_uses_dynamic_stack 0
		.amdhsa_enable_private_segment 0
		.amdhsa_system_sgpr_workgroup_id_x 1
		.amdhsa_system_sgpr_workgroup_id_y 0
		.amdhsa_system_sgpr_workgroup_id_z 0
		.amdhsa_system_sgpr_workgroup_info 0
		.amdhsa_system_vgpr_workitem_id 0
		.amdhsa_next_free_vgpr 1
		.amdhsa_next_free_sgpr 1
		.amdhsa_named_barrier_count 0
		.amdhsa_reserve_vcc 0
		.amdhsa_float_round_mode_32 0
		.amdhsa_float_round_mode_16_64 0
		.amdhsa_float_denorm_mode_32 3
		.amdhsa_float_denorm_mode_16_64 3
		.amdhsa_fp16_overflow 0
		.amdhsa_memory_ordered 1
		.amdhsa_forward_progress 1
		.amdhsa_inst_pref_size 0
		.amdhsa_round_robin_scheduling 0
		.amdhsa_exception_fp_ieee_invalid_op 0
		.amdhsa_exception_fp_denorm_src 0
		.amdhsa_exception_fp_ieee_div_zero 0
		.amdhsa_exception_fp_ieee_overflow 0
		.amdhsa_exception_fp_ieee_underflow 0
		.amdhsa_exception_fp_ieee_inexact 0
		.amdhsa_exception_int_div_zero 0
	.end_amdhsa_kernel
	.section	.text._ZN7rocprim17ROCPRIM_400000_NS6detail17trampoline_kernelINS0_14default_configENS1_36segmented_radix_sort_config_selectorIflEEZNS1_25segmented_radix_sort_implIS3_Lb1EPKfPfPKlPlN2at6native12_GLOBAL__N_18offset_tEEE10hipError_tPvRmT1_PNSt15iterator_traitsISK_E10value_typeET2_T3_PNSL_ISQ_E10value_typeET4_jRbjT5_SW_jjP12ihipStream_tbEUlT_E0_NS1_11comp_targetILNS1_3genE10ELNS1_11target_archE1200ELNS1_3gpuE4ELNS1_3repE0EEENS1_60segmented_radix_sort_warp_sort_medium_config_static_selectorELNS0_4arch9wavefront6targetE0EEEvSK_,"axG",@progbits,_ZN7rocprim17ROCPRIM_400000_NS6detail17trampoline_kernelINS0_14default_configENS1_36segmented_radix_sort_config_selectorIflEEZNS1_25segmented_radix_sort_implIS3_Lb1EPKfPfPKlPlN2at6native12_GLOBAL__N_18offset_tEEE10hipError_tPvRmT1_PNSt15iterator_traitsISK_E10value_typeET2_T3_PNSL_ISQ_E10value_typeET4_jRbjT5_SW_jjP12ihipStream_tbEUlT_E0_NS1_11comp_targetILNS1_3genE10ELNS1_11target_archE1200ELNS1_3gpuE4ELNS1_3repE0EEENS1_60segmented_radix_sort_warp_sort_medium_config_static_selectorELNS0_4arch9wavefront6targetE0EEEvSK_,comdat
.Lfunc_end1336:
	.size	_ZN7rocprim17ROCPRIM_400000_NS6detail17trampoline_kernelINS0_14default_configENS1_36segmented_radix_sort_config_selectorIflEEZNS1_25segmented_radix_sort_implIS3_Lb1EPKfPfPKlPlN2at6native12_GLOBAL__N_18offset_tEEE10hipError_tPvRmT1_PNSt15iterator_traitsISK_E10value_typeET2_T3_PNSL_ISQ_E10value_typeET4_jRbjT5_SW_jjP12ihipStream_tbEUlT_E0_NS1_11comp_targetILNS1_3genE10ELNS1_11target_archE1200ELNS1_3gpuE4ELNS1_3repE0EEENS1_60segmented_radix_sort_warp_sort_medium_config_static_selectorELNS0_4arch9wavefront6targetE0EEEvSK_, .Lfunc_end1336-_ZN7rocprim17ROCPRIM_400000_NS6detail17trampoline_kernelINS0_14default_configENS1_36segmented_radix_sort_config_selectorIflEEZNS1_25segmented_radix_sort_implIS3_Lb1EPKfPfPKlPlN2at6native12_GLOBAL__N_18offset_tEEE10hipError_tPvRmT1_PNSt15iterator_traitsISK_E10value_typeET2_T3_PNSL_ISQ_E10value_typeET4_jRbjT5_SW_jjP12ihipStream_tbEUlT_E0_NS1_11comp_targetILNS1_3genE10ELNS1_11target_archE1200ELNS1_3gpuE4ELNS1_3repE0EEENS1_60segmented_radix_sort_warp_sort_medium_config_static_selectorELNS0_4arch9wavefront6targetE0EEEvSK_
                                        ; -- End function
	.set _ZN7rocprim17ROCPRIM_400000_NS6detail17trampoline_kernelINS0_14default_configENS1_36segmented_radix_sort_config_selectorIflEEZNS1_25segmented_radix_sort_implIS3_Lb1EPKfPfPKlPlN2at6native12_GLOBAL__N_18offset_tEEE10hipError_tPvRmT1_PNSt15iterator_traitsISK_E10value_typeET2_T3_PNSL_ISQ_E10value_typeET4_jRbjT5_SW_jjP12ihipStream_tbEUlT_E0_NS1_11comp_targetILNS1_3genE10ELNS1_11target_archE1200ELNS1_3gpuE4ELNS1_3repE0EEENS1_60segmented_radix_sort_warp_sort_medium_config_static_selectorELNS0_4arch9wavefront6targetE0EEEvSK_.num_vgpr, 0
	.set _ZN7rocprim17ROCPRIM_400000_NS6detail17trampoline_kernelINS0_14default_configENS1_36segmented_radix_sort_config_selectorIflEEZNS1_25segmented_radix_sort_implIS3_Lb1EPKfPfPKlPlN2at6native12_GLOBAL__N_18offset_tEEE10hipError_tPvRmT1_PNSt15iterator_traitsISK_E10value_typeET2_T3_PNSL_ISQ_E10value_typeET4_jRbjT5_SW_jjP12ihipStream_tbEUlT_E0_NS1_11comp_targetILNS1_3genE10ELNS1_11target_archE1200ELNS1_3gpuE4ELNS1_3repE0EEENS1_60segmented_radix_sort_warp_sort_medium_config_static_selectorELNS0_4arch9wavefront6targetE0EEEvSK_.num_agpr, 0
	.set _ZN7rocprim17ROCPRIM_400000_NS6detail17trampoline_kernelINS0_14default_configENS1_36segmented_radix_sort_config_selectorIflEEZNS1_25segmented_radix_sort_implIS3_Lb1EPKfPfPKlPlN2at6native12_GLOBAL__N_18offset_tEEE10hipError_tPvRmT1_PNSt15iterator_traitsISK_E10value_typeET2_T3_PNSL_ISQ_E10value_typeET4_jRbjT5_SW_jjP12ihipStream_tbEUlT_E0_NS1_11comp_targetILNS1_3genE10ELNS1_11target_archE1200ELNS1_3gpuE4ELNS1_3repE0EEENS1_60segmented_radix_sort_warp_sort_medium_config_static_selectorELNS0_4arch9wavefront6targetE0EEEvSK_.numbered_sgpr, 0
	.set _ZN7rocprim17ROCPRIM_400000_NS6detail17trampoline_kernelINS0_14default_configENS1_36segmented_radix_sort_config_selectorIflEEZNS1_25segmented_radix_sort_implIS3_Lb1EPKfPfPKlPlN2at6native12_GLOBAL__N_18offset_tEEE10hipError_tPvRmT1_PNSt15iterator_traitsISK_E10value_typeET2_T3_PNSL_ISQ_E10value_typeET4_jRbjT5_SW_jjP12ihipStream_tbEUlT_E0_NS1_11comp_targetILNS1_3genE10ELNS1_11target_archE1200ELNS1_3gpuE4ELNS1_3repE0EEENS1_60segmented_radix_sort_warp_sort_medium_config_static_selectorELNS0_4arch9wavefront6targetE0EEEvSK_.num_named_barrier, 0
	.set _ZN7rocprim17ROCPRIM_400000_NS6detail17trampoline_kernelINS0_14default_configENS1_36segmented_radix_sort_config_selectorIflEEZNS1_25segmented_radix_sort_implIS3_Lb1EPKfPfPKlPlN2at6native12_GLOBAL__N_18offset_tEEE10hipError_tPvRmT1_PNSt15iterator_traitsISK_E10value_typeET2_T3_PNSL_ISQ_E10value_typeET4_jRbjT5_SW_jjP12ihipStream_tbEUlT_E0_NS1_11comp_targetILNS1_3genE10ELNS1_11target_archE1200ELNS1_3gpuE4ELNS1_3repE0EEENS1_60segmented_radix_sort_warp_sort_medium_config_static_selectorELNS0_4arch9wavefront6targetE0EEEvSK_.private_seg_size, 0
	.set _ZN7rocprim17ROCPRIM_400000_NS6detail17trampoline_kernelINS0_14default_configENS1_36segmented_radix_sort_config_selectorIflEEZNS1_25segmented_radix_sort_implIS3_Lb1EPKfPfPKlPlN2at6native12_GLOBAL__N_18offset_tEEE10hipError_tPvRmT1_PNSt15iterator_traitsISK_E10value_typeET2_T3_PNSL_ISQ_E10value_typeET4_jRbjT5_SW_jjP12ihipStream_tbEUlT_E0_NS1_11comp_targetILNS1_3genE10ELNS1_11target_archE1200ELNS1_3gpuE4ELNS1_3repE0EEENS1_60segmented_radix_sort_warp_sort_medium_config_static_selectorELNS0_4arch9wavefront6targetE0EEEvSK_.uses_vcc, 0
	.set _ZN7rocprim17ROCPRIM_400000_NS6detail17trampoline_kernelINS0_14default_configENS1_36segmented_radix_sort_config_selectorIflEEZNS1_25segmented_radix_sort_implIS3_Lb1EPKfPfPKlPlN2at6native12_GLOBAL__N_18offset_tEEE10hipError_tPvRmT1_PNSt15iterator_traitsISK_E10value_typeET2_T3_PNSL_ISQ_E10value_typeET4_jRbjT5_SW_jjP12ihipStream_tbEUlT_E0_NS1_11comp_targetILNS1_3genE10ELNS1_11target_archE1200ELNS1_3gpuE4ELNS1_3repE0EEENS1_60segmented_radix_sort_warp_sort_medium_config_static_selectorELNS0_4arch9wavefront6targetE0EEEvSK_.uses_flat_scratch, 0
	.set _ZN7rocprim17ROCPRIM_400000_NS6detail17trampoline_kernelINS0_14default_configENS1_36segmented_radix_sort_config_selectorIflEEZNS1_25segmented_radix_sort_implIS3_Lb1EPKfPfPKlPlN2at6native12_GLOBAL__N_18offset_tEEE10hipError_tPvRmT1_PNSt15iterator_traitsISK_E10value_typeET2_T3_PNSL_ISQ_E10value_typeET4_jRbjT5_SW_jjP12ihipStream_tbEUlT_E0_NS1_11comp_targetILNS1_3genE10ELNS1_11target_archE1200ELNS1_3gpuE4ELNS1_3repE0EEENS1_60segmented_radix_sort_warp_sort_medium_config_static_selectorELNS0_4arch9wavefront6targetE0EEEvSK_.has_dyn_sized_stack, 0
	.set _ZN7rocprim17ROCPRIM_400000_NS6detail17trampoline_kernelINS0_14default_configENS1_36segmented_radix_sort_config_selectorIflEEZNS1_25segmented_radix_sort_implIS3_Lb1EPKfPfPKlPlN2at6native12_GLOBAL__N_18offset_tEEE10hipError_tPvRmT1_PNSt15iterator_traitsISK_E10value_typeET2_T3_PNSL_ISQ_E10value_typeET4_jRbjT5_SW_jjP12ihipStream_tbEUlT_E0_NS1_11comp_targetILNS1_3genE10ELNS1_11target_archE1200ELNS1_3gpuE4ELNS1_3repE0EEENS1_60segmented_radix_sort_warp_sort_medium_config_static_selectorELNS0_4arch9wavefront6targetE0EEEvSK_.has_recursion, 0
	.set _ZN7rocprim17ROCPRIM_400000_NS6detail17trampoline_kernelINS0_14default_configENS1_36segmented_radix_sort_config_selectorIflEEZNS1_25segmented_radix_sort_implIS3_Lb1EPKfPfPKlPlN2at6native12_GLOBAL__N_18offset_tEEE10hipError_tPvRmT1_PNSt15iterator_traitsISK_E10value_typeET2_T3_PNSL_ISQ_E10value_typeET4_jRbjT5_SW_jjP12ihipStream_tbEUlT_E0_NS1_11comp_targetILNS1_3genE10ELNS1_11target_archE1200ELNS1_3gpuE4ELNS1_3repE0EEENS1_60segmented_radix_sort_warp_sort_medium_config_static_selectorELNS0_4arch9wavefront6targetE0EEEvSK_.has_indirect_call, 0
	.section	.AMDGPU.csdata,"",@progbits
; Kernel info:
; codeLenInByte = 0
; TotalNumSgprs: 0
; NumVgprs: 0
; ScratchSize: 0
; MemoryBound: 0
; FloatMode: 240
; IeeeMode: 1
; LDSByteSize: 0 bytes/workgroup (compile time only)
; SGPRBlocks: 0
; VGPRBlocks: 0
; NumSGPRsForWavesPerEU: 1
; NumVGPRsForWavesPerEU: 1
; NamedBarCnt: 0
; Occupancy: 16
; WaveLimiterHint : 0
; COMPUTE_PGM_RSRC2:SCRATCH_EN: 0
; COMPUTE_PGM_RSRC2:USER_SGPR: 2
; COMPUTE_PGM_RSRC2:TRAP_HANDLER: 0
; COMPUTE_PGM_RSRC2:TGID_X_EN: 1
; COMPUTE_PGM_RSRC2:TGID_Y_EN: 0
; COMPUTE_PGM_RSRC2:TGID_Z_EN: 0
; COMPUTE_PGM_RSRC2:TIDIG_COMP_CNT: 0
	.section	.text._ZN7rocprim17ROCPRIM_400000_NS6detail17trampoline_kernelINS0_14default_configENS1_36segmented_radix_sort_config_selectorIflEEZNS1_25segmented_radix_sort_implIS3_Lb1EPKfPfPKlPlN2at6native12_GLOBAL__N_18offset_tEEE10hipError_tPvRmT1_PNSt15iterator_traitsISK_E10value_typeET2_T3_PNSL_ISQ_E10value_typeET4_jRbjT5_SW_jjP12ihipStream_tbEUlT_E0_NS1_11comp_targetILNS1_3genE9ELNS1_11target_archE1100ELNS1_3gpuE3ELNS1_3repE0EEENS1_60segmented_radix_sort_warp_sort_medium_config_static_selectorELNS0_4arch9wavefront6targetE0EEEvSK_,"axG",@progbits,_ZN7rocprim17ROCPRIM_400000_NS6detail17trampoline_kernelINS0_14default_configENS1_36segmented_radix_sort_config_selectorIflEEZNS1_25segmented_radix_sort_implIS3_Lb1EPKfPfPKlPlN2at6native12_GLOBAL__N_18offset_tEEE10hipError_tPvRmT1_PNSt15iterator_traitsISK_E10value_typeET2_T3_PNSL_ISQ_E10value_typeET4_jRbjT5_SW_jjP12ihipStream_tbEUlT_E0_NS1_11comp_targetILNS1_3genE9ELNS1_11target_archE1100ELNS1_3gpuE3ELNS1_3repE0EEENS1_60segmented_radix_sort_warp_sort_medium_config_static_selectorELNS0_4arch9wavefront6targetE0EEEvSK_,comdat
	.globl	_ZN7rocprim17ROCPRIM_400000_NS6detail17trampoline_kernelINS0_14default_configENS1_36segmented_radix_sort_config_selectorIflEEZNS1_25segmented_radix_sort_implIS3_Lb1EPKfPfPKlPlN2at6native12_GLOBAL__N_18offset_tEEE10hipError_tPvRmT1_PNSt15iterator_traitsISK_E10value_typeET2_T3_PNSL_ISQ_E10value_typeET4_jRbjT5_SW_jjP12ihipStream_tbEUlT_E0_NS1_11comp_targetILNS1_3genE9ELNS1_11target_archE1100ELNS1_3gpuE3ELNS1_3repE0EEENS1_60segmented_radix_sort_warp_sort_medium_config_static_selectorELNS0_4arch9wavefront6targetE0EEEvSK_ ; -- Begin function _ZN7rocprim17ROCPRIM_400000_NS6detail17trampoline_kernelINS0_14default_configENS1_36segmented_radix_sort_config_selectorIflEEZNS1_25segmented_radix_sort_implIS3_Lb1EPKfPfPKlPlN2at6native12_GLOBAL__N_18offset_tEEE10hipError_tPvRmT1_PNSt15iterator_traitsISK_E10value_typeET2_T3_PNSL_ISQ_E10value_typeET4_jRbjT5_SW_jjP12ihipStream_tbEUlT_E0_NS1_11comp_targetILNS1_3genE9ELNS1_11target_archE1100ELNS1_3gpuE3ELNS1_3repE0EEENS1_60segmented_radix_sort_warp_sort_medium_config_static_selectorELNS0_4arch9wavefront6targetE0EEEvSK_
	.p2align	8
	.type	_ZN7rocprim17ROCPRIM_400000_NS6detail17trampoline_kernelINS0_14default_configENS1_36segmented_radix_sort_config_selectorIflEEZNS1_25segmented_radix_sort_implIS3_Lb1EPKfPfPKlPlN2at6native12_GLOBAL__N_18offset_tEEE10hipError_tPvRmT1_PNSt15iterator_traitsISK_E10value_typeET2_T3_PNSL_ISQ_E10value_typeET4_jRbjT5_SW_jjP12ihipStream_tbEUlT_E0_NS1_11comp_targetILNS1_3genE9ELNS1_11target_archE1100ELNS1_3gpuE3ELNS1_3repE0EEENS1_60segmented_radix_sort_warp_sort_medium_config_static_selectorELNS0_4arch9wavefront6targetE0EEEvSK_,@function
_ZN7rocprim17ROCPRIM_400000_NS6detail17trampoline_kernelINS0_14default_configENS1_36segmented_radix_sort_config_selectorIflEEZNS1_25segmented_radix_sort_implIS3_Lb1EPKfPfPKlPlN2at6native12_GLOBAL__N_18offset_tEEE10hipError_tPvRmT1_PNSt15iterator_traitsISK_E10value_typeET2_T3_PNSL_ISQ_E10value_typeET4_jRbjT5_SW_jjP12ihipStream_tbEUlT_E0_NS1_11comp_targetILNS1_3genE9ELNS1_11target_archE1100ELNS1_3gpuE3ELNS1_3repE0EEENS1_60segmented_radix_sort_warp_sort_medium_config_static_selectorELNS0_4arch9wavefront6targetE0EEEvSK_: ; @_ZN7rocprim17ROCPRIM_400000_NS6detail17trampoline_kernelINS0_14default_configENS1_36segmented_radix_sort_config_selectorIflEEZNS1_25segmented_radix_sort_implIS3_Lb1EPKfPfPKlPlN2at6native12_GLOBAL__N_18offset_tEEE10hipError_tPvRmT1_PNSt15iterator_traitsISK_E10value_typeET2_T3_PNSL_ISQ_E10value_typeET4_jRbjT5_SW_jjP12ihipStream_tbEUlT_E0_NS1_11comp_targetILNS1_3genE9ELNS1_11target_archE1100ELNS1_3gpuE3ELNS1_3repE0EEENS1_60segmented_radix_sort_warp_sort_medium_config_static_selectorELNS0_4arch9wavefront6targetE0EEEvSK_
; %bb.0:
	.section	.rodata,"a",@progbits
	.p2align	6, 0x0
	.amdhsa_kernel _ZN7rocprim17ROCPRIM_400000_NS6detail17trampoline_kernelINS0_14default_configENS1_36segmented_radix_sort_config_selectorIflEEZNS1_25segmented_radix_sort_implIS3_Lb1EPKfPfPKlPlN2at6native12_GLOBAL__N_18offset_tEEE10hipError_tPvRmT1_PNSt15iterator_traitsISK_E10value_typeET2_T3_PNSL_ISQ_E10value_typeET4_jRbjT5_SW_jjP12ihipStream_tbEUlT_E0_NS1_11comp_targetILNS1_3genE9ELNS1_11target_archE1100ELNS1_3gpuE3ELNS1_3repE0EEENS1_60segmented_radix_sort_warp_sort_medium_config_static_selectorELNS0_4arch9wavefront6targetE0EEEvSK_
		.amdhsa_group_segment_fixed_size 0
		.amdhsa_private_segment_fixed_size 0
		.amdhsa_kernarg_size 88
		.amdhsa_user_sgpr_count 2
		.amdhsa_user_sgpr_dispatch_ptr 0
		.amdhsa_user_sgpr_queue_ptr 0
		.amdhsa_user_sgpr_kernarg_segment_ptr 1
		.amdhsa_user_sgpr_dispatch_id 0
		.amdhsa_user_sgpr_kernarg_preload_length 0
		.amdhsa_user_sgpr_kernarg_preload_offset 0
		.amdhsa_user_sgpr_private_segment_size 0
		.amdhsa_wavefront_size32 1
		.amdhsa_uses_dynamic_stack 0
		.amdhsa_enable_private_segment 0
		.amdhsa_system_sgpr_workgroup_id_x 1
		.amdhsa_system_sgpr_workgroup_id_y 0
		.amdhsa_system_sgpr_workgroup_id_z 0
		.amdhsa_system_sgpr_workgroup_info 0
		.amdhsa_system_vgpr_workitem_id 0
		.amdhsa_next_free_vgpr 1
		.amdhsa_next_free_sgpr 1
		.amdhsa_named_barrier_count 0
		.amdhsa_reserve_vcc 0
		.amdhsa_float_round_mode_32 0
		.amdhsa_float_round_mode_16_64 0
		.amdhsa_float_denorm_mode_32 3
		.amdhsa_float_denorm_mode_16_64 3
		.amdhsa_fp16_overflow 0
		.amdhsa_memory_ordered 1
		.amdhsa_forward_progress 1
		.amdhsa_inst_pref_size 0
		.amdhsa_round_robin_scheduling 0
		.amdhsa_exception_fp_ieee_invalid_op 0
		.amdhsa_exception_fp_denorm_src 0
		.amdhsa_exception_fp_ieee_div_zero 0
		.amdhsa_exception_fp_ieee_overflow 0
		.amdhsa_exception_fp_ieee_underflow 0
		.amdhsa_exception_fp_ieee_inexact 0
		.amdhsa_exception_int_div_zero 0
	.end_amdhsa_kernel
	.section	.text._ZN7rocprim17ROCPRIM_400000_NS6detail17trampoline_kernelINS0_14default_configENS1_36segmented_radix_sort_config_selectorIflEEZNS1_25segmented_radix_sort_implIS3_Lb1EPKfPfPKlPlN2at6native12_GLOBAL__N_18offset_tEEE10hipError_tPvRmT1_PNSt15iterator_traitsISK_E10value_typeET2_T3_PNSL_ISQ_E10value_typeET4_jRbjT5_SW_jjP12ihipStream_tbEUlT_E0_NS1_11comp_targetILNS1_3genE9ELNS1_11target_archE1100ELNS1_3gpuE3ELNS1_3repE0EEENS1_60segmented_radix_sort_warp_sort_medium_config_static_selectorELNS0_4arch9wavefront6targetE0EEEvSK_,"axG",@progbits,_ZN7rocprim17ROCPRIM_400000_NS6detail17trampoline_kernelINS0_14default_configENS1_36segmented_radix_sort_config_selectorIflEEZNS1_25segmented_radix_sort_implIS3_Lb1EPKfPfPKlPlN2at6native12_GLOBAL__N_18offset_tEEE10hipError_tPvRmT1_PNSt15iterator_traitsISK_E10value_typeET2_T3_PNSL_ISQ_E10value_typeET4_jRbjT5_SW_jjP12ihipStream_tbEUlT_E0_NS1_11comp_targetILNS1_3genE9ELNS1_11target_archE1100ELNS1_3gpuE3ELNS1_3repE0EEENS1_60segmented_radix_sort_warp_sort_medium_config_static_selectorELNS0_4arch9wavefront6targetE0EEEvSK_,comdat
.Lfunc_end1337:
	.size	_ZN7rocprim17ROCPRIM_400000_NS6detail17trampoline_kernelINS0_14default_configENS1_36segmented_radix_sort_config_selectorIflEEZNS1_25segmented_radix_sort_implIS3_Lb1EPKfPfPKlPlN2at6native12_GLOBAL__N_18offset_tEEE10hipError_tPvRmT1_PNSt15iterator_traitsISK_E10value_typeET2_T3_PNSL_ISQ_E10value_typeET4_jRbjT5_SW_jjP12ihipStream_tbEUlT_E0_NS1_11comp_targetILNS1_3genE9ELNS1_11target_archE1100ELNS1_3gpuE3ELNS1_3repE0EEENS1_60segmented_radix_sort_warp_sort_medium_config_static_selectorELNS0_4arch9wavefront6targetE0EEEvSK_, .Lfunc_end1337-_ZN7rocprim17ROCPRIM_400000_NS6detail17trampoline_kernelINS0_14default_configENS1_36segmented_radix_sort_config_selectorIflEEZNS1_25segmented_radix_sort_implIS3_Lb1EPKfPfPKlPlN2at6native12_GLOBAL__N_18offset_tEEE10hipError_tPvRmT1_PNSt15iterator_traitsISK_E10value_typeET2_T3_PNSL_ISQ_E10value_typeET4_jRbjT5_SW_jjP12ihipStream_tbEUlT_E0_NS1_11comp_targetILNS1_3genE9ELNS1_11target_archE1100ELNS1_3gpuE3ELNS1_3repE0EEENS1_60segmented_radix_sort_warp_sort_medium_config_static_selectorELNS0_4arch9wavefront6targetE0EEEvSK_
                                        ; -- End function
	.set _ZN7rocprim17ROCPRIM_400000_NS6detail17trampoline_kernelINS0_14default_configENS1_36segmented_radix_sort_config_selectorIflEEZNS1_25segmented_radix_sort_implIS3_Lb1EPKfPfPKlPlN2at6native12_GLOBAL__N_18offset_tEEE10hipError_tPvRmT1_PNSt15iterator_traitsISK_E10value_typeET2_T3_PNSL_ISQ_E10value_typeET4_jRbjT5_SW_jjP12ihipStream_tbEUlT_E0_NS1_11comp_targetILNS1_3genE9ELNS1_11target_archE1100ELNS1_3gpuE3ELNS1_3repE0EEENS1_60segmented_radix_sort_warp_sort_medium_config_static_selectorELNS0_4arch9wavefront6targetE0EEEvSK_.num_vgpr, 0
	.set _ZN7rocprim17ROCPRIM_400000_NS6detail17trampoline_kernelINS0_14default_configENS1_36segmented_radix_sort_config_selectorIflEEZNS1_25segmented_radix_sort_implIS3_Lb1EPKfPfPKlPlN2at6native12_GLOBAL__N_18offset_tEEE10hipError_tPvRmT1_PNSt15iterator_traitsISK_E10value_typeET2_T3_PNSL_ISQ_E10value_typeET4_jRbjT5_SW_jjP12ihipStream_tbEUlT_E0_NS1_11comp_targetILNS1_3genE9ELNS1_11target_archE1100ELNS1_3gpuE3ELNS1_3repE0EEENS1_60segmented_radix_sort_warp_sort_medium_config_static_selectorELNS0_4arch9wavefront6targetE0EEEvSK_.num_agpr, 0
	.set _ZN7rocprim17ROCPRIM_400000_NS6detail17trampoline_kernelINS0_14default_configENS1_36segmented_radix_sort_config_selectorIflEEZNS1_25segmented_radix_sort_implIS3_Lb1EPKfPfPKlPlN2at6native12_GLOBAL__N_18offset_tEEE10hipError_tPvRmT1_PNSt15iterator_traitsISK_E10value_typeET2_T3_PNSL_ISQ_E10value_typeET4_jRbjT5_SW_jjP12ihipStream_tbEUlT_E0_NS1_11comp_targetILNS1_3genE9ELNS1_11target_archE1100ELNS1_3gpuE3ELNS1_3repE0EEENS1_60segmented_radix_sort_warp_sort_medium_config_static_selectorELNS0_4arch9wavefront6targetE0EEEvSK_.numbered_sgpr, 0
	.set _ZN7rocprim17ROCPRIM_400000_NS6detail17trampoline_kernelINS0_14default_configENS1_36segmented_radix_sort_config_selectorIflEEZNS1_25segmented_radix_sort_implIS3_Lb1EPKfPfPKlPlN2at6native12_GLOBAL__N_18offset_tEEE10hipError_tPvRmT1_PNSt15iterator_traitsISK_E10value_typeET2_T3_PNSL_ISQ_E10value_typeET4_jRbjT5_SW_jjP12ihipStream_tbEUlT_E0_NS1_11comp_targetILNS1_3genE9ELNS1_11target_archE1100ELNS1_3gpuE3ELNS1_3repE0EEENS1_60segmented_radix_sort_warp_sort_medium_config_static_selectorELNS0_4arch9wavefront6targetE0EEEvSK_.num_named_barrier, 0
	.set _ZN7rocprim17ROCPRIM_400000_NS6detail17trampoline_kernelINS0_14default_configENS1_36segmented_radix_sort_config_selectorIflEEZNS1_25segmented_radix_sort_implIS3_Lb1EPKfPfPKlPlN2at6native12_GLOBAL__N_18offset_tEEE10hipError_tPvRmT1_PNSt15iterator_traitsISK_E10value_typeET2_T3_PNSL_ISQ_E10value_typeET4_jRbjT5_SW_jjP12ihipStream_tbEUlT_E0_NS1_11comp_targetILNS1_3genE9ELNS1_11target_archE1100ELNS1_3gpuE3ELNS1_3repE0EEENS1_60segmented_radix_sort_warp_sort_medium_config_static_selectorELNS0_4arch9wavefront6targetE0EEEvSK_.private_seg_size, 0
	.set _ZN7rocprim17ROCPRIM_400000_NS6detail17trampoline_kernelINS0_14default_configENS1_36segmented_radix_sort_config_selectorIflEEZNS1_25segmented_radix_sort_implIS3_Lb1EPKfPfPKlPlN2at6native12_GLOBAL__N_18offset_tEEE10hipError_tPvRmT1_PNSt15iterator_traitsISK_E10value_typeET2_T3_PNSL_ISQ_E10value_typeET4_jRbjT5_SW_jjP12ihipStream_tbEUlT_E0_NS1_11comp_targetILNS1_3genE9ELNS1_11target_archE1100ELNS1_3gpuE3ELNS1_3repE0EEENS1_60segmented_radix_sort_warp_sort_medium_config_static_selectorELNS0_4arch9wavefront6targetE0EEEvSK_.uses_vcc, 0
	.set _ZN7rocprim17ROCPRIM_400000_NS6detail17trampoline_kernelINS0_14default_configENS1_36segmented_radix_sort_config_selectorIflEEZNS1_25segmented_radix_sort_implIS3_Lb1EPKfPfPKlPlN2at6native12_GLOBAL__N_18offset_tEEE10hipError_tPvRmT1_PNSt15iterator_traitsISK_E10value_typeET2_T3_PNSL_ISQ_E10value_typeET4_jRbjT5_SW_jjP12ihipStream_tbEUlT_E0_NS1_11comp_targetILNS1_3genE9ELNS1_11target_archE1100ELNS1_3gpuE3ELNS1_3repE0EEENS1_60segmented_radix_sort_warp_sort_medium_config_static_selectorELNS0_4arch9wavefront6targetE0EEEvSK_.uses_flat_scratch, 0
	.set _ZN7rocprim17ROCPRIM_400000_NS6detail17trampoline_kernelINS0_14default_configENS1_36segmented_radix_sort_config_selectorIflEEZNS1_25segmented_radix_sort_implIS3_Lb1EPKfPfPKlPlN2at6native12_GLOBAL__N_18offset_tEEE10hipError_tPvRmT1_PNSt15iterator_traitsISK_E10value_typeET2_T3_PNSL_ISQ_E10value_typeET4_jRbjT5_SW_jjP12ihipStream_tbEUlT_E0_NS1_11comp_targetILNS1_3genE9ELNS1_11target_archE1100ELNS1_3gpuE3ELNS1_3repE0EEENS1_60segmented_radix_sort_warp_sort_medium_config_static_selectorELNS0_4arch9wavefront6targetE0EEEvSK_.has_dyn_sized_stack, 0
	.set _ZN7rocprim17ROCPRIM_400000_NS6detail17trampoline_kernelINS0_14default_configENS1_36segmented_radix_sort_config_selectorIflEEZNS1_25segmented_radix_sort_implIS3_Lb1EPKfPfPKlPlN2at6native12_GLOBAL__N_18offset_tEEE10hipError_tPvRmT1_PNSt15iterator_traitsISK_E10value_typeET2_T3_PNSL_ISQ_E10value_typeET4_jRbjT5_SW_jjP12ihipStream_tbEUlT_E0_NS1_11comp_targetILNS1_3genE9ELNS1_11target_archE1100ELNS1_3gpuE3ELNS1_3repE0EEENS1_60segmented_radix_sort_warp_sort_medium_config_static_selectorELNS0_4arch9wavefront6targetE0EEEvSK_.has_recursion, 0
	.set _ZN7rocprim17ROCPRIM_400000_NS6detail17trampoline_kernelINS0_14default_configENS1_36segmented_radix_sort_config_selectorIflEEZNS1_25segmented_radix_sort_implIS3_Lb1EPKfPfPKlPlN2at6native12_GLOBAL__N_18offset_tEEE10hipError_tPvRmT1_PNSt15iterator_traitsISK_E10value_typeET2_T3_PNSL_ISQ_E10value_typeET4_jRbjT5_SW_jjP12ihipStream_tbEUlT_E0_NS1_11comp_targetILNS1_3genE9ELNS1_11target_archE1100ELNS1_3gpuE3ELNS1_3repE0EEENS1_60segmented_radix_sort_warp_sort_medium_config_static_selectorELNS0_4arch9wavefront6targetE0EEEvSK_.has_indirect_call, 0
	.section	.AMDGPU.csdata,"",@progbits
; Kernel info:
; codeLenInByte = 0
; TotalNumSgprs: 0
; NumVgprs: 0
; ScratchSize: 0
; MemoryBound: 0
; FloatMode: 240
; IeeeMode: 1
; LDSByteSize: 0 bytes/workgroup (compile time only)
; SGPRBlocks: 0
; VGPRBlocks: 0
; NumSGPRsForWavesPerEU: 1
; NumVGPRsForWavesPerEU: 1
; NamedBarCnt: 0
; Occupancy: 16
; WaveLimiterHint : 0
; COMPUTE_PGM_RSRC2:SCRATCH_EN: 0
; COMPUTE_PGM_RSRC2:USER_SGPR: 2
; COMPUTE_PGM_RSRC2:TRAP_HANDLER: 0
; COMPUTE_PGM_RSRC2:TGID_X_EN: 1
; COMPUTE_PGM_RSRC2:TGID_Y_EN: 0
; COMPUTE_PGM_RSRC2:TGID_Z_EN: 0
; COMPUTE_PGM_RSRC2:TIDIG_COMP_CNT: 0
	.section	.text._ZN7rocprim17ROCPRIM_400000_NS6detail17trampoline_kernelINS0_14default_configENS1_36segmented_radix_sort_config_selectorIflEEZNS1_25segmented_radix_sort_implIS3_Lb1EPKfPfPKlPlN2at6native12_GLOBAL__N_18offset_tEEE10hipError_tPvRmT1_PNSt15iterator_traitsISK_E10value_typeET2_T3_PNSL_ISQ_E10value_typeET4_jRbjT5_SW_jjP12ihipStream_tbEUlT_E0_NS1_11comp_targetILNS1_3genE8ELNS1_11target_archE1030ELNS1_3gpuE2ELNS1_3repE0EEENS1_60segmented_radix_sort_warp_sort_medium_config_static_selectorELNS0_4arch9wavefront6targetE0EEEvSK_,"axG",@progbits,_ZN7rocprim17ROCPRIM_400000_NS6detail17trampoline_kernelINS0_14default_configENS1_36segmented_radix_sort_config_selectorIflEEZNS1_25segmented_radix_sort_implIS3_Lb1EPKfPfPKlPlN2at6native12_GLOBAL__N_18offset_tEEE10hipError_tPvRmT1_PNSt15iterator_traitsISK_E10value_typeET2_T3_PNSL_ISQ_E10value_typeET4_jRbjT5_SW_jjP12ihipStream_tbEUlT_E0_NS1_11comp_targetILNS1_3genE8ELNS1_11target_archE1030ELNS1_3gpuE2ELNS1_3repE0EEENS1_60segmented_radix_sort_warp_sort_medium_config_static_selectorELNS0_4arch9wavefront6targetE0EEEvSK_,comdat
	.globl	_ZN7rocprim17ROCPRIM_400000_NS6detail17trampoline_kernelINS0_14default_configENS1_36segmented_radix_sort_config_selectorIflEEZNS1_25segmented_radix_sort_implIS3_Lb1EPKfPfPKlPlN2at6native12_GLOBAL__N_18offset_tEEE10hipError_tPvRmT1_PNSt15iterator_traitsISK_E10value_typeET2_T3_PNSL_ISQ_E10value_typeET4_jRbjT5_SW_jjP12ihipStream_tbEUlT_E0_NS1_11comp_targetILNS1_3genE8ELNS1_11target_archE1030ELNS1_3gpuE2ELNS1_3repE0EEENS1_60segmented_radix_sort_warp_sort_medium_config_static_selectorELNS0_4arch9wavefront6targetE0EEEvSK_ ; -- Begin function _ZN7rocprim17ROCPRIM_400000_NS6detail17trampoline_kernelINS0_14default_configENS1_36segmented_radix_sort_config_selectorIflEEZNS1_25segmented_radix_sort_implIS3_Lb1EPKfPfPKlPlN2at6native12_GLOBAL__N_18offset_tEEE10hipError_tPvRmT1_PNSt15iterator_traitsISK_E10value_typeET2_T3_PNSL_ISQ_E10value_typeET4_jRbjT5_SW_jjP12ihipStream_tbEUlT_E0_NS1_11comp_targetILNS1_3genE8ELNS1_11target_archE1030ELNS1_3gpuE2ELNS1_3repE0EEENS1_60segmented_radix_sort_warp_sort_medium_config_static_selectorELNS0_4arch9wavefront6targetE0EEEvSK_
	.p2align	8
	.type	_ZN7rocprim17ROCPRIM_400000_NS6detail17trampoline_kernelINS0_14default_configENS1_36segmented_radix_sort_config_selectorIflEEZNS1_25segmented_radix_sort_implIS3_Lb1EPKfPfPKlPlN2at6native12_GLOBAL__N_18offset_tEEE10hipError_tPvRmT1_PNSt15iterator_traitsISK_E10value_typeET2_T3_PNSL_ISQ_E10value_typeET4_jRbjT5_SW_jjP12ihipStream_tbEUlT_E0_NS1_11comp_targetILNS1_3genE8ELNS1_11target_archE1030ELNS1_3gpuE2ELNS1_3repE0EEENS1_60segmented_radix_sort_warp_sort_medium_config_static_selectorELNS0_4arch9wavefront6targetE0EEEvSK_,@function
_ZN7rocprim17ROCPRIM_400000_NS6detail17trampoline_kernelINS0_14default_configENS1_36segmented_radix_sort_config_selectorIflEEZNS1_25segmented_radix_sort_implIS3_Lb1EPKfPfPKlPlN2at6native12_GLOBAL__N_18offset_tEEE10hipError_tPvRmT1_PNSt15iterator_traitsISK_E10value_typeET2_T3_PNSL_ISQ_E10value_typeET4_jRbjT5_SW_jjP12ihipStream_tbEUlT_E0_NS1_11comp_targetILNS1_3genE8ELNS1_11target_archE1030ELNS1_3gpuE2ELNS1_3repE0EEENS1_60segmented_radix_sort_warp_sort_medium_config_static_selectorELNS0_4arch9wavefront6targetE0EEEvSK_: ; @_ZN7rocprim17ROCPRIM_400000_NS6detail17trampoline_kernelINS0_14default_configENS1_36segmented_radix_sort_config_selectorIflEEZNS1_25segmented_radix_sort_implIS3_Lb1EPKfPfPKlPlN2at6native12_GLOBAL__N_18offset_tEEE10hipError_tPvRmT1_PNSt15iterator_traitsISK_E10value_typeET2_T3_PNSL_ISQ_E10value_typeET4_jRbjT5_SW_jjP12ihipStream_tbEUlT_E0_NS1_11comp_targetILNS1_3genE8ELNS1_11target_archE1030ELNS1_3gpuE2ELNS1_3repE0EEENS1_60segmented_radix_sort_warp_sort_medium_config_static_selectorELNS0_4arch9wavefront6targetE0EEEvSK_
; %bb.0:
	.section	.rodata,"a",@progbits
	.p2align	6, 0x0
	.amdhsa_kernel _ZN7rocprim17ROCPRIM_400000_NS6detail17trampoline_kernelINS0_14default_configENS1_36segmented_radix_sort_config_selectorIflEEZNS1_25segmented_radix_sort_implIS3_Lb1EPKfPfPKlPlN2at6native12_GLOBAL__N_18offset_tEEE10hipError_tPvRmT1_PNSt15iterator_traitsISK_E10value_typeET2_T3_PNSL_ISQ_E10value_typeET4_jRbjT5_SW_jjP12ihipStream_tbEUlT_E0_NS1_11comp_targetILNS1_3genE8ELNS1_11target_archE1030ELNS1_3gpuE2ELNS1_3repE0EEENS1_60segmented_radix_sort_warp_sort_medium_config_static_selectorELNS0_4arch9wavefront6targetE0EEEvSK_
		.amdhsa_group_segment_fixed_size 0
		.amdhsa_private_segment_fixed_size 0
		.amdhsa_kernarg_size 88
		.amdhsa_user_sgpr_count 2
		.amdhsa_user_sgpr_dispatch_ptr 0
		.amdhsa_user_sgpr_queue_ptr 0
		.amdhsa_user_sgpr_kernarg_segment_ptr 1
		.amdhsa_user_sgpr_dispatch_id 0
		.amdhsa_user_sgpr_kernarg_preload_length 0
		.amdhsa_user_sgpr_kernarg_preload_offset 0
		.amdhsa_user_sgpr_private_segment_size 0
		.amdhsa_wavefront_size32 1
		.amdhsa_uses_dynamic_stack 0
		.amdhsa_enable_private_segment 0
		.amdhsa_system_sgpr_workgroup_id_x 1
		.amdhsa_system_sgpr_workgroup_id_y 0
		.amdhsa_system_sgpr_workgroup_id_z 0
		.amdhsa_system_sgpr_workgroup_info 0
		.amdhsa_system_vgpr_workitem_id 0
		.amdhsa_next_free_vgpr 1
		.amdhsa_next_free_sgpr 1
		.amdhsa_named_barrier_count 0
		.amdhsa_reserve_vcc 0
		.amdhsa_float_round_mode_32 0
		.amdhsa_float_round_mode_16_64 0
		.amdhsa_float_denorm_mode_32 3
		.amdhsa_float_denorm_mode_16_64 3
		.amdhsa_fp16_overflow 0
		.amdhsa_memory_ordered 1
		.amdhsa_forward_progress 1
		.amdhsa_inst_pref_size 0
		.amdhsa_round_robin_scheduling 0
		.amdhsa_exception_fp_ieee_invalid_op 0
		.amdhsa_exception_fp_denorm_src 0
		.amdhsa_exception_fp_ieee_div_zero 0
		.amdhsa_exception_fp_ieee_overflow 0
		.amdhsa_exception_fp_ieee_underflow 0
		.amdhsa_exception_fp_ieee_inexact 0
		.amdhsa_exception_int_div_zero 0
	.end_amdhsa_kernel
	.section	.text._ZN7rocprim17ROCPRIM_400000_NS6detail17trampoline_kernelINS0_14default_configENS1_36segmented_radix_sort_config_selectorIflEEZNS1_25segmented_radix_sort_implIS3_Lb1EPKfPfPKlPlN2at6native12_GLOBAL__N_18offset_tEEE10hipError_tPvRmT1_PNSt15iterator_traitsISK_E10value_typeET2_T3_PNSL_ISQ_E10value_typeET4_jRbjT5_SW_jjP12ihipStream_tbEUlT_E0_NS1_11comp_targetILNS1_3genE8ELNS1_11target_archE1030ELNS1_3gpuE2ELNS1_3repE0EEENS1_60segmented_radix_sort_warp_sort_medium_config_static_selectorELNS0_4arch9wavefront6targetE0EEEvSK_,"axG",@progbits,_ZN7rocprim17ROCPRIM_400000_NS6detail17trampoline_kernelINS0_14default_configENS1_36segmented_radix_sort_config_selectorIflEEZNS1_25segmented_radix_sort_implIS3_Lb1EPKfPfPKlPlN2at6native12_GLOBAL__N_18offset_tEEE10hipError_tPvRmT1_PNSt15iterator_traitsISK_E10value_typeET2_T3_PNSL_ISQ_E10value_typeET4_jRbjT5_SW_jjP12ihipStream_tbEUlT_E0_NS1_11comp_targetILNS1_3genE8ELNS1_11target_archE1030ELNS1_3gpuE2ELNS1_3repE0EEENS1_60segmented_radix_sort_warp_sort_medium_config_static_selectorELNS0_4arch9wavefront6targetE0EEEvSK_,comdat
.Lfunc_end1338:
	.size	_ZN7rocprim17ROCPRIM_400000_NS6detail17trampoline_kernelINS0_14default_configENS1_36segmented_radix_sort_config_selectorIflEEZNS1_25segmented_radix_sort_implIS3_Lb1EPKfPfPKlPlN2at6native12_GLOBAL__N_18offset_tEEE10hipError_tPvRmT1_PNSt15iterator_traitsISK_E10value_typeET2_T3_PNSL_ISQ_E10value_typeET4_jRbjT5_SW_jjP12ihipStream_tbEUlT_E0_NS1_11comp_targetILNS1_3genE8ELNS1_11target_archE1030ELNS1_3gpuE2ELNS1_3repE0EEENS1_60segmented_radix_sort_warp_sort_medium_config_static_selectorELNS0_4arch9wavefront6targetE0EEEvSK_, .Lfunc_end1338-_ZN7rocprim17ROCPRIM_400000_NS6detail17trampoline_kernelINS0_14default_configENS1_36segmented_radix_sort_config_selectorIflEEZNS1_25segmented_radix_sort_implIS3_Lb1EPKfPfPKlPlN2at6native12_GLOBAL__N_18offset_tEEE10hipError_tPvRmT1_PNSt15iterator_traitsISK_E10value_typeET2_T3_PNSL_ISQ_E10value_typeET4_jRbjT5_SW_jjP12ihipStream_tbEUlT_E0_NS1_11comp_targetILNS1_3genE8ELNS1_11target_archE1030ELNS1_3gpuE2ELNS1_3repE0EEENS1_60segmented_radix_sort_warp_sort_medium_config_static_selectorELNS0_4arch9wavefront6targetE0EEEvSK_
                                        ; -- End function
	.set _ZN7rocprim17ROCPRIM_400000_NS6detail17trampoline_kernelINS0_14default_configENS1_36segmented_radix_sort_config_selectorIflEEZNS1_25segmented_radix_sort_implIS3_Lb1EPKfPfPKlPlN2at6native12_GLOBAL__N_18offset_tEEE10hipError_tPvRmT1_PNSt15iterator_traitsISK_E10value_typeET2_T3_PNSL_ISQ_E10value_typeET4_jRbjT5_SW_jjP12ihipStream_tbEUlT_E0_NS1_11comp_targetILNS1_3genE8ELNS1_11target_archE1030ELNS1_3gpuE2ELNS1_3repE0EEENS1_60segmented_radix_sort_warp_sort_medium_config_static_selectorELNS0_4arch9wavefront6targetE0EEEvSK_.num_vgpr, 0
	.set _ZN7rocprim17ROCPRIM_400000_NS6detail17trampoline_kernelINS0_14default_configENS1_36segmented_radix_sort_config_selectorIflEEZNS1_25segmented_radix_sort_implIS3_Lb1EPKfPfPKlPlN2at6native12_GLOBAL__N_18offset_tEEE10hipError_tPvRmT1_PNSt15iterator_traitsISK_E10value_typeET2_T3_PNSL_ISQ_E10value_typeET4_jRbjT5_SW_jjP12ihipStream_tbEUlT_E0_NS1_11comp_targetILNS1_3genE8ELNS1_11target_archE1030ELNS1_3gpuE2ELNS1_3repE0EEENS1_60segmented_radix_sort_warp_sort_medium_config_static_selectorELNS0_4arch9wavefront6targetE0EEEvSK_.num_agpr, 0
	.set _ZN7rocprim17ROCPRIM_400000_NS6detail17trampoline_kernelINS0_14default_configENS1_36segmented_radix_sort_config_selectorIflEEZNS1_25segmented_radix_sort_implIS3_Lb1EPKfPfPKlPlN2at6native12_GLOBAL__N_18offset_tEEE10hipError_tPvRmT1_PNSt15iterator_traitsISK_E10value_typeET2_T3_PNSL_ISQ_E10value_typeET4_jRbjT5_SW_jjP12ihipStream_tbEUlT_E0_NS1_11comp_targetILNS1_3genE8ELNS1_11target_archE1030ELNS1_3gpuE2ELNS1_3repE0EEENS1_60segmented_radix_sort_warp_sort_medium_config_static_selectorELNS0_4arch9wavefront6targetE0EEEvSK_.numbered_sgpr, 0
	.set _ZN7rocprim17ROCPRIM_400000_NS6detail17trampoline_kernelINS0_14default_configENS1_36segmented_radix_sort_config_selectorIflEEZNS1_25segmented_radix_sort_implIS3_Lb1EPKfPfPKlPlN2at6native12_GLOBAL__N_18offset_tEEE10hipError_tPvRmT1_PNSt15iterator_traitsISK_E10value_typeET2_T3_PNSL_ISQ_E10value_typeET4_jRbjT5_SW_jjP12ihipStream_tbEUlT_E0_NS1_11comp_targetILNS1_3genE8ELNS1_11target_archE1030ELNS1_3gpuE2ELNS1_3repE0EEENS1_60segmented_radix_sort_warp_sort_medium_config_static_selectorELNS0_4arch9wavefront6targetE0EEEvSK_.num_named_barrier, 0
	.set _ZN7rocprim17ROCPRIM_400000_NS6detail17trampoline_kernelINS0_14default_configENS1_36segmented_radix_sort_config_selectorIflEEZNS1_25segmented_radix_sort_implIS3_Lb1EPKfPfPKlPlN2at6native12_GLOBAL__N_18offset_tEEE10hipError_tPvRmT1_PNSt15iterator_traitsISK_E10value_typeET2_T3_PNSL_ISQ_E10value_typeET4_jRbjT5_SW_jjP12ihipStream_tbEUlT_E0_NS1_11comp_targetILNS1_3genE8ELNS1_11target_archE1030ELNS1_3gpuE2ELNS1_3repE0EEENS1_60segmented_radix_sort_warp_sort_medium_config_static_selectorELNS0_4arch9wavefront6targetE0EEEvSK_.private_seg_size, 0
	.set _ZN7rocprim17ROCPRIM_400000_NS6detail17trampoline_kernelINS0_14default_configENS1_36segmented_radix_sort_config_selectorIflEEZNS1_25segmented_radix_sort_implIS3_Lb1EPKfPfPKlPlN2at6native12_GLOBAL__N_18offset_tEEE10hipError_tPvRmT1_PNSt15iterator_traitsISK_E10value_typeET2_T3_PNSL_ISQ_E10value_typeET4_jRbjT5_SW_jjP12ihipStream_tbEUlT_E0_NS1_11comp_targetILNS1_3genE8ELNS1_11target_archE1030ELNS1_3gpuE2ELNS1_3repE0EEENS1_60segmented_radix_sort_warp_sort_medium_config_static_selectorELNS0_4arch9wavefront6targetE0EEEvSK_.uses_vcc, 0
	.set _ZN7rocprim17ROCPRIM_400000_NS6detail17trampoline_kernelINS0_14default_configENS1_36segmented_radix_sort_config_selectorIflEEZNS1_25segmented_radix_sort_implIS3_Lb1EPKfPfPKlPlN2at6native12_GLOBAL__N_18offset_tEEE10hipError_tPvRmT1_PNSt15iterator_traitsISK_E10value_typeET2_T3_PNSL_ISQ_E10value_typeET4_jRbjT5_SW_jjP12ihipStream_tbEUlT_E0_NS1_11comp_targetILNS1_3genE8ELNS1_11target_archE1030ELNS1_3gpuE2ELNS1_3repE0EEENS1_60segmented_radix_sort_warp_sort_medium_config_static_selectorELNS0_4arch9wavefront6targetE0EEEvSK_.uses_flat_scratch, 0
	.set _ZN7rocprim17ROCPRIM_400000_NS6detail17trampoline_kernelINS0_14default_configENS1_36segmented_radix_sort_config_selectorIflEEZNS1_25segmented_radix_sort_implIS3_Lb1EPKfPfPKlPlN2at6native12_GLOBAL__N_18offset_tEEE10hipError_tPvRmT1_PNSt15iterator_traitsISK_E10value_typeET2_T3_PNSL_ISQ_E10value_typeET4_jRbjT5_SW_jjP12ihipStream_tbEUlT_E0_NS1_11comp_targetILNS1_3genE8ELNS1_11target_archE1030ELNS1_3gpuE2ELNS1_3repE0EEENS1_60segmented_radix_sort_warp_sort_medium_config_static_selectorELNS0_4arch9wavefront6targetE0EEEvSK_.has_dyn_sized_stack, 0
	.set _ZN7rocprim17ROCPRIM_400000_NS6detail17trampoline_kernelINS0_14default_configENS1_36segmented_radix_sort_config_selectorIflEEZNS1_25segmented_radix_sort_implIS3_Lb1EPKfPfPKlPlN2at6native12_GLOBAL__N_18offset_tEEE10hipError_tPvRmT1_PNSt15iterator_traitsISK_E10value_typeET2_T3_PNSL_ISQ_E10value_typeET4_jRbjT5_SW_jjP12ihipStream_tbEUlT_E0_NS1_11comp_targetILNS1_3genE8ELNS1_11target_archE1030ELNS1_3gpuE2ELNS1_3repE0EEENS1_60segmented_radix_sort_warp_sort_medium_config_static_selectorELNS0_4arch9wavefront6targetE0EEEvSK_.has_recursion, 0
	.set _ZN7rocprim17ROCPRIM_400000_NS6detail17trampoline_kernelINS0_14default_configENS1_36segmented_radix_sort_config_selectorIflEEZNS1_25segmented_radix_sort_implIS3_Lb1EPKfPfPKlPlN2at6native12_GLOBAL__N_18offset_tEEE10hipError_tPvRmT1_PNSt15iterator_traitsISK_E10value_typeET2_T3_PNSL_ISQ_E10value_typeET4_jRbjT5_SW_jjP12ihipStream_tbEUlT_E0_NS1_11comp_targetILNS1_3genE8ELNS1_11target_archE1030ELNS1_3gpuE2ELNS1_3repE0EEENS1_60segmented_radix_sort_warp_sort_medium_config_static_selectorELNS0_4arch9wavefront6targetE0EEEvSK_.has_indirect_call, 0
	.section	.AMDGPU.csdata,"",@progbits
; Kernel info:
; codeLenInByte = 0
; TotalNumSgprs: 0
; NumVgprs: 0
; ScratchSize: 0
; MemoryBound: 0
; FloatMode: 240
; IeeeMode: 1
; LDSByteSize: 0 bytes/workgroup (compile time only)
; SGPRBlocks: 0
; VGPRBlocks: 0
; NumSGPRsForWavesPerEU: 1
; NumVGPRsForWavesPerEU: 1
; NamedBarCnt: 0
; Occupancy: 16
; WaveLimiterHint : 0
; COMPUTE_PGM_RSRC2:SCRATCH_EN: 0
; COMPUTE_PGM_RSRC2:USER_SGPR: 2
; COMPUTE_PGM_RSRC2:TRAP_HANDLER: 0
; COMPUTE_PGM_RSRC2:TGID_X_EN: 1
; COMPUTE_PGM_RSRC2:TGID_Y_EN: 0
; COMPUTE_PGM_RSRC2:TGID_Z_EN: 0
; COMPUTE_PGM_RSRC2:TIDIG_COMP_CNT: 0
	.section	.text._ZN7rocprim17ROCPRIM_400000_NS6detail17trampoline_kernelINS0_14default_configENS1_36segmented_radix_sort_config_selectorIflEEZNS1_25segmented_radix_sort_implIS3_Lb1EPKfPfPKlPlN2at6native12_GLOBAL__N_18offset_tEEE10hipError_tPvRmT1_PNSt15iterator_traitsISK_E10value_typeET2_T3_PNSL_ISQ_E10value_typeET4_jRbjT5_SW_jjP12ihipStream_tbEUlT_E1_NS1_11comp_targetILNS1_3genE0ELNS1_11target_archE4294967295ELNS1_3gpuE0ELNS1_3repE0EEENS1_59segmented_radix_sort_warp_sort_small_config_static_selectorELNS0_4arch9wavefront6targetE0EEEvSK_,"axG",@progbits,_ZN7rocprim17ROCPRIM_400000_NS6detail17trampoline_kernelINS0_14default_configENS1_36segmented_radix_sort_config_selectorIflEEZNS1_25segmented_radix_sort_implIS3_Lb1EPKfPfPKlPlN2at6native12_GLOBAL__N_18offset_tEEE10hipError_tPvRmT1_PNSt15iterator_traitsISK_E10value_typeET2_T3_PNSL_ISQ_E10value_typeET4_jRbjT5_SW_jjP12ihipStream_tbEUlT_E1_NS1_11comp_targetILNS1_3genE0ELNS1_11target_archE4294967295ELNS1_3gpuE0ELNS1_3repE0EEENS1_59segmented_radix_sort_warp_sort_small_config_static_selectorELNS0_4arch9wavefront6targetE0EEEvSK_,comdat
	.globl	_ZN7rocprim17ROCPRIM_400000_NS6detail17trampoline_kernelINS0_14default_configENS1_36segmented_radix_sort_config_selectorIflEEZNS1_25segmented_radix_sort_implIS3_Lb1EPKfPfPKlPlN2at6native12_GLOBAL__N_18offset_tEEE10hipError_tPvRmT1_PNSt15iterator_traitsISK_E10value_typeET2_T3_PNSL_ISQ_E10value_typeET4_jRbjT5_SW_jjP12ihipStream_tbEUlT_E1_NS1_11comp_targetILNS1_3genE0ELNS1_11target_archE4294967295ELNS1_3gpuE0ELNS1_3repE0EEENS1_59segmented_radix_sort_warp_sort_small_config_static_selectorELNS0_4arch9wavefront6targetE0EEEvSK_ ; -- Begin function _ZN7rocprim17ROCPRIM_400000_NS6detail17trampoline_kernelINS0_14default_configENS1_36segmented_radix_sort_config_selectorIflEEZNS1_25segmented_radix_sort_implIS3_Lb1EPKfPfPKlPlN2at6native12_GLOBAL__N_18offset_tEEE10hipError_tPvRmT1_PNSt15iterator_traitsISK_E10value_typeET2_T3_PNSL_ISQ_E10value_typeET4_jRbjT5_SW_jjP12ihipStream_tbEUlT_E1_NS1_11comp_targetILNS1_3genE0ELNS1_11target_archE4294967295ELNS1_3gpuE0ELNS1_3repE0EEENS1_59segmented_radix_sort_warp_sort_small_config_static_selectorELNS0_4arch9wavefront6targetE0EEEvSK_
	.p2align	8
	.type	_ZN7rocprim17ROCPRIM_400000_NS6detail17trampoline_kernelINS0_14default_configENS1_36segmented_radix_sort_config_selectorIflEEZNS1_25segmented_radix_sort_implIS3_Lb1EPKfPfPKlPlN2at6native12_GLOBAL__N_18offset_tEEE10hipError_tPvRmT1_PNSt15iterator_traitsISK_E10value_typeET2_T3_PNSL_ISQ_E10value_typeET4_jRbjT5_SW_jjP12ihipStream_tbEUlT_E1_NS1_11comp_targetILNS1_3genE0ELNS1_11target_archE4294967295ELNS1_3gpuE0ELNS1_3repE0EEENS1_59segmented_radix_sort_warp_sort_small_config_static_selectorELNS0_4arch9wavefront6targetE0EEEvSK_,@function
_ZN7rocprim17ROCPRIM_400000_NS6detail17trampoline_kernelINS0_14default_configENS1_36segmented_radix_sort_config_selectorIflEEZNS1_25segmented_radix_sort_implIS3_Lb1EPKfPfPKlPlN2at6native12_GLOBAL__N_18offset_tEEE10hipError_tPvRmT1_PNSt15iterator_traitsISK_E10value_typeET2_T3_PNSL_ISQ_E10value_typeET4_jRbjT5_SW_jjP12ihipStream_tbEUlT_E1_NS1_11comp_targetILNS1_3genE0ELNS1_11target_archE4294967295ELNS1_3gpuE0ELNS1_3repE0EEENS1_59segmented_radix_sort_warp_sort_small_config_static_selectorELNS0_4arch9wavefront6targetE0EEEvSK_: ; @_ZN7rocprim17ROCPRIM_400000_NS6detail17trampoline_kernelINS0_14default_configENS1_36segmented_radix_sort_config_selectorIflEEZNS1_25segmented_radix_sort_implIS3_Lb1EPKfPfPKlPlN2at6native12_GLOBAL__N_18offset_tEEE10hipError_tPvRmT1_PNSt15iterator_traitsISK_E10value_typeET2_T3_PNSL_ISQ_E10value_typeET4_jRbjT5_SW_jjP12ihipStream_tbEUlT_E1_NS1_11comp_targetILNS1_3genE0ELNS1_11target_archE4294967295ELNS1_3gpuE0ELNS1_3repE0EEENS1_59segmented_radix_sort_warp_sort_small_config_static_selectorELNS0_4arch9wavefront6targetE0EEEvSK_
; %bb.0:
	s_load_b32 s4, s[2:3], 0x64
	v_bfe_u32 v1, v0, 10, 10
	v_bfe_u32 v2, v0, 20, 10
	v_and_b32_e32 v3, 0x3ff, v0
	s_and_b32 s6, ttmp6, 15
	s_getreg_b32 s7, hwreg(HW_REG_IB_STS2, 6, 4)
	s_mov_b32 s32, 0
	s_wait_kmcnt 0x0
	s_lshr_b32 s5, s4, 16
	s_and_b32 s4, s4, 0xffff
	v_mad_u32_u24 v1, v2, s5, v1
	s_bfe_u32 s5, ttmp6, 0x4000c
	s_delay_alu instid0(SALU_CYCLE_1) | instskip(NEXT) | instid1(SALU_CYCLE_1)
	s_add_co_i32 s5, s5, 1
	s_mul_i32 s5, ttmp9, s5
	s_delay_alu instid0(VALU_DEP_1) | instskip(SKIP_4) | instid1(VALU_DEP_1)
	v_mad_u32 v1, v1, s4, v3
	s_load_b32 s4, s[2:3], 0x34
	s_add_co_i32 s6, s6, s5
	s_cmp_eq_u32 s7, 0
	s_cselect_b32 s5, ttmp9, s6
	v_lshrrev_b32_e32 v1, 5, v1
	s_delay_alu instid0(VALU_DEP_1) | instskip(SKIP_1) | instid1(VALU_DEP_1)
	v_lshl_add_u32 v2, s5, 3, v1
	s_wait_kmcnt 0x0
	v_cmp_gt_u32_e32 vcc_lo, s4, v2
	s_and_saveexec_b32 s4, vcc_lo
	s_cbranch_execz .LBB1339_6
; %bb.1:
	s_clause 0x1
	s_load_b64 s[8:9], s[2:3], 0x38
	s_load_b128 s[4:7], s[2:3], 0x40
	v_mov_b32_e32 v3, 0
	s_delay_alu instid0(VALU_DEP_1) | instskip(SKIP_1) | instid1(VALU_DEP_1)
	v_lshlrev_b64_e32 v[2:3], 2, v[2:3]
	s_wait_kmcnt 0x0
	v_sub_nc_u64_e32 v[2:3], s[8:9], v[2:3]
	global_load_b32 v1, v[2:3], off offset:-4
	s_wait_loadcnt 0x0
	v_dual_add_nc_u32 v2, s5, v1 :: v_dual_add_nc_u32 v1, s7, v1
	s_delay_alu instid0(VALU_DEP_1) | instskip(NEXT) | instid1(VALU_DEP_2)
	v_mul_lo_u32 v8, v2, s4
	v_mul_lo_u32 v40, v1, s6
	s_delay_alu instid0(VALU_DEP_1)
	v_cmp_gt_u32_e32 vcc_lo, v40, v8
	s_and_b32 exec_lo, exec_lo, vcc_lo
	s_cbranch_execz .LBB1339_6
; %bb.2:
	s_clause 0x2
	s_load_b32 s4, s[2:3], 0x30
	s_load_b128 s[24:27], s[2:3], 0x20
	s_load_b256 s[16:23], s[2:3], 0x0
	s_add_nc_u64 s[14:15], s[2:3], 0x58
	s_get_pc_i64 s[28:29]
	s_add_nc_u64 s[28:29], s[28:29], _ZN7rocprim17ROCPRIM_400000_NS6detail26segmented_warp_sort_helperINS1_20WarpSortHelperConfigILj32ELj4ELj256EEEflLi256ELb1EvE4sortIPKfPfPKlPlEEvT_T0_T1_T2_jjjjRNS5_12storage_typeE@rel64+4
	s_wait_kmcnt 0x0
	s_bitcmp0_b32 s4, 0
	s_mov_b32 s4, -1
	s_cbranch_scc0 .LBB1339_4
; %bb.3:
	s_mov_b64 s[2:3], src_shared_base
	v_dual_mov_b32 v31, v0 :: v_dual_mov_b32 v41, v0
	v_dual_mov_b32 v0, s16 :: v_dual_mov_b32 v1, s17
	;; [unrolled: 1-line block ×6, first 2 shown]
	v_mov_b32_e32 v11, s3
	s_mov_b64 s[6:7], s[0:1]
	s_mov_b64 s[8:9], s[14:15]
	;; [unrolled: 1-line block ×3, first 2 shown]
	s_swap_pc_i64 s[30:31], s[28:29]
	v_mov_b32_e32 v0, v41
	s_mov_b64 s[0:1], s[18:19]
	s_mov_b32 s4, 0
.LBB1339_4:
	s_delay_alu instid0(SALU_CYCLE_1)
	s_and_not1_b32 vcc_lo, exec_lo, s4
	s_cbranch_vccnz .LBB1339_6
; %bb.5:
	s_mov_b64 s[2:3], src_shared_base
	v_dual_mov_b32 v31, v0 :: v_dual_mov_b32 v0, s16
	v_dual_mov_b32 v1, s17 :: v_dual_mov_b32 v2, s20
	;; [unrolled: 1-line block ×6, first 2 shown]
	s_mov_b64 s[6:7], s[0:1]
	s_mov_b64 s[8:9], s[14:15]
	s_swap_pc_i64 s[30:31], s[28:29]
.LBB1339_6:
	s_endpgm
	.section	.rodata,"a",@progbits
	.p2align	6, 0x0
	.amdhsa_kernel _ZN7rocprim17ROCPRIM_400000_NS6detail17trampoline_kernelINS0_14default_configENS1_36segmented_radix_sort_config_selectorIflEEZNS1_25segmented_radix_sort_implIS3_Lb1EPKfPfPKlPlN2at6native12_GLOBAL__N_18offset_tEEE10hipError_tPvRmT1_PNSt15iterator_traitsISK_E10value_typeET2_T3_PNSL_ISQ_E10value_typeET4_jRbjT5_SW_jjP12ihipStream_tbEUlT_E1_NS1_11comp_targetILNS1_3genE0ELNS1_11target_archE4294967295ELNS1_3gpuE0ELNS1_3repE0EEENS1_59segmented_radix_sort_warp_sort_small_config_static_selectorELNS0_4arch9wavefront6targetE0EEEvSK_
		.amdhsa_group_segment_fixed_size 12288
		.amdhsa_private_segment_fixed_size 0
		.amdhsa_kernarg_size 344
		.amdhsa_user_sgpr_count 4
		.amdhsa_user_sgpr_dispatch_ptr 0
		.amdhsa_user_sgpr_queue_ptr 1
		.amdhsa_user_sgpr_kernarg_segment_ptr 1
		.amdhsa_user_sgpr_dispatch_id 0
		.amdhsa_user_sgpr_kernarg_preload_length 0
		.amdhsa_user_sgpr_kernarg_preload_offset 0
		.amdhsa_user_sgpr_private_segment_size 0
		.amdhsa_wavefront_size32 1
		.amdhsa_uses_dynamic_stack 0
		.amdhsa_enable_private_segment 0
		.amdhsa_system_sgpr_workgroup_id_x 1
		.amdhsa_system_sgpr_workgroup_id_y 1
		.amdhsa_system_sgpr_workgroup_id_z 0
		.amdhsa_system_sgpr_workgroup_info 0
		.amdhsa_system_vgpr_workitem_id 2
		.amdhsa_next_free_vgpr 72
		.amdhsa_next_free_sgpr 33
		.amdhsa_named_barrier_count 0
		.amdhsa_reserve_vcc 1
		.amdhsa_float_round_mode_32 0
		.amdhsa_float_round_mode_16_64 0
		.amdhsa_float_denorm_mode_32 3
		.amdhsa_float_denorm_mode_16_64 3
		.amdhsa_fp16_overflow 0
		.amdhsa_memory_ordered 1
		.amdhsa_forward_progress 1
		.amdhsa_inst_pref_size 4
		.amdhsa_round_robin_scheduling 0
		.amdhsa_exception_fp_ieee_invalid_op 0
		.amdhsa_exception_fp_denorm_src 0
		.amdhsa_exception_fp_ieee_div_zero 0
		.amdhsa_exception_fp_ieee_overflow 0
		.amdhsa_exception_fp_ieee_underflow 0
		.amdhsa_exception_fp_ieee_inexact 0
		.amdhsa_exception_int_div_zero 0
	.end_amdhsa_kernel
	.section	.text._ZN7rocprim17ROCPRIM_400000_NS6detail17trampoline_kernelINS0_14default_configENS1_36segmented_radix_sort_config_selectorIflEEZNS1_25segmented_radix_sort_implIS3_Lb1EPKfPfPKlPlN2at6native12_GLOBAL__N_18offset_tEEE10hipError_tPvRmT1_PNSt15iterator_traitsISK_E10value_typeET2_T3_PNSL_ISQ_E10value_typeET4_jRbjT5_SW_jjP12ihipStream_tbEUlT_E1_NS1_11comp_targetILNS1_3genE0ELNS1_11target_archE4294967295ELNS1_3gpuE0ELNS1_3repE0EEENS1_59segmented_radix_sort_warp_sort_small_config_static_selectorELNS0_4arch9wavefront6targetE0EEEvSK_,"axG",@progbits,_ZN7rocprim17ROCPRIM_400000_NS6detail17trampoline_kernelINS0_14default_configENS1_36segmented_radix_sort_config_selectorIflEEZNS1_25segmented_radix_sort_implIS3_Lb1EPKfPfPKlPlN2at6native12_GLOBAL__N_18offset_tEEE10hipError_tPvRmT1_PNSt15iterator_traitsISK_E10value_typeET2_T3_PNSL_ISQ_E10value_typeET4_jRbjT5_SW_jjP12ihipStream_tbEUlT_E1_NS1_11comp_targetILNS1_3genE0ELNS1_11target_archE4294967295ELNS1_3gpuE0ELNS1_3repE0EEENS1_59segmented_radix_sort_warp_sort_small_config_static_selectorELNS0_4arch9wavefront6targetE0EEEvSK_,comdat
.Lfunc_end1339:
	.size	_ZN7rocprim17ROCPRIM_400000_NS6detail17trampoline_kernelINS0_14default_configENS1_36segmented_radix_sort_config_selectorIflEEZNS1_25segmented_radix_sort_implIS3_Lb1EPKfPfPKlPlN2at6native12_GLOBAL__N_18offset_tEEE10hipError_tPvRmT1_PNSt15iterator_traitsISK_E10value_typeET2_T3_PNSL_ISQ_E10value_typeET4_jRbjT5_SW_jjP12ihipStream_tbEUlT_E1_NS1_11comp_targetILNS1_3genE0ELNS1_11target_archE4294967295ELNS1_3gpuE0ELNS1_3repE0EEENS1_59segmented_radix_sort_warp_sort_small_config_static_selectorELNS0_4arch9wavefront6targetE0EEEvSK_, .Lfunc_end1339-_ZN7rocprim17ROCPRIM_400000_NS6detail17trampoline_kernelINS0_14default_configENS1_36segmented_radix_sort_config_selectorIflEEZNS1_25segmented_radix_sort_implIS3_Lb1EPKfPfPKlPlN2at6native12_GLOBAL__N_18offset_tEEE10hipError_tPvRmT1_PNSt15iterator_traitsISK_E10value_typeET2_T3_PNSL_ISQ_E10value_typeET4_jRbjT5_SW_jjP12ihipStream_tbEUlT_E1_NS1_11comp_targetILNS1_3genE0ELNS1_11target_archE4294967295ELNS1_3gpuE0ELNS1_3repE0EEENS1_59segmented_radix_sort_warp_sort_small_config_static_selectorELNS0_4arch9wavefront6targetE0EEEvSK_
                                        ; -- End function
	.set _ZN7rocprim17ROCPRIM_400000_NS6detail17trampoline_kernelINS0_14default_configENS1_36segmented_radix_sort_config_selectorIflEEZNS1_25segmented_radix_sort_implIS3_Lb1EPKfPfPKlPlN2at6native12_GLOBAL__N_18offset_tEEE10hipError_tPvRmT1_PNSt15iterator_traitsISK_E10value_typeET2_T3_PNSL_ISQ_E10value_typeET4_jRbjT5_SW_jjP12ihipStream_tbEUlT_E1_NS1_11comp_targetILNS1_3genE0ELNS1_11target_archE4294967295ELNS1_3gpuE0ELNS1_3repE0EEENS1_59segmented_radix_sort_warp_sort_small_config_static_selectorELNS0_4arch9wavefront6targetE0EEEvSK_.num_vgpr, max(42, .L_ZN7rocprim17ROCPRIM_400000_NS6detail26segmented_warp_sort_helperINS1_20WarpSortHelperConfigILj32ELj4ELj256EEEflLi256ELb1EvE4sortIPKfPfPKlPlEEvT_T0_T1_T2_jjjjRNS5_12storage_typeE.num_vgpr)
	.set _ZN7rocprim17ROCPRIM_400000_NS6detail17trampoline_kernelINS0_14default_configENS1_36segmented_radix_sort_config_selectorIflEEZNS1_25segmented_radix_sort_implIS3_Lb1EPKfPfPKlPlN2at6native12_GLOBAL__N_18offset_tEEE10hipError_tPvRmT1_PNSt15iterator_traitsISK_E10value_typeET2_T3_PNSL_ISQ_E10value_typeET4_jRbjT5_SW_jjP12ihipStream_tbEUlT_E1_NS1_11comp_targetILNS1_3genE0ELNS1_11target_archE4294967295ELNS1_3gpuE0ELNS1_3repE0EEENS1_59segmented_radix_sort_warp_sort_small_config_static_selectorELNS0_4arch9wavefront6targetE0EEEvSK_.num_agpr, max(0, .L_ZN7rocprim17ROCPRIM_400000_NS6detail26segmented_warp_sort_helperINS1_20WarpSortHelperConfigILj32ELj4ELj256EEEflLi256ELb1EvE4sortIPKfPfPKlPlEEvT_T0_T1_T2_jjjjRNS5_12storage_typeE.num_agpr)
	.set _ZN7rocprim17ROCPRIM_400000_NS6detail17trampoline_kernelINS0_14default_configENS1_36segmented_radix_sort_config_selectorIflEEZNS1_25segmented_radix_sort_implIS3_Lb1EPKfPfPKlPlN2at6native12_GLOBAL__N_18offset_tEEE10hipError_tPvRmT1_PNSt15iterator_traitsISK_E10value_typeET2_T3_PNSL_ISQ_E10value_typeET4_jRbjT5_SW_jjP12ihipStream_tbEUlT_E1_NS1_11comp_targetILNS1_3genE0ELNS1_11target_archE4294967295ELNS1_3gpuE0ELNS1_3repE0EEENS1_59segmented_radix_sort_warp_sort_small_config_static_selectorELNS0_4arch9wavefront6targetE0EEEvSK_.numbered_sgpr, max(33, .L_ZN7rocprim17ROCPRIM_400000_NS6detail26segmented_warp_sort_helperINS1_20WarpSortHelperConfigILj32ELj4ELj256EEEflLi256ELb1EvE4sortIPKfPfPKlPlEEvT_T0_T1_T2_jjjjRNS5_12storage_typeE.numbered_sgpr)
	.set _ZN7rocprim17ROCPRIM_400000_NS6detail17trampoline_kernelINS0_14default_configENS1_36segmented_radix_sort_config_selectorIflEEZNS1_25segmented_radix_sort_implIS3_Lb1EPKfPfPKlPlN2at6native12_GLOBAL__N_18offset_tEEE10hipError_tPvRmT1_PNSt15iterator_traitsISK_E10value_typeET2_T3_PNSL_ISQ_E10value_typeET4_jRbjT5_SW_jjP12ihipStream_tbEUlT_E1_NS1_11comp_targetILNS1_3genE0ELNS1_11target_archE4294967295ELNS1_3gpuE0ELNS1_3repE0EEENS1_59segmented_radix_sort_warp_sort_small_config_static_selectorELNS0_4arch9wavefront6targetE0EEEvSK_.num_named_barrier, max(0, .L_ZN7rocprim17ROCPRIM_400000_NS6detail26segmented_warp_sort_helperINS1_20WarpSortHelperConfigILj32ELj4ELj256EEEflLi256ELb1EvE4sortIPKfPfPKlPlEEvT_T0_T1_T2_jjjjRNS5_12storage_typeE.num_named_barrier)
	.set _ZN7rocprim17ROCPRIM_400000_NS6detail17trampoline_kernelINS0_14default_configENS1_36segmented_radix_sort_config_selectorIflEEZNS1_25segmented_radix_sort_implIS3_Lb1EPKfPfPKlPlN2at6native12_GLOBAL__N_18offset_tEEE10hipError_tPvRmT1_PNSt15iterator_traitsISK_E10value_typeET2_T3_PNSL_ISQ_E10value_typeET4_jRbjT5_SW_jjP12ihipStream_tbEUlT_E1_NS1_11comp_targetILNS1_3genE0ELNS1_11target_archE4294967295ELNS1_3gpuE0ELNS1_3repE0EEENS1_59segmented_radix_sort_warp_sort_small_config_static_selectorELNS0_4arch9wavefront6targetE0EEEvSK_.private_seg_size, 0+max(.L_ZN7rocprim17ROCPRIM_400000_NS6detail26segmented_warp_sort_helperINS1_20WarpSortHelperConfigILj32ELj4ELj256EEEflLi256ELb1EvE4sortIPKfPfPKlPlEEvT_T0_T1_T2_jjjjRNS5_12storage_typeE.private_seg_size)
	.set _ZN7rocprim17ROCPRIM_400000_NS6detail17trampoline_kernelINS0_14default_configENS1_36segmented_radix_sort_config_selectorIflEEZNS1_25segmented_radix_sort_implIS3_Lb1EPKfPfPKlPlN2at6native12_GLOBAL__N_18offset_tEEE10hipError_tPvRmT1_PNSt15iterator_traitsISK_E10value_typeET2_T3_PNSL_ISQ_E10value_typeET4_jRbjT5_SW_jjP12ihipStream_tbEUlT_E1_NS1_11comp_targetILNS1_3genE0ELNS1_11target_archE4294967295ELNS1_3gpuE0ELNS1_3repE0EEENS1_59segmented_radix_sort_warp_sort_small_config_static_selectorELNS0_4arch9wavefront6targetE0EEEvSK_.uses_vcc, or(1, .L_ZN7rocprim17ROCPRIM_400000_NS6detail26segmented_warp_sort_helperINS1_20WarpSortHelperConfigILj32ELj4ELj256EEEflLi256ELb1EvE4sortIPKfPfPKlPlEEvT_T0_T1_T2_jjjjRNS5_12storage_typeE.uses_vcc)
	.set _ZN7rocprim17ROCPRIM_400000_NS6detail17trampoline_kernelINS0_14default_configENS1_36segmented_radix_sort_config_selectorIflEEZNS1_25segmented_radix_sort_implIS3_Lb1EPKfPfPKlPlN2at6native12_GLOBAL__N_18offset_tEEE10hipError_tPvRmT1_PNSt15iterator_traitsISK_E10value_typeET2_T3_PNSL_ISQ_E10value_typeET4_jRbjT5_SW_jjP12ihipStream_tbEUlT_E1_NS1_11comp_targetILNS1_3genE0ELNS1_11target_archE4294967295ELNS1_3gpuE0ELNS1_3repE0EEENS1_59segmented_radix_sort_warp_sort_small_config_static_selectorELNS0_4arch9wavefront6targetE0EEEvSK_.uses_flat_scratch, or(0, .L_ZN7rocprim17ROCPRIM_400000_NS6detail26segmented_warp_sort_helperINS1_20WarpSortHelperConfigILj32ELj4ELj256EEEflLi256ELb1EvE4sortIPKfPfPKlPlEEvT_T0_T1_T2_jjjjRNS5_12storage_typeE.uses_flat_scratch)
	.set _ZN7rocprim17ROCPRIM_400000_NS6detail17trampoline_kernelINS0_14default_configENS1_36segmented_radix_sort_config_selectorIflEEZNS1_25segmented_radix_sort_implIS3_Lb1EPKfPfPKlPlN2at6native12_GLOBAL__N_18offset_tEEE10hipError_tPvRmT1_PNSt15iterator_traitsISK_E10value_typeET2_T3_PNSL_ISQ_E10value_typeET4_jRbjT5_SW_jjP12ihipStream_tbEUlT_E1_NS1_11comp_targetILNS1_3genE0ELNS1_11target_archE4294967295ELNS1_3gpuE0ELNS1_3repE0EEENS1_59segmented_radix_sort_warp_sort_small_config_static_selectorELNS0_4arch9wavefront6targetE0EEEvSK_.has_dyn_sized_stack, or(0, .L_ZN7rocprim17ROCPRIM_400000_NS6detail26segmented_warp_sort_helperINS1_20WarpSortHelperConfigILj32ELj4ELj256EEEflLi256ELb1EvE4sortIPKfPfPKlPlEEvT_T0_T1_T2_jjjjRNS5_12storage_typeE.has_dyn_sized_stack)
	.set _ZN7rocprim17ROCPRIM_400000_NS6detail17trampoline_kernelINS0_14default_configENS1_36segmented_radix_sort_config_selectorIflEEZNS1_25segmented_radix_sort_implIS3_Lb1EPKfPfPKlPlN2at6native12_GLOBAL__N_18offset_tEEE10hipError_tPvRmT1_PNSt15iterator_traitsISK_E10value_typeET2_T3_PNSL_ISQ_E10value_typeET4_jRbjT5_SW_jjP12ihipStream_tbEUlT_E1_NS1_11comp_targetILNS1_3genE0ELNS1_11target_archE4294967295ELNS1_3gpuE0ELNS1_3repE0EEENS1_59segmented_radix_sort_warp_sort_small_config_static_selectorELNS0_4arch9wavefront6targetE0EEEvSK_.has_recursion, or(0, .L_ZN7rocprim17ROCPRIM_400000_NS6detail26segmented_warp_sort_helperINS1_20WarpSortHelperConfigILj32ELj4ELj256EEEflLi256ELb1EvE4sortIPKfPfPKlPlEEvT_T0_T1_T2_jjjjRNS5_12storage_typeE.has_recursion)
	.set _ZN7rocprim17ROCPRIM_400000_NS6detail17trampoline_kernelINS0_14default_configENS1_36segmented_radix_sort_config_selectorIflEEZNS1_25segmented_radix_sort_implIS3_Lb1EPKfPfPKlPlN2at6native12_GLOBAL__N_18offset_tEEE10hipError_tPvRmT1_PNSt15iterator_traitsISK_E10value_typeET2_T3_PNSL_ISQ_E10value_typeET4_jRbjT5_SW_jjP12ihipStream_tbEUlT_E1_NS1_11comp_targetILNS1_3genE0ELNS1_11target_archE4294967295ELNS1_3gpuE0ELNS1_3repE0EEENS1_59segmented_radix_sort_warp_sort_small_config_static_selectorELNS0_4arch9wavefront6targetE0EEEvSK_.has_indirect_call, or(0, .L_ZN7rocprim17ROCPRIM_400000_NS6detail26segmented_warp_sort_helperINS1_20WarpSortHelperConfigILj32ELj4ELj256EEEflLi256ELb1EvE4sortIPKfPfPKlPlEEvT_T0_T1_T2_jjjjRNS5_12storage_typeE.has_indirect_call)
	.section	.AMDGPU.csdata,"",@progbits
; Kernel info:
; codeLenInByte = 496
; TotalNumSgprs: 35
; NumVgprs: 72
; ScratchSize: 0
; MemoryBound: 0
; FloatMode: 240
; IeeeMode: 1
; LDSByteSize: 12288 bytes/workgroup (compile time only)
; SGPRBlocks: 0
; VGPRBlocks: 4
; NumSGPRsForWavesPerEU: 35
; NumVGPRsForWavesPerEU: 72
; NamedBarCnt: 0
; Occupancy: 12
; WaveLimiterHint : 0
; COMPUTE_PGM_RSRC2:SCRATCH_EN: 0
; COMPUTE_PGM_RSRC2:USER_SGPR: 4
; COMPUTE_PGM_RSRC2:TRAP_HANDLER: 0
; COMPUTE_PGM_RSRC2:TGID_X_EN: 1
; COMPUTE_PGM_RSRC2:TGID_Y_EN: 1
; COMPUTE_PGM_RSRC2:TGID_Z_EN: 0
; COMPUTE_PGM_RSRC2:TIDIG_COMP_CNT: 2
	.section	.text._ZN7rocprim17ROCPRIM_400000_NS6detail17trampoline_kernelINS0_14default_configENS1_36segmented_radix_sort_config_selectorIflEEZNS1_25segmented_radix_sort_implIS3_Lb1EPKfPfPKlPlN2at6native12_GLOBAL__N_18offset_tEEE10hipError_tPvRmT1_PNSt15iterator_traitsISK_E10value_typeET2_T3_PNSL_ISQ_E10value_typeET4_jRbjT5_SW_jjP12ihipStream_tbEUlT_E1_NS1_11comp_targetILNS1_3genE5ELNS1_11target_archE942ELNS1_3gpuE9ELNS1_3repE0EEENS1_59segmented_radix_sort_warp_sort_small_config_static_selectorELNS0_4arch9wavefront6targetE0EEEvSK_,"axG",@progbits,_ZN7rocprim17ROCPRIM_400000_NS6detail17trampoline_kernelINS0_14default_configENS1_36segmented_radix_sort_config_selectorIflEEZNS1_25segmented_radix_sort_implIS3_Lb1EPKfPfPKlPlN2at6native12_GLOBAL__N_18offset_tEEE10hipError_tPvRmT1_PNSt15iterator_traitsISK_E10value_typeET2_T3_PNSL_ISQ_E10value_typeET4_jRbjT5_SW_jjP12ihipStream_tbEUlT_E1_NS1_11comp_targetILNS1_3genE5ELNS1_11target_archE942ELNS1_3gpuE9ELNS1_3repE0EEENS1_59segmented_radix_sort_warp_sort_small_config_static_selectorELNS0_4arch9wavefront6targetE0EEEvSK_,comdat
	.globl	_ZN7rocprim17ROCPRIM_400000_NS6detail17trampoline_kernelINS0_14default_configENS1_36segmented_radix_sort_config_selectorIflEEZNS1_25segmented_radix_sort_implIS3_Lb1EPKfPfPKlPlN2at6native12_GLOBAL__N_18offset_tEEE10hipError_tPvRmT1_PNSt15iterator_traitsISK_E10value_typeET2_T3_PNSL_ISQ_E10value_typeET4_jRbjT5_SW_jjP12ihipStream_tbEUlT_E1_NS1_11comp_targetILNS1_3genE5ELNS1_11target_archE942ELNS1_3gpuE9ELNS1_3repE0EEENS1_59segmented_radix_sort_warp_sort_small_config_static_selectorELNS0_4arch9wavefront6targetE0EEEvSK_ ; -- Begin function _ZN7rocprim17ROCPRIM_400000_NS6detail17trampoline_kernelINS0_14default_configENS1_36segmented_radix_sort_config_selectorIflEEZNS1_25segmented_radix_sort_implIS3_Lb1EPKfPfPKlPlN2at6native12_GLOBAL__N_18offset_tEEE10hipError_tPvRmT1_PNSt15iterator_traitsISK_E10value_typeET2_T3_PNSL_ISQ_E10value_typeET4_jRbjT5_SW_jjP12ihipStream_tbEUlT_E1_NS1_11comp_targetILNS1_3genE5ELNS1_11target_archE942ELNS1_3gpuE9ELNS1_3repE0EEENS1_59segmented_radix_sort_warp_sort_small_config_static_selectorELNS0_4arch9wavefront6targetE0EEEvSK_
	.p2align	8
	.type	_ZN7rocprim17ROCPRIM_400000_NS6detail17trampoline_kernelINS0_14default_configENS1_36segmented_radix_sort_config_selectorIflEEZNS1_25segmented_radix_sort_implIS3_Lb1EPKfPfPKlPlN2at6native12_GLOBAL__N_18offset_tEEE10hipError_tPvRmT1_PNSt15iterator_traitsISK_E10value_typeET2_T3_PNSL_ISQ_E10value_typeET4_jRbjT5_SW_jjP12ihipStream_tbEUlT_E1_NS1_11comp_targetILNS1_3genE5ELNS1_11target_archE942ELNS1_3gpuE9ELNS1_3repE0EEENS1_59segmented_radix_sort_warp_sort_small_config_static_selectorELNS0_4arch9wavefront6targetE0EEEvSK_,@function
_ZN7rocprim17ROCPRIM_400000_NS6detail17trampoline_kernelINS0_14default_configENS1_36segmented_radix_sort_config_selectorIflEEZNS1_25segmented_radix_sort_implIS3_Lb1EPKfPfPKlPlN2at6native12_GLOBAL__N_18offset_tEEE10hipError_tPvRmT1_PNSt15iterator_traitsISK_E10value_typeET2_T3_PNSL_ISQ_E10value_typeET4_jRbjT5_SW_jjP12ihipStream_tbEUlT_E1_NS1_11comp_targetILNS1_3genE5ELNS1_11target_archE942ELNS1_3gpuE9ELNS1_3repE0EEENS1_59segmented_radix_sort_warp_sort_small_config_static_selectorELNS0_4arch9wavefront6targetE0EEEvSK_: ; @_ZN7rocprim17ROCPRIM_400000_NS6detail17trampoline_kernelINS0_14default_configENS1_36segmented_radix_sort_config_selectorIflEEZNS1_25segmented_radix_sort_implIS3_Lb1EPKfPfPKlPlN2at6native12_GLOBAL__N_18offset_tEEE10hipError_tPvRmT1_PNSt15iterator_traitsISK_E10value_typeET2_T3_PNSL_ISQ_E10value_typeET4_jRbjT5_SW_jjP12ihipStream_tbEUlT_E1_NS1_11comp_targetILNS1_3genE5ELNS1_11target_archE942ELNS1_3gpuE9ELNS1_3repE0EEENS1_59segmented_radix_sort_warp_sort_small_config_static_selectorELNS0_4arch9wavefront6targetE0EEEvSK_
; %bb.0:
	.section	.rodata,"a",@progbits
	.p2align	6, 0x0
	.amdhsa_kernel _ZN7rocprim17ROCPRIM_400000_NS6detail17trampoline_kernelINS0_14default_configENS1_36segmented_radix_sort_config_selectorIflEEZNS1_25segmented_radix_sort_implIS3_Lb1EPKfPfPKlPlN2at6native12_GLOBAL__N_18offset_tEEE10hipError_tPvRmT1_PNSt15iterator_traitsISK_E10value_typeET2_T3_PNSL_ISQ_E10value_typeET4_jRbjT5_SW_jjP12ihipStream_tbEUlT_E1_NS1_11comp_targetILNS1_3genE5ELNS1_11target_archE942ELNS1_3gpuE9ELNS1_3repE0EEENS1_59segmented_radix_sort_warp_sort_small_config_static_selectorELNS0_4arch9wavefront6targetE0EEEvSK_
		.amdhsa_group_segment_fixed_size 0
		.amdhsa_private_segment_fixed_size 0
		.amdhsa_kernarg_size 88
		.amdhsa_user_sgpr_count 2
		.amdhsa_user_sgpr_dispatch_ptr 0
		.amdhsa_user_sgpr_queue_ptr 0
		.amdhsa_user_sgpr_kernarg_segment_ptr 1
		.amdhsa_user_sgpr_dispatch_id 0
		.amdhsa_user_sgpr_kernarg_preload_length 0
		.amdhsa_user_sgpr_kernarg_preload_offset 0
		.amdhsa_user_sgpr_private_segment_size 0
		.amdhsa_wavefront_size32 1
		.amdhsa_uses_dynamic_stack 0
		.amdhsa_enable_private_segment 0
		.amdhsa_system_sgpr_workgroup_id_x 1
		.amdhsa_system_sgpr_workgroup_id_y 0
		.amdhsa_system_sgpr_workgroup_id_z 0
		.amdhsa_system_sgpr_workgroup_info 0
		.amdhsa_system_vgpr_workitem_id 0
		.amdhsa_next_free_vgpr 1
		.amdhsa_next_free_sgpr 1
		.amdhsa_named_barrier_count 0
		.amdhsa_reserve_vcc 0
		.amdhsa_float_round_mode_32 0
		.amdhsa_float_round_mode_16_64 0
		.amdhsa_float_denorm_mode_32 3
		.amdhsa_float_denorm_mode_16_64 3
		.amdhsa_fp16_overflow 0
		.amdhsa_memory_ordered 1
		.amdhsa_forward_progress 1
		.amdhsa_inst_pref_size 0
		.amdhsa_round_robin_scheduling 0
		.amdhsa_exception_fp_ieee_invalid_op 0
		.amdhsa_exception_fp_denorm_src 0
		.amdhsa_exception_fp_ieee_div_zero 0
		.amdhsa_exception_fp_ieee_overflow 0
		.amdhsa_exception_fp_ieee_underflow 0
		.amdhsa_exception_fp_ieee_inexact 0
		.amdhsa_exception_int_div_zero 0
	.end_amdhsa_kernel
	.section	.text._ZN7rocprim17ROCPRIM_400000_NS6detail17trampoline_kernelINS0_14default_configENS1_36segmented_radix_sort_config_selectorIflEEZNS1_25segmented_radix_sort_implIS3_Lb1EPKfPfPKlPlN2at6native12_GLOBAL__N_18offset_tEEE10hipError_tPvRmT1_PNSt15iterator_traitsISK_E10value_typeET2_T3_PNSL_ISQ_E10value_typeET4_jRbjT5_SW_jjP12ihipStream_tbEUlT_E1_NS1_11comp_targetILNS1_3genE5ELNS1_11target_archE942ELNS1_3gpuE9ELNS1_3repE0EEENS1_59segmented_radix_sort_warp_sort_small_config_static_selectorELNS0_4arch9wavefront6targetE0EEEvSK_,"axG",@progbits,_ZN7rocprim17ROCPRIM_400000_NS6detail17trampoline_kernelINS0_14default_configENS1_36segmented_radix_sort_config_selectorIflEEZNS1_25segmented_radix_sort_implIS3_Lb1EPKfPfPKlPlN2at6native12_GLOBAL__N_18offset_tEEE10hipError_tPvRmT1_PNSt15iterator_traitsISK_E10value_typeET2_T3_PNSL_ISQ_E10value_typeET4_jRbjT5_SW_jjP12ihipStream_tbEUlT_E1_NS1_11comp_targetILNS1_3genE5ELNS1_11target_archE942ELNS1_3gpuE9ELNS1_3repE0EEENS1_59segmented_radix_sort_warp_sort_small_config_static_selectorELNS0_4arch9wavefront6targetE0EEEvSK_,comdat
.Lfunc_end1340:
	.size	_ZN7rocprim17ROCPRIM_400000_NS6detail17trampoline_kernelINS0_14default_configENS1_36segmented_radix_sort_config_selectorIflEEZNS1_25segmented_radix_sort_implIS3_Lb1EPKfPfPKlPlN2at6native12_GLOBAL__N_18offset_tEEE10hipError_tPvRmT1_PNSt15iterator_traitsISK_E10value_typeET2_T3_PNSL_ISQ_E10value_typeET4_jRbjT5_SW_jjP12ihipStream_tbEUlT_E1_NS1_11comp_targetILNS1_3genE5ELNS1_11target_archE942ELNS1_3gpuE9ELNS1_3repE0EEENS1_59segmented_radix_sort_warp_sort_small_config_static_selectorELNS0_4arch9wavefront6targetE0EEEvSK_, .Lfunc_end1340-_ZN7rocprim17ROCPRIM_400000_NS6detail17trampoline_kernelINS0_14default_configENS1_36segmented_radix_sort_config_selectorIflEEZNS1_25segmented_radix_sort_implIS3_Lb1EPKfPfPKlPlN2at6native12_GLOBAL__N_18offset_tEEE10hipError_tPvRmT1_PNSt15iterator_traitsISK_E10value_typeET2_T3_PNSL_ISQ_E10value_typeET4_jRbjT5_SW_jjP12ihipStream_tbEUlT_E1_NS1_11comp_targetILNS1_3genE5ELNS1_11target_archE942ELNS1_3gpuE9ELNS1_3repE0EEENS1_59segmented_radix_sort_warp_sort_small_config_static_selectorELNS0_4arch9wavefront6targetE0EEEvSK_
                                        ; -- End function
	.set _ZN7rocprim17ROCPRIM_400000_NS6detail17trampoline_kernelINS0_14default_configENS1_36segmented_radix_sort_config_selectorIflEEZNS1_25segmented_radix_sort_implIS3_Lb1EPKfPfPKlPlN2at6native12_GLOBAL__N_18offset_tEEE10hipError_tPvRmT1_PNSt15iterator_traitsISK_E10value_typeET2_T3_PNSL_ISQ_E10value_typeET4_jRbjT5_SW_jjP12ihipStream_tbEUlT_E1_NS1_11comp_targetILNS1_3genE5ELNS1_11target_archE942ELNS1_3gpuE9ELNS1_3repE0EEENS1_59segmented_radix_sort_warp_sort_small_config_static_selectorELNS0_4arch9wavefront6targetE0EEEvSK_.num_vgpr, 0
	.set _ZN7rocprim17ROCPRIM_400000_NS6detail17trampoline_kernelINS0_14default_configENS1_36segmented_radix_sort_config_selectorIflEEZNS1_25segmented_radix_sort_implIS3_Lb1EPKfPfPKlPlN2at6native12_GLOBAL__N_18offset_tEEE10hipError_tPvRmT1_PNSt15iterator_traitsISK_E10value_typeET2_T3_PNSL_ISQ_E10value_typeET4_jRbjT5_SW_jjP12ihipStream_tbEUlT_E1_NS1_11comp_targetILNS1_3genE5ELNS1_11target_archE942ELNS1_3gpuE9ELNS1_3repE0EEENS1_59segmented_radix_sort_warp_sort_small_config_static_selectorELNS0_4arch9wavefront6targetE0EEEvSK_.num_agpr, 0
	.set _ZN7rocprim17ROCPRIM_400000_NS6detail17trampoline_kernelINS0_14default_configENS1_36segmented_radix_sort_config_selectorIflEEZNS1_25segmented_radix_sort_implIS3_Lb1EPKfPfPKlPlN2at6native12_GLOBAL__N_18offset_tEEE10hipError_tPvRmT1_PNSt15iterator_traitsISK_E10value_typeET2_T3_PNSL_ISQ_E10value_typeET4_jRbjT5_SW_jjP12ihipStream_tbEUlT_E1_NS1_11comp_targetILNS1_3genE5ELNS1_11target_archE942ELNS1_3gpuE9ELNS1_3repE0EEENS1_59segmented_radix_sort_warp_sort_small_config_static_selectorELNS0_4arch9wavefront6targetE0EEEvSK_.numbered_sgpr, 0
	.set _ZN7rocprim17ROCPRIM_400000_NS6detail17trampoline_kernelINS0_14default_configENS1_36segmented_radix_sort_config_selectorIflEEZNS1_25segmented_radix_sort_implIS3_Lb1EPKfPfPKlPlN2at6native12_GLOBAL__N_18offset_tEEE10hipError_tPvRmT1_PNSt15iterator_traitsISK_E10value_typeET2_T3_PNSL_ISQ_E10value_typeET4_jRbjT5_SW_jjP12ihipStream_tbEUlT_E1_NS1_11comp_targetILNS1_3genE5ELNS1_11target_archE942ELNS1_3gpuE9ELNS1_3repE0EEENS1_59segmented_radix_sort_warp_sort_small_config_static_selectorELNS0_4arch9wavefront6targetE0EEEvSK_.num_named_barrier, 0
	.set _ZN7rocprim17ROCPRIM_400000_NS6detail17trampoline_kernelINS0_14default_configENS1_36segmented_radix_sort_config_selectorIflEEZNS1_25segmented_radix_sort_implIS3_Lb1EPKfPfPKlPlN2at6native12_GLOBAL__N_18offset_tEEE10hipError_tPvRmT1_PNSt15iterator_traitsISK_E10value_typeET2_T3_PNSL_ISQ_E10value_typeET4_jRbjT5_SW_jjP12ihipStream_tbEUlT_E1_NS1_11comp_targetILNS1_3genE5ELNS1_11target_archE942ELNS1_3gpuE9ELNS1_3repE0EEENS1_59segmented_radix_sort_warp_sort_small_config_static_selectorELNS0_4arch9wavefront6targetE0EEEvSK_.private_seg_size, 0
	.set _ZN7rocprim17ROCPRIM_400000_NS6detail17trampoline_kernelINS0_14default_configENS1_36segmented_radix_sort_config_selectorIflEEZNS1_25segmented_radix_sort_implIS3_Lb1EPKfPfPKlPlN2at6native12_GLOBAL__N_18offset_tEEE10hipError_tPvRmT1_PNSt15iterator_traitsISK_E10value_typeET2_T3_PNSL_ISQ_E10value_typeET4_jRbjT5_SW_jjP12ihipStream_tbEUlT_E1_NS1_11comp_targetILNS1_3genE5ELNS1_11target_archE942ELNS1_3gpuE9ELNS1_3repE0EEENS1_59segmented_radix_sort_warp_sort_small_config_static_selectorELNS0_4arch9wavefront6targetE0EEEvSK_.uses_vcc, 0
	.set _ZN7rocprim17ROCPRIM_400000_NS6detail17trampoline_kernelINS0_14default_configENS1_36segmented_radix_sort_config_selectorIflEEZNS1_25segmented_radix_sort_implIS3_Lb1EPKfPfPKlPlN2at6native12_GLOBAL__N_18offset_tEEE10hipError_tPvRmT1_PNSt15iterator_traitsISK_E10value_typeET2_T3_PNSL_ISQ_E10value_typeET4_jRbjT5_SW_jjP12ihipStream_tbEUlT_E1_NS1_11comp_targetILNS1_3genE5ELNS1_11target_archE942ELNS1_3gpuE9ELNS1_3repE0EEENS1_59segmented_radix_sort_warp_sort_small_config_static_selectorELNS0_4arch9wavefront6targetE0EEEvSK_.uses_flat_scratch, 0
	.set _ZN7rocprim17ROCPRIM_400000_NS6detail17trampoline_kernelINS0_14default_configENS1_36segmented_radix_sort_config_selectorIflEEZNS1_25segmented_radix_sort_implIS3_Lb1EPKfPfPKlPlN2at6native12_GLOBAL__N_18offset_tEEE10hipError_tPvRmT1_PNSt15iterator_traitsISK_E10value_typeET2_T3_PNSL_ISQ_E10value_typeET4_jRbjT5_SW_jjP12ihipStream_tbEUlT_E1_NS1_11comp_targetILNS1_3genE5ELNS1_11target_archE942ELNS1_3gpuE9ELNS1_3repE0EEENS1_59segmented_radix_sort_warp_sort_small_config_static_selectorELNS0_4arch9wavefront6targetE0EEEvSK_.has_dyn_sized_stack, 0
	.set _ZN7rocprim17ROCPRIM_400000_NS6detail17trampoline_kernelINS0_14default_configENS1_36segmented_radix_sort_config_selectorIflEEZNS1_25segmented_radix_sort_implIS3_Lb1EPKfPfPKlPlN2at6native12_GLOBAL__N_18offset_tEEE10hipError_tPvRmT1_PNSt15iterator_traitsISK_E10value_typeET2_T3_PNSL_ISQ_E10value_typeET4_jRbjT5_SW_jjP12ihipStream_tbEUlT_E1_NS1_11comp_targetILNS1_3genE5ELNS1_11target_archE942ELNS1_3gpuE9ELNS1_3repE0EEENS1_59segmented_radix_sort_warp_sort_small_config_static_selectorELNS0_4arch9wavefront6targetE0EEEvSK_.has_recursion, 0
	.set _ZN7rocprim17ROCPRIM_400000_NS6detail17trampoline_kernelINS0_14default_configENS1_36segmented_radix_sort_config_selectorIflEEZNS1_25segmented_radix_sort_implIS3_Lb1EPKfPfPKlPlN2at6native12_GLOBAL__N_18offset_tEEE10hipError_tPvRmT1_PNSt15iterator_traitsISK_E10value_typeET2_T3_PNSL_ISQ_E10value_typeET4_jRbjT5_SW_jjP12ihipStream_tbEUlT_E1_NS1_11comp_targetILNS1_3genE5ELNS1_11target_archE942ELNS1_3gpuE9ELNS1_3repE0EEENS1_59segmented_radix_sort_warp_sort_small_config_static_selectorELNS0_4arch9wavefront6targetE0EEEvSK_.has_indirect_call, 0
	.section	.AMDGPU.csdata,"",@progbits
; Kernel info:
; codeLenInByte = 0
; TotalNumSgprs: 0
; NumVgprs: 0
; ScratchSize: 0
; MemoryBound: 0
; FloatMode: 240
; IeeeMode: 1
; LDSByteSize: 0 bytes/workgroup (compile time only)
; SGPRBlocks: 0
; VGPRBlocks: 0
; NumSGPRsForWavesPerEU: 1
; NumVGPRsForWavesPerEU: 1
; NamedBarCnt: 0
; Occupancy: 16
; WaveLimiterHint : 0
; COMPUTE_PGM_RSRC2:SCRATCH_EN: 0
; COMPUTE_PGM_RSRC2:USER_SGPR: 2
; COMPUTE_PGM_RSRC2:TRAP_HANDLER: 0
; COMPUTE_PGM_RSRC2:TGID_X_EN: 1
; COMPUTE_PGM_RSRC2:TGID_Y_EN: 0
; COMPUTE_PGM_RSRC2:TGID_Z_EN: 0
; COMPUTE_PGM_RSRC2:TIDIG_COMP_CNT: 0
	.section	.text._ZN7rocprim17ROCPRIM_400000_NS6detail17trampoline_kernelINS0_14default_configENS1_36segmented_radix_sort_config_selectorIflEEZNS1_25segmented_radix_sort_implIS3_Lb1EPKfPfPKlPlN2at6native12_GLOBAL__N_18offset_tEEE10hipError_tPvRmT1_PNSt15iterator_traitsISK_E10value_typeET2_T3_PNSL_ISQ_E10value_typeET4_jRbjT5_SW_jjP12ihipStream_tbEUlT_E1_NS1_11comp_targetILNS1_3genE4ELNS1_11target_archE910ELNS1_3gpuE8ELNS1_3repE0EEENS1_59segmented_radix_sort_warp_sort_small_config_static_selectorELNS0_4arch9wavefront6targetE0EEEvSK_,"axG",@progbits,_ZN7rocprim17ROCPRIM_400000_NS6detail17trampoline_kernelINS0_14default_configENS1_36segmented_radix_sort_config_selectorIflEEZNS1_25segmented_radix_sort_implIS3_Lb1EPKfPfPKlPlN2at6native12_GLOBAL__N_18offset_tEEE10hipError_tPvRmT1_PNSt15iterator_traitsISK_E10value_typeET2_T3_PNSL_ISQ_E10value_typeET4_jRbjT5_SW_jjP12ihipStream_tbEUlT_E1_NS1_11comp_targetILNS1_3genE4ELNS1_11target_archE910ELNS1_3gpuE8ELNS1_3repE0EEENS1_59segmented_radix_sort_warp_sort_small_config_static_selectorELNS0_4arch9wavefront6targetE0EEEvSK_,comdat
	.globl	_ZN7rocprim17ROCPRIM_400000_NS6detail17trampoline_kernelINS0_14default_configENS1_36segmented_radix_sort_config_selectorIflEEZNS1_25segmented_radix_sort_implIS3_Lb1EPKfPfPKlPlN2at6native12_GLOBAL__N_18offset_tEEE10hipError_tPvRmT1_PNSt15iterator_traitsISK_E10value_typeET2_T3_PNSL_ISQ_E10value_typeET4_jRbjT5_SW_jjP12ihipStream_tbEUlT_E1_NS1_11comp_targetILNS1_3genE4ELNS1_11target_archE910ELNS1_3gpuE8ELNS1_3repE0EEENS1_59segmented_radix_sort_warp_sort_small_config_static_selectorELNS0_4arch9wavefront6targetE0EEEvSK_ ; -- Begin function _ZN7rocprim17ROCPRIM_400000_NS6detail17trampoline_kernelINS0_14default_configENS1_36segmented_radix_sort_config_selectorIflEEZNS1_25segmented_radix_sort_implIS3_Lb1EPKfPfPKlPlN2at6native12_GLOBAL__N_18offset_tEEE10hipError_tPvRmT1_PNSt15iterator_traitsISK_E10value_typeET2_T3_PNSL_ISQ_E10value_typeET4_jRbjT5_SW_jjP12ihipStream_tbEUlT_E1_NS1_11comp_targetILNS1_3genE4ELNS1_11target_archE910ELNS1_3gpuE8ELNS1_3repE0EEENS1_59segmented_radix_sort_warp_sort_small_config_static_selectorELNS0_4arch9wavefront6targetE0EEEvSK_
	.p2align	8
	.type	_ZN7rocprim17ROCPRIM_400000_NS6detail17trampoline_kernelINS0_14default_configENS1_36segmented_radix_sort_config_selectorIflEEZNS1_25segmented_radix_sort_implIS3_Lb1EPKfPfPKlPlN2at6native12_GLOBAL__N_18offset_tEEE10hipError_tPvRmT1_PNSt15iterator_traitsISK_E10value_typeET2_T3_PNSL_ISQ_E10value_typeET4_jRbjT5_SW_jjP12ihipStream_tbEUlT_E1_NS1_11comp_targetILNS1_3genE4ELNS1_11target_archE910ELNS1_3gpuE8ELNS1_3repE0EEENS1_59segmented_radix_sort_warp_sort_small_config_static_selectorELNS0_4arch9wavefront6targetE0EEEvSK_,@function
_ZN7rocprim17ROCPRIM_400000_NS6detail17trampoline_kernelINS0_14default_configENS1_36segmented_radix_sort_config_selectorIflEEZNS1_25segmented_radix_sort_implIS3_Lb1EPKfPfPKlPlN2at6native12_GLOBAL__N_18offset_tEEE10hipError_tPvRmT1_PNSt15iterator_traitsISK_E10value_typeET2_T3_PNSL_ISQ_E10value_typeET4_jRbjT5_SW_jjP12ihipStream_tbEUlT_E1_NS1_11comp_targetILNS1_3genE4ELNS1_11target_archE910ELNS1_3gpuE8ELNS1_3repE0EEENS1_59segmented_radix_sort_warp_sort_small_config_static_selectorELNS0_4arch9wavefront6targetE0EEEvSK_: ; @_ZN7rocprim17ROCPRIM_400000_NS6detail17trampoline_kernelINS0_14default_configENS1_36segmented_radix_sort_config_selectorIflEEZNS1_25segmented_radix_sort_implIS3_Lb1EPKfPfPKlPlN2at6native12_GLOBAL__N_18offset_tEEE10hipError_tPvRmT1_PNSt15iterator_traitsISK_E10value_typeET2_T3_PNSL_ISQ_E10value_typeET4_jRbjT5_SW_jjP12ihipStream_tbEUlT_E1_NS1_11comp_targetILNS1_3genE4ELNS1_11target_archE910ELNS1_3gpuE8ELNS1_3repE0EEENS1_59segmented_radix_sort_warp_sort_small_config_static_selectorELNS0_4arch9wavefront6targetE0EEEvSK_
; %bb.0:
	.section	.rodata,"a",@progbits
	.p2align	6, 0x0
	.amdhsa_kernel _ZN7rocprim17ROCPRIM_400000_NS6detail17trampoline_kernelINS0_14default_configENS1_36segmented_radix_sort_config_selectorIflEEZNS1_25segmented_radix_sort_implIS3_Lb1EPKfPfPKlPlN2at6native12_GLOBAL__N_18offset_tEEE10hipError_tPvRmT1_PNSt15iterator_traitsISK_E10value_typeET2_T3_PNSL_ISQ_E10value_typeET4_jRbjT5_SW_jjP12ihipStream_tbEUlT_E1_NS1_11comp_targetILNS1_3genE4ELNS1_11target_archE910ELNS1_3gpuE8ELNS1_3repE0EEENS1_59segmented_radix_sort_warp_sort_small_config_static_selectorELNS0_4arch9wavefront6targetE0EEEvSK_
		.amdhsa_group_segment_fixed_size 0
		.amdhsa_private_segment_fixed_size 0
		.amdhsa_kernarg_size 88
		.amdhsa_user_sgpr_count 2
		.amdhsa_user_sgpr_dispatch_ptr 0
		.amdhsa_user_sgpr_queue_ptr 0
		.amdhsa_user_sgpr_kernarg_segment_ptr 1
		.amdhsa_user_sgpr_dispatch_id 0
		.amdhsa_user_sgpr_kernarg_preload_length 0
		.amdhsa_user_sgpr_kernarg_preload_offset 0
		.amdhsa_user_sgpr_private_segment_size 0
		.amdhsa_wavefront_size32 1
		.amdhsa_uses_dynamic_stack 0
		.amdhsa_enable_private_segment 0
		.amdhsa_system_sgpr_workgroup_id_x 1
		.amdhsa_system_sgpr_workgroup_id_y 0
		.amdhsa_system_sgpr_workgroup_id_z 0
		.amdhsa_system_sgpr_workgroup_info 0
		.amdhsa_system_vgpr_workitem_id 0
		.amdhsa_next_free_vgpr 1
		.amdhsa_next_free_sgpr 1
		.amdhsa_named_barrier_count 0
		.amdhsa_reserve_vcc 0
		.amdhsa_float_round_mode_32 0
		.amdhsa_float_round_mode_16_64 0
		.amdhsa_float_denorm_mode_32 3
		.amdhsa_float_denorm_mode_16_64 3
		.amdhsa_fp16_overflow 0
		.amdhsa_memory_ordered 1
		.amdhsa_forward_progress 1
		.amdhsa_inst_pref_size 0
		.amdhsa_round_robin_scheduling 0
		.amdhsa_exception_fp_ieee_invalid_op 0
		.amdhsa_exception_fp_denorm_src 0
		.amdhsa_exception_fp_ieee_div_zero 0
		.amdhsa_exception_fp_ieee_overflow 0
		.amdhsa_exception_fp_ieee_underflow 0
		.amdhsa_exception_fp_ieee_inexact 0
		.amdhsa_exception_int_div_zero 0
	.end_amdhsa_kernel
	.section	.text._ZN7rocprim17ROCPRIM_400000_NS6detail17trampoline_kernelINS0_14default_configENS1_36segmented_radix_sort_config_selectorIflEEZNS1_25segmented_radix_sort_implIS3_Lb1EPKfPfPKlPlN2at6native12_GLOBAL__N_18offset_tEEE10hipError_tPvRmT1_PNSt15iterator_traitsISK_E10value_typeET2_T3_PNSL_ISQ_E10value_typeET4_jRbjT5_SW_jjP12ihipStream_tbEUlT_E1_NS1_11comp_targetILNS1_3genE4ELNS1_11target_archE910ELNS1_3gpuE8ELNS1_3repE0EEENS1_59segmented_radix_sort_warp_sort_small_config_static_selectorELNS0_4arch9wavefront6targetE0EEEvSK_,"axG",@progbits,_ZN7rocprim17ROCPRIM_400000_NS6detail17trampoline_kernelINS0_14default_configENS1_36segmented_radix_sort_config_selectorIflEEZNS1_25segmented_radix_sort_implIS3_Lb1EPKfPfPKlPlN2at6native12_GLOBAL__N_18offset_tEEE10hipError_tPvRmT1_PNSt15iterator_traitsISK_E10value_typeET2_T3_PNSL_ISQ_E10value_typeET4_jRbjT5_SW_jjP12ihipStream_tbEUlT_E1_NS1_11comp_targetILNS1_3genE4ELNS1_11target_archE910ELNS1_3gpuE8ELNS1_3repE0EEENS1_59segmented_radix_sort_warp_sort_small_config_static_selectorELNS0_4arch9wavefront6targetE0EEEvSK_,comdat
.Lfunc_end1341:
	.size	_ZN7rocprim17ROCPRIM_400000_NS6detail17trampoline_kernelINS0_14default_configENS1_36segmented_radix_sort_config_selectorIflEEZNS1_25segmented_radix_sort_implIS3_Lb1EPKfPfPKlPlN2at6native12_GLOBAL__N_18offset_tEEE10hipError_tPvRmT1_PNSt15iterator_traitsISK_E10value_typeET2_T3_PNSL_ISQ_E10value_typeET4_jRbjT5_SW_jjP12ihipStream_tbEUlT_E1_NS1_11comp_targetILNS1_3genE4ELNS1_11target_archE910ELNS1_3gpuE8ELNS1_3repE0EEENS1_59segmented_radix_sort_warp_sort_small_config_static_selectorELNS0_4arch9wavefront6targetE0EEEvSK_, .Lfunc_end1341-_ZN7rocprim17ROCPRIM_400000_NS6detail17trampoline_kernelINS0_14default_configENS1_36segmented_radix_sort_config_selectorIflEEZNS1_25segmented_radix_sort_implIS3_Lb1EPKfPfPKlPlN2at6native12_GLOBAL__N_18offset_tEEE10hipError_tPvRmT1_PNSt15iterator_traitsISK_E10value_typeET2_T3_PNSL_ISQ_E10value_typeET4_jRbjT5_SW_jjP12ihipStream_tbEUlT_E1_NS1_11comp_targetILNS1_3genE4ELNS1_11target_archE910ELNS1_3gpuE8ELNS1_3repE0EEENS1_59segmented_radix_sort_warp_sort_small_config_static_selectorELNS0_4arch9wavefront6targetE0EEEvSK_
                                        ; -- End function
	.set _ZN7rocprim17ROCPRIM_400000_NS6detail17trampoline_kernelINS0_14default_configENS1_36segmented_radix_sort_config_selectorIflEEZNS1_25segmented_radix_sort_implIS3_Lb1EPKfPfPKlPlN2at6native12_GLOBAL__N_18offset_tEEE10hipError_tPvRmT1_PNSt15iterator_traitsISK_E10value_typeET2_T3_PNSL_ISQ_E10value_typeET4_jRbjT5_SW_jjP12ihipStream_tbEUlT_E1_NS1_11comp_targetILNS1_3genE4ELNS1_11target_archE910ELNS1_3gpuE8ELNS1_3repE0EEENS1_59segmented_radix_sort_warp_sort_small_config_static_selectorELNS0_4arch9wavefront6targetE0EEEvSK_.num_vgpr, 0
	.set _ZN7rocprim17ROCPRIM_400000_NS6detail17trampoline_kernelINS0_14default_configENS1_36segmented_radix_sort_config_selectorIflEEZNS1_25segmented_radix_sort_implIS3_Lb1EPKfPfPKlPlN2at6native12_GLOBAL__N_18offset_tEEE10hipError_tPvRmT1_PNSt15iterator_traitsISK_E10value_typeET2_T3_PNSL_ISQ_E10value_typeET4_jRbjT5_SW_jjP12ihipStream_tbEUlT_E1_NS1_11comp_targetILNS1_3genE4ELNS1_11target_archE910ELNS1_3gpuE8ELNS1_3repE0EEENS1_59segmented_radix_sort_warp_sort_small_config_static_selectorELNS0_4arch9wavefront6targetE0EEEvSK_.num_agpr, 0
	.set _ZN7rocprim17ROCPRIM_400000_NS6detail17trampoline_kernelINS0_14default_configENS1_36segmented_radix_sort_config_selectorIflEEZNS1_25segmented_radix_sort_implIS3_Lb1EPKfPfPKlPlN2at6native12_GLOBAL__N_18offset_tEEE10hipError_tPvRmT1_PNSt15iterator_traitsISK_E10value_typeET2_T3_PNSL_ISQ_E10value_typeET4_jRbjT5_SW_jjP12ihipStream_tbEUlT_E1_NS1_11comp_targetILNS1_3genE4ELNS1_11target_archE910ELNS1_3gpuE8ELNS1_3repE0EEENS1_59segmented_radix_sort_warp_sort_small_config_static_selectorELNS0_4arch9wavefront6targetE0EEEvSK_.numbered_sgpr, 0
	.set _ZN7rocprim17ROCPRIM_400000_NS6detail17trampoline_kernelINS0_14default_configENS1_36segmented_radix_sort_config_selectorIflEEZNS1_25segmented_radix_sort_implIS3_Lb1EPKfPfPKlPlN2at6native12_GLOBAL__N_18offset_tEEE10hipError_tPvRmT1_PNSt15iterator_traitsISK_E10value_typeET2_T3_PNSL_ISQ_E10value_typeET4_jRbjT5_SW_jjP12ihipStream_tbEUlT_E1_NS1_11comp_targetILNS1_3genE4ELNS1_11target_archE910ELNS1_3gpuE8ELNS1_3repE0EEENS1_59segmented_radix_sort_warp_sort_small_config_static_selectorELNS0_4arch9wavefront6targetE0EEEvSK_.num_named_barrier, 0
	.set _ZN7rocprim17ROCPRIM_400000_NS6detail17trampoline_kernelINS0_14default_configENS1_36segmented_radix_sort_config_selectorIflEEZNS1_25segmented_radix_sort_implIS3_Lb1EPKfPfPKlPlN2at6native12_GLOBAL__N_18offset_tEEE10hipError_tPvRmT1_PNSt15iterator_traitsISK_E10value_typeET2_T3_PNSL_ISQ_E10value_typeET4_jRbjT5_SW_jjP12ihipStream_tbEUlT_E1_NS1_11comp_targetILNS1_3genE4ELNS1_11target_archE910ELNS1_3gpuE8ELNS1_3repE0EEENS1_59segmented_radix_sort_warp_sort_small_config_static_selectorELNS0_4arch9wavefront6targetE0EEEvSK_.private_seg_size, 0
	.set _ZN7rocprim17ROCPRIM_400000_NS6detail17trampoline_kernelINS0_14default_configENS1_36segmented_radix_sort_config_selectorIflEEZNS1_25segmented_radix_sort_implIS3_Lb1EPKfPfPKlPlN2at6native12_GLOBAL__N_18offset_tEEE10hipError_tPvRmT1_PNSt15iterator_traitsISK_E10value_typeET2_T3_PNSL_ISQ_E10value_typeET4_jRbjT5_SW_jjP12ihipStream_tbEUlT_E1_NS1_11comp_targetILNS1_3genE4ELNS1_11target_archE910ELNS1_3gpuE8ELNS1_3repE0EEENS1_59segmented_radix_sort_warp_sort_small_config_static_selectorELNS0_4arch9wavefront6targetE0EEEvSK_.uses_vcc, 0
	.set _ZN7rocprim17ROCPRIM_400000_NS6detail17trampoline_kernelINS0_14default_configENS1_36segmented_radix_sort_config_selectorIflEEZNS1_25segmented_radix_sort_implIS3_Lb1EPKfPfPKlPlN2at6native12_GLOBAL__N_18offset_tEEE10hipError_tPvRmT1_PNSt15iterator_traitsISK_E10value_typeET2_T3_PNSL_ISQ_E10value_typeET4_jRbjT5_SW_jjP12ihipStream_tbEUlT_E1_NS1_11comp_targetILNS1_3genE4ELNS1_11target_archE910ELNS1_3gpuE8ELNS1_3repE0EEENS1_59segmented_radix_sort_warp_sort_small_config_static_selectorELNS0_4arch9wavefront6targetE0EEEvSK_.uses_flat_scratch, 0
	.set _ZN7rocprim17ROCPRIM_400000_NS6detail17trampoline_kernelINS0_14default_configENS1_36segmented_radix_sort_config_selectorIflEEZNS1_25segmented_radix_sort_implIS3_Lb1EPKfPfPKlPlN2at6native12_GLOBAL__N_18offset_tEEE10hipError_tPvRmT1_PNSt15iterator_traitsISK_E10value_typeET2_T3_PNSL_ISQ_E10value_typeET4_jRbjT5_SW_jjP12ihipStream_tbEUlT_E1_NS1_11comp_targetILNS1_3genE4ELNS1_11target_archE910ELNS1_3gpuE8ELNS1_3repE0EEENS1_59segmented_radix_sort_warp_sort_small_config_static_selectorELNS0_4arch9wavefront6targetE0EEEvSK_.has_dyn_sized_stack, 0
	.set _ZN7rocprim17ROCPRIM_400000_NS6detail17trampoline_kernelINS0_14default_configENS1_36segmented_radix_sort_config_selectorIflEEZNS1_25segmented_radix_sort_implIS3_Lb1EPKfPfPKlPlN2at6native12_GLOBAL__N_18offset_tEEE10hipError_tPvRmT1_PNSt15iterator_traitsISK_E10value_typeET2_T3_PNSL_ISQ_E10value_typeET4_jRbjT5_SW_jjP12ihipStream_tbEUlT_E1_NS1_11comp_targetILNS1_3genE4ELNS1_11target_archE910ELNS1_3gpuE8ELNS1_3repE0EEENS1_59segmented_radix_sort_warp_sort_small_config_static_selectorELNS0_4arch9wavefront6targetE0EEEvSK_.has_recursion, 0
	.set _ZN7rocprim17ROCPRIM_400000_NS6detail17trampoline_kernelINS0_14default_configENS1_36segmented_radix_sort_config_selectorIflEEZNS1_25segmented_radix_sort_implIS3_Lb1EPKfPfPKlPlN2at6native12_GLOBAL__N_18offset_tEEE10hipError_tPvRmT1_PNSt15iterator_traitsISK_E10value_typeET2_T3_PNSL_ISQ_E10value_typeET4_jRbjT5_SW_jjP12ihipStream_tbEUlT_E1_NS1_11comp_targetILNS1_3genE4ELNS1_11target_archE910ELNS1_3gpuE8ELNS1_3repE0EEENS1_59segmented_radix_sort_warp_sort_small_config_static_selectorELNS0_4arch9wavefront6targetE0EEEvSK_.has_indirect_call, 0
	.section	.AMDGPU.csdata,"",@progbits
; Kernel info:
; codeLenInByte = 0
; TotalNumSgprs: 0
; NumVgprs: 0
; ScratchSize: 0
; MemoryBound: 0
; FloatMode: 240
; IeeeMode: 1
; LDSByteSize: 0 bytes/workgroup (compile time only)
; SGPRBlocks: 0
; VGPRBlocks: 0
; NumSGPRsForWavesPerEU: 1
; NumVGPRsForWavesPerEU: 1
; NamedBarCnt: 0
; Occupancy: 16
; WaveLimiterHint : 0
; COMPUTE_PGM_RSRC2:SCRATCH_EN: 0
; COMPUTE_PGM_RSRC2:USER_SGPR: 2
; COMPUTE_PGM_RSRC2:TRAP_HANDLER: 0
; COMPUTE_PGM_RSRC2:TGID_X_EN: 1
; COMPUTE_PGM_RSRC2:TGID_Y_EN: 0
; COMPUTE_PGM_RSRC2:TGID_Z_EN: 0
; COMPUTE_PGM_RSRC2:TIDIG_COMP_CNT: 0
	.section	.text._ZN7rocprim17ROCPRIM_400000_NS6detail17trampoline_kernelINS0_14default_configENS1_36segmented_radix_sort_config_selectorIflEEZNS1_25segmented_radix_sort_implIS3_Lb1EPKfPfPKlPlN2at6native12_GLOBAL__N_18offset_tEEE10hipError_tPvRmT1_PNSt15iterator_traitsISK_E10value_typeET2_T3_PNSL_ISQ_E10value_typeET4_jRbjT5_SW_jjP12ihipStream_tbEUlT_E1_NS1_11comp_targetILNS1_3genE3ELNS1_11target_archE908ELNS1_3gpuE7ELNS1_3repE0EEENS1_59segmented_radix_sort_warp_sort_small_config_static_selectorELNS0_4arch9wavefront6targetE0EEEvSK_,"axG",@progbits,_ZN7rocprim17ROCPRIM_400000_NS6detail17trampoline_kernelINS0_14default_configENS1_36segmented_radix_sort_config_selectorIflEEZNS1_25segmented_radix_sort_implIS3_Lb1EPKfPfPKlPlN2at6native12_GLOBAL__N_18offset_tEEE10hipError_tPvRmT1_PNSt15iterator_traitsISK_E10value_typeET2_T3_PNSL_ISQ_E10value_typeET4_jRbjT5_SW_jjP12ihipStream_tbEUlT_E1_NS1_11comp_targetILNS1_3genE3ELNS1_11target_archE908ELNS1_3gpuE7ELNS1_3repE0EEENS1_59segmented_radix_sort_warp_sort_small_config_static_selectorELNS0_4arch9wavefront6targetE0EEEvSK_,comdat
	.globl	_ZN7rocprim17ROCPRIM_400000_NS6detail17trampoline_kernelINS0_14default_configENS1_36segmented_radix_sort_config_selectorIflEEZNS1_25segmented_radix_sort_implIS3_Lb1EPKfPfPKlPlN2at6native12_GLOBAL__N_18offset_tEEE10hipError_tPvRmT1_PNSt15iterator_traitsISK_E10value_typeET2_T3_PNSL_ISQ_E10value_typeET4_jRbjT5_SW_jjP12ihipStream_tbEUlT_E1_NS1_11comp_targetILNS1_3genE3ELNS1_11target_archE908ELNS1_3gpuE7ELNS1_3repE0EEENS1_59segmented_radix_sort_warp_sort_small_config_static_selectorELNS0_4arch9wavefront6targetE0EEEvSK_ ; -- Begin function _ZN7rocprim17ROCPRIM_400000_NS6detail17trampoline_kernelINS0_14default_configENS1_36segmented_radix_sort_config_selectorIflEEZNS1_25segmented_radix_sort_implIS3_Lb1EPKfPfPKlPlN2at6native12_GLOBAL__N_18offset_tEEE10hipError_tPvRmT1_PNSt15iterator_traitsISK_E10value_typeET2_T3_PNSL_ISQ_E10value_typeET4_jRbjT5_SW_jjP12ihipStream_tbEUlT_E1_NS1_11comp_targetILNS1_3genE3ELNS1_11target_archE908ELNS1_3gpuE7ELNS1_3repE0EEENS1_59segmented_radix_sort_warp_sort_small_config_static_selectorELNS0_4arch9wavefront6targetE0EEEvSK_
	.p2align	8
	.type	_ZN7rocprim17ROCPRIM_400000_NS6detail17trampoline_kernelINS0_14default_configENS1_36segmented_radix_sort_config_selectorIflEEZNS1_25segmented_radix_sort_implIS3_Lb1EPKfPfPKlPlN2at6native12_GLOBAL__N_18offset_tEEE10hipError_tPvRmT1_PNSt15iterator_traitsISK_E10value_typeET2_T3_PNSL_ISQ_E10value_typeET4_jRbjT5_SW_jjP12ihipStream_tbEUlT_E1_NS1_11comp_targetILNS1_3genE3ELNS1_11target_archE908ELNS1_3gpuE7ELNS1_3repE0EEENS1_59segmented_radix_sort_warp_sort_small_config_static_selectorELNS0_4arch9wavefront6targetE0EEEvSK_,@function
_ZN7rocprim17ROCPRIM_400000_NS6detail17trampoline_kernelINS0_14default_configENS1_36segmented_radix_sort_config_selectorIflEEZNS1_25segmented_radix_sort_implIS3_Lb1EPKfPfPKlPlN2at6native12_GLOBAL__N_18offset_tEEE10hipError_tPvRmT1_PNSt15iterator_traitsISK_E10value_typeET2_T3_PNSL_ISQ_E10value_typeET4_jRbjT5_SW_jjP12ihipStream_tbEUlT_E1_NS1_11comp_targetILNS1_3genE3ELNS1_11target_archE908ELNS1_3gpuE7ELNS1_3repE0EEENS1_59segmented_radix_sort_warp_sort_small_config_static_selectorELNS0_4arch9wavefront6targetE0EEEvSK_: ; @_ZN7rocprim17ROCPRIM_400000_NS6detail17trampoline_kernelINS0_14default_configENS1_36segmented_radix_sort_config_selectorIflEEZNS1_25segmented_radix_sort_implIS3_Lb1EPKfPfPKlPlN2at6native12_GLOBAL__N_18offset_tEEE10hipError_tPvRmT1_PNSt15iterator_traitsISK_E10value_typeET2_T3_PNSL_ISQ_E10value_typeET4_jRbjT5_SW_jjP12ihipStream_tbEUlT_E1_NS1_11comp_targetILNS1_3genE3ELNS1_11target_archE908ELNS1_3gpuE7ELNS1_3repE0EEENS1_59segmented_radix_sort_warp_sort_small_config_static_selectorELNS0_4arch9wavefront6targetE0EEEvSK_
; %bb.0:
	.section	.rodata,"a",@progbits
	.p2align	6, 0x0
	.amdhsa_kernel _ZN7rocprim17ROCPRIM_400000_NS6detail17trampoline_kernelINS0_14default_configENS1_36segmented_radix_sort_config_selectorIflEEZNS1_25segmented_radix_sort_implIS3_Lb1EPKfPfPKlPlN2at6native12_GLOBAL__N_18offset_tEEE10hipError_tPvRmT1_PNSt15iterator_traitsISK_E10value_typeET2_T3_PNSL_ISQ_E10value_typeET4_jRbjT5_SW_jjP12ihipStream_tbEUlT_E1_NS1_11comp_targetILNS1_3genE3ELNS1_11target_archE908ELNS1_3gpuE7ELNS1_3repE0EEENS1_59segmented_radix_sort_warp_sort_small_config_static_selectorELNS0_4arch9wavefront6targetE0EEEvSK_
		.amdhsa_group_segment_fixed_size 0
		.amdhsa_private_segment_fixed_size 0
		.amdhsa_kernarg_size 88
		.amdhsa_user_sgpr_count 2
		.amdhsa_user_sgpr_dispatch_ptr 0
		.amdhsa_user_sgpr_queue_ptr 0
		.amdhsa_user_sgpr_kernarg_segment_ptr 1
		.amdhsa_user_sgpr_dispatch_id 0
		.amdhsa_user_sgpr_kernarg_preload_length 0
		.amdhsa_user_sgpr_kernarg_preload_offset 0
		.amdhsa_user_sgpr_private_segment_size 0
		.amdhsa_wavefront_size32 1
		.amdhsa_uses_dynamic_stack 0
		.amdhsa_enable_private_segment 0
		.amdhsa_system_sgpr_workgroup_id_x 1
		.amdhsa_system_sgpr_workgroup_id_y 0
		.amdhsa_system_sgpr_workgroup_id_z 0
		.amdhsa_system_sgpr_workgroup_info 0
		.amdhsa_system_vgpr_workitem_id 0
		.amdhsa_next_free_vgpr 1
		.amdhsa_next_free_sgpr 1
		.amdhsa_named_barrier_count 0
		.amdhsa_reserve_vcc 0
		.amdhsa_float_round_mode_32 0
		.amdhsa_float_round_mode_16_64 0
		.amdhsa_float_denorm_mode_32 3
		.amdhsa_float_denorm_mode_16_64 3
		.amdhsa_fp16_overflow 0
		.amdhsa_memory_ordered 1
		.amdhsa_forward_progress 1
		.amdhsa_inst_pref_size 0
		.amdhsa_round_robin_scheduling 0
		.amdhsa_exception_fp_ieee_invalid_op 0
		.amdhsa_exception_fp_denorm_src 0
		.amdhsa_exception_fp_ieee_div_zero 0
		.amdhsa_exception_fp_ieee_overflow 0
		.amdhsa_exception_fp_ieee_underflow 0
		.amdhsa_exception_fp_ieee_inexact 0
		.amdhsa_exception_int_div_zero 0
	.end_amdhsa_kernel
	.section	.text._ZN7rocprim17ROCPRIM_400000_NS6detail17trampoline_kernelINS0_14default_configENS1_36segmented_radix_sort_config_selectorIflEEZNS1_25segmented_radix_sort_implIS3_Lb1EPKfPfPKlPlN2at6native12_GLOBAL__N_18offset_tEEE10hipError_tPvRmT1_PNSt15iterator_traitsISK_E10value_typeET2_T3_PNSL_ISQ_E10value_typeET4_jRbjT5_SW_jjP12ihipStream_tbEUlT_E1_NS1_11comp_targetILNS1_3genE3ELNS1_11target_archE908ELNS1_3gpuE7ELNS1_3repE0EEENS1_59segmented_radix_sort_warp_sort_small_config_static_selectorELNS0_4arch9wavefront6targetE0EEEvSK_,"axG",@progbits,_ZN7rocprim17ROCPRIM_400000_NS6detail17trampoline_kernelINS0_14default_configENS1_36segmented_radix_sort_config_selectorIflEEZNS1_25segmented_radix_sort_implIS3_Lb1EPKfPfPKlPlN2at6native12_GLOBAL__N_18offset_tEEE10hipError_tPvRmT1_PNSt15iterator_traitsISK_E10value_typeET2_T3_PNSL_ISQ_E10value_typeET4_jRbjT5_SW_jjP12ihipStream_tbEUlT_E1_NS1_11comp_targetILNS1_3genE3ELNS1_11target_archE908ELNS1_3gpuE7ELNS1_3repE0EEENS1_59segmented_radix_sort_warp_sort_small_config_static_selectorELNS0_4arch9wavefront6targetE0EEEvSK_,comdat
.Lfunc_end1342:
	.size	_ZN7rocprim17ROCPRIM_400000_NS6detail17trampoline_kernelINS0_14default_configENS1_36segmented_radix_sort_config_selectorIflEEZNS1_25segmented_radix_sort_implIS3_Lb1EPKfPfPKlPlN2at6native12_GLOBAL__N_18offset_tEEE10hipError_tPvRmT1_PNSt15iterator_traitsISK_E10value_typeET2_T3_PNSL_ISQ_E10value_typeET4_jRbjT5_SW_jjP12ihipStream_tbEUlT_E1_NS1_11comp_targetILNS1_3genE3ELNS1_11target_archE908ELNS1_3gpuE7ELNS1_3repE0EEENS1_59segmented_radix_sort_warp_sort_small_config_static_selectorELNS0_4arch9wavefront6targetE0EEEvSK_, .Lfunc_end1342-_ZN7rocprim17ROCPRIM_400000_NS6detail17trampoline_kernelINS0_14default_configENS1_36segmented_radix_sort_config_selectorIflEEZNS1_25segmented_radix_sort_implIS3_Lb1EPKfPfPKlPlN2at6native12_GLOBAL__N_18offset_tEEE10hipError_tPvRmT1_PNSt15iterator_traitsISK_E10value_typeET2_T3_PNSL_ISQ_E10value_typeET4_jRbjT5_SW_jjP12ihipStream_tbEUlT_E1_NS1_11comp_targetILNS1_3genE3ELNS1_11target_archE908ELNS1_3gpuE7ELNS1_3repE0EEENS1_59segmented_radix_sort_warp_sort_small_config_static_selectorELNS0_4arch9wavefront6targetE0EEEvSK_
                                        ; -- End function
	.set _ZN7rocprim17ROCPRIM_400000_NS6detail17trampoline_kernelINS0_14default_configENS1_36segmented_radix_sort_config_selectorIflEEZNS1_25segmented_radix_sort_implIS3_Lb1EPKfPfPKlPlN2at6native12_GLOBAL__N_18offset_tEEE10hipError_tPvRmT1_PNSt15iterator_traitsISK_E10value_typeET2_T3_PNSL_ISQ_E10value_typeET4_jRbjT5_SW_jjP12ihipStream_tbEUlT_E1_NS1_11comp_targetILNS1_3genE3ELNS1_11target_archE908ELNS1_3gpuE7ELNS1_3repE0EEENS1_59segmented_radix_sort_warp_sort_small_config_static_selectorELNS0_4arch9wavefront6targetE0EEEvSK_.num_vgpr, 0
	.set _ZN7rocprim17ROCPRIM_400000_NS6detail17trampoline_kernelINS0_14default_configENS1_36segmented_radix_sort_config_selectorIflEEZNS1_25segmented_radix_sort_implIS3_Lb1EPKfPfPKlPlN2at6native12_GLOBAL__N_18offset_tEEE10hipError_tPvRmT1_PNSt15iterator_traitsISK_E10value_typeET2_T3_PNSL_ISQ_E10value_typeET4_jRbjT5_SW_jjP12ihipStream_tbEUlT_E1_NS1_11comp_targetILNS1_3genE3ELNS1_11target_archE908ELNS1_3gpuE7ELNS1_3repE0EEENS1_59segmented_radix_sort_warp_sort_small_config_static_selectorELNS0_4arch9wavefront6targetE0EEEvSK_.num_agpr, 0
	.set _ZN7rocprim17ROCPRIM_400000_NS6detail17trampoline_kernelINS0_14default_configENS1_36segmented_radix_sort_config_selectorIflEEZNS1_25segmented_radix_sort_implIS3_Lb1EPKfPfPKlPlN2at6native12_GLOBAL__N_18offset_tEEE10hipError_tPvRmT1_PNSt15iterator_traitsISK_E10value_typeET2_T3_PNSL_ISQ_E10value_typeET4_jRbjT5_SW_jjP12ihipStream_tbEUlT_E1_NS1_11comp_targetILNS1_3genE3ELNS1_11target_archE908ELNS1_3gpuE7ELNS1_3repE0EEENS1_59segmented_radix_sort_warp_sort_small_config_static_selectorELNS0_4arch9wavefront6targetE0EEEvSK_.numbered_sgpr, 0
	.set _ZN7rocprim17ROCPRIM_400000_NS6detail17trampoline_kernelINS0_14default_configENS1_36segmented_radix_sort_config_selectorIflEEZNS1_25segmented_radix_sort_implIS3_Lb1EPKfPfPKlPlN2at6native12_GLOBAL__N_18offset_tEEE10hipError_tPvRmT1_PNSt15iterator_traitsISK_E10value_typeET2_T3_PNSL_ISQ_E10value_typeET4_jRbjT5_SW_jjP12ihipStream_tbEUlT_E1_NS1_11comp_targetILNS1_3genE3ELNS1_11target_archE908ELNS1_3gpuE7ELNS1_3repE0EEENS1_59segmented_radix_sort_warp_sort_small_config_static_selectorELNS0_4arch9wavefront6targetE0EEEvSK_.num_named_barrier, 0
	.set _ZN7rocprim17ROCPRIM_400000_NS6detail17trampoline_kernelINS0_14default_configENS1_36segmented_radix_sort_config_selectorIflEEZNS1_25segmented_radix_sort_implIS3_Lb1EPKfPfPKlPlN2at6native12_GLOBAL__N_18offset_tEEE10hipError_tPvRmT1_PNSt15iterator_traitsISK_E10value_typeET2_T3_PNSL_ISQ_E10value_typeET4_jRbjT5_SW_jjP12ihipStream_tbEUlT_E1_NS1_11comp_targetILNS1_3genE3ELNS1_11target_archE908ELNS1_3gpuE7ELNS1_3repE0EEENS1_59segmented_radix_sort_warp_sort_small_config_static_selectorELNS0_4arch9wavefront6targetE0EEEvSK_.private_seg_size, 0
	.set _ZN7rocprim17ROCPRIM_400000_NS6detail17trampoline_kernelINS0_14default_configENS1_36segmented_radix_sort_config_selectorIflEEZNS1_25segmented_radix_sort_implIS3_Lb1EPKfPfPKlPlN2at6native12_GLOBAL__N_18offset_tEEE10hipError_tPvRmT1_PNSt15iterator_traitsISK_E10value_typeET2_T3_PNSL_ISQ_E10value_typeET4_jRbjT5_SW_jjP12ihipStream_tbEUlT_E1_NS1_11comp_targetILNS1_3genE3ELNS1_11target_archE908ELNS1_3gpuE7ELNS1_3repE0EEENS1_59segmented_radix_sort_warp_sort_small_config_static_selectorELNS0_4arch9wavefront6targetE0EEEvSK_.uses_vcc, 0
	.set _ZN7rocprim17ROCPRIM_400000_NS6detail17trampoline_kernelINS0_14default_configENS1_36segmented_radix_sort_config_selectorIflEEZNS1_25segmented_radix_sort_implIS3_Lb1EPKfPfPKlPlN2at6native12_GLOBAL__N_18offset_tEEE10hipError_tPvRmT1_PNSt15iterator_traitsISK_E10value_typeET2_T3_PNSL_ISQ_E10value_typeET4_jRbjT5_SW_jjP12ihipStream_tbEUlT_E1_NS1_11comp_targetILNS1_3genE3ELNS1_11target_archE908ELNS1_3gpuE7ELNS1_3repE0EEENS1_59segmented_radix_sort_warp_sort_small_config_static_selectorELNS0_4arch9wavefront6targetE0EEEvSK_.uses_flat_scratch, 0
	.set _ZN7rocprim17ROCPRIM_400000_NS6detail17trampoline_kernelINS0_14default_configENS1_36segmented_radix_sort_config_selectorIflEEZNS1_25segmented_radix_sort_implIS3_Lb1EPKfPfPKlPlN2at6native12_GLOBAL__N_18offset_tEEE10hipError_tPvRmT1_PNSt15iterator_traitsISK_E10value_typeET2_T3_PNSL_ISQ_E10value_typeET4_jRbjT5_SW_jjP12ihipStream_tbEUlT_E1_NS1_11comp_targetILNS1_3genE3ELNS1_11target_archE908ELNS1_3gpuE7ELNS1_3repE0EEENS1_59segmented_radix_sort_warp_sort_small_config_static_selectorELNS0_4arch9wavefront6targetE0EEEvSK_.has_dyn_sized_stack, 0
	.set _ZN7rocprim17ROCPRIM_400000_NS6detail17trampoline_kernelINS0_14default_configENS1_36segmented_radix_sort_config_selectorIflEEZNS1_25segmented_radix_sort_implIS3_Lb1EPKfPfPKlPlN2at6native12_GLOBAL__N_18offset_tEEE10hipError_tPvRmT1_PNSt15iterator_traitsISK_E10value_typeET2_T3_PNSL_ISQ_E10value_typeET4_jRbjT5_SW_jjP12ihipStream_tbEUlT_E1_NS1_11comp_targetILNS1_3genE3ELNS1_11target_archE908ELNS1_3gpuE7ELNS1_3repE0EEENS1_59segmented_radix_sort_warp_sort_small_config_static_selectorELNS0_4arch9wavefront6targetE0EEEvSK_.has_recursion, 0
	.set _ZN7rocprim17ROCPRIM_400000_NS6detail17trampoline_kernelINS0_14default_configENS1_36segmented_radix_sort_config_selectorIflEEZNS1_25segmented_radix_sort_implIS3_Lb1EPKfPfPKlPlN2at6native12_GLOBAL__N_18offset_tEEE10hipError_tPvRmT1_PNSt15iterator_traitsISK_E10value_typeET2_T3_PNSL_ISQ_E10value_typeET4_jRbjT5_SW_jjP12ihipStream_tbEUlT_E1_NS1_11comp_targetILNS1_3genE3ELNS1_11target_archE908ELNS1_3gpuE7ELNS1_3repE0EEENS1_59segmented_radix_sort_warp_sort_small_config_static_selectorELNS0_4arch9wavefront6targetE0EEEvSK_.has_indirect_call, 0
	.section	.AMDGPU.csdata,"",@progbits
; Kernel info:
; codeLenInByte = 0
; TotalNumSgprs: 0
; NumVgprs: 0
; ScratchSize: 0
; MemoryBound: 0
; FloatMode: 240
; IeeeMode: 1
; LDSByteSize: 0 bytes/workgroup (compile time only)
; SGPRBlocks: 0
; VGPRBlocks: 0
; NumSGPRsForWavesPerEU: 1
; NumVGPRsForWavesPerEU: 1
; NamedBarCnt: 0
; Occupancy: 16
; WaveLimiterHint : 0
; COMPUTE_PGM_RSRC2:SCRATCH_EN: 0
; COMPUTE_PGM_RSRC2:USER_SGPR: 2
; COMPUTE_PGM_RSRC2:TRAP_HANDLER: 0
; COMPUTE_PGM_RSRC2:TGID_X_EN: 1
; COMPUTE_PGM_RSRC2:TGID_Y_EN: 0
; COMPUTE_PGM_RSRC2:TGID_Z_EN: 0
; COMPUTE_PGM_RSRC2:TIDIG_COMP_CNT: 0
	.section	.text._ZN7rocprim17ROCPRIM_400000_NS6detail17trampoline_kernelINS0_14default_configENS1_36segmented_radix_sort_config_selectorIflEEZNS1_25segmented_radix_sort_implIS3_Lb1EPKfPfPKlPlN2at6native12_GLOBAL__N_18offset_tEEE10hipError_tPvRmT1_PNSt15iterator_traitsISK_E10value_typeET2_T3_PNSL_ISQ_E10value_typeET4_jRbjT5_SW_jjP12ihipStream_tbEUlT_E1_NS1_11comp_targetILNS1_3genE2ELNS1_11target_archE906ELNS1_3gpuE6ELNS1_3repE0EEENS1_59segmented_radix_sort_warp_sort_small_config_static_selectorELNS0_4arch9wavefront6targetE0EEEvSK_,"axG",@progbits,_ZN7rocprim17ROCPRIM_400000_NS6detail17trampoline_kernelINS0_14default_configENS1_36segmented_radix_sort_config_selectorIflEEZNS1_25segmented_radix_sort_implIS3_Lb1EPKfPfPKlPlN2at6native12_GLOBAL__N_18offset_tEEE10hipError_tPvRmT1_PNSt15iterator_traitsISK_E10value_typeET2_T3_PNSL_ISQ_E10value_typeET4_jRbjT5_SW_jjP12ihipStream_tbEUlT_E1_NS1_11comp_targetILNS1_3genE2ELNS1_11target_archE906ELNS1_3gpuE6ELNS1_3repE0EEENS1_59segmented_radix_sort_warp_sort_small_config_static_selectorELNS0_4arch9wavefront6targetE0EEEvSK_,comdat
	.globl	_ZN7rocprim17ROCPRIM_400000_NS6detail17trampoline_kernelINS0_14default_configENS1_36segmented_radix_sort_config_selectorIflEEZNS1_25segmented_radix_sort_implIS3_Lb1EPKfPfPKlPlN2at6native12_GLOBAL__N_18offset_tEEE10hipError_tPvRmT1_PNSt15iterator_traitsISK_E10value_typeET2_T3_PNSL_ISQ_E10value_typeET4_jRbjT5_SW_jjP12ihipStream_tbEUlT_E1_NS1_11comp_targetILNS1_3genE2ELNS1_11target_archE906ELNS1_3gpuE6ELNS1_3repE0EEENS1_59segmented_radix_sort_warp_sort_small_config_static_selectorELNS0_4arch9wavefront6targetE0EEEvSK_ ; -- Begin function _ZN7rocprim17ROCPRIM_400000_NS6detail17trampoline_kernelINS0_14default_configENS1_36segmented_radix_sort_config_selectorIflEEZNS1_25segmented_radix_sort_implIS3_Lb1EPKfPfPKlPlN2at6native12_GLOBAL__N_18offset_tEEE10hipError_tPvRmT1_PNSt15iterator_traitsISK_E10value_typeET2_T3_PNSL_ISQ_E10value_typeET4_jRbjT5_SW_jjP12ihipStream_tbEUlT_E1_NS1_11comp_targetILNS1_3genE2ELNS1_11target_archE906ELNS1_3gpuE6ELNS1_3repE0EEENS1_59segmented_radix_sort_warp_sort_small_config_static_selectorELNS0_4arch9wavefront6targetE0EEEvSK_
	.p2align	8
	.type	_ZN7rocprim17ROCPRIM_400000_NS6detail17trampoline_kernelINS0_14default_configENS1_36segmented_radix_sort_config_selectorIflEEZNS1_25segmented_radix_sort_implIS3_Lb1EPKfPfPKlPlN2at6native12_GLOBAL__N_18offset_tEEE10hipError_tPvRmT1_PNSt15iterator_traitsISK_E10value_typeET2_T3_PNSL_ISQ_E10value_typeET4_jRbjT5_SW_jjP12ihipStream_tbEUlT_E1_NS1_11comp_targetILNS1_3genE2ELNS1_11target_archE906ELNS1_3gpuE6ELNS1_3repE0EEENS1_59segmented_radix_sort_warp_sort_small_config_static_selectorELNS0_4arch9wavefront6targetE0EEEvSK_,@function
_ZN7rocprim17ROCPRIM_400000_NS6detail17trampoline_kernelINS0_14default_configENS1_36segmented_radix_sort_config_selectorIflEEZNS1_25segmented_radix_sort_implIS3_Lb1EPKfPfPKlPlN2at6native12_GLOBAL__N_18offset_tEEE10hipError_tPvRmT1_PNSt15iterator_traitsISK_E10value_typeET2_T3_PNSL_ISQ_E10value_typeET4_jRbjT5_SW_jjP12ihipStream_tbEUlT_E1_NS1_11comp_targetILNS1_3genE2ELNS1_11target_archE906ELNS1_3gpuE6ELNS1_3repE0EEENS1_59segmented_radix_sort_warp_sort_small_config_static_selectorELNS0_4arch9wavefront6targetE0EEEvSK_: ; @_ZN7rocprim17ROCPRIM_400000_NS6detail17trampoline_kernelINS0_14default_configENS1_36segmented_radix_sort_config_selectorIflEEZNS1_25segmented_radix_sort_implIS3_Lb1EPKfPfPKlPlN2at6native12_GLOBAL__N_18offset_tEEE10hipError_tPvRmT1_PNSt15iterator_traitsISK_E10value_typeET2_T3_PNSL_ISQ_E10value_typeET4_jRbjT5_SW_jjP12ihipStream_tbEUlT_E1_NS1_11comp_targetILNS1_3genE2ELNS1_11target_archE906ELNS1_3gpuE6ELNS1_3repE0EEENS1_59segmented_radix_sort_warp_sort_small_config_static_selectorELNS0_4arch9wavefront6targetE0EEEvSK_
; %bb.0:
	.section	.rodata,"a",@progbits
	.p2align	6, 0x0
	.amdhsa_kernel _ZN7rocprim17ROCPRIM_400000_NS6detail17trampoline_kernelINS0_14default_configENS1_36segmented_radix_sort_config_selectorIflEEZNS1_25segmented_radix_sort_implIS3_Lb1EPKfPfPKlPlN2at6native12_GLOBAL__N_18offset_tEEE10hipError_tPvRmT1_PNSt15iterator_traitsISK_E10value_typeET2_T3_PNSL_ISQ_E10value_typeET4_jRbjT5_SW_jjP12ihipStream_tbEUlT_E1_NS1_11comp_targetILNS1_3genE2ELNS1_11target_archE906ELNS1_3gpuE6ELNS1_3repE0EEENS1_59segmented_radix_sort_warp_sort_small_config_static_selectorELNS0_4arch9wavefront6targetE0EEEvSK_
		.amdhsa_group_segment_fixed_size 0
		.amdhsa_private_segment_fixed_size 0
		.amdhsa_kernarg_size 88
		.amdhsa_user_sgpr_count 2
		.amdhsa_user_sgpr_dispatch_ptr 0
		.amdhsa_user_sgpr_queue_ptr 0
		.amdhsa_user_sgpr_kernarg_segment_ptr 1
		.amdhsa_user_sgpr_dispatch_id 0
		.amdhsa_user_sgpr_kernarg_preload_length 0
		.amdhsa_user_sgpr_kernarg_preload_offset 0
		.amdhsa_user_sgpr_private_segment_size 0
		.amdhsa_wavefront_size32 1
		.amdhsa_uses_dynamic_stack 0
		.amdhsa_enable_private_segment 0
		.amdhsa_system_sgpr_workgroup_id_x 1
		.amdhsa_system_sgpr_workgroup_id_y 0
		.amdhsa_system_sgpr_workgroup_id_z 0
		.amdhsa_system_sgpr_workgroup_info 0
		.amdhsa_system_vgpr_workitem_id 0
		.amdhsa_next_free_vgpr 1
		.amdhsa_next_free_sgpr 1
		.amdhsa_named_barrier_count 0
		.amdhsa_reserve_vcc 0
		.amdhsa_float_round_mode_32 0
		.amdhsa_float_round_mode_16_64 0
		.amdhsa_float_denorm_mode_32 3
		.amdhsa_float_denorm_mode_16_64 3
		.amdhsa_fp16_overflow 0
		.amdhsa_memory_ordered 1
		.amdhsa_forward_progress 1
		.amdhsa_inst_pref_size 0
		.amdhsa_round_robin_scheduling 0
		.amdhsa_exception_fp_ieee_invalid_op 0
		.amdhsa_exception_fp_denorm_src 0
		.amdhsa_exception_fp_ieee_div_zero 0
		.amdhsa_exception_fp_ieee_overflow 0
		.amdhsa_exception_fp_ieee_underflow 0
		.amdhsa_exception_fp_ieee_inexact 0
		.amdhsa_exception_int_div_zero 0
	.end_amdhsa_kernel
	.section	.text._ZN7rocprim17ROCPRIM_400000_NS6detail17trampoline_kernelINS0_14default_configENS1_36segmented_radix_sort_config_selectorIflEEZNS1_25segmented_radix_sort_implIS3_Lb1EPKfPfPKlPlN2at6native12_GLOBAL__N_18offset_tEEE10hipError_tPvRmT1_PNSt15iterator_traitsISK_E10value_typeET2_T3_PNSL_ISQ_E10value_typeET4_jRbjT5_SW_jjP12ihipStream_tbEUlT_E1_NS1_11comp_targetILNS1_3genE2ELNS1_11target_archE906ELNS1_3gpuE6ELNS1_3repE0EEENS1_59segmented_radix_sort_warp_sort_small_config_static_selectorELNS0_4arch9wavefront6targetE0EEEvSK_,"axG",@progbits,_ZN7rocprim17ROCPRIM_400000_NS6detail17trampoline_kernelINS0_14default_configENS1_36segmented_radix_sort_config_selectorIflEEZNS1_25segmented_radix_sort_implIS3_Lb1EPKfPfPKlPlN2at6native12_GLOBAL__N_18offset_tEEE10hipError_tPvRmT1_PNSt15iterator_traitsISK_E10value_typeET2_T3_PNSL_ISQ_E10value_typeET4_jRbjT5_SW_jjP12ihipStream_tbEUlT_E1_NS1_11comp_targetILNS1_3genE2ELNS1_11target_archE906ELNS1_3gpuE6ELNS1_3repE0EEENS1_59segmented_radix_sort_warp_sort_small_config_static_selectorELNS0_4arch9wavefront6targetE0EEEvSK_,comdat
.Lfunc_end1343:
	.size	_ZN7rocprim17ROCPRIM_400000_NS6detail17trampoline_kernelINS0_14default_configENS1_36segmented_radix_sort_config_selectorIflEEZNS1_25segmented_radix_sort_implIS3_Lb1EPKfPfPKlPlN2at6native12_GLOBAL__N_18offset_tEEE10hipError_tPvRmT1_PNSt15iterator_traitsISK_E10value_typeET2_T3_PNSL_ISQ_E10value_typeET4_jRbjT5_SW_jjP12ihipStream_tbEUlT_E1_NS1_11comp_targetILNS1_3genE2ELNS1_11target_archE906ELNS1_3gpuE6ELNS1_3repE0EEENS1_59segmented_radix_sort_warp_sort_small_config_static_selectorELNS0_4arch9wavefront6targetE0EEEvSK_, .Lfunc_end1343-_ZN7rocprim17ROCPRIM_400000_NS6detail17trampoline_kernelINS0_14default_configENS1_36segmented_radix_sort_config_selectorIflEEZNS1_25segmented_radix_sort_implIS3_Lb1EPKfPfPKlPlN2at6native12_GLOBAL__N_18offset_tEEE10hipError_tPvRmT1_PNSt15iterator_traitsISK_E10value_typeET2_T3_PNSL_ISQ_E10value_typeET4_jRbjT5_SW_jjP12ihipStream_tbEUlT_E1_NS1_11comp_targetILNS1_3genE2ELNS1_11target_archE906ELNS1_3gpuE6ELNS1_3repE0EEENS1_59segmented_radix_sort_warp_sort_small_config_static_selectorELNS0_4arch9wavefront6targetE0EEEvSK_
                                        ; -- End function
	.set _ZN7rocprim17ROCPRIM_400000_NS6detail17trampoline_kernelINS0_14default_configENS1_36segmented_radix_sort_config_selectorIflEEZNS1_25segmented_radix_sort_implIS3_Lb1EPKfPfPKlPlN2at6native12_GLOBAL__N_18offset_tEEE10hipError_tPvRmT1_PNSt15iterator_traitsISK_E10value_typeET2_T3_PNSL_ISQ_E10value_typeET4_jRbjT5_SW_jjP12ihipStream_tbEUlT_E1_NS1_11comp_targetILNS1_3genE2ELNS1_11target_archE906ELNS1_3gpuE6ELNS1_3repE0EEENS1_59segmented_radix_sort_warp_sort_small_config_static_selectorELNS0_4arch9wavefront6targetE0EEEvSK_.num_vgpr, 0
	.set _ZN7rocprim17ROCPRIM_400000_NS6detail17trampoline_kernelINS0_14default_configENS1_36segmented_radix_sort_config_selectorIflEEZNS1_25segmented_radix_sort_implIS3_Lb1EPKfPfPKlPlN2at6native12_GLOBAL__N_18offset_tEEE10hipError_tPvRmT1_PNSt15iterator_traitsISK_E10value_typeET2_T3_PNSL_ISQ_E10value_typeET4_jRbjT5_SW_jjP12ihipStream_tbEUlT_E1_NS1_11comp_targetILNS1_3genE2ELNS1_11target_archE906ELNS1_3gpuE6ELNS1_3repE0EEENS1_59segmented_radix_sort_warp_sort_small_config_static_selectorELNS0_4arch9wavefront6targetE0EEEvSK_.num_agpr, 0
	.set _ZN7rocprim17ROCPRIM_400000_NS6detail17trampoline_kernelINS0_14default_configENS1_36segmented_radix_sort_config_selectorIflEEZNS1_25segmented_radix_sort_implIS3_Lb1EPKfPfPKlPlN2at6native12_GLOBAL__N_18offset_tEEE10hipError_tPvRmT1_PNSt15iterator_traitsISK_E10value_typeET2_T3_PNSL_ISQ_E10value_typeET4_jRbjT5_SW_jjP12ihipStream_tbEUlT_E1_NS1_11comp_targetILNS1_3genE2ELNS1_11target_archE906ELNS1_3gpuE6ELNS1_3repE0EEENS1_59segmented_radix_sort_warp_sort_small_config_static_selectorELNS0_4arch9wavefront6targetE0EEEvSK_.numbered_sgpr, 0
	.set _ZN7rocprim17ROCPRIM_400000_NS6detail17trampoline_kernelINS0_14default_configENS1_36segmented_radix_sort_config_selectorIflEEZNS1_25segmented_radix_sort_implIS3_Lb1EPKfPfPKlPlN2at6native12_GLOBAL__N_18offset_tEEE10hipError_tPvRmT1_PNSt15iterator_traitsISK_E10value_typeET2_T3_PNSL_ISQ_E10value_typeET4_jRbjT5_SW_jjP12ihipStream_tbEUlT_E1_NS1_11comp_targetILNS1_3genE2ELNS1_11target_archE906ELNS1_3gpuE6ELNS1_3repE0EEENS1_59segmented_radix_sort_warp_sort_small_config_static_selectorELNS0_4arch9wavefront6targetE0EEEvSK_.num_named_barrier, 0
	.set _ZN7rocprim17ROCPRIM_400000_NS6detail17trampoline_kernelINS0_14default_configENS1_36segmented_radix_sort_config_selectorIflEEZNS1_25segmented_radix_sort_implIS3_Lb1EPKfPfPKlPlN2at6native12_GLOBAL__N_18offset_tEEE10hipError_tPvRmT1_PNSt15iterator_traitsISK_E10value_typeET2_T3_PNSL_ISQ_E10value_typeET4_jRbjT5_SW_jjP12ihipStream_tbEUlT_E1_NS1_11comp_targetILNS1_3genE2ELNS1_11target_archE906ELNS1_3gpuE6ELNS1_3repE0EEENS1_59segmented_radix_sort_warp_sort_small_config_static_selectorELNS0_4arch9wavefront6targetE0EEEvSK_.private_seg_size, 0
	.set _ZN7rocprim17ROCPRIM_400000_NS6detail17trampoline_kernelINS0_14default_configENS1_36segmented_radix_sort_config_selectorIflEEZNS1_25segmented_radix_sort_implIS3_Lb1EPKfPfPKlPlN2at6native12_GLOBAL__N_18offset_tEEE10hipError_tPvRmT1_PNSt15iterator_traitsISK_E10value_typeET2_T3_PNSL_ISQ_E10value_typeET4_jRbjT5_SW_jjP12ihipStream_tbEUlT_E1_NS1_11comp_targetILNS1_3genE2ELNS1_11target_archE906ELNS1_3gpuE6ELNS1_3repE0EEENS1_59segmented_radix_sort_warp_sort_small_config_static_selectorELNS0_4arch9wavefront6targetE0EEEvSK_.uses_vcc, 0
	.set _ZN7rocprim17ROCPRIM_400000_NS6detail17trampoline_kernelINS0_14default_configENS1_36segmented_radix_sort_config_selectorIflEEZNS1_25segmented_radix_sort_implIS3_Lb1EPKfPfPKlPlN2at6native12_GLOBAL__N_18offset_tEEE10hipError_tPvRmT1_PNSt15iterator_traitsISK_E10value_typeET2_T3_PNSL_ISQ_E10value_typeET4_jRbjT5_SW_jjP12ihipStream_tbEUlT_E1_NS1_11comp_targetILNS1_3genE2ELNS1_11target_archE906ELNS1_3gpuE6ELNS1_3repE0EEENS1_59segmented_radix_sort_warp_sort_small_config_static_selectorELNS0_4arch9wavefront6targetE0EEEvSK_.uses_flat_scratch, 0
	.set _ZN7rocprim17ROCPRIM_400000_NS6detail17trampoline_kernelINS0_14default_configENS1_36segmented_radix_sort_config_selectorIflEEZNS1_25segmented_radix_sort_implIS3_Lb1EPKfPfPKlPlN2at6native12_GLOBAL__N_18offset_tEEE10hipError_tPvRmT1_PNSt15iterator_traitsISK_E10value_typeET2_T3_PNSL_ISQ_E10value_typeET4_jRbjT5_SW_jjP12ihipStream_tbEUlT_E1_NS1_11comp_targetILNS1_3genE2ELNS1_11target_archE906ELNS1_3gpuE6ELNS1_3repE0EEENS1_59segmented_radix_sort_warp_sort_small_config_static_selectorELNS0_4arch9wavefront6targetE0EEEvSK_.has_dyn_sized_stack, 0
	.set _ZN7rocprim17ROCPRIM_400000_NS6detail17trampoline_kernelINS0_14default_configENS1_36segmented_radix_sort_config_selectorIflEEZNS1_25segmented_radix_sort_implIS3_Lb1EPKfPfPKlPlN2at6native12_GLOBAL__N_18offset_tEEE10hipError_tPvRmT1_PNSt15iterator_traitsISK_E10value_typeET2_T3_PNSL_ISQ_E10value_typeET4_jRbjT5_SW_jjP12ihipStream_tbEUlT_E1_NS1_11comp_targetILNS1_3genE2ELNS1_11target_archE906ELNS1_3gpuE6ELNS1_3repE0EEENS1_59segmented_radix_sort_warp_sort_small_config_static_selectorELNS0_4arch9wavefront6targetE0EEEvSK_.has_recursion, 0
	.set _ZN7rocprim17ROCPRIM_400000_NS6detail17trampoline_kernelINS0_14default_configENS1_36segmented_radix_sort_config_selectorIflEEZNS1_25segmented_radix_sort_implIS3_Lb1EPKfPfPKlPlN2at6native12_GLOBAL__N_18offset_tEEE10hipError_tPvRmT1_PNSt15iterator_traitsISK_E10value_typeET2_T3_PNSL_ISQ_E10value_typeET4_jRbjT5_SW_jjP12ihipStream_tbEUlT_E1_NS1_11comp_targetILNS1_3genE2ELNS1_11target_archE906ELNS1_3gpuE6ELNS1_3repE0EEENS1_59segmented_radix_sort_warp_sort_small_config_static_selectorELNS0_4arch9wavefront6targetE0EEEvSK_.has_indirect_call, 0
	.section	.AMDGPU.csdata,"",@progbits
; Kernel info:
; codeLenInByte = 0
; TotalNumSgprs: 0
; NumVgprs: 0
; ScratchSize: 0
; MemoryBound: 0
; FloatMode: 240
; IeeeMode: 1
; LDSByteSize: 0 bytes/workgroup (compile time only)
; SGPRBlocks: 0
; VGPRBlocks: 0
; NumSGPRsForWavesPerEU: 1
; NumVGPRsForWavesPerEU: 1
; NamedBarCnt: 0
; Occupancy: 16
; WaveLimiterHint : 0
; COMPUTE_PGM_RSRC2:SCRATCH_EN: 0
; COMPUTE_PGM_RSRC2:USER_SGPR: 2
; COMPUTE_PGM_RSRC2:TRAP_HANDLER: 0
; COMPUTE_PGM_RSRC2:TGID_X_EN: 1
; COMPUTE_PGM_RSRC2:TGID_Y_EN: 0
; COMPUTE_PGM_RSRC2:TGID_Z_EN: 0
; COMPUTE_PGM_RSRC2:TIDIG_COMP_CNT: 0
	.section	.text._ZN7rocprim17ROCPRIM_400000_NS6detail17trampoline_kernelINS0_14default_configENS1_36segmented_radix_sort_config_selectorIflEEZNS1_25segmented_radix_sort_implIS3_Lb1EPKfPfPKlPlN2at6native12_GLOBAL__N_18offset_tEEE10hipError_tPvRmT1_PNSt15iterator_traitsISK_E10value_typeET2_T3_PNSL_ISQ_E10value_typeET4_jRbjT5_SW_jjP12ihipStream_tbEUlT_E1_NS1_11comp_targetILNS1_3genE10ELNS1_11target_archE1201ELNS1_3gpuE5ELNS1_3repE0EEENS1_59segmented_radix_sort_warp_sort_small_config_static_selectorELNS0_4arch9wavefront6targetE0EEEvSK_,"axG",@progbits,_ZN7rocprim17ROCPRIM_400000_NS6detail17trampoline_kernelINS0_14default_configENS1_36segmented_radix_sort_config_selectorIflEEZNS1_25segmented_radix_sort_implIS3_Lb1EPKfPfPKlPlN2at6native12_GLOBAL__N_18offset_tEEE10hipError_tPvRmT1_PNSt15iterator_traitsISK_E10value_typeET2_T3_PNSL_ISQ_E10value_typeET4_jRbjT5_SW_jjP12ihipStream_tbEUlT_E1_NS1_11comp_targetILNS1_3genE10ELNS1_11target_archE1201ELNS1_3gpuE5ELNS1_3repE0EEENS1_59segmented_radix_sort_warp_sort_small_config_static_selectorELNS0_4arch9wavefront6targetE0EEEvSK_,comdat
	.globl	_ZN7rocprim17ROCPRIM_400000_NS6detail17trampoline_kernelINS0_14default_configENS1_36segmented_radix_sort_config_selectorIflEEZNS1_25segmented_radix_sort_implIS3_Lb1EPKfPfPKlPlN2at6native12_GLOBAL__N_18offset_tEEE10hipError_tPvRmT1_PNSt15iterator_traitsISK_E10value_typeET2_T3_PNSL_ISQ_E10value_typeET4_jRbjT5_SW_jjP12ihipStream_tbEUlT_E1_NS1_11comp_targetILNS1_3genE10ELNS1_11target_archE1201ELNS1_3gpuE5ELNS1_3repE0EEENS1_59segmented_radix_sort_warp_sort_small_config_static_selectorELNS0_4arch9wavefront6targetE0EEEvSK_ ; -- Begin function _ZN7rocprim17ROCPRIM_400000_NS6detail17trampoline_kernelINS0_14default_configENS1_36segmented_radix_sort_config_selectorIflEEZNS1_25segmented_radix_sort_implIS3_Lb1EPKfPfPKlPlN2at6native12_GLOBAL__N_18offset_tEEE10hipError_tPvRmT1_PNSt15iterator_traitsISK_E10value_typeET2_T3_PNSL_ISQ_E10value_typeET4_jRbjT5_SW_jjP12ihipStream_tbEUlT_E1_NS1_11comp_targetILNS1_3genE10ELNS1_11target_archE1201ELNS1_3gpuE5ELNS1_3repE0EEENS1_59segmented_radix_sort_warp_sort_small_config_static_selectorELNS0_4arch9wavefront6targetE0EEEvSK_
	.p2align	8
	.type	_ZN7rocprim17ROCPRIM_400000_NS6detail17trampoline_kernelINS0_14default_configENS1_36segmented_radix_sort_config_selectorIflEEZNS1_25segmented_radix_sort_implIS3_Lb1EPKfPfPKlPlN2at6native12_GLOBAL__N_18offset_tEEE10hipError_tPvRmT1_PNSt15iterator_traitsISK_E10value_typeET2_T3_PNSL_ISQ_E10value_typeET4_jRbjT5_SW_jjP12ihipStream_tbEUlT_E1_NS1_11comp_targetILNS1_3genE10ELNS1_11target_archE1201ELNS1_3gpuE5ELNS1_3repE0EEENS1_59segmented_radix_sort_warp_sort_small_config_static_selectorELNS0_4arch9wavefront6targetE0EEEvSK_,@function
_ZN7rocprim17ROCPRIM_400000_NS6detail17trampoline_kernelINS0_14default_configENS1_36segmented_radix_sort_config_selectorIflEEZNS1_25segmented_radix_sort_implIS3_Lb1EPKfPfPKlPlN2at6native12_GLOBAL__N_18offset_tEEE10hipError_tPvRmT1_PNSt15iterator_traitsISK_E10value_typeET2_T3_PNSL_ISQ_E10value_typeET4_jRbjT5_SW_jjP12ihipStream_tbEUlT_E1_NS1_11comp_targetILNS1_3genE10ELNS1_11target_archE1201ELNS1_3gpuE5ELNS1_3repE0EEENS1_59segmented_radix_sort_warp_sort_small_config_static_selectorELNS0_4arch9wavefront6targetE0EEEvSK_: ; @_ZN7rocprim17ROCPRIM_400000_NS6detail17trampoline_kernelINS0_14default_configENS1_36segmented_radix_sort_config_selectorIflEEZNS1_25segmented_radix_sort_implIS3_Lb1EPKfPfPKlPlN2at6native12_GLOBAL__N_18offset_tEEE10hipError_tPvRmT1_PNSt15iterator_traitsISK_E10value_typeET2_T3_PNSL_ISQ_E10value_typeET4_jRbjT5_SW_jjP12ihipStream_tbEUlT_E1_NS1_11comp_targetILNS1_3genE10ELNS1_11target_archE1201ELNS1_3gpuE5ELNS1_3repE0EEENS1_59segmented_radix_sort_warp_sort_small_config_static_selectorELNS0_4arch9wavefront6targetE0EEEvSK_
; %bb.0:
	.section	.rodata,"a",@progbits
	.p2align	6, 0x0
	.amdhsa_kernel _ZN7rocprim17ROCPRIM_400000_NS6detail17trampoline_kernelINS0_14default_configENS1_36segmented_radix_sort_config_selectorIflEEZNS1_25segmented_radix_sort_implIS3_Lb1EPKfPfPKlPlN2at6native12_GLOBAL__N_18offset_tEEE10hipError_tPvRmT1_PNSt15iterator_traitsISK_E10value_typeET2_T3_PNSL_ISQ_E10value_typeET4_jRbjT5_SW_jjP12ihipStream_tbEUlT_E1_NS1_11comp_targetILNS1_3genE10ELNS1_11target_archE1201ELNS1_3gpuE5ELNS1_3repE0EEENS1_59segmented_radix_sort_warp_sort_small_config_static_selectorELNS0_4arch9wavefront6targetE0EEEvSK_
		.amdhsa_group_segment_fixed_size 0
		.amdhsa_private_segment_fixed_size 0
		.amdhsa_kernarg_size 88
		.amdhsa_user_sgpr_count 2
		.amdhsa_user_sgpr_dispatch_ptr 0
		.amdhsa_user_sgpr_queue_ptr 0
		.amdhsa_user_sgpr_kernarg_segment_ptr 1
		.amdhsa_user_sgpr_dispatch_id 0
		.amdhsa_user_sgpr_kernarg_preload_length 0
		.amdhsa_user_sgpr_kernarg_preload_offset 0
		.amdhsa_user_sgpr_private_segment_size 0
		.amdhsa_wavefront_size32 1
		.amdhsa_uses_dynamic_stack 0
		.amdhsa_enable_private_segment 0
		.amdhsa_system_sgpr_workgroup_id_x 1
		.amdhsa_system_sgpr_workgroup_id_y 0
		.amdhsa_system_sgpr_workgroup_id_z 0
		.amdhsa_system_sgpr_workgroup_info 0
		.amdhsa_system_vgpr_workitem_id 0
		.amdhsa_next_free_vgpr 1
		.amdhsa_next_free_sgpr 1
		.amdhsa_named_barrier_count 0
		.amdhsa_reserve_vcc 0
		.amdhsa_float_round_mode_32 0
		.amdhsa_float_round_mode_16_64 0
		.amdhsa_float_denorm_mode_32 3
		.amdhsa_float_denorm_mode_16_64 3
		.amdhsa_fp16_overflow 0
		.amdhsa_memory_ordered 1
		.amdhsa_forward_progress 1
		.amdhsa_inst_pref_size 0
		.amdhsa_round_robin_scheduling 0
		.amdhsa_exception_fp_ieee_invalid_op 0
		.amdhsa_exception_fp_denorm_src 0
		.amdhsa_exception_fp_ieee_div_zero 0
		.amdhsa_exception_fp_ieee_overflow 0
		.amdhsa_exception_fp_ieee_underflow 0
		.amdhsa_exception_fp_ieee_inexact 0
		.amdhsa_exception_int_div_zero 0
	.end_amdhsa_kernel
	.section	.text._ZN7rocprim17ROCPRIM_400000_NS6detail17trampoline_kernelINS0_14default_configENS1_36segmented_radix_sort_config_selectorIflEEZNS1_25segmented_radix_sort_implIS3_Lb1EPKfPfPKlPlN2at6native12_GLOBAL__N_18offset_tEEE10hipError_tPvRmT1_PNSt15iterator_traitsISK_E10value_typeET2_T3_PNSL_ISQ_E10value_typeET4_jRbjT5_SW_jjP12ihipStream_tbEUlT_E1_NS1_11comp_targetILNS1_3genE10ELNS1_11target_archE1201ELNS1_3gpuE5ELNS1_3repE0EEENS1_59segmented_radix_sort_warp_sort_small_config_static_selectorELNS0_4arch9wavefront6targetE0EEEvSK_,"axG",@progbits,_ZN7rocprim17ROCPRIM_400000_NS6detail17trampoline_kernelINS0_14default_configENS1_36segmented_radix_sort_config_selectorIflEEZNS1_25segmented_radix_sort_implIS3_Lb1EPKfPfPKlPlN2at6native12_GLOBAL__N_18offset_tEEE10hipError_tPvRmT1_PNSt15iterator_traitsISK_E10value_typeET2_T3_PNSL_ISQ_E10value_typeET4_jRbjT5_SW_jjP12ihipStream_tbEUlT_E1_NS1_11comp_targetILNS1_3genE10ELNS1_11target_archE1201ELNS1_3gpuE5ELNS1_3repE0EEENS1_59segmented_radix_sort_warp_sort_small_config_static_selectorELNS0_4arch9wavefront6targetE0EEEvSK_,comdat
.Lfunc_end1344:
	.size	_ZN7rocprim17ROCPRIM_400000_NS6detail17trampoline_kernelINS0_14default_configENS1_36segmented_radix_sort_config_selectorIflEEZNS1_25segmented_radix_sort_implIS3_Lb1EPKfPfPKlPlN2at6native12_GLOBAL__N_18offset_tEEE10hipError_tPvRmT1_PNSt15iterator_traitsISK_E10value_typeET2_T3_PNSL_ISQ_E10value_typeET4_jRbjT5_SW_jjP12ihipStream_tbEUlT_E1_NS1_11comp_targetILNS1_3genE10ELNS1_11target_archE1201ELNS1_3gpuE5ELNS1_3repE0EEENS1_59segmented_radix_sort_warp_sort_small_config_static_selectorELNS0_4arch9wavefront6targetE0EEEvSK_, .Lfunc_end1344-_ZN7rocprim17ROCPRIM_400000_NS6detail17trampoline_kernelINS0_14default_configENS1_36segmented_radix_sort_config_selectorIflEEZNS1_25segmented_radix_sort_implIS3_Lb1EPKfPfPKlPlN2at6native12_GLOBAL__N_18offset_tEEE10hipError_tPvRmT1_PNSt15iterator_traitsISK_E10value_typeET2_T3_PNSL_ISQ_E10value_typeET4_jRbjT5_SW_jjP12ihipStream_tbEUlT_E1_NS1_11comp_targetILNS1_3genE10ELNS1_11target_archE1201ELNS1_3gpuE5ELNS1_3repE0EEENS1_59segmented_radix_sort_warp_sort_small_config_static_selectorELNS0_4arch9wavefront6targetE0EEEvSK_
                                        ; -- End function
	.set _ZN7rocprim17ROCPRIM_400000_NS6detail17trampoline_kernelINS0_14default_configENS1_36segmented_radix_sort_config_selectorIflEEZNS1_25segmented_radix_sort_implIS3_Lb1EPKfPfPKlPlN2at6native12_GLOBAL__N_18offset_tEEE10hipError_tPvRmT1_PNSt15iterator_traitsISK_E10value_typeET2_T3_PNSL_ISQ_E10value_typeET4_jRbjT5_SW_jjP12ihipStream_tbEUlT_E1_NS1_11comp_targetILNS1_3genE10ELNS1_11target_archE1201ELNS1_3gpuE5ELNS1_3repE0EEENS1_59segmented_radix_sort_warp_sort_small_config_static_selectorELNS0_4arch9wavefront6targetE0EEEvSK_.num_vgpr, 0
	.set _ZN7rocprim17ROCPRIM_400000_NS6detail17trampoline_kernelINS0_14default_configENS1_36segmented_radix_sort_config_selectorIflEEZNS1_25segmented_radix_sort_implIS3_Lb1EPKfPfPKlPlN2at6native12_GLOBAL__N_18offset_tEEE10hipError_tPvRmT1_PNSt15iterator_traitsISK_E10value_typeET2_T3_PNSL_ISQ_E10value_typeET4_jRbjT5_SW_jjP12ihipStream_tbEUlT_E1_NS1_11comp_targetILNS1_3genE10ELNS1_11target_archE1201ELNS1_3gpuE5ELNS1_3repE0EEENS1_59segmented_radix_sort_warp_sort_small_config_static_selectorELNS0_4arch9wavefront6targetE0EEEvSK_.num_agpr, 0
	.set _ZN7rocprim17ROCPRIM_400000_NS6detail17trampoline_kernelINS0_14default_configENS1_36segmented_radix_sort_config_selectorIflEEZNS1_25segmented_radix_sort_implIS3_Lb1EPKfPfPKlPlN2at6native12_GLOBAL__N_18offset_tEEE10hipError_tPvRmT1_PNSt15iterator_traitsISK_E10value_typeET2_T3_PNSL_ISQ_E10value_typeET4_jRbjT5_SW_jjP12ihipStream_tbEUlT_E1_NS1_11comp_targetILNS1_3genE10ELNS1_11target_archE1201ELNS1_3gpuE5ELNS1_3repE0EEENS1_59segmented_radix_sort_warp_sort_small_config_static_selectorELNS0_4arch9wavefront6targetE0EEEvSK_.numbered_sgpr, 0
	.set _ZN7rocprim17ROCPRIM_400000_NS6detail17trampoline_kernelINS0_14default_configENS1_36segmented_radix_sort_config_selectorIflEEZNS1_25segmented_radix_sort_implIS3_Lb1EPKfPfPKlPlN2at6native12_GLOBAL__N_18offset_tEEE10hipError_tPvRmT1_PNSt15iterator_traitsISK_E10value_typeET2_T3_PNSL_ISQ_E10value_typeET4_jRbjT5_SW_jjP12ihipStream_tbEUlT_E1_NS1_11comp_targetILNS1_3genE10ELNS1_11target_archE1201ELNS1_3gpuE5ELNS1_3repE0EEENS1_59segmented_radix_sort_warp_sort_small_config_static_selectorELNS0_4arch9wavefront6targetE0EEEvSK_.num_named_barrier, 0
	.set _ZN7rocprim17ROCPRIM_400000_NS6detail17trampoline_kernelINS0_14default_configENS1_36segmented_radix_sort_config_selectorIflEEZNS1_25segmented_radix_sort_implIS3_Lb1EPKfPfPKlPlN2at6native12_GLOBAL__N_18offset_tEEE10hipError_tPvRmT1_PNSt15iterator_traitsISK_E10value_typeET2_T3_PNSL_ISQ_E10value_typeET4_jRbjT5_SW_jjP12ihipStream_tbEUlT_E1_NS1_11comp_targetILNS1_3genE10ELNS1_11target_archE1201ELNS1_3gpuE5ELNS1_3repE0EEENS1_59segmented_radix_sort_warp_sort_small_config_static_selectorELNS0_4arch9wavefront6targetE0EEEvSK_.private_seg_size, 0
	.set _ZN7rocprim17ROCPRIM_400000_NS6detail17trampoline_kernelINS0_14default_configENS1_36segmented_radix_sort_config_selectorIflEEZNS1_25segmented_radix_sort_implIS3_Lb1EPKfPfPKlPlN2at6native12_GLOBAL__N_18offset_tEEE10hipError_tPvRmT1_PNSt15iterator_traitsISK_E10value_typeET2_T3_PNSL_ISQ_E10value_typeET4_jRbjT5_SW_jjP12ihipStream_tbEUlT_E1_NS1_11comp_targetILNS1_3genE10ELNS1_11target_archE1201ELNS1_3gpuE5ELNS1_3repE0EEENS1_59segmented_radix_sort_warp_sort_small_config_static_selectorELNS0_4arch9wavefront6targetE0EEEvSK_.uses_vcc, 0
	.set _ZN7rocprim17ROCPRIM_400000_NS6detail17trampoline_kernelINS0_14default_configENS1_36segmented_radix_sort_config_selectorIflEEZNS1_25segmented_radix_sort_implIS3_Lb1EPKfPfPKlPlN2at6native12_GLOBAL__N_18offset_tEEE10hipError_tPvRmT1_PNSt15iterator_traitsISK_E10value_typeET2_T3_PNSL_ISQ_E10value_typeET4_jRbjT5_SW_jjP12ihipStream_tbEUlT_E1_NS1_11comp_targetILNS1_3genE10ELNS1_11target_archE1201ELNS1_3gpuE5ELNS1_3repE0EEENS1_59segmented_radix_sort_warp_sort_small_config_static_selectorELNS0_4arch9wavefront6targetE0EEEvSK_.uses_flat_scratch, 0
	.set _ZN7rocprim17ROCPRIM_400000_NS6detail17trampoline_kernelINS0_14default_configENS1_36segmented_radix_sort_config_selectorIflEEZNS1_25segmented_radix_sort_implIS3_Lb1EPKfPfPKlPlN2at6native12_GLOBAL__N_18offset_tEEE10hipError_tPvRmT1_PNSt15iterator_traitsISK_E10value_typeET2_T3_PNSL_ISQ_E10value_typeET4_jRbjT5_SW_jjP12ihipStream_tbEUlT_E1_NS1_11comp_targetILNS1_3genE10ELNS1_11target_archE1201ELNS1_3gpuE5ELNS1_3repE0EEENS1_59segmented_radix_sort_warp_sort_small_config_static_selectorELNS0_4arch9wavefront6targetE0EEEvSK_.has_dyn_sized_stack, 0
	.set _ZN7rocprim17ROCPRIM_400000_NS6detail17trampoline_kernelINS0_14default_configENS1_36segmented_radix_sort_config_selectorIflEEZNS1_25segmented_radix_sort_implIS3_Lb1EPKfPfPKlPlN2at6native12_GLOBAL__N_18offset_tEEE10hipError_tPvRmT1_PNSt15iterator_traitsISK_E10value_typeET2_T3_PNSL_ISQ_E10value_typeET4_jRbjT5_SW_jjP12ihipStream_tbEUlT_E1_NS1_11comp_targetILNS1_3genE10ELNS1_11target_archE1201ELNS1_3gpuE5ELNS1_3repE0EEENS1_59segmented_radix_sort_warp_sort_small_config_static_selectorELNS0_4arch9wavefront6targetE0EEEvSK_.has_recursion, 0
	.set _ZN7rocprim17ROCPRIM_400000_NS6detail17trampoline_kernelINS0_14default_configENS1_36segmented_radix_sort_config_selectorIflEEZNS1_25segmented_radix_sort_implIS3_Lb1EPKfPfPKlPlN2at6native12_GLOBAL__N_18offset_tEEE10hipError_tPvRmT1_PNSt15iterator_traitsISK_E10value_typeET2_T3_PNSL_ISQ_E10value_typeET4_jRbjT5_SW_jjP12ihipStream_tbEUlT_E1_NS1_11comp_targetILNS1_3genE10ELNS1_11target_archE1201ELNS1_3gpuE5ELNS1_3repE0EEENS1_59segmented_radix_sort_warp_sort_small_config_static_selectorELNS0_4arch9wavefront6targetE0EEEvSK_.has_indirect_call, 0
	.section	.AMDGPU.csdata,"",@progbits
; Kernel info:
; codeLenInByte = 0
; TotalNumSgprs: 0
; NumVgprs: 0
; ScratchSize: 0
; MemoryBound: 0
; FloatMode: 240
; IeeeMode: 1
; LDSByteSize: 0 bytes/workgroup (compile time only)
; SGPRBlocks: 0
; VGPRBlocks: 0
; NumSGPRsForWavesPerEU: 1
; NumVGPRsForWavesPerEU: 1
; NamedBarCnt: 0
; Occupancy: 16
; WaveLimiterHint : 0
; COMPUTE_PGM_RSRC2:SCRATCH_EN: 0
; COMPUTE_PGM_RSRC2:USER_SGPR: 2
; COMPUTE_PGM_RSRC2:TRAP_HANDLER: 0
; COMPUTE_PGM_RSRC2:TGID_X_EN: 1
; COMPUTE_PGM_RSRC2:TGID_Y_EN: 0
; COMPUTE_PGM_RSRC2:TGID_Z_EN: 0
; COMPUTE_PGM_RSRC2:TIDIG_COMP_CNT: 0
	.section	.text._ZN7rocprim17ROCPRIM_400000_NS6detail17trampoline_kernelINS0_14default_configENS1_36segmented_radix_sort_config_selectorIflEEZNS1_25segmented_radix_sort_implIS3_Lb1EPKfPfPKlPlN2at6native12_GLOBAL__N_18offset_tEEE10hipError_tPvRmT1_PNSt15iterator_traitsISK_E10value_typeET2_T3_PNSL_ISQ_E10value_typeET4_jRbjT5_SW_jjP12ihipStream_tbEUlT_E1_NS1_11comp_targetILNS1_3genE10ELNS1_11target_archE1200ELNS1_3gpuE4ELNS1_3repE0EEENS1_59segmented_radix_sort_warp_sort_small_config_static_selectorELNS0_4arch9wavefront6targetE0EEEvSK_,"axG",@progbits,_ZN7rocprim17ROCPRIM_400000_NS6detail17trampoline_kernelINS0_14default_configENS1_36segmented_radix_sort_config_selectorIflEEZNS1_25segmented_radix_sort_implIS3_Lb1EPKfPfPKlPlN2at6native12_GLOBAL__N_18offset_tEEE10hipError_tPvRmT1_PNSt15iterator_traitsISK_E10value_typeET2_T3_PNSL_ISQ_E10value_typeET4_jRbjT5_SW_jjP12ihipStream_tbEUlT_E1_NS1_11comp_targetILNS1_3genE10ELNS1_11target_archE1200ELNS1_3gpuE4ELNS1_3repE0EEENS1_59segmented_radix_sort_warp_sort_small_config_static_selectorELNS0_4arch9wavefront6targetE0EEEvSK_,comdat
	.globl	_ZN7rocprim17ROCPRIM_400000_NS6detail17trampoline_kernelINS0_14default_configENS1_36segmented_radix_sort_config_selectorIflEEZNS1_25segmented_radix_sort_implIS3_Lb1EPKfPfPKlPlN2at6native12_GLOBAL__N_18offset_tEEE10hipError_tPvRmT1_PNSt15iterator_traitsISK_E10value_typeET2_T3_PNSL_ISQ_E10value_typeET4_jRbjT5_SW_jjP12ihipStream_tbEUlT_E1_NS1_11comp_targetILNS1_3genE10ELNS1_11target_archE1200ELNS1_3gpuE4ELNS1_3repE0EEENS1_59segmented_radix_sort_warp_sort_small_config_static_selectorELNS0_4arch9wavefront6targetE0EEEvSK_ ; -- Begin function _ZN7rocprim17ROCPRIM_400000_NS6detail17trampoline_kernelINS0_14default_configENS1_36segmented_radix_sort_config_selectorIflEEZNS1_25segmented_radix_sort_implIS3_Lb1EPKfPfPKlPlN2at6native12_GLOBAL__N_18offset_tEEE10hipError_tPvRmT1_PNSt15iterator_traitsISK_E10value_typeET2_T3_PNSL_ISQ_E10value_typeET4_jRbjT5_SW_jjP12ihipStream_tbEUlT_E1_NS1_11comp_targetILNS1_3genE10ELNS1_11target_archE1200ELNS1_3gpuE4ELNS1_3repE0EEENS1_59segmented_radix_sort_warp_sort_small_config_static_selectorELNS0_4arch9wavefront6targetE0EEEvSK_
	.p2align	8
	.type	_ZN7rocprim17ROCPRIM_400000_NS6detail17trampoline_kernelINS0_14default_configENS1_36segmented_radix_sort_config_selectorIflEEZNS1_25segmented_radix_sort_implIS3_Lb1EPKfPfPKlPlN2at6native12_GLOBAL__N_18offset_tEEE10hipError_tPvRmT1_PNSt15iterator_traitsISK_E10value_typeET2_T3_PNSL_ISQ_E10value_typeET4_jRbjT5_SW_jjP12ihipStream_tbEUlT_E1_NS1_11comp_targetILNS1_3genE10ELNS1_11target_archE1200ELNS1_3gpuE4ELNS1_3repE0EEENS1_59segmented_radix_sort_warp_sort_small_config_static_selectorELNS0_4arch9wavefront6targetE0EEEvSK_,@function
_ZN7rocprim17ROCPRIM_400000_NS6detail17trampoline_kernelINS0_14default_configENS1_36segmented_radix_sort_config_selectorIflEEZNS1_25segmented_radix_sort_implIS3_Lb1EPKfPfPKlPlN2at6native12_GLOBAL__N_18offset_tEEE10hipError_tPvRmT1_PNSt15iterator_traitsISK_E10value_typeET2_T3_PNSL_ISQ_E10value_typeET4_jRbjT5_SW_jjP12ihipStream_tbEUlT_E1_NS1_11comp_targetILNS1_3genE10ELNS1_11target_archE1200ELNS1_3gpuE4ELNS1_3repE0EEENS1_59segmented_radix_sort_warp_sort_small_config_static_selectorELNS0_4arch9wavefront6targetE0EEEvSK_: ; @_ZN7rocprim17ROCPRIM_400000_NS6detail17trampoline_kernelINS0_14default_configENS1_36segmented_radix_sort_config_selectorIflEEZNS1_25segmented_radix_sort_implIS3_Lb1EPKfPfPKlPlN2at6native12_GLOBAL__N_18offset_tEEE10hipError_tPvRmT1_PNSt15iterator_traitsISK_E10value_typeET2_T3_PNSL_ISQ_E10value_typeET4_jRbjT5_SW_jjP12ihipStream_tbEUlT_E1_NS1_11comp_targetILNS1_3genE10ELNS1_11target_archE1200ELNS1_3gpuE4ELNS1_3repE0EEENS1_59segmented_radix_sort_warp_sort_small_config_static_selectorELNS0_4arch9wavefront6targetE0EEEvSK_
; %bb.0:
	.section	.rodata,"a",@progbits
	.p2align	6, 0x0
	.amdhsa_kernel _ZN7rocprim17ROCPRIM_400000_NS6detail17trampoline_kernelINS0_14default_configENS1_36segmented_radix_sort_config_selectorIflEEZNS1_25segmented_radix_sort_implIS3_Lb1EPKfPfPKlPlN2at6native12_GLOBAL__N_18offset_tEEE10hipError_tPvRmT1_PNSt15iterator_traitsISK_E10value_typeET2_T3_PNSL_ISQ_E10value_typeET4_jRbjT5_SW_jjP12ihipStream_tbEUlT_E1_NS1_11comp_targetILNS1_3genE10ELNS1_11target_archE1200ELNS1_3gpuE4ELNS1_3repE0EEENS1_59segmented_radix_sort_warp_sort_small_config_static_selectorELNS0_4arch9wavefront6targetE0EEEvSK_
		.amdhsa_group_segment_fixed_size 0
		.amdhsa_private_segment_fixed_size 0
		.amdhsa_kernarg_size 88
		.amdhsa_user_sgpr_count 2
		.amdhsa_user_sgpr_dispatch_ptr 0
		.amdhsa_user_sgpr_queue_ptr 0
		.amdhsa_user_sgpr_kernarg_segment_ptr 1
		.amdhsa_user_sgpr_dispatch_id 0
		.amdhsa_user_sgpr_kernarg_preload_length 0
		.amdhsa_user_sgpr_kernarg_preload_offset 0
		.amdhsa_user_sgpr_private_segment_size 0
		.amdhsa_wavefront_size32 1
		.amdhsa_uses_dynamic_stack 0
		.amdhsa_enable_private_segment 0
		.amdhsa_system_sgpr_workgroup_id_x 1
		.amdhsa_system_sgpr_workgroup_id_y 0
		.amdhsa_system_sgpr_workgroup_id_z 0
		.amdhsa_system_sgpr_workgroup_info 0
		.amdhsa_system_vgpr_workitem_id 0
		.amdhsa_next_free_vgpr 1
		.amdhsa_next_free_sgpr 1
		.amdhsa_named_barrier_count 0
		.amdhsa_reserve_vcc 0
		.amdhsa_float_round_mode_32 0
		.amdhsa_float_round_mode_16_64 0
		.amdhsa_float_denorm_mode_32 3
		.amdhsa_float_denorm_mode_16_64 3
		.amdhsa_fp16_overflow 0
		.amdhsa_memory_ordered 1
		.amdhsa_forward_progress 1
		.amdhsa_inst_pref_size 0
		.amdhsa_round_robin_scheduling 0
		.amdhsa_exception_fp_ieee_invalid_op 0
		.amdhsa_exception_fp_denorm_src 0
		.amdhsa_exception_fp_ieee_div_zero 0
		.amdhsa_exception_fp_ieee_overflow 0
		.amdhsa_exception_fp_ieee_underflow 0
		.amdhsa_exception_fp_ieee_inexact 0
		.amdhsa_exception_int_div_zero 0
	.end_amdhsa_kernel
	.section	.text._ZN7rocprim17ROCPRIM_400000_NS6detail17trampoline_kernelINS0_14default_configENS1_36segmented_radix_sort_config_selectorIflEEZNS1_25segmented_radix_sort_implIS3_Lb1EPKfPfPKlPlN2at6native12_GLOBAL__N_18offset_tEEE10hipError_tPvRmT1_PNSt15iterator_traitsISK_E10value_typeET2_T3_PNSL_ISQ_E10value_typeET4_jRbjT5_SW_jjP12ihipStream_tbEUlT_E1_NS1_11comp_targetILNS1_3genE10ELNS1_11target_archE1200ELNS1_3gpuE4ELNS1_3repE0EEENS1_59segmented_radix_sort_warp_sort_small_config_static_selectorELNS0_4arch9wavefront6targetE0EEEvSK_,"axG",@progbits,_ZN7rocprim17ROCPRIM_400000_NS6detail17trampoline_kernelINS0_14default_configENS1_36segmented_radix_sort_config_selectorIflEEZNS1_25segmented_radix_sort_implIS3_Lb1EPKfPfPKlPlN2at6native12_GLOBAL__N_18offset_tEEE10hipError_tPvRmT1_PNSt15iterator_traitsISK_E10value_typeET2_T3_PNSL_ISQ_E10value_typeET4_jRbjT5_SW_jjP12ihipStream_tbEUlT_E1_NS1_11comp_targetILNS1_3genE10ELNS1_11target_archE1200ELNS1_3gpuE4ELNS1_3repE0EEENS1_59segmented_radix_sort_warp_sort_small_config_static_selectorELNS0_4arch9wavefront6targetE0EEEvSK_,comdat
.Lfunc_end1345:
	.size	_ZN7rocprim17ROCPRIM_400000_NS6detail17trampoline_kernelINS0_14default_configENS1_36segmented_radix_sort_config_selectorIflEEZNS1_25segmented_radix_sort_implIS3_Lb1EPKfPfPKlPlN2at6native12_GLOBAL__N_18offset_tEEE10hipError_tPvRmT1_PNSt15iterator_traitsISK_E10value_typeET2_T3_PNSL_ISQ_E10value_typeET4_jRbjT5_SW_jjP12ihipStream_tbEUlT_E1_NS1_11comp_targetILNS1_3genE10ELNS1_11target_archE1200ELNS1_3gpuE4ELNS1_3repE0EEENS1_59segmented_radix_sort_warp_sort_small_config_static_selectorELNS0_4arch9wavefront6targetE0EEEvSK_, .Lfunc_end1345-_ZN7rocprim17ROCPRIM_400000_NS6detail17trampoline_kernelINS0_14default_configENS1_36segmented_radix_sort_config_selectorIflEEZNS1_25segmented_radix_sort_implIS3_Lb1EPKfPfPKlPlN2at6native12_GLOBAL__N_18offset_tEEE10hipError_tPvRmT1_PNSt15iterator_traitsISK_E10value_typeET2_T3_PNSL_ISQ_E10value_typeET4_jRbjT5_SW_jjP12ihipStream_tbEUlT_E1_NS1_11comp_targetILNS1_3genE10ELNS1_11target_archE1200ELNS1_3gpuE4ELNS1_3repE0EEENS1_59segmented_radix_sort_warp_sort_small_config_static_selectorELNS0_4arch9wavefront6targetE0EEEvSK_
                                        ; -- End function
	.set _ZN7rocprim17ROCPRIM_400000_NS6detail17trampoline_kernelINS0_14default_configENS1_36segmented_radix_sort_config_selectorIflEEZNS1_25segmented_radix_sort_implIS3_Lb1EPKfPfPKlPlN2at6native12_GLOBAL__N_18offset_tEEE10hipError_tPvRmT1_PNSt15iterator_traitsISK_E10value_typeET2_T3_PNSL_ISQ_E10value_typeET4_jRbjT5_SW_jjP12ihipStream_tbEUlT_E1_NS1_11comp_targetILNS1_3genE10ELNS1_11target_archE1200ELNS1_3gpuE4ELNS1_3repE0EEENS1_59segmented_radix_sort_warp_sort_small_config_static_selectorELNS0_4arch9wavefront6targetE0EEEvSK_.num_vgpr, 0
	.set _ZN7rocprim17ROCPRIM_400000_NS6detail17trampoline_kernelINS0_14default_configENS1_36segmented_radix_sort_config_selectorIflEEZNS1_25segmented_radix_sort_implIS3_Lb1EPKfPfPKlPlN2at6native12_GLOBAL__N_18offset_tEEE10hipError_tPvRmT1_PNSt15iterator_traitsISK_E10value_typeET2_T3_PNSL_ISQ_E10value_typeET4_jRbjT5_SW_jjP12ihipStream_tbEUlT_E1_NS1_11comp_targetILNS1_3genE10ELNS1_11target_archE1200ELNS1_3gpuE4ELNS1_3repE0EEENS1_59segmented_radix_sort_warp_sort_small_config_static_selectorELNS0_4arch9wavefront6targetE0EEEvSK_.num_agpr, 0
	.set _ZN7rocprim17ROCPRIM_400000_NS6detail17trampoline_kernelINS0_14default_configENS1_36segmented_radix_sort_config_selectorIflEEZNS1_25segmented_radix_sort_implIS3_Lb1EPKfPfPKlPlN2at6native12_GLOBAL__N_18offset_tEEE10hipError_tPvRmT1_PNSt15iterator_traitsISK_E10value_typeET2_T3_PNSL_ISQ_E10value_typeET4_jRbjT5_SW_jjP12ihipStream_tbEUlT_E1_NS1_11comp_targetILNS1_3genE10ELNS1_11target_archE1200ELNS1_3gpuE4ELNS1_3repE0EEENS1_59segmented_radix_sort_warp_sort_small_config_static_selectorELNS0_4arch9wavefront6targetE0EEEvSK_.numbered_sgpr, 0
	.set _ZN7rocprim17ROCPRIM_400000_NS6detail17trampoline_kernelINS0_14default_configENS1_36segmented_radix_sort_config_selectorIflEEZNS1_25segmented_radix_sort_implIS3_Lb1EPKfPfPKlPlN2at6native12_GLOBAL__N_18offset_tEEE10hipError_tPvRmT1_PNSt15iterator_traitsISK_E10value_typeET2_T3_PNSL_ISQ_E10value_typeET4_jRbjT5_SW_jjP12ihipStream_tbEUlT_E1_NS1_11comp_targetILNS1_3genE10ELNS1_11target_archE1200ELNS1_3gpuE4ELNS1_3repE0EEENS1_59segmented_radix_sort_warp_sort_small_config_static_selectorELNS0_4arch9wavefront6targetE0EEEvSK_.num_named_barrier, 0
	.set _ZN7rocprim17ROCPRIM_400000_NS6detail17trampoline_kernelINS0_14default_configENS1_36segmented_radix_sort_config_selectorIflEEZNS1_25segmented_radix_sort_implIS3_Lb1EPKfPfPKlPlN2at6native12_GLOBAL__N_18offset_tEEE10hipError_tPvRmT1_PNSt15iterator_traitsISK_E10value_typeET2_T3_PNSL_ISQ_E10value_typeET4_jRbjT5_SW_jjP12ihipStream_tbEUlT_E1_NS1_11comp_targetILNS1_3genE10ELNS1_11target_archE1200ELNS1_3gpuE4ELNS1_3repE0EEENS1_59segmented_radix_sort_warp_sort_small_config_static_selectorELNS0_4arch9wavefront6targetE0EEEvSK_.private_seg_size, 0
	.set _ZN7rocprim17ROCPRIM_400000_NS6detail17trampoline_kernelINS0_14default_configENS1_36segmented_radix_sort_config_selectorIflEEZNS1_25segmented_radix_sort_implIS3_Lb1EPKfPfPKlPlN2at6native12_GLOBAL__N_18offset_tEEE10hipError_tPvRmT1_PNSt15iterator_traitsISK_E10value_typeET2_T3_PNSL_ISQ_E10value_typeET4_jRbjT5_SW_jjP12ihipStream_tbEUlT_E1_NS1_11comp_targetILNS1_3genE10ELNS1_11target_archE1200ELNS1_3gpuE4ELNS1_3repE0EEENS1_59segmented_radix_sort_warp_sort_small_config_static_selectorELNS0_4arch9wavefront6targetE0EEEvSK_.uses_vcc, 0
	.set _ZN7rocprim17ROCPRIM_400000_NS6detail17trampoline_kernelINS0_14default_configENS1_36segmented_radix_sort_config_selectorIflEEZNS1_25segmented_radix_sort_implIS3_Lb1EPKfPfPKlPlN2at6native12_GLOBAL__N_18offset_tEEE10hipError_tPvRmT1_PNSt15iterator_traitsISK_E10value_typeET2_T3_PNSL_ISQ_E10value_typeET4_jRbjT5_SW_jjP12ihipStream_tbEUlT_E1_NS1_11comp_targetILNS1_3genE10ELNS1_11target_archE1200ELNS1_3gpuE4ELNS1_3repE0EEENS1_59segmented_radix_sort_warp_sort_small_config_static_selectorELNS0_4arch9wavefront6targetE0EEEvSK_.uses_flat_scratch, 0
	.set _ZN7rocprim17ROCPRIM_400000_NS6detail17trampoline_kernelINS0_14default_configENS1_36segmented_radix_sort_config_selectorIflEEZNS1_25segmented_radix_sort_implIS3_Lb1EPKfPfPKlPlN2at6native12_GLOBAL__N_18offset_tEEE10hipError_tPvRmT1_PNSt15iterator_traitsISK_E10value_typeET2_T3_PNSL_ISQ_E10value_typeET4_jRbjT5_SW_jjP12ihipStream_tbEUlT_E1_NS1_11comp_targetILNS1_3genE10ELNS1_11target_archE1200ELNS1_3gpuE4ELNS1_3repE0EEENS1_59segmented_radix_sort_warp_sort_small_config_static_selectorELNS0_4arch9wavefront6targetE0EEEvSK_.has_dyn_sized_stack, 0
	.set _ZN7rocprim17ROCPRIM_400000_NS6detail17trampoline_kernelINS0_14default_configENS1_36segmented_radix_sort_config_selectorIflEEZNS1_25segmented_radix_sort_implIS3_Lb1EPKfPfPKlPlN2at6native12_GLOBAL__N_18offset_tEEE10hipError_tPvRmT1_PNSt15iterator_traitsISK_E10value_typeET2_T3_PNSL_ISQ_E10value_typeET4_jRbjT5_SW_jjP12ihipStream_tbEUlT_E1_NS1_11comp_targetILNS1_3genE10ELNS1_11target_archE1200ELNS1_3gpuE4ELNS1_3repE0EEENS1_59segmented_radix_sort_warp_sort_small_config_static_selectorELNS0_4arch9wavefront6targetE0EEEvSK_.has_recursion, 0
	.set _ZN7rocprim17ROCPRIM_400000_NS6detail17trampoline_kernelINS0_14default_configENS1_36segmented_radix_sort_config_selectorIflEEZNS1_25segmented_radix_sort_implIS3_Lb1EPKfPfPKlPlN2at6native12_GLOBAL__N_18offset_tEEE10hipError_tPvRmT1_PNSt15iterator_traitsISK_E10value_typeET2_T3_PNSL_ISQ_E10value_typeET4_jRbjT5_SW_jjP12ihipStream_tbEUlT_E1_NS1_11comp_targetILNS1_3genE10ELNS1_11target_archE1200ELNS1_3gpuE4ELNS1_3repE0EEENS1_59segmented_radix_sort_warp_sort_small_config_static_selectorELNS0_4arch9wavefront6targetE0EEEvSK_.has_indirect_call, 0
	.section	.AMDGPU.csdata,"",@progbits
; Kernel info:
; codeLenInByte = 0
; TotalNumSgprs: 0
; NumVgprs: 0
; ScratchSize: 0
; MemoryBound: 0
; FloatMode: 240
; IeeeMode: 1
; LDSByteSize: 0 bytes/workgroup (compile time only)
; SGPRBlocks: 0
; VGPRBlocks: 0
; NumSGPRsForWavesPerEU: 1
; NumVGPRsForWavesPerEU: 1
; NamedBarCnt: 0
; Occupancy: 16
; WaveLimiterHint : 0
; COMPUTE_PGM_RSRC2:SCRATCH_EN: 0
; COMPUTE_PGM_RSRC2:USER_SGPR: 2
; COMPUTE_PGM_RSRC2:TRAP_HANDLER: 0
; COMPUTE_PGM_RSRC2:TGID_X_EN: 1
; COMPUTE_PGM_RSRC2:TGID_Y_EN: 0
; COMPUTE_PGM_RSRC2:TGID_Z_EN: 0
; COMPUTE_PGM_RSRC2:TIDIG_COMP_CNT: 0
	.section	.text._ZN7rocprim17ROCPRIM_400000_NS6detail17trampoline_kernelINS0_14default_configENS1_36segmented_radix_sort_config_selectorIflEEZNS1_25segmented_radix_sort_implIS3_Lb1EPKfPfPKlPlN2at6native12_GLOBAL__N_18offset_tEEE10hipError_tPvRmT1_PNSt15iterator_traitsISK_E10value_typeET2_T3_PNSL_ISQ_E10value_typeET4_jRbjT5_SW_jjP12ihipStream_tbEUlT_E1_NS1_11comp_targetILNS1_3genE9ELNS1_11target_archE1100ELNS1_3gpuE3ELNS1_3repE0EEENS1_59segmented_radix_sort_warp_sort_small_config_static_selectorELNS0_4arch9wavefront6targetE0EEEvSK_,"axG",@progbits,_ZN7rocprim17ROCPRIM_400000_NS6detail17trampoline_kernelINS0_14default_configENS1_36segmented_radix_sort_config_selectorIflEEZNS1_25segmented_radix_sort_implIS3_Lb1EPKfPfPKlPlN2at6native12_GLOBAL__N_18offset_tEEE10hipError_tPvRmT1_PNSt15iterator_traitsISK_E10value_typeET2_T3_PNSL_ISQ_E10value_typeET4_jRbjT5_SW_jjP12ihipStream_tbEUlT_E1_NS1_11comp_targetILNS1_3genE9ELNS1_11target_archE1100ELNS1_3gpuE3ELNS1_3repE0EEENS1_59segmented_radix_sort_warp_sort_small_config_static_selectorELNS0_4arch9wavefront6targetE0EEEvSK_,comdat
	.globl	_ZN7rocprim17ROCPRIM_400000_NS6detail17trampoline_kernelINS0_14default_configENS1_36segmented_radix_sort_config_selectorIflEEZNS1_25segmented_radix_sort_implIS3_Lb1EPKfPfPKlPlN2at6native12_GLOBAL__N_18offset_tEEE10hipError_tPvRmT1_PNSt15iterator_traitsISK_E10value_typeET2_T3_PNSL_ISQ_E10value_typeET4_jRbjT5_SW_jjP12ihipStream_tbEUlT_E1_NS1_11comp_targetILNS1_3genE9ELNS1_11target_archE1100ELNS1_3gpuE3ELNS1_3repE0EEENS1_59segmented_radix_sort_warp_sort_small_config_static_selectorELNS0_4arch9wavefront6targetE0EEEvSK_ ; -- Begin function _ZN7rocprim17ROCPRIM_400000_NS6detail17trampoline_kernelINS0_14default_configENS1_36segmented_radix_sort_config_selectorIflEEZNS1_25segmented_radix_sort_implIS3_Lb1EPKfPfPKlPlN2at6native12_GLOBAL__N_18offset_tEEE10hipError_tPvRmT1_PNSt15iterator_traitsISK_E10value_typeET2_T3_PNSL_ISQ_E10value_typeET4_jRbjT5_SW_jjP12ihipStream_tbEUlT_E1_NS1_11comp_targetILNS1_3genE9ELNS1_11target_archE1100ELNS1_3gpuE3ELNS1_3repE0EEENS1_59segmented_radix_sort_warp_sort_small_config_static_selectorELNS0_4arch9wavefront6targetE0EEEvSK_
	.p2align	8
	.type	_ZN7rocprim17ROCPRIM_400000_NS6detail17trampoline_kernelINS0_14default_configENS1_36segmented_radix_sort_config_selectorIflEEZNS1_25segmented_radix_sort_implIS3_Lb1EPKfPfPKlPlN2at6native12_GLOBAL__N_18offset_tEEE10hipError_tPvRmT1_PNSt15iterator_traitsISK_E10value_typeET2_T3_PNSL_ISQ_E10value_typeET4_jRbjT5_SW_jjP12ihipStream_tbEUlT_E1_NS1_11comp_targetILNS1_3genE9ELNS1_11target_archE1100ELNS1_3gpuE3ELNS1_3repE0EEENS1_59segmented_radix_sort_warp_sort_small_config_static_selectorELNS0_4arch9wavefront6targetE0EEEvSK_,@function
_ZN7rocprim17ROCPRIM_400000_NS6detail17trampoline_kernelINS0_14default_configENS1_36segmented_radix_sort_config_selectorIflEEZNS1_25segmented_radix_sort_implIS3_Lb1EPKfPfPKlPlN2at6native12_GLOBAL__N_18offset_tEEE10hipError_tPvRmT1_PNSt15iterator_traitsISK_E10value_typeET2_T3_PNSL_ISQ_E10value_typeET4_jRbjT5_SW_jjP12ihipStream_tbEUlT_E1_NS1_11comp_targetILNS1_3genE9ELNS1_11target_archE1100ELNS1_3gpuE3ELNS1_3repE0EEENS1_59segmented_radix_sort_warp_sort_small_config_static_selectorELNS0_4arch9wavefront6targetE0EEEvSK_: ; @_ZN7rocprim17ROCPRIM_400000_NS6detail17trampoline_kernelINS0_14default_configENS1_36segmented_radix_sort_config_selectorIflEEZNS1_25segmented_radix_sort_implIS3_Lb1EPKfPfPKlPlN2at6native12_GLOBAL__N_18offset_tEEE10hipError_tPvRmT1_PNSt15iterator_traitsISK_E10value_typeET2_T3_PNSL_ISQ_E10value_typeET4_jRbjT5_SW_jjP12ihipStream_tbEUlT_E1_NS1_11comp_targetILNS1_3genE9ELNS1_11target_archE1100ELNS1_3gpuE3ELNS1_3repE0EEENS1_59segmented_radix_sort_warp_sort_small_config_static_selectorELNS0_4arch9wavefront6targetE0EEEvSK_
; %bb.0:
	.section	.rodata,"a",@progbits
	.p2align	6, 0x0
	.amdhsa_kernel _ZN7rocprim17ROCPRIM_400000_NS6detail17trampoline_kernelINS0_14default_configENS1_36segmented_radix_sort_config_selectorIflEEZNS1_25segmented_radix_sort_implIS3_Lb1EPKfPfPKlPlN2at6native12_GLOBAL__N_18offset_tEEE10hipError_tPvRmT1_PNSt15iterator_traitsISK_E10value_typeET2_T3_PNSL_ISQ_E10value_typeET4_jRbjT5_SW_jjP12ihipStream_tbEUlT_E1_NS1_11comp_targetILNS1_3genE9ELNS1_11target_archE1100ELNS1_3gpuE3ELNS1_3repE0EEENS1_59segmented_radix_sort_warp_sort_small_config_static_selectorELNS0_4arch9wavefront6targetE0EEEvSK_
		.amdhsa_group_segment_fixed_size 0
		.amdhsa_private_segment_fixed_size 0
		.amdhsa_kernarg_size 88
		.amdhsa_user_sgpr_count 2
		.amdhsa_user_sgpr_dispatch_ptr 0
		.amdhsa_user_sgpr_queue_ptr 0
		.amdhsa_user_sgpr_kernarg_segment_ptr 1
		.amdhsa_user_sgpr_dispatch_id 0
		.amdhsa_user_sgpr_kernarg_preload_length 0
		.amdhsa_user_sgpr_kernarg_preload_offset 0
		.amdhsa_user_sgpr_private_segment_size 0
		.amdhsa_wavefront_size32 1
		.amdhsa_uses_dynamic_stack 0
		.amdhsa_enable_private_segment 0
		.amdhsa_system_sgpr_workgroup_id_x 1
		.amdhsa_system_sgpr_workgroup_id_y 0
		.amdhsa_system_sgpr_workgroup_id_z 0
		.amdhsa_system_sgpr_workgroup_info 0
		.amdhsa_system_vgpr_workitem_id 0
		.amdhsa_next_free_vgpr 1
		.amdhsa_next_free_sgpr 1
		.amdhsa_named_barrier_count 0
		.amdhsa_reserve_vcc 0
		.amdhsa_float_round_mode_32 0
		.amdhsa_float_round_mode_16_64 0
		.amdhsa_float_denorm_mode_32 3
		.amdhsa_float_denorm_mode_16_64 3
		.amdhsa_fp16_overflow 0
		.amdhsa_memory_ordered 1
		.amdhsa_forward_progress 1
		.amdhsa_inst_pref_size 0
		.amdhsa_round_robin_scheduling 0
		.amdhsa_exception_fp_ieee_invalid_op 0
		.amdhsa_exception_fp_denorm_src 0
		.amdhsa_exception_fp_ieee_div_zero 0
		.amdhsa_exception_fp_ieee_overflow 0
		.amdhsa_exception_fp_ieee_underflow 0
		.amdhsa_exception_fp_ieee_inexact 0
		.amdhsa_exception_int_div_zero 0
	.end_amdhsa_kernel
	.section	.text._ZN7rocprim17ROCPRIM_400000_NS6detail17trampoline_kernelINS0_14default_configENS1_36segmented_radix_sort_config_selectorIflEEZNS1_25segmented_radix_sort_implIS3_Lb1EPKfPfPKlPlN2at6native12_GLOBAL__N_18offset_tEEE10hipError_tPvRmT1_PNSt15iterator_traitsISK_E10value_typeET2_T3_PNSL_ISQ_E10value_typeET4_jRbjT5_SW_jjP12ihipStream_tbEUlT_E1_NS1_11comp_targetILNS1_3genE9ELNS1_11target_archE1100ELNS1_3gpuE3ELNS1_3repE0EEENS1_59segmented_radix_sort_warp_sort_small_config_static_selectorELNS0_4arch9wavefront6targetE0EEEvSK_,"axG",@progbits,_ZN7rocprim17ROCPRIM_400000_NS6detail17trampoline_kernelINS0_14default_configENS1_36segmented_radix_sort_config_selectorIflEEZNS1_25segmented_radix_sort_implIS3_Lb1EPKfPfPKlPlN2at6native12_GLOBAL__N_18offset_tEEE10hipError_tPvRmT1_PNSt15iterator_traitsISK_E10value_typeET2_T3_PNSL_ISQ_E10value_typeET4_jRbjT5_SW_jjP12ihipStream_tbEUlT_E1_NS1_11comp_targetILNS1_3genE9ELNS1_11target_archE1100ELNS1_3gpuE3ELNS1_3repE0EEENS1_59segmented_radix_sort_warp_sort_small_config_static_selectorELNS0_4arch9wavefront6targetE0EEEvSK_,comdat
.Lfunc_end1346:
	.size	_ZN7rocprim17ROCPRIM_400000_NS6detail17trampoline_kernelINS0_14default_configENS1_36segmented_radix_sort_config_selectorIflEEZNS1_25segmented_radix_sort_implIS3_Lb1EPKfPfPKlPlN2at6native12_GLOBAL__N_18offset_tEEE10hipError_tPvRmT1_PNSt15iterator_traitsISK_E10value_typeET2_T3_PNSL_ISQ_E10value_typeET4_jRbjT5_SW_jjP12ihipStream_tbEUlT_E1_NS1_11comp_targetILNS1_3genE9ELNS1_11target_archE1100ELNS1_3gpuE3ELNS1_3repE0EEENS1_59segmented_radix_sort_warp_sort_small_config_static_selectorELNS0_4arch9wavefront6targetE0EEEvSK_, .Lfunc_end1346-_ZN7rocprim17ROCPRIM_400000_NS6detail17trampoline_kernelINS0_14default_configENS1_36segmented_radix_sort_config_selectorIflEEZNS1_25segmented_radix_sort_implIS3_Lb1EPKfPfPKlPlN2at6native12_GLOBAL__N_18offset_tEEE10hipError_tPvRmT1_PNSt15iterator_traitsISK_E10value_typeET2_T3_PNSL_ISQ_E10value_typeET4_jRbjT5_SW_jjP12ihipStream_tbEUlT_E1_NS1_11comp_targetILNS1_3genE9ELNS1_11target_archE1100ELNS1_3gpuE3ELNS1_3repE0EEENS1_59segmented_radix_sort_warp_sort_small_config_static_selectorELNS0_4arch9wavefront6targetE0EEEvSK_
                                        ; -- End function
	.set _ZN7rocprim17ROCPRIM_400000_NS6detail17trampoline_kernelINS0_14default_configENS1_36segmented_radix_sort_config_selectorIflEEZNS1_25segmented_radix_sort_implIS3_Lb1EPKfPfPKlPlN2at6native12_GLOBAL__N_18offset_tEEE10hipError_tPvRmT1_PNSt15iterator_traitsISK_E10value_typeET2_T3_PNSL_ISQ_E10value_typeET4_jRbjT5_SW_jjP12ihipStream_tbEUlT_E1_NS1_11comp_targetILNS1_3genE9ELNS1_11target_archE1100ELNS1_3gpuE3ELNS1_3repE0EEENS1_59segmented_radix_sort_warp_sort_small_config_static_selectorELNS0_4arch9wavefront6targetE0EEEvSK_.num_vgpr, 0
	.set _ZN7rocprim17ROCPRIM_400000_NS6detail17trampoline_kernelINS0_14default_configENS1_36segmented_radix_sort_config_selectorIflEEZNS1_25segmented_radix_sort_implIS3_Lb1EPKfPfPKlPlN2at6native12_GLOBAL__N_18offset_tEEE10hipError_tPvRmT1_PNSt15iterator_traitsISK_E10value_typeET2_T3_PNSL_ISQ_E10value_typeET4_jRbjT5_SW_jjP12ihipStream_tbEUlT_E1_NS1_11comp_targetILNS1_3genE9ELNS1_11target_archE1100ELNS1_3gpuE3ELNS1_3repE0EEENS1_59segmented_radix_sort_warp_sort_small_config_static_selectorELNS0_4arch9wavefront6targetE0EEEvSK_.num_agpr, 0
	.set _ZN7rocprim17ROCPRIM_400000_NS6detail17trampoline_kernelINS0_14default_configENS1_36segmented_radix_sort_config_selectorIflEEZNS1_25segmented_radix_sort_implIS3_Lb1EPKfPfPKlPlN2at6native12_GLOBAL__N_18offset_tEEE10hipError_tPvRmT1_PNSt15iterator_traitsISK_E10value_typeET2_T3_PNSL_ISQ_E10value_typeET4_jRbjT5_SW_jjP12ihipStream_tbEUlT_E1_NS1_11comp_targetILNS1_3genE9ELNS1_11target_archE1100ELNS1_3gpuE3ELNS1_3repE0EEENS1_59segmented_radix_sort_warp_sort_small_config_static_selectorELNS0_4arch9wavefront6targetE0EEEvSK_.numbered_sgpr, 0
	.set _ZN7rocprim17ROCPRIM_400000_NS6detail17trampoline_kernelINS0_14default_configENS1_36segmented_radix_sort_config_selectorIflEEZNS1_25segmented_radix_sort_implIS3_Lb1EPKfPfPKlPlN2at6native12_GLOBAL__N_18offset_tEEE10hipError_tPvRmT1_PNSt15iterator_traitsISK_E10value_typeET2_T3_PNSL_ISQ_E10value_typeET4_jRbjT5_SW_jjP12ihipStream_tbEUlT_E1_NS1_11comp_targetILNS1_3genE9ELNS1_11target_archE1100ELNS1_3gpuE3ELNS1_3repE0EEENS1_59segmented_radix_sort_warp_sort_small_config_static_selectorELNS0_4arch9wavefront6targetE0EEEvSK_.num_named_barrier, 0
	.set _ZN7rocprim17ROCPRIM_400000_NS6detail17trampoline_kernelINS0_14default_configENS1_36segmented_radix_sort_config_selectorIflEEZNS1_25segmented_radix_sort_implIS3_Lb1EPKfPfPKlPlN2at6native12_GLOBAL__N_18offset_tEEE10hipError_tPvRmT1_PNSt15iterator_traitsISK_E10value_typeET2_T3_PNSL_ISQ_E10value_typeET4_jRbjT5_SW_jjP12ihipStream_tbEUlT_E1_NS1_11comp_targetILNS1_3genE9ELNS1_11target_archE1100ELNS1_3gpuE3ELNS1_3repE0EEENS1_59segmented_radix_sort_warp_sort_small_config_static_selectorELNS0_4arch9wavefront6targetE0EEEvSK_.private_seg_size, 0
	.set _ZN7rocprim17ROCPRIM_400000_NS6detail17trampoline_kernelINS0_14default_configENS1_36segmented_radix_sort_config_selectorIflEEZNS1_25segmented_radix_sort_implIS3_Lb1EPKfPfPKlPlN2at6native12_GLOBAL__N_18offset_tEEE10hipError_tPvRmT1_PNSt15iterator_traitsISK_E10value_typeET2_T3_PNSL_ISQ_E10value_typeET4_jRbjT5_SW_jjP12ihipStream_tbEUlT_E1_NS1_11comp_targetILNS1_3genE9ELNS1_11target_archE1100ELNS1_3gpuE3ELNS1_3repE0EEENS1_59segmented_radix_sort_warp_sort_small_config_static_selectorELNS0_4arch9wavefront6targetE0EEEvSK_.uses_vcc, 0
	.set _ZN7rocprim17ROCPRIM_400000_NS6detail17trampoline_kernelINS0_14default_configENS1_36segmented_radix_sort_config_selectorIflEEZNS1_25segmented_radix_sort_implIS3_Lb1EPKfPfPKlPlN2at6native12_GLOBAL__N_18offset_tEEE10hipError_tPvRmT1_PNSt15iterator_traitsISK_E10value_typeET2_T3_PNSL_ISQ_E10value_typeET4_jRbjT5_SW_jjP12ihipStream_tbEUlT_E1_NS1_11comp_targetILNS1_3genE9ELNS1_11target_archE1100ELNS1_3gpuE3ELNS1_3repE0EEENS1_59segmented_radix_sort_warp_sort_small_config_static_selectorELNS0_4arch9wavefront6targetE0EEEvSK_.uses_flat_scratch, 0
	.set _ZN7rocprim17ROCPRIM_400000_NS6detail17trampoline_kernelINS0_14default_configENS1_36segmented_radix_sort_config_selectorIflEEZNS1_25segmented_radix_sort_implIS3_Lb1EPKfPfPKlPlN2at6native12_GLOBAL__N_18offset_tEEE10hipError_tPvRmT1_PNSt15iterator_traitsISK_E10value_typeET2_T3_PNSL_ISQ_E10value_typeET4_jRbjT5_SW_jjP12ihipStream_tbEUlT_E1_NS1_11comp_targetILNS1_3genE9ELNS1_11target_archE1100ELNS1_3gpuE3ELNS1_3repE0EEENS1_59segmented_radix_sort_warp_sort_small_config_static_selectorELNS0_4arch9wavefront6targetE0EEEvSK_.has_dyn_sized_stack, 0
	.set _ZN7rocprim17ROCPRIM_400000_NS6detail17trampoline_kernelINS0_14default_configENS1_36segmented_radix_sort_config_selectorIflEEZNS1_25segmented_radix_sort_implIS3_Lb1EPKfPfPKlPlN2at6native12_GLOBAL__N_18offset_tEEE10hipError_tPvRmT1_PNSt15iterator_traitsISK_E10value_typeET2_T3_PNSL_ISQ_E10value_typeET4_jRbjT5_SW_jjP12ihipStream_tbEUlT_E1_NS1_11comp_targetILNS1_3genE9ELNS1_11target_archE1100ELNS1_3gpuE3ELNS1_3repE0EEENS1_59segmented_radix_sort_warp_sort_small_config_static_selectorELNS0_4arch9wavefront6targetE0EEEvSK_.has_recursion, 0
	.set _ZN7rocprim17ROCPRIM_400000_NS6detail17trampoline_kernelINS0_14default_configENS1_36segmented_radix_sort_config_selectorIflEEZNS1_25segmented_radix_sort_implIS3_Lb1EPKfPfPKlPlN2at6native12_GLOBAL__N_18offset_tEEE10hipError_tPvRmT1_PNSt15iterator_traitsISK_E10value_typeET2_T3_PNSL_ISQ_E10value_typeET4_jRbjT5_SW_jjP12ihipStream_tbEUlT_E1_NS1_11comp_targetILNS1_3genE9ELNS1_11target_archE1100ELNS1_3gpuE3ELNS1_3repE0EEENS1_59segmented_radix_sort_warp_sort_small_config_static_selectorELNS0_4arch9wavefront6targetE0EEEvSK_.has_indirect_call, 0
	.section	.AMDGPU.csdata,"",@progbits
; Kernel info:
; codeLenInByte = 0
; TotalNumSgprs: 0
; NumVgprs: 0
; ScratchSize: 0
; MemoryBound: 0
; FloatMode: 240
; IeeeMode: 1
; LDSByteSize: 0 bytes/workgroup (compile time only)
; SGPRBlocks: 0
; VGPRBlocks: 0
; NumSGPRsForWavesPerEU: 1
; NumVGPRsForWavesPerEU: 1
; NamedBarCnt: 0
; Occupancy: 16
; WaveLimiterHint : 0
; COMPUTE_PGM_RSRC2:SCRATCH_EN: 0
; COMPUTE_PGM_RSRC2:USER_SGPR: 2
; COMPUTE_PGM_RSRC2:TRAP_HANDLER: 0
; COMPUTE_PGM_RSRC2:TGID_X_EN: 1
; COMPUTE_PGM_RSRC2:TGID_Y_EN: 0
; COMPUTE_PGM_RSRC2:TGID_Z_EN: 0
; COMPUTE_PGM_RSRC2:TIDIG_COMP_CNT: 0
	.section	.text._ZN7rocprim17ROCPRIM_400000_NS6detail17trampoline_kernelINS0_14default_configENS1_36segmented_radix_sort_config_selectorIflEEZNS1_25segmented_radix_sort_implIS3_Lb1EPKfPfPKlPlN2at6native12_GLOBAL__N_18offset_tEEE10hipError_tPvRmT1_PNSt15iterator_traitsISK_E10value_typeET2_T3_PNSL_ISQ_E10value_typeET4_jRbjT5_SW_jjP12ihipStream_tbEUlT_E1_NS1_11comp_targetILNS1_3genE8ELNS1_11target_archE1030ELNS1_3gpuE2ELNS1_3repE0EEENS1_59segmented_radix_sort_warp_sort_small_config_static_selectorELNS0_4arch9wavefront6targetE0EEEvSK_,"axG",@progbits,_ZN7rocprim17ROCPRIM_400000_NS6detail17trampoline_kernelINS0_14default_configENS1_36segmented_radix_sort_config_selectorIflEEZNS1_25segmented_radix_sort_implIS3_Lb1EPKfPfPKlPlN2at6native12_GLOBAL__N_18offset_tEEE10hipError_tPvRmT1_PNSt15iterator_traitsISK_E10value_typeET2_T3_PNSL_ISQ_E10value_typeET4_jRbjT5_SW_jjP12ihipStream_tbEUlT_E1_NS1_11comp_targetILNS1_3genE8ELNS1_11target_archE1030ELNS1_3gpuE2ELNS1_3repE0EEENS1_59segmented_radix_sort_warp_sort_small_config_static_selectorELNS0_4arch9wavefront6targetE0EEEvSK_,comdat
	.globl	_ZN7rocprim17ROCPRIM_400000_NS6detail17trampoline_kernelINS0_14default_configENS1_36segmented_radix_sort_config_selectorIflEEZNS1_25segmented_radix_sort_implIS3_Lb1EPKfPfPKlPlN2at6native12_GLOBAL__N_18offset_tEEE10hipError_tPvRmT1_PNSt15iterator_traitsISK_E10value_typeET2_T3_PNSL_ISQ_E10value_typeET4_jRbjT5_SW_jjP12ihipStream_tbEUlT_E1_NS1_11comp_targetILNS1_3genE8ELNS1_11target_archE1030ELNS1_3gpuE2ELNS1_3repE0EEENS1_59segmented_radix_sort_warp_sort_small_config_static_selectorELNS0_4arch9wavefront6targetE0EEEvSK_ ; -- Begin function _ZN7rocprim17ROCPRIM_400000_NS6detail17trampoline_kernelINS0_14default_configENS1_36segmented_radix_sort_config_selectorIflEEZNS1_25segmented_radix_sort_implIS3_Lb1EPKfPfPKlPlN2at6native12_GLOBAL__N_18offset_tEEE10hipError_tPvRmT1_PNSt15iterator_traitsISK_E10value_typeET2_T3_PNSL_ISQ_E10value_typeET4_jRbjT5_SW_jjP12ihipStream_tbEUlT_E1_NS1_11comp_targetILNS1_3genE8ELNS1_11target_archE1030ELNS1_3gpuE2ELNS1_3repE0EEENS1_59segmented_radix_sort_warp_sort_small_config_static_selectorELNS0_4arch9wavefront6targetE0EEEvSK_
	.p2align	8
	.type	_ZN7rocprim17ROCPRIM_400000_NS6detail17trampoline_kernelINS0_14default_configENS1_36segmented_radix_sort_config_selectorIflEEZNS1_25segmented_radix_sort_implIS3_Lb1EPKfPfPKlPlN2at6native12_GLOBAL__N_18offset_tEEE10hipError_tPvRmT1_PNSt15iterator_traitsISK_E10value_typeET2_T3_PNSL_ISQ_E10value_typeET4_jRbjT5_SW_jjP12ihipStream_tbEUlT_E1_NS1_11comp_targetILNS1_3genE8ELNS1_11target_archE1030ELNS1_3gpuE2ELNS1_3repE0EEENS1_59segmented_radix_sort_warp_sort_small_config_static_selectorELNS0_4arch9wavefront6targetE0EEEvSK_,@function
_ZN7rocprim17ROCPRIM_400000_NS6detail17trampoline_kernelINS0_14default_configENS1_36segmented_radix_sort_config_selectorIflEEZNS1_25segmented_radix_sort_implIS3_Lb1EPKfPfPKlPlN2at6native12_GLOBAL__N_18offset_tEEE10hipError_tPvRmT1_PNSt15iterator_traitsISK_E10value_typeET2_T3_PNSL_ISQ_E10value_typeET4_jRbjT5_SW_jjP12ihipStream_tbEUlT_E1_NS1_11comp_targetILNS1_3genE8ELNS1_11target_archE1030ELNS1_3gpuE2ELNS1_3repE0EEENS1_59segmented_radix_sort_warp_sort_small_config_static_selectorELNS0_4arch9wavefront6targetE0EEEvSK_: ; @_ZN7rocprim17ROCPRIM_400000_NS6detail17trampoline_kernelINS0_14default_configENS1_36segmented_radix_sort_config_selectorIflEEZNS1_25segmented_radix_sort_implIS3_Lb1EPKfPfPKlPlN2at6native12_GLOBAL__N_18offset_tEEE10hipError_tPvRmT1_PNSt15iterator_traitsISK_E10value_typeET2_T3_PNSL_ISQ_E10value_typeET4_jRbjT5_SW_jjP12ihipStream_tbEUlT_E1_NS1_11comp_targetILNS1_3genE8ELNS1_11target_archE1030ELNS1_3gpuE2ELNS1_3repE0EEENS1_59segmented_radix_sort_warp_sort_small_config_static_selectorELNS0_4arch9wavefront6targetE0EEEvSK_
; %bb.0:
	.section	.rodata,"a",@progbits
	.p2align	6, 0x0
	.amdhsa_kernel _ZN7rocprim17ROCPRIM_400000_NS6detail17trampoline_kernelINS0_14default_configENS1_36segmented_radix_sort_config_selectorIflEEZNS1_25segmented_radix_sort_implIS3_Lb1EPKfPfPKlPlN2at6native12_GLOBAL__N_18offset_tEEE10hipError_tPvRmT1_PNSt15iterator_traitsISK_E10value_typeET2_T3_PNSL_ISQ_E10value_typeET4_jRbjT5_SW_jjP12ihipStream_tbEUlT_E1_NS1_11comp_targetILNS1_3genE8ELNS1_11target_archE1030ELNS1_3gpuE2ELNS1_3repE0EEENS1_59segmented_radix_sort_warp_sort_small_config_static_selectorELNS0_4arch9wavefront6targetE0EEEvSK_
		.amdhsa_group_segment_fixed_size 0
		.amdhsa_private_segment_fixed_size 0
		.amdhsa_kernarg_size 88
		.amdhsa_user_sgpr_count 2
		.amdhsa_user_sgpr_dispatch_ptr 0
		.amdhsa_user_sgpr_queue_ptr 0
		.amdhsa_user_sgpr_kernarg_segment_ptr 1
		.amdhsa_user_sgpr_dispatch_id 0
		.amdhsa_user_sgpr_kernarg_preload_length 0
		.amdhsa_user_sgpr_kernarg_preload_offset 0
		.amdhsa_user_sgpr_private_segment_size 0
		.amdhsa_wavefront_size32 1
		.amdhsa_uses_dynamic_stack 0
		.amdhsa_enable_private_segment 0
		.amdhsa_system_sgpr_workgroup_id_x 1
		.amdhsa_system_sgpr_workgroup_id_y 0
		.amdhsa_system_sgpr_workgroup_id_z 0
		.amdhsa_system_sgpr_workgroup_info 0
		.amdhsa_system_vgpr_workitem_id 0
		.amdhsa_next_free_vgpr 1
		.amdhsa_next_free_sgpr 1
		.amdhsa_named_barrier_count 0
		.amdhsa_reserve_vcc 0
		.amdhsa_float_round_mode_32 0
		.amdhsa_float_round_mode_16_64 0
		.amdhsa_float_denorm_mode_32 3
		.amdhsa_float_denorm_mode_16_64 3
		.amdhsa_fp16_overflow 0
		.amdhsa_memory_ordered 1
		.amdhsa_forward_progress 1
		.amdhsa_inst_pref_size 0
		.amdhsa_round_robin_scheduling 0
		.amdhsa_exception_fp_ieee_invalid_op 0
		.amdhsa_exception_fp_denorm_src 0
		.amdhsa_exception_fp_ieee_div_zero 0
		.amdhsa_exception_fp_ieee_overflow 0
		.amdhsa_exception_fp_ieee_underflow 0
		.amdhsa_exception_fp_ieee_inexact 0
		.amdhsa_exception_int_div_zero 0
	.end_amdhsa_kernel
	.section	.text._ZN7rocprim17ROCPRIM_400000_NS6detail17trampoline_kernelINS0_14default_configENS1_36segmented_radix_sort_config_selectorIflEEZNS1_25segmented_radix_sort_implIS3_Lb1EPKfPfPKlPlN2at6native12_GLOBAL__N_18offset_tEEE10hipError_tPvRmT1_PNSt15iterator_traitsISK_E10value_typeET2_T3_PNSL_ISQ_E10value_typeET4_jRbjT5_SW_jjP12ihipStream_tbEUlT_E1_NS1_11comp_targetILNS1_3genE8ELNS1_11target_archE1030ELNS1_3gpuE2ELNS1_3repE0EEENS1_59segmented_radix_sort_warp_sort_small_config_static_selectorELNS0_4arch9wavefront6targetE0EEEvSK_,"axG",@progbits,_ZN7rocprim17ROCPRIM_400000_NS6detail17trampoline_kernelINS0_14default_configENS1_36segmented_radix_sort_config_selectorIflEEZNS1_25segmented_radix_sort_implIS3_Lb1EPKfPfPKlPlN2at6native12_GLOBAL__N_18offset_tEEE10hipError_tPvRmT1_PNSt15iterator_traitsISK_E10value_typeET2_T3_PNSL_ISQ_E10value_typeET4_jRbjT5_SW_jjP12ihipStream_tbEUlT_E1_NS1_11comp_targetILNS1_3genE8ELNS1_11target_archE1030ELNS1_3gpuE2ELNS1_3repE0EEENS1_59segmented_radix_sort_warp_sort_small_config_static_selectorELNS0_4arch9wavefront6targetE0EEEvSK_,comdat
.Lfunc_end1347:
	.size	_ZN7rocprim17ROCPRIM_400000_NS6detail17trampoline_kernelINS0_14default_configENS1_36segmented_radix_sort_config_selectorIflEEZNS1_25segmented_radix_sort_implIS3_Lb1EPKfPfPKlPlN2at6native12_GLOBAL__N_18offset_tEEE10hipError_tPvRmT1_PNSt15iterator_traitsISK_E10value_typeET2_T3_PNSL_ISQ_E10value_typeET4_jRbjT5_SW_jjP12ihipStream_tbEUlT_E1_NS1_11comp_targetILNS1_3genE8ELNS1_11target_archE1030ELNS1_3gpuE2ELNS1_3repE0EEENS1_59segmented_radix_sort_warp_sort_small_config_static_selectorELNS0_4arch9wavefront6targetE0EEEvSK_, .Lfunc_end1347-_ZN7rocprim17ROCPRIM_400000_NS6detail17trampoline_kernelINS0_14default_configENS1_36segmented_radix_sort_config_selectorIflEEZNS1_25segmented_radix_sort_implIS3_Lb1EPKfPfPKlPlN2at6native12_GLOBAL__N_18offset_tEEE10hipError_tPvRmT1_PNSt15iterator_traitsISK_E10value_typeET2_T3_PNSL_ISQ_E10value_typeET4_jRbjT5_SW_jjP12ihipStream_tbEUlT_E1_NS1_11comp_targetILNS1_3genE8ELNS1_11target_archE1030ELNS1_3gpuE2ELNS1_3repE0EEENS1_59segmented_radix_sort_warp_sort_small_config_static_selectorELNS0_4arch9wavefront6targetE0EEEvSK_
                                        ; -- End function
	.set _ZN7rocprim17ROCPRIM_400000_NS6detail17trampoline_kernelINS0_14default_configENS1_36segmented_radix_sort_config_selectorIflEEZNS1_25segmented_radix_sort_implIS3_Lb1EPKfPfPKlPlN2at6native12_GLOBAL__N_18offset_tEEE10hipError_tPvRmT1_PNSt15iterator_traitsISK_E10value_typeET2_T3_PNSL_ISQ_E10value_typeET4_jRbjT5_SW_jjP12ihipStream_tbEUlT_E1_NS1_11comp_targetILNS1_3genE8ELNS1_11target_archE1030ELNS1_3gpuE2ELNS1_3repE0EEENS1_59segmented_radix_sort_warp_sort_small_config_static_selectorELNS0_4arch9wavefront6targetE0EEEvSK_.num_vgpr, 0
	.set _ZN7rocprim17ROCPRIM_400000_NS6detail17trampoline_kernelINS0_14default_configENS1_36segmented_radix_sort_config_selectorIflEEZNS1_25segmented_radix_sort_implIS3_Lb1EPKfPfPKlPlN2at6native12_GLOBAL__N_18offset_tEEE10hipError_tPvRmT1_PNSt15iterator_traitsISK_E10value_typeET2_T3_PNSL_ISQ_E10value_typeET4_jRbjT5_SW_jjP12ihipStream_tbEUlT_E1_NS1_11comp_targetILNS1_3genE8ELNS1_11target_archE1030ELNS1_3gpuE2ELNS1_3repE0EEENS1_59segmented_radix_sort_warp_sort_small_config_static_selectorELNS0_4arch9wavefront6targetE0EEEvSK_.num_agpr, 0
	.set _ZN7rocprim17ROCPRIM_400000_NS6detail17trampoline_kernelINS0_14default_configENS1_36segmented_radix_sort_config_selectorIflEEZNS1_25segmented_radix_sort_implIS3_Lb1EPKfPfPKlPlN2at6native12_GLOBAL__N_18offset_tEEE10hipError_tPvRmT1_PNSt15iterator_traitsISK_E10value_typeET2_T3_PNSL_ISQ_E10value_typeET4_jRbjT5_SW_jjP12ihipStream_tbEUlT_E1_NS1_11comp_targetILNS1_3genE8ELNS1_11target_archE1030ELNS1_3gpuE2ELNS1_3repE0EEENS1_59segmented_radix_sort_warp_sort_small_config_static_selectorELNS0_4arch9wavefront6targetE0EEEvSK_.numbered_sgpr, 0
	.set _ZN7rocprim17ROCPRIM_400000_NS6detail17trampoline_kernelINS0_14default_configENS1_36segmented_radix_sort_config_selectorIflEEZNS1_25segmented_radix_sort_implIS3_Lb1EPKfPfPKlPlN2at6native12_GLOBAL__N_18offset_tEEE10hipError_tPvRmT1_PNSt15iterator_traitsISK_E10value_typeET2_T3_PNSL_ISQ_E10value_typeET4_jRbjT5_SW_jjP12ihipStream_tbEUlT_E1_NS1_11comp_targetILNS1_3genE8ELNS1_11target_archE1030ELNS1_3gpuE2ELNS1_3repE0EEENS1_59segmented_radix_sort_warp_sort_small_config_static_selectorELNS0_4arch9wavefront6targetE0EEEvSK_.num_named_barrier, 0
	.set _ZN7rocprim17ROCPRIM_400000_NS6detail17trampoline_kernelINS0_14default_configENS1_36segmented_radix_sort_config_selectorIflEEZNS1_25segmented_radix_sort_implIS3_Lb1EPKfPfPKlPlN2at6native12_GLOBAL__N_18offset_tEEE10hipError_tPvRmT1_PNSt15iterator_traitsISK_E10value_typeET2_T3_PNSL_ISQ_E10value_typeET4_jRbjT5_SW_jjP12ihipStream_tbEUlT_E1_NS1_11comp_targetILNS1_3genE8ELNS1_11target_archE1030ELNS1_3gpuE2ELNS1_3repE0EEENS1_59segmented_radix_sort_warp_sort_small_config_static_selectorELNS0_4arch9wavefront6targetE0EEEvSK_.private_seg_size, 0
	.set _ZN7rocprim17ROCPRIM_400000_NS6detail17trampoline_kernelINS0_14default_configENS1_36segmented_radix_sort_config_selectorIflEEZNS1_25segmented_radix_sort_implIS3_Lb1EPKfPfPKlPlN2at6native12_GLOBAL__N_18offset_tEEE10hipError_tPvRmT1_PNSt15iterator_traitsISK_E10value_typeET2_T3_PNSL_ISQ_E10value_typeET4_jRbjT5_SW_jjP12ihipStream_tbEUlT_E1_NS1_11comp_targetILNS1_3genE8ELNS1_11target_archE1030ELNS1_3gpuE2ELNS1_3repE0EEENS1_59segmented_radix_sort_warp_sort_small_config_static_selectorELNS0_4arch9wavefront6targetE0EEEvSK_.uses_vcc, 0
	.set _ZN7rocprim17ROCPRIM_400000_NS6detail17trampoline_kernelINS0_14default_configENS1_36segmented_radix_sort_config_selectorIflEEZNS1_25segmented_radix_sort_implIS3_Lb1EPKfPfPKlPlN2at6native12_GLOBAL__N_18offset_tEEE10hipError_tPvRmT1_PNSt15iterator_traitsISK_E10value_typeET2_T3_PNSL_ISQ_E10value_typeET4_jRbjT5_SW_jjP12ihipStream_tbEUlT_E1_NS1_11comp_targetILNS1_3genE8ELNS1_11target_archE1030ELNS1_3gpuE2ELNS1_3repE0EEENS1_59segmented_radix_sort_warp_sort_small_config_static_selectorELNS0_4arch9wavefront6targetE0EEEvSK_.uses_flat_scratch, 0
	.set _ZN7rocprim17ROCPRIM_400000_NS6detail17trampoline_kernelINS0_14default_configENS1_36segmented_radix_sort_config_selectorIflEEZNS1_25segmented_radix_sort_implIS3_Lb1EPKfPfPKlPlN2at6native12_GLOBAL__N_18offset_tEEE10hipError_tPvRmT1_PNSt15iterator_traitsISK_E10value_typeET2_T3_PNSL_ISQ_E10value_typeET4_jRbjT5_SW_jjP12ihipStream_tbEUlT_E1_NS1_11comp_targetILNS1_3genE8ELNS1_11target_archE1030ELNS1_3gpuE2ELNS1_3repE0EEENS1_59segmented_radix_sort_warp_sort_small_config_static_selectorELNS0_4arch9wavefront6targetE0EEEvSK_.has_dyn_sized_stack, 0
	.set _ZN7rocprim17ROCPRIM_400000_NS6detail17trampoline_kernelINS0_14default_configENS1_36segmented_radix_sort_config_selectorIflEEZNS1_25segmented_radix_sort_implIS3_Lb1EPKfPfPKlPlN2at6native12_GLOBAL__N_18offset_tEEE10hipError_tPvRmT1_PNSt15iterator_traitsISK_E10value_typeET2_T3_PNSL_ISQ_E10value_typeET4_jRbjT5_SW_jjP12ihipStream_tbEUlT_E1_NS1_11comp_targetILNS1_3genE8ELNS1_11target_archE1030ELNS1_3gpuE2ELNS1_3repE0EEENS1_59segmented_radix_sort_warp_sort_small_config_static_selectorELNS0_4arch9wavefront6targetE0EEEvSK_.has_recursion, 0
	.set _ZN7rocprim17ROCPRIM_400000_NS6detail17trampoline_kernelINS0_14default_configENS1_36segmented_radix_sort_config_selectorIflEEZNS1_25segmented_radix_sort_implIS3_Lb1EPKfPfPKlPlN2at6native12_GLOBAL__N_18offset_tEEE10hipError_tPvRmT1_PNSt15iterator_traitsISK_E10value_typeET2_T3_PNSL_ISQ_E10value_typeET4_jRbjT5_SW_jjP12ihipStream_tbEUlT_E1_NS1_11comp_targetILNS1_3genE8ELNS1_11target_archE1030ELNS1_3gpuE2ELNS1_3repE0EEENS1_59segmented_radix_sort_warp_sort_small_config_static_selectorELNS0_4arch9wavefront6targetE0EEEvSK_.has_indirect_call, 0
	.section	.AMDGPU.csdata,"",@progbits
; Kernel info:
; codeLenInByte = 0
; TotalNumSgprs: 0
; NumVgprs: 0
; ScratchSize: 0
; MemoryBound: 0
; FloatMode: 240
; IeeeMode: 1
; LDSByteSize: 0 bytes/workgroup (compile time only)
; SGPRBlocks: 0
; VGPRBlocks: 0
; NumSGPRsForWavesPerEU: 1
; NumVGPRsForWavesPerEU: 1
; NamedBarCnt: 0
; Occupancy: 16
; WaveLimiterHint : 0
; COMPUTE_PGM_RSRC2:SCRATCH_EN: 0
; COMPUTE_PGM_RSRC2:USER_SGPR: 2
; COMPUTE_PGM_RSRC2:TRAP_HANDLER: 0
; COMPUTE_PGM_RSRC2:TGID_X_EN: 1
; COMPUTE_PGM_RSRC2:TGID_Y_EN: 0
; COMPUTE_PGM_RSRC2:TGID_Z_EN: 0
; COMPUTE_PGM_RSRC2:TIDIG_COMP_CNT: 0
	.section	.text._ZN7rocprim17ROCPRIM_400000_NS6detail17trampoline_kernelINS0_14default_configENS1_36segmented_radix_sort_config_selectorIflEEZNS1_25segmented_radix_sort_implIS3_Lb1EPKfPfPKlPlN2at6native12_GLOBAL__N_18offset_tEEE10hipError_tPvRmT1_PNSt15iterator_traitsISK_E10value_typeET2_T3_PNSL_ISQ_E10value_typeET4_jRbjT5_SW_jjP12ihipStream_tbEUlT_E2_NS1_11comp_targetILNS1_3genE0ELNS1_11target_archE4294967295ELNS1_3gpuE0ELNS1_3repE0EEENS1_30default_config_static_selectorELNS0_4arch9wavefront6targetE0EEEvSK_,"axG",@progbits,_ZN7rocprim17ROCPRIM_400000_NS6detail17trampoline_kernelINS0_14default_configENS1_36segmented_radix_sort_config_selectorIflEEZNS1_25segmented_radix_sort_implIS3_Lb1EPKfPfPKlPlN2at6native12_GLOBAL__N_18offset_tEEE10hipError_tPvRmT1_PNSt15iterator_traitsISK_E10value_typeET2_T3_PNSL_ISQ_E10value_typeET4_jRbjT5_SW_jjP12ihipStream_tbEUlT_E2_NS1_11comp_targetILNS1_3genE0ELNS1_11target_archE4294967295ELNS1_3gpuE0ELNS1_3repE0EEENS1_30default_config_static_selectorELNS0_4arch9wavefront6targetE0EEEvSK_,comdat
	.globl	_ZN7rocprim17ROCPRIM_400000_NS6detail17trampoline_kernelINS0_14default_configENS1_36segmented_radix_sort_config_selectorIflEEZNS1_25segmented_radix_sort_implIS3_Lb1EPKfPfPKlPlN2at6native12_GLOBAL__N_18offset_tEEE10hipError_tPvRmT1_PNSt15iterator_traitsISK_E10value_typeET2_T3_PNSL_ISQ_E10value_typeET4_jRbjT5_SW_jjP12ihipStream_tbEUlT_E2_NS1_11comp_targetILNS1_3genE0ELNS1_11target_archE4294967295ELNS1_3gpuE0ELNS1_3repE0EEENS1_30default_config_static_selectorELNS0_4arch9wavefront6targetE0EEEvSK_ ; -- Begin function _ZN7rocprim17ROCPRIM_400000_NS6detail17trampoline_kernelINS0_14default_configENS1_36segmented_radix_sort_config_selectorIflEEZNS1_25segmented_radix_sort_implIS3_Lb1EPKfPfPKlPlN2at6native12_GLOBAL__N_18offset_tEEE10hipError_tPvRmT1_PNSt15iterator_traitsISK_E10value_typeET2_T3_PNSL_ISQ_E10value_typeET4_jRbjT5_SW_jjP12ihipStream_tbEUlT_E2_NS1_11comp_targetILNS1_3genE0ELNS1_11target_archE4294967295ELNS1_3gpuE0ELNS1_3repE0EEENS1_30default_config_static_selectorELNS0_4arch9wavefront6targetE0EEEvSK_
	.p2align	8
	.type	_ZN7rocprim17ROCPRIM_400000_NS6detail17trampoline_kernelINS0_14default_configENS1_36segmented_radix_sort_config_selectorIflEEZNS1_25segmented_radix_sort_implIS3_Lb1EPKfPfPKlPlN2at6native12_GLOBAL__N_18offset_tEEE10hipError_tPvRmT1_PNSt15iterator_traitsISK_E10value_typeET2_T3_PNSL_ISQ_E10value_typeET4_jRbjT5_SW_jjP12ihipStream_tbEUlT_E2_NS1_11comp_targetILNS1_3genE0ELNS1_11target_archE4294967295ELNS1_3gpuE0ELNS1_3repE0EEENS1_30default_config_static_selectorELNS0_4arch9wavefront6targetE0EEEvSK_,@function
_ZN7rocprim17ROCPRIM_400000_NS6detail17trampoline_kernelINS0_14default_configENS1_36segmented_radix_sort_config_selectorIflEEZNS1_25segmented_radix_sort_implIS3_Lb1EPKfPfPKlPlN2at6native12_GLOBAL__N_18offset_tEEE10hipError_tPvRmT1_PNSt15iterator_traitsISK_E10value_typeET2_T3_PNSL_ISQ_E10value_typeET4_jRbjT5_SW_jjP12ihipStream_tbEUlT_E2_NS1_11comp_targetILNS1_3genE0ELNS1_11target_archE4294967295ELNS1_3gpuE0ELNS1_3repE0EEENS1_30default_config_static_selectorELNS0_4arch9wavefront6targetE0EEEvSK_: ; @_ZN7rocprim17ROCPRIM_400000_NS6detail17trampoline_kernelINS0_14default_configENS1_36segmented_radix_sort_config_selectorIflEEZNS1_25segmented_radix_sort_implIS3_Lb1EPKfPfPKlPlN2at6native12_GLOBAL__N_18offset_tEEE10hipError_tPvRmT1_PNSt15iterator_traitsISK_E10value_typeET2_T3_PNSL_ISQ_E10value_typeET4_jRbjT5_SW_jjP12ihipStream_tbEUlT_E2_NS1_11comp_targetILNS1_3genE0ELNS1_11target_archE4294967295ELNS1_3gpuE0ELNS1_3repE0EEENS1_30default_config_static_selectorELNS0_4arch9wavefront6targetE0EEEvSK_
; %bb.0:
	s_load_b128 s[4:7], s[2:3], 0x34
	s_bfe_u32 s8, ttmp6, 0x4000c
	s_and_b32 s9, ttmp6, 15
	s_add_co_i32 s8, s8, 1
	s_getreg_b32 s33, hwreg(HW_REG_IB_STS2, 6, 4)
	s_mul_i32 s8, ttmp9, s8
	s_mov_b32 s32, 0
	s_add_co_i32 s9, s9, s8
	s_cmp_eq_u32 s33, 0
	s_cselect_b32 s51, ttmp9, s9
	s_wait_kmcnt 0x0
	s_add_co_i32 s54, s7, s51
	s_add_co_i32 s55, s5, s51
	s_mul_i32 s54, s54, s6
	s_mul_i32 s55, s55, s4
	s_delay_alu instid0(SALU_CYCLE_1)
	s_cmp_le_u32 s54, s55
	s_cbranch_scc1 .LBB1348_1262
; %bb.1:
	s_clause 0x3
	s_load_b32 s4, s[2:3], 0x30
	s_load_b128 s[44:47], s[2:3], 0x20
	s_load_b96 s[48:50], s[2:3], 0x44
	s_load_b256 s[36:43], s[2:3], 0x0
	s_wait_kmcnt 0x0
	s_bitcmp1_b32 s4, 0
	s_mov_b32 s4, -1
	s_cselect_b32 s56, -1, 0
	s_sub_co_i32 s57, s54, s55
	s_delay_alu instid0(SALU_CYCLE_1)
	s_cmp_lt_u32 s57, 0x1101
	s_cbranch_scc0 .LBB1348_15
; %bb.2:
	s_cmp_lt_u32 s57, 0x81
	s_cbranch_scc0 .LBB1348_9
; %bb.3:
	s_load_b32 s4, s[2:3], 0x5c
	v_bfe_u32 v1, v0, 10, 10
	v_bfe_u32 v2, v0, 20, 10
	s_mov_b32 s13, exec_lo
	s_wait_kmcnt 0x0
	s_lshr_b32 s5, s4, 16
	s_and_b32 s4, s4, 0xffff
	v_mad_u32_u24 v1, v2, s5, v1
	v_and_b32_e32 v2, 0x3ff, v0
	s_delay_alu instid0(VALU_DEP_1) | instskip(NEXT) | instid1(VALU_DEP_1)
	v_mad_u32 v1, v1, s4, v2
	v_cmpx_gt_u32_e32 32, v1
	s_cbranch_execz .LBB1348_8
; %bb.4:
	v_cndmask_b32_e64 v1, 0, 1, s56
	s_and_b32 s4, s48, 1
	s_get_pc_i64 s[14:15]
	s_add_nc_u64 s[14:15], s[14:15], _ZN7rocprim17ROCPRIM_400000_NS6detail26segmented_warp_sort_helperINS1_20WarpSortHelperConfigILj32ELj4ELj256EEEflLi256ELb1EvE4sortIPKfPfPKlPlEEvT_T0_T1_T2_jjjjRNS5_12storage_typeE@rel64+4
	s_delay_alu instid0(VALU_DEP_1)
	v_cmp_ne_u32_e32 vcc_lo, s4, v1
	s_mov_b32 s4, -1
	s_cbranch_vccnz .LBB1348_6
; %bb.5:
	s_mov_b64 s[4:5], src_shared_base
	v_dual_mov_b32 v31, v0 :: v_dual_mov_b32 v40, v0
	v_dual_mov_b32 v0, s36 :: v_dual_mov_b32 v1, s37
	v_dual_mov_b32 v2, s40 :: v_dual_mov_b32 v3, s41
	v_dual_mov_b32 v4, s42 :: v_dual_mov_b32 v5, s43
	v_dual_mov_b32 v6, s46 :: v_dual_mov_b32 v7, s47
	v_dual_mov_b32 v8, s55 :: v_dual_mov_b32 v9, s54
	v_dual_mov_b32 v10, 0 :: v_dual_mov_b32 v11, s5
	s_add_nc_u64 s[8:9], s[2:3], 0x50
	s_mov_b64 s[6:7], s[0:1]
	s_mov_b64 s[16:17], s[2:3]
	;; [unrolled: 1-line block ×3, first 2 shown]
	s_swap_pc_i64 s[30:31], s[14:15]
	v_mov_b32_e32 v0, v40
	s_mov_b64 s[0:1], s[18:19]
	s_mov_b64 s[2:3], s[16:17]
	s_mov_b32 s4, 0
.LBB1348_6:
	s_delay_alu instid0(SALU_CYCLE_1)
	s_and_not1_b32 vcc_lo, exec_lo, s4
	s_cbranch_vccnz .LBB1348_8
; %bb.7:
	s_mov_b64 s[4:5], src_shared_base
	v_dual_mov_b32 v31, v0 :: v_dual_mov_b32 v40, v0
	v_dual_mov_b32 v0, s36 :: v_dual_mov_b32 v1, s37
	;; [unrolled: 1-line block ×7, first 2 shown]
	s_add_nc_u64 s[8:9], s[2:3], 0x50
	s_mov_b64 s[6:7], s[0:1]
	s_mov_b64 s[16:17], s[2:3]
	;; [unrolled: 1-line block ×3, first 2 shown]
	s_swap_pc_i64 s[30:31], s[14:15]
	v_mov_b32_e32 v0, v40
	s_mov_b64 s[0:1], s[18:19]
	s_mov_b64 s[2:3], s[16:17]
.LBB1348_8:
	s_or_b32 exec_lo, exec_lo, s13
	s_mov_b32 s4, 0
.LBB1348_9:
	s_delay_alu instid0(SALU_CYCLE_1)
	s_and_not1_b32 vcc_lo, exec_lo, s4
	s_cbranch_vccnz .LBB1348_14
; %bb.10:
	v_cndmask_b32_e64 v1, 0, 1, s56
	s_and_b32 s4, s48, 1
	s_get_pc_i64 s[26:27]
	s_add_nc_u64 s[26:27], s[26:27], _ZN7rocprim17ROCPRIM_400000_NS6detail40segmented_radix_sort_single_block_helperIflLj256ELj17ELb1EE4sortIPKfPfPKlPlEEbT_T0_T1_T2_jjjjRNS3_12storage_typeE@rel64+4
	s_delay_alu instid0(VALU_DEP_1)
	v_cmp_ne_u32_e32 vcc_lo, s4, v1
	s_mov_b32 s4, -1
	s_cbranch_vccnz .LBB1348_12
; %bb.11:
	s_mov_b64 s[4:5], src_shared_base
	v_dual_mov_b32 v31, v0 :: v_dual_mov_b32 v40, v0
	v_dual_mov_b32 v0, s36 :: v_dual_mov_b32 v1, s37
	;; [unrolled: 1-line block ×8, first 2 shown]
	s_add_nc_u64 s[8:9], s[2:3], 0x50
	s_mov_b64 s[6:7], s[0:1]
	s_mov_b64 s[28:29], s[2:3]
	;; [unrolled: 1-line block ×3, first 2 shown]
	s_swap_pc_i64 s[30:31], s[26:27]
	v_mov_b32_e32 v0, v40
	s_mov_b64 s[0:1], s[34:35]
	s_mov_b64 s[2:3], s[28:29]
	s_mov_b32 s4, 0
.LBB1348_12:
	s_delay_alu instid0(SALU_CYCLE_1)
	s_and_not1_b32 vcc_lo, exec_lo, s4
	s_cbranch_vccnz .LBB1348_14
; %bb.13:
	s_mov_b64 s[4:5], src_shared_base
	v_dual_mov_b32 v31, v0 :: v_dual_mov_b32 v40, v0
	v_dual_mov_b32 v0, s36 :: v_dual_mov_b32 v1, s37
	;; [unrolled: 1-line block ×8, first 2 shown]
	s_add_nc_u64 s[8:9], s[2:3], 0x50
	s_mov_b64 s[6:7], s[0:1]
	s_mov_b64 s[28:29], s[2:3]
	s_swap_pc_i64 s[30:31], s[26:27]
	v_mov_b32_e32 v0, v40
	s_mov_b64 s[2:3], s[28:29]
.LBB1348_14:
	s_mov_b32 s4, 0
.LBB1348_15:
	s_delay_alu instid0(SALU_CYCLE_1)
	s_and_not1_b32 vcc_lo, exec_lo, s4
	s_cbranch_vccnz .LBB1348_1262
; %bb.16:
	s_cmp_ge_u32 s49, s50
	s_cbranch_scc1 .LBB1348_1262
; %bb.17:
	v_and_b32_e32 v2, 0x3ff, v0
	v_dual_mov_b32 v1, 0 :: v_dual_bitop2_b32 v6, 3, v0 bitop3:0x40
	v_and_b32_e32 v7, 0xe0, v0
	s_delay_alu instid0(VALU_DEP_3) | instskip(NEXT) | instid1(VALU_DEP_3)
	v_dual_lshrrev_b32 v9, 3, v0 :: v_dual_lshlrev_b32 v4, 2, v2
	v_dual_mov_b32 v5, v1 :: v_dual_lshlrev_b32 v84, 2, v6
	s_delay_alu instid0(VALU_DEP_3) | instskip(SKIP_1) | instid1(VALU_DEP_4)
	v_min_u32_e32 v8, 0x60, v7
	v_mul_u32_u24_e32 v18, 17, v7
	v_mad_u32_u24 v85, v2, 12, v4
	v_and_b32_e32 v83, 28, v9
	v_mbcnt_lo_u32_b32 v95, -1, 0
	v_or_b32_e32 v8, 31, v8
	s_bfe_u32 s6, ttmp6, 0x40010
	v_dual_add_nc_u32 v90, v85, v4 :: v_dual_bitop2_b32 v6, 31, v7 bitop3:0x54
	v_lshlrev_b32_e32 v7, 4, v2
	v_dual_mov_b32 v17, v1 :: v_dual_add_nc_u32 v88, 0x89fc, v83
	v_bfe_u32 v89, v0, 20, 10
	s_add_nc_u64 s[52:53], s[2:3], 0x50
	v_bfe_u32 v91, v0, 10, 10
	v_sub_nc_u32_e32 v92, v90, v7
	v_cmp_eq_u32_e64 s2, v2, v6
	v_dual_add_nc_u32 v6, 1, v2 :: v_dual_bitop2_b32 v97, 15, v95 bitop3:0x40
	v_dual_lshlrev_b32 v0, 3, v18 :: v_dual_lshlrev_b32 v16, 2, v18
	s_add_co_i32 s6, s6, 1
	v_dual_lshlrev_b32 v24, 2, v95 :: v_dual_bitop2_b32 v101, v95, v18 bitop3:0x54
	s_mul_i32 s6, ttmp7, s6
	s_bfe_u32 s7, ttmp6, 0x40004
	v_cmp_eq_u32_e64 s1, v2, v8
	s_add_co_i32 s9, s7, s6
	v_mul_u32_u24_e32 v93, 36, v6
	v_cmp_ne_u32_e64 s7, 0x80, v6
	v_add_nc_u64_e32 v[6:7], s[46:47], v[0:1]
	v_add_nc_u64_e32 v[8:9], s[40:41], v[16:17]
	v_add_nc_u64_e32 v[10:11], s[44:45], v[0:1]
	v_add_nc_u64_e32 v[12:13], s[38:39], v[16:17]
	v_add_nc_u64_e32 v[14:15], s[42:43], v[0:1]
	v_add_nc_u64_e32 v[16:17], s[36:37], v[16:17]
	v_add_nc_u64_e32 v[18:19], s[40:41], v[4:5]
	v_add_nc_u64_e32 v[20:21], s[38:39], v[4:5]
	v_add_nc_u64_e32 v[22:23], s[36:37], v[4:5]
	v_or_b32_e32 v3, 0x100, v2
	v_or_b32_e32 v68, 0x200, v2
	;; [unrolled: 1-line block ×16, first 2 shown]
	v_cmp_gt_u32_e64 s0, 0x80, v2
	v_or_b32_e32 v86, 0x8a00, v83
	v_cmp_gt_u32_e64 s4, 4, v2
	v_dual_mov_b32 v96, 1 :: v_dual_add_nc_u32 v87, 0x8a00, v4
	v_cmp_lt_u32_e64 s5, 31, v2
	v_cmp_gt_u32_e64 s3, 8, v2
	v_cmp_eq_u32_e64 s6, 0, v2
	v_lshl_add_u32 v94, v2, 5, v92
	v_bfe_i32 v98, v95, 4, 1
	v_dual_lshlrev_b32 v0, 3, v95 :: v_dual_bitop2_b32 v99, 16, v95 bitop3:0x40
	v_dual_add_nc_u32 v104, 32, v101 :: v_dual_bitop2_b32 v100, 3, v95 bitop3:0x40
	v_sub_co_u32 v102, s8, v95, 1
	v_dual_add_nc_u32 v105, 64, v101 :: v_dual_bitop2_b32 v103, 7, v95 bitop3:0x40
	v_add_nc_u32_e32 v106, 0x60, v101
	v_add_nc_u32_e32 v107, 0x80, v101
	;; [unrolled: 1-line block ×14, first 2 shown]
	s_cmp_eq_u32 s33, 0
	s_mov_b32 s43, 0
	s_cselect_b32 s35, ttmp7, s9
	s_mov_b32 s48, s49
	s_branch .LBB1348_20
.LBB1348_18:                            ;   in Loop: Header=BB1348_20 Depth=1
	s_wait_dscnt 0x0
	s_barrier_signal -1
	s_barrier_wait -1
.LBB1348_19:                            ;   in Loop: Header=BB1348_20 Depth=1
	s_add_co_i32 s48, s48, 7
	s_delay_alu instid0(SALU_CYCLE_1)
	s_cmp_ge_u32 s48, s50
	s_cbranch_scc1 .LBB1348_1262
.LBB1348_20:                            ; =>This Loop Header: Depth=1
                                        ;     Child Loop BB1348_24 Depth 2
                                        ;     Child Loop BB1348_108 Depth 2
	;; [unrolled: 1-line block ×8, first 2 shown]
	s_sub_co_i32 s9, s50, s48
	s_xor_b32 s56, s56, -1
	s_min_u32 s9, s9, 7
	ds_store_2addr_stride64_b32 v4, v1, v1 offset1:4
	s_lshl_b32 s9, -1, s9
	s_wait_storecnt_dscnt 0x0
	s_not_b32 s58, s9
	s_cmp_lg_u32 s48, s49
	s_mov_b32 s9, -1
	s_cbranch_scc0 .LBB1348_642
; %bb.21:                               ;   in Loop: Header=BB1348_20 Depth=1
	s_and_b32 vcc_lo, exec_lo, s56
	s_cbranch_vccz .LBB1348_331
; %bb.22:                               ;   in Loop: Header=BB1348_20 Depth=1
	s_mov_b32 s9, s57
	s_mov_b32 s42, s55
	s_barrier_signal -1
	s_barrier_wait -1
                                        ; implicit-def: $vgpr25
                                        ; implicit-def: $vgpr26
                                        ; implicit-def: $vgpr27
                                        ; implicit-def: $vgpr28
                                        ; implicit-def: $vgpr29
                                        ; implicit-def: $vgpr30
                                        ; implicit-def: $vgpr31
                                        ; implicit-def: $vgpr32
                                        ; implicit-def: $vgpr33
                                        ; implicit-def: $vgpr34
                                        ; implicit-def: $vgpr35
                                        ; implicit-def: $vgpr36
                                        ; implicit-def: $vgpr37
                                        ; implicit-def: $vgpr38
                                        ; implicit-def: $vgpr39
                                        ; implicit-def: $vgpr40
                                        ; implicit-def: $vgpr41
	s_branch .LBB1348_24
.LBB1348_23:                            ;   in Loop: Header=BB1348_24 Depth=2
	s_or_b32 exec_lo, exec_lo, s10
	s_addk_co_i32 s9, 0xef00
	s_cmp_ge_u32 s12, s54
	s_mov_b32 s42, s12
	s_cbranch_scc1 .LBB1348_96
.LBB1348_24:                            ;   Parent Loop BB1348_20 Depth=1
                                        ; =>  This Inner Loop Header: Depth=2
	s_add_co_i32 s12, s42, 0x1100
	s_mov_b32 s10, -1
	s_cmp_gt_u32 s12, s54
                                        ; implicit-def: $vgpr42
                                        ; implicit-def: $vgpr43
                                        ; implicit-def: $vgpr44
                                        ; implicit-def: $vgpr45
                                        ; implicit-def: $vgpr46
                                        ; implicit-def: $vgpr47
                                        ; implicit-def: $vgpr48
                                        ; implicit-def: $vgpr49
                                        ; implicit-def: $vgpr50
                                        ; implicit-def: $vgpr51
                                        ; implicit-def: $vgpr52
                                        ; implicit-def: $vgpr53
                                        ; implicit-def: $vgpr54
                                        ; implicit-def: $vgpr55
                                        ; implicit-def: $vgpr56
                                        ; implicit-def: $vgpr57
                                        ; implicit-def: $vgpr58
	s_cbranch_scc1 .LBB1348_26
; %bb.25:                               ;   in Loop: Header=BB1348_24 Depth=2
	v_lshl_add_u64 v[60:61], s[42:43], 2, v[18:19]
	s_mov_b32 s10, 0
	s_clause 0x10
	global_load_b32 v42, v[60:61], off
	global_load_b32 v43, v[60:61], off offset:1024
	global_load_b32 v44, v[60:61], off offset:2048
	;; [unrolled: 1-line block ×16, first 2 shown]
.LBB1348_26:                            ;   in Loop: Header=BB1348_24 Depth=2
	s_and_not1_b32 vcc_lo, exec_lo, s10
	s_movk_i32 s10, 0x1100
	s_cbranch_vccnz .LBB1348_46
; %bb.27:                               ;   in Loop: Header=BB1348_24 Depth=2
	s_lshl_b64 s[10:11], s[42:43], 2
	s_mov_b32 s13, exec_lo
	s_add_nc_u64 s[10:11], s[40:41], s[10:11]
	s_wait_xcnt 0x0
	v_cmpx_gt_u32_e64 s9, v2
	s_cbranch_execnz .LBB1348_80
; %bb.28:                               ;   in Loop: Header=BB1348_24 Depth=2
	s_or_b32 exec_lo, exec_lo, s13
	s_delay_alu instid0(SALU_CYCLE_1)
	s_mov_b32 s13, exec_lo
	v_cmpx_gt_u32_e64 s9, v3
	s_cbranch_execnz .LBB1348_81
.LBB1348_29:                            ;   in Loop: Header=BB1348_24 Depth=2
	s_or_b32 exec_lo, exec_lo, s13
	s_delay_alu instid0(SALU_CYCLE_1)
	s_mov_b32 s13, exec_lo
	v_cmpx_gt_u32_e64 s9, v68
	s_cbranch_execnz .LBB1348_82
.LBB1348_30:                            ;   in Loop: Header=BB1348_24 Depth=2
	s_or_b32 exec_lo, exec_lo, s13
	s_delay_alu instid0(SALU_CYCLE_1)
	s_mov_b32 s13, exec_lo
	v_cmpx_gt_u32_e64 s9, v69
	s_cbranch_execnz .LBB1348_83
.LBB1348_31:                            ;   in Loop: Header=BB1348_24 Depth=2
	s_or_b32 exec_lo, exec_lo, s13
	s_delay_alu instid0(SALU_CYCLE_1)
	s_mov_b32 s13, exec_lo
	v_cmpx_gt_u32_e64 s9, v70
	s_cbranch_execnz .LBB1348_84
.LBB1348_32:                            ;   in Loop: Header=BB1348_24 Depth=2
	s_or_b32 exec_lo, exec_lo, s13
	s_delay_alu instid0(SALU_CYCLE_1)
	s_mov_b32 s13, exec_lo
	v_cmpx_gt_u32_e64 s9, v71
	s_cbranch_execnz .LBB1348_85
.LBB1348_33:                            ;   in Loop: Header=BB1348_24 Depth=2
	s_or_b32 exec_lo, exec_lo, s13
	s_delay_alu instid0(SALU_CYCLE_1)
	s_mov_b32 s13, exec_lo
	v_cmpx_gt_u32_e64 s9, v72
	s_cbranch_execnz .LBB1348_86
.LBB1348_34:                            ;   in Loop: Header=BB1348_24 Depth=2
	s_or_b32 exec_lo, exec_lo, s13
	s_delay_alu instid0(SALU_CYCLE_1)
	s_mov_b32 s13, exec_lo
	v_cmpx_gt_u32_e64 s9, v73
	s_cbranch_execnz .LBB1348_87
.LBB1348_35:                            ;   in Loop: Header=BB1348_24 Depth=2
	s_or_b32 exec_lo, exec_lo, s13
	s_delay_alu instid0(SALU_CYCLE_1)
	s_mov_b32 s13, exec_lo
	v_cmpx_gt_u32_e64 s9, v74
	s_cbranch_execnz .LBB1348_88
.LBB1348_36:                            ;   in Loop: Header=BB1348_24 Depth=2
	s_or_b32 exec_lo, exec_lo, s13
	s_delay_alu instid0(SALU_CYCLE_1)
	s_mov_b32 s13, exec_lo
	v_cmpx_gt_u32_e64 s9, v75
	s_cbranch_execnz .LBB1348_89
.LBB1348_37:                            ;   in Loop: Header=BB1348_24 Depth=2
	s_or_b32 exec_lo, exec_lo, s13
	s_delay_alu instid0(SALU_CYCLE_1)
	s_mov_b32 s13, exec_lo
	v_cmpx_gt_u32_e64 s9, v76
	s_cbranch_execnz .LBB1348_90
.LBB1348_38:                            ;   in Loop: Header=BB1348_24 Depth=2
	s_or_b32 exec_lo, exec_lo, s13
	s_delay_alu instid0(SALU_CYCLE_1)
	s_mov_b32 s13, exec_lo
	v_cmpx_gt_u32_e64 s9, v77
	s_cbranch_execnz .LBB1348_91
.LBB1348_39:                            ;   in Loop: Header=BB1348_24 Depth=2
	s_or_b32 exec_lo, exec_lo, s13
	s_delay_alu instid0(SALU_CYCLE_1)
	s_mov_b32 s13, exec_lo
	v_cmpx_gt_u32_e64 s9, v78
	s_cbranch_execnz .LBB1348_92
.LBB1348_40:                            ;   in Loop: Header=BB1348_24 Depth=2
	s_or_b32 exec_lo, exec_lo, s13
	s_delay_alu instid0(SALU_CYCLE_1)
	s_mov_b32 s13, exec_lo
	v_cmpx_gt_u32_e64 s9, v79
	s_cbranch_execnz .LBB1348_93
.LBB1348_41:                            ;   in Loop: Header=BB1348_24 Depth=2
	s_or_b32 exec_lo, exec_lo, s13
	s_delay_alu instid0(SALU_CYCLE_1)
	s_mov_b32 s13, exec_lo
	v_cmpx_gt_u32_e64 s9, v80
	s_cbranch_execnz .LBB1348_94
.LBB1348_42:                            ;   in Loop: Header=BB1348_24 Depth=2
	s_or_b32 exec_lo, exec_lo, s13
	s_delay_alu instid0(SALU_CYCLE_1)
	s_mov_b32 s13, exec_lo
	v_cmpx_gt_u32_e64 s9, v81
	s_cbranch_execnz .LBB1348_95
.LBB1348_43:                            ;   in Loop: Header=BB1348_24 Depth=2
	s_or_b32 exec_lo, exec_lo, s13
	s_delay_alu instid0(SALU_CYCLE_1)
	s_mov_b32 s13, exec_lo
	v_cmpx_gt_u32_e64 s9, v82
	s_cbranch_execz .LBB1348_45
.LBB1348_44:                            ;   in Loop: Header=BB1348_24 Depth=2
	global_load_b32 v25, v2, s[10:11] offset:16384 scale_offset
.LBB1348_45:                            ;   in Loop: Header=BB1348_24 Depth=2
	s_wait_xcnt 0x0
	s_or_b32 exec_lo, exec_lo, s13
	s_wait_loadcnt 0x0
	v_dual_mov_b32 v42, v41 :: v_dual_mov_b32 v43, v40
	v_dual_mov_b32 v44, v39 :: v_dual_mov_b32 v45, v38
	;; [unrolled: 1-line block ×8, first 2 shown]
	v_mov_b32_e32 v58, v25
	s_mov_b32 s10, s9
.LBB1348_46:                            ;   in Loop: Header=BB1348_24 Depth=2
	s_wait_loadcnt 0x0
	s_delay_alu instid0(VALU_DEP_1)
	v_dual_mov_b32 v25, v58 :: v_dual_mov_b32 v26, v57
	v_dual_mov_b32 v27, v56 :: v_dual_mov_b32 v28, v55
	;; [unrolled: 1-line block ×8, first 2 shown]
	v_mov_b32_e32 v41, v42
	s_mov_b32 s11, exec_lo
	s_wait_xcnt 0x0
	v_cmpx_gt_u32_e64 s10, v2
	s_cbranch_execnz .LBB1348_63
; %bb.47:                               ;   in Loop: Header=BB1348_24 Depth=2
	s_or_b32 exec_lo, exec_lo, s11
	s_delay_alu instid0(SALU_CYCLE_1)
	s_mov_b32 s11, exec_lo
	v_cmpx_gt_u32_e64 s10, v3
	s_cbranch_execnz .LBB1348_64
.LBB1348_48:                            ;   in Loop: Header=BB1348_24 Depth=2
	s_or_b32 exec_lo, exec_lo, s11
	s_delay_alu instid0(SALU_CYCLE_1)
	s_mov_b32 s11, exec_lo
	v_cmpx_gt_u32_e64 s10, v68
	s_cbranch_execnz .LBB1348_65
.LBB1348_49:                            ;   in Loop: Header=BB1348_24 Depth=2
	s_or_b32 exec_lo, exec_lo, s11
	s_delay_alu instid0(SALU_CYCLE_1)
	s_mov_b32 s11, exec_lo
	v_cmpx_gt_u32_e64 s10, v69
	s_cbranch_execnz .LBB1348_66
.LBB1348_50:                            ;   in Loop: Header=BB1348_24 Depth=2
	s_or_b32 exec_lo, exec_lo, s11
	s_delay_alu instid0(SALU_CYCLE_1)
	s_mov_b32 s11, exec_lo
	v_cmpx_gt_u32_e64 s10, v70
	s_cbranch_execnz .LBB1348_67
.LBB1348_51:                            ;   in Loop: Header=BB1348_24 Depth=2
	s_or_b32 exec_lo, exec_lo, s11
	s_delay_alu instid0(SALU_CYCLE_1)
	s_mov_b32 s11, exec_lo
	v_cmpx_gt_u32_e64 s10, v71
	s_cbranch_execnz .LBB1348_68
.LBB1348_52:                            ;   in Loop: Header=BB1348_24 Depth=2
	s_or_b32 exec_lo, exec_lo, s11
	s_delay_alu instid0(SALU_CYCLE_1)
	s_mov_b32 s11, exec_lo
	v_cmpx_gt_u32_e64 s10, v72
	s_cbranch_execnz .LBB1348_69
.LBB1348_53:                            ;   in Loop: Header=BB1348_24 Depth=2
	s_or_b32 exec_lo, exec_lo, s11
	s_delay_alu instid0(SALU_CYCLE_1)
	s_mov_b32 s11, exec_lo
	v_cmpx_gt_u32_e64 s10, v73
	s_cbranch_execnz .LBB1348_70
.LBB1348_54:                            ;   in Loop: Header=BB1348_24 Depth=2
	s_or_b32 exec_lo, exec_lo, s11
	s_delay_alu instid0(SALU_CYCLE_1)
	s_mov_b32 s11, exec_lo
	v_cmpx_gt_u32_e64 s10, v74
	s_cbranch_execnz .LBB1348_71
.LBB1348_55:                            ;   in Loop: Header=BB1348_24 Depth=2
	s_or_b32 exec_lo, exec_lo, s11
	s_delay_alu instid0(SALU_CYCLE_1)
	s_mov_b32 s11, exec_lo
	v_cmpx_gt_u32_e64 s10, v75
	s_cbranch_execnz .LBB1348_72
.LBB1348_56:                            ;   in Loop: Header=BB1348_24 Depth=2
	s_or_b32 exec_lo, exec_lo, s11
	s_delay_alu instid0(SALU_CYCLE_1)
	s_mov_b32 s11, exec_lo
	v_cmpx_gt_u32_e64 s10, v76
	s_cbranch_execnz .LBB1348_73
.LBB1348_57:                            ;   in Loop: Header=BB1348_24 Depth=2
	s_or_b32 exec_lo, exec_lo, s11
	s_delay_alu instid0(SALU_CYCLE_1)
	s_mov_b32 s11, exec_lo
	v_cmpx_gt_u32_e64 s10, v77
	s_cbranch_execnz .LBB1348_74
.LBB1348_58:                            ;   in Loop: Header=BB1348_24 Depth=2
	s_or_b32 exec_lo, exec_lo, s11
	s_delay_alu instid0(SALU_CYCLE_1)
	s_mov_b32 s11, exec_lo
	v_cmpx_gt_u32_e64 s10, v78
	s_cbranch_execnz .LBB1348_75
.LBB1348_59:                            ;   in Loop: Header=BB1348_24 Depth=2
	s_or_b32 exec_lo, exec_lo, s11
	s_delay_alu instid0(SALU_CYCLE_1)
	s_mov_b32 s11, exec_lo
	v_cmpx_gt_u32_e64 s10, v79
	s_cbranch_execnz .LBB1348_76
.LBB1348_60:                            ;   in Loop: Header=BB1348_24 Depth=2
	s_or_b32 exec_lo, exec_lo, s11
	s_delay_alu instid0(SALU_CYCLE_1)
	s_mov_b32 s11, exec_lo
	v_cmpx_gt_u32_e64 s10, v80
	s_cbranch_execnz .LBB1348_77
.LBB1348_61:                            ;   in Loop: Header=BB1348_24 Depth=2
	s_or_b32 exec_lo, exec_lo, s11
	s_delay_alu instid0(SALU_CYCLE_1)
	s_mov_b32 s11, exec_lo
	v_cmpx_gt_u32_e64 s10, v81
	s_cbranch_execnz .LBB1348_78
.LBB1348_62:                            ;   in Loop: Header=BB1348_24 Depth=2
	s_or_b32 exec_lo, exec_lo, s11
	v_cmp_gt_u32_e32 vcc_lo, s10, v82
	s_and_saveexec_b32 s10, vcc_lo
	s_cbranch_execz .LBB1348_23
	s_branch .LBB1348_79
.LBB1348_63:                            ;   in Loop: Header=BB1348_24 Depth=2
	v_cmp_gt_i32_e32 vcc_lo, 0, v41
	v_cndmask_b32_e64 v42, 0x7fffffff, 0, vcc_lo
	s_delay_alu instid0(VALU_DEP_1) | instskip(NEXT) | instid1(VALU_DEP_1)
	v_xor_b32_e32 v42, v42, v41
	v_cmp_ne_u32_e32 vcc_lo, 0x80000000, v42
	v_cndmask_b32_e32 v42, 0x7fffffff, v42, vcc_lo
	s_delay_alu instid0(VALU_DEP_1) | instskip(NEXT) | instid1(VALU_DEP_1)
	v_lshrrev_b32_e32 v42, s48, v42
	v_and_b32_e32 v42, s58, v42
	s_delay_alu instid0(VALU_DEP_1) | instskip(SKIP_2) | instid1(SALU_CYCLE_1)
	v_lshl_or_b32 v42, v42, 4, v84
	ds_add_u32 v42, v96
	s_or_b32 exec_lo, exec_lo, s11
	s_mov_b32 s11, exec_lo
	v_cmpx_gt_u32_e64 s10, v3
	s_cbranch_execz .LBB1348_48
.LBB1348_64:                            ;   in Loop: Header=BB1348_24 Depth=2
	v_cmp_gt_i32_e32 vcc_lo, 0, v40
	v_cndmask_b32_e64 v42, 0x7fffffff, 0, vcc_lo
	s_delay_alu instid0(VALU_DEP_1) | instskip(NEXT) | instid1(VALU_DEP_1)
	v_xor_b32_e32 v42, v42, v40
	v_cmp_ne_u32_e32 vcc_lo, 0x80000000, v42
	v_cndmask_b32_e32 v42, 0x7fffffff, v42, vcc_lo
	s_delay_alu instid0(VALU_DEP_1) | instskip(NEXT) | instid1(VALU_DEP_1)
	v_lshrrev_b32_e32 v42, s48, v42
	v_and_b32_e32 v42, s58, v42
	s_delay_alu instid0(VALU_DEP_1) | instskip(SKIP_2) | instid1(SALU_CYCLE_1)
	v_lshl_or_b32 v42, v42, 4, v84
	ds_add_u32 v42, v96
	s_or_b32 exec_lo, exec_lo, s11
	s_mov_b32 s11, exec_lo
	v_cmpx_gt_u32_e64 s10, v68
	s_cbranch_execz .LBB1348_49
.LBB1348_65:                            ;   in Loop: Header=BB1348_24 Depth=2
	v_cmp_gt_i32_e32 vcc_lo, 0, v39
	v_cndmask_b32_e64 v42, 0x7fffffff, 0, vcc_lo
	s_delay_alu instid0(VALU_DEP_1) | instskip(NEXT) | instid1(VALU_DEP_1)
	v_xor_b32_e32 v42, v42, v39
	v_cmp_ne_u32_e32 vcc_lo, 0x80000000, v42
	v_cndmask_b32_e32 v42, 0x7fffffff, v42, vcc_lo
	s_delay_alu instid0(VALU_DEP_1) | instskip(NEXT) | instid1(VALU_DEP_1)
	v_lshrrev_b32_e32 v42, s48, v42
	v_and_b32_e32 v42, s58, v42
	s_delay_alu instid0(VALU_DEP_1) | instskip(SKIP_2) | instid1(SALU_CYCLE_1)
	v_lshl_or_b32 v42, v42, 4, v84
	ds_add_u32 v42, v96
	s_or_b32 exec_lo, exec_lo, s11
	s_mov_b32 s11, exec_lo
	v_cmpx_gt_u32_e64 s10, v69
	s_cbranch_execz .LBB1348_50
.LBB1348_66:                            ;   in Loop: Header=BB1348_24 Depth=2
	v_cmp_gt_i32_e32 vcc_lo, 0, v38
	v_cndmask_b32_e64 v42, 0x7fffffff, 0, vcc_lo
	s_delay_alu instid0(VALU_DEP_1) | instskip(NEXT) | instid1(VALU_DEP_1)
	v_xor_b32_e32 v42, v42, v38
	v_cmp_ne_u32_e32 vcc_lo, 0x80000000, v42
	v_cndmask_b32_e32 v42, 0x7fffffff, v42, vcc_lo
	s_delay_alu instid0(VALU_DEP_1) | instskip(NEXT) | instid1(VALU_DEP_1)
	v_lshrrev_b32_e32 v42, s48, v42
	v_and_b32_e32 v42, s58, v42
	s_delay_alu instid0(VALU_DEP_1) | instskip(SKIP_2) | instid1(SALU_CYCLE_1)
	v_lshl_or_b32 v42, v42, 4, v84
	ds_add_u32 v42, v96
	s_or_b32 exec_lo, exec_lo, s11
	s_mov_b32 s11, exec_lo
	v_cmpx_gt_u32_e64 s10, v70
	s_cbranch_execz .LBB1348_51
.LBB1348_67:                            ;   in Loop: Header=BB1348_24 Depth=2
	v_cmp_gt_i32_e32 vcc_lo, 0, v37
	v_cndmask_b32_e64 v42, 0x7fffffff, 0, vcc_lo
	s_delay_alu instid0(VALU_DEP_1) | instskip(NEXT) | instid1(VALU_DEP_1)
	v_xor_b32_e32 v42, v42, v37
	v_cmp_ne_u32_e32 vcc_lo, 0x80000000, v42
	v_cndmask_b32_e32 v42, 0x7fffffff, v42, vcc_lo
	s_delay_alu instid0(VALU_DEP_1) | instskip(NEXT) | instid1(VALU_DEP_1)
	v_lshrrev_b32_e32 v42, s48, v42
	v_and_b32_e32 v42, s58, v42
	s_delay_alu instid0(VALU_DEP_1) | instskip(SKIP_2) | instid1(SALU_CYCLE_1)
	v_lshl_or_b32 v42, v42, 4, v84
	ds_add_u32 v42, v96
	s_or_b32 exec_lo, exec_lo, s11
	s_mov_b32 s11, exec_lo
	v_cmpx_gt_u32_e64 s10, v71
	s_cbranch_execz .LBB1348_52
.LBB1348_68:                            ;   in Loop: Header=BB1348_24 Depth=2
	v_cmp_gt_i32_e32 vcc_lo, 0, v36
	v_cndmask_b32_e64 v42, 0x7fffffff, 0, vcc_lo
	s_delay_alu instid0(VALU_DEP_1) | instskip(NEXT) | instid1(VALU_DEP_1)
	v_xor_b32_e32 v42, v42, v36
	v_cmp_ne_u32_e32 vcc_lo, 0x80000000, v42
	v_cndmask_b32_e32 v42, 0x7fffffff, v42, vcc_lo
	s_delay_alu instid0(VALU_DEP_1) | instskip(NEXT) | instid1(VALU_DEP_1)
	v_lshrrev_b32_e32 v42, s48, v42
	v_and_b32_e32 v42, s58, v42
	s_delay_alu instid0(VALU_DEP_1) | instskip(SKIP_2) | instid1(SALU_CYCLE_1)
	v_lshl_or_b32 v42, v42, 4, v84
	ds_add_u32 v42, v96
	s_or_b32 exec_lo, exec_lo, s11
	s_mov_b32 s11, exec_lo
	v_cmpx_gt_u32_e64 s10, v72
	s_cbranch_execz .LBB1348_53
.LBB1348_69:                            ;   in Loop: Header=BB1348_24 Depth=2
	v_cmp_gt_i32_e32 vcc_lo, 0, v35
	v_cndmask_b32_e64 v42, 0x7fffffff, 0, vcc_lo
	s_delay_alu instid0(VALU_DEP_1) | instskip(NEXT) | instid1(VALU_DEP_1)
	v_xor_b32_e32 v42, v42, v35
	v_cmp_ne_u32_e32 vcc_lo, 0x80000000, v42
	v_cndmask_b32_e32 v42, 0x7fffffff, v42, vcc_lo
	s_delay_alu instid0(VALU_DEP_1) | instskip(NEXT) | instid1(VALU_DEP_1)
	v_lshrrev_b32_e32 v42, s48, v42
	v_and_b32_e32 v42, s58, v42
	s_delay_alu instid0(VALU_DEP_1) | instskip(SKIP_2) | instid1(SALU_CYCLE_1)
	v_lshl_or_b32 v42, v42, 4, v84
	ds_add_u32 v42, v96
	s_or_b32 exec_lo, exec_lo, s11
	s_mov_b32 s11, exec_lo
	v_cmpx_gt_u32_e64 s10, v73
	s_cbranch_execz .LBB1348_54
.LBB1348_70:                            ;   in Loop: Header=BB1348_24 Depth=2
	v_cmp_gt_i32_e32 vcc_lo, 0, v34
	v_cndmask_b32_e64 v42, 0x7fffffff, 0, vcc_lo
	s_delay_alu instid0(VALU_DEP_1) | instskip(NEXT) | instid1(VALU_DEP_1)
	v_xor_b32_e32 v42, v42, v34
	v_cmp_ne_u32_e32 vcc_lo, 0x80000000, v42
	v_cndmask_b32_e32 v42, 0x7fffffff, v42, vcc_lo
	s_delay_alu instid0(VALU_DEP_1) | instskip(NEXT) | instid1(VALU_DEP_1)
	v_lshrrev_b32_e32 v42, s48, v42
	v_and_b32_e32 v42, s58, v42
	s_delay_alu instid0(VALU_DEP_1) | instskip(SKIP_2) | instid1(SALU_CYCLE_1)
	v_lshl_or_b32 v42, v42, 4, v84
	ds_add_u32 v42, v96
	s_or_b32 exec_lo, exec_lo, s11
	s_mov_b32 s11, exec_lo
	v_cmpx_gt_u32_e64 s10, v74
	s_cbranch_execz .LBB1348_55
.LBB1348_71:                            ;   in Loop: Header=BB1348_24 Depth=2
	v_cmp_gt_i32_e32 vcc_lo, 0, v33
	v_cndmask_b32_e64 v42, 0x7fffffff, 0, vcc_lo
	s_delay_alu instid0(VALU_DEP_1) | instskip(NEXT) | instid1(VALU_DEP_1)
	v_xor_b32_e32 v42, v42, v33
	v_cmp_ne_u32_e32 vcc_lo, 0x80000000, v42
	v_cndmask_b32_e32 v42, 0x7fffffff, v42, vcc_lo
	s_delay_alu instid0(VALU_DEP_1) | instskip(NEXT) | instid1(VALU_DEP_1)
	v_lshrrev_b32_e32 v42, s48, v42
	v_and_b32_e32 v42, s58, v42
	s_delay_alu instid0(VALU_DEP_1) | instskip(SKIP_2) | instid1(SALU_CYCLE_1)
	v_lshl_or_b32 v42, v42, 4, v84
	ds_add_u32 v42, v96
	s_or_b32 exec_lo, exec_lo, s11
	s_mov_b32 s11, exec_lo
	v_cmpx_gt_u32_e64 s10, v75
	s_cbranch_execz .LBB1348_56
.LBB1348_72:                            ;   in Loop: Header=BB1348_24 Depth=2
	v_cmp_gt_i32_e32 vcc_lo, 0, v32
	v_cndmask_b32_e64 v42, 0x7fffffff, 0, vcc_lo
	s_delay_alu instid0(VALU_DEP_1) | instskip(NEXT) | instid1(VALU_DEP_1)
	v_xor_b32_e32 v42, v42, v32
	v_cmp_ne_u32_e32 vcc_lo, 0x80000000, v42
	v_cndmask_b32_e32 v42, 0x7fffffff, v42, vcc_lo
	s_delay_alu instid0(VALU_DEP_1) | instskip(NEXT) | instid1(VALU_DEP_1)
	v_lshrrev_b32_e32 v42, s48, v42
	v_and_b32_e32 v42, s58, v42
	s_delay_alu instid0(VALU_DEP_1) | instskip(SKIP_2) | instid1(SALU_CYCLE_1)
	v_lshl_or_b32 v42, v42, 4, v84
	ds_add_u32 v42, v96
	s_or_b32 exec_lo, exec_lo, s11
	s_mov_b32 s11, exec_lo
	v_cmpx_gt_u32_e64 s10, v76
	s_cbranch_execz .LBB1348_57
.LBB1348_73:                            ;   in Loop: Header=BB1348_24 Depth=2
	v_cmp_gt_i32_e32 vcc_lo, 0, v31
	v_cndmask_b32_e64 v42, 0x7fffffff, 0, vcc_lo
	s_delay_alu instid0(VALU_DEP_1) | instskip(NEXT) | instid1(VALU_DEP_1)
	v_xor_b32_e32 v42, v42, v31
	v_cmp_ne_u32_e32 vcc_lo, 0x80000000, v42
	v_cndmask_b32_e32 v42, 0x7fffffff, v42, vcc_lo
	s_delay_alu instid0(VALU_DEP_1) | instskip(NEXT) | instid1(VALU_DEP_1)
	v_lshrrev_b32_e32 v42, s48, v42
	v_and_b32_e32 v42, s58, v42
	s_delay_alu instid0(VALU_DEP_1) | instskip(SKIP_2) | instid1(SALU_CYCLE_1)
	v_lshl_or_b32 v42, v42, 4, v84
	ds_add_u32 v42, v96
	s_or_b32 exec_lo, exec_lo, s11
	s_mov_b32 s11, exec_lo
	v_cmpx_gt_u32_e64 s10, v77
	s_cbranch_execz .LBB1348_58
.LBB1348_74:                            ;   in Loop: Header=BB1348_24 Depth=2
	v_cmp_gt_i32_e32 vcc_lo, 0, v30
	v_cndmask_b32_e64 v42, 0x7fffffff, 0, vcc_lo
	s_delay_alu instid0(VALU_DEP_1) | instskip(NEXT) | instid1(VALU_DEP_1)
	v_xor_b32_e32 v42, v42, v30
	v_cmp_ne_u32_e32 vcc_lo, 0x80000000, v42
	v_cndmask_b32_e32 v42, 0x7fffffff, v42, vcc_lo
	s_delay_alu instid0(VALU_DEP_1) | instskip(NEXT) | instid1(VALU_DEP_1)
	v_lshrrev_b32_e32 v42, s48, v42
	v_and_b32_e32 v42, s58, v42
	s_delay_alu instid0(VALU_DEP_1) | instskip(SKIP_2) | instid1(SALU_CYCLE_1)
	v_lshl_or_b32 v42, v42, 4, v84
	ds_add_u32 v42, v96
	s_or_b32 exec_lo, exec_lo, s11
	s_mov_b32 s11, exec_lo
	v_cmpx_gt_u32_e64 s10, v78
	s_cbranch_execz .LBB1348_59
.LBB1348_75:                            ;   in Loop: Header=BB1348_24 Depth=2
	v_cmp_gt_i32_e32 vcc_lo, 0, v29
	v_cndmask_b32_e64 v42, 0x7fffffff, 0, vcc_lo
	s_delay_alu instid0(VALU_DEP_1) | instskip(NEXT) | instid1(VALU_DEP_1)
	v_xor_b32_e32 v42, v42, v29
	v_cmp_ne_u32_e32 vcc_lo, 0x80000000, v42
	v_cndmask_b32_e32 v42, 0x7fffffff, v42, vcc_lo
	s_delay_alu instid0(VALU_DEP_1) | instskip(NEXT) | instid1(VALU_DEP_1)
	v_lshrrev_b32_e32 v42, s48, v42
	v_and_b32_e32 v42, s58, v42
	s_delay_alu instid0(VALU_DEP_1) | instskip(SKIP_2) | instid1(SALU_CYCLE_1)
	v_lshl_or_b32 v42, v42, 4, v84
	ds_add_u32 v42, v96
	s_or_b32 exec_lo, exec_lo, s11
	s_mov_b32 s11, exec_lo
	v_cmpx_gt_u32_e64 s10, v79
	s_cbranch_execz .LBB1348_60
.LBB1348_76:                            ;   in Loop: Header=BB1348_24 Depth=2
	v_cmp_gt_i32_e32 vcc_lo, 0, v28
	v_cndmask_b32_e64 v42, 0x7fffffff, 0, vcc_lo
	s_delay_alu instid0(VALU_DEP_1) | instskip(NEXT) | instid1(VALU_DEP_1)
	v_xor_b32_e32 v42, v42, v28
	v_cmp_ne_u32_e32 vcc_lo, 0x80000000, v42
	v_cndmask_b32_e32 v42, 0x7fffffff, v42, vcc_lo
	s_delay_alu instid0(VALU_DEP_1) | instskip(NEXT) | instid1(VALU_DEP_1)
	v_lshrrev_b32_e32 v42, s48, v42
	v_and_b32_e32 v42, s58, v42
	s_delay_alu instid0(VALU_DEP_1) | instskip(SKIP_2) | instid1(SALU_CYCLE_1)
	v_lshl_or_b32 v42, v42, 4, v84
	ds_add_u32 v42, v96
	s_or_b32 exec_lo, exec_lo, s11
	s_mov_b32 s11, exec_lo
	v_cmpx_gt_u32_e64 s10, v80
	s_cbranch_execz .LBB1348_61
.LBB1348_77:                            ;   in Loop: Header=BB1348_24 Depth=2
	v_cmp_gt_i32_e32 vcc_lo, 0, v27
	v_cndmask_b32_e64 v42, 0x7fffffff, 0, vcc_lo
	s_delay_alu instid0(VALU_DEP_1) | instskip(NEXT) | instid1(VALU_DEP_1)
	v_xor_b32_e32 v42, v42, v27
	v_cmp_ne_u32_e32 vcc_lo, 0x80000000, v42
	v_cndmask_b32_e32 v42, 0x7fffffff, v42, vcc_lo
	s_delay_alu instid0(VALU_DEP_1) | instskip(NEXT) | instid1(VALU_DEP_1)
	v_lshrrev_b32_e32 v42, s48, v42
	v_and_b32_e32 v42, s58, v42
	s_delay_alu instid0(VALU_DEP_1) | instskip(SKIP_2) | instid1(SALU_CYCLE_1)
	v_lshl_or_b32 v42, v42, 4, v84
	ds_add_u32 v42, v96
	s_or_b32 exec_lo, exec_lo, s11
	s_mov_b32 s11, exec_lo
	v_cmpx_gt_u32_e64 s10, v81
	s_cbranch_execz .LBB1348_62
.LBB1348_78:                            ;   in Loop: Header=BB1348_24 Depth=2
	v_cmp_gt_i32_e32 vcc_lo, 0, v26
	v_cndmask_b32_e64 v42, 0x7fffffff, 0, vcc_lo
	s_delay_alu instid0(VALU_DEP_1) | instskip(NEXT) | instid1(VALU_DEP_1)
	v_xor_b32_e32 v42, v42, v26
	v_cmp_ne_u32_e32 vcc_lo, 0x80000000, v42
	v_cndmask_b32_e32 v42, 0x7fffffff, v42, vcc_lo
	s_delay_alu instid0(VALU_DEP_1) | instskip(NEXT) | instid1(VALU_DEP_1)
	v_lshrrev_b32_e32 v42, s48, v42
	v_and_b32_e32 v42, s58, v42
	s_delay_alu instid0(VALU_DEP_1)
	v_lshl_or_b32 v42, v42, 4, v84
	ds_add_u32 v42, v96
	s_or_b32 exec_lo, exec_lo, s11
	v_cmp_gt_u32_e32 vcc_lo, s10, v82
	s_and_saveexec_b32 s10, vcc_lo
	s_cbranch_execz .LBB1348_23
.LBB1348_79:                            ;   in Loop: Header=BB1348_24 Depth=2
	v_cmp_gt_i32_e32 vcc_lo, 0, v25
	v_cndmask_b32_e64 v42, 0x7fffffff, 0, vcc_lo
	s_delay_alu instid0(VALU_DEP_1) | instskip(NEXT) | instid1(VALU_DEP_1)
	v_xor_b32_e32 v42, v42, v25
	v_cmp_ne_u32_e32 vcc_lo, 0x80000000, v42
	v_cndmask_b32_e32 v42, 0x7fffffff, v42, vcc_lo
	s_delay_alu instid0(VALU_DEP_1) | instskip(NEXT) | instid1(VALU_DEP_1)
	v_lshrrev_b32_e32 v42, s48, v42
	v_and_b32_e32 v42, s58, v42
	s_delay_alu instid0(VALU_DEP_1)
	v_lshl_or_b32 v42, v42, 4, v84
	ds_add_u32 v42, v96
	s_branch .LBB1348_23
.LBB1348_80:                            ;   in Loop: Header=BB1348_24 Depth=2
	global_load_b32 v41, v2, s[10:11] scale_offset
	s_wait_xcnt 0x0
	s_or_b32 exec_lo, exec_lo, s13
	s_delay_alu instid0(SALU_CYCLE_1)
	s_mov_b32 s13, exec_lo
	v_cmpx_gt_u32_e64 s9, v3
	s_cbranch_execz .LBB1348_29
.LBB1348_81:                            ;   in Loop: Header=BB1348_24 Depth=2
	global_load_b32 v40, v2, s[10:11] offset:1024 scale_offset
	s_wait_xcnt 0x0
	s_or_b32 exec_lo, exec_lo, s13
	s_delay_alu instid0(SALU_CYCLE_1)
	s_mov_b32 s13, exec_lo
	v_cmpx_gt_u32_e64 s9, v68
	s_cbranch_execz .LBB1348_30
.LBB1348_82:                            ;   in Loop: Header=BB1348_24 Depth=2
	global_load_b32 v39, v2, s[10:11] offset:2048 scale_offset
	s_wait_xcnt 0x0
	s_or_b32 exec_lo, exec_lo, s13
	s_delay_alu instid0(SALU_CYCLE_1)
	s_mov_b32 s13, exec_lo
	v_cmpx_gt_u32_e64 s9, v69
	s_cbranch_execz .LBB1348_31
.LBB1348_83:                            ;   in Loop: Header=BB1348_24 Depth=2
	global_load_b32 v38, v2, s[10:11] offset:3072 scale_offset
	s_wait_xcnt 0x0
	s_or_b32 exec_lo, exec_lo, s13
	s_delay_alu instid0(SALU_CYCLE_1)
	s_mov_b32 s13, exec_lo
	v_cmpx_gt_u32_e64 s9, v70
	s_cbranch_execz .LBB1348_32
.LBB1348_84:                            ;   in Loop: Header=BB1348_24 Depth=2
	global_load_b32 v37, v2, s[10:11] offset:4096 scale_offset
	s_wait_xcnt 0x0
	s_or_b32 exec_lo, exec_lo, s13
	s_delay_alu instid0(SALU_CYCLE_1)
	s_mov_b32 s13, exec_lo
	v_cmpx_gt_u32_e64 s9, v71
	s_cbranch_execz .LBB1348_33
.LBB1348_85:                            ;   in Loop: Header=BB1348_24 Depth=2
	global_load_b32 v36, v2, s[10:11] offset:5120 scale_offset
	s_wait_xcnt 0x0
	s_or_b32 exec_lo, exec_lo, s13
	s_delay_alu instid0(SALU_CYCLE_1)
	s_mov_b32 s13, exec_lo
	v_cmpx_gt_u32_e64 s9, v72
	s_cbranch_execz .LBB1348_34
.LBB1348_86:                            ;   in Loop: Header=BB1348_24 Depth=2
	global_load_b32 v35, v2, s[10:11] offset:6144 scale_offset
	s_wait_xcnt 0x0
	s_or_b32 exec_lo, exec_lo, s13
	s_delay_alu instid0(SALU_CYCLE_1)
	s_mov_b32 s13, exec_lo
	v_cmpx_gt_u32_e64 s9, v73
	s_cbranch_execz .LBB1348_35
.LBB1348_87:                            ;   in Loop: Header=BB1348_24 Depth=2
	global_load_b32 v34, v2, s[10:11] offset:7168 scale_offset
	s_wait_xcnt 0x0
	s_or_b32 exec_lo, exec_lo, s13
	s_delay_alu instid0(SALU_CYCLE_1)
	s_mov_b32 s13, exec_lo
	v_cmpx_gt_u32_e64 s9, v74
	s_cbranch_execz .LBB1348_36
.LBB1348_88:                            ;   in Loop: Header=BB1348_24 Depth=2
	global_load_b32 v33, v2, s[10:11] offset:8192 scale_offset
	s_wait_xcnt 0x0
	s_or_b32 exec_lo, exec_lo, s13
	s_delay_alu instid0(SALU_CYCLE_1)
	s_mov_b32 s13, exec_lo
	v_cmpx_gt_u32_e64 s9, v75
	s_cbranch_execz .LBB1348_37
.LBB1348_89:                            ;   in Loop: Header=BB1348_24 Depth=2
	global_load_b32 v32, v2, s[10:11] offset:9216 scale_offset
	s_wait_xcnt 0x0
	s_or_b32 exec_lo, exec_lo, s13
	s_delay_alu instid0(SALU_CYCLE_1)
	s_mov_b32 s13, exec_lo
	v_cmpx_gt_u32_e64 s9, v76
	s_cbranch_execz .LBB1348_38
.LBB1348_90:                            ;   in Loop: Header=BB1348_24 Depth=2
	global_load_b32 v31, v2, s[10:11] offset:10240 scale_offset
	s_wait_xcnt 0x0
	s_or_b32 exec_lo, exec_lo, s13
	s_delay_alu instid0(SALU_CYCLE_1)
	s_mov_b32 s13, exec_lo
	v_cmpx_gt_u32_e64 s9, v77
	s_cbranch_execz .LBB1348_39
.LBB1348_91:                            ;   in Loop: Header=BB1348_24 Depth=2
	global_load_b32 v30, v2, s[10:11] offset:11264 scale_offset
	s_wait_xcnt 0x0
	s_or_b32 exec_lo, exec_lo, s13
	s_delay_alu instid0(SALU_CYCLE_1)
	s_mov_b32 s13, exec_lo
	v_cmpx_gt_u32_e64 s9, v78
	s_cbranch_execz .LBB1348_40
.LBB1348_92:                            ;   in Loop: Header=BB1348_24 Depth=2
	global_load_b32 v29, v2, s[10:11] offset:12288 scale_offset
	s_wait_xcnt 0x0
	s_or_b32 exec_lo, exec_lo, s13
	s_delay_alu instid0(SALU_CYCLE_1)
	s_mov_b32 s13, exec_lo
	v_cmpx_gt_u32_e64 s9, v79
	s_cbranch_execz .LBB1348_41
.LBB1348_93:                            ;   in Loop: Header=BB1348_24 Depth=2
	global_load_b32 v28, v2, s[10:11] offset:13312 scale_offset
	s_wait_xcnt 0x0
	s_or_b32 exec_lo, exec_lo, s13
	s_delay_alu instid0(SALU_CYCLE_1)
	s_mov_b32 s13, exec_lo
	v_cmpx_gt_u32_e64 s9, v80
	s_cbranch_execz .LBB1348_42
.LBB1348_94:                            ;   in Loop: Header=BB1348_24 Depth=2
	global_load_b32 v27, v2, s[10:11] offset:14336 scale_offset
	s_wait_xcnt 0x0
	s_or_b32 exec_lo, exec_lo, s13
	s_delay_alu instid0(SALU_CYCLE_1)
	s_mov_b32 s13, exec_lo
	v_cmpx_gt_u32_e64 s9, v81
	s_cbranch_execz .LBB1348_43
.LBB1348_95:                            ;   in Loop: Header=BB1348_24 Depth=2
	global_load_b32 v26, v2, s[10:11] offset:15360 scale_offset
	s_wait_xcnt 0x0
	s_or_b32 exec_lo, exec_lo, s13
	s_delay_alu instid0(SALU_CYCLE_1)
	s_mov_b32 s13, exec_lo
	v_cmpx_gt_u32_e64 s9, v82
	s_cbranch_execnz .LBB1348_44
	s_branch .LBB1348_45
.LBB1348_96:                            ;   in Loop: Header=BB1348_20 Depth=1
	v_mov_b32_e32 v25, 0
	s_wait_dscnt 0x0
	s_barrier_signal -1
	s_barrier_wait -1
	s_and_saveexec_b32 s9, s0
	s_cbranch_execz .LBB1348_98
; %bb.97:                               ;   in Loop: Header=BB1348_20 Depth=1
	ds_load_2addr_b64 v[26:29], v85 offset1:1
	s_wait_dscnt 0x0
	v_add_nc_u32_e32 v25, v27, v26
	s_delay_alu instid0(VALU_DEP_1)
	v_add3_u32 v25, v25, v28, v29
.LBB1348_98:                            ;   in Loop: Header=BB1348_20 Depth=1
	s_or_b32 exec_lo, exec_lo, s9
	s_delay_alu instid0(VALU_DEP_1)
	v_mov_b32_dpp v26, v25 row_shr:1 row_mask:0xf bank_mask:0xf
	v_cmp_eq_u32_e64 s9, 0, v97
	v_cmp_lt_u32_e64 s10, 1, v97
	v_cmp_lt_u32_e64 s11, 3, v97
	;; [unrolled: 1-line block ×3, first 2 shown]
	v_cmp_eq_u32_e64 s13, 0, v99
	v_cndmask_b32_e64 v26, v26, 0, s9
	s_delay_alu instid0(VALU_DEP_1) | instskip(NEXT) | instid1(VALU_DEP_1)
	v_add_nc_u32_e32 v25, v26, v25
	v_mov_b32_dpp v26, v25 row_shr:2 row_mask:0xf bank_mask:0xf
	s_delay_alu instid0(VALU_DEP_1) | instskip(NEXT) | instid1(VALU_DEP_1)
	v_cndmask_b32_e64 v26, 0, v26, s10
	v_add_nc_u32_e32 v25, v25, v26
	s_delay_alu instid0(VALU_DEP_1) | instskip(NEXT) | instid1(VALU_DEP_1)
	v_mov_b32_dpp v26, v25 row_shr:4 row_mask:0xf bank_mask:0xf
	v_cndmask_b32_e64 v26, 0, v26, s11
	s_delay_alu instid0(VALU_DEP_1) | instskip(NEXT) | instid1(VALU_DEP_1)
	v_add_nc_u32_e32 v25, v25, v26
	v_mov_b32_dpp v26, v25 row_shr:8 row_mask:0xf bank_mask:0xf
	s_delay_alu instid0(VALU_DEP_1) | instskip(NEXT) | instid1(VALU_DEP_1)
	v_cndmask_b32_e64 v26, 0, v26, s12
	v_add_nc_u32_e32 v25, v25, v26
	ds_swizzle_b32 v26, v25 offset:swizzle(BROADCAST,32,15)
	s_wait_dscnt 0x0
	v_and_b32_e32 v26, v98, v26
	s_delay_alu instid0(VALU_DEP_1)
	v_add_nc_u32_e32 v25, v25, v26
	s_and_saveexec_b32 s14, s1
; %bb.99:                               ;   in Loop: Header=BB1348_20 Depth=1
	ds_store_b32 v86, v25
; %bb.100:                              ;   in Loop: Header=BB1348_20 Depth=1
	s_or_b32 exec_lo, exec_lo, s14
	s_wait_dscnt 0x0
	s_barrier_signal -1
	s_barrier_wait -1
	s_and_saveexec_b32 s14, s4
	s_cbranch_execz .LBB1348_102
; %bb.101:                              ;   in Loop: Header=BB1348_20 Depth=1
	ds_load_b32 v26, v87
	v_cmp_ne_u32_e32 vcc_lo, 0, v100
	s_wait_dscnt 0x0
	v_mov_b32_dpp v27, v26 row_shr:1 row_mask:0xf bank_mask:0xf
	s_delay_alu instid0(VALU_DEP_1) | instskip(SKIP_1) | instid1(VALU_DEP_2)
	v_cndmask_b32_e32 v27, 0, v27, vcc_lo
	v_cmp_lt_u32_e32 vcc_lo, 1, v100
	v_add_nc_u32_e32 v26, v27, v26
	s_delay_alu instid0(VALU_DEP_1) | instskip(NEXT) | instid1(VALU_DEP_1)
	v_mov_b32_dpp v27, v26 row_shr:2 row_mask:0xf bank_mask:0xf
	v_cndmask_b32_e32 v27, 0, v27, vcc_lo
	s_delay_alu instid0(VALU_DEP_1)
	v_add_nc_u32_e32 v26, v26, v27
	ds_store_b32 v87, v26
.LBB1348_102:                           ;   in Loop: Header=BB1348_20 Depth=1
	s_or_b32 exec_lo, exec_lo, s14
	v_mov_b32_e32 v26, 0
	s_wait_dscnt 0x0
	s_barrier_signal -1
	s_barrier_wait -1
	s_and_saveexec_b32 s14, s5
; %bb.103:                              ;   in Loop: Header=BB1348_20 Depth=1
	ds_load_b32 v26, v88
; %bb.104:                              ;   in Loop: Header=BB1348_20 Depth=1
	s_or_b32 exec_lo, exec_lo, s14
	v_cmp_gt_i32_e32 vcc_lo, 0, v102
	s_wait_dscnt 0x0
	s_barrier_signal -1
	s_barrier_wait -1
	v_cndmask_b32_e32 v27, v102, v95, vcc_lo
	s_delay_alu instid0(VALU_DEP_1)
	v_dual_add_nc_u32 v25, v26, v25 :: v_dual_lshlrev_b32 v119, 2, v27
	ds_bpermute_b32 v25, v119, v25
	s_and_saveexec_b32 s14, s0
	s_cbranch_execz .LBB1348_106
; %bb.105:                              ;   in Loop: Header=BB1348_20 Depth=1
	s_wait_dscnt 0x0
	v_cndmask_b32_e64 v25, v25, v26, s8
	s_delay_alu instid0(VALU_DEP_1)
	v_add_nc_u32_e32 v25, s55, v25
	ds_store_b32 v4, v25
.LBB1348_106:                           ;   in Loop: Header=BB1348_20 Depth=1
	s_or_b32 exec_lo, exec_lo, s14
	s_clause 0x1
	s_load_b32 s14, s[52:53], 0x4
	s_load_b32 s16, s[52:53], 0xc
	s_mov_b32 s59, s57
                                        ; implicit-def: $vgpr32_vgpr33
                                        ; implicit-def: $vgpr34_vgpr35
                                        ; implicit-def: $vgpr36_vgpr37
                                        ; implicit-def: $vgpr38_vgpr39
                                        ; implicit-def: $vgpr40_vgpr41
                                        ; implicit-def: $vgpr42_vgpr43
                                        ; implicit-def: $vgpr44_vgpr45
                                        ; implicit-def: $vgpr46_vgpr47
                                        ; implicit-def: $vgpr48_vgpr49
                                        ; implicit-def: $vgpr50_vgpr51
                                        ; implicit-def: $vgpr52_vgpr53
                                        ; implicit-def: $vgpr54_vgpr55
                                        ; implicit-def: $vgpr56_vgpr57
                                        ; implicit-def: $vgpr58_vgpr59
                                        ; implicit-def: $vgpr60_vgpr61
                                        ; implicit-def: $vgpr62_vgpr63
                                        ; implicit-def: $vgpr120
                                        ; implicit-def: $vgpr121
                                        ; implicit-def: $vgpr122
                                        ; implicit-def: $vgpr123
                                        ; implicit-def: $vgpr124
                                        ; implicit-def: $vgpr125
                                        ; implicit-def: $vgpr126
                                        ; implicit-def: $vgpr127
                                        ; implicit-def: $vgpr128
                                        ; implicit-def: $vgpr129
                                        ; implicit-def: $vgpr130
                                        ; implicit-def: $vgpr131
                                        ; implicit-def: $vgpr132
                                        ; implicit-def: $vgpr134
                                        ; implicit-def: $vgpr135
                                        ; implicit-def: $vgpr136
                                        ; implicit-def: $vgpr137
                                        ; implicit-def: $vgpr133
                                        ; implicit-def: $vgpr138
	s_wait_kmcnt 0x0
	s_cmp_lt_u32 s35, s14
	s_cselect_b32 s42, 14, 20
	s_delay_alu instid0(SALU_CYCLE_1)
	s_add_nc_u64 s[14:15], s[52:53], s[42:43]
	s_mov_b32 s42, s55
	s_load_u16 s14, s[14:15], 0x0
	s_wait_xcnt 0x0
	v_cmp_lt_u32_e64 s15, 1, v103
	s_wait_dscnt 0x0
	s_wait_kmcnt 0x0
	v_mad_u32_u24 v25, v89, s14, v91
	s_and_b32 s14, s16, 0xffff
	v_cmp_lt_u32_e64 s16, 3, v103
	s_delay_alu instid0(VALU_DEP_2) | instskip(SKIP_2) | instid1(VALU_DEP_3)
	v_mad_u32 v26, v25, s14, v2
	v_mov_b32_e32 v25, v1
	v_cmp_eq_u32_e64 s14, 0, v103
	v_lshrrev_b32_e32 v30, 3, v26
	v_add_nc_u64_e32 v[26:27], v[6:7], v[0:1]
	s_delay_alu instid0(VALU_DEP_4) | instskip(NEXT) | instid1(VALU_DEP_3)
	v_add_nc_u64_e32 v[28:29], v[8:9], v[24:25]
	v_and_b32_e32 v25, 0x1ffffffc, v30
                                        ; implicit-def: $vgpr30_vgpr31
	s_branch .LBB1348_108
.LBB1348_107:                           ;   in Loop: Header=BB1348_108 Depth=2
	s_or_b32 exec_lo, exec_lo, s17
	s_addk_co_i32 s59, 0xef00
	s_cmp_lt_u32 s60, s54
	s_mov_b32 s42, s60
	s_cbranch_scc0 .LBB1348_330
.LBB1348_108:                           ;   Parent Loop BB1348_20 Depth=1
                                        ; =>  This Inner Loop Header: Depth=2
	s_add_co_i32 s60, s42, 0x1100
	s_delay_alu instid0(SALU_CYCLE_1)
	s_cmp_gt_u32 s60, s54
	s_cbranch_scc1 .LBB1348_110
; %bb.109:                              ;   in Loop: Header=BB1348_108 Depth=2
	s_delay_alu instid0(VALU_DEP_2)
	v_lshl_add_u64 v[64:65], s[42:43], 2, v[28:29]
	s_mov_b32 s17, -1
	s_clause 0xf
	global_load_b32 v140, v[64:65], off
	global_load_b32 v142, v[64:65], off offset:128
	global_load_b32 v144, v[64:65], off offset:256
	;; [unrolled: 1-line block ×15, first 2 shown]
	s_movk_i32 s18, 0x1100
	s_cbranch_execz .LBB1348_111
	s_branch .LBB1348_144
.LBB1348_110:                           ;   in Loop: Header=BB1348_108 Depth=2
	s_mov_b32 s17, 0
                                        ; implicit-def: $vgpr140
                                        ; implicit-def: $vgpr142
                                        ; implicit-def: $vgpr144
                                        ; implicit-def: $vgpr148
                                        ; implicit-def: $vgpr153
                                        ; implicit-def: $vgpr158
                                        ; implicit-def: $vgpr163
                                        ; implicit-def: $vgpr168
                                        ; implicit-def: $vgpr173
                                        ; implicit-def: $vgpr171
                                        ; implicit-def: $vgpr166
                                        ; implicit-def: $vgpr161
                                        ; implicit-def: $vgpr157
                                        ; implicit-def: $vgpr152
                                        ; implicit-def: $vgpr67
                                        ; implicit-def: $vgpr66
	s_movk_i32 s18, 0x1100
.LBB1348_111:                           ;   in Loop: Header=BB1348_108 Depth=2
	s_wait_xcnt 0x0
	v_lshl_add_u64 v[64:65], s[42:43], 2, v[28:29]
	s_wait_loadcnt 0xe
	v_dual_mov_b32 v142, -1 :: v_dual_mov_b32 v140, -1
	s_mov_b32 s17, exec_lo
	v_cmpx_gt_u32_e64 s59, v101
	s_cbranch_execz .LBB1348_113
; %bb.112:                              ;   in Loop: Header=BB1348_108 Depth=2
	global_load_b32 v140, v[64:65], off
.LBB1348_113:                           ;   in Loop: Header=BB1348_108 Depth=2
	s_wait_xcnt 0x0
	s_or_b32 exec_lo, exec_lo, s17
	s_delay_alu instid0(SALU_CYCLE_1)
	s_mov_b32 s17, exec_lo
	v_cmpx_gt_u32_e64 s59, v104
	s_cbranch_execz .LBB1348_115
; %bb.114:                              ;   in Loop: Header=BB1348_108 Depth=2
	global_load_b32 v142, v[64:65], off offset:128
.LBB1348_115:                           ;   in Loop: Header=BB1348_108 Depth=2
	s_wait_xcnt 0x0
	s_or_b32 exec_lo, exec_lo, s17
	s_wait_loadcnt 0xc
	v_dual_mov_b32 v148, -1 :: v_dual_mov_b32 v144, -1
	s_mov_b32 s17, exec_lo
	v_cmpx_gt_u32_e64 s59, v105
	s_cbranch_execz .LBB1348_117
; %bb.116:                              ;   in Loop: Header=BB1348_108 Depth=2
	global_load_b32 v144, v[64:65], off offset:256
.LBB1348_117:                           ;   in Loop: Header=BB1348_108 Depth=2
	s_wait_xcnt 0x0
	s_or_b32 exec_lo, exec_lo, s17
	s_delay_alu instid0(SALU_CYCLE_1)
	s_mov_b32 s17, exec_lo
	v_cmpx_gt_u32_e64 s59, v106
	s_cbranch_execz .LBB1348_119
; %bb.118:                              ;   in Loop: Header=BB1348_108 Depth=2
	global_load_b32 v148, v[64:65], off offset:384
.LBB1348_119:                           ;   in Loop: Header=BB1348_108 Depth=2
	s_wait_xcnt 0x0
	s_or_b32 exec_lo, exec_lo, s17
	s_wait_loadcnt 0xa
	v_dual_mov_b32 v158, -1 :: v_dual_mov_b32 v153, -1
	s_mov_b32 s17, exec_lo
	v_cmpx_gt_u32_e64 s59, v107
	s_cbranch_execz .LBB1348_121
; %bb.120:                              ;   in Loop: Header=BB1348_108 Depth=2
	global_load_b32 v153, v[64:65], off offset:512
.LBB1348_121:                           ;   in Loop: Header=BB1348_108 Depth=2
	;; [unrolled: 19-line block ×7, first 2 shown]
	s_wait_xcnt 0x0
	s_or_b32 exec_lo, exec_lo, s17
	s_delay_alu instid0(SALU_CYCLE_1)
	s_mov_b32 s17, exec_lo
	v_cmpx_gt_u32_e64 s59, v118
	s_cbranch_execz .LBB1348_143
; %bb.142:                              ;   in Loop: Header=BB1348_108 Depth=2
	global_load_b32 v66, v[64:65], off offset:1920
.LBB1348_143:                           ;   in Loop: Header=BB1348_108 Depth=2
	s_wait_xcnt 0x0
	s_or_b32 exec_lo, exec_lo, s17
	v_cmp_gt_u32_e64 s17, s59, v5
	s_sub_co_i32 s18, s54, s42
.LBB1348_144:                           ;   in Loop: Header=BB1348_108 Depth=2
	s_wait_xcnt 0x0
	v_dual_mov_b32 v64, -1 :: v_dual_mov_b32 v139, s59
	s_and_saveexec_b32 s19, s17
	s_cbranch_execz .LBB1348_146
; %bb.145:                              ;   in Loop: Header=BB1348_108 Depth=2
	v_lshl_add_u64 v[64:65], s[42:43], 2, v[28:29]
	v_mov_b32_e32 v139, s18
	global_load_b32 v64, v[64:65], off offset:2048
.LBB1348_146:                           ;   in Loop: Header=BB1348_108 Depth=2
	s_wait_xcnt 0x0
	s_or_b32 exec_lo, exec_lo, s19
	s_wait_loadcnt 0xf
	v_cmp_gt_i32_e32 vcc_lo, 0, v140
	ds_store_2addr_b32 v90, v1, v1 offset0:136 offset1:137
	ds_store_2addr_b32 v90, v1, v1 offset0:138 offset1:139
	ds_store_b32 v90, v1 offset:560
	s_wait_loadcnt_dscnt 0x0
	s_barrier_signal -1
	s_barrier_wait -1
	v_cndmask_b32_e64 v65, 0x7fffffff, 0, vcc_lo
	; wave barrier
	s_delay_alu instid0(VALU_DEP_1) | instskip(NEXT) | instid1(VALU_DEP_1)
	v_xor_b32_e32 v140, v65, v140
	v_cmp_ne_u32_e32 vcc_lo, 0x80000000, v140
	v_cndmask_b32_e32 v65, 0x7fffffff, v140, vcc_lo
	s_delay_alu instid0(VALU_DEP_1) | instskip(NEXT) | instid1(VALU_DEP_1)
	v_lshrrev_b32_e32 v65, s48, v65
	v_bitop3_b32 v141, v65, 1, s58 bitop3:0x80
	v_and_b32_e32 v143, s58, v65
	s_delay_alu instid0(VALU_DEP_2) | instskip(NEXT) | instid1(VALU_DEP_1)
	v_add_co_u32 v65, s17, v141, -1
	v_cndmask_b32_e64 v141, 0, 1, s17
	s_delay_alu instid0(VALU_DEP_3) | instskip(SKIP_1) | instid1(VALU_DEP_3)
	v_dual_lshlrev_b32 v145, 30, v143 :: v_dual_lshlrev_b32 v147, 28, v143
	v_lshlrev_b32_e32 v146, 29, v143
	v_cmp_ne_u32_e32 vcc_lo, 0, v141
	s_delay_alu instid0(VALU_DEP_3) | instskip(SKIP_1) | instid1(VALU_DEP_4)
	v_cmp_gt_i32_e64 s17, 0, v145
	v_not_b32_e32 v141, v145
	v_cmp_gt_i32_e64 s18, 0, v146
	v_not_b32_e32 v145, v146
	v_not_b32_e32 v146, v147
	v_cmp_gt_i32_e64 s19, 0, v147
	v_ashrrev_i32_e32 v141, 31, v141
	v_bitop3_b32 v65, vcc_lo, exec_lo, v65 bitop3:0x48
	s_delay_alu instid0(VALU_DEP_4) | instskip(SKIP_2) | instid1(VALU_DEP_3)
	v_dual_ashrrev_i32 v146, 31, v146 :: v_dual_lshlrev_b32 v149, 27, v143
	v_dual_lshlrev_b32 v150, 26, v143 :: v_dual_lshlrev_b32 v151, 25, v143
	v_mul_u32_u24_e32 v143, 36, v143
	v_xor_b32_e32 v146, s19, v146
	s_delay_alu instid0(VALU_DEP_4)
	v_not_b32_e32 v147, v149
	v_ashrrev_i32_e32 v145, 31, v145
	v_cmp_gt_i32_e64 s20, 0, v149
	v_cmp_gt_i32_e64 s21, 0, v150
	v_not_b32_e32 v149, v150
	v_not_b32_e32 v150, v151
	v_dual_ashrrev_i32 v147, 31, v147 :: v_dual_bitop2_b32 v141, s17, v141 bitop3:0x14
	v_dual_add_nc_u32 v143, v25, v143 :: v_dual_bitop2_b32 v145, s18, v145 bitop3:0x14
	v_cmp_gt_i32_e64 s22, 0, v151
	s_delay_alu instid0(VALU_DEP_4) | instskip(NEXT) | instid1(VALU_DEP_4)
	v_dual_ashrrev_i32 v149, 31, v149 :: v_dual_ashrrev_i32 v150, 31, v150
	v_xor_b32_e32 v147, s20, v147
	s_delay_alu instid0(VALU_DEP_4) | instskip(NEXT) | instid1(VALU_DEP_3)
	v_bitop3_b32 v65, v65, v145, v141 bitop3:0x80
	v_xor_b32_e32 v141, s21, v149
	s_delay_alu instid0(VALU_DEP_4) | instskip(NEXT) | instid1(VALU_DEP_3)
	v_xor_b32_e32 v145, s22, v150
	v_bitop3_b32 v65, v65, v147, v146 bitop3:0x80
	s_delay_alu instid0(VALU_DEP_1) | instskip(NEXT) | instid1(VALU_DEP_1)
	v_bitop3_b32 v65, v65, v145, v141 bitop3:0x80
	v_mbcnt_lo_u32_b32 v141, v65, 0
	v_cmp_ne_u32_e64 s17, 0, v65
	s_delay_alu instid0(VALU_DEP_2) | instskip(SKIP_1) | instid1(SALU_CYCLE_1)
	v_cmp_eq_u32_e32 vcc_lo, 0, v141
	s_and_b32 s18, s17, vcc_lo
	s_and_saveexec_b32 s17, s18
; %bb.147:                              ;   in Loop: Header=BB1348_108 Depth=2
	v_bcnt_u32_b32 v65, v65, 0
	ds_store_b32 v143, v65 offset:544
; %bb.148:                              ;   in Loop: Header=BB1348_108 Depth=2
	s_or_b32 exec_lo, exec_lo, s17
	v_cmp_gt_i32_e32 vcc_lo, 0, v142
	; wave barrier
	v_cndmask_b32_e64 v65, 0x7fffffff, 0, vcc_lo
	s_delay_alu instid0(VALU_DEP_1) | instskip(NEXT) | instid1(VALU_DEP_1)
	v_xor_b32_e32 v142, v65, v142
	v_cmp_ne_u32_e32 vcc_lo, 0x80000000, v142
	v_cndmask_b32_e32 v65, 0x7fffffff, v142, vcc_lo
	s_delay_alu instid0(VALU_DEP_1) | instskip(NEXT) | instid1(VALU_DEP_1)
	v_lshrrev_b32_e32 v65, s48, v65
	v_bitop3_b32 v145, v65, 1, s58 bitop3:0x80
	v_and_b32_e32 v147, s58, v65
	s_delay_alu instid0(VALU_DEP_2) | instskip(NEXT) | instid1(VALU_DEP_1)
	v_add_co_u32 v65, s17, v145, -1
	v_cndmask_b32_e64 v145, 0, 1, s17
	s_delay_alu instid0(VALU_DEP_3) | instskip(NEXT) | instid1(VALU_DEP_2)
	v_dual_lshlrev_b32 v146, 30, v147 :: v_dual_lshlrev_b32 v149, 29, v147
	v_cmp_ne_u32_e32 vcc_lo, 0, v145
	s_delay_alu instid0(VALU_DEP_2) | instskip(SKIP_1) | instid1(VALU_DEP_4)
	v_cmp_gt_i32_e64 s17, 0, v146
	v_not_b32_e32 v145, v146
	v_not_b32_e32 v146, v149
	v_bitop3_b32 v65, vcc_lo, exec_lo, v65 bitop3:0x48
	s_delay_alu instid0(VALU_DEP_2) | instskip(SKIP_3) | instid1(VALU_DEP_3)
	v_dual_ashrrev_i32 v145, 31, v145 :: v_dual_ashrrev_i32 v146, 31, v146
	v_dual_lshlrev_b32 v150, 28, v147 :: v_dual_lshlrev_b32 v151, 27, v147
	v_dual_lshlrev_b32 v154, 26, v147 :: v_dual_lshlrev_b32 v155, 25, v147
	v_cmp_gt_i32_e64 s18, 0, v149
	v_cmp_gt_i32_e64 s19, 0, v150
	v_not_b32_e32 v149, v150
	v_not_b32_e32 v150, v151
	v_cmp_gt_i32_e64 s20, 0, v151
	v_cmp_gt_i32_e64 s21, 0, v154
	v_not_b32_e32 v151, v154
	v_not_b32_e32 v154, v155
	v_dual_ashrrev_i32 v149, 31, v149 :: v_dual_ashrrev_i32 v150, 31, v150
	s_delay_alu instid0(VALU_DEP_3) | instskip(SKIP_2) | instid1(VALU_DEP_4)
	v_dual_ashrrev_i32 v151, 31, v151 :: v_dual_bitop2_b32 v145, s17, v145 bitop3:0x14
	v_xor_b32_e32 v146, s18, v146
	v_cmp_gt_i32_e64 s22, 0, v155
	v_dual_ashrrev_i32 v154, 31, v154 :: v_dual_bitop2_b32 v149, s19, v149 bitop3:0x14
	v_xor_b32_e32 v150, s20, v150
	s_delay_alu instid0(VALU_DEP_4)
	v_bitop3_b32 v65, v65, v146, v145 bitop3:0x80
	v_mad_u32_u24 v145, v147, 36, v25
	v_xor_b32_e32 v146, s21, v151
	v_xor_b32_e32 v151, s22, v154
	v_mul_u32_u24_e32 v147, 36, v147
	v_bitop3_b32 v65, v65, v150, v149 bitop3:0x80
	ds_load_b32 v145, v145 offset:544
	; wave barrier
	v_add_nc_u32_e32 v147, v25, v147
	v_bitop3_b32 v65, v65, v151, v146 bitop3:0x80
	s_delay_alu instid0(VALU_DEP_1) | instskip(SKIP_1) | instid1(VALU_DEP_2)
	v_mbcnt_lo_u32_b32 v146, v65, 0
	v_cmp_ne_u32_e64 s17, 0, v65
	v_cmp_eq_u32_e32 vcc_lo, 0, v146
	s_and_b32 s18, s17, vcc_lo
	s_delay_alu instid0(SALU_CYCLE_1)
	s_and_saveexec_b32 s17, s18
	s_cbranch_execz .LBB1348_150
; %bb.149:                              ;   in Loop: Header=BB1348_108 Depth=2
	s_wait_dscnt 0x0
	v_bcnt_u32_b32 v65, v65, v145
	ds_store_b32 v147, v65 offset:544
.LBB1348_150:                           ;   in Loop: Header=BB1348_108 Depth=2
	s_or_b32 exec_lo, exec_lo, s17
	v_cmp_gt_i32_e32 vcc_lo, 0, v144
	; wave barrier
	v_cndmask_b32_e64 v65, 0x7fffffff, 0, vcc_lo
	s_delay_alu instid0(VALU_DEP_1) | instskip(NEXT) | instid1(VALU_DEP_1)
	v_xor_b32_e32 v144, v65, v144
	v_cmp_ne_u32_e32 vcc_lo, 0x80000000, v144
	v_cndmask_b32_e32 v65, 0x7fffffff, v144, vcc_lo
	s_delay_alu instid0(VALU_DEP_1) | instskip(NEXT) | instid1(VALU_DEP_1)
	v_lshrrev_b32_e32 v65, s48, v65
	v_bitop3_b32 v149, v65, 1, s58 bitop3:0x80
	v_and_b32_e32 v151, s58, v65
	s_delay_alu instid0(VALU_DEP_2) | instskip(NEXT) | instid1(VALU_DEP_1)
	v_add_co_u32 v65, s17, v149, -1
	v_cndmask_b32_e64 v149, 0, 1, s17
	s_delay_alu instid0(VALU_DEP_3) | instskip(NEXT) | instid1(VALU_DEP_2)
	v_dual_lshlrev_b32 v150, 30, v151 :: v_dual_lshlrev_b32 v154, 29, v151
	v_cmp_ne_u32_e32 vcc_lo, 0, v149
	s_delay_alu instid0(VALU_DEP_2) | instskip(SKIP_1) | instid1(VALU_DEP_4)
	v_cmp_gt_i32_e64 s17, 0, v150
	v_not_b32_e32 v149, v150
	v_not_b32_e32 v150, v154
	v_bitop3_b32 v65, vcc_lo, exec_lo, v65 bitop3:0x48
	s_delay_alu instid0(VALU_DEP_2) | instskip(SKIP_3) | instid1(VALU_DEP_3)
	v_dual_ashrrev_i32 v149, 31, v149 :: v_dual_ashrrev_i32 v150, 31, v150
	v_dual_lshlrev_b32 v155, 28, v151 :: v_dual_lshlrev_b32 v156, 27, v151
	v_dual_lshlrev_b32 v159, 26, v151 :: v_dual_lshlrev_b32 v160, 25, v151
	v_cmp_gt_i32_e64 s18, 0, v154
	v_cmp_gt_i32_e64 s19, 0, v155
	v_not_b32_e32 v154, v155
	v_not_b32_e32 v155, v156
	v_cmp_gt_i32_e64 s20, 0, v156
	v_cmp_gt_i32_e64 s21, 0, v159
	v_not_b32_e32 v156, v159
	v_not_b32_e32 v159, v160
	v_dual_ashrrev_i32 v154, 31, v154 :: v_dual_ashrrev_i32 v155, 31, v155
	s_delay_alu instid0(VALU_DEP_3) | instskip(NEXT) | instid1(VALU_DEP_3)
	v_dual_ashrrev_i32 v156, 31, v156 :: v_dual_bitop2_b32 v149, s17, v149 bitop3:0x14
	v_dual_ashrrev_i32 v159, 31, v159 :: v_dual_bitop2_b32 v150, s18, v150 bitop3:0x14
	v_cmp_gt_i32_e64 s22, 0, v160
	s_delay_alu instid0(VALU_DEP_4) | instskip(NEXT) | instid1(VALU_DEP_3)
	v_xor_b32_e32 v155, s20, v155
	v_bitop3_b32 v65, v65, v150, v149 bitop3:0x80
	v_mad_u32_u24 v149, v151, 36, v25
	v_mul_u32_u24_e32 v151, 36, v151
	v_xor_b32_e32 v154, s19, v154
	v_xor_b32_e32 v150, s21, v156
	;; [unrolled: 1-line block ×3, first 2 shown]
	ds_load_b32 v149, v149 offset:544
	v_add_nc_u32_e32 v151, v25, v151
	v_bitop3_b32 v65, v65, v155, v154 bitop3:0x80
	; wave barrier
	s_delay_alu instid0(VALU_DEP_1) | instskip(NEXT) | instid1(VALU_DEP_1)
	v_bitop3_b32 v65, v65, v156, v150 bitop3:0x80
	v_mbcnt_lo_u32_b32 v150, v65, 0
	v_cmp_ne_u32_e64 s17, 0, v65
	s_delay_alu instid0(VALU_DEP_2) | instskip(SKIP_1) | instid1(SALU_CYCLE_1)
	v_cmp_eq_u32_e32 vcc_lo, 0, v150
	s_and_b32 s18, s17, vcc_lo
	s_and_saveexec_b32 s17, s18
	s_cbranch_execz .LBB1348_152
; %bb.151:                              ;   in Loop: Header=BB1348_108 Depth=2
	s_wait_dscnt 0x0
	v_bcnt_u32_b32 v65, v65, v149
	ds_store_b32 v151, v65 offset:544
.LBB1348_152:                           ;   in Loop: Header=BB1348_108 Depth=2
	s_or_b32 exec_lo, exec_lo, s17
	v_cmp_gt_i32_e32 vcc_lo, 0, v148
	; wave barrier
	v_cndmask_b32_e64 v65, 0x7fffffff, 0, vcc_lo
	s_delay_alu instid0(VALU_DEP_1) | instskip(NEXT) | instid1(VALU_DEP_1)
	v_xor_b32_e32 v148, v65, v148
	v_cmp_ne_u32_e32 vcc_lo, 0x80000000, v148
	v_cndmask_b32_e32 v65, 0x7fffffff, v148, vcc_lo
	s_delay_alu instid0(VALU_DEP_1) | instskip(NEXT) | instid1(VALU_DEP_1)
	v_lshrrev_b32_e32 v65, s48, v65
	v_bitop3_b32 v154, v65, 1, s58 bitop3:0x80
	v_and_b32_e32 v156, s58, v65
	s_delay_alu instid0(VALU_DEP_2) | instskip(NEXT) | instid1(VALU_DEP_1)
	v_add_co_u32 v65, s17, v154, -1
	v_cndmask_b32_e64 v154, 0, 1, s17
	s_delay_alu instid0(VALU_DEP_3) | instskip(NEXT) | instid1(VALU_DEP_2)
	v_dual_lshlrev_b32 v155, 30, v156 :: v_dual_lshlrev_b32 v159, 29, v156
	v_cmp_ne_u32_e32 vcc_lo, 0, v154
	s_delay_alu instid0(VALU_DEP_2) | instskip(SKIP_1) | instid1(VALU_DEP_4)
	v_cmp_gt_i32_e64 s17, 0, v155
	v_not_b32_e32 v154, v155
	v_not_b32_e32 v155, v159
	v_cmp_gt_i32_e64 s18, 0, v159
	v_bitop3_b32 v65, vcc_lo, exec_lo, v65 bitop3:0x48
	s_delay_alu instid0(VALU_DEP_3) | instskip(SKIP_2) | instid1(VALU_DEP_2)
	v_dual_ashrrev_i32 v154, 31, v154 :: v_dual_ashrrev_i32 v155, 31, v155
	v_dual_lshlrev_b32 v160, 28, v156 :: v_dual_lshlrev_b32 v162, 27, v156
	v_dual_lshlrev_b32 v164, 26, v156 :: v_dual_lshlrev_b32 v165, 25, v156
	v_cmp_gt_i32_e64 s19, 0, v160
	v_not_b32_e32 v159, v160
	s_delay_alu instid0(VALU_DEP_4)
	v_not_b32_e32 v160, v162
	v_cmp_gt_i32_e64 s20, 0, v162
	v_cmp_gt_i32_e64 s21, 0, v164
	v_not_b32_e32 v162, v164
	v_not_b32_e32 v164, v165
	v_dual_ashrrev_i32 v159, 31, v159 :: v_dual_ashrrev_i32 v160, 31, v160
	v_xor_b32_e32 v154, s17, v154
	s_delay_alu instid0(VALU_DEP_4) | instskip(SKIP_3) | instid1(VALU_DEP_4)
	v_dual_ashrrev_i32 v162, 31, v162 :: v_dual_bitop2_b32 v155, s18, v155 bitop3:0x14
	v_cmp_gt_i32_e64 s22, 0, v165
	v_ashrrev_i32_e32 v164, 31, v164
	v_xor_b32_e32 v160, s20, v160
	v_bitop3_b32 v65, v65, v155, v154 bitop3:0x80
	v_mad_u32_u24 v154, v156, 36, v25
	v_mul_u32_u24_e32 v156, 36, v156
	v_xor_b32_e32 v159, s19, v159
	v_xor_b32_e32 v155, s21, v162
	;; [unrolled: 1-line block ×3, first 2 shown]
	ds_load_b32 v154, v154 offset:544
	v_add_nc_u32_e32 v156, v25, v156
	v_bitop3_b32 v65, v65, v160, v159 bitop3:0x80
	; wave barrier
	s_delay_alu instid0(VALU_DEP_1) | instskip(NEXT) | instid1(VALU_DEP_1)
	v_bitop3_b32 v65, v65, v162, v155 bitop3:0x80
	v_mbcnt_lo_u32_b32 v155, v65, 0
	v_cmp_ne_u32_e64 s17, 0, v65
	s_delay_alu instid0(VALU_DEP_2) | instskip(SKIP_1) | instid1(SALU_CYCLE_1)
	v_cmp_eq_u32_e32 vcc_lo, 0, v155
	s_and_b32 s18, s17, vcc_lo
	s_and_saveexec_b32 s17, s18
	s_cbranch_execz .LBB1348_154
; %bb.153:                              ;   in Loop: Header=BB1348_108 Depth=2
	s_wait_dscnt 0x0
	v_bcnt_u32_b32 v65, v65, v154
	ds_store_b32 v156, v65 offset:544
.LBB1348_154:                           ;   in Loop: Header=BB1348_108 Depth=2
	s_or_b32 exec_lo, exec_lo, s17
	v_cmp_gt_i32_e32 vcc_lo, 0, v153
	; wave barrier
	v_cndmask_b32_e64 v65, 0x7fffffff, 0, vcc_lo
	s_delay_alu instid0(VALU_DEP_1) | instskip(NEXT) | instid1(VALU_DEP_1)
	v_xor_b32_e32 v153, v65, v153
	v_cmp_ne_u32_e32 vcc_lo, 0x80000000, v153
	v_cndmask_b32_e32 v65, 0x7fffffff, v153, vcc_lo
	s_delay_alu instid0(VALU_DEP_1) | instskip(NEXT) | instid1(VALU_DEP_1)
	v_lshrrev_b32_e32 v65, s48, v65
	v_and_b32_e32 v162, s58, v65
	s_delay_alu instid0(VALU_DEP_1) | instskip(SKIP_2) | instid1(VALU_DEP_3)
	v_lshlrev_b32_e32 v165, 28, v162
	v_bitop3_b32 v159, v65, 1, s58 bitop3:0x80
	v_lshlrev_b32_e32 v160, 30, v162
	v_cmp_gt_i32_e64 s19, 0, v165
	s_delay_alu instid0(VALU_DEP_3) | instskip(NEXT) | instid1(VALU_DEP_1)
	v_add_co_u32 v65, s17, v159, -1
	v_cndmask_b32_e64 v159, 0, 1, s17
	s_delay_alu instid0(VALU_DEP_4) | instskip(NEXT) | instid1(VALU_DEP_2)
	v_cmp_gt_i32_e64 s17, 0, v160
	v_cmp_ne_u32_e32 vcc_lo, 0, v159
	v_not_b32_e32 v159, v160
	v_bitop3_b32 v65, vcc_lo, exec_lo, v65 bitop3:0x48
	s_delay_alu instid0(VALU_DEP_2) | instskip(SKIP_1) | instid1(VALU_DEP_2)
	v_dual_ashrrev_i32 v159, 31, v159 :: v_dual_lshlrev_b32 v164, 29, v162
	v_dual_lshlrev_b32 v167, 27, v162 :: v_dual_lshlrev_b32 v169, 26, v162
	v_not_b32_e32 v160, v164
	v_lshlrev_b32_e32 v170, 25, v162
	v_cmp_gt_i32_e64 s18, 0, v164
	v_not_b32_e32 v164, v165
	v_not_b32_e32 v165, v167
	v_ashrrev_i32_e32 v160, 31, v160
	v_cmp_gt_i32_e64 s20, 0, v167
	v_cmp_gt_i32_e64 s21, 0, v169
	v_not_b32_e32 v167, v169
	v_not_b32_e32 v169, v170
	v_dual_ashrrev_i32 v164, 31, v164 :: v_dual_ashrrev_i32 v165, 31, v165
	v_xor_b32_e32 v159, s17, v159
	s_delay_alu instid0(VALU_DEP_4) | instskip(SKIP_3) | instid1(VALU_DEP_4)
	v_dual_ashrrev_i32 v167, 31, v167 :: v_dual_bitop2_b32 v160, s18, v160 bitop3:0x14
	v_cmp_gt_i32_e64 s22, 0, v170
	v_ashrrev_i32_e32 v169, 31, v169
	v_xor_b32_e32 v165, s20, v165
	v_bitop3_b32 v65, v65, v160, v159 bitop3:0x80
	v_mad_u32_u24 v159, v162, 36, v25
	v_mul_u32_u24_e32 v162, 36, v162
	v_xor_b32_e32 v164, s19, v164
	v_xor_b32_e32 v160, s21, v167
	;; [unrolled: 1-line block ×3, first 2 shown]
	ds_load_b32 v159, v159 offset:544
	v_add_nc_u32_e32 v162, v25, v162
	v_bitop3_b32 v65, v65, v165, v164 bitop3:0x80
	; wave barrier
	s_delay_alu instid0(VALU_DEP_1) | instskip(NEXT) | instid1(VALU_DEP_1)
	v_bitop3_b32 v65, v65, v167, v160 bitop3:0x80
	v_mbcnt_lo_u32_b32 v160, v65, 0
	v_cmp_ne_u32_e64 s17, 0, v65
	s_delay_alu instid0(VALU_DEP_2) | instskip(SKIP_1) | instid1(SALU_CYCLE_1)
	v_cmp_eq_u32_e32 vcc_lo, 0, v160
	s_and_b32 s18, s17, vcc_lo
	s_and_saveexec_b32 s17, s18
	s_cbranch_execz .LBB1348_156
; %bb.155:                              ;   in Loop: Header=BB1348_108 Depth=2
	s_wait_dscnt 0x0
	v_bcnt_u32_b32 v65, v65, v159
	ds_store_b32 v162, v65 offset:544
.LBB1348_156:                           ;   in Loop: Header=BB1348_108 Depth=2
	s_or_b32 exec_lo, exec_lo, s17
	v_cmp_gt_i32_e32 vcc_lo, 0, v158
	; wave barrier
	v_cndmask_b32_e64 v65, 0x7fffffff, 0, vcc_lo
	s_delay_alu instid0(VALU_DEP_1) | instskip(NEXT) | instid1(VALU_DEP_1)
	v_xor_b32_e32 v158, v65, v158
	v_cmp_ne_u32_e32 vcc_lo, 0x80000000, v158
	v_cndmask_b32_e32 v65, 0x7fffffff, v158, vcc_lo
	s_delay_alu instid0(VALU_DEP_1) | instskip(NEXT) | instid1(VALU_DEP_1)
	v_lshrrev_b32_e32 v65, s48, v65
	v_bitop3_b32 v164, v65, 1, s58 bitop3:0x80
	v_and_b32_e32 v167, s58, v65
	s_delay_alu instid0(VALU_DEP_2) | instskip(NEXT) | instid1(VALU_DEP_1)
	v_add_co_u32 v65, s17, v164, -1
	v_cndmask_b32_e64 v164, 0, 1, s17
	s_delay_alu instid0(VALU_DEP_3) | instskip(NEXT) | instid1(VALU_DEP_2)
	v_lshlrev_b32_e32 v165, 30, v167
	v_cmp_ne_u32_e32 vcc_lo, 0, v164
	s_delay_alu instid0(VALU_DEP_2) | instskip(SKIP_1) | instid1(VALU_DEP_2)
	v_not_b32_e32 v164, v165
	v_bitop3_b32 v65, vcc_lo, exec_lo, v65 bitop3:0x48
	v_dual_ashrrev_i32 v164, 31, v164 :: v_dual_lshlrev_b32 v169, 29, v167
	v_dual_lshlrev_b32 v170, 28, v167 :: v_dual_lshlrev_b32 v172, 27, v167
	v_lshlrev_b32_e32 v174, 26, v167
	v_cmp_gt_i32_e64 s17, 0, v165
	s_delay_alu instid0(VALU_DEP_4)
	v_not_b32_e32 v165, v169
	v_lshlrev_b32_e32 v175, 25, v167
	v_cmp_gt_i32_e64 s18, 0, v169
	v_cmp_gt_i32_e64 s19, 0, v170
	v_not_b32_e32 v169, v170
	v_not_b32_e32 v170, v172
	v_ashrrev_i32_e32 v165, 31, v165
	v_cmp_gt_i32_e64 s20, 0, v172
	v_cmp_gt_i32_e64 s21, 0, v174
	v_not_b32_e32 v172, v174
	v_not_b32_e32 v174, v175
	v_dual_ashrrev_i32 v169, 31, v169 :: v_dual_ashrrev_i32 v170, 31, v170
	v_xor_b32_e32 v164, s17, v164
	s_delay_alu instid0(VALU_DEP_4) | instskip(SKIP_3) | instid1(VALU_DEP_4)
	v_dual_ashrrev_i32 v172, 31, v172 :: v_dual_bitop2_b32 v165, s18, v165 bitop3:0x14
	v_cmp_gt_i32_e64 s22, 0, v175
	v_ashrrev_i32_e32 v174, 31, v174
	v_xor_b32_e32 v170, s20, v170
	v_bitop3_b32 v65, v65, v165, v164 bitop3:0x80
	v_mad_u32_u24 v164, v167, 36, v25
	v_mul_u32_u24_e32 v167, 36, v167
	v_xor_b32_e32 v169, s19, v169
	v_xor_b32_e32 v165, s21, v172
	v_xor_b32_e32 v172, s22, v174
	ds_load_b32 v164, v164 offset:544
	v_add_nc_u32_e32 v167, v25, v167
	v_bitop3_b32 v65, v65, v170, v169 bitop3:0x80
	; wave barrier
	s_delay_alu instid0(VALU_DEP_1) | instskip(NEXT) | instid1(VALU_DEP_1)
	v_bitop3_b32 v65, v65, v172, v165 bitop3:0x80
	v_mbcnt_lo_u32_b32 v165, v65, 0
	v_cmp_ne_u32_e64 s17, 0, v65
	s_delay_alu instid0(VALU_DEP_2) | instskip(SKIP_1) | instid1(SALU_CYCLE_1)
	v_cmp_eq_u32_e32 vcc_lo, 0, v165
	s_and_b32 s18, s17, vcc_lo
	s_and_saveexec_b32 s17, s18
	s_cbranch_execz .LBB1348_158
; %bb.157:                              ;   in Loop: Header=BB1348_108 Depth=2
	s_wait_dscnt 0x0
	v_bcnt_u32_b32 v65, v65, v164
	ds_store_b32 v167, v65 offset:544
.LBB1348_158:                           ;   in Loop: Header=BB1348_108 Depth=2
	s_or_b32 exec_lo, exec_lo, s17
	v_cmp_gt_i32_e32 vcc_lo, 0, v163
	; wave barrier
	v_cndmask_b32_e64 v65, 0x7fffffff, 0, vcc_lo
	s_delay_alu instid0(VALU_DEP_1) | instskip(NEXT) | instid1(VALU_DEP_1)
	v_xor_b32_e32 v163, v65, v163
	v_cmp_ne_u32_e32 vcc_lo, 0x80000000, v163
	v_cndmask_b32_e32 v65, 0x7fffffff, v163, vcc_lo
	s_delay_alu instid0(VALU_DEP_1) | instskip(NEXT) | instid1(VALU_DEP_1)
	v_lshrrev_b32_e32 v65, s48, v65
	v_bitop3_b32 v169, v65, 1, s58 bitop3:0x80
	v_and_b32_e32 v172, s58, v65
	s_delay_alu instid0(VALU_DEP_2) | instskip(NEXT) | instid1(VALU_DEP_1)
	v_add_co_u32 v65, s17, v169, -1
	v_cndmask_b32_e64 v169, 0, 1, s17
	s_delay_alu instid0(VALU_DEP_3) | instskip(NEXT) | instid1(VALU_DEP_2)
	v_dual_lshlrev_b32 v170, 30, v172 :: v_dual_lshlrev_b32 v174, 29, v172
	v_cmp_ne_u32_e32 vcc_lo, 0, v169
	s_delay_alu instid0(VALU_DEP_2) | instskip(SKIP_1) | instid1(VALU_DEP_4)
	v_cmp_gt_i32_e64 s17, 0, v170
	v_not_b32_e32 v169, v170
	v_not_b32_e32 v170, v174
	v_bitop3_b32 v65, vcc_lo, exec_lo, v65 bitop3:0x48
	s_delay_alu instid0(VALU_DEP_2) | instskip(SKIP_3) | instid1(VALU_DEP_3)
	v_dual_ashrrev_i32 v169, 31, v169 :: v_dual_ashrrev_i32 v170, 31, v170
	v_dual_lshlrev_b32 v175, 28, v172 :: v_dual_lshlrev_b32 v176, 27, v172
	v_dual_lshlrev_b32 v177, 26, v172 :: v_dual_lshlrev_b32 v178, 25, v172
	v_cmp_gt_i32_e64 s18, 0, v174
	v_cmp_gt_i32_e64 s19, 0, v175
	v_not_b32_e32 v174, v175
	v_not_b32_e32 v175, v176
	v_cmp_gt_i32_e64 s20, 0, v176
	v_cmp_gt_i32_e64 s21, 0, v177
	v_not_b32_e32 v176, v177
	v_not_b32_e32 v177, v178
	v_dual_ashrrev_i32 v174, 31, v174 :: v_dual_ashrrev_i32 v175, 31, v175
	s_delay_alu instid0(VALU_DEP_3) | instskip(NEXT) | instid1(VALU_DEP_3)
	v_dual_ashrrev_i32 v176, 31, v176 :: v_dual_bitop2_b32 v169, s17, v169 bitop3:0x14
	v_dual_ashrrev_i32 v177, 31, v177 :: v_dual_bitop2_b32 v170, s18, v170 bitop3:0x14
	v_cmp_gt_i32_e64 s22, 0, v178
	s_delay_alu instid0(VALU_DEP_4) | instskip(NEXT) | instid1(VALU_DEP_3)
	v_xor_b32_e32 v175, s20, v175
	v_bitop3_b32 v65, v65, v170, v169 bitop3:0x80
	v_mad_u32_u24 v169, v172, 36, v25
	v_mul_u32_u24_e32 v172, 36, v172
	v_xor_b32_e32 v174, s19, v174
	v_xor_b32_e32 v170, s21, v176
	v_xor_b32_e32 v176, s22, v177
	ds_load_b32 v169, v169 offset:544
	v_add_nc_u32_e32 v172, v25, v172
	v_bitop3_b32 v65, v65, v175, v174 bitop3:0x80
	; wave barrier
	s_delay_alu instid0(VALU_DEP_1) | instskip(NEXT) | instid1(VALU_DEP_1)
	v_bitop3_b32 v65, v65, v176, v170 bitop3:0x80
	v_mbcnt_lo_u32_b32 v170, v65, 0
	v_cmp_ne_u32_e64 s17, 0, v65
	s_delay_alu instid0(VALU_DEP_2) | instskip(SKIP_1) | instid1(SALU_CYCLE_1)
	v_cmp_eq_u32_e32 vcc_lo, 0, v170
	s_and_b32 s18, s17, vcc_lo
	s_and_saveexec_b32 s17, s18
	s_cbranch_execz .LBB1348_160
; %bb.159:                              ;   in Loop: Header=BB1348_108 Depth=2
	s_wait_dscnt 0x0
	v_bcnt_u32_b32 v65, v65, v169
	ds_store_b32 v172, v65 offset:544
.LBB1348_160:                           ;   in Loop: Header=BB1348_108 Depth=2
	s_or_b32 exec_lo, exec_lo, s17
	v_cmp_gt_i32_e32 vcc_lo, 0, v168
	; wave barrier
	v_cndmask_b32_e64 v65, 0x7fffffff, 0, vcc_lo
	s_delay_alu instid0(VALU_DEP_1) | instskip(NEXT) | instid1(VALU_DEP_1)
	v_xor_b32_e32 v168, v65, v168
	v_cmp_ne_u32_e32 vcc_lo, 0x80000000, v168
	v_cndmask_b32_e32 v65, 0x7fffffff, v168, vcc_lo
	s_delay_alu instid0(VALU_DEP_1) | instskip(NEXT) | instid1(VALU_DEP_1)
	v_lshrrev_b32_e32 v65, s48, v65
	v_bitop3_b32 v174, v65, 1, s58 bitop3:0x80
	v_and_b32_e32 v176, s58, v65
	s_delay_alu instid0(VALU_DEP_2) | instskip(NEXT) | instid1(VALU_DEP_1)
	v_add_co_u32 v65, s17, v174, -1
	v_cndmask_b32_e64 v174, 0, 1, s17
	s_delay_alu instid0(VALU_DEP_3) | instskip(NEXT) | instid1(VALU_DEP_2)
	v_dual_lshlrev_b32 v175, 30, v176 :: v_dual_lshlrev_b32 v177, 29, v176
	v_cmp_ne_u32_e32 vcc_lo, 0, v174
	s_delay_alu instid0(VALU_DEP_2) | instskip(SKIP_1) | instid1(VALU_DEP_4)
	v_cmp_gt_i32_e64 s17, 0, v175
	v_not_b32_e32 v174, v175
	v_not_b32_e32 v175, v177
	v_cmp_gt_i32_e64 s18, 0, v177
	v_bitop3_b32 v65, vcc_lo, exec_lo, v65 bitop3:0x48
	s_delay_alu instid0(VALU_DEP_3) | instskip(SKIP_2) | instid1(VALU_DEP_2)
	v_dual_ashrrev_i32 v174, 31, v174 :: v_dual_ashrrev_i32 v175, 31, v175
	v_dual_lshlrev_b32 v178, 28, v176 :: v_dual_lshlrev_b32 v179, 27, v176
	v_dual_lshlrev_b32 v180, 26, v176 :: v_dual_lshlrev_b32 v181, 25, v176
	v_cmp_gt_i32_e64 s19, 0, v178
	v_not_b32_e32 v177, v178
	s_delay_alu instid0(VALU_DEP_4)
	v_not_b32_e32 v178, v179
	v_cmp_gt_i32_e64 s20, 0, v179
	v_cmp_gt_i32_e64 s21, 0, v180
	v_not_b32_e32 v179, v180
	v_not_b32_e32 v180, v181
	v_dual_ashrrev_i32 v177, 31, v177 :: v_dual_ashrrev_i32 v178, 31, v178
	s_delay_alu instid0(VALU_DEP_3) | instskip(NEXT) | instid1(VALU_DEP_3)
	v_dual_ashrrev_i32 v179, 31, v179 :: v_dual_bitop2_b32 v174, s17, v174 bitop3:0x14
	v_dual_ashrrev_i32 v180, 31, v180 :: v_dual_bitop2_b32 v175, s18, v175 bitop3:0x14
	v_cmp_gt_i32_e64 s22, 0, v181
	s_delay_alu instid0(VALU_DEP_4) | instskip(NEXT) | instid1(VALU_DEP_3)
	v_xor_b32_e32 v178, s20, v178
	v_bitop3_b32 v65, v65, v175, v174 bitop3:0x80
	v_mad_u32_u24 v174, v176, 36, v25
	v_mul_u32_u24_e32 v176, 36, v176
	v_xor_b32_e32 v177, s19, v177
	v_xor_b32_e32 v175, s21, v179
	;; [unrolled: 1-line block ×3, first 2 shown]
	ds_load_b32 v174, v174 offset:544
	v_add_nc_u32_e32 v176, v25, v176
	v_bitop3_b32 v65, v65, v178, v177 bitop3:0x80
	; wave barrier
	s_delay_alu instid0(VALU_DEP_1) | instskip(NEXT) | instid1(VALU_DEP_1)
	v_bitop3_b32 v65, v65, v179, v175 bitop3:0x80
	v_mbcnt_lo_u32_b32 v175, v65, 0
	v_cmp_ne_u32_e64 s17, 0, v65
	s_delay_alu instid0(VALU_DEP_2) | instskip(SKIP_1) | instid1(SALU_CYCLE_1)
	v_cmp_eq_u32_e32 vcc_lo, 0, v175
	s_and_b32 s18, s17, vcc_lo
	s_and_saveexec_b32 s17, s18
	s_cbranch_execz .LBB1348_162
; %bb.161:                              ;   in Loop: Header=BB1348_108 Depth=2
	s_wait_dscnt 0x0
	v_bcnt_u32_b32 v65, v65, v174
	ds_store_b32 v176, v65 offset:544
.LBB1348_162:                           ;   in Loop: Header=BB1348_108 Depth=2
	s_or_b32 exec_lo, exec_lo, s17
	v_cmp_gt_i32_e32 vcc_lo, 0, v173
	; wave barrier
	v_cndmask_b32_e64 v65, 0x7fffffff, 0, vcc_lo
	s_delay_alu instid0(VALU_DEP_1) | instskip(NEXT) | instid1(VALU_DEP_1)
	v_xor_b32_e32 v173, v65, v173
	v_cmp_ne_u32_e32 vcc_lo, 0x80000000, v173
	v_cndmask_b32_e32 v65, 0x7fffffff, v173, vcc_lo
	s_delay_alu instid0(VALU_DEP_1) | instskip(NEXT) | instid1(VALU_DEP_1)
	v_lshrrev_b32_e32 v65, s48, v65
	v_and_b32_e32 v179, s58, v65
	s_delay_alu instid0(VALU_DEP_1) | instskip(SKIP_2) | instid1(VALU_DEP_3)
	v_lshlrev_b32_e32 v181, 28, v179
	v_bitop3_b32 v177, v65, 1, s58 bitop3:0x80
	v_dual_lshlrev_b32 v178, 30, v179 :: v_dual_lshlrev_b32 v180, 29, v179
	v_cmp_gt_i32_e64 s19, 0, v181
	s_delay_alu instid0(VALU_DEP_3) | instskip(NEXT) | instid1(VALU_DEP_1)
	v_add_co_u32 v65, s17, v177, -1
	v_cndmask_b32_e64 v177, 0, 1, s17
	s_delay_alu instid0(VALU_DEP_4) | instskip(SKIP_1) | instid1(VALU_DEP_3)
	v_cmp_gt_i32_e64 s17, 0, v178
	v_cmp_gt_i32_e64 s18, 0, v180
	v_cmp_ne_u32_e32 vcc_lo, 0, v177
	v_not_b32_e32 v177, v178
	v_not_b32_e32 v178, v180
	;; [unrolled: 1-line block ×3, first 2 shown]
	v_bitop3_b32 v65, vcc_lo, exec_lo, v65 bitop3:0x48
	s_delay_alu instid0(VALU_DEP_3) | instskip(SKIP_2) | instid1(VALU_DEP_2)
	v_dual_ashrrev_i32 v177, 31, v177 :: v_dual_ashrrev_i32 v178, 31, v178
	v_dual_lshlrev_b32 v182, 27, v179 :: v_dual_lshlrev_b32 v183, 26, v179
	v_lshlrev_b32_e32 v184, 25, v179
	v_not_b32_e32 v181, v182
	v_cmp_gt_i32_e64 s20, 0, v182
	s_delay_alu instid0(VALU_DEP_4) | instskip(SKIP_3) | instid1(VALU_DEP_3)
	v_cmp_gt_i32_e64 s21, 0, v183
	v_not_b32_e32 v182, v183
	v_not_b32_e32 v183, v184
	v_dual_ashrrev_i32 v180, 31, v180 :: v_dual_ashrrev_i32 v181, 31, v181
	v_dual_ashrrev_i32 v182, 31, v182 :: v_dual_bitop2_b32 v177, s17, v177 bitop3:0x14
	s_delay_alu instid0(VALU_DEP_3) | instskip(SKIP_1) | instid1(VALU_DEP_4)
	v_dual_ashrrev_i32 v183, 31, v183 :: v_dual_bitop2_b32 v178, s18, v178 bitop3:0x14
	v_cmp_gt_i32_e64 s22, 0, v184
	v_xor_b32_e32 v181, s20, v181
	s_delay_alu instid0(VALU_DEP_3)
	v_bitop3_b32 v65, v65, v178, v177 bitop3:0x80
	v_mad_u32_u24 v177, v179, 36, v25
	v_mul_u32_u24_e32 v179, 36, v179
	v_xor_b32_e32 v180, s19, v180
	v_xor_b32_e32 v178, s21, v182
	;; [unrolled: 1-line block ×3, first 2 shown]
	ds_load_b32 v177, v177 offset:544
	v_add_nc_u32_e32 v179, v25, v179
	v_bitop3_b32 v65, v65, v181, v180 bitop3:0x80
	; wave barrier
	s_delay_alu instid0(VALU_DEP_1) | instskip(NEXT) | instid1(VALU_DEP_1)
	v_bitop3_b32 v65, v65, v182, v178 bitop3:0x80
	v_mbcnt_lo_u32_b32 v178, v65, 0
	v_cmp_ne_u32_e64 s17, 0, v65
	s_delay_alu instid0(VALU_DEP_2) | instskip(SKIP_1) | instid1(SALU_CYCLE_1)
	v_cmp_eq_u32_e32 vcc_lo, 0, v178
	s_and_b32 s18, s17, vcc_lo
	s_and_saveexec_b32 s17, s18
	s_cbranch_execz .LBB1348_164
; %bb.163:                              ;   in Loop: Header=BB1348_108 Depth=2
	s_wait_dscnt 0x0
	v_bcnt_u32_b32 v65, v65, v177
	ds_store_b32 v179, v65 offset:544
.LBB1348_164:                           ;   in Loop: Header=BB1348_108 Depth=2
	s_or_b32 exec_lo, exec_lo, s17
	v_cmp_gt_i32_e32 vcc_lo, 0, v171
	; wave barrier
	v_cndmask_b32_e64 v65, 0x7fffffff, 0, vcc_lo
	s_delay_alu instid0(VALU_DEP_1) | instskip(NEXT) | instid1(VALU_DEP_1)
	v_xor_b32_e32 v171, v65, v171
	v_cmp_ne_u32_e32 vcc_lo, 0x80000000, v171
	v_cndmask_b32_e32 v65, 0x7fffffff, v171, vcc_lo
	s_delay_alu instid0(VALU_DEP_1) | instskip(NEXT) | instid1(VALU_DEP_1)
	v_lshrrev_b32_e32 v65, s48, v65
	v_bitop3_b32 v180, v65, 1, s58 bitop3:0x80
	v_and_b32_e32 v182, s58, v65
	s_delay_alu instid0(VALU_DEP_2) | instskip(NEXT) | instid1(VALU_DEP_1)
	v_add_co_u32 v65, s17, v180, -1
	v_cndmask_b32_e64 v180, 0, 1, s17
	s_delay_alu instid0(VALU_DEP_3) | instskip(NEXT) | instid1(VALU_DEP_2)
	v_lshlrev_b32_e32 v181, 30, v182
	v_cmp_ne_u32_e32 vcc_lo, 0, v180
	s_delay_alu instid0(VALU_DEP_2) | instskip(SKIP_1) | instid1(VALU_DEP_2)
	v_not_b32_e32 v180, v181
	v_bitop3_b32 v65, vcc_lo, exec_lo, v65 bitop3:0x48
	v_dual_ashrrev_i32 v180, 31, v180 :: v_dual_lshlrev_b32 v183, 29, v182
	v_dual_lshlrev_b32 v184, 28, v182 :: v_dual_lshlrev_b32 v185, 27, v182
	v_lshlrev_b32_e32 v186, 26, v182
	v_cmp_gt_i32_e64 s17, 0, v181
	s_delay_alu instid0(VALU_DEP_4)
	v_not_b32_e32 v181, v183
	v_lshlrev_b32_e32 v187, 25, v182
	v_cmp_gt_i32_e64 s18, 0, v183
	v_cmp_gt_i32_e64 s19, 0, v184
	v_not_b32_e32 v183, v184
	v_not_b32_e32 v184, v185
	v_ashrrev_i32_e32 v181, 31, v181
	v_cmp_gt_i32_e64 s20, 0, v185
	v_cmp_gt_i32_e64 s21, 0, v186
	v_not_b32_e32 v185, v186
	v_not_b32_e32 v186, v187
	v_dual_ashrrev_i32 v183, 31, v183 :: v_dual_ashrrev_i32 v184, 31, v184
	s_delay_alu instid0(VALU_DEP_3) | instskip(NEXT) | instid1(VALU_DEP_3)
	v_dual_ashrrev_i32 v185, 31, v185 :: v_dual_bitop2_b32 v180, s17, v180 bitop3:0x14
	v_dual_ashrrev_i32 v186, 31, v186 :: v_dual_bitop2_b32 v181, s18, v181 bitop3:0x14
	v_cmp_gt_i32_e64 s22, 0, v187
	s_delay_alu instid0(VALU_DEP_4) | instskip(NEXT) | instid1(VALU_DEP_3)
	v_xor_b32_e32 v184, s20, v184
	v_bitop3_b32 v65, v65, v181, v180 bitop3:0x80
	v_mad_u32_u24 v180, v182, 36, v25
	v_mul_u32_u24_e32 v182, 36, v182
	v_xor_b32_e32 v183, s19, v183
	v_xor_b32_e32 v181, s21, v185
	;; [unrolled: 1-line block ×3, first 2 shown]
	ds_load_b32 v180, v180 offset:544
	v_add_nc_u32_e32 v182, v25, v182
	v_bitop3_b32 v65, v65, v184, v183 bitop3:0x80
	; wave barrier
	s_delay_alu instid0(VALU_DEP_1) | instskip(NEXT) | instid1(VALU_DEP_1)
	v_bitop3_b32 v65, v65, v185, v181 bitop3:0x80
	v_mbcnt_lo_u32_b32 v181, v65, 0
	v_cmp_ne_u32_e64 s17, 0, v65
	s_delay_alu instid0(VALU_DEP_2) | instskip(SKIP_1) | instid1(SALU_CYCLE_1)
	v_cmp_eq_u32_e32 vcc_lo, 0, v181
	s_and_b32 s18, s17, vcc_lo
	s_and_saveexec_b32 s17, s18
	s_cbranch_execz .LBB1348_166
; %bb.165:                              ;   in Loop: Header=BB1348_108 Depth=2
	s_wait_dscnt 0x0
	v_bcnt_u32_b32 v65, v65, v180
	ds_store_b32 v182, v65 offset:544
.LBB1348_166:                           ;   in Loop: Header=BB1348_108 Depth=2
	s_or_b32 exec_lo, exec_lo, s17
	v_cmp_gt_i32_e32 vcc_lo, 0, v166
	; wave barrier
	v_cndmask_b32_e64 v65, 0x7fffffff, 0, vcc_lo
	s_delay_alu instid0(VALU_DEP_1) | instskip(NEXT) | instid1(VALU_DEP_1)
	v_xor_b32_e32 v166, v65, v166
	v_cmp_ne_u32_e32 vcc_lo, 0x80000000, v166
	v_cndmask_b32_e32 v65, 0x7fffffff, v166, vcc_lo
	s_delay_alu instid0(VALU_DEP_1) | instskip(NEXT) | instid1(VALU_DEP_1)
	v_lshrrev_b32_e32 v65, s48, v65
	v_bitop3_b32 v183, v65, 1, s58 bitop3:0x80
	v_and_b32_e32 v186, s58, v65
	s_delay_alu instid0(VALU_DEP_2) | instskip(NEXT) | instid1(VALU_DEP_1)
	v_add_co_u32 v65, s17, v183, -1
	v_cndmask_b32_e64 v183, 0, 1, s17
	s_delay_alu instid0(VALU_DEP_3) | instskip(NEXT) | instid1(VALU_DEP_2)
	v_lshlrev_b32_e32 v184, 30, v186
	v_cmp_ne_u32_e32 vcc_lo, 0, v183
	s_delay_alu instid0(VALU_DEP_2) | instskip(SKIP_1) | instid1(VALU_DEP_2)
	v_not_b32_e32 v183, v184
	v_bitop3_b32 v65, vcc_lo, exec_lo, v65 bitop3:0x48
	v_dual_ashrrev_i32 v183, 31, v183 :: v_dual_lshlrev_b32 v185, 29, v186
	v_cmp_gt_i32_e64 s17, 0, v184
	v_dual_lshlrev_b32 v187, 28, v186 :: v_dual_lshlrev_b32 v188, 27, v186
	v_dual_lshlrev_b32 v189, 26, v186 :: v_dual_lshlrev_b32 v190, 25, v186
	s_delay_alu instid0(VALU_DEP_4) | instskip(SKIP_1) | instid1(VALU_DEP_4)
	v_not_b32_e32 v184, v185
	v_cmp_gt_i32_e64 s18, 0, v185
	v_cmp_gt_i32_e64 s19, 0, v187
	v_not_b32_e32 v185, v187
	v_cmp_gt_i32_e64 s20, 0, v188
	v_ashrrev_i32_e32 v184, 31, v184
	v_not_b32_e32 v187, v188
	v_cmp_gt_i32_e64 s21, 0, v189
	v_not_b32_e32 v188, v189
	v_not_b32_e32 v189, v190
	v_xor_b32_e32 v183, s17, v183
	v_dual_ashrrev_i32 v185, 31, v185 :: v_dual_bitop2_b32 v184, s18, v184 bitop3:0x14
	s_delay_alu instid0(VALU_DEP_4) | instskip(NEXT) | instid1(VALU_DEP_4)
	v_dual_ashrrev_i32 v187, 31, v187 :: v_dual_ashrrev_i32 v188, 31, v188
	v_ashrrev_i32_e32 v189, 31, v189
	s_delay_alu instid0(VALU_DEP_3)
	v_bitop3_b32 v65, v65, v184, v183 bitop3:0x80
	v_mad_u32_u24 v183, v186, 36, v25
	v_cmp_gt_i32_e64 s22, 0, v190
	v_xor_b32_e32 v187, s20, v187
	v_xor_b32_e32 v188, s21, v188
	ds_load_b32 v184, v183 offset:544
	v_mul_u32_u24_e32 v183, 36, v186
	v_xor_b32_e32 v185, s19, v185
	v_xor_b32_e32 v189, s22, v189
	; wave barrier
	s_delay_alu instid0(VALU_DEP_3) | instskip(NEXT) | instid1(VALU_DEP_3)
	v_add_nc_u32_e32 v186, v25, v183
	v_bitop3_b32 v65, v65, v187, v185 bitop3:0x80
	s_delay_alu instid0(VALU_DEP_1) | instskip(NEXT) | instid1(VALU_DEP_1)
	v_bitop3_b32 v65, v65, v189, v188 bitop3:0x80
	v_mbcnt_lo_u32_b32 v185, v65, 0
	v_cmp_ne_u32_e64 s17, 0, v65
	s_delay_alu instid0(VALU_DEP_2) | instskip(SKIP_1) | instid1(SALU_CYCLE_1)
	v_cmp_eq_u32_e32 vcc_lo, 0, v185
	s_and_b32 s18, s17, vcc_lo
	s_and_saveexec_b32 s17, s18
	s_cbranch_execz .LBB1348_168
; %bb.167:                              ;   in Loop: Header=BB1348_108 Depth=2
	s_wait_dscnt 0x0
	v_bcnt_u32_b32 v65, v65, v184
	ds_store_b32 v186, v65 offset:544
.LBB1348_168:                           ;   in Loop: Header=BB1348_108 Depth=2
	s_or_b32 exec_lo, exec_lo, s17
	v_cmp_gt_i32_e32 vcc_lo, 0, v161
	; wave barrier
	v_cndmask_b32_e64 v65, 0x7fffffff, 0, vcc_lo
	s_delay_alu instid0(VALU_DEP_1) | instskip(NEXT) | instid1(VALU_DEP_1)
	v_xor_b32_e32 v183, v65, v161
	v_cmp_ne_u32_e32 vcc_lo, 0x80000000, v183
	v_cndmask_b32_e32 v65, 0x7fffffff, v183, vcc_lo
	s_delay_alu instid0(VALU_DEP_1) | instskip(NEXT) | instid1(VALU_DEP_1)
	v_lshrrev_b32_e32 v65, s48, v65
	v_and_b32_e32 v187, s58, v65
	s_delay_alu instid0(VALU_DEP_1) | instskip(SKIP_3) | instid1(VALU_DEP_4)
	v_lshlrev_b32_e32 v189, 29, v187
	v_bitop3_b32 v161, v65, 1, s58 bitop3:0x80
	v_dual_lshlrev_b32 v188, 30, v187 :: v_dual_lshlrev_b32 v190, 28, v187
	v_lshlrev_b32_e32 v191, 27, v187
	v_cmp_gt_i32_e64 s18, 0, v189
	s_delay_alu instid0(VALU_DEP_4) | instskip(NEXT) | instid1(VALU_DEP_1)
	v_add_co_u32 v65, s17, v161, -1
	v_cndmask_b32_e64 v161, 0, 1, s17
	v_cmp_gt_i32_e64 s17, 0, v188
	v_cmp_gt_i32_e64 s19, 0, v190
	;; [unrolled: 1-line block ×3, first 2 shown]
	s_delay_alu instid0(VALU_DEP_4)
	v_cmp_ne_u32_e32 vcc_lo, 0, v161
	v_not_b32_e32 v161, v188
	v_not_b32_e32 v188, v189
	v_not_b32_e32 v189, v190
	v_not_b32_e32 v190, v191
	v_bitop3_b32 v65, vcc_lo, exec_lo, v65 bitop3:0x48
	s_delay_alu instid0(VALU_DEP_4) | instskip(NEXT) | instid1(VALU_DEP_3)
	v_dual_ashrrev_i32 v188, 31, v188 :: v_dual_ashrrev_i32 v161, 31, v161
	v_dual_ashrrev_i32 v190, 31, v190 :: v_dual_lshlrev_b32 v192, 26, v187
	s_delay_alu instid0(VALU_DEP_2) | instskip(NEXT) | instid1(VALU_DEP_2)
	v_dual_lshlrev_b32 v193, 25, v187 :: v_dual_bitop2_b32 v188, s18, v188 bitop3:0x14
	v_cmp_gt_i32_e64 s21, 0, v192
	v_not_b32_e32 v191, v192
	s_delay_alu instid0(VALU_DEP_3) | instskip(SKIP_3) | instid1(VALU_DEP_4)
	v_not_b32_e32 v192, v193
	v_xor_b32_e32 v161, s17, v161
	v_ashrrev_i32_e32 v189, 31, v189
	v_cmp_gt_i32_e64 s22, 0, v193
	v_dual_ashrrev_i32 v191, 31, v191 :: v_dual_ashrrev_i32 v192, 31, v192
	s_delay_alu instid0(VALU_DEP_4) | instskip(SKIP_2) | instid1(VALU_DEP_4)
	v_bitop3_b32 v65, v65, v188, v161 bitop3:0x80
	v_mad_u32_u24 v161, v187, 36, v25
	v_xor_b32_e32 v189, s19, v189
	v_xor_b32_e32 v191, s21, v191
	;; [unrolled: 1-line block ×3, first 2 shown]
	ds_load_b32 v188, v161 offset:544
	v_mul_u32_u24_e32 v161, 36, v187
	v_xor_b32_e32 v190, s20, v190
	; wave barrier
	s_delay_alu instid0(VALU_DEP_2) | instskip(NEXT) | instid1(VALU_DEP_2)
	v_add_nc_u32_e32 v161, v25, v161
	v_bitop3_b32 v65, v65, v190, v189 bitop3:0x80
	s_delay_alu instid0(VALU_DEP_1) | instskip(NEXT) | instid1(VALU_DEP_1)
	v_bitop3_b32 v65, v65, v192, v191 bitop3:0x80
	v_mbcnt_lo_u32_b32 v189, v65, 0
	v_cmp_ne_u32_e64 s17, 0, v65
	s_delay_alu instid0(VALU_DEP_2) | instskip(SKIP_1) | instid1(SALU_CYCLE_1)
	v_cmp_eq_u32_e32 vcc_lo, 0, v189
	s_and_b32 s18, s17, vcc_lo
	s_and_saveexec_b32 s17, s18
	s_cbranch_execz .LBB1348_170
; %bb.169:                              ;   in Loop: Header=BB1348_108 Depth=2
	s_wait_dscnt 0x0
	v_bcnt_u32_b32 v65, v65, v188
	ds_store_b32 v161, v65 offset:544
.LBB1348_170:                           ;   in Loop: Header=BB1348_108 Depth=2
	s_or_b32 exec_lo, exec_lo, s17
	v_cmp_gt_i32_e32 vcc_lo, 0, v157
	; wave barrier
	v_cndmask_b32_e64 v65, 0x7fffffff, 0, vcc_lo
	s_delay_alu instid0(VALU_DEP_1) | instskip(NEXT) | instid1(VALU_DEP_1)
	v_xor_b32_e32 v187, v65, v157
	v_cmp_ne_u32_e32 vcc_lo, 0x80000000, v187
	v_cndmask_b32_e32 v65, 0x7fffffff, v187, vcc_lo
	s_delay_alu instid0(VALU_DEP_1) | instskip(NEXT) | instid1(VALU_DEP_1)
	v_lshrrev_b32_e32 v65, s48, v65
	v_and_b32_e32 v190, s58, v65
	s_delay_alu instid0(VALU_DEP_1) | instskip(SKIP_2) | instid1(VALU_DEP_3)
	v_lshlrev_b32_e32 v193, 28, v190
	v_bitop3_b32 v157, v65, 1, s58 bitop3:0x80
	v_dual_lshlrev_b32 v191, 30, v190 :: v_dual_lshlrev_b32 v192, 29, v190
	v_cmp_gt_i32_e64 s19, 0, v193
	s_delay_alu instid0(VALU_DEP_3) | instskip(NEXT) | instid1(VALU_DEP_1)
	v_add_co_u32 v65, s17, v157, -1
	v_cndmask_b32_e64 v157, 0, 1, s17
	s_delay_alu instid0(VALU_DEP_4) | instskip(SKIP_1) | instid1(VALU_DEP_3)
	v_cmp_gt_i32_e64 s17, 0, v191
	v_cmp_gt_i32_e64 s18, 0, v192
	v_cmp_ne_u32_e32 vcc_lo, 0, v157
	v_not_b32_e32 v157, v191
	v_not_b32_e32 v191, v192
	;; [unrolled: 1-line block ×3, first 2 shown]
	v_bitop3_b32 v65, vcc_lo, exec_lo, v65 bitop3:0x48
	s_delay_alu instid0(VALU_DEP_3) | instskip(SKIP_1) | instid1(VALU_DEP_2)
	v_dual_ashrrev_i32 v157, 31, v157 :: v_dual_ashrrev_i32 v191, 31, v191
	v_dual_lshlrev_b32 v194, 27, v190 :: v_dual_lshlrev_b32 v195, 26, v190
	v_dual_lshlrev_b32 v196, 25, v190 :: v_dual_bitop2_b32 v191, s18, v191 bitop3:0x14
	s_delay_alu instid0(VALU_DEP_2) | instskip(SKIP_1) | instid1(VALU_DEP_4)
	v_not_b32_e32 v193, v194
	v_cmp_gt_i32_e64 s20, 0, v194
	v_cmp_gt_i32_e64 s21, 0, v195
	v_not_b32_e32 v194, v195
	v_not_b32_e32 v195, v196
	v_dual_ashrrev_i32 v192, 31, v192 :: v_dual_ashrrev_i32 v193, 31, v193
	s_delay_alu instid0(VALU_DEP_3) | instskip(SKIP_1) | instid1(VALU_DEP_3)
	v_dual_ashrrev_i32 v194, 31, v194 :: v_dual_bitop2_b32 v157, s17, v157 bitop3:0x14
	v_cmp_gt_i32_e64 s22, 0, v196
	v_dual_ashrrev_i32 v195, 31, v195 :: v_dual_bitop2_b32 v192, s19, v192 bitop3:0x14
	s_delay_alu instid0(VALU_DEP_4) | instskip(NEXT) | instid1(VALU_DEP_4)
	v_xor_b32_e32 v193, s20, v193
	v_bitop3_b32 v65, v65, v191, v157 bitop3:0x80
	v_mad_u32_u24 v157, v190, 36, v25
	v_xor_b32_e32 v194, s21, v194
	v_xor_b32_e32 v195, s22, v195
	s_delay_alu instid0(VALU_DEP_4) | instskip(SKIP_3) | instid1(VALU_DEP_2)
	v_bitop3_b32 v65, v65, v193, v192 bitop3:0x80
	ds_load_b32 v191, v157 offset:544
	v_mul_u32_u24_e32 v157, 36, v190
	; wave barrier
	v_bitop3_b32 v65, v65, v195, v194 bitop3:0x80
	v_add_nc_u32_e32 v157, v25, v157
	s_delay_alu instid0(VALU_DEP_2) | instskip(SKIP_1) | instid1(VALU_DEP_2)
	v_mbcnt_lo_u32_b32 v192, v65, 0
	v_cmp_ne_u32_e64 s17, 0, v65
	v_cmp_eq_u32_e32 vcc_lo, 0, v192
	s_and_b32 s18, s17, vcc_lo
	s_delay_alu instid0(SALU_CYCLE_1)
	s_and_saveexec_b32 s17, s18
	s_cbranch_execz .LBB1348_172
; %bb.171:                              ;   in Loop: Header=BB1348_108 Depth=2
	s_wait_dscnt 0x0
	v_bcnt_u32_b32 v65, v65, v191
	ds_store_b32 v157, v65 offset:544
.LBB1348_172:                           ;   in Loop: Header=BB1348_108 Depth=2
	s_or_b32 exec_lo, exec_lo, s17
	v_cmp_gt_i32_e32 vcc_lo, 0, v152
	; wave barrier
	v_cndmask_b32_e64 v65, 0x7fffffff, 0, vcc_lo
	s_delay_alu instid0(VALU_DEP_1) | instskip(NEXT) | instid1(VALU_DEP_1)
	v_xor_b32_e32 v190, v65, v152
	v_cmp_ne_u32_e32 vcc_lo, 0x80000000, v190
	v_cndmask_b32_e32 v65, 0x7fffffff, v190, vcc_lo
	s_delay_alu instid0(VALU_DEP_1) | instskip(NEXT) | instid1(VALU_DEP_1)
	v_lshrrev_b32_e32 v65, s48, v65
	v_bitop3_b32 v152, v65, 1, s58 bitop3:0x80
	v_and_b32_e32 v193, s58, v65
	s_delay_alu instid0(VALU_DEP_2) | instskip(NEXT) | instid1(VALU_DEP_1)
	v_add_co_u32 v65, s17, v152, -1
	v_cndmask_b32_e64 v152, 0, 1, s17
	s_delay_alu instid0(VALU_DEP_3) | instskip(NEXT) | instid1(VALU_DEP_2)
	v_lshlrev_b32_e32 v194, 30, v193
	v_cmp_ne_u32_e32 vcc_lo, 0, v152
	s_delay_alu instid0(VALU_DEP_2) | instskip(SKIP_2) | instid1(VALU_DEP_3)
	v_not_b32_e32 v152, v194
	v_cmp_gt_i32_e64 s17, 0, v194
	v_bitop3_b32 v65, vcc_lo, exec_lo, v65 bitop3:0x48
	v_dual_ashrrev_i32 v152, 31, v152 :: v_dual_lshlrev_b32 v195, 29, v193
	v_dual_lshlrev_b32 v196, 28, v193 :: v_dual_lshlrev_b32 v197, 27, v193
	v_lshlrev_b32_e32 v198, 26, v193
	s_delay_alu instid0(VALU_DEP_3)
	v_not_b32_e32 v194, v195
	v_lshlrev_b32_e32 v199, 25, v193
	v_cmp_gt_i32_e64 s18, 0, v195
	v_cmp_gt_i32_e64 s19, 0, v196
	v_not_b32_e32 v195, v196
	v_not_b32_e32 v196, v197
	v_ashrrev_i32_e32 v194, 31, v194
	v_cmp_gt_i32_e64 s20, 0, v197
	v_cmp_gt_i32_e64 s21, 0, v198
	v_not_b32_e32 v197, v198
	v_not_b32_e32 v198, v199
	v_dual_ashrrev_i32 v195, 31, v195 :: v_dual_ashrrev_i32 v196, 31, v196
	s_delay_alu instid0(VALU_DEP_3) | instskip(SKIP_2) | instid1(VALU_DEP_4)
	v_dual_ashrrev_i32 v197, 31, v197 :: v_dual_bitop2_b32 v152, s17, v152 bitop3:0x14
	v_xor_b32_e32 v194, s18, v194
	v_cmp_gt_i32_e64 s22, 0, v199
	v_dual_ashrrev_i32 v198, 31, v198 :: v_dual_bitop2_b32 v195, s19, v195 bitop3:0x14
	v_xor_b32_e32 v196, s20, v196
	s_delay_alu instid0(VALU_DEP_4) | instskip(SKIP_3) | instid1(VALU_DEP_4)
	v_bitop3_b32 v65, v65, v194, v152 bitop3:0x80
	v_mad_u32_u24 v152, v193, 36, v25
	v_xor_b32_e32 v197, s21, v197
	v_xor_b32_e32 v198, s22, v198
	v_bitop3_b32 v65, v65, v196, v195 bitop3:0x80
	ds_load_b32 v194, v152 offset:544
	v_mul_u32_u24_e32 v152, 36, v193
	; wave barrier
	v_bitop3_b32 v65, v65, v198, v197 bitop3:0x80
	s_delay_alu instid0(VALU_DEP_2) | instskip(NEXT) | instid1(VALU_DEP_2)
	v_add_nc_u32_e32 v152, v25, v152
	v_mbcnt_lo_u32_b32 v195, v65, 0
	v_cmp_ne_u32_e64 s17, 0, v65
	s_delay_alu instid0(VALU_DEP_2) | instskip(SKIP_1) | instid1(SALU_CYCLE_1)
	v_cmp_eq_u32_e32 vcc_lo, 0, v195
	s_and_b32 s18, s17, vcc_lo
	s_and_saveexec_b32 s17, s18
	s_cbranch_execz .LBB1348_174
; %bb.173:                              ;   in Loop: Header=BB1348_108 Depth=2
	s_wait_dscnt 0x0
	v_bcnt_u32_b32 v65, v65, v194
	ds_store_b32 v152, v65 offset:544
.LBB1348_174:                           ;   in Loop: Header=BB1348_108 Depth=2
	s_or_b32 exec_lo, exec_lo, s17
	v_cmp_gt_i32_e32 vcc_lo, 0, v67
	; wave barrier
	v_cndmask_b32_e64 v65, 0x7fffffff, 0, vcc_lo
	s_delay_alu instid0(VALU_DEP_1) | instskip(NEXT) | instid1(VALU_DEP_1)
	v_xor_b32_e32 v193, v65, v67
	v_cmp_ne_u32_e32 vcc_lo, 0x80000000, v193
	v_cndmask_b32_e32 v65, 0x7fffffff, v193, vcc_lo
	s_delay_alu instid0(VALU_DEP_1) | instskip(NEXT) | instid1(VALU_DEP_1)
	v_lshrrev_b32_e32 v65, s48, v65
	v_bitop3_b32 v67, v65, 1, s58 bitop3:0x80
	v_and_b32_e32 v196, s58, v65
	s_delay_alu instid0(VALU_DEP_2) | instskip(NEXT) | instid1(VALU_DEP_1)
	v_add_co_u32 v65, s17, v67, -1
	v_cndmask_b32_e64 v67, 0, 1, s17
	s_delay_alu instid0(VALU_DEP_3) | instskip(NEXT) | instid1(VALU_DEP_2)
	v_lshlrev_b32_e32 v197, 30, v196
	v_cmp_ne_u32_e32 vcc_lo, 0, v67
	s_delay_alu instid0(VALU_DEP_2) | instskip(SKIP_1) | instid1(VALU_DEP_2)
	v_not_b32_e32 v67, v197
	v_bitop3_b32 v65, vcc_lo, exec_lo, v65 bitop3:0x48
	v_dual_ashrrev_i32 v67, 31, v67 :: v_dual_lshlrev_b32 v198, 29, v196
	v_dual_lshlrev_b32 v199, 28, v196 :: v_dual_lshlrev_b32 v200, 27, v196
	v_lshlrev_b32_e32 v201, 26, v196
	v_cmp_gt_i32_e64 s17, 0, v197
	s_delay_alu instid0(VALU_DEP_4)
	v_not_b32_e32 v197, v198
	v_lshlrev_b32_e32 v202, 25, v196
	v_cmp_gt_i32_e64 s18, 0, v198
	v_cmp_gt_i32_e64 s19, 0, v199
	v_not_b32_e32 v198, v199
	v_not_b32_e32 v199, v200
	v_ashrrev_i32_e32 v197, 31, v197
	v_cmp_gt_i32_e64 s20, 0, v200
	v_cmp_gt_i32_e64 s21, 0, v201
	v_not_b32_e32 v200, v201
	v_not_b32_e32 v201, v202
	v_dual_ashrrev_i32 v198, 31, v198 :: v_dual_ashrrev_i32 v199, 31, v199
	s_delay_alu instid0(VALU_DEP_3) | instskip(SKIP_2) | instid1(VALU_DEP_4)
	v_dual_ashrrev_i32 v200, 31, v200 :: v_dual_bitop2_b32 v67, s17, v67 bitop3:0x14
	v_xor_b32_e32 v197, s18, v197
	v_cmp_gt_i32_e64 s22, 0, v202
	v_dual_ashrrev_i32 v201, 31, v201 :: v_dual_bitop2_b32 v198, s19, v198 bitop3:0x14
	v_xor_b32_e32 v199, s20, v199
	s_delay_alu instid0(VALU_DEP_4) | instskip(SKIP_3) | instid1(VALU_DEP_4)
	v_bitop3_b32 v65, v65, v197, v67 bitop3:0x80
	v_mad_u32_u24 v67, v196, 36, v25
	v_xor_b32_e32 v200, s21, v200
	v_xor_b32_e32 v201, s22, v201
	v_bitop3_b32 v65, v65, v199, v198 bitop3:0x80
	ds_load_b32 v197, v67 offset:544
	v_mul_u32_u24_e32 v67, 36, v196
	; wave barrier
	v_bitop3_b32 v65, v65, v201, v200 bitop3:0x80
	s_delay_alu instid0(VALU_DEP_2) | instskip(NEXT) | instid1(VALU_DEP_2)
	v_add_nc_u32_e32 v199, v25, v67
	v_mbcnt_lo_u32_b32 v198, v65, 0
	v_cmp_ne_u32_e64 s17, 0, v65
	s_delay_alu instid0(VALU_DEP_2) | instskip(SKIP_1) | instid1(SALU_CYCLE_1)
	v_cmp_eq_u32_e32 vcc_lo, 0, v198
	s_and_b32 s18, s17, vcc_lo
	s_and_saveexec_b32 s17, s18
	s_cbranch_execz .LBB1348_176
; %bb.175:                              ;   in Loop: Header=BB1348_108 Depth=2
	s_wait_dscnt 0x0
	v_bcnt_u32_b32 v65, v65, v197
	ds_store_b32 v199, v65 offset:544
.LBB1348_176:                           ;   in Loop: Header=BB1348_108 Depth=2
	s_or_b32 exec_lo, exec_lo, s17
	v_cmp_gt_i32_e32 vcc_lo, 0, v66
	; wave barrier
	v_cndmask_b32_e64 v65, 0x7fffffff, 0, vcc_lo
	s_delay_alu instid0(VALU_DEP_1) | instskip(NEXT) | instid1(VALU_DEP_1)
	v_xor_b32_e32 v196, v65, v66
	v_cmp_ne_u32_e32 vcc_lo, 0x80000000, v196
	v_cndmask_b32_e32 v65, 0x7fffffff, v196, vcc_lo
	s_delay_alu instid0(VALU_DEP_1) | instskip(NEXT) | instid1(VALU_DEP_1)
	v_lshrrev_b32_e32 v65, s48, v65
	v_bitop3_b32 v66, v65, 1, s58 bitop3:0x80
	v_and_b32_e32 v67, s58, v65
	s_delay_alu instid0(VALU_DEP_2) | instskip(NEXT) | instid1(VALU_DEP_1)
	v_add_co_u32 v65, s17, v66, -1
	v_cndmask_b32_e64 v66, 0, 1, s17
	s_delay_alu instid0(VALU_DEP_3) | instskip(NEXT) | instid1(VALU_DEP_2)
	v_lshlrev_b32_e32 v200, 30, v67
	v_cmp_ne_u32_e32 vcc_lo, 0, v66
	s_delay_alu instid0(VALU_DEP_2) | instskip(SKIP_2) | instid1(VALU_DEP_3)
	v_not_b32_e32 v66, v200
	v_cmp_gt_i32_e64 s17, 0, v200
	v_bitop3_b32 v65, vcc_lo, exec_lo, v65 bitop3:0x48
	v_dual_ashrrev_i32 v66, 31, v66 :: v_dual_lshlrev_b32 v201, 29, v67
	v_dual_lshlrev_b32 v202, 28, v67 :: v_dual_lshlrev_b32 v203, 27, v67
	v_lshlrev_b32_e32 v204, 26, v67
	s_delay_alu instid0(VALU_DEP_3)
	v_not_b32_e32 v200, v201
	v_lshlrev_b32_e32 v205, 25, v67
	v_cmp_gt_i32_e64 s18, 0, v201
	v_cmp_gt_i32_e64 s19, 0, v202
	v_not_b32_e32 v201, v202
	v_not_b32_e32 v202, v203
	v_ashrrev_i32_e32 v200, 31, v200
	v_cmp_gt_i32_e64 s20, 0, v203
	v_cmp_gt_i32_e64 s21, 0, v204
	v_not_b32_e32 v203, v204
	v_not_b32_e32 v204, v205
	v_dual_ashrrev_i32 v201, 31, v201 :: v_dual_ashrrev_i32 v202, 31, v202
	s_delay_alu instid0(VALU_DEP_3) | instskip(SKIP_2) | instid1(VALU_DEP_4)
	v_dual_ashrrev_i32 v203, 31, v203 :: v_dual_bitop2_b32 v66, s17, v66 bitop3:0x14
	v_xor_b32_e32 v200, s18, v200
	v_cmp_gt_i32_e64 s22, 0, v205
	v_dual_ashrrev_i32 v204, 31, v204 :: v_dual_bitop2_b32 v201, s19, v201 bitop3:0x14
	v_xor_b32_e32 v202, s20, v202
	s_delay_alu instid0(VALU_DEP_4) | instskip(SKIP_3) | instid1(VALU_DEP_4)
	v_bitop3_b32 v65, v65, v200, v66 bitop3:0x80
	v_mad_u32_u24 v66, v67, 36, v25
	v_xor_b32_e32 v200, s21, v203
	v_xor_b32_e32 v203, s22, v204
	v_bitop3_b32 v65, v65, v202, v201 bitop3:0x80
	ds_load_b32 v201, v66 offset:544
	v_mul_u32_u24_e32 v66, 36, v67
	; wave barrier
	v_bitop3_b32 v65, v65, v203, v200 bitop3:0x80
	s_delay_alu instid0(VALU_DEP_2) | instskip(NEXT) | instid1(VALU_DEP_2)
	v_add_nc_u32_e32 v203, v25, v66
	v_mbcnt_lo_u32_b32 v202, v65, 0
	v_cmp_ne_u32_e64 s17, 0, v65
	s_delay_alu instid0(VALU_DEP_2) | instskip(SKIP_1) | instid1(SALU_CYCLE_1)
	v_cmp_eq_u32_e32 vcc_lo, 0, v202
	s_and_b32 s18, s17, vcc_lo
	s_and_saveexec_b32 s17, s18
	s_cbranch_execz .LBB1348_178
; %bb.177:                              ;   in Loop: Header=BB1348_108 Depth=2
	s_wait_dscnt 0x0
	v_bcnt_u32_b32 v65, v65, v201
	ds_store_b32 v203, v65 offset:544
.LBB1348_178:                           ;   in Loop: Header=BB1348_108 Depth=2
	s_or_b32 exec_lo, exec_lo, s17
	v_cmp_gt_i32_e32 vcc_lo, 0, v64
	; wave barrier
	v_cndmask_b32_e64 v65, 0x7fffffff, 0, vcc_lo
	s_delay_alu instid0(VALU_DEP_1) | instskip(NEXT) | instid1(VALU_DEP_1)
	v_xor_b32_e32 v200, v65, v64
	v_cmp_ne_u32_e32 vcc_lo, 0x80000000, v200
	v_cndmask_b32_e32 v64, 0x7fffffff, v200, vcc_lo
	s_delay_alu instid0(VALU_DEP_1) | instskip(NEXT) | instid1(VALU_DEP_1)
	v_lshrrev_b32_e32 v64, s48, v64
	v_bitop3_b32 v65, v64, 1, s58 bitop3:0x80
	v_and_b32_e32 v66, s58, v64
	s_delay_alu instid0(VALU_DEP_2) | instskip(NEXT) | instid1(VALU_DEP_1)
	v_add_co_u32 v64, s17, v65, -1
	v_cndmask_b32_e64 v65, 0, 1, s17
	s_delay_alu instid0(VALU_DEP_3) | instskip(NEXT) | instid1(VALU_DEP_2)
	v_lshlrev_b32_e32 v67, 30, v66
	v_cmp_ne_u32_e32 vcc_lo, 0, v65
	s_delay_alu instid0(VALU_DEP_2) | instskip(SKIP_2) | instid1(VALU_DEP_3)
	v_not_b32_e32 v65, v67
	v_cmp_gt_i32_e64 s17, 0, v67
	v_bitop3_b32 v64, vcc_lo, exec_lo, v64 bitop3:0x48
	v_dual_ashrrev_i32 v65, 31, v65 :: v_dual_lshlrev_b32 v204, 29, v66
	v_dual_lshlrev_b32 v205, 28, v66 :: v_dual_lshlrev_b32 v206, 27, v66
	v_lshlrev_b32_e32 v207, 26, v66
	s_delay_alu instid0(VALU_DEP_3)
	v_not_b32_e32 v67, v204
	v_lshlrev_b32_e32 v208, 25, v66
	v_cmp_gt_i32_e64 s18, 0, v204
	v_cmp_gt_i32_e64 s19, 0, v205
	v_not_b32_e32 v204, v205
	v_not_b32_e32 v205, v206
	v_ashrrev_i32_e32 v67, 31, v67
	v_cmp_gt_i32_e64 s20, 0, v206
	v_cmp_gt_i32_e64 s21, 0, v207
	v_not_b32_e32 v206, v207
	v_not_b32_e32 v207, v208
	v_dual_ashrrev_i32 v204, 31, v204 :: v_dual_ashrrev_i32 v205, 31, v205
	s_delay_alu instid0(VALU_DEP_3) | instskip(SKIP_2) | instid1(VALU_DEP_4)
	v_dual_ashrrev_i32 v206, 31, v206 :: v_dual_bitop2_b32 v65, s17, v65 bitop3:0x14
	v_xor_b32_e32 v67, s18, v67
	v_cmp_gt_i32_e64 s22, 0, v208
	v_dual_ashrrev_i32 v207, 31, v207 :: v_dual_bitop2_b32 v204, s19, v204 bitop3:0x14
	v_xor_b32_e32 v205, s20, v205
	s_delay_alu instid0(VALU_DEP_4) | instskip(SKIP_3) | instid1(VALU_DEP_4)
	v_bitop3_b32 v64, v64, v67, v65 bitop3:0x80
	v_mad_u32_u24 v65, v66, 36, v25
	v_xor_b32_e32 v67, s21, v206
	v_xor_b32_e32 v206, s22, v207
	v_bitop3_b32 v64, v64, v205, v204 bitop3:0x80
	ds_load_b32 v204, v65 offset:544
	v_mul_u32_u24_e32 v65, 36, v66
	; wave barrier
	v_bitop3_b32 v64, v64, v206, v67 bitop3:0x80
	s_delay_alu instid0(VALU_DEP_2) | instskip(NEXT) | instid1(VALU_DEP_2)
	v_add_nc_u32_e32 v206, v25, v65
	v_mbcnt_lo_u32_b32 v205, v64, 0
	v_cmp_ne_u32_e64 s17, 0, v64
	s_delay_alu instid0(VALU_DEP_2) | instskip(SKIP_1) | instid1(SALU_CYCLE_1)
	v_cmp_eq_u32_e32 vcc_lo, 0, v205
	s_and_b32 s18, s17, vcc_lo
	s_and_saveexec_b32 s17, s18
	s_cbranch_execz .LBB1348_180
; %bb.179:                              ;   in Loop: Header=BB1348_108 Depth=2
	s_wait_dscnt 0x0
	v_bcnt_u32_b32 v64, v64, v204
	ds_store_b32 v206, v64 offset:544
.LBB1348_180:                           ;   in Loop: Header=BB1348_108 Depth=2
	s_or_b32 exec_lo, exec_lo, s17
	; wave barrier
	s_wait_dscnt 0x0
	s_barrier_signal -1
	s_barrier_wait -1
	ds_load_2addr_b32 v[66:67], v90 offset0:136 offset1:137
	ds_load_2addr_b32 v[64:65], v90 offset0:138 offset1:139
	ds_load_b32 v207, v90 offset:560
	s_wait_dscnt 0x1
	v_add3_u32 v208, v67, v66, v64
	s_wait_dscnt 0x0
	s_delay_alu instid0(VALU_DEP_1) | instskip(NEXT) | instid1(VALU_DEP_1)
	v_add3_u32 v207, v208, v65, v207
	v_mov_b32_dpp v208, v207 row_shr:1 row_mask:0xf bank_mask:0xf
	s_delay_alu instid0(VALU_DEP_1) | instskip(NEXT) | instid1(VALU_DEP_1)
	v_cndmask_b32_e64 v208, v208, 0, s9
	v_add_nc_u32_e32 v207, v208, v207
	s_delay_alu instid0(VALU_DEP_1) | instskip(NEXT) | instid1(VALU_DEP_1)
	v_mov_b32_dpp v208, v207 row_shr:2 row_mask:0xf bank_mask:0xf
	v_cndmask_b32_e64 v208, 0, v208, s10
	s_delay_alu instid0(VALU_DEP_1) | instskip(NEXT) | instid1(VALU_DEP_1)
	v_add_nc_u32_e32 v207, v207, v208
	v_mov_b32_dpp v208, v207 row_shr:4 row_mask:0xf bank_mask:0xf
	s_delay_alu instid0(VALU_DEP_1) | instskip(NEXT) | instid1(VALU_DEP_1)
	v_cndmask_b32_e64 v208, 0, v208, s11
	v_add_nc_u32_e32 v207, v207, v208
	s_delay_alu instid0(VALU_DEP_1) | instskip(NEXT) | instid1(VALU_DEP_1)
	v_mov_b32_dpp v208, v207 row_shr:8 row_mask:0xf bank_mask:0xf
	v_cndmask_b32_e64 v208, 0, v208, s12
	s_delay_alu instid0(VALU_DEP_1) | instskip(SKIP_3) | instid1(VALU_DEP_1)
	v_add_nc_u32_e32 v207, v207, v208
	ds_swizzle_b32 v208, v207 offset:swizzle(BROADCAST,32,15)
	s_wait_dscnt 0x0
	v_cndmask_b32_e64 v208, v208, 0, s13
	v_add_nc_u32_e32 v207, v207, v208
	s_and_saveexec_b32 s17, s2
; %bb.181:                              ;   in Loop: Header=BB1348_108 Depth=2
	ds_store_b32 v83, v207 offset:512
; %bb.182:                              ;   in Loop: Header=BB1348_108 Depth=2
	s_or_b32 exec_lo, exec_lo, s17
	s_wait_dscnt 0x0
	s_barrier_signal -1
	s_barrier_wait -1
	s_and_saveexec_b32 s17, s3
	s_cbranch_execz .LBB1348_184
; %bb.183:                              ;   in Loop: Header=BB1348_108 Depth=2
	ds_load_b32 v208, v92 offset:512
	s_wait_dscnt 0x0
	v_mov_b32_dpp v209, v208 row_shr:1 row_mask:0xf bank_mask:0xf
	s_delay_alu instid0(VALU_DEP_1) | instskip(NEXT) | instid1(VALU_DEP_1)
	v_cndmask_b32_e64 v209, v209, 0, s14
	v_add_nc_u32_e32 v208, v209, v208
	s_delay_alu instid0(VALU_DEP_1) | instskip(NEXT) | instid1(VALU_DEP_1)
	v_mov_b32_dpp v209, v208 row_shr:2 row_mask:0xf bank_mask:0xf
	v_cndmask_b32_e64 v209, 0, v209, s15
	s_delay_alu instid0(VALU_DEP_1) | instskip(NEXT) | instid1(VALU_DEP_1)
	v_add_nc_u32_e32 v208, v208, v209
	v_mov_b32_dpp v209, v208 row_shr:4 row_mask:0xf bank_mask:0xf
	s_delay_alu instid0(VALU_DEP_1) | instskip(NEXT) | instid1(VALU_DEP_1)
	v_cndmask_b32_e64 v209, 0, v209, s16
	v_add_nc_u32_e32 v208, v208, v209
	ds_store_b32 v92, v208 offset:512
.LBB1348_184:                           ;   in Loop: Header=BB1348_108 Depth=2
	s_or_b32 exec_lo, exec_lo, s17
	v_mov_b32_e32 v208, 0
	s_wait_dscnt 0x0
	s_barrier_signal -1
	s_barrier_wait -1
	s_and_saveexec_b32 s17, s5
; %bb.185:                              ;   in Loop: Header=BB1348_108 Depth=2
	ds_load_b32 v208, v83 offset:508
; %bb.186:                              ;   in Loop: Header=BB1348_108 Depth=2
	s_or_b32 exec_lo, exec_lo, s17
	s_wait_dscnt 0x0
	v_add_nc_u32_e32 v207, v208, v207
	ds_bpermute_b32 v207, v119, v207
	s_wait_dscnt 0x0
	v_cndmask_b32_e64 v207, v207, v208, s8
	s_delay_alu instid0(VALU_DEP_1) | instskip(NEXT) | instid1(VALU_DEP_1)
	v_cndmask_b32_e64 v207, v207, 0, s6
	v_add_nc_u32_e32 v66, v207, v66
	s_delay_alu instid0(VALU_DEP_1) | instskip(NEXT) | instid1(VALU_DEP_1)
	v_add_nc_u32_e32 v67, v66, v67
	v_add_nc_u32_e32 v64, v67, v64
	s_delay_alu instid0(VALU_DEP_1)
	v_add_nc_u32_e32 v65, v64, v65
	ds_store_2addr_b32 v90, v207, v66 offset0:136 offset1:137
	ds_store_2addr_b32 v90, v67, v64 offset0:138 offset1:139
	ds_store_b32 v90, v65 offset:560
	s_wait_dscnt 0x0
	s_barrier_signal -1
	s_barrier_wait -1
	ds_load_b32 v66, v143 offset:544
	ds_load_b32 v67, v147 offset:544
	;; [unrolled: 1-line block ×17, first 2 shown]
	s_and_saveexec_b32 s17, s0
	s_cbranch_execz .LBB1348_190
; %bb.187:                              ;   in Loop: Header=BB1348_108 Depth=2
	ds_load_b32 v133, v94 offset:544
	v_mov_b32_e32 v138, 0x1100
	s_and_saveexec_b32 s18, s7
; %bb.188:                              ;   in Loop: Header=BB1348_108 Depth=2
	ds_load_b32 v138, v93 offset:544
; %bb.189:                              ;   in Loop: Header=BB1348_108 Depth=2
	s_or_b32 exec_lo, exec_lo, s18
	s_wait_dscnt 0x0
	v_sub_nc_u32_e32 v138, v138, v133
.LBB1348_190:                           ;   in Loop: Header=BB1348_108 Depth=2
	s_or_b32 exec_lo, exec_lo, s17
	s_wait_dscnt 0x0
	s_barrier_signal -1
	s_barrier_wait -1
	s_and_saveexec_b32 s17, s0
	s_cbranch_execz .LBB1348_192
; %bb.191:                              ;   in Loop: Header=BB1348_108 Depth=2
	ds_load_b32 v152, v4
	s_wait_dscnt 0x0
	v_sub_nc_u32_e32 v152, v152, v133
	ds_store_b32 v4, v152
.LBB1348_192:                           ;   in Loop: Header=BB1348_108 Depth=2
	s_or_b32 exec_lo, exec_lo, s17
	v_add3_u32 v156, v155, v154, v147
	v_add_nc_u32_e32 v162, v66, v141
	v_add3_u32 v161, v146, v145, v67
	v_add3_u32 v157, v150, v149, v143
	;; [unrolled: 1-line block ×4, first 2 shown]
	v_dual_lshlrev_b32 v65, 2, v156 :: v_dual_lshlrev_b32 v159, 2, v162
	v_lshlrev_b32_e32 v160, 2, v161
	v_add3_u32 v154, v165, v164, v207
	v_add3_u32 v152, v170, v169, v172
	;; [unrolled: 1-line block ×4, first 2 shown]
	v_lshlrev_b32_e32 v64, 2, v157
	v_add3_u32 v150, v178, v177, v179
	v_add3_u32 v149, v181, v180, v182
	ds_store_b32 v159, v140 offset:512
	ds_store_b32 v160, v142 offset:512
	v_lshlrev_b32_e32 v140, 2, v155
	v_add3_u32 v147, v185, v184, v186
	v_dual_lshlrev_b32 v142, 2, v154 :: v_dual_lshlrev_b32 v159, 2, v152
	v_add3_u32 v146, v189, v188, v208
	v_add3_u32 v67, v192, v191, v209
	ds_store_b32 v64, v144 offset:512
	ds_store_b32 v65, v148 offset:512
	ds_store_b32 v140, v153 offset:512
	ds_store_b32 v142, v158 offset:512
	ds_store_b32 v159, v163 offset:512
	v_dual_lshlrev_b32 v64, 2, v151 :: v_dual_lshlrev_b32 v65, 2, v150
	v_add3_u32 v66, v195, v194, v210
	v_dual_lshlrev_b32 v140, 2, v149 :: v_dual_lshlrev_b32 v142, 2, v147
	v_add3_u32 v141, v205, v204, v167
	v_lshlrev_b32_e32 v144, 2, v146
	ds_store_b32 v64, v168 offset:512
	ds_store_b32 v65, v173 offset:512
	;; [unrolled: 1-line block ×5, first 2 shown]
	v_lshlrev_b32_e32 v64, 2, v67
	v_cmp_lt_u32_e32 vcc_lo, v2, v139
	v_dual_lshlrev_b32 v65, 2, v66 :: v_dual_lshlrev_b32 v140, 2, v145
	v_dual_lshlrev_b32 v142, 2, v143 :: v_dual_lshlrev_b32 v144, 2, v141
	ds_store_b32 v64, v187 offset:512
	ds_store_b32 v65, v190 offset:512
	;; [unrolled: 1-line block ×5, first 2 shown]
	s_wait_dscnt 0x0
	s_barrier_signal -1
	s_barrier_wait -1
	s_and_saveexec_b32 s18, vcc_lo
	s_cbranch_execnz .LBB1348_265
; %bb.193:                              ;   in Loop: Header=BB1348_108 Depth=2
	s_or_b32 exec_lo, exec_lo, s18
	v_cmp_lt_u32_e64 s17, v3, v139
	s_and_saveexec_b32 s19, s17
	s_cbranch_execnz .LBB1348_266
.LBB1348_194:                           ;   in Loop: Header=BB1348_108 Depth=2
	s_or_b32 exec_lo, exec_lo, s19
	v_cmp_lt_u32_e64 s18, v68, v139
	s_and_saveexec_b32 s20, s18
	s_cbranch_execnz .LBB1348_267
.LBB1348_195:                           ;   in Loop: Header=BB1348_108 Depth=2
	s_or_b32 exec_lo, exec_lo, s20
	v_cmp_lt_u32_e64 s19, v69, v139
	s_and_saveexec_b32 s21, s19
	s_cbranch_execnz .LBB1348_268
.LBB1348_196:                           ;   in Loop: Header=BB1348_108 Depth=2
	s_or_b32 exec_lo, exec_lo, s21
	v_cmp_lt_u32_e64 s20, v70, v139
	s_and_saveexec_b32 s22, s20
	s_cbranch_execnz .LBB1348_269
.LBB1348_197:                           ;   in Loop: Header=BB1348_108 Depth=2
	s_or_b32 exec_lo, exec_lo, s22
	v_cmp_lt_u32_e64 s21, v71, v139
	s_and_saveexec_b32 s23, s21
	s_cbranch_execnz .LBB1348_270
.LBB1348_198:                           ;   in Loop: Header=BB1348_108 Depth=2
	s_or_b32 exec_lo, exec_lo, s23
	v_cmp_lt_u32_e64 s22, v72, v139
	s_and_saveexec_b32 s24, s22
	s_cbranch_execnz .LBB1348_271
.LBB1348_199:                           ;   in Loop: Header=BB1348_108 Depth=2
	s_or_b32 exec_lo, exec_lo, s24
	v_cmp_lt_u32_e64 s23, v73, v139
	s_and_saveexec_b32 s25, s23
	s_cbranch_execnz .LBB1348_272
.LBB1348_200:                           ;   in Loop: Header=BB1348_108 Depth=2
	s_or_b32 exec_lo, exec_lo, s25
	v_cmp_lt_u32_e64 s24, v74, v139
	s_and_saveexec_b32 s26, s24
	s_cbranch_execnz .LBB1348_273
.LBB1348_201:                           ;   in Loop: Header=BB1348_108 Depth=2
	s_or_b32 exec_lo, exec_lo, s26
	v_cmp_lt_u32_e64 s25, v75, v139
	s_and_saveexec_b32 s27, s25
	s_cbranch_execnz .LBB1348_274
.LBB1348_202:                           ;   in Loop: Header=BB1348_108 Depth=2
	s_or_b32 exec_lo, exec_lo, s27
	v_cmp_lt_u32_e64 s26, v76, v139
	s_and_saveexec_b32 s28, s26
	s_cbranch_execnz .LBB1348_275
.LBB1348_203:                           ;   in Loop: Header=BB1348_108 Depth=2
	s_or_b32 exec_lo, exec_lo, s28
	v_cmp_lt_u32_e64 s27, v77, v139
	s_and_saveexec_b32 s29, s27
	s_cbranch_execnz .LBB1348_276
.LBB1348_204:                           ;   in Loop: Header=BB1348_108 Depth=2
	s_or_b32 exec_lo, exec_lo, s29
	v_cmp_lt_u32_e64 s28, v78, v139
	s_and_saveexec_b32 s30, s28
	s_cbranch_execnz .LBB1348_277
.LBB1348_205:                           ;   in Loop: Header=BB1348_108 Depth=2
	s_or_b32 exec_lo, exec_lo, s30
	v_cmp_lt_u32_e64 s29, v79, v139
	s_and_saveexec_b32 s31, s29
	s_cbranch_execnz .LBB1348_278
.LBB1348_206:                           ;   in Loop: Header=BB1348_108 Depth=2
	s_or_b32 exec_lo, exec_lo, s31
	v_cmp_lt_u32_e64 s30, v80, v139
	s_and_saveexec_b32 s33, s30
	s_cbranch_execnz .LBB1348_279
.LBB1348_207:                           ;   in Loop: Header=BB1348_108 Depth=2
	s_or_b32 exec_lo, exec_lo, s33
	v_cmp_lt_u32_e64 s31, v81, v139
	s_and_saveexec_b32 s34, s31
	s_cbranch_execnz .LBB1348_280
.LBB1348_208:                           ;   in Loop: Header=BB1348_108 Depth=2
	s_or_b32 exec_lo, exec_lo, s34
	v_cmp_lt_u32_e64 s33, v82, v139
	s_and_saveexec_b32 s61, s33
	s_cbranch_execz .LBB1348_210
.LBB1348_209:                           ;   in Loop: Header=BB1348_108 Depth=2
	ds_load_b32 v64, v92 offset:16896
	s_wait_dscnt 0x0
	v_cmp_ne_u32_e64 s34, 0x80000000, v64
	s_delay_alu instid0(VALU_DEP_1) | instskip(SKIP_1) | instid1(VALU_DEP_1)
	v_cndmask_b32_e64 v65, 0x7fffffff, v64, s34
	v_cmp_gt_i32_e64 s34, 0, v64
	v_cndmask_b32_e64 v140, 0x7fffffff, 0, s34
	s_delay_alu instid0(VALU_DEP_1) | instskip(NEXT) | instid1(VALU_DEP_1)
	v_dual_lshrrev_b32 v65, s48, v65 :: v_dual_bitop2_b32 v64, v140, v64 bitop3:0x14
	v_and_b32_e32 v65, s58, v65
	s_delay_alu instid0(VALU_DEP_1)
	v_lshlrev_b32_e32 v65, 2, v65
	ds_load_b32 v65, v65
	s_wait_dscnt 0x0
	v_add_nc_u32_e32 v65, v65, v82
	global_store_b32 v65, v64, s[38:39] scale_offset
.LBB1348_210:                           ;   in Loop: Header=BB1348_108 Depth=2
	s_wait_xcnt 0x0
	s_or_b32 exec_lo, exec_lo, s61
	v_lshl_add_u64 v[64:65], s[42:43], 3, v[26:27]
	v_cmp_lt_u32_e64 s34, v101, v139
	s_and_saveexec_b32 s42, s34
	s_delay_alu instid0(SALU_CYCLE_1)
	s_xor_b32 s34, exec_lo, s42
	s_cbranch_execnz .LBB1348_281
; %bb.211:                              ;   in Loop: Header=BB1348_108 Depth=2
	s_or_b32 exec_lo, exec_lo, s34
	s_delay_alu instid0(SALU_CYCLE_1)
	s_mov_b32 s42, exec_lo
	v_cmpx_lt_u32_e64 v104, v139
	s_cbranch_execnz .LBB1348_282
.LBB1348_212:                           ;   in Loop: Header=BB1348_108 Depth=2
	s_or_b32 exec_lo, exec_lo, s42
	s_delay_alu instid0(SALU_CYCLE_1)
	s_mov_b32 s42, exec_lo
	v_cmpx_lt_u32_e64 v105, v139
	s_cbranch_execnz .LBB1348_283
.LBB1348_213:                           ;   in Loop: Header=BB1348_108 Depth=2
	s_or_b32 exec_lo, exec_lo, s42
	s_delay_alu instid0(SALU_CYCLE_1)
	s_mov_b32 s42, exec_lo
	v_cmpx_lt_u32_e64 v106, v139
	s_cbranch_execnz .LBB1348_284
.LBB1348_214:                           ;   in Loop: Header=BB1348_108 Depth=2
	s_or_b32 exec_lo, exec_lo, s42
	s_delay_alu instid0(SALU_CYCLE_1)
	s_mov_b32 s42, exec_lo
	v_cmpx_lt_u32_e64 v107, v139
	s_cbranch_execnz .LBB1348_285
.LBB1348_215:                           ;   in Loop: Header=BB1348_108 Depth=2
	s_or_b32 exec_lo, exec_lo, s42
	s_delay_alu instid0(SALU_CYCLE_1)
	s_mov_b32 s42, exec_lo
	v_cmpx_lt_u32_e64 v108, v139
	s_cbranch_execnz .LBB1348_286
.LBB1348_216:                           ;   in Loop: Header=BB1348_108 Depth=2
	s_or_b32 exec_lo, exec_lo, s42
	s_delay_alu instid0(SALU_CYCLE_1)
	s_mov_b32 s42, exec_lo
	v_cmpx_lt_u32_e64 v109, v139
	s_cbranch_execnz .LBB1348_287
.LBB1348_217:                           ;   in Loop: Header=BB1348_108 Depth=2
	s_or_b32 exec_lo, exec_lo, s42
	s_delay_alu instid0(SALU_CYCLE_1)
	s_mov_b32 s42, exec_lo
	v_cmpx_lt_u32_e64 v110, v139
	s_cbranch_execnz .LBB1348_288
.LBB1348_218:                           ;   in Loop: Header=BB1348_108 Depth=2
	s_or_b32 exec_lo, exec_lo, s42
	s_delay_alu instid0(SALU_CYCLE_1)
	s_mov_b32 s42, exec_lo
	v_cmpx_lt_u32_e64 v111, v139
	s_cbranch_execnz .LBB1348_289
.LBB1348_219:                           ;   in Loop: Header=BB1348_108 Depth=2
	s_or_b32 exec_lo, exec_lo, s42
	s_delay_alu instid0(SALU_CYCLE_1)
	s_mov_b32 s42, exec_lo
	v_cmpx_lt_u32_e64 v112, v139
	s_cbranch_execnz .LBB1348_290
.LBB1348_220:                           ;   in Loop: Header=BB1348_108 Depth=2
	s_or_b32 exec_lo, exec_lo, s42
	s_delay_alu instid0(SALU_CYCLE_1)
	s_mov_b32 s42, exec_lo
	v_cmpx_lt_u32_e64 v113, v139
	s_cbranch_execnz .LBB1348_291
.LBB1348_221:                           ;   in Loop: Header=BB1348_108 Depth=2
	s_or_b32 exec_lo, exec_lo, s42
	s_delay_alu instid0(SALU_CYCLE_1)
	s_mov_b32 s42, exec_lo
	v_cmpx_lt_u32_e64 v114, v139
	s_cbranch_execnz .LBB1348_292
.LBB1348_222:                           ;   in Loop: Header=BB1348_108 Depth=2
	s_or_b32 exec_lo, exec_lo, s42
	s_delay_alu instid0(SALU_CYCLE_1)
	s_mov_b32 s42, exec_lo
	v_cmpx_lt_u32_e64 v115, v139
	s_cbranch_execnz .LBB1348_293
.LBB1348_223:                           ;   in Loop: Header=BB1348_108 Depth=2
	s_or_b32 exec_lo, exec_lo, s42
	s_delay_alu instid0(SALU_CYCLE_1)
	s_mov_b32 s42, exec_lo
	v_cmpx_lt_u32_e64 v116, v139
	s_cbranch_execnz .LBB1348_294
.LBB1348_224:                           ;   in Loop: Header=BB1348_108 Depth=2
	s_or_b32 exec_lo, exec_lo, s42
	s_delay_alu instid0(SALU_CYCLE_1)
	s_mov_b32 s42, exec_lo
	v_cmpx_lt_u32_e64 v117, v139
	s_cbranch_execnz .LBB1348_295
.LBB1348_225:                           ;   in Loop: Header=BB1348_108 Depth=2
	s_or_b32 exec_lo, exec_lo, s42
	s_delay_alu instid0(SALU_CYCLE_1)
	s_mov_b32 s42, exec_lo
	v_cmpx_lt_u32_e64 v118, v139
	s_cbranch_execnz .LBB1348_296
.LBB1348_226:                           ;   in Loop: Header=BB1348_108 Depth=2
	s_or_b32 exec_lo, exec_lo, s42
	s_delay_alu instid0(SALU_CYCLE_1)
	s_mov_b32 s42, exec_lo
	v_cmpx_lt_u32_e64 v5, v139
	s_cbranch_execnz .LBB1348_297
.LBB1348_227:                           ;   in Loop: Header=BB1348_108 Depth=2
	s_or_b32 exec_lo, exec_lo, s42
	s_and_saveexec_b32 s42, vcc_lo
	s_cbranch_execnz .LBB1348_298
.LBB1348_228:                           ;   in Loop: Header=BB1348_108 Depth=2
	s_or_b32 exec_lo, exec_lo, s42
	s_and_saveexec_b32 s42, s17
	s_cbranch_execnz .LBB1348_299
.LBB1348_229:                           ;   in Loop: Header=BB1348_108 Depth=2
	s_or_b32 exec_lo, exec_lo, s42
	s_and_saveexec_b32 s42, s18
	s_cbranch_execnz .LBB1348_300
.LBB1348_230:                           ;   in Loop: Header=BB1348_108 Depth=2
	s_or_b32 exec_lo, exec_lo, s42
	s_and_saveexec_b32 s42, s19
	s_cbranch_execnz .LBB1348_301
.LBB1348_231:                           ;   in Loop: Header=BB1348_108 Depth=2
	s_or_b32 exec_lo, exec_lo, s42
	s_and_saveexec_b32 s42, s20
	s_cbranch_execnz .LBB1348_302
.LBB1348_232:                           ;   in Loop: Header=BB1348_108 Depth=2
	s_or_b32 exec_lo, exec_lo, s42
	s_and_saveexec_b32 s42, s21
	s_cbranch_execnz .LBB1348_303
.LBB1348_233:                           ;   in Loop: Header=BB1348_108 Depth=2
	s_or_b32 exec_lo, exec_lo, s42
	s_and_saveexec_b32 s42, s22
	s_cbranch_execnz .LBB1348_304
.LBB1348_234:                           ;   in Loop: Header=BB1348_108 Depth=2
	s_or_b32 exec_lo, exec_lo, s42
	s_and_saveexec_b32 s42, s23
	s_cbranch_execnz .LBB1348_305
.LBB1348_235:                           ;   in Loop: Header=BB1348_108 Depth=2
	s_or_b32 exec_lo, exec_lo, s42
	s_and_saveexec_b32 s42, s24
	s_cbranch_execnz .LBB1348_306
.LBB1348_236:                           ;   in Loop: Header=BB1348_108 Depth=2
	s_or_b32 exec_lo, exec_lo, s42
	s_and_saveexec_b32 s42, s25
	s_cbranch_execnz .LBB1348_307
.LBB1348_237:                           ;   in Loop: Header=BB1348_108 Depth=2
	s_or_b32 exec_lo, exec_lo, s42
	s_and_saveexec_b32 s42, s26
	s_cbranch_execnz .LBB1348_308
.LBB1348_238:                           ;   in Loop: Header=BB1348_108 Depth=2
	s_or_b32 exec_lo, exec_lo, s42
	s_and_saveexec_b32 s42, s27
	s_cbranch_execnz .LBB1348_309
.LBB1348_239:                           ;   in Loop: Header=BB1348_108 Depth=2
	s_or_b32 exec_lo, exec_lo, s42
	s_and_saveexec_b32 s42, s28
	s_cbranch_execnz .LBB1348_310
.LBB1348_240:                           ;   in Loop: Header=BB1348_108 Depth=2
	s_or_b32 exec_lo, exec_lo, s42
	s_and_saveexec_b32 s42, s29
	s_cbranch_execnz .LBB1348_311
.LBB1348_241:                           ;   in Loop: Header=BB1348_108 Depth=2
	s_or_b32 exec_lo, exec_lo, s42
	s_and_saveexec_b32 s42, s30
	s_cbranch_execnz .LBB1348_312
.LBB1348_242:                           ;   in Loop: Header=BB1348_108 Depth=2
	s_or_b32 exec_lo, exec_lo, s42
	s_and_saveexec_b32 s42, s31
	s_cbranch_execnz .LBB1348_313
.LBB1348_243:                           ;   in Loop: Header=BB1348_108 Depth=2
	s_or_b32 exec_lo, exec_lo, s42
	s_and_saveexec_b32 s42, s33
	s_cbranch_execz .LBB1348_245
.LBB1348_244:                           ;   in Loop: Header=BB1348_108 Depth=2
	ds_load_b32 v64, v92 offset:16896
	s_wait_dscnt 0x0
	v_cmp_ne_u32_e64 s34, 0x80000000, v64
	s_delay_alu instid0(VALU_DEP_1) | instskip(NEXT) | instid1(VALU_DEP_1)
	v_cndmask_b32_e64 v64, 0x7fffffff, v64, s34
	v_lshrrev_b32_e32 v64, s48, v64
	s_delay_alu instid0(VALU_DEP_1)
	v_and_b32_e32 v120, s58, v64
.LBB1348_245:                           ;   in Loop: Header=BB1348_108 Depth=2
	s_or_b32 exec_lo, exec_lo, s42
	v_dual_lshlrev_b32 v64, 3, v162 :: v_dual_lshlrev_b32 v65, 3, v161
	s_wait_loadcnt 0x0
	s_wait_storecnt 0x0
	s_barrier_signal -1
	s_barrier_wait -1
	ds_store_b64 v64, v[62:63] offset:512
	ds_store_b64 v65, v[60:61] offset:512
	v_dual_lshlrev_b32 v64, 3, v157 :: v_dual_lshlrev_b32 v65, 3, v156
	v_dual_lshlrev_b32 v139, 3, v155 :: v_dual_lshlrev_b32 v140, 3, v154
	v_lshlrev_b32_e32 v142, 3, v152
	ds_store_b64 v64, v[58:59] offset:512
	ds_store_b64 v65, v[56:57] offset:512
	ds_store_b64 v139, v[54:55] offset:512
	ds_store_b64 v140, v[52:53] offset:512
	ds_store_b64 v142, v[50:51] offset:512
	v_dual_lshlrev_b32 v64, 3, v151 :: v_dual_lshlrev_b32 v65, 3, v150
	v_dual_lshlrev_b32 v139, 3, v149 :: v_dual_lshlrev_b32 v140, 3, v147
	v_lshlrev_b32_e32 v142, 3, v146
	ds_store_b64 v64, v[48:49] offset:512
	ds_store_b64 v65, v[46:47] offset:512
	ds_store_b64 v139, v[44:45] offset:512
	;; [unrolled: 8-line block ×3, first 2 shown]
	ds_store_b64 v67, v[32:33] offset:512
	ds_store_b64 v139, v[30:31] offset:512
	s_wait_dscnt 0x0
	s_barrier_signal -1
	s_barrier_wait -1
	s_and_saveexec_b32 s34, vcc_lo
	s_cbranch_execnz .LBB1348_314
; %bb.246:                              ;   in Loop: Header=BB1348_108 Depth=2
	s_or_b32 exec_lo, exec_lo, s34
	s_and_saveexec_b32 s34, s17
	s_cbranch_execnz .LBB1348_315
.LBB1348_247:                           ;   in Loop: Header=BB1348_108 Depth=2
	s_or_b32 exec_lo, exec_lo, s34
	s_and_saveexec_b32 s17, s18
	s_cbranch_execnz .LBB1348_316
.LBB1348_248:                           ;   in Loop: Header=BB1348_108 Depth=2
	s_or_b32 exec_lo, exec_lo, s17
	s_and_saveexec_b32 s17, s19
	s_cbranch_execnz .LBB1348_317
.LBB1348_249:                           ;   in Loop: Header=BB1348_108 Depth=2
	s_or_b32 exec_lo, exec_lo, s17
	s_and_saveexec_b32 s17, s20
	s_cbranch_execnz .LBB1348_318
.LBB1348_250:                           ;   in Loop: Header=BB1348_108 Depth=2
	s_or_b32 exec_lo, exec_lo, s17
	s_and_saveexec_b32 s17, s21
	s_cbranch_execnz .LBB1348_319
.LBB1348_251:                           ;   in Loop: Header=BB1348_108 Depth=2
	s_or_b32 exec_lo, exec_lo, s17
	s_and_saveexec_b32 s17, s22
	s_cbranch_execnz .LBB1348_320
.LBB1348_252:                           ;   in Loop: Header=BB1348_108 Depth=2
	s_or_b32 exec_lo, exec_lo, s17
	s_and_saveexec_b32 s17, s23
	s_cbranch_execnz .LBB1348_321
.LBB1348_253:                           ;   in Loop: Header=BB1348_108 Depth=2
	s_or_b32 exec_lo, exec_lo, s17
	s_and_saveexec_b32 s17, s24
	s_cbranch_execnz .LBB1348_322
.LBB1348_254:                           ;   in Loop: Header=BB1348_108 Depth=2
	s_or_b32 exec_lo, exec_lo, s17
	s_and_saveexec_b32 s17, s25
	s_cbranch_execnz .LBB1348_323
.LBB1348_255:                           ;   in Loop: Header=BB1348_108 Depth=2
	s_or_b32 exec_lo, exec_lo, s17
	s_and_saveexec_b32 s17, s26
	s_cbranch_execnz .LBB1348_324
.LBB1348_256:                           ;   in Loop: Header=BB1348_108 Depth=2
	s_or_b32 exec_lo, exec_lo, s17
	s_and_saveexec_b32 s17, s27
	s_cbranch_execnz .LBB1348_325
.LBB1348_257:                           ;   in Loop: Header=BB1348_108 Depth=2
	s_or_b32 exec_lo, exec_lo, s17
	s_and_saveexec_b32 s17, s28
	s_cbranch_execnz .LBB1348_326
.LBB1348_258:                           ;   in Loop: Header=BB1348_108 Depth=2
	s_or_b32 exec_lo, exec_lo, s17
	s_and_saveexec_b32 s17, s29
	s_cbranch_execnz .LBB1348_327
.LBB1348_259:                           ;   in Loop: Header=BB1348_108 Depth=2
	s_or_b32 exec_lo, exec_lo, s17
	s_and_saveexec_b32 s17, s30
	s_cbranch_execnz .LBB1348_328
.LBB1348_260:                           ;   in Loop: Header=BB1348_108 Depth=2
	s_or_b32 exec_lo, exec_lo, s17
	s_and_saveexec_b32 s17, s31
	s_cbranch_execnz .LBB1348_329
.LBB1348_261:                           ;   in Loop: Header=BB1348_108 Depth=2
	s_or_b32 exec_lo, exec_lo, s17
	s_and_saveexec_b32 s17, s33
	s_cbranch_execz .LBB1348_263
.LBB1348_262:                           ;   in Loop: Header=BB1348_108 Depth=2
	v_lshlrev_b32_e32 v64, 2, v120
	v_add_nc_u32_e32 v65, v92, v4
	ds_load_b32 v66, v64
	ds_load_b64 v[64:65], v65 offset:33280
	s_wait_dscnt 0x1
	v_add_nc_u32_e32 v66, v66, v82
	s_wait_dscnt 0x0
	global_store_b64 v66, v[64:65], s[44:45] scale_offset
.LBB1348_263:                           ;   in Loop: Header=BB1348_108 Depth=2
	s_wait_xcnt 0x0
	s_or_b32 exec_lo, exec_lo, s17
	s_wait_storecnt 0x0
	s_barrier_signal -1
	s_barrier_wait -1
	s_and_saveexec_b32 s17, s0
	s_cbranch_execz .LBB1348_107
; %bb.264:                              ;   in Loop: Header=BB1348_108 Depth=2
	ds_load_b32 v64, v4
	s_wait_dscnt 0x0
	v_add3_u32 v64, v133, v138, v64
	ds_store_b32 v4, v64
	s_branch .LBB1348_107
.LBB1348_265:                           ;   in Loop: Header=BB1348_108 Depth=2
	ds_load_b32 v64, v92 offset:512
	s_wait_dscnt 0x0
	v_cmp_ne_u32_e64 s17, 0x80000000, v64
	s_delay_alu instid0(VALU_DEP_1) | instskip(SKIP_1) | instid1(VALU_DEP_1)
	v_cndmask_b32_e64 v65, 0x7fffffff, v64, s17
	v_cmp_gt_i32_e64 s17, 0, v64
	v_cndmask_b32_e64 v140, 0x7fffffff, 0, s17
	s_delay_alu instid0(VALU_DEP_1) | instskip(NEXT) | instid1(VALU_DEP_1)
	v_dual_lshrrev_b32 v65, s48, v65 :: v_dual_bitop2_b32 v64, v140, v64 bitop3:0x14
	v_and_b32_e32 v65, s58, v65
	s_delay_alu instid0(VALU_DEP_1)
	v_lshlrev_b32_e32 v65, 2, v65
	ds_load_b32 v65, v65
	s_wait_dscnt 0x0
	v_add_nc_u32_e32 v65, v65, v2
	global_store_b32 v65, v64, s[38:39] scale_offset
	s_wait_xcnt 0x0
	s_or_b32 exec_lo, exec_lo, s18
	v_cmp_lt_u32_e64 s17, v3, v139
	s_and_saveexec_b32 s19, s17
	s_cbranch_execz .LBB1348_194
.LBB1348_266:                           ;   in Loop: Header=BB1348_108 Depth=2
	ds_load_b32 v64, v92 offset:1536
	s_wait_dscnt 0x0
	v_cmp_ne_u32_e64 s18, 0x80000000, v64
	s_delay_alu instid0(VALU_DEP_1) | instskip(SKIP_1) | instid1(VALU_DEP_1)
	v_cndmask_b32_e64 v65, 0x7fffffff, v64, s18
	v_cmp_gt_i32_e64 s18, 0, v64
	v_cndmask_b32_e64 v140, 0x7fffffff, 0, s18
	s_delay_alu instid0(VALU_DEP_1) | instskip(NEXT) | instid1(VALU_DEP_1)
	v_dual_lshrrev_b32 v65, s48, v65 :: v_dual_bitop2_b32 v64, v140, v64 bitop3:0x14
	v_and_b32_e32 v65, s58, v65
	s_delay_alu instid0(VALU_DEP_1)
	v_lshlrev_b32_e32 v65, 2, v65
	ds_load_b32 v65, v65
	s_wait_dscnt 0x0
	v_add_nc_u32_e32 v65, v65, v3
	global_store_b32 v65, v64, s[38:39] scale_offset
	s_wait_xcnt 0x0
	s_or_b32 exec_lo, exec_lo, s19
	v_cmp_lt_u32_e64 s18, v68, v139
	s_and_saveexec_b32 s20, s18
	s_cbranch_execz .LBB1348_195
.LBB1348_267:                           ;   in Loop: Header=BB1348_108 Depth=2
	ds_load_b32 v64, v92 offset:2560
	s_wait_dscnt 0x0
	v_cmp_ne_u32_e64 s19, 0x80000000, v64
	s_delay_alu instid0(VALU_DEP_1) | instskip(SKIP_1) | instid1(VALU_DEP_1)
	v_cndmask_b32_e64 v65, 0x7fffffff, v64, s19
	v_cmp_gt_i32_e64 s19, 0, v64
	v_cndmask_b32_e64 v140, 0x7fffffff, 0, s19
	s_delay_alu instid0(VALU_DEP_1) | instskip(NEXT) | instid1(VALU_DEP_1)
	v_dual_lshrrev_b32 v65, s48, v65 :: v_dual_bitop2_b32 v64, v140, v64 bitop3:0x14
	v_and_b32_e32 v65, s58, v65
	s_delay_alu instid0(VALU_DEP_1)
	v_lshlrev_b32_e32 v65, 2, v65
	ds_load_b32 v65, v65
	s_wait_dscnt 0x0
	v_add_nc_u32_e32 v65, v65, v68
	global_store_b32 v65, v64, s[38:39] scale_offset
	s_wait_xcnt 0x0
	s_or_b32 exec_lo, exec_lo, s20
	v_cmp_lt_u32_e64 s19, v69, v139
	s_and_saveexec_b32 s21, s19
	s_cbranch_execz .LBB1348_196
.LBB1348_268:                           ;   in Loop: Header=BB1348_108 Depth=2
	ds_load_b32 v64, v92 offset:3584
	s_wait_dscnt 0x0
	v_cmp_ne_u32_e64 s20, 0x80000000, v64
	s_delay_alu instid0(VALU_DEP_1) | instskip(SKIP_1) | instid1(VALU_DEP_1)
	v_cndmask_b32_e64 v65, 0x7fffffff, v64, s20
	v_cmp_gt_i32_e64 s20, 0, v64
	v_cndmask_b32_e64 v140, 0x7fffffff, 0, s20
	s_delay_alu instid0(VALU_DEP_1) | instskip(NEXT) | instid1(VALU_DEP_1)
	v_dual_lshrrev_b32 v65, s48, v65 :: v_dual_bitop2_b32 v64, v140, v64 bitop3:0x14
	v_and_b32_e32 v65, s58, v65
	s_delay_alu instid0(VALU_DEP_1)
	v_lshlrev_b32_e32 v65, 2, v65
	ds_load_b32 v65, v65
	s_wait_dscnt 0x0
	v_add_nc_u32_e32 v65, v65, v69
	global_store_b32 v65, v64, s[38:39] scale_offset
	s_wait_xcnt 0x0
	s_or_b32 exec_lo, exec_lo, s21
	v_cmp_lt_u32_e64 s20, v70, v139
	s_and_saveexec_b32 s22, s20
	s_cbranch_execz .LBB1348_197
.LBB1348_269:                           ;   in Loop: Header=BB1348_108 Depth=2
	ds_load_b32 v64, v92 offset:4608
	s_wait_dscnt 0x0
	v_cmp_ne_u32_e64 s21, 0x80000000, v64
	s_delay_alu instid0(VALU_DEP_1) | instskip(SKIP_1) | instid1(VALU_DEP_1)
	v_cndmask_b32_e64 v65, 0x7fffffff, v64, s21
	v_cmp_gt_i32_e64 s21, 0, v64
	v_cndmask_b32_e64 v140, 0x7fffffff, 0, s21
	s_delay_alu instid0(VALU_DEP_1) | instskip(NEXT) | instid1(VALU_DEP_1)
	v_dual_lshrrev_b32 v65, s48, v65 :: v_dual_bitop2_b32 v64, v140, v64 bitop3:0x14
	v_and_b32_e32 v65, s58, v65
	s_delay_alu instid0(VALU_DEP_1)
	v_lshlrev_b32_e32 v65, 2, v65
	ds_load_b32 v65, v65
	s_wait_dscnt 0x0
	v_add_nc_u32_e32 v65, v65, v70
	global_store_b32 v65, v64, s[38:39] scale_offset
	s_wait_xcnt 0x0
	s_or_b32 exec_lo, exec_lo, s22
	v_cmp_lt_u32_e64 s21, v71, v139
	s_and_saveexec_b32 s23, s21
	s_cbranch_execz .LBB1348_198
.LBB1348_270:                           ;   in Loop: Header=BB1348_108 Depth=2
	ds_load_b32 v64, v92 offset:5632
	s_wait_dscnt 0x0
	v_cmp_ne_u32_e64 s22, 0x80000000, v64
	s_delay_alu instid0(VALU_DEP_1) | instskip(SKIP_1) | instid1(VALU_DEP_1)
	v_cndmask_b32_e64 v65, 0x7fffffff, v64, s22
	v_cmp_gt_i32_e64 s22, 0, v64
	v_cndmask_b32_e64 v140, 0x7fffffff, 0, s22
	s_delay_alu instid0(VALU_DEP_1) | instskip(NEXT) | instid1(VALU_DEP_1)
	v_dual_lshrrev_b32 v65, s48, v65 :: v_dual_bitop2_b32 v64, v140, v64 bitop3:0x14
	v_and_b32_e32 v65, s58, v65
	s_delay_alu instid0(VALU_DEP_1)
	v_lshlrev_b32_e32 v65, 2, v65
	ds_load_b32 v65, v65
	s_wait_dscnt 0x0
	v_add_nc_u32_e32 v65, v65, v71
	global_store_b32 v65, v64, s[38:39] scale_offset
	s_wait_xcnt 0x0
	s_or_b32 exec_lo, exec_lo, s23
	v_cmp_lt_u32_e64 s22, v72, v139
	s_and_saveexec_b32 s24, s22
	s_cbranch_execz .LBB1348_199
.LBB1348_271:                           ;   in Loop: Header=BB1348_108 Depth=2
	ds_load_b32 v64, v92 offset:6656
	s_wait_dscnt 0x0
	v_cmp_ne_u32_e64 s23, 0x80000000, v64
	s_delay_alu instid0(VALU_DEP_1) | instskip(SKIP_1) | instid1(VALU_DEP_1)
	v_cndmask_b32_e64 v65, 0x7fffffff, v64, s23
	v_cmp_gt_i32_e64 s23, 0, v64
	v_cndmask_b32_e64 v140, 0x7fffffff, 0, s23
	s_delay_alu instid0(VALU_DEP_1) | instskip(NEXT) | instid1(VALU_DEP_1)
	v_dual_lshrrev_b32 v65, s48, v65 :: v_dual_bitop2_b32 v64, v140, v64 bitop3:0x14
	v_and_b32_e32 v65, s58, v65
	s_delay_alu instid0(VALU_DEP_1)
	v_lshlrev_b32_e32 v65, 2, v65
	ds_load_b32 v65, v65
	s_wait_dscnt 0x0
	v_add_nc_u32_e32 v65, v65, v72
	global_store_b32 v65, v64, s[38:39] scale_offset
	s_wait_xcnt 0x0
	s_or_b32 exec_lo, exec_lo, s24
	v_cmp_lt_u32_e64 s23, v73, v139
	s_and_saveexec_b32 s25, s23
	s_cbranch_execz .LBB1348_200
.LBB1348_272:                           ;   in Loop: Header=BB1348_108 Depth=2
	ds_load_b32 v64, v92 offset:7680
	s_wait_dscnt 0x0
	v_cmp_ne_u32_e64 s24, 0x80000000, v64
	s_delay_alu instid0(VALU_DEP_1) | instskip(SKIP_1) | instid1(VALU_DEP_1)
	v_cndmask_b32_e64 v65, 0x7fffffff, v64, s24
	v_cmp_gt_i32_e64 s24, 0, v64
	v_cndmask_b32_e64 v140, 0x7fffffff, 0, s24
	s_delay_alu instid0(VALU_DEP_1) | instskip(NEXT) | instid1(VALU_DEP_1)
	v_dual_lshrrev_b32 v65, s48, v65 :: v_dual_bitop2_b32 v64, v140, v64 bitop3:0x14
	v_and_b32_e32 v65, s58, v65
	s_delay_alu instid0(VALU_DEP_1)
	v_lshlrev_b32_e32 v65, 2, v65
	ds_load_b32 v65, v65
	s_wait_dscnt 0x0
	v_add_nc_u32_e32 v65, v65, v73
	global_store_b32 v65, v64, s[38:39] scale_offset
	s_wait_xcnt 0x0
	s_or_b32 exec_lo, exec_lo, s25
	v_cmp_lt_u32_e64 s24, v74, v139
	s_and_saveexec_b32 s26, s24
	s_cbranch_execz .LBB1348_201
.LBB1348_273:                           ;   in Loop: Header=BB1348_108 Depth=2
	ds_load_b32 v64, v92 offset:8704
	s_wait_dscnt 0x0
	v_cmp_ne_u32_e64 s25, 0x80000000, v64
	s_delay_alu instid0(VALU_DEP_1) | instskip(SKIP_1) | instid1(VALU_DEP_1)
	v_cndmask_b32_e64 v65, 0x7fffffff, v64, s25
	v_cmp_gt_i32_e64 s25, 0, v64
	v_cndmask_b32_e64 v140, 0x7fffffff, 0, s25
	s_delay_alu instid0(VALU_DEP_1) | instskip(NEXT) | instid1(VALU_DEP_1)
	v_dual_lshrrev_b32 v65, s48, v65 :: v_dual_bitop2_b32 v64, v140, v64 bitop3:0x14
	v_and_b32_e32 v65, s58, v65
	s_delay_alu instid0(VALU_DEP_1)
	v_lshlrev_b32_e32 v65, 2, v65
	ds_load_b32 v65, v65
	s_wait_dscnt 0x0
	v_add_nc_u32_e32 v65, v65, v74
	global_store_b32 v65, v64, s[38:39] scale_offset
	s_wait_xcnt 0x0
	s_or_b32 exec_lo, exec_lo, s26
	v_cmp_lt_u32_e64 s25, v75, v139
	s_and_saveexec_b32 s27, s25
	s_cbranch_execz .LBB1348_202
.LBB1348_274:                           ;   in Loop: Header=BB1348_108 Depth=2
	ds_load_b32 v64, v92 offset:9728
	s_wait_dscnt 0x0
	v_cmp_ne_u32_e64 s26, 0x80000000, v64
	s_delay_alu instid0(VALU_DEP_1) | instskip(SKIP_1) | instid1(VALU_DEP_1)
	v_cndmask_b32_e64 v65, 0x7fffffff, v64, s26
	v_cmp_gt_i32_e64 s26, 0, v64
	v_cndmask_b32_e64 v140, 0x7fffffff, 0, s26
	s_delay_alu instid0(VALU_DEP_1) | instskip(NEXT) | instid1(VALU_DEP_1)
	v_dual_lshrrev_b32 v65, s48, v65 :: v_dual_bitop2_b32 v64, v140, v64 bitop3:0x14
	v_and_b32_e32 v65, s58, v65
	s_delay_alu instid0(VALU_DEP_1)
	v_lshlrev_b32_e32 v65, 2, v65
	ds_load_b32 v65, v65
	s_wait_dscnt 0x0
	v_add_nc_u32_e32 v65, v65, v75
	global_store_b32 v65, v64, s[38:39] scale_offset
	s_wait_xcnt 0x0
	s_or_b32 exec_lo, exec_lo, s27
	v_cmp_lt_u32_e64 s26, v76, v139
	s_and_saveexec_b32 s28, s26
	s_cbranch_execz .LBB1348_203
.LBB1348_275:                           ;   in Loop: Header=BB1348_108 Depth=2
	ds_load_b32 v64, v92 offset:10752
	s_wait_dscnt 0x0
	v_cmp_ne_u32_e64 s27, 0x80000000, v64
	s_delay_alu instid0(VALU_DEP_1) | instskip(SKIP_1) | instid1(VALU_DEP_1)
	v_cndmask_b32_e64 v65, 0x7fffffff, v64, s27
	v_cmp_gt_i32_e64 s27, 0, v64
	v_cndmask_b32_e64 v140, 0x7fffffff, 0, s27
	s_delay_alu instid0(VALU_DEP_1) | instskip(NEXT) | instid1(VALU_DEP_1)
	v_dual_lshrrev_b32 v65, s48, v65 :: v_dual_bitop2_b32 v64, v140, v64 bitop3:0x14
	v_and_b32_e32 v65, s58, v65
	s_delay_alu instid0(VALU_DEP_1)
	v_lshlrev_b32_e32 v65, 2, v65
	ds_load_b32 v65, v65
	s_wait_dscnt 0x0
	v_add_nc_u32_e32 v65, v65, v76
	global_store_b32 v65, v64, s[38:39] scale_offset
	s_wait_xcnt 0x0
	s_or_b32 exec_lo, exec_lo, s28
	v_cmp_lt_u32_e64 s27, v77, v139
	s_and_saveexec_b32 s29, s27
	s_cbranch_execz .LBB1348_204
.LBB1348_276:                           ;   in Loop: Header=BB1348_108 Depth=2
	ds_load_b32 v64, v92 offset:11776
	s_wait_dscnt 0x0
	v_cmp_ne_u32_e64 s28, 0x80000000, v64
	s_delay_alu instid0(VALU_DEP_1) | instskip(SKIP_1) | instid1(VALU_DEP_1)
	v_cndmask_b32_e64 v65, 0x7fffffff, v64, s28
	v_cmp_gt_i32_e64 s28, 0, v64
	v_cndmask_b32_e64 v140, 0x7fffffff, 0, s28
	s_delay_alu instid0(VALU_DEP_1) | instskip(NEXT) | instid1(VALU_DEP_1)
	v_dual_lshrrev_b32 v65, s48, v65 :: v_dual_bitop2_b32 v64, v140, v64 bitop3:0x14
	v_and_b32_e32 v65, s58, v65
	s_delay_alu instid0(VALU_DEP_1)
	v_lshlrev_b32_e32 v65, 2, v65
	ds_load_b32 v65, v65
	s_wait_dscnt 0x0
	v_add_nc_u32_e32 v65, v65, v77
	global_store_b32 v65, v64, s[38:39] scale_offset
	s_wait_xcnt 0x0
	s_or_b32 exec_lo, exec_lo, s29
	v_cmp_lt_u32_e64 s28, v78, v139
	s_and_saveexec_b32 s30, s28
	s_cbranch_execz .LBB1348_205
.LBB1348_277:                           ;   in Loop: Header=BB1348_108 Depth=2
	ds_load_b32 v64, v92 offset:12800
	s_wait_dscnt 0x0
	v_cmp_ne_u32_e64 s29, 0x80000000, v64
	s_delay_alu instid0(VALU_DEP_1) | instskip(SKIP_1) | instid1(VALU_DEP_1)
	v_cndmask_b32_e64 v65, 0x7fffffff, v64, s29
	v_cmp_gt_i32_e64 s29, 0, v64
	v_cndmask_b32_e64 v140, 0x7fffffff, 0, s29
	s_delay_alu instid0(VALU_DEP_1) | instskip(NEXT) | instid1(VALU_DEP_1)
	v_dual_lshrrev_b32 v65, s48, v65 :: v_dual_bitop2_b32 v64, v140, v64 bitop3:0x14
	v_and_b32_e32 v65, s58, v65
	s_delay_alu instid0(VALU_DEP_1)
	v_lshlrev_b32_e32 v65, 2, v65
	ds_load_b32 v65, v65
	s_wait_dscnt 0x0
	v_add_nc_u32_e32 v65, v65, v78
	global_store_b32 v65, v64, s[38:39] scale_offset
	s_wait_xcnt 0x0
	s_or_b32 exec_lo, exec_lo, s30
	v_cmp_lt_u32_e64 s29, v79, v139
	s_and_saveexec_b32 s31, s29
	s_cbranch_execz .LBB1348_206
.LBB1348_278:                           ;   in Loop: Header=BB1348_108 Depth=2
	ds_load_b32 v64, v92 offset:13824
	s_wait_dscnt 0x0
	v_cmp_ne_u32_e64 s30, 0x80000000, v64
	s_delay_alu instid0(VALU_DEP_1) | instskip(SKIP_1) | instid1(VALU_DEP_1)
	v_cndmask_b32_e64 v65, 0x7fffffff, v64, s30
	v_cmp_gt_i32_e64 s30, 0, v64
	v_cndmask_b32_e64 v140, 0x7fffffff, 0, s30
	s_delay_alu instid0(VALU_DEP_1) | instskip(NEXT) | instid1(VALU_DEP_1)
	v_dual_lshrrev_b32 v65, s48, v65 :: v_dual_bitop2_b32 v64, v140, v64 bitop3:0x14
	v_and_b32_e32 v65, s58, v65
	s_delay_alu instid0(VALU_DEP_1)
	v_lshlrev_b32_e32 v65, 2, v65
	ds_load_b32 v65, v65
	s_wait_dscnt 0x0
	v_add_nc_u32_e32 v65, v65, v79
	global_store_b32 v65, v64, s[38:39] scale_offset
	s_wait_xcnt 0x0
	s_or_b32 exec_lo, exec_lo, s31
	v_cmp_lt_u32_e64 s30, v80, v139
	s_and_saveexec_b32 s33, s30
	s_cbranch_execz .LBB1348_207
.LBB1348_279:                           ;   in Loop: Header=BB1348_108 Depth=2
	ds_load_b32 v64, v92 offset:14848
	s_wait_dscnt 0x0
	v_cmp_ne_u32_e64 s31, 0x80000000, v64
	s_delay_alu instid0(VALU_DEP_1) | instskip(SKIP_1) | instid1(VALU_DEP_1)
	v_cndmask_b32_e64 v65, 0x7fffffff, v64, s31
	v_cmp_gt_i32_e64 s31, 0, v64
	v_cndmask_b32_e64 v140, 0x7fffffff, 0, s31
	s_delay_alu instid0(VALU_DEP_1) | instskip(NEXT) | instid1(VALU_DEP_1)
	v_dual_lshrrev_b32 v65, s48, v65 :: v_dual_bitop2_b32 v64, v140, v64 bitop3:0x14
	v_and_b32_e32 v65, s58, v65
	s_delay_alu instid0(VALU_DEP_1)
	v_lshlrev_b32_e32 v65, 2, v65
	ds_load_b32 v65, v65
	s_wait_dscnt 0x0
	v_add_nc_u32_e32 v65, v65, v80
	global_store_b32 v65, v64, s[38:39] scale_offset
	s_wait_xcnt 0x0
	s_or_b32 exec_lo, exec_lo, s33
	v_cmp_lt_u32_e64 s31, v81, v139
	s_and_saveexec_b32 s34, s31
	s_cbranch_execz .LBB1348_208
.LBB1348_280:                           ;   in Loop: Header=BB1348_108 Depth=2
	ds_load_b32 v64, v92 offset:15872
	s_wait_dscnt 0x0
	v_cmp_ne_u32_e64 s33, 0x80000000, v64
	s_delay_alu instid0(VALU_DEP_1) | instskip(SKIP_1) | instid1(VALU_DEP_1)
	v_cndmask_b32_e64 v65, 0x7fffffff, v64, s33
	v_cmp_gt_i32_e64 s33, 0, v64
	v_cndmask_b32_e64 v140, 0x7fffffff, 0, s33
	s_delay_alu instid0(VALU_DEP_1) | instskip(NEXT) | instid1(VALU_DEP_1)
	v_dual_lshrrev_b32 v65, s48, v65 :: v_dual_bitop2_b32 v64, v140, v64 bitop3:0x14
	v_and_b32_e32 v65, s58, v65
	s_delay_alu instid0(VALU_DEP_1)
	v_lshlrev_b32_e32 v65, 2, v65
	ds_load_b32 v65, v65
	s_wait_dscnt 0x0
	v_add_nc_u32_e32 v65, v65, v81
	global_store_b32 v65, v64, s[38:39] scale_offset
	s_wait_xcnt 0x0
	s_or_b32 exec_lo, exec_lo, s34
	v_cmp_lt_u32_e64 s33, v82, v139
	s_and_saveexec_b32 s61, s33
	s_cbranch_execnz .LBB1348_209
	s_branch .LBB1348_210
.LBB1348_281:                           ;   in Loop: Header=BB1348_108 Depth=2
	global_load_b64 v[62:63], v[64:65], off
	s_wait_xcnt 0x0
	s_or_b32 exec_lo, exec_lo, s34
	s_delay_alu instid0(SALU_CYCLE_1)
	s_mov_b32 s42, exec_lo
	v_cmpx_lt_u32_e64 v104, v139
	s_cbranch_execz .LBB1348_212
.LBB1348_282:                           ;   in Loop: Header=BB1348_108 Depth=2
	global_load_b64 v[60:61], v[64:65], off offset:256
	s_wait_xcnt 0x0
	s_or_b32 exec_lo, exec_lo, s42
	s_delay_alu instid0(SALU_CYCLE_1)
	s_mov_b32 s42, exec_lo
	v_cmpx_lt_u32_e64 v105, v139
	s_cbranch_execz .LBB1348_213
.LBB1348_283:                           ;   in Loop: Header=BB1348_108 Depth=2
	global_load_b64 v[58:59], v[64:65], off offset:512
	s_wait_xcnt 0x0
	s_or_b32 exec_lo, exec_lo, s42
	s_delay_alu instid0(SALU_CYCLE_1)
	s_mov_b32 s42, exec_lo
	v_cmpx_lt_u32_e64 v106, v139
	s_cbranch_execz .LBB1348_214
.LBB1348_284:                           ;   in Loop: Header=BB1348_108 Depth=2
	global_load_b64 v[56:57], v[64:65], off offset:768
	s_wait_xcnt 0x0
	s_or_b32 exec_lo, exec_lo, s42
	s_delay_alu instid0(SALU_CYCLE_1)
	s_mov_b32 s42, exec_lo
	v_cmpx_lt_u32_e64 v107, v139
	s_cbranch_execz .LBB1348_215
.LBB1348_285:                           ;   in Loop: Header=BB1348_108 Depth=2
	global_load_b64 v[54:55], v[64:65], off offset:1024
	s_wait_xcnt 0x0
	s_or_b32 exec_lo, exec_lo, s42
	s_delay_alu instid0(SALU_CYCLE_1)
	s_mov_b32 s42, exec_lo
	v_cmpx_lt_u32_e64 v108, v139
	s_cbranch_execz .LBB1348_216
.LBB1348_286:                           ;   in Loop: Header=BB1348_108 Depth=2
	global_load_b64 v[52:53], v[64:65], off offset:1280
	s_wait_xcnt 0x0
	s_or_b32 exec_lo, exec_lo, s42
	s_delay_alu instid0(SALU_CYCLE_1)
	s_mov_b32 s42, exec_lo
	v_cmpx_lt_u32_e64 v109, v139
	s_cbranch_execz .LBB1348_217
.LBB1348_287:                           ;   in Loop: Header=BB1348_108 Depth=2
	global_load_b64 v[50:51], v[64:65], off offset:1536
	s_wait_xcnt 0x0
	s_or_b32 exec_lo, exec_lo, s42
	s_delay_alu instid0(SALU_CYCLE_1)
	s_mov_b32 s42, exec_lo
	v_cmpx_lt_u32_e64 v110, v139
	s_cbranch_execz .LBB1348_218
.LBB1348_288:                           ;   in Loop: Header=BB1348_108 Depth=2
	global_load_b64 v[48:49], v[64:65], off offset:1792
	s_wait_xcnt 0x0
	s_or_b32 exec_lo, exec_lo, s42
	s_delay_alu instid0(SALU_CYCLE_1)
	s_mov_b32 s42, exec_lo
	v_cmpx_lt_u32_e64 v111, v139
	s_cbranch_execz .LBB1348_219
.LBB1348_289:                           ;   in Loop: Header=BB1348_108 Depth=2
	global_load_b64 v[46:47], v[64:65], off offset:2048
	s_wait_xcnt 0x0
	s_or_b32 exec_lo, exec_lo, s42
	s_delay_alu instid0(SALU_CYCLE_1)
	s_mov_b32 s42, exec_lo
	v_cmpx_lt_u32_e64 v112, v139
	s_cbranch_execz .LBB1348_220
.LBB1348_290:                           ;   in Loop: Header=BB1348_108 Depth=2
	global_load_b64 v[44:45], v[64:65], off offset:2304
	s_wait_xcnt 0x0
	s_or_b32 exec_lo, exec_lo, s42
	s_delay_alu instid0(SALU_CYCLE_1)
	s_mov_b32 s42, exec_lo
	v_cmpx_lt_u32_e64 v113, v139
	s_cbranch_execz .LBB1348_221
.LBB1348_291:                           ;   in Loop: Header=BB1348_108 Depth=2
	global_load_b64 v[42:43], v[64:65], off offset:2560
	s_wait_xcnt 0x0
	s_or_b32 exec_lo, exec_lo, s42
	s_delay_alu instid0(SALU_CYCLE_1)
	s_mov_b32 s42, exec_lo
	v_cmpx_lt_u32_e64 v114, v139
	s_cbranch_execz .LBB1348_222
.LBB1348_292:                           ;   in Loop: Header=BB1348_108 Depth=2
	global_load_b64 v[40:41], v[64:65], off offset:2816
	s_wait_xcnt 0x0
	s_or_b32 exec_lo, exec_lo, s42
	s_delay_alu instid0(SALU_CYCLE_1)
	s_mov_b32 s42, exec_lo
	v_cmpx_lt_u32_e64 v115, v139
	s_cbranch_execz .LBB1348_223
.LBB1348_293:                           ;   in Loop: Header=BB1348_108 Depth=2
	global_load_b64 v[38:39], v[64:65], off offset:3072
	s_wait_xcnt 0x0
	s_or_b32 exec_lo, exec_lo, s42
	s_delay_alu instid0(SALU_CYCLE_1)
	s_mov_b32 s42, exec_lo
	v_cmpx_lt_u32_e64 v116, v139
	s_cbranch_execz .LBB1348_224
.LBB1348_294:                           ;   in Loop: Header=BB1348_108 Depth=2
	global_load_b64 v[36:37], v[64:65], off offset:3328
	s_wait_xcnt 0x0
	s_or_b32 exec_lo, exec_lo, s42
	s_delay_alu instid0(SALU_CYCLE_1)
	s_mov_b32 s42, exec_lo
	v_cmpx_lt_u32_e64 v117, v139
	s_cbranch_execz .LBB1348_225
.LBB1348_295:                           ;   in Loop: Header=BB1348_108 Depth=2
	global_load_b64 v[34:35], v[64:65], off offset:3584
	s_wait_xcnt 0x0
	s_or_b32 exec_lo, exec_lo, s42
	s_delay_alu instid0(SALU_CYCLE_1)
	s_mov_b32 s42, exec_lo
	v_cmpx_lt_u32_e64 v118, v139
	s_cbranch_execz .LBB1348_226
.LBB1348_296:                           ;   in Loop: Header=BB1348_108 Depth=2
	global_load_b64 v[32:33], v[64:65], off offset:3840
	s_wait_xcnt 0x0
	s_or_b32 exec_lo, exec_lo, s42
	s_delay_alu instid0(SALU_CYCLE_1)
	s_mov_b32 s42, exec_lo
	v_cmpx_lt_u32_e64 v5, v139
	s_cbranch_execz .LBB1348_227
.LBB1348_297:                           ;   in Loop: Header=BB1348_108 Depth=2
	global_load_b64 v[30:31], v[64:65], off offset:4096
	s_wait_xcnt 0x0
	s_or_b32 exec_lo, exec_lo, s42
	s_and_saveexec_b32 s42, vcc_lo
	s_cbranch_execz .LBB1348_228
.LBB1348_298:                           ;   in Loop: Header=BB1348_108 Depth=2
	ds_load_b32 v64, v92 offset:512
	s_wait_dscnt 0x0
	v_cmp_ne_u32_e64 s34, 0x80000000, v64
	s_delay_alu instid0(VALU_DEP_1) | instskip(NEXT) | instid1(VALU_DEP_1)
	v_cndmask_b32_e64 v64, 0x7fffffff, v64, s34
	v_lshrrev_b32_e32 v64, s48, v64
	s_delay_alu instid0(VALU_DEP_1)
	v_and_b32_e32 v137, s58, v64
	s_or_b32 exec_lo, exec_lo, s42
	s_and_saveexec_b32 s42, s17
	s_cbranch_execz .LBB1348_229
.LBB1348_299:                           ;   in Loop: Header=BB1348_108 Depth=2
	ds_load_b32 v64, v92 offset:1536
	s_wait_dscnt 0x0
	v_cmp_ne_u32_e64 s34, 0x80000000, v64
	s_delay_alu instid0(VALU_DEP_1) | instskip(NEXT) | instid1(VALU_DEP_1)
	v_cndmask_b32_e64 v64, 0x7fffffff, v64, s34
	v_lshrrev_b32_e32 v64, s48, v64
	s_delay_alu instid0(VALU_DEP_1)
	v_and_b32_e32 v136, s58, v64
	s_or_b32 exec_lo, exec_lo, s42
	s_and_saveexec_b32 s42, s18
	s_cbranch_execz .LBB1348_230
.LBB1348_300:                           ;   in Loop: Header=BB1348_108 Depth=2
	ds_load_b32 v64, v92 offset:2560
	s_wait_dscnt 0x0
	v_cmp_ne_u32_e64 s34, 0x80000000, v64
	s_delay_alu instid0(VALU_DEP_1) | instskip(NEXT) | instid1(VALU_DEP_1)
	v_cndmask_b32_e64 v64, 0x7fffffff, v64, s34
	v_lshrrev_b32_e32 v64, s48, v64
	s_delay_alu instid0(VALU_DEP_1)
	v_and_b32_e32 v135, s58, v64
	s_or_b32 exec_lo, exec_lo, s42
	s_and_saveexec_b32 s42, s19
	s_cbranch_execz .LBB1348_231
.LBB1348_301:                           ;   in Loop: Header=BB1348_108 Depth=2
	ds_load_b32 v64, v92 offset:3584
	s_wait_dscnt 0x0
	v_cmp_ne_u32_e64 s34, 0x80000000, v64
	s_delay_alu instid0(VALU_DEP_1) | instskip(NEXT) | instid1(VALU_DEP_1)
	v_cndmask_b32_e64 v64, 0x7fffffff, v64, s34
	v_lshrrev_b32_e32 v64, s48, v64
	s_delay_alu instid0(VALU_DEP_1)
	v_and_b32_e32 v134, s58, v64
	s_or_b32 exec_lo, exec_lo, s42
	s_and_saveexec_b32 s42, s20
	s_cbranch_execz .LBB1348_232
.LBB1348_302:                           ;   in Loop: Header=BB1348_108 Depth=2
	ds_load_b32 v64, v92 offset:4608
	s_wait_dscnt 0x0
	v_cmp_ne_u32_e64 s34, 0x80000000, v64
	s_delay_alu instid0(VALU_DEP_1) | instskip(NEXT) | instid1(VALU_DEP_1)
	v_cndmask_b32_e64 v64, 0x7fffffff, v64, s34
	v_lshrrev_b32_e32 v64, s48, v64
	s_delay_alu instid0(VALU_DEP_1)
	v_and_b32_e32 v132, s58, v64
	s_or_b32 exec_lo, exec_lo, s42
	s_and_saveexec_b32 s42, s21
	s_cbranch_execz .LBB1348_233
.LBB1348_303:                           ;   in Loop: Header=BB1348_108 Depth=2
	ds_load_b32 v64, v92 offset:5632
	s_wait_dscnt 0x0
	v_cmp_ne_u32_e64 s34, 0x80000000, v64
	s_delay_alu instid0(VALU_DEP_1) | instskip(NEXT) | instid1(VALU_DEP_1)
	v_cndmask_b32_e64 v64, 0x7fffffff, v64, s34
	v_lshrrev_b32_e32 v64, s48, v64
	s_delay_alu instid0(VALU_DEP_1)
	v_and_b32_e32 v131, s58, v64
	s_or_b32 exec_lo, exec_lo, s42
	s_and_saveexec_b32 s42, s22
	s_cbranch_execz .LBB1348_234
.LBB1348_304:                           ;   in Loop: Header=BB1348_108 Depth=2
	ds_load_b32 v64, v92 offset:6656
	s_wait_dscnt 0x0
	v_cmp_ne_u32_e64 s34, 0x80000000, v64
	s_delay_alu instid0(VALU_DEP_1) | instskip(NEXT) | instid1(VALU_DEP_1)
	v_cndmask_b32_e64 v64, 0x7fffffff, v64, s34
	v_lshrrev_b32_e32 v64, s48, v64
	s_delay_alu instid0(VALU_DEP_1)
	v_and_b32_e32 v130, s58, v64
	s_or_b32 exec_lo, exec_lo, s42
	s_and_saveexec_b32 s42, s23
	s_cbranch_execz .LBB1348_235
.LBB1348_305:                           ;   in Loop: Header=BB1348_108 Depth=2
	ds_load_b32 v64, v92 offset:7680
	s_wait_dscnt 0x0
	v_cmp_ne_u32_e64 s34, 0x80000000, v64
	s_delay_alu instid0(VALU_DEP_1) | instskip(NEXT) | instid1(VALU_DEP_1)
	v_cndmask_b32_e64 v64, 0x7fffffff, v64, s34
	v_lshrrev_b32_e32 v64, s48, v64
	s_delay_alu instid0(VALU_DEP_1)
	v_and_b32_e32 v129, s58, v64
	s_or_b32 exec_lo, exec_lo, s42
	s_and_saveexec_b32 s42, s24
	s_cbranch_execz .LBB1348_236
.LBB1348_306:                           ;   in Loop: Header=BB1348_108 Depth=2
	ds_load_b32 v64, v92 offset:8704
	s_wait_dscnt 0x0
	v_cmp_ne_u32_e64 s34, 0x80000000, v64
	s_delay_alu instid0(VALU_DEP_1) | instskip(NEXT) | instid1(VALU_DEP_1)
	v_cndmask_b32_e64 v64, 0x7fffffff, v64, s34
	v_lshrrev_b32_e32 v64, s48, v64
	s_delay_alu instid0(VALU_DEP_1)
	v_and_b32_e32 v128, s58, v64
	s_or_b32 exec_lo, exec_lo, s42
	s_and_saveexec_b32 s42, s25
	s_cbranch_execz .LBB1348_237
.LBB1348_307:                           ;   in Loop: Header=BB1348_108 Depth=2
	ds_load_b32 v64, v92 offset:9728
	s_wait_dscnt 0x0
	v_cmp_ne_u32_e64 s34, 0x80000000, v64
	s_delay_alu instid0(VALU_DEP_1) | instskip(NEXT) | instid1(VALU_DEP_1)
	v_cndmask_b32_e64 v64, 0x7fffffff, v64, s34
	v_lshrrev_b32_e32 v64, s48, v64
	s_delay_alu instid0(VALU_DEP_1)
	v_and_b32_e32 v127, s58, v64
	s_or_b32 exec_lo, exec_lo, s42
	s_and_saveexec_b32 s42, s26
	s_cbranch_execz .LBB1348_238
.LBB1348_308:                           ;   in Loop: Header=BB1348_108 Depth=2
	ds_load_b32 v64, v92 offset:10752
	s_wait_dscnt 0x0
	v_cmp_ne_u32_e64 s34, 0x80000000, v64
	s_delay_alu instid0(VALU_DEP_1) | instskip(NEXT) | instid1(VALU_DEP_1)
	v_cndmask_b32_e64 v64, 0x7fffffff, v64, s34
	v_lshrrev_b32_e32 v64, s48, v64
	s_delay_alu instid0(VALU_DEP_1)
	v_and_b32_e32 v126, s58, v64
	s_or_b32 exec_lo, exec_lo, s42
	s_and_saveexec_b32 s42, s27
	s_cbranch_execz .LBB1348_239
.LBB1348_309:                           ;   in Loop: Header=BB1348_108 Depth=2
	ds_load_b32 v64, v92 offset:11776
	s_wait_dscnt 0x0
	v_cmp_ne_u32_e64 s34, 0x80000000, v64
	s_delay_alu instid0(VALU_DEP_1) | instskip(NEXT) | instid1(VALU_DEP_1)
	v_cndmask_b32_e64 v64, 0x7fffffff, v64, s34
	v_lshrrev_b32_e32 v64, s48, v64
	s_delay_alu instid0(VALU_DEP_1)
	v_and_b32_e32 v125, s58, v64
	s_or_b32 exec_lo, exec_lo, s42
	s_and_saveexec_b32 s42, s28
	s_cbranch_execz .LBB1348_240
.LBB1348_310:                           ;   in Loop: Header=BB1348_108 Depth=2
	ds_load_b32 v64, v92 offset:12800
	s_wait_dscnt 0x0
	v_cmp_ne_u32_e64 s34, 0x80000000, v64
	s_delay_alu instid0(VALU_DEP_1) | instskip(NEXT) | instid1(VALU_DEP_1)
	v_cndmask_b32_e64 v64, 0x7fffffff, v64, s34
	v_lshrrev_b32_e32 v64, s48, v64
	s_delay_alu instid0(VALU_DEP_1)
	v_and_b32_e32 v124, s58, v64
	s_or_b32 exec_lo, exec_lo, s42
	s_and_saveexec_b32 s42, s29
	s_cbranch_execz .LBB1348_241
.LBB1348_311:                           ;   in Loop: Header=BB1348_108 Depth=2
	ds_load_b32 v64, v92 offset:13824
	s_wait_dscnt 0x0
	v_cmp_ne_u32_e64 s34, 0x80000000, v64
	s_delay_alu instid0(VALU_DEP_1) | instskip(NEXT) | instid1(VALU_DEP_1)
	v_cndmask_b32_e64 v64, 0x7fffffff, v64, s34
	v_lshrrev_b32_e32 v64, s48, v64
	s_delay_alu instid0(VALU_DEP_1)
	v_and_b32_e32 v123, s58, v64
	s_or_b32 exec_lo, exec_lo, s42
	s_and_saveexec_b32 s42, s30
	s_cbranch_execz .LBB1348_242
.LBB1348_312:                           ;   in Loop: Header=BB1348_108 Depth=2
	ds_load_b32 v64, v92 offset:14848
	s_wait_dscnt 0x0
	v_cmp_ne_u32_e64 s34, 0x80000000, v64
	s_delay_alu instid0(VALU_DEP_1) | instskip(NEXT) | instid1(VALU_DEP_1)
	v_cndmask_b32_e64 v64, 0x7fffffff, v64, s34
	v_lshrrev_b32_e32 v64, s48, v64
	s_delay_alu instid0(VALU_DEP_1)
	v_and_b32_e32 v122, s58, v64
	s_or_b32 exec_lo, exec_lo, s42
	s_and_saveexec_b32 s42, s31
	s_cbranch_execz .LBB1348_243
.LBB1348_313:                           ;   in Loop: Header=BB1348_108 Depth=2
	ds_load_b32 v64, v92 offset:15872
	s_wait_dscnt 0x0
	v_cmp_ne_u32_e64 s34, 0x80000000, v64
	s_delay_alu instid0(VALU_DEP_1) | instskip(NEXT) | instid1(VALU_DEP_1)
	v_cndmask_b32_e64 v64, 0x7fffffff, v64, s34
	v_lshrrev_b32_e32 v64, s48, v64
	s_delay_alu instid0(VALU_DEP_1)
	v_and_b32_e32 v121, s58, v64
	s_or_b32 exec_lo, exec_lo, s42
	s_and_saveexec_b32 s42, s33
	s_cbranch_execnz .LBB1348_244
	s_branch .LBB1348_245
.LBB1348_314:                           ;   in Loop: Header=BB1348_108 Depth=2
	v_dual_lshlrev_b32 v64, 2, v137 :: v_dual_add_nc_u32 v65, v92, v4
	ds_load_b32 v66, v64
	ds_load_b64 v[64:65], v65 offset:512
	s_wait_dscnt 0x1
	v_add_nc_u32_e32 v66, v66, v2
	s_wait_dscnt 0x0
	global_store_b64 v66, v[64:65], s[44:45] scale_offset
	s_wait_xcnt 0x0
	s_or_b32 exec_lo, exec_lo, s34
	s_and_saveexec_b32 s34, s17
	s_cbranch_execz .LBB1348_247
.LBB1348_315:                           ;   in Loop: Header=BB1348_108 Depth=2
	v_lshlrev_b32_e32 v64, 2, v136
	v_add_nc_u32_e32 v65, v92, v4
	ds_load_b32 v66, v64
	ds_load_b64 v[64:65], v65 offset:2560
	s_wait_dscnt 0x1
	v_add_nc_u32_e32 v66, v66, v3
	s_wait_dscnt 0x0
	global_store_b64 v66, v[64:65], s[44:45] scale_offset
	s_wait_xcnt 0x0
	s_or_b32 exec_lo, exec_lo, s34
	s_and_saveexec_b32 s17, s18
	s_cbranch_execz .LBB1348_248
.LBB1348_316:                           ;   in Loop: Header=BB1348_108 Depth=2
	v_dual_lshlrev_b32 v64, 2, v135 :: v_dual_add_nc_u32 v65, v92, v4
	ds_load_b32 v66, v64
	ds_load_b64 v[64:65], v65 offset:4608
	s_wait_dscnt 0x1
	v_add_nc_u32_e32 v66, v66, v68
	s_wait_dscnt 0x0
	global_store_b64 v66, v[64:65], s[44:45] scale_offset
	s_wait_xcnt 0x0
	s_or_b32 exec_lo, exec_lo, s17
	s_and_saveexec_b32 s17, s19
	s_cbranch_execz .LBB1348_249
.LBB1348_317:                           ;   in Loop: Header=BB1348_108 Depth=2
	v_dual_lshlrev_b32 v64, 2, v134 :: v_dual_add_nc_u32 v65, v92, v4
	ds_load_b32 v66, v64
	ds_load_b64 v[64:65], v65 offset:6656
	s_wait_dscnt 0x1
	v_add_nc_u32_e32 v66, v66, v69
	s_wait_dscnt 0x0
	global_store_b64 v66, v[64:65], s[44:45] scale_offset
	s_wait_xcnt 0x0
	s_or_b32 exec_lo, exec_lo, s17
	s_and_saveexec_b32 s17, s20
	s_cbranch_execz .LBB1348_250
.LBB1348_318:                           ;   in Loop: Header=BB1348_108 Depth=2
	v_lshlrev_b32_e32 v64, 2, v132
	v_add_nc_u32_e32 v65, v92, v4
	ds_load_b32 v66, v64
	ds_load_b64 v[64:65], v65 offset:8704
	s_wait_dscnt 0x1
	v_add_nc_u32_e32 v66, v66, v70
	s_wait_dscnt 0x0
	global_store_b64 v66, v[64:65], s[44:45] scale_offset
	s_wait_xcnt 0x0
	s_or_b32 exec_lo, exec_lo, s17
	s_and_saveexec_b32 s17, s21
	s_cbranch_execz .LBB1348_251
.LBB1348_319:                           ;   in Loop: Header=BB1348_108 Depth=2
	v_dual_lshlrev_b32 v64, 2, v131 :: v_dual_add_nc_u32 v65, v92, v4
	ds_load_b32 v66, v64
	ds_load_b64 v[64:65], v65 offset:10752
	s_wait_dscnt 0x1
	v_add_nc_u32_e32 v66, v66, v71
	s_wait_dscnt 0x0
	global_store_b64 v66, v[64:65], s[44:45] scale_offset
	s_wait_xcnt 0x0
	s_or_b32 exec_lo, exec_lo, s17
	s_and_saveexec_b32 s17, s22
	s_cbranch_execz .LBB1348_252
.LBB1348_320:                           ;   in Loop: Header=BB1348_108 Depth=2
	v_dual_lshlrev_b32 v64, 2, v130 :: v_dual_add_nc_u32 v65, v92, v4
	ds_load_b32 v66, v64
	ds_load_b64 v[64:65], v65 offset:12800
	s_wait_dscnt 0x1
	v_add_nc_u32_e32 v66, v66, v72
	s_wait_dscnt 0x0
	global_store_b64 v66, v[64:65], s[44:45] scale_offset
	s_wait_xcnt 0x0
	s_or_b32 exec_lo, exec_lo, s17
	s_and_saveexec_b32 s17, s23
	s_cbranch_execz .LBB1348_253
.LBB1348_321:                           ;   in Loop: Header=BB1348_108 Depth=2
	v_dual_lshlrev_b32 v64, 2, v129 :: v_dual_add_nc_u32 v65, v92, v4
	ds_load_b32 v66, v64
	ds_load_b64 v[64:65], v65 offset:14848
	s_wait_dscnt 0x1
	v_add_nc_u32_e32 v66, v66, v73
	s_wait_dscnt 0x0
	global_store_b64 v66, v[64:65], s[44:45] scale_offset
	s_wait_xcnt 0x0
	s_or_b32 exec_lo, exec_lo, s17
	s_and_saveexec_b32 s17, s24
	s_cbranch_execz .LBB1348_254
.LBB1348_322:                           ;   in Loop: Header=BB1348_108 Depth=2
	v_lshlrev_b32_e32 v64, 2, v128
	v_add_nc_u32_e32 v65, v92, v4
	ds_load_b32 v66, v64
	ds_load_b64 v[64:65], v65 offset:16896
	s_wait_dscnt 0x1
	v_add_nc_u32_e32 v66, v66, v74
	s_wait_dscnt 0x0
	global_store_b64 v66, v[64:65], s[44:45] scale_offset
	s_wait_xcnt 0x0
	s_or_b32 exec_lo, exec_lo, s17
	s_and_saveexec_b32 s17, s25
	s_cbranch_execz .LBB1348_255
.LBB1348_323:                           ;   in Loop: Header=BB1348_108 Depth=2
	v_dual_lshlrev_b32 v64, 2, v127 :: v_dual_add_nc_u32 v65, v92, v4
	ds_load_b32 v66, v64
	ds_load_b64 v[64:65], v65 offset:18944
	s_wait_dscnt 0x1
	v_add_nc_u32_e32 v66, v66, v75
	s_wait_dscnt 0x0
	global_store_b64 v66, v[64:65], s[44:45] scale_offset
	s_wait_xcnt 0x0
	s_or_b32 exec_lo, exec_lo, s17
	s_and_saveexec_b32 s17, s26
	s_cbranch_execz .LBB1348_256
.LBB1348_324:                           ;   in Loop: Header=BB1348_108 Depth=2
	v_dual_lshlrev_b32 v64, 2, v126 :: v_dual_add_nc_u32 v65, v92, v4
	ds_load_b32 v66, v64
	ds_load_b64 v[64:65], v65 offset:20992
	s_wait_dscnt 0x1
	v_add_nc_u32_e32 v66, v66, v76
	s_wait_dscnt 0x0
	global_store_b64 v66, v[64:65], s[44:45] scale_offset
	s_wait_xcnt 0x0
	s_or_b32 exec_lo, exec_lo, s17
	s_and_saveexec_b32 s17, s27
	s_cbranch_execz .LBB1348_257
.LBB1348_325:                           ;   in Loop: Header=BB1348_108 Depth=2
	v_dual_lshlrev_b32 v64, 2, v125 :: v_dual_add_nc_u32 v65, v92, v4
	ds_load_b32 v66, v64
	ds_load_b64 v[64:65], v65 offset:23040
	s_wait_dscnt 0x1
	v_add_nc_u32_e32 v66, v66, v77
	s_wait_dscnt 0x0
	global_store_b64 v66, v[64:65], s[44:45] scale_offset
	s_wait_xcnt 0x0
	s_or_b32 exec_lo, exec_lo, s17
	s_and_saveexec_b32 s17, s28
	s_cbranch_execz .LBB1348_258
.LBB1348_326:                           ;   in Loop: Header=BB1348_108 Depth=2
	v_lshlrev_b32_e32 v64, 2, v124
	v_add_nc_u32_e32 v65, v92, v4
	ds_load_b32 v66, v64
	ds_load_b64 v[64:65], v65 offset:25088
	s_wait_dscnt 0x1
	v_add_nc_u32_e32 v66, v66, v78
	s_wait_dscnt 0x0
	global_store_b64 v66, v[64:65], s[44:45] scale_offset
	s_wait_xcnt 0x0
	s_or_b32 exec_lo, exec_lo, s17
	s_and_saveexec_b32 s17, s29
	s_cbranch_execz .LBB1348_259
.LBB1348_327:                           ;   in Loop: Header=BB1348_108 Depth=2
	v_dual_lshlrev_b32 v64, 2, v123 :: v_dual_add_nc_u32 v65, v92, v4
	ds_load_b32 v66, v64
	ds_load_b64 v[64:65], v65 offset:27136
	s_wait_dscnt 0x1
	v_add_nc_u32_e32 v66, v66, v79
	s_wait_dscnt 0x0
	global_store_b64 v66, v[64:65], s[44:45] scale_offset
	s_wait_xcnt 0x0
	s_or_b32 exec_lo, exec_lo, s17
	s_and_saveexec_b32 s17, s30
	s_cbranch_execz .LBB1348_260
.LBB1348_328:                           ;   in Loop: Header=BB1348_108 Depth=2
	v_dual_lshlrev_b32 v64, 2, v122 :: v_dual_add_nc_u32 v65, v92, v4
	ds_load_b32 v66, v64
	ds_load_b64 v[64:65], v65 offset:29184
	s_wait_dscnt 0x1
	v_add_nc_u32_e32 v66, v66, v80
	s_wait_dscnt 0x0
	global_store_b64 v66, v[64:65], s[44:45] scale_offset
	s_wait_xcnt 0x0
	s_or_b32 exec_lo, exec_lo, s17
	s_and_saveexec_b32 s17, s31
	s_cbranch_execz .LBB1348_261
.LBB1348_329:                           ;   in Loop: Header=BB1348_108 Depth=2
	v_dual_lshlrev_b32 v64, 2, v121 :: v_dual_add_nc_u32 v65, v92, v4
	ds_load_b32 v66, v64
	ds_load_b64 v[64:65], v65 offset:31232
	s_wait_dscnt 0x1
	v_add_nc_u32_e32 v66, v66, v81
	s_wait_dscnt 0x0
	global_store_b64 v66, v[64:65], s[44:45] scale_offset
	s_wait_xcnt 0x0
	s_or_b32 exec_lo, exec_lo, s17
	s_and_saveexec_b32 s17, s33
	s_cbranch_execnz .LBB1348_262
	s_branch .LBB1348_263
.LBB1348_330:                           ;   in Loop: Header=BB1348_20 Depth=1
	s_wait_dscnt 0x0
	s_barrier_signal -1
	s_mov_b32 s9, 0
	s_barrier_wait -1
.LBB1348_331:                           ;   in Loop: Header=BB1348_20 Depth=1
	s_and_b32 vcc_lo, exec_lo, s9
	s_cbranch_vccz .LBB1348_641
; %bb.332:                              ;   in Loop: Header=BB1348_20 Depth=1
	s_mov_b32 s9, s57
	s_mov_b32 s42, s55
	s_barrier_signal -1
	s_barrier_wait -1
                                        ; implicit-def: $vgpr25
                                        ; implicit-def: $vgpr26
                                        ; implicit-def: $vgpr27
                                        ; implicit-def: $vgpr28
                                        ; implicit-def: $vgpr29
                                        ; implicit-def: $vgpr30
                                        ; implicit-def: $vgpr31
                                        ; implicit-def: $vgpr32
                                        ; implicit-def: $vgpr33
                                        ; implicit-def: $vgpr34
                                        ; implicit-def: $vgpr35
                                        ; implicit-def: $vgpr36
                                        ; implicit-def: $vgpr37
                                        ; implicit-def: $vgpr38
                                        ; implicit-def: $vgpr39
                                        ; implicit-def: $vgpr40
                                        ; implicit-def: $vgpr41
	s_branch .LBB1348_334
.LBB1348_333:                           ;   in Loop: Header=BB1348_334 Depth=2
	s_or_b32 exec_lo, exec_lo, s10
	s_addk_co_i32 s9, 0xef00
	s_cmp_ge_u32 s12, s54
	s_mov_b32 s42, s12
	s_cbranch_scc1 .LBB1348_406
.LBB1348_334:                           ;   Parent Loop BB1348_20 Depth=1
                                        ; =>  This Inner Loop Header: Depth=2
	s_add_co_i32 s12, s42, 0x1100
	s_mov_b32 s10, -1
	s_cmp_gt_u32 s12, s54
                                        ; implicit-def: $vgpr42
                                        ; implicit-def: $vgpr43
                                        ; implicit-def: $vgpr44
                                        ; implicit-def: $vgpr45
                                        ; implicit-def: $vgpr46
                                        ; implicit-def: $vgpr47
                                        ; implicit-def: $vgpr48
                                        ; implicit-def: $vgpr49
                                        ; implicit-def: $vgpr50
                                        ; implicit-def: $vgpr51
                                        ; implicit-def: $vgpr52
                                        ; implicit-def: $vgpr53
                                        ; implicit-def: $vgpr54
                                        ; implicit-def: $vgpr55
                                        ; implicit-def: $vgpr56
                                        ; implicit-def: $vgpr57
                                        ; implicit-def: $vgpr58
	s_cbranch_scc1 .LBB1348_336
; %bb.335:                              ;   in Loop: Header=BB1348_334 Depth=2
	v_lshl_add_u64 v[60:61], s[42:43], 2, v[20:21]
	s_mov_b32 s10, 0
	s_clause 0x10
	global_load_b32 v42, v[60:61], off
	global_load_b32 v43, v[60:61], off offset:1024
	global_load_b32 v44, v[60:61], off offset:2048
	;; [unrolled: 1-line block ×16, first 2 shown]
.LBB1348_336:                           ;   in Loop: Header=BB1348_334 Depth=2
	s_and_not1_b32 vcc_lo, exec_lo, s10
	s_movk_i32 s10, 0x1100
	s_cbranch_vccnz .LBB1348_356
; %bb.337:                              ;   in Loop: Header=BB1348_334 Depth=2
	s_lshl_b64 s[10:11], s[42:43], 2
	s_mov_b32 s13, exec_lo
	s_add_nc_u64 s[10:11], s[38:39], s[10:11]
	s_wait_xcnt 0x0
	v_cmpx_gt_u32_e64 s9, v2
	s_cbranch_execnz .LBB1348_390
; %bb.338:                              ;   in Loop: Header=BB1348_334 Depth=2
	s_or_b32 exec_lo, exec_lo, s13
	s_delay_alu instid0(SALU_CYCLE_1)
	s_mov_b32 s13, exec_lo
	v_cmpx_gt_u32_e64 s9, v3
	s_cbranch_execnz .LBB1348_391
.LBB1348_339:                           ;   in Loop: Header=BB1348_334 Depth=2
	s_or_b32 exec_lo, exec_lo, s13
	s_delay_alu instid0(SALU_CYCLE_1)
	s_mov_b32 s13, exec_lo
	v_cmpx_gt_u32_e64 s9, v68
	s_cbranch_execnz .LBB1348_392
.LBB1348_340:                           ;   in Loop: Header=BB1348_334 Depth=2
	s_or_b32 exec_lo, exec_lo, s13
	s_delay_alu instid0(SALU_CYCLE_1)
	s_mov_b32 s13, exec_lo
	v_cmpx_gt_u32_e64 s9, v69
	s_cbranch_execnz .LBB1348_393
.LBB1348_341:                           ;   in Loop: Header=BB1348_334 Depth=2
	s_or_b32 exec_lo, exec_lo, s13
	s_delay_alu instid0(SALU_CYCLE_1)
	s_mov_b32 s13, exec_lo
	v_cmpx_gt_u32_e64 s9, v70
	s_cbranch_execnz .LBB1348_394
.LBB1348_342:                           ;   in Loop: Header=BB1348_334 Depth=2
	s_or_b32 exec_lo, exec_lo, s13
	s_delay_alu instid0(SALU_CYCLE_1)
	s_mov_b32 s13, exec_lo
	v_cmpx_gt_u32_e64 s9, v71
	s_cbranch_execnz .LBB1348_395
.LBB1348_343:                           ;   in Loop: Header=BB1348_334 Depth=2
	s_or_b32 exec_lo, exec_lo, s13
	s_delay_alu instid0(SALU_CYCLE_1)
	s_mov_b32 s13, exec_lo
	v_cmpx_gt_u32_e64 s9, v72
	s_cbranch_execnz .LBB1348_396
.LBB1348_344:                           ;   in Loop: Header=BB1348_334 Depth=2
	s_or_b32 exec_lo, exec_lo, s13
	s_delay_alu instid0(SALU_CYCLE_1)
	s_mov_b32 s13, exec_lo
	v_cmpx_gt_u32_e64 s9, v73
	s_cbranch_execnz .LBB1348_397
.LBB1348_345:                           ;   in Loop: Header=BB1348_334 Depth=2
	s_or_b32 exec_lo, exec_lo, s13
	s_delay_alu instid0(SALU_CYCLE_1)
	s_mov_b32 s13, exec_lo
	v_cmpx_gt_u32_e64 s9, v74
	s_cbranch_execnz .LBB1348_398
.LBB1348_346:                           ;   in Loop: Header=BB1348_334 Depth=2
	s_or_b32 exec_lo, exec_lo, s13
	s_delay_alu instid0(SALU_CYCLE_1)
	s_mov_b32 s13, exec_lo
	v_cmpx_gt_u32_e64 s9, v75
	s_cbranch_execnz .LBB1348_399
.LBB1348_347:                           ;   in Loop: Header=BB1348_334 Depth=2
	s_or_b32 exec_lo, exec_lo, s13
	s_delay_alu instid0(SALU_CYCLE_1)
	s_mov_b32 s13, exec_lo
	v_cmpx_gt_u32_e64 s9, v76
	s_cbranch_execnz .LBB1348_400
.LBB1348_348:                           ;   in Loop: Header=BB1348_334 Depth=2
	s_or_b32 exec_lo, exec_lo, s13
	s_delay_alu instid0(SALU_CYCLE_1)
	s_mov_b32 s13, exec_lo
	v_cmpx_gt_u32_e64 s9, v77
	s_cbranch_execnz .LBB1348_401
.LBB1348_349:                           ;   in Loop: Header=BB1348_334 Depth=2
	s_or_b32 exec_lo, exec_lo, s13
	s_delay_alu instid0(SALU_CYCLE_1)
	s_mov_b32 s13, exec_lo
	v_cmpx_gt_u32_e64 s9, v78
	s_cbranch_execnz .LBB1348_402
.LBB1348_350:                           ;   in Loop: Header=BB1348_334 Depth=2
	s_or_b32 exec_lo, exec_lo, s13
	s_delay_alu instid0(SALU_CYCLE_1)
	s_mov_b32 s13, exec_lo
	v_cmpx_gt_u32_e64 s9, v79
	s_cbranch_execnz .LBB1348_403
.LBB1348_351:                           ;   in Loop: Header=BB1348_334 Depth=2
	s_or_b32 exec_lo, exec_lo, s13
	s_delay_alu instid0(SALU_CYCLE_1)
	s_mov_b32 s13, exec_lo
	v_cmpx_gt_u32_e64 s9, v80
	s_cbranch_execnz .LBB1348_404
.LBB1348_352:                           ;   in Loop: Header=BB1348_334 Depth=2
	s_or_b32 exec_lo, exec_lo, s13
	s_delay_alu instid0(SALU_CYCLE_1)
	s_mov_b32 s13, exec_lo
	v_cmpx_gt_u32_e64 s9, v81
	s_cbranch_execnz .LBB1348_405
.LBB1348_353:                           ;   in Loop: Header=BB1348_334 Depth=2
	s_or_b32 exec_lo, exec_lo, s13
	s_delay_alu instid0(SALU_CYCLE_1)
	s_mov_b32 s13, exec_lo
	v_cmpx_gt_u32_e64 s9, v82
	s_cbranch_execz .LBB1348_355
.LBB1348_354:                           ;   in Loop: Header=BB1348_334 Depth=2
	global_load_b32 v25, v2, s[10:11] offset:16384 scale_offset
.LBB1348_355:                           ;   in Loop: Header=BB1348_334 Depth=2
	s_wait_xcnt 0x0
	s_or_b32 exec_lo, exec_lo, s13
	s_wait_loadcnt 0x0
	v_dual_mov_b32 v42, v41 :: v_dual_mov_b32 v43, v40
	v_dual_mov_b32 v44, v39 :: v_dual_mov_b32 v45, v38
	;; [unrolled: 1-line block ×8, first 2 shown]
	v_mov_b32_e32 v58, v25
	s_mov_b32 s10, s9
.LBB1348_356:                           ;   in Loop: Header=BB1348_334 Depth=2
	s_wait_loadcnt 0x0
	s_delay_alu instid0(VALU_DEP_1)
	v_dual_mov_b32 v25, v58 :: v_dual_mov_b32 v26, v57
	v_dual_mov_b32 v27, v56 :: v_dual_mov_b32 v28, v55
	v_dual_mov_b32 v29, v54 :: v_dual_mov_b32 v30, v53
	v_dual_mov_b32 v31, v52 :: v_dual_mov_b32 v32, v51
	v_dual_mov_b32 v33, v50 :: v_dual_mov_b32 v34, v49
	v_dual_mov_b32 v35, v48 :: v_dual_mov_b32 v36, v47
	v_dual_mov_b32 v37, v46 :: v_dual_mov_b32 v38, v45
	v_dual_mov_b32 v39, v44 :: v_dual_mov_b32 v40, v43
	v_mov_b32_e32 v41, v42
	s_mov_b32 s11, exec_lo
	s_wait_xcnt 0x0
	v_cmpx_gt_u32_e64 s10, v2
	s_cbranch_execnz .LBB1348_373
; %bb.357:                              ;   in Loop: Header=BB1348_334 Depth=2
	s_or_b32 exec_lo, exec_lo, s11
	s_delay_alu instid0(SALU_CYCLE_1)
	s_mov_b32 s11, exec_lo
	v_cmpx_gt_u32_e64 s10, v3
	s_cbranch_execnz .LBB1348_374
.LBB1348_358:                           ;   in Loop: Header=BB1348_334 Depth=2
	s_or_b32 exec_lo, exec_lo, s11
	s_delay_alu instid0(SALU_CYCLE_1)
	s_mov_b32 s11, exec_lo
	v_cmpx_gt_u32_e64 s10, v68
	s_cbranch_execnz .LBB1348_375
.LBB1348_359:                           ;   in Loop: Header=BB1348_334 Depth=2
	s_or_b32 exec_lo, exec_lo, s11
	s_delay_alu instid0(SALU_CYCLE_1)
	s_mov_b32 s11, exec_lo
	v_cmpx_gt_u32_e64 s10, v69
	s_cbranch_execnz .LBB1348_376
.LBB1348_360:                           ;   in Loop: Header=BB1348_334 Depth=2
	s_or_b32 exec_lo, exec_lo, s11
	s_delay_alu instid0(SALU_CYCLE_1)
	s_mov_b32 s11, exec_lo
	v_cmpx_gt_u32_e64 s10, v70
	s_cbranch_execnz .LBB1348_377
.LBB1348_361:                           ;   in Loop: Header=BB1348_334 Depth=2
	s_or_b32 exec_lo, exec_lo, s11
	s_delay_alu instid0(SALU_CYCLE_1)
	s_mov_b32 s11, exec_lo
	v_cmpx_gt_u32_e64 s10, v71
	s_cbranch_execnz .LBB1348_378
.LBB1348_362:                           ;   in Loop: Header=BB1348_334 Depth=2
	s_or_b32 exec_lo, exec_lo, s11
	s_delay_alu instid0(SALU_CYCLE_1)
	s_mov_b32 s11, exec_lo
	v_cmpx_gt_u32_e64 s10, v72
	s_cbranch_execnz .LBB1348_379
.LBB1348_363:                           ;   in Loop: Header=BB1348_334 Depth=2
	s_or_b32 exec_lo, exec_lo, s11
	s_delay_alu instid0(SALU_CYCLE_1)
	s_mov_b32 s11, exec_lo
	v_cmpx_gt_u32_e64 s10, v73
	s_cbranch_execnz .LBB1348_380
.LBB1348_364:                           ;   in Loop: Header=BB1348_334 Depth=2
	s_or_b32 exec_lo, exec_lo, s11
	s_delay_alu instid0(SALU_CYCLE_1)
	s_mov_b32 s11, exec_lo
	v_cmpx_gt_u32_e64 s10, v74
	s_cbranch_execnz .LBB1348_381
.LBB1348_365:                           ;   in Loop: Header=BB1348_334 Depth=2
	s_or_b32 exec_lo, exec_lo, s11
	s_delay_alu instid0(SALU_CYCLE_1)
	s_mov_b32 s11, exec_lo
	v_cmpx_gt_u32_e64 s10, v75
	s_cbranch_execnz .LBB1348_382
.LBB1348_366:                           ;   in Loop: Header=BB1348_334 Depth=2
	s_or_b32 exec_lo, exec_lo, s11
	s_delay_alu instid0(SALU_CYCLE_1)
	s_mov_b32 s11, exec_lo
	v_cmpx_gt_u32_e64 s10, v76
	s_cbranch_execnz .LBB1348_383
.LBB1348_367:                           ;   in Loop: Header=BB1348_334 Depth=2
	s_or_b32 exec_lo, exec_lo, s11
	s_delay_alu instid0(SALU_CYCLE_1)
	s_mov_b32 s11, exec_lo
	v_cmpx_gt_u32_e64 s10, v77
	s_cbranch_execnz .LBB1348_384
.LBB1348_368:                           ;   in Loop: Header=BB1348_334 Depth=2
	s_or_b32 exec_lo, exec_lo, s11
	s_delay_alu instid0(SALU_CYCLE_1)
	s_mov_b32 s11, exec_lo
	v_cmpx_gt_u32_e64 s10, v78
	s_cbranch_execnz .LBB1348_385
.LBB1348_369:                           ;   in Loop: Header=BB1348_334 Depth=2
	s_or_b32 exec_lo, exec_lo, s11
	s_delay_alu instid0(SALU_CYCLE_1)
	s_mov_b32 s11, exec_lo
	v_cmpx_gt_u32_e64 s10, v79
	s_cbranch_execnz .LBB1348_386
.LBB1348_370:                           ;   in Loop: Header=BB1348_334 Depth=2
	s_or_b32 exec_lo, exec_lo, s11
	s_delay_alu instid0(SALU_CYCLE_1)
	s_mov_b32 s11, exec_lo
	v_cmpx_gt_u32_e64 s10, v80
	s_cbranch_execnz .LBB1348_387
.LBB1348_371:                           ;   in Loop: Header=BB1348_334 Depth=2
	s_or_b32 exec_lo, exec_lo, s11
	s_delay_alu instid0(SALU_CYCLE_1)
	s_mov_b32 s11, exec_lo
	v_cmpx_gt_u32_e64 s10, v81
	s_cbranch_execnz .LBB1348_388
.LBB1348_372:                           ;   in Loop: Header=BB1348_334 Depth=2
	s_or_b32 exec_lo, exec_lo, s11
	v_cmp_gt_u32_e32 vcc_lo, s10, v82
	s_and_saveexec_b32 s10, vcc_lo
	s_cbranch_execz .LBB1348_333
	s_branch .LBB1348_389
.LBB1348_373:                           ;   in Loop: Header=BB1348_334 Depth=2
	v_cmp_gt_i32_e32 vcc_lo, 0, v41
	v_cndmask_b32_e64 v42, 0x7fffffff, 0, vcc_lo
	s_delay_alu instid0(VALU_DEP_1) | instskip(NEXT) | instid1(VALU_DEP_1)
	v_xor_b32_e32 v42, v42, v41
	v_cmp_ne_u32_e32 vcc_lo, 0x80000000, v42
	v_cndmask_b32_e32 v42, 0x7fffffff, v42, vcc_lo
	s_delay_alu instid0(VALU_DEP_1) | instskip(NEXT) | instid1(VALU_DEP_1)
	v_lshrrev_b32_e32 v42, s48, v42
	v_and_b32_e32 v42, s58, v42
	s_delay_alu instid0(VALU_DEP_1) | instskip(SKIP_2) | instid1(SALU_CYCLE_1)
	v_lshl_or_b32 v42, v42, 4, v84
	ds_add_u32 v42, v96
	s_or_b32 exec_lo, exec_lo, s11
	s_mov_b32 s11, exec_lo
	v_cmpx_gt_u32_e64 s10, v3
	s_cbranch_execz .LBB1348_358
.LBB1348_374:                           ;   in Loop: Header=BB1348_334 Depth=2
	v_cmp_gt_i32_e32 vcc_lo, 0, v40
	v_cndmask_b32_e64 v42, 0x7fffffff, 0, vcc_lo
	s_delay_alu instid0(VALU_DEP_1) | instskip(NEXT) | instid1(VALU_DEP_1)
	v_xor_b32_e32 v42, v42, v40
	v_cmp_ne_u32_e32 vcc_lo, 0x80000000, v42
	v_cndmask_b32_e32 v42, 0x7fffffff, v42, vcc_lo
	s_delay_alu instid0(VALU_DEP_1) | instskip(NEXT) | instid1(VALU_DEP_1)
	v_lshrrev_b32_e32 v42, s48, v42
	v_and_b32_e32 v42, s58, v42
	s_delay_alu instid0(VALU_DEP_1) | instskip(SKIP_2) | instid1(SALU_CYCLE_1)
	v_lshl_or_b32 v42, v42, 4, v84
	ds_add_u32 v42, v96
	s_or_b32 exec_lo, exec_lo, s11
	s_mov_b32 s11, exec_lo
	v_cmpx_gt_u32_e64 s10, v68
	s_cbranch_execz .LBB1348_359
.LBB1348_375:                           ;   in Loop: Header=BB1348_334 Depth=2
	v_cmp_gt_i32_e32 vcc_lo, 0, v39
	v_cndmask_b32_e64 v42, 0x7fffffff, 0, vcc_lo
	s_delay_alu instid0(VALU_DEP_1) | instskip(NEXT) | instid1(VALU_DEP_1)
	v_xor_b32_e32 v42, v42, v39
	v_cmp_ne_u32_e32 vcc_lo, 0x80000000, v42
	v_cndmask_b32_e32 v42, 0x7fffffff, v42, vcc_lo
	s_delay_alu instid0(VALU_DEP_1) | instskip(NEXT) | instid1(VALU_DEP_1)
	v_lshrrev_b32_e32 v42, s48, v42
	v_and_b32_e32 v42, s58, v42
	s_delay_alu instid0(VALU_DEP_1) | instskip(SKIP_2) | instid1(SALU_CYCLE_1)
	v_lshl_or_b32 v42, v42, 4, v84
	ds_add_u32 v42, v96
	s_or_b32 exec_lo, exec_lo, s11
	s_mov_b32 s11, exec_lo
	v_cmpx_gt_u32_e64 s10, v69
	s_cbranch_execz .LBB1348_360
.LBB1348_376:                           ;   in Loop: Header=BB1348_334 Depth=2
	v_cmp_gt_i32_e32 vcc_lo, 0, v38
	v_cndmask_b32_e64 v42, 0x7fffffff, 0, vcc_lo
	s_delay_alu instid0(VALU_DEP_1) | instskip(NEXT) | instid1(VALU_DEP_1)
	v_xor_b32_e32 v42, v42, v38
	v_cmp_ne_u32_e32 vcc_lo, 0x80000000, v42
	v_cndmask_b32_e32 v42, 0x7fffffff, v42, vcc_lo
	s_delay_alu instid0(VALU_DEP_1) | instskip(NEXT) | instid1(VALU_DEP_1)
	v_lshrrev_b32_e32 v42, s48, v42
	v_and_b32_e32 v42, s58, v42
	s_delay_alu instid0(VALU_DEP_1) | instskip(SKIP_2) | instid1(SALU_CYCLE_1)
	v_lshl_or_b32 v42, v42, 4, v84
	ds_add_u32 v42, v96
	s_or_b32 exec_lo, exec_lo, s11
	s_mov_b32 s11, exec_lo
	v_cmpx_gt_u32_e64 s10, v70
	s_cbranch_execz .LBB1348_361
.LBB1348_377:                           ;   in Loop: Header=BB1348_334 Depth=2
	v_cmp_gt_i32_e32 vcc_lo, 0, v37
	v_cndmask_b32_e64 v42, 0x7fffffff, 0, vcc_lo
	s_delay_alu instid0(VALU_DEP_1) | instskip(NEXT) | instid1(VALU_DEP_1)
	v_xor_b32_e32 v42, v42, v37
	v_cmp_ne_u32_e32 vcc_lo, 0x80000000, v42
	v_cndmask_b32_e32 v42, 0x7fffffff, v42, vcc_lo
	s_delay_alu instid0(VALU_DEP_1) | instskip(NEXT) | instid1(VALU_DEP_1)
	v_lshrrev_b32_e32 v42, s48, v42
	v_and_b32_e32 v42, s58, v42
	s_delay_alu instid0(VALU_DEP_1) | instskip(SKIP_2) | instid1(SALU_CYCLE_1)
	v_lshl_or_b32 v42, v42, 4, v84
	ds_add_u32 v42, v96
	s_or_b32 exec_lo, exec_lo, s11
	s_mov_b32 s11, exec_lo
	v_cmpx_gt_u32_e64 s10, v71
	s_cbranch_execz .LBB1348_362
.LBB1348_378:                           ;   in Loop: Header=BB1348_334 Depth=2
	v_cmp_gt_i32_e32 vcc_lo, 0, v36
	v_cndmask_b32_e64 v42, 0x7fffffff, 0, vcc_lo
	s_delay_alu instid0(VALU_DEP_1) | instskip(NEXT) | instid1(VALU_DEP_1)
	v_xor_b32_e32 v42, v42, v36
	v_cmp_ne_u32_e32 vcc_lo, 0x80000000, v42
	v_cndmask_b32_e32 v42, 0x7fffffff, v42, vcc_lo
	s_delay_alu instid0(VALU_DEP_1) | instskip(NEXT) | instid1(VALU_DEP_1)
	v_lshrrev_b32_e32 v42, s48, v42
	v_and_b32_e32 v42, s58, v42
	s_delay_alu instid0(VALU_DEP_1) | instskip(SKIP_2) | instid1(SALU_CYCLE_1)
	v_lshl_or_b32 v42, v42, 4, v84
	ds_add_u32 v42, v96
	s_or_b32 exec_lo, exec_lo, s11
	s_mov_b32 s11, exec_lo
	v_cmpx_gt_u32_e64 s10, v72
	s_cbranch_execz .LBB1348_363
.LBB1348_379:                           ;   in Loop: Header=BB1348_334 Depth=2
	v_cmp_gt_i32_e32 vcc_lo, 0, v35
	v_cndmask_b32_e64 v42, 0x7fffffff, 0, vcc_lo
	s_delay_alu instid0(VALU_DEP_1) | instskip(NEXT) | instid1(VALU_DEP_1)
	v_xor_b32_e32 v42, v42, v35
	v_cmp_ne_u32_e32 vcc_lo, 0x80000000, v42
	v_cndmask_b32_e32 v42, 0x7fffffff, v42, vcc_lo
	s_delay_alu instid0(VALU_DEP_1) | instskip(NEXT) | instid1(VALU_DEP_1)
	v_lshrrev_b32_e32 v42, s48, v42
	v_and_b32_e32 v42, s58, v42
	s_delay_alu instid0(VALU_DEP_1) | instskip(SKIP_2) | instid1(SALU_CYCLE_1)
	v_lshl_or_b32 v42, v42, 4, v84
	ds_add_u32 v42, v96
	s_or_b32 exec_lo, exec_lo, s11
	s_mov_b32 s11, exec_lo
	v_cmpx_gt_u32_e64 s10, v73
	s_cbranch_execz .LBB1348_364
.LBB1348_380:                           ;   in Loop: Header=BB1348_334 Depth=2
	v_cmp_gt_i32_e32 vcc_lo, 0, v34
	v_cndmask_b32_e64 v42, 0x7fffffff, 0, vcc_lo
	s_delay_alu instid0(VALU_DEP_1) | instskip(NEXT) | instid1(VALU_DEP_1)
	v_xor_b32_e32 v42, v42, v34
	v_cmp_ne_u32_e32 vcc_lo, 0x80000000, v42
	v_cndmask_b32_e32 v42, 0x7fffffff, v42, vcc_lo
	s_delay_alu instid0(VALU_DEP_1) | instskip(NEXT) | instid1(VALU_DEP_1)
	v_lshrrev_b32_e32 v42, s48, v42
	v_and_b32_e32 v42, s58, v42
	s_delay_alu instid0(VALU_DEP_1) | instskip(SKIP_2) | instid1(SALU_CYCLE_1)
	v_lshl_or_b32 v42, v42, 4, v84
	ds_add_u32 v42, v96
	s_or_b32 exec_lo, exec_lo, s11
	s_mov_b32 s11, exec_lo
	v_cmpx_gt_u32_e64 s10, v74
	s_cbranch_execz .LBB1348_365
.LBB1348_381:                           ;   in Loop: Header=BB1348_334 Depth=2
	v_cmp_gt_i32_e32 vcc_lo, 0, v33
	v_cndmask_b32_e64 v42, 0x7fffffff, 0, vcc_lo
	s_delay_alu instid0(VALU_DEP_1) | instskip(NEXT) | instid1(VALU_DEP_1)
	v_xor_b32_e32 v42, v42, v33
	v_cmp_ne_u32_e32 vcc_lo, 0x80000000, v42
	v_cndmask_b32_e32 v42, 0x7fffffff, v42, vcc_lo
	s_delay_alu instid0(VALU_DEP_1) | instskip(NEXT) | instid1(VALU_DEP_1)
	v_lshrrev_b32_e32 v42, s48, v42
	v_and_b32_e32 v42, s58, v42
	s_delay_alu instid0(VALU_DEP_1) | instskip(SKIP_2) | instid1(SALU_CYCLE_1)
	v_lshl_or_b32 v42, v42, 4, v84
	ds_add_u32 v42, v96
	s_or_b32 exec_lo, exec_lo, s11
	s_mov_b32 s11, exec_lo
	v_cmpx_gt_u32_e64 s10, v75
	s_cbranch_execz .LBB1348_366
.LBB1348_382:                           ;   in Loop: Header=BB1348_334 Depth=2
	v_cmp_gt_i32_e32 vcc_lo, 0, v32
	v_cndmask_b32_e64 v42, 0x7fffffff, 0, vcc_lo
	s_delay_alu instid0(VALU_DEP_1) | instskip(NEXT) | instid1(VALU_DEP_1)
	v_xor_b32_e32 v42, v42, v32
	v_cmp_ne_u32_e32 vcc_lo, 0x80000000, v42
	v_cndmask_b32_e32 v42, 0x7fffffff, v42, vcc_lo
	s_delay_alu instid0(VALU_DEP_1) | instskip(NEXT) | instid1(VALU_DEP_1)
	v_lshrrev_b32_e32 v42, s48, v42
	v_and_b32_e32 v42, s58, v42
	s_delay_alu instid0(VALU_DEP_1) | instskip(SKIP_2) | instid1(SALU_CYCLE_1)
	v_lshl_or_b32 v42, v42, 4, v84
	ds_add_u32 v42, v96
	s_or_b32 exec_lo, exec_lo, s11
	s_mov_b32 s11, exec_lo
	v_cmpx_gt_u32_e64 s10, v76
	s_cbranch_execz .LBB1348_367
.LBB1348_383:                           ;   in Loop: Header=BB1348_334 Depth=2
	v_cmp_gt_i32_e32 vcc_lo, 0, v31
	v_cndmask_b32_e64 v42, 0x7fffffff, 0, vcc_lo
	s_delay_alu instid0(VALU_DEP_1) | instskip(NEXT) | instid1(VALU_DEP_1)
	v_xor_b32_e32 v42, v42, v31
	v_cmp_ne_u32_e32 vcc_lo, 0x80000000, v42
	v_cndmask_b32_e32 v42, 0x7fffffff, v42, vcc_lo
	s_delay_alu instid0(VALU_DEP_1) | instskip(NEXT) | instid1(VALU_DEP_1)
	v_lshrrev_b32_e32 v42, s48, v42
	v_and_b32_e32 v42, s58, v42
	s_delay_alu instid0(VALU_DEP_1) | instskip(SKIP_2) | instid1(SALU_CYCLE_1)
	v_lshl_or_b32 v42, v42, 4, v84
	ds_add_u32 v42, v96
	s_or_b32 exec_lo, exec_lo, s11
	s_mov_b32 s11, exec_lo
	v_cmpx_gt_u32_e64 s10, v77
	s_cbranch_execz .LBB1348_368
.LBB1348_384:                           ;   in Loop: Header=BB1348_334 Depth=2
	v_cmp_gt_i32_e32 vcc_lo, 0, v30
	v_cndmask_b32_e64 v42, 0x7fffffff, 0, vcc_lo
	s_delay_alu instid0(VALU_DEP_1) | instskip(NEXT) | instid1(VALU_DEP_1)
	v_xor_b32_e32 v42, v42, v30
	v_cmp_ne_u32_e32 vcc_lo, 0x80000000, v42
	v_cndmask_b32_e32 v42, 0x7fffffff, v42, vcc_lo
	s_delay_alu instid0(VALU_DEP_1) | instskip(NEXT) | instid1(VALU_DEP_1)
	v_lshrrev_b32_e32 v42, s48, v42
	v_and_b32_e32 v42, s58, v42
	s_delay_alu instid0(VALU_DEP_1) | instskip(SKIP_2) | instid1(SALU_CYCLE_1)
	v_lshl_or_b32 v42, v42, 4, v84
	ds_add_u32 v42, v96
	s_or_b32 exec_lo, exec_lo, s11
	s_mov_b32 s11, exec_lo
	v_cmpx_gt_u32_e64 s10, v78
	s_cbranch_execz .LBB1348_369
.LBB1348_385:                           ;   in Loop: Header=BB1348_334 Depth=2
	v_cmp_gt_i32_e32 vcc_lo, 0, v29
	v_cndmask_b32_e64 v42, 0x7fffffff, 0, vcc_lo
	s_delay_alu instid0(VALU_DEP_1) | instskip(NEXT) | instid1(VALU_DEP_1)
	v_xor_b32_e32 v42, v42, v29
	v_cmp_ne_u32_e32 vcc_lo, 0x80000000, v42
	v_cndmask_b32_e32 v42, 0x7fffffff, v42, vcc_lo
	s_delay_alu instid0(VALU_DEP_1) | instskip(NEXT) | instid1(VALU_DEP_1)
	v_lshrrev_b32_e32 v42, s48, v42
	v_and_b32_e32 v42, s58, v42
	s_delay_alu instid0(VALU_DEP_1) | instskip(SKIP_2) | instid1(SALU_CYCLE_1)
	v_lshl_or_b32 v42, v42, 4, v84
	ds_add_u32 v42, v96
	s_or_b32 exec_lo, exec_lo, s11
	s_mov_b32 s11, exec_lo
	v_cmpx_gt_u32_e64 s10, v79
	s_cbranch_execz .LBB1348_370
.LBB1348_386:                           ;   in Loop: Header=BB1348_334 Depth=2
	v_cmp_gt_i32_e32 vcc_lo, 0, v28
	v_cndmask_b32_e64 v42, 0x7fffffff, 0, vcc_lo
	s_delay_alu instid0(VALU_DEP_1) | instskip(NEXT) | instid1(VALU_DEP_1)
	v_xor_b32_e32 v42, v42, v28
	v_cmp_ne_u32_e32 vcc_lo, 0x80000000, v42
	v_cndmask_b32_e32 v42, 0x7fffffff, v42, vcc_lo
	s_delay_alu instid0(VALU_DEP_1) | instskip(NEXT) | instid1(VALU_DEP_1)
	v_lshrrev_b32_e32 v42, s48, v42
	v_and_b32_e32 v42, s58, v42
	s_delay_alu instid0(VALU_DEP_1) | instskip(SKIP_2) | instid1(SALU_CYCLE_1)
	v_lshl_or_b32 v42, v42, 4, v84
	ds_add_u32 v42, v96
	s_or_b32 exec_lo, exec_lo, s11
	s_mov_b32 s11, exec_lo
	v_cmpx_gt_u32_e64 s10, v80
	s_cbranch_execz .LBB1348_371
.LBB1348_387:                           ;   in Loop: Header=BB1348_334 Depth=2
	v_cmp_gt_i32_e32 vcc_lo, 0, v27
	v_cndmask_b32_e64 v42, 0x7fffffff, 0, vcc_lo
	s_delay_alu instid0(VALU_DEP_1) | instskip(NEXT) | instid1(VALU_DEP_1)
	v_xor_b32_e32 v42, v42, v27
	v_cmp_ne_u32_e32 vcc_lo, 0x80000000, v42
	v_cndmask_b32_e32 v42, 0x7fffffff, v42, vcc_lo
	s_delay_alu instid0(VALU_DEP_1) | instskip(NEXT) | instid1(VALU_DEP_1)
	v_lshrrev_b32_e32 v42, s48, v42
	v_and_b32_e32 v42, s58, v42
	s_delay_alu instid0(VALU_DEP_1) | instskip(SKIP_2) | instid1(SALU_CYCLE_1)
	v_lshl_or_b32 v42, v42, 4, v84
	ds_add_u32 v42, v96
	s_or_b32 exec_lo, exec_lo, s11
	s_mov_b32 s11, exec_lo
	v_cmpx_gt_u32_e64 s10, v81
	s_cbranch_execz .LBB1348_372
.LBB1348_388:                           ;   in Loop: Header=BB1348_334 Depth=2
	v_cmp_gt_i32_e32 vcc_lo, 0, v26
	v_cndmask_b32_e64 v42, 0x7fffffff, 0, vcc_lo
	s_delay_alu instid0(VALU_DEP_1) | instskip(NEXT) | instid1(VALU_DEP_1)
	v_xor_b32_e32 v42, v42, v26
	v_cmp_ne_u32_e32 vcc_lo, 0x80000000, v42
	v_cndmask_b32_e32 v42, 0x7fffffff, v42, vcc_lo
	s_delay_alu instid0(VALU_DEP_1) | instskip(NEXT) | instid1(VALU_DEP_1)
	v_lshrrev_b32_e32 v42, s48, v42
	v_and_b32_e32 v42, s58, v42
	s_delay_alu instid0(VALU_DEP_1)
	v_lshl_or_b32 v42, v42, 4, v84
	ds_add_u32 v42, v96
	s_or_b32 exec_lo, exec_lo, s11
	v_cmp_gt_u32_e32 vcc_lo, s10, v82
	s_and_saveexec_b32 s10, vcc_lo
	s_cbranch_execz .LBB1348_333
.LBB1348_389:                           ;   in Loop: Header=BB1348_334 Depth=2
	v_cmp_gt_i32_e32 vcc_lo, 0, v25
	v_cndmask_b32_e64 v42, 0x7fffffff, 0, vcc_lo
	s_delay_alu instid0(VALU_DEP_1) | instskip(NEXT) | instid1(VALU_DEP_1)
	v_xor_b32_e32 v42, v42, v25
	v_cmp_ne_u32_e32 vcc_lo, 0x80000000, v42
	v_cndmask_b32_e32 v42, 0x7fffffff, v42, vcc_lo
	s_delay_alu instid0(VALU_DEP_1) | instskip(NEXT) | instid1(VALU_DEP_1)
	v_lshrrev_b32_e32 v42, s48, v42
	v_and_b32_e32 v42, s58, v42
	s_delay_alu instid0(VALU_DEP_1)
	v_lshl_or_b32 v42, v42, 4, v84
	ds_add_u32 v42, v96
	s_branch .LBB1348_333
.LBB1348_390:                           ;   in Loop: Header=BB1348_334 Depth=2
	global_load_b32 v41, v2, s[10:11] scale_offset
	s_wait_xcnt 0x0
	s_or_b32 exec_lo, exec_lo, s13
	s_delay_alu instid0(SALU_CYCLE_1)
	s_mov_b32 s13, exec_lo
	v_cmpx_gt_u32_e64 s9, v3
	s_cbranch_execz .LBB1348_339
.LBB1348_391:                           ;   in Loop: Header=BB1348_334 Depth=2
	global_load_b32 v40, v2, s[10:11] offset:1024 scale_offset
	s_wait_xcnt 0x0
	s_or_b32 exec_lo, exec_lo, s13
	s_delay_alu instid0(SALU_CYCLE_1)
	s_mov_b32 s13, exec_lo
	v_cmpx_gt_u32_e64 s9, v68
	s_cbranch_execz .LBB1348_340
.LBB1348_392:                           ;   in Loop: Header=BB1348_334 Depth=2
	global_load_b32 v39, v2, s[10:11] offset:2048 scale_offset
	s_wait_xcnt 0x0
	s_or_b32 exec_lo, exec_lo, s13
	s_delay_alu instid0(SALU_CYCLE_1)
	s_mov_b32 s13, exec_lo
	v_cmpx_gt_u32_e64 s9, v69
	s_cbranch_execz .LBB1348_341
.LBB1348_393:                           ;   in Loop: Header=BB1348_334 Depth=2
	global_load_b32 v38, v2, s[10:11] offset:3072 scale_offset
	s_wait_xcnt 0x0
	s_or_b32 exec_lo, exec_lo, s13
	s_delay_alu instid0(SALU_CYCLE_1)
	s_mov_b32 s13, exec_lo
	v_cmpx_gt_u32_e64 s9, v70
	s_cbranch_execz .LBB1348_342
.LBB1348_394:                           ;   in Loop: Header=BB1348_334 Depth=2
	global_load_b32 v37, v2, s[10:11] offset:4096 scale_offset
	s_wait_xcnt 0x0
	s_or_b32 exec_lo, exec_lo, s13
	s_delay_alu instid0(SALU_CYCLE_1)
	s_mov_b32 s13, exec_lo
	v_cmpx_gt_u32_e64 s9, v71
	s_cbranch_execz .LBB1348_343
.LBB1348_395:                           ;   in Loop: Header=BB1348_334 Depth=2
	global_load_b32 v36, v2, s[10:11] offset:5120 scale_offset
	s_wait_xcnt 0x0
	s_or_b32 exec_lo, exec_lo, s13
	s_delay_alu instid0(SALU_CYCLE_1)
	s_mov_b32 s13, exec_lo
	v_cmpx_gt_u32_e64 s9, v72
	s_cbranch_execz .LBB1348_344
.LBB1348_396:                           ;   in Loop: Header=BB1348_334 Depth=2
	global_load_b32 v35, v2, s[10:11] offset:6144 scale_offset
	s_wait_xcnt 0x0
	s_or_b32 exec_lo, exec_lo, s13
	s_delay_alu instid0(SALU_CYCLE_1)
	s_mov_b32 s13, exec_lo
	v_cmpx_gt_u32_e64 s9, v73
	s_cbranch_execz .LBB1348_345
.LBB1348_397:                           ;   in Loop: Header=BB1348_334 Depth=2
	global_load_b32 v34, v2, s[10:11] offset:7168 scale_offset
	s_wait_xcnt 0x0
	s_or_b32 exec_lo, exec_lo, s13
	s_delay_alu instid0(SALU_CYCLE_1)
	s_mov_b32 s13, exec_lo
	v_cmpx_gt_u32_e64 s9, v74
	s_cbranch_execz .LBB1348_346
.LBB1348_398:                           ;   in Loop: Header=BB1348_334 Depth=2
	global_load_b32 v33, v2, s[10:11] offset:8192 scale_offset
	s_wait_xcnt 0x0
	s_or_b32 exec_lo, exec_lo, s13
	s_delay_alu instid0(SALU_CYCLE_1)
	s_mov_b32 s13, exec_lo
	v_cmpx_gt_u32_e64 s9, v75
	s_cbranch_execz .LBB1348_347
.LBB1348_399:                           ;   in Loop: Header=BB1348_334 Depth=2
	global_load_b32 v32, v2, s[10:11] offset:9216 scale_offset
	s_wait_xcnt 0x0
	s_or_b32 exec_lo, exec_lo, s13
	s_delay_alu instid0(SALU_CYCLE_1)
	s_mov_b32 s13, exec_lo
	v_cmpx_gt_u32_e64 s9, v76
	s_cbranch_execz .LBB1348_348
.LBB1348_400:                           ;   in Loop: Header=BB1348_334 Depth=2
	global_load_b32 v31, v2, s[10:11] offset:10240 scale_offset
	s_wait_xcnt 0x0
	s_or_b32 exec_lo, exec_lo, s13
	s_delay_alu instid0(SALU_CYCLE_1)
	s_mov_b32 s13, exec_lo
	v_cmpx_gt_u32_e64 s9, v77
	s_cbranch_execz .LBB1348_349
.LBB1348_401:                           ;   in Loop: Header=BB1348_334 Depth=2
	global_load_b32 v30, v2, s[10:11] offset:11264 scale_offset
	s_wait_xcnt 0x0
	s_or_b32 exec_lo, exec_lo, s13
	s_delay_alu instid0(SALU_CYCLE_1)
	s_mov_b32 s13, exec_lo
	v_cmpx_gt_u32_e64 s9, v78
	s_cbranch_execz .LBB1348_350
.LBB1348_402:                           ;   in Loop: Header=BB1348_334 Depth=2
	global_load_b32 v29, v2, s[10:11] offset:12288 scale_offset
	s_wait_xcnt 0x0
	s_or_b32 exec_lo, exec_lo, s13
	s_delay_alu instid0(SALU_CYCLE_1)
	s_mov_b32 s13, exec_lo
	v_cmpx_gt_u32_e64 s9, v79
	s_cbranch_execz .LBB1348_351
.LBB1348_403:                           ;   in Loop: Header=BB1348_334 Depth=2
	global_load_b32 v28, v2, s[10:11] offset:13312 scale_offset
	s_wait_xcnt 0x0
	s_or_b32 exec_lo, exec_lo, s13
	s_delay_alu instid0(SALU_CYCLE_1)
	s_mov_b32 s13, exec_lo
	v_cmpx_gt_u32_e64 s9, v80
	s_cbranch_execz .LBB1348_352
.LBB1348_404:                           ;   in Loop: Header=BB1348_334 Depth=2
	global_load_b32 v27, v2, s[10:11] offset:14336 scale_offset
	s_wait_xcnt 0x0
	s_or_b32 exec_lo, exec_lo, s13
	s_delay_alu instid0(SALU_CYCLE_1)
	s_mov_b32 s13, exec_lo
	v_cmpx_gt_u32_e64 s9, v81
	s_cbranch_execz .LBB1348_353
.LBB1348_405:                           ;   in Loop: Header=BB1348_334 Depth=2
	global_load_b32 v26, v2, s[10:11] offset:15360 scale_offset
	s_wait_xcnt 0x0
	s_or_b32 exec_lo, exec_lo, s13
	s_delay_alu instid0(SALU_CYCLE_1)
	s_mov_b32 s13, exec_lo
	v_cmpx_gt_u32_e64 s9, v82
	s_cbranch_execnz .LBB1348_354
	s_branch .LBB1348_355
.LBB1348_406:                           ;   in Loop: Header=BB1348_20 Depth=1
	v_mov_b32_e32 v25, 0
	s_wait_dscnt 0x0
	s_barrier_signal -1
	s_barrier_wait -1
	s_and_saveexec_b32 s9, s0
	s_cbranch_execz .LBB1348_408
; %bb.407:                              ;   in Loop: Header=BB1348_20 Depth=1
	ds_load_2addr_b64 v[26:29], v85 offset1:1
	s_wait_dscnt 0x0
	v_add_nc_u32_e32 v25, v27, v26
	s_delay_alu instid0(VALU_DEP_1)
	v_add3_u32 v25, v25, v28, v29
.LBB1348_408:                           ;   in Loop: Header=BB1348_20 Depth=1
	s_or_b32 exec_lo, exec_lo, s9
	s_delay_alu instid0(VALU_DEP_1)
	v_mov_b32_dpp v26, v25 row_shr:1 row_mask:0xf bank_mask:0xf
	v_cmp_eq_u32_e64 s9, 0, v97
	v_cmp_lt_u32_e64 s10, 1, v97
	v_cmp_lt_u32_e64 s11, 3, v97
	;; [unrolled: 1-line block ×3, first 2 shown]
	v_cmp_eq_u32_e64 s13, 0, v99
	v_cndmask_b32_e64 v26, v26, 0, s9
	s_delay_alu instid0(VALU_DEP_1) | instskip(NEXT) | instid1(VALU_DEP_1)
	v_add_nc_u32_e32 v25, v26, v25
	v_mov_b32_dpp v26, v25 row_shr:2 row_mask:0xf bank_mask:0xf
	s_delay_alu instid0(VALU_DEP_1) | instskip(NEXT) | instid1(VALU_DEP_1)
	v_cndmask_b32_e64 v26, 0, v26, s10
	v_add_nc_u32_e32 v25, v25, v26
	s_delay_alu instid0(VALU_DEP_1) | instskip(NEXT) | instid1(VALU_DEP_1)
	v_mov_b32_dpp v26, v25 row_shr:4 row_mask:0xf bank_mask:0xf
	v_cndmask_b32_e64 v26, 0, v26, s11
	s_delay_alu instid0(VALU_DEP_1) | instskip(NEXT) | instid1(VALU_DEP_1)
	v_add_nc_u32_e32 v25, v25, v26
	v_mov_b32_dpp v26, v25 row_shr:8 row_mask:0xf bank_mask:0xf
	s_delay_alu instid0(VALU_DEP_1) | instskip(NEXT) | instid1(VALU_DEP_1)
	v_cndmask_b32_e64 v26, 0, v26, s12
	v_add_nc_u32_e32 v25, v25, v26
	ds_swizzle_b32 v26, v25 offset:swizzle(BROADCAST,32,15)
	s_wait_dscnt 0x0
	v_and_b32_e32 v26, v98, v26
	s_delay_alu instid0(VALU_DEP_1)
	v_add_nc_u32_e32 v25, v25, v26
	s_and_saveexec_b32 s14, s1
; %bb.409:                              ;   in Loop: Header=BB1348_20 Depth=1
	ds_store_b32 v86, v25
; %bb.410:                              ;   in Loop: Header=BB1348_20 Depth=1
	s_or_b32 exec_lo, exec_lo, s14
	s_wait_dscnt 0x0
	s_barrier_signal -1
	s_barrier_wait -1
	s_and_saveexec_b32 s14, s4
	s_cbranch_execz .LBB1348_412
; %bb.411:                              ;   in Loop: Header=BB1348_20 Depth=1
	ds_load_b32 v26, v87
	v_cmp_ne_u32_e32 vcc_lo, 0, v100
	s_wait_dscnt 0x0
	v_mov_b32_dpp v27, v26 row_shr:1 row_mask:0xf bank_mask:0xf
	s_delay_alu instid0(VALU_DEP_1) | instskip(SKIP_1) | instid1(VALU_DEP_2)
	v_cndmask_b32_e32 v27, 0, v27, vcc_lo
	v_cmp_lt_u32_e32 vcc_lo, 1, v100
	v_add_nc_u32_e32 v26, v27, v26
	s_delay_alu instid0(VALU_DEP_1) | instskip(NEXT) | instid1(VALU_DEP_1)
	v_mov_b32_dpp v27, v26 row_shr:2 row_mask:0xf bank_mask:0xf
	v_cndmask_b32_e32 v27, 0, v27, vcc_lo
	s_delay_alu instid0(VALU_DEP_1)
	v_add_nc_u32_e32 v26, v26, v27
	ds_store_b32 v87, v26
.LBB1348_412:                           ;   in Loop: Header=BB1348_20 Depth=1
	s_or_b32 exec_lo, exec_lo, s14
	v_mov_b32_e32 v26, 0
	s_wait_dscnt 0x0
	s_barrier_signal -1
	s_barrier_wait -1
	s_and_saveexec_b32 s14, s5
; %bb.413:                              ;   in Loop: Header=BB1348_20 Depth=1
	ds_load_b32 v26, v88
; %bb.414:                              ;   in Loop: Header=BB1348_20 Depth=1
	s_or_b32 exec_lo, exec_lo, s14
	v_cmp_gt_i32_e32 vcc_lo, 0, v102
	s_wait_dscnt 0x0
	s_barrier_signal -1
	s_barrier_wait -1
	v_cndmask_b32_e32 v27, v102, v95, vcc_lo
	s_delay_alu instid0(VALU_DEP_1)
	v_dual_add_nc_u32 v25, v26, v25 :: v_dual_lshlrev_b32 v119, 2, v27
	ds_bpermute_b32 v25, v119, v25
	s_and_saveexec_b32 s14, s0
	s_cbranch_execz .LBB1348_416
; %bb.415:                              ;   in Loop: Header=BB1348_20 Depth=1
	s_wait_dscnt 0x0
	v_cndmask_b32_e64 v25, v25, v26, s8
	s_delay_alu instid0(VALU_DEP_1)
	v_add_nc_u32_e32 v25, s55, v25
	ds_store_b32 v4, v25
.LBB1348_416:                           ;   in Loop: Header=BB1348_20 Depth=1
	s_or_b32 exec_lo, exec_lo, s14
	s_load_b64 s[14:15], s[52:53], 0x0
	s_mov_b32 s59, s57
                                        ; implicit-def: $vgpr32_vgpr33
                                        ; implicit-def: $vgpr34_vgpr35
                                        ; implicit-def: $vgpr36_vgpr37
                                        ; implicit-def: $vgpr38_vgpr39
                                        ; implicit-def: $vgpr40_vgpr41
                                        ; implicit-def: $vgpr42_vgpr43
                                        ; implicit-def: $vgpr44_vgpr45
                                        ; implicit-def: $vgpr46_vgpr47
                                        ; implicit-def: $vgpr48_vgpr49
                                        ; implicit-def: $vgpr50_vgpr51
                                        ; implicit-def: $vgpr52_vgpr53
                                        ; implicit-def: $vgpr54_vgpr55
                                        ; implicit-def: $vgpr56_vgpr57
                                        ; implicit-def: $vgpr58_vgpr59
                                        ; implicit-def: $vgpr60_vgpr61
                                        ; implicit-def: $vgpr62_vgpr63
                                        ; implicit-def: $vgpr120
                                        ; implicit-def: $vgpr121
                                        ; implicit-def: $vgpr122
                                        ; implicit-def: $vgpr123
                                        ; implicit-def: $vgpr124
                                        ; implicit-def: $vgpr125
                                        ; implicit-def: $vgpr126
                                        ; implicit-def: $vgpr127
                                        ; implicit-def: $vgpr128
                                        ; implicit-def: $vgpr129
                                        ; implicit-def: $vgpr130
                                        ; implicit-def: $vgpr131
                                        ; implicit-def: $vgpr132
                                        ; implicit-def: $vgpr134
                                        ; implicit-def: $vgpr135
                                        ; implicit-def: $vgpr136
                                        ; implicit-def: $vgpr137
                                        ; implicit-def: $vgpr133
                                        ; implicit-def: $vgpr138
	s_wait_kmcnt 0x0
	s_cmp_lt_u32 s51, s14
	s_cselect_b32 s42, 12, 18
	s_cmp_lt_u32 s35, s15
	s_mov_b32 s15, s43
	s_cselect_b32 s14, 14, 20
	s_delay_alu instid0(SALU_CYCLE_1)
	s_add_nc_u64 s[14:15], s[52:53], s[14:15]
	s_load_u16 s16, s[14:15], 0x0
	s_wait_xcnt 0x0
	s_add_nc_u64 s[14:15], s[52:53], s[42:43]
	s_mov_b32 s42, s55
	s_load_u16 s14, s[14:15], 0x0
	s_wait_xcnt 0x0
	v_cmp_lt_u32_e64 s15, 1, v103
	s_wait_dscnt 0x0
	s_wait_kmcnt 0x0
	v_mad_u32_u24 v25, v89, s16, v91
	v_cmp_lt_u32_e64 s16, 3, v103
	s_delay_alu instid0(VALU_DEP_2) | instskip(SKIP_2) | instid1(VALU_DEP_3)
	v_mad_u32 v26, v25, s14, v2
	v_mov_b32_e32 v25, v1
	v_cmp_eq_u32_e64 s14, 0, v103
	v_lshrrev_b32_e32 v30, 3, v26
	v_add_nc_u64_e32 v[26:27], v[10:11], v[0:1]
	s_delay_alu instid0(VALU_DEP_4) | instskip(NEXT) | instid1(VALU_DEP_3)
	v_add_nc_u64_e32 v[28:29], v[12:13], v[24:25]
	v_and_b32_e32 v25, 0x1ffffffc, v30
                                        ; implicit-def: $vgpr30_vgpr31
	s_branch .LBB1348_418
.LBB1348_417:                           ;   in Loop: Header=BB1348_418 Depth=2
	s_or_b32 exec_lo, exec_lo, s17
	s_addk_co_i32 s59, 0xef00
	s_cmp_lt_u32 s60, s54
	s_mov_b32 s42, s60
	s_cbranch_scc0 .LBB1348_640
.LBB1348_418:                           ;   Parent Loop BB1348_20 Depth=1
                                        ; =>  This Inner Loop Header: Depth=2
	s_add_co_i32 s60, s42, 0x1100
	s_delay_alu instid0(SALU_CYCLE_1)
	s_cmp_gt_u32 s60, s54
	s_cbranch_scc1 .LBB1348_420
; %bb.419:                              ;   in Loop: Header=BB1348_418 Depth=2
	s_delay_alu instid0(VALU_DEP_2)
	v_lshl_add_u64 v[64:65], s[42:43], 2, v[28:29]
	s_mov_b32 s17, -1
	s_clause 0xf
	global_load_b32 v140, v[64:65], off
	global_load_b32 v142, v[64:65], off offset:128
	global_load_b32 v144, v[64:65], off offset:256
	;; [unrolled: 1-line block ×15, first 2 shown]
	s_movk_i32 s18, 0x1100
	s_cbranch_execz .LBB1348_421
	s_branch .LBB1348_454
.LBB1348_420:                           ;   in Loop: Header=BB1348_418 Depth=2
	s_mov_b32 s17, 0
                                        ; implicit-def: $vgpr140
                                        ; implicit-def: $vgpr142
                                        ; implicit-def: $vgpr144
                                        ; implicit-def: $vgpr148
                                        ; implicit-def: $vgpr153
                                        ; implicit-def: $vgpr158
                                        ; implicit-def: $vgpr163
                                        ; implicit-def: $vgpr168
                                        ; implicit-def: $vgpr173
                                        ; implicit-def: $vgpr171
                                        ; implicit-def: $vgpr166
                                        ; implicit-def: $vgpr161
                                        ; implicit-def: $vgpr157
                                        ; implicit-def: $vgpr152
                                        ; implicit-def: $vgpr67
                                        ; implicit-def: $vgpr66
	s_movk_i32 s18, 0x1100
.LBB1348_421:                           ;   in Loop: Header=BB1348_418 Depth=2
	s_wait_xcnt 0x0
	v_lshl_add_u64 v[64:65], s[42:43], 2, v[28:29]
	s_wait_loadcnt 0xe
	v_dual_mov_b32 v142, -1 :: v_dual_mov_b32 v140, -1
	s_mov_b32 s17, exec_lo
	v_cmpx_gt_u32_e64 s59, v101
	s_cbranch_execz .LBB1348_423
; %bb.422:                              ;   in Loop: Header=BB1348_418 Depth=2
	global_load_b32 v140, v[64:65], off
.LBB1348_423:                           ;   in Loop: Header=BB1348_418 Depth=2
	s_wait_xcnt 0x0
	s_or_b32 exec_lo, exec_lo, s17
	s_delay_alu instid0(SALU_CYCLE_1)
	s_mov_b32 s17, exec_lo
	v_cmpx_gt_u32_e64 s59, v104
	s_cbranch_execz .LBB1348_425
; %bb.424:                              ;   in Loop: Header=BB1348_418 Depth=2
	global_load_b32 v142, v[64:65], off offset:128
.LBB1348_425:                           ;   in Loop: Header=BB1348_418 Depth=2
	s_wait_xcnt 0x0
	s_or_b32 exec_lo, exec_lo, s17
	s_wait_loadcnt 0xc
	v_dual_mov_b32 v148, -1 :: v_dual_mov_b32 v144, -1
	s_mov_b32 s17, exec_lo
	v_cmpx_gt_u32_e64 s59, v105
	s_cbranch_execz .LBB1348_427
; %bb.426:                              ;   in Loop: Header=BB1348_418 Depth=2
	global_load_b32 v144, v[64:65], off offset:256
.LBB1348_427:                           ;   in Loop: Header=BB1348_418 Depth=2
	s_wait_xcnt 0x0
	s_or_b32 exec_lo, exec_lo, s17
	s_delay_alu instid0(SALU_CYCLE_1)
	s_mov_b32 s17, exec_lo
	v_cmpx_gt_u32_e64 s59, v106
	s_cbranch_execz .LBB1348_429
; %bb.428:                              ;   in Loop: Header=BB1348_418 Depth=2
	global_load_b32 v148, v[64:65], off offset:384
.LBB1348_429:                           ;   in Loop: Header=BB1348_418 Depth=2
	s_wait_xcnt 0x0
	s_or_b32 exec_lo, exec_lo, s17
	s_wait_loadcnt 0xa
	v_dual_mov_b32 v158, -1 :: v_dual_mov_b32 v153, -1
	s_mov_b32 s17, exec_lo
	v_cmpx_gt_u32_e64 s59, v107
	s_cbranch_execz .LBB1348_431
; %bb.430:                              ;   in Loop: Header=BB1348_418 Depth=2
	global_load_b32 v153, v[64:65], off offset:512
.LBB1348_431:                           ;   in Loop: Header=BB1348_418 Depth=2
	;; [unrolled: 19-line block ×7, first 2 shown]
	s_wait_xcnt 0x0
	s_or_b32 exec_lo, exec_lo, s17
	s_delay_alu instid0(SALU_CYCLE_1)
	s_mov_b32 s17, exec_lo
	v_cmpx_gt_u32_e64 s59, v118
	s_cbranch_execz .LBB1348_453
; %bb.452:                              ;   in Loop: Header=BB1348_418 Depth=2
	global_load_b32 v66, v[64:65], off offset:1920
.LBB1348_453:                           ;   in Loop: Header=BB1348_418 Depth=2
	s_wait_xcnt 0x0
	s_or_b32 exec_lo, exec_lo, s17
	v_cmp_gt_u32_e64 s17, s59, v5
	s_sub_co_i32 s18, s54, s42
.LBB1348_454:                           ;   in Loop: Header=BB1348_418 Depth=2
	s_wait_xcnt 0x0
	v_dual_mov_b32 v64, -1 :: v_dual_mov_b32 v139, s59
	s_and_saveexec_b32 s19, s17
	s_cbranch_execz .LBB1348_456
; %bb.455:                              ;   in Loop: Header=BB1348_418 Depth=2
	v_lshl_add_u64 v[64:65], s[42:43], 2, v[28:29]
	v_mov_b32_e32 v139, s18
	global_load_b32 v64, v[64:65], off offset:2048
.LBB1348_456:                           ;   in Loop: Header=BB1348_418 Depth=2
	s_wait_xcnt 0x0
	s_or_b32 exec_lo, exec_lo, s19
	s_wait_loadcnt 0xf
	v_cmp_gt_i32_e32 vcc_lo, 0, v140
	ds_store_2addr_b32 v90, v1, v1 offset0:136 offset1:137
	ds_store_2addr_b32 v90, v1, v1 offset0:138 offset1:139
	ds_store_b32 v90, v1 offset:560
	s_wait_loadcnt_dscnt 0x0
	s_barrier_signal -1
	s_barrier_wait -1
	v_cndmask_b32_e64 v65, 0x7fffffff, 0, vcc_lo
	; wave barrier
	s_delay_alu instid0(VALU_DEP_1) | instskip(NEXT) | instid1(VALU_DEP_1)
	v_xor_b32_e32 v140, v65, v140
	v_cmp_ne_u32_e32 vcc_lo, 0x80000000, v140
	v_cndmask_b32_e32 v65, 0x7fffffff, v140, vcc_lo
	s_delay_alu instid0(VALU_DEP_1) | instskip(NEXT) | instid1(VALU_DEP_1)
	v_lshrrev_b32_e32 v65, s48, v65
	v_bitop3_b32 v141, v65, 1, s58 bitop3:0x80
	v_and_b32_e32 v143, s58, v65
	s_delay_alu instid0(VALU_DEP_2) | instskip(NEXT) | instid1(VALU_DEP_1)
	v_add_co_u32 v65, s17, v141, -1
	v_cndmask_b32_e64 v141, 0, 1, s17
	s_delay_alu instid0(VALU_DEP_3) | instskip(SKIP_1) | instid1(VALU_DEP_3)
	v_dual_lshlrev_b32 v145, 30, v143 :: v_dual_lshlrev_b32 v147, 28, v143
	v_lshlrev_b32_e32 v146, 29, v143
	v_cmp_ne_u32_e32 vcc_lo, 0, v141
	s_delay_alu instid0(VALU_DEP_3) | instskip(SKIP_1) | instid1(VALU_DEP_4)
	v_cmp_gt_i32_e64 s17, 0, v145
	v_not_b32_e32 v141, v145
	v_cmp_gt_i32_e64 s18, 0, v146
	v_not_b32_e32 v145, v146
	v_not_b32_e32 v146, v147
	v_cmp_gt_i32_e64 s19, 0, v147
	v_ashrrev_i32_e32 v141, 31, v141
	v_bitop3_b32 v65, vcc_lo, exec_lo, v65 bitop3:0x48
	s_delay_alu instid0(VALU_DEP_4) | instskip(SKIP_2) | instid1(VALU_DEP_3)
	v_dual_ashrrev_i32 v146, 31, v146 :: v_dual_lshlrev_b32 v149, 27, v143
	v_dual_lshlrev_b32 v150, 26, v143 :: v_dual_lshlrev_b32 v151, 25, v143
	v_mul_u32_u24_e32 v143, 36, v143
	v_xor_b32_e32 v146, s19, v146
	s_delay_alu instid0(VALU_DEP_4)
	v_not_b32_e32 v147, v149
	v_ashrrev_i32_e32 v145, 31, v145
	v_cmp_gt_i32_e64 s20, 0, v149
	v_cmp_gt_i32_e64 s21, 0, v150
	v_not_b32_e32 v149, v150
	v_not_b32_e32 v150, v151
	v_dual_ashrrev_i32 v147, 31, v147 :: v_dual_bitop2_b32 v141, s17, v141 bitop3:0x14
	v_dual_add_nc_u32 v143, v25, v143 :: v_dual_bitop2_b32 v145, s18, v145 bitop3:0x14
	v_cmp_gt_i32_e64 s22, 0, v151
	s_delay_alu instid0(VALU_DEP_4) | instskip(NEXT) | instid1(VALU_DEP_4)
	v_dual_ashrrev_i32 v149, 31, v149 :: v_dual_ashrrev_i32 v150, 31, v150
	v_xor_b32_e32 v147, s20, v147
	s_delay_alu instid0(VALU_DEP_4) | instskip(NEXT) | instid1(VALU_DEP_3)
	v_bitop3_b32 v65, v65, v145, v141 bitop3:0x80
	v_xor_b32_e32 v141, s21, v149
	s_delay_alu instid0(VALU_DEP_4) | instskip(NEXT) | instid1(VALU_DEP_3)
	v_xor_b32_e32 v145, s22, v150
	v_bitop3_b32 v65, v65, v147, v146 bitop3:0x80
	s_delay_alu instid0(VALU_DEP_1) | instskip(NEXT) | instid1(VALU_DEP_1)
	v_bitop3_b32 v65, v65, v145, v141 bitop3:0x80
	v_mbcnt_lo_u32_b32 v141, v65, 0
	v_cmp_ne_u32_e64 s17, 0, v65
	s_delay_alu instid0(VALU_DEP_2) | instskip(SKIP_1) | instid1(SALU_CYCLE_1)
	v_cmp_eq_u32_e32 vcc_lo, 0, v141
	s_and_b32 s18, s17, vcc_lo
	s_and_saveexec_b32 s17, s18
; %bb.457:                              ;   in Loop: Header=BB1348_418 Depth=2
	v_bcnt_u32_b32 v65, v65, 0
	ds_store_b32 v143, v65 offset:544
; %bb.458:                              ;   in Loop: Header=BB1348_418 Depth=2
	s_or_b32 exec_lo, exec_lo, s17
	v_cmp_gt_i32_e32 vcc_lo, 0, v142
	; wave barrier
	v_cndmask_b32_e64 v65, 0x7fffffff, 0, vcc_lo
	s_delay_alu instid0(VALU_DEP_1) | instskip(NEXT) | instid1(VALU_DEP_1)
	v_xor_b32_e32 v142, v65, v142
	v_cmp_ne_u32_e32 vcc_lo, 0x80000000, v142
	v_cndmask_b32_e32 v65, 0x7fffffff, v142, vcc_lo
	s_delay_alu instid0(VALU_DEP_1) | instskip(NEXT) | instid1(VALU_DEP_1)
	v_lshrrev_b32_e32 v65, s48, v65
	v_bitop3_b32 v145, v65, 1, s58 bitop3:0x80
	v_and_b32_e32 v147, s58, v65
	s_delay_alu instid0(VALU_DEP_2) | instskip(NEXT) | instid1(VALU_DEP_1)
	v_add_co_u32 v65, s17, v145, -1
	v_cndmask_b32_e64 v145, 0, 1, s17
	s_delay_alu instid0(VALU_DEP_3) | instskip(NEXT) | instid1(VALU_DEP_2)
	v_dual_lshlrev_b32 v146, 30, v147 :: v_dual_lshlrev_b32 v149, 29, v147
	v_cmp_ne_u32_e32 vcc_lo, 0, v145
	s_delay_alu instid0(VALU_DEP_2) | instskip(SKIP_1) | instid1(VALU_DEP_4)
	v_cmp_gt_i32_e64 s17, 0, v146
	v_not_b32_e32 v145, v146
	v_not_b32_e32 v146, v149
	v_bitop3_b32 v65, vcc_lo, exec_lo, v65 bitop3:0x48
	s_delay_alu instid0(VALU_DEP_2) | instskip(SKIP_3) | instid1(VALU_DEP_3)
	v_dual_ashrrev_i32 v145, 31, v145 :: v_dual_ashrrev_i32 v146, 31, v146
	v_dual_lshlrev_b32 v150, 28, v147 :: v_dual_lshlrev_b32 v151, 27, v147
	v_dual_lshlrev_b32 v154, 26, v147 :: v_dual_lshlrev_b32 v155, 25, v147
	v_cmp_gt_i32_e64 s18, 0, v149
	v_cmp_gt_i32_e64 s19, 0, v150
	v_not_b32_e32 v149, v150
	v_not_b32_e32 v150, v151
	v_cmp_gt_i32_e64 s20, 0, v151
	v_cmp_gt_i32_e64 s21, 0, v154
	v_not_b32_e32 v151, v154
	v_not_b32_e32 v154, v155
	v_dual_ashrrev_i32 v149, 31, v149 :: v_dual_ashrrev_i32 v150, 31, v150
	s_delay_alu instid0(VALU_DEP_3) | instskip(SKIP_2) | instid1(VALU_DEP_4)
	v_dual_ashrrev_i32 v151, 31, v151 :: v_dual_bitop2_b32 v145, s17, v145 bitop3:0x14
	v_xor_b32_e32 v146, s18, v146
	v_cmp_gt_i32_e64 s22, 0, v155
	v_dual_ashrrev_i32 v154, 31, v154 :: v_dual_bitop2_b32 v149, s19, v149 bitop3:0x14
	v_xor_b32_e32 v150, s20, v150
	s_delay_alu instid0(VALU_DEP_4)
	v_bitop3_b32 v65, v65, v146, v145 bitop3:0x80
	v_mad_u32_u24 v145, v147, 36, v25
	v_xor_b32_e32 v146, s21, v151
	v_xor_b32_e32 v151, s22, v154
	v_mul_u32_u24_e32 v147, 36, v147
	v_bitop3_b32 v65, v65, v150, v149 bitop3:0x80
	ds_load_b32 v145, v145 offset:544
	; wave barrier
	v_add_nc_u32_e32 v147, v25, v147
	v_bitop3_b32 v65, v65, v151, v146 bitop3:0x80
	s_delay_alu instid0(VALU_DEP_1) | instskip(SKIP_1) | instid1(VALU_DEP_2)
	v_mbcnt_lo_u32_b32 v146, v65, 0
	v_cmp_ne_u32_e64 s17, 0, v65
	v_cmp_eq_u32_e32 vcc_lo, 0, v146
	s_and_b32 s18, s17, vcc_lo
	s_delay_alu instid0(SALU_CYCLE_1)
	s_and_saveexec_b32 s17, s18
	s_cbranch_execz .LBB1348_460
; %bb.459:                              ;   in Loop: Header=BB1348_418 Depth=2
	s_wait_dscnt 0x0
	v_bcnt_u32_b32 v65, v65, v145
	ds_store_b32 v147, v65 offset:544
.LBB1348_460:                           ;   in Loop: Header=BB1348_418 Depth=2
	s_or_b32 exec_lo, exec_lo, s17
	v_cmp_gt_i32_e32 vcc_lo, 0, v144
	; wave barrier
	v_cndmask_b32_e64 v65, 0x7fffffff, 0, vcc_lo
	s_delay_alu instid0(VALU_DEP_1) | instskip(NEXT) | instid1(VALU_DEP_1)
	v_xor_b32_e32 v144, v65, v144
	v_cmp_ne_u32_e32 vcc_lo, 0x80000000, v144
	v_cndmask_b32_e32 v65, 0x7fffffff, v144, vcc_lo
	s_delay_alu instid0(VALU_DEP_1) | instskip(NEXT) | instid1(VALU_DEP_1)
	v_lshrrev_b32_e32 v65, s48, v65
	v_bitop3_b32 v149, v65, 1, s58 bitop3:0x80
	v_and_b32_e32 v151, s58, v65
	s_delay_alu instid0(VALU_DEP_2) | instskip(NEXT) | instid1(VALU_DEP_1)
	v_add_co_u32 v65, s17, v149, -1
	v_cndmask_b32_e64 v149, 0, 1, s17
	s_delay_alu instid0(VALU_DEP_3) | instskip(NEXT) | instid1(VALU_DEP_2)
	v_dual_lshlrev_b32 v150, 30, v151 :: v_dual_lshlrev_b32 v154, 29, v151
	v_cmp_ne_u32_e32 vcc_lo, 0, v149
	s_delay_alu instid0(VALU_DEP_2) | instskip(SKIP_1) | instid1(VALU_DEP_4)
	v_cmp_gt_i32_e64 s17, 0, v150
	v_not_b32_e32 v149, v150
	v_not_b32_e32 v150, v154
	v_bitop3_b32 v65, vcc_lo, exec_lo, v65 bitop3:0x48
	s_delay_alu instid0(VALU_DEP_2) | instskip(SKIP_3) | instid1(VALU_DEP_3)
	v_dual_ashrrev_i32 v149, 31, v149 :: v_dual_ashrrev_i32 v150, 31, v150
	v_dual_lshlrev_b32 v155, 28, v151 :: v_dual_lshlrev_b32 v156, 27, v151
	v_dual_lshlrev_b32 v159, 26, v151 :: v_dual_lshlrev_b32 v160, 25, v151
	v_cmp_gt_i32_e64 s18, 0, v154
	v_cmp_gt_i32_e64 s19, 0, v155
	v_not_b32_e32 v154, v155
	v_not_b32_e32 v155, v156
	v_cmp_gt_i32_e64 s20, 0, v156
	v_cmp_gt_i32_e64 s21, 0, v159
	v_not_b32_e32 v156, v159
	v_not_b32_e32 v159, v160
	v_dual_ashrrev_i32 v154, 31, v154 :: v_dual_ashrrev_i32 v155, 31, v155
	s_delay_alu instid0(VALU_DEP_3) | instskip(NEXT) | instid1(VALU_DEP_3)
	v_dual_ashrrev_i32 v156, 31, v156 :: v_dual_bitop2_b32 v149, s17, v149 bitop3:0x14
	v_dual_ashrrev_i32 v159, 31, v159 :: v_dual_bitop2_b32 v150, s18, v150 bitop3:0x14
	v_cmp_gt_i32_e64 s22, 0, v160
	s_delay_alu instid0(VALU_DEP_4) | instskip(NEXT) | instid1(VALU_DEP_3)
	v_xor_b32_e32 v155, s20, v155
	v_bitop3_b32 v65, v65, v150, v149 bitop3:0x80
	v_mad_u32_u24 v149, v151, 36, v25
	v_mul_u32_u24_e32 v151, 36, v151
	v_xor_b32_e32 v154, s19, v154
	v_xor_b32_e32 v150, s21, v156
	;; [unrolled: 1-line block ×3, first 2 shown]
	ds_load_b32 v149, v149 offset:544
	v_add_nc_u32_e32 v151, v25, v151
	v_bitop3_b32 v65, v65, v155, v154 bitop3:0x80
	; wave barrier
	s_delay_alu instid0(VALU_DEP_1) | instskip(NEXT) | instid1(VALU_DEP_1)
	v_bitop3_b32 v65, v65, v156, v150 bitop3:0x80
	v_mbcnt_lo_u32_b32 v150, v65, 0
	v_cmp_ne_u32_e64 s17, 0, v65
	s_delay_alu instid0(VALU_DEP_2) | instskip(SKIP_1) | instid1(SALU_CYCLE_1)
	v_cmp_eq_u32_e32 vcc_lo, 0, v150
	s_and_b32 s18, s17, vcc_lo
	s_and_saveexec_b32 s17, s18
	s_cbranch_execz .LBB1348_462
; %bb.461:                              ;   in Loop: Header=BB1348_418 Depth=2
	s_wait_dscnt 0x0
	v_bcnt_u32_b32 v65, v65, v149
	ds_store_b32 v151, v65 offset:544
.LBB1348_462:                           ;   in Loop: Header=BB1348_418 Depth=2
	s_or_b32 exec_lo, exec_lo, s17
	v_cmp_gt_i32_e32 vcc_lo, 0, v148
	; wave barrier
	v_cndmask_b32_e64 v65, 0x7fffffff, 0, vcc_lo
	s_delay_alu instid0(VALU_DEP_1) | instskip(NEXT) | instid1(VALU_DEP_1)
	v_xor_b32_e32 v148, v65, v148
	v_cmp_ne_u32_e32 vcc_lo, 0x80000000, v148
	v_cndmask_b32_e32 v65, 0x7fffffff, v148, vcc_lo
	s_delay_alu instid0(VALU_DEP_1) | instskip(NEXT) | instid1(VALU_DEP_1)
	v_lshrrev_b32_e32 v65, s48, v65
	v_bitop3_b32 v154, v65, 1, s58 bitop3:0x80
	v_and_b32_e32 v156, s58, v65
	s_delay_alu instid0(VALU_DEP_2) | instskip(NEXT) | instid1(VALU_DEP_1)
	v_add_co_u32 v65, s17, v154, -1
	v_cndmask_b32_e64 v154, 0, 1, s17
	s_delay_alu instid0(VALU_DEP_3) | instskip(NEXT) | instid1(VALU_DEP_2)
	v_dual_lshlrev_b32 v155, 30, v156 :: v_dual_lshlrev_b32 v159, 29, v156
	v_cmp_ne_u32_e32 vcc_lo, 0, v154
	s_delay_alu instid0(VALU_DEP_2) | instskip(SKIP_1) | instid1(VALU_DEP_4)
	v_cmp_gt_i32_e64 s17, 0, v155
	v_not_b32_e32 v154, v155
	v_not_b32_e32 v155, v159
	v_cmp_gt_i32_e64 s18, 0, v159
	v_bitop3_b32 v65, vcc_lo, exec_lo, v65 bitop3:0x48
	s_delay_alu instid0(VALU_DEP_3) | instskip(SKIP_2) | instid1(VALU_DEP_2)
	v_dual_ashrrev_i32 v154, 31, v154 :: v_dual_ashrrev_i32 v155, 31, v155
	v_dual_lshlrev_b32 v160, 28, v156 :: v_dual_lshlrev_b32 v162, 27, v156
	v_dual_lshlrev_b32 v164, 26, v156 :: v_dual_lshlrev_b32 v165, 25, v156
	v_cmp_gt_i32_e64 s19, 0, v160
	v_not_b32_e32 v159, v160
	s_delay_alu instid0(VALU_DEP_4)
	v_not_b32_e32 v160, v162
	v_cmp_gt_i32_e64 s20, 0, v162
	v_cmp_gt_i32_e64 s21, 0, v164
	v_not_b32_e32 v162, v164
	v_not_b32_e32 v164, v165
	v_dual_ashrrev_i32 v159, 31, v159 :: v_dual_ashrrev_i32 v160, 31, v160
	v_xor_b32_e32 v154, s17, v154
	s_delay_alu instid0(VALU_DEP_4) | instskip(SKIP_3) | instid1(VALU_DEP_4)
	v_dual_ashrrev_i32 v162, 31, v162 :: v_dual_bitop2_b32 v155, s18, v155 bitop3:0x14
	v_cmp_gt_i32_e64 s22, 0, v165
	v_ashrrev_i32_e32 v164, 31, v164
	v_xor_b32_e32 v160, s20, v160
	v_bitop3_b32 v65, v65, v155, v154 bitop3:0x80
	v_mad_u32_u24 v154, v156, 36, v25
	v_mul_u32_u24_e32 v156, 36, v156
	v_xor_b32_e32 v159, s19, v159
	v_xor_b32_e32 v155, s21, v162
	;; [unrolled: 1-line block ×3, first 2 shown]
	ds_load_b32 v154, v154 offset:544
	v_add_nc_u32_e32 v156, v25, v156
	v_bitop3_b32 v65, v65, v160, v159 bitop3:0x80
	; wave barrier
	s_delay_alu instid0(VALU_DEP_1) | instskip(NEXT) | instid1(VALU_DEP_1)
	v_bitop3_b32 v65, v65, v162, v155 bitop3:0x80
	v_mbcnt_lo_u32_b32 v155, v65, 0
	v_cmp_ne_u32_e64 s17, 0, v65
	s_delay_alu instid0(VALU_DEP_2) | instskip(SKIP_1) | instid1(SALU_CYCLE_1)
	v_cmp_eq_u32_e32 vcc_lo, 0, v155
	s_and_b32 s18, s17, vcc_lo
	s_and_saveexec_b32 s17, s18
	s_cbranch_execz .LBB1348_464
; %bb.463:                              ;   in Loop: Header=BB1348_418 Depth=2
	s_wait_dscnt 0x0
	v_bcnt_u32_b32 v65, v65, v154
	ds_store_b32 v156, v65 offset:544
.LBB1348_464:                           ;   in Loop: Header=BB1348_418 Depth=2
	s_or_b32 exec_lo, exec_lo, s17
	v_cmp_gt_i32_e32 vcc_lo, 0, v153
	; wave barrier
	v_cndmask_b32_e64 v65, 0x7fffffff, 0, vcc_lo
	s_delay_alu instid0(VALU_DEP_1) | instskip(NEXT) | instid1(VALU_DEP_1)
	v_xor_b32_e32 v153, v65, v153
	v_cmp_ne_u32_e32 vcc_lo, 0x80000000, v153
	v_cndmask_b32_e32 v65, 0x7fffffff, v153, vcc_lo
	s_delay_alu instid0(VALU_DEP_1) | instskip(NEXT) | instid1(VALU_DEP_1)
	v_lshrrev_b32_e32 v65, s48, v65
	v_and_b32_e32 v162, s58, v65
	s_delay_alu instid0(VALU_DEP_1) | instskip(SKIP_2) | instid1(VALU_DEP_3)
	v_lshlrev_b32_e32 v165, 28, v162
	v_bitop3_b32 v159, v65, 1, s58 bitop3:0x80
	v_lshlrev_b32_e32 v160, 30, v162
	v_cmp_gt_i32_e64 s19, 0, v165
	s_delay_alu instid0(VALU_DEP_3) | instskip(NEXT) | instid1(VALU_DEP_1)
	v_add_co_u32 v65, s17, v159, -1
	v_cndmask_b32_e64 v159, 0, 1, s17
	s_delay_alu instid0(VALU_DEP_4) | instskip(NEXT) | instid1(VALU_DEP_2)
	v_cmp_gt_i32_e64 s17, 0, v160
	v_cmp_ne_u32_e32 vcc_lo, 0, v159
	v_not_b32_e32 v159, v160
	v_bitop3_b32 v65, vcc_lo, exec_lo, v65 bitop3:0x48
	s_delay_alu instid0(VALU_DEP_2) | instskip(SKIP_1) | instid1(VALU_DEP_2)
	v_dual_ashrrev_i32 v159, 31, v159 :: v_dual_lshlrev_b32 v164, 29, v162
	v_dual_lshlrev_b32 v167, 27, v162 :: v_dual_lshlrev_b32 v169, 26, v162
	v_not_b32_e32 v160, v164
	v_lshlrev_b32_e32 v170, 25, v162
	v_cmp_gt_i32_e64 s18, 0, v164
	v_not_b32_e32 v164, v165
	v_not_b32_e32 v165, v167
	v_ashrrev_i32_e32 v160, 31, v160
	v_cmp_gt_i32_e64 s20, 0, v167
	v_cmp_gt_i32_e64 s21, 0, v169
	v_not_b32_e32 v167, v169
	v_not_b32_e32 v169, v170
	v_dual_ashrrev_i32 v164, 31, v164 :: v_dual_ashrrev_i32 v165, 31, v165
	v_xor_b32_e32 v159, s17, v159
	s_delay_alu instid0(VALU_DEP_4) | instskip(SKIP_3) | instid1(VALU_DEP_4)
	v_dual_ashrrev_i32 v167, 31, v167 :: v_dual_bitop2_b32 v160, s18, v160 bitop3:0x14
	v_cmp_gt_i32_e64 s22, 0, v170
	v_ashrrev_i32_e32 v169, 31, v169
	v_xor_b32_e32 v165, s20, v165
	v_bitop3_b32 v65, v65, v160, v159 bitop3:0x80
	v_mad_u32_u24 v159, v162, 36, v25
	v_mul_u32_u24_e32 v162, 36, v162
	v_xor_b32_e32 v164, s19, v164
	v_xor_b32_e32 v160, s21, v167
	;; [unrolled: 1-line block ×3, first 2 shown]
	ds_load_b32 v159, v159 offset:544
	v_add_nc_u32_e32 v162, v25, v162
	v_bitop3_b32 v65, v65, v165, v164 bitop3:0x80
	; wave barrier
	s_delay_alu instid0(VALU_DEP_1) | instskip(NEXT) | instid1(VALU_DEP_1)
	v_bitop3_b32 v65, v65, v167, v160 bitop3:0x80
	v_mbcnt_lo_u32_b32 v160, v65, 0
	v_cmp_ne_u32_e64 s17, 0, v65
	s_delay_alu instid0(VALU_DEP_2) | instskip(SKIP_1) | instid1(SALU_CYCLE_1)
	v_cmp_eq_u32_e32 vcc_lo, 0, v160
	s_and_b32 s18, s17, vcc_lo
	s_and_saveexec_b32 s17, s18
	s_cbranch_execz .LBB1348_466
; %bb.465:                              ;   in Loop: Header=BB1348_418 Depth=2
	s_wait_dscnt 0x0
	v_bcnt_u32_b32 v65, v65, v159
	ds_store_b32 v162, v65 offset:544
.LBB1348_466:                           ;   in Loop: Header=BB1348_418 Depth=2
	s_or_b32 exec_lo, exec_lo, s17
	v_cmp_gt_i32_e32 vcc_lo, 0, v158
	; wave barrier
	v_cndmask_b32_e64 v65, 0x7fffffff, 0, vcc_lo
	s_delay_alu instid0(VALU_DEP_1) | instskip(NEXT) | instid1(VALU_DEP_1)
	v_xor_b32_e32 v158, v65, v158
	v_cmp_ne_u32_e32 vcc_lo, 0x80000000, v158
	v_cndmask_b32_e32 v65, 0x7fffffff, v158, vcc_lo
	s_delay_alu instid0(VALU_DEP_1) | instskip(NEXT) | instid1(VALU_DEP_1)
	v_lshrrev_b32_e32 v65, s48, v65
	v_bitop3_b32 v164, v65, 1, s58 bitop3:0x80
	v_and_b32_e32 v167, s58, v65
	s_delay_alu instid0(VALU_DEP_2) | instskip(NEXT) | instid1(VALU_DEP_1)
	v_add_co_u32 v65, s17, v164, -1
	v_cndmask_b32_e64 v164, 0, 1, s17
	s_delay_alu instid0(VALU_DEP_3) | instskip(NEXT) | instid1(VALU_DEP_2)
	v_lshlrev_b32_e32 v165, 30, v167
	v_cmp_ne_u32_e32 vcc_lo, 0, v164
	s_delay_alu instid0(VALU_DEP_2) | instskip(SKIP_1) | instid1(VALU_DEP_2)
	v_not_b32_e32 v164, v165
	v_bitop3_b32 v65, vcc_lo, exec_lo, v65 bitop3:0x48
	v_dual_ashrrev_i32 v164, 31, v164 :: v_dual_lshlrev_b32 v169, 29, v167
	v_dual_lshlrev_b32 v170, 28, v167 :: v_dual_lshlrev_b32 v172, 27, v167
	v_lshlrev_b32_e32 v174, 26, v167
	v_cmp_gt_i32_e64 s17, 0, v165
	s_delay_alu instid0(VALU_DEP_4)
	v_not_b32_e32 v165, v169
	v_lshlrev_b32_e32 v175, 25, v167
	v_cmp_gt_i32_e64 s18, 0, v169
	v_cmp_gt_i32_e64 s19, 0, v170
	v_not_b32_e32 v169, v170
	v_not_b32_e32 v170, v172
	v_ashrrev_i32_e32 v165, 31, v165
	v_cmp_gt_i32_e64 s20, 0, v172
	v_cmp_gt_i32_e64 s21, 0, v174
	v_not_b32_e32 v172, v174
	v_not_b32_e32 v174, v175
	v_dual_ashrrev_i32 v169, 31, v169 :: v_dual_ashrrev_i32 v170, 31, v170
	v_xor_b32_e32 v164, s17, v164
	s_delay_alu instid0(VALU_DEP_4) | instskip(SKIP_3) | instid1(VALU_DEP_4)
	v_dual_ashrrev_i32 v172, 31, v172 :: v_dual_bitop2_b32 v165, s18, v165 bitop3:0x14
	v_cmp_gt_i32_e64 s22, 0, v175
	v_ashrrev_i32_e32 v174, 31, v174
	v_xor_b32_e32 v170, s20, v170
	v_bitop3_b32 v65, v65, v165, v164 bitop3:0x80
	v_mad_u32_u24 v164, v167, 36, v25
	v_mul_u32_u24_e32 v167, 36, v167
	v_xor_b32_e32 v169, s19, v169
	v_xor_b32_e32 v165, s21, v172
	;; [unrolled: 1-line block ×3, first 2 shown]
	ds_load_b32 v164, v164 offset:544
	v_add_nc_u32_e32 v167, v25, v167
	v_bitop3_b32 v65, v65, v170, v169 bitop3:0x80
	; wave barrier
	s_delay_alu instid0(VALU_DEP_1) | instskip(NEXT) | instid1(VALU_DEP_1)
	v_bitop3_b32 v65, v65, v172, v165 bitop3:0x80
	v_mbcnt_lo_u32_b32 v165, v65, 0
	v_cmp_ne_u32_e64 s17, 0, v65
	s_delay_alu instid0(VALU_DEP_2) | instskip(SKIP_1) | instid1(SALU_CYCLE_1)
	v_cmp_eq_u32_e32 vcc_lo, 0, v165
	s_and_b32 s18, s17, vcc_lo
	s_and_saveexec_b32 s17, s18
	s_cbranch_execz .LBB1348_468
; %bb.467:                              ;   in Loop: Header=BB1348_418 Depth=2
	s_wait_dscnt 0x0
	v_bcnt_u32_b32 v65, v65, v164
	ds_store_b32 v167, v65 offset:544
.LBB1348_468:                           ;   in Loop: Header=BB1348_418 Depth=2
	s_or_b32 exec_lo, exec_lo, s17
	v_cmp_gt_i32_e32 vcc_lo, 0, v163
	; wave barrier
	v_cndmask_b32_e64 v65, 0x7fffffff, 0, vcc_lo
	s_delay_alu instid0(VALU_DEP_1) | instskip(NEXT) | instid1(VALU_DEP_1)
	v_xor_b32_e32 v163, v65, v163
	v_cmp_ne_u32_e32 vcc_lo, 0x80000000, v163
	v_cndmask_b32_e32 v65, 0x7fffffff, v163, vcc_lo
	s_delay_alu instid0(VALU_DEP_1) | instskip(NEXT) | instid1(VALU_DEP_1)
	v_lshrrev_b32_e32 v65, s48, v65
	v_bitop3_b32 v169, v65, 1, s58 bitop3:0x80
	v_and_b32_e32 v172, s58, v65
	s_delay_alu instid0(VALU_DEP_2) | instskip(NEXT) | instid1(VALU_DEP_1)
	v_add_co_u32 v65, s17, v169, -1
	v_cndmask_b32_e64 v169, 0, 1, s17
	s_delay_alu instid0(VALU_DEP_3) | instskip(NEXT) | instid1(VALU_DEP_2)
	v_dual_lshlrev_b32 v170, 30, v172 :: v_dual_lshlrev_b32 v174, 29, v172
	v_cmp_ne_u32_e32 vcc_lo, 0, v169
	s_delay_alu instid0(VALU_DEP_2) | instskip(SKIP_1) | instid1(VALU_DEP_4)
	v_cmp_gt_i32_e64 s17, 0, v170
	v_not_b32_e32 v169, v170
	v_not_b32_e32 v170, v174
	v_bitop3_b32 v65, vcc_lo, exec_lo, v65 bitop3:0x48
	s_delay_alu instid0(VALU_DEP_2) | instskip(SKIP_3) | instid1(VALU_DEP_3)
	v_dual_ashrrev_i32 v169, 31, v169 :: v_dual_ashrrev_i32 v170, 31, v170
	v_dual_lshlrev_b32 v175, 28, v172 :: v_dual_lshlrev_b32 v176, 27, v172
	v_dual_lshlrev_b32 v177, 26, v172 :: v_dual_lshlrev_b32 v178, 25, v172
	v_cmp_gt_i32_e64 s18, 0, v174
	v_cmp_gt_i32_e64 s19, 0, v175
	v_not_b32_e32 v174, v175
	v_not_b32_e32 v175, v176
	v_cmp_gt_i32_e64 s20, 0, v176
	v_cmp_gt_i32_e64 s21, 0, v177
	v_not_b32_e32 v176, v177
	v_not_b32_e32 v177, v178
	v_dual_ashrrev_i32 v174, 31, v174 :: v_dual_ashrrev_i32 v175, 31, v175
	s_delay_alu instid0(VALU_DEP_3) | instskip(NEXT) | instid1(VALU_DEP_3)
	v_dual_ashrrev_i32 v176, 31, v176 :: v_dual_bitop2_b32 v169, s17, v169 bitop3:0x14
	v_dual_ashrrev_i32 v177, 31, v177 :: v_dual_bitop2_b32 v170, s18, v170 bitop3:0x14
	v_cmp_gt_i32_e64 s22, 0, v178
	s_delay_alu instid0(VALU_DEP_4) | instskip(NEXT) | instid1(VALU_DEP_3)
	v_xor_b32_e32 v175, s20, v175
	v_bitop3_b32 v65, v65, v170, v169 bitop3:0x80
	v_mad_u32_u24 v169, v172, 36, v25
	v_mul_u32_u24_e32 v172, 36, v172
	v_xor_b32_e32 v174, s19, v174
	v_xor_b32_e32 v170, s21, v176
	;; [unrolled: 1-line block ×3, first 2 shown]
	ds_load_b32 v169, v169 offset:544
	v_add_nc_u32_e32 v172, v25, v172
	v_bitop3_b32 v65, v65, v175, v174 bitop3:0x80
	; wave barrier
	s_delay_alu instid0(VALU_DEP_1) | instskip(NEXT) | instid1(VALU_DEP_1)
	v_bitop3_b32 v65, v65, v176, v170 bitop3:0x80
	v_mbcnt_lo_u32_b32 v170, v65, 0
	v_cmp_ne_u32_e64 s17, 0, v65
	s_delay_alu instid0(VALU_DEP_2) | instskip(SKIP_1) | instid1(SALU_CYCLE_1)
	v_cmp_eq_u32_e32 vcc_lo, 0, v170
	s_and_b32 s18, s17, vcc_lo
	s_and_saveexec_b32 s17, s18
	s_cbranch_execz .LBB1348_470
; %bb.469:                              ;   in Loop: Header=BB1348_418 Depth=2
	s_wait_dscnt 0x0
	v_bcnt_u32_b32 v65, v65, v169
	ds_store_b32 v172, v65 offset:544
.LBB1348_470:                           ;   in Loop: Header=BB1348_418 Depth=2
	s_or_b32 exec_lo, exec_lo, s17
	v_cmp_gt_i32_e32 vcc_lo, 0, v168
	; wave barrier
	v_cndmask_b32_e64 v65, 0x7fffffff, 0, vcc_lo
	s_delay_alu instid0(VALU_DEP_1) | instskip(NEXT) | instid1(VALU_DEP_1)
	v_xor_b32_e32 v168, v65, v168
	v_cmp_ne_u32_e32 vcc_lo, 0x80000000, v168
	v_cndmask_b32_e32 v65, 0x7fffffff, v168, vcc_lo
	s_delay_alu instid0(VALU_DEP_1) | instskip(NEXT) | instid1(VALU_DEP_1)
	v_lshrrev_b32_e32 v65, s48, v65
	v_bitop3_b32 v174, v65, 1, s58 bitop3:0x80
	v_and_b32_e32 v176, s58, v65
	s_delay_alu instid0(VALU_DEP_2) | instskip(NEXT) | instid1(VALU_DEP_1)
	v_add_co_u32 v65, s17, v174, -1
	v_cndmask_b32_e64 v174, 0, 1, s17
	s_delay_alu instid0(VALU_DEP_3) | instskip(NEXT) | instid1(VALU_DEP_2)
	v_dual_lshlrev_b32 v175, 30, v176 :: v_dual_lshlrev_b32 v177, 29, v176
	v_cmp_ne_u32_e32 vcc_lo, 0, v174
	s_delay_alu instid0(VALU_DEP_2) | instskip(SKIP_1) | instid1(VALU_DEP_4)
	v_cmp_gt_i32_e64 s17, 0, v175
	v_not_b32_e32 v174, v175
	v_not_b32_e32 v175, v177
	v_cmp_gt_i32_e64 s18, 0, v177
	v_bitop3_b32 v65, vcc_lo, exec_lo, v65 bitop3:0x48
	s_delay_alu instid0(VALU_DEP_3) | instskip(SKIP_2) | instid1(VALU_DEP_2)
	v_dual_ashrrev_i32 v174, 31, v174 :: v_dual_ashrrev_i32 v175, 31, v175
	v_dual_lshlrev_b32 v178, 28, v176 :: v_dual_lshlrev_b32 v179, 27, v176
	v_dual_lshlrev_b32 v180, 26, v176 :: v_dual_lshlrev_b32 v181, 25, v176
	v_cmp_gt_i32_e64 s19, 0, v178
	v_not_b32_e32 v177, v178
	s_delay_alu instid0(VALU_DEP_4)
	v_not_b32_e32 v178, v179
	v_cmp_gt_i32_e64 s20, 0, v179
	v_cmp_gt_i32_e64 s21, 0, v180
	v_not_b32_e32 v179, v180
	v_not_b32_e32 v180, v181
	v_dual_ashrrev_i32 v177, 31, v177 :: v_dual_ashrrev_i32 v178, 31, v178
	s_delay_alu instid0(VALU_DEP_3) | instskip(NEXT) | instid1(VALU_DEP_3)
	v_dual_ashrrev_i32 v179, 31, v179 :: v_dual_bitop2_b32 v174, s17, v174 bitop3:0x14
	v_dual_ashrrev_i32 v180, 31, v180 :: v_dual_bitop2_b32 v175, s18, v175 bitop3:0x14
	v_cmp_gt_i32_e64 s22, 0, v181
	s_delay_alu instid0(VALU_DEP_4) | instskip(NEXT) | instid1(VALU_DEP_3)
	v_xor_b32_e32 v178, s20, v178
	v_bitop3_b32 v65, v65, v175, v174 bitop3:0x80
	v_mad_u32_u24 v174, v176, 36, v25
	v_mul_u32_u24_e32 v176, 36, v176
	v_xor_b32_e32 v177, s19, v177
	v_xor_b32_e32 v175, s21, v179
	;; [unrolled: 1-line block ×3, first 2 shown]
	ds_load_b32 v174, v174 offset:544
	v_add_nc_u32_e32 v176, v25, v176
	v_bitop3_b32 v65, v65, v178, v177 bitop3:0x80
	; wave barrier
	s_delay_alu instid0(VALU_DEP_1) | instskip(NEXT) | instid1(VALU_DEP_1)
	v_bitop3_b32 v65, v65, v179, v175 bitop3:0x80
	v_mbcnt_lo_u32_b32 v175, v65, 0
	v_cmp_ne_u32_e64 s17, 0, v65
	s_delay_alu instid0(VALU_DEP_2) | instskip(SKIP_1) | instid1(SALU_CYCLE_1)
	v_cmp_eq_u32_e32 vcc_lo, 0, v175
	s_and_b32 s18, s17, vcc_lo
	s_and_saveexec_b32 s17, s18
	s_cbranch_execz .LBB1348_472
; %bb.471:                              ;   in Loop: Header=BB1348_418 Depth=2
	s_wait_dscnt 0x0
	v_bcnt_u32_b32 v65, v65, v174
	ds_store_b32 v176, v65 offset:544
.LBB1348_472:                           ;   in Loop: Header=BB1348_418 Depth=2
	s_or_b32 exec_lo, exec_lo, s17
	v_cmp_gt_i32_e32 vcc_lo, 0, v173
	; wave barrier
	v_cndmask_b32_e64 v65, 0x7fffffff, 0, vcc_lo
	s_delay_alu instid0(VALU_DEP_1) | instskip(NEXT) | instid1(VALU_DEP_1)
	v_xor_b32_e32 v173, v65, v173
	v_cmp_ne_u32_e32 vcc_lo, 0x80000000, v173
	v_cndmask_b32_e32 v65, 0x7fffffff, v173, vcc_lo
	s_delay_alu instid0(VALU_DEP_1) | instskip(NEXT) | instid1(VALU_DEP_1)
	v_lshrrev_b32_e32 v65, s48, v65
	v_and_b32_e32 v179, s58, v65
	s_delay_alu instid0(VALU_DEP_1) | instskip(SKIP_2) | instid1(VALU_DEP_3)
	v_lshlrev_b32_e32 v181, 28, v179
	v_bitop3_b32 v177, v65, 1, s58 bitop3:0x80
	v_dual_lshlrev_b32 v178, 30, v179 :: v_dual_lshlrev_b32 v180, 29, v179
	v_cmp_gt_i32_e64 s19, 0, v181
	s_delay_alu instid0(VALU_DEP_3) | instskip(NEXT) | instid1(VALU_DEP_1)
	v_add_co_u32 v65, s17, v177, -1
	v_cndmask_b32_e64 v177, 0, 1, s17
	s_delay_alu instid0(VALU_DEP_4) | instskip(SKIP_1) | instid1(VALU_DEP_3)
	v_cmp_gt_i32_e64 s17, 0, v178
	v_cmp_gt_i32_e64 s18, 0, v180
	v_cmp_ne_u32_e32 vcc_lo, 0, v177
	v_not_b32_e32 v177, v178
	v_not_b32_e32 v178, v180
	;; [unrolled: 1-line block ×3, first 2 shown]
	v_bitop3_b32 v65, vcc_lo, exec_lo, v65 bitop3:0x48
	s_delay_alu instid0(VALU_DEP_3) | instskip(SKIP_2) | instid1(VALU_DEP_2)
	v_dual_ashrrev_i32 v177, 31, v177 :: v_dual_ashrrev_i32 v178, 31, v178
	v_dual_lshlrev_b32 v182, 27, v179 :: v_dual_lshlrev_b32 v183, 26, v179
	v_lshlrev_b32_e32 v184, 25, v179
	v_not_b32_e32 v181, v182
	v_cmp_gt_i32_e64 s20, 0, v182
	s_delay_alu instid0(VALU_DEP_4) | instskip(SKIP_3) | instid1(VALU_DEP_3)
	v_cmp_gt_i32_e64 s21, 0, v183
	v_not_b32_e32 v182, v183
	v_not_b32_e32 v183, v184
	v_dual_ashrrev_i32 v180, 31, v180 :: v_dual_ashrrev_i32 v181, 31, v181
	v_dual_ashrrev_i32 v182, 31, v182 :: v_dual_bitop2_b32 v177, s17, v177 bitop3:0x14
	s_delay_alu instid0(VALU_DEP_3) | instskip(SKIP_1) | instid1(VALU_DEP_4)
	v_dual_ashrrev_i32 v183, 31, v183 :: v_dual_bitop2_b32 v178, s18, v178 bitop3:0x14
	v_cmp_gt_i32_e64 s22, 0, v184
	v_xor_b32_e32 v181, s20, v181
	s_delay_alu instid0(VALU_DEP_3)
	v_bitop3_b32 v65, v65, v178, v177 bitop3:0x80
	v_mad_u32_u24 v177, v179, 36, v25
	v_mul_u32_u24_e32 v179, 36, v179
	v_xor_b32_e32 v180, s19, v180
	v_xor_b32_e32 v178, s21, v182
	;; [unrolled: 1-line block ×3, first 2 shown]
	ds_load_b32 v177, v177 offset:544
	v_add_nc_u32_e32 v179, v25, v179
	v_bitop3_b32 v65, v65, v181, v180 bitop3:0x80
	; wave barrier
	s_delay_alu instid0(VALU_DEP_1) | instskip(NEXT) | instid1(VALU_DEP_1)
	v_bitop3_b32 v65, v65, v182, v178 bitop3:0x80
	v_mbcnt_lo_u32_b32 v178, v65, 0
	v_cmp_ne_u32_e64 s17, 0, v65
	s_delay_alu instid0(VALU_DEP_2) | instskip(SKIP_1) | instid1(SALU_CYCLE_1)
	v_cmp_eq_u32_e32 vcc_lo, 0, v178
	s_and_b32 s18, s17, vcc_lo
	s_and_saveexec_b32 s17, s18
	s_cbranch_execz .LBB1348_474
; %bb.473:                              ;   in Loop: Header=BB1348_418 Depth=2
	s_wait_dscnt 0x0
	v_bcnt_u32_b32 v65, v65, v177
	ds_store_b32 v179, v65 offset:544
.LBB1348_474:                           ;   in Loop: Header=BB1348_418 Depth=2
	s_or_b32 exec_lo, exec_lo, s17
	v_cmp_gt_i32_e32 vcc_lo, 0, v171
	; wave barrier
	v_cndmask_b32_e64 v65, 0x7fffffff, 0, vcc_lo
	s_delay_alu instid0(VALU_DEP_1) | instskip(NEXT) | instid1(VALU_DEP_1)
	v_xor_b32_e32 v171, v65, v171
	v_cmp_ne_u32_e32 vcc_lo, 0x80000000, v171
	v_cndmask_b32_e32 v65, 0x7fffffff, v171, vcc_lo
	s_delay_alu instid0(VALU_DEP_1) | instskip(NEXT) | instid1(VALU_DEP_1)
	v_lshrrev_b32_e32 v65, s48, v65
	v_bitop3_b32 v180, v65, 1, s58 bitop3:0x80
	v_and_b32_e32 v182, s58, v65
	s_delay_alu instid0(VALU_DEP_2) | instskip(NEXT) | instid1(VALU_DEP_1)
	v_add_co_u32 v65, s17, v180, -1
	v_cndmask_b32_e64 v180, 0, 1, s17
	s_delay_alu instid0(VALU_DEP_3) | instskip(NEXT) | instid1(VALU_DEP_2)
	v_lshlrev_b32_e32 v181, 30, v182
	v_cmp_ne_u32_e32 vcc_lo, 0, v180
	s_delay_alu instid0(VALU_DEP_2) | instskip(SKIP_1) | instid1(VALU_DEP_2)
	v_not_b32_e32 v180, v181
	v_bitop3_b32 v65, vcc_lo, exec_lo, v65 bitop3:0x48
	v_dual_ashrrev_i32 v180, 31, v180 :: v_dual_lshlrev_b32 v183, 29, v182
	v_dual_lshlrev_b32 v184, 28, v182 :: v_dual_lshlrev_b32 v185, 27, v182
	v_lshlrev_b32_e32 v186, 26, v182
	v_cmp_gt_i32_e64 s17, 0, v181
	s_delay_alu instid0(VALU_DEP_4)
	v_not_b32_e32 v181, v183
	v_lshlrev_b32_e32 v187, 25, v182
	v_cmp_gt_i32_e64 s18, 0, v183
	v_cmp_gt_i32_e64 s19, 0, v184
	v_not_b32_e32 v183, v184
	v_not_b32_e32 v184, v185
	v_ashrrev_i32_e32 v181, 31, v181
	v_cmp_gt_i32_e64 s20, 0, v185
	v_cmp_gt_i32_e64 s21, 0, v186
	v_not_b32_e32 v185, v186
	v_not_b32_e32 v186, v187
	v_dual_ashrrev_i32 v183, 31, v183 :: v_dual_ashrrev_i32 v184, 31, v184
	s_delay_alu instid0(VALU_DEP_3) | instskip(NEXT) | instid1(VALU_DEP_3)
	v_dual_ashrrev_i32 v185, 31, v185 :: v_dual_bitop2_b32 v180, s17, v180 bitop3:0x14
	v_dual_ashrrev_i32 v186, 31, v186 :: v_dual_bitop2_b32 v181, s18, v181 bitop3:0x14
	v_cmp_gt_i32_e64 s22, 0, v187
	s_delay_alu instid0(VALU_DEP_4) | instskip(NEXT) | instid1(VALU_DEP_3)
	v_xor_b32_e32 v184, s20, v184
	v_bitop3_b32 v65, v65, v181, v180 bitop3:0x80
	v_mad_u32_u24 v180, v182, 36, v25
	v_mul_u32_u24_e32 v182, 36, v182
	v_xor_b32_e32 v183, s19, v183
	v_xor_b32_e32 v181, s21, v185
	;; [unrolled: 1-line block ×3, first 2 shown]
	ds_load_b32 v180, v180 offset:544
	v_add_nc_u32_e32 v182, v25, v182
	v_bitop3_b32 v65, v65, v184, v183 bitop3:0x80
	; wave barrier
	s_delay_alu instid0(VALU_DEP_1) | instskip(NEXT) | instid1(VALU_DEP_1)
	v_bitop3_b32 v65, v65, v185, v181 bitop3:0x80
	v_mbcnt_lo_u32_b32 v181, v65, 0
	v_cmp_ne_u32_e64 s17, 0, v65
	s_delay_alu instid0(VALU_DEP_2) | instskip(SKIP_1) | instid1(SALU_CYCLE_1)
	v_cmp_eq_u32_e32 vcc_lo, 0, v181
	s_and_b32 s18, s17, vcc_lo
	s_and_saveexec_b32 s17, s18
	s_cbranch_execz .LBB1348_476
; %bb.475:                              ;   in Loop: Header=BB1348_418 Depth=2
	s_wait_dscnt 0x0
	v_bcnt_u32_b32 v65, v65, v180
	ds_store_b32 v182, v65 offset:544
.LBB1348_476:                           ;   in Loop: Header=BB1348_418 Depth=2
	s_or_b32 exec_lo, exec_lo, s17
	v_cmp_gt_i32_e32 vcc_lo, 0, v166
	; wave barrier
	v_cndmask_b32_e64 v65, 0x7fffffff, 0, vcc_lo
	s_delay_alu instid0(VALU_DEP_1) | instskip(NEXT) | instid1(VALU_DEP_1)
	v_xor_b32_e32 v166, v65, v166
	v_cmp_ne_u32_e32 vcc_lo, 0x80000000, v166
	v_cndmask_b32_e32 v65, 0x7fffffff, v166, vcc_lo
	s_delay_alu instid0(VALU_DEP_1) | instskip(NEXT) | instid1(VALU_DEP_1)
	v_lshrrev_b32_e32 v65, s48, v65
	v_bitop3_b32 v183, v65, 1, s58 bitop3:0x80
	v_and_b32_e32 v186, s58, v65
	s_delay_alu instid0(VALU_DEP_2) | instskip(NEXT) | instid1(VALU_DEP_1)
	v_add_co_u32 v65, s17, v183, -1
	v_cndmask_b32_e64 v183, 0, 1, s17
	s_delay_alu instid0(VALU_DEP_3) | instskip(NEXT) | instid1(VALU_DEP_2)
	v_lshlrev_b32_e32 v184, 30, v186
	v_cmp_ne_u32_e32 vcc_lo, 0, v183
	s_delay_alu instid0(VALU_DEP_2) | instskip(SKIP_1) | instid1(VALU_DEP_2)
	v_not_b32_e32 v183, v184
	v_bitop3_b32 v65, vcc_lo, exec_lo, v65 bitop3:0x48
	v_dual_ashrrev_i32 v183, 31, v183 :: v_dual_lshlrev_b32 v185, 29, v186
	v_cmp_gt_i32_e64 s17, 0, v184
	v_dual_lshlrev_b32 v187, 28, v186 :: v_dual_lshlrev_b32 v188, 27, v186
	v_dual_lshlrev_b32 v189, 26, v186 :: v_dual_lshlrev_b32 v190, 25, v186
	s_delay_alu instid0(VALU_DEP_4) | instskip(SKIP_1) | instid1(VALU_DEP_4)
	v_not_b32_e32 v184, v185
	v_cmp_gt_i32_e64 s18, 0, v185
	v_cmp_gt_i32_e64 s19, 0, v187
	v_not_b32_e32 v185, v187
	v_cmp_gt_i32_e64 s20, 0, v188
	v_ashrrev_i32_e32 v184, 31, v184
	v_not_b32_e32 v187, v188
	v_cmp_gt_i32_e64 s21, 0, v189
	v_not_b32_e32 v188, v189
	v_not_b32_e32 v189, v190
	v_xor_b32_e32 v183, s17, v183
	v_dual_ashrrev_i32 v185, 31, v185 :: v_dual_bitop2_b32 v184, s18, v184 bitop3:0x14
	s_delay_alu instid0(VALU_DEP_4) | instskip(NEXT) | instid1(VALU_DEP_4)
	v_dual_ashrrev_i32 v187, 31, v187 :: v_dual_ashrrev_i32 v188, 31, v188
	v_ashrrev_i32_e32 v189, 31, v189
	s_delay_alu instid0(VALU_DEP_3)
	v_bitop3_b32 v65, v65, v184, v183 bitop3:0x80
	v_mad_u32_u24 v183, v186, 36, v25
	v_cmp_gt_i32_e64 s22, 0, v190
	v_xor_b32_e32 v187, s20, v187
	v_xor_b32_e32 v188, s21, v188
	ds_load_b32 v184, v183 offset:544
	v_mul_u32_u24_e32 v183, 36, v186
	v_xor_b32_e32 v185, s19, v185
	v_xor_b32_e32 v189, s22, v189
	; wave barrier
	s_delay_alu instid0(VALU_DEP_3) | instskip(NEXT) | instid1(VALU_DEP_3)
	v_add_nc_u32_e32 v186, v25, v183
	v_bitop3_b32 v65, v65, v187, v185 bitop3:0x80
	s_delay_alu instid0(VALU_DEP_1) | instskip(NEXT) | instid1(VALU_DEP_1)
	v_bitop3_b32 v65, v65, v189, v188 bitop3:0x80
	v_mbcnt_lo_u32_b32 v185, v65, 0
	v_cmp_ne_u32_e64 s17, 0, v65
	s_delay_alu instid0(VALU_DEP_2) | instskip(SKIP_1) | instid1(SALU_CYCLE_1)
	v_cmp_eq_u32_e32 vcc_lo, 0, v185
	s_and_b32 s18, s17, vcc_lo
	s_and_saveexec_b32 s17, s18
	s_cbranch_execz .LBB1348_478
; %bb.477:                              ;   in Loop: Header=BB1348_418 Depth=2
	s_wait_dscnt 0x0
	v_bcnt_u32_b32 v65, v65, v184
	ds_store_b32 v186, v65 offset:544
.LBB1348_478:                           ;   in Loop: Header=BB1348_418 Depth=2
	s_or_b32 exec_lo, exec_lo, s17
	v_cmp_gt_i32_e32 vcc_lo, 0, v161
	; wave barrier
	v_cndmask_b32_e64 v65, 0x7fffffff, 0, vcc_lo
	s_delay_alu instid0(VALU_DEP_1) | instskip(NEXT) | instid1(VALU_DEP_1)
	v_xor_b32_e32 v183, v65, v161
	v_cmp_ne_u32_e32 vcc_lo, 0x80000000, v183
	v_cndmask_b32_e32 v65, 0x7fffffff, v183, vcc_lo
	s_delay_alu instid0(VALU_DEP_1) | instskip(NEXT) | instid1(VALU_DEP_1)
	v_lshrrev_b32_e32 v65, s48, v65
	v_and_b32_e32 v187, s58, v65
	s_delay_alu instid0(VALU_DEP_1) | instskip(SKIP_3) | instid1(VALU_DEP_4)
	v_lshlrev_b32_e32 v189, 29, v187
	v_bitop3_b32 v161, v65, 1, s58 bitop3:0x80
	v_dual_lshlrev_b32 v188, 30, v187 :: v_dual_lshlrev_b32 v190, 28, v187
	v_lshlrev_b32_e32 v191, 27, v187
	v_cmp_gt_i32_e64 s18, 0, v189
	s_delay_alu instid0(VALU_DEP_4) | instskip(NEXT) | instid1(VALU_DEP_1)
	v_add_co_u32 v65, s17, v161, -1
	v_cndmask_b32_e64 v161, 0, 1, s17
	v_cmp_gt_i32_e64 s17, 0, v188
	v_cmp_gt_i32_e64 s19, 0, v190
	;; [unrolled: 1-line block ×3, first 2 shown]
	s_delay_alu instid0(VALU_DEP_4)
	v_cmp_ne_u32_e32 vcc_lo, 0, v161
	v_not_b32_e32 v161, v188
	v_not_b32_e32 v188, v189
	;; [unrolled: 1-line block ×4, first 2 shown]
	v_bitop3_b32 v65, vcc_lo, exec_lo, v65 bitop3:0x48
	s_delay_alu instid0(VALU_DEP_4) | instskip(NEXT) | instid1(VALU_DEP_3)
	v_dual_ashrrev_i32 v188, 31, v188 :: v_dual_ashrrev_i32 v161, 31, v161
	v_dual_ashrrev_i32 v190, 31, v190 :: v_dual_lshlrev_b32 v192, 26, v187
	s_delay_alu instid0(VALU_DEP_2) | instskip(NEXT) | instid1(VALU_DEP_2)
	v_dual_lshlrev_b32 v193, 25, v187 :: v_dual_bitop2_b32 v188, s18, v188 bitop3:0x14
	v_cmp_gt_i32_e64 s21, 0, v192
	v_not_b32_e32 v191, v192
	s_delay_alu instid0(VALU_DEP_3) | instskip(SKIP_3) | instid1(VALU_DEP_4)
	v_not_b32_e32 v192, v193
	v_xor_b32_e32 v161, s17, v161
	v_ashrrev_i32_e32 v189, 31, v189
	v_cmp_gt_i32_e64 s22, 0, v193
	v_dual_ashrrev_i32 v191, 31, v191 :: v_dual_ashrrev_i32 v192, 31, v192
	s_delay_alu instid0(VALU_DEP_4) | instskip(SKIP_2) | instid1(VALU_DEP_4)
	v_bitop3_b32 v65, v65, v188, v161 bitop3:0x80
	v_mad_u32_u24 v161, v187, 36, v25
	v_xor_b32_e32 v189, s19, v189
	v_xor_b32_e32 v191, s21, v191
	;; [unrolled: 1-line block ×3, first 2 shown]
	ds_load_b32 v188, v161 offset:544
	v_mul_u32_u24_e32 v161, 36, v187
	v_xor_b32_e32 v190, s20, v190
	; wave barrier
	s_delay_alu instid0(VALU_DEP_2) | instskip(NEXT) | instid1(VALU_DEP_2)
	v_add_nc_u32_e32 v161, v25, v161
	v_bitop3_b32 v65, v65, v190, v189 bitop3:0x80
	s_delay_alu instid0(VALU_DEP_1) | instskip(NEXT) | instid1(VALU_DEP_1)
	v_bitop3_b32 v65, v65, v192, v191 bitop3:0x80
	v_mbcnt_lo_u32_b32 v189, v65, 0
	v_cmp_ne_u32_e64 s17, 0, v65
	s_delay_alu instid0(VALU_DEP_2) | instskip(SKIP_1) | instid1(SALU_CYCLE_1)
	v_cmp_eq_u32_e32 vcc_lo, 0, v189
	s_and_b32 s18, s17, vcc_lo
	s_and_saveexec_b32 s17, s18
	s_cbranch_execz .LBB1348_480
; %bb.479:                              ;   in Loop: Header=BB1348_418 Depth=2
	s_wait_dscnt 0x0
	v_bcnt_u32_b32 v65, v65, v188
	ds_store_b32 v161, v65 offset:544
.LBB1348_480:                           ;   in Loop: Header=BB1348_418 Depth=2
	s_or_b32 exec_lo, exec_lo, s17
	v_cmp_gt_i32_e32 vcc_lo, 0, v157
	; wave barrier
	v_cndmask_b32_e64 v65, 0x7fffffff, 0, vcc_lo
	s_delay_alu instid0(VALU_DEP_1) | instskip(NEXT) | instid1(VALU_DEP_1)
	v_xor_b32_e32 v187, v65, v157
	v_cmp_ne_u32_e32 vcc_lo, 0x80000000, v187
	v_cndmask_b32_e32 v65, 0x7fffffff, v187, vcc_lo
	s_delay_alu instid0(VALU_DEP_1) | instskip(NEXT) | instid1(VALU_DEP_1)
	v_lshrrev_b32_e32 v65, s48, v65
	v_and_b32_e32 v190, s58, v65
	s_delay_alu instid0(VALU_DEP_1) | instskip(SKIP_2) | instid1(VALU_DEP_3)
	v_lshlrev_b32_e32 v193, 28, v190
	v_bitop3_b32 v157, v65, 1, s58 bitop3:0x80
	v_dual_lshlrev_b32 v191, 30, v190 :: v_dual_lshlrev_b32 v192, 29, v190
	v_cmp_gt_i32_e64 s19, 0, v193
	s_delay_alu instid0(VALU_DEP_3) | instskip(NEXT) | instid1(VALU_DEP_1)
	v_add_co_u32 v65, s17, v157, -1
	v_cndmask_b32_e64 v157, 0, 1, s17
	s_delay_alu instid0(VALU_DEP_4) | instskip(SKIP_1) | instid1(VALU_DEP_3)
	v_cmp_gt_i32_e64 s17, 0, v191
	v_cmp_gt_i32_e64 s18, 0, v192
	v_cmp_ne_u32_e32 vcc_lo, 0, v157
	v_not_b32_e32 v157, v191
	v_not_b32_e32 v191, v192
	;; [unrolled: 1-line block ×3, first 2 shown]
	v_bitop3_b32 v65, vcc_lo, exec_lo, v65 bitop3:0x48
	s_delay_alu instid0(VALU_DEP_3) | instskip(SKIP_1) | instid1(VALU_DEP_2)
	v_dual_ashrrev_i32 v157, 31, v157 :: v_dual_ashrrev_i32 v191, 31, v191
	v_dual_lshlrev_b32 v194, 27, v190 :: v_dual_lshlrev_b32 v195, 26, v190
	v_dual_lshlrev_b32 v196, 25, v190 :: v_dual_bitop2_b32 v191, s18, v191 bitop3:0x14
	s_delay_alu instid0(VALU_DEP_2) | instskip(SKIP_1) | instid1(VALU_DEP_4)
	v_not_b32_e32 v193, v194
	v_cmp_gt_i32_e64 s20, 0, v194
	v_cmp_gt_i32_e64 s21, 0, v195
	v_not_b32_e32 v194, v195
	v_not_b32_e32 v195, v196
	v_dual_ashrrev_i32 v192, 31, v192 :: v_dual_ashrrev_i32 v193, 31, v193
	s_delay_alu instid0(VALU_DEP_3) | instskip(SKIP_1) | instid1(VALU_DEP_3)
	v_dual_ashrrev_i32 v194, 31, v194 :: v_dual_bitop2_b32 v157, s17, v157 bitop3:0x14
	v_cmp_gt_i32_e64 s22, 0, v196
	v_dual_ashrrev_i32 v195, 31, v195 :: v_dual_bitop2_b32 v192, s19, v192 bitop3:0x14
	s_delay_alu instid0(VALU_DEP_4) | instskip(NEXT) | instid1(VALU_DEP_4)
	v_xor_b32_e32 v193, s20, v193
	v_bitop3_b32 v65, v65, v191, v157 bitop3:0x80
	v_mad_u32_u24 v157, v190, 36, v25
	v_xor_b32_e32 v194, s21, v194
	v_xor_b32_e32 v195, s22, v195
	s_delay_alu instid0(VALU_DEP_4) | instskip(SKIP_3) | instid1(VALU_DEP_2)
	v_bitop3_b32 v65, v65, v193, v192 bitop3:0x80
	ds_load_b32 v191, v157 offset:544
	v_mul_u32_u24_e32 v157, 36, v190
	; wave barrier
	v_bitop3_b32 v65, v65, v195, v194 bitop3:0x80
	v_add_nc_u32_e32 v157, v25, v157
	s_delay_alu instid0(VALU_DEP_2) | instskip(SKIP_1) | instid1(VALU_DEP_2)
	v_mbcnt_lo_u32_b32 v192, v65, 0
	v_cmp_ne_u32_e64 s17, 0, v65
	v_cmp_eq_u32_e32 vcc_lo, 0, v192
	s_and_b32 s18, s17, vcc_lo
	s_delay_alu instid0(SALU_CYCLE_1)
	s_and_saveexec_b32 s17, s18
	s_cbranch_execz .LBB1348_482
; %bb.481:                              ;   in Loop: Header=BB1348_418 Depth=2
	s_wait_dscnt 0x0
	v_bcnt_u32_b32 v65, v65, v191
	ds_store_b32 v157, v65 offset:544
.LBB1348_482:                           ;   in Loop: Header=BB1348_418 Depth=2
	s_or_b32 exec_lo, exec_lo, s17
	v_cmp_gt_i32_e32 vcc_lo, 0, v152
	; wave barrier
	v_cndmask_b32_e64 v65, 0x7fffffff, 0, vcc_lo
	s_delay_alu instid0(VALU_DEP_1) | instskip(NEXT) | instid1(VALU_DEP_1)
	v_xor_b32_e32 v190, v65, v152
	v_cmp_ne_u32_e32 vcc_lo, 0x80000000, v190
	v_cndmask_b32_e32 v65, 0x7fffffff, v190, vcc_lo
	s_delay_alu instid0(VALU_DEP_1) | instskip(NEXT) | instid1(VALU_DEP_1)
	v_lshrrev_b32_e32 v65, s48, v65
	v_bitop3_b32 v152, v65, 1, s58 bitop3:0x80
	v_and_b32_e32 v193, s58, v65
	s_delay_alu instid0(VALU_DEP_2) | instskip(NEXT) | instid1(VALU_DEP_1)
	v_add_co_u32 v65, s17, v152, -1
	v_cndmask_b32_e64 v152, 0, 1, s17
	s_delay_alu instid0(VALU_DEP_3) | instskip(NEXT) | instid1(VALU_DEP_2)
	v_lshlrev_b32_e32 v194, 30, v193
	v_cmp_ne_u32_e32 vcc_lo, 0, v152
	s_delay_alu instid0(VALU_DEP_2) | instskip(SKIP_2) | instid1(VALU_DEP_3)
	v_not_b32_e32 v152, v194
	v_cmp_gt_i32_e64 s17, 0, v194
	v_bitop3_b32 v65, vcc_lo, exec_lo, v65 bitop3:0x48
	v_dual_ashrrev_i32 v152, 31, v152 :: v_dual_lshlrev_b32 v195, 29, v193
	v_dual_lshlrev_b32 v196, 28, v193 :: v_dual_lshlrev_b32 v197, 27, v193
	v_lshlrev_b32_e32 v198, 26, v193
	s_delay_alu instid0(VALU_DEP_3)
	v_not_b32_e32 v194, v195
	v_lshlrev_b32_e32 v199, 25, v193
	v_cmp_gt_i32_e64 s18, 0, v195
	v_cmp_gt_i32_e64 s19, 0, v196
	v_not_b32_e32 v195, v196
	v_not_b32_e32 v196, v197
	v_ashrrev_i32_e32 v194, 31, v194
	v_cmp_gt_i32_e64 s20, 0, v197
	v_cmp_gt_i32_e64 s21, 0, v198
	v_not_b32_e32 v197, v198
	v_not_b32_e32 v198, v199
	v_dual_ashrrev_i32 v195, 31, v195 :: v_dual_ashrrev_i32 v196, 31, v196
	s_delay_alu instid0(VALU_DEP_3) | instskip(SKIP_2) | instid1(VALU_DEP_4)
	v_dual_ashrrev_i32 v197, 31, v197 :: v_dual_bitop2_b32 v152, s17, v152 bitop3:0x14
	v_xor_b32_e32 v194, s18, v194
	v_cmp_gt_i32_e64 s22, 0, v199
	v_dual_ashrrev_i32 v198, 31, v198 :: v_dual_bitop2_b32 v195, s19, v195 bitop3:0x14
	v_xor_b32_e32 v196, s20, v196
	s_delay_alu instid0(VALU_DEP_4) | instskip(SKIP_3) | instid1(VALU_DEP_4)
	v_bitop3_b32 v65, v65, v194, v152 bitop3:0x80
	v_mad_u32_u24 v152, v193, 36, v25
	v_xor_b32_e32 v197, s21, v197
	v_xor_b32_e32 v198, s22, v198
	v_bitop3_b32 v65, v65, v196, v195 bitop3:0x80
	ds_load_b32 v194, v152 offset:544
	v_mul_u32_u24_e32 v152, 36, v193
	; wave barrier
	v_bitop3_b32 v65, v65, v198, v197 bitop3:0x80
	s_delay_alu instid0(VALU_DEP_2) | instskip(NEXT) | instid1(VALU_DEP_2)
	v_add_nc_u32_e32 v152, v25, v152
	v_mbcnt_lo_u32_b32 v195, v65, 0
	v_cmp_ne_u32_e64 s17, 0, v65
	s_delay_alu instid0(VALU_DEP_2) | instskip(SKIP_1) | instid1(SALU_CYCLE_1)
	v_cmp_eq_u32_e32 vcc_lo, 0, v195
	s_and_b32 s18, s17, vcc_lo
	s_and_saveexec_b32 s17, s18
	s_cbranch_execz .LBB1348_484
; %bb.483:                              ;   in Loop: Header=BB1348_418 Depth=2
	s_wait_dscnt 0x0
	v_bcnt_u32_b32 v65, v65, v194
	ds_store_b32 v152, v65 offset:544
.LBB1348_484:                           ;   in Loop: Header=BB1348_418 Depth=2
	s_or_b32 exec_lo, exec_lo, s17
	v_cmp_gt_i32_e32 vcc_lo, 0, v67
	; wave barrier
	v_cndmask_b32_e64 v65, 0x7fffffff, 0, vcc_lo
	s_delay_alu instid0(VALU_DEP_1) | instskip(NEXT) | instid1(VALU_DEP_1)
	v_xor_b32_e32 v193, v65, v67
	v_cmp_ne_u32_e32 vcc_lo, 0x80000000, v193
	v_cndmask_b32_e32 v65, 0x7fffffff, v193, vcc_lo
	s_delay_alu instid0(VALU_DEP_1) | instskip(NEXT) | instid1(VALU_DEP_1)
	v_lshrrev_b32_e32 v65, s48, v65
	v_bitop3_b32 v67, v65, 1, s58 bitop3:0x80
	v_and_b32_e32 v196, s58, v65
	s_delay_alu instid0(VALU_DEP_2) | instskip(NEXT) | instid1(VALU_DEP_1)
	v_add_co_u32 v65, s17, v67, -1
	v_cndmask_b32_e64 v67, 0, 1, s17
	s_delay_alu instid0(VALU_DEP_3) | instskip(NEXT) | instid1(VALU_DEP_2)
	v_lshlrev_b32_e32 v197, 30, v196
	v_cmp_ne_u32_e32 vcc_lo, 0, v67
	s_delay_alu instid0(VALU_DEP_2) | instskip(SKIP_1) | instid1(VALU_DEP_2)
	v_not_b32_e32 v67, v197
	v_bitop3_b32 v65, vcc_lo, exec_lo, v65 bitop3:0x48
	v_dual_ashrrev_i32 v67, 31, v67 :: v_dual_lshlrev_b32 v198, 29, v196
	v_dual_lshlrev_b32 v199, 28, v196 :: v_dual_lshlrev_b32 v200, 27, v196
	v_lshlrev_b32_e32 v201, 26, v196
	v_cmp_gt_i32_e64 s17, 0, v197
	s_delay_alu instid0(VALU_DEP_4)
	v_not_b32_e32 v197, v198
	v_lshlrev_b32_e32 v202, 25, v196
	v_cmp_gt_i32_e64 s18, 0, v198
	v_cmp_gt_i32_e64 s19, 0, v199
	v_not_b32_e32 v198, v199
	v_not_b32_e32 v199, v200
	v_ashrrev_i32_e32 v197, 31, v197
	v_cmp_gt_i32_e64 s20, 0, v200
	v_cmp_gt_i32_e64 s21, 0, v201
	v_not_b32_e32 v200, v201
	v_not_b32_e32 v201, v202
	v_dual_ashrrev_i32 v198, 31, v198 :: v_dual_ashrrev_i32 v199, 31, v199
	s_delay_alu instid0(VALU_DEP_3) | instskip(SKIP_2) | instid1(VALU_DEP_4)
	v_dual_ashrrev_i32 v200, 31, v200 :: v_dual_bitop2_b32 v67, s17, v67 bitop3:0x14
	v_xor_b32_e32 v197, s18, v197
	v_cmp_gt_i32_e64 s22, 0, v202
	v_dual_ashrrev_i32 v201, 31, v201 :: v_dual_bitop2_b32 v198, s19, v198 bitop3:0x14
	v_xor_b32_e32 v199, s20, v199
	s_delay_alu instid0(VALU_DEP_4) | instskip(SKIP_3) | instid1(VALU_DEP_4)
	v_bitop3_b32 v65, v65, v197, v67 bitop3:0x80
	v_mad_u32_u24 v67, v196, 36, v25
	v_xor_b32_e32 v200, s21, v200
	v_xor_b32_e32 v201, s22, v201
	v_bitop3_b32 v65, v65, v199, v198 bitop3:0x80
	ds_load_b32 v197, v67 offset:544
	v_mul_u32_u24_e32 v67, 36, v196
	; wave barrier
	v_bitop3_b32 v65, v65, v201, v200 bitop3:0x80
	s_delay_alu instid0(VALU_DEP_2) | instskip(NEXT) | instid1(VALU_DEP_2)
	v_add_nc_u32_e32 v199, v25, v67
	v_mbcnt_lo_u32_b32 v198, v65, 0
	v_cmp_ne_u32_e64 s17, 0, v65
	s_delay_alu instid0(VALU_DEP_2) | instskip(SKIP_1) | instid1(SALU_CYCLE_1)
	v_cmp_eq_u32_e32 vcc_lo, 0, v198
	s_and_b32 s18, s17, vcc_lo
	s_and_saveexec_b32 s17, s18
	s_cbranch_execz .LBB1348_486
; %bb.485:                              ;   in Loop: Header=BB1348_418 Depth=2
	s_wait_dscnt 0x0
	v_bcnt_u32_b32 v65, v65, v197
	ds_store_b32 v199, v65 offset:544
.LBB1348_486:                           ;   in Loop: Header=BB1348_418 Depth=2
	s_or_b32 exec_lo, exec_lo, s17
	v_cmp_gt_i32_e32 vcc_lo, 0, v66
	; wave barrier
	v_cndmask_b32_e64 v65, 0x7fffffff, 0, vcc_lo
	s_delay_alu instid0(VALU_DEP_1) | instskip(NEXT) | instid1(VALU_DEP_1)
	v_xor_b32_e32 v196, v65, v66
	v_cmp_ne_u32_e32 vcc_lo, 0x80000000, v196
	v_cndmask_b32_e32 v65, 0x7fffffff, v196, vcc_lo
	s_delay_alu instid0(VALU_DEP_1) | instskip(NEXT) | instid1(VALU_DEP_1)
	v_lshrrev_b32_e32 v65, s48, v65
	v_bitop3_b32 v66, v65, 1, s58 bitop3:0x80
	v_and_b32_e32 v67, s58, v65
	s_delay_alu instid0(VALU_DEP_2) | instskip(NEXT) | instid1(VALU_DEP_1)
	v_add_co_u32 v65, s17, v66, -1
	v_cndmask_b32_e64 v66, 0, 1, s17
	s_delay_alu instid0(VALU_DEP_3) | instskip(NEXT) | instid1(VALU_DEP_2)
	v_lshlrev_b32_e32 v200, 30, v67
	v_cmp_ne_u32_e32 vcc_lo, 0, v66
	s_delay_alu instid0(VALU_DEP_2) | instskip(SKIP_2) | instid1(VALU_DEP_3)
	v_not_b32_e32 v66, v200
	v_cmp_gt_i32_e64 s17, 0, v200
	v_bitop3_b32 v65, vcc_lo, exec_lo, v65 bitop3:0x48
	v_dual_ashrrev_i32 v66, 31, v66 :: v_dual_lshlrev_b32 v201, 29, v67
	v_dual_lshlrev_b32 v202, 28, v67 :: v_dual_lshlrev_b32 v203, 27, v67
	v_lshlrev_b32_e32 v204, 26, v67
	s_delay_alu instid0(VALU_DEP_3)
	v_not_b32_e32 v200, v201
	v_lshlrev_b32_e32 v205, 25, v67
	v_cmp_gt_i32_e64 s18, 0, v201
	v_cmp_gt_i32_e64 s19, 0, v202
	v_not_b32_e32 v201, v202
	v_not_b32_e32 v202, v203
	v_ashrrev_i32_e32 v200, 31, v200
	v_cmp_gt_i32_e64 s20, 0, v203
	v_cmp_gt_i32_e64 s21, 0, v204
	v_not_b32_e32 v203, v204
	v_not_b32_e32 v204, v205
	v_dual_ashrrev_i32 v201, 31, v201 :: v_dual_ashrrev_i32 v202, 31, v202
	s_delay_alu instid0(VALU_DEP_3) | instskip(SKIP_2) | instid1(VALU_DEP_4)
	v_dual_ashrrev_i32 v203, 31, v203 :: v_dual_bitop2_b32 v66, s17, v66 bitop3:0x14
	v_xor_b32_e32 v200, s18, v200
	v_cmp_gt_i32_e64 s22, 0, v205
	v_dual_ashrrev_i32 v204, 31, v204 :: v_dual_bitop2_b32 v201, s19, v201 bitop3:0x14
	v_xor_b32_e32 v202, s20, v202
	s_delay_alu instid0(VALU_DEP_4) | instskip(SKIP_3) | instid1(VALU_DEP_4)
	v_bitop3_b32 v65, v65, v200, v66 bitop3:0x80
	v_mad_u32_u24 v66, v67, 36, v25
	v_xor_b32_e32 v200, s21, v203
	v_xor_b32_e32 v203, s22, v204
	v_bitop3_b32 v65, v65, v202, v201 bitop3:0x80
	ds_load_b32 v201, v66 offset:544
	v_mul_u32_u24_e32 v66, 36, v67
	; wave barrier
	v_bitop3_b32 v65, v65, v203, v200 bitop3:0x80
	s_delay_alu instid0(VALU_DEP_2) | instskip(NEXT) | instid1(VALU_DEP_2)
	v_add_nc_u32_e32 v203, v25, v66
	v_mbcnt_lo_u32_b32 v202, v65, 0
	v_cmp_ne_u32_e64 s17, 0, v65
	s_delay_alu instid0(VALU_DEP_2) | instskip(SKIP_1) | instid1(SALU_CYCLE_1)
	v_cmp_eq_u32_e32 vcc_lo, 0, v202
	s_and_b32 s18, s17, vcc_lo
	s_and_saveexec_b32 s17, s18
	s_cbranch_execz .LBB1348_488
; %bb.487:                              ;   in Loop: Header=BB1348_418 Depth=2
	s_wait_dscnt 0x0
	v_bcnt_u32_b32 v65, v65, v201
	ds_store_b32 v203, v65 offset:544
.LBB1348_488:                           ;   in Loop: Header=BB1348_418 Depth=2
	s_or_b32 exec_lo, exec_lo, s17
	v_cmp_gt_i32_e32 vcc_lo, 0, v64
	; wave barrier
	v_cndmask_b32_e64 v65, 0x7fffffff, 0, vcc_lo
	s_delay_alu instid0(VALU_DEP_1) | instskip(NEXT) | instid1(VALU_DEP_1)
	v_xor_b32_e32 v200, v65, v64
	v_cmp_ne_u32_e32 vcc_lo, 0x80000000, v200
	v_cndmask_b32_e32 v64, 0x7fffffff, v200, vcc_lo
	s_delay_alu instid0(VALU_DEP_1) | instskip(NEXT) | instid1(VALU_DEP_1)
	v_lshrrev_b32_e32 v64, s48, v64
	v_bitop3_b32 v65, v64, 1, s58 bitop3:0x80
	v_and_b32_e32 v66, s58, v64
	s_delay_alu instid0(VALU_DEP_2) | instskip(NEXT) | instid1(VALU_DEP_1)
	v_add_co_u32 v64, s17, v65, -1
	v_cndmask_b32_e64 v65, 0, 1, s17
	s_delay_alu instid0(VALU_DEP_3) | instskip(NEXT) | instid1(VALU_DEP_2)
	v_lshlrev_b32_e32 v67, 30, v66
	v_cmp_ne_u32_e32 vcc_lo, 0, v65
	s_delay_alu instid0(VALU_DEP_2) | instskip(SKIP_2) | instid1(VALU_DEP_3)
	v_not_b32_e32 v65, v67
	v_cmp_gt_i32_e64 s17, 0, v67
	v_bitop3_b32 v64, vcc_lo, exec_lo, v64 bitop3:0x48
	v_dual_ashrrev_i32 v65, 31, v65 :: v_dual_lshlrev_b32 v204, 29, v66
	v_dual_lshlrev_b32 v205, 28, v66 :: v_dual_lshlrev_b32 v206, 27, v66
	v_lshlrev_b32_e32 v207, 26, v66
	s_delay_alu instid0(VALU_DEP_3)
	v_not_b32_e32 v67, v204
	v_lshlrev_b32_e32 v208, 25, v66
	v_cmp_gt_i32_e64 s18, 0, v204
	v_cmp_gt_i32_e64 s19, 0, v205
	v_not_b32_e32 v204, v205
	v_not_b32_e32 v205, v206
	v_ashrrev_i32_e32 v67, 31, v67
	v_cmp_gt_i32_e64 s20, 0, v206
	v_cmp_gt_i32_e64 s21, 0, v207
	v_not_b32_e32 v206, v207
	v_not_b32_e32 v207, v208
	v_dual_ashrrev_i32 v204, 31, v204 :: v_dual_ashrrev_i32 v205, 31, v205
	s_delay_alu instid0(VALU_DEP_3) | instskip(SKIP_2) | instid1(VALU_DEP_4)
	v_dual_ashrrev_i32 v206, 31, v206 :: v_dual_bitop2_b32 v65, s17, v65 bitop3:0x14
	v_xor_b32_e32 v67, s18, v67
	v_cmp_gt_i32_e64 s22, 0, v208
	v_dual_ashrrev_i32 v207, 31, v207 :: v_dual_bitop2_b32 v204, s19, v204 bitop3:0x14
	v_xor_b32_e32 v205, s20, v205
	s_delay_alu instid0(VALU_DEP_4) | instskip(SKIP_3) | instid1(VALU_DEP_4)
	v_bitop3_b32 v64, v64, v67, v65 bitop3:0x80
	v_mad_u32_u24 v65, v66, 36, v25
	v_xor_b32_e32 v67, s21, v206
	v_xor_b32_e32 v206, s22, v207
	v_bitop3_b32 v64, v64, v205, v204 bitop3:0x80
	ds_load_b32 v204, v65 offset:544
	v_mul_u32_u24_e32 v65, 36, v66
	; wave barrier
	v_bitop3_b32 v64, v64, v206, v67 bitop3:0x80
	s_delay_alu instid0(VALU_DEP_2) | instskip(NEXT) | instid1(VALU_DEP_2)
	v_add_nc_u32_e32 v206, v25, v65
	v_mbcnt_lo_u32_b32 v205, v64, 0
	v_cmp_ne_u32_e64 s17, 0, v64
	s_delay_alu instid0(VALU_DEP_2) | instskip(SKIP_1) | instid1(SALU_CYCLE_1)
	v_cmp_eq_u32_e32 vcc_lo, 0, v205
	s_and_b32 s18, s17, vcc_lo
	s_and_saveexec_b32 s17, s18
	s_cbranch_execz .LBB1348_490
; %bb.489:                              ;   in Loop: Header=BB1348_418 Depth=2
	s_wait_dscnt 0x0
	v_bcnt_u32_b32 v64, v64, v204
	ds_store_b32 v206, v64 offset:544
.LBB1348_490:                           ;   in Loop: Header=BB1348_418 Depth=2
	s_or_b32 exec_lo, exec_lo, s17
	; wave barrier
	s_wait_dscnt 0x0
	s_barrier_signal -1
	s_barrier_wait -1
	ds_load_2addr_b32 v[66:67], v90 offset0:136 offset1:137
	ds_load_2addr_b32 v[64:65], v90 offset0:138 offset1:139
	ds_load_b32 v207, v90 offset:560
	s_wait_dscnt 0x1
	v_add3_u32 v208, v67, v66, v64
	s_wait_dscnt 0x0
	s_delay_alu instid0(VALU_DEP_1) | instskip(NEXT) | instid1(VALU_DEP_1)
	v_add3_u32 v207, v208, v65, v207
	v_mov_b32_dpp v208, v207 row_shr:1 row_mask:0xf bank_mask:0xf
	s_delay_alu instid0(VALU_DEP_1) | instskip(NEXT) | instid1(VALU_DEP_1)
	v_cndmask_b32_e64 v208, v208, 0, s9
	v_add_nc_u32_e32 v207, v208, v207
	s_delay_alu instid0(VALU_DEP_1) | instskip(NEXT) | instid1(VALU_DEP_1)
	v_mov_b32_dpp v208, v207 row_shr:2 row_mask:0xf bank_mask:0xf
	v_cndmask_b32_e64 v208, 0, v208, s10
	s_delay_alu instid0(VALU_DEP_1) | instskip(NEXT) | instid1(VALU_DEP_1)
	v_add_nc_u32_e32 v207, v207, v208
	v_mov_b32_dpp v208, v207 row_shr:4 row_mask:0xf bank_mask:0xf
	s_delay_alu instid0(VALU_DEP_1) | instskip(NEXT) | instid1(VALU_DEP_1)
	v_cndmask_b32_e64 v208, 0, v208, s11
	v_add_nc_u32_e32 v207, v207, v208
	s_delay_alu instid0(VALU_DEP_1) | instskip(NEXT) | instid1(VALU_DEP_1)
	v_mov_b32_dpp v208, v207 row_shr:8 row_mask:0xf bank_mask:0xf
	v_cndmask_b32_e64 v208, 0, v208, s12
	s_delay_alu instid0(VALU_DEP_1) | instskip(SKIP_3) | instid1(VALU_DEP_1)
	v_add_nc_u32_e32 v207, v207, v208
	ds_swizzle_b32 v208, v207 offset:swizzle(BROADCAST,32,15)
	s_wait_dscnt 0x0
	v_cndmask_b32_e64 v208, v208, 0, s13
	v_add_nc_u32_e32 v207, v207, v208
	s_and_saveexec_b32 s17, s2
; %bb.491:                              ;   in Loop: Header=BB1348_418 Depth=2
	ds_store_b32 v83, v207 offset:512
; %bb.492:                              ;   in Loop: Header=BB1348_418 Depth=2
	s_or_b32 exec_lo, exec_lo, s17
	s_wait_dscnt 0x0
	s_barrier_signal -1
	s_barrier_wait -1
	s_and_saveexec_b32 s17, s3
	s_cbranch_execz .LBB1348_494
; %bb.493:                              ;   in Loop: Header=BB1348_418 Depth=2
	ds_load_b32 v208, v92 offset:512
	s_wait_dscnt 0x0
	v_mov_b32_dpp v209, v208 row_shr:1 row_mask:0xf bank_mask:0xf
	s_delay_alu instid0(VALU_DEP_1) | instskip(NEXT) | instid1(VALU_DEP_1)
	v_cndmask_b32_e64 v209, v209, 0, s14
	v_add_nc_u32_e32 v208, v209, v208
	s_delay_alu instid0(VALU_DEP_1) | instskip(NEXT) | instid1(VALU_DEP_1)
	v_mov_b32_dpp v209, v208 row_shr:2 row_mask:0xf bank_mask:0xf
	v_cndmask_b32_e64 v209, 0, v209, s15
	s_delay_alu instid0(VALU_DEP_1) | instskip(NEXT) | instid1(VALU_DEP_1)
	v_add_nc_u32_e32 v208, v208, v209
	v_mov_b32_dpp v209, v208 row_shr:4 row_mask:0xf bank_mask:0xf
	s_delay_alu instid0(VALU_DEP_1) | instskip(NEXT) | instid1(VALU_DEP_1)
	v_cndmask_b32_e64 v209, 0, v209, s16
	v_add_nc_u32_e32 v208, v208, v209
	ds_store_b32 v92, v208 offset:512
.LBB1348_494:                           ;   in Loop: Header=BB1348_418 Depth=2
	s_or_b32 exec_lo, exec_lo, s17
	v_mov_b32_e32 v208, 0
	s_wait_dscnt 0x0
	s_barrier_signal -1
	s_barrier_wait -1
	s_and_saveexec_b32 s17, s5
; %bb.495:                              ;   in Loop: Header=BB1348_418 Depth=2
	ds_load_b32 v208, v83 offset:508
; %bb.496:                              ;   in Loop: Header=BB1348_418 Depth=2
	s_or_b32 exec_lo, exec_lo, s17
	s_wait_dscnt 0x0
	v_add_nc_u32_e32 v207, v208, v207
	ds_bpermute_b32 v207, v119, v207
	s_wait_dscnt 0x0
	v_cndmask_b32_e64 v207, v207, v208, s8
	s_delay_alu instid0(VALU_DEP_1) | instskip(NEXT) | instid1(VALU_DEP_1)
	v_cndmask_b32_e64 v207, v207, 0, s6
	v_add_nc_u32_e32 v66, v207, v66
	s_delay_alu instid0(VALU_DEP_1) | instskip(NEXT) | instid1(VALU_DEP_1)
	v_add_nc_u32_e32 v67, v66, v67
	v_add_nc_u32_e32 v64, v67, v64
	s_delay_alu instid0(VALU_DEP_1)
	v_add_nc_u32_e32 v65, v64, v65
	ds_store_2addr_b32 v90, v207, v66 offset0:136 offset1:137
	ds_store_2addr_b32 v90, v67, v64 offset0:138 offset1:139
	ds_store_b32 v90, v65 offset:560
	s_wait_dscnt 0x0
	s_barrier_signal -1
	s_barrier_wait -1
	ds_load_b32 v66, v143 offset:544
	ds_load_b32 v67, v147 offset:544
	;; [unrolled: 1-line block ×17, first 2 shown]
	s_and_saveexec_b32 s17, s0
	s_cbranch_execz .LBB1348_500
; %bb.497:                              ;   in Loop: Header=BB1348_418 Depth=2
	ds_load_b32 v133, v94 offset:544
	v_mov_b32_e32 v138, 0x1100
	s_and_saveexec_b32 s18, s7
; %bb.498:                              ;   in Loop: Header=BB1348_418 Depth=2
	ds_load_b32 v138, v93 offset:544
; %bb.499:                              ;   in Loop: Header=BB1348_418 Depth=2
	s_or_b32 exec_lo, exec_lo, s18
	s_wait_dscnt 0x0
	v_sub_nc_u32_e32 v138, v138, v133
.LBB1348_500:                           ;   in Loop: Header=BB1348_418 Depth=2
	s_or_b32 exec_lo, exec_lo, s17
	s_wait_dscnt 0x0
	s_barrier_signal -1
	s_barrier_wait -1
	s_and_saveexec_b32 s17, s0
	s_cbranch_execz .LBB1348_502
; %bb.501:                              ;   in Loop: Header=BB1348_418 Depth=2
	ds_load_b32 v152, v4
	s_wait_dscnt 0x0
	v_sub_nc_u32_e32 v152, v152, v133
	ds_store_b32 v4, v152
.LBB1348_502:                           ;   in Loop: Header=BB1348_418 Depth=2
	s_or_b32 exec_lo, exec_lo, s17
	v_add3_u32 v156, v155, v154, v147
	v_add_nc_u32_e32 v162, v66, v141
	v_add3_u32 v161, v146, v145, v67
	v_add3_u32 v157, v150, v149, v143
	;; [unrolled: 1-line block ×4, first 2 shown]
	v_dual_lshlrev_b32 v65, 2, v156 :: v_dual_lshlrev_b32 v159, 2, v162
	v_lshlrev_b32_e32 v160, 2, v161
	v_add3_u32 v154, v165, v164, v207
	v_add3_u32 v152, v170, v169, v172
	v_add3_u32 v151, v175, v174, v176
	v_add3_u32 v145, v198, v197, v64
	v_lshlrev_b32_e32 v64, 2, v157
	v_add3_u32 v150, v178, v177, v179
	v_add3_u32 v149, v181, v180, v182
	ds_store_b32 v159, v140 offset:512
	ds_store_b32 v160, v142 offset:512
	v_lshlrev_b32_e32 v140, 2, v155
	v_add3_u32 v147, v185, v184, v186
	v_dual_lshlrev_b32 v142, 2, v154 :: v_dual_lshlrev_b32 v159, 2, v152
	v_add3_u32 v146, v189, v188, v208
	v_add3_u32 v67, v192, v191, v209
	ds_store_b32 v64, v144 offset:512
	ds_store_b32 v65, v148 offset:512
	;; [unrolled: 1-line block ×5, first 2 shown]
	v_dual_lshlrev_b32 v64, 2, v151 :: v_dual_lshlrev_b32 v65, 2, v150
	v_add3_u32 v66, v195, v194, v210
	v_dual_lshlrev_b32 v140, 2, v149 :: v_dual_lshlrev_b32 v142, 2, v147
	v_add3_u32 v141, v205, v204, v167
	v_lshlrev_b32_e32 v144, 2, v146
	ds_store_b32 v64, v168 offset:512
	ds_store_b32 v65, v173 offset:512
	ds_store_b32 v140, v171 offset:512
	ds_store_b32 v142, v166 offset:512
	ds_store_b32 v144, v183 offset:512
	v_lshlrev_b32_e32 v64, 2, v67
	v_cmp_lt_u32_e32 vcc_lo, v2, v139
	v_dual_lshlrev_b32 v65, 2, v66 :: v_dual_lshlrev_b32 v140, 2, v145
	v_dual_lshlrev_b32 v142, 2, v143 :: v_dual_lshlrev_b32 v144, 2, v141
	ds_store_b32 v64, v187 offset:512
	ds_store_b32 v65, v190 offset:512
	;; [unrolled: 1-line block ×5, first 2 shown]
	s_wait_dscnt 0x0
	s_barrier_signal -1
	s_barrier_wait -1
	s_and_saveexec_b32 s18, vcc_lo
	s_cbranch_execnz .LBB1348_575
; %bb.503:                              ;   in Loop: Header=BB1348_418 Depth=2
	s_or_b32 exec_lo, exec_lo, s18
	v_cmp_lt_u32_e64 s17, v3, v139
	s_and_saveexec_b32 s19, s17
	s_cbranch_execnz .LBB1348_576
.LBB1348_504:                           ;   in Loop: Header=BB1348_418 Depth=2
	s_or_b32 exec_lo, exec_lo, s19
	v_cmp_lt_u32_e64 s18, v68, v139
	s_and_saveexec_b32 s20, s18
	s_cbranch_execnz .LBB1348_577
.LBB1348_505:                           ;   in Loop: Header=BB1348_418 Depth=2
	s_or_b32 exec_lo, exec_lo, s20
	v_cmp_lt_u32_e64 s19, v69, v139
	s_and_saveexec_b32 s21, s19
	s_cbranch_execnz .LBB1348_578
.LBB1348_506:                           ;   in Loop: Header=BB1348_418 Depth=2
	s_or_b32 exec_lo, exec_lo, s21
	v_cmp_lt_u32_e64 s20, v70, v139
	s_and_saveexec_b32 s22, s20
	s_cbranch_execnz .LBB1348_579
.LBB1348_507:                           ;   in Loop: Header=BB1348_418 Depth=2
	s_or_b32 exec_lo, exec_lo, s22
	v_cmp_lt_u32_e64 s21, v71, v139
	s_and_saveexec_b32 s23, s21
	s_cbranch_execnz .LBB1348_580
.LBB1348_508:                           ;   in Loop: Header=BB1348_418 Depth=2
	s_or_b32 exec_lo, exec_lo, s23
	v_cmp_lt_u32_e64 s22, v72, v139
	s_and_saveexec_b32 s24, s22
	s_cbranch_execnz .LBB1348_581
.LBB1348_509:                           ;   in Loop: Header=BB1348_418 Depth=2
	s_or_b32 exec_lo, exec_lo, s24
	v_cmp_lt_u32_e64 s23, v73, v139
	s_and_saveexec_b32 s25, s23
	s_cbranch_execnz .LBB1348_582
.LBB1348_510:                           ;   in Loop: Header=BB1348_418 Depth=2
	s_or_b32 exec_lo, exec_lo, s25
	v_cmp_lt_u32_e64 s24, v74, v139
	s_and_saveexec_b32 s26, s24
	s_cbranch_execnz .LBB1348_583
.LBB1348_511:                           ;   in Loop: Header=BB1348_418 Depth=2
	s_or_b32 exec_lo, exec_lo, s26
	v_cmp_lt_u32_e64 s25, v75, v139
	s_and_saveexec_b32 s27, s25
	s_cbranch_execnz .LBB1348_584
.LBB1348_512:                           ;   in Loop: Header=BB1348_418 Depth=2
	s_or_b32 exec_lo, exec_lo, s27
	v_cmp_lt_u32_e64 s26, v76, v139
	s_and_saveexec_b32 s28, s26
	s_cbranch_execnz .LBB1348_585
.LBB1348_513:                           ;   in Loop: Header=BB1348_418 Depth=2
	s_or_b32 exec_lo, exec_lo, s28
	v_cmp_lt_u32_e64 s27, v77, v139
	s_and_saveexec_b32 s29, s27
	s_cbranch_execnz .LBB1348_586
.LBB1348_514:                           ;   in Loop: Header=BB1348_418 Depth=2
	s_or_b32 exec_lo, exec_lo, s29
	v_cmp_lt_u32_e64 s28, v78, v139
	s_and_saveexec_b32 s30, s28
	s_cbranch_execnz .LBB1348_587
.LBB1348_515:                           ;   in Loop: Header=BB1348_418 Depth=2
	s_or_b32 exec_lo, exec_lo, s30
	v_cmp_lt_u32_e64 s29, v79, v139
	s_and_saveexec_b32 s31, s29
	s_cbranch_execnz .LBB1348_588
.LBB1348_516:                           ;   in Loop: Header=BB1348_418 Depth=2
	s_or_b32 exec_lo, exec_lo, s31
	v_cmp_lt_u32_e64 s30, v80, v139
	s_and_saveexec_b32 s33, s30
	s_cbranch_execnz .LBB1348_589
.LBB1348_517:                           ;   in Loop: Header=BB1348_418 Depth=2
	s_or_b32 exec_lo, exec_lo, s33
	v_cmp_lt_u32_e64 s31, v81, v139
	s_and_saveexec_b32 s34, s31
	s_cbranch_execnz .LBB1348_590
.LBB1348_518:                           ;   in Loop: Header=BB1348_418 Depth=2
	s_or_b32 exec_lo, exec_lo, s34
	v_cmp_lt_u32_e64 s33, v82, v139
	s_and_saveexec_b32 s61, s33
	s_cbranch_execz .LBB1348_520
.LBB1348_519:                           ;   in Loop: Header=BB1348_418 Depth=2
	ds_load_b32 v64, v92 offset:16896
	s_wait_dscnt 0x0
	v_cmp_ne_u32_e64 s34, 0x80000000, v64
	s_delay_alu instid0(VALU_DEP_1) | instskip(SKIP_1) | instid1(VALU_DEP_1)
	v_cndmask_b32_e64 v65, 0x7fffffff, v64, s34
	v_cmp_gt_i32_e64 s34, 0, v64
	v_cndmask_b32_e64 v140, 0x7fffffff, 0, s34
	s_delay_alu instid0(VALU_DEP_1) | instskip(NEXT) | instid1(VALU_DEP_1)
	v_dual_lshrrev_b32 v65, s48, v65 :: v_dual_bitop2_b32 v64, v140, v64 bitop3:0x14
	v_and_b32_e32 v65, s58, v65
	s_delay_alu instid0(VALU_DEP_1)
	v_lshlrev_b32_e32 v65, 2, v65
	ds_load_b32 v65, v65
	s_wait_dscnt 0x0
	v_add_nc_u32_e32 v65, v65, v82
	global_store_b32 v65, v64, s[40:41] scale_offset
.LBB1348_520:                           ;   in Loop: Header=BB1348_418 Depth=2
	s_wait_xcnt 0x0
	s_or_b32 exec_lo, exec_lo, s61
	v_lshl_add_u64 v[64:65], s[42:43], 3, v[26:27]
	v_cmp_lt_u32_e64 s34, v101, v139
	s_and_saveexec_b32 s42, s34
	s_delay_alu instid0(SALU_CYCLE_1)
	s_xor_b32 s34, exec_lo, s42
	s_cbranch_execnz .LBB1348_591
; %bb.521:                              ;   in Loop: Header=BB1348_418 Depth=2
	s_or_b32 exec_lo, exec_lo, s34
	s_delay_alu instid0(SALU_CYCLE_1)
	s_mov_b32 s42, exec_lo
	v_cmpx_lt_u32_e64 v104, v139
	s_cbranch_execnz .LBB1348_592
.LBB1348_522:                           ;   in Loop: Header=BB1348_418 Depth=2
	s_or_b32 exec_lo, exec_lo, s42
	s_delay_alu instid0(SALU_CYCLE_1)
	s_mov_b32 s42, exec_lo
	v_cmpx_lt_u32_e64 v105, v139
	s_cbranch_execnz .LBB1348_593
.LBB1348_523:                           ;   in Loop: Header=BB1348_418 Depth=2
	s_or_b32 exec_lo, exec_lo, s42
	s_delay_alu instid0(SALU_CYCLE_1)
	s_mov_b32 s42, exec_lo
	v_cmpx_lt_u32_e64 v106, v139
	s_cbranch_execnz .LBB1348_594
.LBB1348_524:                           ;   in Loop: Header=BB1348_418 Depth=2
	s_or_b32 exec_lo, exec_lo, s42
	s_delay_alu instid0(SALU_CYCLE_1)
	s_mov_b32 s42, exec_lo
	v_cmpx_lt_u32_e64 v107, v139
	s_cbranch_execnz .LBB1348_595
.LBB1348_525:                           ;   in Loop: Header=BB1348_418 Depth=2
	s_or_b32 exec_lo, exec_lo, s42
	s_delay_alu instid0(SALU_CYCLE_1)
	s_mov_b32 s42, exec_lo
	v_cmpx_lt_u32_e64 v108, v139
	s_cbranch_execnz .LBB1348_596
.LBB1348_526:                           ;   in Loop: Header=BB1348_418 Depth=2
	s_or_b32 exec_lo, exec_lo, s42
	s_delay_alu instid0(SALU_CYCLE_1)
	s_mov_b32 s42, exec_lo
	v_cmpx_lt_u32_e64 v109, v139
	s_cbranch_execnz .LBB1348_597
.LBB1348_527:                           ;   in Loop: Header=BB1348_418 Depth=2
	s_or_b32 exec_lo, exec_lo, s42
	s_delay_alu instid0(SALU_CYCLE_1)
	s_mov_b32 s42, exec_lo
	v_cmpx_lt_u32_e64 v110, v139
	s_cbranch_execnz .LBB1348_598
.LBB1348_528:                           ;   in Loop: Header=BB1348_418 Depth=2
	s_or_b32 exec_lo, exec_lo, s42
	s_delay_alu instid0(SALU_CYCLE_1)
	s_mov_b32 s42, exec_lo
	v_cmpx_lt_u32_e64 v111, v139
	s_cbranch_execnz .LBB1348_599
.LBB1348_529:                           ;   in Loop: Header=BB1348_418 Depth=2
	s_or_b32 exec_lo, exec_lo, s42
	s_delay_alu instid0(SALU_CYCLE_1)
	s_mov_b32 s42, exec_lo
	v_cmpx_lt_u32_e64 v112, v139
	s_cbranch_execnz .LBB1348_600
.LBB1348_530:                           ;   in Loop: Header=BB1348_418 Depth=2
	s_or_b32 exec_lo, exec_lo, s42
	s_delay_alu instid0(SALU_CYCLE_1)
	s_mov_b32 s42, exec_lo
	v_cmpx_lt_u32_e64 v113, v139
	s_cbranch_execnz .LBB1348_601
.LBB1348_531:                           ;   in Loop: Header=BB1348_418 Depth=2
	s_or_b32 exec_lo, exec_lo, s42
	s_delay_alu instid0(SALU_CYCLE_1)
	s_mov_b32 s42, exec_lo
	v_cmpx_lt_u32_e64 v114, v139
	s_cbranch_execnz .LBB1348_602
.LBB1348_532:                           ;   in Loop: Header=BB1348_418 Depth=2
	s_or_b32 exec_lo, exec_lo, s42
	s_delay_alu instid0(SALU_CYCLE_1)
	s_mov_b32 s42, exec_lo
	v_cmpx_lt_u32_e64 v115, v139
	s_cbranch_execnz .LBB1348_603
.LBB1348_533:                           ;   in Loop: Header=BB1348_418 Depth=2
	s_or_b32 exec_lo, exec_lo, s42
	s_delay_alu instid0(SALU_CYCLE_1)
	s_mov_b32 s42, exec_lo
	v_cmpx_lt_u32_e64 v116, v139
	s_cbranch_execnz .LBB1348_604
.LBB1348_534:                           ;   in Loop: Header=BB1348_418 Depth=2
	s_or_b32 exec_lo, exec_lo, s42
	s_delay_alu instid0(SALU_CYCLE_1)
	s_mov_b32 s42, exec_lo
	v_cmpx_lt_u32_e64 v117, v139
	s_cbranch_execnz .LBB1348_605
.LBB1348_535:                           ;   in Loop: Header=BB1348_418 Depth=2
	s_or_b32 exec_lo, exec_lo, s42
	s_delay_alu instid0(SALU_CYCLE_1)
	s_mov_b32 s42, exec_lo
	v_cmpx_lt_u32_e64 v118, v139
	s_cbranch_execnz .LBB1348_606
.LBB1348_536:                           ;   in Loop: Header=BB1348_418 Depth=2
	s_or_b32 exec_lo, exec_lo, s42
	s_delay_alu instid0(SALU_CYCLE_1)
	s_mov_b32 s42, exec_lo
	v_cmpx_lt_u32_e64 v5, v139
	s_cbranch_execnz .LBB1348_607
.LBB1348_537:                           ;   in Loop: Header=BB1348_418 Depth=2
	s_or_b32 exec_lo, exec_lo, s42
	s_and_saveexec_b32 s42, vcc_lo
	s_cbranch_execnz .LBB1348_608
.LBB1348_538:                           ;   in Loop: Header=BB1348_418 Depth=2
	s_or_b32 exec_lo, exec_lo, s42
	s_and_saveexec_b32 s42, s17
	s_cbranch_execnz .LBB1348_609
.LBB1348_539:                           ;   in Loop: Header=BB1348_418 Depth=2
	s_or_b32 exec_lo, exec_lo, s42
	s_and_saveexec_b32 s42, s18
	s_cbranch_execnz .LBB1348_610
.LBB1348_540:                           ;   in Loop: Header=BB1348_418 Depth=2
	s_or_b32 exec_lo, exec_lo, s42
	s_and_saveexec_b32 s42, s19
	s_cbranch_execnz .LBB1348_611
.LBB1348_541:                           ;   in Loop: Header=BB1348_418 Depth=2
	s_or_b32 exec_lo, exec_lo, s42
	s_and_saveexec_b32 s42, s20
	s_cbranch_execnz .LBB1348_612
.LBB1348_542:                           ;   in Loop: Header=BB1348_418 Depth=2
	s_or_b32 exec_lo, exec_lo, s42
	s_and_saveexec_b32 s42, s21
	s_cbranch_execnz .LBB1348_613
.LBB1348_543:                           ;   in Loop: Header=BB1348_418 Depth=2
	s_or_b32 exec_lo, exec_lo, s42
	s_and_saveexec_b32 s42, s22
	s_cbranch_execnz .LBB1348_614
.LBB1348_544:                           ;   in Loop: Header=BB1348_418 Depth=2
	s_or_b32 exec_lo, exec_lo, s42
	s_and_saveexec_b32 s42, s23
	s_cbranch_execnz .LBB1348_615
.LBB1348_545:                           ;   in Loop: Header=BB1348_418 Depth=2
	s_or_b32 exec_lo, exec_lo, s42
	s_and_saveexec_b32 s42, s24
	s_cbranch_execnz .LBB1348_616
.LBB1348_546:                           ;   in Loop: Header=BB1348_418 Depth=2
	s_or_b32 exec_lo, exec_lo, s42
	s_and_saveexec_b32 s42, s25
	s_cbranch_execnz .LBB1348_617
.LBB1348_547:                           ;   in Loop: Header=BB1348_418 Depth=2
	s_or_b32 exec_lo, exec_lo, s42
	s_and_saveexec_b32 s42, s26
	s_cbranch_execnz .LBB1348_618
.LBB1348_548:                           ;   in Loop: Header=BB1348_418 Depth=2
	s_or_b32 exec_lo, exec_lo, s42
	s_and_saveexec_b32 s42, s27
	s_cbranch_execnz .LBB1348_619
.LBB1348_549:                           ;   in Loop: Header=BB1348_418 Depth=2
	s_or_b32 exec_lo, exec_lo, s42
	s_and_saveexec_b32 s42, s28
	s_cbranch_execnz .LBB1348_620
.LBB1348_550:                           ;   in Loop: Header=BB1348_418 Depth=2
	s_or_b32 exec_lo, exec_lo, s42
	s_and_saveexec_b32 s42, s29
	s_cbranch_execnz .LBB1348_621
.LBB1348_551:                           ;   in Loop: Header=BB1348_418 Depth=2
	s_or_b32 exec_lo, exec_lo, s42
	s_and_saveexec_b32 s42, s30
	s_cbranch_execnz .LBB1348_622
.LBB1348_552:                           ;   in Loop: Header=BB1348_418 Depth=2
	s_or_b32 exec_lo, exec_lo, s42
	s_and_saveexec_b32 s42, s31
	s_cbranch_execnz .LBB1348_623
.LBB1348_553:                           ;   in Loop: Header=BB1348_418 Depth=2
	s_or_b32 exec_lo, exec_lo, s42
	s_and_saveexec_b32 s42, s33
	s_cbranch_execz .LBB1348_555
.LBB1348_554:                           ;   in Loop: Header=BB1348_418 Depth=2
	ds_load_b32 v64, v92 offset:16896
	s_wait_dscnt 0x0
	v_cmp_ne_u32_e64 s34, 0x80000000, v64
	s_delay_alu instid0(VALU_DEP_1) | instskip(NEXT) | instid1(VALU_DEP_1)
	v_cndmask_b32_e64 v64, 0x7fffffff, v64, s34
	v_lshrrev_b32_e32 v64, s48, v64
	s_delay_alu instid0(VALU_DEP_1)
	v_and_b32_e32 v120, s58, v64
.LBB1348_555:                           ;   in Loop: Header=BB1348_418 Depth=2
	s_or_b32 exec_lo, exec_lo, s42
	v_dual_lshlrev_b32 v64, 3, v162 :: v_dual_lshlrev_b32 v65, 3, v161
	s_wait_loadcnt 0x0
	s_wait_storecnt 0x0
	s_barrier_signal -1
	s_barrier_wait -1
	ds_store_b64 v64, v[62:63] offset:512
	ds_store_b64 v65, v[60:61] offset:512
	v_dual_lshlrev_b32 v64, 3, v157 :: v_dual_lshlrev_b32 v65, 3, v156
	v_dual_lshlrev_b32 v139, 3, v155 :: v_dual_lshlrev_b32 v140, 3, v154
	v_lshlrev_b32_e32 v142, 3, v152
	ds_store_b64 v64, v[58:59] offset:512
	ds_store_b64 v65, v[56:57] offset:512
	ds_store_b64 v139, v[54:55] offset:512
	ds_store_b64 v140, v[52:53] offset:512
	ds_store_b64 v142, v[50:51] offset:512
	v_dual_lshlrev_b32 v64, 3, v151 :: v_dual_lshlrev_b32 v65, 3, v150
	v_dual_lshlrev_b32 v139, 3, v149 :: v_dual_lshlrev_b32 v140, 3, v147
	v_lshlrev_b32_e32 v142, 3, v146
	ds_store_b64 v64, v[48:49] offset:512
	ds_store_b64 v65, v[46:47] offset:512
	ds_store_b64 v139, v[44:45] offset:512
	;; [unrolled: 8-line block ×3, first 2 shown]
	ds_store_b64 v67, v[32:33] offset:512
	ds_store_b64 v139, v[30:31] offset:512
	s_wait_dscnt 0x0
	s_barrier_signal -1
	s_barrier_wait -1
	s_and_saveexec_b32 s34, vcc_lo
	s_cbranch_execnz .LBB1348_624
; %bb.556:                              ;   in Loop: Header=BB1348_418 Depth=2
	s_or_b32 exec_lo, exec_lo, s34
	s_and_saveexec_b32 s34, s17
	s_cbranch_execnz .LBB1348_625
.LBB1348_557:                           ;   in Loop: Header=BB1348_418 Depth=2
	s_or_b32 exec_lo, exec_lo, s34
	s_and_saveexec_b32 s17, s18
	s_cbranch_execnz .LBB1348_626
.LBB1348_558:                           ;   in Loop: Header=BB1348_418 Depth=2
	s_or_b32 exec_lo, exec_lo, s17
	s_and_saveexec_b32 s17, s19
	s_cbranch_execnz .LBB1348_627
.LBB1348_559:                           ;   in Loop: Header=BB1348_418 Depth=2
	s_or_b32 exec_lo, exec_lo, s17
	s_and_saveexec_b32 s17, s20
	s_cbranch_execnz .LBB1348_628
.LBB1348_560:                           ;   in Loop: Header=BB1348_418 Depth=2
	s_or_b32 exec_lo, exec_lo, s17
	s_and_saveexec_b32 s17, s21
	s_cbranch_execnz .LBB1348_629
.LBB1348_561:                           ;   in Loop: Header=BB1348_418 Depth=2
	s_or_b32 exec_lo, exec_lo, s17
	s_and_saveexec_b32 s17, s22
	s_cbranch_execnz .LBB1348_630
.LBB1348_562:                           ;   in Loop: Header=BB1348_418 Depth=2
	s_or_b32 exec_lo, exec_lo, s17
	s_and_saveexec_b32 s17, s23
	s_cbranch_execnz .LBB1348_631
.LBB1348_563:                           ;   in Loop: Header=BB1348_418 Depth=2
	s_or_b32 exec_lo, exec_lo, s17
	s_and_saveexec_b32 s17, s24
	s_cbranch_execnz .LBB1348_632
.LBB1348_564:                           ;   in Loop: Header=BB1348_418 Depth=2
	s_or_b32 exec_lo, exec_lo, s17
	s_and_saveexec_b32 s17, s25
	s_cbranch_execnz .LBB1348_633
.LBB1348_565:                           ;   in Loop: Header=BB1348_418 Depth=2
	s_or_b32 exec_lo, exec_lo, s17
	s_and_saveexec_b32 s17, s26
	s_cbranch_execnz .LBB1348_634
.LBB1348_566:                           ;   in Loop: Header=BB1348_418 Depth=2
	s_or_b32 exec_lo, exec_lo, s17
	s_and_saveexec_b32 s17, s27
	s_cbranch_execnz .LBB1348_635
.LBB1348_567:                           ;   in Loop: Header=BB1348_418 Depth=2
	s_or_b32 exec_lo, exec_lo, s17
	s_and_saveexec_b32 s17, s28
	s_cbranch_execnz .LBB1348_636
.LBB1348_568:                           ;   in Loop: Header=BB1348_418 Depth=2
	s_or_b32 exec_lo, exec_lo, s17
	s_and_saveexec_b32 s17, s29
	s_cbranch_execnz .LBB1348_637
.LBB1348_569:                           ;   in Loop: Header=BB1348_418 Depth=2
	s_or_b32 exec_lo, exec_lo, s17
	s_and_saveexec_b32 s17, s30
	s_cbranch_execnz .LBB1348_638
.LBB1348_570:                           ;   in Loop: Header=BB1348_418 Depth=2
	s_or_b32 exec_lo, exec_lo, s17
	s_and_saveexec_b32 s17, s31
	s_cbranch_execnz .LBB1348_639
.LBB1348_571:                           ;   in Loop: Header=BB1348_418 Depth=2
	s_or_b32 exec_lo, exec_lo, s17
	s_and_saveexec_b32 s17, s33
	s_cbranch_execz .LBB1348_573
.LBB1348_572:                           ;   in Loop: Header=BB1348_418 Depth=2
	v_lshlrev_b32_e32 v64, 2, v120
	v_add_nc_u32_e32 v65, v92, v4
	ds_load_b32 v66, v64
	ds_load_b64 v[64:65], v65 offset:33280
	s_wait_dscnt 0x1
	v_add_nc_u32_e32 v66, v66, v82
	s_wait_dscnt 0x0
	global_store_b64 v66, v[64:65], s[46:47] scale_offset
.LBB1348_573:                           ;   in Loop: Header=BB1348_418 Depth=2
	s_wait_xcnt 0x0
	s_or_b32 exec_lo, exec_lo, s17
	s_wait_storecnt 0x0
	s_barrier_signal -1
	s_barrier_wait -1
	s_and_saveexec_b32 s17, s0
	s_cbranch_execz .LBB1348_417
; %bb.574:                              ;   in Loop: Header=BB1348_418 Depth=2
	ds_load_b32 v64, v4
	s_wait_dscnt 0x0
	v_add3_u32 v64, v133, v138, v64
	ds_store_b32 v4, v64
	s_branch .LBB1348_417
.LBB1348_575:                           ;   in Loop: Header=BB1348_418 Depth=2
	ds_load_b32 v64, v92 offset:512
	s_wait_dscnt 0x0
	v_cmp_ne_u32_e64 s17, 0x80000000, v64
	s_delay_alu instid0(VALU_DEP_1) | instskip(SKIP_1) | instid1(VALU_DEP_1)
	v_cndmask_b32_e64 v65, 0x7fffffff, v64, s17
	v_cmp_gt_i32_e64 s17, 0, v64
	v_cndmask_b32_e64 v140, 0x7fffffff, 0, s17
	s_delay_alu instid0(VALU_DEP_1) | instskip(NEXT) | instid1(VALU_DEP_1)
	v_dual_lshrrev_b32 v65, s48, v65 :: v_dual_bitop2_b32 v64, v140, v64 bitop3:0x14
	v_and_b32_e32 v65, s58, v65
	s_delay_alu instid0(VALU_DEP_1)
	v_lshlrev_b32_e32 v65, 2, v65
	ds_load_b32 v65, v65
	s_wait_dscnt 0x0
	v_add_nc_u32_e32 v65, v65, v2
	global_store_b32 v65, v64, s[40:41] scale_offset
	s_wait_xcnt 0x0
	s_or_b32 exec_lo, exec_lo, s18
	v_cmp_lt_u32_e64 s17, v3, v139
	s_and_saveexec_b32 s19, s17
	s_cbranch_execz .LBB1348_504
.LBB1348_576:                           ;   in Loop: Header=BB1348_418 Depth=2
	ds_load_b32 v64, v92 offset:1536
	s_wait_dscnt 0x0
	v_cmp_ne_u32_e64 s18, 0x80000000, v64
	s_delay_alu instid0(VALU_DEP_1) | instskip(SKIP_1) | instid1(VALU_DEP_1)
	v_cndmask_b32_e64 v65, 0x7fffffff, v64, s18
	v_cmp_gt_i32_e64 s18, 0, v64
	v_cndmask_b32_e64 v140, 0x7fffffff, 0, s18
	s_delay_alu instid0(VALU_DEP_1) | instskip(NEXT) | instid1(VALU_DEP_1)
	v_dual_lshrrev_b32 v65, s48, v65 :: v_dual_bitop2_b32 v64, v140, v64 bitop3:0x14
	v_and_b32_e32 v65, s58, v65
	s_delay_alu instid0(VALU_DEP_1)
	v_lshlrev_b32_e32 v65, 2, v65
	ds_load_b32 v65, v65
	s_wait_dscnt 0x0
	v_add_nc_u32_e32 v65, v65, v3
	global_store_b32 v65, v64, s[40:41] scale_offset
	s_wait_xcnt 0x0
	s_or_b32 exec_lo, exec_lo, s19
	v_cmp_lt_u32_e64 s18, v68, v139
	s_and_saveexec_b32 s20, s18
	s_cbranch_execz .LBB1348_505
.LBB1348_577:                           ;   in Loop: Header=BB1348_418 Depth=2
	ds_load_b32 v64, v92 offset:2560
	s_wait_dscnt 0x0
	v_cmp_ne_u32_e64 s19, 0x80000000, v64
	s_delay_alu instid0(VALU_DEP_1) | instskip(SKIP_1) | instid1(VALU_DEP_1)
	v_cndmask_b32_e64 v65, 0x7fffffff, v64, s19
	v_cmp_gt_i32_e64 s19, 0, v64
	v_cndmask_b32_e64 v140, 0x7fffffff, 0, s19
	s_delay_alu instid0(VALU_DEP_1) | instskip(NEXT) | instid1(VALU_DEP_1)
	v_dual_lshrrev_b32 v65, s48, v65 :: v_dual_bitop2_b32 v64, v140, v64 bitop3:0x14
	v_and_b32_e32 v65, s58, v65
	s_delay_alu instid0(VALU_DEP_1)
	v_lshlrev_b32_e32 v65, 2, v65
	ds_load_b32 v65, v65
	s_wait_dscnt 0x0
	v_add_nc_u32_e32 v65, v65, v68
	global_store_b32 v65, v64, s[40:41] scale_offset
	s_wait_xcnt 0x0
	s_or_b32 exec_lo, exec_lo, s20
	v_cmp_lt_u32_e64 s19, v69, v139
	s_and_saveexec_b32 s21, s19
	s_cbranch_execz .LBB1348_506
.LBB1348_578:                           ;   in Loop: Header=BB1348_418 Depth=2
	ds_load_b32 v64, v92 offset:3584
	s_wait_dscnt 0x0
	v_cmp_ne_u32_e64 s20, 0x80000000, v64
	s_delay_alu instid0(VALU_DEP_1) | instskip(SKIP_1) | instid1(VALU_DEP_1)
	v_cndmask_b32_e64 v65, 0x7fffffff, v64, s20
	v_cmp_gt_i32_e64 s20, 0, v64
	v_cndmask_b32_e64 v140, 0x7fffffff, 0, s20
	s_delay_alu instid0(VALU_DEP_1) | instskip(NEXT) | instid1(VALU_DEP_1)
	v_dual_lshrrev_b32 v65, s48, v65 :: v_dual_bitop2_b32 v64, v140, v64 bitop3:0x14
	v_and_b32_e32 v65, s58, v65
	s_delay_alu instid0(VALU_DEP_1)
	v_lshlrev_b32_e32 v65, 2, v65
	ds_load_b32 v65, v65
	s_wait_dscnt 0x0
	v_add_nc_u32_e32 v65, v65, v69
	global_store_b32 v65, v64, s[40:41] scale_offset
	s_wait_xcnt 0x0
	s_or_b32 exec_lo, exec_lo, s21
	v_cmp_lt_u32_e64 s20, v70, v139
	s_and_saveexec_b32 s22, s20
	s_cbranch_execz .LBB1348_507
.LBB1348_579:                           ;   in Loop: Header=BB1348_418 Depth=2
	ds_load_b32 v64, v92 offset:4608
	s_wait_dscnt 0x0
	v_cmp_ne_u32_e64 s21, 0x80000000, v64
	s_delay_alu instid0(VALU_DEP_1) | instskip(SKIP_1) | instid1(VALU_DEP_1)
	v_cndmask_b32_e64 v65, 0x7fffffff, v64, s21
	v_cmp_gt_i32_e64 s21, 0, v64
	v_cndmask_b32_e64 v140, 0x7fffffff, 0, s21
	s_delay_alu instid0(VALU_DEP_1) | instskip(NEXT) | instid1(VALU_DEP_1)
	v_dual_lshrrev_b32 v65, s48, v65 :: v_dual_bitop2_b32 v64, v140, v64 bitop3:0x14
	v_and_b32_e32 v65, s58, v65
	s_delay_alu instid0(VALU_DEP_1)
	v_lshlrev_b32_e32 v65, 2, v65
	ds_load_b32 v65, v65
	s_wait_dscnt 0x0
	v_add_nc_u32_e32 v65, v65, v70
	global_store_b32 v65, v64, s[40:41] scale_offset
	s_wait_xcnt 0x0
	s_or_b32 exec_lo, exec_lo, s22
	v_cmp_lt_u32_e64 s21, v71, v139
	s_and_saveexec_b32 s23, s21
	s_cbranch_execz .LBB1348_508
.LBB1348_580:                           ;   in Loop: Header=BB1348_418 Depth=2
	ds_load_b32 v64, v92 offset:5632
	s_wait_dscnt 0x0
	v_cmp_ne_u32_e64 s22, 0x80000000, v64
	s_delay_alu instid0(VALU_DEP_1) | instskip(SKIP_1) | instid1(VALU_DEP_1)
	v_cndmask_b32_e64 v65, 0x7fffffff, v64, s22
	v_cmp_gt_i32_e64 s22, 0, v64
	v_cndmask_b32_e64 v140, 0x7fffffff, 0, s22
	s_delay_alu instid0(VALU_DEP_1) | instskip(NEXT) | instid1(VALU_DEP_1)
	v_dual_lshrrev_b32 v65, s48, v65 :: v_dual_bitop2_b32 v64, v140, v64 bitop3:0x14
	v_and_b32_e32 v65, s58, v65
	s_delay_alu instid0(VALU_DEP_1)
	v_lshlrev_b32_e32 v65, 2, v65
	ds_load_b32 v65, v65
	s_wait_dscnt 0x0
	v_add_nc_u32_e32 v65, v65, v71
	global_store_b32 v65, v64, s[40:41] scale_offset
	s_wait_xcnt 0x0
	s_or_b32 exec_lo, exec_lo, s23
	v_cmp_lt_u32_e64 s22, v72, v139
	s_and_saveexec_b32 s24, s22
	s_cbranch_execz .LBB1348_509
.LBB1348_581:                           ;   in Loop: Header=BB1348_418 Depth=2
	ds_load_b32 v64, v92 offset:6656
	s_wait_dscnt 0x0
	v_cmp_ne_u32_e64 s23, 0x80000000, v64
	s_delay_alu instid0(VALU_DEP_1) | instskip(SKIP_1) | instid1(VALU_DEP_1)
	v_cndmask_b32_e64 v65, 0x7fffffff, v64, s23
	v_cmp_gt_i32_e64 s23, 0, v64
	v_cndmask_b32_e64 v140, 0x7fffffff, 0, s23
	s_delay_alu instid0(VALU_DEP_1) | instskip(NEXT) | instid1(VALU_DEP_1)
	v_dual_lshrrev_b32 v65, s48, v65 :: v_dual_bitop2_b32 v64, v140, v64 bitop3:0x14
	v_and_b32_e32 v65, s58, v65
	s_delay_alu instid0(VALU_DEP_1)
	v_lshlrev_b32_e32 v65, 2, v65
	ds_load_b32 v65, v65
	s_wait_dscnt 0x0
	v_add_nc_u32_e32 v65, v65, v72
	global_store_b32 v65, v64, s[40:41] scale_offset
	s_wait_xcnt 0x0
	s_or_b32 exec_lo, exec_lo, s24
	v_cmp_lt_u32_e64 s23, v73, v139
	s_and_saveexec_b32 s25, s23
	s_cbranch_execz .LBB1348_510
.LBB1348_582:                           ;   in Loop: Header=BB1348_418 Depth=2
	ds_load_b32 v64, v92 offset:7680
	s_wait_dscnt 0x0
	v_cmp_ne_u32_e64 s24, 0x80000000, v64
	s_delay_alu instid0(VALU_DEP_1) | instskip(SKIP_1) | instid1(VALU_DEP_1)
	v_cndmask_b32_e64 v65, 0x7fffffff, v64, s24
	v_cmp_gt_i32_e64 s24, 0, v64
	v_cndmask_b32_e64 v140, 0x7fffffff, 0, s24
	s_delay_alu instid0(VALU_DEP_1) | instskip(NEXT) | instid1(VALU_DEP_1)
	v_dual_lshrrev_b32 v65, s48, v65 :: v_dual_bitop2_b32 v64, v140, v64 bitop3:0x14
	v_and_b32_e32 v65, s58, v65
	s_delay_alu instid0(VALU_DEP_1)
	v_lshlrev_b32_e32 v65, 2, v65
	ds_load_b32 v65, v65
	s_wait_dscnt 0x0
	v_add_nc_u32_e32 v65, v65, v73
	global_store_b32 v65, v64, s[40:41] scale_offset
	s_wait_xcnt 0x0
	s_or_b32 exec_lo, exec_lo, s25
	v_cmp_lt_u32_e64 s24, v74, v139
	s_and_saveexec_b32 s26, s24
	s_cbranch_execz .LBB1348_511
.LBB1348_583:                           ;   in Loop: Header=BB1348_418 Depth=2
	ds_load_b32 v64, v92 offset:8704
	s_wait_dscnt 0x0
	v_cmp_ne_u32_e64 s25, 0x80000000, v64
	s_delay_alu instid0(VALU_DEP_1) | instskip(SKIP_1) | instid1(VALU_DEP_1)
	v_cndmask_b32_e64 v65, 0x7fffffff, v64, s25
	v_cmp_gt_i32_e64 s25, 0, v64
	v_cndmask_b32_e64 v140, 0x7fffffff, 0, s25
	s_delay_alu instid0(VALU_DEP_1) | instskip(NEXT) | instid1(VALU_DEP_1)
	v_dual_lshrrev_b32 v65, s48, v65 :: v_dual_bitop2_b32 v64, v140, v64 bitop3:0x14
	v_and_b32_e32 v65, s58, v65
	s_delay_alu instid0(VALU_DEP_1)
	v_lshlrev_b32_e32 v65, 2, v65
	ds_load_b32 v65, v65
	s_wait_dscnt 0x0
	v_add_nc_u32_e32 v65, v65, v74
	global_store_b32 v65, v64, s[40:41] scale_offset
	s_wait_xcnt 0x0
	s_or_b32 exec_lo, exec_lo, s26
	v_cmp_lt_u32_e64 s25, v75, v139
	s_and_saveexec_b32 s27, s25
	s_cbranch_execz .LBB1348_512
.LBB1348_584:                           ;   in Loop: Header=BB1348_418 Depth=2
	ds_load_b32 v64, v92 offset:9728
	s_wait_dscnt 0x0
	v_cmp_ne_u32_e64 s26, 0x80000000, v64
	s_delay_alu instid0(VALU_DEP_1) | instskip(SKIP_1) | instid1(VALU_DEP_1)
	v_cndmask_b32_e64 v65, 0x7fffffff, v64, s26
	v_cmp_gt_i32_e64 s26, 0, v64
	v_cndmask_b32_e64 v140, 0x7fffffff, 0, s26
	s_delay_alu instid0(VALU_DEP_1) | instskip(NEXT) | instid1(VALU_DEP_1)
	v_dual_lshrrev_b32 v65, s48, v65 :: v_dual_bitop2_b32 v64, v140, v64 bitop3:0x14
	v_and_b32_e32 v65, s58, v65
	s_delay_alu instid0(VALU_DEP_1)
	v_lshlrev_b32_e32 v65, 2, v65
	ds_load_b32 v65, v65
	s_wait_dscnt 0x0
	v_add_nc_u32_e32 v65, v65, v75
	global_store_b32 v65, v64, s[40:41] scale_offset
	s_wait_xcnt 0x0
	s_or_b32 exec_lo, exec_lo, s27
	v_cmp_lt_u32_e64 s26, v76, v139
	s_and_saveexec_b32 s28, s26
	s_cbranch_execz .LBB1348_513
.LBB1348_585:                           ;   in Loop: Header=BB1348_418 Depth=2
	ds_load_b32 v64, v92 offset:10752
	s_wait_dscnt 0x0
	v_cmp_ne_u32_e64 s27, 0x80000000, v64
	s_delay_alu instid0(VALU_DEP_1) | instskip(SKIP_1) | instid1(VALU_DEP_1)
	v_cndmask_b32_e64 v65, 0x7fffffff, v64, s27
	v_cmp_gt_i32_e64 s27, 0, v64
	v_cndmask_b32_e64 v140, 0x7fffffff, 0, s27
	s_delay_alu instid0(VALU_DEP_1) | instskip(NEXT) | instid1(VALU_DEP_1)
	v_dual_lshrrev_b32 v65, s48, v65 :: v_dual_bitop2_b32 v64, v140, v64 bitop3:0x14
	v_and_b32_e32 v65, s58, v65
	s_delay_alu instid0(VALU_DEP_1)
	v_lshlrev_b32_e32 v65, 2, v65
	ds_load_b32 v65, v65
	s_wait_dscnt 0x0
	v_add_nc_u32_e32 v65, v65, v76
	global_store_b32 v65, v64, s[40:41] scale_offset
	s_wait_xcnt 0x0
	s_or_b32 exec_lo, exec_lo, s28
	v_cmp_lt_u32_e64 s27, v77, v139
	s_and_saveexec_b32 s29, s27
	s_cbranch_execz .LBB1348_514
.LBB1348_586:                           ;   in Loop: Header=BB1348_418 Depth=2
	ds_load_b32 v64, v92 offset:11776
	s_wait_dscnt 0x0
	v_cmp_ne_u32_e64 s28, 0x80000000, v64
	s_delay_alu instid0(VALU_DEP_1) | instskip(SKIP_1) | instid1(VALU_DEP_1)
	v_cndmask_b32_e64 v65, 0x7fffffff, v64, s28
	v_cmp_gt_i32_e64 s28, 0, v64
	v_cndmask_b32_e64 v140, 0x7fffffff, 0, s28
	s_delay_alu instid0(VALU_DEP_1) | instskip(NEXT) | instid1(VALU_DEP_1)
	v_dual_lshrrev_b32 v65, s48, v65 :: v_dual_bitop2_b32 v64, v140, v64 bitop3:0x14
	v_and_b32_e32 v65, s58, v65
	s_delay_alu instid0(VALU_DEP_1)
	v_lshlrev_b32_e32 v65, 2, v65
	ds_load_b32 v65, v65
	s_wait_dscnt 0x0
	v_add_nc_u32_e32 v65, v65, v77
	global_store_b32 v65, v64, s[40:41] scale_offset
	s_wait_xcnt 0x0
	s_or_b32 exec_lo, exec_lo, s29
	v_cmp_lt_u32_e64 s28, v78, v139
	s_and_saveexec_b32 s30, s28
	s_cbranch_execz .LBB1348_515
.LBB1348_587:                           ;   in Loop: Header=BB1348_418 Depth=2
	ds_load_b32 v64, v92 offset:12800
	s_wait_dscnt 0x0
	v_cmp_ne_u32_e64 s29, 0x80000000, v64
	s_delay_alu instid0(VALU_DEP_1) | instskip(SKIP_1) | instid1(VALU_DEP_1)
	v_cndmask_b32_e64 v65, 0x7fffffff, v64, s29
	v_cmp_gt_i32_e64 s29, 0, v64
	v_cndmask_b32_e64 v140, 0x7fffffff, 0, s29
	s_delay_alu instid0(VALU_DEP_1) | instskip(NEXT) | instid1(VALU_DEP_1)
	v_dual_lshrrev_b32 v65, s48, v65 :: v_dual_bitop2_b32 v64, v140, v64 bitop3:0x14
	v_and_b32_e32 v65, s58, v65
	s_delay_alu instid0(VALU_DEP_1)
	v_lshlrev_b32_e32 v65, 2, v65
	ds_load_b32 v65, v65
	s_wait_dscnt 0x0
	v_add_nc_u32_e32 v65, v65, v78
	global_store_b32 v65, v64, s[40:41] scale_offset
	s_wait_xcnt 0x0
	s_or_b32 exec_lo, exec_lo, s30
	v_cmp_lt_u32_e64 s29, v79, v139
	s_and_saveexec_b32 s31, s29
	s_cbranch_execz .LBB1348_516
.LBB1348_588:                           ;   in Loop: Header=BB1348_418 Depth=2
	ds_load_b32 v64, v92 offset:13824
	s_wait_dscnt 0x0
	v_cmp_ne_u32_e64 s30, 0x80000000, v64
	s_delay_alu instid0(VALU_DEP_1) | instskip(SKIP_1) | instid1(VALU_DEP_1)
	v_cndmask_b32_e64 v65, 0x7fffffff, v64, s30
	v_cmp_gt_i32_e64 s30, 0, v64
	v_cndmask_b32_e64 v140, 0x7fffffff, 0, s30
	s_delay_alu instid0(VALU_DEP_1) | instskip(NEXT) | instid1(VALU_DEP_1)
	v_dual_lshrrev_b32 v65, s48, v65 :: v_dual_bitop2_b32 v64, v140, v64 bitop3:0x14
	v_and_b32_e32 v65, s58, v65
	s_delay_alu instid0(VALU_DEP_1)
	v_lshlrev_b32_e32 v65, 2, v65
	ds_load_b32 v65, v65
	s_wait_dscnt 0x0
	v_add_nc_u32_e32 v65, v65, v79
	global_store_b32 v65, v64, s[40:41] scale_offset
	s_wait_xcnt 0x0
	s_or_b32 exec_lo, exec_lo, s31
	v_cmp_lt_u32_e64 s30, v80, v139
	s_and_saveexec_b32 s33, s30
	s_cbranch_execz .LBB1348_517
.LBB1348_589:                           ;   in Loop: Header=BB1348_418 Depth=2
	ds_load_b32 v64, v92 offset:14848
	s_wait_dscnt 0x0
	v_cmp_ne_u32_e64 s31, 0x80000000, v64
	s_delay_alu instid0(VALU_DEP_1) | instskip(SKIP_1) | instid1(VALU_DEP_1)
	v_cndmask_b32_e64 v65, 0x7fffffff, v64, s31
	v_cmp_gt_i32_e64 s31, 0, v64
	v_cndmask_b32_e64 v140, 0x7fffffff, 0, s31
	s_delay_alu instid0(VALU_DEP_1) | instskip(NEXT) | instid1(VALU_DEP_1)
	v_dual_lshrrev_b32 v65, s48, v65 :: v_dual_bitop2_b32 v64, v140, v64 bitop3:0x14
	v_and_b32_e32 v65, s58, v65
	s_delay_alu instid0(VALU_DEP_1)
	v_lshlrev_b32_e32 v65, 2, v65
	ds_load_b32 v65, v65
	s_wait_dscnt 0x0
	v_add_nc_u32_e32 v65, v65, v80
	global_store_b32 v65, v64, s[40:41] scale_offset
	s_wait_xcnt 0x0
	s_or_b32 exec_lo, exec_lo, s33
	v_cmp_lt_u32_e64 s31, v81, v139
	s_and_saveexec_b32 s34, s31
	s_cbranch_execz .LBB1348_518
.LBB1348_590:                           ;   in Loop: Header=BB1348_418 Depth=2
	ds_load_b32 v64, v92 offset:15872
	s_wait_dscnt 0x0
	v_cmp_ne_u32_e64 s33, 0x80000000, v64
	s_delay_alu instid0(VALU_DEP_1) | instskip(SKIP_1) | instid1(VALU_DEP_1)
	v_cndmask_b32_e64 v65, 0x7fffffff, v64, s33
	v_cmp_gt_i32_e64 s33, 0, v64
	v_cndmask_b32_e64 v140, 0x7fffffff, 0, s33
	s_delay_alu instid0(VALU_DEP_1) | instskip(NEXT) | instid1(VALU_DEP_1)
	v_dual_lshrrev_b32 v65, s48, v65 :: v_dual_bitop2_b32 v64, v140, v64 bitop3:0x14
	v_and_b32_e32 v65, s58, v65
	s_delay_alu instid0(VALU_DEP_1)
	v_lshlrev_b32_e32 v65, 2, v65
	ds_load_b32 v65, v65
	s_wait_dscnt 0x0
	v_add_nc_u32_e32 v65, v65, v81
	global_store_b32 v65, v64, s[40:41] scale_offset
	s_wait_xcnt 0x0
	s_or_b32 exec_lo, exec_lo, s34
	v_cmp_lt_u32_e64 s33, v82, v139
	s_and_saveexec_b32 s61, s33
	s_cbranch_execnz .LBB1348_519
	s_branch .LBB1348_520
.LBB1348_591:                           ;   in Loop: Header=BB1348_418 Depth=2
	global_load_b64 v[62:63], v[64:65], off
	s_wait_xcnt 0x0
	s_or_b32 exec_lo, exec_lo, s34
	s_delay_alu instid0(SALU_CYCLE_1)
	s_mov_b32 s42, exec_lo
	v_cmpx_lt_u32_e64 v104, v139
	s_cbranch_execz .LBB1348_522
.LBB1348_592:                           ;   in Loop: Header=BB1348_418 Depth=2
	global_load_b64 v[60:61], v[64:65], off offset:256
	s_wait_xcnt 0x0
	s_or_b32 exec_lo, exec_lo, s42
	s_delay_alu instid0(SALU_CYCLE_1)
	s_mov_b32 s42, exec_lo
	v_cmpx_lt_u32_e64 v105, v139
	s_cbranch_execz .LBB1348_523
.LBB1348_593:                           ;   in Loop: Header=BB1348_418 Depth=2
	global_load_b64 v[58:59], v[64:65], off offset:512
	s_wait_xcnt 0x0
	s_or_b32 exec_lo, exec_lo, s42
	s_delay_alu instid0(SALU_CYCLE_1)
	s_mov_b32 s42, exec_lo
	v_cmpx_lt_u32_e64 v106, v139
	s_cbranch_execz .LBB1348_524
.LBB1348_594:                           ;   in Loop: Header=BB1348_418 Depth=2
	global_load_b64 v[56:57], v[64:65], off offset:768
	s_wait_xcnt 0x0
	s_or_b32 exec_lo, exec_lo, s42
	s_delay_alu instid0(SALU_CYCLE_1)
	s_mov_b32 s42, exec_lo
	v_cmpx_lt_u32_e64 v107, v139
	s_cbranch_execz .LBB1348_525
.LBB1348_595:                           ;   in Loop: Header=BB1348_418 Depth=2
	global_load_b64 v[54:55], v[64:65], off offset:1024
	s_wait_xcnt 0x0
	s_or_b32 exec_lo, exec_lo, s42
	s_delay_alu instid0(SALU_CYCLE_1)
	s_mov_b32 s42, exec_lo
	v_cmpx_lt_u32_e64 v108, v139
	s_cbranch_execz .LBB1348_526
.LBB1348_596:                           ;   in Loop: Header=BB1348_418 Depth=2
	global_load_b64 v[52:53], v[64:65], off offset:1280
	s_wait_xcnt 0x0
	s_or_b32 exec_lo, exec_lo, s42
	s_delay_alu instid0(SALU_CYCLE_1)
	s_mov_b32 s42, exec_lo
	v_cmpx_lt_u32_e64 v109, v139
	s_cbranch_execz .LBB1348_527
.LBB1348_597:                           ;   in Loop: Header=BB1348_418 Depth=2
	global_load_b64 v[50:51], v[64:65], off offset:1536
	s_wait_xcnt 0x0
	s_or_b32 exec_lo, exec_lo, s42
	s_delay_alu instid0(SALU_CYCLE_1)
	s_mov_b32 s42, exec_lo
	v_cmpx_lt_u32_e64 v110, v139
	s_cbranch_execz .LBB1348_528
.LBB1348_598:                           ;   in Loop: Header=BB1348_418 Depth=2
	global_load_b64 v[48:49], v[64:65], off offset:1792
	s_wait_xcnt 0x0
	s_or_b32 exec_lo, exec_lo, s42
	s_delay_alu instid0(SALU_CYCLE_1)
	s_mov_b32 s42, exec_lo
	v_cmpx_lt_u32_e64 v111, v139
	s_cbranch_execz .LBB1348_529
.LBB1348_599:                           ;   in Loop: Header=BB1348_418 Depth=2
	global_load_b64 v[46:47], v[64:65], off offset:2048
	s_wait_xcnt 0x0
	s_or_b32 exec_lo, exec_lo, s42
	s_delay_alu instid0(SALU_CYCLE_1)
	s_mov_b32 s42, exec_lo
	v_cmpx_lt_u32_e64 v112, v139
	s_cbranch_execz .LBB1348_530
.LBB1348_600:                           ;   in Loop: Header=BB1348_418 Depth=2
	global_load_b64 v[44:45], v[64:65], off offset:2304
	s_wait_xcnt 0x0
	s_or_b32 exec_lo, exec_lo, s42
	s_delay_alu instid0(SALU_CYCLE_1)
	s_mov_b32 s42, exec_lo
	v_cmpx_lt_u32_e64 v113, v139
	s_cbranch_execz .LBB1348_531
.LBB1348_601:                           ;   in Loop: Header=BB1348_418 Depth=2
	global_load_b64 v[42:43], v[64:65], off offset:2560
	s_wait_xcnt 0x0
	s_or_b32 exec_lo, exec_lo, s42
	s_delay_alu instid0(SALU_CYCLE_1)
	s_mov_b32 s42, exec_lo
	v_cmpx_lt_u32_e64 v114, v139
	s_cbranch_execz .LBB1348_532
.LBB1348_602:                           ;   in Loop: Header=BB1348_418 Depth=2
	global_load_b64 v[40:41], v[64:65], off offset:2816
	s_wait_xcnt 0x0
	s_or_b32 exec_lo, exec_lo, s42
	s_delay_alu instid0(SALU_CYCLE_1)
	s_mov_b32 s42, exec_lo
	v_cmpx_lt_u32_e64 v115, v139
	s_cbranch_execz .LBB1348_533
.LBB1348_603:                           ;   in Loop: Header=BB1348_418 Depth=2
	global_load_b64 v[38:39], v[64:65], off offset:3072
	s_wait_xcnt 0x0
	s_or_b32 exec_lo, exec_lo, s42
	s_delay_alu instid0(SALU_CYCLE_1)
	s_mov_b32 s42, exec_lo
	v_cmpx_lt_u32_e64 v116, v139
	s_cbranch_execz .LBB1348_534
.LBB1348_604:                           ;   in Loop: Header=BB1348_418 Depth=2
	global_load_b64 v[36:37], v[64:65], off offset:3328
	s_wait_xcnt 0x0
	s_or_b32 exec_lo, exec_lo, s42
	s_delay_alu instid0(SALU_CYCLE_1)
	s_mov_b32 s42, exec_lo
	v_cmpx_lt_u32_e64 v117, v139
	s_cbranch_execz .LBB1348_535
.LBB1348_605:                           ;   in Loop: Header=BB1348_418 Depth=2
	global_load_b64 v[34:35], v[64:65], off offset:3584
	s_wait_xcnt 0x0
	s_or_b32 exec_lo, exec_lo, s42
	s_delay_alu instid0(SALU_CYCLE_1)
	s_mov_b32 s42, exec_lo
	v_cmpx_lt_u32_e64 v118, v139
	s_cbranch_execz .LBB1348_536
.LBB1348_606:                           ;   in Loop: Header=BB1348_418 Depth=2
	global_load_b64 v[32:33], v[64:65], off offset:3840
	s_wait_xcnt 0x0
	s_or_b32 exec_lo, exec_lo, s42
	s_delay_alu instid0(SALU_CYCLE_1)
	s_mov_b32 s42, exec_lo
	v_cmpx_lt_u32_e64 v5, v139
	s_cbranch_execz .LBB1348_537
.LBB1348_607:                           ;   in Loop: Header=BB1348_418 Depth=2
	global_load_b64 v[30:31], v[64:65], off offset:4096
	s_wait_xcnt 0x0
	s_or_b32 exec_lo, exec_lo, s42
	s_and_saveexec_b32 s42, vcc_lo
	s_cbranch_execz .LBB1348_538
.LBB1348_608:                           ;   in Loop: Header=BB1348_418 Depth=2
	ds_load_b32 v64, v92 offset:512
	s_wait_dscnt 0x0
	v_cmp_ne_u32_e64 s34, 0x80000000, v64
	s_delay_alu instid0(VALU_DEP_1) | instskip(NEXT) | instid1(VALU_DEP_1)
	v_cndmask_b32_e64 v64, 0x7fffffff, v64, s34
	v_lshrrev_b32_e32 v64, s48, v64
	s_delay_alu instid0(VALU_DEP_1)
	v_and_b32_e32 v137, s58, v64
	s_or_b32 exec_lo, exec_lo, s42
	s_and_saveexec_b32 s42, s17
	s_cbranch_execz .LBB1348_539
.LBB1348_609:                           ;   in Loop: Header=BB1348_418 Depth=2
	ds_load_b32 v64, v92 offset:1536
	s_wait_dscnt 0x0
	v_cmp_ne_u32_e64 s34, 0x80000000, v64
	s_delay_alu instid0(VALU_DEP_1) | instskip(NEXT) | instid1(VALU_DEP_1)
	v_cndmask_b32_e64 v64, 0x7fffffff, v64, s34
	v_lshrrev_b32_e32 v64, s48, v64
	s_delay_alu instid0(VALU_DEP_1)
	v_and_b32_e32 v136, s58, v64
	s_or_b32 exec_lo, exec_lo, s42
	s_and_saveexec_b32 s42, s18
	s_cbranch_execz .LBB1348_540
.LBB1348_610:                           ;   in Loop: Header=BB1348_418 Depth=2
	ds_load_b32 v64, v92 offset:2560
	s_wait_dscnt 0x0
	v_cmp_ne_u32_e64 s34, 0x80000000, v64
	s_delay_alu instid0(VALU_DEP_1) | instskip(NEXT) | instid1(VALU_DEP_1)
	v_cndmask_b32_e64 v64, 0x7fffffff, v64, s34
	v_lshrrev_b32_e32 v64, s48, v64
	s_delay_alu instid0(VALU_DEP_1)
	v_and_b32_e32 v135, s58, v64
	s_or_b32 exec_lo, exec_lo, s42
	s_and_saveexec_b32 s42, s19
	s_cbranch_execz .LBB1348_541
.LBB1348_611:                           ;   in Loop: Header=BB1348_418 Depth=2
	ds_load_b32 v64, v92 offset:3584
	s_wait_dscnt 0x0
	v_cmp_ne_u32_e64 s34, 0x80000000, v64
	s_delay_alu instid0(VALU_DEP_1) | instskip(NEXT) | instid1(VALU_DEP_1)
	v_cndmask_b32_e64 v64, 0x7fffffff, v64, s34
	v_lshrrev_b32_e32 v64, s48, v64
	s_delay_alu instid0(VALU_DEP_1)
	v_and_b32_e32 v134, s58, v64
	s_or_b32 exec_lo, exec_lo, s42
	s_and_saveexec_b32 s42, s20
	s_cbranch_execz .LBB1348_542
.LBB1348_612:                           ;   in Loop: Header=BB1348_418 Depth=2
	ds_load_b32 v64, v92 offset:4608
	s_wait_dscnt 0x0
	v_cmp_ne_u32_e64 s34, 0x80000000, v64
	s_delay_alu instid0(VALU_DEP_1) | instskip(NEXT) | instid1(VALU_DEP_1)
	v_cndmask_b32_e64 v64, 0x7fffffff, v64, s34
	v_lshrrev_b32_e32 v64, s48, v64
	s_delay_alu instid0(VALU_DEP_1)
	v_and_b32_e32 v132, s58, v64
	s_or_b32 exec_lo, exec_lo, s42
	s_and_saveexec_b32 s42, s21
	s_cbranch_execz .LBB1348_543
.LBB1348_613:                           ;   in Loop: Header=BB1348_418 Depth=2
	ds_load_b32 v64, v92 offset:5632
	s_wait_dscnt 0x0
	v_cmp_ne_u32_e64 s34, 0x80000000, v64
	s_delay_alu instid0(VALU_DEP_1) | instskip(NEXT) | instid1(VALU_DEP_1)
	v_cndmask_b32_e64 v64, 0x7fffffff, v64, s34
	v_lshrrev_b32_e32 v64, s48, v64
	s_delay_alu instid0(VALU_DEP_1)
	v_and_b32_e32 v131, s58, v64
	s_or_b32 exec_lo, exec_lo, s42
	s_and_saveexec_b32 s42, s22
	s_cbranch_execz .LBB1348_544
.LBB1348_614:                           ;   in Loop: Header=BB1348_418 Depth=2
	ds_load_b32 v64, v92 offset:6656
	s_wait_dscnt 0x0
	v_cmp_ne_u32_e64 s34, 0x80000000, v64
	s_delay_alu instid0(VALU_DEP_1) | instskip(NEXT) | instid1(VALU_DEP_1)
	v_cndmask_b32_e64 v64, 0x7fffffff, v64, s34
	v_lshrrev_b32_e32 v64, s48, v64
	s_delay_alu instid0(VALU_DEP_1)
	v_and_b32_e32 v130, s58, v64
	s_or_b32 exec_lo, exec_lo, s42
	s_and_saveexec_b32 s42, s23
	s_cbranch_execz .LBB1348_545
.LBB1348_615:                           ;   in Loop: Header=BB1348_418 Depth=2
	ds_load_b32 v64, v92 offset:7680
	s_wait_dscnt 0x0
	v_cmp_ne_u32_e64 s34, 0x80000000, v64
	s_delay_alu instid0(VALU_DEP_1) | instskip(NEXT) | instid1(VALU_DEP_1)
	v_cndmask_b32_e64 v64, 0x7fffffff, v64, s34
	v_lshrrev_b32_e32 v64, s48, v64
	s_delay_alu instid0(VALU_DEP_1)
	v_and_b32_e32 v129, s58, v64
	s_or_b32 exec_lo, exec_lo, s42
	s_and_saveexec_b32 s42, s24
	s_cbranch_execz .LBB1348_546
.LBB1348_616:                           ;   in Loop: Header=BB1348_418 Depth=2
	ds_load_b32 v64, v92 offset:8704
	s_wait_dscnt 0x0
	v_cmp_ne_u32_e64 s34, 0x80000000, v64
	s_delay_alu instid0(VALU_DEP_1) | instskip(NEXT) | instid1(VALU_DEP_1)
	v_cndmask_b32_e64 v64, 0x7fffffff, v64, s34
	v_lshrrev_b32_e32 v64, s48, v64
	s_delay_alu instid0(VALU_DEP_1)
	v_and_b32_e32 v128, s58, v64
	s_or_b32 exec_lo, exec_lo, s42
	s_and_saveexec_b32 s42, s25
	s_cbranch_execz .LBB1348_547
.LBB1348_617:                           ;   in Loop: Header=BB1348_418 Depth=2
	ds_load_b32 v64, v92 offset:9728
	s_wait_dscnt 0x0
	v_cmp_ne_u32_e64 s34, 0x80000000, v64
	s_delay_alu instid0(VALU_DEP_1) | instskip(NEXT) | instid1(VALU_DEP_1)
	v_cndmask_b32_e64 v64, 0x7fffffff, v64, s34
	v_lshrrev_b32_e32 v64, s48, v64
	s_delay_alu instid0(VALU_DEP_1)
	v_and_b32_e32 v127, s58, v64
	s_or_b32 exec_lo, exec_lo, s42
	s_and_saveexec_b32 s42, s26
	s_cbranch_execz .LBB1348_548
.LBB1348_618:                           ;   in Loop: Header=BB1348_418 Depth=2
	ds_load_b32 v64, v92 offset:10752
	s_wait_dscnt 0x0
	v_cmp_ne_u32_e64 s34, 0x80000000, v64
	s_delay_alu instid0(VALU_DEP_1) | instskip(NEXT) | instid1(VALU_DEP_1)
	v_cndmask_b32_e64 v64, 0x7fffffff, v64, s34
	v_lshrrev_b32_e32 v64, s48, v64
	s_delay_alu instid0(VALU_DEP_1)
	v_and_b32_e32 v126, s58, v64
	s_or_b32 exec_lo, exec_lo, s42
	s_and_saveexec_b32 s42, s27
	s_cbranch_execz .LBB1348_549
.LBB1348_619:                           ;   in Loop: Header=BB1348_418 Depth=2
	ds_load_b32 v64, v92 offset:11776
	s_wait_dscnt 0x0
	v_cmp_ne_u32_e64 s34, 0x80000000, v64
	s_delay_alu instid0(VALU_DEP_1) | instskip(NEXT) | instid1(VALU_DEP_1)
	v_cndmask_b32_e64 v64, 0x7fffffff, v64, s34
	v_lshrrev_b32_e32 v64, s48, v64
	s_delay_alu instid0(VALU_DEP_1)
	v_and_b32_e32 v125, s58, v64
	s_or_b32 exec_lo, exec_lo, s42
	s_and_saveexec_b32 s42, s28
	s_cbranch_execz .LBB1348_550
.LBB1348_620:                           ;   in Loop: Header=BB1348_418 Depth=2
	ds_load_b32 v64, v92 offset:12800
	s_wait_dscnt 0x0
	v_cmp_ne_u32_e64 s34, 0x80000000, v64
	s_delay_alu instid0(VALU_DEP_1) | instskip(NEXT) | instid1(VALU_DEP_1)
	v_cndmask_b32_e64 v64, 0x7fffffff, v64, s34
	v_lshrrev_b32_e32 v64, s48, v64
	s_delay_alu instid0(VALU_DEP_1)
	v_and_b32_e32 v124, s58, v64
	s_or_b32 exec_lo, exec_lo, s42
	s_and_saveexec_b32 s42, s29
	s_cbranch_execz .LBB1348_551
.LBB1348_621:                           ;   in Loop: Header=BB1348_418 Depth=2
	ds_load_b32 v64, v92 offset:13824
	s_wait_dscnt 0x0
	v_cmp_ne_u32_e64 s34, 0x80000000, v64
	s_delay_alu instid0(VALU_DEP_1) | instskip(NEXT) | instid1(VALU_DEP_1)
	v_cndmask_b32_e64 v64, 0x7fffffff, v64, s34
	v_lshrrev_b32_e32 v64, s48, v64
	s_delay_alu instid0(VALU_DEP_1)
	v_and_b32_e32 v123, s58, v64
	s_or_b32 exec_lo, exec_lo, s42
	s_and_saveexec_b32 s42, s30
	s_cbranch_execz .LBB1348_552
.LBB1348_622:                           ;   in Loop: Header=BB1348_418 Depth=2
	ds_load_b32 v64, v92 offset:14848
	s_wait_dscnt 0x0
	v_cmp_ne_u32_e64 s34, 0x80000000, v64
	s_delay_alu instid0(VALU_DEP_1) | instskip(NEXT) | instid1(VALU_DEP_1)
	v_cndmask_b32_e64 v64, 0x7fffffff, v64, s34
	v_lshrrev_b32_e32 v64, s48, v64
	s_delay_alu instid0(VALU_DEP_1)
	v_and_b32_e32 v122, s58, v64
	s_or_b32 exec_lo, exec_lo, s42
	s_and_saveexec_b32 s42, s31
	s_cbranch_execz .LBB1348_553
.LBB1348_623:                           ;   in Loop: Header=BB1348_418 Depth=2
	ds_load_b32 v64, v92 offset:15872
	s_wait_dscnt 0x0
	v_cmp_ne_u32_e64 s34, 0x80000000, v64
	s_delay_alu instid0(VALU_DEP_1) | instskip(NEXT) | instid1(VALU_DEP_1)
	v_cndmask_b32_e64 v64, 0x7fffffff, v64, s34
	v_lshrrev_b32_e32 v64, s48, v64
	s_delay_alu instid0(VALU_DEP_1)
	v_and_b32_e32 v121, s58, v64
	s_or_b32 exec_lo, exec_lo, s42
	s_and_saveexec_b32 s42, s33
	s_cbranch_execnz .LBB1348_554
	s_branch .LBB1348_555
.LBB1348_624:                           ;   in Loop: Header=BB1348_418 Depth=2
	v_dual_lshlrev_b32 v64, 2, v137 :: v_dual_add_nc_u32 v65, v92, v4
	ds_load_b32 v66, v64
	ds_load_b64 v[64:65], v65 offset:512
	s_wait_dscnt 0x1
	v_add_nc_u32_e32 v66, v66, v2
	s_wait_dscnt 0x0
	global_store_b64 v66, v[64:65], s[46:47] scale_offset
	s_wait_xcnt 0x0
	s_or_b32 exec_lo, exec_lo, s34
	s_and_saveexec_b32 s34, s17
	s_cbranch_execz .LBB1348_557
.LBB1348_625:                           ;   in Loop: Header=BB1348_418 Depth=2
	v_lshlrev_b32_e32 v64, 2, v136
	v_add_nc_u32_e32 v65, v92, v4
	ds_load_b32 v66, v64
	ds_load_b64 v[64:65], v65 offset:2560
	s_wait_dscnt 0x1
	v_add_nc_u32_e32 v66, v66, v3
	s_wait_dscnt 0x0
	global_store_b64 v66, v[64:65], s[46:47] scale_offset
	s_wait_xcnt 0x0
	s_or_b32 exec_lo, exec_lo, s34
	s_and_saveexec_b32 s17, s18
	s_cbranch_execz .LBB1348_558
.LBB1348_626:                           ;   in Loop: Header=BB1348_418 Depth=2
	v_dual_lshlrev_b32 v64, 2, v135 :: v_dual_add_nc_u32 v65, v92, v4
	ds_load_b32 v66, v64
	ds_load_b64 v[64:65], v65 offset:4608
	s_wait_dscnt 0x1
	v_add_nc_u32_e32 v66, v66, v68
	s_wait_dscnt 0x0
	global_store_b64 v66, v[64:65], s[46:47] scale_offset
	s_wait_xcnt 0x0
	s_or_b32 exec_lo, exec_lo, s17
	s_and_saveexec_b32 s17, s19
	s_cbranch_execz .LBB1348_559
.LBB1348_627:                           ;   in Loop: Header=BB1348_418 Depth=2
	v_dual_lshlrev_b32 v64, 2, v134 :: v_dual_add_nc_u32 v65, v92, v4
	ds_load_b32 v66, v64
	ds_load_b64 v[64:65], v65 offset:6656
	s_wait_dscnt 0x1
	v_add_nc_u32_e32 v66, v66, v69
	s_wait_dscnt 0x0
	global_store_b64 v66, v[64:65], s[46:47] scale_offset
	s_wait_xcnt 0x0
	s_or_b32 exec_lo, exec_lo, s17
	s_and_saveexec_b32 s17, s20
	s_cbranch_execz .LBB1348_560
.LBB1348_628:                           ;   in Loop: Header=BB1348_418 Depth=2
	v_lshlrev_b32_e32 v64, 2, v132
	v_add_nc_u32_e32 v65, v92, v4
	ds_load_b32 v66, v64
	ds_load_b64 v[64:65], v65 offset:8704
	s_wait_dscnt 0x1
	v_add_nc_u32_e32 v66, v66, v70
	s_wait_dscnt 0x0
	global_store_b64 v66, v[64:65], s[46:47] scale_offset
	s_wait_xcnt 0x0
	s_or_b32 exec_lo, exec_lo, s17
	s_and_saveexec_b32 s17, s21
	s_cbranch_execz .LBB1348_561
.LBB1348_629:                           ;   in Loop: Header=BB1348_418 Depth=2
	v_dual_lshlrev_b32 v64, 2, v131 :: v_dual_add_nc_u32 v65, v92, v4
	ds_load_b32 v66, v64
	ds_load_b64 v[64:65], v65 offset:10752
	s_wait_dscnt 0x1
	v_add_nc_u32_e32 v66, v66, v71
	s_wait_dscnt 0x0
	global_store_b64 v66, v[64:65], s[46:47] scale_offset
	s_wait_xcnt 0x0
	s_or_b32 exec_lo, exec_lo, s17
	s_and_saveexec_b32 s17, s22
	s_cbranch_execz .LBB1348_562
.LBB1348_630:                           ;   in Loop: Header=BB1348_418 Depth=2
	v_dual_lshlrev_b32 v64, 2, v130 :: v_dual_add_nc_u32 v65, v92, v4
	ds_load_b32 v66, v64
	ds_load_b64 v[64:65], v65 offset:12800
	s_wait_dscnt 0x1
	v_add_nc_u32_e32 v66, v66, v72
	s_wait_dscnt 0x0
	global_store_b64 v66, v[64:65], s[46:47] scale_offset
	s_wait_xcnt 0x0
	s_or_b32 exec_lo, exec_lo, s17
	s_and_saveexec_b32 s17, s23
	s_cbranch_execz .LBB1348_563
.LBB1348_631:                           ;   in Loop: Header=BB1348_418 Depth=2
	v_dual_lshlrev_b32 v64, 2, v129 :: v_dual_add_nc_u32 v65, v92, v4
	ds_load_b32 v66, v64
	ds_load_b64 v[64:65], v65 offset:14848
	s_wait_dscnt 0x1
	v_add_nc_u32_e32 v66, v66, v73
	s_wait_dscnt 0x0
	global_store_b64 v66, v[64:65], s[46:47] scale_offset
	s_wait_xcnt 0x0
	s_or_b32 exec_lo, exec_lo, s17
	s_and_saveexec_b32 s17, s24
	s_cbranch_execz .LBB1348_564
.LBB1348_632:                           ;   in Loop: Header=BB1348_418 Depth=2
	v_lshlrev_b32_e32 v64, 2, v128
	v_add_nc_u32_e32 v65, v92, v4
	ds_load_b32 v66, v64
	ds_load_b64 v[64:65], v65 offset:16896
	s_wait_dscnt 0x1
	v_add_nc_u32_e32 v66, v66, v74
	s_wait_dscnt 0x0
	global_store_b64 v66, v[64:65], s[46:47] scale_offset
	s_wait_xcnt 0x0
	s_or_b32 exec_lo, exec_lo, s17
	s_and_saveexec_b32 s17, s25
	s_cbranch_execz .LBB1348_565
.LBB1348_633:                           ;   in Loop: Header=BB1348_418 Depth=2
	v_dual_lshlrev_b32 v64, 2, v127 :: v_dual_add_nc_u32 v65, v92, v4
	ds_load_b32 v66, v64
	ds_load_b64 v[64:65], v65 offset:18944
	s_wait_dscnt 0x1
	v_add_nc_u32_e32 v66, v66, v75
	s_wait_dscnt 0x0
	global_store_b64 v66, v[64:65], s[46:47] scale_offset
	s_wait_xcnt 0x0
	s_or_b32 exec_lo, exec_lo, s17
	s_and_saveexec_b32 s17, s26
	s_cbranch_execz .LBB1348_566
.LBB1348_634:                           ;   in Loop: Header=BB1348_418 Depth=2
	v_dual_lshlrev_b32 v64, 2, v126 :: v_dual_add_nc_u32 v65, v92, v4
	ds_load_b32 v66, v64
	ds_load_b64 v[64:65], v65 offset:20992
	s_wait_dscnt 0x1
	v_add_nc_u32_e32 v66, v66, v76
	s_wait_dscnt 0x0
	global_store_b64 v66, v[64:65], s[46:47] scale_offset
	s_wait_xcnt 0x0
	s_or_b32 exec_lo, exec_lo, s17
	s_and_saveexec_b32 s17, s27
	s_cbranch_execz .LBB1348_567
.LBB1348_635:                           ;   in Loop: Header=BB1348_418 Depth=2
	v_dual_lshlrev_b32 v64, 2, v125 :: v_dual_add_nc_u32 v65, v92, v4
	ds_load_b32 v66, v64
	ds_load_b64 v[64:65], v65 offset:23040
	s_wait_dscnt 0x1
	v_add_nc_u32_e32 v66, v66, v77
	s_wait_dscnt 0x0
	global_store_b64 v66, v[64:65], s[46:47] scale_offset
	s_wait_xcnt 0x0
	s_or_b32 exec_lo, exec_lo, s17
	s_and_saveexec_b32 s17, s28
	s_cbranch_execz .LBB1348_568
.LBB1348_636:                           ;   in Loop: Header=BB1348_418 Depth=2
	v_lshlrev_b32_e32 v64, 2, v124
	v_add_nc_u32_e32 v65, v92, v4
	ds_load_b32 v66, v64
	ds_load_b64 v[64:65], v65 offset:25088
	s_wait_dscnt 0x1
	v_add_nc_u32_e32 v66, v66, v78
	s_wait_dscnt 0x0
	global_store_b64 v66, v[64:65], s[46:47] scale_offset
	s_wait_xcnt 0x0
	s_or_b32 exec_lo, exec_lo, s17
	s_and_saveexec_b32 s17, s29
	s_cbranch_execz .LBB1348_569
.LBB1348_637:                           ;   in Loop: Header=BB1348_418 Depth=2
	v_dual_lshlrev_b32 v64, 2, v123 :: v_dual_add_nc_u32 v65, v92, v4
	ds_load_b32 v66, v64
	ds_load_b64 v[64:65], v65 offset:27136
	s_wait_dscnt 0x1
	v_add_nc_u32_e32 v66, v66, v79
	s_wait_dscnt 0x0
	global_store_b64 v66, v[64:65], s[46:47] scale_offset
	s_wait_xcnt 0x0
	s_or_b32 exec_lo, exec_lo, s17
	s_and_saveexec_b32 s17, s30
	s_cbranch_execz .LBB1348_570
.LBB1348_638:                           ;   in Loop: Header=BB1348_418 Depth=2
	v_dual_lshlrev_b32 v64, 2, v122 :: v_dual_add_nc_u32 v65, v92, v4
	ds_load_b32 v66, v64
	ds_load_b64 v[64:65], v65 offset:29184
	s_wait_dscnt 0x1
	v_add_nc_u32_e32 v66, v66, v80
	s_wait_dscnt 0x0
	global_store_b64 v66, v[64:65], s[46:47] scale_offset
	s_wait_xcnt 0x0
	s_or_b32 exec_lo, exec_lo, s17
	s_and_saveexec_b32 s17, s31
	s_cbranch_execz .LBB1348_571
.LBB1348_639:                           ;   in Loop: Header=BB1348_418 Depth=2
	v_dual_lshlrev_b32 v64, 2, v121 :: v_dual_add_nc_u32 v65, v92, v4
	ds_load_b32 v66, v64
	ds_load_b64 v[64:65], v65 offset:31232
	s_wait_dscnt 0x1
	v_add_nc_u32_e32 v66, v66, v81
	s_wait_dscnt 0x0
	global_store_b64 v66, v[64:65], s[46:47] scale_offset
	s_wait_xcnt 0x0
	s_or_b32 exec_lo, exec_lo, s17
	s_and_saveexec_b32 s17, s33
	s_cbranch_execnz .LBB1348_572
	s_branch .LBB1348_573
.LBB1348_640:                           ;   in Loop: Header=BB1348_20 Depth=1
	s_wait_dscnt 0x0
	s_barrier_signal -1
	s_barrier_wait -1
.LBB1348_641:                           ;   in Loop: Header=BB1348_20 Depth=1
	s_mov_b32 s9, 0
.LBB1348_642:                           ;   in Loop: Header=BB1348_20 Depth=1
	s_delay_alu instid0(SALU_CYCLE_1)
	s_and_not1_b32 vcc_lo, exec_lo, s9
	s_cbranch_vccnz .LBB1348_19
; %bb.643:                              ;   in Loop: Header=BB1348_20 Depth=1
	s_and_b32 vcc_lo, exec_lo, s56
	s_mov_b32 s9, -1
	s_cbranch_vccz .LBB1348_953
; %bb.644:                              ;   in Loop: Header=BB1348_20 Depth=1
	s_mov_b32 s9, s57
	s_mov_b32 s42, s55
	s_barrier_signal -1
	s_barrier_wait -1
                                        ; implicit-def: $vgpr25
                                        ; implicit-def: $vgpr26
                                        ; implicit-def: $vgpr27
                                        ; implicit-def: $vgpr28
                                        ; implicit-def: $vgpr29
                                        ; implicit-def: $vgpr30
                                        ; implicit-def: $vgpr31
                                        ; implicit-def: $vgpr32
                                        ; implicit-def: $vgpr33
                                        ; implicit-def: $vgpr34
                                        ; implicit-def: $vgpr35
                                        ; implicit-def: $vgpr36
                                        ; implicit-def: $vgpr37
                                        ; implicit-def: $vgpr38
                                        ; implicit-def: $vgpr39
                                        ; implicit-def: $vgpr40
                                        ; implicit-def: $vgpr41
	s_branch .LBB1348_646
.LBB1348_645:                           ;   in Loop: Header=BB1348_646 Depth=2
	s_or_b32 exec_lo, exec_lo, s10
	s_addk_co_i32 s9, 0xef00
	s_cmp_ge_u32 s12, s54
	s_mov_b32 s42, s12
	s_cbranch_scc1 .LBB1348_718
.LBB1348_646:                           ;   Parent Loop BB1348_20 Depth=1
                                        ; =>  This Inner Loop Header: Depth=2
	s_add_co_i32 s12, s42, 0x1100
	s_mov_b32 s10, -1
	s_cmp_gt_u32 s12, s54
                                        ; implicit-def: $vgpr42
                                        ; implicit-def: $vgpr43
                                        ; implicit-def: $vgpr44
                                        ; implicit-def: $vgpr45
                                        ; implicit-def: $vgpr46
                                        ; implicit-def: $vgpr47
                                        ; implicit-def: $vgpr48
                                        ; implicit-def: $vgpr49
                                        ; implicit-def: $vgpr50
                                        ; implicit-def: $vgpr51
                                        ; implicit-def: $vgpr52
                                        ; implicit-def: $vgpr53
                                        ; implicit-def: $vgpr54
                                        ; implicit-def: $vgpr55
                                        ; implicit-def: $vgpr56
                                        ; implicit-def: $vgpr57
                                        ; implicit-def: $vgpr58
	s_cbranch_scc1 .LBB1348_648
; %bb.647:                              ;   in Loop: Header=BB1348_646 Depth=2
	v_lshl_add_u64 v[60:61], s[42:43], 2, v[22:23]
	s_mov_b32 s10, 0
	s_clause 0x10
	global_load_b32 v42, v[60:61], off
	global_load_b32 v43, v[60:61], off offset:1024
	global_load_b32 v44, v[60:61], off offset:2048
	;; [unrolled: 1-line block ×16, first 2 shown]
.LBB1348_648:                           ;   in Loop: Header=BB1348_646 Depth=2
	s_and_not1_b32 vcc_lo, exec_lo, s10
	s_movk_i32 s10, 0x1100
	s_cbranch_vccnz .LBB1348_668
; %bb.649:                              ;   in Loop: Header=BB1348_646 Depth=2
	s_lshl_b64 s[10:11], s[42:43], 2
	s_mov_b32 s13, exec_lo
	s_add_nc_u64 s[10:11], s[36:37], s[10:11]
	s_wait_xcnt 0x0
	v_cmpx_gt_u32_e64 s9, v2
	s_cbranch_execnz .LBB1348_702
; %bb.650:                              ;   in Loop: Header=BB1348_646 Depth=2
	s_or_b32 exec_lo, exec_lo, s13
	s_delay_alu instid0(SALU_CYCLE_1)
	s_mov_b32 s13, exec_lo
	v_cmpx_gt_u32_e64 s9, v3
	s_cbranch_execnz .LBB1348_703
.LBB1348_651:                           ;   in Loop: Header=BB1348_646 Depth=2
	s_or_b32 exec_lo, exec_lo, s13
	s_delay_alu instid0(SALU_CYCLE_1)
	s_mov_b32 s13, exec_lo
	v_cmpx_gt_u32_e64 s9, v68
	s_cbranch_execnz .LBB1348_704
.LBB1348_652:                           ;   in Loop: Header=BB1348_646 Depth=2
	s_or_b32 exec_lo, exec_lo, s13
	s_delay_alu instid0(SALU_CYCLE_1)
	s_mov_b32 s13, exec_lo
	v_cmpx_gt_u32_e64 s9, v69
	s_cbranch_execnz .LBB1348_705
.LBB1348_653:                           ;   in Loop: Header=BB1348_646 Depth=2
	s_or_b32 exec_lo, exec_lo, s13
	s_delay_alu instid0(SALU_CYCLE_1)
	s_mov_b32 s13, exec_lo
	v_cmpx_gt_u32_e64 s9, v70
	s_cbranch_execnz .LBB1348_706
.LBB1348_654:                           ;   in Loop: Header=BB1348_646 Depth=2
	s_or_b32 exec_lo, exec_lo, s13
	s_delay_alu instid0(SALU_CYCLE_1)
	s_mov_b32 s13, exec_lo
	v_cmpx_gt_u32_e64 s9, v71
	s_cbranch_execnz .LBB1348_707
.LBB1348_655:                           ;   in Loop: Header=BB1348_646 Depth=2
	s_or_b32 exec_lo, exec_lo, s13
	s_delay_alu instid0(SALU_CYCLE_1)
	s_mov_b32 s13, exec_lo
	v_cmpx_gt_u32_e64 s9, v72
	s_cbranch_execnz .LBB1348_708
.LBB1348_656:                           ;   in Loop: Header=BB1348_646 Depth=2
	s_or_b32 exec_lo, exec_lo, s13
	s_delay_alu instid0(SALU_CYCLE_1)
	s_mov_b32 s13, exec_lo
	v_cmpx_gt_u32_e64 s9, v73
	s_cbranch_execnz .LBB1348_709
.LBB1348_657:                           ;   in Loop: Header=BB1348_646 Depth=2
	s_or_b32 exec_lo, exec_lo, s13
	s_delay_alu instid0(SALU_CYCLE_1)
	s_mov_b32 s13, exec_lo
	v_cmpx_gt_u32_e64 s9, v74
	s_cbranch_execnz .LBB1348_710
.LBB1348_658:                           ;   in Loop: Header=BB1348_646 Depth=2
	s_or_b32 exec_lo, exec_lo, s13
	s_delay_alu instid0(SALU_CYCLE_1)
	s_mov_b32 s13, exec_lo
	v_cmpx_gt_u32_e64 s9, v75
	s_cbranch_execnz .LBB1348_711
.LBB1348_659:                           ;   in Loop: Header=BB1348_646 Depth=2
	s_or_b32 exec_lo, exec_lo, s13
	s_delay_alu instid0(SALU_CYCLE_1)
	s_mov_b32 s13, exec_lo
	v_cmpx_gt_u32_e64 s9, v76
	s_cbranch_execnz .LBB1348_712
.LBB1348_660:                           ;   in Loop: Header=BB1348_646 Depth=2
	s_or_b32 exec_lo, exec_lo, s13
	s_delay_alu instid0(SALU_CYCLE_1)
	s_mov_b32 s13, exec_lo
	v_cmpx_gt_u32_e64 s9, v77
	s_cbranch_execnz .LBB1348_713
.LBB1348_661:                           ;   in Loop: Header=BB1348_646 Depth=2
	s_or_b32 exec_lo, exec_lo, s13
	s_delay_alu instid0(SALU_CYCLE_1)
	s_mov_b32 s13, exec_lo
	v_cmpx_gt_u32_e64 s9, v78
	s_cbranch_execnz .LBB1348_714
.LBB1348_662:                           ;   in Loop: Header=BB1348_646 Depth=2
	s_or_b32 exec_lo, exec_lo, s13
	s_delay_alu instid0(SALU_CYCLE_1)
	s_mov_b32 s13, exec_lo
	v_cmpx_gt_u32_e64 s9, v79
	s_cbranch_execnz .LBB1348_715
.LBB1348_663:                           ;   in Loop: Header=BB1348_646 Depth=2
	s_or_b32 exec_lo, exec_lo, s13
	s_delay_alu instid0(SALU_CYCLE_1)
	s_mov_b32 s13, exec_lo
	v_cmpx_gt_u32_e64 s9, v80
	s_cbranch_execnz .LBB1348_716
.LBB1348_664:                           ;   in Loop: Header=BB1348_646 Depth=2
	s_or_b32 exec_lo, exec_lo, s13
	s_delay_alu instid0(SALU_CYCLE_1)
	s_mov_b32 s13, exec_lo
	v_cmpx_gt_u32_e64 s9, v81
	s_cbranch_execnz .LBB1348_717
.LBB1348_665:                           ;   in Loop: Header=BB1348_646 Depth=2
	s_or_b32 exec_lo, exec_lo, s13
	s_delay_alu instid0(SALU_CYCLE_1)
	s_mov_b32 s13, exec_lo
	v_cmpx_gt_u32_e64 s9, v82
	s_cbranch_execz .LBB1348_667
.LBB1348_666:                           ;   in Loop: Header=BB1348_646 Depth=2
	global_load_b32 v25, v2, s[10:11] offset:16384 scale_offset
.LBB1348_667:                           ;   in Loop: Header=BB1348_646 Depth=2
	s_wait_xcnt 0x0
	s_or_b32 exec_lo, exec_lo, s13
	s_wait_loadcnt 0x0
	v_dual_mov_b32 v42, v41 :: v_dual_mov_b32 v43, v40
	v_dual_mov_b32 v44, v39 :: v_dual_mov_b32 v45, v38
	;; [unrolled: 1-line block ×8, first 2 shown]
	v_mov_b32_e32 v58, v25
	s_mov_b32 s10, s9
.LBB1348_668:                           ;   in Loop: Header=BB1348_646 Depth=2
	s_wait_loadcnt 0x0
	s_delay_alu instid0(VALU_DEP_1)
	v_dual_mov_b32 v25, v58 :: v_dual_mov_b32 v26, v57
	v_dual_mov_b32 v27, v56 :: v_dual_mov_b32 v28, v55
	;; [unrolled: 1-line block ×8, first 2 shown]
	v_mov_b32_e32 v41, v42
	s_mov_b32 s11, exec_lo
	s_wait_xcnt 0x0
	v_cmpx_gt_u32_e64 s10, v2
	s_cbranch_execnz .LBB1348_685
; %bb.669:                              ;   in Loop: Header=BB1348_646 Depth=2
	s_or_b32 exec_lo, exec_lo, s11
	s_delay_alu instid0(SALU_CYCLE_1)
	s_mov_b32 s11, exec_lo
	v_cmpx_gt_u32_e64 s10, v3
	s_cbranch_execnz .LBB1348_686
.LBB1348_670:                           ;   in Loop: Header=BB1348_646 Depth=2
	s_or_b32 exec_lo, exec_lo, s11
	s_delay_alu instid0(SALU_CYCLE_1)
	s_mov_b32 s11, exec_lo
	v_cmpx_gt_u32_e64 s10, v68
	s_cbranch_execnz .LBB1348_687
.LBB1348_671:                           ;   in Loop: Header=BB1348_646 Depth=2
	s_or_b32 exec_lo, exec_lo, s11
	s_delay_alu instid0(SALU_CYCLE_1)
	s_mov_b32 s11, exec_lo
	v_cmpx_gt_u32_e64 s10, v69
	s_cbranch_execnz .LBB1348_688
.LBB1348_672:                           ;   in Loop: Header=BB1348_646 Depth=2
	s_or_b32 exec_lo, exec_lo, s11
	s_delay_alu instid0(SALU_CYCLE_1)
	s_mov_b32 s11, exec_lo
	v_cmpx_gt_u32_e64 s10, v70
	s_cbranch_execnz .LBB1348_689
.LBB1348_673:                           ;   in Loop: Header=BB1348_646 Depth=2
	s_or_b32 exec_lo, exec_lo, s11
	s_delay_alu instid0(SALU_CYCLE_1)
	s_mov_b32 s11, exec_lo
	v_cmpx_gt_u32_e64 s10, v71
	s_cbranch_execnz .LBB1348_690
.LBB1348_674:                           ;   in Loop: Header=BB1348_646 Depth=2
	s_or_b32 exec_lo, exec_lo, s11
	s_delay_alu instid0(SALU_CYCLE_1)
	s_mov_b32 s11, exec_lo
	v_cmpx_gt_u32_e64 s10, v72
	s_cbranch_execnz .LBB1348_691
.LBB1348_675:                           ;   in Loop: Header=BB1348_646 Depth=2
	s_or_b32 exec_lo, exec_lo, s11
	s_delay_alu instid0(SALU_CYCLE_1)
	s_mov_b32 s11, exec_lo
	v_cmpx_gt_u32_e64 s10, v73
	s_cbranch_execnz .LBB1348_692
.LBB1348_676:                           ;   in Loop: Header=BB1348_646 Depth=2
	s_or_b32 exec_lo, exec_lo, s11
	s_delay_alu instid0(SALU_CYCLE_1)
	s_mov_b32 s11, exec_lo
	v_cmpx_gt_u32_e64 s10, v74
	s_cbranch_execnz .LBB1348_693
.LBB1348_677:                           ;   in Loop: Header=BB1348_646 Depth=2
	s_or_b32 exec_lo, exec_lo, s11
	s_delay_alu instid0(SALU_CYCLE_1)
	s_mov_b32 s11, exec_lo
	v_cmpx_gt_u32_e64 s10, v75
	s_cbranch_execnz .LBB1348_694
.LBB1348_678:                           ;   in Loop: Header=BB1348_646 Depth=2
	s_or_b32 exec_lo, exec_lo, s11
	s_delay_alu instid0(SALU_CYCLE_1)
	s_mov_b32 s11, exec_lo
	v_cmpx_gt_u32_e64 s10, v76
	s_cbranch_execnz .LBB1348_695
.LBB1348_679:                           ;   in Loop: Header=BB1348_646 Depth=2
	s_or_b32 exec_lo, exec_lo, s11
	s_delay_alu instid0(SALU_CYCLE_1)
	s_mov_b32 s11, exec_lo
	v_cmpx_gt_u32_e64 s10, v77
	s_cbranch_execnz .LBB1348_696
.LBB1348_680:                           ;   in Loop: Header=BB1348_646 Depth=2
	s_or_b32 exec_lo, exec_lo, s11
	s_delay_alu instid0(SALU_CYCLE_1)
	s_mov_b32 s11, exec_lo
	v_cmpx_gt_u32_e64 s10, v78
	s_cbranch_execnz .LBB1348_697
.LBB1348_681:                           ;   in Loop: Header=BB1348_646 Depth=2
	s_or_b32 exec_lo, exec_lo, s11
	s_delay_alu instid0(SALU_CYCLE_1)
	s_mov_b32 s11, exec_lo
	v_cmpx_gt_u32_e64 s10, v79
	s_cbranch_execnz .LBB1348_698
.LBB1348_682:                           ;   in Loop: Header=BB1348_646 Depth=2
	s_or_b32 exec_lo, exec_lo, s11
	s_delay_alu instid0(SALU_CYCLE_1)
	s_mov_b32 s11, exec_lo
	v_cmpx_gt_u32_e64 s10, v80
	s_cbranch_execnz .LBB1348_699
.LBB1348_683:                           ;   in Loop: Header=BB1348_646 Depth=2
	s_or_b32 exec_lo, exec_lo, s11
	s_delay_alu instid0(SALU_CYCLE_1)
	s_mov_b32 s11, exec_lo
	v_cmpx_gt_u32_e64 s10, v81
	s_cbranch_execnz .LBB1348_700
.LBB1348_684:                           ;   in Loop: Header=BB1348_646 Depth=2
	s_or_b32 exec_lo, exec_lo, s11
	v_cmp_gt_u32_e32 vcc_lo, s10, v82
	s_and_saveexec_b32 s10, vcc_lo
	s_cbranch_execz .LBB1348_645
	s_branch .LBB1348_701
.LBB1348_685:                           ;   in Loop: Header=BB1348_646 Depth=2
	v_cmp_gt_i32_e32 vcc_lo, 0, v41
	v_cndmask_b32_e64 v42, 0x7fffffff, 0, vcc_lo
	s_delay_alu instid0(VALU_DEP_1) | instskip(NEXT) | instid1(VALU_DEP_1)
	v_xor_b32_e32 v42, v42, v41
	v_cmp_ne_u32_e32 vcc_lo, 0x80000000, v42
	v_cndmask_b32_e32 v42, 0x7fffffff, v42, vcc_lo
	s_delay_alu instid0(VALU_DEP_1) | instskip(NEXT) | instid1(VALU_DEP_1)
	v_lshrrev_b32_e32 v42, s49, v42
	v_and_b32_e32 v42, s58, v42
	s_delay_alu instid0(VALU_DEP_1) | instskip(SKIP_2) | instid1(SALU_CYCLE_1)
	v_lshl_or_b32 v42, v42, 4, v84
	ds_add_u32 v42, v96
	s_or_b32 exec_lo, exec_lo, s11
	s_mov_b32 s11, exec_lo
	v_cmpx_gt_u32_e64 s10, v3
	s_cbranch_execz .LBB1348_670
.LBB1348_686:                           ;   in Loop: Header=BB1348_646 Depth=2
	v_cmp_gt_i32_e32 vcc_lo, 0, v40
	v_cndmask_b32_e64 v42, 0x7fffffff, 0, vcc_lo
	s_delay_alu instid0(VALU_DEP_1) | instskip(NEXT) | instid1(VALU_DEP_1)
	v_xor_b32_e32 v42, v42, v40
	v_cmp_ne_u32_e32 vcc_lo, 0x80000000, v42
	v_cndmask_b32_e32 v42, 0x7fffffff, v42, vcc_lo
	s_delay_alu instid0(VALU_DEP_1) | instskip(NEXT) | instid1(VALU_DEP_1)
	v_lshrrev_b32_e32 v42, s49, v42
	v_and_b32_e32 v42, s58, v42
	s_delay_alu instid0(VALU_DEP_1) | instskip(SKIP_2) | instid1(SALU_CYCLE_1)
	v_lshl_or_b32 v42, v42, 4, v84
	ds_add_u32 v42, v96
	s_or_b32 exec_lo, exec_lo, s11
	s_mov_b32 s11, exec_lo
	v_cmpx_gt_u32_e64 s10, v68
	s_cbranch_execz .LBB1348_671
.LBB1348_687:                           ;   in Loop: Header=BB1348_646 Depth=2
	v_cmp_gt_i32_e32 vcc_lo, 0, v39
	v_cndmask_b32_e64 v42, 0x7fffffff, 0, vcc_lo
	s_delay_alu instid0(VALU_DEP_1) | instskip(NEXT) | instid1(VALU_DEP_1)
	v_xor_b32_e32 v42, v42, v39
	v_cmp_ne_u32_e32 vcc_lo, 0x80000000, v42
	v_cndmask_b32_e32 v42, 0x7fffffff, v42, vcc_lo
	s_delay_alu instid0(VALU_DEP_1) | instskip(NEXT) | instid1(VALU_DEP_1)
	v_lshrrev_b32_e32 v42, s49, v42
	v_and_b32_e32 v42, s58, v42
	s_delay_alu instid0(VALU_DEP_1) | instskip(SKIP_2) | instid1(SALU_CYCLE_1)
	v_lshl_or_b32 v42, v42, 4, v84
	ds_add_u32 v42, v96
	s_or_b32 exec_lo, exec_lo, s11
	s_mov_b32 s11, exec_lo
	v_cmpx_gt_u32_e64 s10, v69
	s_cbranch_execz .LBB1348_672
.LBB1348_688:                           ;   in Loop: Header=BB1348_646 Depth=2
	v_cmp_gt_i32_e32 vcc_lo, 0, v38
	v_cndmask_b32_e64 v42, 0x7fffffff, 0, vcc_lo
	s_delay_alu instid0(VALU_DEP_1) | instskip(NEXT) | instid1(VALU_DEP_1)
	v_xor_b32_e32 v42, v42, v38
	v_cmp_ne_u32_e32 vcc_lo, 0x80000000, v42
	v_cndmask_b32_e32 v42, 0x7fffffff, v42, vcc_lo
	s_delay_alu instid0(VALU_DEP_1) | instskip(NEXT) | instid1(VALU_DEP_1)
	v_lshrrev_b32_e32 v42, s49, v42
	v_and_b32_e32 v42, s58, v42
	s_delay_alu instid0(VALU_DEP_1) | instskip(SKIP_2) | instid1(SALU_CYCLE_1)
	v_lshl_or_b32 v42, v42, 4, v84
	ds_add_u32 v42, v96
	s_or_b32 exec_lo, exec_lo, s11
	s_mov_b32 s11, exec_lo
	v_cmpx_gt_u32_e64 s10, v70
	s_cbranch_execz .LBB1348_673
.LBB1348_689:                           ;   in Loop: Header=BB1348_646 Depth=2
	v_cmp_gt_i32_e32 vcc_lo, 0, v37
	v_cndmask_b32_e64 v42, 0x7fffffff, 0, vcc_lo
	s_delay_alu instid0(VALU_DEP_1) | instskip(NEXT) | instid1(VALU_DEP_1)
	v_xor_b32_e32 v42, v42, v37
	v_cmp_ne_u32_e32 vcc_lo, 0x80000000, v42
	v_cndmask_b32_e32 v42, 0x7fffffff, v42, vcc_lo
	s_delay_alu instid0(VALU_DEP_1) | instskip(NEXT) | instid1(VALU_DEP_1)
	v_lshrrev_b32_e32 v42, s49, v42
	v_and_b32_e32 v42, s58, v42
	s_delay_alu instid0(VALU_DEP_1) | instskip(SKIP_2) | instid1(SALU_CYCLE_1)
	v_lshl_or_b32 v42, v42, 4, v84
	ds_add_u32 v42, v96
	s_or_b32 exec_lo, exec_lo, s11
	s_mov_b32 s11, exec_lo
	v_cmpx_gt_u32_e64 s10, v71
	s_cbranch_execz .LBB1348_674
.LBB1348_690:                           ;   in Loop: Header=BB1348_646 Depth=2
	v_cmp_gt_i32_e32 vcc_lo, 0, v36
	v_cndmask_b32_e64 v42, 0x7fffffff, 0, vcc_lo
	s_delay_alu instid0(VALU_DEP_1) | instskip(NEXT) | instid1(VALU_DEP_1)
	v_xor_b32_e32 v42, v42, v36
	v_cmp_ne_u32_e32 vcc_lo, 0x80000000, v42
	v_cndmask_b32_e32 v42, 0x7fffffff, v42, vcc_lo
	s_delay_alu instid0(VALU_DEP_1) | instskip(NEXT) | instid1(VALU_DEP_1)
	v_lshrrev_b32_e32 v42, s49, v42
	v_and_b32_e32 v42, s58, v42
	s_delay_alu instid0(VALU_DEP_1) | instskip(SKIP_2) | instid1(SALU_CYCLE_1)
	v_lshl_or_b32 v42, v42, 4, v84
	ds_add_u32 v42, v96
	s_or_b32 exec_lo, exec_lo, s11
	s_mov_b32 s11, exec_lo
	v_cmpx_gt_u32_e64 s10, v72
	s_cbranch_execz .LBB1348_675
.LBB1348_691:                           ;   in Loop: Header=BB1348_646 Depth=2
	v_cmp_gt_i32_e32 vcc_lo, 0, v35
	v_cndmask_b32_e64 v42, 0x7fffffff, 0, vcc_lo
	s_delay_alu instid0(VALU_DEP_1) | instskip(NEXT) | instid1(VALU_DEP_1)
	v_xor_b32_e32 v42, v42, v35
	v_cmp_ne_u32_e32 vcc_lo, 0x80000000, v42
	v_cndmask_b32_e32 v42, 0x7fffffff, v42, vcc_lo
	s_delay_alu instid0(VALU_DEP_1) | instskip(NEXT) | instid1(VALU_DEP_1)
	v_lshrrev_b32_e32 v42, s49, v42
	v_and_b32_e32 v42, s58, v42
	s_delay_alu instid0(VALU_DEP_1) | instskip(SKIP_2) | instid1(SALU_CYCLE_1)
	v_lshl_or_b32 v42, v42, 4, v84
	ds_add_u32 v42, v96
	s_or_b32 exec_lo, exec_lo, s11
	s_mov_b32 s11, exec_lo
	v_cmpx_gt_u32_e64 s10, v73
	s_cbranch_execz .LBB1348_676
.LBB1348_692:                           ;   in Loop: Header=BB1348_646 Depth=2
	v_cmp_gt_i32_e32 vcc_lo, 0, v34
	v_cndmask_b32_e64 v42, 0x7fffffff, 0, vcc_lo
	s_delay_alu instid0(VALU_DEP_1) | instskip(NEXT) | instid1(VALU_DEP_1)
	v_xor_b32_e32 v42, v42, v34
	v_cmp_ne_u32_e32 vcc_lo, 0x80000000, v42
	v_cndmask_b32_e32 v42, 0x7fffffff, v42, vcc_lo
	s_delay_alu instid0(VALU_DEP_1) | instskip(NEXT) | instid1(VALU_DEP_1)
	v_lshrrev_b32_e32 v42, s49, v42
	v_and_b32_e32 v42, s58, v42
	s_delay_alu instid0(VALU_DEP_1) | instskip(SKIP_2) | instid1(SALU_CYCLE_1)
	v_lshl_or_b32 v42, v42, 4, v84
	ds_add_u32 v42, v96
	s_or_b32 exec_lo, exec_lo, s11
	s_mov_b32 s11, exec_lo
	v_cmpx_gt_u32_e64 s10, v74
	s_cbranch_execz .LBB1348_677
.LBB1348_693:                           ;   in Loop: Header=BB1348_646 Depth=2
	v_cmp_gt_i32_e32 vcc_lo, 0, v33
	v_cndmask_b32_e64 v42, 0x7fffffff, 0, vcc_lo
	s_delay_alu instid0(VALU_DEP_1) | instskip(NEXT) | instid1(VALU_DEP_1)
	v_xor_b32_e32 v42, v42, v33
	v_cmp_ne_u32_e32 vcc_lo, 0x80000000, v42
	v_cndmask_b32_e32 v42, 0x7fffffff, v42, vcc_lo
	s_delay_alu instid0(VALU_DEP_1) | instskip(NEXT) | instid1(VALU_DEP_1)
	v_lshrrev_b32_e32 v42, s49, v42
	v_and_b32_e32 v42, s58, v42
	s_delay_alu instid0(VALU_DEP_1) | instskip(SKIP_2) | instid1(SALU_CYCLE_1)
	v_lshl_or_b32 v42, v42, 4, v84
	ds_add_u32 v42, v96
	s_or_b32 exec_lo, exec_lo, s11
	s_mov_b32 s11, exec_lo
	v_cmpx_gt_u32_e64 s10, v75
	s_cbranch_execz .LBB1348_678
.LBB1348_694:                           ;   in Loop: Header=BB1348_646 Depth=2
	v_cmp_gt_i32_e32 vcc_lo, 0, v32
	v_cndmask_b32_e64 v42, 0x7fffffff, 0, vcc_lo
	s_delay_alu instid0(VALU_DEP_1) | instskip(NEXT) | instid1(VALU_DEP_1)
	v_xor_b32_e32 v42, v42, v32
	v_cmp_ne_u32_e32 vcc_lo, 0x80000000, v42
	v_cndmask_b32_e32 v42, 0x7fffffff, v42, vcc_lo
	s_delay_alu instid0(VALU_DEP_1) | instskip(NEXT) | instid1(VALU_DEP_1)
	v_lshrrev_b32_e32 v42, s49, v42
	v_and_b32_e32 v42, s58, v42
	s_delay_alu instid0(VALU_DEP_1) | instskip(SKIP_2) | instid1(SALU_CYCLE_1)
	v_lshl_or_b32 v42, v42, 4, v84
	ds_add_u32 v42, v96
	s_or_b32 exec_lo, exec_lo, s11
	s_mov_b32 s11, exec_lo
	v_cmpx_gt_u32_e64 s10, v76
	s_cbranch_execz .LBB1348_679
.LBB1348_695:                           ;   in Loop: Header=BB1348_646 Depth=2
	v_cmp_gt_i32_e32 vcc_lo, 0, v31
	v_cndmask_b32_e64 v42, 0x7fffffff, 0, vcc_lo
	s_delay_alu instid0(VALU_DEP_1) | instskip(NEXT) | instid1(VALU_DEP_1)
	v_xor_b32_e32 v42, v42, v31
	v_cmp_ne_u32_e32 vcc_lo, 0x80000000, v42
	v_cndmask_b32_e32 v42, 0x7fffffff, v42, vcc_lo
	s_delay_alu instid0(VALU_DEP_1) | instskip(NEXT) | instid1(VALU_DEP_1)
	v_lshrrev_b32_e32 v42, s49, v42
	v_and_b32_e32 v42, s58, v42
	s_delay_alu instid0(VALU_DEP_1) | instskip(SKIP_2) | instid1(SALU_CYCLE_1)
	v_lshl_or_b32 v42, v42, 4, v84
	ds_add_u32 v42, v96
	s_or_b32 exec_lo, exec_lo, s11
	s_mov_b32 s11, exec_lo
	v_cmpx_gt_u32_e64 s10, v77
	s_cbranch_execz .LBB1348_680
.LBB1348_696:                           ;   in Loop: Header=BB1348_646 Depth=2
	v_cmp_gt_i32_e32 vcc_lo, 0, v30
	v_cndmask_b32_e64 v42, 0x7fffffff, 0, vcc_lo
	s_delay_alu instid0(VALU_DEP_1) | instskip(NEXT) | instid1(VALU_DEP_1)
	v_xor_b32_e32 v42, v42, v30
	v_cmp_ne_u32_e32 vcc_lo, 0x80000000, v42
	v_cndmask_b32_e32 v42, 0x7fffffff, v42, vcc_lo
	s_delay_alu instid0(VALU_DEP_1) | instskip(NEXT) | instid1(VALU_DEP_1)
	v_lshrrev_b32_e32 v42, s49, v42
	v_and_b32_e32 v42, s58, v42
	s_delay_alu instid0(VALU_DEP_1) | instskip(SKIP_2) | instid1(SALU_CYCLE_1)
	v_lshl_or_b32 v42, v42, 4, v84
	ds_add_u32 v42, v96
	s_or_b32 exec_lo, exec_lo, s11
	s_mov_b32 s11, exec_lo
	v_cmpx_gt_u32_e64 s10, v78
	s_cbranch_execz .LBB1348_681
.LBB1348_697:                           ;   in Loop: Header=BB1348_646 Depth=2
	v_cmp_gt_i32_e32 vcc_lo, 0, v29
	v_cndmask_b32_e64 v42, 0x7fffffff, 0, vcc_lo
	s_delay_alu instid0(VALU_DEP_1) | instskip(NEXT) | instid1(VALU_DEP_1)
	v_xor_b32_e32 v42, v42, v29
	v_cmp_ne_u32_e32 vcc_lo, 0x80000000, v42
	v_cndmask_b32_e32 v42, 0x7fffffff, v42, vcc_lo
	s_delay_alu instid0(VALU_DEP_1) | instskip(NEXT) | instid1(VALU_DEP_1)
	v_lshrrev_b32_e32 v42, s49, v42
	v_and_b32_e32 v42, s58, v42
	s_delay_alu instid0(VALU_DEP_1) | instskip(SKIP_2) | instid1(SALU_CYCLE_1)
	v_lshl_or_b32 v42, v42, 4, v84
	ds_add_u32 v42, v96
	s_or_b32 exec_lo, exec_lo, s11
	s_mov_b32 s11, exec_lo
	v_cmpx_gt_u32_e64 s10, v79
	s_cbranch_execz .LBB1348_682
.LBB1348_698:                           ;   in Loop: Header=BB1348_646 Depth=2
	v_cmp_gt_i32_e32 vcc_lo, 0, v28
	v_cndmask_b32_e64 v42, 0x7fffffff, 0, vcc_lo
	s_delay_alu instid0(VALU_DEP_1) | instskip(NEXT) | instid1(VALU_DEP_1)
	v_xor_b32_e32 v42, v42, v28
	v_cmp_ne_u32_e32 vcc_lo, 0x80000000, v42
	v_cndmask_b32_e32 v42, 0x7fffffff, v42, vcc_lo
	s_delay_alu instid0(VALU_DEP_1) | instskip(NEXT) | instid1(VALU_DEP_1)
	v_lshrrev_b32_e32 v42, s49, v42
	v_and_b32_e32 v42, s58, v42
	s_delay_alu instid0(VALU_DEP_1) | instskip(SKIP_2) | instid1(SALU_CYCLE_1)
	v_lshl_or_b32 v42, v42, 4, v84
	ds_add_u32 v42, v96
	s_or_b32 exec_lo, exec_lo, s11
	s_mov_b32 s11, exec_lo
	v_cmpx_gt_u32_e64 s10, v80
	s_cbranch_execz .LBB1348_683
.LBB1348_699:                           ;   in Loop: Header=BB1348_646 Depth=2
	v_cmp_gt_i32_e32 vcc_lo, 0, v27
	v_cndmask_b32_e64 v42, 0x7fffffff, 0, vcc_lo
	s_delay_alu instid0(VALU_DEP_1) | instskip(NEXT) | instid1(VALU_DEP_1)
	v_xor_b32_e32 v42, v42, v27
	v_cmp_ne_u32_e32 vcc_lo, 0x80000000, v42
	v_cndmask_b32_e32 v42, 0x7fffffff, v42, vcc_lo
	s_delay_alu instid0(VALU_DEP_1) | instskip(NEXT) | instid1(VALU_DEP_1)
	v_lshrrev_b32_e32 v42, s49, v42
	v_and_b32_e32 v42, s58, v42
	s_delay_alu instid0(VALU_DEP_1) | instskip(SKIP_2) | instid1(SALU_CYCLE_1)
	v_lshl_or_b32 v42, v42, 4, v84
	ds_add_u32 v42, v96
	s_or_b32 exec_lo, exec_lo, s11
	s_mov_b32 s11, exec_lo
	v_cmpx_gt_u32_e64 s10, v81
	s_cbranch_execz .LBB1348_684
.LBB1348_700:                           ;   in Loop: Header=BB1348_646 Depth=2
	v_cmp_gt_i32_e32 vcc_lo, 0, v26
	v_cndmask_b32_e64 v42, 0x7fffffff, 0, vcc_lo
	s_delay_alu instid0(VALU_DEP_1) | instskip(NEXT) | instid1(VALU_DEP_1)
	v_xor_b32_e32 v42, v42, v26
	v_cmp_ne_u32_e32 vcc_lo, 0x80000000, v42
	v_cndmask_b32_e32 v42, 0x7fffffff, v42, vcc_lo
	s_delay_alu instid0(VALU_DEP_1) | instskip(NEXT) | instid1(VALU_DEP_1)
	v_lshrrev_b32_e32 v42, s49, v42
	v_and_b32_e32 v42, s58, v42
	s_delay_alu instid0(VALU_DEP_1)
	v_lshl_or_b32 v42, v42, 4, v84
	ds_add_u32 v42, v96
	s_or_b32 exec_lo, exec_lo, s11
	v_cmp_gt_u32_e32 vcc_lo, s10, v82
	s_and_saveexec_b32 s10, vcc_lo
	s_cbranch_execz .LBB1348_645
.LBB1348_701:                           ;   in Loop: Header=BB1348_646 Depth=2
	v_cmp_gt_i32_e32 vcc_lo, 0, v25
	v_cndmask_b32_e64 v42, 0x7fffffff, 0, vcc_lo
	s_delay_alu instid0(VALU_DEP_1) | instskip(NEXT) | instid1(VALU_DEP_1)
	v_xor_b32_e32 v42, v42, v25
	v_cmp_ne_u32_e32 vcc_lo, 0x80000000, v42
	v_cndmask_b32_e32 v42, 0x7fffffff, v42, vcc_lo
	s_delay_alu instid0(VALU_DEP_1) | instskip(NEXT) | instid1(VALU_DEP_1)
	v_lshrrev_b32_e32 v42, s49, v42
	v_and_b32_e32 v42, s58, v42
	s_delay_alu instid0(VALU_DEP_1)
	v_lshl_or_b32 v42, v42, 4, v84
	ds_add_u32 v42, v96
	s_branch .LBB1348_645
.LBB1348_702:                           ;   in Loop: Header=BB1348_646 Depth=2
	global_load_b32 v41, v2, s[10:11] scale_offset
	s_wait_xcnt 0x0
	s_or_b32 exec_lo, exec_lo, s13
	s_delay_alu instid0(SALU_CYCLE_1)
	s_mov_b32 s13, exec_lo
	v_cmpx_gt_u32_e64 s9, v3
	s_cbranch_execz .LBB1348_651
.LBB1348_703:                           ;   in Loop: Header=BB1348_646 Depth=2
	global_load_b32 v40, v2, s[10:11] offset:1024 scale_offset
	s_wait_xcnt 0x0
	s_or_b32 exec_lo, exec_lo, s13
	s_delay_alu instid0(SALU_CYCLE_1)
	s_mov_b32 s13, exec_lo
	v_cmpx_gt_u32_e64 s9, v68
	s_cbranch_execz .LBB1348_652
.LBB1348_704:                           ;   in Loop: Header=BB1348_646 Depth=2
	global_load_b32 v39, v2, s[10:11] offset:2048 scale_offset
	s_wait_xcnt 0x0
	s_or_b32 exec_lo, exec_lo, s13
	s_delay_alu instid0(SALU_CYCLE_1)
	s_mov_b32 s13, exec_lo
	v_cmpx_gt_u32_e64 s9, v69
	s_cbranch_execz .LBB1348_653
.LBB1348_705:                           ;   in Loop: Header=BB1348_646 Depth=2
	global_load_b32 v38, v2, s[10:11] offset:3072 scale_offset
	s_wait_xcnt 0x0
	s_or_b32 exec_lo, exec_lo, s13
	s_delay_alu instid0(SALU_CYCLE_1)
	s_mov_b32 s13, exec_lo
	v_cmpx_gt_u32_e64 s9, v70
	s_cbranch_execz .LBB1348_654
.LBB1348_706:                           ;   in Loop: Header=BB1348_646 Depth=2
	global_load_b32 v37, v2, s[10:11] offset:4096 scale_offset
	s_wait_xcnt 0x0
	s_or_b32 exec_lo, exec_lo, s13
	s_delay_alu instid0(SALU_CYCLE_1)
	s_mov_b32 s13, exec_lo
	v_cmpx_gt_u32_e64 s9, v71
	s_cbranch_execz .LBB1348_655
.LBB1348_707:                           ;   in Loop: Header=BB1348_646 Depth=2
	global_load_b32 v36, v2, s[10:11] offset:5120 scale_offset
	s_wait_xcnt 0x0
	s_or_b32 exec_lo, exec_lo, s13
	s_delay_alu instid0(SALU_CYCLE_1)
	s_mov_b32 s13, exec_lo
	v_cmpx_gt_u32_e64 s9, v72
	s_cbranch_execz .LBB1348_656
.LBB1348_708:                           ;   in Loop: Header=BB1348_646 Depth=2
	global_load_b32 v35, v2, s[10:11] offset:6144 scale_offset
	s_wait_xcnt 0x0
	s_or_b32 exec_lo, exec_lo, s13
	s_delay_alu instid0(SALU_CYCLE_1)
	s_mov_b32 s13, exec_lo
	v_cmpx_gt_u32_e64 s9, v73
	s_cbranch_execz .LBB1348_657
.LBB1348_709:                           ;   in Loop: Header=BB1348_646 Depth=2
	global_load_b32 v34, v2, s[10:11] offset:7168 scale_offset
	s_wait_xcnt 0x0
	s_or_b32 exec_lo, exec_lo, s13
	s_delay_alu instid0(SALU_CYCLE_1)
	s_mov_b32 s13, exec_lo
	v_cmpx_gt_u32_e64 s9, v74
	s_cbranch_execz .LBB1348_658
.LBB1348_710:                           ;   in Loop: Header=BB1348_646 Depth=2
	global_load_b32 v33, v2, s[10:11] offset:8192 scale_offset
	s_wait_xcnt 0x0
	s_or_b32 exec_lo, exec_lo, s13
	s_delay_alu instid0(SALU_CYCLE_1)
	s_mov_b32 s13, exec_lo
	v_cmpx_gt_u32_e64 s9, v75
	s_cbranch_execz .LBB1348_659
.LBB1348_711:                           ;   in Loop: Header=BB1348_646 Depth=2
	global_load_b32 v32, v2, s[10:11] offset:9216 scale_offset
	s_wait_xcnt 0x0
	s_or_b32 exec_lo, exec_lo, s13
	s_delay_alu instid0(SALU_CYCLE_1)
	s_mov_b32 s13, exec_lo
	v_cmpx_gt_u32_e64 s9, v76
	s_cbranch_execz .LBB1348_660
.LBB1348_712:                           ;   in Loop: Header=BB1348_646 Depth=2
	global_load_b32 v31, v2, s[10:11] offset:10240 scale_offset
	s_wait_xcnt 0x0
	s_or_b32 exec_lo, exec_lo, s13
	s_delay_alu instid0(SALU_CYCLE_1)
	s_mov_b32 s13, exec_lo
	v_cmpx_gt_u32_e64 s9, v77
	s_cbranch_execz .LBB1348_661
.LBB1348_713:                           ;   in Loop: Header=BB1348_646 Depth=2
	global_load_b32 v30, v2, s[10:11] offset:11264 scale_offset
	s_wait_xcnt 0x0
	s_or_b32 exec_lo, exec_lo, s13
	s_delay_alu instid0(SALU_CYCLE_1)
	s_mov_b32 s13, exec_lo
	v_cmpx_gt_u32_e64 s9, v78
	s_cbranch_execz .LBB1348_662
.LBB1348_714:                           ;   in Loop: Header=BB1348_646 Depth=2
	global_load_b32 v29, v2, s[10:11] offset:12288 scale_offset
	s_wait_xcnt 0x0
	s_or_b32 exec_lo, exec_lo, s13
	s_delay_alu instid0(SALU_CYCLE_1)
	s_mov_b32 s13, exec_lo
	v_cmpx_gt_u32_e64 s9, v79
	s_cbranch_execz .LBB1348_663
.LBB1348_715:                           ;   in Loop: Header=BB1348_646 Depth=2
	global_load_b32 v28, v2, s[10:11] offset:13312 scale_offset
	s_wait_xcnt 0x0
	s_or_b32 exec_lo, exec_lo, s13
	s_delay_alu instid0(SALU_CYCLE_1)
	s_mov_b32 s13, exec_lo
	v_cmpx_gt_u32_e64 s9, v80
	s_cbranch_execz .LBB1348_664
.LBB1348_716:                           ;   in Loop: Header=BB1348_646 Depth=2
	global_load_b32 v27, v2, s[10:11] offset:14336 scale_offset
	s_wait_xcnt 0x0
	s_or_b32 exec_lo, exec_lo, s13
	s_delay_alu instid0(SALU_CYCLE_1)
	s_mov_b32 s13, exec_lo
	v_cmpx_gt_u32_e64 s9, v81
	s_cbranch_execz .LBB1348_665
.LBB1348_717:                           ;   in Loop: Header=BB1348_646 Depth=2
	global_load_b32 v26, v2, s[10:11] offset:15360 scale_offset
	s_wait_xcnt 0x0
	s_or_b32 exec_lo, exec_lo, s13
	s_delay_alu instid0(SALU_CYCLE_1)
	s_mov_b32 s13, exec_lo
	v_cmpx_gt_u32_e64 s9, v82
	s_cbranch_execnz .LBB1348_666
	s_branch .LBB1348_667
.LBB1348_718:                           ;   in Loop: Header=BB1348_20 Depth=1
	v_mov_b32_e32 v25, 0
	s_wait_dscnt 0x0
	s_barrier_signal -1
	s_barrier_wait -1
	s_and_saveexec_b32 s9, s0
	s_cbranch_execz .LBB1348_720
; %bb.719:                              ;   in Loop: Header=BB1348_20 Depth=1
	ds_load_2addr_b64 v[26:29], v85 offset1:1
	s_wait_dscnt 0x0
	v_add_nc_u32_e32 v25, v27, v26
	s_delay_alu instid0(VALU_DEP_1)
	v_add3_u32 v25, v25, v28, v29
.LBB1348_720:                           ;   in Loop: Header=BB1348_20 Depth=1
	s_or_b32 exec_lo, exec_lo, s9
	s_delay_alu instid0(VALU_DEP_1)
	v_mov_b32_dpp v26, v25 row_shr:1 row_mask:0xf bank_mask:0xf
	v_cmp_eq_u32_e64 s9, 0, v97
	v_cmp_lt_u32_e64 s10, 1, v97
	v_cmp_lt_u32_e64 s11, 3, v97
	;; [unrolled: 1-line block ×3, first 2 shown]
	v_cmp_eq_u32_e64 s13, 0, v99
	v_cndmask_b32_e64 v26, v26, 0, s9
	s_delay_alu instid0(VALU_DEP_1) | instskip(NEXT) | instid1(VALU_DEP_1)
	v_add_nc_u32_e32 v25, v26, v25
	v_mov_b32_dpp v26, v25 row_shr:2 row_mask:0xf bank_mask:0xf
	s_delay_alu instid0(VALU_DEP_1) | instskip(NEXT) | instid1(VALU_DEP_1)
	v_cndmask_b32_e64 v26, 0, v26, s10
	v_add_nc_u32_e32 v25, v25, v26
	s_delay_alu instid0(VALU_DEP_1) | instskip(NEXT) | instid1(VALU_DEP_1)
	v_mov_b32_dpp v26, v25 row_shr:4 row_mask:0xf bank_mask:0xf
	v_cndmask_b32_e64 v26, 0, v26, s11
	s_delay_alu instid0(VALU_DEP_1) | instskip(NEXT) | instid1(VALU_DEP_1)
	v_add_nc_u32_e32 v25, v25, v26
	v_mov_b32_dpp v26, v25 row_shr:8 row_mask:0xf bank_mask:0xf
	s_delay_alu instid0(VALU_DEP_1) | instskip(NEXT) | instid1(VALU_DEP_1)
	v_cndmask_b32_e64 v26, 0, v26, s12
	v_add_nc_u32_e32 v25, v25, v26
	ds_swizzle_b32 v26, v25 offset:swizzle(BROADCAST,32,15)
	s_wait_dscnt 0x0
	v_and_b32_e32 v26, v98, v26
	s_delay_alu instid0(VALU_DEP_1)
	v_add_nc_u32_e32 v25, v25, v26
	s_and_saveexec_b32 s14, s1
; %bb.721:                              ;   in Loop: Header=BB1348_20 Depth=1
	ds_store_b32 v86, v25
; %bb.722:                              ;   in Loop: Header=BB1348_20 Depth=1
	s_or_b32 exec_lo, exec_lo, s14
	s_wait_dscnt 0x0
	s_barrier_signal -1
	s_barrier_wait -1
	s_and_saveexec_b32 s14, s4
	s_cbranch_execz .LBB1348_724
; %bb.723:                              ;   in Loop: Header=BB1348_20 Depth=1
	ds_load_b32 v26, v87
	v_cmp_ne_u32_e32 vcc_lo, 0, v100
	s_wait_dscnt 0x0
	v_mov_b32_dpp v27, v26 row_shr:1 row_mask:0xf bank_mask:0xf
	s_delay_alu instid0(VALU_DEP_1) | instskip(SKIP_1) | instid1(VALU_DEP_2)
	v_cndmask_b32_e32 v27, 0, v27, vcc_lo
	v_cmp_lt_u32_e32 vcc_lo, 1, v100
	v_add_nc_u32_e32 v26, v27, v26
	s_delay_alu instid0(VALU_DEP_1) | instskip(NEXT) | instid1(VALU_DEP_1)
	v_mov_b32_dpp v27, v26 row_shr:2 row_mask:0xf bank_mask:0xf
	v_cndmask_b32_e32 v27, 0, v27, vcc_lo
	s_delay_alu instid0(VALU_DEP_1)
	v_add_nc_u32_e32 v26, v26, v27
	ds_store_b32 v87, v26
.LBB1348_724:                           ;   in Loop: Header=BB1348_20 Depth=1
	s_or_b32 exec_lo, exec_lo, s14
	v_mov_b32_e32 v26, 0
	s_wait_dscnt 0x0
	s_barrier_signal -1
	s_barrier_wait -1
	s_and_saveexec_b32 s14, s5
; %bb.725:                              ;   in Loop: Header=BB1348_20 Depth=1
	ds_load_b32 v26, v88
; %bb.726:                              ;   in Loop: Header=BB1348_20 Depth=1
	s_or_b32 exec_lo, exec_lo, s14
	v_cmp_gt_i32_e32 vcc_lo, 0, v102
	s_wait_dscnt 0x0
	s_barrier_signal -1
	s_barrier_wait -1
	v_cndmask_b32_e32 v27, v102, v95, vcc_lo
	s_delay_alu instid0(VALU_DEP_1)
	v_dual_add_nc_u32 v25, v26, v25 :: v_dual_lshlrev_b32 v119, 2, v27
	ds_bpermute_b32 v25, v119, v25
	s_and_saveexec_b32 s14, s0
	s_cbranch_execz .LBB1348_728
; %bb.727:                              ;   in Loop: Header=BB1348_20 Depth=1
	s_wait_dscnt 0x0
	v_cndmask_b32_e64 v25, v25, v26, s8
	s_delay_alu instid0(VALU_DEP_1)
	v_add_nc_u32_e32 v25, s55, v25
	ds_store_b32 v4, v25
.LBB1348_728:                           ;   in Loop: Header=BB1348_20 Depth=1
	s_or_b32 exec_lo, exec_lo, s14
	s_load_b64 s[14:15], s[52:53], 0x0
	s_mov_b32 s59, s57
                                        ; implicit-def: $vgpr32_vgpr33
                                        ; implicit-def: $vgpr34_vgpr35
                                        ; implicit-def: $vgpr36_vgpr37
                                        ; implicit-def: $vgpr38_vgpr39
                                        ; implicit-def: $vgpr40_vgpr41
                                        ; implicit-def: $vgpr42_vgpr43
                                        ; implicit-def: $vgpr44_vgpr45
                                        ; implicit-def: $vgpr46_vgpr47
                                        ; implicit-def: $vgpr48_vgpr49
                                        ; implicit-def: $vgpr50_vgpr51
                                        ; implicit-def: $vgpr52_vgpr53
                                        ; implicit-def: $vgpr54_vgpr55
                                        ; implicit-def: $vgpr56_vgpr57
                                        ; implicit-def: $vgpr58_vgpr59
                                        ; implicit-def: $vgpr60_vgpr61
                                        ; implicit-def: $vgpr62_vgpr63
                                        ; implicit-def: $vgpr120
                                        ; implicit-def: $vgpr121
                                        ; implicit-def: $vgpr122
                                        ; implicit-def: $vgpr123
                                        ; implicit-def: $vgpr124
                                        ; implicit-def: $vgpr125
                                        ; implicit-def: $vgpr126
                                        ; implicit-def: $vgpr127
                                        ; implicit-def: $vgpr128
                                        ; implicit-def: $vgpr129
                                        ; implicit-def: $vgpr130
                                        ; implicit-def: $vgpr131
                                        ; implicit-def: $vgpr132
                                        ; implicit-def: $vgpr134
                                        ; implicit-def: $vgpr135
                                        ; implicit-def: $vgpr136
                                        ; implicit-def: $vgpr137
                                        ; implicit-def: $vgpr133
                                        ; implicit-def: $vgpr138
	s_wait_kmcnt 0x0
	s_cmp_lt_u32 s51, s14
	s_cselect_b32 s42, 12, 18
	s_cmp_lt_u32 s35, s15
	s_mov_b32 s15, s43
	s_cselect_b32 s14, 14, 20
	s_delay_alu instid0(SALU_CYCLE_1)
	s_add_nc_u64 s[14:15], s[52:53], s[14:15]
	s_load_u16 s16, s[14:15], 0x0
	s_wait_xcnt 0x0
	s_add_nc_u64 s[14:15], s[52:53], s[42:43]
	s_mov_b32 s42, s55
	s_load_u16 s14, s[14:15], 0x0
	s_wait_xcnt 0x0
	v_cmp_lt_u32_e64 s15, 1, v103
	s_wait_dscnt 0x0
	s_wait_kmcnt 0x0
	v_mad_u32_u24 v25, v89, s16, v91
	v_cmp_lt_u32_e64 s16, 3, v103
	s_delay_alu instid0(VALU_DEP_2) | instskip(SKIP_2) | instid1(VALU_DEP_3)
	v_mad_u32 v26, v25, s14, v2
	v_mov_b32_e32 v25, v1
	v_cmp_eq_u32_e64 s14, 0, v103
	v_lshrrev_b32_e32 v30, 3, v26
	v_add_nc_u64_e32 v[26:27], v[14:15], v[0:1]
	s_delay_alu instid0(VALU_DEP_4) | instskip(NEXT) | instid1(VALU_DEP_3)
	v_add_nc_u64_e32 v[28:29], v[16:17], v[24:25]
	v_and_b32_e32 v25, 0x1ffffffc, v30
                                        ; implicit-def: $vgpr30_vgpr31
	s_branch .LBB1348_730
.LBB1348_729:                           ;   in Loop: Header=BB1348_730 Depth=2
	s_or_b32 exec_lo, exec_lo, s17
	s_addk_co_i32 s59, 0xef00
	s_cmp_lt_u32 s60, s54
	s_mov_b32 s42, s60
	s_cbranch_scc0 .LBB1348_952
.LBB1348_730:                           ;   Parent Loop BB1348_20 Depth=1
                                        ; =>  This Inner Loop Header: Depth=2
	s_add_co_i32 s60, s42, 0x1100
	s_delay_alu instid0(SALU_CYCLE_1)
	s_cmp_gt_u32 s60, s54
	s_cbranch_scc1 .LBB1348_732
; %bb.731:                              ;   in Loop: Header=BB1348_730 Depth=2
	s_delay_alu instid0(VALU_DEP_2)
	v_lshl_add_u64 v[64:65], s[42:43], 2, v[28:29]
	s_mov_b32 s17, -1
	s_clause 0xf
	global_load_b32 v140, v[64:65], off
	global_load_b32 v142, v[64:65], off offset:128
	global_load_b32 v144, v[64:65], off offset:256
	;; [unrolled: 1-line block ×15, first 2 shown]
	s_movk_i32 s18, 0x1100
	s_cbranch_execz .LBB1348_733
	s_branch .LBB1348_766
.LBB1348_732:                           ;   in Loop: Header=BB1348_730 Depth=2
	s_mov_b32 s17, 0
                                        ; implicit-def: $vgpr140
                                        ; implicit-def: $vgpr142
                                        ; implicit-def: $vgpr144
                                        ; implicit-def: $vgpr148
                                        ; implicit-def: $vgpr153
                                        ; implicit-def: $vgpr158
                                        ; implicit-def: $vgpr163
                                        ; implicit-def: $vgpr168
                                        ; implicit-def: $vgpr173
                                        ; implicit-def: $vgpr171
                                        ; implicit-def: $vgpr166
                                        ; implicit-def: $vgpr161
                                        ; implicit-def: $vgpr157
                                        ; implicit-def: $vgpr152
                                        ; implicit-def: $vgpr67
                                        ; implicit-def: $vgpr66
	s_movk_i32 s18, 0x1100
.LBB1348_733:                           ;   in Loop: Header=BB1348_730 Depth=2
	s_wait_xcnt 0x0
	v_lshl_add_u64 v[64:65], s[42:43], 2, v[28:29]
	s_wait_loadcnt 0xe
	v_dual_mov_b32 v142, -1 :: v_dual_mov_b32 v140, -1
	s_mov_b32 s17, exec_lo
	v_cmpx_gt_u32_e64 s59, v101
	s_cbranch_execz .LBB1348_735
; %bb.734:                              ;   in Loop: Header=BB1348_730 Depth=2
	global_load_b32 v140, v[64:65], off
.LBB1348_735:                           ;   in Loop: Header=BB1348_730 Depth=2
	s_wait_xcnt 0x0
	s_or_b32 exec_lo, exec_lo, s17
	s_delay_alu instid0(SALU_CYCLE_1)
	s_mov_b32 s17, exec_lo
	v_cmpx_gt_u32_e64 s59, v104
	s_cbranch_execz .LBB1348_737
; %bb.736:                              ;   in Loop: Header=BB1348_730 Depth=2
	global_load_b32 v142, v[64:65], off offset:128
.LBB1348_737:                           ;   in Loop: Header=BB1348_730 Depth=2
	s_wait_xcnt 0x0
	s_or_b32 exec_lo, exec_lo, s17
	s_wait_loadcnt 0xc
	v_dual_mov_b32 v148, -1 :: v_dual_mov_b32 v144, -1
	s_mov_b32 s17, exec_lo
	v_cmpx_gt_u32_e64 s59, v105
	s_cbranch_execz .LBB1348_739
; %bb.738:                              ;   in Loop: Header=BB1348_730 Depth=2
	global_load_b32 v144, v[64:65], off offset:256
.LBB1348_739:                           ;   in Loop: Header=BB1348_730 Depth=2
	s_wait_xcnt 0x0
	s_or_b32 exec_lo, exec_lo, s17
	s_delay_alu instid0(SALU_CYCLE_1)
	s_mov_b32 s17, exec_lo
	v_cmpx_gt_u32_e64 s59, v106
	s_cbranch_execz .LBB1348_741
; %bb.740:                              ;   in Loop: Header=BB1348_730 Depth=2
	global_load_b32 v148, v[64:65], off offset:384
.LBB1348_741:                           ;   in Loop: Header=BB1348_730 Depth=2
	s_wait_xcnt 0x0
	s_or_b32 exec_lo, exec_lo, s17
	s_wait_loadcnt 0xa
	v_dual_mov_b32 v158, -1 :: v_dual_mov_b32 v153, -1
	s_mov_b32 s17, exec_lo
	v_cmpx_gt_u32_e64 s59, v107
	s_cbranch_execz .LBB1348_743
; %bb.742:                              ;   in Loop: Header=BB1348_730 Depth=2
	global_load_b32 v153, v[64:65], off offset:512
.LBB1348_743:                           ;   in Loop: Header=BB1348_730 Depth=2
	;; [unrolled: 19-line block ×7, first 2 shown]
	s_wait_xcnt 0x0
	s_or_b32 exec_lo, exec_lo, s17
	s_delay_alu instid0(SALU_CYCLE_1)
	s_mov_b32 s17, exec_lo
	v_cmpx_gt_u32_e64 s59, v118
	s_cbranch_execz .LBB1348_765
; %bb.764:                              ;   in Loop: Header=BB1348_730 Depth=2
	global_load_b32 v66, v[64:65], off offset:1920
.LBB1348_765:                           ;   in Loop: Header=BB1348_730 Depth=2
	s_wait_xcnt 0x0
	s_or_b32 exec_lo, exec_lo, s17
	v_cmp_gt_u32_e64 s17, s59, v5
	s_sub_co_i32 s18, s54, s42
.LBB1348_766:                           ;   in Loop: Header=BB1348_730 Depth=2
	s_wait_xcnt 0x0
	v_dual_mov_b32 v64, -1 :: v_dual_mov_b32 v139, s59
	s_and_saveexec_b32 s19, s17
	s_cbranch_execz .LBB1348_768
; %bb.767:                              ;   in Loop: Header=BB1348_730 Depth=2
	v_lshl_add_u64 v[64:65], s[42:43], 2, v[28:29]
	v_mov_b32_e32 v139, s18
	global_load_b32 v64, v[64:65], off offset:2048
.LBB1348_768:                           ;   in Loop: Header=BB1348_730 Depth=2
	s_wait_xcnt 0x0
	s_or_b32 exec_lo, exec_lo, s19
	s_wait_loadcnt 0xf
	v_cmp_gt_i32_e32 vcc_lo, 0, v140
	ds_store_2addr_b32 v90, v1, v1 offset0:136 offset1:137
	ds_store_2addr_b32 v90, v1, v1 offset0:138 offset1:139
	ds_store_b32 v90, v1 offset:560
	s_wait_loadcnt_dscnt 0x0
	s_barrier_signal -1
	s_barrier_wait -1
	v_cndmask_b32_e64 v65, 0x7fffffff, 0, vcc_lo
	; wave barrier
	s_delay_alu instid0(VALU_DEP_1) | instskip(NEXT) | instid1(VALU_DEP_1)
	v_xor_b32_e32 v140, v65, v140
	v_cmp_ne_u32_e32 vcc_lo, 0x80000000, v140
	v_cndmask_b32_e32 v65, 0x7fffffff, v140, vcc_lo
	s_delay_alu instid0(VALU_DEP_1) | instskip(NEXT) | instid1(VALU_DEP_1)
	v_lshrrev_b32_e32 v65, s49, v65
	v_bitop3_b32 v141, v65, 1, s58 bitop3:0x80
	v_and_b32_e32 v143, s58, v65
	s_delay_alu instid0(VALU_DEP_2) | instskip(NEXT) | instid1(VALU_DEP_1)
	v_add_co_u32 v65, s17, v141, -1
	v_cndmask_b32_e64 v141, 0, 1, s17
	s_delay_alu instid0(VALU_DEP_3) | instskip(SKIP_1) | instid1(VALU_DEP_3)
	v_dual_lshlrev_b32 v145, 30, v143 :: v_dual_lshlrev_b32 v147, 28, v143
	v_lshlrev_b32_e32 v146, 29, v143
	v_cmp_ne_u32_e32 vcc_lo, 0, v141
	s_delay_alu instid0(VALU_DEP_3) | instskip(SKIP_1) | instid1(VALU_DEP_4)
	v_cmp_gt_i32_e64 s17, 0, v145
	v_not_b32_e32 v141, v145
	v_cmp_gt_i32_e64 s18, 0, v146
	v_not_b32_e32 v145, v146
	v_not_b32_e32 v146, v147
	v_cmp_gt_i32_e64 s19, 0, v147
	v_ashrrev_i32_e32 v141, 31, v141
	v_bitop3_b32 v65, vcc_lo, exec_lo, v65 bitop3:0x48
	s_delay_alu instid0(VALU_DEP_4) | instskip(SKIP_2) | instid1(VALU_DEP_3)
	v_dual_ashrrev_i32 v146, 31, v146 :: v_dual_lshlrev_b32 v149, 27, v143
	v_dual_lshlrev_b32 v150, 26, v143 :: v_dual_lshlrev_b32 v151, 25, v143
	v_mul_u32_u24_e32 v143, 36, v143
	v_xor_b32_e32 v146, s19, v146
	s_delay_alu instid0(VALU_DEP_4)
	v_not_b32_e32 v147, v149
	v_ashrrev_i32_e32 v145, 31, v145
	v_cmp_gt_i32_e64 s20, 0, v149
	v_cmp_gt_i32_e64 s21, 0, v150
	v_not_b32_e32 v149, v150
	v_not_b32_e32 v150, v151
	v_dual_ashrrev_i32 v147, 31, v147 :: v_dual_bitop2_b32 v141, s17, v141 bitop3:0x14
	v_dual_add_nc_u32 v143, v25, v143 :: v_dual_bitop2_b32 v145, s18, v145 bitop3:0x14
	v_cmp_gt_i32_e64 s22, 0, v151
	s_delay_alu instid0(VALU_DEP_4) | instskip(NEXT) | instid1(VALU_DEP_4)
	v_dual_ashrrev_i32 v149, 31, v149 :: v_dual_ashrrev_i32 v150, 31, v150
	v_xor_b32_e32 v147, s20, v147
	s_delay_alu instid0(VALU_DEP_4) | instskip(NEXT) | instid1(VALU_DEP_3)
	v_bitop3_b32 v65, v65, v145, v141 bitop3:0x80
	v_xor_b32_e32 v141, s21, v149
	s_delay_alu instid0(VALU_DEP_4) | instskip(NEXT) | instid1(VALU_DEP_3)
	v_xor_b32_e32 v145, s22, v150
	v_bitop3_b32 v65, v65, v147, v146 bitop3:0x80
	s_delay_alu instid0(VALU_DEP_1) | instskip(NEXT) | instid1(VALU_DEP_1)
	v_bitop3_b32 v65, v65, v145, v141 bitop3:0x80
	v_mbcnt_lo_u32_b32 v141, v65, 0
	v_cmp_ne_u32_e64 s17, 0, v65
	s_delay_alu instid0(VALU_DEP_2) | instskip(SKIP_1) | instid1(SALU_CYCLE_1)
	v_cmp_eq_u32_e32 vcc_lo, 0, v141
	s_and_b32 s18, s17, vcc_lo
	s_and_saveexec_b32 s17, s18
; %bb.769:                              ;   in Loop: Header=BB1348_730 Depth=2
	v_bcnt_u32_b32 v65, v65, 0
	ds_store_b32 v143, v65 offset:544
; %bb.770:                              ;   in Loop: Header=BB1348_730 Depth=2
	s_or_b32 exec_lo, exec_lo, s17
	v_cmp_gt_i32_e32 vcc_lo, 0, v142
	; wave barrier
	v_cndmask_b32_e64 v65, 0x7fffffff, 0, vcc_lo
	s_delay_alu instid0(VALU_DEP_1) | instskip(NEXT) | instid1(VALU_DEP_1)
	v_xor_b32_e32 v142, v65, v142
	v_cmp_ne_u32_e32 vcc_lo, 0x80000000, v142
	v_cndmask_b32_e32 v65, 0x7fffffff, v142, vcc_lo
	s_delay_alu instid0(VALU_DEP_1) | instskip(NEXT) | instid1(VALU_DEP_1)
	v_lshrrev_b32_e32 v65, s49, v65
	v_bitop3_b32 v145, v65, 1, s58 bitop3:0x80
	v_and_b32_e32 v147, s58, v65
	s_delay_alu instid0(VALU_DEP_2) | instskip(NEXT) | instid1(VALU_DEP_1)
	v_add_co_u32 v65, s17, v145, -1
	v_cndmask_b32_e64 v145, 0, 1, s17
	s_delay_alu instid0(VALU_DEP_3) | instskip(NEXT) | instid1(VALU_DEP_2)
	v_dual_lshlrev_b32 v146, 30, v147 :: v_dual_lshlrev_b32 v149, 29, v147
	v_cmp_ne_u32_e32 vcc_lo, 0, v145
	s_delay_alu instid0(VALU_DEP_2) | instskip(SKIP_1) | instid1(VALU_DEP_4)
	v_cmp_gt_i32_e64 s17, 0, v146
	v_not_b32_e32 v145, v146
	v_not_b32_e32 v146, v149
	v_bitop3_b32 v65, vcc_lo, exec_lo, v65 bitop3:0x48
	s_delay_alu instid0(VALU_DEP_2) | instskip(SKIP_3) | instid1(VALU_DEP_3)
	v_dual_ashrrev_i32 v145, 31, v145 :: v_dual_ashrrev_i32 v146, 31, v146
	v_dual_lshlrev_b32 v150, 28, v147 :: v_dual_lshlrev_b32 v151, 27, v147
	v_dual_lshlrev_b32 v154, 26, v147 :: v_dual_lshlrev_b32 v155, 25, v147
	v_cmp_gt_i32_e64 s18, 0, v149
	v_cmp_gt_i32_e64 s19, 0, v150
	v_not_b32_e32 v149, v150
	v_not_b32_e32 v150, v151
	v_cmp_gt_i32_e64 s20, 0, v151
	v_cmp_gt_i32_e64 s21, 0, v154
	v_not_b32_e32 v151, v154
	v_not_b32_e32 v154, v155
	v_dual_ashrrev_i32 v149, 31, v149 :: v_dual_ashrrev_i32 v150, 31, v150
	s_delay_alu instid0(VALU_DEP_3) | instskip(SKIP_2) | instid1(VALU_DEP_4)
	v_dual_ashrrev_i32 v151, 31, v151 :: v_dual_bitop2_b32 v145, s17, v145 bitop3:0x14
	v_xor_b32_e32 v146, s18, v146
	v_cmp_gt_i32_e64 s22, 0, v155
	v_dual_ashrrev_i32 v154, 31, v154 :: v_dual_bitop2_b32 v149, s19, v149 bitop3:0x14
	v_xor_b32_e32 v150, s20, v150
	s_delay_alu instid0(VALU_DEP_4)
	v_bitop3_b32 v65, v65, v146, v145 bitop3:0x80
	v_mad_u32_u24 v145, v147, 36, v25
	v_xor_b32_e32 v146, s21, v151
	v_xor_b32_e32 v151, s22, v154
	v_mul_u32_u24_e32 v147, 36, v147
	v_bitop3_b32 v65, v65, v150, v149 bitop3:0x80
	ds_load_b32 v145, v145 offset:544
	; wave barrier
	v_add_nc_u32_e32 v147, v25, v147
	v_bitop3_b32 v65, v65, v151, v146 bitop3:0x80
	s_delay_alu instid0(VALU_DEP_1) | instskip(SKIP_1) | instid1(VALU_DEP_2)
	v_mbcnt_lo_u32_b32 v146, v65, 0
	v_cmp_ne_u32_e64 s17, 0, v65
	v_cmp_eq_u32_e32 vcc_lo, 0, v146
	s_and_b32 s18, s17, vcc_lo
	s_delay_alu instid0(SALU_CYCLE_1)
	s_and_saveexec_b32 s17, s18
	s_cbranch_execz .LBB1348_772
; %bb.771:                              ;   in Loop: Header=BB1348_730 Depth=2
	s_wait_dscnt 0x0
	v_bcnt_u32_b32 v65, v65, v145
	ds_store_b32 v147, v65 offset:544
.LBB1348_772:                           ;   in Loop: Header=BB1348_730 Depth=2
	s_or_b32 exec_lo, exec_lo, s17
	v_cmp_gt_i32_e32 vcc_lo, 0, v144
	; wave barrier
	v_cndmask_b32_e64 v65, 0x7fffffff, 0, vcc_lo
	s_delay_alu instid0(VALU_DEP_1) | instskip(NEXT) | instid1(VALU_DEP_1)
	v_xor_b32_e32 v144, v65, v144
	v_cmp_ne_u32_e32 vcc_lo, 0x80000000, v144
	v_cndmask_b32_e32 v65, 0x7fffffff, v144, vcc_lo
	s_delay_alu instid0(VALU_DEP_1) | instskip(NEXT) | instid1(VALU_DEP_1)
	v_lshrrev_b32_e32 v65, s49, v65
	v_bitop3_b32 v149, v65, 1, s58 bitop3:0x80
	v_and_b32_e32 v151, s58, v65
	s_delay_alu instid0(VALU_DEP_2) | instskip(NEXT) | instid1(VALU_DEP_1)
	v_add_co_u32 v65, s17, v149, -1
	v_cndmask_b32_e64 v149, 0, 1, s17
	s_delay_alu instid0(VALU_DEP_3) | instskip(NEXT) | instid1(VALU_DEP_2)
	v_dual_lshlrev_b32 v150, 30, v151 :: v_dual_lshlrev_b32 v154, 29, v151
	v_cmp_ne_u32_e32 vcc_lo, 0, v149
	s_delay_alu instid0(VALU_DEP_2) | instskip(SKIP_1) | instid1(VALU_DEP_4)
	v_cmp_gt_i32_e64 s17, 0, v150
	v_not_b32_e32 v149, v150
	v_not_b32_e32 v150, v154
	v_bitop3_b32 v65, vcc_lo, exec_lo, v65 bitop3:0x48
	s_delay_alu instid0(VALU_DEP_2) | instskip(SKIP_3) | instid1(VALU_DEP_3)
	v_dual_ashrrev_i32 v149, 31, v149 :: v_dual_ashrrev_i32 v150, 31, v150
	v_dual_lshlrev_b32 v155, 28, v151 :: v_dual_lshlrev_b32 v156, 27, v151
	v_dual_lshlrev_b32 v159, 26, v151 :: v_dual_lshlrev_b32 v160, 25, v151
	v_cmp_gt_i32_e64 s18, 0, v154
	v_cmp_gt_i32_e64 s19, 0, v155
	v_not_b32_e32 v154, v155
	v_not_b32_e32 v155, v156
	v_cmp_gt_i32_e64 s20, 0, v156
	v_cmp_gt_i32_e64 s21, 0, v159
	v_not_b32_e32 v156, v159
	v_not_b32_e32 v159, v160
	v_dual_ashrrev_i32 v154, 31, v154 :: v_dual_ashrrev_i32 v155, 31, v155
	s_delay_alu instid0(VALU_DEP_3) | instskip(NEXT) | instid1(VALU_DEP_3)
	v_dual_ashrrev_i32 v156, 31, v156 :: v_dual_bitop2_b32 v149, s17, v149 bitop3:0x14
	v_dual_ashrrev_i32 v159, 31, v159 :: v_dual_bitop2_b32 v150, s18, v150 bitop3:0x14
	v_cmp_gt_i32_e64 s22, 0, v160
	s_delay_alu instid0(VALU_DEP_4) | instskip(NEXT) | instid1(VALU_DEP_3)
	v_xor_b32_e32 v155, s20, v155
	v_bitop3_b32 v65, v65, v150, v149 bitop3:0x80
	v_mad_u32_u24 v149, v151, 36, v25
	v_mul_u32_u24_e32 v151, 36, v151
	v_xor_b32_e32 v154, s19, v154
	v_xor_b32_e32 v150, s21, v156
	;; [unrolled: 1-line block ×3, first 2 shown]
	ds_load_b32 v149, v149 offset:544
	v_add_nc_u32_e32 v151, v25, v151
	v_bitop3_b32 v65, v65, v155, v154 bitop3:0x80
	; wave barrier
	s_delay_alu instid0(VALU_DEP_1) | instskip(NEXT) | instid1(VALU_DEP_1)
	v_bitop3_b32 v65, v65, v156, v150 bitop3:0x80
	v_mbcnt_lo_u32_b32 v150, v65, 0
	v_cmp_ne_u32_e64 s17, 0, v65
	s_delay_alu instid0(VALU_DEP_2) | instskip(SKIP_1) | instid1(SALU_CYCLE_1)
	v_cmp_eq_u32_e32 vcc_lo, 0, v150
	s_and_b32 s18, s17, vcc_lo
	s_and_saveexec_b32 s17, s18
	s_cbranch_execz .LBB1348_774
; %bb.773:                              ;   in Loop: Header=BB1348_730 Depth=2
	s_wait_dscnt 0x0
	v_bcnt_u32_b32 v65, v65, v149
	ds_store_b32 v151, v65 offset:544
.LBB1348_774:                           ;   in Loop: Header=BB1348_730 Depth=2
	s_or_b32 exec_lo, exec_lo, s17
	v_cmp_gt_i32_e32 vcc_lo, 0, v148
	; wave barrier
	v_cndmask_b32_e64 v65, 0x7fffffff, 0, vcc_lo
	s_delay_alu instid0(VALU_DEP_1) | instskip(NEXT) | instid1(VALU_DEP_1)
	v_xor_b32_e32 v148, v65, v148
	v_cmp_ne_u32_e32 vcc_lo, 0x80000000, v148
	v_cndmask_b32_e32 v65, 0x7fffffff, v148, vcc_lo
	s_delay_alu instid0(VALU_DEP_1) | instskip(NEXT) | instid1(VALU_DEP_1)
	v_lshrrev_b32_e32 v65, s49, v65
	v_bitop3_b32 v154, v65, 1, s58 bitop3:0x80
	v_and_b32_e32 v156, s58, v65
	s_delay_alu instid0(VALU_DEP_2) | instskip(NEXT) | instid1(VALU_DEP_1)
	v_add_co_u32 v65, s17, v154, -1
	v_cndmask_b32_e64 v154, 0, 1, s17
	s_delay_alu instid0(VALU_DEP_3) | instskip(NEXT) | instid1(VALU_DEP_2)
	v_dual_lshlrev_b32 v155, 30, v156 :: v_dual_lshlrev_b32 v159, 29, v156
	v_cmp_ne_u32_e32 vcc_lo, 0, v154
	s_delay_alu instid0(VALU_DEP_2) | instskip(SKIP_1) | instid1(VALU_DEP_4)
	v_cmp_gt_i32_e64 s17, 0, v155
	v_not_b32_e32 v154, v155
	v_not_b32_e32 v155, v159
	v_cmp_gt_i32_e64 s18, 0, v159
	v_bitop3_b32 v65, vcc_lo, exec_lo, v65 bitop3:0x48
	s_delay_alu instid0(VALU_DEP_3) | instskip(SKIP_2) | instid1(VALU_DEP_2)
	v_dual_ashrrev_i32 v154, 31, v154 :: v_dual_ashrrev_i32 v155, 31, v155
	v_dual_lshlrev_b32 v160, 28, v156 :: v_dual_lshlrev_b32 v162, 27, v156
	v_dual_lshlrev_b32 v164, 26, v156 :: v_dual_lshlrev_b32 v165, 25, v156
	v_cmp_gt_i32_e64 s19, 0, v160
	v_not_b32_e32 v159, v160
	s_delay_alu instid0(VALU_DEP_4)
	v_not_b32_e32 v160, v162
	v_cmp_gt_i32_e64 s20, 0, v162
	v_cmp_gt_i32_e64 s21, 0, v164
	v_not_b32_e32 v162, v164
	v_not_b32_e32 v164, v165
	v_dual_ashrrev_i32 v159, 31, v159 :: v_dual_ashrrev_i32 v160, 31, v160
	v_xor_b32_e32 v154, s17, v154
	s_delay_alu instid0(VALU_DEP_4) | instskip(SKIP_3) | instid1(VALU_DEP_4)
	v_dual_ashrrev_i32 v162, 31, v162 :: v_dual_bitop2_b32 v155, s18, v155 bitop3:0x14
	v_cmp_gt_i32_e64 s22, 0, v165
	v_ashrrev_i32_e32 v164, 31, v164
	v_xor_b32_e32 v160, s20, v160
	v_bitop3_b32 v65, v65, v155, v154 bitop3:0x80
	v_mad_u32_u24 v154, v156, 36, v25
	v_mul_u32_u24_e32 v156, 36, v156
	v_xor_b32_e32 v159, s19, v159
	v_xor_b32_e32 v155, s21, v162
	;; [unrolled: 1-line block ×3, first 2 shown]
	ds_load_b32 v154, v154 offset:544
	v_add_nc_u32_e32 v156, v25, v156
	v_bitop3_b32 v65, v65, v160, v159 bitop3:0x80
	; wave barrier
	s_delay_alu instid0(VALU_DEP_1) | instskip(NEXT) | instid1(VALU_DEP_1)
	v_bitop3_b32 v65, v65, v162, v155 bitop3:0x80
	v_mbcnt_lo_u32_b32 v155, v65, 0
	v_cmp_ne_u32_e64 s17, 0, v65
	s_delay_alu instid0(VALU_DEP_2) | instskip(SKIP_1) | instid1(SALU_CYCLE_1)
	v_cmp_eq_u32_e32 vcc_lo, 0, v155
	s_and_b32 s18, s17, vcc_lo
	s_and_saveexec_b32 s17, s18
	s_cbranch_execz .LBB1348_776
; %bb.775:                              ;   in Loop: Header=BB1348_730 Depth=2
	s_wait_dscnt 0x0
	v_bcnt_u32_b32 v65, v65, v154
	ds_store_b32 v156, v65 offset:544
.LBB1348_776:                           ;   in Loop: Header=BB1348_730 Depth=2
	s_or_b32 exec_lo, exec_lo, s17
	v_cmp_gt_i32_e32 vcc_lo, 0, v153
	; wave barrier
	v_cndmask_b32_e64 v65, 0x7fffffff, 0, vcc_lo
	s_delay_alu instid0(VALU_DEP_1) | instskip(NEXT) | instid1(VALU_DEP_1)
	v_xor_b32_e32 v153, v65, v153
	v_cmp_ne_u32_e32 vcc_lo, 0x80000000, v153
	v_cndmask_b32_e32 v65, 0x7fffffff, v153, vcc_lo
	s_delay_alu instid0(VALU_DEP_1) | instskip(NEXT) | instid1(VALU_DEP_1)
	v_lshrrev_b32_e32 v65, s49, v65
	v_and_b32_e32 v162, s58, v65
	s_delay_alu instid0(VALU_DEP_1) | instskip(SKIP_2) | instid1(VALU_DEP_3)
	v_lshlrev_b32_e32 v165, 28, v162
	v_bitop3_b32 v159, v65, 1, s58 bitop3:0x80
	v_lshlrev_b32_e32 v160, 30, v162
	v_cmp_gt_i32_e64 s19, 0, v165
	s_delay_alu instid0(VALU_DEP_3) | instskip(NEXT) | instid1(VALU_DEP_1)
	v_add_co_u32 v65, s17, v159, -1
	v_cndmask_b32_e64 v159, 0, 1, s17
	s_delay_alu instid0(VALU_DEP_4) | instskip(NEXT) | instid1(VALU_DEP_2)
	v_cmp_gt_i32_e64 s17, 0, v160
	v_cmp_ne_u32_e32 vcc_lo, 0, v159
	v_not_b32_e32 v159, v160
	v_bitop3_b32 v65, vcc_lo, exec_lo, v65 bitop3:0x48
	s_delay_alu instid0(VALU_DEP_2) | instskip(SKIP_1) | instid1(VALU_DEP_2)
	v_dual_ashrrev_i32 v159, 31, v159 :: v_dual_lshlrev_b32 v164, 29, v162
	v_dual_lshlrev_b32 v167, 27, v162 :: v_dual_lshlrev_b32 v169, 26, v162
	v_not_b32_e32 v160, v164
	v_lshlrev_b32_e32 v170, 25, v162
	v_cmp_gt_i32_e64 s18, 0, v164
	v_not_b32_e32 v164, v165
	v_not_b32_e32 v165, v167
	v_ashrrev_i32_e32 v160, 31, v160
	v_cmp_gt_i32_e64 s20, 0, v167
	v_cmp_gt_i32_e64 s21, 0, v169
	v_not_b32_e32 v167, v169
	v_not_b32_e32 v169, v170
	v_dual_ashrrev_i32 v164, 31, v164 :: v_dual_ashrrev_i32 v165, 31, v165
	v_xor_b32_e32 v159, s17, v159
	s_delay_alu instid0(VALU_DEP_4) | instskip(SKIP_3) | instid1(VALU_DEP_4)
	v_dual_ashrrev_i32 v167, 31, v167 :: v_dual_bitop2_b32 v160, s18, v160 bitop3:0x14
	v_cmp_gt_i32_e64 s22, 0, v170
	v_ashrrev_i32_e32 v169, 31, v169
	v_xor_b32_e32 v165, s20, v165
	v_bitop3_b32 v65, v65, v160, v159 bitop3:0x80
	v_mad_u32_u24 v159, v162, 36, v25
	v_mul_u32_u24_e32 v162, 36, v162
	v_xor_b32_e32 v164, s19, v164
	v_xor_b32_e32 v160, s21, v167
	;; [unrolled: 1-line block ×3, first 2 shown]
	ds_load_b32 v159, v159 offset:544
	v_add_nc_u32_e32 v162, v25, v162
	v_bitop3_b32 v65, v65, v165, v164 bitop3:0x80
	; wave barrier
	s_delay_alu instid0(VALU_DEP_1) | instskip(NEXT) | instid1(VALU_DEP_1)
	v_bitop3_b32 v65, v65, v167, v160 bitop3:0x80
	v_mbcnt_lo_u32_b32 v160, v65, 0
	v_cmp_ne_u32_e64 s17, 0, v65
	s_delay_alu instid0(VALU_DEP_2) | instskip(SKIP_1) | instid1(SALU_CYCLE_1)
	v_cmp_eq_u32_e32 vcc_lo, 0, v160
	s_and_b32 s18, s17, vcc_lo
	s_and_saveexec_b32 s17, s18
	s_cbranch_execz .LBB1348_778
; %bb.777:                              ;   in Loop: Header=BB1348_730 Depth=2
	s_wait_dscnt 0x0
	v_bcnt_u32_b32 v65, v65, v159
	ds_store_b32 v162, v65 offset:544
.LBB1348_778:                           ;   in Loop: Header=BB1348_730 Depth=2
	s_or_b32 exec_lo, exec_lo, s17
	v_cmp_gt_i32_e32 vcc_lo, 0, v158
	; wave barrier
	v_cndmask_b32_e64 v65, 0x7fffffff, 0, vcc_lo
	s_delay_alu instid0(VALU_DEP_1) | instskip(NEXT) | instid1(VALU_DEP_1)
	v_xor_b32_e32 v158, v65, v158
	v_cmp_ne_u32_e32 vcc_lo, 0x80000000, v158
	v_cndmask_b32_e32 v65, 0x7fffffff, v158, vcc_lo
	s_delay_alu instid0(VALU_DEP_1) | instskip(NEXT) | instid1(VALU_DEP_1)
	v_lshrrev_b32_e32 v65, s49, v65
	v_bitop3_b32 v164, v65, 1, s58 bitop3:0x80
	v_and_b32_e32 v167, s58, v65
	s_delay_alu instid0(VALU_DEP_2) | instskip(NEXT) | instid1(VALU_DEP_1)
	v_add_co_u32 v65, s17, v164, -1
	v_cndmask_b32_e64 v164, 0, 1, s17
	s_delay_alu instid0(VALU_DEP_3) | instskip(NEXT) | instid1(VALU_DEP_2)
	v_lshlrev_b32_e32 v165, 30, v167
	v_cmp_ne_u32_e32 vcc_lo, 0, v164
	s_delay_alu instid0(VALU_DEP_2) | instskip(SKIP_1) | instid1(VALU_DEP_2)
	v_not_b32_e32 v164, v165
	v_bitop3_b32 v65, vcc_lo, exec_lo, v65 bitop3:0x48
	v_dual_ashrrev_i32 v164, 31, v164 :: v_dual_lshlrev_b32 v169, 29, v167
	v_dual_lshlrev_b32 v170, 28, v167 :: v_dual_lshlrev_b32 v172, 27, v167
	v_lshlrev_b32_e32 v174, 26, v167
	v_cmp_gt_i32_e64 s17, 0, v165
	s_delay_alu instid0(VALU_DEP_4)
	v_not_b32_e32 v165, v169
	v_lshlrev_b32_e32 v175, 25, v167
	v_cmp_gt_i32_e64 s18, 0, v169
	v_cmp_gt_i32_e64 s19, 0, v170
	v_not_b32_e32 v169, v170
	v_not_b32_e32 v170, v172
	v_ashrrev_i32_e32 v165, 31, v165
	v_cmp_gt_i32_e64 s20, 0, v172
	v_cmp_gt_i32_e64 s21, 0, v174
	v_not_b32_e32 v172, v174
	v_not_b32_e32 v174, v175
	v_dual_ashrrev_i32 v169, 31, v169 :: v_dual_ashrrev_i32 v170, 31, v170
	v_xor_b32_e32 v164, s17, v164
	s_delay_alu instid0(VALU_DEP_4) | instskip(SKIP_3) | instid1(VALU_DEP_4)
	v_dual_ashrrev_i32 v172, 31, v172 :: v_dual_bitop2_b32 v165, s18, v165 bitop3:0x14
	v_cmp_gt_i32_e64 s22, 0, v175
	v_ashrrev_i32_e32 v174, 31, v174
	v_xor_b32_e32 v170, s20, v170
	v_bitop3_b32 v65, v65, v165, v164 bitop3:0x80
	v_mad_u32_u24 v164, v167, 36, v25
	v_mul_u32_u24_e32 v167, 36, v167
	v_xor_b32_e32 v169, s19, v169
	v_xor_b32_e32 v165, s21, v172
	;; [unrolled: 1-line block ×3, first 2 shown]
	ds_load_b32 v164, v164 offset:544
	v_add_nc_u32_e32 v167, v25, v167
	v_bitop3_b32 v65, v65, v170, v169 bitop3:0x80
	; wave barrier
	s_delay_alu instid0(VALU_DEP_1) | instskip(NEXT) | instid1(VALU_DEP_1)
	v_bitop3_b32 v65, v65, v172, v165 bitop3:0x80
	v_mbcnt_lo_u32_b32 v165, v65, 0
	v_cmp_ne_u32_e64 s17, 0, v65
	s_delay_alu instid0(VALU_DEP_2) | instskip(SKIP_1) | instid1(SALU_CYCLE_1)
	v_cmp_eq_u32_e32 vcc_lo, 0, v165
	s_and_b32 s18, s17, vcc_lo
	s_and_saveexec_b32 s17, s18
	s_cbranch_execz .LBB1348_780
; %bb.779:                              ;   in Loop: Header=BB1348_730 Depth=2
	s_wait_dscnt 0x0
	v_bcnt_u32_b32 v65, v65, v164
	ds_store_b32 v167, v65 offset:544
.LBB1348_780:                           ;   in Loop: Header=BB1348_730 Depth=2
	s_or_b32 exec_lo, exec_lo, s17
	v_cmp_gt_i32_e32 vcc_lo, 0, v163
	; wave barrier
	v_cndmask_b32_e64 v65, 0x7fffffff, 0, vcc_lo
	s_delay_alu instid0(VALU_DEP_1) | instskip(NEXT) | instid1(VALU_DEP_1)
	v_xor_b32_e32 v163, v65, v163
	v_cmp_ne_u32_e32 vcc_lo, 0x80000000, v163
	v_cndmask_b32_e32 v65, 0x7fffffff, v163, vcc_lo
	s_delay_alu instid0(VALU_DEP_1) | instskip(NEXT) | instid1(VALU_DEP_1)
	v_lshrrev_b32_e32 v65, s49, v65
	v_bitop3_b32 v169, v65, 1, s58 bitop3:0x80
	v_and_b32_e32 v172, s58, v65
	s_delay_alu instid0(VALU_DEP_2) | instskip(NEXT) | instid1(VALU_DEP_1)
	v_add_co_u32 v65, s17, v169, -1
	v_cndmask_b32_e64 v169, 0, 1, s17
	s_delay_alu instid0(VALU_DEP_3) | instskip(NEXT) | instid1(VALU_DEP_2)
	v_dual_lshlrev_b32 v170, 30, v172 :: v_dual_lshlrev_b32 v174, 29, v172
	v_cmp_ne_u32_e32 vcc_lo, 0, v169
	s_delay_alu instid0(VALU_DEP_2) | instskip(SKIP_1) | instid1(VALU_DEP_4)
	v_cmp_gt_i32_e64 s17, 0, v170
	v_not_b32_e32 v169, v170
	v_not_b32_e32 v170, v174
	v_bitop3_b32 v65, vcc_lo, exec_lo, v65 bitop3:0x48
	s_delay_alu instid0(VALU_DEP_2) | instskip(SKIP_3) | instid1(VALU_DEP_3)
	v_dual_ashrrev_i32 v169, 31, v169 :: v_dual_ashrrev_i32 v170, 31, v170
	v_dual_lshlrev_b32 v175, 28, v172 :: v_dual_lshlrev_b32 v176, 27, v172
	v_dual_lshlrev_b32 v177, 26, v172 :: v_dual_lshlrev_b32 v178, 25, v172
	v_cmp_gt_i32_e64 s18, 0, v174
	v_cmp_gt_i32_e64 s19, 0, v175
	v_not_b32_e32 v174, v175
	v_not_b32_e32 v175, v176
	v_cmp_gt_i32_e64 s20, 0, v176
	v_cmp_gt_i32_e64 s21, 0, v177
	v_not_b32_e32 v176, v177
	v_not_b32_e32 v177, v178
	v_dual_ashrrev_i32 v174, 31, v174 :: v_dual_ashrrev_i32 v175, 31, v175
	s_delay_alu instid0(VALU_DEP_3) | instskip(NEXT) | instid1(VALU_DEP_3)
	v_dual_ashrrev_i32 v176, 31, v176 :: v_dual_bitop2_b32 v169, s17, v169 bitop3:0x14
	v_dual_ashrrev_i32 v177, 31, v177 :: v_dual_bitop2_b32 v170, s18, v170 bitop3:0x14
	v_cmp_gt_i32_e64 s22, 0, v178
	s_delay_alu instid0(VALU_DEP_4) | instskip(NEXT) | instid1(VALU_DEP_3)
	v_xor_b32_e32 v175, s20, v175
	v_bitop3_b32 v65, v65, v170, v169 bitop3:0x80
	v_mad_u32_u24 v169, v172, 36, v25
	v_mul_u32_u24_e32 v172, 36, v172
	v_xor_b32_e32 v174, s19, v174
	v_xor_b32_e32 v170, s21, v176
	;; [unrolled: 1-line block ×3, first 2 shown]
	ds_load_b32 v169, v169 offset:544
	v_add_nc_u32_e32 v172, v25, v172
	v_bitop3_b32 v65, v65, v175, v174 bitop3:0x80
	; wave barrier
	s_delay_alu instid0(VALU_DEP_1) | instskip(NEXT) | instid1(VALU_DEP_1)
	v_bitop3_b32 v65, v65, v176, v170 bitop3:0x80
	v_mbcnt_lo_u32_b32 v170, v65, 0
	v_cmp_ne_u32_e64 s17, 0, v65
	s_delay_alu instid0(VALU_DEP_2) | instskip(SKIP_1) | instid1(SALU_CYCLE_1)
	v_cmp_eq_u32_e32 vcc_lo, 0, v170
	s_and_b32 s18, s17, vcc_lo
	s_and_saveexec_b32 s17, s18
	s_cbranch_execz .LBB1348_782
; %bb.781:                              ;   in Loop: Header=BB1348_730 Depth=2
	s_wait_dscnt 0x0
	v_bcnt_u32_b32 v65, v65, v169
	ds_store_b32 v172, v65 offset:544
.LBB1348_782:                           ;   in Loop: Header=BB1348_730 Depth=2
	s_or_b32 exec_lo, exec_lo, s17
	v_cmp_gt_i32_e32 vcc_lo, 0, v168
	; wave barrier
	v_cndmask_b32_e64 v65, 0x7fffffff, 0, vcc_lo
	s_delay_alu instid0(VALU_DEP_1) | instskip(NEXT) | instid1(VALU_DEP_1)
	v_xor_b32_e32 v168, v65, v168
	v_cmp_ne_u32_e32 vcc_lo, 0x80000000, v168
	v_cndmask_b32_e32 v65, 0x7fffffff, v168, vcc_lo
	s_delay_alu instid0(VALU_DEP_1) | instskip(NEXT) | instid1(VALU_DEP_1)
	v_lshrrev_b32_e32 v65, s49, v65
	v_bitop3_b32 v174, v65, 1, s58 bitop3:0x80
	v_and_b32_e32 v176, s58, v65
	s_delay_alu instid0(VALU_DEP_2) | instskip(NEXT) | instid1(VALU_DEP_1)
	v_add_co_u32 v65, s17, v174, -1
	v_cndmask_b32_e64 v174, 0, 1, s17
	s_delay_alu instid0(VALU_DEP_3) | instskip(NEXT) | instid1(VALU_DEP_2)
	v_dual_lshlrev_b32 v175, 30, v176 :: v_dual_lshlrev_b32 v177, 29, v176
	v_cmp_ne_u32_e32 vcc_lo, 0, v174
	s_delay_alu instid0(VALU_DEP_2) | instskip(SKIP_1) | instid1(VALU_DEP_4)
	v_cmp_gt_i32_e64 s17, 0, v175
	v_not_b32_e32 v174, v175
	v_not_b32_e32 v175, v177
	v_cmp_gt_i32_e64 s18, 0, v177
	v_bitop3_b32 v65, vcc_lo, exec_lo, v65 bitop3:0x48
	s_delay_alu instid0(VALU_DEP_3) | instskip(SKIP_2) | instid1(VALU_DEP_2)
	v_dual_ashrrev_i32 v174, 31, v174 :: v_dual_ashrrev_i32 v175, 31, v175
	v_dual_lshlrev_b32 v178, 28, v176 :: v_dual_lshlrev_b32 v179, 27, v176
	v_dual_lshlrev_b32 v180, 26, v176 :: v_dual_lshlrev_b32 v181, 25, v176
	v_cmp_gt_i32_e64 s19, 0, v178
	v_not_b32_e32 v177, v178
	s_delay_alu instid0(VALU_DEP_4)
	v_not_b32_e32 v178, v179
	v_cmp_gt_i32_e64 s20, 0, v179
	v_cmp_gt_i32_e64 s21, 0, v180
	v_not_b32_e32 v179, v180
	v_not_b32_e32 v180, v181
	v_dual_ashrrev_i32 v177, 31, v177 :: v_dual_ashrrev_i32 v178, 31, v178
	s_delay_alu instid0(VALU_DEP_3) | instskip(NEXT) | instid1(VALU_DEP_3)
	v_dual_ashrrev_i32 v179, 31, v179 :: v_dual_bitop2_b32 v174, s17, v174 bitop3:0x14
	v_dual_ashrrev_i32 v180, 31, v180 :: v_dual_bitop2_b32 v175, s18, v175 bitop3:0x14
	v_cmp_gt_i32_e64 s22, 0, v181
	s_delay_alu instid0(VALU_DEP_4) | instskip(NEXT) | instid1(VALU_DEP_3)
	v_xor_b32_e32 v178, s20, v178
	v_bitop3_b32 v65, v65, v175, v174 bitop3:0x80
	v_mad_u32_u24 v174, v176, 36, v25
	v_mul_u32_u24_e32 v176, 36, v176
	v_xor_b32_e32 v177, s19, v177
	v_xor_b32_e32 v175, s21, v179
	;; [unrolled: 1-line block ×3, first 2 shown]
	ds_load_b32 v174, v174 offset:544
	v_add_nc_u32_e32 v176, v25, v176
	v_bitop3_b32 v65, v65, v178, v177 bitop3:0x80
	; wave barrier
	s_delay_alu instid0(VALU_DEP_1) | instskip(NEXT) | instid1(VALU_DEP_1)
	v_bitop3_b32 v65, v65, v179, v175 bitop3:0x80
	v_mbcnt_lo_u32_b32 v175, v65, 0
	v_cmp_ne_u32_e64 s17, 0, v65
	s_delay_alu instid0(VALU_DEP_2) | instskip(SKIP_1) | instid1(SALU_CYCLE_1)
	v_cmp_eq_u32_e32 vcc_lo, 0, v175
	s_and_b32 s18, s17, vcc_lo
	s_and_saveexec_b32 s17, s18
	s_cbranch_execz .LBB1348_784
; %bb.783:                              ;   in Loop: Header=BB1348_730 Depth=2
	s_wait_dscnt 0x0
	v_bcnt_u32_b32 v65, v65, v174
	ds_store_b32 v176, v65 offset:544
.LBB1348_784:                           ;   in Loop: Header=BB1348_730 Depth=2
	s_or_b32 exec_lo, exec_lo, s17
	v_cmp_gt_i32_e32 vcc_lo, 0, v173
	; wave barrier
	v_cndmask_b32_e64 v65, 0x7fffffff, 0, vcc_lo
	s_delay_alu instid0(VALU_DEP_1) | instskip(NEXT) | instid1(VALU_DEP_1)
	v_xor_b32_e32 v173, v65, v173
	v_cmp_ne_u32_e32 vcc_lo, 0x80000000, v173
	v_cndmask_b32_e32 v65, 0x7fffffff, v173, vcc_lo
	s_delay_alu instid0(VALU_DEP_1) | instskip(NEXT) | instid1(VALU_DEP_1)
	v_lshrrev_b32_e32 v65, s49, v65
	v_and_b32_e32 v179, s58, v65
	s_delay_alu instid0(VALU_DEP_1) | instskip(SKIP_2) | instid1(VALU_DEP_3)
	v_lshlrev_b32_e32 v181, 28, v179
	v_bitop3_b32 v177, v65, 1, s58 bitop3:0x80
	v_dual_lshlrev_b32 v178, 30, v179 :: v_dual_lshlrev_b32 v180, 29, v179
	v_cmp_gt_i32_e64 s19, 0, v181
	s_delay_alu instid0(VALU_DEP_3) | instskip(NEXT) | instid1(VALU_DEP_1)
	v_add_co_u32 v65, s17, v177, -1
	v_cndmask_b32_e64 v177, 0, 1, s17
	s_delay_alu instid0(VALU_DEP_4) | instskip(SKIP_1) | instid1(VALU_DEP_3)
	v_cmp_gt_i32_e64 s17, 0, v178
	v_cmp_gt_i32_e64 s18, 0, v180
	v_cmp_ne_u32_e32 vcc_lo, 0, v177
	v_not_b32_e32 v177, v178
	v_not_b32_e32 v178, v180
	;; [unrolled: 1-line block ×3, first 2 shown]
	v_bitop3_b32 v65, vcc_lo, exec_lo, v65 bitop3:0x48
	s_delay_alu instid0(VALU_DEP_3) | instskip(SKIP_2) | instid1(VALU_DEP_2)
	v_dual_ashrrev_i32 v177, 31, v177 :: v_dual_ashrrev_i32 v178, 31, v178
	v_dual_lshlrev_b32 v182, 27, v179 :: v_dual_lshlrev_b32 v183, 26, v179
	v_lshlrev_b32_e32 v184, 25, v179
	v_not_b32_e32 v181, v182
	v_cmp_gt_i32_e64 s20, 0, v182
	s_delay_alu instid0(VALU_DEP_4) | instskip(SKIP_3) | instid1(VALU_DEP_3)
	v_cmp_gt_i32_e64 s21, 0, v183
	v_not_b32_e32 v182, v183
	v_not_b32_e32 v183, v184
	v_dual_ashrrev_i32 v180, 31, v180 :: v_dual_ashrrev_i32 v181, 31, v181
	v_dual_ashrrev_i32 v182, 31, v182 :: v_dual_bitop2_b32 v177, s17, v177 bitop3:0x14
	s_delay_alu instid0(VALU_DEP_3) | instskip(SKIP_1) | instid1(VALU_DEP_4)
	v_dual_ashrrev_i32 v183, 31, v183 :: v_dual_bitop2_b32 v178, s18, v178 bitop3:0x14
	v_cmp_gt_i32_e64 s22, 0, v184
	v_xor_b32_e32 v181, s20, v181
	s_delay_alu instid0(VALU_DEP_3)
	v_bitop3_b32 v65, v65, v178, v177 bitop3:0x80
	v_mad_u32_u24 v177, v179, 36, v25
	v_mul_u32_u24_e32 v179, 36, v179
	v_xor_b32_e32 v180, s19, v180
	v_xor_b32_e32 v178, s21, v182
	;; [unrolled: 1-line block ×3, first 2 shown]
	ds_load_b32 v177, v177 offset:544
	v_add_nc_u32_e32 v179, v25, v179
	v_bitop3_b32 v65, v65, v181, v180 bitop3:0x80
	; wave barrier
	s_delay_alu instid0(VALU_DEP_1) | instskip(NEXT) | instid1(VALU_DEP_1)
	v_bitop3_b32 v65, v65, v182, v178 bitop3:0x80
	v_mbcnt_lo_u32_b32 v178, v65, 0
	v_cmp_ne_u32_e64 s17, 0, v65
	s_delay_alu instid0(VALU_DEP_2) | instskip(SKIP_1) | instid1(SALU_CYCLE_1)
	v_cmp_eq_u32_e32 vcc_lo, 0, v178
	s_and_b32 s18, s17, vcc_lo
	s_and_saveexec_b32 s17, s18
	s_cbranch_execz .LBB1348_786
; %bb.785:                              ;   in Loop: Header=BB1348_730 Depth=2
	s_wait_dscnt 0x0
	v_bcnt_u32_b32 v65, v65, v177
	ds_store_b32 v179, v65 offset:544
.LBB1348_786:                           ;   in Loop: Header=BB1348_730 Depth=2
	s_or_b32 exec_lo, exec_lo, s17
	v_cmp_gt_i32_e32 vcc_lo, 0, v171
	; wave barrier
	v_cndmask_b32_e64 v65, 0x7fffffff, 0, vcc_lo
	s_delay_alu instid0(VALU_DEP_1) | instskip(NEXT) | instid1(VALU_DEP_1)
	v_xor_b32_e32 v171, v65, v171
	v_cmp_ne_u32_e32 vcc_lo, 0x80000000, v171
	v_cndmask_b32_e32 v65, 0x7fffffff, v171, vcc_lo
	s_delay_alu instid0(VALU_DEP_1) | instskip(NEXT) | instid1(VALU_DEP_1)
	v_lshrrev_b32_e32 v65, s49, v65
	v_bitop3_b32 v180, v65, 1, s58 bitop3:0x80
	v_and_b32_e32 v182, s58, v65
	s_delay_alu instid0(VALU_DEP_2) | instskip(NEXT) | instid1(VALU_DEP_1)
	v_add_co_u32 v65, s17, v180, -1
	v_cndmask_b32_e64 v180, 0, 1, s17
	s_delay_alu instid0(VALU_DEP_3) | instskip(NEXT) | instid1(VALU_DEP_2)
	v_lshlrev_b32_e32 v181, 30, v182
	v_cmp_ne_u32_e32 vcc_lo, 0, v180
	s_delay_alu instid0(VALU_DEP_2) | instskip(SKIP_1) | instid1(VALU_DEP_2)
	v_not_b32_e32 v180, v181
	v_bitop3_b32 v65, vcc_lo, exec_lo, v65 bitop3:0x48
	v_dual_ashrrev_i32 v180, 31, v180 :: v_dual_lshlrev_b32 v183, 29, v182
	v_dual_lshlrev_b32 v184, 28, v182 :: v_dual_lshlrev_b32 v185, 27, v182
	v_lshlrev_b32_e32 v186, 26, v182
	v_cmp_gt_i32_e64 s17, 0, v181
	s_delay_alu instid0(VALU_DEP_4)
	v_not_b32_e32 v181, v183
	v_lshlrev_b32_e32 v187, 25, v182
	v_cmp_gt_i32_e64 s18, 0, v183
	v_cmp_gt_i32_e64 s19, 0, v184
	v_not_b32_e32 v183, v184
	v_not_b32_e32 v184, v185
	v_ashrrev_i32_e32 v181, 31, v181
	v_cmp_gt_i32_e64 s20, 0, v185
	v_cmp_gt_i32_e64 s21, 0, v186
	v_not_b32_e32 v185, v186
	v_not_b32_e32 v186, v187
	v_dual_ashrrev_i32 v183, 31, v183 :: v_dual_ashrrev_i32 v184, 31, v184
	s_delay_alu instid0(VALU_DEP_3) | instskip(NEXT) | instid1(VALU_DEP_3)
	v_dual_ashrrev_i32 v185, 31, v185 :: v_dual_bitop2_b32 v180, s17, v180 bitop3:0x14
	v_dual_ashrrev_i32 v186, 31, v186 :: v_dual_bitop2_b32 v181, s18, v181 bitop3:0x14
	v_cmp_gt_i32_e64 s22, 0, v187
	s_delay_alu instid0(VALU_DEP_4) | instskip(NEXT) | instid1(VALU_DEP_3)
	v_xor_b32_e32 v184, s20, v184
	v_bitop3_b32 v65, v65, v181, v180 bitop3:0x80
	v_mad_u32_u24 v180, v182, 36, v25
	v_mul_u32_u24_e32 v182, 36, v182
	v_xor_b32_e32 v183, s19, v183
	v_xor_b32_e32 v181, s21, v185
	;; [unrolled: 1-line block ×3, first 2 shown]
	ds_load_b32 v180, v180 offset:544
	v_add_nc_u32_e32 v182, v25, v182
	v_bitop3_b32 v65, v65, v184, v183 bitop3:0x80
	; wave barrier
	s_delay_alu instid0(VALU_DEP_1) | instskip(NEXT) | instid1(VALU_DEP_1)
	v_bitop3_b32 v65, v65, v185, v181 bitop3:0x80
	v_mbcnt_lo_u32_b32 v181, v65, 0
	v_cmp_ne_u32_e64 s17, 0, v65
	s_delay_alu instid0(VALU_DEP_2) | instskip(SKIP_1) | instid1(SALU_CYCLE_1)
	v_cmp_eq_u32_e32 vcc_lo, 0, v181
	s_and_b32 s18, s17, vcc_lo
	s_and_saveexec_b32 s17, s18
	s_cbranch_execz .LBB1348_788
; %bb.787:                              ;   in Loop: Header=BB1348_730 Depth=2
	s_wait_dscnt 0x0
	v_bcnt_u32_b32 v65, v65, v180
	ds_store_b32 v182, v65 offset:544
.LBB1348_788:                           ;   in Loop: Header=BB1348_730 Depth=2
	s_or_b32 exec_lo, exec_lo, s17
	v_cmp_gt_i32_e32 vcc_lo, 0, v166
	; wave barrier
	v_cndmask_b32_e64 v65, 0x7fffffff, 0, vcc_lo
	s_delay_alu instid0(VALU_DEP_1) | instskip(NEXT) | instid1(VALU_DEP_1)
	v_xor_b32_e32 v166, v65, v166
	v_cmp_ne_u32_e32 vcc_lo, 0x80000000, v166
	v_cndmask_b32_e32 v65, 0x7fffffff, v166, vcc_lo
	s_delay_alu instid0(VALU_DEP_1) | instskip(NEXT) | instid1(VALU_DEP_1)
	v_lshrrev_b32_e32 v65, s49, v65
	v_bitop3_b32 v183, v65, 1, s58 bitop3:0x80
	v_and_b32_e32 v186, s58, v65
	s_delay_alu instid0(VALU_DEP_2) | instskip(NEXT) | instid1(VALU_DEP_1)
	v_add_co_u32 v65, s17, v183, -1
	v_cndmask_b32_e64 v183, 0, 1, s17
	s_delay_alu instid0(VALU_DEP_3) | instskip(NEXT) | instid1(VALU_DEP_2)
	v_lshlrev_b32_e32 v184, 30, v186
	v_cmp_ne_u32_e32 vcc_lo, 0, v183
	s_delay_alu instid0(VALU_DEP_2) | instskip(SKIP_1) | instid1(VALU_DEP_2)
	v_not_b32_e32 v183, v184
	v_bitop3_b32 v65, vcc_lo, exec_lo, v65 bitop3:0x48
	v_dual_ashrrev_i32 v183, 31, v183 :: v_dual_lshlrev_b32 v185, 29, v186
	v_cmp_gt_i32_e64 s17, 0, v184
	v_dual_lshlrev_b32 v187, 28, v186 :: v_dual_lshlrev_b32 v188, 27, v186
	v_dual_lshlrev_b32 v189, 26, v186 :: v_dual_lshlrev_b32 v190, 25, v186
	s_delay_alu instid0(VALU_DEP_4) | instskip(SKIP_1) | instid1(VALU_DEP_4)
	v_not_b32_e32 v184, v185
	v_cmp_gt_i32_e64 s18, 0, v185
	v_cmp_gt_i32_e64 s19, 0, v187
	v_not_b32_e32 v185, v187
	v_cmp_gt_i32_e64 s20, 0, v188
	v_ashrrev_i32_e32 v184, 31, v184
	v_not_b32_e32 v187, v188
	v_cmp_gt_i32_e64 s21, 0, v189
	v_not_b32_e32 v188, v189
	v_not_b32_e32 v189, v190
	v_xor_b32_e32 v183, s17, v183
	v_dual_ashrrev_i32 v185, 31, v185 :: v_dual_bitop2_b32 v184, s18, v184 bitop3:0x14
	s_delay_alu instid0(VALU_DEP_4) | instskip(NEXT) | instid1(VALU_DEP_4)
	v_dual_ashrrev_i32 v187, 31, v187 :: v_dual_ashrrev_i32 v188, 31, v188
	v_ashrrev_i32_e32 v189, 31, v189
	s_delay_alu instid0(VALU_DEP_3)
	v_bitop3_b32 v65, v65, v184, v183 bitop3:0x80
	v_mad_u32_u24 v183, v186, 36, v25
	v_cmp_gt_i32_e64 s22, 0, v190
	v_xor_b32_e32 v187, s20, v187
	v_xor_b32_e32 v188, s21, v188
	ds_load_b32 v184, v183 offset:544
	v_mul_u32_u24_e32 v183, 36, v186
	v_xor_b32_e32 v185, s19, v185
	v_xor_b32_e32 v189, s22, v189
	; wave barrier
	s_delay_alu instid0(VALU_DEP_3) | instskip(NEXT) | instid1(VALU_DEP_3)
	v_add_nc_u32_e32 v186, v25, v183
	v_bitop3_b32 v65, v65, v187, v185 bitop3:0x80
	s_delay_alu instid0(VALU_DEP_1) | instskip(NEXT) | instid1(VALU_DEP_1)
	v_bitop3_b32 v65, v65, v189, v188 bitop3:0x80
	v_mbcnt_lo_u32_b32 v185, v65, 0
	v_cmp_ne_u32_e64 s17, 0, v65
	s_delay_alu instid0(VALU_DEP_2) | instskip(SKIP_1) | instid1(SALU_CYCLE_1)
	v_cmp_eq_u32_e32 vcc_lo, 0, v185
	s_and_b32 s18, s17, vcc_lo
	s_and_saveexec_b32 s17, s18
	s_cbranch_execz .LBB1348_790
; %bb.789:                              ;   in Loop: Header=BB1348_730 Depth=2
	s_wait_dscnt 0x0
	v_bcnt_u32_b32 v65, v65, v184
	ds_store_b32 v186, v65 offset:544
.LBB1348_790:                           ;   in Loop: Header=BB1348_730 Depth=2
	s_or_b32 exec_lo, exec_lo, s17
	v_cmp_gt_i32_e32 vcc_lo, 0, v161
	; wave barrier
	v_cndmask_b32_e64 v65, 0x7fffffff, 0, vcc_lo
	s_delay_alu instid0(VALU_DEP_1) | instskip(NEXT) | instid1(VALU_DEP_1)
	v_xor_b32_e32 v183, v65, v161
	v_cmp_ne_u32_e32 vcc_lo, 0x80000000, v183
	v_cndmask_b32_e32 v65, 0x7fffffff, v183, vcc_lo
	s_delay_alu instid0(VALU_DEP_1) | instskip(NEXT) | instid1(VALU_DEP_1)
	v_lshrrev_b32_e32 v65, s49, v65
	v_and_b32_e32 v187, s58, v65
	s_delay_alu instid0(VALU_DEP_1) | instskip(SKIP_3) | instid1(VALU_DEP_4)
	v_lshlrev_b32_e32 v189, 29, v187
	v_bitop3_b32 v161, v65, 1, s58 bitop3:0x80
	v_dual_lshlrev_b32 v188, 30, v187 :: v_dual_lshlrev_b32 v190, 28, v187
	v_lshlrev_b32_e32 v191, 27, v187
	v_cmp_gt_i32_e64 s18, 0, v189
	s_delay_alu instid0(VALU_DEP_4) | instskip(NEXT) | instid1(VALU_DEP_1)
	v_add_co_u32 v65, s17, v161, -1
	v_cndmask_b32_e64 v161, 0, 1, s17
	v_cmp_gt_i32_e64 s17, 0, v188
	v_cmp_gt_i32_e64 s19, 0, v190
	;; [unrolled: 1-line block ×3, first 2 shown]
	s_delay_alu instid0(VALU_DEP_4)
	v_cmp_ne_u32_e32 vcc_lo, 0, v161
	v_not_b32_e32 v161, v188
	v_not_b32_e32 v188, v189
	;; [unrolled: 1-line block ×4, first 2 shown]
	v_bitop3_b32 v65, vcc_lo, exec_lo, v65 bitop3:0x48
	s_delay_alu instid0(VALU_DEP_4) | instskip(NEXT) | instid1(VALU_DEP_3)
	v_dual_ashrrev_i32 v188, 31, v188 :: v_dual_ashrrev_i32 v161, 31, v161
	v_dual_ashrrev_i32 v190, 31, v190 :: v_dual_lshlrev_b32 v192, 26, v187
	s_delay_alu instid0(VALU_DEP_2) | instskip(NEXT) | instid1(VALU_DEP_2)
	v_dual_lshlrev_b32 v193, 25, v187 :: v_dual_bitop2_b32 v188, s18, v188 bitop3:0x14
	v_cmp_gt_i32_e64 s21, 0, v192
	v_not_b32_e32 v191, v192
	s_delay_alu instid0(VALU_DEP_3) | instskip(SKIP_3) | instid1(VALU_DEP_4)
	v_not_b32_e32 v192, v193
	v_xor_b32_e32 v161, s17, v161
	v_ashrrev_i32_e32 v189, 31, v189
	v_cmp_gt_i32_e64 s22, 0, v193
	v_dual_ashrrev_i32 v191, 31, v191 :: v_dual_ashrrev_i32 v192, 31, v192
	s_delay_alu instid0(VALU_DEP_4) | instskip(SKIP_2) | instid1(VALU_DEP_4)
	v_bitop3_b32 v65, v65, v188, v161 bitop3:0x80
	v_mad_u32_u24 v161, v187, 36, v25
	v_xor_b32_e32 v189, s19, v189
	v_xor_b32_e32 v191, s21, v191
	;; [unrolled: 1-line block ×3, first 2 shown]
	ds_load_b32 v188, v161 offset:544
	v_mul_u32_u24_e32 v161, 36, v187
	v_xor_b32_e32 v190, s20, v190
	; wave barrier
	s_delay_alu instid0(VALU_DEP_2) | instskip(NEXT) | instid1(VALU_DEP_2)
	v_add_nc_u32_e32 v161, v25, v161
	v_bitop3_b32 v65, v65, v190, v189 bitop3:0x80
	s_delay_alu instid0(VALU_DEP_1) | instskip(NEXT) | instid1(VALU_DEP_1)
	v_bitop3_b32 v65, v65, v192, v191 bitop3:0x80
	v_mbcnt_lo_u32_b32 v189, v65, 0
	v_cmp_ne_u32_e64 s17, 0, v65
	s_delay_alu instid0(VALU_DEP_2) | instskip(SKIP_1) | instid1(SALU_CYCLE_1)
	v_cmp_eq_u32_e32 vcc_lo, 0, v189
	s_and_b32 s18, s17, vcc_lo
	s_and_saveexec_b32 s17, s18
	s_cbranch_execz .LBB1348_792
; %bb.791:                              ;   in Loop: Header=BB1348_730 Depth=2
	s_wait_dscnt 0x0
	v_bcnt_u32_b32 v65, v65, v188
	ds_store_b32 v161, v65 offset:544
.LBB1348_792:                           ;   in Loop: Header=BB1348_730 Depth=2
	s_or_b32 exec_lo, exec_lo, s17
	v_cmp_gt_i32_e32 vcc_lo, 0, v157
	; wave barrier
	v_cndmask_b32_e64 v65, 0x7fffffff, 0, vcc_lo
	s_delay_alu instid0(VALU_DEP_1) | instskip(NEXT) | instid1(VALU_DEP_1)
	v_xor_b32_e32 v187, v65, v157
	v_cmp_ne_u32_e32 vcc_lo, 0x80000000, v187
	v_cndmask_b32_e32 v65, 0x7fffffff, v187, vcc_lo
	s_delay_alu instid0(VALU_DEP_1) | instskip(NEXT) | instid1(VALU_DEP_1)
	v_lshrrev_b32_e32 v65, s49, v65
	v_and_b32_e32 v190, s58, v65
	s_delay_alu instid0(VALU_DEP_1) | instskip(SKIP_2) | instid1(VALU_DEP_3)
	v_lshlrev_b32_e32 v193, 28, v190
	v_bitop3_b32 v157, v65, 1, s58 bitop3:0x80
	v_dual_lshlrev_b32 v191, 30, v190 :: v_dual_lshlrev_b32 v192, 29, v190
	v_cmp_gt_i32_e64 s19, 0, v193
	s_delay_alu instid0(VALU_DEP_3) | instskip(NEXT) | instid1(VALU_DEP_1)
	v_add_co_u32 v65, s17, v157, -1
	v_cndmask_b32_e64 v157, 0, 1, s17
	s_delay_alu instid0(VALU_DEP_4) | instskip(SKIP_1) | instid1(VALU_DEP_3)
	v_cmp_gt_i32_e64 s17, 0, v191
	v_cmp_gt_i32_e64 s18, 0, v192
	v_cmp_ne_u32_e32 vcc_lo, 0, v157
	v_not_b32_e32 v157, v191
	v_not_b32_e32 v191, v192
	;; [unrolled: 1-line block ×3, first 2 shown]
	v_bitop3_b32 v65, vcc_lo, exec_lo, v65 bitop3:0x48
	s_delay_alu instid0(VALU_DEP_3) | instskip(SKIP_1) | instid1(VALU_DEP_2)
	v_dual_ashrrev_i32 v157, 31, v157 :: v_dual_ashrrev_i32 v191, 31, v191
	v_dual_lshlrev_b32 v194, 27, v190 :: v_dual_lshlrev_b32 v195, 26, v190
	v_dual_lshlrev_b32 v196, 25, v190 :: v_dual_bitop2_b32 v191, s18, v191 bitop3:0x14
	s_delay_alu instid0(VALU_DEP_2) | instskip(SKIP_1) | instid1(VALU_DEP_4)
	v_not_b32_e32 v193, v194
	v_cmp_gt_i32_e64 s20, 0, v194
	v_cmp_gt_i32_e64 s21, 0, v195
	v_not_b32_e32 v194, v195
	v_not_b32_e32 v195, v196
	v_dual_ashrrev_i32 v192, 31, v192 :: v_dual_ashrrev_i32 v193, 31, v193
	s_delay_alu instid0(VALU_DEP_3) | instskip(SKIP_1) | instid1(VALU_DEP_3)
	v_dual_ashrrev_i32 v194, 31, v194 :: v_dual_bitop2_b32 v157, s17, v157 bitop3:0x14
	v_cmp_gt_i32_e64 s22, 0, v196
	v_dual_ashrrev_i32 v195, 31, v195 :: v_dual_bitop2_b32 v192, s19, v192 bitop3:0x14
	s_delay_alu instid0(VALU_DEP_4) | instskip(NEXT) | instid1(VALU_DEP_4)
	v_xor_b32_e32 v193, s20, v193
	v_bitop3_b32 v65, v65, v191, v157 bitop3:0x80
	v_mad_u32_u24 v157, v190, 36, v25
	v_xor_b32_e32 v194, s21, v194
	v_xor_b32_e32 v195, s22, v195
	s_delay_alu instid0(VALU_DEP_4) | instskip(SKIP_3) | instid1(VALU_DEP_2)
	v_bitop3_b32 v65, v65, v193, v192 bitop3:0x80
	ds_load_b32 v191, v157 offset:544
	v_mul_u32_u24_e32 v157, 36, v190
	; wave barrier
	v_bitop3_b32 v65, v65, v195, v194 bitop3:0x80
	v_add_nc_u32_e32 v157, v25, v157
	s_delay_alu instid0(VALU_DEP_2) | instskip(SKIP_1) | instid1(VALU_DEP_2)
	v_mbcnt_lo_u32_b32 v192, v65, 0
	v_cmp_ne_u32_e64 s17, 0, v65
	v_cmp_eq_u32_e32 vcc_lo, 0, v192
	s_and_b32 s18, s17, vcc_lo
	s_delay_alu instid0(SALU_CYCLE_1)
	s_and_saveexec_b32 s17, s18
	s_cbranch_execz .LBB1348_794
; %bb.793:                              ;   in Loop: Header=BB1348_730 Depth=2
	s_wait_dscnt 0x0
	v_bcnt_u32_b32 v65, v65, v191
	ds_store_b32 v157, v65 offset:544
.LBB1348_794:                           ;   in Loop: Header=BB1348_730 Depth=2
	s_or_b32 exec_lo, exec_lo, s17
	v_cmp_gt_i32_e32 vcc_lo, 0, v152
	; wave barrier
	v_cndmask_b32_e64 v65, 0x7fffffff, 0, vcc_lo
	s_delay_alu instid0(VALU_DEP_1) | instskip(NEXT) | instid1(VALU_DEP_1)
	v_xor_b32_e32 v190, v65, v152
	v_cmp_ne_u32_e32 vcc_lo, 0x80000000, v190
	v_cndmask_b32_e32 v65, 0x7fffffff, v190, vcc_lo
	s_delay_alu instid0(VALU_DEP_1) | instskip(NEXT) | instid1(VALU_DEP_1)
	v_lshrrev_b32_e32 v65, s49, v65
	v_bitop3_b32 v152, v65, 1, s58 bitop3:0x80
	v_and_b32_e32 v193, s58, v65
	s_delay_alu instid0(VALU_DEP_2) | instskip(NEXT) | instid1(VALU_DEP_1)
	v_add_co_u32 v65, s17, v152, -1
	v_cndmask_b32_e64 v152, 0, 1, s17
	s_delay_alu instid0(VALU_DEP_3) | instskip(NEXT) | instid1(VALU_DEP_2)
	v_lshlrev_b32_e32 v194, 30, v193
	v_cmp_ne_u32_e32 vcc_lo, 0, v152
	s_delay_alu instid0(VALU_DEP_2) | instskip(SKIP_2) | instid1(VALU_DEP_3)
	v_not_b32_e32 v152, v194
	v_cmp_gt_i32_e64 s17, 0, v194
	v_bitop3_b32 v65, vcc_lo, exec_lo, v65 bitop3:0x48
	v_dual_ashrrev_i32 v152, 31, v152 :: v_dual_lshlrev_b32 v195, 29, v193
	v_dual_lshlrev_b32 v196, 28, v193 :: v_dual_lshlrev_b32 v197, 27, v193
	v_lshlrev_b32_e32 v198, 26, v193
	s_delay_alu instid0(VALU_DEP_3)
	v_not_b32_e32 v194, v195
	v_lshlrev_b32_e32 v199, 25, v193
	v_cmp_gt_i32_e64 s18, 0, v195
	v_cmp_gt_i32_e64 s19, 0, v196
	v_not_b32_e32 v195, v196
	v_not_b32_e32 v196, v197
	v_ashrrev_i32_e32 v194, 31, v194
	v_cmp_gt_i32_e64 s20, 0, v197
	v_cmp_gt_i32_e64 s21, 0, v198
	v_not_b32_e32 v197, v198
	v_not_b32_e32 v198, v199
	v_dual_ashrrev_i32 v195, 31, v195 :: v_dual_ashrrev_i32 v196, 31, v196
	s_delay_alu instid0(VALU_DEP_3) | instskip(SKIP_2) | instid1(VALU_DEP_4)
	v_dual_ashrrev_i32 v197, 31, v197 :: v_dual_bitop2_b32 v152, s17, v152 bitop3:0x14
	v_xor_b32_e32 v194, s18, v194
	v_cmp_gt_i32_e64 s22, 0, v199
	v_dual_ashrrev_i32 v198, 31, v198 :: v_dual_bitop2_b32 v195, s19, v195 bitop3:0x14
	v_xor_b32_e32 v196, s20, v196
	s_delay_alu instid0(VALU_DEP_4) | instskip(SKIP_3) | instid1(VALU_DEP_4)
	v_bitop3_b32 v65, v65, v194, v152 bitop3:0x80
	v_mad_u32_u24 v152, v193, 36, v25
	v_xor_b32_e32 v197, s21, v197
	v_xor_b32_e32 v198, s22, v198
	v_bitop3_b32 v65, v65, v196, v195 bitop3:0x80
	ds_load_b32 v194, v152 offset:544
	v_mul_u32_u24_e32 v152, 36, v193
	; wave barrier
	v_bitop3_b32 v65, v65, v198, v197 bitop3:0x80
	s_delay_alu instid0(VALU_DEP_2) | instskip(NEXT) | instid1(VALU_DEP_2)
	v_add_nc_u32_e32 v152, v25, v152
	v_mbcnt_lo_u32_b32 v195, v65, 0
	v_cmp_ne_u32_e64 s17, 0, v65
	s_delay_alu instid0(VALU_DEP_2) | instskip(SKIP_1) | instid1(SALU_CYCLE_1)
	v_cmp_eq_u32_e32 vcc_lo, 0, v195
	s_and_b32 s18, s17, vcc_lo
	s_and_saveexec_b32 s17, s18
	s_cbranch_execz .LBB1348_796
; %bb.795:                              ;   in Loop: Header=BB1348_730 Depth=2
	s_wait_dscnt 0x0
	v_bcnt_u32_b32 v65, v65, v194
	ds_store_b32 v152, v65 offset:544
.LBB1348_796:                           ;   in Loop: Header=BB1348_730 Depth=2
	s_or_b32 exec_lo, exec_lo, s17
	v_cmp_gt_i32_e32 vcc_lo, 0, v67
	; wave barrier
	v_cndmask_b32_e64 v65, 0x7fffffff, 0, vcc_lo
	s_delay_alu instid0(VALU_DEP_1) | instskip(NEXT) | instid1(VALU_DEP_1)
	v_xor_b32_e32 v193, v65, v67
	v_cmp_ne_u32_e32 vcc_lo, 0x80000000, v193
	v_cndmask_b32_e32 v65, 0x7fffffff, v193, vcc_lo
	s_delay_alu instid0(VALU_DEP_1) | instskip(NEXT) | instid1(VALU_DEP_1)
	v_lshrrev_b32_e32 v65, s49, v65
	v_bitop3_b32 v67, v65, 1, s58 bitop3:0x80
	v_and_b32_e32 v196, s58, v65
	s_delay_alu instid0(VALU_DEP_2) | instskip(NEXT) | instid1(VALU_DEP_1)
	v_add_co_u32 v65, s17, v67, -1
	v_cndmask_b32_e64 v67, 0, 1, s17
	s_delay_alu instid0(VALU_DEP_3) | instskip(NEXT) | instid1(VALU_DEP_2)
	v_lshlrev_b32_e32 v197, 30, v196
	v_cmp_ne_u32_e32 vcc_lo, 0, v67
	s_delay_alu instid0(VALU_DEP_2) | instskip(SKIP_1) | instid1(VALU_DEP_2)
	v_not_b32_e32 v67, v197
	v_bitop3_b32 v65, vcc_lo, exec_lo, v65 bitop3:0x48
	v_dual_ashrrev_i32 v67, 31, v67 :: v_dual_lshlrev_b32 v198, 29, v196
	v_dual_lshlrev_b32 v199, 28, v196 :: v_dual_lshlrev_b32 v200, 27, v196
	v_lshlrev_b32_e32 v201, 26, v196
	v_cmp_gt_i32_e64 s17, 0, v197
	s_delay_alu instid0(VALU_DEP_4)
	v_not_b32_e32 v197, v198
	v_lshlrev_b32_e32 v202, 25, v196
	v_cmp_gt_i32_e64 s18, 0, v198
	v_cmp_gt_i32_e64 s19, 0, v199
	v_not_b32_e32 v198, v199
	v_not_b32_e32 v199, v200
	v_ashrrev_i32_e32 v197, 31, v197
	v_cmp_gt_i32_e64 s20, 0, v200
	v_cmp_gt_i32_e64 s21, 0, v201
	v_not_b32_e32 v200, v201
	v_not_b32_e32 v201, v202
	v_dual_ashrrev_i32 v198, 31, v198 :: v_dual_ashrrev_i32 v199, 31, v199
	s_delay_alu instid0(VALU_DEP_3) | instskip(SKIP_2) | instid1(VALU_DEP_4)
	v_dual_ashrrev_i32 v200, 31, v200 :: v_dual_bitop2_b32 v67, s17, v67 bitop3:0x14
	v_xor_b32_e32 v197, s18, v197
	v_cmp_gt_i32_e64 s22, 0, v202
	v_dual_ashrrev_i32 v201, 31, v201 :: v_dual_bitop2_b32 v198, s19, v198 bitop3:0x14
	v_xor_b32_e32 v199, s20, v199
	s_delay_alu instid0(VALU_DEP_4) | instskip(SKIP_3) | instid1(VALU_DEP_4)
	v_bitop3_b32 v65, v65, v197, v67 bitop3:0x80
	v_mad_u32_u24 v67, v196, 36, v25
	v_xor_b32_e32 v200, s21, v200
	v_xor_b32_e32 v201, s22, v201
	v_bitop3_b32 v65, v65, v199, v198 bitop3:0x80
	ds_load_b32 v197, v67 offset:544
	v_mul_u32_u24_e32 v67, 36, v196
	; wave barrier
	v_bitop3_b32 v65, v65, v201, v200 bitop3:0x80
	s_delay_alu instid0(VALU_DEP_2) | instskip(NEXT) | instid1(VALU_DEP_2)
	v_add_nc_u32_e32 v199, v25, v67
	v_mbcnt_lo_u32_b32 v198, v65, 0
	v_cmp_ne_u32_e64 s17, 0, v65
	s_delay_alu instid0(VALU_DEP_2) | instskip(SKIP_1) | instid1(SALU_CYCLE_1)
	v_cmp_eq_u32_e32 vcc_lo, 0, v198
	s_and_b32 s18, s17, vcc_lo
	s_and_saveexec_b32 s17, s18
	s_cbranch_execz .LBB1348_798
; %bb.797:                              ;   in Loop: Header=BB1348_730 Depth=2
	s_wait_dscnt 0x0
	v_bcnt_u32_b32 v65, v65, v197
	ds_store_b32 v199, v65 offset:544
.LBB1348_798:                           ;   in Loop: Header=BB1348_730 Depth=2
	s_or_b32 exec_lo, exec_lo, s17
	v_cmp_gt_i32_e32 vcc_lo, 0, v66
	; wave barrier
	v_cndmask_b32_e64 v65, 0x7fffffff, 0, vcc_lo
	s_delay_alu instid0(VALU_DEP_1) | instskip(NEXT) | instid1(VALU_DEP_1)
	v_xor_b32_e32 v196, v65, v66
	v_cmp_ne_u32_e32 vcc_lo, 0x80000000, v196
	v_cndmask_b32_e32 v65, 0x7fffffff, v196, vcc_lo
	s_delay_alu instid0(VALU_DEP_1) | instskip(NEXT) | instid1(VALU_DEP_1)
	v_lshrrev_b32_e32 v65, s49, v65
	v_bitop3_b32 v66, v65, 1, s58 bitop3:0x80
	v_and_b32_e32 v67, s58, v65
	s_delay_alu instid0(VALU_DEP_2) | instskip(NEXT) | instid1(VALU_DEP_1)
	v_add_co_u32 v65, s17, v66, -1
	v_cndmask_b32_e64 v66, 0, 1, s17
	s_delay_alu instid0(VALU_DEP_3) | instskip(NEXT) | instid1(VALU_DEP_2)
	v_lshlrev_b32_e32 v200, 30, v67
	v_cmp_ne_u32_e32 vcc_lo, 0, v66
	s_delay_alu instid0(VALU_DEP_2) | instskip(SKIP_2) | instid1(VALU_DEP_3)
	v_not_b32_e32 v66, v200
	v_cmp_gt_i32_e64 s17, 0, v200
	v_bitop3_b32 v65, vcc_lo, exec_lo, v65 bitop3:0x48
	v_dual_ashrrev_i32 v66, 31, v66 :: v_dual_lshlrev_b32 v201, 29, v67
	v_dual_lshlrev_b32 v202, 28, v67 :: v_dual_lshlrev_b32 v203, 27, v67
	v_lshlrev_b32_e32 v204, 26, v67
	s_delay_alu instid0(VALU_DEP_3)
	v_not_b32_e32 v200, v201
	v_lshlrev_b32_e32 v205, 25, v67
	v_cmp_gt_i32_e64 s18, 0, v201
	v_cmp_gt_i32_e64 s19, 0, v202
	v_not_b32_e32 v201, v202
	v_not_b32_e32 v202, v203
	v_ashrrev_i32_e32 v200, 31, v200
	v_cmp_gt_i32_e64 s20, 0, v203
	v_cmp_gt_i32_e64 s21, 0, v204
	v_not_b32_e32 v203, v204
	v_not_b32_e32 v204, v205
	v_dual_ashrrev_i32 v201, 31, v201 :: v_dual_ashrrev_i32 v202, 31, v202
	s_delay_alu instid0(VALU_DEP_3) | instskip(SKIP_2) | instid1(VALU_DEP_4)
	v_dual_ashrrev_i32 v203, 31, v203 :: v_dual_bitop2_b32 v66, s17, v66 bitop3:0x14
	v_xor_b32_e32 v200, s18, v200
	v_cmp_gt_i32_e64 s22, 0, v205
	v_dual_ashrrev_i32 v204, 31, v204 :: v_dual_bitop2_b32 v201, s19, v201 bitop3:0x14
	v_xor_b32_e32 v202, s20, v202
	s_delay_alu instid0(VALU_DEP_4) | instskip(SKIP_3) | instid1(VALU_DEP_4)
	v_bitop3_b32 v65, v65, v200, v66 bitop3:0x80
	v_mad_u32_u24 v66, v67, 36, v25
	v_xor_b32_e32 v200, s21, v203
	v_xor_b32_e32 v203, s22, v204
	v_bitop3_b32 v65, v65, v202, v201 bitop3:0x80
	ds_load_b32 v201, v66 offset:544
	v_mul_u32_u24_e32 v66, 36, v67
	; wave barrier
	v_bitop3_b32 v65, v65, v203, v200 bitop3:0x80
	s_delay_alu instid0(VALU_DEP_2) | instskip(NEXT) | instid1(VALU_DEP_2)
	v_add_nc_u32_e32 v203, v25, v66
	v_mbcnt_lo_u32_b32 v202, v65, 0
	v_cmp_ne_u32_e64 s17, 0, v65
	s_delay_alu instid0(VALU_DEP_2) | instskip(SKIP_1) | instid1(SALU_CYCLE_1)
	v_cmp_eq_u32_e32 vcc_lo, 0, v202
	s_and_b32 s18, s17, vcc_lo
	s_and_saveexec_b32 s17, s18
	s_cbranch_execz .LBB1348_800
; %bb.799:                              ;   in Loop: Header=BB1348_730 Depth=2
	s_wait_dscnt 0x0
	v_bcnt_u32_b32 v65, v65, v201
	ds_store_b32 v203, v65 offset:544
.LBB1348_800:                           ;   in Loop: Header=BB1348_730 Depth=2
	s_or_b32 exec_lo, exec_lo, s17
	v_cmp_gt_i32_e32 vcc_lo, 0, v64
	; wave barrier
	v_cndmask_b32_e64 v65, 0x7fffffff, 0, vcc_lo
	s_delay_alu instid0(VALU_DEP_1) | instskip(NEXT) | instid1(VALU_DEP_1)
	v_xor_b32_e32 v200, v65, v64
	v_cmp_ne_u32_e32 vcc_lo, 0x80000000, v200
	v_cndmask_b32_e32 v64, 0x7fffffff, v200, vcc_lo
	s_delay_alu instid0(VALU_DEP_1) | instskip(NEXT) | instid1(VALU_DEP_1)
	v_lshrrev_b32_e32 v64, s49, v64
	v_bitop3_b32 v65, v64, 1, s58 bitop3:0x80
	v_and_b32_e32 v66, s58, v64
	s_delay_alu instid0(VALU_DEP_2) | instskip(NEXT) | instid1(VALU_DEP_1)
	v_add_co_u32 v64, s17, v65, -1
	v_cndmask_b32_e64 v65, 0, 1, s17
	s_delay_alu instid0(VALU_DEP_3) | instskip(NEXT) | instid1(VALU_DEP_2)
	v_lshlrev_b32_e32 v67, 30, v66
	v_cmp_ne_u32_e32 vcc_lo, 0, v65
	s_delay_alu instid0(VALU_DEP_2) | instskip(SKIP_2) | instid1(VALU_DEP_3)
	v_not_b32_e32 v65, v67
	v_cmp_gt_i32_e64 s17, 0, v67
	v_bitop3_b32 v64, vcc_lo, exec_lo, v64 bitop3:0x48
	v_dual_ashrrev_i32 v65, 31, v65 :: v_dual_lshlrev_b32 v204, 29, v66
	v_dual_lshlrev_b32 v205, 28, v66 :: v_dual_lshlrev_b32 v206, 27, v66
	v_lshlrev_b32_e32 v207, 26, v66
	s_delay_alu instid0(VALU_DEP_3)
	v_not_b32_e32 v67, v204
	v_lshlrev_b32_e32 v208, 25, v66
	v_cmp_gt_i32_e64 s18, 0, v204
	v_cmp_gt_i32_e64 s19, 0, v205
	v_not_b32_e32 v204, v205
	v_not_b32_e32 v205, v206
	v_ashrrev_i32_e32 v67, 31, v67
	v_cmp_gt_i32_e64 s20, 0, v206
	v_cmp_gt_i32_e64 s21, 0, v207
	v_not_b32_e32 v206, v207
	v_not_b32_e32 v207, v208
	v_dual_ashrrev_i32 v204, 31, v204 :: v_dual_ashrrev_i32 v205, 31, v205
	s_delay_alu instid0(VALU_DEP_3) | instskip(SKIP_2) | instid1(VALU_DEP_4)
	v_dual_ashrrev_i32 v206, 31, v206 :: v_dual_bitop2_b32 v65, s17, v65 bitop3:0x14
	v_xor_b32_e32 v67, s18, v67
	v_cmp_gt_i32_e64 s22, 0, v208
	v_dual_ashrrev_i32 v207, 31, v207 :: v_dual_bitop2_b32 v204, s19, v204 bitop3:0x14
	v_xor_b32_e32 v205, s20, v205
	s_delay_alu instid0(VALU_DEP_4) | instskip(SKIP_3) | instid1(VALU_DEP_4)
	v_bitop3_b32 v64, v64, v67, v65 bitop3:0x80
	v_mad_u32_u24 v65, v66, 36, v25
	v_xor_b32_e32 v67, s21, v206
	v_xor_b32_e32 v206, s22, v207
	v_bitop3_b32 v64, v64, v205, v204 bitop3:0x80
	ds_load_b32 v204, v65 offset:544
	v_mul_u32_u24_e32 v65, 36, v66
	; wave barrier
	v_bitop3_b32 v64, v64, v206, v67 bitop3:0x80
	s_delay_alu instid0(VALU_DEP_2) | instskip(NEXT) | instid1(VALU_DEP_2)
	v_add_nc_u32_e32 v206, v25, v65
	v_mbcnt_lo_u32_b32 v205, v64, 0
	v_cmp_ne_u32_e64 s17, 0, v64
	s_delay_alu instid0(VALU_DEP_2) | instskip(SKIP_1) | instid1(SALU_CYCLE_1)
	v_cmp_eq_u32_e32 vcc_lo, 0, v205
	s_and_b32 s18, s17, vcc_lo
	s_and_saveexec_b32 s17, s18
	s_cbranch_execz .LBB1348_802
; %bb.801:                              ;   in Loop: Header=BB1348_730 Depth=2
	s_wait_dscnt 0x0
	v_bcnt_u32_b32 v64, v64, v204
	ds_store_b32 v206, v64 offset:544
.LBB1348_802:                           ;   in Loop: Header=BB1348_730 Depth=2
	s_or_b32 exec_lo, exec_lo, s17
	; wave barrier
	s_wait_dscnt 0x0
	s_barrier_signal -1
	s_barrier_wait -1
	ds_load_2addr_b32 v[66:67], v90 offset0:136 offset1:137
	ds_load_2addr_b32 v[64:65], v90 offset0:138 offset1:139
	ds_load_b32 v207, v90 offset:560
	s_wait_dscnt 0x1
	v_add3_u32 v208, v67, v66, v64
	s_wait_dscnt 0x0
	s_delay_alu instid0(VALU_DEP_1) | instskip(NEXT) | instid1(VALU_DEP_1)
	v_add3_u32 v207, v208, v65, v207
	v_mov_b32_dpp v208, v207 row_shr:1 row_mask:0xf bank_mask:0xf
	s_delay_alu instid0(VALU_DEP_1) | instskip(NEXT) | instid1(VALU_DEP_1)
	v_cndmask_b32_e64 v208, v208, 0, s9
	v_add_nc_u32_e32 v207, v208, v207
	s_delay_alu instid0(VALU_DEP_1) | instskip(NEXT) | instid1(VALU_DEP_1)
	v_mov_b32_dpp v208, v207 row_shr:2 row_mask:0xf bank_mask:0xf
	v_cndmask_b32_e64 v208, 0, v208, s10
	s_delay_alu instid0(VALU_DEP_1) | instskip(NEXT) | instid1(VALU_DEP_1)
	v_add_nc_u32_e32 v207, v207, v208
	v_mov_b32_dpp v208, v207 row_shr:4 row_mask:0xf bank_mask:0xf
	s_delay_alu instid0(VALU_DEP_1) | instskip(NEXT) | instid1(VALU_DEP_1)
	v_cndmask_b32_e64 v208, 0, v208, s11
	v_add_nc_u32_e32 v207, v207, v208
	s_delay_alu instid0(VALU_DEP_1) | instskip(NEXT) | instid1(VALU_DEP_1)
	v_mov_b32_dpp v208, v207 row_shr:8 row_mask:0xf bank_mask:0xf
	v_cndmask_b32_e64 v208, 0, v208, s12
	s_delay_alu instid0(VALU_DEP_1) | instskip(SKIP_3) | instid1(VALU_DEP_1)
	v_add_nc_u32_e32 v207, v207, v208
	ds_swizzle_b32 v208, v207 offset:swizzle(BROADCAST,32,15)
	s_wait_dscnt 0x0
	v_cndmask_b32_e64 v208, v208, 0, s13
	v_add_nc_u32_e32 v207, v207, v208
	s_and_saveexec_b32 s17, s2
; %bb.803:                              ;   in Loop: Header=BB1348_730 Depth=2
	ds_store_b32 v83, v207 offset:512
; %bb.804:                              ;   in Loop: Header=BB1348_730 Depth=2
	s_or_b32 exec_lo, exec_lo, s17
	s_wait_dscnt 0x0
	s_barrier_signal -1
	s_barrier_wait -1
	s_and_saveexec_b32 s17, s3
	s_cbranch_execz .LBB1348_806
; %bb.805:                              ;   in Loop: Header=BB1348_730 Depth=2
	ds_load_b32 v208, v92 offset:512
	s_wait_dscnt 0x0
	v_mov_b32_dpp v209, v208 row_shr:1 row_mask:0xf bank_mask:0xf
	s_delay_alu instid0(VALU_DEP_1) | instskip(NEXT) | instid1(VALU_DEP_1)
	v_cndmask_b32_e64 v209, v209, 0, s14
	v_add_nc_u32_e32 v208, v209, v208
	s_delay_alu instid0(VALU_DEP_1) | instskip(NEXT) | instid1(VALU_DEP_1)
	v_mov_b32_dpp v209, v208 row_shr:2 row_mask:0xf bank_mask:0xf
	v_cndmask_b32_e64 v209, 0, v209, s15
	s_delay_alu instid0(VALU_DEP_1) | instskip(NEXT) | instid1(VALU_DEP_1)
	v_add_nc_u32_e32 v208, v208, v209
	v_mov_b32_dpp v209, v208 row_shr:4 row_mask:0xf bank_mask:0xf
	s_delay_alu instid0(VALU_DEP_1) | instskip(NEXT) | instid1(VALU_DEP_1)
	v_cndmask_b32_e64 v209, 0, v209, s16
	v_add_nc_u32_e32 v208, v208, v209
	ds_store_b32 v92, v208 offset:512
.LBB1348_806:                           ;   in Loop: Header=BB1348_730 Depth=2
	s_or_b32 exec_lo, exec_lo, s17
	v_mov_b32_e32 v208, 0
	s_wait_dscnt 0x0
	s_barrier_signal -1
	s_barrier_wait -1
	s_and_saveexec_b32 s17, s5
; %bb.807:                              ;   in Loop: Header=BB1348_730 Depth=2
	ds_load_b32 v208, v83 offset:508
; %bb.808:                              ;   in Loop: Header=BB1348_730 Depth=2
	s_or_b32 exec_lo, exec_lo, s17
	s_wait_dscnt 0x0
	v_add_nc_u32_e32 v207, v208, v207
	ds_bpermute_b32 v207, v119, v207
	s_wait_dscnt 0x0
	v_cndmask_b32_e64 v207, v207, v208, s8
	s_delay_alu instid0(VALU_DEP_1) | instskip(NEXT) | instid1(VALU_DEP_1)
	v_cndmask_b32_e64 v207, v207, 0, s6
	v_add_nc_u32_e32 v66, v207, v66
	s_delay_alu instid0(VALU_DEP_1) | instskip(NEXT) | instid1(VALU_DEP_1)
	v_add_nc_u32_e32 v67, v66, v67
	v_add_nc_u32_e32 v64, v67, v64
	s_delay_alu instid0(VALU_DEP_1)
	v_add_nc_u32_e32 v65, v64, v65
	ds_store_2addr_b32 v90, v207, v66 offset0:136 offset1:137
	ds_store_2addr_b32 v90, v67, v64 offset0:138 offset1:139
	ds_store_b32 v90, v65 offset:560
	s_wait_dscnt 0x0
	s_barrier_signal -1
	s_barrier_wait -1
	ds_load_b32 v66, v143 offset:544
	ds_load_b32 v67, v147 offset:544
	;; [unrolled: 1-line block ×17, first 2 shown]
	s_and_saveexec_b32 s17, s0
	s_cbranch_execz .LBB1348_812
; %bb.809:                              ;   in Loop: Header=BB1348_730 Depth=2
	ds_load_b32 v133, v94 offset:544
	v_mov_b32_e32 v138, 0x1100
	s_and_saveexec_b32 s18, s7
; %bb.810:                              ;   in Loop: Header=BB1348_730 Depth=2
	ds_load_b32 v138, v93 offset:544
; %bb.811:                              ;   in Loop: Header=BB1348_730 Depth=2
	s_or_b32 exec_lo, exec_lo, s18
	s_wait_dscnt 0x0
	v_sub_nc_u32_e32 v138, v138, v133
.LBB1348_812:                           ;   in Loop: Header=BB1348_730 Depth=2
	s_or_b32 exec_lo, exec_lo, s17
	s_wait_dscnt 0x0
	s_barrier_signal -1
	s_barrier_wait -1
	s_and_saveexec_b32 s17, s0
	s_cbranch_execz .LBB1348_814
; %bb.813:                              ;   in Loop: Header=BB1348_730 Depth=2
	ds_load_b32 v152, v4
	s_wait_dscnt 0x0
	v_sub_nc_u32_e32 v152, v152, v133
	ds_store_b32 v4, v152
.LBB1348_814:                           ;   in Loop: Header=BB1348_730 Depth=2
	s_or_b32 exec_lo, exec_lo, s17
	v_add3_u32 v156, v155, v154, v147
	v_add_nc_u32_e32 v162, v66, v141
	v_add3_u32 v161, v146, v145, v67
	v_add3_u32 v157, v150, v149, v143
	;; [unrolled: 1-line block ×4, first 2 shown]
	v_dual_lshlrev_b32 v65, 2, v156 :: v_dual_lshlrev_b32 v159, 2, v162
	v_lshlrev_b32_e32 v160, 2, v161
	v_add3_u32 v154, v165, v164, v207
	v_add3_u32 v152, v170, v169, v172
	;; [unrolled: 1-line block ×4, first 2 shown]
	v_lshlrev_b32_e32 v64, 2, v157
	v_add3_u32 v150, v178, v177, v179
	v_add3_u32 v149, v181, v180, v182
	ds_store_b32 v159, v140 offset:512
	ds_store_b32 v160, v142 offset:512
	v_lshlrev_b32_e32 v140, 2, v155
	v_add3_u32 v147, v185, v184, v186
	v_dual_lshlrev_b32 v142, 2, v154 :: v_dual_lshlrev_b32 v159, 2, v152
	v_add3_u32 v146, v189, v188, v208
	v_add3_u32 v67, v192, v191, v209
	ds_store_b32 v64, v144 offset:512
	ds_store_b32 v65, v148 offset:512
	;; [unrolled: 1-line block ×5, first 2 shown]
	v_dual_lshlrev_b32 v64, 2, v151 :: v_dual_lshlrev_b32 v65, 2, v150
	v_add3_u32 v66, v195, v194, v210
	v_dual_lshlrev_b32 v140, 2, v149 :: v_dual_lshlrev_b32 v142, 2, v147
	v_add3_u32 v141, v205, v204, v167
	v_lshlrev_b32_e32 v144, 2, v146
	ds_store_b32 v64, v168 offset:512
	ds_store_b32 v65, v173 offset:512
	;; [unrolled: 1-line block ×5, first 2 shown]
	v_lshlrev_b32_e32 v64, 2, v67
	v_cmp_lt_u32_e32 vcc_lo, v2, v139
	v_dual_lshlrev_b32 v65, 2, v66 :: v_dual_lshlrev_b32 v140, 2, v145
	v_dual_lshlrev_b32 v142, 2, v143 :: v_dual_lshlrev_b32 v144, 2, v141
	ds_store_b32 v64, v187 offset:512
	ds_store_b32 v65, v190 offset:512
	;; [unrolled: 1-line block ×5, first 2 shown]
	s_wait_dscnt 0x0
	s_barrier_signal -1
	s_barrier_wait -1
	s_and_saveexec_b32 s18, vcc_lo
	s_cbranch_execnz .LBB1348_887
; %bb.815:                              ;   in Loop: Header=BB1348_730 Depth=2
	s_or_b32 exec_lo, exec_lo, s18
	v_cmp_lt_u32_e64 s17, v3, v139
	s_and_saveexec_b32 s19, s17
	s_cbranch_execnz .LBB1348_888
.LBB1348_816:                           ;   in Loop: Header=BB1348_730 Depth=2
	s_or_b32 exec_lo, exec_lo, s19
	v_cmp_lt_u32_e64 s18, v68, v139
	s_and_saveexec_b32 s20, s18
	s_cbranch_execnz .LBB1348_889
.LBB1348_817:                           ;   in Loop: Header=BB1348_730 Depth=2
	s_or_b32 exec_lo, exec_lo, s20
	v_cmp_lt_u32_e64 s19, v69, v139
	s_and_saveexec_b32 s21, s19
	s_cbranch_execnz .LBB1348_890
.LBB1348_818:                           ;   in Loop: Header=BB1348_730 Depth=2
	s_or_b32 exec_lo, exec_lo, s21
	v_cmp_lt_u32_e64 s20, v70, v139
	s_and_saveexec_b32 s22, s20
	s_cbranch_execnz .LBB1348_891
.LBB1348_819:                           ;   in Loop: Header=BB1348_730 Depth=2
	s_or_b32 exec_lo, exec_lo, s22
	v_cmp_lt_u32_e64 s21, v71, v139
	s_and_saveexec_b32 s23, s21
	s_cbranch_execnz .LBB1348_892
.LBB1348_820:                           ;   in Loop: Header=BB1348_730 Depth=2
	s_or_b32 exec_lo, exec_lo, s23
	v_cmp_lt_u32_e64 s22, v72, v139
	s_and_saveexec_b32 s24, s22
	s_cbranch_execnz .LBB1348_893
.LBB1348_821:                           ;   in Loop: Header=BB1348_730 Depth=2
	s_or_b32 exec_lo, exec_lo, s24
	v_cmp_lt_u32_e64 s23, v73, v139
	s_and_saveexec_b32 s25, s23
	s_cbranch_execnz .LBB1348_894
.LBB1348_822:                           ;   in Loop: Header=BB1348_730 Depth=2
	s_or_b32 exec_lo, exec_lo, s25
	v_cmp_lt_u32_e64 s24, v74, v139
	s_and_saveexec_b32 s26, s24
	s_cbranch_execnz .LBB1348_895
.LBB1348_823:                           ;   in Loop: Header=BB1348_730 Depth=2
	s_or_b32 exec_lo, exec_lo, s26
	v_cmp_lt_u32_e64 s25, v75, v139
	s_and_saveexec_b32 s27, s25
	s_cbranch_execnz .LBB1348_896
.LBB1348_824:                           ;   in Loop: Header=BB1348_730 Depth=2
	s_or_b32 exec_lo, exec_lo, s27
	v_cmp_lt_u32_e64 s26, v76, v139
	s_and_saveexec_b32 s28, s26
	s_cbranch_execnz .LBB1348_897
.LBB1348_825:                           ;   in Loop: Header=BB1348_730 Depth=2
	s_or_b32 exec_lo, exec_lo, s28
	v_cmp_lt_u32_e64 s27, v77, v139
	s_and_saveexec_b32 s29, s27
	s_cbranch_execnz .LBB1348_898
.LBB1348_826:                           ;   in Loop: Header=BB1348_730 Depth=2
	s_or_b32 exec_lo, exec_lo, s29
	v_cmp_lt_u32_e64 s28, v78, v139
	s_and_saveexec_b32 s30, s28
	s_cbranch_execnz .LBB1348_899
.LBB1348_827:                           ;   in Loop: Header=BB1348_730 Depth=2
	s_or_b32 exec_lo, exec_lo, s30
	v_cmp_lt_u32_e64 s29, v79, v139
	s_and_saveexec_b32 s31, s29
	s_cbranch_execnz .LBB1348_900
.LBB1348_828:                           ;   in Loop: Header=BB1348_730 Depth=2
	s_or_b32 exec_lo, exec_lo, s31
	v_cmp_lt_u32_e64 s30, v80, v139
	s_and_saveexec_b32 s33, s30
	s_cbranch_execnz .LBB1348_901
.LBB1348_829:                           ;   in Loop: Header=BB1348_730 Depth=2
	s_or_b32 exec_lo, exec_lo, s33
	v_cmp_lt_u32_e64 s31, v81, v139
	s_and_saveexec_b32 s34, s31
	s_cbranch_execnz .LBB1348_902
.LBB1348_830:                           ;   in Loop: Header=BB1348_730 Depth=2
	s_or_b32 exec_lo, exec_lo, s34
	v_cmp_lt_u32_e64 s33, v82, v139
	s_and_saveexec_b32 s61, s33
	s_cbranch_execz .LBB1348_832
.LBB1348_831:                           ;   in Loop: Header=BB1348_730 Depth=2
	ds_load_b32 v64, v92 offset:16896
	s_wait_dscnt 0x0
	v_cmp_ne_u32_e64 s34, 0x80000000, v64
	s_delay_alu instid0(VALU_DEP_1) | instskip(SKIP_1) | instid1(VALU_DEP_1)
	v_cndmask_b32_e64 v65, 0x7fffffff, v64, s34
	v_cmp_gt_i32_e64 s34, 0, v64
	v_cndmask_b32_e64 v140, 0x7fffffff, 0, s34
	s_delay_alu instid0(VALU_DEP_1) | instskip(NEXT) | instid1(VALU_DEP_1)
	v_dual_lshrrev_b32 v65, s49, v65 :: v_dual_bitop2_b32 v64, v140, v64 bitop3:0x14
	v_and_b32_e32 v65, s58, v65
	s_delay_alu instid0(VALU_DEP_1)
	v_lshlrev_b32_e32 v65, 2, v65
	ds_load_b32 v65, v65
	s_wait_dscnt 0x0
	v_add_nc_u32_e32 v65, v65, v82
	global_store_b32 v65, v64, s[38:39] scale_offset
.LBB1348_832:                           ;   in Loop: Header=BB1348_730 Depth=2
	s_wait_xcnt 0x0
	s_or_b32 exec_lo, exec_lo, s61
	v_lshl_add_u64 v[64:65], s[42:43], 3, v[26:27]
	v_cmp_lt_u32_e64 s34, v101, v139
	s_and_saveexec_b32 s42, s34
	s_delay_alu instid0(SALU_CYCLE_1)
	s_xor_b32 s34, exec_lo, s42
	s_cbranch_execnz .LBB1348_903
; %bb.833:                              ;   in Loop: Header=BB1348_730 Depth=2
	s_or_b32 exec_lo, exec_lo, s34
	s_delay_alu instid0(SALU_CYCLE_1)
	s_mov_b32 s42, exec_lo
	v_cmpx_lt_u32_e64 v104, v139
	s_cbranch_execnz .LBB1348_904
.LBB1348_834:                           ;   in Loop: Header=BB1348_730 Depth=2
	s_or_b32 exec_lo, exec_lo, s42
	s_delay_alu instid0(SALU_CYCLE_1)
	s_mov_b32 s42, exec_lo
	v_cmpx_lt_u32_e64 v105, v139
	s_cbranch_execnz .LBB1348_905
.LBB1348_835:                           ;   in Loop: Header=BB1348_730 Depth=2
	s_or_b32 exec_lo, exec_lo, s42
	s_delay_alu instid0(SALU_CYCLE_1)
	s_mov_b32 s42, exec_lo
	v_cmpx_lt_u32_e64 v106, v139
	s_cbranch_execnz .LBB1348_906
.LBB1348_836:                           ;   in Loop: Header=BB1348_730 Depth=2
	s_or_b32 exec_lo, exec_lo, s42
	s_delay_alu instid0(SALU_CYCLE_1)
	s_mov_b32 s42, exec_lo
	v_cmpx_lt_u32_e64 v107, v139
	s_cbranch_execnz .LBB1348_907
.LBB1348_837:                           ;   in Loop: Header=BB1348_730 Depth=2
	s_or_b32 exec_lo, exec_lo, s42
	s_delay_alu instid0(SALU_CYCLE_1)
	s_mov_b32 s42, exec_lo
	v_cmpx_lt_u32_e64 v108, v139
	s_cbranch_execnz .LBB1348_908
.LBB1348_838:                           ;   in Loop: Header=BB1348_730 Depth=2
	s_or_b32 exec_lo, exec_lo, s42
	s_delay_alu instid0(SALU_CYCLE_1)
	s_mov_b32 s42, exec_lo
	v_cmpx_lt_u32_e64 v109, v139
	s_cbranch_execnz .LBB1348_909
.LBB1348_839:                           ;   in Loop: Header=BB1348_730 Depth=2
	s_or_b32 exec_lo, exec_lo, s42
	s_delay_alu instid0(SALU_CYCLE_1)
	s_mov_b32 s42, exec_lo
	v_cmpx_lt_u32_e64 v110, v139
	s_cbranch_execnz .LBB1348_910
.LBB1348_840:                           ;   in Loop: Header=BB1348_730 Depth=2
	s_or_b32 exec_lo, exec_lo, s42
	s_delay_alu instid0(SALU_CYCLE_1)
	s_mov_b32 s42, exec_lo
	v_cmpx_lt_u32_e64 v111, v139
	s_cbranch_execnz .LBB1348_911
.LBB1348_841:                           ;   in Loop: Header=BB1348_730 Depth=2
	s_or_b32 exec_lo, exec_lo, s42
	s_delay_alu instid0(SALU_CYCLE_1)
	s_mov_b32 s42, exec_lo
	v_cmpx_lt_u32_e64 v112, v139
	s_cbranch_execnz .LBB1348_912
.LBB1348_842:                           ;   in Loop: Header=BB1348_730 Depth=2
	s_or_b32 exec_lo, exec_lo, s42
	s_delay_alu instid0(SALU_CYCLE_1)
	s_mov_b32 s42, exec_lo
	v_cmpx_lt_u32_e64 v113, v139
	s_cbranch_execnz .LBB1348_913
.LBB1348_843:                           ;   in Loop: Header=BB1348_730 Depth=2
	s_or_b32 exec_lo, exec_lo, s42
	s_delay_alu instid0(SALU_CYCLE_1)
	s_mov_b32 s42, exec_lo
	v_cmpx_lt_u32_e64 v114, v139
	s_cbranch_execnz .LBB1348_914
.LBB1348_844:                           ;   in Loop: Header=BB1348_730 Depth=2
	s_or_b32 exec_lo, exec_lo, s42
	s_delay_alu instid0(SALU_CYCLE_1)
	s_mov_b32 s42, exec_lo
	v_cmpx_lt_u32_e64 v115, v139
	s_cbranch_execnz .LBB1348_915
.LBB1348_845:                           ;   in Loop: Header=BB1348_730 Depth=2
	s_or_b32 exec_lo, exec_lo, s42
	s_delay_alu instid0(SALU_CYCLE_1)
	s_mov_b32 s42, exec_lo
	v_cmpx_lt_u32_e64 v116, v139
	s_cbranch_execnz .LBB1348_916
.LBB1348_846:                           ;   in Loop: Header=BB1348_730 Depth=2
	s_or_b32 exec_lo, exec_lo, s42
	s_delay_alu instid0(SALU_CYCLE_1)
	s_mov_b32 s42, exec_lo
	v_cmpx_lt_u32_e64 v117, v139
	s_cbranch_execnz .LBB1348_917
.LBB1348_847:                           ;   in Loop: Header=BB1348_730 Depth=2
	s_or_b32 exec_lo, exec_lo, s42
	s_delay_alu instid0(SALU_CYCLE_1)
	s_mov_b32 s42, exec_lo
	v_cmpx_lt_u32_e64 v118, v139
	s_cbranch_execnz .LBB1348_918
.LBB1348_848:                           ;   in Loop: Header=BB1348_730 Depth=2
	s_or_b32 exec_lo, exec_lo, s42
	s_delay_alu instid0(SALU_CYCLE_1)
	s_mov_b32 s42, exec_lo
	v_cmpx_lt_u32_e64 v5, v139
	s_cbranch_execnz .LBB1348_919
.LBB1348_849:                           ;   in Loop: Header=BB1348_730 Depth=2
	s_or_b32 exec_lo, exec_lo, s42
	s_and_saveexec_b32 s42, vcc_lo
	s_cbranch_execnz .LBB1348_920
.LBB1348_850:                           ;   in Loop: Header=BB1348_730 Depth=2
	s_or_b32 exec_lo, exec_lo, s42
	s_and_saveexec_b32 s42, s17
	s_cbranch_execnz .LBB1348_921
.LBB1348_851:                           ;   in Loop: Header=BB1348_730 Depth=2
	s_or_b32 exec_lo, exec_lo, s42
	s_and_saveexec_b32 s42, s18
	s_cbranch_execnz .LBB1348_922
.LBB1348_852:                           ;   in Loop: Header=BB1348_730 Depth=2
	s_or_b32 exec_lo, exec_lo, s42
	s_and_saveexec_b32 s42, s19
	s_cbranch_execnz .LBB1348_923
.LBB1348_853:                           ;   in Loop: Header=BB1348_730 Depth=2
	s_or_b32 exec_lo, exec_lo, s42
	s_and_saveexec_b32 s42, s20
	s_cbranch_execnz .LBB1348_924
.LBB1348_854:                           ;   in Loop: Header=BB1348_730 Depth=2
	s_or_b32 exec_lo, exec_lo, s42
	s_and_saveexec_b32 s42, s21
	s_cbranch_execnz .LBB1348_925
.LBB1348_855:                           ;   in Loop: Header=BB1348_730 Depth=2
	s_or_b32 exec_lo, exec_lo, s42
	s_and_saveexec_b32 s42, s22
	s_cbranch_execnz .LBB1348_926
.LBB1348_856:                           ;   in Loop: Header=BB1348_730 Depth=2
	s_or_b32 exec_lo, exec_lo, s42
	s_and_saveexec_b32 s42, s23
	s_cbranch_execnz .LBB1348_927
.LBB1348_857:                           ;   in Loop: Header=BB1348_730 Depth=2
	s_or_b32 exec_lo, exec_lo, s42
	s_and_saveexec_b32 s42, s24
	s_cbranch_execnz .LBB1348_928
.LBB1348_858:                           ;   in Loop: Header=BB1348_730 Depth=2
	s_or_b32 exec_lo, exec_lo, s42
	s_and_saveexec_b32 s42, s25
	s_cbranch_execnz .LBB1348_929
.LBB1348_859:                           ;   in Loop: Header=BB1348_730 Depth=2
	s_or_b32 exec_lo, exec_lo, s42
	s_and_saveexec_b32 s42, s26
	s_cbranch_execnz .LBB1348_930
.LBB1348_860:                           ;   in Loop: Header=BB1348_730 Depth=2
	s_or_b32 exec_lo, exec_lo, s42
	s_and_saveexec_b32 s42, s27
	s_cbranch_execnz .LBB1348_931
.LBB1348_861:                           ;   in Loop: Header=BB1348_730 Depth=2
	s_or_b32 exec_lo, exec_lo, s42
	s_and_saveexec_b32 s42, s28
	s_cbranch_execnz .LBB1348_932
.LBB1348_862:                           ;   in Loop: Header=BB1348_730 Depth=2
	s_or_b32 exec_lo, exec_lo, s42
	s_and_saveexec_b32 s42, s29
	s_cbranch_execnz .LBB1348_933
.LBB1348_863:                           ;   in Loop: Header=BB1348_730 Depth=2
	s_or_b32 exec_lo, exec_lo, s42
	s_and_saveexec_b32 s42, s30
	s_cbranch_execnz .LBB1348_934
.LBB1348_864:                           ;   in Loop: Header=BB1348_730 Depth=2
	s_or_b32 exec_lo, exec_lo, s42
	s_and_saveexec_b32 s42, s31
	s_cbranch_execnz .LBB1348_935
.LBB1348_865:                           ;   in Loop: Header=BB1348_730 Depth=2
	s_or_b32 exec_lo, exec_lo, s42
	s_and_saveexec_b32 s42, s33
	s_cbranch_execz .LBB1348_867
.LBB1348_866:                           ;   in Loop: Header=BB1348_730 Depth=2
	ds_load_b32 v64, v92 offset:16896
	s_wait_dscnt 0x0
	v_cmp_ne_u32_e64 s34, 0x80000000, v64
	s_delay_alu instid0(VALU_DEP_1) | instskip(NEXT) | instid1(VALU_DEP_1)
	v_cndmask_b32_e64 v64, 0x7fffffff, v64, s34
	v_lshrrev_b32_e32 v64, s49, v64
	s_delay_alu instid0(VALU_DEP_1)
	v_and_b32_e32 v120, s58, v64
.LBB1348_867:                           ;   in Loop: Header=BB1348_730 Depth=2
	s_or_b32 exec_lo, exec_lo, s42
	v_dual_lshlrev_b32 v64, 3, v162 :: v_dual_lshlrev_b32 v65, 3, v161
	s_wait_loadcnt 0x0
	s_wait_storecnt 0x0
	s_barrier_signal -1
	s_barrier_wait -1
	ds_store_b64 v64, v[62:63] offset:512
	ds_store_b64 v65, v[60:61] offset:512
	v_dual_lshlrev_b32 v64, 3, v157 :: v_dual_lshlrev_b32 v65, 3, v156
	v_dual_lshlrev_b32 v139, 3, v155 :: v_dual_lshlrev_b32 v140, 3, v154
	v_lshlrev_b32_e32 v142, 3, v152
	ds_store_b64 v64, v[58:59] offset:512
	ds_store_b64 v65, v[56:57] offset:512
	ds_store_b64 v139, v[54:55] offset:512
	ds_store_b64 v140, v[52:53] offset:512
	ds_store_b64 v142, v[50:51] offset:512
	v_dual_lshlrev_b32 v64, 3, v151 :: v_dual_lshlrev_b32 v65, 3, v150
	v_dual_lshlrev_b32 v139, 3, v149 :: v_dual_lshlrev_b32 v140, 3, v147
	v_lshlrev_b32_e32 v142, 3, v146
	ds_store_b64 v64, v[48:49] offset:512
	ds_store_b64 v65, v[46:47] offset:512
	ds_store_b64 v139, v[44:45] offset:512
	;; [unrolled: 8-line block ×3, first 2 shown]
	ds_store_b64 v67, v[32:33] offset:512
	ds_store_b64 v139, v[30:31] offset:512
	s_wait_dscnt 0x0
	s_barrier_signal -1
	s_barrier_wait -1
	s_and_saveexec_b32 s34, vcc_lo
	s_cbranch_execnz .LBB1348_936
; %bb.868:                              ;   in Loop: Header=BB1348_730 Depth=2
	s_or_b32 exec_lo, exec_lo, s34
	s_and_saveexec_b32 s34, s17
	s_cbranch_execnz .LBB1348_937
.LBB1348_869:                           ;   in Loop: Header=BB1348_730 Depth=2
	s_or_b32 exec_lo, exec_lo, s34
	s_and_saveexec_b32 s17, s18
	s_cbranch_execnz .LBB1348_938
.LBB1348_870:                           ;   in Loop: Header=BB1348_730 Depth=2
	s_or_b32 exec_lo, exec_lo, s17
	s_and_saveexec_b32 s17, s19
	s_cbranch_execnz .LBB1348_939
.LBB1348_871:                           ;   in Loop: Header=BB1348_730 Depth=2
	s_or_b32 exec_lo, exec_lo, s17
	s_and_saveexec_b32 s17, s20
	s_cbranch_execnz .LBB1348_940
.LBB1348_872:                           ;   in Loop: Header=BB1348_730 Depth=2
	s_or_b32 exec_lo, exec_lo, s17
	s_and_saveexec_b32 s17, s21
	s_cbranch_execnz .LBB1348_941
.LBB1348_873:                           ;   in Loop: Header=BB1348_730 Depth=2
	s_or_b32 exec_lo, exec_lo, s17
	s_and_saveexec_b32 s17, s22
	s_cbranch_execnz .LBB1348_942
.LBB1348_874:                           ;   in Loop: Header=BB1348_730 Depth=2
	s_or_b32 exec_lo, exec_lo, s17
	s_and_saveexec_b32 s17, s23
	s_cbranch_execnz .LBB1348_943
.LBB1348_875:                           ;   in Loop: Header=BB1348_730 Depth=2
	s_or_b32 exec_lo, exec_lo, s17
	s_and_saveexec_b32 s17, s24
	s_cbranch_execnz .LBB1348_944
.LBB1348_876:                           ;   in Loop: Header=BB1348_730 Depth=2
	s_or_b32 exec_lo, exec_lo, s17
	s_and_saveexec_b32 s17, s25
	s_cbranch_execnz .LBB1348_945
.LBB1348_877:                           ;   in Loop: Header=BB1348_730 Depth=2
	s_or_b32 exec_lo, exec_lo, s17
	s_and_saveexec_b32 s17, s26
	s_cbranch_execnz .LBB1348_946
.LBB1348_878:                           ;   in Loop: Header=BB1348_730 Depth=2
	s_or_b32 exec_lo, exec_lo, s17
	s_and_saveexec_b32 s17, s27
	s_cbranch_execnz .LBB1348_947
.LBB1348_879:                           ;   in Loop: Header=BB1348_730 Depth=2
	s_or_b32 exec_lo, exec_lo, s17
	s_and_saveexec_b32 s17, s28
	s_cbranch_execnz .LBB1348_948
.LBB1348_880:                           ;   in Loop: Header=BB1348_730 Depth=2
	s_or_b32 exec_lo, exec_lo, s17
	s_and_saveexec_b32 s17, s29
	s_cbranch_execnz .LBB1348_949
.LBB1348_881:                           ;   in Loop: Header=BB1348_730 Depth=2
	s_or_b32 exec_lo, exec_lo, s17
	s_and_saveexec_b32 s17, s30
	s_cbranch_execnz .LBB1348_950
.LBB1348_882:                           ;   in Loop: Header=BB1348_730 Depth=2
	s_or_b32 exec_lo, exec_lo, s17
	s_and_saveexec_b32 s17, s31
	s_cbranch_execnz .LBB1348_951
.LBB1348_883:                           ;   in Loop: Header=BB1348_730 Depth=2
	s_or_b32 exec_lo, exec_lo, s17
	s_and_saveexec_b32 s17, s33
	s_cbranch_execz .LBB1348_885
.LBB1348_884:                           ;   in Loop: Header=BB1348_730 Depth=2
	v_lshlrev_b32_e32 v64, 2, v120
	v_add_nc_u32_e32 v65, v92, v4
	ds_load_b32 v66, v64
	ds_load_b64 v[64:65], v65 offset:33280
	s_wait_dscnt 0x1
	v_add_nc_u32_e32 v66, v66, v82
	s_wait_dscnt 0x0
	global_store_b64 v66, v[64:65], s[44:45] scale_offset
.LBB1348_885:                           ;   in Loop: Header=BB1348_730 Depth=2
	s_wait_xcnt 0x0
	s_or_b32 exec_lo, exec_lo, s17
	s_wait_storecnt 0x0
	s_barrier_signal -1
	s_barrier_wait -1
	s_and_saveexec_b32 s17, s0
	s_cbranch_execz .LBB1348_729
; %bb.886:                              ;   in Loop: Header=BB1348_730 Depth=2
	ds_load_b32 v64, v4
	s_wait_dscnt 0x0
	v_add3_u32 v64, v133, v138, v64
	ds_store_b32 v4, v64
	s_branch .LBB1348_729
.LBB1348_887:                           ;   in Loop: Header=BB1348_730 Depth=2
	ds_load_b32 v64, v92 offset:512
	s_wait_dscnt 0x0
	v_cmp_ne_u32_e64 s17, 0x80000000, v64
	s_delay_alu instid0(VALU_DEP_1) | instskip(SKIP_1) | instid1(VALU_DEP_1)
	v_cndmask_b32_e64 v65, 0x7fffffff, v64, s17
	v_cmp_gt_i32_e64 s17, 0, v64
	v_cndmask_b32_e64 v140, 0x7fffffff, 0, s17
	s_delay_alu instid0(VALU_DEP_1) | instskip(NEXT) | instid1(VALU_DEP_1)
	v_dual_lshrrev_b32 v65, s49, v65 :: v_dual_bitop2_b32 v64, v140, v64 bitop3:0x14
	v_and_b32_e32 v65, s58, v65
	s_delay_alu instid0(VALU_DEP_1)
	v_lshlrev_b32_e32 v65, 2, v65
	ds_load_b32 v65, v65
	s_wait_dscnt 0x0
	v_add_nc_u32_e32 v65, v65, v2
	global_store_b32 v65, v64, s[38:39] scale_offset
	s_wait_xcnt 0x0
	s_or_b32 exec_lo, exec_lo, s18
	v_cmp_lt_u32_e64 s17, v3, v139
	s_and_saveexec_b32 s19, s17
	s_cbranch_execz .LBB1348_816
.LBB1348_888:                           ;   in Loop: Header=BB1348_730 Depth=2
	ds_load_b32 v64, v92 offset:1536
	s_wait_dscnt 0x0
	v_cmp_ne_u32_e64 s18, 0x80000000, v64
	s_delay_alu instid0(VALU_DEP_1) | instskip(SKIP_1) | instid1(VALU_DEP_1)
	v_cndmask_b32_e64 v65, 0x7fffffff, v64, s18
	v_cmp_gt_i32_e64 s18, 0, v64
	v_cndmask_b32_e64 v140, 0x7fffffff, 0, s18
	s_delay_alu instid0(VALU_DEP_1) | instskip(NEXT) | instid1(VALU_DEP_1)
	v_dual_lshrrev_b32 v65, s49, v65 :: v_dual_bitop2_b32 v64, v140, v64 bitop3:0x14
	v_and_b32_e32 v65, s58, v65
	s_delay_alu instid0(VALU_DEP_1)
	v_lshlrev_b32_e32 v65, 2, v65
	ds_load_b32 v65, v65
	s_wait_dscnt 0x0
	v_add_nc_u32_e32 v65, v65, v3
	global_store_b32 v65, v64, s[38:39] scale_offset
	s_wait_xcnt 0x0
	s_or_b32 exec_lo, exec_lo, s19
	v_cmp_lt_u32_e64 s18, v68, v139
	s_and_saveexec_b32 s20, s18
	s_cbranch_execz .LBB1348_817
.LBB1348_889:                           ;   in Loop: Header=BB1348_730 Depth=2
	ds_load_b32 v64, v92 offset:2560
	s_wait_dscnt 0x0
	v_cmp_ne_u32_e64 s19, 0x80000000, v64
	s_delay_alu instid0(VALU_DEP_1) | instskip(SKIP_1) | instid1(VALU_DEP_1)
	v_cndmask_b32_e64 v65, 0x7fffffff, v64, s19
	v_cmp_gt_i32_e64 s19, 0, v64
	v_cndmask_b32_e64 v140, 0x7fffffff, 0, s19
	s_delay_alu instid0(VALU_DEP_1) | instskip(NEXT) | instid1(VALU_DEP_1)
	v_dual_lshrrev_b32 v65, s49, v65 :: v_dual_bitop2_b32 v64, v140, v64 bitop3:0x14
	v_and_b32_e32 v65, s58, v65
	s_delay_alu instid0(VALU_DEP_1)
	v_lshlrev_b32_e32 v65, 2, v65
	ds_load_b32 v65, v65
	s_wait_dscnt 0x0
	v_add_nc_u32_e32 v65, v65, v68
	global_store_b32 v65, v64, s[38:39] scale_offset
	s_wait_xcnt 0x0
	s_or_b32 exec_lo, exec_lo, s20
	v_cmp_lt_u32_e64 s19, v69, v139
	s_and_saveexec_b32 s21, s19
	s_cbranch_execz .LBB1348_818
.LBB1348_890:                           ;   in Loop: Header=BB1348_730 Depth=2
	ds_load_b32 v64, v92 offset:3584
	s_wait_dscnt 0x0
	v_cmp_ne_u32_e64 s20, 0x80000000, v64
	s_delay_alu instid0(VALU_DEP_1) | instskip(SKIP_1) | instid1(VALU_DEP_1)
	v_cndmask_b32_e64 v65, 0x7fffffff, v64, s20
	v_cmp_gt_i32_e64 s20, 0, v64
	v_cndmask_b32_e64 v140, 0x7fffffff, 0, s20
	s_delay_alu instid0(VALU_DEP_1) | instskip(NEXT) | instid1(VALU_DEP_1)
	v_dual_lshrrev_b32 v65, s49, v65 :: v_dual_bitop2_b32 v64, v140, v64 bitop3:0x14
	v_and_b32_e32 v65, s58, v65
	s_delay_alu instid0(VALU_DEP_1)
	v_lshlrev_b32_e32 v65, 2, v65
	ds_load_b32 v65, v65
	s_wait_dscnt 0x0
	v_add_nc_u32_e32 v65, v65, v69
	global_store_b32 v65, v64, s[38:39] scale_offset
	s_wait_xcnt 0x0
	s_or_b32 exec_lo, exec_lo, s21
	v_cmp_lt_u32_e64 s20, v70, v139
	s_and_saveexec_b32 s22, s20
	s_cbranch_execz .LBB1348_819
.LBB1348_891:                           ;   in Loop: Header=BB1348_730 Depth=2
	ds_load_b32 v64, v92 offset:4608
	s_wait_dscnt 0x0
	v_cmp_ne_u32_e64 s21, 0x80000000, v64
	s_delay_alu instid0(VALU_DEP_1) | instskip(SKIP_1) | instid1(VALU_DEP_1)
	v_cndmask_b32_e64 v65, 0x7fffffff, v64, s21
	v_cmp_gt_i32_e64 s21, 0, v64
	v_cndmask_b32_e64 v140, 0x7fffffff, 0, s21
	s_delay_alu instid0(VALU_DEP_1) | instskip(NEXT) | instid1(VALU_DEP_1)
	v_dual_lshrrev_b32 v65, s49, v65 :: v_dual_bitop2_b32 v64, v140, v64 bitop3:0x14
	v_and_b32_e32 v65, s58, v65
	s_delay_alu instid0(VALU_DEP_1)
	v_lshlrev_b32_e32 v65, 2, v65
	ds_load_b32 v65, v65
	s_wait_dscnt 0x0
	v_add_nc_u32_e32 v65, v65, v70
	global_store_b32 v65, v64, s[38:39] scale_offset
	s_wait_xcnt 0x0
	s_or_b32 exec_lo, exec_lo, s22
	v_cmp_lt_u32_e64 s21, v71, v139
	s_and_saveexec_b32 s23, s21
	s_cbranch_execz .LBB1348_820
.LBB1348_892:                           ;   in Loop: Header=BB1348_730 Depth=2
	ds_load_b32 v64, v92 offset:5632
	s_wait_dscnt 0x0
	v_cmp_ne_u32_e64 s22, 0x80000000, v64
	s_delay_alu instid0(VALU_DEP_1) | instskip(SKIP_1) | instid1(VALU_DEP_1)
	v_cndmask_b32_e64 v65, 0x7fffffff, v64, s22
	v_cmp_gt_i32_e64 s22, 0, v64
	v_cndmask_b32_e64 v140, 0x7fffffff, 0, s22
	s_delay_alu instid0(VALU_DEP_1) | instskip(NEXT) | instid1(VALU_DEP_1)
	v_dual_lshrrev_b32 v65, s49, v65 :: v_dual_bitop2_b32 v64, v140, v64 bitop3:0x14
	v_and_b32_e32 v65, s58, v65
	s_delay_alu instid0(VALU_DEP_1)
	v_lshlrev_b32_e32 v65, 2, v65
	ds_load_b32 v65, v65
	s_wait_dscnt 0x0
	v_add_nc_u32_e32 v65, v65, v71
	global_store_b32 v65, v64, s[38:39] scale_offset
	s_wait_xcnt 0x0
	s_or_b32 exec_lo, exec_lo, s23
	v_cmp_lt_u32_e64 s22, v72, v139
	s_and_saveexec_b32 s24, s22
	s_cbranch_execz .LBB1348_821
.LBB1348_893:                           ;   in Loop: Header=BB1348_730 Depth=2
	ds_load_b32 v64, v92 offset:6656
	s_wait_dscnt 0x0
	v_cmp_ne_u32_e64 s23, 0x80000000, v64
	s_delay_alu instid0(VALU_DEP_1) | instskip(SKIP_1) | instid1(VALU_DEP_1)
	v_cndmask_b32_e64 v65, 0x7fffffff, v64, s23
	v_cmp_gt_i32_e64 s23, 0, v64
	v_cndmask_b32_e64 v140, 0x7fffffff, 0, s23
	s_delay_alu instid0(VALU_DEP_1) | instskip(NEXT) | instid1(VALU_DEP_1)
	v_dual_lshrrev_b32 v65, s49, v65 :: v_dual_bitop2_b32 v64, v140, v64 bitop3:0x14
	v_and_b32_e32 v65, s58, v65
	s_delay_alu instid0(VALU_DEP_1)
	v_lshlrev_b32_e32 v65, 2, v65
	ds_load_b32 v65, v65
	s_wait_dscnt 0x0
	v_add_nc_u32_e32 v65, v65, v72
	global_store_b32 v65, v64, s[38:39] scale_offset
	s_wait_xcnt 0x0
	s_or_b32 exec_lo, exec_lo, s24
	v_cmp_lt_u32_e64 s23, v73, v139
	s_and_saveexec_b32 s25, s23
	s_cbranch_execz .LBB1348_822
.LBB1348_894:                           ;   in Loop: Header=BB1348_730 Depth=2
	ds_load_b32 v64, v92 offset:7680
	s_wait_dscnt 0x0
	v_cmp_ne_u32_e64 s24, 0x80000000, v64
	s_delay_alu instid0(VALU_DEP_1) | instskip(SKIP_1) | instid1(VALU_DEP_1)
	v_cndmask_b32_e64 v65, 0x7fffffff, v64, s24
	v_cmp_gt_i32_e64 s24, 0, v64
	v_cndmask_b32_e64 v140, 0x7fffffff, 0, s24
	s_delay_alu instid0(VALU_DEP_1) | instskip(NEXT) | instid1(VALU_DEP_1)
	v_dual_lshrrev_b32 v65, s49, v65 :: v_dual_bitop2_b32 v64, v140, v64 bitop3:0x14
	v_and_b32_e32 v65, s58, v65
	s_delay_alu instid0(VALU_DEP_1)
	v_lshlrev_b32_e32 v65, 2, v65
	ds_load_b32 v65, v65
	s_wait_dscnt 0x0
	v_add_nc_u32_e32 v65, v65, v73
	global_store_b32 v65, v64, s[38:39] scale_offset
	s_wait_xcnt 0x0
	s_or_b32 exec_lo, exec_lo, s25
	v_cmp_lt_u32_e64 s24, v74, v139
	s_and_saveexec_b32 s26, s24
	s_cbranch_execz .LBB1348_823
.LBB1348_895:                           ;   in Loop: Header=BB1348_730 Depth=2
	ds_load_b32 v64, v92 offset:8704
	s_wait_dscnt 0x0
	v_cmp_ne_u32_e64 s25, 0x80000000, v64
	s_delay_alu instid0(VALU_DEP_1) | instskip(SKIP_1) | instid1(VALU_DEP_1)
	v_cndmask_b32_e64 v65, 0x7fffffff, v64, s25
	v_cmp_gt_i32_e64 s25, 0, v64
	v_cndmask_b32_e64 v140, 0x7fffffff, 0, s25
	s_delay_alu instid0(VALU_DEP_1) | instskip(NEXT) | instid1(VALU_DEP_1)
	v_dual_lshrrev_b32 v65, s49, v65 :: v_dual_bitop2_b32 v64, v140, v64 bitop3:0x14
	v_and_b32_e32 v65, s58, v65
	s_delay_alu instid0(VALU_DEP_1)
	v_lshlrev_b32_e32 v65, 2, v65
	ds_load_b32 v65, v65
	s_wait_dscnt 0x0
	v_add_nc_u32_e32 v65, v65, v74
	global_store_b32 v65, v64, s[38:39] scale_offset
	s_wait_xcnt 0x0
	s_or_b32 exec_lo, exec_lo, s26
	v_cmp_lt_u32_e64 s25, v75, v139
	s_and_saveexec_b32 s27, s25
	s_cbranch_execz .LBB1348_824
.LBB1348_896:                           ;   in Loop: Header=BB1348_730 Depth=2
	ds_load_b32 v64, v92 offset:9728
	s_wait_dscnt 0x0
	v_cmp_ne_u32_e64 s26, 0x80000000, v64
	s_delay_alu instid0(VALU_DEP_1) | instskip(SKIP_1) | instid1(VALU_DEP_1)
	v_cndmask_b32_e64 v65, 0x7fffffff, v64, s26
	v_cmp_gt_i32_e64 s26, 0, v64
	v_cndmask_b32_e64 v140, 0x7fffffff, 0, s26
	s_delay_alu instid0(VALU_DEP_1) | instskip(NEXT) | instid1(VALU_DEP_1)
	v_dual_lshrrev_b32 v65, s49, v65 :: v_dual_bitop2_b32 v64, v140, v64 bitop3:0x14
	v_and_b32_e32 v65, s58, v65
	s_delay_alu instid0(VALU_DEP_1)
	v_lshlrev_b32_e32 v65, 2, v65
	ds_load_b32 v65, v65
	s_wait_dscnt 0x0
	v_add_nc_u32_e32 v65, v65, v75
	global_store_b32 v65, v64, s[38:39] scale_offset
	s_wait_xcnt 0x0
	s_or_b32 exec_lo, exec_lo, s27
	v_cmp_lt_u32_e64 s26, v76, v139
	s_and_saveexec_b32 s28, s26
	s_cbranch_execz .LBB1348_825
.LBB1348_897:                           ;   in Loop: Header=BB1348_730 Depth=2
	ds_load_b32 v64, v92 offset:10752
	s_wait_dscnt 0x0
	v_cmp_ne_u32_e64 s27, 0x80000000, v64
	s_delay_alu instid0(VALU_DEP_1) | instskip(SKIP_1) | instid1(VALU_DEP_1)
	v_cndmask_b32_e64 v65, 0x7fffffff, v64, s27
	v_cmp_gt_i32_e64 s27, 0, v64
	v_cndmask_b32_e64 v140, 0x7fffffff, 0, s27
	s_delay_alu instid0(VALU_DEP_1) | instskip(NEXT) | instid1(VALU_DEP_1)
	v_dual_lshrrev_b32 v65, s49, v65 :: v_dual_bitop2_b32 v64, v140, v64 bitop3:0x14
	v_and_b32_e32 v65, s58, v65
	s_delay_alu instid0(VALU_DEP_1)
	v_lshlrev_b32_e32 v65, 2, v65
	ds_load_b32 v65, v65
	s_wait_dscnt 0x0
	v_add_nc_u32_e32 v65, v65, v76
	global_store_b32 v65, v64, s[38:39] scale_offset
	s_wait_xcnt 0x0
	s_or_b32 exec_lo, exec_lo, s28
	v_cmp_lt_u32_e64 s27, v77, v139
	s_and_saveexec_b32 s29, s27
	s_cbranch_execz .LBB1348_826
.LBB1348_898:                           ;   in Loop: Header=BB1348_730 Depth=2
	ds_load_b32 v64, v92 offset:11776
	s_wait_dscnt 0x0
	v_cmp_ne_u32_e64 s28, 0x80000000, v64
	s_delay_alu instid0(VALU_DEP_1) | instskip(SKIP_1) | instid1(VALU_DEP_1)
	v_cndmask_b32_e64 v65, 0x7fffffff, v64, s28
	v_cmp_gt_i32_e64 s28, 0, v64
	v_cndmask_b32_e64 v140, 0x7fffffff, 0, s28
	s_delay_alu instid0(VALU_DEP_1) | instskip(NEXT) | instid1(VALU_DEP_1)
	v_dual_lshrrev_b32 v65, s49, v65 :: v_dual_bitop2_b32 v64, v140, v64 bitop3:0x14
	v_and_b32_e32 v65, s58, v65
	s_delay_alu instid0(VALU_DEP_1)
	v_lshlrev_b32_e32 v65, 2, v65
	ds_load_b32 v65, v65
	s_wait_dscnt 0x0
	v_add_nc_u32_e32 v65, v65, v77
	global_store_b32 v65, v64, s[38:39] scale_offset
	s_wait_xcnt 0x0
	s_or_b32 exec_lo, exec_lo, s29
	v_cmp_lt_u32_e64 s28, v78, v139
	s_and_saveexec_b32 s30, s28
	s_cbranch_execz .LBB1348_827
.LBB1348_899:                           ;   in Loop: Header=BB1348_730 Depth=2
	ds_load_b32 v64, v92 offset:12800
	s_wait_dscnt 0x0
	v_cmp_ne_u32_e64 s29, 0x80000000, v64
	s_delay_alu instid0(VALU_DEP_1) | instskip(SKIP_1) | instid1(VALU_DEP_1)
	v_cndmask_b32_e64 v65, 0x7fffffff, v64, s29
	v_cmp_gt_i32_e64 s29, 0, v64
	v_cndmask_b32_e64 v140, 0x7fffffff, 0, s29
	s_delay_alu instid0(VALU_DEP_1) | instskip(NEXT) | instid1(VALU_DEP_1)
	v_dual_lshrrev_b32 v65, s49, v65 :: v_dual_bitop2_b32 v64, v140, v64 bitop3:0x14
	v_and_b32_e32 v65, s58, v65
	s_delay_alu instid0(VALU_DEP_1)
	v_lshlrev_b32_e32 v65, 2, v65
	ds_load_b32 v65, v65
	s_wait_dscnt 0x0
	v_add_nc_u32_e32 v65, v65, v78
	global_store_b32 v65, v64, s[38:39] scale_offset
	s_wait_xcnt 0x0
	s_or_b32 exec_lo, exec_lo, s30
	v_cmp_lt_u32_e64 s29, v79, v139
	s_and_saveexec_b32 s31, s29
	s_cbranch_execz .LBB1348_828
.LBB1348_900:                           ;   in Loop: Header=BB1348_730 Depth=2
	ds_load_b32 v64, v92 offset:13824
	s_wait_dscnt 0x0
	v_cmp_ne_u32_e64 s30, 0x80000000, v64
	s_delay_alu instid0(VALU_DEP_1) | instskip(SKIP_1) | instid1(VALU_DEP_1)
	v_cndmask_b32_e64 v65, 0x7fffffff, v64, s30
	v_cmp_gt_i32_e64 s30, 0, v64
	v_cndmask_b32_e64 v140, 0x7fffffff, 0, s30
	s_delay_alu instid0(VALU_DEP_1) | instskip(NEXT) | instid1(VALU_DEP_1)
	v_dual_lshrrev_b32 v65, s49, v65 :: v_dual_bitop2_b32 v64, v140, v64 bitop3:0x14
	v_and_b32_e32 v65, s58, v65
	s_delay_alu instid0(VALU_DEP_1)
	v_lshlrev_b32_e32 v65, 2, v65
	ds_load_b32 v65, v65
	s_wait_dscnt 0x0
	v_add_nc_u32_e32 v65, v65, v79
	global_store_b32 v65, v64, s[38:39] scale_offset
	s_wait_xcnt 0x0
	s_or_b32 exec_lo, exec_lo, s31
	v_cmp_lt_u32_e64 s30, v80, v139
	s_and_saveexec_b32 s33, s30
	s_cbranch_execz .LBB1348_829
.LBB1348_901:                           ;   in Loop: Header=BB1348_730 Depth=2
	ds_load_b32 v64, v92 offset:14848
	s_wait_dscnt 0x0
	v_cmp_ne_u32_e64 s31, 0x80000000, v64
	s_delay_alu instid0(VALU_DEP_1) | instskip(SKIP_1) | instid1(VALU_DEP_1)
	v_cndmask_b32_e64 v65, 0x7fffffff, v64, s31
	v_cmp_gt_i32_e64 s31, 0, v64
	v_cndmask_b32_e64 v140, 0x7fffffff, 0, s31
	s_delay_alu instid0(VALU_DEP_1) | instskip(NEXT) | instid1(VALU_DEP_1)
	v_dual_lshrrev_b32 v65, s49, v65 :: v_dual_bitop2_b32 v64, v140, v64 bitop3:0x14
	v_and_b32_e32 v65, s58, v65
	s_delay_alu instid0(VALU_DEP_1)
	v_lshlrev_b32_e32 v65, 2, v65
	ds_load_b32 v65, v65
	s_wait_dscnt 0x0
	v_add_nc_u32_e32 v65, v65, v80
	global_store_b32 v65, v64, s[38:39] scale_offset
	s_wait_xcnt 0x0
	s_or_b32 exec_lo, exec_lo, s33
	v_cmp_lt_u32_e64 s31, v81, v139
	s_and_saveexec_b32 s34, s31
	s_cbranch_execz .LBB1348_830
.LBB1348_902:                           ;   in Loop: Header=BB1348_730 Depth=2
	ds_load_b32 v64, v92 offset:15872
	s_wait_dscnt 0x0
	v_cmp_ne_u32_e64 s33, 0x80000000, v64
	s_delay_alu instid0(VALU_DEP_1) | instskip(SKIP_1) | instid1(VALU_DEP_1)
	v_cndmask_b32_e64 v65, 0x7fffffff, v64, s33
	v_cmp_gt_i32_e64 s33, 0, v64
	v_cndmask_b32_e64 v140, 0x7fffffff, 0, s33
	s_delay_alu instid0(VALU_DEP_1) | instskip(NEXT) | instid1(VALU_DEP_1)
	v_dual_lshrrev_b32 v65, s49, v65 :: v_dual_bitop2_b32 v64, v140, v64 bitop3:0x14
	v_and_b32_e32 v65, s58, v65
	s_delay_alu instid0(VALU_DEP_1)
	v_lshlrev_b32_e32 v65, 2, v65
	ds_load_b32 v65, v65
	s_wait_dscnt 0x0
	v_add_nc_u32_e32 v65, v65, v81
	global_store_b32 v65, v64, s[38:39] scale_offset
	s_wait_xcnt 0x0
	s_or_b32 exec_lo, exec_lo, s34
	v_cmp_lt_u32_e64 s33, v82, v139
	s_and_saveexec_b32 s61, s33
	s_cbranch_execnz .LBB1348_831
	s_branch .LBB1348_832
.LBB1348_903:                           ;   in Loop: Header=BB1348_730 Depth=2
	global_load_b64 v[62:63], v[64:65], off
	s_wait_xcnt 0x0
	s_or_b32 exec_lo, exec_lo, s34
	s_delay_alu instid0(SALU_CYCLE_1)
	s_mov_b32 s42, exec_lo
	v_cmpx_lt_u32_e64 v104, v139
	s_cbranch_execz .LBB1348_834
.LBB1348_904:                           ;   in Loop: Header=BB1348_730 Depth=2
	global_load_b64 v[60:61], v[64:65], off offset:256
	s_wait_xcnt 0x0
	s_or_b32 exec_lo, exec_lo, s42
	s_delay_alu instid0(SALU_CYCLE_1)
	s_mov_b32 s42, exec_lo
	v_cmpx_lt_u32_e64 v105, v139
	s_cbranch_execz .LBB1348_835
.LBB1348_905:                           ;   in Loop: Header=BB1348_730 Depth=2
	global_load_b64 v[58:59], v[64:65], off offset:512
	s_wait_xcnt 0x0
	s_or_b32 exec_lo, exec_lo, s42
	s_delay_alu instid0(SALU_CYCLE_1)
	s_mov_b32 s42, exec_lo
	v_cmpx_lt_u32_e64 v106, v139
	s_cbranch_execz .LBB1348_836
.LBB1348_906:                           ;   in Loop: Header=BB1348_730 Depth=2
	global_load_b64 v[56:57], v[64:65], off offset:768
	s_wait_xcnt 0x0
	s_or_b32 exec_lo, exec_lo, s42
	s_delay_alu instid0(SALU_CYCLE_1)
	s_mov_b32 s42, exec_lo
	v_cmpx_lt_u32_e64 v107, v139
	s_cbranch_execz .LBB1348_837
.LBB1348_907:                           ;   in Loop: Header=BB1348_730 Depth=2
	global_load_b64 v[54:55], v[64:65], off offset:1024
	s_wait_xcnt 0x0
	s_or_b32 exec_lo, exec_lo, s42
	s_delay_alu instid0(SALU_CYCLE_1)
	s_mov_b32 s42, exec_lo
	v_cmpx_lt_u32_e64 v108, v139
	s_cbranch_execz .LBB1348_838
.LBB1348_908:                           ;   in Loop: Header=BB1348_730 Depth=2
	global_load_b64 v[52:53], v[64:65], off offset:1280
	s_wait_xcnt 0x0
	s_or_b32 exec_lo, exec_lo, s42
	s_delay_alu instid0(SALU_CYCLE_1)
	s_mov_b32 s42, exec_lo
	v_cmpx_lt_u32_e64 v109, v139
	s_cbranch_execz .LBB1348_839
.LBB1348_909:                           ;   in Loop: Header=BB1348_730 Depth=2
	global_load_b64 v[50:51], v[64:65], off offset:1536
	s_wait_xcnt 0x0
	s_or_b32 exec_lo, exec_lo, s42
	s_delay_alu instid0(SALU_CYCLE_1)
	s_mov_b32 s42, exec_lo
	v_cmpx_lt_u32_e64 v110, v139
	s_cbranch_execz .LBB1348_840
.LBB1348_910:                           ;   in Loop: Header=BB1348_730 Depth=2
	global_load_b64 v[48:49], v[64:65], off offset:1792
	s_wait_xcnt 0x0
	s_or_b32 exec_lo, exec_lo, s42
	s_delay_alu instid0(SALU_CYCLE_1)
	s_mov_b32 s42, exec_lo
	v_cmpx_lt_u32_e64 v111, v139
	s_cbranch_execz .LBB1348_841
.LBB1348_911:                           ;   in Loop: Header=BB1348_730 Depth=2
	global_load_b64 v[46:47], v[64:65], off offset:2048
	s_wait_xcnt 0x0
	s_or_b32 exec_lo, exec_lo, s42
	s_delay_alu instid0(SALU_CYCLE_1)
	s_mov_b32 s42, exec_lo
	v_cmpx_lt_u32_e64 v112, v139
	s_cbranch_execz .LBB1348_842
.LBB1348_912:                           ;   in Loop: Header=BB1348_730 Depth=2
	global_load_b64 v[44:45], v[64:65], off offset:2304
	s_wait_xcnt 0x0
	s_or_b32 exec_lo, exec_lo, s42
	s_delay_alu instid0(SALU_CYCLE_1)
	s_mov_b32 s42, exec_lo
	v_cmpx_lt_u32_e64 v113, v139
	s_cbranch_execz .LBB1348_843
.LBB1348_913:                           ;   in Loop: Header=BB1348_730 Depth=2
	global_load_b64 v[42:43], v[64:65], off offset:2560
	s_wait_xcnt 0x0
	s_or_b32 exec_lo, exec_lo, s42
	s_delay_alu instid0(SALU_CYCLE_1)
	s_mov_b32 s42, exec_lo
	v_cmpx_lt_u32_e64 v114, v139
	s_cbranch_execz .LBB1348_844
.LBB1348_914:                           ;   in Loop: Header=BB1348_730 Depth=2
	global_load_b64 v[40:41], v[64:65], off offset:2816
	s_wait_xcnt 0x0
	s_or_b32 exec_lo, exec_lo, s42
	s_delay_alu instid0(SALU_CYCLE_1)
	s_mov_b32 s42, exec_lo
	v_cmpx_lt_u32_e64 v115, v139
	s_cbranch_execz .LBB1348_845
.LBB1348_915:                           ;   in Loop: Header=BB1348_730 Depth=2
	global_load_b64 v[38:39], v[64:65], off offset:3072
	s_wait_xcnt 0x0
	s_or_b32 exec_lo, exec_lo, s42
	s_delay_alu instid0(SALU_CYCLE_1)
	s_mov_b32 s42, exec_lo
	v_cmpx_lt_u32_e64 v116, v139
	s_cbranch_execz .LBB1348_846
.LBB1348_916:                           ;   in Loop: Header=BB1348_730 Depth=2
	global_load_b64 v[36:37], v[64:65], off offset:3328
	s_wait_xcnt 0x0
	s_or_b32 exec_lo, exec_lo, s42
	s_delay_alu instid0(SALU_CYCLE_1)
	s_mov_b32 s42, exec_lo
	v_cmpx_lt_u32_e64 v117, v139
	s_cbranch_execz .LBB1348_847
.LBB1348_917:                           ;   in Loop: Header=BB1348_730 Depth=2
	global_load_b64 v[34:35], v[64:65], off offset:3584
	s_wait_xcnt 0x0
	s_or_b32 exec_lo, exec_lo, s42
	s_delay_alu instid0(SALU_CYCLE_1)
	s_mov_b32 s42, exec_lo
	v_cmpx_lt_u32_e64 v118, v139
	s_cbranch_execz .LBB1348_848
.LBB1348_918:                           ;   in Loop: Header=BB1348_730 Depth=2
	global_load_b64 v[32:33], v[64:65], off offset:3840
	s_wait_xcnt 0x0
	s_or_b32 exec_lo, exec_lo, s42
	s_delay_alu instid0(SALU_CYCLE_1)
	s_mov_b32 s42, exec_lo
	v_cmpx_lt_u32_e64 v5, v139
	s_cbranch_execz .LBB1348_849
.LBB1348_919:                           ;   in Loop: Header=BB1348_730 Depth=2
	global_load_b64 v[30:31], v[64:65], off offset:4096
	s_wait_xcnt 0x0
	s_or_b32 exec_lo, exec_lo, s42
	s_and_saveexec_b32 s42, vcc_lo
	s_cbranch_execz .LBB1348_850
.LBB1348_920:                           ;   in Loop: Header=BB1348_730 Depth=2
	ds_load_b32 v64, v92 offset:512
	s_wait_dscnt 0x0
	v_cmp_ne_u32_e64 s34, 0x80000000, v64
	s_delay_alu instid0(VALU_DEP_1) | instskip(NEXT) | instid1(VALU_DEP_1)
	v_cndmask_b32_e64 v64, 0x7fffffff, v64, s34
	v_lshrrev_b32_e32 v64, s49, v64
	s_delay_alu instid0(VALU_DEP_1)
	v_and_b32_e32 v137, s58, v64
	s_or_b32 exec_lo, exec_lo, s42
	s_and_saveexec_b32 s42, s17
	s_cbranch_execz .LBB1348_851
.LBB1348_921:                           ;   in Loop: Header=BB1348_730 Depth=2
	ds_load_b32 v64, v92 offset:1536
	s_wait_dscnt 0x0
	v_cmp_ne_u32_e64 s34, 0x80000000, v64
	s_delay_alu instid0(VALU_DEP_1) | instskip(NEXT) | instid1(VALU_DEP_1)
	v_cndmask_b32_e64 v64, 0x7fffffff, v64, s34
	v_lshrrev_b32_e32 v64, s49, v64
	s_delay_alu instid0(VALU_DEP_1)
	v_and_b32_e32 v136, s58, v64
	s_or_b32 exec_lo, exec_lo, s42
	s_and_saveexec_b32 s42, s18
	s_cbranch_execz .LBB1348_852
.LBB1348_922:                           ;   in Loop: Header=BB1348_730 Depth=2
	ds_load_b32 v64, v92 offset:2560
	s_wait_dscnt 0x0
	v_cmp_ne_u32_e64 s34, 0x80000000, v64
	s_delay_alu instid0(VALU_DEP_1) | instskip(NEXT) | instid1(VALU_DEP_1)
	v_cndmask_b32_e64 v64, 0x7fffffff, v64, s34
	v_lshrrev_b32_e32 v64, s49, v64
	s_delay_alu instid0(VALU_DEP_1)
	v_and_b32_e32 v135, s58, v64
	s_or_b32 exec_lo, exec_lo, s42
	s_and_saveexec_b32 s42, s19
	s_cbranch_execz .LBB1348_853
.LBB1348_923:                           ;   in Loop: Header=BB1348_730 Depth=2
	ds_load_b32 v64, v92 offset:3584
	s_wait_dscnt 0x0
	v_cmp_ne_u32_e64 s34, 0x80000000, v64
	s_delay_alu instid0(VALU_DEP_1) | instskip(NEXT) | instid1(VALU_DEP_1)
	v_cndmask_b32_e64 v64, 0x7fffffff, v64, s34
	v_lshrrev_b32_e32 v64, s49, v64
	s_delay_alu instid0(VALU_DEP_1)
	v_and_b32_e32 v134, s58, v64
	s_or_b32 exec_lo, exec_lo, s42
	s_and_saveexec_b32 s42, s20
	s_cbranch_execz .LBB1348_854
.LBB1348_924:                           ;   in Loop: Header=BB1348_730 Depth=2
	ds_load_b32 v64, v92 offset:4608
	s_wait_dscnt 0x0
	v_cmp_ne_u32_e64 s34, 0x80000000, v64
	s_delay_alu instid0(VALU_DEP_1) | instskip(NEXT) | instid1(VALU_DEP_1)
	v_cndmask_b32_e64 v64, 0x7fffffff, v64, s34
	v_lshrrev_b32_e32 v64, s49, v64
	s_delay_alu instid0(VALU_DEP_1)
	v_and_b32_e32 v132, s58, v64
	s_or_b32 exec_lo, exec_lo, s42
	s_and_saveexec_b32 s42, s21
	s_cbranch_execz .LBB1348_855
.LBB1348_925:                           ;   in Loop: Header=BB1348_730 Depth=2
	ds_load_b32 v64, v92 offset:5632
	s_wait_dscnt 0x0
	v_cmp_ne_u32_e64 s34, 0x80000000, v64
	s_delay_alu instid0(VALU_DEP_1) | instskip(NEXT) | instid1(VALU_DEP_1)
	v_cndmask_b32_e64 v64, 0x7fffffff, v64, s34
	v_lshrrev_b32_e32 v64, s49, v64
	s_delay_alu instid0(VALU_DEP_1)
	v_and_b32_e32 v131, s58, v64
	s_or_b32 exec_lo, exec_lo, s42
	s_and_saveexec_b32 s42, s22
	s_cbranch_execz .LBB1348_856
.LBB1348_926:                           ;   in Loop: Header=BB1348_730 Depth=2
	ds_load_b32 v64, v92 offset:6656
	s_wait_dscnt 0x0
	v_cmp_ne_u32_e64 s34, 0x80000000, v64
	s_delay_alu instid0(VALU_DEP_1) | instskip(NEXT) | instid1(VALU_DEP_1)
	v_cndmask_b32_e64 v64, 0x7fffffff, v64, s34
	v_lshrrev_b32_e32 v64, s49, v64
	s_delay_alu instid0(VALU_DEP_1)
	v_and_b32_e32 v130, s58, v64
	s_or_b32 exec_lo, exec_lo, s42
	s_and_saveexec_b32 s42, s23
	s_cbranch_execz .LBB1348_857
.LBB1348_927:                           ;   in Loop: Header=BB1348_730 Depth=2
	ds_load_b32 v64, v92 offset:7680
	s_wait_dscnt 0x0
	v_cmp_ne_u32_e64 s34, 0x80000000, v64
	s_delay_alu instid0(VALU_DEP_1) | instskip(NEXT) | instid1(VALU_DEP_1)
	v_cndmask_b32_e64 v64, 0x7fffffff, v64, s34
	v_lshrrev_b32_e32 v64, s49, v64
	s_delay_alu instid0(VALU_DEP_1)
	v_and_b32_e32 v129, s58, v64
	s_or_b32 exec_lo, exec_lo, s42
	s_and_saveexec_b32 s42, s24
	s_cbranch_execz .LBB1348_858
.LBB1348_928:                           ;   in Loop: Header=BB1348_730 Depth=2
	ds_load_b32 v64, v92 offset:8704
	s_wait_dscnt 0x0
	v_cmp_ne_u32_e64 s34, 0x80000000, v64
	s_delay_alu instid0(VALU_DEP_1) | instskip(NEXT) | instid1(VALU_DEP_1)
	v_cndmask_b32_e64 v64, 0x7fffffff, v64, s34
	v_lshrrev_b32_e32 v64, s49, v64
	s_delay_alu instid0(VALU_DEP_1)
	v_and_b32_e32 v128, s58, v64
	s_or_b32 exec_lo, exec_lo, s42
	s_and_saveexec_b32 s42, s25
	s_cbranch_execz .LBB1348_859
.LBB1348_929:                           ;   in Loop: Header=BB1348_730 Depth=2
	ds_load_b32 v64, v92 offset:9728
	s_wait_dscnt 0x0
	v_cmp_ne_u32_e64 s34, 0x80000000, v64
	s_delay_alu instid0(VALU_DEP_1) | instskip(NEXT) | instid1(VALU_DEP_1)
	v_cndmask_b32_e64 v64, 0x7fffffff, v64, s34
	v_lshrrev_b32_e32 v64, s49, v64
	s_delay_alu instid0(VALU_DEP_1)
	v_and_b32_e32 v127, s58, v64
	s_or_b32 exec_lo, exec_lo, s42
	s_and_saveexec_b32 s42, s26
	s_cbranch_execz .LBB1348_860
.LBB1348_930:                           ;   in Loop: Header=BB1348_730 Depth=2
	ds_load_b32 v64, v92 offset:10752
	s_wait_dscnt 0x0
	v_cmp_ne_u32_e64 s34, 0x80000000, v64
	s_delay_alu instid0(VALU_DEP_1) | instskip(NEXT) | instid1(VALU_DEP_1)
	v_cndmask_b32_e64 v64, 0x7fffffff, v64, s34
	v_lshrrev_b32_e32 v64, s49, v64
	s_delay_alu instid0(VALU_DEP_1)
	v_and_b32_e32 v126, s58, v64
	s_or_b32 exec_lo, exec_lo, s42
	s_and_saveexec_b32 s42, s27
	s_cbranch_execz .LBB1348_861
.LBB1348_931:                           ;   in Loop: Header=BB1348_730 Depth=2
	ds_load_b32 v64, v92 offset:11776
	s_wait_dscnt 0x0
	v_cmp_ne_u32_e64 s34, 0x80000000, v64
	s_delay_alu instid0(VALU_DEP_1) | instskip(NEXT) | instid1(VALU_DEP_1)
	v_cndmask_b32_e64 v64, 0x7fffffff, v64, s34
	v_lshrrev_b32_e32 v64, s49, v64
	s_delay_alu instid0(VALU_DEP_1)
	v_and_b32_e32 v125, s58, v64
	s_or_b32 exec_lo, exec_lo, s42
	s_and_saveexec_b32 s42, s28
	s_cbranch_execz .LBB1348_862
.LBB1348_932:                           ;   in Loop: Header=BB1348_730 Depth=2
	ds_load_b32 v64, v92 offset:12800
	s_wait_dscnt 0x0
	v_cmp_ne_u32_e64 s34, 0x80000000, v64
	s_delay_alu instid0(VALU_DEP_1) | instskip(NEXT) | instid1(VALU_DEP_1)
	v_cndmask_b32_e64 v64, 0x7fffffff, v64, s34
	v_lshrrev_b32_e32 v64, s49, v64
	s_delay_alu instid0(VALU_DEP_1)
	v_and_b32_e32 v124, s58, v64
	s_or_b32 exec_lo, exec_lo, s42
	s_and_saveexec_b32 s42, s29
	s_cbranch_execz .LBB1348_863
.LBB1348_933:                           ;   in Loop: Header=BB1348_730 Depth=2
	ds_load_b32 v64, v92 offset:13824
	s_wait_dscnt 0x0
	v_cmp_ne_u32_e64 s34, 0x80000000, v64
	s_delay_alu instid0(VALU_DEP_1) | instskip(NEXT) | instid1(VALU_DEP_1)
	v_cndmask_b32_e64 v64, 0x7fffffff, v64, s34
	v_lshrrev_b32_e32 v64, s49, v64
	s_delay_alu instid0(VALU_DEP_1)
	v_and_b32_e32 v123, s58, v64
	s_or_b32 exec_lo, exec_lo, s42
	s_and_saveexec_b32 s42, s30
	s_cbranch_execz .LBB1348_864
.LBB1348_934:                           ;   in Loop: Header=BB1348_730 Depth=2
	ds_load_b32 v64, v92 offset:14848
	s_wait_dscnt 0x0
	v_cmp_ne_u32_e64 s34, 0x80000000, v64
	s_delay_alu instid0(VALU_DEP_1) | instskip(NEXT) | instid1(VALU_DEP_1)
	v_cndmask_b32_e64 v64, 0x7fffffff, v64, s34
	v_lshrrev_b32_e32 v64, s49, v64
	s_delay_alu instid0(VALU_DEP_1)
	v_and_b32_e32 v122, s58, v64
	s_or_b32 exec_lo, exec_lo, s42
	s_and_saveexec_b32 s42, s31
	s_cbranch_execz .LBB1348_865
.LBB1348_935:                           ;   in Loop: Header=BB1348_730 Depth=2
	ds_load_b32 v64, v92 offset:15872
	s_wait_dscnt 0x0
	v_cmp_ne_u32_e64 s34, 0x80000000, v64
	s_delay_alu instid0(VALU_DEP_1) | instskip(NEXT) | instid1(VALU_DEP_1)
	v_cndmask_b32_e64 v64, 0x7fffffff, v64, s34
	v_lshrrev_b32_e32 v64, s49, v64
	s_delay_alu instid0(VALU_DEP_1)
	v_and_b32_e32 v121, s58, v64
	s_or_b32 exec_lo, exec_lo, s42
	s_and_saveexec_b32 s42, s33
	s_cbranch_execnz .LBB1348_866
	s_branch .LBB1348_867
.LBB1348_936:                           ;   in Loop: Header=BB1348_730 Depth=2
	v_dual_lshlrev_b32 v64, 2, v137 :: v_dual_add_nc_u32 v65, v92, v4
	ds_load_b32 v66, v64
	ds_load_b64 v[64:65], v65 offset:512
	s_wait_dscnt 0x1
	v_add_nc_u32_e32 v66, v66, v2
	s_wait_dscnt 0x0
	global_store_b64 v66, v[64:65], s[44:45] scale_offset
	s_wait_xcnt 0x0
	s_or_b32 exec_lo, exec_lo, s34
	s_and_saveexec_b32 s34, s17
	s_cbranch_execz .LBB1348_869
.LBB1348_937:                           ;   in Loop: Header=BB1348_730 Depth=2
	v_lshlrev_b32_e32 v64, 2, v136
	v_add_nc_u32_e32 v65, v92, v4
	ds_load_b32 v66, v64
	ds_load_b64 v[64:65], v65 offset:2560
	s_wait_dscnt 0x1
	v_add_nc_u32_e32 v66, v66, v3
	s_wait_dscnt 0x0
	global_store_b64 v66, v[64:65], s[44:45] scale_offset
	s_wait_xcnt 0x0
	s_or_b32 exec_lo, exec_lo, s34
	s_and_saveexec_b32 s17, s18
	s_cbranch_execz .LBB1348_870
.LBB1348_938:                           ;   in Loop: Header=BB1348_730 Depth=2
	v_dual_lshlrev_b32 v64, 2, v135 :: v_dual_add_nc_u32 v65, v92, v4
	ds_load_b32 v66, v64
	ds_load_b64 v[64:65], v65 offset:4608
	s_wait_dscnt 0x1
	v_add_nc_u32_e32 v66, v66, v68
	s_wait_dscnt 0x0
	global_store_b64 v66, v[64:65], s[44:45] scale_offset
	s_wait_xcnt 0x0
	s_or_b32 exec_lo, exec_lo, s17
	s_and_saveexec_b32 s17, s19
	s_cbranch_execz .LBB1348_871
.LBB1348_939:                           ;   in Loop: Header=BB1348_730 Depth=2
	v_dual_lshlrev_b32 v64, 2, v134 :: v_dual_add_nc_u32 v65, v92, v4
	ds_load_b32 v66, v64
	ds_load_b64 v[64:65], v65 offset:6656
	s_wait_dscnt 0x1
	v_add_nc_u32_e32 v66, v66, v69
	s_wait_dscnt 0x0
	global_store_b64 v66, v[64:65], s[44:45] scale_offset
	s_wait_xcnt 0x0
	s_or_b32 exec_lo, exec_lo, s17
	s_and_saveexec_b32 s17, s20
	s_cbranch_execz .LBB1348_872
.LBB1348_940:                           ;   in Loop: Header=BB1348_730 Depth=2
	v_lshlrev_b32_e32 v64, 2, v132
	v_add_nc_u32_e32 v65, v92, v4
	ds_load_b32 v66, v64
	ds_load_b64 v[64:65], v65 offset:8704
	s_wait_dscnt 0x1
	v_add_nc_u32_e32 v66, v66, v70
	s_wait_dscnt 0x0
	global_store_b64 v66, v[64:65], s[44:45] scale_offset
	s_wait_xcnt 0x0
	s_or_b32 exec_lo, exec_lo, s17
	s_and_saveexec_b32 s17, s21
	s_cbranch_execz .LBB1348_873
.LBB1348_941:                           ;   in Loop: Header=BB1348_730 Depth=2
	v_dual_lshlrev_b32 v64, 2, v131 :: v_dual_add_nc_u32 v65, v92, v4
	ds_load_b32 v66, v64
	ds_load_b64 v[64:65], v65 offset:10752
	s_wait_dscnt 0x1
	v_add_nc_u32_e32 v66, v66, v71
	s_wait_dscnt 0x0
	global_store_b64 v66, v[64:65], s[44:45] scale_offset
	s_wait_xcnt 0x0
	s_or_b32 exec_lo, exec_lo, s17
	s_and_saveexec_b32 s17, s22
	s_cbranch_execz .LBB1348_874
.LBB1348_942:                           ;   in Loop: Header=BB1348_730 Depth=2
	v_dual_lshlrev_b32 v64, 2, v130 :: v_dual_add_nc_u32 v65, v92, v4
	ds_load_b32 v66, v64
	ds_load_b64 v[64:65], v65 offset:12800
	s_wait_dscnt 0x1
	v_add_nc_u32_e32 v66, v66, v72
	s_wait_dscnt 0x0
	global_store_b64 v66, v[64:65], s[44:45] scale_offset
	s_wait_xcnt 0x0
	s_or_b32 exec_lo, exec_lo, s17
	s_and_saveexec_b32 s17, s23
	s_cbranch_execz .LBB1348_875
.LBB1348_943:                           ;   in Loop: Header=BB1348_730 Depth=2
	v_dual_lshlrev_b32 v64, 2, v129 :: v_dual_add_nc_u32 v65, v92, v4
	ds_load_b32 v66, v64
	ds_load_b64 v[64:65], v65 offset:14848
	s_wait_dscnt 0x1
	v_add_nc_u32_e32 v66, v66, v73
	s_wait_dscnt 0x0
	global_store_b64 v66, v[64:65], s[44:45] scale_offset
	s_wait_xcnt 0x0
	s_or_b32 exec_lo, exec_lo, s17
	s_and_saveexec_b32 s17, s24
	s_cbranch_execz .LBB1348_876
.LBB1348_944:                           ;   in Loop: Header=BB1348_730 Depth=2
	v_lshlrev_b32_e32 v64, 2, v128
	v_add_nc_u32_e32 v65, v92, v4
	ds_load_b32 v66, v64
	ds_load_b64 v[64:65], v65 offset:16896
	s_wait_dscnt 0x1
	v_add_nc_u32_e32 v66, v66, v74
	s_wait_dscnt 0x0
	global_store_b64 v66, v[64:65], s[44:45] scale_offset
	s_wait_xcnt 0x0
	s_or_b32 exec_lo, exec_lo, s17
	s_and_saveexec_b32 s17, s25
	s_cbranch_execz .LBB1348_877
.LBB1348_945:                           ;   in Loop: Header=BB1348_730 Depth=2
	v_dual_lshlrev_b32 v64, 2, v127 :: v_dual_add_nc_u32 v65, v92, v4
	ds_load_b32 v66, v64
	ds_load_b64 v[64:65], v65 offset:18944
	s_wait_dscnt 0x1
	v_add_nc_u32_e32 v66, v66, v75
	s_wait_dscnt 0x0
	global_store_b64 v66, v[64:65], s[44:45] scale_offset
	s_wait_xcnt 0x0
	s_or_b32 exec_lo, exec_lo, s17
	s_and_saveexec_b32 s17, s26
	s_cbranch_execz .LBB1348_878
.LBB1348_946:                           ;   in Loop: Header=BB1348_730 Depth=2
	v_dual_lshlrev_b32 v64, 2, v126 :: v_dual_add_nc_u32 v65, v92, v4
	ds_load_b32 v66, v64
	ds_load_b64 v[64:65], v65 offset:20992
	s_wait_dscnt 0x1
	v_add_nc_u32_e32 v66, v66, v76
	s_wait_dscnt 0x0
	global_store_b64 v66, v[64:65], s[44:45] scale_offset
	s_wait_xcnt 0x0
	s_or_b32 exec_lo, exec_lo, s17
	s_and_saveexec_b32 s17, s27
	s_cbranch_execz .LBB1348_879
.LBB1348_947:                           ;   in Loop: Header=BB1348_730 Depth=2
	v_dual_lshlrev_b32 v64, 2, v125 :: v_dual_add_nc_u32 v65, v92, v4
	ds_load_b32 v66, v64
	ds_load_b64 v[64:65], v65 offset:23040
	s_wait_dscnt 0x1
	v_add_nc_u32_e32 v66, v66, v77
	s_wait_dscnt 0x0
	global_store_b64 v66, v[64:65], s[44:45] scale_offset
	s_wait_xcnt 0x0
	s_or_b32 exec_lo, exec_lo, s17
	s_and_saveexec_b32 s17, s28
	s_cbranch_execz .LBB1348_880
.LBB1348_948:                           ;   in Loop: Header=BB1348_730 Depth=2
	v_lshlrev_b32_e32 v64, 2, v124
	v_add_nc_u32_e32 v65, v92, v4
	ds_load_b32 v66, v64
	ds_load_b64 v[64:65], v65 offset:25088
	s_wait_dscnt 0x1
	v_add_nc_u32_e32 v66, v66, v78
	s_wait_dscnt 0x0
	global_store_b64 v66, v[64:65], s[44:45] scale_offset
	s_wait_xcnt 0x0
	s_or_b32 exec_lo, exec_lo, s17
	s_and_saveexec_b32 s17, s29
	s_cbranch_execz .LBB1348_881
.LBB1348_949:                           ;   in Loop: Header=BB1348_730 Depth=2
	v_dual_lshlrev_b32 v64, 2, v123 :: v_dual_add_nc_u32 v65, v92, v4
	ds_load_b32 v66, v64
	ds_load_b64 v[64:65], v65 offset:27136
	s_wait_dscnt 0x1
	v_add_nc_u32_e32 v66, v66, v79
	s_wait_dscnt 0x0
	global_store_b64 v66, v[64:65], s[44:45] scale_offset
	s_wait_xcnt 0x0
	s_or_b32 exec_lo, exec_lo, s17
	s_and_saveexec_b32 s17, s30
	s_cbranch_execz .LBB1348_882
.LBB1348_950:                           ;   in Loop: Header=BB1348_730 Depth=2
	v_dual_lshlrev_b32 v64, 2, v122 :: v_dual_add_nc_u32 v65, v92, v4
	ds_load_b32 v66, v64
	ds_load_b64 v[64:65], v65 offset:29184
	s_wait_dscnt 0x1
	v_add_nc_u32_e32 v66, v66, v80
	s_wait_dscnt 0x0
	global_store_b64 v66, v[64:65], s[44:45] scale_offset
	s_wait_xcnt 0x0
	s_or_b32 exec_lo, exec_lo, s17
	s_and_saveexec_b32 s17, s31
	s_cbranch_execz .LBB1348_883
.LBB1348_951:                           ;   in Loop: Header=BB1348_730 Depth=2
	v_dual_lshlrev_b32 v64, 2, v121 :: v_dual_add_nc_u32 v65, v92, v4
	ds_load_b32 v66, v64
	ds_load_b64 v[64:65], v65 offset:31232
	s_wait_dscnt 0x1
	v_add_nc_u32_e32 v66, v66, v81
	s_wait_dscnt 0x0
	global_store_b64 v66, v[64:65], s[44:45] scale_offset
	s_wait_xcnt 0x0
	s_or_b32 exec_lo, exec_lo, s17
	s_and_saveexec_b32 s17, s33
	s_cbranch_execnz .LBB1348_884
	s_branch .LBB1348_885
.LBB1348_952:                           ;   in Loop: Header=BB1348_20 Depth=1
	s_wait_dscnt 0x0
	s_barrier_signal -1
	s_mov_b32 s9, 0
	s_barrier_wait -1
.LBB1348_953:                           ;   in Loop: Header=BB1348_20 Depth=1
	s_and_b32 vcc_lo, exec_lo, s9
	s_cbranch_vccz .LBB1348_19
; %bb.954:                              ;   in Loop: Header=BB1348_20 Depth=1
	s_mov_b32 s9, s57
	s_mov_b32 s42, s55
	s_barrier_signal -1
	s_barrier_wait -1
                                        ; implicit-def: $vgpr25
                                        ; implicit-def: $vgpr26
                                        ; implicit-def: $vgpr27
                                        ; implicit-def: $vgpr28
                                        ; implicit-def: $vgpr29
                                        ; implicit-def: $vgpr30
                                        ; implicit-def: $vgpr31
                                        ; implicit-def: $vgpr32
                                        ; implicit-def: $vgpr33
                                        ; implicit-def: $vgpr34
                                        ; implicit-def: $vgpr35
                                        ; implicit-def: $vgpr36
                                        ; implicit-def: $vgpr37
                                        ; implicit-def: $vgpr38
                                        ; implicit-def: $vgpr39
                                        ; implicit-def: $vgpr40
                                        ; implicit-def: $vgpr41
	s_branch .LBB1348_956
.LBB1348_955:                           ;   in Loop: Header=BB1348_956 Depth=2
	s_or_b32 exec_lo, exec_lo, s10
	s_addk_co_i32 s9, 0xef00
	s_cmp_ge_u32 s12, s54
	s_mov_b32 s42, s12
	s_cbranch_scc1 .LBB1348_1028
.LBB1348_956:                           ;   Parent Loop BB1348_20 Depth=1
                                        ; =>  This Inner Loop Header: Depth=2
	s_add_co_i32 s12, s42, 0x1100
	s_mov_b32 s10, -1
	s_cmp_gt_u32 s12, s54
                                        ; implicit-def: $vgpr42
                                        ; implicit-def: $vgpr43
                                        ; implicit-def: $vgpr44
                                        ; implicit-def: $vgpr45
                                        ; implicit-def: $vgpr46
                                        ; implicit-def: $vgpr47
                                        ; implicit-def: $vgpr48
                                        ; implicit-def: $vgpr49
                                        ; implicit-def: $vgpr50
                                        ; implicit-def: $vgpr51
                                        ; implicit-def: $vgpr52
                                        ; implicit-def: $vgpr53
                                        ; implicit-def: $vgpr54
                                        ; implicit-def: $vgpr55
                                        ; implicit-def: $vgpr56
                                        ; implicit-def: $vgpr57
                                        ; implicit-def: $vgpr58
	s_cbranch_scc1 .LBB1348_958
; %bb.957:                              ;   in Loop: Header=BB1348_956 Depth=2
	v_lshl_add_u64 v[60:61], s[42:43], 2, v[22:23]
	s_mov_b32 s10, 0
	s_clause 0x10
	global_load_b32 v42, v[60:61], off
	global_load_b32 v43, v[60:61], off offset:1024
	global_load_b32 v44, v[60:61], off offset:2048
	;; [unrolled: 1-line block ×16, first 2 shown]
.LBB1348_958:                           ;   in Loop: Header=BB1348_956 Depth=2
	s_and_not1_b32 vcc_lo, exec_lo, s10
	s_movk_i32 s10, 0x1100
	s_cbranch_vccnz .LBB1348_978
; %bb.959:                              ;   in Loop: Header=BB1348_956 Depth=2
	s_lshl_b64 s[10:11], s[42:43], 2
	s_mov_b32 s13, exec_lo
	s_add_nc_u64 s[10:11], s[36:37], s[10:11]
	s_wait_xcnt 0x0
	v_cmpx_gt_u32_e64 s9, v2
	s_cbranch_execnz .LBB1348_1012
; %bb.960:                              ;   in Loop: Header=BB1348_956 Depth=2
	s_or_b32 exec_lo, exec_lo, s13
	s_delay_alu instid0(SALU_CYCLE_1)
	s_mov_b32 s13, exec_lo
	v_cmpx_gt_u32_e64 s9, v3
	s_cbranch_execnz .LBB1348_1013
.LBB1348_961:                           ;   in Loop: Header=BB1348_956 Depth=2
	s_or_b32 exec_lo, exec_lo, s13
	s_delay_alu instid0(SALU_CYCLE_1)
	s_mov_b32 s13, exec_lo
	v_cmpx_gt_u32_e64 s9, v68
	s_cbranch_execnz .LBB1348_1014
.LBB1348_962:                           ;   in Loop: Header=BB1348_956 Depth=2
	s_or_b32 exec_lo, exec_lo, s13
	s_delay_alu instid0(SALU_CYCLE_1)
	s_mov_b32 s13, exec_lo
	v_cmpx_gt_u32_e64 s9, v69
	s_cbranch_execnz .LBB1348_1015
.LBB1348_963:                           ;   in Loop: Header=BB1348_956 Depth=2
	s_or_b32 exec_lo, exec_lo, s13
	s_delay_alu instid0(SALU_CYCLE_1)
	s_mov_b32 s13, exec_lo
	v_cmpx_gt_u32_e64 s9, v70
	s_cbranch_execnz .LBB1348_1016
.LBB1348_964:                           ;   in Loop: Header=BB1348_956 Depth=2
	s_or_b32 exec_lo, exec_lo, s13
	s_delay_alu instid0(SALU_CYCLE_1)
	s_mov_b32 s13, exec_lo
	v_cmpx_gt_u32_e64 s9, v71
	s_cbranch_execnz .LBB1348_1017
.LBB1348_965:                           ;   in Loop: Header=BB1348_956 Depth=2
	s_or_b32 exec_lo, exec_lo, s13
	s_delay_alu instid0(SALU_CYCLE_1)
	s_mov_b32 s13, exec_lo
	v_cmpx_gt_u32_e64 s9, v72
	s_cbranch_execnz .LBB1348_1018
.LBB1348_966:                           ;   in Loop: Header=BB1348_956 Depth=2
	s_or_b32 exec_lo, exec_lo, s13
	s_delay_alu instid0(SALU_CYCLE_1)
	s_mov_b32 s13, exec_lo
	v_cmpx_gt_u32_e64 s9, v73
	s_cbranch_execnz .LBB1348_1019
.LBB1348_967:                           ;   in Loop: Header=BB1348_956 Depth=2
	s_or_b32 exec_lo, exec_lo, s13
	s_delay_alu instid0(SALU_CYCLE_1)
	s_mov_b32 s13, exec_lo
	v_cmpx_gt_u32_e64 s9, v74
	s_cbranch_execnz .LBB1348_1020
.LBB1348_968:                           ;   in Loop: Header=BB1348_956 Depth=2
	s_or_b32 exec_lo, exec_lo, s13
	s_delay_alu instid0(SALU_CYCLE_1)
	s_mov_b32 s13, exec_lo
	v_cmpx_gt_u32_e64 s9, v75
	s_cbranch_execnz .LBB1348_1021
.LBB1348_969:                           ;   in Loop: Header=BB1348_956 Depth=2
	s_or_b32 exec_lo, exec_lo, s13
	s_delay_alu instid0(SALU_CYCLE_1)
	s_mov_b32 s13, exec_lo
	v_cmpx_gt_u32_e64 s9, v76
	s_cbranch_execnz .LBB1348_1022
.LBB1348_970:                           ;   in Loop: Header=BB1348_956 Depth=2
	s_or_b32 exec_lo, exec_lo, s13
	s_delay_alu instid0(SALU_CYCLE_1)
	s_mov_b32 s13, exec_lo
	v_cmpx_gt_u32_e64 s9, v77
	s_cbranch_execnz .LBB1348_1023
.LBB1348_971:                           ;   in Loop: Header=BB1348_956 Depth=2
	s_or_b32 exec_lo, exec_lo, s13
	s_delay_alu instid0(SALU_CYCLE_1)
	s_mov_b32 s13, exec_lo
	v_cmpx_gt_u32_e64 s9, v78
	s_cbranch_execnz .LBB1348_1024
.LBB1348_972:                           ;   in Loop: Header=BB1348_956 Depth=2
	s_or_b32 exec_lo, exec_lo, s13
	s_delay_alu instid0(SALU_CYCLE_1)
	s_mov_b32 s13, exec_lo
	v_cmpx_gt_u32_e64 s9, v79
	s_cbranch_execnz .LBB1348_1025
.LBB1348_973:                           ;   in Loop: Header=BB1348_956 Depth=2
	s_or_b32 exec_lo, exec_lo, s13
	s_delay_alu instid0(SALU_CYCLE_1)
	s_mov_b32 s13, exec_lo
	v_cmpx_gt_u32_e64 s9, v80
	s_cbranch_execnz .LBB1348_1026
.LBB1348_974:                           ;   in Loop: Header=BB1348_956 Depth=2
	s_or_b32 exec_lo, exec_lo, s13
	s_delay_alu instid0(SALU_CYCLE_1)
	s_mov_b32 s13, exec_lo
	v_cmpx_gt_u32_e64 s9, v81
	s_cbranch_execnz .LBB1348_1027
.LBB1348_975:                           ;   in Loop: Header=BB1348_956 Depth=2
	s_or_b32 exec_lo, exec_lo, s13
	s_delay_alu instid0(SALU_CYCLE_1)
	s_mov_b32 s13, exec_lo
	v_cmpx_gt_u32_e64 s9, v82
	s_cbranch_execz .LBB1348_977
.LBB1348_976:                           ;   in Loop: Header=BB1348_956 Depth=2
	global_load_b32 v25, v2, s[10:11] offset:16384 scale_offset
.LBB1348_977:                           ;   in Loop: Header=BB1348_956 Depth=2
	s_wait_xcnt 0x0
	s_or_b32 exec_lo, exec_lo, s13
	s_wait_loadcnt 0x0
	v_dual_mov_b32 v42, v41 :: v_dual_mov_b32 v43, v40
	v_dual_mov_b32 v44, v39 :: v_dual_mov_b32 v45, v38
	;; [unrolled: 1-line block ×8, first 2 shown]
	v_mov_b32_e32 v58, v25
	s_mov_b32 s10, s9
.LBB1348_978:                           ;   in Loop: Header=BB1348_956 Depth=2
	s_wait_loadcnt 0x0
	s_delay_alu instid0(VALU_DEP_1)
	v_dual_mov_b32 v25, v58 :: v_dual_mov_b32 v26, v57
	v_dual_mov_b32 v27, v56 :: v_dual_mov_b32 v28, v55
	;; [unrolled: 1-line block ×8, first 2 shown]
	v_mov_b32_e32 v41, v42
	s_mov_b32 s11, exec_lo
	s_wait_xcnt 0x0
	v_cmpx_gt_u32_e64 s10, v2
	s_cbranch_execnz .LBB1348_995
; %bb.979:                              ;   in Loop: Header=BB1348_956 Depth=2
	s_or_b32 exec_lo, exec_lo, s11
	s_delay_alu instid0(SALU_CYCLE_1)
	s_mov_b32 s11, exec_lo
	v_cmpx_gt_u32_e64 s10, v3
	s_cbranch_execnz .LBB1348_996
.LBB1348_980:                           ;   in Loop: Header=BB1348_956 Depth=2
	s_or_b32 exec_lo, exec_lo, s11
	s_delay_alu instid0(SALU_CYCLE_1)
	s_mov_b32 s11, exec_lo
	v_cmpx_gt_u32_e64 s10, v68
	s_cbranch_execnz .LBB1348_997
.LBB1348_981:                           ;   in Loop: Header=BB1348_956 Depth=2
	s_or_b32 exec_lo, exec_lo, s11
	s_delay_alu instid0(SALU_CYCLE_1)
	s_mov_b32 s11, exec_lo
	v_cmpx_gt_u32_e64 s10, v69
	s_cbranch_execnz .LBB1348_998
.LBB1348_982:                           ;   in Loop: Header=BB1348_956 Depth=2
	s_or_b32 exec_lo, exec_lo, s11
	s_delay_alu instid0(SALU_CYCLE_1)
	s_mov_b32 s11, exec_lo
	v_cmpx_gt_u32_e64 s10, v70
	s_cbranch_execnz .LBB1348_999
.LBB1348_983:                           ;   in Loop: Header=BB1348_956 Depth=2
	s_or_b32 exec_lo, exec_lo, s11
	s_delay_alu instid0(SALU_CYCLE_1)
	s_mov_b32 s11, exec_lo
	v_cmpx_gt_u32_e64 s10, v71
	s_cbranch_execnz .LBB1348_1000
.LBB1348_984:                           ;   in Loop: Header=BB1348_956 Depth=2
	s_or_b32 exec_lo, exec_lo, s11
	s_delay_alu instid0(SALU_CYCLE_1)
	s_mov_b32 s11, exec_lo
	v_cmpx_gt_u32_e64 s10, v72
	s_cbranch_execnz .LBB1348_1001
.LBB1348_985:                           ;   in Loop: Header=BB1348_956 Depth=2
	s_or_b32 exec_lo, exec_lo, s11
	s_delay_alu instid0(SALU_CYCLE_1)
	s_mov_b32 s11, exec_lo
	v_cmpx_gt_u32_e64 s10, v73
	s_cbranch_execnz .LBB1348_1002
.LBB1348_986:                           ;   in Loop: Header=BB1348_956 Depth=2
	s_or_b32 exec_lo, exec_lo, s11
	s_delay_alu instid0(SALU_CYCLE_1)
	s_mov_b32 s11, exec_lo
	v_cmpx_gt_u32_e64 s10, v74
	s_cbranch_execnz .LBB1348_1003
.LBB1348_987:                           ;   in Loop: Header=BB1348_956 Depth=2
	s_or_b32 exec_lo, exec_lo, s11
	s_delay_alu instid0(SALU_CYCLE_1)
	s_mov_b32 s11, exec_lo
	v_cmpx_gt_u32_e64 s10, v75
	s_cbranch_execnz .LBB1348_1004
.LBB1348_988:                           ;   in Loop: Header=BB1348_956 Depth=2
	s_or_b32 exec_lo, exec_lo, s11
	s_delay_alu instid0(SALU_CYCLE_1)
	s_mov_b32 s11, exec_lo
	v_cmpx_gt_u32_e64 s10, v76
	s_cbranch_execnz .LBB1348_1005
.LBB1348_989:                           ;   in Loop: Header=BB1348_956 Depth=2
	s_or_b32 exec_lo, exec_lo, s11
	s_delay_alu instid0(SALU_CYCLE_1)
	s_mov_b32 s11, exec_lo
	v_cmpx_gt_u32_e64 s10, v77
	s_cbranch_execnz .LBB1348_1006
.LBB1348_990:                           ;   in Loop: Header=BB1348_956 Depth=2
	s_or_b32 exec_lo, exec_lo, s11
	s_delay_alu instid0(SALU_CYCLE_1)
	s_mov_b32 s11, exec_lo
	v_cmpx_gt_u32_e64 s10, v78
	s_cbranch_execnz .LBB1348_1007
.LBB1348_991:                           ;   in Loop: Header=BB1348_956 Depth=2
	s_or_b32 exec_lo, exec_lo, s11
	s_delay_alu instid0(SALU_CYCLE_1)
	s_mov_b32 s11, exec_lo
	v_cmpx_gt_u32_e64 s10, v79
	s_cbranch_execnz .LBB1348_1008
.LBB1348_992:                           ;   in Loop: Header=BB1348_956 Depth=2
	s_or_b32 exec_lo, exec_lo, s11
	s_delay_alu instid0(SALU_CYCLE_1)
	s_mov_b32 s11, exec_lo
	v_cmpx_gt_u32_e64 s10, v80
	s_cbranch_execnz .LBB1348_1009
.LBB1348_993:                           ;   in Loop: Header=BB1348_956 Depth=2
	s_or_b32 exec_lo, exec_lo, s11
	s_delay_alu instid0(SALU_CYCLE_1)
	s_mov_b32 s11, exec_lo
	v_cmpx_gt_u32_e64 s10, v81
	s_cbranch_execnz .LBB1348_1010
.LBB1348_994:                           ;   in Loop: Header=BB1348_956 Depth=2
	s_or_b32 exec_lo, exec_lo, s11
	v_cmp_gt_u32_e32 vcc_lo, s10, v82
	s_and_saveexec_b32 s10, vcc_lo
	s_cbranch_execz .LBB1348_955
	s_branch .LBB1348_1011
.LBB1348_995:                           ;   in Loop: Header=BB1348_956 Depth=2
	v_cmp_gt_i32_e32 vcc_lo, 0, v41
	v_cndmask_b32_e64 v42, 0x7fffffff, 0, vcc_lo
	s_delay_alu instid0(VALU_DEP_1) | instskip(NEXT) | instid1(VALU_DEP_1)
	v_xor_b32_e32 v42, v42, v41
	v_cmp_ne_u32_e32 vcc_lo, 0x80000000, v42
	v_cndmask_b32_e32 v42, 0x7fffffff, v42, vcc_lo
	s_delay_alu instid0(VALU_DEP_1) | instskip(NEXT) | instid1(VALU_DEP_1)
	v_lshrrev_b32_e32 v42, s49, v42
	v_and_b32_e32 v42, s58, v42
	s_delay_alu instid0(VALU_DEP_1) | instskip(SKIP_2) | instid1(SALU_CYCLE_1)
	v_lshl_or_b32 v42, v42, 4, v84
	ds_add_u32 v42, v96
	s_or_b32 exec_lo, exec_lo, s11
	s_mov_b32 s11, exec_lo
	v_cmpx_gt_u32_e64 s10, v3
	s_cbranch_execz .LBB1348_980
.LBB1348_996:                           ;   in Loop: Header=BB1348_956 Depth=2
	v_cmp_gt_i32_e32 vcc_lo, 0, v40
	v_cndmask_b32_e64 v42, 0x7fffffff, 0, vcc_lo
	s_delay_alu instid0(VALU_DEP_1) | instskip(NEXT) | instid1(VALU_DEP_1)
	v_xor_b32_e32 v42, v42, v40
	v_cmp_ne_u32_e32 vcc_lo, 0x80000000, v42
	v_cndmask_b32_e32 v42, 0x7fffffff, v42, vcc_lo
	s_delay_alu instid0(VALU_DEP_1) | instskip(NEXT) | instid1(VALU_DEP_1)
	v_lshrrev_b32_e32 v42, s49, v42
	v_and_b32_e32 v42, s58, v42
	s_delay_alu instid0(VALU_DEP_1) | instskip(SKIP_2) | instid1(SALU_CYCLE_1)
	v_lshl_or_b32 v42, v42, 4, v84
	ds_add_u32 v42, v96
	s_or_b32 exec_lo, exec_lo, s11
	s_mov_b32 s11, exec_lo
	v_cmpx_gt_u32_e64 s10, v68
	s_cbranch_execz .LBB1348_981
.LBB1348_997:                           ;   in Loop: Header=BB1348_956 Depth=2
	v_cmp_gt_i32_e32 vcc_lo, 0, v39
	v_cndmask_b32_e64 v42, 0x7fffffff, 0, vcc_lo
	s_delay_alu instid0(VALU_DEP_1) | instskip(NEXT) | instid1(VALU_DEP_1)
	v_xor_b32_e32 v42, v42, v39
	v_cmp_ne_u32_e32 vcc_lo, 0x80000000, v42
	v_cndmask_b32_e32 v42, 0x7fffffff, v42, vcc_lo
	s_delay_alu instid0(VALU_DEP_1) | instskip(NEXT) | instid1(VALU_DEP_1)
	v_lshrrev_b32_e32 v42, s49, v42
	v_and_b32_e32 v42, s58, v42
	s_delay_alu instid0(VALU_DEP_1) | instskip(SKIP_2) | instid1(SALU_CYCLE_1)
	v_lshl_or_b32 v42, v42, 4, v84
	ds_add_u32 v42, v96
	s_or_b32 exec_lo, exec_lo, s11
	s_mov_b32 s11, exec_lo
	v_cmpx_gt_u32_e64 s10, v69
	s_cbranch_execz .LBB1348_982
.LBB1348_998:                           ;   in Loop: Header=BB1348_956 Depth=2
	v_cmp_gt_i32_e32 vcc_lo, 0, v38
	v_cndmask_b32_e64 v42, 0x7fffffff, 0, vcc_lo
	s_delay_alu instid0(VALU_DEP_1) | instskip(NEXT) | instid1(VALU_DEP_1)
	v_xor_b32_e32 v42, v42, v38
	v_cmp_ne_u32_e32 vcc_lo, 0x80000000, v42
	v_cndmask_b32_e32 v42, 0x7fffffff, v42, vcc_lo
	s_delay_alu instid0(VALU_DEP_1) | instskip(NEXT) | instid1(VALU_DEP_1)
	v_lshrrev_b32_e32 v42, s49, v42
	v_and_b32_e32 v42, s58, v42
	s_delay_alu instid0(VALU_DEP_1) | instskip(SKIP_2) | instid1(SALU_CYCLE_1)
	v_lshl_or_b32 v42, v42, 4, v84
	ds_add_u32 v42, v96
	s_or_b32 exec_lo, exec_lo, s11
	s_mov_b32 s11, exec_lo
	v_cmpx_gt_u32_e64 s10, v70
	s_cbranch_execz .LBB1348_983
.LBB1348_999:                           ;   in Loop: Header=BB1348_956 Depth=2
	v_cmp_gt_i32_e32 vcc_lo, 0, v37
	v_cndmask_b32_e64 v42, 0x7fffffff, 0, vcc_lo
	s_delay_alu instid0(VALU_DEP_1) | instskip(NEXT) | instid1(VALU_DEP_1)
	v_xor_b32_e32 v42, v42, v37
	v_cmp_ne_u32_e32 vcc_lo, 0x80000000, v42
	v_cndmask_b32_e32 v42, 0x7fffffff, v42, vcc_lo
	s_delay_alu instid0(VALU_DEP_1) | instskip(NEXT) | instid1(VALU_DEP_1)
	v_lshrrev_b32_e32 v42, s49, v42
	v_and_b32_e32 v42, s58, v42
	s_delay_alu instid0(VALU_DEP_1) | instskip(SKIP_2) | instid1(SALU_CYCLE_1)
	v_lshl_or_b32 v42, v42, 4, v84
	ds_add_u32 v42, v96
	s_or_b32 exec_lo, exec_lo, s11
	s_mov_b32 s11, exec_lo
	v_cmpx_gt_u32_e64 s10, v71
	s_cbranch_execz .LBB1348_984
.LBB1348_1000:                          ;   in Loop: Header=BB1348_956 Depth=2
	v_cmp_gt_i32_e32 vcc_lo, 0, v36
	v_cndmask_b32_e64 v42, 0x7fffffff, 0, vcc_lo
	s_delay_alu instid0(VALU_DEP_1) | instskip(NEXT) | instid1(VALU_DEP_1)
	v_xor_b32_e32 v42, v42, v36
	v_cmp_ne_u32_e32 vcc_lo, 0x80000000, v42
	v_cndmask_b32_e32 v42, 0x7fffffff, v42, vcc_lo
	s_delay_alu instid0(VALU_DEP_1) | instskip(NEXT) | instid1(VALU_DEP_1)
	v_lshrrev_b32_e32 v42, s49, v42
	v_and_b32_e32 v42, s58, v42
	s_delay_alu instid0(VALU_DEP_1) | instskip(SKIP_2) | instid1(SALU_CYCLE_1)
	v_lshl_or_b32 v42, v42, 4, v84
	ds_add_u32 v42, v96
	s_or_b32 exec_lo, exec_lo, s11
	s_mov_b32 s11, exec_lo
	v_cmpx_gt_u32_e64 s10, v72
	s_cbranch_execz .LBB1348_985
.LBB1348_1001:                          ;   in Loop: Header=BB1348_956 Depth=2
	v_cmp_gt_i32_e32 vcc_lo, 0, v35
	v_cndmask_b32_e64 v42, 0x7fffffff, 0, vcc_lo
	s_delay_alu instid0(VALU_DEP_1) | instskip(NEXT) | instid1(VALU_DEP_1)
	v_xor_b32_e32 v42, v42, v35
	v_cmp_ne_u32_e32 vcc_lo, 0x80000000, v42
	v_cndmask_b32_e32 v42, 0x7fffffff, v42, vcc_lo
	s_delay_alu instid0(VALU_DEP_1) | instskip(NEXT) | instid1(VALU_DEP_1)
	v_lshrrev_b32_e32 v42, s49, v42
	v_and_b32_e32 v42, s58, v42
	s_delay_alu instid0(VALU_DEP_1) | instskip(SKIP_2) | instid1(SALU_CYCLE_1)
	v_lshl_or_b32 v42, v42, 4, v84
	ds_add_u32 v42, v96
	s_or_b32 exec_lo, exec_lo, s11
	s_mov_b32 s11, exec_lo
	v_cmpx_gt_u32_e64 s10, v73
	s_cbranch_execz .LBB1348_986
.LBB1348_1002:                          ;   in Loop: Header=BB1348_956 Depth=2
	v_cmp_gt_i32_e32 vcc_lo, 0, v34
	v_cndmask_b32_e64 v42, 0x7fffffff, 0, vcc_lo
	s_delay_alu instid0(VALU_DEP_1) | instskip(NEXT) | instid1(VALU_DEP_1)
	v_xor_b32_e32 v42, v42, v34
	v_cmp_ne_u32_e32 vcc_lo, 0x80000000, v42
	v_cndmask_b32_e32 v42, 0x7fffffff, v42, vcc_lo
	s_delay_alu instid0(VALU_DEP_1) | instskip(NEXT) | instid1(VALU_DEP_1)
	v_lshrrev_b32_e32 v42, s49, v42
	v_and_b32_e32 v42, s58, v42
	s_delay_alu instid0(VALU_DEP_1) | instskip(SKIP_2) | instid1(SALU_CYCLE_1)
	v_lshl_or_b32 v42, v42, 4, v84
	ds_add_u32 v42, v96
	s_or_b32 exec_lo, exec_lo, s11
	s_mov_b32 s11, exec_lo
	v_cmpx_gt_u32_e64 s10, v74
	s_cbranch_execz .LBB1348_987
.LBB1348_1003:                          ;   in Loop: Header=BB1348_956 Depth=2
	v_cmp_gt_i32_e32 vcc_lo, 0, v33
	v_cndmask_b32_e64 v42, 0x7fffffff, 0, vcc_lo
	s_delay_alu instid0(VALU_DEP_1) | instskip(NEXT) | instid1(VALU_DEP_1)
	v_xor_b32_e32 v42, v42, v33
	v_cmp_ne_u32_e32 vcc_lo, 0x80000000, v42
	v_cndmask_b32_e32 v42, 0x7fffffff, v42, vcc_lo
	s_delay_alu instid0(VALU_DEP_1) | instskip(NEXT) | instid1(VALU_DEP_1)
	v_lshrrev_b32_e32 v42, s49, v42
	v_and_b32_e32 v42, s58, v42
	s_delay_alu instid0(VALU_DEP_1) | instskip(SKIP_2) | instid1(SALU_CYCLE_1)
	v_lshl_or_b32 v42, v42, 4, v84
	ds_add_u32 v42, v96
	s_or_b32 exec_lo, exec_lo, s11
	s_mov_b32 s11, exec_lo
	v_cmpx_gt_u32_e64 s10, v75
	s_cbranch_execz .LBB1348_988
.LBB1348_1004:                          ;   in Loop: Header=BB1348_956 Depth=2
	v_cmp_gt_i32_e32 vcc_lo, 0, v32
	v_cndmask_b32_e64 v42, 0x7fffffff, 0, vcc_lo
	s_delay_alu instid0(VALU_DEP_1) | instskip(NEXT) | instid1(VALU_DEP_1)
	v_xor_b32_e32 v42, v42, v32
	v_cmp_ne_u32_e32 vcc_lo, 0x80000000, v42
	v_cndmask_b32_e32 v42, 0x7fffffff, v42, vcc_lo
	s_delay_alu instid0(VALU_DEP_1) | instskip(NEXT) | instid1(VALU_DEP_1)
	v_lshrrev_b32_e32 v42, s49, v42
	v_and_b32_e32 v42, s58, v42
	s_delay_alu instid0(VALU_DEP_1) | instskip(SKIP_2) | instid1(SALU_CYCLE_1)
	v_lshl_or_b32 v42, v42, 4, v84
	ds_add_u32 v42, v96
	s_or_b32 exec_lo, exec_lo, s11
	s_mov_b32 s11, exec_lo
	v_cmpx_gt_u32_e64 s10, v76
	s_cbranch_execz .LBB1348_989
.LBB1348_1005:                          ;   in Loop: Header=BB1348_956 Depth=2
	v_cmp_gt_i32_e32 vcc_lo, 0, v31
	v_cndmask_b32_e64 v42, 0x7fffffff, 0, vcc_lo
	s_delay_alu instid0(VALU_DEP_1) | instskip(NEXT) | instid1(VALU_DEP_1)
	v_xor_b32_e32 v42, v42, v31
	v_cmp_ne_u32_e32 vcc_lo, 0x80000000, v42
	v_cndmask_b32_e32 v42, 0x7fffffff, v42, vcc_lo
	s_delay_alu instid0(VALU_DEP_1) | instskip(NEXT) | instid1(VALU_DEP_1)
	v_lshrrev_b32_e32 v42, s49, v42
	v_and_b32_e32 v42, s58, v42
	s_delay_alu instid0(VALU_DEP_1) | instskip(SKIP_2) | instid1(SALU_CYCLE_1)
	v_lshl_or_b32 v42, v42, 4, v84
	ds_add_u32 v42, v96
	s_or_b32 exec_lo, exec_lo, s11
	s_mov_b32 s11, exec_lo
	v_cmpx_gt_u32_e64 s10, v77
	s_cbranch_execz .LBB1348_990
.LBB1348_1006:                          ;   in Loop: Header=BB1348_956 Depth=2
	v_cmp_gt_i32_e32 vcc_lo, 0, v30
	v_cndmask_b32_e64 v42, 0x7fffffff, 0, vcc_lo
	s_delay_alu instid0(VALU_DEP_1) | instskip(NEXT) | instid1(VALU_DEP_1)
	v_xor_b32_e32 v42, v42, v30
	v_cmp_ne_u32_e32 vcc_lo, 0x80000000, v42
	v_cndmask_b32_e32 v42, 0x7fffffff, v42, vcc_lo
	s_delay_alu instid0(VALU_DEP_1) | instskip(NEXT) | instid1(VALU_DEP_1)
	v_lshrrev_b32_e32 v42, s49, v42
	v_and_b32_e32 v42, s58, v42
	s_delay_alu instid0(VALU_DEP_1) | instskip(SKIP_2) | instid1(SALU_CYCLE_1)
	v_lshl_or_b32 v42, v42, 4, v84
	ds_add_u32 v42, v96
	s_or_b32 exec_lo, exec_lo, s11
	s_mov_b32 s11, exec_lo
	v_cmpx_gt_u32_e64 s10, v78
	s_cbranch_execz .LBB1348_991
.LBB1348_1007:                          ;   in Loop: Header=BB1348_956 Depth=2
	v_cmp_gt_i32_e32 vcc_lo, 0, v29
	v_cndmask_b32_e64 v42, 0x7fffffff, 0, vcc_lo
	s_delay_alu instid0(VALU_DEP_1) | instskip(NEXT) | instid1(VALU_DEP_1)
	v_xor_b32_e32 v42, v42, v29
	v_cmp_ne_u32_e32 vcc_lo, 0x80000000, v42
	v_cndmask_b32_e32 v42, 0x7fffffff, v42, vcc_lo
	s_delay_alu instid0(VALU_DEP_1) | instskip(NEXT) | instid1(VALU_DEP_1)
	v_lshrrev_b32_e32 v42, s49, v42
	v_and_b32_e32 v42, s58, v42
	s_delay_alu instid0(VALU_DEP_1) | instskip(SKIP_2) | instid1(SALU_CYCLE_1)
	v_lshl_or_b32 v42, v42, 4, v84
	ds_add_u32 v42, v96
	s_or_b32 exec_lo, exec_lo, s11
	s_mov_b32 s11, exec_lo
	v_cmpx_gt_u32_e64 s10, v79
	s_cbranch_execz .LBB1348_992
.LBB1348_1008:                          ;   in Loop: Header=BB1348_956 Depth=2
	v_cmp_gt_i32_e32 vcc_lo, 0, v28
	v_cndmask_b32_e64 v42, 0x7fffffff, 0, vcc_lo
	s_delay_alu instid0(VALU_DEP_1) | instskip(NEXT) | instid1(VALU_DEP_1)
	v_xor_b32_e32 v42, v42, v28
	v_cmp_ne_u32_e32 vcc_lo, 0x80000000, v42
	v_cndmask_b32_e32 v42, 0x7fffffff, v42, vcc_lo
	s_delay_alu instid0(VALU_DEP_1) | instskip(NEXT) | instid1(VALU_DEP_1)
	v_lshrrev_b32_e32 v42, s49, v42
	v_and_b32_e32 v42, s58, v42
	s_delay_alu instid0(VALU_DEP_1) | instskip(SKIP_2) | instid1(SALU_CYCLE_1)
	v_lshl_or_b32 v42, v42, 4, v84
	ds_add_u32 v42, v96
	s_or_b32 exec_lo, exec_lo, s11
	s_mov_b32 s11, exec_lo
	v_cmpx_gt_u32_e64 s10, v80
	s_cbranch_execz .LBB1348_993
.LBB1348_1009:                          ;   in Loop: Header=BB1348_956 Depth=2
	v_cmp_gt_i32_e32 vcc_lo, 0, v27
	v_cndmask_b32_e64 v42, 0x7fffffff, 0, vcc_lo
	s_delay_alu instid0(VALU_DEP_1) | instskip(NEXT) | instid1(VALU_DEP_1)
	v_xor_b32_e32 v42, v42, v27
	v_cmp_ne_u32_e32 vcc_lo, 0x80000000, v42
	v_cndmask_b32_e32 v42, 0x7fffffff, v42, vcc_lo
	s_delay_alu instid0(VALU_DEP_1) | instskip(NEXT) | instid1(VALU_DEP_1)
	v_lshrrev_b32_e32 v42, s49, v42
	v_and_b32_e32 v42, s58, v42
	s_delay_alu instid0(VALU_DEP_1) | instskip(SKIP_2) | instid1(SALU_CYCLE_1)
	v_lshl_or_b32 v42, v42, 4, v84
	ds_add_u32 v42, v96
	s_or_b32 exec_lo, exec_lo, s11
	s_mov_b32 s11, exec_lo
	v_cmpx_gt_u32_e64 s10, v81
	s_cbranch_execz .LBB1348_994
.LBB1348_1010:                          ;   in Loop: Header=BB1348_956 Depth=2
	v_cmp_gt_i32_e32 vcc_lo, 0, v26
	v_cndmask_b32_e64 v42, 0x7fffffff, 0, vcc_lo
	s_delay_alu instid0(VALU_DEP_1) | instskip(NEXT) | instid1(VALU_DEP_1)
	v_xor_b32_e32 v42, v42, v26
	v_cmp_ne_u32_e32 vcc_lo, 0x80000000, v42
	v_cndmask_b32_e32 v42, 0x7fffffff, v42, vcc_lo
	s_delay_alu instid0(VALU_DEP_1) | instskip(NEXT) | instid1(VALU_DEP_1)
	v_lshrrev_b32_e32 v42, s49, v42
	v_and_b32_e32 v42, s58, v42
	s_delay_alu instid0(VALU_DEP_1)
	v_lshl_or_b32 v42, v42, 4, v84
	ds_add_u32 v42, v96
	s_or_b32 exec_lo, exec_lo, s11
	v_cmp_gt_u32_e32 vcc_lo, s10, v82
	s_and_saveexec_b32 s10, vcc_lo
	s_cbranch_execz .LBB1348_955
.LBB1348_1011:                          ;   in Loop: Header=BB1348_956 Depth=2
	v_cmp_gt_i32_e32 vcc_lo, 0, v25
	v_cndmask_b32_e64 v42, 0x7fffffff, 0, vcc_lo
	s_delay_alu instid0(VALU_DEP_1) | instskip(NEXT) | instid1(VALU_DEP_1)
	v_xor_b32_e32 v42, v42, v25
	v_cmp_ne_u32_e32 vcc_lo, 0x80000000, v42
	v_cndmask_b32_e32 v42, 0x7fffffff, v42, vcc_lo
	s_delay_alu instid0(VALU_DEP_1) | instskip(NEXT) | instid1(VALU_DEP_1)
	v_lshrrev_b32_e32 v42, s49, v42
	v_and_b32_e32 v42, s58, v42
	s_delay_alu instid0(VALU_DEP_1)
	v_lshl_or_b32 v42, v42, 4, v84
	ds_add_u32 v42, v96
	s_branch .LBB1348_955
.LBB1348_1012:                          ;   in Loop: Header=BB1348_956 Depth=2
	global_load_b32 v41, v2, s[10:11] scale_offset
	s_wait_xcnt 0x0
	s_or_b32 exec_lo, exec_lo, s13
	s_delay_alu instid0(SALU_CYCLE_1)
	s_mov_b32 s13, exec_lo
	v_cmpx_gt_u32_e64 s9, v3
	s_cbranch_execz .LBB1348_961
.LBB1348_1013:                          ;   in Loop: Header=BB1348_956 Depth=2
	global_load_b32 v40, v2, s[10:11] offset:1024 scale_offset
	s_wait_xcnt 0x0
	s_or_b32 exec_lo, exec_lo, s13
	s_delay_alu instid0(SALU_CYCLE_1)
	s_mov_b32 s13, exec_lo
	v_cmpx_gt_u32_e64 s9, v68
	s_cbranch_execz .LBB1348_962
.LBB1348_1014:                          ;   in Loop: Header=BB1348_956 Depth=2
	global_load_b32 v39, v2, s[10:11] offset:2048 scale_offset
	s_wait_xcnt 0x0
	s_or_b32 exec_lo, exec_lo, s13
	s_delay_alu instid0(SALU_CYCLE_1)
	s_mov_b32 s13, exec_lo
	v_cmpx_gt_u32_e64 s9, v69
	s_cbranch_execz .LBB1348_963
.LBB1348_1015:                          ;   in Loop: Header=BB1348_956 Depth=2
	global_load_b32 v38, v2, s[10:11] offset:3072 scale_offset
	s_wait_xcnt 0x0
	s_or_b32 exec_lo, exec_lo, s13
	s_delay_alu instid0(SALU_CYCLE_1)
	s_mov_b32 s13, exec_lo
	v_cmpx_gt_u32_e64 s9, v70
	s_cbranch_execz .LBB1348_964
.LBB1348_1016:                          ;   in Loop: Header=BB1348_956 Depth=2
	global_load_b32 v37, v2, s[10:11] offset:4096 scale_offset
	s_wait_xcnt 0x0
	s_or_b32 exec_lo, exec_lo, s13
	s_delay_alu instid0(SALU_CYCLE_1)
	s_mov_b32 s13, exec_lo
	v_cmpx_gt_u32_e64 s9, v71
	s_cbranch_execz .LBB1348_965
.LBB1348_1017:                          ;   in Loop: Header=BB1348_956 Depth=2
	global_load_b32 v36, v2, s[10:11] offset:5120 scale_offset
	s_wait_xcnt 0x0
	s_or_b32 exec_lo, exec_lo, s13
	s_delay_alu instid0(SALU_CYCLE_1)
	s_mov_b32 s13, exec_lo
	v_cmpx_gt_u32_e64 s9, v72
	s_cbranch_execz .LBB1348_966
.LBB1348_1018:                          ;   in Loop: Header=BB1348_956 Depth=2
	global_load_b32 v35, v2, s[10:11] offset:6144 scale_offset
	s_wait_xcnt 0x0
	s_or_b32 exec_lo, exec_lo, s13
	s_delay_alu instid0(SALU_CYCLE_1)
	s_mov_b32 s13, exec_lo
	v_cmpx_gt_u32_e64 s9, v73
	s_cbranch_execz .LBB1348_967
.LBB1348_1019:                          ;   in Loop: Header=BB1348_956 Depth=2
	global_load_b32 v34, v2, s[10:11] offset:7168 scale_offset
	s_wait_xcnt 0x0
	s_or_b32 exec_lo, exec_lo, s13
	s_delay_alu instid0(SALU_CYCLE_1)
	s_mov_b32 s13, exec_lo
	v_cmpx_gt_u32_e64 s9, v74
	s_cbranch_execz .LBB1348_968
.LBB1348_1020:                          ;   in Loop: Header=BB1348_956 Depth=2
	global_load_b32 v33, v2, s[10:11] offset:8192 scale_offset
	s_wait_xcnt 0x0
	s_or_b32 exec_lo, exec_lo, s13
	s_delay_alu instid0(SALU_CYCLE_1)
	s_mov_b32 s13, exec_lo
	v_cmpx_gt_u32_e64 s9, v75
	s_cbranch_execz .LBB1348_969
.LBB1348_1021:                          ;   in Loop: Header=BB1348_956 Depth=2
	global_load_b32 v32, v2, s[10:11] offset:9216 scale_offset
	s_wait_xcnt 0x0
	s_or_b32 exec_lo, exec_lo, s13
	s_delay_alu instid0(SALU_CYCLE_1)
	s_mov_b32 s13, exec_lo
	v_cmpx_gt_u32_e64 s9, v76
	s_cbranch_execz .LBB1348_970
.LBB1348_1022:                          ;   in Loop: Header=BB1348_956 Depth=2
	global_load_b32 v31, v2, s[10:11] offset:10240 scale_offset
	s_wait_xcnt 0x0
	s_or_b32 exec_lo, exec_lo, s13
	s_delay_alu instid0(SALU_CYCLE_1)
	s_mov_b32 s13, exec_lo
	v_cmpx_gt_u32_e64 s9, v77
	s_cbranch_execz .LBB1348_971
.LBB1348_1023:                          ;   in Loop: Header=BB1348_956 Depth=2
	global_load_b32 v30, v2, s[10:11] offset:11264 scale_offset
	s_wait_xcnt 0x0
	s_or_b32 exec_lo, exec_lo, s13
	s_delay_alu instid0(SALU_CYCLE_1)
	s_mov_b32 s13, exec_lo
	v_cmpx_gt_u32_e64 s9, v78
	s_cbranch_execz .LBB1348_972
.LBB1348_1024:                          ;   in Loop: Header=BB1348_956 Depth=2
	global_load_b32 v29, v2, s[10:11] offset:12288 scale_offset
	s_wait_xcnt 0x0
	s_or_b32 exec_lo, exec_lo, s13
	s_delay_alu instid0(SALU_CYCLE_1)
	s_mov_b32 s13, exec_lo
	v_cmpx_gt_u32_e64 s9, v79
	s_cbranch_execz .LBB1348_973
.LBB1348_1025:                          ;   in Loop: Header=BB1348_956 Depth=2
	global_load_b32 v28, v2, s[10:11] offset:13312 scale_offset
	s_wait_xcnt 0x0
	s_or_b32 exec_lo, exec_lo, s13
	s_delay_alu instid0(SALU_CYCLE_1)
	s_mov_b32 s13, exec_lo
	v_cmpx_gt_u32_e64 s9, v80
	s_cbranch_execz .LBB1348_974
.LBB1348_1026:                          ;   in Loop: Header=BB1348_956 Depth=2
	global_load_b32 v27, v2, s[10:11] offset:14336 scale_offset
	s_wait_xcnt 0x0
	s_or_b32 exec_lo, exec_lo, s13
	s_delay_alu instid0(SALU_CYCLE_1)
	s_mov_b32 s13, exec_lo
	v_cmpx_gt_u32_e64 s9, v81
	s_cbranch_execz .LBB1348_975
.LBB1348_1027:                          ;   in Loop: Header=BB1348_956 Depth=2
	global_load_b32 v26, v2, s[10:11] offset:15360 scale_offset
	s_wait_xcnt 0x0
	s_or_b32 exec_lo, exec_lo, s13
	s_delay_alu instid0(SALU_CYCLE_1)
	s_mov_b32 s13, exec_lo
	v_cmpx_gt_u32_e64 s9, v82
	s_cbranch_execnz .LBB1348_976
	s_branch .LBB1348_977
.LBB1348_1028:                          ;   in Loop: Header=BB1348_20 Depth=1
	v_mov_b32_e32 v25, 0
	s_wait_dscnt 0x0
	s_barrier_signal -1
	s_barrier_wait -1
	s_and_saveexec_b32 s9, s0
	s_cbranch_execz .LBB1348_1030
; %bb.1029:                             ;   in Loop: Header=BB1348_20 Depth=1
	ds_load_2addr_b64 v[26:29], v85 offset1:1
	s_wait_dscnt 0x0
	v_add_nc_u32_e32 v25, v27, v26
	s_delay_alu instid0(VALU_DEP_1)
	v_add3_u32 v25, v25, v28, v29
.LBB1348_1030:                          ;   in Loop: Header=BB1348_20 Depth=1
	s_or_b32 exec_lo, exec_lo, s9
	s_delay_alu instid0(VALU_DEP_1)
	v_mov_b32_dpp v26, v25 row_shr:1 row_mask:0xf bank_mask:0xf
	v_cmp_eq_u32_e64 s9, 0, v97
	v_cmp_lt_u32_e64 s10, 1, v97
	v_cmp_lt_u32_e64 s11, 3, v97
	;; [unrolled: 1-line block ×3, first 2 shown]
	v_cmp_eq_u32_e64 s13, 0, v99
	v_cndmask_b32_e64 v26, v26, 0, s9
	s_delay_alu instid0(VALU_DEP_1) | instskip(NEXT) | instid1(VALU_DEP_1)
	v_add_nc_u32_e32 v25, v26, v25
	v_mov_b32_dpp v26, v25 row_shr:2 row_mask:0xf bank_mask:0xf
	s_delay_alu instid0(VALU_DEP_1) | instskip(NEXT) | instid1(VALU_DEP_1)
	v_cndmask_b32_e64 v26, 0, v26, s10
	v_add_nc_u32_e32 v25, v25, v26
	s_delay_alu instid0(VALU_DEP_1) | instskip(NEXT) | instid1(VALU_DEP_1)
	v_mov_b32_dpp v26, v25 row_shr:4 row_mask:0xf bank_mask:0xf
	v_cndmask_b32_e64 v26, 0, v26, s11
	s_delay_alu instid0(VALU_DEP_1) | instskip(NEXT) | instid1(VALU_DEP_1)
	v_add_nc_u32_e32 v25, v25, v26
	v_mov_b32_dpp v26, v25 row_shr:8 row_mask:0xf bank_mask:0xf
	s_delay_alu instid0(VALU_DEP_1) | instskip(NEXT) | instid1(VALU_DEP_1)
	v_cndmask_b32_e64 v26, 0, v26, s12
	v_add_nc_u32_e32 v25, v25, v26
	ds_swizzle_b32 v26, v25 offset:swizzle(BROADCAST,32,15)
	s_wait_dscnt 0x0
	v_and_b32_e32 v26, v98, v26
	s_delay_alu instid0(VALU_DEP_1)
	v_add_nc_u32_e32 v25, v25, v26
	s_and_saveexec_b32 s14, s1
; %bb.1031:                             ;   in Loop: Header=BB1348_20 Depth=1
	ds_store_b32 v86, v25
; %bb.1032:                             ;   in Loop: Header=BB1348_20 Depth=1
	s_or_b32 exec_lo, exec_lo, s14
	s_wait_dscnt 0x0
	s_barrier_signal -1
	s_barrier_wait -1
	s_and_saveexec_b32 s14, s4
	s_cbranch_execz .LBB1348_1034
; %bb.1033:                             ;   in Loop: Header=BB1348_20 Depth=1
	ds_load_b32 v26, v87
	v_cmp_ne_u32_e32 vcc_lo, 0, v100
	s_wait_dscnt 0x0
	v_mov_b32_dpp v27, v26 row_shr:1 row_mask:0xf bank_mask:0xf
	s_delay_alu instid0(VALU_DEP_1) | instskip(SKIP_1) | instid1(VALU_DEP_2)
	v_cndmask_b32_e32 v27, 0, v27, vcc_lo
	v_cmp_lt_u32_e32 vcc_lo, 1, v100
	v_add_nc_u32_e32 v26, v27, v26
	s_delay_alu instid0(VALU_DEP_1) | instskip(NEXT) | instid1(VALU_DEP_1)
	v_mov_b32_dpp v27, v26 row_shr:2 row_mask:0xf bank_mask:0xf
	v_cndmask_b32_e32 v27, 0, v27, vcc_lo
	s_delay_alu instid0(VALU_DEP_1)
	v_add_nc_u32_e32 v26, v26, v27
	ds_store_b32 v87, v26
.LBB1348_1034:                          ;   in Loop: Header=BB1348_20 Depth=1
	s_or_b32 exec_lo, exec_lo, s14
	v_mov_b32_e32 v26, 0
	s_wait_dscnt 0x0
	s_barrier_signal -1
	s_barrier_wait -1
	s_and_saveexec_b32 s14, s5
; %bb.1035:                             ;   in Loop: Header=BB1348_20 Depth=1
	ds_load_b32 v26, v88
; %bb.1036:                             ;   in Loop: Header=BB1348_20 Depth=1
	s_or_b32 exec_lo, exec_lo, s14
	v_cmp_gt_i32_e32 vcc_lo, 0, v102
	s_wait_dscnt 0x0
	s_barrier_signal -1
	s_barrier_wait -1
	v_cndmask_b32_e32 v27, v102, v95, vcc_lo
	s_delay_alu instid0(VALU_DEP_1)
	v_dual_add_nc_u32 v25, v26, v25 :: v_dual_lshlrev_b32 v119, 2, v27
	ds_bpermute_b32 v25, v119, v25
	s_and_saveexec_b32 s14, s0
	s_cbranch_execz .LBB1348_1038
; %bb.1037:                             ;   in Loop: Header=BB1348_20 Depth=1
	s_wait_dscnt 0x0
	v_cndmask_b32_e64 v25, v25, v26, s8
	s_delay_alu instid0(VALU_DEP_1)
	v_add_nc_u32_e32 v25, s55, v25
	ds_store_b32 v4, v25
.LBB1348_1038:                          ;   in Loop: Header=BB1348_20 Depth=1
	s_or_b32 exec_lo, exec_lo, s14
	s_load_b64 s[14:15], s[52:53], 0x0
	s_mov_b32 s59, s57
                                        ; implicit-def: $vgpr32_vgpr33
                                        ; implicit-def: $vgpr34_vgpr35
                                        ; implicit-def: $vgpr36_vgpr37
                                        ; implicit-def: $vgpr38_vgpr39
                                        ; implicit-def: $vgpr40_vgpr41
                                        ; implicit-def: $vgpr42_vgpr43
                                        ; implicit-def: $vgpr44_vgpr45
                                        ; implicit-def: $vgpr46_vgpr47
                                        ; implicit-def: $vgpr48_vgpr49
                                        ; implicit-def: $vgpr50_vgpr51
                                        ; implicit-def: $vgpr52_vgpr53
                                        ; implicit-def: $vgpr54_vgpr55
                                        ; implicit-def: $vgpr56_vgpr57
                                        ; implicit-def: $vgpr58_vgpr59
                                        ; implicit-def: $vgpr60_vgpr61
                                        ; implicit-def: $vgpr62_vgpr63
                                        ; implicit-def: $vgpr120
                                        ; implicit-def: $vgpr121
                                        ; implicit-def: $vgpr122
                                        ; implicit-def: $vgpr123
                                        ; implicit-def: $vgpr124
                                        ; implicit-def: $vgpr125
                                        ; implicit-def: $vgpr126
                                        ; implicit-def: $vgpr127
                                        ; implicit-def: $vgpr128
                                        ; implicit-def: $vgpr129
                                        ; implicit-def: $vgpr130
                                        ; implicit-def: $vgpr131
                                        ; implicit-def: $vgpr132
                                        ; implicit-def: $vgpr134
                                        ; implicit-def: $vgpr135
                                        ; implicit-def: $vgpr136
                                        ; implicit-def: $vgpr137
                                        ; implicit-def: $vgpr133
                                        ; implicit-def: $vgpr138
	s_wait_kmcnt 0x0
	s_cmp_lt_u32 s51, s14
	s_cselect_b32 s42, 12, 18
	s_cmp_lt_u32 s35, s15
	s_mov_b32 s15, s43
	s_cselect_b32 s14, 14, 20
	s_delay_alu instid0(SALU_CYCLE_1)
	s_add_nc_u64 s[14:15], s[52:53], s[14:15]
	s_load_u16 s16, s[14:15], 0x0
	s_wait_xcnt 0x0
	s_add_nc_u64 s[14:15], s[52:53], s[42:43]
	s_mov_b32 s42, s55
	s_load_u16 s14, s[14:15], 0x0
	s_wait_xcnt 0x0
	v_cmp_lt_u32_e64 s15, 1, v103
	s_wait_dscnt 0x0
	s_wait_kmcnt 0x0
	v_mad_u32_u24 v25, v89, s16, v91
	v_cmp_lt_u32_e64 s16, 3, v103
	s_delay_alu instid0(VALU_DEP_2) | instskip(SKIP_2) | instid1(VALU_DEP_3)
	v_mad_u32 v26, v25, s14, v2
	v_mov_b32_e32 v25, v1
	v_cmp_eq_u32_e64 s14, 0, v103
	v_lshrrev_b32_e32 v30, 3, v26
	v_add_nc_u64_e32 v[26:27], v[14:15], v[0:1]
	s_delay_alu instid0(VALU_DEP_4) | instskip(NEXT) | instid1(VALU_DEP_3)
	v_add_nc_u64_e32 v[28:29], v[16:17], v[24:25]
	v_and_b32_e32 v25, 0x1ffffffc, v30
                                        ; implicit-def: $vgpr30_vgpr31
	s_branch .LBB1348_1040
.LBB1348_1039:                          ;   in Loop: Header=BB1348_1040 Depth=2
	s_or_b32 exec_lo, exec_lo, s17
	s_addk_co_i32 s59, 0xef00
	s_cmp_lt_u32 s60, s54
	s_mov_b32 s42, s60
	s_cbranch_scc0 .LBB1348_18
.LBB1348_1040:                          ;   Parent Loop BB1348_20 Depth=1
                                        ; =>  This Inner Loop Header: Depth=2
	s_add_co_i32 s60, s42, 0x1100
	s_delay_alu instid0(SALU_CYCLE_1)
	s_cmp_gt_u32 s60, s54
	s_cbranch_scc1 .LBB1348_1042
; %bb.1041:                             ;   in Loop: Header=BB1348_1040 Depth=2
	s_delay_alu instid0(VALU_DEP_2)
	v_lshl_add_u64 v[64:65], s[42:43], 2, v[28:29]
	s_mov_b32 s17, -1
	s_clause 0xf
	global_load_b32 v140, v[64:65], off
	global_load_b32 v142, v[64:65], off offset:128
	global_load_b32 v144, v[64:65], off offset:256
	;; [unrolled: 1-line block ×15, first 2 shown]
	s_movk_i32 s18, 0x1100
	s_cbranch_execz .LBB1348_1043
	s_branch .LBB1348_1076
.LBB1348_1042:                          ;   in Loop: Header=BB1348_1040 Depth=2
	s_mov_b32 s17, 0
                                        ; implicit-def: $vgpr140
                                        ; implicit-def: $vgpr142
                                        ; implicit-def: $vgpr144
                                        ; implicit-def: $vgpr148
                                        ; implicit-def: $vgpr153
                                        ; implicit-def: $vgpr158
                                        ; implicit-def: $vgpr163
                                        ; implicit-def: $vgpr168
                                        ; implicit-def: $vgpr173
                                        ; implicit-def: $vgpr171
                                        ; implicit-def: $vgpr166
                                        ; implicit-def: $vgpr161
                                        ; implicit-def: $vgpr157
                                        ; implicit-def: $vgpr152
                                        ; implicit-def: $vgpr67
                                        ; implicit-def: $vgpr66
	s_movk_i32 s18, 0x1100
.LBB1348_1043:                          ;   in Loop: Header=BB1348_1040 Depth=2
	s_wait_xcnt 0x0
	v_lshl_add_u64 v[64:65], s[42:43], 2, v[28:29]
	s_wait_loadcnt 0xe
	v_dual_mov_b32 v142, -1 :: v_dual_mov_b32 v140, -1
	s_mov_b32 s17, exec_lo
	v_cmpx_gt_u32_e64 s59, v101
	s_cbranch_execz .LBB1348_1045
; %bb.1044:                             ;   in Loop: Header=BB1348_1040 Depth=2
	global_load_b32 v140, v[64:65], off
.LBB1348_1045:                          ;   in Loop: Header=BB1348_1040 Depth=2
	s_wait_xcnt 0x0
	s_or_b32 exec_lo, exec_lo, s17
	s_delay_alu instid0(SALU_CYCLE_1)
	s_mov_b32 s17, exec_lo
	v_cmpx_gt_u32_e64 s59, v104
	s_cbranch_execz .LBB1348_1047
; %bb.1046:                             ;   in Loop: Header=BB1348_1040 Depth=2
	global_load_b32 v142, v[64:65], off offset:128
.LBB1348_1047:                          ;   in Loop: Header=BB1348_1040 Depth=2
	s_wait_xcnt 0x0
	s_or_b32 exec_lo, exec_lo, s17
	s_wait_loadcnt 0xc
	v_dual_mov_b32 v148, -1 :: v_dual_mov_b32 v144, -1
	s_mov_b32 s17, exec_lo
	v_cmpx_gt_u32_e64 s59, v105
	s_cbranch_execz .LBB1348_1049
; %bb.1048:                             ;   in Loop: Header=BB1348_1040 Depth=2
	global_load_b32 v144, v[64:65], off offset:256
.LBB1348_1049:                          ;   in Loop: Header=BB1348_1040 Depth=2
	s_wait_xcnt 0x0
	s_or_b32 exec_lo, exec_lo, s17
	s_delay_alu instid0(SALU_CYCLE_1)
	s_mov_b32 s17, exec_lo
	v_cmpx_gt_u32_e64 s59, v106
	s_cbranch_execz .LBB1348_1051
; %bb.1050:                             ;   in Loop: Header=BB1348_1040 Depth=2
	global_load_b32 v148, v[64:65], off offset:384
.LBB1348_1051:                          ;   in Loop: Header=BB1348_1040 Depth=2
	s_wait_xcnt 0x0
	s_or_b32 exec_lo, exec_lo, s17
	s_wait_loadcnt 0xa
	v_dual_mov_b32 v158, -1 :: v_dual_mov_b32 v153, -1
	s_mov_b32 s17, exec_lo
	v_cmpx_gt_u32_e64 s59, v107
	s_cbranch_execz .LBB1348_1053
; %bb.1052:                             ;   in Loop: Header=BB1348_1040 Depth=2
	global_load_b32 v153, v[64:65], off offset:512
.LBB1348_1053:                          ;   in Loop: Header=BB1348_1040 Depth=2
	;; [unrolled: 19-line block ×7, first 2 shown]
	s_wait_xcnt 0x0
	s_or_b32 exec_lo, exec_lo, s17
	s_delay_alu instid0(SALU_CYCLE_1)
	s_mov_b32 s17, exec_lo
	v_cmpx_gt_u32_e64 s59, v118
	s_cbranch_execz .LBB1348_1075
; %bb.1074:                             ;   in Loop: Header=BB1348_1040 Depth=2
	global_load_b32 v66, v[64:65], off offset:1920
.LBB1348_1075:                          ;   in Loop: Header=BB1348_1040 Depth=2
	s_wait_xcnt 0x0
	s_or_b32 exec_lo, exec_lo, s17
	v_cmp_gt_u32_e64 s17, s59, v5
	s_sub_co_i32 s18, s54, s42
.LBB1348_1076:                          ;   in Loop: Header=BB1348_1040 Depth=2
	s_wait_xcnt 0x0
	v_dual_mov_b32 v64, -1 :: v_dual_mov_b32 v139, s59
	s_and_saveexec_b32 s19, s17
	s_cbranch_execz .LBB1348_1078
; %bb.1077:                             ;   in Loop: Header=BB1348_1040 Depth=2
	v_lshl_add_u64 v[64:65], s[42:43], 2, v[28:29]
	v_mov_b32_e32 v139, s18
	global_load_b32 v64, v[64:65], off offset:2048
.LBB1348_1078:                          ;   in Loop: Header=BB1348_1040 Depth=2
	s_wait_xcnt 0x0
	s_or_b32 exec_lo, exec_lo, s19
	s_wait_loadcnt 0xf
	v_cmp_gt_i32_e32 vcc_lo, 0, v140
	ds_store_2addr_b32 v90, v1, v1 offset0:136 offset1:137
	ds_store_2addr_b32 v90, v1, v1 offset0:138 offset1:139
	ds_store_b32 v90, v1 offset:560
	s_wait_loadcnt_dscnt 0x0
	s_barrier_signal -1
	s_barrier_wait -1
	v_cndmask_b32_e64 v65, 0x7fffffff, 0, vcc_lo
	; wave barrier
	s_delay_alu instid0(VALU_DEP_1) | instskip(NEXT) | instid1(VALU_DEP_1)
	v_xor_b32_e32 v140, v65, v140
	v_cmp_ne_u32_e32 vcc_lo, 0x80000000, v140
	v_cndmask_b32_e32 v65, 0x7fffffff, v140, vcc_lo
	s_delay_alu instid0(VALU_DEP_1) | instskip(NEXT) | instid1(VALU_DEP_1)
	v_lshrrev_b32_e32 v65, s49, v65
	v_bitop3_b32 v141, v65, 1, s58 bitop3:0x80
	v_and_b32_e32 v143, s58, v65
	s_delay_alu instid0(VALU_DEP_2) | instskip(NEXT) | instid1(VALU_DEP_1)
	v_add_co_u32 v65, s17, v141, -1
	v_cndmask_b32_e64 v141, 0, 1, s17
	s_delay_alu instid0(VALU_DEP_3) | instskip(SKIP_1) | instid1(VALU_DEP_3)
	v_dual_lshlrev_b32 v145, 30, v143 :: v_dual_lshlrev_b32 v147, 28, v143
	v_lshlrev_b32_e32 v146, 29, v143
	v_cmp_ne_u32_e32 vcc_lo, 0, v141
	s_delay_alu instid0(VALU_DEP_3) | instskip(SKIP_1) | instid1(VALU_DEP_4)
	v_cmp_gt_i32_e64 s17, 0, v145
	v_not_b32_e32 v141, v145
	v_cmp_gt_i32_e64 s18, 0, v146
	v_not_b32_e32 v145, v146
	v_not_b32_e32 v146, v147
	v_cmp_gt_i32_e64 s19, 0, v147
	v_ashrrev_i32_e32 v141, 31, v141
	v_bitop3_b32 v65, vcc_lo, exec_lo, v65 bitop3:0x48
	s_delay_alu instid0(VALU_DEP_4) | instskip(SKIP_2) | instid1(VALU_DEP_3)
	v_dual_ashrrev_i32 v146, 31, v146 :: v_dual_lshlrev_b32 v149, 27, v143
	v_dual_lshlrev_b32 v150, 26, v143 :: v_dual_lshlrev_b32 v151, 25, v143
	v_mul_u32_u24_e32 v143, 36, v143
	v_xor_b32_e32 v146, s19, v146
	s_delay_alu instid0(VALU_DEP_4)
	v_not_b32_e32 v147, v149
	v_ashrrev_i32_e32 v145, 31, v145
	v_cmp_gt_i32_e64 s20, 0, v149
	v_cmp_gt_i32_e64 s21, 0, v150
	v_not_b32_e32 v149, v150
	v_not_b32_e32 v150, v151
	v_dual_ashrrev_i32 v147, 31, v147 :: v_dual_bitop2_b32 v141, s17, v141 bitop3:0x14
	v_dual_add_nc_u32 v143, v25, v143 :: v_dual_bitop2_b32 v145, s18, v145 bitop3:0x14
	v_cmp_gt_i32_e64 s22, 0, v151
	s_delay_alu instid0(VALU_DEP_4) | instskip(NEXT) | instid1(VALU_DEP_4)
	v_dual_ashrrev_i32 v149, 31, v149 :: v_dual_ashrrev_i32 v150, 31, v150
	v_xor_b32_e32 v147, s20, v147
	s_delay_alu instid0(VALU_DEP_4) | instskip(NEXT) | instid1(VALU_DEP_3)
	v_bitop3_b32 v65, v65, v145, v141 bitop3:0x80
	v_xor_b32_e32 v141, s21, v149
	s_delay_alu instid0(VALU_DEP_4) | instskip(NEXT) | instid1(VALU_DEP_3)
	v_xor_b32_e32 v145, s22, v150
	v_bitop3_b32 v65, v65, v147, v146 bitop3:0x80
	s_delay_alu instid0(VALU_DEP_1) | instskip(NEXT) | instid1(VALU_DEP_1)
	v_bitop3_b32 v65, v65, v145, v141 bitop3:0x80
	v_mbcnt_lo_u32_b32 v141, v65, 0
	v_cmp_ne_u32_e64 s17, 0, v65
	s_delay_alu instid0(VALU_DEP_2) | instskip(SKIP_1) | instid1(SALU_CYCLE_1)
	v_cmp_eq_u32_e32 vcc_lo, 0, v141
	s_and_b32 s18, s17, vcc_lo
	s_and_saveexec_b32 s17, s18
; %bb.1079:                             ;   in Loop: Header=BB1348_1040 Depth=2
	v_bcnt_u32_b32 v65, v65, 0
	ds_store_b32 v143, v65 offset:544
; %bb.1080:                             ;   in Loop: Header=BB1348_1040 Depth=2
	s_or_b32 exec_lo, exec_lo, s17
	v_cmp_gt_i32_e32 vcc_lo, 0, v142
	; wave barrier
	v_cndmask_b32_e64 v65, 0x7fffffff, 0, vcc_lo
	s_delay_alu instid0(VALU_DEP_1) | instskip(NEXT) | instid1(VALU_DEP_1)
	v_xor_b32_e32 v142, v65, v142
	v_cmp_ne_u32_e32 vcc_lo, 0x80000000, v142
	v_cndmask_b32_e32 v65, 0x7fffffff, v142, vcc_lo
	s_delay_alu instid0(VALU_DEP_1) | instskip(NEXT) | instid1(VALU_DEP_1)
	v_lshrrev_b32_e32 v65, s49, v65
	v_bitop3_b32 v145, v65, 1, s58 bitop3:0x80
	v_and_b32_e32 v147, s58, v65
	s_delay_alu instid0(VALU_DEP_2) | instskip(NEXT) | instid1(VALU_DEP_1)
	v_add_co_u32 v65, s17, v145, -1
	v_cndmask_b32_e64 v145, 0, 1, s17
	s_delay_alu instid0(VALU_DEP_3) | instskip(NEXT) | instid1(VALU_DEP_2)
	v_dual_lshlrev_b32 v146, 30, v147 :: v_dual_lshlrev_b32 v149, 29, v147
	v_cmp_ne_u32_e32 vcc_lo, 0, v145
	s_delay_alu instid0(VALU_DEP_2) | instskip(SKIP_1) | instid1(VALU_DEP_4)
	v_cmp_gt_i32_e64 s17, 0, v146
	v_not_b32_e32 v145, v146
	v_not_b32_e32 v146, v149
	v_bitop3_b32 v65, vcc_lo, exec_lo, v65 bitop3:0x48
	s_delay_alu instid0(VALU_DEP_2) | instskip(SKIP_3) | instid1(VALU_DEP_3)
	v_dual_ashrrev_i32 v145, 31, v145 :: v_dual_ashrrev_i32 v146, 31, v146
	v_dual_lshlrev_b32 v150, 28, v147 :: v_dual_lshlrev_b32 v151, 27, v147
	v_dual_lshlrev_b32 v154, 26, v147 :: v_dual_lshlrev_b32 v155, 25, v147
	v_cmp_gt_i32_e64 s18, 0, v149
	v_cmp_gt_i32_e64 s19, 0, v150
	v_not_b32_e32 v149, v150
	v_not_b32_e32 v150, v151
	v_cmp_gt_i32_e64 s20, 0, v151
	v_cmp_gt_i32_e64 s21, 0, v154
	v_not_b32_e32 v151, v154
	v_not_b32_e32 v154, v155
	v_dual_ashrrev_i32 v149, 31, v149 :: v_dual_ashrrev_i32 v150, 31, v150
	s_delay_alu instid0(VALU_DEP_3) | instskip(SKIP_2) | instid1(VALU_DEP_4)
	v_dual_ashrrev_i32 v151, 31, v151 :: v_dual_bitop2_b32 v145, s17, v145 bitop3:0x14
	v_xor_b32_e32 v146, s18, v146
	v_cmp_gt_i32_e64 s22, 0, v155
	v_dual_ashrrev_i32 v154, 31, v154 :: v_dual_bitop2_b32 v149, s19, v149 bitop3:0x14
	v_xor_b32_e32 v150, s20, v150
	s_delay_alu instid0(VALU_DEP_4)
	v_bitop3_b32 v65, v65, v146, v145 bitop3:0x80
	v_mad_u32_u24 v145, v147, 36, v25
	v_xor_b32_e32 v146, s21, v151
	v_xor_b32_e32 v151, s22, v154
	v_mul_u32_u24_e32 v147, 36, v147
	v_bitop3_b32 v65, v65, v150, v149 bitop3:0x80
	ds_load_b32 v145, v145 offset:544
	; wave barrier
	v_add_nc_u32_e32 v147, v25, v147
	v_bitop3_b32 v65, v65, v151, v146 bitop3:0x80
	s_delay_alu instid0(VALU_DEP_1) | instskip(SKIP_1) | instid1(VALU_DEP_2)
	v_mbcnt_lo_u32_b32 v146, v65, 0
	v_cmp_ne_u32_e64 s17, 0, v65
	v_cmp_eq_u32_e32 vcc_lo, 0, v146
	s_and_b32 s18, s17, vcc_lo
	s_delay_alu instid0(SALU_CYCLE_1)
	s_and_saveexec_b32 s17, s18
	s_cbranch_execz .LBB1348_1082
; %bb.1081:                             ;   in Loop: Header=BB1348_1040 Depth=2
	s_wait_dscnt 0x0
	v_bcnt_u32_b32 v65, v65, v145
	ds_store_b32 v147, v65 offset:544
.LBB1348_1082:                          ;   in Loop: Header=BB1348_1040 Depth=2
	s_or_b32 exec_lo, exec_lo, s17
	v_cmp_gt_i32_e32 vcc_lo, 0, v144
	; wave barrier
	v_cndmask_b32_e64 v65, 0x7fffffff, 0, vcc_lo
	s_delay_alu instid0(VALU_DEP_1) | instskip(NEXT) | instid1(VALU_DEP_1)
	v_xor_b32_e32 v144, v65, v144
	v_cmp_ne_u32_e32 vcc_lo, 0x80000000, v144
	v_cndmask_b32_e32 v65, 0x7fffffff, v144, vcc_lo
	s_delay_alu instid0(VALU_DEP_1) | instskip(NEXT) | instid1(VALU_DEP_1)
	v_lshrrev_b32_e32 v65, s49, v65
	v_bitop3_b32 v149, v65, 1, s58 bitop3:0x80
	v_and_b32_e32 v151, s58, v65
	s_delay_alu instid0(VALU_DEP_2) | instskip(NEXT) | instid1(VALU_DEP_1)
	v_add_co_u32 v65, s17, v149, -1
	v_cndmask_b32_e64 v149, 0, 1, s17
	s_delay_alu instid0(VALU_DEP_3) | instskip(NEXT) | instid1(VALU_DEP_2)
	v_dual_lshlrev_b32 v150, 30, v151 :: v_dual_lshlrev_b32 v154, 29, v151
	v_cmp_ne_u32_e32 vcc_lo, 0, v149
	s_delay_alu instid0(VALU_DEP_2) | instskip(SKIP_1) | instid1(VALU_DEP_4)
	v_cmp_gt_i32_e64 s17, 0, v150
	v_not_b32_e32 v149, v150
	v_not_b32_e32 v150, v154
	v_bitop3_b32 v65, vcc_lo, exec_lo, v65 bitop3:0x48
	s_delay_alu instid0(VALU_DEP_2) | instskip(SKIP_3) | instid1(VALU_DEP_3)
	v_dual_ashrrev_i32 v149, 31, v149 :: v_dual_ashrrev_i32 v150, 31, v150
	v_dual_lshlrev_b32 v155, 28, v151 :: v_dual_lshlrev_b32 v156, 27, v151
	v_dual_lshlrev_b32 v159, 26, v151 :: v_dual_lshlrev_b32 v160, 25, v151
	v_cmp_gt_i32_e64 s18, 0, v154
	v_cmp_gt_i32_e64 s19, 0, v155
	v_not_b32_e32 v154, v155
	v_not_b32_e32 v155, v156
	v_cmp_gt_i32_e64 s20, 0, v156
	v_cmp_gt_i32_e64 s21, 0, v159
	v_not_b32_e32 v156, v159
	v_not_b32_e32 v159, v160
	v_dual_ashrrev_i32 v154, 31, v154 :: v_dual_ashrrev_i32 v155, 31, v155
	s_delay_alu instid0(VALU_DEP_3) | instskip(NEXT) | instid1(VALU_DEP_3)
	v_dual_ashrrev_i32 v156, 31, v156 :: v_dual_bitop2_b32 v149, s17, v149 bitop3:0x14
	v_dual_ashrrev_i32 v159, 31, v159 :: v_dual_bitop2_b32 v150, s18, v150 bitop3:0x14
	v_cmp_gt_i32_e64 s22, 0, v160
	s_delay_alu instid0(VALU_DEP_4) | instskip(NEXT) | instid1(VALU_DEP_3)
	v_xor_b32_e32 v155, s20, v155
	v_bitop3_b32 v65, v65, v150, v149 bitop3:0x80
	v_mad_u32_u24 v149, v151, 36, v25
	v_mul_u32_u24_e32 v151, 36, v151
	v_xor_b32_e32 v154, s19, v154
	v_xor_b32_e32 v150, s21, v156
	;; [unrolled: 1-line block ×3, first 2 shown]
	ds_load_b32 v149, v149 offset:544
	v_add_nc_u32_e32 v151, v25, v151
	v_bitop3_b32 v65, v65, v155, v154 bitop3:0x80
	; wave barrier
	s_delay_alu instid0(VALU_DEP_1) | instskip(NEXT) | instid1(VALU_DEP_1)
	v_bitop3_b32 v65, v65, v156, v150 bitop3:0x80
	v_mbcnt_lo_u32_b32 v150, v65, 0
	v_cmp_ne_u32_e64 s17, 0, v65
	s_delay_alu instid0(VALU_DEP_2) | instskip(SKIP_1) | instid1(SALU_CYCLE_1)
	v_cmp_eq_u32_e32 vcc_lo, 0, v150
	s_and_b32 s18, s17, vcc_lo
	s_and_saveexec_b32 s17, s18
	s_cbranch_execz .LBB1348_1084
; %bb.1083:                             ;   in Loop: Header=BB1348_1040 Depth=2
	s_wait_dscnt 0x0
	v_bcnt_u32_b32 v65, v65, v149
	ds_store_b32 v151, v65 offset:544
.LBB1348_1084:                          ;   in Loop: Header=BB1348_1040 Depth=2
	s_or_b32 exec_lo, exec_lo, s17
	v_cmp_gt_i32_e32 vcc_lo, 0, v148
	; wave barrier
	v_cndmask_b32_e64 v65, 0x7fffffff, 0, vcc_lo
	s_delay_alu instid0(VALU_DEP_1) | instskip(NEXT) | instid1(VALU_DEP_1)
	v_xor_b32_e32 v148, v65, v148
	v_cmp_ne_u32_e32 vcc_lo, 0x80000000, v148
	v_cndmask_b32_e32 v65, 0x7fffffff, v148, vcc_lo
	s_delay_alu instid0(VALU_DEP_1) | instskip(NEXT) | instid1(VALU_DEP_1)
	v_lshrrev_b32_e32 v65, s49, v65
	v_bitop3_b32 v154, v65, 1, s58 bitop3:0x80
	v_and_b32_e32 v156, s58, v65
	s_delay_alu instid0(VALU_DEP_2) | instskip(NEXT) | instid1(VALU_DEP_1)
	v_add_co_u32 v65, s17, v154, -1
	v_cndmask_b32_e64 v154, 0, 1, s17
	s_delay_alu instid0(VALU_DEP_3) | instskip(NEXT) | instid1(VALU_DEP_2)
	v_dual_lshlrev_b32 v155, 30, v156 :: v_dual_lshlrev_b32 v159, 29, v156
	v_cmp_ne_u32_e32 vcc_lo, 0, v154
	s_delay_alu instid0(VALU_DEP_2) | instskip(SKIP_1) | instid1(VALU_DEP_4)
	v_cmp_gt_i32_e64 s17, 0, v155
	v_not_b32_e32 v154, v155
	v_not_b32_e32 v155, v159
	v_cmp_gt_i32_e64 s18, 0, v159
	v_bitop3_b32 v65, vcc_lo, exec_lo, v65 bitop3:0x48
	s_delay_alu instid0(VALU_DEP_3) | instskip(SKIP_2) | instid1(VALU_DEP_2)
	v_dual_ashrrev_i32 v154, 31, v154 :: v_dual_ashrrev_i32 v155, 31, v155
	v_dual_lshlrev_b32 v160, 28, v156 :: v_dual_lshlrev_b32 v162, 27, v156
	v_dual_lshlrev_b32 v164, 26, v156 :: v_dual_lshlrev_b32 v165, 25, v156
	v_cmp_gt_i32_e64 s19, 0, v160
	v_not_b32_e32 v159, v160
	s_delay_alu instid0(VALU_DEP_4)
	v_not_b32_e32 v160, v162
	v_cmp_gt_i32_e64 s20, 0, v162
	v_cmp_gt_i32_e64 s21, 0, v164
	v_not_b32_e32 v162, v164
	v_not_b32_e32 v164, v165
	v_dual_ashrrev_i32 v159, 31, v159 :: v_dual_ashrrev_i32 v160, 31, v160
	v_xor_b32_e32 v154, s17, v154
	s_delay_alu instid0(VALU_DEP_4) | instskip(SKIP_3) | instid1(VALU_DEP_4)
	v_dual_ashrrev_i32 v162, 31, v162 :: v_dual_bitop2_b32 v155, s18, v155 bitop3:0x14
	v_cmp_gt_i32_e64 s22, 0, v165
	v_ashrrev_i32_e32 v164, 31, v164
	v_xor_b32_e32 v160, s20, v160
	v_bitop3_b32 v65, v65, v155, v154 bitop3:0x80
	v_mad_u32_u24 v154, v156, 36, v25
	v_mul_u32_u24_e32 v156, 36, v156
	v_xor_b32_e32 v159, s19, v159
	v_xor_b32_e32 v155, s21, v162
	;; [unrolled: 1-line block ×3, first 2 shown]
	ds_load_b32 v154, v154 offset:544
	v_add_nc_u32_e32 v156, v25, v156
	v_bitop3_b32 v65, v65, v160, v159 bitop3:0x80
	; wave barrier
	s_delay_alu instid0(VALU_DEP_1) | instskip(NEXT) | instid1(VALU_DEP_1)
	v_bitop3_b32 v65, v65, v162, v155 bitop3:0x80
	v_mbcnt_lo_u32_b32 v155, v65, 0
	v_cmp_ne_u32_e64 s17, 0, v65
	s_delay_alu instid0(VALU_DEP_2) | instskip(SKIP_1) | instid1(SALU_CYCLE_1)
	v_cmp_eq_u32_e32 vcc_lo, 0, v155
	s_and_b32 s18, s17, vcc_lo
	s_and_saveexec_b32 s17, s18
	s_cbranch_execz .LBB1348_1086
; %bb.1085:                             ;   in Loop: Header=BB1348_1040 Depth=2
	s_wait_dscnt 0x0
	v_bcnt_u32_b32 v65, v65, v154
	ds_store_b32 v156, v65 offset:544
.LBB1348_1086:                          ;   in Loop: Header=BB1348_1040 Depth=2
	s_or_b32 exec_lo, exec_lo, s17
	v_cmp_gt_i32_e32 vcc_lo, 0, v153
	; wave barrier
	v_cndmask_b32_e64 v65, 0x7fffffff, 0, vcc_lo
	s_delay_alu instid0(VALU_DEP_1) | instskip(NEXT) | instid1(VALU_DEP_1)
	v_xor_b32_e32 v153, v65, v153
	v_cmp_ne_u32_e32 vcc_lo, 0x80000000, v153
	v_cndmask_b32_e32 v65, 0x7fffffff, v153, vcc_lo
	s_delay_alu instid0(VALU_DEP_1) | instskip(NEXT) | instid1(VALU_DEP_1)
	v_lshrrev_b32_e32 v65, s49, v65
	v_and_b32_e32 v162, s58, v65
	s_delay_alu instid0(VALU_DEP_1) | instskip(SKIP_2) | instid1(VALU_DEP_3)
	v_lshlrev_b32_e32 v165, 28, v162
	v_bitop3_b32 v159, v65, 1, s58 bitop3:0x80
	v_lshlrev_b32_e32 v160, 30, v162
	v_cmp_gt_i32_e64 s19, 0, v165
	s_delay_alu instid0(VALU_DEP_3) | instskip(NEXT) | instid1(VALU_DEP_1)
	v_add_co_u32 v65, s17, v159, -1
	v_cndmask_b32_e64 v159, 0, 1, s17
	s_delay_alu instid0(VALU_DEP_4) | instskip(NEXT) | instid1(VALU_DEP_2)
	v_cmp_gt_i32_e64 s17, 0, v160
	v_cmp_ne_u32_e32 vcc_lo, 0, v159
	v_not_b32_e32 v159, v160
	v_bitop3_b32 v65, vcc_lo, exec_lo, v65 bitop3:0x48
	s_delay_alu instid0(VALU_DEP_2) | instskip(SKIP_1) | instid1(VALU_DEP_2)
	v_dual_ashrrev_i32 v159, 31, v159 :: v_dual_lshlrev_b32 v164, 29, v162
	v_dual_lshlrev_b32 v167, 27, v162 :: v_dual_lshlrev_b32 v169, 26, v162
	v_not_b32_e32 v160, v164
	v_lshlrev_b32_e32 v170, 25, v162
	v_cmp_gt_i32_e64 s18, 0, v164
	v_not_b32_e32 v164, v165
	v_not_b32_e32 v165, v167
	v_ashrrev_i32_e32 v160, 31, v160
	v_cmp_gt_i32_e64 s20, 0, v167
	v_cmp_gt_i32_e64 s21, 0, v169
	v_not_b32_e32 v167, v169
	v_not_b32_e32 v169, v170
	v_dual_ashrrev_i32 v164, 31, v164 :: v_dual_ashrrev_i32 v165, 31, v165
	v_xor_b32_e32 v159, s17, v159
	s_delay_alu instid0(VALU_DEP_4) | instskip(SKIP_3) | instid1(VALU_DEP_4)
	v_dual_ashrrev_i32 v167, 31, v167 :: v_dual_bitop2_b32 v160, s18, v160 bitop3:0x14
	v_cmp_gt_i32_e64 s22, 0, v170
	v_ashrrev_i32_e32 v169, 31, v169
	v_xor_b32_e32 v165, s20, v165
	v_bitop3_b32 v65, v65, v160, v159 bitop3:0x80
	v_mad_u32_u24 v159, v162, 36, v25
	v_mul_u32_u24_e32 v162, 36, v162
	v_xor_b32_e32 v164, s19, v164
	v_xor_b32_e32 v160, s21, v167
	;; [unrolled: 1-line block ×3, first 2 shown]
	ds_load_b32 v159, v159 offset:544
	v_add_nc_u32_e32 v162, v25, v162
	v_bitop3_b32 v65, v65, v165, v164 bitop3:0x80
	; wave barrier
	s_delay_alu instid0(VALU_DEP_1) | instskip(NEXT) | instid1(VALU_DEP_1)
	v_bitop3_b32 v65, v65, v167, v160 bitop3:0x80
	v_mbcnt_lo_u32_b32 v160, v65, 0
	v_cmp_ne_u32_e64 s17, 0, v65
	s_delay_alu instid0(VALU_DEP_2) | instskip(SKIP_1) | instid1(SALU_CYCLE_1)
	v_cmp_eq_u32_e32 vcc_lo, 0, v160
	s_and_b32 s18, s17, vcc_lo
	s_and_saveexec_b32 s17, s18
	s_cbranch_execz .LBB1348_1088
; %bb.1087:                             ;   in Loop: Header=BB1348_1040 Depth=2
	s_wait_dscnt 0x0
	v_bcnt_u32_b32 v65, v65, v159
	ds_store_b32 v162, v65 offset:544
.LBB1348_1088:                          ;   in Loop: Header=BB1348_1040 Depth=2
	s_or_b32 exec_lo, exec_lo, s17
	v_cmp_gt_i32_e32 vcc_lo, 0, v158
	; wave barrier
	v_cndmask_b32_e64 v65, 0x7fffffff, 0, vcc_lo
	s_delay_alu instid0(VALU_DEP_1) | instskip(NEXT) | instid1(VALU_DEP_1)
	v_xor_b32_e32 v158, v65, v158
	v_cmp_ne_u32_e32 vcc_lo, 0x80000000, v158
	v_cndmask_b32_e32 v65, 0x7fffffff, v158, vcc_lo
	s_delay_alu instid0(VALU_DEP_1) | instskip(NEXT) | instid1(VALU_DEP_1)
	v_lshrrev_b32_e32 v65, s49, v65
	v_bitop3_b32 v164, v65, 1, s58 bitop3:0x80
	v_and_b32_e32 v167, s58, v65
	s_delay_alu instid0(VALU_DEP_2) | instskip(NEXT) | instid1(VALU_DEP_1)
	v_add_co_u32 v65, s17, v164, -1
	v_cndmask_b32_e64 v164, 0, 1, s17
	s_delay_alu instid0(VALU_DEP_3) | instskip(NEXT) | instid1(VALU_DEP_2)
	v_lshlrev_b32_e32 v165, 30, v167
	v_cmp_ne_u32_e32 vcc_lo, 0, v164
	s_delay_alu instid0(VALU_DEP_2) | instskip(SKIP_1) | instid1(VALU_DEP_2)
	v_not_b32_e32 v164, v165
	v_bitop3_b32 v65, vcc_lo, exec_lo, v65 bitop3:0x48
	v_dual_ashrrev_i32 v164, 31, v164 :: v_dual_lshlrev_b32 v169, 29, v167
	v_dual_lshlrev_b32 v170, 28, v167 :: v_dual_lshlrev_b32 v172, 27, v167
	v_lshlrev_b32_e32 v174, 26, v167
	v_cmp_gt_i32_e64 s17, 0, v165
	s_delay_alu instid0(VALU_DEP_4)
	v_not_b32_e32 v165, v169
	v_lshlrev_b32_e32 v175, 25, v167
	v_cmp_gt_i32_e64 s18, 0, v169
	v_cmp_gt_i32_e64 s19, 0, v170
	v_not_b32_e32 v169, v170
	v_not_b32_e32 v170, v172
	v_ashrrev_i32_e32 v165, 31, v165
	v_cmp_gt_i32_e64 s20, 0, v172
	v_cmp_gt_i32_e64 s21, 0, v174
	v_not_b32_e32 v172, v174
	v_not_b32_e32 v174, v175
	v_dual_ashrrev_i32 v169, 31, v169 :: v_dual_ashrrev_i32 v170, 31, v170
	v_xor_b32_e32 v164, s17, v164
	s_delay_alu instid0(VALU_DEP_4) | instskip(SKIP_3) | instid1(VALU_DEP_4)
	v_dual_ashrrev_i32 v172, 31, v172 :: v_dual_bitop2_b32 v165, s18, v165 bitop3:0x14
	v_cmp_gt_i32_e64 s22, 0, v175
	v_ashrrev_i32_e32 v174, 31, v174
	v_xor_b32_e32 v170, s20, v170
	v_bitop3_b32 v65, v65, v165, v164 bitop3:0x80
	v_mad_u32_u24 v164, v167, 36, v25
	v_mul_u32_u24_e32 v167, 36, v167
	v_xor_b32_e32 v169, s19, v169
	v_xor_b32_e32 v165, s21, v172
	;; [unrolled: 1-line block ×3, first 2 shown]
	ds_load_b32 v164, v164 offset:544
	v_add_nc_u32_e32 v167, v25, v167
	v_bitop3_b32 v65, v65, v170, v169 bitop3:0x80
	; wave barrier
	s_delay_alu instid0(VALU_DEP_1) | instskip(NEXT) | instid1(VALU_DEP_1)
	v_bitop3_b32 v65, v65, v172, v165 bitop3:0x80
	v_mbcnt_lo_u32_b32 v165, v65, 0
	v_cmp_ne_u32_e64 s17, 0, v65
	s_delay_alu instid0(VALU_DEP_2) | instskip(SKIP_1) | instid1(SALU_CYCLE_1)
	v_cmp_eq_u32_e32 vcc_lo, 0, v165
	s_and_b32 s18, s17, vcc_lo
	s_and_saveexec_b32 s17, s18
	s_cbranch_execz .LBB1348_1090
; %bb.1089:                             ;   in Loop: Header=BB1348_1040 Depth=2
	s_wait_dscnt 0x0
	v_bcnt_u32_b32 v65, v65, v164
	ds_store_b32 v167, v65 offset:544
.LBB1348_1090:                          ;   in Loop: Header=BB1348_1040 Depth=2
	s_or_b32 exec_lo, exec_lo, s17
	v_cmp_gt_i32_e32 vcc_lo, 0, v163
	; wave barrier
	v_cndmask_b32_e64 v65, 0x7fffffff, 0, vcc_lo
	s_delay_alu instid0(VALU_DEP_1) | instskip(NEXT) | instid1(VALU_DEP_1)
	v_xor_b32_e32 v163, v65, v163
	v_cmp_ne_u32_e32 vcc_lo, 0x80000000, v163
	v_cndmask_b32_e32 v65, 0x7fffffff, v163, vcc_lo
	s_delay_alu instid0(VALU_DEP_1) | instskip(NEXT) | instid1(VALU_DEP_1)
	v_lshrrev_b32_e32 v65, s49, v65
	v_bitop3_b32 v169, v65, 1, s58 bitop3:0x80
	v_and_b32_e32 v172, s58, v65
	s_delay_alu instid0(VALU_DEP_2) | instskip(NEXT) | instid1(VALU_DEP_1)
	v_add_co_u32 v65, s17, v169, -1
	v_cndmask_b32_e64 v169, 0, 1, s17
	s_delay_alu instid0(VALU_DEP_3) | instskip(NEXT) | instid1(VALU_DEP_2)
	v_dual_lshlrev_b32 v170, 30, v172 :: v_dual_lshlrev_b32 v174, 29, v172
	v_cmp_ne_u32_e32 vcc_lo, 0, v169
	s_delay_alu instid0(VALU_DEP_2) | instskip(SKIP_1) | instid1(VALU_DEP_4)
	v_cmp_gt_i32_e64 s17, 0, v170
	v_not_b32_e32 v169, v170
	v_not_b32_e32 v170, v174
	v_bitop3_b32 v65, vcc_lo, exec_lo, v65 bitop3:0x48
	s_delay_alu instid0(VALU_DEP_2) | instskip(SKIP_3) | instid1(VALU_DEP_3)
	v_dual_ashrrev_i32 v169, 31, v169 :: v_dual_ashrrev_i32 v170, 31, v170
	v_dual_lshlrev_b32 v175, 28, v172 :: v_dual_lshlrev_b32 v176, 27, v172
	v_dual_lshlrev_b32 v177, 26, v172 :: v_dual_lshlrev_b32 v178, 25, v172
	v_cmp_gt_i32_e64 s18, 0, v174
	v_cmp_gt_i32_e64 s19, 0, v175
	v_not_b32_e32 v174, v175
	v_not_b32_e32 v175, v176
	v_cmp_gt_i32_e64 s20, 0, v176
	v_cmp_gt_i32_e64 s21, 0, v177
	v_not_b32_e32 v176, v177
	v_not_b32_e32 v177, v178
	v_dual_ashrrev_i32 v174, 31, v174 :: v_dual_ashrrev_i32 v175, 31, v175
	s_delay_alu instid0(VALU_DEP_3) | instskip(NEXT) | instid1(VALU_DEP_3)
	v_dual_ashrrev_i32 v176, 31, v176 :: v_dual_bitop2_b32 v169, s17, v169 bitop3:0x14
	v_dual_ashrrev_i32 v177, 31, v177 :: v_dual_bitop2_b32 v170, s18, v170 bitop3:0x14
	v_cmp_gt_i32_e64 s22, 0, v178
	s_delay_alu instid0(VALU_DEP_4) | instskip(NEXT) | instid1(VALU_DEP_3)
	v_xor_b32_e32 v175, s20, v175
	v_bitop3_b32 v65, v65, v170, v169 bitop3:0x80
	v_mad_u32_u24 v169, v172, 36, v25
	v_mul_u32_u24_e32 v172, 36, v172
	v_xor_b32_e32 v174, s19, v174
	v_xor_b32_e32 v170, s21, v176
	;; [unrolled: 1-line block ×3, first 2 shown]
	ds_load_b32 v169, v169 offset:544
	v_add_nc_u32_e32 v172, v25, v172
	v_bitop3_b32 v65, v65, v175, v174 bitop3:0x80
	; wave barrier
	s_delay_alu instid0(VALU_DEP_1) | instskip(NEXT) | instid1(VALU_DEP_1)
	v_bitop3_b32 v65, v65, v176, v170 bitop3:0x80
	v_mbcnt_lo_u32_b32 v170, v65, 0
	v_cmp_ne_u32_e64 s17, 0, v65
	s_delay_alu instid0(VALU_DEP_2) | instskip(SKIP_1) | instid1(SALU_CYCLE_1)
	v_cmp_eq_u32_e32 vcc_lo, 0, v170
	s_and_b32 s18, s17, vcc_lo
	s_and_saveexec_b32 s17, s18
	s_cbranch_execz .LBB1348_1092
; %bb.1091:                             ;   in Loop: Header=BB1348_1040 Depth=2
	s_wait_dscnt 0x0
	v_bcnt_u32_b32 v65, v65, v169
	ds_store_b32 v172, v65 offset:544
.LBB1348_1092:                          ;   in Loop: Header=BB1348_1040 Depth=2
	s_or_b32 exec_lo, exec_lo, s17
	v_cmp_gt_i32_e32 vcc_lo, 0, v168
	; wave barrier
	v_cndmask_b32_e64 v65, 0x7fffffff, 0, vcc_lo
	s_delay_alu instid0(VALU_DEP_1) | instskip(NEXT) | instid1(VALU_DEP_1)
	v_xor_b32_e32 v168, v65, v168
	v_cmp_ne_u32_e32 vcc_lo, 0x80000000, v168
	v_cndmask_b32_e32 v65, 0x7fffffff, v168, vcc_lo
	s_delay_alu instid0(VALU_DEP_1) | instskip(NEXT) | instid1(VALU_DEP_1)
	v_lshrrev_b32_e32 v65, s49, v65
	v_bitop3_b32 v174, v65, 1, s58 bitop3:0x80
	v_and_b32_e32 v176, s58, v65
	s_delay_alu instid0(VALU_DEP_2) | instskip(NEXT) | instid1(VALU_DEP_1)
	v_add_co_u32 v65, s17, v174, -1
	v_cndmask_b32_e64 v174, 0, 1, s17
	s_delay_alu instid0(VALU_DEP_3) | instskip(NEXT) | instid1(VALU_DEP_2)
	v_dual_lshlrev_b32 v175, 30, v176 :: v_dual_lshlrev_b32 v177, 29, v176
	v_cmp_ne_u32_e32 vcc_lo, 0, v174
	s_delay_alu instid0(VALU_DEP_2) | instskip(SKIP_1) | instid1(VALU_DEP_4)
	v_cmp_gt_i32_e64 s17, 0, v175
	v_not_b32_e32 v174, v175
	v_not_b32_e32 v175, v177
	v_cmp_gt_i32_e64 s18, 0, v177
	v_bitop3_b32 v65, vcc_lo, exec_lo, v65 bitop3:0x48
	s_delay_alu instid0(VALU_DEP_3) | instskip(SKIP_2) | instid1(VALU_DEP_2)
	v_dual_ashrrev_i32 v174, 31, v174 :: v_dual_ashrrev_i32 v175, 31, v175
	v_dual_lshlrev_b32 v178, 28, v176 :: v_dual_lshlrev_b32 v179, 27, v176
	v_dual_lshlrev_b32 v180, 26, v176 :: v_dual_lshlrev_b32 v181, 25, v176
	v_cmp_gt_i32_e64 s19, 0, v178
	v_not_b32_e32 v177, v178
	s_delay_alu instid0(VALU_DEP_4)
	v_not_b32_e32 v178, v179
	v_cmp_gt_i32_e64 s20, 0, v179
	v_cmp_gt_i32_e64 s21, 0, v180
	v_not_b32_e32 v179, v180
	v_not_b32_e32 v180, v181
	v_dual_ashrrev_i32 v177, 31, v177 :: v_dual_ashrrev_i32 v178, 31, v178
	s_delay_alu instid0(VALU_DEP_3) | instskip(NEXT) | instid1(VALU_DEP_3)
	v_dual_ashrrev_i32 v179, 31, v179 :: v_dual_bitop2_b32 v174, s17, v174 bitop3:0x14
	v_dual_ashrrev_i32 v180, 31, v180 :: v_dual_bitop2_b32 v175, s18, v175 bitop3:0x14
	v_cmp_gt_i32_e64 s22, 0, v181
	s_delay_alu instid0(VALU_DEP_4) | instskip(NEXT) | instid1(VALU_DEP_3)
	v_xor_b32_e32 v178, s20, v178
	v_bitop3_b32 v65, v65, v175, v174 bitop3:0x80
	v_mad_u32_u24 v174, v176, 36, v25
	v_mul_u32_u24_e32 v176, 36, v176
	v_xor_b32_e32 v177, s19, v177
	v_xor_b32_e32 v175, s21, v179
	;; [unrolled: 1-line block ×3, first 2 shown]
	ds_load_b32 v174, v174 offset:544
	v_add_nc_u32_e32 v176, v25, v176
	v_bitop3_b32 v65, v65, v178, v177 bitop3:0x80
	; wave barrier
	s_delay_alu instid0(VALU_DEP_1) | instskip(NEXT) | instid1(VALU_DEP_1)
	v_bitop3_b32 v65, v65, v179, v175 bitop3:0x80
	v_mbcnt_lo_u32_b32 v175, v65, 0
	v_cmp_ne_u32_e64 s17, 0, v65
	s_delay_alu instid0(VALU_DEP_2) | instskip(SKIP_1) | instid1(SALU_CYCLE_1)
	v_cmp_eq_u32_e32 vcc_lo, 0, v175
	s_and_b32 s18, s17, vcc_lo
	s_and_saveexec_b32 s17, s18
	s_cbranch_execz .LBB1348_1094
; %bb.1093:                             ;   in Loop: Header=BB1348_1040 Depth=2
	s_wait_dscnt 0x0
	v_bcnt_u32_b32 v65, v65, v174
	ds_store_b32 v176, v65 offset:544
.LBB1348_1094:                          ;   in Loop: Header=BB1348_1040 Depth=2
	s_or_b32 exec_lo, exec_lo, s17
	v_cmp_gt_i32_e32 vcc_lo, 0, v173
	; wave barrier
	v_cndmask_b32_e64 v65, 0x7fffffff, 0, vcc_lo
	s_delay_alu instid0(VALU_DEP_1) | instskip(NEXT) | instid1(VALU_DEP_1)
	v_xor_b32_e32 v173, v65, v173
	v_cmp_ne_u32_e32 vcc_lo, 0x80000000, v173
	v_cndmask_b32_e32 v65, 0x7fffffff, v173, vcc_lo
	s_delay_alu instid0(VALU_DEP_1) | instskip(NEXT) | instid1(VALU_DEP_1)
	v_lshrrev_b32_e32 v65, s49, v65
	v_and_b32_e32 v179, s58, v65
	s_delay_alu instid0(VALU_DEP_1) | instskip(SKIP_2) | instid1(VALU_DEP_3)
	v_lshlrev_b32_e32 v181, 28, v179
	v_bitop3_b32 v177, v65, 1, s58 bitop3:0x80
	v_dual_lshlrev_b32 v178, 30, v179 :: v_dual_lshlrev_b32 v180, 29, v179
	v_cmp_gt_i32_e64 s19, 0, v181
	s_delay_alu instid0(VALU_DEP_3) | instskip(NEXT) | instid1(VALU_DEP_1)
	v_add_co_u32 v65, s17, v177, -1
	v_cndmask_b32_e64 v177, 0, 1, s17
	s_delay_alu instid0(VALU_DEP_4) | instskip(SKIP_1) | instid1(VALU_DEP_3)
	v_cmp_gt_i32_e64 s17, 0, v178
	v_cmp_gt_i32_e64 s18, 0, v180
	v_cmp_ne_u32_e32 vcc_lo, 0, v177
	v_not_b32_e32 v177, v178
	v_not_b32_e32 v178, v180
	;; [unrolled: 1-line block ×3, first 2 shown]
	v_bitop3_b32 v65, vcc_lo, exec_lo, v65 bitop3:0x48
	s_delay_alu instid0(VALU_DEP_3) | instskip(SKIP_2) | instid1(VALU_DEP_2)
	v_dual_ashrrev_i32 v177, 31, v177 :: v_dual_ashrrev_i32 v178, 31, v178
	v_dual_lshlrev_b32 v182, 27, v179 :: v_dual_lshlrev_b32 v183, 26, v179
	v_lshlrev_b32_e32 v184, 25, v179
	v_not_b32_e32 v181, v182
	v_cmp_gt_i32_e64 s20, 0, v182
	s_delay_alu instid0(VALU_DEP_4) | instskip(SKIP_3) | instid1(VALU_DEP_3)
	v_cmp_gt_i32_e64 s21, 0, v183
	v_not_b32_e32 v182, v183
	v_not_b32_e32 v183, v184
	v_dual_ashrrev_i32 v180, 31, v180 :: v_dual_ashrrev_i32 v181, 31, v181
	v_dual_ashrrev_i32 v182, 31, v182 :: v_dual_bitop2_b32 v177, s17, v177 bitop3:0x14
	s_delay_alu instid0(VALU_DEP_3) | instskip(SKIP_1) | instid1(VALU_DEP_4)
	v_dual_ashrrev_i32 v183, 31, v183 :: v_dual_bitop2_b32 v178, s18, v178 bitop3:0x14
	v_cmp_gt_i32_e64 s22, 0, v184
	v_xor_b32_e32 v181, s20, v181
	s_delay_alu instid0(VALU_DEP_3)
	v_bitop3_b32 v65, v65, v178, v177 bitop3:0x80
	v_mad_u32_u24 v177, v179, 36, v25
	v_mul_u32_u24_e32 v179, 36, v179
	v_xor_b32_e32 v180, s19, v180
	v_xor_b32_e32 v178, s21, v182
	;; [unrolled: 1-line block ×3, first 2 shown]
	ds_load_b32 v177, v177 offset:544
	v_add_nc_u32_e32 v179, v25, v179
	v_bitop3_b32 v65, v65, v181, v180 bitop3:0x80
	; wave barrier
	s_delay_alu instid0(VALU_DEP_1) | instskip(NEXT) | instid1(VALU_DEP_1)
	v_bitop3_b32 v65, v65, v182, v178 bitop3:0x80
	v_mbcnt_lo_u32_b32 v178, v65, 0
	v_cmp_ne_u32_e64 s17, 0, v65
	s_delay_alu instid0(VALU_DEP_2) | instskip(SKIP_1) | instid1(SALU_CYCLE_1)
	v_cmp_eq_u32_e32 vcc_lo, 0, v178
	s_and_b32 s18, s17, vcc_lo
	s_and_saveexec_b32 s17, s18
	s_cbranch_execz .LBB1348_1096
; %bb.1095:                             ;   in Loop: Header=BB1348_1040 Depth=2
	s_wait_dscnt 0x0
	v_bcnt_u32_b32 v65, v65, v177
	ds_store_b32 v179, v65 offset:544
.LBB1348_1096:                          ;   in Loop: Header=BB1348_1040 Depth=2
	s_or_b32 exec_lo, exec_lo, s17
	v_cmp_gt_i32_e32 vcc_lo, 0, v171
	; wave barrier
	v_cndmask_b32_e64 v65, 0x7fffffff, 0, vcc_lo
	s_delay_alu instid0(VALU_DEP_1) | instskip(NEXT) | instid1(VALU_DEP_1)
	v_xor_b32_e32 v171, v65, v171
	v_cmp_ne_u32_e32 vcc_lo, 0x80000000, v171
	v_cndmask_b32_e32 v65, 0x7fffffff, v171, vcc_lo
	s_delay_alu instid0(VALU_DEP_1) | instskip(NEXT) | instid1(VALU_DEP_1)
	v_lshrrev_b32_e32 v65, s49, v65
	v_bitop3_b32 v180, v65, 1, s58 bitop3:0x80
	v_and_b32_e32 v182, s58, v65
	s_delay_alu instid0(VALU_DEP_2) | instskip(NEXT) | instid1(VALU_DEP_1)
	v_add_co_u32 v65, s17, v180, -1
	v_cndmask_b32_e64 v180, 0, 1, s17
	s_delay_alu instid0(VALU_DEP_3) | instskip(NEXT) | instid1(VALU_DEP_2)
	v_lshlrev_b32_e32 v181, 30, v182
	v_cmp_ne_u32_e32 vcc_lo, 0, v180
	s_delay_alu instid0(VALU_DEP_2) | instskip(SKIP_1) | instid1(VALU_DEP_2)
	v_not_b32_e32 v180, v181
	v_bitop3_b32 v65, vcc_lo, exec_lo, v65 bitop3:0x48
	v_dual_ashrrev_i32 v180, 31, v180 :: v_dual_lshlrev_b32 v183, 29, v182
	v_dual_lshlrev_b32 v184, 28, v182 :: v_dual_lshlrev_b32 v185, 27, v182
	v_lshlrev_b32_e32 v186, 26, v182
	v_cmp_gt_i32_e64 s17, 0, v181
	s_delay_alu instid0(VALU_DEP_4)
	v_not_b32_e32 v181, v183
	v_lshlrev_b32_e32 v187, 25, v182
	v_cmp_gt_i32_e64 s18, 0, v183
	v_cmp_gt_i32_e64 s19, 0, v184
	v_not_b32_e32 v183, v184
	v_not_b32_e32 v184, v185
	v_ashrrev_i32_e32 v181, 31, v181
	v_cmp_gt_i32_e64 s20, 0, v185
	v_cmp_gt_i32_e64 s21, 0, v186
	v_not_b32_e32 v185, v186
	v_not_b32_e32 v186, v187
	v_dual_ashrrev_i32 v183, 31, v183 :: v_dual_ashrrev_i32 v184, 31, v184
	s_delay_alu instid0(VALU_DEP_3) | instskip(NEXT) | instid1(VALU_DEP_3)
	v_dual_ashrrev_i32 v185, 31, v185 :: v_dual_bitop2_b32 v180, s17, v180 bitop3:0x14
	v_dual_ashrrev_i32 v186, 31, v186 :: v_dual_bitop2_b32 v181, s18, v181 bitop3:0x14
	v_cmp_gt_i32_e64 s22, 0, v187
	s_delay_alu instid0(VALU_DEP_4) | instskip(NEXT) | instid1(VALU_DEP_3)
	v_xor_b32_e32 v184, s20, v184
	v_bitop3_b32 v65, v65, v181, v180 bitop3:0x80
	v_mad_u32_u24 v180, v182, 36, v25
	v_mul_u32_u24_e32 v182, 36, v182
	v_xor_b32_e32 v183, s19, v183
	v_xor_b32_e32 v181, s21, v185
	v_xor_b32_e32 v185, s22, v186
	ds_load_b32 v180, v180 offset:544
	v_add_nc_u32_e32 v182, v25, v182
	v_bitop3_b32 v65, v65, v184, v183 bitop3:0x80
	; wave barrier
	s_delay_alu instid0(VALU_DEP_1) | instskip(NEXT) | instid1(VALU_DEP_1)
	v_bitop3_b32 v65, v65, v185, v181 bitop3:0x80
	v_mbcnt_lo_u32_b32 v181, v65, 0
	v_cmp_ne_u32_e64 s17, 0, v65
	s_delay_alu instid0(VALU_DEP_2) | instskip(SKIP_1) | instid1(SALU_CYCLE_1)
	v_cmp_eq_u32_e32 vcc_lo, 0, v181
	s_and_b32 s18, s17, vcc_lo
	s_and_saveexec_b32 s17, s18
	s_cbranch_execz .LBB1348_1098
; %bb.1097:                             ;   in Loop: Header=BB1348_1040 Depth=2
	s_wait_dscnt 0x0
	v_bcnt_u32_b32 v65, v65, v180
	ds_store_b32 v182, v65 offset:544
.LBB1348_1098:                          ;   in Loop: Header=BB1348_1040 Depth=2
	s_or_b32 exec_lo, exec_lo, s17
	v_cmp_gt_i32_e32 vcc_lo, 0, v166
	; wave barrier
	v_cndmask_b32_e64 v65, 0x7fffffff, 0, vcc_lo
	s_delay_alu instid0(VALU_DEP_1) | instskip(NEXT) | instid1(VALU_DEP_1)
	v_xor_b32_e32 v166, v65, v166
	v_cmp_ne_u32_e32 vcc_lo, 0x80000000, v166
	v_cndmask_b32_e32 v65, 0x7fffffff, v166, vcc_lo
	s_delay_alu instid0(VALU_DEP_1) | instskip(NEXT) | instid1(VALU_DEP_1)
	v_lshrrev_b32_e32 v65, s49, v65
	v_bitop3_b32 v183, v65, 1, s58 bitop3:0x80
	v_and_b32_e32 v186, s58, v65
	s_delay_alu instid0(VALU_DEP_2) | instskip(NEXT) | instid1(VALU_DEP_1)
	v_add_co_u32 v65, s17, v183, -1
	v_cndmask_b32_e64 v183, 0, 1, s17
	s_delay_alu instid0(VALU_DEP_3) | instskip(NEXT) | instid1(VALU_DEP_2)
	v_lshlrev_b32_e32 v184, 30, v186
	v_cmp_ne_u32_e32 vcc_lo, 0, v183
	s_delay_alu instid0(VALU_DEP_2) | instskip(SKIP_1) | instid1(VALU_DEP_2)
	v_not_b32_e32 v183, v184
	v_bitop3_b32 v65, vcc_lo, exec_lo, v65 bitop3:0x48
	v_dual_ashrrev_i32 v183, 31, v183 :: v_dual_lshlrev_b32 v185, 29, v186
	v_cmp_gt_i32_e64 s17, 0, v184
	v_dual_lshlrev_b32 v187, 28, v186 :: v_dual_lshlrev_b32 v188, 27, v186
	v_dual_lshlrev_b32 v189, 26, v186 :: v_dual_lshlrev_b32 v190, 25, v186
	s_delay_alu instid0(VALU_DEP_4) | instskip(SKIP_1) | instid1(VALU_DEP_4)
	v_not_b32_e32 v184, v185
	v_cmp_gt_i32_e64 s18, 0, v185
	v_cmp_gt_i32_e64 s19, 0, v187
	v_not_b32_e32 v185, v187
	v_cmp_gt_i32_e64 s20, 0, v188
	v_ashrrev_i32_e32 v184, 31, v184
	v_not_b32_e32 v187, v188
	v_cmp_gt_i32_e64 s21, 0, v189
	v_not_b32_e32 v188, v189
	v_not_b32_e32 v189, v190
	v_xor_b32_e32 v183, s17, v183
	v_dual_ashrrev_i32 v185, 31, v185 :: v_dual_bitop2_b32 v184, s18, v184 bitop3:0x14
	s_delay_alu instid0(VALU_DEP_4) | instskip(NEXT) | instid1(VALU_DEP_4)
	v_dual_ashrrev_i32 v187, 31, v187 :: v_dual_ashrrev_i32 v188, 31, v188
	v_ashrrev_i32_e32 v189, 31, v189
	s_delay_alu instid0(VALU_DEP_3)
	v_bitop3_b32 v65, v65, v184, v183 bitop3:0x80
	v_mad_u32_u24 v183, v186, 36, v25
	v_cmp_gt_i32_e64 s22, 0, v190
	v_xor_b32_e32 v187, s20, v187
	v_xor_b32_e32 v188, s21, v188
	ds_load_b32 v184, v183 offset:544
	v_mul_u32_u24_e32 v183, 36, v186
	v_xor_b32_e32 v185, s19, v185
	v_xor_b32_e32 v189, s22, v189
	; wave barrier
	s_delay_alu instid0(VALU_DEP_3) | instskip(NEXT) | instid1(VALU_DEP_3)
	v_add_nc_u32_e32 v186, v25, v183
	v_bitop3_b32 v65, v65, v187, v185 bitop3:0x80
	s_delay_alu instid0(VALU_DEP_1) | instskip(NEXT) | instid1(VALU_DEP_1)
	v_bitop3_b32 v65, v65, v189, v188 bitop3:0x80
	v_mbcnt_lo_u32_b32 v185, v65, 0
	v_cmp_ne_u32_e64 s17, 0, v65
	s_delay_alu instid0(VALU_DEP_2) | instskip(SKIP_1) | instid1(SALU_CYCLE_1)
	v_cmp_eq_u32_e32 vcc_lo, 0, v185
	s_and_b32 s18, s17, vcc_lo
	s_and_saveexec_b32 s17, s18
	s_cbranch_execz .LBB1348_1100
; %bb.1099:                             ;   in Loop: Header=BB1348_1040 Depth=2
	s_wait_dscnt 0x0
	v_bcnt_u32_b32 v65, v65, v184
	ds_store_b32 v186, v65 offset:544
.LBB1348_1100:                          ;   in Loop: Header=BB1348_1040 Depth=2
	s_or_b32 exec_lo, exec_lo, s17
	v_cmp_gt_i32_e32 vcc_lo, 0, v161
	; wave barrier
	v_cndmask_b32_e64 v65, 0x7fffffff, 0, vcc_lo
	s_delay_alu instid0(VALU_DEP_1) | instskip(NEXT) | instid1(VALU_DEP_1)
	v_xor_b32_e32 v183, v65, v161
	v_cmp_ne_u32_e32 vcc_lo, 0x80000000, v183
	v_cndmask_b32_e32 v65, 0x7fffffff, v183, vcc_lo
	s_delay_alu instid0(VALU_DEP_1) | instskip(NEXT) | instid1(VALU_DEP_1)
	v_lshrrev_b32_e32 v65, s49, v65
	v_and_b32_e32 v187, s58, v65
	s_delay_alu instid0(VALU_DEP_1) | instskip(NEXT) | instid1(VALU_DEP_1)
	v_lshlrev_b32_e32 v190, 27, v187
	v_cmp_gt_i32_e64 s19, 0, v190
	v_not_b32_e32 v190, v190
	s_delay_alu instid0(VALU_DEP_1) | instskip(SKIP_3) | instid1(VALU_DEP_3)
	v_dual_ashrrev_i32 v190, 31, v190 :: v_dual_lshlrev_b32 v188, 29, v187
	v_bitop3_b32 v161, v65, 1, s58 bitop3:0x80
	v_dual_lshlrev_b32 v189, 28, v187 :: v_dual_lshlrev_b32 v191, 26, v187
	v_lshlrev_b32_e32 v192, 25, v187
	v_add_co_u32 v65, s17, v161, -1
	v_lshlrev_b32_e32 v161, 30, v187
	v_cndmask_b32_e64 v193, 0, 1, s17
	v_cmp_gt_i32_e64 s17, 0, v188
	v_not_b32_e32 v188, v188
	v_cmp_gt_i32_e64 s18, 0, v189
	v_cmp_gt_i32_e32 vcc_lo, 0, v161
	v_not_b32_e32 v161, v161
	v_cmp_ne_u32_e64 s22, 0, v193
	v_ashrrev_i32_e32 v188, 31, v188
	v_not_b32_e32 v189, v189
	v_cmp_gt_i32_e64 s21, 0, v192
	v_ashrrev_i32_e32 v161, 31, v161
	v_not_b32_e32 v192, v192
	v_bitop3_b32 v65, s22, exec_lo, v65 bitop3:0x48
	v_xor_b32_e32 v188, s17, v188
	v_cmp_gt_i32_e64 s20, 0, v191
	s_delay_alu instid0(VALU_DEP_4) | instskip(SKIP_2) | instid1(VALU_DEP_3)
	v_dual_ashrrev_i32 v192, 31, v192 :: v_dual_bitop2_b32 v161, vcc_lo, v161 bitop3:0x14
	v_not_b32_e32 v191, v191
	v_ashrrev_i32_e32 v189, 31, v189
	v_bitop3_b32 v65, v65, v188, v161 bitop3:0x80
	v_mad_u32_u24 v161, v187, 36, v25
	s_delay_alu instid0(VALU_DEP_3)
	v_dual_ashrrev_i32 v191, 31, v191 :: v_dual_bitop2_b32 v189, s18, v189 bitop3:0x14
	v_xor_b32_e32 v192, s21, v192
	ds_load_b32 v188, v161 offset:544
	v_mul_u32_u24_e32 v161, 36, v187
	v_xor_b32_e32 v190, s19, v190
	v_xor_b32_e32 v191, s20, v191
	; wave barrier
	s_delay_alu instid0(VALU_DEP_3) | instskip(NEXT) | instid1(VALU_DEP_3)
	v_add_nc_u32_e32 v161, v25, v161
	v_bitop3_b32 v65, v65, v190, v189 bitop3:0x80
	s_delay_alu instid0(VALU_DEP_1) | instskip(NEXT) | instid1(VALU_DEP_1)
	v_bitop3_b32 v65, v65, v192, v191 bitop3:0x80
	v_mbcnt_lo_u32_b32 v189, v65, 0
	v_cmp_ne_u32_e64 s17, 0, v65
	s_delay_alu instid0(VALU_DEP_2) | instskip(SKIP_1) | instid1(SALU_CYCLE_1)
	v_cmp_eq_u32_e32 vcc_lo, 0, v189
	s_and_b32 s18, s17, vcc_lo
	s_and_saveexec_b32 s17, s18
	s_cbranch_execz .LBB1348_1102
; %bb.1101:                             ;   in Loop: Header=BB1348_1040 Depth=2
	s_wait_dscnt 0x0
	v_bcnt_u32_b32 v65, v65, v188
	ds_store_b32 v161, v65 offset:544
.LBB1348_1102:                          ;   in Loop: Header=BB1348_1040 Depth=2
	s_or_b32 exec_lo, exec_lo, s17
	v_cmp_gt_i32_e32 vcc_lo, 0, v157
	; wave barrier
	v_cndmask_b32_e64 v65, 0x7fffffff, 0, vcc_lo
	s_delay_alu instid0(VALU_DEP_1) | instskip(NEXT) | instid1(VALU_DEP_1)
	v_xor_b32_e32 v187, v65, v157
	v_cmp_ne_u32_e32 vcc_lo, 0x80000000, v187
	v_cndmask_b32_e32 v65, 0x7fffffff, v187, vcc_lo
	s_delay_alu instid0(VALU_DEP_1) | instskip(NEXT) | instid1(VALU_DEP_1)
	v_lshrrev_b32_e32 v65, s49, v65
	v_and_b32_e32 v190, s58, v65
	s_delay_alu instid0(VALU_DEP_1) | instskip(SKIP_2) | instid1(VALU_DEP_3)
	v_lshlrev_b32_e32 v193, 28, v190
	v_bitop3_b32 v157, v65, 1, s58 bitop3:0x80
	v_dual_lshlrev_b32 v191, 30, v190 :: v_dual_lshlrev_b32 v192, 29, v190
	v_cmp_gt_i32_e64 s19, 0, v193
	s_delay_alu instid0(VALU_DEP_3) | instskip(NEXT) | instid1(VALU_DEP_1)
	v_add_co_u32 v65, s17, v157, -1
	v_cndmask_b32_e64 v157, 0, 1, s17
	s_delay_alu instid0(VALU_DEP_4) | instskip(SKIP_1) | instid1(VALU_DEP_3)
	v_cmp_gt_i32_e64 s17, 0, v191
	v_cmp_gt_i32_e64 s18, 0, v192
	v_cmp_ne_u32_e32 vcc_lo, 0, v157
	v_not_b32_e32 v157, v191
	v_not_b32_e32 v191, v192
	;; [unrolled: 1-line block ×3, first 2 shown]
	v_bitop3_b32 v65, vcc_lo, exec_lo, v65 bitop3:0x48
	s_delay_alu instid0(VALU_DEP_3) | instskip(SKIP_1) | instid1(VALU_DEP_2)
	v_dual_ashrrev_i32 v157, 31, v157 :: v_dual_ashrrev_i32 v191, 31, v191
	v_dual_lshlrev_b32 v194, 27, v190 :: v_dual_lshlrev_b32 v195, 26, v190
	v_dual_lshlrev_b32 v196, 25, v190 :: v_dual_bitop2_b32 v191, s18, v191 bitop3:0x14
	s_delay_alu instid0(VALU_DEP_2) | instskip(SKIP_1) | instid1(VALU_DEP_4)
	v_not_b32_e32 v193, v194
	v_cmp_gt_i32_e64 s20, 0, v194
	v_cmp_gt_i32_e64 s21, 0, v195
	v_not_b32_e32 v194, v195
	v_not_b32_e32 v195, v196
	v_dual_ashrrev_i32 v192, 31, v192 :: v_dual_ashrrev_i32 v193, 31, v193
	s_delay_alu instid0(VALU_DEP_3) | instskip(SKIP_1) | instid1(VALU_DEP_3)
	v_dual_ashrrev_i32 v194, 31, v194 :: v_dual_bitop2_b32 v157, s17, v157 bitop3:0x14
	v_cmp_gt_i32_e64 s22, 0, v196
	v_dual_ashrrev_i32 v195, 31, v195 :: v_dual_bitop2_b32 v192, s19, v192 bitop3:0x14
	s_delay_alu instid0(VALU_DEP_4) | instskip(NEXT) | instid1(VALU_DEP_4)
	v_xor_b32_e32 v193, s20, v193
	v_bitop3_b32 v65, v65, v191, v157 bitop3:0x80
	v_mad_u32_u24 v157, v190, 36, v25
	v_xor_b32_e32 v194, s21, v194
	v_xor_b32_e32 v195, s22, v195
	s_delay_alu instid0(VALU_DEP_4) | instskip(SKIP_3) | instid1(VALU_DEP_2)
	v_bitop3_b32 v65, v65, v193, v192 bitop3:0x80
	ds_load_b32 v191, v157 offset:544
	v_mul_u32_u24_e32 v157, 36, v190
	; wave barrier
	v_bitop3_b32 v65, v65, v195, v194 bitop3:0x80
	v_add_nc_u32_e32 v157, v25, v157
	s_delay_alu instid0(VALU_DEP_2) | instskip(SKIP_1) | instid1(VALU_DEP_2)
	v_mbcnt_lo_u32_b32 v192, v65, 0
	v_cmp_ne_u32_e64 s17, 0, v65
	v_cmp_eq_u32_e32 vcc_lo, 0, v192
	s_and_b32 s18, s17, vcc_lo
	s_delay_alu instid0(SALU_CYCLE_1)
	s_and_saveexec_b32 s17, s18
	s_cbranch_execz .LBB1348_1104
; %bb.1103:                             ;   in Loop: Header=BB1348_1040 Depth=2
	s_wait_dscnt 0x0
	v_bcnt_u32_b32 v65, v65, v191
	ds_store_b32 v157, v65 offset:544
.LBB1348_1104:                          ;   in Loop: Header=BB1348_1040 Depth=2
	s_or_b32 exec_lo, exec_lo, s17
	v_cmp_gt_i32_e32 vcc_lo, 0, v152
	; wave barrier
	v_cndmask_b32_e64 v65, 0x7fffffff, 0, vcc_lo
	s_delay_alu instid0(VALU_DEP_1) | instskip(NEXT) | instid1(VALU_DEP_1)
	v_xor_b32_e32 v190, v65, v152
	v_cmp_ne_u32_e32 vcc_lo, 0x80000000, v190
	v_cndmask_b32_e32 v65, 0x7fffffff, v190, vcc_lo
	s_delay_alu instid0(VALU_DEP_1) | instskip(NEXT) | instid1(VALU_DEP_1)
	v_lshrrev_b32_e32 v65, s49, v65
	v_bitop3_b32 v152, v65, 1, s58 bitop3:0x80
	v_and_b32_e32 v193, s58, v65
	s_delay_alu instid0(VALU_DEP_2) | instskip(NEXT) | instid1(VALU_DEP_1)
	v_add_co_u32 v65, s17, v152, -1
	v_cndmask_b32_e64 v152, 0, 1, s17
	s_delay_alu instid0(VALU_DEP_3) | instskip(NEXT) | instid1(VALU_DEP_2)
	v_lshlrev_b32_e32 v194, 30, v193
	v_cmp_ne_u32_e32 vcc_lo, 0, v152
	s_delay_alu instid0(VALU_DEP_2) | instskip(SKIP_2) | instid1(VALU_DEP_3)
	v_not_b32_e32 v152, v194
	v_cmp_gt_i32_e64 s17, 0, v194
	v_bitop3_b32 v65, vcc_lo, exec_lo, v65 bitop3:0x48
	v_dual_ashrrev_i32 v152, 31, v152 :: v_dual_lshlrev_b32 v195, 29, v193
	v_dual_lshlrev_b32 v196, 28, v193 :: v_dual_lshlrev_b32 v197, 27, v193
	v_lshlrev_b32_e32 v198, 26, v193
	s_delay_alu instid0(VALU_DEP_3)
	v_not_b32_e32 v194, v195
	v_lshlrev_b32_e32 v199, 25, v193
	v_cmp_gt_i32_e64 s18, 0, v195
	v_cmp_gt_i32_e64 s19, 0, v196
	v_not_b32_e32 v195, v196
	v_not_b32_e32 v196, v197
	v_ashrrev_i32_e32 v194, 31, v194
	v_cmp_gt_i32_e64 s20, 0, v197
	v_cmp_gt_i32_e64 s21, 0, v198
	v_not_b32_e32 v197, v198
	v_not_b32_e32 v198, v199
	v_dual_ashrrev_i32 v195, 31, v195 :: v_dual_ashrrev_i32 v196, 31, v196
	s_delay_alu instid0(VALU_DEP_3) | instskip(SKIP_2) | instid1(VALU_DEP_4)
	v_dual_ashrrev_i32 v197, 31, v197 :: v_dual_bitop2_b32 v152, s17, v152 bitop3:0x14
	v_xor_b32_e32 v194, s18, v194
	v_cmp_gt_i32_e64 s22, 0, v199
	v_dual_ashrrev_i32 v198, 31, v198 :: v_dual_bitop2_b32 v195, s19, v195 bitop3:0x14
	v_xor_b32_e32 v196, s20, v196
	s_delay_alu instid0(VALU_DEP_4) | instskip(SKIP_3) | instid1(VALU_DEP_4)
	v_bitop3_b32 v65, v65, v194, v152 bitop3:0x80
	v_mad_u32_u24 v152, v193, 36, v25
	v_xor_b32_e32 v197, s21, v197
	v_xor_b32_e32 v198, s22, v198
	v_bitop3_b32 v65, v65, v196, v195 bitop3:0x80
	ds_load_b32 v194, v152 offset:544
	v_mul_u32_u24_e32 v152, 36, v193
	; wave barrier
	v_bitop3_b32 v65, v65, v198, v197 bitop3:0x80
	s_delay_alu instid0(VALU_DEP_2) | instskip(NEXT) | instid1(VALU_DEP_2)
	v_add_nc_u32_e32 v152, v25, v152
	v_mbcnt_lo_u32_b32 v195, v65, 0
	v_cmp_ne_u32_e64 s17, 0, v65
	s_delay_alu instid0(VALU_DEP_2) | instskip(SKIP_1) | instid1(SALU_CYCLE_1)
	v_cmp_eq_u32_e32 vcc_lo, 0, v195
	s_and_b32 s18, s17, vcc_lo
	s_and_saveexec_b32 s17, s18
	s_cbranch_execz .LBB1348_1106
; %bb.1105:                             ;   in Loop: Header=BB1348_1040 Depth=2
	s_wait_dscnt 0x0
	v_bcnt_u32_b32 v65, v65, v194
	ds_store_b32 v152, v65 offset:544
.LBB1348_1106:                          ;   in Loop: Header=BB1348_1040 Depth=2
	s_or_b32 exec_lo, exec_lo, s17
	v_cmp_gt_i32_e32 vcc_lo, 0, v67
	; wave barrier
	v_cndmask_b32_e64 v65, 0x7fffffff, 0, vcc_lo
	s_delay_alu instid0(VALU_DEP_1) | instskip(NEXT) | instid1(VALU_DEP_1)
	v_xor_b32_e32 v193, v65, v67
	v_cmp_ne_u32_e32 vcc_lo, 0x80000000, v193
	v_cndmask_b32_e32 v65, 0x7fffffff, v193, vcc_lo
	s_delay_alu instid0(VALU_DEP_1) | instskip(NEXT) | instid1(VALU_DEP_1)
	v_lshrrev_b32_e32 v65, s49, v65
	v_bitop3_b32 v67, v65, 1, s58 bitop3:0x80
	v_and_b32_e32 v196, s58, v65
	s_delay_alu instid0(VALU_DEP_2) | instskip(NEXT) | instid1(VALU_DEP_1)
	v_add_co_u32 v65, s17, v67, -1
	v_cndmask_b32_e64 v67, 0, 1, s17
	s_delay_alu instid0(VALU_DEP_3) | instskip(NEXT) | instid1(VALU_DEP_2)
	v_lshlrev_b32_e32 v197, 30, v196
	v_cmp_ne_u32_e32 vcc_lo, 0, v67
	s_delay_alu instid0(VALU_DEP_2) | instskip(SKIP_1) | instid1(VALU_DEP_2)
	v_not_b32_e32 v67, v197
	v_bitop3_b32 v65, vcc_lo, exec_lo, v65 bitop3:0x48
	v_dual_ashrrev_i32 v67, 31, v67 :: v_dual_lshlrev_b32 v198, 29, v196
	v_dual_lshlrev_b32 v199, 28, v196 :: v_dual_lshlrev_b32 v200, 27, v196
	v_lshlrev_b32_e32 v201, 26, v196
	v_cmp_gt_i32_e64 s17, 0, v197
	s_delay_alu instid0(VALU_DEP_4)
	v_not_b32_e32 v197, v198
	v_lshlrev_b32_e32 v202, 25, v196
	v_cmp_gt_i32_e64 s18, 0, v198
	v_cmp_gt_i32_e64 s19, 0, v199
	v_not_b32_e32 v198, v199
	v_not_b32_e32 v199, v200
	v_ashrrev_i32_e32 v197, 31, v197
	v_cmp_gt_i32_e64 s20, 0, v200
	v_cmp_gt_i32_e64 s21, 0, v201
	v_not_b32_e32 v200, v201
	v_not_b32_e32 v201, v202
	v_dual_ashrrev_i32 v198, 31, v198 :: v_dual_ashrrev_i32 v199, 31, v199
	s_delay_alu instid0(VALU_DEP_3) | instskip(SKIP_2) | instid1(VALU_DEP_4)
	v_dual_ashrrev_i32 v200, 31, v200 :: v_dual_bitop2_b32 v67, s17, v67 bitop3:0x14
	v_xor_b32_e32 v197, s18, v197
	v_cmp_gt_i32_e64 s22, 0, v202
	v_dual_ashrrev_i32 v201, 31, v201 :: v_dual_bitop2_b32 v198, s19, v198 bitop3:0x14
	v_xor_b32_e32 v199, s20, v199
	s_delay_alu instid0(VALU_DEP_4) | instskip(SKIP_3) | instid1(VALU_DEP_4)
	v_bitop3_b32 v65, v65, v197, v67 bitop3:0x80
	v_mad_u32_u24 v67, v196, 36, v25
	v_xor_b32_e32 v200, s21, v200
	v_xor_b32_e32 v201, s22, v201
	v_bitop3_b32 v65, v65, v199, v198 bitop3:0x80
	ds_load_b32 v197, v67 offset:544
	v_mul_u32_u24_e32 v67, 36, v196
	; wave barrier
	v_bitop3_b32 v65, v65, v201, v200 bitop3:0x80
	s_delay_alu instid0(VALU_DEP_2) | instskip(NEXT) | instid1(VALU_DEP_2)
	v_add_nc_u32_e32 v199, v25, v67
	v_mbcnt_lo_u32_b32 v198, v65, 0
	v_cmp_ne_u32_e64 s17, 0, v65
	s_delay_alu instid0(VALU_DEP_2) | instskip(SKIP_1) | instid1(SALU_CYCLE_1)
	v_cmp_eq_u32_e32 vcc_lo, 0, v198
	s_and_b32 s18, s17, vcc_lo
	s_and_saveexec_b32 s17, s18
	s_cbranch_execz .LBB1348_1108
; %bb.1107:                             ;   in Loop: Header=BB1348_1040 Depth=2
	s_wait_dscnt 0x0
	v_bcnt_u32_b32 v65, v65, v197
	ds_store_b32 v199, v65 offset:544
.LBB1348_1108:                          ;   in Loop: Header=BB1348_1040 Depth=2
	s_or_b32 exec_lo, exec_lo, s17
	v_cmp_gt_i32_e32 vcc_lo, 0, v66
	; wave barrier
	v_cndmask_b32_e64 v65, 0x7fffffff, 0, vcc_lo
	s_delay_alu instid0(VALU_DEP_1) | instskip(NEXT) | instid1(VALU_DEP_1)
	v_xor_b32_e32 v196, v65, v66
	v_cmp_ne_u32_e32 vcc_lo, 0x80000000, v196
	v_cndmask_b32_e32 v65, 0x7fffffff, v196, vcc_lo
	s_delay_alu instid0(VALU_DEP_1) | instskip(NEXT) | instid1(VALU_DEP_1)
	v_lshrrev_b32_e32 v65, s49, v65
	v_bitop3_b32 v66, v65, 1, s58 bitop3:0x80
	v_and_b32_e32 v67, s58, v65
	s_delay_alu instid0(VALU_DEP_2) | instskip(NEXT) | instid1(VALU_DEP_1)
	v_add_co_u32 v65, s17, v66, -1
	v_cndmask_b32_e64 v66, 0, 1, s17
	s_delay_alu instid0(VALU_DEP_3) | instskip(NEXT) | instid1(VALU_DEP_2)
	v_lshlrev_b32_e32 v200, 30, v67
	v_cmp_ne_u32_e32 vcc_lo, 0, v66
	s_delay_alu instid0(VALU_DEP_2) | instskip(SKIP_2) | instid1(VALU_DEP_3)
	v_not_b32_e32 v66, v200
	v_cmp_gt_i32_e64 s17, 0, v200
	v_bitop3_b32 v65, vcc_lo, exec_lo, v65 bitop3:0x48
	v_dual_ashrrev_i32 v66, 31, v66 :: v_dual_lshlrev_b32 v201, 29, v67
	v_dual_lshlrev_b32 v202, 28, v67 :: v_dual_lshlrev_b32 v203, 27, v67
	v_lshlrev_b32_e32 v204, 26, v67
	s_delay_alu instid0(VALU_DEP_3)
	v_not_b32_e32 v200, v201
	v_lshlrev_b32_e32 v205, 25, v67
	v_cmp_gt_i32_e64 s18, 0, v201
	v_cmp_gt_i32_e64 s19, 0, v202
	v_not_b32_e32 v201, v202
	v_not_b32_e32 v202, v203
	v_ashrrev_i32_e32 v200, 31, v200
	v_cmp_gt_i32_e64 s20, 0, v203
	v_cmp_gt_i32_e64 s21, 0, v204
	v_not_b32_e32 v203, v204
	v_not_b32_e32 v204, v205
	v_dual_ashrrev_i32 v201, 31, v201 :: v_dual_ashrrev_i32 v202, 31, v202
	s_delay_alu instid0(VALU_DEP_3) | instskip(SKIP_2) | instid1(VALU_DEP_4)
	v_dual_ashrrev_i32 v203, 31, v203 :: v_dual_bitop2_b32 v66, s17, v66 bitop3:0x14
	v_xor_b32_e32 v200, s18, v200
	v_cmp_gt_i32_e64 s22, 0, v205
	v_dual_ashrrev_i32 v204, 31, v204 :: v_dual_bitop2_b32 v201, s19, v201 bitop3:0x14
	v_xor_b32_e32 v202, s20, v202
	s_delay_alu instid0(VALU_DEP_4) | instskip(SKIP_3) | instid1(VALU_DEP_4)
	v_bitop3_b32 v65, v65, v200, v66 bitop3:0x80
	v_mad_u32_u24 v66, v67, 36, v25
	v_xor_b32_e32 v200, s21, v203
	v_xor_b32_e32 v203, s22, v204
	v_bitop3_b32 v65, v65, v202, v201 bitop3:0x80
	ds_load_b32 v201, v66 offset:544
	v_mul_u32_u24_e32 v66, 36, v67
	; wave barrier
	v_bitop3_b32 v65, v65, v203, v200 bitop3:0x80
	s_delay_alu instid0(VALU_DEP_2) | instskip(NEXT) | instid1(VALU_DEP_2)
	v_add_nc_u32_e32 v203, v25, v66
	v_mbcnt_lo_u32_b32 v202, v65, 0
	v_cmp_ne_u32_e64 s17, 0, v65
	s_delay_alu instid0(VALU_DEP_2) | instskip(SKIP_1) | instid1(SALU_CYCLE_1)
	v_cmp_eq_u32_e32 vcc_lo, 0, v202
	s_and_b32 s18, s17, vcc_lo
	s_and_saveexec_b32 s17, s18
	s_cbranch_execz .LBB1348_1110
; %bb.1109:                             ;   in Loop: Header=BB1348_1040 Depth=2
	s_wait_dscnt 0x0
	v_bcnt_u32_b32 v65, v65, v201
	ds_store_b32 v203, v65 offset:544
.LBB1348_1110:                          ;   in Loop: Header=BB1348_1040 Depth=2
	s_or_b32 exec_lo, exec_lo, s17
	v_cmp_gt_i32_e32 vcc_lo, 0, v64
	; wave barrier
	v_cndmask_b32_e64 v65, 0x7fffffff, 0, vcc_lo
	s_delay_alu instid0(VALU_DEP_1) | instskip(NEXT) | instid1(VALU_DEP_1)
	v_xor_b32_e32 v200, v65, v64
	v_cmp_ne_u32_e32 vcc_lo, 0x80000000, v200
	v_cndmask_b32_e32 v64, 0x7fffffff, v200, vcc_lo
	s_delay_alu instid0(VALU_DEP_1) | instskip(NEXT) | instid1(VALU_DEP_1)
	v_lshrrev_b32_e32 v64, s49, v64
	v_bitop3_b32 v65, v64, 1, s58 bitop3:0x80
	v_and_b32_e32 v66, s58, v64
	s_delay_alu instid0(VALU_DEP_2) | instskip(NEXT) | instid1(VALU_DEP_1)
	v_add_co_u32 v64, s17, v65, -1
	v_cndmask_b32_e64 v65, 0, 1, s17
	s_delay_alu instid0(VALU_DEP_3) | instskip(NEXT) | instid1(VALU_DEP_2)
	v_lshlrev_b32_e32 v67, 30, v66
	v_cmp_ne_u32_e32 vcc_lo, 0, v65
	s_delay_alu instid0(VALU_DEP_2) | instskip(SKIP_2) | instid1(VALU_DEP_3)
	v_not_b32_e32 v65, v67
	v_cmp_gt_i32_e64 s17, 0, v67
	v_bitop3_b32 v64, vcc_lo, exec_lo, v64 bitop3:0x48
	v_dual_ashrrev_i32 v65, 31, v65 :: v_dual_lshlrev_b32 v204, 29, v66
	v_dual_lshlrev_b32 v205, 28, v66 :: v_dual_lshlrev_b32 v206, 27, v66
	v_lshlrev_b32_e32 v207, 26, v66
	s_delay_alu instid0(VALU_DEP_3)
	v_not_b32_e32 v67, v204
	v_lshlrev_b32_e32 v208, 25, v66
	v_cmp_gt_i32_e64 s18, 0, v204
	v_cmp_gt_i32_e64 s19, 0, v205
	v_not_b32_e32 v204, v205
	v_not_b32_e32 v205, v206
	v_ashrrev_i32_e32 v67, 31, v67
	v_cmp_gt_i32_e64 s20, 0, v206
	v_cmp_gt_i32_e64 s21, 0, v207
	v_not_b32_e32 v206, v207
	v_not_b32_e32 v207, v208
	v_dual_ashrrev_i32 v204, 31, v204 :: v_dual_ashrrev_i32 v205, 31, v205
	s_delay_alu instid0(VALU_DEP_3) | instskip(SKIP_2) | instid1(VALU_DEP_4)
	v_dual_ashrrev_i32 v206, 31, v206 :: v_dual_bitop2_b32 v65, s17, v65 bitop3:0x14
	v_xor_b32_e32 v67, s18, v67
	v_cmp_gt_i32_e64 s22, 0, v208
	v_dual_ashrrev_i32 v207, 31, v207 :: v_dual_bitop2_b32 v204, s19, v204 bitop3:0x14
	v_xor_b32_e32 v205, s20, v205
	s_delay_alu instid0(VALU_DEP_4) | instskip(SKIP_3) | instid1(VALU_DEP_4)
	v_bitop3_b32 v64, v64, v67, v65 bitop3:0x80
	v_mad_u32_u24 v65, v66, 36, v25
	v_xor_b32_e32 v67, s21, v206
	v_xor_b32_e32 v206, s22, v207
	v_bitop3_b32 v64, v64, v205, v204 bitop3:0x80
	ds_load_b32 v204, v65 offset:544
	v_mul_u32_u24_e32 v65, 36, v66
	; wave barrier
	v_bitop3_b32 v64, v64, v206, v67 bitop3:0x80
	s_delay_alu instid0(VALU_DEP_2) | instskip(NEXT) | instid1(VALU_DEP_2)
	v_add_nc_u32_e32 v206, v25, v65
	v_mbcnt_lo_u32_b32 v205, v64, 0
	v_cmp_ne_u32_e64 s17, 0, v64
	s_delay_alu instid0(VALU_DEP_2) | instskip(SKIP_1) | instid1(SALU_CYCLE_1)
	v_cmp_eq_u32_e32 vcc_lo, 0, v205
	s_and_b32 s18, s17, vcc_lo
	s_and_saveexec_b32 s17, s18
	s_cbranch_execz .LBB1348_1112
; %bb.1111:                             ;   in Loop: Header=BB1348_1040 Depth=2
	s_wait_dscnt 0x0
	v_bcnt_u32_b32 v64, v64, v204
	ds_store_b32 v206, v64 offset:544
.LBB1348_1112:                          ;   in Loop: Header=BB1348_1040 Depth=2
	s_or_b32 exec_lo, exec_lo, s17
	; wave barrier
	s_wait_dscnt 0x0
	s_barrier_signal -1
	s_barrier_wait -1
	ds_load_2addr_b32 v[66:67], v90 offset0:136 offset1:137
	ds_load_2addr_b32 v[64:65], v90 offset0:138 offset1:139
	ds_load_b32 v207, v90 offset:560
	s_wait_dscnt 0x1
	v_add3_u32 v208, v67, v66, v64
	s_wait_dscnt 0x0
	s_delay_alu instid0(VALU_DEP_1) | instskip(NEXT) | instid1(VALU_DEP_1)
	v_add3_u32 v207, v208, v65, v207
	v_mov_b32_dpp v208, v207 row_shr:1 row_mask:0xf bank_mask:0xf
	s_delay_alu instid0(VALU_DEP_1) | instskip(NEXT) | instid1(VALU_DEP_1)
	v_cndmask_b32_e64 v208, v208, 0, s9
	v_add_nc_u32_e32 v207, v208, v207
	s_delay_alu instid0(VALU_DEP_1) | instskip(NEXT) | instid1(VALU_DEP_1)
	v_mov_b32_dpp v208, v207 row_shr:2 row_mask:0xf bank_mask:0xf
	v_cndmask_b32_e64 v208, 0, v208, s10
	s_delay_alu instid0(VALU_DEP_1) | instskip(NEXT) | instid1(VALU_DEP_1)
	v_add_nc_u32_e32 v207, v207, v208
	v_mov_b32_dpp v208, v207 row_shr:4 row_mask:0xf bank_mask:0xf
	s_delay_alu instid0(VALU_DEP_1) | instskip(NEXT) | instid1(VALU_DEP_1)
	v_cndmask_b32_e64 v208, 0, v208, s11
	v_add_nc_u32_e32 v207, v207, v208
	s_delay_alu instid0(VALU_DEP_1) | instskip(NEXT) | instid1(VALU_DEP_1)
	v_mov_b32_dpp v208, v207 row_shr:8 row_mask:0xf bank_mask:0xf
	v_cndmask_b32_e64 v208, 0, v208, s12
	s_delay_alu instid0(VALU_DEP_1) | instskip(SKIP_3) | instid1(VALU_DEP_1)
	v_add_nc_u32_e32 v207, v207, v208
	ds_swizzle_b32 v208, v207 offset:swizzle(BROADCAST,32,15)
	s_wait_dscnt 0x0
	v_cndmask_b32_e64 v208, v208, 0, s13
	v_add_nc_u32_e32 v207, v207, v208
	s_and_saveexec_b32 s17, s2
; %bb.1113:                             ;   in Loop: Header=BB1348_1040 Depth=2
	ds_store_b32 v83, v207 offset:512
; %bb.1114:                             ;   in Loop: Header=BB1348_1040 Depth=2
	s_or_b32 exec_lo, exec_lo, s17
	s_wait_dscnt 0x0
	s_barrier_signal -1
	s_barrier_wait -1
	s_and_saveexec_b32 s17, s3
	s_cbranch_execz .LBB1348_1116
; %bb.1115:                             ;   in Loop: Header=BB1348_1040 Depth=2
	ds_load_b32 v208, v92 offset:512
	s_wait_dscnt 0x0
	v_mov_b32_dpp v209, v208 row_shr:1 row_mask:0xf bank_mask:0xf
	s_delay_alu instid0(VALU_DEP_1) | instskip(NEXT) | instid1(VALU_DEP_1)
	v_cndmask_b32_e64 v209, v209, 0, s14
	v_add_nc_u32_e32 v208, v209, v208
	s_delay_alu instid0(VALU_DEP_1) | instskip(NEXT) | instid1(VALU_DEP_1)
	v_mov_b32_dpp v209, v208 row_shr:2 row_mask:0xf bank_mask:0xf
	v_cndmask_b32_e64 v209, 0, v209, s15
	s_delay_alu instid0(VALU_DEP_1) | instskip(NEXT) | instid1(VALU_DEP_1)
	v_add_nc_u32_e32 v208, v208, v209
	v_mov_b32_dpp v209, v208 row_shr:4 row_mask:0xf bank_mask:0xf
	s_delay_alu instid0(VALU_DEP_1) | instskip(NEXT) | instid1(VALU_DEP_1)
	v_cndmask_b32_e64 v209, 0, v209, s16
	v_add_nc_u32_e32 v208, v208, v209
	ds_store_b32 v92, v208 offset:512
.LBB1348_1116:                          ;   in Loop: Header=BB1348_1040 Depth=2
	s_or_b32 exec_lo, exec_lo, s17
	v_mov_b32_e32 v208, 0
	s_wait_dscnt 0x0
	s_barrier_signal -1
	s_barrier_wait -1
	s_and_saveexec_b32 s17, s5
; %bb.1117:                             ;   in Loop: Header=BB1348_1040 Depth=2
	ds_load_b32 v208, v83 offset:508
; %bb.1118:                             ;   in Loop: Header=BB1348_1040 Depth=2
	s_or_b32 exec_lo, exec_lo, s17
	s_wait_dscnt 0x0
	v_add_nc_u32_e32 v207, v208, v207
	ds_bpermute_b32 v207, v119, v207
	s_wait_dscnt 0x0
	v_cndmask_b32_e64 v207, v207, v208, s8
	s_delay_alu instid0(VALU_DEP_1) | instskip(NEXT) | instid1(VALU_DEP_1)
	v_cndmask_b32_e64 v207, v207, 0, s6
	v_add_nc_u32_e32 v66, v207, v66
	s_delay_alu instid0(VALU_DEP_1) | instskip(NEXT) | instid1(VALU_DEP_1)
	v_add_nc_u32_e32 v67, v66, v67
	v_add_nc_u32_e32 v64, v67, v64
	s_delay_alu instid0(VALU_DEP_1)
	v_add_nc_u32_e32 v65, v64, v65
	ds_store_2addr_b32 v90, v207, v66 offset0:136 offset1:137
	ds_store_2addr_b32 v90, v67, v64 offset0:138 offset1:139
	ds_store_b32 v90, v65 offset:560
	s_wait_dscnt 0x0
	s_barrier_signal -1
	s_barrier_wait -1
	ds_load_b32 v66, v143 offset:544
	ds_load_b32 v67, v147 offset:544
	ds_load_b32 v143, v151 offset:544
	ds_load_b32 v147, v156 offset:544
	ds_load_b32 v151, v162 offset:544
	ds_load_b32 v207, v167 offset:544
	ds_load_b32 v172, v172 offset:544
	ds_load_b32 v176, v176 offset:544
	ds_load_b32 v179, v179 offset:544
	ds_load_b32 v182, v182 offset:544
	ds_load_b32 v186, v186 offset:544
	ds_load_b32 v208, v161 offset:544
	ds_load_b32 v209, v157 offset:544
	ds_load_b32 v210, v152 offset:544
	ds_load_b32 v64, v199 offset:544
	ds_load_b32 v65, v203 offset:544
	ds_load_b32 v167, v206 offset:544
	s_and_saveexec_b32 s17, s0
	s_cbranch_execz .LBB1348_1122
; %bb.1119:                             ;   in Loop: Header=BB1348_1040 Depth=2
	ds_load_b32 v133, v94 offset:544
	v_mov_b32_e32 v138, 0x1100
	s_and_saveexec_b32 s18, s7
; %bb.1120:                             ;   in Loop: Header=BB1348_1040 Depth=2
	ds_load_b32 v138, v93 offset:544
; %bb.1121:                             ;   in Loop: Header=BB1348_1040 Depth=2
	s_or_b32 exec_lo, exec_lo, s18
	s_wait_dscnt 0x0
	v_sub_nc_u32_e32 v138, v138, v133
.LBB1348_1122:                          ;   in Loop: Header=BB1348_1040 Depth=2
	s_or_b32 exec_lo, exec_lo, s17
	s_wait_dscnt 0x0
	s_barrier_signal -1
	s_barrier_wait -1
	s_and_saveexec_b32 s17, s0
	s_cbranch_execz .LBB1348_1124
; %bb.1123:                             ;   in Loop: Header=BB1348_1040 Depth=2
	ds_load_b32 v152, v4
	s_wait_dscnt 0x0
	v_sub_nc_u32_e32 v152, v152, v133
	ds_store_b32 v4, v152
.LBB1348_1124:                          ;   in Loop: Header=BB1348_1040 Depth=2
	s_or_b32 exec_lo, exec_lo, s17
	v_add3_u32 v156, v155, v154, v147
	v_add_nc_u32_e32 v162, v66, v141
	v_add3_u32 v161, v146, v145, v67
	v_add3_u32 v157, v150, v149, v143
	;; [unrolled: 1-line block ×4, first 2 shown]
	v_dual_lshlrev_b32 v65, 2, v156 :: v_dual_lshlrev_b32 v159, 2, v162
	v_lshlrev_b32_e32 v160, 2, v161
	v_add3_u32 v154, v165, v164, v207
	v_add3_u32 v152, v170, v169, v172
	;; [unrolled: 1-line block ×4, first 2 shown]
	v_lshlrev_b32_e32 v64, 2, v157
	v_add3_u32 v150, v178, v177, v179
	v_add3_u32 v149, v181, v180, v182
	ds_store_b32 v159, v140 offset:512
	ds_store_b32 v160, v142 offset:512
	v_lshlrev_b32_e32 v140, 2, v155
	v_add3_u32 v147, v185, v184, v186
	v_dual_lshlrev_b32 v142, 2, v154 :: v_dual_lshlrev_b32 v159, 2, v152
	v_add3_u32 v146, v189, v188, v208
	v_add3_u32 v67, v192, v191, v209
	ds_store_b32 v64, v144 offset:512
	ds_store_b32 v65, v148 offset:512
	;; [unrolled: 1-line block ×5, first 2 shown]
	v_dual_lshlrev_b32 v64, 2, v151 :: v_dual_lshlrev_b32 v65, 2, v150
	v_add3_u32 v66, v195, v194, v210
	v_dual_lshlrev_b32 v140, 2, v149 :: v_dual_lshlrev_b32 v142, 2, v147
	v_add3_u32 v141, v205, v204, v167
	v_lshlrev_b32_e32 v144, 2, v146
	ds_store_b32 v64, v168 offset:512
	ds_store_b32 v65, v173 offset:512
	;; [unrolled: 1-line block ×5, first 2 shown]
	v_lshlrev_b32_e32 v64, 2, v67
	v_cmp_lt_u32_e32 vcc_lo, v2, v139
	v_dual_lshlrev_b32 v65, 2, v66 :: v_dual_lshlrev_b32 v140, 2, v145
	v_dual_lshlrev_b32 v142, 2, v143 :: v_dual_lshlrev_b32 v144, 2, v141
	ds_store_b32 v64, v187 offset:512
	ds_store_b32 v65, v190 offset:512
	;; [unrolled: 1-line block ×5, first 2 shown]
	s_wait_dscnt 0x0
	s_barrier_signal -1
	s_barrier_wait -1
	s_and_saveexec_b32 s18, vcc_lo
	s_cbranch_execnz .LBB1348_1197
; %bb.1125:                             ;   in Loop: Header=BB1348_1040 Depth=2
	s_or_b32 exec_lo, exec_lo, s18
	v_cmp_lt_u32_e64 s17, v3, v139
	s_and_saveexec_b32 s19, s17
	s_cbranch_execnz .LBB1348_1198
.LBB1348_1126:                          ;   in Loop: Header=BB1348_1040 Depth=2
	s_or_b32 exec_lo, exec_lo, s19
	v_cmp_lt_u32_e64 s18, v68, v139
	s_and_saveexec_b32 s20, s18
	s_cbranch_execnz .LBB1348_1199
.LBB1348_1127:                          ;   in Loop: Header=BB1348_1040 Depth=2
	s_or_b32 exec_lo, exec_lo, s20
	v_cmp_lt_u32_e64 s19, v69, v139
	s_and_saveexec_b32 s21, s19
	s_cbranch_execnz .LBB1348_1200
.LBB1348_1128:                          ;   in Loop: Header=BB1348_1040 Depth=2
	s_or_b32 exec_lo, exec_lo, s21
	v_cmp_lt_u32_e64 s20, v70, v139
	s_and_saveexec_b32 s22, s20
	s_cbranch_execnz .LBB1348_1201
.LBB1348_1129:                          ;   in Loop: Header=BB1348_1040 Depth=2
	s_or_b32 exec_lo, exec_lo, s22
	v_cmp_lt_u32_e64 s21, v71, v139
	s_and_saveexec_b32 s23, s21
	s_cbranch_execnz .LBB1348_1202
.LBB1348_1130:                          ;   in Loop: Header=BB1348_1040 Depth=2
	s_or_b32 exec_lo, exec_lo, s23
	v_cmp_lt_u32_e64 s22, v72, v139
	s_and_saveexec_b32 s24, s22
	s_cbranch_execnz .LBB1348_1203
.LBB1348_1131:                          ;   in Loop: Header=BB1348_1040 Depth=2
	s_or_b32 exec_lo, exec_lo, s24
	v_cmp_lt_u32_e64 s23, v73, v139
	s_and_saveexec_b32 s25, s23
	s_cbranch_execnz .LBB1348_1204
.LBB1348_1132:                          ;   in Loop: Header=BB1348_1040 Depth=2
	s_or_b32 exec_lo, exec_lo, s25
	v_cmp_lt_u32_e64 s24, v74, v139
	s_and_saveexec_b32 s26, s24
	s_cbranch_execnz .LBB1348_1205
.LBB1348_1133:                          ;   in Loop: Header=BB1348_1040 Depth=2
	s_or_b32 exec_lo, exec_lo, s26
	v_cmp_lt_u32_e64 s25, v75, v139
	s_and_saveexec_b32 s27, s25
	s_cbranch_execnz .LBB1348_1206
.LBB1348_1134:                          ;   in Loop: Header=BB1348_1040 Depth=2
	s_or_b32 exec_lo, exec_lo, s27
	v_cmp_lt_u32_e64 s26, v76, v139
	s_and_saveexec_b32 s28, s26
	s_cbranch_execnz .LBB1348_1207
.LBB1348_1135:                          ;   in Loop: Header=BB1348_1040 Depth=2
	s_or_b32 exec_lo, exec_lo, s28
	v_cmp_lt_u32_e64 s27, v77, v139
	s_and_saveexec_b32 s29, s27
	s_cbranch_execnz .LBB1348_1208
.LBB1348_1136:                          ;   in Loop: Header=BB1348_1040 Depth=2
	s_or_b32 exec_lo, exec_lo, s29
	v_cmp_lt_u32_e64 s28, v78, v139
	s_and_saveexec_b32 s30, s28
	s_cbranch_execnz .LBB1348_1209
.LBB1348_1137:                          ;   in Loop: Header=BB1348_1040 Depth=2
	s_or_b32 exec_lo, exec_lo, s30
	v_cmp_lt_u32_e64 s29, v79, v139
	s_and_saveexec_b32 s31, s29
	s_cbranch_execnz .LBB1348_1210
.LBB1348_1138:                          ;   in Loop: Header=BB1348_1040 Depth=2
	s_or_b32 exec_lo, exec_lo, s31
	v_cmp_lt_u32_e64 s30, v80, v139
	s_and_saveexec_b32 s33, s30
	s_cbranch_execnz .LBB1348_1211
.LBB1348_1139:                          ;   in Loop: Header=BB1348_1040 Depth=2
	s_or_b32 exec_lo, exec_lo, s33
	v_cmp_lt_u32_e64 s31, v81, v139
	s_and_saveexec_b32 s34, s31
	s_cbranch_execnz .LBB1348_1212
.LBB1348_1140:                          ;   in Loop: Header=BB1348_1040 Depth=2
	s_or_b32 exec_lo, exec_lo, s34
	v_cmp_lt_u32_e64 s33, v82, v139
	s_and_saveexec_b32 s61, s33
	s_cbranch_execz .LBB1348_1142
.LBB1348_1141:                          ;   in Loop: Header=BB1348_1040 Depth=2
	ds_load_b32 v64, v92 offset:16896
	s_wait_dscnt 0x0
	v_cmp_ne_u32_e64 s34, 0x80000000, v64
	s_delay_alu instid0(VALU_DEP_1) | instskip(SKIP_1) | instid1(VALU_DEP_1)
	v_cndmask_b32_e64 v65, 0x7fffffff, v64, s34
	v_cmp_gt_i32_e64 s34, 0, v64
	v_cndmask_b32_e64 v140, 0x7fffffff, 0, s34
	s_delay_alu instid0(VALU_DEP_1) | instskip(NEXT) | instid1(VALU_DEP_1)
	v_dual_lshrrev_b32 v65, s49, v65 :: v_dual_bitop2_b32 v64, v140, v64 bitop3:0x14
	v_and_b32_e32 v65, s58, v65
	s_delay_alu instid0(VALU_DEP_1)
	v_lshlrev_b32_e32 v65, 2, v65
	ds_load_b32 v65, v65
	s_wait_dscnt 0x0
	v_add_nc_u32_e32 v65, v65, v82
	global_store_b32 v65, v64, s[40:41] scale_offset
.LBB1348_1142:                          ;   in Loop: Header=BB1348_1040 Depth=2
	s_wait_xcnt 0x0
	s_or_b32 exec_lo, exec_lo, s61
	v_lshl_add_u64 v[64:65], s[42:43], 3, v[26:27]
	v_cmp_lt_u32_e64 s34, v101, v139
	s_and_saveexec_b32 s42, s34
	s_delay_alu instid0(SALU_CYCLE_1)
	s_xor_b32 s34, exec_lo, s42
	s_cbranch_execnz .LBB1348_1213
; %bb.1143:                             ;   in Loop: Header=BB1348_1040 Depth=2
	s_or_b32 exec_lo, exec_lo, s34
	s_delay_alu instid0(SALU_CYCLE_1)
	s_mov_b32 s42, exec_lo
	v_cmpx_lt_u32_e64 v104, v139
	s_cbranch_execnz .LBB1348_1214
.LBB1348_1144:                          ;   in Loop: Header=BB1348_1040 Depth=2
	s_or_b32 exec_lo, exec_lo, s42
	s_delay_alu instid0(SALU_CYCLE_1)
	s_mov_b32 s42, exec_lo
	v_cmpx_lt_u32_e64 v105, v139
	s_cbranch_execnz .LBB1348_1215
.LBB1348_1145:                          ;   in Loop: Header=BB1348_1040 Depth=2
	s_or_b32 exec_lo, exec_lo, s42
	s_delay_alu instid0(SALU_CYCLE_1)
	s_mov_b32 s42, exec_lo
	v_cmpx_lt_u32_e64 v106, v139
	s_cbranch_execnz .LBB1348_1216
.LBB1348_1146:                          ;   in Loop: Header=BB1348_1040 Depth=2
	s_or_b32 exec_lo, exec_lo, s42
	s_delay_alu instid0(SALU_CYCLE_1)
	s_mov_b32 s42, exec_lo
	v_cmpx_lt_u32_e64 v107, v139
	s_cbranch_execnz .LBB1348_1217
.LBB1348_1147:                          ;   in Loop: Header=BB1348_1040 Depth=2
	s_or_b32 exec_lo, exec_lo, s42
	s_delay_alu instid0(SALU_CYCLE_1)
	s_mov_b32 s42, exec_lo
	v_cmpx_lt_u32_e64 v108, v139
	s_cbranch_execnz .LBB1348_1218
.LBB1348_1148:                          ;   in Loop: Header=BB1348_1040 Depth=2
	s_or_b32 exec_lo, exec_lo, s42
	s_delay_alu instid0(SALU_CYCLE_1)
	s_mov_b32 s42, exec_lo
	v_cmpx_lt_u32_e64 v109, v139
	s_cbranch_execnz .LBB1348_1219
.LBB1348_1149:                          ;   in Loop: Header=BB1348_1040 Depth=2
	s_or_b32 exec_lo, exec_lo, s42
	s_delay_alu instid0(SALU_CYCLE_1)
	s_mov_b32 s42, exec_lo
	v_cmpx_lt_u32_e64 v110, v139
	s_cbranch_execnz .LBB1348_1220
.LBB1348_1150:                          ;   in Loop: Header=BB1348_1040 Depth=2
	s_or_b32 exec_lo, exec_lo, s42
	s_delay_alu instid0(SALU_CYCLE_1)
	s_mov_b32 s42, exec_lo
	v_cmpx_lt_u32_e64 v111, v139
	s_cbranch_execnz .LBB1348_1221
.LBB1348_1151:                          ;   in Loop: Header=BB1348_1040 Depth=2
	s_or_b32 exec_lo, exec_lo, s42
	s_delay_alu instid0(SALU_CYCLE_1)
	s_mov_b32 s42, exec_lo
	v_cmpx_lt_u32_e64 v112, v139
	s_cbranch_execnz .LBB1348_1222
.LBB1348_1152:                          ;   in Loop: Header=BB1348_1040 Depth=2
	s_or_b32 exec_lo, exec_lo, s42
	s_delay_alu instid0(SALU_CYCLE_1)
	s_mov_b32 s42, exec_lo
	v_cmpx_lt_u32_e64 v113, v139
	s_cbranch_execnz .LBB1348_1223
.LBB1348_1153:                          ;   in Loop: Header=BB1348_1040 Depth=2
	s_or_b32 exec_lo, exec_lo, s42
	s_delay_alu instid0(SALU_CYCLE_1)
	s_mov_b32 s42, exec_lo
	v_cmpx_lt_u32_e64 v114, v139
	s_cbranch_execnz .LBB1348_1224
.LBB1348_1154:                          ;   in Loop: Header=BB1348_1040 Depth=2
	s_or_b32 exec_lo, exec_lo, s42
	s_delay_alu instid0(SALU_CYCLE_1)
	s_mov_b32 s42, exec_lo
	v_cmpx_lt_u32_e64 v115, v139
	s_cbranch_execnz .LBB1348_1225
.LBB1348_1155:                          ;   in Loop: Header=BB1348_1040 Depth=2
	s_or_b32 exec_lo, exec_lo, s42
	s_delay_alu instid0(SALU_CYCLE_1)
	s_mov_b32 s42, exec_lo
	v_cmpx_lt_u32_e64 v116, v139
	s_cbranch_execnz .LBB1348_1226
.LBB1348_1156:                          ;   in Loop: Header=BB1348_1040 Depth=2
	s_or_b32 exec_lo, exec_lo, s42
	s_delay_alu instid0(SALU_CYCLE_1)
	s_mov_b32 s42, exec_lo
	v_cmpx_lt_u32_e64 v117, v139
	s_cbranch_execnz .LBB1348_1227
.LBB1348_1157:                          ;   in Loop: Header=BB1348_1040 Depth=2
	s_or_b32 exec_lo, exec_lo, s42
	s_delay_alu instid0(SALU_CYCLE_1)
	s_mov_b32 s42, exec_lo
	v_cmpx_lt_u32_e64 v118, v139
	s_cbranch_execnz .LBB1348_1228
.LBB1348_1158:                          ;   in Loop: Header=BB1348_1040 Depth=2
	s_or_b32 exec_lo, exec_lo, s42
	s_delay_alu instid0(SALU_CYCLE_1)
	s_mov_b32 s42, exec_lo
	v_cmpx_lt_u32_e64 v5, v139
	s_cbranch_execnz .LBB1348_1229
.LBB1348_1159:                          ;   in Loop: Header=BB1348_1040 Depth=2
	s_or_b32 exec_lo, exec_lo, s42
	s_and_saveexec_b32 s42, vcc_lo
	s_cbranch_execnz .LBB1348_1230
.LBB1348_1160:                          ;   in Loop: Header=BB1348_1040 Depth=2
	s_or_b32 exec_lo, exec_lo, s42
	s_and_saveexec_b32 s42, s17
	s_cbranch_execnz .LBB1348_1231
.LBB1348_1161:                          ;   in Loop: Header=BB1348_1040 Depth=2
	s_or_b32 exec_lo, exec_lo, s42
	s_and_saveexec_b32 s42, s18
	s_cbranch_execnz .LBB1348_1232
.LBB1348_1162:                          ;   in Loop: Header=BB1348_1040 Depth=2
	s_or_b32 exec_lo, exec_lo, s42
	s_and_saveexec_b32 s42, s19
	s_cbranch_execnz .LBB1348_1233
.LBB1348_1163:                          ;   in Loop: Header=BB1348_1040 Depth=2
	s_or_b32 exec_lo, exec_lo, s42
	s_and_saveexec_b32 s42, s20
	s_cbranch_execnz .LBB1348_1234
.LBB1348_1164:                          ;   in Loop: Header=BB1348_1040 Depth=2
	s_or_b32 exec_lo, exec_lo, s42
	s_and_saveexec_b32 s42, s21
	s_cbranch_execnz .LBB1348_1235
.LBB1348_1165:                          ;   in Loop: Header=BB1348_1040 Depth=2
	s_or_b32 exec_lo, exec_lo, s42
	s_and_saveexec_b32 s42, s22
	s_cbranch_execnz .LBB1348_1236
.LBB1348_1166:                          ;   in Loop: Header=BB1348_1040 Depth=2
	s_or_b32 exec_lo, exec_lo, s42
	s_and_saveexec_b32 s42, s23
	s_cbranch_execnz .LBB1348_1237
.LBB1348_1167:                          ;   in Loop: Header=BB1348_1040 Depth=2
	s_or_b32 exec_lo, exec_lo, s42
	s_and_saveexec_b32 s42, s24
	s_cbranch_execnz .LBB1348_1238
.LBB1348_1168:                          ;   in Loop: Header=BB1348_1040 Depth=2
	s_or_b32 exec_lo, exec_lo, s42
	s_and_saveexec_b32 s42, s25
	s_cbranch_execnz .LBB1348_1239
.LBB1348_1169:                          ;   in Loop: Header=BB1348_1040 Depth=2
	s_or_b32 exec_lo, exec_lo, s42
	s_and_saveexec_b32 s42, s26
	s_cbranch_execnz .LBB1348_1240
.LBB1348_1170:                          ;   in Loop: Header=BB1348_1040 Depth=2
	s_or_b32 exec_lo, exec_lo, s42
	s_and_saveexec_b32 s42, s27
	s_cbranch_execnz .LBB1348_1241
.LBB1348_1171:                          ;   in Loop: Header=BB1348_1040 Depth=2
	s_or_b32 exec_lo, exec_lo, s42
	s_and_saveexec_b32 s42, s28
	s_cbranch_execnz .LBB1348_1242
.LBB1348_1172:                          ;   in Loop: Header=BB1348_1040 Depth=2
	s_or_b32 exec_lo, exec_lo, s42
	s_and_saveexec_b32 s42, s29
	s_cbranch_execnz .LBB1348_1243
.LBB1348_1173:                          ;   in Loop: Header=BB1348_1040 Depth=2
	s_or_b32 exec_lo, exec_lo, s42
	s_and_saveexec_b32 s42, s30
	s_cbranch_execnz .LBB1348_1244
.LBB1348_1174:                          ;   in Loop: Header=BB1348_1040 Depth=2
	s_or_b32 exec_lo, exec_lo, s42
	s_and_saveexec_b32 s42, s31
	s_cbranch_execnz .LBB1348_1245
.LBB1348_1175:                          ;   in Loop: Header=BB1348_1040 Depth=2
	s_or_b32 exec_lo, exec_lo, s42
	s_and_saveexec_b32 s42, s33
	s_cbranch_execz .LBB1348_1177
.LBB1348_1176:                          ;   in Loop: Header=BB1348_1040 Depth=2
	ds_load_b32 v64, v92 offset:16896
	s_wait_dscnt 0x0
	v_cmp_ne_u32_e64 s34, 0x80000000, v64
	s_delay_alu instid0(VALU_DEP_1) | instskip(NEXT) | instid1(VALU_DEP_1)
	v_cndmask_b32_e64 v64, 0x7fffffff, v64, s34
	v_lshrrev_b32_e32 v64, s49, v64
	s_delay_alu instid0(VALU_DEP_1)
	v_and_b32_e32 v120, s58, v64
.LBB1348_1177:                          ;   in Loop: Header=BB1348_1040 Depth=2
	s_or_b32 exec_lo, exec_lo, s42
	v_dual_lshlrev_b32 v64, 3, v162 :: v_dual_lshlrev_b32 v65, 3, v161
	s_wait_loadcnt 0x0
	s_wait_storecnt 0x0
	s_barrier_signal -1
	s_barrier_wait -1
	ds_store_b64 v64, v[62:63] offset:512
	ds_store_b64 v65, v[60:61] offset:512
	v_dual_lshlrev_b32 v64, 3, v157 :: v_dual_lshlrev_b32 v65, 3, v156
	v_dual_lshlrev_b32 v139, 3, v155 :: v_dual_lshlrev_b32 v140, 3, v154
	v_lshlrev_b32_e32 v142, 3, v152
	ds_store_b64 v64, v[58:59] offset:512
	ds_store_b64 v65, v[56:57] offset:512
	ds_store_b64 v139, v[54:55] offset:512
	ds_store_b64 v140, v[52:53] offset:512
	ds_store_b64 v142, v[50:51] offset:512
	v_dual_lshlrev_b32 v64, 3, v151 :: v_dual_lshlrev_b32 v65, 3, v150
	v_dual_lshlrev_b32 v139, 3, v149 :: v_dual_lshlrev_b32 v140, 3, v147
	v_lshlrev_b32_e32 v142, 3, v146
	ds_store_b64 v64, v[48:49] offset:512
	ds_store_b64 v65, v[46:47] offset:512
	ds_store_b64 v139, v[44:45] offset:512
	ds_store_b64 v140, v[42:43] offset:512
	ds_store_b64 v142, v[40:41] offset:512
	v_dual_lshlrev_b32 v64, 3, v67 :: v_dual_lshlrev_b32 v65, 3, v66
	v_dual_lshlrev_b32 v66, 3, v145 :: v_dual_lshlrev_b32 v67, 3, v143
	v_lshlrev_b32_e32 v139, 3, v141
	ds_store_b64 v64, v[38:39] offset:512
	ds_store_b64 v65, v[36:37] offset:512
	ds_store_b64 v66, v[34:35] offset:512
	ds_store_b64 v67, v[32:33] offset:512
	ds_store_b64 v139, v[30:31] offset:512
	v_add_nc_u32_e32 v64, v92, v4
	s_wait_dscnt 0x0
	s_barrier_signal -1
	s_barrier_wait -1
	s_and_saveexec_b32 s34, vcc_lo
	s_cbranch_execnz .LBB1348_1246
; %bb.1178:                             ;   in Loop: Header=BB1348_1040 Depth=2
	s_or_b32 exec_lo, exec_lo, s34
	s_and_saveexec_b32 s34, s17
	s_cbranch_execnz .LBB1348_1247
.LBB1348_1179:                          ;   in Loop: Header=BB1348_1040 Depth=2
	s_or_b32 exec_lo, exec_lo, s34
	s_and_saveexec_b32 s17, s18
	s_cbranch_execnz .LBB1348_1248
.LBB1348_1180:                          ;   in Loop: Header=BB1348_1040 Depth=2
	s_or_b32 exec_lo, exec_lo, s17
	s_and_saveexec_b32 s17, s19
	s_cbranch_execnz .LBB1348_1249
.LBB1348_1181:                          ;   in Loop: Header=BB1348_1040 Depth=2
	s_or_b32 exec_lo, exec_lo, s17
	s_and_saveexec_b32 s17, s20
	s_cbranch_execnz .LBB1348_1250
.LBB1348_1182:                          ;   in Loop: Header=BB1348_1040 Depth=2
	s_or_b32 exec_lo, exec_lo, s17
	s_and_saveexec_b32 s17, s21
	s_cbranch_execnz .LBB1348_1251
.LBB1348_1183:                          ;   in Loop: Header=BB1348_1040 Depth=2
	s_or_b32 exec_lo, exec_lo, s17
	s_and_saveexec_b32 s17, s22
	s_cbranch_execnz .LBB1348_1252
.LBB1348_1184:                          ;   in Loop: Header=BB1348_1040 Depth=2
	s_or_b32 exec_lo, exec_lo, s17
	s_and_saveexec_b32 s17, s23
	s_cbranch_execnz .LBB1348_1253
.LBB1348_1185:                          ;   in Loop: Header=BB1348_1040 Depth=2
	s_or_b32 exec_lo, exec_lo, s17
	s_and_saveexec_b32 s17, s24
	s_cbranch_execnz .LBB1348_1254
.LBB1348_1186:                          ;   in Loop: Header=BB1348_1040 Depth=2
	s_or_b32 exec_lo, exec_lo, s17
	s_and_saveexec_b32 s17, s25
	s_cbranch_execnz .LBB1348_1255
.LBB1348_1187:                          ;   in Loop: Header=BB1348_1040 Depth=2
	s_or_b32 exec_lo, exec_lo, s17
	s_and_saveexec_b32 s17, s26
	s_cbranch_execnz .LBB1348_1256
.LBB1348_1188:                          ;   in Loop: Header=BB1348_1040 Depth=2
	s_or_b32 exec_lo, exec_lo, s17
	s_and_saveexec_b32 s17, s27
	s_cbranch_execnz .LBB1348_1257
.LBB1348_1189:                          ;   in Loop: Header=BB1348_1040 Depth=2
	s_or_b32 exec_lo, exec_lo, s17
	s_and_saveexec_b32 s17, s28
	s_cbranch_execnz .LBB1348_1258
.LBB1348_1190:                          ;   in Loop: Header=BB1348_1040 Depth=2
	s_or_b32 exec_lo, exec_lo, s17
	s_and_saveexec_b32 s17, s29
	s_cbranch_execnz .LBB1348_1259
.LBB1348_1191:                          ;   in Loop: Header=BB1348_1040 Depth=2
	s_or_b32 exec_lo, exec_lo, s17
	s_and_saveexec_b32 s17, s30
	s_cbranch_execnz .LBB1348_1260
.LBB1348_1192:                          ;   in Loop: Header=BB1348_1040 Depth=2
	s_or_b32 exec_lo, exec_lo, s17
	s_and_saveexec_b32 s17, s31
	s_cbranch_execnz .LBB1348_1261
.LBB1348_1193:                          ;   in Loop: Header=BB1348_1040 Depth=2
	s_or_b32 exec_lo, exec_lo, s17
	s_and_saveexec_b32 s17, s33
	s_cbranch_execz .LBB1348_1195
.LBB1348_1194:                          ;   in Loop: Header=BB1348_1040 Depth=2
	v_lshlrev_b32_e32 v65, 2, v120
	ds_load_b32 v66, v65
	ds_load_b64 v[64:65], v64 offset:33280
	s_wait_dscnt 0x1
	v_add_nc_u32_e32 v66, v66, v82
	s_wait_dscnt 0x0
	global_store_b64 v66, v[64:65], s[46:47] scale_offset
.LBB1348_1195:                          ;   in Loop: Header=BB1348_1040 Depth=2
	s_wait_xcnt 0x0
	s_or_b32 exec_lo, exec_lo, s17
	s_wait_storecnt 0x0
	s_barrier_signal -1
	s_barrier_wait -1
	s_and_saveexec_b32 s17, s0
	s_cbranch_execz .LBB1348_1039
; %bb.1196:                             ;   in Loop: Header=BB1348_1040 Depth=2
	ds_load_b32 v64, v4
	s_wait_dscnt 0x0
	v_add3_u32 v64, v133, v138, v64
	ds_store_b32 v4, v64
	s_branch .LBB1348_1039
.LBB1348_1197:                          ;   in Loop: Header=BB1348_1040 Depth=2
	ds_load_b32 v64, v92 offset:512
	s_wait_dscnt 0x0
	v_cmp_ne_u32_e64 s17, 0x80000000, v64
	s_delay_alu instid0(VALU_DEP_1) | instskip(SKIP_1) | instid1(VALU_DEP_1)
	v_cndmask_b32_e64 v65, 0x7fffffff, v64, s17
	v_cmp_gt_i32_e64 s17, 0, v64
	v_cndmask_b32_e64 v140, 0x7fffffff, 0, s17
	s_delay_alu instid0(VALU_DEP_1) | instskip(NEXT) | instid1(VALU_DEP_1)
	v_dual_lshrrev_b32 v65, s49, v65 :: v_dual_bitop2_b32 v64, v140, v64 bitop3:0x14
	v_and_b32_e32 v65, s58, v65
	s_delay_alu instid0(VALU_DEP_1)
	v_lshlrev_b32_e32 v65, 2, v65
	ds_load_b32 v65, v65
	s_wait_dscnt 0x0
	v_add_nc_u32_e32 v65, v65, v2
	global_store_b32 v65, v64, s[40:41] scale_offset
	s_wait_xcnt 0x0
	s_or_b32 exec_lo, exec_lo, s18
	v_cmp_lt_u32_e64 s17, v3, v139
	s_and_saveexec_b32 s19, s17
	s_cbranch_execz .LBB1348_1126
.LBB1348_1198:                          ;   in Loop: Header=BB1348_1040 Depth=2
	ds_load_b32 v64, v92 offset:1536
	s_wait_dscnt 0x0
	v_cmp_ne_u32_e64 s18, 0x80000000, v64
	s_delay_alu instid0(VALU_DEP_1) | instskip(SKIP_1) | instid1(VALU_DEP_1)
	v_cndmask_b32_e64 v65, 0x7fffffff, v64, s18
	v_cmp_gt_i32_e64 s18, 0, v64
	v_cndmask_b32_e64 v140, 0x7fffffff, 0, s18
	s_delay_alu instid0(VALU_DEP_1) | instskip(NEXT) | instid1(VALU_DEP_1)
	v_dual_lshrrev_b32 v65, s49, v65 :: v_dual_bitop2_b32 v64, v140, v64 bitop3:0x14
	v_and_b32_e32 v65, s58, v65
	s_delay_alu instid0(VALU_DEP_1)
	v_lshlrev_b32_e32 v65, 2, v65
	ds_load_b32 v65, v65
	s_wait_dscnt 0x0
	v_add_nc_u32_e32 v65, v65, v3
	global_store_b32 v65, v64, s[40:41] scale_offset
	s_wait_xcnt 0x0
	s_or_b32 exec_lo, exec_lo, s19
	v_cmp_lt_u32_e64 s18, v68, v139
	s_and_saveexec_b32 s20, s18
	s_cbranch_execz .LBB1348_1127
.LBB1348_1199:                          ;   in Loop: Header=BB1348_1040 Depth=2
	ds_load_b32 v64, v92 offset:2560
	s_wait_dscnt 0x0
	v_cmp_ne_u32_e64 s19, 0x80000000, v64
	s_delay_alu instid0(VALU_DEP_1) | instskip(SKIP_1) | instid1(VALU_DEP_1)
	v_cndmask_b32_e64 v65, 0x7fffffff, v64, s19
	v_cmp_gt_i32_e64 s19, 0, v64
	v_cndmask_b32_e64 v140, 0x7fffffff, 0, s19
	s_delay_alu instid0(VALU_DEP_1) | instskip(NEXT) | instid1(VALU_DEP_1)
	v_dual_lshrrev_b32 v65, s49, v65 :: v_dual_bitop2_b32 v64, v140, v64 bitop3:0x14
	v_and_b32_e32 v65, s58, v65
	s_delay_alu instid0(VALU_DEP_1)
	v_lshlrev_b32_e32 v65, 2, v65
	ds_load_b32 v65, v65
	s_wait_dscnt 0x0
	v_add_nc_u32_e32 v65, v65, v68
	global_store_b32 v65, v64, s[40:41] scale_offset
	s_wait_xcnt 0x0
	s_or_b32 exec_lo, exec_lo, s20
	v_cmp_lt_u32_e64 s19, v69, v139
	s_and_saveexec_b32 s21, s19
	s_cbranch_execz .LBB1348_1128
.LBB1348_1200:                          ;   in Loop: Header=BB1348_1040 Depth=2
	ds_load_b32 v64, v92 offset:3584
	s_wait_dscnt 0x0
	v_cmp_ne_u32_e64 s20, 0x80000000, v64
	s_delay_alu instid0(VALU_DEP_1) | instskip(SKIP_1) | instid1(VALU_DEP_1)
	v_cndmask_b32_e64 v65, 0x7fffffff, v64, s20
	v_cmp_gt_i32_e64 s20, 0, v64
	v_cndmask_b32_e64 v140, 0x7fffffff, 0, s20
	s_delay_alu instid0(VALU_DEP_1) | instskip(NEXT) | instid1(VALU_DEP_1)
	v_dual_lshrrev_b32 v65, s49, v65 :: v_dual_bitop2_b32 v64, v140, v64 bitop3:0x14
	v_and_b32_e32 v65, s58, v65
	s_delay_alu instid0(VALU_DEP_1)
	v_lshlrev_b32_e32 v65, 2, v65
	ds_load_b32 v65, v65
	s_wait_dscnt 0x0
	v_add_nc_u32_e32 v65, v65, v69
	global_store_b32 v65, v64, s[40:41] scale_offset
	s_wait_xcnt 0x0
	s_or_b32 exec_lo, exec_lo, s21
	v_cmp_lt_u32_e64 s20, v70, v139
	s_and_saveexec_b32 s22, s20
	s_cbranch_execz .LBB1348_1129
.LBB1348_1201:                          ;   in Loop: Header=BB1348_1040 Depth=2
	ds_load_b32 v64, v92 offset:4608
	s_wait_dscnt 0x0
	v_cmp_ne_u32_e64 s21, 0x80000000, v64
	s_delay_alu instid0(VALU_DEP_1) | instskip(SKIP_1) | instid1(VALU_DEP_1)
	v_cndmask_b32_e64 v65, 0x7fffffff, v64, s21
	v_cmp_gt_i32_e64 s21, 0, v64
	v_cndmask_b32_e64 v140, 0x7fffffff, 0, s21
	s_delay_alu instid0(VALU_DEP_1) | instskip(NEXT) | instid1(VALU_DEP_1)
	v_dual_lshrrev_b32 v65, s49, v65 :: v_dual_bitop2_b32 v64, v140, v64 bitop3:0x14
	v_and_b32_e32 v65, s58, v65
	s_delay_alu instid0(VALU_DEP_1)
	v_lshlrev_b32_e32 v65, 2, v65
	ds_load_b32 v65, v65
	s_wait_dscnt 0x0
	v_add_nc_u32_e32 v65, v65, v70
	global_store_b32 v65, v64, s[40:41] scale_offset
	s_wait_xcnt 0x0
	s_or_b32 exec_lo, exec_lo, s22
	v_cmp_lt_u32_e64 s21, v71, v139
	s_and_saveexec_b32 s23, s21
	s_cbranch_execz .LBB1348_1130
.LBB1348_1202:                          ;   in Loop: Header=BB1348_1040 Depth=2
	ds_load_b32 v64, v92 offset:5632
	s_wait_dscnt 0x0
	v_cmp_ne_u32_e64 s22, 0x80000000, v64
	s_delay_alu instid0(VALU_DEP_1) | instskip(SKIP_1) | instid1(VALU_DEP_1)
	v_cndmask_b32_e64 v65, 0x7fffffff, v64, s22
	v_cmp_gt_i32_e64 s22, 0, v64
	v_cndmask_b32_e64 v140, 0x7fffffff, 0, s22
	s_delay_alu instid0(VALU_DEP_1) | instskip(NEXT) | instid1(VALU_DEP_1)
	v_dual_lshrrev_b32 v65, s49, v65 :: v_dual_bitop2_b32 v64, v140, v64 bitop3:0x14
	v_and_b32_e32 v65, s58, v65
	s_delay_alu instid0(VALU_DEP_1)
	v_lshlrev_b32_e32 v65, 2, v65
	ds_load_b32 v65, v65
	s_wait_dscnt 0x0
	v_add_nc_u32_e32 v65, v65, v71
	global_store_b32 v65, v64, s[40:41] scale_offset
	s_wait_xcnt 0x0
	s_or_b32 exec_lo, exec_lo, s23
	v_cmp_lt_u32_e64 s22, v72, v139
	s_and_saveexec_b32 s24, s22
	s_cbranch_execz .LBB1348_1131
.LBB1348_1203:                          ;   in Loop: Header=BB1348_1040 Depth=2
	ds_load_b32 v64, v92 offset:6656
	s_wait_dscnt 0x0
	v_cmp_ne_u32_e64 s23, 0x80000000, v64
	s_delay_alu instid0(VALU_DEP_1) | instskip(SKIP_1) | instid1(VALU_DEP_1)
	v_cndmask_b32_e64 v65, 0x7fffffff, v64, s23
	v_cmp_gt_i32_e64 s23, 0, v64
	v_cndmask_b32_e64 v140, 0x7fffffff, 0, s23
	s_delay_alu instid0(VALU_DEP_1) | instskip(NEXT) | instid1(VALU_DEP_1)
	v_dual_lshrrev_b32 v65, s49, v65 :: v_dual_bitop2_b32 v64, v140, v64 bitop3:0x14
	v_and_b32_e32 v65, s58, v65
	s_delay_alu instid0(VALU_DEP_1)
	v_lshlrev_b32_e32 v65, 2, v65
	ds_load_b32 v65, v65
	s_wait_dscnt 0x0
	v_add_nc_u32_e32 v65, v65, v72
	global_store_b32 v65, v64, s[40:41] scale_offset
	s_wait_xcnt 0x0
	s_or_b32 exec_lo, exec_lo, s24
	v_cmp_lt_u32_e64 s23, v73, v139
	s_and_saveexec_b32 s25, s23
	s_cbranch_execz .LBB1348_1132
.LBB1348_1204:                          ;   in Loop: Header=BB1348_1040 Depth=2
	ds_load_b32 v64, v92 offset:7680
	s_wait_dscnt 0x0
	v_cmp_ne_u32_e64 s24, 0x80000000, v64
	s_delay_alu instid0(VALU_DEP_1) | instskip(SKIP_1) | instid1(VALU_DEP_1)
	v_cndmask_b32_e64 v65, 0x7fffffff, v64, s24
	v_cmp_gt_i32_e64 s24, 0, v64
	v_cndmask_b32_e64 v140, 0x7fffffff, 0, s24
	s_delay_alu instid0(VALU_DEP_1) | instskip(NEXT) | instid1(VALU_DEP_1)
	v_dual_lshrrev_b32 v65, s49, v65 :: v_dual_bitop2_b32 v64, v140, v64 bitop3:0x14
	v_and_b32_e32 v65, s58, v65
	s_delay_alu instid0(VALU_DEP_1)
	v_lshlrev_b32_e32 v65, 2, v65
	ds_load_b32 v65, v65
	s_wait_dscnt 0x0
	v_add_nc_u32_e32 v65, v65, v73
	global_store_b32 v65, v64, s[40:41] scale_offset
	s_wait_xcnt 0x0
	s_or_b32 exec_lo, exec_lo, s25
	v_cmp_lt_u32_e64 s24, v74, v139
	s_and_saveexec_b32 s26, s24
	s_cbranch_execz .LBB1348_1133
.LBB1348_1205:                          ;   in Loop: Header=BB1348_1040 Depth=2
	ds_load_b32 v64, v92 offset:8704
	s_wait_dscnt 0x0
	v_cmp_ne_u32_e64 s25, 0x80000000, v64
	s_delay_alu instid0(VALU_DEP_1) | instskip(SKIP_1) | instid1(VALU_DEP_1)
	v_cndmask_b32_e64 v65, 0x7fffffff, v64, s25
	v_cmp_gt_i32_e64 s25, 0, v64
	v_cndmask_b32_e64 v140, 0x7fffffff, 0, s25
	s_delay_alu instid0(VALU_DEP_1) | instskip(NEXT) | instid1(VALU_DEP_1)
	v_dual_lshrrev_b32 v65, s49, v65 :: v_dual_bitop2_b32 v64, v140, v64 bitop3:0x14
	v_and_b32_e32 v65, s58, v65
	s_delay_alu instid0(VALU_DEP_1)
	v_lshlrev_b32_e32 v65, 2, v65
	ds_load_b32 v65, v65
	s_wait_dscnt 0x0
	v_add_nc_u32_e32 v65, v65, v74
	global_store_b32 v65, v64, s[40:41] scale_offset
	s_wait_xcnt 0x0
	s_or_b32 exec_lo, exec_lo, s26
	v_cmp_lt_u32_e64 s25, v75, v139
	s_and_saveexec_b32 s27, s25
	s_cbranch_execz .LBB1348_1134
.LBB1348_1206:                          ;   in Loop: Header=BB1348_1040 Depth=2
	ds_load_b32 v64, v92 offset:9728
	s_wait_dscnt 0x0
	v_cmp_ne_u32_e64 s26, 0x80000000, v64
	s_delay_alu instid0(VALU_DEP_1) | instskip(SKIP_1) | instid1(VALU_DEP_1)
	v_cndmask_b32_e64 v65, 0x7fffffff, v64, s26
	v_cmp_gt_i32_e64 s26, 0, v64
	v_cndmask_b32_e64 v140, 0x7fffffff, 0, s26
	s_delay_alu instid0(VALU_DEP_1) | instskip(NEXT) | instid1(VALU_DEP_1)
	v_dual_lshrrev_b32 v65, s49, v65 :: v_dual_bitop2_b32 v64, v140, v64 bitop3:0x14
	v_and_b32_e32 v65, s58, v65
	s_delay_alu instid0(VALU_DEP_1)
	v_lshlrev_b32_e32 v65, 2, v65
	ds_load_b32 v65, v65
	s_wait_dscnt 0x0
	v_add_nc_u32_e32 v65, v65, v75
	global_store_b32 v65, v64, s[40:41] scale_offset
	s_wait_xcnt 0x0
	s_or_b32 exec_lo, exec_lo, s27
	v_cmp_lt_u32_e64 s26, v76, v139
	s_and_saveexec_b32 s28, s26
	s_cbranch_execz .LBB1348_1135
.LBB1348_1207:                          ;   in Loop: Header=BB1348_1040 Depth=2
	ds_load_b32 v64, v92 offset:10752
	s_wait_dscnt 0x0
	v_cmp_ne_u32_e64 s27, 0x80000000, v64
	s_delay_alu instid0(VALU_DEP_1) | instskip(SKIP_1) | instid1(VALU_DEP_1)
	v_cndmask_b32_e64 v65, 0x7fffffff, v64, s27
	v_cmp_gt_i32_e64 s27, 0, v64
	v_cndmask_b32_e64 v140, 0x7fffffff, 0, s27
	s_delay_alu instid0(VALU_DEP_1) | instskip(NEXT) | instid1(VALU_DEP_1)
	v_dual_lshrrev_b32 v65, s49, v65 :: v_dual_bitop2_b32 v64, v140, v64 bitop3:0x14
	v_and_b32_e32 v65, s58, v65
	s_delay_alu instid0(VALU_DEP_1)
	v_lshlrev_b32_e32 v65, 2, v65
	ds_load_b32 v65, v65
	s_wait_dscnt 0x0
	v_add_nc_u32_e32 v65, v65, v76
	global_store_b32 v65, v64, s[40:41] scale_offset
	s_wait_xcnt 0x0
	s_or_b32 exec_lo, exec_lo, s28
	v_cmp_lt_u32_e64 s27, v77, v139
	s_and_saveexec_b32 s29, s27
	s_cbranch_execz .LBB1348_1136
.LBB1348_1208:                          ;   in Loop: Header=BB1348_1040 Depth=2
	ds_load_b32 v64, v92 offset:11776
	s_wait_dscnt 0x0
	v_cmp_ne_u32_e64 s28, 0x80000000, v64
	s_delay_alu instid0(VALU_DEP_1) | instskip(SKIP_1) | instid1(VALU_DEP_1)
	v_cndmask_b32_e64 v65, 0x7fffffff, v64, s28
	v_cmp_gt_i32_e64 s28, 0, v64
	v_cndmask_b32_e64 v140, 0x7fffffff, 0, s28
	s_delay_alu instid0(VALU_DEP_1) | instskip(NEXT) | instid1(VALU_DEP_1)
	v_dual_lshrrev_b32 v65, s49, v65 :: v_dual_bitop2_b32 v64, v140, v64 bitop3:0x14
	v_and_b32_e32 v65, s58, v65
	s_delay_alu instid0(VALU_DEP_1)
	v_lshlrev_b32_e32 v65, 2, v65
	ds_load_b32 v65, v65
	s_wait_dscnt 0x0
	v_add_nc_u32_e32 v65, v65, v77
	global_store_b32 v65, v64, s[40:41] scale_offset
	s_wait_xcnt 0x0
	s_or_b32 exec_lo, exec_lo, s29
	v_cmp_lt_u32_e64 s28, v78, v139
	s_and_saveexec_b32 s30, s28
	s_cbranch_execz .LBB1348_1137
.LBB1348_1209:                          ;   in Loop: Header=BB1348_1040 Depth=2
	ds_load_b32 v64, v92 offset:12800
	s_wait_dscnt 0x0
	v_cmp_ne_u32_e64 s29, 0x80000000, v64
	s_delay_alu instid0(VALU_DEP_1) | instskip(SKIP_1) | instid1(VALU_DEP_1)
	v_cndmask_b32_e64 v65, 0x7fffffff, v64, s29
	v_cmp_gt_i32_e64 s29, 0, v64
	v_cndmask_b32_e64 v140, 0x7fffffff, 0, s29
	s_delay_alu instid0(VALU_DEP_1) | instskip(NEXT) | instid1(VALU_DEP_1)
	v_dual_lshrrev_b32 v65, s49, v65 :: v_dual_bitop2_b32 v64, v140, v64 bitop3:0x14
	v_and_b32_e32 v65, s58, v65
	s_delay_alu instid0(VALU_DEP_1)
	v_lshlrev_b32_e32 v65, 2, v65
	ds_load_b32 v65, v65
	s_wait_dscnt 0x0
	v_add_nc_u32_e32 v65, v65, v78
	global_store_b32 v65, v64, s[40:41] scale_offset
	s_wait_xcnt 0x0
	s_or_b32 exec_lo, exec_lo, s30
	v_cmp_lt_u32_e64 s29, v79, v139
	s_and_saveexec_b32 s31, s29
	s_cbranch_execz .LBB1348_1138
.LBB1348_1210:                          ;   in Loop: Header=BB1348_1040 Depth=2
	ds_load_b32 v64, v92 offset:13824
	s_wait_dscnt 0x0
	v_cmp_ne_u32_e64 s30, 0x80000000, v64
	s_delay_alu instid0(VALU_DEP_1) | instskip(SKIP_1) | instid1(VALU_DEP_1)
	v_cndmask_b32_e64 v65, 0x7fffffff, v64, s30
	v_cmp_gt_i32_e64 s30, 0, v64
	v_cndmask_b32_e64 v140, 0x7fffffff, 0, s30
	s_delay_alu instid0(VALU_DEP_1) | instskip(NEXT) | instid1(VALU_DEP_1)
	v_dual_lshrrev_b32 v65, s49, v65 :: v_dual_bitop2_b32 v64, v140, v64 bitop3:0x14
	v_and_b32_e32 v65, s58, v65
	s_delay_alu instid0(VALU_DEP_1)
	v_lshlrev_b32_e32 v65, 2, v65
	ds_load_b32 v65, v65
	s_wait_dscnt 0x0
	v_add_nc_u32_e32 v65, v65, v79
	global_store_b32 v65, v64, s[40:41] scale_offset
	s_wait_xcnt 0x0
	s_or_b32 exec_lo, exec_lo, s31
	v_cmp_lt_u32_e64 s30, v80, v139
	s_and_saveexec_b32 s33, s30
	s_cbranch_execz .LBB1348_1139
.LBB1348_1211:                          ;   in Loop: Header=BB1348_1040 Depth=2
	ds_load_b32 v64, v92 offset:14848
	s_wait_dscnt 0x0
	v_cmp_ne_u32_e64 s31, 0x80000000, v64
	s_delay_alu instid0(VALU_DEP_1) | instskip(SKIP_1) | instid1(VALU_DEP_1)
	v_cndmask_b32_e64 v65, 0x7fffffff, v64, s31
	v_cmp_gt_i32_e64 s31, 0, v64
	v_cndmask_b32_e64 v140, 0x7fffffff, 0, s31
	s_delay_alu instid0(VALU_DEP_1) | instskip(NEXT) | instid1(VALU_DEP_1)
	v_dual_lshrrev_b32 v65, s49, v65 :: v_dual_bitop2_b32 v64, v140, v64 bitop3:0x14
	v_and_b32_e32 v65, s58, v65
	s_delay_alu instid0(VALU_DEP_1)
	v_lshlrev_b32_e32 v65, 2, v65
	ds_load_b32 v65, v65
	s_wait_dscnt 0x0
	v_add_nc_u32_e32 v65, v65, v80
	global_store_b32 v65, v64, s[40:41] scale_offset
	s_wait_xcnt 0x0
	s_or_b32 exec_lo, exec_lo, s33
	v_cmp_lt_u32_e64 s31, v81, v139
	s_and_saveexec_b32 s34, s31
	s_cbranch_execz .LBB1348_1140
.LBB1348_1212:                          ;   in Loop: Header=BB1348_1040 Depth=2
	ds_load_b32 v64, v92 offset:15872
	s_wait_dscnt 0x0
	v_cmp_ne_u32_e64 s33, 0x80000000, v64
	s_delay_alu instid0(VALU_DEP_1) | instskip(SKIP_1) | instid1(VALU_DEP_1)
	v_cndmask_b32_e64 v65, 0x7fffffff, v64, s33
	v_cmp_gt_i32_e64 s33, 0, v64
	v_cndmask_b32_e64 v140, 0x7fffffff, 0, s33
	s_delay_alu instid0(VALU_DEP_1) | instskip(NEXT) | instid1(VALU_DEP_1)
	v_dual_lshrrev_b32 v65, s49, v65 :: v_dual_bitop2_b32 v64, v140, v64 bitop3:0x14
	v_and_b32_e32 v65, s58, v65
	s_delay_alu instid0(VALU_DEP_1)
	v_lshlrev_b32_e32 v65, 2, v65
	ds_load_b32 v65, v65
	s_wait_dscnt 0x0
	v_add_nc_u32_e32 v65, v65, v81
	global_store_b32 v65, v64, s[40:41] scale_offset
	s_wait_xcnt 0x0
	s_or_b32 exec_lo, exec_lo, s34
	v_cmp_lt_u32_e64 s33, v82, v139
	s_and_saveexec_b32 s61, s33
	s_cbranch_execnz .LBB1348_1141
	s_branch .LBB1348_1142
.LBB1348_1213:                          ;   in Loop: Header=BB1348_1040 Depth=2
	global_load_b64 v[62:63], v[64:65], off
	s_wait_xcnt 0x0
	s_or_b32 exec_lo, exec_lo, s34
	s_delay_alu instid0(SALU_CYCLE_1)
	s_mov_b32 s42, exec_lo
	v_cmpx_lt_u32_e64 v104, v139
	s_cbranch_execz .LBB1348_1144
.LBB1348_1214:                          ;   in Loop: Header=BB1348_1040 Depth=2
	global_load_b64 v[60:61], v[64:65], off offset:256
	s_wait_xcnt 0x0
	s_or_b32 exec_lo, exec_lo, s42
	s_delay_alu instid0(SALU_CYCLE_1)
	s_mov_b32 s42, exec_lo
	v_cmpx_lt_u32_e64 v105, v139
	s_cbranch_execz .LBB1348_1145
.LBB1348_1215:                          ;   in Loop: Header=BB1348_1040 Depth=2
	global_load_b64 v[58:59], v[64:65], off offset:512
	s_wait_xcnt 0x0
	s_or_b32 exec_lo, exec_lo, s42
	s_delay_alu instid0(SALU_CYCLE_1)
	s_mov_b32 s42, exec_lo
	v_cmpx_lt_u32_e64 v106, v139
	s_cbranch_execz .LBB1348_1146
.LBB1348_1216:                          ;   in Loop: Header=BB1348_1040 Depth=2
	global_load_b64 v[56:57], v[64:65], off offset:768
	s_wait_xcnt 0x0
	s_or_b32 exec_lo, exec_lo, s42
	s_delay_alu instid0(SALU_CYCLE_1)
	s_mov_b32 s42, exec_lo
	v_cmpx_lt_u32_e64 v107, v139
	s_cbranch_execz .LBB1348_1147
.LBB1348_1217:                          ;   in Loop: Header=BB1348_1040 Depth=2
	global_load_b64 v[54:55], v[64:65], off offset:1024
	s_wait_xcnt 0x0
	s_or_b32 exec_lo, exec_lo, s42
	s_delay_alu instid0(SALU_CYCLE_1)
	s_mov_b32 s42, exec_lo
	v_cmpx_lt_u32_e64 v108, v139
	s_cbranch_execz .LBB1348_1148
.LBB1348_1218:                          ;   in Loop: Header=BB1348_1040 Depth=2
	global_load_b64 v[52:53], v[64:65], off offset:1280
	s_wait_xcnt 0x0
	s_or_b32 exec_lo, exec_lo, s42
	s_delay_alu instid0(SALU_CYCLE_1)
	s_mov_b32 s42, exec_lo
	v_cmpx_lt_u32_e64 v109, v139
	s_cbranch_execz .LBB1348_1149
.LBB1348_1219:                          ;   in Loop: Header=BB1348_1040 Depth=2
	global_load_b64 v[50:51], v[64:65], off offset:1536
	s_wait_xcnt 0x0
	s_or_b32 exec_lo, exec_lo, s42
	s_delay_alu instid0(SALU_CYCLE_1)
	s_mov_b32 s42, exec_lo
	v_cmpx_lt_u32_e64 v110, v139
	s_cbranch_execz .LBB1348_1150
.LBB1348_1220:                          ;   in Loop: Header=BB1348_1040 Depth=2
	global_load_b64 v[48:49], v[64:65], off offset:1792
	s_wait_xcnt 0x0
	s_or_b32 exec_lo, exec_lo, s42
	s_delay_alu instid0(SALU_CYCLE_1)
	s_mov_b32 s42, exec_lo
	v_cmpx_lt_u32_e64 v111, v139
	s_cbranch_execz .LBB1348_1151
.LBB1348_1221:                          ;   in Loop: Header=BB1348_1040 Depth=2
	global_load_b64 v[46:47], v[64:65], off offset:2048
	s_wait_xcnt 0x0
	s_or_b32 exec_lo, exec_lo, s42
	s_delay_alu instid0(SALU_CYCLE_1)
	s_mov_b32 s42, exec_lo
	v_cmpx_lt_u32_e64 v112, v139
	s_cbranch_execz .LBB1348_1152
.LBB1348_1222:                          ;   in Loop: Header=BB1348_1040 Depth=2
	global_load_b64 v[44:45], v[64:65], off offset:2304
	s_wait_xcnt 0x0
	s_or_b32 exec_lo, exec_lo, s42
	s_delay_alu instid0(SALU_CYCLE_1)
	s_mov_b32 s42, exec_lo
	v_cmpx_lt_u32_e64 v113, v139
	s_cbranch_execz .LBB1348_1153
.LBB1348_1223:                          ;   in Loop: Header=BB1348_1040 Depth=2
	global_load_b64 v[42:43], v[64:65], off offset:2560
	s_wait_xcnt 0x0
	s_or_b32 exec_lo, exec_lo, s42
	s_delay_alu instid0(SALU_CYCLE_1)
	s_mov_b32 s42, exec_lo
	v_cmpx_lt_u32_e64 v114, v139
	s_cbranch_execz .LBB1348_1154
.LBB1348_1224:                          ;   in Loop: Header=BB1348_1040 Depth=2
	global_load_b64 v[40:41], v[64:65], off offset:2816
	s_wait_xcnt 0x0
	s_or_b32 exec_lo, exec_lo, s42
	s_delay_alu instid0(SALU_CYCLE_1)
	s_mov_b32 s42, exec_lo
	v_cmpx_lt_u32_e64 v115, v139
	s_cbranch_execz .LBB1348_1155
.LBB1348_1225:                          ;   in Loop: Header=BB1348_1040 Depth=2
	global_load_b64 v[38:39], v[64:65], off offset:3072
	s_wait_xcnt 0x0
	s_or_b32 exec_lo, exec_lo, s42
	s_delay_alu instid0(SALU_CYCLE_1)
	s_mov_b32 s42, exec_lo
	v_cmpx_lt_u32_e64 v116, v139
	s_cbranch_execz .LBB1348_1156
.LBB1348_1226:                          ;   in Loop: Header=BB1348_1040 Depth=2
	global_load_b64 v[36:37], v[64:65], off offset:3328
	s_wait_xcnt 0x0
	s_or_b32 exec_lo, exec_lo, s42
	s_delay_alu instid0(SALU_CYCLE_1)
	s_mov_b32 s42, exec_lo
	v_cmpx_lt_u32_e64 v117, v139
	s_cbranch_execz .LBB1348_1157
.LBB1348_1227:                          ;   in Loop: Header=BB1348_1040 Depth=2
	global_load_b64 v[34:35], v[64:65], off offset:3584
	s_wait_xcnt 0x0
	s_or_b32 exec_lo, exec_lo, s42
	s_delay_alu instid0(SALU_CYCLE_1)
	s_mov_b32 s42, exec_lo
	v_cmpx_lt_u32_e64 v118, v139
	s_cbranch_execz .LBB1348_1158
.LBB1348_1228:                          ;   in Loop: Header=BB1348_1040 Depth=2
	global_load_b64 v[32:33], v[64:65], off offset:3840
	s_wait_xcnt 0x0
	s_or_b32 exec_lo, exec_lo, s42
	s_delay_alu instid0(SALU_CYCLE_1)
	s_mov_b32 s42, exec_lo
	v_cmpx_lt_u32_e64 v5, v139
	s_cbranch_execz .LBB1348_1159
.LBB1348_1229:                          ;   in Loop: Header=BB1348_1040 Depth=2
	global_load_b64 v[30:31], v[64:65], off offset:4096
	s_wait_xcnt 0x0
	s_or_b32 exec_lo, exec_lo, s42
	s_and_saveexec_b32 s42, vcc_lo
	s_cbranch_execz .LBB1348_1160
.LBB1348_1230:                          ;   in Loop: Header=BB1348_1040 Depth=2
	ds_load_b32 v64, v92 offset:512
	s_wait_dscnt 0x0
	v_cmp_ne_u32_e64 s34, 0x80000000, v64
	s_delay_alu instid0(VALU_DEP_1) | instskip(NEXT) | instid1(VALU_DEP_1)
	v_cndmask_b32_e64 v64, 0x7fffffff, v64, s34
	v_lshrrev_b32_e32 v64, s49, v64
	s_delay_alu instid0(VALU_DEP_1)
	v_and_b32_e32 v137, s58, v64
	s_or_b32 exec_lo, exec_lo, s42
	s_and_saveexec_b32 s42, s17
	s_cbranch_execz .LBB1348_1161
.LBB1348_1231:                          ;   in Loop: Header=BB1348_1040 Depth=2
	ds_load_b32 v64, v92 offset:1536
	s_wait_dscnt 0x0
	v_cmp_ne_u32_e64 s34, 0x80000000, v64
	s_delay_alu instid0(VALU_DEP_1) | instskip(NEXT) | instid1(VALU_DEP_1)
	v_cndmask_b32_e64 v64, 0x7fffffff, v64, s34
	v_lshrrev_b32_e32 v64, s49, v64
	s_delay_alu instid0(VALU_DEP_1)
	v_and_b32_e32 v136, s58, v64
	s_or_b32 exec_lo, exec_lo, s42
	s_and_saveexec_b32 s42, s18
	s_cbranch_execz .LBB1348_1162
.LBB1348_1232:                          ;   in Loop: Header=BB1348_1040 Depth=2
	ds_load_b32 v64, v92 offset:2560
	s_wait_dscnt 0x0
	v_cmp_ne_u32_e64 s34, 0x80000000, v64
	s_delay_alu instid0(VALU_DEP_1) | instskip(NEXT) | instid1(VALU_DEP_1)
	v_cndmask_b32_e64 v64, 0x7fffffff, v64, s34
	v_lshrrev_b32_e32 v64, s49, v64
	s_delay_alu instid0(VALU_DEP_1)
	v_and_b32_e32 v135, s58, v64
	s_or_b32 exec_lo, exec_lo, s42
	s_and_saveexec_b32 s42, s19
	s_cbranch_execz .LBB1348_1163
.LBB1348_1233:                          ;   in Loop: Header=BB1348_1040 Depth=2
	ds_load_b32 v64, v92 offset:3584
	s_wait_dscnt 0x0
	v_cmp_ne_u32_e64 s34, 0x80000000, v64
	s_delay_alu instid0(VALU_DEP_1) | instskip(NEXT) | instid1(VALU_DEP_1)
	v_cndmask_b32_e64 v64, 0x7fffffff, v64, s34
	v_lshrrev_b32_e32 v64, s49, v64
	s_delay_alu instid0(VALU_DEP_1)
	v_and_b32_e32 v134, s58, v64
	s_or_b32 exec_lo, exec_lo, s42
	s_and_saveexec_b32 s42, s20
	s_cbranch_execz .LBB1348_1164
.LBB1348_1234:                          ;   in Loop: Header=BB1348_1040 Depth=2
	ds_load_b32 v64, v92 offset:4608
	s_wait_dscnt 0x0
	v_cmp_ne_u32_e64 s34, 0x80000000, v64
	s_delay_alu instid0(VALU_DEP_1) | instskip(NEXT) | instid1(VALU_DEP_1)
	v_cndmask_b32_e64 v64, 0x7fffffff, v64, s34
	v_lshrrev_b32_e32 v64, s49, v64
	s_delay_alu instid0(VALU_DEP_1)
	v_and_b32_e32 v132, s58, v64
	s_or_b32 exec_lo, exec_lo, s42
	s_and_saveexec_b32 s42, s21
	s_cbranch_execz .LBB1348_1165
.LBB1348_1235:                          ;   in Loop: Header=BB1348_1040 Depth=2
	ds_load_b32 v64, v92 offset:5632
	s_wait_dscnt 0x0
	v_cmp_ne_u32_e64 s34, 0x80000000, v64
	s_delay_alu instid0(VALU_DEP_1) | instskip(NEXT) | instid1(VALU_DEP_1)
	v_cndmask_b32_e64 v64, 0x7fffffff, v64, s34
	v_lshrrev_b32_e32 v64, s49, v64
	s_delay_alu instid0(VALU_DEP_1)
	v_and_b32_e32 v131, s58, v64
	s_or_b32 exec_lo, exec_lo, s42
	s_and_saveexec_b32 s42, s22
	s_cbranch_execz .LBB1348_1166
.LBB1348_1236:                          ;   in Loop: Header=BB1348_1040 Depth=2
	ds_load_b32 v64, v92 offset:6656
	s_wait_dscnt 0x0
	v_cmp_ne_u32_e64 s34, 0x80000000, v64
	s_delay_alu instid0(VALU_DEP_1) | instskip(NEXT) | instid1(VALU_DEP_1)
	v_cndmask_b32_e64 v64, 0x7fffffff, v64, s34
	v_lshrrev_b32_e32 v64, s49, v64
	s_delay_alu instid0(VALU_DEP_1)
	v_and_b32_e32 v130, s58, v64
	s_or_b32 exec_lo, exec_lo, s42
	s_and_saveexec_b32 s42, s23
	s_cbranch_execz .LBB1348_1167
.LBB1348_1237:                          ;   in Loop: Header=BB1348_1040 Depth=2
	ds_load_b32 v64, v92 offset:7680
	s_wait_dscnt 0x0
	v_cmp_ne_u32_e64 s34, 0x80000000, v64
	s_delay_alu instid0(VALU_DEP_1) | instskip(NEXT) | instid1(VALU_DEP_1)
	v_cndmask_b32_e64 v64, 0x7fffffff, v64, s34
	v_lshrrev_b32_e32 v64, s49, v64
	s_delay_alu instid0(VALU_DEP_1)
	v_and_b32_e32 v129, s58, v64
	s_or_b32 exec_lo, exec_lo, s42
	s_and_saveexec_b32 s42, s24
	s_cbranch_execz .LBB1348_1168
.LBB1348_1238:                          ;   in Loop: Header=BB1348_1040 Depth=2
	ds_load_b32 v64, v92 offset:8704
	s_wait_dscnt 0x0
	v_cmp_ne_u32_e64 s34, 0x80000000, v64
	s_delay_alu instid0(VALU_DEP_1) | instskip(NEXT) | instid1(VALU_DEP_1)
	v_cndmask_b32_e64 v64, 0x7fffffff, v64, s34
	v_lshrrev_b32_e32 v64, s49, v64
	s_delay_alu instid0(VALU_DEP_1)
	v_and_b32_e32 v128, s58, v64
	s_or_b32 exec_lo, exec_lo, s42
	s_and_saveexec_b32 s42, s25
	s_cbranch_execz .LBB1348_1169
.LBB1348_1239:                          ;   in Loop: Header=BB1348_1040 Depth=2
	ds_load_b32 v64, v92 offset:9728
	s_wait_dscnt 0x0
	v_cmp_ne_u32_e64 s34, 0x80000000, v64
	s_delay_alu instid0(VALU_DEP_1) | instskip(NEXT) | instid1(VALU_DEP_1)
	v_cndmask_b32_e64 v64, 0x7fffffff, v64, s34
	v_lshrrev_b32_e32 v64, s49, v64
	s_delay_alu instid0(VALU_DEP_1)
	v_and_b32_e32 v127, s58, v64
	s_or_b32 exec_lo, exec_lo, s42
	s_and_saveexec_b32 s42, s26
	s_cbranch_execz .LBB1348_1170
.LBB1348_1240:                          ;   in Loop: Header=BB1348_1040 Depth=2
	ds_load_b32 v64, v92 offset:10752
	s_wait_dscnt 0x0
	v_cmp_ne_u32_e64 s34, 0x80000000, v64
	s_delay_alu instid0(VALU_DEP_1) | instskip(NEXT) | instid1(VALU_DEP_1)
	v_cndmask_b32_e64 v64, 0x7fffffff, v64, s34
	v_lshrrev_b32_e32 v64, s49, v64
	s_delay_alu instid0(VALU_DEP_1)
	v_and_b32_e32 v126, s58, v64
	s_or_b32 exec_lo, exec_lo, s42
	s_and_saveexec_b32 s42, s27
	s_cbranch_execz .LBB1348_1171
.LBB1348_1241:                          ;   in Loop: Header=BB1348_1040 Depth=2
	ds_load_b32 v64, v92 offset:11776
	s_wait_dscnt 0x0
	v_cmp_ne_u32_e64 s34, 0x80000000, v64
	s_delay_alu instid0(VALU_DEP_1) | instskip(NEXT) | instid1(VALU_DEP_1)
	v_cndmask_b32_e64 v64, 0x7fffffff, v64, s34
	v_lshrrev_b32_e32 v64, s49, v64
	s_delay_alu instid0(VALU_DEP_1)
	v_and_b32_e32 v125, s58, v64
	s_or_b32 exec_lo, exec_lo, s42
	s_and_saveexec_b32 s42, s28
	s_cbranch_execz .LBB1348_1172
.LBB1348_1242:                          ;   in Loop: Header=BB1348_1040 Depth=2
	ds_load_b32 v64, v92 offset:12800
	s_wait_dscnt 0x0
	v_cmp_ne_u32_e64 s34, 0x80000000, v64
	s_delay_alu instid0(VALU_DEP_1) | instskip(NEXT) | instid1(VALU_DEP_1)
	v_cndmask_b32_e64 v64, 0x7fffffff, v64, s34
	v_lshrrev_b32_e32 v64, s49, v64
	s_delay_alu instid0(VALU_DEP_1)
	v_and_b32_e32 v124, s58, v64
	s_or_b32 exec_lo, exec_lo, s42
	s_and_saveexec_b32 s42, s29
	s_cbranch_execz .LBB1348_1173
.LBB1348_1243:                          ;   in Loop: Header=BB1348_1040 Depth=2
	ds_load_b32 v64, v92 offset:13824
	s_wait_dscnt 0x0
	v_cmp_ne_u32_e64 s34, 0x80000000, v64
	s_delay_alu instid0(VALU_DEP_1) | instskip(NEXT) | instid1(VALU_DEP_1)
	v_cndmask_b32_e64 v64, 0x7fffffff, v64, s34
	v_lshrrev_b32_e32 v64, s49, v64
	s_delay_alu instid0(VALU_DEP_1)
	v_and_b32_e32 v123, s58, v64
	s_or_b32 exec_lo, exec_lo, s42
	s_and_saveexec_b32 s42, s30
	s_cbranch_execz .LBB1348_1174
.LBB1348_1244:                          ;   in Loop: Header=BB1348_1040 Depth=2
	ds_load_b32 v64, v92 offset:14848
	s_wait_dscnt 0x0
	v_cmp_ne_u32_e64 s34, 0x80000000, v64
	s_delay_alu instid0(VALU_DEP_1) | instskip(NEXT) | instid1(VALU_DEP_1)
	v_cndmask_b32_e64 v64, 0x7fffffff, v64, s34
	v_lshrrev_b32_e32 v64, s49, v64
	s_delay_alu instid0(VALU_DEP_1)
	v_and_b32_e32 v122, s58, v64
	s_or_b32 exec_lo, exec_lo, s42
	s_and_saveexec_b32 s42, s31
	s_cbranch_execz .LBB1348_1175
.LBB1348_1245:                          ;   in Loop: Header=BB1348_1040 Depth=2
	ds_load_b32 v64, v92 offset:15872
	s_wait_dscnt 0x0
	v_cmp_ne_u32_e64 s34, 0x80000000, v64
	s_delay_alu instid0(VALU_DEP_1) | instskip(NEXT) | instid1(VALU_DEP_1)
	v_cndmask_b32_e64 v64, 0x7fffffff, v64, s34
	v_lshrrev_b32_e32 v64, s49, v64
	s_delay_alu instid0(VALU_DEP_1)
	v_and_b32_e32 v121, s58, v64
	s_or_b32 exec_lo, exec_lo, s42
	s_and_saveexec_b32 s42, s33
	s_cbranch_execnz .LBB1348_1176
	s_branch .LBB1348_1177
.LBB1348_1246:                          ;   in Loop: Header=BB1348_1040 Depth=2
	v_lshlrev_b32_e32 v65, 2, v137
	ds_load_b32 v65, v65
	ds_load_b64 v[66:67], v64 offset:512
	s_wait_dscnt 0x1
	v_add_nc_u32_e32 v65, v65, v2
	s_wait_dscnt 0x0
	global_store_b64 v65, v[66:67], s[46:47] scale_offset
	s_wait_xcnt 0x0
	s_or_b32 exec_lo, exec_lo, s34
	s_and_saveexec_b32 s34, s17
	s_cbranch_execz .LBB1348_1179
.LBB1348_1247:                          ;   in Loop: Header=BB1348_1040 Depth=2
	v_lshlrev_b32_e32 v65, 2, v136
	ds_load_b32 v65, v65
	ds_load_b64 v[66:67], v64 offset:2560
	s_wait_dscnt 0x1
	v_add_nc_u32_e32 v65, v65, v3
	s_wait_dscnt 0x0
	global_store_b64 v65, v[66:67], s[46:47] scale_offset
	s_wait_xcnt 0x0
	s_or_b32 exec_lo, exec_lo, s34
	s_and_saveexec_b32 s17, s18
	s_cbranch_execz .LBB1348_1180
.LBB1348_1248:                          ;   in Loop: Header=BB1348_1040 Depth=2
	v_lshlrev_b32_e32 v65, 2, v135
	ds_load_b32 v65, v65
	ds_load_b64 v[66:67], v64 offset:4608
	s_wait_dscnt 0x1
	v_add_nc_u32_e32 v65, v65, v68
	s_wait_dscnt 0x0
	global_store_b64 v65, v[66:67], s[46:47] scale_offset
	s_wait_xcnt 0x0
	s_or_b32 exec_lo, exec_lo, s17
	s_and_saveexec_b32 s17, s19
	s_cbranch_execz .LBB1348_1181
.LBB1348_1249:                          ;   in Loop: Header=BB1348_1040 Depth=2
	v_lshlrev_b32_e32 v65, 2, v134
	ds_load_b32 v65, v65
	ds_load_b64 v[66:67], v64 offset:6656
	s_wait_dscnt 0x1
	v_add_nc_u32_e32 v65, v65, v69
	s_wait_dscnt 0x0
	global_store_b64 v65, v[66:67], s[46:47] scale_offset
	s_wait_xcnt 0x0
	s_or_b32 exec_lo, exec_lo, s17
	s_and_saveexec_b32 s17, s20
	s_cbranch_execz .LBB1348_1182
.LBB1348_1250:                          ;   in Loop: Header=BB1348_1040 Depth=2
	v_lshlrev_b32_e32 v65, 2, v132
	ds_load_b32 v65, v65
	ds_load_b64 v[66:67], v64 offset:8704
	s_wait_dscnt 0x1
	v_add_nc_u32_e32 v65, v65, v70
	s_wait_dscnt 0x0
	global_store_b64 v65, v[66:67], s[46:47] scale_offset
	s_wait_xcnt 0x0
	s_or_b32 exec_lo, exec_lo, s17
	s_and_saveexec_b32 s17, s21
	s_cbranch_execz .LBB1348_1183
.LBB1348_1251:                          ;   in Loop: Header=BB1348_1040 Depth=2
	v_lshlrev_b32_e32 v65, 2, v131
	ds_load_b32 v65, v65
	ds_load_b64 v[66:67], v64 offset:10752
	s_wait_dscnt 0x1
	v_add_nc_u32_e32 v65, v65, v71
	s_wait_dscnt 0x0
	global_store_b64 v65, v[66:67], s[46:47] scale_offset
	s_wait_xcnt 0x0
	s_or_b32 exec_lo, exec_lo, s17
	s_and_saveexec_b32 s17, s22
	s_cbranch_execz .LBB1348_1184
.LBB1348_1252:                          ;   in Loop: Header=BB1348_1040 Depth=2
	v_lshlrev_b32_e32 v65, 2, v130
	ds_load_b32 v65, v65
	ds_load_b64 v[66:67], v64 offset:12800
	s_wait_dscnt 0x1
	v_add_nc_u32_e32 v65, v65, v72
	s_wait_dscnt 0x0
	global_store_b64 v65, v[66:67], s[46:47] scale_offset
	s_wait_xcnt 0x0
	s_or_b32 exec_lo, exec_lo, s17
	s_and_saveexec_b32 s17, s23
	s_cbranch_execz .LBB1348_1185
.LBB1348_1253:                          ;   in Loop: Header=BB1348_1040 Depth=2
	v_lshlrev_b32_e32 v65, 2, v129
	ds_load_b32 v65, v65
	ds_load_b64 v[66:67], v64 offset:14848
	s_wait_dscnt 0x1
	v_add_nc_u32_e32 v65, v65, v73
	s_wait_dscnt 0x0
	global_store_b64 v65, v[66:67], s[46:47] scale_offset
	s_wait_xcnt 0x0
	s_or_b32 exec_lo, exec_lo, s17
	s_and_saveexec_b32 s17, s24
	s_cbranch_execz .LBB1348_1186
.LBB1348_1254:                          ;   in Loop: Header=BB1348_1040 Depth=2
	v_lshlrev_b32_e32 v65, 2, v128
	ds_load_b32 v65, v65
	ds_load_b64 v[66:67], v64 offset:16896
	s_wait_dscnt 0x1
	v_add_nc_u32_e32 v65, v65, v74
	s_wait_dscnt 0x0
	global_store_b64 v65, v[66:67], s[46:47] scale_offset
	s_wait_xcnt 0x0
	s_or_b32 exec_lo, exec_lo, s17
	s_and_saveexec_b32 s17, s25
	s_cbranch_execz .LBB1348_1187
.LBB1348_1255:                          ;   in Loop: Header=BB1348_1040 Depth=2
	v_lshlrev_b32_e32 v65, 2, v127
	ds_load_b32 v65, v65
	ds_load_b64 v[66:67], v64 offset:18944
	s_wait_dscnt 0x1
	v_add_nc_u32_e32 v65, v65, v75
	s_wait_dscnt 0x0
	global_store_b64 v65, v[66:67], s[46:47] scale_offset
	s_wait_xcnt 0x0
	s_or_b32 exec_lo, exec_lo, s17
	s_and_saveexec_b32 s17, s26
	s_cbranch_execz .LBB1348_1188
.LBB1348_1256:                          ;   in Loop: Header=BB1348_1040 Depth=2
	v_lshlrev_b32_e32 v65, 2, v126
	ds_load_b32 v65, v65
	ds_load_b64 v[66:67], v64 offset:20992
	s_wait_dscnt 0x1
	v_add_nc_u32_e32 v65, v65, v76
	s_wait_dscnt 0x0
	global_store_b64 v65, v[66:67], s[46:47] scale_offset
	s_wait_xcnt 0x0
	s_or_b32 exec_lo, exec_lo, s17
	s_and_saveexec_b32 s17, s27
	s_cbranch_execz .LBB1348_1189
.LBB1348_1257:                          ;   in Loop: Header=BB1348_1040 Depth=2
	v_lshlrev_b32_e32 v65, 2, v125
	ds_load_b32 v65, v65
	ds_load_b64 v[66:67], v64 offset:23040
	s_wait_dscnt 0x1
	v_add_nc_u32_e32 v65, v65, v77
	s_wait_dscnt 0x0
	global_store_b64 v65, v[66:67], s[46:47] scale_offset
	s_wait_xcnt 0x0
	s_or_b32 exec_lo, exec_lo, s17
	s_and_saveexec_b32 s17, s28
	s_cbranch_execz .LBB1348_1190
.LBB1348_1258:                          ;   in Loop: Header=BB1348_1040 Depth=2
	v_lshlrev_b32_e32 v65, 2, v124
	ds_load_b32 v65, v65
	ds_load_b64 v[66:67], v64 offset:25088
	s_wait_dscnt 0x1
	v_add_nc_u32_e32 v65, v65, v78
	s_wait_dscnt 0x0
	global_store_b64 v65, v[66:67], s[46:47] scale_offset
	s_wait_xcnt 0x0
	s_or_b32 exec_lo, exec_lo, s17
	s_and_saveexec_b32 s17, s29
	s_cbranch_execz .LBB1348_1191
.LBB1348_1259:                          ;   in Loop: Header=BB1348_1040 Depth=2
	v_lshlrev_b32_e32 v65, 2, v123
	ds_load_b32 v65, v65
	ds_load_b64 v[66:67], v64 offset:27136
	s_wait_dscnt 0x1
	v_add_nc_u32_e32 v65, v65, v79
	s_wait_dscnt 0x0
	global_store_b64 v65, v[66:67], s[46:47] scale_offset
	s_wait_xcnt 0x0
	s_or_b32 exec_lo, exec_lo, s17
	s_and_saveexec_b32 s17, s30
	s_cbranch_execz .LBB1348_1192
.LBB1348_1260:                          ;   in Loop: Header=BB1348_1040 Depth=2
	v_lshlrev_b32_e32 v65, 2, v122
	ds_load_b32 v65, v65
	ds_load_b64 v[66:67], v64 offset:29184
	s_wait_dscnt 0x1
	v_add_nc_u32_e32 v65, v65, v80
	s_wait_dscnt 0x0
	global_store_b64 v65, v[66:67], s[46:47] scale_offset
	s_wait_xcnt 0x0
	s_or_b32 exec_lo, exec_lo, s17
	s_and_saveexec_b32 s17, s31
	s_cbranch_execz .LBB1348_1193
.LBB1348_1261:                          ;   in Loop: Header=BB1348_1040 Depth=2
	v_lshlrev_b32_e32 v65, 2, v121
	ds_load_b32 v65, v65
	ds_load_b64 v[66:67], v64 offset:31232
	s_wait_dscnt 0x1
	v_add_nc_u32_e32 v65, v65, v81
	s_wait_dscnt 0x0
	global_store_b64 v65, v[66:67], s[46:47] scale_offset
	s_wait_xcnt 0x0
	s_or_b32 exec_lo, exec_lo, s17
	s_and_saveexec_b32 s17, s33
	s_cbranch_execnz .LBB1348_1194
	s_branch .LBB1348_1195
.LBB1348_1262:
	s_endpgm
	.section	.rodata,"a",@progbits
	.p2align	6, 0x0
	.amdhsa_kernel _ZN7rocprim17ROCPRIM_400000_NS6detail17trampoline_kernelINS0_14default_configENS1_36segmented_radix_sort_config_selectorIflEEZNS1_25segmented_radix_sort_implIS3_Lb1EPKfPfPKlPlN2at6native12_GLOBAL__N_18offset_tEEE10hipError_tPvRmT1_PNSt15iterator_traitsISK_E10value_typeET2_T3_PNSL_ISQ_E10value_typeET4_jRbjT5_SW_jjP12ihipStream_tbEUlT_E2_NS1_11comp_targetILNS1_3genE0ELNS1_11target_archE4294967295ELNS1_3gpuE0ELNS1_3repE0EEENS1_30default_config_static_selectorELNS0_4arch9wavefront6targetE0EEEvSK_
		.amdhsa_group_segment_fixed_size 35344
		.amdhsa_private_segment_fixed_size 0
		.amdhsa_kernarg_size 336
		.amdhsa_user_sgpr_count 4
		.amdhsa_user_sgpr_dispatch_ptr 0
		.amdhsa_user_sgpr_queue_ptr 1
		.amdhsa_user_sgpr_kernarg_segment_ptr 1
		.amdhsa_user_sgpr_dispatch_id 0
		.amdhsa_user_sgpr_kernarg_preload_length 0
		.amdhsa_user_sgpr_kernarg_preload_offset 0
		.amdhsa_user_sgpr_private_segment_size 0
		.amdhsa_wavefront_size32 1
		.amdhsa_uses_dynamic_stack 0
		.amdhsa_enable_private_segment 0
		.amdhsa_system_sgpr_workgroup_id_x 1
		.amdhsa_system_sgpr_workgroup_id_y 1
		.amdhsa_system_sgpr_workgroup_id_z 0
		.amdhsa_system_sgpr_workgroup_info 0
		.amdhsa_system_vgpr_workitem_id 2
		.amdhsa_next_free_vgpr 320
		.amdhsa_next_free_sgpr 62
		.amdhsa_named_barrier_count 0
		.amdhsa_reserve_vcc 1
		.amdhsa_float_round_mode_32 0
		.amdhsa_float_round_mode_16_64 0
		.amdhsa_float_denorm_mode_32 3
		.amdhsa_float_denorm_mode_16_64 3
		.amdhsa_fp16_overflow 0
		.amdhsa_memory_ordered 1
		.amdhsa_forward_progress 1
		.amdhsa_inst_pref_size 255
		.amdhsa_round_robin_scheduling 0
		.amdhsa_exception_fp_ieee_invalid_op 0
		.amdhsa_exception_fp_denorm_src 0
		.amdhsa_exception_fp_ieee_div_zero 0
		.amdhsa_exception_fp_ieee_overflow 0
		.amdhsa_exception_fp_ieee_underflow 0
		.amdhsa_exception_fp_ieee_inexact 0
		.amdhsa_exception_int_div_zero 0
	.end_amdhsa_kernel
	.section	.text._ZN7rocprim17ROCPRIM_400000_NS6detail17trampoline_kernelINS0_14default_configENS1_36segmented_radix_sort_config_selectorIflEEZNS1_25segmented_radix_sort_implIS3_Lb1EPKfPfPKlPlN2at6native12_GLOBAL__N_18offset_tEEE10hipError_tPvRmT1_PNSt15iterator_traitsISK_E10value_typeET2_T3_PNSL_ISQ_E10value_typeET4_jRbjT5_SW_jjP12ihipStream_tbEUlT_E2_NS1_11comp_targetILNS1_3genE0ELNS1_11target_archE4294967295ELNS1_3gpuE0ELNS1_3repE0EEENS1_30default_config_static_selectorELNS0_4arch9wavefront6targetE0EEEvSK_,"axG",@progbits,_ZN7rocprim17ROCPRIM_400000_NS6detail17trampoline_kernelINS0_14default_configENS1_36segmented_radix_sort_config_selectorIflEEZNS1_25segmented_radix_sort_implIS3_Lb1EPKfPfPKlPlN2at6native12_GLOBAL__N_18offset_tEEE10hipError_tPvRmT1_PNSt15iterator_traitsISK_E10value_typeET2_T3_PNSL_ISQ_E10value_typeET4_jRbjT5_SW_jjP12ihipStream_tbEUlT_E2_NS1_11comp_targetILNS1_3genE0ELNS1_11target_archE4294967295ELNS1_3gpuE0ELNS1_3repE0EEENS1_30default_config_static_selectorELNS0_4arch9wavefront6targetE0EEEvSK_,comdat
.Lfunc_end1348:
	.size	_ZN7rocprim17ROCPRIM_400000_NS6detail17trampoline_kernelINS0_14default_configENS1_36segmented_radix_sort_config_selectorIflEEZNS1_25segmented_radix_sort_implIS3_Lb1EPKfPfPKlPlN2at6native12_GLOBAL__N_18offset_tEEE10hipError_tPvRmT1_PNSt15iterator_traitsISK_E10value_typeET2_T3_PNSL_ISQ_E10value_typeET4_jRbjT5_SW_jjP12ihipStream_tbEUlT_E2_NS1_11comp_targetILNS1_3genE0ELNS1_11target_archE4294967295ELNS1_3gpuE0ELNS1_3repE0EEENS1_30default_config_static_selectorELNS0_4arch9wavefront6targetE0EEEvSK_, .Lfunc_end1348-_ZN7rocprim17ROCPRIM_400000_NS6detail17trampoline_kernelINS0_14default_configENS1_36segmented_radix_sort_config_selectorIflEEZNS1_25segmented_radix_sort_implIS3_Lb1EPKfPfPKlPlN2at6native12_GLOBAL__N_18offset_tEEE10hipError_tPvRmT1_PNSt15iterator_traitsISK_E10value_typeET2_T3_PNSL_ISQ_E10value_typeET4_jRbjT5_SW_jjP12ihipStream_tbEUlT_E2_NS1_11comp_targetILNS1_3genE0ELNS1_11target_archE4294967295ELNS1_3gpuE0ELNS1_3repE0EEENS1_30default_config_static_selectorELNS0_4arch9wavefront6targetE0EEEvSK_
                                        ; -- End function
	.set _ZN7rocprim17ROCPRIM_400000_NS6detail17trampoline_kernelINS0_14default_configENS1_36segmented_radix_sort_config_selectorIflEEZNS1_25segmented_radix_sort_implIS3_Lb1EPKfPfPKlPlN2at6native12_GLOBAL__N_18offset_tEEE10hipError_tPvRmT1_PNSt15iterator_traitsISK_E10value_typeET2_T3_PNSL_ISQ_E10value_typeET4_jRbjT5_SW_jjP12ihipStream_tbEUlT_E2_NS1_11comp_targetILNS1_3genE0ELNS1_11target_archE4294967295ELNS1_3gpuE0ELNS1_3repE0EEENS1_30default_config_static_selectorELNS0_4arch9wavefront6targetE0EEEvSK_.num_vgpr, max(211, .L_ZN7rocprim17ROCPRIM_400000_NS6detail26segmented_warp_sort_helperINS1_20WarpSortHelperConfigILj32ELj4ELj256EEEflLi256ELb1EvE4sortIPKfPfPKlPlEEvT_T0_T1_T2_jjjjRNS5_12storage_typeE.num_vgpr, .L_ZN7rocprim17ROCPRIM_400000_NS6detail40segmented_radix_sort_single_block_helperIflLj256ELj17ELb1EE4sortIPKfPfPKlPlEEbT_T0_T1_T2_jjjjRNS3_12storage_typeE.num_vgpr)
	.set _ZN7rocprim17ROCPRIM_400000_NS6detail17trampoline_kernelINS0_14default_configENS1_36segmented_radix_sort_config_selectorIflEEZNS1_25segmented_radix_sort_implIS3_Lb1EPKfPfPKlPlN2at6native12_GLOBAL__N_18offset_tEEE10hipError_tPvRmT1_PNSt15iterator_traitsISK_E10value_typeET2_T3_PNSL_ISQ_E10value_typeET4_jRbjT5_SW_jjP12ihipStream_tbEUlT_E2_NS1_11comp_targetILNS1_3genE0ELNS1_11target_archE4294967295ELNS1_3gpuE0ELNS1_3repE0EEENS1_30default_config_static_selectorELNS0_4arch9wavefront6targetE0EEEvSK_.num_agpr, max(0, .L_ZN7rocprim17ROCPRIM_400000_NS6detail26segmented_warp_sort_helperINS1_20WarpSortHelperConfigILj32ELj4ELj256EEEflLi256ELb1EvE4sortIPKfPfPKlPlEEvT_T0_T1_T2_jjjjRNS5_12storage_typeE.num_agpr, .L_ZN7rocprim17ROCPRIM_400000_NS6detail40segmented_radix_sort_single_block_helperIflLj256ELj17ELb1EE4sortIPKfPfPKlPlEEbT_T0_T1_T2_jjjjRNS3_12storage_typeE.num_agpr)
	.set _ZN7rocprim17ROCPRIM_400000_NS6detail17trampoline_kernelINS0_14default_configENS1_36segmented_radix_sort_config_selectorIflEEZNS1_25segmented_radix_sort_implIS3_Lb1EPKfPfPKlPlN2at6native12_GLOBAL__N_18offset_tEEE10hipError_tPvRmT1_PNSt15iterator_traitsISK_E10value_typeET2_T3_PNSL_ISQ_E10value_typeET4_jRbjT5_SW_jjP12ihipStream_tbEUlT_E2_NS1_11comp_targetILNS1_3genE0ELNS1_11target_archE4294967295ELNS1_3gpuE0ELNS1_3repE0EEENS1_30default_config_static_selectorELNS0_4arch9wavefront6targetE0EEEvSK_.numbered_sgpr, max(62, .L_ZN7rocprim17ROCPRIM_400000_NS6detail26segmented_warp_sort_helperINS1_20WarpSortHelperConfigILj32ELj4ELj256EEEflLi256ELb1EvE4sortIPKfPfPKlPlEEvT_T0_T1_T2_jjjjRNS5_12storage_typeE.numbered_sgpr, .L_ZN7rocprim17ROCPRIM_400000_NS6detail40segmented_radix_sort_single_block_helperIflLj256ELj17ELb1EE4sortIPKfPfPKlPlEEbT_T0_T1_T2_jjjjRNS3_12storage_typeE.numbered_sgpr)
	.set _ZN7rocprim17ROCPRIM_400000_NS6detail17trampoline_kernelINS0_14default_configENS1_36segmented_radix_sort_config_selectorIflEEZNS1_25segmented_radix_sort_implIS3_Lb1EPKfPfPKlPlN2at6native12_GLOBAL__N_18offset_tEEE10hipError_tPvRmT1_PNSt15iterator_traitsISK_E10value_typeET2_T3_PNSL_ISQ_E10value_typeET4_jRbjT5_SW_jjP12ihipStream_tbEUlT_E2_NS1_11comp_targetILNS1_3genE0ELNS1_11target_archE4294967295ELNS1_3gpuE0ELNS1_3repE0EEENS1_30default_config_static_selectorELNS0_4arch9wavefront6targetE0EEEvSK_.num_named_barrier, max(0, .L_ZN7rocprim17ROCPRIM_400000_NS6detail26segmented_warp_sort_helperINS1_20WarpSortHelperConfigILj32ELj4ELj256EEEflLi256ELb1EvE4sortIPKfPfPKlPlEEvT_T0_T1_T2_jjjjRNS5_12storage_typeE.num_named_barrier, .L_ZN7rocprim17ROCPRIM_400000_NS6detail40segmented_radix_sort_single_block_helperIflLj256ELj17ELb1EE4sortIPKfPfPKlPlEEbT_T0_T1_T2_jjjjRNS3_12storage_typeE.num_named_barrier)
	.set _ZN7rocprim17ROCPRIM_400000_NS6detail17trampoline_kernelINS0_14default_configENS1_36segmented_radix_sort_config_selectorIflEEZNS1_25segmented_radix_sort_implIS3_Lb1EPKfPfPKlPlN2at6native12_GLOBAL__N_18offset_tEEE10hipError_tPvRmT1_PNSt15iterator_traitsISK_E10value_typeET2_T3_PNSL_ISQ_E10value_typeET4_jRbjT5_SW_jjP12ihipStream_tbEUlT_E2_NS1_11comp_targetILNS1_3genE0ELNS1_11target_archE4294967295ELNS1_3gpuE0ELNS1_3repE0EEENS1_30default_config_static_selectorELNS0_4arch9wavefront6targetE0EEEvSK_.private_seg_size, 0+max(.L_ZN7rocprim17ROCPRIM_400000_NS6detail26segmented_warp_sort_helperINS1_20WarpSortHelperConfigILj32ELj4ELj256EEEflLi256ELb1EvE4sortIPKfPfPKlPlEEvT_T0_T1_T2_jjjjRNS5_12storage_typeE.private_seg_size, .L_ZN7rocprim17ROCPRIM_400000_NS6detail40segmented_radix_sort_single_block_helperIflLj256ELj17ELb1EE4sortIPKfPfPKlPlEEbT_T0_T1_T2_jjjjRNS3_12storage_typeE.private_seg_size)
	.set _ZN7rocprim17ROCPRIM_400000_NS6detail17trampoline_kernelINS0_14default_configENS1_36segmented_radix_sort_config_selectorIflEEZNS1_25segmented_radix_sort_implIS3_Lb1EPKfPfPKlPlN2at6native12_GLOBAL__N_18offset_tEEE10hipError_tPvRmT1_PNSt15iterator_traitsISK_E10value_typeET2_T3_PNSL_ISQ_E10value_typeET4_jRbjT5_SW_jjP12ihipStream_tbEUlT_E2_NS1_11comp_targetILNS1_3genE0ELNS1_11target_archE4294967295ELNS1_3gpuE0ELNS1_3repE0EEENS1_30default_config_static_selectorELNS0_4arch9wavefront6targetE0EEEvSK_.uses_vcc, or(1, .L_ZN7rocprim17ROCPRIM_400000_NS6detail26segmented_warp_sort_helperINS1_20WarpSortHelperConfigILj32ELj4ELj256EEEflLi256ELb1EvE4sortIPKfPfPKlPlEEvT_T0_T1_T2_jjjjRNS5_12storage_typeE.uses_vcc, .L_ZN7rocprim17ROCPRIM_400000_NS6detail40segmented_radix_sort_single_block_helperIflLj256ELj17ELb1EE4sortIPKfPfPKlPlEEbT_T0_T1_T2_jjjjRNS3_12storage_typeE.uses_vcc)
	.set _ZN7rocprim17ROCPRIM_400000_NS6detail17trampoline_kernelINS0_14default_configENS1_36segmented_radix_sort_config_selectorIflEEZNS1_25segmented_radix_sort_implIS3_Lb1EPKfPfPKlPlN2at6native12_GLOBAL__N_18offset_tEEE10hipError_tPvRmT1_PNSt15iterator_traitsISK_E10value_typeET2_T3_PNSL_ISQ_E10value_typeET4_jRbjT5_SW_jjP12ihipStream_tbEUlT_E2_NS1_11comp_targetILNS1_3genE0ELNS1_11target_archE4294967295ELNS1_3gpuE0ELNS1_3repE0EEENS1_30default_config_static_selectorELNS0_4arch9wavefront6targetE0EEEvSK_.uses_flat_scratch, or(0, .L_ZN7rocprim17ROCPRIM_400000_NS6detail26segmented_warp_sort_helperINS1_20WarpSortHelperConfigILj32ELj4ELj256EEEflLi256ELb1EvE4sortIPKfPfPKlPlEEvT_T0_T1_T2_jjjjRNS5_12storage_typeE.uses_flat_scratch, .L_ZN7rocprim17ROCPRIM_400000_NS6detail40segmented_radix_sort_single_block_helperIflLj256ELj17ELb1EE4sortIPKfPfPKlPlEEbT_T0_T1_T2_jjjjRNS3_12storage_typeE.uses_flat_scratch)
	.set _ZN7rocprim17ROCPRIM_400000_NS6detail17trampoline_kernelINS0_14default_configENS1_36segmented_radix_sort_config_selectorIflEEZNS1_25segmented_radix_sort_implIS3_Lb1EPKfPfPKlPlN2at6native12_GLOBAL__N_18offset_tEEE10hipError_tPvRmT1_PNSt15iterator_traitsISK_E10value_typeET2_T3_PNSL_ISQ_E10value_typeET4_jRbjT5_SW_jjP12ihipStream_tbEUlT_E2_NS1_11comp_targetILNS1_3genE0ELNS1_11target_archE4294967295ELNS1_3gpuE0ELNS1_3repE0EEENS1_30default_config_static_selectorELNS0_4arch9wavefront6targetE0EEEvSK_.has_dyn_sized_stack, or(0, .L_ZN7rocprim17ROCPRIM_400000_NS6detail26segmented_warp_sort_helperINS1_20WarpSortHelperConfigILj32ELj4ELj256EEEflLi256ELb1EvE4sortIPKfPfPKlPlEEvT_T0_T1_T2_jjjjRNS5_12storage_typeE.has_dyn_sized_stack, .L_ZN7rocprim17ROCPRIM_400000_NS6detail40segmented_radix_sort_single_block_helperIflLj256ELj17ELb1EE4sortIPKfPfPKlPlEEbT_T0_T1_T2_jjjjRNS3_12storage_typeE.has_dyn_sized_stack)
	.set _ZN7rocprim17ROCPRIM_400000_NS6detail17trampoline_kernelINS0_14default_configENS1_36segmented_radix_sort_config_selectorIflEEZNS1_25segmented_radix_sort_implIS3_Lb1EPKfPfPKlPlN2at6native12_GLOBAL__N_18offset_tEEE10hipError_tPvRmT1_PNSt15iterator_traitsISK_E10value_typeET2_T3_PNSL_ISQ_E10value_typeET4_jRbjT5_SW_jjP12ihipStream_tbEUlT_E2_NS1_11comp_targetILNS1_3genE0ELNS1_11target_archE4294967295ELNS1_3gpuE0ELNS1_3repE0EEENS1_30default_config_static_selectorELNS0_4arch9wavefront6targetE0EEEvSK_.has_recursion, or(0, .L_ZN7rocprim17ROCPRIM_400000_NS6detail26segmented_warp_sort_helperINS1_20WarpSortHelperConfigILj32ELj4ELj256EEEflLi256ELb1EvE4sortIPKfPfPKlPlEEvT_T0_T1_T2_jjjjRNS5_12storage_typeE.has_recursion, .L_ZN7rocprim17ROCPRIM_400000_NS6detail40segmented_radix_sort_single_block_helperIflLj256ELj17ELb1EE4sortIPKfPfPKlPlEEbT_T0_T1_T2_jjjjRNS3_12storage_typeE.has_recursion)
	.set _ZN7rocprim17ROCPRIM_400000_NS6detail17trampoline_kernelINS0_14default_configENS1_36segmented_radix_sort_config_selectorIflEEZNS1_25segmented_radix_sort_implIS3_Lb1EPKfPfPKlPlN2at6native12_GLOBAL__N_18offset_tEEE10hipError_tPvRmT1_PNSt15iterator_traitsISK_E10value_typeET2_T3_PNSL_ISQ_E10value_typeET4_jRbjT5_SW_jjP12ihipStream_tbEUlT_E2_NS1_11comp_targetILNS1_3genE0ELNS1_11target_archE4294967295ELNS1_3gpuE0ELNS1_3repE0EEENS1_30default_config_static_selectorELNS0_4arch9wavefront6targetE0EEEvSK_.has_indirect_call, or(0, .L_ZN7rocprim17ROCPRIM_400000_NS6detail26segmented_warp_sort_helperINS1_20WarpSortHelperConfigILj32ELj4ELj256EEEflLi256ELb1EvE4sortIPKfPfPKlPlEEvT_T0_T1_T2_jjjjRNS5_12storage_typeE.has_indirect_call, .L_ZN7rocprim17ROCPRIM_400000_NS6detail40segmented_radix_sort_single_block_helperIflLj256ELj17ELb1EE4sortIPKfPfPKlPlEEbT_T0_T1_T2_jjjjRNS3_12storage_typeE.has_indirect_call)
	.section	.AMDGPU.csdata,"",@progbits
; Kernel info:
; codeLenInByte = 79932
; TotalNumSgprs: 64
; NumVgprs: 320
; ScratchSize: 0
; MemoryBound: 0
; FloatMode: 240
; IeeeMode: 1
; LDSByteSize: 35344 bytes/workgroup (compile time only)
; SGPRBlocks: 0
; VGPRBlocks: 19
; NumSGPRsForWavesPerEU: 64
; NumVGPRsForWavesPerEU: 320
; NamedBarCnt: 0
; Occupancy: 3
; WaveLimiterHint : 1
; COMPUTE_PGM_RSRC2:SCRATCH_EN: 0
; COMPUTE_PGM_RSRC2:USER_SGPR: 4
; COMPUTE_PGM_RSRC2:TRAP_HANDLER: 0
; COMPUTE_PGM_RSRC2:TGID_X_EN: 1
; COMPUTE_PGM_RSRC2:TGID_Y_EN: 1
; COMPUTE_PGM_RSRC2:TGID_Z_EN: 0
; COMPUTE_PGM_RSRC2:TIDIG_COMP_CNT: 2
	.section	.text._ZN7rocprim17ROCPRIM_400000_NS6detail17trampoline_kernelINS0_14default_configENS1_36segmented_radix_sort_config_selectorIflEEZNS1_25segmented_radix_sort_implIS3_Lb1EPKfPfPKlPlN2at6native12_GLOBAL__N_18offset_tEEE10hipError_tPvRmT1_PNSt15iterator_traitsISK_E10value_typeET2_T3_PNSL_ISQ_E10value_typeET4_jRbjT5_SW_jjP12ihipStream_tbEUlT_E2_NS1_11comp_targetILNS1_3genE5ELNS1_11target_archE942ELNS1_3gpuE9ELNS1_3repE0EEENS1_30default_config_static_selectorELNS0_4arch9wavefront6targetE0EEEvSK_,"axG",@progbits,_ZN7rocprim17ROCPRIM_400000_NS6detail17trampoline_kernelINS0_14default_configENS1_36segmented_radix_sort_config_selectorIflEEZNS1_25segmented_radix_sort_implIS3_Lb1EPKfPfPKlPlN2at6native12_GLOBAL__N_18offset_tEEE10hipError_tPvRmT1_PNSt15iterator_traitsISK_E10value_typeET2_T3_PNSL_ISQ_E10value_typeET4_jRbjT5_SW_jjP12ihipStream_tbEUlT_E2_NS1_11comp_targetILNS1_3genE5ELNS1_11target_archE942ELNS1_3gpuE9ELNS1_3repE0EEENS1_30default_config_static_selectorELNS0_4arch9wavefront6targetE0EEEvSK_,comdat
	.globl	_ZN7rocprim17ROCPRIM_400000_NS6detail17trampoline_kernelINS0_14default_configENS1_36segmented_radix_sort_config_selectorIflEEZNS1_25segmented_radix_sort_implIS3_Lb1EPKfPfPKlPlN2at6native12_GLOBAL__N_18offset_tEEE10hipError_tPvRmT1_PNSt15iterator_traitsISK_E10value_typeET2_T3_PNSL_ISQ_E10value_typeET4_jRbjT5_SW_jjP12ihipStream_tbEUlT_E2_NS1_11comp_targetILNS1_3genE5ELNS1_11target_archE942ELNS1_3gpuE9ELNS1_3repE0EEENS1_30default_config_static_selectorELNS0_4arch9wavefront6targetE0EEEvSK_ ; -- Begin function _ZN7rocprim17ROCPRIM_400000_NS6detail17trampoline_kernelINS0_14default_configENS1_36segmented_radix_sort_config_selectorIflEEZNS1_25segmented_radix_sort_implIS3_Lb1EPKfPfPKlPlN2at6native12_GLOBAL__N_18offset_tEEE10hipError_tPvRmT1_PNSt15iterator_traitsISK_E10value_typeET2_T3_PNSL_ISQ_E10value_typeET4_jRbjT5_SW_jjP12ihipStream_tbEUlT_E2_NS1_11comp_targetILNS1_3genE5ELNS1_11target_archE942ELNS1_3gpuE9ELNS1_3repE0EEENS1_30default_config_static_selectorELNS0_4arch9wavefront6targetE0EEEvSK_
	.p2align	8
	.type	_ZN7rocprim17ROCPRIM_400000_NS6detail17trampoline_kernelINS0_14default_configENS1_36segmented_radix_sort_config_selectorIflEEZNS1_25segmented_radix_sort_implIS3_Lb1EPKfPfPKlPlN2at6native12_GLOBAL__N_18offset_tEEE10hipError_tPvRmT1_PNSt15iterator_traitsISK_E10value_typeET2_T3_PNSL_ISQ_E10value_typeET4_jRbjT5_SW_jjP12ihipStream_tbEUlT_E2_NS1_11comp_targetILNS1_3genE5ELNS1_11target_archE942ELNS1_3gpuE9ELNS1_3repE0EEENS1_30default_config_static_selectorELNS0_4arch9wavefront6targetE0EEEvSK_,@function
_ZN7rocprim17ROCPRIM_400000_NS6detail17trampoline_kernelINS0_14default_configENS1_36segmented_radix_sort_config_selectorIflEEZNS1_25segmented_radix_sort_implIS3_Lb1EPKfPfPKlPlN2at6native12_GLOBAL__N_18offset_tEEE10hipError_tPvRmT1_PNSt15iterator_traitsISK_E10value_typeET2_T3_PNSL_ISQ_E10value_typeET4_jRbjT5_SW_jjP12ihipStream_tbEUlT_E2_NS1_11comp_targetILNS1_3genE5ELNS1_11target_archE942ELNS1_3gpuE9ELNS1_3repE0EEENS1_30default_config_static_selectorELNS0_4arch9wavefront6targetE0EEEvSK_: ; @_ZN7rocprim17ROCPRIM_400000_NS6detail17trampoline_kernelINS0_14default_configENS1_36segmented_radix_sort_config_selectorIflEEZNS1_25segmented_radix_sort_implIS3_Lb1EPKfPfPKlPlN2at6native12_GLOBAL__N_18offset_tEEE10hipError_tPvRmT1_PNSt15iterator_traitsISK_E10value_typeET2_T3_PNSL_ISQ_E10value_typeET4_jRbjT5_SW_jjP12ihipStream_tbEUlT_E2_NS1_11comp_targetILNS1_3genE5ELNS1_11target_archE942ELNS1_3gpuE9ELNS1_3repE0EEENS1_30default_config_static_selectorELNS0_4arch9wavefront6targetE0EEEvSK_
; %bb.0:
	.section	.rodata,"a",@progbits
	.p2align	6, 0x0
	.amdhsa_kernel _ZN7rocprim17ROCPRIM_400000_NS6detail17trampoline_kernelINS0_14default_configENS1_36segmented_radix_sort_config_selectorIflEEZNS1_25segmented_radix_sort_implIS3_Lb1EPKfPfPKlPlN2at6native12_GLOBAL__N_18offset_tEEE10hipError_tPvRmT1_PNSt15iterator_traitsISK_E10value_typeET2_T3_PNSL_ISQ_E10value_typeET4_jRbjT5_SW_jjP12ihipStream_tbEUlT_E2_NS1_11comp_targetILNS1_3genE5ELNS1_11target_archE942ELNS1_3gpuE9ELNS1_3repE0EEENS1_30default_config_static_selectorELNS0_4arch9wavefront6targetE0EEEvSK_
		.amdhsa_group_segment_fixed_size 0
		.amdhsa_private_segment_fixed_size 0
		.amdhsa_kernarg_size 80
		.amdhsa_user_sgpr_count 2
		.amdhsa_user_sgpr_dispatch_ptr 0
		.amdhsa_user_sgpr_queue_ptr 0
		.amdhsa_user_sgpr_kernarg_segment_ptr 1
		.amdhsa_user_sgpr_dispatch_id 0
		.amdhsa_user_sgpr_kernarg_preload_length 0
		.amdhsa_user_sgpr_kernarg_preload_offset 0
		.amdhsa_user_sgpr_private_segment_size 0
		.amdhsa_wavefront_size32 1
		.amdhsa_uses_dynamic_stack 0
		.amdhsa_enable_private_segment 0
		.amdhsa_system_sgpr_workgroup_id_x 1
		.amdhsa_system_sgpr_workgroup_id_y 0
		.amdhsa_system_sgpr_workgroup_id_z 0
		.amdhsa_system_sgpr_workgroup_info 0
		.amdhsa_system_vgpr_workitem_id 0
		.amdhsa_next_free_vgpr 1
		.amdhsa_next_free_sgpr 1
		.amdhsa_named_barrier_count 0
		.amdhsa_reserve_vcc 0
		.amdhsa_float_round_mode_32 0
		.amdhsa_float_round_mode_16_64 0
		.amdhsa_float_denorm_mode_32 3
		.amdhsa_float_denorm_mode_16_64 3
		.amdhsa_fp16_overflow 0
		.amdhsa_memory_ordered 1
		.amdhsa_forward_progress 1
		.amdhsa_inst_pref_size 0
		.amdhsa_round_robin_scheduling 0
		.amdhsa_exception_fp_ieee_invalid_op 0
		.amdhsa_exception_fp_denorm_src 0
		.amdhsa_exception_fp_ieee_div_zero 0
		.amdhsa_exception_fp_ieee_overflow 0
		.amdhsa_exception_fp_ieee_underflow 0
		.amdhsa_exception_fp_ieee_inexact 0
		.amdhsa_exception_int_div_zero 0
	.end_amdhsa_kernel
	.section	.text._ZN7rocprim17ROCPRIM_400000_NS6detail17trampoline_kernelINS0_14default_configENS1_36segmented_radix_sort_config_selectorIflEEZNS1_25segmented_radix_sort_implIS3_Lb1EPKfPfPKlPlN2at6native12_GLOBAL__N_18offset_tEEE10hipError_tPvRmT1_PNSt15iterator_traitsISK_E10value_typeET2_T3_PNSL_ISQ_E10value_typeET4_jRbjT5_SW_jjP12ihipStream_tbEUlT_E2_NS1_11comp_targetILNS1_3genE5ELNS1_11target_archE942ELNS1_3gpuE9ELNS1_3repE0EEENS1_30default_config_static_selectorELNS0_4arch9wavefront6targetE0EEEvSK_,"axG",@progbits,_ZN7rocprim17ROCPRIM_400000_NS6detail17trampoline_kernelINS0_14default_configENS1_36segmented_radix_sort_config_selectorIflEEZNS1_25segmented_radix_sort_implIS3_Lb1EPKfPfPKlPlN2at6native12_GLOBAL__N_18offset_tEEE10hipError_tPvRmT1_PNSt15iterator_traitsISK_E10value_typeET2_T3_PNSL_ISQ_E10value_typeET4_jRbjT5_SW_jjP12ihipStream_tbEUlT_E2_NS1_11comp_targetILNS1_3genE5ELNS1_11target_archE942ELNS1_3gpuE9ELNS1_3repE0EEENS1_30default_config_static_selectorELNS0_4arch9wavefront6targetE0EEEvSK_,comdat
.Lfunc_end1349:
	.size	_ZN7rocprim17ROCPRIM_400000_NS6detail17trampoline_kernelINS0_14default_configENS1_36segmented_radix_sort_config_selectorIflEEZNS1_25segmented_radix_sort_implIS3_Lb1EPKfPfPKlPlN2at6native12_GLOBAL__N_18offset_tEEE10hipError_tPvRmT1_PNSt15iterator_traitsISK_E10value_typeET2_T3_PNSL_ISQ_E10value_typeET4_jRbjT5_SW_jjP12ihipStream_tbEUlT_E2_NS1_11comp_targetILNS1_3genE5ELNS1_11target_archE942ELNS1_3gpuE9ELNS1_3repE0EEENS1_30default_config_static_selectorELNS0_4arch9wavefront6targetE0EEEvSK_, .Lfunc_end1349-_ZN7rocprim17ROCPRIM_400000_NS6detail17trampoline_kernelINS0_14default_configENS1_36segmented_radix_sort_config_selectorIflEEZNS1_25segmented_radix_sort_implIS3_Lb1EPKfPfPKlPlN2at6native12_GLOBAL__N_18offset_tEEE10hipError_tPvRmT1_PNSt15iterator_traitsISK_E10value_typeET2_T3_PNSL_ISQ_E10value_typeET4_jRbjT5_SW_jjP12ihipStream_tbEUlT_E2_NS1_11comp_targetILNS1_3genE5ELNS1_11target_archE942ELNS1_3gpuE9ELNS1_3repE0EEENS1_30default_config_static_selectorELNS0_4arch9wavefront6targetE0EEEvSK_
                                        ; -- End function
	.set _ZN7rocprim17ROCPRIM_400000_NS6detail17trampoline_kernelINS0_14default_configENS1_36segmented_radix_sort_config_selectorIflEEZNS1_25segmented_radix_sort_implIS3_Lb1EPKfPfPKlPlN2at6native12_GLOBAL__N_18offset_tEEE10hipError_tPvRmT1_PNSt15iterator_traitsISK_E10value_typeET2_T3_PNSL_ISQ_E10value_typeET4_jRbjT5_SW_jjP12ihipStream_tbEUlT_E2_NS1_11comp_targetILNS1_3genE5ELNS1_11target_archE942ELNS1_3gpuE9ELNS1_3repE0EEENS1_30default_config_static_selectorELNS0_4arch9wavefront6targetE0EEEvSK_.num_vgpr, 0
	.set _ZN7rocprim17ROCPRIM_400000_NS6detail17trampoline_kernelINS0_14default_configENS1_36segmented_radix_sort_config_selectorIflEEZNS1_25segmented_radix_sort_implIS3_Lb1EPKfPfPKlPlN2at6native12_GLOBAL__N_18offset_tEEE10hipError_tPvRmT1_PNSt15iterator_traitsISK_E10value_typeET2_T3_PNSL_ISQ_E10value_typeET4_jRbjT5_SW_jjP12ihipStream_tbEUlT_E2_NS1_11comp_targetILNS1_3genE5ELNS1_11target_archE942ELNS1_3gpuE9ELNS1_3repE0EEENS1_30default_config_static_selectorELNS0_4arch9wavefront6targetE0EEEvSK_.num_agpr, 0
	.set _ZN7rocprim17ROCPRIM_400000_NS6detail17trampoline_kernelINS0_14default_configENS1_36segmented_radix_sort_config_selectorIflEEZNS1_25segmented_radix_sort_implIS3_Lb1EPKfPfPKlPlN2at6native12_GLOBAL__N_18offset_tEEE10hipError_tPvRmT1_PNSt15iterator_traitsISK_E10value_typeET2_T3_PNSL_ISQ_E10value_typeET4_jRbjT5_SW_jjP12ihipStream_tbEUlT_E2_NS1_11comp_targetILNS1_3genE5ELNS1_11target_archE942ELNS1_3gpuE9ELNS1_3repE0EEENS1_30default_config_static_selectorELNS0_4arch9wavefront6targetE0EEEvSK_.numbered_sgpr, 0
	.set _ZN7rocprim17ROCPRIM_400000_NS6detail17trampoline_kernelINS0_14default_configENS1_36segmented_radix_sort_config_selectorIflEEZNS1_25segmented_radix_sort_implIS3_Lb1EPKfPfPKlPlN2at6native12_GLOBAL__N_18offset_tEEE10hipError_tPvRmT1_PNSt15iterator_traitsISK_E10value_typeET2_T3_PNSL_ISQ_E10value_typeET4_jRbjT5_SW_jjP12ihipStream_tbEUlT_E2_NS1_11comp_targetILNS1_3genE5ELNS1_11target_archE942ELNS1_3gpuE9ELNS1_3repE0EEENS1_30default_config_static_selectorELNS0_4arch9wavefront6targetE0EEEvSK_.num_named_barrier, 0
	.set _ZN7rocprim17ROCPRIM_400000_NS6detail17trampoline_kernelINS0_14default_configENS1_36segmented_radix_sort_config_selectorIflEEZNS1_25segmented_radix_sort_implIS3_Lb1EPKfPfPKlPlN2at6native12_GLOBAL__N_18offset_tEEE10hipError_tPvRmT1_PNSt15iterator_traitsISK_E10value_typeET2_T3_PNSL_ISQ_E10value_typeET4_jRbjT5_SW_jjP12ihipStream_tbEUlT_E2_NS1_11comp_targetILNS1_3genE5ELNS1_11target_archE942ELNS1_3gpuE9ELNS1_3repE0EEENS1_30default_config_static_selectorELNS0_4arch9wavefront6targetE0EEEvSK_.private_seg_size, 0
	.set _ZN7rocprim17ROCPRIM_400000_NS6detail17trampoline_kernelINS0_14default_configENS1_36segmented_radix_sort_config_selectorIflEEZNS1_25segmented_radix_sort_implIS3_Lb1EPKfPfPKlPlN2at6native12_GLOBAL__N_18offset_tEEE10hipError_tPvRmT1_PNSt15iterator_traitsISK_E10value_typeET2_T3_PNSL_ISQ_E10value_typeET4_jRbjT5_SW_jjP12ihipStream_tbEUlT_E2_NS1_11comp_targetILNS1_3genE5ELNS1_11target_archE942ELNS1_3gpuE9ELNS1_3repE0EEENS1_30default_config_static_selectorELNS0_4arch9wavefront6targetE0EEEvSK_.uses_vcc, 0
	.set _ZN7rocprim17ROCPRIM_400000_NS6detail17trampoline_kernelINS0_14default_configENS1_36segmented_radix_sort_config_selectorIflEEZNS1_25segmented_radix_sort_implIS3_Lb1EPKfPfPKlPlN2at6native12_GLOBAL__N_18offset_tEEE10hipError_tPvRmT1_PNSt15iterator_traitsISK_E10value_typeET2_T3_PNSL_ISQ_E10value_typeET4_jRbjT5_SW_jjP12ihipStream_tbEUlT_E2_NS1_11comp_targetILNS1_3genE5ELNS1_11target_archE942ELNS1_3gpuE9ELNS1_3repE0EEENS1_30default_config_static_selectorELNS0_4arch9wavefront6targetE0EEEvSK_.uses_flat_scratch, 0
	.set _ZN7rocprim17ROCPRIM_400000_NS6detail17trampoline_kernelINS0_14default_configENS1_36segmented_radix_sort_config_selectorIflEEZNS1_25segmented_radix_sort_implIS3_Lb1EPKfPfPKlPlN2at6native12_GLOBAL__N_18offset_tEEE10hipError_tPvRmT1_PNSt15iterator_traitsISK_E10value_typeET2_T3_PNSL_ISQ_E10value_typeET4_jRbjT5_SW_jjP12ihipStream_tbEUlT_E2_NS1_11comp_targetILNS1_3genE5ELNS1_11target_archE942ELNS1_3gpuE9ELNS1_3repE0EEENS1_30default_config_static_selectorELNS0_4arch9wavefront6targetE0EEEvSK_.has_dyn_sized_stack, 0
	.set _ZN7rocprim17ROCPRIM_400000_NS6detail17trampoline_kernelINS0_14default_configENS1_36segmented_radix_sort_config_selectorIflEEZNS1_25segmented_radix_sort_implIS3_Lb1EPKfPfPKlPlN2at6native12_GLOBAL__N_18offset_tEEE10hipError_tPvRmT1_PNSt15iterator_traitsISK_E10value_typeET2_T3_PNSL_ISQ_E10value_typeET4_jRbjT5_SW_jjP12ihipStream_tbEUlT_E2_NS1_11comp_targetILNS1_3genE5ELNS1_11target_archE942ELNS1_3gpuE9ELNS1_3repE0EEENS1_30default_config_static_selectorELNS0_4arch9wavefront6targetE0EEEvSK_.has_recursion, 0
	.set _ZN7rocprim17ROCPRIM_400000_NS6detail17trampoline_kernelINS0_14default_configENS1_36segmented_radix_sort_config_selectorIflEEZNS1_25segmented_radix_sort_implIS3_Lb1EPKfPfPKlPlN2at6native12_GLOBAL__N_18offset_tEEE10hipError_tPvRmT1_PNSt15iterator_traitsISK_E10value_typeET2_T3_PNSL_ISQ_E10value_typeET4_jRbjT5_SW_jjP12ihipStream_tbEUlT_E2_NS1_11comp_targetILNS1_3genE5ELNS1_11target_archE942ELNS1_3gpuE9ELNS1_3repE0EEENS1_30default_config_static_selectorELNS0_4arch9wavefront6targetE0EEEvSK_.has_indirect_call, 0
	.section	.AMDGPU.csdata,"",@progbits
; Kernel info:
; codeLenInByte = 0
; TotalNumSgprs: 0
; NumVgprs: 0
; ScratchSize: 0
; MemoryBound: 0
; FloatMode: 240
; IeeeMode: 1
; LDSByteSize: 0 bytes/workgroup (compile time only)
; SGPRBlocks: 0
; VGPRBlocks: 0
; NumSGPRsForWavesPerEU: 1
; NumVGPRsForWavesPerEU: 1
; NamedBarCnt: 0
; Occupancy: 16
; WaveLimiterHint : 0
; COMPUTE_PGM_RSRC2:SCRATCH_EN: 0
; COMPUTE_PGM_RSRC2:USER_SGPR: 2
; COMPUTE_PGM_RSRC2:TRAP_HANDLER: 0
; COMPUTE_PGM_RSRC2:TGID_X_EN: 1
; COMPUTE_PGM_RSRC2:TGID_Y_EN: 0
; COMPUTE_PGM_RSRC2:TGID_Z_EN: 0
; COMPUTE_PGM_RSRC2:TIDIG_COMP_CNT: 0
	.section	.text._ZN7rocprim17ROCPRIM_400000_NS6detail17trampoline_kernelINS0_14default_configENS1_36segmented_radix_sort_config_selectorIflEEZNS1_25segmented_radix_sort_implIS3_Lb1EPKfPfPKlPlN2at6native12_GLOBAL__N_18offset_tEEE10hipError_tPvRmT1_PNSt15iterator_traitsISK_E10value_typeET2_T3_PNSL_ISQ_E10value_typeET4_jRbjT5_SW_jjP12ihipStream_tbEUlT_E2_NS1_11comp_targetILNS1_3genE4ELNS1_11target_archE910ELNS1_3gpuE8ELNS1_3repE0EEENS1_30default_config_static_selectorELNS0_4arch9wavefront6targetE0EEEvSK_,"axG",@progbits,_ZN7rocprim17ROCPRIM_400000_NS6detail17trampoline_kernelINS0_14default_configENS1_36segmented_radix_sort_config_selectorIflEEZNS1_25segmented_radix_sort_implIS3_Lb1EPKfPfPKlPlN2at6native12_GLOBAL__N_18offset_tEEE10hipError_tPvRmT1_PNSt15iterator_traitsISK_E10value_typeET2_T3_PNSL_ISQ_E10value_typeET4_jRbjT5_SW_jjP12ihipStream_tbEUlT_E2_NS1_11comp_targetILNS1_3genE4ELNS1_11target_archE910ELNS1_3gpuE8ELNS1_3repE0EEENS1_30default_config_static_selectorELNS0_4arch9wavefront6targetE0EEEvSK_,comdat
	.globl	_ZN7rocprim17ROCPRIM_400000_NS6detail17trampoline_kernelINS0_14default_configENS1_36segmented_radix_sort_config_selectorIflEEZNS1_25segmented_radix_sort_implIS3_Lb1EPKfPfPKlPlN2at6native12_GLOBAL__N_18offset_tEEE10hipError_tPvRmT1_PNSt15iterator_traitsISK_E10value_typeET2_T3_PNSL_ISQ_E10value_typeET4_jRbjT5_SW_jjP12ihipStream_tbEUlT_E2_NS1_11comp_targetILNS1_3genE4ELNS1_11target_archE910ELNS1_3gpuE8ELNS1_3repE0EEENS1_30default_config_static_selectorELNS0_4arch9wavefront6targetE0EEEvSK_ ; -- Begin function _ZN7rocprim17ROCPRIM_400000_NS6detail17trampoline_kernelINS0_14default_configENS1_36segmented_radix_sort_config_selectorIflEEZNS1_25segmented_radix_sort_implIS3_Lb1EPKfPfPKlPlN2at6native12_GLOBAL__N_18offset_tEEE10hipError_tPvRmT1_PNSt15iterator_traitsISK_E10value_typeET2_T3_PNSL_ISQ_E10value_typeET4_jRbjT5_SW_jjP12ihipStream_tbEUlT_E2_NS1_11comp_targetILNS1_3genE4ELNS1_11target_archE910ELNS1_3gpuE8ELNS1_3repE0EEENS1_30default_config_static_selectorELNS0_4arch9wavefront6targetE0EEEvSK_
	.p2align	8
	.type	_ZN7rocprim17ROCPRIM_400000_NS6detail17trampoline_kernelINS0_14default_configENS1_36segmented_radix_sort_config_selectorIflEEZNS1_25segmented_radix_sort_implIS3_Lb1EPKfPfPKlPlN2at6native12_GLOBAL__N_18offset_tEEE10hipError_tPvRmT1_PNSt15iterator_traitsISK_E10value_typeET2_T3_PNSL_ISQ_E10value_typeET4_jRbjT5_SW_jjP12ihipStream_tbEUlT_E2_NS1_11comp_targetILNS1_3genE4ELNS1_11target_archE910ELNS1_3gpuE8ELNS1_3repE0EEENS1_30default_config_static_selectorELNS0_4arch9wavefront6targetE0EEEvSK_,@function
_ZN7rocprim17ROCPRIM_400000_NS6detail17trampoline_kernelINS0_14default_configENS1_36segmented_radix_sort_config_selectorIflEEZNS1_25segmented_radix_sort_implIS3_Lb1EPKfPfPKlPlN2at6native12_GLOBAL__N_18offset_tEEE10hipError_tPvRmT1_PNSt15iterator_traitsISK_E10value_typeET2_T3_PNSL_ISQ_E10value_typeET4_jRbjT5_SW_jjP12ihipStream_tbEUlT_E2_NS1_11comp_targetILNS1_3genE4ELNS1_11target_archE910ELNS1_3gpuE8ELNS1_3repE0EEENS1_30default_config_static_selectorELNS0_4arch9wavefront6targetE0EEEvSK_: ; @_ZN7rocprim17ROCPRIM_400000_NS6detail17trampoline_kernelINS0_14default_configENS1_36segmented_radix_sort_config_selectorIflEEZNS1_25segmented_radix_sort_implIS3_Lb1EPKfPfPKlPlN2at6native12_GLOBAL__N_18offset_tEEE10hipError_tPvRmT1_PNSt15iterator_traitsISK_E10value_typeET2_T3_PNSL_ISQ_E10value_typeET4_jRbjT5_SW_jjP12ihipStream_tbEUlT_E2_NS1_11comp_targetILNS1_3genE4ELNS1_11target_archE910ELNS1_3gpuE8ELNS1_3repE0EEENS1_30default_config_static_selectorELNS0_4arch9wavefront6targetE0EEEvSK_
; %bb.0:
	.section	.rodata,"a",@progbits
	.p2align	6, 0x0
	.amdhsa_kernel _ZN7rocprim17ROCPRIM_400000_NS6detail17trampoline_kernelINS0_14default_configENS1_36segmented_radix_sort_config_selectorIflEEZNS1_25segmented_radix_sort_implIS3_Lb1EPKfPfPKlPlN2at6native12_GLOBAL__N_18offset_tEEE10hipError_tPvRmT1_PNSt15iterator_traitsISK_E10value_typeET2_T3_PNSL_ISQ_E10value_typeET4_jRbjT5_SW_jjP12ihipStream_tbEUlT_E2_NS1_11comp_targetILNS1_3genE4ELNS1_11target_archE910ELNS1_3gpuE8ELNS1_3repE0EEENS1_30default_config_static_selectorELNS0_4arch9wavefront6targetE0EEEvSK_
		.amdhsa_group_segment_fixed_size 0
		.amdhsa_private_segment_fixed_size 0
		.amdhsa_kernarg_size 80
		.amdhsa_user_sgpr_count 2
		.amdhsa_user_sgpr_dispatch_ptr 0
		.amdhsa_user_sgpr_queue_ptr 0
		.amdhsa_user_sgpr_kernarg_segment_ptr 1
		.amdhsa_user_sgpr_dispatch_id 0
		.amdhsa_user_sgpr_kernarg_preload_length 0
		.amdhsa_user_sgpr_kernarg_preload_offset 0
		.amdhsa_user_sgpr_private_segment_size 0
		.amdhsa_wavefront_size32 1
		.amdhsa_uses_dynamic_stack 0
		.amdhsa_enable_private_segment 0
		.amdhsa_system_sgpr_workgroup_id_x 1
		.amdhsa_system_sgpr_workgroup_id_y 0
		.amdhsa_system_sgpr_workgroup_id_z 0
		.amdhsa_system_sgpr_workgroup_info 0
		.amdhsa_system_vgpr_workitem_id 0
		.amdhsa_next_free_vgpr 1
		.amdhsa_next_free_sgpr 1
		.amdhsa_named_barrier_count 0
		.amdhsa_reserve_vcc 0
		.amdhsa_float_round_mode_32 0
		.amdhsa_float_round_mode_16_64 0
		.amdhsa_float_denorm_mode_32 3
		.amdhsa_float_denorm_mode_16_64 3
		.amdhsa_fp16_overflow 0
		.amdhsa_memory_ordered 1
		.amdhsa_forward_progress 1
		.amdhsa_inst_pref_size 0
		.amdhsa_round_robin_scheduling 0
		.amdhsa_exception_fp_ieee_invalid_op 0
		.amdhsa_exception_fp_denorm_src 0
		.amdhsa_exception_fp_ieee_div_zero 0
		.amdhsa_exception_fp_ieee_overflow 0
		.amdhsa_exception_fp_ieee_underflow 0
		.amdhsa_exception_fp_ieee_inexact 0
		.amdhsa_exception_int_div_zero 0
	.end_amdhsa_kernel
	.section	.text._ZN7rocprim17ROCPRIM_400000_NS6detail17trampoline_kernelINS0_14default_configENS1_36segmented_radix_sort_config_selectorIflEEZNS1_25segmented_radix_sort_implIS3_Lb1EPKfPfPKlPlN2at6native12_GLOBAL__N_18offset_tEEE10hipError_tPvRmT1_PNSt15iterator_traitsISK_E10value_typeET2_T3_PNSL_ISQ_E10value_typeET4_jRbjT5_SW_jjP12ihipStream_tbEUlT_E2_NS1_11comp_targetILNS1_3genE4ELNS1_11target_archE910ELNS1_3gpuE8ELNS1_3repE0EEENS1_30default_config_static_selectorELNS0_4arch9wavefront6targetE0EEEvSK_,"axG",@progbits,_ZN7rocprim17ROCPRIM_400000_NS6detail17trampoline_kernelINS0_14default_configENS1_36segmented_radix_sort_config_selectorIflEEZNS1_25segmented_radix_sort_implIS3_Lb1EPKfPfPKlPlN2at6native12_GLOBAL__N_18offset_tEEE10hipError_tPvRmT1_PNSt15iterator_traitsISK_E10value_typeET2_T3_PNSL_ISQ_E10value_typeET4_jRbjT5_SW_jjP12ihipStream_tbEUlT_E2_NS1_11comp_targetILNS1_3genE4ELNS1_11target_archE910ELNS1_3gpuE8ELNS1_3repE0EEENS1_30default_config_static_selectorELNS0_4arch9wavefront6targetE0EEEvSK_,comdat
.Lfunc_end1350:
	.size	_ZN7rocprim17ROCPRIM_400000_NS6detail17trampoline_kernelINS0_14default_configENS1_36segmented_radix_sort_config_selectorIflEEZNS1_25segmented_radix_sort_implIS3_Lb1EPKfPfPKlPlN2at6native12_GLOBAL__N_18offset_tEEE10hipError_tPvRmT1_PNSt15iterator_traitsISK_E10value_typeET2_T3_PNSL_ISQ_E10value_typeET4_jRbjT5_SW_jjP12ihipStream_tbEUlT_E2_NS1_11comp_targetILNS1_3genE4ELNS1_11target_archE910ELNS1_3gpuE8ELNS1_3repE0EEENS1_30default_config_static_selectorELNS0_4arch9wavefront6targetE0EEEvSK_, .Lfunc_end1350-_ZN7rocprim17ROCPRIM_400000_NS6detail17trampoline_kernelINS0_14default_configENS1_36segmented_radix_sort_config_selectorIflEEZNS1_25segmented_radix_sort_implIS3_Lb1EPKfPfPKlPlN2at6native12_GLOBAL__N_18offset_tEEE10hipError_tPvRmT1_PNSt15iterator_traitsISK_E10value_typeET2_T3_PNSL_ISQ_E10value_typeET4_jRbjT5_SW_jjP12ihipStream_tbEUlT_E2_NS1_11comp_targetILNS1_3genE4ELNS1_11target_archE910ELNS1_3gpuE8ELNS1_3repE0EEENS1_30default_config_static_selectorELNS0_4arch9wavefront6targetE0EEEvSK_
                                        ; -- End function
	.set _ZN7rocprim17ROCPRIM_400000_NS6detail17trampoline_kernelINS0_14default_configENS1_36segmented_radix_sort_config_selectorIflEEZNS1_25segmented_radix_sort_implIS3_Lb1EPKfPfPKlPlN2at6native12_GLOBAL__N_18offset_tEEE10hipError_tPvRmT1_PNSt15iterator_traitsISK_E10value_typeET2_T3_PNSL_ISQ_E10value_typeET4_jRbjT5_SW_jjP12ihipStream_tbEUlT_E2_NS1_11comp_targetILNS1_3genE4ELNS1_11target_archE910ELNS1_3gpuE8ELNS1_3repE0EEENS1_30default_config_static_selectorELNS0_4arch9wavefront6targetE0EEEvSK_.num_vgpr, 0
	.set _ZN7rocprim17ROCPRIM_400000_NS6detail17trampoline_kernelINS0_14default_configENS1_36segmented_radix_sort_config_selectorIflEEZNS1_25segmented_radix_sort_implIS3_Lb1EPKfPfPKlPlN2at6native12_GLOBAL__N_18offset_tEEE10hipError_tPvRmT1_PNSt15iterator_traitsISK_E10value_typeET2_T3_PNSL_ISQ_E10value_typeET4_jRbjT5_SW_jjP12ihipStream_tbEUlT_E2_NS1_11comp_targetILNS1_3genE4ELNS1_11target_archE910ELNS1_3gpuE8ELNS1_3repE0EEENS1_30default_config_static_selectorELNS0_4arch9wavefront6targetE0EEEvSK_.num_agpr, 0
	.set _ZN7rocprim17ROCPRIM_400000_NS6detail17trampoline_kernelINS0_14default_configENS1_36segmented_radix_sort_config_selectorIflEEZNS1_25segmented_radix_sort_implIS3_Lb1EPKfPfPKlPlN2at6native12_GLOBAL__N_18offset_tEEE10hipError_tPvRmT1_PNSt15iterator_traitsISK_E10value_typeET2_T3_PNSL_ISQ_E10value_typeET4_jRbjT5_SW_jjP12ihipStream_tbEUlT_E2_NS1_11comp_targetILNS1_3genE4ELNS1_11target_archE910ELNS1_3gpuE8ELNS1_3repE0EEENS1_30default_config_static_selectorELNS0_4arch9wavefront6targetE0EEEvSK_.numbered_sgpr, 0
	.set _ZN7rocprim17ROCPRIM_400000_NS6detail17trampoline_kernelINS0_14default_configENS1_36segmented_radix_sort_config_selectorIflEEZNS1_25segmented_radix_sort_implIS3_Lb1EPKfPfPKlPlN2at6native12_GLOBAL__N_18offset_tEEE10hipError_tPvRmT1_PNSt15iterator_traitsISK_E10value_typeET2_T3_PNSL_ISQ_E10value_typeET4_jRbjT5_SW_jjP12ihipStream_tbEUlT_E2_NS1_11comp_targetILNS1_3genE4ELNS1_11target_archE910ELNS1_3gpuE8ELNS1_3repE0EEENS1_30default_config_static_selectorELNS0_4arch9wavefront6targetE0EEEvSK_.num_named_barrier, 0
	.set _ZN7rocprim17ROCPRIM_400000_NS6detail17trampoline_kernelINS0_14default_configENS1_36segmented_radix_sort_config_selectorIflEEZNS1_25segmented_radix_sort_implIS3_Lb1EPKfPfPKlPlN2at6native12_GLOBAL__N_18offset_tEEE10hipError_tPvRmT1_PNSt15iterator_traitsISK_E10value_typeET2_T3_PNSL_ISQ_E10value_typeET4_jRbjT5_SW_jjP12ihipStream_tbEUlT_E2_NS1_11comp_targetILNS1_3genE4ELNS1_11target_archE910ELNS1_3gpuE8ELNS1_3repE0EEENS1_30default_config_static_selectorELNS0_4arch9wavefront6targetE0EEEvSK_.private_seg_size, 0
	.set _ZN7rocprim17ROCPRIM_400000_NS6detail17trampoline_kernelINS0_14default_configENS1_36segmented_radix_sort_config_selectorIflEEZNS1_25segmented_radix_sort_implIS3_Lb1EPKfPfPKlPlN2at6native12_GLOBAL__N_18offset_tEEE10hipError_tPvRmT1_PNSt15iterator_traitsISK_E10value_typeET2_T3_PNSL_ISQ_E10value_typeET4_jRbjT5_SW_jjP12ihipStream_tbEUlT_E2_NS1_11comp_targetILNS1_3genE4ELNS1_11target_archE910ELNS1_3gpuE8ELNS1_3repE0EEENS1_30default_config_static_selectorELNS0_4arch9wavefront6targetE0EEEvSK_.uses_vcc, 0
	.set _ZN7rocprim17ROCPRIM_400000_NS6detail17trampoline_kernelINS0_14default_configENS1_36segmented_radix_sort_config_selectorIflEEZNS1_25segmented_radix_sort_implIS3_Lb1EPKfPfPKlPlN2at6native12_GLOBAL__N_18offset_tEEE10hipError_tPvRmT1_PNSt15iterator_traitsISK_E10value_typeET2_T3_PNSL_ISQ_E10value_typeET4_jRbjT5_SW_jjP12ihipStream_tbEUlT_E2_NS1_11comp_targetILNS1_3genE4ELNS1_11target_archE910ELNS1_3gpuE8ELNS1_3repE0EEENS1_30default_config_static_selectorELNS0_4arch9wavefront6targetE0EEEvSK_.uses_flat_scratch, 0
	.set _ZN7rocprim17ROCPRIM_400000_NS6detail17trampoline_kernelINS0_14default_configENS1_36segmented_radix_sort_config_selectorIflEEZNS1_25segmented_radix_sort_implIS3_Lb1EPKfPfPKlPlN2at6native12_GLOBAL__N_18offset_tEEE10hipError_tPvRmT1_PNSt15iterator_traitsISK_E10value_typeET2_T3_PNSL_ISQ_E10value_typeET4_jRbjT5_SW_jjP12ihipStream_tbEUlT_E2_NS1_11comp_targetILNS1_3genE4ELNS1_11target_archE910ELNS1_3gpuE8ELNS1_3repE0EEENS1_30default_config_static_selectorELNS0_4arch9wavefront6targetE0EEEvSK_.has_dyn_sized_stack, 0
	.set _ZN7rocprim17ROCPRIM_400000_NS6detail17trampoline_kernelINS0_14default_configENS1_36segmented_radix_sort_config_selectorIflEEZNS1_25segmented_radix_sort_implIS3_Lb1EPKfPfPKlPlN2at6native12_GLOBAL__N_18offset_tEEE10hipError_tPvRmT1_PNSt15iterator_traitsISK_E10value_typeET2_T3_PNSL_ISQ_E10value_typeET4_jRbjT5_SW_jjP12ihipStream_tbEUlT_E2_NS1_11comp_targetILNS1_3genE4ELNS1_11target_archE910ELNS1_3gpuE8ELNS1_3repE0EEENS1_30default_config_static_selectorELNS0_4arch9wavefront6targetE0EEEvSK_.has_recursion, 0
	.set _ZN7rocprim17ROCPRIM_400000_NS6detail17trampoline_kernelINS0_14default_configENS1_36segmented_radix_sort_config_selectorIflEEZNS1_25segmented_radix_sort_implIS3_Lb1EPKfPfPKlPlN2at6native12_GLOBAL__N_18offset_tEEE10hipError_tPvRmT1_PNSt15iterator_traitsISK_E10value_typeET2_T3_PNSL_ISQ_E10value_typeET4_jRbjT5_SW_jjP12ihipStream_tbEUlT_E2_NS1_11comp_targetILNS1_3genE4ELNS1_11target_archE910ELNS1_3gpuE8ELNS1_3repE0EEENS1_30default_config_static_selectorELNS0_4arch9wavefront6targetE0EEEvSK_.has_indirect_call, 0
	.section	.AMDGPU.csdata,"",@progbits
; Kernel info:
; codeLenInByte = 0
; TotalNumSgprs: 0
; NumVgprs: 0
; ScratchSize: 0
; MemoryBound: 0
; FloatMode: 240
; IeeeMode: 1
; LDSByteSize: 0 bytes/workgroup (compile time only)
; SGPRBlocks: 0
; VGPRBlocks: 0
; NumSGPRsForWavesPerEU: 1
; NumVGPRsForWavesPerEU: 1
; NamedBarCnt: 0
; Occupancy: 16
; WaveLimiterHint : 0
; COMPUTE_PGM_RSRC2:SCRATCH_EN: 0
; COMPUTE_PGM_RSRC2:USER_SGPR: 2
; COMPUTE_PGM_RSRC2:TRAP_HANDLER: 0
; COMPUTE_PGM_RSRC2:TGID_X_EN: 1
; COMPUTE_PGM_RSRC2:TGID_Y_EN: 0
; COMPUTE_PGM_RSRC2:TGID_Z_EN: 0
; COMPUTE_PGM_RSRC2:TIDIG_COMP_CNT: 0
	.section	.text._ZN7rocprim17ROCPRIM_400000_NS6detail17trampoline_kernelINS0_14default_configENS1_36segmented_radix_sort_config_selectorIflEEZNS1_25segmented_radix_sort_implIS3_Lb1EPKfPfPKlPlN2at6native12_GLOBAL__N_18offset_tEEE10hipError_tPvRmT1_PNSt15iterator_traitsISK_E10value_typeET2_T3_PNSL_ISQ_E10value_typeET4_jRbjT5_SW_jjP12ihipStream_tbEUlT_E2_NS1_11comp_targetILNS1_3genE3ELNS1_11target_archE908ELNS1_3gpuE7ELNS1_3repE0EEENS1_30default_config_static_selectorELNS0_4arch9wavefront6targetE0EEEvSK_,"axG",@progbits,_ZN7rocprim17ROCPRIM_400000_NS6detail17trampoline_kernelINS0_14default_configENS1_36segmented_radix_sort_config_selectorIflEEZNS1_25segmented_radix_sort_implIS3_Lb1EPKfPfPKlPlN2at6native12_GLOBAL__N_18offset_tEEE10hipError_tPvRmT1_PNSt15iterator_traitsISK_E10value_typeET2_T3_PNSL_ISQ_E10value_typeET4_jRbjT5_SW_jjP12ihipStream_tbEUlT_E2_NS1_11comp_targetILNS1_3genE3ELNS1_11target_archE908ELNS1_3gpuE7ELNS1_3repE0EEENS1_30default_config_static_selectorELNS0_4arch9wavefront6targetE0EEEvSK_,comdat
	.globl	_ZN7rocprim17ROCPRIM_400000_NS6detail17trampoline_kernelINS0_14default_configENS1_36segmented_radix_sort_config_selectorIflEEZNS1_25segmented_radix_sort_implIS3_Lb1EPKfPfPKlPlN2at6native12_GLOBAL__N_18offset_tEEE10hipError_tPvRmT1_PNSt15iterator_traitsISK_E10value_typeET2_T3_PNSL_ISQ_E10value_typeET4_jRbjT5_SW_jjP12ihipStream_tbEUlT_E2_NS1_11comp_targetILNS1_3genE3ELNS1_11target_archE908ELNS1_3gpuE7ELNS1_3repE0EEENS1_30default_config_static_selectorELNS0_4arch9wavefront6targetE0EEEvSK_ ; -- Begin function _ZN7rocprim17ROCPRIM_400000_NS6detail17trampoline_kernelINS0_14default_configENS1_36segmented_radix_sort_config_selectorIflEEZNS1_25segmented_radix_sort_implIS3_Lb1EPKfPfPKlPlN2at6native12_GLOBAL__N_18offset_tEEE10hipError_tPvRmT1_PNSt15iterator_traitsISK_E10value_typeET2_T3_PNSL_ISQ_E10value_typeET4_jRbjT5_SW_jjP12ihipStream_tbEUlT_E2_NS1_11comp_targetILNS1_3genE3ELNS1_11target_archE908ELNS1_3gpuE7ELNS1_3repE0EEENS1_30default_config_static_selectorELNS0_4arch9wavefront6targetE0EEEvSK_
	.p2align	8
	.type	_ZN7rocprim17ROCPRIM_400000_NS6detail17trampoline_kernelINS0_14default_configENS1_36segmented_radix_sort_config_selectorIflEEZNS1_25segmented_radix_sort_implIS3_Lb1EPKfPfPKlPlN2at6native12_GLOBAL__N_18offset_tEEE10hipError_tPvRmT1_PNSt15iterator_traitsISK_E10value_typeET2_T3_PNSL_ISQ_E10value_typeET4_jRbjT5_SW_jjP12ihipStream_tbEUlT_E2_NS1_11comp_targetILNS1_3genE3ELNS1_11target_archE908ELNS1_3gpuE7ELNS1_3repE0EEENS1_30default_config_static_selectorELNS0_4arch9wavefront6targetE0EEEvSK_,@function
_ZN7rocprim17ROCPRIM_400000_NS6detail17trampoline_kernelINS0_14default_configENS1_36segmented_radix_sort_config_selectorIflEEZNS1_25segmented_radix_sort_implIS3_Lb1EPKfPfPKlPlN2at6native12_GLOBAL__N_18offset_tEEE10hipError_tPvRmT1_PNSt15iterator_traitsISK_E10value_typeET2_T3_PNSL_ISQ_E10value_typeET4_jRbjT5_SW_jjP12ihipStream_tbEUlT_E2_NS1_11comp_targetILNS1_3genE3ELNS1_11target_archE908ELNS1_3gpuE7ELNS1_3repE0EEENS1_30default_config_static_selectorELNS0_4arch9wavefront6targetE0EEEvSK_: ; @_ZN7rocprim17ROCPRIM_400000_NS6detail17trampoline_kernelINS0_14default_configENS1_36segmented_radix_sort_config_selectorIflEEZNS1_25segmented_radix_sort_implIS3_Lb1EPKfPfPKlPlN2at6native12_GLOBAL__N_18offset_tEEE10hipError_tPvRmT1_PNSt15iterator_traitsISK_E10value_typeET2_T3_PNSL_ISQ_E10value_typeET4_jRbjT5_SW_jjP12ihipStream_tbEUlT_E2_NS1_11comp_targetILNS1_3genE3ELNS1_11target_archE908ELNS1_3gpuE7ELNS1_3repE0EEENS1_30default_config_static_selectorELNS0_4arch9wavefront6targetE0EEEvSK_
; %bb.0:
	.section	.rodata,"a",@progbits
	.p2align	6, 0x0
	.amdhsa_kernel _ZN7rocprim17ROCPRIM_400000_NS6detail17trampoline_kernelINS0_14default_configENS1_36segmented_radix_sort_config_selectorIflEEZNS1_25segmented_radix_sort_implIS3_Lb1EPKfPfPKlPlN2at6native12_GLOBAL__N_18offset_tEEE10hipError_tPvRmT1_PNSt15iterator_traitsISK_E10value_typeET2_T3_PNSL_ISQ_E10value_typeET4_jRbjT5_SW_jjP12ihipStream_tbEUlT_E2_NS1_11comp_targetILNS1_3genE3ELNS1_11target_archE908ELNS1_3gpuE7ELNS1_3repE0EEENS1_30default_config_static_selectorELNS0_4arch9wavefront6targetE0EEEvSK_
		.amdhsa_group_segment_fixed_size 0
		.amdhsa_private_segment_fixed_size 0
		.amdhsa_kernarg_size 80
		.amdhsa_user_sgpr_count 2
		.amdhsa_user_sgpr_dispatch_ptr 0
		.amdhsa_user_sgpr_queue_ptr 0
		.amdhsa_user_sgpr_kernarg_segment_ptr 1
		.amdhsa_user_sgpr_dispatch_id 0
		.amdhsa_user_sgpr_kernarg_preload_length 0
		.amdhsa_user_sgpr_kernarg_preload_offset 0
		.amdhsa_user_sgpr_private_segment_size 0
		.amdhsa_wavefront_size32 1
		.amdhsa_uses_dynamic_stack 0
		.amdhsa_enable_private_segment 0
		.amdhsa_system_sgpr_workgroup_id_x 1
		.amdhsa_system_sgpr_workgroup_id_y 0
		.amdhsa_system_sgpr_workgroup_id_z 0
		.amdhsa_system_sgpr_workgroup_info 0
		.amdhsa_system_vgpr_workitem_id 0
		.amdhsa_next_free_vgpr 1
		.amdhsa_next_free_sgpr 1
		.amdhsa_named_barrier_count 0
		.amdhsa_reserve_vcc 0
		.amdhsa_float_round_mode_32 0
		.amdhsa_float_round_mode_16_64 0
		.amdhsa_float_denorm_mode_32 3
		.amdhsa_float_denorm_mode_16_64 3
		.amdhsa_fp16_overflow 0
		.amdhsa_memory_ordered 1
		.amdhsa_forward_progress 1
		.amdhsa_inst_pref_size 0
		.amdhsa_round_robin_scheduling 0
		.amdhsa_exception_fp_ieee_invalid_op 0
		.amdhsa_exception_fp_denorm_src 0
		.amdhsa_exception_fp_ieee_div_zero 0
		.amdhsa_exception_fp_ieee_overflow 0
		.amdhsa_exception_fp_ieee_underflow 0
		.amdhsa_exception_fp_ieee_inexact 0
		.amdhsa_exception_int_div_zero 0
	.end_amdhsa_kernel
	.section	.text._ZN7rocprim17ROCPRIM_400000_NS6detail17trampoline_kernelINS0_14default_configENS1_36segmented_radix_sort_config_selectorIflEEZNS1_25segmented_radix_sort_implIS3_Lb1EPKfPfPKlPlN2at6native12_GLOBAL__N_18offset_tEEE10hipError_tPvRmT1_PNSt15iterator_traitsISK_E10value_typeET2_T3_PNSL_ISQ_E10value_typeET4_jRbjT5_SW_jjP12ihipStream_tbEUlT_E2_NS1_11comp_targetILNS1_3genE3ELNS1_11target_archE908ELNS1_3gpuE7ELNS1_3repE0EEENS1_30default_config_static_selectorELNS0_4arch9wavefront6targetE0EEEvSK_,"axG",@progbits,_ZN7rocprim17ROCPRIM_400000_NS6detail17trampoline_kernelINS0_14default_configENS1_36segmented_radix_sort_config_selectorIflEEZNS1_25segmented_radix_sort_implIS3_Lb1EPKfPfPKlPlN2at6native12_GLOBAL__N_18offset_tEEE10hipError_tPvRmT1_PNSt15iterator_traitsISK_E10value_typeET2_T3_PNSL_ISQ_E10value_typeET4_jRbjT5_SW_jjP12ihipStream_tbEUlT_E2_NS1_11comp_targetILNS1_3genE3ELNS1_11target_archE908ELNS1_3gpuE7ELNS1_3repE0EEENS1_30default_config_static_selectorELNS0_4arch9wavefront6targetE0EEEvSK_,comdat
.Lfunc_end1351:
	.size	_ZN7rocprim17ROCPRIM_400000_NS6detail17trampoline_kernelINS0_14default_configENS1_36segmented_radix_sort_config_selectorIflEEZNS1_25segmented_radix_sort_implIS3_Lb1EPKfPfPKlPlN2at6native12_GLOBAL__N_18offset_tEEE10hipError_tPvRmT1_PNSt15iterator_traitsISK_E10value_typeET2_T3_PNSL_ISQ_E10value_typeET4_jRbjT5_SW_jjP12ihipStream_tbEUlT_E2_NS1_11comp_targetILNS1_3genE3ELNS1_11target_archE908ELNS1_3gpuE7ELNS1_3repE0EEENS1_30default_config_static_selectorELNS0_4arch9wavefront6targetE0EEEvSK_, .Lfunc_end1351-_ZN7rocprim17ROCPRIM_400000_NS6detail17trampoline_kernelINS0_14default_configENS1_36segmented_radix_sort_config_selectorIflEEZNS1_25segmented_radix_sort_implIS3_Lb1EPKfPfPKlPlN2at6native12_GLOBAL__N_18offset_tEEE10hipError_tPvRmT1_PNSt15iterator_traitsISK_E10value_typeET2_T3_PNSL_ISQ_E10value_typeET4_jRbjT5_SW_jjP12ihipStream_tbEUlT_E2_NS1_11comp_targetILNS1_3genE3ELNS1_11target_archE908ELNS1_3gpuE7ELNS1_3repE0EEENS1_30default_config_static_selectorELNS0_4arch9wavefront6targetE0EEEvSK_
                                        ; -- End function
	.set _ZN7rocprim17ROCPRIM_400000_NS6detail17trampoline_kernelINS0_14default_configENS1_36segmented_radix_sort_config_selectorIflEEZNS1_25segmented_radix_sort_implIS3_Lb1EPKfPfPKlPlN2at6native12_GLOBAL__N_18offset_tEEE10hipError_tPvRmT1_PNSt15iterator_traitsISK_E10value_typeET2_T3_PNSL_ISQ_E10value_typeET4_jRbjT5_SW_jjP12ihipStream_tbEUlT_E2_NS1_11comp_targetILNS1_3genE3ELNS1_11target_archE908ELNS1_3gpuE7ELNS1_3repE0EEENS1_30default_config_static_selectorELNS0_4arch9wavefront6targetE0EEEvSK_.num_vgpr, 0
	.set _ZN7rocprim17ROCPRIM_400000_NS6detail17trampoline_kernelINS0_14default_configENS1_36segmented_radix_sort_config_selectorIflEEZNS1_25segmented_radix_sort_implIS3_Lb1EPKfPfPKlPlN2at6native12_GLOBAL__N_18offset_tEEE10hipError_tPvRmT1_PNSt15iterator_traitsISK_E10value_typeET2_T3_PNSL_ISQ_E10value_typeET4_jRbjT5_SW_jjP12ihipStream_tbEUlT_E2_NS1_11comp_targetILNS1_3genE3ELNS1_11target_archE908ELNS1_3gpuE7ELNS1_3repE0EEENS1_30default_config_static_selectorELNS0_4arch9wavefront6targetE0EEEvSK_.num_agpr, 0
	.set _ZN7rocprim17ROCPRIM_400000_NS6detail17trampoline_kernelINS0_14default_configENS1_36segmented_radix_sort_config_selectorIflEEZNS1_25segmented_radix_sort_implIS3_Lb1EPKfPfPKlPlN2at6native12_GLOBAL__N_18offset_tEEE10hipError_tPvRmT1_PNSt15iterator_traitsISK_E10value_typeET2_T3_PNSL_ISQ_E10value_typeET4_jRbjT5_SW_jjP12ihipStream_tbEUlT_E2_NS1_11comp_targetILNS1_3genE3ELNS1_11target_archE908ELNS1_3gpuE7ELNS1_3repE0EEENS1_30default_config_static_selectorELNS0_4arch9wavefront6targetE0EEEvSK_.numbered_sgpr, 0
	.set _ZN7rocprim17ROCPRIM_400000_NS6detail17trampoline_kernelINS0_14default_configENS1_36segmented_radix_sort_config_selectorIflEEZNS1_25segmented_radix_sort_implIS3_Lb1EPKfPfPKlPlN2at6native12_GLOBAL__N_18offset_tEEE10hipError_tPvRmT1_PNSt15iterator_traitsISK_E10value_typeET2_T3_PNSL_ISQ_E10value_typeET4_jRbjT5_SW_jjP12ihipStream_tbEUlT_E2_NS1_11comp_targetILNS1_3genE3ELNS1_11target_archE908ELNS1_3gpuE7ELNS1_3repE0EEENS1_30default_config_static_selectorELNS0_4arch9wavefront6targetE0EEEvSK_.num_named_barrier, 0
	.set _ZN7rocprim17ROCPRIM_400000_NS6detail17trampoline_kernelINS0_14default_configENS1_36segmented_radix_sort_config_selectorIflEEZNS1_25segmented_radix_sort_implIS3_Lb1EPKfPfPKlPlN2at6native12_GLOBAL__N_18offset_tEEE10hipError_tPvRmT1_PNSt15iterator_traitsISK_E10value_typeET2_T3_PNSL_ISQ_E10value_typeET4_jRbjT5_SW_jjP12ihipStream_tbEUlT_E2_NS1_11comp_targetILNS1_3genE3ELNS1_11target_archE908ELNS1_3gpuE7ELNS1_3repE0EEENS1_30default_config_static_selectorELNS0_4arch9wavefront6targetE0EEEvSK_.private_seg_size, 0
	.set _ZN7rocprim17ROCPRIM_400000_NS6detail17trampoline_kernelINS0_14default_configENS1_36segmented_radix_sort_config_selectorIflEEZNS1_25segmented_radix_sort_implIS3_Lb1EPKfPfPKlPlN2at6native12_GLOBAL__N_18offset_tEEE10hipError_tPvRmT1_PNSt15iterator_traitsISK_E10value_typeET2_T3_PNSL_ISQ_E10value_typeET4_jRbjT5_SW_jjP12ihipStream_tbEUlT_E2_NS1_11comp_targetILNS1_3genE3ELNS1_11target_archE908ELNS1_3gpuE7ELNS1_3repE0EEENS1_30default_config_static_selectorELNS0_4arch9wavefront6targetE0EEEvSK_.uses_vcc, 0
	.set _ZN7rocprim17ROCPRIM_400000_NS6detail17trampoline_kernelINS0_14default_configENS1_36segmented_radix_sort_config_selectorIflEEZNS1_25segmented_radix_sort_implIS3_Lb1EPKfPfPKlPlN2at6native12_GLOBAL__N_18offset_tEEE10hipError_tPvRmT1_PNSt15iterator_traitsISK_E10value_typeET2_T3_PNSL_ISQ_E10value_typeET4_jRbjT5_SW_jjP12ihipStream_tbEUlT_E2_NS1_11comp_targetILNS1_3genE3ELNS1_11target_archE908ELNS1_3gpuE7ELNS1_3repE0EEENS1_30default_config_static_selectorELNS0_4arch9wavefront6targetE0EEEvSK_.uses_flat_scratch, 0
	.set _ZN7rocprim17ROCPRIM_400000_NS6detail17trampoline_kernelINS0_14default_configENS1_36segmented_radix_sort_config_selectorIflEEZNS1_25segmented_radix_sort_implIS3_Lb1EPKfPfPKlPlN2at6native12_GLOBAL__N_18offset_tEEE10hipError_tPvRmT1_PNSt15iterator_traitsISK_E10value_typeET2_T3_PNSL_ISQ_E10value_typeET4_jRbjT5_SW_jjP12ihipStream_tbEUlT_E2_NS1_11comp_targetILNS1_3genE3ELNS1_11target_archE908ELNS1_3gpuE7ELNS1_3repE0EEENS1_30default_config_static_selectorELNS0_4arch9wavefront6targetE0EEEvSK_.has_dyn_sized_stack, 0
	.set _ZN7rocprim17ROCPRIM_400000_NS6detail17trampoline_kernelINS0_14default_configENS1_36segmented_radix_sort_config_selectorIflEEZNS1_25segmented_radix_sort_implIS3_Lb1EPKfPfPKlPlN2at6native12_GLOBAL__N_18offset_tEEE10hipError_tPvRmT1_PNSt15iterator_traitsISK_E10value_typeET2_T3_PNSL_ISQ_E10value_typeET4_jRbjT5_SW_jjP12ihipStream_tbEUlT_E2_NS1_11comp_targetILNS1_3genE3ELNS1_11target_archE908ELNS1_3gpuE7ELNS1_3repE0EEENS1_30default_config_static_selectorELNS0_4arch9wavefront6targetE0EEEvSK_.has_recursion, 0
	.set _ZN7rocprim17ROCPRIM_400000_NS6detail17trampoline_kernelINS0_14default_configENS1_36segmented_radix_sort_config_selectorIflEEZNS1_25segmented_radix_sort_implIS3_Lb1EPKfPfPKlPlN2at6native12_GLOBAL__N_18offset_tEEE10hipError_tPvRmT1_PNSt15iterator_traitsISK_E10value_typeET2_T3_PNSL_ISQ_E10value_typeET4_jRbjT5_SW_jjP12ihipStream_tbEUlT_E2_NS1_11comp_targetILNS1_3genE3ELNS1_11target_archE908ELNS1_3gpuE7ELNS1_3repE0EEENS1_30default_config_static_selectorELNS0_4arch9wavefront6targetE0EEEvSK_.has_indirect_call, 0
	.section	.AMDGPU.csdata,"",@progbits
; Kernel info:
; codeLenInByte = 0
; TotalNumSgprs: 0
; NumVgprs: 0
; ScratchSize: 0
; MemoryBound: 0
; FloatMode: 240
; IeeeMode: 1
; LDSByteSize: 0 bytes/workgroup (compile time only)
; SGPRBlocks: 0
; VGPRBlocks: 0
; NumSGPRsForWavesPerEU: 1
; NumVGPRsForWavesPerEU: 1
; NamedBarCnt: 0
; Occupancy: 16
; WaveLimiterHint : 0
; COMPUTE_PGM_RSRC2:SCRATCH_EN: 0
; COMPUTE_PGM_RSRC2:USER_SGPR: 2
; COMPUTE_PGM_RSRC2:TRAP_HANDLER: 0
; COMPUTE_PGM_RSRC2:TGID_X_EN: 1
; COMPUTE_PGM_RSRC2:TGID_Y_EN: 0
; COMPUTE_PGM_RSRC2:TGID_Z_EN: 0
; COMPUTE_PGM_RSRC2:TIDIG_COMP_CNT: 0
	.section	.text._ZN7rocprim17ROCPRIM_400000_NS6detail17trampoline_kernelINS0_14default_configENS1_36segmented_radix_sort_config_selectorIflEEZNS1_25segmented_radix_sort_implIS3_Lb1EPKfPfPKlPlN2at6native12_GLOBAL__N_18offset_tEEE10hipError_tPvRmT1_PNSt15iterator_traitsISK_E10value_typeET2_T3_PNSL_ISQ_E10value_typeET4_jRbjT5_SW_jjP12ihipStream_tbEUlT_E2_NS1_11comp_targetILNS1_3genE2ELNS1_11target_archE906ELNS1_3gpuE6ELNS1_3repE0EEENS1_30default_config_static_selectorELNS0_4arch9wavefront6targetE0EEEvSK_,"axG",@progbits,_ZN7rocprim17ROCPRIM_400000_NS6detail17trampoline_kernelINS0_14default_configENS1_36segmented_radix_sort_config_selectorIflEEZNS1_25segmented_radix_sort_implIS3_Lb1EPKfPfPKlPlN2at6native12_GLOBAL__N_18offset_tEEE10hipError_tPvRmT1_PNSt15iterator_traitsISK_E10value_typeET2_T3_PNSL_ISQ_E10value_typeET4_jRbjT5_SW_jjP12ihipStream_tbEUlT_E2_NS1_11comp_targetILNS1_3genE2ELNS1_11target_archE906ELNS1_3gpuE6ELNS1_3repE0EEENS1_30default_config_static_selectorELNS0_4arch9wavefront6targetE0EEEvSK_,comdat
	.globl	_ZN7rocprim17ROCPRIM_400000_NS6detail17trampoline_kernelINS0_14default_configENS1_36segmented_radix_sort_config_selectorIflEEZNS1_25segmented_radix_sort_implIS3_Lb1EPKfPfPKlPlN2at6native12_GLOBAL__N_18offset_tEEE10hipError_tPvRmT1_PNSt15iterator_traitsISK_E10value_typeET2_T3_PNSL_ISQ_E10value_typeET4_jRbjT5_SW_jjP12ihipStream_tbEUlT_E2_NS1_11comp_targetILNS1_3genE2ELNS1_11target_archE906ELNS1_3gpuE6ELNS1_3repE0EEENS1_30default_config_static_selectorELNS0_4arch9wavefront6targetE0EEEvSK_ ; -- Begin function _ZN7rocprim17ROCPRIM_400000_NS6detail17trampoline_kernelINS0_14default_configENS1_36segmented_radix_sort_config_selectorIflEEZNS1_25segmented_radix_sort_implIS3_Lb1EPKfPfPKlPlN2at6native12_GLOBAL__N_18offset_tEEE10hipError_tPvRmT1_PNSt15iterator_traitsISK_E10value_typeET2_T3_PNSL_ISQ_E10value_typeET4_jRbjT5_SW_jjP12ihipStream_tbEUlT_E2_NS1_11comp_targetILNS1_3genE2ELNS1_11target_archE906ELNS1_3gpuE6ELNS1_3repE0EEENS1_30default_config_static_selectorELNS0_4arch9wavefront6targetE0EEEvSK_
	.p2align	8
	.type	_ZN7rocprim17ROCPRIM_400000_NS6detail17trampoline_kernelINS0_14default_configENS1_36segmented_radix_sort_config_selectorIflEEZNS1_25segmented_radix_sort_implIS3_Lb1EPKfPfPKlPlN2at6native12_GLOBAL__N_18offset_tEEE10hipError_tPvRmT1_PNSt15iterator_traitsISK_E10value_typeET2_T3_PNSL_ISQ_E10value_typeET4_jRbjT5_SW_jjP12ihipStream_tbEUlT_E2_NS1_11comp_targetILNS1_3genE2ELNS1_11target_archE906ELNS1_3gpuE6ELNS1_3repE0EEENS1_30default_config_static_selectorELNS0_4arch9wavefront6targetE0EEEvSK_,@function
_ZN7rocprim17ROCPRIM_400000_NS6detail17trampoline_kernelINS0_14default_configENS1_36segmented_radix_sort_config_selectorIflEEZNS1_25segmented_radix_sort_implIS3_Lb1EPKfPfPKlPlN2at6native12_GLOBAL__N_18offset_tEEE10hipError_tPvRmT1_PNSt15iterator_traitsISK_E10value_typeET2_T3_PNSL_ISQ_E10value_typeET4_jRbjT5_SW_jjP12ihipStream_tbEUlT_E2_NS1_11comp_targetILNS1_3genE2ELNS1_11target_archE906ELNS1_3gpuE6ELNS1_3repE0EEENS1_30default_config_static_selectorELNS0_4arch9wavefront6targetE0EEEvSK_: ; @_ZN7rocprim17ROCPRIM_400000_NS6detail17trampoline_kernelINS0_14default_configENS1_36segmented_radix_sort_config_selectorIflEEZNS1_25segmented_radix_sort_implIS3_Lb1EPKfPfPKlPlN2at6native12_GLOBAL__N_18offset_tEEE10hipError_tPvRmT1_PNSt15iterator_traitsISK_E10value_typeET2_T3_PNSL_ISQ_E10value_typeET4_jRbjT5_SW_jjP12ihipStream_tbEUlT_E2_NS1_11comp_targetILNS1_3genE2ELNS1_11target_archE906ELNS1_3gpuE6ELNS1_3repE0EEENS1_30default_config_static_selectorELNS0_4arch9wavefront6targetE0EEEvSK_
; %bb.0:
	.section	.rodata,"a",@progbits
	.p2align	6, 0x0
	.amdhsa_kernel _ZN7rocprim17ROCPRIM_400000_NS6detail17trampoline_kernelINS0_14default_configENS1_36segmented_radix_sort_config_selectorIflEEZNS1_25segmented_radix_sort_implIS3_Lb1EPKfPfPKlPlN2at6native12_GLOBAL__N_18offset_tEEE10hipError_tPvRmT1_PNSt15iterator_traitsISK_E10value_typeET2_T3_PNSL_ISQ_E10value_typeET4_jRbjT5_SW_jjP12ihipStream_tbEUlT_E2_NS1_11comp_targetILNS1_3genE2ELNS1_11target_archE906ELNS1_3gpuE6ELNS1_3repE0EEENS1_30default_config_static_selectorELNS0_4arch9wavefront6targetE0EEEvSK_
		.amdhsa_group_segment_fixed_size 0
		.amdhsa_private_segment_fixed_size 0
		.amdhsa_kernarg_size 80
		.amdhsa_user_sgpr_count 2
		.amdhsa_user_sgpr_dispatch_ptr 0
		.amdhsa_user_sgpr_queue_ptr 0
		.amdhsa_user_sgpr_kernarg_segment_ptr 1
		.amdhsa_user_sgpr_dispatch_id 0
		.amdhsa_user_sgpr_kernarg_preload_length 0
		.amdhsa_user_sgpr_kernarg_preload_offset 0
		.amdhsa_user_sgpr_private_segment_size 0
		.amdhsa_wavefront_size32 1
		.amdhsa_uses_dynamic_stack 0
		.amdhsa_enable_private_segment 0
		.amdhsa_system_sgpr_workgroup_id_x 1
		.amdhsa_system_sgpr_workgroup_id_y 0
		.amdhsa_system_sgpr_workgroup_id_z 0
		.amdhsa_system_sgpr_workgroup_info 0
		.amdhsa_system_vgpr_workitem_id 0
		.amdhsa_next_free_vgpr 1
		.amdhsa_next_free_sgpr 1
		.amdhsa_named_barrier_count 0
		.amdhsa_reserve_vcc 0
		.amdhsa_float_round_mode_32 0
		.amdhsa_float_round_mode_16_64 0
		.amdhsa_float_denorm_mode_32 3
		.amdhsa_float_denorm_mode_16_64 3
		.amdhsa_fp16_overflow 0
		.amdhsa_memory_ordered 1
		.amdhsa_forward_progress 1
		.amdhsa_inst_pref_size 0
		.amdhsa_round_robin_scheduling 0
		.amdhsa_exception_fp_ieee_invalid_op 0
		.amdhsa_exception_fp_denorm_src 0
		.amdhsa_exception_fp_ieee_div_zero 0
		.amdhsa_exception_fp_ieee_overflow 0
		.amdhsa_exception_fp_ieee_underflow 0
		.amdhsa_exception_fp_ieee_inexact 0
		.amdhsa_exception_int_div_zero 0
	.end_amdhsa_kernel
	.section	.text._ZN7rocprim17ROCPRIM_400000_NS6detail17trampoline_kernelINS0_14default_configENS1_36segmented_radix_sort_config_selectorIflEEZNS1_25segmented_radix_sort_implIS3_Lb1EPKfPfPKlPlN2at6native12_GLOBAL__N_18offset_tEEE10hipError_tPvRmT1_PNSt15iterator_traitsISK_E10value_typeET2_T3_PNSL_ISQ_E10value_typeET4_jRbjT5_SW_jjP12ihipStream_tbEUlT_E2_NS1_11comp_targetILNS1_3genE2ELNS1_11target_archE906ELNS1_3gpuE6ELNS1_3repE0EEENS1_30default_config_static_selectorELNS0_4arch9wavefront6targetE0EEEvSK_,"axG",@progbits,_ZN7rocprim17ROCPRIM_400000_NS6detail17trampoline_kernelINS0_14default_configENS1_36segmented_radix_sort_config_selectorIflEEZNS1_25segmented_radix_sort_implIS3_Lb1EPKfPfPKlPlN2at6native12_GLOBAL__N_18offset_tEEE10hipError_tPvRmT1_PNSt15iterator_traitsISK_E10value_typeET2_T3_PNSL_ISQ_E10value_typeET4_jRbjT5_SW_jjP12ihipStream_tbEUlT_E2_NS1_11comp_targetILNS1_3genE2ELNS1_11target_archE906ELNS1_3gpuE6ELNS1_3repE0EEENS1_30default_config_static_selectorELNS0_4arch9wavefront6targetE0EEEvSK_,comdat
.Lfunc_end1352:
	.size	_ZN7rocprim17ROCPRIM_400000_NS6detail17trampoline_kernelINS0_14default_configENS1_36segmented_radix_sort_config_selectorIflEEZNS1_25segmented_radix_sort_implIS3_Lb1EPKfPfPKlPlN2at6native12_GLOBAL__N_18offset_tEEE10hipError_tPvRmT1_PNSt15iterator_traitsISK_E10value_typeET2_T3_PNSL_ISQ_E10value_typeET4_jRbjT5_SW_jjP12ihipStream_tbEUlT_E2_NS1_11comp_targetILNS1_3genE2ELNS1_11target_archE906ELNS1_3gpuE6ELNS1_3repE0EEENS1_30default_config_static_selectorELNS0_4arch9wavefront6targetE0EEEvSK_, .Lfunc_end1352-_ZN7rocprim17ROCPRIM_400000_NS6detail17trampoline_kernelINS0_14default_configENS1_36segmented_radix_sort_config_selectorIflEEZNS1_25segmented_radix_sort_implIS3_Lb1EPKfPfPKlPlN2at6native12_GLOBAL__N_18offset_tEEE10hipError_tPvRmT1_PNSt15iterator_traitsISK_E10value_typeET2_T3_PNSL_ISQ_E10value_typeET4_jRbjT5_SW_jjP12ihipStream_tbEUlT_E2_NS1_11comp_targetILNS1_3genE2ELNS1_11target_archE906ELNS1_3gpuE6ELNS1_3repE0EEENS1_30default_config_static_selectorELNS0_4arch9wavefront6targetE0EEEvSK_
                                        ; -- End function
	.set _ZN7rocprim17ROCPRIM_400000_NS6detail17trampoline_kernelINS0_14default_configENS1_36segmented_radix_sort_config_selectorIflEEZNS1_25segmented_radix_sort_implIS3_Lb1EPKfPfPKlPlN2at6native12_GLOBAL__N_18offset_tEEE10hipError_tPvRmT1_PNSt15iterator_traitsISK_E10value_typeET2_T3_PNSL_ISQ_E10value_typeET4_jRbjT5_SW_jjP12ihipStream_tbEUlT_E2_NS1_11comp_targetILNS1_3genE2ELNS1_11target_archE906ELNS1_3gpuE6ELNS1_3repE0EEENS1_30default_config_static_selectorELNS0_4arch9wavefront6targetE0EEEvSK_.num_vgpr, 0
	.set _ZN7rocprim17ROCPRIM_400000_NS6detail17trampoline_kernelINS0_14default_configENS1_36segmented_radix_sort_config_selectorIflEEZNS1_25segmented_radix_sort_implIS3_Lb1EPKfPfPKlPlN2at6native12_GLOBAL__N_18offset_tEEE10hipError_tPvRmT1_PNSt15iterator_traitsISK_E10value_typeET2_T3_PNSL_ISQ_E10value_typeET4_jRbjT5_SW_jjP12ihipStream_tbEUlT_E2_NS1_11comp_targetILNS1_3genE2ELNS1_11target_archE906ELNS1_3gpuE6ELNS1_3repE0EEENS1_30default_config_static_selectorELNS0_4arch9wavefront6targetE0EEEvSK_.num_agpr, 0
	.set _ZN7rocprim17ROCPRIM_400000_NS6detail17trampoline_kernelINS0_14default_configENS1_36segmented_radix_sort_config_selectorIflEEZNS1_25segmented_radix_sort_implIS3_Lb1EPKfPfPKlPlN2at6native12_GLOBAL__N_18offset_tEEE10hipError_tPvRmT1_PNSt15iterator_traitsISK_E10value_typeET2_T3_PNSL_ISQ_E10value_typeET4_jRbjT5_SW_jjP12ihipStream_tbEUlT_E2_NS1_11comp_targetILNS1_3genE2ELNS1_11target_archE906ELNS1_3gpuE6ELNS1_3repE0EEENS1_30default_config_static_selectorELNS0_4arch9wavefront6targetE0EEEvSK_.numbered_sgpr, 0
	.set _ZN7rocprim17ROCPRIM_400000_NS6detail17trampoline_kernelINS0_14default_configENS1_36segmented_radix_sort_config_selectorIflEEZNS1_25segmented_radix_sort_implIS3_Lb1EPKfPfPKlPlN2at6native12_GLOBAL__N_18offset_tEEE10hipError_tPvRmT1_PNSt15iterator_traitsISK_E10value_typeET2_T3_PNSL_ISQ_E10value_typeET4_jRbjT5_SW_jjP12ihipStream_tbEUlT_E2_NS1_11comp_targetILNS1_3genE2ELNS1_11target_archE906ELNS1_3gpuE6ELNS1_3repE0EEENS1_30default_config_static_selectorELNS0_4arch9wavefront6targetE0EEEvSK_.num_named_barrier, 0
	.set _ZN7rocprim17ROCPRIM_400000_NS6detail17trampoline_kernelINS0_14default_configENS1_36segmented_radix_sort_config_selectorIflEEZNS1_25segmented_radix_sort_implIS3_Lb1EPKfPfPKlPlN2at6native12_GLOBAL__N_18offset_tEEE10hipError_tPvRmT1_PNSt15iterator_traitsISK_E10value_typeET2_T3_PNSL_ISQ_E10value_typeET4_jRbjT5_SW_jjP12ihipStream_tbEUlT_E2_NS1_11comp_targetILNS1_3genE2ELNS1_11target_archE906ELNS1_3gpuE6ELNS1_3repE0EEENS1_30default_config_static_selectorELNS0_4arch9wavefront6targetE0EEEvSK_.private_seg_size, 0
	.set _ZN7rocprim17ROCPRIM_400000_NS6detail17trampoline_kernelINS0_14default_configENS1_36segmented_radix_sort_config_selectorIflEEZNS1_25segmented_radix_sort_implIS3_Lb1EPKfPfPKlPlN2at6native12_GLOBAL__N_18offset_tEEE10hipError_tPvRmT1_PNSt15iterator_traitsISK_E10value_typeET2_T3_PNSL_ISQ_E10value_typeET4_jRbjT5_SW_jjP12ihipStream_tbEUlT_E2_NS1_11comp_targetILNS1_3genE2ELNS1_11target_archE906ELNS1_3gpuE6ELNS1_3repE0EEENS1_30default_config_static_selectorELNS0_4arch9wavefront6targetE0EEEvSK_.uses_vcc, 0
	.set _ZN7rocprim17ROCPRIM_400000_NS6detail17trampoline_kernelINS0_14default_configENS1_36segmented_radix_sort_config_selectorIflEEZNS1_25segmented_radix_sort_implIS3_Lb1EPKfPfPKlPlN2at6native12_GLOBAL__N_18offset_tEEE10hipError_tPvRmT1_PNSt15iterator_traitsISK_E10value_typeET2_T3_PNSL_ISQ_E10value_typeET4_jRbjT5_SW_jjP12ihipStream_tbEUlT_E2_NS1_11comp_targetILNS1_3genE2ELNS1_11target_archE906ELNS1_3gpuE6ELNS1_3repE0EEENS1_30default_config_static_selectorELNS0_4arch9wavefront6targetE0EEEvSK_.uses_flat_scratch, 0
	.set _ZN7rocprim17ROCPRIM_400000_NS6detail17trampoline_kernelINS0_14default_configENS1_36segmented_radix_sort_config_selectorIflEEZNS1_25segmented_radix_sort_implIS3_Lb1EPKfPfPKlPlN2at6native12_GLOBAL__N_18offset_tEEE10hipError_tPvRmT1_PNSt15iterator_traitsISK_E10value_typeET2_T3_PNSL_ISQ_E10value_typeET4_jRbjT5_SW_jjP12ihipStream_tbEUlT_E2_NS1_11comp_targetILNS1_3genE2ELNS1_11target_archE906ELNS1_3gpuE6ELNS1_3repE0EEENS1_30default_config_static_selectorELNS0_4arch9wavefront6targetE0EEEvSK_.has_dyn_sized_stack, 0
	.set _ZN7rocprim17ROCPRIM_400000_NS6detail17trampoline_kernelINS0_14default_configENS1_36segmented_radix_sort_config_selectorIflEEZNS1_25segmented_radix_sort_implIS3_Lb1EPKfPfPKlPlN2at6native12_GLOBAL__N_18offset_tEEE10hipError_tPvRmT1_PNSt15iterator_traitsISK_E10value_typeET2_T3_PNSL_ISQ_E10value_typeET4_jRbjT5_SW_jjP12ihipStream_tbEUlT_E2_NS1_11comp_targetILNS1_3genE2ELNS1_11target_archE906ELNS1_3gpuE6ELNS1_3repE0EEENS1_30default_config_static_selectorELNS0_4arch9wavefront6targetE0EEEvSK_.has_recursion, 0
	.set _ZN7rocprim17ROCPRIM_400000_NS6detail17trampoline_kernelINS0_14default_configENS1_36segmented_radix_sort_config_selectorIflEEZNS1_25segmented_radix_sort_implIS3_Lb1EPKfPfPKlPlN2at6native12_GLOBAL__N_18offset_tEEE10hipError_tPvRmT1_PNSt15iterator_traitsISK_E10value_typeET2_T3_PNSL_ISQ_E10value_typeET4_jRbjT5_SW_jjP12ihipStream_tbEUlT_E2_NS1_11comp_targetILNS1_3genE2ELNS1_11target_archE906ELNS1_3gpuE6ELNS1_3repE0EEENS1_30default_config_static_selectorELNS0_4arch9wavefront6targetE0EEEvSK_.has_indirect_call, 0
	.section	.AMDGPU.csdata,"",@progbits
; Kernel info:
; codeLenInByte = 0
; TotalNumSgprs: 0
; NumVgprs: 0
; ScratchSize: 0
; MemoryBound: 0
; FloatMode: 240
; IeeeMode: 1
; LDSByteSize: 0 bytes/workgroup (compile time only)
; SGPRBlocks: 0
; VGPRBlocks: 0
; NumSGPRsForWavesPerEU: 1
; NumVGPRsForWavesPerEU: 1
; NamedBarCnt: 0
; Occupancy: 16
; WaveLimiterHint : 0
; COMPUTE_PGM_RSRC2:SCRATCH_EN: 0
; COMPUTE_PGM_RSRC2:USER_SGPR: 2
; COMPUTE_PGM_RSRC2:TRAP_HANDLER: 0
; COMPUTE_PGM_RSRC2:TGID_X_EN: 1
; COMPUTE_PGM_RSRC2:TGID_Y_EN: 0
; COMPUTE_PGM_RSRC2:TGID_Z_EN: 0
; COMPUTE_PGM_RSRC2:TIDIG_COMP_CNT: 0
	.section	.text._ZN7rocprim17ROCPRIM_400000_NS6detail17trampoline_kernelINS0_14default_configENS1_36segmented_radix_sort_config_selectorIflEEZNS1_25segmented_radix_sort_implIS3_Lb1EPKfPfPKlPlN2at6native12_GLOBAL__N_18offset_tEEE10hipError_tPvRmT1_PNSt15iterator_traitsISK_E10value_typeET2_T3_PNSL_ISQ_E10value_typeET4_jRbjT5_SW_jjP12ihipStream_tbEUlT_E2_NS1_11comp_targetILNS1_3genE10ELNS1_11target_archE1201ELNS1_3gpuE5ELNS1_3repE0EEENS1_30default_config_static_selectorELNS0_4arch9wavefront6targetE0EEEvSK_,"axG",@progbits,_ZN7rocprim17ROCPRIM_400000_NS6detail17trampoline_kernelINS0_14default_configENS1_36segmented_radix_sort_config_selectorIflEEZNS1_25segmented_radix_sort_implIS3_Lb1EPKfPfPKlPlN2at6native12_GLOBAL__N_18offset_tEEE10hipError_tPvRmT1_PNSt15iterator_traitsISK_E10value_typeET2_T3_PNSL_ISQ_E10value_typeET4_jRbjT5_SW_jjP12ihipStream_tbEUlT_E2_NS1_11comp_targetILNS1_3genE10ELNS1_11target_archE1201ELNS1_3gpuE5ELNS1_3repE0EEENS1_30default_config_static_selectorELNS0_4arch9wavefront6targetE0EEEvSK_,comdat
	.globl	_ZN7rocprim17ROCPRIM_400000_NS6detail17trampoline_kernelINS0_14default_configENS1_36segmented_radix_sort_config_selectorIflEEZNS1_25segmented_radix_sort_implIS3_Lb1EPKfPfPKlPlN2at6native12_GLOBAL__N_18offset_tEEE10hipError_tPvRmT1_PNSt15iterator_traitsISK_E10value_typeET2_T3_PNSL_ISQ_E10value_typeET4_jRbjT5_SW_jjP12ihipStream_tbEUlT_E2_NS1_11comp_targetILNS1_3genE10ELNS1_11target_archE1201ELNS1_3gpuE5ELNS1_3repE0EEENS1_30default_config_static_selectorELNS0_4arch9wavefront6targetE0EEEvSK_ ; -- Begin function _ZN7rocprim17ROCPRIM_400000_NS6detail17trampoline_kernelINS0_14default_configENS1_36segmented_radix_sort_config_selectorIflEEZNS1_25segmented_radix_sort_implIS3_Lb1EPKfPfPKlPlN2at6native12_GLOBAL__N_18offset_tEEE10hipError_tPvRmT1_PNSt15iterator_traitsISK_E10value_typeET2_T3_PNSL_ISQ_E10value_typeET4_jRbjT5_SW_jjP12ihipStream_tbEUlT_E2_NS1_11comp_targetILNS1_3genE10ELNS1_11target_archE1201ELNS1_3gpuE5ELNS1_3repE0EEENS1_30default_config_static_selectorELNS0_4arch9wavefront6targetE0EEEvSK_
	.p2align	8
	.type	_ZN7rocprim17ROCPRIM_400000_NS6detail17trampoline_kernelINS0_14default_configENS1_36segmented_radix_sort_config_selectorIflEEZNS1_25segmented_radix_sort_implIS3_Lb1EPKfPfPKlPlN2at6native12_GLOBAL__N_18offset_tEEE10hipError_tPvRmT1_PNSt15iterator_traitsISK_E10value_typeET2_T3_PNSL_ISQ_E10value_typeET4_jRbjT5_SW_jjP12ihipStream_tbEUlT_E2_NS1_11comp_targetILNS1_3genE10ELNS1_11target_archE1201ELNS1_3gpuE5ELNS1_3repE0EEENS1_30default_config_static_selectorELNS0_4arch9wavefront6targetE0EEEvSK_,@function
_ZN7rocprim17ROCPRIM_400000_NS6detail17trampoline_kernelINS0_14default_configENS1_36segmented_radix_sort_config_selectorIflEEZNS1_25segmented_radix_sort_implIS3_Lb1EPKfPfPKlPlN2at6native12_GLOBAL__N_18offset_tEEE10hipError_tPvRmT1_PNSt15iterator_traitsISK_E10value_typeET2_T3_PNSL_ISQ_E10value_typeET4_jRbjT5_SW_jjP12ihipStream_tbEUlT_E2_NS1_11comp_targetILNS1_3genE10ELNS1_11target_archE1201ELNS1_3gpuE5ELNS1_3repE0EEENS1_30default_config_static_selectorELNS0_4arch9wavefront6targetE0EEEvSK_: ; @_ZN7rocprim17ROCPRIM_400000_NS6detail17trampoline_kernelINS0_14default_configENS1_36segmented_radix_sort_config_selectorIflEEZNS1_25segmented_radix_sort_implIS3_Lb1EPKfPfPKlPlN2at6native12_GLOBAL__N_18offset_tEEE10hipError_tPvRmT1_PNSt15iterator_traitsISK_E10value_typeET2_T3_PNSL_ISQ_E10value_typeET4_jRbjT5_SW_jjP12ihipStream_tbEUlT_E2_NS1_11comp_targetILNS1_3genE10ELNS1_11target_archE1201ELNS1_3gpuE5ELNS1_3repE0EEENS1_30default_config_static_selectorELNS0_4arch9wavefront6targetE0EEEvSK_
; %bb.0:
	.section	.rodata,"a",@progbits
	.p2align	6, 0x0
	.amdhsa_kernel _ZN7rocprim17ROCPRIM_400000_NS6detail17trampoline_kernelINS0_14default_configENS1_36segmented_radix_sort_config_selectorIflEEZNS1_25segmented_radix_sort_implIS3_Lb1EPKfPfPKlPlN2at6native12_GLOBAL__N_18offset_tEEE10hipError_tPvRmT1_PNSt15iterator_traitsISK_E10value_typeET2_T3_PNSL_ISQ_E10value_typeET4_jRbjT5_SW_jjP12ihipStream_tbEUlT_E2_NS1_11comp_targetILNS1_3genE10ELNS1_11target_archE1201ELNS1_3gpuE5ELNS1_3repE0EEENS1_30default_config_static_selectorELNS0_4arch9wavefront6targetE0EEEvSK_
		.amdhsa_group_segment_fixed_size 0
		.amdhsa_private_segment_fixed_size 0
		.amdhsa_kernarg_size 80
		.amdhsa_user_sgpr_count 2
		.amdhsa_user_sgpr_dispatch_ptr 0
		.amdhsa_user_sgpr_queue_ptr 0
		.amdhsa_user_sgpr_kernarg_segment_ptr 1
		.amdhsa_user_sgpr_dispatch_id 0
		.amdhsa_user_sgpr_kernarg_preload_length 0
		.amdhsa_user_sgpr_kernarg_preload_offset 0
		.amdhsa_user_sgpr_private_segment_size 0
		.amdhsa_wavefront_size32 1
		.amdhsa_uses_dynamic_stack 0
		.amdhsa_enable_private_segment 0
		.amdhsa_system_sgpr_workgroup_id_x 1
		.amdhsa_system_sgpr_workgroup_id_y 0
		.amdhsa_system_sgpr_workgroup_id_z 0
		.amdhsa_system_sgpr_workgroup_info 0
		.amdhsa_system_vgpr_workitem_id 0
		.amdhsa_next_free_vgpr 1
		.amdhsa_next_free_sgpr 1
		.amdhsa_named_barrier_count 0
		.amdhsa_reserve_vcc 0
		.amdhsa_float_round_mode_32 0
		.amdhsa_float_round_mode_16_64 0
		.amdhsa_float_denorm_mode_32 3
		.amdhsa_float_denorm_mode_16_64 3
		.amdhsa_fp16_overflow 0
		.amdhsa_memory_ordered 1
		.amdhsa_forward_progress 1
		.amdhsa_inst_pref_size 0
		.amdhsa_round_robin_scheduling 0
		.amdhsa_exception_fp_ieee_invalid_op 0
		.amdhsa_exception_fp_denorm_src 0
		.amdhsa_exception_fp_ieee_div_zero 0
		.amdhsa_exception_fp_ieee_overflow 0
		.amdhsa_exception_fp_ieee_underflow 0
		.amdhsa_exception_fp_ieee_inexact 0
		.amdhsa_exception_int_div_zero 0
	.end_amdhsa_kernel
	.section	.text._ZN7rocprim17ROCPRIM_400000_NS6detail17trampoline_kernelINS0_14default_configENS1_36segmented_radix_sort_config_selectorIflEEZNS1_25segmented_radix_sort_implIS3_Lb1EPKfPfPKlPlN2at6native12_GLOBAL__N_18offset_tEEE10hipError_tPvRmT1_PNSt15iterator_traitsISK_E10value_typeET2_T3_PNSL_ISQ_E10value_typeET4_jRbjT5_SW_jjP12ihipStream_tbEUlT_E2_NS1_11comp_targetILNS1_3genE10ELNS1_11target_archE1201ELNS1_3gpuE5ELNS1_3repE0EEENS1_30default_config_static_selectorELNS0_4arch9wavefront6targetE0EEEvSK_,"axG",@progbits,_ZN7rocprim17ROCPRIM_400000_NS6detail17trampoline_kernelINS0_14default_configENS1_36segmented_radix_sort_config_selectorIflEEZNS1_25segmented_radix_sort_implIS3_Lb1EPKfPfPKlPlN2at6native12_GLOBAL__N_18offset_tEEE10hipError_tPvRmT1_PNSt15iterator_traitsISK_E10value_typeET2_T3_PNSL_ISQ_E10value_typeET4_jRbjT5_SW_jjP12ihipStream_tbEUlT_E2_NS1_11comp_targetILNS1_3genE10ELNS1_11target_archE1201ELNS1_3gpuE5ELNS1_3repE0EEENS1_30default_config_static_selectorELNS0_4arch9wavefront6targetE0EEEvSK_,comdat
.Lfunc_end1353:
	.size	_ZN7rocprim17ROCPRIM_400000_NS6detail17trampoline_kernelINS0_14default_configENS1_36segmented_radix_sort_config_selectorIflEEZNS1_25segmented_radix_sort_implIS3_Lb1EPKfPfPKlPlN2at6native12_GLOBAL__N_18offset_tEEE10hipError_tPvRmT1_PNSt15iterator_traitsISK_E10value_typeET2_T3_PNSL_ISQ_E10value_typeET4_jRbjT5_SW_jjP12ihipStream_tbEUlT_E2_NS1_11comp_targetILNS1_3genE10ELNS1_11target_archE1201ELNS1_3gpuE5ELNS1_3repE0EEENS1_30default_config_static_selectorELNS0_4arch9wavefront6targetE0EEEvSK_, .Lfunc_end1353-_ZN7rocprim17ROCPRIM_400000_NS6detail17trampoline_kernelINS0_14default_configENS1_36segmented_radix_sort_config_selectorIflEEZNS1_25segmented_radix_sort_implIS3_Lb1EPKfPfPKlPlN2at6native12_GLOBAL__N_18offset_tEEE10hipError_tPvRmT1_PNSt15iterator_traitsISK_E10value_typeET2_T3_PNSL_ISQ_E10value_typeET4_jRbjT5_SW_jjP12ihipStream_tbEUlT_E2_NS1_11comp_targetILNS1_3genE10ELNS1_11target_archE1201ELNS1_3gpuE5ELNS1_3repE0EEENS1_30default_config_static_selectorELNS0_4arch9wavefront6targetE0EEEvSK_
                                        ; -- End function
	.set _ZN7rocprim17ROCPRIM_400000_NS6detail17trampoline_kernelINS0_14default_configENS1_36segmented_radix_sort_config_selectorIflEEZNS1_25segmented_radix_sort_implIS3_Lb1EPKfPfPKlPlN2at6native12_GLOBAL__N_18offset_tEEE10hipError_tPvRmT1_PNSt15iterator_traitsISK_E10value_typeET2_T3_PNSL_ISQ_E10value_typeET4_jRbjT5_SW_jjP12ihipStream_tbEUlT_E2_NS1_11comp_targetILNS1_3genE10ELNS1_11target_archE1201ELNS1_3gpuE5ELNS1_3repE0EEENS1_30default_config_static_selectorELNS0_4arch9wavefront6targetE0EEEvSK_.num_vgpr, 0
	.set _ZN7rocprim17ROCPRIM_400000_NS6detail17trampoline_kernelINS0_14default_configENS1_36segmented_radix_sort_config_selectorIflEEZNS1_25segmented_radix_sort_implIS3_Lb1EPKfPfPKlPlN2at6native12_GLOBAL__N_18offset_tEEE10hipError_tPvRmT1_PNSt15iterator_traitsISK_E10value_typeET2_T3_PNSL_ISQ_E10value_typeET4_jRbjT5_SW_jjP12ihipStream_tbEUlT_E2_NS1_11comp_targetILNS1_3genE10ELNS1_11target_archE1201ELNS1_3gpuE5ELNS1_3repE0EEENS1_30default_config_static_selectorELNS0_4arch9wavefront6targetE0EEEvSK_.num_agpr, 0
	.set _ZN7rocprim17ROCPRIM_400000_NS6detail17trampoline_kernelINS0_14default_configENS1_36segmented_radix_sort_config_selectorIflEEZNS1_25segmented_radix_sort_implIS3_Lb1EPKfPfPKlPlN2at6native12_GLOBAL__N_18offset_tEEE10hipError_tPvRmT1_PNSt15iterator_traitsISK_E10value_typeET2_T3_PNSL_ISQ_E10value_typeET4_jRbjT5_SW_jjP12ihipStream_tbEUlT_E2_NS1_11comp_targetILNS1_3genE10ELNS1_11target_archE1201ELNS1_3gpuE5ELNS1_3repE0EEENS1_30default_config_static_selectorELNS0_4arch9wavefront6targetE0EEEvSK_.numbered_sgpr, 0
	.set _ZN7rocprim17ROCPRIM_400000_NS6detail17trampoline_kernelINS0_14default_configENS1_36segmented_radix_sort_config_selectorIflEEZNS1_25segmented_radix_sort_implIS3_Lb1EPKfPfPKlPlN2at6native12_GLOBAL__N_18offset_tEEE10hipError_tPvRmT1_PNSt15iterator_traitsISK_E10value_typeET2_T3_PNSL_ISQ_E10value_typeET4_jRbjT5_SW_jjP12ihipStream_tbEUlT_E2_NS1_11comp_targetILNS1_3genE10ELNS1_11target_archE1201ELNS1_3gpuE5ELNS1_3repE0EEENS1_30default_config_static_selectorELNS0_4arch9wavefront6targetE0EEEvSK_.num_named_barrier, 0
	.set _ZN7rocprim17ROCPRIM_400000_NS6detail17trampoline_kernelINS0_14default_configENS1_36segmented_radix_sort_config_selectorIflEEZNS1_25segmented_radix_sort_implIS3_Lb1EPKfPfPKlPlN2at6native12_GLOBAL__N_18offset_tEEE10hipError_tPvRmT1_PNSt15iterator_traitsISK_E10value_typeET2_T3_PNSL_ISQ_E10value_typeET4_jRbjT5_SW_jjP12ihipStream_tbEUlT_E2_NS1_11comp_targetILNS1_3genE10ELNS1_11target_archE1201ELNS1_3gpuE5ELNS1_3repE0EEENS1_30default_config_static_selectorELNS0_4arch9wavefront6targetE0EEEvSK_.private_seg_size, 0
	.set _ZN7rocprim17ROCPRIM_400000_NS6detail17trampoline_kernelINS0_14default_configENS1_36segmented_radix_sort_config_selectorIflEEZNS1_25segmented_radix_sort_implIS3_Lb1EPKfPfPKlPlN2at6native12_GLOBAL__N_18offset_tEEE10hipError_tPvRmT1_PNSt15iterator_traitsISK_E10value_typeET2_T3_PNSL_ISQ_E10value_typeET4_jRbjT5_SW_jjP12ihipStream_tbEUlT_E2_NS1_11comp_targetILNS1_3genE10ELNS1_11target_archE1201ELNS1_3gpuE5ELNS1_3repE0EEENS1_30default_config_static_selectorELNS0_4arch9wavefront6targetE0EEEvSK_.uses_vcc, 0
	.set _ZN7rocprim17ROCPRIM_400000_NS6detail17trampoline_kernelINS0_14default_configENS1_36segmented_radix_sort_config_selectorIflEEZNS1_25segmented_radix_sort_implIS3_Lb1EPKfPfPKlPlN2at6native12_GLOBAL__N_18offset_tEEE10hipError_tPvRmT1_PNSt15iterator_traitsISK_E10value_typeET2_T3_PNSL_ISQ_E10value_typeET4_jRbjT5_SW_jjP12ihipStream_tbEUlT_E2_NS1_11comp_targetILNS1_3genE10ELNS1_11target_archE1201ELNS1_3gpuE5ELNS1_3repE0EEENS1_30default_config_static_selectorELNS0_4arch9wavefront6targetE0EEEvSK_.uses_flat_scratch, 0
	.set _ZN7rocprim17ROCPRIM_400000_NS6detail17trampoline_kernelINS0_14default_configENS1_36segmented_radix_sort_config_selectorIflEEZNS1_25segmented_radix_sort_implIS3_Lb1EPKfPfPKlPlN2at6native12_GLOBAL__N_18offset_tEEE10hipError_tPvRmT1_PNSt15iterator_traitsISK_E10value_typeET2_T3_PNSL_ISQ_E10value_typeET4_jRbjT5_SW_jjP12ihipStream_tbEUlT_E2_NS1_11comp_targetILNS1_3genE10ELNS1_11target_archE1201ELNS1_3gpuE5ELNS1_3repE0EEENS1_30default_config_static_selectorELNS0_4arch9wavefront6targetE0EEEvSK_.has_dyn_sized_stack, 0
	.set _ZN7rocprim17ROCPRIM_400000_NS6detail17trampoline_kernelINS0_14default_configENS1_36segmented_radix_sort_config_selectorIflEEZNS1_25segmented_radix_sort_implIS3_Lb1EPKfPfPKlPlN2at6native12_GLOBAL__N_18offset_tEEE10hipError_tPvRmT1_PNSt15iterator_traitsISK_E10value_typeET2_T3_PNSL_ISQ_E10value_typeET4_jRbjT5_SW_jjP12ihipStream_tbEUlT_E2_NS1_11comp_targetILNS1_3genE10ELNS1_11target_archE1201ELNS1_3gpuE5ELNS1_3repE0EEENS1_30default_config_static_selectorELNS0_4arch9wavefront6targetE0EEEvSK_.has_recursion, 0
	.set _ZN7rocprim17ROCPRIM_400000_NS6detail17trampoline_kernelINS0_14default_configENS1_36segmented_radix_sort_config_selectorIflEEZNS1_25segmented_radix_sort_implIS3_Lb1EPKfPfPKlPlN2at6native12_GLOBAL__N_18offset_tEEE10hipError_tPvRmT1_PNSt15iterator_traitsISK_E10value_typeET2_T3_PNSL_ISQ_E10value_typeET4_jRbjT5_SW_jjP12ihipStream_tbEUlT_E2_NS1_11comp_targetILNS1_3genE10ELNS1_11target_archE1201ELNS1_3gpuE5ELNS1_3repE0EEENS1_30default_config_static_selectorELNS0_4arch9wavefront6targetE0EEEvSK_.has_indirect_call, 0
	.section	.AMDGPU.csdata,"",@progbits
; Kernel info:
; codeLenInByte = 0
; TotalNumSgprs: 0
; NumVgprs: 0
; ScratchSize: 0
; MemoryBound: 0
; FloatMode: 240
; IeeeMode: 1
; LDSByteSize: 0 bytes/workgroup (compile time only)
; SGPRBlocks: 0
; VGPRBlocks: 0
; NumSGPRsForWavesPerEU: 1
; NumVGPRsForWavesPerEU: 1
; NamedBarCnt: 0
; Occupancy: 16
; WaveLimiterHint : 0
; COMPUTE_PGM_RSRC2:SCRATCH_EN: 0
; COMPUTE_PGM_RSRC2:USER_SGPR: 2
; COMPUTE_PGM_RSRC2:TRAP_HANDLER: 0
; COMPUTE_PGM_RSRC2:TGID_X_EN: 1
; COMPUTE_PGM_RSRC2:TGID_Y_EN: 0
; COMPUTE_PGM_RSRC2:TGID_Z_EN: 0
; COMPUTE_PGM_RSRC2:TIDIG_COMP_CNT: 0
	.section	.text._ZN7rocprim17ROCPRIM_400000_NS6detail17trampoline_kernelINS0_14default_configENS1_36segmented_radix_sort_config_selectorIflEEZNS1_25segmented_radix_sort_implIS3_Lb1EPKfPfPKlPlN2at6native12_GLOBAL__N_18offset_tEEE10hipError_tPvRmT1_PNSt15iterator_traitsISK_E10value_typeET2_T3_PNSL_ISQ_E10value_typeET4_jRbjT5_SW_jjP12ihipStream_tbEUlT_E2_NS1_11comp_targetILNS1_3genE10ELNS1_11target_archE1200ELNS1_3gpuE4ELNS1_3repE0EEENS1_30default_config_static_selectorELNS0_4arch9wavefront6targetE0EEEvSK_,"axG",@progbits,_ZN7rocprim17ROCPRIM_400000_NS6detail17trampoline_kernelINS0_14default_configENS1_36segmented_radix_sort_config_selectorIflEEZNS1_25segmented_radix_sort_implIS3_Lb1EPKfPfPKlPlN2at6native12_GLOBAL__N_18offset_tEEE10hipError_tPvRmT1_PNSt15iterator_traitsISK_E10value_typeET2_T3_PNSL_ISQ_E10value_typeET4_jRbjT5_SW_jjP12ihipStream_tbEUlT_E2_NS1_11comp_targetILNS1_3genE10ELNS1_11target_archE1200ELNS1_3gpuE4ELNS1_3repE0EEENS1_30default_config_static_selectorELNS0_4arch9wavefront6targetE0EEEvSK_,comdat
	.globl	_ZN7rocprim17ROCPRIM_400000_NS6detail17trampoline_kernelINS0_14default_configENS1_36segmented_radix_sort_config_selectorIflEEZNS1_25segmented_radix_sort_implIS3_Lb1EPKfPfPKlPlN2at6native12_GLOBAL__N_18offset_tEEE10hipError_tPvRmT1_PNSt15iterator_traitsISK_E10value_typeET2_T3_PNSL_ISQ_E10value_typeET4_jRbjT5_SW_jjP12ihipStream_tbEUlT_E2_NS1_11comp_targetILNS1_3genE10ELNS1_11target_archE1200ELNS1_3gpuE4ELNS1_3repE0EEENS1_30default_config_static_selectorELNS0_4arch9wavefront6targetE0EEEvSK_ ; -- Begin function _ZN7rocprim17ROCPRIM_400000_NS6detail17trampoline_kernelINS0_14default_configENS1_36segmented_radix_sort_config_selectorIflEEZNS1_25segmented_radix_sort_implIS3_Lb1EPKfPfPKlPlN2at6native12_GLOBAL__N_18offset_tEEE10hipError_tPvRmT1_PNSt15iterator_traitsISK_E10value_typeET2_T3_PNSL_ISQ_E10value_typeET4_jRbjT5_SW_jjP12ihipStream_tbEUlT_E2_NS1_11comp_targetILNS1_3genE10ELNS1_11target_archE1200ELNS1_3gpuE4ELNS1_3repE0EEENS1_30default_config_static_selectorELNS0_4arch9wavefront6targetE0EEEvSK_
	.p2align	8
	.type	_ZN7rocprim17ROCPRIM_400000_NS6detail17trampoline_kernelINS0_14default_configENS1_36segmented_radix_sort_config_selectorIflEEZNS1_25segmented_radix_sort_implIS3_Lb1EPKfPfPKlPlN2at6native12_GLOBAL__N_18offset_tEEE10hipError_tPvRmT1_PNSt15iterator_traitsISK_E10value_typeET2_T3_PNSL_ISQ_E10value_typeET4_jRbjT5_SW_jjP12ihipStream_tbEUlT_E2_NS1_11comp_targetILNS1_3genE10ELNS1_11target_archE1200ELNS1_3gpuE4ELNS1_3repE0EEENS1_30default_config_static_selectorELNS0_4arch9wavefront6targetE0EEEvSK_,@function
_ZN7rocprim17ROCPRIM_400000_NS6detail17trampoline_kernelINS0_14default_configENS1_36segmented_radix_sort_config_selectorIflEEZNS1_25segmented_radix_sort_implIS3_Lb1EPKfPfPKlPlN2at6native12_GLOBAL__N_18offset_tEEE10hipError_tPvRmT1_PNSt15iterator_traitsISK_E10value_typeET2_T3_PNSL_ISQ_E10value_typeET4_jRbjT5_SW_jjP12ihipStream_tbEUlT_E2_NS1_11comp_targetILNS1_3genE10ELNS1_11target_archE1200ELNS1_3gpuE4ELNS1_3repE0EEENS1_30default_config_static_selectorELNS0_4arch9wavefront6targetE0EEEvSK_: ; @_ZN7rocprim17ROCPRIM_400000_NS6detail17trampoline_kernelINS0_14default_configENS1_36segmented_radix_sort_config_selectorIflEEZNS1_25segmented_radix_sort_implIS3_Lb1EPKfPfPKlPlN2at6native12_GLOBAL__N_18offset_tEEE10hipError_tPvRmT1_PNSt15iterator_traitsISK_E10value_typeET2_T3_PNSL_ISQ_E10value_typeET4_jRbjT5_SW_jjP12ihipStream_tbEUlT_E2_NS1_11comp_targetILNS1_3genE10ELNS1_11target_archE1200ELNS1_3gpuE4ELNS1_3repE0EEENS1_30default_config_static_selectorELNS0_4arch9wavefront6targetE0EEEvSK_
; %bb.0:
	.section	.rodata,"a",@progbits
	.p2align	6, 0x0
	.amdhsa_kernel _ZN7rocprim17ROCPRIM_400000_NS6detail17trampoline_kernelINS0_14default_configENS1_36segmented_radix_sort_config_selectorIflEEZNS1_25segmented_radix_sort_implIS3_Lb1EPKfPfPKlPlN2at6native12_GLOBAL__N_18offset_tEEE10hipError_tPvRmT1_PNSt15iterator_traitsISK_E10value_typeET2_T3_PNSL_ISQ_E10value_typeET4_jRbjT5_SW_jjP12ihipStream_tbEUlT_E2_NS1_11comp_targetILNS1_3genE10ELNS1_11target_archE1200ELNS1_3gpuE4ELNS1_3repE0EEENS1_30default_config_static_selectorELNS0_4arch9wavefront6targetE0EEEvSK_
		.amdhsa_group_segment_fixed_size 0
		.amdhsa_private_segment_fixed_size 0
		.amdhsa_kernarg_size 80
		.amdhsa_user_sgpr_count 2
		.amdhsa_user_sgpr_dispatch_ptr 0
		.amdhsa_user_sgpr_queue_ptr 0
		.amdhsa_user_sgpr_kernarg_segment_ptr 1
		.amdhsa_user_sgpr_dispatch_id 0
		.amdhsa_user_sgpr_kernarg_preload_length 0
		.amdhsa_user_sgpr_kernarg_preload_offset 0
		.amdhsa_user_sgpr_private_segment_size 0
		.amdhsa_wavefront_size32 1
		.amdhsa_uses_dynamic_stack 0
		.amdhsa_enable_private_segment 0
		.amdhsa_system_sgpr_workgroup_id_x 1
		.amdhsa_system_sgpr_workgroup_id_y 0
		.amdhsa_system_sgpr_workgroup_id_z 0
		.amdhsa_system_sgpr_workgroup_info 0
		.amdhsa_system_vgpr_workitem_id 0
		.amdhsa_next_free_vgpr 1
		.amdhsa_next_free_sgpr 1
		.amdhsa_named_barrier_count 0
		.amdhsa_reserve_vcc 0
		.amdhsa_float_round_mode_32 0
		.amdhsa_float_round_mode_16_64 0
		.amdhsa_float_denorm_mode_32 3
		.amdhsa_float_denorm_mode_16_64 3
		.amdhsa_fp16_overflow 0
		.amdhsa_memory_ordered 1
		.amdhsa_forward_progress 1
		.amdhsa_inst_pref_size 0
		.amdhsa_round_robin_scheduling 0
		.amdhsa_exception_fp_ieee_invalid_op 0
		.amdhsa_exception_fp_denorm_src 0
		.amdhsa_exception_fp_ieee_div_zero 0
		.amdhsa_exception_fp_ieee_overflow 0
		.amdhsa_exception_fp_ieee_underflow 0
		.amdhsa_exception_fp_ieee_inexact 0
		.amdhsa_exception_int_div_zero 0
	.end_amdhsa_kernel
	.section	.text._ZN7rocprim17ROCPRIM_400000_NS6detail17trampoline_kernelINS0_14default_configENS1_36segmented_radix_sort_config_selectorIflEEZNS1_25segmented_radix_sort_implIS3_Lb1EPKfPfPKlPlN2at6native12_GLOBAL__N_18offset_tEEE10hipError_tPvRmT1_PNSt15iterator_traitsISK_E10value_typeET2_T3_PNSL_ISQ_E10value_typeET4_jRbjT5_SW_jjP12ihipStream_tbEUlT_E2_NS1_11comp_targetILNS1_3genE10ELNS1_11target_archE1200ELNS1_3gpuE4ELNS1_3repE0EEENS1_30default_config_static_selectorELNS0_4arch9wavefront6targetE0EEEvSK_,"axG",@progbits,_ZN7rocprim17ROCPRIM_400000_NS6detail17trampoline_kernelINS0_14default_configENS1_36segmented_radix_sort_config_selectorIflEEZNS1_25segmented_radix_sort_implIS3_Lb1EPKfPfPKlPlN2at6native12_GLOBAL__N_18offset_tEEE10hipError_tPvRmT1_PNSt15iterator_traitsISK_E10value_typeET2_T3_PNSL_ISQ_E10value_typeET4_jRbjT5_SW_jjP12ihipStream_tbEUlT_E2_NS1_11comp_targetILNS1_3genE10ELNS1_11target_archE1200ELNS1_3gpuE4ELNS1_3repE0EEENS1_30default_config_static_selectorELNS0_4arch9wavefront6targetE0EEEvSK_,comdat
.Lfunc_end1354:
	.size	_ZN7rocprim17ROCPRIM_400000_NS6detail17trampoline_kernelINS0_14default_configENS1_36segmented_radix_sort_config_selectorIflEEZNS1_25segmented_radix_sort_implIS3_Lb1EPKfPfPKlPlN2at6native12_GLOBAL__N_18offset_tEEE10hipError_tPvRmT1_PNSt15iterator_traitsISK_E10value_typeET2_T3_PNSL_ISQ_E10value_typeET4_jRbjT5_SW_jjP12ihipStream_tbEUlT_E2_NS1_11comp_targetILNS1_3genE10ELNS1_11target_archE1200ELNS1_3gpuE4ELNS1_3repE0EEENS1_30default_config_static_selectorELNS0_4arch9wavefront6targetE0EEEvSK_, .Lfunc_end1354-_ZN7rocprim17ROCPRIM_400000_NS6detail17trampoline_kernelINS0_14default_configENS1_36segmented_radix_sort_config_selectorIflEEZNS1_25segmented_radix_sort_implIS3_Lb1EPKfPfPKlPlN2at6native12_GLOBAL__N_18offset_tEEE10hipError_tPvRmT1_PNSt15iterator_traitsISK_E10value_typeET2_T3_PNSL_ISQ_E10value_typeET4_jRbjT5_SW_jjP12ihipStream_tbEUlT_E2_NS1_11comp_targetILNS1_3genE10ELNS1_11target_archE1200ELNS1_3gpuE4ELNS1_3repE0EEENS1_30default_config_static_selectorELNS0_4arch9wavefront6targetE0EEEvSK_
                                        ; -- End function
	.set _ZN7rocprim17ROCPRIM_400000_NS6detail17trampoline_kernelINS0_14default_configENS1_36segmented_radix_sort_config_selectorIflEEZNS1_25segmented_radix_sort_implIS3_Lb1EPKfPfPKlPlN2at6native12_GLOBAL__N_18offset_tEEE10hipError_tPvRmT1_PNSt15iterator_traitsISK_E10value_typeET2_T3_PNSL_ISQ_E10value_typeET4_jRbjT5_SW_jjP12ihipStream_tbEUlT_E2_NS1_11comp_targetILNS1_3genE10ELNS1_11target_archE1200ELNS1_3gpuE4ELNS1_3repE0EEENS1_30default_config_static_selectorELNS0_4arch9wavefront6targetE0EEEvSK_.num_vgpr, 0
	.set _ZN7rocprim17ROCPRIM_400000_NS6detail17trampoline_kernelINS0_14default_configENS1_36segmented_radix_sort_config_selectorIflEEZNS1_25segmented_radix_sort_implIS3_Lb1EPKfPfPKlPlN2at6native12_GLOBAL__N_18offset_tEEE10hipError_tPvRmT1_PNSt15iterator_traitsISK_E10value_typeET2_T3_PNSL_ISQ_E10value_typeET4_jRbjT5_SW_jjP12ihipStream_tbEUlT_E2_NS1_11comp_targetILNS1_3genE10ELNS1_11target_archE1200ELNS1_3gpuE4ELNS1_3repE0EEENS1_30default_config_static_selectorELNS0_4arch9wavefront6targetE0EEEvSK_.num_agpr, 0
	.set _ZN7rocprim17ROCPRIM_400000_NS6detail17trampoline_kernelINS0_14default_configENS1_36segmented_radix_sort_config_selectorIflEEZNS1_25segmented_radix_sort_implIS3_Lb1EPKfPfPKlPlN2at6native12_GLOBAL__N_18offset_tEEE10hipError_tPvRmT1_PNSt15iterator_traitsISK_E10value_typeET2_T3_PNSL_ISQ_E10value_typeET4_jRbjT5_SW_jjP12ihipStream_tbEUlT_E2_NS1_11comp_targetILNS1_3genE10ELNS1_11target_archE1200ELNS1_3gpuE4ELNS1_3repE0EEENS1_30default_config_static_selectorELNS0_4arch9wavefront6targetE0EEEvSK_.numbered_sgpr, 0
	.set _ZN7rocprim17ROCPRIM_400000_NS6detail17trampoline_kernelINS0_14default_configENS1_36segmented_radix_sort_config_selectorIflEEZNS1_25segmented_radix_sort_implIS3_Lb1EPKfPfPKlPlN2at6native12_GLOBAL__N_18offset_tEEE10hipError_tPvRmT1_PNSt15iterator_traitsISK_E10value_typeET2_T3_PNSL_ISQ_E10value_typeET4_jRbjT5_SW_jjP12ihipStream_tbEUlT_E2_NS1_11comp_targetILNS1_3genE10ELNS1_11target_archE1200ELNS1_3gpuE4ELNS1_3repE0EEENS1_30default_config_static_selectorELNS0_4arch9wavefront6targetE0EEEvSK_.num_named_barrier, 0
	.set _ZN7rocprim17ROCPRIM_400000_NS6detail17trampoline_kernelINS0_14default_configENS1_36segmented_radix_sort_config_selectorIflEEZNS1_25segmented_radix_sort_implIS3_Lb1EPKfPfPKlPlN2at6native12_GLOBAL__N_18offset_tEEE10hipError_tPvRmT1_PNSt15iterator_traitsISK_E10value_typeET2_T3_PNSL_ISQ_E10value_typeET4_jRbjT5_SW_jjP12ihipStream_tbEUlT_E2_NS1_11comp_targetILNS1_3genE10ELNS1_11target_archE1200ELNS1_3gpuE4ELNS1_3repE0EEENS1_30default_config_static_selectorELNS0_4arch9wavefront6targetE0EEEvSK_.private_seg_size, 0
	.set _ZN7rocprim17ROCPRIM_400000_NS6detail17trampoline_kernelINS0_14default_configENS1_36segmented_radix_sort_config_selectorIflEEZNS1_25segmented_radix_sort_implIS3_Lb1EPKfPfPKlPlN2at6native12_GLOBAL__N_18offset_tEEE10hipError_tPvRmT1_PNSt15iterator_traitsISK_E10value_typeET2_T3_PNSL_ISQ_E10value_typeET4_jRbjT5_SW_jjP12ihipStream_tbEUlT_E2_NS1_11comp_targetILNS1_3genE10ELNS1_11target_archE1200ELNS1_3gpuE4ELNS1_3repE0EEENS1_30default_config_static_selectorELNS0_4arch9wavefront6targetE0EEEvSK_.uses_vcc, 0
	.set _ZN7rocprim17ROCPRIM_400000_NS6detail17trampoline_kernelINS0_14default_configENS1_36segmented_radix_sort_config_selectorIflEEZNS1_25segmented_radix_sort_implIS3_Lb1EPKfPfPKlPlN2at6native12_GLOBAL__N_18offset_tEEE10hipError_tPvRmT1_PNSt15iterator_traitsISK_E10value_typeET2_T3_PNSL_ISQ_E10value_typeET4_jRbjT5_SW_jjP12ihipStream_tbEUlT_E2_NS1_11comp_targetILNS1_3genE10ELNS1_11target_archE1200ELNS1_3gpuE4ELNS1_3repE0EEENS1_30default_config_static_selectorELNS0_4arch9wavefront6targetE0EEEvSK_.uses_flat_scratch, 0
	.set _ZN7rocprim17ROCPRIM_400000_NS6detail17trampoline_kernelINS0_14default_configENS1_36segmented_radix_sort_config_selectorIflEEZNS1_25segmented_radix_sort_implIS3_Lb1EPKfPfPKlPlN2at6native12_GLOBAL__N_18offset_tEEE10hipError_tPvRmT1_PNSt15iterator_traitsISK_E10value_typeET2_T3_PNSL_ISQ_E10value_typeET4_jRbjT5_SW_jjP12ihipStream_tbEUlT_E2_NS1_11comp_targetILNS1_3genE10ELNS1_11target_archE1200ELNS1_3gpuE4ELNS1_3repE0EEENS1_30default_config_static_selectorELNS0_4arch9wavefront6targetE0EEEvSK_.has_dyn_sized_stack, 0
	.set _ZN7rocprim17ROCPRIM_400000_NS6detail17trampoline_kernelINS0_14default_configENS1_36segmented_radix_sort_config_selectorIflEEZNS1_25segmented_radix_sort_implIS3_Lb1EPKfPfPKlPlN2at6native12_GLOBAL__N_18offset_tEEE10hipError_tPvRmT1_PNSt15iterator_traitsISK_E10value_typeET2_T3_PNSL_ISQ_E10value_typeET4_jRbjT5_SW_jjP12ihipStream_tbEUlT_E2_NS1_11comp_targetILNS1_3genE10ELNS1_11target_archE1200ELNS1_3gpuE4ELNS1_3repE0EEENS1_30default_config_static_selectorELNS0_4arch9wavefront6targetE0EEEvSK_.has_recursion, 0
	.set _ZN7rocprim17ROCPRIM_400000_NS6detail17trampoline_kernelINS0_14default_configENS1_36segmented_radix_sort_config_selectorIflEEZNS1_25segmented_radix_sort_implIS3_Lb1EPKfPfPKlPlN2at6native12_GLOBAL__N_18offset_tEEE10hipError_tPvRmT1_PNSt15iterator_traitsISK_E10value_typeET2_T3_PNSL_ISQ_E10value_typeET4_jRbjT5_SW_jjP12ihipStream_tbEUlT_E2_NS1_11comp_targetILNS1_3genE10ELNS1_11target_archE1200ELNS1_3gpuE4ELNS1_3repE0EEENS1_30default_config_static_selectorELNS0_4arch9wavefront6targetE0EEEvSK_.has_indirect_call, 0
	.section	.AMDGPU.csdata,"",@progbits
; Kernel info:
; codeLenInByte = 0
; TotalNumSgprs: 0
; NumVgprs: 0
; ScratchSize: 0
; MemoryBound: 0
; FloatMode: 240
; IeeeMode: 1
; LDSByteSize: 0 bytes/workgroup (compile time only)
; SGPRBlocks: 0
; VGPRBlocks: 0
; NumSGPRsForWavesPerEU: 1
; NumVGPRsForWavesPerEU: 1
; NamedBarCnt: 0
; Occupancy: 16
; WaveLimiterHint : 0
; COMPUTE_PGM_RSRC2:SCRATCH_EN: 0
; COMPUTE_PGM_RSRC2:USER_SGPR: 2
; COMPUTE_PGM_RSRC2:TRAP_HANDLER: 0
; COMPUTE_PGM_RSRC2:TGID_X_EN: 1
; COMPUTE_PGM_RSRC2:TGID_Y_EN: 0
; COMPUTE_PGM_RSRC2:TGID_Z_EN: 0
; COMPUTE_PGM_RSRC2:TIDIG_COMP_CNT: 0
	.section	.text._ZN7rocprim17ROCPRIM_400000_NS6detail17trampoline_kernelINS0_14default_configENS1_36segmented_radix_sort_config_selectorIflEEZNS1_25segmented_radix_sort_implIS3_Lb1EPKfPfPKlPlN2at6native12_GLOBAL__N_18offset_tEEE10hipError_tPvRmT1_PNSt15iterator_traitsISK_E10value_typeET2_T3_PNSL_ISQ_E10value_typeET4_jRbjT5_SW_jjP12ihipStream_tbEUlT_E2_NS1_11comp_targetILNS1_3genE9ELNS1_11target_archE1100ELNS1_3gpuE3ELNS1_3repE0EEENS1_30default_config_static_selectorELNS0_4arch9wavefront6targetE0EEEvSK_,"axG",@progbits,_ZN7rocprim17ROCPRIM_400000_NS6detail17trampoline_kernelINS0_14default_configENS1_36segmented_radix_sort_config_selectorIflEEZNS1_25segmented_radix_sort_implIS3_Lb1EPKfPfPKlPlN2at6native12_GLOBAL__N_18offset_tEEE10hipError_tPvRmT1_PNSt15iterator_traitsISK_E10value_typeET2_T3_PNSL_ISQ_E10value_typeET4_jRbjT5_SW_jjP12ihipStream_tbEUlT_E2_NS1_11comp_targetILNS1_3genE9ELNS1_11target_archE1100ELNS1_3gpuE3ELNS1_3repE0EEENS1_30default_config_static_selectorELNS0_4arch9wavefront6targetE0EEEvSK_,comdat
	.globl	_ZN7rocprim17ROCPRIM_400000_NS6detail17trampoline_kernelINS0_14default_configENS1_36segmented_radix_sort_config_selectorIflEEZNS1_25segmented_radix_sort_implIS3_Lb1EPKfPfPKlPlN2at6native12_GLOBAL__N_18offset_tEEE10hipError_tPvRmT1_PNSt15iterator_traitsISK_E10value_typeET2_T3_PNSL_ISQ_E10value_typeET4_jRbjT5_SW_jjP12ihipStream_tbEUlT_E2_NS1_11comp_targetILNS1_3genE9ELNS1_11target_archE1100ELNS1_3gpuE3ELNS1_3repE0EEENS1_30default_config_static_selectorELNS0_4arch9wavefront6targetE0EEEvSK_ ; -- Begin function _ZN7rocprim17ROCPRIM_400000_NS6detail17trampoline_kernelINS0_14default_configENS1_36segmented_radix_sort_config_selectorIflEEZNS1_25segmented_radix_sort_implIS3_Lb1EPKfPfPKlPlN2at6native12_GLOBAL__N_18offset_tEEE10hipError_tPvRmT1_PNSt15iterator_traitsISK_E10value_typeET2_T3_PNSL_ISQ_E10value_typeET4_jRbjT5_SW_jjP12ihipStream_tbEUlT_E2_NS1_11comp_targetILNS1_3genE9ELNS1_11target_archE1100ELNS1_3gpuE3ELNS1_3repE0EEENS1_30default_config_static_selectorELNS0_4arch9wavefront6targetE0EEEvSK_
	.p2align	8
	.type	_ZN7rocprim17ROCPRIM_400000_NS6detail17trampoline_kernelINS0_14default_configENS1_36segmented_radix_sort_config_selectorIflEEZNS1_25segmented_radix_sort_implIS3_Lb1EPKfPfPKlPlN2at6native12_GLOBAL__N_18offset_tEEE10hipError_tPvRmT1_PNSt15iterator_traitsISK_E10value_typeET2_T3_PNSL_ISQ_E10value_typeET4_jRbjT5_SW_jjP12ihipStream_tbEUlT_E2_NS1_11comp_targetILNS1_3genE9ELNS1_11target_archE1100ELNS1_3gpuE3ELNS1_3repE0EEENS1_30default_config_static_selectorELNS0_4arch9wavefront6targetE0EEEvSK_,@function
_ZN7rocprim17ROCPRIM_400000_NS6detail17trampoline_kernelINS0_14default_configENS1_36segmented_radix_sort_config_selectorIflEEZNS1_25segmented_radix_sort_implIS3_Lb1EPKfPfPKlPlN2at6native12_GLOBAL__N_18offset_tEEE10hipError_tPvRmT1_PNSt15iterator_traitsISK_E10value_typeET2_T3_PNSL_ISQ_E10value_typeET4_jRbjT5_SW_jjP12ihipStream_tbEUlT_E2_NS1_11comp_targetILNS1_3genE9ELNS1_11target_archE1100ELNS1_3gpuE3ELNS1_3repE0EEENS1_30default_config_static_selectorELNS0_4arch9wavefront6targetE0EEEvSK_: ; @_ZN7rocprim17ROCPRIM_400000_NS6detail17trampoline_kernelINS0_14default_configENS1_36segmented_radix_sort_config_selectorIflEEZNS1_25segmented_radix_sort_implIS3_Lb1EPKfPfPKlPlN2at6native12_GLOBAL__N_18offset_tEEE10hipError_tPvRmT1_PNSt15iterator_traitsISK_E10value_typeET2_T3_PNSL_ISQ_E10value_typeET4_jRbjT5_SW_jjP12ihipStream_tbEUlT_E2_NS1_11comp_targetILNS1_3genE9ELNS1_11target_archE1100ELNS1_3gpuE3ELNS1_3repE0EEENS1_30default_config_static_selectorELNS0_4arch9wavefront6targetE0EEEvSK_
; %bb.0:
	.section	.rodata,"a",@progbits
	.p2align	6, 0x0
	.amdhsa_kernel _ZN7rocprim17ROCPRIM_400000_NS6detail17trampoline_kernelINS0_14default_configENS1_36segmented_radix_sort_config_selectorIflEEZNS1_25segmented_radix_sort_implIS3_Lb1EPKfPfPKlPlN2at6native12_GLOBAL__N_18offset_tEEE10hipError_tPvRmT1_PNSt15iterator_traitsISK_E10value_typeET2_T3_PNSL_ISQ_E10value_typeET4_jRbjT5_SW_jjP12ihipStream_tbEUlT_E2_NS1_11comp_targetILNS1_3genE9ELNS1_11target_archE1100ELNS1_3gpuE3ELNS1_3repE0EEENS1_30default_config_static_selectorELNS0_4arch9wavefront6targetE0EEEvSK_
		.amdhsa_group_segment_fixed_size 0
		.amdhsa_private_segment_fixed_size 0
		.amdhsa_kernarg_size 80
		.amdhsa_user_sgpr_count 2
		.amdhsa_user_sgpr_dispatch_ptr 0
		.amdhsa_user_sgpr_queue_ptr 0
		.amdhsa_user_sgpr_kernarg_segment_ptr 1
		.amdhsa_user_sgpr_dispatch_id 0
		.amdhsa_user_sgpr_kernarg_preload_length 0
		.amdhsa_user_sgpr_kernarg_preload_offset 0
		.amdhsa_user_sgpr_private_segment_size 0
		.amdhsa_wavefront_size32 1
		.amdhsa_uses_dynamic_stack 0
		.amdhsa_enable_private_segment 0
		.amdhsa_system_sgpr_workgroup_id_x 1
		.amdhsa_system_sgpr_workgroup_id_y 0
		.amdhsa_system_sgpr_workgroup_id_z 0
		.amdhsa_system_sgpr_workgroup_info 0
		.amdhsa_system_vgpr_workitem_id 0
		.amdhsa_next_free_vgpr 1
		.amdhsa_next_free_sgpr 1
		.amdhsa_named_barrier_count 0
		.amdhsa_reserve_vcc 0
		.amdhsa_float_round_mode_32 0
		.amdhsa_float_round_mode_16_64 0
		.amdhsa_float_denorm_mode_32 3
		.amdhsa_float_denorm_mode_16_64 3
		.amdhsa_fp16_overflow 0
		.amdhsa_memory_ordered 1
		.amdhsa_forward_progress 1
		.amdhsa_inst_pref_size 0
		.amdhsa_round_robin_scheduling 0
		.amdhsa_exception_fp_ieee_invalid_op 0
		.amdhsa_exception_fp_denorm_src 0
		.amdhsa_exception_fp_ieee_div_zero 0
		.amdhsa_exception_fp_ieee_overflow 0
		.amdhsa_exception_fp_ieee_underflow 0
		.amdhsa_exception_fp_ieee_inexact 0
		.amdhsa_exception_int_div_zero 0
	.end_amdhsa_kernel
	.section	.text._ZN7rocprim17ROCPRIM_400000_NS6detail17trampoline_kernelINS0_14default_configENS1_36segmented_radix_sort_config_selectorIflEEZNS1_25segmented_radix_sort_implIS3_Lb1EPKfPfPKlPlN2at6native12_GLOBAL__N_18offset_tEEE10hipError_tPvRmT1_PNSt15iterator_traitsISK_E10value_typeET2_T3_PNSL_ISQ_E10value_typeET4_jRbjT5_SW_jjP12ihipStream_tbEUlT_E2_NS1_11comp_targetILNS1_3genE9ELNS1_11target_archE1100ELNS1_3gpuE3ELNS1_3repE0EEENS1_30default_config_static_selectorELNS0_4arch9wavefront6targetE0EEEvSK_,"axG",@progbits,_ZN7rocprim17ROCPRIM_400000_NS6detail17trampoline_kernelINS0_14default_configENS1_36segmented_radix_sort_config_selectorIflEEZNS1_25segmented_radix_sort_implIS3_Lb1EPKfPfPKlPlN2at6native12_GLOBAL__N_18offset_tEEE10hipError_tPvRmT1_PNSt15iterator_traitsISK_E10value_typeET2_T3_PNSL_ISQ_E10value_typeET4_jRbjT5_SW_jjP12ihipStream_tbEUlT_E2_NS1_11comp_targetILNS1_3genE9ELNS1_11target_archE1100ELNS1_3gpuE3ELNS1_3repE0EEENS1_30default_config_static_selectorELNS0_4arch9wavefront6targetE0EEEvSK_,comdat
.Lfunc_end1355:
	.size	_ZN7rocprim17ROCPRIM_400000_NS6detail17trampoline_kernelINS0_14default_configENS1_36segmented_radix_sort_config_selectorIflEEZNS1_25segmented_radix_sort_implIS3_Lb1EPKfPfPKlPlN2at6native12_GLOBAL__N_18offset_tEEE10hipError_tPvRmT1_PNSt15iterator_traitsISK_E10value_typeET2_T3_PNSL_ISQ_E10value_typeET4_jRbjT5_SW_jjP12ihipStream_tbEUlT_E2_NS1_11comp_targetILNS1_3genE9ELNS1_11target_archE1100ELNS1_3gpuE3ELNS1_3repE0EEENS1_30default_config_static_selectorELNS0_4arch9wavefront6targetE0EEEvSK_, .Lfunc_end1355-_ZN7rocprim17ROCPRIM_400000_NS6detail17trampoline_kernelINS0_14default_configENS1_36segmented_radix_sort_config_selectorIflEEZNS1_25segmented_radix_sort_implIS3_Lb1EPKfPfPKlPlN2at6native12_GLOBAL__N_18offset_tEEE10hipError_tPvRmT1_PNSt15iterator_traitsISK_E10value_typeET2_T3_PNSL_ISQ_E10value_typeET4_jRbjT5_SW_jjP12ihipStream_tbEUlT_E2_NS1_11comp_targetILNS1_3genE9ELNS1_11target_archE1100ELNS1_3gpuE3ELNS1_3repE0EEENS1_30default_config_static_selectorELNS0_4arch9wavefront6targetE0EEEvSK_
                                        ; -- End function
	.set _ZN7rocprim17ROCPRIM_400000_NS6detail17trampoline_kernelINS0_14default_configENS1_36segmented_radix_sort_config_selectorIflEEZNS1_25segmented_radix_sort_implIS3_Lb1EPKfPfPKlPlN2at6native12_GLOBAL__N_18offset_tEEE10hipError_tPvRmT1_PNSt15iterator_traitsISK_E10value_typeET2_T3_PNSL_ISQ_E10value_typeET4_jRbjT5_SW_jjP12ihipStream_tbEUlT_E2_NS1_11comp_targetILNS1_3genE9ELNS1_11target_archE1100ELNS1_3gpuE3ELNS1_3repE0EEENS1_30default_config_static_selectorELNS0_4arch9wavefront6targetE0EEEvSK_.num_vgpr, 0
	.set _ZN7rocprim17ROCPRIM_400000_NS6detail17trampoline_kernelINS0_14default_configENS1_36segmented_radix_sort_config_selectorIflEEZNS1_25segmented_radix_sort_implIS3_Lb1EPKfPfPKlPlN2at6native12_GLOBAL__N_18offset_tEEE10hipError_tPvRmT1_PNSt15iterator_traitsISK_E10value_typeET2_T3_PNSL_ISQ_E10value_typeET4_jRbjT5_SW_jjP12ihipStream_tbEUlT_E2_NS1_11comp_targetILNS1_3genE9ELNS1_11target_archE1100ELNS1_3gpuE3ELNS1_3repE0EEENS1_30default_config_static_selectorELNS0_4arch9wavefront6targetE0EEEvSK_.num_agpr, 0
	.set _ZN7rocprim17ROCPRIM_400000_NS6detail17trampoline_kernelINS0_14default_configENS1_36segmented_radix_sort_config_selectorIflEEZNS1_25segmented_radix_sort_implIS3_Lb1EPKfPfPKlPlN2at6native12_GLOBAL__N_18offset_tEEE10hipError_tPvRmT1_PNSt15iterator_traitsISK_E10value_typeET2_T3_PNSL_ISQ_E10value_typeET4_jRbjT5_SW_jjP12ihipStream_tbEUlT_E2_NS1_11comp_targetILNS1_3genE9ELNS1_11target_archE1100ELNS1_3gpuE3ELNS1_3repE0EEENS1_30default_config_static_selectorELNS0_4arch9wavefront6targetE0EEEvSK_.numbered_sgpr, 0
	.set _ZN7rocprim17ROCPRIM_400000_NS6detail17trampoline_kernelINS0_14default_configENS1_36segmented_radix_sort_config_selectorIflEEZNS1_25segmented_radix_sort_implIS3_Lb1EPKfPfPKlPlN2at6native12_GLOBAL__N_18offset_tEEE10hipError_tPvRmT1_PNSt15iterator_traitsISK_E10value_typeET2_T3_PNSL_ISQ_E10value_typeET4_jRbjT5_SW_jjP12ihipStream_tbEUlT_E2_NS1_11comp_targetILNS1_3genE9ELNS1_11target_archE1100ELNS1_3gpuE3ELNS1_3repE0EEENS1_30default_config_static_selectorELNS0_4arch9wavefront6targetE0EEEvSK_.num_named_barrier, 0
	.set _ZN7rocprim17ROCPRIM_400000_NS6detail17trampoline_kernelINS0_14default_configENS1_36segmented_radix_sort_config_selectorIflEEZNS1_25segmented_radix_sort_implIS3_Lb1EPKfPfPKlPlN2at6native12_GLOBAL__N_18offset_tEEE10hipError_tPvRmT1_PNSt15iterator_traitsISK_E10value_typeET2_T3_PNSL_ISQ_E10value_typeET4_jRbjT5_SW_jjP12ihipStream_tbEUlT_E2_NS1_11comp_targetILNS1_3genE9ELNS1_11target_archE1100ELNS1_3gpuE3ELNS1_3repE0EEENS1_30default_config_static_selectorELNS0_4arch9wavefront6targetE0EEEvSK_.private_seg_size, 0
	.set _ZN7rocprim17ROCPRIM_400000_NS6detail17trampoline_kernelINS0_14default_configENS1_36segmented_radix_sort_config_selectorIflEEZNS1_25segmented_radix_sort_implIS3_Lb1EPKfPfPKlPlN2at6native12_GLOBAL__N_18offset_tEEE10hipError_tPvRmT1_PNSt15iterator_traitsISK_E10value_typeET2_T3_PNSL_ISQ_E10value_typeET4_jRbjT5_SW_jjP12ihipStream_tbEUlT_E2_NS1_11comp_targetILNS1_3genE9ELNS1_11target_archE1100ELNS1_3gpuE3ELNS1_3repE0EEENS1_30default_config_static_selectorELNS0_4arch9wavefront6targetE0EEEvSK_.uses_vcc, 0
	.set _ZN7rocprim17ROCPRIM_400000_NS6detail17trampoline_kernelINS0_14default_configENS1_36segmented_radix_sort_config_selectorIflEEZNS1_25segmented_radix_sort_implIS3_Lb1EPKfPfPKlPlN2at6native12_GLOBAL__N_18offset_tEEE10hipError_tPvRmT1_PNSt15iterator_traitsISK_E10value_typeET2_T3_PNSL_ISQ_E10value_typeET4_jRbjT5_SW_jjP12ihipStream_tbEUlT_E2_NS1_11comp_targetILNS1_3genE9ELNS1_11target_archE1100ELNS1_3gpuE3ELNS1_3repE0EEENS1_30default_config_static_selectorELNS0_4arch9wavefront6targetE0EEEvSK_.uses_flat_scratch, 0
	.set _ZN7rocprim17ROCPRIM_400000_NS6detail17trampoline_kernelINS0_14default_configENS1_36segmented_radix_sort_config_selectorIflEEZNS1_25segmented_radix_sort_implIS3_Lb1EPKfPfPKlPlN2at6native12_GLOBAL__N_18offset_tEEE10hipError_tPvRmT1_PNSt15iterator_traitsISK_E10value_typeET2_T3_PNSL_ISQ_E10value_typeET4_jRbjT5_SW_jjP12ihipStream_tbEUlT_E2_NS1_11comp_targetILNS1_3genE9ELNS1_11target_archE1100ELNS1_3gpuE3ELNS1_3repE0EEENS1_30default_config_static_selectorELNS0_4arch9wavefront6targetE0EEEvSK_.has_dyn_sized_stack, 0
	.set _ZN7rocprim17ROCPRIM_400000_NS6detail17trampoline_kernelINS0_14default_configENS1_36segmented_radix_sort_config_selectorIflEEZNS1_25segmented_radix_sort_implIS3_Lb1EPKfPfPKlPlN2at6native12_GLOBAL__N_18offset_tEEE10hipError_tPvRmT1_PNSt15iterator_traitsISK_E10value_typeET2_T3_PNSL_ISQ_E10value_typeET4_jRbjT5_SW_jjP12ihipStream_tbEUlT_E2_NS1_11comp_targetILNS1_3genE9ELNS1_11target_archE1100ELNS1_3gpuE3ELNS1_3repE0EEENS1_30default_config_static_selectorELNS0_4arch9wavefront6targetE0EEEvSK_.has_recursion, 0
	.set _ZN7rocprim17ROCPRIM_400000_NS6detail17trampoline_kernelINS0_14default_configENS1_36segmented_radix_sort_config_selectorIflEEZNS1_25segmented_radix_sort_implIS3_Lb1EPKfPfPKlPlN2at6native12_GLOBAL__N_18offset_tEEE10hipError_tPvRmT1_PNSt15iterator_traitsISK_E10value_typeET2_T3_PNSL_ISQ_E10value_typeET4_jRbjT5_SW_jjP12ihipStream_tbEUlT_E2_NS1_11comp_targetILNS1_3genE9ELNS1_11target_archE1100ELNS1_3gpuE3ELNS1_3repE0EEENS1_30default_config_static_selectorELNS0_4arch9wavefront6targetE0EEEvSK_.has_indirect_call, 0
	.section	.AMDGPU.csdata,"",@progbits
; Kernel info:
; codeLenInByte = 0
; TotalNumSgprs: 0
; NumVgprs: 0
; ScratchSize: 0
; MemoryBound: 0
; FloatMode: 240
; IeeeMode: 1
; LDSByteSize: 0 bytes/workgroup (compile time only)
; SGPRBlocks: 0
; VGPRBlocks: 0
; NumSGPRsForWavesPerEU: 1
; NumVGPRsForWavesPerEU: 1
; NamedBarCnt: 0
; Occupancy: 16
; WaveLimiterHint : 0
; COMPUTE_PGM_RSRC2:SCRATCH_EN: 0
; COMPUTE_PGM_RSRC2:USER_SGPR: 2
; COMPUTE_PGM_RSRC2:TRAP_HANDLER: 0
; COMPUTE_PGM_RSRC2:TGID_X_EN: 1
; COMPUTE_PGM_RSRC2:TGID_Y_EN: 0
; COMPUTE_PGM_RSRC2:TGID_Z_EN: 0
; COMPUTE_PGM_RSRC2:TIDIG_COMP_CNT: 0
	.section	.text._ZN7rocprim17ROCPRIM_400000_NS6detail17trampoline_kernelINS0_14default_configENS1_36segmented_radix_sort_config_selectorIflEEZNS1_25segmented_radix_sort_implIS3_Lb1EPKfPfPKlPlN2at6native12_GLOBAL__N_18offset_tEEE10hipError_tPvRmT1_PNSt15iterator_traitsISK_E10value_typeET2_T3_PNSL_ISQ_E10value_typeET4_jRbjT5_SW_jjP12ihipStream_tbEUlT_E2_NS1_11comp_targetILNS1_3genE8ELNS1_11target_archE1030ELNS1_3gpuE2ELNS1_3repE0EEENS1_30default_config_static_selectorELNS0_4arch9wavefront6targetE0EEEvSK_,"axG",@progbits,_ZN7rocprim17ROCPRIM_400000_NS6detail17trampoline_kernelINS0_14default_configENS1_36segmented_radix_sort_config_selectorIflEEZNS1_25segmented_radix_sort_implIS3_Lb1EPKfPfPKlPlN2at6native12_GLOBAL__N_18offset_tEEE10hipError_tPvRmT1_PNSt15iterator_traitsISK_E10value_typeET2_T3_PNSL_ISQ_E10value_typeET4_jRbjT5_SW_jjP12ihipStream_tbEUlT_E2_NS1_11comp_targetILNS1_3genE8ELNS1_11target_archE1030ELNS1_3gpuE2ELNS1_3repE0EEENS1_30default_config_static_selectorELNS0_4arch9wavefront6targetE0EEEvSK_,comdat
	.globl	_ZN7rocprim17ROCPRIM_400000_NS6detail17trampoline_kernelINS0_14default_configENS1_36segmented_radix_sort_config_selectorIflEEZNS1_25segmented_radix_sort_implIS3_Lb1EPKfPfPKlPlN2at6native12_GLOBAL__N_18offset_tEEE10hipError_tPvRmT1_PNSt15iterator_traitsISK_E10value_typeET2_T3_PNSL_ISQ_E10value_typeET4_jRbjT5_SW_jjP12ihipStream_tbEUlT_E2_NS1_11comp_targetILNS1_3genE8ELNS1_11target_archE1030ELNS1_3gpuE2ELNS1_3repE0EEENS1_30default_config_static_selectorELNS0_4arch9wavefront6targetE0EEEvSK_ ; -- Begin function _ZN7rocprim17ROCPRIM_400000_NS6detail17trampoline_kernelINS0_14default_configENS1_36segmented_radix_sort_config_selectorIflEEZNS1_25segmented_radix_sort_implIS3_Lb1EPKfPfPKlPlN2at6native12_GLOBAL__N_18offset_tEEE10hipError_tPvRmT1_PNSt15iterator_traitsISK_E10value_typeET2_T3_PNSL_ISQ_E10value_typeET4_jRbjT5_SW_jjP12ihipStream_tbEUlT_E2_NS1_11comp_targetILNS1_3genE8ELNS1_11target_archE1030ELNS1_3gpuE2ELNS1_3repE0EEENS1_30default_config_static_selectorELNS0_4arch9wavefront6targetE0EEEvSK_
	.p2align	8
	.type	_ZN7rocprim17ROCPRIM_400000_NS6detail17trampoline_kernelINS0_14default_configENS1_36segmented_radix_sort_config_selectorIflEEZNS1_25segmented_radix_sort_implIS3_Lb1EPKfPfPKlPlN2at6native12_GLOBAL__N_18offset_tEEE10hipError_tPvRmT1_PNSt15iterator_traitsISK_E10value_typeET2_T3_PNSL_ISQ_E10value_typeET4_jRbjT5_SW_jjP12ihipStream_tbEUlT_E2_NS1_11comp_targetILNS1_3genE8ELNS1_11target_archE1030ELNS1_3gpuE2ELNS1_3repE0EEENS1_30default_config_static_selectorELNS0_4arch9wavefront6targetE0EEEvSK_,@function
_ZN7rocprim17ROCPRIM_400000_NS6detail17trampoline_kernelINS0_14default_configENS1_36segmented_radix_sort_config_selectorIflEEZNS1_25segmented_radix_sort_implIS3_Lb1EPKfPfPKlPlN2at6native12_GLOBAL__N_18offset_tEEE10hipError_tPvRmT1_PNSt15iterator_traitsISK_E10value_typeET2_T3_PNSL_ISQ_E10value_typeET4_jRbjT5_SW_jjP12ihipStream_tbEUlT_E2_NS1_11comp_targetILNS1_3genE8ELNS1_11target_archE1030ELNS1_3gpuE2ELNS1_3repE0EEENS1_30default_config_static_selectorELNS0_4arch9wavefront6targetE0EEEvSK_: ; @_ZN7rocprim17ROCPRIM_400000_NS6detail17trampoline_kernelINS0_14default_configENS1_36segmented_radix_sort_config_selectorIflEEZNS1_25segmented_radix_sort_implIS3_Lb1EPKfPfPKlPlN2at6native12_GLOBAL__N_18offset_tEEE10hipError_tPvRmT1_PNSt15iterator_traitsISK_E10value_typeET2_T3_PNSL_ISQ_E10value_typeET4_jRbjT5_SW_jjP12ihipStream_tbEUlT_E2_NS1_11comp_targetILNS1_3genE8ELNS1_11target_archE1030ELNS1_3gpuE2ELNS1_3repE0EEENS1_30default_config_static_selectorELNS0_4arch9wavefront6targetE0EEEvSK_
; %bb.0:
	.section	.rodata,"a",@progbits
	.p2align	6, 0x0
	.amdhsa_kernel _ZN7rocprim17ROCPRIM_400000_NS6detail17trampoline_kernelINS0_14default_configENS1_36segmented_radix_sort_config_selectorIflEEZNS1_25segmented_radix_sort_implIS3_Lb1EPKfPfPKlPlN2at6native12_GLOBAL__N_18offset_tEEE10hipError_tPvRmT1_PNSt15iterator_traitsISK_E10value_typeET2_T3_PNSL_ISQ_E10value_typeET4_jRbjT5_SW_jjP12ihipStream_tbEUlT_E2_NS1_11comp_targetILNS1_3genE8ELNS1_11target_archE1030ELNS1_3gpuE2ELNS1_3repE0EEENS1_30default_config_static_selectorELNS0_4arch9wavefront6targetE0EEEvSK_
		.amdhsa_group_segment_fixed_size 0
		.amdhsa_private_segment_fixed_size 0
		.amdhsa_kernarg_size 80
		.amdhsa_user_sgpr_count 2
		.amdhsa_user_sgpr_dispatch_ptr 0
		.amdhsa_user_sgpr_queue_ptr 0
		.amdhsa_user_sgpr_kernarg_segment_ptr 1
		.amdhsa_user_sgpr_dispatch_id 0
		.amdhsa_user_sgpr_kernarg_preload_length 0
		.amdhsa_user_sgpr_kernarg_preload_offset 0
		.amdhsa_user_sgpr_private_segment_size 0
		.amdhsa_wavefront_size32 1
		.amdhsa_uses_dynamic_stack 0
		.amdhsa_enable_private_segment 0
		.amdhsa_system_sgpr_workgroup_id_x 1
		.amdhsa_system_sgpr_workgroup_id_y 0
		.amdhsa_system_sgpr_workgroup_id_z 0
		.amdhsa_system_sgpr_workgroup_info 0
		.amdhsa_system_vgpr_workitem_id 0
		.amdhsa_next_free_vgpr 1
		.amdhsa_next_free_sgpr 1
		.amdhsa_named_barrier_count 0
		.amdhsa_reserve_vcc 0
		.amdhsa_float_round_mode_32 0
		.amdhsa_float_round_mode_16_64 0
		.amdhsa_float_denorm_mode_32 3
		.amdhsa_float_denorm_mode_16_64 3
		.amdhsa_fp16_overflow 0
		.amdhsa_memory_ordered 1
		.amdhsa_forward_progress 1
		.amdhsa_inst_pref_size 0
		.amdhsa_round_robin_scheduling 0
		.amdhsa_exception_fp_ieee_invalid_op 0
		.amdhsa_exception_fp_denorm_src 0
		.amdhsa_exception_fp_ieee_div_zero 0
		.amdhsa_exception_fp_ieee_overflow 0
		.amdhsa_exception_fp_ieee_underflow 0
		.amdhsa_exception_fp_ieee_inexact 0
		.amdhsa_exception_int_div_zero 0
	.end_amdhsa_kernel
	.section	.text._ZN7rocprim17ROCPRIM_400000_NS6detail17trampoline_kernelINS0_14default_configENS1_36segmented_radix_sort_config_selectorIflEEZNS1_25segmented_radix_sort_implIS3_Lb1EPKfPfPKlPlN2at6native12_GLOBAL__N_18offset_tEEE10hipError_tPvRmT1_PNSt15iterator_traitsISK_E10value_typeET2_T3_PNSL_ISQ_E10value_typeET4_jRbjT5_SW_jjP12ihipStream_tbEUlT_E2_NS1_11comp_targetILNS1_3genE8ELNS1_11target_archE1030ELNS1_3gpuE2ELNS1_3repE0EEENS1_30default_config_static_selectorELNS0_4arch9wavefront6targetE0EEEvSK_,"axG",@progbits,_ZN7rocprim17ROCPRIM_400000_NS6detail17trampoline_kernelINS0_14default_configENS1_36segmented_radix_sort_config_selectorIflEEZNS1_25segmented_radix_sort_implIS3_Lb1EPKfPfPKlPlN2at6native12_GLOBAL__N_18offset_tEEE10hipError_tPvRmT1_PNSt15iterator_traitsISK_E10value_typeET2_T3_PNSL_ISQ_E10value_typeET4_jRbjT5_SW_jjP12ihipStream_tbEUlT_E2_NS1_11comp_targetILNS1_3genE8ELNS1_11target_archE1030ELNS1_3gpuE2ELNS1_3repE0EEENS1_30default_config_static_selectorELNS0_4arch9wavefront6targetE0EEEvSK_,comdat
.Lfunc_end1356:
	.size	_ZN7rocprim17ROCPRIM_400000_NS6detail17trampoline_kernelINS0_14default_configENS1_36segmented_radix_sort_config_selectorIflEEZNS1_25segmented_radix_sort_implIS3_Lb1EPKfPfPKlPlN2at6native12_GLOBAL__N_18offset_tEEE10hipError_tPvRmT1_PNSt15iterator_traitsISK_E10value_typeET2_T3_PNSL_ISQ_E10value_typeET4_jRbjT5_SW_jjP12ihipStream_tbEUlT_E2_NS1_11comp_targetILNS1_3genE8ELNS1_11target_archE1030ELNS1_3gpuE2ELNS1_3repE0EEENS1_30default_config_static_selectorELNS0_4arch9wavefront6targetE0EEEvSK_, .Lfunc_end1356-_ZN7rocprim17ROCPRIM_400000_NS6detail17trampoline_kernelINS0_14default_configENS1_36segmented_radix_sort_config_selectorIflEEZNS1_25segmented_radix_sort_implIS3_Lb1EPKfPfPKlPlN2at6native12_GLOBAL__N_18offset_tEEE10hipError_tPvRmT1_PNSt15iterator_traitsISK_E10value_typeET2_T3_PNSL_ISQ_E10value_typeET4_jRbjT5_SW_jjP12ihipStream_tbEUlT_E2_NS1_11comp_targetILNS1_3genE8ELNS1_11target_archE1030ELNS1_3gpuE2ELNS1_3repE0EEENS1_30default_config_static_selectorELNS0_4arch9wavefront6targetE0EEEvSK_
                                        ; -- End function
	.set _ZN7rocprim17ROCPRIM_400000_NS6detail17trampoline_kernelINS0_14default_configENS1_36segmented_radix_sort_config_selectorIflEEZNS1_25segmented_radix_sort_implIS3_Lb1EPKfPfPKlPlN2at6native12_GLOBAL__N_18offset_tEEE10hipError_tPvRmT1_PNSt15iterator_traitsISK_E10value_typeET2_T3_PNSL_ISQ_E10value_typeET4_jRbjT5_SW_jjP12ihipStream_tbEUlT_E2_NS1_11comp_targetILNS1_3genE8ELNS1_11target_archE1030ELNS1_3gpuE2ELNS1_3repE0EEENS1_30default_config_static_selectorELNS0_4arch9wavefront6targetE0EEEvSK_.num_vgpr, 0
	.set _ZN7rocprim17ROCPRIM_400000_NS6detail17trampoline_kernelINS0_14default_configENS1_36segmented_radix_sort_config_selectorIflEEZNS1_25segmented_radix_sort_implIS3_Lb1EPKfPfPKlPlN2at6native12_GLOBAL__N_18offset_tEEE10hipError_tPvRmT1_PNSt15iterator_traitsISK_E10value_typeET2_T3_PNSL_ISQ_E10value_typeET4_jRbjT5_SW_jjP12ihipStream_tbEUlT_E2_NS1_11comp_targetILNS1_3genE8ELNS1_11target_archE1030ELNS1_3gpuE2ELNS1_3repE0EEENS1_30default_config_static_selectorELNS0_4arch9wavefront6targetE0EEEvSK_.num_agpr, 0
	.set _ZN7rocprim17ROCPRIM_400000_NS6detail17trampoline_kernelINS0_14default_configENS1_36segmented_radix_sort_config_selectorIflEEZNS1_25segmented_radix_sort_implIS3_Lb1EPKfPfPKlPlN2at6native12_GLOBAL__N_18offset_tEEE10hipError_tPvRmT1_PNSt15iterator_traitsISK_E10value_typeET2_T3_PNSL_ISQ_E10value_typeET4_jRbjT5_SW_jjP12ihipStream_tbEUlT_E2_NS1_11comp_targetILNS1_3genE8ELNS1_11target_archE1030ELNS1_3gpuE2ELNS1_3repE0EEENS1_30default_config_static_selectorELNS0_4arch9wavefront6targetE0EEEvSK_.numbered_sgpr, 0
	.set _ZN7rocprim17ROCPRIM_400000_NS6detail17trampoline_kernelINS0_14default_configENS1_36segmented_radix_sort_config_selectorIflEEZNS1_25segmented_radix_sort_implIS3_Lb1EPKfPfPKlPlN2at6native12_GLOBAL__N_18offset_tEEE10hipError_tPvRmT1_PNSt15iterator_traitsISK_E10value_typeET2_T3_PNSL_ISQ_E10value_typeET4_jRbjT5_SW_jjP12ihipStream_tbEUlT_E2_NS1_11comp_targetILNS1_3genE8ELNS1_11target_archE1030ELNS1_3gpuE2ELNS1_3repE0EEENS1_30default_config_static_selectorELNS0_4arch9wavefront6targetE0EEEvSK_.num_named_barrier, 0
	.set _ZN7rocprim17ROCPRIM_400000_NS6detail17trampoline_kernelINS0_14default_configENS1_36segmented_radix_sort_config_selectorIflEEZNS1_25segmented_radix_sort_implIS3_Lb1EPKfPfPKlPlN2at6native12_GLOBAL__N_18offset_tEEE10hipError_tPvRmT1_PNSt15iterator_traitsISK_E10value_typeET2_T3_PNSL_ISQ_E10value_typeET4_jRbjT5_SW_jjP12ihipStream_tbEUlT_E2_NS1_11comp_targetILNS1_3genE8ELNS1_11target_archE1030ELNS1_3gpuE2ELNS1_3repE0EEENS1_30default_config_static_selectorELNS0_4arch9wavefront6targetE0EEEvSK_.private_seg_size, 0
	.set _ZN7rocprim17ROCPRIM_400000_NS6detail17trampoline_kernelINS0_14default_configENS1_36segmented_radix_sort_config_selectorIflEEZNS1_25segmented_radix_sort_implIS3_Lb1EPKfPfPKlPlN2at6native12_GLOBAL__N_18offset_tEEE10hipError_tPvRmT1_PNSt15iterator_traitsISK_E10value_typeET2_T3_PNSL_ISQ_E10value_typeET4_jRbjT5_SW_jjP12ihipStream_tbEUlT_E2_NS1_11comp_targetILNS1_3genE8ELNS1_11target_archE1030ELNS1_3gpuE2ELNS1_3repE0EEENS1_30default_config_static_selectorELNS0_4arch9wavefront6targetE0EEEvSK_.uses_vcc, 0
	.set _ZN7rocprim17ROCPRIM_400000_NS6detail17trampoline_kernelINS0_14default_configENS1_36segmented_radix_sort_config_selectorIflEEZNS1_25segmented_radix_sort_implIS3_Lb1EPKfPfPKlPlN2at6native12_GLOBAL__N_18offset_tEEE10hipError_tPvRmT1_PNSt15iterator_traitsISK_E10value_typeET2_T3_PNSL_ISQ_E10value_typeET4_jRbjT5_SW_jjP12ihipStream_tbEUlT_E2_NS1_11comp_targetILNS1_3genE8ELNS1_11target_archE1030ELNS1_3gpuE2ELNS1_3repE0EEENS1_30default_config_static_selectorELNS0_4arch9wavefront6targetE0EEEvSK_.uses_flat_scratch, 0
	.set _ZN7rocprim17ROCPRIM_400000_NS6detail17trampoline_kernelINS0_14default_configENS1_36segmented_radix_sort_config_selectorIflEEZNS1_25segmented_radix_sort_implIS3_Lb1EPKfPfPKlPlN2at6native12_GLOBAL__N_18offset_tEEE10hipError_tPvRmT1_PNSt15iterator_traitsISK_E10value_typeET2_T3_PNSL_ISQ_E10value_typeET4_jRbjT5_SW_jjP12ihipStream_tbEUlT_E2_NS1_11comp_targetILNS1_3genE8ELNS1_11target_archE1030ELNS1_3gpuE2ELNS1_3repE0EEENS1_30default_config_static_selectorELNS0_4arch9wavefront6targetE0EEEvSK_.has_dyn_sized_stack, 0
	.set _ZN7rocprim17ROCPRIM_400000_NS6detail17trampoline_kernelINS0_14default_configENS1_36segmented_radix_sort_config_selectorIflEEZNS1_25segmented_radix_sort_implIS3_Lb1EPKfPfPKlPlN2at6native12_GLOBAL__N_18offset_tEEE10hipError_tPvRmT1_PNSt15iterator_traitsISK_E10value_typeET2_T3_PNSL_ISQ_E10value_typeET4_jRbjT5_SW_jjP12ihipStream_tbEUlT_E2_NS1_11comp_targetILNS1_3genE8ELNS1_11target_archE1030ELNS1_3gpuE2ELNS1_3repE0EEENS1_30default_config_static_selectorELNS0_4arch9wavefront6targetE0EEEvSK_.has_recursion, 0
	.set _ZN7rocprim17ROCPRIM_400000_NS6detail17trampoline_kernelINS0_14default_configENS1_36segmented_radix_sort_config_selectorIflEEZNS1_25segmented_radix_sort_implIS3_Lb1EPKfPfPKlPlN2at6native12_GLOBAL__N_18offset_tEEE10hipError_tPvRmT1_PNSt15iterator_traitsISK_E10value_typeET2_T3_PNSL_ISQ_E10value_typeET4_jRbjT5_SW_jjP12ihipStream_tbEUlT_E2_NS1_11comp_targetILNS1_3genE8ELNS1_11target_archE1030ELNS1_3gpuE2ELNS1_3repE0EEENS1_30default_config_static_selectorELNS0_4arch9wavefront6targetE0EEEvSK_.has_indirect_call, 0
	.section	.AMDGPU.csdata,"",@progbits
; Kernel info:
; codeLenInByte = 0
; TotalNumSgprs: 0
; NumVgprs: 0
; ScratchSize: 0
; MemoryBound: 0
; FloatMode: 240
; IeeeMode: 1
; LDSByteSize: 0 bytes/workgroup (compile time only)
; SGPRBlocks: 0
; VGPRBlocks: 0
; NumSGPRsForWavesPerEU: 1
; NumVGPRsForWavesPerEU: 1
; NamedBarCnt: 0
; Occupancy: 16
; WaveLimiterHint : 0
; COMPUTE_PGM_RSRC2:SCRATCH_EN: 0
; COMPUTE_PGM_RSRC2:USER_SGPR: 2
; COMPUTE_PGM_RSRC2:TRAP_HANDLER: 0
; COMPUTE_PGM_RSRC2:TGID_X_EN: 1
; COMPUTE_PGM_RSRC2:TGID_Y_EN: 0
; COMPUTE_PGM_RSRC2:TGID_Z_EN: 0
; COMPUTE_PGM_RSRC2:TIDIG_COMP_CNT: 0
	.section	.text._ZN7rocprim17ROCPRIM_400000_NS6detail17trampoline_kernelINS0_13select_configILj256ELj13ELNS0_17block_load_methodE3ELS4_3ELS4_3ELNS0_20block_scan_algorithmE0ELj4294967295EEENS1_25partition_config_selectorILNS1_17partition_subalgoE4EjNS0_10empty_typeEbEEZZNS1_14partition_implILS8_4ELb0ES6_15HIP_vector_typeIjLj2EENS0_17counting_iteratorIjlEEPS9_SG_NS0_5tupleIJPjSI_NS0_16reverse_iteratorISI_EEEEENSH_IJSG_SG_SG_EEES9_SI_JZNS1_25segmented_radix_sort_implINS0_14default_configELb0EPKfPfPKlPlN2at6native12_GLOBAL__N_18offset_tEEE10hipError_tPvRmT1_PNSt15iterator_traitsIS12_E10value_typeET2_T3_PNS13_IS18_E10value_typeET4_jRbjT5_S1E_jjP12ihipStream_tbEUljE_ZNSN_ISO_Lb0ESQ_SR_ST_SU_SY_EESZ_S10_S11_S12_S16_S17_S18_S1B_S1C_jS1D_jS1E_S1E_jjS1G_bEUljE0_EEESZ_S10_S11_S18_S1C_S1E_T6_T7_T9_mT8_S1G_bDpT10_ENKUlT_T0_E_clISt17integral_constantIbLb0EES1U_EEDaS1P_S1Q_EUlS1P_E_NS1_11comp_targetILNS1_3genE0ELNS1_11target_archE4294967295ELNS1_3gpuE0ELNS1_3repE0EEENS1_30default_config_static_selectorELNS0_4arch9wavefront6targetE0EEEvS12_,"axG",@progbits,_ZN7rocprim17ROCPRIM_400000_NS6detail17trampoline_kernelINS0_13select_configILj256ELj13ELNS0_17block_load_methodE3ELS4_3ELS4_3ELNS0_20block_scan_algorithmE0ELj4294967295EEENS1_25partition_config_selectorILNS1_17partition_subalgoE4EjNS0_10empty_typeEbEEZZNS1_14partition_implILS8_4ELb0ES6_15HIP_vector_typeIjLj2EENS0_17counting_iteratorIjlEEPS9_SG_NS0_5tupleIJPjSI_NS0_16reverse_iteratorISI_EEEEENSH_IJSG_SG_SG_EEES9_SI_JZNS1_25segmented_radix_sort_implINS0_14default_configELb0EPKfPfPKlPlN2at6native12_GLOBAL__N_18offset_tEEE10hipError_tPvRmT1_PNSt15iterator_traitsIS12_E10value_typeET2_T3_PNS13_IS18_E10value_typeET4_jRbjT5_S1E_jjP12ihipStream_tbEUljE_ZNSN_ISO_Lb0ESQ_SR_ST_SU_SY_EESZ_S10_S11_S12_S16_S17_S18_S1B_S1C_jS1D_jS1E_S1E_jjS1G_bEUljE0_EEESZ_S10_S11_S18_S1C_S1E_T6_T7_T9_mT8_S1G_bDpT10_ENKUlT_T0_E_clISt17integral_constantIbLb0EES1U_EEDaS1P_S1Q_EUlS1P_E_NS1_11comp_targetILNS1_3genE0ELNS1_11target_archE4294967295ELNS1_3gpuE0ELNS1_3repE0EEENS1_30default_config_static_selectorELNS0_4arch9wavefront6targetE0EEEvS12_,comdat
	.globl	_ZN7rocprim17ROCPRIM_400000_NS6detail17trampoline_kernelINS0_13select_configILj256ELj13ELNS0_17block_load_methodE3ELS4_3ELS4_3ELNS0_20block_scan_algorithmE0ELj4294967295EEENS1_25partition_config_selectorILNS1_17partition_subalgoE4EjNS0_10empty_typeEbEEZZNS1_14partition_implILS8_4ELb0ES6_15HIP_vector_typeIjLj2EENS0_17counting_iteratorIjlEEPS9_SG_NS0_5tupleIJPjSI_NS0_16reverse_iteratorISI_EEEEENSH_IJSG_SG_SG_EEES9_SI_JZNS1_25segmented_radix_sort_implINS0_14default_configELb0EPKfPfPKlPlN2at6native12_GLOBAL__N_18offset_tEEE10hipError_tPvRmT1_PNSt15iterator_traitsIS12_E10value_typeET2_T3_PNS13_IS18_E10value_typeET4_jRbjT5_S1E_jjP12ihipStream_tbEUljE_ZNSN_ISO_Lb0ESQ_SR_ST_SU_SY_EESZ_S10_S11_S12_S16_S17_S18_S1B_S1C_jS1D_jS1E_S1E_jjS1G_bEUljE0_EEESZ_S10_S11_S18_S1C_S1E_T6_T7_T9_mT8_S1G_bDpT10_ENKUlT_T0_E_clISt17integral_constantIbLb0EES1U_EEDaS1P_S1Q_EUlS1P_E_NS1_11comp_targetILNS1_3genE0ELNS1_11target_archE4294967295ELNS1_3gpuE0ELNS1_3repE0EEENS1_30default_config_static_selectorELNS0_4arch9wavefront6targetE0EEEvS12_ ; -- Begin function _ZN7rocprim17ROCPRIM_400000_NS6detail17trampoline_kernelINS0_13select_configILj256ELj13ELNS0_17block_load_methodE3ELS4_3ELS4_3ELNS0_20block_scan_algorithmE0ELj4294967295EEENS1_25partition_config_selectorILNS1_17partition_subalgoE4EjNS0_10empty_typeEbEEZZNS1_14partition_implILS8_4ELb0ES6_15HIP_vector_typeIjLj2EENS0_17counting_iteratorIjlEEPS9_SG_NS0_5tupleIJPjSI_NS0_16reverse_iteratorISI_EEEEENSH_IJSG_SG_SG_EEES9_SI_JZNS1_25segmented_radix_sort_implINS0_14default_configELb0EPKfPfPKlPlN2at6native12_GLOBAL__N_18offset_tEEE10hipError_tPvRmT1_PNSt15iterator_traitsIS12_E10value_typeET2_T3_PNS13_IS18_E10value_typeET4_jRbjT5_S1E_jjP12ihipStream_tbEUljE_ZNSN_ISO_Lb0ESQ_SR_ST_SU_SY_EESZ_S10_S11_S12_S16_S17_S18_S1B_S1C_jS1D_jS1E_S1E_jjS1G_bEUljE0_EEESZ_S10_S11_S18_S1C_S1E_T6_T7_T9_mT8_S1G_bDpT10_ENKUlT_T0_E_clISt17integral_constantIbLb0EES1U_EEDaS1P_S1Q_EUlS1P_E_NS1_11comp_targetILNS1_3genE0ELNS1_11target_archE4294967295ELNS1_3gpuE0ELNS1_3repE0EEENS1_30default_config_static_selectorELNS0_4arch9wavefront6targetE0EEEvS12_
	.p2align	8
	.type	_ZN7rocprim17ROCPRIM_400000_NS6detail17trampoline_kernelINS0_13select_configILj256ELj13ELNS0_17block_load_methodE3ELS4_3ELS4_3ELNS0_20block_scan_algorithmE0ELj4294967295EEENS1_25partition_config_selectorILNS1_17partition_subalgoE4EjNS0_10empty_typeEbEEZZNS1_14partition_implILS8_4ELb0ES6_15HIP_vector_typeIjLj2EENS0_17counting_iteratorIjlEEPS9_SG_NS0_5tupleIJPjSI_NS0_16reverse_iteratorISI_EEEEENSH_IJSG_SG_SG_EEES9_SI_JZNS1_25segmented_radix_sort_implINS0_14default_configELb0EPKfPfPKlPlN2at6native12_GLOBAL__N_18offset_tEEE10hipError_tPvRmT1_PNSt15iterator_traitsIS12_E10value_typeET2_T3_PNS13_IS18_E10value_typeET4_jRbjT5_S1E_jjP12ihipStream_tbEUljE_ZNSN_ISO_Lb0ESQ_SR_ST_SU_SY_EESZ_S10_S11_S12_S16_S17_S18_S1B_S1C_jS1D_jS1E_S1E_jjS1G_bEUljE0_EEESZ_S10_S11_S18_S1C_S1E_T6_T7_T9_mT8_S1G_bDpT10_ENKUlT_T0_E_clISt17integral_constantIbLb0EES1U_EEDaS1P_S1Q_EUlS1P_E_NS1_11comp_targetILNS1_3genE0ELNS1_11target_archE4294967295ELNS1_3gpuE0ELNS1_3repE0EEENS1_30default_config_static_selectorELNS0_4arch9wavefront6targetE0EEEvS12_,@function
_ZN7rocprim17ROCPRIM_400000_NS6detail17trampoline_kernelINS0_13select_configILj256ELj13ELNS0_17block_load_methodE3ELS4_3ELS4_3ELNS0_20block_scan_algorithmE0ELj4294967295EEENS1_25partition_config_selectorILNS1_17partition_subalgoE4EjNS0_10empty_typeEbEEZZNS1_14partition_implILS8_4ELb0ES6_15HIP_vector_typeIjLj2EENS0_17counting_iteratorIjlEEPS9_SG_NS0_5tupleIJPjSI_NS0_16reverse_iteratorISI_EEEEENSH_IJSG_SG_SG_EEES9_SI_JZNS1_25segmented_radix_sort_implINS0_14default_configELb0EPKfPfPKlPlN2at6native12_GLOBAL__N_18offset_tEEE10hipError_tPvRmT1_PNSt15iterator_traitsIS12_E10value_typeET2_T3_PNS13_IS18_E10value_typeET4_jRbjT5_S1E_jjP12ihipStream_tbEUljE_ZNSN_ISO_Lb0ESQ_SR_ST_SU_SY_EESZ_S10_S11_S12_S16_S17_S18_S1B_S1C_jS1D_jS1E_S1E_jjS1G_bEUljE0_EEESZ_S10_S11_S18_S1C_S1E_T6_T7_T9_mT8_S1G_bDpT10_ENKUlT_T0_E_clISt17integral_constantIbLb0EES1U_EEDaS1P_S1Q_EUlS1P_E_NS1_11comp_targetILNS1_3genE0ELNS1_11target_archE4294967295ELNS1_3gpuE0ELNS1_3repE0EEENS1_30default_config_static_selectorELNS0_4arch9wavefront6targetE0EEEvS12_: ; @_ZN7rocprim17ROCPRIM_400000_NS6detail17trampoline_kernelINS0_13select_configILj256ELj13ELNS0_17block_load_methodE3ELS4_3ELS4_3ELNS0_20block_scan_algorithmE0ELj4294967295EEENS1_25partition_config_selectorILNS1_17partition_subalgoE4EjNS0_10empty_typeEbEEZZNS1_14partition_implILS8_4ELb0ES6_15HIP_vector_typeIjLj2EENS0_17counting_iteratorIjlEEPS9_SG_NS0_5tupleIJPjSI_NS0_16reverse_iteratorISI_EEEEENSH_IJSG_SG_SG_EEES9_SI_JZNS1_25segmented_radix_sort_implINS0_14default_configELb0EPKfPfPKlPlN2at6native12_GLOBAL__N_18offset_tEEE10hipError_tPvRmT1_PNSt15iterator_traitsIS12_E10value_typeET2_T3_PNS13_IS18_E10value_typeET4_jRbjT5_S1E_jjP12ihipStream_tbEUljE_ZNSN_ISO_Lb0ESQ_SR_ST_SU_SY_EESZ_S10_S11_S12_S16_S17_S18_S1B_S1C_jS1D_jS1E_S1E_jjS1G_bEUljE0_EEESZ_S10_S11_S18_S1C_S1E_T6_T7_T9_mT8_S1G_bDpT10_ENKUlT_T0_E_clISt17integral_constantIbLb0EES1U_EEDaS1P_S1Q_EUlS1P_E_NS1_11comp_targetILNS1_3genE0ELNS1_11target_archE4294967295ELNS1_3gpuE0ELNS1_3repE0EEENS1_30default_config_static_selectorELNS0_4arch9wavefront6targetE0EEEvS12_
; %bb.0:
	s_clause 0x4
	s_load_b128 s[24:27], s[0:1], 0x58
	s_load_b32 s4, s[0:1], 0x80
	s_load_b64 s[34:35], s[0:1], 0x10
	s_load_b64 s[2:3], s[0:1], 0x68
	s_load_b32 s8, s[0:1], 0x8
	s_bfe_u32 s5, ttmp6, 0x4000c
	s_and_b32 s6, ttmp6, 15
	s_add_co_i32 s5, s5, 1
	s_getreg_b32 s7, hwreg(HW_REG_IB_STS2, 6, 4)
	s_mul_i32 s5, ttmp9, s5
	s_load_b64 s[42:43], s[0:1], 0xa8
	s_add_co_i32 s6, s6, s5
	s_cmp_eq_u32 s7, 0
	s_load_b256 s[16:23], s[0:1], 0x88
	s_cselect_b32 s33, ttmp9, s6
	s_mov_b32 s5, 0
	s_mul_i32 s40, s33, 0xd00
	s_wait_kmcnt 0x0
	s_add_co_i32 s9, s4, -1
	s_mulk_i32 s4, 0xd00
	s_load_b128 s[28:31], s[26:27], 0x0
	s_cmp_eq_u32 s33, s9
	s_add_nc_u64 s[6:7], s[34:35], s[4:5]
	s_cselect_b32 s15, -1, 0
	s_cmp_lg_u32 s33, s9
	v_cmp_gt_u64_e64 s3, s[2:3], s[6:7]
	s_cselect_b32 s5, -1, 0
	s_add_co_i32 s6, s8, s40
	s_delay_alu instid0(SALU_CYCLE_1) | instskip(NEXT) | instid1(SALU_CYCLE_1)
	s_add_co_i32 s6, s6, s34
	v_add_nc_u32_e32 v1, s6, v0
	s_or_b32 s3, s5, s3
	s_mov_b32 s5, -1
	s_and_b32 vcc_lo, exec_lo, s3
	s_delay_alu instid0(VALU_DEP_1)
	v_add_nc_u32_e32 v2, 0x100, v1
	v_add_nc_u32_e32 v3, 0x200, v1
	;; [unrolled: 1-line block ×12, first 2 shown]
	s_cbranch_vccz .LBB1357_2
; %bb.1:
	v_lshlrev_b32_e32 v14, 2, v0
	s_mov_b32 s5, 0
	ds_store_2addr_stride64_b32 v14, v1, v2 offset1:4
	ds_store_2addr_stride64_b32 v14, v3, v4 offset0:8 offset1:12
	ds_store_2addr_stride64_b32 v14, v5, v6 offset0:16 offset1:20
	;; [unrolled: 1-line block ×5, first 2 shown]
	ds_store_b32 v14, v13 offset:12288
	s_wait_dscnt 0x0
	s_barrier_signal -1
	s_barrier_wait -1
.LBB1357_2:
	s_and_not1_b32 vcc_lo, exec_lo, s5
	s_add_co_i32 s4, s4, s34
	s_cbranch_vccnz .LBB1357_4
; %bb.3:
	v_lshlrev_b32_e32 v14, 2, v0
	ds_store_2addr_stride64_b32 v14, v1, v2 offset1:4
	ds_store_2addr_stride64_b32 v14, v3, v4 offset0:8 offset1:12
	ds_store_2addr_stride64_b32 v14, v5, v6 offset0:16 offset1:20
	;; [unrolled: 1-line block ×5, first 2 shown]
	ds_store_b32 v14, v13 offset:12288
	s_wait_dscnt 0x0
	s_barrier_signal -1
	s_barrier_wait -1
.LBB1357_4:
	v_mul_u32_u24_e32 v30, 13, v0
	s_load_b128 s[36:39], s[0:1], 0x28
	s_wait_xcnt 0x0
	s_load_b64 s[26:27], s[0:1], 0x38
	v_cndmask_b32_e64 v29, 0, 1, s3
	s_sub_co_i32 s41, s2, s4
	v_lshlrev_b32_e32 v1, 2, v30
	s_and_not1_b32 vcc_lo, exec_lo, s3
	ds_load_b32 v28, v1 offset:48
	ds_load_2addr_b32 v[10:11], v1 offset0:10 offset1:11
	ds_load_2addr_b32 v[12:13], v1 offset0:8 offset1:9
	;; [unrolled: 1-line block ×4, first 2 shown]
	ds_load_2addr_b32 v[20:21], v1 offset1:1
	ds_load_2addr_b32 v[18:19], v1 offset0:2 offset1:3
	s_wait_dscnt 0x0
	s_barrier_signal -1
	s_barrier_wait -1
	s_cbranch_vccnz .LBB1357_32
; %bb.5:
	v_dual_add_nc_u32 v1, s17, v20 :: v_dual_add_nc_u32 v2, s19, v20
	s_mov_b32 s45, 0
	s_mov_b32 s44, 0
	s_mov_b32 s3, exec_lo
	s_delay_alu instid0(VALU_DEP_1) | instskip(SKIP_1) | instid1(VALU_DEP_1)
	v_mul_lo_u32 v1, v1, s16
	v_mul_lo_u32 v2, v2, s18
	v_sub_nc_u32_e32 v1, v1, v2
	s_delay_alu instid0(VALU_DEP_1)
	v_cmp_lt_u32_e32 vcc_lo, s20, v1
	v_cmpx_ge_u32_e64 s20, v1
	s_cbranch_execz .LBB1357_7
; %bb.6:
	v_dual_add_nc_u32 v1, s22, v20 :: v_dual_add_nc_u32 v2, s42, v20
	s_delay_alu instid0(VALU_DEP_1) | instskip(NEXT) | instid1(VALU_DEP_2)
	v_mul_lo_u32 v1, v1, s21
	v_mul_lo_u32 v2, v2, s23
	s_delay_alu instid0(VALU_DEP_1) | instskip(NEXT) | instid1(VALU_DEP_1)
	v_sub_nc_u32_e32 v1, v1, v2
	v_cmp_lt_u32_e64 s2, s43, v1
	s_and_b32 s44, s2, exec_lo
.LBB1357_7:
	s_or_b32 exec_lo, exec_lo, s3
	v_dual_add_nc_u32 v1, s17, v21 :: v_dual_add_nc_u32 v2, s19, v21
	s_mov_b32 s4, exec_lo
	s_delay_alu instid0(VALU_DEP_1) | instskip(NEXT) | instid1(VALU_DEP_2)
	v_mul_lo_u32 v1, v1, s16
	v_mul_lo_u32 v2, v2, s18
	s_delay_alu instid0(VALU_DEP_1) | instskip(NEXT) | instid1(VALU_DEP_1)
	v_sub_nc_u32_e32 v1, v1, v2
	v_cmp_lt_u32_e64 s2, s20, v1
	v_cmpx_ge_u32_e64 s20, v1
	s_cbranch_execz .LBB1357_9
; %bb.8:
	v_dual_add_nc_u32 v1, s22, v21 :: v_dual_add_nc_u32 v2, s42, v21
	s_delay_alu instid0(VALU_DEP_1) | instskip(NEXT) | instid1(VALU_DEP_2)
	v_mul_lo_u32 v1, v1, s21
	v_mul_lo_u32 v2, v2, s23
	s_delay_alu instid0(VALU_DEP_1) | instskip(NEXT) | instid1(VALU_DEP_1)
	v_sub_nc_u32_e32 v1, v1, v2
	v_cmp_lt_u32_e64 s3, s43, v1
	s_and_b32 s45, s3, exec_lo
.LBB1357_9:
	s_or_b32 exec_lo, exec_lo, s4
	v_dual_add_nc_u32 v1, s17, v18 :: v_dual_add_nc_u32 v2, s19, v18
	s_mov_b32 s47, 0
	s_mov_b32 s46, 0
	s_mov_b32 s5, exec_lo
	s_delay_alu instid0(VALU_DEP_1) | instskip(SKIP_1) | instid1(VALU_DEP_1)
	v_mul_lo_u32 v1, v1, s16
	v_mul_lo_u32 v2, v2, s18
	v_sub_nc_u32_e32 v1, v1, v2
	s_delay_alu instid0(VALU_DEP_1)
	v_cmp_lt_u32_e64 s3, s20, v1
	v_cmpx_ge_u32_e64 s20, v1
	s_cbranch_execz .LBB1357_11
; %bb.10:
	v_dual_add_nc_u32 v1, s22, v18 :: v_dual_add_nc_u32 v2, s42, v18
	s_delay_alu instid0(VALU_DEP_1) | instskip(NEXT) | instid1(VALU_DEP_2)
	v_mul_lo_u32 v1, v1, s21
	v_mul_lo_u32 v2, v2, s23
	s_delay_alu instid0(VALU_DEP_1) | instskip(NEXT) | instid1(VALU_DEP_1)
	v_sub_nc_u32_e32 v1, v1, v2
	v_cmp_lt_u32_e64 s4, s43, v1
	s_and_b32 s46, s4, exec_lo
.LBB1357_11:
	s_or_b32 exec_lo, exec_lo, s5
	v_dual_add_nc_u32 v1, s17, v19 :: v_dual_add_nc_u32 v2, s19, v19
	s_mov_b32 s6, exec_lo
	s_delay_alu instid0(VALU_DEP_1) | instskip(NEXT) | instid1(VALU_DEP_2)
	v_mul_lo_u32 v1, v1, s16
	v_mul_lo_u32 v2, v2, s18
	s_delay_alu instid0(VALU_DEP_1) | instskip(NEXT) | instid1(VALU_DEP_1)
	v_sub_nc_u32_e32 v1, v1, v2
	v_cmp_lt_u32_e64 s4, s20, v1
	v_cmpx_ge_u32_e64 s20, v1
	s_cbranch_execz .LBB1357_13
; %bb.12:
	v_dual_add_nc_u32 v1, s22, v19 :: v_dual_add_nc_u32 v2, s42, v19
	s_delay_alu instid0(VALU_DEP_1) | instskip(NEXT) | instid1(VALU_DEP_2)
	v_mul_lo_u32 v1, v1, s21
	v_mul_lo_u32 v2, v2, s23
	s_delay_alu instid0(VALU_DEP_1) | instskip(NEXT) | instid1(VALU_DEP_1)
	v_sub_nc_u32_e32 v1, v1, v2
	v_cmp_lt_u32_e64 s5, s43, v1
	s_and_b32 s47, s5, exec_lo
.LBB1357_13:
	s_or_b32 exec_lo, exec_lo, s6
	v_dual_add_nc_u32 v1, s17, v16 :: v_dual_add_nc_u32 v2, s19, v16
	s_mov_b32 s49, 0
	s_mov_b32 s48, 0
	s_mov_b32 s7, exec_lo
	s_delay_alu instid0(VALU_DEP_1) | instskip(SKIP_1) | instid1(VALU_DEP_1)
	v_mul_lo_u32 v1, v1, s16
	v_mul_lo_u32 v2, v2, s18
	v_sub_nc_u32_e32 v1, v1, v2
	s_delay_alu instid0(VALU_DEP_1)
	v_cmp_lt_u32_e64 s5, s20, v1
	;; [unrolled: 44-line block ×6, first 2 shown]
	v_cmpx_ge_u32_e64 s20, v1
	s_cbranch_execz .LBB1357_31
; %bb.30:
	v_dual_add_nc_u32 v1, s22, v28 :: v_dual_add_nc_u32 v2, s42, v28
	s_delay_alu instid0(VALU_DEP_1) | instskip(NEXT) | instid1(VALU_DEP_2)
	v_mul_lo_u32 v1, v1, s21
	v_mul_lo_u32 v2, v2, s23
	s_delay_alu instid0(VALU_DEP_1) | instskip(NEXT) | instid1(VALU_DEP_1)
	v_sub_nc_u32_e32 v1, v1, v2
	v_cmp_lt_u32_e64 s14, s43, v1
	s_and_b32 s57, s14, exec_lo
.LBB1357_31:
	s_or_b32 exec_lo, exec_lo, s58
	v_cndmask_b32_e64 v2, 0, 1, s2
	v_cndmask_b32_e64 v4, 0, 1, s4
	v_cndmask_b32_e64 v1, 0, 1, vcc_lo
	v_cndmask_b32_e64 v3, 0, 1, s3
	v_cndmask_b32_e64 v6, 0, 1, s6
	v_lshlrev_b16 v2, 8, v2
	v_lshlrev_b16 v4, 8, v4
	v_cndmask_b32_e64 v8, 0, 1, s8
	v_cndmask_b32_e64 v22, 0, 1, s10
	;; [unrolled: 1-line block ×3, first 2 shown]
	v_or_b32_e32 v1, v1, v2
	v_or_b32_e32 v2, v3, v4
	v_cndmask_b32_e64 v4, 0, 1, s46
	v_cndmask_b32_e64 v5, 0, 1, s5
	;; [unrolled: 1-line block ×4, first 2 shown]
	v_lshlrev_b32_e32 v2, 16, v2
	v_and_b32_e32 v1, 0xffff, v1
	v_cndmask_b32_e64 v33, 0, 1, s50
	v_cndmask_b32_e64 v36, 0, 1, s48
	;; [unrolled: 1-line block ×4, first 2 shown]
	v_or_b32_e32 v31, v1, v2
	v_lshlrev_b16 v1, 8, v6
	v_lshlrev_b16 v2, 8, v8
	;; [unrolled: 1-line block ×5, first 2 shown]
	v_cndmask_b32_e64 v7, 0, 1, s7
	v_cndmask_b32_e64 v24, 0, 1, s56
	;; [unrolled: 1-line block ×6, first 2 shown]
	v_lshlrev_b16 v22, 8, v39
	v_or_b32_e32 v4, v37, v4
	v_or_b32_e32 v1, v5, v1
	;; [unrolled: 1-line block ×4, first 2 shown]
	v_lshlrev_b16 v8, 8, v36
	v_lshlrev_b16 v9, 8, v33
	v_cndmask_b32_e64 v26, 0, 1, s54
	v_cndmask_b32_e64 v32, 0, 1, s51
	v_lshlrev_b16 v23, 8, v24
	v_or_b32_e32 v3, v3, v8
	v_or_b32_e32 v8, v35, v9
	;; [unrolled: 1-line block ×4, first 2 shown]
	v_lshlrev_b16 v22, 8, v27
	v_and_b32_e32 v5, 0xffff, v5
	v_lshlrev_b32_e32 v4, 16, v4
	v_and_b32_e32 v1, 0xffff, v1
	v_and_b32_e32 v7, 0xffff, v7
	v_or_b32_e32 v9, v32, v22
	v_or_b32_e32 v22, v26, v23
	v_and_b32_e32 v3, 0xffff, v3
	v_dual_lshlrev_b32 v8, 16, v8 :: v_dual_lshlrev_b32 v2, 16, v2
	s_delay_alu instid0(VALU_DEP_4) | instskip(NEXT) | instid1(VALU_DEP_4)
	v_and_b32_e32 v9, 0xffff, v9
	v_lshlrev_b32_e32 v22, 16, v22
	v_lshlrev_b32_e32 v6, 16, v6
	v_cndmask_b32_e64 v34, 0, 1, s55
	v_cndmask_b32_e64 v38, 0, 1, s57
	v_or_b32_e32 v33, v1, v2
	v_or_b32_e32 v37, v7, v4
	;; [unrolled: 1-line block ×5, first 2 shown]
	s_load_b64 s[4:5], s[0:1], 0x78
	s_and_b32 vcc_lo, exec_lo, s52
	s_add_co_i32 s6, s41, 0xd00
	s_cbranch_vccnz .LBB1357_33
	s_branch .LBB1357_110
.LBB1357_32:
                                        ; implicit-def: $vgpr38
                                        ; implicit-def: $vgpr34
                                        ; implicit-def: $vgpr35
                                        ; implicit-def: $vgpr32
                                        ; implicit-def: $vgpr37
                                        ; implicit-def: $vgpr36
                                        ; implicit-def: $vgpr33
                                        ; implicit-def: $vgpr31
	s_load_b64 s[4:5], s[0:1], 0x78
	s_add_co_i32 s6, s41, 0xd00
	s_cbranch_execz .LBB1357_110
.LBB1357_33:
	v_dual_mov_b32 v2, 0 :: v_dual_mov_b32 v1, 0
	s_wait_xcnt 0x0
	s_mov_b32 s1, exec_lo
	v_cmpx_gt_u32_e64 s6, v30
	s_cbranch_execz .LBB1357_37
; %bb.34:
	v_dual_add_nc_u32 v1, s17, v20 :: v_dual_add_nc_u32 v2, s19, v20
	s_mov_b32 s3, 0
	s_mov_b32 s2, exec_lo
	s_delay_alu instid0(VALU_DEP_1) | instskip(NEXT) | instid1(VALU_DEP_2)
	v_mul_lo_u32 v1, v1, s16
	v_mul_lo_u32 v2, v2, s18
	s_delay_alu instid0(VALU_DEP_1) | instskip(NEXT) | instid1(VALU_DEP_1)
	v_sub_nc_u32_e32 v1, v1, v2
	v_cmp_lt_u32_e32 vcc_lo, s20, v1
	v_cmpx_ge_u32_e64 s20, v1
	s_cbranch_execz .LBB1357_36
; %bb.35:
	v_dual_add_nc_u32 v1, s22, v20 :: v_dual_add_nc_u32 v2, s42, v20
	s_delay_alu instid0(VALU_DEP_1) | instskip(NEXT) | instid1(VALU_DEP_2)
	v_mul_lo_u32 v1, v1, s21
	v_mul_lo_u32 v2, v2, s23
	s_delay_alu instid0(VALU_DEP_1) | instskip(NEXT) | instid1(VALU_DEP_1)
	v_sub_nc_u32_e32 v1, v1, v2
	v_cmp_lt_u32_e64 s0, s43, v1
	s_and_b32 s3, s0, exec_lo
.LBB1357_36:
	s_or_b32 exec_lo, exec_lo, s2
	v_cndmask_b32_e64 v2, 0, 1, s3
	v_cndmask_b32_e64 v1, 0, 1, vcc_lo
.LBB1357_37:
	s_or_b32 exec_lo, exec_lo, s1
	s_delay_alu instid0(VALU_DEP_2) | instskip(SKIP_2) | instid1(VALU_DEP_3)
	v_lshlrev_b16 v2, 8, v2
	v_add_nc_u32_e32 v3, 1, v30
	v_lshlrev_b16 v9, 8, 0
                                        ; implicit-def: $vgpr5
                                        ; implicit-def: $vgpr7
                                        ; implicit-def: $vgpr4
                                        ; implicit-def: $vgpr8
	v_and_b32_e32 v6, 0xffff, v2
	s_delay_alu instid0(VALU_DEP_3) | instskip(NEXT) | instid1(VALU_DEP_2)
	v_cmp_le_u32_e32 vcc_lo, s6, v3
                                        ; implicit-def: $vgpr3
                                        ; implicit-def: $vgpr2
	v_lshrrev_b32_e32 v22, 8, v6
	s_and_saveexec_b32 s0, vcc_lo
	s_delay_alu instid0(SALU_CYCLE_1)
	s_xor_b32 s0, exec_lo, s0
	s_cbranch_execz .LBB1357_39
; %bb.38:
	s_delay_alu instid0(VALU_DEP_1) | instskip(SKIP_3) | instid1(VALU_DEP_4)
	v_lshlrev_b16 v2, 8, v22
	v_bitop3_b16 v3, 0, v9, 0xff bitop3:0xec
	v_and_b32_e32 v8, 0xff, v1
                                        ; implicit-def: $vgpr1
                                        ; implicit-def: $vgpr9
                                        ; implicit-def: $vgpr22
	v_mov_b32_e32 v5, 0
	v_bitop3_b16 v6, v6, v2, 0xff bitop3:0xec
	v_mov_b32_e32 v2, 0
	v_and_b32_e32 v4, 0xffff, v3
	v_and_b32_e32 v3, 0xffff, v3
	s_delay_alu instid0(VALU_DEP_4)
	v_and_b32_e32 v7, 0xffff, v6
                                        ; implicit-def: $vgpr6
.LBB1357_39:
	s_and_not1_saveexec_b32 s1, s0
	s_cbranch_execz .LBB1357_43
; %bb.40:
	v_dual_add_nc_u32 v2, s17, v21 :: v_dual_add_nc_u32 v3, s19, v21
	s_mov_b32 s2, 0
	s_mov_b32 s3, exec_lo
	s_delay_alu instid0(VALU_DEP_1) | instskip(NEXT) | instid1(VALU_DEP_2)
	v_mul_lo_u32 v2, v2, s16
	v_mul_lo_u32 v3, v3, s18
	s_delay_alu instid0(VALU_DEP_1) | instskip(NEXT) | instid1(VALU_DEP_1)
	v_sub_nc_u32_e32 v2, v2, v3
	v_cmp_lt_u32_e32 vcc_lo, s20, v2
	v_cmpx_ge_u32_e64 s20, v2
	s_cbranch_execz .LBB1357_42
; %bb.41:
	v_dual_add_nc_u32 v2, s22, v21 :: v_dual_add_nc_u32 v3, s42, v21
	s_delay_alu instid0(VALU_DEP_1) | instskip(NEXT) | instid1(VALU_DEP_2)
	v_mul_lo_u32 v2, v2, s21
	v_mul_lo_u32 v3, v3, s23
	s_delay_alu instid0(VALU_DEP_1) | instskip(NEXT) | instid1(VALU_DEP_1)
	v_sub_nc_u32_e32 v2, v2, v3
	v_cmp_lt_u32_e64 s0, s43, v2
	s_and_b32 s2, s0, exec_lo
.LBB1357_42:
	s_or_b32 exec_lo, exec_lo, s3
	v_cndmask_b32_e64 v2, 0, 1, vcc_lo
	v_lshlrev_b16 v3, 8, v22
	v_cndmask_b32_e64 v7, 0, 1, s2
	v_mov_b32_e32 v5, 0
	s_delay_alu instid0(VALU_DEP_4) | instskip(NEXT) | instid1(VALU_DEP_4)
	v_lshlrev_b16 v2, 8, v2
	v_bitop3_b16 v3, v6, v3, 0xff bitop3:0xec
	v_bitop3_b16 v6, 0, v9, 0xff bitop3:0xec
	s_delay_alu instid0(VALU_DEP_3) | instskip(NEXT) | instid1(VALU_DEP_3)
	v_bitop3_b16 v1, v1, v2, 0xff bitop3:0xec
	v_and_b32_e32 v3, 0xffff, v3
	v_mov_b32_e32 v2, 0
	s_delay_alu instid0(VALU_DEP_4) | instskip(NEXT) | instid1(VALU_DEP_4)
	v_and_b32_e32 v4, 0xffff, v6
	v_and_b32_e32 v8, 0xffff, v1
	s_delay_alu instid0(VALU_DEP_4)
	v_lshl_or_b32 v7, v7, 16, v3
	v_and_b32_e32 v3, 0xffff, v6
.LBB1357_43:
	s_or_b32 exec_lo, exec_lo, s1
	s_delay_alu instid0(VALU_DEP_3) | instskip(NEXT) | instid1(VALU_DEP_1)
	v_dual_add_nc_u32 v1, 2, v30 :: v_dual_lshrrev_b32 v9, 8, v8
                                        ; implicit-def: $vgpr6
	v_cmp_le_u32_e32 vcc_lo, s6, v1
                                        ; implicit-def: $vgpr1
	s_and_saveexec_b32 s0, vcc_lo
	s_delay_alu instid0(SALU_CYCLE_1)
	s_xor_b32 s0, exec_lo, s0
	s_cbranch_execz .LBB1357_45
; %bb.44:
	v_lshlrev_b16 v1, 8, v9
	v_and_b32_e32 v9, 0xff0000, v7
	v_perm_b32 v4, v4, v4, 0x3060504
	s_delay_alu instid0(VALU_DEP_3) | instskip(NEXT) | instid1(VALU_DEP_1)
	v_bitop3_b16 v1, v8, v1, 0xff bitop3:0xec
	v_and_b32_e32 v1, 0xffff, v1
	s_delay_alu instid0(VALU_DEP_1)
	v_and_or_b32 v6, 0xff000000, v8, v1
	v_perm_b32 v1, v7, v9, 0x3020504
                                        ; implicit-def: $vgpr9
                                        ; implicit-def: $vgpr8
                                        ; implicit-def: $vgpr7
.LBB1357_45:
	s_and_not1_saveexec_b32 s1, s0
	s_cbranch_execz .LBB1357_49
; %bb.46:
	v_dual_add_nc_u32 v1, s17, v18 :: v_dual_add_nc_u32 v6, s19, v18
	s_mov_b32 s2, 0
	s_mov_b32 s3, exec_lo
	s_delay_alu instid0(VALU_DEP_1) | instskip(NEXT) | instid1(VALU_DEP_2)
	v_mul_lo_u32 v1, v1, s16
	v_mul_lo_u32 v6, v6, s18
	s_delay_alu instid0(VALU_DEP_1) | instskip(NEXT) | instid1(VALU_DEP_1)
	v_sub_nc_u32_e32 v1, v1, v6
	v_cmp_lt_u32_e32 vcc_lo, s20, v1
	v_cmpx_ge_u32_e64 s20, v1
	s_cbranch_execz .LBB1357_48
; %bb.47:
	v_dual_add_nc_u32 v1, s22, v18 :: v_dual_add_nc_u32 v6, s42, v18
	s_delay_alu instid0(VALU_DEP_1) | instskip(NEXT) | instid1(VALU_DEP_2)
	v_mul_lo_u32 v1, v1, s21
	v_mul_lo_u32 v6, v6, s23
	s_delay_alu instid0(VALU_DEP_1) | instskip(NEXT) | instid1(VALU_DEP_1)
	v_sub_nc_u32_e32 v1, v1, v6
	v_cmp_lt_u32_e64 s0, s43, v1
	s_and_b32 s2, s0, exec_lo
.LBB1357_48:
	s_or_b32 exec_lo, exec_lo, s3
	v_dual_lshrrev_b32 v1, 24, v8 :: v_dual_lshrrev_b32 v23, 8, v7
	v_cndmask_b32_e64 v6, 0, 1, s2
	v_cndmask_b32_e64 v22, 0, 1, vcc_lo
	v_lshlrev_b16 v9, 8, v9
	s_delay_alu instid0(VALU_DEP_4)
	v_lshlrev_b16 v1, 8, v1
	v_lshrrev_b32_e32 v24, 16, v7
	v_lshlrev_b16 v6, 8, v6
	v_lshlrev_b16 v23, 8, v23
	v_bitop3_b16 v8, v8, v9, 0xff bitop3:0xec
	v_or_b32_e32 v1, v22, v1
	s_delay_alu instid0(VALU_DEP_4) | instskip(NEXT) | instid1(VALU_DEP_4)
	v_bitop3_b16 v6, v24, v6, 0xff bitop3:0xec
	v_bitop3_b16 v7, v7, v23, 0xff bitop3:0xec
	s_delay_alu instid0(VALU_DEP_4) | instskip(NEXT) | instid1(VALU_DEP_3)
	v_and_b32_e32 v8, 0xffff, v8
	v_dual_lshlrev_b32 v1, 16, v1 :: v_dual_lshlrev_b32 v9, 16, v6
	s_delay_alu instid0(VALU_DEP_3) | instskip(NEXT) | instid1(VALU_DEP_2)
	v_and_b32_e32 v7, 0xffff, v7
	v_or_b32_e32 v6, v8, v1
	s_delay_alu instid0(VALU_DEP_2)
	v_or_b32_e32 v1, v7, v9
.LBB1357_49:
	s_or_b32 exec_lo, exec_lo, s1
	v_dual_add_nc_u32 v8, 3, v30 :: v_dual_lshrrev_b32 v9, 24, v5
	v_lshrrev_b32_e32 v7, 16, v5
                                        ; implicit-def: $vgpr31
	s_delay_alu instid0(VALU_DEP_2) | instskip(SKIP_2) | instid1(SALU_CYCLE_1)
	v_cmp_le_u32_e32 vcc_lo, s6, v8
	v_lshrrev_b32_e32 v8, 8, v5
                                        ; implicit-def: $vgpr5
	s_and_saveexec_b32 s0, vcc_lo
	s_xor_b32 s0, exec_lo, s0
	s_cbranch_execz .LBB1357_51
; %bb.50:
	v_lshlrev_b16 v5, 8, v9
	v_lshlrev_b16 v8, 8, v8
	v_perm_b32 v4, v4, v4, 0x3060504
	v_perm_b32 v3, v3, v3, 0x3060504
                                        ; implicit-def: $vgpr9
	s_delay_alu instid0(VALU_DEP_4) | instskip(SKIP_2) | instid1(VALU_DEP_3)
	v_bitop3_b16 v5, v7, v5, 0xff bitop3:0xec
	v_and_b32_e32 v7, 0xff0000, v6
	v_and_b32_e32 v8, 0xffff, v8
	v_lshlrev_b32_e32 v5, 16, v5
	s_delay_alu instid0(VALU_DEP_3) | instskip(NEXT) | instid1(VALU_DEP_2)
	v_perm_b32 v31, v6, v7, 0x3020504
                                        ; implicit-def: $vgpr6
                                        ; implicit-def: $vgpr7
	v_or_b32_e32 v5, v8, v5
                                        ; implicit-def: $vgpr8
.LBB1357_51:
	s_and_not1_saveexec_b32 s1, s0
	s_cbranch_execz .LBB1357_55
; %bb.52:
	v_dual_add_nc_u32 v5, s17, v19 :: v_dual_add_nc_u32 v22, s19, v19
	s_mov_b32 s2, 0
	s_mov_b32 s3, exec_lo
	s_delay_alu instid0(VALU_DEP_1) | instskip(NEXT) | instid1(VALU_DEP_2)
	v_mul_lo_u32 v5, v5, s16
	v_mul_lo_u32 v22, v22, s18
	s_delay_alu instid0(VALU_DEP_1) | instskip(NEXT) | instid1(VALU_DEP_1)
	v_sub_nc_u32_e32 v5, v5, v22
	v_cmp_lt_u32_e32 vcc_lo, s20, v5
	v_cmpx_ge_u32_e64 s20, v5
	s_cbranch_execz .LBB1357_54
; %bb.53:
	v_dual_add_nc_u32 v5, s22, v19 :: v_dual_add_nc_u32 v22, s42, v19
	s_delay_alu instid0(VALU_DEP_1) | instskip(NEXT) | instid1(VALU_DEP_2)
	v_mul_lo_u32 v5, v5, s21
	v_mul_lo_u32 v22, v22, s23
	s_delay_alu instid0(VALU_DEP_1) | instskip(NEXT) | instid1(VALU_DEP_1)
	v_sub_nc_u32_e32 v5, v5, v22
	v_cmp_lt_u32_e64 s0, s43, v5
	s_and_b32 s2, s0, exec_lo
.LBB1357_54:
	s_or_b32 exec_lo, exec_lo, s3
	v_cndmask_b32_e64 v5, 0, 1, vcc_lo
	v_dual_lshrrev_b32 v22, 8, v6 :: v_dual_lshrrev_b32 v24, 16, v6
	v_cndmask_b32_e64 v23, 0, 1, s2
	v_lshlrev_b16 v9, 8, v9
	s_delay_alu instid0(VALU_DEP_4) | instskip(NEXT) | instid1(VALU_DEP_4)
	v_lshlrev_b16 v5, 8, v5
	v_lshlrev_b16 v22, 8, v22
	;; [unrolled: 1-line block ×3, first 2 shown]
	s_delay_alu instid0(VALU_DEP_4) | instskip(NEXT) | instid1(VALU_DEP_4)
	v_bitop3_b16 v7, v7, v9, 0xff bitop3:0xec
	v_bitop3_b16 v5, v24, v5, 0xff bitop3:0xec
	s_delay_alu instid0(VALU_DEP_4) | instskip(NEXT) | instid1(VALU_DEP_3)
	v_bitop3_b16 v6, v6, v22, 0xff bitop3:0xec
	v_dual_lshlrev_b32 v7, 16, v7 :: v_dual_bitop2_b32 v8, v23, v8 bitop3:0x54
	s_delay_alu instid0(VALU_DEP_3) | instskip(NEXT) | instid1(VALU_DEP_3)
	v_lshlrev_b32_e32 v5, 16, v5
	v_and_b32_e32 v6, 0xffff, v6
	s_delay_alu instid0(VALU_DEP_3) | instskip(NEXT) | instid1(VALU_DEP_2)
	v_and_b32_e32 v8, 0xffff, v8
	v_or_b32_e32 v31, v6, v5
	s_delay_alu instid0(VALU_DEP_2)
	v_or_b32_e32 v5, v8, v7
.LBB1357_55:
	s_or_b32 exec_lo, exec_lo, s1
	v_dual_add_nc_u32 v6, 4, v30 :: v_dual_lshrrev_b32 v22, 8, v4
	v_dual_lshrrev_b32 v7, 16, v4 :: v_dual_lshrrev_b32 v23, 24, v4
	s_delay_alu instid0(VALU_DEP_3) | instskip(NEXT) | instid1(VALU_DEP_3)
	v_dual_lshrrev_b32 v9, 24, v5 :: v_dual_lshrrev_b32 v8, 16, v5
	v_cmp_le_u32_e32 vcc_lo, s6, v6
                                        ; implicit-def: $vgpr4
                                        ; implicit-def: $vgpr6
	s_and_saveexec_b32 s0, vcc_lo
	s_delay_alu instid0(SALU_CYCLE_1)
	s_xor_b32 s0, exec_lo, s0
	s_cbranch_execz .LBB1357_57
; %bb.56:
	v_lshlrev_b16 v4, 8, v23
	v_lshlrev_b16 v6, 8, v22
	;; [unrolled: 1-line block ×3, first 2 shown]
	v_perm_b32 v3, v3, v3, 0x3060504
                                        ; implicit-def: $vgpr22
                                        ; implicit-def: $vgpr23
	s_delay_alu instid0(VALU_DEP_4) | instskip(NEXT) | instid1(VALU_DEP_4)
	v_bitop3_b16 v4, v7, v4, 0xff bitop3:0xec
	v_and_b32_e32 v6, 0xffff, v6
	s_delay_alu instid0(VALU_DEP_4) | instskip(NEXT) | instid1(VALU_DEP_3)
	v_bitop3_b16 v7, v8, v9, 0xff bitop3:0xec
                                        ; implicit-def: $vgpr9
	v_lshlrev_b32_e32 v8, 16, v4
	s_delay_alu instid0(VALU_DEP_2) | instskip(NEXT) | instid1(VALU_DEP_2)
	v_perm_b32 v4, v7, v5, 0x5040c00
                                        ; implicit-def: $vgpr5
                                        ; implicit-def: $vgpr7
	v_or_b32_e32 v6, v6, v8
                                        ; implicit-def: $vgpr8
.LBB1357_57:
	s_and_not1_saveexec_b32 s1, s0
	s_cbranch_execz .LBB1357_61
; %bb.58:
	v_dual_add_nc_u32 v4, s17, v16 :: v_dual_add_nc_u32 v6, s19, v16
	s_mov_b32 s2, 0
	s_mov_b32 s3, exec_lo
	s_delay_alu instid0(VALU_DEP_1) | instskip(NEXT) | instid1(VALU_DEP_2)
	v_mul_lo_u32 v4, v4, s16
	v_mul_lo_u32 v6, v6, s18
	s_delay_alu instid0(VALU_DEP_1) | instskip(NEXT) | instid1(VALU_DEP_1)
	v_sub_nc_u32_e32 v4, v4, v6
	v_cmp_lt_u32_e32 vcc_lo, s20, v4
	v_cmpx_ge_u32_e64 s20, v4
	s_cbranch_execz .LBB1357_60
; %bb.59:
	v_dual_add_nc_u32 v4, s22, v16 :: v_dual_add_nc_u32 v6, s42, v16
	s_delay_alu instid0(VALU_DEP_1) | instskip(NEXT) | instid1(VALU_DEP_2)
	v_mul_lo_u32 v4, v4, s21
	v_mul_lo_u32 v6, v6, s23
	s_delay_alu instid0(VALU_DEP_1) | instskip(NEXT) | instid1(VALU_DEP_1)
	v_sub_nc_u32_e32 v4, v4, v6
	v_cmp_lt_u32_e64 s0, s43, v4
	s_and_b32 s2, s0, exec_lo
.LBB1357_60:
	s_or_b32 exec_lo, exec_lo, s3
	v_cndmask_b32_e64 v4, 0, 1, s2
	v_cndmask_b32_e64 v6, 0, 1, vcc_lo
	v_lshlrev_b16 v23, 8, v23
	v_lshlrev_b16 v22, 8, v22
	;; [unrolled: 1-line block ×4, first 2 shown]
	s_delay_alu instid0(VALU_DEP_4) | instskip(NEXT) | instid1(VALU_DEP_4)
	v_bitop3_b16 v7, v7, v23, 0xff bitop3:0xec
	v_or_b32_e32 v6, v6, v22
	s_delay_alu instid0(VALU_DEP_4) | instskip(NEXT) | instid1(VALU_DEP_4)
	v_bitop3_b16 v8, v8, v9, 0xff bitop3:0xec
	v_bitop3_b16 v4, v5, v4, 0xff bitop3:0xec
	s_delay_alu instid0(VALU_DEP_4) | instskip(NEXT) | instid1(VALU_DEP_4)
	v_lshlrev_b32_e32 v5, 16, v7
	v_and_b32_e32 v6, 0xffff, v6
	s_delay_alu instid0(VALU_DEP_4) | instskip(NEXT) | instid1(VALU_DEP_4)
	v_lshlrev_b32_e32 v7, 16, v8
	v_and_b32_e32 v4, 0xffff, v4
	s_delay_alu instid0(VALU_DEP_3) | instskip(NEXT) | instid1(VALU_DEP_2)
	v_or_b32_e32 v6, v6, v5
	v_or_b32_e32 v4, v4, v7
.LBB1357_61:
	s_or_b32 exec_lo, exec_lo, s1
	s_delay_alu instid0(VALU_DEP_1) | instskip(NEXT) | instid1(VALU_DEP_2)
	v_dual_add_nc_u32 v5, 5, v30 :: v_dual_lshrrev_b32 v22, 8, v4
	v_dual_lshrrev_b32 v8, 16, v6 :: v_dual_lshrrev_b32 v9, 24, v6
                                        ; implicit-def: $vgpr7
	s_delay_alu instid0(VALU_DEP_2) | instskip(SKIP_1) | instid1(SALU_CYCLE_1)
	v_cmp_le_u32_e32 vcc_lo, s6, v5
                                        ; implicit-def: $vgpr5
	s_and_saveexec_b32 s0, vcc_lo
	s_xor_b32 s0, exec_lo, s0
	s_cbranch_execz .LBB1357_63
; %bb.62:
	v_lshlrev_b16 v5, 8, v22
	v_lshlrev_b16 v7, 8, v9
	v_perm_b32 v3, v3, v3, 0x3060504
                                        ; implicit-def: $vgpr9
                                        ; implicit-def: $vgpr22
	s_delay_alu instid0(VALU_DEP_3) | instskip(NEXT) | instid1(VALU_DEP_3)
	v_bitop3_b16 v5, v4, v5, 0xff bitop3:0xec
	v_bitop3_b16 v7, v8, v7, 0xff bitop3:0xec
                                        ; implicit-def: $vgpr8
	s_delay_alu instid0(VALU_DEP_2) | instskip(NEXT) | instid1(VALU_DEP_2)
	v_and_b32_e32 v5, 0xffff, v5
	v_perm_b32 v7, v7, v6, 0x5040c00
                                        ; implicit-def: $vgpr6
	s_delay_alu instid0(VALU_DEP_2)
	v_and_or_b32 v5, 0xff000000, v4, v5
                                        ; implicit-def: $vgpr4
.LBB1357_63:
	s_and_not1_saveexec_b32 s1, s0
	s_cbranch_execz .LBB1357_67
; %bb.64:
	v_dual_add_nc_u32 v5, s17, v17 :: v_dual_add_nc_u32 v7, s19, v17
	s_mov_b32 s2, 0
	s_mov_b32 s3, exec_lo
	s_delay_alu instid0(VALU_DEP_1) | instskip(NEXT) | instid1(VALU_DEP_2)
	v_mul_lo_u32 v5, v5, s16
	v_mul_lo_u32 v7, v7, s18
	s_delay_alu instid0(VALU_DEP_1) | instskip(NEXT) | instid1(VALU_DEP_1)
	v_sub_nc_u32_e32 v5, v5, v7
	v_cmp_lt_u32_e32 vcc_lo, s20, v5
	v_cmpx_ge_u32_e64 s20, v5
	s_cbranch_execz .LBB1357_66
; %bb.65:
	v_dual_add_nc_u32 v5, s22, v17 :: v_dual_add_nc_u32 v7, s42, v17
	s_delay_alu instid0(VALU_DEP_1) | instskip(NEXT) | instid1(VALU_DEP_2)
	v_mul_lo_u32 v5, v5, s21
	v_mul_lo_u32 v7, v7, s23
	s_delay_alu instid0(VALU_DEP_1) | instskip(NEXT) | instid1(VALU_DEP_1)
	v_sub_nc_u32_e32 v5, v5, v7
	v_cmp_lt_u32_e64 s0, s43, v5
	s_and_b32 s2, s0, exec_lo
.LBB1357_66:
	s_or_b32 exec_lo, exec_lo, s3
	v_cndmask_b32_e64 v5, 0, 1, vcc_lo
	v_lshrrev_b32_e32 v7, 24, v4
	v_cndmask_b32_e64 v23, 0, 1, s2
	v_lshlrev_b16 v9, 8, v9
	v_lshlrev_b16 v22, 8, v22
	v_lshlrev_b16 v5, 8, v5
	v_lshlrev_b16 v7, 8, v7
	s_delay_alu instid0(VALU_DEP_4) | instskip(NEXT) | instid1(VALU_DEP_4)
	v_bitop3_b16 v8, v8, v9, 0xff bitop3:0xec
	v_bitop3_b16 v4, v4, v22, 0xff bitop3:0xec
	s_delay_alu instid0(VALU_DEP_4) | instskip(NEXT) | instid1(VALU_DEP_3)
	v_bitop3_b16 v5, v6, v5, 0xff bitop3:0xec
	v_dual_lshlrev_b32 v7, 16, v8 :: v_dual_bitop2_b32 v6, v23, v7 bitop3:0x54
	s_delay_alu instid0(VALU_DEP_3) | instskip(NEXT) | instid1(VALU_DEP_3)
	v_and_b32_e32 v4, 0xffff, v4
	v_and_b32_e32 v5, 0xffff, v5
	s_delay_alu instid0(VALU_DEP_1) | instskip(NEXT) | instid1(VALU_DEP_1)
	v_dual_lshlrev_b32 v6, 16, v6 :: v_dual_bitop2_b32 v7, v5, v7 bitop3:0x54
	v_or_b32_e32 v5, v4, v6
.LBB1357_67:
	s_or_b32 exec_lo, exec_lo, s1
	s_delay_alu instid0(VALU_DEP_2) | instskip(NEXT) | instid1(VALU_DEP_1)
	v_dual_add_nc_u32 v4, 6, v30 :: v_dual_lshrrev_b32 v6, 8, v7
                                        ; implicit-def: $vgpr32
	v_cmp_le_u32_e32 vcc_lo, s6, v4
                                        ; implicit-def: $vgpr4
	s_and_saveexec_b32 s0, vcc_lo
	s_delay_alu instid0(SALU_CYCLE_1)
	s_xor_b32 s0, exec_lo, s0
	s_cbranch_execz .LBB1357_69
; %bb.68:
	v_lshlrev_b16 v4, 8, v6
	v_and_b32_e32 v6, 0xff0000, v5
	v_perm_b32 v3, v3, v3, 0x3060504
	s_delay_alu instid0(VALU_DEP_3) | instskip(NEXT) | instid1(VALU_DEP_3)
	v_bitop3_b16 v4, v7, v4, 0xff bitop3:0xec
	v_perm_b32 v32, v5, v6, 0x3020504
                                        ; implicit-def: $vgpr6
                                        ; implicit-def: $vgpr5
	s_delay_alu instid0(VALU_DEP_2) | instskip(NEXT) | instid1(VALU_DEP_1)
	v_and_b32_e32 v4, 0xffff, v4
	v_and_or_b32 v4, 0xff000000, v7, v4
                                        ; implicit-def: $vgpr7
.LBB1357_69:
	s_and_not1_saveexec_b32 s1, s0
	s_cbranch_execz .LBB1357_73
; %bb.70:
	v_dual_add_nc_u32 v4, s17, v14 :: v_dual_add_nc_u32 v8, s19, v14
	s_mov_b32 s2, 0
	s_mov_b32 s3, exec_lo
	s_delay_alu instid0(VALU_DEP_1) | instskip(NEXT) | instid1(VALU_DEP_2)
	v_mul_lo_u32 v4, v4, s16
	v_mul_lo_u32 v8, v8, s18
	s_delay_alu instid0(VALU_DEP_1) | instskip(NEXT) | instid1(VALU_DEP_1)
	v_sub_nc_u32_e32 v4, v4, v8
	v_cmp_lt_u32_e32 vcc_lo, s20, v4
	v_cmpx_ge_u32_e64 s20, v4
	s_cbranch_execz .LBB1357_72
; %bb.71:
	v_dual_add_nc_u32 v4, s22, v14 :: v_dual_add_nc_u32 v8, s42, v14
	s_delay_alu instid0(VALU_DEP_1) | instskip(NEXT) | instid1(VALU_DEP_2)
	v_mul_lo_u32 v4, v4, s21
	v_mul_lo_u32 v8, v8, s23
	s_delay_alu instid0(VALU_DEP_1) | instskip(NEXT) | instid1(VALU_DEP_1)
	v_sub_nc_u32_e32 v4, v4, v8
	v_cmp_lt_u32_e64 s0, s43, v4
	s_and_b32 s2, s0, exec_lo
.LBB1357_72:
	s_or_b32 exec_lo, exec_lo, s3
	v_dual_lshrrev_b32 v4, 24, v7 :: v_dual_lshrrev_b32 v22, 8, v5
	v_cndmask_b32_e64 v8, 0, 1, s2
	v_cndmask_b32_e64 v9, 0, 1, vcc_lo
	v_lshlrev_b16 v6, 8, v6
	s_delay_alu instid0(VALU_DEP_4)
	v_lshlrev_b16 v4, 8, v4
	v_lshrrev_b32_e32 v23, 16, v5
	v_lshlrev_b16 v8, 8, v8
	v_lshlrev_b16 v22, 8, v22
	v_bitop3_b16 v6, v7, v6, 0xff bitop3:0xec
	v_or_b32_e32 v4, v9, v4
	s_delay_alu instid0(VALU_DEP_4) | instskip(NEXT) | instid1(VALU_DEP_4)
	v_bitop3_b16 v7, v23, v8, 0xff bitop3:0xec
	v_bitop3_b16 v5, v5, v22, 0xff bitop3:0xec
	s_delay_alu instid0(VALU_DEP_4) | instskip(NEXT) | instid1(VALU_DEP_3)
	v_and_b32_e32 v6, 0xffff, v6
	v_dual_lshlrev_b32 v4, 16, v4 :: v_dual_lshlrev_b32 v7, 16, v7
	s_delay_alu instid0(VALU_DEP_3) | instskip(NEXT) | instid1(VALU_DEP_2)
	v_and_b32_e32 v5, 0xffff, v5
	v_or_b32_e32 v4, v6, v4
	s_delay_alu instid0(VALU_DEP_2)
	v_or_b32_e32 v32, v5, v7
.LBB1357_73:
	s_or_b32 exec_lo, exec_lo, s1
	v_dual_add_nc_u32 v7, 7, v30 :: v_dual_lshrrev_b32 v5, 8, v3
	v_lshrrev_b32_e32 v6, 16, v3
                                        ; implicit-def: $vgpr33
	s_delay_alu instid0(VALU_DEP_2) | instskip(SKIP_2) | instid1(SALU_CYCLE_1)
	v_cmp_le_u32_e32 vcc_lo, s6, v7
	v_lshrrev_b32_e32 v7, 24, v3
                                        ; implicit-def: $vgpr3
	s_and_saveexec_b32 s0, vcc_lo
	s_xor_b32 s0, exec_lo, s0
	s_cbranch_execz .LBB1357_75
; %bb.74:
	s_delay_alu instid0(VALU_DEP_1) | instskip(SKIP_1) | instid1(VALU_DEP_2)
	v_lshlrev_b16 v3, 8, v7
	v_lshlrev_b16 v5, 8, v5
                                        ; implicit-def: $vgpr7
	v_bitop3_b16 v3, v6, v3, 0xff bitop3:0xec
	v_and_b32_e32 v6, 0xff0000, v4
	s_delay_alu instid0(VALU_DEP_3) | instskip(NEXT) | instid1(VALU_DEP_3)
	v_and_b32_e32 v5, 0xffff, v5
	v_lshlrev_b32_e32 v3, 16, v3
	s_delay_alu instid0(VALU_DEP_3) | instskip(NEXT) | instid1(VALU_DEP_2)
	v_perm_b32 v33, v4, v6, 0x3020504
                                        ; implicit-def: $vgpr4
                                        ; implicit-def: $vgpr6
	v_or_b32_e32 v3, v5, v3
                                        ; implicit-def: $vgpr5
.LBB1357_75:
	s_and_not1_saveexec_b32 s1, s0
	s_cbranch_execz .LBB1357_79
; %bb.76:
	v_dual_add_nc_u32 v3, s17, v15 :: v_dual_add_nc_u32 v8, s19, v15
	s_mov_b32 s2, 0
	s_mov_b32 s3, exec_lo
	s_delay_alu instid0(VALU_DEP_1) | instskip(NEXT) | instid1(VALU_DEP_2)
	v_mul_lo_u32 v3, v3, s16
	v_mul_lo_u32 v8, v8, s18
	s_delay_alu instid0(VALU_DEP_1) | instskip(NEXT) | instid1(VALU_DEP_1)
	v_sub_nc_u32_e32 v3, v3, v8
	v_cmp_lt_u32_e32 vcc_lo, s20, v3
	v_cmpx_ge_u32_e64 s20, v3
	s_cbranch_execz .LBB1357_78
; %bb.77:
	v_dual_add_nc_u32 v3, s22, v15 :: v_dual_add_nc_u32 v8, s42, v15
	s_delay_alu instid0(VALU_DEP_1) | instskip(NEXT) | instid1(VALU_DEP_2)
	v_mul_lo_u32 v3, v3, s21
	v_mul_lo_u32 v8, v8, s23
	s_delay_alu instid0(VALU_DEP_1) | instskip(NEXT) | instid1(VALU_DEP_1)
	v_sub_nc_u32_e32 v3, v3, v8
	v_cmp_lt_u32_e64 s0, s43, v3
	s_and_b32 s2, s0, exec_lo
.LBB1357_78:
	s_or_b32 exec_lo, exec_lo, s3
	v_cndmask_b32_e64 v3, 0, 1, vcc_lo
	v_dual_lshrrev_b32 v8, 8, v4 :: v_dual_lshrrev_b32 v22, 16, v4
	v_cndmask_b32_e64 v9, 0, 1, s2
	v_lshlrev_b16 v7, 8, v7
	s_delay_alu instid0(VALU_DEP_4) | instskip(NEXT) | instid1(VALU_DEP_4)
	v_lshlrev_b16 v3, 8, v3
	v_lshlrev_b16 v8, 8, v8
	;; [unrolled: 1-line block ×3, first 2 shown]
	s_delay_alu instid0(VALU_DEP_4) | instskip(NEXT) | instid1(VALU_DEP_4)
	v_bitop3_b16 v6, v6, v7, 0xff bitop3:0xec
	v_bitop3_b16 v3, v22, v3, 0xff bitop3:0xec
	s_delay_alu instid0(VALU_DEP_4) | instskip(NEXT) | instid1(VALU_DEP_3)
	v_bitop3_b16 v4, v4, v8, 0xff bitop3:0xec
	v_dual_lshlrev_b32 v6, 16, v6 :: v_dual_bitop2_b32 v5, v9, v5 bitop3:0x54
	s_delay_alu instid0(VALU_DEP_3) | instskip(NEXT) | instid1(VALU_DEP_3)
	v_lshlrev_b32_e32 v3, 16, v3
	v_and_b32_e32 v4, 0xffff, v4
	s_delay_alu instid0(VALU_DEP_3) | instskip(NEXT) | instid1(VALU_DEP_2)
	v_and_b32_e32 v5, 0xffff, v5
	v_or_b32_e32 v33, v4, v3
	s_delay_alu instid0(VALU_DEP_2)
	v_or_b32_e32 v3, v5, v6
.LBB1357_79:
	s_or_b32 exec_lo, exec_lo, s1
	s_delay_alu instid0(VALU_DEP_1) | instskip(SKIP_2) | instid1(VALU_DEP_3)
	v_dual_add_nc_u32 v4, 8, v30 :: v_dual_lshrrev_b32 v5, 16, v3
	v_dual_lshrrev_b32 v6, 24, v3 :: v_dual_lshrrev_b32 v9, 24, v2
	v_dual_lshrrev_b32 v7, 16, v2 :: v_dual_lshrrev_b32 v8, 8, v2
	v_cmp_le_u32_e32 vcc_lo, s6, v4
                                        ; implicit-def: $vgpr2
                                        ; implicit-def: $vgpr4
	s_and_saveexec_b32 s0, vcc_lo
	s_delay_alu instid0(SALU_CYCLE_1)
	s_xor_b32 s0, exec_lo, s0
	s_cbranch_execz .LBB1357_81
; %bb.80:
	v_lshlrev_b16 v2, 8, v9
	v_lshlrev_b16 v4, 8, v8
	;; [unrolled: 1-line block ×3, first 2 shown]
	v_perm_b32 v1, v1, v1, 0x3060504
                                        ; implicit-def: $vgpr9
                                        ; implicit-def: $vgpr8
	s_delay_alu instid0(VALU_DEP_4) | instskip(NEXT) | instid1(VALU_DEP_4)
	v_bitop3_b16 v2, v7, v2, 0xff bitop3:0xec
	v_and_b32_e32 v4, 0xffff, v4
	s_delay_alu instid0(VALU_DEP_4) | instskip(NEXT) | instid1(VALU_DEP_3)
	v_bitop3_b16 v5, v5, v6, 0xff bitop3:0xec
                                        ; implicit-def: $vgpr6
                                        ; implicit-def: $vgpr7
	v_lshlrev_b32_e32 v2, 16, v2
	s_delay_alu instid0(VALU_DEP_1) | instskip(NEXT) | instid1(VALU_DEP_3)
	v_or_b32_e32 v4, v4, v2
	v_perm_b32 v2, v5, v3, 0x5040c00
                                        ; implicit-def: $vgpr3
                                        ; implicit-def: $vgpr5
.LBB1357_81:
	s_and_not1_saveexec_b32 s1, s0
	s_cbranch_execz .LBB1357_85
; %bb.82:
	v_dual_add_nc_u32 v2, s17, v12 :: v_dual_add_nc_u32 v4, s19, v12
	s_mov_b32 s2, 0
	s_mov_b32 s3, exec_lo
	s_delay_alu instid0(VALU_DEP_1) | instskip(NEXT) | instid1(VALU_DEP_2)
	v_mul_lo_u32 v2, v2, s16
	v_mul_lo_u32 v4, v4, s18
	s_delay_alu instid0(VALU_DEP_1) | instskip(NEXT) | instid1(VALU_DEP_1)
	v_sub_nc_u32_e32 v2, v2, v4
	v_cmp_lt_u32_e32 vcc_lo, s20, v2
	v_cmpx_ge_u32_e64 s20, v2
	s_cbranch_execz .LBB1357_84
; %bb.83:
	v_dual_add_nc_u32 v2, s22, v12 :: v_dual_add_nc_u32 v4, s42, v12
	s_delay_alu instid0(VALU_DEP_1) | instskip(NEXT) | instid1(VALU_DEP_2)
	v_mul_lo_u32 v2, v2, s21
	v_mul_lo_u32 v4, v4, s23
	s_delay_alu instid0(VALU_DEP_1) | instskip(NEXT) | instid1(VALU_DEP_1)
	v_sub_nc_u32_e32 v2, v2, v4
	v_cmp_lt_u32_e64 s0, s43, v2
	s_and_b32 s2, s0, exec_lo
.LBB1357_84:
	s_or_b32 exec_lo, exec_lo, s3
	v_cndmask_b32_e64 v2, 0, 1, s2
	v_cndmask_b32_e64 v4, 0, 1, vcc_lo
	v_lshlrev_b16 v9, 8, v9
	v_lshlrev_b16 v8, 8, v8
	;; [unrolled: 1-line block ×4, first 2 shown]
	s_delay_alu instid0(VALU_DEP_4) | instskip(NEXT) | instid1(VALU_DEP_4)
	v_bitop3_b16 v7, v7, v9, 0xff bitop3:0xec
	v_or_b32_e32 v4, v4, v8
	s_delay_alu instid0(VALU_DEP_4) | instskip(NEXT) | instid1(VALU_DEP_4)
	v_bitop3_b16 v5, v5, v6, 0xff bitop3:0xec
	v_bitop3_b16 v2, v3, v2, 0xff bitop3:0xec
	s_delay_alu instid0(VALU_DEP_4) | instskip(NEXT) | instid1(VALU_DEP_4)
	v_lshlrev_b32_e32 v3, 16, v7
	v_and_b32_e32 v4, 0xffff, v4
	s_delay_alu instid0(VALU_DEP_4) | instskip(NEXT) | instid1(VALU_DEP_4)
	v_lshlrev_b32_e32 v5, 16, v5
	v_and_b32_e32 v2, 0xffff, v2
	s_delay_alu instid0(VALU_DEP_3) | instskip(NEXT) | instid1(VALU_DEP_2)
	v_or_b32_e32 v4, v4, v3
	v_or_b32_e32 v2, v2, v5
.LBB1357_85:
	s_or_b32 exec_lo, exec_lo, s1
	s_delay_alu instid0(VALU_DEP_2) | instskip(NEXT) | instid1(VALU_DEP_2)
	v_dual_add_nc_u32 v3, 9, v30 :: v_dual_lshrrev_b32 v8, 24, v4
	v_dual_lshrrev_b32 v7, 8, v2 :: v_dual_lshrrev_b32 v6, 16, v4
                                        ; implicit-def: $vgpr5
	s_delay_alu instid0(VALU_DEP_2) | instskip(SKIP_1) | instid1(SALU_CYCLE_1)
	v_cmp_le_u32_e32 vcc_lo, s6, v3
                                        ; implicit-def: $vgpr3
	s_and_saveexec_b32 s0, vcc_lo
	s_xor_b32 s0, exec_lo, s0
	s_cbranch_execz .LBB1357_87
; %bb.86:
	v_lshlrev_b16 v3, 8, v7
	v_lshlrev_b16 v5, 8, v8
	v_perm_b32 v1, v1, v1, 0x3060504
                                        ; implicit-def: $vgpr7
                                        ; implicit-def: $vgpr8
	s_delay_alu instid0(VALU_DEP_3) | instskip(NEXT) | instid1(VALU_DEP_3)
	v_bitop3_b16 v3, v2, v3, 0xff bitop3:0xec
	v_bitop3_b16 v5, v6, v5, 0xff bitop3:0xec
                                        ; implicit-def: $vgpr6
	s_delay_alu instid0(VALU_DEP_2) | instskip(NEXT) | instid1(VALU_DEP_2)
	v_and_b32_e32 v3, 0xffff, v3
	v_perm_b32 v5, v5, v4, 0x5040c00
                                        ; implicit-def: $vgpr4
	s_delay_alu instid0(VALU_DEP_2)
	v_and_or_b32 v3, 0xff000000, v2, v3
                                        ; implicit-def: $vgpr2
.LBB1357_87:
	s_and_not1_saveexec_b32 s1, s0
	s_cbranch_execz .LBB1357_91
; %bb.88:
	v_dual_add_nc_u32 v3, s17, v13 :: v_dual_add_nc_u32 v5, s19, v13
	s_mov_b32 s2, 0
	s_mov_b32 s3, exec_lo
	s_delay_alu instid0(VALU_DEP_1) | instskip(NEXT) | instid1(VALU_DEP_2)
	v_mul_lo_u32 v3, v3, s16
	v_mul_lo_u32 v5, v5, s18
	s_delay_alu instid0(VALU_DEP_1) | instskip(NEXT) | instid1(VALU_DEP_1)
	v_sub_nc_u32_e32 v3, v3, v5
	v_cmp_lt_u32_e32 vcc_lo, s20, v3
	v_cmpx_ge_u32_e64 s20, v3
	s_cbranch_execz .LBB1357_90
; %bb.89:
	v_dual_add_nc_u32 v3, s22, v13 :: v_dual_add_nc_u32 v5, s42, v13
	s_delay_alu instid0(VALU_DEP_1) | instskip(NEXT) | instid1(VALU_DEP_2)
	v_mul_lo_u32 v3, v3, s21
	v_mul_lo_u32 v5, v5, s23
	s_delay_alu instid0(VALU_DEP_1) | instskip(NEXT) | instid1(VALU_DEP_1)
	v_sub_nc_u32_e32 v3, v3, v5
	v_cmp_lt_u32_e64 s0, s43, v3
	s_and_b32 s2, s0, exec_lo
.LBB1357_90:
	s_or_b32 exec_lo, exec_lo, s3
	v_cndmask_b32_e64 v3, 0, 1, vcc_lo
	v_lshrrev_b32_e32 v5, 24, v2
	v_cndmask_b32_e64 v9, 0, 1, s2
	v_lshlrev_b16 v8, 8, v8
	v_lshlrev_b16 v7, 8, v7
	;; [unrolled: 1-line block ×4, first 2 shown]
	s_delay_alu instid0(VALU_DEP_4) | instskip(NEXT) | instid1(VALU_DEP_4)
	v_bitop3_b16 v6, v6, v8, 0xff bitop3:0xec
	v_bitop3_b16 v2, v2, v7, 0xff bitop3:0xec
	s_delay_alu instid0(VALU_DEP_4) | instskip(NEXT) | instid1(VALU_DEP_3)
	v_bitop3_b16 v3, v4, v3, 0xff bitop3:0xec
	v_dual_lshlrev_b32 v5, 16, v6 :: v_dual_bitop2_b32 v4, v9, v5 bitop3:0x54
	s_delay_alu instid0(VALU_DEP_3) | instskip(NEXT) | instid1(VALU_DEP_3)
	v_and_b32_e32 v2, 0xffff, v2
	v_and_b32_e32 v3, 0xffff, v3
	s_delay_alu instid0(VALU_DEP_1) | instskip(NEXT) | instid1(VALU_DEP_1)
	v_dual_lshlrev_b32 v4, 16, v4 :: v_dual_bitop2_b32 v5, v3, v5 bitop3:0x54
	v_or_b32_e32 v3, v2, v4
.LBB1357_91:
	s_or_b32 exec_lo, exec_lo, s1
	s_delay_alu instid0(VALU_DEP_2) | instskip(NEXT) | instid1(VALU_DEP_1)
	v_dual_add_nc_u32 v2, 10, v30 :: v_dual_lshrrev_b32 v4, 8, v5
                                        ; implicit-def: $vgpr35
	v_cmp_le_u32_e32 vcc_lo, s6, v2
                                        ; implicit-def: $vgpr2
	s_and_saveexec_b32 s0, vcc_lo
	s_delay_alu instid0(SALU_CYCLE_1)
	s_xor_b32 s0, exec_lo, s0
	s_cbranch_execz .LBB1357_93
; %bb.92:
	v_lshlrev_b16 v2, 8, v4
	v_and_b32_e32 v4, 0xff0000, v3
	v_perm_b32 v1, v1, v1, 0x3060504
	s_delay_alu instid0(VALU_DEP_3) | instskip(NEXT) | instid1(VALU_DEP_3)
	v_bitop3_b16 v2, v5, v2, 0xff bitop3:0xec
	v_perm_b32 v35, v3, v4, 0x3020504
                                        ; implicit-def: $vgpr4
                                        ; implicit-def: $vgpr3
	s_delay_alu instid0(VALU_DEP_2) | instskip(NEXT) | instid1(VALU_DEP_1)
	v_and_b32_e32 v2, 0xffff, v2
	v_and_or_b32 v2, 0xff000000, v5, v2
                                        ; implicit-def: $vgpr5
.LBB1357_93:
	s_and_not1_saveexec_b32 s1, s0
	s_cbranch_execz .LBB1357_97
; %bb.94:
	v_dual_add_nc_u32 v2, s17, v10 :: v_dual_add_nc_u32 v6, s19, v10
	s_mov_b32 s2, 0
	s_mov_b32 s3, exec_lo
	s_delay_alu instid0(VALU_DEP_1) | instskip(NEXT) | instid1(VALU_DEP_2)
	v_mul_lo_u32 v2, v2, s16
	v_mul_lo_u32 v6, v6, s18
	s_delay_alu instid0(VALU_DEP_1) | instskip(NEXT) | instid1(VALU_DEP_1)
	v_sub_nc_u32_e32 v2, v2, v6
	v_cmp_lt_u32_e32 vcc_lo, s20, v2
	v_cmpx_ge_u32_e64 s20, v2
	s_cbranch_execz .LBB1357_96
; %bb.95:
	v_dual_add_nc_u32 v2, s22, v10 :: v_dual_add_nc_u32 v6, s42, v10
	s_delay_alu instid0(VALU_DEP_1) | instskip(NEXT) | instid1(VALU_DEP_2)
	v_mul_lo_u32 v2, v2, s21
	v_mul_lo_u32 v6, v6, s23
	s_delay_alu instid0(VALU_DEP_1) | instskip(NEXT) | instid1(VALU_DEP_1)
	v_sub_nc_u32_e32 v2, v2, v6
	v_cmp_lt_u32_e64 s0, s43, v2
	s_and_b32 s2, s0, exec_lo
.LBB1357_96:
	s_or_b32 exec_lo, exec_lo, s3
	v_dual_lshrrev_b32 v2, 24, v5 :: v_dual_lshrrev_b32 v8, 8, v3
	v_cndmask_b32_e64 v6, 0, 1, s2
	v_cndmask_b32_e64 v7, 0, 1, vcc_lo
	v_lshlrev_b16 v4, 8, v4
	s_delay_alu instid0(VALU_DEP_4)
	v_lshlrev_b16 v2, 8, v2
	v_lshrrev_b32_e32 v9, 16, v3
	v_lshlrev_b16 v6, 8, v6
	v_lshlrev_b16 v8, 8, v8
	v_bitop3_b16 v4, v5, v4, 0xff bitop3:0xec
	v_or_b32_e32 v2, v7, v2
	s_delay_alu instid0(VALU_DEP_4) | instskip(NEXT) | instid1(VALU_DEP_4)
	v_bitop3_b16 v5, v9, v6, 0xff bitop3:0xec
	v_bitop3_b16 v3, v3, v8, 0xff bitop3:0xec
	s_delay_alu instid0(VALU_DEP_4) | instskip(NEXT) | instid1(VALU_DEP_3)
	v_and_b32_e32 v4, 0xffff, v4
	v_dual_lshlrev_b32 v2, 16, v2 :: v_dual_lshlrev_b32 v5, 16, v5
	s_delay_alu instid0(VALU_DEP_3) | instskip(NEXT) | instid1(VALU_DEP_2)
	v_and_b32_e32 v3, 0xffff, v3
	v_or_b32_e32 v2, v4, v2
	s_delay_alu instid0(VALU_DEP_2)
	v_or_b32_e32 v35, v3, v5
.LBB1357_97:
	s_or_b32 exec_lo, exec_lo, s1
	v_dual_mov_b32 v34, 0 :: v_dual_add_nc_u32 v3, 11, v30
	s_mov_b32 s0, exec_lo
                                        ; implicit-def: $vgpr36
	s_delay_alu instid0(VALU_DEP_1)
	v_cmpx_le_u32_e64 s6, v3
	s_xor_b32 s0, exec_lo, s0
; %bb.98:
	v_and_b32_e32 v3, 0xff0000, v2
	v_perm_b32 v1, v1, v1, 0x3060504
	s_delay_alu instid0(VALU_DEP_2)
	v_perm_b32 v36, v2, v3, 0x3020504
                                        ; implicit-def: $vgpr2
; %bb.99:
	s_and_not1_saveexec_b32 s1, s0
	s_cbranch_execz .LBB1357_103
; %bb.100:
	v_dual_add_nc_u32 v3, s17, v11 :: v_dual_add_nc_u32 v4, s19, v11
	s_mov_b32 s2, 0
	s_mov_b32 s3, exec_lo
	s_delay_alu instid0(VALU_DEP_1) | instskip(NEXT) | instid1(VALU_DEP_2)
	v_mul_lo_u32 v3, v3, s16
	v_mul_lo_u32 v4, v4, s18
	s_delay_alu instid0(VALU_DEP_1) | instskip(NEXT) | instid1(VALU_DEP_1)
	v_sub_nc_u32_e32 v3, v3, v4
	v_cmp_lt_u32_e32 vcc_lo, s20, v3
	v_cmpx_ge_u32_e64 s20, v3
	s_cbranch_execz .LBB1357_102
; %bb.101:
	v_dual_add_nc_u32 v3, s22, v11 :: v_dual_add_nc_u32 v4, s42, v11
	s_delay_alu instid0(VALU_DEP_1) | instskip(NEXT) | instid1(VALU_DEP_2)
	v_mul_lo_u32 v3, v3, s21
	v_mul_lo_u32 v4, v4, s23
	s_delay_alu instid0(VALU_DEP_1) | instskip(NEXT) | instid1(VALU_DEP_1)
	v_sub_nc_u32_e32 v3, v3, v4
	v_cmp_lt_u32_e64 s0, s43, v3
	s_and_b32 s2, s0, exec_lo
.LBB1357_102:
	s_or_b32 exec_lo, exec_lo, s3
	v_cndmask_b32_e64 v3, 0, 1, vcc_lo
	v_dual_lshrrev_b32 v4, 8, v2 :: v_dual_lshrrev_b32 v5, 16, v2
	v_cndmask_b32_e64 v34, 0, 1, s2
	s_delay_alu instid0(VALU_DEP_3) | instskip(NEXT) | instid1(VALU_DEP_3)
	v_lshlrev_b16 v3, 8, v3
	v_lshlrev_b16 v4, 8, v4
	s_delay_alu instid0(VALU_DEP_2) | instskip(NEXT) | instid1(VALU_DEP_2)
	v_bitop3_b16 v3, v5, v3, 0xff bitop3:0xec
	v_bitop3_b16 v2, v2, v4, 0xff bitop3:0xec
	s_delay_alu instid0(VALU_DEP_2) | instskip(NEXT) | instid1(VALU_DEP_2)
	v_lshlrev_b32_e32 v3, 16, v3
	v_and_b32_e32 v2, 0xffff, v2
	s_delay_alu instid0(VALU_DEP_1)
	v_or_b32_e32 v36, v2, v3
.LBB1357_103:
	s_or_b32 exec_lo, exec_lo, s1
	v_dual_add_nc_u32 v4, 12, v30 :: v_dual_lshrrev_b32 v2, 8, v1
	v_dual_lshrrev_b32 v3, 16, v1 :: v_dual_lshrrev_b32 v1, 24, v1
	s_mov_b32 s0, exec_lo
                                        ; implicit-def: $vgpr37
	s_delay_alu instid0(VALU_DEP_2)
	v_cmpx_le_u32_e64 s6, v4
	s_xor_b32 s0, exec_lo, s0
; %bb.104:
	s_delay_alu instid0(VALU_DEP_2) | instskip(SKIP_1) | instid1(VALU_DEP_2)
	v_lshlrev_b16 v1, 8, v1
	v_lshlrev_b16 v2, 8, v2
	v_bitop3_b16 v1, v3, v1, 0xff bitop3:0xec
	s_delay_alu instid0(VALU_DEP_2) | instskip(NEXT) | instid1(VALU_DEP_2)
	v_and_b32_e32 v2, 0xffff, v2
                                        ; implicit-def: $vgpr3
	v_lshlrev_b32_e32 v1, 16, v1
	s_delay_alu instid0(VALU_DEP_1)
	v_or_b32_e32 v37, v2, v1
                                        ; implicit-def: $vgpr1
                                        ; implicit-def: $vgpr2
; %bb.105:
	s_or_saveexec_b32 s1, s0
	v_mov_b32_e32 v38, 0
	s_xor_b32 exec_lo, exec_lo, s1
	s_cbranch_execz .LBB1357_109
; %bb.106:
	v_dual_add_nc_u32 v4, s19, v28 :: v_dual_add_nc_u32 v5, s17, v28
	s_mov_b32 s2, 0
	s_mov_b32 s3, exec_lo
	s_delay_alu instid0(VALU_DEP_1) | instskip(NEXT) | instid1(VALU_DEP_2)
	v_mul_lo_u32 v4, v4, s18
	v_mul_lo_u32 v5, v5, s16
	s_delay_alu instid0(VALU_DEP_1) | instskip(NEXT) | instid1(VALU_DEP_1)
	v_sub_nc_u32_e32 v4, v5, v4
	v_cmp_lt_u32_e32 vcc_lo, s20, v4
	v_cmpx_ge_u32_e64 s20, v4
	s_cbranch_execz .LBB1357_108
; %bb.107:
	v_dual_add_nc_u32 v4, s42, v28 :: v_dual_add_nc_u32 v5, s22, v28
	s_delay_alu instid0(VALU_DEP_1) | instskip(NEXT) | instid1(VALU_DEP_2)
	v_mul_lo_u32 v4, v4, s23
	v_mul_lo_u32 v5, v5, s21
	s_delay_alu instid0(VALU_DEP_1) | instskip(NEXT) | instid1(VALU_DEP_1)
	v_sub_nc_u32_e32 v4, v5, v4
	v_cmp_lt_u32_e64 s0, s43, v4
	s_and_b32 s2, s0, exec_lo
.LBB1357_108:
	s_or_b32 exec_lo, exec_lo, s3
	v_cndmask_b32_e64 v4, 0, 1, vcc_lo
	v_lshlrev_b16 v1, 8, v1
	v_lshlrev_b16 v2, 8, v2
	v_cndmask_b32_e64 v38, 0, 1, s2
	s_delay_alu instid0(VALU_DEP_3) | instskip(NEXT) | instid1(VALU_DEP_1)
	v_bitop3_b16 v1, v3, v1, 0xff bitop3:0xec
	v_dual_lshlrev_b32 v1, 16, v1 :: v_dual_bitop2_b32 v2, v4, v2 bitop3:0x54
	s_delay_alu instid0(VALU_DEP_1) | instskip(NEXT) | instid1(VALU_DEP_1)
	v_and_b32_e32 v2, 0xffff, v2
	v_or_b32_e32 v37, v2, v1
.LBB1357_109:
	s_or_b32 exec_lo, exec_lo, s1
.LBB1357_110:
	v_and_b32_e32 v61, 0xff, v31
	s_delay_alu instid0(VALU_DEP_2)
	v_bfe_u32 v62, v37, 8, 8
	v_bfe_u32 v59, v31, 8, 8
	;; [unrolled: 1-line block ×4, first 2 shown]
	v_dual_lshrrev_b32 v44, 24, v37 :: v_dual_lshrrev_b32 v43, 24, v31
	v_and_b32_e32 v57, 0xff, v32
	v_and_b32_e32 v55, 0xff, v33
	v_bfe_u32 v56, v32, 8, 8
	v_add3_u32 v1, v59, v61, v58
	v_add3_u32 v2, v60, v62, v44
	v_bfe_u32 v53, v33, 8, 8
	v_bfe_u32 v54, v32, 16, 8
	;; [unrolled: 1-line block ×3, first 2 shown]
	v_dual_lshrrev_b32 v42, 24, v32 :: v_dual_lshrrev_b32 v41, 24, v33
	v_add3_u32 v1, v1, v43, v55
	v_add3_u32 v2, v2, v57, v56
	v_and_b32_e32 v52, 0xff, v35
	v_and_b32_e32 v48, 0xff, v36
	v_bfe_u32 v50, v35, 8, 8
	v_add3_u32 v1, v1, v53, v51
	v_add3_u32 v2, v2, v54, v42
	v_bfe_u32 v47, v36, 8, 8
	v_bfe_u32 v49, v35, 16, 8
	;; [unrolled: 1-line block ×3, first 2 shown]
	v_dual_lshrrev_b32 v40, 24, v35 :: v_dual_lshrrev_b32 v39, 24, v36
	v_add3_u32 v1, v1, v41, v48
	v_add3_u32 v2, v2, v52, v50
	v_mbcnt_lo_u32_b32 v63, -1, 0
	v_and_b32_e32 v45, 0xff, v34
	v_and_b32_e32 v3, 0xff, v37
	;; [unrolled: 1-line block ×3, first 2 shown]
	v_add3_u32 v1, v1, v47, v46
	v_add3_u32 v2, v2, v49, v40
	v_dual_lshrrev_b32 v64, 5, v0 :: v_dual_bitop2_b32 v65, 15, v63 bitop3:0x40
	v_and_b32_e32 v67, 16, v63
	s_delay_alu instid0(VALU_DEP_4) | instskip(NEXT) | instid1(VALU_DEP_4)
	v_add3_u32 v68, v1, v39, v3
	v_add3_u32 v69, v2, v45, v4
	s_wait_xcnt 0x0
	v_cmp_eq_u32_e64 s1, 0, v65
	v_cmp_lt_u32_e64 s0, 1, v65
	v_cmp_lt_u32_e64 s2, 3, v65
	v_or_b32_e32 v66, 31, v0
	s_cmp_lg_u32 s33, 0
	s_mov_b32 s3, -1
	v_cmp_lt_u32_e32 vcc_lo, 7, v65
	s_cbranch_scc0 .LBB1357_131
; %bb.111:
	v_mov_b32_dpp v1, v69 row_shr:1 row_mask:0xf bank_mask:0xf
	v_mov_b32_dpp v2, v68 row_shr:1 row_mask:0xf bank_mask:0xf
	s_mov_b32 s3, exec_lo
	s_delay_alu instid0(VALU_DEP_1) | instskip(NEXT) | instid1(VALU_DEP_1)
	v_dual_add_nc_u32 v1, v1, v69 :: v_dual_add_nc_u32 v2, v2, v68
	v_dual_cndmask_b32 v1, v1, v69, s1 :: v_dual_cndmask_b32 v2, v2, v68, s1
	s_delay_alu instid0(VALU_DEP_1) | instskip(NEXT) | instid1(VALU_DEP_2)
	v_mov_b32_dpp v3, v1 row_shr:2 row_mask:0xf bank_mask:0xf
	v_mov_b32_dpp v4, v2 row_shr:2 row_mask:0xf bank_mask:0xf
	s_delay_alu instid0(VALU_DEP_1) | instskip(NEXT) | instid1(VALU_DEP_1)
	v_dual_add_nc_u32 v3, v1, v3 :: v_dual_add_nc_u32 v4, v2, v4
	v_dual_cndmask_b32 v1, v1, v3, s0 :: v_dual_cndmask_b32 v2, v2, v4, s0
	s_delay_alu instid0(VALU_DEP_1) | instskip(NEXT) | instid1(VALU_DEP_2)
	v_mov_b32_dpp v3, v1 row_shr:4 row_mask:0xf bank_mask:0xf
	v_mov_b32_dpp v4, v2 row_shr:4 row_mask:0xf bank_mask:0xf
	;; [unrolled: 6-line block ×3, first 2 shown]
	s_delay_alu instid0(VALU_DEP_1) | instskip(NEXT) | instid1(VALU_DEP_1)
	v_dual_add_nc_u32 v3, v1, v3 :: v_dual_add_nc_u32 v4, v2, v4
	v_dual_cndmask_b32 v1, v1, v3 :: v_dual_cndmask_b32 v2, v2, v4
	v_cmp_eq_u32_e32 vcc_lo, 0, v67
	ds_swizzle_b32 v3, v1 offset:swizzle(BROADCAST,32,15)
	ds_swizzle_b32 v4, v2 offset:swizzle(BROADCAST,32,15)
	s_wait_dscnt 0x0
	v_dual_add_nc_u32 v3, v1, v3 :: v_dual_add_nc_u32 v4, v2, v4
	v_cmpx_eq_u32_e64 v0, v66
; %bb.112:
	s_delay_alu instid0(VALU_DEP_2) | instskip(NEXT) | instid1(VALU_DEP_3)
	v_dual_lshlrev_b32 v5, 3, v64 :: v_dual_cndmask_b32 v7, v3, v1, vcc_lo
	v_cndmask_b32_e32 v6, v4, v2, vcc_lo
	ds_store_b64 v5, v[6:7]
; %bb.113:
	s_or_b32 exec_lo, exec_lo, s3
	s_delay_alu instid0(SALU_CYCLE_1)
	s_mov_b32 s3, exec_lo
	s_wait_dscnt 0x0
	s_barrier_signal -1
	s_barrier_wait -1
	v_cmpx_gt_u32_e32 8, v0
	s_cbranch_execz .LBB1357_115
; %bb.114:
	v_dual_lshlrev_b32 v5, 3, v0 :: v_dual_bitop2_b32 v22, 7, v63 bitop3:0x40
	ds_load_b64 v[6:7], v5
	v_cmp_eq_u32_e64 s2, 0, v22
	s_wait_dscnt 0x0
	v_mov_b32_dpp v8, v6 row_shr:1 row_mask:0xf bank_mask:0xf
	v_mov_b32_dpp v9, v7 row_shr:1 row_mask:0xf bank_mask:0xf
	s_delay_alu instid0(VALU_DEP_1) | instskip(NEXT) | instid1(VALU_DEP_1)
	v_dual_add_nc_u32 v8, v8, v6 :: v_dual_add_nc_u32 v9, v9, v7
	v_dual_cndmask_b32 v6, v8, v6, s2 :: v_dual_cndmask_b32 v7, v9, v7, s2
	v_cmp_lt_u32_e64 s2, 1, v22
	s_delay_alu instid0(VALU_DEP_2) | instskip(NEXT) | instid1(VALU_DEP_3)
	v_mov_b32_dpp v8, v6 row_shr:2 row_mask:0xf bank_mask:0xf
	v_mov_b32_dpp v9, v7 row_shr:2 row_mask:0xf bank_mask:0xf
	s_delay_alu instid0(VALU_DEP_1) | instskip(NEXT) | instid1(VALU_DEP_1)
	v_dual_add_nc_u32 v8, v6, v8 :: v_dual_add_nc_u32 v9, v7, v9
	v_dual_cndmask_b32 v6, v6, v8, s2 :: v_dual_cndmask_b32 v7, v7, v9, s2
	v_cmp_lt_u32_e64 s2, 3, v22
	s_delay_alu instid0(VALU_DEP_2) | instskip(NEXT) | instid1(VALU_DEP_3)
	v_mov_b32_dpp v8, v6 row_shr:4 row_mask:0xf bank_mask:0xf
	v_mov_b32_dpp v9, v7 row_shr:4 row_mask:0xf bank_mask:0xf
	s_delay_alu instid0(VALU_DEP_1) | instskip(NEXT) | instid1(VALU_DEP_1)
	v_dual_cndmask_b32 v8, 0, v8, s2 :: v_dual_cndmask_b32 v9, 0, v9, s2
	v_dual_add_nc_u32 v6, v8, v6 :: v_dual_add_nc_u32 v7, v9, v7
	ds_store_b64 v5, v[6:7]
.LBB1357_115:
	s_or_b32 exec_lo, exec_lo, s3
	v_dual_cndmask_b32 v1, v3, v1 :: v_dual_cndmask_b32 v2, v4, v2
	s_mov_b32 s3, exec_lo
	v_cmp_gt_u32_e32 vcc_lo, 32, v0
	s_wait_dscnt 0x0
	s_barrier_signal -1
	s_barrier_wait -1
                                        ; implicit-def: $vgpr22
	v_cmpx_lt_u32_e32 31, v0
	s_cbranch_execz .LBB1357_117
; %bb.116:
	v_lshl_add_u32 v3, v64, 3, -8
	ds_load_b64 v[22:23], v3
	s_wait_dscnt 0x0
	v_dual_add_nc_u32 v1, v23, v1 :: v_dual_add_nc_u32 v2, v22, v2
.LBB1357_117:
	s_or_b32 exec_lo, exec_lo, s3
	v_sub_co_u32 v3, s2, v63, 1
	s_delay_alu instid0(VALU_DEP_1) | instskip(NEXT) | instid1(VALU_DEP_1)
	v_cmp_gt_i32_e64 s3, 0, v3
	v_cndmask_b32_e64 v3, v3, v63, s3
	s_delay_alu instid0(VALU_DEP_1)
	v_lshlrev_b32_e32 v3, 2, v3
	ds_bpermute_b32 v70, v3, v2
	ds_bpermute_b32 v1, v3, v1
	s_and_saveexec_b32 s3, vcc_lo
	s_cbranch_execz .LBB1357_136
; %bb.118:
	v_mov_b32_e32 v5, 0
	ds_load_b64 v[2:3], v5 offset:56
	s_and_saveexec_b32 s7, s2
	s_cbranch_execz .LBB1357_120
; %bb.119:
	s_add_co_i32 s8, s33, 32
	s_mov_b32 s9, 0
	v_mov_b32_e32 v4, 1
	s_lshl_b64 s[8:9], s[8:9], 4
	s_wait_kmcnt 0x0
	s_add_nc_u64 s[8:9], s[4:5], s[8:9]
	s_delay_alu instid0(SALU_CYCLE_1)
	v_mov_b64_e32 v[6:7], s[8:9]
	s_wait_dscnt 0x0
	;;#ASMSTART
	global_store_b128 v[6:7], v[2:5] off scope:SCOPE_DEV	
s_wait_storecnt 0x0
	;;#ASMEND
.LBB1357_120:
	s_or_b32 exec_lo, exec_lo, s7
	v_xad_u32 v24, v63, -1, s33
	s_mov_b32 s8, 0
	s_mov_b32 s7, exec_lo
	s_delay_alu instid0(VALU_DEP_1) | instskip(SKIP_1) | instid1(VALU_DEP_1)
	v_add_nc_u32_e32 v4, 32, v24
	s_wait_kmcnt 0x0
	v_lshl_add_u64 v[4:5], v[4:5], 4, s[4:5]
	;;#ASMSTART
	global_load_b128 v[6:9], v[4:5] off scope:SCOPE_DEV	
s_wait_loadcnt 0x0
	;;#ASMEND
	v_and_b32_e32 v9, 0xff, v8
	s_delay_alu instid0(VALU_DEP_1)
	v_cmpx_eq_u16_e32 0, v9
	s_cbranch_execz .LBB1357_123
.LBB1357_121:                           ; =>This Inner Loop Header: Depth=1
	;;#ASMSTART
	global_load_b128 v[6:9], v[4:5] off scope:SCOPE_DEV	
s_wait_loadcnt 0x0
	;;#ASMEND
	v_and_b32_e32 v9, 0xff, v8
	s_delay_alu instid0(VALU_DEP_1) | instskip(SKIP_1) | instid1(SALU_CYCLE_1)
	v_cmp_ne_u16_e32 vcc_lo, 0, v9
	s_or_b32 s8, vcc_lo, s8
	s_and_not1_b32 exec_lo, exec_lo, s8
	s_cbranch_execnz .LBB1357_121
; %bb.122:
	s_or_b32 exec_lo, exec_lo, s8
.LBB1357_123:
	s_delay_alu instid0(SALU_CYCLE_1)
	s_or_b32 exec_lo, exec_lo, s7
	v_cmp_ne_u32_e32 vcc_lo, 31, v63
	v_lshlrev_b32_e64 v72, v63, -1
	v_lshl_or_b32 v79, v63, 2, 64
	v_dual_add_nc_u32 v76, 4, v63 :: v_dual_add_nc_u32 v80, 16, v63
	v_add_co_ci_u32_e64 v4, null, 0, v63, vcc_lo
	s_delay_alu instid0(VALU_DEP_1)
	v_lshlrev_b32_e32 v71, 2, v4
	v_and_b32_e32 v4, 0xff, v8
	ds_bpermute_b32 v5, v71, v7
	v_cmp_eq_u16_e32 vcc_lo, 2, v4
	s_wait_dscnt 0x0
	v_add_nc_u32_e32 v5, v5, v7
	ds_bpermute_b32 v4, v71, v6
	v_and_b32_e32 v9, vcc_lo, v72
	v_cmp_gt_u32_e32 vcc_lo, 30, v63
	v_cndmask_b32_e64 v25, 0, 2, vcc_lo
	s_delay_alu instid0(VALU_DEP_1) | instskip(SKIP_3) | instid1(VALU_DEP_1)
	v_add_lshl_u32 v73, v25, v63, 2
	s_wait_dscnt 0x0
	v_add_nc_u32_e32 v4, v4, v6
	v_or_b32_e32 v9, 0x80000000, v9
	v_ctz_i32_b32_e32 v9, v9
	s_delay_alu instid0(VALU_DEP_1) | instskip(NEXT) | instid1(VALU_DEP_4)
	v_cmp_lt_u32_e32 vcc_lo, v63, v9
	v_dual_cndmask_b32 v5, v7, v5 :: v_dual_cndmask_b32 v4, v6, v4
	v_cmp_gt_u32_e32 vcc_lo, 28, v63
	ds_bpermute_b32 v6, v73, v5
	ds_bpermute_b32 v7, v73, v4
	v_add_nc_u32_e32 v74, 2, v63
	v_cndmask_b32_e64 v25, 0, 4, vcc_lo
	s_delay_alu instid0(VALU_DEP_1) | instskip(SKIP_4) | instid1(VALU_DEP_2)
	v_add_lshl_u32 v75, v25, v63, 2
	s_wait_dscnt 0x1
	v_add_nc_u32_e32 v6, v5, v6
	v_cmp_gt_u32_e32 vcc_lo, v74, v9
	s_wait_dscnt 0x0
	v_dual_add_nc_u32 v7, v4, v7 :: v_dual_cndmask_b32 v5, v6, v5, vcc_lo
	s_delay_alu instid0(VALU_DEP_1)
	v_cndmask_b32_e32 v4, v7, v4, vcc_lo
	v_cmp_gt_u32_e32 vcc_lo, 24, v63
	ds_bpermute_b32 v6, v75, v5
	ds_bpermute_b32 v7, v75, v4
	v_cndmask_b32_e64 v25, 0, 8, vcc_lo
	v_cmp_gt_u32_e32 vcc_lo, v76, v9
	s_delay_alu instid0(VALU_DEP_2) | instskip(SKIP_3) | instid1(VALU_DEP_1)
	v_add_lshl_u32 v77, v25, v63, 2
	s_wait_dscnt 0x1
	v_dual_mov_b32 v25, 0 :: v_dual_add_nc_u32 v6, v5, v6
	s_wait_dscnt 0x0
	v_dual_add_nc_u32 v7, v4, v7 :: v_dual_cndmask_b32 v5, v6, v5, vcc_lo
	s_delay_alu instid0(VALU_DEP_1) | instskip(SKIP_4) | instid1(VALU_DEP_1)
	v_cndmask_b32_e32 v4, v7, v4, vcc_lo
	ds_bpermute_b32 v6, v77, v5
	ds_bpermute_b32 v7, v77, v4
	s_wait_dscnt 0x1
	v_dual_add_nc_u32 v78, 8, v63 :: v_dual_add_nc_u32 v6, v5, v6
	v_cmp_gt_u32_e32 vcc_lo, v78, v9
	s_wait_dscnt 0x0
	s_delay_alu instid0(VALU_DEP_2) | instskip(NEXT) | instid1(VALU_DEP_1)
	v_dual_add_nc_u32 v7, v4, v7 :: v_dual_cndmask_b32 v5, v6, v5, vcc_lo
	v_cndmask_b32_e32 v4, v7, v4, vcc_lo
	v_cmp_le_u32_e32 vcc_lo, v80, v9
	ds_bpermute_b32 v7, v79, v5
	ds_bpermute_b32 v6, v79, v4
	s_wait_dscnt 0x0
	v_dual_cndmask_b32 v7, 0, v7 :: v_dual_cndmask_b32 v6, 0, v6
	s_delay_alu instid0(VALU_DEP_1)
	v_dual_add_nc_u32 v7, v7, v5 :: v_dual_add_nc_u32 v6, v6, v4
	s_branch .LBB1357_127
.LBB1357_124:                           ;   in Loop: Header=BB1357_127 Depth=1
	s_or_b32 exec_lo, exec_lo, s8
.LBB1357_125:                           ;   in Loop: Header=BB1357_127 Depth=1
	s_delay_alu instid0(SALU_CYCLE_1)
	s_or_b32 exec_lo, exec_lo, s7
	ds_bpermute_b32 v9, v71, v6
	ds_bpermute_b32 v26, v71, v7
	v_and_b32_e32 v27, 0xff, v8
	v_subrev_nc_u32_e32 v24, 32, v24
	s_mov_b32 s7, 0
	s_delay_alu instid0(VALU_DEP_2) | instskip(SKIP_1) | instid1(VALU_DEP_1)
	v_cmp_eq_u16_e32 vcc_lo, 2, v27
	v_and_or_b32 v27, vcc_lo, v72, 0x80000000
	v_ctz_i32_b32_e32 v27, v27
	s_wait_dscnt 0x0
	v_dual_add_nc_u32 v9, v9, v6 :: v_dual_add_nc_u32 v26, v26, v7
	s_delay_alu instid0(VALU_DEP_2) | instskip(NEXT) | instid1(VALU_DEP_2)
	v_cmp_lt_u32_e32 vcc_lo, v63, v27
	v_dual_cndmask_b32 v7, v7, v26 :: v_dual_cndmask_b32 v6, v6, v9
	v_cmp_gt_u32_e32 vcc_lo, v74, v27
	ds_bpermute_b32 v26, v73, v7
	ds_bpermute_b32 v9, v73, v6
	s_wait_dscnt 0x0
	v_dual_add_nc_u32 v26, v7, v26 :: v_dual_add_nc_u32 v9, v6, v9
	s_delay_alu instid0(VALU_DEP_1)
	v_dual_cndmask_b32 v7, v26, v7 :: v_dual_cndmask_b32 v6, v9, v6
	v_cmp_gt_u32_e32 vcc_lo, v76, v27
	ds_bpermute_b32 v26, v75, v7
	ds_bpermute_b32 v9, v75, v6
	s_wait_dscnt 0x0
	v_dual_add_nc_u32 v26, v7, v26 :: v_dual_add_nc_u32 v9, v6, v9
	s_delay_alu instid0(VALU_DEP_1)
	;; [unrolled: 7-line block ×3, first 2 shown]
	v_dual_cndmask_b32 v7, v26, v7 :: v_dual_cndmask_b32 v6, v9, v6
	v_cmp_le_u32_e32 vcc_lo, v80, v27
	ds_bpermute_b32 v26, v79, v7
	ds_bpermute_b32 v9, v79, v6
	s_wait_dscnt 0x0
	v_dual_cndmask_b32 v26, 0, v26 :: v_dual_cndmask_b32 v9, 0, v9
	s_delay_alu instid0(VALU_DEP_1) | instskip(NEXT) | instid1(VALU_DEP_2)
	v_add3_u32 v7, v7, v5, v26
	v_add3_u32 v6, v6, v4, v9
.LBB1357_126:                           ;   in Loop: Header=BB1357_127 Depth=1
	s_and_b32 vcc_lo, exec_lo, s7
	s_cbranch_vccnz .LBB1357_132
.LBB1357_127:                           ; =>This Loop Header: Depth=1
                                        ;     Child Loop BB1357_130 Depth 2
	v_and_b32_e32 v4, 0xff, v8
	s_mov_b32 s7, -1
                                        ; implicit-def: $vgpr8
	s_delay_alu instid0(VALU_DEP_1)
	v_cmp_ne_u16_e32 vcc_lo, 2, v4
	v_mov_b64_e32 v[4:5], v[6:7]
                                        ; implicit-def: $vgpr6_vgpr7
	s_cmp_lg_u32 vcc_lo, exec_lo
	s_cbranch_scc1 .LBB1357_126
; %bb.128:                              ;   in Loop: Header=BB1357_127 Depth=1
	v_lshl_add_u64 v[26:27], v[24:25], 4, s[4:5]
	;;#ASMSTART
	global_load_b128 v[6:9], v[26:27] off scope:SCOPE_DEV	
s_wait_loadcnt 0x0
	;;#ASMEND
	v_and_b32_e32 v9, 0xff, v8
	s_mov_b32 s7, exec_lo
	s_delay_alu instid0(VALU_DEP_1)
	v_cmpx_eq_u16_e32 0, v9
	s_cbranch_execz .LBB1357_125
; %bb.129:                              ;   in Loop: Header=BB1357_127 Depth=1
	s_mov_b32 s8, 0
.LBB1357_130:                           ;   Parent Loop BB1357_127 Depth=1
                                        ; =>  This Inner Loop Header: Depth=2
	;;#ASMSTART
	global_load_b128 v[6:9], v[26:27] off scope:SCOPE_DEV	
s_wait_loadcnt 0x0
	;;#ASMEND
	v_and_b32_e32 v9, 0xff, v8
	s_delay_alu instid0(VALU_DEP_1) | instskip(SKIP_1) | instid1(SALU_CYCLE_1)
	v_cmp_ne_u16_e32 vcc_lo, 0, v9
	s_or_b32 s8, vcc_lo, s8
	s_and_not1_b32 exec_lo, exec_lo, s8
	s_cbranch_execnz .LBB1357_130
	s_branch .LBB1357_124
.LBB1357_131:
                                        ; implicit-def: $vgpr1
                                        ; implicit-def: $vgpr4
                                        ; implicit-def: $vgpr6
                                        ; implicit-def: $vgpr8
                                        ; implicit-def: $vgpr22
	s_and_b32 vcc_lo, exec_lo, s3
	s_cbranch_vccnz .LBB1357_137
	s_branch .LBB1357_146
.LBB1357_132:
	s_and_saveexec_b32 s7, s2
	s_cbranch_execz .LBB1357_134
; %bb.133:
	s_add_co_i32 s8, s33, 32
	s_mov_b32 s9, 0
	v_dual_mov_b32 v8, 2 :: v_dual_mov_b32 v9, 0
	s_lshl_b64 s[8:9], s[8:9], 4
	v_dual_add_nc_u32 v7, v5, v3 :: v_dual_add_nc_u32 v6, v4, v2
	s_add_nc_u64 s[8:9], s[4:5], s[8:9]
	s_delay_alu instid0(SALU_CYCLE_1)
	v_mov_b64_e32 v[24:25], s[8:9]
	;;#ASMSTART
	global_store_b128 v[24:25], v[6:9] off scope:SCOPE_DEV	
s_wait_storecnt 0x0
	;;#ASMEND
	ds_store_b128 v9, v[2:5] offset:13312
.LBB1357_134:
	s_or_b32 exec_lo, exec_lo, s7
	v_cmp_eq_u32_e32 vcc_lo, 0, v0
	s_and_b32 exec_lo, exec_lo, vcc_lo
; %bb.135:
	v_mov_b32_e32 v2, 0
	ds_store_b64 v2, v[4:5] offset:56
.LBB1357_136:
	s_or_b32 exec_lo, exec_lo, s3
	s_wait_dscnt 0x0
	v_dual_mov_b32 v2, 0 :: v_dual_cndmask_b32 v1, v1, v23, s2
	s_barrier_signal -1
	s_barrier_wait -1
	ds_load_b64 v[8:9], v2 offset:56
	s_wait_dscnt 0x0
	s_barrier_signal -1
	s_barrier_wait -1
	ds_load_b128 v[2:5], v2 offset:13312
	v_cndmask_b32_e64 v6, v70, v22, s2
	v_cmp_eq_u32_e32 vcc_lo, 0, v0
	s_delay_alu instid0(VALU_DEP_2) | instskip(SKIP_2) | instid1(VALU_DEP_2)
	v_dual_add_nc_u32 v1, v9, v1 :: v_dual_add_nc_u32 v7, v8, v6
	s_wait_dscnt 0x0
	v_mov_b32_e32 v6, v5
	v_dual_cndmask_b32 v1, v1, v9 :: v_dual_cndmask_b32 v22, v7, v8
	v_mov_b32_e32 v8, v3
	s_branch .LBB1357_146
.LBB1357_137:
	v_mov_b32_dpp v1, v68 row_shr:1 row_mask:0xf bank_mask:0xf
	v_mov_b32_dpp v2, v69 row_shr:1 row_mask:0xf bank_mask:0xf
	v_cmp_lt_u32_e32 vcc_lo, 3, v65
	s_delay_alu instid0(VALU_DEP_2) | instskip(NEXT) | instid1(VALU_DEP_1)
	v_dual_add_nc_u32 v1, v1, v68 :: v_dual_add_nc_u32 v2, v2, v69
	v_dual_cndmask_b32 v1, v1, v68, s1 :: v_dual_cndmask_b32 v2, v2, v69, s1
	s_mov_b32 s1, exec_lo
	s_delay_alu instid0(VALU_DEP_1) | instskip(NEXT) | instid1(VALU_DEP_2)
	v_mov_b32_dpp v3, v1 row_shr:2 row_mask:0xf bank_mask:0xf
	v_mov_b32_dpp v4, v2 row_shr:2 row_mask:0xf bank_mask:0xf
	s_delay_alu instid0(VALU_DEP_1) | instskip(NEXT) | instid1(VALU_DEP_1)
	v_dual_add_nc_u32 v3, v1, v3 :: v_dual_add_nc_u32 v4, v2, v4
	v_dual_cndmask_b32 v1, v1, v3, s0 :: v_dual_cndmask_b32 v2, v2, v4, s0
	s_delay_alu instid0(VALU_DEP_1) | instskip(NEXT) | instid1(VALU_DEP_2)
	v_mov_b32_dpp v3, v1 row_shr:4 row_mask:0xf bank_mask:0xf
	v_mov_b32_dpp v4, v2 row_shr:4 row_mask:0xf bank_mask:0xf
	s_delay_alu instid0(VALU_DEP_1) | instskip(NEXT) | instid1(VALU_DEP_1)
	v_dual_add_nc_u32 v3, v1, v3 :: v_dual_add_nc_u32 v4, v2, v4
	v_dual_cndmask_b32 v3, v1, v3 :: v_dual_cndmask_b32 v2, v2, v4
	v_cmp_lt_u32_e32 vcc_lo, 7, v65
	s_delay_alu instid0(VALU_DEP_2) | instskip(NEXT) | instid1(VALU_DEP_3)
	v_mov_b32_dpp v1, v3 row_shr:8 row_mask:0xf bank_mask:0xf
	v_mov_b32_dpp v4, v2 row_shr:8 row_mask:0xf bank_mask:0xf
	s_delay_alu instid0(VALU_DEP_1) | instskip(NEXT) | instid1(VALU_DEP_1)
	v_dual_add_nc_u32 v5, v3, v1 :: v_dual_add_nc_u32 v1, v2, v4
	v_cndmask_b32_e32 v1, v2, v1, vcc_lo
	s_delay_alu instid0(VALU_DEP_2)
	v_cndmask_b32_e32 v2, v3, v5, vcc_lo
	v_cmp_eq_u32_e32 vcc_lo, 0, v67
	ds_swizzle_b32 v4, v2 offset:swizzle(BROADCAST,32,15)
	s_wait_dscnt 0x0
	v_add_nc_u32_e32 v4, v2, v4
	ds_swizzle_b32 v3, v1 offset:swizzle(BROADCAST,32,15)
	s_wait_dscnt 0x0
	v_add_nc_u32_e32 v3, v1, v3
	v_cmpx_eq_u32_e64 v0, v66
; %bb.138:
	s_delay_alu instid0(VALU_DEP_2)
	v_dual_cndmask_b32 v6, v4, v2 :: v_dual_cndmask_b32 v7, v3, v1
	v_lshlrev_b32_e32 v5, 3, v64
	ds_store_b64 v5, v[6:7]
; %bb.139:
	s_or_b32 exec_lo, exec_lo, s1
	s_delay_alu instid0(SALU_CYCLE_1)
	s_mov_b32 s1, exec_lo
	s_wait_dscnt 0x0
	s_barrier_signal -1
	s_barrier_wait -1
	v_cmpx_gt_u32_e32 8, v0
	s_cbranch_execz .LBB1357_141
; %bb.140:
	v_dual_lshlrev_b32 v5, 3, v0 :: v_dual_bitop2_b32 v22, 7, v63 bitop3:0x40
	ds_load_b64 v[6:7], v5
	v_cmp_eq_u32_e64 s0, 0, v22
	s_wait_dscnt 0x0
	v_mov_b32_dpp v8, v6 row_shr:1 row_mask:0xf bank_mask:0xf
	v_mov_b32_dpp v9, v7 row_shr:1 row_mask:0xf bank_mask:0xf
	s_delay_alu instid0(VALU_DEP_1) | instskip(NEXT) | instid1(VALU_DEP_1)
	v_dual_add_nc_u32 v8, v8, v6 :: v_dual_add_nc_u32 v9, v9, v7
	v_dual_cndmask_b32 v6, v8, v6, s0 :: v_dual_cndmask_b32 v7, v9, v7, s0
	v_cmp_lt_u32_e64 s0, 1, v22
	s_delay_alu instid0(VALU_DEP_2) | instskip(NEXT) | instid1(VALU_DEP_3)
	v_mov_b32_dpp v8, v6 row_shr:2 row_mask:0xf bank_mask:0xf
	v_mov_b32_dpp v9, v7 row_shr:2 row_mask:0xf bank_mask:0xf
	s_delay_alu instid0(VALU_DEP_1) | instskip(NEXT) | instid1(VALU_DEP_1)
	v_dual_add_nc_u32 v8, v6, v8 :: v_dual_add_nc_u32 v9, v7, v9
	v_dual_cndmask_b32 v6, v6, v8, s0 :: v_dual_cndmask_b32 v7, v7, v9, s0
	v_cmp_lt_u32_e64 s0, 3, v22
	s_delay_alu instid0(VALU_DEP_2) | instskip(NEXT) | instid1(VALU_DEP_3)
	v_mov_b32_dpp v8, v6 row_shr:4 row_mask:0xf bank_mask:0xf
	v_mov_b32_dpp v9, v7 row_shr:4 row_mask:0xf bank_mask:0xf
	s_delay_alu instid0(VALU_DEP_1) | instskip(NEXT) | instid1(VALU_DEP_1)
	v_dual_cndmask_b32 v8, 0, v8, s0 :: v_dual_cndmask_b32 v9, 0, v9, s0
	v_dual_add_nc_u32 v6, v8, v6 :: v_dual_add_nc_u32 v7, v9, v7
	ds_store_b64 v5, v[6:7]
.LBB1357_141:
	s_or_b32 exec_lo, exec_lo, s1
	v_dual_mov_b32 v5, 0 :: v_dual_mov_b32 v6, 0
	v_mov_b32_e32 v7, 0
	s_mov_b32 s1, exec_lo
	s_wait_dscnt 0x0
	s_barrier_signal -1
	s_barrier_wait -1
	v_cmpx_lt_u32_e32 31, v0
; %bb.142:
	v_lshl_add_u32 v6, v64, 3, -8
	ds_load_b64 v[6:7], v6
; %bb.143:
	s_or_b32 exec_lo, exec_lo, s1
	v_sub_co_u32 v8, s0, v63, 1
	v_dual_cndmask_b32 v2, v4, v2 :: v_dual_cndmask_b32 v1, v3, v1
	v_cmp_eq_u32_e32 vcc_lo, 0, v0
	s_delay_alu instid0(VALU_DEP_3) | instskip(SKIP_1) | instid1(VALU_DEP_1)
	v_cmp_gt_i32_e64 s1, 0, v8
	s_wait_dscnt 0x0
	v_dual_add_nc_u32 v2, v6, v2 :: v_dual_cndmask_b32 v4, v8, v63, s1
	s_delay_alu instid0(VALU_DEP_1)
	v_dual_lshlrev_b32 v3, 2, v4 :: v_dual_add_nc_u32 v4, v7, v1
	ds_bpermute_b32 v1, v3, v2
	ds_bpermute_b32 v8, v3, v4
	ds_load_b64 v[2:3], v5 offset:56
	s_and_saveexec_b32 s1, vcc_lo
	s_cbranch_execz .LBB1357_145
; %bb.144:
	s_wait_kmcnt 0x0
	s_add_nc_u64 s[2:3], s[4:5], 0x200
	v_dual_mov_b32 v4, 2 :: v_dual_mov_b32 v5, 0
	v_mov_b64_e32 v[22:23], s[2:3]
	s_wait_dscnt 0x0
	;;#ASMSTART
	global_store_b128 v[22:23], v[2:5] off scope:SCOPE_DEV	
s_wait_storecnt 0x0
	;;#ASMEND
.LBB1357_145:
	s_or_b32 exec_lo, exec_lo, s1
	s_wait_dscnt 0x1
	v_dual_cndmask_b32 v5, v8, v7, s0 :: v_dual_cndmask_b32 v7, v1, v6, s0
	v_dual_mov_b32 v6, 0 :: v_dual_mov_b32 v4, 0
	s_wait_dscnt 0x0
	v_mov_b32_e32 v8, v3
	s_delay_alu instid0(VALU_DEP_3)
	v_cndmask_b32_e64 v1, v5, 0, vcc_lo
	v_cndmask_b32_e64 v22, v7, 0, vcc_lo
	s_barrier_signal -1
	s_barrier_wait -1
.LBB1357_146:
	s_delay_alu instid0(VALU_DEP_1) | instskip(SKIP_1) | instid1(VALU_DEP_2)
	v_dual_add_nc_u32 v62, v1, v62 :: v_dual_add_nc_u32 v70, v22, v61
	v_dual_mov_b32 v5, 0 :: v_dual_lshrrev_b32 v68, 16, v37
	v_dual_lshrrev_b32 v3, 8, v37 :: v_dual_add_nc_u32 v71, v62, v60
	s_delay_alu instid0(VALU_DEP_3) | instskip(SKIP_1) | instid1(VALU_DEP_3)
	v_dual_add_nc_u32 v59, v70, v59 :: v_dual_lshlrev_b32 v60, 1, v2
	v_dual_sub_nc_u32 v72, v22, v4 :: v_dual_sub_nc_u32 v1, v1, v6
	v_dual_add_nc_u32 v73, v71, v44 :: v_dual_bitop2_b32 v74, 1, v31 bitop3:0x40
	s_delay_alu instid0(VALU_DEP_3) | instskip(NEXT) | instid1(VALU_DEP_3)
	v_dual_add_nc_u32 v58, v59, v58 :: v_dual_bitop2_b32 v75, 1, v3 bitop3:0x40
	v_dual_add_nc_u32 v1, v1, v2 :: v_dual_sub_nc_u32 v70, v70, v4
	s_delay_alu instid0(VALU_DEP_2)
	v_dual_add_nc_u32 v57, v73, v57 :: v_dual_add_nc_u32 v76, v58, v43
	v_mov_b32_e32 v61, v5
	s_wait_kmcnt 0x0
	v_add_nc_u64_e32 v[22:23], s[28:29], v[4:5]
	v_dual_mov_b32 v3, v5 :: v_dual_mov_b32 v7, v5
	v_dual_add_nc_u32 v55, v76, v55 :: v_dual_add_nc_u32 v56, v57, v56
	v_cmp_eq_u32_e32 vcc_lo, 1, v75
	v_dual_lshrrev_b32 v69, 8, v31 :: v_dual_lshrrev_b32 v67, 16, v31
	s_delay_alu instid0(VALU_DEP_3) | instskip(NEXT) | instid1(VALU_DEP_4)
	v_dual_add_nc_u32 v53, v55, v53 :: v_dual_mov_b32 v9, v5
	v_add_nc_u32_e32 v54, v56, v54
	v_add3_u32 v5, v60, v8, v30
	s_delay_alu instid0(VALU_DEP_3) | instskip(NEXT) | instid1(VALU_DEP_3)
	v_dual_sub_nc_u32 v62, v62, v6 :: v_dual_add_nc_u32 v51, v53, v51
	v_dual_add_nc_u32 v78, v72, v1 :: v_dual_add_nc_u32 v77, v54, v42
	s_delay_alu instid0(VALU_DEP_2) | instskip(NEXT) | instid1(VALU_DEP_2)
	v_dual_sub_nc_u32 v59, v59, v4 :: v_dual_add_nc_u32 v62, v62, v2
	v_dual_add_nc_u32 v79, v51, v41 :: v_dual_sub_nc_u32 v78, v5, v78
	s_delay_alu instid0(VALU_DEP_3) | instskip(SKIP_1) | instid1(VALU_DEP_3)
	v_add_nc_u32_e32 v52, v77, v52
	v_dual_sub_nc_u32 v73, v73, v6 :: v_dual_sub_nc_u32 v58, v58, v4
	v_add_nc_u32_e32 v48, v79, v48
	s_delay_alu instid0(VALU_DEP_4) | instskip(SKIP_2) | instid1(VALU_DEP_4)
	v_dual_sub_nc_u32 v71, v71, v6 :: v_dual_cndmask_b32 v1, v78, v1, vcc_lo
	v_cmp_eq_u32_e32 vcc_lo, 1, v74
	v_add_nc_u32_e32 v50, v52, v50
	v_dual_add_nc_u32 v80, v62, v70 :: v_dual_add_nc_u32 v47, v48, v47
	v_dual_lshrrev_b32 v66, 8, v32 :: v_dual_lshrrev_b32 v65, 16, v32
	v_dual_cndmask_b32 v1, v1, v72, vcc_lo :: v_dual_add_nc_u32 v71, v71, v2
	s_delay_alu instid0(VALU_DEP_3) | instskip(NEXT) | instid1(VALU_DEP_4)
	v_dual_add_nc_u32 v49, v50, v49 :: v_dual_add_nc_u32 v46, v47, v46
	v_sub_nc_u32_e32 v74, v5, v80
	s_delay_alu instid0(VALU_DEP_3) | instskip(NEXT) | instid1(VALU_DEP_3)
	v_dual_add_nc_u32 v75, v71, v59 :: v_dual_bitop2_b32 v68, 1, v68 bitop3:0x40
	v_dual_add_nc_u32 v72, v49, v40 :: v_dual_bitop2_b32 v69, 1, v69 bitop3:0x40
	s_delay_alu instid0(VALU_DEP_3) | instskip(NEXT) | instid1(VALU_DEP_3)
	v_add_nc_u32_e32 v74, 1, v74
	v_cmp_eq_u32_e32 vcc_lo, 1, v68
	s_delay_alu instid0(VALU_DEP_3) | instskip(SKIP_1) | instid1(VALU_DEP_4)
	v_dual_sub_nc_u32 v75, v5, v75 :: v_dual_add_nc_u32 v45, v72, v45
	v_dual_add_nc_u32 v68, v73, v2 :: v_dual_bitop2_b32 v44, 1, v44 bitop3:0x40
	v_cndmask_b32_e32 v62, v74, v62, vcc_lo
	v_cmp_eq_u32_e32 vcc_lo, 1, v69
	s_delay_alu instid0(VALU_DEP_3)
	v_dual_add_nc_u32 v73, 2, v75 :: v_dual_add_nc_u32 v69, v58, v68
	v_dual_lshlrev_b32 v1, 2, v1 :: v_dual_bitop2_b32 v67, 1, v67 bitop3:0x40
	v_add_nc_u32_e32 v78, v46, v39
	v_cndmask_b32_e32 v62, v62, v70, vcc_lo
	v_cmp_eq_u32_e32 vcc_lo, 1, v44
	v_dual_sub_nc_u32 v57, v57, v6 :: v_dual_bitop2_b32 v43, 1, v43 bitop3:0x40
	ds_store_b32 v1, v20
	v_dual_lshlrev_b32 v20, 2, v62 :: v_dual_cndmask_b32 v44, v73, v71, vcc_lo
	v_cmp_eq_u32_e32 vcc_lo, 1, v67
	v_sub_nc_u32_e32 v1, v5, v69
	v_dual_lshrrev_b32 v63, 16, v33 :: v_dual_lshrrev_b32 v64, 8, v33
	ds_store_b32 v20, v21
	v_dual_cndmask_b32 v44, v44, v59, vcc_lo :: v_dual_bitop2_b32 v32, 1, v32 bitop3:0x40
	v_dual_add_nc_u32 v1, 3, v1 :: v_dual_add_nc_u32 v57, v57, v2
	v_dual_sub_nc_u32 v54, v54, v6 :: v_dual_lshrrev_b32 v25, 16, v35
	v_lshrrev_b32_e32 v27, 8, v35
	s_delay_alu instid0(VALU_DEP_4)
	v_cmp_eq_u32_e32 vcc_lo, 1, v32
	v_sub_nc_u32_e32 v56, v56, v6
	v_sub_nc_u32_e32 v32, v76, v4
	v_dual_lshrrev_b32 v26, 8, v36 :: v_dual_lshrrev_b32 v24, 16, v36
	v_cndmask_b32_e32 v1, v1, v68, vcc_lo
	v_cmp_eq_u32_e32 vcc_lo, 1, v43
	v_dual_sub_nc_u32 v55, v55, v4 :: v_dual_add_nc_u32 v56, v56, v2
	v_dual_add_nc_u32 v43, v32, v57 :: v_dual_lshlrev_b32 v21, 2, v44
	s_delay_alu instid0(VALU_DEP_4) | instskip(NEXT) | instid1(VALU_DEP_2)
	v_dual_cndmask_b32 v1, v1, v58, vcc_lo :: v_dual_bitop2_b32 v58, 1, v65 bitop3:0x40
	v_dual_add_nc_u32 v20, v55, v56 :: v_dual_sub_nc_u32 v43, v5, v43
	s_delay_alu instid0(VALU_DEP_2) | instskip(NEXT) | instid1(VALU_DEP_2)
	v_dual_lshlrev_b32 v1, 2, v1 :: v_dual_bitop2_b32 v44, 1, v66 bitop3:0x40
	v_dual_sub_nc_u32 v20, v5, v20 :: v_dual_bitop2_b32 v33, 1, v33 bitop3:0x40
	s_delay_alu instid0(VALU_DEP_3) | instskip(NEXT) | instid1(VALU_DEP_3)
	v_add_nc_u32_e32 v43, 4, v43
	v_cmp_eq_u32_e32 vcc_lo, 1, v44
	v_dual_sub_nc_u32 v53, v53, v4 :: v_dual_add_nc_u32 v54, v54, v2
	s_delay_alu instid0(VALU_DEP_4)
	v_add_nc_u32_e32 v20, 5, v20
	ds_store_b32 v21, v18
	v_cndmask_b32_e32 v43, v43, v57, vcc_lo
	v_cmp_eq_u32_e32 vcc_lo, 1, v58
	v_and_b32_e32 v44, 1, v64
	ds_store_b32 v1, v19
	v_and_b32_e32 v21, 1, v63
	v_sub_nc_u64_e32 v[30:31], s[30:31], v[2:3]
	v_dual_cndmask_b32 v20, v20, v56, vcc_lo :: v_dual_add_nc_u32 v56, v53, v54
	v_cmp_eq_u32_e32 vcc_lo, 1, v33
	v_sub_nc_u32_e32 v33, v52, v6
	s_mov_b32 s41, 0
	s_delay_alu instid0(VALU_DEP_3)
	v_dual_sub_nc_u32 v18, v5, v56 :: v_dual_bitop2_b32 v27, 1, v27 bitop3:0x40
	v_cndmask_b32_e32 v32, v43, v32, vcc_lo
	v_cmp_eq_u32_e32 vcc_lo, 1, v44
	v_add_nc_u64_e32 v[30:31], v[30:31], v[6:7]
	s_add_nc_u64 s[0:1], s[34:35], s[40:41]
	v_dual_add_nc_u32 v18, 6, v18 :: v_dual_cndmask_b32 v20, v20, v55, vcc_lo
	v_dual_lshlrev_b32 v1, 2, v32 :: v_dual_sub_nc_u32 v32, v77, v6
	s_delay_alu instid0(VALU_DEP_2)
	v_dual_lshlrev_b32 v19, 2, v20 :: v_dual_bitop2_b32 v20, 1, v42 bitop3:0x40
	v_sub_nc_u32_e32 v42, v79, v4
	ds_store_b32 v1, v16
	ds_store_b32 v19, v17
	v_cmp_eq_u32_e32 vcc_lo, 1, v20
	v_dual_sub_nc_u32 v20, v51, v4 :: v_dual_add_nc_u32 v32, v32, v2
	v_dual_add_nc_u32 v33, v33, v2 :: v_dual_bitop2_b32 v19, 1, v35 bitop3:0x40
	v_cndmask_b32_e32 v18, v18, v54, vcc_lo
	v_cmp_eq_u32_e32 vcc_lo, 1, v21
	s_delay_alu instid0(VALU_DEP_4) | instskip(NEXT) | instid1(VALU_DEP_3)
	v_add_nc_u32_e32 v21, v20, v32
	v_dual_cndmask_b32 v18, v18, v53 :: v_dual_sub_nc_u32 v35, v48, v4
	v_add_nc_u32_e32 v1, v42, v33
	s_delay_alu instid0(VALU_DEP_3) | instskip(SKIP_1) | instid1(VALU_DEP_4)
	v_dual_sub_nc_u32 v17, v5, v21 :: v_dual_sub_nc_u32 v21, v50, v6
	v_cmp_eq_u32_e32 vcc_lo, 1, v19
	v_dual_lshlrev_b32 v16, 2, v18 :: v_dual_bitop2_b32 v18, 1, v41 bitop3:0x40
	s_delay_alu instid0(VALU_DEP_4) | instskip(NEXT) | instid1(VALU_DEP_4)
	v_sub_nc_u32_e32 v1, v5, v1
	v_dual_add_nc_u32 v17, 7, v17 :: v_dual_add_nc_u32 v21, v21, v2
	ds_store_b32 v16, v14
	v_dual_add_nc_u32 v1, 8, v1 :: v_dual_cndmask_b32 v17, v17, v32, vcc_lo
	v_cmp_eq_u32_e32 vcc_lo, 1, v27
	v_dual_add_nc_u32 v27, v35, v21 :: v_dual_bitop2_b32 v19, 1, v36 bitop3:0x40
	s_delay_alu instid0(VALU_DEP_3) | instskip(SKIP_1) | instid1(VALU_DEP_3)
	v_cndmask_b32_e32 v1, v1, v33, vcc_lo
	v_cmp_eq_u32_e32 vcc_lo, 1, v18
	v_dual_sub_nc_u32 v14, v5, v27 :: v_dual_bitop2_b32 v18, 1, v25 bitop3:0x40
	v_cndmask_b32_e32 v17, v17, v20, vcc_lo
	v_cmp_eq_u32_e32 vcc_lo, 1, v19
	v_dual_sub_nc_u32 v19, v47, v4 :: v_dual_cndmask_b32 v1, v1, v42, vcc_lo
	s_delay_alu instid0(VALU_DEP_4) | instskip(NEXT) | instid1(VALU_DEP_2)
	v_cmp_eq_u32_e32 vcc_lo, 1, v18
	v_lshlrev_b32_e32 v1, 2, v1
	v_dual_lshlrev_b32 v16, 2, v17 :: v_dual_sub_nc_u32 v17, v49, v6
	ds_store_b32 v16, v15
	v_add_nc_u32_e32 v17, v17, v2
	v_add_nc_u32_e32 v14, 9, v14
	ds_store_b32 v1, v12
	v_dual_sub_nc_u32 v16, v45, v6 :: v_dual_add_nc_u32 v15, v19, v17
	v_dual_cndmask_b32 v14, v14, v21, vcc_lo :: v_dual_bitop2_b32 v20, 1, v26 bitop3:0x40
	v_sub_nc_u32_e32 v12, v72, v6
	s_delay_alu instid0(VALU_DEP_3) | instskip(NEXT) | instid1(VALU_DEP_3)
	v_add_nc_u32_e32 v16, v16, v2
	v_cmp_eq_u32_e32 vcc_lo, 1, v20
	v_sub_nc_u32_e32 v20, v78, v4
	v_cndmask_b32_e32 v1, v14, v35, vcc_lo
	v_dual_sub_nc_u32 v14, v5, v15 :: v_dual_bitop2_b32 v15, 1, v40 bitop3:0x40
	v_dual_sub_nc_u32 v18, v46, v4 :: v_dual_add_nc_u32 v12, v12, v2
	s_delay_alu instid0(VALU_DEP_2) | instskip(NEXT) | instid1(VALU_DEP_3)
	v_dual_add_nc_u32 v14, 10, v14 :: v_dual_bitop2_b32 v4, 1, v24 bitop3:0x40
	v_cmp_eq_u32_e32 vcc_lo, 1, v15
	v_add_nc_u32_e32 v15, v20, v16
	s_delay_alu instid0(VALU_DEP_4) | instskip(NEXT) | instid1(VALU_DEP_4)
	v_dual_add_nc_u32 v21, v18, v12 :: v_dual_lshlrev_b32 v1, 2, v1
	v_cndmask_b32_e32 v14, v14, v17, vcc_lo
	v_cmp_eq_u32_e32 vcc_lo, 1, v4
	s_delay_alu instid0(VALU_DEP_3) | instskip(SKIP_4) | instid1(VALU_DEP_3)
	v_dual_sub_nc_u32 v17, v5, v21 :: v_dual_sub_nc_u32 v4, v5, v15
	ds_store_b32 v1, v13
	v_dual_cndmask_b32 v14, v14, v19, vcc_lo :: v_dual_bitop2_b32 v19, 1, v34 bitop3:0x40
	v_dual_add_nc_u32 v17, 11, v17 :: v_dual_bitop2_b32 v15, 1, v39 bitop3:0x40
	v_dual_add_nc_u32 v24, 12, v4 :: v_dual_bitop2_b32 v21, 1, v38 bitop3:0x40
	v_cmp_eq_u32_e32 vcc_lo, 1, v19
	v_add_nc_u64_e32 v[4:5], v[8:9], v[60:61]
	s_delay_alu instid0(VALU_DEP_4) | instskip(SKIP_2) | instid1(VALU_DEP_4)
	v_dual_lshlrev_b32 v14, 2, v14 :: v_dual_cndmask_b32 v12, v17, v12, vcc_lo
	v_and_b32_e32 v17, 1, v37
	v_cmp_eq_u32_e32 vcc_lo, 1, v21
	v_add_nc_u64_e32 v[4:5], v[4:5], v[30:31]
	ds_store_b32 v14, v10
	v_cndmask_b32_e32 v16, v24, v16, vcc_lo
	v_cmp_eq_u32_e32 vcc_lo, 1, v15
	v_add_nc_u64_e32 v[4:5], v[4:5], v[22:23]
	v_cndmask_b32_e32 v12, v12, v18, vcc_lo
	v_cmp_eq_u32_e32 vcc_lo, 1, v17
	v_cndmask_b32_e32 v15, v16, v20, vcc_lo
	v_cmp_ne_u32_e32 vcc_lo, 1, v29
	s_delay_alu instid0(VALU_DEP_2)
	v_dual_lshlrev_b32 v10, 2, v15 :: v_dual_lshlrev_b32 v1, 2, v12
	v_lshlrev_b64_e32 v[12:13], 2, v[30:31]
	v_lshlrev_b64_e32 v[14:15], 2, v[22:23]
	s_and_b32 vcc_lo, exec_lo, vcc_lo
	ds_store_b32 v1, v11
	ds_store_b32 v10, v28
	v_sub_nc_u64_e32 v[10:11], s[0:1], v[4:5]
	v_add_nc_u64_e32 v[4:5], s[38:39], v[12:13]
	v_add_nc_u64_e32 v[12:13], s[36:37], v[14:15]
	v_add_nc_u32_e32 v14, v2, v8
	s_mov_b32 s0, -1
	s_wait_dscnt 0x0
	s_barrier_signal -1
	s_barrier_wait -1
	s_cbranch_vccz .LBB1357_150
; %bb.147:
	s_and_b32 vcc_lo, exec_lo, s0
	s_cbranch_vccnz .LBB1357_255
.LBB1357_148:
	v_cmp_eq_u32_e32 vcc_lo, 0, v0
	s_and_b32 s0, vcc_lo, s15
	s_delay_alu instid0(SALU_CYCLE_1)
	s_and_saveexec_b32 s1, s0
	s_cbranch_execnz .LBB1357_373
.LBB1357_149:
	s_sendmsg sendmsg(MSG_DEALLOC_VGPRS)
	s_endpgm
.LBB1357_150:
	s_mov_b32 s0, exec_lo
	v_cmpx_ge_u32_e64 v0, v2
	s_xor_b32 s0, exec_lo, s0
	s_cbranch_execz .LBB1357_156
; %bb.151:
	v_mov_b32_e32 v1, 0
	s_mov_b32 s1, exec_lo
	v_cmpx_ge_u32_e64 v0, v14
	s_xor_b32 s1, exec_lo, s1
	s_cbranch_execz .LBB1357_153
; %bb.152:
	v_lshlrev_b32_e32 v15, 2, v0
	v_add_nc_u64_e32 v[16:17], v[10:11], v[0:1]
	ds_load_b32 v1, v15
	v_lshlrev_b64_e32 v[16:17], 2, v[16:17]
	s_delay_alu instid0(VALU_DEP_1)
	v_sub_nc_u64_e32 v[16:17], s[26:27], v[16:17]
	s_wait_dscnt 0x0
	global_store_b32 v[16:17], v1, off offset:-4
.LBB1357_153:
	s_wait_xcnt 0x0
	s_and_not1_saveexec_b32 s1, s1
	s_cbranch_execz .LBB1357_155
; %bb.154:
	v_lshlrev_b32_e32 v1, 2, v0
	v_readfirstlane_b32 s2, v4
	v_readfirstlane_b32 s3, v5
	ds_load_b32 v1, v1
	s_wait_dscnt 0x0
	global_store_b32 v0, v1, s[2:3] scale_offset
.LBB1357_155:
	s_wait_xcnt 0x0
	s_or_b32 exec_lo, exec_lo, s1
.LBB1357_156:
	s_and_not1_saveexec_b32 s0, s0
	s_cbranch_execz .LBB1357_158
; %bb.157:
	v_lshlrev_b32_e32 v1, 2, v0
	v_readfirstlane_b32 s2, v12
	v_readfirstlane_b32 s3, v13
	ds_load_b32 v1, v1
	s_wait_dscnt 0x0
	global_store_b32 v0, v1, s[2:3] scale_offset
.LBB1357_158:
	s_wait_xcnt 0x0
	s_or_b32 exec_lo, exec_lo, s0
	v_or_b32_e32 v1, 0x100, v0
	s_mov_b32 s0, exec_lo
	s_delay_alu instid0(VALU_DEP_1)
	v_cmpx_ge_u32_e64 v1, v2
	s_xor_b32 s0, exec_lo, s0
	s_cbranch_execz .LBB1357_164
; %bb.159:
	s_mov_b32 s1, exec_lo
	v_cmpx_ge_u32_e64 v1, v14
	s_xor_b32 s1, exec_lo, s1
	s_cbranch_execz .LBB1357_161
; %bb.160:
	v_dual_mov_b32 v1, 0 :: v_dual_lshlrev_b32 v15, 2, v0
	s_delay_alu instid0(VALU_DEP_1) | instskip(SKIP_2) | instid1(VALU_DEP_1)
	v_add_nc_u64_e32 v[16:17], v[10:11], v[0:1]
	ds_load_b32 v1, v15 offset:1024
	v_lshlrev_b64_e32 v[16:17], 2, v[16:17]
	v_sub_nc_u64_e32 v[16:17], s[26:27], v[16:17]
	s_wait_dscnt 0x0
	global_store_b32 v[16:17], v1, off offset:-1028
.LBB1357_161:
	s_wait_xcnt 0x0
	s_and_not1_saveexec_b32 s1, s1
	s_cbranch_execz .LBB1357_163
; %bb.162:
	v_lshlrev_b32_e32 v1, 2, v0
	v_readfirstlane_b32 s2, v4
	v_readfirstlane_b32 s3, v5
	ds_load_b32 v1, v1 offset:1024
	s_wait_dscnt 0x0
	global_store_b32 v0, v1, s[2:3] offset:1024 scale_offset
.LBB1357_163:
	s_wait_xcnt 0x0
	s_or_b32 exec_lo, exec_lo, s1
.LBB1357_164:
	s_and_not1_saveexec_b32 s0, s0
	s_cbranch_execz .LBB1357_166
; %bb.165:
	v_lshlrev_b32_e32 v1, 2, v0
	v_readfirstlane_b32 s2, v12
	v_readfirstlane_b32 s3, v13
	ds_load_b32 v1, v1 offset:1024
	s_wait_dscnt 0x0
	global_store_b32 v0, v1, s[2:3] offset:1024 scale_offset
.LBB1357_166:
	s_wait_xcnt 0x0
	s_or_b32 exec_lo, exec_lo, s0
	v_or_b32_e32 v1, 0x200, v0
	s_mov_b32 s0, exec_lo
	s_delay_alu instid0(VALU_DEP_1)
	v_cmpx_ge_u32_e64 v1, v2
	s_xor_b32 s0, exec_lo, s0
	s_cbranch_execz .LBB1357_172
; %bb.167:
	s_mov_b32 s1, exec_lo
	v_cmpx_ge_u32_e64 v1, v14
	s_xor_b32 s1, exec_lo, s1
	s_cbranch_execz .LBB1357_169
; %bb.168:
	v_dual_mov_b32 v1, 0 :: v_dual_lshlrev_b32 v15, 2, v0
	s_delay_alu instid0(VALU_DEP_1) | instskip(SKIP_2) | instid1(VALU_DEP_1)
	v_add_nc_u64_e32 v[16:17], v[10:11], v[0:1]
	ds_load_b32 v1, v15 offset:2048
	v_lshlrev_b64_e32 v[16:17], 2, v[16:17]
	v_sub_nc_u64_e32 v[16:17], s[26:27], v[16:17]
	s_wait_dscnt 0x0
	global_store_b32 v[16:17], v1, off offset:-2052
.LBB1357_169:
	s_wait_xcnt 0x0
	s_and_not1_saveexec_b32 s1, s1
	s_cbranch_execz .LBB1357_171
; %bb.170:
	v_lshlrev_b32_e32 v1, 2, v0
	v_readfirstlane_b32 s2, v4
	v_readfirstlane_b32 s3, v5
	ds_load_b32 v1, v1 offset:2048
	s_wait_dscnt 0x0
	global_store_b32 v0, v1, s[2:3] offset:2048 scale_offset
.LBB1357_171:
	s_wait_xcnt 0x0
	s_or_b32 exec_lo, exec_lo, s1
.LBB1357_172:
	s_and_not1_saveexec_b32 s0, s0
	s_cbranch_execz .LBB1357_174
; %bb.173:
	v_lshlrev_b32_e32 v1, 2, v0
	v_readfirstlane_b32 s2, v12
	v_readfirstlane_b32 s3, v13
	ds_load_b32 v1, v1 offset:2048
	s_wait_dscnt 0x0
	global_store_b32 v0, v1, s[2:3] offset:2048 scale_offset
.LBB1357_174:
	;; [unrolled: 47-line block ×12, first 2 shown]
	s_wait_xcnt 0x0
	s_or_b32 exec_lo, exec_lo, s0
	s_branch .LBB1357_148
.LBB1357_255:
	s_mov_b32 s0, exec_lo
	v_cmpx_gt_u32_e64 s6, v0
	s_cbranch_execz .LBB1357_264
; %bb.256:
	s_mov_b32 s1, exec_lo
	v_cmpx_ge_u32_e64 v0, v2
	s_xor_b32 s1, exec_lo, s1
	s_cbranch_execz .LBB1357_262
; %bb.257:
	v_mov_b32_e32 v1, 0
	s_mov_b32 s2, exec_lo
	v_cmpx_ge_u32_e64 v0, v14
	s_xor_b32 s2, exec_lo, s2
	s_cbranch_execz .LBB1357_259
; %bb.258:
	v_lshlrev_b32_e32 v15, 2, v0
	v_add_nc_u64_e32 v[16:17], v[10:11], v[0:1]
	ds_load_b32 v1, v15
	v_lshlrev_b64_e32 v[16:17], 2, v[16:17]
	s_delay_alu instid0(VALU_DEP_1)
	v_sub_nc_u64_e32 v[16:17], s[26:27], v[16:17]
	s_wait_dscnt 0x0
	global_store_b32 v[16:17], v1, off offset:-4
.LBB1357_259:
	s_wait_xcnt 0x0
	s_and_not1_saveexec_b32 s2, s2
	s_cbranch_execz .LBB1357_261
; %bb.260:
	v_lshlrev_b32_e32 v1, 2, v0
	v_readfirstlane_b32 s4, v4
	v_readfirstlane_b32 s5, v5
	ds_load_b32 v1, v1
	s_wait_dscnt 0x0
	global_store_b32 v0, v1, s[4:5] scale_offset
.LBB1357_261:
	s_wait_xcnt 0x0
	s_or_b32 exec_lo, exec_lo, s2
.LBB1357_262:
	s_and_not1_saveexec_b32 s1, s1
	s_cbranch_execz .LBB1357_264
; %bb.263:
	v_lshlrev_b32_e32 v1, 2, v0
	v_readfirstlane_b32 s2, v12
	v_readfirstlane_b32 s3, v13
	ds_load_b32 v1, v1
	s_wait_dscnt 0x0
	global_store_b32 v0, v1, s[2:3] scale_offset
.LBB1357_264:
	s_wait_xcnt 0x0
	s_or_b32 exec_lo, exec_lo, s0
	v_or_b32_e32 v1, 0x100, v0
	s_mov_b32 s0, exec_lo
	s_delay_alu instid0(VALU_DEP_1)
	v_cmpx_gt_u32_e64 s6, v1
	s_cbranch_execz .LBB1357_273
; %bb.265:
	s_mov_b32 s1, exec_lo
	v_cmpx_ge_u32_e64 v1, v2
	s_xor_b32 s1, exec_lo, s1
	s_cbranch_execz .LBB1357_271
; %bb.266:
	s_mov_b32 s2, exec_lo
	v_cmpx_ge_u32_e64 v1, v14
	s_xor_b32 s2, exec_lo, s2
	s_cbranch_execz .LBB1357_268
; %bb.267:
	v_dual_mov_b32 v1, 0 :: v_dual_lshlrev_b32 v15, 2, v0
	s_delay_alu instid0(VALU_DEP_1) | instskip(SKIP_2) | instid1(VALU_DEP_1)
	v_add_nc_u64_e32 v[16:17], v[10:11], v[0:1]
	ds_load_b32 v1, v15 offset:1024
	v_lshlrev_b64_e32 v[16:17], 2, v[16:17]
	v_sub_nc_u64_e32 v[16:17], s[26:27], v[16:17]
	s_wait_dscnt 0x0
	global_store_b32 v[16:17], v1, off offset:-1028
.LBB1357_268:
	s_wait_xcnt 0x0
	s_and_not1_saveexec_b32 s2, s2
	s_cbranch_execz .LBB1357_270
; %bb.269:
	v_lshlrev_b32_e32 v1, 2, v0
	v_readfirstlane_b32 s4, v4
	v_readfirstlane_b32 s5, v5
	ds_load_b32 v1, v1 offset:1024
	s_wait_dscnt 0x0
	global_store_b32 v0, v1, s[4:5] offset:1024 scale_offset
.LBB1357_270:
	s_wait_xcnt 0x0
	s_or_b32 exec_lo, exec_lo, s2
.LBB1357_271:
	s_and_not1_saveexec_b32 s1, s1
	s_cbranch_execz .LBB1357_273
; %bb.272:
	v_lshlrev_b32_e32 v1, 2, v0
	v_readfirstlane_b32 s2, v12
	v_readfirstlane_b32 s3, v13
	ds_load_b32 v1, v1 offset:1024
	s_wait_dscnt 0x0
	global_store_b32 v0, v1, s[2:3] offset:1024 scale_offset
.LBB1357_273:
	s_wait_xcnt 0x0
	s_or_b32 exec_lo, exec_lo, s0
	v_or_b32_e32 v1, 0x200, v0
	s_mov_b32 s0, exec_lo
	s_delay_alu instid0(VALU_DEP_1)
	v_cmpx_gt_u32_e64 s6, v1
	s_cbranch_execz .LBB1357_282
; %bb.274:
	s_mov_b32 s1, exec_lo
	v_cmpx_ge_u32_e64 v1, v2
	s_xor_b32 s1, exec_lo, s1
	s_cbranch_execz .LBB1357_280
; %bb.275:
	s_mov_b32 s2, exec_lo
	v_cmpx_ge_u32_e64 v1, v14
	s_xor_b32 s2, exec_lo, s2
	s_cbranch_execz .LBB1357_277
; %bb.276:
	v_dual_mov_b32 v1, 0 :: v_dual_lshlrev_b32 v15, 2, v0
	s_delay_alu instid0(VALU_DEP_1) | instskip(SKIP_2) | instid1(VALU_DEP_1)
	v_add_nc_u64_e32 v[16:17], v[10:11], v[0:1]
	ds_load_b32 v1, v15 offset:2048
	v_lshlrev_b64_e32 v[16:17], 2, v[16:17]
	v_sub_nc_u64_e32 v[16:17], s[26:27], v[16:17]
	s_wait_dscnt 0x0
	global_store_b32 v[16:17], v1, off offset:-2052
.LBB1357_277:
	s_wait_xcnt 0x0
	s_and_not1_saveexec_b32 s2, s2
	s_cbranch_execz .LBB1357_279
; %bb.278:
	v_lshlrev_b32_e32 v1, 2, v0
	v_readfirstlane_b32 s4, v4
	v_readfirstlane_b32 s5, v5
	ds_load_b32 v1, v1 offset:2048
	s_wait_dscnt 0x0
	global_store_b32 v0, v1, s[4:5] offset:2048 scale_offset
.LBB1357_279:
	s_wait_xcnt 0x0
	s_or_b32 exec_lo, exec_lo, s2
.LBB1357_280:
	s_and_not1_saveexec_b32 s1, s1
	s_cbranch_execz .LBB1357_282
; %bb.281:
	v_lshlrev_b32_e32 v1, 2, v0
	v_readfirstlane_b32 s2, v12
	v_readfirstlane_b32 s3, v13
	ds_load_b32 v1, v1 offset:2048
	s_wait_dscnt 0x0
	global_store_b32 v0, v1, s[2:3] offset:2048 scale_offset
.LBB1357_282:
	;; [unrolled: 51-line block ×11, first 2 shown]
	s_wait_xcnt 0x0
	s_or_b32 exec_lo, exec_lo, s0
	v_or_b32_e32 v1, 0xc00, v0
	s_mov_b32 s0, exec_lo
	s_delay_alu instid0(VALU_DEP_1)
	v_cmpx_gt_u32_e64 s6, v1
	s_cbranch_execz .LBB1357_372
; %bb.364:
	s_mov_b32 s1, exec_lo
	v_cmpx_ge_u32_e64 v1, v2
	s_xor_b32 s1, exec_lo, s1
	s_cbranch_execz .LBB1357_370
; %bb.365:
	s_mov_b32 s2, exec_lo
	v_cmpx_ge_u32_e64 v1, v14
	s_xor_b32 s2, exec_lo, s2
	s_cbranch_execz .LBB1357_367
; %bb.366:
	v_dual_mov_b32 v1, 0 :: v_dual_lshlrev_b32 v12, 2, v0
	s_delay_alu instid0(VALU_DEP_1) | instskip(SKIP_2) | instid1(VALU_DEP_1)
	v_add_nc_u64_e32 v[4:5], v[10:11], v[0:1]
	ds_load_b32 v1, v12 offset:12288
	v_lshlrev_b64_e32 v[4:5], 2, v[4:5]
	v_sub_nc_u64_e32 v[4:5], s[26:27], v[4:5]
	s_wait_dscnt 0x0
	global_store_b32 v[4:5], v1, off offset:-12292
                                        ; implicit-def: $vgpr4_vgpr5
.LBB1357_367:
	s_wait_xcnt 0x0
	s_and_not1_saveexec_b32 s2, s2
	s_cbranch_execz .LBB1357_369
; %bb.368:
	v_lshlrev_b32_e32 v1, 2, v0
	v_readfirstlane_b32 s4, v4
	v_readfirstlane_b32 s5, v5
	ds_load_b32 v1, v1 offset:12288
	s_wait_dscnt 0x0
	global_store_b32 v0, v1, s[4:5] offset:12288 scale_offset
.LBB1357_369:
	s_wait_xcnt 0x0
	s_or_b32 exec_lo, exec_lo, s2
                                        ; implicit-def: $vgpr12_vgpr13
.LBB1357_370:
	s_and_not1_saveexec_b32 s1, s1
	s_cbranch_execz .LBB1357_372
; %bb.371:
	v_lshlrev_b32_e32 v1, 2, v0
	v_readfirstlane_b32 s2, v12
	v_readfirstlane_b32 s3, v13
	ds_load_b32 v1, v1 offset:12288
	s_wait_dscnt 0x0
	global_store_b32 v0, v1, s[2:3] offset:12288 scale_offset
.LBB1357_372:
	s_wait_xcnt 0x0
	s_or_b32 exec_lo, exec_lo, s0
	v_cmp_eq_u32_e32 vcc_lo, 0, v0
	s_and_b32 s0, vcc_lo, s15
	s_delay_alu instid0(SALU_CYCLE_1)
	s_and_saveexec_b32 s1, s0
	s_cbranch_execz .LBB1357_149
.LBB1357_373:
	v_add_nc_u64_e32 v[0:1], s[30:31], v[8:9]
	v_add_nc_u64_e32 v[2:3], v[22:23], v[2:3]
	s_delay_alu instid0(VALU_DEP_2)
	v_add_nc_u64_e32 v[4:5], v[0:1], v[6:7]
	v_mov_b32_e32 v0, 0
	global_store_b128 v0, v[2:5], s[24:25]
	s_sendmsg sendmsg(MSG_DEALLOC_VGPRS)
	s_endpgm
	.section	.rodata,"a",@progbits
	.p2align	6, 0x0
	.amdhsa_kernel _ZN7rocprim17ROCPRIM_400000_NS6detail17trampoline_kernelINS0_13select_configILj256ELj13ELNS0_17block_load_methodE3ELS4_3ELS4_3ELNS0_20block_scan_algorithmE0ELj4294967295EEENS1_25partition_config_selectorILNS1_17partition_subalgoE4EjNS0_10empty_typeEbEEZZNS1_14partition_implILS8_4ELb0ES6_15HIP_vector_typeIjLj2EENS0_17counting_iteratorIjlEEPS9_SG_NS0_5tupleIJPjSI_NS0_16reverse_iteratorISI_EEEEENSH_IJSG_SG_SG_EEES9_SI_JZNS1_25segmented_radix_sort_implINS0_14default_configELb0EPKfPfPKlPlN2at6native12_GLOBAL__N_18offset_tEEE10hipError_tPvRmT1_PNSt15iterator_traitsIS12_E10value_typeET2_T3_PNS13_IS18_E10value_typeET4_jRbjT5_S1E_jjP12ihipStream_tbEUljE_ZNSN_ISO_Lb0ESQ_SR_ST_SU_SY_EESZ_S10_S11_S12_S16_S17_S18_S1B_S1C_jS1D_jS1E_S1E_jjS1G_bEUljE0_EEESZ_S10_S11_S18_S1C_S1E_T6_T7_T9_mT8_S1G_bDpT10_ENKUlT_T0_E_clISt17integral_constantIbLb0EES1U_EEDaS1P_S1Q_EUlS1P_E_NS1_11comp_targetILNS1_3genE0ELNS1_11target_archE4294967295ELNS1_3gpuE0ELNS1_3repE0EEENS1_30default_config_static_selectorELNS0_4arch9wavefront6targetE0EEEvS12_
		.amdhsa_group_segment_fixed_size 13328
		.amdhsa_private_segment_fixed_size 0
		.amdhsa_kernarg_size 176
		.amdhsa_user_sgpr_count 2
		.amdhsa_user_sgpr_dispatch_ptr 0
		.amdhsa_user_sgpr_queue_ptr 0
		.amdhsa_user_sgpr_kernarg_segment_ptr 1
		.amdhsa_user_sgpr_dispatch_id 0
		.amdhsa_user_sgpr_kernarg_preload_length 0
		.amdhsa_user_sgpr_kernarg_preload_offset 0
		.amdhsa_user_sgpr_private_segment_size 0
		.amdhsa_wavefront_size32 1
		.amdhsa_uses_dynamic_stack 0
		.amdhsa_enable_private_segment 0
		.amdhsa_system_sgpr_workgroup_id_x 1
		.amdhsa_system_sgpr_workgroup_id_y 0
		.amdhsa_system_sgpr_workgroup_id_z 0
		.amdhsa_system_sgpr_workgroup_info 0
		.amdhsa_system_vgpr_workitem_id 0
		.amdhsa_next_free_vgpr 81
		.amdhsa_next_free_sgpr 59
		.amdhsa_named_barrier_count 0
		.amdhsa_reserve_vcc 1
		.amdhsa_float_round_mode_32 0
		.amdhsa_float_round_mode_16_64 0
		.amdhsa_float_denorm_mode_32 3
		.amdhsa_float_denorm_mode_16_64 3
		.amdhsa_fp16_overflow 0
		.amdhsa_memory_ordered 1
		.amdhsa_forward_progress 1
		.amdhsa_inst_pref_size 139
		.amdhsa_round_robin_scheduling 0
		.amdhsa_exception_fp_ieee_invalid_op 0
		.amdhsa_exception_fp_denorm_src 0
		.amdhsa_exception_fp_ieee_div_zero 0
		.amdhsa_exception_fp_ieee_overflow 0
		.amdhsa_exception_fp_ieee_underflow 0
		.amdhsa_exception_fp_ieee_inexact 0
		.amdhsa_exception_int_div_zero 0
	.end_amdhsa_kernel
	.section	.text._ZN7rocprim17ROCPRIM_400000_NS6detail17trampoline_kernelINS0_13select_configILj256ELj13ELNS0_17block_load_methodE3ELS4_3ELS4_3ELNS0_20block_scan_algorithmE0ELj4294967295EEENS1_25partition_config_selectorILNS1_17partition_subalgoE4EjNS0_10empty_typeEbEEZZNS1_14partition_implILS8_4ELb0ES6_15HIP_vector_typeIjLj2EENS0_17counting_iteratorIjlEEPS9_SG_NS0_5tupleIJPjSI_NS0_16reverse_iteratorISI_EEEEENSH_IJSG_SG_SG_EEES9_SI_JZNS1_25segmented_radix_sort_implINS0_14default_configELb0EPKfPfPKlPlN2at6native12_GLOBAL__N_18offset_tEEE10hipError_tPvRmT1_PNSt15iterator_traitsIS12_E10value_typeET2_T3_PNS13_IS18_E10value_typeET4_jRbjT5_S1E_jjP12ihipStream_tbEUljE_ZNSN_ISO_Lb0ESQ_SR_ST_SU_SY_EESZ_S10_S11_S12_S16_S17_S18_S1B_S1C_jS1D_jS1E_S1E_jjS1G_bEUljE0_EEESZ_S10_S11_S18_S1C_S1E_T6_T7_T9_mT8_S1G_bDpT10_ENKUlT_T0_E_clISt17integral_constantIbLb0EES1U_EEDaS1P_S1Q_EUlS1P_E_NS1_11comp_targetILNS1_3genE0ELNS1_11target_archE4294967295ELNS1_3gpuE0ELNS1_3repE0EEENS1_30default_config_static_selectorELNS0_4arch9wavefront6targetE0EEEvS12_,"axG",@progbits,_ZN7rocprim17ROCPRIM_400000_NS6detail17trampoline_kernelINS0_13select_configILj256ELj13ELNS0_17block_load_methodE3ELS4_3ELS4_3ELNS0_20block_scan_algorithmE0ELj4294967295EEENS1_25partition_config_selectorILNS1_17partition_subalgoE4EjNS0_10empty_typeEbEEZZNS1_14partition_implILS8_4ELb0ES6_15HIP_vector_typeIjLj2EENS0_17counting_iteratorIjlEEPS9_SG_NS0_5tupleIJPjSI_NS0_16reverse_iteratorISI_EEEEENSH_IJSG_SG_SG_EEES9_SI_JZNS1_25segmented_radix_sort_implINS0_14default_configELb0EPKfPfPKlPlN2at6native12_GLOBAL__N_18offset_tEEE10hipError_tPvRmT1_PNSt15iterator_traitsIS12_E10value_typeET2_T3_PNS13_IS18_E10value_typeET4_jRbjT5_S1E_jjP12ihipStream_tbEUljE_ZNSN_ISO_Lb0ESQ_SR_ST_SU_SY_EESZ_S10_S11_S12_S16_S17_S18_S1B_S1C_jS1D_jS1E_S1E_jjS1G_bEUljE0_EEESZ_S10_S11_S18_S1C_S1E_T6_T7_T9_mT8_S1G_bDpT10_ENKUlT_T0_E_clISt17integral_constantIbLb0EES1U_EEDaS1P_S1Q_EUlS1P_E_NS1_11comp_targetILNS1_3genE0ELNS1_11target_archE4294967295ELNS1_3gpuE0ELNS1_3repE0EEENS1_30default_config_static_selectorELNS0_4arch9wavefront6targetE0EEEvS12_,comdat
.Lfunc_end1357:
	.size	_ZN7rocprim17ROCPRIM_400000_NS6detail17trampoline_kernelINS0_13select_configILj256ELj13ELNS0_17block_load_methodE3ELS4_3ELS4_3ELNS0_20block_scan_algorithmE0ELj4294967295EEENS1_25partition_config_selectorILNS1_17partition_subalgoE4EjNS0_10empty_typeEbEEZZNS1_14partition_implILS8_4ELb0ES6_15HIP_vector_typeIjLj2EENS0_17counting_iteratorIjlEEPS9_SG_NS0_5tupleIJPjSI_NS0_16reverse_iteratorISI_EEEEENSH_IJSG_SG_SG_EEES9_SI_JZNS1_25segmented_radix_sort_implINS0_14default_configELb0EPKfPfPKlPlN2at6native12_GLOBAL__N_18offset_tEEE10hipError_tPvRmT1_PNSt15iterator_traitsIS12_E10value_typeET2_T3_PNS13_IS18_E10value_typeET4_jRbjT5_S1E_jjP12ihipStream_tbEUljE_ZNSN_ISO_Lb0ESQ_SR_ST_SU_SY_EESZ_S10_S11_S12_S16_S17_S18_S1B_S1C_jS1D_jS1E_S1E_jjS1G_bEUljE0_EEESZ_S10_S11_S18_S1C_S1E_T6_T7_T9_mT8_S1G_bDpT10_ENKUlT_T0_E_clISt17integral_constantIbLb0EES1U_EEDaS1P_S1Q_EUlS1P_E_NS1_11comp_targetILNS1_3genE0ELNS1_11target_archE4294967295ELNS1_3gpuE0ELNS1_3repE0EEENS1_30default_config_static_selectorELNS0_4arch9wavefront6targetE0EEEvS12_, .Lfunc_end1357-_ZN7rocprim17ROCPRIM_400000_NS6detail17trampoline_kernelINS0_13select_configILj256ELj13ELNS0_17block_load_methodE3ELS4_3ELS4_3ELNS0_20block_scan_algorithmE0ELj4294967295EEENS1_25partition_config_selectorILNS1_17partition_subalgoE4EjNS0_10empty_typeEbEEZZNS1_14partition_implILS8_4ELb0ES6_15HIP_vector_typeIjLj2EENS0_17counting_iteratorIjlEEPS9_SG_NS0_5tupleIJPjSI_NS0_16reverse_iteratorISI_EEEEENSH_IJSG_SG_SG_EEES9_SI_JZNS1_25segmented_radix_sort_implINS0_14default_configELb0EPKfPfPKlPlN2at6native12_GLOBAL__N_18offset_tEEE10hipError_tPvRmT1_PNSt15iterator_traitsIS12_E10value_typeET2_T3_PNS13_IS18_E10value_typeET4_jRbjT5_S1E_jjP12ihipStream_tbEUljE_ZNSN_ISO_Lb0ESQ_SR_ST_SU_SY_EESZ_S10_S11_S12_S16_S17_S18_S1B_S1C_jS1D_jS1E_S1E_jjS1G_bEUljE0_EEESZ_S10_S11_S18_S1C_S1E_T6_T7_T9_mT8_S1G_bDpT10_ENKUlT_T0_E_clISt17integral_constantIbLb0EES1U_EEDaS1P_S1Q_EUlS1P_E_NS1_11comp_targetILNS1_3genE0ELNS1_11target_archE4294967295ELNS1_3gpuE0ELNS1_3repE0EEENS1_30default_config_static_selectorELNS0_4arch9wavefront6targetE0EEEvS12_
                                        ; -- End function
	.set _ZN7rocprim17ROCPRIM_400000_NS6detail17trampoline_kernelINS0_13select_configILj256ELj13ELNS0_17block_load_methodE3ELS4_3ELS4_3ELNS0_20block_scan_algorithmE0ELj4294967295EEENS1_25partition_config_selectorILNS1_17partition_subalgoE4EjNS0_10empty_typeEbEEZZNS1_14partition_implILS8_4ELb0ES6_15HIP_vector_typeIjLj2EENS0_17counting_iteratorIjlEEPS9_SG_NS0_5tupleIJPjSI_NS0_16reverse_iteratorISI_EEEEENSH_IJSG_SG_SG_EEES9_SI_JZNS1_25segmented_radix_sort_implINS0_14default_configELb0EPKfPfPKlPlN2at6native12_GLOBAL__N_18offset_tEEE10hipError_tPvRmT1_PNSt15iterator_traitsIS12_E10value_typeET2_T3_PNS13_IS18_E10value_typeET4_jRbjT5_S1E_jjP12ihipStream_tbEUljE_ZNSN_ISO_Lb0ESQ_SR_ST_SU_SY_EESZ_S10_S11_S12_S16_S17_S18_S1B_S1C_jS1D_jS1E_S1E_jjS1G_bEUljE0_EEESZ_S10_S11_S18_S1C_S1E_T6_T7_T9_mT8_S1G_bDpT10_ENKUlT_T0_E_clISt17integral_constantIbLb0EES1U_EEDaS1P_S1Q_EUlS1P_E_NS1_11comp_targetILNS1_3genE0ELNS1_11target_archE4294967295ELNS1_3gpuE0ELNS1_3repE0EEENS1_30default_config_static_selectorELNS0_4arch9wavefront6targetE0EEEvS12_.num_vgpr, 81
	.set _ZN7rocprim17ROCPRIM_400000_NS6detail17trampoline_kernelINS0_13select_configILj256ELj13ELNS0_17block_load_methodE3ELS4_3ELS4_3ELNS0_20block_scan_algorithmE0ELj4294967295EEENS1_25partition_config_selectorILNS1_17partition_subalgoE4EjNS0_10empty_typeEbEEZZNS1_14partition_implILS8_4ELb0ES6_15HIP_vector_typeIjLj2EENS0_17counting_iteratorIjlEEPS9_SG_NS0_5tupleIJPjSI_NS0_16reverse_iteratorISI_EEEEENSH_IJSG_SG_SG_EEES9_SI_JZNS1_25segmented_radix_sort_implINS0_14default_configELb0EPKfPfPKlPlN2at6native12_GLOBAL__N_18offset_tEEE10hipError_tPvRmT1_PNSt15iterator_traitsIS12_E10value_typeET2_T3_PNS13_IS18_E10value_typeET4_jRbjT5_S1E_jjP12ihipStream_tbEUljE_ZNSN_ISO_Lb0ESQ_SR_ST_SU_SY_EESZ_S10_S11_S12_S16_S17_S18_S1B_S1C_jS1D_jS1E_S1E_jjS1G_bEUljE0_EEESZ_S10_S11_S18_S1C_S1E_T6_T7_T9_mT8_S1G_bDpT10_ENKUlT_T0_E_clISt17integral_constantIbLb0EES1U_EEDaS1P_S1Q_EUlS1P_E_NS1_11comp_targetILNS1_3genE0ELNS1_11target_archE4294967295ELNS1_3gpuE0ELNS1_3repE0EEENS1_30default_config_static_selectorELNS0_4arch9wavefront6targetE0EEEvS12_.num_agpr, 0
	.set _ZN7rocprim17ROCPRIM_400000_NS6detail17trampoline_kernelINS0_13select_configILj256ELj13ELNS0_17block_load_methodE3ELS4_3ELS4_3ELNS0_20block_scan_algorithmE0ELj4294967295EEENS1_25partition_config_selectorILNS1_17partition_subalgoE4EjNS0_10empty_typeEbEEZZNS1_14partition_implILS8_4ELb0ES6_15HIP_vector_typeIjLj2EENS0_17counting_iteratorIjlEEPS9_SG_NS0_5tupleIJPjSI_NS0_16reverse_iteratorISI_EEEEENSH_IJSG_SG_SG_EEES9_SI_JZNS1_25segmented_radix_sort_implINS0_14default_configELb0EPKfPfPKlPlN2at6native12_GLOBAL__N_18offset_tEEE10hipError_tPvRmT1_PNSt15iterator_traitsIS12_E10value_typeET2_T3_PNS13_IS18_E10value_typeET4_jRbjT5_S1E_jjP12ihipStream_tbEUljE_ZNSN_ISO_Lb0ESQ_SR_ST_SU_SY_EESZ_S10_S11_S12_S16_S17_S18_S1B_S1C_jS1D_jS1E_S1E_jjS1G_bEUljE0_EEESZ_S10_S11_S18_S1C_S1E_T6_T7_T9_mT8_S1G_bDpT10_ENKUlT_T0_E_clISt17integral_constantIbLb0EES1U_EEDaS1P_S1Q_EUlS1P_E_NS1_11comp_targetILNS1_3genE0ELNS1_11target_archE4294967295ELNS1_3gpuE0ELNS1_3repE0EEENS1_30default_config_static_selectorELNS0_4arch9wavefront6targetE0EEEvS12_.numbered_sgpr, 59
	.set _ZN7rocprim17ROCPRIM_400000_NS6detail17trampoline_kernelINS0_13select_configILj256ELj13ELNS0_17block_load_methodE3ELS4_3ELS4_3ELNS0_20block_scan_algorithmE0ELj4294967295EEENS1_25partition_config_selectorILNS1_17partition_subalgoE4EjNS0_10empty_typeEbEEZZNS1_14partition_implILS8_4ELb0ES6_15HIP_vector_typeIjLj2EENS0_17counting_iteratorIjlEEPS9_SG_NS0_5tupleIJPjSI_NS0_16reverse_iteratorISI_EEEEENSH_IJSG_SG_SG_EEES9_SI_JZNS1_25segmented_radix_sort_implINS0_14default_configELb0EPKfPfPKlPlN2at6native12_GLOBAL__N_18offset_tEEE10hipError_tPvRmT1_PNSt15iterator_traitsIS12_E10value_typeET2_T3_PNS13_IS18_E10value_typeET4_jRbjT5_S1E_jjP12ihipStream_tbEUljE_ZNSN_ISO_Lb0ESQ_SR_ST_SU_SY_EESZ_S10_S11_S12_S16_S17_S18_S1B_S1C_jS1D_jS1E_S1E_jjS1G_bEUljE0_EEESZ_S10_S11_S18_S1C_S1E_T6_T7_T9_mT8_S1G_bDpT10_ENKUlT_T0_E_clISt17integral_constantIbLb0EES1U_EEDaS1P_S1Q_EUlS1P_E_NS1_11comp_targetILNS1_3genE0ELNS1_11target_archE4294967295ELNS1_3gpuE0ELNS1_3repE0EEENS1_30default_config_static_selectorELNS0_4arch9wavefront6targetE0EEEvS12_.num_named_barrier, 0
	.set _ZN7rocprim17ROCPRIM_400000_NS6detail17trampoline_kernelINS0_13select_configILj256ELj13ELNS0_17block_load_methodE3ELS4_3ELS4_3ELNS0_20block_scan_algorithmE0ELj4294967295EEENS1_25partition_config_selectorILNS1_17partition_subalgoE4EjNS0_10empty_typeEbEEZZNS1_14partition_implILS8_4ELb0ES6_15HIP_vector_typeIjLj2EENS0_17counting_iteratorIjlEEPS9_SG_NS0_5tupleIJPjSI_NS0_16reverse_iteratorISI_EEEEENSH_IJSG_SG_SG_EEES9_SI_JZNS1_25segmented_radix_sort_implINS0_14default_configELb0EPKfPfPKlPlN2at6native12_GLOBAL__N_18offset_tEEE10hipError_tPvRmT1_PNSt15iterator_traitsIS12_E10value_typeET2_T3_PNS13_IS18_E10value_typeET4_jRbjT5_S1E_jjP12ihipStream_tbEUljE_ZNSN_ISO_Lb0ESQ_SR_ST_SU_SY_EESZ_S10_S11_S12_S16_S17_S18_S1B_S1C_jS1D_jS1E_S1E_jjS1G_bEUljE0_EEESZ_S10_S11_S18_S1C_S1E_T6_T7_T9_mT8_S1G_bDpT10_ENKUlT_T0_E_clISt17integral_constantIbLb0EES1U_EEDaS1P_S1Q_EUlS1P_E_NS1_11comp_targetILNS1_3genE0ELNS1_11target_archE4294967295ELNS1_3gpuE0ELNS1_3repE0EEENS1_30default_config_static_selectorELNS0_4arch9wavefront6targetE0EEEvS12_.private_seg_size, 0
	.set _ZN7rocprim17ROCPRIM_400000_NS6detail17trampoline_kernelINS0_13select_configILj256ELj13ELNS0_17block_load_methodE3ELS4_3ELS4_3ELNS0_20block_scan_algorithmE0ELj4294967295EEENS1_25partition_config_selectorILNS1_17partition_subalgoE4EjNS0_10empty_typeEbEEZZNS1_14partition_implILS8_4ELb0ES6_15HIP_vector_typeIjLj2EENS0_17counting_iteratorIjlEEPS9_SG_NS0_5tupleIJPjSI_NS0_16reverse_iteratorISI_EEEEENSH_IJSG_SG_SG_EEES9_SI_JZNS1_25segmented_radix_sort_implINS0_14default_configELb0EPKfPfPKlPlN2at6native12_GLOBAL__N_18offset_tEEE10hipError_tPvRmT1_PNSt15iterator_traitsIS12_E10value_typeET2_T3_PNS13_IS18_E10value_typeET4_jRbjT5_S1E_jjP12ihipStream_tbEUljE_ZNSN_ISO_Lb0ESQ_SR_ST_SU_SY_EESZ_S10_S11_S12_S16_S17_S18_S1B_S1C_jS1D_jS1E_S1E_jjS1G_bEUljE0_EEESZ_S10_S11_S18_S1C_S1E_T6_T7_T9_mT8_S1G_bDpT10_ENKUlT_T0_E_clISt17integral_constantIbLb0EES1U_EEDaS1P_S1Q_EUlS1P_E_NS1_11comp_targetILNS1_3genE0ELNS1_11target_archE4294967295ELNS1_3gpuE0ELNS1_3repE0EEENS1_30default_config_static_selectorELNS0_4arch9wavefront6targetE0EEEvS12_.uses_vcc, 1
	.set _ZN7rocprim17ROCPRIM_400000_NS6detail17trampoline_kernelINS0_13select_configILj256ELj13ELNS0_17block_load_methodE3ELS4_3ELS4_3ELNS0_20block_scan_algorithmE0ELj4294967295EEENS1_25partition_config_selectorILNS1_17partition_subalgoE4EjNS0_10empty_typeEbEEZZNS1_14partition_implILS8_4ELb0ES6_15HIP_vector_typeIjLj2EENS0_17counting_iteratorIjlEEPS9_SG_NS0_5tupleIJPjSI_NS0_16reverse_iteratorISI_EEEEENSH_IJSG_SG_SG_EEES9_SI_JZNS1_25segmented_radix_sort_implINS0_14default_configELb0EPKfPfPKlPlN2at6native12_GLOBAL__N_18offset_tEEE10hipError_tPvRmT1_PNSt15iterator_traitsIS12_E10value_typeET2_T3_PNS13_IS18_E10value_typeET4_jRbjT5_S1E_jjP12ihipStream_tbEUljE_ZNSN_ISO_Lb0ESQ_SR_ST_SU_SY_EESZ_S10_S11_S12_S16_S17_S18_S1B_S1C_jS1D_jS1E_S1E_jjS1G_bEUljE0_EEESZ_S10_S11_S18_S1C_S1E_T6_T7_T9_mT8_S1G_bDpT10_ENKUlT_T0_E_clISt17integral_constantIbLb0EES1U_EEDaS1P_S1Q_EUlS1P_E_NS1_11comp_targetILNS1_3genE0ELNS1_11target_archE4294967295ELNS1_3gpuE0ELNS1_3repE0EEENS1_30default_config_static_selectorELNS0_4arch9wavefront6targetE0EEEvS12_.uses_flat_scratch, 0
	.set _ZN7rocprim17ROCPRIM_400000_NS6detail17trampoline_kernelINS0_13select_configILj256ELj13ELNS0_17block_load_methodE3ELS4_3ELS4_3ELNS0_20block_scan_algorithmE0ELj4294967295EEENS1_25partition_config_selectorILNS1_17partition_subalgoE4EjNS0_10empty_typeEbEEZZNS1_14partition_implILS8_4ELb0ES6_15HIP_vector_typeIjLj2EENS0_17counting_iteratorIjlEEPS9_SG_NS0_5tupleIJPjSI_NS0_16reverse_iteratorISI_EEEEENSH_IJSG_SG_SG_EEES9_SI_JZNS1_25segmented_radix_sort_implINS0_14default_configELb0EPKfPfPKlPlN2at6native12_GLOBAL__N_18offset_tEEE10hipError_tPvRmT1_PNSt15iterator_traitsIS12_E10value_typeET2_T3_PNS13_IS18_E10value_typeET4_jRbjT5_S1E_jjP12ihipStream_tbEUljE_ZNSN_ISO_Lb0ESQ_SR_ST_SU_SY_EESZ_S10_S11_S12_S16_S17_S18_S1B_S1C_jS1D_jS1E_S1E_jjS1G_bEUljE0_EEESZ_S10_S11_S18_S1C_S1E_T6_T7_T9_mT8_S1G_bDpT10_ENKUlT_T0_E_clISt17integral_constantIbLb0EES1U_EEDaS1P_S1Q_EUlS1P_E_NS1_11comp_targetILNS1_3genE0ELNS1_11target_archE4294967295ELNS1_3gpuE0ELNS1_3repE0EEENS1_30default_config_static_selectorELNS0_4arch9wavefront6targetE0EEEvS12_.has_dyn_sized_stack, 0
	.set _ZN7rocprim17ROCPRIM_400000_NS6detail17trampoline_kernelINS0_13select_configILj256ELj13ELNS0_17block_load_methodE3ELS4_3ELS4_3ELNS0_20block_scan_algorithmE0ELj4294967295EEENS1_25partition_config_selectorILNS1_17partition_subalgoE4EjNS0_10empty_typeEbEEZZNS1_14partition_implILS8_4ELb0ES6_15HIP_vector_typeIjLj2EENS0_17counting_iteratorIjlEEPS9_SG_NS0_5tupleIJPjSI_NS0_16reverse_iteratorISI_EEEEENSH_IJSG_SG_SG_EEES9_SI_JZNS1_25segmented_radix_sort_implINS0_14default_configELb0EPKfPfPKlPlN2at6native12_GLOBAL__N_18offset_tEEE10hipError_tPvRmT1_PNSt15iterator_traitsIS12_E10value_typeET2_T3_PNS13_IS18_E10value_typeET4_jRbjT5_S1E_jjP12ihipStream_tbEUljE_ZNSN_ISO_Lb0ESQ_SR_ST_SU_SY_EESZ_S10_S11_S12_S16_S17_S18_S1B_S1C_jS1D_jS1E_S1E_jjS1G_bEUljE0_EEESZ_S10_S11_S18_S1C_S1E_T6_T7_T9_mT8_S1G_bDpT10_ENKUlT_T0_E_clISt17integral_constantIbLb0EES1U_EEDaS1P_S1Q_EUlS1P_E_NS1_11comp_targetILNS1_3genE0ELNS1_11target_archE4294967295ELNS1_3gpuE0ELNS1_3repE0EEENS1_30default_config_static_selectorELNS0_4arch9wavefront6targetE0EEEvS12_.has_recursion, 0
	.set _ZN7rocprim17ROCPRIM_400000_NS6detail17trampoline_kernelINS0_13select_configILj256ELj13ELNS0_17block_load_methodE3ELS4_3ELS4_3ELNS0_20block_scan_algorithmE0ELj4294967295EEENS1_25partition_config_selectorILNS1_17partition_subalgoE4EjNS0_10empty_typeEbEEZZNS1_14partition_implILS8_4ELb0ES6_15HIP_vector_typeIjLj2EENS0_17counting_iteratorIjlEEPS9_SG_NS0_5tupleIJPjSI_NS0_16reverse_iteratorISI_EEEEENSH_IJSG_SG_SG_EEES9_SI_JZNS1_25segmented_radix_sort_implINS0_14default_configELb0EPKfPfPKlPlN2at6native12_GLOBAL__N_18offset_tEEE10hipError_tPvRmT1_PNSt15iterator_traitsIS12_E10value_typeET2_T3_PNS13_IS18_E10value_typeET4_jRbjT5_S1E_jjP12ihipStream_tbEUljE_ZNSN_ISO_Lb0ESQ_SR_ST_SU_SY_EESZ_S10_S11_S12_S16_S17_S18_S1B_S1C_jS1D_jS1E_S1E_jjS1G_bEUljE0_EEESZ_S10_S11_S18_S1C_S1E_T6_T7_T9_mT8_S1G_bDpT10_ENKUlT_T0_E_clISt17integral_constantIbLb0EES1U_EEDaS1P_S1Q_EUlS1P_E_NS1_11comp_targetILNS1_3genE0ELNS1_11target_archE4294967295ELNS1_3gpuE0ELNS1_3repE0EEENS1_30default_config_static_selectorELNS0_4arch9wavefront6targetE0EEEvS12_.has_indirect_call, 0
	.section	.AMDGPU.csdata,"",@progbits
; Kernel info:
; codeLenInByte = 17784
; TotalNumSgprs: 61
; NumVgprs: 81
; ScratchSize: 0
; MemoryBound: 0
; FloatMode: 240
; IeeeMode: 1
; LDSByteSize: 13328 bytes/workgroup (compile time only)
; SGPRBlocks: 0
; VGPRBlocks: 5
; NumSGPRsForWavesPerEU: 61
; NumVGPRsForWavesPerEU: 81
; NamedBarCnt: 0
; Occupancy: 10
; WaveLimiterHint : 1
; COMPUTE_PGM_RSRC2:SCRATCH_EN: 0
; COMPUTE_PGM_RSRC2:USER_SGPR: 2
; COMPUTE_PGM_RSRC2:TRAP_HANDLER: 0
; COMPUTE_PGM_RSRC2:TGID_X_EN: 1
; COMPUTE_PGM_RSRC2:TGID_Y_EN: 0
; COMPUTE_PGM_RSRC2:TGID_Z_EN: 0
; COMPUTE_PGM_RSRC2:TIDIG_COMP_CNT: 0
	.section	.text._ZN7rocprim17ROCPRIM_400000_NS6detail17trampoline_kernelINS0_13select_configILj256ELj13ELNS0_17block_load_methodE3ELS4_3ELS4_3ELNS0_20block_scan_algorithmE0ELj4294967295EEENS1_25partition_config_selectorILNS1_17partition_subalgoE4EjNS0_10empty_typeEbEEZZNS1_14partition_implILS8_4ELb0ES6_15HIP_vector_typeIjLj2EENS0_17counting_iteratorIjlEEPS9_SG_NS0_5tupleIJPjSI_NS0_16reverse_iteratorISI_EEEEENSH_IJSG_SG_SG_EEES9_SI_JZNS1_25segmented_radix_sort_implINS0_14default_configELb0EPKfPfPKlPlN2at6native12_GLOBAL__N_18offset_tEEE10hipError_tPvRmT1_PNSt15iterator_traitsIS12_E10value_typeET2_T3_PNS13_IS18_E10value_typeET4_jRbjT5_S1E_jjP12ihipStream_tbEUljE_ZNSN_ISO_Lb0ESQ_SR_ST_SU_SY_EESZ_S10_S11_S12_S16_S17_S18_S1B_S1C_jS1D_jS1E_S1E_jjS1G_bEUljE0_EEESZ_S10_S11_S18_S1C_S1E_T6_T7_T9_mT8_S1G_bDpT10_ENKUlT_T0_E_clISt17integral_constantIbLb0EES1U_EEDaS1P_S1Q_EUlS1P_E_NS1_11comp_targetILNS1_3genE5ELNS1_11target_archE942ELNS1_3gpuE9ELNS1_3repE0EEENS1_30default_config_static_selectorELNS0_4arch9wavefront6targetE0EEEvS12_,"axG",@progbits,_ZN7rocprim17ROCPRIM_400000_NS6detail17trampoline_kernelINS0_13select_configILj256ELj13ELNS0_17block_load_methodE3ELS4_3ELS4_3ELNS0_20block_scan_algorithmE0ELj4294967295EEENS1_25partition_config_selectorILNS1_17partition_subalgoE4EjNS0_10empty_typeEbEEZZNS1_14partition_implILS8_4ELb0ES6_15HIP_vector_typeIjLj2EENS0_17counting_iteratorIjlEEPS9_SG_NS0_5tupleIJPjSI_NS0_16reverse_iteratorISI_EEEEENSH_IJSG_SG_SG_EEES9_SI_JZNS1_25segmented_radix_sort_implINS0_14default_configELb0EPKfPfPKlPlN2at6native12_GLOBAL__N_18offset_tEEE10hipError_tPvRmT1_PNSt15iterator_traitsIS12_E10value_typeET2_T3_PNS13_IS18_E10value_typeET4_jRbjT5_S1E_jjP12ihipStream_tbEUljE_ZNSN_ISO_Lb0ESQ_SR_ST_SU_SY_EESZ_S10_S11_S12_S16_S17_S18_S1B_S1C_jS1D_jS1E_S1E_jjS1G_bEUljE0_EEESZ_S10_S11_S18_S1C_S1E_T6_T7_T9_mT8_S1G_bDpT10_ENKUlT_T0_E_clISt17integral_constantIbLb0EES1U_EEDaS1P_S1Q_EUlS1P_E_NS1_11comp_targetILNS1_3genE5ELNS1_11target_archE942ELNS1_3gpuE9ELNS1_3repE0EEENS1_30default_config_static_selectorELNS0_4arch9wavefront6targetE0EEEvS12_,comdat
	.globl	_ZN7rocprim17ROCPRIM_400000_NS6detail17trampoline_kernelINS0_13select_configILj256ELj13ELNS0_17block_load_methodE3ELS4_3ELS4_3ELNS0_20block_scan_algorithmE0ELj4294967295EEENS1_25partition_config_selectorILNS1_17partition_subalgoE4EjNS0_10empty_typeEbEEZZNS1_14partition_implILS8_4ELb0ES6_15HIP_vector_typeIjLj2EENS0_17counting_iteratorIjlEEPS9_SG_NS0_5tupleIJPjSI_NS0_16reverse_iteratorISI_EEEEENSH_IJSG_SG_SG_EEES9_SI_JZNS1_25segmented_radix_sort_implINS0_14default_configELb0EPKfPfPKlPlN2at6native12_GLOBAL__N_18offset_tEEE10hipError_tPvRmT1_PNSt15iterator_traitsIS12_E10value_typeET2_T3_PNS13_IS18_E10value_typeET4_jRbjT5_S1E_jjP12ihipStream_tbEUljE_ZNSN_ISO_Lb0ESQ_SR_ST_SU_SY_EESZ_S10_S11_S12_S16_S17_S18_S1B_S1C_jS1D_jS1E_S1E_jjS1G_bEUljE0_EEESZ_S10_S11_S18_S1C_S1E_T6_T7_T9_mT8_S1G_bDpT10_ENKUlT_T0_E_clISt17integral_constantIbLb0EES1U_EEDaS1P_S1Q_EUlS1P_E_NS1_11comp_targetILNS1_3genE5ELNS1_11target_archE942ELNS1_3gpuE9ELNS1_3repE0EEENS1_30default_config_static_selectorELNS0_4arch9wavefront6targetE0EEEvS12_ ; -- Begin function _ZN7rocprim17ROCPRIM_400000_NS6detail17trampoline_kernelINS0_13select_configILj256ELj13ELNS0_17block_load_methodE3ELS4_3ELS4_3ELNS0_20block_scan_algorithmE0ELj4294967295EEENS1_25partition_config_selectorILNS1_17partition_subalgoE4EjNS0_10empty_typeEbEEZZNS1_14partition_implILS8_4ELb0ES6_15HIP_vector_typeIjLj2EENS0_17counting_iteratorIjlEEPS9_SG_NS0_5tupleIJPjSI_NS0_16reverse_iteratorISI_EEEEENSH_IJSG_SG_SG_EEES9_SI_JZNS1_25segmented_radix_sort_implINS0_14default_configELb0EPKfPfPKlPlN2at6native12_GLOBAL__N_18offset_tEEE10hipError_tPvRmT1_PNSt15iterator_traitsIS12_E10value_typeET2_T3_PNS13_IS18_E10value_typeET4_jRbjT5_S1E_jjP12ihipStream_tbEUljE_ZNSN_ISO_Lb0ESQ_SR_ST_SU_SY_EESZ_S10_S11_S12_S16_S17_S18_S1B_S1C_jS1D_jS1E_S1E_jjS1G_bEUljE0_EEESZ_S10_S11_S18_S1C_S1E_T6_T7_T9_mT8_S1G_bDpT10_ENKUlT_T0_E_clISt17integral_constantIbLb0EES1U_EEDaS1P_S1Q_EUlS1P_E_NS1_11comp_targetILNS1_3genE5ELNS1_11target_archE942ELNS1_3gpuE9ELNS1_3repE0EEENS1_30default_config_static_selectorELNS0_4arch9wavefront6targetE0EEEvS12_
	.p2align	8
	.type	_ZN7rocprim17ROCPRIM_400000_NS6detail17trampoline_kernelINS0_13select_configILj256ELj13ELNS0_17block_load_methodE3ELS4_3ELS4_3ELNS0_20block_scan_algorithmE0ELj4294967295EEENS1_25partition_config_selectorILNS1_17partition_subalgoE4EjNS0_10empty_typeEbEEZZNS1_14partition_implILS8_4ELb0ES6_15HIP_vector_typeIjLj2EENS0_17counting_iteratorIjlEEPS9_SG_NS0_5tupleIJPjSI_NS0_16reverse_iteratorISI_EEEEENSH_IJSG_SG_SG_EEES9_SI_JZNS1_25segmented_radix_sort_implINS0_14default_configELb0EPKfPfPKlPlN2at6native12_GLOBAL__N_18offset_tEEE10hipError_tPvRmT1_PNSt15iterator_traitsIS12_E10value_typeET2_T3_PNS13_IS18_E10value_typeET4_jRbjT5_S1E_jjP12ihipStream_tbEUljE_ZNSN_ISO_Lb0ESQ_SR_ST_SU_SY_EESZ_S10_S11_S12_S16_S17_S18_S1B_S1C_jS1D_jS1E_S1E_jjS1G_bEUljE0_EEESZ_S10_S11_S18_S1C_S1E_T6_T7_T9_mT8_S1G_bDpT10_ENKUlT_T0_E_clISt17integral_constantIbLb0EES1U_EEDaS1P_S1Q_EUlS1P_E_NS1_11comp_targetILNS1_3genE5ELNS1_11target_archE942ELNS1_3gpuE9ELNS1_3repE0EEENS1_30default_config_static_selectorELNS0_4arch9wavefront6targetE0EEEvS12_,@function
_ZN7rocprim17ROCPRIM_400000_NS6detail17trampoline_kernelINS0_13select_configILj256ELj13ELNS0_17block_load_methodE3ELS4_3ELS4_3ELNS0_20block_scan_algorithmE0ELj4294967295EEENS1_25partition_config_selectorILNS1_17partition_subalgoE4EjNS0_10empty_typeEbEEZZNS1_14partition_implILS8_4ELb0ES6_15HIP_vector_typeIjLj2EENS0_17counting_iteratorIjlEEPS9_SG_NS0_5tupleIJPjSI_NS0_16reverse_iteratorISI_EEEEENSH_IJSG_SG_SG_EEES9_SI_JZNS1_25segmented_radix_sort_implINS0_14default_configELb0EPKfPfPKlPlN2at6native12_GLOBAL__N_18offset_tEEE10hipError_tPvRmT1_PNSt15iterator_traitsIS12_E10value_typeET2_T3_PNS13_IS18_E10value_typeET4_jRbjT5_S1E_jjP12ihipStream_tbEUljE_ZNSN_ISO_Lb0ESQ_SR_ST_SU_SY_EESZ_S10_S11_S12_S16_S17_S18_S1B_S1C_jS1D_jS1E_S1E_jjS1G_bEUljE0_EEESZ_S10_S11_S18_S1C_S1E_T6_T7_T9_mT8_S1G_bDpT10_ENKUlT_T0_E_clISt17integral_constantIbLb0EES1U_EEDaS1P_S1Q_EUlS1P_E_NS1_11comp_targetILNS1_3genE5ELNS1_11target_archE942ELNS1_3gpuE9ELNS1_3repE0EEENS1_30default_config_static_selectorELNS0_4arch9wavefront6targetE0EEEvS12_: ; @_ZN7rocprim17ROCPRIM_400000_NS6detail17trampoline_kernelINS0_13select_configILj256ELj13ELNS0_17block_load_methodE3ELS4_3ELS4_3ELNS0_20block_scan_algorithmE0ELj4294967295EEENS1_25partition_config_selectorILNS1_17partition_subalgoE4EjNS0_10empty_typeEbEEZZNS1_14partition_implILS8_4ELb0ES6_15HIP_vector_typeIjLj2EENS0_17counting_iteratorIjlEEPS9_SG_NS0_5tupleIJPjSI_NS0_16reverse_iteratorISI_EEEEENSH_IJSG_SG_SG_EEES9_SI_JZNS1_25segmented_radix_sort_implINS0_14default_configELb0EPKfPfPKlPlN2at6native12_GLOBAL__N_18offset_tEEE10hipError_tPvRmT1_PNSt15iterator_traitsIS12_E10value_typeET2_T3_PNS13_IS18_E10value_typeET4_jRbjT5_S1E_jjP12ihipStream_tbEUljE_ZNSN_ISO_Lb0ESQ_SR_ST_SU_SY_EESZ_S10_S11_S12_S16_S17_S18_S1B_S1C_jS1D_jS1E_S1E_jjS1G_bEUljE0_EEESZ_S10_S11_S18_S1C_S1E_T6_T7_T9_mT8_S1G_bDpT10_ENKUlT_T0_E_clISt17integral_constantIbLb0EES1U_EEDaS1P_S1Q_EUlS1P_E_NS1_11comp_targetILNS1_3genE5ELNS1_11target_archE942ELNS1_3gpuE9ELNS1_3repE0EEENS1_30default_config_static_selectorELNS0_4arch9wavefront6targetE0EEEvS12_
; %bb.0:
	.section	.rodata,"a",@progbits
	.p2align	6, 0x0
	.amdhsa_kernel _ZN7rocprim17ROCPRIM_400000_NS6detail17trampoline_kernelINS0_13select_configILj256ELj13ELNS0_17block_load_methodE3ELS4_3ELS4_3ELNS0_20block_scan_algorithmE0ELj4294967295EEENS1_25partition_config_selectorILNS1_17partition_subalgoE4EjNS0_10empty_typeEbEEZZNS1_14partition_implILS8_4ELb0ES6_15HIP_vector_typeIjLj2EENS0_17counting_iteratorIjlEEPS9_SG_NS0_5tupleIJPjSI_NS0_16reverse_iteratorISI_EEEEENSH_IJSG_SG_SG_EEES9_SI_JZNS1_25segmented_radix_sort_implINS0_14default_configELb0EPKfPfPKlPlN2at6native12_GLOBAL__N_18offset_tEEE10hipError_tPvRmT1_PNSt15iterator_traitsIS12_E10value_typeET2_T3_PNS13_IS18_E10value_typeET4_jRbjT5_S1E_jjP12ihipStream_tbEUljE_ZNSN_ISO_Lb0ESQ_SR_ST_SU_SY_EESZ_S10_S11_S12_S16_S17_S18_S1B_S1C_jS1D_jS1E_S1E_jjS1G_bEUljE0_EEESZ_S10_S11_S18_S1C_S1E_T6_T7_T9_mT8_S1G_bDpT10_ENKUlT_T0_E_clISt17integral_constantIbLb0EES1U_EEDaS1P_S1Q_EUlS1P_E_NS1_11comp_targetILNS1_3genE5ELNS1_11target_archE942ELNS1_3gpuE9ELNS1_3repE0EEENS1_30default_config_static_selectorELNS0_4arch9wavefront6targetE0EEEvS12_
		.amdhsa_group_segment_fixed_size 0
		.amdhsa_private_segment_fixed_size 0
		.amdhsa_kernarg_size 176
		.amdhsa_user_sgpr_count 2
		.amdhsa_user_sgpr_dispatch_ptr 0
		.amdhsa_user_sgpr_queue_ptr 0
		.amdhsa_user_sgpr_kernarg_segment_ptr 1
		.amdhsa_user_sgpr_dispatch_id 0
		.amdhsa_user_sgpr_kernarg_preload_length 0
		.amdhsa_user_sgpr_kernarg_preload_offset 0
		.amdhsa_user_sgpr_private_segment_size 0
		.amdhsa_wavefront_size32 1
		.amdhsa_uses_dynamic_stack 0
		.amdhsa_enable_private_segment 0
		.amdhsa_system_sgpr_workgroup_id_x 1
		.amdhsa_system_sgpr_workgroup_id_y 0
		.amdhsa_system_sgpr_workgroup_id_z 0
		.amdhsa_system_sgpr_workgroup_info 0
		.amdhsa_system_vgpr_workitem_id 0
		.amdhsa_next_free_vgpr 1
		.amdhsa_next_free_sgpr 1
		.amdhsa_named_barrier_count 0
		.amdhsa_reserve_vcc 0
		.amdhsa_float_round_mode_32 0
		.amdhsa_float_round_mode_16_64 0
		.amdhsa_float_denorm_mode_32 3
		.amdhsa_float_denorm_mode_16_64 3
		.amdhsa_fp16_overflow 0
		.amdhsa_memory_ordered 1
		.amdhsa_forward_progress 1
		.amdhsa_inst_pref_size 0
		.amdhsa_round_robin_scheduling 0
		.amdhsa_exception_fp_ieee_invalid_op 0
		.amdhsa_exception_fp_denorm_src 0
		.amdhsa_exception_fp_ieee_div_zero 0
		.amdhsa_exception_fp_ieee_overflow 0
		.amdhsa_exception_fp_ieee_underflow 0
		.amdhsa_exception_fp_ieee_inexact 0
		.amdhsa_exception_int_div_zero 0
	.end_amdhsa_kernel
	.section	.text._ZN7rocprim17ROCPRIM_400000_NS6detail17trampoline_kernelINS0_13select_configILj256ELj13ELNS0_17block_load_methodE3ELS4_3ELS4_3ELNS0_20block_scan_algorithmE0ELj4294967295EEENS1_25partition_config_selectorILNS1_17partition_subalgoE4EjNS0_10empty_typeEbEEZZNS1_14partition_implILS8_4ELb0ES6_15HIP_vector_typeIjLj2EENS0_17counting_iteratorIjlEEPS9_SG_NS0_5tupleIJPjSI_NS0_16reverse_iteratorISI_EEEEENSH_IJSG_SG_SG_EEES9_SI_JZNS1_25segmented_radix_sort_implINS0_14default_configELb0EPKfPfPKlPlN2at6native12_GLOBAL__N_18offset_tEEE10hipError_tPvRmT1_PNSt15iterator_traitsIS12_E10value_typeET2_T3_PNS13_IS18_E10value_typeET4_jRbjT5_S1E_jjP12ihipStream_tbEUljE_ZNSN_ISO_Lb0ESQ_SR_ST_SU_SY_EESZ_S10_S11_S12_S16_S17_S18_S1B_S1C_jS1D_jS1E_S1E_jjS1G_bEUljE0_EEESZ_S10_S11_S18_S1C_S1E_T6_T7_T9_mT8_S1G_bDpT10_ENKUlT_T0_E_clISt17integral_constantIbLb0EES1U_EEDaS1P_S1Q_EUlS1P_E_NS1_11comp_targetILNS1_3genE5ELNS1_11target_archE942ELNS1_3gpuE9ELNS1_3repE0EEENS1_30default_config_static_selectorELNS0_4arch9wavefront6targetE0EEEvS12_,"axG",@progbits,_ZN7rocprim17ROCPRIM_400000_NS6detail17trampoline_kernelINS0_13select_configILj256ELj13ELNS0_17block_load_methodE3ELS4_3ELS4_3ELNS0_20block_scan_algorithmE0ELj4294967295EEENS1_25partition_config_selectorILNS1_17partition_subalgoE4EjNS0_10empty_typeEbEEZZNS1_14partition_implILS8_4ELb0ES6_15HIP_vector_typeIjLj2EENS0_17counting_iteratorIjlEEPS9_SG_NS0_5tupleIJPjSI_NS0_16reverse_iteratorISI_EEEEENSH_IJSG_SG_SG_EEES9_SI_JZNS1_25segmented_radix_sort_implINS0_14default_configELb0EPKfPfPKlPlN2at6native12_GLOBAL__N_18offset_tEEE10hipError_tPvRmT1_PNSt15iterator_traitsIS12_E10value_typeET2_T3_PNS13_IS18_E10value_typeET4_jRbjT5_S1E_jjP12ihipStream_tbEUljE_ZNSN_ISO_Lb0ESQ_SR_ST_SU_SY_EESZ_S10_S11_S12_S16_S17_S18_S1B_S1C_jS1D_jS1E_S1E_jjS1G_bEUljE0_EEESZ_S10_S11_S18_S1C_S1E_T6_T7_T9_mT8_S1G_bDpT10_ENKUlT_T0_E_clISt17integral_constantIbLb0EES1U_EEDaS1P_S1Q_EUlS1P_E_NS1_11comp_targetILNS1_3genE5ELNS1_11target_archE942ELNS1_3gpuE9ELNS1_3repE0EEENS1_30default_config_static_selectorELNS0_4arch9wavefront6targetE0EEEvS12_,comdat
.Lfunc_end1358:
	.size	_ZN7rocprim17ROCPRIM_400000_NS6detail17trampoline_kernelINS0_13select_configILj256ELj13ELNS0_17block_load_methodE3ELS4_3ELS4_3ELNS0_20block_scan_algorithmE0ELj4294967295EEENS1_25partition_config_selectorILNS1_17partition_subalgoE4EjNS0_10empty_typeEbEEZZNS1_14partition_implILS8_4ELb0ES6_15HIP_vector_typeIjLj2EENS0_17counting_iteratorIjlEEPS9_SG_NS0_5tupleIJPjSI_NS0_16reverse_iteratorISI_EEEEENSH_IJSG_SG_SG_EEES9_SI_JZNS1_25segmented_radix_sort_implINS0_14default_configELb0EPKfPfPKlPlN2at6native12_GLOBAL__N_18offset_tEEE10hipError_tPvRmT1_PNSt15iterator_traitsIS12_E10value_typeET2_T3_PNS13_IS18_E10value_typeET4_jRbjT5_S1E_jjP12ihipStream_tbEUljE_ZNSN_ISO_Lb0ESQ_SR_ST_SU_SY_EESZ_S10_S11_S12_S16_S17_S18_S1B_S1C_jS1D_jS1E_S1E_jjS1G_bEUljE0_EEESZ_S10_S11_S18_S1C_S1E_T6_T7_T9_mT8_S1G_bDpT10_ENKUlT_T0_E_clISt17integral_constantIbLb0EES1U_EEDaS1P_S1Q_EUlS1P_E_NS1_11comp_targetILNS1_3genE5ELNS1_11target_archE942ELNS1_3gpuE9ELNS1_3repE0EEENS1_30default_config_static_selectorELNS0_4arch9wavefront6targetE0EEEvS12_, .Lfunc_end1358-_ZN7rocprim17ROCPRIM_400000_NS6detail17trampoline_kernelINS0_13select_configILj256ELj13ELNS0_17block_load_methodE3ELS4_3ELS4_3ELNS0_20block_scan_algorithmE0ELj4294967295EEENS1_25partition_config_selectorILNS1_17partition_subalgoE4EjNS0_10empty_typeEbEEZZNS1_14partition_implILS8_4ELb0ES6_15HIP_vector_typeIjLj2EENS0_17counting_iteratorIjlEEPS9_SG_NS0_5tupleIJPjSI_NS0_16reverse_iteratorISI_EEEEENSH_IJSG_SG_SG_EEES9_SI_JZNS1_25segmented_radix_sort_implINS0_14default_configELb0EPKfPfPKlPlN2at6native12_GLOBAL__N_18offset_tEEE10hipError_tPvRmT1_PNSt15iterator_traitsIS12_E10value_typeET2_T3_PNS13_IS18_E10value_typeET4_jRbjT5_S1E_jjP12ihipStream_tbEUljE_ZNSN_ISO_Lb0ESQ_SR_ST_SU_SY_EESZ_S10_S11_S12_S16_S17_S18_S1B_S1C_jS1D_jS1E_S1E_jjS1G_bEUljE0_EEESZ_S10_S11_S18_S1C_S1E_T6_T7_T9_mT8_S1G_bDpT10_ENKUlT_T0_E_clISt17integral_constantIbLb0EES1U_EEDaS1P_S1Q_EUlS1P_E_NS1_11comp_targetILNS1_3genE5ELNS1_11target_archE942ELNS1_3gpuE9ELNS1_3repE0EEENS1_30default_config_static_selectorELNS0_4arch9wavefront6targetE0EEEvS12_
                                        ; -- End function
	.set _ZN7rocprim17ROCPRIM_400000_NS6detail17trampoline_kernelINS0_13select_configILj256ELj13ELNS0_17block_load_methodE3ELS4_3ELS4_3ELNS0_20block_scan_algorithmE0ELj4294967295EEENS1_25partition_config_selectorILNS1_17partition_subalgoE4EjNS0_10empty_typeEbEEZZNS1_14partition_implILS8_4ELb0ES6_15HIP_vector_typeIjLj2EENS0_17counting_iteratorIjlEEPS9_SG_NS0_5tupleIJPjSI_NS0_16reverse_iteratorISI_EEEEENSH_IJSG_SG_SG_EEES9_SI_JZNS1_25segmented_radix_sort_implINS0_14default_configELb0EPKfPfPKlPlN2at6native12_GLOBAL__N_18offset_tEEE10hipError_tPvRmT1_PNSt15iterator_traitsIS12_E10value_typeET2_T3_PNS13_IS18_E10value_typeET4_jRbjT5_S1E_jjP12ihipStream_tbEUljE_ZNSN_ISO_Lb0ESQ_SR_ST_SU_SY_EESZ_S10_S11_S12_S16_S17_S18_S1B_S1C_jS1D_jS1E_S1E_jjS1G_bEUljE0_EEESZ_S10_S11_S18_S1C_S1E_T6_T7_T9_mT8_S1G_bDpT10_ENKUlT_T0_E_clISt17integral_constantIbLb0EES1U_EEDaS1P_S1Q_EUlS1P_E_NS1_11comp_targetILNS1_3genE5ELNS1_11target_archE942ELNS1_3gpuE9ELNS1_3repE0EEENS1_30default_config_static_selectorELNS0_4arch9wavefront6targetE0EEEvS12_.num_vgpr, 0
	.set _ZN7rocprim17ROCPRIM_400000_NS6detail17trampoline_kernelINS0_13select_configILj256ELj13ELNS0_17block_load_methodE3ELS4_3ELS4_3ELNS0_20block_scan_algorithmE0ELj4294967295EEENS1_25partition_config_selectorILNS1_17partition_subalgoE4EjNS0_10empty_typeEbEEZZNS1_14partition_implILS8_4ELb0ES6_15HIP_vector_typeIjLj2EENS0_17counting_iteratorIjlEEPS9_SG_NS0_5tupleIJPjSI_NS0_16reverse_iteratorISI_EEEEENSH_IJSG_SG_SG_EEES9_SI_JZNS1_25segmented_radix_sort_implINS0_14default_configELb0EPKfPfPKlPlN2at6native12_GLOBAL__N_18offset_tEEE10hipError_tPvRmT1_PNSt15iterator_traitsIS12_E10value_typeET2_T3_PNS13_IS18_E10value_typeET4_jRbjT5_S1E_jjP12ihipStream_tbEUljE_ZNSN_ISO_Lb0ESQ_SR_ST_SU_SY_EESZ_S10_S11_S12_S16_S17_S18_S1B_S1C_jS1D_jS1E_S1E_jjS1G_bEUljE0_EEESZ_S10_S11_S18_S1C_S1E_T6_T7_T9_mT8_S1G_bDpT10_ENKUlT_T0_E_clISt17integral_constantIbLb0EES1U_EEDaS1P_S1Q_EUlS1P_E_NS1_11comp_targetILNS1_3genE5ELNS1_11target_archE942ELNS1_3gpuE9ELNS1_3repE0EEENS1_30default_config_static_selectorELNS0_4arch9wavefront6targetE0EEEvS12_.num_agpr, 0
	.set _ZN7rocprim17ROCPRIM_400000_NS6detail17trampoline_kernelINS0_13select_configILj256ELj13ELNS0_17block_load_methodE3ELS4_3ELS4_3ELNS0_20block_scan_algorithmE0ELj4294967295EEENS1_25partition_config_selectorILNS1_17partition_subalgoE4EjNS0_10empty_typeEbEEZZNS1_14partition_implILS8_4ELb0ES6_15HIP_vector_typeIjLj2EENS0_17counting_iteratorIjlEEPS9_SG_NS0_5tupleIJPjSI_NS0_16reverse_iteratorISI_EEEEENSH_IJSG_SG_SG_EEES9_SI_JZNS1_25segmented_radix_sort_implINS0_14default_configELb0EPKfPfPKlPlN2at6native12_GLOBAL__N_18offset_tEEE10hipError_tPvRmT1_PNSt15iterator_traitsIS12_E10value_typeET2_T3_PNS13_IS18_E10value_typeET4_jRbjT5_S1E_jjP12ihipStream_tbEUljE_ZNSN_ISO_Lb0ESQ_SR_ST_SU_SY_EESZ_S10_S11_S12_S16_S17_S18_S1B_S1C_jS1D_jS1E_S1E_jjS1G_bEUljE0_EEESZ_S10_S11_S18_S1C_S1E_T6_T7_T9_mT8_S1G_bDpT10_ENKUlT_T0_E_clISt17integral_constantIbLb0EES1U_EEDaS1P_S1Q_EUlS1P_E_NS1_11comp_targetILNS1_3genE5ELNS1_11target_archE942ELNS1_3gpuE9ELNS1_3repE0EEENS1_30default_config_static_selectorELNS0_4arch9wavefront6targetE0EEEvS12_.numbered_sgpr, 0
	.set _ZN7rocprim17ROCPRIM_400000_NS6detail17trampoline_kernelINS0_13select_configILj256ELj13ELNS0_17block_load_methodE3ELS4_3ELS4_3ELNS0_20block_scan_algorithmE0ELj4294967295EEENS1_25partition_config_selectorILNS1_17partition_subalgoE4EjNS0_10empty_typeEbEEZZNS1_14partition_implILS8_4ELb0ES6_15HIP_vector_typeIjLj2EENS0_17counting_iteratorIjlEEPS9_SG_NS0_5tupleIJPjSI_NS0_16reverse_iteratorISI_EEEEENSH_IJSG_SG_SG_EEES9_SI_JZNS1_25segmented_radix_sort_implINS0_14default_configELb0EPKfPfPKlPlN2at6native12_GLOBAL__N_18offset_tEEE10hipError_tPvRmT1_PNSt15iterator_traitsIS12_E10value_typeET2_T3_PNS13_IS18_E10value_typeET4_jRbjT5_S1E_jjP12ihipStream_tbEUljE_ZNSN_ISO_Lb0ESQ_SR_ST_SU_SY_EESZ_S10_S11_S12_S16_S17_S18_S1B_S1C_jS1D_jS1E_S1E_jjS1G_bEUljE0_EEESZ_S10_S11_S18_S1C_S1E_T6_T7_T9_mT8_S1G_bDpT10_ENKUlT_T0_E_clISt17integral_constantIbLb0EES1U_EEDaS1P_S1Q_EUlS1P_E_NS1_11comp_targetILNS1_3genE5ELNS1_11target_archE942ELNS1_3gpuE9ELNS1_3repE0EEENS1_30default_config_static_selectorELNS0_4arch9wavefront6targetE0EEEvS12_.num_named_barrier, 0
	.set _ZN7rocprim17ROCPRIM_400000_NS6detail17trampoline_kernelINS0_13select_configILj256ELj13ELNS0_17block_load_methodE3ELS4_3ELS4_3ELNS0_20block_scan_algorithmE0ELj4294967295EEENS1_25partition_config_selectorILNS1_17partition_subalgoE4EjNS0_10empty_typeEbEEZZNS1_14partition_implILS8_4ELb0ES6_15HIP_vector_typeIjLj2EENS0_17counting_iteratorIjlEEPS9_SG_NS0_5tupleIJPjSI_NS0_16reverse_iteratorISI_EEEEENSH_IJSG_SG_SG_EEES9_SI_JZNS1_25segmented_radix_sort_implINS0_14default_configELb0EPKfPfPKlPlN2at6native12_GLOBAL__N_18offset_tEEE10hipError_tPvRmT1_PNSt15iterator_traitsIS12_E10value_typeET2_T3_PNS13_IS18_E10value_typeET4_jRbjT5_S1E_jjP12ihipStream_tbEUljE_ZNSN_ISO_Lb0ESQ_SR_ST_SU_SY_EESZ_S10_S11_S12_S16_S17_S18_S1B_S1C_jS1D_jS1E_S1E_jjS1G_bEUljE0_EEESZ_S10_S11_S18_S1C_S1E_T6_T7_T9_mT8_S1G_bDpT10_ENKUlT_T0_E_clISt17integral_constantIbLb0EES1U_EEDaS1P_S1Q_EUlS1P_E_NS1_11comp_targetILNS1_3genE5ELNS1_11target_archE942ELNS1_3gpuE9ELNS1_3repE0EEENS1_30default_config_static_selectorELNS0_4arch9wavefront6targetE0EEEvS12_.private_seg_size, 0
	.set _ZN7rocprim17ROCPRIM_400000_NS6detail17trampoline_kernelINS0_13select_configILj256ELj13ELNS0_17block_load_methodE3ELS4_3ELS4_3ELNS0_20block_scan_algorithmE0ELj4294967295EEENS1_25partition_config_selectorILNS1_17partition_subalgoE4EjNS0_10empty_typeEbEEZZNS1_14partition_implILS8_4ELb0ES6_15HIP_vector_typeIjLj2EENS0_17counting_iteratorIjlEEPS9_SG_NS0_5tupleIJPjSI_NS0_16reverse_iteratorISI_EEEEENSH_IJSG_SG_SG_EEES9_SI_JZNS1_25segmented_radix_sort_implINS0_14default_configELb0EPKfPfPKlPlN2at6native12_GLOBAL__N_18offset_tEEE10hipError_tPvRmT1_PNSt15iterator_traitsIS12_E10value_typeET2_T3_PNS13_IS18_E10value_typeET4_jRbjT5_S1E_jjP12ihipStream_tbEUljE_ZNSN_ISO_Lb0ESQ_SR_ST_SU_SY_EESZ_S10_S11_S12_S16_S17_S18_S1B_S1C_jS1D_jS1E_S1E_jjS1G_bEUljE0_EEESZ_S10_S11_S18_S1C_S1E_T6_T7_T9_mT8_S1G_bDpT10_ENKUlT_T0_E_clISt17integral_constantIbLb0EES1U_EEDaS1P_S1Q_EUlS1P_E_NS1_11comp_targetILNS1_3genE5ELNS1_11target_archE942ELNS1_3gpuE9ELNS1_3repE0EEENS1_30default_config_static_selectorELNS0_4arch9wavefront6targetE0EEEvS12_.uses_vcc, 0
	.set _ZN7rocprim17ROCPRIM_400000_NS6detail17trampoline_kernelINS0_13select_configILj256ELj13ELNS0_17block_load_methodE3ELS4_3ELS4_3ELNS0_20block_scan_algorithmE0ELj4294967295EEENS1_25partition_config_selectorILNS1_17partition_subalgoE4EjNS0_10empty_typeEbEEZZNS1_14partition_implILS8_4ELb0ES6_15HIP_vector_typeIjLj2EENS0_17counting_iteratorIjlEEPS9_SG_NS0_5tupleIJPjSI_NS0_16reverse_iteratorISI_EEEEENSH_IJSG_SG_SG_EEES9_SI_JZNS1_25segmented_radix_sort_implINS0_14default_configELb0EPKfPfPKlPlN2at6native12_GLOBAL__N_18offset_tEEE10hipError_tPvRmT1_PNSt15iterator_traitsIS12_E10value_typeET2_T3_PNS13_IS18_E10value_typeET4_jRbjT5_S1E_jjP12ihipStream_tbEUljE_ZNSN_ISO_Lb0ESQ_SR_ST_SU_SY_EESZ_S10_S11_S12_S16_S17_S18_S1B_S1C_jS1D_jS1E_S1E_jjS1G_bEUljE0_EEESZ_S10_S11_S18_S1C_S1E_T6_T7_T9_mT8_S1G_bDpT10_ENKUlT_T0_E_clISt17integral_constantIbLb0EES1U_EEDaS1P_S1Q_EUlS1P_E_NS1_11comp_targetILNS1_3genE5ELNS1_11target_archE942ELNS1_3gpuE9ELNS1_3repE0EEENS1_30default_config_static_selectorELNS0_4arch9wavefront6targetE0EEEvS12_.uses_flat_scratch, 0
	.set _ZN7rocprim17ROCPRIM_400000_NS6detail17trampoline_kernelINS0_13select_configILj256ELj13ELNS0_17block_load_methodE3ELS4_3ELS4_3ELNS0_20block_scan_algorithmE0ELj4294967295EEENS1_25partition_config_selectorILNS1_17partition_subalgoE4EjNS0_10empty_typeEbEEZZNS1_14partition_implILS8_4ELb0ES6_15HIP_vector_typeIjLj2EENS0_17counting_iteratorIjlEEPS9_SG_NS0_5tupleIJPjSI_NS0_16reverse_iteratorISI_EEEEENSH_IJSG_SG_SG_EEES9_SI_JZNS1_25segmented_radix_sort_implINS0_14default_configELb0EPKfPfPKlPlN2at6native12_GLOBAL__N_18offset_tEEE10hipError_tPvRmT1_PNSt15iterator_traitsIS12_E10value_typeET2_T3_PNS13_IS18_E10value_typeET4_jRbjT5_S1E_jjP12ihipStream_tbEUljE_ZNSN_ISO_Lb0ESQ_SR_ST_SU_SY_EESZ_S10_S11_S12_S16_S17_S18_S1B_S1C_jS1D_jS1E_S1E_jjS1G_bEUljE0_EEESZ_S10_S11_S18_S1C_S1E_T6_T7_T9_mT8_S1G_bDpT10_ENKUlT_T0_E_clISt17integral_constantIbLb0EES1U_EEDaS1P_S1Q_EUlS1P_E_NS1_11comp_targetILNS1_3genE5ELNS1_11target_archE942ELNS1_3gpuE9ELNS1_3repE0EEENS1_30default_config_static_selectorELNS0_4arch9wavefront6targetE0EEEvS12_.has_dyn_sized_stack, 0
	.set _ZN7rocprim17ROCPRIM_400000_NS6detail17trampoline_kernelINS0_13select_configILj256ELj13ELNS0_17block_load_methodE3ELS4_3ELS4_3ELNS0_20block_scan_algorithmE0ELj4294967295EEENS1_25partition_config_selectorILNS1_17partition_subalgoE4EjNS0_10empty_typeEbEEZZNS1_14partition_implILS8_4ELb0ES6_15HIP_vector_typeIjLj2EENS0_17counting_iteratorIjlEEPS9_SG_NS0_5tupleIJPjSI_NS0_16reverse_iteratorISI_EEEEENSH_IJSG_SG_SG_EEES9_SI_JZNS1_25segmented_radix_sort_implINS0_14default_configELb0EPKfPfPKlPlN2at6native12_GLOBAL__N_18offset_tEEE10hipError_tPvRmT1_PNSt15iterator_traitsIS12_E10value_typeET2_T3_PNS13_IS18_E10value_typeET4_jRbjT5_S1E_jjP12ihipStream_tbEUljE_ZNSN_ISO_Lb0ESQ_SR_ST_SU_SY_EESZ_S10_S11_S12_S16_S17_S18_S1B_S1C_jS1D_jS1E_S1E_jjS1G_bEUljE0_EEESZ_S10_S11_S18_S1C_S1E_T6_T7_T9_mT8_S1G_bDpT10_ENKUlT_T0_E_clISt17integral_constantIbLb0EES1U_EEDaS1P_S1Q_EUlS1P_E_NS1_11comp_targetILNS1_3genE5ELNS1_11target_archE942ELNS1_3gpuE9ELNS1_3repE0EEENS1_30default_config_static_selectorELNS0_4arch9wavefront6targetE0EEEvS12_.has_recursion, 0
	.set _ZN7rocprim17ROCPRIM_400000_NS6detail17trampoline_kernelINS0_13select_configILj256ELj13ELNS0_17block_load_methodE3ELS4_3ELS4_3ELNS0_20block_scan_algorithmE0ELj4294967295EEENS1_25partition_config_selectorILNS1_17partition_subalgoE4EjNS0_10empty_typeEbEEZZNS1_14partition_implILS8_4ELb0ES6_15HIP_vector_typeIjLj2EENS0_17counting_iteratorIjlEEPS9_SG_NS0_5tupleIJPjSI_NS0_16reverse_iteratorISI_EEEEENSH_IJSG_SG_SG_EEES9_SI_JZNS1_25segmented_radix_sort_implINS0_14default_configELb0EPKfPfPKlPlN2at6native12_GLOBAL__N_18offset_tEEE10hipError_tPvRmT1_PNSt15iterator_traitsIS12_E10value_typeET2_T3_PNS13_IS18_E10value_typeET4_jRbjT5_S1E_jjP12ihipStream_tbEUljE_ZNSN_ISO_Lb0ESQ_SR_ST_SU_SY_EESZ_S10_S11_S12_S16_S17_S18_S1B_S1C_jS1D_jS1E_S1E_jjS1G_bEUljE0_EEESZ_S10_S11_S18_S1C_S1E_T6_T7_T9_mT8_S1G_bDpT10_ENKUlT_T0_E_clISt17integral_constantIbLb0EES1U_EEDaS1P_S1Q_EUlS1P_E_NS1_11comp_targetILNS1_3genE5ELNS1_11target_archE942ELNS1_3gpuE9ELNS1_3repE0EEENS1_30default_config_static_selectorELNS0_4arch9wavefront6targetE0EEEvS12_.has_indirect_call, 0
	.section	.AMDGPU.csdata,"",@progbits
; Kernel info:
; codeLenInByte = 0
; TotalNumSgprs: 0
; NumVgprs: 0
; ScratchSize: 0
; MemoryBound: 0
; FloatMode: 240
; IeeeMode: 1
; LDSByteSize: 0 bytes/workgroup (compile time only)
; SGPRBlocks: 0
; VGPRBlocks: 0
; NumSGPRsForWavesPerEU: 1
; NumVGPRsForWavesPerEU: 1
; NamedBarCnt: 0
; Occupancy: 16
; WaveLimiterHint : 0
; COMPUTE_PGM_RSRC2:SCRATCH_EN: 0
; COMPUTE_PGM_RSRC2:USER_SGPR: 2
; COMPUTE_PGM_RSRC2:TRAP_HANDLER: 0
; COMPUTE_PGM_RSRC2:TGID_X_EN: 1
; COMPUTE_PGM_RSRC2:TGID_Y_EN: 0
; COMPUTE_PGM_RSRC2:TGID_Z_EN: 0
; COMPUTE_PGM_RSRC2:TIDIG_COMP_CNT: 0
	.section	.text._ZN7rocprim17ROCPRIM_400000_NS6detail17trampoline_kernelINS0_13select_configILj256ELj13ELNS0_17block_load_methodE3ELS4_3ELS4_3ELNS0_20block_scan_algorithmE0ELj4294967295EEENS1_25partition_config_selectorILNS1_17partition_subalgoE4EjNS0_10empty_typeEbEEZZNS1_14partition_implILS8_4ELb0ES6_15HIP_vector_typeIjLj2EENS0_17counting_iteratorIjlEEPS9_SG_NS0_5tupleIJPjSI_NS0_16reverse_iteratorISI_EEEEENSH_IJSG_SG_SG_EEES9_SI_JZNS1_25segmented_radix_sort_implINS0_14default_configELb0EPKfPfPKlPlN2at6native12_GLOBAL__N_18offset_tEEE10hipError_tPvRmT1_PNSt15iterator_traitsIS12_E10value_typeET2_T3_PNS13_IS18_E10value_typeET4_jRbjT5_S1E_jjP12ihipStream_tbEUljE_ZNSN_ISO_Lb0ESQ_SR_ST_SU_SY_EESZ_S10_S11_S12_S16_S17_S18_S1B_S1C_jS1D_jS1E_S1E_jjS1G_bEUljE0_EEESZ_S10_S11_S18_S1C_S1E_T6_T7_T9_mT8_S1G_bDpT10_ENKUlT_T0_E_clISt17integral_constantIbLb0EES1U_EEDaS1P_S1Q_EUlS1P_E_NS1_11comp_targetILNS1_3genE4ELNS1_11target_archE910ELNS1_3gpuE8ELNS1_3repE0EEENS1_30default_config_static_selectorELNS0_4arch9wavefront6targetE0EEEvS12_,"axG",@progbits,_ZN7rocprim17ROCPRIM_400000_NS6detail17trampoline_kernelINS0_13select_configILj256ELj13ELNS0_17block_load_methodE3ELS4_3ELS4_3ELNS0_20block_scan_algorithmE0ELj4294967295EEENS1_25partition_config_selectorILNS1_17partition_subalgoE4EjNS0_10empty_typeEbEEZZNS1_14partition_implILS8_4ELb0ES6_15HIP_vector_typeIjLj2EENS0_17counting_iteratorIjlEEPS9_SG_NS0_5tupleIJPjSI_NS0_16reverse_iteratorISI_EEEEENSH_IJSG_SG_SG_EEES9_SI_JZNS1_25segmented_radix_sort_implINS0_14default_configELb0EPKfPfPKlPlN2at6native12_GLOBAL__N_18offset_tEEE10hipError_tPvRmT1_PNSt15iterator_traitsIS12_E10value_typeET2_T3_PNS13_IS18_E10value_typeET4_jRbjT5_S1E_jjP12ihipStream_tbEUljE_ZNSN_ISO_Lb0ESQ_SR_ST_SU_SY_EESZ_S10_S11_S12_S16_S17_S18_S1B_S1C_jS1D_jS1E_S1E_jjS1G_bEUljE0_EEESZ_S10_S11_S18_S1C_S1E_T6_T7_T9_mT8_S1G_bDpT10_ENKUlT_T0_E_clISt17integral_constantIbLb0EES1U_EEDaS1P_S1Q_EUlS1P_E_NS1_11comp_targetILNS1_3genE4ELNS1_11target_archE910ELNS1_3gpuE8ELNS1_3repE0EEENS1_30default_config_static_selectorELNS0_4arch9wavefront6targetE0EEEvS12_,comdat
	.globl	_ZN7rocprim17ROCPRIM_400000_NS6detail17trampoline_kernelINS0_13select_configILj256ELj13ELNS0_17block_load_methodE3ELS4_3ELS4_3ELNS0_20block_scan_algorithmE0ELj4294967295EEENS1_25partition_config_selectorILNS1_17partition_subalgoE4EjNS0_10empty_typeEbEEZZNS1_14partition_implILS8_4ELb0ES6_15HIP_vector_typeIjLj2EENS0_17counting_iteratorIjlEEPS9_SG_NS0_5tupleIJPjSI_NS0_16reverse_iteratorISI_EEEEENSH_IJSG_SG_SG_EEES9_SI_JZNS1_25segmented_radix_sort_implINS0_14default_configELb0EPKfPfPKlPlN2at6native12_GLOBAL__N_18offset_tEEE10hipError_tPvRmT1_PNSt15iterator_traitsIS12_E10value_typeET2_T3_PNS13_IS18_E10value_typeET4_jRbjT5_S1E_jjP12ihipStream_tbEUljE_ZNSN_ISO_Lb0ESQ_SR_ST_SU_SY_EESZ_S10_S11_S12_S16_S17_S18_S1B_S1C_jS1D_jS1E_S1E_jjS1G_bEUljE0_EEESZ_S10_S11_S18_S1C_S1E_T6_T7_T9_mT8_S1G_bDpT10_ENKUlT_T0_E_clISt17integral_constantIbLb0EES1U_EEDaS1P_S1Q_EUlS1P_E_NS1_11comp_targetILNS1_3genE4ELNS1_11target_archE910ELNS1_3gpuE8ELNS1_3repE0EEENS1_30default_config_static_selectorELNS0_4arch9wavefront6targetE0EEEvS12_ ; -- Begin function _ZN7rocprim17ROCPRIM_400000_NS6detail17trampoline_kernelINS0_13select_configILj256ELj13ELNS0_17block_load_methodE3ELS4_3ELS4_3ELNS0_20block_scan_algorithmE0ELj4294967295EEENS1_25partition_config_selectorILNS1_17partition_subalgoE4EjNS0_10empty_typeEbEEZZNS1_14partition_implILS8_4ELb0ES6_15HIP_vector_typeIjLj2EENS0_17counting_iteratorIjlEEPS9_SG_NS0_5tupleIJPjSI_NS0_16reverse_iteratorISI_EEEEENSH_IJSG_SG_SG_EEES9_SI_JZNS1_25segmented_radix_sort_implINS0_14default_configELb0EPKfPfPKlPlN2at6native12_GLOBAL__N_18offset_tEEE10hipError_tPvRmT1_PNSt15iterator_traitsIS12_E10value_typeET2_T3_PNS13_IS18_E10value_typeET4_jRbjT5_S1E_jjP12ihipStream_tbEUljE_ZNSN_ISO_Lb0ESQ_SR_ST_SU_SY_EESZ_S10_S11_S12_S16_S17_S18_S1B_S1C_jS1D_jS1E_S1E_jjS1G_bEUljE0_EEESZ_S10_S11_S18_S1C_S1E_T6_T7_T9_mT8_S1G_bDpT10_ENKUlT_T0_E_clISt17integral_constantIbLb0EES1U_EEDaS1P_S1Q_EUlS1P_E_NS1_11comp_targetILNS1_3genE4ELNS1_11target_archE910ELNS1_3gpuE8ELNS1_3repE0EEENS1_30default_config_static_selectorELNS0_4arch9wavefront6targetE0EEEvS12_
	.p2align	8
	.type	_ZN7rocprim17ROCPRIM_400000_NS6detail17trampoline_kernelINS0_13select_configILj256ELj13ELNS0_17block_load_methodE3ELS4_3ELS4_3ELNS0_20block_scan_algorithmE0ELj4294967295EEENS1_25partition_config_selectorILNS1_17partition_subalgoE4EjNS0_10empty_typeEbEEZZNS1_14partition_implILS8_4ELb0ES6_15HIP_vector_typeIjLj2EENS0_17counting_iteratorIjlEEPS9_SG_NS0_5tupleIJPjSI_NS0_16reverse_iteratorISI_EEEEENSH_IJSG_SG_SG_EEES9_SI_JZNS1_25segmented_radix_sort_implINS0_14default_configELb0EPKfPfPKlPlN2at6native12_GLOBAL__N_18offset_tEEE10hipError_tPvRmT1_PNSt15iterator_traitsIS12_E10value_typeET2_T3_PNS13_IS18_E10value_typeET4_jRbjT5_S1E_jjP12ihipStream_tbEUljE_ZNSN_ISO_Lb0ESQ_SR_ST_SU_SY_EESZ_S10_S11_S12_S16_S17_S18_S1B_S1C_jS1D_jS1E_S1E_jjS1G_bEUljE0_EEESZ_S10_S11_S18_S1C_S1E_T6_T7_T9_mT8_S1G_bDpT10_ENKUlT_T0_E_clISt17integral_constantIbLb0EES1U_EEDaS1P_S1Q_EUlS1P_E_NS1_11comp_targetILNS1_3genE4ELNS1_11target_archE910ELNS1_3gpuE8ELNS1_3repE0EEENS1_30default_config_static_selectorELNS0_4arch9wavefront6targetE0EEEvS12_,@function
_ZN7rocprim17ROCPRIM_400000_NS6detail17trampoline_kernelINS0_13select_configILj256ELj13ELNS0_17block_load_methodE3ELS4_3ELS4_3ELNS0_20block_scan_algorithmE0ELj4294967295EEENS1_25partition_config_selectorILNS1_17partition_subalgoE4EjNS0_10empty_typeEbEEZZNS1_14partition_implILS8_4ELb0ES6_15HIP_vector_typeIjLj2EENS0_17counting_iteratorIjlEEPS9_SG_NS0_5tupleIJPjSI_NS0_16reverse_iteratorISI_EEEEENSH_IJSG_SG_SG_EEES9_SI_JZNS1_25segmented_radix_sort_implINS0_14default_configELb0EPKfPfPKlPlN2at6native12_GLOBAL__N_18offset_tEEE10hipError_tPvRmT1_PNSt15iterator_traitsIS12_E10value_typeET2_T3_PNS13_IS18_E10value_typeET4_jRbjT5_S1E_jjP12ihipStream_tbEUljE_ZNSN_ISO_Lb0ESQ_SR_ST_SU_SY_EESZ_S10_S11_S12_S16_S17_S18_S1B_S1C_jS1D_jS1E_S1E_jjS1G_bEUljE0_EEESZ_S10_S11_S18_S1C_S1E_T6_T7_T9_mT8_S1G_bDpT10_ENKUlT_T0_E_clISt17integral_constantIbLb0EES1U_EEDaS1P_S1Q_EUlS1P_E_NS1_11comp_targetILNS1_3genE4ELNS1_11target_archE910ELNS1_3gpuE8ELNS1_3repE0EEENS1_30default_config_static_selectorELNS0_4arch9wavefront6targetE0EEEvS12_: ; @_ZN7rocprim17ROCPRIM_400000_NS6detail17trampoline_kernelINS0_13select_configILj256ELj13ELNS0_17block_load_methodE3ELS4_3ELS4_3ELNS0_20block_scan_algorithmE0ELj4294967295EEENS1_25partition_config_selectorILNS1_17partition_subalgoE4EjNS0_10empty_typeEbEEZZNS1_14partition_implILS8_4ELb0ES6_15HIP_vector_typeIjLj2EENS0_17counting_iteratorIjlEEPS9_SG_NS0_5tupleIJPjSI_NS0_16reverse_iteratorISI_EEEEENSH_IJSG_SG_SG_EEES9_SI_JZNS1_25segmented_radix_sort_implINS0_14default_configELb0EPKfPfPKlPlN2at6native12_GLOBAL__N_18offset_tEEE10hipError_tPvRmT1_PNSt15iterator_traitsIS12_E10value_typeET2_T3_PNS13_IS18_E10value_typeET4_jRbjT5_S1E_jjP12ihipStream_tbEUljE_ZNSN_ISO_Lb0ESQ_SR_ST_SU_SY_EESZ_S10_S11_S12_S16_S17_S18_S1B_S1C_jS1D_jS1E_S1E_jjS1G_bEUljE0_EEESZ_S10_S11_S18_S1C_S1E_T6_T7_T9_mT8_S1G_bDpT10_ENKUlT_T0_E_clISt17integral_constantIbLb0EES1U_EEDaS1P_S1Q_EUlS1P_E_NS1_11comp_targetILNS1_3genE4ELNS1_11target_archE910ELNS1_3gpuE8ELNS1_3repE0EEENS1_30default_config_static_selectorELNS0_4arch9wavefront6targetE0EEEvS12_
; %bb.0:
	.section	.rodata,"a",@progbits
	.p2align	6, 0x0
	.amdhsa_kernel _ZN7rocprim17ROCPRIM_400000_NS6detail17trampoline_kernelINS0_13select_configILj256ELj13ELNS0_17block_load_methodE3ELS4_3ELS4_3ELNS0_20block_scan_algorithmE0ELj4294967295EEENS1_25partition_config_selectorILNS1_17partition_subalgoE4EjNS0_10empty_typeEbEEZZNS1_14partition_implILS8_4ELb0ES6_15HIP_vector_typeIjLj2EENS0_17counting_iteratorIjlEEPS9_SG_NS0_5tupleIJPjSI_NS0_16reverse_iteratorISI_EEEEENSH_IJSG_SG_SG_EEES9_SI_JZNS1_25segmented_radix_sort_implINS0_14default_configELb0EPKfPfPKlPlN2at6native12_GLOBAL__N_18offset_tEEE10hipError_tPvRmT1_PNSt15iterator_traitsIS12_E10value_typeET2_T3_PNS13_IS18_E10value_typeET4_jRbjT5_S1E_jjP12ihipStream_tbEUljE_ZNSN_ISO_Lb0ESQ_SR_ST_SU_SY_EESZ_S10_S11_S12_S16_S17_S18_S1B_S1C_jS1D_jS1E_S1E_jjS1G_bEUljE0_EEESZ_S10_S11_S18_S1C_S1E_T6_T7_T9_mT8_S1G_bDpT10_ENKUlT_T0_E_clISt17integral_constantIbLb0EES1U_EEDaS1P_S1Q_EUlS1P_E_NS1_11comp_targetILNS1_3genE4ELNS1_11target_archE910ELNS1_3gpuE8ELNS1_3repE0EEENS1_30default_config_static_selectorELNS0_4arch9wavefront6targetE0EEEvS12_
		.amdhsa_group_segment_fixed_size 0
		.amdhsa_private_segment_fixed_size 0
		.amdhsa_kernarg_size 176
		.amdhsa_user_sgpr_count 2
		.amdhsa_user_sgpr_dispatch_ptr 0
		.amdhsa_user_sgpr_queue_ptr 0
		.amdhsa_user_sgpr_kernarg_segment_ptr 1
		.amdhsa_user_sgpr_dispatch_id 0
		.amdhsa_user_sgpr_kernarg_preload_length 0
		.amdhsa_user_sgpr_kernarg_preload_offset 0
		.amdhsa_user_sgpr_private_segment_size 0
		.amdhsa_wavefront_size32 1
		.amdhsa_uses_dynamic_stack 0
		.amdhsa_enable_private_segment 0
		.amdhsa_system_sgpr_workgroup_id_x 1
		.amdhsa_system_sgpr_workgroup_id_y 0
		.amdhsa_system_sgpr_workgroup_id_z 0
		.amdhsa_system_sgpr_workgroup_info 0
		.amdhsa_system_vgpr_workitem_id 0
		.amdhsa_next_free_vgpr 1
		.amdhsa_next_free_sgpr 1
		.amdhsa_named_barrier_count 0
		.amdhsa_reserve_vcc 0
		.amdhsa_float_round_mode_32 0
		.amdhsa_float_round_mode_16_64 0
		.amdhsa_float_denorm_mode_32 3
		.amdhsa_float_denorm_mode_16_64 3
		.amdhsa_fp16_overflow 0
		.amdhsa_memory_ordered 1
		.amdhsa_forward_progress 1
		.amdhsa_inst_pref_size 0
		.amdhsa_round_robin_scheduling 0
		.amdhsa_exception_fp_ieee_invalid_op 0
		.amdhsa_exception_fp_denorm_src 0
		.amdhsa_exception_fp_ieee_div_zero 0
		.amdhsa_exception_fp_ieee_overflow 0
		.amdhsa_exception_fp_ieee_underflow 0
		.amdhsa_exception_fp_ieee_inexact 0
		.amdhsa_exception_int_div_zero 0
	.end_amdhsa_kernel
	.section	.text._ZN7rocprim17ROCPRIM_400000_NS6detail17trampoline_kernelINS0_13select_configILj256ELj13ELNS0_17block_load_methodE3ELS4_3ELS4_3ELNS0_20block_scan_algorithmE0ELj4294967295EEENS1_25partition_config_selectorILNS1_17partition_subalgoE4EjNS0_10empty_typeEbEEZZNS1_14partition_implILS8_4ELb0ES6_15HIP_vector_typeIjLj2EENS0_17counting_iteratorIjlEEPS9_SG_NS0_5tupleIJPjSI_NS0_16reverse_iteratorISI_EEEEENSH_IJSG_SG_SG_EEES9_SI_JZNS1_25segmented_radix_sort_implINS0_14default_configELb0EPKfPfPKlPlN2at6native12_GLOBAL__N_18offset_tEEE10hipError_tPvRmT1_PNSt15iterator_traitsIS12_E10value_typeET2_T3_PNS13_IS18_E10value_typeET4_jRbjT5_S1E_jjP12ihipStream_tbEUljE_ZNSN_ISO_Lb0ESQ_SR_ST_SU_SY_EESZ_S10_S11_S12_S16_S17_S18_S1B_S1C_jS1D_jS1E_S1E_jjS1G_bEUljE0_EEESZ_S10_S11_S18_S1C_S1E_T6_T7_T9_mT8_S1G_bDpT10_ENKUlT_T0_E_clISt17integral_constantIbLb0EES1U_EEDaS1P_S1Q_EUlS1P_E_NS1_11comp_targetILNS1_3genE4ELNS1_11target_archE910ELNS1_3gpuE8ELNS1_3repE0EEENS1_30default_config_static_selectorELNS0_4arch9wavefront6targetE0EEEvS12_,"axG",@progbits,_ZN7rocprim17ROCPRIM_400000_NS6detail17trampoline_kernelINS0_13select_configILj256ELj13ELNS0_17block_load_methodE3ELS4_3ELS4_3ELNS0_20block_scan_algorithmE0ELj4294967295EEENS1_25partition_config_selectorILNS1_17partition_subalgoE4EjNS0_10empty_typeEbEEZZNS1_14partition_implILS8_4ELb0ES6_15HIP_vector_typeIjLj2EENS0_17counting_iteratorIjlEEPS9_SG_NS0_5tupleIJPjSI_NS0_16reverse_iteratorISI_EEEEENSH_IJSG_SG_SG_EEES9_SI_JZNS1_25segmented_radix_sort_implINS0_14default_configELb0EPKfPfPKlPlN2at6native12_GLOBAL__N_18offset_tEEE10hipError_tPvRmT1_PNSt15iterator_traitsIS12_E10value_typeET2_T3_PNS13_IS18_E10value_typeET4_jRbjT5_S1E_jjP12ihipStream_tbEUljE_ZNSN_ISO_Lb0ESQ_SR_ST_SU_SY_EESZ_S10_S11_S12_S16_S17_S18_S1B_S1C_jS1D_jS1E_S1E_jjS1G_bEUljE0_EEESZ_S10_S11_S18_S1C_S1E_T6_T7_T9_mT8_S1G_bDpT10_ENKUlT_T0_E_clISt17integral_constantIbLb0EES1U_EEDaS1P_S1Q_EUlS1P_E_NS1_11comp_targetILNS1_3genE4ELNS1_11target_archE910ELNS1_3gpuE8ELNS1_3repE0EEENS1_30default_config_static_selectorELNS0_4arch9wavefront6targetE0EEEvS12_,comdat
.Lfunc_end1359:
	.size	_ZN7rocprim17ROCPRIM_400000_NS6detail17trampoline_kernelINS0_13select_configILj256ELj13ELNS0_17block_load_methodE3ELS4_3ELS4_3ELNS0_20block_scan_algorithmE0ELj4294967295EEENS1_25partition_config_selectorILNS1_17partition_subalgoE4EjNS0_10empty_typeEbEEZZNS1_14partition_implILS8_4ELb0ES6_15HIP_vector_typeIjLj2EENS0_17counting_iteratorIjlEEPS9_SG_NS0_5tupleIJPjSI_NS0_16reverse_iteratorISI_EEEEENSH_IJSG_SG_SG_EEES9_SI_JZNS1_25segmented_radix_sort_implINS0_14default_configELb0EPKfPfPKlPlN2at6native12_GLOBAL__N_18offset_tEEE10hipError_tPvRmT1_PNSt15iterator_traitsIS12_E10value_typeET2_T3_PNS13_IS18_E10value_typeET4_jRbjT5_S1E_jjP12ihipStream_tbEUljE_ZNSN_ISO_Lb0ESQ_SR_ST_SU_SY_EESZ_S10_S11_S12_S16_S17_S18_S1B_S1C_jS1D_jS1E_S1E_jjS1G_bEUljE0_EEESZ_S10_S11_S18_S1C_S1E_T6_T7_T9_mT8_S1G_bDpT10_ENKUlT_T0_E_clISt17integral_constantIbLb0EES1U_EEDaS1P_S1Q_EUlS1P_E_NS1_11comp_targetILNS1_3genE4ELNS1_11target_archE910ELNS1_3gpuE8ELNS1_3repE0EEENS1_30default_config_static_selectorELNS0_4arch9wavefront6targetE0EEEvS12_, .Lfunc_end1359-_ZN7rocprim17ROCPRIM_400000_NS6detail17trampoline_kernelINS0_13select_configILj256ELj13ELNS0_17block_load_methodE3ELS4_3ELS4_3ELNS0_20block_scan_algorithmE0ELj4294967295EEENS1_25partition_config_selectorILNS1_17partition_subalgoE4EjNS0_10empty_typeEbEEZZNS1_14partition_implILS8_4ELb0ES6_15HIP_vector_typeIjLj2EENS0_17counting_iteratorIjlEEPS9_SG_NS0_5tupleIJPjSI_NS0_16reverse_iteratorISI_EEEEENSH_IJSG_SG_SG_EEES9_SI_JZNS1_25segmented_radix_sort_implINS0_14default_configELb0EPKfPfPKlPlN2at6native12_GLOBAL__N_18offset_tEEE10hipError_tPvRmT1_PNSt15iterator_traitsIS12_E10value_typeET2_T3_PNS13_IS18_E10value_typeET4_jRbjT5_S1E_jjP12ihipStream_tbEUljE_ZNSN_ISO_Lb0ESQ_SR_ST_SU_SY_EESZ_S10_S11_S12_S16_S17_S18_S1B_S1C_jS1D_jS1E_S1E_jjS1G_bEUljE0_EEESZ_S10_S11_S18_S1C_S1E_T6_T7_T9_mT8_S1G_bDpT10_ENKUlT_T0_E_clISt17integral_constantIbLb0EES1U_EEDaS1P_S1Q_EUlS1P_E_NS1_11comp_targetILNS1_3genE4ELNS1_11target_archE910ELNS1_3gpuE8ELNS1_3repE0EEENS1_30default_config_static_selectorELNS0_4arch9wavefront6targetE0EEEvS12_
                                        ; -- End function
	.set _ZN7rocprim17ROCPRIM_400000_NS6detail17trampoline_kernelINS0_13select_configILj256ELj13ELNS0_17block_load_methodE3ELS4_3ELS4_3ELNS0_20block_scan_algorithmE0ELj4294967295EEENS1_25partition_config_selectorILNS1_17partition_subalgoE4EjNS0_10empty_typeEbEEZZNS1_14partition_implILS8_4ELb0ES6_15HIP_vector_typeIjLj2EENS0_17counting_iteratorIjlEEPS9_SG_NS0_5tupleIJPjSI_NS0_16reverse_iteratorISI_EEEEENSH_IJSG_SG_SG_EEES9_SI_JZNS1_25segmented_radix_sort_implINS0_14default_configELb0EPKfPfPKlPlN2at6native12_GLOBAL__N_18offset_tEEE10hipError_tPvRmT1_PNSt15iterator_traitsIS12_E10value_typeET2_T3_PNS13_IS18_E10value_typeET4_jRbjT5_S1E_jjP12ihipStream_tbEUljE_ZNSN_ISO_Lb0ESQ_SR_ST_SU_SY_EESZ_S10_S11_S12_S16_S17_S18_S1B_S1C_jS1D_jS1E_S1E_jjS1G_bEUljE0_EEESZ_S10_S11_S18_S1C_S1E_T6_T7_T9_mT8_S1G_bDpT10_ENKUlT_T0_E_clISt17integral_constantIbLb0EES1U_EEDaS1P_S1Q_EUlS1P_E_NS1_11comp_targetILNS1_3genE4ELNS1_11target_archE910ELNS1_3gpuE8ELNS1_3repE0EEENS1_30default_config_static_selectorELNS0_4arch9wavefront6targetE0EEEvS12_.num_vgpr, 0
	.set _ZN7rocprim17ROCPRIM_400000_NS6detail17trampoline_kernelINS0_13select_configILj256ELj13ELNS0_17block_load_methodE3ELS4_3ELS4_3ELNS0_20block_scan_algorithmE0ELj4294967295EEENS1_25partition_config_selectorILNS1_17partition_subalgoE4EjNS0_10empty_typeEbEEZZNS1_14partition_implILS8_4ELb0ES6_15HIP_vector_typeIjLj2EENS0_17counting_iteratorIjlEEPS9_SG_NS0_5tupleIJPjSI_NS0_16reverse_iteratorISI_EEEEENSH_IJSG_SG_SG_EEES9_SI_JZNS1_25segmented_radix_sort_implINS0_14default_configELb0EPKfPfPKlPlN2at6native12_GLOBAL__N_18offset_tEEE10hipError_tPvRmT1_PNSt15iterator_traitsIS12_E10value_typeET2_T3_PNS13_IS18_E10value_typeET4_jRbjT5_S1E_jjP12ihipStream_tbEUljE_ZNSN_ISO_Lb0ESQ_SR_ST_SU_SY_EESZ_S10_S11_S12_S16_S17_S18_S1B_S1C_jS1D_jS1E_S1E_jjS1G_bEUljE0_EEESZ_S10_S11_S18_S1C_S1E_T6_T7_T9_mT8_S1G_bDpT10_ENKUlT_T0_E_clISt17integral_constantIbLb0EES1U_EEDaS1P_S1Q_EUlS1P_E_NS1_11comp_targetILNS1_3genE4ELNS1_11target_archE910ELNS1_3gpuE8ELNS1_3repE0EEENS1_30default_config_static_selectorELNS0_4arch9wavefront6targetE0EEEvS12_.num_agpr, 0
	.set _ZN7rocprim17ROCPRIM_400000_NS6detail17trampoline_kernelINS0_13select_configILj256ELj13ELNS0_17block_load_methodE3ELS4_3ELS4_3ELNS0_20block_scan_algorithmE0ELj4294967295EEENS1_25partition_config_selectorILNS1_17partition_subalgoE4EjNS0_10empty_typeEbEEZZNS1_14partition_implILS8_4ELb0ES6_15HIP_vector_typeIjLj2EENS0_17counting_iteratorIjlEEPS9_SG_NS0_5tupleIJPjSI_NS0_16reverse_iteratorISI_EEEEENSH_IJSG_SG_SG_EEES9_SI_JZNS1_25segmented_radix_sort_implINS0_14default_configELb0EPKfPfPKlPlN2at6native12_GLOBAL__N_18offset_tEEE10hipError_tPvRmT1_PNSt15iterator_traitsIS12_E10value_typeET2_T3_PNS13_IS18_E10value_typeET4_jRbjT5_S1E_jjP12ihipStream_tbEUljE_ZNSN_ISO_Lb0ESQ_SR_ST_SU_SY_EESZ_S10_S11_S12_S16_S17_S18_S1B_S1C_jS1D_jS1E_S1E_jjS1G_bEUljE0_EEESZ_S10_S11_S18_S1C_S1E_T6_T7_T9_mT8_S1G_bDpT10_ENKUlT_T0_E_clISt17integral_constantIbLb0EES1U_EEDaS1P_S1Q_EUlS1P_E_NS1_11comp_targetILNS1_3genE4ELNS1_11target_archE910ELNS1_3gpuE8ELNS1_3repE0EEENS1_30default_config_static_selectorELNS0_4arch9wavefront6targetE0EEEvS12_.numbered_sgpr, 0
	.set _ZN7rocprim17ROCPRIM_400000_NS6detail17trampoline_kernelINS0_13select_configILj256ELj13ELNS0_17block_load_methodE3ELS4_3ELS4_3ELNS0_20block_scan_algorithmE0ELj4294967295EEENS1_25partition_config_selectorILNS1_17partition_subalgoE4EjNS0_10empty_typeEbEEZZNS1_14partition_implILS8_4ELb0ES6_15HIP_vector_typeIjLj2EENS0_17counting_iteratorIjlEEPS9_SG_NS0_5tupleIJPjSI_NS0_16reverse_iteratorISI_EEEEENSH_IJSG_SG_SG_EEES9_SI_JZNS1_25segmented_radix_sort_implINS0_14default_configELb0EPKfPfPKlPlN2at6native12_GLOBAL__N_18offset_tEEE10hipError_tPvRmT1_PNSt15iterator_traitsIS12_E10value_typeET2_T3_PNS13_IS18_E10value_typeET4_jRbjT5_S1E_jjP12ihipStream_tbEUljE_ZNSN_ISO_Lb0ESQ_SR_ST_SU_SY_EESZ_S10_S11_S12_S16_S17_S18_S1B_S1C_jS1D_jS1E_S1E_jjS1G_bEUljE0_EEESZ_S10_S11_S18_S1C_S1E_T6_T7_T9_mT8_S1G_bDpT10_ENKUlT_T0_E_clISt17integral_constantIbLb0EES1U_EEDaS1P_S1Q_EUlS1P_E_NS1_11comp_targetILNS1_3genE4ELNS1_11target_archE910ELNS1_3gpuE8ELNS1_3repE0EEENS1_30default_config_static_selectorELNS0_4arch9wavefront6targetE0EEEvS12_.num_named_barrier, 0
	.set _ZN7rocprim17ROCPRIM_400000_NS6detail17trampoline_kernelINS0_13select_configILj256ELj13ELNS0_17block_load_methodE3ELS4_3ELS4_3ELNS0_20block_scan_algorithmE0ELj4294967295EEENS1_25partition_config_selectorILNS1_17partition_subalgoE4EjNS0_10empty_typeEbEEZZNS1_14partition_implILS8_4ELb0ES6_15HIP_vector_typeIjLj2EENS0_17counting_iteratorIjlEEPS9_SG_NS0_5tupleIJPjSI_NS0_16reverse_iteratorISI_EEEEENSH_IJSG_SG_SG_EEES9_SI_JZNS1_25segmented_radix_sort_implINS0_14default_configELb0EPKfPfPKlPlN2at6native12_GLOBAL__N_18offset_tEEE10hipError_tPvRmT1_PNSt15iterator_traitsIS12_E10value_typeET2_T3_PNS13_IS18_E10value_typeET4_jRbjT5_S1E_jjP12ihipStream_tbEUljE_ZNSN_ISO_Lb0ESQ_SR_ST_SU_SY_EESZ_S10_S11_S12_S16_S17_S18_S1B_S1C_jS1D_jS1E_S1E_jjS1G_bEUljE0_EEESZ_S10_S11_S18_S1C_S1E_T6_T7_T9_mT8_S1G_bDpT10_ENKUlT_T0_E_clISt17integral_constantIbLb0EES1U_EEDaS1P_S1Q_EUlS1P_E_NS1_11comp_targetILNS1_3genE4ELNS1_11target_archE910ELNS1_3gpuE8ELNS1_3repE0EEENS1_30default_config_static_selectorELNS0_4arch9wavefront6targetE0EEEvS12_.private_seg_size, 0
	.set _ZN7rocprim17ROCPRIM_400000_NS6detail17trampoline_kernelINS0_13select_configILj256ELj13ELNS0_17block_load_methodE3ELS4_3ELS4_3ELNS0_20block_scan_algorithmE0ELj4294967295EEENS1_25partition_config_selectorILNS1_17partition_subalgoE4EjNS0_10empty_typeEbEEZZNS1_14partition_implILS8_4ELb0ES6_15HIP_vector_typeIjLj2EENS0_17counting_iteratorIjlEEPS9_SG_NS0_5tupleIJPjSI_NS0_16reverse_iteratorISI_EEEEENSH_IJSG_SG_SG_EEES9_SI_JZNS1_25segmented_radix_sort_implINS0_14default_configELb0EPKfPfPKlPlN2at6native12_GLOBAL__N_18offset_tEEE10hipError_tPvRmT1_PNSt15iterator_traitsIS12_E10value_typeET2_T3_PNS13_IS18_E10value_typeET4_jRbjT5_S1E_jjP12ihipStream_tbEUljE_ZNSN_ISO_Lb0ESQ_SR_ST_SU_SY_EESZ_S10_S11_S12_S16_S17_S18_S1B_S1C_jS1D_jS1E_S1E_jjS1G_bEUljE0_EEESZ_S10_S11_S18_S1C_S1E_T6_T7_T9_mT8_S1G_bDpT10_ENKUlT_T0_E_clISt17integral_constantIbLb0EES1U_EEDaS1P_S1Q_EUlS1P_E_NS1_11comp_targetILNS1_3genE4ELNS1_11target_archE910ELNS1_3gpuE8ELNS1_3repE0EEENS1_30default_config_static_selectorELNS0_4arch9wavefront6targetE0EEEvS12_.uses_vcc, 0
	.set _ZN7rocprim17ROCPRIM_400000_NS6detail17trampoline_kernelINS0_13select_configILj256ELj13ELNS0_17block_load_methodE3ELS4_3ELS4_3ELNS0_20block_scan_algorithmE0ELj4294967295EEENS1_25partition_config_selectorILNS1_17partition_subalgoE4EjNS0_10empty_typeEbEEZZNS1_14partition_implILS8_4ELb0ES6_15HIP_vector_typeIjLj2EENS0_17counting_iteratorIjlEEPS9_SG_NS0_5tupleIJPjSI_NS0_16reverse_iteratorISI_EEEEENSH_IJSG_SG_SG_EEES9_SI_JZNS1_25segmented_radix_sort_implINS0_14default_configELb0EPKfPfPKlPlN2at6native12_GLOBAL__N_18offset_tEEE10hipError_tPvRmT1_PNSt15iterator_traitsIS12_E10value_typeET2_T3_PNS13_IS18_E10value_typeET4_jRbjT5_S1E_jjP12ihipStream_tbEUljE_ZNSN_ISO_Lb0ESQ_SR_ST_SU_SY_EESZ_S10_S11_S12_S16_S17_S18_S1B_S1C_jS1D_jS1E_S1E_jjS1G_bEUljE0_EEESZ_S10_S11_S18_S1C_S1E_T6_T7_T9_mT8_S1G_bDpT10_ENKUlT_T0_E_clISt17integral_constantIbLb0EES1U_EEDaS1P_S1Q_EUlS1P_E_NS1_11comp_targetILNS1_3genE4ELNS1_11target_archE910ELNS1_3gpuE8ELNS1_3repE0EEENS1_30default_config_static_selectorELNS0_4arch9wavefront6targetE0EEEvS12_.uses_flat_scratch, 0
	.set _ZN7rocprim17ROCPRIM_400000_NS6detail17trampoline_kernelINS0_13select_configILj256ELj13ELNS0_17block_load_methodE3ELS4_3ELS4_3ELNS0_20block_scan_algorithmE0ELj4294967295EEENS1_25partition_config_selectorILNS1_17partition_subalgoE4EjNS0_10empty_typeEbEEZZNS1_14partition_implILS8_4ELb0ES6_15HIP_vector_typeIjLj2EENS0_17counting_iteratorIjlEEPS9_SG_NS0_5tupleIJPjSI_NS0_16reverse_iteratorISI_EEEEENSH_IJSG_SG_SG_EEES9_SI_JZNS1_25segmented_radix_sort_implINS0_14default_configELb0EPKfPfPKlPlN2at6native12_GLOBAL__N_18offset_tEEE10hipError_tPvRmT1_PNSt15iterator_traitsIS12_E10value_typeET2_T3_PNS13_IS18_E10value_typeET4_jRbjT5_S1E_jjP12ihipStream_tbEUljE_ZNSN_ISO_Lb0ESQ_SR_ST_SU_SY_EESZ_S10_S11_S12_S16_S17_S18_S1B_S1C_jS1D_jS1E_S1E_jjS1G_bEUljE0_EEESZ_S10_S11_S18_S1C_S1E_T6_T7_T9_mT8_S1G_bDpT10_ENKUlT_T0_E_clISt17integral_constantIbLb0EES1U_EEDaS1P_S1Q_EUlS1P_E_NS1_11comp_targetILNS1_3genE4ELNS1_11target_archE910ELNS1_3gpuE8ELNS1_3repE0EEENS1_30default_config_static_selectorELNS0_4arch9wavefront6targetE0EEEvS12_.has_dyn_sized_stack, 0
	.set _ZN7rocprim17ROCPRIM_400000_NS6detail17trampoline_kernelINS0_13select_configILj256ELj13ELNS0_17block_load_methodE3ELS4_3ELS4_3ELNS0_20block_scan_algorithmE0ELj4294967295EEENS1_25partition_config_selectorILNS1_17partition_subalgoE4EjNS0_10empty_typeEbEEZZNS1_14partition_implILS8_4ELb0ES6_15HIP_vector_typeIjLj2EENS0_17counting_iteratorIjlEEPS9_SG_NS0_5tupleIJPjSI_NS0_16reverse_iteratorISI_EEEEENSH_IJSG_SG_SG_EEES9_SI_JZNS1_25segmented_radix_sort_implINS0_14default_configELb0EPKfPfPKlPlN2at6native12_GLOBAL__N_18offset_tEEE10hipError_tPvRmT1_PNSt15iterator_traitsIS12_E10value_typeET2_T3_PNS13_IS18_E10value_typeET4_jRbjT5_S1E_jjP12ihipStream_tbEUljE_ZNSN_ISO_Lb0ESQ_SR_ST_SU_SY_EESZ_S10_S11_S12_S16_S17_S18_S1B_S1C_jS1D_jS1E_S1E_jjS1G_bEUljE0_EEESZ_S10_S11_S18_S1C_S1E_T6_T7_T9_mT8_S1G_bDpT10_ENKUlT_T0_E_clISt17integral_constantIbLb0EES1U_EEDaS1P_S1Q_EUlS1P_E_NS1_11comp_targetILNS1_3genE4ELNS1_11target_archE910ELNS1_3gpuE8ELNS1_3repE0EEENS1_30default_config_static_selectorELNS0_4arch9wavefront6targetE0EEEvS12_.has_recursion, 0
	.set _ZN7rocprim17ROCPRIM_400000_NS6detail17trampoline_kernelINS0_13select_configILj256ELj13ELNS0_17block_load_methodE3ELS4_3ELS4_3ELNS0_20block_scan_algorithmE0ELj4294967295EEENS1_25partition_config_selectorILNS1_17partition_subalgoE4EjNS0_10empty_typeEbEEZZNS1_14partition_implILS8_4ELb0ES6_15HIP_vector_typeIjLj2EENS0_17counting_iteratorIjlEEPS9_SG_NS0_5tupleIJPjSI_NS0_16reverse_iteratorISI_EEEEENSH_IJSG_SG_SG_EEES9_SI_JZNS1_25segmented_radix_sort_implINS0_14default_configELb0EPKfPfPKlPlN2at6native12_GLOBAL__N_18offset_tEEE10hipError_tPvRmT1_PNSt15iterator_traitsIS12_E10value_typeET2_T3_PNS13_IS18_E10value_typeET4_jRbjT5_S1E_jjP12ihipStream_tbEUljE_ZNSN_ISO_Lb0ESQ_SR_ST_SU_SY_EESZ_S10_S11_S12_S16_S17_S18_S1B_S1C_jS1D_jS1E_S1E_jjS1G_bEUljE0_EEESZ_S10_S11_S18_S1C_S1E_T6_T7_T9_mT8_S1G_bDpT10_ENKUlT_T0_E_clISt17integral_constantIbLb0EES1U_EEDaS1P_S1Q_EUlS1P_E_NS1_11comp_targetILNS1_3genE4ELNS1_11target_archE910ELNS1_3gpuE8ELNS1_3repE0EEENS1_30default_config_static_selectorELNS0_4arch9wavefront6targetE0EEEvS12_.has_indirect_call, 0
	.section	.AMDGPU.csdata,"",@progbits
; Kernel info:
; codeLenInByte = 0
; TotalNumSgprs: 0
; NumVgprs: 0
; ScratchSize: 0
; MemoryBound: 0
; FloatMode: 240
; IeeeMode: 1
; LDSByteSize: 0 bytes/workgroup (compile time only)
; SGPRBlocks: 0
; VGPRBlocks: 0
; NumSGPRsForWavesPerEU: 1
; NumVGPRsForWavesPerEU: 1
; NamedBarCnt: 0
; Occupancy: 16
; WaveLimiterHint : 0
; COMPUTE_PGM_RSRC2:SCRATCH_EN: 0
; COMPUTE_PGM_RSRC2:USER_SGPR: 2
; COMPUTE_PGM_RSRC2:TRAP_HANDLER: 0
; COMPUTE_PGM_RSRC2:TGID_X_EN: 1
; COMPUTE_PGM_RSRC2:TGID_Y_EN: 0
; COMPUTE_PGM_RSRC2:TGID_Z_EN: 0
; COMPUTE_PGM_RSRC2:TIDIG_COMP_CNT: 0
	.section	.text._ZN7rocprim17ROCPRIM_400000_NS6detail17trampoline_kernelINS0_13select_configILj256ELj13ELNS0_17block_load_methodE3ELS4_3ELS4_3ELNS0_20block_scan_algorithmE0ELj4294967295EEENS1_25partition_config_selectorILNS1_17partition_subalgoE4EjNS0_10empty_typeEbEEZZNS1_14partition_implILS8_4ELb0ES6_15HIP_vector_typeIjLj2EENS0_17counting_iteratorIjlEEPS9_SG_NS0_5tupleIJPjSI_NS0_16reverse_iteratorISI_EEEEENSH_IJSG_SG_SG_EEES9_SI_JZNS1_25segmented_radix_sort_implINS0_14default_configELb0EPKfPfPKlPlN2at6native12_GLOBAL__N_18offset_tEEE10hipError_tPvRmT1_PNSt15iterator_traitsIS12_E10value_typeET2_T3_PNS13_IS18_E10value_typeET4_jRbjT5_S1E_jjP12ihipStream_tbEUljE_ZNSN_ISO_Lb0ESQ_SR_ST_SU_SY_EESZ_S10_S11_S12_S16_S17_S18_S1B_S1C_jS1D_jS1E_S1E_jjS1G_bEUljE0_EEESZ_S10_S11_S18_S1C_S1E_T6_T7_T9_mT8_S1G_bDpT10_ENKUlT_T0_E_clISt17integral_constantIbLb0EES1U_EEDaS1P_S1Q_EUlS1P_E_NS1_11comp_targetILNS1_3genE3ELNS1_11target_archE908ELNS1_3gpuE7ELNS1_3repE0EEENS1_30default_config_static_selectorELNS0_4arch9wavefront6targetE0EEEvS12_,"axG",@progbits,_ZN7rocprim17ROCPRIM_400000_NS6detail17trampoline_kernelINS0_13select_configILj256ELj13ELNS0_17block_load_methodE3ELS4_3ELS4_3ELNS0_20block_scan_algorithmE0ELj4294967295EEENS1_25partition_config_selectorILNS1_17partition_subalgoE4EjNS0_10empty_typeEbEEZZNS1_14partition_implILS8_4ELb0ES6_15HIP_vector_typeIjLj2EENS0_17counting_iteratorIjlEEPS9_SG_NS0_5tupleIJPjSI_NS0_16reverse_iteratorISI_EEEEENSH_IJSG_SG_SG_EEES9_SI_JZNS1_25segmented_radix_sort_implINS0_14default_configELb0EPKfPfPKlPlN2at6native12_GLOBAL__N_18offset_tEEE10hipError_tPvRmT1_PNSt15iterator_traitsIS12_E10value_typeET2_T3_PNS13_IS18_E10value_typeET4_jRbjT5_S1E_jjP12ihipStream_tbEUljE_ZNSN_ISO_Lb0ESQ_SR_ST_SU_SY_EESZ_S10_S11_S12_S16_S17_S18_S1B_S1C_jS1D_jS1E_S1E_jjS1G_bEUljE0_EEESZ_S10_S11_S18_S1C_S1E_T6_T7_T9_mT8_S1G_bDpT10_ENKUlT_T0_E_clISt17integral_constantIbLb0EES1U_EEDaS1P_S1Q_EUlS1P_E_NS1_11comp_targetILNS1_3genE3ELNS1_11target_archE908ELNS1_3gpuE7ELNS1_3repE0EEENS1_30default_config_static_selectorELNS0_4arch9wavefront6targetE0EEEvS12_,comdat
	.globl	_ZN7rocprim17ROCPRIM_400000_NS6detail17trampoline_kernelINS0_13select_configILj256ELj13ELNS0_17block_load_methodE3ELS4_3ELS4_3ELNS0_20block_scan_algorithmE0ELj4294967295EEENS1_25partition_config_selectorILNS1_17partition_subalgoE4EjNS0_10empty_typeEbEEZZNS1_14partition_implILS8_4ELb0ES6_15HIP_vector_typeIjLj2EENS0_17counting_iteratorIjlEEPS9_SG_NS0_5tupleIJPjSI_NS0_16reverse_iteratorISI_EEEEENSH_IJSG_SG_SG_EEES9_SI_JZNS1_25segmented_radix_sort_implINS0_14default_configELb0EPKfPfPKlPlN2at6native12_GLOBAL__N_18offset_tEEE10hipError_tPvRmT1_PNSt15iterator_traitsIS12_E10value_typeET2_T3_PNS13_IS18_E10value_typeET4_jRbjT5_S1E_jjP12ihipStream_tbEUljE_ZNSN_ISO_Lb0ESQ_SR_ST_SU_SY_EESZ_S10_S11_S12_S16_S17_S18_S1B_S1C_jS1D_jS1E_S1E_jjS1G_bEUljE0_EEESZ_S10_S11_S18_S1C_S1E_T6_T7_T9_mT8_S1G_bDpT10_ENKUlT_T0_E_clISt17integral_constantIbLb0EES1U_EEDaS1P_S1Q_EUlS1P_E_NS1_11comp_targetILNS1_3genE3ELNS1_11target_archE908ELNS1_3gpuE7ELNS1_3repE0EEENS1_30default_config_static_selectorELNS0_4arch9wavefront6targetE0EEEvS12_ ; -- Begin function _ZN7rocprim17ROCPRIM_400000_NS6detail17trampoline_kernelINS0_13select_configILj256ELj13ELNS0_17block_load_methodE3ELS4_3ELS4_3ELNS0_20block_scan_algorithmE0ELj4294967295EEENS1_25partition_config_selectorILNS1_17partition_subalgoE4EjNS0_10empty_typeEbEEZZNS1_14partition_implILS8_4ELb0ES6_15HIP_vector_typeIjLj2EENS0_17counting_iteratorIjlEEPS9_SG_NS0_5tupleIJPjSI_NS0_16reverse_iteratorISI_EEEEENSH_IJSG_SG_SG_EEES9_SI_JZNS1_25segmented_radix_sort_implINS0_14default_configELb0EPKfPfPKlPlN2at6native12_GLOBAL__N_18offset_tEEE10hipError_tPvRmT1_PNSt15iterator_traitsIS12_E10value_typeET2_T3_PNS13_IS18_E10value_typeET4_jRbjT5_S1E_jjP12ihipStream_tbEUljE_ZNSN_ISO_Lb0ESQ_SR_ST_SU_SY_EESZ_S10_S11_S12_S16_S17_S18_S1B_S1C_jS1D_jS1E_S1E_jjS1G_bEUljE0_EEESZ_S10_S11_S18_S1C_S1E_T6_T7_T9_mT8_S1G_bDpT10_ENKUlT_T0_E_clISt17integral_constantIbLb0EES1U_EEDaS1P_S1Q_EUlS1P_E_NS1_11comp_targetILNS1_3genE3ELNS1_11target_archE908ELNS1_3gpuE7ELNS1_3repE0EEENS1_30default_config_static_selectorELNS0_4arch9wavefront6targetE0EEEvS12_
	.p2align	8
	.type	_ZN7rocprim17ROCPRIM_400000_NS6detail17trampoline_kernelINS0_13select_configILj256ELj13ELNS0_17block_load_methodE3ELS4_3ELS4_3ELNS0_20block_scan_algorithmE0ELj4294967295EEENS1_25partition_config_selectorILNS1_17partition_subalgoE4EjNS0_10empty_typeEbEEZZNS1_14partition_implILS8_4ELb0ES6_15HIP_vector_typeIjLj2EENS0_17counting_iteratorIjlEEPS9_SG_NS0_5tupleIJPjSI_NS0_16reverse_iteratorISI_EEEEENSH_IJSG_SG_SG_EEES9_SI_JZNS1_25segmented_radix_sort_implINS0_14default_configELb0EPKfPfPKlPlN2at6native12_GLOBAL__N_18offset_tEEE10hipError_tPvRmT1_PNSt15iterator_traitsIS12_E10value_typeET2_T3_PNS13_IS18_E10value_typeET4_jRbjT5_S1E_jjP12ihipStream_tbEUljE_ZNSN_ISO_Lb0ESQ_SR_ST_SU_SY_EESZ_S10_S11_S12_S16_S17_S18_S1B_S1C_jS1D_jS1E_S1E_jjS1G_bEUljE0_EEESZ_S10_S11_S18_S1C_S1E_T6_T7_T9_mT8_S1G_bDpT10_ENKUlT_T0_E_clISt17integral_constantIbLb0EES1U_EEDaS1P_S1Q_EUlS1P_E_NS1_11comp_targetILNS1_3genE3ELNS1_11target_archE908ELNS1_3gpuE7ELNS1_3repE0EEENS1_30default_config_static_selectorELNS0_4arch9wavefront6targetE0EEEvS12_,@function
_ZN7rocprim17ROCPRIM_400000_NS6detail17trampoline_kernelINS0_13select_configILj256ELj13ELNS0_17block_load_methodE3ELS4_3ELS4_3ELNS0_20block_scan_algorithmE0ELj4294967295EEENS1_25partition_config_selectorILNS1_17partition_subalgoE4EjNS0_10empty_typeEbEEZZNS1_14partition_implILS8_4ELb0ES6_15HIP_vector_typeIjLj2EENS0_17counting_iteratorIjlEEPS9_SG_NS0_5tupleIJPjSI_NS0_16reverse_iteratorISI_EEEEENSH_IJSG_SG_SG_EEES9_SI_JZNS1_25segmented_radix_sort_implINS0_14default_configELb0EPKfPfPKlPlN2at6native12_GLOBAL__N_18offset_tEEE10hipError_tPvRmT1_PNSt15iterator_traitsIS12_E10value_typeET2_T3_PNS13_IS18_E10value_typeET4_jRbjT5_S1E_jjP12ihipStream_tbEUljE_ZNSN_ISO_Lb0ESQ_SR_ST_SU_SY_EESZ_S10_S11_S12_S16_S17_S18_S1B_S1C_jS1D_jS1E_S1E_jjS1G_bEUljE0_EEESZ_S10_S11_S18_S1C_S1E_T6_T7_T9_mT8_S1G_bDpT10_ENKUlT_T0_E_clISt17integral_constantIbLb0EES1U_EEDaS1P_S1Q_EUlS1P_E_NS1_11comp_targetILNS1_3genE3ELNS1_11target_archE908ELNS1_3gpuE7ELNS1_3repE0EEENS1_30default_config_static_selectorELNS0_4arch9wavefront6targetE0EEEvS12_: ; @_ZN7rocprim17ROCPRIM_400000_NS6detail17trampoline_kernelINS0_13select_configILj256ELj13ELNS0_17block_load_methodE3ELS4_3ELS4_3ELNS0_20block_scan_algorithmE0ELj4294967295EEENS1_25partition_config_selectorILNS1_17partition_subalgoE4EjNS0_10empty_typeEbEEZZNS1_14partition_implILS8_4ELb0ES6_15HIP_vector_typeIjLj2EENS0_17counting_iteratorIjlEEPS9_SG_NS0_5tupleIJPjSI_NS0_16reverse_iteratorISI_EEEEENSH_IJSG_SG_SG_EEES9_SI_JZNS1_25segmented_radix_sort_implINS0_14default_configELb0EPKfPfPKlPlN2at6native12_GLOBAL__N_18offset_tEEE10hipError_tPvRmT1_PNSt15iterator_traitsIS12_E10value_typeET2_T3_PNS13_IS18_E10value_typeET4_jRbjT5_S1E_jjP12ihipStream_tbEUljE_ZNSN_ISO_Lb0ESQ_SR_ST_SU_SY_EESZ_S10_S11_S12_S16_S17_S18_S1B_S1C_jS1D_jS1E_S1E_jjS1G_bEUljE0_EEESZ_S10_S11_S18_S1C_S1E_T6_T7_T9_mT8_S1G_bDpT10_ENKUlT_T0_E_clISt17integral_constantIbLb0EES1U_EEDaS1P_S1Q_EUlS1P_E_NS1_11comp_targetILNS1_3genE3ELNS1_11target_archE908ELNS1_3gpuE7ELNS1_3repE0EEENS1_30default_config_static_selectorELNS0_4arch9wavefront6targetE0EEEvS12_
; %bb.0:
	.section	.rodata,"a",@progbits
	.p2align	6, 0x0
	.amdhsa_kernel _ZN7rocprim17ROCPRIM_400000_NS6detail17trampoline_kernelINS0_13select_configILj256ELj13ELNS0_17block_load_methodE3ELS4_3ELS4_3ELNS0_20block_scan_algorithmE0ELj4294967295EEENS1_25partition_config_selectorILNS1_17partition_subalgoE4EjNS0_10empty_typeEbEEZZNS1_14partition_implILS8_4ELb0ES6_15HIP_vector_typeIjLj2EENS0_17counting_iteratorIjlEEPS9_SG_NS0_5tupleIJPjSI_NS0_16reverse_iteratorISI_EEEEENSH_IJSG_SG_SG_EEES9_SI_JZNS1_25segmented_radix_sort_implINS0_14default_configELb0EPKfPfPKlPlN2at6native12_GLOBAL__N_18offset_tEEE10hipError_tPvRmT1_PNSt15iterator_traitsIS12_E10value_typeET2_T3_PNS13_IS18_E10value_typeET4_jRbjT5_S1E_jjP12ihipStream_tbEUljE_ZNSN_ISO_Lb0ESQ_SR_ST_SU_SY_EESZ_S10_S11_S12_S16_S17_S18_S1B_S1C_jS1D_jS1E_S1E_jjS1G_bEUljE0_EEESZ_S10_S11_S18_S1C_S1E_T6_T7_T9_mT8_S1G_bDpT10_ENKUlT_T0_E_clISt17integral_constantIbLb0EES1U_EEDaS1P_S1Q_EUlS1P_E_NS1_11comp_targetILNS1_3genE3ELNS1_11target_archE908ELNS1_3gpuE7ELNS1_3repE0EEENS1_30default_config_static_selectorELNS0_4arch9wavefront6targetE0EEEvS12_
		.amdhsa_group_segment_fixed_size 0
		.amdhsa_private_segment_fixed_size 0
		.amdhsa_kernarg_size 176
		.amdhsa_user_sgpr_count 2
		.amdhsa_user_sgpr_dispatch_ptr 0
		.amdhsa_user_sgpr_queue_ptr 0
		.amdhsa_user_sgpr_kernarg_segment_ptr 1
		.amdhsa_user_sgpr_dispatch_id 0
		.amdhsa_user_sgpr_kernarg_preload_length 0
		.amdhsa_user_sgpr_kernarg_preload_offset 0
		.amdhsa_user_sgpr_private_segment_size 0
		.amdhsa_wavefront_size32 1
		.amdhsa_uses_dynamic_stack 0
		.amdhsa_enable_private_segment 0
		.amdhsa_system_sgpr_workgroup_id_x 1
		.amdhsa_system_sgpr_workgroup_id_y 0
		.amdhsa_system_sgpr_workgroup_id_z 0
		.amdhsa_system_sgpr_workgroup_info 0
		.amdhsa_system_vgpr_workitem_id 0
		.amdhsa_next_free_vgpr 1
		.amdhsa_next_free_sgpr 1
		.amdhsa_named_barrier_count 0
		.amdhsa_reserve_vcc 0
		.amdhsa_float_round_mode_32 0
		.amdhsa_float_round_mode_16_64 0
		.amdhsa_float_denorm_mode_32 3
		.amdhsa_float_denorm_mode_16_64 3
		.amdhsa_fp16_overflow 0
		.amdhsa_memory_ordered 1
		.amdhsa_forward_progress 1
		.amdhsa_inst_pref_size 0
		.amdhsa_round_robin_scheduling 0
		.amdhsa_exception_fp_ieee_invalid_op 0
		.amdhsa_exception_fp_denorm_src 0
		.amdhsa_exception_fp_ieee_div_zero 0
		.amdhsa_exception_fp_ieee_overflow 0
		.amdhsa_exception_fp_ieee_underflow 0
		.amdhsa_exception_fp_ieee_inexact 0
		.amdhsa_exception_int_div_zero 0
	.end_amdhsa_kernel
	.section	.text._ZN7rocprim17ROCPRIM_400000_NS6detail17trampoline_kernelINS0_13select_configILj256ELj13ELNS0_17block_load_methodE3ELS4_3ELS4_3ELNS0_20block_scan_algorithmE0ELj4294967295EEENS1_25partition_config_selectorILNS1_17partition_subalgoE4EjNS0_10empty_typeEbEEZZNS1_14partition_implILS8_4ELb0ES6_15HIP_vector_typeIjLj2EENS0_17counting_iteratorIjlEEPS9_SG_NS0_5tupleIJPjSI_NS0_16reverse_iteratorISI_EEEEENSH_IJSG_SG_SG_EEES9_SI_JZNS1_25segmented_radix_sort_implINS0_14default_configELb0EPKfPfPKlPlN2at6native12_GLOBAL__N_18offset_tEEE10hipError_tPvRmT1_PNSt15iterator_traitsIS12_E10value_typeET2_T3_PNS13_IS18_E10value_typeET4_jRbjT5_S1E_jjP12ihipStream_tbEUljE_ZNSN_ISO_Lb0ESQ_SR_ST_SU_SY_EESZ_S10_S11_S12_S16_S17_S18_S1B_S1C_jS1D_jS1E_S1E_jjS1G_bEUljE0_EEESZ_S10_S11_S18_S1C_S1E_T6_T7_T9_mT8_S1G_bDpT10_ENKUlT_T0_E_clISt17integral_constantIbLb0EES1U_EEDaS1P_S1Q_EUlS1P_E_NS1_11comp_targetILNS1_3genE3ELNS1_11target_archE908ELNS1_3gpuE7ELNS1_3repE0EEENS1_30default_config_static_selectorELNS0_4arch9wavefront6targetE0EEEvS12_,"axG",@progbits,_ZN7rocprim17ROCPRIM_400000_NS6detail17trampoline_kernelINS0_13select_configILj256ELj13ELNS0_17block_load_methodE3ELS4_3ELS4_3ELNS0_20block_scan_algorithmE0ELj4294967295EEENS1_25partition_config_selectorILNS1_17partition_subalgoE4EjNS0_10empty_typeEbEEZZNS1_14partition_implILS8_4ELb0ES6_15HIP_vector_typeIjLj2EENS0_17counting_iteratorIjlEEPS9_SG_NS0_5tupleIJPjSI_NS0_16reverse_iteratorISI_EEEEENSH_IJSG_SG_SG_EEES9_SI_JZNS1_25segmented_radix_sort_implINS0_14default_configELb0EPKfPfPKlPlN2at6native12_GLOBAL__N_18offset_tEEE10hipError_tPvRmT1_PNSt15iterator_traitsIS12_E10value_typeET2_T3_PNS13_IS18_E10value_typeET4_jRbjT5_S1E_jjP12ihipStream_tbEUljE_ZNSN_ISO_Lb0ESQ_SR_ST_SU_SY_EESZ_S10_S11_S12_S16_S17_S18_S1B_S1C_jS1D_jS1E_S1E_jjS1G_bEUljE0_EEESZ_S10_S11_S18_S1C_S1E_T6_T7_T9_mT8_S1G_bDpT10_ENKUlT_T0_E_clISt17integral_constantIbLb0EES1U_EEDaS1P_S1Q_EUlS1P_E_NS1_11comp_targetILNS1_3genE3ELNS1_11target_archE908ELNS1_3gpuE7ELNS1_3repE0EEENS1_30default_config_static_selectorELNS0_4arch9wavefront6targetE0EEEvS12_,comdat
.Lfunc_end1360:
	.size	_ZN7rocprim17ROCPRIM_400000_NS6detail17trampoline_kernelINS0_13select_configILj256ELj13ELNS0_17block_load_methodE3ELS4_3ELS4_3ELNS0_20block_scan_algorithmE0ELj4294967295EEENS1_25partition_config_selectorILNS1_17partition_subalgoE4EjNS0_10empty_typeEbEEZZNS1_14partition_implILS8_4ELb0ES6_15HIP_vector_typeIjLj2EENS0_17counting_iteratorIjlEEPS9_SG_NS0_5tupleIJPjSI_NS0_16reverse_iteratorISI_EEEEENSH_IJSG_SG_SG_EEES9_SI_JZNS1_25segmented_radix_sort_implINS0_14default_configELb0EPKfPfPKlPlN2at6native12_GLOBAL__N_18offset_tEEE10hipError_tPvRmT1_PNSt15iterator_traitsIS12_E10value_typeET2_T3_PNS13_IS18_E10value_typeET4_jRbjT5_S1E_jjP12ihipStream_tbEUljE_ZNSN_ISO_Lb0ESQ_SR_ST_SU_SY_EESZ_S10_S11_S12_S16_S17_S18_S1B_S1C_jS1D_jS1E_S1E_jjS1G_bEUljE0_EEESZ_S10_S11_S18_S1C_S1E_T6_T7_T9_mT8_S1G_bDpT10_ENKUlT_T0_E_clISt17integral_constantIbLb0EES1U_EEDaS1P_S1Q_EUlS1P_E_NS1_11comp_targetILNS1_3genE3ELNS1_11target_archE908ELNS1_3gpuE7ELNS1_3repE0EEENS1_30default_config_static_selectorELNS0_4arch9wavefront6targetE0EEEvS12_, .Lfunc_end1360-_ZN7rocprim17ROCPRIM_400000_NS6detail17trampoline_kernelINS0_13select_configILj256ELj13ELNS0_17block_load_methodE3ELS4_3ELS4_3ELNS0_20block_scan_algorithmE0ELj4294967295EEENS1_25partition_config_selectorILNS1_17partition_subalgoE4EjNS0_10empty_typeEbEEZZNS1_14partition_implILS8_4ELb0ES6_15HIP_vector_typeIjLj2EENS0_17counting_iteratorIjlEEPS9_SG_NS0_5tupleIJPjSI_NS0_16reverse_iteratorISI_EEEEENSH_IJSG_SG_SG_EEES9_SI_JZNS1_25segmented_radix_sort_implINS0_14default_configELb0EPKfPfPKlPlN2at6native12_GLOBAL__N_18offset_tEEE10hipError_tPvRmT1_PNSt15iterator_traitsIS12_E10value_typeET2_T3_PNS13_IS18_E10value_typeET4_jRbjT5_S1E_jjP12ihipStream_tbEUljE_ZNSN_ISO_Lb0ESQ_SR_ST_SU_SY_EESZ_S10_S11_S12_S16_S17_S18_S1B_S1C_jS1D_jS1E_S1E_jjS1G_bEUljE0_EEESZ_S10_S11_S18_S1C_S1E_T6_T7_T9_mT8_S1G_bDpT10_ENKUlT_T0_E_clISt17integral_constantIbLb0EES1U_EEDaS1P_S1Q_EUlS1P_E_NS1_11comp_targetILNS1_3genE3ELNS1_11target_archE908ELNS1_3gpuE7ELNS1_3repE0EEENS1_30default_config_static_selectorELNS0_4arch9wavefront6targetE0EEEvS12_
                                        ; -- End function
	.set _ZN7rocprim17ROCPRIM_400000_NS6detail17trampoline_kernelINS0_13select_configILj256ELj13ELNS0_17block_load_methodE3ELS4_3ELS4_3ELNS0_20block_scan_algorithmE0ELj4294967295EEENS1_25partition_config_selectorILNS1_17partition_subalgoE4EjNS0_10empty_typeEbEEZZNS1_14partition_implILS8_4ELb0ES6_15HIP_vector_typeIjLj2EENS0_17counting_iteratorIjlEEPS9_SG_NS0_5tupleIJPjSI_NS0_16reverse_iteratorISI_EEEEENSH_IJSG_SG_SG_EEES9_SI_JZNS1_25segmented_radix_sort_implINS0_14default_configELb0EPKfPfPKlPlN2at6native12_GLOBAL__N_18offset_tEEE10hipError_tPvRmT1_PNSt15iterator_traitsIS12_E10value_typeET2_T3_PNS13_IS18_E10value_typeET4_jRbjT5_S1E_jjP12ihipStream_tbEUljE_ZNSN_ISO_Lb0ESQ_SR_ST_SU_SY_EESZ_S10_S11_S12_S16_S17_S18_S1B_S1C_jS1D_jS1E_S1E_jjS1G_bEUljE0_EEESZ_S10_S11_S18_S1C_S1E_T6_T7_T9_mT8_S1G_bDpT10_ENKUlT_T0_E_clISt17integral_constantIbLb0EES1U_EEDaS1P_S1Q_EUlS1P_E_NS1_11comp_targetILNS1_3genE3ELNS1_11target_archE908ELNS1_3gpuE7ELNS1_3repE0EEENS1_30default_config_static_selectorELNS0_4arch9wavefront6targetE0EEEvS12_.num_vgpr, 0
	.set _ZN7rocprim17ROCPRIM_400000_NS6detail17trampoline_kernelINS0_13select_configILj256ELj13ELNS0_17block_load_methodE3ELS4_3ELS4_3ELNS0_20block_scan_algorithmE0ELj4294967295EEENS1_25partition_config_selectorILNS1_17partition_subalgoE4EjNS0_10empty_typeEbEEZZNS1_14partition_implILS8_4ELb0ES6_15HIP_vector_typeIjLj2EENS0_17counting_iteratorIjlEEPS9_SG_NS0_5tupleIJPjSI_NS0_16reverse_iteratorISI_EEEEENSH_IJSG_SG_SG_EEES9_SI_JZNS1_25segmented_radix_sort_implINS0_14default_configELb0EPKfPfPKlPlN2at6native12_GLOBAL__N_18offset_tEEE10hipError_tPvRmT1_PNSt15iterator_traitsIS12_E10value_typeET2_T3_PNS13_IS18_E10value_typeET4_jRbjT5_S1E_jjP12ihipStream_tbEUljE_ZNSN_ISO_Lb0ESQ_SR_ST_SU_SY_EESZ_S10_S11_S12_S16_S17_S18_S1B_S1C_jS1D_jS1E_S1E_jjS1G_bEUljE0_EEESZ_S10_S11_S18_S1C_S1E_T6_T7_T9_mT8_S1G_bDpT10_ENKUlT_T0_E_clISt17integral_constantIbLb0EES1U_EEDaS1P_S1Q_EUlS1P_E_NS1_11comp_targetILNS1_3genE3ELNS1_11target_archE908ELNS1_3gpuE7ELNS1_3repE0EEENS1_30default_config_static_selectorELNS0_4arch9wavefront6targetE0EEEvS12_.num_agpr, 0
	.set _ZN7rocprim17ROCPRIM_400000_NS6detail17trampoline_kernelINS0_13select_configILj256ELj13ELNS0_17block_load_methodE3ELS4_3ELS4_3ELNS0_20block_scan_algorithmE0ELj4294967295EEENS1_25partition_config_selectorILNS1_17partition_subalgoE4EjNS0_10empty_typeEbEEZZNS1_14partition_implILS8_4ELb0ES6_15HIP_vector_typeIjLj2EENS0_17counting_iteratorIjlEEPS9_SG_NS0_5tupleIJPjSI_NS0_16reverse_iteratorISI_EEEEENSH_IJSG_SG_SG_EEES9_SI_JZNS1_25segmented_radix_sort_implINS0_14default_configELb0EPKfPfPKlPlN2at6native12_GLOBAL__N_18offset_tEEE10hipError_tPvRmT1_PNSt15iterator_traitsIS12_E10value_typeET2_T3_PNS13_IS18_E10value_typeET4_jRbjT5_S1E_jjP12ihipStream_tbEUljE_ZNSN_ISO_Lb0ESQ_SR_ST_SU_SY_EESZ_S10_S11_S12_S16_S17_S18_S1B_S1C_jS1D_jS1E_S1E_jjS1G_bEUljE0_EEESZ_S10_S11_S18_S1C_S1E_T6_T7_T9_mT8_S1G_bDpT10_ENKUlT_T0_E_clISt17integral_constantIbLb0EES1U_EEDaS1P_S1Q_EUlS1P_E_NS1_11comp_targetILNS1_3genE3ELNS1_11target_archE908ELNS1_3gpuE7ELNS1_3repE0EEENS1_30default_config_static_selectorELNS0_4arch9wavefront6targetE0EEEvS12_.numbered_sgpr, 0
	.set _ZN7rocprim17ROCPRIM_400000_NS6detail17trampoline_kernelINS0_13select_configILj256ELj13ELNS0_17block_load_methodE3ELS4_3ELS4_3ELNS0_20block_scan_algorithmE0ELj4294967295EEENS1_25partition_config_selectorILNS1_17partition_subalgoE4EjNS0_10empty_typeEbEEZZNS1_14partition_implILS8_4ELb0ES6_15HIP_vector_typeIjLj2EENS0_17counting_iteratorIjlEEPS9_SG_NS0_5tupleIJPjSI_NS0_16reverse_iteratorISI_EEEEENSH_IJSG_SG_SG_EEES9_SI_JZNS1_25segmented_radix_sort_implINS0_14default_configELb0EPKfPfPKlPlN2at6native12_GLOBAL__N_18offset_tEEE10hipError_tPvRmT1_PNSt15iterator_traitsIS12_E10value_typeET2_T3_PNS13_IS18_E10value_typeET4_jRbjT5_S1E_jjP12ihipStream_tbEUljE_ZNSN_ISO_Lb0ESQ_SR_ST_SU_SY_EESZ_S10_S11_S12_S16_S17_S18_S1B_S1C_jS1D_jS1E_S1E_jjS1G_bEUljE0_EEESZ_S10_S11_S18_S1C_S1E_T6_T7_T9_mT8_S1G_bDpT10_ENKUlT_T0_E_clISt17integral_constantIbLb0EES1U_EEDaS1P_S1Q_EUlS1P_E_NS1_11comp_targetILNS1_3genE3ELNS1_11target_archE908ELNS1_3gpuE7ELNS1_3repE0EEENS1_30default_config_static_selectorELNS0_4arch9wavefront6targetE0EEEvS12_.num_named_barrier, 0
	.set _ZN7rocprim17ROCPRIM_400000_NS6detail17trampoline_kernelINS0_13select_configILj256ELj13ELNS0_17block_load_methodE3ELS4_3ELS4_3ELNS0_20block_scan_algorithmE0ELj4294967295EEENS1_25partition_config_selectorILNS1_17partition_subalgoE4EjNS0_10empty_typeEbEEZZNS1_14partition_implILS8_4ELb0ES6_15HIP_vector_typeIjLj2EENS0_17counting_iteratorIjlEEPS9_SG_NS0_5tupleIJPjSI_NS0_16reverse_iteratorISI_EEEEENSH_IJSG_SG_SG_EEES9_SI_JZNS1_25segmented_radix_sort_implINS0_14default_configELb0EPKfPfPKlPlN2at6native12_GLOBAL__N_18offset_tEEE10hipError_tPvRmT1_PNSt15iterator_traitsIS12_E10value_typeET2_T3_PNS13_IS18_E10value_typeET4_jRbjT5_S1E_jjP12ihipStream_tbEUljE_ZNSN_ISO_Lb0ESQ_SR_ST_SU_SY_EESZ_S10_S11_S12_S16_S17_S18_S1B_S1C_jS1D_jS1E_S1E_jjS1G_bEUljE0_EEESZ_S10_S11_S18_S1C_S1E_T6_T7_T9_mT8_S1G_bDpT10_ENKUlT_T0_E_clISt17integral_constantIbLb0EES1U_EEDaS1P_S1Q_EUlS1P_E_NS1_11comp_targetILNS1_3genE3ELNS1_11target_archE908ELNS1_3gpuE7ELNS1_3repE0EEENS1_30default_config_static_selectorELNS0_4arch9wavefront6targetE0EEEvS12_.private_seg_size, 0
	.set _ZN7rocprim17ROCPRIM_400000_NS6detail17trampoline_kernelINS0_13select_configILj256ELj13ELNS0_17block_load_methodE3ELS4_3ELS4_3ELNS0_20block_scan_algorithmE0ELj4294967295EEENS1_25partition_config_selectorILNS1_17partition_subalgoE4EjNS0_10empty_typeEbEEZZNS1_14partition_implILS8_4ELb0ES6_15HIP_vector_typeIjLj2EENS0_17counting_iteratorIjlEEPS9_SG_NS0_5tupleIJPjSI_NS0_16reverse_iteratorISI_EEEEENSH_IJSG_SG_SG_EEES9_SI_JZNS1_25segmented_radix_sort_implINS0_14default_configELb0EPKfPfPKlPlN2at6native12_GLOBAL__N_18offset_tEEE10hipError_tPvRmT1_PNSt15iterator_traitsIS12_E10value_typeET2_T3_PNS13_IS18_E10value_typeET4_jRbjT5_S1E_jjP12ihipStream_tbEUljE_ZNSN_ISO_Lb0ESQ_SR_ST_SU_SY_EESZ_S10_S11_S12_S16_S17_S18_S1B_S1C_jS1D_jS1E_S1E_jjS1G_bEUljE0_EEESZ_S10_S11_S18_S1C_S1E_T6_T7_T9_mT8_S1G_bDpT10_ENKUlT_T0_E_clISt17integral_constantIbLb0EES1U_EEDaS1P_S1Q_EUlS1P_E_NS1_11comp_targetILNS1_3genE3ELNS1_11target_archE908ELNS1_3gpuE7ELNS1_3repE0EEENS1_30default_config_static_selectorELNS0_4arch9wavefront6targetE0EEEvS12_.uses_vcc, 0
	.set _ZN7rocprim17ROCPRIM_400000_NS6detail17trampoline_kernelINS0_13select_configILj256ELj13ELNS0_17block_load_methodE3ELS4_3ELS4_3ELNS0_20block_scan_algorithmE0ELj4294967295EEENS1_25partition_config_selectorILNS1_17partition_subalgoE4EjNS0_10empty_typeEbEEZZNS1_14partition_implILS8_4ELb0ES6_15HIP_vector_typeIjLj2EENS0_17counting_iteratorIjlEEPS9_SG_NS0_5tupleIJPjSI_NS0_16reverse_iteratorISI_EEEEENSH_IJSG_SG_SG_EEES9_SI_JZNS1_25segmented_radix_sort_implINS0_14default_configELb0EPKfPfPKlPlN2at6native12_GLOBAL__N_18offset_tEEE10hipError_tPvRmT1_PNSt15iterator_traitsIS12_E10value_typeET2_T3_PNS13_IS18_E10value_typeET4_jRbjT5_S1E_jjP12ihipStream_tbEUljE_ZNSN_ISO_Lb0ESQ_SR_ST_SU_SY_EESZ_S10_S11_S12_S16_S17_S18_S1B_S1C_jS1D_jS1E_S1E_jjS1G_bEUljE0_EEESZ_S10_S11_S18_S1C_S1E_T6_T7_T9_mT8_S1G_bDpT10_ENKUlT_T0_E_clISt17integral_constantIbLb0EES1U_EEDaS1P_S1Q_EUlS1P_E_NS1_11comp_targetILNS1_3genE3ELNS1_11target_archE908ELNS1_3gpuE7ELNS1_3repE0EEENS1_30default_config_static_selectorELNS0_4arch9wavefront6targetE0EEEvS12_.uses_flat_scratch, 0
	.set _ZN7rocprim17ROCPRIM_400000_NS6detail17trampoline_kernelINS0_13select_configILj256ELj13ELNS0_17block_load_methodE3ELS4_3ELS4_3ELNS0_20block_scan_algorithmE0ELj4294967295EEENS1_25partition_config_selectorILNS1_17partition_subalgoE4EjNS0_10empty_typeEbEEZZNS1_14partition_implILS8_4ELb0ES6_15HIP_vector_typeIjLj2EENS0_17counting_iteratorIjlEEPS9_SG_NS0_5tupleIJPjSI_NS0_16reverse_iteratorISI_EEEEENSH_IJSG_SG_SG_EEES9_SI_JZNS1_25segmented_radix_sort_implINS0_14default_configELb0EPKfPfPKlPlN2at6native12_GLOBAL__N_18offset_tEEE10hipError_tPvRmT1_PNSt15iterator_traitsIS12_E10value_typeET2_T3_PNS13_IS18_E10value_typeET4_jRbjT5_S1E_jjP12ihipStream_tbEUljE_ZNSN_ISO_Lb0ESQ_SR_ST_SU_SY_EESZ_S10_S11_S12_S16_S17_S18_S1B_S1C_jS1D_jS1E_S1E_jjS1G_bEUljE0_EEESZ_S10_S11_S18_S1C_S1E_T6_T7_T9_mT8_S1G_bDpT10_ENKUlT_T0_E_clISt17integral_constantIbLb0EES1U_EEDaS1P_S1Q_EUlS1P_E_NS1_11comp_targetILNS1_3genE3ELNS1_11target_archE908ELNS1_3gpuE7ELNS1_3repE0EEENS1_30default_config_static_selectorELNS0_4arch9wavefront6targetE0EEEvS12_.has_dyn_sized_stack, 0
	.set _ZN7rocprim17ROCPRIM_400000_NS6detail17trampoline_kernelINS0_13select_configILj256ELj13ELNS0_17block_load_methodE3ELS4_3ELS4_3ELNS0_20block_scan_algorithmE0ELj4294967295EEENS1_25partition_config_selectorILNS1_17partition_subalgoE4EjNS0_10empty_typeEbEEZZNS1_14partition_implILS8_4ELb0ES6_15HIP_vector_typeIjLj2EENS0_17counting_iteratorIjlEEPS9_SG_NS0_5tupleIJPjSI_NS0_16reverse_iteratorISI_EEEEENSH_IJSG_SG_SG_EEES9_SI_JZNS1_25segmented_radix_sort_implINS0_14default_configELb0EPKfPfPKlPlN2at6native12_GLOBAL__N_18offset_tEEE10hipError_tPvRmT1_PNSt15iterator_traitsIS12_E10value_typeET2_T3_PNS13_IS18_E10value_typeET4_jRbjT5_S1E_jjP12ihipStream_tbEUljE_ZNSN_ISO_Lb0ESQ_SR_ST_SU_SY_EESZ_S10_S11_S12_S16_S17_S18_S1B_S1C_jS1D_jS1E_S1E_jjS1G_bEUljE0_EEESZ_S10_S11_S18_S1C_S1E_T6_T7_T9_mT8_S1G_bDpT10_ENKUlT_T0_E_clISt17integral_constantIbLb0EES1U_EEDaS1P_S1Q_EUlS1P_E_NS1_11comp_targetILNS1_3genE3ELNS1_11target_archE908ELNS1_3gpuE7ELNS1_3repE0EEENS1_30default_config_static_selectorELNS0_4arch9wavefront6targetE0EEEvS12_.has_recursion, 0
	.set _ZN7rocprim17ROCPRIM_400000_NS6detail17trampoline_kernelINS0_13select_configILj256ELj13ELNS0_17block_load_methodE3ELS4_3ELS4_3ELNS0_20block_scan_algorithmE0ELj4294967295EEENS1_25partition_config_selectorILNS1_17partition_subalgoE4EjNS0_10empty_typeEbEEZZNS1_14partition_implILS8_4ELb0ES6_15HIP_vector_typeIjLj2EENS0_17counting_iteratorIjlEEPS9_SG_NS0_5tupleIJPjSI_NS0_16reverse_iteratorISI_EEEEENSH_IJSG_SG_SG_EEES9_SI_JZNS1_25segmented_radix_sort_implINS0_14default_configELb0EPKfPfPKlPlN2at6native12_GLOBAL__N_18offset_tEEE10hipError_tPvRmT1_PNSt15iterator_traitsIS12_E10value_typeET2_T3_PNS13_IS18_E10value_typeET4_jRbjT5_S1E_jjP12ihipStream_tbEUljE_ZNSN_ISO_Lb0ESQ_SR_ST_SU_SY_EESZ_S10_S11_S12_S16_S17_S18_S1B_S1C_jS1D_jS1E_S1E_jjS1G_bEUljE0_EEESZ_S10_S11_S18_S1C_S1E_T6_T7_T9_mT8_S1G_bDpT10_ENKUlT_T0_E_clISt17integral_constantIbLb0EES1U_EEDaS1P_S1Q_EUlS1P_E_NS1_11comp_targetILNS1_3genE3ELNS1_11target_archE908ELNS1_3gpuE7ELNS1_3repE0EEENS1_30default_config_static_selectorELNS0_4arch9wavefront6targetE0EEEvS12_.has_indirect_call, 0
	.section	.AMDGPU.csdata,"",@progbits
; Kernel info:
; codeLenInByte = 0
; TotalNumSgprs: 0
; NumVgprs: 0
; ScratchSize: 0
; MemoryBound: 0
; FloatMode: 240
; IeeeMode: 1
; LDSByteSize: 0 bytes/workgroup (compile time only)
; SGPRBlocks: 0
; VGPRBlocks: 0
; NumSGPRsForWavesPerEU: 1
; NumVGPRsForWavesPerEU: 1
; NamedBarCnt: 0
; Occupancy: 16
; WaveLimiterHint : 0
; COMPUTE_PGM_RSRC2:SCRATCH_EN: 0
; COMPUTE_PGM_RSRC2:USER_SGPR: 2
; COMPUTE_PGM_RSRC2:TRAP_HANDLER: 0
; COMPUTE_PGM_RSRC2:TGID_X_EN: 1
; COMPUTE_PGM_RSRC2:TGID_Y_EN: 0
; COMPUTE_PGM_RSRC2:TGID_Z_EN: 0
; COMPUTE_PGM_RSRC2:TIDIG_COMP_CNT: 0
	.section	.text._ZN7rocprim17ROCPRIM_400000_NS6detail17trampoline_kernelINS0_13select_configILj256ELj13ELNS0_17block_load_methodE3ELS4_3ELS4_3ELNS0_20block_scan_algorithmE0ELj4294967295EEENS1_25partition_config_selectorILNS1_17partition_subalgoE4EjNS0_10empty_typeEbEEZZNS1_14partition_implILS8_4ELb0ES6_15HIP_vector_typeIjLj2EENS0_17counting_iteratorIjlEEPS9_SG_NS0_5tupleIJPjSI_NS0_16reverse_iteratorISI_EEEEENSH_IJSG_SG_SG_EEES9_SI_JZNS1_25segmented_radix_sort_implINS0_14default_configELb0EPKfPfPKlPlN2at6native12_GLOBAL__N_18offset_tEEE10hipError_tPvRmT1_PNSt15iterator_traitsIS12_E10value_typeET2_T3_PNS13_IS18_E10value_typeET4_jRbjT5_S1E_jjP12ihipStream_tbEUljE_ZNSN_ISO_Lb0ESQ_SR_ST_SU_SY_EESZ_S10_S11_S12_S16_S17_S18_S1B_S1C_jS1D_jS1E_S1E_jjS1G_bEUljE0_EEESZ_S10_S11_S18_S1C_S1E_T6_T7_T9_mT8_S1G_bDpT10_ENKUlT_T0_E_clISt17integral_constantIbLb0EES1U_EEDaS1P_S1Q_EUlS1P_E_NS1_11comp_targetILNS1_3genE2ELNS1_11target_archE906ELNS1_3gpuE6ELNS1_3repE0EEENS1_30default_config_static_selectorELNS0_4arch9wavefront6targetE0EEEvS12_,"axG",@progbits,_ZN7rocprim17ROCPRIM_400000_NS6detail17trampoline_kernelINS0_13select_configILj256ELj13ELNS0_17block_load_methodE3ELS4_3ELS4_3ELNS0_20block_scan_algorithmE0ELj4294967295EEENS1_25partition_config_selectorILNS1_17partition_subalgoE4EjNS0_10empty_typeEbEEZZNS1_14partition_implILS8_4ELb0ES6_15HIP_vector_typeIjLj2EENS0_17counting_iteratorIjlEEPS9_SG_NS0_5tupleIJPjSI_NS0_16reverse_iteratorISI_EEEEENSH_IJSG_SG_SG_EEES9_SI_JZNS1_25segmented_radix_sort_implINS0_14default_configELb0EPKfPfPKlPlN2at6native12_GLOBAL__N_18offset_tEEE10hipError_tPvRmT1_PNSt15iterator_traitsIS12_E10value_typeET2_T3_PNS13_IS18_E10value_typeET4_jRbjT5_S1E_jjP12ihipStream_tbEUljE_ZNSN_ISO_Lb0ESQ_SR_ST_SU_SY_EESZ_S10_S11_S12_S16_S17_S18_S1B_S1C_jS1D_jS1E_S1E_jjS1G_bEUljE0_EEESZ_S10_S11_S18_S1C_S1E_T6_T7_T9_mT8_S1G_bDpT10_ENKUlT_T0_E_clISt17integral_constantIbLb0EES1U_EEDaS1P_S1Q_EUlS1P_E_NS1_11comp_targetILNS1_3genE2ELNS1_11target_archE906ELNS1_3gpuE6ELNS1_3repE0EEENS1_30default_config_static_selectorELNS0_4arch9wavefront6targetE0EEEvS12_,comdat
	.globl	_ZN7rocprim17ROCPRIM_400000_NS6detail17trampoline_kernelINS0_13select_configILj256ELj13ELNS0_17block_load_methodE3ELS4_3ELS4_3ELNS0_20block_scan_algorithmE0ELj4294967295EEENS1_25partition_config_selectorILNS1_17partition_subalgoE4EjNS0_10empty_typeEbEEZZNS1_14partition_implILS8_4ELb0ES6_15HIP_vector_typeIjLj2EENS0_17counting_iteratorIjlEEPS9_SG_NS0_5tupleIJPjSI_NS0_16reverse_iteratorISI_EEEEENSH_IJSG_SG_SG_EEES9_SI_JZNS1_25segmented_radix_sort_implINS0_14default_configELb0EPKfPfPKlPlN2at6native12_GLOBAL__N_18offset_tEEE10hipError_tPvRmT1_PNSt15iterator_traitsIS12_E10value_typeET2_T3_PNS13_IS18_E10value_typeET4_jRbjT5_S1E_jjP12ihipStream_tbEUljE_ZNSN_ISO_Lb0ESQ_SR_ST_SU_SY_EESZ_S10_S11_S12_S16_S17_S18_S1B_S1C_jS1D_jS1E_S1E_jjS1G_bEUljE0_EEESZ_S10_S11_S18_S1C_S1E_T6_T7_T9_mT8_S1G_bDpT10_ENKUlT_T0_E_clISt17integral_constantIbLb0EES1U_EEDaS1P_S1Q_EUlS1P_E_NS1_11comp_targetILNS1_3genE2ELNS1_11target_archE906ELNS1_3gpuE6ELNS1_3repE0EEENS1_30default_config_static_selectorELNS0_4arch9wavefront6targetE0EEEvS12_ ; -- Begin function _ZN7rocprim17ROCPRIM_400000_NS6detail17trampoline_kernelINS0_13select_configILj256ELj13ELNS0_17block_load_methodE3ELS4_3ELS4_3ELNS0_20block_scan_algorithmE0ELj4294967295EEENS1_25partition_config_selectorILNS1_17partition_subalgoE4EjNS0_10empty_typeEbEEZZNS1_14partition_implILS8_4ELb0ES6_15HIP_vector_typeIjLj2EENS0_17counting_iteratorIjlEEPS9_SG_NS0_5tupleIJPjSI_NS0_16reverse_iteratorISI_EEEEENSH_IJSG_SG_SG_EEES9_SI_JZNS1_25segmented_radix_sort_implINS0_14default_configELb0EPKfPfPKlPlN2at6native12_GLOBAL__N_18offset_tEEE10hipError_tPvRmT1_PNSt15iterator_traitsIS12_E10value_typeET2_T3_PNS13_IS18_E10value_typeET4_jRbjT5_S1E_jjP12ihipStream_tbEUljE_ZNSN_ISO_Lb0ESQ_SR_ST_SU_SY_EESZ_S10_S11_S12_S16_S17_S18_S1B_S1C_jS1D_jS1E_S1E_jjS1G_bEUljE0_EEESZ_S10_S11_S18_S1C_S1E_T6_T7_T9_mT8_S1G_bDpT10_ENKUlT_T0_E_clISt17integral_constantIbLb0EES1U_EEDaS1P_S1Q_EUlS1P_E_NS1_11comp_targetILNS1_3genE2ELNS1_11target_archE906ELNS1_3gpuE6ELNS1_3repE0EEENS1_30default_config_static_selectorELNS0_4arch9wavefront6targetE0EEEvS12_
	.p2align	8
	.type	_ZN7rocprim17ROCPRIM_400000_NS6detail17trampoline_kernelINS0_13select_configILj256ELj13ELNS0_17block_load_methodE3ELS4_3ELS4_3ELNS0_20block_scan_algorithmE0ELj4294967295EEENS1_25partition_config_selectorILNS1_17partition_subalgoE4EjNS0_10empty_typeEbEEZZNS1_14partition_implILS8_4ELb0ES6_15HIP_vector_typeIjLj2EENS0_17counting_iteratorIjlEEPS9_SG_NS0_5tupleIJPjSI_NS0_16reverse_iteratorISI_EEEEENSH_IJSG_SG_SG_EEES9_SI_JZNS1_25segmented_radix_sort_implINS0_14default_configELb0EPKfPfPKlPlN2at6native12_GLOBAL__N_18offset_tEEE10hipError_tPvRmT1_PNSt15iterator_traitsIS12_E10value_typeET2_T3_PNS13_IS18_E10value_typeET4_jRbjT5_S1E_jjP12ihipStream_tbEUljE_ZNSN_ISO_Lb0ESQ_SR_ST_SU_SY_EESZ_S10_S11_S12_S16_S17_S18_S1B_S1C_jS1D_jS1E_S1E_jjS1G_bEUljE0_EEESZ_S10_S11_S18_S1C_S1E_T6_T7_T9_mT8_S1G_bDpT10_ENKUlT_T0_E_clISt17integral_constantIbLb0EES1U_EEDaS1P_S1Q_EUlS1P_E_NS1_11comp_targetILNS1_3genE2ELNS1_11target_archE906ELNS1_3gpuE6ELNS1_3repE0EEENS1_30default_config_static_selectorELNS0_4arch9wavefront6targetE0EEEvS12_,@function
_ZN7rocprim17ROCPRIM_400000_NS6detail17trampoline_kernelINS0_13select_configILj256ELj13ELNS0_17block_load_methodE3ELS4_3ELS4_3ELNS0_20block_scan_algorithmE0ELj4294967295EEENS1_25partition_config_selectorILNS1_17partition_subalgoE4EjNS0_10empty_typeEbEEZZNS1_14partition_implILS8_4ELb0ES6_15HIP_vector_typeIjLj2EENS0_17counting_iteratorIjlEEPS9_SG_NS0_5tupleIJPjSI_NS0_16reverse_iteratorISI_EEEEENSH_IJSG_SG_SG_EEES9_SI_JZNS1_25segmented_radix_sort_implINS0_14default_configELb0EPKfPfPKlPlN2at6native12_GLOBAL__N_18offset_tEEE10hipError_tPvRmT1_PNSt15iterator_traitsIS12_E10value_typeET2_T3_PNS13_IS18_E10value_typeET4_jRbjT5_S1E_jjP12ihipStream_tbEUljE_ZNSN_ISO_Lb0ESQ_SR_ST_SU_SY_EESZ_S10_S11_S12_S16_S17_S18_S1B_S1C_jS1D_jS1E_S1E_jjS1G_bEUljE0_EEESZ_S10_S11_S18_S1C_S1E_T6_T7_T9_mT8_S1G_bDpT10_ENKUlT_T0_E_clISt17integral_constantIbLb0EES1U_EEDaS1P_S1Q_EUlS1P_E_NS1_11comp_targetILNS1_3genE2ELNS1_11target_archE906ELNS1_3gpuE6ELNS1_3repE0EEENS1_30default_config_static_selectorELNS0_4arch9wavefront6targetE0EEEvS12_: ; @_ZN7rocprim17ROCPRIM_400000_NS6detail17trampoline_kernelINS0_13select_configILj256ELj13ELNS0_17block_load_methodE3ELS4_3ELS4_3ELNS0_20block_scan_algorithmE0ELj4294967295EEENS1_25partition_config_selectorILNS1_17partition_subalgoE4EjNS0_10empty_typeEbEEZZNS1_14partition_implILS8_4ELb0ES6_15HIP_vector_typeIjLj2EENS0_17counting_iteratorIjlEEPS9_SG_NS0_5tupleIJPjSI_NS0_16reverse_iteratorISI_EEEEENSH_IJSG_SG_SG_EEES9_SI_JZNS1_25segmented_radix_sort_implINS0_14default_configELb0EPKfPfPKlPlN2at6native12_GLOBAL__N_18offset_tEEE10hipError_tPvRmT1_PNSt15iterator_traitsIS12_E10value_typeET2_T3_PNS13_IS18_E10value_typeET4_jRbjT5_S1E_jjP12ihipStream_tbEUljE_ZNSN_ISO_Lb0ESQ_SR_ST_SU_SY_EESZ_S10_S11_S12_S16_S17_S18_S1B_S1C_jS1D_jS1E_S1E_jjS1G_bEUljE0_EEESZ_S10_S11_S18_S1C_S1E_T6_T7_T9_mT8_S1G_bDpT10_ENKUlT_T0_E_clISt17integral_constantIbLb0EES1U_EEDaS1P_S1Q_EUlS1P_E_NS1_11comp_targetILNS1_3genE2ELNS1_11target_archE906ELNS1_3gpuE6ELNS1_3repE0EEENS1_30default_config_static_selectorELNS0_4arch9wavefront6targetE0EEEvS12_
; %bb.0:
	.section	.rodata,"a",@progbits
	.p2align	6, 0x0
	.amdhsa_kernel _ZN7rocprim17ROCPRIM_400000_NS6detail17trampoline_kernelINS0_13select_configILj256ELj13ELNS0_17block_load_methodE3ELS4_3ELS4_3ELNS0_20block_scan_algorithmE0ELj4294967295EEENS1_25partition_config_selectorILNS1_17partition_subalgoE4EjNS0_10empty_typeEbEEZZNS1_14partition_implILS8_4ELb0ES6_15HIP_vector_typeIjLj2EENS0_17counting_iteratorIjlEEPS9_SG_NS0_5tupleIJPjSI_NS0_16reverse_iteratorISI_EEEEENSH_IJSG_SG_SG_EEES9_SI_JZNS1_25segmented_radix_sort_implINS0_14default_configELb0EPKfPfPKlPlN2at6native12_GLOBAL__N_18offset_tEEE10hipError_tPvRmT1_PNSt15iterator_traitsIS12_E10value_typeET2_T3_PNS13_IS18_E10value_typeET4_jRbjT5_S1E_jjP12ihipStream_tbEUljE_ZNSN_ISO_Lb0ESQ_SR_ST_SU_SY_EESZ_S10_S11_S12_S16_S17_S18_S1B_S1C_jS1D_jS1E_S1E_jjS1G_bEUljE0_EEESZ_S10_S11_S18_S1C_S1E_T6_T7_T9_mT8_S1G_bDpT10_ENKUlT_T0_E_clISt17integral_constantIbLb0EES1U_EEDaS1P_S1Q_EUlS1P_E_NS1_11comp_targetILNS1_3genE2ELNS1_11target_archE906ELNS1_3gpuE6ELNS1_3repE0EEENS1_30default_config_static_selectorELNS0_4arch9wavefront6targetE0EEEvS12_
		.amdhsa_group_segment_fixed_size 0
		.amdhsa_private_segment_fixed_size 0
		.amdhsa_kernarg_size 176
		.amdhsa_user_sgpr_count 2
		.amdhsa_user_sgpr_dispatch_ptr 0
		.amdhsa_user_sgpr_queue_ptr 0
		.amdhsa_user_sgpr_kernarg_segment_ptr 1
		.amdhsa_user_sgpr_dispatch_id 0
		.amdhsa_user_sgpr_kernarg_preload_length 0
		.amdhsa_user_sgpr_kernarg_preload_offset 0
		.amdhsa_user_sgpr_private_segment_size 0
		.amdhsa_wavefront_size32 1
		.amdhsa_uses_dynamic_stack 0
		.amdhsa_enable_private_segment 0
		.amdhsa_system_sgpr_workgroup_id_x 1
		.amdhsa_system_sgpr_workgroup_id_y 0
		.amdhsa_system_sgpr_workgroup_id_z 0
		.amdhsa_system_sgpr_workgroup_info 0
		.amdhsa_system_vgpr_workitem_id 0
		.amdhsa_next_free_vgpr 1
		.amdhsa_next_free_sgpr 1
		.amdhsa_named_barrier_count 0
		.amdhsa_reserve_vcc 0
		.amdhsa_float_round_mode_32 0
		.amdhsa_float_round_mode_16_64 0
		.amdhsa_float_denorm_mode_32 3
		.amdhsa_float_denorm_mode_16_64 3
		.amdhsa_fp16_overflow 0
		.amdhsa_memory_ordered 1
		.amdhsa_forward_progress 1
		.amdhsa_inst_pref_size 0
		.amdhsa_round_robin_scheduling 0
		.amdhsa_exception_fp_ieee_invalid_op 0
		.amdhsa_exception_fp_denorm_src 0
		.amdhsa_exception_fp_ieee_div_zero 0
		.amdhsa_exception_fp_ieee_overflow 0
		.amdhsa_exception_fp_ieee_underflow 0
		.amdhsa_exception_fp_ieee_inexact 0
		.amdhsa_exception_int_div_zero 0
	.end_amdhsa_kernel
	.section	.text._ZN7rocprim17ROCPRIM_400000_NS6detail17trampoline_kernelINS0_13select_configILj256ELj13ELNS0_17block_load_methodE3ELS4_3ELS4_3ELNS0_20block_scan_algorithmE0ELj4294967295EEENS1_25partition_config_selectorILNS1_17partition_subalgoE4EjNS0_10empty_typeEbEEZZNS1_14partition_implILS8_4ELb0ES6_15HIP_vector_typeIjLj2EENS0_17counting_iteratorIjlEEPS9_SG_NS0_5tupleIJPjSI_NS0_16reverse_iteratorISI_EEEEENSH_IJSG_SG_SG_EEES9_SI_JZNS1_25segmented_radix_sort_implINS0_14default_configELb0EPKfPfPKlPlN2at6native12_GLOBAL__N_18offset_tEEE10hipError_tPvRmT1_PNSt15iterator_traitsIS12_E10value_typeET2_T3_PNS13_IS18_E10value_typeET4_jRbjT5_S1E_jjP12ihipStream_tbEUljE_ZNSN_ISO_Lb0ESQ_SR_ST_SU_SY_EESZ_S10_S11_S12_S16_S17_S18_S1B_S1C_jS1D_jS1E_S1E_jjS1G_bEUljE0_EEESZ_S10_S11_S18_S1C_S1E_T6_T7_T9_mT8_S1G_bDpT10_ENKUlT_T0_E_clISt17integral_constantIbLb0EES1U_EEDaS1P_S1Q_EUlS1P_E_NS1_11comp_targetILNS1_3genE2ELNS1_11target_archE906ELNS1_3gpuE6ELNS1_3repE0EEENS1_30default_config_static_selectorELNS0_4arch9wavefront6targetE0EEEvS12_,"axG",@progbits,_ZN7rocprim17ROCPRIM_400000_NS6detail17trampoline_kernelINS0_13select_configILj256ELj13ELNS0_17block_load_methodE3ELS4_3ELS4_3ELNS0_20block_scan_algorithmE0ELj4294967295EEENS1_25partition_config_selectorILNS1_17partition_subalgoE4EjNS0_10empty_typeEbEEZZNS1_14partition_implILS8_4ELb0ES6_15HIP_vector_typeIjLj2EENS0_17counting_iteratorIjlEEPS9_SG_NS0_5tupleIJPjSI_NS0_16reverse_iteratorISI_EEEEENSH_IJSG_SG_SG_EEES9_SI_JZNS1_25segmented_radix_sort_implINS0_14default_configELb0EPKfPfPKlPlN2at6native12_GLOBAL__N_18offset_tEEE10hipError_tPvRmT1_PNSt15iterator_traitsIS12_E10value_typeET2_T3_PNS13_IS18_E10value_typeET4_jRbjT5_S1E_jjP12ihipStream_tbEUljE_ZNSN_ISO_Lb0ESQ_SR_ST_SU_SY_EESZ_S10_S11_S12_S16_S17_S18_S1B_S1C_jS1D_jS1E_S1E_jjS1G_bEUljE0_EEESZ_S10_S11_S18_S1C_S1E_T6_T7_T9_mT8_S1G_bDpT10_ENKUlT_T0_E_clISt17integral_constantIbLb0EES1U_EEDaS1P_S1Q_EUlS1P_E_NS1_11comp_targetILNS1_3genE2ELNS1_11target_archE906ELNS1_3gpuE6ELNS1_3repE0EEENS1_30default_config_static_selectorELNS0_4arch9wavefront6targetE0EEEvS12_,comdat
.Lfunc_end1361:
	.size	_ZN7rocprim17ROCPRIM_400000_NS6detail17trampoline_kernelINS0_13select_configILj256ELj13ELNS0_17block_load_methodE3ELS4_3ELS4_3ELNS0_20block_scan_algorithmE0ELj4294967295EEENS1_25partition_config_selectorILNS1_17partition_subalgoE4EjNS0_10empty_typeEbEEZZNS1_14partition_implILS8_4ELb0ES6_15HIP_vector_typeIjLj2EENS0_17counting_iteratorIjlEEPS9_SG_NS0_5tupleIJPjSI_NS0_16reverse_iteratorISI_EEEEENSH_IJSG_SG_SG_EEES9_SI_JZNS1_25segmented_radix_sort_implINS0_14default_configELb0EPKfPfPKlPlN2at6native12_GLOBAL__N_18offset_tEEE10hipError_tPvRmT1_PNSt15iterator_traitsIS12_E10value_typeET2_T3_PNS13_IS18_E10value_typeET4_jRbjT5_S1E_jjP12ihipStream_tbEUljE_ZNSN_ISO_Lb0ESQ_SR_ST_SU_SY_EESZ_S10_S11_S12_S16_S17_S18_S1B_S1C_jS1D_jS1E_S1E_jjS1G_bEUljE0_EEESZ_S10_S11_S18_S1C_S1E_T6_T7_T9_mT8_S1G_bDpT10_ENKUlT_T0_E_clISt17integral_constantIbLb0EES1U_EEDaS1P_S1Q_EUlS1P_E_NS1_11comp_targetILNS1_3genE2ELNS1_11target_archE906ELNS1_3gpuE6ELNS1_3repE0EEENS1_30default_config_static_selectorELNS0_4arch9wavefront6targetE0EEEvS12_, .Lfunc_end1361-_ZN7rocprim17ROCPRIM_400000_NS6detail17trampoline_kernelINS0_13select_configILj256ELj13ELNS0_17block_load_methodE3ELS4_3ELS4_3ELNS0_20block_scan_algorithmE0ELj4294967295EEENS1_25partition_config_selectorILNS1_17partition_subalgoE4EjNS0_10empty_typeEbEEZZNS1_14partition_implILS8_4ELb0ES6_15HIP_vector_typeIjLj2EENS0_17counting_iteratorIjlEEPS9_SG_NS0_5tupleIJPjSI_NS0_16reverse_iteratorISI_EEEEENSH_IJSG_SG_SG_EEES9_SI_JZNS1_25segmented_radix_sort_implINS0_14default_configELb0EPKfPfPKlPlN2at6native12_GLOBAL__N_18offset_tEEE10hipError_tPvRmT1_PNSt15iterator_traitsIS12_E10value_typeET2_T3_PNS13_IS18_E10value_typeET4_jRbjT5_S1E_jjP12ihipStream_tbEUljE_ZNSN_ISO_Lb0ESQ_SR_ST_SU_SY_EESZ_S10_S11_S12_S16_S17_S18_S1B_S1C_jS1D_jS1E_S1E_jjS1G_bEUljE0_EEESZ_S10_S11_S18_S1C_S1E_T6_T7_T9_mT8_S1G_bDpT10_ENKUlT_T0_E_clISt17integral_constantIbLb0EES1U_EEDaS1P_S1Q_EUlS1P_E_NS1_11comp_targetILNS1_3genE2ELNS1_11target_archE906ELNS1_3gpuE6ELNS1_3repE0EEENS1_30default_config_static_selectorELNS0_4arch9wavefront6targetE0EEEvS12_
                                        ; -- End function
	.set _ZN7rocprim17ROCPRIM_400000_NS6detail17trampoline_kernelINS0_13select_configILj256ELj13ELNS0_17block_load_methodE3ELS4_3ELS4_3ELNS0_20block_scan_algorithmE0ELj4294967295EEENS1_25partition_config_selectorILNS1_17partition_subalgoE4EjNS0_10empty_typeEbEEZZNS1_14partition_implILS8_4ELb0ES6_15HIP_vector_typeIjLj2EENS0_17counting_iteratorIjlEEPS9_SG_NS0_5tupleIJPjSI_NS0_16reverse_iteratorISI_EEEEENSH_IJSG_SG_SG_EEES9_SI_JZNS1_25segmented_radix_sort_implINS0_14default_configELb0EPKfPfPKlPlN2at6native12_GLOBAL__N_18offset_tEEE10hipError_tPvRmT1_PNSt15iterator_traitsIS12_E10value_typeET2_T3_PNS13_IS18_E10value_typeET4_jRbjT5_S1E_jjP12ihipStream_tbEUljE_ZNSN_ISO_Lb0ESQ_SR_ST_SU_SY_EESZ_S10_S11_S12_S16_S17_S18_S1B_S1C_jS1D_jS1E_S1E_jjS1G_bEUljE0_EEESZ_S10_S11_S18_S1C_S1E_T6_T7_T9_mT8_S1G_bDpT10_ENKUlT_T0_E_clISt17integral_constantIbLb0EES1U_EEDaS1P_S1Q_EUlS1P_E_NS1_11comp_targetILNS1_3genE2ELNS1_11target_archE906ELNS1_3gpuE6ELNS1_3repE0EEENS1_30default_config_static_selectorELNS0_4arch9wavefront6targetE0EEEvS12_.num_vgpr, 0
	.set _ZN7rocprim17ROCPRIM_400000_NS6detail17trampoline_kernelINS0_13select_configILj256ELj13ELNS0_17block_load_methodE3ELS4_3ELS4_3ELNS0_20block_scan_algorithmE0ELj4294967295EEENS1_25partition_config_selectorILNS1_17partition_subalgoE4EjNS0_10empty_typeEbEEZZNS1_14partition_implILS8_4ELb0ES6_15HIP_vector_typeIjLj2EENS0_17counting_iteratorIjlEEPS9_SG_NS0_5tupleIJPjSI_NS0_16reverse_iteratorISI_EEEEENSH_IJSG_SG_SG_EEES9_SI_JZNS1_25segmented_radix_sort_implINS0_14default_configELb0EPKfPfPKlPlN2at6native12_GLOBAL__N_18offset_tEEE10hipError_tPvRmT1_PNSt15iterator_traitsIS12_E10value_typeET2_T3_PNS13_IS18_E10value_typeET4_jRbjT5_S1E_jjP12ihipStream_tbEUljE_ZNSN_ISO_Lb0ESQ_SR_ST_SU_SY_EESZ_S10_S11_S12_S16_S17_S18_S1B_S1C_jS1D_jS1E_S1E_jjS1G_bEUljE0_EEESZ_S10_S11_S18_S1C_S1E_T6_T7_T9_mT8_S1G_bDpT10_ENKUlT_T0_E_clISt17integral_constantIbLb0EES1U_EEDaS1P_S1Q_EUlS1P_E_NS1_11comp_targetILNS1_3genE2ELNS1_11target_archE906ELNS1_3gpuE6ELNS1_3repE0EEENS1_30default_config_static_selectorELNS0_4arch9wavefront6targetE0EEEvS12_.num_agpr, 0
	.set _ZN7rocprim17ROCPRIM_400000_NS6detail17trampoline_kernelINS0_13select_configILj256ELj13ELNS0_17block_load_methodE3ELS4_3ELS4_3ELNS0_20block_scan_algorithmE0ELj4294967295EEENS1_25partition_config_selectorILNS1_17partition_subalgoE4EjNS0_10empty_typeEbEEZZNS1_14partition_implILS8_4ELb0ES6_15HIP_vector_typeIjLj2EENS0_17counting_iteratorIjlEEPS9_SG_NS0_5tupleIJPjSI_NS0_16reverse_iteratorISI_EEEEENSH_IJSG_SG_SG_EEES9_SI_JZNS1_25segmented_radix_sort_implINS0_14default_configELb0EPKfPfPKlPlN2at6native12_GLOBAL__N_18offset_tEEE10hipError_tPvRmT1_PNSt15iterator_traitsIS12_E10value_typeET2_T3_PNS13_IS18_E10value_typeET4_jRbjT5_S1E_jjP12ihipStream_tbEUljE_ZNSN_ISO_Lb0ESQ_SR_ST_SU_SY_EESZ_S10_S11_S12_S16_S17_S18_S1B_S1C_jS1D_jS1E_S1E_jjS1G_bEUljE0_EEESZ_S10_S11_S18_S1C_S1E_T6_T7_T9_mT8_S1G_bDpT10_ENKUlT_T0_E_clISt17integral_constantIbLb0EES1U_EEDaS1P_S1Q_EUlS1P_E_NS1_11comp_targetILNS1_3genE2ELNS1_11target_archE906ELNS1_3gpuE6ELNS1_3repE0EEENS1_30default_config_static_selectorELNS0_4arch9wavefront6targetE0EEEvS12_.numbered_sgpr, 0
	.set _ZN7rocprim17ROCPRIM_400000_NS6detail17trampoline_kernelINS0_13select_configILj256ELj13ELNS0_17block_load_methodE3ELS4_3ELS4_3ELNS0_20block_scan_algorithmE0ELj4294967295EEENS1_25partition_config_selectorILNS1_17partition_subalgoE4EjNS0_10empty_typeEbEEZZNS1_14partition_implILS8_4ELb0ES6_15HIP_vector_typeIjLj2EENS0_17counting_iteratorIjlEEPS9_SG_NS0_5tupleIJPjSI_NS0_16reverse_iteratorISI_EEEEENSH_IJSG_SG_SG_EEES9_SI_JZNS1_25segmented_radix_sort_implINS0_14default_configELb0EPKfPfPKlPlN2at6native12_GLOBAL__N_18offset_tEEE10hipError_tPvRmT1_PNSt15iterator_traitsIS12_E10value_typeET2_T3_PNS13_IS18_E10value_typeET4_jRbjT5_S1E_jjP12ihipStream_tbEUljE_ZNSN_ISO_Lb0ESQ_SR_ST_SU_SY_EESZ_S10_S11_S12_S16_S17_S18_S1B_S1C_jS1D_jS1E_S1E_jjS1G_bEUljE0_EEESZ_S10_S11_S18_S1C_S1E_T6_T7_T9_mT8_S1G_bDpT10_ENKUlT_T0_E_clISt17integral_constantIbLb0EES1U_EEDaS1P_S1Q_EUlS1P_E_NS1_11comp_targetILNS1_3genE2ELNS1_11target_archE906ELNS1_3gpuE6ELNS1_3repE0EEENS1_30default_config_static_selectorELNS0_4arch9wavefront6targetE0EEEvS12_.num_named_barrier, 0
	.set _ZN7rocprim17ROCPRIM_400000_NS6detail17trampoline_kernelINS0_13select_configILj256ELj13ELNS0_17block_load_methodE3ELS4_3ELS4_3ELNS0_20block_scan_algorithmE0ELj4294967295EEENS1_25partition_config_selectorILNS1_17partition_subalgoE4EjNS0_10empty_typeEbEEZZNS1_14partition_implILS8_4ELb0ES6_15HIP_vector_typeIjLj2EENS0_17counting_iteratorIjlEEPS9_SG_NS0_5tupleIJPjSI_NS0_16reverse_iteratorISI_EEEEENSH_IJSG_SG_SG_EEES9_SI_JZNS1_25segmented_radix_sort_implINS0_14default_configELb0EPKfPfPKlPlN2at6native12_GLOBAL__N_18offset_tEEE10hipError_tPvRmT1_PNSt15iterator_traitsIS12_E10value_typeET2_T3_PNS13_IS18_E10value_typeET4_jRbjT5_S1E_jjP12ihipStream_tbEUljE_ZNSN_ISO_Lb0ESQ_SR_ST_SU_SY_EESZ_S10_S11_S12_S16_S17_S18_S1B_S1C_jS1D_jS1E_S1E_jjS1G_bEUljE0_EEESZ_S10_S11_S18_S1C_S1E_T6_T7_T9_mT8_S1G_bDpT10_ENKUlT_T0_E_clISt17integral_constantIbLb0EES1U_EEDaS1P_S1Q_EUlS1P_E_NS1_11comp_targetILNS1_3genE2ELNS1_11target_archE906ELNS1_3gpuE6ELNS1_3repE0EEENS1_30default_config_static_selectorELNS0_4arch9wavefront6targetE0EEEvS12_.private_seg_size, 0
	.set _ZN7rocprim17ROCPRIM_400000_NS6detail17trampoline_kernelINS0_13select_configILj256ELj13ELNS0_17block_load_methodE3ELS4_3ELS4_3ELNS0_20block_scan_algorithmE0ELj4294967295EEENS1_25partition_config_selectorILNS1_17partition_subalgoE4EjNS0_10empty_typeEbEEZZNS1_14partition_implILS8_4ELb0ES6_15HIP_vector_typeIjLj2EENS0_17counting_iteratorIjlEEPS9_SG_NS0_5tupleIJPjSI_NS0_16reverse_iteratorISI_EEEEENSH_IJSG_SG_SG_EEES9_SI_JZNS1_25segmented_radix_sort_implINS0_14default_configELb0EPKfPfPKlPlN2at6native12_GLOBAL__N_18offset_tEEE10hipError_tPvRmT1_PNSt15iterator_traitsIS12_E10value_typeET2_T3_PNS13_IS18_E10value_typeET4_jRbjT5_S1E_jjP12ihipStream_tbEUljE_ZNSN_ISO_Lb0ESQ_SR_ST_SU_SY_EESZ_S10_S11_S12_S16_S17_S18_S1B_S1C_jS1D_jS1E_S1E_jjS1G_bEUljE0_EEESZ_S10_S11_S18_S1C_S1E_T6_T7_T9_mT8_S1G_bDpT10_ENKUlT_T0_E_clISt17integral_constantIbLb0EES1U_EEDaS1P_S1Q_EUlS1P_E_NS1_11comp_targetILNS1_3genE2ELNS1_11target_archE906ELNS1_3gpuE6ELNS1_3repE0EEENS1_30default_config_static_selectorELNS0_4arch9wavefront6targetE0EEEvS12_.uses_vcc, 0
	.set _ZN7rocprim17ROCPRIM_400000_NS6detail17trampoline_kernelINS0_13select_configILj256ELj13ELNS0_17block_load_methodE3ELS4_3ELS4_3ELNS0_20block_scan_algorithmE0ELj4294967295EEENS1_25partition_config_selectorILNS1_17partition_subalgoE4EjNS0_10empty_typeEbEEZZNS1_14partition_implILS8_4ELb0ES6_15HIP_vector_typeIjLj2EENS0_17counting_iteratorIjlEEPS9_SG_NS0_5tupleIJPjSI_NS0_16reverse_iteratorISI_EEEEENSH_IJSG_SG_SG_EEES9_SI_JZNS1_25segmented_radix_sort_implINS0_14default_configELb0EPKfPfPKlPlN2at6native12_GLOBAL__N_18offset_tEEE10hipError_tPvRmT1_PNSt15iterator_traitsIS12_E10value_typeET2_T3_PNS13_IS18_E10value_typeET4_jRbjT5_S1E_jjP12ihipStream_tbEUljE_ZNSN_ISO_Lb0ESQ_SR_ST_SU_SY_EESZ_S10_S11_S12_S16_S17_S18_S1B_S1C_jS1D_jS1E_S1E_jjS1G_bEUljE0_EEESZ_S10_S11_S18_S1C_S1E_T6_T7_T9_mT8_S1G_bDpT10_ENKUlT_T0_E_clISt17integral_constantIbLb0EES1U_EEDaS1P_S1Q_EUlS1P_E_NS1_11comp_targetILNS1_3genE2ELNS1_11target_archE906ELNS1_3gpuE6ELNS1_3repE0EEENS1_30default_config_static_selectorELNS0_4arch9wavefront6targetE0EEEvS12_.uses_flat_scratch, 0
	.set _ZN7rocprim17ROCPRIM_400000_NS6detail17trampoline_kernelINS0_13select_configILj256ELj13ELNS0_17block_load_methodE3ELS4_3ELS4_3ELNS0_20block_scan_algorithmE0ELj4294967295EEENS1_25partition_config_selectorILNS1_17partition_subalgoE4EjNS0_10empty_typeEbEEZZNS1_14partition_implILS8_4ELb0ES6_15HIP_vector_typeIjLj2EENS0_17counting_iteratorIjlEEPS9_SG_NS0_5tupleIJPjSI_NS0_16reverse_iteratorISI_EEEEENSH_IJSG_SG_SG_EEES9_SI_JZNS1_25segmented_radix_sort_implINS0_14default_configELb0EPKfPfPKlPlN2at6native12_GLOBAL__N_18offset_tEEE10hipError_tPvRmT1_PNSt15iterator_traitsIS12_E10value_typeET2_T3_PNS13_IS18_E10value_typeET4_jRbjT5_S1E_jjP12ihipStream_tbEUljE_ZNSN_ISO_Lb0ESQ_SR_ST_SU_SY_EESZ_S10_S11_S12_S16_S17_S18_S1B_S1C_jS1D_jS1E_S1E_jjS1G_bEUljE0_EEESZ_S10_S11_S18_S1C_S1E_T6_T7_T9_mT8_S1G_bDpT10_ENKUlT_T0_E_clISt17integral_constantIbLb0EES1U_EEDaS1P_S1Q_EUlS1P_E_NS1_11comp_targetILNS1_3genE2ELNS1_11target_archE906ELNS1_3gpuE6ELNS1_3repE0EEENS1_30default_config_static_selectorELNS0_4arch9wavefront6targetE0EEEvS12_.has_dyn_sized_stack, 0
	.set _ZN7rocprim17ROCPRIM_400000_NS6detail17trampoline_kernelINS0_13select_configILj256ELj13ELNS0_17block_load_methodE3ELS4_3ELS4_3ELNS0_20block_scan_algorithmE0ELj4294967295EEENS1_25partition_config_selectorILNS1_17partition_subalgoE4EjNS0_10empty_typeEbEEZZNS1_14partition_implILS8_4ELb0ES6_15HIP_vector_typeIjLj2EENS0_17counting_iteratorIjlEEPS9_SG_NS0_5tupleIJPjSI_NS0_16reverse_iteratorISI_EEEEENSH_IJSG_SG_SG_EEES9_SI_JZNS1_25segmented_radix_sort_implINS0_14default_configELb0EPKfPfPKlPlN2at6native12_GLOBAL__N_18offset_tEEE10hipError_tPvRmT1_PNSt15iterator_traitsIS12_E10value_typeET2_T3_PNS13_IS18_E10value_typeET4_jRbjT5_S1E_jjP12ihipStream_tbEUljE_ZNSN_ISO_Lb0ESQ_SR_ST_SU_SY_EESZ_S10_S11_S12_S16_S17_S18_S1B_S1C_jS1D_jS1E_S1E_jjS1G_bEUljE0_EEESZ_S10_S11_S18_S1C_S1E_T6_T7_T9_mT8_S1G_bDpT10_ENKUlT_T0_E_clISt17integral_constantIbLb0EES1U_EEDaS1P_S1Q_EUlS1P_E_NS1_11comp_targetILNS1_3genE2ELNS1_11target_archE906ELNS1_3gpuE6ELNS1_3repE0EEENS1_30default_config_static_selectorELNS0_4arch9wavefront6targetE0EEEvS12_.has_recursion, 0
	.set _ZN7rocprim17ROCPRIM_400000_NS6detail17trampoline_kernelINS0_13select_configILj256ELj13ELNS0_17block_load_methodE3ELS4_3ELS4_3ELNS0_20block_scan_algorithmE0ELj4294967295EEENS1_25partition_config_selectorILNS1_17partition_subalgoE4EjNS0_10empty_typeEbEEZZNS1_14partition_implILS8_4ELb0ES6_15HIP_vector_typeIjLj2EENS0_17counting_iteratorIjlEEPS9_SG_NS0_5tupleIJPjSI_NS0_16reverse_iteratorISI_EEEEENSH_IJSG_SG_SG_EEES9_SI_JZNS1_25segmented_radix_sort_implINS0_14default_configELb0EPKfPfPKlPlN2at6native12_GLOBAL__N_18offset_tEEE10hipError_tPvRmT1_PNSt15iterator_traitsIS12_E10value_typeET2_T3_PNS13_IS18_E10value_typeET4_jRbjT5_S1E_jjP12ihipStream_tbEUljE_ZNSN_ISO_Lb0ESQ_SR_ST_SU_SY_EESZ_S10_S11_S12_S16_S17_S18_S1B_S1C_jS1D_jS1E_S1E_jjS1G_bEUljE0_EEESZ_S10_S11_S18_S1C_S1E_T6_T7_T9_mT8_S1G_bDpT10_ENKUlT_T0_E_clISt17integral_constantIbLb0EES1U_EEDaS1P_S1Q_EUlS1P_E_NS1_11comp_targetILNS1_3genE2ELNS1_11target_archE906ELNS1_3gpuE6ELNS1_3repE0EEENS1_30default_config_static_selectorELNS0_4arch9wavefront6targetE0EEEvS12_.has_indirect_call, 0
	.section	.AMDGPU.csdata,"",@progbits
; Kernel info:
; codeLenInByte = 0
; TotalNumSgprs: 0
; NumVgprs: 0
; ScratchSize: 0
; MemoryBound: 0
; FloatMode: 240
; IeeeMode: 1
; LDSByteSize: 0 bytes/workgroup (compile time only)
; SGPRBlocks: 0
; VGPRBlocks: 0
; NumSGPRsForWavesPerEU: 1
; NumVGPRsForWavesPerEU: 1
; NamedBarCnt: 0
; Occupancy: 16
; WaveLimiterHint : 0
; COMPUTE_PGM_RSRC2:SCRATCH_EN: 0
; COMPUTE_PGM_RSRC2:USER_SGPR: 2
; COMPUTE_PGM_RSRC2:TRAP_HANDLER: 0
; COMPUTE_PGM_RSRC2:TGID_X_EN: 1
; COMPUTE_PGM_RSRC2:TGID_Y_EN: 0
; COMPUTE_PGM_RSRC2:TGID_Z_EN: 0
; COMPUTE_PGM_RSRC2:TIDIG_COMP_CNT: 0
	.section	.text._ZN7rocprim17ROCPRIM_400000_NS6detail17trampoline_kernelINS0_13select_configILj256ELj13ELNS0_17block_load_methodE3ELS4_3ELS4_3ELNS0_20block_scan_algorithmE0ELj4294967295EEENS1_25partition_config_selectorILNS1_17partition_subalgoE4EjNS0_10empty_typeEbEEZZNS1_14partition_implILS8_4ELb0ES6_15HIP_vector_typeIjLj2EENS0_17counting_iteratorIjlEEPS9_SG_NS0_5tupleIJPjSI_NS0_16reverse_iteratorISI_EEEEENSH_IJSG_SG_SG_EEES9_SI_JZNS1_25segmented_radix_sort_implINS0_14default_configELb0EPKfPfPKlPlN2at6native12_GLOBAL__N_18offset_tEEE10hipError_tPvRmT1_PNSt15iterator_traitsIS12_E10value_typeET2_T3_PNS13_IS18_E10value_typeET4_jRbjT5_S1E_jjP12ihipStream_tbEUljE_ZNSN_ISO_Lb0ESQ_SR_ST_SU_SY_EESZ_S10_S11_S12_S16_S17_S18_S1B_S1C_jS1D_jS1E_S1E_jjS1G_bEUljE0_EEESZ_S10_S11_S18_S1C_S1E_T6_T7_T9_mT8_S1G_bDpT10_ENKUlT_T0_E_clISt17integral_constantIbLb0EES1U_EEDaS1P_S1Q_EUlS1P_E_NS1_11comp_targetILNS1_3genE10ELNS1_11target_archE1200ELNS1_3gpuE4ELNS1_3repE0EEENS1_30default_config_static_selectorELNS0_4arch9wavefront6targetE0EEEvS12_,"axG",@progbits,_ZN7rocprim17ROCPRIM_400000_NS6detail17trampoline_kernelINS0_13select_configILj256ELj13ELNS0_17block_load_methodE3ELS4_3ELS4_3ELNS0_20block_scan_algorithmE0ELj4294967295EEENS1_25partition_config_selectorILNS1_17partition_subalgoE4EjNS0_10empty_typeEbEEZZNS1_14partition_implILS8_4ELb0ES6_15HIP_vector_typeIjLj2EENS0_17counting_iteratorIjlEEPS9_SG_NS0_5tupleIJPjSI_NS0_16reverse_iteratorISI_EEEEENSH_IJSG_SG_SG_EEES9_SI_JZNS1_25segmented_radix_sort_implINS0_14default_configELb0EPKfPfPKlPlN2at6native12_GLOBAL__N_18offset_tEEE10hipError_tPvRmT1_PNSt15iterator_traitsIS12_E10value_typeET2_T3_PNS13_IS18_E10value_typeET4_jRbjT5_S1E_jjP12ihipStream_tbEUljE_ZNSN_ISO_Lb0ESQ_SR_ST_SU_SY_EESZ_S10_S11_S12_S16_S17_S18_S1B_S1C_jS1D_jS1E_S1E_jjS1G_bEUljE0_EEESZ_S10_S11_S18_S1C_S1E_T6_T7_T9_mT8_S1G_bDpT10_ENKUlT_T0_E_clISt17integral_constantIbLb0EES1U_EEDaS1P_S1Q_EUlS1P_E_NS1_11comp_targetILNS1_3genE10ELNS1_11target_archE1200ELNS1_3gpuE4ELNS1_3repE0EEENS1_30default_config_static_selectorELNS0_4arch9wavefront6targetE0EEEvS12_,comdat
	.globl	_ZN7rocprim17ROCPRIM_400000_NS6detail17trampoline_kernelINS0_13select_configILj256ELj13ELNS0_17block_load_methodE3ELS4_3ELS4_3ELNS0_20block_scan_algorithmE0ELj4294967295EEENS1_25partition_config_selectorILNS1_17partition_subalgoE4EjNS0_10empty_typeEbEEZZNS1_14partition_implILS8_4ELb0ES6_15HIP_vector_typeIjLj2EENS0_17counting_iteratorIjlEEPS9_SG_NS0_5tupleIJPjSI_NS0_16reverse_iteratorISI_EEEEENSH_IJSG_SG_SG_EEES9_SI_JZNS1_25segmented_radix_sort_implINS0_14default_configELb0EPKfPfPKlPlN2at6native12_GLOBAL__N_18offset_tEEE10hipError_tPvRmT1_PNSt15iterator_traitsIS12_E10value_typeET2_T3_PNS13_IS18_E10value_typeET4_jRbjT5_S1E_jjP12ihipStream_tbEUljE_ZNSN_ISO_Lb0ESQ_SR_ST_SU_SY_EESZ_S10_S11_S12_S16_S17_S18_S1B_S1C_jS1D_jS1E_S1E_jjS1G_bEUljE0_EEESZ_S10_S11_S18_S1C_S1E_T6_T7_T9_mT8_S1G_bDpT10_ENKUlT_T0_E_clISt17integral_constantIbLb0EES1U_EEDaS1P_S1Q_EUlS1P_E_NS1_11comp_targetILNS1_3genE10ELNS1_11target_archE1200ELNS1_3gpuE4ELNS1_3repE0EEENS1_30default_config_static_selectorELNS0_4arch9wavefront6targetE0EEEvS12_ ; -- Begin function _ZN7rocprim17ROCPRIM_400000_NS6detail17trampoline_kernelINS0_13select_configILj256ELj13ELNS0_17block_load_methodE3ELS4_3ELS4_3ELNS0_20block_scan_algorithmE0ELj4294967295EEENS1_25partition_config_selectorILNS1_17partition_subalgoE4EjNS0_10empty_typeEbEEZZNS1_14partition_implILS8_4ELb0ES6_15HIP_vector_typeIjLj2EENS0_17counting_iteratorIjlEEPS9_SG_NS0_5tupleIJPjSI_NS0_16reverse_iteratorISI_EEEEENSH_IJSG_SG_SG_EEES9_SI_JZNS1_25segmented_radix_sort_implINS0_14default_configELb0EPKfPfPKlPlN2at6native12_GLOBAL__N_18offset_tEEE10hipError_tPvRmT1_PNSt15iterator_traitsIS12_E10value_typeET2_T3_PNS13_IS18_E10value_typeET4_jRbjT5_S1E_jjP12ihipStream_tbEUljE_ZNSN_ISO_Lb0ESQ_SR_ST_SU_SY_EESZ_S10_S11_S12_S16_S17_S18_S1B_S1C_jS1D_jS1E_S1E_jjS1G_bEUljE0_EEESZ_S10_S11_S18_S1C_S1E_T6_T7_T9_mT8_S1G_bDpT10_ENKUlT_T0_E_clISt17integral_constantIbLb0EES1U_EEDaS1P_S1Q_EUlS1P_E_NS1_11comp_targetILNS1_3genE10ELNS1_11target_archE1200ELNS1_3gpuE4ELNS1_3repE0EEENS1_30default_config_static_selectorELNS0_4arch9wavefront6targetE0EEEvS12_
	.p2align	8
	.type	_ZN7rocprim17ROCPRIM_400000_NS6detail17trampoline_kernelINS0_13select_configILj256ELj13ELNS0_17block_load_methodE3ELS4_3ELS4_3ELNS0_20block_scan_algorithmE0ELj4294967295EEENS1_25partition_config_selectorILNS1_17partition_subalgoE4EjNS0_10empty_typeEbEEZZNS1_14partition_implILS8_4ELb0ES6_15HIP_vector_typeIjLj2EENS0_17counting_iteratorIjlEEPS9_SG_NS0_5tupleIJPjSI_NS0_16reverse_iteratorISI_EEEEENSH_IJSG_SG_SG_EEES9_SI_JZNS1_25segmented_radix_sort_implINS0_14default_configELb0EPKfPfPKlPlN2at6native12_GLOBAL__N_18offset_tEEE10hipError_tPvRmT1_PNSt15iterator_traitsIS12_E10value_typeET2_T3_PNS13_IS18_E10value_typeET4_jRbjT5_S1E_jjP12ihipStream_tbEUljE_ZNSN_ISO_Lb0ESQ_SR_ST_SU_SY_EESZ_S10_S11_S12_S16_S17_S18_S1B_S1C_jS1D_jS1E_S1E_jjS1G_bEUljE0_EEESZ_S10_S11_S18_S1C_S1E_T6_T7_T9_mT8_S1G_bDpT10_ENKUlT_T0_E_clISt17integral_constantIbLb0EES1U_EEDaS1P_S1Q_EUlS1P_E_NS1_11comp_targetILNS1_3genE10ELNS1_11target_archE1200ELNS1_3gpuE4ELNS1_3repE0EEENS1_30default_config_static_selectorELNS0_4arch9wavefront6targetE0EEEvS12_,@function
_ZN7rocprim17ROCPRIM_400000_NS6detail17trampoline_kernelINS0_13select_configILj256ELj13ELNS0_17block_load_methodE3ELS4_3ELS4_3ELNS0_20block_scan_algorithmE0ELj4294967295EEENS1_25partition_config_selectorILNS1_17partition_subalgoE4EjNS0_10empty_typeEbEEZZNS1_14partition_implILS8_4ELb0ES6_15HIP_vector_typeIjLj2EENS0_17counting_iteratorIjlEEPS9_SG_NS0_5tupleIJPjSI_NS0_16reverse_iteratorISI_EEEEENSH_IJSG_SG_SG_EEES9_SI_JZNS1_25segmented_radix_sort_implINS0_14default_configELb0EPKfPfPKlPlN2at6native12_GLOBAL__N_18offset_tEEE10hipError_tPvRmT1_PNSt15iterator_traitsIS12_E10value_typeET2_T3_PNS13_IS18_E10value_typeET4_jRbjT5_S1E_jjP12ihipStream_tbEUljE_ZNSN_ISO_Lb0ESQ_SR_ST_SU_SY_EESZ_S10_S11_S12_S16_S17_S18_S1B_S1C_jS1D_jS1E_S1E_jjS1G_bEUljE0_EEESZ_S10_S11_S18_S1C_S1E_T6_T7_T9_mT8_S1G_bDpT10_ENKUlT_T0_E_clISt17integral_constantIbLb0EES1U_EEDaS1P_S1Q_EUlS1P_E_NS1_11comp_targetILNS1_3genE10ELNS1_11target_archE1200ELNS1_3gpuE4ELNS1_3repE0EEENS1_30default_config_static_selectorELNS0_4arch9wavefront6targetE0EEEvS12_: ; @_ZN7rocprim17ROCPRIM_400000_NS6detail17trampoline_kernelINS0_13select_configILj256ELj13ELNS0_17block_load_methodE3ELS4_3ELS4_3ELNS0_20block_scan_algorithmE0ELj4294967295EEENS1_25partition_config_selectorILNS1_17partition_subalgoE4EjNS0_10empty_typeEbEEZZNS1_14partition_implILS8_4ELb0ES6_15HIP_vector_typeIjLj2EENS0_17counting_iteratorIjlEEPS9_SG_NS0_5tupleIJPjSI_NS0_16reverse_iteratorISI_EEEEENSH_IJSG_SG_SG_EEES9_SI_JZNS1_25segmented_radix_sort_implINS0_14default_configELb0EPKfPfPKlPlN2at6native12_GLOBAL__N_18offset_tEEE10hipError_tPvRmT1_PNSt15iterator_traitsIS12_E10value_typeET2_T3_PNS13_IS18_E10value_typeET4_jRbjT5_S1E_jjP12ihipStream_tbEUljE_ZNSN_ISO_Lb0ESQ_SR_ST_SU_SY_EESZ_S10_S11_S12_S16_S17_S18_S1B_S1C_jS1D_jS1E_S1E_jjS1G_bEUljE0_EEESZ_S10_S11_S18_S1C_S1E_T6_T7_T9_mT8_S1G_bDpT10_ENKUlT_T0_E_clISt17integral_constantIbLb0EES1U_EEDaS1P_S1Q_EUlS1P_E_NS1_11comp_targetILNS1_3genE10ELNS1_11target_archE1200ELNS1_3gpuE4ELNS1_3repE0EEENS1_30default_config_static_selectorELNS0_4arch9wavefront6targetE0EEEvS12_
; %bb.0:
	.section	.rodata,"a",@progbits
	.p2align	6, 0x0
	.amdhsa_kernel _ZN7rocprim17ROCPRIM_400000_NS6detail17trampoline_kernelINS0_13select_configILj256ELj13ELNS0_17block_load_methodE3ELS4_3ELS4_3ELNS0_20block_scan_algorithmE0ELj4294967295EEENS1_25partition_config_selectorILNS1_17partition_subalgoE4EjNS0_10empty_typeEbEEZZNS1_14partition_implILS8_4ELb0ES6_15HIP_vector_typeIjLj2EENS0_17counting_iteratorIjlEEPS9_SG_NS0_5tupleIJPjSI_NS0_16reverse_iteratorISI_EEEEENSH_IJSG_SG_SG_EEES9_SI_JZNS1_25segmented_radix_sort_implINS0_14default_configELb0EPKfPfPKlPlN2at6native12_GLOBAL__N_18offset_tEEE10hipError_tPvRmT1_PNSt15iterator_traitsIS12_E10value_typeET2_T3_PNS13_IS18_E10value_typeET4_jRbjT5_S1E_jjP12ihipStream_tbEUljE_ZNSN_ISO_Lb0ESQ_SR_ST_SU_SY_EESZ_S10_S11_S12_S16_S17_S18_S1B_S1C_jS1D_jS1E_S1E_jjS1G_bEUljE0_EEESZ_S10_S11_S18_S1C_S1E_T6_T7_T9_mT8_S1G_bDpT10_ENKUlT_T0_E_clISt17integral_constantIbLb0EES1U_EEDaS1P_S1Q_EUlS1P_E_NS1_11comp_targetILNS1_3genE10ELNS1_11target_archE1200ELNS1_3gpuE4ELNS1_3repE0EEENS1_30default_config_static_selectorELNS0_4arch9wavefront6targetE0EEEvS12_
		.amdhsa_group_segment_fixed_size 0
		.amdhsa_private_segment_fixed_size 0
		.amdhsa_kernarg_size 176
		.amdhsa_user_sgpr_count 2
		.amdhsa_user_sgpr_dispatch_ptr 0
		.amdhsa_user_sgpr_queue_ptr 0
		.amdhsa_user_sgpr_kernarg_segment_ptr 1
		.amdhsa_user_sgpr_dispatch_id 0
		.amdhsa_user_sgpr_kernarg_preload_length 0
		.amdhsa_user_sgpr_kernarg_preload_offset 0
		.amdhsa_user_sgpr_private_segment_size 0
		.amdhsa_wavefront_size32 1
		.amdhsa_uses_dynamic_stack 0
		.amdhsa_enable_private_segment 0
		.amdhsa_system_sgpr_workgroup_id_x 1
		.amdhsa_system_sgpr_workgroup_id_y 0
		.amdhsa_system_sgpr_workgroup_id_z 0
		.amdhsa_system_sgpr_workgroup_info 0
		.amdhsa_system_vgpr_workitem_id 0
		.amdhsa_next_free_vgpr 1
		.amdhsa_next_free_sgpr 1
		.amdhsa_named_barrier_count 0
		.amdhsa_reserve_vcc 0
		.amdhsa_float_round_mode_32 0
		.amdhsa_float_round_mode_16_64 0
		.amdhsa_float_denorm_mode_32 3
		.amdhsa_float_denorm_mode_16_64 3
		.amdhsa_fp16_overflow 0
		.amdhsa_memory_ordered 1
		.amdhsa_forward_progress 1
		.amdhsa_inst_pref_size 0
		.amdhsa_round_robin_scheduling 0
		.amdhsa_exception_fp_ieee_invalid_op 0
		.amdhsa_exception_fp_denorm_src 0
		.amdhsa_exception_fp_ieee_div_zero 0
		.amdhsa_exception_fp_ieee_overflow 0
		.amdhsa_exception_fp_ieee_underflow 0
		.amdhsa_exception_fp_ieee_inexact 0
		.amdhsa_exception_int_div_zero 0
	.end_amdhsa_kernel
	.section	.text._ZN7rocprim17ROCPRIM_400000_NS6detail17trampoline_kernelINS0_13select_configILj256ELj13ELNS0_17block_load_methodE3ELS4_3ELS4_3ELNS0_20block_scan_algorithmE0ELj4294967295EEENS1_25partition_config_selectorILNS1_17partition_subalgoE4EjNS0_10empty_typeEbEEZZNS1_14partition_implILS8_4ELb0ES6_15HIP_vector_typeIjLj2EENS0_17counting_iteratorIjlEEPS9_SG_NS0_5tupleIJPjSI_NS0_16reverse_iteratorISI_EEEEENSH_IJSG_SG_SG_EEES9_SI_JZNS1_25segmented_radix_sort_implINS0_14default_configELb0EPKfPfPKlPlN2at6native12_GLOBAL__N_18offset_tEEE10hipError_tPvRmT1_PNSt15iterator_traitsIS12_E10value_typeET2_T3_PNS13_IS18_E10value_typeET4_jRbjT5_S1E_jjP12ihipStream_tbEUljE_ZNSN_ISO_Lb0ESQ_SR_ST_SU_SY_EESZ_S10_S11_S12_S16_S17_S18_S1B_S1C_jS1D_jS1E_S1E_jjS1G_bEUljE0_EEESZ_S10_S11_S18_S1C_S1E_T6_T7_T9_mT8_S1G_bDpT10_ENKUlT_T0_E_clISt17integral_constantIbLb0EES1U_EEDaS1P_S1Q_EUlS1P_E_NS1_11comp_targetILNS1_3genE10ELNS1_11target_archE1200ELNS1_3gpuE4ELNS1_3repE0EEENS1_30default_config_static_selectorELNS0_4arch9wavefront6targetE0EEEvS12_,"axG",@progbits,_ZN7rocprim17ROCPRIM_400000_NS6detail17trampoline_kernelINS0_13select_configILj256ELj13ELNS0_17block_load_methodE3ELS4_3ELS4_3ELNS0_20block_scan_algorithmE0ELj4294967295EEENS1_25partition_config_selectorILNS1_17partition_subalgoE4EjNS0_10empty_typeEbEEZZNS1_14partition_implILS8_4ELb0ES6_15HIP_vector_typeIjLj2EENS0_17counting_iteratorIjlEEPS9_SG_NS0_5tupleIJPjSI_NS0_16reverse_iteratorISI_EEEEENSH_IJSG_SG_SG_EEES9_SI_JZNS1_25segmented_radix_sort_implINS0_14default_configELb0EPKfPfPKlPlN2at6native12_GLOBAL__N_18offset_tEEE10hipError_tPvRmT1_PNSt15iterator_traitsIS12_E10value_typeET2_T3_PNS13_IS18_E10value_typeET4_jRbjT5_S1E_jjP12ihipStream_tbEUljE_ZNSN_ISO_Lb0ESQ_SR_ST_SU_SY_EESZ_S10_S11_S12_S16_S17_S18_S1B_S1C_jS1D_jS1E_S1E_jjS1G_bEUljE0_EEESZ_S10_S11_S18_S1C_S1E_T6_T7_T9_mT8_S1G_bDpT10_ENKUlT_T0_E_clISt17integral_constantIbLb0EES1U_EEDaS1P_S1Q_EUlS1P_E_NS1_11comp_targetILNS1_3genE10ELNS1_11target_archE1200ELNS1_3gpuE4ELNS1_3repE0EEENS1_30default_config_static_selectorELNS0_4arch9wavefront6targetE0EEEvS12_,comdat
.Lfunc_end1362:
	.size	_ZN7rocprim17ROCPRIM_400000_NS6detail17trampoline_kernelINS0_13select_configILj256ELj13ELNS0_17block_load_methodE3ELS4_3ELS4_3ELNS0_20block_scan_algorithmE0ELj4294967295EEENS1_25partition_config_selectorILNS1_17partition_subalgoE4EjNS0_10empty_typeEbEEZZNS1_14partition_implILS8_4ELb0ES6_15HIP_vector_typeIjLj2EENS0_17counting_iteratorIjlEEPS9_SG_NS0_5tupleIJPjSI_NS0_16reverse_iteratorISI_EEEEENSH_IJSG_SG_SG_EEES9_SI_JZNS1_25segmented_radix_sort_implINS0_14default_configELb0EPKfPfPKlPlN2at6native12_GLOBAL__N_18offset_tEEE10hipError_tPvRmT1_PNSt15iterator_traitsIS12_E10value_typeET2_T3_PNS13_IS18_E10value_typeET4_jRbjT5_S1E_jjP12ihipStream_tbEUljE_ZNSN_ISO_Lb0ESQ_SR_ST_SU_SY_EESZ_S10_S11_S12_S16_S17_S18_S1B_S1C_jS1D_jS1E_S1E_jjS1G_bEUljE0_EEESZ_S10_S11_S18_S1C_S1E_T6_T7_T9_mT8_S1G_bDpT10_ENKUlT_T0_E_clISt17integral_constantIbLb0EES1U_EEDaS1P_S1Q_EUlS1P_E_NS1_11comp_targetILNS1_3genE10ELNS1_11target_archE1200ELNS1_3gpuE4ELNS1_3repE0EEENS1_30default_config_static_selectorELNS0_4arch9wavefront6targetE0EEEvS12_, .Lfunc_end1362-_ZN7rocprim17ROCPRIM_400000_NS6detail17trampoline_kernelINS0_13select_configILj256ELj13ELNS0_17block_load_methodE3ELS4_3ELS4_3ELNS0_20block_scan_algorithmE0ELj4294967295EEENS1_25partition_config_selectorILNS1_17partition_subalgoE4EjNS0_10empty_typeEbEEZZNS1_14partition_implILS8_4ELb0ES6_15HIP_vector_typeIjLj2EENS0_17counting_iteratorIjlEEPS9_SG_NS0_5tupleIJPjSI_NS0_16reverse_iteratorISI_EEEEENSH_IJSG_SG_SG_EEES9_SI_JZNS1_25segmented_radix_sort_implINS0_14default_configELb0EPKfPfPKlPlN2at6native12_GLOBAL__N_18offset_tEEE10hipError_tPvRmT1_PNSt15iterator_traitsIS12_E10value_typeET2_T3_PNS13_IS18_E10value_typeET4_jRbjT5_S1E_jjP12ihipStream_tbEUljE_ZNSN_ISO_Lb0ESQ_SR_ST_SU_SY_EESZ_S10_S11_S12_S16_S17_S18_S1B_S1C_jS1D_jS1E_S1E_jjS1G_bEUljE0_EEESZ_S10_S11_S18_S1C_S1E_T6_T7_T9_mT8_S1G_bDpT10_ENKUlT_T0_E_clISt17integral_constantIbLb0EES1U_EEDaS1P_S1Q_EUlS1P_E_NS1_11comp_targetILNS1_3genE10ELNS1_11target_archE1200ELNS1_3gpuE4ELNS1_3repE0EEENS1_30default_config_static_selectorELNS0_4arch9wavefront6targetE0EEEvS12_
                                        ; -- End function
	.set _ZN7rocprim17ROCPRIM_400000_NS6detail17trampoline_kernelINS0_13select_configILj256ELj13ELNS0_17block_load_methodE3ELS4_3ELS4_3ELNS0_20block_scan_algorithmE0ELj4294967295EEENS1_25partition_config_selectorILNS1_17partition_subalgoE4EjNS0_10empty_typeEbEEZZNS1_14partition_implILS8_4ELb0ES6_15HIP_vector_typeIjLj2EENS0_17counting_iteratorIjlEEPS9_SG_NS0_5tupleIJPjSI_NS0_16reverse_iteratorISI_EEEEENSH_IJSG_SG_SG_EEES9_SI_JZNS1_25segmented_radix_sort_implINS0_14default_configELb0EPKfPfPKlPlN2at6native12_GLOBAL__N_18offset_tEEE10hipError_tPvRmT1_PNSt15iterator_traitsIS12_E10value_typeET2_T3_PNS13_IS18_E10value_typeET4_jRbjT5_S1E_jjP12ihipStream_tbEUljE_ZNSN_ISO_Lb0ESQ_SR_ST_SU_SY_EESZ_S10_S11_S12_S16_S17_S18_S1B_S1C_jS1D_jS1E_S1E_jjS1G_bEUljE0_EEESZ_S10_S11_S18_S1C_S1E_T6_T7_T9_mT8_S1G_bDpT10_ENKUlT_T0_E_clISt17integral_constantIbLb0EES1U_EEDaS1P_S1Q_EUlS1P_E_NS1_11comp_targetILNS1_3genE10ELNS1_11target_archE1200ELNS1_3gpuE4ELNS1_3repE0EEENS1_30default_config_static_selectorELNS0_4arch9wavefront6targetE0EEEvS12_.num_vgpr, 0
	.set _ZN7rocprim17ROCPRIM_400000_NS6detail17trampoline_kernelINS0_13select_configILj256ELj13ELNS0_17block_load_methodE3ELS4_3ELS4_3ELNS0_20block_scan_algorithmE0ELj4294967295EEENS1_25partition_config_selectorILNS1_17partition_subalgoE4EjNS0_10empty_typeEbEEZZNS1_14partition_implILS8_4ELb0ES6_15HIP_vector_typeIjLj2EENS0_17counting_iteratorIjlEEPS9_SG_NS0_5tupleIJPjSI_NS0_16reverse_iteratorISI_EEEEENSH_IJSG_SG_SG_EEES9_SI_JZNS1_25segmented_radix_sort_implINS0_14default_configELb0EPKfPfPKlPlN2at6native12_GLOBAL__N_18offset_tEEE10hipError_tPvRmT1_PNSt15iterator_traitsIS12_E10value_typeET2_T3_PNS13_IS18_E10value_typeET4_jRbjT5_S1E_jjP12ihipStream_tbEUljE_ZNSN_ISO_Lb0ESQ_SR_ST_SU_SY_EESZ_S10_S11_S12_S16_S17_S18_S1B_S1C_jS1D_jS1E_S1E_jjS1G_bEUljE0_EEESZ_S10_S11_S18_S1C_S1E_T6_T7_T9_mT8_S1G_bDpT10_ENKUlT_T0_E_clISt17integral_constantIbLb0EES1U_EEDaS1P_S1Q_EUlS1P_E_NS1_11comp_targetILNS1_3genE10ELNS1_11target_archE1200ELNS1_3gpuE4ELNS1_3repE0EEENS1_30default_config_static_selectorELNS0_4arch9wavefront6targetE0EEEvS12_.num_agpr, 0
	.set _ZN7rocprim17ROCPRIM_400000_NS6detail17trampoline_kernelINS0_13select_configILj256ELj13ELNS0_17block_load_methodE3ELS4_3ELS4_3ELNS0_20block_scan_algorithmE0ELj4294967295EEENS1_25partition_config_selectorILNS1_17partition_subalgoE4EjNS0_10empty_typeEbEEZZNS1_14partition_implILS8_4ELb0ES6_15HIP_vector_typeIjLj2EENS0_17counting_iteratorIjlEEPS9_SG_NS0_5tupleIJPjSI_NS0_16reverse_iteratorISI_EEEEENSH_IJSG_SG_SG_EEES9_SI_JZNS1_25segmented_radix_sort_implINS0_14default_configELb0EPKfPfPKlPlN2at6native12_GLOBAL__N_18offset_tEEE10hipError_tPvRmT1_PNSt15iterator_traitsIS12_E10value_typeET2_T3_PNS13_IS18_E10value_typeET4_jRbjT5_S1E_jjP12ihipStream_tbEUljE_ZNSN_ISO_Lb0ESQ_SR_ST_SU_SY_EESZ_S10_S11_S12_S16_S17_S18_S1B_S1C_jS1D_jS1E_S1E_jjS1G_bEUljE0_EEESZ_S10_S11_S18_S1C_S1E_T6_T7_T9_mT8_S1G_bDpT10_ENKUlT_T0_E_clISt17integral_constantIbLb0EES1U_EEDaS1P_S1Q_EUlS1P_E_NS1_11comp_targetILNS1_3genE10ELNS1_11target_archE1200ELNS1_3gpuE4ELNS1_3repE0EEENS1_30default_config_static_selectorELNS0_4arch9wavefront6targetE0EEEvS12_.numbered_sgpr, 0
	.set _ZN7rocprim17ROCPRIM_400000_NS6detail17trampoline_kernelINS0_13select_configILj256ELj13ELNS0_17block_load_methodE3ELS4_3ELS4_3ELNS0_20block_scan_algorithmE0ELj4294967295EEENS1_25partition_config_selectorILNS1_17partition_subalgoE4EjNS0_10empty_typeEbEEZZNS1_14partition_implILS8_4ELb0ES6_15HIP_vector_typeIjLj2EENS0_17counting_iteratorIjlEEPS9_SG_NS0_5tupleIJPjSI_NS0_16reverse_iteratorISI_EEEEENSH_IJSG_SG_SG_EEES9_SI_JZNS1_25segmented_radix_sort_implINS0_14default_configELb0EPKfPfPKlPlN2at6native12_GLOBAL__N_18offset_tEEE10hipError_tPvRmT1_PNSt15iterator_traitsIS12_E10value_typeET2_T3_PNS13_IS18_E10value_typeET4_jRbjT5_S1E_jjP12ihipStream_tbEUljE_ZNSN_ISO_Lb0ESQ_SR_ST_SU_SY_EESZ_S10_S11_S12_S16_S17_S18_S1B_S1C_jS1D_jS1E_S1E_jjS1G_bEUljE0_EEESZ_S10_S11_S18_S1C_S1E_T6_T7_T9_mT8_S1G_bDpT10_ENKUlT_T0_E_clISt17integral_constantIbLb0EES1U_EEDaS1P_S1Q_EUlS1P_E_NS1_11comp_targetILNS1_3genE10ELNS1_11target_archE1200ELNS1_3gpuE4ELNS1_3repE0EEENS1_30default_config_static_selectorELNS0_4arch9wavefront6targetE0EEEvS12_.num_named_barrier, 0
	.set _ZN7rocprim17ROCPRIM_400000_NS6detail17trampoline_kernelINS0_13select_configILj256ELj13ELNS0_17block_load_methodE3ELS4_3ELS4_3ELNS0_20block_scan_algorithmE0ELj4294967295EEENS1_25partition_config_selectorILNS1_17partition_subalgoE4EjNS0_10empty_typeEbEEZZNS1_14partition_implILS8_4ELb0ES6_15HIP_vector_typeIjLj2EENS0_17counting_iteratorIjlEEPS9_SG_NS0_5tupleIJPjSI_NS0_16reverse_iteratorISI_EEEEENSH_IJSG_SG_SG_EEES9_SI_JZNS1_25segmented_radix_sort_implINS0_14default_configELb0EPKfPfPKlPlN2at6native12_GLOBAL__N_18offset_tEEE10hipError_tPvRmT1_PNSt15iterator_traitsIS12_E10value_typeET2_T3_PNS13_IS18_E10value_typeET4_jRbjT5_S1E_jjP12ihipStream_tbEUljE_ZNSN_ISO_Lb0ESQ_SR_ST_SU_SY_EESZ_S10_S11_S12_S16_S17_S18_S1B_S1C_jS1D_jS1E_S1E_jjS1G_bEUljE0_EEESZ_S10_S11_S18_S1C_S1E_T6_T7_T9_mT8_S1G_bDpT10_ENKUlT_T0_E_clISt17integral_constantIbLb0EES1U_EEDaS1P_S1Q_EUlS1P_E_NS1_11comp_targetILNS1_3genE10ELNS1_11target_archE1200ELNS1_3gpuE4ELNS1_3repE0EEENS1_30default_config_static_selectorELNS0_4arch9wavefront6targetE0EEEvS12_.private_seg_size, 0
	.set _ZN7rocprim17ROCPRIM_400000_NS6detail17trampoline_kernelINS0_13select_configILj256ELj13ELNS0_17block_load_methodE3ELS4_3ELS4_3ELNS0_20block_scan_algorithmE0ELj4294967295EEENS1_25partition_config_selectorILNS1_17partition_subalgoE4EjNS0_10empty_typeEbEEZZNS1_14partition_implILS8_4ELb0ES6_15HIP_vector_typeIjLj2EENS0_17counting_iteratorIjlEEPS9_SG_NS0_5tupleIJPjSI_NS0_16reverse_iteratorISI_EEEEENSH_IJSG_SG_SG_EEES9_SI_JZNS1_25segmented_radix_sort_implINS0_14default_configELb0EPKfPfPKlPlN2at6native12_GLOBAL__N_18offset_tEEE10hipError_tPvRmT1_PNSt15iterator_traitsIS12_E10value_typeET2_T3_PNS13_IS18_E10value_typeET4_jRbjT5_S1E_jjP12ihipStream_tbEUljE_ZNSN_ISO_Lb0ESQ_SR_ST_SU_SY_EESZ_S10_S11_S12_S16_S17_S18_S1B_S1C_jS1D_jS1E_S1E_jjS1G_bEUljE0_EEESZ_S10_S11_S18_S1C_S1E_T6_T7_T9_mT8_S1G_bDpT10_ENKUlT_T0_E_clISt17integral_constantIbLb0EES1U_EEDaS1P_S1Q_EUlS1P_E_NS1_11comp_targetILNS1_3genE10ELNS1_11target_archE1200ELNS1_3gpuE4ELNS1_3repE0EEENS1_30default_config_static_selectorELNS0_4arch9wavefront6targetE0EEEvS12_.uses_vcc, 0
	.set _ZN7rocprim17ROCPRIM_400000_NS6detail17trampoline_kernelINS0_13select_configILj256ELj13ELNS0_17block_load_methodE3ELS4_3ELS4_3ELNS0_20block_scan_algorithmE0ELj4294967295EEENS1_25partition_config_selectorILNS1_17partition_subalgoE4EjNS0_10empty_typeEbEEZZNS1_14partition_implILS8_4ELb0ES6_15HIP_vector_typeIjLj2EENS0_17counting_iteratorIjlEEPS9_SG_NS0_5tupleIJPjSI_NS0_16reverse_iteratorISI_EEEEENSH_IJSG_SG_SG_EEES9_SI_JZNS1_25segmented_radix_sort_implINS0_14default_configELb0EPKfPfPKlPlN2at6native12_GLOBAL__N_18offset_tEEE10hipError_tPvRmT1_PNSt15iterator_traitsIS12_E10value_typeET2_T3_PNS13_IS18_E10value_typeET4_jRbjT5_S1E_jjP12ihipStream_tbEUljE_ZNSN_ISO_Lb0ESQ_SR_ST_SU_SY_EESZ_S10_S11_S12_S16_S17_S18_S1B_S1C_jS1D_jS1E_S1E_jjS1G_bEUljE0_EEESZ_S10_S11_S18_S1C_S1E_T6_T7_T9_mT8_S1G_bDpT10_ENKUlT_T0_E_clISt17integral_constantIbLb0EES1U_EEDaS1P_S1Q_EUlS1P_E_NS1_11comp_targetILNS1_3genE10ELNS1_11target_archE1200ELNS1_3gpuE4ELNS1_3repE0EEENS1_30default_config_static_selectorELNS0_4arch9wavefront6targetE0EEEvS12_.uses_flat_scratch, 0
	.set _ZN7rocprim17ROCPRIM_400000_NS6detail17trampoline_kernelINS0_13select_configILj256ELj13ELNS0_17block_load_methodE3ELS4_3ELS4_3ELNS0_20block_scan_algorithmE0ELj4294967295EEENS1_25partition_config_selectorILNS1_17partition_subalgoE4EjNS0_10empty_typeEbEEZZNS1_14partition_implILS8_4ELb0ES6_15HIP_vector_typeIjLj2EENS0_17counting_iteratorIjlEEPS9_SG_NS0_5tupleIJPjSI_NS0_16reverse_iteratorISI_EEEEENSH_IJSG_SG_SG_EEES9_SI_JZNS1_25segmented_radix_sort_implINS0_14default_configELb0EPKfPfPKlPlN2at6native12_GLOBAL__N_18offset_tEEE10hipError_tPvRmT1_PNSt15iterator_traitsIS12_E10value_typeET2_T3_PNS13_IS18_E10value_typeET4_jRbjT5_S1E_jjP12ihipStream_tbEUljE_ZNSN_ISO_Lb0ESQ_SR_ST_SU_SY_EESZ_S10_S11_S12_S16_S17_S18_S1B_S1C_jS1D_jS1E_S1E_jjS1G_bEUljE0_EEESZ_S10_S11_S18_S1C_S1E_T6_T7_T9_mT8_S1G_bDpT10_ENKUlT_T0_E_clISt17integral_constantIbLb0EES1U_EEDaS1P_S1Q_EUlS1P_E_NS1_11comp_targetILNS1_3genE10ELNS1_11target_archE1200ELNS1_3gpuE4ELNS1_3repE0EEENS1_30default_config_static_selectorELNS0_4arch9wavefront6targetE0EEEvS12_.has_dyn_sized_stack, 0
	.set _ZN7rocprim17ROCPRIM_400000_NS6detail17trampoline_kernelINS0_13select_configILj256ELj13ELNS0_17block_load_methodE3ELS4_3ELS4_3ELNS0_20block_scan_algorithmE0ELj4294967295EEENS1_25partition_config_selectorILNS1_17partition_subalgoE4EjNS0_10empty_typeEbEEZZNS1_14partition_implILS8_4ELb0ES6_15HIP_vector_typeIjLj2EENS0_17counting_iteratorIjlEEPS9_SG_NS0_5tupleIJPjSI_NS0_16reverse_iteratorISI_EEEEENSH_IJSG_SG_SG_EEES9_SI_JZNS1_25segmented_radix_sort_implINS0_14default_configELb0EPKfPfPKlPlN2at6native12_GLOBAL__N_18offset_tEEE10hipError_tPvRmT1_PNSt15iterator_traitsIS12_E10value_typeET2_T3_PNS13_IS18_E10value_typeET4_jRbjT5_S1E_jjP12ihipStream_tbEUljE_ZNSN_ISO_Lb0ESQ_SR_ST_SU_SY_EESZ_S10_S11_S12_S16_S17_S18_S1B_S1C_jS1D_jS1E_S1E_jjS1G_bEUljE0_EEESZ_S10_S11_S18_S1C_S1E_T6_T7_T9_mT8_S1G_bDpT10_ENKUlT_T0_E_clISt17integral_constantIbLb0EES1U_EEDaS1P_S1Q_EUlS1P_E_NS1_11comp_targetILNS1_3genE10ELNS1_11target_archE1200ELNS1_3gpuE4ELNS1_3repE0EEENS1_30default_config_static_selectorELNS0_4arch9wavefront6targetE0EEEvS12_.has_recursion, 0
	.set _ZN7rocprim17ROCPRIM_400000_NS6detail17trampoline_kernelINS0_13select_configILj256ELj13ELNS0_17block_load_methodE3ELS4_3ELS4_3ELNS0_20block_scan_algorithmE0ELj4294967295EEENS1_25partition_config_selectorILNS1_17partition_subalgoE4EjNS0_10empty_typeEbEEZZNS1_14partition_implILS8_4ELb0ES6_15HIP_vector_typeIjLj2EENS0_17counting_iteratorIjlEEPS9_SG_NS0_5tupleIJPjSI_NS0_16reverse_iteratorISI_EEEEENSH_IJSG_SG_SG_EEES9_SI_JZNS1_25segmented_radix_sort_implINS0_14default_configELb0EPKfPfPKlPlN2at6native12_GLOBAL__N_18offset_tEEE10hipError_tPvRmT1_PNSt15iterator_traitsIS12_E10value_typeET2_T3_PNS13_IS18_E10value_typeET4_jRbjT5_S1E_jjP12ihipStream_tbEUljE_ZNSN_ISO_Lb0ESQ_SR_ST_SU_SY_EESZ_S10_S11_S12_S16_S17_S18_S1B_S1C_jS1D_jS1E_S1E_jjS1G_bEUljE0_EEESZ_S10_S11_S18_S1C_S1E_T6_T7_T9_mT8_S1G_bDpT10_ENKUlT_T0_E_clISt17integral_constantIbLb0EES1U_EEDaS1P_S1Q_EUlS1P_E_NS1_11comp_targetILNS1_3genE10ELNS1_11target_archE1200ELNS1_3gpuE4ELNS1_3repE0EEENS1_30default_config_static_selectorELNS0_4arch9wavefront6targetE0EEEvS12_.has_indirect_call, 0
	.section	.AMDGPU.csdata,"",@progbits
; Kernel info:
; codeLenInByte = 0
; TotalNumSgprs: 0
; NumVgprs: 0
; ScratchSize: 0
; MemoryBound: 0
; FloatMode: 240
; IeeeMode: 1
; LDSByteSize: 0 bytes/workgroup (compile time only)
; SGPRBlocks: 0
; VGPRBlocks: 0
; NumSGPRsForWavesPerEU: 1
; NumVGPRsForWavesPerEU: 1
; NamedBarCnt: 0
; Occupancy: 16
; WaveLimiterHint : 0
; COMPUTE_PGM_RSRC2:SCRATCH_EN: 0
; COMPUTE_PGM_RSRC2:USER_SGPR: 2
; COMPUTE_PGM_RSRC2:TRAP_HANDLER: 0
; COMPUTE_PGM_RSRC2:TGID_X_EN: 1
; COMPUTE_PGM_RSRC2:TGID_Y_EN: 0
; COMPUTE_PGM_RSRC2:TGID_Z_EN: 0
; COMPUTE_PGM_RSRC2:TIDIG_COMP_CNT: 0
	.section	.text._ZN7rocprim17ROCPRIM_400000_NS6detail17trampoline_kernelINS0_13select_configILj256ELj13ELNS0_17block_load_methodE3ELS4_3ELS4_3ELNS0_20block_scan_algorithmE0ELj4294967295EEENS1_25partition_config_selectorILNS1_17partition_subalgoE4EjNS0_10empty_typeEbEEZZNS1_14partition_implILS8_4ELb0ES6_15HIP_vector_typeIjLj2EENS0_17counting_iteratorIjlEEPS9_SG_NS0_5tupleIJPjSI_NS0_16reverse_iteratorISI_EEEEENSH_IJSG_SG_SG_EEES9_SI_JZNS1_25segmented_radix_sort_implINS0_14default_configELb0EPKfPfPKlPlN2at6native12_GLOBAL__N_18offset_tEEE10hipError_tPvRmT1_PNSt15iterator_traitsIS12_E10value_typeET2_T3_PNS13_IS18_E10value_typeET4_jRbjT5_S1E_jjP12ihipStream_tbEUljE_ZNSN_ISO_Lb0ESQ_SR_ST_SU_SY_EESZ_S10_S11_S12_S16_S17_S18_S1B_S1C_jS1D_jS1E_S1E_jjS1G_bEUljE0_EEESZ_S10_S11_S18_S1C_S1E_T6_T7_T9_mT8_S1G_bDpT10_ENKUlT_T0_E_clISt17integral_constantIbLb0EES1U_EEDaS1P_S1Q_EUlS1P_E_NS1_11comp_targetILNS1_3genE9ELNS1_11target_archE1100ELNS1_3gpuE3ELNS1_3repE0EEENS1_30default_config_static_selectorELNS0_4arch9wavefront6targetE0EEEvS12_,"axG",@progbits,_ZN7rocprim17ROCPRIM_400000_NS6detail17trampoline_kernelINS0_13select_configILj256ELj13ELNS0_17block_load_methodE3ELS4_3ELS4_3ELNS0_20block_scan_algorithmE0ELj4294967295EEENS1_25partition_config_selectorILNS1_17partition_subalgoE4EjNS0_10empty_typeEbEEZZNS1_14partition_implILS8_4ELb0ES6_15HIP_vector_typeIjLj2EENS0_17counting_iteratorIjlEEPS9_SG_NS0_5tupleIJPjSI_NS0_16reverse_iteratorISI_EEEEENSH_IJSG_SG_SG_EEES9_SI_JZNS1_25segmented_radix_sort_implINS0_14default_configELb0EPKfPfPKlPlN2at6native12_GLOBAL__N_18offset_tEEE10hipError_tPvRmT1_PNSt15iterator_traitsIS12_E10value_typeET2_T3_PNS13_IS18_E10value_typeET4_jRbjT5_S1E_jjP12ihipStream_tbEUljE_ZNSN_ISO_Lb0ESQ_SR_ST_SU_SY_EESZ_S10_S11_S12_S16_S17_S18_S1B_S1C_jS1D_jS1E_S1E_jjS1G_bEUljE0_EEESZ_S10_S11_S18_S1C_S1E_T6_T7_T9_mT8_S1G_bDpT10_ENKUlT_T0_E_clISt17integral_constantIbLb0EES1U_EEDaS1P_S1Q_EUlS1P_E_NS1_11comp_targetILNS1_3genE9ELNS1_11target_archE1100ELNS1_3gpuE3ELNS1_3repE0EEENS1_30default_config_static_selectorELNS0_4arch9wavefront6targetE0EEEvS12_,comdat
	.globl	_ZN7rocprim17ROCPRIM_400000_NS6detail17trampoline_kernelINS0_13select_configILj256ELj13ELNS0_17block_load_methodE3ELS4_3ELS4_3ELNS0_20block_scan_algorithmE0ELj4294967295EEENS1_25partition_config_selectorILNS1_17partition_subalgoE4EjNS0_10empty_typeEbEEZZNS1_14partition_implILS8_4ELb0ES6_15HIP_vector_typeIjLj2EENS0_17counting_iteratorIjlEEPS9_SG_NS0_5tupleIJPjSI_NS0_16reverse_iteratorISI_EEEEENSH_IJSG_SG_SG_EEES9_SI_JZNS1_25segmented_radix_sort_implINS0_14default_configELb0EPKfPfPKlPlN2at6native12_GLOBAL__N_18offset_tEEE10hipError_tPvRmT1_PNSt15iterator_traitsIS12_E10value_typeET2_T3_PNS13_IS18_E10value_typeET4_jRbjT5_S1E_jjP12ihipStream_tbEUljE_ZNSN_ISO_Lb0ESQ_SR_ST_SU_SY_EESZ_S10_S11_S12_S16_S17_S18_S1B_S1C_jS1D_jS1E_S1E_jjS1G_bEUljE0_EEESZ_S10_S11_S18_S1C_S1E_T6_T7_T9_mT8_S1G_bDpT10_ENKUlT_T0_E_clISt17integral_constantIbLb0EES1U_EEDaS1P_S1Q_EUlS1P_E_NS1_11comp_targetILNS1_3genE9ELNS1_11target_archE1100ELNS1_3gpuE3ELNS1_3repE0EEENS1_30default_config_static_selectorELNS0_4arch9wavefront6targetE0EEEvS12_ ; -- Begin function _ZN7rocprim17ROCPRIM_400000_NS6detail17trampoline_kernelINS0_13select_configILj256ELj13ELNS0_17block_load_methodE3ELS4_3ELS4_3ELNS0_20block_scan_algorithmE0ELj4294967295EEENS1_25partition_config_selectorILNS1_17partition_subalgoE4EjNS0_10empty_typeEbEEZZNS1_14partition_implILS8_4ELb0ES6_15HIP_vector_typeIjLj2EENS0_17counting_iteratorIjlEEPS9_SG_NS0_5tupleIJPjSI_NS0_16reverse_iteratorISI_EEEEENSH_IJSG_SG_SG_EEES9_SI_JZNS1_25segmented_radix_sort_implINS0_14default_configELb0EPKfPfPKlPlN2at6native12_GLOBAL__N_18offset_tEEE10hipError_tPvRmT1_PNSt15iterator_traitsIS12_E10value_typeET2_T3_PNS13_IS18_E10value_typeET4_jRbjT5_S1E_jjP12ihipStream_tbEUljE_ZNSN_ISO_Lb0ESQ_SR_ST_SU_SY_EESZ_S10_S11_S12_S16_S17_S18_S1B_S1C_jS1D_jS1E_S1E_jjS1G_bEUljE0_EEESZ_S10_S11_S18_S1C_S1E_T6_T7_T9_mT8_S1G_bDpT10_ENKUlT_T0_E_clISt17integral_constantIbLb0EES1U_EEDaS1P_S1Q_EUlS1P_E_NS1_11comp_targetILNS1_3genE9ELNS1_11target_archE1100ELNS1_3gpuE3ELNS1_3repE0EEENS1_30default_config_static_selectorELNS0_4arch9wavefront6targetE0EEEvS12_
	.p2align	8
	.type	_ZN7rocprim17ROCPRIM_400000_NS6detail17trampoline_kernelINS0_13select_configILj256ELj13ELNS0_17block_load_methodE3ELS4_3ELS4_3ELNS0_20block_scan_algorithmE0ELj4294967295EEENS1_25partition_config_selectorILNS1_17partition_subalgoE4EjNS0_10empty_typeEbEEZZNS1_14partition_implILS8_4ELb0ES6_15HIP_vector_typeIjLj2EENS0_17counting_iteratorIjlEEPS9_SG_NS0_5tupleIJPjSI_NS0_16reverse_iteratorISI_EEEEENSH_IJSG_SG_SG_EEES9_SI_JZNS1_25segmented_radix_sort_implINS0_14default_configELb0EPKfPfPKlPlN2at6native12_GLOBAL__N_18offset_tEEE10hipError_tPvRmT1_PNSt15iterator_traitsIS12_E10value_typeET2_T3_PNS13_IS18_E10value_typeET4_jRbjT5_S1E_jjP12ihipStream_tbEUljE_ZNSN_ISO_Lb0ESQ_SR_ST_SU_SY_EESZ_S10_S11_S12_S16_S17_S18_S1B_S1C_jS1D_jS1E_S1E_jjS1G_bEUljE0_EEESZ_S10_S11_S18_S1C_S1E_T6_T7_T9_mT8_S1G_bDpT10_ENKUlT_T0_E_clISt17integral_constantIbLb0EES1U_EEDaS1P_S1Q_EUlS1P_E_NS1_11comp_targetILNS1_3genE9ELNS1_11target_archE1100ELNS1_3gpuE3ELNS1_3repE0EEENS1_30default_config_static_selectorELNS0_4arch9wavefront6targetE0EEEvS12_,@function
_ZN7rocprim17ROCPRIM_400000_NS6detail17trampoline_kernelINS0_13select_configILj256ELj13ELNS0_17block_load_methodE3ELS4_3ELS4_3ELNS0_20block_scan_algorithmE0ELj4294967295EEENS1_25partition_config_selectorILNS1_17partition_subalgoE4EjNS0_10empty_typeEbEEZZNS1_14partition_implILS8_4ELb0ES6_15HIP_vector_typeIjLj2EENS0_17counting_iteratorIjlEEPS9_SG_NS0_5tupleIJPjSI_NS0_16reverse_iteratorISI_EEEEENSH_IJSG_SG_SG_EEES9_SI_JZNS1_25segmented_radix_sort_implINS0_14default_configELb0EPKfPfPKlPlN2at6native12_GLOBAL__N_18offset_tEEE10hipError_tPvRmT1_PNSt15iterator_traitsIS12_E10value_typeET2_T3_PNS13_IS18_E10value_typeET4_jRbjT5_S1E_jjP12ihipStream_tbEUljE_ZNSN_ISO_Lb0ESQ_SR_ST_SU_SY_EESZ_S10_S11_S12_S16_S17_S18_S1B_S1C_jS1D_jS1E_S1E_jjS1G_bEUljE0_EEESZ_S10_S11_S18_S1C_S1E_T6_T7_T9_mT8_S1G_bDpT10_ENKUlT_T0_E_clISt17integral_constantIbLb0EES1U_EEDaS1P_S1Q_EUlS1P_E_NS1_11comp_targetILNS1_3genE9ELNS1_11target_archE1100ELNS1_3gpuE3ELNS1_3repE0EEENS1_30default_config_static_selectorELNS0_4arch9wavefront6targetE0EEEvS12_: ; @_ZN7rocprim17ROCPRIM_400000_NS6detail17trampoline_kernelINS0_13select_configILj256ELj13ELNS0_17block_load_methodE3ELS4_3ELS4_3ELNS0_20block_scan_algorithmE0ELj4294967295EEENS1_25partition_config_selectorILNS1_17partition_subalgoE4EjNS0_10empty_typeEbEEZZNS1_14partition_implILS8_4ELb0ES6_15HIP_vector_typeIjLj2EENS0_17counting_iteratorIjlEEPS9_SG_NS0_5tupleIJPjSI_NS0_16reverse_iteratorISI_EEEEENSH_IJSG_SG_SG_EEES9_SI_JZNS1_25segmented_radix_sort_implINS0_14default_configELb0EPKfPfPKlPlN2at6native12_GLOBAL__N_18offset_tEEE10hipError_tPvRmT1_PNSt15iterator_traitsIS12_E10value_typeET2_T3_PNS13_IS18_E10value_typeET4_jRbjT5_S1E_jjP12ihipStream_tbEUljE_ZNSN_ISO_Lb0ESQ_SR_ST_SU_SY_EESZ_S10_S11_S12_S16_S17_S18_S1B_S1C_jS1D_jS1E_S1E_jjS1G_bEUljE0_EEESZ_S10_S11_S18_S1C_S1E_T6_T7_T9_mT8_S1G_bDpT10_ENKUlT_T0_E_clISt17integral_constantIbLb0EES1U_EEDaS1P_S1Q_EUlS1P_E_NS1_11comp_targetILNS1_3genE9ELNS1_11target_archE1100ELNS1_3gpuE3ELNS1_3repE0EEENS1_30default_config_static_selectorELNS0_4arch9wavefront6targetE0EEEvS12_
; %bb.0:
	.section	.rodata,"a",@progbits
	.p2align	6, 0x0
	.amdhsa_kernel _ZN7rocprim17ROCPRIM_400000_NS6detail17trampoline_kernelINS0_13select_configILj256ELj13ELNS0_17block_load_methodE3ELS4_3ELS4_3ELNS0_20block_scan_algorithmE0ELj4294967295EEENS1_25partition_config_selectorILNS1_17partition_subalgoE4EjNS0_10empty_typeEbEEZZNS1_14partition_implILS8_4ELb0ES6_15HIP_vector_typeIjLj2EENS0_17counting_iteratorIjlEEPS9_SG_NS0_5tupleIJPjSI_NS0_16reverse_iteratorISI_EEEEENSH_IJSG_SG_SG_EEES9_SI_JZNS1_25segmented_radix_sort_implINS0_14default_configELb0EPKfPfPKlPlN2at6native12_GLOBAL__N_18offset_tEEE10hipError_tPvRmT1_PNSt15iterator_traitsIS12_E10value_typeET2_T3_PNS13_IS18_E10value_typeET4_jRbjT5_S1E_jjP12ihipStream_tbEUljE_ZNSN_ISO_Lb0ESQ_SR_ST_SU_SY_EESZ_S10_S11_S12_S16_S17_S18_S1B_S1C_jS1D_jS1E_S1E_jjS1G_bEUljE0_EEESZ_S10_S11_S18_S1C_S1E_T6_T7_T9_mT8_S1G_bDpT10_ENKUlT_T0_E_clISt17integral_constantIbLb0EES1U_EEDaS1P_S1Q_EUlS1P_E_NS1_11comp_targetILNS1_3genE9ELNS1_11target_archE1100ELNS1_3gpuE3ELNS1_3repE0EEENS1_30default_config_static_selectorELNS0_4arch9wavefront6targetE0EEEvS12_
		.amdhsa_group_segment_fixed_size 0
		.amdhsa_private_segment_fixed_size 0
		.amdhsa_kernarg_size 176
		.amdhsa_user_sgpr_count 2
		.amdhsa_user_sgpr_dispatch_ptr 0
		.amdhsa_user_sgpr_queue_ptr 0
		.amdhsa_user_sgpr_kernarg_segment_ptr 1
		.amdhsa_user_sgpr_dispatch_id 0
		.amdhsa_user_sgpr_kernarg_preload_length 0
		.amdhsa_user_sgpr_kernarg_preload_offset 0
		.amdhsa_user_sgpr_private_segment_size 0
		.amdhsa_wavefront_size32 1
		.amdhsa_uses_dynamic_stack 0
		.amdhsa_enable_private_segment 0
		.amdhsa_system_sgpr_workgroup_id_x 1
		.amdhsa_system_sgpr_workgroup_id_y 0
		.amdhsa_system_sgpr_workgroup_id_z 0
		.amdhsa_system_sgpr_workgroup_info 0
		.amdhsa_system_vgpr_workitem_id 0
		.amdhsa_next_free_vgpr 1
		.amdhsa_next_free_sgpr 1
		.amdhsa_named_barrier_count 0
		.amdhsa_reserve_vcc 0
		.amdhsa_float_round_mode_32 0
		.amdhsa_float_round_mode_16_64 0
		.amdhsa_float_denorm_mode_32 3
		.amdhsa_float_denorm_mode_16_64 3
		.amdhsa_fp16_overflow 0
		.amdhsa_memory_ordered 1
		.amdhsa_forward_progress 1
		.amdhsa_inst_pref_size 0
		.amdhsa_round_robin_scheduling 0
		.amdhsa_exception_fp_ieee_invalid_op 0
		.amdhsa_exception_fp_denorm_src 0
		.amdhsa_exception_fp_ieee_div_zero 0
		.amdhsa_exception_fp_ieee_overflow 0
		.amdhsa_exception_fp_ieee_underflow 0
		.amdhsa_exception_fp_ieee_inexact 0
		.amdhsa_exception_int_div_zero 0
	.end_amdhsa_kernel
	.section	.text._ZN7rocprim17ROCPRIM_400000_NS6detail17trampoline_kernelINS0_13select_configILj256ELj13ELNS0_17block_load_methodE3ELS4_3ELS4_3ELNS0_20block_scan_algorithmE0ELj4294967295EEENS1_25partition_config_selectorILNS1_17partition_subalgoE4EjNS0_10empty_typeEbEEZZNS1_14partition_implILS8_4ELb0ES6_15HIP_vector_typeIjLj2EENS0_17counting_iteratorIjlEEPS9_SG_NS0_5tupleIJPjSI_NS0_16reverse_iteratorISI_EEEEENSH_IJSG_SG_SG_EEES9_SI_JZNS1_25segmented_radix_sort_implINS0_14default_configELb0EPKfPfPKlPlN2at6native12_GLOBAL__N_18offset_tEEE10hipError_tPvRmT1_PNSt15iterator_traitsIS12_E10value_typeET2_T3_PNS13_IS18_E10value_typeET4_jRbjT5_S1E_jjP12ihipStream_tbEUljE_ZNSN_ISO_Lb0ESQ_SR_ST_SU_SY_EESZ_S10_S11_S12_S16_S17_S18_S1B_S1C_jS1D_jS1E_S1E_jjS1G_bEUljE0_EEESZ_S10_S11_S18_S1C_S1E_T6_T7_T9_mT8_S1G_bDpT10_ENKUlT_T0_E_clISt17integral_constantIbLb0EES1U_EEDaS1P_S1Q_EUlS1P_E_NS1_11comp_targetILNS1_3genE9ELNS1_11target_archE1100ELNS1_3gpuE3ELNS1_3repE0EEENS1_30default_config_static_selectorELNS0_4arch9wavefront6targetE0EEEvS12_,"axG",@progbits,_ZN7rocprim17ROCPRIM_400000_NS6detail17trampoline_kernelINS0_13select_configILj256ELj13ELNS0_17block_load_methodE3ELS4_3ELS4_3ELNS0_20block_scan_algorithmE0ELj4294967295EEENS1_25partition_config_selectorILNS1_17partition_subalgoE4EjNS0_10empty_typeEbEEZZNS1_14partition_implILS8_4ELb0ES6_15HIP_vector_typeIjLj2EENS0_17counting_iteratorIjlEEPS9_SG_NS0_5tupleIJPjSI_NS0_16reverse_iteratorISI_EEEEENSH_IJSG_SG_SG_EEES9_SI_JZNS1_25segmented_radix_sort_implINS0_14default_configELb0EPKfPfPKlPlN2at6native12_GLOBAL__N_18offset_tEEE10hipError_tPvRmT1_PNSt15iterator_traitsIS12_E10value_typeET2_T3_PNS13_IS18_E10value_typeET4_jRbjT5_S1E_jjP12ihipStream_tbEUljE_ZNSN_ISO_Lb0ESQ_SR_ST_SU_SY_EESZ_S10_S11_S12_S16_S17_S18_S1B_S1C_jS1D_jS1E_S1E_jjS1G_bEUljE0_EEESZ_S10_S11_S18_S1C_S1E_T6_T7_T9_mT8_S1G_bDpT10_ENKUlT_T0_E_clISt17integral_constantIbLb0EES1U_EEDaS1P_S1Q_EUlS1P_E_NS1_11comp_targetILNS1_3genE9ELNS1_11target_archE1100ELNS1_3gpuE3ELNS1_3repE0EEENS1_30default_config_static_selectorELNS0_4arch9wavefront6targetE0EEEvS12_,comdat
.Lfunc_end1363:
	.size	_ZN7rocprim17ROCPRIM_400000_NS6detail17trampoline_kernelINS0_13select_configILj256ELj13ELNS0_17block_load_methodE3ELS4_3ELS4_3ELNS0_20block_scan_algorithmE0ELj4294967295EEENS1_25partition_config_selectorILNS1_17partition_subalgoE4EjNS0_10empty_typeEbEEZZNS1_14partition_implILS8_4ELb0ES6_15HIP_vector_typeIjLj2EENS0_17counting_iteratorIjlEEPS9_SG_NS0_5tupleIJPjSI_NS0_16reverse_iteratorISI_EEEEENSH_IJSG_SG_SG_EEES9_SI_JZNS1_25segmented_radix_sort_implINS0_14default_configELb0EPKfPfPKlPlN2at6native12_GLOBAL__N_18offset_tEEE10hipError_tPvRmT1_PNSt15iterator_traitsIS12_E10value_typeET2_T3_PNS13_IS18_E10value_typeET4_jRbjT5_S1E_jjP12ihipStream_tbEUljE_ZNSN_ISO_Lb0ESQ_SR_ST_SU_SY_EESZ_S10_S11_S12_S16_S17_S18_S1B_S1C_jS1D_jS1E_S1E_jjS1G_bEUljE0_EEESZ_S10_S11_S18_S1C_S1E_T6_T7_T9_mT8_S1G_bDpT10_ENKUlT_T0_E_clISt17integral_constantIbLb0EES1U_EEDaS1P_S1Q_EUlS1P_E_NS1_11comp_targetILNS1_3genE9ELNS1_11target_archE1100ELNS1_3gpuE3ELNS1_3repE0EEENS1_30default_config_static_selectorELNS0_4arch9wavefront6targetE0EEEvS12_, .Lfunc_end1363-_ZN7rocprim17ROCPRIM_400000_NS6detail17trampoline_kernelINS0_13select_configILj256ELj13ELNS0_17block_load_methodE3ELS4_3ELS4_3ELNS0_20block_scan_algorithmE0ELj4294967295EEENS1_25partition_config_selectorILNS1_17partition_subalgoE4EjNS0_10empty_typeEbEEZZNS1_14partition_implILS8_4ELb0ES6_15HIP_vector_typeIjLj2EENS0_17counting_iteratorIjlEEPS9_SG_NS0_5tupleIJPjSI_NS0_16reverse_iteratorISI_EEEEENSH_IJSG_SG_SG_EEES9_SI_JZNS1_25segmented_radix_sort_implINS0_14default_configELb0EPKfPfPKlPlN2at6native12_GLOBAL__N_18offset_tEEE10hipError_tPvRmT1_PNSt15iterator_traitsIS12_E10value_typeET2_T3_PNS13_IS18_E10value_typeET4_jRbjT5_S1E_jjP12ihipStream_tbEUljE_ZNSN_ISO_Lb0ESQ_SR_ST_SU_SY_EESZ_S10_S11_S12_S16_S17_S18_S1B_S1C_jS1D_jS1E_S1E_jjS1G_bEUljE0_EEESZ_S10_S11_S18_S1C_S1E_T6_T7_T9_mT8_S1G_bDpT10_ENKUlT_T0_E_clISt17integral_constantIbLb0EES1U_EEDaS1P_S1Q_EUlS1P_E_NS1_11comp_targetILNS1_3genE9ELNS1_11target_archE1100ELNS1_3gpuE3ELNS1_3repE0EEENS1_30default_config_static_selectorELNS0_4arch9wavefront6targetE0EEEvS12_
                                        ; -- End function
	.set _ZN7rocprim17ROCPRIM_400000_NS6detail17trampoline_kernelINS0_13select_configILj256ELj13ELNS0_17block_load_methodE3ELS4_3ELS4_3ELNS0_20block_scan_algorithmE0ELj4294967295EEENS1_25partition_config_selectorILNS1_17partition_subalgoE4EjNS0_10empty_typeEbEEZZNS1_14partition_implILS8_4ELb0ES6_15HIP_vector_typeIjLj2EENS0_17counting_iteratorIjlEEPS9_SG_NS0_5tupleIJPjSI_NS0_16reverse_iteratorISI_EEEEENSH_IJSG_SG_SG_EEES9_SI_JZNS1_25segmented_radix_sort_implINS0_14default_configELb0EPKfPfPKlPlN2at6native12_GLOBAL__N_18offset_tEEE10hipError_tPvRmT1_PNSt15iterator_traitsIS12_E10value_typeET2_T3_PNS13_IS18_E10value_typeET4_jRbjT5_S1E_jjP12ihipStream_tbEUljE_ZNSN_ISO_Lb0ESQ_SR_ST_SU_SY_EESZ_S10_S11_S12_S16_S17_S18_S1B_S1C_jS1D_jS1E_S1E_jjS1G_bEUljE0_EEESZ_S10_S11_S18_S1C_S1E_T6_T7_T9_mT8_S1G_bDpT10_ENKUlT_T0_E_clISt17integral_constantIbLb0EES1U_EEDaS1P_S1Q_EUlS1P_E_NS1_11comp_targetILNS1_3genE9ELNS1_11target_archE1100ELNS1_3gpuE3ELNS1_3repE0EEENS1_30default_config_static_selectorELNS0_4arch9wavefront6targetE0EEEvS12_.num_vgpr, 0
	.set _ZN7rocprim17ROCPRIM_400000_NS6detail17trampoline_kernelINS0_13select_configILj256ELj13ELNS0_17block_load_methodE3ELS4_3ELS4_3ELNS0_20block_scan_algorithmE0ELj4294967295EEENS1_25partition_config_selectorILNS1_17partition_subalgoE4EjNS0_10empty_typeEbEEZZNS1_14partition_implILS8_4ELb0ES6_15HIP_vector_typeIjLj2EENS0_17counting_iteratorIjlEEPS9_SG_NS0_5tupleIJPjSI_NS0_16reverse_iteratorISI_EEEEENSH_IJSG_SG_SG_EEES9_SI_JZNS1_25segmented_radix_sort_implINS0_14default_configELb0EPKfPfPKlPlN2at6native12_GLOBAL__N_18offset_tEEE10hipError_tPvRmT1_PNSt15iterator_traitsIS12_E10value_typeET2_T3_PNS13_IS18_E10value_typeET4_jRbjT5_S1E_jjP12ihipStream_tbEUljE_ZNSN_ISO_Lb0ESQ_SR_ST_SU_SY_EESZ_S10_S11_S12_S16_S17_S18_S1B_S1C_jS1D_jS1E_S1E_jjS1G_bEUljE0_EEESZ_S10_S11_S18_S1C_S1E_T6_T7_T9_mT8_S1G_bDpT10_ENKUlT_T0_E_clISt17integral_constantIbLb0EES1U_EEDaS1P_S1Q_EUlS1P_E_NS1_11comp_targetILNS1_3genE9ELNS1_11target_archE1100ELNS1_3gpuE3ELNS1_3repE0EEENS1_30default_config_static_selectorELNS0_4arch9wavefront6targetE0EEEvS12_.num_agpr, 0
	.set _ZN7rocprim17ROCPRIM_400000_NS6detail17trampoline_kernelINS0_13select_configILj256ELj13ELNS0_17block_load_methodE3ELS4_3ELS4_3ELNS0_20block_scan_algorithmE0ELj4294967295EEENS1_25partition_config_selectorILNS1_17partition_subalgoE4EjNS0_10empty_typeEbEEZZNS1_14partition_implILS8_4ELb0ES6_15HIP_vector_typeIjLj2EENS0_17counting_iteratorIjlEEPS9_SG_NS0_5tupleIJPjSI_NS0_16reverse_iteratorISI_EEEEENSH_IJSG_SG_SG_EEES9_SI_JZNS1_25segmented_radix_sort_implINS0_14default_configELb0EPKfPfPKlPlN2at6native12_GLOBAL__N_18offset_tEEE10hipError_tPvRmT1_PNSt15iterator_traitsIS12_E10value_typeET2_T3_PNS13_IS18_E10value_typeET4_jRbjT5_S1E_jjP12ihipStream_tbEUljE_ZNSN_ISO_Lb0ESQ_SR_ST_SU_SY_EESZ_S10_S11_S12_S16_S17_S18_S1B_S1C_jS1D_jS1E_S1E_jjS1G_bEUljE0_EEESZ_S10_S11_S18_S1C_S1E_T6_T7_T9_mT8_S1G_bDpT10_ENKUlT_T0_E_clISt17integral_constantIbLb0EES1U_EEDaS1P_S1Q_EUlS1P_E_NS1_11comp_targetILNS1_3genE9ELNS1_11target_archE1100ELNS1_3gpuE3ELNS1_3repE0EEENS1_30default_config_static_selectorELNS0_4arch9wavefront6targetE0EEEvS12_.numbered_sgpr, 0
	.set _ZN7rocprim17ROCPRIM_400000_NS6detail17trampoline_kernelINS0_13select_configILj256ELj13ELNS0_17block_load_methodE3ELS4_3ELS4_3ELNS0_20block_scan_algorithmE0ELj4294967295EEENS1_25partition_config_selectorILNS1_17partition_subalgoE4EjNS0_10empty_typeEbEEZZNS1_14partition_implILS8_4ELb0ES6_15HIP_vector_typeIjLj2EENS0_17counting_iteratorIjlEEPS9_SG_NS0_5tupleIJPjSI_NS0_16reverse_iteratorISI_EEEEENSH_IJSG_SG_SG_EEES9_SI_JZNS1_25segmented_radix_sort_implINS0_14default_configELb0EPKfPfPKlPlN2at6native12_GLOBAL__N_18offset_tEEE10hipError_tPvRmT1_PNSt15iterator_traitsIS12_E10value_typeET2_T3_PNS13_IS18_E10value_typeET4_jRbjT5_S1E_jjP12ihipStream_tbEUljE_ZNSN_ISO_Lb0ESQ_SR_ST_SU_SY_EESZ_S10_S11_S12_S16_S17_S18_S1B_S1C_jS1D_jS1E_S1E_jjS1G_bEUljE0_EEESZ_S10_S11_S18_S1C_S1E_T6_T7_T9_mT8_S1G_bDpT10_ENKUlT_T0_E_clISt17integral_constantIbLb0EES1U_EEDaS1P_S1Q_EUlS1P_E_NS1_11comp_targetILNS1_3genE9ELNS1_11target_archE1100ELNS1_3gpuE3ELNS1_3repE0EEENS1_30default_config_static_selectorELNS0_4arch9wavefront6targetE0EEEvS12_.num_named_barrier, 0
	.set _ZN7rocprim17ROCPRIM_400000_NS6detail17trampoline_kernelINS0_13select_configILj256ELj13ELNS0_17block_load_methodE3ELS4_3ELS4_3ELNS0_20block_scan_algorithmE0ELj4294967295EEENS1_25partition_config_selectorILNS1_17partition_subalgoE4EjNS0_10empty_typeEbEEZZNS1_14partition_implILS8_4ELb0ES6_15HIP_vector_typeIjLj2EENS0_17counting_iteratorIjlEEPS9_SG_NS0_5tupleIJPjSI_NS0_16reverse_iteratorISI_EEEEENSH_IJSG_SG_SG_EEES9_SI_JZNS1_25segmented_radix_sort_implINS0_14default_configELb0EPKfPfPKlPlN2at6native12_GLOBAL__N_18offset_tEEE10hipError_tPvRmT1_PNSt15iterator_traitsIS12_E10value_typeET2_T3_PNS13_IS18_E10value_typeET4_jRbjT5_S1E_jjP12ihipStream_tbEUljE_ZNSN_ISO_Lb0ESQ_SR_ST_SU_SY_EESZ_S10_S11_S12_S16_S17_S18_S1B_S1C_jS1D_jS1E_S1E_jjS1G_bEUljE0_EEESZ_S10_S11_S18_S1C_S1E_T6_T7_T9_mT8_S1G_bDpT10_ENKUlT_T0_E_clISt17integral_constantIbLb0EES1U_EEDaS1P_S1Q_EUlS1P_E_NS1_11comp_targetILNS1_3genE9ELNS1_11target_archE1100ELNS1_3gpuE3ELNS1_3repE0EEENS1_30default_config_static_selectorELNS0_4arch9wavefront6targetE0EEEvS12_.private_seg_size, 0
	.set _ZN7rocprim17ROCPRIM_400000_NS6detail17trampoline_kernelINS0_13select_configILj256ELj13ELNS0_17block_load_methodE3ELS4_3ELS4_3ELNS0_20block_scan_algorithmE0ELj4294967295EEENS1_25partition_config_selectorILNS1_17partition_subalgoE4EjNS0_10empty_typeEbEEZZNS1_14partition_implILS8_4ELb0ES6_15HIP_vector_typeIjLj2EENS0_17counting_iteratorIjlEEPS9_SG_NS0_5tupleIJPjSI_NS0_16reverse_iteratorISI_EEEEENSH_IJSG_SG_SG_EEES9_SI_JZNS1_25segmented_radix_sort_implINS0_14default_configELb0EPKfPfPKlPlN2at6native12_GLOBAL__N_18offset_tEEE10hipError_tPvRmT1_PNSt15iterator_traitsIS12_E10value_typeET2_T3_PNS13_IS18_E10value_typeET4_jRbjT5_S1E_jjP12ihipStream_tbEUljE_ZNSN_ISO_Lb0ESQ_SR_ST_SU_SY_EESZ_S10_S11_S12_S16_S17_S18_S1B_S1C_jS1D_jS1E_S1E_jjS1G_bEUljE0_EEESZ_S10_S11_S18_S1C_S1E_T6_T7_T9_mT8_S1G_bDpT10_ENKUlT_T0_E_clISt17integral_constantIbLb0EES1U_EEDaS1P_S1Q_EUlS1P_E_NS1_11comp_targetILNS1_3genE9ELNS1_11target_archE1100ELNS1_3gpuE3ELNS1_3repE0EEENS1_30default_config_static_selectorELNS0_4arch9wavefront6targetE0EEEvS12_.uses_vcc, 0
	.set _ZN7rocprim17ROCPRIM_400000_NS6detail17trampoline_kernelINS0_13select_configILj256ELj13ELNS0_17block_load_methodE3ELS4_3ELS4_3ELNS0_20block_scan_algorithmE0ELj4294967295EEENS1_25partition_config_selectorILNS1_17partition_subalgoE4EjNS0_10empty_typeEbEEZZNS1_14partition_implILS8_4ELb0ES6_15HIP_vector_typeIjLj2EENS0_17counting_iteratorIjlEEPS9_SG_NS0_5tupleIJPjSI_NS0_16reverse_iteratorISI_EEEEENSH_IJSG_SG_SG_EEES9_SI_JZNS1_25segmented_radix_sort_implINS0_14default_configELb0EPKfPfPKlPlN2at6native12_GLOBAL__N_18offset_tEEE10hipError_tPvRmT1_PNSt15iterator_traitsIS12_E10value_typeET2_T3_PNS13_IS18_E10value_typeET4_jRbjT5_S1E_jjP12ihipStream_tbEUljE_ZNSN_ISO_Lb0ESQ_SR_ST_SU_SY_EESZ_S10_S11_S12_S16_S17_S18_S1B_S1C_jS1D_jS1E_S1E_jjS1G_bEUljE0_EEESZ_S10_S11_S18_S1C_S1E_T6_T7_T9_mT8_S1G_bDpT10_ENKUlT_T0_E_clISt17integral_constantIbLb0EES1U_EEDaS1P_S1Q_EUlS1P_E_NS1_11comp_targetILNS1_3genE9ELNS1_11target_archE1100ELNS1_3gpuE3ELNS1_3repE0EEENS1_30default_config_static_selectorELNS0_4arch9wavefront6targetE0EEEvS12_.uses_flat_scratch, 0
	.set _ZN7rocprim17ROCPRIM_400000_NS6detail17trampoline_kernelINS0_13select_configILj256ELj13ELNS0_17block_load_methodE3ELS4_3ELS4_3ELNS0_20block_scan_algorithmE0ELj4294967295EEENS1_25partition_config_selectorILNS1_17partition_subalgoE4EjNS0_10empty_typeEbEEZZNS1_14partition_implILS8_4ELb0ES6_15HIP_vector_typeIjLj2EENS0_17counting_iteratorIjlEEPS9_SG_NS0_5tupleIJPjSI_NS0_16reverse_iteratorISI_EEEEENSH_IJSG_SG_SG_EEES9_SI_JZNS1_25segmented_radix_sort_implINS0_14default_configELb0EPKfPfPKlPlN2at6native12_GLOBAL__N_18offset_tEEE10hipError_tPvRmT1_PNSt15iterator_traitsIS12_E10value_typeET2_T3_PNS13_IS18_E10value_typeET4_jRbjT5_S1E_jjP12ihipStream_tbEUljE_ZNSN_ISO_Lb0ESQ_SR_ST_SU_SY_EESZ_S10_S11_S12_S16_S17_S18_S1B_S1C_jS1D_jS1E_S1E_jjS1G_bEUljE0_EEESZ_S10_S11_S18_S1C_S1E_T6_T7_T9_mT8_S1G_bDpT10_ENKUlT_T0_E_clISt17integral_constantIbLb0EES1U_EEDaS1P_S1Q_EUlS1P_E_NS1_11comp_targetILNS1_3genE9ELNS1_11target_archE1100ELNS1_3gpuE3ELNS1_3repE0EEENS1_30default_config_static_selectorELNS0_4arch9wavefront6targetE0EEEvS12_.has_dyn_sized_stack, 0
	.set _ZN7rocprim17ROCPRIM_400000_NS6detail17trampoline_kernelINS0_13select_configILj256ELj13ELNS0_17block_load_methodE3ELS4_3ELS4_3ELNS0_20block_scan_algorithmE0ELj4294967295EEENS1_25partition_config_selectorILNS1_17partition_subalgoE4EjNS0_10empty_typeEbEEZZNS1_14partition_implILS8_4ELb0ES6_15HIP_vector_typeIjLj2EENS0_17counting_iteratorIjlEEPS9_SG_NS0_5tupleIJPjSI_NS0_16reverse_iteratorISI_EEEEENSH_IJSG_SG_SG_EEES9_SI_JZNS1_25segmented_radix_sort_implINS0_14default_configELb0EPKfPfPKlPlN2at6native12_GLOBAL__N_18offset_tEEE10hipError_tPvRmT1_PNSt15iterator_traitsIS12_E10value_typeET2_T3_PNS13_IS18_E10value_typeET4_jRbjT5_S1E_jjP12ihipStream_tbEUljE_ZNSN_ISO_Lb0ESQ_SR_ST_SU_SY_EESZ_S10_S11_S12_S16_S17_S18_S1B_S1C_jS1D_jS1E_S1E_jjS1G_bEUljE0_EEESZ_S10_S11_S18_S1C_S1E_T6_T7_T9_mT8_S1G_bDpT10_ENKUlT_T0_E_clISt17integral_constantIbLb0EES1U_EEDaS1P_S1Q_EUlS1P_E_NS1_11comp_targetILNS1_3genE9ELNS1_11target_archE1100ELNS1_3gpuE3ELNS1_3repE0EEENS1_30default_config_static_selectorELNS0_4arch9wavefront6targetE0EEEvS12_.has_recursion, 0
	.set _ZN7rocprim17ROCPRIM_400000_NS6detail17trampoline_kernelINS0_13select_configILj256ELj13ELNS0_17block_load_methodE3ELS4_3ELS4_3ELNS0_20block_scan_algorithmE0ELj4294967295EEENS1_25partition_config_selectorILNS1_17partition_subalgoE4EjNS0_10empty_typeEbEEZZNS1_14partition_implILS8_4ELb0ES6_15HIP_vector_typeIjLj2EENS0_17counting_iteratorIjlEEPS9_SG_NS0_5tupleIJPjSI_NS0_16reverse_iteratorISI_EEEEENSH_IJSG_SG_SG_EEES9_SI_JZNS1_25segmented_radix_sort_implINS0_14default_configELb0EPKfPfPKlPlN2at6native12_GLOBAL__N_18offset_tEEE10hipError_tPvRmT1_PNSt15iterator_traitsIS12_E10value_typeET2_T3_PNS13_IS18_E10value_typeET4_jRbjT5_S1E_jjP12ihipStream_tbEUljE_ZNSN_ISO_Lb0ESQ_SR_ST_SU_SY_EESZ_S10_S11_S12_S16_S17_S18_S1B_S1C_jS1D_jS1E_S1E_jjS1G_bEUljE0_EEESZ_S10_S11_S18_S1C_S1E_T6_T7_T9_mT8_S1G_bDpT10_ENKUlT_T0_E_clISt17integral_constantIbLb0EES1U_EEDaS1P_S1Q_EUlS1P_E_NS1_11comp_targetILNS1_3genE9ELNS1_11target_archE1100ELNS1_3gpuE3ELNS1_3repE0EEENS1_30default_config_static_selectorELNS0_4arch9wavefront6targetE0EEEvS12_.has_indirect_call, 0
	.section	.AMDGPU.csdata,"",@progbits
; Kernel info:
; codeLenInByte = 0
; TotalNumSgprs: 0
; NumVgprs: 0
; ScratchSize: 0
; MemoryBound: 0
; FloatMode: 240
; IeeeMode: 1
; LDSByteSize: 0 bytes/workgroup (compile time only)
; SGPRBlocks: 0
; VGPRBlocks: 0
; NumSGPRsForWavesPerEU: 1
; NumVGPRsForWavesPerEU: 1
; NamedBarCnt: 0
; Occupancy: 16
; WaveLimiterHint : 0
; COMPUTE_PGM_RSRC2:SCRATCH_EN: 0
; COMPUTE_PGM_RSRC2:USER_SGPR: 2
; COMPUTE_PGM_RSRC2:TRAP_HANDLER: 0
; COMPUTE_PGM_RSRC2:TGID_X_EN: 1
; COMPUTE_PGM_RSRC2:TGID_Y_EN: 0
; COMPUTE_PGM_RSRC2:TGID_Z_EN: 0
; COMPUTE_PGM_RSRC2:TIDIG_COMP_CNT: 0
	.section	.text._ZN7rocprim17ROCPRIM_400000_NS6detail17trampoline_kernelINS0_13select_configILj256ELj13ELNS0_17block_load_methodE3ELS4_3ELS4_3ELNS0_20block_scan_algorithmE0ELj4294967295EEENS1_25partition_config_selectorILNS1_17partition_subalgoE4EjNS0_10empty_typeEbEEZZNS1_14partition_implILS8_4ELb0ES6_15HIP_vector_typeIjLj2EENS0_17counting_iteratorIjlEEPS9_SG_NS0_5tupleIJPjSI_NS0_16reverse_iteratorISI_EEEEENSH_IJSG_SG_SG_EEES9_SI_JZNS1_25segmented_radix_sort_implINS0_14default_configELb0EPKfPfPKlPlN2at6native12_GLOBAL__N_18offset_tEEE10hipError_tPvRmT1_PNSt15iterator_traitsIS12_E10value_typeET2_T3_PNS13_IS18_E10value_typeET4_jRbjT5_S1E_jjP12ihipStream_tbEUljE_ZNSN_ISO_Lb0ESQ_SR_ST_SU_SY_EESZ_S10_S11_S12_S16_S17_S18_S1B_S1C_jS1D_jS1E_S1E_jjS1G_bEUljE0_EEESZ_S10_S11_S18_S1C_S1E_T6_T7_T9_mT8_S1G_bDpT10_ENKUlT_T0_E_clISt17integral_constantIbLb0EES1U_EEDaS1P_S1Q_EUlS1P_E_NS1_11comp_targetILNS1_3genE8ELNS1_11target_archE1030ELNS1_3gpuE2ELNS1_3repE0EEENS1_30default_config_static_selectorELNS0_4arch9wavefront6targetE0EEEvS12_,"axG",@progbits,_ZN7rocprim17ROCPRIM_400000_NS6detail17trampoline_kernelINS0_13select_configILj256ELj13ELNS0_17block_load_methodE3ELS4_3ELS4_3ELNS0_20block_scan_algorithmE0ELj4294967295EEENS1_25partition_config_selectorILNS1_17partition_subalgoE4EjNS0_10empty_typeEbEEZZNS1_14partition_implILS8_4ELb0ES6_15HIP_vector_typeIjLj2EENS0_17counting_iteratorIjlEEPS9_SG_NS0_5tupleIJPjSI_NS0_16reverse_iteratorISI_EEEEENSH_IJSG_SG_SG_EEES9_SI_JZNS1_25segmented_radix_sort_implINS0_14default_configELb0EPKfPfPKlPlN2at6native12_GLOBAL__N_18offset_tEEE10hipError_tPvRmT1_PNSt15iterator_traitsIS12_E10value_typeET2_T3_PNS13_IS18_E10value_typeET4_jRbjT5_S1E_jjP12ihipStream_tbEUljE_ZNSN_ISO_Lb0ESQ_SR_ST_SU_SY_EESZ_S10_S11_S12_S16_S17_S18_S1B_S1C_jS1D_jS1E_S1E_jjS1G_bEUljE0_EEESZ_S10_S11_S18_S1C_S1E_T6_T7_T9_mT8_S1G_bDpT10_ENKUlT_T0_E_clISt17integral_constantIbLb0EES1U_EEDaS1P_S1Q_EUlS1P_E_NS1_11comp_targetILNS1_3genE8ELNS1_11target_archE1030ELNS1_3gpuE2ELNS1_3repE0EEENS1_30default_config_static_selectorELNS0_4arch9wavefront6targetE0EEEvS12_,comdat
	.globl	_ZN7rocprim17ROCPRIM_400000_NS6detail17trampoline_kernelINS0_13select_configILj256ELj13ELNS0_17block_load_methodE3ELS4_3ELS4_3ELNS0_20block_scan_algorithmE0ELj4294967295EEENS1_25partition_config_selectorILNS1_17partition_subalgoE4EjNS0_10empty_typeEbEEZZNS1_14partition_implILS8_4ELb0ES6_15HIP_vector_typeIjLj2EENS0_17counting_iteratorIjlEEPS9_SG_NS0_5tupleIJPjSI_NS0_16reverse_iteratorISI_EEEEENSH_IJSG_SG_SG_EEES9_SI_JZNS1_25segmented_radix_sort_implINS0_14default_configELb0EPKfPfPKlPlN2at6native12_GLOBAL__N_18offset_tEEE10hipError_tPvRmT1_PNSt15iterator_traitsIS12_E10value_typeET2_T3_PNS13_IS18_E10value_typeET4_jRbjT5_S1E_jjP12ihipStream_tbEUljE_ZNSN_ISO_Lb0ESQ_SR_ST_SU_SY_EESZ_S10_S11_S12_S16_S17_S18_S1B_S1C_jS1D_jS1E_S1E_jjS1G_bEUljE0_EEESZ_S10_S11_S18_S1C_S1E_T6_T7_T9_mT8_S1G_bDpT10_ENKUlT_T0_E_clISt17integral_constantIbLb0EES1U_EEDaS1P_S1Q_EUlS1P_E_NS1_11comp_targetILNS1_3genE8ELNS1_11target_archE1030ELNS1_3gpuE2ELNS1_3repE0EEENS1_30default_config_static_selectorELNS0_4arch9wavefront6targetE0EEEvS12_ ; -- Begin function _ZN7rocprim17ROCPRIM_400000_NS6detail17trampoline_kernelINS0_13select_configILj256ELj13ELNS0_17block_load_methodE3ELS4_3ELS4_3ELNS0_20block_scan_algorithmE0ELj4294967295EEENS1_25partition_config_selectorILNS1_17partition_subalgoE4EjNS0_10empty_typeEbEEZZNS1_14partition_implILS8_4ELb0ES6_15HIP_vector_typeIjLj2EENS0_17counting_iteratorIjlEEPS9_SG_NS0_5tupleIJPjSI_NS0_16reverse_iteratorISI_EEEEENSH_IJSG_SG_SG_EEES9_SI_JZNS1_25segmented_radix_sort_implINS0_14default_configELb0EPKfPfPKlPlN2at6native12_GLOBAL__N_18offset_tEEE10hipError_tPvRmT1_PNSt15iterator_traitsIS12_E10value_typeET2_T3_PNS13_IS18_E10value_typeET4_jRbjT5_S1E_jjP12ihipStream_tbEUljE_ZNSN_ISO_Lb0ESQ_SR_ST_SU_SY_EESZ_S10_S11_S12_S16_S17_S18_S1B_S1C_jS1D_jS1E_S1E_jjS1G_bEUljE0_EEESZ_S10_S11_S18_S1C_S1E_T6_T7_T9_mT8_S1G_bDpT10_ENKUlT_T0_E_clISt17integral_constantIbLb0EES1U_EEDaS1P_S1Q_EUlS1P_E_NS1_11comp_targetILNS1_3genE8ELNS1_11target_archE1030ELNS1_3gpuE2ELNS1_3repE0EEENS1_30default_config_static_selectorELNS0_4arch9wavefront6targetE0EEEvS12_
	.p2align	8
	.type	_ZN7rocprim17ROCPRIM_400000_NS6detail17trampoline_kernelINS0_13select_configILj256ELj13ELNS0_17block_load_methodE3ELS4_3ELS4_3ELNS0_20block_scan_algorithmE0ELj4294967295EEENS1_25partition_config_selectorILNS1_17partition_subalgoE4EjNS0_10empty_typeEbEEZZNS1_14partition_implILS8_4ELb0ES6_15HIP_vector_typeIjLj2EENS0_17counting_iteratorIjlEEPS9_SG_NS0_5tupleIJPjSI_NS0_16reverse_iteratorISI_EEEEENSH_IJSG_SG_SG_EEES9_SI_JZNS1_25segmented_radix_sort_implINS0_14default_configELb0EPKfPfPKlPlN2at6native12_GLOBAL__N_18offset_tEEE10hipError_tPvRmT1_PNSt15iterator_traitsIS12_E10value_typeET2_T3_PNS13_IS18_E10value_typeET4_jRbjT5_S1E_jjP12ihipStream_tbEUljE_ZNSN_ISO_Lb0ESQ_SR_ST_SU_SY_EESZ_S10_S11_S12_S16_S17_S18_S1B_S1C_jS1D_jS1E_S1E_jjS1G_bEUljE0_EEESZ_S10_S11_S18_S1C_S1E_T6_T7_T9_mT8_S1G_bDpT10_ENKUlT_T0_E_clISt17integral_constantIbLb0EES1U_EEDaS1P_S1Q_EUlS1P_E_NS1_11comp_targetILNS1_3genE8ELNS1_11target_archE1030ELNS1_3gpuE2ELNS1_3repE0EEENS1_30default_config_static_selectorELNS0_4arch9wavefront6targetE0EEEvS12_,@function
_ZN7rocprim17ROCPRIM_400000_NS6detail17trampoline_kernelINS0_13select_configILj256ELj13ELNS0_17block_load_methodE3ELS4_3ELS4_3ELNS0_20block_scan_algorithmE0ELj4294967295EEENS1_25partition_config_selectorILNS1_17partition_subalgoE4EjNS0_10empty_typeEbEEZZNS1_14partition_implILS8_4ELb0ES6_15HIP_vector_typeIjLj2EENS0_17counting_iteratorIjlEEPS9_SG_NS0_5tupleIJPjSI_NS0_16reverse_iteratorISI_EEEEENSH_IJSG_SG_SG_EEES9_SI_JZNS1_25segmented_radix_sort_implINS0_14default_configELb0EPKfPfPKlPlN2at6native12_GLOBAL__N_18offset_tEEE10hipError_tPvRmT1_PNSt15iterator_traitsIS12_E10value_typeET2_T3_PNS13_IS18_E10value_typeET4_jRbjT5_S1E_jjP12ihipStream_tbEUljE_ZNSN_ISO_Lb0ESQ_SR_ST_SU_SY_EESZ_S10_S11_S12_S16_S17_S18_S1B_S1C_jS1D_jS1E_S1E_jjS1G_bEUljE0_EEESZ_S10_S11_S18_S1C_S1E_T6_T7_T9_mT8_S1G_bDpT10_ENKUlT_T0_E_clISt17integral_constantIbLb0EES1U_EEDaS1P_S1Q_EUlS1P_E_NS1_11comp_targetILNS1_3genE8ELNS1_11target_archE1030ELNS1_3gpuE2ELNS1_3repE0EEENS1_30default_config_static_selectorELNS0_4arch9wavefront6targetE0EEEvS12_: ; @_ZN7rocprim17ROCPRIM_400000_NS6detail17trampoline_kernelINS0_13select_configILj256ELj13ELNS0_17block_load_methodE3ELS4_3ELS4_3ELNS0_20block_scan_algorithmE0ELj4294967295EEENS1_25partition_config_selectorILNS1_17partition_subalgoE4EjNS0_10empty_typeEbEEZZNS1_14partition_implILS8_4ELb0ES6_15HIP_vector_typeIjLj2EENS0_17counting_iteratorIjlEEPS9_SG_NS0_5tupleIJPjSI_NS0_16reverse_iteratorISI_EEEEENSH_IJSG_SG_SG_EEES9_SI_JZNS1_25segmented_radix_sort_implINS0_14default_configELb0EPKfPfPKlPlN2at6native12_GLOBAL__N_18offset_tEEE10hipError_tPvRmT1_PNSt15iterator_traitsIS12_E10value_typeET2_T3_PNS13_IS18_E10value_typeET4_jRbjT5_S1E_jjP12ihipStream_tbEUljE_ZNSN_ISO_Lb0ESQ_SR_ST_SU_SY_EESZ_S10_S11_S12_S16_S17_S18_S1B_S1C_jS1D_jS1E_S1E_jjS1G_bEUljE0_EEESZ_S10_S11_S18_S1C_S1E_T6_T7_T9_mT8_S1G_bDpT10_ENKUlT_T0_E_clISt17integral_constantIbLb0EES1U_EEDaS1P_S1Q_EUlS1P_E_NS1_11comp_targetILNS1_3genE8ELNS1_11target_archE1030ELNS1_3gpuE2ELNS1_3repE0EEENS1_30default_config_static_selectorELNS0_4arch9wavefront6targetE0EEEvS12_
; %bb.0:
	.section	.rodata,"a",@progbits
	.p2align	6, 0x0
	.amdhsa_kernel _ZN7rocprim17ROCPRIM_400000_NS6detail17trampoline_kernelINS0_13select_configILj256ELj13ELNS0_17block_load_methodE3ELS4_3ELS4_3ELNS0_20block_scan_algorithmE0ELj4294967295EEENS1_25partition_config_selectorILNS1_17partition_subalgoE4EjNS0_10empty_typeEbEEZZNS1_14partition_implILS8_4ELb0ES6_15HIP_vector_typeIjLj2EENS0_17counting_iteratorIjlEEPS9_SG_NS0_5tupleIJPjSI_NS0_16reverse_iteratorISI_EEEEENSH_IJSG_SG_SG_EEES9_SI_JZNS1_25segmented_radix_sort_implINS0_14default_configELb0EPKfPfPKlPlN2at6native12_GLOBAL__N_18offset_tEEE10hipError_tPvRmT1_PNSt15iterator_traitsIS12_E10value_typeET2_T3_PNS13_IS18_E10value_typeET4_jRbjT5_S1E_jjP12ihipStream_tbEUljE_ZNSN_ISO_Lb0ESQ_SR_ST_SU_SY_EESZ_S10_S11_S12_S16_S17_S18_S1B_S1C_jS1D_jS1E_S1E_jjS1G_bEUljE0_EEESZ_S10_S11_S18_S1C_S1E_T6_T7_T9_mT8_S1G_bDpT10_ENKUlT_T0_E_clISt17integral_constantIbLb0EES1U_EEDaS1P_S1Q_EUlS1P_E_NS1_11comp_targetILNS1_3genE8ELNS1_11target_archE1030ELNS1_3gpuE2ELNS1_3repE0EEENS1_30default_config_static_selectorELNS0_4arch9wavefront6targetE0EEEvS12_
		.amdhsa_group_segment_fixed_size 0
		.amdhsa_private_segment_fixed_size 0
		.amdhsa_kernarg_size 176
		.amdhsa_user_sgpr_count 2
		.amdhsa_user_sgpr_dispatch_ptr 0
		.amdhsa_user_sgpr_queue_ptr 0
		.amdhsa_user_sgpr_kernarg_segment_ptr 1
		.amdhsa_user_sgpr_dispatch_id 0
		.amdhsa_user_sgpr_kernarg_preload_length 0
		.amdhsa_user_sgpr_kernarg_preload_offset 0
		.amdhsa_user_sgpr_private_segment_size 0
		.amdhsa_wavefront_size32 1
		.amdhsa_uses_dynamic_stack 0
		.amdhsa_enable_private_segment 0
		.amdhsa_system_sgpr_workgroup_id_x 1
		.amdhsa_system_sgpr_workgroup_id_y 0
		.amdhsa_system_sgpr_workgroup_id_z 0
		.amdhsa_system_sgpr_workgroup_info 0
		.amdhsa_system_vgpr_workitem_id 0
		.amdhsa_next_free_vgpr 1
		.amdhsa_next_free_sgpr 1
		.amdhsa_named_barrier_count 0
		.amdhsa_reserve_vcc 0
		.amdhsa_float_round_mode_32 0
		.amdhsa_float_round_mode_16_64 0
		.amdhsa_float_denorm_mode_32 3
		.amdhsa_float_denorm_mode_16_64 3
		.amdhsa_fp16_overflow 0
		.amdhsa_memory_ordered 1
		.amdhsa_forward_progress 1
		.amdhsa_inst_pref_size 0
		.amdhsa_round_robin_scheduling 0
		.amdhsa_exception_fp_ieee_invalid_op 0
		.amdhsa_exception_fp_denorm_src 0
		.amdhsa_exception_fp_ieee_div_zero 0
		.amdhsa_exception_fp_ieee_overflow 0
		.amdhsa_exception_fp_ieee_underflow 0
		.amdhsa_exception_fp_ieee_inexact 0
		.amdhsa_exception_int_div_zero 0
	.end_amdhsa_kernel
	.section	.text._ZN7rocprim17ROCPRIM_400000_NS6detail17trampoline_kernelINS0_13select_configILj256ELj13ELNS0_17block_load_methodE3ELS4_3ELS4_3ELNS0_20block_scan_algorithmE0ELj4294967295EEENS1_25partition_config_selectorILNS1_17partition_subalgoE4EjNS0_10empty_typeEbEEZZNS1_14partition_implILS8_4ELb0ES6_15HIP_vector_typeIjLj2EENS0_17counting_iteratorIjlEEPS9_SG_NS0_5tupleIJPjSI_NS0_16reverse_iteratorISI_EEEEENSH_IJSG_SG_SG_EEES9_SI_JZNS1_25segmented_radix_sort_implINS0_14default_configELb0EPKfPfPKlPlN2at6native12_GLOBAL__N_18offset_tEEE10hipError_tPvRmT1_PNSt15iterator_traitsIS12_E10value_typeET2_T3_PNS13_IS18_E10value_typeET4_jRbjT5_S1E_jjP12ihipStream_tbEUljE_ZNSN_ISO_Lb0ESQ_SR_ST_SU_SY_EESZ_S10_S11_S12_S16_S17_S18_S1B_S1C_jS1D_jS1E_S1E_jjS1G_bEUljE0_EEESZ_S10_S11_S18_S1C_S1E_T6_T7_T9_mT8_S1G_bDpT10_ENKUlT_T0_E_clISt17integral_constantIbLb0EES1U_EEDaS1P_S1Q_EUlS1P_E_NS1_11comp_targetILNS1_3genE8ELNS1_11target_archE1030ELNS1_3gpuE2ELNS1_3repE0EEENS1_30default_config_static_selectorELNS0_4arch9wavefront6targetE0EEEvS12_,"axG",@progbits,_ZN7rocprim17ROCPRIM_400000_NS6detail17trampoline_kernelINS0_13select_configILj256ELj13ELNS0_17block_load_methodE3ELS4_3ELS4_3ELNS0_20block_scan_algorithmE0ELj4294967295EEENS1_25partition_config_selectorILNS1_17partition_subalgoE4EjNS0_10empty_typeEbEEZZNS1_14partition_implILS8_4ELb0ES6_15HIP_vector_typeIjLj2EENS0_17counting_iteratorIjlEEPS9_SG_NS0_5tupleIJPjSI_NS0_16reverse_iteratorISI_EEEEENSH_IJSG_SG_SG_EEES9_SI_JZNS1_25segmented_radix_sort_implINS0_14default_configELb0EPKfPfPKlPlN2at6native12_GLOBAL__N_18offset_tEEE10hipError_tPvRmT1_PNSt15iterator_traitsIS12_E10value_typeET2_T3_PNS13_IS18_E10value_typeET4_jRbjT5_S1E_jjP12ihipStream_tbEUljE_ZNSN_ISO_Lb0ESQ_SR_ST_SU_SY_EESZ_S10_S11_S12_S16_S17_S18_S1B_S1C_jS1D_jS1E_S1E_jjS1G_bEUljE0_EEESZ_S10_S11_S18_S1C_S1E_T6_T7_T9_mT8_S1G_bDpT10_ENKUlT_T0_E_clISt17integral_constantIbLb0EES1U_EEDaS1P_S1Q_EUlS1P_E_NS1_11comp_targetILNS1_3genE8ELNS1_11target_archE1030ELNS1_3gpuE2ELNS1_3repE0EEENS1_30default_config_static_selectorELNS0_4arch9wavefront6targetE0EEEvS12_,comdat
.Lfunc_end1364:
	.size	_ZN7rocprim17ROCPRIM_400000_NS6detail17trampoline_kernelINS0_13select_configILj256ELj13ELNS0_17block_load_methodE3ELS4_3ELS4_3ELNS0_20block_scan_algorithmE0ELj4294967295EEENS1_25partition_config_selectorILNS1_17partition_subalgoE4EjNS0_10empty_typeEbEEZZNS1_14partition_implILS8_4ELb0ES6_15HIP_vector_typeIjLj2EENS0_17counting_iteratorIjlEEPS9_SG_NS0_5tupleIJPjSI_NS0_16reverse_iteratorISI_EEEEENSH_IJSG_SG_SG_EEES9_SI_JZNS1_25segmented_radix_sort_implINS0_14default_configELb0EPKfPfPKlPlN2at6native12_GLOBAL__N_18offset_tEEE10hipError_tPvRmT1_PNSt15iterator_traitsIS12_E10value_typeET2_T3_PNS13_IS18_E10value_typeET4_jRbjT5_S1E_jjP12ihipStream_tbEUljE_ZNSN_ISO_Lb0ESQ_SR_ST_SU_SY_EESZ_S10_S11_S12_S16_S17_S18_S1B_S1C_jS1D_jS1E_S1E_jjS1G_bEUljE0_EEESZ_S10_S11_S18_S1C_S1E_T6_T7_T9_mT8_S1G_bDpT10_ENKUlT_T0_E_clISt17integral_constantIbLb0EES1U_EEDaS1P_S1Q_EUlS1P_E_NS1_11comp_targetILNS1_3genE8ELNS1_11target_archE1030ELNS1_3gpuE2ELNS1_3repE0EEENS1_30default_config_static_selectorELNS0_4arch9wavefront6targetE0EEEvS12_, .Lfunc_end1364-_ZN7rocprim17ROCPRIM_400000_NS6detail17trampoline_kernelINS0_13select_configILj256ELj13ELNS0_17block_load_methodE3ELS4_3ELS4_3ELNS0_20block_scan_algorithmE0ELj4294967295EEENS1_25partition_config_selectorILNS1_17partition_subalgoE4EjNS0_10empty_typeEbEEZZNS1_14partition_implILS8_4ELb0ES6_15HIP_vector_typeIjLj2EENS0_17counting_iteratorIjlEEPS9_SG_NS0_5tupleIJPjSI_NS0_16reverse_iteratorISI_EEEEENSH_IJSG_SG_SG_EEES9_SI_JZNS1_25segmented_radix_sort_implINS0_14default_configELb0EPKfPfPKlPlN2at6native12_GLOBAL__N_18offset_tEEE10hipError_tPvRmT1_PNSt15iterator_traitsIS12_E10value_typeET2_T3_PNS13_IS18_E10value_typeET4_jRbjT5_S1E_jjP12ihipStream_tbEUljE_ZNSN_ISO_Lb0ESQ_SR_ST_SU_SY_EESZ_S10_S11_S12_S16_S17_S18_S1B_S1C_jS1D_jS1E_S1E_jjS1G_bEUljE0_EEESZ_S10_S11_S18_S1C_S1E_T6_T7_T9_mT8_S1G_bDpT10_ENKUlT_T0_E_clISt17integral_constantIbLb0EES1U_EEDaS1P_S1Q_EUlS1P_E_NS1_11comp_targetILNS1_3genE8ELNS1_11target_archE1030ELNS1_3gpuE2ELNS1_3repE0EEENS1_30default_config_static_selectorELNS0_4arch9wavefront6targetE0EEEvS12_
                                        ; -- End function
	.set _ZN7rocprim17ROCPRIM_400000_NS6detail17trampoline_kernelINS0_13select_configILj256ELj13ELNS0_17block_load_methodE3ELS4_3ELS4_3ELNS0_20block_scan_algorithmE0ELj4294967295EEENS1_25partition_config_selectorILNS1_17partition_subalgoE4EjNS0_10empty_typeEbEEZZNS1_14partition_implILS8_4ELb0ES6_15HIP_vector_typeIjLj2EENS0_17counting_iteratorIjlEEPS9_SG_NS0_5tupleIJPjSI_NS0_16reverse_iteratorISI_EEEEENSH_IJSG_SG_SG_EEES9_SI_JZNS1_25segmented_radix_sort_implINS0_14default_configELb0EPKfPfPKlPlN2at6native12_GLOBAL__N_18offset_tEEE10hipError_tPvRmT1_PNSt15iterator_traitsIS12_E10value_typeET2_T3_PNS13_IS18_E10value_typeET4_jRbjT5_S1E_jjP12ihipStream_tbEUljE_ZNSN_ISO_Lb0ESQ_SR_ST_SU_SY_EESZ_S10_S11_S12_S16_S17_S18_S1B_S1C_jS1D_jS1E_S1E_jjS1G_bEUljE0_EEESZ_S10_S11_S18_S1C_S1E_T6_T7_T9_mT8_S1G_bDpT10_ENKUlT_T0_E_clISt17integral_constantIbLb0EES1U_EEDaS1P_S1Q_EUlS1P_E_NS1_11comp_targetILNS1_3genE8ELNS1_11target_archE1030ELNS1_3gpuE2ELNS1_3repE0EEENS1_30default_config_static_selectorELNS0_4arch9wavefront6targetE0EEEvS12_.num_vgpr, 0
	.set _ZN7rocprim17ROCPRIM_400000_NS6detail17trampoline_kernelINS0_13select_configILj256ELj13ELNS0_17block_load_methodE3ELS4_3ELS4_3ELNS0_20block_scan_algorithmE0ELj4294967295EEENS1_25partition_config_selectorILNS1_17partition_subalgoE4EjNS0_10empty_typeEbEEZZNS1_14partition_implILS8_4ELb0ES6_15HIP_vector_typeIjLj2EENS0_17counting_iteratorIjlEEPS9_SG_NS0_5tupleIJPjSI_NS0_16reverse_iteratorISI_EEEEENSH_IJSG_SG_SG_EEES9_SI_JZNS1_25segmented_radix_sort_implINS0_14default_configELb0EPKfPfPKlPlN2at6native12_GLOBAL__N_18offset_tEEE10hipError_tPvRmT1_PNSt15iterator_traitsIS12_E10value_typeET2_T3_PNS13_IS18_E10value_typeET4_jRbjT5_S1E_jjP12ihipStream_tbEUljE_ZNSN_ISO_Lb0ESQ_SR_ST_SU_SY_EESZ_S10_S11_S12_S16_S17_S18_S1B_S1C_jS1D_jS1E_S1E_jjS1G_bEUljE0_EEESZ_S10_S11_S18_S1C_S1E_T6_T7_T9_mT8_S1G_bDpT10_ENKUlT_T0_E_clISt17integral_constantIbLb0EES1U_EEDaS1P_S1Q_EUlS1P_E_NS1_11comp_targetILNS1_3genE8ELNS1_11target_archE1030ELNS1_3gpuE2ELNS1_3repE0EEENS1_30default_config_static_selectorELNS0_4arch9wavefront6targetE0EEEvS12_.num_agpr, 0
	.set _ZN7rocprim17ROCPRIM_400000_NS6detail17trampoline_kernelINS0_13select_configILj256ELj13ELNS0_17block_load_methodE3ELS4_3ELS4_3ELNS0_20block_scan_algorithmE0ELj4294967295EEENS1_25partition_config_selectorILNS1_17partition_subalgoE4EjNS0_10empty_typeEbEEZZNS1_14partition_implILS8_4ELb0ES6_15HIP_vector_typeIjLj2EENS0_17counting_iteratorIjlEEPS9_SG_NS0_5tupleIJPjSI_NS0_16reverse_iteratorISI_EEEEENSH_IJSG_SG_SG_EEES9_SI_JZNS1_25segmented_radix_sort_implINS0_14default_configELb0EPKfPfPKlPlN2at6native12_GLOBAL__N_18offset_tEEE10hipError_tPvRmT1_PNSt15iterator_traitsIS12_E10value_typeET2_T3_PNS13_IS18_E10value_typeET4_jRbjT5_S1E_jjP12ihipStream_tbEUljE_ZNSN_ISO_Lb0ESQ_SR_ST_SU_SY_EESZ_S10_S11_S12_S16_S17_S18_S1B_S1C_jS1D_jS1E_S1E_jjS1G_bEUljE0_EEESZ_S10_S11_S18_S1C_S1E_T6_T7_T9_mT8_S1G_bDpT10_ENKUlT_T0_E_clISt17integral_constantIbLb0EES1U_EEDaS1P_S1Q_EUlS1P_E_NS1_11comp_targetILNS1_3genE8ELNS1_11target_archE1030ELNS1_3gpuE2ELNS1_3repE0EEENS1_30default_config_static_selectorELNS0_4arch9wavefront6targetE0EEEvS12_.numbered_sgpr, 0
	.set _ZN7rocprim17ROCPRIM_400000_NS6detail17trampoline_kernelINS0_13select_configILj256ELj13ELNS0_17block_load_methodE3ELS4_3ELS4_3ELNS0_20block_scan_algorithmE0ELj4294967295EEENS1_25partition_config_selectorILNS1_17partition_subalgoE4EjNS0_10empty_typeEbEEZZNS1_14partition_implILS8_4ELb0ES6_15HIP_vector_typeIjLj2EENS0_17counting_iteratorIjlEEPS9_SG_NS0_5tupleIJPjSI_NS0_16reverse_iteratorISI_EEEEENSH_IJSG_SG_SG_EEES9_SI_JZNS1_25segmented_radix_sort_implINS0_14default_configELb0EPKfPfPKlPlN2at6native12_GLOBAL__N_18offset_tEEE10hipError_tPvRmT1_PNSt15iterator_traitsIS12_E10value_typeET2_T3_PNS13_IS18_E10value_typeET4_jRbjT5_S1E_jjP12ihipStream_tbEUljE_ZNSN_ISO_Lb0ESQ_SR_ST_SU_SY_EESZ_S10_S11_S12_S16_S17_S18_S1B_S1C_jS1D_jS1E_S1E_jjS1G_bEUljE0_EEESZ_S10_S11_S18_S1C_S1E_T6_T7_T9_mT8_S1G_bDpT10_ENKUlT_T0_E_clISt17integral_constantIbLb0EES1U_EEDaS1P_S1Q_EUlS1P_E_NS1_11comp_targetILNS1_3genE8ELNS1_11target_archE1030ELNS1_3gpuE2ELNS1_3repE0EEENS1_30default_config_static_selectorELNS0_4arch9wavefront6targetE0EEEvS12_.num_named_barrier, 0
	.set _ZN7rocprim17ROCPRIM_400000_NS6detail17trampoline_kernelINS0_13select_configILj256ELj13ELNS0_17block_load_methodE3ELS4_3ELS4_3ELNS0_20block_scan_algorithmE0ELj4294967295EEENS1_25partition_config_selectorILNS1_17partition_subalgoE4EjNS0_10empty_typeEbEEZZNS1_14partition_implILS8_4ELb0ES6_15HIP_vector_typeIjLj2EENS0_17counting_iteratorIjlEEPS9_SG_NS0_5tupleIJPjSI_NS0_16reverse_iteratorISI_EEEEENSH_IJSG_SG_SG_EEES9_SI_JZNS1_25segmented_radix_sort_implINS0_14default_configELb0EPKfPfPKlPlN2at6native12_GLOBAL__N_18offset_tEEE10hipError_tPvRmT1_PNSt15iterator_traitsIS12_E10value_typeET2_T3_PNS13_IS18_E10value_typeET4_jRbjT5_S1E_jjP12ihipStream_tbEUljE_ZNSN_ISO_Lb0ESQ_SR_ST_SU_SY_EESZ_S10_S11_S12_S16_S17_S18_S1B_S1C_jS1D_jS1E_S1E_jjS1G_bEUljE0_EEESZ_S10_S11_S18_S1C_S1E_T6_T7_T9_mT8_S1G_bDpT10_ENKUlT_T0_E_clISt17integral_constantIbLb0EES1U_EEDaS1P_S1Q_EUlS1P_E_NS1_11comp_targetILNS1_3genE8ELNS1_11target_archE1030ELNS1_3gpuE2ELNS1_3repE0EEENS1_30default_config_static_selectorELNS0_4arch9wavefront6targetE0EEEvS12_.private_seg_size, 0
	.set _ZN7rocprim17ROCPRIM_400000_NS6detail17trampoline_kernelINS0_13select_configILj256ELj13ELNS0_17block_load_methodE3ELS4_3ELS4_3ELNS0_20block_scan_algorithmE0ELj4294967295EEENS1_25partition_config_selectorILNS1_17partition_subalgoE4EjNS0_10empty_typeEbEEZZNS1_14partition_implILS8_4ELb0ES6_15HIP_vector_typeIjLj2EENS0_17counting_iteratorIjlEEPS9_SG_NS0_5tupleIJPjSI_NS0_16reverse_iteratorISI_EEEEENSH_IJSG_SG_SG_EEES9_SI_JZNS1_25segmented_radix_sort_implINS0_14default_configELb0EPKfPfPKlPlN2at6native12_GLOBAL__N_18offset_tEEE10hipError_tPvRmT1_PNSt15iterator_traitsIS12_E10value_typeET2_T3_PNS13_IS18_E10value_typeET4_jRbjT5_S1E_jjP12ihipStream_tbEUljE_ZNSN_ISO_Lb0ESQ_SR_ST_SU_SY_EESZ_S10_S11_S12_S16_S17_S18_S1B_S1C_jS1D_jS1E_S1E_jjS1G_bEUljE0_EEESZ_S10_S11_S18_S1C_S1E_T6_T7_T9_mT8_S1G_bDpT10_ENKUlT_T0_E_clISt17integral_constantIbLb0EES1U_EEDaS1P_S1Q_EUlS1P_E_NS1_11comp_targetILNS1_3genE8ELNS1_11target_archE1030ELNS1_3gpuE2ELNS1_3repE0EEENS1_30default_config_static_selectorELNS0_4arch9wavefront6targetE0EEEvS12_.uses_vcc, 0
	.set _ZN7rocprim17ROCPRIM_400000_NS6detail17trampoline_kernelINS0_13select_configILj256ELj13ELNS0_17block_load_methodE3ELS4_3ELS4_3ELNS0_20block_scan_algorithmE0ELj4294967295EEENS1_25partition_config_selectorILNS1_17partition_subalgoE4EjNS0_10empty_typeEbEEZZNS1_14partition_implILS8_4ELb0ES6_15HIP_vector_typeIjLj2EENS0_17counting_iteratorIjlEEPS9_SG_NS0_5tupleIJPjSI_NS0_16reverse_iteratorISI_EEEEENSH_IJSG_SG_SG_EEES9_SI_JZNS1_25segmented_radix_sort_implINS0_14default_configELb0EPKfPfPKlPlN2at6native12_GLOBAL__N_18offset_tEEE10hipError_tPvRmT1_PNSt15iterator_traitsIS12_E10value_typeET2_T3_PNS13_IS18_E10value_typeET4_jRbjT5_S1E_jjP12ihipStream_tbEUljE_ZNSN_ISO_Lb0ESQ_SR_ST_SU_SY_EESZ_S10_S11_S12_S16_S17_S18_S1B_S1C_jS1D_jS1E_S1E_jjS1G_bEUljE0_EEESZ_S10_S11_S18_S1C_S1E_T6_T7_T9_mT8_S1G_bDpT10_ENKUlT_T0_E_clISt17integral_constantIbLb0EES1U_EEDaS1P_S1Q_EUlS1P_E_NS1_11comp_targetILNS1_3genE8ELNS1_11target_archE1030ELNS1_3gpuE2ELNS1_3repE0EEENS1_30default_config_static_selectorELNS0_4arch9wavefront6targetE0EEEvS12_.uses_flat_scratch, 0
	.set _ZN7rocprim17ROCPRIM_400000_NS6detail17trampoline_kernelINS0_13select_configILj256ELj13ELNS0_17block_load_methodE3ELS4_3ELS4_3ELNS0_20block_scan_algorithmE0ELj4294967295EEENS1_25partition_config_selectorILNS1_17partition_subalgoE4EjNS0_10empty_typeEbEEZZNS1_14partition_implILS8_4ELb0ES6_15HIP_vector_typeIjLj2EENS0_17counting_iteratorIjlEEPS9_SG_NS0_5tupleIJPjSI_NS0_16reverse_iteratorISI_EEEEENSH_IJSG_SG_SG_EEES9_SI_JZNS1_25segmented_radix_sort_implINS0_14default_configELb0EPKfPfPKlPlN2at6native12_GLOBAL__N_18offset_tEEE10hipError_tPvRmT1_PNSt15iterator_traitsIS12_E10value_typeET2_T3_PNS13_IS18_E10value_typeET4_jRbjT5_S1E_jjP12ihipStream_tbEUljE_ZNSN_ISO_Lb0ESQ_SR_ST_SU_SY_EESZ_S10_S11_S12_S16_S17_S18_S1B_S1C_jS1D_jS1E_S1E_jjS1G_bEUljE0_EEESZ_S10_S11_S18_S1C_S1E_T6_T7_T9_mT8_S1G_bDpT10_ENKUlT_T0_E_clISt17integral_constantIbLb0EES1U_EEDaS1P_S1Q_EUlS1P_E_NS1_11comp_targetILNS1_3genE8ELNS1_11target_archE1030ELNS1_3gpuE2ELNS1_3repE0EEENS1_30default_config_static_selectorELNS0_4arch9wavefront6targetE0EEEvS12_.has_dyn_sized_stack, 0
	.set _ZN7rocprim17ROCPRIM_400000_NS6detail17trampoline_kernelINS0_13select_configILj256ELj13ELNS0_17block_load_methodE3ELS4_3ELS4_3ELNS0_20block_scan_algorithmE0ELj4294967295EEENS1_25partition_config_selectorILNS1_17partition_subalgoE4EjNS0_10empty_typeEbEEZZNS1_14partition_implILS8_4ELb0ES6_15HIP_vector_typeIjLj2EENS0_17counting_iteratorIjlEEPS9_SG_NS0_5tupleIJPjSI_NS0_16reverse_iteratorISI_EEEEENSH_IJSG_SG_SG_EEES9_SI_JZNS1_25segmented_radix_sort_implINS0_14default_configELb0EPKfPfPKlPlN2at6native12_GLOBAL__N_18offset_tEEE10hipError_tPvRmT1_PNSt15iterator_traitsIS12_E10value_typeET2_T3_PNS13_IS18_E10value_typeET4_jRbjT5_S1E_jjP12ihipStream_tbEUljE_ZNSN_ISO_Lb0ESQ_SR_ST_SU_SY_EESZ_S10_S11_S12_S16_S17_S18_S1B_S1C_jS1D_jS1E_S1E_jjS1G_bEUljE0_EEESZ_S10_S11_S18_S1C_S1E_T6_T7_T9_mT8_S1G_bDpT10_ENKUlT_T0_E_clISt17integral_constantIbLb0EES1U_EEDaS1P_S1Q_EUlS1P_E_NS1_11comp_targetILNS1_3genE8ELNS1_11target_archE1030ELNS1_3gpuE2ELNS1_3repE0EEENS1_30default_config_static_selectorELNS0_4arch9wavefront6targetE0EEEvS12_.has_recursion, 0
	.set _ZN7rocprim17ROCPRIM_400000_NS6detail17trampoline_kernelINS0_13select_configILj256ELj13ELNS0_17block_load_methodE3ELS4_3ELS4_3ELNS0_20block_scan_algorithmE0ELj4294967295EEENS1_25partition_config_selectorILNS1_17partition_subalgoE4EjNS0_10empty_typeEbEEZZNS1_14partition_implILS8_4ELb0ES6_15HIP_vector_typeIjLj2EENS0_17counting_iteratorIjlEEPS9_SG_NS0_5tupleIJPjSI_NS0_16reverse_iteratorISI_EEEEENSH_IJSG_SG_SG_EEES9_SI_JZNS1_25segmented_radix_sort_implINS0_14default_configELb0EPKfPfPKlPlN2at6native12_GLOBAL__N_18offset_tEEE10hipError_tPvRmT1_PNSt15iterator_traitsIS12_E10value_typeET2_T3_PNS13_IS18_E10value_typeET4_jRbjT5_S1E_jjP12ihipStream_tbEUljE_ZNSN_ISO_Lb0ESQ_SR_ST_SU_SY_EESZ_S10_S11_S12_S16_S17_S18_S1B_S1C_jS1D_jS1E_S1E_jjS1G_bEUljE0_EEESZ_S10_S11_S18_S1C_S1E_T6_T7_T9_mT8_S1G_bDpT10_ENKUlT_T0_E_clISt17integral_constantIbLb0EES1U_EEDaS1P_S1Q_EUlS1P_E_NS1_11comp_targetILNS1_3genE8ELNS1_11target_archE1030ELNS1_3gpuE2ELNS1_3repE0EEENS1_30default_config_static_selectorELNS0_4arch9wavefront6targetE0EEEvS12_.has_indirect_call, 0
	.section	.AMDGPU.csdata,"",@progbits
; Kernel info:
; codeLenInByte = 0
; TotalNumSgprs: 0
; NumVgprs: 0
; ScratchSize: 0
; MemoryBound: 0
; FloatMode: 240
; IeeeMode: 1
; LDSByteSize: 0 bytes/workgroup (compile time only)
; SGPRBlocks: 0
; VGPRBlocks: 0
; NumSGPRsForWavesPerEU: 1
; NumVGPRsForWavesPerEU: 1
; NamedBarCnt: 0
; Occupancy: 16
; WaveLimiterHint : 0
; COMPUTE_PGM_RSRC2:SCRATCH_EN: 0
; COMPUTE_PGM_RSRC2:USER_SGPR: 2
; COMPUTE_PGM_RSRC2:TRAP_HANDLER: 0
; COMPUTE_PGM_RSRC2:TGID_X_EN: 1
; COMPUTE_PGM_RSRC2:TGID_Y_EN: 0
; COMPUTE_PGM_RSRC2:TGID_Z_EN: 0
; COMPUTE_PGM_RSRC2:TIDIG_COMP_CNT: 0
	.section	.text._ZN7rocprim17ROCPRIM_400000_NS6detail17trampoline_kernelINS0_13select_configILj256ELj13ELNS0_17block_load_methodE3ELS4_3ELS4_3ELNS0_20block_scan_algorithmE0ELj4294967295EEENS1_25partition_config_selectorILNS1_17partition_subalgoE4EjNS0_10empty_typeEbEEZZNS1_14partition_implILS8_4ELb0ES6_15HIP_vector_typeIjLj2EENS0_17counting_iteratorIjlEEPS9_SG_NS0_5tupleIJPjSI_NS0_16reverse_iteratorISI_EEEEENSH_IJSG_SG_SG_EEES9_SI_JZNS1_25segmented_radix_sort_implINS0_14default_configELb0EPKfPfPKlPlN2at6native12_GLOBAL__N_18offset_tEEE10hipError_tPvRmT1_PNSt15iterator_traitsIS12_E10value_typeET2_T3_PNS13_IS18_E10value_typeET4_jRbjT5_S1E_jjP12ihipStream_tbEUljE_ZNSN_ISO_Lb0ESQ_SR_ST_SU_SY_EESZ_S10_S11_S12_S16_S17_S18_S1B_S1C_jS1D_jS1E_S1E_jjS1G_bEUljE0_EEESZ_S10_S11_S18_S1C_S1E_T6_T7_T9_mT8_S1G_bDpT10_ENKUlT_T0_E_clISt17integral_constantIbLb1EES1U_EEDaS1P_S1Q_EUlS1P_E_NS1_11comp_targetILNS1_3genE0ELNS1_11target_archE4294967295ELNS1_3gpuE0ELNS1_3repE0EEENS1_30default_config_static_selectorELNS0_4arch9wavefront6targetE0EEEvS12_,"axG",@progbits,_ZN7rocprim17ROCPRIM_400000_NS6detail17trampoline_kernelINS0_13select_configILj256ELj13ELNS0_17block_load_methodE3ELS4_3ELS4_3ELNS0_20block_scan_algorithmE0ELj4294967295EEENS1_25partition_config_selectorILNS1_17partition_subalgoE4EjNS0_10empty_typeEbEEZZNS1_14partition_implILS8_4ELb0ES6_15HIP_vector_typeIjLj2EENS0_17counting_iteratorIjlEEPS9_SG_NS0_5tupleIJPjSI_NS0_16reverse_iteratorISI_EEEEENSH_IJSG_SG_SG_EEES9_SI_JZNS1_25segmented_radix_sort_implINS0_14default_configELb0EPKfPfPKlPlN2at6native12_GLOBAL__N_18offset_tEEE10hipError_tPvRmT1_PNSt15iterator_traitsIS12_E10value_typeET2_T3_PNS13_IS18_E10value_typeET4_jRbjT5_S1E_jjP12ihipStream_tbEUljE_ZNSN_ISO_Lb0ESQ_SR_ST_SU_SY_EESZ_S10_S11_S12_S16_S17_S18_S1B_S1C_jS1D_jS1E_S1E_jjS1G_bEUljE0_EEESZ_S10_S11_S18_S1C_S1E_T6_T7_T9_mT8_S1G_bDpT10_ENKUlT_T0_E_clISt17integral_constantIbLb1EES1U_EEDaS1P_S1Q_EUlS1P_E_NS1_11comp_targetILNS1_3genE0ELNS1_11target_archE4294967295ELNS1_3gpuE0ELNS1_3repE0EEENS1_30default_config_static_selectorELNS0_4arch9wavefront6targetE0EEEvS12_,comdat
	.globl	_ZN7rocprim17ROCPRIM_400000_NS6detail17trampoline_kernelINS0_13select_configILj256ELj13ELNS0_17block_load_methodE3ELS4_3ELS4_3ELNS0_20block_scan_algorithmE0ELj4294967295EEENS1_25partition_config_selectorILNS1_17partition_subalgoE4EjNS0_10empty_typeEbEEZZNS1_14partition_implILS8_4ELb0ES6_15HIP_vector_typeIjLj2EENS0_17counting_iteratorIjlEEPS9_SG_NS0_5tupleIJPjSI_NS0_16reverse_iteratorISI_EEEEENSH_IJSG_SG_SG_EEES9_SI_JZNS1_25segmented_radix_sort_implINS0_14default_configELb0EPKfPfPKlPlN2at6native12_GLOBAL__N_18offset_tEEE10hipError_tPvRmT1_PNSt15iterator_traitsIS12_E10value_typeET2_T3_PNS13_IS18_E10value_typeET4_jRbjT5_S1E_jjP12ihipStream_tbEUljE_ZNSN_ISO_Lb0ESQ_SR_ST_SU_SY_EESZ_S10_S11_S12_S16_S17_S18_S1B_S1C_jS1D_jS1E_S1E_jjS1G_bEUljE0_EEESZ_S10_S11_S18_S1C_S1E_T6_T7_T9_mT8_S1G_bDpT10_ENKUlT_T0_E_clISt17integral_constantIbLb1EES1U_EEDaS1P_S1Q_EUlS1P_E_NS1_11comp_targetILNS1_3genE0ELNS1_11target_archE4294967295ELNS1_3gpuE0ELNS1_3repE0EEENS1_30default_config_static_selectorELNS0_4arch9wavefront6targetE0EEEvS12_ ; -- Begin function _ZN7rocprim17ROCPRIM_400000_NS6detail17trampoline_kernelINS0_13select_configILj256ELj13ELNS0_17block_load_methodE3ELS4_3ELS4_3ELNS0_20block_scan_algorithmE0ELj4294967295EEENS1_25partition_config_selectorILNS1_17partition_subalgoE4EjNS0_10empty_typeEbEEZZNS1_14partition_implILS8_4ELb0ES6_15HIP_vector_typeIjLj2EENS0_17counting_iteratorIjlEEPS9_SG_NS0_5tupleIJPjSI_NS0_16reverse_iteratorISI_EEEEENSH_IJSG_SG_SG_EEES9_SI_JZNS1_25segmented_radix_sort_implINS0_14default_configELb0EPKfPfPKlPlN2at6native12_GLOBAL__N_18offset_tEEE10hipError_tPvRmT1_PNSt15iterator_traitsIS12_E10value_typeET2_T3_PNS13_IS18_E10value_typeET4_jRbjT5_S1E_jjP12ihipStream_tbEUljE_ZNSN_ISO_Lb0ESQ_SR_ST_SU_SY_EESZ_S10_S11_S12_S16_S17_S18_S1B_S1C_jS1D_jS1E_S1E_jjS1G_bEUljE0_EEESZ_S10_S11_S18_S1C_S1E_T6_T7_T9_mT8_S1G_bDpT10_ENKUlT_T0_E_clISt17integral_constantIbLb1EES1U_EEDaS1P_S1Q_EUlS1P_E_NS1_11comp_targetILNS1_3genE0ELNS1_11target_archE4294967295ELNS1_3gpuE0ELNS1_3repE0EEENS1_30default_config_static_selectorELNS0_4arch9wavefront6targetE0EEEvS12_
	.p2align	8
	.type	_ZN7rocprim17ROCPRIM_400000_NS6detail17trampoline_kernelINS0_13select_configILj256ELj13ELNS0_17block_load_methodE3ELS4_3ELS4_3ELNS0_20block_scan_algorithmE0ELj4294967295EEENS1_25partition_config_selectorILNS1_17partition_subalgoE4EjNS0_10empty_typeEbEEZZNS1_14partition_implILS8_4ELb0ES6_15HIP_vector_typeIjLj2EENS0_17counting_iteratorIjlEEPS9_SG_NS0_5tupleIJPjSI_NS0_16reverse_iteratorISI_EEEEENSH_IJSG_SG_SG_EEES9_SI_JZNS1_25segmented_radix_sort_implINS0_14default_configELb0EPKfPfPKlPlN2at6native12_GLOBAL__N_18offset_tEEE10hipError_tPvRmT1_PNSt15iterator_traitsIS12_E10value_typeET2_T3_PNS13_IS18_E10value_typeET4_jRbjT5_S1E_jjP12ihipStream_tbEUljE_ZNSN_ISO_Lb0ESQ_SR_ST_SU_SY_EESZ_S10_S11_S12_S16_S17_S18_S1B_S1C_jS1D_jS1E_S1E_jjS1G_bEUljE0_EEESZ_S10_S11_S18_S1C_S1E_T6_T7_T9_mT8_S1G_bDpT10_ENKUlT_T0_E_clISt17integral_constantIbLb1EES1U_EEDaS1P_S1Q_EUlS1P_E_NS1_11comp_targetILNS1_3genE0ELNS1_11target_archE4294967295ELNS1_3gpuE0ELNS1_3repE0EEENS1_30default_config_static_selectorELNS0_4arch9wavefront6targetE0EEEvS12_,@function
_ZN7rocprim17ROCPRIM_400000_NS6detail17trampoline_kernelINS0_13select_configILj256ELj13ELNS0_17block_load_methodE3ELS4_3ELS4_3ELNS0_20block_scan_algorithmE0ELj4294967295EEENS1_25partition_config_selectorILNS1_17partition_subalgoE4EjNS0_10empty_typeEbEEZZNS1_14partition_implILS8_4ELb0ES6_15HIP_vector_typeIjLj2EENS0_17counting_iteratorIjlEEPS9_SG_NS0_5tupleIJPjSI_NS0_16reverse_iteratorISI_EEEEENSH_IJSG_SG_SG_EEES9_SI_JZNS1_25segmented_radix_sort_implINS0_14default_configELb0EPKfPfPKlPlN2at6native12_GLOBAL__N_18offset_tEEE10hipError_tPvRmT1_PNSt15iterator_traitsIS12_E10value_typeET2_T3_PNS13_IS18_E10value_typeET4_jRbjT5_S1E_jjP12ihipStream_tbEUljE_ZNSN_ISO_Lb0ESQ_SR_ST_SU_SY_EESZ_S10_S11_S12_S16_S17_S18_S1B_S1C_jS1D_jS1E_S1E_jjS1G_bEUljE0_EEESZ_S10_S11_S18_S1C_S1E_T6_T7_T9_mT8_S1G_bDpT10_ENKUlT_T0_E_clISt17integral_constantIbLb1EES1U_EEDaS1P_S1Q_EUlS1P_E_NS1_11comp_targetILNS1_3genE0ELNS1_11target_archE4294967295ELNS1_3gpuE0ELNS1_3repE0EEENS1_30default_config_static_selectorELNS0_4arch9wavefront6targetE0EEEvS12_: ; @_ZN7rocprim17ROCPRIM_400000_NS6detail17trampoline_kernelINS0_13select_configILj256ELj13ELNS0_17block_load_methodE3ELS4_3ELS4_3ELNS0_20block_scan_algorithmE0ELj4294967295EEENS1_25partition_config_selectorILNS1_17partition_subalgoE4EjNS0_10empty_typeEbEEZZNS1_14partition_implILS8_4ELb0ES6_15HIP_vector_typeIjLj2EENS0_17counting_iteratorIjlEEPS9_SG_NS0_5tupleIJPjSI_NS0_16reverse_iteratorISI_EEEEENSH_IJSG_SG_SG_EEES9_SI_JZNS1_25segmented_radix_sort_implINS0_14default_configELb0EPKfPfPKlPlN2at6native12_GLOBAL__N_18offset_tEEE10hipError_tPvRmT1_PNSt15iterator_traitsIS12_E10value_typeET2_T3_PNS13_IS18_E10value_typeET4_jRbjT5_S1E_jjP12ihipStream_tbEUljE_ZNSN_ISO_Lb0ESQ_SR_ST_SU_SY_EESZ_S10_S11_S12_S16_S17_S18_S1B_S1C_jS1D_jS1E_S1E_jjS1G_bEUljE0_EEESZ_S10_S11_S18_S1C_S1E_T6_T7_T9_mT8_S1G_bDpT10_ENKUlT_T0_E_clISt17integral_constantIbLb1EES1U_EEDaS1P_S1Q_EUlS1P_E_NS1_11comp_targetILNS1_3genE0ELNS1_11target_archE4294967295ELNS1_3gpuE0ELNS1_3repE0EEENS1_30default_config_static_selectorELNS0_4arch9wavefront6targetE0EEEvS12_
; %bb.0:
	s_endpgm
	.section	.rodata,"a",@progbits
	.p2align	6, 0x0
	.amdhsa_kernel _ZN7rocprim17ROCPRIM_400000_NS6detail17trampoline_kernelINS0_13select_configILj256ELj13ELNS0_17block_load_methodE3ELS4_3ELS4_3ELNS0_20block_scan_algorithmE0ELj4294967295EEENS1_25partition_config_selectorILNS1_17partition_subalgoE4EjNS0_10empty_typeEbEEZZNS1_14partition_implILS8_4ELb0ES6_15HIP_vector_typeIjLj2EENS0_17counting_iteratorIjlEEPS9_SG_NS0_5tupleIJPjSI_NS0_16reverse_iteratorISI_EEEEENSH_IJSG_SG_SG_EEES9_SI_JZNS1_25segmented_radix_sort_implINS0_14default_configELb0EPKfPfPKlPlN2at6native12_GLOBAL__N_18offset_tEEE10hipError_tPvRmT1_PNSt15iterator_traitsIS12_E10value_typeET2_T3_PNS13_IS18_E10value_typeET4_jRbjT5_S1E_jjP12ihipStream_tbEUljE_ZNSN_ISO_Lb0ESQ_SR_ST_SU_SY_EESZ_S10_S11_S12_S16_S17_S18_S1B_S1C_jS1D_jS1E_S1E_jjS1G_bEUljE0_EEESZ_S10_S11_S18_S1C_S1E_T6_T7_T9_mT8_S1G_bDpT10_ENKUlT_T0_E_clISt17integral_constantIbLb1EES1U_EEDaS1P_S1Q_EUlS1P_E_NS1_11comp_targetILNS1_3genE0ELNS1_11target_archE4294967295ELNS1_3gpuE0ELNS1_3repE0EEENS1_30default_config_static_selectorELNS0_4arch9wavefront6targetE0EEEvS12_
		.amdhsa_group_segment_fixed_size 0
		.amdhsa_private_segment_fixed_size 0
		.amdhsa_kernarg_size 184
		.amdhsa_user_sgpr_count 2
		.amdhsa_user_sgpr_dispatch_ptr 0
		.amdhsa_user_sgpr_queue_ptr 0
		.amdhsa_user_sgpr_kernarg_segment_ptr 1
		.amdhsa_user_sgpr_dispatch_id 0
		.amdhsa_user_sgpr_kernarg_preload_length 0
		.amdhsa_user_sgpr_kernarg_preload_offset 0
		.amdhsa_user_sgpr_private_segment_size 0
		.amdhsa_wavefront_size32 1
		.amdhsa_uses_dynamic_stack 0
		.amdhsa_enable_private_segment 0
		.amdhsa_system_sgpr_workgroup_id_x 1
		.amdhsa_system_sgpr_workgroup_id_y 0
		.amdhsa_system_sgpr_workgroup_id_z 0
		.amdhsa_system_sgpr_workgroup_info 0
		.amdhsa_system_vgpr_workitem_id 0
		.amdhsa_next_free_vgpr 1
		.amdhsa_next_free_sgpr 1
		.amdhsa_named_barrier_count 0
		.amdhsa_reserve_vcc 0
		.amdhsa_float_round_mode_32 0
		.amdhsa_float_round_mode_16_64 0
		.amdhsa_float_denorm_mode_32 3
		.amdhsa_float_denorm_mode_16_64 3
		.amdhsa_fp16_overflow 0
		.amdhsa_memory_ordered 1
		.amdhsa_forward_progress 1
		.amdhsa_inst_pref_size 1
		.amdhsa_round_robin_scheduling 0
		.amdhsa_exception_fp_ieee_invalid_op 0
		.amdhsa_exception_fp_denorm_src 0
		.amdhsa_exception_fp_ieee_div_zero 0
		.amdhsa_exception_fp_ieee_overflow 0
		.amdhsa_exception_fp_ieee_underflow 0
		.amdhsa_exception_fp_ieee_inexact 0
		.amdhsa_exception_int_div_zero 0
	.end_amdhsa_kernel
	.section	.text._ZN7rocprim17ROCPRIM_400000_NS6detail17trampoline_kernelINS0_13select_configILj256ELj13ELNS0_17block_load_methodE3ELS4_3ELS4_3ELNS0_20block_scan_algorithmE0ELj4294967295EEENS1_25partition_config_selectorILNS1_17partition_subalgoE4EjNS0_10empty_typeEbEEZZNS1_14partition_implILS8_4ELb0ES6_15HIP_vector_typeIjLj2EENS0_17counting_iteratorIjlEEPS9_SG_NS0_5tupleIJPjSI_NS0_16reverse_iteratorISI_EEEEENSH_IJSG_SG_SG_EEES9_SI_JZNS1_25segmented_radix_sort_implINS0_14default_configELb0EPKfPfPKlPlN2at6native12_GLOBAL__N_18offset_tEEE10hipError_tPvRmT1_PNSt15iterator_traitsIS12_E10value_typeET2_T3_PNS13_IS18_E10value_typeET4_jRbjT5_S1E_jjP12ihipStream_tbEUljE_ZNSN_ISO_Lb0ESQ_SR_ST_SU_SY_EESZ_S10_S11_S12_S16_S17_S18_S1B_S1C_jS1D_jS1E_S1E_jjS1G_bEUljE0_EEESZ_S10_S11_S18_S1C_S1E_T6_T7_T9_mT8_S1G_bDpT10_ENKUlT_T0_E_clISt17integral_constantIbLb1EES1U_EEDaS1P_S1Q_EUlS1P_E_NS1_11comp_targetILNS1_3genE0ELNS1_11target_archE4294967295ELNS1_3gpuE0ELNS1_3repE0EEENS1_30default_config_static_selectorELNS0_4arch9wavefront6targetE0EEEvS12_,"axG",@progbits,_ZN7rocprim17ROCPRIM_400000_NS6detail17trampoline_kernelINS0_13select_configILj256ELj13ELNS0_17block_load_methodE3ELS4_3ELS4_3ELNS0_20block_scan_algorithmE0ELj4294967295EEENS1_25partition_config_selectorILNS1_17partition_subalgoE4EjNS0_10empty_typeEbEEZZNS1_14partition_implILS8_4ELb0ES6_15HIP_vector_typeIjLj2EENS0_17counting_iteratorIjlEEPS9_SG_NS0_5tupleIJPjSI_NS0_16reverse_iteratorISI_EEEEENSH_IJSG_SG_SG_EEES9_SI_JZNS1_25segmented_radix_sort_implINS0_14default_configELb0EPKfPfPKlPlN2at6native12_GLOBAL__N_18offset_tEEE10hipError_tPvRmT1_PNSt15iterator_traitsIS12_E10value_typeET2_T3_PNS13_IS18_E10value_typeET4_jRbjT5_S1E_jjP12ihipStream_tbEUljE_ZNSN_ISO_Lb0ESQ_SR_ST_SU_SY_EESZ_S10_S11_S12_S16_S17_S18_S1B_S1C_jS1D_jS1E_S1E_jjS1G_bEUljE0_EEESZ_S10_S11_S18_S1C_S1E_T6_T7_T9_mT8_S1G_bDpT10_ENKUlT_T0_E_clISt17integral_constantIbLb1EES1U_EEDaS1P_S1Q_EUlS1P_E_NS1_11comp_targetILNS1_3genE0ELNS1_11target_archE4294967295ELNS1_3gpuE0ELNS1_3repE0EEENS1_30default_config_static_selectorELNS0_4arch9wavefront6targetE0EEEvS12_,comdat
.Lfunc_end1365:
	.size	_ZN7rocprim17ROCPRIM_400000_NS6detail17trampoline_kernelINS0_13select_configILj256ELj13ELNS0_17block_load_methodE3ELS4_3ELS4_3ELNS0_20block_scan_algorithmE0ELj4294967295EEENS1_25partition_config_selectorILNS1_17partition_subalgoE4EjNS0_10empty_typeEbEEZZNS1_14partition_implILS8_4ELb0ES6_15HIP_vector_typeIjLj2EENS0_17counting_iteratorIjlEEPS9_SG_NS0_5tupleIJPjSI_NS0_16reverse_iteratorISI_EEEEENSH_IJSG_SG_SG_EEES9_SI_JZNS1_25segmented_radix_sort_implINS0_14default_configELb0EPKfPfPKlPlN2at6native12_GLOBAL__N_18offset_tEEE10hipError_tPvRmT1_PNSt15iterator_traitsIS12_E10value_typeET2_T3_PNS13_IS18_E10value_typeET4_jRbjT5_S1E_jjP12ihipStream_tbEUljE_ZNSN_ISO_Lb0ESQ_SR_ST_SU_SY_EESZ_S10_S11_S12_S16_S17_S18_S1B_S1C_jS1D_jS1E_S1E_jjS1G_bEUljE0_EEESZ_S10_S11_S18_S1C_S1E_T6_T7_T9_mT8_S1G_bDpT10_ENKUlT_T0_E_clISt17integral_constantIbLb1EES1U_EEDaS1P_S1Q_EUlS1P_E_NS1_11comp_targetILNS1_3genE0ELNS1_11target_archE4294967295ELNS1_3gpuE0ELNS1_3repE0EEENS1_30default_config_static_selectorELNS0_4arch9wavefront6targetE0EEEvS12_, .Lfunc_end1365-_ZN7rocprim17ROCPRIM_400000_NS6detail17trampoline_kernelINS0_13select_configILj256ELj13ELNS0_17block_load_methodE3ELS4_3ELS4_3ELNS0_20block_scan_algorithmE0ELj4294967295EEENS1_25partition_config_selectorILNS1_17partition_subalgoE4EjNS0_10empty_typeEbEEZZNS1_14partition_implILS8_4ELb0ES6_15HIP_vector_typeIjLj2EENS0_17counting_iteratorIjlEEPS9_SG_NS0_5tupleIJPjSI_NS0_16reverse_iteratorISI_EEEEENSH_IJSG_SG_SG_EEES9_SI_JZNS1_25segmented_radix_sort_implINS0_14default_configELb0EPKfPfPKlPlN2at6native12_GLOBAL__N_18offset_tEEE10hipError_tPvRmT1_PNSt15iterator_traitsIS12_E10value_typeET2_T3_PNS13_IS18_E10value_typeET4_jRbjT5_S1E_jjP12ihipStream_tbEUljE_ZNSN_ISO_Lb0ESQ_SR_ST_SU_SY_EESZ_S10_S11_S12_S16_S17_S18_S1B_S1C_jS1D_jS1E_S1E_jjS1G_bEUljE0_EEESZ_S10_S11_S18_S1C_S1E_T6_T7_T9_mT8_S1G_bDpT10_ENKUlT_T0_E_clISt17integral_constantIbLb1EES1U_EEDaS1P_S1Q_EUlS1P_E_NS1_11comp_targetILNS1_3genE0ELNS1_11target_archE4294967295ELNS1_3gpuE0ELNS1_3repE0EEENS1_30default_config_static_selectorELNS0_4arch9wavefront6targetE0EEEvS12_
                                        ; -- End function
	.set _ZN7rocprim17ROCPRIM_400000_NS6detail17trampoline_kernelINS0_13select_configILj256ELj13ELNS0_17block_load_methodE3ELS4_3ELS4_3ELNS0_20block_scan_algorithmE0ELj4294967295EEENS1_25partition_config_selectorILNS1_17partition_subalgoE4EjNS0_10empty_typeEbEEZZNS1_14partition_implILS8_4ELb0ES6_15HIP_vector_typeIjLj2EENS0_17counting_iteratorIjlEEPS9_SG_NS0_5tupleIJPjSI_NS0_16reverse_iteratorISI_EEEEENSH_IJSG_SG_SG_EEES9_SI_JZNS1_25segmented_radix_sort_implINS0_14default_configELb0EPKfPfPKlPlN2at6native12_GLOBAL__N_18offset_tEEE10hipError_tPvRmT1_PNSt15iterator_traitsIS12_E10value_typeET2_T3_PNS13_IS18_E10value_typeET4_jRbjT5_S1E_jjP12ihipStream_tbEUljE_ZNSN_ISO_Lb0ESQ_SR_ST_SU_SY_EESZ_S10_S11_S12_S16_S17_S18_S1B_S1C_jS1D_jS1E_S1E_jjS1G_bEUljE0_EEESZ_S10_S11_S18_S1C_S1E_T6_T7_T9_mT8_S1G_bDpT10_ENKUlT_T0_E_clISt17integral_constantIbLb1EES1U_EEDaS1P_S1Q_EUlS1P_E_NS1_11comp_targetILNS1_3genE0ELNS1_11target_archE4294967295ELNS1_3gpuE0ELNS1_3repE0EEENS1_30default_config_static_selectorELNS0_4arch9wavefront6targetE0EEEvS12_.num_vgpr, 0
	.set _ZN7rocprim17ROCPRIM_400000_NS6detail17trampoline_kernelINS0_13select_configILj256ELj13ELNS0_17block_load_methodE3ELS4_3ELS4_3ELNS0_20block_scan_algorithmE0ELj4294967295EEENS1_25partition_config_selectorILNS1_17partition_subalgoE4EjNS0_10empty_typeEbEEZZNS1_14partition_implILS8_4ELb0ES6_15HIP_vector_typeIjLj2EENS0_17counting_iteratorIjlEEPS9_SG_NS0_5tupleIJPjSI_NS0_16reverse_iteratorISI_EEEEENSH_IJSG_SG_SG_EEES9_SI_JZNS1_25segmented_radix_sort_implINS0_14default_configELb0EPKfPfPKlPlN2at6native12_GLOBAL__N_18offset_tEEE10hipError_tPvRmT1_PNSt15iterator_traitsIS12_E10value_typeET2_T3_PNS13_IS18_E10value_typeET4_jRbjT5_S1E_jjP12ihipStream_tbEUljE_ZNSN_ISO_Lb0ESQ_SR_ST_SU_SY_EESZ_S10_S11_S12_S16_S17_S18_S1B_S1C_jS1D_jS1E_S1E_jjS1G_bEUljE0_EEESZ_S10_S11_S18_S1C_S1E_T6_T7_T9_mT8_S1G_bDpT10_ENKUlT_T0_E_clISt17integral_constantIbLb1EES1U_EEDaS1P_S1Q_EUlS1P_E_NS1_11comp_targetILNS1_3genE0ELNS1_11target_archE4294967295ELNS1_3gpuE0ELNS1_3repE0EEENS1_30default_config_static_selectorELNS0_4arch9wavefront6targetE0EEEvS12_.num_agpr, 0
	.set _ZN7rocprim17ROCPRIM_400000_NS6detail17trampoline_kernelINS0_13select_configILj256ELj13ELNS0_17block_load_methodE3ELS4_3ELS4_3ELNS0_20block_scan_algorithmE0ELj4294967295EEENS1_25partition_config_selectorILNS1_17partition_subalgoE4EjNS0_10empty_typeEbEEZZNS1_14partition_implILS8_4ELb0ES6_15HIP_vector_typeIjLj2EENS0_17counting_iteratorIjlEEPS9_SG_NS0_5tupleIJPjSI_NS0_16reverse_iteratorISI_EEEEENSH_IJSG_SG_SG_EEES9_SI_JZNS1_25segmented_radix_sort_implINS0_14default_configELb0EPKfPfPKlPlN2at6native12_GLOBAL__N_18offset_tEEE10hipError_tPvRmT1_PNSt15iterator_traitsIS12_E10value_typeET2_T3_PNS13_IS18_E10value_typeET4_jRbjT5_S1E_jjP12ihipStream_tbEUljE_ZNSN_ISO_Lb0ESQ_SR_ST_SU_SY_EESZ_S10_S11_S12_S16_S17_S18_S1B_S1C_jS1D_jS1E_S1E_jjS1G_bEUljE0_EEESZ_S10_S11_S18_S1C_S1E_T6_T7_T9_mT8_S1G_bDpT10_ENKUlT_T0_E_clISt17integral_constantIbLb1EES1U_EEDaS1P_S1Q_EUlS1P_E_NS1_11comp_targetILNS1_3genE0ELNS1_11target_archE4294967295ELNS1_3gpuE0ELNS1_3repE0EEENS1_30default_config_static_selectorELNS0_4arch9wavefront6targetE0EEEvS12_.numbered_sgpr, 0
	.set _ZN7rocprim17ROCPRIM_400000_NS6detail17trampoline_kernelINS0_13select_configILj256ELj13ELNS0_17block_load_methodE3ELS4_3ELS4_3ELNS0_20block_scan_algorithmE0ELj4294967295EEENS1_25partition_config_selectorILNS1_17partition_subalgoE4EjNS0_10empty_typeEbEEZZNS1_14partition_implILS8_4ELb0ES6_15HIP_vector_typeIjLj2EENS0_17counting_iteratorIjlEEPS9_SG_NS0_5tupleIJPjSI_NS0_16reverse_iteratorISI_EEEEENSH_IJSG_SG_SG_EEES9_SI_JZNS1_25segmented_radix_sort_implINS0_14default_configELb0EPKfPfPKlPlN2at6native12_GLOBAL__N_18offset_tEEE10hipError_tPvRmT1_PNSt15iterator_traitsIS12_E10value_typeET2_T3_PNS13_IS18_E10value_typeET4_jRbjT5_S1E_jjP12ihipStream_tbEUljE_ZNSN_ISO_Lb0ESQ_SR_ST_SU_SY_EESZ_S10_S11_S12_S16_S17_S18_S1B_S1C_jS1D_jS1E_S1E_jjS1G_bEUljE0_EEESZ_S10_S11_S18_S1C_S1E_T6_T7_T9_mT8_S1G_bDpT10_ENKUlT_T0_E_clISt17integral_constantIbLb1EES1U_EEDaS1P_S1Q_EUlS1P_E_NS1_11comp_targetILNS1_3genE0ELNS1_11target_archE4294967295ELNS1_3gpuE0ELNS1_3repE0EEENS1_30default_config_static_selectorELNS0_4arch9wavefront6targetE0EEEvS12_.num_named_barrier, 0
	.set _ZN7rocprim17ROCPRIM_400000_NS6detail17trampoline_kernelINS0_13select_configILj256ELj13ELNS0_17block_load_methodE3ELS4_3ELS4_3ELNS0_20block_scan_algorithmE0ELj4294967295EEENS1_25partition_config_selectorILNS1_17partition_subalgoE4EjNS0_10empty_typeEbEEZZNS1_14partition_implILS8_4ELb0ES6_15HIP_vector_typeIjLj2EENS0_17counting_iteratorIjlEEPS9_SG_NS0_5tupleIJPjSI_NS0_16reverse_iteratorISI_EEEEENSH_IJSG_SG_SG_EEES9_SI_JZNS1_25segmented_radix_sort_implINS0_14default_configELb0EPKfPfPKlPlN2at6native12_GLOBAL__N_18offset_tEEE10hipError_tPvRmT1_PNSt15iterator_traitsIS12_E10value_typeET2_T3_PNS13_IS18_E10value_typeET4_jRbjT5_S1E_jjP12ihipStream_tbEUljE_ZNSN_ISO_Lb0ESQ_SR_ST_SU_SY_EESZ_S10_S11_S12_S16_S17_S18_S1B_S1C_jS1D_jS1E_S1E_jjS1G_bEUljE0_EEESZ_S10_S11_S18_S1C_S1E_T6_T7_T9_mT8_S1G_bDpT10_ENKUlT_T0_E_clISt17integral_constantIbLb1EES1U_EEDaS1P_S1Q_EUlS1P_E_NS1_11comp_targetILNS1_3genE0ELNS1_11target_archE4294967295ELNS1_3gpuE0ELNS1_3repE0EEENS1_30default_config_static_selectorELNS0_4arch9wavefront6targetE0EEEvS12_.private_seg_size, 0
	.set _ZN7rocprim17ROCPRIM_400000_NS6detail17trampoline_kernelINS0_13select_configILj256ELj13ELNS0_17block_load_methodE3ELS4_3ELS4_3ELNS0_20block_scan_algorithmE0ELj4294967295EEENS1_25partition_config_selectorILNS1_17partition_subalgoE4EjNS0_10empty_typeEbEEZZNS1_14partition_implILS8_4ELb0ES6_15HIP_vector_typeIjLj2EENS0_17counting_iteratorIjlEEPS9_SG_NS0_5tupleIJPjSI_NS0_16reverse_iteratorISI_EEEEENSH_IJSG_SG_SG_EEES9_SI_JZNS1_25segmented_radix_sort_implINS0_14default_configELb0EPKfPfPKlPlN2at6native12_GLOBAL__N_18offset_tEEE10hipError_tPvRmT1_PNSt15iterator_traitsIS12_E10value_typeET2_T3_PNS13_IS18_E10value_typeET4_jRbjT5_S1E_jjP12ihipStream_tbEUljE_ZNSN_ISO_Lb0ESQ_SR_ST_SU_SY_EESZ_S10_S11_S12_S16_S17_S18_S1B_S1C_jS1D_jS1E_S1E_jjS1G_bEUljE0_EEESZ_S10_S11_S18_S1C_S1E_T6_T7_T9_mT8_S1G_bDpT10_ENKUlT_T0_E_clISt17integral_constantIbLb1EES1U_EEDaS1P_S1Q_EUlS1P_E_NS1_11comp_targetILNS1_3genE0ELNS1_11target_archE4294967295ELNS1_3gpuE0ELNS1_3repE0EEENS1_30default_config_static_selectorELNS0_4arch9wavefront6targetE0EEEvS12_.uses_vcc, 0
	.set _ZN7rocprim17ROCPRIM_400000_NS6detail17trampoline_kernelINS0_13select_configILj256ELj13ELNS0_17block_load_methodE3ELS4_3ELS4_3ELNS0_20block_scan_algorithmE0ELj4294967295EEENS1_25partition_config_selectorILNS1_17partition_subalgoE4EjNS0_10empty_typeEbEEZZNS1_14partition_implILS8_4ELb0ES6_15HIP_vector_typeIjLj2EENS0_17counting_iteratorIjlEEPS9_SG_NS0_5tupleIJPjSI_NS0_16reverse_iteratorISI_EEEEENSH_IJSG_SG_SG_EEES9_SI_JZNS1_25segmented_radix_sort_implINS0_14default_configELb0EPKfPfPKlPlN2at6native12_GLOBAL__N_18offset_tEEE10hipError_tPvRmT1_PNSt15iterator_traitsIS12_E10value_typeET2_T3_PNS13_IS18_E10value_typeET4_jRbjT5_S1E_jjP12ihipStream_tbEUljE_ZNSN_ISO_Lb0ESQ_SR_ST_SU_SY_EESZ_S10_S11_S12_S16_S17_S18_S1B_S1C_jS1D_jS1E_S1E_jjS1G_bEUljE0_EEESZ_S10_S11_S18_S1C_S1E_T6_T7_T9_mT8_S1G_bDpT10_ENKUlT_T0_E_clISt17integral_constantIbLb1EES1U_EEDaS1P_S1Q_EUlS1P_E_NS1_11comp_targetILNS1_3genE0ELNS1_11target_archE4294967295ELNS1_3gpuE0ELNS1_3repE0EEENS1_30default_config_static_selectorELNS0_4arch9wavefront6targetE0EEEvS12_.uses_flat_scratch, 0
	.set _ZN7rocprim17ROCPRIM_400000_NS6detail17trampoline_kernelINS0_13select_configILj256ELj13ELNS0_17block_load_methodE3ELS4_3ELS4_3ELNS0_20block_scan_algorithmE0ELj4294967295EEENS1_25partition_config_selectorILNS1_17partition_subalgoE4EjNS0_10empty_typeEbEEZZNS1_14partition_implILS8_4ELb0ES6_15HIP_vector_typeIjLj2EENS0_17counting_iteratorIjlEEPS9_SG_NS0_5tupleIJPjSI_NS0_16reverse_iteratorISI_EEEEENSH_IJSG_SG_SG_EEES9_SI_JZNS1_25segmented_radix_sort_implINS0_14default_configELb0EPKfPfPKlPlN2at6native12_GLOBAL__N_18offset_tEEE10hipError_tPvRmT1_PNSt15iterator_traitsIS12_E10value_typeET2_T3_PNS13_IS18_E10value_typeET4_jRbjT5_S1E_jjP12ihipStream_tbEUljE_ZNSN_ISO_Lb0ESQ_SR_ST_SU_SY_EESZ_S10_S11_S12_S16_S17_S18_S1B_S1C_jS1D_jS1E_S1E_jjS1G_bEUljE0_EEESZ_S10_S11_S18_S1C_S1E_T6_T7_T9_mT8_S1G_bDpT10_ENKUlT_T0_E_clISt17integral_constantIbLb1EES1U_EEDaS1P_S1Q_EUlS1P_E_NS1_11comp_targetILNS1_3genE0ELNS1_11target_archE4294967295ELNS1_3gpuE0ELNS1_3repE0EEENS1_30default_config_static_selectorELNS0_4arch9wavefront6targetE0EEEvS12_.has_dyn_sized_stack, 0
	.set _ZN7rocprim17ROCPRIM_400000_NS6detail17trampoline_kernelINS0_13select_configILj256ELj13ELNS0_17block_load_methodE3ELS4_3ELS4_3ELNS0_20block_scan_algorithmE0ELj4294967295EEENS1_25partition_config_selectorILNS1_17partition_subalgoE4EjNS0_10empty_typeEbEEZZNS1_14partition_implILS8_4ELb0ES6_15HIP_vector_typeIjLj2EENS0_17counting_iteratorIjlEEPS9_SG_NS0_5tupleIJPjSI_NS0_16reverse_iteratorISI_EEEEENSH_IJSG_SG_SG_EEES9_SI_JZNS1_25segmented_radix_sort_implINS0_14default_configELb0EPKfPfPKlPlN2at6native12_GLOBAL__N_18offset_tEEE10hipError_tPvRmT1_PNSt15iterator_traitsIS12_E10value_typeET2_T3_PNS13_IS18_E10value_typeET4_jRbjT5_S1E_jjP12ihipStream_tbEUljE_ZNSN_ISO_Lb0ESQ_SR_ST_SU_SY_EESZ_S10_S11_S12_S16_S17_S18_S1B_S1C_jS1D_jS1E_S1E_jjS1G_bEUljE0_EEESZ_S10_S11_S18_S1C_S1E_T6_T7_T9_mT8_S1G_bDpT10_ENKUlT_T0_E_clISt17integral_constantIbLb1EES1U_EEDaS1P_S1Q_EUlS1P_E_NS1_11comp_targetILNS1_3genE0ELNS1_11target_archE4294967295ELNS1_3gpuE0ELNS1_3repE0EEENS1_30default_config_static_selectorELNS0_4arch9wavefront6targetE0EEEvS12_.has_recursion, 0
	.set _ZN7rocprim17ROCPRIM_400000_NS6detail17trampoline_kernelINS0_13select_configILj256ELj13ELNS0_17block_load_methodE3ELS4_3ELS4_3ELNS0_20block_scan_algorithmE0ELj4294967295EEENS1_25partition_config_selectorILNS1_17partition_subalgoE4EjNS0_10empty_typeEbEEZZNS1_14partition_implILS8_4ELb0ES6_15HIP_vector_typeIjLj2EENS0_17counting_iteratorIjlEEPS9_SG_NS0_5tupleIJPjSI_NS0_16reverse_iteratorISI_EEEEENSH_IJSG_SG_SG_EEES9_SI_JZNS1_25segmented_radix_sort_implINS0_14default_configELb0EPKfPfPKlPlN2at6native12_GLOBAL__N_18offset_tEEE10hipError_tPvRmT1_PNSt15iterator_traitsIS12_E10value_typeET2_T3_PNS13_IS18_E10value_typeET4_jRbjT5_S1E_jjP12ihipStream_tbEUljE_ZNSN_ISO_Lb0ESQ_SR_ST_SU_SY_EESZ_S10_S11_S12_S16_S17_S18_S1B_S1C_jS1D_jS1E_S1E_jjS1G_bEUljE0_EEESZ_S10_S11_S18_S1C_S1E_T6_T7_T9_mT8_S1G_bDpT10_ENKUlT_T0_E_clISt17integral_constantIbLb1EES1U_EEDaS1P_S1Q_EUlS1P_E_NS1_11comp_targetILNS1_3genE0ELNS1_11target_archE4294967295ELNS1_3gpuE0ELNS1_3repE0EEENS1_30default_config_static_selectorELNS0_4arch9wavefront6targetE0EEEvS12_.has_indirect_call, 0
	.section	.AMDGPU.csdata,"",@progbits
; Kernel info:
; codeLenInByte = 4
; TotalNumSgprs: 0
; NumVgprs: 0
; ScratchSize: 0
; MemoryBound: 0
; FloatMode: 240
; IeeeMode: 1
; LDSByteSize: 0 bytes/workgroup (compile time only)
; SGPRBlocks: 0
; VGPRBlocks: 0
; NumSGPRsForWavesPerEU: 1
; NumVGPRsForWavesPerEU: 1
; NamedBarCnt: 0
; Occupancy: 16
; WaveLimiterHint : 0
; COMPUTE_PGM_RSRC2:SCRATCH_EN: 0
; COMPUTE_PGM_RSRC2:USER_SGPR: 2
; COMPUTE_PGM_RSRC2:TRAP_HANDLER: 0
; COMPUTE_PGM_RSRC2:TGID_X_EN: 1
; COMPUTE_PGM_RSRC2:TGID_Y_EN: 0
; COMPUTE_PGM_RSRC2:TGID_Z_EN: 0
; COMPUTE_PGM_RSRC2:TIDIG_COMP_CNT: 0
	.section	.text._ZN7rocprim17ROCPRIM_400000_NS6detail17trampoline_kernelINS0_13select_configILj256ELj13ELNS0_17block_load_methodE3ELS4_3ELS4_3ELNS0_20block_scan_algorithmE0ELj4294967295EEENS1_25partition_config_selectorILNS1_17partition_subalgoE4EjNS0_10empty_typeEbEEZZNS1_14partition_implILS8_4ELb0ES6_15HIP_vector_typeIjLj2EENS0_17counting_iteratorIjlEEPS9_SG_NS0_5tupleIJPjSI_NS0_16reverse_iteratorISI_EEEEENSH_IJSG_SG_SG_EEES9_SI_JZNS1_25segmented_radix_sort_implINS0_14default_configELb0EPKfPfPKlPlN2at6native12_GLOBAL__N_18offset_tEEE10hipError_tPvRmT1_PNSt15iterator_traitsIS12_E10value_typeET2_T3_PNS13_IS18_E10value_typeET4_jRbjT5_S1E_jjP12ihipStream_tbEUljE_ZNSN_ISO_Lb0ESQ_SR_ST_SU_SY_EESZ_S10_S11_S12_S16_S17_S18_S1B_S1C_jS1D_jS1E_S1E_jjS1G_bEUljE0_EEESZ_S10_S11_S18_S1C_S1E_T6_T7_T9_mT8_S1G_bDpT10_ENKUlT_T0_E_clISt17integral_constantIbLb1EES1U_EEDaS1P_S1Q_EUlS1P_E_NS1_11comp_targetILNS1_3genE5ELNS1_11target_archE942ELNS1_3gpuE9ELNS1_3repE0EEENS1_30default_config_static_selectorELNS0_4arch9wavefront6targetE0EEEvS12_,"axG",@progbits,_ZN7rocprim17ROCPRIM_400000_NS6detail17trampoline_kernelINS0_13select_configILj256ELj13ELNS0_17block_load_methodE3ELS4_3ELS4_3ELNS0_20block_scan_algorithmE0ELj4294967295EEENS1_25partition_config_selectorILNS1_17partition_subalgoE4EjNS0_10empty_typeEbEEZZNS1_14partition_implILS8_4ELb0ES6_15HIP_vector_typeIjLj2EENS0_17counting_iteratorIjlEEPS9_SG_NS0_5tupleIJPjSI_NS0_16reverse_iteratorISI_EEEEENSH_IJSG_SG_SG_EEES9_SI_JZNS1_25segmented_radix_sort_implINS0_14default_configELb0EPKfPfPKlPlN2at6native12_GLOBAL__N_18offset_tEEE10hipError_tPvRmT1_PNSt15iterator_traitsIS12_E10value_typeET2_T3_PNS13_IS18_E10value_typeET4_jRbjT5_S1E_jjP12ihipStream_tbEUljE_ZNSN_ISO_Lb0ESQ_SR_ST_SU_SY_EESZ_S10_S11_S12_S16_S17_S18_S1B_S1C_jS1D_jS1E_S1E_jjS1G_bEUljE0_EEESZ_S10_S11_S18_S1C_S1E_T6_T7_T9_mT8_S1G_bDpT10_ENKUlT_T0_E_clISt17integral_constantIbLb1EES1U_EEDaS1P_S1Q_EUlS1P_E_NS1_11comp_targetILNS1_3genE5ELNS1_11target_archE942ELNS1_3gpuE9ELNS1_3repE0EEENS1_30default_config_static_selectorELNS0_4arch9wavefront6targetE0EEEvS12_,comdat
	.globl	_ZN7rocprim17ROCPRIM_400000_NS6detail17trampoline_kernelINS0_13select_configILj256ELj13ELNS0_17block_load_methodE3ELS4_3ELS4_3ELNS0_20block_scan_algorithmE0ELj4294967295EEENS1_25partition_config_selectorILNS1_17partition_subalgoE4EjNS0_10empty_typeEbEEZZNS1_14partition_implILS8_4ELb0ES6_15HIP_vector_typeIjLj2EENS0_17counting_iteratorIjlEEPS9_SG_NS0_5tupleIJPjSI_NS0_16reverse_iteratorISI_EEEEENSH_IJSG_SG_SG_EEES9_SI_JZNS1_25segmented_radix_sort_implINS0_14default_configELb0EPKfPfPKlPlN2at6native12_GLOBAL__N_18offset_tEEE10hipError_tPvRmT1_PNSt15iterator_traitsIS12_E10value_typeET2_T3_PNS13_IS18_E10value_typeET4_jRbjT5_S1E_jjP12ihipStream_tbEUljE_ZNSN_ISO_Lb0ESQ_SR_ST_SU_SY_EESZ_S10_S11_S12_S16_S17_S18_S1B_S1C_jS1D_jS1E_S1E_jjS1G_bEUljE0_EEESZ_S10_S11_S18_S1C_S1E_T6_T7_T9_mT8_S1G_bDpT10_ENKUlT_T0_E_clISt17integral_constantIbLb1EES1U_EEDaS1P_S1Q_EUlS1P_E_NS1_11comp_targetILNS1_3genE5ELNS1_11target_archE942ELNS1_3gpuE9ELNS1_3repE0EEENS1_30default_config_static_selectorELNS0_4arch9wavefront6targetE0EEEvS12_ ; -- Begin function _ZN7rocprim17ROCPRIM_400000_NS6detail17trampoline_kernelINS0_13select_configILj256ELj13ELNS0_17block_load_methodE3ELS4_3ELS4_3ELNS0_20block_scan_algorithmE0ELj4294967295EEENS1_25partition_config_selectorILNS1_17partition_subalgoE4EjNS0_10empty_typeEbEEZZNS1_14partition_implILS8_4ELb0ES6_15HIP_vector_typeIjLj2EENS0_17counting_iteratorIjlEEPS9_SG_NS0_5tupleIJPjSI_NS0_16reverse_iteratorISI_EEEEENSH_IJSG_SG_SG_EEES9_SI_JZNS1_25segmented_radix_sort_implINS0_14default_configELb0EPKfPfPKlPlN2at6native12_GLOBAL__N_18offset_tEEE10hipError_tPvRmT1_PNSt15iterator_traitsIS12_E10value_typeET2_T3_PNS13_IS18_E10value_typeET4_jRbjT5_S1E_jjP12ihipStream_tbEUljE_ZNSN_ISO_Lb0ESQ_SR_ST_SU_SY_EESZ_S10_S11_S12_S16_S17_S18_S1B_S1C_jS1D_jS1E_S1E_jjS1G_bEUljE0_EEESZ_S10_S11_S18_S1C_S1E_T6_T7_T9_mT8_S1G_bDpT10_ENKUlT_T0_E_clISt17integral_constantIbLb1EES1U_EEDaS1P_S1Q_EUlS1P_E_NS1_11comp_targetILNS1_3genE5ELNS1_11target_archE942ELNS1_3gpuE9ELNS1_3repE0EEENS1_30default_config_static_selectorELNS0_4arch9wavefront6targetE0EEEvS12_
	.p2align	8
	.type	_ZN7rocprim17ROCPRIM_400000_NS6detail17trampoline_kernelINS0_13select_configILj256ELj13ELNS0_17block_load_methodE3ELS4_3ELS4_3ELNS0_20block_scan_algorithmE0ELj4294967295EEENS1_25partition_config_selectorILNS1_17partition_subalgoE4EjNS0_10empty_typeEbEEZZNS1_14partition_implILS8_4ELb0ES6_15HIP_vector_typeIjLj2EENS0_17counting_iteratorIjlEEPS9_SG_NS0_5tupleIJPjSI_NS0_16reverse_iteratorISI_EEEEENSH_IJSG_SG_SG_EEES9_SI_JZNS1_25segmented_radix_sort_implINS0_14default_configELb0EPKfPfPKlPlN2at6native12_GLOBAL__N_18offset_tEEE10hipError_tPvRmT1_PNSt15iterator_traitsIS12_E10value_typeET2_T3_PNS13_IS18_E10value_typeET4_jRbjT5_S1E_jjP12ihipStream_tbEUljE_ZNSN_ISO_Lb0ESQ_SR_ST_SU_SY_EESZ_S10_S11_S12_S16_S17_S18_S1B_S1C_jS1D_jS1E_S1E_jjS1G_bEUljE0_EEESZ_S10_S11_S18_S1C_S1E_T6_T7_T9_mT8_S1G_bDpT10_ENKUlT_T0_E_clISt17integral_constantIbLb1EES1U_EEDaS1P_S1Q_EUlS1P_E_NS1_11comp_targetILNS1_3genE5ELNS1_11target_archE942ELNS1_3gpuE9ELNS1_3repE0EEENS1_30default_config_static_selectorELNS0_4arch9wavefront6targetE0EEEvS12_,@function
_ZN7rocprim17ROCPRIM_400000_NS6detail17trampoline_kernelINS0_13select_configILj256ELj13ELNS0_17block_load_methodE3ELS4_3ELS4_3ELNS0_20block_scan_algorithmE0ELj4294967295EEENS1_25partition_config_selectorILNS1_17partition_subalgoE4EjNS0_10empty_typeEbEEZZNS1_14partition_implILS8_4ELb0ES6_15HIP_vector_typeIjLj2EENS0_17counting_iteratorIjlEEPS9_SG_NS0_5tupleIJPjSI_NS0_16reverse_iteratorISI_EEEEENSH_IJSG_SG_SG_EEES9_SI_JZNS1_25segmented_radix_sort_implINS0_14default_configELb0EPKfPfPKlPlN2at6native12_GLOBAL__N_18offset_tEEE10hipError_tPvRmT1_PNSt15iterator_traitsIS12_E10value_typeET2_T3_PNS13_IS18_E10value_typeET4_jRbjT5_S1E_jjP12ihipStream_tbEUljE_ZNSN_ISO_Lb0ESQ_SR_ST_SU_SY_EESZ_S10_S11_S12_S16_S17_S18_S1B_S1C_jS1D_jS1E_S1E_jjS1G_bEUljE0_EEESZ_S10_S11_S18_S1C_S1E_T6_T7_T9_mT8_S1G_bDpT10_ENKUlT_T0_E_clISt17integral_constantIbLb1EES1U_EEDaS1P_S1Q_EUlS1P_E_NS1_11comp_targetILNS1_3genE5ELNS1_11target_archE942ELNS1_3gpuE9ELNS1_3repE0EEENS1_30default_config_static_selectorELNS0_4arch9wavefront6targetE0EEEvS12_: ; @_ZN7rocprim17ROCPRIM_400000_NS6detail17trampoline_kernelINS0_13select_configILj256ELj13ELNS0_17block_load_methodE3ELS4_3ELS4_3ELNS0_20block_scan_algorithmE0ELj4294967295EEENS1_25partition_config_selectorILNS1_17partition_subalgoE4EjNS0_10empty_typeEbEEZZNS1_14partition_implILS8_4ELb0ES6_15HIP_vector_typeIjLj2EENS0_17counting_iteratorIjlEEPS9_SG_NS0_5tupleIJPjSI_NS0_16reverse_iteratorISI_EEEEENSH_IJSG_SG_SG_EEES9_SI_JZNS1_25segmented_radix_sort_implINS0_14default_configELb0EPKfPfPKlPlN2at6native12_GLOBAL__N_18offset_tEEE10hipError_tPvRmT1_PNSt15iterator_traitsIS12_E10value_typeET2_T3_PNS13_IS18_E10value_typeET4_jRbjT5_S1E_jjP12ihipStream_tbEUljE_ZNSN_ISO_Lb0ESQ_SR_ST_SU_SY_EESZ_S10_S11_S12_S16_S17_S18_S1B_S1C_jS1D_jS1E_S1E_jjS1G_bEUljE0_EEESZ_S10_S11_S18_S1C_S1E_T6_T7_T9_mT8_S1G_bDpT10_ENKUlT_T0_E_clISt17integral_constantIbLb1EES1U_EEDaS1P_S1Q_EUlS1P_E_NS1_11comp_targetILNS1_3genE5ELNS1_11target_archE942ELNS1_3gpuE9ELNS1_3repE0EEENS1_30default_config_static_selectorELNS0_4arch9wavefront6targetE0EEEvS12_
; %bb.0:
	.section	.rodata,"a",@progbits
	.p2align	6, 0x0
	.amdhsa_kernel _ZN7rocprim17ROCPRIM_400000_NS6detail17trampoline_kernelINS0_13select_configILj256ELj13ELNS0_17block_load_methodE3ELS4_3ELS4_3ELNS0_20block_scan_algorithmE0ELj4294967295EEENS1_25partition_config_selectorILNS1_17partition_subalgoE4EjNS0_10empty_typeEbEEZZNS1_14partition_implILS8_4ELb0ES6_15HIP_vector_typeIjLj2EENS0_17counting_iteratorIjlEEPS9_SG_NS0_5tupleIJPjSI_NS0_16reverse_iteratorISI_EEEEENSH_IJSG_SG_SG_EEES9_SI_JZNS1_25segmented_radix_sort_implINS0_14default_configELb0EPKfPfPKlPlN2at6native12_GLOBAL__N_18offset_tEEE10hipError_tPvRmT1_PNSt15iterator_traitsIS12_E10value_typeET2_T3_PNS13_IS18_E10value_typeET4_jRbjT5_S1E_jjP12ihipStream_tbEUljE_ZNSN_ISO_Lb0ESQ_SR_ST_SU_SY_EESZ_S10_S11_S12_S16_S17_S18_S1B_S1C_jS1D_jS1E_S1E_jjS1G_bEUljE0_EEESZ_S10_S11_S18_S1C_S1E_T6_T7_T9_mT8_S1G_bDpT10_ENKUlT_T0_E_clISt17integral_constantIbLb1EES1U_EEDaS1P_S1Q_EUlS1P_E_NS1_11comp_targetILNS1_3genE5ELNS1_11target_archE942ELNS1_3gpuE9ELNS1_3repE0EEENS1_30default_config_static_selectorELNS0_4arch9wavefront6targetE0EEEvS12_
		.amdhsa_group_segment_fixed_size 0
		.amdhsa_private_segment_fixed_size 0
		.amdhsa_kernarg_size 184
		.amdhsa_user_sgpr_count 2
		.amdhsa_user_sgpr_dispatch_ptr 0
		.amdhsa_user_sgpr_queue_ptr 0
		.amdhsa_user_sgpr_kernarg_segment_ptr 1
		.amdhsa_user_sgpr_dispatch_id 0
		.amdhsa_user_sgpr_kernarg_preload_length 0
		.amdhsa_user_sgpr_kernarg_preload_offset 0
		.amdhsa_user_sgpr_private_segment_size 0
		.amdhsa_wavefront_size32 1
		.amdhsa_uses_dynamic_stack 0
		.amdhsa_enable_private_segment 0
		.amdhsa_system_sgpr_workgroup_id_x 1
		.amdhsa_system_sgpr_workgroup_id_y 0
		.amdhsa_system_sgpr_workgroup_id_z 0
		.amdhsa_system_sgpr_workgroup_info 0
		.amdhsa_system_vgpr_workitem_id 0
		.amdhsa_next_free_vgpr 1
		.amdhsa_next_free_sgpr 1
		.amdhsa_named_barrier_count 0
		.amdhsa_reserve_vcc 0
		.amdhsa_float_round_mode_32 0
		.amdhsa_float_round_mode_16_64 0
		.amdhsa_float_denorm_mode_32 3
		.amdhsa_float_denorm_mode_16_64 3
		.amdhsa_fp16_overflow 0
		.amdhsa_memory_ordered 1
		.amdhsa_forward_progress 1
		.amdhsa_inst_pref_size 0
		.amdhsa_round_robin_scheduling 0
		.amdhsa_exception_fp_ieee_invalid_op 0
		.amdhsa_exception_fp_denorm_src 0
		.amdhsa_exception_fp_ieee_div_zero 0
		.amdhsa_exception_fp_ieee_overflow 0
		.amdhsa_exception_fp_ieee_underflow 0
		.amdhsa_exception_fp_ieee_inexact 0
		.amdhsa_exception_int_div_zero 0
	.end_amdhsa_kernel
	.section	.text._ZN7rocprim17ROCPRIM_400000_NS6detail17trampoline_kernelINS0_13select_configILj256ELj13ELNS0_17block_load_methodE3ELS4_3ELS4_3ELNS0_20block_scan_algorithmE0ELj4294967295EEENS1_25partition_config_selectorILNS1_17partition_subalgoE4EjNS0_10empty_typeEbEEZZNS1_14partition_implILS8_4ELb0ES6_15HIP_vector_typeIjLj2EENS0_17counting_iteratorIjlEEPS9_SG_NS0_5tupleIJPjSI_NS0_16reverse_iteratorISI_EEEEENSH_IJSG_SG_SG_EEES9_SI_JZNS1_25segmented_radix_sort_implINS0_14default_configELb0EPKfPfPKlPlN2at6native12_GLOBAL__N_18offset_tEEE10hipError_tPvRmT1_PNSt15iterator_traitsIS12_E10value_typeET2_T3_PNS13_IS18_E10value_typeET4_jRbjT5_S1E_jjP12ihipStream_tbEUljE_ZNSN_ISO_Lb0ESQ_SR_ST_SU_SY_EESZ_S10_S11_S12_S16_S17_S18_S1B_S1C_jS1D_jS1E_S1E_jjS1G_bEUljE0_EEESZ_S10_S11_S18_S1C_S1E_T6_T7_T9_mT8_S1G_bDpT10_ENKUlT_T0_E_clISt17integral_constantIbLb1EES1U_EEDaS1P_S1Q_EUlS1P_E_NS1_11comp_targetILNS1_3genE5ELNS1_11target_archE942ELNS1_3gpuE9ELNS1_3repE0EEENS1_30default_config_static_selectorELNS0_4arch9wavefront6targetE0EEEvS12_,"axG",@progbits,_ZN7rocprim17ROCPRIM_400000_NS6detail17trampoline_kernelINS0_13select_configILj256ELj13ELNS0_17block_load_methodE3ELS4_3ELS4_3ELNS0_20block_scan_algorithmE0ELj4294967295EEENS1_25partition_config_selectorILNS1_17partition_subalgoE4EjNS0_10empty_typeEbEEZZNS1_14partition_implILS8_4ELb0ES6_15HIP_vector_typeIjLj2EENS0_17counting_iteratorIjlEEPS9_SG_NS0_5tupleIJPjSI_NS0_16reverse_iteratorISI_EEEEENSH_IJSG_SG_SG_EEES9_SI_JZNS1_25segmented_radix_sort_implINS0_14default_configELb0EPKfPfPKlPlN2at6native12_GLOBAL__N_18offset_tEEE10hipError_tPvRmT1_PNSt15iterator_traitsIS12_E10value_typeET2_T3_PNS13_IS18_E10value_typeET4_jRbjT5_S1E_jjP12ihipStream_tbEUljE_ZNSN_ISO_Lb0ESQ_SR_ST_SU_SY_EESZ_S10_S11_S12_S16_S17_S18_S1B_S1C_jS1D_jS1E_S1E_jjS1G_bEUljE0_EEESZ_S10_S11_S18_S1C_S1E_T6_T7_T9_mT8_S1G_bDpT10_ENKUlT_T0_E_clISt17integral_constantIbLb1EES1U_EEDaS1P_S1Q_EUlS1P_E_NS1_11comp_targetILNS1_3genE5ELNS1_11target_archE942ELNS1_3gpuE9ELNS1_3repE0EEENS1_30default_config_static_selectorELNS0_4arch9wavefront6targetE0EEEvS12_,comdat
.Lfunc_end1366:
	.size	_ZN7rocprim17ROCPRIM_400000_NS6detail17trampoline_kernelINS0_13select_configILj256ELj13ELNS0_17block_load_methodE3ELS4_3ELS4_3ELNS0_20block_scan_algorithmE0ELj4294967295EEENS1_25partition_config_selectorILNS1_17partition_subalgoE4EjNS0_10empty_typeEbEEZZNS1_14partition_implILS8_4ELb0ES6_15HIP_vector_typeIjLj2EENS0_17counting_iteratorIjlEEPS9_SG_NS0_5tupleIJPjSI_NS0_16reverse_iteratorISI_EEEEENSH_IJSG_SG_SG_EEES9_SI_JZNS1_25segmented_radix_sort_implINS0_14default_configELb0EPKfPfPKlPlN2at6native12_GLOBAL__N_18offset_tEEE10hipError_tPvRmT1_PNSt15iterator_traitsIS12_E10value_typeET2_T3_PNS13_IS18_E10value_typeET4_jRbjT5_S1E_jjP12ihipStream_tbEUljE_ZNSN_ISO_Lb0ESQ_SR_ST_SU_SY_EESZ_S10_S11_S12_S16_S17_S18_S1B_S1C_jS1D_jS1E_S1E_jjS1G_bEUljE0_EEESZ_S10_S11_S18_S1C_S1E_T6_T7_T9_mT8_S1G_bDpT10_ENKUlT_T0_E_clISt17integral_constantIbLb1EES1U_EEDaS1P_S1Q_EUlS1P_E_NS1_11comp_targetILNS1_3genE5ELNS1_11target_archE942ELNS1_3gpuE9ELNS1_3repE0EEENS1_30default_config_static_selectorELNS0_4arch9wavefront6targetE0EEEvS12_, .Lfunc_end1366-_ZN7rocprim17ROCPRIM_400000_NS6detail17trampoline_kernelINS0_13select_configILj256ELj13ELNS0_17block_load_methodE3ELS4_3ELS4_3ELNS0_20block_scan_algorithmE0ELj4294967295EEENS1_25partition_config_selectorILNS1_17partition_subalgoE4EjNS0_10empty_typeEbEEZZNS1_14partition_implILS8_4ELb0ES6_15HIP_vector_typeIjLj2EENS0_17counting_iteratorIjlEEPS9_SG_NS0_5tupleIJPjSI_NS0_16reverse_iteratorISI_EEEEENSH_IJSG_SG_SG_EEES9_SI_JZNS1_25segmented_radix_sort_implINS0_14default_configELb0EPKfPfPKlPlN2at6native12_GLOBAL__N_18offset_tEEE10hipError_tPvRmT1_PNSt15iterator_traitsIS12_E10value_typeET2_T3_PNS13_IS18_E10value_typeET4_jRbjT5_S1E_jjP12ihipStream_tbEUljE_ZNSN_ISO_Lb0ESQ_SR_ST_SU_SY_EESZ_S10_S11_S12_S16_S17_S18_S1B_S1C_jS1D_jS1E_S1E_jjS1G_bEUljE0_EEESZ_S10_S11_S18_S1C_S1E_T6_T7_T9_mT8_S1G_bDpT10_ENKUlT_T0_E_clISt17integral_constantIbLb1EES1U_EEDaS1P_S1Q_EUlS1P_E_NS1_11comp_targetILNS1_3genE5ELNS1_11target_archE942ELNS1_3gpuE9ELNS1_3repE0EEENS1_30default_config_static_selectorELNS0_4arch9wavefront6targetE0EEEvS12_
                                        ; -- End function
	.set _ZN7rocprim17ROCPRIM_400000_NS6detail17trampoline_kernelINS0_13select_configILj256ELj13ELNS0_17block_load_methodE3ELS4_3ELS4_3ELNS0_20block_scan_algorithmE0ELj4294967295EEENS1_25partition_config_selectorILNS1_17partition_subalgoE4EjNS0_10empty_typeEbEEZZNS1_14partition_implILS8_4ELb0ES6_15HIP_vector_typeIjLj2EENS0_17counting_iteratorIjlEEPS9_SG_NS0_5tupleIJPjSI_NS0_16reverse_iteratorISI_EEEEENSH_IJSG_SG_SG_EEES9_SI_JZNS1_25segmented_radix_sort_implINS0_14default_configELb0EPKfPfPKlPlN2at6native12_GLOBAL__N_18offset_tEEE10hipError_tPvRmT1_PNSt15iterator_traitsIS12_E10value_typeET2_T3_PNS13_IS18_E10value_typeET4_jRbjT5_S1E_jjP12ihipStream_tbEUljE_ZNSN_ISO_Lb0ESQ_SR_ST_SU_SY_EESZ_S10_S11_S12_S16_S17_S18_S1B_S1C_jS1D_jS1E_S1E_jjS1G_bEUljE0_EEESZ_S10_S11_S18_S1C_S1E_T6_T7_T9_mT8_S1G_bDpT10_ENKUlT_T0_E_clISt17integral_constantIbLb1EES1U_EEDaS1P_S1Q_EUlS1P_E_NS1_11comp_targetILNS1_3genE5ELNS1_11target_archE942ELNS1_3gpuE9ELNS1_3repE0EEENS1_30default_config_static_selectorELNS0_4arch9wavefront6targetE0EEEvS12_.num_vgpr, 0
	.set _ZN7rocprim17ROCPRIM_400000_NS6detail17trampoline_kernelINS0_13select_configILj256ELj13ELNS0_17block_load_methodE3ELS4_3ELS4_3ELNS0_20block_scan_algorithmE0ELj4294967295EEENS1_25partition_config_selectorILNS1_17partition_subalgoE4EjNS0_10empty_typeEbEEZZNS1_14partition_implILS8_4ELb0ES6_15HIP_vector_typeIjLj2EENS0_17counting_iteratorIjlEEPS9_SG_NS0_5tupleIJPjSI_NS0_16reverse_iteratorISI_EEEEENSH_IJSG_SG_SG_EEES9_SI_JZNS1_25segmented_radix_sort_implINS0_14default_configELb0EPKfPfPKlPlN2at6native12_GLOBAL__N_18offset_tEEE10hipError_tPvRmT1_PNSt15iterator_traitsIS12_E10value_typeET2_T3_PNS13_IS18_E10value_typeET4_jRbjT5_S1E_jjP12ihipStream_tbEUljE_ZNSN_ISO_Lb0ESQ_SR_ST_SU_SY_EESZ_S10_S11_S12_S16_S17_S18_S1B_S1C_jS1D_jS1E_S1E_jjS1G_bEUljE0_EEESZ_S10_S11_S18_S1C_S1E_T6_T7_T9_mT8_S1G_bDpT10_ENKUlT_T0_E_clISt17integral_constantIbLb1EES1U_EEDaS1P_S1Q_EUlS1P_E_NS1_11comp_targetILNS1_3genE5ELNS1_11target_archE942ELNS1_3gpuE9ELNS1_3repE0EEENS1_30default_config_static_selectorELNS0_4arch9wavefront6targetE0EEEvS12_.num_agpr, 0
	.set _ZN7rocprim17ROCPRIM_400000_NS6detail17trampoline_kernelINS0_13select_configILj256ELj13ELNS0_17block_load_methodE3ELS4_3ELS4_3ELNS0_20block_scan_algorithmE0ELj4294967295EEENS1_25partition_config_selectorILNS1_17partition_subalgoE4EjNS0_10empty_typeEbEEZZNS1_14partition_implILS8_4ELb0ES6_15HIP_vector_typeIjLj2EENS0_17counting_iteratorIjlEEPS9_SG_NS0_5tupleIJPjSI_NS0_16reverse_iteratorISI_EEEEENSH_IJSG_SG_SG_EEES9_SI_JZNS1_25segmented_radix_sort_implINS0_14default_configELb0EPKfPfPKlPlN2at6native12_GLOBAL__N_18offset_tEEE10hipError_tPvRmT1_PNSt15iterator_traitsIS12_E10value_typeET2_T3_PNS13_IS18_E10value_typeET4_jRbjT5_S1E_jjP12ihipStream_tbEUljE_ZNSN_ISO_Lb0ESQ_SR_ST_SU_SY_EESZ_S10_S11_S12_S16_S17_S18_S1B_S1C_jS1D_jS1E_S1E_jjS1G_bEUljE0_EEESZ_S10_S11_S18_S1C_S1E_T6_T7_T9_mT8_S1G_bDpT10_ENKUlT_T0_E_clISt17integral_constantIbLb1EES1U_EEDaS1P_S1Q_EUlS1P_E_NS1_11comp_targetILNS1_3genE5ELNS1_11target_archE942ELNS1_3gpuE9ELNS1_3repE0EEENS1_30default_config_static_selectorELNS0_4arch9wavefront6targetE0EEEvS12_.numbered_sgpr, 0
	.set _ZN7rocprim17ROCPRIM_400000_NS6detail17trampoline_kernelINS0_13select_configILj256ELj13ELNS0_17block_load_methodE3ELS4_3ELS4_3ELNS0_20block_scan_algorithmE0ELj4294967295EEENS1_25partition_config_selectorILNS1_17partition_subalgoE4EjNS0_10empty_typeEbEEZZNS1_14partition_implILS8_4ELb0ES6_15HIP_vector_typeIjLj2EENS0_17counting_iteratorIjlEEPS9_SG_NS0_5tupleIJPjSI_NS0_16reverse_iteratorISI_EEEEENSH_IJSG_SG_SG_EEES9_SI_JZNS1_25segmented_radix_sort_implINS0_14default_configELb0EPKfPfPKlPlN2at6native12_GLOBAL__N_18offset_tEEE10hipError_tPvRmT1_PNSt15iterator_traitsIS12_E10value_typeET2_T3_PNS13_IS18_E10value_typeET4_jRbjT5_S1E_jjP12ihipStream_tbEUljE_ZNSN_ISO_Lb0ESQ_SR_ST_SU_SY_EESZ_S10_S11_S12_S16_S17_S18_S1B_S1C_jS1D_jS1E_S1E_jjS1G_bEUljE0_EEESZ_S10_S11_S18_S1C_S1E_T6_T7_T9_mT8_S1G_bDpT10_ENKUlT_T0_E_clISt17integral_constantIbLb1EES1U_EEDaS1P_S1Q_EUlS1P_E_NS1_11comp_targetILNS1_3genE5ELNS1_11target_archE942ELNS1_3gpuE9ELNS1_3repE0EEENS1_30default_config_static_selectorELNS0_4arch9wavefront6targetE0EEEvS12_.num_named_barrier, 0
	.set _ZN7rocprim17ROCPRIM_400000_NS6detail17trampoline_kernelINS0_13select_configILj256ELj13ELNS0_17block_load_methodE3ELS4_3ELS4_3ELNS0_20block_scan_algorithmE0ELj4294967295EEENS1_25partition_config_selectorILNS1_17partition_subalgoE4EjNS0_10empty_typeEbEEZZNS1_14partition_implILS8_4ELb0ES6_15HIP_vector_typeIjLj2EENS0_17counting_iteratorIjlEEPS9_SG_NS0_5tupleIJPjSI_NS0_16reverse_iteratorISI_EEEEENSH_IJSG_SG_SG_EEES9_SI_JZNS1_25segmented_radix_sort_implINS0_14default_configELb0EPKfPfPKlPlN2at6native12_GLOBAL__N_18offset_tEEE10hipError_tPvRmT1_PNSt15iterator_traitsIS12_E10value_typeET2_T3_PNS13_IS18_E10value_typeET4_jRbjT5_S1E_jjP12ihipStream_tbEUljE_ZNSN_ISO_Lb0ESQ_SR_ST_SU_SY_EESZ_S10_S11_S12_S16_S17_S18_S1B_S1C_jS1D_jS1E_S1E_jjS1G_bEUljE0_EEESZ_S10_S11_S18_S1C_S1E_T6_T7_T9_mT8_S1G_bDpT10_ENKUlT_T0_E_clISt17integral_constantIbLb1EES1U_EEDaS1P_S1Q_EUlS1P_E_NS1_11comp_targetILNS1_3genE5ELNS1_11target_archE942ELNS1_3gpuE9ELNS1_3repE0EEENS1_30default_config_static_selectorELNS0_4arch9wavefront6targetE0EEEvS12_.private_seg_size, 0
	.set _ZN7rocprim17ROCPRIM_400000_NS6detail17trampoline_kernelINS0_13select_configILj256ELj13ELNS0_17block_load_methodE3ELS4_3ELS4_3ELNS0_20block_scan_algorithmE0ELj4294967295EEENS1_25partition_config_selectorILNS1_17partition_subalgoE4EjNS0_10empty_typeEbEEZZNS1_14partition_implILS8_4ELb0ES6_15HIP_vector_typeIjLj2EENS0_17counting_iteratorIjlEEPS9_SG_NS0_5tupleIJPjSI_NS0_16reverse_iteratorISI_EEEEENSH_IJSG_SG_SG_EEES9_SI_JZNS1_25segmented_radix_sort_implINS0_14default_configELb0EPKfPfPKlPlN2at6native12_GLOBAL__N_18offset_tEEE10hipError_tPvRmT1_PNSt15iterator_traitsIS12_E10value_typeET2_T3_PNS13_IS18_E10value_typeET4_jRbjT5_S1E_jjP12ihipStream_tbEUljE_ZNSN_ISO_Lb0ESQ_SR_ST_SU_SY_EESZ_S10_S11_S12_S16_S17_S18_S1B_S1C_jS1D_jS1E_S1E_jjS1G_bEUljE0_EEESZ_S10_S11_S18_S1C_S1E_T6_T7_T9_mT8_S1G_bDpT10_ENKUlT_T0_E_clISt17integral_constantIbLb1EES1U_EEDaS1P_S1Q_EUlS1P_E_NS1_11comp_targetILNS1_3genE5ELNS1_11target_archE942ELNS1_3gpuE9ELNS1_3repE0EEENS1_30default_config_static_selectorELNS0_4arch9wavefront6targetE0EEEvS12_.uses_vcc, 0
	.set _ZN7rocprim17ROCPRIM_400000_NS6detail17trampoline_kernelINS0_13select_configILj256ELj13ELNS0_17block_load_methodE3ELS4_3ELS4_3ELNS0_20block_scan_algorithmE0ELj4294967295EEENS1_25partition_config_selectorILNS1_17partition_subalgoE4EjNS0_10empty_typeEbEEZZNS1_14partition_implILS8_4ELb0ES6_15HIP_vector_typeIjLj2EENS0_17counting_iteratorIjlEEPS9_SG_NS0_5tupleIJPjSI_NS0_16reverse_iteratorISI_EEEEENSH_IJSG_SG_SG_EEES9_SI_JZNS1_25segmented_radix_sort_implINS0_14default_configELb0EPKfPfPKlPlN2at6native12_GLOBAL__N_18offset_tEEE10hipError_tPvRmT1_PNSt15iterator_traitsIS12_E10value_typeET2_T3_PNS13_IS18_E10value_typeET4_jRbjT5_S1E_jjP12ihipStream_tbEUljE_ZNSN_ISO_Lb0ESQ_SR_ST_SU_SY_EESZ_S10_S11_S12_S16_S17_S18_S1B_S1C_jS1D_jS1E_S1E_jjS1G_bEUljE0_EEESZ_S10_S11_S18_S1C_S1E_T6_T7_T9_mT8_S1G_bDpT10_ENKUlT_T0_E_clISt17integral_constantIbLb1EES1U_EEDaS1P_S1Q_EUlS1P_E_NS1_11comp_targetILNS1_3genE5ELNS1_11target_archE942ELNS1_3gpuE9ELNS1_3repE0EEENS1_30default_config_static_selectorELNS0_4arch9wavefront6targetE0EEEvS12_.uses_flat_scratch, 0
	.set _ZN7rocprim17ROCPRIM_400000_NS6detail17trampoline_kernelINS0_13select_configILj256ELj13ELNS0_17block_load_methodE3ELS4_3ELS4_3ELNS0_20block_scan_algorithmE0ELj4294967295EEENS1_25partition_config_selectorILNS1_17partition_subalgoE4EjNS0_10empty_typeEbEEZZNS1_14partition_implILS8_4ELb0ES6_15HIP_vector_typeIjLj2EENS0_17counting_iteratorIjlEEPS9_SG_NS0_5tupleIJPjSI_NS0_16reverse_iteratorISI_EEEEENSH_IJSG_SG_SG_EEES9_SI_JZNS1_25segmented_radix_sort_implINS0_14default_configELb0EPKfPfPKlPlN2at6native12_GLOBAL__N_18offset_tEEE10hipError_tPvRmT1_PNSt15iterator_traitsIS12_E10value_typeET2_T3_PNS13_IS18_E10value_typeET4_jRbjT5_S1E_jjP12ihipStream_tbEUljE_ZNSN_ISO_Lb0ESQ_SR_ST_SU_SY_EESZ_S10_S11_S12_S16_S17_S18_S1B_S1C_jS1D_jS1E_S1E_jjS1G_bEUljE0_EEESZ_S10_S11_S18_S1C_S1E_T6_T7_T9_mT8_S1G_bDpT10_ENKUlT_T0_E_clISt17integral_constantIbLb1EES1U_EEDaS1P_S1Q_EUlS1P_E_NS1_11comp_targetILNS1_3genE5ELNS1_11target_archE942ELNS1_3gpuE9ELNS1_3repE0EEENS1_30default_config_static_selectorELNS0_4arch9wavefront6targetE0EEEvS12_.has_dyn_sized_stack, 0
	.set _ZN7rocprim17ROCPRIM_400000_NS6detail17trampoline_kernelINS0_13select_configILj256ELj13ELNS0_17block_load_methodE3ELS4_3ELS4_3ELNS0_20block_scan_algorithmE0ELj4294967295EEENS1_25partition_config_selectorILNS1_17partition_subalgoE4EjNS0_10empty_typeEbEEZZNS1_14partition_implILS8_4ELb0ES6_15HIP_vector_typeIjLj2EENS0_17counting_iteratorIjlEEPS9_SG_NS0_5tupleIJPjSI_NS0_16reverse_iteratorISI_EEEEENSH_IJSG_SG_SG_EEES9_SI_JZNS1_25segmented_radix_sort_implINS0_14default_configELb0EPKfPfPKlPlN2at6native12_GLOBAL__N_18offset_tEEE10hipError_tPvRmT1_PNSt15iterator_traitsIS12_E10value_typeET2_T3_PNS13_IS18_E10value_typeET4_jRbjT5_S1E_jjP12ihipStream_tbEUljE_ZNSN_ISO_Lb0ESQ_SR_ST_SU_SY_EESZ_S10_S11_S12_S16_S17_S18_S1B_S1C_jS1D_jS1E_S1E_jjS1G_bEUljE0_EEESZ_S10_S11_S18_S1C_S1E_T6_T7_T9_mT8_S1G_bDpT10_ENKUlT_T0_E_clISt17integral_constantIbLb1EES1U_EEDaS1P_S1Q_EUlS1P_E_NS1_11comp_targetILNS1_3genE5ELNS1_11target_archE942ELNS1_3gpuE9ELNS1_3repE0EEENS1_30default_config_static_selectorELNS0_4arch9wavefront6targetE0EEEvS12_.has_recursion, 0
	.set _ZN7rocprim17ROCPRIM_400000_NS6detail17trampoline_kernelINS0_13select_configILj256ELj13ELNS0_17block_load_methodE3ELS4_3ELS4_3ELNS0_20block_scan_algorithmE0ELj4294967295EEENS1_25partition_config_selectorILNS1_17partition_subalgoE4EjNS0_10empty_typeEbEEZZNS1_14partition_implILS8_4ELb0ES6_15HIP_vector_typeIjLj2EENS0_17counting_iteratorIjlEEPS9_SG_NS0_5tupleIJPjSI_NS0_16reverse_iteratorISI_EEEEENSH_IJSG_SG_SG_EEES9_SI_JZNS1_25segmented_radix_sort_implINS0_14default_configELb0EPKfPfPKlPlN2at6native12_GLOBAL__N_18offset_tEEE10hipError_tPvRmT1_PNSt15iterator_traitsIS12_E10value_typeET2_T3_PNS13_IS18_E10value_typeET4_jRbjT5_S1E_jjP12ihipStream_tbEUljE_ZNSN_ISO_Lb0ESQ_SR_ST_SU_SY_EESZ_S10_S11_S12_S16_S17_S18_S1B_S1C_jS1D_jS1E_S1E_jjS1G_bEUljE0_EEESZ_S10_S11_S18_S1C_S1E_T6_T7_T9_mT8_S1G_bDpT10_ENKUlT_T0_E_clISt17integral_constantIbLb1EES1U_EEDaS1P_S1Q_EUlS1P_E_NS1_11comp_targetILNS1_3genE5ELNS1_11target_archE942ELNS1_3gpuE9ELNS1_3repE0EEENS1_30default_config_static_selectorELNS0_4arch9wavefront6targetE0EEEvS12_.has_indirect_call, 0
	.section	.AMDGPU.csdata,"",@progbits
; Kernel info:
; codeLenInByte = 0
; TotalNumSgprs: 0
; NumVgprs: 0
; ScratchSize: 0
; MemoryBound: 0
; FloatMode: 240
; IeeeMode: 1
; LDSByteSize: 0 bytes/workgroup (compile time only)
; SGPRBlocks: 0
; VGPRBlocks: 0
; NumSGPRsForWavesPerEU: 1
; NumVGPRsForWavesPerEU: 1
; NamedBarCnt: 0
; Occupancy: 16
; WaveLimiterHint : 0
; COMPUTE_PGM_RSRC2:SCRATCH_EN: 0
; COMPUTE_PGM_RSRC2:USER_SGPR: 2
; COMPUTE_PGM_RSRC2:TRAP_HANDLER: 0
; COMPUTE_PGM_RSRC2:TGID_X_EN: 1
; COMPUTE_PGM_RSRC2:TGID_Y_EN: 0
; COMPUTE_PGM_RSRC2:TGID_Z_EN: 0
; COMPUTE_PGM_RSRC2:TIDIG_COMP_CNT: 0
	.section	.text._ZN7rocprim17ROCPRIM_400000_NS6detail17trampoline_kernelINS0_13select_configILj256ELj13ELNS0_17block_load_methodE3ELS4_3ELS4_3ELNS0_20block_scan_algorithmE0ELj4294967295EEENS1_25partition_config_selectorILNS1_17partition_subalgoE4EjNS0_10empty_typeEbEEZZNS1_14partition_implILS8_4ELb0ES6_15HIP_vector_typeIjLj2EENS0_17counting_iteratorIjlEEPS9_SG_NS0_5tupleIJPjSI_NS0_16reverse_iteratorISI_EEEEENSH_IJSG_SG_SG_EEES9_SI_JZNS1_25segmented_radix_sort_implINS0_14default_configELb0EPKfPfPKlPlN2at6native12_GLOBAL__N_18offset_tEEE10hipError_tPvRmT1_PNSt15iterator_traitsIS12_E10value_typeET2_T3_PNS13_IS18_E10value_typeET4_jRbjT5_S1E_jjP12ihipStream_tbEUljE_ZNSN_ISO_Lb0ESQ_SR_ST_SU_SY_EESZ_S10_S11_S12_S16_S17_S18_S1B_S1C_jS1D_jS1E_S1E_jjS1G_bEUljE0_EEESZ_S10_S11_S18_S1C_S1E_T6_T7_T9_mT8_S1G_bDpT10_ENKUlT_T0_E_clISt17integral_constantIbLb1EES1U_EEDaS1P_S1Q_EUlS1P_E_NS1_11comp_targetILNS1_3genE4ELNS1_11target_archE910ELNS1_3gpuE8ELNS1_3repE0EEENS1_30default_config_static_selectorELNS0_4arch9wavefront6targetE0EEEvS12_,"axG",@progbits,_ZN7rocprim17ROCPRIM_400000_NS6detail17trampoline_kernelINS0_13select_configILj256ELj13ELNS0_17block_load_methodE3ELS4_3ELS4_3ELNS0_20block_scan_algorithmE0ELj4294967295EEENS1_25partition_config_selectorILNS1_17partition_subalgoE4EjNS0_10empty_typeEbEEZZNS1_14partition_implILS8_4ELb0ES6_15HIP_vector_typeIjLj2EENS0_17counting_iteratorIjlEEPS9_SG_NS0_5tupleIJPjSI_NS0_16reverse_iteratorISI_EEEEENSH_IJSG_SG_SG_EEES9_SI_JZNS1_25segmented_radix_sort_implINS0_14default_configELb0EPKfPfPKlPlN2at6native12_GLOBAL__N_18offset_tEEE10hipError_tPvRmT1_PNSt15iterator_traitsIS12_E10value_typeET2_T3_PNS13_IS18_E10value_typeET4_jRbjT5_S1E_jjP12ihipStream_tbEUljE_ZNSN_ISO_Lb0ESQ_SR_ST_SU_SY_EESZ_S10_S11_S12_S16_S17_S18_S1B_S1C_jS1D_jS1E_S1E_jjS1G_bEUljE0_EEESZ_S10_S11_S18_S1C_S1E_T6_T7_T9_mT8_S1G_bDpT10_ENKUlT_T0_E_clISt17integral_constantIbLb1EES1U_EEDaS1P_S1Q_EUlS1P_E_NS1_11comp_targetILNS1_3genE4ELNS1_11target_archE910ELNS1_3gpuE8ELNS1_3repE0EEENS1_30default_config_static_selectorELNS0_4arch9wavefront6targetE0EEEvS12_,comdat
	.globl	_ZN7rocprim17ROCPRIM_400000_NS6detail17trampoline_kernelINS0_13select_configILj256ELj13ELNS0_17block_load_methodE3ELS4_3ELS4_3ELNS0_20block_scan_algorithmE0ELj4294967295EEENS1_25partition_config_selectorILNS1_17partition_subalgoE4EjNS0_10empty_typeEbEEZZNS1_14partition_implILS8_4ELb0ES6_15HIP_vector_typeIjLj2EENS0_17counting_iteratorIjlEEPS9_SG_NS0_5tupleIJPjSI_NS0_16reverse_iteratorISI_EEEEENSH_IJSG_SG_SG_EEES9_SI_JZNS1_25segmented_radix_sort_implINS0_14default_configELb0EPKfPfPKlPlN2at6native12_GLOBAL__N_18offset_tEEE10hipError_tPvRmT1_PNSt15iterator_traitsIS12_E10value_typeET2_T3_PNS13_IS18_E10value_typeET4_jRbjT5_S1E_jjP12ihipStream_tbEUljE_ZNSN_ISO_Lb0ESQ_SR_ST_SU_SY_EESZ_S10_S11_S12_S16_S17_S18_S1B_S1C_jS1D_jS1E_S1E_jjS1G_bEUljE0_EEESZ_S10_S11_S18_S1C_S1E_T6_T7_T9_mT8_S1G_bDpT10_ENKUlT_T0_E_clISt17integral_constantIbLb1EES1U_EEDaS1P_S1Q_EUlS1P_E_NS1_11comp_targetILNS1_3genE4ELNS1_11target_archE910ELNS1_3gpuE8ELNS1_3repE0EEENS1_30default_config_static_selectorELNS0_4arch9wavefront6targetE0EEEvS12_ ; -- Begin function _ZN7rocprim17ROCPRIM_400000_NS6detail17trampoline_kernelINS0_13select_configILj256ELj13ELNS0_17block_load_methodE3ELS4_3ELS4_3ELNS0_20block_scan_algorithmE0ELj4294967295EEENS1_25partition_config_selectorILNS1_17partition_subalgoE4EjNS0_10empty_typeEbEEZZNS1_14partition_implILS8_4ELb0ES6_15HIP_vector_typeIjLj2EENS0_17counting_iteratorIjlEEPS9_SG_NS0_5tupleIJPjSI_NS0_16reverse_iteratorISI_EEEEENSH_IJSG_SG_SG_EEES9_SI_JZNS1_25segmented_radix_sort_implINS0_14default_configELb0EPKfPfPKlPlN2at6native12_GLOBAL__N_18offset_tEEE10hipError_tPvRmT1_PNSt15iterator_traitsIS12_E10value_typeET2_T3_PNS13_IS18_E10value_typeET4_jRbjT5_S1E_jjP12ihipStream_tbEUljE_ZNSN_ISO_Lb0ESQ_SR_ST_SU_SY_EESZ_S10_S11_S12_S16_S17_S18_S1B_S1C_jS1D_jS1E_S1E_jjS1G_bEUljE0_EEESZ_S10_S11_S18_S1C_S1E_T6_T7_T9_mT8_S1G_bDpT10_ENKUlT_T0_E_clISt17integral_constantIbLb1EES1U_EEDaS1P_S1Q_EUlS1P_E_NS1_11comp_targetILNS1_3genE4ELNS1_11target_archE910ELNS1_3gpuE8ELNS1_3repE0EEENS1_30default_config_static_selectorELNS0_4arch9wavefront6targetE0EEEvS12_
	.p2align	8
	.type	_ZN7rocprim17ROCPRIM_400000_NS6detail17trampoline_kernelINS0_13select_configILj256ELj13ELNS0_17block_load_methodE3ELS4_3ELS4_3ELNS0_20block_scan_algorithmE0ELj4294967295EEENS1_25partition_config_selectorILNS1_17partition_subalgoE4EjNS0_10empty_typeEbEEZZNS1_14partition_implILS8_4ELb0ES6_15HIP_vector_typeIjLj2EENS0_17counting_iteratorIjlEEPS9_SG_NS0_5tupleIJPjSI_NS0_16reverse_iteratorISI_EEEEENSH_IJSG_SG_SG_EEES9_SI_JZNS1_25segmented_radix_sort_implINS0_14default_configELb0EPKfPfPKlPlN2at6native12_GLOBAL__N_18offset_tEEE10hipError_tPvRmT1_PNSt15iterator_traitsIS12_E10value_typeET2_T3_PNS13_IS18_E10value_typeET4_jRbjT5_S1E_jjP12ihipStream_tbEUljE_ZNSN_ISO_Lb0ESQ_SR_ST_SU_SY_EESZ_S10_S11_S12_S16_S17_S18_S1B_S1C_jS1D_jS1E_S1E_jjS1G_bEUljE0_EEESZ_S10_S11_S18_S1C_S1E_T6_T7_T9_mT8_S1G_bDpT10_ENKUlT_T0_E_clISt17integral_constantIbLb1EES1U_EEDaS1P_S1Q_EUlS1P_E_NS1_11comp_targetILNS1_3genE4ELNS1_11target_archE910ELNS1_3gpuE8ELNS1_3repE0EEENS1_30default_config_static_selectorELNS0_4arch9wavefront6targetE0EEEvS12_,@function
_ZN7rocprim17ROCPRIM_400000_NS6detail17trampoline_kernelINS0_13select_configILj256ELj13ELNS0_17block_load_methodE3ELS4_3ELS4_3ELNS0_20block_scan_algorithmE0ELj4294967295EEENS1_25partition_config_selectorILNS1_17partition_subalgoE4EjNS0_10empty_typeEbEEZZNS1_14partition_implILS8_4ELb0ES6_15HIP_vector_typeIjLj2EENS0_17counting_iteratorIjlEEPS9_SG_NS0_5tupleIJPjSI_NS0_16reverse_iteratorISI_EEEEENSH_IJSG_SG_SG_EEES9_SI_JZNS1_25segmented_radix_sort_implINS0_14default_configELb0EPKfPfPKlPlN2at6native12_GLOBAL__N_18offset_tEEE10hipError_tPvRmT1_PNSt15iterator_traitsIS12_E10value_typeET2_T3_PNS13_IS18_E10value_typeET4_jRbjT5_S1E_jjP12ihipStream_tbEUljE_ZNSN_ISO_Lb0ESQ_SR_ST_SU_SY_EESZ_S10_S11_S12_S16_S17_S18_S1B_S1C_jS1D_jS1E_S1E_jjS1G_bEUljE0_EEESZ_S10_S11_S18_S1C_S1E_T6_T7_T9_mT8_S1G_bDpT10_ENKUlT_T0_E_clISt17integral_constantIbLb1EES1U_EEDaS1P_S1Q_EUlS1P_E_NS1_11comp_targetILNS1_3genE4ELNS1_11target_archE910ELNS1_3gpuE8ELNS1_3repE0EEENS1_30default_config_static_selectorELNS0_4arch9wavefront6targetE0EEEvS12_: ; @_ZN7rocprim17ROCPRIM_400000_NS6detail17trampoline_kernelINS0_13select_configILj256ELj13ELNS0_17block_load_methodE3ELS4_3ELS4_3ELNS0_20block_scan_algorithmE0ELj4294967295EEENS1_25partition_config_selectorILNS1_17partition_subalgoE4EjNS0_10empty_typeEbEEZZNS1_14partition_implILS8_4ELb0ES6_15HIP_vector_typeIjLj2EENS0_17counting_iteratorIjlEEPS9_SG_NS0_5tupleIJPjSI_NS0_16reverse_iteratorISI_EEEEENSH_IJSG_SG_SG_EEES9_SI_JZNS1_25segmented_radix_sort_implINS0_14default_configELb0EPKfPfPKlPlN2at6native12_GLOBAL__N_18offset_tEEE10hipError_tPvRmT1_PNSt15iterator_traitsIS12_E10value_typeET2_T3_PNS13_IS18_E10value_typeET4_jRbjT5_S1E_jjP12ihipStream_tbEUljE_ZNSN_ISO_Lb0ESQ_SR_ST_SU_SY_EESZ_S10_S11_S12_S16_S17_S18_S1B_S1C_jS1D_jS1E_S1E_jjS1G_bEUljE0_EEESZ_S10_S11_S18_S1C_S1E_T6_T7_T9_mT8_S1G_bDpT10_ENKUlT_T0_E_clISt17integral_constantIbLb1EES1U_EEDaS1P_S1Q_EUlS1P_E_NS1_11comp_targetILNS1_3genE4ELNS1_11target_archE910ELNS1_3gpuE8ELNS1_3repE0EEENS1_30default_config_static_selectorELNS0_4arch9wavefront6targetE0EEEvS12_
; %bb.0:
	.section	.rodata,"a",@progbits
	.p2align	6, 0x0
	.amdhsa_kernel _ZN7rocprim17ROCPRIM_400000_NS6detail17trampoline_kernelINS0_13select_configILj256ELj13ELNS0_17block_load_methodE3ELS4_3ELS4_3ELNS0_20block_scan_algorithmE0ELj4294967295EEENS1_25partition_config_selectorILNS1_17partition_subalgoE4EjNS0_10empty_typeEbEEZZNS1_14partition_implILS8_4ELb0ES6_15HIP_vector_typeIjLj2EENS0_17counting_iteratorIjlEEPS9_SG_NS0_5tupleIJPjSI_NS0_16reverse_iteratorISI_EEEEENSH_IJSG_SG_SG_EEES9_SI_JZNS1_25segmented_radix_sort_implINS0_14default_configELb0EPKfPfPKlPlN2at6native12_GLOBAL__N_18offset_tEEE10hipError_tPvRmT1_PNSt15iterator_traitsIS12_E10value_typeET2_T3_PNS13_IS18_E10value_typeET4_jRbjT5_S1E_jjP12ihipStream_tbEUljE_ZNSN_ISO_Lb0ESQ_SR_ST_SU_SY_EESZ_S10_S11_S12_S16_S17_S18_S1B_S1C_jS1D_jS1E_S1E_jjS1G_bEUljE0_EEESZ_S10_S11_S18_S1C_S1E_T6_T7_T9_mT8_S1G_bDpT10_ENKUlT_T0_E_clISt17integral_constantIbLb1EES1U_EEDaS1P_S1Q_EUlS1P_E_NS1_11comp_targetILNS1_3genE4ELNS1_11target_archE910ELNS1_3gpuE8ELNS1_3repE0EEENS1_30default_config_static_selectorELNS0_4arch9wavefront6targetE0EEEvS12_
		.amdhsa_group_segment_fixed_size 0
		.amdhsa_private_segment_fixed_size 0
		.amdhsa_kernarg_size 184
		.amdhsa_user_sgpr_count 2
		.amdhsa_user_sgpr_dispatch_ptr 0
		.amdhsa_user_sgpr_queue_ptr 0
		.amdhsa_user_sgpr_kernarg_segment_ptr 1
		.amdhsa_user_sgpr_dispatch_id 0
		.amdhsa_user_sgpr_kernarg_preload_length 0
		.amdhsa_user_sgpr_kernarg_preload_offset 0
		.amdhsa_user_sgpr_private_segment_size 0
		.amdhsa_wavefront_size32 1
		.amdhsa_uses_dynamic_stack 0
		.amdhsa_enable_private_segment 0
		.amdhsa_system_sgpr_workgroup_id_x 1
		.amdhsa_system_sgpr_workgroup_id_y 0
		.amdhsa_system_sgpr_workgroup_id_z 0
		.amdhsa_system_sgpr_workgroup_info 0
		.amdhsa_system_vgpr_workitem_id 0
		.amdhsa_next_free_vgpr 1
		.amdhsa_next_free_sgpr 1
		.amdhsa_named_barrier_count 0
		.amdhsa_reserve_vcc 0
		.amdhsa_float_round_mode_32 0
		.amdhsa_float_round_mode_16_64 0
		.amdhsa_float_denorm_mode_32 3
		.amdhsa_float_denorm_mode_16_64 3
		.amdhsa_fp16_overflow 0
		.amdhsa_memory_ordered 1
		.amdhsa_forward_progress 1
		.amdhsa_inst_pref_size 0
		.amdhsa_round_robin_scheduling 0
		.amdhsa_exception_fp_ieee_invalid_op 0
		.amdhsa_exception_fp_denorm_src 0
		.amdhsa_exception_fp_ieee_div_zero 0
		.amdhsa_exception_fp_ieee_overflow 0
		.amdhsa_exception_fp_ieee_underflow 0
		.amdhsa_exception_fp_ieee_inexact 0
		.amdhsa_exception_int_div_zero 0
	.end_amdhsa_kernel
	.section	.text._ZN7rocprim17ROCPRIM_400000_NS6detail17trampoline_kernelINS0_13select_configILj256ELj13ELNS0_17block_load_methodE3ELS4_3ELS4_3ELNS0_20block_scan_algorithmE0ELj4294967295EEENS1_25partition_config_selectorILNS1_17partition_subalgoE4EjNS0_10empty_typeEbEEZZNS1_14partition_implILS8_4ELb0ES6_15HIP_vector_typeIjLj2EENS0_17counting_iteratorIjlEEPS9_SG_NS0_5tupleIJPjSI_NS0_16reverse_iteratorISI_EEEEENSH_IJSG_SG_SG_EEES9_SI_JZNS1_25segmented_radix_sort_implINS0_14default_configELb0EPKfPfPKlPlN2at6native12_GLOBAL__N_18offset_tEEE10hipError_tPvRmT1_PNSt15iterator_traitsIS12_E10value_typeET2_T3_PNS13_IS18_E10value_typeET4_jRbjT5_S1E_jjP12ihipStream_tbEUljE_ZNSN_ISO_Lb0ESQ_SR_ST_SU_SY_EESZ_S10_S11_S12_S16_S17_S18_S1B_S1C_jS1D_jS1E_S1E_jjS1G_bEUljE0_EEESZ_S10_S11_S18_S1C_S1E_T6_T7_T9_mT8_S1G_bDpT10_ENKUlT_T0_E_clISt17integral_constantIbLb1EES1U_EEDaS1P_S1Q_EUlS1P_E_NS1_11comp_targetILNS1_3genE4ELNS1_11target_archE910ELNS1_3gpuE8ELNS1_3repE0EEENS1_30default_config_static_selectorELNS0_4arch9wavefront6targetE0EEEvS12_,"axG",@progbits,_ZN7rocprim17ROCPRIM_400000_NS6detail17trampoline_kernelINS0_13select_configILj256ELj13ELNS0_17block_load_methodE3ELS4_3ELS4_3ELNS0_20block_scan_algorithmE0ELj4294967295EEENS1_25partition_config_selectorILNS1_17partition_subalgoE4EjNS0_10empty_typeEbEEZZNS1_14partition_implILS8_4ELb0ES6_15HIP_vector_typeIjLj2EENS0_17counting_iteratorIjlEEPS9_SG_NS0_5tupleIJPjSI_NS0_16reverse_iteratorISI_EEEEENSH_IJSG_SG_SG_EEES9_SI_JZNS1_25segmented_radix_sort_implINS0_14default_configELb0EPKfPfPKlPlN2at6native12_GLOBAL__N_18offset_tEEE10hipError_tPvRmT1_PNSt15iterator_traitsIS12_E10value_typeET2_T3_PNS13_IS18_E10value_typeET4_jRbjT5_S1E_jjP12ihipStream_tbEUljE_ZNSN_ISO_Lb0ESQ_SR_ST_SU_SY_EESZ_S10_S11_S12_S16_S17_S18_S1B_S1C_jS1D_jS1E_S1E_jjS1G_bEUljE0_EEESZ_S10_S11_S18_S1C_S1E_T6_T7_T9_mT8_S1G_bDpT10_ENKUlT_T0_E_clISt17integral_constantIbLb1EES1U_EEDaS1P_S1Q_EUlS1P_E_NS1_11comp_targetILNS1_3genE4ELNS1_11target_archE910ELNS1_3gpuE8ELNS1_3repE0EEENS1_30default_config_static_selectorELNS0_4arch9wavefront6targetE0EEEvS12_,comdat
.Lfunc_end1367:
	.size	_ZN7rocprim17ROCPRIM_400000_NS6detail17trampoline_kernelINS0_13select_configILj256ELj13ELNS0_17block_load_methodE3ELS4_3ELS4_3ELNS0_20block_scan_algorithmE0ELj4294967295EEENS1_25partition_config_selectorILNS1_17partition_subalgoE4EjNS0_10empty_typeEbEEZZNS1_14partition_implILS8_4ELb0ES6_15HIP_vector_typeIjLj2EENS0_17counting_iteratorIjlEEPS9_SG_NS0_5tupleIJPjSI_NS0_16reverse_iteratorISI_EEEEENSH_IJSG_SG_SG_EEES9_SI_JZNS1_25segmented_radix_sort_implINS0_14default_configELb0EPKfPfPKlPlN2at6native12_GLOBAL__N_18offset_tEEE10hipError_tPvRmT1_PNSt15iterator_traitsIS12_E10value_typeET2_T3_PNS13_IS18_E10value_typeET4_jRbjT5_S1E_jjP12ihipStream_tbEUljE_ZNSN_ISO_Lb0ESQ_SR_ST_SU_SY_EESZ_S10_S11_S12_S16_S17_S18_S1B_S1C_jS1D_jS1E_S1E_jjS1G_bEUljE0_EEESZ_S10_S11_S18_S1C_S1E_T6_T7_T9_mT8_S1G_bDpT10_ENKUlT_T0_E_clISt17integral_constantIbLb1EES1U_EEDaS1P_S1Q_EUlS1P_E_NS1_11comp_targetILNS1_3genE4ELNS1_11target_archE910ELNS1_3gpuE8ELNS1_3repE0EEENS1_30default_config_static_selectorELNS0_4arch9wavefront6targetE0EEEvS12_, .Lfunc_end1367-_ZN7rocprim17ROCPRIM_400000_NS6detail17trampoline_kernelINS0_13select_configILj256ELj13ELNS0_17block_load_methodE3ELS4_3ELS4_3ELNS0_20block_scan_algorithmE0ELj4294967295EEENS1_25partition_config_selectorILNS1_17partition_subalgoE4EjNS0_10empty_typeEbEEZZNS1_14partition_implILS8_4ELb0ES6_15HIP_vector_typeIjLj2EENS0_17counting_iteratorIjlEEPS9_SG_NS0_5tupleIJPjSI_NS0_16reverse_iteratorISI_EEEEENSH_IJSG_SG_SG_EEES9_SI_JZNS1_25segmented_radix_sort_implINS0_14default_configELb0EPKfPfPKlPlN2at6native12_GLOBAL__N_18offset_tEEE10hipError_tPvRmT1_PNSt15iterator_traitsIS12_E10value_typeET2_T3_PNS13_IS18_E10value_typeET4_jRbjT5_S1E_jjP12ihipStream_tbEUljE_ZNSN_ISO_Lb0ESQ_SR_ST_SU_SY_EESZ_S10_S11_S12_S16_S17_S18_S1B_S1C_jS1D_jS1E_S1E_jjS1G_bEUljE0_EEESZ_S10_S11_S18_S1C_S1E_T6_T7_T9_mT8_S1G_bDpT10_ENKUlT_T0_E_clISt17integral_constantIbLb1EES1U_EEDaS1P_S1Q_EUlS1P_E_NS1_11comp_targetILNS1_3genE4ELNS1_11target_archE910ELNS1_3gpuE8ELNS1_3repE0EEENS1_30default_config_static_selectorELNS0_4arch9wavefront6targetE0EEEvS12_
                                        ; -- End function
	.set _ZN7rocprim17ROCPRIM_400000_NS6detail17trampoline_kernelINS0_13select_configILj256ELj13ELNS0_17block_load_methodE3ELS4_3ELS4_3ELNS0_20block_scan_algorithmE0ELj4294967295EEENS1_25partition_config_selectorILNS1_17partition_subalgoE4EjNS0_10empty_typeEbEEZZNS1_14partition_implILS8_4ELb0ES6_15HIP_vector_typeIjLj2EENS0_17counting_iteratorIjlEEPS9_SG_NS0_5tupleIJPjSI_NS0_16reverse_iteratorISI_EEEEENSH_IJSG_SG_SG_EEES9_SI_JZNS1_25segmented_radix_sort_implINS0_14default_configELb0EPKfPfPKlPlN2at6native12_GLOBAL__N_18offset_tEEE10hipError_tPvRmT1_PNSt15iterator_traitsIS12_E10value_typeET2_T3_PNS13_IS18_E10value_typeET4_jRbjT5_S1E_jjP12ihipStream_tbEUljE_ZNSN_ISO_Lb0ESQ_SR_ST_SU_SY_EESZ_S10_S11_S12_S16_S17_S18_S1B_S1C_jS1D_jS1E_S1E_jjS1G_bEUljE0_EEESZ_S10_S11_S18_S1C_S1E_T6_T7_T9_mT8_S1G_bDpT10_ENKUlT_T0_E_clISt17integral_constantIbLb1EES1U_EEDaS1P_S1Q_EUlS1P_E_NS1_11comp_targetILNS1_3genE4ELNS1_11target_archE910ELNS1_3gpuE8ELNS1_3repE0EEENS1_30default_config_static_selectorELNS0_4arch9wavefront6targetE0EEEvS12_.num_vgpr, 0
	.set _ZN7rocprim17ROCPRIM_400000_NS6detail17trampoline_kernelINS0_13select_configILj256ELj13ELNS0_17block_load_methodE3ELS4_3ELS4_3ELNS0_20block_scan_algorithmE0ELj4294967295EEENS1_25partition_config_selectorILNS1_17partition_subalgoE4EjNS0_10empty_typeEbEEZZNS1_14partition_implILS8_4ELb0ES6_15HIP_vector_typeIjLj2EENS0_17counting_iteratorIjlEEPS9_SG_NS0_5tupleIJPjSI_NS0_16reverse_iteratorISI_EEEEENSH_IJSG_SG_SG_EEES9_SI_JZNS1_25segmented_radix_sort_implINS0_14default_configELb0EPKfPfPKlPlN2at6native12_GLOBAL__N_18offset_tEEE10hipError_tPvRmT1_PNSt15iterator_traitsIS12_E10value_typeET2_T3_PNS13_IS18_E10value_typeET4_jRbjT5_S1E_jjP12ihipStream_tbEUljE_ZNSN_ISO_Lb0ESQ_SR_ST_SU_SY_EESZ_S10_S11_S12_S16_S17_S18_S1B_S1C_jS1D_jS1E_S1E_jjS1G_bEUljE0_EEESZ_S10_S11_S18_S1C_S1E_T6_T7_T9_mT8_S1G_bDpT10_ENKUlT_T0_E_clISt17integral_constantIbLb1EES1U_EEDaS1P_S1Q_EUlS1P_E_NS1_11comp_targetILNS1_3genE4ELNS1_11target_archE910ELNS1_3gpuE8ELNS1_3repE0EEENS1_30default_config_static_selectorELNS0_4arch9wavefront6targetE0EEEvS12_.num_agpr, 0
	.set _ZN7rocprim17ROCPRIM_400000_NS6detail17trampoline_kernelINS0_13select_configILj256ELj13ELNS0_17block_load_methodE3ELS4_3ELS4_3ELNS0_20block_scan_algorithmE0ELj4294967295EEENS1_25partition_config_selectorILNS1_17partition_subalgoE4EjNS0_10empty_typeEbEEZZNS1_14partition_implILS8_4ELb0ES6_15HIP_vector_typeIjLj2EENS0_17counting_iteratorIjlEEPS9_SG_NS0_5tupleIJPjSI_NS0_16reverse_iteratorISI_EEEEENSH_IJSG_SG_SG_EEES9_SI_JZNS1_25segmented_radix_sort_implINS0_14default_configELb0EPKfPfPKlPlN2at6native12_GLOBAL__N_18offset_tEEE10hipError_tPvRmT1_PNSt15iterator_traitsIS12_E10value_typeET2_T3_PNS13_IS18_E10value_typeET4_jRbjT5_S1E_jjP12ihipStream_tbEUljE_ZNSN_ISO_Lb0ESQ_SR_ST_SU_SY_EESZ_S10_S11_S12_S16_S17_S18_S1B_S1C_jS1D_jS1E_S1E_jjS1G_bEUljE0_EEESZ_S10_S11_S18_S1C_S1E_T6_T7_T9_mT8_S1G_bDpT10_ENKUlT_T0_E_clISt17integral_constantIbLb1EES1U_EEDaS1P_S1Q_EUlS1P_E_NS1_11comp_targetILNS1_3genE4ELNS1_11target_archE910ELNS1_3gpuE8ELNS1_3repE0EEENS1_30default_config_static_selectorELNS0_4arch9wavefront6targetE0EEEvS12_.numbered_sgpr, 0
	.set _ZN7rocprim17ROCPRIM_400000_NS6detail17trampoline_kernelINS0_13select_configILj256ELj13ELNS0_17block_load_methodE3ELS4_3ELS4_3ELNS0_20block_scan_algorithmE0ELj4294967295EEENS1_25partition_config_selectorILNS1_17partition_subalgoE4EjNS0_10empty_typeEbEEZZNS1_14partition_implILS8_4ELb0ES6_15HIP_vector_typeIjLj2EENS0_17counting_iteratorIjlEEPS9_SG_NS0_5tupleIJPjSI_NS0_16reverse_iteratorISI_EEEEENSH_IJSG_SG_SG_EEES9_SI_JZNS1_25segmented_radix_sort_implINS0_14default_configELb0EPKfPfPKlPlN2at6native12_GLOBAL__N_18offset_tEEE10hipError_tPvRmT1_PNSt15iterator_traitsIS12_E10value_typeET2_T3_PNS13_IS18_E10value_typeET4_jRbjT5_S1E_jjP12ihipStream_tbEUljE_ZNSN_ISO_Lb0ESQ_SR_ST_SU_SY_EESZ_S10_S11_S12_S16_S17_S18_S1B_S1C_jS1D_jS1E_S1E_jjS1G_bEUljE0_EEESZ_S10_S11_S18_S1C_S1E_T6_T7_T9_mT8_S1G_bDpT10_ENKUlT_T0_E_clISt17integral_constantIbLb1EES1U_EEDaS1P_S1Q_EUlS1P_E_NS1_11comp_targetILNS1_3genE4ELNS1_11target_archE910ELNS1_3gpuE8ELNS1_3repE0EEENS1_30default_config_static_selectorELNS0_4arch9wavefront6targetE0EEEvS12_.num_named_barrier, 0
	.set _ZN7rocprim17ROCPRIM_400000_NS6detail17trampoline_kernelINS0_13select_configILj256ELj13ELNS0_17block_load_methodE3ELS4_3ELS4_3ELNS0_20block_scan_algorithmE0ELj4294967295EEENS1_25partition_config_selectorILNS1_17partition_subalgoE4EjNS0_10empty_typeEbEEZZNS1_14partition_implILS8_4ELb0ES6_15HIP_vector_typeIjLj2EENS0_17counting_iteratorIjlEEPS9_SG_NS0_5tupleIJPjSI_NS0_16reverse_iteratorISI_EEEEENSH_IJSG_SG_SG_EEES9_SI_JZNS1_25segmented_radix_sort_implINS0_14default_configELb0EPKfPfPKlPlN2at6native12_GLOBAL__N_18offset_tEEE10hipError_tPvRmT1_PNSt15iterator_traitsIS12_E10value_typeET2_T3_PNS13_IS18_E10value_typeET4_jRbjT5_S1E_jjP12ihipStream_tbEUljE_ZNSN_ISO_Lb0ESQ_SR_ST_SU_SY_EESZ_S10_S11_S12_S16_S17_S18_S1B_S1C_jS1D_jS1E_S1E_jjS1G_bEUljE0_EEESZ_S10_S11_S18_S1C_S1E_T6_T7_T9_mT8_S1G_bDpT10_ENKUlT_T0_E_clISt17integral_constantIbLb1EES1U_EEDaS1P_S1Q_EUlS1P_E_NS1_11comp_targetILNS1_3genE4ELNS1_11target_archE910ELNS1_3gpuE8ELNS1_3repE0EEENS1_30default_config_static_selectorELNS0_4arch9wavefront6targetE0EEEvS12_.private_seg_size, 0
	.set _ZN7rocprim17ROCPRIM_400000_NS6detail17trampoline_kernelINS0_13select_configILj256ELj13ELNS0_17block_load_methodE3ELS4_3ELS4_3ELNS0_20block_scan_algorithmE0ELj4294967295EEENS1_25partition_config_selectorILNS1_17partition_subalgoE4EjNS0_10empty_typeEbEEZZNS1_14partition_implILS8_4ELb0ES6_15HIP_vector_typeIjLj2EENS0_17counting_iteratorIjlEEPS9_SG_NS0_5tupleIJPjSI_NS0_16reverse_iteratorISI_EEEEENSH_IJSG_SG_SG_EEES9_SI_JZNS1_25segmented_radix_sort_implINS0_14default_configELb0EPKfPfPKlPlN2at6native12_GLOBAL__N_18offset_tEEE10hipError_tPvRmT1_PNSt15iterator_traitsIS12_E10value_typeET2_T3_PNS13_IS18_E10value_typeET4_jRbjT5_S1E_jjP12ihipStream_tbEUljE_ZNSN_ISO_Lb0ESQ_SR_ST_SU_SY_EESZ_S10_S11_S12_S16_S17_S18_S1B_S1C_jS1D_jS1E_S1E_jjS1G_bEUljE0_EEESZ_S10_S11_S18_S1C_S1E_T6_T7_T9_mT8_S1G_bDpT10_ENKUlT_T0_E_clISt17integral_constantIbLb1EES1U_EEDaS1P_S1Q_EUlS1P_E_NS1_11comp_targetILNS1_3genE4ELNS1_11target_archE910ELNS1_3gpuE8ELNS1_3repE0EEENS1_30default_config_static_selectorELNS0_4arch9wavefront6targetE0EEEvS12_.uses_vcc, 0
	.set _ZN7rocprim17ROCPRIM_400000_NS6detail17trampoline_kernelINS0_13select_configILj256ELj13ELNS0_17block_load_methodE3ELS4_3ELS4_3ELNS0_20block_scan_algorithmE0ELj4294967295EEENS1_25partition_config_selectorILNS1_17partition_subalgoE4EjNS0_10empty_typeEbEEZZNS1_14partition_implILS8_4ELb0ES6_15HIP_vector_typeIjLj2EENS0_17counting_iteratorIjlEEPS9_SG_NS0_5tupleIJPjSI_NS0_16reverse_iteratorISI_EEEEENSH_IJSG_SG_SG_EEES9_SI_JZNS1_25segmented_radix_sort_implINS0_14default_configELb0EPKfPfPKlPlN2at6native12_GLOBAL__N_18offset_tEEE10hipError_tPvRmT1_PNSt15iterator_traitsIS12_E10value_typeET2_T3_PNS13_IS18_E10value_typeET4_jRbjT5_S1E_jjP12ihipStream_tbEUljE_ZNSN_ISO_Lb0ESQ_SR_ST_SU_SY_EESZ_S10_S11_S12_S16_S17_S18_S1B_S1C_jS1D_jS1E_S1E_jjS1G_bEUljE0_EEESZ_S10_S11_S18_S1C_S1E_T6_T7_T9_mT8_S1G_bDpT10_ENKUlT_T0_E_clISt17integral_constantIbLb1EES1U_EEDaS1P_S1Q_EUlS1P_E_NS1_11comp_targetILNS1_3genE4ELNS1_11target_archE910ELNS1_3gpuE8ELNS1_3repE0EEENS1_30default_config_static_selectorELNS0_4arch9wavefront6targetE0EEEvS12_.uses_flat_scratch, 0
	.set _ZN7rocprim17ROCPRIM_400000_NS6detail17trampoline_kernelINS0_13select_configILj256ELj13ELNS0_17block_load_methodE3ELS4_3ELS4_3ELNS0_20block_scan_algorithmE0ELj4294967295EEENS1_25partition_config_selectorILNS1_17partition_subalgoE4EjNS0_10empty_typeEbEEZZNS1_14partition_implILS8_4ELb0ES6_15HIP_vector_typeIjLj2EENS0_17counting_iteratorIjlEEPS9_SG_NS0_5tupleIJPjSI_NS0_16reverse_iteratorISI_EEEEENSH_IJSG_SG_SG_EEES9_SI_JZNS1_25segmented_radix_sort_implINS0_14default_configELb0EPKfPfPKlPlN2at6native12_GLOBAL__N_18offset_tEEE10hipError_tPvRmT1_PNSt15iterator_traitsIS12_E10value_typeET2_T3_PNS13_IS18_E10value_typeET4_jRbjT5_S1E_jjP12ihipStream_tbEUljE_ZNSN_ISO_Lb0ESQ_SR_ST_SU_SY_EESZ_S10_S11_S12_S16_S17_S18_S1B_S1C_jS1D_jS1E_S1E_jjS1G_bEUljE0_EEESZ_S10_S11_S18_S1C_S1E_T6_T7_T9_mT8_S1G_bDpT10_ENKUlT_T0_E_clISt17integral_constantIbLb1EES1U_EEDaS1P_S1Q_EUlS1P_E_NS1_11comp_targetILNS1_3genE4ELNS1_11target_archE910ELNS1_3gpuE8ELNS1_3repE0EEENS1_30default_config_static_selectorELNS0_4arch9wavefront6targetE0EEEvS12_.has_dyn_sized_stack, 0
	.set _ZN7rocprim17ROCPRIM_400000_NS6detail17trampoline_kernelINS0_13select_configILj256ELj13ELNS0_17block_load_methodE3ELS4_3ELS4_3ELNS0_20block_scan_algorithmE0ELj4294967295EEENS1_25partition_config_selectorILNS1_17partition_subalgoE4EjNS0_10empty_typeEbEEZZNS1_14partition_implILS8_4ELb0ES6_15HIP_vector_typeIjLj2EENS0_17counting_iteratorIjlEEPS9_SG_NS0_5tupleIJPjSI_NS0_16reverse_iteratorISI_EEEEENSH_IJSG_SG_SG_EEES9_SI_JZNS1_25segmented_radix_sort_implINS0_14default_configELb0EPKfPfPKlPlN2at6native12_GLOBAL__N_18offset_tEEE10hipError_tPvRmT1_PNSt15iterator_traitsIS12_E10value_typeET2_T3_PNS13_IS18_E10value_typeET4_jRbjT5_S1E_jjP12ihipStream_tbEUljE_ZNSN_ISO_Lb0ESQ_SR_ST_SU_SY_EESZ_S10_S11_S12_S16_S17_S18_S1B_S1C_jS1D_jS1E_S1E_jjS1G_bEUljE0_EEESZ_S10_S11_S18_S1C_S1E_T6_T7_T9_mT8_S1G_bDpT10_ENKUlT_T0_E_clISt17integral_constantIbLb1EES1U_EEDaS1P_S1Q_EUlS1P_E_NS1_11comp_targetILNS1_3genE4ELNS1_11target_archE910ELNS1_3gpuE8ELNS1_3repE0EEENS1_30default_config_static_selectorELNS0_4arch9wavefront6targetE0EEEvS12_.has_recursion, 0
	.set _ZN7rocprim17ROCPRIM_400000_NS6detail17trampoline_kernelINS0_13select_configILj256ELj13ELNS0_17block_load_methodE3ELS4_3ELS4_3ELNS0_20block_scan_algorithmE0ELj4294967295EEENS1_25partition_config_selectorILNS1_17partition_subalgoE4EjNS0_10empty_typeEbEEZZNS1_14partition_implILS8_4ELb0ES6_15HIP_vector_typeIjLj2EENS0_17counting_iteratorIjlEEPS9_SG_NS0_5tupleIJPjSI_NS0_16reverse_iteratorISI_EEEEENSH_IJSG_SG_SG_EEES9_SI_JZNS1_25segmented_radix_sort_implINS0_14default_configELb0EPKfPfPKlPlN2at6native12_GLOBAL__N_18offset_tEEE10hipError_tPvRmT1_PNSt15iterator_traitsIS12_E10value_typeET2_T3_PNS13_IS18_E10value_typeET4_jRbjT5_S1E_jjP12ihipStream_tbEUljE_ZNSN_ISO_Lb0ESQ_SR_ST_SU_SY_EESZ_S10_S11_S12_S16_S17_S18_S1B_S1C_jS1D_jS1E_S1E_jjS1G_bEUljE0_EEESZ_S10_S11_S18_S1C_S1E_T6_T7_T9_mT8_S1G_bDpT10_ENKUlT_T0_E_clISt17integral_constantIbLb1EES1U_EEDaS1P_S1Q_EUlS1P_E_NS1_11comp_targetILNS1_3genE4ELNS1_11target_archE910ELNS1_3gpuE8ELNS1_3repE0EEENS1_30default_config_static_selectorELNS0_4arch9wavefront6targetE0EEEvS12_.has_indirect_call, 0
	.section	.AMDGPU.csdata,"",@progbits
; Kernel info:
; codeLenInByte = 0
; TotalNumSgprs: 0
; NumVgprs: 0
; ScratchSize: 0
; MemoryBound: 0
; FloatMode: 240
; IeeeMode: 1
; LDSByteSize: 0 bytes/workgroup (compile time only)
; SGPRBlocks: 0
; VGPRBlocks: 0
; NumSGPRsForWavesPerEU: 1
; NumVGPRsForWavesPerEU: 1
; NamedBarCnt: 0
; Occupancy: 16
; WaveLimiterHint : 0
; COMPUTE_PGM_RSRC2:SCRATCH_EN: 0
; COMPUTE_PGM_RSRC2:USER_SGPR: 2
; COMPUTE_PGM_RSRC2:TRAP_HANDLER: 0
; COMPUTE_PGM_RSRC2:TGID_X_EN: 1
; COMPUTE_PGM_RSRC2:TGID_Y_EN: 0
; COMPUTE_PGM_RSRC2:TGID_Z_EN: 0
; COMPUTE_PGM_RSRC2:TIDIG_COMP_CNT: 0
	.section	.text._ZN7rocprim17ROCPRIM_400000_NS6detail17trampoline_kernelINS0_13select_configILj256ELj13ELNS0_17block_load_methodE3ELS4_3ELS4_3ELNS0_20block_scan_algorithmE0ELj4294967295EEENS1_25partition_config_selectorILNS1_17partition_subalgoE4EjNS0_10empty_typeEbEEZZNS1_14partition_implILS8_4ELb0ES6_15HIP_vector_typeIjLj2EENS0_17counting_iteratorIjlEEPS9_SG_NS0_5tupleIJPjSI_NS0_16reverse_iteratorISI_EEEEENSH_IJSG_SG_SG_EEES9_SI_JZNS1_25segmented_radix_sort_implINS0_14default_configELb0EPKfPfPKlPlN2at6native12_GLOBAL__N_18offset_tEEE10hipError_tPvRmT1_PNSt15iterator_traitsIS12_E10value_typeET2_T3_PNS13_IS18_E10value_typeET4_jRbjT5_S1E_jjP12ihipStream_tbEUljE_ZNSN_ISO_Lb0ESQ_SR_ST_SU_SY_EESZ_S10_S11_S12_S16_S17_S18_S1B_S1C_jS1D_jS1E_S1E_jjS1G_bEUljE0_EEESZ_S10_S11_S18_S1C_S1E_T6_T7_T9_mT8_S1G_bDpT10_ENKUlT_T0_E_clISt17integral_constantIbLb1EES1U_EEDaS1P_S1Q_EUlS1P_E_NS1_11comp_targetILNS1_3genE3ELNS1_11target_archE908ELNS1_3gpuE7ELNS1_3repE0EEENS1_30default_config_static_selectorELNS0_4arch9wavefront6targetE0EEEvS12_,"axG",@progbits,_ZN7rocprim17ROCPRIM_400000_NS6detail17trampoline_kernelINS0_13select_configILj256ELj13ELNS0_17block_load_methodE3ELS4_3ELS4_3ELNS0_20block_scan_algorithmE0ELj4294967295EEENS1_25partition_config_selectorILNS1_17partition_subalgoE4EjNS0_10empty_typeEbEEZZNS1_14partition_implILS8_4ELb0ES6_15HIP_vector_typeIjLj2EENS0_17counting_iteratorIjlEEPS9_SG_NS0_5tupleIJPjSI_NS0_16reverse_iteratorISI_EEEEENSH_IJSG_SG_SG_EEES9_SI_JZNS1_25segmented_radix_sort_implINS0_14default_configELb0EPKfPfPKlPlN2at6native12_GLOBAL__N_18offset_tEEE10hipError_tPvRmT1_PNSt15iterator_traitsIS12_E10value_typeET2_T3_PNS13_IS18_E10value_typeET4_jRbjT5_S1E_jjP12ihipStream_tbEUljE_ZNSN_ISO_Lb0ESQ_SR_ST_SU_SY_EESZ_S10_S11_S12_S16_S17_S18_S1B_S1C_jS1D_jS1E_S1E_jjS1G_bEUljE0_EEESZ_S10_S11_S18_S1C_S1E_T6_T7_T9_mT8_S1G_bDpT10_ENKUlT_T0_E_clISt17integral_constantIbLb1EES1U_EEDaS1P_S1Q_EUlS1P_E_NS1_11comp_targetILNS1_3genE3ELNS1_11target_archE908ELNS1_3gpuE7ELNS1_3repE0EEENS1_30default_config_static_selectorELNS0_4arch9wavefront6targetE0EEEvS12_,comdat
	.globl	_ZN7rocprim17ROCPRIM_400000_NS6detail17trampoline_kernelINS0_13select_configILj256ELj13ELNS0_17block_load_methodE3ELS4_3ELS4_3ELNS0_20block_scan_algorithmE0ELj4294967295EEENS1_25partition_config_selectorILNS1_17partition_subalgoE4EjNS0_10empty_typeEbEEZZNS1_14partition_implILS8_4ELb0ES6_15HIP_vector_typeIjLj2EENS0_17counting_iteratorIjlEEPS9_SG_NS0_5tupleIJPjSI_NS0_16reverse_iteratorISI_EEEEENSH_IJSG_SG_SG_EEES9_SI_JZNS1_25segmented_radix_sort_implINS0_14default_configELb0EPKfPfPKlPlN2at6native12_GLOBAL__N_18offset_tEEE10hipError_tPvRmT1_PNSt15iterator_traitsIS12_E10value_typeET2_T3_PNS13_IS18_E10value_typeET4_jRbjT5_S1E_jjP12ihipStream_tbEUljE_ZNSN_ISO_Lb0ESQ_SR_ST_SU_SY_EESZ_S10_S11_S12_S16_S17_S18_S1B_S1C_jS1D_jS1E_S1E_jjS1G_bEUljE0_EEESZ_S10_S11_S18_S1C_S1E_T6_T7_T9_mT8_S1G_bDpT10_ENKUlT_T0_E_clISt17integral_constantIbLb1EES1U_EEDaS1P_S1Q_EUlS1P_E_NS1_11comp_targetILNS1_3genE3ELNS1_11target_archE908ELNS1_3gpuE7ELNS1_3repE0EEENS1_30default_config_static_selectorELNS0_4arch9wavefront6targetE0EEEvS12_ ; -- Begin function _ZN7rocprim17ROCPRIM_400000_NS6detail17trampoline_kernelINS0_13select_configILj256ELj13ELNS0_17block_load_methodE3ELS4_3ELS4_3ELNS0_20block_scan_algorithmE0ELj4294967295EEENS1_25partition_config_selectorILNS1_17partition_subalgoE4EjNS0_10empty_typeEbEEZZNS1_14partition_implILS8_4ELb0ES6_15HIP_vector_typeIjLj2EENS0_17counting_iteratorIjlEEPS9_SG_NS0_5tupleIJPjSI_NS0_16reverse_iteratorISI_EEEEENSH_IJSG_SG_SG_EEES9_SI_JZNS1_25segmented_radix_sort_implINS0_14default_configELb0EPKfPfPKlPlN2at6native12_GLOBAL__N_18offset_tEEE10hipError_tPvRmT1_PNSt15iterator_traitsIS12_E10value_typeET2_T3_PNS13_IS18_E10value_typeET4_jRbjT5_S1E_jjP12ihipStream_tbEUljE_ZNSN_ISO_Lb0ESQ_SR_ST_SU_SY_EESZ_S10_S11_S12_S16_S17_S18_S1B_S1C_jS1D_jS1E_S1E_jjS1G_bEUljE0_EEESZ_S10_S11_S18_S1C_S1E_T6_T7_T9_mT8_S1G_bDpT10_ENKUlT_T0_E_clISt17integral_constantIbLb1EES1U_EEDaS1P_S1Q_EUlS1P_E_NS1_11comp_targetILNS1_3genE3ELNS1_11target_archE908ELNS1_3gpuE7ELNS1_3repE0EEENS1_30default_config_static_selectorELNS0_4arch9wavefront6targetE0EEEvS12_
	.p2align	8
	.type	_ZN7rocprim17ROCPRIM_400000_NS6detail17trampoline_kernelINS0_13select_configILj256ELj13ELNS0_17block_load_methodE3ELS4_3ELS4_3ELNS0_20block_scan_algorithmE0ELj4294967295EEENS1_25partition_config_selectorILNS1_17partition_subalgoE4EjNS0_10empty_typeEbEEZZNS1_14partition_implILS8_4ELb0ES6_15HIP_vector_typeIjLj2EENS0_17counting_iteratorIjlEEPS9_SG_NS0_5tupleIJPjSI_NS0_16reverse_iteratorISI_EEEEENSH_IJSG_SG_SG_EEES9_SI_JZNS1_25segmented_radix_sort_implINS0_14default_configELb0EPKfPfPKlPlN2at6native12_GLOBAL__N_18offset_tEEE10hipError_tPvRmT1_PNSt15iterator_traitsIS12_E10value_typeET2_T3_PNS13_IS18_E10value_typeET4_jRbjT5_S1E_jjP12ihipStream_tbEUljE_ZNSN_ISO_Lb0ESQ_SR_ST_SU_SY_EESZ_S10_S11_S12_S16_S17_S18_S1B_S1C_jS1D_jS1E_S1E_jjS1G_bEUljE0_EEESZ_S10_S11_S18_S1C_S1E_T6_T7_T9_mT8_S1G_bDpT10_ENKUlT_T0_E_clISt17integral_constantIbLb1EES1U_EEDaS1P_S1Q_EUlS1P_E_NS1_11comp_targetILNS1_3genE3ELNS1_11target_archE908ELNS1_3gpuE7ELNS1_3repE0EEENS1_30default_config_static_selectorELNS0_4arch9wavefront6targetE0EEEvS12_,@function
_ZN7rocprim17ROCPRIM_400000_NS6detail17trampoline_kernelINS0_13select_configILj256ELj13ELNS0_17block_load_methodE3ELS4_3ELS4_3ELNS0_20block_scan_algorithmE0ELj4294967295EEENS1_25partition_config_selectorILNS1_17partition_subalgoE4EjNS0_10empty_typeEbEEZZNS1_14partition_implILS8_4ELb0ES6_15HIP_vector_typeIjLj2EENS0_17counting_iteratorIjlEEPS9_SG_NS0_5tupleIJPjSI_NS0_16reverse_iteratorISI_EEEEENSH_IJSG_SG_SG_EEES9_SI_JZNS1_25segmented_radix_sort_implINS0_14default_configELb0EPKfPfPKlPlN2at6native12_GLOBAL__N_18offset_tEEE10hipError_tPvRmT1_PNSt15iterator_traitsIS12_E10value_typeET2_T3_PNS13_IS18_E10value_typeET4_jRbjT5_S1E_jjP12ihipStream_tbEUljE_ZNSN_ISO_Lb0ESQ_SR_ST_SU_SY_EESZ_S10_S11_S12_S16_S17_S18_S1B_S1C_jS1D_jS1E_S1E_jjS1G_bEUljE0_EEESZ_S10_S11_S18_S1C_S1E_T6_T7_T9_mT8_S1G_bDpT10_ENKUlT_T0_E_clISt17integral_constantIbLb1EES1U_EEDaS1P_S1Q_EUlS1P_E_NS1_11comp_targetILNS1_3genE3ELNS1_11target_archE908ELNS1_3gpuE7ELNS1_3repE0EEENS1_30default_config_static_selectorELNS0_4arch9wavefront6targetE0EEEvS12_: ; @_ZN7rocprim17ROCPRIM_400000_NS6detail17trampoline_kernelINS0_13select_configILj256ELj13ELNS0_17block_load_methodE3ELS4_3ELS4_3ELNS0_20block_scan_algorithmE0ELj4294967295EEENS1_25partition_config_selectorILNS1_17partition_subalgoE4EjNS0_10empty_typeEbEEZZNS1_14partition_implILS8_4ELb0ES6_15HIP_vector_typeIjLj2EENS0_17counting_iteratorIjlEEPS9_SG_NS0_5tupleIJPjSI_NS0_16reverse_iteratorISI_EEEEENSH_IJSG_SG_SG_EEES9_SI_JZNS1_25segmented_radix_sort_implINS0_14default_configELb0EPKfPfPKlPlN2at6native12_GLOBAL__N_18offset_tEEE10hipError_tPvRmT1_PNSt15iterator_traitsIS12_E10value_typeET2_T3_PNS13_IS18_E10value_typeET4_jRbjT5_S1E_jjP12ihipStream_tbEUljE_ZNSN_ISO_Lb0ESQ_SR_ST_SU_SY_EESZ_S10_S11_S12_S16_S17_S18_S1B_S1C_jS1D_jS1E_S1E_jjS1G_bEUljE0_EEESZ_S10_S11_S18_S1C_S1E_T6_T7_T9_mT8_S1G_bDpT10_ENKUlT_T0_E_clISt17integral_constantIbLb1EES1U_EEDaS1P_S1Q_EUlS1P_E_NS1_11comp_targetILNS1_3genE3ELNS1_11target_archE908ELNS1_3gpuE7ELNS1_3repE0EEENS1_30default_config_static_selectorELNS0_4arch9wavefront6targetE0EEEvS12_
; %bb.0:
	.section	.rodata,"a",@progbits
	.p2align	6, 0x0
	.amdhsa_kernel _ZN7rocprim17ROCPRIM_400000_NS6detail17trampoline_kernelINS0_13select_configILj256ELj13ELNS0_17block_load_methodE3ELS4_3ELS4_3ELNS0_20block_scan_algorithmE0ELj4294967295EEENS1_25partition_config_selectorILNS1_17partition_subalgoE4EjNS0_10empty_typeEbEEZZNS1_14partition_implILS8_4ELb0ES6_15HIP_vector_typeIjLj2EENS0_17counting_iteratorIjlEEPS9_SG_NS0_5tupleIJPjSI_NS0_16reverse_iteratorISI_EEEEENSH_IJSG_SG_SG_EEES9_SI_JZNS1_25segmented_radix_sort_implINS0_14default_configELb0EPKfPfPKlPlN2at6native12_GLOBAL__N_18offset_tEEE10hipError_tPvRmT1_PNSt15iterator_traitsIS12_E10value_typeET2_T3_PNS13_IS18_E10value_typeET4_jRbjT5_S1E_jjP12ihipStream_tbEUljE_ZNSN_ISO_Lb0ESQ_SR_ST_SU_SY_EESZ_S10_S11_S12_S16_S17_S18_S1B_S1C_jS1D_jS1E_S1E_jjS1G_bEUljE0_EEESZ_S10_S11_S18_S1C_S1E_T6_T7_T9_mT8_S1G_bDpT10_ENKUlT_T0_E_clISt17integral_constantIbLb1EES1U_EEDaS1P_S1Q_EUlS1P_E_NS1_11comp_targetILNS1_3genE3ELNS1_11target_archE908ELNS1_3gpuE7ELNS1_3repE0EEENS1_30default_config_static_selectorELNS0_4arch9wavefront6targetE0EEEvS12_
		.amdhsa_group_segment_fixed_size 0
		.amdhsa_private_segment_fixed_size 0
		.amdhsa_kernarg_size 184
		.amdhsa_user_sgpr_count 2
		.amdhsa_user_sgpr_dispatch_ptr 0
		.amdhsa_user_sgpr_queue_ptr 0
		.amdhsa_user_sgpr_kernarg_segment_ptr 1
		.amdhsa_user_sgpr_dispatch_id 0
		.amdhsa_user_sgpr_kernarg_preload_length 0
		.amdhsa_user_sgpr_kernarg_preload_offset 0
		.amdhsa_user_sgpr_private_segment_size 0
		.amdhsa_wavefront_size32 1
		.amdhsa_uses_dynamic_stack 0
		.amdhsa_enable_private_segment 0
		.amdhsa_system_sgpr_workgroup_id_x 1
		.amdhsa_system_sgpr_workgroup_id_y 0
		.amdhsa_system_sgpr_workgroup_id_z 0
		.amdhsa_system_sgpr_workgroup_info 0
		.amdhsa_system_vgpr_workitem_id 0
		.amdhsa_next_free_vgpr 1
		.amdhsa_next_free_sgpr 1
		.amdhsa_named_barrier_count 0
		.amdhsa_reserve_vcc 0
		.amdhsa_float_round_mode_32 0
		.amdhsa_float_round_mode_16_64 0
		.amdhsa_float_denorm_mode_32 3
		.amdhsa_float_denorm_mode_16_64 3
		.amdhsa_fp16_overflow 0
		.amdhsa_memory_ordered 1
		.amdhsa_forward_progress 1
		.amdhsa_inst_pref_size 0
		.amdhsa_round_robin_scheduling 0
		.amdhsa_exception_fp_ieee_invalid_op 0
		.amdhsa_exception_fp_denorm_src 0
		.amdhsa_exception_fp_ieee_div_zero 0
		.amdhsa_exception_fp_ieee_overflow 0
		.amdhsa_exception_fp_ieee_underflow 0
		.amdhsa_exception_fp_ieee_inexact 0
		.amdhsa_exception_int_div_zero 0
	.end_amdhsa_kernel
	.section	.text._ZN7rocprim17ROCPRIM_400000_NS6detail17trampoline_kernelINS0_13select_configILj256ELj13ELNS0_17block_load_methodE3ELS4_3ELS4_3ELNS0_20block_scan_algorithmE0ELj4294967295EEENS1_25partition_config_selectorILNS1_17partition_subalgoE4EjNS0_10empty_typeEbEEZZNS1_14partition_implILS8_4ELb0ES6_15HIP_vector_typeIjLj2EENS0_17counting_iteratorIjlEEPS9_SG_NS0_5tupleIJPjSI_NS0_16reverse_iteratorISI_EEEEENSH_IJSG_SG_SG_EEES9_SI_JZNS1_25segmented_radix_sort_implINS0_14default_configELb0EPKfPfPKlPlN2at6native12_GLOBAL__N_18offset_tEEE10hipError_tPvRmT1_PNSt15iterator_traitsIS12_E10value_typeET2_T3_PNS13_IS18_E10value_typeET4_jRbjT5_S1E_jjP12ihipStream_tbEUljE_ZNSN_ISO_Lb0ESQ_SR_ST_SU_SY_EESZ_S10_S11_S12_S16_S17_S18_S1B_S1C_jS1D_jS1E_S1E_jjS1G_bEUljE0_EEESZ_S10_S11_S18_S1C_S1E_T6_T7_T9_mT8_S1G_bDpT10_ENKUlT_T0_E_clISt17integral_constantIbLb1EES1U_EEDaS1P_S1Q_EUlS1P_E_NS1_11comp_targetILNS1_3genE3ELNS1_11target_archE908ELNS1_3gpuE7ELNS1_3repE0EEENS1_30default_config_static_selectorELNS0_4arch9wavefront6targetE0EEEvS12_,"axG",@progbits,_ZN7rocprim17ROCPRIM_400000_NS6detail17trampoline_kernelINS0_13select_configILj256ELj13ELNS0_17block_load_methodE3ELS4_3ELS4_3ELNS0_20block_scan_algorithmE0ELj4294967295EEENS1_25partition_config_selectorILNS1_17partition_subalgoE4EjNS0_10empty_typeEbEEZZNS1_14partition_implILS8_4ELb0ES6_15HIP_vector_typeIjLj2EENS0_17counting_iteratorIjlEEPS9_SG_NS0_5tupleIJPjSI_NS0_16reverse_iteratorISI_EEEEENSH_IJSG_SG_SG_EEES9_SI_JZNS1_25segmented_radix_sort_implINS0_14default_configELb0EPKfPfPKlPlN2at6native12_GLOBAL__N_18offset_tEEE10hipError_tPvRmT1_PNSt15iterator_traitsIS12_E10value_typeET2_T3_PNS13_IS18_E10value_typeET4_jRbjT5_S1E_jjP12ihipStream_tbEUljE_ZNSN_ISO_Lb0ESQ_SR_ST_SU_SY_EESZ_S10_S11_S12_S16_S17_S18_S1B_S1C_jS1D_jS1E_S1E_jjS1G_bEUljE0_EEESZ_S10_S11_S18_S1C_S1E_T6_T7_T9_mT8_S1G_bDpT10_ENKUlT_T0_E_clISt17integral_constantIbLb1EES1U_EEDaS1P_S1Q_EUlS1P_E_NS1_11comp_targetILNS1_3genE3ELNS1_11target_archE908ELNS1_3gpuE7ELNS1_3repE0EEENS1_30default_config_static_selectorELNS0_4arch9wavefront6targetE0EEEvS12_,comdat
.Lfunc_end1368:
	.size	_ZN7rocprim17ROCPRIM_400000_NS6detail17trampoline_kernelINS0_13select_configILj256ELj13ELNS0_17block_load_methodE3ELS4_3ELS4_3ELNS0_20block_scan_algorithmE0ELj4294967295EEENS1_25partition_config_selectorILNS1_17partition_subalgoE4EjNS0_10empty_typeEbEEZZNS1_14partition_implILS8_4ELb0ES6_15HIP_vector_typeIjLj2EENS0_17counting_iteratorIjlEEPS9_SG_NS0_5tupleIJPjSI_NS0_16reverse_iteratorISI_EEEEENSH_IJSG_SG_SG_EEES9_SI_JZNS1_25segmented_radix_sort_implINS0_14default_configELb0EPKfPfPKlPlN2at6native12_GLOBAL__N_18offset_tEEE10hipError_tPvRmT1_PNSt15iterator_traitsIS12_E10value_typeET2_T3_PNS13_IS18_E10value_typeET4_jRbjT5_S1E_jjP12ihipStream_tbEUljE_ZNSN_ISO_Lb0ESQ_SR_ST_SU_SY_EESZ_S10_S11_S12_S16_S17_S18_S1B_S1C_jS1D_jS1E_S1E_jjS1G_bEUljE0_EEESZ_S10_S11_S18_S1C_S1E_T6_T7_T9_mT8_S1G_bDpT10_ENKUlT_T0_E_clISt17integral_constantIbLb1EES1U_EEDaS1P_S1Q_EUlS1P_E_NS1_11comp_targetILNS1_3genE3ELNS1_11target_archE908ELNS1_3gpuE7ELNS1_3repE0EEENS1_30default_config_static_selectorELNS0_4arch9wavefront6targetE0EEEvS12_, .Lfunc_end1368-_ZN7rocprim17ROCPRIM_400000_NS6detail17trampoline_kernelINS0_13select_configILj256ELj13ELNS0_17block_load_methodE3ELS4_3ELS4_3ELNS0_20block_scan_algorithmE0ELj4294967295EEENS1_25partition_config_selectorILNS1_17partition_subalgoE4EjNS0_10empty_typeEbEEZZNS1_14partition_implILS8_4ELb0ES6_15HIP_vector_typeIjLj2EENS0_17counting_iteratorIjlEEPS9_SG_NS0_5tupleIJPjSI_NS0_16reverse_iteratorISI_EEEEENSH_IJSG_SG_SG_EEES9_SI_JZNS1_25segmented_radix_sort_implINS0_14default_configELb0EPKfPfPKlPlN2at6native12_GLOBAL__N_18offset_tEEE10hipError_tPvRmT1_PNSt15iterator_traitsIS12_E10value_typeET2_T3_PNS13_IS18_E10value_typeET4_jRbjT5_S1E_jjP12ihipStream_tbEUljE_ZNSN_ISO_Lb0ESQ_SR_ST_SU_SY_EESZ_S10_S11_S12_S16_S17_S18_S1B_S1C_jS1D_jS1E_S1E_jjS1G_bEUljE0_EEESZ_S10_S11_S18_S1C_S1E_T6_T7_T9_mT8_S1G_bDpT10_ENKUlT_T0_E_clISt17integral_constantIbLb1EES1U_EEDaS1P_S1Q_EUlS1P_E_NS1_11comp_targetILNS1_3genE3ELNS1_11target_archE908ELNS1_3gpuE7ELNS1_3repE0EEENS1_30default_config_static_selectorELNS0_4arch9wavefront6targetE0EEEvS12_
                                        ; -- End function
	.set _ZN7rocprim17ROCPRIM_400000_NS6detail17trampoline_kernelINS0_13select_configILj256ELj13ELNS0_17block_load_methodE3ELS4_3ELS4_3ELNS0_20block_scan_algorithmE0ELj4294967295EEENS1_25partition_config_selectorILNS1_17partition_subalgoE4EjNS0_10empty_typeEbEEZZNS1_14partition_implILS8_4ELb0ES6_15HIP_vector_typeIjLj2EENS0_17counting_iteratorIjlEEPS9_SG_NS0_5tupleIJPjSI_NS0_16reverse_iteratorISI_EEEEENSH_IJSG_SG_SG_EEES9_SI_JZNS1_25segmented_radix_sort_implINS0_14default_configELb0EPKfPfPKlPlN2at6native12_GLOBAL__N_18offset_tEEE10hipError_tPvRmT1_PNSt15iterator_traitsIS12_E10value_typeET2_T3_PNS13_IS18_E10value_typeET4_jRbjT5_S1E_jjP12ihipStream_tbEUljE_ZNSN_ISO_Lb0ESQ_SR_ST_SU_SY_EESZ_S10_S11_S12_S16_S17_S18_S1B_S1C_jS1D_jS1E_S1E_jjS1G_bEUljE0_EEESZ_S10_S11_S18_S1C_S1E_T6_T7_T9_mT8_S1G_bDpT10_ENKUlT_T0_E_clISt17integral_constantIbLb1EES1U_EEDaS1P_S1Q_EUlS1P_E_NS1_11comp_targetILNS1_3genE3ELNS1_11target_archE908ELNS1_3gpuE7ELNS1_3repE0EEENS1_30default_config_static_selectorELNS0_4arch9wavefront6targetE0EEEvS12_.num_vgpr, 0
	.set _ZN7rocprim17ROCPRIM_400000_NS6detail17trampoline_kernelINS0_13select_configILj256ELj13ELNS0_17block_load_methodE3ELS4_3ELS4_3ELNS0_20block_scan_algorithmE0ELj4294967295EEENS1_25partition_config_selectorILNS1_17partition_subalgoE4EjNS0_10empty_typeEbEEZZNS1_14partition_implILS8_4ELb0ES6_15HIP_vector_typeIjLj2EENS0_17counting_iteratorIjlEEPS9_SG_NS0_5tupleIJPjSI_NS0_16reverse_iteratorISI_EEEEENSH_IJSG_SG_SG_EEES9_SI_JZNS1_25segmented_radix_sort_implINS0_14default_configELb0EPKfPfPKlPlN2at6native12_GLOBAL__N_18offset_tEEE10hipError_tPvRmT1_PNSt15iterator_traitsIS12_E10value_typeET2_T3_PNS13_IS18_E10value_typeET4_jRbjT5_S1E_jjP12ihipStream_tbEUljE_ZNSN_ISO_Lb0ESQ_SR_ST_SU_SY_EESZ_S10_S11_S12_S16_S17_S18_S1B_S1C_jS1D_jS1E_S1E_jjS1G_bEUljE0_EEESZ_S10_S11_S18_S1C_S1E_T6_T7_T9_mT8_S1G_bDpT10_ENKUlT_T0_E_clISt17integral_constantIbLb1EES1U_EEDaS1P_S1Q_EUlS1P_E_NS1_11comp_targetILNS1_3genE3ELNS1_11target_archE908ELNS1_3gpuE7ELNS1_3repE0EEENS1_30default_config_static_selectorELNS0_4arch9wavefront6targetE0EEEvS12_.num_agpr, 0
	.set _ZN7rocprim17ROCPRIM_400000_NS6detail17trampoline_kernelINS0_13select_configILj256ELj13ELNS0_17block_load_methodE3ELS4_3ELS4_3ELNS0_20block_scan_algorithmE0ELj4294967295EEENS1_25partition_config_selectorILNS1_17partition_subalgoE4EjNS0_10empty_typeEbEEZZNS1_14partition_implILS8_4ELb0ES6_15HIP_vector_typeIjLj2EENS0_17counting_iteratorIjlEEPS9_SG_NS0_5tupleIJPjSI_NS0_16reverse_iteratorISI_EEEEENSH_IJSG_SG_SG_EEES9_SI_JZNS1_25segmented_radix_sort_implINS0_14default_configELb0EPKfPfPKlPlN2at6native12_GLOBAL__N_18offset_tEEE10hipError_tPvRmT1_PNSt15iterator_traitsIS12_E10value_typeET2_T3_PNS13_IS18_E10value_typeET4_jRbjT5_S1E_jjP12ihipStream_tbEUljE_ZNSN_ISO_Lb0ESQ_SR_ST_SU_SY_EESZ_S10_S11_S12_S16_S17_S18_S1B_S1C_jS1D_jS1E_S1E_jjS1G_bEUljE0_EEESZ_S10_S11_S18_S1C_S1E_T6_T7_T9_mT8_S1G_bDpT10_ENKUlT_T0_E_clISt17integral_constantIbLb1EES1U_EEDaS1P_S1Q_EUlS1P_E_NS1_11comp_targetILNS1_3genE3ELNS1_11target_archE908ELNS1_3gpuE7ELNS1_3repE0EEENS1_30default_config_static_selectorELNS0_4arch9wavefront6targetE0EEEvS12_.numbered_sgpr, 0
	.set _ZN7rocprim17ROCPRIM_400000_NS6detail17trampoline_kernelINS0_13select_configILj256ELj13ELNS0_17block_load_methodE3ELS4_3ELS4_3ELNS0_20block_scan_algorithmE0ELj4294967295EEENS1_25partition_config_selectorILNS1_17partition_subalgoE4EjNS0_10empty_typeEbEEZZNS1_14partition_implILS8_4ELb0ES6_15HIP_vector_typeIjLj2EENS0_17counting_iteratorIjlEEPS9_SG_NS0_5tupleIJPjSI_NS0_16reverse_iteratorISI_EEEEENSH_IJSG_SG_SG_EEES9_SI_JZNS1_25segmented_radix_sort_implINS0_14default_configELb0EPKfPfPKlPlN2at6native12_GLOBAL__N_18offset_tEEE10hipError_tPvRmT1_PNSt15iterator_traitsIS12_E10value_typeET2_T3_PNS13_IS18_E10value_typeET4_jRbjT5_S1E_jjP12ihipStream_tbEUljE_ZNSN_ISO_Lb0ESQ_SR_ST_SU_SY_EESZ_S10_S11_S12_S16_S17_S18_S1B_S1C_jS1D_jS1E_S1E_jjS1G_bEUljE0_EEESZ_S10_S11_S18_S1C_S1E_T6_T7_T9_mT8_S1G_bDpT10_ENKUlT_T0_E_clISt17integral_constantIbLb1EES1U_EEDaS1P_S1Q_EUlS1P_E_NS1_11comp_targetILNS1_3genE3ELNS1_11target_archE908ELNS1_3gpuE7ELNS1_3repE0EEENS1_30default_config_static_selectorELNS0_4arch9wavefront6targetE0EEEvS12_.num_named_barrier, 0
	.set _ZN7rocprim17ROCPRIM_400000_NS6detail17trampoline_kernelINS0_13select_configILj256ELj13ELNS0_17block_load_methodE3ELS4_3ELS4_3ELNS0_20block_scan_algorithmE0ELj4294967295EEENS1_25partition_config_selectorILNS1_17partition_subalgoE4EjNS0_10empty_typeEbEEZZNS1_14partition_implILS8_4ELb0ES6_15HIP_vector_typeIjLj2EENS0_17counting_iteratorIjlEEPS9_SG_NS0_5tupleIJPjSI_NS0_16reverse_iteratorISI_EEEEENSH_IJSG_SG_SG_EEES9_SI_JZNS1_25segmented_radix_sort_implINS0_14default_configELb0EPKfPfPKlPlN2at6native12_GLOBAL__N_18offset_tEEE10hipError_tPvRmT1_PNSt15iterator_traitsIS12_E10value_typeET2_T3_PNS13_IS18_E10value_typeET4_jRbjT5_S1E_jjP12ihipStream_tbEUljE_ZNSN_ISO_Lb0ESQ_SR_ST_SU_SY_EESZ_S10_S11_S12_S16_S17_S18_S1B_S1C_jS1D_jS1E_S1E_jjS1G_bEUljE0_EEESZ_S10_S11_S18_S1C_S1E_T6_T7_T9_mT8_S1G_bDpT10_ENKUlT_T0_E_clISt17integral_constantIbLb1EES1U_EEDaS1P_S1Q_EUlS1P_E_NS1_11comp_targetILNS1_3genE3ELNS1_11target_archE908ELNS1_3gpuE7ELNS1_3repE0EEENS1_30default_config_static_selectorELNS0_4arch9wavefront6targetE0EEEvS12_.private_seg_size, 0
	.set _ZN7rocprim17ROCPRIM_400000_NS6detail17trampoline_kernelINS0_13select_configILj256ELj13ELNS0_17block_load_methodE3ELS4_3ELS4_3ELNS0_20block_scan_algorithmE0ELj4294967295EEENS1_25partition_config_selectorILNS1_17partition_subalgoE4EjNS0_10empty_typeEbEEZZNS1_14partition_implILS8_4ELb0ES6_15HIP_vector_typeIjLj2EENS0_17counting_iteratorIjlEEPS9_SG_NS0_5tupleIJPjSI_NS0_16reverse_iteratorISI_EEEEENSH_IJSG_SG_SG_EEES9_SI_JZNS1_25segmented_radix_sort_implINS0_14default_configELb0EPKfPfPKlPlN2at6native12_GLOBAL__N_18offset_tEEE10hipError_tPvRmT1_PNSt15iterator_traitsIS12_E10value_typeET2_T3_PNS13_IS18_E10value_typeET4_jRbjT5_S1E_jjP12ihipStream_tbEUljE_ZNSN_ISO_Lb0ESQ_SR_ST_SU_SY_EESZ_S10_S11_S12_S16_S17_S18_S1B_S1C_jS1D_jS1E_S1E_jjS1G_bEUljE0_EEESZ_S10_S11_S18_S1C_S1E_T6_T7_T9_mT8_S1G_bDpT10_ENKUlT_T0_E_clISt17integral_constantIbLb1EES1U_EEDaS1P_S1Q_EUlS1P_E_NS1_11comp_targetILNS1_3genE3ELNS1_11target_archE908ELNS1_3gpuE7ELNS1_3repE0EEENS1_30default_config_static_selectorELNS0_4arch9wavefront6targetE0EEEvS12_.uses_vcc, 0
	.set _ZN7rocprim17ROCPRIM_400000_NS6detail17trampoline_kernelINS0_13select_configILj256ELj13ELNS0_17block_load_methodE3ELS4_3ELS4_3ELNS0_20block_scan_algorithmE0ELj4294967295EEENS1_25partition_config_selectorILNS1_17partition_subalgoE4EjNS0_10empty_typeEbEEZZNS1_14partition_implILS8_4ELb0ES6_15HIP_vector_typeIjLj2EENS0_17counting_iteratorIjlEEPS9_SG_NS0_5tupleIJPjSI_NS0_16reverse_iteratorISI_EEEEENSH_IJSG_SG_SG_EEES9_SI_JZNS1_25segmented_radix_sort_implINS0_14default_configELb0EPKfPfPKlPlN2at6native12_GLOBAL__N_18offset_tEEE10hipError_tPvRmT1_PNSt15iterator_traitsIS12_E10value_typeET2_T3_PNS13_IS18_E10value_typeET4_jRbjT5_S1E_jjP12ihipStream_tbEUljE_ZNSN_ISO_Lb0ESQ_SR_ST_SU_SY_EESZ_S10_S11_S12_S16_S17_S18_S1B_S1C_jS1D_jS1E_S1E_jjS1G_bEUljE0_EEESZ_S10_S11_S18_S1C_S1E_T6_T7_T9_mT8_S1G_bDpT10_ENKUlT_T0_E_clISt17integral_constantIbLb1EES1U_EEDaS1P_S1Q_EUlS1P_E_NS1_11comp_targetILNS1_3genE3ELNS1_11target_archE908ELNS1_3gpuE7ELNS1_3repE0EEENS1_30default_config_static_selectorELNS0_4arch9wavefront6targetE0EEEvS12_.uses_flat_scratch, 0
	.set _ZN7rocprim17ROCPRIM_400000_NS6detail17trampoline_kernelINS0_13select_configILj256ELj13ELNS0_17block_load_methodE3ELS4_3ELS4_3ELNS0_20block_scan_algorithmE0ELj4294967295EEENS1_25partition_config_selectorILNS1_17partition_subalgoE4EjNS0_10empty_typeEbEEZZNS1_14partition_implILS8_4ELb0ES6_15HIP_vector_typeIjLj2EENS0_17counting_iteratorIjlEEPS9_SG_NS0_5tupleIJPjSI_NS0_16reverse_iteratorISI_EEEEENSH_IJSG_SG_SG_EEES9_SI_JZNS1_25segmented_radix_sort_implINS0_14default_configELb0EPKfPfPKlPlN2at6native12_GLOBAL__N_18offset_tEEE10hipError_tPvRmT1_PNSt15iterator_traitsIS12_E10value_typeET2_T3_PNS13_IS18_E10value_typeET4_jRbjT5_S1E_jjP12ihipStream_tbEUljE_ZNSN_ISO_Lb0ESQ_SR_ST_SU_SY_EESZ_S10_S11_S12_S16_S17_S18_S1B_S1C_jS1D_jS1E_S1E_jjS1G_bEUljE0_EEESZ_S10_S11_S18_S1C_S1E_T6_T7_T9_mT8_S1G_bDpT10_ENKUlT_T0_E_clISt17integral_constantIbLb1EES1U_EEDaS1P_S1Q_EUlS1P_E_NS1_11comp_targetILNS1_3genE3ELNS1_11target_archE908ELNS1_3gpuE7ELNS1_3repE0EEENS1_30default_config_static_selectorELNS0_4arch9wavefront6targetE0EEEvS12_.has_dyn_sized_stack, 0
	.set _ZN7rocprim17ROCPRIM_400000_NS6detail17trampoline_kernelINS0_13select_configILj256ELj13ELNS0_17block_load_methodE3ELS4_3ELS4_3ELNS0_20block_scan_algorithmE0ELj4294967295EEENS1_25partition_config_selectorILNS1_17partition_subalgoE4EjNS0_10empty_typeEbEEZZNS1_14partition_implILS8_4ELb0ES6_15HIP_vector_typeIjLj2EENS0_17counting_iteratorIjlEEPS9_SG_NS0_5tupleIJPjSI_NS0_16reverse_iteratorISI_EEEEENSH_IJSG_SG_SG_EEES9_SI_JZNS1_25segmented_radix_sort_implINS0_14default_configELb0EPKfPfPKlPlN2at6native12_GLOBAL__N_18offset_tEEE10hipError_tPvRmT1_PNSt15iterator_traitsIS12_E10value_typeET2_T3_PNS13_IS18_E10value_typeET4_jRbjT5_S1E_jjP12ihipStream_tbEUljE_ZNSN_ISO_Lb0ESQ_SR_ST_SU_SY_EESZ_S10_S11_S12_S16_S17_S18_S1B_S1C_jS1D_jS1E_S1E_jjS1G_bEUljE0_EEESZ_S10_S11_S18_S1C_S1E_T6_T7_T9_mT8_S1G_bDpT10_ENKUlT_T0_E_clISt17integral_constantIbLb1EES1U_EEDaS1P_S1Q_EUlS1P_E_NS1_11comp_targetILNS1_3genE3ELNS1_11target_archE908ELNS1_3gpuE7ELNS1_3repE0EEENS1_30default_config_static_selectorELNS0_4arch9wavefront6targetE0EEEvS12_.has_recursion, 0
	.set _ZN7rocprim17ROCPRIM_400000_NS6detail17trampoline_kernelINS0_13select_configILj256ELj13ELNS0_17block_load_methodE3ELS4_3ELS4_3ELNS0_20block_scan_algorithmE0ELj4294967295EEENS1_25partition_config_selectorILNS1_17partition_subalgoE4EjNS0_10empty_typeEbEEZZNS1_14partition_implILS8_4ELb0ES6_15HIP_vector_typeIjLj2EENS0_17counting_iteratorIjlEEPS9_SG_NS0_5tupleIJPjSI_NS0_16reverse_iteratorISI_EEEEENSH_IJSG_SG_SG_EEES9_SI_JZNS1_25segmented_radix_sort_implINS0_14default_configELb0EPKfPfPKlPlN2at6native12_GLOBAL__N_18offset_tEEE10hipError_tPvRmT1_PNSt15iterator_traitsIS12_E10value_typeET2_T3_PNS13_IS18_E10value_typeET4_jRbjT5_S1E_jjP12ihipStream_tbEUljE_ZNSN_ISO_Lb0ESQ_SR_ST_SU_SY_EESZ_S10_S11_S12_S16_S17_S18_S1B_S1C_jS1D_jS1E_S1E_jjS1G_bEUljE0_EEESZ_S10_S11_S18_S1C_S1E_T6_T7_T9_mT8_S1G_bDpT10_ENKUlT_T0_E_clISt17integral_constantIbLb1EES1U_EEDaS1P_S1Q_EUlS1P_E_NS1_11comp_targetILNS1_3genE3ELNS1_11target_archE908ELNS1_3gpuE7ELNS1_3repE0EEENS1_30default_config_static_selectorELNS0_4arch9wavefront6targetE0EEEvS12_.has_indirect_call, 0
	.section	.AMDGPU.csdata,"",@progbits
; Kernel info:
; codeLenInByte = 0
; TotalNumSgprs: 0
; NumVgprs: 0
; ScratchSize: 0
; MemoryBound: 0
; FloatMode: 240
; IeeeMode: 1
; LDSByteSize: 0 bytes/workgroup (compile time only)
; SGPRBlocks: 0
; VGPRBlocks: 0
; NumSGPRsForWavesPerEU: 1
; NumVGPRsForWavesPerEU: 1
; NamedBarCnt: 0
; Occupancy: 16
; WaveLimiterHint : 0
; COMPUTE_PGM_RSRC2:SCRATCH_EN: 0
; COMPUTE_PGM_RSRC2:USER_SGPR: 2
; COMPUTE_PGM_RSRC2:TRAP_HANDLER: 0
; COMPUTE_PGM_RSRC2:TGID_X_EN: 1
; COMPUTE_PGM_RSRC2:TGID_Y_EN: 0
; COMPUTE_PGM_RSRC2:TGID_Z_EN: 0
; COMPUTE_PGM_RSRC2:TIDIG_COMP_CNT: 0
	.section	.text._ZN7rocprim17ROCPRIM_400000_NS6detail17trampoline_kernelINS0_13select_configILj256ELj13ELNS0_17block_load_methodE3ELS4_3ELS4_3ELNS0_20block_scan_algorithmE0ELj4294967295EEENS1_25partition_config_selectorILNS1_17partition_subalgoE4EjNS0_10empty_typeEbEEZZNS1_14partition_implILS8_4ELb0ES6_15HIP_vector_typeIjLj2EENS0_17counting_iteratorIjlEEPS9_SG_NS0_5tupleIJPjSI_NS0_16reverse_iteratorISI_EEEEENSH_IJSG_SG_SG_EEES9_SI_JZNS1_25segmented_radix_sort_implINS0_14default_configELb0EPKfPfPKlPlN2at6native12_GLOBAL__N_18offset_tEEE10hipError_tPvRmT1_PNSt15iterator_traitsIS12_E10value_typeET2_T3_PNS13_IS18_E10value_typeET4_jRbjT5_S1E_jjP12ihipStream_tbEUljE_ZNSN_ISO_Lb0ESQ_SR_ST_SU_SY_EESZ_S10_S11_S12_S16_S17_S18_S1B_S1C_jS1D_jS1E_S1E_jjS1G_bEUljE0_EEESZ_S10_S11_S18_S1C_S1E_T6_T7_T9_mT8_S1G_bDpT10_ENKUlT_T0_E_clISt17integral_constantIbLb1EES1U_EEDaS1P_S1Q_EUlS1P_E_NS1_11comp_targetILNS1_3genE2ELNS1_11target_archE906ELNS1_3gpuE6ELNS1_3repE0EEENS1_30default_config_static_selectorELNS0_4arch9wavefront6targetE0EEEvS12_,"axG",@progbits,_ZN7rocprim17ROCPRIM_400000_NS6detail17trampoline_kernelINS0_13select_configILj256ELj13ELNS0_17block_load_methodE3ELS4_3ELS4_3ELNS0_20block_scan_algorithmE0ELj4294967295EEENS1_25partition_config_selectorILNS1_17partition_subalgoE4EjNS0_10empty_typeEbEEZZNS1_14partition_implILS8_4ELb0ES6_15HIP_vector_typeIjLj2EENS0_17counting_iteratorIjlEEPS9_SG_NS0_5tupleIJPjSI_NS0_16reverse_iteratorISI_EEEEENSH_IJSG_SG_SG_EEES9_SI_JZNS1_25segmented_radix_sort_implINS0_14default_configELb0EPKfPfPKlPlN2at6native12_GLOBAL__N_18offset_tEEE10hipError_tPvRmT1_PNSt15iterator_traitsIS12_E10value_typeET2_T3_PNS13_IS18_E10value_typeET4_jRbjT5_S1E_jjP12ihipStream_tbEUljE_ZNSN_ISO_Lb0ESQ_SR_ST_SU_SY_EESZ_S10_S11_S12_S16_S17_S18_S1B_S1C_jS1D_jS1E_S1E_jjS1G_bEUljE0_EEESZ_S10_S11_S18_S1C_S1E_T6_T7_T9_mT8_S1G_bDpT10_ENKUlT_T0_E_clISt17integral_constantIbLb1EES1U_EEDaS1P_S1Q_EUlS1P_E_NS1_11comp_targetILNS1_3genE2ELNS1_11target_archE906ELNS1_3gpuE6ELNS1_3repE0EEENS1_30default_config_static_selectorELNS0_4arch9wavefront6targetE0EEEvS12_,comdat
	.globl	_ZN7rocprim17ROCPRIM_400000_NS6detail17trampoline_kernelINS0_13select_configILj256ELj13ELNS0_17block_load_methodE3ELS4_3ELS4_3ELNS0_20block_scan_algorithmE0ELj4294967295EEENS1_25partition_config_selectorILNS1_17partition_subalgoE4EjNS0_10empty_typeEbEEZZNS1_14partition_implILS8_4ELb0ES6_15HIP_vector_typeIjLj2EENS0_17counting_iteratorIjlEEPS9_SG_NS0_5tupleIJPjSI_NS0_16reverse_iteratorISI_EEEEENSH_IJSG_SG_SG_EEES9_SI_JZNS1_25segmented_radix_sort_implINS0_14default_configELb0EPKfPfPKlPlN2at6native12_GLOBAL__N_18offset_tEEE10hipError_tPvRmT1_PNSt15iterator_traitsIS12_E10value_typeET2_T3_PNS13_IS18_E10value_typeET4_jRbjT5_S1E_jjP12ihipStream_tbEUljE_ZNSN_ISO_Lb0ESQ_SR_ST_SU_SY_EESZ_S10_S11_S12_S16_S17_S18_S1B_S1C_jS1D_jS1E_S1E_jjS1G_bEUljE0_EEESZ_S10_S11_S18_S1C_S1E_T6_T7_T9_mT8_S1G_bDpT10_ENKUlT_T0_E_clISt17integral_constantIbLb1EES1U_EEDaS1P_S1Q_EUlS1P_E_NS1_11comp_targetILNS1_3genE2ELNS1_11target_archE906ELNS1_3gpuE6ELNS1_3repE0EEENS1_30default_config_static_selectorELNS0_4arch9wavefront6targetE0EEEvS12_ ; -- Begin function _ZN7rocprim17ROCPRIM_400000_NS6detail17trampoline_kernelINS0_13select_configILj256ELj13ELNS0_17block_load_methodE3ELS4_3ELS4_3ELNS0_20block_scan_algorithmE0ELj4294967295EEENS1_25partition_config_selectorILNS1_17partition_subalgoE4EjNS0_10empty_typeEbEEZZNS1_14partition_implILS8_4ELb0ES6_15HIP_vector_typeIjLj2EENS0_17counting_iteratorIjlEEPS9_SG_NS0_5tupleIJPjSI_NS0_16reverse_iteratorISI_EEEEENSH_IJSG_SG_SG_EEES9_SI_JZNS1_25segmented_radix_sort_implINS0_14default_configELb0EPKfPfPKlPlN2at6native12_GLOBAL__N_18offset_tEEE10hipError_tPvRmT1_PNSt15iterator_traitsIS12_E10value_typeET2_T3_PNS13_IS18_E10value_typeET4_jRbjT5_S1E_jjP12ihipStream_tbEUljE_ZNSN_ISO_Lb0ESQ_SR_ST_SU_SY_EESZ_S10_S11_S12_S16_S17_S18_S1B_S1C_jS1D_jS1E_S1E_jjS1G_bEUljE0_EEESZ_S10_S11_S18_S1C_S1E_T6_T7_T9_mT8_S1G_bDpT10_ENKUlT_T0_E_clISt17integral_constantIbLb1EES1U_EEDaS1P_S1Q_EUlS1P_E_NS1_11comp_targetILNS1_3genE2ELNS1_11target_archE906ELNS1_3gpuE6ELNS1_3repE0EEENS1_30default_config_static_selectorELNS0_4arch9wavefront6targetE0EEEvS12_
	.p2align	8
	.type	_ZN7rocprim17ROCPRIM_400000_NS6detail17trampoline_kernelINS0_13select_configILj256ELj13ELNS0_17block_load_methodE3ELS4_3ELS4_3ELNS0_20block_scan_algorithmE0ELj4294967295EEENS1_25partition_config_selectorILNS1_17partition_subalgoE4EjNS0_10empty_typeEbEEZZNS1_14partition_implILS8_4ELb0ES6_15HIP_vector_typeIjLj2EENS0_17counting_iteratorIjlEEPS9_SG_NS0_5tupleIJPjSI_NS0_16reverse_iteratorISI_EEEEENSH_IJSG_SG_SG_EEES9_SI_JZNS1_25segmented_radix_sort_implINS0_14default_configELb0EPKfPfPKlPlN2at6native12_GLOBAL__N_18offset_tEEE10hipError_tPvRmT1_PNSt15iterator_traitsIS12_E10value_typeET2_T3_PNS13_IS18_E10value_typeET4_jRbjT5_S1E_jjP12ihipStream_tbEUljE_ZNSN_ISO_Lb0ESQ_SR_ST_SU_SY_EESZ_S10_S11_S12_S16_S17_S18_S1B_S1C_jS1D_jS1E_S1E_jjS1G_bEUljE0_EEESZ_S10_S11_S18_S1C_S1E_T6_T7_T9_mT8_S1G_bDpT10_ENKUlT_T0_E_clISt17integral_constantIbLb1EES1U_EEDaS1P_S1Q_EUlS1P_E_NS1_11comp_targetILNS1_3genE2ELNS1_11target_archE906ELNS1_3gpuE6ELNS1_3repE0EEENS1_30default_config_static_selectorELNS0_4arch9wavefront6targetE0EEEvS12_,@function
_ZN7rocprim17ROCPRIM_400000_NS6detail17trampoline_kernelINS0_13select_configILj256ELj13ELNS0_17block_load_methodE3ELS4_3ELS4_3ELNS0_20block_scan_algorithmE0ELj4294967295EEENS1_25partition_config_selectorILNS1_17partition_subalgoE4EjNS0_10empty_typeEbEEZZNS1_14partition_implILS8_4ELb0ES6_15HIP_vector_typeIjLj2EENS0_17counting_iteratorIjlEEPS9_SG_NS0_5tupleIJPjSI_NS0_16reverse_iteratorISI_EEEEENSH_IJSG_SG_SG_EEES9_SI_JZNS1_25segmented_radix_sort_implINS0_14default_configELb0EPKfPfPKlPlN2at6native12_GLOBAL__N_18offset_tEEE10hipError_tPvRmT1_PNSt15iterator_traitsIS12_E10value_typeET2_T3_PNS13_IS18_E10value_typeET4_jRbjT5_S1E_jjP12ihipStream_tbEUljE_ZNSN_ISO_Lb0ESQ_SR_ST_SU_SY_EESZ_S10_S11_S12_S16_S17_S18_S1B_S1C_jS1D_jS1E_S1E_jjS1G_bEUljE0_EEESZ_S10_S11_S18_S1C_S1E_T6_T7_T9_mT8_S1G_bDpT10_ENKUlT_T0_E_clISt17integral_constantIbLb1EES1U_EEDaS1P_S1Q_EUlS1P_E_NS1_11comp_targetILNS1_3genE2ELNS1_11target_archE906ELNS1_3gpuE6ELNS1_3repE0EEENS1_30default_config_static_selectorELNS0_4arch9wavefront6targetE0EEEvS12_: ; @_ZN7rocprim17ROCPRIM_400000_NS6detail17trampoline_kernelINS0_13select_configILj256ELj13ELNS0_17block_load_methodE3ELS4_3ELS4_3ELNS0_20block_scan_algorithmE0ELj4294967295EEENS1_25partition_config_selectorILNS1_17partition_subalgoE4EjNS0_10empty_typeEbEEZZNS1_14partition_implILS8_4ELb0ES6_15HIP_vector_typeIjLj2EENS0_17counting_iteratorIjlEEPS9_SG_NS0_5tupleIJPjSI_NS0_16reverse_iteratorISI_EEEEENSH_IJSG_SG_SG_EEES9_SI_JZNS1_25segmented_radix_sort_implINS0_14default_configELb0EPKfPfPKlPlN2at6native12_GLOBAL__N_18offset_tEEE10hipError_tPvRmT1_PNSt15iterator_traitsIS12_E10value_typeET2_T3_PNS13_IS18_E10value_typeET4_jRbjT5_S1E_jjP12ihipStream_tbEUljE_ZNSN_ISO_Lb0ESQ_SR_ST_SU_SY_EESZ_S10_S11_S12_S16_S17_S18_S1B_S1C_jS1D_jS1E_S1E_jjS1G_bEUljE0_EEESZ_S10_S11_S18_S1C_S1E_T6_T7_T9_mT8_S1G_bDpT10_ENKUlT_T0_E_clISt17integral_constantIbLb1EES1U_EEDaS1P_S1Q_EUlS1P_E_NS1_11comp_targetILNS1_3genE2ELNS1_11target_archE906ELNS1_3gpuE6ELNS1_3repE0EEENS1_30default_config_static_selectorELNS0_4arch9wavefront6targetE0EEEvS12_
; %bb.0:
	.section	.rodata,"a",@progbits
	.p2align	6, 0x0
	.amdhsa_kernel _ZN7rocprim17ROCPRIM_400000_NS6detail17trampoline_kernelINS0_13select_configILj256ELj13ELNS0_17block_load_methodE3ELS4_3ELS4_3ELNS0_20block_scan_algorithmE0ELj4294967295EEENS1_25partition_config_selectorILNS1_17partition_subalgoE4EjNS0_10empty_typeEbEEZZNS1_14partition_implILS8_4ELb0ES6_15HIP_vector_typeIjLj2EENS0_17counting_iteratorIjlEEPS9_SG_NS0_5tupleIJPjSI_NS0_16reverse_iteratorISI_EEEEENSH_IJSG_SG_SG_EEES9_SI_JZNS1_25segmented_radix_sort_implINS0_14default_configELb0EPKfPfPKlPlN2at6native12_GLOBAL__N_18offset_tEEE10hipError_tPvRmT1_PNSt15iterator_traitsIS12_E10value_typeET2_T3_PNS13_IS18_E10value_typeET4_jRbjT5_S1E_jjP12ihipStream_tbEUljE_ZNSN_ISO_Lb0ESQ_SR_ST_SU_SY_EESZ_S10_S11_S12_S16_S17_S18_S1B_S1C_jS1D_jS1E_S1E_jjS1G_bEUljE0_EEESZ_S10_S11_S18_S1C_S1E_T6_T7_T9_mT8_S1G_bDpT10_ENKUlT_T0_E_clISt17integral_constantIbLb1EES1U_EEDaS1P_S1Q_EUlS1P_E_NS1_11comp_targetILNS1_3genE2ELNS1_11target_archE906ELNS1_3gpuE6ELNS1_3repE0EEENS1_30default_config_static_selectorELNS0_4arch9wavefront6targetE0EEEvS12_
		.amdhsa_group_segment_fixed_size 0
		.amdhsa_private_segment_fixed_size 0
		.amdhsa_kernarg_size 184
		.amdhsa_user_sgpr_count 2
		.amdhsa_user_sgpr_dispatch_ptr 0
		.amdhsa_user_sgpr_queue_ptr 0
		.amdhsa_user_sgpr_kernarg_segment_ptr 1
		.amdhsa_user_sgpr_dispatch_id 0
		.amdhsa_user_sgpr_kernarg_preload_length 0
		.amdhsa_user_sgpr_kernarg_preload_offset 0
		.amdhsa_user_sgpr_private_segment_size 0
		.amdhsa_wavefront_size32 1
		.amdhsa_uses_dynamic_stack 0
		.amdhsa_enable_private_segment 0
		.amdhsa_system_sgpr_workgroup_id_x 1
		.amdhsa_system_sgpr_workgroup_id_y 0
		.amdhsa_system_sgpr_workgroup_id_z 0
		.amdhsa_system_sgpr_workgroup_info 0
		.amdhsa_system_vgpr_workitem_id 0
		.amdhsa_next_free_vgpr 1
		.amdhsa_next_free_sgpr 1
		.amdhsa_named_barrier_count 0
		.amdhsa_reserve_vcc 0
		.amdhsa_float_round_mode_32 0
		.amdhsa_float_round_mode_16_64 0
		.amdhsa_float_denorm_mode_32 3
		.amdhsa_float_denorm_mode_16_64 3
		.amdhsa_fp16_overflow 0
		.amdhsa_memory_ordered 1
		.amdhsa_forward_progress 1
		.amdhsa_inst_pref_size 0
		.amdhsa_round_robin_scheduling 0
		.amdhsa_exception_fp_ieee_invalid_op 0
		.amdhsa_exception_fp_denorm_src 0
		.amdhsa_exception_fp_ieee_div_zero 0
		.amdhsa_exception_fp_ieee_overflow 0
		.amdhsa_exception_fp_ieee_underflow 0
		.amdhsa_exception_fp_ieee_inexact 0
		.amdhsa_exception_int_div_zero 0
	.end_amdhsa_kernel
	.section	.text._ZN7rocprim17ROCPRIM_400000_NS6detail17trampoline_kernelINS0_13select_configILj256ELj13ELNS0_17block_load_methodE3ELS4_3ELS4_3ELNS0_20block_scan_algorithmE0ELj4294967295EEENS1_25partition_config_selectorILNS1_17partition_subalgoE4EjNS0_10empty_typeEbEEZZNS1_14partition_implILS8_4ELb0ES6_15HIP_vector_typeIjLj2EENS0_17counting_iteratorIjlEEPS9_SG_NS0_5tupleIJPjSI_NS0_16reverse_iteratorISI_EEEEENSH_IJSG_SG_SG_EEES9_SI_JZNS1_25segmented_radix_sort_implINS0_14default_configELb0EPKfPfPKlPlN2at6native12_GLOBAL__N_18offset_tEEE10hipError_tPvRmT1_PNSt15iterator_traitsIS12_E10value_typeET2_T3_PNS13_IS18_E10value_typeET4_jRbjT5_S1E_jjP12ihipStream_tbEUljE_ZNSN_ISO_Lb0ESQ_SR_ST_SU_SY_EESZ_S10_S11_S12_S16_S17_S18_S1B_S1C_jS1D_jS1E_S1E_jjS1G_bEUljE0_EEESZ_S10_S11_S18_S1C_S1E_T6_T7_T9_mT8_S1G_bDpT10_ENKUlT_T0_E_clISt17integral_constantIbLb1EES1U_EEDaS1P_S1Q_EUlS1P_E_NS1_11comp_targetILNS1_3genE2ELNS1_11target_archE906ELNS1_3gpuE6ELNS1_3repE0EEENS1_30default_config_static_selectorELNS0_4arch9wavefront6targetE0EEEvS12_,"axG",@progbits,_ZN7rocprim17ROCPRIM_400000_NS6detail17trampoline_kernelINS0_13select_configILj256ELj13ELNS0_17block_load_methodE3ELS4_3ELS4_3ELNS0_20block_scan_algorithmE0ELj4294967295EEENS1_25partition_config_selectorILNS1_17partition_subalgoE4EjNS0_10empty_typeEbEEZZNS1_14partition_implILS8_4ELb0ES6_15HIP_vector_typeIjLj2EENS0_17counting_iteratorIjlEEPS9_SG_NS0_5tupleIJPjSI_NS0_16reverse_iteratorISI_EEEEENSH_IJSG_SG_SG_EEES9_SI_JZNS1_25segmented_radix_sort_implINS0_14default_configELb0EPKfPfPKlPlN2at6native12_GLOBAL__N_18offset_tEEE10hipError_tPvRmT1_PNSt15iterator_traitsIS12_E10value_typeET2_T3_PNS13_IS18_E10value_typeET4_jRbjT5_S1E_jjP12ihipStream_tbEUljE_ZNSN_ISO_Lb0ESQ_SR_ST_SU_SY_EESZ_S10_S11_S12_S16_S17_S18_S1B_S1C_jS1D_jS1E_S1E_jjS1G_bEUljE0_EEESZ_S10_S11_S18_S1C_S1E_T6_T7_T9_mT8_S1G_bDpT10_ENKUlT_T0_E_clISt17integral_constantIbLb1EES1U_EEDaS1P_S1Q_EUlS1P_E_NS1_11comp_targetILNS1_3genE2ELNS1_11target_archE906ELNS1_3gpuE6ELNS1_3repE0EEENS1_30default_config_static_selectorELNS0_4arch9wavefront6targetE0EEEvS12_,comdat
.Lfunc_end1369:
	.size	_ZN7rocprim17ROCPRIM_400000_NS6detail17trampoline_kernelINS0_13select_configILj256ELj13ELNS0_17block_load_methodE3ELS4_3ELS4_3ELNS0_20block_scan_algorithmE0ELj4294967295EEENS1_25partition_config_selectorILNS1_17partition_subalgoE4EjNS0_10empty_typeEbEEZZNS1_14partition_implILS8_4ELb0ES6_15HIP_vector_typeIjLj2EENS0_17counting_iteratorIjlEEPS9_SG_NS0_5tupleIJPjSI_NS0_16reverse_iteratorISI_EEEEENSH_IJSG_SG_SG_EEES9_SI_JZNS1_25segmented_radix_sort_implINS0_14default_configELb0EPKfPfPKlPlN2at6native12_GLOBAL__N_18offset_tEEE10hipError_tPvRmT1_PNSt15iterator_traitsIS12_E10value_typeET2_T3_PNS13_IS18_E10value_typeET4_jRbjT5_S1E_jjP12ihipStream_tbEUljE_ZNSN_ISO_Lb0ESQ_SR_ST_SU_SY_EESZ_S10_S11_S12_S16_S17_S18_S1B_S1C_jS1D_jS1E_S1E_jjS1G_bEUljE0_EEESZ_S10_S11_S18_S1C_S1E_T6_T7_T9_mT8_S1G_bDpT10_ENKUlT_T0_E_clISt17integral_constantIbLb1EES1U_EEDaS1P_S1Q_EUlS1P_E_NS1_11comp_targetILNS1_3genE2ELNS1_11target_archE906ELNS1_3gpuE6ELNS1_3repE0EEENS1_30default_config_static_selectorELNS0_4arch9wavefront6targetE0EEEvS12_, .Lfunc_end1369-_ZN7rocprim17ROCPRIM_400000_NS6detail17trampoline_kernelINS0_13select_configILj256ELj13ELNS0_17block_load_methodE3ELS4_3ELS4_3ELNS0_20block_scan_algorithmE0ELj4294967295EEENS1_25partition_config_selectorILNS1_17partition_subalgoE4EjNS0_10empty_typeEbEEZZNS1_14partition_implILS8_4ELb0ES6_15HIP_vector_typeIjLj2EENS0_17counting_iteratorIjlEEPS9_SG_NS0_5tupleIJPjSI_NS0_16reverse_iteratorISI_EEEEENSH_IJSG_SG_SG_EEES9_SI_JZNS1_25segmented_radix_sort_implINS0_14default_configELb0EPKfPfPKlPlN2at6native12_GLOBAL__N_18offset_tEEE10hipError_tPvRmT1_PNSt15iterator_traitsIS12_E10value_typeET2_T3_PNS13_IS18_E10value_typeET4_jRbjT5_S1E_jjP12ihipStream_tbEUljE_ZNSN_ISO_Lb0ESQ_SR_ST_SU_SY_EESZ_S10_S11_S12_S16_S17_S18_S1B_S1C_jS1D_jS1E_S1E_jjS1G_bEUljE0_EEESZ_S10_S11_S18_S1C_S1E_T6_T7_T9_mT8_S1G_bDpT10_ENKUlT_T0_E_clISt17integral_constantIbLb1EES1U_EEDaS1P_S1Q_EUlS1P_E_NS1_11comp_targetILNS1_3genE2ELNS1_11target_archE906ELNS1_3gpuE6ELNS1_3repE0EEENS1_30default_config_static_selectorELNS0_4arch9wavefront6targetE0EEEvS12_
                                        ; -- End function
	.set _ZN7rocprim17ROCPRIM_400000_NS6detail17trampoline_kernelINS0_13select_configILj256ELj13ELNS0_17block_load_methodE3ELS4_3ELS4_3ELNS0_20block_scan_algorithmE0ELj4294967295EEENS1_25partition_config_selectorILNS1_17partition_subalgoE4EjNS0_10empty_typeEbEEZZNS1_14partition_implILS8_4ELb0ES6_15HIP_vector_typeIjLj2EENS0_17counting_iteratorIjlEEPS9_SG_NS0_5tupleIJPjSI_NS0_16reverse_iteratorISI_EEEEENSH_IJSG_SG_SG_EEES9_SI_JZNS1_25segmented_radix_sort_implINS0_14default_configELb0EPKfPfPKlPlN2at6native12_GLOBAL__N_18offset_tEEE10hipError_tPvRmT1_PNSt15iterator_traitsIS12_E10value_typeET2_T3_PNS13_IS18_E10value_typeET4_jRbjT5_S1E_jjP12ihipStream_tbEUljE_ZNSN_ISO_Lb0ESQ_SR_ST_SU_SY_EESZ_S10_S11_S12_S16_S17_S18_S1B_S1C_jS1D_jS1E_S1E_jjS1G_bEUljE0_EEESZ_S10_S11_S18_S1C_S1E_T6_T7_T9_mT8_S1G_bDpT10_ENKUlT_T0_E_clISt17integral_constantIbLb1EES1U_EEDaS1P_S1Q_EUlS1P_E_NS1_11comp_targetILNS1_3genE2ELNS1_11target_archE906ELNS1_3gpuE6ELNS1_3repE0EEENS1_30default_config_static_selectorELNS0_4arch9wavefront6targetE0EEEvS12_.num_vgpr, 0
	.set _ZN7rocprim17ROCPRIM_400000_NS6detail17trampoline_kernelINS0_13select_configILj256ELj13ELNS0_17block_load_methodE3ELS4_3ELS4_3ELNS0_20block_scan_algorithmE0ELj4294967295EEENS1_25partition_config_selectorILNS1_17partition_subalgoE4EjNS0_10empty_typeEbEEZZNS1_14partition_implILS8_4ELb0ES6_15HIP_vector_typeIjLj2EENS0_17counting_iteratorIjlEEPS9_SG_NS0_5tupleIJPjSI_NS0_16reverse_iteratorISI_EEEEENSH_IJSG_SG_SG_EEES9_SI_JZNS1_25segmented_radix_sort_implINS0_14default_configELb0EPKfPfPKlPlN2at6native12_GLOBAL__N_18offset_tEEE10hipError_tPvRmT1_PNSt15iterator_traitsIS12_E10value_typeET2_T3_PNS13_IS18_E10value_typeET4_jRbjT5_S1E_jjP12ihipStream_tbEUljE_ZNSN_ISO_Lb0ESQ_SR_ST_SU_SY_EESZ_S10_S11_S12_S16_S17_S18_S1B_S1C_jS1D_jS1E_S1E_jjS1G_bEUljE0_EEESZ_S10_S11_S18_S1C_S1E_T6_T7_T9_mT8_S1G_bDpT10_ENKUlT_T0_E_clISt17integral_constantIbLb1EES1U_EEDaS1P_S1Q_EUlS1P_E_NS1_11comp_targetILNS1_3genE2ELNS1_11target_archE906ELNS1_3gpuE6ELNS1_3repE0EEENS1_30default_config_static_selectorELNS0_4arch9wavefront6targetE0EEEvS12_.num_agpr, 0
	.set _ZN7rocprim17ROCPRIM_400000_NS6detail17trampoline_kernelINS0_13select_configILj256ELj13ELNS0_17block_load_methodE3ELS4_3ELS4_3ELNS0_20block_scan_algorithmE0ELj4294967295EEENS1_25partition_config_selectorILNS1_17partition_subalgoE4EjNS0_10empty_typeEbEEZZNS1_14partition_implILS8_4ELb0ES6_15HIP_vector_typeIjLj2EENS0_17counting_iteratorIjlEEPS9_SG_NS0_5tupleIJPjSI_NS0_16reverse_iteratorISI_EEEEENSH_IJSG_SG_SG_EEES9_SI_JZNS1_25segmented_radix_sort_implINS0_14default_configELb0EPKfPfPKlPlN2at6native12_GLOBAL__N_18offset_tEEE10hipError_tPvRmT1_PNSt15iterator_traitsIS12_E10value_typeET2_T3_PNS13_IS18_E10value_typeET4_jRbjT5_S1E_jjP12ihipStream_tbEUljE_ZNSN_ISO_Lb0ESQ_SR_ST_SU_SY_EESZ_S10_S11_S12_S16_S17_S18_S1B_S1C_jS1D_jS1E_S1E_jjS1G_bEUljE0_EEESZ_S10_S11_S18_S1C_S1E_T6_T7_T9_mT8_S1G_bDpT10_ENKUlT_T0_E_clISt17integral_constantIbLb1EES1U_EEDaS1P_S1Q_EUlS1P_E_NS1_11comp_targetILNS1_3genE2ELNS1_11target_archE906ELNS1_3gpuE6ELNS1_3repE0EEENS1_30default_config_static_selectorELNS0_4arch9wavefront6targetE0EEEvS12_.numbered_sgpr, 0
	.set _ZN7rocprim17ROCPRIM_400000_NS6detail17trampoline_kernelINS0_13select_configILj256ELj13ELNS0_17block_load_methodE3ELS4_3ELS4_3ELNS0_20block_scan_algorithmE0ELj4294967295EEENS1_25partition_config_selectorILNS1_17partition_subalgoE4EjNS0_10empty_typeEbEEZZNS1_14partition_implILS8_4ELb0ES6_15HIP_vector_typeIjLj2EENS0_17counting_iteratorIjlEEPS9_SG_NS0_5tupleIJPjSI_NS0_16reverse_iteratorISI_EEEEENSH_IJSG_SG_SG_EEES9_SI_JZNS1_25segmented_radix_sort_implINS0_14default_configELb0EPKfPfPKlPlN2at6native12_GLOBAL__N_18offset_tEEE10hipError_tPvRmT1_PNSt15iterator_traitsIS12_E10value_typeET2_T3_PNS13_IS18_E10value_typeET4_jRbjT5_S1E_jjP12ihipStream_tbEUljE_ZNSN_ISO_Lb0ESQ_SR_ST_SU_SY_EESZ_S10_S11_S12_S16_S17_S18_S1B_S1C_jS1D_jS1E_S1E_jjS1G_bEUljE0_EEESZ_S10_S11_S18_S1C_S1E_T6_T7_T9_mT8_S1G_bDpT10_ENKUlT_T0_E_clISt17integral_constantIbLb1EES1U_EEDaS1P_S1Q_EUlS1P_E_NS1_11comp_targetILNS1_3genE2ELNS1_11target_archE906ELNS1_3gpuE6ELNS1_3repE0EEENS1_30default_config_static_selectorELNS0_4arch9wavefront6targetE0EEEvS12_.num_named_barrier, 0
	.set _ZN7rocprim17ROCPRIM_400000_NS6detail17trampoline_kernelINS0_13select_configILj256ELj13ELNS0_17block_load_methodE3ELS4_3ELS4_3ELNS0_20block_scan_algorithmE0ELj4294967295EEENS1_25partition_config_selectorILNS1_17partition_subalgoE4EjNS0_10empty_typeEbEEZZNS1_14partition_implILS8_4ELb0ES6_15HIP_vector_typeIjLj2EENS0_17counting_iteratorIjlEEPS9_SG_NS0_5tupleIJPjSI_NS0_16reverse_iteratorISI_EEEEENSH_IJSG_SG_SG_EEES9_SI_JZNS1_25segmented_radix_sort_implINS0_14default_configELb0EPKfPfPKlPlN2at6native12_GLOBAL__N_18offset_tEEE10hipError_tPvRmT1_PNSt15iterator_traitsIS12_E10value_typeET2_T3_PNS13_IS18_E10value_typeET4_jRbjT5_S1E_jjP12ihipStream_tbEUljE_ZNSN_ISO_Lb0ESQ_SR_ST_SU_SY_EESZ_S10_S11_S12_S16_S17_S18_S1B_S1C_jS1D_jS1E_S1E_jjS1G_bEUljE0_EEESZ_S10_S11_S18_S1C_S1E_T6_T7_T9_mT8_S1G_bDpT10_ENKUlT_T0_E_clISt17integral_constantIbLb1EES1U_EEDaS1P_S1Q_EUlS1P_E_NS1_11comp_targetILNS1_3genE2ELNS1_11target_archE906ELNS1_3gpuE6ELNS1_3repE0EEENS1_30default_config_static_selectorELNS0_4arch9wavefront6targetE0EEEvS12_.private_seg_size, 0
	.set _ZN7rocprim17ROCPRIM_400000_NS6detail17trampoline_kernelINS0_13select_configILj256ELj13ELNS0_17block_load_methodE3ELS4_3ELS4_3ELNS0_20block_scan_algorithmE0ELj4294967295EEENS1_25partition_config_selectorILNS1_17partition_subalgoE4EjNS0_10empty_typeEbEEZZNS1_14partition_implILS8_4ELb0ES6_15HIP_vector_typeIjLj2EENS0_17counting_iteratorIjlEEPS9_SG_NS0_5tupleIJPjSI_NS0_16reverse_iteratorISI_EEEEENSH_IJSG_SG_SG_EEES9_SI_JZNS1_25segmented_radix_sort_implINS0_14default_configELb0EPKfPfPKlPlN2at6native12_GLOBAL__N_18offset_tEEE10hipError_tPvRmT1_PNSt15iterator_traitsIS12_E10value_typeET2_T3_PNS13_IS18_E10value_typeET4_jRbjT5_S1E_jjP12ihipStream_tbEUljE_ZNSN_ISO_Lb0ESQ_SR_ST_SU_SY_EESZ_S10_S11_S12_S16_S17_S18_S1B_S1C_jS1D_jS1E_S1E_jjS1G_bEUljE0_EEESZ_S10_S11_S18_S1C_S1E_T6_T7_T9_mT8_S1G_bDpT10_ENKUlT_T0_E_clISt17integral_constantIbLb1EES1U_EEDaS1P_S1Q_EUlS1P_E_NS1_11comp_targetILNS1_3genE2ELNS1_11target_archE906ELNS1_3gpuE6ELNS1_3repE0EEENS1_30default_config_static_selectorELNS0_4arch9wavefront6targetE0EEEvS12_.uses_vcc, 0
	.set _ZN7rocprim17ROCPRIM_400000_NS6detail17trampoline_kernelINS0_13select_configILj256ELj13ELNS0_17block_load_methodE3ELS4_3ELS4_3ELNS0_20block_scan_algorithmE0ELj4294967295EEENS1_25partition_config_selectorILNS1_17partition_subalgoE4EjNS0_10empty_typeEbEEZZNS1_14partition_implILS8_4ELb0ES6_15HIP_vector_typeIjLj2EENS0_17counting_iteratorIjlEEPS9_SG_NS0_5tupleIJPjSI_NS0_16reverse_iteratorISI_EEEEENSH_IJSG_SG_SG_EEES9_SI_JZNS1_25segmented_radix_sort_implINS0_14default_configELb0EPKfPfPKlPlN2at6native12_GLOBAL__N_18offset_tEEE10hipError_tPvRmT1_PNSt15iterator_traitsIS12_E10value_typeET2_T3_PNS13_IS18_E10value_typeET4_jRbjT5_S1E_jjP12ihipStream_tbEUljE_ZNSN_ISO_Lb0ESQ_SR_ST_SU_SY_EESZ_S10_S11_S12_S16_S17_S18_S1B_S1C_jS1D_jS1E_S1E_jjS1G_bEUljE0_EEESZ_S10_S11_S18_S1C_S1E_T6_T7_T9_mT8_S1G_bDpT10_ENKUlT_T0_E_clISt17integral_constantIbLb1EES1U_EEDaS1P_S1Q_EUlS1P_E_NS1_11comp_targetILNS1_3genE2ELNS1_11target_archE906ELNS1_3gpuE6ELNS1_3repE0EEENS1_30default_config_static_selectorELNS0_4arch9wavefront6targetE0EEEvS12_.uses_flat_scratch, 0
	.set _ZN7rocprim17ROCPRIM_400000_NS6detail17trampoline_kernelINS0_13select_configILj256ELj13ELNS0_17block_load_methodE3ELS4_3ELS4_3ELNS0_20block_scan_algorithmE0ELj4294967295EEENS1_25partition_config_selectorILNS1_17partition_subalgoE4EjNS0_10empty_typeEbEEZZNS1_14partition_implILS8_4ELb0ES6_15HIP_vector_typeIjLj2EENS0_17counting_iteratorIjlEEPS9_SG_NS0_5tupleIJPjSI_NS0_16reverse_iteratorISI_EEEEENSH_IJSG_SG_SG_EEES9_SI_JZNS1_25segmented_radix_sort_implINS0_14default_configELb0EPKfPfPKlPlN2at6native12_GLOBAL__N_18offset_tEEE10hipError_tPvRmT1_PNSt15iterator_traitsIS12_E10value_typeET2_T3_PNS13_IS18_E10value_typeET4_jRbjT5_S1E_jjP12ihipStream_tbEUljE_ZNSN_ISO_Lb0ESQ_SR_ST_SU_SY_EESZ_S10_S11_S12_S16_S17_S18_S1B_S1C_jS1D_jS1E_S1E_jjS1G_bEUljE0_EEESZ_S10_S11_S18_S1C_S1E_T6_T7_T9_mT8_S1G_bDpT10_ENKUlT_T0_E_clISt17integral_constantIbLb1EES1U_EEDaS1P_S1Q_EUlS1P_E_NS1_11comp_targetILNS1_3genE2ELNS1_11target_archE906ELNS1_3gpuE6ELNS1_3repE0EEENS1_30default_config_static_selectorELNS0_4arch9wavefront6targetE0EEEvS12_.has_dyn_sized_stack, 0
	.set _ZN7rocprim17ROCPRIM_400000_NS6detail17trampoline_kernelINS0_13select_configILj256ELj13ELNS0_17block_load_methodE3ELS4_3ELS4_3ELNS0_20block_scan_algorithmE0ELj4294967295EEENS1_25partition_config_selectorILNS1_17partition_subalgoE4EjNS0_10empty_typeEbEEZZNS1_14partition_implILS8_4ELb0ES6_15HIP_vector_typeIjLj2EENS0_17counting_iteratorIjlEEPS9_SG_NS0_5tupleIJPjSI_NS0_16reverse_iteratorISI_EEEEENSH_IJSG_SG_SG_EEES9_SI_JZNS1_25segmented_radix_sort_implINS0_14default_configELb0EPKfPfPKlPlN2at6native12_GLOBAL__N_18offset_tEEE10hipError_tPvRmT1_PNSt15iterator_traitsIS12_E10value_typeET2_T3_PNS13_IS18_E10value_typeET4_jRbjT5_S1E_jjP12ihipStream_tbEUljE_ZNSN_ISO_Lb0ESQ_SR_ST_SU_SY_EESZ_S10_S11_S12_S16_S17_S18_S1B_S1C_jS1D_jS1E_S1E_jjS1G_bEUljE0_EEESZ_S10_S11_S18_S1C_S1E_T6_T7_T9_mT8_S1G_bDpT10_ENKUlT_T0_E_clISt17integral_constantIbLb1EES1U_EEDaS1P_S1Q_EUlS1P_E_NS1_11comp_targetILNS1_3genE2ELNS1_11target_archE906ELNS1_3gpuE6ELNS1_3repE0EEENS1_30default_config_static_selectorELNS0_4arch9wavefront6targetE0EEEvS12_.has_recursion, 0
	.set _ZN7rocprim17ROCPRIM_400000_NS6detail17trampoline_kernelINS0_13select_configILj256ELj13ELNS0_17block_load_methodE3ELS4_3ELS4_3ELNS0_20block_scan_algorithmE0ELj4294967295EEENS1_25partition_config_selectorILNS1_17partition_subalgoE4EjNS0_10empty_typeEbEEZZNS1_14partition_implILS8_4ELb0ES6_15HIP_vector_typeIjLj2EENS0_17counting_iteratorIjlEEPS9_SG_NS0_5tupleIJPjSI_NS0_16reverse_iteratorISI_EEEEENSH_IJSG_SG_SG_EEES9_SI_JZNS1_25segmented_radix_sort_implINS0_14default_configELb0EPKfPfPKlPlN2at6native12_GLOBAL__N_18offset_tEEE10hipError_tPvRmT1_PNSt15iterator_traitsIS12_E10value_typeET2_T3_PNS13_IS18_E10value_typeET4_jRbjT5_S1E_jjP12ihipStream_tbEUljE_ZNSN_ISO_Lb0ESQ_SR_ST_SU_SY_EESZ_S10_S11_S12_S16_S17_S18_S1B_S1C_jS1D_jS1E_S1E_jjS1G_bEUljE0_EEESZ_S10_S11_S18_S1C_S1E_T6_T7_T9_mT8_S1G_bDpT10_ENKUlT_T0_E_clISt17integral_constantIbLb1EES1U_EEDaS1P_S1Q_EUlS1P_E_NS1_11comp_targetILNS1_3genE2ELNS1_11target_archE906ELNS1_3gpuE6ELNS1_3repE0EEENS1_30default_config_static_selectorELNS0_4arch9wavefront6targetE0EEEvS12_.has_indirect_call, 0
	.section	.AMDGPU.csdata,"",@progbits
; Kernel info:
; codeLenInByte = 0
; TotalNumSgprs: 0
; NumVgprs: 0
; ScratchSize: 0
; MemoryBound: 0
; FloatMode: 240
; IeeeMode: 1
; LDSByteSize: 0 bytes/workgroup (compile time only)
; SGPRBlocks: 0
; VGPRBlocks: 0
; NumSGPRsForWavesPerEU: 1
; NumVGPRsForWavesPerEU: 1
; NamedBarCnt: 0
; Occupancy: 16
; WaveLimiterHint : 0
; COMPUTE_PGM_RSRC2:SCRATCH_EN: 0
; COMPUTE_PGM_RSRC2:USER_SGPR: 2
; COMPUTE_PGM_RSRC2:TRAP_HANDLER: 0
; COMPUTE_PGM_RSRC2:TGID_X_EN: 1
; COMPUTE_PGM_RSRC2:TGID_Y_EN: 0
; COMPUTE_PGM_RSRC2:TGID_Z_EN: 0
; COMPUTE_PGM_RSRC2:TIDIG_COMP_CNT: 0
	.section	.text._ZN7rocprim17ROCPRIM_400000_NS6detail17trampoline_kernelINS0_13select_configILj256ELj13ELNS0_17block_load_methodE3ELS4_3ELS4_3ELNS0_20block_scan_algorithmE0ELj4294967295EEENS1_25partition_config_selectorILNS1_17partition_subalgoE4EjNS0_10empty_typeEbEEZZNS1_14partition_implILS8_4ELb0ES6_15HIP_vector_typeIjLj2EENS0_17counting_iteratorIjlEEPS9_SG_NS0_5tupleIJPjSI_NS0_16reverse_iteratorISI_EEEEENSH_IJSG_SG_SG_EEES9_SI_JZNS1_25segmented_radix_sort_implINS0_14default_configELb0EPKfPfPKlPlN2at6native12_GLOBAL__N_18offset_tEEE10hipError_tPvRmT1_PNSt15iterator_traitsIS12_E10value_typeET2_T3_PNS13_IS18_E10value_typeET4_jRbjT5_S1E_jjP12ihipStream_tbEUljE_ZNSN_ISO_Lb0ESQ_SR_ST_SU_SY_EESZ_S10_S11_S12_S16_S17_S18_S1B_S1C_jS1D_jS1E_S1E_jjS1G_bEUljE0_EEESZ_S10_S11_S18_S1C_S1E_T6_T7_T9_mT8_S1G_bDpT10_ENKUlT_T0_E_clISt17integral_constantIbLb1EES1U_EEDaS1P_S1Q_EUlS1P_E_NS1_11comp_targetILNS1_3genE10ELNS1_11target_archE1200ELNS1_3gpuE4ELNS1_3repE0EEENS1_30default_config_static_selectorELNS0_4arch9wavefront6targetE0EEEvS12_,"axG",@progbits,_ZN7rocprim17ROCPRIM_400000_NS6detail17trampoline_kernelINS0_13select_configILj256ELj13ELNS0_17block_load_methodE3ELS4_3ELS4_3ELNS0_20block_scan_algorithmE0ELj4294967295EEENS1_25partition_config_selectorILNS1_17partition_subalgoE4EjNS0_10empty_typeEbEEZZNS1_14partition_implILS8_4ELb0ES6_15HIP_vector_typeIjLj2EENS0_17counting_iteratorIjlEEPS9_SG_NS0_5tupleIJPjSI_NS0_16reverse_iteratorISI_EEEEENSH_IJSG_SG_SG_EEES9_SI_JZNS1_25segmented_radix_sort_implINS0_14default_configELb0EPKfPfPKlPlN2at6native12_GLOBAL__N_18offset_tEEE10hipError_tPvRmT1_PNSt15iterator_traitsIS12_E10value_typeET2_T3_PNS13_IS18_E10value_typeET4_jRbjT5_S1E_jjP12ihipStream_tbEUljE_ZNSN_ISO_Lb0ESQ_SR_ST_SU_SY_EESZ_S10_S11_S12_S16_S17_S18_S1B_S1C_jS1D_jS1E_S1E_jjS1G_bEUljE0_EEESZ_S10_S11_S18_S1C_S1E_T6_T7_T9_mT8_S1G_bDpT10_ENKUlT_T0_E_clISt17integral_constantIbLb1EES1U_EEDaS1P_S1Q_EUlS1P_E_NS1_11comp_targetILNS1_3genE10ELNS1_11target_archE1200ELNS1_3gpuE4ELNS1_3repE0EEENS1_30default_config_static_selectorELNS0_4arch9wavefront6targetE0EEEvS12_,comdat
	.globl	_ZN7rocprim17ROCPRIM_400000_NS6detail17trampoline_kernelINS0_13select_configILj256ELj13ELNS0_17block_load_methodE3ELS4_3ELS4_3ELNS0_20block_scan_algorithmE0ELj4294967295EEENS1_25partition_config_selectorILNS1_17partition_subalgoE4EjNS0_10empty_typeEbEEZZNS1_14partition_implILS8_4ELb0ES6_15HIP_vector_typeIjLj2EENS0_17counting_iteratorIjlEEPS9_SG_NS0_5tupleIJPjSI_NS0_16reverse_iteratorISI_EEEEENSH_IJSG_SG_SG_EEES9_SI_JZNS1_25segmented_radix_sort_implINS0_14default_configELb0EPKfPfPKlPlN2at6native12_GLOBAL__N_18offset_tEEE10hipError_tPvRmT1_PNSt15iterator_traitsIS12_E10value_typeET2_T3_PNS13_IS18_E10value_typeET4_jRbjT5_S1E_jjP12ihipStream_tbEUljE_ZNSN_ISO_Lb0ESQ_SR_ST_SU_SY_EESZ_S10_S11_S12_S16_S17_S18_S1B_S1C_jS1D_jS1E_S1E_jjS1G_bEUljE0_EEESZ_S10_S11_S18_S1C_S1E_T6_T7_T9_mT8_S1G_bDpT10_ENKUlT_T0_E_clISt17integral_constantIbLb1EES1U_EEDaS1P_S1Q_EUlS1P_E_NS1_11comp_targetILNS1_3genE10ELNS1_11target_archE1200ELNS1_3gpuE4ELNS1_3repE0EEENS1_30default_config_static_selectorELNS0_4arch9wavefront6targetE0EEEvS12_ ; -- Begin function _ZN7rocprim17ROCPRIM_400000_NS6detail17trampoline_kernelINS0_13select_configILj256ELj13ELNS0_17block_load_methodE3ELS4_3ELS4_3ELNS0_20block_scan_algorithmE0ELj4294967295EEENS1_25partition_config_selectorILNS1_17partition_subalgoE4EjNS0_10empty_typeEbEEZZNS1_14partition_implILS8_4ELb0ES6_15HIP_vector_typeIjLj2EENS0_17counting_iteratorIjlEEPS9_SG_NS0_5tupleIJPjSI_NS0_16reverse_iteratorISI_EEEEENSH_IJSG_SG_SG_EEES9_SI_JZNS1_25segmented_radix_sort_implINS0_14default_configELb0EPKfPfPKlPlN2at6native12_GLOBAL__N_18offset_tEEE10hipError_tPvRmT1_PNSt15iterator_traitsIS12_E10value_typeET2_T3_PNS13_IS18_E10value_typeET4_jRbjT5_S1E_jjP12ihipStream_tbEUljE_ZNSN_ISO_Lb0ESQ_SR_ST_SU_SY_EESZ_S10_S11_S12_S16_S17_S18_S1B_S1C_jS1D_jS1E_S1E_jjS1G_bEUljE0_EEESZ_S10_S11_S18_S1C_S1E_T6_T7_T9_mT8_S1G_bDpT10_ENKUlT_T0_E_clISt17integral_constantIbLb1EES1U_EEDaS1P_S1Q_EUlS1P_E_NS1_11comp_targetILNS1_3genE10ELNS1_11target_archE1200ELNS1_3gpuE4ELNS1_3repE0EEENS1_30default_config_static_selectorELNS0_4arch9wavefront6targetE0EEEvS12_
	.p2align	8
	.type	_ZN7rocprim17ROCPRIM_400000_NS6detail17trampoline_kernelINS0_13select_configILj256ELj13ELNS0_17block_load_methodE3ELS4_3ELS4_3ELNS0_20block_scan_algorithmE0ELj4294967295EEENS1_25partition_config_selectorILNS1_17partition_subalgoE4EjNS0_10empty_typeEbEEZZNS1_14partition_implILS8_4ELb0ES6_15HIP_vector_typeIjLj2EENS0_17counting_iteratorIjlEEPS9_SG_NS0_5tupleIJPjSI_NS0_16reverse_iteratorISI_EEEEENSH_IJSG_SG_SG_EEES9_SI_JZNS1_25segmented_radix_sort_implINS0_14default_configELb0EPKfPfPKlPlN2at6native12_GLOBAL__N_18offset_tEEE10hipError_tPvRmT1_PNSt15iterator_traitsIS12_E10value_typeET2_T3_PNS13_IS18_E10value_typeET4_jRbjT5_S1E_jjP12ihipStream_tbEUljE_ZNSN_ISO_Lb0ESQ_SR_ST_SU_SY_EESZ_S10_S11_S12_S16_S17_S18_S1B_S1C_jS1D_jS1E_S1E_jjS1G_bEUljE0_EEESZ_S10_S11_S18_S1C_S1E_T6_T7_T9_mT8_S1G_bDpT10_ENKUlT_T0_E_clISt17integral_constantIbLb1EES1U_EEDaS1P_S1Q_EUlS1P_E_NS1_11comp_targetILNS1_3genE10ELNS1_11target_archE1200ELNS1_3gpuE4ELNS1_3repE0EEENS1_30default_config_static_selectorELNS0_4arch9wavefront6targetE0EEEvS12_,@function
_ZN7rocprim17ROCPRIM_400000_NS6detail17trampoline_kernelINS0_13select_configILj256ELj13ELNS0_17block_load_methodE3ELS4_3ELS4_3ELNS0_20block_scan_algorithmE0ELj4294967295EEENS1_25partition_config_selectorILNS1_17partition_subalgoE4EjNS0_10empty_typeEbEEZZNS1_14partition_implILS8_4ELb0ES6_15HIP_vector_typeIjLj2EENS0_17counting_iteratorIjlEEPS9_SG_NS0_5tupleIJPjSI_NS0_16reverse_iteratorISI_EEEEENSH_IJSG_SG_SG_EEES9_SI_JZNS1_25segmented_radix_sort_implINS0_14default_configELb0EPKfPfPKlPlN2at6native12_GLOBAL__N_18offset_tEEE10hipError_tPvRmT1_PNSt15iterator_traitsIS12_E10value_typeET2_T3_PNS13_IS18_E10value_typeET4_jRbjT5_S1E_jjP12ihipStream_tbEUljE_ZNSN_ISO_Lb0ESQ_SR_ST_SU_SY_EESZ_S10_S11_S12_S16_S17_S18_S1B_S1C_jS1D_jS1E_S1E_jjS1G_bEUljE0_EEESZ_S10_S11_S18_S1C_S1E_T6_T7_T9_mT8_S1G_bDpT10_ENKUlT_T0_E_clISt17integral_constantIbLb1EES1U_EEDaS1P_S1Q_EUlS1P_E_NS1_11comp_targetILNS1_3genE10ELNS1_11target_archE1200ELNS1_3gpuE4ELNS1_3repE0EEENS1_30default_config_static_selectorELNS0_4arch9wavefront6targetE0EEEvS12_: ; @_ZN7rocprim17ROCPRIM_400000_NS6detail17trampoline_kernelINS0_13select_configILj256ELj13ELNS0_17block_load_methodE3ELS4_3ELS4_3ELNS0_20block_scan_algorithmE0ELj4294967295EEENS1_25partition_config_selectorILNS1_17partition_subalgoE4EjNS0_10empty_typeEbEEZZNS1_14partition_implILS8_4ELb0ES6_15HIP_vector_typeIjLj2EENS0_17counting_iteratorIjlEEPS9_SG_NS0_5tupleIJPjSI_NS0_16reverse_iteratorISI_EEEEENSH_IJSG_SG_SG_EEES9_SI_JZNS1_25segmented_radix_sort_implINS0_14default_configELb0EPKfPfPKlPlN2at6native12_GLOBAL__N_18offset_tEEE10hipError_tPvRmT1_PNSt15iterator_traitsIS12_E10value_typeET2_T3_PNS13_IS18_E10value_typeET4_jRbjT5_S1E_jjP12ihipStream_tbEUljE_ZNSN_ISO_Lb0ESQ_SR_ST_SU_SY_EESZ_S10_S11_S12_S16_S17_S18_S1B_S1C_jS1D_jS1E_S1E_jjS1G_bEUljE0_EEESZ_S10_S11_S18_S1C_S1E_T6_T7_T9_mT8_S1G_bDpT10_ENKUlT_T0_E_clISt17integral_constantIbLb1EES1U_EEDaS1P_S1Q_EUlS1P_E_NS1_11comp_targetILNS1_3genE10ELNS1_11target_archE1200ELNS1_3gpuE4ELNS1_3repE0EEENS1_30default_config_static_selectorELNS0_4arch9wavefront6targetE0EEEvS12_
; %bb.0:
	.section	.rodata,"a",@progbits
	.p2align	6, 0x0
	.amdhsa_kernel _ZN7rocprim17ROCPRIM_400000_NS6detail17trampoline_kernelINS0_13select_configILj256ELj13ELNS0_17block_load_methodE3ELS4_3ELS4_3ELNS0_20block_scan_algorithmE0ELj4294967295EEENS1_25partition_config_selectorILNS1_17partition_subalgoE4EjNS0_10empty_typeEbEEZZNS1_14partition_implILS8_4ELb0ES6_15HIP_vector_typeIjLj2EENS0_17counting_iteratorIjlEEPS9_SG_NS0_5tupleIJPjSI_NS0_16reverse_iteratorISI_EEEEENSH_IJSG_SG_SG_EEES9_SI_JZNS1_25segmented_radix_sort_implINS0_14default_configELb0EPKfPfPKlPlN2at6native12_GLOBAL__N_18offset_tEEE10hipError_tPvRmT1_PNSt15iterator_traitsIS12_E10value_typeET2_T3_PNS13_IS18_E10value_typeET4_jRbjT5_S1E_jjP12ihipStream_tbEUljE_ZNSN_ISO_Lb0ESQ_SR_ST_SU_SY_EESZ_S10_S11_S12_S16_S17_S18_S1B_S1C_jS1D_jS1E_S1E_jjS1G_bEUljE0_EEESZ_S10_S11_S18_S1C_S1E_T6_T7_T9_mT8_S1G_bDpT10_ENKUlT_T0_E_clISt17integral_constantIbLb1EES1U_EEDaS1P_S1Q_EUlS1P_E_NS1_11comp_targetILNS1_3genE10ELNS1_11target_archE1200ELNS1_3gpuE4ELNS1_3repE0EEENS1_30default_config_static_selectorELNS0_4arch9wavefront6targetE0EEEvS12_
		.amdhsa_group_segment_fixed_size 0
		.amdhsa_private_segment_fixed_size 0
		.amdhsa_kernarg_size 184
		.amdhsa_user_sgpr_count 2
		.amdhsa_user_sgpr_dispatch_ptr 0
		.amdhsa_user_sgpr_queue_ptr 0
		.amdhsa_user_sgpr_kernarg_segment_ptr 1
		.amdhsa_user_sgpr_dispatch_id 0
		.amdhsa_user_sgpr_kernarg_preload_length 0
		.amdhsa_user_sgpr_kernarg_preload_offset 0
		.amdhsa_user_sgpr_private_segment_size 0
		.amdhsa_wavefront_size32 1
		.amdhsa_uses_dynamic_stack 0
		.amdhsa_enable_private_segment 0
		.amdhsa_system_sgpr_workgroup_id_x 1
		.amdhsa_system_sgpr_workgroup_id_y 0
		.amdhsa_system_sgpr_workgroup_id_z 0
		.amdhsa_system_sgpr_workgroup_info 0
		.amdhsa_system_vgpr_workitem_id 0
		.amdhsa_next_free_vgpr 1
		.amdhsa_next_free_sgpr 1
		.amdhsa_named_barrier_count 0
		.amdhsa_reserve_vcc 0
		.amdhsa_float_round_mode_32 0
		.amdhsa_float_round_mode_16_64 0
		.amdhsa_float_denorm_mode_32 3
		.amdhsa_float_denorm_mode_16_64 3
		.amdhsa_fp16_overflow 0
		.amdhsa_memory_ordered 1
		.amdhsa_forward_progress 1
		.amdhsa_inst_pref_size 0
		.amdhsa_round_robin_scheduling 0
		.amdhsa_exception_fp_ieee_invalid_op 0
		.amdhsa_exception_fp_denorm_src 0
		.amdhsa_exception_fp_ieee_div_zero 0
		.amdhsa_exception_fp_ieee_overflow 0
		.amdhsa_exception_fp_ieee_underflow 0
		.amdhsa_exception_fp_ieee_inexact 0
		.amdhsa_exception_int_div_zero 0
	.end_amdhsa_kernel
	.section	.text._ZN7rocprim17ROCPRIM_400000_NS6detail17trampoline_kernelINS0_13select_configILj256ELj13ELNS0_17block_load_methodE3ELS4_3ELS4_3ELNS0_20block_scan_algorithmE0ELj4294967295EEENS1_25partition_config_selectorILNS1_17partition_subalgoE4EjNS0_10empty_typeEbEEZZNS1_14partition_implILS8_4ELb0ES6_15HIP_vector_typeIjLj2EENS0_17counting_iteratorIjlEEPS9_SG_NS0_5tupleIJPjSI_NS0_16reverse_iteratorISI_EEEEENSH_IJSG_SG_SG_EEES9_SI_JZNS1_25segmented_radix_sort_implINS0_14default_configELb0EPKfPfPKlPlN2at6native12_GLOBAL__N_18offset_tEEE10hipError_tPvRmT1_PNSt15iterator_traitsIS12_E10value_typeET2_T3_PNS13_IS18_E10value_typeET4_jRbjT5_S1E_jjP12ihipStream_tbEUljE_ZNSN_ISO_Lb0ESQ_SR_ST_SU_SY_EESZ_S10_S11_S12_S16_S17_S18_S1B_S1C_jS1D_jS1E_S1E_jjS1G_bEUljE0_EEESZ_S10_S11_S18_S1C_S1E_T6_T7_T9_mT8_S1G_bDpT10_ENKUlT_T0_E_clISt17integral_constantIbLb1EES1U_EEDaS1P_S1Q_EUlS1P_E_NS1_11comp_targetILNS1_3genE10ELNS1_11target_archE1200ELNS1_3gpuE4ELNS1_3repE0EEENS1_30default_config_static_selectorELNS0_4arch9wavefront6targetE0EEEvS12_,"axG",@progbits,_ZN7rocprim17ROCPRIM_400000_NS6detail17trampoline_kernelINS0_13select_configILj256ELj13ELNS0_17block_load_methodE3ELS4_3ELS4_3ELNS0_20block_scan_algorithmE0ELj4294967295EEENS1_25partition_config_selectorILNS1_17partition_subalgoE4EjNS0_10empty_typeEbEEZZNS1_14partition_implILS8_4ELb0ES6_15HIP_vector_typeIjLj2EENS0_17counting_iteratorIjlEEPS9_SG_NS0_5tupleIJPjSI_NS0_16reverse_iteratorISI_EEEEENSH_IJSG_SG_SG_EEES9_SI_JZNS1_25segmented_radix_sort_implINS0_14default_configELb0EPKfPfPKlPlN2at6native12_GLOBAL__N_18offset_tEEE10hipError_tPvRmT1_PNSt15iterator_traitsIS12_E10value_typeET2_T3_PNS13_IS18_E10value_typeET4_jRbjT5_S1E_jjP12ihipStream_tbEUljE_ZNSN_ISO_Lb0ESQ_SR_ST_SU_SY_EESZ_S10_S11_S12_S16_S17_S18_S1B_S1C_jS1D_jS1E_S1E_jjS1G_bEUljE0_EEESZ_S10_S11_S18_S1C_S1E_T6_T7_T9_mT8_S1G_bDpT10_ENKUlT_T0_E_clISt17integral_constantIbLb1EES1U_EEDaS1P_S1Q_EUlS1P_E_NS1_11comp_targetILNS1_3genE10ELNS1_11target_archE1200ELNS1_3gpuE4ELNS1_3repE0EEENS1_30default_config_static_selectorELNS0_4arch9wavefront6targetE0EEEvS12_,comdat
.Lfunc_end1370:
	.size	_ZN7rocprim17ROCPRIM_400000_NS6detail17trampoline_kernelINS0_13select_configILj256ELj13ELNS0_17block_load_methodE3ELS4_3ELS4_3ELNS0_20block_scan_algorithmE0ELj4294967295EEENS1_25partition_config_selectorILNS1_17partition_subalgoE4EjNS0_10empty_typeEbEEZZNS1_14partition_implILS8_4ELb0ES6_15HIP_vector_typeIjLj2EENS0_17counting_iteratorIjlEEPS9_SG_NS0_5tupleIJPjSI_NS0_16reverse_iteratorISI_EEEEENSH_IJSG_SG_SG_EEES9_SI_JZNS1_25segmented_radix_sort_implINS0_14default_configELb0EPKfPfPKlPlN2at6native12_GLOBAL__N_18offset_tEEE10hipError_tPvRmT1_PNSt15iterator_traitsIS12_E10value_typeET2_T3_PNS13_IS18_E10value_typeET4_jRbjT5_S1E_jjP12ihipStream_tbEUljE_ZNSN_ISO_Lb0ESQ_SR_ST_SU_SY_EESZ_S10_S11_S12_S16_S17_S18_S1B_S1C_jS1D_jS1E_S1E_jjS1G_bEUljE0_EEESZ_S10_S11_S18_S1C_S1E_T6_T7_T9_mT8_S1G_bDpT10_ENKUlT_T0_E_clISt17integral_constantIbLb1EES1U_EEDaS1P_S1Q_EUlS1P_E_NS1_11comp_targetILNS1_3genE10ELNS1_11target_archE1200ELNS1_3gpuE4ELNS1_3repE0EEENS1_30default_config_static_selectorELNS0_4arch9wavefront6targetE0EEEvS12_, .Lfunc_end1370-_ZN7rocprim17ROCPRIM_400000_NS6detail17trampoline_kernelINS0_13select_configILj256ELj13ELNS0_17block_load_methodE3ELS4_3ELS4_3ELNS0_20block_scan_algorithmE0ELj4294967295EEENS1_25partition_config_selectorILNS1_17partition_subalgoE4EjNS0_10empty_typeEbEEZZNS1_14partition_implILS8_4ELb0ES6_15HIP_vector_typeIjLj2EENS0_17counting_iteratorIjlEEPS9_SG_NS0_5tupleIJPjSI_NS0_16reverse_iteratorISI_EEEEENSH_IJSG_SG_SG_EEES9_SI_JZNS1_25segmented_radix_sort_implINS0_14default_configELb0EPKfPfPKlPlN2at6native12_GLOBAL__N_18offset_tEEE10hipError_tPvRmT1_PNSt15iterator_traitsIS12_E10value_typeET2_T3_PNS13_IS18_E10value_typeET4_jRbjT5_S1E_jjP12ihipStream_tbEUljE_ZNSN_ISO_Lb0ESQ_SR_ST_SU_SY_EESZ_S10_S11_S12_S16_S17_S18_S1B_S1C_jS1D_jS1E_S1E_jjS1G_bEUljE0_EEESZ_S10_S11_S18_S1C_S1E_T6_T7_T9_mT8_S1G_bDpT10_ENKUlT_T0_E_clISt17integral_constantIbLb1EES1U_EEDaS1P_S1Q_EUlS1P_E_NS1_11comp_targetILNS1_3genE10ELNS1_11target_archE1200ELNS1_3gpuE4ELNS1_3repE0EEENS1_30default_config_static_selectorELNS0_4arch9wavefront6targetE0EEEvS12_
                                        ; -- End function
	.set _ZN7rocprim17ROCPRIM_400000_NS6detail17trampoline_kernelINS0_13select_configILj256ELj13ELNS0_17block_load_methodE3ELS4_3ELS4_3ELNS0_20block_scan_algorithmE0ELj4294967295EEENS1_25partition_config_selectorILNS1_17partition_subalgoE4EjNS0_10empty_typeEbEEZZNS1_14partition_implILS8_4ELb0ES6_15HIP_vector_typeIjLj2EENS0_17counting_iteratorIjlEEPS9_SG_NS0_5tupleIJPjSI_NS0_16reverse_iteratorISI_EEEEENSH_IJSG_SG_SG_EEES9_SI_JZNS1_25segmented_radix_sort_implINS0_14default_configELb0EPKfPfPKlPlN2at6native12_GLOBAL__N_18offset_tEEE10hipError_tPvRmT1_PNSt15iterator_traitsIS12_E10value_typeET2_T3_PNS13_IS18_E10value_typeET4_jRbjT5_S1E_jjP12ihipStream_tbEUljE_ZNSN_ISO_Lb0ESQ_SR_ST_SU_SY_EESZ_S10_S11_S12_S16_S17_S18_S1B_S1C_jS1D_jS1E_S1E_jjS1G_bEUljE0_EEESZ_S10_S11_S18_S1C_S1E_T6_T7_T9_mT8_S1G_bDpT10_ENKUlT_T0_E_clISt17integral_constantIbLb1EES1U_EEDaS1P_S1Q_EUlS1P_E_NS1_11comp_targetILNS1_3genE10ELNS1_11target_archE1200ELNS1_3gpuE4ELNS1_3repE0EEENS1_30default_config_static_selectorELNS0_4arch9wavefront6targetE0EEEvS12_.num_vgpr, 0
	.set _ZN7rocprim17ROCPRIM_400000_NS6detail17trampoline_kernelINS0_13select_configILj256ELj13ELNS0_17block_load_methodE3ELS4_3ELS4_3ELNS0_20block_scan_algorithmE0ELj4294967295EEENS1_25partition_config_selectorILNS1_17partition_subalgoE4EjNS0_10empty_typeEbEEZZNS1_14partition_implILS8_4ELb0ES6_15HIP_vector_typeIjLj2EENS0_17counting_iteratorIjlEEPS9_SG_NS0_5tupleIJPjSI_NS0_16reverse_iteratorISI_EEEEENSH_IJSG_SG_SG_EEES9_SI_JZNS1_25segmented_radix_sort_implINS0_14default_configELb0EPKfPfPKlPlN2at6native12_GLOBAL__N_18offset_tEEE10hipError_tPvRmT1_PNSt15iterator_traitsIS12_E10value_typeET2_T3_PNS13_IS18_E10value_typeET4_jRbjT5_S1E_jjP12ihipStream_tbEUljE_ZNSN_ISO_Lb0ESQ_SR_ST_SU_SY_EESZ_S10_S11_S12_S16_S17_S18_S1B_S1C_jS1D_jS1E_S1E_jjS1G_bEUljE0_EEESZ_S10_S11_S18_S1C_S1E_T6_T7_T9_mT8_S1G_bDpT10_ENKUlT_T0_E_clISt17integral_constantIbLb1EES1U_EEDaS1P_S1Q_EUlS1P_E_NS1_11comp_targetILNS1_3genE10ELNS1_11target_archE1200ELNS1_3gpuE4ELNS1_3repE0EEENS1_30default_config_static_selectorELNS0_4arch9wavefront6targetE0EEEvS12_.num_agpr, 0
	.set _ZN7rocprim17ROCPRIM_400000_NS6detail17trampoline_kernelINS0_13select_configILj256ELj13ELNS0_17block_load_methodE3ELS4_3ELS4_3ELNS0_20block_scan_algorithmE0ELj4294967295EEENS1_25partition_config_selectorILNS1_17partition_subalgoE4EjNS0_10empty_typeEbEEZZNS1_14partition_implILS8_4ELb0ES6_15HIP_vector_typeIjLj2EENS0_17counting_iteratorIjlEEPS9_SG_NS0_5tupleIJPjSI_NS0_16reverse_iteratorISI_EEEEENSH_IJSG_SG_SG_EEES9_SI_JZNS1_25segmented_radix_sort_implINS0_14default_configELb0EPKfPfPKlPlN2at6native12_GLOBAL__N_18offset_tEEE10hipError_tPvRmT1_PNSt15iterator_traitsIS12_E10value_typeET2_T3_PNS13_IS18_E10value_typeET4_jRbjT5_S1E_jjP12ihipStream_tbEUljE_ZNSN_ISO_Lb0ESQ_SR_ST_SU_SY_EESZ_S10_S11_S12_S16_S17_S18_S1B_S1C_jS1D_jS1E_S1E_jjS1G_bEUljE0_EEESZ_S10_S11_S18_S1C_S1E_T6_T7_T9_mT8_S1G_bDpT10_ENKUlT_T0_E_clISt17integral_constantIbLb1EES1U_EEDaS1P_S1Q_EUlS1P_E_NS1_11comp_targetILNS1_3genE10ELNS1_11target_archE1200ELNS1_3gpuE4ELNS1_3repE0EEENS1_30default_config_static_selectorELNS0_4arch9wavefront6targetE0EEEvS12_.numbered_sgpr, 0
	.set _ZN7rocprim17ROCPRIM_400000_NS6detail17trampoline_kernelINS0_13select_configILj256ELj13ELNS0_17block_load_methodE3ELS4_3ELS4_3ELNS0_20block_scan_algorithmE0ELj4294967295EEENS1_25partition_config_selectorILNS1_17partition_subalgoE4EjNS0_10empty_typeEbEEZZNS1_14partition_implILS8_4ELb0ES6_15HIP_vector_typeIjLj2EENS0_17counting_iteratorIjlEEPS9_SG_NS0_5tupleIJPjSI_NS0_16reverse_iteratorISI_EEEEENSH_IJSG_SG_SG_EEES9_SI_JZNS1_25segmented_radix_sort_implINS0_14default_configELb0EPKfPfPKlPlN2at6native12_GLOBAL__N_18offset_tEEE10hipError_tPvRmT1_PNSt15iterator_traitsIS12_E10value_typeET2_T3_PNS13_IS18_E10value_typeET4_jRbjT5_S1E_jjP12ihipStream_tbEUljE_ZNSN_ISO_Lb0ESQ_SR_ST_SU_SY_EESZ_S10_S11_S12_S16_S17_S18_S1B_S1C_jS1D_jS1E_S1E_jjS1G_bEUljE0_EEESZ_S10_S11_S18_S1C_S1E_T6_T7_T9_mT8_S1G_bDpT10_ENKUlT_T0_E_clISt17integral_constantIbLb1EES1U_EEDaS1P_S1Q_EUlS1P_E_NS1_11comp_targetILNS1_3genE10ELNS1_11target_archE1200ELNS1_3gpuE4ELNS1_3repE0EEENS1_30default_config_static_selectorELNS0_4arch9wavefront6targetE0EEEvS12_.num_named_barrier, 0
	.set _ZN7rocprim17ROCPRIM_400000_NS6detail17trampoline_kernelINS0_13select_configILj256ELj13ELNS0_17block_load_methodE3ELS4_3ELS4_3ELNS0_20block_scan_algorithmE0ELj4294967295EEENS1_25partition_config_selectorILNS1_17partition_subalgoE4EjNS0_10empty_typeEbEEZZNS1_14partition_implILS8_4ELb0ES6_15HIP_vector_typeIjLj2EENS0_17counting_iteratorIjlEEPS9_SG_NS0_5tupleIJPjSI_NS0_16reverse_iteratorISI_EEEEENSH_IJSG_SG_SG_EEES9_SI_JZNS1_25segmented_radix_sort_implINS0_14default_configELb0EPKfPfPKlPlN2at6native12_GLOBAL__N_18offset_tEEE10hipError_tPvRmT1_PNSt15iterator_traitsIS12_E10value_typeET2_T3_PNS13_IS18_E10value_typeET4_jRbjT5_S1E_jjP12ihipStream_tbEUljE_ZNSN_ISO_Lb0ESQ_SR_ST_SU_SY_EESZ_S10_S11_S12_S16_S17_S18_S1B_S1C_jS1D_jS1E_S1E_jjS1G_bEUljE0_EEESZ_S10_S11_S18_S1C_S1E_T6_T7_T9_mT8_S1G_bDpT10_ENKUlT_T0_E_clISt17integral_constantIbLb1EES1U_EEDaS1P_S1Q_EUlS1P_E_NS1_11comp_targetILNS1_3genE10ELNS1_11target_archE1200ELNS1_3gpuE4ELNS1_3repE0EEENS1_30default_config_static_selectorELNS0_4arch9wavefront6targetE0EEEvS12_.private_seg_size, 0
	.set _ZN7rocprim17ROCPRIM_400000_NS6detail17trampoline_kernelINS0_13select_configILj256ELj13ELNS0_17block_load_methodE3ELS4_3ELS4_3ELNS0_20block_scan_algorithmE0ELj4294967295EEENS1_25partition_config_selectorILNS1_17partition_subalgoE4EjNS0_10empty_typeEbEEZZNS1_14partition_implILS8_4ELb0ES6_15HIP_vector_typeIjLj2EENS0_17counting_iteratorIjlEEPS9_SG_NS0_5tupleIJPjSI_NS0_16reverse_iteratorISI_EEEEENSH_IJSG_SG_SG_EEES9_SI_JZNS1_25segmented_radix_sort_implINS0_14default_configELb0EPKfPfPKlPlN2at6native12_GLOBAL__N_18offset_tEEE10hipError_tPvRmT1_PNSt15iterator_traitsIS12_E10value_typeET2_T3_PNS13_IS18_E10value_typeET4_jRbjT5_S1E_jjP12ihipStream_tbEUljE_ZNSN_ISO_Lb0ESQ_SR_ST_SU_SY_EESZ_S10_S11_S12_S16_S17_S18_S1B_S1C_jS1D_jS1E_S1E_jjS1G_bEUljE0_EEESZ_S10_S11_S18_S1C_S1E_T6_T7_T9_mT8_S1G_bDpT10_ENKUlT_T0_E_clISt17integral_constantIbLb1EES1U_EEDaS1P_S1Q_EUlS1P_E_NS1_11comp_targetILNS1_3genE10ELNS1_11target_archE1200ELNS1_3gpuE4ELNS1_3repE0EEENS1_30default_config_static_selectorELNS0_4arch9wavefront6targetE0EEEvS12_.uses_vcc, 0
	.set _ZN7rocprim17ROCPRIM_400000_NS6detail17trampoline_kernelINS0_13select_configILj256ELj13ELNS0_17block_load_methodE3ELS4_3ELS4_3ELNS0_20block_scan_algorithmE0ELj4294967295EEENS1_25partition_config_selectorILNS1_17partition_subalgoE4EjNS0_10empty_typeEbEEZZNS1_14partition_implILS8_4ELb0ES6_15HIP_vector_typeIjLj2EENS0_17counting_iteratorIjlEEPS9_SG_NS0_5tupleIJPjSI_NS0_16reverse_iteratorISI_EEEEENSH_IJSG_SG_SG_EEES9_SI_JZNS1_25segmented_radix_sort_implINS0_14default_configELb0EPKfPfPKlPlN2at6native12_GLOBAL__N_18offset_tEEE10hipError_tPvRmT1_PNSt15iterator_traitsIS12_E10value_typeET2_T3_PNS13_IS18_E10value_typeET4_jRbjT5_S1E_jjP12ihipStream_tbEUljE_ZNSN_ISO_Lb0ESQ_SR_ST_SU_SY_EESZ_S10_S11_S12_S16_S17_S18_S1B_S1C_jS1D_jS1E_S1E_jjS1G_bEUljE0_EEESZ_S10_S11_S18_S1C_S1E_T6_T7_T9_mT8_S1G_bDpT10_ENKUlT_T0_E_clISt17integral_constantIbLb1EES1U_EEDaS1P_S1Q_EUlS1P_E_NS1_11comp_targetILNS1_3genE10ELNS1_11target_archE1200ELNS1_3gpuE4ELNS1_3repE0EEENS1_30default_config_static_selectorELNS0_4arch9wavefront6targetE0EEEvS12_.uses_flat_scratch, 0
	.set _ZN7rocprim17ROCPRIM_400000_NS6detail17trampoline_kernelINS0_13select_configILj256ELj13ELNS0_17block_load_methodE3ELS4_3ELS4_3ELNS0_20block_scan_algorithmE0ELj4294967295EEENS1_25partition_config_selectorILNS1_17partition_subalgoE4EjNS0_10empty_typeEbEEZZNS1_14partition_implILS8_4ELb0ES6_15HIP_vector_typeIjLj2EENS0_17counting_iteratorIjlEEPS9_SG_NS0_5tupleIJPjSI_NS0_16reverse_iteratorISI_EEEEENSH_IJSG_SG_SG_EEES9_SI_JZNS1_25segmented_radix_sort_implINS0_14default_configELb0EPKfPfPKlPlN2at6native12_GLOBAL__N_18offset_tEEE10hipError_tPvRmT1_PNSt15iterator_traitsIS12_E10value_typeET2_T3_PNS13_IS18_E10value_typeET4_jRbjT5_S1E_jjP12ihipStream_tbEUljE_ZNSN_ISO_Lb0ESQ_SR_ST_SU_SY_EESZ_S10_S11_S12_S16_S17_S18_S1B_S1C_jS1D_jS1E_S1E_jjS1G_bEUljE0_EEESZ_S10_S11_S18_S1C_S1E_T6_T7_T9_mT8_S1G_bDpT10_ENKUlT_T0_E_clISt17integral_constantIbLb1EES1U_EEDaS1P_S1Q_EUlS1P_E_NS1_11comp_targetILNS1_3genE10ELNS1_11target_archE1200ELNS1_3gpuE4ELNS1_3repE0EEENS1_30default_config_static_selectorELNS0_4arch9wavefront6targetE0EEEvS12_.has_dyn_sized_stack, 0
	.set _ZN7rocprim17ROCPRIM_400000_NS6detail17trampoline_kernelINS0_13select_configILj256ELj13ELNS0_17block_load_methodE3ELS4_3ELS4_3ELNS0_20block_scan_algorithmE0ELj4294967295EEENS1_25partition_config_selectorILNS1_17partition_subalgoE4EjNS0_10empty_typeEbEEZZNS1_14partition_implILS8_4ELb0ES6_15HIP_vector_typeIjLj2EENS0_17counting_iteratorIjlEEPS9_SG_NS0_5tupleIJPjSI_NS0_16reverse_iteratorISI_EEEEENSH_IJSG_SG_SG_EEES9_SI_JZNS1_25segmented_radix_sort_implINS0_14default_configELb0EPKfPfPKlPlN2at6native12_GLOBAL__N_18offset_tEEE10hipError_tPvRmT1_PNSt15iterator_traitsIS12_E10value_typeET2_T3_PNS13_IS18_E10value_typeET4_jRbjT5_S1E_jjP12ihipStream_tbEUljE_ZNSN_ISO_Lb0ESQ_SR_ST_SU_SY_EESZ_S10_S11_S12_S16_S17_S18_S1B_S1C_jS1D_jS1E_S1E_jjS1G_bEUljE0_EEESZ_S10_S11_S18_S1C_S1E_T6_T7_T9_mT8_S1G_bDpT10_ENKUlT_T0_E_clISt17integral_constantIbLb1EES1U_EEDaS1P_S1Q_EUlS1P_E_NS1_11comp_targetILNS1_3genE10ELNS1_11target_archE1200ELNS1_3gpuE4ELNS1_3repE0EEENS1_30default_config_static_selectorELNS0_4arch9wavefront6targetE0EEEvS12_.has_recursion, 0
	.set _ZN7rocprim17ROCPRIM_400000_NS6detail17trampoline_kernelINS0_13select_configILj256ELj13ELNS0_17block_load_methodE3ELS4_3ELS4_3ELNS0_20block_scan_algorithmE0ELj4294967295EEENS1_25partition_config_selectorILNS1_17partition_subalgoE4EjNS0_10empty_typeEbEEZZNS1_14partition_implILS8_4ELb0ES6_15HIP_vector_typeIjLj2EENS0_17counting_iteratorIjlEEPS9_SG_NS0_5tupleIJPjSI_NS0_16reverse_iteratorISI_EEEEENSH_IJSG_SG_SG_EEES9_SI_JZNS1_25segmented_radix_sort_implINS0_14default_configELb0EPKfPfPKlPlN2at6native12_GLOBAL__N_18offset_tEEE10hipError_tPvRmT1_PNSt15iterator_traitsIS12_E10value_typeET2_T3_PNS13_IS18_E10value_typeET4_jRbjT5_S1E_jjP12ihipStream_tbEUljE_ZNSN_ISO_Lb0ESQ_SR_ST_SU_SY_EESZ_S10_S11_S12_S16_S17_S18_S1B_S1C_jS1D_jS1E_S1E_jjS1G_bEUljE0_EEESZ_S10_S11_S18_S1C_S1E_T6_T7_T9_mT8_S1G_bDpT10_ENKUlT_T0_E_clISt17integral_constantIbLb1EES1U_EEDaS1P_S1Q_EUlS1P_E_NS1_11comp_targetILNS1_3genE10ELNS1_11target_archE1200ELNS1_3gpuE4ELNS1_3repE0EEENS1_30default_config_static_selectorELNS0_4arch9wavefront6targetE0EEEvS12_.has_indirect_call, 0
	.section	.AMDGPU.csdata,"",@progbits
; Kernel info:
; codeLenInByte = 0
; TotalNumSgprs: 0
; NumVgprs: 0
; ScratchSize: 0
; MemoryBound: 0
; FloatMode: 240
; IeeeMode: 1
; LDSByteSize: 0 bytes/workgroup (compile time only)
; SGPRBlocks: 0
; VGPRBlocks: 0
; NumSGPRsForWavesPerEU: 1
; NumVGPRsForWavesPerEU: 1
; NamedBarCnt: 0
; Occupancy: 16
; WaveLimiterHint : 0
; COMPUTE_PGM_RSRC2:SCRATCH_EN: 0
; COMPUTE_PGM_RSRC2:USER_SGPR: 2
; COMPUTE_PGM_RSRC2:TRAP_HANDLER: 0
; COMPUTE_PGM_RSRC2:TGID_X_EN: 1
; COMPUTE_PGM_RSRC2:TGID_Y_EN: 0
; COMPUTE_PGM_RSRC2:TGID_Z_EN: 0
; COMPUTE_PGM_RSRC2:TIDIG_COMP_CNT: 0
	.section	.text._ZN7rocprim17ROCPRIM_400000_NS6detail17trampoline_kernelINS0_13select_configILj256ELj13ELNS0_17block_load_methodE3ELS4_3ELS4_3ELNS0_20block_scan_algorithmE0ELj4294967295EEENS1_25partition_config_selectorILNS1_17partition_subalgoE4EjNS0_10empty_typeEbEEZZNS1_14partition_implILS8_4ELb0ES6_15HIP_vector_typeIjLj2EENS0_17counting_iteratorIjlEEPS9_SG_NS0_5tupleIJPjSI_NS0_16reverse_iteratorISI_EEEEENSH_IJSG_SG_SG_EEES9_SI_JZNS1_25segmented_radix_sort_implINS0_14default_configELb0EPKfPfPKlPlN2at6native12_GLOBAL__N_18offset_tEEE10hipError_tPvRmT1_PNSt15iterator_traitsIS12_E10value_typeET2_T3_PNS13_IS18_E10value_typeET4_jRbjT5_S1E_jjP12ihipStream_tbEUljE_ZNSN_ISO_Lb0ESQ_SR_ST_SU_SY_EESZ_S10_S11_S12_S16_S17_S18_S1B_S1C_jS1D_jS1E_S1E_jjS1G_bEUljE0_EEESZ_S10_S11_S18_S1C_S1E_T6_T7_T9_mT8_S1G_bDpT10_ENKUlT_T0_E_clISt17integral_constantIbLb1EES1U_EEDaS1P_S1Q_EUlS1P_E_NS1_11comp_targetILNS1_3genE9ELNS1_11target_archE1100ELNS1_3gpuE3ELNS1_3repE0EEENS1_30default_config_static_selectorELNS0_4arch9wavefront6targetE0EEEvS12_,"axG",@progbits,_ZN7rocprim17ROCPRIM_400000_NS6detail17trampoline_kernelINS0_13select_configILj256ELj13ELNS0_17block_load_methodE3ELS4_3ELS4_3ELNS0_20block_scan_algorithmE0ELj4294967295EEENS1_25partition_config_selectorILNS1_17partition_subalgoE4EjNS0_10empty_typeEbEEZZNS1_14partition_implILS8_4ELb0ES6_15HIP_vector_typeIjLj2EENS0_17counting_iteratorIjlEEPS9_SG_NS0_5tupleIJPjSI_NS0_16reverse_iteratorISI_EEEEENSH_IJSG_SG_SG_EEES9_SI_JZNS1_25segmented_radix_sort_implINS0_14default_configELb0EPKfPfPKlPlN2at6native12_GLOBAL__N_18offset_tEEE10hipError_tPvRmT1_PNSt15iterator_traitsIS12_E10value_typeET2_T3_PNS13_IS18_E10value_typeET4_jRbjT5_S1E_jjP12ihipStream_tbEUljE_ZNSN_ISO_Lb0ESQ_SR_ST_SU_SY_EESZ_S10_S11_S12_S16_S17_S18_S1B_S1C_jS1D_jS1E_S1E_jjS1G_bEUljE0_EEESZ_S10_S11_S18_S1C_S1E_T6_T7_T9_mT8_S1G_bDpT10_ENKUlT_T0_E_clISt17integral_constantIbLb1EES1U_EEDaS1P_S1Q_EUlS1P_E_NS1_11comp_targetILNS1_3genE9ELNS1_11target_archE1100ELNS1_3gpuE3ELNS1_3repE0EEENS1_30default_config_static_selectorELNS0_4arch9wavefront6targetE0EEEvS12_,comdat
	.globl	_ZN7rocprim17ROCPRIM_400000_NS6detail17trampoline_kernelINS0_13select_configILj256ELj13ELNS0_17block_load_methodE3ELS4_3ELS4_3ELNS0_20block_scan_algorithmE0ELj4294967295EEENS1_25partition_config_selectorILNS1_17partition_subalgoE4EjNS0_10empty_typeEbEEZZNS1_14partition_implILS8_4ELb0ES6_15HIP_vector_typeIjLj2EENS0_17counting_iteratorIjlEEPS9_SG_NS0_5tupleIJPjSI_NS0_16reverse_iteratorISI_EEEEENSH_IJSG_SG_SG_EEES9_SI_JZNS1_25segmented_radix_sort_implINS0_14default_configELb0EPKfPfPKlPlN2at6native12_GLOBAL__N_18offset_tEEE10hipError_tPvRmT1_PNSt15iterator_traitsIS12_E10value_typeET2_T3_PNS13_IS18_E10value_typeET4_jRbjT5_S1E_jjP12ihipStream_tbEUljE_ZNSN_ISO_Lb0ESQ_SR_ST_SU_SY_EESZ_S10_S11_S12_S16_S17_S18_S1B_S1C_jS1D_jS1E_S1E_jjS1G_bEUljE0_EEESZ_S10_S11_S18_S1C_S1E_T6_T7_T9_mT8_S1G_bDpT10_ENKUlT_T0_E_clISt17integral_constantIbLb1EES1U_EEDaS1P_S1Q_EUlS1P_E_NS1_11comp_targetILNS1_3genE9ELNS1_11target_archE1100ELNS1_3gpuE3ELNS1_3repE0EEENS1_30default_config_static_selectorELNS0_4arch9wavefront6targetE0EEEvS12_ ; -- Begin function _ZN7rocprim17ROCPRIM_400000_NS6detail17trampoline_kernelINS0_13select_configILj256ELj13ELNS0_17block_load_methodE3ELS4_3ELS4_3ELNS0_20block_scan_algorithmE0ELj4294967295EEENS1_25partition_config_selectorILNS1_17partition_subalgoE4EjNS0_10empty_typeEbEEZZNS1_14partition_implILS8_4ELb0ES6_15HIP_vector_typeIjLj2EENS0_17counting_iteratorIjlEEPS9_SG_NS0_5tupleIJPjSI_NS0_16reverse_iteratorISI_EEEEENSH_IJSG_SG_SG_EEES9_SI_JZNS1_25segmented_radix_sort_implINS0_14default_configELb0EPKfPfPKlPlN2at6native12_GLOBAL__N_18offset_tEEE10hipError_tPvRmT1_PNSt15iterator_traitsIS12_E10value_typeET2_T3_PNS13_IS18_E10value_typeET4_jRbjT5_S1E_jjP12ihipStream_tbEUljE_ZNSN_ISO_Lb0ESQ_SR_ST_SU_SY_EESZ_S10_S11_S12_S16_S17_S18_S1B_S1C_jS1D_jS1E_S1E_jjS1G_bEUljE0_EEESZ_S10_S11_S18_S1C_S1E_T6_T7_T9_mT8_S1G_bDpT10_ENKUlT_T0_E_clISt17integral_constantIbLb1EES1U_EEDaS1P_S1Q_EUlS1P_E_NS1_11comp_targetILNS1_3genE9ELNS1_11target_archE1100ELNS1_3gpuE3ELNS1_3repE0EEENS1_30default_config_static_selectorELNS0_4arch9wavefront6targetE0EEEvS12_
	.p2align	8
	.type	_ZN7rocprim17ROCPRIM_400000_NS6detail17trampoline_kernelINS0_13select_configILj256ELj13ELNS0_17block_load_methodE3ELS4_3ELS4_3ELNS0_20block_scan_algorithmE0ELj4294967295EEENS1_25partition_config_selectorILNS1_17partition_subalgoE4EjNS0_10empty_typeEbEEZZNS1_14partition_implILS8_4ELb0ES6_15HIP_vector_typeIjLj2EENS0_17counting_iteratorIjlEEPS9_SG_NS0_5tupleIJPjSI_NS0_16reverse_iteratorISI_EEEEENSH_IJSG_SG_SG_EEES9_SI_JZNS1_25segmented_radix_sort_implINS0_14default_configELb0EPKfPfPKlPlN2at6native12_GLOBAL__N_18offset_tEEE10hipError_tPvRmT1_PNSt15iterator_traitsIS12_E10value_typeET2_T3_PNS13_IS18_E10value_typeET4_jRbjT5_S1E_jjP12ihipStream_tbEUljE_ZNSN_ISO_Lb0ESQ_SR_ST_SU_SY_EESZ_S10_S11_S12_S16_S17_S18_S1B_S1C_jS1D_jS1E_S1E_jjS1G_bEUljE0_EEESZ_S10_S11_S18_S1C_S1E_T6_T7_T9_mT8_S1G_bDpT10_ENKUlT_T0_E_clISt17integral_constantIbLb1EES1U_EEDaS1P_S1Q_EUlS1P_E_NS1_11comp_targetILNS1_3genE9ELNS1_11target_archE1100ELNS1_3gpuE3ELNS1_3repE0EEENS1_30default_config_static_selectorELNS0_4arch9wavefront6targetE0EEEvS12_,@function
_ZN7rocprim17ROCPRIM_400000_NS6detail17trampoline_kernelINS0_13select_configILj256ELj13ELNS0_17block_load_methodE3ELS4_3ELS4_3ELNS0_20block_scan_algorithmE0ELj4294967295EEENS1_25partition_config_selectorILNS1_17partition_subalgoE4EjNS0_10empty_typeEbEEZZNS1_14partition_implILS8_4ELb0ES6_15HIP_vector_typeIjLj2EENS0_17counting_iteratorIjlEEPS9_SG_NS0_5tupleIJPjSI_NS0_16reverse_iteratorISI_EEEEENSH_IJSG_SG_SG_EEES9_SI_JZNS1_25segmented_radix_sort_implINS0_14default_configELb0EPKfPfPKlPlN2at6native12_GLOBAL__N_18offset_tEEE10hipError_tPvRmT1_PNSt15iterator_traitsIS12_E10value_typeET2_T3_PNS13_IS18_E10value_typeET4_jRbjT5_S1E_jjP12ihipStream_tbEUljE_ZNSN_ISO_Lb0ESQ_SR_ST_SU_SY_EESZ_S10_S11_S12_S16_S17_S18_S1B_S1C_jS1D_jS1E_S1E_jjS1G_bEUljE0_EEESZ_S10_S11_S18_S1C_S1E_T6_T7_T9_mT8_S1G_bDpT10_ENKUlT_T0_E_clISt17integral_constantIbLb1EES1U_EEDaS1P_S1Q_EUlS1P_E_NS1_11comp_targetILNS1_3genE9ELNS1_11target_archE1100ELNS1_3gpuE3ELNS1_3repE0EEENS1_30default_config_static_selectorELNS0_4arch9wavefront6targetE0EEEvS12_: ; @_ZN7rocprim17ROCPRIM_400000_NS6detail17trampoline_kernelINS0_13select_configILj256ELj13ELNS0_17block_load_methodE3ELS4_3ELS4_3ELNS0_20block_scan_algorithmE0ELj4294967295EEENS1_25partition_config_selectorILNS1_17partition_subalgoE4EjNS0_10empty_typeEbEEZZNS1_14partition_implILS8_4ELb0ES6_15HIP_vector_typeIjLj2EENS0_17counting_iteratorIjlEEPS9_SG_NS0_5tupleIJPjSI_NS0_16reverse_iteratorISI_EEEEENSH_IJSG_SG_SG_EEES9_SI_JZNS1_25segmented_radix_sort_implINS0_14default_configELb0EPKfPfPKlPlN2at6native12_GLOBAL__N_18offset_tEEE10hipError_tPvRmT1_PNSt15iterator_traitsIS12_E10value_typeET2_T3_PNS13_IS18_E10value_typeET4_jRbjT5_S1E_jjP12ihipStream_tbEUljE_ZNSN_ISO_Lb0ESQ_SR_ST_SU_SY_EESZ_S10_S11_S12_S16_S17_S18_S1B_S1C_jS1D_jS1E_S1E_jjS1G_bEUljE0_EEESZ_S10_S11_S18_S1C_S1E_T6_T7_T9_mT8_S1G_bDpT10_ENKUlT_T0_E_clISt17integral_constantIbLb1EES1U_EEDaS1P_S1Q_EUlS1P_E_NS1_11comp_targetILNS1_3genE9ELNS1_11target_archE1100ELNS1_3gpuE3ELNS1_3repE0EEENS1_30default_config_static_selectorELNS0_4arch9wavefront6targetE0EEEvS12_
; %bb.0:
	.section	.rodata,"a",@progbits
	.p2align	6, 0x0
	.amdhsa_kernel _ZN7rocprim17ROCPRIM_400000_NS6detail17trampoline_kernelINS0_13select_configILj256ELj13ELNS0_17block_load_methodE3ELS4_3ELS4_3ELNS0_20block_scan_algorithmE0ELj4294967295EEENS1_25partition_config_selectorILNS1_17partition_subalgoE4EjNS0_10empty_typeEbEEZZNS1_14partition_implILS8_4ELb0ES6_15HIP_vector_typeIjLj2EENS0_17counting_iteratorIjlEEPS9_SG_NS0_5tupleIJPjSI_NS0_16reverse_iteratorISI_EEEEENSH_IJSG_SG_SG_EEES9_SI_JZNS1_25segmented_radix_sort_implINS0_14default_configELb0EPKfPfPKlPlN2at6native12_GLOBAL__N_18offset_tEEE10hipError_tPvRmT1_PNSt15iterator_traitsIS12_E10value_typeET2_T3_PNS13_IS18_E10value_typeET4_jRbjT5_S1E_jjP12ihipStream_tbEUljE_ZNSN_ISO_Lb0ESQ_SR_ST_SU_SY_EESZ_S10_S11_S12_S16_S17_S18_S1B_S1C_jS1D_jS1E_S1E_jjS1G_bEUljE0_EEESZ_S10_S11_S18_S1C_S1E_T6_T7_T9_mT8_S1G_bDpT10_ENKUlT_T0_E_clISt17integral_constantIbLb1EES1U_EEDaS1P_S1Q_EUlS1P_E_NS1_11comp_targetILNS1_3genE9ELNS1_11target_archE1100ELNS1_3gpuE3ELNS1_3repE0EEENS1_30default_config_static_selectorELNS0_4arch9wavefront6targetE0EEEvS12_
		.amdhsa_group_segment_fixed_size 0
		.amdhsa_private_segment_fixed_size 0
		.amdhsa_kernarg_size 184
		.amdhsa_user_sgpr_count 2
		.amdhsa_user_sgpr_dispatch_ptr 0
		.amdhsa_user_sgpr_queue_ptr 0
		.amdhsa_user_sgpr_kernarg_segment_ptr 1
		.amdhsa_user_sgpr_dispatch_id 0
		.amdhsa_user_sgpr_kernarg_preload_length 0
		.amdhsa_user_sgpr_kernarg_preload_offset 0
		.amdhsa_user_sgpr_private_segment_size 0
		.amdhsa_wavefront_size32 1
		.amdhsa_uses_dynamic_stack 0
		.amdhsa_enable_private_segment 0
		.amdhsa_system_sgpr_workgroup_id_x 1
		.amdhsa_system_sgpr_workgroup_id_y 0
		.amdhsa_system_sgpr_workgroup_id_z 0
		.amdhsa_system_sgpr_workgroup_info 0
		.amdhsa_system_vgpr_workitem_id 0
		.amdhsa_next_free_vgpr 1
		.amdhsa_next_free_sgpr 1
		.amdhsa_named_barrier_count 0
		.amdhsa_reserve_vcc 0
		.amdhsa_float_round_mode_32 0
		.amdhsa_float_round_mode_16_64 0
		.amdhsa_float_denorm_mode_32 3
		.amdhsa_float_denorm_mode_16_64 3
		.amdhsa_fp16_overflow 0
		.amdhsa_memory_ordered 1
		.amdhsa_forward_progress 1
		.amdhsa_inst_pref_size 0
		.amdhsa_round_robin_scheduling 0
		.amdhsa_exception_fp_ieee_invalid_op 0
		.amdhsa_exception_fp_denorm_src 0
		.amdhsa_exception_fp_ieee_div_zero 0
		.amdhsa_exception_fp_ieee_overflow 0
		.amdhsa_exception_fp_ieee_underflow 0
		.amdhsa_exception_fp_ieee_inexact 0
		.amdhsa_exception_int_div_zero 0
	.end_amdhsa_kernel
	.section	.text._ZN7rocprim17ROCPRIM_400000_NS6detail17trampoline_kernelINS0_13select_configILj256ELj13ELNS0_17block_load_methodE3ELS4_3ELS4_3ELNS0_20block_scan_algorithmE0ELj4294967295EEENS1_25partition_config_selectorILNS1_17partition_subalgoE4EjNS0_10empty_typeEbEEZZNS1_14partition_implILS8_4ELb0ES6_15HIP_vector_typeIjLj2EENS0_17counting_iteratorIjlEEPS9_SG_NS0_5tupleIJPjSI_NS0_16reverse_iteratorISI_EEEEENSH_IJSG_SG_SG_EEES9_SI_JZNS1_25segmented_radix_sort_implINS0_14default_configELb0EPKfPfPKlPlN2at6native12_GLOBAL__N_18offset_tEEE10hipError_tPvRmT1_PNSt15iterator_traitsIS12_E10value_typeET2_T3_PNS13_IS18_E10value_typeET4_jRbjT5_S1E_jjP12ihipStream_tbEUljE_ZNSN_ISO_Lb0ESQ_SR_ST_SU_SY_EESZ_S10_S11_S12_S16_S17_S18_S1B_S1C_jS1D_jS1E_S1E_jjS1G_bEUljE0_EEESZ_S10_S11_S18_S1C_S1E_T6_T7_T9_mT8_S1G_bDpT10_ENKUlT_T0_E_clISt17integral_constantIbLb1EES1U_EEDaS1P_S1Q_EUlS1P_E_NS1_11comp_targetILNS1_3genE9ELNS1_11target_archE1100ELNS1_3gpuE3ELNS1_3repE0EEENS1_30default_config_static_selectorELNS0_4arch9wavefront6targetE0EEEvS12_,"axG",@progbits,_ZN7rocprim17ROCPRIM_400000_NS6detail17trampoline_kernelINS0_13select_configILj256ELj13ELNS0_17block_load_methodE3ELS4_3ELS4_3ELNS0_20block_scan_algorithmE0ELj4294967295EEENS1_25partition_config_selectorILNS1_17partition_subalgoE4EjNS0_10empty_typeEbEEZZNS1_14partition_implILS8_4ELb0ES6_15HIP_vector_typeIjLj2EENS0_17counting_iteratorIjlEEPS9_SG_NS0_5tupleIJPjSI_NS0_16reverse_iteratorISI_EEEEENSH_IJSG_SG_SG_EEES9_SI_JZNS1_25segmented_radix_sort_implINS0_14default_configELb0EPKfPfPKlPlN2at6native12_GLOBAL__N_18offset_tEEE10hipError_tPvRmT1_PNSt15iterator_traitsIS12_E10value_typeET2_T3_PNS13_IS18_E10value_typeET4_jRbjT5_S1E_jjP12ihipStream_tbEUljE_ZNSN_ISO_Lb0ESQ_SR_ST_SU_SY_EESZ_S10_S11_S12_S16_S17_S18_S1B_S1C_jS1D_jS1E_S1E_jjS1G_bEUljE0_EEESZ_S10_S11_S18_S1C_S1E_T6_T7_T9_mT8_S1G_bDpT10_ENKUlT_T0_E_clISt17integral_constantIbLb1EES1U_EEDaS1P_S1Q_EUlS1P_E_NS1_11comp_targetILNS1_3genE9ELNS1_11target_archE1100ELNS1_3gpuE3ELNS1_3repE0EEENS1_30default_config_static_selectorELNS0_4arch9wavefront6targetE0EEEvS12_,comdat
.Lfunc_end1371:
	.size	_ZN7rocprim17ROCPRIM_400000_NS6detail17trampoline_kernelINS0_13select_configILj256ELj13ELNS0_17block_load_methodE3ELS4_3ELS4_3ELNS0_20block_scan_algorithmE0ELj4294967295EEENS1_25partition_config_selectorILNS1_17partition_subalgoE4EjNS0_10empty_typeEbEEZZNS1_14partition_implILS8_4ELb0ES6_15HIP_vector_typeIjLj2EENS0_17counting_iteratorIjlEEPS9_SG_NS0_5tupleIJPjSI_NS0_16reverse_iteratorISI_EEEEENSH_IJSG_SG_SG_EEES9_SI_JZNS1_25segmented_radix_sort_implINS0_14default_configELb0EPKfPfPKlPlN2at6native12_GLOBAL__N_18offset_tEEE10hipError_tPvRmT1_PNSt15iterator_traitsIS12_E10value_typeET2_T3_PNS13_IS18_E10value_typeET4_jRbjT5_S1E_jjP12ihipStream_tbEUljE_ZNSN_ISO_Lb0ESQ_SR_ST_SU_SY_EESZ_S10_S11_S12_S16_S17_S18_S1B_S1C_jS1D_jS1E_S1E_jjS1G_bEUljE0_EEESZ_S10_S11_S18_S1C_S1E_T6_T7_T9_mT8_S1G_bDpT10_ENKUlT_T0_E_clISt17integral_constantIbLb1EES1U_EEDaS1P_S1Q_EUlS1P_E_NS1_11comp_targetILNS1_3genE9ELNS1_11target_archE1100ELNS1_3gpuE3ELNS1_3repE0EEENS1_30default_config_static_selectorELNS0_4arch9wavefront6targetE0EEEvS12_, .Lfunc_end1371-_ZN7rocprim17ROCPRIM_400000_NS6detail17trampoline_kernelINS0_13select_configILj256ELj13ELNS0_17block_load_methodE3ELS4_3ELS4_3ELNS0_20block_scan_algorithmE0ELj4294967295EEENS1_25partition_config_selectorILNS1_17partition_subalgoE4EjNS0_10empty_typeEbEEZZNS1_14partition_implILS8_4ELb0ES6_15HIP_vector_typeIjLj2EENS0_17counting_iteratorIjlEEPS9_SG_NS0_5tupleIJPjSI_NS0_16reverse_iteratorISI_EEEEENSH_IJSG_SG_SG_EEES9_SI_JZNS1_25segmented_radix_sort_implINS0_14default_configELb0EPKfPfPKlPlN2at6native12_GLOBAL__N_18offset_tEEE10hipError_tPvRmT1_PNSt15iterator_traitsIS12_E10value_typeET2_T3_PNS13_IS18_E10value_typeET4_jRbjT5_S1E_jjP12ihipStream_tbEUljE_ZNSN_ISO_Lb0ESQ_SR_ST_SU_SY_EESZ_S10_S11_S12_S16_S17_S18_S1B_S1C_jS1D_jS1E_S1E_jjS1G_bEUljE0_EEESZ_S10_S11_S18_S1C_S1E_T6_T7_T9_mT8_S1G_bDpT10_ENKUlT_T0_E_clISt17integral_constantIbLb1EES1U_EEDaS1P_S1Q_EUlS1P_E_NS1_11comp_targetILNS1_3genE9ELNS1_11target_archE1100ELNS1_3gpuE3ELNS1_3repE0EEENS1_30default_config_static_selectorELNS0_4arch9wavefront6targetE0EEEvS12_
                                        ; -- End function
	.set _ZN7rocprim17ROCPRIM_400000_NS6detail17trampoline_kernelINS0_13select_configILj256ELj13ELNS0_17block_load_methodE3ELS4_3ELS4_3ELNS0_20block_scan_algorithmE0ELj4294967295EEENS1_25partition_config_selectorILNS1_17partition_subalgoE4EjNS0_10empty_typeEbEEZZNS1_14partition_implILS8_4ELb0ES6_15HIP_vector_typeIjLj2EENS0_17counting_iteratorIjlEEPS9_SG_NS0_5tupleIJPjSI_NS0_16reverse_iteratorISI_EEEEENSH_IJSG_SG_SG_EEES9_SI_JZNS1_25segmented_radix_sort_implINS0_14default_configELb0EPKfPfPKlPlN2at6native12_GLOBAL__N_18offset_tEEE10hipError_tPvRmT1_PNSt15iterator_traitsIS12_E10value_typeET2_T3_PNS13_IS18_E10value_typeET4_jRbjT5_S1E_jjP12ihipStream_tbEUljE_ZNSN_ISO_Lb0ESQ_SR_ST_SU_SY_EESZ_S10_S11_S12_S16_S17_S18_S1B_S1C_jS1D_jS1E_S1E_jjS1G_bEUljE0_EEESZ_S10_S11_S18_S1C_S1E_T6_T7_T9_mT8_S1G_bDpT10_ENKUlT_T0_E_clISt17integral_constantIbLb1EES1U_EEDaS1P_S1Q_EUlS1P_E_NS1_11comp_targetILNS1_3genE9ELNS1_11target_archE1100ELNS1_3gpuE3ELNS1_3repE0EEENS1_30default_config_static_selectorELNS0_4arch9wavefront6targetE0EEEvS12_.num_vgpr, 0
	.set _ZN7rocprim17ROCPRIM_400000_NS6detail17trampoline_kernelINS0_13select_configILj256ELj13ELNS0_17block_load_methodE3ELS4_3ELS4_3ELNS0_20block_scan_algorithmE0ELj4294967295EEENS1_25partition_config_selectorILNS1_17partition_subalgoE4EjNS0_10empty_typeEbEEZZNS1_14partition_implILS8_4ELb0ES6_15HIP_vector_typeIjLj2EENS0_17counting_iteratorIjlEEPS9_SG_NS0_5tupleIJPjSI_NS0_16reverse_iteratorISI_EEEEENSH_IJSG_SG_SG_EEES9_SI_JZNS1_25segmented_radix_sort_implINS0_14default_configELb0EPKfPfPKlPlN2at6native12_GLOBAL__N_18offset_tEEE10hipError_tPvRmT1_PNSt15iterator_traitsIS12_E10value_typeET2_T3_PNS13_IS18_E10value_typeET4_jRbjT5_S1E_jjP12ihipStream_tbEUljE_ZNSN_ISO_Lb0ESQ_SR_ST_SU_SY_EESZ_S10_S11_S12_S16_S17_S18_S1B_S1C_jS1D_jS1E_S1E_jjS1G_bEUljE0_EEESZ_S10_S11_S18_S1C_S1E_T6_T7_T9_mT8_S1G_bDpT10_ENKUlT_T0_E_clISt17integral_constantIbLb1EES1U_EEDaS1P_S1Q_EUlS1P_E_NS1_11comp_targetILNS1_3genE9ELNS1_11target_archE1100ELNS1_3gpuE3ELNS1_3repE0EEENS1_30default_config_static_selectorELNS0_4arch9wavefront6targetE0EEEvS12_.num_agpr, 0
	.set _ZN7rocprim17ROCPRIM_400000_NS6detail17trampoline_kernelINS0_13select_configILj256ELj13ELNS0_17block_load_methodE3ELS4_3ELS4_3ELNS0_20block_scan_algorithmE0ELj4294967295EEENS1_25partition_config_selectorILNS1_17partition_subalgoE4EjNS0_10empty_typeEbEEZZNS1_14partition_implILS8_4ELb0ES6_15HIP_vector_typeIjLj2EENS0_17counting_iteratorIjlEEPS9_SG_NS0_5tupleIJPjSI_NS0_16reverse_iteratorISI_EEEEENSH_IJSG_SG_SG_EEES9_SI_JZNS1_25segmented_radix_sort_implINS0_14default_configELb0EPKfPfPKlPlN2at6native12_GLOBAL__N_18offset_tEEE10hipError_tPvRmT1_PNSt15iterator_traitsIS12_E10value_typeET2_T3_PNS13_IS18_E10value_typeET4_jRbjT5_S1E_jjP12ihipStream_tbEUljE_ZNSN_ISO_Lb0ESQ_SR_ST_SU_SY_EESZ_S10_S11_S12_S16_S17_S18_S1B_S1C_jS1D_jS1E_S1E_jjS1G_bEUljE0_EEESZ_S10_S11_S18_S1C_S1E_T6_T7_T9_mT8_S1G_bDpT10_ENKUlT_T0_E_clISt17integral_constantIbLb1EES1U_EEDaS1P_S1Q_EUlS1P_E_NS1_11comp_targetILNS1_3genE9ELNS1_11target_archE1100ELNS1_3gpuE3ELNS1_3repE0EEENS1_30default_config_static_selectorELNS0_4arch9wavefront6targetE0EEEvS12_.numbered_sgpr, 0
	.set _ZN7rocprim17ROCPRIM_400000_NS6detail17trampoline_kernelINS0_13select_configILj256ELj13ELNS0_17block_load_methodE3ELS4_3ELS4_3ELNS0_20block_scan_algorithmE0ELj4294967295EEENS1_25partition_config_selectorILNS1_17partition_subalgoE4EjNS0_10empty_typeEbEEZZNS1_14partition_implILS8_4ELb0ES6_15HIP_vector_typeIjLj2EENS0_17counting_iteratorIjlEEPS9_SG_NS0_5tupleIJPjSI_NS0_16reverse_iteratorISI_EEEEENSH_IJSG_SG_SG_EEES9_SI_JZNS1_25segmented_radix_sort_implINS0_14default_configELb0EPKfPfPKlPlN2at6native12_GLOBAL__N_18offset_tEEE10hipError_tPvRmT1_PNSt15iterator_traitsIS12_E10value_typeET2_T3_PNS13_IS18_E10value_typeET4_jRbjT5_S1E_jjP12ihipStream_tbEUljE_ZNSN_ISO_Lb0ESQ_SR_ST_SU_SY_EESZ_S10_S11_S12_S16_S17_S18_S1B_S1C_jS1D_jS1E_S1E_jjS1G_bEUljE0_EEESZ_S10_S11_S18_S1C_S1E_T6_T7_T9_mT8_S1G_bDpT10_ENKUlT_T0_E_clISt17integral_constantIbLb1EES1U_EEDaS1P_S1Q_EUlS1P_E_NS1_11comp_targetILNS1_3genE9ELNS1_11target_archE1100ELNS1_3gpuE3ELNS1_3repE0EEENS1_30default_config_static_selectorELNS0_4arch9wavefront6targetE0EEEvS12_.num_named_barrier, 0
	.set _ZN7rocprim17ROCPRIM_400000_NS6detail17trampoline_kernelINS0_13select_configILj256ELj13ELNS0_17block_load_methodE3ELS4_3ELS4_3ELNS0_20block_scan_algorithmE0ELj4294967295EEENS1_25partition_config_selectorILNS1_17partition_subalgoE4EjNS0_10empty_typeEbEEZZNS1_14partition_implILS8_4ELb0ES6_15HIP_vector_typeIjLj2EENS0_17counting_iteratorIjlEEPS9_SG_NS0_5tupleIJPjSI_NS0_16reverse_iteratorISI_EEEEENSH_IJSG_SG_SG_EEES9_SI_JZNS1_25segmented_radix_sort_implINS0_14default_configELb0EPKfPfPKlPlN2at6native12_GLOBAL__N_18offset_tEEE10hipError_tPvRmT1_PNSt15iterator_traitsIS12_E10value_typeET2_T3_PNS13_IS18_E10value_typeET4_jRbjT5_S1E_jjP12ihipStream_tbEUljE_ZNSN_ISO_Lb0ESQ_SR_ST_SU_SY_EESZ_S10_S11_S12_S16_S17_S18_S1B_S1C_jS1D_jS1E_S1E_jjS1G_bEUljE0_EEESZ_S10_S11_S18_S1C_S1E_T6_T7_T9_mT8_S1G_bDpT10_ENKUlT_T0_E_clISt17integral_constantIbLb1EES1U_EEDaS1P_S1Q_EUlS1P_E_NS1_11comp_targetILNS1_3genE9ELNS1_11target_archE1100ELNS1_3gpuE3ELNS1_3repE0EEENS1_30default_config_static_selectorELNS0_4arch9wavefront6targetE0EEEvS12_.private_seg_size, 0
	.set _ZN7rocprim17ROCPRIM_400000_NS6detail17trampoline_kernelINS0_13select_configILj256ELj13ELNS0_17block_load_methodE3ELS4_3ELS4_3ELNS0_20block_scan_algorithmE0ELj4294967295EEENS1_25partition_config_selectorILNS1_17partition_subalgoE4EjNS0_10empty_typeEbEEZZNS1_14partition_implILS8_4ELb0ES6_15HIP_vector_typeIjLj2EENS0_17counting_iteratorIjlEEPS9_SG_NS0_5tupleIJPjSI_NS0_16reverse_iteratorISI_EEEEENSH_IJSG_SG_SG_EEES9_SI_JZNS1_25segmented_radix_sort_implINS0_14default_configELb0EPKfPfPKlPlN2at6native12_GLOBAL__N_18offset_tEEE10hipError_tPvRmT1_PNSt15iterator_traitsIS12_E10value_typeET2_T3_PNS13_IS18_E10value_typeET4_jRbjT5_S1E_jjP12ihipStream_tbEUljE_ZNSN_ISO_Lb0ESQ_SR_ST_SU_SY_EESZ_S10_S11_S12_S16_S17_S18_S1B_S1C_jS1D_jS1E_S1E_jjS1G_bEUljE0_EEESZ_S10_S11_S18_S1C_S1E_T6_T7_T9_mT8_S1G_bDpT10_ENKUlT_T0_E_clISt17integral_constantIbLb1EES1U_EEDaS1P_S1Q_EUlS1P_E_NS1_11comp_targetILNS1_3genE9ELNS1_11target_archE1100ELNS1_3gpuE3ELNS1_3repE0EEENS1_30default_config_static_selectorELNS0_4arch9wavefront6targetE0EEEvS12_.uses_vcc, 0
	.set _ZN7rocprim17ROCPRIM_400000_NS6detail17trampoline_kernelINS0_13select_configILj256ELj13ELNS0_17block_load_methodE3ELS4_3ELS4_3ELNS0_20block_scan_algorithmE0ELj4294967295EEENS1_25partition_config_selectorILNS1_17partition_subalgoE4EjNS0_10empty_typeEbEEZZNS1_14partition_implILS8_4ELb0ES6_15HIP_vector_typeIjLj2EENS0_17counting_iteratorIjlEEPS9_SG_NS0_5tupleIJPjSI_NS0_16reverse_iteratorISI_EEEEENSH_IJSG_SG_SG_EEES9_SI_JZNS1_25segmented_radix_sort_implINS0_14default_configELb0EPKfPfPKlPlN2at6native12_GLOBAL__N_18offset_tEEE10hipError_tPvRmT1_PNSt15iterator_traitsIS12_E10value_typeET2_T3_PNS13_IS18_E10value_typeET4_jRbjT5_S1E_jjP12ihipStream_tbEUljE_ZNSN_ISO_Lb0ESQ_SR_ST_SU_SY_EESZ_S10_S11_S12_S16_S17_S18_S1B_S1C_jS1D_jS1E_S1E_jjS1G_bEUljE0_EEESZ_S10_S11_S18_S1C_S1E_T6_T7_T9_mT8_S1G_bDpT10_ENKUlT_T0_E_clISt17integral_constantIbLb1EES1U_EEDaS1P_S1Q_EUlS1P_E_NS1_11comp_targetILNS1_3genE9ELNS1_11target_archE1100ELNS1_3gpuE3ELNS1_3repE0EEENS1_30default_config_static_selectorELNS0_4arch9wavefront6targetE0EEEvS12_.uses_flat_scratch, 0
	.set _ZN7rocprim17ROCPRIM_400000_NS6detail17trampoline_kernelINS0_13select_configILj256ELj13ELNS0_17block_load_methodE3ELS4_3ELS4_3ELNS0_20block_scan_algorithmE0ELj4294967295EEENS1_25partition_config_selectorILNS1_17partition_subalgoE4EjNS0_10empty_typeEbEEZZNS1_14partition_implILS8_4ELb0ES6_15HIP_vector_typeIjLj2EENS0_17counting_iteratorIjlEEPS9_SG_NS0_5tupleIJPjSI_NS0_16reverse_iteratorISI_EEEEENSH_IJSG_SG_SG_EEES9_SI_JZNS1_25segmented_radix_sort_implINS0_14default_configELb0EPKfPfPKlPlN2at6native12_GLOBAL__N_18offset_tEEE10hipError_tPvRmT1_PNSt15iterator_traitsIS12_E10value_typeET2_T3_PNS13_IS18_E10value_typeET4_jRbjT5_S1E_jjP12ihipStream_tbEUljE_ZNSN_ISO_Lb0ESQ_SR_ST_SU_SY_EESZ_S10_S11_S12_S16_S17_S18_S1B_S1C_jS1D_jS1E_S1E_jjS1G_bEUljE0_EEESZ_S10_S11_S18_S1C_S1E_T6_T7_T9_mT8_S1G_bDpT10_ENKUlT_T0_E_clISt17integral_constantIbLb1EES1U_EEDaS1P_S1Q_EUlS1P_E_NS1_11comp_targetILNS1_3genE9ELNS1_11target_archE1100ELNS1_3gpuE3ELNS1_3repE0EEENS1_30default_config_static_selectorELNS0_4arch9wavefront6targetE0EEEvS12_.has_dyn_sized_stack, 0
	.set _ZN7rocprim17ROCPRIM_400000_NS6detail17trampoline_kernelINS0_13select_configILj256ELj13ELNS0_17block_load_methodE3ELS4_3ELS4_3ELNS0_20block_scan_algorithmE0ELj4294967295EEENS1_25partition_config_selectorILNS1_17partition_subalgoE4EjNS0_10empty_typeEbEEZZNS1_14partition_implILS8_4ELb0ES6_15HIP_vector_typeIjLj2EENS0_17counting_iteratorIjlEEPS9_SG_NS0_5tupleIJPjSI_NS0_16reverse_iteratorISI_EEEEENSH_IJSG_SG_SG_EEES9_SI_JZNS1_25segmented_radix_sort_implINS0_14default_configELb0EPKfPfPKlPlN2at6native12_GLOBAL__N_18offset_tEEE10hipError_tPvRmT1_PNSt15iterator_traitsIS12_E10value_typeET2_T3_PNS13_IS18_E10value_typeET4_jRbjT5_S1E_jjP12ihipStream_tbEUljE_ZNSN_ISO_Lb0ESQ_SR_ST_SU_SY_EESZ_S10_S11_S12_S16_S17_S18_S1B_S1C_jS1D_jS1E_S1E_jjS1G_bEUljE0_EEESZ_S10_S11_S18_S1C_S1E_T6_T7_T9_mT8_S1G_bDpT10_ENKUlT_T0_E_clISt17integral_constantIbLb1EES1U_EEDaS1P_S1Q_EUlS1P_E_NS1_11comp_targetILNS1_3genE9ELNS1_11target_archE1100ELNS1_3gpuE3ELNS1_3repE0EEENS1_30default_config_static_selectorELNS0_4arch9wavefront6targetE0EEEvS12_.has_recursion, 0
	.set _ZN7rocprim17ROCPRIM_400000_NS6detail17trampoline_kernelINS0_13select_configILj256ELj13ELNS0_17block_load_methodE3ELS4_3ELS4_3ELNS0_20block_scan_algorithmE0ELj4294967295EEENS1_25partition_config_selectorILNS1_17partition_subalgoE4EjNS0_10empty_typeEbEEZZNS1_14partition_implILS8_4ELb0ES6_15HIP_vector_typeIjLj2EENS0_17counting_iteratorIjlEEPS9_SG_NS0_5tupleIJPjSI_NS0_16reverse_iteratorISI_EEEEENSH_IJSG_SG_SG_EEES9_SI_JZNS1_25segmented_radix_sort_implINS0_14default_configELb0EPKfPfPKlPlN2at6native12_GLOBAL__N_18offset_tEEE10hipError_tPvRmT1_PNSt15iterator_traitsIS12_E10value_typeET2_T3_PNS13_IS18_E10value_typeET4_jRbjT5_S1E_jjP12ihipStream_tbEUljE_ZNSN_ISO_Lb0ESQ_SR_ST_SU_SY_EESZ_S10_S11_S12_S16_S17_S18_S1B_S1C_jS1D_jS1E_S1E_jjS1G_bEUljE0_EEESZ_S10_S11_S18_S1C_S1E_T6_T7_T9_mT8_S1G_bDpT10_ENKUlT_T0_E_clISt17integral_constantIbLb1EES1U_EEDaS1P_S1Q_EUlS1P_E_NS1_11comp_targetILNS1_3genE9ELNS1_11target_archE1100ELNS1_3gpuE3ELNS1_3repE0EEENS1_30default_config_static_selectorELNS0_4arch9wavefront6targetE0EEEvS12_.has_indirect_call, 0
	.section	.AMDGPU.csdata,"",@progbits
; Kernel info:
; codeLenInByte = 0
; TotalNumSgprs: 0
; NumVgprs: 0
; ScratchSize: 0
; MemoryBound: 0
; FloatMode: 240
; IeeeMode: 1
; LDSByteSize: 0 bytes/workgroup (compile time only)
; SGPRBlocks: 0
; VGPRBlocks: 0
; NumSGPRsForWavesPerEU: 1
; NumVGPRsForWavesPerEU: 1
; NamedBarCnt: 0
; Occupancy: 16
; WaveLimiterHint : 0
; COMPUTE_PGM_RSRC2:SCRATCH_EN: 0
; COMPUTE_PGM_RSRC2:USER_SGPR: 2
; COMPUTE_PGM_RSRC2:TRAP_HANDLER: 0
; COMPUTE_PGM_RSRC2:TGID_X_EN: 1
; COMPUTE_PGM_RSRC2:TGID_Y_EN: 0
; COMPUTE_PGM_RSRC2:TGID_Z_EN: 0
; COMPUTE_PGM_RSRC2:TIDIG_COMP_CNT: 0
	.section	.text._ZN7rocprim17ROCPRIM_400000_NS6detail17trampoline_kernelINS0_13select_configILj256ELj13ELNS0_17block_load_methodE3ELS4_3ELS4_3ELNS0_20block_scan_algorithmE0ELj4294967295EEENS1_25partition_config_selectorILNS1_17partition_subalgoE4EjNS0_10empty_typeEbEEZZNS1_14partition_implILS8_4ELb0ES6_15HIP_vector_typeIjLj2EENS0_17counting_iteratorIjlEEPS9_SG_NS0_5tupleIJPjSI_NS0_16reverse_iteratorISI_EEEEENSH_IJSG_SG_SG_EEES9_SI_JZNS1_25segmented_radix_sort_implINS0_14default_configELb0EPKfPfPKlPlN2at6native12_GLOBAL__N_18offset_tEEE10hipError_tPvRmT1_PNSt15iterator_traitsIS12_E10value_typeET2_T3_PNS13_IS18_E10value_typeET4_jRbjT5_S1E_jjP12ihipStream_tbEUljE_ZNSN_ISO_Lb0ESQ_SR_ST_SU_SY_EESZ_S10_S11_S12_S16_S17_S18_S1B_S1C_jS1D_jS1E_S1E_jjS1G_bEUljE0_EEESZ_S10_S11_S18_S1C_S1E_T6_T7_T9_mT8_S1G_bDpT10_ENKUlT_T0_E_clISt17integral_constantIbLb1EES1U_EEDaS1P_S1Q_EUlS1P_E_NS1_11comp_targetILNS1_3genE8ELNS1_11target_archE1030ELNS1_3gpuE2ELNS1_3repE0EEENS1_30default_config_static_selectorELNS0_4arch9wavefront6targetE0EEEvS12_,"axG",@progbits,_ZN7rocprim17ROCPRIM_400000_NS6detail17trampoline_kernelINS0_13select_configILj256ELj13ELNS0_17block_load_methodE3ELS4_3ELS4_3ELNS0_20block_scan_algorithmE0ELj4294967295EEENS1_25partition_config_selectorILNS1_17partition_subalgoE4EjNS0_10empty_typeEbEEZZNS1_14partition_implILS8_4ELb0ES6_15HIP_vector_typeIjLj2EENS0_17counting_iteratorIjlEEPS9_SG_NS0_5tupleIJPjSI_NS0_16reverse_iteratorISI_EEEEENSH_IJSG_SG_SG_EEES9_SI_JZNS1_25segmented_radix_sort_implINS0_14default_configELb0EPKfPfPKlPlN2at6native12_GLOBAL__N_18offset_tEEE10hipError_tPvRmT1_PNSt15iterator_traitsIS12_E10value_typeET2_T3_PNS13_IS18_E10value_typeET4_jRbjT5_S1E_jjP12ihipStream_tbEUljE_ZNSN_ISO_Lb0ESQ_SR_ST_SU_SY_EESZ_S10_S11_S12_S16_S17_S18_S1B_S1C_jS1D_jS1E_S1E_jjS1G_bEUljE0_EEESZ_S10_S11_S18_S1C_S1E_T6_T7_T9_mT8_S1G_bDpT10_ENKUlT_T0_E_clISt17integral_constantIbLb1EES1U_EEDaS1P_S1Q_EUlS1P_E_NS1_11comp_targetILNS1_3genE8ELNS1_11target_archE1030ELNS1_3gpuE2ELNS1_3repE0EEENS1_30default_config_static_selectorELNS0_4arch9wavefront6targetE0EEEvS12_,comdat
	.globl	_ZN7rocprim17ROCPRIM_400000_NS6detail17trampoline_kernelINS0_13select_configILj256ELj13ELNS0_17block_load_methodE3ELS4_3ELS4_3ELNS0_20block_scan_algorithmE0ELj4294967295EEENS1_25partition_config_selectorILNS1_17partition_subalgoE4EjNS0_10empty_typeEbEEZZNS1_14partition_implILS8_4ELb0ES6_15HIP_vector_typeIjLj2EENS0_17counting_iteratorIjlEEPS9_SG_NS0_5tupleIJPjSI_NS0_16reverse_iteratorISI_EEEEENSH_IJSG_SG_SG_EEES9_SI_JZNS1_25segmented_radix_sort_implINS0_14default_configELb0EPKfPfPKlPlN2at6native12_GLOBAL__N_18offset_tEEE10hipError_tPvRmT1_PNSt15iterator_traitsIS12_E10value_typeET2_T3_PNS13_IS18_E10value_typeET4_jRbjT5_S1E_jjP12ihipStream_tbEUljE_ZNSN_ISO_Lb0ESQ_SR_ST_SU_SY_EESZ_S10_S11_S12_S16_S17_S18_S1B_S1C_jS1D_jS1E_S1E_jjS1G_bEUljE0_EEESZ_S10_S11_S18_S1C_S1E_T6_T7_T9_mT8_S1G_bDpT10_ENKUlT_T0_E_clISt17integral_constantIbLb1EES1U_EEDaS1P_S1Q_EUlS1P_E_NS1_11comp_targetILNS1_3genE8ELNS1_11target_archE1030ELNS1_3gpuE2ELNS1_3repE0EEENS1_30default_config_static_selectorELNS0_4arch9wavefront6targetE0EEEvS12_ ; -- Begin function _ZN7rocprim17ROCPRIM_400000_NS6detail17trampoline_kernelINS0_13select_configILj256ELj13ELNS0_17block_load_methodE3ELS4_3ELS4_3ELNS0_20block_scan_algorithmE0ELj4294967295EEENS1_25partition_config_selectorILNS1_17partition_subalgoE4EjNS0_10empty_typeEbEEZZNS1_14partition_implILS8_4ELb0ES6_15HIP_vector_typeIjLj2EENS0_17counting_iteratorIjlEEPS9_SG_NS0_5tupleIJPjSI_NS0_16reverse_iteratorISI_EEEEENSH_IJSG_SG_SG_EEES9_SI_JZNS1_25segmented_radix_sort_implINS0_14default_configELb0EPKfPfPKlPlN2at6native12_GLOBAL__N_18offset_tEEE10hipError_tPvRmT1_PNSt15iterator_traitsIS12_E10value_typeET2_T3_PNS13_IS18_E10value_typeET4_jRbjT5_S1E_jjP12ihipStream_tbEUljE_ZNSN_ISO_Lb0ESQ_SR_ST_SU_SY_EESZ_S10_S11_S12_S16_S17_S18_S1B_S1C_jS1D_jS1E_S1E_jjS1G_bEUljE0_EEESZ_S10_S11_S18_S1C_S1E_T6_T7_T9_mT8_S1G_bDpT10_ENKUlT_T0_E_clISt17integral_constantIbLb1EES1U_EEDaS1P_S1Q_EUlS1P_E_NS1_11comp_targetILNS1_3genE8ELNS1_11target_archE1030ELNS1_3gpuE2ELNS1_3repE0EEENS1_30default_config_static_selectorELNS0_4arch9wavefront6targetE0EEEvS12_
	.p2align	8
	.type	_ZN7rocprim17ROCPRIM_400000_NS6detail17trampoline_kernelINS0_13select_configILj256ELj13ELNS0_17block_load_methodE3ELS4_3ELS4_3ELNS0_20block_scan_algorithmE0ELj4294967295EEENS1_25partition_config_selectorILNS1_17partition_subalgoE4EjNS0_10empty_typeEbEEZZNS1_14partition_implILS8_4ELb0ES6_15HIP_vector_typeIjLj2EENS0_17counting_iteratorIjlEEPS9_SG_NS0_5tupleIJPjSI_NS0_16reverse_iteratorISI_EEEEENSH_IJSG_SG_SG_EEES9_SI_JZNS1_25segmented_radix_sort_implINS0_14default_configELb0EPKfPfPKlPlN2at6native12_GLOBAL__N_18offset_tEEE10hipError_tPvRmT1_PNSt15iterator_traitsIS12_E10value_typeET2_T3_PNS13_IS18_E10value_typeET4_jRbjT5_S1E_jjP12ihipStream_tbEUljE_ZNSN_ISO_Lb0ESQ_SR_ST_SU_SY_EESZ_S10_S11_S12_S16_S17_S18_S1B_S1C_jS1D_jS1E_S1E_jjS1G_bEUljE0_EEESZ_S10_S11_S18_S1C_S1E_T6_T7_T9_mT8_S1G_bDpT10_ENKUlT_T0_E_clISt17integral_constantIbLb1EES1U_EEDaS1P_S1Q_EUlS1P_E_NS1_11comp_targetILNS1_3genE8ELNS1_11target_archE1030ELNS1_3gpuE2ELNS1_3repE0EEENS1_30default_config_static_selectorELNS0_4arch9wavefront6targetE0EEEvS12_,@function
_ZN7rocprim17ROCPRIM_400000_NS6detail17trampoline_kernelINS0_13select_configILj256ELj13ELNS0_17block_load_methodE3ELS4_3ELS4_3ELNS0_20block_scan_algorithmE0ELj4294967295EEENS1_25partition_config_selectorILNS1_17partition_subalgoE4EjNS0_10empty_typeEbEEZZNS1_14partition_implILS8_4ELb0ES6_15HIP_vector_typeIjLj2EENS0_17counting_iteratorIjlEEPS9_SG_NS0_5tupleIJPjSI_NS0_16reverse_iteratorISI_EEEEENSH_IJSG_SG_SG_EEES9_SI_JZNS1_25segmented_radix_sort_implINS0_14default_configELb0EPKfPfPKlPlN2at6native12_GLOBAL__N_18offset_tEEE10hipError_tPvRmT1_PNSt15iterator_traitsIS12_E10value_typeET2_T3_PNS13_IS18_E10value_typeET4_jRbjT5_S1E_jjP12ihipStream_tbEUljE_ZNSN_ISO_Lb0ESQ_SR_ST_SU_SY_EESZ_S10_S11_S12_S16_S17_S18_S1B_S1C_jS1D_jS1E_S1E_jjS1G_bEUljE0_EEESZ_S10_S11_S18_S1C_S1E_T6_T7_T9_mT8_S1G_bDpT10_ENKUlT_T0_E_clISt17integral_constantIbLb1EES1U_EEDaS1P_S1Q_EUlS1P_E_NS1_11comp_targetILNS1_3genE8ELNS1_11target_archE1030ELNS1_3gpuE2ELNS1_3repE0EEENS1_30default_config_static_selectorELNS0_4arch9wavefront6targetE0EEEvS12_: ; @_ZN7rocprim17ROCPRIM_400000_NS6detail17trampoline_kernelINS0_13select_configILj256ELj13ELNS0_17block_load_methodE3ELS4_3ELS4_3ELNS0_20block_scan_algorithmE0ELj4294967295EEENS1_25partition_config_selectorILNS1_17partition_subalgoE4EjNS0_10empty_typeEbEEZZNS1_14partition_implILS8_4ELb0ES6_15HIP_vector_typeIjLj2EENS0_17counting_iteratorIjlEEPS9_SG_NS0_5tupleIJPjSI_NS0_16reverse_iteratorISI_EEEEENSH_IJSG_SG_SG_EEES9_SI_JZNS1_25segmented_radix_sort_implINS0_14default_configELb0EPKfPfPKlPlN2at6native12_GLOBAL__N_18offset_tEEE10hipError_tPvRmT1_PNSt15iterator_traitsIS12_E10value_typeET2_T3_PNS13_IS18_E10value_typeET4_jRbjT5_S1E_jjP12ihipStream_tbEUljE_ZNSN_ISO_Lb0ESQ_SR_ST_SU_SY_EESZ_S10_S11_S12_S16_S17_S18_S1B_S1C_jS1D_jS1E_S1E_jjS1G_bEUljE0_EEESZ_S10_S11_S18_S1C_S1E_T6_T7_T9_mT8_S1G_bDpT10_ENKUlT_T0_E_clISt17integral_constantIbLb1EES1U_EEDaS1P_S1Q_EUlS1P_E_NS1_11comp_targetILNS1_3genE8ELNS1_11target_archE1030ELNS1_3gpuE2ELNS1_3repE0EEENS1_30default_config_static_selectorELNS0_4arch9wavefront6targetE0EEEvS12_
; %bb.0:
	.section	.rodata,"a",@progbits
	.p2align	6, 0x0
	.amdhsa_kernel _ZN7rocprim17ROCPRIM_400000_NS6detail17trampoline_kernelINS0_13select_configILj256ELj13ELNS0_17block_load_methodE3ELS4_3ELS4_3ELNS0_20block_scan_algorithmE0ELj4294967295EEENS1_25partition_config_selectorILNS1_17partition_subalgoE4EjNS0_10empty_typeEbEEZZNS1_14partition_implILS8_4ELb0ES6_15HIP_vector_typeIjLj2EENS0_17counting_iteratorIjlEEPS9_SG_NS0_5tupleIJPjSI_NS0_16reverse_iteratorISI_EEEEENSH_IJSG_SG_SG_EEES9_SI_JZNS1_25segmented_radix_sort_implINS0_14default_configELb0EPKfPfPKlPlN2at6native12_GLOBAL__N_18offset_tEEE10hipError_tPvRmT1_PNSt15iterator_traitsIS12_E10value_typeET2_T3_PNS13_IS18_E10value_typeET4_jRbjT5_S1E_jjP12ihipStream_tbEUljE_ZNSN_ISO_Lb0ESQ_SR_ST_SU_SY_EESZ_S10_S11_S12_S16_S17_S18_S1B_S1C_jS1D_jS1E_S1E_jjS1G_bEUljE0_EEESZ_S10_S11_S18_S1C_S1E_T6_T7_T9_mT8_S1G_bDpT10_ENKUlT_T0_E_clISt17integral_constantIbLb1EES1U_EEDaS1P_S1Q_EUlS1P_E_NS1_11comp_targetILNS1_3genE8ELNS1_11target_archE1030ELNS1_3gpuE2ELNS1_3repE0EEENS1_30default_config_static_selectorELNS0_4arch9wavefront6targetE0EEEvS12_
		.amdhsa_group_segment_fixed_size 0
		.amdhsa_private_segment_fixed_size 0
		.amdhsa_kernarg_size 184
		.amdhsa_user_sgpr_count 2
		.amdhsa_user_sgpr_dispatch_ptr 0
		.amdhsa_user_sgpr_queue_ptr 0
		.amdhsa_user_sgpr_kernarg_segment_ptr 1
		.amdhsa_user_sgpr_dispatch_id 0
		.amdhsa_user_sgpr_kernarg_preload_length 0
		.amdhsa_user_sgpr_kernarg_preload_offset 0
		.amdhsa_user_sgpr_private_segment_size 0
		.amdhsa_wavefront_size32 1
		.amdhsa_uses_dynamic_stack 0
		.amdhsa_enable_private_segment 0
		.amdhsa_system_sgpr_workgroup_id_x 1
		.amdhsa_system_sgpr_workgroup_id_y 0
		.amdhsa_system_sgpr_workgroup_id_z 0
		.amdhsa_system_sgpr_workgroup_info 0
		.amdhsa_system_vgpr_workitem_id 0
		.amdhsa_next_free_vgpr 1
		.amdhsa_next_free_sgpr 1
		.amdhsa_named_barrier_count 0
		.amdhsa_reserve_vcc 0
		.amdhsa_float_round_mode_32 0
		.amdhsa_float_round_mode_16_64 0
		.amdhsa_float_denorm_mode_32 3
		.amdhsa_float_denorm_mode_16_64 3
		.amdhsa_fp16_overflow 0
		.amdhsa_memory_ordered 1
		.amdhsa_forward_progress 1
		.amdhsa_inst_pref_size 0
		.amdhsa_round_robin_scheduling 0
		.amdhsa_exception_fp_ieee_invalid_op 0
		.amdhsa_exception_fp_denorm_src 0
		.amdhsa_exception_fp_ieee_div_zero 0
		.amdhsa_exception_fp_ieee_overflow 0
		.amdhsa_exception_fp_ieee_underflow 0
		.amdhsa_exception_fp_ieee_inexact 0
		.amdhsa_exception_int_div_zero 0
	.end_amdhsa_kernel
	.section	.text._ZN7rocprim17ROCPRIM_400000_NS6detail17trampoline_kernelINS0_13select_configILj256ELj13ELNS0_17block_load_methodE3ELS4_3ELS4_3ELNS0_20block_scan_algorithmE0ELj4294967295EEENS1_25partition_config_selectorILNS1_17partition_subalgoE4EjNS0_10empty_typeEbEEZZNS1_14partition_implILS8_4ELb0ES6_15HIP_vector_typeIjLj2EENS0_17counting_iteratorIjlEEPS9_SG_NS0_5tupleIJPjSI_NS0_16reverse_iteratorISI_EEEEENSH_IJSG_SG_SG_EEES9_SI_JZNS1_25segmented_radix_sort_implINS0_14default_configELb0EPKfPfPKlPlN2at6native12_GLOBAL__N_18offset_tEEE10hipError_tPvRmT1_PNSt15iterator_traitsIS12_E10value_typeET2_T3_PNS13_IS18_E10value_typeET4_jRbjT5_S1E_jjP12ihipStream_tbEUljE_ZNSN_ISO_Lb0ESQ_SR_ST_SU_SY_EESZ_S10_S11_S12_S16_S17_S18_S1B_S1C_jS1D_jS1E_S1E_jjS1G_bEUljE0_EEESZ_S10_S11_S18_S1C_S1E_T6_T7_T9_mT8_S1G_bDpT10_ENKUlT_T0_E_clISt17integral_constantIbLb1EES1U_EEDaS1P_S1Q_EUlS1P_E_NS1_11comp_targetILNS1_3genE8ELNS1_11target_archE1030ELNS1_3gpuE2ELNS1_3repE0EEENS1_30default_config_static_selectorELNS0_4arch9wavefront6targetE0EEEvS12_,"axG",@progbits,_ZN7rocprim17ROCPRIM_400000_NS6detail17trampoline_kernelINS0_13select_configILj256ELj13ELNS0_17block_load_methodE3ELS4_3ELS4_3ELNS0_20block_scan_algorithmE0ELj4294967295EEENS1_25partition_config_selectorILNS1_17partition_subalgoE4EjNS0_10empty_typeEbEEZZNS1_14partition_implILS8_4ELb0ES6_15HIP_vector_typeIjLj2EENS0_17counting_iteratorIjlEEPS9_SG_NS0_5tupleIJPjSI_NS0_16reverse_iteratorISI_EEEEENSH_IJSG_SG_SG_EEES9_SI_JZNS1_25segmented_radix_sort_implINS0_14default_configELb0EPKfPfPKlPlN2at6native12_GLOBAL__N_18offset_tEEE10hipError_tPvRmT1_PNSt15iterator_traitsIS12_E10value_typeET2_T3_PNS13_IS18_E10value_typeET4_jRbjT5_S1E_jjP12ihipStream_tbEUljE_ZNSN_ISO_Lb0ESQ_SR_ST_SU_SY_EESZ_S10_S11_S12_S16_S17_S18_S1B_S1C_jS1D_jS1E_S1E_jjS1G_bEUljE0_EEESZ_S10_S11_S18_S1C_S1E_T6_T7_T9_mT8_S1G_bDpT10_ENKUlT_T0_E_clISt17integral_constantIbLb1EES1U_EEDaS1P_S1Q_EUlS1P_E_NS1_11comp_targetILNS1_3genE8ELNS1_11target_archE1030ELNS1_3gpuE2ELNS1_3repE0EEENS1_30default_config_static_selectorELNS0_4arch9wavefront6targetE0EEEvS12_,comdat
.Lfunc_end1372:
	.size	_ZN7rocprim17ROCPRIM_400000_NS6detail17trampoline_kernelINS0_13select_configILj256ELj13ELNS0_17block_load_methodE3ELS4_3ELS4_3ELNS0_20block_scan_algorithmE0ELj4294967295EEENS1_25partition_config_selectorILNS1_17partition_subalgoE4EjNS0_10empty_typeEbEEZZNS1_14partition_implILS8_4ELb0ES6_15HIP_vector_typeIjLj2EENS0_17counting_iteratorIjlEEPS9_SG_NS0_5tupleIJPjSI_NS0_16reverse_iteratorISI_EEEEENSH_IJSG_SG_SG_EEES9_SI_JZNS1_25segmented_radix_sort_implINS0_14default_configELb0EPKfPfPKlPlN2at6native12_GLOBAL__N_18offset_tEEE10hipError_tPvRmT1_PNSt15iterator_traitsIS12_E10value_typeET2_T3_PNS13_IS18_E10value_typeET4_jRbjT5_S1E_jjP12ihipStream_tbEUljE_ZNSN_ISO_Lb0ESQ_SR_ST_SU_SY_EESZ_S10_S11_S12_S16_S17_S18_S1B_S1C_jS1D_jS1E_S1E_jjS1G_bEUljE0_EEESZ_S10_S11_S18_S1C_S1E_T6_T7_T9_mT8_S1G_bDpT10_ENKUlT_T0_E_clISt17integral_constantIbLb1EES1U_EEDaS1P_S1Q_EUlS1P_E_NS1_11comp_targetILNS1_3genE8ELNS1_11target_archE1030ELNS1_3gpuE2ELNS1_3repE0EEENS1_30default_config_static_selectorELNS0_4arch9wavefront6targetE0EEEvS12_, .Lfunc_end1372-_ZN7rocprim17ROCPRIM_400000_NS6detail17trampoline_kernelINS0_13select_configILj256ELj13ELNS0_17block_load_methodE3ELS4_3ELS4_3ELNS0_20block_scan_algorithmE0ELj4294967295EEENS1_25partition_config_selectorILNS1_17partition_subalgoE4EjNS0_10empty_typeEbEEZZNS1_14partition_implILS8_4ELb0ES6_15HIP_vector_typeIjLj2EENS0_17counting_iteratorIjlEEPS9_SG_NS0_5tupleIJPjSI_NS0_16reverse_iteratorISI_EEEEENSH_IJSG_SG_SG_EEES9_SI_JZNS1_25segmented_radix_sort_implINS0_14default_configELb0EPKfPfPKlPlN2at6native12_GLOBAL__N_18offset_tEEE10hipError_tPvRmT1_PNSt15iterator_traitsIS12_E10value_typeET2_T3_PNS13_IS18_E10value_typeET4_jRbjT5_S1E_jjP12ihipStream_tbEUljE_ZNSN_ISO_Lb0ESQ_SR_ST_SU_SY_EESZ_S10_S11_S12_S16_S17_S18_S1B_S1C_jS1D_jS1E_S1E_jjS1G_bEUljE0_EEESZ_S10_S11_S18_S1C_S1E_T6_T7_T9_mT8_S1G_bDpT10_ENKUlT_T0_E_clISt17integral_constantIbLb1EES1U_EEDaS1P_S1Q_EUlS1P_E_NS1_11comp_targetILNS1_3genE8ELNS1_11target_archE1030ELNS1_3gpuE2ELNS1_3repE0EEENS1_30default_config_static_selectorELNS0_4arch9wavefront6targetE0EEEvS12_
                                        ; -- End function
	.set _ZN7rocprim17ROCPRIM_400000_NS6detail17trampoline_kernelINS0_13select_configILj256ELj13ELNS0_17block_load_methodE3ELS4_3ELS4_3ELNS0_20block_scan_algorithmE0ELj4294967295EEENS1_25partition_config_selectorILNS1_17partition_subalgoE4EjNS0_10empty_typeEbEEZZNS1_14partition_implILS8_4ELb0ES6_15HIP_vector_typeIjLj2EENS0_17counting_iteratorIjlEEPS9_SG_NS0_5tupleIJPjSI_NS0_16reverse_iteratorISI_EEEEENSH_IJSG_SG_SG_EEES9_SI_JZNS1_25segmented_radix_sort_implINS0_14default_configELb0EPKfPfPKlPlN2at6native12_GLOBAL__N_18offset_tEEE10hipError_tPvRmT1_PNSt15iterator_traitsIS12_E10value_typeET2_T3_PNS13_IS18_E10value_typeET4_jRbjT5_S1E_jjP12ihipStream_tbEUljE_ZNSN_ISO_Lb0ESQ_SR_ST_SU_SY_EESZ_S10_S11_S12_S16_S17_S18_S1B_S1C_jS1D_jS1E_S1E_jjS1G_bEUljE0_EEESZ_S10_S11_S18_S1C_S1E_T6_T7_T9_mT8_S1G_bDpT10_ENKUlT_T0_E_clISt17integral_constantIbLb1EES1U_EEDaS1P_S1Q_EUlS1P_E_NS1_11comp_targetILNS1_3genE8ELNS1_11target_archE1030ELNS1_3gpuE2ELNS1_3repE0EEENS1_30default_config_static_selectorELNS0_4arch9wavefront6targetE0EEEvS12_.num_vgpr, 0
	.set _ZN7rocprim17ROCPRIM_400000_NS6detail17trampoline_kernelINS0_13select_configILj256ELj13ELNS0_17block_load_methodE3ELS4_3ELS4_3ELNS0_20block_scan_algorithmE0ELj4294967295EEENS1_25partition_config_selectorILNS1_17partition_subalgoE4EjNS0_10empty_typeEbEEZZNS1_14partition_implILS8_4ELb0ES6_15HIP_vector_typeIjLj2EENS0_17counting_iteratorIjlEEPS9_SG_NS0_5tupleIJPjSI_NS0_16reverse_iteratorISI_EEEEENSH_IJSG_SG_SG_EEES9_SI_JZNS1_25segmented_radix_sort_implINS0_14default_configELb0EPKfPfPKlPlN2at6native12_GLOBAL__N_18offset_tEEE10hipError_tPvRmT1_PNSt15iterator_traitsIS12_E10value_typeET2_T3_PNS13_IS18_E10value_typeET4_jRbjT5_S1E_jjP12ihipStream_tbEUljE_ZNSN_ISO_Lb0ESQ_SR_ST_SU_SY_EESZ_S10_S11_S12_S16_S17_S18_S1B_S1C_jS1D_jS1E_S1E_jjS1G_bEUljE0_EEESZ_S10_S11_S18_S1C_S1E_T6_T7_T9_mT8_S1G_bDpT10_ENKUlT_T0_E_clISt17integral_constantIbLb1EES1U_EEDaS1P_S1Q_EUlS1P_E_NS1_11comp_targetILNS1_3genE8ELNS1_11target_archE1030ELNS1_3gpuE2ELNS1_3repE0EEENS1_30default_config_static_selectorELNS0_4arch9wavefront6targetE0EEEvS12_.num_agpr, 0
	.set _ZN7rocprim17ROCPRIM_400000_NS6detail17trampoline_kernelINS0_13select_configILj256ELj13ELNS0_17block_load_methodE3ELS4_3ELS4_3ELNS0_20block_scan_algorithmE0ELj4294967295EEENS1_25partition_config_selectorILNS1_17partition_subalgoE4EjNS0_10empty_typeEbEEZZNS1_14partition_implILS8_4ELb0ES6_15HIP_vector_typeIjLj2EENS0_17counting_iteratorIjlEEPS9_SG_NS0_5tupleIJPjSI_NS0_16reverse_iteratorISI_EEEEENSH_IJSG_SG_SG_EEES9_SI_JZNS1_25segmented_radix_sort_implINS0_14default_configELb0EPKfPfPKlPlN2at6native12_GLOBAL__N_18offset_tEEE10hipError_tPvRmT1_PNSt15iterator_traitsIS12_E10value_typeET2_T3_PNS13_IS18_E10value_typeET4_jRbjT5_S1E_jjP12ihipStream_tbEUljE_ZNSN_ISO_Lb0ESQ_SR_ST_SU_SY_EESZ_S10_S11_S12_S16_S17_S18_S1B_S1C_jS1D_jS1E_S1E_jjS1G_bEUljE0_EEESZ_S10_S11_S18_S1C_S1E_T6_T7_T9_mT8_S1G_bDpT10_ENKUlT_T0_E_clISt17integral_constantIbLb1EES1U_EEDaS1P_S1Q_EUlS1P_E_NS1_11comp_targetILNS1_3genE8ELNS1_11target_archE1030ELNS1_3gpuE2ELNS1_3repE0EEENS1_30default_config_static_selectorELNS0_4arch9wavefront6targetE0EEEvS12_.numbered_sgpr, 0
	.set _ZN7rocprim17ROCPRIM_400000_NS6detail17trampoline_kernelINS0_13select_configILj256ELj13ELNS0_17block_load_methodE3ELS4_3ELS4_3ELNS0_20block_scan_algorithmE0ELj4294967295EEENS1_25partition_config_selectorILNS1_17partition_subalgoE4EjNS0_10empty_typeEbEEZZNS1_14partition_implILS8_4ELb0ES6_15HIP_vector_typeIjLj2EENS0_17counting_iteratorIjlEEPS9_SG_NS0_5tupleIJPjSI_NS0_16reverse_iteratorISI_EEEEENSH_IJSG_SG_SG_EEES9_SI_JZNS1_25segmented_radix_sort_implINS0_14default_configELb0EPKfPfPKlPlN2at6native12_GLOBAL__N_18offset_tEEE10hipError_tPvRmT1_PNSt15iterator_traitsIS12_E10value_typeET2_T3_PNS13_IS18_E10value_typeET4_jRbjT5_S1E_jjP12ihipStream_tbEUljE_ZNSN_ISO_Lb0ESQ_SR_ST_SU_SY_EESZ_S10_S11_S12_S16_S17_S18_S1B_S1C_jS1D_jS1E_S1E_jjS1G_bEUljE0_EEESZ_S10_S11_S18_S1C_S1E_T6_T7_T9_mT8_S1G_bDpT10_ENKUlT_T0_E_clISt17integral_constantIbLb1EES1U_EEDaS1P_S1Q_EUlS1P_E_NS1_11comp_targetILNS1_3genE8ELNS1_11target_archE1030ELNS1_3gpuE2ELNS1_3repE0EEENS1_30default_config_static_selectorELNS0_4arch9wavefront6targetE0EEEvS12_.num_named_barrier, 0
	.set _ZN7rocprim17ROCPRIM_400000_NS6detail17trampoline_kernelINS0_13select_configILj256ELj13ELNS0_17block_load_methodE3ELS4_3ELS4_3ELNS0_20block_scan_algorithmE0ELj4294967295EEENS1_25partition_config_selectorILNS1_17partition_subalgoE4EjNS0_10empty_typeEbEEZZNS1_14partition_implILS8_4ELb0ES6_15HIP_vector_typeIjLj2EENS0_17counting_iteratorIjlEEPS9_SG_NS0_5tupleIJPjSI_NS0_16reverse_iteratorISI_EEEEENSH_IJSG_SG_SG_EEES9_SI_JZNS1_25segmented_radix_sort_implINS0_14default_configELb0EPKfPfPKlPlN2at6native12_GLOBAL__N_18offset_tEEE10hipError_tPvRmT1_PNSt15iterator_traitsIS12_E10value_typeET2_T3_PNS13_IS18_E10value_typeET4_jRbjT5_S1E_jjP12ihipStream_tbEUljE_ZNSN_ISO_Lb0ESQ_SR_ST_SU_SY_EESZ_S10_S11_S12_S16_S17_S18_S1B_S1C_jS1D_jS1E_S1E_jjS1G_bEUljE0_EEESZ_S10_S11_S18_S1C_S1E_T6_T7_T9_mT8_S1G_bDpT10_ENKUlT_T0_E_clISt17integral_constantIbLb1EES1U_EEDaS1P_S1Q_EUlS1P_E_NS1_11comp_targetILNS1_3genE8ELNS1_11target_archE1030ELNS1_3gpuE2ELNS1_3repE0EEENS1_30default_config_static_selectorELNS0_4arch9wavefront6targetE0EEEvS12_.private_seg_size, 0
	.set _ZN7rocprim17ROCPRIM_400000_NS6detail17trampoline_kernelINS0_13select_configILj256ELj13ELNS0_17block_load_methodE3ELS4_3ELS4_3ELNS0_20block_scan_algorithmE0ELj4294967295EEENS1_25partition_config_selectorILNS1_17partition_subalgoE4EjNS0_10empty_typeEbEEZZNS1_14partition_implILS8_4ELb0ES6_15HIP_vector_typeIjLj2EENS0_17counting_iteratorIjlEEPS9_SG_NS0_5tupleIJPjSI_NS0_16reverse_iteratorISI_EEEEENSH_IJSG_SG_SG_EEES9_SI_JZNS1_25segmented_radix_sort_implINS0_14default_configELb0EPKfPfPKlPlN2at6native12_GLOBAL__N_18offset_tEEE10hipError_tPvRmT1_PNSt15iterator_traitsIS12_E10value_typeET2_T3_PNS13_IS18_E10value_typeET4_jRbjT5_S1E_jjP12ihipStream_tbEUljE_ZNSN_ISO_Lb0ESQ_SR_ST_SU_SY_EESZ_S10_S11_S12_S16_S17_S18_S1B_S1C_jS1D_jS1E_S1E_jjS1G_bEUljE0_EEESZ_S10_S11_S18_S1C_S1E_T6_T7_T9_mT8_S1G_bDpT10_ENKUlT_T0_E_clISt17integral_constantIbLb1EES1U_EEDaS1P_S1Q_EUlS1P_E_NS1_11comp_targetILNS1_3genE8ELNS1_11target_archE1030ELNS1_3gpuE2ELNS1_3repE0EEENS1_30default_config_static_selectorELNS0_4arch9wavefront6targetE0EEEvS12_.uses_vcc, 0
	.set _ZN7rocprim17ROCPRIM_400000_NS6detail17trampoline_kernelINS0_13select_configILj256ELj13ELNS0_17block_load_methodE3ELS4_3ELS4_3ELNS0_20block_scan_algorithmE0ELj4294967295EEENS1_25partition_config_selectorILNS1_17partition_subalgoE4EjNS0_10empty_typeEbEEZZNS1_14partition_implILS8_4ELb0ES6_15HIP_vector_typeIjLj2EENS0_17counting_iteratorIjlEEPS9_SG_NS0_5tupleIJPjSI_NS0_16reverse_iteratorISI_EEEEENSH_IJSG_SG_SG_EEES9_SI_JZNS1_25segmented_radix_sort_implINS0_14default_configELb0EPKfPfPKlPlN2at6native12_GLOBAL__N_18offset_tEEE10hipError_tPvRmT1_PNSt15iterator_traitsIS12_E10value_typeET2_T3_PNS13_IS18_E10value_typeET4_jRbjT5_S1E_jjP12ihipStream_tbEUljE_ZNSN_ISO_Lb0ESQ_SR_ST_SU_SY_EESZ_S10_S11_S12_S16_S17_S18_S1B_S1C_jS1D_jS1E_S1E_jjS1G_bEUljE0_EEESZ_S10_S11_S18_S1C_S1E_T6_T7_T9_mT8_S1G_bDpT10_ENKUlT_T0_E_clISt17integral_constantIbLb1EES1U_EEDaS1P_S1Q_EUlS1P_E_NS1_11comp_targetILNS1_3genE8ELNS1_11target_archE1030ELNS1_3gpuE2ELNS1_3repE0EEENS1_30default_config_static_selectorELNS0_4arch9wavefront6targetE0EEEvS12_.uses_flat_scratch, 0
	.set _ZN7rocprim17ROCPRIM_400000_NS6detail17trampoline_kernelINS0_13select_configILj256ELj13ELNS0_17block_load_methodE3ELS4_3ELS4_3ELNS0_20block_scan_algorithmE0ELj4294967295EEENS1_25partition_config_selectorILNS1_17partition_subalgoE4EjNS0_10empty_typeEbEEZZNS1_14partition_implILS8_4ELb0ES6_15HIP_vector_typeIjLj2EENS0_17counting_iteratorIjlEEPS9_SG_NS0_5tupleIJPjSI_NS0_16reverse_iteratorISI_EEEEENSH_IJSG_SG_SG_EEES9_SI_JZNS1_25segmented_radix_sort_implINS0_14default_configELb0EPKfPfPKlPlN2at6native12_GLOBAL__N_18offset_tEEE10hipError_tPvRmT1_PNSt15iterator_traitsIS12_E10value_typeET2_T3_PNS13_IS18_E10value_typeET4_jRbjT5_S1E_jjP12ihipStream_tbEUljE_ZNSN_ISO_Lb0ESQ_SR_ST_SU_SY_EESZ_S10_S11_S12_S16_S17_S18_S1B_S1C_jS1D_jS1E_S1E_jjS1G_bEUljE0_EEESZ_S10_S11_S18_S1C_S1E_T6_T7_T9_mT8_S1G_bDpT10_ENKUlT_T0_E_clISt17integral_constantIbLb1EES1U_EEDaS1P_S1Q_EUlS1P_E_NS1_11comp_targetILNS1_3genE8ELNS1_11target_archE1030ELNS1_3gpuE2ELNS1_3repE0EEENS1_30default_config_static_selectorELNS0_4arch9wavefront6targetE0EEEvS12_.has_dyn_sized_stack, 0
	.set _ZN7rocprim17ROCPRIM_400000_NS6detail17trampoline_kernelINS0_13select_configILj256ELj13ELNS0_17block_load_methodE3ELS4_3ELS4_3ELNS0_20block_scan_algorithmE0ELj4294967295EEENS1_25partition_config_selectorILNS1_17partition_subalgoE4EjNS0_10empty_typeEbEEZZNS1_14partition_implILS8_4ELb0ES6_15HIP_vector_typeIjLj2EENS0_17counting_iteratorIjlEEPS9_SG_NS0_5tupleIJPjSI_NS0_16reverse_iteratorISI_EEEEENSH_IJSG_SG_SG_EEES9_SI_JZNS1_25segmented_radix_sort_implINS0_14default_configELb0EPKfPfPKlPlN2at6native12_GLOBAL__N_18offset_tEEE10hipError_tPvRmT1_PNSt15iterator_traitsIS12_E10value_typeET2_T3_PNS13_IS18_E10value_typeET4_jRbjT5_S1E_jjP12ihipStream_tbEUljE_ZNSN_ISO_Lb0ESQ_SR_ST_SU_SY_EESZ_S10_S11_S12_S16_S17_S18_S1B_S1C_jS1D_jS1E_S1E_jjS1G_bEUljE0_EEESZ_S10_S11_S18_S1C_S1E_T6_T7_T9_mT8_S1G_bDpT10_ENKUlT_T0_E_clISt17integral_constantIbLb1EES1U_EEDaS1P_S1Q_EUlS1P_E_NS1_11comp_targetILNS1_3genE8ELNS1_11target_archE1030ELNS1_3gpuE2ELNS1_3repE0EEENS1_30default_config_static_selectorELNS0_4arch9wavefront6targetE0EEEvS12_.has_recursion, 0
	.set _ZN7rocprim17ROCPRIM_400000_NS6detail17trampoline_kernelINS0_13select_configILj256ELj13ELNS0_17block_load_methodE3ELS4_3ELS4_3ELNS0_20block_scan_algorithmE0ELj4294967295EEENS1_25partition_config_selectorILNS1_17partition_subalgoE4EjNS0_10empty_typeEbEEZZNS1_14partition_implILS8_4ELb0ES6_15HIP_vector_typeIjLj2EENS0_17counting_iteratorIjlEEPS9_SG_NS0_5tupleIJPjSI_NS0_16reverse_iteratorISI_EEEEENSH_IJSG_SG_SG_EEES9_SI_JZNS1_25segmented_radix_sort_implINS0_14default_configELb0EPKfPfPKlPlN2at6native12_GLOBAL__N_18offset_tEEE10hipError_tPvRmT1_PNSt15iterator_traitsIS12_E10value_typeET2_T3_PNS13_IS18_E10value_typeET4_jRbjT5_S1E_jjP12ihipStream_tbEUljE_ZNSN_ISO_Lb0ESQ_SR_ST_SU_SY_EESZ_S10_S11_S12_S16_S17_S18_S1B_S1C_jS1D_jS1E_S1E_jjS1G_bEUljE0_EEESZ_S10_S11_S18_S1C_S1E_T6_T7_T9_mT8_S1G_bDpT10_ENKUlT_T0_E_clISt17integral_constantIbLb1EES1U_EEDaS1P_S1Q_EUlS1P_E_NS1_11comp_targetILNS1_3genE8ELNS1_11target_archE1030ELNS1_3gpuE2ELNS1_3repE0EEENS1_30default_config_static_selectorELNS0_4arch9wavefront6targetE0EEEvS12_.has_indirect_call, 0
	.section	.AMDGPU.csdata,"",@progbits
; Kernel info:
; codeLenInByte = 0
; TotalNumSgprs: 0
; NumVgprs: 0
; ScratchSize: 0
; MemoryBound: 0
; FloatMode: 240
; IeeeMode: 1
; LDSByteSize: 0 bytes/workgroup (compile time only)
; SGPRBlocks: 0
; VGPRBlocks: 0
; NumSGPRsForWavesPerEU: 1
; NumVGPRsForWavesPerEU: 1
; NamedBarCnt: 0
; Occupancy: 16
; WaveLimiterHint : 0
; COMPUTE_PGM_RSRC2:SCRATCH_EN: 0
; COMPUTE_PGM_RSRC2:USER_SGPR: 2
; COMPUTE_PGM_RSRC2:TRAP_HANDLER: 0
; COMPUTE_PGM_RSRC2:TGID_X_EN: 1
; COMPUTE_PGM_RSRC2:TGID_Y_EN: 0
; COMPUTE_PGM_RSRC2:TGID_Z_EN: 0
; COMPUTE_PGM_RSRC2:TIDIG_COMP_CNT: 0
	.section	.text._ZN7rocprim17ROCPRIM_400000_NS6detail17trampoline_kernelINS0_13select_configILj256ELj13ELNS0_17block_load_methodE3ELS4_3ELS4_3ELNS0_20block_scan_algorithmE0ELj4294967295EEENS1_25partition_config_selectorILNS1_17partition_subalgoE4EjNS0_10empty_typeEbEEZZNS1_14partition_implILS8_4ELb0ES6_15HIP_vector_typeIjLj2EENS0_17counting_iteratorIjlEEPS9_SG_NS0_5tupleIJPjSI_NS0_16reverse_iteratorISI_EEEEENSH_IJSG_SG_SG_EEES9_SI_JZNS1_25segmented_radix_sort_implINS0_14default_configELb0EPKfPfPKlPlN2at6native12_GLOBAL__N_18offset_tEEE10hipError_tPvRmT1_PNSt15iterator_traitsIS12_E10value_typeET2_T3_PNS13_IS18_E10value_typeET4_jRbjT5_S1E_jjP12ihipStream_tbEUljE_ZNSN_ISO_Lb0ESQ_SR_ST_SU_SY_EESZ_S10_S11_S12_S16_S17_S18_S1B_S1C_jS1D_jS1E_S1E_jjS1G_bEUljE0_EEESZ_S10_S11_S18_S1C_S1E_T6_T7_T9_mT8_S1G_bDpT10_ENKUlT_T0_E_clISt17integral_constantIbLb1EES1T_IbLb0EEEEDaS1P_S1Q_EUlS1P_E_NS1_11comp_targetILNS1_3genE0ELNS1_11target_archE4294967295ELNS1_3gpuE0ELNS1_3repE0EEENS1_30default_config_static_selectorELNS0_4arch9wavefront6targetE0EEEvS12_,"axG",@progbits,_ZN7rocprim17ROCPRIM_400000_NS6detail17trampoline_kernelINS0_13select_configILj256ELj13ELNS0_17block_load_methodE3ELS4_3ELS4_3ELNS0_20block_scan_algorithmE0ELj4294967295EEENS1_25partition_config_selectorILNS1_17partition_subalgoE4EjNS0_10empty_typeEbEEZZNS1_14partition_implILS8_4ELb0ES6_15HIP_vector_typeIjLj2EENS0_17counting_iteratorIjlEEPS9_SG_NS0_5tupleIJPjSI_NS0_16reverse_iteratorISI_EEEEENSH_IJSG_SG_SG_EEES9_SI_JZNS1_25segmented_radix_sort_implINS0_14default_configELb0EPKfPfPKlPlN2at6native12_GLOBAL__N_18offset_tEEE10hipError_tPvRmT1_PNSt15iterator_traitsIS12_E10value_typeET2_T3_PNS13_IS18_E10value_typeET4_jRbjT5_S1E_jjP12ihipStream_tbEUljE_ZNSN_ISO_Lb0ESQ_SR_ST_SU_SY_EESZ_S10_S11_S12_S16_S17_S18_S1B_S1C_jS1D_jS1E_S1E_jjS1G_bEUljE0_EEESZ_S10_S11_S18_S1C_S1E_T6_T7_T9_mT8_S1G_bDpT10_ENKUlT_T0_E_clISt17integral_constantIbLb1EES1T_IbLb0EEEEDaS1P_S1Q_EUlS1P_E_NS1_11comp_targetILNS1_3genE0ELNS1_11target_archE4294967295ELNS1_3gpuE0ELNS1_3repE0EEENS1_30default_config_static_selectorELNS0_4arch9wavefront6targetE0EEEvS12_,comdat
	.globl	_ZN7rocprim17ROCPRIM_400000_NS6detail17trampoline_kernelINS0_13select_configILj256ELj13ELNS0_17block_load_methodE3ELS4_3ELS4_3ELNS0_20block_scan_algorithmE0ELj4294967295EEENS1_25partition_config_selectorILNS1_17partition_subalgoE4EjNS0_10empty_typeEbEEZZNS1_14partition_implILS8_4ELb0ES6_15HIP_vector_typeIjLj2EENS0_17counting_iteratorIjlEEPS9_SG_NS0_5tupleIJPjSI_NS0_16reverse_iteratorISI_EEEEENSH_IJSG_SG_SG_EEES9_SI_JZNS1_25segmented_radix_sort_implINS0_14default_configELb0EPKfPfPKlPlN2at6native12_GLOBAL__N_18offset_tEEE10hipError_tPvRmT1_PNSt15iterator_traitsIS12_E10value_typeET2_T3_PNS13_IS18_E10value_typeET4_jRbjT5_S1E_jjP12ihipStream_tbEUljE_ZNSN_ISO_Lb0ESQ_SR_ST_SU_SY_EESZ_S10_S11_S12_S16_S17_S18_S1B_S1C_jS1D_jS1E_S1E_jjS1G_bEUljE0_EEESZ_S10_S11_S18_S1C_S1E_T6_T7_T9_mT8_S1G_bDpT10_ENKUlT_T0_E_clISt17integral_constantIbLb1EES1T_IbLb0EEEEDaS1P_S1Q_EUlS1P_E_NS1_11comp_targetILNS1_3genE0ELNS1_11target_archE4294967295ELNS1_3gpuE0ELNS1_3repE0EEENS1_30default_config_static_selectorELNS0_4arch9wavefront6targetE0EEEvS12_ ; -- Begin function _ZN7rocprim17ROCPRIM_400000_NS6detail17trampoline_kernelINS0_13select_configILj256ELj13ELNS0_17block_load_methodE3ELS4_3ELS4_3ELNS0_20block_scan_algorithmE0ELj4294967295EEENS1_25partition_config_selectorILNS1_17partition_subalgoE4EjNS0_10empty_typeEbEEZZNS1_14partition_implILS8_4ELb0ES6_15HIP_vector_typeIjLj2EENS0_17counting_iteratorIjlEEPS9_SG_NS0_5tupleIJPjSI_NS0_16reverse_iteratorISI_EEEEENSH_IJSG_SG_SG_EEES9_SI_JZNS1_25segmented_radix_sort_implINS0_14default_configELb0EPKfPfPKlPlN2at6native12_GLOBAL__N_18offset_tEEE10hipError_tPvRmT1_PNSt15iterator_traitsIS12_E10value_typeET2_T3_PNS13_IS18_E10value_typeET4_jRbjT5_S1E_jjP12ihipStream_tbEUljE_ZNSN_ISO_Lb0ESQ_SR_ST_SU_SY_EESZ_S10_S11_S12_S16_S17_S18_S1B_S1C_jS1D_jS1E_S1E_jjS1G_bEUljE0_EEESZ_S10_S11_S18_S1C_S1E_T6_T7_T9_mT8_S1G_bDpT10_ENKUlT_T0_E_clISt17integral_constantIbLb1EES1T_IbLb0EEEEDaS1P_S1Q_EUlS1P_E_NS1_11comp_targetILNS1_3genE0ELNS1_11target_archE4294967295ELNS1_3gpuE0ELNS1_3repE0EEENS1_30default_config_static_selectorELNS0_4arch9wavefront6targetE0EEEvS12_
	.p2align	8
	.type	_ZN7rocprim17ROCPRIM_400000_NS6detail17trampoline_kernelINS0_13select_configILj256ELj13ELNS0_17block_load_methodE3ELS4_3ELS4_3ELNS0_20block_scan_algorithmE0ELj4294967295EEENS1_25partition_config_selectorILNS1_17partition_subalgoE4EjNS0_10empty_typeEbEEZZNS1_14partition_implILS8_4ELb0ES6_15HIP_vector_typeIjLj2EENS0_17counting_iteratorIjlEEPS9_SG_NS0_5tupleIJPjSI_NS0_16reverse_iteratorISI_EEEEENSH_IJSG_SG_SG_EEES9_SI_JZNS1_25segmented_radix_sort_implINS0_14default_configELb0EPKfPfPKlPlN2at6native12_GLOBAL__N_18offset_tEEE10hipError_tPvRmT1_PNSt15iterator_traitsIS12_E10value_typeET2_T3_PNS13_IS18_E10value_typeET4_jRbjT5_S1E_jjP12ihipStream_tbEUljE_ZNSN_ISO_Lb0ESQ_SR_ST_SU_SY_EESZ_S10_S11_S12_S16_S17_S18_S1B_S1C_jS1D_jS1E_S1E_jjS1G_bEUljE0_EEESZ_S10_S11_S18_S1C_S1E_T6_T7_T9_mT8_S1G_bDpT10_ENKUlT_T0_E_clISt17integral_constantIbLb1EES1T_IbLb0EEEEDaS1P_S1Q_EUlS1P_E_NS1_11comp_targetILNS1_3genE0ELNS1_11target_archE4294967295ELNS1_3gpuE0ELNS1_3repE0EEENS1_30default_config_static_selectorELNS0_4arch9wavefront6targetE0EEEvS12_,@function
_ZN7rocprim17ROCPRIM_400000_NS6detail17trampoline_kernelINS0_13select_configILj256ELj13ELNS0_17block_load_methodE3ELS4_3ELS4_3ELNS0_20block_scan_algorithmE0ELj4294967295EEENS1_25partition_config_selectorILNS1_17partition_subalgoE4EjNS0_10empty_typeEbEEZZNS1_14partition_implILS8_4ELb0ES6_15HIP_vector_typeIjLj2EENS0_17counting_iteratorIjlEEPS9_SG_NS0_5tupleIJPjSI_NS0_16reverse_iteratorISI_EEEEENSH_IJSG_SG_SG_EEES9_SI_JZNS1_25segmented_radix_sort_implINS0_14default_configELb0EPKfPfPKlPlN2at6native12_GLOBAL__N_18offset_tEEE10hipError_tPvRmT1_PNSt15iterator_traitsIS12_E10value_typeET2_T3_PNS13_IS18_E10value_typeET4_jRbjT5_S1E_jjP12ihipStream_tbEUljE_ZNSN_ISO_Lb0ESQ_SR_ST_SU_SY_EESZ_S10_S11_S12_S16_S17_S18_S1B_S1C_jS1D_jS1E_S1E_jjS1G_bEUljE0_EEESZ_S10_S11_S18_S1C_S1E_T6_T7_T9_mT8_S1G_bDpT10_ENKUlT_T0_E_clISt17integral_constantIbLb1EES1T_IbLb0EEEEDaS1P_S1Q_EUlS1P_E_NS1_11comp_targetILNS1_3genE0ELNS1_11target_archE4294967295ELNS1_3gpuE0ELNS1_3repE0EEENS1_30default_config_static_selectorELNS0_4arch9wavefront6targetE0EEEvS12_: ; @_ZN7rocprim17ROCPRIM_400000_NS6detail17trampoline_kernelINS0_13select_configILj256ELj13ELNS0_17block_load_methodE3ELS4_3ELS4_3ELNS0_20block_scan_algorithmE0ELj4294967295EEENS1_25partition_config_selectorILNS1_17partition_subalgoE4EjNS0_10empty_typeEbEEZZNS1_14partition_implILS8_4ELb0ES6_15HIP_vector_typeIjLj2EENS0_17counting_iteratorIjlEEPS9_SG_NS0_5tupleIJPjSI_NS0_16reverse_iteratorISI_EEEEENSH_IJSG_SG_SG_EEES9_SI_JZNS1_25segmented_radix_sort_implINS0_14default_configELb0EPKfPfPKlPlN2at6native12_GLOBAL__N_18offset_tEEE10hipError_tPvRmT1_PNSt15iterator_traitsIS12_E10value_typeET2_T3_PNS13_IS18_E10value_typeET4_jRbjT5_S1E_jjP12ihipStream_tbEUljE_ZNSN_ISO_Lb0ESQ_SR_ST_SU_SY_EESZ_S10_S11_S12_S16_S17_S18_S1B_S1C_jS1D_jS1E_S1E_jjS1G_bEUljE0_EEESZ_S10_S11_S18_S1C_S1E_T6_T7_T9_mT8_S1G_bDpT10_ENKUlT_T0_E_clISt17integral_constantIbLb1EES1T_IbLb0EEEEDaS1P_S1Q_EUlS1P_E_NS1_11comp_targetILNS1_3genE0ELNS1_11target_archE4294967295ELNS1_3gpuE0ELNS1_3repE0EEENS1_30default_config_static_selectorELNS0_4arch9wavefront6targetE0EEEvS12_
; %bb.0:
	s_endpgm
	.section	.rodata,"a",@progbits
	.p2align	6, 0x0
	.amdhsa_kernel _ZN7rocprim17ROCPRIM_400000_NS6detail17trampoline_kernelINS0_13select_configILj256ELj13ELNS0_17block_load_methodE3ELS4_3ELS4_3ELNS0_20block_scan_algorithmE0ELj4294967295EEENS1_25partition_config_selectorILNS1_17partition_subalgoE4EjNS0_10empty_typeEbEEZZNS1_14partition_implILS8_4ELb0ES6_15HIP_vector_typeIjLj2EENS0_17counting_iteratorIjlEEPS9_SG_NS0_5tupleIJPjSI_NS0_16reverse_iteratorISI_EEEEENSH_IJSG_SG_SG_EEES9_SI_JZNS1_25segmented_radix_sort_implINS0_14default_configELb0EPKfPfPKlPlN2at6native12_GLOBAL__N_18offset_tEEE10hipError_tPvRmT1_PNSt15iterator_traitsIS12_E10value_typeET2_T3_PNS13_IS18_E10value_typeET4_jRbjT5_S1E_jjP12ihipStream_tbEUljE_ZNSN_ISO_Lb0ESQ_SR_ST_SU_SY_EESZ_S10_S11_S12_S16_S17_S18_S1B_S1C_jS1D_jS1E_S1E_jjS1G_bEUljE0_EEESZ_S10_S11_S18_S1C_S1E_T6_T7_T9_mT8_S1G_bDpT10_ENKUlT_T0_E_clISt17integral_constantIbLb1EES1T_IbLb0EEEEDaS1P_S1Q_EUlS1P_E_NS1_11comp_targetILNS1_3genE0ELNS1_11target_archE4294967295ELNS1_3gpuE0ELNS1_3repE0EEENS1_30default_config_static_selectorELNS0_4arch9wavefront6targetE0EEEvS12_
		.amdhsa_group_segment_fixed_size 0
		.amdhsa_private_segment_fixed_size 0
		.amdhsa_kernarg_size 176
		.amdhsa_user_sgpr_count 2
		.amdhsa_user_sgpr_dispatch_ptr 0
		.amdhsa_user_sgpr_queue_ptr 0
		.amdhsa_user_sgpr_kernarg_segment_ptr 1
		.amdhsa_user_sgpr_dispatch_id 0
		.amdhsa_user_sgpr_kernarg_preload_length 0
		.amdhsa_user_sgpr_kernarg_preload_offset 0
		.amdhsa_user_sgpr_private_segment_size 0
		.amdhsa_wavefront_size32 1
		.amdhsa_uses_dynamic_stack 0
		.amdhsa_enable_private_segment 0
		.amdhsa_system_sgpr_workgroup_id_x 1
		.amdhsa_system_sgpr_workgroup_id_y 0
		.amdhsa_system_sgpr_workgroup_id_z 0
		.amdhsa_system_sgpr_workgroup_info 0
		.amdhsa_system_vgpr_workitem_id 0
		.amdhsa_next_free_vgpr 1
		.amdhsa_next_free_sgpr 1
		.amdhsa_named_barrier_count 0
		.amdhsa_reserve_vcc 0
		.amdhsa_float_round_mode_32 0
		.amdhsa_float_round_mode_16_64 0
		.amdhsa_float_denorm_mode_32 3
		.amdhsa_float_denorm_mode_16_64 3
		.amdhsa_fp16_overflow 0
		.amdhsa_memory_ordered 1
		.amdhsa_forward_progress 1
		.amdhsa_inst_pref_size 1
		.amdhsa_round_robin_scheduling 0
		.amdhsa_exception_fp_ieee_invalid_op 0
		.amdhsa_exception_fp_denorm_src 0
		.amdhsa_exception_fp_ieee_div_zero 0
		.amdhsa_exception_fp_ieee_overflow 0
		.amdhsa_exception_fp_ieee_underflow 0
		.amdhsa_exception_fp_ieee_inexact 0
		.amdhsa_exception_int_div_zero 0
	.end_amdhsa_kernel
	.section	.text._ZN7rocprim17ROCPRIM_400000_NS6detail17trampoline_kernelINS0_13select_configILj256ELj13ELNS0_17block_load_methodE3ELS4_3ELS4_3ELNS0_20block_scan_algorithmE0ELj4294967295EEENS1_25partition_config_selectorILNS1_17partition_subalgoE4EjNS0_10empty_typeEbEEZZNS1_14partition_implILS8_4ELb0ES6_15HIP_vector_typeIjLj2EENS0_17counting_iteratorIjlEEPS9_SG_NS0_5tupleIJPjSI_NS0_16reverse_iteratorISI_EEEEENSH_IJSG_SG_SG_EEES9_SI_JZNS1_25segmented_radix_sort_implINS0_14default_configELb0EPKfPfPKlPlN2at6native12_GLOBAL__N_18offset_tEEE10hipError_tPvRmT1_PNSt15iterator_traitsIS12_E10value_typeET2_T3_PNS13_IS18_E10value_typeET4_jRbjT5_S1E_jjP12ihipStream_tbEUljE_ZNSN_ISO_Lb0ESQ_SR_ST_SU_SY_EESZ_S10_S11_S12_S16_S17_S18_S1B_S1C_jS1D_jS1E_S1E_jjS1G_bEUljE0_EEESZ_S10_S11_S18_S1C_S1E_T6_T7_T9_mT8_S1G_bDpT10_ENKUlT_T0_E_clISt17integral_constantIbLb1EES1T_IbLb0EEEEDaS1P_S1Q_EUlS1P_E_NS1_11comp_targetILNS1_3genE0ELNS1_11target_archE4294967295ELNS1_3gpuE0ELNS1_3repE0EEENS1_30default_config_static_selectorELNS0_4arch9wavefront6targetE0EEEvS12_,"axG",@progbits,_ZN7rocprim17ROCPRIM_400000_NS6detail17trampoline_kernelINS0_13select_configILj256ELj13ELNS0_17block_load_methodE3ELS4_3ELS4_3ELNS0_20block_scan_algorithmE0ELj4294967295EEENS1_25partition_config_selectorILNS1_17partition_subalgoE4EjNS0_10empty_typeEbEEZZNS1_14partition_implILS8_4ELb0ES6_15HIP_vector_typeIjLj2EENS0_17counting_iteratorIjlEEPS9_SG_NS0_5tupleIJPjSI_NS0_16reverse_iteratorISI_EEEEENSH_IJSG_SG_SG_EEES9_SI_JZNS1_25segmented_radix_sort_implINS0_14default_configELb0EPKfPfPKlPlN2at6native12_GLOBAL__N_18offset_tEEE10hipError_tPvRmT1_PNSt15iterator_traitsIS12_E10value_typeET2_T3_PNS13_IS18_E10value_typeET4_jRbjT5_S1E_jjP12ihipStream_tbEUljE_ZNSN_ISO_Lb0ESQ_SR_ST_SU_SY_EESZ_S10_S11_S12_S16_S17_S18_S1B_S1C_jS1D_jS1E_S1E_jjS1G_bEUljE0_EEESZ_S10_S11_S18_S1C_S1E_T6_T7_T9_mT8_S1G_bDpT10_ENKUlT_T0_E_clISt17integral_constantIbLb1EES1T_IbLb0EEEEDaS1P_S1Q_EUlS1P_E_NS1_11comp_targetILNS1_3genE0ELNS1_11target_archE4294967295ELNS1_3gpuE0ELNS1_3repE0EEENS1_30default_config_static_selectorELNS0_4arch9wavefront6targetE0EEEvS12_,comdat
.Lfunc_end1373:
	.size	_ZN7rocprim17ROCPRIM_400000_NS6detail17trampoline_kernelINS0_13select_configILj256ELj13ELNS0_17block_load_methodE3ELS4_3ELS4_3ELNS0_20block_scan_algorithmE0ELj4294967295EEENS1_25partition_config_selectorILNS1_17partition_subalgoE4EjNS0_10empty_typeEbEEZZNS1_14partition_implILS8_4ELb0ES6_15HIP_vector_typeIjLj2EENS0_17counting_iteratorIjlEEPS9_SG_NS0_5tupleIJPjSI_NS0_16reverse_iteratorISI_EEEEENSH_IJSG_SG_SG_EEES9_SI_JZNS1_25segmented_radix_sort_implINS0_14default_configELb0EPKfPfPKlPlN2at6native12_GLOBAL__N_18offset_tEEE10hipError_tPvRmT1_PNSt15iterator_traitsIS12_E10value_typeET2_T3_PNS13_IS18_E10value_typeET4_jRbjT5_S1E_jjP12ihipStream_tbEUljE_ZNSN_ISO_Lb0ESQ_SR_ST_SU_SY_EESZ_S10_S11_S12_S16_S17_S18_S1B_S1C_jS1D_jS1E_S1E_jjS1G_bEUljE0_EEESZ_S10_S11_S18_S1C_S1E_T6_T7_T9_mT8_S1G_bDpT10_ENKUlT_T0_E_clISt17integral_constantIbLb1EES1T_IbLb0EEEEDaS1P_S1Q_EUlS1P_E_NS1_11comp_targetILNS1_3genE0ELNS1_11target_archE4294967295ELNS1_3gpuE0ELNS1_3repE0EEENS1_30default_config_static_selectorELNS0_4arch9wavefront6targetE0EEEvS12_, .Lfunc_end1373-_ZN7rocprim17ROCPRIM_400000_NS6detail17trampoline_kernelINS0_13select_configILj256ELj13ELNS0_17block_load_methodE3ELS4_3ELS4_3ELNS0_20block_scan_algorithmE0ELj4294967295EEENS1_25partition_config_selectorILNS1_17partition_subalgoE4EjNS0_10empty_typeEbEEZZNS1_14partition_implILS8_4ELb0ES6_15HIP_vector_typeIjLj2EENS0_17counting_iteratorIjlEEPS9_SG_NS0_5tupleIJPjSI_NS0_16reverse_iteratorISI_EEEEENSH_IJSG_SG_SG_EEES9_SI_JZNS1_25segmented_radix_sort_implINS0_14default_configELb0EPKfPfPKlPlN2at6native12_GLOBAL__N_18offset_tEEE10hipError_tPvRmT1_PNSt15iterator_traitsIS12_E10value_typeET2_T3_PNS13_IS18_E10value_typeET4_jRbjT5_S1E_jjP12ihipStream_tbEUljE_ZNSN_ISO_Lb0ESQ_SR_ST_SU_SY_EESZ_S10_S11_S12_S16_S17_S18_S1B_S1C_jS1D_jS1E_S1E_jjS1G_bEUljE0_EEESZ_S10_S11_S18_S1C_S1E_T6_T7_T9_mT8_S1G_bDpT10_ENKUlT_T0_E_clISt17integral_constantIbLb1EES1T_IbLb0EEEEDaS1P_S1Q_EUlS1P_E_NS1_11comp_targetILNS1_3genE0ELNS1_11target_archE4294967295ELNS1_3gpuE0ELNS1_3repE0EEENS1_30default_config_static_selectorELNS0_4arch9wavefront6targetE0EEEvS12_
                                        ; -- End function
	.set _ZN7rocprim17ROCPRIM_400000_NS6detail17trampoline_kernelINS0_13select_configILj256ELj13ELNS0_17block_load_methodE3ELS4_3ELS4_3ELNS0_20block_scan_algorithmE0ELj4294967295EEENS1_25partition_config_selectorILNS1_17partition_subalgoE4EjNS0_10empty_typeEbEEZZNS1_14partition_implILS8_4ELb0ES6_15HIP_vector_typeIjLj2EENS0_17counting_iteratorIjlEEPS9_SG_NS0_5tupleIJPjSI_NS0_16reverse_iteratorISI_EEEEENSH_IJSG_SG_SG_EEES9_SI_JZNS1_25segmented_radix_sort_implINS0_14default_configELb0EPKfPfPKlPlN2at6native12_GLOBAL__N_18offset_tEEE10hipError_tPvRmT1_PNSt15iterator_traitsIS12_E10value_typeET2_T3_PNS13_IS18_E10value_typeET4_jRbjT5_S1E_jjP12ihipStream_tbEUljE_ZNSN_ISO_Lb0ESQ_SR_ST_SU_SY_EESZ_S10_S11_S12_S16_S17_S18_S1B_S1C_jS1D_jS1E_S1E_jjS1G_bEUljE0_EEESZ_S10_S11_S18_S1C_S1E_T6_T7_T9_mT8_S1G_bDpT10_ENKUlT_T0_E_clISt17integral_constantIbLb1EES1T_IbLb0EEEEDaS1P_S1Q_EUlS1P_E_NS1_11comp_targetILNS1_3genE0ELNS1_11target_archE4294967295ELNS1_3gpuE0ELNS1_3repE0EEENS1_30default_config_static_selectorELNS0_4arch9wavefront6targetE0EEEvS12_.num_vgpr, 0
	.set _ZN7rocprim17ROCPRIM_400000_NS6detail17trampoline_kernelINS0_13select_configILj256ELj13ELNS0_17block_load_methodE3ELS4_3ELS4_3ELNS0_20block_scan_algorithmE0ELj4294967295EEENS1_25partition_config_selectorILNS1_17partition_subalgoE4EjNS0_10empty_typeEbEEZZNS1_14partition_implILS8_4ELb0ES6_15HIP_vector_typeIjLj2EENS0_17counting_iteratorIjlEEPS9_SG_NS0_5tupleIJPjSI_NS0_16reverse_iteratorISI_EEEEENSH_IJSG_SG_SG_EEES9_SI_JZNS1_25segmented_radix_sort_implINS0_14default_configELb0EPKfPfPKlPlN2at6native12_GLOBAL__N_18offset_tEEE10hipError_tPvRmT1_PNSt15iterator_traitsIS12_E10value_typeET2_T3_PNS13_IS18_E10value_typeET4_jRbjT5_S1E_jjP12ihipStream_tbEUljE_ZNSN_ISO_Lb0ESQ_SR_ST_SU_SY_EESZ_S10_S11_S12_S16_S17_S18_S1B_S1C_jS1D_jS1E_S1E_jjS1G_bEUljE0_EEESZ_S10_S11_S18_S1C_S1E_T6_T7_T9_mT8_S1G_bDpT10_ENKUlT_T0_E_clISt17integral_constantIbLb1EES1T_IbLb0EEEEDaS1P_S1Q_EUlS1P_E_NS1_11comp_targetILNS1_3genE0ELNS1_11target_archE4294967295ELNS1_3gpuE0ELNS1_3repE0EEENS1_30default_config_static_selectorELNS0_4arch9wavefront6targetE0EEEvS12_.num_agpr, 0
	.set _ZN7rocprim17ROCPRIM_400000_NS6detail17trampoline_kernelINS0_13select_configILj256ELj13ELNS0_17block_load_methodE3ELS4_3ELS4_3ELNS0_20block_scan_algorithmE0ELj4294967295EEENS1_25partition_config_selectorILNS1_17partition_subalgoE4EjNS0_10empty_typeEbEEZZNS1_14partition_implILS8_4ELb0ES6_15HIP_vector_typeIjLj2EENS0_17counting_iteratorIjlEEPS9_SG_NS0_5tupleIJPjSI_NS0_16reverse_iteratorISI_EEEEENSH_IJSG_SG_SG_EEES9_SI_JZNS1_25segmented_radix_sort_implINS0_14default_configELb0EPKfPfPKlPlN2at6native12_GLOBAL__N_18offset_tEEE10hipError_tPvRmT1_PNSt15iterator_traitsIS12_E10value_typeET2_T3_PNS13_IS18_E10value_typeET4_jRbjT5_S1E_jjP12ihipStream_tbEUljE_ZNSN_ISO_Lb0ESQ_SR_ST_SU_SY_EESZ_S10_S11_S12_S16_S17_S18_S1B_S1C_jS1D_jS1E_S1E_jjS1G_bEUljE0_EEESZ_S10_S11_S18_S1C_S1E_T6_T7_T9_mT8_S1G_bDpT10_ENKUlT_T0_E_clISt17integral_constantIbLb1EES1T_IbLb0EEEEDaS1P_S1Q_EUlS1P_E_NS1_11comp_targetILNS1_3genE0ELNS1_11target_archE4294967295ELNS1_3gpuE0ELNS1_3repE0EEENS1_30default_config_static_selectorELNS0_4arch9wavefront6targetE0EEEvS12_.numbered_sgpr, 0
	.set _ZN7rocprim17ROCPRIM_400000_NS6detail17trampoline_kernelINS0_13select_configILj256ELj13ELNS0_17block_load_methodE3ELS4_3ELS4_3ELNS0_20block_scan_algorithmE0ELj4294967295EEENS1_25partition_config_selectorILNS1_17partition_subalgoE4EjNS0_10empty_typeEbEEZZNS1_14partition_implILS8_4ELb0ES6_15HIP_vector_typeIjLj2EENS0_17counting_iteratorIjlEEPS9_SG_NS0_5tupleIJPjSI_NS0_16reverse_iteratorISI_EEEEENSH_IJSG_SG_SG_EEES9_SI_JZNS1_25segmented_radix_sort_implINS0_14default_configELb0EPKfPfPKlPlN2at6native12_GLOBAL__N_18offset_tEEE10hipError_tPvRmT1_PNSt15iterator_traitsIS12_E10value_typeET2_T3_PNS13_IS18_E10value_typeET4_jRbjT5_S1E_jjP12ihipStream_tbEUljE_ZNSN_ISO_Lb0ESQ_SR_ST_SU_SY_EESZ_S10_S11_S12_S16_S17_S18_S1B_S1C_jS1D_jS1E_S1E_jjS1G_bEUljE0_EEESZ_S10_S11_S18_S1C_S1E_T6_T7_T9_mT8_S1G_bDpT10_ENKUlT_T0_E_clISt17integral_constantIbLb1EES1T_IbLb0EEEEDaS1P_S1Q_EUlS1P_E_NS1_11comp_targetILNS1_3genE0ELNS1_11target_archE4294967295ELNS1_3gpuE0ELNS1_3repE0EEENS1_30default_config_static_selectorELNS0_4arch9wavefront6targetE0EEEvS12_.num_named_barrier, 0
	.set _ZN7rocprim17ROCPRIM_400000_NS6detail17trampoline_kernelINS0_13select_configILj256ELj13ELNS0_17block_load_methodE3ELS4_3ELS4_3ELNS0_20block_scan_algorithmE0ELj4294967295EEENS1_25partition_config_selectorILNS1_17partition_subalgoE4EjNS0_10empty_typeEbEEZZNS1_14partition_implILS8_4ELb0ES6_15HIP_vector_typeIjLj2EENS0_17counting_iteratorIjlEEPS9_SG_NS0_5tupleIJPjSI_NS0_16reverse_iteratorISI_EEEEENSH_IJSG_SG_SG_EEES9_SI_JZNS1_25segmented_radix_sort_implINS0_14default_configELb0EPKfPfPKlPlN2at6native12_GLOBAL__N_18offset_tEEE10hipError_tPvRmT1_PNSt15iterator_traitsIS12_E10value_typeET2_T3_PNS13_IS18_E10value_typeET4_jRbjT5_S1E_jjP12ihipStream_tbEUljE_ZNSN_ISO_Lb0ESQ_SR_ST_SU_SY_EESZ_S10_S11_S12_S16_S17_S18_S1B_S1C_jS1D_jS1E_S1E_jjS1G_bEUljE0_EEESZ_S10_S11_S18_S1C_S1E_T6_T7_T9_mT8_S1G_bDpT10_ENKUlT_T0_E_clISt17integral_constantIbLb1EES1T_IbLb0EEEEDaS1P_S1Q_EUlS1P_E_NS1_11comp_targetILNS1_3genE0ELNS1_11target_archE4294967295ELNS1_3gpuE0ELNS1_3repE0EEENS1_30default_config_static_selectorELNS0_4arch9wavefront6targetE0EEEvS12_.private_seg_size, 0
	.set _ZN7rocprim17ROCPRIM_400000_NS6detail17trampoline_kernelINS0_13select_configILj256ELj13ELNS0_17block_load_methodE3ELS4_3ELS4_3ELNS0_20block_scan_algorithmE0ELj4294967295EEENS1_25partition_config_selectorILNS1_17partition_subalgoE4EjNS0_10empty_typeEbEEZZNS1_14partition_implILS8_4ELb0ES6_15HIP_vector_typeIjLj2EENS0_17counting_iteratorIjlEEPS9_SG_NS0_5tupleIJPjSI_NS0_16reverse_iteratorISI_EEEEENSH_IJSG_SG_SG_EEES9_SI_JZNS1_25segmented_radix_sort_implINS0_14default_configELb0EPKfPfPKlPlN2at6native12_GLOBAL__N_18offset_tEEE10hipError_tPvRmT1_PNSt15iterator_traitsIS12_E10value_typeET2_T3_PNS13_IS18_E10value_typeET4_jRbjT5_S1E_jjP12ihipStream_tbEUljE_ZNSN_ISO_Lb0ESQ_SR_ST_SU_SY_EESZ_S10_S11_S12_S16_S17_S18_S1B_S1C_jS1D_jS1E_S1E_jjS1G_bEUljE0_EEESZ_S10_S11_S18_S1C_S1E_T6_T7_T9_mT8_S1G_bDpT10_ENKUlT_T0_E_clISt17integral_constantIbLb1EES1T_IbLb0EEEEDaS1P_S1Q_EUlS1P_E_NS1_11comp_targetILNS1_3genE0ELNS1_11target_archE4294967295ELNS1_3gpuE0ELNS1_3repE0EEENS1_30default_config_static_selectorELNS0_4arch9wavefront6targetE0EEEvS12_.uses_vcc, 0
	.set _ZN7rocprim17ROCPRIM_400000_NS6detail17trampoline_kernelINS0_13select_configILj256ELj13ELNS0_17block_load_methodE3ELS4_3ELS4_3ELNS0_20block_scan_algorithmE0ELj4294967295EEENS1_25partition_config_selectorILNS1_17partition_subalgoE4EjNS0_10empty_typeEbEEZZNS1_14partition_implILS8_4ELb0ES6_15HIP_vector_typeIjLj2EENS0_17counting_iteratorIjlEEPS9_SG_NS0_5tupleIJPjSI_NS0_16reverse_iteratorISI_EEEEENSH_IJSG_SG_SG_EEES9_SI_JZNS1_25segmented_radix_sort_implINS0_14default_configELb0EPKfPfPKlPlN2at6native12_GLOBAL__N_18offset_tEEE10hipError_tPvRmT1_PNSt15iterator_traitsIS12_E10value_typeET2_T3_PNS13_IS18_E10value_typeET4_jRbjT5_S1E_jjP12ihipStream_tbEUljE_ZNSN_ISO_Lb0ESQ_SR_ST_SU_SY_EESZ_S10_S11_S12_S16_S17_S18_S1B_S1C_jS1D_jS1E_S1E_jjS1G_bEUljE0_EEESZ_S10_S11_S18_S1C_S1E_T6_T7_T9_mT8_S1G_bDpT10_ENKUlT_T0_E_clISt17integral_constantIbLb1EES1T_IbLb0EEEEDaS1P_S1Q_EUlS1P_E_NS1_11comp_targetILNS1_3genE0ELNS1_11target_archE4294967295ELNS1_3gpuE0ELNS1_3repE0EEENS1_30default_config_static_selectorELNS0_4arch9wavefront6targetE0EEEvS12_.uses_flat_scratch, 0
	.set _ZN7rocprim17ROCPRIM_400000_NS6detail17trampoline_kernelINS0_13select_configILj256ELj13ELNS0_17block_load_methodE3ELS4_3ELS4_3ELNS0_20block_scan_algorithmE0ELj4294967295EEENS1_25partition_config_selectorILNS1_17partition_subalgoE4EjNS0_10empty_typeEbEEZZNS1_14partition_implILS8_4ELb0ES6_15HIP_vector_typeIjLj2EENS0_17counting_iteratorIjlEEPS9_SG_NS0_5tupleIJPjSI_NS0_16reverse_iteratorISI_EEEEENSH_IJSG_SG_SG_EEES9_SI_JZNS1_25segmented_radix_sort_implINS0_14default_configELb0EPKfPfPKlPlN2at6native12_GLOBAL__N_18offset_tEEE10hipError_tPvRmT1_PNSt15iterator_traitsIS12_E10value_typeET2_T3_PNS13_IS18_E10value_typeET4_jRbjT5_S1E_jjP12ihipStream_tbEUljE_ZNSN_ISO_Lb0ESQ_SR_ST_SU_SY_EESZ_S10_S11_S12_S16_S17_S18_S1B_S1C_jS1D_jS1E_S1E_jjS1G_bEUljE0_EEESZ_S10_S11_S18_S1C_S1E_T6_T7_T9_mT8_S1G_bDpT10_ENKUlT_T0_E_clISt17integral_constantIbLb1EES1T_IbLb0EEEEDaS1P_S1Q_EUlS1P_E_NS1_11comp_targetILNS1_3genE0ELNS1_11target_archE4294967295ELNS1_3gpuE0ELNS1_3repE0EEENS1_30default_config_static_selectorELNS0_4arch9wavefront6targetE0EEEvS12_.has_dyn_sized_stack, 0
	.set _ZN7rocprim17ROCPRIM_400000_NS6detail17trampoline_kernelINS0_13select_configILj256ELj13ELNS0_17block_load_methodE3ELS4_3ELS4_3ELNS0_20block_scan_algorithmE0ELj4294967295EEENS1_25partition_config_selectorILNS1_17partition_subalgoE4EjNS0_10empty_typeEbEEZZNS1_14partition_implILS8_4ELb0ES6_15HIP_vector_typeIjLj2EENS0_17counting_iteratorIjlEEPS9_SG_NS0_5tupleIJPjSI_NS0_16reverse_iteratorISI_EEEEENSH_IJSG_SG_SG_EEES9_SI_JZNS1_25segmented_radix_sort_implINS0_14default_configELb0EPKfPfPKlPlN2at6native12_GLOBAL__N_18offset_tEEE10hipError_tPvRmT1_PNSt15iterator_traitsIS12_E10value_typeET2_T3_PNS13_IS18_E10value_typeET4_jRbjT5_S1E_jjP12ihipStream_tbEUljE_ZNSN_ISO_Lb0ESQ_SR_ST_SU_SY_EESZ_S10_S11_S12_S16_S17_S18_S1B_S1C_jS1D_jS1E_S1E_jjS1G_bEUljE0_EEESZ_S10_S11_S18_S1C_S1E_T6_T7_T9_mT8_S1G_bDpT10_ENKUlT_T0_E_clISt17integral_constantIbLb1EES1T_IbLb0EEEEDaS1P_S1Q_EUlS1P_E_NS1_11comp_targetILNS1_3genE0ELNS1_11target_archE4294967295ELNS1_3gpuE0ELNS1_3repE0EEENS1_30default_config_static_selectorELNS0_4arch9wavefront6targetE0EEEvS12_.has_recursion, 0
	.set _ZN7rocprim17ROCPRIM_400000_NS6detail17trampoline_kernelINS0_13select_configILj256ELj13ELNS0_17block_load_methodE3ELS4_3ELS4_3ELNS0_20block_scan_algorithmE0ELj4294967295EEENS1_25partition_config_selectorILNS1_17partition_subalgoE4EjNS0_10empty_typeEbEEZZNS1_14partition_implILS8_4ELb0ES6_15HIP_vector_typeIjLj2EENS0_17counting_iteratorIjlEEPS9_SG_NS0_5tupleIJPjSI_NS0_16reverse_iteratorISI_EEEEENSH_IJSG_SG_SG_EEES9_SI_JZNS1_25segmented_radix_sort_implINS0_14default_configELb0EPKfPfPKlPlN2at6native12_GLOBAL__N_18offset_tEEE10hipError_tPvRmT1_PNSt15iterator_traitsIS12_E10value_typeET2_T3_PNS13_IS18_E10value_typeET4_jRbjT5_S1E_jjP12ihipStream_tbEUljE_ZNSN_ISO_Lb0ESQ_SR_ST_SU_SY_EESZ_S10_S11_S12_S16_S17_S18_S1B_S1C_jS1D_jS1E_S1E_jjS1G_bEUljE0_EEESZ_S10_S11_S18_S1C_S1E_T6_T7_T9_mT8_S1G_bDpT10_ENKUlT_T0_E_clISt17integral_constantIbLb1EES1T_IbLb0EEEEDaS1P_S1Q_EUlS1P_E_NS1_11comp_targetILNS1_3genE0ELNS1_11target_archE4294967295ELNS1_3gpuE0ELNS1_3repE0EEENS1_30default_config_static_selectorELNS0_4arch9wavefront6targetE0EEEvS12_.has_indirect_call, 0
	.section	.AMDGPU.csdata,"",@progbits
; Kernel info:
; codeLenInByte = 4
; TotalNumSgprs: 0
; NumVgprs: 0
; ScratchSize: 0
; MemoryBound: 0
; FloatMode: 240
; IeeeMode: 1
; LDSByteSize: 0 bytes/workgroup (compile time only)
; SGPRBlocks: 0
; VGPRBlocks: 0
; NumSGPRsForWavesPerEU: 1
; NumVGPRsForWavesPerEU: 1
; NamedBarCnt: 0
; Occupancy: 16
; WaveLimiterHint : 0
; COMPUTE_PGM_RSRC2:SCRATCH_EN: 0
; COMPUTE_PGM_RSRC2:USER_SGPR: 2
; COMPUTE_PGM_RSRC2:TRAP_HANDLER: 0
; COMPUTE_PGM_RSRC2:TGID_X_EN: 1
; COMPUTE_PGM_RSRC2:TGID_Y_EN: 0
; COMPUTE_PGM_RSRC2:TGID_Z_EN: 0
; COMPUTE_PGM_RSRC2:TIDIG_COMP_CNT: 0
	.section	.text._ZN7rocprim17ROCPRIM_400000_NS6detail17trampoline_kernelINS0_13select_configILj256ELj13ELNS0_17block_load_methodE3ELS4_3ELS4_3ELNS0_20block_scan_algorithmE0ELj4294967295EEENS1_25partition_config_selectorILNS1_17partition_subalgoE4EjNS0_10empty_typeEbEEZZNS1_14partition_implILS8_4ELb0ES6_15HIP_vector_typeIjLj2EENS0_17counting_iteratorIjlEEPS9_SG_NS0_5tupleIJPjSI_NS0_16reverse_iteratorISI_EEEEENSH_IJSG_SG_SG_EEES9_SI_JZNS1_25segmented_radix_sort_implINS0_14default_configELb0EPKfPfPKlPlN2at6native12_GLOBAL__N_18offset_tEEE10hipError_tPvRmT1_PNSt15iterator_traitsIS12_E10value_typeET2_T3_PNS13_IS18_E10value_typeET4_jRbjT5_S1E_jjP12ihipStream_tbEUljE_ZNSN_ISO_Lb0ESQ_SR_ST_SU_SY_EESZ_S10_S11_S12_S16_S17_S18_S1B_S1C_jS1D_jS1E_S1E_jjS1G_bEUljE0_EEESZ_S10_S11_S18_S1C_S1E_T6_T7_T9_mT8_S1G_bDpT10_ENKUlT_T0_E_clISt17integral_constantIbLb1EES1T_IbLb0EEEEDaS1P_S1Q_EUlS1P_E_NS1_11comp_targetILNS1_3genE5ELNS1_11target_archE942ELNS1_3gpuE9ELNS1_3repE0EEENS1_30default_config_static_selectorELNS0_4arch9wavefront6targetE0EEEvS12_,"axG",@progbits,_ZN7rocprim17ROCPRIM_400000_NS6detail17trampoline_kernelINS0_13select_configILj256ELj13ELNS0_17block_load_methodE3ELS4_3ELS4_3ELNS0_20block_scan_algorithmE0ELj4294967295EEENS1_25partition_config_selectorILNS1_17partition_subalgoE4EjNS0_10empty_typeEbEEZZNS1_14partition_implILS8_4ELb0ES6_15HIP_vector_typeIjLj2EENS0_17counting_iteratorIjlEEPS9_SG_NS0_5tupleIJPjSI_NS0_16reverse_iteratorISI_EEEEENSH_IJSG_SG_SG_EEES9_SI_JZNS1_25segmented_radix_sort_implINS0_14default_configELb0EPKfPfPKlPlN2at6native12_GLOBAL__N_18offset_tEEE10hipError_tPvRmT1_PNSt15iterator_traitsIS12_E10value_typeET2_T3_PNS13_IS18_E10value_typeET4_jRbjT5_S1E_jjP12ihipStream_tbEUljE_ZNSN_ISO_Lb0ESQ_SR_ST_SU_SY_EESZ_S10_S11_S12_S16_S17_S18_S1B_S1C_jS1D_jS1E_S1E_jjS1G_bEUljE0_EEESZ_S10_S11_S18_S1C_S1E_T6_T7_T9_mT8_S1G_bDpT10_ENKUlT_T0_E_clISt17integral_constantIbLb1EES1T_IbLb0EEEEDaS1P_S1Q_EUlS1P_E_NS1_11comp_targetILNS1_3genE5ELNS1_11target_archE942ELNS1_3gpuE9ELNS1_3repE0EEENS1_30default_config_static_selectorELNS0_4arch9wavefront6targetE0EEEvS12_,comdat
	.globl	_ZN7rocprim17ROCPRIM_400000_NS6detail17trampoline_kernelINS0_13select_configILj256ELj13ELNS0_17block_load_methodE3ELS4_3ELS4_3ELNS0_20block_scan_algorithmE0ELj4294967295EEENS1_25partition_config_selectorILNS1_17partition_subalgoE4EjNS0_10empty_typeEbEEZZNS1_14partition_implILS8_4ELb0ES6_15HIP_vector_typeIjLj2EENS0_17counting_iteratorIjlEEPS9_SG_NS0_5tupleIJPjSI_NS0_16reverse_iteratorISI_EEEEENSH_IJSG_SG_SG_EEES9_SI_JZNS1_25segmented_radix_sort_implINS0_14default_configELb0EPKfPfPKlPlN2at6native12_GLOBAL__N_18offset_tEEE10hipError_tPvRmT1_PNSt15iterator_traitsIS12_E10value_typeET2_T3_PNS13_IS18_E10value_typeET4_jRbjT5_S1E_jjP12ihipStream_tbEUljE_ZNSN_ISO_Lb0ESQ_SR_ST_SU_SY_EESZ_S10_S11_S12_S16_S17_S18_S1B_S1C_jS1D_jS1E_S1E_jjS1G_bEUljE0_EEESZ_S10_S11_S18_S1C_S1E_T6_T7_T9_mT8_S1G_bDpT10_ENKUlT_T0_E_clISt17integral_constantIbLb1EES1T_IbLb0EEEEDaS1P_S1Q_EUlS1P_E_NS1_11comp_targetILNS1_3genE5ELNS1_11target_archE942ELNS1_3gpuE9ELNS1_3repE0EEENS1_30default_config_static_selectorELNS0_4arch9wavefront6targetE0EEEvS12_ ; -- Begin function _ZN7rocprim17ROCPRIM_400000_NS6detail17trampoline_kernelINS0_13select_configILj256ELj13ELNS0_17block_load_methodE3ELS4_3ELS4_3ELNS0_20block_scan_algorithmE0ELj4294967295EEENS1_25partition_config_selectorILNS1_17partition_subalgoE4EjNS0_10empty_typeEbEEZZNS1_14partition_implILS8_4ELb0ES6_15HIP_vector_typeIjLj2EENS0_17counting_iteratorIjlEEPS9_SG_NS0_5tupleIJPjSI_NS0_16reverse_iteratorISI_EEEEENSH_IJSG_SG_SG_EEES9_SI_JZNS1_25segmented_radix_sort_implINS0_14default_configELb0EPKfPfPKlPlN2at6native12_GLOBAL__N_18offset_tEEE10hipError_tPvRmT1_PNSt15iterator_traitsIS12_E10value_typeET2_T3_PNS13_IS18_E10value_typeET4_jRbjT5_S1E_jjP12ihipStream_tbEUljE_ZNSN_ISO_Lb0ESQ_SR_ST_SU_SY_EESZ_S10_S11_S12_S16_S17_S18_S1B_S1C_jS1D_jS1E_S1E_jjS1G_bEUljE0_EEESZ_S10_S11_S18_S1C_S1E_T6_T7_T9_mT8_S1G_bDpT10_ENKUlT_T0_E_clISt17integral_constantIbLb1EES1T_IbLb0EEEEDaS1P_S1Q_EUlS1P_E_NS1_11comp_targetILNS1_3genE5ELNS1_11target_archE942ELNS1_3gpuE9ELNS1_3repE0EEENS1_30default_config_static_selectorELNS0_4arch9wavefront6targetE0EEEvS12_
	.p2align	8
	.type	_ZN7rocprim17ROCPRIM_400000_NS6detail17trampoline_kernelINS0_13select_configILj256ELj13ELNS0_17block_load_methodE3ELS4_3ELS4_3ELNS0_20block_scan_algorithmE0ELj4294967295EEENS1_25partition_config_selectorILNS1_17partition_subalgoE4EjNS0_10empty_typeEbEEZZNS1_14partition_implILS8_4ELb0ES6_15HIP_vector_typeIjLj2EENS0_17counting_iteratorIjlEEPS9_SG_NS0_5tupleIJPjSI_NS0_16reverse_iteratorISI_EEEEENSH_IJSG_SG_SG_EEES9_SI_JZNS1_25segmented_radix_sort_implINS0_14default_configELb0EPKfPfPKlPlN2at6native12_GLOBAL__N_18offset_tEEE10hipError_tPvRmT1_PNSt15iterator_traitsIS12_E10value_typeET2_T3_PNS13_IS18_E10value_typeET4_jRbjT5_S1E_jjP12ihipStream_tbEUljE_ZNSN_ISO_Lb0ESQ_SR_ST_SU_SY_EESZ_S10_S11_S12_S16_S17_S18_S1B_S1C_jS1D_jS1E_S1E_jjS1G_bEUljE0_EEESZ_S10_S11_S18_S1C_S1E_T6_T7_T9_mT8_S1G_bDpT10_ENKUlT_T0_E_clISt17integral_constantIbLb1EES1T_IbLb0EEEEDaS1P_S1Q_EUlS1P_E_NS1_11comp_targetILNS1_3genE5ELNS1_11target_archE942ELNS1_3gpuE9ELNS1_3repE0EEENS1_30default_config_static_selectorELNS0_4arch9wavefront6targetE0EEEvS12_,@function
_ZN7rocprim17ROCPRIM_400000_NS6detail17trampoline_kernelINS0_13select_configILj256ELj13ELNS0_17block_load_methodE3ELS4_3ELS4_3ELNS0_20block_scan_algorithmE0ELj4294967295EEENS1_25partition_config_selectorILNS1_17partition_subalgoE4EjNS0_10empty_typeEbEEZZNS1_14partition_implILS8_4ELb0ES6_15HIP_vector_typeIjLj2EENS0_17counting_iteratorIjlEEPS9_SG_NS0_5tupleIJPjSI_NS0_16reverse_iteratorISI_EEEEENSH_IJSG_SG_SG_EEES9_SI_JZNS1_25segmented_radix_sort_implINS0_14default_configELb0EPKfPfPKlPlN2at6native12_GLOBAL__N_18offset_tEEE10hipError_tPvRmT1_PNSt15iterator_traitsIS12_E10value_typeET2_T3_PNS13_IS18_E10value_typeET4_jRbjT5_S1E_jjP12ihipStream_tbEUljE_ZNSN_ISO_Lb0ESQ_SR_ST_SU_SY_EESZ_S10_S11_S12_S16_S17_S18_S1B_S1C_jS1D_jS1E_S1E_jjS1G_bEUljE0_EEESZ_S10_S11_S18_S1C_S1E_T6_T7_T9_mT8_S1G_bDpT10_ENKUlT_T0_E_clISt17integral_constantIbLb1EES1T_IbLb0EEEEDaS1P_S1Q_EUlS1P_E_NS1_11comp_targetILNS1_3genE5ELNS1_11target_archE942ELNS1_3gpuE9ELNS1_3repE0EEENS1_30default_config_static_selectorELNS0_4arch9wavefront6targetE0EEEvS12_: ; @_ZN7rocprim17ROCPRIM_400000_NS6detail17trampoline_kernelINS0_13select_configILj256ELj13ELNS0_17block_load_methodE3ELS4_3ELS4_3ELNS0_20block_scan_algorithmE0ELj4294967295EEENS1_25partition_config_selectorILNS1_17partition_subalgoE4EjNS0_10empty_typeEbEEZZNS1_14partition_implILS8_4ELb0ES6_15HIP_vector_typeIjLj2EENS0_17counting_iteratorIjlEEPS9_SG_NS0_5tupleIJPjSI_NS0_16reverse_iteratorISI_EEEEENSH_IJSG_SG_SG_EEES9_SI_JZNS1_25segmented_radix_sort_implINS0_14default_configELb0EPKfPfPKlPlN2at6native12_GLOBAL__N_18offset_tEEE10hipError_tPvRmT1_PNSt15iterator_traitsIS12_E10value_typeET2_T3_PNS13_IS18_E10value_typeET4_jRbjT5_S1E_jjP12ihipStream_tbEUljE_ZNSN_ISO_Lb0ESQ_SR_ST_SU_SY_EESZ_S10_S11_S12_S16_S17_S18_S1B_S1C_jS1D_jS1E_S1E_jjS1G_bEUljE0_EEESZ_S10_S11_S18_S1C_S1E_T6_T7_T9_mT8_S1G_bDpT10_ENKUlT_T0_E_clISt17integral_constantIbLb1EES1T_IbLb0EEEEDaS1P_S1Q_EUlS1P_E_NS1_11comp_targetILNS1_3genE5ELNS1_11target_archE942ELNS1_3gpuE9ELNS1_3repE0EEENS1_30default_config_static_selectorELNS0_4arch9wavefront6targetE0EEEvS12_
; %bb.0:
	.section	.rodata,"a",@progbits
	.p2align	6, 0x0
	.amdhsa_kernel _ZN7rocprim17ROCPRIM_400000_NS6detail17trampoline_kernelINS0_13select_configILj256ELj13ELNS0_17block_load_methodE3ELS4_3ELS4_3ELNS0_20block_scan_algorithmE0ELj4294967295EEENS1_25partition_config_selectorILNS1_17partition_subalgoE4EjNS0_10empty_typeEbEEZZNS1_14partition_implILS8_4ELb0ES6_15HIP_vector_typeIjLj2EENS0_17counting_iteratorIjlEEPS9_SG_NS0_5tupleIJPjSI_NS0_16reverse_iteratorISI_EEEEENSH_IJSG_SG_SG_EEES9_SI_JZNS1_25segmented_radix_sort_implINS0_14default_configELb0EPKfPfPKlPlN2at6native12_GLOBAL__N_18offset_tEEE10hipError_tPvRmT1_PNSt15iterator_traitsIS12_E10value_typeET2_T3_PNS13_IS18_E10value_typeET4_jRbjT5_S1E_jjP12ihipStream_tbEUljE_ZNSN_ISO_Lb0ESQ_SR_ST_SU_SY_EESZ_S10_S11_S12_S16_S17_S18_S1B_S1C_jS1D_jS1E_S1E_jjS1G_bEUljE0_EEESZ_S10_S11_S18_S1C_S1E_T6_T7_T9_mT8_S1G_bDpT10_ENKUlT_T0_E_clISt17integral_constantIbLb1EES1T_IbLb0EEEEDaS1P_S1Q_EUlS1P_E_NS1_11comp_targetILNS1_3genE5ELNS1_11target_archE942ELNS1_3gpuE9ELNS1_3repE0EEENS1_30default_config_static_selectorELNS0_4arch9wavefront6targetE0EEEvS12_
		.amdhsa_group_segment_fixed_size 0
		.amdhsa_private_segment_fixed_size 0
		.amdhsa_kernarg_size 176
		.amdhsa_user_sgpr_count 2
		.amdhsa_user_sgpr_dispatch_ptr 0
		.amdhsa_user_sgpr_queue_ptr 0
		.amdhsa_user_sgpr_kernarg_segment_ptr 1
		.amdhsa_user_sgpr_dispatch_id 0
		.amdhsa_user_sgpr_kernarg_preload_length 0
		.amdhsa_user_sgpr_kernarg_preload_offset 0
		.amdhsa_user_sgpr_private_segment_size 0
		.amdhsa_wavefront_size32 1
		.amdhsa_uses_dynamic_stack 0
		.amdhsa_enable_private_segment 0
		.amdhsa_system_sgpr_workgroup_id_x 1
		.amdhsa_system_sgpr_workgroup_id_y 0
		.amdhsa_system_sgpr_workgroup_id_z 0
		.amdhsa_system_sgpr_workgroup_info 0
		.amdhsa_system_vgpr_workitem_id 0
		.amdhsa_next_free_vgpr 1
		.amdhsa_next_free_sgpr 1
		.amdhsa_named_barrier_count 0
		.amdhsa_reserve_vcc 0
		.amdhsa_float_round_mode_32 0
		.amdhsa_float_round_mode_16_64 0
		.amdhsa_float_denorm_mode_32 3
		.amdhsa_float_denorm_mode_16_64 3
		.amdhsa_fp16_overflow 0
		.amdhsa_memory_ordered 1
		.amdhsa_forward_progress 1
		.amdhsa_inst_pref_size 0
		.amdhsa_round_robin_scheduling 0
		.amdhsa_exception_fp_ieee_invalid_op 0
		.amdhsa_exception_fp_denorm_src 0
		.amdhsa_exception_fp_ieee_div_zero 0
		.amdhsa_exception_fp_ieee_overflow 0
		.amdhsa_exception_fp_ieee_underflow 0
		.amdhsa_exception_fp_ieee_inexact 0
		.amdhsa_exception_int_div_zero 0
	.end_amdhsa_kernel
	.section	.text._ZN7rocprim17ROCPRIM_400000_NS6detail17trampoline_kernelINS0_13select_configILj256ELj13ELNS0_17block_load_methodE3ELS4_3ELS4_3ELNS0_20block_scan_algorithmE0ELj4294967295EEENS1_25partition_config_selectorILNS1_17partition_subalgoE4EjNS0_10empty_typeEbEEZZNS1_14partition_implILS8_4ELb0ES6_15HIP_vector_typeIjLj2EENS0_17counting_iteratorIjlEEPS9_SG_NS0_5tupleIJPjSI_NS0_16reverse_iteratorISI_EEEEENSH_IJSG_SG_SG_EEES9_SI_JZNS1_25segmented_radix_sort_implINS0_14default_configELb0EPKfPfPKlPlN2at6native12_GLOBAL__N_18offset_tEEE10hipError_tPvRmT1_PNSt15iterator_traitsIS12_E10value_typeET2_T3_PNS13_IS18_E10value_typeET4_jRbjT5_S1E_jjP12ihipStream_tbEUljE_ZNSN_ISO_Lb0ESQ_SR_ST_SU_SY_EESZ_S10_S11_S12_S16_S17_S18_S1B_S1C_jS1D_jS1E_S1E_jjS1G_bEUljE0_EEESZ_S10_S11_S18_S1C_S1E_T6_T7_T9_mT8_S1G_bDpT10_ENKUlT_T0_E_clISt17integral_constantIbLb1EES1T_IbLb0EEEEDaS1P_S1Q_EUlS1P_E_NS1_11comp_targetILNS1_3genE5ELNS1_11target_archE942ELNS1_3gpuE9ELNS1_3repE0EEENS1_30default_config_static_selectorELNS0_4arch9wavefront6targetE0EEEvS12_,"axG",@progbits,_ZN7rocprim17ROCPRIM_400000_NS6detail17trampoline_kernelINS0_13select_configILj256ELj13ELNS0_17block_load_methodE3ELS4_3ELS4_3ELNS0_20block_scan_algorithmE0ELj4294967295EEENS1_25partition_config_selectorILNS1_17partition_subalgoE4EjNS0_10empty_typeEbEEZZNS1_14partition_implILS8_4ELb0ES6_15HIP_vector_typeIjLj2EENS0_17counting_iteratorIjlEEPS9_SG_NS0_5tupleIJPjSI_NS0_16reverse_iteratorISI_EEEEENSH_IJSG_SG_SG_EEES9_SI_JZNS1_25segmented_radix_sort_implINS0_14default_configELb0EPKfPfPKlPlN2at6native12_GLOBAL__N_18offset_tEEE10hipError_tPvRmT1_PNSt15iterator_traitsIS12_E10value_typeET2_T3_PNS13_IS18_E10value_typeET4_jRbjT5_S1E_jjP12ihipStream_tbEUljE_ZNSN_ISO_Lb0ESQ_SR_ST_SU_SY_EESZ_S10_S11_S12_S16_S17_S18_S1B_S1C_jS1D_jS1E_S1E_jjS1G_bEUljE0_EEESZ_S10_S11_S18_S1C_S1E_T6_T7_T9_mT8_S1G_bDpT10_ENKUlT_T0_E_clISt17integral_constantIbLb1EES1T_IbLb0EEEEDaS1P_S1Q_EUlS1P_E_NS1_11comp_targetILNS1_3genE5ELNS1_11target_archE942ELNS1_3gpuE9ELNS1_3repE0EEENS1_30default_config_static_selectorELNS0_4arch9wavefront6targetE0EEEvS12_,comdat
.Lfunc_end1374:
	.size	_ZN7rocprim17ROCPRIM_400000_NS6detail17trampoline_kernelINS0_13select_configILj256ELj13ELNS0_17block_load_methodE3ELS4_3ELS4_3ELNS0_20block_scan_algorithmE0ELj4294967295EEENS1_25partition_config_selectorILNS1_17partition_subalgoE4EjNS0_10empty_typeEbEEZZNS1_14partition_implILS8_4ELb0ES6_15HIP_vector_typeIjLj2EENS0_17counting_iteratorIjlEEPS9_SG_NS0_5tupleIJPjSI_NS0_16reverse_iteratorISI_EEEEENSH_IJSG_SG_SG_EEES9_SI_JZNS1_25segmented_radix_sort_implINS0_14default_configELb0EPKfPfPKlPlN2at6native12_GLOBAL__N_18offset_tEEE10hipError_tPvRmT1_PNSt15iterator_traitsIS12_E10value_typeET2_T3_PNS13_IS18_E10value_typeET4_jRbjT5_S1E_jjP12ihipStream_tbEUljE_ZNSN_ISO_Lb0ESQ_SR_ST_SU_SY_EESZ_S10_S11_S12_S16_S17_S18_S1B_S1C_jS1D_jS1E_S1E_jjS1G_bEUljE0_EEESZ_S10_S11_S18_S1C_S1E_T6_T7_T9_mT8_S1G_bDpT10_ENKUlT_T0_E_clISt17integral_constantIbLb1EES1T_IbLb0EEEEDaS1P_S1Q_EUlS1P_E_NS1_11comp_targetILNS1_3genE5ELNS1_11target_archE942ELNS1_3gpuE9ELNS1_3repE0EEENS1_30default_config_static_selectorELNS0_4arch9wavefront6targetE0EEEvS12_, .Lfunc_end1374-_ZN7rocprim17ROCPRIM_400000_NS6detail17trampoline_kernelINS0_13select_configILj256ELj13ELNS0_17block_load_methodE3ELS4_3ELS4_3ELNS0_20block_scan_algorithmE0ELj4294967295EEENS1_25partition_config_selectorILNS1_17partition_subalgoE4EjNS0_10empty_typeEbEEZZNS1_14partition_implILS8_4ELb0ES6_15HIP_vector_typeIjLj2EENS0_17counting_iteratorIjlEEPS9_SG_NS0_5tupleIJPjSI_NS0_16reverse_iteratorISI_EEEEENSH_IJSG_SG_SG_EEES9_SI_JZNS1_25segmented_radix_sort_implINS0_14default_configELb0EPKfPfPKlPlN2at6native12_GLOBAL__N_18offset_tEEE10hipError_tPvRmT1_PNSt15iterator_traitsIS12_E10value_typeET2_T3_PNS13_IS18_E10value_typeET4_jRbjT5_S1E_jjP12ihipStream_tbEUljE_ZNSN_ISO_Lb0ESQ_SR_ST_SU_SY_EESZ_S10_S11_S12_S16_S17_S18_S1B_S1C_jS1D_jS1E_S1E_jjS1G_bEUljE0_EEESZ_S10_S11_S18_S1C_S1E_T6_T7_T9_mT8_S1G_bDpT10_ENKUlT_T0_E_clISt17integral_constantIbLb1EES1T_IbLb0EEEEDaS1P_S1Q_EUlS1P_E_NS1_11comp_targetILNS1_3genE5ELNS1_11target_archE942ELNS1_3gpuE9ELNS1_3repE0EEENS1_30default_config_static_selectorELNS0_4arch9wavefront6targetE0EEEvS12_
                                        ; -- End function
	.set _ZN7rocprim17ROCPRIM_400000_NS6detail17trampoline_kernelINS0_13select_configILj256ELj13ELNS0_17block_load_methodE3ELS4_3ELS4_3ELNS0_20block_scan_algorithmE0ELj4294967295EEENS1_25partition_config_selectorILNS1_17partition_subalgoE4EjNS0_10empty_typeEbEEZZNS1_14partition_implILS8_4ELb0ES6_15HIP_vector_typeIjLj2EENS0_17counting_iteratorIjlEEPS9_SG_NS0_5tupleIJPjSI_NS0_16reverse_iteratorISI_EEEEENSH_IJSG_SG_SG_EEES9_SI_JZNS1_25segmented_radix_sort_implINS0_14default_configELb0EPKfPfPKlPlN2at6native12_GLOBAL__N_18offset_tEEE10hipError_tPvRmT1_PNSt15iterator_traitsIS12_E10value_typeET2_T3_PNS13_IS18_E10value_typeET4_jRbjT5_S1E_jjP12ihipStream_tbEUljE_ZNSN_ISO_Lb0ESQ_SR_ST_SU_SY_EESZ_S10_S11_S12_S16_S17_S18_S1B_S1C_jS1D_jS1E_S1E_jjS1G_bEUljE0_EEESZ_S10_S11_S18_S1C_S1E_T6_T7_T9_mT8_S1G_bDpT10_ENKUlT_T0_E_clISt17integral_constantIbLb1EES1T_IbLb0EEEEDaS1P_S1Q_EUlS1P_E_NS1_11comp_targetILNS1_3genE5ELNS1_11target_archE942ELNS1_3gpuE9ELNS1_3repE0EEENS1_30default_config_static_selectorELNS0_4arch9wavefront6targetE0EEEvS12_.num_vgpr, 0
	.set _ZN7rocprim17ROCPRIM_400000_NS6detail17trampoline_kernelINS0_13select_configILj256ELj13ELNS0_17block_load_methodE3ELS4_3ELS4_3ELNS0_20block_scan_algorithmE0ELj4294967295EEENS1_25partition_config_selectorILNS1_17partition_subalgoE4EjNS0_10empty_typeEbEEZZNS1_14partition_implILS8_4ELb0ES6_15HIP_vector_typeIjLj2EENS0_17counting_iteratorIjlEEPS9_SG_NS0_5tupleIJPjSI_NS0_16reverse_iteratorISI_EEEEENSH_IJSG_SG_SG_EEES9_SI_JZNS1_25segmented_radix_sort_implINS0_14default_configELb0EPKfPfPKlPlN2at6native12_GLOBAL__N_18offset_tEEE10hipError_tPvRmT1_PNSt15iterator_traitsIS12_E10value_typeET2_T3_PNS13_IS18_E10value_typeET4_jRbjT5_S1E_jjP12ihipStream_tbEUljE_ZNSN_ISO_Lb0ESQ_SR_ST_SU_SY_EESZ_S10_S11_S12_S16_S17_S18_S1B_S1C_jS1D_jS1E_S1E_jjS1G_bEUljE0_EEESZ_S10_S11_S18_S1C_S1E_T6_T7_T9_mT8_S1G_bDpT10_ENKUlT_T0_E_clISt17integral_constantIbLb1EES1T_IbLb0EEEEDaS1P_S1Q_EUlS1P_E_NS1_11comp_targetILNS1_3genE5ELNS1_11target_archE942ELNS1_3gpuE9ELNS1_3repE0EEENS1_30default_config_static_selectorELNS0_4arch9wavefront6targetE0EEEvS12_.num_agpr, 0
	.set _ZN7rocprim17ROCPRIM_400000_NS6detail17trampoline_kernelINS0_13select_configILj256ELj13ELNS0_17block_load_methodE3ELS4_3ELS4_3ELNS0_20block_scan_algorithmE0ELj4294967295EEENS1_25partition_config_selectorILNS1_17partition_subalgoE4EjNS0_10empty_typeEbEEZZNS1_14partition_implILS8_4ELb0ES6_15HIP_vector_typeIjLj2EENS0_17counting_iteratorIjlEEPS9_SG_NS0_5tupleIJPjSI_NS0_16reverse_iteratorISI_EEEEENSH_IJSG_SG_SG_EEES9_SI_JZNS1_25segmented_radix_sort_implINS0_14default_configELb0EPKfPfPKlPlN2at6native12_GLOBAL__N_18offset_tEEE10hipError_tPvRmT1_PNSt15iterator_traitsIS12_E10value_typeET2_T3_PNS13_IS18_E10value_typeET4_jRbjT5_S1E_jjP12ihipStream_tbEUljE_ZNSN_ISO_Lb0ESQ_SR_ST_SU_SY_EESZ_S10_S11_S12_S16_S17_S18_S1B_S1C_jS1D_jS1E_S1E_jjS1G_bEUljE0_EEESZ_S10_S11_S18_S1C_S1E_T6_T7_T9_mT8_S1G_bDpT10_ENKUlT_T0_E_clISt17integral_constantIbLb1EES1T_IbLb0EEEEDaS1P_S1Q_EUlS1P_E_NS1_11comp_targetILNS1_3genE5ELNS1_11target_archE942ELNS1_3gpuE9ELNS1_3repE0EEENS1_30default_config_static_selectorELNS0_4arch9wavefront6targetE0EEEvS12_.numbered_sgpr, 0
	.set _ZN7rocprim17ROCPRIM_400000_NS6detail17trampoline_kernelINS0_13select_configILj256ELj13ELNS0_17block_load_methodE3ELS4_3ELS4_3ELNS0_20block_scan_algorithmE0ELj4294967295EEENS1_25partition_config_selectorILNS1_17partition_subalgoE4EjNS0_10empty_typeEbEEZZNS1_14partition_implILS8_4ELb0ES6_15HIP_vector_typeIjLj2EENS0_17counting_iteratorIjlEEPS9_SG_NS0_5tupleIJPjSI_NS0_16reverse_iteratorISI_EEEEENSH_IJSG_SG_SG_EEES9_SI_JZNS1_25segmented_radix_sort_implINS0_14default_configELb0EPKfPfPKlPlN2at6native12_GLOBAL__N_18offset_tEEE10hipError_tPvRmT1_PNSt15iterator_traitsIS12_E10value_typeET2_T3_PNS13_IS18_E10value_typeET4_jRbjT5_S1E_jjP12ihipStream_tbEUljE_ZNSN_ISO_Lb0ESQ_SR_ST_SU_SY_EESZ_S10_S11_S12_S16_S17_S18_S1B_S1C_jS1D_jS1E_S1E_jjS1G_bEUljE0_EEESZ_S10_S11_S18_S1C_S1E_T6_T7_T9_mT8_S1G_bDpT10_ENKUlT_T0_E_clISt17integral_constantIbLb1EES1T_IbLb0EEEEDaS1P_S1Q_EUlS1P_E_NS1_11comp_targetILNS1_3genE5ELNS1_11target_archE942ELNS1_3gpuE9ELNS1_3repE0EEENS1_30default_config_static_selectorELNS0_4arch9wavefront6targetE0EEEvS12_.num_named_barrier, 0
	.set _ZN7rocprim17ROCPRIM_400000_NS6detail17trampoline_kernelINS0_13select_configILj256ELj13ELNS0_17block_load_methodE3ELS4_3ELS4_3ELNS0_20block_scan_algorithmE0ELj4294967295EEENS1_25partition_config_selectorILNS1_17partition_subalgoE4EjNS0_10empty_typeEbEEZZNS1_14partition_implILS8_4ELb0ES6_15HIP_vector_typeIjLj2EENS0_17counting_iteratorIjlEEPS9_SG_NS0_5tupleIJPjSI_NS0_16reverse_iteratorISI_EEEEENSH_IJSG_SG_SG_EEES9_SI_JZNS1_25segmented_radix_sort_implINS0_14default_configELb0EPKfPfPKlPlN2at6native12_GLOBAL__N_18offset_tEEE10hipError_tPvRmT1_PNSt15iterator_traitsIS12_E10value_typeET2_T3_PNS13_IS18_E10value_typeET4_jRbjT5_S1E_jjP12ihipStream_tbEUljE_ZNSN_ISO_Lb0ESQ_SR_ST_SU_SY_EESZ_S10_S11_S12_S16_S17_S18_S1B_S1C_jS1D_jS1E_S1E_jjS1G_bEUljE0_EEESZ_S10_S11_S18_S1C_S1E_T6_T7_T9_mT8_S1G_bDpT10_ENKUlT_T0_E_clISt17integral_constantIbLb1EES1T_IbLb0EEEEDaS1P_S1Q_EUlS1P_E_NS1_11comp_targetILNS1_3genE5ELNS1_11target_archE942ELNS1_3gpuE9ELNS1_3repE0EEENS1_30default_config_static_selectorELNS0_4arch9wavefront6targetE0EEEvS12_.private_seg_size, 0
	.set _ZN7rocprim17ROCPRIM_400000_NS6detail17trampoline_kernelINS0_13select_configILj256ELj13ELNS0_17block_load_methodE3ELS4_3ELS4_3ELNS0_20block_scan_algorithmE0ELj4294967295EEENS1_25partition_config_selectorILNS1_17partition_subalgoE4EjNS0_10empty_typeEbEEZZNS1_14partition_implILS8_4ELb0ES6_15HIP_vector_typeIjLj2EENS0_17counting_iteratorIjlEEPS9_SG_NS0_5tupleIJPjSI_NS0_16reverse_iteratorISI_EEEEENSH_IJSG_SG_SG_EEES9_SI_JZNS1_25segmented_radix_sort_implINS0_14default_configELb0EPKfPfPKlPlN2at6native12_GLOBAL__N_18offset_tEEE10hipError_tPvRmT1_PNSt15iterator_traitsIS12_E10value_typeET2_T3_PNS13_IS18_E10value_typeET4_jRbjT5_S1E_jjP12ihipStream_tbEUljE_ZNSN_ISO_Lb0ESQ_SR_ST_SU_SY_EESZ_S10_S11_S12_S16_S17_S18_S1B_S1C_jS1D_jS1E_S1E_jjS1G_bEUljE0_EEESZ_S10_S11_S18_S1C_S1E_T6_T7_T9_mT8_S1G_bDpT10_ENKUlT_T0_E_clISt17integral_constantIbLb1EES1T_IbLb0EEEEDaS1P_S1Q_EUlS1P_E_NS1_11comp_targetILNS1_3genE5ELNS1_11target_archE942ELNS1_3gpuE9ELNS1_3repE0EEENS1_30default_config_static_selectorELNS0_4arch9wavefront6targetE0EEEvS12_.uses_vcc, 0
	.set _ZN7rocprim17ROCPRIM_400000_NS6detail17trampoline_kernelINS0_13select_configILj256ELj13ELNS0_17block_load_methodE3ELS4_3ELS4_3ELNS0_20block_scan_algorithmE0ELj4294967295EEENS1_25partition_config_selectorILNS1_17partition_subalgoE4EjNS0_10empty_typeEbEEZZNS1_14partition_implILS8_4ELb0ES6_15HIP_vector_typeIjLj2EENS0_17counting_iteratorIjlEEPS9_SG_NS0_5tupleIJPjSI_NS0_16reverse_iteratorISI_EEEEENSH_IJSG_SG_SG_EEES9_SI_JZNS1_25segmented_radix_sort_implINS0_14default_configELb0EPKfPfPKlPlN2at6native12_GLOBAL__N_18offset_tEEE10hipError_tPvRmT1_PNSt15iterator_traitsIS12_E10value_typeET2_T3_PNS13_IS18_E10value_typeET4_jRbjT5_S1E_jjP12ihipStream_tbEUljE_ZNSN_ISO_Lb0ESQ_SR_ST_SU_SY_EESZ_S10_S11_S12_S16_S17_S18_S1B_S1C_jS1D_jS1E_S1E_jjS1G_bEUljE0_EEESZ_S10_S11_S18_S1C_S1E_T6_T7_T9_mT8_S1G_bDpT10_ENKUlT_T0_E_clISt17integral_constantIbLb1EES1T_IbLb0EEEEDaS1P_S1Q_EUlS1P_E_NS1_11comp_targetILNS1_3genE5ELNS1_11target_archE942ELNS1_3gpuE9ELNS1_3repE0EEENS1_30default_config_static_selectorELNS0_4arch9wavefront6targetE0EEEvS12_.uses_flat_scratch, 0
	.set _ZN7rocprim17ROCPRIM_400000_NS6detail17trampoline_kernelINS0_13select_configILj256ELj13ELNS0_17block_load_methodE3ELS4_3ELS4_3ELNS0_20block_scan_algorithmE0ELj4294967295EEENS1_25partition_config_selectorILNS1_17partition_subalgoE4EjNS0_10empty_typeEbEEZZNS1_14partition_implILS8_4ELb0ES6_15HIP_vector_typeIjLj2EENS0_17counting_iteratorIjlEEPS9_SG_NS0_5tupleIJPjSI_NS0_16reverse_iteratorISI_EEEEENSH_IJSG_SG_SG_EEES9_SI_JZNS1_25segmented_radix_sort_implINS0_14default_configELb0EPKfPfPKlPlN2at6native12_GLOBAL__N_18offset_tEEE10hipError_tPvRmT1_PNSt15iterator_traitsIS12_E10value_typeET2_T3_PNS13_IS18_E10value_typeET4_jRbjT5_S1E_jjP12ihipStream_tbEUljE_ZNSN_ISO_Lb0ESQ_SR_ST_SU_SY_EESZ_S10_S11_S12_S16_S17_S18_S1B_S1C_jS1D_jS1E_S1E_jjS1G_bEUljE0_EEESZ_S10_S11_S18_S1C_S1E_T6_T7_T9_mT8_S1G_bDpT10_ENKUlT_T0_E_clISt17integral_constantIbLb1EES1T_IbLb0EEEEDaS1P_S1Q_EUlS1P_E_NS1_11comp_targetILNS1_3genE5ELNS1_11target_archE942ELNS1_3gpuE9ELNS1_3repE0EEENS1_30default_config_static_selectorELNS0_4arch9wavefront6targetE0EEEvS12_.has_dyn_sized_stack, 0
	.set _ZN7rocprim17ROCPRIM_400000_NS6detail17trampoline_kernelINS0_13select_configILj256ELj13ELNS0_17block_load_methodE3ELS4_3ELS4_3ELNS0_20block_scan_algorithmE0ELj4294967295EEENS1_25partition_config_selectorILNS1_17partition_subalgoE4EjNS0_10empty_typeEbEEZZNS1_14partition_implILS8_4ELb0ES6_15HIP_vector_typeIjLj2EENS0_17counting_iteratorIjlEEPS9_SG_NS0_5tupleIJPjSI_NS0_16reverse_iteratorISI_EEEEENSH_IJSG_SG_SG_EEES9_SI_JZNS1_25segmented_radix_sort_implINS0_14default_configELb0EPKfPfPKlPlN2at6native12_GLOBAL__N_18offset_tEEE10hipError_tPvRmT1_PNSt15iterator_traitsIS12_E10value_typeET2_T3_PNS13_IS18_E10value_typeET4_jRbjT5_S1E_jjP12ihipStream_tbEUljE_ZNSN_ISO_Lb0ESQ_SR_ST_SU_SY_EESZ_S10_S11_S12_S16_S17_S18_S1B_S1C_jS1D_jS1E_S1E_jjS1G_bEUljE0_EEESZ_S10_S11_S18_S1C_S1E_T6_T7_T9_mT8_S1G_bDpT10_ENKUlT_T0_E_clISt17integral_constantIbLb1EES1T_IbLb0EEEEDaS1P_S1Q_EUlS1P_E_NS1_11comp_targetILNS1_3genE5ELNS1_11target_archE942ELNS1_3gpuE9ELNS1_3repE0EEENS1_30default_config_static_selectorELNS0_4arch9wavefront6targetE0EEEvS12_.has_recursion, 0
	.set _ZN7rocprim17ROCPRIM_400000_NS6detail17trampoline_kernelINS0_13select_configILj256ELj13ELNS0_17block_load_methodE3ELS4_3ELS4_3ELNS0_20block_scan_algorithmE0ELj4294967295EEENS1_25partition_config_selectorILNS1_17partition_subalgoE4EjNS0_10empty_typeEbEEZZNS1_14partition_implILS8_4ELb0ES6_15HIP_vector_typeIjLj2EENS0_17counting_iteratorIjlEEPS9_SG_NS0_5tupleIJPjSI_NS0_16reverse_iteratorISI_EEEEENSH_IJSG_SG_SG_EEES9_SI_JZNS1_25segmented_radix_sort_implINS0_14default_configELb0EPKfPfPKlPlN2at6native12_GLOBAL__N_18offset_tEEE10hipError_tPvRmT1_PNSt15iterator_traitsIS12_E10value_typeET2_T3_PNS13_IS18_E10value_typeET4_jRbjT5_S1E_jjP12ihipStream_tbEUljE_ZNSN_ISO_Lb0ESQ_SR_ST_SU_SY_EESZ_S10_S11_S12_S16_S17_S18_S1B_S1C_jS1D_jS1E_S1E_jjS1G_bEUljE0_EEESZ_S10_S11_S18_S1C_S1E_T6_T7_T9_mT8_S1G_bDpT10_ENKUlT_T0_E_clISt17integral_constantIbLb1EES1T_IbLb0EEEEDaS1P_S1Q_EUlS1P_E_NS1_11comp_targetILNS1_3genE5ELNS1_11target_archE942ELNS1_3gpuE9ELNS1_3repE0EEENS1_30default_config_static_selectorELNS0_4arch9wavefront6targetE0EEEvS12_.has_indirect_call, 0
	.section	.AMDGPU.csdata,"",@progbits
; Kernel info:
; codeLenInByte = 0
; TotalNumSgprs: 0
; NumVgprs: 0
; ScratchSize: 0
; MemoryBound: 0
; FloatMode: 240
; IeeeMode: 1
; LDSByteSize: 0 bytes/workgroup (compile time only)
; SGPRBlocks: 0
; VGPRBlocks: 0
; NumSGPRsForWavesPerEU: 1
; NumVGPRsForWavesPerEU: 1
; NamedBarCnt: 0
; Occupancy: 16
; WaveLimiterHint : 0
; COMPUTE_PGM_RSRC2:SCRATCH_EN: 0
; COMPUTE_PGM_RSRC2:USER_SGPR: 2
; COMPUTE_PGM_RSRC2:TRAP_HANDLER: 0
; COMPUTE_PGM_RSRC2:TGID_X_EN: 1
; COMPUTE_PGM_RSRC2:TGID_Y_EN: 0
; COMPUTE_PGM_RSRC2:TGID_Z_EN: 0
; COMPUTE_PGM_RSRC2:TIDIG_COMP_CNT: 0
	.section	.text._ZN7rocprim17ROCPRIM_400000_NS6detail17trampoline_kernelINS0_13select_configILj256ELj13ELNS0_17block_load_methodE3ELS4_3ELS4_3ELNS0_20block_scan_algorithmE0ELj4294967295EEENS1_25partition_config_selectorILNS1_17partition_subalgoE4EjNS0_10empty_typeEbEEZZNS1_14partition_implILS8_4ELb0ES6_15HIP_vector_typeIjLj2EENS0_17counting_iteratorIjlEEPS9_SG_NS0_5tupleIJPjSI_NS0_16reverse_iteratorISI_EEEEENSH_IJSG_SG_SG_EEES9_SI_JZNS1_25segmented_radix_sort_implINS0_14default_configELb0EPKfPfPKlPlN2at6native12_GLOBAL__N_18offset_tEEE10hipError_tPvRmT1_PNSt15iterator_traitsIS12_E10value_typeET2_T3_PNS13_IS18_E10value_typeET4_jRbjT5_S1E_jjP12ihipStream_tbEUljE_ZNSN_ISO_Lb0ESQ_SR_ST_SU_SY_EESZ_S10_S11_S12_S16_S17_S18_S1B_S1C_jS1D_jS1E_S1E_jjS1G_bEUljE0_EEESZ_S10_S11_S18_S1C_S1E_T6_T7_T9_mT8_S1G_bDpT10_ENKUlT_T0_E_clISt17integral_constantIbLb1EES1T_IbLb0EEEEDaS1P_S1Q_EUlS1P_E_NS1_11comp_targetILNS1_3genE4ELNS1_11target_archE910ELNS1_3gpuE8ELNS1_3repE0EEENS1_30default_config_static_selectorELNS0_4arch9wavefront6targetE0EEEvS12_,"axG",@progbits,_ZN7rocprim17ROCPRIM_400000_NS6detail17trampoline_kernelINS0_13select_configILj256ELj13ELNS0_17block_load_methodE3ELS4_3ELS4_3ELNS0_20block_scan_algorithmE0ELj4294967295EEENS1_25partition_config_selectorILNS1_17partition_subalgoE4EjNS0_10empty_typeEbEEZZNS1_14partition_implILS8_4ELb0ES6_15HIP_vector_typeIjLj2EENS0_17counting_iteratorIjlEEPS9_SG_NS0_5tupleIJPjSI_NS0_16reverse_iteratorISI_EEEEENSH_IJSG_SG_SG_EEES9_SI_JZNS1_25segmented_radix_sort_implINS0_14default_configELb0EPKfPfPKlPlN2at6native12_GLOBAL__N_18offset_tEEE10hipError_tPvRmT1_PNSt15iterator_traitsIS12_E10value_typeET2_T3_PNS13_IS18_E10value_typeET4_jRbjT5_S1E_jjP12ihipStream_tbEUljE_ZNSN_ISO_Lb0ESQ_SR_ST_SU_SY_EESZ_S10_S11_S12_S16_S17_S18_S1B_S1C_jS1D_jS1E_S1E_jjS1G_bEUljE0_EEESZ_S10_S11_S18_S1C_S1E_T6_T7_T9_mT8_S1G_bDpT10_ENKUlT_T0_E_clISt17integral_constantIbLb1EES1T_IbLb0EEEEDaS1P_S1Q_EUlS1P_E_NS1_11comp_targetILNS1_3genE4ELNS1_11target_archE910ELNS1_3gpuE8ELNS1_3repE0EEENS1_30default_config_static_selectorELNS0_4arch9wavefront6targetE0EEEvS12_,comdat
	.globl	_ZN7rocprim17ROCPRIM_400000_NS6detail17trampoline_kernelINS0_13select_configILj256ELj13ELNS0_17block_load_methodE3ELS4_3ELS4_3ELNS0_20block_scan_algorithmE0ELj4294967295EEENS1_25partition_config_selectorILNS1_17partition_subalgoE4EjNS0_10empty_typeEbEEZZNS1_14partition_implILS8_4ELb0ES6_15HIP_vector_typeIjLj2EENS0_17counting_iteratorIjlEEPS9_SG_NS0_5tupleIJPjSI_NS0_16reverse_iteratorISI_EEEEENSH_IJSG_SG_SG_EEES9_SI_JZNS1_25segmented_radix_sort_implINS0_14default_configELb0EPKfPfPKlPlN2at6native12_GLOBAL__N_18offset_tEEE10hipError_tPvRmT1_PNSt15iterator_traitsIS12_E10value_typeET2_T3_PNS13_IS18_E10value_typeET4_jRbjT5_S1E_jjP12ihipStream_tbEUljE_ZNSN_ISO_Lb0ESQ_SR_ST_SU_SY_EESZ_S10_S11_S12_S16_S17_S18_S1B_S1C_jS1D_jS1E_S1E_jjS1G_bEUljE0_EEESZ_S10_S11_S18_S1C_S1E_T6_T7_T9_mT8_S1G_bDpT10_ENKUlT_T0_E_clISt17integral_constantIbLb1EES1T_IbLb0EEEEDaS1P_S1Q_EUlS1P_E_NS1_11comp_targetILNS1_3genE4ELNS1_11target_archE910ELNS1_3gpuE8ELNS1_3repE0EEENS1_30default_config_static_selectorELNS0_4arch9wavefront6targetE0EEEvS12_ ; -- Begin function _ZN7rocprim17ROCPRIM_400000_NS6detail17trampoline_kernelINS0_13select_configILj256ELj13ELNS0_17block_load_methodE3ELS4_3ELS4_3ELNS0_20block_scan_algorithmE0ELj4294967295EEENS1_25partition_config_selectorILNS1_17partition_subalgoE4EjNS0_10empty_typeEbEEZZNS1_14partition_implILS8_4ELb0ES6_15HIP_vector_typeIjLj2EENS0_17counting_iteratorIjlEEPS9_SG_NS0_5tupleIJPjSI_NS0_16reverse_iteratorISI_EEEEENSH_IJSG_SG_SG_EEES9_SI_JZNS1_25segmented_radix_sort_implINS0_14default_configELb0EPKfPfPKlPlN2at6native12_GLOBAL__N_18offset_tEEE10hipError_tPvRmT1_PNSt15iterator_traitsIS12_E10value_typeET2_T3_PNS13_IS18_E10value_typeET4_jRbjT5_S1E_jjP12ihipStream_tbEUljE_ZNSN_ISO_Lb0ESQ_SR_ST_SU_SY_EESZ_S10_S11_S12_S16_S17_S18_S1B_S1C_jS1D_jS1E_S1E_jjS1G_bEUljE0_EEESZ_S10_S11_S18_S1C_S1E_T6_T7_T9_mT8_S1G_bDpT10_ENKUlT_T0_E_clISt17integral_constantIbLb1EES1T_IbLb0EEEEDaS1P_S1Q_EUlS1P_E_NS1_11comp_targetILNS1_3genE4ELNS1_11target_archE910ELNS1_3gpuE8ELNS1_3repE0EEENS1_30default_config_static_selectorELNS0_4arch9wavefront6targetE0EEEvS12_
	.p2align	8
	.type	_ZN7rocprim17ROCPRIM_400000_NS6detail17trampoline_kernelINS0_13select_configILj256ELj13ELNS0_17block_load_methodE3ELS4_3ELS4_3ELNS0_20block_scan_algorithmE0ELj4294967295EEENS1_25partition_config_selectorILNS1_17partition_subalgoE4EjNS0_10empty_typeEbEEZZNS1_14partition_implILS8_4ELb0ES6_15HIP_vector_typeIjLj2EENS0_17counting_iteratorIjlEEPS9_SG_NS0_5tupleIJPjSI_NS0_16reverse_iteratorISI_EEEEENSH_IJSG_SG_SG_EEES9_SI_JZNS1_25segmented_radix_sort_implINS0_14default_configELb0EPKfPfPKlPlN2at6native12_GLOBAL__N_18offset_tEEE10hipError_tPvRmT1_PNSt15iterator_traitsIS12_E10value_typeET2_T3_PNS13_IS18_E10value_typeET4_jRbjT5_S1E_jjP12ihipStream_tbEUljE_ZNSN_ISO_Lb0ESQ_SR_ST_SU_SY_EESZ_S10_S11_S12_S16_S17_S18_S1B_S1C_jS1D_jS1E_S1E_jjS1G_bEUljE0_EEESZ_S10_S11_S18_S1C_S1E_T6_T7_T9_mT8_S1G_bDpT10_ENKUlT_T0_E_clISt17integral_constantIbLb1EES1T_IbLb0EEEEDaS1P_S1Q_EUlS1P_E_NS1_11comp_targetILNS1_3genE4ELNS1_11target_archE910ELNS1_3gpuE8ELNS1_3repE0EEENS1_30default_config_static_selectorELNS0_4arch9wavefront6targetE0EEEvS12_,@function
_ZN7rocprim17ROCPRIM_400000_NS6detail17trampoline_kernelINS0_13select_configILj256ELj13ELNS0_17block_load_methodE3ELS4_3ELS4_3ELNS0_20block_scan_algorithmE0ELj4294967295EEENS1_25partition_config_selectorILNS1_17partition_subalgoE4EjNS0_10empty_typeEbEEZZNS1_14partition_implILS8_4ELb0ES6_15HIP_vector_typeIjLj2EENS0_17counting_iteratorIjlEEPS9_SG_NS0_5tupleIJPjSI_NS0_16reverse_iteratorISI_EEEEENSH_IJSG_SG_SG_EEES9_SI_JZNS1_25segmented_radix_sort_implINS0_14default_configELb0EPKfPfPKlPlN2at6native12_GLOBAL__N_18offset_tEEE10hipError_tPvRmT1_PNSt15iterator_traitsIS12_E10value_typeET2_T3_PNS13_IS18_E10value_typeET4_jRbjT5_S1E_jjP12ihipStream_tbEUljE_ZNSN_ISO_Lb0ESQ_SR_ST_SU_SY_EESZ_S10_S11_S12_S16_S17_S18_S1B_S1C_jS1D_jS1E_S1E_jjS1G_bEUljE0_EEESZ_S10_S11_S18_S1C_S1E_T6_T7_T9_mT8_S1G_bDpT10_ENKUlT_T0_E_clISt17integral_constantIbLb1EES1T_IbLb0EEEEDaS1P_S1Q_EUlS1P_E_NS1_11comp_targetILNS1_3genE4ELNS1_11target_archE910ELNS1_3gpuE8ELNS1_3repE0EEENS1_30default_config_static_selectorELNS0_4arch9wavefront6targetE0EEEvS12_: ; @_ZN7rocprim17ROCPRIM_400000_NS6detail17trampoline_kernelINS0_13select_configILj256ELj13ELNS0_17block_load_methodE3ELS4_3ELS4_3ELNS0_20block_scan_algorithmE0ELj4294967295EEENS1_25partition_config_selectorILNS1_17partition_subalgoE4EjNS0_10empty_typeEbEEZZNS1_14partition_implILS8_4ELb0ES6_15HIP_vector_typeIjLj2EENS0_17counting_iteratorIjlEEPS9_SG_NS0_5tupleIJPjSI_NS0_16reverse_iteratorISI_EEEEENSH_IJSG_SG_SG_EEES9_SI_JZNS1_25segmented_radix_sort_implINS0_14default_configELb0EPKfPfPKlPlN2at6native12_GLOBAL__N_18offset_tEEE10hipError_tPvRmT1_PNSt15iterator_traitsIS12_E10value_typeET2_T3_PNS13_IS18_E10value_typeET4_jRbjT5_S1E_jjP12ihipStream_tbEUljE_ZNSN_ISO_Lb0ESQ_SR_ST_SU_SY_EESZ_S10_S11_S12_S16_S17_S18_S1B_S1C_jS1D_jS1E_S1E_jjS1G_bEUljE0_EEESZ_S10_S11_S18_S1C_S1E_T6_T7_T9_mT8_S1G_bDpT10_ENKUlT_T0_E_clISt17integral_constantIbLb1EES1T_IbLb0EEEEDaS1P_S1Q_EUlS1P_E_NS1_11comp_targetILNS1_3genE4ELNS1_11target_archE910ELNS1_3gpuE8ELNS1_3repE0EEENS1_30default_config_static_selectorELNS0_4arch9wavefront6targetE0EEEvS12_
; %bb.0:
	.section	.rodata,"a",@progbits
	.p2align	6, 0x0
	.amdhsa_kernel _ZN7rocprim17ROCPRIM_400000_NS6detail17trampoline_kernelINS0_13select_configILj256ELj13ELNS0_17block_load_methodE3ELS4_3ELS4_3ELNS0_20block_scan_algorithmE0ELj4294967295EEENS1_25partition_config_selectorILNS1_17partition_subalgoE4EjNS0_10empty_typeEbEEZZNS1_14partition_implILS8_4ELb0ES6_15HIP_vector_typeIjLj2EENS0_17counting_iteratorIjlEEPS9_SG_NS0_5tupleIJPjSI_NS0_16reverse_iteratorISI_EEEEENSH_IJSG_SG_SG_EEES9_SI_JZNS1_25segmented_radix_sort_implINS0_14default_configELb0EPKfPfPKlPlN2at6native12_GLOBAL__N_18offset_tEEE10hipError_tPvRmT1_PNSt15iterator_traitsIS12_E10value_typeET2_T3_PNS13_IS18_E10value_typeET4_jRbjT5_S1E_jjP12ihipStream_tbEUljE_ZNSN_ISO_Lb0ESQ_SR_ST_SU_SY_EESZ_S10_S11_S12_S16_S17_S18_S1B_S1C_jS1D_jS1E_S1E_jjS1G_bEUljE0_EEESZ_S10_S11_S18_S1C_S1E_T6_T7_T9_mT8_S1G_bDpT10_ENKUlT_T0_E_clISt17integral_constantIbLb1EES1T_IbLb0EEEEDaS1P_S1Q_EUlS1P_E_NS1_11comp_targetILNS1_3genE4ELNS1_11target_archE910ELNS1_3gpuE8ELNS1_3repE0EEENS1_30default_config_static_selectorELNS0_4arch9wavefront6targetE0EEEvS12_
		.amdhsa_group_segment_fixed_size 0
		.amdhsa_private_segment_fixed_size 0
		.amdhsa_kernarg_size 176
		.amdhsa_user_sgpr_count 2
		.amdhsa_user_sgpr_dispatch_ptr 0
		.amdhsa_user_sgpr_queue_ptr 0
		.amdhsa_user_sgpr_kernarg_segment_ptr 1
		.amdhsa_user_sgpr_dispatch_id 0
		.amdhsa_user_sgpr_kernarg_preload_length 0
		.amdhsa_user_sgpr_kernarg_preload_offset 0
		.amdhsa_user_sgpr_private_segment_size 0
		.amdhsa_wavefront_size32 1
		.amdhsa_uses_dynamic_stack 0
		.amdhsa_enable_private_segment 0
		.amdhsa_system_sgpr_workgroup_id_x 1
		.amdhsa_system_sgpr_workgroup_id_y 0
		.amdhsa_system_sgpr_workgroup_id_z 0
		.amdhsa_system_sgpr_workgroup_info 0
		.amdhsa_system_vgpr_workitem_id 0
		.amdhsa_next_free_vgpr 1
		.amdhsa_next_free_sgpr 1
		.amdhsa_named_barrier_count 0
		.amdhsa_reserve_vcc 0
		.amdhsa_float_round_mode_32 0
		.amdhsa_float_round_mode_16_64 0
		.amdhsa_float_denorm_mode_32 3
		.amdhsa_float_denorm_mode_16_64 3
		.amdhsa_fp16_overflow 0
		.amdhsa_memory_ordered 1
		.amdhsa_forward_progress 1
		.amdhsa_inst_pref_size 0
		.amdhsa_round_robin_scheduling 0
		.amdhsa_exception_fp_ieee_invalid_op 0
		.amdhsa_exception_fp_denorm_src 0
		.amdhsa_exception_fp_ieee_div_zero 0
		.amdhsa_exception_fp_ieee_overflow 0
		.amdhsa_exception_fp_ieee_underflow 0
		.amdhsa_exception_fp_ieee_inexact 0
		.amdhsa_exception_int_div_zero 0
	.end_amdhsa_kernel
	.section	.text._ZN7rocprim17ROCPRIM_400000_NS6detail17trampoline_kernelINS0_13select_configILj256ELj13ELNS0_17block_load_methodE3ELS4_3ELS4_3ELNS0_20block_scan_algorithmE0ELj4294967295EEENS1_25partition_config_selectorILNS1_17partition_subalgoE4EjNS0_10empty_typeEbEEZZNS1_14partition_implILS8_4ELb0ES6_15HIP_vector_typeIjLj2EENS0_17counting_iteratorIjlEEPS9_SG_NS0_5tupleIJPjSI_NS0_16reverse_iteratorISI_EEEEENSH_IJSG_SG_SG_EEES9_SI_JZNS1_25segmented_radix_sort_implINS0_14default_configELb0EPKfPfPKlPlN2at6native12_GLOBAL__N_18offset_tEEE10hipError_tPvRmT1_PNSt15iterator_traitsIS12_E10value_typeET2_T3_PNS13_IS18_E10value_typeET4_jRbjT5_S1E_jjP12ihipStream_tbEUljE_ZNSN_ISO_Lb0ESQ_SR_ST_SU_SY_EESZ_S10_S11_S12_S16_S17_S18_S1B_S1C_jS1D_jS1E_S1E_jjS1G_bEUljE0_EEESZ_S10_S11_S18_S1C_S1E_T6_T7_T9_mT8_S1G_bDpT10_ENKUlT_T0_E_clISt17integral_constantIbLb1EES1T_IbLb0EEEEDaS1P_S1Q_EUlS1P_E_NS1_11comp_targetILNS1_3genE4ELNS1_11target_archE910ELNS1_3gpuE8ELNS1_3repE0EEENS1_30default_config_static_selectorELNS0_4arch9wavefront6targetE0EEEvS12_,"axG",@progbits,_ZN7rocprim17ROCPRIM_400000_NS6detail17trampoline_kernelINS0_13select_configILj256ELj13ELNS0_17block_load_methodE3ELS4_3ELS4_3ELNS0_20block_scan_algorithmE0ELj4294967295EEENS1_25partition_config_selectorILNS1_17partition_subalgoE4EjNS0_10empty_typeEbEEZZNS1_14partition_implILS8_4ELb0ES6_15HIP_vector_typeIjLj2EENS0_17counting_iteratorIjlEEPS9_SG_NS0_5tupleIJPjSI_NS0_16reverse_iteratorISI_EEEEENSH_IJSG_SG_SG_EEES9_SI_JZNS1_25segmented_radix_sort_implINS0_14default_configELb0EPKfPfPKlPlN2at6native12_GLOBAL__N_18offset_tEEE10hipError_tPvRmT1_PNSt15iterator_traitsIS12_E10value_typeET2_T3_PNS13_IS18_E10value_typeET4_jRbjT5_S1E_jjP12ihipStream_tbEUljE_ZNSN_ISO_Lb0ESQ_SR_ST_SU_SY_EESZ_S10_S11_S12_S16_S17_S18_S1B_S1C_jS1D_jS1E_S1E_jjS1G_bEUljE0_EEESZ_S10_S11_S18_S1C_S1E_T6_T7_T9_mT8_S1G_bDpT10_ENKUlT_T0_E_clISt17integral_constantIbLb1EES1T_IbLb0EEEEDaS1P_S1Q_EUlS1P_E_NS1_11comp_targetILNS1_3genE4ELNS1_11target_archE910ELNS1_3gpuE8ELNS1_3repE0EEENS1_30default_config_static_selectorELNS0_4arch9wavefront6targetE0EEEvS12_,comdat
.Lfunc_end1375:
	.size	_ZN7rocprim17ROCPRIM_400000_NS6detail17trampoline_kernelINS0_13select_configILj256ELj13ELNS0_17block_load_methodE3ELS4_3ELS4_3ELNS0_20block_scan_algorithmE0ELj4294967295EEENS1_25partition_config_selectorILNS1_17partition_subalgoE4EjNS0_10empty_typeEbEEZZNS1_14partition_implILS8_4ELb0ES6_15HIP_vector_typeIjLj2EENS0_17counting_iteratorIjlEEPS9_SG_NS0_5tupleIJPjSI_NS0_16reverse_iteratorISI_EEEEENSH_IJSG_SG_SG_EEES9_SI_JZNS1_25segmented_radix_sort_implINS0_14default_configELb0EPKfPfPKlPlN2at6native12_GLOBAL__N_18offset_tEEE10hipError_tPvRmT1_PNSt15iterator_traitsIS12_E10value_typeET2_T3_PNS13_IS18_E10value_typeET4_jRbjT5_S1E_jjP12ihipStream_tbEUljE_ZNSN_ISO_Lb0ESQ_SR_ST_SU_SY_EESZ_S10_S11_S12_S16_S17_S18_S1B_S1C_jS1D_jS1E_S1E_jjS1G_bEUljE0_EEESZ_S10_S11_S18_S1C_S1E_T6_T7_T9_mT8_S1G_bDpT10_ENKUlT_T0_E_clISt17integral_constantIbLb1EES1T_IbLb0EEEEDaS1P_S1Q_EUlS1P_E_NS1_11comp_targetILNS1_3genE4ELNS1_11target_archE910ELNS1_3gpuE8ELNS1_3repE0EEENS1_30default_config_static_selectorELNS0_4arch9wavefront6targetE0EEEvS12_, .Lfunc_end1375-_ZN7rocprim17ROCPRIM_400000_NS6detail17trampoline_kernelINS0_13select_configILj256ELj13ELNS0_17block_load_methodE3ELS4_3ELS4_3ELNS0_20block_scan_algorithmE0ELj4294967295EEENS1_25partition_config_selectorILNS1_17partition_subalgoE4EjNS0_10empty_typeEbEEZZNS1_14partition_implILS8_4ELb0ES6_15HIP_vector_typeIjLj2EENS0_17counting_iteratorIjlEEPS9_SG_NS0_5tupleIJPjSI_NS0_16reverse_iteratorISI_EEEEENSH_IJSG_SG_SG_EEES9_SI_JZNS1_25segmented_radix_sort_implINS0_14default_configELb0EPKfPfPKlPlN2at6native12_GLOBAL__N_18offset_tEEE10hipError_tPvRmT1_PNSt15iterator_traitsIS12_E10value_typeET2_T3_PNS13_IS18_E10value_typeET4_jRbjT5_S1E_jjP12ihipStream_tbEUljE_ZNSN_ISO_Lb0ESQ_SR_ST_SU_SY_EESZ_S10_S11_S12_S16_S17_S18_S1B_S1C_jS1D_jS1E_S1E_jjS1G_bEUljE0_EEESZ_S10_S11_S18_S1C_S1E_T6_T7_T9_mT8_S1G_bDpT10_ENKUlT_T0_E_clISt17integral_constantIbLb1EES1T_IbLb0EEEEDaS1P_S1Q_EUlS1P_E_NS1_11comp_targetILNS1_3genE4ELNS1_11target_archE910ELNS1_3gpuE8ELNS1_3repE0EEENS1_30default_config_static_selectorELNS0_4arch9wavefront6targetE0EEEvS12_
                                        ; -- End function
	.set _ZN7rocprim17ROCPRIM_400000_NS6detail17trampoline_kernelINS0_13select_configILj256ELj13ELNS0_17block_load_methodE3ELS4_3ELS4_3ELNS0_20block_scan_algorithmE0ELj4294967295EEENS1_25partition_config_selectorILNS1_17partition_subalgoE4EjNS0_10empty_typeEbEEZZNS1_14partition_implILS8_4ELb0ES6_15HIP_vector_typeIjLj2EENS0_17counting_iteratorIjlEEPS9_SG_NS0_5tupleIJPjSI_NS0_16reverse_iteratorISI_EEEEENSH_IJSG_SG_SG_EEES9_SI_JZNS1_25segmented_radix_sort_implINS0_14default_configELb0EPKfPfPKlPlN2at6native12_GLOBAL__N_18offset_tEEE10hipError_tPvRmT1_PNSt15iterator_traitsIS12_E10value_typeET2_T3_PNS13_IS18_E10value_typeET4_jRbjT5_S1E_jjP12ihipStream_tbEUljE_ZNSN_ISO_Lb0ESQ_SR_ST_SU_SY_EESZ_S10_S11_S12_S16_S17_S18_S1B_S1C_jS1D_jS1E_S1E_jjS1G_bEUljE0_EEESZ_S10_S11_S18_S1C_S1E_T6_T7_T9_mT8_S1G_bDpT10_ENKUlT_T0_E_clISt17integral_constantIbLb1EES1T_IbLb0EEEEDaS1P_S1Q_EUlS1P_E_NS1_11comp_targetILNS1_3genE4ELNS1_11target_archE910ELNS1_3gpuE8ELNS1_3repE0EEENS1_30default_config_static_selectorELNS0_4arch9wavefront6targetE0EEEvS12_.num_vgpr, 0
	.set _ZN7rocprim17ROCPRIM_400000_NS6detail17trampoline_kernelINS0_13select_configILj256ELj13ELNS0_17block_load_methodE3ELS4_3ELS4_3ELNS0_20block_scan_algorithmE0ELj4294967295EEENS1_25partition_config_selectorILNS1_17partition_subalgoE4EjNS0_10empty_typeEbEEZZNS1_14partition_implILS8_4ELb0ES6_15HIP_vector_typeIjLj2EENS0_17counting_iteratorIjlEEPS9_SG_NS0_5tupleIJPjSI_NS0_16reverse_iteratorISI_EEEEENSH_IJSG_SG_SG_EEES9_SI_JZNS1_25segmented_radix_sort_implINS0_14default_configELb0EPKfPfPKlPlN2at6native12_GLOBAL__N_18offset_tEEE10hipError_tPvRmT1_PNSt15iterator_traitsIS12_E10value_typeET2_T3_PNS13_IS18_E10value_typeET4_jRbjT5_S1E_jjP12ihipStream_tbEUljE_ZNSN_ISO_Lb0ESQ_SR_ST_SU_SY_EESZ_S10_S11_S12_S16_S17_S18_S1B_S1C_jS1D_jS1E_S1E_jjS1G_bEUljE0_EEESZ_S10_S11_S18_S1C_S1E_T6_T7_T9_mT8_S1G_bDpT10_ENKUlT_T0_E_clISt17integral_constantIbLb1EES1T_IbLb0EEEEDaS1P_S1Q_EUlS1P_E_NS1_11comp_targetILNS1_3genE4ELNS1_11target_archE910ELNS1_3gpuE8ELNS1_3repE0EEENS1_30default_config_static_selectorELNS0_4arch9wavefront6targetE0EEEvS12_.num_agpr, 0
	.set _ZN7rocprim17ROCPRIM_400000_NS6detail17trampoline_kernelINS0_13select_configILj256ELj13ELNS0_17block_load_methodE3ELS4_3ELS4_3ELNS0_20block_scan_algorithmE0ELj4294967295EEENS1_25partition_config_selectorILNS1_17partition_subalgoE4EjNS0_10empty_typeEbEEZZNS1_14partition_implILS8_4ELb0ES6_15HIP_vector_typeIjLj2EENS0_17counting_iteratorIjlEEPS9_SG_NS0_5tupleIJPjSI_NS0_16reverse_iteratorISI_EEEEENSH_IJSG_SG_SG_EEES9_SI_JZNS1_25segmented_radix_sort_implINS0_14default_configELb0EPKfPfPKlPlN2at6native12_GLOBAL__N_18offset_tEEE10hipError_tPvRmT1_PNSt15iterator_traitsIS12_E10value_typeET2_T3_PNS13_IS18_E10value_typeET4_jRbjT5_S1E_jjP12ihipStream_tbEUljE_ZNSN_ISO_Lb0ESQ_SR_ST_SU_SY_EESZ_S10_S11_S12_S16_S17_S18_S1B_S1C_jS1D_jS1E_S1E_jjS1G_bEUljE0_EEESZ_S10_S11_S18_S1C_S1E_T6_T7_T9_mT8_S1G_bDpT10_ENKUlT_T0_E_clISt17integral_constantIbLb1EES1T_IbLb0EEEEDaS1P_S1Q_EUlS1P_E_NS1_11comp_targetILNS1_3genE4ELNS1_11target_archE910ELNS1_3gpuE8ELNS1_3repE0EEENS1_30default_config_static_selectorELNS0_4arch9wavefront6targetE0EEEvS12_.numbered_sgpr, 0
	.set _ZN7rocprim17ROCPRIM_400000_NS6detail17trampoline_kernelINS0_13select_configILj256ELj13ELNS0_17block_load_methodE3ELS4_3ELS4_3ELNS0_20block_scan_algorithmE0ELj4294967295EEENS1_25partition_config_selectorILNS1_17partition_subalgoE4EjNS0_10empty_typeEbEEZZNS1_14partition_implILS8_4ELb0ES6_15HIP_vector_typeIjLj2EENS0_17counting_iteratorIjlEEPS9_SG_NS0_5tupleIJPjSI_NS0_16reverse_iteratorISI_EEEEENSH_IJSG_SG_SG_EEES9_SI_JZNS1_25segmented_radix_sort_implINS0_14default_configELb0EPKfPfPKlPlN2at6native12_GLOBAL__N_18offset_tEEE10hipError_tPvRmT1_PNSt15iterator_traitsIS12_E10value_typeET2_T3_PNS13_IS18_E10value_typeET4_jRbjT5_S1E_jjP12ihipStream_tbEUljE_ZNSN_ISO_Lb0ESQ_SR_ST_SU_SY_EESZ_S10_S11_S12_S16_S17_S18_S1B_S1C_jS1D_jS1E_S1E_jjS1G_bEUljE0_EEESZ_S10_S11_S18_S1C_S1E_T6_T7_T9_mT8_S1G_bDpT10_ENKUlT_T0_E_clISt17integral_constantIbLb1EES1T_IbLb0EEEEDaS1P_S1Q_EUlS1P_E_NS1_11comp_targetILNS1_3genE4ELNS1_11target_archE910ELNS1_3gpuE8ELNS1_3repE0EEENS1_30default_config_static_selectorELNS0_4arch9wavefront6targetE0EEEvS12_.num_named_barrier, 0
	.set _ZN7rocprim17ROCPRIM_400000_NS6detail17trampoline_kernelINS0_13select_configILj256ELj13ELNS0_17block_load_methodE3ELS4_3ELS4_3ELNS0_20block_scan_algorithmE0ELj4294967295EEENS1_25partition_config_selectorILNS1_17partition_subalgoE4EjNS0_10empty_typeEbEEZZNS1_14partition_implILS8_4ELb0ES6_15HIP_vector_typeIjLj2EENS0_17counting_iteratorIjlEEPS9_SG_NS0_5tupleIJPjSI_NS0_16reverse_iteratorISI_EEEEENSH_IJSG_SG_SG_EEES9_SI_JZNS1_25segmented_radix_sort_implINS0_14default_configELb0EPKfPfPKlPlN2at6native12_GLOBAL__N_18offset_tEEE10hipError_tPvRmT1_PNSt15iterator_traitsIS12_E10value_typeET2_T3_PNS13_IS18_E10value_typeET4_jRbjT5_S1E_jjP12ihipStream_tbEUljE_ZNSN_ISO_Lb0ESQ_SR_ST_SU_SY_EESZ_S10_S11_S12_S16_S17_S18_S1B_S1C_jS1D_jS1E_S1E_jjS1G_bEUljE0_EEESZ_S10_S11_S18_S1C_S1E_T6_T7_T9_mT8_S1G_bDpT10_ENKUlT_T0_E_clISt17integral_constantIbLb1EES1T_IbLb0EEEEDaS1P_S1Q_EUlS1P_E_NS1_11comp_targetILNS1_3genE4ELNS1_11target_archE910ELNS1_3gpuE8ELNS1_3repE0EEENS1_30default_config_static_selectorELNS0_4arch9wavefront6targetE0EEEvS12_.private_seg_size, 0
	.set _ZN7rocprim17ROCPRIM_400000_NS6detail17trampoline_kernelINS0_13select_configILj256ELj13ELNS0_17block_load_methodE3ELS4_3ELS4_3ELNS0_20block_scan_algorithmE0ELj4294967295EEENS1_25partition_config_selectorILNS1_17partition_subalgoE4EjNS0_10empty_typeEbEEZZNS1_14partition_implILS8_4ELb0ES6_15HIP_vector_typeIjLj2EENS0_17counting_iteratorIjlEEPS9_SG_NS0_5tupleIJPjSI_NS0_16reverse_iteratorISI_EEEEENSH_IJSG_SG_SG_EEES9_SI_JZNS1_25segmented_radix_sort_implINS0_14default_configELb0EPKfPfPKlPlN2at6native12_GLOBAL__N_18offset_tEEE10hipError_tPvRmT1_PNSt15iterator_traitsIS12_E10value_typeET2_T3_PNS13_IS18_E10value_typeET4_jRbjT5_S1E_jjP12ihipStream_tbEUljE_ZNSN_ISO_Lb0ESQ_SR_ST_SU_SY_EESZ_S10_S11_S12_S16_S17_S18_S1B_S1C_jS1D_jS1E_S1E_jjS1G_bEUljE0_EEESZ_S10_S11_S18_S1C_S1E_T6_T7_T9_mT8_S1G_bDpT10_ENKUlT_T0_E_clISt17integral_constantIbLb1EES1T_IbLb0EEEEDaS1P_S1Q_EUlS1P_E_NS1_11comp_targetILNS1_3genE4ELNS1_11target_archE910ELNS1_3gpuE8ELNS1_3repE0EEENS1_30default_config_static_selectorELNS0_4arch9wavefront6targetE0EEEvS12_.uses_vcc, 0
	.set _ZN7rocprim17ROCPRIM_400000_NS6detail17trampoline_kernelINS0_13select_configILj256ELj13ELNS0_17block_load_methodE3ELS4_3ELS4_3ELNS0_20block_scan_algorithmE0ELj4294967295EEENS1_25partition_config_selectorILNS1_17partition_subalgoE4EjNS0_10empty_typeEbEEZZNS1_14partition_implILS8_4ELb0ES6_15HIP_vector_typeIjLj2EENS0_17counting_iteratorIjlEEPS9_SG_NS0_5tupleIJPjSI_NS0_16reverse_iteratorISI_EEEEENSH_IJSG_SG_SG_EEES9_SI_JZNS1_25segmented_radix_sort_implINS0_14default_configELb0EPKfPfPKlPlN2at6native12_GLOBAL__N_18offset_tEEE10hipError_tPvRmT1_PNSt15iterator_traitsIS12_E10value_typeET2_T3_PNS13_IS18_E10value_typeET4_jRbjT5_S1E_jjP12ihipStream_tbEUljE_ZNSN_ISO_Lb0ESQ_SR_ST_SU_SY_EESZ_S10_S11_S12_S16_S17_S18_S1B_S1C_jS1D_jS1E_S1E_jjS1G_bEUljE0_EEESZ_S10_S11_S18_S1C_S1E_T6_T7_T9_mT8_S1G_bDpT10_ENKUlT_T0_E_clISt17integral_constantIbLb1EES1T_IbLb0EEEEDaS1P_S1Q_EUlS1P_E_NS1_11comp_targetILNS1_3genE4ELNS1_11target_archE910ELNS1_3gpuE8ELNS1_3repE0EEENS1_30default_config_static_selectorELNS0_4arch9wavefront6targetE0EEEvS12_.uses_flat_scratch, 0
	.set _ZN7rocprim17ROCPRIM_400000_NS6detail17trampoline_kernelINS0_13select_configILj256ELj13ELNS0_17block_load_methodE3ELS4_3ELS4_3ELNS0_20block_scan_algorithmE0ELj4294967295EEENS1_25partition_config_selectorILNS1_17partition_subalgoE4EjNS0_10empty_typeEbEEZZNS1_14partition_implILS8_4ELb0ES6_15HIP_vector_typeIjLj2EENS0_17counting_iteratorIjlEEPS9_SG_NS0_5tupleIJPjSI_NS0_16reverse_iteratorISI_EEEEENSH_IJSG_SG_SG_EEES9_SI_JZNS1_25segmented_radix_sort_implINS0_14default_configELb0EPKfPfPKlPlN2at6native12_GLOBAL__N_18offset_tEEE10hipError_tPvRmT1_PNSt15iterator_traitsIS12_E10value_typeET2_T3_PNS13_IS18_E10value_typeET4_jRbjT5_S1E_jjP12ihipStream_tbEUljE_ZNSN_ISO_Lb0ESQ_SR_ST_SU_SY_EESZ_S10_S11_S12_S16_S17_S18_S1B_S1C_jS1D_jS1E_S1E_jjS1G_bEUljE0_EEESZ_S10_S11_S18_S1C_S1E_T6_T7_T9_mT8_S1G_bDpT10_ENKUlT_T0_E_clISt17integral_constantIbLb1EES1T_IbLb0EEEEDaS1P_S1Q_EUlS1P_E_NS1_11comp_targetILNS1_3genE4ELNS1_11target_archE910ELNS1_3gpuE8ELNS1_3repE0EEENS1_30default_config_static_selectorELNS0_4arch9wavefront6targetE0EEEvS12_.has_dyn_sized_stack, 0
	.set _ZN7rocprim17ROCPRIM_400000_NS6detail17trampoline_kernelINS0_13select_configILj256ELj13ELNS0_17block_load_methodE3ELS4_3ELS4_3ELNS0_20block_scan_algorithmE0ELj4294967295EEENS1_25partition_config_selectorILNS1_17partition_subalgoE4EjNS0_10empty_typeEbEEZZNS1_14partition_implILS8_4ELb0ES6_15HIP_vector_typeIjLj2EENS0_17counting_iteratorIjlEEPS9_SG_NS0_5tupleIJPjSI_NS0_16reverse_iteratorISI_EEEEENSH_IJSG_SG_SG_EEES9_SI_JZNS1_25segmented_radix_sort_implINS0_14default_configELb0EPKfPfPKlPlN2at6native12_GLOBAL__N_18offset_tEEE10hipError_tPvRmT1_PNSt15iterator_traitsIS12_E10value_typeET2_T3_PNS13_IS18_E10value_typeET4_jRbjT5_S1E_jjP12ihipStream_tbEUljE_ZNSN_ISO_Lb0ESQ_SR_ST_SU_SY_EESZ_S10_S11_S12_S16_S17_S18_S1B_S1C_jS1D_jS1E_S1E_jjS1G_bEUljE0_EEESZ_S10_S11_S18_S1C_S1E_T6_T7_T9_mT8_S1G_bDpT10_ENKUlT_T0_E_clISt17integral_constantIbLb1EES1T_IbLb0EEEEDaS1P_S1Q_EUlS1P_E_NS1_11comp_targetILNS1_3genE4ELNS1_11target_archE910ELNS1_3gpuE8ELNS1_3repE0EEENS1_30default_config_static_selectorELNS0_4arch9wavefront6targetE0EEEvS12_.has_recursion, 0
	.set _ZN7rocprim17ROCPRIM_400000_NS6detail17trampoline_kernelINS0_13select_configILj256ELj13ELNS0_17block_load_methodE3ELS4_3ELS4_3ELNS0_20block_scan_algorithmE0ELj4294967295EEENS1_25partition_config_selectorILNS1_17partition_subalgoE4EjNS0_10empty_typeEbEEZZNS1_14partition_implILS8_4ELb0ES6_15HIP_vector_typeIjLj2EENS0_17counting_iteratorIjlEEPS9_SG_NS0_5tupleIJPjSI_NS0_16reverse_iteratorISI_EEEEENSH_IJSG_SG_SG_EEES9_SI_JZNS1_25segmented_radix_sort_implINS0_14default_configELb0EPKfPfPKlPlN2at6native12_GLOBAL__N_18offset_tEEE10hipError_tPvRmT1_PNSt15iterator_traitsIS12_E10value_typeET2_T3_PNS13_IS18_E10value_typeET4_jRbjT5_S1E_jjP12ihipStream_tbEUljE_ZNSN_ISO_Lb0ESQ_SR_ST_SU_SY_EESZ_S10_S11_S12_S16_S17_S18_S1B_S1C_jS1D_jS1E_S1E_jjS1G_bEUljE0_EEESZ_S10_S11_S18_S1C_S1E_T6_T7_T9_mT8_S1G_bDpT10_ENKUlT_T0_E_clISt17integral_constantIbLb1EES1T_IbLb0EEEEDaS1P_S1Q_EUlS1P_E_NS1_11comp_targetILNS1_3genE4ELNS1_11target_archE910ELNS1_3gpuE8ELNS1_3repE0EEENS1_30default_config_static_selectorELNS0_4arch9wavefront6targetE0EEEvS12_.has_indirect_call, 0
	.section	.AMDGPU.csdata,"",@progbits
; Kernel info:
; codeLenInByte = 0
; TotalNumSgprs: 0
; NumVgprs: 0
; ScratchSize: 0
; MemoryBound: 0
; FloatMode: 240
; IeeeMode: 1
; LDSByteSize: 0 bytes/workgroup (compile time only)
; SGPRBlocks: 0
; VGPRBlocks: 0
; NumSGPRsForWavesPerEU: 1
; NumVGPRsForWavesPerEU: 1
; NamedBarCnt: 0
; Occupancy: 16
; WaveLimiterHint : 0
; COMPUTE_PGM_RSRC2:SCRATCH_EN: 0
; COMPUTE_PGM_RSRC2:USER_SGPR: 2
; COMPUTE_PGM_RSRC2:TRAP_HANDLER: 0
; COMPUTE_PGM_RSRC2:TGID_X_EN: 1
; COMPUTE_PGM_RSRC2:TGID_Y_EN: 0
; COMPUTE_PGM_RSRC2:TGID_Z_EN: 0
; COMPUTE_PGM_RSRC2:TIDIG_COMP_CNT: 0
	.section	.text._ZN7rocprim17ROCPRIM_400000_NS6detail17trampoline_kernelINS0_13select_configILj256ELj13ELNS0_17block_load_methodE3ELS4_3ELS4_3ELNS0_20block_scan_algorithmE0ELj4294967295EEENS1_25partition_config_selectorILNS1_17partition_subalgoE4EjNS0_10empty_typeEbEEZZNS1_14partition_implILS8_4ELb0ES6_15HIP_vector_typeIjLj2EENS0_17counting_iteratorIjlEEPS9_SG_NS0_5tupleIJPjSI_NS0_16reverse_iteratorISI_EEEEENSH_IJSG_SG_SG_EEES9_SI_JZNS1_25segmented_radix_sort_implINS0_14default_configELb0EPKfPfPKlPlN2at6native12_GLOBAL__N_18offset_tEEE10hipError_tPvRmT1_PNSt15iterator_traitsIS12_E10value_typeET2_T3_PNS13_IS18_E10value_typeET4_jRbjT5_S1E_jjP12ihipStream_tbEUljE_ZNSN_ISO_Lb0ESQ_SR_ST_SU_SY_EESZ_S10_S11_S12_S16_S17_S18_S1B_S1C_jS1D_jS1E_S1E_jjS1G_bEUljE0_EEESZ_S10_S11_S18_S1C_S1E_T6_T7_T9_mT8_S1G_bDpT10_ENKUlT_T0_E_clISt17integral_constantIbLb1EES1T_IbLb0EEEEDaS1P_S1Q_EUlS1P_E_NS1_11comp_targetILNS1_3genE3ELNS1_11target_archE908ELNS1_3gpuE7ELNS1_3repE0EEENS1_30default_config_static_selectorELNS0_4arch9wavefront6targetE0EEEvS12_,"axG",@progbits,_ZN7rocprim17ROCPRIM_400000_NS6detail17trampoline_kernelINS0_13select_configILj256ELj13ELNS0_17block_load_methodE3ELS4_3ELS4_3ELNS0_20block_scan_algorithmE0ELj4294967295EEENS1_25partition_config_selectorILNS1_17partition_subalgoE4EjNS0_10empty_typeEbEEZZNS1_14partition_implILS8_4ELb0ES6_15HIP_vector_typeIjLj2EENS0_17counting_iteratorIjlEEPS9_SG_NS0_5tupleIJPjSI_NS0_16reverse_iteratorISI_EEEEENSH_IJSG_SG_SG_EEES9_SI_JZNS1_25segmented_radix_sort_implINS0_14default_configELb0EPKfPfPKlPlN2at6native12_GLOBAL__N_18offset_tEEE10hipError_tPvRmT1_PNSt15iterator_traitsIS12_E10value_typeET2_T3_PNS13_IS18_E10value_typeET4_jRbjT5_S1E_jjP12ihipStream_tbEUljE_ZNSN_ISO_Lb0ESQ_SR_ST_SU_SY_EESZ_S10_S11_S12_S16_S17_S18_S1B_S1C_jS1D_jS1E_S1E_jjS1G_bEUljE0_EEESZ_S10_S11_S18_S1C_S1E_T6_T7_T9_mT8_S1G_bDpT10_ENKUlT_T0_E_clISt17integral_constantIbLb1EES1T_IbLb0EEEEDaS1P_S1Q_EUlS1P_E_NS1_11comp_targetILNS1_3genE3ELNS1_11target_archE908ELNS1_3gpuE7ELNS1_3repE0EEENS1_30default_config_static_selectorELNS0_4arch9wavefront6targetE0EEEvS12_,comdat
	.globl	_ZN7rocprim17ROCPRIM_400000_NS6detail17trampoline_kernelINS0_13select_configILj256ELj13ELNS0_17block_load_methodE3ELS4_3ELS4_3ELNS0_20block_scan_algorithmE0ELj4294967295EEENS1_25partition_config_selectorILNS1_17partition_subalgoE4EjNS0_10empty_typeEbEEZZNS1_14partition_implILS8_4ELb0ES6_15HIP_vector_typeIjLj2EENS0_17counting_iteratorIjlEEPS9_SG_NS0_5tupleIJPjSI_NS0_16reverse_iteratorISI_EEEEENSH_IJSG_SG_SG_EEES9_SI_JZNS1_25segmented_radix_sort_implINS0_14default_configELb0EPKfPfPKlPlN2at6native12_GLOBAL__N_18offset_tEEE10hipError_tPvRmT1_PNSt15iterator_traitsIS12_E10value_typeET2_T3_PNS13_IS18_E10value_typeET4_jRbjT5_S1E_jjP12ihipStream_tbEUljE_ZNSN_ISO_Lb0ESQ_SR_ST_SU_SY_EESZ_S10_S11_S12_S16_S17_S18_S1B_S1C_jS1D_jS1E_S1E_jjS1G_bEUljE0_EEESZ_S10_S11_S18_S1C_S1E_T6_T7_T9_mT8_S1G_bDpT10_ENKUlT_T0_E_clISt17integral_constantIbLb1EES1T_IbLb0EEEEDaS1P_S1Q_EUlS1P_E_NS1_11comp_targetILNS1_3genE3ELNS1_11target_archE908ELNS1_3gpuE7ELNS1_3repE0EEENS1_30default_config_static_selectorELNS0_4arch9wavefront6targetE0EEEvS12_ ; -- Begin function _ZN7rocprim17ROCPRIM_400000_NS6detail17trampoline_kernelINS0_13select_configILj256ELj13ELNS0_17block_load_methodE3ELS4_3ELS4_3ELNS0_20block_scan_algorithmE0ELj4294967295EEENS1_25partition_config_selectorILNS1_17partition_subalgoE4EjNS0_10empty_typeEbEEZZNS1_14partition_implILS8_4ELb0ES6_15HIP_vector_typeIjLj2EENS0_17counting_iteratorIjlEEPS9_SG_NS0_5tupleIJPjSI_NS0_16reverse_iteratorISI_EEEEENSH_IJSG_SG_SG_EEES9_SI_JZNS1_25segmented_radix_sort_implINS0_14default_configELb0EPKfPfPKlPlN2at6native12_GLOBAL__N_18offset_tEEE10hipError_tPvRmT1_PNSt15iterator_traitsIS12_E10value_typeET2_T3_PNS13_IS18_E10value_typeET4_jRbjT5_S1E_jjP12ihipStream_tbEUljE_ZNSN_ISO_Lb0ESQ_SR_ST_SU_SY_EESZ_S10_S11_S12_S16_S17_S18_S1B_S1C_jS1D_jS1E_S1E_jjS1G_bEUljE0_EEESZ_S10_S11_S18_S1C_S1E_T6_T7_T9_mT8_S1G_bDpT10_ENKUlT_T0_E_clISt17integral_constantIbLb1EES1T_IbLb0EEEEDaS1P_S1Q_EUlS1P_E_NS1_11comp_targetILNS1_3genE3ELNS1_11target_archE908ELNS1_3gpuE7ELNS1_3repE0EEENS1_30default_config_static_selectorELNS0_4arch9wavefront6targetE0EEEvS12_
	.p2align	8
	.type	_ZN7rocprim17ROCPRIM_400000_NS6detail17trampoline_kernelINS0_13select_configILj256ELj13ELNS0_17block_load_methodE3ELS4_3ELS4_3ELNS0_20block_scan_algorithmE0ELj4294967295EEENS1_25partition_config_selectorILNS1_17partition_subalgoE4EjNS0_10empty_typeEbEEZZNS1_14partition_implILS8_4ELb0ES6_15HIP_vector_typeIjLj2EENS0_17counting_iteratorIjlEEPS9_SG_NS0_5tupleIJPjSI_NS0_16reverse_iteratorISI_EEEEENSH_IJSG_SG_SG_EEES9_SI_JZNS1_25segmented_radix_sort_implINS0_14default_configELb0EPKfPfPKlPlN2at6native12_GLOBAL__N_18offset_tEEE10hipError_tPvRmT1_PNSt15iterator_traitsIS12_E10value_typeET2_T3_PNS13_IS18_E10value_typeET4_jRbjT5_S1E_jjP12ihipStream_tbEUljE_ZNSN_ISO_Lb0ESQ_SR_ST_SU_SY_EESZ_S10_S11_S12_S16_S17_S18_S1B_S1C_jS1D_jS1E_S1E_jjS1G_bEUljE0_EEESZ_S10_S11_S18_S1C_S1E_T6_T7_T9_mT8_S1G_bDpT10_ENKUlT_T0_E_clISt17integral_constantIbLb1EES1T_IbLb0EEEEDaS1P_S1Q_EUlS1P_E_NS1_11comp_targetILNS1_3genE3ELNS1_11target_archE908ELNS1_3gpuE7ELNS1_3repE0EEENS1_30default_config_static_selectorELNS0_4arch9wavefront6targetE0EEEvS12_,@function
_ZN7rocprim17ROCPRIM_400000_NS6detail17trampoline_kernelINS0_13select_configILj256ELj13ELNS0_17block_load_methodE3ELS4_3ELS4_3ELNS0_20block_scan_algorithmE0ELj4294967295EEENS1_25partition_config_selectorILNS1_17partition_subalgoE4EjNS0_10empty_typeEbEEZZNS1_14partition_implILS8_4ELb0ES6_15HIP_vector_typeIjLj2EENS0_17counting_iteratorIjlEEPS9_SG_NS0_5tupleIJPjSI_NS0_16reverse_iteratorISI_EEEEENSH_IJSG_SG_SG_EEES9_SI_JZNS1_25segmented_radix_sort_implINS0_14default_configELb0EPKfPfPKlPlN2at6native12_GLOBAL__N_18offset_tEEE10hipError_tPvRmT1_PNSt15iterator_traitsIS12_E10value_typeET2_T3_PNS13_IS18_E10value_typeET4_jRbjT5_S1E_jjP12ihipStream_tbEUljE_ZNSN_ISO_Lb0ESQ_SR_ST_SU_SY_EESZ_S10_S11_S12_S16_S17_S18_S1B_S1C_jS1D_jS1E_S1E_jjS1G_bEUljE0_EEESZ_S10_S11_S18_S1C_S1E_T6_T7_T9_mT8_S1G_bDpT10_ENKUlT_T0_E_clISt17integral_constantIbLb1EES1T_IbLb0EEEEDaS1P_S1Q_EUlS1P_E_NS1_11comp_targetILNS1_3genE3ELNS1_11target_archE908ELNS1_3gpuE7ELNS1_3repE0EEENS1_30default_config_static_selectorELNS0_4arch9wavefront6targetE0EEEvS12_: ; @_ZN7rocprim17ROCPRIM_400000_NS6detail17trampoline_kernelINS0_13select_configILj256ELj13ELNS0_17block_load_methodE3ELS4_3ELS4_3ELNS0_20block_scan_algorithmE0ELj4294967295EEENS1_25partition_config_selectorILNS1_17partition_subalgoE4EjNS0_10empty_typeEbEEZZNS1_14partition_implILS8_4ELb0ES6_15HIP_vector_typeIjLj2EENS0_17counting_iteratorIjlEEPS9_SG_NS0_5tupleIJPjSI_NS0_16reverse_iteratorISI_EEEEENSH_IJSG_SG_SG_EEES9_SI_JZNS1_25segmented_radix_sort_implINS0_14default_configELb0EPKfPfPKlPlN2at6native12_GLOBAL__N_18offset_tEEE10hipError_tPvRmT1_PNSt15iterator_traitsIS12_E10value_typeET2_T3_PNS13_IS18_E10value_typeET4_jRbjT5_S1E_jjP12ihipStream_tbEUljE_ZNSN_ISO_Lb0ESQ_SR_ST_SU_SY_EESZ_S10_S11_S12_S16_S17_S18_S1B_S1C_jS1D_jS1E_S1E_jjS1G_bEUljE0_EEESZ_S10_S11_S18_S1C_S1E_T6_T7_T9_mT8_S1G_bDpT10_ENKUlT_T0_E_clISt17integral_constantIbLb1EES1T_IbLb0EEEEDaS1P_S1Q_EUlS1P_E_NS1_11comp_targetILNS1_3genE3ELNS1_11target_archE908ELNS1_3gpuE7ELNS1_3repE0EEENS1_30default_config_static_selectorELNS0_4arch9wavefront6targetE0EEEvS12_
; %bb.0:
	.section	.rodata,"a",@progbits
	.p2align	6, 0x0
	.amdhsa_kernel _ZN7rocprim17ROCPRIM_400000_NS6detail17trampoline_kernelINS0_13select_configILj256ELj13ELNS0_17block_load_methodE3ELS4_3ELS4_3ELNS0_20block_scan_algorithmE0ELj4294967295EEENS1_25partition_config_selectorILNS1_17partition_subalgoE4EjNS0_10empty_typeEbEEZZNS1_14partition_implILS8_4ELb0ES6_15HIP_vector_typeIjLj2EENS0_17counting_iteratorIjlEEPS9_SG_NS0_5tupleIJPjSI_NS0_16reverse_iteratorISI_EEEEENSH_IJSG_SG_SG_EEES9_SI_JZNS1_25segmented_radix_sort_implINS0_14default_configELb0EPKfPfPKlPlN2at6native12_GLOBAL__N_18offset_tEEE10hipError_tPvRmT1_PNSt15iterator_traitsIS12_E10value_typeET2_T3_PNS13_IS18_E10value_typeET4_jRbjT5_S1E_jjP12ihipStream_tbEUljE_ZNSN_ISO_Lb0ESQ_SR_ST_SU_SY_EESZ_S10_S11_S12_S16_S17_S18_S1B_S1C_jS1D_jS1E_S1E_jjS1G_bEUljE0_EEESZ_S10_S11_S18_S1C_S1E_T6_T7_T9_mT8_S1G_bDpT10_ENKUlT_T0_E_clISt17integral_constantIbLb1EES1T_IbLb0EEEEDaS1P_S1Q_EUlS1P_E_NS1_11comp_targetILNS1_3genE3ELNS1_11target_archE908ELNS1_3gpuE7ELNS1_3repE0EEENS1_30default_config_static_selectorELNS0_4arch9wavefront6targetE0EEEvS12_
		.amdhsa_group_segment_fixed_size 0
		.amdhsa_private_segment_fixed_size 0
		.amdhsa_kernarg_size 176
		.amdhsa_user_sgpr_count 2
		.amdhsa_user_sgpr_dispatch_ptr 0
		.amdhsa_user_sgpr_queue_ptr 0
		.amdhsa_user_sgpr_kernarg_segment_ptr 1
		.amdhsa_user_sgpr_dispatch_id 0
		.amdhsa_user_sgpr_kernarg_preload_length 0
		.amdhsa_user_sgpr_kernarg_preload_offset 0
		.amdhsa_user_sgpr_private_segment_size 0
		.amdhsa_wavefront_size32 1
		.amdhsa_uses_dynamic_stack 0
		.amdhsa_enable_private_segment 0
		.amdhsa_system_sgpr_workgroup_id_x 1
		.amdhsa_system_sgpr_workgroup_id_y 0
		.amdhsa_system_sgpr_workgroup_id_z 0
		.amdhsa_system_sgpr_workgroup_info 0
		.amdhsa_system_vgpr_workitem_id 0
		.amdhsa_next_free_vgpr 1
		.amdhsa_next_free_sgpr 1
		.amdhsa_named_barrier_count 0
		.amdhsa_reserve_vcc 0
		.amdhsa_float_round_mode_32 0
		.amdhsa_float_round_mode_16_64 0
		.amdhsa_float_denorm_mode_32 3
		.amdhsa_float_denorm_mode_16_64 3
		.amdhsa_fp16_overflow 0
		.amdhsa_memory_ordered 1
		.amdhsa_forward_progress 1
		.amdhsa_inst_pref_size 0
		.amdhsa_round_robin_scheduling 0
		.amdhsa_exception_fp_ieee_invalid_op 0
		.amdhsa_exception_fp_denorm_src 0
		.amdhsa_exception_fp_ieee_div_zero 0
		.amdhsa_exception_fp_ieee_overflow 0
		.amdhsa_exception_fp_ieee_underflow 0
		.amdhsa_exception_fp_ieee_inexact 0
		.amdhsa_exception_int_div_zero 0
	.end_amdhsa_kernel
	.section	.text._ZN7rocprim17ROCPRIM_400000_NS6detail17trampoline_kernelINS0_13select_configILj256ELj13ELNS0_17block_load_methodE3ELS4_3ELS4_3ELNS0_20block_scan_algorithmE0ELj4294967295EEENS1_25partition_config_selectorILNS1_17partition_subalgoE4EjNS0_10empty_typeEbEEZZNS1_14partition_implILS8_4ELb0ES6_15HIP_vector_typeIjLj2EENS0_17counting_iteratorIjlEEPS9_SG_NS0_5tupleIJPjSI_NS0_16reverse_iteratorISI_EEEEENSH_IJSG_SG_SG_EEES9_SI_JZNS1_25segmented_radix_sort_implINS0_14default_configELb0EPKfPfPKlPlN2at6native12_GLOBAL__N_18offset_tEEE10hipError_tPvRmT1_PNSt15iterator_traitsIS12_E10value_typeET2_T3_PNS13_IS18_E10value_typeET4_jRbjT5_S1E_jjP12ihipStream_tbEUljE_ZNSN_ISO_Lb0ESQ_SR_ST_SU_SY_EESZ_S10_S11_S12_S16_S17_S18_S1B_S1C_jS1D_jS1E_S1E_jjS1G_bEUljE0_EEESZ_S10_S11_S18_S1C_S1E_T6_T7_T9_mT8_S1G_bDpT10_ENKUlT_T0_E_clISt17integral_constantIbLb1EES1T_IbLb0EEEEDaS1P_S1Q_EUlS1P_E_NS1_11comp_targetILNS1_3genE3ELNS1_11target_archE908ELNS1_3gpuE7ELNS1_3repE0EEENS1_30default_config_static_selectorELNS0_4arch9wavefront6targetE0EEEvS12_,"axG",@progbits,_ZN7rocprim17ROCPRIM_400000_NS6detail17trampoline_kernelINS0_13select_configILj256ELj13ELNS0_17block_load_methodE3ELS4_3ELS4_3ELNS0_20block_scan_algorithmE0ELj4294967295EEENS1_25partition_config_selectorILNS1_17partition_subalgoE4EjNS0_10empty_typeEbEEZZNS1_14partition_implILS8_4ELb0ES6_15HIP_vector_typeIjLj2EENS0_17counting_iteratorIjlEEPS9_SG_NS0_5tupleIJPjSI_NS0_16reverse_iteratorISI_EEEEENSH_IJSG_SG_SG_EEES9_SI_JZNS1_25segmented_radix_sort_implINS0_14default_configELb0EPKfPfPKlPlN2at6native12_GLOBAL__N_18offset_tEEE10hipError_tPvRmT1_PNSt15iterator_traitsIS12_E10value_typeET2_T3_PNS13_IS18_E10value_typeET4_jRbjT5_S1E_jjP12ihipStream_tbEUljE_ZNSN_ISO_Lb0ESQ_SR_ST_SU_SY_EESZ_S10_S11_S12_S16_S17_S18_S1B_S1C_jS1D_jS1E_S1E_jjS1G_bEUljE0_EEESZ_S10_S11_S18_S1C_S1E_T6_T7_T9_mT8_S1G_bDpT10_ENKUlT_T0_E_clISt17integral_constantIbLb1EES1T_IbLb0EEEEDaS1P_S1Q_EUlS1P_E_NS1_11comp_targetILNS1_3genE3ELNS1_11target_archE908ELNS1_3gpuE7ELNS1_3repE0EEENS1_30default_config_static_selectorELNS0_4arch9wavefront6targetE0EEEvS12_,comdat
.Lfunc_end1376:
	.size	_ZN7rocprim17ROCPRIM_400000_NS6detail17trampoline_kernelINS0_13select_configILj256ELj13ELNS0_17block_load_methodE3ELS4_3ELS4_3ELNS0_20block_scan_algorithmE0ELj4294967295EEENS1_25partition_config_selectorILNS1_17partition_subalgoE4EjNS0_10empty_typeEbEEZZNS1_14partition_implILS8_4ELb0ES6_15HIP_vector_typeIjLj2EENS0_17counting_iteratorIjlEEPS9_SG_NS0_5tupleIJPjSI_NS0_16reverse_iteratorISI_EEEEENSH_IJSG_SG_SG_EEES9_SI_JZNS1_25segmented_radix_sort_implINS0_14default_configELb0EPKfPfPKlPlN2at6native12_GLOBAL__N_18offset_tEEE10hipError_tPvRmT1_PNSt15iterator_traitsIS12_E10value_typeET2_T3_PNS13_IS18_E10value_typeET4_jRbjT5_S1E_jjP12ihipStream_tbEUljE_ZNSN_ISO_Lb0ESQ_SR_ST_SU_SY_EESZ_S10_S11_S12_S16_S17_S18_S1B_S1C_jS1D_jS1E_S1E_jjS1G_bEUljE0_EEESZ_S10_S11_S18_S1C_S1E_T6_T7_T9_mT8_S1G_bDpT10_ENKUlT_T0_E_clISt17integral_constantIbLb1EES1T_IbLb0EEEEDaS1P_S1Q_EUlS1P_E_NS1_11comp_targetILNS1_3genE3ELNS1_11target_archE908ELNS1_3gpuE7ELNS1_3repE0EEENS1_30default_config_static_selectorELNS0_4arch9wavefront6targetE0EEEvS12_, .Lfunc_end1376-_ZN7rocprim17ROCPRIM_400000_NS6detail17trampoline_kernelINS0_13select_configILj256ELj13ELNS0_17block_load_methodE3ELS4_3ELS4_3ELNS0_20block_scan_algorithmE0ELj4294967295EEENS1_25partition_config_selectorILNS1_17partition_subalgoE4EjNS0_10empty_typeEbEEZZNS1_14partition_implILS8_4ELb0ES6_15HIP_vector_typeIjLj2EENS0_17counting_iteratorIjlEEPS9_SG_NS0_5tupleIJPjSI_NS0_16reverse_iteratorISI_EEEEENSH_IJSG_SG_SG_EEES9_SI_JZNS1_25segmented_radix_sort_implINS0_14default_configELb0EPKfPfPKlPlN2at6native12_GLOBAL__N_18offset_tEEE10hipError_tPvRmT1_PNSt15iterator_traitsIS12_E10value_typeET2_T3_PNS13_IS18_E10value_typeET4_jRbjT5_S1E_jjP12ihipStream_tbEUljE_ZNSN_ISO_Lb0ESQ_SR_ST_SU_SY_EESZ_S10_S11_S12_S16_S17_S18_S1B_S1C_jS1D_jS1E_S1E_jjS1G_bEUljE0_EEESZ_S10_S11_S18_S1C_S1E_T6_T7_T9_mT8_S1G_bDpT10_ENKUlT_T0_E_clISt17integral_constantIbLb1EES1T_IbLb0EEEEDaS1P_S1Q_EUlS1P_E_NS1_11comp_targetILNS1_3genE3ELNS1_11target_archE908ELNS1_3gpuE7ELNS1_3repE0EEENS1_30default_config_static_selectorELNS0_4arch9wavefront6targetE0EEEvS12_
                                        ; -- End function
	.set _ZN7rocprim17ROCPRIM_400000_NS6detail17trampoline_kernelINS0_13select_configILj256ELj13ELNS0_17block_load_methodE3ELS4_3ELS4_3ELNS0_20block_scan_algorithmE0ELj4294967295EEENS1_25partition_config_selectorILNS1_17partition_subalgoE4EjNS0_10empty_typeEbEEZZNS1_14partition_implILS8_4ELb0ES6_15HIP_vector_typeIjLj2EENS0_17counting_iteratorIjlEEPS9_SG_NS0_5tupleIJPjSI_NS0_16reverse_iteratorISI_EEEEENSH_IJSG_SG_SG_EEES9_SI_JZNS1_25segmented_radix_sort_implINS0_14default_configELb0EPKfPfPKlPlN2at6native12_GLOBAL__N_18offset_tEEE10hipError_tPvRmT1_PNSt15iterator_traitsIS12_E10value_typeET2_T3_PNS13_IS18_E10value_typeET4_jRbjT5_S1E_jjP12ihipStream_tbEUljE_ZNSN_ISO_Lb0ESQ_SR_ST_SU_SY_EESZ_S10_S11_S12_S16_S17_S18_S1B_S1C_jS1D_jS1E_S1E_jjS1G_bEUljE0_EEESZ_S10_S11_S18_S1C_S1E_T6_T7_T9_mT8_S1G_bDpT10_ENKUlT_T0_E_clISt17integral_constantIbLb1EES1T_IbLb0EEEEDaS1P_S1Q_EUlS1P_E_NS1_11comp_targetILNS1_3genE3ELNS1_11target_archE908ELNS1_3gpuE7ELNS1_3repE0EEENS1_30default_config_static_selectorELNS0_4arch9wavefront6targetE0EEEvS12_.num_vgpr, 0
	.set _ZN7rocprim17ROCPRIM_400000_NS6detail17trampoline_kernelINS0_13select_configILj256ELj13ELNS0_17block_load_methodE3ELS4_3ELS4_3ELNS0_20block_scan_algorithmE0ELj4294967295EEENS1_25partition_config_selectorILNS1_17partition_subalgoE4EjNS0_10empty_typeEbEEZZNS1_14partition_implILS8_4ELb0ES6_15HIP_vector_typeIjLj2EENS0_17counting_iteratorIjlEEPS9_SG_NS0_5tupleIJPjSI_NS0_16reverse_iteratorISI_EEEEENSH_IJSG_SG_SG_EEES9_SI_JZNS1_25segmented_radix_sort_implINS0_14default_configELb0EPKfPfPKlPlN2at6native12_GLOBAL__N_18offset_tEEE10hipError_tPvRmT1_PNSt15iterator_traitsIS12_E10value_typeET2_T3_PNS13_IS18_E10value_typeET4_jRbjT5_S1E_jjP12ihipStream_tbEUljE_ZNSN_ISO_Lb0ESQ_SR_ST_SU_SY_EESZ_S10_S11_S12_S16_S17_S18_S1B_S1C_jS1D_jS1E_S1E_jjS1G_bEUljE0_EEESZ_S10_S11_S18_S1C_S1E_T6_T7_T9_mT8_S1G_bDpT10_ENKUlT_T0_E_clISt17integral_constantIbLb1EES1T_IbLb0EEEEDaS1P_S1Q_EUlS1P_E_NS1_11comp_targetILNS1_3genE3ELNS1_11target_archE908ELNS1_3gpuE7ELNS1_3repE0EEENS1_30default_config_static_selectorELNS0_4arch9wavefront6targetE0EEEvS12_.num_agpr, 0
	.set _ZN7rocprim17ROCPRIM_400000_NS6detail17trampoline_kernelINS0_13select_configILj256ELj13ELNS0_17block_load_methodE3ELS4_3ELS4_3ELNS0_20block_scan_algorithmE0ELj4294967295EEENS1_25partition_config_selectorILNS1_17partition_subalgoE4EjNS0_10empty_typeEbEEZZNS1_14partition_implILS8_4ELb0ES6_15HIP_vector_typeIjLj2EENS0_17counting_iteratorIjlEEPS9_SG_NS0_5tupleIJPjSI_NS0_16reverse_iteratorISI_EEEEENSH_IJSG_SG_SG_EEES9_SI_JZNS1_25segmented_radix_sort_implINS0_14default_configELb0EPKfPfPKlPlN2at6native12_GLOBAL__N_18offset_tEEE10hipError_tPvRmT1_PNSt15iterator_traitsIS12_E10value_typeET2_T3_PNS13_IS18_E10value_typeET4_jRbjT5_S1E_jjP12ihipStream_tbEUljE_ZNSN_ISO_Lb0ESQ_SR_ST_SU_SY_EESZ_S10_S11_S12_S16_S17_S18_S1B_S1C_jS1D_jS1E_S1E_jjS1G_bEUljE0_EEESZ_S10_S11_S18_S1C_S1E_T6_T7_T9_mT8_S1G_bDpT10_ENKUlT_T0_E_clISt17integral_constantIbLb1EES1T_IbLb0EEEEDaS1P_S1Q_EUlS1P_E_NS1_11comp_targetILNS1_3genE3ELNS1_11target_archE908ELNS1_3gpuE7ELNS1_3repE0EEENS1_30default_config_static_selectorELNS0_4arch9wavefront6targetE0EEEvS12_.numbered_sgpr, 0
	.set _ZN7rocprim17ROCPRIM_400000_NS6detail17trampoline_kernelINS0_13select_configILj256ELj13ELNS0_17block_load_methodE3ELS4_3ELS4_3ELNS0_20block_scan_algorithmE0ELj4294967295EEENS1_25partition_config_selectorILNS1_17partition_subalgoE4EjNS0_10empty_typeEbEEZZNS1_14partition_implILS8_4ELb0ES6_15HIP_vector_typeIjLj2EENS0_17counting_iteratorIjlEEPS9_SG_NS0_5tupleIJPjSI_NS0_16reverse_iteratorISI_EEEEENSH_IJSG_SG_SG_EEES9_SI_JZNS1_25segmented_radix_sort_implINS0_14default_configELb0EPKfPfPKlPlN2at6native12_GLOBAL__N_18offset_tEEE10hipError_tPvRmT1_PNSt15iterator_traitsIS12_E10value_typeET2_T3_PNS13_IS18_E10value_typeET4_jRbjT5_S1E_jjP12ihipStream_tbEUljE_ZNSN_ISO_Lb0ESQ_SR_ST_SU_SY_EESZ_S10_S11_S12_S16_S17_S18_S1B_S1C_jS1D_jS1E_S1E_jjS1G_bEUljE0_EEESZ_S10_S11_S18_S1C_S1E_T6_T7_T9_mT8_S1G_bDpT10_ENKUlT_T0_E_clISt17integral_constantIbLb1EES1T_IbLb0EEEEDaS1P_S1Q_EUlS1P_E_NS1_11comp_targetILNS1_3genE3ELNS1_11target_archE908ELNS1_3gpuE7ELNS1_3repE0EEENS1_30default_config_static_selectorELNS0_4arch9wavefront6targetE0EEEvS12_.num_named_barrier, 0
	.set _ZN7rocprim17ROCPRIM_400000_NS6detail17trampoline_kernelINS0_13select_configILj256ELj13ELNS0_17block_load_methodE3ELS4_3ELS4_3ELNS0_20block_scan_algorithmE0ELj4294967295EEENS1_25partition_config_selectorILNS1_17partition_subalgoE4EjNS0_10empty_typeEbEEZZNS1_14partition_implILS8_4ELb0ES6_15HIP_vector_typeIjLj2EENS0_17counting_iteratorIjlEEPS9_SG_NS0_5tupleIJPjSI_NS0_16reverse_iteratorISI_EEEEENSH_IJSG_SG_SG_EEES9_SI_JZNS1_25segmented_radix_sort_implINS0_14default_configELb0EPKfPfPKlPlN2at6native12_GLOBAL__N_18offset_tEEE10hipError_tPvRmT1_PNSt15iterator_traitsIS12_E10value_typeET2_T3_PNS13_IS18_E10value_typeET4_jRbjT5_S1E_jjP12ihipStream_tbEUljE_ZNSN_ISO_Lb0ESQ_SR_ST_SU_SY_EESZ_S10_S11_S12_S16_S17_S18_S1B_S1C_jS1D_jS1E_S1E_jjS1G_bEUljE0_EEESZ_S10_S11_S18_S1C_S1E_T6_T7_T9_mT8_S1G_bDpT10_ENKUlT_T0_E_clISt17integral_constantIbLb1EES1T_IbLb0EEEEDaS1P_S1Q_EUlS1P_E_NS1_11comp_targetILNS1_3genE3ELNS1_11target_archE908ELNS1_3gpuE7ELNS1_3repE0EEENS1_30default_config_static_selectorELNS0_4arch9wavefront6targetE0EEEvS12_.private_seg_size, 0
	.set _ZN7rocprim17ROCPRIM_400000_NS6detail17trampoline_kernelINS0_13select_configILj256ELj13ELNS0_17block_load_methodE3ELS4_3ELS4_3ELNS0_20block_scan_algorithmE0ELj4294967295EEENS1_25partition_config_selectorILNS1_17partition_subalgoE4EjNS0_10empty_typeEbEEZZNS1_14partition_implILS8_4ELb0ES6_15HIP_vector_typeIjLj2EENS0_17counting_iteratorIjlEEPS9_SG_NS0_5tupleIJPjSI_NS0_16reverse_iteratorISI_EEEEENSH_IJSG_SG_SG_EEES9_SI_JZNS1_25segmented_radix_sort_implINS0_14default_configELb0EPKfPfPKlPlN2at6native12_GLOBAL__N_18offset_tEEE10hipError_tPvRmT1_PNSt15iterator_traitsIS12_E10value_typeET2_T3_PNS13_IS18_E10value_typeET4_jRbjT5_S1E_jjP12ihipStream_tbEUljE_ZNSN_ISO_Lb0ESQ_SR_ST_SU_SY_EESZ_S10_S11_S12_S16_S17_S18_S1B_S1C_jS1D_jS1E_S1E_jjS1G_bEUljE0_EEESZ_S10_S11_S18_S1C_S1E_T6_T7_T9_mT8_S1G_bDpT10_ENKUlT_T0_E_clISt17integral_constantIbLb1EES1T_IbLb0EEEEDaS1P_S1Q_EUlS1P_E_NS1_11comp_targetILNS1_3genE3ELNS1_11target_archE908ELNS1_3gpuE7ELNS1_3repE0EEENS1_30default_config_static_selectorELNS0_4arch9wavefront6targetE0EEEvS12_.uses_vcc, 0
	.set _ZN7rocprim17ROCPRIM_400000_NS6detail17trampoline_kernelINS0_13select_configILj256ELj13ELNS0_17block_load_methodE3ELS4_3ELS4_3ELNS0_20block_scan_algorithmE0ELj4294967295EEENS1_25partition_config_selectorILNS1_17partition_subalgoE4EjNS0_10empty_typeEbEEZZNS1_14partition_implILS8_4ELb0ES6_15HIP_vector_typeIjLj2EENS0_17counting_iteratorIjlEEPS9_SG_NS0_5tupleIJPjSI_NS0_16reverse_iteratorISI_EEEEENSH_IJSG_SG_SG_EEES9_SI_JZNS1_25segmented_radix_sort_implINS0_14default_configELb0EPKfPfPKlPlN2at6native12_GLOBAL__N_18offset_tEEE10hipError_tPvRmT1_PNSt15iterator_traitsIS12_E10value_typeET2_T3_PNS13_IS18_E10value_typeET4_jRbjT5_S1E_jjP12ihipStream_tbEUljE_ZNSN_ISO_Lb0ESQ_SR_ST_SU_SY_EESZ_S10_S11_S12_S16_S17_S18_S1B_S1C_jS1D_jS1E_S1E_jjS1G_bEUljE0_EEESZ_S10_S11_S18_S1C_S1E_T6_T7_T9_mT8_S1G_bDpT10_ENKUlT_T0_E_clISt17integral_constantIbLb1EES1T_IbLb0EEEEDaS1P_S1Q_EUlS1P_E_NS1_11comp_targetILNS1_3genE3ELNS1_11target_archE908ELNS1_3gpuE7ELNS1_3repE0EEENS1_30default_config_static_selectorELNS0_4arch9wavefront6targetE0EEEvS12_.uses_flat_scratch, 0
	.set _ZN7rocprim17ROCPRIM_400000_NS6detail17trampoline_kernelINS0_13select_configILj256ELj13ELNS0_17block_load_methodE3ELS4_3ELS4_3ELNS0_20block_scan_algorithmE0ELj4294967295EEENS1_25partition_config_selectorILNS1_17partition_subalgoE4EjNS0_10empty_typeEbEEZZNS1_14partition_implILS8_4ELb0ES6_15HIP_vector_typeIjLj2EENS0_17counting_iteratorIjlEEPS9_SG_NS0_5tupleIJPjSI_NS0_16reverse_iteratorISI_EEEEENSH_IJSG_SG_SG_EEES9_SI_JZNS1_25segmented_radix_sort_implINS0_14default_configELb0EPKfPfPKlPlN2at6native12_GLOBAL__N_18offset_tEEE10hipError_tPvRmT1_PNSt15iterator_traitsIS12_E10value_typeET2_T3_PNS13_IS18_E10value_typeET4_jRbjT5_S1E_jjP12ihipStream_tbEUljE_ZNSN_ISO_Lb0ESQ_SR_ST_SU_SY_EESZ_S10_S11_S12_S16_S17_S18_S1B_S1C_jS1D_jS1E_S1E_jjS1G_bEUljE0_EEESZ_S10_S11_S18_S1C_S1E_T6_T7_T9_mT8_S1G_bDpT10_ENKUlT_T0_E_clISt17integral_constantIbLb1EES1T_IbLb0EEEEDaS1P_S1Q_EUlS1P_E_NS1_11comp_targetILNS1_3genE3ELNS1_11target_archE908ELNS1_3gpuE7ELNS1_3repE0EEENS1_30default_config_static_selectorELNS0_4arch9wavefront6targetE0EEEvS12_.has_dyn_sized_stack, 0
	.set _ZN7rocprim17ROCPRIM_400000_NS6detail17trampoline_kernelINS0_13select_configILj256ELj13ELNS0_17block_load_methodE3ELS4_3ELS4_3ELNS0_20block_scan_algorithmE0ELj4294967295EEENS1_25partition_config_selectorILNS1_17partition_subalgoE4EjNS0_10empty_typeEbEEZZNS1_14partition_implILS8_4ELb0ES6_15HIP_vector_typeIjLj2EENS0_17counting_iteratorIjlEEPS9_SG_NS0_5tupleIJPjSI_NS0_16reverse_iteratorISI_EEEEENSH_IJSG_SG_SG_EEES9_SI_JZNS1_25segmented_radix_sort_implINS0_14default_configELb0EPKfPfPKlPlN2at6native12_GLOBAL__N_18offset_tEEE10hipError_tPvRmT1_PNSt15iterator_traitsIS12_E10value_typeET2_T3_PNS13_IS18_E10value_typeET4_jRbjT5_S1E_jjP12ihipStream_tbEUljE_ZNSN_ISO_Lb0ESQ_SR_ST_SU_SY_EESZ_S10_S11_S12_S16_S17_S18_S1B_S1C_jS1D_jS1E_S1E_jjS1G_bEUljE0_EEESZ_S10_S11_S18_S1C_S1E_T6_T7_T9_mT8_S1G_bDpT10_ENKUlT_T0_E_clISt17integral_constantIbLb1EES1T_IbLb0EEEEDaS1P_S1Q_EUlS1P_E_NS1_11comp_targetILNS1_3genE3ELNS1_11target_archE908ELNS1_3gpuE7ELNS1_3repE0EEENS1_30default_config_static_selectorELNS0_4arch9wavefront6targetE0EEEvS12_.has_recursion, 0
	.set _ZN7rocprim17ROCPRIM_400000_NS6detail17trampoline_kernelINS0_13select_configILj256ELj13ELNS0_17block_load_methodE3ELS4_3ELS4_3ELNS0_20block_scan_algorithmE0ELj4294967295EEENS1_25partition_config_selectorILNS1_17partition_subalgoE4EjNS0_10empty_typeEbEEZZNS1_14partition_implILS8_4ELb0ES6_15HIP_vector_typeIjLj2EENS0_17counting_iteratorIjlEEPS9_SG_NS0_5tupleIJPjSI_NS0_16reverse_iteratorISI_EEEEENSH_IJSG_SG_SG_EEES9_SI_JZNS1_25segmented_radix_sort_implINS0_14default_configELb0EPKfPfPKlPlN2at6native12_GLOBAL__N_18offset_tEEE10hipError_tPvRmT1_PNSt15iterator_traitsIS12_E10value_typeET2_T3_PNS13_IS18_E10value_typeET4_jRbjT5_S1E_jjP12ihipStream_tbEUljE_ZNSN_ISO_Lb0ESQ_SR_ST_SU_SY_EESZ_S10_S11_S12_S16_S17_S18_S1B_S1C_jS1D_jS1E_S1E_jjS1G_bEUljE0_EEESZ_S10_S11_S18_S1C_S1E_T6_T7_T9_mT8_S1G_bDpT10_ENKUlT_T0_E_clISt17integral_constantIbLb1EES1T_IbLb0EEEEDaS1P_S1Q_EUlS1P_E_NS1_11comp_targetILNS1_3genE3ELNS1_11target_archE908ELNS1_3gpuE7ELNS1_3repE0EEENS1_30default_config_static_selectorELNS0_4arch9wavefront6targetE0EEEvS12_.has_indirect_call, 0
	.section	.AMDGPU.csdata,"",@progbits
; Kernel info:
; codeLenInByte = 0
; TotalNumSgprs: 0
; NumVgprs: 0
; ScratchSize: 0
; MemoryBound: 0
; FloatMode: 240
; IeeeMode: 1
; LDSByteSize: 0 bytes/workgroup (compile time only)
; SGPRBlocks: 0
; VGPRBlocks: 0
; NumSGPRsForWavesPerEU: 1
; NumVGPRsForWavesPerEU: 1
; NamedBarCnt: 0
; Occupancy: 16
; WaveLimiterHint : 0
; COMPUTE_PGM_RSRC2:SCRATCH_EN: 0
; COMPUTE_PGM_RSRC2:USER_SGPR: 2
; COMPUTE_PGM_RSRC2:TRAP_HANDLER: 0
; COMPUTE_PGM_RSRC2:TGID_X_EN: 1
; COMPUTE_PGM_RSRC2:TGID_Y_EN: 0
; COMPUTE_PGM_RSRC2:TGID_Z_EN: 0
; COMPUTE_PGM_RSRC2:TIDIG_COMP_CNT: 0
	.section	.text._ZN7rocprim17ROCPRIM_400000_NS6detail17trampoline_kernelINS0_13select_configILj256ELj13ELNS0_17block_load_methodE3ELS4_3ELS4_3ELNS0_20block_scan_algorithmE0ELj4294967295EEENS1_25partition_config_selectorILNS1_17partition_subalgoE4EjNS0_10empty_typeEbEEZZNS1_14partition_implILS8_4ELb0ES6_15HIP_vector_typeIjLj2EENS0_17counting_iteratorIjlEEPS9_SG_NS0_5tupleIJPjSI_NS0_16reverse_iteratorISI_EEEEENSH_IJSG_SG_SG_EEES9_SI_JZNS1_25segmented_radix_sort_implINS0_14default_configELb0EPKfPfPKlPlN2at6native12_GLOBAL__N_18offset_tEEE10hipError_tPvRmT1_PNSt15iterator_traitsIS12_E10value_typeET2_T3_PNS13_IS18_E10value_typeET4_jRbjT5_S1E_jjP12ihipStream_tbEUljE_ZNSN_ISO_Lb0ESQ_SR_ST_SU_SY_EESZ_S10_S11_S12_S16_S17_S18_S1B_S1C_jS1D_jS1E_S1E_jjS1G_bEUljE0_EEESZ_S10_S11_S18_S1C_S1E_T6_T7_T9_mT8_S1G_bDpT10_ENKUlT_T0_E_clISt17integral_constantIbLb1EES1T_IbLb0EEEEDaS1P_S1Q_EUlS1P_E_NS1_11comp_targetILNS1_3genE2ELNS1_11target_archE906ELNS1_3gpuE6ELNS1_3repE0EEENS1_30default_config_static_selectorELNS0_4arch9wavefront6targetE0EEEvS12_,"axG",@progbits,_ZN7rocprim17ROCPRIM_400000_NS6detail17trampoline_kernelINS0_13select_configILj256ELj13ELNS0_17block_load_methodE3ELS4_3ELS4_3ELNS0_20block_scan_algorithmE0ELj4294967295EEENS1_25partition_config_selectorILNS1_17partition_subalgoE4EjNS0_10empty_typeEbEEZZNS1_14partition_implILS8_4ELb0ES6_15HIP_vector_typeIjLj2EENS0_17counting_iteratorIjlEEPS9_SG_NS0_5tupleIJPjSI_NS0_16reverse_iteratorISI_EEEEENSH_IJSG_SG_SG_EEES9_SI_JZNS1_25segmented_radix_sort_implINS0_14default_configELb0EPKfPfPKlPlN2at6native12_GLOBAL__N_18offset_tEEE10hipError_tPvRmT1_PNSt15iterator_traitsIS12_E10value_typeET2_T3_PNS13_IS18_E10value_typeET4_jRbjT5_S1E_jjP12ihipStream_tbEUljE_ZNSN_ISO_Lb0ESQ_SR_ST_SU_SY_EESZ_S10_S11_S12_S16_S17_S18_S1B_S1C_jS1D_jS1E_S1E_jjS1G_bEUljE0_EEESZ_S10_S11_S18_S1C_S1E_T6_T7_T9_mT8_S1G_bDpT10_ENKUlT_T0_E_clISt17integral_constantIbLb1EES1T_IbLb0EEEEDaS1P_S1Q_EUlS1P_E_NS1_11comp_targetILNS1_3genE2ELNS1_11target_archE906ELNS1_3gpuE6ELNS1_3repE0EEENS1_30default_config_static_selectorELNS0_4arch9wavefront6targetE0EEEvS12_,comdat
	.globl	_ZN7rocprim17ROCPRIM_400000_NS6detail17trampoline_kernelINS0_13select_configILj256ELj13ELNS0_17block_load_methodE3ELS4_3ELS4_3ELNS0_20block_scan_algorithmE0ELj4294967295EEENS1_25partition_config_selectorILNS1_17partition_subalgoE4EjNS0_10empty_typeEbEEZZNS1_14partition_implILS8_4ELb0ES6_15HIP_vector_typeIjLj2EENS0_17counting_iteratorIjlEEPS9_SG_NS0_5tupleIJPjSI_NS0_16reverse_iteratorISI_EEEEENSH_IJSG_SG_SG_EEES9_SI_JZNS1_25segmented_radix_sort_implINS0_14default_configELb0EPKfPfPKlPlN2at6native12_GLOBAL__N_18offset_tEEE10hipError_tPvRmT1_PNSt15iterator_traitsIS12_E10value_typeET2_T3_PNS13_IS18_E10value_typeET4_jRbjT5_S1E_jjP12ihipStream_tbEUljE_ZNSN_ISO_Lb0ESQ_SR_ST_SU_SY_EESZ_S10_S11_S12_S16_S17_S18_S1B_S1C_jS1D_jS1E_S1E_jjS1G_bEUljE0_EEESZ_S10_S11_S18_S1C_S1E_T6_T7_T9_mT8_S1G_bDpT10_ENKUlT_T0_E_clISt17integral_constantIbLb1EES1T_IbLb0EEEEDaS1P_S1Q_EUlS1P_E_NS1_11comp_targetILNS1_3genE2ELNS1_11target_archE906ELNS1_3gpuE6ELNS1_3repE0EEENS1_30default_config_static_selectorELNS0_4arch9wavefront6targetE0EEEvS12_ ; -- Begin function _ZN7rocprim17ROCPRIM_400000_NS6detail17trampoline_kernelINS0_13select_configILj256ELj13ELNS0_17block_load_methodE3ELS4_3ELS4_3ELNS0_20block_scan_algorithmE0ELj4294967295EEENS1_25partition_config_selectorILNS1_17partition_subalgoE4EjNS0_10empty_typeEbEEZZNS1_14partition_implILS8_4ELb0ES6_15HIP_vector_typeIjLj2EENS0_17counting_iteratorIjlEEPS9_SG_NS0_5tupleIJPjSI_NS0_16reverse_iteratorISI_EEEEENSH_IJSG_SG_SG_EEES9_SI_JZNS1_25segmented_radix_sort_implINS0_14default_configELb0EPKfPfPKlPlN2at6native12_GLOBAL__N_18offset_tEEE10hipError_tPvRmT1_PNSt15iterator_traitsIS12_E10value_typeET2_T3_PNS13_IS18_E10value_typeET4_jRbjT5_S1E_jjP12ihipStream_tbEUljE_ZNSN_ISO_Lb0ESQ_SR_ST_SU_SY_EESZ_S10_S11_S12_S16_S17_S18_S1B_S1C_jS1D_jS1E_S1E_jjS1G_bEUljE0_EEESZ_S10_S11_S18_S1C_S1E_T6_T7_T9_mT8_S1G_bDpT10_ENKUlT_T0_E_clISt17integral_constantIbLb1EES1T_IbLb0EEEEDaS1P_S1Q_EUlS1P_E_NS1_11comp_targetILNS1_3genE2ELNS1_11target_archE906ELNS1_3gpuE6ELNS1_3repE0EEENS1_30default_config_static_selectorELNS0_4arch9wavefront6targetE0EEEvS12_
	.p2align	8
	.type	_ZN7rocprim17ROCPRIM_400000_NS6detail17trampoline_kernelINS0_13select_configILj256ELj13ELNS0_17block_load_methodE3ELS4_3ELS4_3ELNS0_20block_scan_algorithmE0ELj4294967295EEENS1_25partition_config_selectorILNS1_17partition_subalgoE4EjNS0_10empty_typeEbEEZZNS1_14partition_implILS8_4ELb0ES6_15HIP_vector_typeIjLj2EENS0_17counting_iteratorIjlEEPS9_SG_NS0_5tupleIJPjSI_NS0_16reverse_iteratorISI_EEEEENSH_IJSG_SG_SG_EEES9_SI_JZNS1_25segmented_radix_sort_implINS0_14default_configELb0EPKfPfPKlPlN2at6native12_GLOBAL__N_18offset_tEEE10hipError_tPvRmT1_PNSt15iterator_traitsIS12_E10value_typeET2_T3_PNS13_IS18_E10value_typeET4_jRbjT5_S1E_jjP12ihipStream_tbEUljE_ZNSN_ISO_Lb0ESQ_SR_ST_SU_SY_EESZ_S10_S11_S12_S16_S17_S18_S1B_S1C_jS1D_jS1E_S1E_jjS1G_bEUljE0_EEESZ_S10_S11_S18_S1C_S1E_T6_T7_T9_mT8_S1G_bDpT10_ENKUlT_T0_E_clISt17integral_constantIbLb1EES1T_IbLb0EEEEDaS1P_S1Q_EUlS1P_E_NS1_11comp_targetILNS1_3genE2ELNS1_11target_archE906ELNS1_3gpuE6ELNS1_3repE0EEENS1_30default_config_static_selectorELNS0_4arch9wavefront6targetE0EEEvS12_,@function
_ZN7rocprim17ROCPRIM_400000_NS6detail17trampoline_kernelINS0_13select_configILj256ELj13ELNS0_17block_load_methodE3ELS4_3ELS4_3ELNS0_20block_scan_algorithmE0ELj4294967295EEENS1_25partition_config_selectorILNS1_17partition_subalgoE4EjNS0_10empty_typeEbEEZZNS1_14partition_implILS8_4ELb0ES6_15HIP_vector_typeIjLj2EENS0_17counting_iteratorIjlEEPS9_SG_NS0_5tupleIJPjSI_NS0_16reverse_iteratorISI_EEEEENSH_IJSG_SG_SG_EEES9_SI_JZNS1_25segmented_radix_sort_implINS0_14default_configELb0EPKfPfPKlPlN2at6native12_GLOBAL__N_18offset_tEEE10hipError_tPvRmT1_PNSt15iterator_traitsIS12_E10value_typeET2_T3_PNS13_IS18_E10value_typeET4_jRbjT5_S1E_jjP12ihipStream_tbEUljE_ZNSN_ISO_Lb0ESQ_SR_ST_SU_SY_EESZ_S10_S11_S12_S16_S17_S18_S1B_S1C_jS1D_jS1E_S1E_jjS1G_bEUljE0_EEESZ_S10_S11_S18_S1C_S1E_T6_T7_T9_mT8_S1G_bDpT10_ENKUlT_T0_E_clISt17integral_constantIbLb1EES1T_IbLb0EEEEDaS1P_S1Q_EUlS1P_E_NS1_11comp_targetILNS1_3genE2ELNS1_11target_archE906ELNS1_3gpuE6ELNS1_3repE0EEENS1_30default_config_static_selectorELNS0_4arch9wavefront6targetE0EEEvS12_: ; @_ZN7rocprim17ROCPRIM_400000_NS6detail17trampoline_kernelINS0_13select_configILj256ELj13ELNS0_17block_load_methodE3ELS4_3ELS4_3ELNS0_20block_scan_algorithmE0ELj4294967295EEENS1_25partition_config_selectorILNS1_17partition_subalgoE4EjNS0_10empty_typeEbEEZZNS1_14partition_implILS8_4ELb0ES6_15HIP_vector_typeIjLj2EENS0_17counting_iteratorIjlEEPS9_SG_NS0_5tupleIJPjSI_NS0_16reverse_iteratorISI_EEEEENSH_IJSG_SG_SG_EEES9_SI_JZNS1_25segmented_radix_sort_implINS0_14default_configELb0EPKfPfPKlPlN2at6native12_GLOBAL__N_18offset_tEEE10hipError_tPvRmT1_PNSt15iterator_traitsIS12_E10value_typeET2_T3_PNS13_IS18_E10value_typeET4_jRbjT5_S1E_jjP12ihipStream_tbEUljE_ZNSN_ISO_Lb0ESQ_SR_ST_SU_SY_EESZ_S10_S11_S12_S16_S17_S18_S1B_S1C_jS1D_jS1E_S1E_jjS1G_bEUljE0_EEESZ_S10_S11_S18_S1C_S1E_T6_T7_T9_mT8_S1G_bDpT10_ENKUlT_T0_E_clISt17integral_constantIbLb1EES1T_IbLb0EEEEDaS1P_S1Q_EUlS1P_E_NS1_11comp_targetILNS1_3genE2ELNS1_11target_archE906ELNS1_3gpuE6ELNS1_3repE0EEENS1_30default_config_static_selectorELNS0_4arch9wavefront6targetE0EEEvS12_
; %bb.0:
	.section	.rodata,"a",@progbits
	.p2align	6, 0x0
	.amdhsa_kernel _ZN7rocprim17ROCPRIM_400000_NS6detail17trampoline_kernelINS0_13select_configILj256ELj13ELNS0_17block_load_methodE3ELS4_3ELS4_3ELNS0_20block_scan_algorithmE0ELj4294967295EEENS1_25partition_config_selectorILNS1_17partition_subalgoE4EjNS0_10empty_typeEbEEZZNS1_14partition_implILS8_4ELb0ES6_15HIP_vector_typeIjLj2EENS0_17counting_iteratorIjlEEPS9_SG_NS0_5tupleIJPjSI_NS0_16reverse_iteratorISI_EEEEENSH_IJSG_SG_SG_EEES9_SI_JZNS1_25segmented_radix_sort_implINS0_14default_configELb0EPKfPfPKlPlN2at6native12_GLOBAL__N_18offset_tEEE10hipError_tPvRmT1_PNSt15iterator_traitsIS12_E10value_typeET2_T3_PNS13_IS18_E10value_typeET4_jRbjT5_S1E_jjP12ihipStream_tbEUljE_ZNSN_ISO_Lb0ESQ_SR_ST_SU_SY_EESZ_S10_S11_S12_S16_S17_S18_S1B_S1C_jS1D_jS1E_S1E_jjS1G_bEUljE0_EEESZ_S10_S11_S18_S1C_S1E_T6_T7_T9_mT8_S1G_bDpT10_ENKUlT_T0_E_clISt17integral_constantIbLb1EES1T_IbLb0EEEEDaS1P_S1Q_EUlS1P_E_NS1_11comp_targetILNS1_3genE2ELNS1_11target_archE906ELNS1_3gpuE6ELNS1_3repE0EEENS1_30default_config_static_selectorELNS0_4arch9wavefront6targetE0EEEvS12_
		.amdhsa_group_segment_fixed_size 0
		.amdhsa_private_segment_fixed_size 0
		.amdhsa_kernarg_size 176
		.amdhsa_user_sgpr_count 2
		.amdhsa_user_sgpr_dispatch_ptr 0
		.amdhsa_user_sgpr_queue_ptr 0
		.amdhsa_user_sgpr_kernarg_segment_ptr 1
		.amdhsa_user_sgpr_dispatch_id 0
		.amdhsa_user_sgpr_kernarg_preload_length 0
		.amdhsa_user_sgpr_kernarg_preload_offset 0
		.amdhsa_user_sgpr_private_segment_size 0
		.amdhsa_wavefront_size32 1
		.amdhsa_uses_dynamic_stack 0
		.amdhsa_enable_private_segment 0
		.amdhsa_system_sgpr_workgroup_id_x 1
		.amdhsa_system_sgpr_workgroup_id_y 0
		.amdhsa_system_sgpr_workgroup_id_z 0
		.amdhsa_system_sgpr_workgroup_info 0
		.amdhsa_system_vgpr_workitem_id 0
		.amdhsa_next_free_vgpr 1
		.amdhsa_next_free_sgpr 1
		.amdhsa_named_barrier_count 0
		.amdhsa_reserve_vcc 0
		.amdhsa_float_round_mode_32 0
		.amdhsa_float_round_mode_16_64 0
		.amdhsa_float_denorm_mode_32 3
		.amdhsa_float_denorm_mode_16_64 3
		.amdhsa_fp16_overflow 0
		.amdhsa_memory_ordered 1
		.amdhsa_forward_progress 1
		.amdhsa_inst_pref_size 0
		.amdhsa_round_robin_scheduling 0
		.amdhsa_exception_fp_ieee_invalid_op 0
		.amdhsa_exception_fp_denorm_src 0
		.amdhsa_exception_fp_ieee_div_zero 0
		.amdhsa_exception_fp_ieee_overflow 0
		.amdhsa_exception_fp_ieee_underflow 0
		.amdhsa_exception_fp_ieee_inexact 0
		.amdhsa_exception_int_div_zero 0
	.end_amdhsa_kernel
	.section	.text._ZN7rocprim17ROCPRIM_400000_NS6detail17trampoline_kernelINS0_13select_configILj256ELj13ELNS0_17block_load_methodE3ELS4_3ELS4_3ELNS0_20block_scan_algorithmE0ELj4294967295EEENS1_25partition_config_selectorILNS1_17partition_subalgoE4EjNS0_10empty_typeEbEEZZNS1_14partition_implILS8_4ELb0ES6_15HIP_vector_typeIjLj2EENS0_17counting_iteratorIjlEEPS9_SG_NS0_5tupleIJPjSI_NS0_16reverse_iteratorISI_EEEEENSH_IJSG_SG_SG_EEES9_SI_JZNS1_25segmented_radix_sort_implINS0_14default_configELb0EPKfPfPKlPlN2at6native12_GLOBAL__N_18offset_tEEE10hipError_tPvRmT1_PNSt15iterator_traitsIS12_E10value_typeET2_T3_PNS13_IS18_E10value_typeET4_jRbjT5_S1E_jjP12ihipStream_tbEUljE_ZNSN_ISO_Lb0ESQ_SR_ST_SU_SY_EESZ_S10_S11_S12_S16_S17_S18_S1B_S1C_jS1D_jS1E_S1E_jjS1G_bEUljE0_EEESZ_S10_S11_S18_S1C_S1E_T6_T7_T9_mT8_S1G_bDpT10_ENKUlT_T0_E_clISt17integral_constantIbLb1EES1T_IbLb0EEEEDaS1P_S1Q_EUlS1P_E_NS1_11comp_targetILNS1_3genE2ELNS1_11target_archE906ELNS1_3gpuE6ELNS1_3repE0EEENS1_30default_config_static_selectorELNS0_4arch9wavefront6targetE0EEEvS12_,"axG",@progbits,_ZN7rocprim17ROCPRIM_400000_NS6detail17trampoline_kernelINS0_13select_configILj256ELj13ELNS0_17block_load_methodE3ELS4_3ELS4_3ELNS0_20block_scan_algorithmE0ELj4294967295EEENS1_25partition_config_selectorILNS1_17partition_subalgoE4EjNS0_10empty_typeEbEEZZNS1_14partition_implILS8_4ELb0ES6_15HIP_vector_typeIjLj2EENS0_17counting_iteratorIjlEEPS9_SG_NS0_5tupleIJPjSI_NS0_16reverse_iteratorISI_EEEEENSH_IJSG_SG_SG_EEES9_SI_JZNS1_25segmented_radix_sort_implINS0_14default_configELb0EPKfPfPKlPlN2at6native12_GLOBAL__N_18offset_tEEE10hipError_tPvRmT1_PNSt15iterator_traitsIS12_E10value_typeET2_T3_PNS13_IS18_E10value_typeET4_jRbjT5_S1E_jjP12ihipStream_tbEUljE_ZNSN_ISO_Lb0ESQ_SR_ST_SU_SY_EESZ_S10_S11_S12_S16_S17_S18_S1B_S1C_jS1D_jS1E_S1E_jjS1G_bEUljE0_EEESZ_S10_S11_S18_S1C_S1E_T6_T7_T9_mT8_S1G_bDpT10_ENKUlT_T0_E_clISt17integral_constantIbLb1EES1T_IbLb0EEEEDaS1P_S1Q_EUlS1P_E_NS1_11comp_targetILNS1_3genE2ELNS1_11target_archE906ELNS1_3gpuE6ELNS1_3repE0EEENS1_30default_config_static_selectorELNS0_4arch9wavefront6targetE0EEEvS12_,comdat
.Lfunc_end1377:
	.size	_ZN7rocprim17ROCPRIM_400000_NS6detail17trampoline_kernelINS0_13select_configILj256ELj13ELNS0_17block_load_methodE3ELS4_3ELS4_3ELNS0_20block_scan_algorithmE0ELj4294967295EEENS1_25partition_config_selectorILNS1_17partition_subalgoE4EjNS0_10empty_typeEbEEZZNS1_14partition_implILS8_4ELb0ES6_15HIP_vector_typeIjLj2EENS0_17counting_iteratorIjlEEPS9_SG_NS0_5tupleIJPjSI_NS0_16reverse_iteratorISI_EEEEENSH_IJSG_SG_SG_EEES9_SI_JZNS1_25segmented_radix_sort_implINS0_14default_configELb0EPKfPfPKlPlN2at6native12_GLOBAL__N_18offset_tEEE10hipError_tPvRmT1_PNSt15iterator_traitsIS12_E10value_typeET2_T3_PNS13_IS18_E10value_typeET4_jRbjT5_S1E_jjP12ihipStream_tbEUljE_ZNSN_ISO_Lb0ESQ_SR_ST_SU_SY_EESZ_S10_S11_S12_S16_S17_S18_S1B_S1C_jS1D_jS1E_S1E_jjS1G_bEUljE0_EEESZ_S10_S11_S18_S1C_S1E_T6_T7_T9_mT8_S1G_bDpT10_ENKUlT_T0_E_clISt17integral_constantIbLb1EES1T_IbLb0EEEEDaS1P_S1Q_EUlS1P_E_NS1_11comp_targetILNS1_3genE2ELNS1_11target_archE906ELNS1_3gpuE6ELNS1_3repE0EEENS1_30default_config_static_selectorELNS0_4arch9wavefront6targetE0EEEvS12_, .Lfunc_end1377-_ZN7rocprim17ROCPRIM_400000_NS6detail17trampoline_kernelINS0_13select_configILj256ELj13ELNS0_17block_load_methodE3ELS4_3ELS4_3ELNS0_20block_scan_algorithmE0ELj4294967295EEENS1_25partition_config_selectorILNS1_17partition_subalgoE4EjNS0_10empty_typeEbEEZZNS1_14partition_implILS8_4ELb0ES6_15HIP_vector_typeIjLj2EENS0_17counting_iteratorIjlEEPS9_SG_NS0_5tupleIJPjSI_NS0_16reverse_iteratorISI_EEEEENSH_IJSG_SG_SG_EEES9_SI_JZNS1_25segmented_radix_sort_implINS0_14default_configELb0EPKfPfPKlPlN2at6native12_GLOBAL__N_18offset_tEEE10hipError_tPvRmT1_PNSt15iterator_traitsIS12_E10value_typeET2_T3_PNS13_IS18_E10value_typeET4_jRbjT5_S1E_jjP12ihipStream_tbEUljE_ZNSN_ISO_Lb0ESQ_SR_ST_SU_SY_EESZ_S10_S11_S12_S16_S17_S18_S1B_S1C_jS1D_jS1E_S1E_jjS1G_bEUljE0_EEESZ_S10_S11_S18_S1C_S1E_T6_T7_T9_mT8_S1G_bDpT10_ENKUlT_T0_E_clISt17integral_constantIbLb1EES1T_IbLb0EEEEDaS1P_S1Q_EUlS1P_E_NS1_11comp_targetILNS1_3genE2ELNS1_11target_archE906ELNS1_3gpuE6ELNS1_3repE0EEENS1_30default_config_static_selectorELNS0_4arch9wavefront6targetE0EEEvS12_
                                        ; -- End function
	.set _ZN7rocprim17ROCPRIM_400000_NS6detail17trampoline_kernelINS0_13select_configILj256ELj13ELNS0_17block_load_methodE3ELS4_3ELS4_3ELNS0_20block_scan_algorithmE0ELj4294967295EEENS1_25partition_config_selectorILNS1_17partition_subalgoE4EjNS0_10empty_typeEbEEZZNS1_14partition_implILS8_4ELb0ES6_15HIP_vector_typeIjLj2EENS0_17counting_iteratorIjlEEPS9_SG_NS0_5tupleIJPjSI_NS0_16reverse_iteratorISI_EEEEENSH_IJSG_SG_SG_EEES9_SI_JZNS1_25segmented_radix_sort_implINS0_14default_configELb0EPKfPfPKlPlN2at6native12_GLOBAL__N_18offset_tEEE10hipError_tPvRmT1_PNSt15iterator_traitsIS12_E10value_typeET2_T3_PNS13_IS18_E10value_typeET4_jRbjT5_S1E_jjP12ihipStream_tbEUljE_ZNSN_ISO_Lb0ESQ_SR_ST_SU_SY_EESZ_S10_S11_S12_S16_S17_S18_S1B_S1C_jS1D_jS1E_S1E_jjS1G_bEUljE0_EEESZ_S10_S11_S18_S1C_S1E_T6_T7_T9_mT8_S1G_bDpT10_ENKUlT_T0_E_clISt17integral_constantIbLb1EES1T_IbLb0EEEEDaS1P_S1Q_EUlS1P_E_NS1_11comp_targetILNS1_3genE2ELNS1_11target_archE906ELNS1_3gpuE6ELNS1_3repE0EEENS1_30default_config_static_selectorELNS0_4arch9wavefront6targetE0EEEvS12_.num_vgpr, 0
	.set _ZN7rocprim17ROCPRIM_400000_NS6detail17trampoline_kernelINS0_13select_configILj256ELj13ELNS0_17block_load_methodE3ELS4_3ELS4_3ELNS0_20block_scan_algorithmE0ELj4294967295EEENS1_25partition_config_selectorILNS1_17partition_subalgoE4EjNS0_10empty_typeEbEEZZNS1_14partition_implILS8_4ELb0ES6_15HIP_vector_typeIjLj2EENS0_17counting_iteratorIjlEEPS9_SG_NS0_5tupleIJPjSI_NS0_16reverse_iteratorISI_EEEEENSH_IJSG_SG_SG_EEES9_SI_JZNS1_25segmented_radix_sort_implINS0_14default_configELb0EPKfPfPKlPlN2at6native12_GLOBAL__N_18offset_tEEE10hipError_tPvRmT1_PNSt15iterator_traitsIS12_E10value_typeET2_T3_PNS13_IS18_E10value_typeET4_jRbjT5_S1E_jjP12ihipStream_tbEUljE_ZNSN_ISO_Lb0ESQ_SR_ST_SU_SY_EESZ_S10_S11_S12_S16_S17_S18_S1B_S1C_jS1D_jS1E_S1E_jjS1G_bEUljE0_EEESZ_S10_S11_S18_S1C_S1E_T6_T7_T9_mT8_S1G_bDpT10_ENKUlT_T0_E_clISt17integral_constantIbLb1EES1T_IbLb0EEEEDaS1P_S1Q_EUlS1P_E_NS1_11comp_targetILNS1_3genE2ELNS1_11target_archE906ELNS1_3gpuE6ELNS1_3repE0EEENS1_30default_config_static_selectorELNS0_4arch9wavefront6targetE0EEEvS12_.num_agpr, 0
	.set _ZN7rocprim17ROCPRIM_400000_NS6detail17trampoline_kernelINS0_13select_configILj256ELj13ELNS0_17block_load_methodE3ELS4_3ELS4_3ELNS0_20block_scan_algorithmE0ELj4294967295EEENS1_25partition_config_selectorILNS1_17partition_subalgoE4EjNS0_10empty_typeEbEEZZNS1_14partition_implILS8_4ELb0ES6_15HIP_vector_typeIjLj2EENS0_17counting_iteratorIjlEEPS9_SG_NS0_5tupleIJPjSI_NS0_16reverse_iteratorISI_EEEEENSH_IJSG_SG_SG_EEES9_SI_JZNS1_25segmented_radix_sort_implINS0_14default_configELb0EPKfPfPKlPlN2at6native12_GLOBAL__N_18offset_tEEE10hipError_tPvRmT1_PNSt15iterator_traitsIS12_E10value_typeET2_T3_PNS13_IS18_E10value_typeET4_jRbjT5_S1E_jjP12ihipStream_tbEUljE_ZNSN_ISO_Lb0ESQ_SR_ST_SU_SY_EESZ_S10_S11_S12_S16_S17_S18_S1B_S1C_jS1D_jS1E_S1E_jjS1G_bEUljE0_EEESZ_S10_S11_S18_S1C_S1E_T6_T7_T9_mT8_S1G_bDpT10_ENKUlT_T0_E_clISt17integral_constantIbLb1EES1T_IbLb0EEEEDaS1P_S1Q_EUlS1P_E_NS1_11comp_targetILNS1_3genE2ELNS1_11target_archE906ELNS1_3gpuE6ELNS1_3repE0EEENS1_30default_config_static_selectorELNS0_4arch9wavefront6targetE0EEEvS12_.numbered_sgpr, 0
	.set _ZN7rocprim17ROCPRIM_400000_NS6detail17trampoline_kernelINS0_13select_configILj256ELj13ELNS0_17block_load_methodE3ELS4_3ELS4_3ELNS0_20block_scan_algorithmE0ELj4294967295EEENS1_25partition_config_selectorILNS1_17partition_subalgoE4EjNS0_10empty_typeEbEEZZNS1_14partition_implILS8_4ELb0ES6_15HIP_vector_typeIjLj2EENS0_17counting_iteratorIjlEEPS9_SG_NS0_5tupleIJPjSI_NS0_16reverse_iteratorISI_EEEEENSH_IJSG_SG_SG_EEES9_SI_JZNS1_25segmented_radix_sort_implINS0_14default_configELb0EPKfPfPKlPlN2at6native12_GLOBAL__N_18offset_tEEE10hipError_tPvRmT1_PNSt15iterator_traitsIS12_E10value_typeET2_T3_PNS13_IS18_E10value_typeET4_jRbjT5_S1E_jjP12ihipStream_tbEUljE_ZNSN_ISO_Lb0ESQ_SR_ST_SU_SY_EESZ_S10_S11_S12_S16_S17_S18_S1B_S1C_jS1D_jS1E_S1E_jjS1G_bEUljE0_EEESZ_S10_S11_S18_S1C_S1E_T6_T7_T9_mT8_S1G_bDpT10_ENKUlT_T0_E_clISt17integral_constantIbLb1EES1T_IbLb0EEEEDaS1P_S1Q_EUlS1P_E_NS1_11comp_targetILNS1_3genE2ELNS1_11target_archE906ELNS1_3gpuE6ELNS1_3repE0EEENS1_30default_config_static_selectorELNS0_4arch9wavefront6targetE0EEEvS12_.num_named_barrier, 0
	.set _ZN7rocprim17ROCPRIM_400000_NS6detail17trampoline_kernelINS0_13select_configILj256ELj13ELNS0_17block_load_methodE3ELS4_3ELS4_3ELNS0_20block_scan_algorithmE0ELj4294967295EEENS1_25partition_config_selectorILNS1_17partition_subalgoE4EjNS0_10empty_typeEbEEZZNS1_14partition_implILS8_4ELb0ES6_15HIP_vector_typeIjLj2EENS0_17counting_iteratorIjlEEPS9_SG_NS0_5tupleIJPjSI_NS0_16reverse_iteratorISI_EEEEENSH_IJSG_SG_SG_EEES9_SI_JZNS1_25segmented_radix_sort_implINS0_14default_configELb0EPKfPfPKlPlN2at6native12_GLOBAL__N_18offset_tEEE10hipError_tPvRmT1_PNSt15iterator_traitsIS12_E10value_typeET2_T3_PNS13_IS18_E10value_typeET4_jRbjT5_S1E_jjP12ihipStream_tbEUljE_ZNSN_ISO_Lb0ESQ_SR_ST_SU_SY_EESZ_S10_S11_S12_S16_S17_S18_S1B_S1C_jS1D_jS1E_S1E_jjS1G_bEUljE0_EEESZ_S10_S11_S18_S1C_S1E_T6_T7_T9_mT8_S1G_bDpT10_ENKUlT_T0_E_clISt17integral_constantIbLb1EES1T_IbLb0EEEEDaS1P_S1Q_EUlS1P_E_NS1_11comp_targetILNS1_3genE2ELNS1_11target_archE906ELNS1_3gpuE6ELNS1_3repE0EEENS1_30default_config_static_selectorELNS0_4arch9wavefront6targetE0EEEvS12_.private_seg_size, 0
	.set _ZN7rocprim17ROCPRIM_400000_NS6detail17trampoline_kernelINS0_13select_configILj256ELj13ELNS0_17block_load_methodE3ELS4_3ELS4_3ELNS0_20block_scan_algorithmE0ELj4294967295EEENS1_25partition_config_selectorILNS1_17partition_subalgoE4EjNS0_10empty_typeEbEEZZNS1_14partition_implILS8_4ELb0ES6_15HIP_vector_typeIjLj2EENS0_17counting_iteratorIjlEEPS9_SG_NS0_5tupleIJPjSI_NS0_16reverse_iteratorISI_EEEEENSH_IJSG_SG_SG_EEES9_SI_JZNS1_25segmented_radix_sort_implINS0_14default_configELb0EPKfPfPKlPlN2at6native12_GLOBAL__N_18offset_tEEE10hipError_tPvRmT1_PNSt15iterator_traitsIS12_E10value_typeET2_T3_PNS13_IS18_E10value_typeET4_jRbjT5_S1E_jjP12ihipStream_tbEUljE_ZNSN_ISO_Lb0ESQ_SR_ST_SU_SY_EESZ_S10_S11_S12_S16_S17_S18_S1B_S1C_jS1D_jS1E_S1E_jjS1G_bEUljE0_EEESZ_S10_S11_S18_S1C_S1E_T6_T7_T9_mT8_S1G_bDpT10_ENKUlT_T0_E_clISt17integral_constantIbLb1EES1T_IbLb0EEEEDaS1P_S1Q_EUlS1P_E_NS1_11comp_targetILNS1_3genE2ELNS1_11target_archE906ELNS1_3gpuE6ELNS1_3repE0EEENS1_30default_config_static_selectorELNS0_4arch9wavefront6targetE0EEEvS12_.uses_vcc, 0
	.set _ZN7rocprim17ROCPRIM_400000_NS6detail17trampoline_kernelINS0_13select_configILj256ELj13ELNS0_17block_load_methodE3ELS4_3ELS4_3ELNS0_20block_scan_algorithmE0ELj4294967295EEENS1_25partition_config_selectorILNS1_17partition_subalgoE4EjNS0_10empty_typeEbEEZZNS1_14partition_implILS8_4ELb0ES6_15HIP_vector_typeIjLj2EENS0_17counting_iteratorIjlEEPS9_SG_NS0_5tupleIJPjSI_NS0_16reverse_iteratorISI_EEEEENSH_IJSG_SG_SG_EEES9_SI_JZNS1_25segmented_radix_sort_implINS0_14default_configELb0EPKfPfPKlPlN2at6native12_GLOBAL__N_18offset_tEEE10hipError_tPvRmT1_PNSt15iterator_traitsIS12_E10value_typeET2_T3_PNS13_IS18_E10value_typeET4_jRbjT5_S1E_jjP12ihipStream_tbEUljE_ZNSN_ISO_Lb0ESQ_SR_ST_SU_SY_EESZ_S10_S11_S12_S16_S17_S18_S1B_S1C_jS1D_jS1E_S1E_jjS1G_bEUljE0_EEESZ_S10_S11_S18_S1C_S1E_T6_T7_T9_mT8_S1G_bDpT10_ENKUlT_T0_E_clISt17integral_constantIbLb1EES1T_IbLb0EEEEDaS1P_S1Q_EUlS1P_E_NS1_11comp_targetILNS1_3genE2ELNS1_11target_archE906ELNS1_3gpuE6ELNS1_3repE0EEENS1_30default_config_static_selectorELNS0_4arch9wavefront6targetE0EEEvS12_.uses_flat_scratch, 0
	.set _ZN7rocprim17ROCPRIM_400000_NS6detail17trampoline_kernelINS0_13select_configILj256ELj13ELNS0_17block_load_methodE3ELS4_3ELS4_3ELNS0_20block_scan_algorithmE0ELj4294967295EEENS1_25partition_config_selectorILNS1_17partition_subalgoE4EjNS0_10empty_typeEbEEZZNS1_14partition_implILS8_4ELb0ES6_15HIP_vector_typeIjLj2EENS0_17counting_iteratorIjlEEPS9_SG_NS0_5tupleIJPjSI_NS0_16reverse_iteratorISI_EEEEENSH_IJSG_SG_SG_EEES9_SI_JZNS1_25segmented_radix_sort_implINS0_14default_configELb0EPKfPfPKlPlN2at6native12_GLOBAL__N_18offset_tEEE10hipError_tPvRmT1_PNSt15iterator_traitsIS12_E10value_typeET2_T3_PNS13_IS18_E10value_typeET4_jRbjT5_S1E_jjP12ihipStream_tbEUljE_ZNSN_ISO_Lb0ESQ_SR_ST_SU_SY_EESZ_S10_S11_S12_S16_S17_S18_S1B_S1C_jS1D_jS1E_S1E_jjS1G_bEUljE0_EEESZ_S10_S11_S18_S1C_S1E_T6_T7_T9_mT8_S1G_bDpT10_ENKUlT_T0_E_clISt17integral_constantIbLb1EES1T_IbLb0EEEEDaS1P_S1Q_EUlS1P_E_NS1_11comp_targetILNS1_3genE2ELNS1_11target_archE906ELNS1_3gpuE6ELNS1_3repE0EEENS1_30default_config_static_selectorELNS0_4arch9wavefront6targetE0EEEvS12_.has_dyn_sized_stack, 0
	.set _ZN7rocprim17ROCPRIM_400000_NS6detail17trampoline_kernelINS0_13select_configILj256ELj13ELNS0_17block_load_methodE3ELS4_3ELS4_3ELNS0_20block_scan_algorithmE0ELj4294967295EEENS1_25partition_config_selectorILNS1_17partition_subalgoE4EjNS0_10empty_typeEbEEZZNS1_14partition_implILS8_4ELb0ES6_15HIP_vector_typeIjLj2EENS0_17counting_iteratorIjlEEPS9_SG_NS0_5tupleIJPjSI_NS0_16reverse_iteratorISI_EEEEENSH_IJSG_SG_SG_EEES9_SI_JZNS1_25segmented_radix_sort_implINS0_14default_configELb0EPKfPfPKlPlN2at6native12_GLOBAL__N_18offset_tEEE10hipError_tPvRmT1_PNSt15iterator_traitsIS12_E10value_typeET2_T3_PNS13_IS18_E10value_typeET4_jRbjT5_S1E_jjP12ihipStream_tbEUljE_ZNSN_ISO_Lb0ESQ_SR_ST_SU_SY_EESZ_S10_S11_S12_S16_S17_S18_S1B_S1C_jS1D_jS1E_S1E_jjS1G_bEUljE0_EEESZ_S10_S11_S18_S1C_S1E_T6_T7_T9_mT8_S1G_bDpT10_ENKUlT_T0_E_clISt17integral_constantIbLb1EES1T_IbLb0EEEEDaS1P_S1Q_EUlS1P_E_NS1_11comp_targetILNS1_3genE2ELNS1_11target_archE906ELNS1_3gpuE6ELNS1_3repE0EEENS1_30default_config_static_selectorELNS0_4arch9wavefront6targetE0EEEvS12_.has_recursion, 0
	.set _ZN7rocprim17ROCPRIM_400000_NS6detail17trampoline_kernelINS0_13select_configILj256ELj13ELNS0_17block_load_methodE3ELS4_3ELS4_3ELNS0_20block_scan_algorithmE0ELj4294967295EEENS1_25partition_config_selectorILNS1_17partition_subalgoE4EjNS0_10empty_typeEbEEZZNS1_14partition_implILS8_4ELb0ES6_15HIP_vector_typeIjLj2EENS0_17counting_iteratorIjlEEPS9_SG_NS0_5tupleIJPjSI_NS0_16reverse_iteratorISI_EEEEENSH_IJSG_SG_SG_EEES9_SI_JZNS1_25segmented_radix_sort_implINS0_14default_configELb0EPKfPfPKlPlN2at6native12_GLOBAL__N_18offset_tEEE10hipError_tPvRmT1_PNSt15iterator_traitsIS12_E10value_typeET2_T3_PNS13_IS18_E10value_typeET4_jRbjT5_S1E_jjP12ihipStream_tbEUljE_ZNSN_ISO_Lb0ESQ_SR_ST_SU_SY_EESZ_S10_S11_S12_S16_S17_S18_S1B_S1C_jS1D_jS1E_S1E_jjS1G_bEUljE0_EEESZ_S10_S11_S18_S1C_S1E_T6_T7_T9_mT8_S1G_bDpT10_ENKUlT_T0_E_clISt17integral_constantIbLb1EES1T_IbLb0EEEEDaS1P_S1Q_EUlS1P_E_NS1_11comp_targetILNS1_3genE2ELNS1_11target_archE906ELNS1_3gpuE6ELNS1_3repE0EEENS1_30default_config_static_selectorELNS0_4arch9wavefront6targetE0EEEvS12_.has_indirect_call, 0
	.section	.AMDGPU.csdata,"",@progbits
; Kernel info:
; codeLenInByte = 0
; TotalNumSgprs: 0
; NumVgprs: 0
; ScratchSize: 0
; MemoryBound: 0
; FloatMode: 240
; IeeeMode: 1
; LDSByteSize: 0 bytes/workgroup (compile time only)
; SGPRBlocks: 0
; VGPRBlocks: 0
; NumSGPRsForWavesPerEU: 1
; NumVGPRsForWavesPerEU: 1
; NamedBarCnt: 0
; Occupancy: 16
; WaveLimiterHint : 0
; COMPUTE_PGM_RSRC2:SCRATCH_EN: 0
; COMPUTE_PGM_RSRC2:USER_SGPR: 2
; COMPUTE_PGM_RSRC2:TRAP_HANDLER: 0
; COMPUTE_PGM_RSRC2:TGID_X_EN: 1
; COMPUTE_PGM_RSRC2:TGID_Y_EN: 0
; COMPUTE_PGM_RSRC2:TGID_Z_EN: 0
; COMPUTE_PGM_RSRC2:TIDIG_COMP_CNT: 0
	.section	.text._ZN7rocprim17ROCPRIM_400000_NS6detail17trampoline_kernelINS0_13select_configILj256ELj13ELNS0_17block_load_methodE3ELS4_3ELS4_3ELNS0_20block_scan_algorithmE0ELj4294967295EEENS1_25partition_config_selectorILNS1_17partition_subalgoE4EjNS0_10empty_typeEbEEZZNS1_14partition_implILS8_4ELb0ES6_15HIP_vector_typeIjLj2EENS0_17counting_iteratorIjlEEPS9_SG_NS0_5tupleIJPjSI_NS0_16reverse_iteratorISI_EEEEENSH_IJSG_SG_SG_EEES9_SI_JZNS1_25segmented_radix_sort_implINS0_14default_configELb0EPKfPfPKlPlN2at6native12_GLOBAL__N_18offset_tEEE10hipError_tPvRmT1_PNSt15iterator_traitsIS12_E10value_typeET2_T3_PNS13_IS18_E10value_typeET4_jRbjT5_S1E_jjP12ihipStream_tbEUljE_ZNSN_ISO_Lb0ESQ_SR_ST_SU_SY_EESZ_S10_S11_S12_S16_S17_S18_S1B_S1C_jS1D_jS1E_S1E_jjS1G_bEUljE0_EEESZ_S10_S11_S18_S1C_S1E_T6_T7_T9_mT8_S1G_bDpT10_ENKUlT_T0_E_clISt17integral_constantIbLb1EES1T_IbLb0EEEEDaS1P_S1Q_EUlS1P_E_NS1_11comp_targetILNS1_3genE10ELNS1_11target_archE1200ELNS1_3gpuE4ELNS1_3repE0EEENS1_30default_config_static_selectorELNS0_4arch9wavefront6targetE0EEEvS12_,"axG",@progbits,_ZN7rocprim17ROCPRIM_400000_NS6detail17trampoline_kernelINS0_13select_configILj256ELj13ELNS0_17block_load_methodE3ELS4_3ELS4_3ELNS0_20block_scan_algorithmE0ELj4294967295EEENS1_25partition_config_selectorILNS1_17partition_subalgoE4EjNS0_10empty_typeEbEEZZNS1_14partition_implILS8_4ELb0ES6_15HIP_vector_typeIjLj2EENS0_17counting_iteratorIjlEEPS9_SG_NS0_5tupleIJPjSI_NS0_16reverse_iteratorISI_EEEEENSH_IJSG_SG_SG_EEES9_SI_JZNS1_25segmented_radix_sort_implINS0_14default_configELb0EPKfPfPKlPlN2at6native12_GLOBAL__N_18offset_tEEE10hipError_tPvRmT1_PNSt15iterator_traitsIS12_E10value_typeET2_T3_PNS13_IS18_E10value_typeET4_jRbjT5_S1E_jjP12ihipStream_tbEUljE_ZNSN_ISO_Lb0ESQ_SR_ST_SU_SY_EESZ_S10_S11_S12_S16_S17_S18_S1B_S1C_jS1D_jS1E_S1E_jjS1G_bEUljE0_EEESZ_S10_S11_S18_S1C_S1E_T6_T7_T9_mT8_S1G_bDpT10_ENKUlT_T0_E_clISt17integral_constantIbLb1EES1T_IbLb0EEEEDaS1P_S1Q_EUlS1P_E_NS1_11comp_targetILNS1_3genE10ELNS1_11target_archE1200ELNS1_3gpuE4ELNS1_3repE0EEENS1_30default_config_static_selectorELNS0_4arch9wavefront6targetE0EEEvS12_,comdat
	.globl	_ZN7rocprim17ROCPRIM_400000_NS6detail17trampoline_kernelINS0_13select_configILj256ELj13ELNS0_17block_load_methodE3ELS4_3ELS4_3ELNS0_20block_scan_algorithmE0ELj4294967295EEENS1_25partition_config_selectorILNS1_17partition_subalgoE4EjNS0_10empty_typeEbEEZZNS1_14partition_implILS8_4ELb0ES6_15HIP_vector_typeIjLj2EENS0_17counting_iteratorIjlEEPS9_SG_NS0_5tupleIJPjSI_NS0_16reverse_iteratorISI_EEEEENSH_IJSG_SG_SG_EEES9_SI_JZNS1_25segmented_radix_sort_implINS0_14default_configELb0EPKfPfPKlPlN2at6native12_GLOBAL__N_18offset_tEEE10hipError_tPvRmT1_PNSt15iterator_traitsIS12_E10value_typeET2_T3_PNS13_IS18_E10value_typeET4_jRbjT5_S1E_jjP12ihipStream_tbEUljE_ZNSN_ISO_Lb0ESQ_SR_ST_SU_SY_EESZ_S10_S11_S12_S16_S17_S18_S1B_S1C_jS1D_jS1E_S1E_jjS1G_bEUljE0_EEESZ_S10_S11_S18_S1C_S1E_T6_T7_T9_mT8_S1G_bDpT10_ENKUlT_T0_E_clISt17integral_constantIbLb1EES1T_IbLb0EEEEDaS1P_S1Q_EUlS1P_E_NS1_11comp_targetILNS1_3genE10ELNS1_11target_archE1200ELNS1_3gpuE4ELNS1_3repE0EEENS1_30default_config_static_selectorELNS0_4arch9wavefront6targetE0EEEvS12_ ; -- Begin function _ZN7rocprim17ROCPRIM_400000_NS6detail17trampoline_kernelINS0_13select_configILj256ELj13ELNS0_17block_load_methodE3ELS4_3ELS4_3ELNS0_20block_scan_algorithmE0ELj4294967295EEENS1_25partition_config_selectorILNS1_17partition_subalgoE4EjNS0_10empty_typeEbEEZZNS1_14partition_implILS8_4ELb0ES6_15HIP_vector_typeIjLj2EENS0_17counting_iteratorIjlEEPS9_SG_NS0_5tupleIJPjSI_NS0_16reverse_iteratorISI_EEEEENSH_IJSG_SG_SG_EEES9_SI_JZNS1_25segmented_radix_sort_implINS0_14default_configELb0EPKfPfPKlPlN2at6native12_GLOBAL__N_18offset_tEEE10hipError_tPvRmT1_PNSt15iterator_traitsIS12_E10value_typeET2_T3_PNS13_IS18_E10value_typeET4_jRbjT5_S1E_jjP12ihipStream_tbEUljE_ZNSN_ISO_Lb0ESQ_SR_ST_SU_SY_EESZ_S10_S11_S12_S16_S17_S18_S1B_S1C_jS1D_jS1E_S1E_jjS1G_bEUljE0_EEESZ_S10_S11_S18_S1C_S1E_T6_T7_T9_mT8_S1G_bDpT10_ENKUlT_T0_E_clISt17integral_constantIbLb1EES1T_IbLb0EEEEDaS1P_S1Q_EUlS1P_E_NS1_11comp_targetILNS1_3genE10ELNS1_11target_archE1200ELNS1_3gpuE4ELNS1_3repE0EEENS1_30default_config_static_selectorELNS0_4arch9wavefront6targetE0EEEvS12_
	.p2align	8
	.type	_ZN7rocprim17ROCPRIM_400000_NS6detail17trampoline_kernelINS0_13select_configILj256ELj13ELNS0_17block_load_methodE3ELS4_3ELS4_3ELNS0_20block_scan_algorithmE0ELj4294967295EEENS1_25partition_config_selectorILNS1_17partition_subalgoE4EjNS0_10empty_typeEbEEZZNS1_14partition_implILS8_4ELb0ES6_15HIP_vector_typeIjLj2EENS0_17counting_iteratorIjlEEPS9_SG_NS0_5tupleIJPjSI_NS0_16reverse_iteratorISI_EEEEENSH_IJSG_SG_SG_EEES9_SI_JZNS1_25segmented_radix_sort_implINS0_14default_configELb0EPKfPfPKlPlN2at6native12_GLOBAL__N_18offset_tEEE10hipError_tPvRmT1_PNSt15iterator_traitsIS12_E10value_typeET2_T3_PNS13_IS18_E10value_typeET4_jRbjT5_S1E_jjP12ihipStream_tbEUljE_ZNSN_ISO_Lb0ESQ_SR_ST_SU_SY_EESZ_S10_S11_S12_S16_S17_S18_S1B_S1C_jS1D_jS1E_S1E_jjS1G_bEUljE0_EEESZ_S10_S11_S18_S1C_S1E_T6_T7_T9_mT8_S1G_bDpT10_ENKUlT_T0_E_clISt17integral_constantIbLb1EES1T_IbLb0EEEEDaS1P_S1Q_EUlS1P_E_NS1_11comp_targetILNS1_3genE10ELNS1_11target_archE1200ELNS1_3gpuE4ELNS1_3repE0EEENS1_30default_config_static_selectorELNS0_4arch9wavefront6targetE0EEEvS12_,@function
_ZN7rocprim17ROCPRIM_400000_NS6detail17trampoline_kernelINS0_13select_configILj256ELj13ELNS0_17block_load_methodE3ELS4_3ELS4_3ELNS0_20block_scan_algorithmE0ELj4294967295EEENS1_25partition_config_selectorILNS1_17partition_subalgoE4EjNS0_10empty_typeEbEEZZNS1_14partition_implILS8_4ELb0ES6_15HIP_vector_typeIjLj2EENS0_17counting_iteratorIjlEEPS9_SG_NS0_5tupleIJPjSI_NS0_16reverse_iteratorISI_EEEEENSH_IJSG_SG_SG_EEES9_SI_JZNS1_25segmented_radix_sort_implINS0_14default_configELb0EPKfPfPKlPlN2at6native12_GLOBAL__N_18offset_tEEE10hipError_tPvRmT1_PNSt15iterator_traitsIS12_E10value_typeET2_T3_PNS13_IS18_E10value_typeET4_jRbjT5_S1E_jjP12ihipStream_tbEUljE_ZNSN_ISO_Lb0ESQ_SR_ST_SU_SY_EESZ_S10_S11_S12_S16_S17_S18_S1B_S1C_jS1D_jS1E_S1E_jjS1G_bEUljE0_EEESZ_S10_S11_S18_S1C_S1E_T6_T7_T9_mT8_S1G_bDpT10_ENKUlT_T0_E_clISt17integral_constantIbLb1EES1T_IbLb0EEEEDaS1P_S1Q_EUlS1P_E_NS1_11comp_targetILNS1_3genE10ELNS1_11target_archE1200ELNS1_3gpuE4ELNS1_3repE0EEENS1_30default_config_static_selectorELNS0_4arch9wavefront6targetE0EEEvS12_: ; @_ZN7rocprim17ROCPRIM_400000_NS6detail17trampoline_kernelINS0_13select_configILj256ELj13ELNS0_17block_load_methodE3ELS4_3ELS4_3ELNS0_20block_scan_algorithmE0ELj4294967295EEENS1_25partition_config_selectorILNS1_17partition_subalgoE4EjNS0_10empty_typeEbEEZZNS1_14partition_implILS8_4ELb0ES6_15HIP_vector_typeIjLj2EENS0_17counting_iteratorIjlEEPS9_SG_NS0_5tupleIJPjSI_NS0_16reverse_iteratorISI_EEEEENSH_IJSG_SG_SG_EEES9_SI_JZNS1_25segmented_radix_sort_implINS0_14default_configELb0EPKfPfPKlPlN2at6native12_GLOBAL__N_18offset_tEEE10hipError_tPvRmT1_PNSt15iterator_traitsIS12_E10value_typeET2_T3_PNS13_IS18_E10value_typeET4_jRbjT5_S1E_jjP12ihipStream_tbEUljE_ZNSN_ISO_Lb0ESQ_SR_ST_SU_SY_EESZ_S10_S11_S12_S16_S17_S18_S1B_S1C_jS1D_jS1E_S1E_jjS1G_bEUljE0_EEESZ_S10_S11_S18_S1C_S1E_T6_T7_T9_mT8_S1G_bDpT10_ENKUlT_T0_E_clISt17integral_constantIbLb1EES1T_IbLb0EEEEDaS1P_S1Q_EUlS1P_E_NS1_11comp_targetILNS1_3genE10ELNS1_11target_archE1200ELNS1_3gpuE4ELNS1_3repE0EEENS1_30default_config_static_selectorELNS0_4arch9wavefront6targetE0EEEvS12_
; %bb.0:
	.section	.rodata,"a",@progbits
	.p2align	6, 0x0
	.amdhsa_kernel _ZN7rocprim17ROCPRIM_400000_NS6detail17trampoline_kernelINS0_13select_configILj256ELj13ELNS0_17block_load_methodE3ELS4_3ELS4_3ELNS0_20block_scan_algorithmE0ELj4294967295EEENS1_25partition_config_selectorILNS1_17partition_subalgoE4EjNS0_10empty_typeEbEEZZNS1_14partition_implILS8_4ELb0ES6_15HIP_vector_typeIjLj2EENS0_17counting_iteratorIjlEEPS9_SG_NS0_5tupleIJPjSI_NS0_16reverse_iteratorISI_EEEEENSH_IJSG_SG_SG_EEES9_SI_JZNS1_25segmented_radix_sort_implINS0_14default_configELb0EPKfPfPKlPlN2at6native12_GLOBAL__N_18offset_tEEE10hipError_tPvRmT1_PNSt15iterator_traitsIS12_E10value_typeET2_T3_PNS13_IS18_E10value_typeET4_jRbjT5_S1E_jjP12ihipStream_tbEUljE_ZNSN_ISO_Lb0ESQ_SR_ST_SU_SY_EESZ_S10_S11_S12_S16_S17_S18_S1B_S1C_jS1D_jS1E_S1E_jjS1G_bEUljE0_EEESZ_S10_S11_S18_S1C_S1E_T6_T7_T9_mT8_S1G_bDpT10_ENKUlT_T0_E_clISt17integral_constantIbLb1EES1T_IbLb0EEEEDaS1P_S1Q_EUlS1P_E_NS1_11comp_targetILNS1_3genE10ELNS1_11target_archE1200ELNS1_3gpuE4ELNS1_3repE0EEENS1_30default_config_static_selectorELNS0_4arch9wavefront6targetE0EEEvS12_
		.amdhsa_group_segment_fixed_size 0
		.amdhsa_private_segment_fixed_size 0
		.amdhsa_kernarg_size 176
		.amdhsa_user_sgpr_count 2
		.amdhsa_user_sgpr_dispatch_ptr 0
		.amdhsa_user_sgpr_queue_ptr 0
		.amdhsa_user_sgpr_kernarg_segment_ptr 1
		.amdhsa_user_sgpr_dispatch_id 0
		.amdhsa_user_sgpr_kernarg_preload_length 0
		.amdhsa_user_sgpr_kernarg_preload_offset 0
		.amdhsa_user_sgpr_private_segment_size 0
		.amdhsa_wavefront_size32 1
		.amdhsa_uses_dynamic_stack 0
		.amdhsa_enable_private_segment 0
		.amdhsa_system_sgpr_workgroup_id_x 1
		.amdhsa_system_sgpr_workgroup_id_y 0
		.amdhsa_system_sgpr_workgroup_id_z 0
		.amdhsa_system_sgpr_workgroup_info 0
		.amdhsa_system_vgpr_workitem_id 0
		.amdhsa_next_free_vgpr 1
		.amdhsa_next_free_sgpr 1
		.amdhsa_named_barrier_count 0
		.amdhsa_reserve_vcc 0
		.amdhsa_float_round_mode_32 0
		.amdhsa_float_round_mode_16_64 0
		.amdhsa_float_denorm_mode_32 3
		.amdhsa_float_denorm_mode_16_64 3
		.amdhsa_fp16_overflow 0
		.amdhsa_memory_ordered 1
		.amdhsa_forward_progress 1
		.amdhsa_inst_pref_size 0
		.amdhsa_round_robin_scheduling 0
		.amdhsa_exception_fp_ieee_invalid_op 0
		.amdhsa_exception_fp_denorm_src 0
		.amdhsa_exception_fp_ieee_div_zero 0
		.amdhsa_exception_fp_ieee_overflow 0
		.amdhsa_exception_fp_ieee_underflow 0
		.amdhsa_exception_fp_ieee_inexact 0
		.amdhsa_exception_int_div_zero 0
	.end_amdhsa_kernel
	.section	.text._ZN7rocprim17ROCPRIM_400000_NS6detail17trampoline_kernelINS0_13select_configILj256ELj13ELNS0_17block_load_methodE3ELS4_3ELS4_3ELNS0_20block_scan_algorithmE0ELj4294967295EEENS1_25partition_config_selectorILNS1_17partition_subalgoE4EjNS0_10empty_typeEbEEZZNS1_14partition_implILS8_4ELb0ES6_15HIP_vector_typeIjLj2EENS0_17counting_iteratorIjlEEPS9_SG_NS0_5tupleIJPjSI_NS0_16reverse_iteratorISI_EEEEENSH_IJSG_SG_SG_EEES9_SI_JZNS1_25segmented_radix_sort_implINS0_14default_configELb0EPKfPfPKlPlN2at6native12_GLOBAL__N_18offset_tEEE10hipError_tPvRmT1_PNSt15iterator_traitsIS12_E10value_typeET2_T3_PNS13_IS18_E10value_typeET4_jRbjT5_S1E_jjP12ihipStream_tbEUljE_ZNSN_ISO_Lb0ESQ_SR_ST_SU_SY_EESZ_S10_S11_S12_S16_S17_S18_S1B_S1C_jS1D_jS1E_S1E_jjS1G_bEUljE0_EEESZ_S10_S11_S18_S1C_S1E_T6_T7_T9_mT8_S1G_bDpT10_ENKUlT_T0_E_clISt17integral_constantIbLb1EES1T_IbLb0EEEEDaS1P_S1Q_EUlS1P_E_NS1_11comp_targetILNS1_3genE10ELNS1_11target_archE1200ELNS1_3gpuE4ELNS1_3repE0EEENS1_30default_config_static_selectorELNS0_4arch9wavefront6targetE0EEEvS12_,"axG",@progbits,_ZN7rocprim17ROCPRIM_400000_NS6detail17trampoline_kernelINS0_13select_configILj256ELj13ELNS0_17block_load_methodE3ELS4_3ELS4_3ELNS0_20block_scan_algorithmE0ELj4294967295EEENS1_25partition_config_selectorILNS1_17partition_subalgoE4EjNS0_10empty_typeEbEEZZNS1_14partition_implILS8_4ELb0ES6_15HIP_vector_typeIjLj2EENS0_17counting_iteratorIjlEEPS9_SG_NS0_5tupleIJPjSI_NS0_16reverse_iteratorISI_EEEEENSH_IJSG_SG_SG_EEES9_SI_JZNS1_25segmented_radix_sort_implINS0_14default_configELb0EPKfPfPKlPlN2at6native12_GLOBAL__N_18offset_tEEE10hipError_tPvRmT1_PNSt15iterator_traitsIS12_E10value_typeET2_T3_PNS13_IS18_E10value_typeET4_jRbjT5_S1E_jjP12ihipStream_tbEUljE_ZNSN_ISO_Lb0ESQ_SR_ST_SU_SY_EESZ_S10_S11_S12_S16_S17_S18_S1B_S1C_jS1D_jS1E_S1E_jjS1G_bEUljE0_EEESZ_S10_S11_S18_S1C_S1E_T6_T7_T9_mT8_S1G_bDpT10_ENKUlT_T0_E_clISt17integral_constantIbLb1EES1T_IbLb0EEEEDaS1P_S1Q_EUlS1P_E_NS1_11comp_targetILNS1_3genE10ELNS1_11target_archE1200ELNS1_3gpuE4ELNS1_3repE0EEENS1_30default_config_static_selectorELNS0_4arch9wavefront6targetE0EEEvS12_,comdat
.Lfunc_end1378:
	.size	_ZN7rocprim17ROCPRIM_400000_NS6detail17trampoline_kernelINS0_13select_configILj256ELj13ELNS0_17block_load_methodE3ELS4_3ELS4_3ELNS0_20block_scan_algorithmE0ELj4294967295EEENS1_25partition_config_selectorILNS1_17partition_subalgoE4EjNS0_10empty_typeEbEEZZNS1_14partition_implILS8_4ELb0ES6_15HIP_vector_typeIjLj2EENS0_17counting_iteratorIjlEEPS9_SG_NS0_5tupleIJPjSI_NS0_16reverse_iteratorISI_EEEEENSH_IJSG_SG_SG_EEES9_SI_JZNS1_25segmented_radix_sort_implINS0_14default_configELb0EPKfPfPKlPlN2at6native12_GLOBAL__N_18offset_tEEE10hipError_tPvRmT1_PNSt15iterator_traitsIS12_E10value_typeET2_T3_PNS13_IS18_E10value_typeET4_jRbjT5_S1E_jjP12ihipStream_tbEUljE_ZNSN_ISO_Lb0ESQ_SR_ST_SU_SY_EESZ_S10_S11_S12_S16_S17_S18_S1B_S1C_jS1D_jS1E_S1E_jjS1G_bEUljE0_EEESZ_S10_S11_S18_S1C_S1E_T6_T7_T9_mT8_S1G_bDpT10_ENKUlT_T0_E_clISt17integral_constantIbLb1EES1T_IbLb0EEEEDaS1P_S1Q_EUlS1P_E_NS1_11comp_targetILNS1_3genE10ELNS1_11target_archE1200ELNS1_3gpuE4ELNS1_3repE0EEENS1_30default_config_static_selectorELNS0_4arch9wavefront6targetE0EEEvS12_, .Lfunc_end1378-_ZN7rocprim17ROCPRIM_400000_NS6detail17trampoline_kernelINS0_13select_configILj256ELj13ELNS0_17block_load_methodE3ELS4_3ELS4_3ELNS0_20block_scan_algorithmE0ELj4294967295EEENS1_25partition_config_selectorILNS1_17partition_subalgoE4EjNS0_10empty_typeEbEEZZNS1_14partition_implILS8_4ELb0ES6_15HIP_vector_typeIjLj2EENS0_17counting_iteratorIjlEEPS9_SG_NS0_5tupleIJPjSI_NS0_16reverse_iteratorISI_EEEEENSH_IJSG_SG_SG_EEES9_SI_JZNS1_25segmented_radix_sort_implINS0_14default_configELb0EPKfPfPKlPlN2at6native12_GLOBAL__N_18offset_tEEE10hipError_tPvRmT1_PNSt15iterator_traitsIS12_E10value_typeET2_T3_PNS13_IS18_E10value_typeET4_jRbjT5_S1E_jjP12ihipStream_tbEUljE_ZNSN_ISO_Lb0ESQ_SR_ST_SU_SY_EESZ_S10_S11_S12_S16_S17_S18_S1B_S1C_jS1D_jS1E_S1E_jjS1G_bEUljE0_EEESZ_S10_S11_S18_S1C_S1E_T6_T7_T9_mT8_S1G_bDpT10_ENKUlT_T0_E_clISt17integral_constantIbLb1EES1T_IbLb0EEEEDaS1P_S1Q_EUlS1P_E_NS1_11comp_targetILNS1_3genE10ELNS1_11target_archE1200ELNS1_3gpuE4ELNS1_3repE0EEENS1_30default_config_static_selectorELNS0_4arch9wavefront6targetE0EEEvS12_
                                        ; -- End function
	.set _ZN7rocprim17ROCPRIM_400000_NS6detail17trampoline_kernelINS0_13select_configILj256ELj13ELNS0_17block_load_methodE3ELS4_3ELS4_3ELNS0_20block_scan_algorithmE0ELj4294967295EEENS1_25partition_config_selectorILNS1_17partition_subalgoE4EjNS0_10empty_typeEbEEZZNS1_14partition_implILS8_4ELb0ES6_15HIP_vector_typeIjLj2EENS0_17counting_iteratorIjlEEPS9_SG_NS0_5tupleIJPjSI_NS0_16reverse_iteratorISI_EEEEENSH_IJSG_SG_SG_EEES9_SI_JZNS1_25segmented_radix_sort_implINS0_14default_configELb0EPKfPfPKlPlN2at6native12_GLOBAL__N_18offset_tEEE10hipError_tPvRmT1_PNSt15iterator_traitsIS12_E10value_typeET2_T3_PNS13_IS18_E10value_typeET4_jRbjT5_S1E_jjP12ihipStream_tbEUljE_ZNSN_ISO_Lb0ESQ_SR_ST_SU_SY_EESZ_S10_S11_S12_S16_S17_S18_S1B_S1C_jS1D_jS1E_S1E_jjS1G_bEUljE0_EEESZ_S10_S11_S18_S1C_S1E_T6_T7_T9_mT8_S1G_bDpT10_ENKUlT_T0_E_clISt17integral_constantIbLb1EES1T_IbLb0EEEEDaS1P_S1Q_EUlS1P_E_NS1_11comp_targetILNS1_3genE10ELNS1_11target_archE1200ELNS1_3gpuE4ELNS1_3repE0EEENS1_30default_config_static_selectorELNS0_4arch9wavefront6targetE0EEEvS12_.num_vgpr, 0
	.set _ZN7rocprim17ROCPRIM_400000_NS6detail17trampoline_kernelINS0_13select_configILj256ELj13ELNS0_17block_load_methodE3ELS4_3ELS4_3ELNS0_20block_scan_algorithmE0ELj4294967295EEENS1_25partition_config_selectorILNS1_17partition_subalgoE4EjNS0_10empty_typeEbEEZZNS1_14partition_implILS8_4ELb0ES6_15HIP_vector_typeIjLj2EENS0_17counting_iteratorIjlEEPS9_SG_NS0_5tupleIJPjSI_NS0_16reverse_iteratorISI_EEEEENSH_IJSG_SG_SG_EEES9_SI_JZNS1_25segmented_radix_sort_implINS0_14default_configELb0EPKfPfPKlPlN2at6native12_GLOBAL__N_18offset_tEEE10hipError_tPvRmT1_PNSt15iterator_traitsIS12_E10value_typeET2_T3_PNS13_IS18_E10value_typeET4_jRbjT5_S1E_jjP12ihipStream_tbEUljE_ZNSN_ISO_Lb0ESQ_SR_ST_SU_SY_EESZ_S10_S11_S12_S16_S17_S18_S1B_S1C_jS1D_jS1E_S1E_jjS1G_bEUljE0_EEESZ_S10_S11_S18_S1C_S1E_T6_T7_T9_mT8_S1G_bDpT10_ENKUlT_T0_E_clISt17integral_constantIbLb1EES1T_IbLb0EEEEDaS1P_S1Q_EUlS1P_E_NS1_11comp_targetILNS1_3genE10ELNS1_11target_archE1200ELNS1_3gpuE4ELNS1_3repE0EEENS1_30default_config_static_selectorELNS0_4arch9wavefront6targetE0EEEvS12_.num_agpr, 0
	.set _ZN7rocprim17ROCPRIM_400000_NS6detail17trampoline_kernelINS0_13select_configILj256ELj13ELNS0_17block_load_methodE3ELS4_3ELS4_3ELNS0_20block_scan_algorithmE0ELj4294967295EEENS1_25partition_config_selectorILNS1_17partition_subalgoE4EjNS0_10empty_typeEbEEZZNS1_14partition_implILS8_4ELb0ES6_15HIP_vector_typeIjLj2EENS0_17counting_iteratorIjlEEPS9_SG_NS0_5tupleIJPjSI_NS0_16reverse_iteratorISI_EEEEENSH_IJSG_SG_SG_EEES9_SI_JZNS1_25segmented_radix_sort_implINS0_14default_configELb0EPKfPfPKlPlN2at6native12_GLOBAL__N_18offset_tEEE10hipError_tPvRmT1_PNSt15iterator_traitsIS12_E10value_typeET2_T3_PNS13_IS18_E10value_typeET4_jRbjT5_S1E_jjP12ihipStream_tbEUljE_ZNSN_ISO_Lb0ESQ_SR_ST_SU_SY_EESZ_S10_S11_S12_S16_S17_S18_S1B_S1C_jS1D_jS1E_S1E_jjS1G_bEUljE0_EEESZ_S10_S11_S18_S1C_S1E_T6_T7_T9_mT8_S1G_bDpT10_ENKUlT_T0_E_clISt17integral_constantIbLb1EES1T_IbLb0EEEEDaS1P_S1Q_EUlS1P_E_NS1_11comp_targetILNS1_3genE10ELNS1_11target_archE1200ELNS1_3gpuE4ELNS1_3repE0EEENS1_30default_config_static_selectorELNS0_4arch9wavefront6targetE0EEEvS12_.numbered_sgpr, 0
	.set _ZN7rocprim17ROCPRIM_400000_NS6detail17trampoline_kernelINS0_13select_configILj256ELj13ELNS0_17block_load_methodE3ELS4_3ELS4_3ELNS0_20block_scan_algorithmE0ELj4294967295EEENS1_25partition_config_selectorILNS1_17partition_subalgoE4EjNS0_10empty_typeEbEEZZNS1_14partition_implILS8_4ELb0ES6_15HIP_vector_typeIjLj2EENS0_17counting_iteratorIjlEEPS9_SG_NS0_5tupleIJPjSI_NS0_16reverse_iteratorISI_EEEEENSH_IJSG_SG_SG_EEES9_SI_JZNS1_25segmented_radix_sort_implINS0_14default_configELb0EPKfPfPKlPlN2at6native12_GLOBAL__N_18offset_tEEE10hipError_tPvRmT1_PNSt15iterator_traitsIS12_E10value_typeET2_T3_PNS13_IS18_E10value_typeET4_jRbjT5_S1E_jjP12ihipStream_tbEUljE_ZNSN_ISO_Lb0ESQ_SR_ST_SU_SY_EESZ_S10_S11_S12_S16_S17_S18_S1B_S1C_jS1D_jS1E_S1E_jjS1G_bEUljE0_EEESZ_S10_S11_S18_S1C_S1E_T6_T7_T9_mT8_S1G_bDpT10_ENKUlT_T0_E_clISt17integral_constantIbLb1EES1T_IbLb0EEEEDaS1P_S1Q_EUlS1P_E_NS1_11comp_targetILNS1_3genE10ELNS1_11target_archE1200ELNS1_3gpuE4ELNS1_3repE0EEENS1_30default_config_static_selectorELNS0_4arch9wavefront6targetE0EEEvS12_.num_named_barrier, 0
	.set _ZN7rocprim17ROCPRIM_400000_NS6detail17trampoline_kernelINS0_13select_configILj256ELj13ELNS0_17block_load_methodE3ELS4_3ELS4_3ELNS0_20block_scan_algorithmE0ELj4294967295EEENS1_25partition_config_selectorILNS1_17partition_subalgoE4EjNS0_10empty_typeEbEEZZNS1_14partition_implILS8_4ELb0ES6_15HIP_vector_typeIjLj2EENS0_17counting_iteratorIjlEEPS9_SG_NS0_5tupleIJPjSI_NS0_16reverse_iteratorISI_EEEEENSH_IJSG_SG_SG_EEES9_SI_JZNS1_25segmented_radix_sort_implINS0_14default_configELb0EPKfPfPKlPlN2at6native12_GLOBAL__N_18offset_tEEE10hipError_tPvRmT1_PNSt15iterator_traitsIS12_E10value_typeET2_T3_PNS13_IS18_E10value_typeET4_jRbjT5_S1E_jjP12ihipStream_tbEUljE_ZNSN_ISO_Lb0ESQ_SR_ST_SU_SY_EESZ_S10_S11_S12_S16_S17_S18_S1B_S1C_jS1D_jS1E_S1E_jjS1G_bEUljE0_EEESZ_S10_S11_S18_S1C_S1E_T6_T7_T9_mT8_S1G_bDpT10_ENKUlT_T0_E_clISt17integral_constantIbLb1EES1T_IbLb0EEEEDaS1P_S1Q_EUlS1P_E_NS1_11comp_targetILNS1_3genE10ELNS1_11target_archE1200ELNS1_3gpuE4ELNS1_3repE0EEENS1_30default_config_static_selectorELNS0_4arch9wavefront6targetE0EEEvS12_.private_seg_size, 0
	.set _ZN7rocprim17ROCPRIM_400000_NS6detail17trampoline_kernelINS0_13select_configILj256ELj13ELNS0_17block_load_methodE3ELS4_3ELS4_3ELNS0_20block_scan_algorithmE0ELj4294967295EEENS1_25partition_config_selectorILNS1_17partition_subalgoE4EjNS0_10empty_typeEbEEZZNS1_14partition_implILS8_4ELb0ES6_15HIP_vector_typeIjLj2EENS0_17counting_iteratorIjlEEPS9_SG_NS0_5tupleIJPjSI_NS0_16reverse_iteratorISI_EEEEENSH_IJSG_SG_SG_EEES9_SI_JZNS1_25segmented_radix_sort_implINS0_14default_configELb0EPKfPfPKlPlN2at6native12_GLOBAL__N_18offset_tEEE10hipError_tPvRmT1_PNSt15iterator_traitsIS12_E10value_typeET2_T3_PNS13_IS18_E10value_typeET4_jRbjT5_S1E_jjP12ihipStream_tbEUljE_ZNSN_ISO_Lb0ESQ_SR_ST_SU_SY_EESZ_S10_S11_S12_S16_S17_S18_S1B_S1C_jS1D_jS1E_S1E_jjS1G_bEUljE0_EEESZ_S10_S11_S18_S1C_S1E_T6_T7_T9_mT8_S1G_bDpT10_ENKUlT_T0_E_clISt17integral_constantIbLb1EES1T_IbLb0EEEEDaS1P_S1Q_EUlS1P_E_NS1_11comp_targetILNS1_3genE10ELNS1_11target_archE1200ELNS1_3gpuE4ELNS1_3repE0EEENS1_30default_config_static_selectorELNS0_4arch9wavefront6targetE0EEEvS12_.uses_vcc, 0
	.set _ZN7rocprim17ROCPRIM_400000_NS6detail17trampoline_kernelINS0_13select_configILj256ELj13ELNS0_17block_load_methodE3ELS4_3ELS4_3ELNS0_20block_scan_algorithmE0ELj4294967295EEENS1_25partition_config_selectorILNS1_17partition_subalgoE4EjNS0_10empty_typeEbEEZZNS1_14partition_implILS8_4ELb0ES6_15HIP_vector_typeIjLj2EENS0_17counting_iteratorIjlEEPS9_SG_NS0_5tupleIJPjSI_NS0_16reverse_iteratorISI_EEEEENSH_IJSG_SG_SG_EEES9_SI_JZNS1_25segmented_radix_sort_implINS0_14default_configELb0EPKfPfPKlPlN2at6native12_GLOBAL__N_18offset_tEEE10hipError_tPvRmT1_PNSt15iterator_traitsIS12_E10value_typeET2_T3_PNS13_IS18_E10value_typeET4_jRbjT5_S1E_jjP12ihipStream_tbEUljE_ZNSN_ISO_Lb0ESQ_SR_ST_SU_SY_EESZ_S10_S11_S12_S16_S17_S18_S1B_S1C_jS1D_jS1E_S1E_jjS1G_bEUljE0_EEESZ_S10_S11_S18_S1C_S1E_T6_T7_T9_mT8_S1G_bDpT10_ENKUlT_T0_E_clISt17integral_constantIbLb1EES1T_IbLb0EEEEDaS1P_S1Q_EUlS1P_E_NS1_11comp_targetILNS1_3genE10ELNS1_11target_archE1200ELNS1_3gpuE4ELNS1_3repE0EEENS1_30default_config_static_selectorELNS0_4arch9wavefront6targetE0EEEvS12_.uses_flat_scratch, 0
	.set _ZN7rocprim17ROCPRIM_400000_NS6detail17trampoline_kernelINS0_13select_configILj256ELj13ELNS0_17block_load_methodE3ELS4_3ELS4_3ELNS0_20block_scan_algorithmE0ELj4294967295EEENS1_25partition_config_selectorILNS1_17partition_subalgoE4EjNS0_10empty_typeEbEEZZNS1_14partition_implILS8_4ELb0ES6_15HIP_vector_typeIjLj2EENS0_17counting_iteratorIjlEEPS9_SG_NS0_5tupleIJPjSI_NS0_16reverse_iteratorISI_EEEEENSH_IJSG_SG_SG_EEES9_SI_JZNS1_25segmented_radix_sort_implINS0_14default_configELb0EPKfPfPKlPlN2at6native12_GLOBAL__N_18offset_tEEE10hipError_tPvRmT1_PNSt15iterator_traitsIS12_E10value_typeET2_T3_PNS13_IS18_E10value_typeET4_jRbjT5_S1E_jjP12ihipStream_tbEUljE_ZNSN_ISO_Lb0ESQ_SR_ST_SU_SY_EESZ_S10_S11_S12_S16_S17_S18_S1B_S1C_jS1D_jS1E_S1E_jjS1G_bEUljE0_EEESZ_S10_S11_S18_S1C_S1E_T6_T7_T9_mT8_S1G_bDpT10_ENKUlT_T0_E_clISt17integral_constantIbLb1EES1T_IbLb0EEEEDaS1P_S1Q_EUlS1P_E_NS1_11comp_targetILNS1_3genE10ELNS1_11target_archE1200ELNS1_3gpuE4ELNS1_3repE0EEENS1_30default_config_static_selectorELNS0_4arch9wavefront6targetE0EEEvS12_.has_dyn_sized_stack, 0
	.set _ZN7rocprim17ROCPRIM_400000_NS6detail17trampoline_kernelINS0_13select_configILj256ELj13ELNS0_17block_load_methodE3ELS4_3ELS4_3ELNS0_20block_scan_algorithmE0ELj4294967295EEENS1_25partition_config_selectorILNS1_17partition_subalgoE4EjNS0_10empty_typeEbEEZZNS1_14partition_implILS8_4ELb0ES6_15HIP_vector_typeIjLj2EENS0_17counting_iteratorIjlEEPS9_SG_NS0_5tupleIJPjSI_NS0_16reverse_iteratorISI_EEEEENSH_IJSG_SG_SG_EEES9_SI_JZNS1_25segmented_radix_sort_implINS0_14default_configELb0EPKfPfPKlPlN2at6native12_GLOBAL__N_18offset_tEEE10hipError_tPvRmT1_PNSt15iterator_traitsIS12_E10value_typeET2_T3_PNS13_IS18_E10value_typeET4_jRbjT5_S1E_jjP12ihipStream_tbEUljE_ZNSN_ISO_Lb0ESQ_SR_ST_SU_SY_EESZ_S10_S11_S12_S16_S17_S18_S1B_S1C_jS1D_jS1E_S1E_jjS1G_bEUljE0_EEESZ_S10_S11_S18_S1C_S1E_T6_T7_T9_mT8_S1G_bDpT10_ENKUlT_T0_E_clISt17integral_constantIbLb1EES1T_IbLb0EEEEDaS1P_S1Q_EUlS1P_E_NS1_11comp_targetILNS1_3genE10ELNS1_11target_archE1200ELNS1_3gpuE4ELNS1_3repE0EEENS1_30default_config_static_selectorELNS0_4arch9wavefront6targetE0EEEvS12_.has_recursion, 0
	.set _ZN7rocprim17ROCPRIM_400000_NS6detail17trampoline_kernelINS0_13select_configILj256ELj13ELNS0_17block_load_methodE3ELS4_3ELS4_3ELNS0_20block_scan_algorithmE0ELj4294967295EEENS1_25partition_config_selectorILNS1_17partition_subalgoE4EjNS0_10empty_typeEbEEZZNS1_14partition_implILS8_4ELb0ES6_15HIP_vector_typeIjLj2EENS0_17counting_iteratorIjlEEPS9_SG_NS0_5tupleIJPjSI_NS0_16reverse_iteratorISI_EEEEENSH_IJSG_SG_SG_EEES9_SI_JZNS1_25segmented_radix_sort_implINS0_14default_configELb0EPKfPfPKlPlN2at6native12_GLOBAL__N_18offset_tEEE10hipError_tPvRmT1_PNSt15iterator_traitsIS12_E10value_typeET2_T3_PNS13_IS18_E10value_typeET4_jRbjT5_S1E_jjP12ihipStream_tbEUljE_ZNSN_ISO_Lb0ESQ_SR_ST_SU_SY_EESZ_S10_S11_S12_S16_S17_S18_S1B_S1C_jS1D_jS1E_S1E_jjS1G_bEUljE0_EEESZ_S10_S11_S18_S1C_S1E_T6_T7_T9_mT8_S1G_bDpT10_ENKUlT_T0_E_clISt17integral_constantIbLb1EES1T_IbLb0EEEEDaS1P_S1Q_EUlS1P_E_NS1_11comp_targetILNS1_3genE10ELNS1_11target_archE1200ELNS1_3gpuE4ELNS1_3repE0EEENS1_30default_config_static_selectorELNS0_4arch9wavefront6targetE0EEEvS12_.has_indirect_call, 0
	.section	.AMDGPU.csdata,"",@progbits
; Kernel info:
; codeLenInByte = 0
; TotalNumSgprs: 0
; NumVgprs: 0
; ScratchSize: 0
; MemoryBound: 0
; FloatMode: 240
; IeeeMode: 1
; LDSByteSize: 0 bytes/workgroup (compile time only)
; SGPRBlocks: 0
; VGPRBlocks: 0
; NumSGPRsForWavesPerEU: 1
; NumVGPRsForWavesPerEU: 1
; NamedBarCnt: 0
; Occupancy: 16
; WaveLimiterHint : 0
; COMPUTE_PGM_RSRC2:SCRATCH_EN: 0
; COMPUTE_PGM_RSRC2:USER_SGPR: 2
; COMPUTE_PGM_RSRC2:TRAP_HANDLER: 0
; COMPUTE_PGM_RSRC2:TGID_X_EN: 1
; COMPUTE_PGM_RSRC2:TGID_Y_EN: 0
; COMPUTE_PGM_RSRC2:TGID_Z_EN: 0
; COMPUTE_PGM_RSRC2:TIDIG_COMP_CNT: 0
	.section	.text._ZN7rocprim17ROCPRIM_400000_NS6detail17trampoline_kernelINS0_13select_configILj256ELj13ELNS0_17block_load_methodE3ELS4_3ELS4_3ELNS0_20block_scan_algorithmE0ELj4294967295EEENS1_25partition_config_selectorILNS1_17partition_subalgoE4EjNS0_10empty_typeEbEEZZNS1_14partition_implILS8_4ELb0ES6_15HIP_vector_typeIjLj2EENS0_17counting_iteratorIjlEEPS9_SG_NS0_5tupleIJPjSI_NS0_16reverse_iteratorISI_EEEEENSH_IJSG_SG_SG_EEES9_SI_JZNS1_25segmented_radix_sort_implINS0_14default_configELb0EPKfPfPKlPlN2at6native12_GLOBAL__N_18offset_tEEE10hipError_tPvRmT1_PNSt15iterator_traitsIS12_E10value_typeET2_T3_PNS13_IS18_E10value_typeET4_jRbjT5_S1E_jjP12ihipStream_tbEUljE_ZNSN_ISO_Lb0ESQ_SR_ST_SU_SY_EESZ_S10_S11_S12_S16_S17_S18_S1B_S1C_jS1D_jS1E_S1E_jjS1G_bEUljE0_EEESZ_S10_S11_S18_S1C_S1E_T6_T7_T9_mT8_S1G_bDpT10_ENKUlT_T0_E_clISt17integral_constantIbLb1EES1T_IbLb0EEEEDaS1P_S1Q_EUlS1P_E_NS1_11comp_targetILNS1_3genE9ELNS1_11target_archE1100ELNS1_3gpuE3ELNS1_3repE0EEENS1_30default_config_static_selectorELNS0_4arch9wavefront6targetE0EEEvS12_,"axG",@progbits,_ZN7rocprim17ROCPRIM_400000_NS6detail17trampoline_kernelINS0_13select_configILj256ELj13ELNS0_17block_load_methodE3ELS4_3ELS4_3ELNS0_20block_scan_algorithmE0ELj4294967295EEENS1_25partition_config_selectorILNS1_17partition_subalgoE4EjNS0_10empty_typeEbEEZZNS1_14partition_implILS8_4ELb0ES6_15HIP_vector_typeIjLj2EENS0_17counting_iteratorIjlEEPS9_SG_NS0_5tupleIJPjSI_NS0_16reverse_iteratorISI_EEEEENSH_IJSG_SG_SG_EEES9_SI_JZNS1_25segmented_radix_sort_implINS0_14default_configELb0EPKfPfPKlPlN2at6native12_GLOBAL__N_18offset_tEEE10hipError_tPvRmT1_PNSt15iterator_traitsIS12_E10value_typeET2_T3_PNS13_IS18_E10value_typeET4_jRbjT5_S1E_jjP12ihipStream_tbEUljE_ZNSN_ISO_Lb0ESQ_SR_ST_SU_SY_EESZ_S10_S11_S12_S16_S17_S18_S1B_S1C_jS1D_jS1E_S1E_jjS1G_bEUljE0_EEESZ_S10_S11_S18_S1C_S1E_T6_T7_T9_mT8_S1G_bDpT10_ENKUlT_T0_E_clISt17integral_constantIbLb1EES1T_IbLb0EEEEDaS1P_S1Q_EUlS1P_E_NS1_11comp_targetILNS1_3genE9ELNS1_11target_archE1100ELNS1_3gpuE3ELNS1_3repE0EEENS1_30default_config_static_selectorELNS0_4arch9wavefront6targetE0EEEvS12_,comdat
	.globl	_ZN7rocprim17ROCPRIM_400000_NS6detail17trampoline_kernelINS0_13select_configILj256ELj13ELNS0_17block_load_methodE3ELS4_3ELS4_3ELNS0_20block_scan_algorithmE0ELj4294967295EEENS1_25partition_config_selectorILNS1_17partition_subalgoE4EjNS0_10empty_typeEbEEZZNS1_14partition_implILS8_4ELb0ES6_15HIP_vector_typeIjLj2EENS0_17counting_iteratorIjlEEPS9_SG_NS0_5tupleIJPjSI_NS0_16reverse_iteratorISI_EEEEENSH_IJSG_SG_SG_EEES9_SI_JZNS1_25segmented_radix_sort_implINS0_14default_configELb0EPKfPfPKlPlN2at6native12_GLOBAL__N_18offset_tEEE10hipError_tPvRmT1_PNSt15iterator_traitsIS12_E10value_typeET2_T3_PNS13_IS18_E10value_typeET4_jRbjT5_S1E_jjP12ihipStream_tbEUljE_ZNSN_ISO_Lb0ESQ_SR_ST_SU_SY_EESZ_S10_S11_S12_S16_S17_S18_S1B_S1C_jS1D_jS1E_S1E_jjS1G_bEUljE0_EEESZ_S10_S11_S18_S1C_S1E_T6_T7_T9_mT8_S1G_bDpT10_ENKUlT_T0_E_clISt17integral_constantIbLb1EES1T_IbLb0EEEEDaS1P_S1Q_EUlS1P_E_NS1_11comp_targetILNS1_3genE9ELNS1_11target_archE1100ELNS1_3gpuE3ELNS1_3repE0EEENS1_30default_config_static_selectorELNS0_4arch9wavefront6targetE0EEEvS12_ ; -- Begin function _ZN7rocprim17ROCPRIM_400000_NS6detail17trampoline_kernelINS0_13select_configILj256ELj13ELNS0_17block_load_methodE3ELS4_3ELS4_3ELNS0_20block_scan_algorithmE0ELj4294967295EEENS1_25partition_config_selectorILNS1_17partition_subalgoE4EjNS0_10empty_typeEbEEZZNS1_14partition_implILS8_4ELb0ES6_15HIP_vector_typeIjLj2EENS0_17counting_iteratorIjlEEPS9_SG_NS0_5tupleIJPjSI_NS0_16reverse_iteratorISI_EEEEENSH_IJSG_SG_SG_EEES9_SI_JZNS1_25segmented_radix_sort_implINS0_14default_configELb0EPKfPfPKlPlN2at6native12_GLOBAL__N_18offset_tEEE10hipError_tPvRmT1_PNSt15iterator_traitsIS12_E10value_typeET2_T3_PNS13_IS18_E10value_typeET4_jRbjT5_S1E_jjP12ihipStream_tbEUljE_ZNSN_ISO_Lb0ESQ_SR_ST_SU_SY_EESZ_S10_S11_S12_S16_S17_S18_S1B_S1C_jS1D_jS1E_S1E_jjS1G_bEUljE0_EEESZ_S10_S11_S18_S1C_S1E_T6_T7_T9_mT8_S1G_bDpT10_ENKUlT_T0_E_clISt17integral_constantIbLb1EES1T_IbLb0EEEEDaS1P_S1Q_EUlS1P_E_NS1_11comp_targetILNS1_3genE9ELNS1_11target_archE1100ELNS1_3gpuE3ELNS1_3repE0EEENS1_30default_config_static_selectorELNS0_4arch9wavefront6targetE0EEEvS12_
	.p2align	8
	.type	_ZN7rocprim17ROCPRIM_400000_NS6detail17trampoline_kernelINS0_13select_configILj256ELj13ELNS0_17block_load_methodE3ELS4_3ELS4_3ELNS0_20block_scan_algorithmE0ELj4294967295EEENS1_25partition_config_selectorILNS1_17partition_subalgoE4EjNS0_10empty_typeEbEEZZNS1_14partition_implILS8_4ELb0ES6_15HIP_vector_typeIjLj2EENS0_17counting_iteratorIjlEEPS9_SG_NS0_5tupleIJPjSI_NS0_16reverse_iteratorISI_EEEEENSH_IJSG_SG_SG_EEES9_SI_JZNS1_25segmented_radix_sort_implINS0_14default_configELb0EPKfPfPKlPlN2at6native12_GLOBAL__N_18offset_tEEE10hipError_tPvRmT1_PNSt15iterator_traitsIS12_E10value_typeET2_T3_PNS13_IS18_E10value_typeET4_jRbjT5_S1E_jjP12ihipStream_tbEUljE_ZNSN_ISO_Lb0ESQ_SR_ST_SU_SY_EESZ_S10_S11_S12_S16_S17_S18_S1B_S1C_jS1D_jS1E_S1E_jjS1G_bEUljE0_EEESZ_S10_S11_S18_S1C_S1E_T6_T7_T9_mT8_S1G_bDpT10_ENKUlT_T0_E_clISt17integral_constantIbLb1EES1T_IbLb0EEEEDaS1P_S1Q_EUlS1P_E_NS1_11comp_targetILNS1_3genE9ELNS1_11target_archE1100ELNS1_3gpuE3ELNS1_3repE0EEENS1_30default_config_static_selectorELNS0_4arch9wavefront6targetE0EEEvS12_,@function
_ZN7rocprim17ROCPRIM_400000_NS6detail17trampoline_kernelINS0_13select_configILj256ELj13ELNS0_17block_load_methodE3ELS4_3ELS4_3ELNS0_20block_scan_algorithmE0ELj4294967295EEENS1_25partition_config_selectorILNS1_17partition_subalgoE4EjNS0_10empty_typeEbEEZZNS1_14partition_implILS8_4ELb0ES6_15HIP_vector_typeIjLj2EENS0_17counting_iteratorIjlEEPS9_SG_NS0_5tupleIJPjSI_NS0_16reverse_iteratorISI_EEEEENSH_IJSG_SG_SG_EEES9_SI_JZNS1_25segmented_radix_sort_implINS0_14default_configELb0EPKfPfPKlPlN2at6native12_GLOBAL__N_18offset_tEEE10hipError_tPvRmT1_PNSt15iterator_traitsIS12_E10value_typeET2_T3_PNS13_IS18_E10value_typeET4_jRbjT5_S1E_jjP12ihipStream_tbEUljE_ZNSN_ISO_Lb0ESQ_SR_ST_SU_SY_EESZ_S10_S11_S12_S16_S17_S18_S1B_S1C_jS1D_jS1E_S1E_jjS1G_bEUljE0_EEESZ_S10_S11_S18_S1C_S1E_T6_T7_T9_mT8_S1G_bDpT10_ENKUlT_T0_E_clISt17integral_constantIbLb1EES1T_IbLb0EEEEDaS1P_S1Q_EUlS1P_E_NS1_11comp_targetILNS1_3genE9ELNS1_11target_archE1100ELNS1_3gpuE3ELNS1_3repE0EEENS1_30default_config_static_selectorELNS0_4arch9wavefront6targetE0EEEvS12_: ; @_ZN7rocprim17ROCPRIM_400000_NS6detail17trampoline_kernelINS0_13select_configILj256ELj13ELNS0_17block_load_methodE3ELS4_3ELS4_3ELNS0_20block_scan_algorithmE0ELj4294967295EEENS1_25partition_config_selectorILNS1_17partition_subalgoE4EjNS0_10empty_typeEbEEZZNS1_14partition_implILS8_4ELb0ES6_15HIP_vector_typeIjLj2EENS0_17counting_iteratorIjlEEPS9_SG_NS0_5tupleIJPjSI_NS0_16reverse_iteratorISI_EEEEENSH_IJSG_SG_SG_EEES9_SI_JZNS1_25segmented_radix_sort_implINS0_14default_configELb0EPKfPfPKlPlN2at6native12_GLOBAL__N_18offset_tEEE10hipError_tPvRmT1_PNSt15iterator_traitsIS12_E10value_typeET2_T3_PNS13_IS18_E10value_typeET4_jRbjT5_S1E_jjP12ihipStream_tbEUljE_ZNSN_ISO_Lb0ESQ_SR_ST_SU_SY_EESZ_S10_S11_S12_S16_S17_S18_S1B_S1C_jS1D_jS1E_S1E_jjS1G_bEUljE0_EEESZ_S10_S11_S18_S1C_S1E_T6_T7_T9_mT8_S1G_bDpT10_ENKUlT_T0_E_clISt17integral_constantIbLb1EES1T_IbLb0EEEEDaS1P_S1Q_EUlS1P_E_NS1_11comp_targetILNS1_3genE9ELNS1_11target_archE1100ELNS1_3gpuE3ELNS1_3repE0EEENS1_30default_config_static_selectorELNS0_4arch9wavefront6targetE0EEEvS12_
; %bb.0:
	.section	.rodata,"a",@progbits
	.p2align	6, 0x0
	.amdhsa_kernel _ZN7rocprim17ROCPRIM_400000_NS6detail17trampoline_kernelINS0_13select_configILj256ELj13ELNS0_17block_load_methodE3ELS4_3ELS4_3ELNS0_20block_scan_algorithmE0ELj4294967295EEENS1_25partition_config_selectorILNS1_17partition_subalgoE4EjNS0_10empty_typeEbEEZZNS1_14partition_implILS8_4ELb0ES6_15HIP_vector_typeIjLj2EENS0_17counting_iteratorIjlEEPS9_SG_NS0_5tupleIJPjSI_NS0_16reverse_iteratorISI_EEEEENSH_IJSG_SG_SG_EEES9_SI_JZNS1_25segmented_radix_sort_implINS0_14default_configELb0EPKfPfPKlPlN2at6native12_GLOBAL__N_18offset_tEEE10hipError_tPvRmT1_PNSt15iterator_traitsIS12_E10value_typeET2_T3_PNS13_IS18_E10value_typeET4_jRbjT5_S1E_jjP12ihipStream_tbEUljE_ZNSN_ISO_Lb0ESQ_SR_ST_SU_SY_EESZ_S10_S11_S12_S16_S17_S18_S1B_S1C_jS1D_jS1E_S1E_jjS1G_bEUljE0_EEESZ_S10_S11_S18_S1C_S1E_T6_T7_T9_mT8_S1G_bDpT10_ENKUlT_T0_E_clISt17integral_constantIbLb1EES1T_IbLb0EEEEDaS1P_S1Q_EUlS1P_E_NS1_11comp_targetILNS1_3genE9ELNS1_11target_archE1100ELNS1_3gpuE3ELNS1_3repE0EEENS1_30default_config_static_selectorELNS0_4arch9wavefront6targetE0EEEvS12_
		.amdhsa_group_segment_fixed_size 0
		.amdhsa_private_segment_fixed_size 0
		.amdhsa_kernarg_size 176
		.amdhsa_user_sgpr_count 2
		.amdhsa_user_sgpr_dispatch_ptr 0
		.amdhsa_user_sgpr_queue_ptr 0
		.amdhsa_user_sgpr_kernarg_segment_ptr 1
		.amdhsa_user_sgpr_dispatch_id 0
		.amdhsa_user_sgpr_kernarg_preload_length 0
		.amdhsa_user_sgpr_kernarg_preload_offset 0
		.amdhsa_user_sgpr_private_segment_size 0
		.amdhsa_wavefront_size32 1
		.amdhsa_uses_dynamic_stack 0
		.amdhsa_enable_private_segment 0
		.amdhsa_system_sgpr_workgroup_id_x 1
		.amdhsa_system_sgpr_workgroup_id_y 0
		.amdhsa_system_sgpr_workgroup_id_z 0
		.amdhsa_system_sgpr_workgroup_info 0
		.amdhsa_system_vgpr_workitem_id 0
		.amdhsa_next_free_vgpr 1
		.amdhsa_next_free_sgpr 1
		.amdhsa_named_barrier_count 0
		.amdhsa_reserve_vcc 0
		.amdhsa_float_round_mode_32 0
		.amdhsa_float_round_mode_16_64 0
		.amdhsa_float_denorm_mode_32 3
		.amdhsa_float_denorm_mode_16_64 3
		.amdhsa_fp16_overflow 0
		.amdhsa_memory_ordered 1
		.amdhsa_forward_progress 1
		.amdhsa_inst_pref_size 0
		.amdhsa_round_robin_scheduling 0
		.amdhsa_exception_fp_ieee_invalid_op 0
		.amdhsa_exception_fp_denorm_src 0
		.amdhsa_exception_fp_ieee_div_zero 0
		.amdhsa_exception_fp_ieee_overflow 0
		.amdhsa_exception_fp_ieee_underflow 0
		.amdhsa_exception_fp_ieee_inexact 0
		.amdhsa_exception_int_div_zero 0
	.end_amdhsa_kernel
	.section	.text._ZN7rocprim17ROCPRIM_400000_NS6detail17trampoline_kernelINS0_13select_configILj256ELj13ELNS0_17block_load_methodE3ELS4_3ELS4_3ELNS0_20block_scan_algorithmE0ELj4294967295EEENS1_25partition_config_selectorILNS1_17partition_subalgoE4EjNS0_10empty_typeEbEEZZNS1_14partition_implILS8_4ELb0ES6_15HIP_vector_typeIjLj2EENS0_17counting_iteratorIjlEEPS9_SG_NS0_5tupleIJPjSI_NS0_16reverse_iteratorISI_EEEEENSH_IJSG_SG_SG_EEES9_SI_JZNS1_25segmented_radix_sort_implINS0_14default_configELb0EPKfPfPKlPlN2at6native12_GLOBAL__N_18offset_tEEE10hipError_tPvRmT1_PNSt15iterator_traitsIS12_E10value_typeET2_T3_PNS13_IS18_E10value_typeET4_jRbjT5_S1E_jjP12ihipStream_tbEUljE_ZNSN_ISO_Lb0ESQ_SR_ST_SU_SY_EESZ_S10_S11_S12_S16_S17_S18_S1B_S1C_jS1D_jS1E_S1E_jjS1G_bEUljE0_EEESZ_S10_S11_S18_S1C_S1E_T6_T7_T9_mT8_S1G_bDpT10_ENKUlT_T0_E_clISt17integral_constantIbLb1EES1T_IbLb0EEEEDaS1P_S1Q_EUlS1P_E_NS1_11comp_targetILNS1_3genE9ELNS1_11target_archE1100ELNS1_3gpuE3ELNS1_3repE0EEENS1_30default_config_static_selectorELNS0_4arch9wavefront6targetE0EEEvS12_,"axG",@progbits,_ZN7rocprim17ROCPRIM_400000_NS6detail17trampoline_kernelINS0_13select_configILj256ELj13ELNS0_17block_load_methodE3ELS4_3ELS4_3ELNS0_20block_scan_algorithmE0ELj4294967295EEENS1_25partition_config_selectorILNS1_17partition_subalgoE4EjNS0_10empty_typeEbEEZZNS1_14partition_implILS8_4ELb0ES6_15HIP_vector_typeIjLj2EENS0_17counting_iteratorIjlEEPS9_SG_NS0_5tupleIJPjSI_NS0_16reverse_iteratorISI_EEEEENSH_IJSG_SG_SG_EEES9_SI_JZNS1_25segmented_radix_sort_implINS0_14default_configELb0EPKfPfPKlPlN2at6native12_GLOBAL__N_18offset_tEEE10hipError_tPvRmT1_PNSt15iterator_traitsIS12_E10value_typeET2_T3_PNS13_IS18_E10value_typeET4_jRbjT5_S1E_jjP12ihipStream_tbEUljE_ZNSN_ISO_Lb0ESQ_SR_ST_SU_SY_EESZ_S10_S11_S12_S16_S17_S18_S1B_S1C_jS1D_jS1E_S1E_jjS1G_bEUljE0_EEESZ_S10_S11_S18_S1C_S1E_T6_T7_T9_mT8_S1G_bDpT10_ENKUlT_T0_E_clISt17integral_constantIbLb1EES1T_IbLb0EEEEDaS1P_S1Q_EUlS1P_E_NS1_11comp_targetILNS1_3genE9ELNS1_11target_archE1100ELNS1_3gpuE3ELNS1_3repE0EEENS1_30default_config_static_selectorELNS0_4arch9wavefront6targetE0EEEvS12_,comdat
.Lfunc_end1379:
	.size	_ZN7rocprim17ROCPRIM_400000_NS6detail17trampoline_kernelINS0_13select_configILj256ELj13ELNS0_17block_load_methodE3ELS4_3ELS4_3ELNS0_20block_scan_algorithmE0ELj4294967295EEENS1_25partition_config_selectorILNS1_17partition_subalgoE4EjNS0_10empty_typeEbEEZZNS1_14partition_implILS8_4ELb0ES6_15HIP_vector_typeIjLj2EENS0_17counting_iteratorIjlEEPS9_SG_NS0_5tupleIJPjSI_NS0_16reverse_iteratorISI_EEEEENSH_IJSG_SG_SG_EEES9_SI_JZNS1_25segmented_radix_sort_implINS0_14default_configELb0EPKfPfPKlPlN2at6native12_GLOBAL__N_18offset_tEEE10hipError_tPvRmT1_PNSt15iterator_traitsIS12_E10value_typeET2_T3_PNS13_IS18_E10value_typeET4_jRbjT5_S1E_jjP12ihipStream_tbEUljE_ZNSN_ISO_Lb0ESQ_SR_ST_SU_SY_EESZ_S10_S11_S12_S16_S17_S18_S1B_S1C_jS1D_jS1E_S1E_jjS1G_bEUljE0_EEESZ_S10_S11_S18_S1C_S1E_T6_T7_T9_mT8_S1G_bDpT10_ENKUlT_T0_E_clISt17integral_constantIbLb1EES1T_IbLb0EEEEDaS1P_S1Q_EUlS1P_E_NS1_11comp_targetILNS1_3genE9ELNS1_11target_archE1100ELNS1_3gpuE3ELNS1_3repE0EEENS1_30default_config_static_selectorELNS0_4arch9wavefront6targetE0EEEvS12_, .Lfunc_end1379-_ZN7rocprim17ROCPRIM_400000_NS6detail17trampoline_kernelINS0_13select_configILj256ELj13ELNS0_17block_load_methodE3ELS4_3ELS4_3ELNS0_20block_scan_algorithmE0ELj4294967295EEENS1_25partition_config_selectorILNS1_17partition_subalgoE4EjNS0_10empty_typeEbEEZZNS1_14partition_implILS8_4ELb0ES6_15HIP_vector_typeIjLj2EENS0_17counting_iteratorIjlEEPS9_SG_NS0_5tupleIJPjSI_NS0_16reverse_iteratorISI_EEEEENSH_IJSG_SG_SG_EEES9_SI_JZNS1_25segmented_radix_sort_implINS0_14default_configELb0EPKfPfPKlPlN2at6native12_GLOBAL__N_18offset_tEEE10hipError_tPvRmT1_PNSt15iterator_traitsIS12_E10value_typeET2_T3_PNS13_IS18_E10value_typeET4_jRbjT5_S1E_jjP12ihipStream_tbEUljE_ZNSN_ISO_Lb0ESQ_SR_ST_SU_SY_EESZ_S10_S11_S12_S16_S17_S18_S1B_S1C_jS1D_jS1E_S1E_jjS1G_bEUljE0_EEESZ_S10_S11_S18_S1C_S1E_T6_T7_T9_mT8_S1G_bDpT10_ENKUlT_T0_E_clISt17integral_constantIbLb1EES1T_IbLb0EEEEDaS1P_S1Q_EUlS1P_E_NS1_11comp_targetILNS1_3genE9ELNS1_11target_archE1100ELNS1_3gpuE3ELNS1_3repE0EEENS1_30default_config_static_selectorELNS0_4arch9wavefront6targetE0EEEvS12_
                                        ; -- End function
	.set _ZN7rocprim17ROCPRIM_400000_NS6detail17trampoline_kernelINS0_13select_configILj256ELj13ELNS0_17block_load_methodE3ELS4_3ELS4_3ELNS0_20block_scan_algorithmE0ELj4294967295EEENS1_25partition_config_selectorILNS1_17partition_subalgoE4EjNS0_10empty_typeEbEEZZNS1_14partition_implILS8_4ELb0ES6_15HIP_vector_typeIjLj2EENS0_17counting_iteratorIjlEEPS9_SG_NS0_5tupleIJPjSI_NS0_16reverse_iteratorISI_EEEEENSH_IJSG_SG_SG_EEES9_SI_JZNS1_25segmented_radix_sort_implINS0_14default_configELb0EPKfPfPKlPlN2at6native12_GLOBAL__N_18offset_tEEE10hipError_tPvRmT1_PNSt15iterator_traitsIS12_E10value_typeET2_T3_PNS13_IS18_E10value_typeET4_jRbjT5_S1E_jjP12ihipStream_tbEUljE_ZNSN_ISO_Lb0ESQ_SR_ST_SU_SY_EESZ_S10_S11_S12_S16_S17_S18_S1B_S1C_jS1D_jS1E_S1E_jjS1G_bEUljE0_EEESZ_S10_S11_S18_S1C_S1E_T6_T7_T9_mT8_S1G_bDpT10_ENKUlT_T0_E_clISt17integral_constantIbLb1EES1T_IbLb0EEEEDaS1P_S1Q_EUlS1P_E_NS1_11comp_targetILNS1_3genE9ELNS1_11target_archE1100ELNS1_3gpuE3ELNS1_3repE0EEENS1_30default_config_static_selectorELNS0_4arch9wavefront6targetE0EEEvS12_.num_vgpr, 0
	.set _ZN7rocprim17ROCPRIM_400000_NS6detail17trampoline_kernelINS0_13select_configILj256ELj13ELNS0_17block_load_methodE3ELS4_3ELS4_3ELNS0_20block_scan_algorithmE0ELj4294967295EEENS1_25partition_config_selectorILNS1_17partition_subalgoE4EjNS0_10empty_typeEbEEZZNS1_14partition_implILS8_4ELb0ES6_15HIP_vector_typeIjLj2EENS0_17counting_iteratorIjlEEPS9_SG_NS0_5tupleIJPjSI_NS0_16reverse_iteratorISI_EEEEENSH_IJSG_SG_SG_EEES9_SI_JZNS1_25segmented_radix_sort_implINS0_14default_configELb0EPKfPfPKlPlN2at6native12_GLOBAL__N_18offset_tEEE10hipError_tPvRmT1_PNSt15iterator_traitsIS12_E10value_typeET2_T3_PNS13_IS18_E10value_typeET4_jRbjT5_S1E_jjP12ihipStream_tbEUljE_ZNSN_ISO_Lb0ESQ_SR_ST_SU_SY_EESZ_S10_S11_S12_S16_S17_S18_S1B_S1C_jS1D_jS1E_S1E_jjS1G_bEUljE0_EEESZ_S10_S11_S18_S1C_S1E_T6_T7_T9_mT8_S1G_bDpT10_ENKUlT_T0_E_clISt17integral_constantIbLb1EES1T_IbLb0EEEEDaS1P_S1Q_EUlS1P_E_NS1_11comp_targetILNS1_3genE9ELNS1_11target_archE1100ELNS1_3gpuE3ELNS1_3repE0EEENS1_30default_config_static_selectorELNS0_4arch9wavefront6targetE0EEEvS12_.num_agpr, 0
	.set _ZN7rocprim17ROCPRIM_400000_NS6detail17trampoline_kernelINS0_13select_configILj256ELj13ELNS0_17block_load_methodE3ELS4_3ELS4_3ELNS0_20block_scan_algorithmE0ELj4294967295EEENS1_25partition_config_selectorILNS1_17partition_subalgoE4EjNS0_10empty_typeEbEEZZNS1_14partition_implILS8_4ELb0ES6_15HIP_vector_typeIjLj2EENS0_17counting_iteratorIjlEEPS9_SG_NS0_5tupleIJPjSI_NS0_16reverse_iteratorISI_EEEEENSH_IJSG_SG_SG_EEES9_SI_JZNS1_25segmented_radix_sort_implINS0_14default_configELb0EPKfPfPKlPlN2at6native12_GLOBAL__N_18offset_tEEE10hipError_tPvRmT1_PNSt15iterator_traitsIS12_E10value_typeET2_T3_PNS13_IS18_E10value_typeET4_jRbjT5_S1E_jjP12ihipStream_tbEUljE_ZNSN_ISO_Lb0ESQ_SR_ST_SU_SY_EESZ_S10_S11_S12_S16_S17_S18_S1B_S1C_jS1D_jS1E_S1E_jjS1G_bEUljE0_EEESZ_S10_S11_S18_S1C_S1E_T6_T7_T9_mT8_S1G_bDpT10_ENKUlT_T0_E_clISt17integral_constantIbLb1EES1T_IbLb0EEEEDaS1P_S1Q_EUlS1P_E_NS1_11comp_targetILNS1_3genE9ELNS1_11target_archE1100ELNS1_3gpuE3ELNS1_3repE0EEENS1_30default_config_static_selectorELNS0_4arch9wavefront6targetE0EEEvS12_.numbered_sgpr, 0
	.set _ZN7rocprim17ROCPRIM_400000_NS6detail17trampoline_kernelINS0_13select_configILj256ELj13ELNS0_17block_load_methodE3ELS4_3ELS4_3ELNS0_20block_scan_algorithmE0ELj4294967295EEENS1_25partition_config_selectorILNS1_17partition_subalgoE4EjNS0_10empty_typeEbEEZZNS1_14partition_implILS8_4ELb0ES6_15HIP_vector_typeIjLj2EENS0_17counting_iteratorIjlEEPS9_SG_NS0_5tupleIJPjSI_NS0_16reverse_iteratorISI_EEEEENSH_IJSG_SG_SG_EEES9_SI_JZNS1_25segmented_radix_sort_implINS0_14default_configELb0EPKfPfPKlPlN2at6native12_GLOBAL__N_18offset_tEEE10hipError_tPvRmT1_PNSt15iterator_traitsIS12_E10value_typeET2_T3_PNS13_IS18_E10value_typeET4_jRbjT5_S1E_jjP12ihipStream_tbEUljE_ZNSN_ISO_Lb0ESQ_SR_ST_SU_SY_EESZ_S10_S11_S12_S16_S17_S18_S1B_S1C_jS1D_jS1E_S1E_jjS1G_bEUljE0_EEESZ_S10_S11_S18_S1C_S1E_T6_T7_T9_mT8_S1G_bDpT10_ENKUlT_T0_E_clISt17integral_constantIbLb1EES1T_IbLb0EEEEDaS1P_S1Q_EUlS1P_E_NS1_11comp_targetILNS1_3genE9ELNS1_11target_archE1100ELNS1_3gpuE3ELNS1_3repE0EEENS1_30default_config_static_selectorELNS0_4arch9wavefront6targetE0EEEvS12_.num_named_barrier, 0
	.set _ZN7rocprim17ROCPRIM_400000_NS6detail17trampoline_kernelINS0_13select_configILj256ELj13ELNS0_17block_load_methodE3ELS4_3ELS4_3ELNS0_20block_scan_algorithmE0ELj4294967295EEENS1_25partition_config_selectorILNS1_17partition_subalgoE4EjNS0_10empty_typeEbEEZZNS1_14partition_implILS8_4ELb0ES6_15HIP_vector_typeIjLj2EENS0_17counting_iteratorIjlEEPS9_SG_NS0_5tupleIJPjSI_NS0_16reverse_iteratorISI_EEEEENSH_IJSG_SG_SG_EEES9_SI_JZNS1_25segmented_radix_sort_implINS0_14default_configELb0EPKfPfPKlPlN2at6native12_GLOBAL__N_18offset_tEEE10hipError_tPvRmT1_PNSt15iterator_traitsIS12_E10value_typeET2_T3_PNS13_IS18_E10value_typeET4_jRbjT5_S1E_jjP12ihipStream_tbEUljE_ZNSN_ISO_Lb0ESQ_SR_ST_SU_SY_EESZ_S10_S11_S12_S16_S17_S18_S1B_S1C_jS1D_jS1E_S1E_jjS1G_bEUljE0_EEESZ_S10_S11_S18_S1C_S1E_T6_T7_T9_mT8_S1G_bDpT10_ENKUlT_T0_E_clISt17integral_constantIbLb1EES1T_IbLb0EEEEDaS1P_S1Q_EUlS1P_E_NS1_11comp_targetILNS1_3genE9ELNS1_11target_archE1100ELNS1_3gpuE3ELNS1_3repE0EEENS1_30default_config_static_selectorELNS0_4arch9wavefront6targetE0EEEvS12_.private_seg_size, 0
	.set _ZN7rocprim17ROCPRIM_400000_NS6detail17trampoline_kernelINS0_13select_configILj256ELj13ELNS0_17block_load_methodE3ELS4_3ELS4_3ELNS0_20block_scan_algorithmE0ELj4294967295EEENS1_25partition_config_selectorILNS1_17partition_subalgoE4EjNS0_10empty_typeEbEEZZNS1_14partition_implILS8_4ELb0ES6_15HIP_vector_typeIjLj2EENS0_17counting_iteratorIjlEEPS9_SG_NS0_5tupleIJPjSI_NS0_16reverse_iteratorISI_EEEEENSH_IJSG_SG_SG_EEES9_SI_JZNS1_25segmented_radix_sort_implINS0_14default_configELb0EPKfPfPKlPlN2at6native12_GLOBAL__N_18offset_tEEE10hipError_tPvRmT1_PNSt15iterator_traitsIS12_E10value_typeET2_T3_PNS13_IS18_E10value_typeET4_jRbjT5_S1E_jjP12ihipStream_tbEUljE_ZNSN_ISO_Lb0ESQ_SR_ST_SU_SY_EESZ_S10_S11_S12_S16_S17_S18_S1B_S1C_jS1D_jS1E_S1E_jjS1G_bEUljE0_EEESZ_S10_S11_S18_S1C_S1E_T6_T7_T9_mT8_S1G_bDpT10_ENKUlT_T0_E_clISt17integral_constantIbLb1EES1T_IbLb0EEEEDaS1P_S1Q_EUlS1P_E_NS1_11comp_targetILNS1_3genE9ELNS1_11target_archE1100ELNS1_3gpuE3ELNS1_3repE0EEENS1_30default_config_static_selectorELNS0_4arch9wavefront6targetE0EEEvS12_.uses_vcc, 0
	.set _ZN7rocprim17ROCPRIM_400000_NS6detail17trampoline_kernelINS0_13select_configILj256ELj13ELNS0_17block_load_methodE3ELS4_3ELS4_3ELNS0_20block_scan_algorithmE0ELj4294967295EEENS1_25partition_config_selectorILNS1_17partition_subalgoE4EjNS0_10empty_typeEbEEZZNS1_14partition_implILS8_4ELb0ES6_15HIP_vector_typeIjLj2EENS0_17counting_iteratorIjlEEPS9_SG_NS0_5tupleIJPjSI_NS0_16reverse_iteratorISI_EEEEENSH_IJSG_SG_SG_EEES9_SI_JZNS1_25segmented_radix_sort_implINS0_14default_configELb0EPKfPfPKlPlN2at6native12_GLOBAL__N_18offset_tEEE10hipError_tPvRmT1_PNSt15iterator_traitsIS12_E10value_typeET2_T3_PNS13_IS18_E10value_typeET4_jRbjT5_S1E_jjP12ihipStream_tbEUljE_ZNSN_ISO_Lb0ESQ_SR_ST_SU_SY_EESZ_S10_S11_S12_S16_S17_S18_S1B_S1C_jS1D_jS1E_S1E_jjS1G_bEUljE0_EEESZ_S10_S11_S18_S1C_S1E_T6_T7_T9_mT8_S1G_bDpT10_ENKUlT_T0_E_clISt17integral_constantIbLb1EES1T_IbLb0EEEEDaS1P_S1Q_EUlS1P_E_NS1_11comp_targetILNS1_3genE9ELNS1_11target_archE1100ELNS1_3gpuE3ELNS1_3repE0EEENS1_30default_config_static_selectorELNS0_4arch9wavefront6targetE0EEEvS12_.uses_flat_scratch, 0
	.set _ZN7rocprim17ROCPRIM_400000_NS6detail17trampoline_kernelINS0_13select_configILj256ELj13ELNS0_17block_load_methodE3ELS4_3ELS4_3ELNS0_20block_scan_algorithmE0ELj4294967295EEENS1_25partition_config_selectorILNS1_17partition_subalgoE4EjNS0_10empty_typeEbEEZZNS1_14partition_implILS8_4ELb0ES6_15HIP_vector_typeIjLj2EENS0_17counting_iteratorIjlEEPS9_SG_NS0_5tupleIJPjSI_NS0_16reverse_iteratorISI_EEEEENSH_IJSG_SG_SG_EEES9_SI_JZNS1_25segmented_radix_sort_implINS0_14default_configELb0EPKfPfPKlPlN2at6native12_GLOBAL__N_18offset_tEEE10hipError_tPvRmT1_PNSt15iterator_traitsIS12_E10value_typeET2_T3_PNS13_IS18_E10value_typeET4_jRbjT5_S1E_jjP12ihipStream_tbEUljE_ZNSN_ISO_Lb0ESQ_SR_ST_SU_SY_EESZ_S10_S11_S12_S16_S17_S18_S1B_S1C_jS1D_jS1E_S1E_jjS1G_bEUljE0_EEESZ_S10_S11_S18_S1C_S1E_T6_T7_T9_mT8_S1G_bDpT10_ENKUlT_T0_E_clISt17integral_constantIbLb1EES1T_IbLb0EEEEDaS1P_S1Q_EUlS1P_E_NS1_11comp_targetILNS1_3genE9ELNS1_11target_archE1100ELNS1_3gpuE3ELNS1_3repE0EEENS1_30default_config_static_selectorELNS0_4arch9wavefront6targetE0EEEvS12_.has_dyn_sized_stack, 0
	.set _ZN7rocprim17ROCPRIM_400000_NS6detail17trampoline_kernelINS0_13select_configILj256ELj13ELNS0_17block_load_methodE3ELS4_3ELS4_3ELNS0_20block_scan_algorithmE0ELj4294967295EEENS1_25partition_config_selectorILNS1_17partition_subalgoE4EjNS0_10empty_typeEbEEZZNS1_14partition_implILS8_4ELb0ES6_15HIP_vector_typeIjLj2EENS0_17counting_iteratorIjlEEPS9_SG_NS0_5tupleIJPjSI_NS0_16reverse_iteratorISI_EEEEENSH_IJSG_SG_SG_EEES9_SI_JZNS1_25segmented_radix_sort_implINS0_14default_configELb0EPKfPfPKlPlN2at6native12_GLOBAL__N_18offset_tEEE10hipError_tPvRmT1_PNSt15iterator_traitsIS12_E10value_typeET2_T3_PNS13_IS18_E10value_typeET4_jRbjT5_S1E_jjP12ihipStream_tbEUljE_ZNSN_ISO_Lb0ESQ_SR_ST_SU_SY_EESZ_S10_S11_S12_S16_S17_S18_S1B_S1C_jS1D_jS1E_S1E_jjS1G_bEUljE0_EEESZ_S10_S11_S18_S1C_S1E_T6_T7_T9_mT8_S1G_bDpT10_ENKUlT_T0_E_clISt17integral_constantIbLb1EES1T_IbLb0EEEEDaS1P_S1Q_EUlS1P_E_NS1_11comp_targetILNS1_3genE9ELNS1_11target_archE1100ELNS1_3gpuE3ELNS1_3repE0EEENS1_30default_config_static_selectorELNS0_4arch9wavefront6targetE0EEEvS12_.has_recursion, 0
	.set _ZN7rocprim17ROCPRIM_400000_NS6detail17trampoline_kernelINS0_13select_configILj256ELj13ELNS0_17block_load_methodE3ELS4_3ELS4_3ELNS0_20block_scan_algorithmE0ELj4294967295EEENS1_25partition_config_selectorILNS1_17partition_subalgoE4EjNS0_10empty_typeEbEEZZNS1_14partition_implILS8_4ELb0ES6_15HIP_vector_typeIjLj2EENS0_17counting_iteratorIjlEEPS9_SG_NS0_5tupleIJPjSI_NS0_16reverse_iteratorISI_EEEEENSH_IJSG_SG_SG_EEES9_SI_JZNS1_25segmented_radix_sort_implINS0_14default_configELb0EPKfPfPKlPlN2at6native12_GLOBAL__N_18offset_tEEE10hipError_tPvRmT1_PNSt15iterator_traitsIS12_E10value_typeET2_T3_PNS13_IS18_E10value_typeET4_jRbjT5_S1E_jjP12ihipStream_tbEUljE_ZNSN_ISO_Lb0ESQ_SR_ST_SU_SY_EESZ_S10_S11_S12_S16_S17_S18_S1B_S1C_jS1D_jS1E_S1E_jjS1G_bEUljE0_EEESZ_S10_S11_S18_S1C_S1E_T6_T7_T9_mT8_S1G_bDpT10_ENKUlT_T0_E_clISt17integral_constantIbLb1EES1T_IbLb0EEEEDaS1P_S1Q_EUlS1P_E_NS1_11comp_targetILNS1_3genE9ELNS1_11target_archE1100ELNS1_3gpuE3ELNS1_3repE0EEENS1_30default_config_static_selectorELNS0_4arch9wavefront6targetE0EEEvS12_.has_indirect_call, 0
	.section	.AMDGPU.csdata,"",@progbits
; Kernel info:
; codeLenInByte = 0
; TotalNumSgprs: 0
; NumVgprs: 0
; ScratchSize: 0
; MemoryBound: 0
; FloatMode: 240
; IeeeMode: 1
; LDSByteSize: 0 bytes/workgroup (compile time only)
; SGPRBlocks: 0
; VGPRBlocks: 0
; NumSGPRsForWavesPerEU: 1
; NumVGPRsForWavesPerEU: 1
; NamedBarCnt: 0
; Occupancy: 16
; WaveLimiterHint : 0
; COMPUTE_PGM_RSRC2:SCRATCH_EN: 0
; COMPUTE_PGM_RSRC2:USER_SGPR: 2
; COMPUTE_PGM_RSRC2:TRAP_HANDLER: 0
; COMPUTE_PGM_RSRC2:TGID_X_EN: 1
; COMPUTE_PGM_RSRC2:TGID_Y_EN: 0
; COMPUTE_PGM_RSRC2:TGID_Z_EN: 0
; COMPUTE_PGM_RSRC2:TIDIG_COMP_CNT: 0
	.section	.text._ZN7rocprim17ROCPRIM_400000_NS6detail17trampoline_kernelINS0_13select_configILj256ELj13ELNS0_17block_load_methodE3ELS4_3ELS4_3ELNS0_20block_scan_algorithmE0ELj4294967295EEENS1_25partition_config_selectorILNS1_17partition_subalgoE4EjNS0_10empty_typeEbEEZZNS1_14partition_implILS8_4ELb0ES6_15HIP_vector_typeIjLj2EENS0_17counting_iteratorIjlEEPS9_SG_NS0_5tupleIJPjSI_NS0_16reverse_iteratorISI_EEEEENSH_IJSG_SG_SG_EEES9_SI_JZNS1_25segmented_radix_sort_implINS0_14default_configELb0EPKfPfPKlPlN2at6native12_GLOBAL__N_18offset_tEEE10hipError_tPvRmT1_PNSt15iterator_traitsIS12_E10value_typeET2_T3_PNS13_IS18_E10value_typeET4_jRbjT5_S1E_jjP12ihipStream_tbEUljE_ZNSN_ISO_Lb0ESQ_SR_ST_SU_SY_EESZ_S10_S11_S12_S16_S17_S18_S1B_S1C_jS1D_jS1E_S1E_jjS1G_bEUljE0_EEESZ_S10_S11_S18_S1C_S1E_T6_T7_T9_mT8_S1G_bDpT10_ENKUlT_T0_E_clISt17integral_constantIbLb1EES1T_IbLb0EEEEDaS1P_S1Q_EUlS1P_E_NS1_11comp_targetILNS1_3genE8ELNS1_11target_archE1030ELNS1_3gpuE2ELNS1_3repE0EEENS1_30default_config_static_selectorELNS0_4arch9wavefront6targetE0EEEvS12_,"axG",@progbits,_ZN7rocprim17ROCPRIM_400000_NS6detail17trampoline_kernelINS0_13select_configILj256ELj13ELNS0_17block_load_methodE3ELS4_3ELS4_3ELNS0_20block_scan_algorithmE0ELj4294967295EEENS1_25partition_config_selectorILNS1_17partition_subalgoE4EjNS0_10empty_typeEbEEZZNS1_14partition_implILS8_4ELb0ES6_15HIP_vector_typeIjLj2EENS0_17counting_iteratorIjlEEPS9_SG_NS0_5tupleIJPjSI_NS0_16reverse_iteratorISI_EEEEENSH_IJSG_SG_SG_EEES9_SI_JZNS1_25segmented_radix_sort_implINS0_14default_configELb0EPKfPfPKlPlN2at6native12_GLOBAL__N_18offset_tEEE10hipError_tPvRmT1_PNSt15iterator_traitsIS12_E10value_typeET2_T3_PNS13_IS18_E10value_typeET4_jRbjT5_S1E_jjP12ihipStream_tbEUljE_ZNSN_ISO_Lb0ESQ_SR_ST_SU_SY_EESZ_S10_S11_S12_S16_S17_S18_S1B_S1C_jS1D_jS1E_S1E_jjS1G_bEUljE0_EEESZ_S10_S11_S18_S1C_S1E_T6_T7_T9_mT8_S1G_bDpT10_ENKUlT_T0_E_clISt17integral_constantIbLb1EES1T_IbLb0EEEEDaS1P_S1Q_EUlS1P_E_NS1_11comp_targetILNS1_3genE8ELNS1_11target_archE1030ELNS1_3gpuE2ELNS1_3repE0EEENS1_30default_config_static_selectorELNS0_4arch9wavefront6targetE0EEEvS12_,comdat
	.globl	_ZN7rocprim17ROCPRIM_400000_NS6detail17trampoline_kernelINS0_13select_configILj256ELj13ELNS0_17block_load_methodE3ELS4_3ELS4_3ELNS0_20block_scan_algorithmE0ELj4294967295EEENS1_25partition_config_selectorILNS1_17partition_subalgoE4EjNS0_10empty_typeEbEEZZNS1_14partition_implILS8_4ELb0ES6_15HIP_vector_typeIjLj2EENS0_17counting_iteratorIjlEEPS9_SG_NS0_5tupleIJPjSI_NS0_16reverse_iteratorISI_EEEEENSH_IJSG_SG_SG_EEES9_SI_JZNS1_25segmented_radix_sort_implINS0_14default_configELb0EPKfPfPKlPlN2at6native12_GLOBAL__N_18offset_tEEE10hipError_tPvRmT1_PNSt15iterator_traitsIS12_E10value_typeET2_T3_PNS13_IS18_E10value_typeET4_jRbjT5_S1E_jjP12ihipStream_tbEUljE_ZNSN_ISO_Lb0ESQ_SR_ST_SU_SY_EESZ_S10_S11_S12_S16_S17_S18_S1B_S1C_jS1D_jS1E_S1E_jjS1G_bEUljE0_EEESZ_S10_S11_S18_S1C_S1E_T6_T7_T9_mT8_S1G_bDpT10_ENKUlT_T0_E_clISt17integral_constantIbLb1EES1T_IbLb0EEEEDaS1P_S1Q_EUlS1P_E_NS1_11comp_targetILNS1_3genE8ELNS1_11target_archE1030ELNS1_3gpuE2ELNS1_3repE0EEENS1_30default_config_static_selectorELNS0_4arch9wavefront6targetE0EEEvS12_ ; -- Begin function _ZN7rocprim17ROCPRIM_400000_NS6detail17trampoline_kernelINS0_13select_configILj256ELj13ELNS0_17block_load_methodE3ELS4_3ELS4_3ELNS0_20block_scan_algorithmE0ELj4294967295EEENS1_25partition_config_selectorILNS1_17partition_subalgoE4EjNS0_10empty_typeEbEEZZNS1_14partition_implILS8_4ELb0ES6_15HIP_vector_typeIjLj2EENS0_17counting_iteratorIjlEEPS9_SG_NS0_5tupleIJPjSI_NS0_16reverse_iteratorISI_EEEEENSH_IJSG_SG_SG_EEES9_SI_JZNS1_25segmented_radix_sort_implINS0_14default_configELb0EPKfPfPKlPlN2at6native12_GLOBAL__N_18offset_tEEE10hipError_tPvRmT1_PNSt15iterator_traitsIS12_E10value_typeET2_T3_PNS13_IS18_E10value_typeET4_jRbjT5_S1E_jjP12ihipStream_tbEUljE_ZNSN_ISO_Lb0ESQ_SR_ST_SU_SY_EESZ_S10_S11_S12_S16_S17_S18_S1B_S1C_jS1D_jS1E_S1E_jjS1G_bEUljE0_EEESZ_S10_S11_S18_S1C_S1E_T6_T7_T9_mT8_S1G_bDpT10_ENKUlT_T0_E_clISt17integral_constantIbLb1EES1T_IbLb0EEEEDaS1P_S1Q_EUlS1P_E_NS1_11comp_targetILNS1_3genE8ELNS1_11target_archE1030ELNS1_3gpuE2ELNS1_3repE0EEENS1_30default_config_static_selectorELNS0_4arch9wavefront6targetE0EEEvS12_
	.p2align	8
	.type	_ZN7rocprim17ROCPRIM_400000_NS6detail17trampoline_kernelINS0_13select_configILj256ELj13ELNS0_17block_load_methodE3ELS4_3ELS4_3ELNS0_20block_scan_algorithmE0ELj4294967295EEENS1_25partition_config_selectorILNS1_17partition_subalgoE4EjNS0_10empty_typeEbEEZZNS1_14partition_implILS8_4ELb0ES6_15HIP_vector_typeIjLj2EENS0_17counting_iteratorIjlEEPS9_SG_NS0_5tupleIJPjSI_NS0_16reverse_iteratorISI_EEEEENSH_IJSG_SG_SG_EEES9_SI_JZNS1_25segmented_radix_sort_implINS0_14default_configELb0EPKfPfPKlPlN2at6native12_GLOBAL__N_18offset_tEEE10hipError_tPvRmT1_PNSt15iterator_traitsIS12_E10value_typeET2_T3_PNS13_IS18_E10value_typeET4_jRbjT5_S1E_jjP12ihipStream_tbEUljE_ZNSN_ISO_Lb0ESQ_SR_ST_SU_SY_EESZ_S10_S11_S12_S16_S17_S18_S1B_S1C_jS1D_jS1E_S1E_jjS1G_bEUljE0_EEESZ_S10_S11_S18_S1C_S1E_T6_T7_T9_mT8_S1G_bDpT10_ENKUlT_T0_E_clISt17integral_constantIbLb1EES1T_IbLb0EEEEDaS1P_S1Q_EUlS1P_E_NS1_11comp_targetILNS1_3genE8ELNS1_11target_archE1030ELNS1_3gpuE2ELNS1_3repE0EEENS1_30default_config_static_selectorELNS0_4arch9wavefront6targetE0EEEvS12_,@function
_ZN7rocprim17ROCPRIM_400000_NS6detail17trampoline_kernelINS0_13select_configILj256ELj13ELNS0_17block_load_methodE3ELS4_3ELS4_3ELNS0_20block_scan_algorithmE0ELj4294967295EEENS1_25partition_config_selectorILNS1_17partition_subalgoE4EjNS0_10empty_typeEbEEZZNS1_14partition_implILS8_4ELb0ES6_15HIP_vector_typeIjLj2EENS0_17counting_iteratorIjlEEPS9_SG_NS0_5tupleIJPjSI_NS0_16reverse_iteratorISI_EEEEENSH_IJSG_SG_SG_EEES9_SI_JZNS1_25segmented_radix_sort_implINS0_14default_configELb0EPKfPfPKlPlN2at6native12_GLOBAL__N_18offset_tEEE10hipError_tPvRmT1_PNSt15iterator_traitsIS12_E10value_typeET2_T3_PNS13_IS18_E10value_typeET4_jRbjT5_S1E_jjP12ihipStream_tbEUljE_ZNSN_ISO_Lb0ESQ_SR_ST_SU_SY_EESZ_S10_S11_S12_S16_S17_S18_S1B_S1C_jS1D_jS1E_S1E_jjS1G_bEUljE0_EEESZ_S10_S11_S18_S1C_S1E_T6_T7_T9_mT8_S1G_bDpT10_ENKUlT_T0_E_clISt17integral_constantIbLb1EES1T_IbLb0EEEEDaS1P_S1Q_EUlS1P_E_NS1_11comp_targetILNS1_3genE8ELNS1_11target_archE1030ELNS1_3gpuE2ELNS1_3repE0EEENS1_30default_config_static_selectorELNS0_4arch9wavefront6targetE0EEEvS12_: ; @_ZN7rocprim17ROCPRIM_400000_NS6detail17trampoline_kernelINS0_13select_configILj256ELj13ELNS0_17block_load_methodE3ELS4_3ELS4_3ELNS0_20block_scan_algorithmE0ELj4294967295EEENS1_25partition_config_selectorILNS1_17partition_subalgoE4EjNS0_10empty_typeEbEEZZNS1_14partition_implILS8_4ELb0ES6_15HIP_vector_typeIjLj2EENS0_17counting_iteratorIjlEEPS9_SG_NS0_5tupleIJPjSI_NS0_16reverse_iteratorISI_EEEEENSH_IJSG_SG_SG_EEES9_SI_JZNS1_25segmented_radix_sort_implINS0_14default_configELb0EPKfPfPKlPlN2at6native12_GLOBAL__N_18offset_tEEE10hipError_tPvRmT1_PNSt15iterator_traitsIS12_E10value_typeET2_T3_PNS13_IS18_E10value_typeET4_jRbjT5_S1E_jjP12ihipStream_tbEUljE_ZNSN_ISO_Lb0ESQ_SR_ST_SU_SY_EESZ_S10_S11_S12_S16_S17_S18_S1B_S1C_jS1D_jS1E_S1E_jjS1G_bEUljE0_EEESZ_S10_S11_S18_S1C_S1E_T6_T7_T9_mT8_S1G_bDpT10_ENKUlT_T0_E_clISt17integral_constantIbLb1EES1T_IbLb0EEEEDaS1P_S1Q_EUlS1P_E_NS1_11comp_targetILNS1_3genE8ELNS1_11target_archE1030ELNS1_3gpuE2ELNS1_3repE0EEENS1_30default_config_static_selectorELNS0_4arch9wavefront6targetE0EEEvS12_
; %bb.0:
	.section	.rodata,"a",@progbits
	.p2align	6, 0x0
	.amdhsa_kernel _ZN7rocprim17ROCPRIM_400000_NS6detail17trampoline_kernelINS0_13select_configILj256ELj13ELNS0_17block_load_methodE3ELS4_3ELS4_3ELNS0_20block_scan_algorithmE0ELj4294967295EEENS1_25partition_config_selectorILNS1_17partition_subalgoE4EjNS0_10empty_typeEbEEZZNS1_14partition_implILS8_4ELb0ES6_15HIP_vector_typeIjLj2EENS0_17counting_iteratorIjlEEPS9_SG_NS0_5tupleIJPjSI_NS0_16reverse_iteratorISI_EEEEENSH_IJSG_SG_SG_EEES9_SI_JZNS1_25segmented_radix_sort_implINS0_14default_configELb0EPKfPfPKlPlN2at6native12_GLOBAL__N_18offset_tEEE10hipError_tPvRmT1_PNSt15iterator_traitsIS12_E10value_typeET2_T3_PNS13_IS18_E10value_typeET4_jRbjT5_S1E_jjP12ihipStream_tbEUljE_ZNSN_ISO_Lb0ESQ_SR_ST_SU_SY_EESZ_S10_S11_S12_S16_S17_S18_S1B_S1C_jS1D_jS1E_S1E_jjS1G_bEUljE0_EEESZ_S10_S11_S18_S1C_S1E_T6_T7_T9_mT8_S1G_bDpT10_ENKUlT_T0_E_clISt17integral_constantIbLb1EES1T_IbLb0EEEEDaS1P_S1Q_EUlS1P_E_NS1_11comp_targetILNS1_3genE8ELNS1_11target_archE1030ELNS1_3gpuE2ELNS1_3repE0EEENS1_30default_config_static_selectorELNS0_4arch9wavefront6targetE0EEEvS12_
		.amdhsa_group_segment_fixed_size 0
		.amdhsa_private_segment_fixed_size 0
		.amdhsa_kernarg_size 176
		.amdhsa_user_sgpr_count 2
		.amdhsa_user_sgpr_dispatch_ptr 0
		.amdhsa_user_sgpr_queue_ptr 0
		.amdhsa_user_sgpr_kernarg_segment_ptr 1
		.amdhsa_user_sgpr_dispatch_id 0
		.amdhsa_user_sgpr_kernarg_preload_length 0
		.amdhsa_user_sgpr_kernarg_preload_offset 0
		.amdhsa_user_sgpr_private_segment_size 0
		.amdhsa_wavefront_size32 1
		.amdhsa_uses_dynamic_stack 0
		.amdhsa_enable_private_segment 0
		.amdhsa_system_sgpr_workgroup_id_x 1
		.amdhsa_system_sgpr_workgroup_id_y 0
		.amdhsa_system_sgpr_workgroup_id_z 0
		.amdhsa_system_sgpr_workgroup_info 0
		.amdhsa_system_vgpr_workitem_id 0
		.amdhsa_next_free_vgpr 1
		.amdhsa_next_free_sgpr 1
		.amdhsa_named_barrier_count 0
		.amdhsa_reserve_vcc 0
		.amdhsa_float_round_mode_32 0
		.amdhsa_float_round_mode_16_64 0
		.amdhsa_float_denorm_mode_32 3
		.amdhsa_float_denorm_mode_16_64 3
		.amdhsa_fp16_overflow 0
		.amdhsa_memory_ordered 1
		.amdhsa_forward_progress 1
		.amdhsa_inst_pref_size 0
		.amdhsa_round_robin_scheduling 0
		.amdhsa_exception_fp_ieee_invalid_op 0
		.amdhsa_exception_fp_denorm_src 0
		.amdhsa_exception_fp_ieee_div_zero 0
		.amdhsa_exception_fp_ieee_overflow 0
		.amdhsa_exception_fp_ieee_underflow 0
		.amdhsa_exception_fp_ieee_inexact 0
		.amdhsa_exception_int_div_zero 0
	.end_amdhsa_kernel
	.section	.text._ZN7rocprim17ROCPRIM_400000_NS6detail17trampoline_kernelINS0_13select_configILj256ELj13ELNS0_17block_load_methodE3ELS4_3ELS4_3ELNS0_20block_scan_algorithmE0ELj4294967295EEENS1_25partition_config_selectorILNS1_17partition_subalgoE4EjNS0_10empty_typeEbEEZZNS1_14partition_implILS8_4ELb0ES6_15HIP_vector_typeIjLj2EENS0_17counting_iteratorIjlEEPS9_SG_NS0_5tupleIJPjSI_NS0_16reverse_iteratorISI_EEEEENSH_IJSG_SG_SG_EEES9_SI_JZNS1_25segmented_radix_sort_implINS0_14default_configELb0EPKfPfPKlPlN2at6native12_GLOBAL__N_18offset_tEEE10hipError_tPvRmT1_PNSt15iterator_traitsIS12_E10value_typeET2_T3_PNS13_IS18_E10value_typeET4_jRbjT5_S1E_jjP12ihipStream_tbEUljE_ZNSN_ISO_Lb0ESQ_SR_ST_SU_SY_EESZ_S10_S11_S12_S16_S17_S18_S1B_S1C_jS1D_jS1E_S1E_jjS1G_bEUljE0_EEESZ_S10_S11_S18_S1C_S1E_T6_T7_T9_mT8_S1G_bDpT10_ENKUlT_T0_E_clISt17integral_constantIbLb1EES1T_IbLb0EEEEDaS1P_S1Q_EUlS1P_E_NS1_11comp_targetILNS1_3genE8ELNS1_11target_archE1030ELNS1_3gpuE2ELNS1_3repE0EEENS1_30default_config_static_selectorELNS0_4arch9wavefront6targetE0EEEvS12_,"axG",@progbits,_ZN7rocprim17ROCPRIM_400000_NS6detail17trampoline_kernelINS0_13select_configILj256ELj13ELNS0_17block_load_methodE3ELS4_3ELS4_3ELNS0_20block_scan_algorithmE0ELj4294967295EEENS1_25partition_config_selectorILNS1_17partition_subalgoE4EjNS0_10empty_typeEbEEZZNS1_14partition_implILS8_4ELb0ES6_15HIP_vector_typeIjLj2EENS0_17counting_iteratorIjlEEPS9_SG_NS0_5tupleIJPjSI_NS0_16reverse_iteratorISI_EEEEENSH_IJSG_SG_SG_EEES9_SI_JZNS1_25segmented_radix_sort_implINS0_14default_configELb0EPKfPfPKlPlN2at6native12_GLOBAL__N_18offset_tEEE10hipError_tPvRmT1_PNSt15iterator_traitsIS12_E10value_typeET2_T3_PNS13_IS18_E10value_typeET4_jRbjT5_S1E_jjP12ihipStream_tbEUljE_ZNSN_ISO_Lb0ESQ_SR_ST_SU_SY_EESZ_S10_S11_S12_S16_S17_S18_S1B_S1C_jS1D_jS1E_S1E_jjS1G_bEUljE0_EEESZ_S10_S11_S18_S1C_S1E_T6_T7_T9_mT8_S1G_bDpT10_ENKUlT_T0_E_clISt17integral_constantIbLb1EES1T_IbLb0EEEEDaS1P_S1Q_EUlS1P_E_NS1_11comp_targetILNS1_3genE8ELNS1_11target_archE1030ELNS1_3gpuE2ELNS1_3repE0EEENS1_30default_config_static_selectorELNS0_4arch9wavefront6targetE0EEEvS12_,comdat
.Lfunc_end1380:
	.size	_ZN7rocprim17ROCPRIM_400000_NS6detail17trampoline_kernelINS0_13select_configILj256ELj13ELNS0_17block_load_methodE3ELS4_3ELS4_3ELNS0_20block_scan_algorithmE0ELj4294967295EEENS1_25partition_config_selectorILNS1_17partition_subalgoE4EjNS0_10empty_typeEbEEZZNS1_14partition_implILS8_4ELb0ES6_15HIP_vector_typeIjLj2EENS0_17counting_iteratorIjlEEPS9_SG_NS0_5tupleIJPjSI_NS0_16reverse_iteratorISI_EEEEENSH_IJSG_SG_SG_EEES9_SI_JZNS1_25segmented_radix_sort_implINS0_14default_configELb0EPKfPfPKlPlN2at6native12_GLOBAL__N_18offset_tEEE10hipError_tPvRmT1_PNSt15iterator_traitsIS12_E10value_typeET2_T3_PNS13_IS18_E10value_typeET4_jRbjT5_S1E_jjP12ihipStream_tbEUljE_ZNSN_ISO_Lb0ESQ_SR_ST_SU_SY_EESZ_S10_S11_S12_S16_S17_S18_S1B_S1C_jS1D_jS1E_S1E_jjS1G_bEUljE0_EEESZ_S10_S11_S18_S1C_S1E_T6_T7_T9_mT8_S1G_bDpT10_ENKUlT_T0_E_clISt17integral_constantIbLb1EES1T_IbLb0EEEEDaS1P_S1Q_EUlS1P_E_NS1_11comp_targetILNS1_3genE8ELNS1_11target_archE1030ELNS1_3gpuE2ELNS1_3repE0EEENS1_30default_config_static_selectorELNS0_4arch9wavefront6targetE0EEEvS12_, .Lfunc_end1380-_ZN7rocprim17ROCPRIM_400000_NS6detail17trampoline_kernelINS0_13select_configILj256ELj13ELNS0_17block_load_methodE3ELS4_3ELS4_3ELNS0_20block_scan_algorithmE0ELj4294967295EEENS1_25partition_config_selectorILNS1_17partition_subalgoE4EjNS0_10empty_typeEbEEZZNS1_14partition_implILS8_4ELb0ES6_15HIP_vector_typeIjLj2EENS0_17counting_iteratorIjlEEPS9_SG_NS0_5tupleIJPjSI_NS0_16reverse_iteratorISI_EEEEENSH_IJSG_SG_SG_EEES9_SI_JZNS1_25segmented_radix_sort_implINS0_14default_configELb0EPKfPfPKlPlN2at6native12_GLOBAL__N_18offset_tEEE10hipError_tPvRmT1_PNSt15iterator_traitsIS12_E10value_typeET2_T3_PNS13_IS18_E10value_typeET4_jRbjT5_S1E_jjP12ihipStream_tbEUljE_ZNSN_ISO_Lb0ESQ_SR_ST_SU_SY_EESZ_S10_S11_S12_S16_S17_S18_S1B_S1C_jS1D_jS1E_S1E_jjS1G_bEUljE0_EEESZ_S10_S11_S18_S1C_S1E_T6_T7_T9_mT8_S1G_bDpT10_ENKUlT_T0_E_clISt17integral_constantIbLb1EES1T_IbLb0EEEEDaS1P_S1Q_EUlS1P_E_NS1_11comp_targetILNS1_3genE8ELNS1_11target_archE1030ELNS1_3gpuE2ELNS1_3repE0EEENS1_30default_config_static_selectorELNS0_4arch9wavefront6targetE0EEEvS12_
                                        ; -- End function
	.set _ZN7rocprim17ROCPRIM_400000_NS6detail17trampoline_kernelINS0_13select_configILj256ELj13ELNS0_17block_load_methodE3ELS4_3ELS4_3ELNS0_20block_scan_algorithmE0ELj4294967295EEENS1_25partition_config_selectorILNS1_17partition_subalgoE4EjNS0_10empty_typeEbEEZZNS1_14partition_implILS8_4ELb0ES6_15HIP_vector_typeIjLj2EENS0_17counting_iteratorIjlEEPS9_SG_NS0_5tupleIJPjSI_NS0_16reverse_iteratorISI_EEEEENSH_IJSG_SG_SG_EEES9_SI_JZNS1_25segmented_radix_sort_implINS0_14default_configELb0EPKfPfPKlPlN2at6native12_GLOBAL__N_18offset_tEEE10hipError_tPvRmT1_PNSt15iterator_traitsIS12_E10value_typeET2_T3_PNS13_IS18_E10value_typeET4_jRbjT5_S1E_jjP12ihipStream_tbEUljE_ZNSN_ISO_Lb0ESQ_SR_ST_SU_SY_EESZ_S10_S11_S12_S16_S17_S18_S1B_S1C_jS1D_jS1E_S1E_jjS1G_bEUljE0_EEESZ_S10_S11_S18_S1C_S1E_T6_T7_T9_mT8_S1G_bDpT10_ENKUlT_T0_E_clISt17integral_constantIbLb1EES1T_IbLb0EEEEDaS1P_S1Q_EUlS1P_E_NS1_11comp_targetILNS1_3genE8ELNS1_11target_archE1030ELNS1_3gpuE2ELNS1_3repE0EEENS1_30default_config_static_selectorELNS0_4arch9wavefront6targetE0EEEvS12_.num_vgpr, 0
	.set _ZN7rocprim17ROCPRIM_400000_NS6detail17trampoline_kernelINS0_13select_configILj256ELj13ELNS0_17block_load_methodE3ELS4_3ELS4_3ELNS0_20block_scan_algorithmE0ELj4294967295EEENS1_25partition_config_selectorILNS1_17partition_subalgoE4EjNS0_10empty_typeEbEEZZNS1_14partition_implILS8_4ELb0ES6_15HIP_vector_typeIjLj2EENS0_17counting_iteratorIjlEEPS9_SG_NS0_5tupleIJPjSI_NS0_16reverse_iteratorISI_EEEEENSH_IJSG_SG_SG_EEES9_SI_JZNS1_25segmented_radix_sort_implINS0_14default_configELb0EPKfPfPKlPlN2at6native12_GLOBAL__N_18offset_tEEE10hipError_tPvRmT1_PNSt15iterator_traitsIS12_E10value_typeET2_T3_PNS13_IS18_E10value_typeET4_jRbjT5_S1E_jjP12ihipStream_tbEUljE_ZNSN_ISO_Lb0ESQ_SR_ST_SU_SY_EESZ_S10_S11_S12_S16_S17_S18_S1B_S1C_jS1D_jS1E_S1E_jjS1G_bEUljE0_EEESZ_S10_S11_S18_S1C_S1E_T6_T7_T9_mT8_S1G_bDpT10_ENKUlT_T0_E_clISt17integral_constantIbLb1EES1T_IbLb0EEEEDaS1P_S1Q_EUlS1P_E_NS1_11comp_targetILNS1_3genE8ELNS1_11target_archE1030ELNS1_3gpuE2ELNS1_3repE0EEENS1_30default_config_static_selectorELNS0_4arch9wavefront6targetE0EEEvS12_.num_agpr, 0
	.set _ZN7rocprim17ROCPRIM_400000_NS6detail17trampoline_kernelINS0_13select_configILj256ELj13ELNS0_17block_load_methodE3ELS4_3ELS4_3ELNS0_20block_scan_algorithmE0ELj4294967295EEENS1_25partition_config_selectorILNS1_17partition_subalgoE4EjNS0_10empty_typeEbEEZZNS1_14partition_implILS8_4ELb0ES6_15HIP_vector_typeIjLj2EENS0_17counting_iteratorIjlEEPS9_SG_NS0_5tupleIJPjSI_NS0_16reverse_iteratorISI_EEEEENSH_IJSG_SG_SG_EEES9_SI_JZNS1_25segmented_radix_sort_implINS0_14default_configELb0EPKfPfPKlPlN2at6native12_GLOBAL__N_18offset_tEEE10hipError_tPvRmT1_PNSt15iterator_traitsIS12_E10value_typeET2_T3_PNS13_IS18_E10value_typeET4_jRbjT5_S1E_jjP12ihipStream_tbEUljE_ZNSN_ISO_Lb0ESQ_SR_ST_SU_SY_EESZ_S10_S11_S12_S16_S17_S18_S1B_S1C_jS1D_jS1E_S1E_jjS1G_bEUljE0_EEESZ_S10_S11_S18_S1C_S1E_T6_T7_T9_mT8_S1G_bDpT10_ENKUlT_T0_E_clISt17integral_constantIbLb1EES1T_IbLb0EEEEDaS1P_S1Q_EUlS1P_E_NS1_11comp_targetILNS1_3genE8ELNS1_11target_archE1030ELNS1_3gpuE2ELNS1_3repE0EEENS1_30default_config_static_selectorELNS0_4arch9wavefront6targetE0EEEvS12_.numbered_sgpr, 0
	.set _ZN7rocprim17ROCPRIM_400000_NS6detail17trampoline_kernelINS0_13select_configILj256ELj13ELNS0_17block_load_methodE3ELS4_3ELS4_3ELNS0_20block_scan_algorithmE0ELj4294967295EEENS1_25partition_config_selectorILNS1_17partition_subalgoE4EjNS0_10empty_typeEbEEZZNS1_14partition_implILS8_4ELb0ES6_15HIP_vector_typeIjLj2EENS0_17counting_iteratorIjlEEPS9_SG_NS0_5tupleIJPjSI_NS0_16reverse_iteratorISI_EEEEENSH_IJSG_SG_SG_EEES9_SI_JZNS1_25segmented_radix_sort_implINS0_14default_configELb0EPKfPfPKlPlN2at6native12_GLOBAL__N_18offset_tEEE10hipError_tPvRmT1_PNSt15iterator_traitsIS12_E10value_typeET2_T3_PNS13_IS18_E10value_typeET4_jRbjT5_S1E_jjP12ihipStream_tbEUljE_ZNSN_ISO_Lb0ESQ_SR_ST_SU_SY_EESZ_S10_S11_S12_S16_S17_S18_S1B_S1C_jS1D_jS1E_S1E_jjS1G_bEUljE0_EEESZ_S10_S11_S18_S1C_S1E_T6_T7_T9_mT8_S1G_bDpT10_ENKUlT_T0_E_clISt17integral_constantIbLb1EES1T_IbLb0EEEEDaS1P_S1Q_EUlS1P_E_NS1_11comp_targetILNS1_3genE8ELNS1_11target_archE1030ELNS1_3gpuE2ELNS1_3repE0EEENS1_30default_config_static_selectorELNS0_4arch9wavefront6targetE0EEEvS12_.num_named_barrier, 0
	.set _ZN7rocprim17ROCPRIM_400000_NS6detail17trampoline_kernelINS0_13select_configILj256ELj13ELNS0_17block_load_methodE3ELS4_3ELS4_3ELNS0_20block_scan_algorithmE0ELj4294967295EEENS1_25partition_config_selectorILNS1_17partition_subalgoE4EjNS0_10empty_typeEbEEZZNS1_14partition_implILS8_4ELb0ES6_15HIP_vector_typeIjLj2EENS0_17counting_iteratorIjlEEPS9_SG_NS0_5tupleIJPjSI_NS0_16reverse_iteratorISI_EEEEENSH_IJSG_SG_SG_EEES9_SI_JZNS1_25segmented_radix_sort_implINS0_14default_configELb0EPKfPfPKlPlN2at6native12_GLOBAL__N_18offset_tEEE10hipError_tPvRmT1_PNSt15iterator_traitsIS12_E10value_typeET2_T3_PNS13_IS18_E10value_typeET4_jRbjT5_S1E_jjP12ihipStream_tbEUljE_ZNSN_ISO_Lb0ESQ_SR_ST_SU_SY_EESZ_S10_S11_S12_S16_S17_S18_S1B_S1C_jS1D_jS1E_S1E_jjS1G_bEUljE0_EEESZ_S10_S11_S18_S1C_S1E_T6_T7_T9_mT8_S1G_bDpT10_ENKUlT_T0_E_clISt17integral_constantIbLb1EES1T_IbLb0EEEEDaS1P_S1Q_EUlS1P_E_NS1_11comp_targetILNS1_3genE8ELNS1_11target_archE1030ELNS1_3gpuE2ELNS1_3repE0EEENS1_30default_config_static_selectorELNS0_4arch9wavefront6targetE0EEEvS12_.private_seg_size, 0
	.set _ZN7rocprim17ROCPRIM_400000_NS6detail17trampoline_kernelINS0_13select_configILj256ELj13ELNS0_17block_load_methodE3ELS4_3ELS4_3ELNS0_20block_scan_algorithmE0ELj4294967295EEENS1_25partition_config_selectorILNS1_17partition_subalgoE4EjNS0_10empty_typeEbEEZZNS1_14partition_implILS8_4ELb0ES6_15HIP_vector_typeIjLj2EENS0_17counting_iteratorIjlEEPS9_SG_NS0_5tupleIJPjSI_NS0_16reverse_iteratorISI_EEEEENSH_IJSG_SG_SG_EEES9_SI_JZNS1_25segmented_radix_sort_implINS0_14default_configELb0EPKfPfPKlPlN2at6native12_GLOBAL__N_18offset_tEEE10hipError_tPvRmT1_PNSt15iterator_traitsIS12_E10value_typeET2_T3_PNS13_IS18_E10value_typeET4_jRbjT5_S1E_jjP12ihipStream_tbEUljE_ZNSN_ISO_Lb0ESQ_SR_ST_SU_SY_EESZ_S10_S11_S12_S16_S17_S18_S1B_S1C_jS1D_jS1E_S1E_jjS1G_bEUljE0_EEESZ_S10_S11_S18_S1C_S1E_T6_T7_T9_mT8_S1G_bDpT10_ENKUlT_T0_E_clISt17integral_constantIbLb1EES1T_IbLb0EEEEDaS1P_S1Q_EUlS1P_E_NS1_11comp_targetILNS1_3genE8ELNS1_11target_archE1030ELNS1_3gpuE2ELNS1_3repE0EEENS1_30default_config_static_selectorELNS0_4arch9wavefront6targetE0EEEvS12_.uses_vcc, 0
	.set _ZN7rocprim17ROCPRIM_400000_NS6detail17trampoline_kernelINS0_13select_configILj256ELj13ELNS0_17block_load_methodE3ELS4_3ELS4_3ELNS0_20block_scan_algorithmE0ELj4294967295EEENS1_25partition_config_selectorILNS1_17partition_subalgoE4EjNS0_10empty_typeEbEEZZNS1_14partition_implILS8_4ELb0ES6_15HIP_vector_typeIjLj2EENS0_17counting_iteratorIjlEEPS9_SG_NS0_5tupleIJPjSI_NS0_16reverse_iteratorISI_EEEEENSH_IJSG_SG_SG_EEES9_SI_JZNS1_25segmented_radix_sort_implINS0_14default_configELb0EPKfPfPKlPlN2at6native12_GLOBAL__N_18offset_tEEE10hipError_tPvRmT1_PNSt15iterator_traitsIS12_E10value_typeET2_T3_PNS13_IS18_E10value_typeET4_jRbjT5_S1E_jjP12ihipStream_tbEUljE_ZNSN_ISO_Lb0ESQ_SR_ST_SU_SY_EESZ_S10_S11_S12_S16_S17_S18_S1B_S1C_jS1D_jS1E_S1E_jjS1G_bEUljE0_EEESZ_S10_S11_S18_S1C_S1E_T6_T7_T9_mT8_S1G_bDpT10_ENKUlT_T0_E_clISt17integral_constantIbLb1EES1T_IbLb0EEEEDaS1P_S1Q_EUlS1P_E_NS1_11comp_targetILNS1_3genE8ELNS1_11target_archE1030ELNS1_3gpuE2ELNS1_3repE0EEENS1_30default_config_static_selectorELNS0_4arch9wavefront6targetE0EEEvS12_.uses_flat_scratch, 0
	.set _ZN7rocprim17ROCPRIM_400000_NS6detail17trampoline_kernelINS0_13select_configILj256ELj13ELNS0_17block_load_methodE3ELS4_3ELS4_3ELNS0_20block_scan_algorithmE0ELj4294967295EEENS1_25partition_config_selectorILNS1_17partition_subalgoE4EjNS0_10empty_typeEbEEZZNS1_14partition_implILS8_4ELb0ES6_15HIP_vector_typeIjLj2EENS0_17counting_iteratorIjlEEPS9_SG_NS0_5tupleIJPjSI_NS0_16reverse_iteratorISI_EEEEENSH_IJSG_SG_SG_EEES9_SI_JZNS1_25segmented_radix_sort_implINS0_14default_configELb0EPKfPfPKlPlN2at6native12_GLOBAL__N_18offset_tEEE10hipError_tPvRmT1_PNSt15iterator_traitsIS12_E10value_typeET2_T3_PNS13_IS18_E10value_typeET4_jRbjT5_S1E_jjP12ihipStream_tbEUljE_ZNSN_ISO_Lb0ESQ_SR_ST_SU_SY_EESZ_S10_S11_S12_S16_S17_S18_S1B_S1C_jS1D_jS1E_S1E_jjS1G_bEUljE0_EEESZ_S10_S11_S18_S1C_S1E_T6_T7_T9_mT8_S1G_bDpT10_ENKUlT_T0_E_clISt17integral_constantIbLb1EES1T_IbLb0EEEEDaS1P_S1Q_EUlS1P_E_NS1_11comp_targetILNS1_3genE8ELNS1_11target_archE1030ELNS1_3gpuE2ELNS1_3repE0EEENS1_30default_config_static_selectorELNS0_4arch9wavefront6targetE0EEEvS12_.has_dyn_sized_stack, 0
	.set _ZN7rocprim17ROCPRIM_400000_NS6detail17trampoline_kernelINS0_13select_configILj256ELj13ELNS0_17block_load_methodE3ELS4_3ELS4_3ELNS0_20block_scan_algorithmE0ELj4294967295EEENS1_25partition_config_selectorILNS1_17partition_subalgoE4EjNS0_10empty_typeEbEEZZNS1_14partition_implILS8_4ELb0ES6_15HIP_vector_typeIjLj2EENS0_17counting_iteratorIjlEEPS9_SG_NS0_5tupleIJPjSI_NS0_16reverse_iteratorISI_EEEEENSH_IJSG_SG_SG_EEES9_SI_JZNS1_25segmented_radix_sort_implINS0_14default_configELb0EPKfPfPKlPlN2at6native12_GLOBAL__N_18offset_tEEE10hipError_tPvRmT1_PNSt15iterator_traitsIS12_E10value_typeET2_T3_PNS13_IS18_E10value_typeET4_jRbjT5_S1E_jjP12ihipStream_tbEUljE_ZNSN_ISO_Lb0ESQ_SR_ST_SU_SY_EESZ_S10_S11_S12_S16_S17_S18_S1B_S1C_jS1D_jS1E_S1E_jjS1G_bEUljE0_EEESZ_S10_S11_S18_S1C_S1E_T6_T7_T9_mT8_S1G_bDpT10_ENKUlT_T0_E_clISt17integral_constantIbLb1EES1T_IbLb0EEEEDaS1P_S1Q_EUlS1P_E_NS1_11comp_targetILNS1_3genE8ELNS1_11target_archE1030ELNS1_3gpuE2ELNS1_3repE0EEENS1_30default_config_static_selectorELNS0_4arch9wavefront6targetE0EEEvS12_.has_recursion, 0
	.set _ZN7rocprim17ROCPRIM_400000_NS6detail17trampoline_kernelINS0_13select_configILj256ELj13ELNS0_17block_load_methodE3ELS4_3ELS4_3ELNS0_20block_scan_algorithmE0ELj4294967295EEENS1_25partition_config_selectorILNS1_17partition_subalgoE4EjNS0_10empty_typeEbEEZZNS1_14partition_implILS8_4ELb0ES6_15HIP_vector_typeIjLj2EENS0_17counting_iteratorIjlEEPS9_SG_NS0_5tupleIJPjSI_NS0_16reverse_iteratorISI_EEEEENSH_IJSG_SG_SG_EEES9_SI_JZNS1_25segmented_radix_sort_implINS0_14default_configELb0EPKfPfPKlPlN2at6native12_GLOBAL__N_18offset_tEEE10hipError_tPvRmT1_PNSt15iterator_traitsIS12_E10value_typeET2_T3_PNS13_IS18_E10value_typeET4_jRbjT5_S1E_jjP12ihipStream_tbEUljE_ZNSN_ISO_Lb0ESQ_SR_ST_SU_SY_EESZ_S10_S11_S12_S16_S17_S18_S1B_S1C_jS1D_jS1E_S1E_jjS1G_bEUljE0_EEESZ_S10_S11_S18_S1C_S1E_T6_T7_T9_mT8_S1G_bDpT10_ENKUlT_T0_E_clISt17integral_constantIbLb1EES1T_IbLb0EEEEDaS1P_S1Q_EUlS1P_E_NS1_11comp_targetILNS1_3genE8ELNS1_11target_archE1030ELNS1_3gpuE2ELNS1_3repE0EEENS1_30default_config_static_selectorELNS0_4arch9wavefront6targetE0EEEvS12_.has_indirect_call, 0
	.section	.AMDGPU.csdata,"",@progbits
; Kernel info:
; codeLenInByte = 0
; TotalNumSgprs: 0
; NumVgprs: 0
; ScratchSize: 0
; MemoryBound: 0
; FloatMode: 240
; IeeeMode: 1
; LDSByteSize: 0 bytes/workgroup (compile time only)
; SGPRBlocks: 0
; VGPRBlocks: 0
; NumSGPRsForWavesPerEU: 1
; NumVGPRsForWavesPerEU: 1
; NamedBarCnt: 0
; Occupancy: 16
; WaveLimiterHint : 0
; COMPUTE_PGM_RSRC2:SCRATCH_EN: 0
; COMPUTE_PGM_RSRC2:USER_SGPR: 2
; COMPUTE_PGM_RSRC2:TRAP_HANDLER: 0
; COMPUTE_PGM_RSRC2:TGID_X_EN: 1
; COMPUTE_PGM_RSRC2:TGID_Y_EN: 0
; COMPUTE_PGM_RSRC2:TGID_Z_EN: 0
; COMPUTE_PGM_RSRC2:TIDIG_COMP_CNT: 0
	.section	.text._ZN7rocprim17ROCPRIM_400000_NS6detail17trampoline_kernelINS0_13select_configILj256ELj13ELNS0_17block_load_methodE3ELS4_3ELS4_3ELNS0_20block_scan_algorithmE0ELj4294967295EEENS1_25partition_config_selectorILNS1_17partition_subalgoE4EjNS0_10empty_typeEbEEZZNS1_14partition_implILS8_4ELb0ES6_15HIP_vector_typeIjLj2EENS0_17counting_iteratorIjlEEPS9_SG_NS0_5tupleIJPjSI_NS0_16reverse_iteratorISI_EEEEENSH_IJSG_SG_SG_EEES9_SI_JZNS1_25segmented_radix_sort_implINS0_14default_configELb0EPKfPfPKlPlN2at6native12_GLOBAL__N_18offset_tEEE10hipError_tPvRmT1_PNSt15iterator_traitsIS12_E10value_typeET2_T3_PNS13_IS18_E10value_typeET4_jRbjT5_S1E_jjP12ihipStream_tbEUljE_ZNSN_ISO_Lb0ESQ_SR_ST_SU_SY_EESZ_S10_S11_S12_S16_S17_S18_S1B_S1C_jS1D_jS1E_S1E_jjS1G_bEUljE0_EEESZ_S10_S11_S18_S1C_S1E_T6_T7_T9_mT8_S1G_bDpT10_ENKUlT_T0_E_clISt17integral_constantIbLb0EES1T_IbLb1EEEEDaS1P_S1Q_EUlS1P_E_NS1_11comp_targetILNS1_3genE0ELNS1_11target_archE4294967295ELNS1_3gpuE0ELNS1_3repE0EEENS1_30default_config_static_selectorELNS0_4arch9wavefront6targetE0EEEvS12_,"axG",@progbits,_ZN7rocprim17ROCPRIM_400000_NS6detail17trampoline_kernelINS0_13select_configILj256ELj13ELNS0_17block_load_methodE3ELS4_3ELS4_3ELNS0_20block_scan_algorithmE0ELj4294967295EEENS1_25partition_config_selectorILNS1_17partition_subalgoE4EjNS0_10empty_typeEbEEZZNS1_14partition_implILS8_4ELb0ES6_15HIP_vector_typeIjLj2EENS0_17counting_iteratorIjlEEPS9_SG_NS0_5tupleIJPjSI_NS0_16reverse_iteratorISI_EEEEENSH_IJSG_SG_SG_EEES9_SI_JZNS1_25segmented_radix_sort_implINS0_14default_configELb0EPKfPfPKlPlN2at6native12_GLOBAL__N_18offset_tEEE10hipError_tPvRmT1_PNSt15iterator_traitsIS12_E10value_typeET2_T3_PNS13_IS18_E10value_typeET4_jRbjT5_S1E_jjP12ihipStream_tbEUljE_ZNSN_ISO_Lb0ESQ_SR_ST_SU_SY_EESZ_S10_S11_S12_S16_S17_S18_S1B_S1C_jS1D_jS1E_S1E_jjS1G_bEUljE0_EEESZ_S10_S11_S18_S1C_S1E_T6_T7_T9_mT8_S1G_bDpT10_ENKUlT_T0_E_clISt17integral_constantIbLb0EES1T_IbLb1EEEEDaS1P_S1Q_EUlS1P_E_NS1_11comp_targetILNS1_3genE0ELNS1_11target_archE4294967295ELNS1_3gpuE0ELNS1_3repE0EEENS1_30default_config_static_selectorELNS0_4arch9wavefront6targetE0EEEvS12_,comdat
	.globl	_ZN7rocprim17ROCPRIM_400000_NS6detail17trampoline_kernelINS0_13select_configILj256ELj13ELNS0_17block_load_methodE3ELS4_3ELS4_3ELNS0_20block_scan_algorithmE0ELj4294967295EEENS1_25partition_config_selectorILNS1_17partition_subalgoE4EjNS0_10empty_typeEbEEZZNS1_14partition_implILS8_4ELb0ES6_15HIP_vector_typeIjLj2EENS0_17counting_iteratorIjlEEPS9_SG_NS0_5tupleIJPjSI_NS0_16reverse_iteratorISI_EEEEENSH_IJSG_SG_SG_EEES9_SI_JZNS1_25segmented_radix_sort_implINS0_14default_configELb0EPKfPfPKlPlN2at6native12_GLOBAL__N_18offset_tEEE10hipError_tPvRmT1_PNSt15iterator_traitsIS12_E10value_typeET2_T3_PNS13_IS18_E10value_typeET4_jRbjT5_S1E_jjP12ihipStream_tbEUljE_ZNSN_ISO_Lb0ESQ_SR_ST_SU_SY_EESZ_S10_S11_S12_S16_S17_S18_S1B_S1C_jS1D_jS1E_S1E_jjS1G_bEUljE0_EEESZ_S10_S11_S18_S1C_S1E_T6_T7_T9_mT8_S1G_bDpT10_ENKUlT_T0_E_clISt17integral_constantIbLb0EES1T_IbLb1EEEEDaS1P_S1Q_EUlS1P_E_NS1_11comp_targetILNS1_3genE0ELNS1_11target_archE4294967295ELNS1_3gpuE0ELNS1_3repE0EEENS1_30default_config_static_selectorELNS0_4arch9wavefront6targetE0EEEvS12_ ; -- Begin function _ZN7rocprim17ROCPRIM_400000_NS6detail17trampoline_kernelINS0_13select_configILj256ELj13ELNS0_17block_load_methodE3ELS4_3ELS4_3ELNS0_20block_scan_algorithmE0ELj4294967295EEENS1_25partition_config_selectorILNS1_17partition_subalgoE4EjNS0_10empty_typeEbEEZZNS1_14partition_implILS8_4ELb0ES6_15HIP_vector_typeIjLj2EENS0_17counting_iteratorIjlEEPS9_SG_NS0_5tupleIJPjSI_NS0_16reverse_iteratorISI_EEEEENSH_IJSG_SG_SG_EEES9_SI_JZNS1_25segmented_radix_sort_implINS0_14default_configELb0EPKfPfPKlPlN2at6native12_GLOBAL__N_18offset_tEEE10hipError_tPvRmT1_PNSt15iterator_traitsIS12_E10value_typeET2_T3_PNS13_IS18_E10value_typeET4_jRbjT5_S1E_jjP12ihipStream_tbEUljE_ZNSN_ISO_Lb0ESQ_SR_ST_SU_SY_EESZ_S10_S11_S12_S16_S17_S18_S1B_S1C_jS1D_jS1E_S1E_jjS1G_bEUljE0_EEESZ_S10_S11_S18_S1C_S1E_T6_T7_T9_mT8_S1G_bDpT10_ENKUlT_T0_E_clISt17integral_constantIbLb0EES1T_IbLb1EEEEDaS1P_S1Q_EUlS1P_E_NS1_11comp_targetILNS1_3genE0ELNS1_11target_archE4294967295ELNS1_3gpuE0ELNS1_3repE0EEENS1_30default_config_static_selectorELNS0_4arch9wavefront6targetE0EEEvS12_
	.p2align	8
	.type	_ZN7rocprim17ROCPRIM_400000_NS6detail17trampoline_kernelINS0_13select_configILj256ELj13ELNS0_17block_load_methodE3ELS4_3ELS4_3ELNS0_20block_scan_algorithmE0ELj4294967295EEENS1_25partition_config_selectorILNS1_17partition_subalgoE4EjNS0_10empty_typeEbEEZZNS1_14partition_implILS8_4ELb0ES6_15HIP_vector_typeIjLj2EENS0_17counting_iteratorIjlEEPS9_SG_NS0_5tupleIJPjSI_NS0_16reverse_iteratorISI_EEEEENSH_IJSG_SG_SG_EEES9_SI_JZNS1_25segmented_radix_sort_implINS0_14default_configELb0EPKfPfPKlPlN2at6native12_GLOBAL__N_18offset_tEEE10hipError_tPvRmT1_PNSt15iterator_traitsIS12_E10value_typeET2_T3_PNS13_IS18_E10value_typeET4_jRbjT5_S1E_jjP12ihipStream_tbEUljE_ZNSN_ISO_Lb0ESQ_SR_ST_SU_SY_EESZ_S10_S11_S12_S16_S17_S18_S1B_S1C_jS1D_jS1E_S1E_jjS1G_bEUljE0_EEESZ_S10_S11_S18_S1C_S1E_T6_T7_T9_mT8_S1G_bDpT10_ENKUlT_T0_E_clISt17integral_constantIbLb0EES1T_IbLb1EEEEDaS1P_S1Q_EUlS1P_E_NS1_11comp_targetILNS1_3genE0ELNS1_11target_archE4294967295ELNS1_3gpuE0ELNS1_3repE0EEENS1_30default_config_static_selectorELNS0_4arch9wavefront6targetE0EEEvS12_,@function
_ZN7rocprim17ROCPRIM_400000_NS6detail17trampoline_kernelINS0_13select_configILj256ELj13ELNS0_17block_load_methodE3ELS4_3ELS4_3ELNS0_20block_scan_algorithmE0ELj4294967295EEENS1_25partition_config_selectorILNS1_17partition_subalgoE4EjNS0_10empty_typeEbEEZZNS1_14partition_implILS8_4ELb0ES6_15HIP_vector_typeIjLj2EENS0_17counting_iteratorIjlEEPS9_SG_NS0_5tupleIJPjSI_NS0_16reverse_iteratorISI_EEEEENSH_IJSG_SG_SG_EEES9_SI_JZNS1_25segmented_radix_sort_implINS0_14default_configELb0EPKfPfPKlPlN2at6native12_GLOBAL__N_18offset_tEEE10hipError_tPvRmT1_PNSt15iterator_traitsIS12_E10value_typeET2_T3_PNS13_IS18_E10value_typeET4_jRbjT5_S1E_jjP12ihipStream_tbEUljE_ZNSN_ISO_Lb0ESQ_SR_ST_SU_SY_EESZ_S10_S11_S12_S16_S17_S18_S1B_S1C_jS1D_jS1E_S1E_jjS1G_bEUljE0_EEESZ_S10_S11_S18_S1C_S1E_T6_T7_T9_mT8_S1G_bDpT10_ENKUlT_T0_E_clISt17integral_constantIbLb0EES1T_IbLb1EEEEDaS1P_S1Q_EUlS1P_E_NS1_11comp_targetILNS1_3genE0ELNS1_11target_archE4294967295ELNS1_3gpuE0ELNS1_3repE0EEENS1_30default_config_static_selectorELNS0_4arch9wavefront6targetE0EEEvS12_: ; @_ZN7rocprim17ROCPRIM_400000_NS6detail17trampoline_kernelINS0_13select_configILj256ELj13ELNS0_17block_load_methodE3ELS4_3ELS4_3ELNS0_20block_scan_algorithmE0ELj4294967295EEENS1_25partition_config_selectorILNS1_17partition_subalgoE4EjNS0_10empty_typeEbEEZZNS1_14partition_implILS8_4ELb0ES6_15HIP_vector_typeIjLj2EENS0_17counting_iteratorIjlEEPS9_SG_NS0_5tupleIJPjSI_NS0_16reverse_iteratorISI_EEEEENSH_IJSG_SG_SG_EEES9_SI_JZNS1_25segmented_radix_sort_implINS0_14default_configELb0EPKfPfPKlPlN2at6native12_GLOBAL__N_18offset_tEEE10hipError_tPvRmT1_PNSt15iterator_traitsIS12_E10value_typeET2_T3_PNS13_IS18_E10value_typeET4_jRbjT5_S1E_jjP12ihipStream_tbEUljE_ZNSN_ISO_Lb0ESQ_SR_ST_SU_SY_EESZ_S10_S11_S12_S16_S17_S18_S1B_S1C_jS1D_jS1E_S1E_jjS1G_bEUljE0_EEESZ_S10_S11_S18_S1C_S1E_T6_T7_T9_mT8_S1G_bDpT10_ENKUlT_T0_E_clISt17integral_constantIbLb0EES1T_IbLb1EEEEDaS1P_S1Q_EUlS1P_E_NS1_11comp_targetILNS1_3genE0ELNS1_11target_archE4294967295ELNS1_3gpuE0ELNS1_3repE0EEENS1_30default_config_static_selectorELNS0_4arch9wavefront6targetE0EEEvS12_
; %bb.0:
	s_clause 0x7
	s_load_b64 s[34:35], s[0:1], 0x10
	s_load_b128 s[28:31], s[0:1], 0x28
	s_load_b64 s[14:15], s[0:1], 0x38
	s_load_b128 s[24:27], s[0:1], 0x58
	s_load_b64 s[4:5], s[0:1], 0x68
	s_load_b64 s[36:37], s[0:1], 0x78
	;; [unrolled: 1-line block ×3, first 2 shown]
	s_load_b256 s[16:23], s[0:1], 0x90
	v_cmp_eq_u32_e64 s2, 0, v0
	s_and_saveexec_b32 s3, s2
	s_cbranch_execz .LBB1381_4
; %bb.1:
	s_mov_b32 s7, exec_lo
	s_mov_b32 s6, exec_lo
	v_mbcnt_lo_u32_b32 v1, s7, 0
                                        ; implicit-def: $vgpr2
	s_delay_alu instid0(VALU_DEP_1)
	v_cmpx_eq_u32_e32 0, v1
	s_cbranch_execz .LBB1381_3
; %bb.2:
	s_load_b64 s[8:9], s[0:1], 0x88
	s_bcnt1_i32_b32 s7, s7
	s_delay_alu instid0(SALU_CYCLE_1)
	v_dual_mov_b32 v2, 0 :: v_dual_mov_b32 v3, s7
	s_wait_xcnt 0x0
	s_wait_kmcnt 0x0
	global_atomic_add_u32 v2, v2, v3, s[8:9] th:TH_ATOMIC_RETURN scope:SCOPE_DEV
.LBB1381_3:
	s_wait_xcnt 0x0
	s_or_b32 exec_lo, exec_lo, s6
	s_wait_loadcnt 0x0
	v_readfirstlane_b32 s6, v2
	s_delay_alu instid0(VALU_DEP_1)
	v_dual_mov_b32 v2, 0 :: v_dual_add_nc_u32 v1, s6, v1
	ds_store_b32 v2, v1
.LBB1381_4:
	s_or_b32 exec_lo, exec_lo, s3
	v_mov_b32_e32 v1, 0
	s_clause 0x1
	s_load_b32 s3, s[0:1], 0x8
	s_load_b32 s6, s[0:1], 0x80
	s_wait_dscnt 0x0
	s_barrier_signal -1
	s_barrier_wait -1
	ds_load_b32 v6, v1
	s_wait_dscnt 0x0
	s_barrier_signal -1
	s_barrier_wait -1
	s_wait_kmcnt 0x0
	global_load_b128 v[2:5], v1, s[26:27]
	s_mov_b32 s1, 0
	s_add_co_i32 s3, s3, s34
	s_mul_i32 s0, s6, 0xd00
	s_add_co_i32 s6, s6, -1
	s_add_nc_u64 s[8:9], s[34:35], s[0:1]
	s_delay_alu instid0(SALU_CYCLE_1)
	v_cmp_gt_u64_e64 s1, s[4:5], s[8:9]
	v_mul_lo_u32 v14, 0xd00, v6
	s_wait_xcnt 0x0
	v_readfirstlane_b32 s27, v6
	v_cmp_ne_u32_e32 vcc_lo, s6, v6
	s_cmp_eq_u32 s27, s6
	s_cselect_b32 s26, -1, 0
	s_or_b32 s1, s1, vcc_lo
	v_add3_u32 v1, v14, s3, v0
	s_and_b32 vcc_lo, exec_lo, s1
	s_mov_b32 s3, -1
	s_delay_alu instid0(VALU_DEP_1)
	v_add_nc_u32_e32 v6, 0x100, v1
	v_add_nc_u32_e32 v7, 0x200, v1
	;; [unrolled: 1-line block ×12, first 2 shown]
	s_cbranch_vccz .LBB1381_6
; %bb.5:
	v_lshlrev_b32_e32 v19, 2, v0
	s_mov_b32 s3, 0
	ds_store_2addr_stride64_b32 v19, v1, v6 offset1:4
	ds_store_2addr_stride64_b32 v19, v7, v8 offset0:8 offset1:12
	ds_store_2addr_stride64_b32 v19, v9, v10 offset0:16 offset1:20
	;; [unrolled: 1-line block ×5, first 2 shown]
	ds_store_b32 v19, v18 offset:12288
	s_wait_loadcnt_dscnt 0x0
	s_barrier_signal -1
	s_barrier_wait -1
.LBB1381_6:
	s_and_not1_b32 vcc_lo, exec_lo, s3
	s_add_co_i32 s0, s0, s34
	s_cbranch_vccnz .LBB1381_8
; %bb.7:
	v_lshlrev_b32_e32 v19, 2, v0
	ds_store_2addr_stride64_b32 v19, v1, v6 offset1:4
	ds_store_2addr_stride64_b32 v19, v7, v8 offset0:8 offset1:12
	ds_store_2addr_stride64_b32 v19, v9, v10 offset0:16 offset1:20
	;; [unrolled: 1-line block ×5, first 2 shown]
	ds_store_b32 v19, v18 offset:12288
	s_wait_loadcnt_dscnt 0x0
	s_barrier_signal -1
	s_barrier_wait -1
.LBB1381_8:
	v_mul_u32_u24_e32 v15, 13, v0
	s_wait_loadcnt 0x0
	v_cndmask_b32_e64 v35, 0, 1, s1
	s_sub_co_i32 s33, s4, s0
	s_and_not1_b32 vcc_lo, exec_lo, s1
	v_lshlrev_b32_e32 v1, 2, v15
	ds_load_b32 v34, v1 offset:48
	ds_load_2addr_b32 v[16:17], v1 offset0:10 offset1:11
	ds_load_2addr_b32 v[18:19], v1 offset0:8 offset1:9
	;; [unrolled: 1-line block ×4, first 2 shown]
	ds_load_2addr_b32 v[26:27], v1 offset1:1
	ds_load_2addr_b32 v[24:25], v1 offset0:2 offset1:3
	s_wait_dscnt 0x0
	s_barrier_signal -1
	s_barrier_wait -1
	s_cbranch_vccnz .LBB1381_36
; %bb.9:
	v_dual_add_nc_u32 v1, s17, v26 :: v_dual_add_nc_u32 v6, s19, v26
	s_mov_b32 s41, 0
	s_mov_b32 s40, 0
	s_mov_b32 s1, exec_lo
	s_delay_alu instid0(VALU_DEP_1) | instskip(SKIP_1) | instid1(VALU_DEP_1)
	v_mul_lo_u32 v1, v1, s16
	v_mul_lo_u32 v6, v6, s18
	v_sub_nc_u32_e32 v1, v1, v6
	s_delay_alu instid0(VALU_DEP_1)
	v_cmp_lt_u32_e32 vcc_lo, s20, v1
	v_cmpx_ge_u32_e64 s20, v1
	s_cbranch_execz .LBB1381_11
; %bb.10:
	v_dual_add_nc_u32 v1, s22, v26 :: v_dual_add_nc_u32 v6, s38, v26
	s_delay_alu instid0(VALU_DEP_1) | instskip(NEXT) | instid1(VALU_DEP_2)
	v_mul_lo_u32 v1, v1, s21
	v_mul_lo_u32 v6, v6, s23
	s_delay_alu instid0(VALU_DEP_1) | instskip(NEXT) | instid1(VALU_DEP_1)
	v_sub_nc_u32_e32 v1, v1, v6
	v_cmp_lt_u32_e64 s0, s39, v1
	s_and_b32 s40, s0, exec_lo
.LBB1381_11:
	s_or_b32 exec_lo, exec_lo, s1
	v_dual_add_nc_u32 v1, s17, v27 :: v_dual_add_nc_u32 v6, s19, v27
	s_mov_b32 s3, exec_lo
	s_delay_alu instid0(VALU_DEP_1) | instskip(NEXT) | instid1(VALU_DEP_2)
	v_mul_lo_u32 v1, v1, s16
	v_mul_lo_u32 v6, v6, s18
	s_delay_alu instid0(VALU_DEP_1) | instskip(NEXT) | instid1(VALU_DEP_1)
	v_sub_nc_u32_e32 v1, v1, v6
	v_cmp_lt_u32_e64 s0, s20, v1
	v_cmpx_ge_u32_e64 s20, v1
	s_cbranch_execz .LBB1381_13
; %bb.12:
	v_dual_add_nc_u32 v1, s22, v27 :: v_dual_add_nc_u32 v6, s38, v27
	s_delay_alu instid0(VALU_DEP_1) | instskip(NEXT) | instid1(VALU_DEP_2)
	v_mul_lo_u32 v1, v1, s21
	v_mul_lo_u32 v6, v6, s23
	s_delay_alu instid0(VALU_DEP_1) | instskip(NEXT) | instid1(VALU_DEP_1)
	v_sub_nc_u32_e32 v1, v1, v6
	v_cmp_lt_u32_e64 s1, s39, v1
	s_and_b32 s41, s1, exec_lo
.LBB1381_13:
	s_or_b32 exec_lo, exec_lo, s3
	v_dual_add_nc_u32 v1, s17, v24 :: v_dual_add_nc_u32 v6, s19, v24
	s_mov_b32 s43, 0
	s_mov_b32 s42, 0
	s_mov_b32 s4, exec_lo
	s_delay_alu instid0(VALU_DEP_1) | instskip(SKIP_1) | instid1(VALU_DEP_1)
	v_mul_lo_u32 v1, v1, s16
	v_mul_lo_u32 v6, v6, s18
	v_sub_nc_u32_e32 v1, v1, v6
	s_delay_alu instid0(VALU_DEP_1)
	v_cmp_lt_u32_e64 s1, s20, v1
	v_cmpx_ge_u32_e64 s20, v1
	s_cbranch_execz .LBB1381_15
; %bb.14:
	v_dual_add_nc_u32 v1, s22, v24 :: v_dual_add_nc_u32 v6, s38, v24
	s_delay_alu instid0(VALU_DEP_1) | instskip(NEXT) | instid1(VALU_DEP_2)
	v_mul_lo_u32 v1, v1, s21
	v_mul_lo_u32 v6, v6, s23
	s_delay_alu instid0(VALU_DEP_1) | instskip(NEXT) | instid1(VALU_DEP_1)
	v_sub_nc_u32_e32 v1, v1, v6
	v_cmp_lt_u32_e64 s3, s39, v1
	s_and_b32 s42, s3, exec_lo
.LBB1381_15:
	s_or_b32 exec_lo, exec_lo, s4
	v_dual_add_nc_u32 v1, s17, v25 :: v_dual_add_nc_u32 v6, s19, v25
	s_mov_b32 s5, exec_lo
	s_delay_alu instid0(VALU_DEP_1) | instskip(NEXT) | instid1(VALU_DEP_2)
	v_mul_lo_u32 v1, v1, s16
	v_mul_lo_u32 v6, v6, s18
	s_delay_alu instid0(VALU_DEP_1) | instskip(NEXT) | instid1(VALU_DEP_1)
	v_sub_nc_u32_e32 v1, v1, v6
	v_cmp_lt_u32_e64 s3, s20, v1
	v_cmpx_ge_u32_e64 s20, v1
	s_cbranch_execz .LBB1381_17
; %bb.16:
	v_dual_add_nc_u32 v1, s22, v25 :: v_dual_add_nc_u32 v6, s38, v25
	s_delay_alu instid0(VALU_DEP_1) | instskip(NEXT) | instid1(VALU_DEP_2)
	v_mul_lo_u32 v1, v1, s21
	v_mul_lo_u32 v6, v6, s23
	s_delay_alu instid0(VALU_DEP_1) | instskip(NEXT) | instid1(VALU_DEP_1)
	v_sub_nc_u32_e32 v1, v1, v6
	v_cmp_lt_u32_e64 s4, s39, v1
	s_and_b32 s43, s4, exec_lo
.LBB1381_17:
	s_or_b32 exec_lo, exec_lo, s5
	v_dual_add_nc_u32 v1, s17, v22 :: v_dual_add_nc_u32 v6, s19, v22
	s_mov_b32 s45, 0
	s_mov_b32 s44, 0
	s_mov_b32 s6, exec_lo
	s_delay_alu instid0(VALU_DEP_1) | instskip(SKIP_1) | instid1(VALU_DEP_1)
	v_mul_lo_u32 v1, v1, s16
	v_mul_lo_u32 v6, v6, s18
	v_sub_nc_u32_e32 v1, v1, v6
	s_delay_alu instid0(VALU_DEP_1)
	v_cmp_lt_u32_e64 s4, s20, v1
	v_cmpx_ge_u32_e64 s20, v1
	s_cbranch_execz .LBB1381_19
; %bb.18:
	v_dual_add_nc_u32 v1, s22, v22 :: v_dual_add_nc_u32 v6, s38, v22
	s_delay_alu instid0(VALU_DEP_1) | instskip(NEXT) | instid1(VALU_DEP_2)
	v_mul_lo_u32 v1, v1, s21
	v_mul_lo_u32 v6, v6, s23
	s_delay_alu instid0(VALU_DEP_1) | instskip(NEXT) | instid1(VALU_DEP_1)
	v_sub_nc_u32_e32 v1, v1, v6
	v_cmp_lt_u32_e64 s5, s39, v1
	s_and_b32 s44, s5, exec_lo
.LBB1381_19:
	s_or_b32 exec_lo, exec_lo, s6
	v_dual_add_nc_u32 v1, s17, v23 :: v_dual_add_nc_u32 v6, s19, v23
	s_mov_b32 s7, exec_lo
	s_delay_alu instid0(VALU_DEP_1) | instskip(NEXT) | instid1(VALU_DEP_2)
	v_mul_lo_u32 v1, v1, s16
	v_mul_lo_u32 v6, v6, s18
	s_delay_alu instid0(VALU_DEP_1) | instskip(NEXT) | instid1(VALU_DEP_1)
	v_sub_nc_u32_e32 v1, v1, v6
	v_cmp_lt_u32_e64 s5, s20, v1
	v_cmpx_ge_u32_e64 s20, v1
	s_cbranch_execz .LBB1381_21
; %bb.20:
	v_dual_add_nc_u32 v1, s22, v23 :: v_dual_add_nc_u32 v6, s38, v23
	s_delay_alu instid0(VALU_DEP_1) | instskip(NEXT) | instid1(VALU_DEP_2)
	v_mul_lo_u32 v1, v1, s21
	v_mul_lo_u32 v6, v6, s23
	s_delay_alu instid0(VALU_DEP_1) | instskip(NEXT) | instid1(VALU_DEP_1)
	v_sub_nc_u32_e32 v1, v1, v6
	v_cmp_lt_u32_e64 s6, s39, v1
	s_and_b32 s45, s6, exec_lo
.LBB1381_21:
	s_or_b32 exec_lo, exec_lo, s7
	v_dual_add_nc_u32 v1, s17, v20 :: v_dual_add_nc_u32 v6, s19, v20
	s_mov_b32 s47, 0
	s_mov_b32 s46, 0
	s_mov_b32 s8, exec_lo
	s_delay_alu instid0(VALU_DEP_1) | instskip(SKIP_1) | instid1(VALU_DEP_1)
	v_mul_lo_u32 v1, v1, s16
	v_mul_lo_u32 v6, v6, s18
	v_sub_nc_u32_e32 v1, v1, v6
	s_delay_alu instid0(VALU_DEP_1)
	v_cmp_lt_u32_e64 s6, s20, v1
	v_cmpx_ge_u32_e64 s20, v1
	s_cbranch_execz .LBB1381_23
; %bb.22:
	v_dual_add_nc_u32 v1, s22, v20 :: v_dual_add_nc_u32 v6, s38, v20
	s_delay_alu instid0(VALU_DEP_1) | instskip(NEXT) | instid1(VALU_DEP_2)
	v_mul_lo_u32 v1, v1, s21
	v_mul_lo_u32 v6, v6, s23
	s_delay_alu instid0(VALU_DEP_1) | instskip(NEXT) | instid1(VALU_DEP_1)
	v_sub_nc_u32_e32 v1, v1, v6
	v_cmp_lt_u32_e64 s7, s39, v1
	s_and_b32 s46, s7, exec_lo
.LBB1381_23:
	s_or_b32 exec_lo, exec_lo, s8
	v_dual_add_nc_u32 v1, s17, v21 :: v_dual_add_nc_u32 v6, s19, v21
	s_mov_b32 s9, exec_lo
	s_delay_alu instid0(VALU_DEP_1) | instskip(NEXT) | instid1(VALU_DEP_2)
	v_mul_lo_u32 v1, v1, s16
	v_mul_lo_u32 v6, v6, s18
	s_delay_alu instid0(VALU_DEP_1) | instskip(NEXT) | instid1(VALU_DEP_1)
	v_sub_nc_u32_e32 v1, v1, v6
	v_cmp_lt_u32_e64 s7, s20, v1
	v_cmpx_ge_u32_e64 s20, v1
	s_cbranch_execz .LBB1381_25
; %bb.24:
	v_dual_add_nc_u32 v1, s22, v21 :: v_dual_add_nc_u32 v6, s38, v21
	s_delay_alu instid0(VALU_DEP_1) | instskip(NEXT) | instid1(VALU_DEP_2)
	v_mul_lo_u32 v1, v1, s21
	v_mul_lo_u32 v6, v6, s23
	s_delay_alu instid0(VALU_DEP_1) | instskip(NEXT) | instid1(VALU_DEP_1)
	v_sub_nc_u32_e32 v1, v1, v6
	v_cmp_lt_u32_e64 s8, s39, v1
	s_and_b32 s47, s8, exec_lo
.LBB1381_25:
	s_or_b32 exec_lo, exec_lo, s9
	v_dual_add_nc_u32 v1, s17, v18 :: v_dual_add_nc_u32 v6, s19, v18
	s_mov_b32 s50, 0
	s_mov_b32 s49, 0
	s_mov_b32 s10, exec_lo
	s_delay_alu instid0(VALU_DEP_1) | instskip(SKIP_1) | instid1(VALU_DEP_1)
	v_mul_lo_u32 v1, v1, s16
	v_mul_lo_u32 v6, v6, s18
	v_sub_nc_u32_e32 v1, v1, v6
	s_delay_alu instid0(VALU_DEP_1)
	v_cmp_lt_u32_e64 s8, s20, v1
	v_cmpx_ge_u32_e64 s20, v1
	s_cbranch_execz .LBB1381_27
; %bb.26:
	v_dual_add_nc_u32 v1, s22, v18 :: v_dual_add_nc_u32 v6, s38, v18
	s_delay_alu instid0(VALU_DEP_1) | instskip(NEXT) | instid1(VALU_DEP_2)
	v_mul_lo_u32 v1, v1, s21
	v_mul_lo_u32 v6, v6, s23
	s_delay_alu instid0(VALU_DEP_1) | instskip(NEXT) | instid1(VALU_DEP_1)
	v_sub_nc_u32_e32 v1, v1, v6
	v_cmp_lt_u32_e64 s9, s39, v1
	s_and_b32 s49, s9, exec_lo
.LBB1381_27:
	s_or_b32 exec_lo, exec_lo, s10
	v_dual_add_nc_u32 v1, s17, v19 :: v_dual_add_nc_u32 v6, s19, v19
	s_mov_b32 s11, exec_lo
	s_delay_alu instid0(VALU_DEP_1) | instskip(NEXT) | instid1(VALU_DEP_2)
	v_mul_lo_u32 v1, v1, s16
	v_mul_lo_u32 v6, v6, s18
	s_delay_alu instid0(VALU_DEP_1) | instskip(NEXT) | instid1(VALU_DEP_1)
	v_sub_nc_u32_e32 v1, v1, v6
	v_cmp_lt_u32_e64 s9, s20, v1
	v_cmpx_ge_u32_e64 s20, v1
	s_cbranch_execz .LBB1381_29
; %bb.28:
	v_dual_add_nc_u32 v1, s22, v19 :: v_dual_add_nc_u32 v6, s38, v19
	s_delay_alu instid0(VALU_DEP_1) | instskip(NEXT) | instid1(VALU_DEP_2)
	v_mul_lo_u32 v1, v1, s21
	v_mul_lo_u32 v6, v6, s23
	s_delay_alu instid0(VALU_DEP_1) | instskip(NEXT) | instid1(VALU_DEP_1)
	v_sub_nc_u32_e32 v1, v1, v6
	v_cmp_lt_u32_e64 s10, s39, v1
	s_and_b32 s50, s10, exec_lo
.LBB1381_29:
	s_or_b32 exec_lo, exec_lo, s11
	v_dual_add_nc_u32 v1, s17, v16 :: v_dual_add_nc_u32 v6, s19, v16
	s_mov_b32 s51, 0
	s_mov_b32 s52, 0
	s_mov_b32 s12, exec_lo
	s_delay_alu instid0(VALU_DEP_1) | instskip(SKIP_1) | instid1(VALU_DEP_1)
	v_mul_lo_u32 v1, v1, s16
	v_mul_lo_u32 v6, v6, s18
	v_sub_nc_u32_e32 v1, v1, v6
	s_delay_alu instid0(VALU_DEP_1)
	v_cmp_lt_u32_e64 s10, s20, v1
	v_cmpx_ge_u32_e64 s20, v1
	s_cbranch_execz .LBB1381_31
; %bb.30:
	v_dual_add_nc_u32 v1, s22, v16 :: v_dual_add_nc_u32 v6, s38, v16
	s_delay_alu instid0(VALU_DEP_1) | instskip(NEXT) | instid1(VALU_DEP_2)
	v_mul_lo_u32 v1, v1, s21
	v_mul_lo_u32 v6, v6, s23
	s_delay_alu instid0(VALU_DEP_1) | instskip(NEXT) | instid1(VALU_DEP_1)
	v_sub_nc_u32_e32 v1, v1, v6
	v_cmp_lt_u32_e64 s11, s39, v1
	s_and_b32 s52, s11, exec_lo
.LBB1381_31:
	s_or_b32 exec_lo, exec_lo, s12
	v_dual_add_nc_u32 v1, s17, v17 :: v_dual_add_nc_u32 v6, s19, v17
	s_mov_b32 s13, exec_lo
	s_delay_alu instid0(VALU_DEP_1) | instskip(NEXT) | instid1(VALU_DEP_2)
	v_mul_lo_u32 v1, v1, s16
	v_mul_lo_u32 v6, v6, s18
	s_delay_alu instid0(VALU_DEP_1) | instskip(NEXT) | instid1(VALU_DEP_1)
	v_sub_nc_u32_e32 v1, v1, v6
	v_cmp_lt_u32_e64 s12, s20, v1
	v_cmpx_ge_u32_e64 s20, v1
	s_cbranch_execz .LBB1381_33
; %bb.32:
	v_dual_add_nc_u32 v1, s22, v17 :: v_dual_add_nc_u32 v6, s38, v17
	s_delay_alu instid0(VALU_DEP_1) | instskip(NEXT) | instid1(VALU_DEP_2)
	v_mul_lo_u32 v1, v1, s21
	v_mul_lo_u32 v6, v6, s23
	s_delay_alu instid0(VALU_DEP_1) | instskip(NEXT) | instid1(VALU_DEP_1)
	v_sub_nc_u32_e32 v1, v1, v6
	v_cmp_lt_u32_e64 s11, s39, v1
	s_and_b32 s51, s11, exec_lo
.LBB1381_33:
	s_or_b32 exec_lo, exec_lo, s13
	v_dual_add_nc_u32 v1, s17, v34 :: v_dual_add_nc_u32 v6, s19, v34
	s_mov_b32 s48, 0
	s_mov_b32 s53, 0
	s_mov_b32 s54, exec_lo
	s_delay_alu instid0(VALU_DEP_1) | instskip(SKIP_1) | instid1(VALU_DEP_1)
	v_mul_lo_u32 v1, v1, s16
	v_mul_lo_u32 v6, v6, s18
	v_sub_nc_u32_e32 v1, v1, v6
	s_delay_alu instid0(VALU_DEP_1)
	v_cmp_lt_u32_e64 s11, s20, v1
	v_cmpx_ge_u32_e64 s20, v1
	s_cbranch_execz .LBB1381_35
; %bb.34:
	v_dual_add_nc_u32 v1, s22, v34 :: v_dual_add_nc_u32 v6, s38, v34
	s_delay_alu instid0(VALU_DEP_1) | instskip(NEXT) | instid1(VALU_DEP_2)
	v_mul_lo_u32 v1, v1, s21
	v_mul_lo_u32 v6, v6, s23
	s_delay_alu instid0(VALU_DEP_1) | instskip(NEXT) | instid1(VALU_DEP_1)
	v_sub_nc_u32_e32 v1, v1, v6
	v_cmp_lt_u32_e64 s13, s39, v1
	s_and_b32 s53, s13, exec_lo
.LBB1381_35:
	s_or_b32 exec_lo, exec_lo, s54
	v_cndmask_b32_e64 v6, 0, 1, s0
	v_cndmask_b32_e64 v8, 0, 1, s3
	v_cndmask_b32_e64 v1, 0, 1, vcc_lo
	v_cndmask_b32_e64 v7, 0, 1, s1
	v_cndmask_b32_e64 v10, 0, 1, s5
	v_lshlrev_b16 v6, 8, v6
	v_lshlrev_b16 v8, 8, v8
	v_cndmask_b32_e64 v12, 0, 1, s7
	v_cndmask_b32_e64 v28, 0, 1, s9
	;; [unrolled: 1-line block ×3, first 2 shown]
	v_or_b32_e32 v1, v1, v6
	v_or_b32_e32 v6, v7, v8
	v_cndmask_b32_e64 v8, 0, 1, s42
	v_cndmask_b32_e64 v9, 0, 1, s4
	;; [unrolled: 1-line block ×4, first 2 shown]
	v_lshlrev_b32_e32 v6, 16, v6
	v_and_b32_e32 v1, 0xffff, v1
	v_cndmask_b32_e64 v38, 0, 1, s46
	v_cndmask_b32_e64 v41, 0, 1, s44
	;; [unrolled: 1-line block ×4, first 2 shown]
	v_or_b32_e32 v36, v1, v6
	v_lshlrev_b16 v1, 8, v10
	v_lshlrev_b16 v6, 8, v12
	;; [unrolled: 1-line block ×5, first 2 shown]
	v_cndmask_b32_e64 v11, 0, 1, s6
	v_cndmask_b32_e64 v30, 0, 1, s52
	;; [unrolled: 1-line block ×6, first 2 shown]
	v_lshlrev_b16 v28, 8, v44
	v_or_b32_e32 v8, v42, v8
	v_or_b32_e32 v1, v9, v1
	;; [unrolled: 1-line block ×4, first 2 shown]
	v_lshlrev_b16 v12, 8, v41
	v_lshlrev_b16 v13, 8, v38
	v_cndmask_b32_e64 v32, 0, 1, s50
	v_cndmask_b32_e64 v37, 0, 1, s47
	v_lshlrev_b16 v29, 8, v30
	v_or_b32_e32 v7, v7, v12
	v_or_b32_e32 v12, v40, v13
	;; [unrolled: 1-line block ×4, first 2 shown]
	v_lshlrev_b16 v28, 8, v33
	v_dual_lshlrev_b32 v10, 16, v10 :: v_dual_lshlrev_b32 v8, 16, v8
	v_and_b32_e32 v1, 0xffff, v1
	s_delay_alu instid0(VALU_DEP_4) | instskip(NEXT) | instid1(VALU_DEP_4)
	v_and_b32_e32 v11, 0xffff, v11
	v_or_b32_e32 v13, v37, v28
	v_or_b32_e32 v28, v32, v29
	v_and_b32_e32 v7, 0xffff, v7
	v_dual_lshlrev_b32 v12, 16, v12 :: v_dual_lshlrev_b32 v6, 16, v6
	s_delay_alu instid0(VALU_DEP_4) | instskip(NEXT) | instid1(VALU_DEP_4)
	v_and_b32_e32 v13, 0xffff, v13
	v_lshlrev_b32_e32 v28, 16, v28
	v_and_b32_e32 v9, 0xffff, v9
	v_cndmask_b32_e64 v39, 0, 1, s51
	v_cndmask_b32_e64 v43, 0, 1, s53
	v_or_b32_e32 v38, v1, v6
	v_or_b32_e32 v42, v11, v8
	v_or_b32_e32 v41, v9, v10
	v_or_b32_e32 v37, v7, v12
	v_or_b32_e32 v40, v13, v28
	s_and_b32 vcc_lo, exec_lo, s48
	s_add_co_i32 s5, s33, 0xd00
	s_cbranch_vccnz .LBB1381_37
	s_branch .LBB1381_114
.LBB1381_36:
                                        ; implicit-def: $vgpr43
                                        ; implicit-def: $vgpr39
                                        ; implicit-def: $vgpr40
                                        ; implicit-def: $vgpr37
                                        ; implicit-def: $vgpr42
                                        ; implicit-def: $vgpr41
                                        ; implicit-def: $vgpr38
                                        ; implicit-def: $vgpr36
	s_add_co_i32 s5, s33, 0xd00
	s_cbranch_execz .LBB1381_114
.LBB1381_37:
	v_dual_mov_b32 v6, 0 :: v_dual_mov_b32 v1, 0
	s_mov_b32 s1, exec_lo
	v_cmpx_gt_u32_e64 s5, v15
	s_cbranch_execz .LBB1381_41
; %bb.38:
	v_dual_add_nc_u32 v1, s17, v26 :: v_dual_add_nc_u32 v6, s19, v26
	s_mov_b32 s4, 0
	s_mov_b32 s3, exec_lo
	s_delay_alu instid0(VALU_DEP_1) | instskip(NEXT) | instid1(VALU_DEP_2)
	v_mul_lo_u32 v1, v1, s16
	v_mul_lo_u32 v6, v6, s18
	s_delay_alu instid0(VALU_DEP_1) | instskip(NEXT) | instid1(VALU_DEP_1)
	v_sub_nc_u32_e32 v1, v1, v6
	v_cmp_lt_u32_e32 vcc_lo, s20, v1
	v_cmpx_ge_u32_e64 s20, v1
	s_cbranch_execz .LBB1381_40
; %bb.39:
	v_dual_add_nc_u32 v1, s22, v26 :: v_dual_add_nc_u32 v6, s38, v26
	s_delay_alu instid0(VALU_DEP_1) | instskip(NEXT) | instid1(VALU_DEP_2)
	v_mul_lo_u32 v1, v1, s21
	v_mul_lo_u32 v6, v6, s23
	s_delay_alu instid0(VALU_DEP_1) | instskip(NEXT) | instid1(VALU_DEP_1)
	v_sub_nc_u32_e32 v1, v1, v6
	v_cmp_lt_u32_e64 s0, s39, v1
	s_and_b32 s4, s0, exec_lo
.LBB1381_40:
	s_or_b32 exec_lo, exec_lo, s3
	v_cndmask_b32_e64 v6, 0, 1, s4
	v_cndmask_b32_e64 v1, 0, 1, vcc_lo
.LBB1381_41:
	s_or_b32 exec_lo, exec_lo, s1
	s_delay_alu instid0(VALU_DEP_2) | instskip(SKIP_1) | instid1(VALU_DEP_2)
	v_lshlrev_b16 v6, 8, v6
	v_lshlrev_b16 v13, 8, 0
                                        ; implicit-def: $vgpr9
                                        ; implicit-def: $vgpr11
                                        ; implicit-def: $vgpr8
                                        ; implicit-def: $vgpr12
	v_and_b32_e32 v10, 0xffff, v6
	v_add_nc_u32_e32 v7, 1, v15
                                        ; implicit-def: $vgpr6
	s_delay_alu instid0(VALU_DEP_2) | instskip(NEXT) | instid1(VALU_DEP_2)
	v_lshrrev_b32_e32 v28, 8, v10
	v_cmp_le_u32_e32 vcc_lo, s5, v7
                                        ; implicit-def: $vgpr7
	s_and_saveexec_b32 s0, vcc_lo
	s_delay_alu instid0(SALU_CYCLE_1)
	s_xor_b32 s0, exec_lo, s0
	s_cbranch_execz .LBB1381_43
; %bb.42:
	v_lshlrev_b16 v6, 8, v28
	v_bitop3_b16 v7, 0, v13, 0xff bitop3:0xec
	v_and_b32_e32 v12, 0xff, v1
                                        ; implicit-def: $vgpr1
                                        ; implicit-def: $vgpr13
                                        ; implicit-def: $vgpr28
	v_mov_b32_e32 v9, 0
	s_delay_alu instid0(VALU_DEP_4) | instskip(SKIP_3) | instid1(VALU_DEP_4)
	v_bitop3_b16 v10, v10, v6, 0xff bitop3:0xec
	v_mov_b32_e32 v6, 0
	v_and_b32_e32 v8, 0xffff, v7
	v_and_b32_e32 v7, 0xffff, v7
	;; [unrolled: 1-line block ×3, first 2 shown]
                                        ; implicit-def: $vgpr10
.LBB1381_43:
	s_and_not1_saveexec_b32 s1, s0
	s_cbranch_execz .LBB1381_47
; %bb.44:
	v_dual_add_nc_u32 v6, s17, v27 :: v_dual_add_nc_u32 v7, s19, v27
	s_mov_b32 s3, 0
	s_mov_b32 s4, exec_lo
	s_delay_alu instid0(VALU_DEP_1) | instskip(NEXT) | instid1(VALU_DEP_2)
	v_mul_lo_u32 v6, v6, s16
	v_mul_lo_u32 v7, v7, s18
	s_delay_alu instid0(VALU_DEP_1) | instskip(NEXT) | instid1(VALU_DEP_1)
	v_sub_nc_u32_e32 v6, v6, v7
	v_cmp_lt_u32_e32 vcc_lo, s20, v6
	v_cmpx_ge_u32_e64 s20, v6
	s_cbranch_execz .LBB1381_46
; %bb.45:
	v_dual_add_nc_u32 v6, s22, v27 :: v_dual_add_nc_u32 v7, s38, v27
	s_delay_alu instid0(VALU_DEP_1) | instskip(NEXT) | instid1(VALU_DEP_2)
	v_mul_lo_u32 v6, v6, s21
	v_mul_lo_u32 v7, v7, s23
	s_delay_alu instid0(VALU_DEP_1) | instskip(NEXT) | instid1(VALU_DEP_1)
	v_sub_nc_u32_e32 v6, v6, v7
	v_cmp_lt_u32_e64 s0, s39, v6
	s_and_b32 s3, s0, exec_lo
.LBB1381_46:
	s_or_b32 exec_lo, exec_lo, s4
	v_cndmask_b32_e64 v6, 0, 1, vcc_lo
	v_lshlrev_b16 v7, 8, v28
	v_cndmask_b32_e64 v11, 0, 1, s3
	v_mov_b32_e32 v9, 0
	s_delay_alu instid0(VALU_DEP_4) | instskip(NEXT) | instid1(VALU_DEP_4)
	v_lshlrev_b16 v6, 8, v6
	v_bitop3_b16 v7, v10, v7, 0xff bitop3:0xec
	v_bitop3_b16 v10, 0, v13, 0xff bitop3:0xec
	s_delay_alu instid0(VALU_DEP_3) | instskip(NEXT) | instid1(VALU_DEP_3)
	v_bitop3_b16 v1, v1, v6, 0xff bitop3:0xec
	v_and_b32_e32 v7, 0xffff, v7
	v_mov_b32_e32 v6, 0
	s_delay_alu instid0(VALU_DEP_4) | instskip(NEXT) | instid1(VALU_DEP_4)
	v_and_b32_e32 v8, 0xffff, v10
	v_and_b32_e32 v12, 0xffff, v1
	s_delay_alu instid0(VALU_DEP_4)
	v_lshl_or_b32 v11, v11, 16, v7
	v_and_b32_e32 v7, 0xffff, v10
.LBB1381_47:
	s_or_b32 exec_lo, exec_lo, s1
	s_delay_alu instid0(VALU_DEP_3) | instskip(NEXT) | instid1(VALU_DEP_1)
	v_dual_add_nc_u32 v1, 2, v15 :: v_dual_lshrrev_b32 v13, 8, v12
                                        ; implicit-def: $vgpr10
	v_cmp_le_u32_e32 vcc_lo, s5, v1
                                        ; implicit-def: $vgpr1
	s_and_saveexec_b32 s0, vcc_lo
	s_delay_alu instid0(SALU_CYCLE_1)
	s_xor_b32 s0, exec_lo, s0
	s_cbranch_execz .LBB1381_49
; %bb.48:
	v_lshlrev_b16 v1, 8, v13
	v_and_b32_e32 v13, 0xff0000, v11
	v_perm_b32 v8, v8, v8, 0x3060504
	s_delay_alu instid0(VALU_DEP_3) | instskip(NEXT) | instid1(VALU_DEP_1)
	v_bitop3_b16 v1, v12, v1, 0xff bitop3:0xec
	v_and_b32_e32 v1, 0xffff, v1
	s_delay_alu instid0(VALU_DEP_1)
	v_and_or_b32 v10, 0xff000000, v12, v1
	v_perm_b32 v1, v11, v13, 0x3020504
                                        ; implicit-def: $vgpr13
                                        ; implicit-def: $vgpr12
                                        ; implicit-def: $vgpr11
.LBB1381_49:
	s_and_not1_saveexec_b32 s1, s0
	s_cbranch_execz .LBB1381_53
; %bb.50:
	v_dual_add_nc_u32 v1, s17, v24 :: v_dual_add_nc_u32 v10, s19, v24
	s_mov_b32 s3, 0
	s_mov_b32 s4, exec_lo
	s_delay_alu instid0(VALU_DEP_1) | instskip(NEXT) | instid1(VALU_DEP_2)
	v_mul_lo_u32 v1, v1, s16
	v_mul_lo_u32 v10, v10, s18
	s_delay_alu instid0(VALU_DEP_1) | instskip(NEXT) | instid1(VALU_DEP_1)
	v_sub_nc_u32_e32 v1, v1, v10
	v_cmp_lt_u32_e32 vcc_lo, s20, v1
	v_cmpx_ge_u32_e64 s20, v1
	s_cbranch_execz .LBB1381_52
; %bb.51:
	v_dual_add_nc_u32 v1, s22, v24 :: v_dual_add_nc_u32 v10, s38, v24
	s_delay_alu instid0(VALU_DEP_1) | instskip(NEXT) | instid1(VALU_DEP_2)
	v_mul_lo_u32 v1, v1, s21
	v_mul_lo_u32 v10, v10, s23
	s_delay_alu instid0(VALU_DEP_1) | instskip(NEXT) | instid1(VALU_DEP_1)
	v_sub_nc_u32_e32 v1, v1, v10
	v_cmp_lt_u32_e64 s0, s39, v1
	s_and_b32 s3, s0, exec_lo
.LBB1381_52:
	s_or_b32 exec_lo, exec_lo, s4
	v_dual_lshrrev_b32 v1, 24, v12 :: v_dual_lshrrev_b32 v29, 8, v11
	v_cndmask_b32_e64 v10, 0, 1, s3
	v_cndmask_b32_e64 v28, 0, 1, vcc_lo
	v_lshlrev_b16 v13, 8, v13
	s_delay_alu instid0(VALU_DEP_4)
	v_lshlrev_b16 v1, 8, v1
	v_lshrrev_b32_e32 v30, 16, v11
	v_lshlrev_b16 v10, 8, v10
	v_lshlrev_b16 v29, 8, v29
	v_bitop3_b16 v12, v12, v13, 0xff bitop3:0xec
	v_or_b32_e32 v1, v28, v1
	s_delay_alu instid0(VALU_DEP_4) | instskip(NEXT) | instid1(VALU_DEP_4)
	v_bitop3_b16 v10, v30, v10, 0xff bitop3:0xec
	v_bitop3_b16 v11, v11, v29, 0xff bitop3:0xec
	s_delay_alu instid0(VALU_DEP_4) | instskip(NEXT) | instid1(VALU_DEP_3)
	v_and_b32_e32 v12, 0xffff, v12
	v_dual_lshlrev_b32 v1, 16, v1 :: v_dual_lshlrev_b32 v13, 16, v10
	s_delay_alu instid0(VALU_DEP_3) | instskip(NEXT) | instid1(VALU_DEP_2)
	v_and_b32_e32 v11, 0xffff, v11
	v_or_b32_e32 v10, v12, v1
	s_delay_alu instid0(VALU_DEP_2)
	v_or_b32_e32 v1, v11, v13
.LBB1381_53:
	s_or_b32 exec_lo, exec_lo, s1
	v_dual_add_nc_u32 v12, 3, v15 :: v_dual_lshrrev_b32 v13, 24, v9
	v_lshrrev_b32_e32 v11, 16, v9
                                        ; implicit-def: $vgpr36
	s_delay_alu instid0(VALU_DEP_2) | instskip(SKIP_2) | instid1(SALU_CYCLE_1)
	v_cmp_le_u32_e32 vcc_lo, s5, v12
	v_lshrrev_b32_e32 v12, 8, v9
                                        ; implicit-def: $vgpr9
	s_and_saveexec_b32 s0, vcc_lo
	s_xor_b32 s0, exec_lo, s0
	s_cbranch_execz .LBB1381_55
; %bb.54:
	v_lshlrev_b16 v9, 8, v13
	v_lshlrev_b16 v12, 8, v12
	v_perm_b32 v8, v8, v8, 0x3060504
	v_perm_b32 v7, v7, v7, 0x3060504
                                        ; implicit-def: $vgpr13
	s_delay_alu instid0(VALU_DEP_4) | instskip(SKIP_2) | instid1(VALU_DEP_3)
	v_bitop3_b16 v9, v11, v9, 0xff bitop3:0xec
	v_and_b32_e32 v11, 0xff0000, v10
	v_and_b32_e32 v12, 0xffff, v12
	v_lshlrev_b32_e32 v9, 16, v9
	s_delay_alu instid0(VALU_DEP_3) | instskip(NEXT) | instid1(VALU_DEP_2)
	v_perm_b32 v36, v10, v11, 0x3020504
                                        ; implicit-def: $vgpr10
                                        ; implicit-def: $vgpr11
	v_or_b32_e32 v9, v12, v9
                                        ; implicit-def: $vgpr12
.LBB1381_55:
	s_and_not1_saveexec_b32 s1, s0
	s_cbranch_execz .LBB1381_59
; %bb.56:
	v_dual_add_nc_u32 v9, s17, v25 :: v_dual_add_nc_u32 v28, s19, v25
	s_mov_b32 s3, 0
	s_mov_b32 s4, exec_lo
	s_delay_alu instid0(VALU_DEP_1) | instskip(NEXT) | instid1(VALU_DEP_2)
	v_mul_lo_u32 v9, v9, s16
	v_mul_lo_u32 v28, v28, s18
	s_delay_alu instid0(VALU_DEP_1) | instskip(NEXT) | instid1(VALU_DEP_1)
	v_sub_nc_u32_e32 v9, v9, v28
	v_cmp_lt_u32_e32 vcc_lo, s20, v9
	v_cmpx_ge_u32_e64 s20, v9
	s_cbranch_execz .LBB1381_58
; %bb.57:
	v_dual_add_nc_u32 v9, s22, v25 :: v_dual_add_nc_u32 v28, s38, v25
	s_delay_alu instid0(VALU_DEP_1) | instskip(NEXT) | instid1(VALU_DEP_2)
	v_mul_lo_u32 v9, v9, s21
	v_mul_lo_u32 v28, v28, s23
	s_delay_alu instid0(VALU_DEP_1) | instskip(NEXT) | instid1(VALU_DEP_1)
	v_sub_nc_u32_e32 v9, v9, v28
	v_cmp_lt_u32_e64 s0, s39, v9
	s_and_b32 s3, s0, exec_lo
.LBB1381_58:
	s_or_b32 exec_lo, exec_lo, s4
	v_cndmask_b32_e64 v9, 0, 1, vcc_lo
	v_dual_lshrrev_b32 v28, 8, v10 :: v_dual_lshrrev_b32 v30, 16, v10
	v_cndmask_b32_e64 v29, 0, 1, s3
	v_lshlrev_b16 v13, 8, v13
	s_delay_alu instid0(VALU_DEP_4) | instskip(NEXT) | instid1(VALU_DEP_4)
	v_lshlrev_b16 v9, 8, v9
	v_lshlrev_b16 v28, 8, v28
	v_lshlrev_b16 v12, 8, v12
	s_delay_alu instid0(VALU_DEP_4) | instskip(NEXT) | instid1(VALU_DEP_4)
	v_bitop3_b16 v11, v11, v13, 0xff bitop3:0xec
	v_bitop3_b16 v9, v30, v9, 0xff bitop3:0xec
	s_delay_alu instid0(VALU_DEP_4) | instskip(NEXT) | instid1(VALU_DEP_3)
	v_bitop3_b16 v10, v10, v28, 0xff bitop3:0xec
	v_dual_lshlrev_b32 v11, 16, v11 :: v_dual_bitop2_b32 v12, v29, v12 bitop3:0x54
	s_delay_alu instid0(VALU_DEP_3) | instskip(NEXT) | instid1(VALU_DEP_3)
	v_lshlrev_b32_e32 v9, 16, v9
	v_and_b32_e32 v10, 0xffff, v10
	s_delay_alu instid0(VALU_DEP_3) | instskip(NEXT) | instid1(VALU_DEP_2)
	v_and_b32_e32 v12, 0xffff, v12
	v_or_b32_e32 v36, v10, v9
	s_delay_alu instid0(VALU_DEP_2)
	v_or_b32_e32 v9, v12, v11
.LBB1381_59:
	s_or_b32 exec_lo, exec_lo, s1
	v_dual_add_nc_u32 v10, 4, v15 :: v_dual_lshrrev_b32 v28, 8, v8
	v_dual_lshrrev_b32 v11, 16, v8 :: v_dual_lshrrev_b32 v29, 24, v8
	s_delay_alu instid0(VALU_DEP_3) | instskip(NEXT) | instid1(VALU_DEP_3)
	v_dual_lshrrev_b32 v13, 24, v9 :: v_dual_lshrrev_b32 v12, 16, v9
	v_cmp_le_u32_e32 vcc_lo, s5, v10
                                        ; implicit-def: $vgpr8
                                        ; implicit-def: $vgpr10
	s_and_saveexec_b32 s0, vcc_lo
	s_delay_alu instid0(SALU_CYCLE_1)
	s_xor_b32 s0, exec_lo, s0
	s_cbranch_execz .LBB1381_61
; %bb.60:
	v_lshlrev_b16 v8, 8, v29
	v_lshlrev_b16 v10, 8, v28
	;; [unrolled: 1-line block ×3, first 2 shown]
	v_perm_b32 v7, v7, v7, 0x3060504
                                        ; implicit-def: $vgpr28
                                        ; implicit-def: $vgpr29
	s_delay_alu instid0(VALU_DEP_4) | instskip(NEXT) | instid1(VALU_DEP_4)
	v_bitop3_b16 v8, v11, v8, 0xff bitop3:0xec
	v_and_b32_e32 v10, 0xffff, v10
	s_delay_alu instid0(VALU_DEP_4) | instskip(NEXT) | instid1(VALU_DEP_3)
	v_bitop3_b16 v11, v12, v13, 0xff bitop3:0xec
                                        ; implicit-def: $vgpr13
	v_lshlrev_b32_e32 v12, 16, v8
	s_delay_alu instid0(VALU_DEP_2) | instskip(NEXT) | instid1(VALU_DEP_2)
	v_perm_b32 v8, v11, v9, 0x5040c00
                                        ; implicit-def: $vgpr9
                                        ; implicit-def: $vgpr11
	v_or_b32_e32 v10, v10, v12
                                        ; implicit-def: $vgpr12
.LBB1381_61:
	s_and_not1_saveexec_b32 s1, s0
	s_cbranch_execz .LBB1381_65
; %bb.62:
	v_dual_add_nc_u32 v8, s17, v22 :: v_dual_add_nc_u32 v10, s19, v22
	s_mov_b32 s3, 0
	s_mov_b32 s4, exec_lo
	s_delay_alu instid0(VALU_DEP_1) | instskip(NEXT) | instid1(VALU_DEP_2)
	v_mul_lo_u32 v8, v8, s16
	v_mul_lo_u32 v10, v10, s18
	s_delay_alu instid0(VALU_DEP_1) | instskip(NEXT) | instid1(VALU_DEP_1)
	v_sub_nc_u32_e32 v8, v8, v10
	v_cmp_lt_u32_e32 vcc_lo, s20, v8
	v_cmpx_ge_u32_e64 s20, v8
	s_cbranch_execz .LBB1381_64
; %bb.63:
	v_dual_add_nc_u32 v8, s22, v22 :: v_dual_add_nc_u32 v10, s38, v22
	s_delay_alu instid0(VALU_DEP_1) | instskip(NEXT) | instid1(VALU_DEP_2)
	v_mul_lo_u32 v8, v8, s21
	v_mul_lo_u32 v10, v10, s23
	s_delay_alu instid0(VALU_DEP_1) | instskip(NEXT) | instid1(VALU_DEP_1)
	v_sub_nc_u32_e32 v8, v8, v10
	v_cmp_lt_u32_e64 s0, s39, v8
	s_and_b32 s3, s0, exec_lo
.LBB1381_64:
	s_or_b32 exec_lo, exec_lo, s4
	v_cndmask_b32_e64 v8, 0, 1, s3
	v_cndmask_b32_e64 v10, 0, 1, vcc_lo
	v_lshlrev_b16 v29, 8, v29
	v_lshlrev_b16 v28, 8, v28
	;; [unrolled: 1-line block ×4, first 2 shown]
	s_delay_alu instid0(VALU_DEP_4) | instskip(NEXT) | instid1(VALU_DEP_4)
	v_bitop3_b16 v11, v11, v29, 0xff bitop3:0xec
	v_or_b32_e32 v10, v10, v28
	s_delay_alu instid0(VALU_DEP_4) | instskip(NEXT) | instid1(VALU_DEP_4)
	v_bitop3_b16 v12, v12, v13, 0xff bitop3:0xec
	v_bitop3_b16 v8, v9, v8, 0xff bitop3:0xec
	s_delay_alu instid0(VALU_DEP_4) | instskip(NEXT) | instid1(VALU_DEP_4)
	v_lshlrev_b32_e32 v9, 16, v11
	v_and_b32_e32 v10, 0xffff, v10
	s_delay_alu instid0(VALU_DEP_4) | instskip(NEXT) | instid1(VALU_DEP_4)
	v_lshlrev_b32_e32 v11, 16, v12
	v_and_b32_e32 v8, 0xffff, v8
	s_delay_alu instid0(VALU_DEP_3) | instskip(NEXT) | instid1(VALU_DEP_2)
	v_or_b32_e32 v10, v10, v9
	v_or_b32_e32 v8, v8, v11
.LBB1381_65:
	s_or_b32 exec_lo, exec_lo, s1
	s_delay_alu instid0(VALU_DEP_1) | instskip(NEXT) | instid1(VALU_DEP_2)
	v_dual_add_nc_u32 v9, 5, v15 :: v_dual_lshrrev_b32 v12, 16, v10
	v_dual_lshrrev_b32 v13, 24, v10 :: v_dual_lshrrev_b32 v28, 8, v8
                                        ; implicit-def: $vgpr11
	s_delay_alu instid0(VALU_DEP_2) | instskip(SKIP_1) | instid1(SALU_CYCLE_1)
	v_cmp_le_u32_e32 vcc_lo, s5, v9
                                        ; implicit-def: $vgpr9
	s_and_saveexec_b32 s0, vcc_lo
	s_xor_b32 s0, exec_lo, s0
	s_cbranch_execz .LBB1381_67
; %bb.66:
	v_lshlrev_b16 v9, 8, v28
	v_lshlrev_b16 v11, 8, v13
	v_perm_b32 v7, v7, v7, 0x3060504
                                        ; implicit-def: $vgpr13
                                        ; implicit-def: $vgpr28
	s_delay_alu instid0(VALU_DEP_3) | instskip(NEXT) | instid1(VALU_DEP_3)
	v_bitop3_b16 v9, v8, v9, 0xff bitop3:0xec
	v_bitop3_b16 v11, v12, v11, 0xff bitop3:0xec
                                        ; implicit-def: $vgpr12
	s_delay_alu instid0(VALU_DEP_2) | instskip(NEXT) | instid1(VALU_DEP_2)
	v_and_b32_e32 v9, 0xffff, v9
	v_perm_b32 v11, v11, v10, 0x5040c00
                                        ; implicit-def: $vgpr10
	s_delay_alu instid0(VALU_DEP_2)
	v_and_or_b32 v9, 0xff000000, v8, v9
                                        ; implicit-def: $vgpr8
.LBB1381_67:
	s_and_not1_saveexec_b32 s1, s0
	s_cbranch_execz .LBB1381_71
; %bb.68:
	v_dual_add_nc_u32 v9, s17, v23 :: v_dual_add_nc_u32 v11, s19, v23
	s_mov_b32 s3, 0
	s_mov_b32 s4, exec_lo
	s_delay_alu instid0(VALU_DEP_1) | instskip(NEXT) | instid1(VALU_DEP_2)
	v_mul_lo_u32 v9, v9, s16
	v_mul_lo_u32 v11, v11, s18
	s_delay_alu instid0(VALU_DEP_1) | instskip(NEXT) | instid1(VALU_DEP_1)
	v_sub_nc_u32_e32 v9, v9, v11
	v_cmp_lt_u32_e32 vcc_lo, s20, v9
	v_cmpx_ge_u32_e64 s20, v9
	s_cbranch_execz .LBB1381_70
; %bb.69:
	v_dual_add_nc_u32 v9, s22, v23 :: v_dual_add_nc_u32 v11, s38, v23
	s_delay_alu instid0(VALU_DEP_1) | instskip(NEXT) | instid1(VALU_DEP_2)
	v_mul_lo_u32 v9, v9, s21
	v_mul_lo_u32 v11, v11, s23
	s_delay_alu instid0(VALU_DEP_1) | instskip(NEXT) | instid1(VALU_DEP_1)
	v_sub_nc_u32_e32 v9, v9, v11
	v_cmp_lt_u32_e64 s0, s39, v9
	s_and_b32 s3, s0, exec_lo
.LBB1381_70:
	s_or_b32 exec_lo, exec_lo, s4
	v_cndmask_b32_e64 v9, 0, 1, vcc_lo
	v_lshrrev_b32_e32 v11, 24, v8
	v_cndmask_b32_e64 v29, 0, 1, s3
	v_lshlrev_b16 v13, 8, v13
	v_lshlrev_b16 v28, 8, v28
	;; [unrolled: 1-line block ×4, first 2 shown]
	s_delay_alu instid0(VALU_DEP_4) | instskip(NEXT) | instid1(VALU_DEP_4)
	v_bitop3_b16 v12, v12, v13, 0xff bitop3:0xec
	v_bitop3_b16 v8, v8, v28, 0xff bitop3:0xec
	s_delay_alu instid0(VALU_DEP_4) | instskip(NEXT) | instid1(VALU_DEP_3)
	v_bitop3_b16 v9, v10, v9, 0xff bitop3:0xec
	v_dual_lshlrev_b32 v11, 16, v12 :: v_dual_bitop2_b32 v10, v29, v11 bitop3:0x54
	s_delay_alu instid0(VALU_DEP_3) | instskip(NEXT) | instid1(VALU_DEP_3)
	v_and_b32_e32 v8, 0xffff, v8
	v_and_b32_e32 v9, 0xffff, v9
	s_delay_alu instid0(VALU_DEP_1) | instskip(NEXT) | instid1(VALU_DEP_1)
	v_dual_lshlrev_b32 v10, 16, v10 :: v_dual_bitop2_b32 v11, v9, v11 bitop3:0x54
	v_or_b32_e32 v9, v8, v10
.LBB1381_71:
	s_or_b32 exec_lo, exec_lo, s1
	v_add_nc_u32_e32 v8, 6, v15
	s_delay_alu instid0(VALU_DEP_3) | instskip(NEXT) | instid1(VALU_DEP_2)
	v_lshrrev_b32_e32 v10, 8, v11
                                        ; implicit-def: $vgpr37
	v_cmp_le_u32_e32 vcc_lo, s5, v8
                                        ; implicit-def: $vgpr8
	s_and_saveexec_b32 s0, vcc_lo
	s_delay_alu instid0(SALU_CYCLE_1)
	s_xor_b32 s0, exec_lo, s0
	s_cbranch_execz .LBB1381_73
; %bb.72:
	v_lshlrev_b16 v8, 8, v10
	v_and_b32_e32 v10, 0xff0000, v9
	v_perm_b32 v7, v7, v7, 0x3060504
	s_delay_alu instid0(VALU_DEP_3) | instskip(NEXT) | instid1(VALU_DEP_3)
	v_bitop3_b16 v8, v11, v8, 0xff bitop3:0xec
	v_perm_b32 v37, v9, v10, 0x3020504
                                        ; implicit-def: $vgpr10
                                        ; implicit-def: $vgpr9
	s_delay_alu instid0(VALU_DEP_2) | instskip(NEXT) | instid1(VALU_DEP_1)
	v_and_b32_e32 v8, 0xffff, v8
	v_and_or_b32 v8, 0xff000000, v11, v8
                                        ; implicit-def: $vgpr11
.LBB1381_73:
	s_and_not1_saveexec_b32 s1, s0
	s_cbranch_execz .LBB1381_77
; %bb.74:
	v_dual_add_nc_u32 v8, s17, v20 :: v_dual_add_nc_u32 v12, s19, v20
	s_mov_b32 s3, 0
	s_mov_b32 s4, exec_lo
	s_delay_alu instid0(VALU_DEP_1) | instskip(NEXT) | instid1(VALU_DEP_2)
	v_mul_lo_u32 v8, v8, s16
	v_mul_lo_u32 v12, v12, s18
	s_delay_alu instid0(VALU_DEP_1) | instskip(NEXT) | instid1(VALU_DEP_1)
	v_sub_nc_u32_e32 v8, v8, v12
	v_cmp_lt_u32_e32 vcc_lo, s20, v8
	v_cmpx_ge_u32_e64 s20, v8
	s_cbranch_execz .LBB1381_76
; %bb.75:
	v_dual_add_nc_u32 v8, s22, v20 :: v_dual_add_nc_u32 v12, s38, v20
	s_delay_alu instid0(VALU_DEP_1) | instskip(NEXT) | instid1(VALU_DEP_2)
	v_mul_lo_u32 v8, v8, s21
	v_mul_lo_u32 v12, v12, s23
	s_delay_alu instid0(VALU_DEP_1) | instskip(NEXT) | instid1(VALU_DEP_1)
	v_sub_nc_u32_e32 v8, v8, v12
	v_cmp_lt_u32_e64 s0, s39, v8
	s_and_b32 s3, s0, exec_lo
.LBB1381_76:
	s_or_b32 exec_lo, exec_lo, s4
	v_dual_lshrrev_b32 v8, 24, v11 :: v_dual_lshrrev_b32 v28, 8, v9
	v_cndmask_b32_e64 v12, 0, 1, s3
	v_cndmask_b32_e64 v13, 0, 1, vcc_lo
	v_lshlrev_b16 v10, 8, v10
	s_delay_alu instid0(VALU_DEP_4)
	v_lshlrev_b16 v8, 8, v8
	v_lshrrev_b32_e32 v29, 16, v9
	v_lshlrev_b16 v12, 8, v12
	v_lshlrev_b16 v28, 8, v28
	v_bitop3_b16 v10, v11, v10, 0xff bitop3:0xec
	v_or_b32_e32 v8, v13, v8
	s_delay_alu instid0(VALU_DEP_4) | instskip(NEXT) | instid1(VALU_DEP_4)
	v_bitop3_b16 v11, v29, v12, 0xff bitop3:0xec
	v_bitop3_b16 v9, v9, v28, 0xff bitop3:0xec
	s_delay_alu instid0(VALU_DEP_4) | instskip(NEXT) | instid1(VALU_DEP_3)
	v_and_b32_e32 v10, 0xffff, v10
	v_dual_lshlrev_b32 v8, 16, v8 :: v_dual_lshlrev_b32 v11, 16, v11
	s_delay_alu instid0(VALU_DEP_3) | instskip(NEXT) | instid1(VALU_DEP_2)
	v_and_b32_e32 v9, 0xffff, v9
	v_or_b32_e32 v8, v10, v8
	s_delay_alu instid0(VALU_DEP_2)
	v_or_b32_e32 v37, v9, v11
.LBB1381_77:
	s_or_b32 exec_lo, exec_lo, s1
	v_add_nc_u32_e32 v11, 7, v15
	v_dual_lshrrev_b32 v9, 8, v7 :: v_dual_lshrrev_b32 v10, 16, v7
                                        ; implicit-def: $vgpr38
	s_delay_alu instid0(VALU_DEP_2) | instskip(SKIP_2) | instid1(SALU_CYCLE_1)
	v_cmp_le_u32_e32 vcc_lo, s5, v11
	v_lshrrev_b32_e32 v11, 24, v7
                                        ; implicit-def: $vgpr7
	s_and_saveexec_b32 s0, vcc_lo
	s_xor_b32 s0, exec_lo, s0
	s_cbranch_execz .LBB1381_79
; %bb.78:
	s_delay_alu instid0(VALU_DEP_1) | instskip(SKIP_1) | instid1(VALU_DEP_2)
	v_lshlrev_b16 v7, 8, v11
	v_lshlrev_b16 v9, 8, v9
                                        ; implicit-def: $vgpr11
	v_bitop3_b16 v7, v10, v7, 0xff bitop3:0xec
	v_and_b32_e32 v10, 0xff0000, v8
	s_delay_alu instid0(VALU_DEP_3) | instskip(NEXT) | instid1(VALU_DEP_3)
	v_and_b32_e32 v9, 0xffff, v9
	v_lshlrev_b32_e32 v7, 16, v7
	s_delay_alu instid0(VALU_DEP_3) | instskip(NEXT) | instid1(VALU_DEP_2)
	v_perm_b32 v38, v8, v10, 0x3020504
                                        ; implicit-def: $vgpr8
                                        ; implicit-def: $vgpr10
	v_or_b32_e32 v7, v9, v7
                                        ; implicit-def: $vgpr9
.LBB1381_79:
	s_and_not1_saveexec_b32 s1, s0
	s_cbranch_execz .LBB1381_83
; %bb.80:
	v_dual_add_nc_u32 v7, s17, v21 :: v_dual_add_nc_u32 v12, s19, v21
	s_mov_b32 s3, 0
	s_mov_b32 s4, exec_lo
	s_delay_alu instid0(VALU_DEP_1) | instskip(NEXT) | instid1(VALU_DEP_2)
	v_mul_lo_u32 v7, v7, s16
	v_mul_lo_u32 v12, v12, s18
	s_delay_alu instid0(VALU_DEP_1) | instskip(NEXT) | instid1(VALU_DEP_1)
	v_sub_nc_u32_e32 v7, v7, v12
	v_cmp_lt_u32_e32 vcc_lo, s20, v7
	v_cmpx_ge_u32_e64 s20, v7
	s_cbranch_execz .LBB1381_82
; %bb.81:
	v_dual_add_nc_u32 v7, s22, v21 :: v_dual_add_nc_u32 v12, s38, v21
	s_delay_alu instid0(VALU_DEP_1) | instskip(NEXT) | instid1(VALU_DEP_2)
	v_mul_lo_u32 v7, v7, s21
	v_mul_lo_u32 v12, v12, s23
	s_delay_alu instid0(VALU_DEP_1) | instskip(NEXT) | instid1(VALU_DEP_1)
	v_sub_nc_u32_e32 v7, v7, v12
	v_cmp_lt_u32_e64 s0, s39, v7
	s_and_b32 s3, s0, exec_lo
.LBB1381_82:
	s_or_b32 exec_lo, exec_lo, s4
	v_cndmask_b32_e64 v7, 0, 1, vcc_lo
	v_dual_lshrrev_b32 v12, 8, v8 :: v_dual_lshrrev_b32 v28, 16, v8
	v_cndmask_b32_e64 v13, 0, 1, s3
	v_lshlrev_b16 v11, 8, v11
	s_delay_alu instid0(VALU_DEP_4) | instskip(NEXT) | instid1(VALU_DEP_4)
	v_lshlrev_b16 v7, 8, v7
	v_lshlrev_b16 v12, 8, v12
	;; [unrolled: 1-line block ×3, first 2 shown]
	s_delay_alu instid0(VALU_DEP_4) | instskip(NEXT) | instid1(VALU_DEP_4)
	v_bitop3_b16 v10, v10, v11, 0xff bitop3:0xec
	v_bitop3_b16 v7, v28, v7, 0xff bitop3:0xec
	s_delay_alu instid0(VALU_DEP_4) | instskip(NEXT) | instid1(VALU_DEP_3)
	v_bitop3_b16 v8, v8, v12, 0xff bitop3:0xec
	v_dual_lshlrev_b32 v10, 16, v10 :: v_dual_bitop2_b32 v9, v13, v9 bitop3:0x54
	s_delay_alu instid0(VALU_DEP_3) | instskip(NEXT) | instid1(VALU_DEP_3)
	v_lshlrev_b32_e32 v7, 16, v7
	v_and_b32_e32 v8, 0xffff, v8
	s_delay_alu instid0(VALU_DEP_3) | instskip(NEXT) | instid1(VALU_DEP_2)
	v_and_b32_e32 v9, 0xffff, v9
	v_or_b32_e32 v38, v8, v7
	s_delay_alu instid0(VALU_DEP_2)
	v_or_b32_e32 v7, v9, v10
.LBB1381_83:
	s_or_b32 exec_lo, exec_lo, s1
	v_dual_add_nc_u32 v8, 8, v15 :: v_dual_lshrrev_b32 v13, 24, v6
	s_delay_alu instid0(VALU_DEP_2) | instskip(SKIP_1) | instid1(VALU_DEP_3)
	v_dual_lshrrev_b32 v9, 16, v7 :: v_dual_lshrrev_b32 v10, 24, v7
	v_dual_lshrrev_b32 v11, 16, v6 :: v_dual_lshrrev_b32 v12, 8, v6
	v_cmp_le_u32_e32 vcc_lo, s5, v8
                                        ; implicit-def: $vgpr6
                                        ; implicit-def: $vgpr8
	s_and_saveexec_b32 s0, vcc_lo
	s_delay_alu instid0(SALU_CYCLE_1)
	s_xor_b32 s0, exec_lo, s0
	s_cbranch_execz .LBB1381_85
; %bb.84:
	v_lshlrev_b16 v6, 8, v13
	v_lshlrev_b16 v8, 8, v12
	;; [unrolled: 1-line block ×3, first 2 shown]
	v_perm_b32 v1, v1, v1, 0x3060504
                                        ; implicit-def: $vgpr13
                                        ; implicit-def: $vgpr12
	s_delay_alu instid0(VALU_DEP_4) | instskip(NEXT) | instid1(VALU_DEP_4)
	v_bitop3_b16 v6, v11, v6, 0xff bitop3:0xec
	v_and_b32_e32 v8, 0xffff, v8
	s_delay_alu instid0(VALU_DEP_4) | instskip(NEXT) | instid1(VALU_DEP_3)
	v_bitop3_b16 v9, v9, v10, 0xff bitop3:0xec
                                        ; implicit-def: $vgpr10
                                        ; implicit-def: $vgpr11
	v_lshlrev_b32_e32 v6, 16, v6
	s_delay_alu instid0(VALU_DEP_1) | instskip(NEXT) | instid1(VALU_DEP_3)
	v_or_b32_e32 v8, v8, v6
	v_perm_b32 v6, v9, v7, 0x5040c00
                                        ; implicit-def: $vgpr7
                                        ; implicit-def: $vgpr9
.LBB1381_85:
	s_and_not1_saveexec_b32 s1, s0
	s_cbranch_execz .LBB1381_89
; %bb.86:
	v_dual_add_nc_u32 v6, s17, v18 :: v_dual_add_nc_u32 v8, s19, v18
	s_mov_b32 s3, 0
	s_mov_b32 s4, exec_lo
	s_delay_alu instid0(VALU_DEP_1) | instskip(NEXT) | instid1(VALU_DEP_2)
	v_mul_lo_u32 v6, v6, s16
	v_mul_lo_u32 v8, v8, s18
	s_delay_alu instid0(VALU_DEP_1) | instskip(NEXT) | instid1(VALU_DEP_1)
	v_sub_nc_u32_e32 v6, v6, v8
	v_cmp_lt_u32_e32 vcc_lo, s20, v6
	v_cmpx_ge_u32_e64 s20, v6
	s_cbranch_execz .LBB1381_88
; %bb.87:
	v_dual_add_nc_u32 v6, s22, v18 :: v_dual_add_nc_u32 v8, s38, v18
	s_delay_alu instid0(VALU_DEP_1) | instskip(NEXT) | instid1(VALU_DEP_2)
	v_mul_lo_u32 v6, v6, s21
	v_mul_lo_u32 v8, v8, s23
	s_delay_alu instid0(VALU_DEP_1) | instskip(NEXT) | instid1(VALU_DEP_1)
	v_sub_nc_u32_e32 v6, v6, v8
	v_cmp_lt_u32_e64 s0, s39, v6
	s_and_b32 s3, s0, exec_lo
.LBB1381_88:
	s_or_b32 exec_lo, exec_lo, s4
	v_cndmask_b32_e64 v6, 0, 1, s3
	v_cndmask_b32_e64 v8, 0, 1, vcc_lo
	v_lshlrev_b16 v13, 8, v13
	v_lshlrev_b16 v12, 8, v12
	;; [unrolled: 1-line block ×4, first 2 shown]
	s_delay_alu instid0(VALU_DEP_4) | instskip(NEXT) | instid1(VALU_DEP_4)
	v_bitop3_b16 v11, v11, v13, 0xff bitop3:0xec
	v_or_b32_e32 v8, v8, v12
	s_delay_alu instid0(VALU_DEP_4) | instskip(NEXT) | instid1(VALU_DEP_4)
	v_bitop3_b16 v9, v9, v10, 0xff bitop3:0xec
	v_bitop3_b16 v6, v7, v6, 0xff bitop3:0xec
	s_delay_alu instid0(VALU_DEP_4) | instskip(NEXT) | instid1(VALU_DEP_4)
	v_lshlrev_b32_e32 v7, 16, v11
	v_and_b32_e32 v8, 0xffff, v8
	s_delay_alu instid0(VALU_DEP_4) | instskip(NEXT) | instid1(VALU_DEP_4)
	v_lshlrev_b32_e32 v9, 16, v9
	v_and_b32_e32 v6, 0xffff, v6
	s_delay_alu instid0(VALU_DEP_3) | instskip(NEXT) | instid1(VALU_DEP_2)
	v_or_b32_e32 v8, v8, v7
	v_or_b32_e32 v6, v6, v9
.LBB1381_89:
	s_or_b32 exec_lo, exec_lo, s1
	s_delay_alu instid0(VALU_DEP_1) | instskip(NEXT) | instid1(VALU_DEP_3)
	v_dual_add_nc_u32 v7, 9, v15 :: v_dual_lshrrev_b32 v11, 8, v6
	v_dual_lshrrev_b32 v12, 24, v8 :: v_dual_lshrrev_b32 v10, 16, v8
                                        ; implicit-def: $vgpr9
	s_delay_alu instid0(VALU_DEP_2) | instskip(SKIP_1) | instid1(SALU_CYCLE_1)
	v_cmp_le_u32_e32 vcc_lo, s5, v7
                                        ; implicit-def: $vgpr7
	s_and_saveexec_b32 s0, vcc_lo
	s_xor_b32 s0, exec_lo, s0
	s_cbranch_execz .LBB1381_91
; %bb.90:
	v_lshlrev_b16 v7, 8, v11
	v_lshlrev_b16 v9, 8, v12
	v_perm_b32 v1, v1, v1, 0x3060504
                                        ; implicit-def: $vgpr11
                                        ; implicit-def: $vgpr12
	s_delay_alu instid0(VALU_DEP_3) | instskip(NEXT) | instid1(VALU_DEP_3)
	v_bitop3_b16 v7, v6, v7, 0xff bitop3:0xec
	v_bitop3_b16 v9, v10, v9, 0xff bitop3:0xec
                                        ; implicit-def: $vgpr10
	s_delay_alu instid0(VALU_DEP_2) | instskip(NEXT) | instid1(VALU_DEP_2)
	v_and_b32_e32 v7, 0xffff, v7
	v_perm_b32 v9, v9, v8, 0x5040c00
                                        ; implicit-def: $vgpr8
	s_delay_alu instid0(VALU_DEP_2)
	v_and_or_b32 v7, 0xff000000, v6, v7
                                        ; implicit-def: $vgpr6
.LBB1381_91:
	s_and_not1_saveexec_b32 s1, s0
	s_cbranch_execz .LBB1381_95
; %bb.92:
	v_dual_add_nc_u32 v7, s17, v19 :: v_dual_add_nc_u32 v9, s19, v19
	s_mov_b32 s3, 0
	s_mov_b32 s4, exec_lo
	s_delay_alu instid0(VALU_DEP_1) | instskip(NEXT) | instid1(VALU_DEP_2)
	v_mul_lo_u32 v7, v7, s16
	v_mul_lo_u32 v9, v9, s18
	s_delay_alu instid0(VALU_DEP_1) | instskip(NEXT) | instid1(VALU_DEP_1)
	v_sub_nc_u32_e32 v7, v7, v9
	v_cmp_lt_u32_e32 vcc_lo, s20, v7
	v_cmpx_ge_u32_e64 s20, v7
	s_cbranch_execz .LBB1381_94
; %bb.93:
	v_dual_add_nc_u32 v7, s22, v19 :: v_dual_add_nc_u32 v9, s38, v19
	s_delay_alu instid0(VALU_DEP_1) | instskip(NEXT) | instid1(VALU_DEP_2)
	v_mul_lo_u32 v7, v7, s21
	v_mul_lo_u32 v9, v9, s23
	s_delay_alu instid0(VALU_DEP_1) | instskip(NEXT) | instid1(VALU_DEP_1)
	v_sub_nc_u32_e32 v7, v7, v9
	v_cmp_lt_u32_e64 s0, s39, v7
	s_and_b32 s3, s0, exec_lo
.LBB1381_94:
	s_or_b32 exec_lo, exec_lo, s4
	v_cndmask_b32_e64 v7, 0, 1, vcc_lo
	v_lshrrev_b32_e32 v9, 24, v6
	v_cndmask_b32_e64 v13, 0, 1, s3
	v_lshlrev_b16 v12, 8, v12
	v_lshlrev_b16 v11, 8, v11
	;; [unrolled: 1-line block ×4, first 2 shown]
	s_delay_alu instid0(VALU_DEP_4) | instskip(NEXT) | instid1(VALU_DEP_4)
	v_bitop3_b16 v10, v10, v12, 0xff bitop3:0xec
	v_bitop3_b16 v6, v6, v11, 0xff bitop3:0xec
	s_delay_alu instid0(VALU_DEP_4) | instskip(NEXT) | instid1(VALU_DEP_3)
	v_bitop3_b16 v7, v8, v7, 0xff bitop3:0xec
	v_dual_lshlrev_b32 v9, 16, v10 :: v_dual_bitop2_b32 v8, v13, v9 bitop3:0x54
	s_delay_alu instid0(VALU_DEP_3) | instskip(NEXT) | instid1(VALU_DEP_3)
	v_and_b32_e32 v6, 0xffff, v6
	v_and_b32_e32 v7, 0xffff, v7
	s_delay_alu instid0(VALU_DEP_1) | instskip(NEXT) | instid1(VALU_DEP_1)
	v_dual_lshlrev_b32 v8, 16, v8 :: v_dual_bitop2_b32 v9, v7, v9 bitop3:0x54
	v_or_b32_e32 v7, v6, v8
.LBB1381_95:
	s_or_b32 exec_lo, exec_lo, s1
	s_delay_alu instid0(VALU_DEP_2) | instskip(NEXT) | instid1(VALU_DEP_1)
	v_dual_add_nc_u32 v6, 10, v15 :: v_dual_lshrrev_b32 v8, 8, v9
                                        ; implicit-def: $vgpr40
	v_cmp_le_u32_e32 vcc_lo, s5, v6
                                        ; implicit-def: $vgpr6
	s_and_saveexec_b32 s0, vcc_lo
	s_delay_alu instid0(SALU_CYCLE_1)
	s_xor_b32 s0, exec_lo, s0
	s_cbranch_execz .LBB1381_97
; %bb.96:
	v_lshlrev_b16 v6, 8, v8
	v_and_b32_e32 v8, 0xff0000, v7
	v_perm_b32 v1, v1, v1, 0x3060504
	s_delay_alu instid0(VALU_DEP_3) | instskip(NEXT) | instid1(VALU_DEP_3)
	v_bitop3_b16 v6, v9, v6, 0xff bitop3:0xec
	v_perm_b32 v40, v7, v8, 0x3020504
                                        ; implicit-def: $vgpr8
                                        ; implicit-def: $vgpr7
	s_delay_alu instid0(VALU_DEP_2) | instskip(NEXT) | instid1(VALU_DEP_1)
	v_and_b32_e32 v6, 0xffff, v6
	v_and_or_b32 v6, 0xff000000, v9, v6
                                        ; implicit-def: $vgpr9
.LBB1381_97:
	s_and_not1_saveexec_b32 s1, s0
	s_cbranch_execz .LBB1381_101
; %bb.98:
	v_dual_add_nc_u32 v6, s17, v16 :: v_dual_add_nc_u32 v10, s19, v16
	s_mov_b32 s3, 0
	s_mov_b32 s4, exec_lo
	s_delay_alu instid0(VALU_DEP_1) | instskip(NEXT) | instid1(VALU_DEP_2)
	v_mul_lo_u32 v6, v6, s16
	v_mul_lo_u32 v10, v10, s18
	s_delay_alu instid0(VALU_DEP_1) | instskip(NEXT) | instid1(VALU_DEP_1)
	v_sub_nc_u32_e32 v6, v6, v10
	v_cmp_lt_u32_e32 vcc_lo, s20, v6
	v_cmpx_ge_u32_e64 s20, v6
	s_cbranch_execz .LBB1381_100
; %bb.99:
	v_dual_add_nc_u32 v6, s22, v16 :: v_dual_add_nc_u32 v10, s38, v16
	s_delay_alu instid0(VALU_DEP_1) | instskip(NEXT) | instid1(VALU_DEP_2)
	v_mul_lo_u32 v6, v6, s21
	v_mul_lo_u32 v10, v10, s23
	s_delay_alu instid0(VALU_DEP_1) | instskip(NEXT) | instid1(VALU_DEP_1)
	v_sub_nc_u32_e32 v6, v6, v10
	v_cmp_lt_u32_e64 s0, s39, v6
	s_and_b32 s3, s0, exec_lo
.LBB1381_100:
	s_or_b32 exec_lo, exec_lo, s4
	v_dual_lshrrev_b32 v6, 24, v9 :: v_dual_lshrrev_b32 v12, 8, v7
	v_cndmask_b32_e64 v10, 0, 1, s3
	v_cndmask_b32_e64 v11, 0, 1, vcc_lo
	v_lshlrev_b16 v8, 8, v8
	s_delay_alu instid0(VALU_DEP_4)
	v_lshlrev_b16 v6, 8, v6
	v_lshrrev_b32_e32 v13, 16, v7
	v_lshlrev_b16 v10, 8, v10
	v_lshlrev_b16 v12, 8, v12
	v_bitop3_b16 v8, v9, v8, 0xff bitop3:0xec
	v_or_b32_e32 v6, v11, v6
	s_delay_alu instid0(VALU_DEP_4) | instskip(NEXT) | instid1(VALU_DEP_4)
	v_bitop3_b16 v9, v13, v10, 0xff bitop3:0xec
	v_bitop3_b16 v7, v7, v12, 0xff bitop3:0xec
	s_delay_alu instid0(VALU_DEP_4) | instskip(NEXT) | instid1(VALU_DEP_3)
	v_and_b32_e32 v8, 0xffff, v8
	v_dual_lshlrev_b32 v6, 16, v6 :: v_dual_lshlrev_b32 v9, 16, v9
	s_delay_alu instid0(VALU_DEP_3) | instskip(NEXT) | instid1(VALU_DEP_2)
	v_and_b32_e32 v7, 0xffff, v7
	v_or_b32_e32 v6, v8, v6
	s_delay_alu instid0(VALU_DEP_2)
	v_or_b32_e32 v40, v7, v9
.LBB1381_101:
	s_or_b32 exec_lo, exec_lo, s1
	v_dual_add_nc_u32 v7, 11, v15 :: v_dual_mov_b32 v39, 0
	s_mov_b32 s0, exec_lo
                                        ; implicit-def: $vgpr41
	s_delay_alu instid0(VALU_DEP_1)
	v_cmpx_le_u32_e64 s5, v7
	s_xor_b32 s0, exec_lo, s0
; %bb.102:
	v_and_b32_e32 v7, 0xff0000, v6
	v_perm_b32 v1, v1, v1, 0x3060504
	s_delay_alu instid0(VALU_DEP_2)
	v_perm_b32 v41, v6, v7, 0x3020504
                                        ; implicit-def: $vgpr6
; %bb.103:
	s_and_not1_saveexec_b32 s1, s0
	s_cbranch_execz .LBB1381_107
; %bb.104:
	v_dual_add_nc_u32 v7, s17, v17 :: v_dual_add_nc_u32 v8, s19, v17
	s_mov_b32 s3, 0
	s_mov_b32 s4, exec_lo
	s_delay_alu instid0(VALU_DEP_1) | instskip(NEXT) | instid1(VALU_DEP_2)
	v_mul_lo_u32 v7, v7, s16
	v_mul_lo_u32 v8, v8, s18
	s_delay_alu instid0(VALU_DEP_1) | instskip(NEXT) | instid1(VALU_DEP_1)
	v_sub_nc_u32_e32 v7, v7, v8
	v_cmp_lt_u32_e32 vcc_lo, s20, v7
	v_cmpx_ge_u32_e64 s20, v7
	s_cbranch_execz .LBB1381_106
; %bb.105:
	v_dual_add_nc_u32 v7, s22, v17 :: v_dual_add_nc_u32 v8, s38, v17
	s_delay_alu instid0(VALU_DEP_1) | instskip(NEXT) | instid1(VALU_DEP_2)
	v_mul_lo_u32 v7, v7, s21
	v_mul_lo_u32 v8, v8, s23
	s_delay_alu instid0(VALU_DEP_1) | instskip(NEXT) | instid1(VALU_DEP_1)
	v_sub_nc_u32_e32 v7, v7, v8
	v_cmp_lt_u32_e64 s0, s39, v7
	s_and_b32 s3, s0, exec_lo
.LBB1381_106:
	s_or_b32 exec_lo, exec_lo, s4
	v_cndmask_b32_e64 v7, 0, 1, vcc_lo
	v_dual_lshrrev_b32 v8, 8, v6 :: v_dual_lshrrev_b32 v9, 16, v6
	v_cndmask_b32_e64 v39, 0, 1, s3
	s_delay_alu instid0(VALU_DEP_3) | instskip(NEXT) | instid1(VALU_DEP_3)
	v_lshlrev_b16 v7, 8, v7
	v_lshlrev_b16 v8, 8, v8
	s_delay_alu instid0(VALU_DEP_2) | instskip(NEXT) | instid1(VALU_DEP_2)
	v_bitop3_b16 v7, v9, v7, 0xff bitop3:0xec
	v_bitop3_b16 v6, v6, v8, 0xff bitop3:0xec
	s_delay_alu instid0(VALU_DEP_2) | instskip(NEXT) | instid1(VALU_DEP_2)
	v_lshlrev_b32_e32 v7, 16, v7
	v_and_b32_e32 v6, 0xffff, v6
	s_delay_alu instid0(VALU_DEP_1)
	v_or_b32_e32 v41, v6, v7
.LBB1381_107:
	s_or_b32 exec_lo, exec_lo, s1
	v_dual_add_nc_u32 v8, 12, v15 :: v_dual_lshrrev_b32 v6, 8, v1
	v_dual_lshrrev_b32 v7, 16, v1 :: v_dual_lshrrev_b32 v1, 24, v1
	s_mov_b32 s0, exec_lo
                                        ; implicit-def: $vgpr42
	s_delay_alu instid0(VALU_DEP_2)
	v_cmpx_le_u32_e64 s5, v8
	s_xor_b32 s0, exec_lo, s0
; %bb.108:
	s_delay_alu instid0(VALU_DEP_2) | instskip(SKIP_1) | instid1(VALU_DEP_2)
	v_lshlrev_b16 v1, 8, v1
	v_lshlrev_b16 v6, 8, v6
	v_bitop3_b16 v1, v7, v1, 0xff bitop3:0xec
	s_delay_alu instid0(VALU_DEP_2) | instskip(NEXT) | instid1(VALU_DEP_2)
	v_and_b32_e32 v6, 0xffff, v6
                                        ; implicit-def: $vgpr7
	v_lshlrev_b32_e32 v1, 16, v1
	s_delay_alu instid0(VALU_DEP_1)
	v_or_b32_e32 v42, v6, v1
                                        ; implicit-def: $vgpr1
                                        ; implicit-def: $vgpr6
; %bb.109:
	s_or_saveexec_b32 s1, s0
	v_mov_b32_e32 v43, 0
	s_xor_b32 exec_lo, exec_lo, s1
	s_cbranch_execz .LBB1381_113
; %bb.110:
	v_dual_add_nc_u32 v8, s19, v34 :: v_dual_add_nc_u32 v9, s17, v34
	s_mov_b32 s3, 0
	s_mov_b32 s4, exec_lo
	s_delay_alu instid0(VALU_DEP_1) | instskip(NEXT) | instid1(VALU_DEP_2)
	v_mul_lo_u32 v8, v8, s18
	v_mul_lo_u32 v9, v9, s16
	s_delay_alu instid0(VALU_DEP_1) | instskip(NEXT) | instid1(VALU_DEP_1)
	v_sub_nc_u32_e32 v8, v9, v8
	v_cmp_lt_u32_e32 vcc_lo, s20, v8
	v_cmpx_ge_u32_e64 s20, v8
	s_cbranch_execz .LBB1381_112
; %bb.111:
	v_dual_add_nc_u32 v8, s38, v34 :: v_dual_add_nc_u32 v9, s22, v34
	s_delay_alu instid0(VALU_DEP_1) | instskip(NEXT) | instid1(VALU_DEP_2)
	v_mul_lo_u32 v8, v8, s23
	v_mul_lo_u32 v9, v9, s21
	s_delay_alu instid0(VALU_DEP_1) | instskip(NEXT) | instid1(VALU_DEP_1)
	v_sub_nc_u32_e32 v8, v9, v8
	v_cmp_lt_u32_e64 s0, s39, v8
	s_and_b32 s3, s0, exec_lo
.LBB1381_112:
	s_or_b32 exec_lo, exec_lo, s4
	v_cndmask_b32_e64 v8, 0, 1, vcc_lo
	v_lshlrev_b16 v1, 8, v1
	v_lshlrev_b16 v6, 8, v6
	v_cndmask_b32_e64 v43, 0, 1, s3
	s_delay_alu instid0(VALU_DEP_3) | instskip(NEXT) | instid1(VALU_DEP_1)
	v_bitop3_b16 v1, v7, v1, 0xff bitop3:0xec
	v_dual_lshlrev_b32 v1, 16, v1 :: v_dual_bitop2_b32 v6, v8, v6 bitop3:0x54
	s_delay_alu instid0(VALU_DEP_1) | instskip(NEXT) | instid1(VALU_DEP_1)
	v_and_b32_e32 v6, 0xffff, v6
	v_or_b32_e32 v42, v6, v1
.LBB1381_113:
	s_or_b32 exec_lo, exec_lo, s1
.LBB1381_114:
	v_and_b32_e32 v66, 0xff, v36
	s_delay_alu instid0(VALU_DEP_2)
	v_bfe_u32 v67, v42, 8, 8
	v_bfe_u32 v64, v36, 8, 8
	;; [unrolled: 1-line block ×4, first 2 shown]
	v_dual_lshrrev_b32 v49, 24, v42 :: v_dual_lshrrev_b32 v48, 24, v36
	v_and_b32_e32 v62, 0xff, v37
	v_and_b32_e32 v60, 0xff, v38
	v_bfe_u32 v61, v37, 8, 8
	v_add3_u32 v1, v64, v66, v63
	v_add3_u32 v6, v65, v67, v49
	v_bfe_u32 v58, v38, 8, 8
	v_bfe_u32 v59, v37, 16, 8
	;; [unrolled: 1-line block ×3, first 2 shown]
	v_dual_lshrrev_b32 v47, 24, v37 :: v_dual_lshrrev_b32 v46, 24, v38
	v_add3_u32 v1, v1, v48, v60
	v_add3_u32 v6, v6, v62, v61
	v_and_b32_e32 v57, 0xff, v40
	v_and_b32_e32 v53, 0xff, v41
	v_bfe_u32 v55, v40, 8, 8
	v_add3_u32 v1, v1, v58, v56
	v_add3_u32 v6, v6, v59, v47
	v_bfe_u32 v52, v41, 8, 8
	v_bfe_u32 v54, v40, 16, 8
	;; [unrolled: 1-line block ×3, first 2 shown]
	v_dual_lshrrev_b32 v45, 24, v40 :: v_dual_lshrrev_b32 v44, 24, v41
	v_add3_u32 v1, v1, v46, v53
	v_add3_u32 v6, v6, v57, v55
	v_mbcnt_lo_u32_b32 v68, -1, 0
	v_and_b32_e32 v50, 0xff, v39
	v_and_b32_e32 v7, 0xff, v42
	;; [unrolled: 1-line block ×3, first 2 shown]
	v_add3_u32 v1, v1, v52, v51
	v_add3_u32 v6, v6, v54, v45
	v_and_b32_e32 v70, 15, v68
	v_and_b32_e32 v72, 16, v68
	v_dual_lshrrev_b32 v69, 5, v0 :: v_dual_bitop2_b32 v71, 31, v0 bitop3:0x54
	v_add3_u32 v73, v1, v44, v7
	v_add3_u32 v74, v6, v50, v8
	v_cmp_eq_u32_e64 s1, 0, v70
	v_cmp_lt_u32_e64 s0, 1, v70
	v_cmp_lt_u32_e64 s3, 3, v70
	s_cmp_lg_u32 s27, 0
	s_mov_b32 s4, -1
	v_cmp_lt_u32_e32 vcc_lo, 7, v70
	s_cbranch_scc0 .LBB1381_135
; %bb.115:
	v_mov_b32_dpp v1, v74 row_shr:1 row_mask:0xf bank_mask:0xf
	v_mov_b32_dpp v6, v73 row_shr:1 row_mask:0xf bank_mask:0xf
	s_mov_b32 s4, exec_lo
	s_delay_alu instid0(VALU_DEP_1) | instskip(NEXT) | instid1(VALU_DEP_1)
	v_dual_add_nc_u32 v1, v1, v74 :: v_dual_add_nc_u32 v6, v6, v73
	v_dual_cndmask_b32 v1, v1, v74, s1 :: v_dual_cndmask_b32 v6, v6, v73, s1
	s_delay_alu instid0(VALU_DEP_1) | instskip(NEXT) | instid1(VALU_DEP_2)
	v_mov_b32_dpp v7, v1 row_shr:2 row_mask:0xf bank_mask:0xf
	v_mov_b32_dpp v8, v6 row_shr:2 row_mask:0xf bank_mask:0xf
	s_delay_alu instid0(VALU_DEP_1) | instskip(NEXT) | instid1(VALU_DEP_1)
	v_dual_add_nc_u32 v7, v1, v7 :: v_dual_add_nc_u32 v8, v6, v8
	v_dual_cndmask_b32 v1, v1, v7, s0 :: v_dual_cndmask_b32 v6, v6, v8, s0
	s_delay_alu instid0(VALU_DEP_1) | instskip(NEXT) | instid1(VALU_DEP_2)
	v_mov_b32_dpp v7, v1 row_shr:4 row_mask:0xf bank_mask:0xf
	v_mov_b32_dpp v8, v6 row_shr:4 row_mask:0xf bank_mask:0xf
	;; [unrolled: 6-line block ×3, first 2 shown]
	s_delay_alu instid0(VALU_DEP_1) | instskip(NEXT) | instid1(VALU_DEP_1)
	v_dual_add_nc_u32 v7, v1, v7 :: v_dual_add_nc_u32 v8, v6, v8
	v_dual_cndmask_b32 v1, v1, v7 :: v_dual_cndmask_b32 v6, v6, v8
	v_cmp_eq_u32_e32 vcc_lo, 0, v72
	ds_swizzle_b32 v7, v1 offset:swizzle(BROADCAST,32,15)
	ds_swizzle_b32 v8, v6 offset:swizzle(BROADCAST,32,15)
	s_wait_dscnt 0x0
	v_dual_add_nc_u32 v7, v1, v7 :: v_dual_add_nc_u32 v8, v6, v8
	v_cmpx_eq_u32_e64 v0, v71
; %bb.116:
	s_delay_alu instid0(VALU_DEP_2) | instskip(NEXT) | instid1(VALU_DEP_3)
	v_dual_cndmask_b32 v10, v8, v6 :: v_dual_lshlrev_b32 v9, 3, v69
	v_cndmask_b32_e32 v11, v7, v1, vcc_lo
	ds_store_b64 v9, v[10:11]
; %bb.117:
	s_or_b32 exec_lo, exec_lo, s4
	s_delay_alu instid0(SALU_CYCLE_1)
	s_mov_b32 s4, exec_lo
	s_wait_dscnt 0x0
	s_barrier_signal -1
	s_barrier_wait -1
	v_cmpx_gt_u32_e32 8, v0
	s_cbranch_execz .LBB1381_119
; %bb.118:
	v_lshlrev_b32_e32 v9, 3, v0
	ds_load_b64 v[10:11], v9
	s_wait_dscnt 0x0
	v_mov_b32_dpp v12, v10 row_shr:1 row_mask:0xf bank_mask:0xf
	v_mov_b32_dpp v13, v11 row_shr:1 row_mask:0xf bank_mask:0xf
	s_delay_alu instid0(VALU_DEP_2) | instskip(NEXT) | instid1(VALU_DEP_2)
	v_dual_add_nc_u32 v12, v12, v10 :: v_dual_bitop2_b32 v28, 7, v68 bitop3:0x40
	v_add_nc_u32_e32 v13, v13, v11
	s_delay_alu instid0(VALU_DEP_2) | instskip(NEXT) | instid1(VALU_DEP_1)
	v_cmp_eq_u32_e64 s3, 0, v28
	v_dual_cndmask_b32 v11, v13, v11, s3 :: v_dual_cndmask_b32 v10, v12, v10, s3
	v_cmp_lt_u32_e64 s3, 1, v28
	s_delay_alu instid0(VALU_DEP_2) | instskip(NEXT) | instid1(VALU_DEP_3)
	v_mov_b32_dpp v13, v11 row_shr:2 row_mask:0xf bank_mask:0xf
	v_mov_b32_dpp v12, v10 row_shr:2 row_mask:0xf bank_mask:0xf
	s_delay_alu instid0(VALU_DEP_1) | instskip(NEXT) | instid1(VALU_DEP_1)
	v_dual_add_nc_u32 v13, v11, v13 :: v_dual_add_nc_u32 v12, v10, v12
	v_dual_cndmask_b32 v11, v11, v13, s3 :: v_dual_cndmask_b32 v10, v10, v12, s3
	v_cmp_lt_u32_e64 s3, 3, v28
	s_delay_alu instid0(VALU_DEP_2) | instskip(NEXT) | instid1(VALU_DEP_3)
	v_mov_b32_dpp v13, v11 row_shr:4 row_mask:0xf bank_mask:0xf
	v_mov_b32_dpp v12, v10 row_shr:4 row_mask:0xf bank_mask:0xf
	s_delay_alu instid0(VALU_DEP_1) | instskip(NEXT) | instid1(VALU_DEP_1)
	v_dual_cndmask_b32 v13, 0, v13, s3 :: v_dual_cndmask_b32 v12, 0, v12, s3
	v_dual_add_nc_u32 v11, v13, v11 :: v_dual_add_nc_u32 v10, v12, v10
	ds_store_b64 v9, v[10:11]
.LBB1381_119:
	s_or_b32 exec_lo, exec_lo, s4
	v_dual_cndmask_b32 v1, v7, v1 :: v_dual_cndmask_b32 v6, v8, v6
	s_mov_b32 s4, exec_lo
	v_cmp_gt_u32_e32 vcc_lo, 32, v0
	s_wait_dscnt 0x0
	s_barrier_signal -1
	s_barrier_wait -1
                                        ; implicit-def: $vgpr28
	v_cmpx_lt_u32_e32 31, v0
	s_cbranch_execz .LBB1381_121
; %bb.120:
	v_lshl_add_u32 v7, v69, 3, -8
	ds_load_b64 v[28:29], v7
	s_wait_dscnt 0x0
	v_dual_add_nc_u32 v1, v29, v1 :: v_dual_add_nc_u32 v6, v28, v6
.LBB1381_121:
	s_or_b32 exec_lo, exec_lo, s4
	v_sub_co_u32 v7, s3, v68, 1
	s_delay_alu instid0(VALU_DEP_1) | instskip(NEXT) | instid1(VALU_DEP_1)
	v_cmp_gt_i32_e64 s4, 0, v7
	v_cndmask_b32_e64 v7, v7, v68, s4
	s_delay_alu instid0(VALU_DEP_1)
	v_lshlrev_b32_e32 v7, 2, v7
	ds_bpermute_b32 v75, v7, v6
	ds_bpermute_b32 v1, v7, v1
	s_and_saveexec_b32 s4, vcc_lo
	s_cbranch_execz .LBB1381_140
; %bb.122:
	v_mov_b32_e32 v9, 0
	ds_load_b64 v[6:7], v9 offset:56
	s_and_saveexec_b32 s6, s3
	s_cbranch_execz .LBB1381_124
; %bb.123:
	s_add_co_i32 s8, s27, 32
	s_mov_b32 s9, 0
	v_mov_b32_e32 v8, 1
	s_lshl_b64 s[8:9], s[8:9], 4
	s_delay_alu instid0(SALU_CYCLE_1) | instskip(NEXT) | instid1(SALU_CYCLE_1)
	s_add_nc_u64 s[8:9], s[36:37], s[8:9]
	v_mov_b64_e32 v[10:11], s[8:9]
	s_wait_dscnt 0x0
	;;#ASMSTART
	global_store_b128 v[10:11], v[6:9] off scope:SCOPE_DEV	
s_wait_storecnt 0x0
	;;#ASMEND
.LBB1381_124:
	s_or_b32 exec_lo, exec_lo, s6
	v_xad_u32 v30, v68, -1, s27
	s_mov_b32 s7, 0
	s_mov_b32 s6, exec_lo
	s_delay_alu instid0(VALU_DEP_1) | instskip(NEXT) | instid1(VALU_DEP_1)
	v_add_nc_u32_e32 v8, 32, v30
	v_lshl_add_u64 v[8:9], v[8:9], 4, s[36:37]
	;;#ASMSTART
	global_load_b128 v[10:13], v[8:9] off scope:SCOPE_DEV	
s_wait_loadcnt 0x0
	;;#ASMEND
	v_and_b32_e32 v13, 0xff, v12
	s_delay_alu instid0(VALU_DEP_1)
	v_cmpx_eq_u16_e32 0, v13
	s_cbranch_execz .LBB1381_127
.LBB1381_125:                           ; =>This Inner Loop Header: Depth=1
	;;#ASMSTART
	global_load_b128 v[10:13], v[8:9] off scope:SCOPE_DEV	
s_wait_loadcnt 0x0
	;;#ASMEND
	v_and_b32_e32 v13, 0xff, v12
	s_delay_alu instid0(VALU_DEP_1) | instskip(SKIP_1) | instid1(SALU_CYCLE_1)
	v_cmp_ne_u16_e32 vcc_lo, 0, v13
	s_or_b32 s7, vcc_lo, s7
	s_and_not1_b32 exec_lo, exec_lo, s7
	s_cbranch_execnz .LBB1381_125
; %bb.126:
	s_or_b32 exec_lo, exec_lo, s7
.LBB1381_127:
	s_delay_alu instid0(SALU_CYCLE_1) | instskip(SKIP_4) | instid1(VALU_DEP_1)
	s_or_b32 exec_lo, exec_lo, s6
	v_cmp_ne_u32_e32 vcc_lo, 31, v68
	v_lshlrev_b32_e64 v77, v68, -1
	v_lshl_or_b32 v84, v68, 2, 64
	v_add_co_ci_u32_e64 v8, null, 0, v68, vcc_lo
	v_lshlrev_b32_e32 v76, 2, v8
	v_and_b32_e32 v8, 0xff, v12
	s_delay_alu instid0(VALU_DEP_1)
	v_cmp_eq_u16_e32 vcc_lo, 2, v8
	v_and_b32_e32 v13, vcc_lo, v77
	ds_bpermute_b32 v9, v76, v11
	ds_bpermute_b32 v8, v76, v10
	v_cmp_gt_u32_e32 vcc_lo, 30, v68
	v_or_b32_e32 v13, 0x80000000, v13
	v_cndmask_b32_e64 v31, 0, 2, vcc_lo
	s_delay_alu instid0(VALU_DEP_2) | instskip(NEXT) | instid1(VALU_DEP_2)
	v_ctz_i32_b32_e32 v13, v13
	v_add_lshl_u32 v78, v31, v68, 2
	s_delay_alu instid0(VALU_DEP_2) | instskip(SKIP_2) | instid1(VALU_DEP_1)
	v_cmp_lt_u32_e32 vcc_lo, v68, v13
	s_wait_dscnt 0x0
	v_dual_add_nc_u32 v9, v9, v11 :: v_dual_add_nc_u32 v8, v8, v10
	v_dual_cndmask_b32 v9, v11, v9 :: v_dual_cndmask_b32 v8, v10, v8
	v_cmp_gt_u32_e32 vcc_lo, 28, v68
	ds_bpermute_b32 v10, v78, v9
	ds_bpermute_b32 v11, v78, v8
	v_add_nc_u32_e32 v79, 2, v68
	v_cndmask_b32_e64 v31, 0, 4, vcc_lo
	s_delay_alu instid0(VALU_DEP_1) | instskip(SKIP_4) | instid1(VALU_DEP_2)
	v_add_lshl_u32 v80, v31, v68, 2
	s_wait_dscnt 0x1
	v_add_nc_u32_e32 v10, v9, v10
	v_cmp_gt_u32_e32 vcc_lo, v79, v13
	s_wait_dscnt 0x0
	v_dual_add_nc_u32 v11, v8, v11 :: v_dual_cndmask_b32 v9, v10, v9, vcc_lo
	ds_bpermute_b32 v10, v80, v9
	v_cndmask_b32_e32 v8, v11, v8, vcc_lo
	v_cmp_gt_u32_e32 vcc_lo, 24, v68
	v_cndmask_b32_e64 v31, 0, 8, vcc_lo
	s_delay_alu instid0(VALU_DEP_1)
	v_add_lshl_u32 v82, v31, v68, 2
	s_wait_dscnt 0x0
	v_dual_mov_b32 v31, 0 :: v_dual_add_nc_u32 v10, v9, v10
	ds_bpermute_b32 v11, v80, v8
	s_wait_dscnt 0x0
	v_dual_add_nc_u32 v81, 4, v68 :: v_dual_add_nc_u32 v11, v8, v11
	s_delay_alu instid0(VALU_DEP_1) | instskip(NEXT) | instid1(VALU_DEP_2)
	v_cmp_gt_u32_e32 vcc_lo, v81, v13
	v_dual_cndmask_b32 v9, v10, v9 :: v_dual_cndmask_b32 v8, v11, v8
	ds_bpermute_b32 v10, v82, v9
	ds_bpermute_b32 v11, v82, v8
	s_wait_dscnt 0x1
	v_dual_add_nc_u32 v83, 8, v68 :: v_dual_add_nc_u32 v10, v9, v10
	s_delay_alu instid0(VALU_DEP_1) | instskip(SKIP_1) | instid1(VALU_DEP_2)
	v_cmp_gt_u32_e32 vcc_lo, v83, v13
	s_wait_dscnt 0x0
	v_dual_add_nc_u32 v11, v8, v11 :: v_dual_cndmask_b32 v9, v10, v9, vcc_lo
	s_delay_alu instid0(VALU_DEP_1) | instskip(SKIP_3) | instid1(VALU_DEP_1)
	v_cndmask_b32_e32 v8, v11, v8, vcc_lo
	ds_bpermute_b32 v11, v84, v9
	ds_bpermute_b32 v10, v84, v8
	v_add_nc_u32_e32 v85, 16, v68
	v_cmp_le_u32_e32 vcc_lo, v85, v13
	s_wait_dscnt 0x0
	v_dual_cndmask_b32 v11, 0, v11 :: v_dual_cndmask_b32 v10, 0, v10
	s_delay_alu instid0(VALU_DEP_1)
	v_dual_add_nc_u32 v11, v11, v9 :: v_dual_add_nc_u32 v10, v10, v8
	s_branch .LBB1381_131
.LBB1381_128:                           ;   in Loop: Header=BB1381_131 Depth=1
	s_or_b32 exec_lo, exec_lo, s7
.LBB1381_129:                           ;   in Loop: Header=BB1381_131 Depth=1
	s_delay_alu instid0(SALU_CYCLE_1)
	s_or_b32 exec_lo, exec_lo, s6
	ds_bpermute_b32 v13, v76, v10
	ds_bpermute_b32 v32, v76, v11
	v_and_b32_e32 v33, 0xff, v12
	v_subrev_nc_u32_e32 v30, 32, v30
	s_mov_b32 s6, 0
	s_delay_alu instid0(VALU_DEP_2) | instskip(SKIP_1) | instid1(VALU_DEP_1)
	v_cmp_eq_u16_e32 vcc_lo, 2, v33
	v_and_or_b32 v33, vcc_lo, v77, 0x80000000
	v_ctz_i32_b32_e32 v33, v33
	s_wait_dscnt 0x0
	v_dual_add_nc_u32 v13, v13, v10 :: v_dual_add_nc_u32 v32, v32, v11
	s_delay_alu instid0(VALU_DEP_2) | instskip(NEXT) | instid1(VALU_DEP_2)
	v_cmp_lt_u32_e32 vcc_lo, v68, v33
	v_dual_cndmask_b32 v11, v11, v32 :: v_dual_cndmask_b32 v10, v10, v13
	v_cmp_gt_u32_e32 vcc_lo, v79, v33
	ds_bpermute_b32 v32, v78, v11
	ds_bpermute_b32 v13, v78, v10
	s_wait_dscnt 0x0
	v_dual_add_nc_u32 v32, v11, v32 :: v_dual_add_nc_u32 v13, v10, v13
	s_delay_alu instid0(VALU_DEP_1)
	v_dual_cndmask_b32 v11, v32, v11 :: v_dual_cndmask_b32 v10, v13, v10
	v_cmp_gt_u32_e32 vcc_lo, v81, v33
	ds_bpermute_b32 v32, v80, v11
	ds_bpermute_b32 v13, v80, v10
	s_wait_dscnt 0x0
	v_dual_add_nc_u32 v32, v11, v32 :: v_dual_add_nc_u32 v13, v10, v13
	s_delay_alu instid0(VALU_DEP_1)
	;; [unrolled: 7-line block ×3, first 2 shown]
	v_dual_cndmask_b32 v11, v32, v11 :: v_dual_cndmask_b32 v10, v13, v10
	v_cmp_le_u32_e32 vcc_lo, v85, v33
	ds_bpermute_b32 v32, v84, v11
	ds_bpermute_b32 v13, v84, v10
	s_wait_dscnt 0x0
	v_dual_cndmask_b32 v32, 0, v32 :: v_dual_cndmask_b32 v13, 0, v13
	s_delay_alu instid0(VALU_DEP_1) | instskip(NEXT) | instid1(VALU_DEP_2)
	v_add3_u32 v11, v11, v9, v32
	v_add3_u32 v10, v10, v8, v13
.LBB1381_130:                           ;   in Loop: Header=BB1381_131 Depth=1
	s_and_b32 vcc_lo, exec_lo, s6
	s_cbranch_vccnz .LBB1381_136
.LBB1381_131:                           ; =>This Loop Header: Depth=1
                                        ;     Child Loop BB1381_134 Depth 2
	v_and_b32_e32 v8, 0xff, v12
	s_mov_b32 s6, -1
                                        ; implicit-def: $vgpr12
	s_delay_alu instid0(VALU_DEP_1)
	v_cmp_ne_u16_e32 vcc_lo, 2, v8
	v_mov_b64_e32 v[8:9], v[10:11]
                                        ; implicit-def: $vgpr10_vgpr11
	s_cmp_lg_u32 vcc_lo, exec_lo
	s_cbranch_scc1 .LBB1381_130
; %bb.132:                              ;   in Loop: Header=BB1381_131 Depth=1
	v_lshl_add_u64 v[32:33], v[30:31], 4, s[36:37]
	;;#ASMSTART
	global_load_b128 v[10:13], v[32:33] off scope:SCOPE_DEV	
s_wait_loadcnt 0x0
	;;#ASMEND
	v_and_b32_e32 v13, 0xff, v12
	s_mov_b32 s6, exec_lo
	s_delay_alu instid0(VALU_DEP_1)
	v_cmpx_eq_u16_e32 0, v13
	s_cbranch_execz .LBB1381_129
; %bb.133:                              ;   in Loop: Header=BB1381_131 Depth=1
	s_mov_b32 s7, 0
.LBB1381_134:                           ;   Parent Loop BB1381_131 Depth=1
                                        ; =>  This Inner Loop Header: Depth=2
	;;#ASMSTART
	global_load_b128 v[10:13], v[32:33] off scope:SCOPE_DEV	
s_wait_loadcnt 0x0
	;;#ASMEND
	v_and_b32_e32 v13, 0xff, v12
	s_delay_alu instid0(VALU_DEP_1) | instskip(SKIP_1) | instid1(SALU_CYCLE_1)
	v_cmp_ne_u16_e32 vcc_lo, 0, v13
	s_or_b32 s7, vcc_lo, s7
	s_and_not1_b32 exec_lo, exec_lo, s7
	s_cbranch_execnz .LBB1381_134
	s_branch .LBB1381_128
.LBB1381_135:
                                        ; implicit-def: $vgpr1
                                        ; implicit-def: $vgpr8
                                        ; implicit-def: $vgpr10
                                        ; implicit-def: $vgpr12
                                        ; implicit-def: $vgpr28
	s_and_b32 vcc_lo, exec_lo, s4
	s_cbranch_vccnz .LBB1381_141
	s_branch .LBB1381_150
.LBB1381_136:
	s_and_saveexec_b32 s6, s3
	s_cbranch_execz .LBB1381_138
; %bb.137:
	s_add_co_i32 s8, s27, 32
	s_mov_b32 s9, 0
	v_dual_mov_b32 v12, 2 :: v_dual_mov_b32 v13, 0
	s_lshl_b64 s[8:9], s[8:9], 4
	v_dual_add_nc_u32 v11, v9, v7 :: v_dual_add_nc_u32 v10, v8, v6
	s_add_nc_u64 s[8:9], s[36:37], s[8:9]
	s_delay_alu instid0(SALU_CYCLE_1)
	v_mov_b64_e32 v[30:31], s[8:9]
	;;#ASMSTART
	global_store_b128 v[30:31], v[10:13] off scope:SCOPE_DEV	
s_wait_storecnt 0x0
	;;#ASMEND
	ds_store_b128 v13, v[6:9] offset:13312
.LBB1381_138:
	s_or_b32 exec_lo, exec_lo, s6
	s_delay_alu instid0(SALU_CYCLE_1)
	s_and_b32 exec_lo, exec_lo, s2
; %bb.139:
	v_mov_b32_e32 v6, 0
	ds_store_b64 v6, v[8:9] offset:56
.LBB1381_140:
	s_or_b32 exec_lo, exec_lo, s4
	s_wait_dscnt 0x0
	v_dual_mov_b32 v6, 0 :: v_dual_cndmask_b32 v1, v1, v29, s3
	s_barrier_signal -1
	s_barrier_wait -1
	ds_load_b64 v[12:13], v6 offset:56
	s_wait_dscnt 0x0
	s_barrier_signal -1
	s_barrier_wait -1
	ds_load_b128 v[6:9], v6 offset:13312
	v_cndmask_b32_e64 v10, v75, v28, s3
	s_delay_alu instid0(VALU_DEP_1) | instskip(SKIP_2) | instid1(VALU_DEP_2)
	v_dual_add_nc_u32 v1, v13, v1 :: v_dual_add_nc_u32 v11, v12, v10
	s_wait_dscnt 0x0
	v_mov_b32_e32 v10, v9
	v_dual_cndmask_b32 v1, v1, v13, s2 :: v_dual_cndmask_b32 v28, v11, v12, s2
	v_mov_b32_e32 v12, v7
	s_branch .LBB1381_150
.LBB1381_141:
	v_mov_b32_dpp v1, v73 row_shr:1 row_mask:0xf bank_mask:0xf
	v_mov_b32_dpp v6, v74 row_shr:1 row_mask:0xf bank_mask:0xf
	v_cmp_lt_u32_e32 vcc_lo, 3, v70
	s_delay_alu instid0(VALU_DEP_2) | instskip(NEXT) | instid1(VALU_DEP_1)
	v_dual_add_nc_u32 v1, v1, v73 :: v_dual_add_nc_u32 v6, v6, v74
	v_dual_cndmask_b32 v1, v1, v73, s1 :: v_dual_cndmask_b32 v6, v6, v74, s1
	s_mov_b32 s1, exec_lo
	s_delay_alu instid0(VALU_DEP_1) | instskip(NEXT) | instid1(VALU_DEP_2)
	v_mov_b32_dpp v7, v1 row_shr:2 row_mask:0xf bank_mask:0xf
	v_mov_b32_dpp v8, v6 row_shr:2 row_mask:0xf bank_mask:0xf
	s_delay_alu instid0(VALU_DEP_1) | instskip(NEXT) | instid1(VALU_DEP_1)
	v_dual_add_nc_u32 v7, v1, v7 :: v_dual_add_nc_u32 v8, v6, v8
	v_dual_cndmask_b32 v1, v1, v7, s0 :: v_dual_cndmask_b32 v6, v6, v8, s0
	s_delay_alu instid0(VALU_DEP_1) | instskip(NEXT) | instid1(VALU_DEP_2)
	v_mov_b32_dpp v7, v1 row_shr:4 row_mask:0xf bank_mask:0xf
	v_mov_b32_dpp v8, v6 row_shr:4 row_mask:0xf bank_mask:0xf
	s_delay_alu instid0(VALU_DEP_1) | instskip(NEXT) | instid1(VALU_DEP_1)
	v_dual_add_nc_u32 v7, v1, v7 :: v_dual_add_nc_u32 v8, v6, v8
	v_dual_cndmask_b32 v7, v1, v7 :: v_dual_cndmask_b32 v6, v6, v8
	v_cmp_lt_u32_e32 vcc_lo, 7, v70
	s_delay_alu instid0(VALU_DEP_2) | instskip(NEXT) | instid1(VALU_DEP_3)
	v_mov_b32_dpp v1, v7 row_shr:8 row_mask:0xf bank_mask:0xf
	v_mov_b32_dpp v8, v6 row_shr:8 row_mask:0xf bank_mask:0xf
	s_delay_alu instid0(VALU_DEP_1) | instskip(NEXT) | instid1(VALU_DEP_1)
	v_dual_add_nc_u32 v9, v7, v1 :: v_dual_add_nc_u32 v1, v6, v8
	v_cndmask_b32_e32 v1, v6, v1, vcc_lo
	s_delay_alu instid0(VALU_DEP_2)
	v_cndmask_b32_e32 v6, v7, v9, vcc_lo
	v_cmp_eq_u32_e32 vcc_lo, 0, v72
	ds_swizzle_b32 v8, v6 offset:swizzle(BROADCAST,32,15)
	s_wait_dscnt 0x0
	v_add_nc_u32_e32 v8, v6, v8
	ds_swizzle_b32 v7, v1 offset:swizzle(BROADCAST,32,15)
	s_wait_dscnt 0x0
	v_add_nc_u32_e32 v7, v1, v7
	v_cmpx_eq_u32_e64 v0, v71
; %bb.142:
	s_delay_alu instid0(VALU_DEP_2)
	v_dual_cndmask_b32 v10, v8, v6 :: v_dual_cndmask_b32 v11, v7, v1
	v_lshlrev_b32_e32 v9, 3, v69
	ds_store_b64 v9, v[10:11]
; %bb.143:
	s_or_b32 exec_lo, exec_lo, s1
	s_delay_alu instid0(SALU_CYCLE_1)
	s_mov_b32 s1, exec_lo
	s_wait_dscnt 0x0
	s_barrier_signal -1
	s_barrier_wait -1
	v_cmpx_gt_u32_e32 8, v0
	s_cbranch_execz .LBB1381_145
; %bb.144:
	v_lshlrev_b32_e32 v9, 3, v0
	ds_load_b64 v[10:11], v9
	s_wait_dscnt 0x0
	v_mov_b32_dpp v12, v10 row_shr:1 row_mask:0xf bank_mask:0xf
	v_mov_b32_dpp v13, v11 row_shr:1 row_mask:0xf bank_mask:0xf
	s_delay_alu instid0(VALU_DEP_2) | instskip(NEXT) | instid1(VALU_DEP_2)
	v_dual_add_nc_u32 v12, v12, v10 :: v_dual_bitop2_b32 v28, 7, v68 bitop3:0x40
	v_add_nc_u32_e32 v13, v13, v11
	s_delay_alu instid0(VALU_DEP_2) | instskip(NEXT) | instid1(VALU_DEP_1)
	v_cmp_eq_u32_e64 s0, 0, v28
	v_dual_cndmask_b32 v11, v13, v11, s0 :: v_dual_cndmask_b32 v10, v12, v10, s0
	v_cmp_lt_u32_e64 s0, 1, v28
	s_delay_alu instid0(VALU_DEP_2) | instskip(NEXT) | instid1(VALU_DEP_3)
	v_mov_b32_dpp v13, v11 row_shr:2 row_mask:0xf bank_mask:0xf
	v_mov_b32_dpp v12, v10 row_shr:2 row_mask:0xf bank_mask:0xf
	s_delay_alu instid0(VALU_DEP_1) | instskip(NEXT) | instid1(VALU_DEP_1)
	v_dual_add_nc_u32 v13, v11, v13 :: v_dual_add_nc_u32 v12, v10, v12
	v_dual_cndmask_b32 v11, v11, v13, s0 :: v_dual_cndmask_b32 v10, v10, v12, s0
	v_cmp_lt_u32_e64 s0, 3, v28
	s_delay_alu instid0(VALU_DEP_2) | instskip(NEXT) | instid1(VALU_DEP_3)
	v_mov_b32_dpp v13, v11 row_shr:4 row_mask:0xf bank_mask:0xf
	v_mov_b32_dpp v12, v10 row_shr:4 row_mask:0xf bank_mask:0xf
	s_delay_alu instid0(VALU_DEP_1) | instskip(NEXT) | instid1(VALU_DEP_1)
	v_dual_cndmask_b32 v13, 0, v13, s0 :: v_dual_cndmask_b32 v12, 0, v12, s0
	v_dual_add_nc_u32 v11, v13, v11 :: v_dual_add_nc_u32 v10, v12, v10
	ds_store_b64 v9, v[10:11]
.LBB1381_145:
	s_or_b32 exec_lo, exec_lo, s1
	v_dual_mov_b32 v9, 0 :: v_dual_mov_b32 v10, 0
	v_mov_b32_e32 v11, 0
	s_mov_b32 s1, exec_lo
	s_wait_dscnt 0x0
	s_barrier_signal -1
	s_barrier_wait -1
	v_cmpx_lt_u32_e32 31, v0
; %bb.146:
	v_lshl_add_u32 v10, v69, 3, -8
	ds_load_b64 v[10:11], v10
; %bb.147:
	s_or_b32 exec_lo, exec_lo, s1
	v_sub_co_u32 v12, s0, v68, 1
	v_dual_cndmask_b32 v6, v8, v6 :: v_dual_cndmask_b32 v1, v7, v1
	s_delay_alu instid0(VALU_DEP_2) | instskip(SKIP_1) | instid1(VALU_DEP_1)
	v_cmp_gt_i32_e64 s1, 0, v12
	s_wait_dscnt 0x0
	v_dual_add_nc_u32 v6, v10, v6 :: v_dual_cndmask_b32 v8, v12, v68, s1
	s_delay_alu instid0(VALU_DEP_1)
	v_dual_lshlrev_b32 v7, 2, v8 :: v_dual_add_nc_u32 v8, v11, v1
	ds_bpermute_b32 v1, v7, v6
	ds_bpermute_b32 v12, v7, v8
	ds_load_b64 v[6:7], v9 offset:56
	s_and_saveexec_b32 s1, s2
	s_cbranch_execz .LBB1381_149
; %bb.148:
	s_add_nc_u64 s[6:7], s[36:37], 0x200
	v_dual_mov_b32 v8, 2 :: v_dual_mov_b32 v9, 0
	v_mov_b64_e32 v[28:29], s[6:7]
	s_wait_dscnt 0x0
	;;#ASMSTART
	global_store_b128 v[28:29], v[6:9] off scope:SCOPE_DEV	
s_wait_storecnt 0x0
	;;#ASMEND
.LBB1381_149:
	s_or_b32 exec_lo, exec_lo, s1
	s_wait_dscnt 0x1
	v_dual_cndmask_b32 v9, v12, v11, s0 :: v_dual_cndmask_b32 v11, v1, v10, s0
	v_dual_mov_b32 v10, 0 :: v_dual_mov_b32 v8, 0
	s_wait_dscnt 0x0
	v_mov_b32_e32 v12, v7
	s_delay_alu instid0(VALU_DEP_3)
	v_cndmask_b32_e64 v1, v9, 0, s2
	v_cndmask_b32_e64 v28, v11, 0, s2
	s_barrier_signal -1
	s_barrier_wait -1
.LBB1381_150:
	s_delay_alu instid0(VALU_DEP_1) | instskip(SKIP_2) | instid1(VALU_DEP_3)
	v_dual_add_nc_u32 v74, v1, v67 :: v_dual_add_nc_u32 v75, v28, v66
	v_dual_lshrrev_b32 v72, 16, v42 :: v_dual_lshrrev_b32 v7, 8, v42
	v_dual_lshrrev_b32 v73, 8, v36 :: v_dual_lshrrev_b32 v71, 16, v36
	v_dual_add_nc_u32 v65, v74, v65 :: v_dual_add_nc_u32 v64, v75, v64
	v_dual_mov_b32 v9, 0 :: v_dual_lshlrev_b32 v66, 1, v6
	s_delay_alu instid0(VALU_DEP_2) | instskip(NEXT) | instid1(VALU_DEP_3)
	v_dual_add_nc_u32 v76, v65, v49 :: v_dual_bitop2_b32 v36, 1, v36 bitop3:0x40
	v_add_nc_u32_e32 v63, v64, v63
	v_dual_sub_nc_u32 v28, v28, v8 :: v_dual_sub_nc_u32 v1, v1, v10
	s_delay_alu instid0(VALU_DEP_3) | instskip(NEXT) | instid1(VALU_DEP_3)
	v_dual_add_nc_u32 v62, v76, v62 :: v_dual_bitop2_b32 v77, 1, v7 bitop3:0x40
	v_dual_mov_b32 v7, v9 :: v_dual_add_nc_u32 v78, v63, v48
	v_mov_b32_e32 v11, v9
	s_delay_alu instid0(VALU_DEP_3) | instskip(SKIP_1) | instid1(VALU_DEP_4)
	v_dual_add_nc_u32 v1, v1, v6 :: v_dual_add_nc_u32 v61, v62, v61
	v_add3_u32 v15, v66, v12, v15
	v_add_nc_u32_e32 v60, v78, v60
	s_delay_alu instid0(VALU_DEP_3) | instskip(NEXT) | instid1(VALU_DEP_4)
	v_dual_sub_nc_u32 v74, v74, v10 :: v_dual_add_nc_u32 v81, v28, v1
	v_dual_add_nc_u32 v79, v61, v59 :: v_dual_sub_nc_u32 v75, v75, v8
	s_delay_alu instid0(VALU_DEP_3) | instskip(SKIP_1) | instid1(VALU_DEP_4)
	v_add_nc_u32_e32 v80, v60, v58
	v_cmp_eq_u32_e32 vcc_lo, 1, v77
	v_dual_add_nc_u32 v74, v74, v6 :: v_dual_sub_nc_u32 v64, v64, v8
	s_delay_alu instid0(VALU_DEP_3) | instskip(SKIP_2) | instid1(VALU_DEP_3)
	v_dual_add_nc_u32 v82, v79, v47 :: v_dual_add_nc_u32 v56, v80, v56
	v_dual_sub_nc_u32 v81, v15, v81 :: v_dual_sub_nc_u32 v65, v65, v10
	v_sub_nc_u64_e32 v[58:59], v[4:5], v[6:7]
	v_dual_add_nc_u32 v57, v82, v57 :: v_dual_add_nc_u32 v83, v56, v46
	s_delay_alu instid0(VALU_DEP_3) | instskip(SKIP_1) | instid1(VALU_DEP_3)
	v_dual_cndmask_b32 v1, v81, v1, vcc_lo :: v_dual_add_nc_u32 v81, v74, v75
	v_cmp_eq_u32_e32 vcc_lo, 1, v36
	v_dual_add_nc_u32 v55, v57, v55 :: v_dual_add_nc_u32 v77, v83, v53
	v_and_b32_e32 v72, 1, v72
	v_dual_sub_nc_u32 v63, v63, v8 :: v_dual_bitop2_b32 v49, 1, v49 bitop3:0x40
	s_delay_alu instid0(VALU_DEP_3) | instskip(NEXT) | instid1(VALU_DEP_4)
	v_dual_cndmask_b32 v1, v1, v28 :: v_dual_add_nc_u32 v28, v55, v54
	v_add_nc_u32_e32 v36, v77, v52
	v_add_nc_u32_e32 v54, v65, v6
	v_add_nc_u64_e32 v[52:53], v[58:59], v[10:11]
	s_delay_alu instid0(VALU_DEP_4)
	v_lshlrev_b32_e32 v1, 2, v1
	v_add_nc_u32_e32 v58, v28, v45
	v_dual_add_nc_u32 v51, v36, v51 :: v_dual_sub_nc_u32 v59, v15, v81
	v_add_nc_u32_e32 v65, v54, v64
	ds_store_b32 v1, v26
	v_dual_add_nc_u32 v1, v58, v50 :: v_dual_add_nc_u32 v26, v51, v44
	v_dual_sub_nc_u32 v73, v76, v10 :: v_dual_bitop2_b32 v50, 1, v73 bitop3:0x40
	v_dual_sub_nc_u32 v65, v15, v65 :: v_dual_add_nc_u32 v59, 1, v59
	v_cmp_eq_u32_e32 vcc_lo, 1, v72
	s_delay_alu instid0(VALU_DEP_3) | instskip(NEXT) | instid1(VALU_DEP_3)
	v_dual_add_nc_u32 v73, v73, v6 :: v_dual_bitop2_b32 v71, 1, v71 bitop3:0x40
	v_add_nc_u32_e32 v65, 2, v65
	v_dual_lshrrev_b32 v70, 8, v37 :: v_dual_lshrrev_b32 v69, 16, v37
	v_cndmask_b32_e32 v59, v59, v74, vcc_lo
	v_cmp_eq_u32_e32 vcc_lo, 1, v49
	v_dual_add_nc_u32 v72, v63, v73 :: v_dual_lshrrev_b32 v33, 16, v38
	v_dual_lshrrev_b32 v68, 8, v38 :: v_dual_lshrrev_b32 v31, 16, v40
	v_dual_cndmask_b32 v49, v65, v54 :: v_dual_lshrrev_b32 v32, 8, v40
	v_cmp_eq_u32_e32 vcc_lo, 1, v50
	s_delay_alu instid0(VALU_DEP_4)
	v_dual_sub_nc_u32 v54, v15, v72 :: v_dual_lshrrev_b32 v30, 8, v41
	v_dual_lshrrev_b32 v29, 16, v41 :: v_dual_sub_nc_u32 v1, v1, v10
	v_cndmask_b32_e32 v50, v59, v75, vcc_lo
	v_cmp_eq_u32_e32 vcc_lo, 1, v71
	v_dual_sub_nc_u32 v59, v62, v10 :: v_dual_bitop2_b32 v37, 1, v37 bitop3:0x40
	v_dual_add_nc_u32 v54, 3, v54 :: v_dual_bitop2_b32 v48, 1, v48 bitop3:0x40
	v_cndmask_b32_e32 v49, v49, v64, vcc_lo
	v_dual_sub_nc_u32 v62, v78, v8 :: v_dual_lshlrev_b32 v50, 2, v50
	s_delay_alu instid0(VALU_DEP_4) | instskip(SKIP_1) | instid1(VALU_DEP_4)
	v_add_nc_u32_e32 v59, v59, v6
	v_cmp_eq_u32_e32 vcc_lo, 1, v37
	v_lshlrev_b32_e32 v49, 2, v49
	v_add_nc_u64_e32 v[2:3], v[2:3], v[8:9]
	ds_store_b32 v50, v27
	v_dual_sub_nc_u32 v27, v61, v10 :: v_dual_cndmask_b32 v37, v54, v73, vcc_lo
	v_add_nc_u32_e32 v54, v62, v59
	v_cmp_eq_u32_e32 vcc_lo, 1, v48
	ds_store_b32 v49, v24
	v_dual_sub_nc_u32 v48, v60, v8 :: v_dual_sub_nc_u32 v50, v79, v10
	v_dual_cndmask_b32 v37, v37, v63 :: v_dual_sub_nc_u32 v24, v15, v54
	v_dual_add_nc_u32 v27, v27, v6 :: v_dual_mov_b32 v67, v9
	s_delay_alu instid0(VALU_DEP_2) | instskip(NEXT) | instid1(VALU_DEP_3)
	v_dual_mov_b32 v13, v9 :: v_dual_add_nc_u32 v24, 4, v24
	v_dual_lshlrev_b32 v37, 2, v37 :: v_dual_bitop2_b32 v49, 1, v70 bitop3:0x40
	s_delay_alu instid0(VALU_DEP_3)
	v_add_nc_u32_e32 v54, v48, v27
	s_mov_b32 s0, -1
	v_and_b32_e32 v40, 1, v40
	ds_store_b32 v37, v25
	v_cmp_eq_u32_e32 vcc_lo, 1, v49
	v_dual_sub_nc_u32 v49, v80, v8 :: v_dual_bitop2_b32 v38, 1, v38 bitop3:0x40
	v_dual_add_nc_u32 v50, v50, v6 :: v_dual_bitop2_b32 v37, 1, v69 bitop3:0x40
	v_cndmask_b32_e32 v24, v24, v59, vcc_lo
	s_delay_alu instid0(VALU_DEP_3) | instskip(SKIP_1) | instid1(VALU_DEP_3)
	v_cmp_eq_u32_e32 vcc_lo, 1, v38
	v_and_b32_e32 v32, 1, v32
	v_dual_cndmask_b32 v24, v24, v62, vcc_lo :: v_dual_bitop2_b32 v31, 1, v31 bitop3:0x40
	v_sub_nc_u32_e32 v54, v15, v54
	v_cmp_eq_u32_e32 vcc_lo, 1, v37
	s_delay_alu instid0(VALU_DEP_3) | instskip(NEXT) | instid1(VALU_DEP_3)
	v_dual_sub_nc_u32 v37, v57, v10 :: v_dual_lshlrev_b32 v24, 2, v24
	v_add_nc_u32_e32 v38, 5, v54
	v_dual_add_nc_u32 v25, v49, v50 :: v_dual_bitop2_b32 v54, 1, v68 bitop3:0x40
	ds_store_b32 v24, v22
	v_dual_cndmask_b32 v27, v38, v27, vcc_lo :: v_dual_sub_nc_u32 v25, v15, v25
	v_and_b32_e32 v22, 1, v47
	v_cmp_eq_u32_e32 vcc_lo, 1, v54
	v_dual_sub_nc_u32 v38, v55, v10 :: v_dual_sub_nc_u32 v47, v77, v8
	s_delay_alu instid0(VALU_DEP_4) | instskip(SKIP_3) | instid1(VALU_DEP_3)
	v_dual_cndmask_b32 v25, v27, v48 :: v_dual_add_nc_u32 v24, 6, v25
	v_sub_nc_u32_e32 v27, v82, v10
	v_cmp_eq_u32_e32 vcc_lo, 1, v22
	v_and_b32_e32 v33, 1, v33
	v_dual_lshlrev_b32 v25, 2, v25 :: v_dual_add_nc_u32 v27, v27, v6
	v_cndmask_b32_e32 v22, v24, v50, vcc_lo
	v_sub_nc_u32_e32 v24, v56, v8
	s_delay_alu instid0(VALU_DEP_4)
	v_cmp_eq_u32_e32 vcc_lo, 1, v33
	ds_store_b32 v25, v23
	v_dual_sub_nc_u32 v23, v83, v8 :: v_dual_add_nc_u32 v25, v37, v6
	v_dual_cndmask_b32 v22, v22, v49 :: v_dual_add_nc_u32 v33, v24, v27
	v_and_b32_e32 v37, 1, v46
	v_cmp_eq_u32_e32 vcc_lo, 1, v40
	s_delay_alu instid0(VALU_DEP_4) | instskip(NEXT) | instid1(VALU_DEP_4)
	v_add_nc_u32_e32 v46, v23, v25
	v_dual_sub_nc_u32 v33, v15, v33 :: v_dual_lshlrev_b32 v22, 2, v22
	s_delay_alu instid0(VALU_DEP_1)
	v_dual_sub_nc_u32 v46, v15, v46 :: v_dual_add_nc_u32 v33, 7, v33
	v_add_nc_u32_e32 v38, v38, v6
	ds_store_b32 v22, v20
	v_dual_cndmask_b32 v27, v33, v27, vcc_lo :: v_dual_bitop2_b32 v22, 1, v45 bitop3:0x40
	v_cmp_eq_u32_e32 vcc_lo, 1, v37
	v_add_nc_u32_e32 v33, v47, v38
	s_delay_alu instid0(VALU_DEP_3) | instskip(SKIP_2) | instid1(VALU_DEP_3)
	v_dual_add_nc_u32 v40, 8, v46 :: v_dual_cndmask_b32 v24, v27, v24, vcc_lo
	v_and_b32_e32 v27, 1, v41
	v_cmp_eq_u32_e32 vcc_lo, 1, v32
	v_dual_sub_nc_u32 v33, v15, v33 :: v_dual_lshlrev_b32 v24, 2, v24
	s_delay_alu instid0(VALU_DEP_4) | instskip(NEXT) | instid1(VALU_DEP_4)
	v_cndmask_b32_e32 v25, v40, v25, vcc_lo
	v_cmp_eq_u32_e32 vcc_lo, 1, v27
	s_delay_alu instid0(VALU_DEP_3) | instskip(NEXT) | instid1(VALU_DEP_3)
	v_dual_add_nc_u32 v32, 9, v33 :: v_dual_bitop2_b32 v27, 1, v30 bitop3:0x40
	v_dual_cndmask_b32 v23, v25, v23 :: v_dual_sub_nc_u32 v30, v36, v8
	v_sub_nc_u32_e32 v25, v28, v10
	v_cmp_eq_u32_e32 vcc_lo, 1, v31
	s_delay_alu instid0(VALU_DEP_2)
	v_dual_lshlrev_b32 v23, 2, v23 :: v_dual_add_nc_u32 v25, v25, v6
	v_cndmask_b32_e32 v28, v32, v38, vcc_lo
	v_cmp_eq_u32_e32 vcc_lo, 1, v27
	ds_store_b32 v24, v21
	ds_store_b32 v23, v18
	v_sub_nc_u32_e32 v21, v58, v10
	v_dual_add_nc_u32 v20, v30, v25 :: v_dual_sub_nc_u32 v23, v51, v8
	v_dual_cndmask_b32 v27, v28, v47 :: v_dual_sub_nc_u32 v8, v26, v8
	s_delay_alu instid0(VALU_DEP_2) | instskip(NEXT) | instid1(VALU_DEP_2)
	v_dual_add_nc_u32 v1, v1, v6 :: v_dual_sub_nc_u32 v20, v15, v20
	v_dual_add_nc_u32 v21, v21, v6 :: v_dual_lshlrev_b32 v18, 2, v27
	v_cmp_eq_u32_e32 vcc_lo, 1, v22
	s_delay_alu instid0(VALU_DEP_3) | instskip(SKIP_3) | instid1(VALU_DEP_1)
	v_dual_add_nc_u32 v22, v8, v1 :: v_dual_add_nc_u32 v20, 10, v20
	ds_store_b32 v18, v19
	v_cndmask_b32_e32 v20, v20, v25, vcc_lo
	v_add_nc_u32_e32 v26, v23, v21
	v_dual_sub_nc_u32 v18, v15, v26 :: v_dual_bitop2_b32 v24, 1, v29 bitop3:0x40
	s_delay_alu instid0(VALU_DEP_1) | instskip(SKIP_1) | instid1(VALU_DEP_3)
	v_cmp_eq_u32_e32 vcc_lo, 1, v24
	v_dual_sub_nc_u32 v15, v15, v22 :: v_dual_bitop2_b32 v24, 1, v39 bitop3:0x40
	v_dual_add_nc_u32 v25, 11, v18 :: v_dual_bitop2_b32 v22, 1, v44 bitop3:0x40
	v_cndmask_b32_e32 v20, v20, v30, vcc_lo
	s_delay_alu instid0(VALU_DEP_3) | instskip(SKIP_4) | instid1(VALU_DEP_4)
	v_cmp_eq_u32_e32 vcc_lo, 1, v24
	v_and_b32_e32 v26, 1, v43
	v_dual_add_nc_u32 v15, 12, v15 :: v_dual_bitop2_b32 v24, 1, v42 bitop3:0x40
	v_add_nc_u64_e32 v[18:19], v[12:13], v[66:67]
	v_cndmask_b32_e32 v21, v25, v21, vcc_lo
	v_cmp_eq_u32_e32 vcc_lo, 1, v26
	s_delay_alu instid0(VALU_DEP_4)
	v_dual_cndmask_b32 v1, v15, v1 :: v_dual_lshlrev_b32 v20, 2, v20
	v_cmp_eq_u32_e32 vcc_lo, 1, v22
	v_add_nc_u64_e32 v[18:19], v[18:19], v[52:53]
	v_mov_b32_e32 v15, v9
	ds_store_b32 v20, v16
	v_cndmask_b32_e32 v21, v21, v23, vcc_lo
	v_cmp_eq_u32_e32 vcc_lo, 1, v24
	s_delay_alu instid0(VALU_DEP_2)
	v_dual_cndmask_b32 v1, v1, v8 :: v_dual_lshlrev_b32 v22, 2, v21
	v_add_nc_u64_e32 v[8:9], s[34:35], v[14:15]
	v_add_nc_u64_e32 v[14:15], v[18:19], v[2:3]
	v_lshlrev_b64_e32 v[18:19], 2, v[52:53]
	v_lshlrev_b64_e32 v[20:21], 2, v[2:3]
	v_lshlrev_b32_e32 v1, 2, v1
	v_cmp_ne_u32_e32 vcc_lo, 1, v35
	v_sub_nc_u64_e32 v[14:15], v[8:9], v[14:15]
	v_add_nc_u64_e32 v[8:9], s[30:31], v[18:19]
	v_add_nc_u32_e32 v18, v6, v12
	ds_store_b32 v22, v17
	ds_store_b32 v1, v34
	v_add_nc_u64_e32 v[16:17], s[28:29], v[20:21]
	s_wait_dscnt 0x0
	s_barrier_signal -1
	s_barrier_wait -1
	s_cbranch_vccz .LBB1381_154
; %bb.151:
	s_and_b32 vcc_lo, exec_lo, s0
	s_cbranch_vccnz .LBB1381_259
.LBB1381_152:
	s_and_b32 s0, s2, s26
	s_delay_alu instid0(SALU_CYCLE_1)
	s_and_saveexec_b32 s1, s0
	s_cbranch_execnz .LBB1381_377
.LBB1381_153:
	s_sendmsg sendmsg(MSG_DEALLOC_VGPRS)
	s_endpgm
.LBB1381_154:
	s_mov_b32 s0, exec_lo
	v_cmpx_ge_u32_e64 v0, v6
	s_xor_b32 s0, exec_lo, s0
	s_cbranch_execz .LBB1381_160
; %bb.155:
	v_mov_b32_e32 v1, 0
	s_mov_b32 s1, exec_lo
	v_cmpx_ge_u32_e64 v0, v18
	s_xor_b32 s1, exec_lo, s1
	s_cbranch_execz .LBB1381_157
; %bb.156:
	v_lshlrev_b32_e32 v19, 2, v0
	v_add_nc_u64_e32 v[20:21], v[14:15], v[0:1]
	ds_load_b32 v1, v19
	v_lshlrev_b64_e32 v[20:21], 2, v[20:21]
	s_delay_alu instid0(VALU_DEP_1)
	v_sub_nc_u64_e32 v[20:21], s[14:15], v[20:21]
	s_wait_dscnt 0x0
	global_store_b32 v[20:21], v1, off offset:-4
.LBB1381_157:
	s_wait_xcnt 0x0
	s_and_not1_saveexec_b32 s1, s1
	s_cbranch_execz .LBB1381_159
; %bb.158:
	v_lshlrev_b32_e32 v1, 2, v0
	v_readfirstlane_b32 s6, v8
	v_readfirstlane_b32 s7, v9
	ds_load_b32 v1, v1
	s_wait_dscnt 0x0
	global_store_b32 v0, v1, s[6:7] scale_offset
.LBB1381_159:
	s_wait_xcnt 0x0
	s_or_b32 exec_lo, exec_lo, s1
.LBB1381_160:
	s_and_not1_saveexec_b32 s0, s0
	s_cbranch_execz .LBB1381_162
; %bb.161:
	v_lshlrev_b32_e32 v1, 2, v0
	v_readfirstlane_b32 s6, v16
	v_readfirstlane_b32 s7, v17
	ds_load_b32 v1, v1
	s_wait_dscnt 0x0
	global_store_b32 v0, v1, s[6:7] scale_offset
.LBB1381_162:
	s_wait_xcnt 0x0
	s_or_b32 exec_lo, exec_lo, s0
	v_or_b32_e32 v1, 0x100, v0
	s_mov_b32 s0, exec_lo
	s_delay_alu instid0(VALU_DEP_1)
	v_cmpx_ge_u32_e64 v1, v6
	s_xor_b32 s0, exec_lo, s0
	s_cbranch_execz .LBB1381_168
; %bb.163:
	s_mov_b32 s1, exec_lo
	v_cmpx_ge_u32_e64 v1, v18
	s_xor_b32 s1, exec_lo, s1
	s_cbranch_execz .LBB1381_165
; %bb.164:
	v_dual_mov_b32 v1, 0 :: v_dual_lshlrev_b32 v19, 2, v0
	s_delay_alu instid0(VALU_DEP_1) | instskip(SKIP_2) | instid1(VALU_DEP_1)
	v_add_nc_u64_e32 v[20:21], v[14:15], v[0:1]
	ds_load_b32 v1, v19 offset:1024
	v_lshlrev_b64_e32 v[20:21], 2, v[20:21]
	v_sub_nc_u64_e32 v[20:21], s[14:15], v[20:21]
	s_wait_dscnt 0x0
	global_store_b32 v[20:21], v1, off offset:-1028
.LBB1381_165:
	s_wait_xcnt 0x0
	s_and_not1_saveexec_b32 s1, s1
	s_cbranch_execz .LBB1381_167
; %bb.166:
	v_lshlrev_b32_e32 v1, 2, v0
	v_readfirstlane_b32 s6, v8
	v_readfirstlane_b32 s7, v9
	ds_load_b32 v1, v1 offset:1024
	s_wait_dscnt 0x0
	global_store_b32 v0, v1, s[6:7] offset:1024 scale_offset
.LBB1381_167:
	s_wait_xcnt 0x0
	s_or_b32 exec_lo, exec_lo, s1
.LBB1381_168:
	s_and_not1_saveexec_b32 s0, s0
	s_cbranch_execz .LBB1381_170
; %bb.169:
	v_lshlrev_b32_e32 v1, 2, v0
	v_readfirstlane_b32 s6, v16
	v_readfirstlane_b32 s7, v17
	ds_load_b32 v1, v1 offset:1024
	s_wait_dscnt 0x0
	global_store_b32 v0, v1, s[6:7] offset:1024 scale_offset
.LBB1381_170:
	s_wait_xcnt 0x0
	s_or_b32 exec_lo, exec_lo, s0
	v_or_b32_e32 v1, 0x200, v0
	s_mov_b32 s0, exec_lo
	s_delay_alu instid0(VALU_DEP_1)
	v_cmpx_ge_u32_e64 v1, v6
	s_xor_b32 s0, exec_lo, s0
	s_cbranch_execz .LBB1381_176
; %bb.171:
	s_mov_b32 s1, exec_lo
	v_cmpx_ge_u32_e64 v1, v18
	s_xor_b32 s1, exec_lo, s1
	s_cbranch_execz .LBB1381_173
; %bb.172:
	v_dual_mov_b32 v1, 0 :: v_dual_lshlrev_b32 v19, 2, v0
	s_delay_alu instid0(VALU_DEP_1) | instskip(SKIP_2) | instid1(VALU_DEP_1)
	v_add_nc_u64_e32 v[20:21], v[14:15], v[0:1]
	ds_load_b32 v1, v19 offset:2048
	v_lshlrev_b64_e32 v[20:21], 2, v[20:21]
	v_sub_nc_u64_e32 v[20:21], s[14:15], v[20:21]
	s_wait_dscnt 0x0
	global_store_b32 v[20:21], v1, off offset:-2052
.LBB1381_173:
	s_wait_xcnt 0x0
	s_and_not1_saveexec_b32 s1, s1
	s_cbranch_execz .LBB1381_175
; %bb.174:
	v_lshlrev_b32_e32 v1, 2, v0
	v_readfirstlane_b32 s6, v8
	v_readfirstlane_b32 s7, v9
	ds_load_b32 v1, v1 offset:2048
	s_wait_dscnt 0x0
	global_store_b32 v0, v1, s[6:7] offset:2048 scale_offset
.LBB1381_175:
	s_wait_xcnt 0x0
	s_or_b32 exec_lo, exec_lo, s1
.LBB1381_176:
	s_and_not1_saveexec_b32 s0, s0
	s_cbranch_execz .LBB1381_178
; %bb.177:
	v_lshlrev_b32_e32 v1, 2, v0
	v_readfirstlane_b32 s6, v16
	v_readfirstlane_b32 s7, v17
	ds_load_b32 v1, v1 offset:2048
	s_wait_dscnt 0x0
	global_store_b32 v0, v1, s[6:7] offset:2048 scale_offset
.LBB1381_178:
	;; [unrolled: 47-line block ×12, first 2 shown]
	s_wait_xcnt 0x0
	s_or_b32 exec_lo, exec_lo, s0
	s_branch .LBB1381_152
.LBB1381_259:
	s_mov_b32 s0, exec_lo
	v_cmpx_gt_u32_e64 s5, v0
	s_cbranch_execz .LBB1381_268
; %bb.260:
	s_mov_b32 s1, exec_lo
	v_cmpx_ge_u32_e64 v0, v6
	s_xor_b32 s1, exec_lo, s1
	s_cbranch_execz .LBB1381_266
; %bb.261:
	v_mov_b32_e32 v1, 0
	s_mov_b32 s3, exec_lo
	v_cmpx_ge_u32_e64 v0, v18
	s_xor_b32 s3, exec_lo, s3
	s_cbranch_execz .LBB1381_263
; %bb.262:
	v_lshlrev_b32_e32 v19, 2, v0
	v_add_nc_u64_e32 v[20:21], v[14:15], v[0:1]
	ds_load_b32 v1, v19
	v_lshlrev_b64_e32 v[20:21], 2, v[20:21]
	s_delay_alu instid0(VALU_DEP_1)
	v_sub_nc_u64_e32 v[20:21], s[14:15], v[20:21]
	s_wait_dscnt 0x0
	global_store_b32 v[20:21], v1, off offset:-4
.LBB1381_263:
	s_wait_xcnt 0x0
	s_and_not1_saveexec_b32 s3, s3
	s_cbranch_execz .LBB1381_265
; %bb.264:
	v_lshlrev_b32_e32 v1, 2, v0
	v_readfirstlane_b32 s6, v8
	v_readfirstlane_b32 s7, v9
	ds_load_b32 v1, v1
	s_wait_dscnt 0x0
	global_store_b32 v0, v1, s[6:7] scale_offset
.LBB1381_265:
	s_wait_xcnt 0x0
	s_or_b32 exec_lo, exec_lo, s3
.LBB1381_266:
	s_and_not1_saveexec_b32 s1, s1
	s_cbranch_execz .LBB1381_268
; %bb.267:
	v_lshlrev_b32_e32 v1, 2, v0
	v_readfirstlane_b32 s6, v16
	v_readfirstlane_b32 s7, v17
	ds_load_b32 v1, v1
	s_wait_dscnt 0x0
	global_store_b32 v0, v1, s[6:7] scale_offset
.LBB1381_268:
	s_wait_xcnt 0x0
	s_or_b32 exec_lo, exec_lo, s0
	v_or_b32_e32 v1, 0x100, v0
	s_mov_b32 s0, exec_lo
	s_delay_alu instid0(VALU_DEP_1)
	v_cmpx_gt_u32_e64 s5, v1
	s_cbranch_execz .LBB1381_277
; %bb.269:
	s_mov_b32 s1, exec_lo
	v_cmpx_ge_u32_e64 v1, v6
	s_xor_b32 s1, exec_lo, s1
	s_cbranch_execz .LBB1381_275
; %bb.270:
	s_mov_b32 s3, exec_lo
	v_cmpx_ge_u32_e64 v1, v18
	s_xor_b32 s3, exec_lo, s3
	s_cbranch_execz .LBB1381_272
; %bb.271:
	v_dual_mov_b32 v1, 0 :: v_dual_lshlrev_b32 v19, 2, v0
	s_delay_alu instid0(VALU_DEP_1) | instskip(SKIP_2) | instid1(VALU_DEP_1)
	v_add_nc_u64_e32 v[20:21], v[14:15], v[0:1]
	ds_load_b32 v1, v19 offset:1024
	v_lshlrev_b64_e32 v[20:21], 2, v[20:21]
	v_sub_nc_u64_e32 v[20:21], s[14:15], v[20:21]
	s_wait_dscnt 0x0
	global_store_b32 v[20:21], v1, off offset:-1028
.LBB1381_272:
	s_wait_xcnt 0x0
	s_and_not1_saveexec_b32 s3, s3
	s_cbranch_execz .LBB1381_274
; %bb.273:
	v_lshlrev_b32_e32 v1, 2, v0
	v_readfirstlane_b32 s6, v8
	v_readfirstlane_b32 s7, v9
	ds_load_b32 v1, v1 offset:1024
	s_wait_dscnt 0x0
	global_store_b32 v0, v1, s[6:7] offset:1024 scale_offset
.LBB1381_274:
	s_wait_xcnt 0x0
	s_or_b32 exec_lo, exec_lo, s3
.LBB1381_275:
	s_and_not1_saveexec_b32 s1, s1
	s_cbranch_execz .LBB1381_277
; %bb.276:
	v_lshlrev_b32_e32 v1, 2, v0
	v_readfirstlane_b32 s6, v16
	v_readfirstlane_b32 s7, v17
	ds_load_b32 v1, v1 offset:1024
	s_wait_dscnt 0x0
	global_store_b32 v0, v1, s[6:7] offset:1024 scale_offset
.LBB1381_277:
	s_wait_xcnt 0x0
	s_or_b32 exec_lo, exec_lo, s0
	v_or_b32_e32 v1, 0x200, v0
	s_mov_b32 s0, exec_lo
	s_delay_alu instid0(VALU_DEP_1)
	v_cmpx_gt_u32_e64 s5, v1
	s_cbranch_execz .LBB1381_286
; %bb.278:
	s_mov_b32 s1, exec_lo
	v_cmpx_ge_u32_e64 v1, v6
	s_xor_b32 s1, exec_lo, s1
	s_cbranch_execz .LBB1381_284
; %bb.279:
	s_mov_b32 s3, exec_lo
	v_cmpx_ge_u32_e64 v1, v18
	s_xor_b32 s3, exec_lo, s3
	s_cbranch_execz .LBB1381_281
; %bb.280:
	v_dual_mov_b32 v1, 0 :: v_dual_lshlrev_b32 v19, 2, v0
	s_delay_alu instid0(VALU_DEP_1) | instskip(SKIP_2) | instid1(VALU_DEP_1)
	v_add_nc_u64_e32 v[20:21], v[14:15], v[0:1]
	ds_load_b32 v1, v19 offset:2048
	v_lshlrev_b64_e32 v[20:21], 2, v[20:21]
	v_sub_nc_u64_e32 v[20:21], s[14:15], v[20:21]
	s_wait_dscnt 0x0
	global_store_b32 v[20:21], v1, off offset:-2052
.LBB1381_281:
	s_wait_xcnt 0x0
	s_and_not1_saveexec_b32 s3, s3
	s_cbranch_execz .LBB1381_283
; %bb.282:
	v_lshlrev_b32_e32 v1, 2, v0
	v_readfirstlane_b32 s6, v8
	v_readfirstlane_b32 s7, v9
	ds_load_b32 v1, v1 offset:2048
	s_wait_dscnt 0x0
	global_store_b32 v0, v1, s[6:7] offset:2048 scale_offset
.LBB1381_283:
	s_wait_xcnt 0x0
	s_or_b32 exec_lo, exec_lo, s3
.LBB1381_284:
	s_and_not1_saveexec_b32 s1, s1
	s_cbranch_execz .LBB1381_286
; %bb.285:
	v_lshlrev_b32_e32 v1, 2, v0
	v_readfirstlane_b32 s6, v16
	v_readfirstlane_b32 s7, v17
	ds_load_b32 v1, v1 offset:2048
	s_wait_dscnt 0x0
	global_store_b32 v0, v1, s[6:7] offset:2048 scale_offset
.LBB1381_286:
	;; [unrolled: 51-line block ×11, first 2 shown]
	s_wait_xcnt 0x0
	s_or_b32 exec_lo, exec_lo, s0
	v_or_b32_e32 v1, 0xc00, v0
	s_mov_b32 s0, exec_lo
	s_delay_alu instid0(VALU_DEP_1)
	v_cmpx_gt_u32_e64 s5, v1
	s_cbranch_execz .LBB1381_376
; %bb.368:
	s_mov_b32 s1, exec_lo
	v_cmpx_ge_u32_e64 v1, v6
	s_xor_b32 s1, exec_lo, s1
	s_cbranch_execz .LBB1381_374
; %bb.369:
	s_mov_b32 s3, exec_lo
	v_cmpx_ge_u32_e64 v1, v18
	s_xor_b32 s3, exec_lo, s3
	s_cbranch_execz .LBB1381_371
; %bb.370:
	v_dual_mov_b32 v1, 0 :: v_dual_lshlrev_b32 v8, 2, v0
	s_delay_alu instid0(VALU_DEP_1) | instskip(SKIP_2) | instid1(VALU_DEP_1)
	v_add_nc_u64_e32 v[0:1], v[14:15], v[0:1]
	ds_load_b32 v8, v8 offset:12288
	v_lshlrev_b64_e32 v[0:1], 2, v[0:1]
	v_sub_nc_u64_e32 v[0:1], s[14:15], v[0:1]
	s_wait_dscnt 0x0
	global_store_b32 v[0:1], v8, off offset:-12292
                                        ; implicit-def: $vgpr0
                                        ; implicit-def: $vgpr8_vgpr9
.LBB1381_371:
	s_wait_xcnt 0x0
	s_and_not1_saveexec_b32 s3, s3
	s_cbranch_execz .LBB1381_373
; %bb.372:
	v_lshlrev_b32_e32 v1, 2, v0
	v_readfirstlane_b32 s4, v8
	v_readfirstlane_b32 s5, v9
	ds_load_b32 v1, v1 offset:12288
	s_wait_dscnt 0x0
	global_store_b32 v0, v1, s[4:5] offset:12288 scale_offset
.LBB1381_373:
	s_wait_xcnt 0x0
	s_or_b32 exec_lo, exec_lo, s3
                                        ; implicit-def: $vgpr0
                                        ; implicit-def: $vgpr16_vgpr17
.LBB1381_374:
	s_and_not1_saveexec_b32 s1, s1
	s_cbranch_execz .LBB1381_376
; %bb.375:
	v_lshlrev_b32_e32 v1, 2, v0
	v_readfirstlane_b32 s4, v16
	v_readfirstlane_b32 s5, v17
	ds_load_b32 v1, v1 offset:12288
	s_wait_dscnt 0x0
	global_store_b32 v0, v1, s[4:5] offset:12288 scale_offset
.LBB1381_376:
	s_wait_xcnt 0x0
	s_or_b32 exec_lo, exec_lo, s0
	s_and_b32 s0, s2, s26
	s_delay_alu instid0(SALU_CYCLE_1)
	s_and_saveexec_b32 s1, s0
	s_cbranch_execz .LBB1381_153
.LBB1381_377:
	v_add_nc_u64_e32 v[0:1], v[4:5], v[12:13]
	v_add_nc_u64_e32 v[2:3], v[2:3], v[6:7]
	s_delay_alu instid0(VALU_DEP_2)
	v_add_nc_u64_e32 v[4:5], v[0:1], v[10:11]
	v_mov_b32_e32 v0, 0
	global_store_b128 v0, v[2:5], s[24:25]
	s_sendmsg sendmsg(MSG_DEALLOC_VGPRS)
	s_endpgm
	.section	.rodata,"a",@progbits
	.p2align	6, 0x0
	.amdhsa_kernel _ZN7rocprim17ROCPRIM_400000_NS6detail17trampoline_kernelINS0_13select_configILj256ELj13ELNS0_17block_load_methodE3ELS4_3ELS4_3ELNS0_20block_scan_algorithmE0ELj4294967295EEENS1_25partition_config_selectorILNS1_17partition_subalgoE4EjNS0_10empty_typeEbEEZZNS1_14partition_implILS8_4ELb0ES6_15HIP_vector_typeIjLj2EENS0_17counting_iteratorIjlEEPS9_SG_NS0_5tupleIJPjSI_NS0_16reverse_iteratorISI_EEEEENSH_IJSG_SG_SG_EEES9_SI_JZNS1_25segmented_radix_sort_implINS0_14default_configELb0EPKfPfPKlPlN2at6native12_GLOBAL__N_18offset_tEEE10hipError_tPvRmT1_PNSt15iterator_traitsIS12_E10value_typeET2_T3_PNS13_IS18_E10value_typeET4_jRbjT5_S1E_jjP12ihipStream_tbEUljE_ZNSN_ISO_Lb0ESQ_SR_ST_SU_SY_EESZ_S10_S11_S12_S16_S17_S18_S1B_S1C_jS1D_jS1E_S1E_jjS1G_bEUljE0_EEESZ_S10_S11_S18_S1C_S1E_T6_T7_T9_mT8_S1G_bDpT10_ENKUlT_T0_E_clISt17integral_constantIbLb0EES1T_IbLb1EEEEDaS1P_S1Q_EUlS1P_E_NS1_11comp_targetILNS1_3genE0ELNS1_11target_archE4294967295ELNS1_3gpuE0ELNS1_3repE0EEENS1_30default_config_static_selectorELNS0_4arch9wavefront6targetE0EEEvS12_
		.amdhsa_group_segment_fixed_size 13328
		.amdhsa_private_segment_fixed_size 0
		.amdhsa_kernarg_size 184
		.amdhsa_user_sgpr_count 2
		.amdhsa_user_sgpr_dispatch_ptr 0
		.amdhsa_user_sgpr_queue_ptr 0
		.amdhsa_user_sgpr_kernarg_segment_ptr 1
		.amdhsa_user_sgpr_dispatch_id 0
		.amdhsa_user_sgpr_kernarg_preload_length 0
		.amdhsa_user_sgpr_kernarg_preload_offset 0
		.amdhsa_user_sgpr_private_segment_size 0
		.amdhsa_wavefront_size32 1
		.amdhsa_uses_dynamic_stack 0
		.amdhsa_enable_private_segment 0
		.amdhsa_system_sgpr_workgroup_id_x 1
		.amdhsa_system_sgpr_workgroup_id_y 0
		.amdhsa_system_sgpr_workgroup_id_z 0
		.amdhsa_system_sgpr_workgroup_info 0
		.amdhsa_system_vgpr_workitem_id 0
		.amdhsa_next_free_vgpr 86
		.amdhsa_next_free_sgpr 55
		.amdhsa_named_barrier_count 0
		.amdhsa_reserve_vcc 1
		.amdhsa_float_round_mode_32 0
		.amdhsa_float_round_mode_16_64 0
		.amdhsa_float_denorm_mode_32 3
		.amdhsa_float_denorm_mode_16_64 3
		.amdhsa_fp16_overflow 0
		.amdhsa_memory_ordered 1
		.amdhsa_forward_progress 1
		.amdhsa_inst_pref_size 140
		.amdhsa_round_robin_scheduling 0
		.amdhsa_exception_fp_ieee_invalid_op 0
		.amdhsa_exception_fp_denorm_src 0
		.amdhsa_exception_fp_ieee_div_zero 0
		.amdhsa_exception_fp_ieee_overflow 0
		.amdhsa_exception_fp_ieee_underflow 0
		.amdhsa_exception_fp_ieee_inexact 0
		.amdhsa_exception_int_div_zero 0
	.end_amdhsa_kernel
	.section	.text._ZN7rocprim17ROCPRIM_400000_NS6detail17trampoline_kernelINS0_13select_configILj256ELj13ELNS0_17block_load_methodE3ELS4_3ELS4_3ELNS0_20block_scan_algorithmE0ELj4294967295EEENS1_25partition_config_selectorILNS1_17partition_subalgoE4EjNS0_10empty_typeEbEEZZNS1_14partition_implILS8_4ELb0ES6_15HIP_vector_typeIjLj2EENS0_17counting_iteratorIjlEEPS9_SG_NS0_5tupleIJPjSI_NS0_16reverse_iteratorISI_EEEEENSH_IJSG_SG_SG_EEES9_SI_JZNS1_25segmented_radix_sort_implINS0_14default_configELb0EPKfPfPKlPlN2at6native12_GLOBAL__N_18offset_tEEE10hipError_tPvRmT1_PNSt15iterator_traitsIS12_E10value_typeET2_T3_PNS13_IS18_E10value_typeET4_jRbjT5_S1E_jjP12ihipStream_tbEUljE_ZNSN_ISO_Lb0ESQ_SR_ST_SU_SY_EESZ_S10_S11_S12_S16_S17_S18_S1B_S1C_jS1D_jS1E_S1E_jjS1G_bEUljE0_EEESZ_S10_S11_S18_S1C_S1E_T6_T7_T9_mT8_S1G_bDpT10_ENKUlT_T0_E_clISt17integral_constantIbLb0EES1T_IbLb1EEEEDaS1P_S1Q_EUlS1P_E_NS1_11comp_targetILNS1_3genE0ELNS1_11target_archE4294967295ELNS1_3gpuE0ELNS1_3repE0EEENS1_30default_config_static_selectorELNS0_4arch9wavefront6targetE0EEEvS12_,"axG",@progbits,_ZN7rocprim17ROCPRIM_400000_NS6detail17trampoline_kernelINS0_13select_configILj256ELj13ELNS0_17block_load_methodE3ELS4_3ELS4_3ELNS0_20block_scan_algorithmE0ELj4294967295EEENS1_25partition_config_selectorILNS1_17partition_subalgoE4EjNS0_10empty_typeEbEEZZNS1_14partition_implILS8_4ELb0ES6_15HIP_vector_typeIjLj2EENS0_17counting_iteratorIjlEEPS9_SG_NS0_5tupleIJPjSI_NS0_16reverse_iteratorISI_EEEEENSH_IJSG_SG_SG_EEES9_SI_JZNS1_25segmented_radix_sort_implINS0_14default_configELb0EPKfPfPKlPlN2at6native12_GLOBAL__N_18offset_tEEE10hipError_tPvRmT1_PNSt15iterator_traitsIS12_E10value_typeET2_T3_PNS13_IS18_E10value_typeET4_jRbjT5_S1E_jjP12ihipStream_tbEUljE_ZNSN_ISO_Lb0ESQ_SR_ST_SU_SY_EESZ_S10_S11_S12_S16_S17_S18_S1B_S1C_jS1D_jS1E_S1E_jjS1G_bEUljE0_EEESZ_S10_S11_S18_S1C_S1E_T6_T7_T9_mT8_S1G_bDpT10_ENKUlT_T0_E_clISt17integral_constantIbLb0EES1T_IbLb1EEEEDaS1P_S1Q_EUlS1P_E_NS1_11comp_targetILNS1_3genE0ELNS1_11target_archE4294967295ELNS1_3gpuE0ELNS1_3repE0EEENS1_30default_config_static_selectorELNS0_4arch9wavefront6targetE0EEEvS12_,comdat
.Lfunc_end1381:
	.size	_ZN7rocprim17ROCPRIM_400000_NS6detail17trampoline_kernelINS0_13select_configILj256ELj13ELNS0_17block_load_methodE3ELS4_3ELS4_3ELNS0_20block_scan_algorithmE0ELj4294967295EEENS1_25partition_config_selectorILNS1_17partition_subalgoE4EjNS0_10empty_typeEbEEZZNS1_14partition_implILS8_4ELb0ES6_15HIP_vector_typeIjLj2EENS0_17counting_iteratorIjlEEPS9_SG_NS0_5tupleIJPjSI_NS0_16reverse_iteratorISI_EEEEENSH_IJSG_SG_SG_EEES9_SI_JZNS1_25segmented_radix_sort_implINS0_14default_configELb0EPKfPfPKlPlN2at6native12_GLOBAL__N_18offset_tEEE10hipError_tPvRmT1_PNSt15iterator_traitsIS12_E10value_typeET2_T3_PNS13_IS18_E10value_typeET4_jRbjT5_S1E_jjP12ihipStream_tbEUljE_ZNSN_ISO_Lb0ESQ_SR_ST_SU_SY_EESZ_S10_S11_S12_S16_S17_S18_S1B_S1C_jS1D_jS1E_S1E_jjS1G_bEUljE0_EEESZ_S10_S11_S18_S1C_S1E_T6_T7_T9_mT8_S1G_bDpT10_ENKUlT_T0_E_clISt17integral_constantIbLb0EES1T_IbLb1EEEEDaS1P_S1Q_EUlS1P_E_NS1_11comp_targetILNS1_3genE0ELNS1_11target_archE4294967295ELNS1_3gpuE0ELNS1_3repE0EEENS1_30default_config_static_selectorELNS0_4arch9wavefront6targetE0EEEvS12_, .Lfunc_end1381-_ZN7rocprim17ROCPRIM_400000_NS6detail17trampoline_kernelINS0_13select_configILj256ELj13ELNS0_17block_load_methodE3ELS4_3ELS4_3ELNS0_20block_scan_algorithmE0ELj4294967295EEENS1_25partition_config_selectorILNS1_17partition_subalgoE4EjNS0_10empty_typeEbEEZZNS1_14partition_implILS8_4ELb0ES6_15HIP_vector_typeIjLj2EENS0_17counting_iteratorIjlEEPS9_SG_NS0_5tupleIJPjSI_NS0_16reverse_iteratorISI_EEEEENSH_IJSG_SG_SG_EEES9_SI_JZNS1_25segmented_radix_sort_implINS0_14default_configELb0EPKfPfPKlPlN2at6native12_GLOBAL__N_18offset_tEEE10hipError_tPvRmT1_PNSt15iterator_traitsIS12_E10value_typeET2_T3_PNS13_IS18_E10value_typeET4_jRbjT5_S1E_jjP12ihipStream_tbEUljE_ZNSN_ISO_Lb0ESQ_SR_ST_SU_SY_EESZ_S10_S11_S12_S16_S17_S18_S1B_S1C_jS1D_jS1E_S1E_jjS1G_bEUljE0_EEESZ_S10_S11_S18_S1C_S1E_T6_T7_T9_mT8_S1G_bDpT10_ENKUlT_T0_E_clISt17integral_constantIbLb0EES1T_IbLb1EEEEDaS1P_S1Q_EUlS1P_E_NS1_11comp_targetILNS1_3genE0ELNS1_11target_archE4294967295ELNS1_3gpuE0ELNS1_3repE0EEENS1_30default_config_static_selectorELNS0_4arch9wavefront6targetE0EEEvS12_
                                        ; -- End function
	.set _ZN7rocprim17ROCPRIM_400000_NS6detail17trampoline_kernelINS0_13select_configILj256ELj13ELNS0_17block_load_methodE3ELS4_3ELS4_3ELNS0_20block_scan_algorithmE0ELj4294967295EEENS1_25partition_config_selectorILNS1_17partition_subalgoE4EjNS0_10empty_typeEbEEZZNS1_14partition_implILS8_4ELb0ES6_15HIP_vector_typeIjLj2EENS0_17counting_iteratorIjlEEPS9_SG_NS0_5tupleIJPjSI_NS0_16reverse_iteratorISI_EEEEENSH_IJSG_SG_SG_EEES9_SI_JZNS1_25segmented_radix_sort_implINS0_14default_configELb0EPKfPfPKlPlN2at6native12_GLOBAL__N_18offset_tEEE10hipError_tPvRmT1_PNSt15iterator_traitsIS12_E10value_typeET2_T3_PNS13_IS18_E10value_typeET4_jRbjT5_S1E_jjP12ihipStream_tbEUljE_ZNSN_ISO_Lb0ESQ_SR_ST_SU_SY_EESZ_S10_S11_S12_S16_S17_S18_S1B_S1C_jS1D_jS1E_S1E_jjS1G_bEUljE0_EEESZ_S10_S11_S18_S1C_S1E_T6_T7_T9_mT8_S1G_bDpT10_ENKUlT_T0_E_clISt17integral_constantIbLb0EES1T_IbLb1EEEEDaS1P_S1Q_EUlS1P_E_NS1_11comp_targetILNS1_3genE0ELNS1_11target_archE4294967295ELNS1_3gpuE0ELNS1_3repE0EEENS1_30default_config_static_selectorELNS0_4arch9wavefront6targetE0EEEvS12_.num_vgpr, 86
	.set _ZN7rocprim17ROCPRIM_400000_NS6detail17trampoline_kernelINS0_13select_configILj256ELj13ELNS0_17block_load_methodE3ELS4_3ELS4_3ELNS0_20block_scan_algorithmE0ELj4294967295EEENS1_25partition_config_selectorILNS1_17partition_subalgoE4EjNS0_10empty_typeEbEEZZNS1_14partition_implILS8_4ELb0ES6_15HIP_vector_typeIjLj2EENS0_17counting_iteratorIjlEEPS9_SG_NS0_5tupleIJPjSI_NS0_16reverse_iteratorISI_EEEEENSH_IJSG_SG_SG_EEES9_SI_JZNS1_25segmented_radix_sort_implINS0_14default_configELb0EPKfPfPKlPlN2at6native12_GLOBAL__N_18offset_tEEE10hipError_tPvRmT1_PNSt15iterator_traitsIS12_E10value_typeET2_T3_PNS13_IS18_E10value_typeET4_jRbjT5_S1E_jjP12ihipStream_tbEUljE_ZNSN_ISO_Lb0ESQ_SR_ST_SU_SY_EESZ_S10_S11_S12_S16_S17_S18_S1B_S1C_jS1D_jS1E_S1E_jjS1G_bEUljE0_EEESZ_S10_S11_S18_S1C_S1E_T6_T7_T9_mT8_S1G_bDpT10_ENKUlT_T0_E_clISt17integral_constantIbLb0EES1T_IbLb1EEEEDaS1P_S1Q_EUlS1P_E_NS1_11comp_targetILNS1_3genE0ELNS1_11target_archE4294967295ELNS1_3gpuE0ELNS1_3repE0EEENS1_30default_config_static_selectorELNS0_4arch9wavefront6targetE0EEEvS12_.num_agpr, 0
	.set _ZN7rocprim17ROCPRIM_400000_NS6detail17trampoline_kernelINS0_13select_configILj256ELj13ELNS0_17block_load_methodE3ELS4_3ELS4_3ELNS0_20block_scan_algorithmE0ELj4294967295EEENS1_25partition_config_selectorILNS1_17partition_subalgoE4EjNS0_10empty_typeEbEEZZNS1_14partition_implILS8_4ELb0ES6_15HIP_vector_typeIjLj2EENS0_17counting_iteratorIjlEEPS9_SG_NS0_5tupleIJPjSI_NS0_16reverse_iteratorISI_EEEEENSH_IJSG_SG_SG_EEES9_SI_JZNS1_25segmented_radix_sort_implINS0_14default_configELb0EPKfPfPKlPlN2at6native12_GLOBAL__N_18offset_tEEE10hipError_tPvRmT1_PNSt15iterator_traitsIS12_E10value_typeET2_T3_PNS13_IS18_E10value_typeET4_jRbjT5_S1E_jjP12ihipStream_tbEUljE_ZNSN_ISO_Lb0ESQ_SR_ST_SU_SY_EESZ_S10_S11_S12_S16_S17_S18_S1B_S1C_jS1D_jS1E_S1E_jjS1G_bEUljE0_EEESZ_S10_S11_S18_S1C_S1E_T6_T7_T9_mT8_S1G_bDpT10_ENKUlT_T0_E_clISt17integral_constantIbLb0EES1T_IbLb1EEEEDaS1P_S1Q_EUlS1P_E_NS1_11comp_targetILNS1_3genE0ELNS1_11target_archE4294967295ELNS1_3gpuE0ELNS1_3repE0EEENS1_30default_config_static_selectorELNS0_4arch9wavefront6targetE0EEEvS12_.numbered_sgpr, 55
	.set _ZN7rocprim17ROCPRIM_400000_NS6detail17trampoline_kernelINS0_13select_configILj256ELj13ELNS0_17block_load_methodE3ELS4_3ELS4_3ELNS0_20block_scan_algorithmE0ELj4294967295EEENS1_25partition_config_selectorILNS1_17partition_subalgoE4EjNS0_10empty_typeEbEEZZNS1_14partition_implILS8_4ELb0ES6_15HIP_vector_typeIjLj2EENS0_17counting_iteratorIjlEEPS9_SG_NS0_5tupleIJPjSI_NS0_16reverse_iteratorISI_EEEEENSH_IJSG_SG_SG_EEES9_SI_JZNS1_25segmented_radix_sort_implINS0_14default_configELb0EPKfPfPKlPlN2at6native12_GLOBAL__N_18offset_tEEE10hipError_tPvRmT1_PNSt15iterator_traitsIS12_E10value_typeET2_T3_PNS13_IS18_E10value_typeET4_jRbjT5_S1E_jjP12ihipStream_tbEUljE_ZNSN_ISO_Lb0ESQ_SR_ST_SU_SY_EESZ_S10_S11_S12_S16_S17_S18_S1B_S1C_jS1D_jS1E_S1E_jjS1G_bEUljE0_EEESZ_S10_S11_S18_S1C_S1E_T6_T7_T9_mT8_S1G_bDpT10_ENKUlT_T0_E_clISt17integral_constantIbLb0EES1T_IbLb1EEEEDaS1P_S1Q_EUlS1P_E_NS1_11comp_targetILNS1_3genE0ELNS1_11target_archE4294967295ELNS1_3gpuE0ELNS1_3repE0EEENS1_30default_config_static_selectorELNS0_4arch9wavefront6targetE0EEEvS12_.num_named_barrier, 0
	.set _ZN7rocprim17ROCPRIM_400000_NS6detail17trampoline_kernelINS0_13select_configILj256ELj13ELNS0_17block_load_methodE3ELS4_3ELS4_3ELNS0_20block_scan_algorithmE0ELj4294967295EEENS1_25partition_config_selectorILNS1_17partition_subalgoE4EjNS0_10empty_typeEbEEZZNS1_14partition_implILS8_4ELb0ES6_15HIP_vector_typeIjLj2EENS0_17counting_iteratorIjlEEPS9_SG_NS0_5tupleIJPjSI_NS0_16reverse_iteratorISI_EEEEENSH_IJSG_SG_SG_EEES9_SI_JZNS1_25segmented_radix_sort_implINS0_14default_configELb0EPKfPfPKlPlN2at6native12_GLOBAL__N_18offset_tEEE10hipError_tPvRmT1_PNSt15iterator_traitsIS12_E10value_typeET2_T3_PNS13_IS18_E10value_typeET4_jRbjT5_S1E_jjP12ihipStream_tbEUljE_ZNSN_ISO_Lb0ESQ_SR_ST_SU_SY_EESZ_S10_S11_S12_S16_S17_S18_S1B_S1C_jS1D_jS1E_S1E_jjS1G_bEUljE0_EEESZ_S10_S11_S18_S1C_S1E_T6_T7_T9_mT8_S1G_bDpT10_ENKUlT_T0_E_clISt17integral_constantIbLb0EES1T_IbLb1EEEEDaS1P_S1Q_EUlS1P_E_NS1_11comp_targetILNS1_3genE0ELNS1_11target_archE4294967295ELNS1_3gpuE0ELNS1_3repE0EEENS1_30default_config_static_selectorELNS0_4arch9wavefront6targetE0EEEvS12_.private_seg_size, 0
	.set _ZN7rocprim17ROCPRIM_400000_NS6detail17trampoline_kernelINS0_13select_configILj256ELj13ELNS0_17block_load_methodE3ELS4_3ELS4_3ELNS0_20block_scan_algorithmE0ELj4294967295EEENS1_25partition_config_selectorILNS1_17partition_subalgoE4EjNS0_10empty_typeEbEEZZNS1_14partition_implILS8_4ELb0ES6_15HIP_vector_typeIjLj2EENS0_17counting_iteratorIjlEEPS9_SG_NS0_5tupleIJPjSI_NS0_16reverse_iteratorISI_EEEEENSH_IJSG_SG_SG_EEES9_SI_JZNS1_25segmented_radix_sort_implINS0_14default_configELb0EPKfPfPKlPlN2at6native12_GLOBAL__N_18offset_tEEE10hipError_tPvRmT1_PNSt15iterator_traitsIS12_E10value_typeET2_T3_PNS13_IS18_E10value_typeET4_jRbjT5_S1E_jjP12ihipStream_tbEUljE_ZNSN_ISO_Lb0ESQ_SR_ST_SU_SY_EESZ_S10_S11_S12_S16_S17_S18_S1B_S1C_jS1D_jS1E_S1E_jjS1G_bEUljE0_EEESZ_S10_S11_S18_S1C_S1E_T6_T7_T9_mT8_S1G_bDpT10_ENKUlT_T0_E_clISt17integral_constantIbLb0EES1T_IbLb1EEEEDaS1P_S1Q_EUlS1P_E_NS1_11comp_targetILNS1_3genE0ELNS1_11target_archE4294967295ELNS1_3gpuE0ELNS1_3repE0EEENS1_30default_config_static_selectorELNS0_4arch9wavefront6targetE0EEEvS12_.uses_vcc, 1
	.set _ZN7rocprim17ROCPRIM_400000_NS6detail17trampoline_kernelINS0_13select_configILj256ELj13ELNS0_17block_load_methodE3ELS4_3ELS4_3ELNS0_20block_scan_algorithmE0ELj4294967295EEENS1_25partition_config_selectorILNS1_17partition_subalgoE4EjNS0_10empty_typeEbEEZZNS1_14partition_implILS8_4ELb0ES6_15HIP_vector_typeIjLj2EENS0_17counting_iteratorIjlEEPS9_SG_NS0_5tupleIJPjSI_NS0_16reverse_iteratorISI_EEEEENSH_IJSG_SG_SG_EEES9_SI_JZNS1_25segmented_radix_sort_implINS0_14default_configELb0EPKfPfPKlPlN2at6native12_GLOBAL__N_18offset_tEEE10hipError_tPvRmT1_PNSt15iterator_traitsIS12_E10value_typeET2_T3_PNS13_IS18_E10value_typeET4_jRbjT5_S1E_jjP12ihipStream_tbEUljE_ZNSN_ISO_Lb0ESQ_SR_ST_SU_SY_EESZ_S10_S11_S12_S16_S17_S18_S1B_S1C_jS1D_jS1E_S1E_jjS1G_bEUljE0_EEESZ_S10_S11_S18_S1C_S1E_T6_T7_T9_mT8_S1G_bDpT10_ENKUlT_T0_E_clISt17integral_constantIbLb0EES1T_IbLb1EEEEDaS1P_S1Q_EUlS1P_E_NS1_11comp_targetILNS1_3genE0ELNS1_11target_archE4294967295ELNS1_3gpuE0ELNS1_3repE0EEENS1_30default_config_static_selectorELNS0_4arch9wavefront6targetE0EEEvS12_.uses_flat_scratch, 0
	.set _ZN7rocprim17ROCPRIM_400000_NS6detail17trampoline_kernelINS0_13select_configILj256ELj13ELNS0_17block_load_methodE3ELS4_3ELS4_3ELNS0_20block_scan_algorithmE0ELj4294967295EEENS1_25partition_config_selectorILNS1_17partition_subalgoE4EjNS0_10empty_typeEbEEZZNS1_14partition_implILS8_4ELb0ES6_15HIP_vector_typeIjLj2EENS0_17counting_iteratorIjlEEPS9_SG_NS0_5tupleIJPjSI_NS0_16reverse_iteratorISI_EEEEENSH_IJSG_SG_SG_EEES9_SI_JZNS1_25segmented_radix_sort_implINS0_14default_configELb0EPKfPfPKlPlN2at6native12_GLOBAL__N_18offset_tEEE10hipError_tPvRmT1_PNSt15iterator_traitsIS12_E10value_typeET2_T3_PNS13_IS18_E10value_typeET4_jRbjT5_S1E_jjP12ihipStream_tbEUljE_ZNSN_ISO_Lb0ESQ_SR_ST_SU_SY_EESZ_S10_S11_S12_S16_S17_S18_S1B_S1C_jS1D_jS1E_S1E_jjS1G_bEUljE0_EEESZ_S10_S11_S18_S1C_S1E_T6_T7_T9_mT8_S1G_bDpT10_ENKUlT_T0_E_clISt17integral_constantIbLb0EES1T_IbLb1EEEEDaS1P_S1Q_EUlS1P_E_NS1_11comp_targetILNS1_3genE0ELNS1_11target_archE4294967295ELNS1_3gpuE0ELNS1_3repE0EEENS1_30default_config_static_selectorELNS0_4arch9wavefront6targetE0EEEvS12_.has_dyn_sized_stack, 0
	.set _ZN7rocprim17ROCPRIM_400000_NS6detail17trampoline_kernelINS0_13select_configILj256ELj13ELNS0_17block_load_methodE3ELS4_3ELS4_3ELNS0_20block_scan_algorithmE0ELj4294967295EEENS1_25partition_config_selectorILNS1_17partition_subalgoE4EjNS0_10empty_typeEbEEZZNS1_14partition_implILS8_4ELb0ES6_15HIP_vector_typeIjLj2EENS0_17counting_iteratorIjlEEPS9_SG_NS0_5tupleIJPjSI_NS0_16reverse_iteratorISI_EEEEENSH_IJSG_SG_SG_EEES9_SI_JZNS1_25segmented_radix_sort_implINS0_14default_configELb0EPKfPfPKlPlN2at6native12_GLOBAL__N_18offset_tEEE10hipError_tPvRmT1_PNSt15iterator_traitsIS12_E10value_typeET2_T3_PNS13_IS18_E10value_typeET4_jRbjT5_S1E_jjP12ihipStream_tbEUljE_ZNSN_ISO_Lb0ESQ_SR_ST_SU_SY_EESZ_S10_S11_S12_S16_S17_S18_S1B_S1C_jS1D_jS1E_S1E_jjS1G_bEUljE0_EEESZ_S10_S11_S18_S1C_S1E_T6_T7_T9_mT8_S1G_bDpT10_ENKUlT_T0_E_clISt17integral_constantIbLb0EES1T_IbLb1EEEEDaS1P_S1Q_EUlS1P_E_NS1_11comp_targetILNS1_3genE0ELNS1_11target_archE4294967295ELNS1_3gpuE0ELNS1_3repE0EEENS1_30default_config_static_selectorELNS0_4arch9wavefront6targetE0EEEvS12_.has_recursion, 0
	.set _ZN7rocprim17ROCPRIM_400000_NS6detail17trampoline_kernelINS0_13select_configILj256ELj13ELNS0_17block_load_methodE3ELS4_3ELS4_3ELNS0_20block_scan_algorithmE0ELj4294967295EEENS1_25partition_config_selectorILNS1_17partition_subalgoE4EjNS0_10empty_typeEbEEZZNS1_14partition_implILS8_4ELb0ES6_15HIP_vector_typeIjLj2EENS0_17counting_iteratorIjlEEPS9_SG_NS0_5tupleIJPjSI_NS0_16reverse_iteratorISI_EEEEENSH_IJSG_SG_SG_EEES9_SI_JZNS1_25segmented_radix_sort_implINS0_14default_configELb0EPKfPfPKlPlN2at6native12_GLOBAL__N_18offset_tEEE10hipError_tPvRmT1_PNSt15iterator_traitsIS12_E10value_typeET2_T3_PNS13_IS18_E10value_typeET4_jRbjT5_S1E_jjP12ihipStream_tbEUljE_ZNSN_ISO_Lb0ESQ_SR_ST_SU_SY_EESZ_S10_S11_S12_S16_S17_S18_S1B_S1C_jS1D_jS1E_S1E_jjS1G_bEUljE0_EEESZ_S10_S11_S18_S1C_S1E_T6_T7_T9_mT8_S1G_bDpT10_ENKUlT_T0_E_clISt17integral_constantIbLb0EES1T_IbLb1EEEEDaS1P_S1Q_EUlS1P_E_NS1_11comp_targetILNS1_3genE0ELNS1_11target_archE4294967295ELNS1_3gpuE0ELNS1_3repE0EEENS1_30default_config_static_selectorELNS0_4arch9wavefront6targetE0EEEvS12_.has_indirect_call, 0
	.section	.AMDGPU.csdata,"",@progbits
; Kernel info:
; codeLenInByte = 17828
; TotalNumSgprs: 57
; NumVgprs: 86
; ScratchSize: 0
; MemoryBound: 0
; FloatMode: 240
; IeeeMode: 1
; LDSByteSize: 13328 bytes/workgroup (compile time only)
; SGPRBlocks: 0
; VGPRBlocks: 5
; NumSGPRsForWavesPerEU: 57
; NumVGPRsForWavesPerEU: 86
; NamedBarCnt: 0
; Occupancy: 10
; WaveLimiterHint : 1
; COMPUTE_PGM_RSRC2:SCRATCH_EN: 0
; COMPUTE_PGM_RSRC2:USER_SGPR: 2
; COMPUTE_PGM_RSRC2:TRAP_HANDLER: 0
; COMPUTE_PGM_RSRC2:TGID_X_EN: 1
; COMPUTE_PGM_RSRC2:TGID_Y_EN: 0
; COMPUTE_PGM_RSRC2:TGID_Z_EN: 0
; COMPUTE_PGM_RSRC2:TIDIG_COMP_CNT: 0
	.section	.text._ZN7rocprim17ROCPRIM_400000_NS6detail17trampoline_kernelINS0_13select_configILj256ELj13ELNS0_17block_load_methodE3ELS4_3ELS4_3ELNS0_20block_scan_algorithmE0ELj4294967295EEENS1_25partition_config_selectorILNS1_17partition_subalgoE4EjNS0_10empty_typeEbEEZZNS1_14partition_implILS8_4ELb0ES6_15HIP_vector_typeIjLj2EENS0_17counting_iteratorIjlEEPS9_SG_NS0_5tupleIJPjSI_NS0_16reverse_iteratorISI_EEEEENSH_IJSG_SG_SG_EEES9_SI_JZNS1_25segmented_radix_sort_implINS0_14default_configELb0EPKfPfPKlPlN2at6native12_GLOBAL__N_18offset_tEEE10hipError_tPvRmT1_PNSt15iterator_traitsIS12_E10value_typeET2_T3_PNS13_IS18_E10value_typeET4_jRbjT5_S1E_jjP12ihipStream_tbEUljE_ZNSN_ISO_Lb0ESQ_SR_ST_SU_SY_EESZ_S10_S11_S12_S16_S17_S18_S1B_S1C_jS1D_jS1E_S1E_jjS1G_bEUljE0_EEESZ_S10_S11_S18_S1C_S1E_T6_T7_T9_mT8_S1G_bDpT10_ENKUlT_T0_E_clISt17integral_constantIbLb0EES1T_IbLb1EEEEDaS1P_S1Q_EUlS1P_E_NS1_11comp_targetILNS1_3genE5ELNS1_11target_archE942ELNS1_3gpuE9ELNS1_3repE0EEENS1_30default_config_static_selectorELNS0_4arch9wavefront6targetE0EEEvS12_,"axG",@progbits,_ZN7rocprim17ROCPRIM_400000_NS6detail17trampoline_kernelINS0_13select_configILj256ELj13ELNS0_17block_load_methodE3ELS4_3ELS4_3ELNS0_20block_scan_algorithmE0ELj4294967295EEENS1_25partition_config_selectorILNS1_17partition_subalgoE4EjNS0_10empty_typeEbEEZZNS1_14partition_implILS8_4ELb0ES6_15HIP_vector_typeIjLj2EENS0_17counting_iteratorIjlEEPS9_SG_NS0_5tupleIJPjSI_NS0_16reverse_iteratorISI_EEEEENSH_IJSG_SG_SG_EEES9_SI_JZNS1_25segmented_radix_sort_implINS0_14default_configELb0EPKfPfPKlPlN2at6native12_GLOBAL__N_18offset_tEEE10hipError_tPvRmT1_PNSt15iterator_traitsIS12_E10value_typeET2_T3_PNS13_IS18_E10value_typeET4_jRbjT5_S1E_jjP12ihipStream_tbEUljE_ZNSN_ISO_Lb0ESQ_SR_ST_SU_SY_EESZ_S10_S11_S12_S16_S17_S18_S1B_S1C_jS1D_jS1E_S1E_jjS1G_bEUljE0_EEESZ_S10_S11_S18_S1C_S1E_T6_T7_T9_mT8_S1G_bDpT10_ENKUlT_T0_E_clISt17integral_constantIbLb0EES1T_IbLb1EEEEDaS1P_S1Q_EUlS1P_E_NS1_11comp_targetILNS1_3genE5ELNS1_11target_archE942ELNS1_3gpuE9ELNS1_3repE0EEENS1_30default_config_static_selectorELNS0_4arch9wavefront6targetE0EEEvS12_,comdat
	.globl	_ZN7rocprim17ROCPRIM_400000_NS6detail17trampoline_kernelINS0_13select_configILj256ELj13ELNS0_17block_load_methodE3ELS4_3ELS4_3ELNS0_20block_scan_algorithmE0ELj4294967295EEENS1_25partition_config_selectorILNS1_17partition_subalgoE4EjNS0_10empty_typeEbEEZZNS1_14partition_implILS8_4ELb0ES6_15HIP_vector_typeIjLj2EENS0_17counting_iteratorIjlEEPS9_SG_NS0_5tupleIJPjSI_NS0_16reverse_iteratorISI_EEEEENSH_IJSG_SG_SG_EEES9_SI_JZNS1_25segmented_radix_sort_implINS0_14default_configELb0EPKfPfPKlPlN2at6native12_GLOBAL__N_18offset_tEEE10hipError_tPvRmT1_PNSt15iterator_traitsIS12_E10value_typeET2_T3_PNS13_IS18_E10value_typeET4_jRbjT5_S1E_jjP12ihipStream_tbEUljE_ZNSN_ISO_Lb0ESQ_SR_ST_SU_SY_EESZ_S10_S11_S12_S16_S17_S18_S1B_S1C_jS1D_jS1E_S1E_jjS1G_bEUljE0_EEESZ_S10_S11_S18_S1C_S1E_T6_T7_T9_mT8_S1G_bDpT10_ENKUlT_T0_E_clISt17integral_constantIbLb0EES1T_IbLb1EEEEDaS1P_S1Q_EUlS1P_E_NS1_11comp_targetILNS1_3genE5ELNS1_11target_archE942ELNS1_3gpuE9ELNS1_3repE0EEENS1_30default_config_static_selectorELNS0_4arch9wavefront6targetE0EEEvS12_ ; -- Begin function _ZN7rocprim17ROCPRIM_400000_NS6detail17trampoline_kernelINS0_13select_configILj256ELj13ELNS0_17block_load_methodE3ELS4_3ELS4_3ELNS0_20block_scan_algorithmE0ELj4294967295EEENS1_25partition_config_selectorILNS1_17partition_subalgoE4EjNS0_10empty_typeEbEEZZNS1_14partition_implILS8_4ELb0ES6_15HIP_vector_typeIjLj2EENS0_17counting_iteratorIjlEEPS9_SG_NS0_5tupleIJPjSI_NS0_16reverse_iteratorISI_EEEEENSH_IJSG_SG_SG_EEES9_SI_JZNS1_25segmented_radix_sort_implINS0_14default_configELb0EPKfPfPKlPlN2at6native12_GLOBAL__N_18offset_tEEE10hipError_tPvRmT1_PNSt15iterator_traitsIS12_E10value_typeET2_T3_PNS13_IS18_E10value_typeET4_jRbjT5_S1E_jjP12ihipStream_tbEUljE_ZNSN_ISO_Lb0ESQ_SR_ST_SU_SY_EESZ_S10_S11_S12_S16_S17_S18_S1B_S1C_jS1D_jS1E_S1E_jjS1G_bEUljE0_EEESZ_S10_S11_S18_S1C_S1E_T6_T7_T9_mT8_S1G_bDpT10_ENKUlT_T0_E_clISt17integral_constantIbLb0EES1T_IbLb1EEEEDaS1P_S1Q_EUlS1P_E_NS1_11comp_targetILNS1_3genE5ELNS1_11target_archE942ELNS1_3gpuE9ELNS1_3repE0EEENS1_30default_config_static_selectorELNS0_4arch9wavefront6targetE0EEEvS12_
	.p2align	8
	.type	_ZN7rocprim17ROCPRIM_400000_NS6detail17trampoline_kernelINS0_13select_configILj256ELj13ELNS0_17block_load_methodE3ELS4_3ELS4_3ELNS0_20block_scan_algorithmE0ELj4294967295EEENS1_25partition_config_selectorILNS1_17partition_subalgoE4EjNS0_10empty_typeEbEEZZNS1_14partition_implILS8_4ELb0ES6_15HIP_vector_typeIjLj2EENS0_17counting_iteratorIjlEEPS9_SG_NS0_5tupleIJPjSI_NS0_16reverse_iteratorISI_EEEEENSH_IJSG_SG_SG_EEES9_SI_JZNS1_25segmented_radix_sort_implINS0_14default_configELb0EPKfPfPKlPlN2at6native12_GLOBAL__N_18offset_tEEE10hipError_tPvRmT1_PNSt15iterator_traitsIS12_E10value_typeET2_T3_PNS13_IS18_E10value_typeET4_jRbjT5_S1E_jjP12ihipStream_tbEUljE_ZNSN_ISO_Lb0ESQ_SR_ST_SU_SY_EESZ_S10_S11_S12_S16_S17_S18_S1B_S1C_jS1D_jS1E_S1E_jjS1G_bEUljE0_EEESZ_S10_S11_S18_S1C_S1E_T6_T7_T9_mT8_S1G_bDpT10_ENKUlT_T0_E_clISt17integral_constantIbLb0EES1T_IbLb1EEEEDaS1P_S1Q_EUlS1P_E_NS1_11comp_targetILNS1_3genE5ELNS1_11target_archE942ELNS1_3gpuE9ELNS1_3repE0EEENS1_30default_config_static_selectorELNS0_4arch9wavefront6targetE0EEEvS12_,@function
_ZN7rocprim17ROCPRIM_400000_NS6detail17trampoline_kernelINS0_13select_configILj256ELj13ELNS0_17block_load_methodE3ELS4_3ELS4_3ELNS0_20block_scan_algorithmE0ELj4294967295EEENS1_25partition_config_selectorILNS1_17partition_subalgoE4EjNS0_10empty_typeEbEEZZNS1_14partition_implILS8_4ELb0ES6_15HIP_vector_typeIjLj2EENS0_17counting_iteratorIjlEEPS9_SG_NS0_5tupleIJPjSI_NS0_16reverse_iteratorISI_EEEEENSH_IJSG_SG_SG_EEES9_SI_JZNS1_25segmented_radix_sort_implINS0_14default_configELb0EPKfPfPKlPlN2at6native12_GLOBAL__N_18offset_tEEE10hipError_tPvRmT1_PNSt15iterator_traitsIS12_E10value_typeET2_T3_PNS13_IS18_E10value_typeET4_jRbjT5_S1E_jjP12ihipStream_tbEUljE_ZNSN_ISO_Lb0ESQ_SR_ST_SU_SY_EESZ_S10_S11_S12_S16_S17_S18_S1B_S1C_jS1D_jS1E_S1E_jjS1G_bEUljE0_EEESZ_S10_S11_S18_S1C_S1E_T6_T7_T9_mT8_S1G_bDpT10_ENKUlT_T0_E_clISt17integral_constantIbLb0EES1T_IbLb1EEEEDaS1P_S1Q_EUlS1P_E_NS1_11comp_targetILNS1_3genE5ELNS1_11target_archE942ELNS1_3gpuE9ELNS1_3repE0EEENS1_30default_config_static_selectorELNS0_4arch9wavefront6targetE0EEEvS12_: ; @_ZN7rocprim17ROCPRIM_400000_NS6detail17trampoline_kernelINS0_13select_configILj256ELj13ELNS0_17block_load_methodE3ELS4_3ELS4_3ELNS0_20block_scan_algorithmE0ELj4294967295EEENS1_25partition_config_selectorILNS1_17partition_subalgoE4EjNS0_10empty_typeEbEEZZNS1_14partition_implILS8_4ELb0ES6_15HIP_vector_typeIjLj2EENS0_17counting_iteratorIjlEEPS9_SG_NS0_5tupleIJPjSI_NS0_16reverse_iteratorISI_EEEEENSH_IJSG_SG_SG_EEES9_SI_JZNS1_25segmented_radix_sort_implINS0_14default_configELb0EPKfPfPKlPlN2at6native12_GLOBAL__N_18offset_tEEE10hipError_tPvRmT1_PNSt15iterator_traitsIS12_E10value_typeET2_T3_PNS13_IS18_E10value_typeET4_jRbjT5_S1E_jjP12ihipStream_tbEUljE_ZNSN_ISO_Lb0ESQ_SR_ST_SU_SY_EESZ_S10_S11_S12_S16_S17_S18_S1B_S1C_jS1D_jS1E_S1E_jjS1G_bEUljE0_EEESZ_S10_S11_S18_S1C_S1E_T6_T7_T9_mT8_S1G_bDpT10_ENKUlT_T0_E_clISt17integral_constantIbLb0EES1T_IbLb1EEEEDaS1P_S1Q_EUlS1P_E_NS1_11comp_targetILNS1_3genE5ELNS1_11target_archE942ELNS1_3gpuE9ELNS1_3repE0EEENS1_30default_config_static_selectorELNS0_4arch9wavefront6targetE0EEEvS12_
; %bb.0:
	.section	.rodata,"a",@progbits
	.p2align	6, 0x0
	.amdhsa_kernel _ZN7rocprim17ROCPRIM_400000_NS6detail17trampoline_kernelINS0_13select_configILj256ELj13ELNS0_17block_load_methodE3ELS4_3ELS4_3ELNS0_20block_scan_algorithmE0ELj4294967295EEENS1_25partition_config_selectorILNS1_17partition_subalgoE4EjNS0_10empty_typeEbEEZZNS1_14partition_implILS8_4ELb0ES6_15HIP_vector_typeIjLj2EENS0_17counting_iteratorIjlEEPS9_SG_NS0_5tupleIJPjSI_NS0_16reverse_iteratorISI_EEEEENSH_IJSG_SG_SG_EEES9_SI_JZNS1_25segmented_radix_sort_implINS0_14default_configELb0EPKfPfPKlPlN2at6native12_GLOBAL__N_18offset_tEEE10hipError_tPvRmT1_PNSt15iterator_traitsIS12_E10value_typeET2_T3_PNS13_IS18_E10value_typeET4_jRbjT5_S1E_jjP12ihipStream_tbEUljE_ZNSN_ISO_Lb0ESQ_SR_ST_SU_SY_EESZ_S10_S11_S12_S16_S17_S18_S1B_S1C_jS1D_jS1E_S1E_jjS1G_bEUljE0_EEESZ_S10_S11_S18_S1C_S1E_T6_T7_T9_mT8_S1G_bDpT10_ENKUlT_T0_E_clISt17integral_constantIbLb0EES1T_IbLb1EEEEDaS1P_S1Q_EUlS1P_E_NS1_11comp_targetILNS1_3genE5ELNS1_11target_archE942ELNS1_3gpuE9ELNS1_3repE0EEENS1_30default_config_static_selectorELNS0_4arch9wavefront6targetE0EEEvS12_
		.amdhsa_group_segment_fixed_size 0
		.amdhsa_private_segment_fixed_size 0
		.amdhsa_kernarg_size 184
		.amdhsa_user_sgpr_count 2
		.amdhsa_user_sgpr_dispatch_ptr 0
		.amdhsa_user_sgpr_queue_ptr 0
		.amdhsa_user_sgpr_kernarg_segment_ptr 1
		.amdhsa_user_sgpr_dispatch_id 0
		.amdhsa_user_sgpr_kernarg_preload_length 0
		.amdhsa_user_sgpr_kernarg_preload_offset 0
		.amdhsa_user_sgpr_private_segment_size 0
		.amdhsa_wavefront_size32 1
		.amdhsa_uses_dynamic_stack 0
		.amdhsa_enable_private_segment 0
		.amdhsa_system_sgpr_workgroup_id_x 1
		.amdhsa_system_sgpr_workgroup_id_y 0
		.amdhsa_system_sgpr_workgroup_id_z 0
		.amdhsa_system_sgpr_workgroup_info 0
		.amdhsa_system_vgpr_workitem_id 0
		.amdhsa_next_free_vgpr 1
		.amdhsa_next_free_sgpr 1
		.amdhsa_named_barrier_count 0
		.amdhsa_reserve_vcc 0
		.amdhsa_float_round_mode_32 0
		.amdhsa_float_round_mode_16_64 0
		.amdhsa_float_denorm_mode_32 3
		.amdhsa_float_denorm_mode_16_64 3
		.amdhsa_fp16_overflow 0
		.amdhsa_memory_ordered 1
		.amdhsa_forward_progress 1
		.amdhsa_inst_pref_size 0
		.amdhsa_round_robin_scheduling 0
		.amdhsa_exception_fp_ieee_invalid_op 0
		.amdhsa_exception_fp_denorm_src 0
		.amdhsa_exception_fp_ieee_div_zero 0
		.amdhsa_exception_fp_ieee_overflow 0
		.amdhsa_exception_fp_ieee_underflow 0
		.amdhsa_exception_fp_ieee_inexact 0
		.amdhsa_exception_int_div_zero 0
	.end_amdhsa_kernel
	.section	.text._ZN7rocprim17ROCPRIM_400000_NS6detail17trampoline_kernelINS0_13select_configILj256ELj13ELNS0_17block_load_methodE3ELS4_3ELS4_3ELNS0_20block_scan_algorithmE0ELj4294967295EEENS1_25partition_config_selectorILNS1_17partition_subalgoE4EjNS0_10empty_typeEbEEZZNS1_14partition_implILS8_4ELb0ES6_15HIP_vector_typeIjLj2EENS0_17counting_iteratorIjlEEPS9_SG_NS0_5tupleIJPjSI_NS0_16reverse_iteratorISI_EEEEENSH_IJSG_SG_SG_EEES9_SI_JZNS1_25segmented_radix_sort_implINS0_14default_configELb0EPKfPfPKlPlN2at6native12_GLOBAL__N_18offset_tEEE10hipError_tPvRmT1_PNSt15iterator_traitsIS12_E10value_typeET2_T3_PNS13_IS18_E10value_typeET4_jRbjT5_S1E_jjP12ihipStream_tbEUljE_ZNSN_ISO_Lb0ESQ_SR_ST_SU_SY_EESZ_S10_S11_S12_S16_S17_S18_S1B_S1C_jS1D_jS1E_S1E_jjS1G_bEUljE0_EEESZ_S10_S11_S18_S1C_S1E_T6_T7_T9_mT8_S1G_bDpT10_ENKUlT_T0_E_clISt17integral_constantIbLb0EES1T_IbLb1EEEEDaS1P_S1Q_EUlS1P_E_NS1_11comp_targetILNS1_3genE5ELNS1_11target_archE942ELNS1_3gpuE9ELNS1_3repE0EEENS1_30default_config_static_selectorELNS0_4arch9wavefront6targetE0EEEvS12_,"axG",@progbits,_ZN7rocprim17ROCPRIM_400000_NS6detail17trampoline_kernelINS0_13select_configILj256ELj13ELNS0_17block_load_methodE3ELS4_3ELS4_3ELNS0_20block_scan_algorithmE0ELj4294967295EEENS1_25partition_config_selectorILNS1_17partition_subalgoE4EjNS0_10empty_typeEbEEZZNS1_14partition_implILS8_4ELb0ES6_15HIP_vector_typeIjLj2EENS0_17counting_iteratorIjlEEPS9_SG_NS0_5tupleIJPjSI_NS0_16reverse_iteratorISI_EEEEENSH_IJSG_SG_SG_EEES9_SI_JZNS1_25segmented_radix_sort_implINS0_14default_configELb0EPKfPfPKlPlN2at6native12_GLOBAL__N_18offset_tEEE10hipError_tPvRmT1_PNSt15iterator_traitsIS12_E10value_typeET2_T3_PNS13_IS18_E10value_typeET4_jRbjT5_S1E_jjP12ihipStream_tbEUljE_ZNSN_ISO_Lb0ESQ_SR_ST_SU_SY_EESZ_S10_S11_S12_S16_S17_S18_S1B_S1C_jS1D_jS1E_S1E_jjS1G_bEUljE0_EEESZ_S10_S11_S18_S1C_S1E_T6_T7_T9_mT8_S1G_bDpT10_ENKUlT_T0_E_clISt17integral_constantIbLb0EES1T_IbLb1EEEEDaS1P_S1Q_EUlS1P_E_NS1_11comp_targetILNS1_3genE5ELNS1_11target_archE942ELNS1_3gpuE9ELNS1_3repE0EEENS1_30default_config_static_selectorELNS0_4arch9wavefront6targetE0EEEvS12_,comdat
.Lfunc_end1382:
	.size	_ZN7rocprim17ROCPRIM_400000_NS6detail17trampoline_kernelINS0_13select_configILj256ELj13ELNS0_17block_load_methodE3ELS4_3ELS4_3ELNS0_20block_scan_algorithmE0ELj4294967295EEENS1_25partition_config_selectorILNS1_17partition_subalgoE4EjNS0_10empty_typeEbEEZZNS1_14partition_implILS8_4ELb0ES6_15HIP_vector_typeIjLj2EENS0_17counting_iteratorIjlEEPS9_SG_NS0_5tupleIJPjSI_NS0_16reverse_iteratorISI_EEEEENSH_IJSG_SG_SG_EEES9_SI_JZNS1_25segmented_radix_sort_implINS0_14default_configELb0EPKfPfPKlPlN2at6native12_GLOBAL__N_18offset_tEEE10hipError_tPvRmT1_PNSt15iterator_traitsIS12_E10value_typeET2_T3_PNS13_IS18_E10value_typeET4_jRbjT5_S1E_jjP12ihipStream_tbEUljE_ZNSN_ISO_Lb0ESQ_SR_ST_SU_SY_EESZ_S10_S11_S12_S16_S17_S18_S1B_S1C_jS1D_jS1E_S1E_jjS1G_bEUljE0_EEESZ_S10_S11_S18_S1C_S1E_T6_T7_T9_mT8_S1G_bDpT10_ENKUlT_T0_E_clISt17integral_constantIbLb0EES1T_IbLb1EEEEDaS1P_S1Q_EUlS1P_E_NS1_11comp_targetILNS1_3genE5ELNS1_11target_archE942ELNS1_3gpuE9ELNS1_3repE0EEENS1_30default_config_static_selectorELNS0_4arch9wavefront6targetE0EEEvS12_, .Lfunc_end1382-_ZN7rocprim17ROCPRIM_400000_NS6detail17trampoline_kernelINS0_13select_configILj256ELj13ELNS0_17block_load_methodE3ELS4_3ELS4_3ELNS0_20block_scan_algorithmE0ELj4294967295EEENS1_25partition_config_selectorILNS1_17partition_subalgoE4EjNS0_10empty_typeEbEEZZNS1_14partition_implILS8_4ELb0ES6_15HIP_vector_typeIjLj2EENS0_17counting_iteratorIjlEEPS9_SG_NS0_5tupleIJPjSI_NS0_16reverse_iteratorISI_EEEEENSH_IJSG_SG_SG_EEES9_SI_JZNS1_25segmented_radix_sort_implINS0_14default_configELb0EPKfPfPKlPlN2at6native12_GLOBAL__N_18offset_tEEE10hipError_tPvRmT1_PNSt15iterator_traitsIS12_E10value_typeET2_T3_PNS13_IS18_E10value_typeET4_jRbjT5_S1E_jjP12ihipStream_tbEUljE_ZNSN_ISO_Lb0ESQ_SR_ST_SU_SY_EESZ_S10_S11_S12_S16_S17_S18_S1B_S1C_jS1D_jS1E_S1E_jjS1G_bEUljE0_EEESZ_S10_S11_S18_S1C_S1E_T6_T7_T9_mT8_S1G_bDpT10_ENKUlT_T0_E_clISt17integral_constantIbLb0EES1T_IbLb1EEEEDaS1P_S1Q_EUlS1P_E_NS1_11comp_targetILNS1_3genE5ELNS1_11target_archE942ELNS1_3gpuE9ELNS1_3repE0EEENS1_30default_config_static_selectorELNS0_4arch9wavefront6targetE0EEEvS12_
                                        ; -- End function
	.set _ZN7rocprim17ROCPRIM_400000_NS6detail17trampoline_kernelINS0_13select_configILj256ELj13ELNS0_17block_load_methodE3ELS4_3ELS4_3ELNS0_20block_scan_algorithmE0ELj4294967295EEENS1_25partition_config_selectorILNS1_17partition_subalgoE4EjNS0_10empty_typeEbEEZZNS1_14partition_implILS8_4ELb0ES6_15HIP_vector_typeIjLj2EENS0_17counting_iteratorIjlEEPS9_SG_NS0_5tupleIJPjSI_NS0_16reverse_iteratorISI_EEEEENSH_IJSG_SG_SG_EEES9_SI_JZNS1_25segmented_radix_sort_implINS0_14default_configELb0EPKfPfPKlPlN2at6native12_GLOBAL__N_18offset_tEEE10hipError_tPvRmT1_PNSt15iterator_traitsIS12_E10value_typeET2_T3_PNS13_IS18_E10value_typeET4_jRbjT5_S1E_jjP12ihipStream_tbEUljE_ZNSN_ISO_Lb0ESQ_SR_ST_SU_SY_EESZ_S10_S11_S12_S16_S17_S18_S1B_S1C_jS1D_jS1E_S1E_jjS1G_bEUljE0_EEESZ_S10_S11_S18_S1C_S1E_T6_T7_T9_mT8_S1G_bDpT10_ENKUlT_T0_E_clISt17integral_constantIbLb0EES1T_IbLb1EEEEDaS1P_S1Q_EUlS1P_E_NS1_11comp_targetILNS1_3genE5ELNS1_11target_archE942ELNS1_3gpuE9ELNS1_3repE0EEENS1_30default_config_static_selectorELNS0_4arch9wavefront6targetE0EEEvS12_.num_vgpr, 0
	.set _ZN7rocprim17ROCPRIM_400000_NS6detail17trampoline_kernelINS0_13select_configILj256ELj13ELNS0_17block_load_methodE3ELS4_3ELS4_3ELNS0_20block_scan_algorithmE0ELj4294967295EEENS1_25partition_config_selectorILNS1_17partition_subalgoE4EjNS0_10empty_typeEbEEZZNS1_14partition_implILS8_4ELb0ES6_15HIP_vector_typeIjLj2EENS0_17counting_iteratorIjlEEPS9_SG_NS0_5tupleIJPjSI_NS0_16reverse_iteratorISI_EEEEENSH_IJSG_SG_SG_EEES9_SI_JZNS1_25segmented_radix_sort_implINS0_14default_configELb0EPKfPfPKlPlN2at6native12_GLOBAL__N_18offset_tEEE10hipError_tPvRmT1_PNSt15iterator_traitsIS12_E10value_typeET2_T3_PNS13_IS18_E10value_typeET4_jRbjT5_S1E_jjP12ihipStream_tbEUljE_ZNSN_ISO_Lb0ESQ_SR_ST_SU_SY_EESZ_S10_S11_S12_S16_S17_S18_S1B_S1C_jS1D_jS1E_S1E_jjS1G_bEUljE0_EEESZ_S10_S11_S18_S1C_S1E_T6_T7_T9_mT8_S1G_bDpT10_ENKUlT_T0_E_clISt17integral_constantIbLb0EES1T_IbLb1EEEEDaS1P_S1Q_EUlS1P_E_NS1_11comp_targetILNS1_3genE5ELNS1_11target_archE942ELNS1_3gpuE9ELNS1_3repE0EEENS1_30default_config_static_selectorELNS0_4arch9wavefront6targetE0EEEvS12_.num_agpr, 0
	.set _ZN7rocprim17ROCPRIM_400000_NS6detail17trampoline_kernelINS0_13select_configILj256ELj13ELNS0_17block_load_methodE3ELS4_3ELS4_3ELNS0_20block_scan_algorithmE0ELj4294967295EEENS1_25partition_config_selectorILNS1_17partition_subalgoE4EjNS0_10empty_typeEbEEZZNS1_14partition_implILS8_4ELb0ES6_15HIP_vector_typeIjLj2EENS0_17counting_iteratorIjlEEPS9_SG_NS0_5tupleIJPjSI_NS0_16reverse_iteratorISI_EEEEENSH_IJSG_SG_SG_EEES9_SI_JZNS1_25segmented_radix_sort_implINS0_14default_configELb0EPKfPfPKlPlN2at6native12_GLOBAL__N_18offset_tEEE10hipError_tPvRmT1_PNSt15iterator_traitsIS12_E10value_typeET2_T3_PNS13_IS18_E10value_typeET4_jRbjT5_S1E_jjP12ihipStream_tbEUljE_ZNSN_ISO_Lb0ESQ_SR_ST_SU_SY_EESZ_S10_S11_S12_S16_S17_S18_S1B_S1C_jS1D_jS1E_S1E_jjS1G_bEUljE0_EEESZ_S10_S11_S18_S1C_S1E_T6_T7_T9_mT8_S1G_bDpT10_ENKUlT_T0_E_clISt17integral_constantIbLb0EES1T_IbLb1EEEEDaS1P_S1Q_EUlS1P_E_NS1_11comp_targetILNS1_3genE5ELNS1_11target_archE942ELNS1_3gpuE9ELNS1_3repE0EEENS1_30default_config_static_selectorELNS0_4arch9wavefront6targetE0EEEvS12_.numbered_sgpr, 0
	.set _ZN7rocprim17ROCPRIM_400000_NS6detail17trampoline_kernelINS0_13select_configILj256ELj13ELNS0_17block_load_methodE3ELS4_3ELS4_3ELNS0_20block_scan_algorithmE0ELj4294967295EEENS1_25partition_config_selectorILNS1_17partition_subalgoE4EjNS0_10empty_typeEbEEZZNS1_14partition_implILS8_4ELb0ES6_15HIP_vector_typeIjLj2EENS0_17counting_iteratorIjlEEPS9_SG_NS0_5tupleIJPjSI_NS0_16reverse_iteratorISI_EEEEENSH_IJSG_SG_SG_EEES9_SI_JZNS1_25segmented_radix_sort_implINS0_14default_configELb0EPKfPfPKlPlN2at6native12_GLOBAL__N_18offset_tEEE10hipError_tPvRmT1_PNSt15iterator_traitsIS12_E10value_typeET2_T3_PNS13_IS18_E10value_typeET4_jRbjT5_S1E_jjP12ihipStream_tbEUljE_ZNSN_ISO_Lb0ESQ_SR_ST_SU_SY_EESZ_S10_S11_S12_S16_S17_S18_S1B_S1C_jS1D_jS1E_S1E_jjS1G_bEUljE0_EEESZ_S10_S11_S18_S1C_S1E_T6_T7_T9_mT8_S1G_bDpT10_ENKUlT_T0_E_clISt17integral_constantIbLb0EES1T_IbLb1EEEEDaS1P_S1Q_EUlS1P_E_NS1_11comp_targetILNS1_3genE5ELNS1_11target_archE942ELNS1_3gpuE9ELNS1_3repE0EEENS1_30default_config_static_selectorELNS0_4arch9wavefront6targetE0EEEvS12_.num_named_barrier, 0
	.set _ZN7rocprim17ROCPRIM_400000_NS6detail17trampoline_kernelINS0_13select_configILj256ELj13ELNS0_17block_load_methodE3ELS4_3ELS4_3ELNS0_20block_scan_algorithmE0ELj4294967295EEENS1_25partition_config_selectorILNS1_17partition_subalgoE4EjNS0_10empty_typeEbEEZZNS1_14partition_implILS8_4ELb0ES6_15HIP_vector_typeIjLj2EENS0_17counting_iteratorIjlEEPS9_SG_NS0_5tupleIJPjSI_NS0_16reverse_iteratorISI_EEEEENSH_IJSG_SG_SG_EEES9_SI_JZNS1_25segmented_radix_sort_implINS0_14default_configELb0EPKfPfPKlPlN2at6native12_GLOBAL__N_18offset_tEEE10hipError_tPvRmT1_PNSt15iterator_traitsIS12_E10value_typeET2_T3_PNS13_IS18_E10value_typeET4_jRbjT5_S1E_jjP12ihipStream_tbEUljE_ZNSN_ISO_Lb0ESQ_SR_ST_SU_SY_EESZ_S10_S11_S12_S16_S17_S18_S1B_S1C_jS1D_jS1E_S1E_jjS1G_bEUljE0_EEESZ_S10_S11_S18_S1C_S1E_T6_T7_T9_mT8_S1G_bDpT10_ENKUlT_T0_E_clISt17integral_constantIbLb0EES1T_IbLb1EEEEDaS1P_S1Q_EUlS1P_E_NS1_11comp_targetILNS1_3genE5ELNS1_11target_archE942ELNS1_3gpuE9ELNS1_3repE0EEENS1_30default_config_static_selectorELNS0_4arch9wavefront6targetE0EEEvS12_.private_seg_size, 0
	.set _ZN7rocprim17ROCPRIM_400000_NS6detail17trampoline_kernelINS0_13select_configILj256ELj13ELNS0_17block_load_methodE3ELS4_3ELS4_3ELNS0_20block_scan_algorithmE0ELj4294967295EEENS1_25partition_config_selectorILNS1_17partition_subalgoE4EjNS0_10empty_typeEbEEZZNS1_14partition_implILS8_4ELb0ES6_15HIP_vector_typeIjLj2EENS0_17counting_iteratorIjlEEPS9_SG_NS0_5tupleIJPjSI_NS0_16reverse_iteratorISI_EEEEENSH_IJSG_SG_SG_EEES9_SI_JZNS1_25segmented_radix_sort_implINS0_14default_configELb0EPKfPfPKlPlN2at6native12_GLOBAL__N_18offset_tEEE10hipError_tPvRmT1_PNSt15iterator_traitsIS12_E10value_typeET2_T3_PNS13_IS18_E10value_typeET4_jRbjT5_S1E_jjP12ihipStream_tbEUljE_ZNSN_ISO_Lb0ESQ_SR_ST_SU_SY_EESZ_S10_S11_S12_S16_S17_S18_S1B_S1C_jS1D_jS1E_S1E_jjS1G_bEUljE0_EEESZ_S10_S11_S18_S1C_S1E_T6_T7_T9_mT8_S1G_bDpT10_ENKUlT_T0_E_clISt17integral_constantIbLb0EES1T_IbLb1EEEEDaS1P_S1Q_EUlS1P_E_NS1_11comp_targetILNS1_3genE5ELNS1_11target_archE942ELNS1_3gpuE9ELNS1_3repE0EEENS1_30default_config_static_selectorELNS0_4arch9wavefront6targetE0EEEvS12_.uses_vcc, 0
	.set _ZN7rocprim17ROCPRIM_400000_NS6detail17trampoline_kernelINS0_13select_configILj256ELj13ELNS0_17block_load_methodE3ELS4_3ELS4_3ELNS0_20block_scan_algorithmE0ELj4294967295EEENS1_25partition_config_selectorILNS1_17partition_subalgoE4EjNS0_10empty_typeEbEEZZNS1_14partition_implILS8_4ELb0ES6_15HIP_vector_typeIjLj2EENS0_17counting_iteratorIjlEEPS9_SG_NS0_5tupleIJPjSI_NS0_16reverse_iteratorISI_EEEEENSH_IJSG_SG_SG_EEES9_SI_JZNS1_25segmented_radix_sort_implINS0_14default_configELb0EPKfPfPKlPlN2at6native12_GLOBAL__N_18offset_tEEE10hipError_tPvRmT1_PNSt15iterator_traitsIS12_E10value_typeET2_T3_PNS13_IS18_E10value_typeET4_jRbjT5_S1E_jjP12ihipStream_tbEUljE_ZNSN_ISO_Lb0ESQ_SR_ST_SU_SY_EESZ_S10_S11_S12_S16_S17_S18_S1B_S1C_jS1D_jS1E_S1E_jjS1G_bEUljE0_EEESZ_S10_S11_S18_S1C_S1E_T6_T7_T9_mT8_S1G_bDpT10_ENKUlT_T0_E_clISt17integral_constantIbLb0EES1T_IbLb1EEEEDaS1P_S1Q_EUlS1P_E_NS1_11comp_targetILNS1_3genE5ELNS1_11target_archE942ELNS1_3gpuE9ELNS1_3repE0EEENS1_30default_config_static_selectorELNS0_4arch9wavefront6targetE0EEEvS12_.uses_flat_scratch, 0
	.set _ZN7rocprim17ROCPRIM_400000_NS6detail17trampoline_kernelINS0_13select_configILj256ELj13ELNS0_17block_load_methodE3ELS4_3ELS4_3ELNS0_20block_scan_algorithmE0ELj4294967295EEENS1_25partition_config_selectorILNS1_17partition_subalgoE4EjNS0_10empty_typeEbEEZZNS1_14partition_implILS8_4ELb0ES6_15HIP_vector_typeIjLj2EENS0_17counting_iteratorIjlEEPS9_SG_NS0_5tupleIJPjSI_NS0_16reverse_iteratorISI_EEEEENSH_IJSG_SG_SG_EEES9_SI_JZNS1_25segmented_radix_sort_implINS0_14default_configELb0EPKfPfPKlPlN2at6native12_GLOBAL__N_18offset_tEEE10hipError_tPvRmT1_PNSt15iterator_traitsIS12_E10value_typeET2_T3_PNS13_IS18_E10value_typeET4_jRbjT5_S1E_jjP12ihipStream_tbEUljE_ZNSN_ISO_Lb0ESQ_SR_ST_SU_SY_EESZ_S10_S11_S12_S16_S17_S18_S1B_S1C_jS1D_jS1E_S1E_jjS1G_bEUljE0_EEESZ_S10_S11_S18_S1C_S1E_T6_T7_T9_mT8_S1G_bDpT10_ENKUlT_T0_E_clISt17integral_constantIbLb0EES1T_IbLb1EEEEDaS1P_S1Q_EUlS1P_E_NS1_11comp_targetILNS1_3genE5ELNS1_11target_archE942ELNS1_3gpuE9ELNS1_3repE0EEENS1_30default_config_static_selectorELNS0_4arch9wavefront6targetE0EEEvS12_.has_dyn_sized_stack, 0
	.set _ZN7rocprim17ROCPRIM_400000_NS6detail17trampoline_kernelINS0_13select_configILj256ELj13ELNS0_17block_load_methodE3ELS4_3ELS4_3ELNS0_20block_scan_algorithmE0ELj4294967295EEENS1_25partition_config_selectorILNS1_17partition_subalgoE4EjNS0_10empty_typeEbEEZZNS1_14partition_implILS8_4ELb0ES6_15HIP_vector_typeIjLj2EENS0_17counting_iteratorIjlEEPS9_SG_NS0_5tupleIJPjSI_NS0_16reverse_iteratorISI_EEEEENSH_IJSG_SG_SG_EEES9_SI_JZNS1_25segmented_radix_sort_implINS0_14default_configELb0EPKfPfPKlPlN2at6native12_GLOBAL__N_18offset_tEEE10hipError_tPvRmT1_PNSt15iterator_traitsIS12_E10value_typeET2_T3_PNS13_IS18_E10value_typeET4_jRbjT5_S1E_jjP12ihipStream_tbEUljE_ZNSN_ISO_Lb0ESQ_SR_ST_SU_SY_EESZ_S10_S11_S12_S16_S17_S18_S1B_S1C_jS1D_jS1E_S1E_jjS1G_bEUljE0_EEESZ_S10_S11_S18_S1C_S1E_T6_T7_T9_mT8_S1G_bDpT10_ENKUlT_T0_E_clISt17integral_constantIbLb0EES1T_IbLb1EEEEDaS1P_S1Q_EUlS1P_E_NS1_11comp_targetILNS1_3genE5ELNS1_11target_archE942ELNS1_3gpuE9ELNS1_3repE0EEENS1_30default_config_static_selectorELNS0_4arch9wavefront6targetE0EEEvS12_.has_recursion, 0
	.set _ZN7rocprim17ROCPRIM_400000_NS6detail17trampoline_kernelINS0_13select_configILj256ELj13ELNS0_17block_load_methodE3ELS4_3ELS4_3ELNS0_20block_scan_algorithmE0ELj4294967295EEENS1_25partition_config_selectorILNS1_17partition_subalgoE4EjNS0_10empty_typeEbEEZZNS1_14partition_implILS8_4ELb0ES6_15HIP_vector_typeIjLj2EENS0_17counting_iteratorIjlEEPS9_SG_NS0_5tupleIJPjSI_NS0_16reverse_iteratorISI_EEEEENSH_IJSG_SG_SG_EEES9_SI_JZNS1_25segmented_radix_sort_implINS0_14default_configELb0EPKfPfPKlPlN2at6native12_GLOBAL__N_18offset_tEEE10hipError_tPvRmT1_PNSt15iterator_traitsIS12_E10value_typeET2_T3_PNS13_IS18_E10value_typeET4_jRbjT5_S1E_jjP12ihipStream_tbEUljE_ZNSN_ISO_Lb0ESQ_SR_ST_SU_SY_EESZ_S10_S11_S12_S16_S17_S18_S1B_S1C_jS1D_jS1E_S1E_jjS1G_bEUljE0_EEESZ_S10_S11_S18_S1C_S1E_T6_T7_T9_mT8_S1G_bDpT10_ENKUlT_T0_E_clISt17integral_constantIbLb0EES1T_IbLb1EEEEDaS1P_S1Q_EUlS1P_E_NS1_11comp_targetILNS1_3genE5ELNS1_11target_archE942ELNS1_3gpuE9ELNS1_3repE0EEENS1_30default_config_static_selectorELNS0_4arch9wavefront6targetE0EEEvS12_.has_indirect_call, 0
	.section	.AMDGPU.csdata,"",@progbits
; Kernel info:
; codeLenInByte = 0
; TotalNumSgprs: 0
; NumVgprs: 0
; ScratchSize: 0
; MemoryBound: 0
; FloatMode: 240
; IeeeMode: 1
; LDSByteSize: 0 bytes/workgroup (compile time only)
; SGPRBlocks: 0
; VGPRBlocks: 0
; NumSGPRsForWavesPerEU: 1
; NumVGPRsForWavesPerEU: 1
; NamedBarCnt: 0
; Occupancy: 16
; WaveLimiterHint : 0
; COMPUTE_PGM_RSRC2:SCRATCH_EN: 0
; COMPUTE_PGM_RSRC2:USER_SGPR: 2
; COMPUTE_PGM_RSRC2:TRAP_HANDLER: 0
; COMPUTE_PGM_RSRC2:TGID_X_EN: 1
; COMPUTE_PGM_RSRC2:TGID_Y_EN: 0
; COMPUTE_PGM_RSRC2:TGID_Z_EN: 0
; COMPUTE_PGM_RSRC2:TIDIG_COMP_CNT: 0
	.section	.text._ZN7rocprim17ROCPRIM_400000_NS6detail17trampoline_kernelINS0_13select_configILj256ELj13ELNS0_17block_load_methodE3ELS4_3ELS4_3ELNS0_20block_scan_algorithmE0ELj4294967295EEENS1_25partition_config_selectorILNS1_17partition_subalgoE4EjNS0_10empty_typeEbEEZZNS1_14partition_implILS8_4ELb0ES6_15HIP_vector_typeIjLj2EENS0_17counting_iteratorIjlEEPS9_SG_NS0_5tupleIJPjSI_NS0_16reverse_iteratorISI_EEEEENSH_IJSG_SG_SG_EEES9_SI_JZNS1_25segmented_radix_sort_implINS0_14default_configELb0EPKfPfPKlPlN2at6native12_GLOBAL__N_18offset_tEEE10hipError_tPvRmT1_PNSt15iterator_traitsIS12_E10value_typeET2_T3_PNS13_IS18_E10value_typeET4_jRbjT5_S1E_jjP12ihipStream_tbEUljE_ZNSN_ISO_Lb0ESQ_SR_ST_SU_SY_EESZ_S10_S11_S12_S16_S17_S18_S1B_S1C_jS1D_jS1E_S1E_jjS1G_bEUljE0_EEESZ_S10_S11_S18_S1C_S1E_T6_T7_T9_mT8_S1G_bDpT10_ENKUlT_T0_E_clISt17integral_constantIbLb0EES1T_IbLb1EEEEDaS1P_S1Q_EUlS1P_E_NS1_11comp_targetILNS1_3genE4ELNS1_11target_archE910ELNS1_3gpuE8ELNS1_3repE0EEENS1_30default_config_static_selectorELNS0_4arch9wavefront6targetE0EEEvS12_,"axG",@progbits,_ZN7rocprim17ROCPRIM_400000_NS6detail17trampoline_kernelINS0_13select_configILj256ELj13ELNS0_17block_load_methodE3ELS4_3ELS4_3ELNS0_20block_scan_algorithmE0ELj4294967295EEENS1_25partition_config_selectorILNS1_17partition_subalgoE4EjNS0_10empty_typeEbEEZZNS1_14partition_implILS8_4ELb0ES6_15HIP_vector_typeIjLj2EENS0_17counting_iteratorIjlEEPS9_SG_NS0_5tupleIJPjSI_NS0_16reverse_iteratorISI_EEEEENSH_IJSG_SG_SG_EEES9_SI_JZNS1_25segmented_radix_sort_implINS0_14default_configELb0EPKfPfPKlPlN2at6native12_GLOBAL__N_18offset_tEEE10hipError_tPvRmT1_PNSt15iterator_traitsIS12_E10value_typeET2_T3_PNS13_IS18_E10value_typeET4_jRbjT5_S1E_jjP12ihipStream_tbEUljE_ZNSN_ISO_Lb0ESQ_SR_ST_SU_SY_EESZ_S10_S11_S12_S16_S17_S18_S1B_S1C_jS1D_jS1E_S1E_jjS1G_bEUljE0_EEESZ_S10_S11_S18_S1C_S1E_T6_T7_T9_mT8_S1G_bDpT10_ENKUlT_T0_E_clISt17integral_constantIbLb0EES1T_IbLb1EEEEDaS1P_S1Q_EUlS1P_E_NS1_11comp_targetILNS1_3genE4ELNS1_11target_archE910ELNS1_3gpuE8ELNS1_3repE0EEENS1_30default_config_static_selectorELNS0_4arch9wavefront6targetE0EEEvS12_,comdat
	.globl	_ZN7rocprim17ROCPRIM_400000_NS6detail17trampoline_kernelINS0_13select_configILj256ELj13ELNS0_17block_load_methodE3ELS4_3ELS4_3ELNS0_20block_scan_algorithmE0ELj4294967295EEENS1_25partition_config_selectorILNS1_17partition_subalgoE4EjNS0_10empty_typeEbEEZZNS1_14partition_implILS8_4ELb0ES6_15HIP_vector_typeIjLj2EENS0_17counting_iteratorIjlEEPS9_SG_NS0_5tupleIJPjSI_NS0_16reverse_iteratorISI_EEEEENSH_IJSG_SG_SG_EEES9_SI_JZNS1_25segmented_radix_sort_implINS0_14default_configELb0EPKfPfPKlPlN2at6native12_GLOBAL__N_18offset_tEEE10hipError_tPvRmT1_PNSt15iterator_traitsIS12_E10value_typeET2_T3_PNS13_IS18_E10value_typeET4_jRbjT5_S1E_jjP12ihipStream_tbEUljE_ZNSN_ISO_Lb0ESQ_SR_ST_SU_SY_EESZ_S10_S11_S12_S16_S17_S18_S1B_S1C_jS1D_jS1E_S1E_jjS1G_bEUljE0_EEESZ_S10_S11_S18_S1C_S1E_T6_T7_T9_mT8_S1G_bDpT10_ENKUlT_T0_E_clISt17integral_constantIbLb0EES1T_IbLb1EEEEDaS1P_S1Q_EUlS1P_E_NS1_11comp_targetILNS1_3genE4ELNS1_11target_archE910ELNS1_3gpuE8ELNS1_3repE0EEENS1_30default_config_static_selectorELNS0_4arch9wavefront6targetE0EEEvS12_ ; -- Begin function _ZN7rocprim17ROCPRIM_400000_NS6detail17trampoline_kernelINS0_13select_configILj256ELj13ELNS0_17block_load_methodE3ELS4_3ELS4_3ELNS0_20block_scan_algorithmE0ELj4294967295EEENS1_25partition_config_selectorILNS1_17partition_subalgoE4EjNS0_10empty_typeEbEEZZNS1_14partition_implILS8_4ELb0ES6_15HIP_vector_typeIjLj2EENS0_17counting_iteratorIjlEEPS9_SG_NS0_5tupleIJPjSI_NS0_16reverse_iteratorISI_EEEEENSH_IJSG_SG_SG_EEES9_SI_JZNS1_25segmented_radix_sort_implINS0_14default_configELb0EPKfPfPKlPlN2at6native12_GLOBAL__N_18offset_tEEE10hipError_tPvRmT1_PNSt15iterator_traitsIS12_E10value_typeET2_T3_PNS13_IS18_E10value_typeET4_jRbjT5_S1E_jjP12ihipStream_tbEUljE_ZNSN_ISO_Lb0ESQ_SR_ST_SU_SY_EESZ_S10_S11_S12_S16_S17_S18_S1B_S1C_jS1D_jS1E_S1E_jjS1G_bEUljE0_EEESZ_S10_S11_S18_S1C_S1E_T6_T7_T9_mT8_S1G_bDpT10_ENKUlT_T0_E_clISt17integral_constantIbLb0EES1T_IbLb1EEEEDaS1P_S1Q_EUlS1P_E_NS1_11comp_targetILNS1_3genE4ELNS1_11target_archE910ELNS1_3gpuE8ELNS1_3repE0EEENS1_30default_config_static_selectorELNS0_4arch9wavefront6targetE0EEEvS12_
	.p2align	8
	.type	_ZN7rocprim17ROCPRIM_400000_NS6detail17trampoline_kernelINS0_13select_configILj256ELj13ELNS0_17block_load_methodE3ELS4_3ELS4_3ELNS0_20block_scan_algorithmE0ELj4294967295EEENS1_25partition_config_selectorILNS1_17partition_subalgoE4EjNS0_10empty_typeEbEEZZNS1_14partition_implILS8_4ELb0ES6_15HIP_vector_typeIjLj2EENS0_17counting_iteratorIjlEEPS9_SG_NS0_5tupleIJPjSI_NS0_16reverse_iteratorISI_EEEEENSH_IJSG_SG_SG_EEES9_SI_JZNS1_25segmented_radix_sort_implINS0_14default_configELb0EPKfPfPKlPlN2at6native12_GLOBAL__N_18offset_tEEE10hipError_tPvRmT1_PNSt15iterator_traitsIS12_E10value_typeET2_T3_PNS13_IS18_E10value_typeET4_jRbjT5_S1E_jjP12ihipStream_tbEUljE_ZNSN_ISO_Lb0ESQ_SR_ST_SU_SY_EESZ_S10_S11_S12_S16_S17_S18_S1B_S1C_jS1D_jS1E_S1E_jjS1G_bEUljE0_EEESZ_S10_S11_S18_S1C_S1E_T6_T7_T9_mT8_S1G_bDpT10_ENKUlT_T0_E_clISt17integral_constantIbLb0EES1T_IbLb1EEEEDaS1P_S1Q_EUlS1P_E_NS1_11comp_targetILNS1_3genE4ELNS1_11target_archE910ELNS1_3gpuE8ELNS1_3repE0EEENS1_30default_config_static_selectorELNS0_4arch9wavefront6targetE0EEEvS12_,@function
_ZN7rocprim17ROCPRIM_400000_NS6detail17trampoline_kernelINS0_13select_configILj256ELj13ELNS0_17block_load_methodE3ELS4_3ELS4_3ELNS0_20block_scan_algorithmE0ELj4294967295EEENS1_25partition_config_selectorILNS1_17partition_subalgoE4EjNS0_10empty_typeEbEEZZNS1_14partition_implILS8_4ELb0ES6_15HIP_vector_typeIjLj2EENS0_17counting_iteratorIjlEEPS9_SG_NS0_5tupleIJPjSI_NS0_16reverse_iteratorISI_EEEEENSH_IJSG_SG_SG_EEES9_SI_JZNS1_25segmented_radix_sort_implINS0_14default_configELb0EPKfPfPKlPlN2at6native12_GLOBAL__N_18offset_tEEE10hipError_tPvRmT1_PNSt15iterator_traitsIS12_E10value_typeET2_T3_PNS13_IS18_E10value_typeET4_jRbjT5_S1E_jjP12ihipStream_tbEUljE_ZNSN_ISO_Lb0ESQ_SR_ST_SU_SY_EESZ_S10_S11_S12_S16_S17_S18_S1B_S1C_jS1D_jS1E_S1E_jjS1G_bEUljE0_EEESZ_S10_S11_S18_S1C_S1E_T6_T7_T9_mT8_S1G_bDpT10_ENKUlT_T0_E_clISt17integral_constantIbLb0EES1T_IbLb1EEEEDaS1P_S1Q_EUlS1P_E_NS1_11comp_targetILNS1_3genE4ELNS1_11target_archE910ELNS1_3gpuE8ELNS1_3repE0EEENS1_30default_config_static_selectorELNS0_4arch9wavefront6targetE0EEEvS12_: ; @_ZN7rocprim17ROCPRIM_400000_NS6detail17trampoline_kernelINS0_13select_configILj256ELj13ELNS0_17block_load_methodE3ELS4_3ELS4_3ELNS0_20block_scan_algorithmE0ELj4294967295EEENS1_25partition_config_selectorILNS1_17partition_subalgoE4EjNS0_10empty_typeEbEEZZNS1_14partition_implILS8_4ELb0ES6_15HIP_vector_typeIjLj2EENS0_17counting_iteratorIjlEEPS9_SG_NS0_5tupleIJPjSI_NS0_16reverse_iteratorISI_EEEEENSH_IJSG_SG_SG_EEES9_SI_JZNS1_25segmented_radix_sort_implINS0_14default_configELb0EPKfPfPKlPlN2at6native12_GLOBAL__N_18offset_tEEE10hipError_tPvRmT1_PNSt15iterator_traitsIS12_E10value_typeET2_T3_PNS13_IS18_E10value_typeET4_jRbjT5_S1E_jjP12ihipStream_tbEUljE_ZNSN_ISO_Lb0ESQ_SR_ST_SU_SY_EESZ_S10_S11_S12_S16_S17_S18_S1B_S1C_jS1D_jS1E_S1E_jjS1G_bEUljE0_EEESZ_S10_S11_S18_S1C_S1E_T6_T7_T9_mT8_S1G_bDpT10_ENKUlT_T0_E_clISt17integral_constantIbLb0EES1T_IbLb1EEEEDaS1P_S1Q_EUlS1P_E_NS1_11comp_targetILNS1_3genE4ELNS1_11target_archE910ELNS1_3gpuE8ELNS1_3repE0EEENS1_30default_config_static_selectorELNS0_4arch9wavefront6targetE0EEEvS12_
; %bb.0:
	.section	.rodata,"a",@progbits
	.p2align	6, 0x0
	.amdhsa_kernel _ZN7rocprim17ROCPRIM_400000_NS6detail17trampoline_kernelINS0_13select_configILj256ELj13ELNS0_17block_load_methodE3ELS4_3ELS4_3ELNS0_20block_scan_algorithmE0ELj4294967295EEENS1_25partition_config_selectorILNS1_17partition_subalgoE4EjNS0_10empty_typeEbEEZZNS1_14partition_implILS8_4ELb0ES6_15HIP_vector_typeIjLj2EENS0_17counting_iteratorIjlEEPS9_SG_NS0_5tupleIJPjSI_NS0_16reverse_iteratorISI_EEEEENSH_IJSG_SG_SG_EEES9_SI_JZNS1_25segmented_radix_sort_implINS0_14default_configELb0EPKfPfPKlPlN2at6native12_GLOBAL__N_18offset_tEEE10hipError_tPvRmT1_PNSt15iterator_traitsIS12_E10value_typeET2_T3_PNS13_IS18_E10value_typeET4_jRbjT5_S1E_jjP12ihipStream_tbEUljE_ZNSN_ISO_Lb0ESQ_SR_ST_SU_SY_EESZ_S10_S11_S12_S16_S17_S18_S1B_S1C_jS1D_jS1E_S1E_jjS1G_bEUljE0_EEESZ_S10_S11_S18_S1C_S1E_T6_T7_T9_mT8_S1G_bDpT10_ENKUlT_T0_E_clISt17integral_constantIbLb0EES1T_IbLb1EEEEDaS1P_S1Q_EUlS1P_E_NS1_11comp_targetILNS1_3genE4ELNS1_11target_archE910ELNS1_3gpuE8ELNS1_3repE0EEENS1_30default_config_static_selectorELNS0_4arch9wavefront6targetE0EEEvS12_
		.amdhsa_group_segment_fixed_size 0
		.amdhsa_private_segment_fixed_size 0
		.amdhsa_kernarg_size 184
		.amdhsa_user_sgpr_count 2
		.amdhsa_user_sgpr_dispatch_ptr 0
		.amdhsa_user_sgpr_queue_ptr 0
		.amdhsa_user_sgpr_kernarg_segment_ptr 1
		.amdhsa_user_sgpr_dispatch_id 0
		.amdhsa_user_sgpr_kernarg_preload_length 0
		.amdhsa_user_sgpr_kernarg_preload_offset 0
		.amdhsa_user_sgpr_private_segment_size 0
		.amdhsa_wavefront_size32 1
		.amdhsa_uses_dynamic_stack 0
		.amdhsa_enable_private_segment 0
		.amdhsa_system_sgpr_workgroup_id_x 1
		.amdhsa_system_sgpr_workgroup_id_y 0
		.amdhsa_system_sgpr_workgroup_id_z 0
		.amdhsa_system_sgpr_workgroup_info 0
		.amdhsa_system_vgpr_workitem_id 0
		.amdhsa_next_free_vgpr 1
		.amdhsa_next_free_sgpr 1
		.amdhsa_named_barrier_count 0
		.amdhsa_reserve_vcc 0
		.amdhsa_float_round_mode_32 0
		.amdhsa_float_round_mode_16_64 0
		.amdhsa_float_denorm_mode_32 3
		.amdhsa_float_denorm_mode_16_64 3
		.amdhsa_fp16_overflow 0
		.amdhsa_memory_ordered 1
		.amdhsa_forward_progress 1
		.amdhsa_inst_pref_size 0
		.amdhsa_round_robin_scheduling 0
		.amdhsa_exception_fp_ieee_invalid_op 0
		.amdhsa_exception_fp_denorm_src 0
		.amdhsa_exception_fp_ieee_div_zero 0
		.amdhsa_exception_fp_ieee_overflow 0
		.amdhsa_exception_fp_ieee_underflow 0
		.amdhsa_exception_fp_ieee_inexact 0
		.amdhsa_exception_int_div_zero 0
	.end_amdhsa_kernel
	.section	.text._ZN7rocprim17ROCPRIM_400000_NS6detail17trampoline_kernelINS0_13select_configILj256ELj13ELNS0_17block_load_methodE3ELS4_3ELS4_3ELNS0_20block_scan_algorithmE0ELj4294967295EEENS1_25partition_config_selectorILNS1_17partition_subalgoE4EjNS0_10empty_typeEbEEZZNS1_14partition_implILS8_4ELb0ES6_15HIP_vector_typeIjLj2EENS0_17counting_iteratorIjlEEPS9_SG_NS0_5tupleIJPjSI_NS0_16reverse_iteratorISI_EEEEENSH_IJSG_SG_SG_EEES9_SI_JZNS1_25segmented_radix_sort_implINS0_14default_configELb0EPKfPfPKlPlN2at6native12_GLOBAL__N_18offset_tEEE10hipError_tPvRmT1_PNSt15iterator_traitsIS12_E10value_typeET2_T3_PNS13_IS18_E10value_typeET4_jRbjT5_S1E_jjP12ihipStream_tbEUljE_ZNSN_ISO_Lb0ESQ_SR_ST_SU_SY_EESZ_S10_S11_S12_S16_S17_S18_S1B_S1C_jS1D_jS1E_S1E_jjS1G_bEUljE0_EEESZ_S10_S11_S18_S1C_S1E_T6_T7_T9_mT8_S1G_bDpT10_ENKUlT_T0_E_clISt17integral_constantIbLb0EES1T_IbLb1EEEEDaS1P_S1Q_EUlS1P_E_NS1_11comp_targetILNS1_3genE4ELNS1_11target_archE910ELNS1_3gpuE8ELNS1_3repE0EEENS1_30default_config_static_selectorELNS0_4arch9wavefront6targetE0EEEvS12_,"axG",@progbits,_ZN7rocprim17ROCPRIM_400000_NS6detail17trampoline_kernelINS0_13select_configILj256ELj13ELNS0_17block_load_methodE3ELS4_3ELS4_3ELNS0_20block_scan_algorithmE0ELj4294967295EEENS1_25partition_config_selectorILNS1_17partition_subalgoE4EjNS0_10empty_typeEbEEZZNS1_14partition_implILS8_4ELb0ES6_15HIP_vector_typeIjLj2EENS0_17counting_iteratorIjlEEPS9_SG_NS0_5tupleIJPjSI_NS0_16reverse_iteratorISI_EEEEENSH_IJSG_SG_SG_EEES9_SI_JZNS1_25segmented_radix_sort_implINS0_14default_configELb0EPKfPfPKlPlN2at6native12_GLOBAL__N_18offset_tEEE10hipError_tPvRmT1_PNSt15iterator_traitsIS12_E10value_typeET2_T3_PNS13_IS18_E10value_typeET4_jRbjT5_S1E_jjP12ihipStream_tbEUljE_ZNSN_ISO_Lb0ESQ_SR_ST_SU_SY_EESZ_S10_S11_S12_S16_S17_S18_S1B_S1C_jS1D_jS1E_S1E_jjS1G_bEUljE0_EEESZ_S10_S11_S18_S1C_S1E_T6_T7_T9_mT8_S1G_bDpT10_ENKUlT_T0_E_clISt17integral_constantIbLb0EES1T_IbLb1EEEEDaS1P_S1Q_EUlS1P_E_NS1_11comp_targetILNS1_3genE4ELNS1_11target_archE910ELNS1_3gpuE8ELNS1_3repE0EEENS1_30default_config_static_selectorELNS0_4arch9wavefront6targetE0EEEvS12_,comdat
.Lfunc_end1383:
	.size	_ZN7rocprim17ROCPRIM_400000_NS6detail17trampoline_kernelINS0_13select_configILj256ELj13ELNS0_17block_load_methodE3ELS4_3ELS4_3ELNS0_20block_scan_algorithmE0ELj4294967295EEENS1_25partition_config_selectorILNS1_17partition_subalgoE4EjNS0_10empty_typeEbEEZZNS1_14partition_implILS8_4ELb0ES6_15HIP_vector_typeIjLj2EENS0_17counting_iteratorIjlEEPS9_SG_NS0_5tupleIJPjSI_NS0_16reverse_iteratorISI_EEEEENSH_IJSG_SG_SG_EEES9_SI_JZNS1_25segmented_radix_sort_implINS0_14default_configELb0EPKfPfPKlPlN2at6native12_GLOBAL__N_18offset_tEEE10hipError_tPvRmT1_PNSt15iterator_traitsIS12_E10value_typeET2_T3_PNS13_IS18_E10value_typeET4_jRbjT5_S1E_jjP12ihipStream_tbEUljE_ZNSN_ISO_Lb0ESQ_SR_ST_SU_SY_EESZ_S10_S11_S12_S16_S17_S18_S1B_S1C_jS1D_jS1E_S1E_jjS1G_bEUljE0_EEESZ_S10_S11_S18_S1C_S1E_T6_T7_T9_mT8_S1G_bDpT10_ENKUlT_T0_E_clISt17integral_constantIbLb0EES1T_IbLb1EEEEDaS1P_S1Q_EUlS1P_E_NS1_11comp_targetILNS1_3genE4ELNS1_11target_archE910ELNS1_3gpuE8ELNS1_3repE0EEENS1_30default_config_static_selectorELNS0_4arch9wavefront6targetE0EEEvS12_, .Lfunc_end1383-_ZN7rocprim17ROCPRIM_400000_NS6detail17trampoline_kernelINS0_13select_configILj256ELj13ELNS0_17block_load_methodE3ELS4_3ELS4_3ELNS0_20block_scan_algorithmE0ELj4294967295EEENS1_25partition_config_selectorILNS1_17partition_subalgoE4EjNS0_10empty_typeEbEEZZNS1_14partition_implILS8_4ELb0ES6_15HIP_vector_typeIjLj2EENS0_17counting_iteratorIjlEEPS9_SG_NS0_5tupleIJPjSI_NS0_16reverse_iteratorISI_EEEEENSH_IJSG_SG_SG_EEES9_SI_JZNS1_25segmented_radix_sort_implINS0_14default_configELb0EPKfPfPKlPlN2at6native12_GLOBAL__N_18offset_tEEE10hipError_tPvRmT1_PNSt15iterator_traitsIS12_E10value_typeET2_T3_PNS13_IS18_E10value_typeET4_jRbjT5_S1E_jjP12ihipStream_tbEUljE_ZNSN_ISO_Lb0ESQ_SR_ST_SU_SY_EESZ_S10_S11_S12_S16_S17_S18_S1B_S1C_jS1D_jS1E_S1E_jjS1G_bEUljE0_EEESZ_S10_S11_S18_S1C_S1E_T6_T7_T9_mT8_S1G_bDpT10_ENKUlT_T0_E_clISt17integral_constantIbLb0EES1T_IbLb1EEEEDaS1P_S1Q_EUlS1P_E_NS1_11comp_targetILNS1_3genE4ELNS1_11target_archE910ELNS1_3gpuE8ELNS1_3repE0EEENS1_30default_config_static_selectorELNS0_4arch9wavefront6targetE0EEEvS12_
                                        ; -- End function
	.set _ZN7rocprim17ROCPRIM_400000_NS6detail17trampoline_kernelINS0_13select_configILj256ELj13ELNS0_17block_load_methodE3ELS4_3ELS4_3ELNS0_20block_scan_algorithmE0ELj4294967295EEENS1_25partition_config_selectorILNS1_17partition_subalgoE4EjNS0_10empty_typeEbEEZZNS1_14partition_implILS8_4ELb0ES6_15HIP_vector_typeIjLj2EENS0_17counting_iteratorIjlEEPS9_SG_NS0_5tupleIJPjSI_NS0_16reverse_iteratorISI_EEEEENSH_IJSG_SG_SG_EEES9_SI_JZNS1_25segmented_radix_sort_implINS0_14default_configELb0EPKfPfPKlPlN2at6native12_GLOBAL__N_18offset_tEEE10hipError_tPvRmT1_PNSt15iterator_traitsIS12_E10value_typeET2_T3_PNS13_IS18_E10value_typeET4_jRbjT5_S1E_jjP12ihipStream_tbEUljE_ZNSN_ISO_Lb0ESQ_SR_ST_SU_SY_EESZ_S10_S11_S12_S16_S17_S18_S1B_S1C_jS1D_jS1E_S1E_jjS1G_bEUljE0_EEESZ_S10_S11_S18_S1C_S1E_T6_T7_T9_mT8_S1G_bDpT10_ENKUlT_T0_E_clISt17integral_constantIbLb0EES1T_IbLb1EEEEDaS1P_S1Q_EUlS1P_E_NS1_11comp_targetILNS1_3genE4ELNS1_11target_archE910ELNS1_3gpuE8ELNS1_3repE0EEENS1_30default_config_static_selectorELNS0_4arch9wavefront6targetE0EEEvS12_.num_vgpr, 0
	.set _ZN7rocprim17ROCPRIM_400000_NS6detail17trampoline_kernelINS0_13select_configILj256ELj13ELNS0_17block_load_methodE3ELS4_3ELS4_3ELNS0_20block_scan_algorithmE0ELj4294967295EEENS1_25partition_config_selectorILNS1_17partition_subalgoE4EjNS0_10empty_typeEbEEZZNS1_14partition_implILS8_4ELb0ES6_15HIP_vector_typeIjLj2EENS0_17counting_iteratorIjlEEPS9_SG_NS0_5tupleIJPjSI_NS0_16reverse_iteratorISI_EEEEENSH_IJSG_SG_SG_EEES9_SI_JZNS1_25segmented_radix_sort_implINS0_14default_configELb0EPKfPfPKlPlN2at6native12_GLOBAL__N_18offset_tEEE10hipError_tPvRmT1_PNSt15iterator_traitsIS12_E10value_typeET2_T3_PNS13_IS18_E10value_typeET4_jRbjT5_S1E_jjP12ihipStream_tbEUljE_ZNSN_ISO_Lb0ESQ_SR_ST_SU_SY_EESZ_S10_S11_S12_S16_S17_S18_S1B_S1C_jS1D_jS1E_S1E_jjS1G_bEUljE0_EEESZ_S10_S11_S18_S1C_S1E_T6_T7_T9_mT8_S1G_bDpT10_ENKUlT_T0_E_clISt17integral_constantIbLb0EES1T_IbLb1EEEEDaS1P_S1Q_EUlS1P_E_NS1_11comp_targetILNS1_3genE4ELNS1_11target_archE910ELNS1_3gpuE8ELNS1_3repE0EEENS1_30default_config_static_selectorELNS0_4arch9wavefront6targetE0EEEvS12_.num_agpr, 0
	.set _ZN7rocprim17ROCPRIM_400000_NS6detail17trampoline_kernelINS0_13select_configILj256ELj13ELNS0_17block_load_methodE3ELS4_3ELS4_3ELNS0_20block_scan_algorithmE0ELj4294967295EEENS1_25partition_config_selectorILNS1_17partition_subalgoE4EjNS0_10empty_typeEbEEZZNS1_14partition_implILS8_4ELb0ES6_15HIP_vector_typeIjLj2EENS0_17counting_iteratorIjlEEPS9_SG_NS0_5tupleIJPjSI_NS0_16reverse_iteratorISI_EEEEENSH_IJSG_SG_SG_EEES9_SI_JZNS1_25segmented_radix_sort_implINS0_14default_configELb0EPKfPfPKlPlN2at6native12_GLOBAL__N_18offset_tEEE10hipError_tPvRmT1_PNSt15iterator_traitsIS12_E10value_typeET2_T3_PNS13_IS18_E10value_typeET4_jRbjT5_S1E_jjP12ihipStream_tbEUljE_ZNSN_ISO_Lb0ESQ_SR_ST_SU_SY_EESZ_S10_S11_S12_S16_S17_S18_S1B_S1C_jS1D_jS1E_S1E_jjS1G_bEUljE0_EEESZ_S10_S11_S18_S1C_S1E_T6_T7_T9_mT8_S1G_bDpT10_ENKUlT_T0_E_clISt17integral_constantIbLb0EES1T_IbLb1EEEEDaS1P_S1Q_EUlS1P_E_NS1_11comp_targetILNS1_3genE4ELNS1_11target_archE910ELNS1_3gpuE8ELNS1_3repE0EEENS1_30default_config_static_selectorELNS0_4arch9wavefront6targetE0EEEvS12_.numbered_sgpr, 0
	.set _ZN7rocprim17ROCPRIM_400000_NS6detail17trampoline_kernelINS0_13select_configILj256ELj13ELNS0_17block_load_methodE3ELS4_3ELS4_3ELNS0_20block_scan_algorithmE0ELj4294967295EEENS1_25partition_config_selectorILNS1_17partition_subalgoE4EjNS0_10empty_typeEbEEZZNS1_14partition_implILS8_4ELb0ES6_15HIP_vector_typeIjLj2EENS0_17counting_iteratorIjlEEPS9_SG_NS0_5tupleIJPjSI_NS0_16reverse_iteratorISI_EEEEENSH_IJSG_SG_SG_EEES9_SI_JZNS1_25segmented_radix_sort_implINS0_14default_configELb0EPKfPfPKlPlN2at6native12_GLOBAL__N_18offset_tEEE10hipError_tPvRmT1_PNSt15iterator_traitsIS12_E10value_typeET2_T3_PNS13_IS18_E10value_typeET4_jRbjT5_S1E_jjP12ihipStream_tbEUljE_ZNSN_ISO_Lb0ESQ_SR_ST_SU_SY_EESZ_S10_S11_S12_S16_S17_S18_S1B_S1C_jS1D_jS1E_S1E_jjS1G_bEUljE0_EEESZ_S10_S11_S18_S1C_S1E_T6_T7_T9_mT8_S1G_bDpT10_ENKUlT_T0_E_clISt17integral_constantIbLb0EES1T_IbLb1EEEEDaS1P_S1Q_EUlS1P_E_NS1_11comp_targetILNS1_3genE4ELNS1_11target_archE910ELNS1_3gpuE8ELNS1_3repE0EEENS1_30default_config_static_selectorELNS0_4arch9wavefront6targetE0EEEvS12_.num_named_barrier, 0
	.set _ZN7rocprim17ROCPRIM_400000_NS6detail17trampoline_kernelINS0_13select_configILj256ELj13ELNS0_17block_load_methodE3ELS4_3ELS4_3ELNS0_20block_scan_algorithmE0ELj4294967295EEENS1_25partition_config_selectorILNS1_17partition_subalgoE4EjNS0_10empty_typeEbEEZZNS1_14partition_implILS8_4ELb0ES6_15HIP_vector_typeIjLj2EENS0_17counting_iteratorIjlEEPS9_SG_NS0_5tupleIJPjSI_NS0_16reverse_iteratorISI_EEEEENSH_IJSG_SG_SG_EEES9_SI_JZNS1_25segmented_radix_sort_implINS0_14default_configELb0EPKfPfPKlPlN2at6native12_GLOBAL__N_18offset_tEEE10hipError_tPvRmT1_PNSt15iterator_traitsIS12_E10value_typeET2_T3_PNS13_IS18_E10value_typeET4_jRbjT5_S1E_jjP12ihipStream_tbEUljE_ZNSN_ISO_Lb0ESQ_SR_ST_SU_SY_EESZ_S10_S11_S12_S16_S17_S18_S1B_S1C_jS1D_jS1E_S1E_jjS1G_bEUljE0_EEESZ_S10_S11_S18_S1C_S1E_T6_T7_T9_mT8_S1G_bDpT10_ENKUlT_T0_E_clISt17integral_constantIbLb0EES1T_IbLb1EEEEDaS1P_S1Q_EUlS1P_E_NS1_11comp_targetILNS1_3genE4ELNS1_11target_archE910ELNS1_3gpuE8ELNS1_3repE0EEENS1_30default_config_static_selectorELNS0_4arch9wavefront6targetE0EEEvS12_.private_seg_size, 0
	.set _ZN7rocprim17ROCPRIM_400000_NS6detail17trampoline_kernelINS0_13select_configILj256ELj13ELNS0_17block_load_methodE3ELS4_3ELS4_3ELNS0_20block_scan_algorithmE0ELj4294967295EEENS1_25partition_config_selectorILNS1_17partition_subalgoE4EjNS0_10empty_typeEbEEZZNS1_14partition_implILS8_4ELb0ES6_15HIP_vector_typeIjLj2EENS0_17counting_iteratorIjlEEPS9_SG_NS0_5tupleIJPjSI_NS0_16reverse_iteratorISI_EEEEENSH_IJSG_SG_SG_EEES9_SI_JZNS1_25segmented_radix_sort_implINS0_14default_configELb0EPKfPfPKlPlN2at6native12_GLOBAL__N_18offset_tEEE10hipError_tPvRmT1_PNSt15iterator_traitsIS12_E10value_typeET2_T3_PNS13_IS18_E10value_typeET4_jRbjT5_S1E_jjP12ihipStream_tbEUljE_ZNSN_ISO_Lb0ESQ_SR_ST_SU_SY_EESZ_S10_S11_S12_S16_S17_S18_S1B_S1C_jS1D_jS1E_S1E_jjS1G_bEUljE0_EEESZ_S10_S11_S18_S1C_S1E_T6_T7_T9_mT8_S1G_bDpT10_ENKUlT_T0_E_clISt17integral_constantIbLb0EES1T_IbLb1EEEEDaS1P_S1Q_EUlS1P_E_NS1_11comp_targetILNS1_3genE4ELNS1_11target_archE910ELNS1_3gpuE8ELNS1_3repE0EEENS1_30default_config_static_selectorELNS0_4arch9wavefront6targetE0EEEvS12_.uses_vcc, 0
	.set _ZN7rocprim17ROCPRIM_400000_NS6detail17trampoline_kernelINS0_13select_configILj256ELj13ELNS0_17block_load_methodE3ELS4_3ELS4_3ELNS0_20block_scan_algorithmE0ELj4294967295EEENS1_25partition_config_selectorILNS1_17partition_subalgoE4EjNS0_10empty_typeEbEEZZNS1_14partition_implILS8_4ELb0ES6_15HIP_vector_typeIjLj2EENS0_17counting_iteratorIjlEEPS9_SG_NS0_5tupleIJPjSI_NS0_16reverse_iteratorISI_EEEEENSH_IJSG_SG_SG_EEES9_SI_JZNS1_25segmented_radix_sort_implINS0_14default_configELb0EPKfPfPKlPlN2at6native12_GLOBAL__N_18offset_tEEE10hipError_tPvRmT1_PNSt15iterator_traitsIS12_E10value_typeET2_T3_PNS13_IS18_E10value_typeET4_jRbjT5_S1E_jjP12ihipStream_tbEUljE_ZNSN_ISO_Lb0ESQ_SR_ST_SU_SY_EESZ_S10_S11_S12_S16_S17_S18_S1B_S1C_jS1D_jS1E_S1E_jjS1G_bEUljE0_EEESZ_S10_S11_S18_S1C_S1E_T6_T7_T9_mT8_S1G_bDpT10_ENKUlT_T0_E_clISt17integral_constantIbLb0EES1T_IbLb1EEEEDaS1P_S1Q_EUlS1P_E_NS1_11comp_targetILNS1_3genE4ELNS1_11target_archE910ELNS1_3gpuE8ELNS1_3repE0EEENS1_30default_config_static_selectorELNS0_4arch9wavefront6targetE0EEEvS12_.uses_flat_scratch, 0
	.set _ZN7rocprim17ROCPRIM_400000_NS6detail17trampoline_kernelINS0_13select_configILj256ELj13ELNS0_17block_load_methodE3ELS4_3ELS4_3ELNS0_20block_scan_algorithmE0ELj4294967295EEENS1_25partition_config_selectorILNS1_17partition_subalgoE4EjNS0_10empty_typeEbEEZZNS1_14partition_implILS8_4ELb0ES6_15HIP_vector_typeIjLj2EENS0_17counting_iteratorIjlEEPS9_SG_NS0_5tupleIJPjSI_NS0_16reverse_iteratorISI_EEEEENSH_IJSG_SG_SG_EEES9_SI_JZNS1_25segmented_radix_sort_implINS0_14default_configELb0EPKfPfPKlPlN2at6native12_GLOBAL__N_18offset_tEEE10hipError_tPvRmT1_PNSt15iterator_traitsIS12_E10value_typeET2_T3_PNS13_IS18_E10value_typeET4_jRbjT5_S1E_jjP12ihipStream_tbEUljE_ZNSN_ISO_Lb0ESQ_SR_ST_SU_SY_EESZ_S10_S11_S12_S16_S17_S18_S1B_S1C_jS1D_jS1E_S1E_jjS1G_bEUljE0_EEESZ_S10_S11_S18_S1C_S1E_T6_T7_T9_mT8_S1G_bDpT10_ENKUlT_T0_E_clISt17integral_constantIbLb0EES1T_IbLb1EEEEDaS1P_S1Q_EUlS1P_E_NS1_11comp_targetILNS1_3genE4ELNS1_11target_archE910ELNS1_3gpuE8ELNS1_3repE0EEENS1_30default_config_static_selectorELNS0_4arch9wavefront6targetE0EEEvS12_.has_dyn_sized_stack, 0
	.set _ZN7rocprim17ROCPRIM_400000_NS6detail17trampoline_kernelINS0_13select_configILj256ELj13ELNS0_17block_load_methodE3ELS4_3ELS4_3ELNS0_20block_scan_algorithmE0ELj4294967295EEENS1_25partition_config_selectorILNS1_17partition_subalgoE4EjNS0_10empty_typeEbEEZZNS1_14partition_implILS8_4ELb0ES6_15HIP_vector_typeIjLj2EENS0_17counting_iteratorIjlEEPS9_SG_NS0_5tupleIJPjSI_NS0_16reverse_iteratorISI_EEEEENSH_IJSG_SG_SG_EEES9_SI_JZNS1_25segmented_radix_sort_implINS0_14default_configELb0EPKfPfPKlPlN2at6native12_GLOBAL__N_18offset_tEEE10hipError_tPvRmT1_PNSt15iterator_traitsIS12_E10value_typeET2_T3_PNS13_IS18_E10value_typeET4_jRbjT5_S1E_jjP12ihipStream_tbEUljE_ZNSN_ISO_Lb0ESQ_SR_ST_SU_SY_EESZ_S10_S11_S12_S16_S17_S18_S1B_S1C_jS1D_jS1E_S1E_jjS1G_bEUljE0_EEESZ_S10_S11_S18_S1C_S1E_T6_T7_T9_mT8_S1G_bDpT10_ENKUlT_T0_E_clISt17integral_constantIbLb0EES1T_IbLb1EEEEDaS1P_S1Q_EUlS1P_E_NS1_11comp_targetILNS1_3genE4ELNS1_11target_archE910ELNS1_3gpuE8ELNS1_3repE0EEENS1_30default_config_static_selectorELNS0_4arch9wavefront6targetE0EEEvS12_.has_recursion, 0
	.set _ZN7rocprim17ROCPRIM_400000_NS6detail17trampoline_kernelINS0_13select_configILj256ELj13ELNS0_17block_load_methodE3ELS4_3ELS4_3ELNS0_20block_scan_algorithmE0ELj4294967295EEENS1_25partition_config_selectorILNS1_17partition_subalgoE4EjNS0_10empty_typeEbEEZZNS1_14partition_implILS8_4ELb0ES6_15HIP_vector_typeIjLj2EENS0_17counting_iteratorIjlEEPS9_SG_NS0_5tupleIJPjSI_NS0_16reverse_iteratorISI_EEEEENSH_IJSG_SG_SG_EEES9_SI_JZNS1_25segmented_radix_sort_implINS0_14default_configELb0EPKfPfPKlPlN2at6native12_GLOBAL__N_18offset_tEEE10hipError_tPvRmT1_PNSt15iterator_traitsIS12_E10value_typeET2_T3_PNS13_IS18_E10value_typeET4_jRbjT5_S1E_jjP12ihipStream_tbEUljE_ZNSN_ISO_Lb0ESQ_SR_ST_SU_SY_EESZ_S10_S11_S12_S16_S17_S18_S1B_S1C_jS1D_jS1E_S1E_jjS1G_bEUljE0_EEESZ_S10_S11_S18_S1C_S1E_T6_T7_T9_mT8_S1G_bDpT10_ENKUlT_T0_E_clISt17integral_constantIbLb0EES1T_IbLb1EEEEDaS1P_S1Q_EUlS1P_E_NS1_11comp_targetILNS1_3genE4ELNS1_11target_archE910ELNS1_3gpuE8ELNS1_3repE0EEENS1_30default_config_static_selectorELNS0_4arch9wavefront6targetE0EEEvS12_.has_indirect_call, 0
	.section	.AMDGPU.csdata,"",@progbits
; Kernel info:
; codeLenInByte = 0
; TotalNumSgprs: 0
; NumVgprs: 0
; ScratchSize: 0
; MemoryBound: 0
; FloatMode: 240
; IeeeMode: 1
; LDSByteSize: 0 bytes/workgroup (compile time only)
; SGPRBlocks: 0
; VGPRBlocks: 0
; NumSGPRsForWavesPerEU: 1
; NumVGPRsForWavesPerEU: 1
; NamedBarCnt: 0
; Occupancy: 16
; WaveLimiterHint : 0
; COMPUTE_PGM_RSRC2:SCRATCH_EN: 0
; COMPUTE_PGM_RSRC2:USER_SGPR: 2
; COMPUTE_PGM_RSRC2:TRAP_HANDLER: 0
; COMPUTE_PGM_RSRC2:TGID_X_EN: 1
; COMPUTE_PGM_RSRC2:TGID_Y_EN: 0
; COMPUTE_PGM_RSRC2:TGID_Z_EN: 0
; COMPUTE_PGM_RSRC2:TIDIG_COMP_CNT: 0
	.section	.text._ZN7rocprim17ROCPRIM_400000_NS6detail17trampoline_kernelINS0_13select_configILj256ELj13ELNS0_17block_load_methodE3ELS4_3ELS4_3ELNS0_20block_scan_algorithmE0ELj4294967295EEENS1_25partition_config_selectorILNS1_17partition_subalgoE4EjNS0_10empty_typeEbEEZZNS1_14partition_implILS8_4ELb0ES6_15HIP_vector_typeIjLj2EENS0_17counting_iteratorIjlEEPS9_SG_NS0_5tupleIJPjSI_NS0_16reverse_iteratorISI_EEEEENSH_IJSG_SG_SG_EEES9_SI_JZNS1_25segmented_radix_sort_implINS0_14default_configELb0EPKfPfPKlPlN2at6native12_GLOBAL__N_18offset_tEEE10hipError_tPvRmT1_PNSt15iterator_traitsIS12_E10value_typeET2_T3_PNS13_IS18_E10value_typeET4_jRbjT5_S1E_jjP12ihipStream_tbEUljE_ZNSN_ISO_Lb0ESQ_SR_ST_SU_SY_EESZ_S10_S11_S12_S16_S17_S18_S1B_S1C_jS1D_jS1E_S1E_jjS1G_bEUljE0_EEESZ_S10_S11_S18_S1C_S1E_T6_T7_T9_mT8_S1G_bDpT10_ENKUlT_T0_E_clISt17integral_constantIbLb0EES1T_IbLb1EEEEDaS1P_S1Q_EUlS1P_E_NS1_11comp_targetILNS1_3genE3ELNS1_11target_archE908ELNS1_3gpuE7ELNS1_3repE0EEENS1_30default_config_static_selectorELNS0_4arch9wavefront6targetE0EEEvS12_,"axG",@progbits,_ZN7rocprim17ROCPRIM_400000_NS6detail17trampoline_kernelINS0_13select_configILj256ELj13ELNS0_17block_load_methodE3ELS4_3ELS4_3ELNS0_20block_scan_algorithmE0ELj4294967295EEENS1_25partition_config_selectorILNS1_17partition_subalgoE4EjNS0_10empty_typeEbEEZZNS1_14partition_implILS8_4ELb0ES6_15HIP_vector_typeIjLj2EENS0_17counting_iteratorIjlEEPS9_SG_NS0_5tupleIJPjSI_NS0_16reverse_iteratorISI_EEEEENSH_IJSG_SG_SG_EEES9_SI_JZNS1_25segmented_radix_sort_implINS0_14default_configELb0EPKfPfPKlPlN2at6native12_GLOBAL__N_18offset_tEEE10hipError_tPvRmT1_PNSt15iterator_traitsIS12_E10value_typeET2_T3_PNS13_IS18_E10value_typeET4_jRbjT5_S1E_jjP12ihipStream_tbEUljE_ZNSN_ISO_Lb0ESQ_SR_ST_SU_SY_EESZ_S10_S11_S12_S16_S17_S18_S1B_S1C_jS1D_jS1E_S1E_jjS1G_bEUljE0_EEESZ_S10_S11_S18_S1C_S1E_T6_T7_T9_mT8_S1G_bDpT10_ENKUlT_T0_E_clISt17integral_constantIbLb0EES1T_IbLb1EEEEDaS1P_S1Q_EUlS1P_E_NS1_11comp_targetILNS1_3genE3ELNS1_11target_archE908ELNS1_3gpuE7ELNS1_3repE0EEENS1_30default_config_static_selectorELNS0_4arch9wavefront6targetE0EEEvS12_,comdat
	.globl	_ZN7rocprim17ROCPRIM_400000_NS6detail17trampoline_kernelINS0_13select_configILj256ELj13ELNS0_17block_load_methodE3ELS4_3ELS4_3ELNS0_20block_scan_algorithmE0ELj4294967295EEENS1_25partition_config_selectorILNS1_17partition_subalgoE4EjNS0_10empty_typeEbEEZZNS1_14partition_implILS8_4ELb0ES6_15HIP_vector_typeIjLj2EENS0_17counting_iteratorIjlEEPS9_SG_NS0_5tupleIJPjSI_NS0_16reverse_iteratorISI_EEEEENSH_IJSG_SG_SG_EEES9_SI_JZNS1_25segmented_radix_sort_implINS0_14default_configELb0EPKfPfPKlPlN2at6native12_GLOBAL__N_18offset_tEEE10hipError_tPvRmT1_PNSt15iterator_traitsIS12_E10value_typeET2_T3_PNS13_IS18_E10value_typeET4_jRbjT5_S1E_jjP12ihipStream_tbEUljE_ZNSN_ISO_Lb0ESQ_SR_ST_SU_SY_EESZ_S10_S11_S12_S16_S17_S18_S1B_S1C_jS1D_jS1E_S1E_jjS1G_bEUljE0_EEESZ_S10_S11_S18_S1C_S1E_T6_T7_T9_mT8_S1G_bDpT10_ENKUlT_T0_E_clISt17integral_constantIbLb0EES1T_IbLb1EEEEDaS1P_S1Q_EUlS1P_E_NS1_11comp_targetILNS1_3genE3ELNS1_11target_archE908ELNS1_3gpuE7ELNS1_3repE0EEENS1_30default_config_static_selectorELNS0_4arch9wavefront6targetE0EEEvS12_ ; -- Begin function _ZN7rocprim17ROCPRIM_400000_NS6detail17trampoline_kernelINS0_13select_configILj256ELj13ELNS0_17block_load_methodE3ELS4_3ELS4_3ELNS0_20block_scan_algorithmE0ELj4294967295EEENS1_25partition_config_selectorILNS1_17partition_subalgoE4EjNS0_10empty_typeEbEEZZNS1_14partition_implILS8_4ELb0ES6_15HIP_vector_typeIjLj2EENS0_17counting_iteratorIjlEEPS9_SG_NS0_5tupleIJPjSI_NS0_16reverse_iteratorISI_EEEEENSH_IJSG_SG_SG_EEES9_SI_JZNS1_25segmented_radix_sort_implINS0_14default_configELb0EPKfPfPKlPlN2at6native12_GLOBAL__N_18offset_tEEE10hipError_tPvRmT1_PNSt15iterator_traitsIS12_E10value_typeET2_T3_PNS13_IS18_E10value_typeET4_jRbjT5_S1E_jjP12ihipStream_tbEUljE_ZNSN_ISO_Lb0ESQ_SR_ST_SU_SY_EESZ_S10_S11_S12_S16_S17_S18_S1B_S1C_jS1D_jS1E_S1E_jjS1G_bEUljE0_EEESZ_S10_S11_S18_S1C_S1E_T6_T7_T9_mT8_S1G_bDpT10_ENKUlT_T0_E_clISt17integral_constantIbLb0EES1T_IbLb1EEEEDaS1P_S1Q_EUlS1P_E_NS1_11comp_targetILNS1_3genE3ELNS1_11target_archE908ELNS1_3gpuE7ELNS1_3repE0EEENS1_30default_config_static_selectorELNS0_4arch9wavefront6targetE0EEEvS12_
	.p2align	8
	.type	_ZN7rocprim17ROCPRIM_400000_NS6detail17trampoline_kernelINS0_13select_configILj256ELj13ELNS0_17block_load_methodE3ELS4_3ELS4_3ELNS0_20block_scan_algorithmE0ELj4294967295EEENS1_25partition_config_selectorILNS1_17partition_subalgoE4EjNS0_10empty_typeEbEEZZNS1_14partition_implILS8_4ELb0ES6_15HIP_vector_typeIjLj2EENS0_17counting_iteratorIjlEEPS9_SG_NS0_5tupleIJPjSI_NS0_16reverse_iteratorISI_EEEEENSH_IJSG_SG_SG_EEES9_SI_JZNS1_25segmented_radix_sort_implINS0_14default_configELb0EPKfPfPKlPlN2at6native12_GLOBAL__N_18offset_tEEE10hipError_tPvRmT1_PNSt15iterator_traitsIS12_E10value_typeET2_T3_PNS13_IS18_E10value_typeET4_jRbjT5_S1E_jjP12ihipStream_tbEUljE_ZNSN_ISO_Lb0ESQ_SR_ST_SU_SY_EESZ_S10_S11_S12_S16_S17_S18_S1B_S1C_jS1D_jS1E_S1E_jjS1G_bEUljE0_EEESZ_S10_S11_S18_S1C_S1E_T6_T7_T9_mT8_S1G_bDpT10_ENKUlT_T0_E_clISt17integral_constantIbLb0EES1T_IbLb1EEEEDaS1P_S1Q_EUlS1P_E_NS1_11comp_targetILNS1_3genE3ELNS1_11target_archE908ELNS1_3gpuE7ELNS1_3repE0EEENS1_30default_config_static_selectorELNS0_4arch9wavefront6targetE0EEEvS12_,@function
_ZN7rocprim17ROCPRIM_400000_NS6detail17trampoline_kernelINS0_13select_configILj256ELj13ELNS0_17block_load_methodE3ELS4_3ELS4_3ELNS0_20block_scan_algorithmE0ELj4294967295EEENS1_25partition_config_selectorILNS1_17partition_subalgoE4EjNS0_10empty_typeEbEEZZNS1_14partition_implILS8_4ELb0ES6_15HIP_vector_typeIjLj2EENS0_17counting_iteratorIjlEEPS9_SG_NS0_5tupleIJPjSI_NS0_16reverse_iteratorISI_EEEEENSH_IJSG_SG_SG_EEES9_SI_JZNS1_25segmented_radix_sort_implINS0_14default_configELb0EPKfPfPKlPlN2at6native12_GLOBAL__N_18offset_tEEE10hipError_tPvRmT1_PNSt15iterator_traitsIS12_E10value_typeET2_T3_PNS13_IS18_E10value_typeET4_jRbjT5_S1E_jjP12ihipStream_tbEUljE_ZNSN_ISO_Lb0ESQ_SR_ST_SU_SY_EESZ_S10_S11_S12_S16_S17_S18_S1B_S1C_jS1D_jS1E_S1E_jjS1G_bEUljE0_EEESZ_S10_S11_S18_S1C_S1E_T6_T7_T9_mT8_S1G_bDpT10_ENKUlT_T0_E_clISt17integral_constantIbLb0EES1T_IbLb1EEEEDaS1P_S1Q_EUlS1P_E_NS1_11comp_targetILNS1_3genE3ELNS1_11target_archE908ELNS1_3gpuE7ELNS1_3repE0EEENS1_30default_config_static_selectorELNS0_4arch9wavefront6targetE0EEEvS12_: ; @_ZN7rocprim17ROCPRIM_400000_NS6detail17trampoline_kernelINS0_13select_configILj256ELj13ELNS0_17block_load_methodE3ELS4_3ELS4_3ELNS0_20block_scan_algorithmE0ELj4294967295EEENS1_25partition_config_selectorILNS1_17partition_subalgoE4EjNS0_10empty_typeEbEEZZNS1_14partition_implILS8_4ELb0ES6_15HIP_vector_typeIjLj2EENS0_17counting_iteratorIjlEEPS9_SG_NS0_5tupleIJPjSI_NS0_16reverse_iteratorISI_EEEEENSH_IJSG_SG_SG_EEES9_SI_JZNS1_25segmented_radix_sort_implINS0_14default_configELb0EPKfPfPKlPlN2at6native12_GLOBAL__N_18offset_tEEE10hipError_tPvRmT1_PNSt15iterator_traitsIS12_E10value_typeET2_T3_PNS13_IS18_E10value_typeET4_jRbjT5_S1E_jjP12ihipStream_tbEUljE_ZNSN_ISO_Lb0ESQ_SR_ST_SU_SY_EESZ_S10_S11_S12_S16_S17_S18_S1B_S1C_jS1D_jS1E_S1E_jjS1G_bEUljE0_EEESZ_S10_S11_S18_S1C_S1E_T6_T7_T9_mT8_S1G_bDpT10_ENKUlT_T0_E_clISt17integral_constantIbLb0EES1T_IbLb1EEEEDaS1P_S1Q_EUlS1P_E_NS1_11comp_targetILNS1_3genE3ELNS1_11target_archE908ELNS1_3gpuE7ELNS1_3repE0EEENS1_30default_config_static_selectorELNS0_4arch9wavefront6targetE0EEEvS12_
; %bb.0:
	.section	.rodata,"a",@progbits
	.p2align	6, 0x0
	.amdhsa_kernel _ZN7rocprim17ROCPRIM_400000_NS6detail17trampoline_kernelINS0_13select_configILj256ELj13ELNS0_17block_load_methodE3ELS4_3ELS4_3ELNS0_20block_scan_algorithmE0ELj4294967295EEENS1_25partition_config_selectorILNS1_17partition_subalgoE4EjNS0_10empty_typeEbEEZZNS1_14partition_implILS8_4ELb0ES6_15HIP_vector_typeIjLj2EENS0_17counting_iteratorIjlEEPS9_SG_NS0_5tupleIJPjSI_NS0_16reverse_iteratorISI_EEEEENSH_IJSG_SG_SG_EEES9_SI_JZNS1_25segmented_radix_sort_implINS0_14default_configELb0EPKfPfPKlPlN2at6native12_GLOBAL__N_18offset_tEEE10hipError_tPvRmT1_PNSt15iterator_traitsIS12_E10value_typeET2_T3_PNS13_IS18_E10value_typeET4_jRbjT5_S1E_jjP12ihipStream_tbEUljE_ZNSN_ISO_Lb0ESQ_SR_ST_SU_SY_EESZ_S10_S11_S12_S16_S17_S18_S1B_S1C_jS1D_jS1E_S1E_jjS1G_bEUljE0_EEESZ_S10_S11_S18_S1C_S1E_T6_T7_T9_mT8_S1G_bDpT10_ENKUlT_T0_E_clISt17integral_constantIbLb0EES1T_IbLb1EEEEDaS1P_S1Q_EUlS1P_E_NS1_11comp_targetILNS1_3genE3ELNS1_11target_archE908ELNS1_3gpuE7ELNS1_3repE0EEENS1_30default_config_static_selectorELNS0_4arch9wavefront6targetE0EEEvS12_
		.amdhsa_group_segment_fixed_size 0
		.amdhsa_private_segment_fixed_size 0
		.amdhsa_kernarg_size 184
		.amdhsa_user_sgpr_count 2
		.amdhsa_user_sgpr_dispatch_ptr 0
		.amdhsa_user_sgpr_queue_ptr 0
		.amdhsa_user_sgpr_kernarg_segment_ptr 1
		.amdhsa_user_sgpr_dispatch_id 0
		.amdhsa_user_sgpr_kernarg_preload_length 0
		.amdhsa_user_sgpr_kernarg_preload_offset 0
		.amdhsa_user_sgpr_private_segment_size 0
		.amdhsa_wavefront_size32 1
		.amdhsa_uses_dynamic_stack 0
		.amdhsa_enable_private_segment 0
		.amdhsa_system_sgpr_workgroup_id_x 1
		.amdhsa_system_sgpr_workgroup_id_y 0
		.amdhsa_system_sgpr_workgroup_id_z 0
		.amdhsa_system_sgpr_workgroup_info 0
		.amdhsa_system_vgpr_workitem_id 0
		.amdhsa_next_free_vgpr 1
		.amdhsa_next_free_sgpr 1
		.amdhsa_named_barrier_count 0
		.amdhsa_reserve_vcc 0
		.amdhsa_float_round_mode_32 0
		.amdhsa_float_round_mode_16_64 0
		.amdhsa_float_denorm_mode_32 3
		.amdhsa_float_denorm_mode_16_64 3
		.amdhsa_fp16_overflow 0
		.amdhsa_memory_ordered 1
		.amdhsa_forward_progress 1
		.amdhsa_inst_pref_size 0
		.amdhsa_round_robin_scheduling 0
		.amdhsa_exception_fp_ieee_invalid_op 0
		.amdhsa_exception_fp_denorm_src 0
		.amdhsa_exception_fp_ieee_div_zero 0
		.amdhsa_exception_fp_ieee_overflow 0
		.amdhsa_exception_fp_ieee_underflow 0
		.amdhsa_exception_fp_ieee_inexact 0
		.amdhsa_exception_int_div_zero 0
	.end_amdhsa_kernel
	.section	.text._ZN7rocprim17ROCPRIM_400000_NS6detail17trampoline_kernelINS0_13select_configILj256ELj13ELNS0_17block_load_methodE3ELS4_3ELS4_3ELNS0_20block_scan_algorithmE0ELj4294967295EEENS1_25partition_config_selectorILNS1_17partition_subalgoE4EjNS0_10empty_typeEbEEZZNS1_14partition_implILS8_4ELb0ES6_15HIP_vector_typeIjLj2EENS0_17counting_iteratorIjlEEPS9_SG_NS0_5tupleIJPjSI_NS0_16reverse_iteratorISI_EEEEENSH_IJSG_SG_SG_EEES9_SI_JZNS1_25segmented_radix_sort_implINS0_14default_configELb0EPKfPfPKlPlN2at6native12_GLOBAL__N_18offset_tEEE10hipError_tPvRmT1_PNSt15iterator_traitsIS12_E10value_typeET2_T3_PNS13_IS18_E10value_typeET4_jRbjT5_S1E_jjP12ihipStream_tbEUljE_ZNSN_ISO_Lb0ESQ_SR_ST_SU_SY_EESZ_S10_S11_S12_S16_S17_S18_S1B_S1C_jS1D_jS1E_S1E_jjS1G_bEUljE0_EEESZ_S10_S11_S18_S1C_S1E_T6_T7_T9_mT8_S1G_bDpT10_ENKUlT_T0_E_clISt17integral_constantIbLb0EES1T_IbLb1EEEEDaS1P_S1Q_EUlS1P_E_NS1_11comp_targetILNS1_3genE3ELNS1_11target_archE908ELNS1_3gpuE7ELNS1_3repE0EEENS1_30default_config_static_selectorELNS0_4arch9wavefront6targetE0EEEvS12_,"axG",@progbits,_ZN7rocprim17ROCPRIM_400000_NS6detail17trampoline_kernelINS0_13select_configILj256ELj13ELNS0_17block_load_methodE3ELS4_3ELS4_3ELNS0_20block_scan_algorithmE0ELj4294967295EEENS1_25partition_config_selectorILNS1_17partition_subalgoE4EjNS0_10empty_typeEbEEZZNS1_14partition_implILS8_4ELb0ES6_15HIP_vector_typeIjLj2EENS0_17counting_iteratorIjlEEPS9_SG_NS0_5tupleIJPjSI_NS0_16reverse_iteratorISI_EEEEENSH_IJSG_SG_SG_EEES9_SI_JZNS1_25segmented_radix_sort_implINS0_14default_configELb0EPKfPfPKlPlN2at6native12_GLOBAL__N_18offset_tEEE10hipError_tPvRmT1_PNSt15iterator_traitsIS12_E10value_typeET2_T3_PNS13_IS18_E10value_typeET4_jRbjT5_S1E_jjP12ihipStream_tbEUljE_ZNSN_ISO_Lb0ESQ_SR_ST_SU_SY_EESZ_S10_S11_S12_S16_S17_S18_S1B_S1C_jS1D_jS1E_S1E_jjS1G_bEUljE0_EEESZ_S10_S11_S18_S1C_S1E_T6_T7_T9_mT8_S1G_bDpT10_ENKUlT_T0_E_clISt17integral_constantIbLb0EES1T_IbLb1EEEEDaS1P_S1Q_EUlS1P_E_NS1_11comp_targetILNS1_3genE3ELNS1_11target_archE908ELNS1_3gpuE7ELNS1_3repE0EEENS1_30default_config_static_selectorELNS0_4arch9wavefront6targetE0EEEvS12_,comdat
.Lfunc_end1384:
	.size	_ZN7rocprim17ROCPRIM_400000_NS6detail17trampoline_kernelINS0_13select_configILj256ELj13ELNS0_17block_load_methodE3ELS4_3ELS4_3ELNS0_20block_scan_algorithmE0ELj4294967295EEENS1_25partition_config_selectorILNS1_17partition_subalgoE4EjNS0_10empty_typeEbEEZZNS1_14partition_implILS8_4ELb0ES6_15HIP_vector_typeIjLj2EENS0_17counting_iteratorIjlEEPS9_SG_NS0_5tupleIJPjSI_NS0_16reverse_iteratorISI_EEEEENSH_IJSG_SG_SG_EEES9_SI_JZNS1_25segmented_radix_sort_implINS0_14default_configELb0EPKfPfPKlPlN2at6native12_GLOBAL__N_18offset_tEEE10hipError_tPvRmT1_PNSt15iterator_traitsIS12_E10value_typeET2_T3_PNS13_IS18_E10value_typeET4_jRbjT5_S1E_jjP12ihipStream_tbEUljE_ZNSN_ISO_Lb0ESQ_SR_ST_SU_SY_EESZ_S10_S11_S12_S16_S17_S18_S1B_S1C_jS1D_jS1E_S1E_jjS1G_bEUljE0_EEESZ_S10_S11_S18_S1C_S1E_T6_T7_T9_mT8_S1G_bDpT10_ENKUlT_T0_E_clISt17integral_constantIbLb0EES1T_IbLb1EEEEDaS1P_S1Q_EUlS1P_E_NS1_11comp_targetILNS1_3genE3ELNS1_11target_archE908ELNS1_3gpuE7ELNS1_3repE0EEENS1_30default_config_static_selectorELNS0_4arch9wavefront6targetE0EEEvS12_, .Lfunc_end1384-_ZN7rocprim17ROCPRIM_400000_NS6detail17trampoline_kernelINS0_13select_configILj256ELj13ELNS0_17block_load_methodE3ELS4_3ELS4_3ELNS0_20block_scan_algorithmE0ELj4294967295EEENS1_25partition_config_selectorILNS1_17partition_subalgoE4EjNS0_10empty_typeEbEEZZNS1_14partition_implILS8_4ELb0ES6_15HIP_vector_typeIjLj2EENS0_17counting_iteratorIjlEEPS9_SG_NS0_5tupleIJPjSI_NS0_16reverse_iteratorISI_EEEEENSH_IJSG_SG_SG_EEES9_SI_JZNS1_25segmented_radix_sort_implINS0_14default_configELb0EPKfPfPKlPlN2at6native12_GLOBAL__N_18offset_tEEE10hipError_tPvRmT1_PNSt15iterator_traitsIS12_E10value_typeET2_T3_PNS13_IS18_E10value_typeET4_jRbjT5_S1E_jjP12ihipStream_tbEUljE_ZNSN_ISO_Lb0ESQ_SR_ST_SU_SY_EESZ_S10_S11_S12_S16_S17_S18_S1B_S1C_jS1D_jS1E_S1E_jjS1G_bEUljE0_EEESZ_S10_S11_S18_S1C_S1E_T6_T7_T9_mT8_S1G_bDpT10_ENKUlT_T0_E_clISt17integral_constantIbLb0EES1T_IbLb1EEEEDaS1P_S1Q_EUlS1P_E_NS1_11comp_targetILNS1_3genE3ELNS1_11target_archE908ELNS1_3gpuE7ELNS1_3repE0EEENS1_30default_config_static_selectorELNS0_4arch9wavefront6targetE0EEEvS12_
                                        ; -- End function
	.set _ZN7rocprim17ROCPRIM_400000_NS6detail17trampoline_kernelINS0_13select_configILj256ELj13ELNS0_17block_load_methodE3ELS4_3ELS4_3ELNS0_20block_scan_algorithmE0ELj4294967295EEENS1_25partition_config_selectorILNS1_17partition_subalgoE4EjNS0_10empty_typeEbEEZZNS1_14partition_implILS8_4ELb0ES6_15HIP_vector_typeIjLj2EENS0_17counting_iteratorIjlEEPS9_SG_NS0_5tupleIJPjSI_NS0_16reverse_iteratorISI_EEEEENSH_IJSG_SG_SG_EEES9_SI_JZNS1_25segmented_radix_sort_implINS0_14default_configELb0EPKfPfPKlPlN2at6native12_GLOBAL__N_18offset_tEEE10hipError_tPvRmT1_PNSt15iterator_traitsIS12_E10value_typeET2_T3_PNS13_IS18_E10value_typeET4_jRbjT5_S1E_jjP12ihipStream_tbEUljE_ZNSN_ISO_Lb0ESQ_SR_ST_SU_SY_EESZ_S10_S11_S12_S16_S17_S18_S1B_S1C_jS1D_jS1E_S1E_jjS1G_bEUljE0_EEESZ_S10_S11_S18_S1C_S1E_T6_T7_T9_mT8_S1G_bDpT10_ENKUlT_T0_E_clISt17integral_constantIbLb0EES1T_IbLb1EEEEDaS1P_S1Q_EUlS1P_E_NS1_11comp_targetILNS1_3genE3ELNS1_11target_archE908ELNS1_3gpuE7ELNS1_3repE0EEENS1_30default_config_static_selectorELNS0_4arch9wavefront6targetE0EEEvS12_.num_vgpr, 0
	.set _ZN7rocprim17ROCPRIM_400000_NS6detail17trampoline_kernelINS0_13select_configILj256ELj13ELNS0_17block_load_methodE3ELS4_3ELS4_3ELNS0_20block_scan_algorithmE0ELj4294967295EEENS1_25partition_config_selectorILNS1_17partition_subalgoE4EjNS0_10empty_typeEbEEZZNS1_14partition_implILS8_4ELb0ES6_15HIP_vector_typeIjLj2EENS0_17counting_iteratorIjlEEPS9_SG_NS0_5tupleIJPjSI_NS0_16reverse_iteratorISI_EEEEENSH_IJSG_SG_SG_EEES9_SI_JZNS1_25segmented_radix_sort_implINS0_14default_configELb0EPKfPfPKlPlN2at6native12_GLOBAL__N_18offset_tEEE10hipError_tPvRmT1_PNSt15iterator_traitsIS12_E10value_typeET2_T3_PNS13_IS18_E10value_typeET4_jRbjT5_S1E_jjP12ihipStream_tbEUljE_ZNSN_ISO_Lb0ESQ_SR_ST_SU_SY_EESZ_S10_S11_S12_S16_S17_S18_S1B_S1C_jS1D_jS1E_S1E_jjS1G_bEUljE0_EEESZ_S10_S11_S18_S1C_S1E_T6_T7_T9_mT8_S1G_bDpT10_ENKUlT_T0_E_clISt17integral_constantIbLb0EES1T_IbLb1EEEEDaS1P_S1Q_EUlS1P_E_NS1_11comp_targetILNS1_3genE3ELNS1_11target_archE908ELNS1_3gpuE7ELNS1_3repE0EEENS1_30default_config_static_selectorELNS0_4arch9wavefront6targetE0EEEvS12_.num_agpr, 0
	.set _ZN7rocprim17ROCPRIM_400000_NS6detail17trampoline_kernelINS0_13select_configILj256ELj13ELNS0_17block_load_methodE3ELS4_3ELS4_3ELNS0_20block_scan_algorithmE0ELj4294967295EEENS1_25partition_config_selectorILNS1_17partition_subalgoE4EjNS0_10empty_typeEbEEZZNS1_14partition_implILS8_4ELb0ES6_15HIP_vector_typeIjLj2EENS0_17counting_iteratorIjlEEPS9_SG_NS0_5tupleIJPjSI_NS0_16reverse_iteratorISI_EEEEENSH_IJSG_SG_SG_EEES9_SI_JZNS1_25segmented_radix_sort_implINS0_14default_configELb0EPKfPfPKlPlN2at6native12_GLOBAL__N_18offset_tEEE10hipError_tPvRmT1_PNSt15iterator_traitsIS12_E10value_typeET2_T3_PNS13_IS18_E10value_typeET4_jRbjT5_S1E_jjP12ihipStream_tbEUljE_ZNSN_ISO_Lb0ESQ_SR_ST_SU_SY_EESZ_S10_S11_S12_S16_S17_S18_S1B_S1C_jS1D_jS1E_S1E_jjS1G_bEUljE0_EEESZ_S10_S11_S18_S1C_S1E_T6_T7_T9_mT8_S1G_bDpT10_ENKUlT_T0_E_clISt17integral_constantIbLb0EES1T_IbLb1EEEEDaS1P_S1Q_EUlS1P_E_NS1_11comp_targetILNS1_3genE3ELNS1_11target_archE908ELNS1_3gpuE7ELNS1_3repE0EEENS1_30default_config_static_selectorELNS0_4arch9wavefront6targetE0EEEvS12_.numbered_sgpr, 0
	.set _ZN7rocprim17ROCPRIM_400000_NS6detail17trampoline_kernelINS0_13select_configILj256ELj13ELNS0_17block_load_methodE3ELS4_3ELS4_3ELNS0_20block_scan_algorithmE0ELj4294967295EEENS1_25partition_config_selectorILNS1_17partition_subalgoE4EjNS0_10empty_typeEbEEZZNS1_14partition_implILS8_4ELb0ES6_15HIP_vector_typeIjLj2EENS0_17counting_iteratorIjlEEPS9_SG_NS0_5tupleIJPjSI_NS0_16reverse_iteratorISI_EEEEENSH_IJSG_SG_SG_EEES9_SI_JZNS1_25segmented_radix_sort_implINS0_14default_configELb0EPKfPfPKlPlN2at6native12_GLOBAL__N_18offset_tEEE10hipError_tPvRmT1_PNSt15iterator_traitsIS12_E10value_typeET2_T3_PNS13_IS18_E10value_typeET4_jRbjT5_S1E_jjP12ihipStream_tbEUljE_ZNSN_ISO_Lb0ESQ_SR_ST_SU_SY_EESZ_S10_S11_S12_S16_S17_S18_S1B_S1C_jS1D_jS1E_S1E_jjS1G_bEUljE0_EEESZ_S10_S11_S18_S1C_S1E_T6_T7_T9_mT8_S1G_bDpT10_ENKUlT_T0_E_clISt17integral_constantIbLb0EES1T_IbLb1EEEEDaS1P_S1Q_EUlS1P_E_NS1_11comp_targetILNS1_3genE3ELNS1_11target_archE908ELNS1_3gpuE7ELNS1_3repE0EEENS1_30default_config_static_selectorELNS0_4arch9wavefront6targetE0EEEvS12_.num_named_barrier, 0
	.set _ZN7rocprim17ROCPRIM_400000_NS6detail17trampoline_kernelINS0_13select_configILj256ELj13ELNS0_17block_load_methodE3ELS4_3ELS4_3ELNS0_20block_scan_algorithmE0ELj4294967295EEENS1_25partition_config_selectorILNS1_17partition_subalgoE4EjNS0_10empty_typeEbEEZZNS1_14partition_implILS8_4ELb0ES6_15HIP_vector_typeIjLj2EENS0_17counting_iteratorIjlEEPS9_SG_NS0_5tupleIJPjSI_NS0_16reverse_iteratorISI_EEEEENSH_IJSG_SG_SG_EEES9_SI_JZNS1_25segmented_radix_sort_implINS0_14default_configELb0EPKfPfPKlPlN2at6native12_GLOBAL__N_18offset_tEEE10hipError_tPvRmT1_PNSt15iterator_traitsIS12_E10value_typeET2_T3_PNS13_IS18_E10value_typeET4_jRbjT5_S1E_jjP12ihipStream_tbEUljE_ZNSN_ISO_Lb0ESQ_SR_ST_SU_SY_EESZ_S10_S11_S12_S16_S17_S18_S1B_S1C_jS1D_jS1E_S1E_jjS1G_bEUljE0_EEESZ_S10_S11_S18_S1C_S1E_T6_T7_T9_mT8_S1G_bDpT10_ENKUlT_T0_E_clISt17integral_constantIbLb0EES1T_IbLb1EEEEDaS1P_S1Q_EUlS1P_E_NS1_11comp_targetILNS1_3genE3ELNS1_11target_archE908ELNS1_3gpuE7ELNS1_3repE0EEENS1_30default_config_static_selectorELNS0_4arch9wavefront6targetE0EEEvS12_.private_seg_size, 0
	.set _ZN7rocprim17ROCPRIM_400000_NS6detail17trampoline_kernelINS0_13select_configILj256ELj13ELNS0_17block_load_methodE3ELS4_3ELS4_3ELNS0_20block_scan_algorithmE0ELj4294967295EEENS1_25partition_config_selectorILNS1_17partition_subalgoE4EjNS0_10empty_typeEbEEZZNS1_14partition_implILS8_4ELb0ES6_15HIP_vector_typeIjLj2EENS0_17counting_iteratorIjlEEPS9_SG_NS0_5tupleIJPjSI_NS0_16reverse_iteratorISI_EEEEENSH_IJSG_SG_SG_EEES9_SI_JZNS1_25segmented_radix_sort_implINS0_14default_configELb0EPKfPfPKlPlN2at6native12_GLOBAL__N_18offset_tEEE10hipError_tPvRmT1_PNSt15iterator_traitsIS12_E10value_typeET2_T3_PNS13_IS18_E10value_typeET4_jRbjT5_S1E_jjP12ihipStream_tbEUljE_ZNSN_ISO_Lb0ESQ_SR_ST_SU_SY_EESZ_S10_S11_S12_S16_S17_S18_S1B_S1C_jS1D_jS1E_S1E_jjS1G_bEUljE0_EEESZ_S10_S11_S18_S1C_S1E_T6_T7_T9_mT8_S1G_bDpT10_ENKUlT_T0_E_clISt17integral_constantIbLb0EES1T_IbLb1EEEEDaS1P_S1Q_EUlS1P_E_NS1_11comp_targetILNS1_3genE3ELNS1_11target_archE908ELNS1_3gpuE7ELNS1_3repE0EEENS1_30default_config_static_selectorELNS0_4arch9wavefront6targetE0EEEvS12_.uses_vcc, 0
	.set _ZN7rocprim17ROCPRIM_400000_NS6detail17trampoline_kernelINS0_13select_configILj256ELj13ELNS0_17block_load_methodE3ELS4_3ELS4_3ELNS0_20block_scan_algorithmE0ELj4294967295EEENS1_25partition_config_selectorILNS1_17partition_subalgoE4EjNS0_10empty_typeEbEEZZNS1_14partition_implILS8_4ELb0ES6_15HIP_vector_typeIjLj2EENS0_17counting_iteratorIjlEEPS9_SG_NS0_5tupleIJPjSI_NS0_16reverse_iteratorISI_EEEEENSH_IJSG_SG_SG_EEES9_SI_JZNS1_25segmented_radix_sort_implINS0_14default_configELb0EPKfPfPKlPlN2at6native12_GLOBAL__N_18offset_tEEE10hipError_tPvRmT1_PNSt15iterator_traitsIS12_E10value_typeET2_T3_PNS13_IS18_E10value_typeET4_jRbjT5_S1E_jjP12ihipStream_tbEUljE_ZNSN_ISO_Lb0ESQ_SR_ST_SU_SY_EESZ_S10_S11_S12_S16_S17_S18_S1B_S1C_jS1D_jS1E_S1E_jjS1G_bEUljE0_EEESZ_S10_S11_S18_S1C_S1E_T6_T7_T9_mT8_S1G_bDpT10_ENKUlT_T0_E_clISt17integral_constantIbLb0EES1T_IbLb1EEEEDaS1P_S1Q_EUlS1P_E_NS1_11comp_targetILNS1_3genE3ELNS1_11target_archE908ELNS1_3gpuE7ELNS1_3repE0EEENS1_30default_config_static_selectorELNS0_4arch9wavefront6targetE0EEEvS12_.uses_flat_scratch, 0
	.set _ZN7rocprim17ROCPRIM_400000_NS6detail17trampoline_kernelINS0_13select_configILj256ELj13ELNS0_17block_load_methodE3ELS4_3ELS4_3ELNS0_20block_scan_algorithmE0ELj4294967295EEENS1_25partition_config_selectorILNS1_17partition_subalgoE4EjNS0_10empty_typeEbEEZZNS1_14partition_implILS8_4ELb0ES6_15HIP_vector_typeIjLj2EENS0_17counting_iteratorIjlEEPS9_SG_NS0_5tupleIJPjSI_NS0_16reverse_iteratorISI_EEEEENSH_IJSG_SG_SG_EEES9_SI_JZNS1_25segmented_radix_sort_implINS0_14default_configELb0EPKfPfPKlPlN2at6native12_GLOBAL__N_18offset_tEEE10hipError_tPvRmT1_PNSt15iterator_traitsIS12_E10value_typeET2_T3_PNS13_IS18_E10value_typeET4_jRbjT5_S1E_jjP12ihipStream_tbEUljE_ZNSN_ISO_Lb0ESQ_SR_ST_SU_SY_EESZ_S10_S11_S12_S16_S17_S18_S1B_S1C_jS1D_jS1E_S1E_jjS1G_bEUljE0_EEESZ_S10_S11_S18_S1C_S1E_T6_T7_T9_mT8_S1G_bDpT10_ENKUlT_T0_E_clISt17integral_constantIbLb0EES1T_IbLb1EEEEDaS1P_S1Q_EUlS1P_E_NS1_11comp_targetILNS1_3genE3ELNS1_11target_archE908ELNS1_3gpuE7ELNS1_3repE0EEENS1_30default_config_static_selectorELNS0_4arch9wavefront6targetE0EEEvS12_.has_dyn_sized_stack, 0
	.set _ZN7rocprim17ROCPRIM_400000_NS6detail17trampoline_kernelINS0_13select_configILj256ELj13ELNS0_17block_load_methodE3ELS4_3ELS4_3ELNS0_20block_scan_algorithmE0ELj4294967295EEENS1_25partition_config_selectorILNS1_17partition_subalgoE4EjNS0_10empty_typeEbEEZZNS1_14partition_implILS8_4ELb0ES6_15HIP_vector_typeIjLj2EENS0_17counting_iteratorIjlEEPS9_SG_NS0_5tupleIJPjSI_NS0_16reverse_iteratorISI_EEEEENSH_IJSG_SG_SG_EEES9_SI_JZNS1_25segmented_radix_sort_implINS0_14default_configELb0EPKfPfPKlPlN2at6native12_GLOBAL__N_18offset_tEEE10hipError_tPvRmT1_PNSt15iterator_traitsIS12_E10value_typeET2_T3_PNS13_IS18_E10value_typeET4_jRbjT5_S1E_jjP12ihipStream_tbEUljE_ZNSN_ISO_Lb0ESQ_SR_ST_SU_SY_EESZ_S10_S11_S12_S16_S17_S18_S1B_S1C_jS1D_jS1E_S1E_jjS1G_bEUljE0_EEESZ_S10_S11_S18_S1C_S1E_T6_T7_T9_mT8_S1G_bDpT10_ENKUlT_T0_E_clISt17integral_constantIbLb0EES1T_IbLb1EEEEDaS1P_S1Q_EUlS1P_E_NS1_11comp_targetILNS1_3genE3ELNS1_11target_archE908ELNS1_3gpuE7ELNS1_3repE0EEENS1_30default_config_static_selectorELNS0_4arch9wavefront6targetE0EEEvS12_.has_recursion, 0
	.set _ZN7rocprim17ROCPRIM_400000_NS6detail17trampoline_kernelINS0_13select_configILj256ELj13ELNS0_17block_load_methodE3ELS4_3ELS4_3ELNS0_20block_scan_algorithmE0ELj4294967295EEENS1_25partition_config_selectorILNS1_17partition_subalgoE4EjNS0_10empty_typeEbEEZZNS1_14partition_implILS8_4ELb0ES6_15HIP_vector_typeIjLj2EENS0_17counting_iteratorIjlEEPS9_SG_NS0_5tupleIJPjSI_NS0_16reverse_iteratorISI_EEEEENSH_IJSG_SG_SG_EEES9_SI_JZNS1_25segmented_radix_sort_implINS0_14default_configELb0EPKfPfPKlPlN2at6native12_GLOBAL__N_18offset_tEEE10hipError_tPvRmT1_PNSt15iterator_traitsIS12_E10value_typeET2_T3_PNS13_IS18_E10value_typeET4_jRbjT5_S1E_jjP12ihipStream_tbEUljE_ZNSN_ISO_Lb0ESQ_SR_ST_SU_SY_EESZ_S10_S11_S12_S16_S17_S18_S1B_S1C_jS1D_jS1E_S1E_jjS1G_bEUljE0_EEESZ_S10_S11_S18_S1C_S1E_T6_T7_T9_mT8_S1G_bDpT10_ENKUlT_T0_E_clISt17integral_constantIbLb0EES1T_IbLb1EEEEDaS1P_S1Q_EUlS1P_E_NS1_11comp_targetILNS1_3genE3ELNS1_11target_archE908ELNS1_3gpuE7ELNS1_3repE0EEENS1_30default_config_static_selectorELNS0_4arch9wavefront6targetE0EEEvS12_.has_indirect_call, 0
	.section	.AMDGPU.csdata,"",@progbits
; Kernel info:
; codeLenInByte = 0
; TotalNumSgprs: 0
; NumVgprs: 0
; ScratchSize: 0
; MemoryBound: 0
; FloatMode: 240
; IeeeMode: 1
; LDSByteSize: 0 bytes/workgroup (compile time only)
; SGPRBlocks: 0
; VGPRBlocks: 0
; NumSGPRsForWavesPerEU: 1
; NumVGPRsForWavesPerEU: 1
; NamedBarCnt: 0
; Occupancy: 16
; WaveLimiterHint : 0
; COMPUTE_PGM_RSRC2:SCRATCH_EN: 0
; COMPUTE_PGM_RSRC2:USER_SGPR: 2
; COMPUTE_PGM_RSRC2:TRAP_HANDLER: 0
; COMPUTE_PGM_RSRC2:TGID_X_EN: 1
; COMPUTE_PGM_RSRC2:TGID_Y_EN: 0
; COMPUTE_PGM_RSRC2:TGID_Z_EN: 0
; COMPUTE_PGM_RSRC2:TIDIG_COMP_CNT: 0
	.section	.text._ZN7rocprim17ROCPRIM_400000_NS6detail17trampoline_kernelINS0_13select_configILj256ELj13ELNS0_17block_load_methodE3ELS4_3ELS4_3ELNS0_20block_scan_algorithmE0ELj4294967295EEENS1_25partition_config_selectorILNS1_17partition_subalgoE4EjNS0_10empty_typeEbEEZZNS1_14partition_implILS8_4ELb0ES6_15HIP_vector_typeIjLj2EENS0_17counting_iteratorIjlEEPS9_SG_NS0_5tupleIJPjSI_NS0_16reverse_iteratorISI_EEEEENSH_IJSG_SG_SG_EEES9_SI_JZNS1_25segmented_radix_sort_implINS0_14default_configELb0EPKfPfPKlPlN2at6native12_GLOBAL__N_18offset_tEEE10hipError_tPvRmT1_PNSt15iterator_traitsIS12_E10value_typeET2_T3_PNS13_IS18_E10value_typeET4_jRbjT5_S1E_jjP12ihipStream_tbEUljE_ZNSN_ISO_Lb0ESQ_SR_ST_SU_SY_EESZ_S10_S11_S12_S16_S17_S18_S1B_S1C_jS1D_jS1E_S1E_jjS1G_bEUljE0_EEESZ_S10_S11_S18_S1C_S1E_T6_T7_T9_mT8_S1G_bDpT10_ENKUlT_T0_E_clISt17integral_constantIbLb0EES1T_IbLb1EEEEDaS1P_S1Q_EUlS1P_E_NS1_11comp_targetILNS1_3genE2ELNS1_11target_archE906ELNS1_3gpuE6ELNS1_3repE0EEENS1_30default_config_static_selectorELNS0_4arch9wavefront6targetE0EEEvS12_,"axG",@progbits,_ZN7rocprim17ROCPRIM_400000_NS6detail17trampoline_kernelINS0_13select_configILj256ELj13ELNS0_17block_load_methodE3ELS4_3ELS4_3ELNS0_20block_scan_algorithmE0ELj4294967295EEENS1_25partition_config_selectorILNS1_17partition_subalgoE4EjNS0_10empty_typeEbEEZZNS1_14partition_implILS8_4ELb0ES6_15HIP_vector_typeIjLj2EENS0_17counting_iteratorIjlEEPS9_SG_NS0_5tupleIJPjSI_NS0_16reverse_iteratorISI_EEEEENSH_IJSG_SG_SG_EEES9_SI_JZNS1_25segmented_radix_sort_implINS0_14default_configELb0EPKfPfPKlPlN2at6native12_GLOBAL__N_18offset_tEEE10hipError_tPvRmT1_PNSt15iterator_traitsIS12_E10value_typeET2_T3_PNS13_IS18_E10value_typeET4_jRbjT5_S1E_jjP12ihipStream_tbEUljE_ZNSN_ISO_Lb0ESQ_SR_ST_SU_SY_EESZ_S10_S11_S12_S16_S17_S18_S1B_S1C_jS1D_jS1E_S1E_jjS1G_bEUljE0_EEESZ_S10_S11_S18_S1C_S1E_T6_T7_T9_mT8_S1G_bDpT10_ENKUlT_T0_E_clISt17integral_constantIbLb0EES1T_IbLb1EEEEDaS1P_S1Q_EUlS1P_E_NS1_11comp_targetILNS1_3genE2ELNS1_11target_archE906ELNS1_3gpuE6ELNS1_3repE0EEENS1_30default_config_static_selectorELNS0_4arch9wavefront6targetE0EEEvS12_,comdat
	.globl	_ZN7rocprim17ROCPRIM_400000_NS6detail17trampoline_kernelINS0_13select_configILj256ELj13ELNS0_17block_load_methodE3ELS4_3ELS4_3ELNS0_20block_scan_algorithmE0ELj4294967295EEENS1_25partition_config_selectorILNS1_17partition_subalgoE4EjNS0_10empty_typeEbEEZZNS1_14partition_implILS8_4ELb0ES6_15HIP_vector_typeIjLj2EENS0_17counting_iteratorIjlEEPS9_SG_NS0_5tupleIJPjSI_NS0_16reverse_iteratorISI_EEEEENSH_IJSG_SG_SG_EEES9_SI_JZNS1_25segmented_radix_sort_implINS0_14default_configELb0EPKfPfPKlPlN2at6native12_GLOBAL__N_18offset_tEEE10hipError_tPvRmT1_PNSt15iterator_traitsIS12_E10value_typeET2_T3_PNS13_IS18_E10value_typeET4_jRbjT5_S1E_jjP12ihipStream_tbEUljE_ZNSN_ISO_Lb0ESQ_SR_ST_SU_SY_EESZ_S10_S11_S12_S16_S17_S18_S1B_S1C_jS1D_jS1E_S1E_jjS1G_bEUljE0_EEESZ_S10_S11_S18_S1C_S1E_T6_T7_T9_mT8_S1G_bDpT10_ENKUlT_T0_E_clISt17integral_constantIbLb0EES1T_IbLb1EEEEDaS1P_S1Q_EUlS1P_E_NS1_11comp_targetILNS1_3genE2ELNS1_11target_archE906ELNS1_3gpuE6ELNS1_3repE0EEENS1_30default_config_static_selectorELNS0_4arch9wavefront6targetE0EEEvS12_ ; -- Begin function _ZN7rocprim17ROCPRIM_400000_NS6detail17trampoline_kernelINS0_13select_configILj256ELj13ELNS0_17block_load_methodE3ELS4_3ELS4_3ELNS0_20block_scan_algorithmE0ELj4294967295EEENS1_25partition_config_selectorILNS1_17partition_subalgoE4EjNS0_10empty_typeEbEEZZNS1_14partition_implILS8_4ELb0ES6_15HIP_vector_typeIjLj2EENS0_17counting_iteratorIjlEEPS9_SG_NS0_5tupleIJPjSI_NS0_16reverse_iteratorISI_EEEEENSH_IJSG_SG_SG_EEES9_SI_JZNS1_25segmented_radix_sort_implINS0_14default_configELb0EPKfPfPKlPlN2at6native12_GLOBAL__N_18offset_tEEE10hipError_tPvRmT1_PNSt15iterator_traitsIS12_E10value_typeET2_T3_PNS13_IS18_E10value_typeET4_jRbjT5_S1E_jjP12ihipStream_tbEUljE_ZNSN_ISO_Lb0ESQ_SR_ST_SU_SY_EESZ_S10_S11_S12_S16_S17_S18_S1B_S1C_jS1D_jS1E_S1E_jjS1G_bEUljE0_EEESZ_S10_S11_S18_S1C_S1E_T6_T7_T9_mT8_S1G_bDpT10_ENKUlT_T0_E_clISt17integral_constantIbLb0EES1T_IbLb1EEEEDaS1P_S1Q_EUlS1P_E_NS1_11comp_targetILNS1_3genE2ELNS1_11target_archE906ELNS1_3gpuE6ELNS1_3repE0EEENS1_30default_config_static_selectorELNS0_4arch9wavefront6targetE0EEEvS12_
	.p2align	8
	.type	_ZN7rocprim17ROCPRIM_400000_NS6detail17trampoline_kernelINS0_13select_configILj256ELj13ELNS0_17block_load_methodE3ELS4_3ELS4_3ELNS0_20block_scan_algorithmE0ELj4294967295EEENS1_25partition_config_selectorILNS1_17partition_subalgoE4EjNS0_10empty_typeEbEEZZNS1_14partition_implILS8_4ELb0ES6_15HIP_vector_typeIjLj2EENS0_17counting_iteratorIjlEEPS9_SG_NS0_5tupleIJPjSI_NS0_16reverse_iteratorISI_EEEEENSH_IJSG_SG_SG_EEES9_SI_JZNS1_25segmented_radix_sort_implINS0_14default_configELb0EPKfPfPKlPlN2at6native12_GLOBAL__N_18offset_tEEE10hipError_tPvRmT1_PNSt15iterator_traitsIS12_E10value_typeET2_T3_PNS13_IS18_E10value_typeET4_jRbjT5_S1E_jjP12ihipStream_tbEUljE_ZNSN_ISO_Lb0ESQ_SR_ST_SU_SY_EESZ_S10_S11_S12_S16_S17_S18_S1B_S1C_jS1D_jS1E_S1E_jjS1G_bEUljE0_EEESZ_S10_S11_S18_S1C_S1E_T6_T7_T9_mT8_S1G_bDpT10_ENKUlT_T0_E_clISt17integral_constantIbLb0EES1T_IbLb1EEEEDaS1P_S1Q_EUlS1P_E_NS1_11comp_targetILNS1_3genE2ELNS1_11target_archE906ELNS1_3gpuE6ELNS1_3repE0EEENS1_30default_config_static_selectorELNS0_4arch9wavefront6targetE0EEEvS12_,@function
_ZN7rocprim17ROCPRIM_400000_NS6detail17trampoline_kernelINS0_13select_configILj256ELj13ELNS0_17block_load_methodE3ELS4_3ELS4_3ELNS0_20block_scan_algorithmE0ELj4294967295EEENS1_25partition_config_selectorILNS1_17partition_subalgoE4EjNS0_10empty_typeEbEEZZNS1_14partition_implILS8_4ELb0ES6_15HIP_vector_typeIjLj2EENS0_17counting_iteratorIjlEEPS9_SG_NS0_5tupleIJPjSI_NS0_16reverse_iteratorISI_EEEEENSH_IJSG_SG_SG_EEES9_SI_JZNS1_25segmented_radix_sort_implINS0_14default_configELb0EPKfPfPKlPlN2at6native12_GLOBAL__N_18offset_tEEE10hipError_tPvRmT1_PNSt15iterator_traitsIS12_E10value_typeET2_T3_PNS13_IS18_E10value_typeET4_jRbjT5_S1E_jjP12ihipStream_tbEUljE_ZNSN_ISO_Lb0ESQ_SR_ST_SU_SY_EESZ_S10_S11_S12_S16_S17_S18_S1B_S1C_jS1D_jS1E_S1E_jjS1G_bEUljE0_EEESZ_S10_S11_S18_S1C_S1E_T6_T7_T9_mT8_S1G_bDpT10_ENKUlT_T0_E_clISt17integral_constantIbLb0EES1T_IbLb1EEEEDaS1P_S1Q_EUlS1P_E_NS1_11comp_targetILNS1_3genE2ELNS1_11target_archE906ELNS1_3gpuE6ELNS1_3repE0EEENS1_30default_config_static_selectorELNS0_4arch9wavefront6targetE0EEEvS12_: ; @_ZN7rocprim17ROCPRIM_400000_NS6detail17trampoline_kernelINS0_13select_configILj256ELj13ELNS0_17block_load_methodE3ELS4_3ELS4_3ELNS0_20block_scan_algorithmE0ELj4294967295EEENS1_25partition_config_selectorILNS1_17partition_subalgoE4EjNS0_10empty_typeEbEEZZNS1_14partition_implILS8_4ELb0ES6_15HIP_vector_typeIjLj2EENS0_17counting_iteratorIjlEEPS9_SG_NS0_5tupleIJPjSI_NS0_16reverse_iteratorISI_EEEEENSH_IJSG_SG_SG_EEES9_SI_JZNS1_25segmented_radix_sort_implINS0_14default_configELb0EPKfPfPKlPlN2at6native12_GLOBAL__N_18offset_tEEE10hipError_tPvRmT1_PNSt15iterator_traitsIS12_E10value_typeET2_T3_PNS13_IS18_E10value_typeET4_jRbjT5_S1E_jjP12ihipStream_tbEUljE_ZNSN_ISO_Lb0ESQ_SR_ST_SU_SY_EESZ_S10_S11_S12_S16_S17_S18_S1B_S1C_jS1D_jS1E_S1E_jjS1G_bEUljE0_EEESZ_S10_S11_S18_S1C_S1E_T6_T7_T9_mT8_S1G_bDpT10_ENKUlT_T0_E_clISt17integral_constantIbLb0EES1T_IbLb1EEEEDaS1P_S1Q_EUlS1P_E_NS1_11comp_targetILNS1_3genE2ELNS1_11target_archE906ELNS1_3gpuE6ELNS1_3repE0EEENS1_30default_config_static_selectorELNS0_4arch9wavefront6targetE0EEEvS12_
; %bb.0:
	.section	.rodata,"a",@progbits
	.p2align	6, 0x0
	.amdhsa_kernel _ZN7rocprim17ROCPRIM_400000_NS6detail17trampoline_kernelINS0_13select_configILj256ELj13ELNS0_17block_load_methodE3ELS4_3ELS4_3ELNS0_20block_scan_algorithmE0ELj4294967295EEENS1_25partition_config_selectorILNS1_17partition_subalgoE4EjNS0_10empty_typeEbEEZZNS1_14partition_implILS8_4ELb0ES6_15HIP_vector_typeIjLj2EENS0_17counting_iteratorIjlEEPS9_SG_NS0_5tupleIJPjSI_NS0_16reverse_iteratorISI_EEEEENSH_IJSG_SG_SG_EEES9_SI_JZNS1_25segmented_radix_sort_implINS0_14default_configELb0EPKfPfPKlPlN2at6native12_GLOBAL__N_18offset_tEEE10hipError_tPvRmT1_PNSt15iterator_traitsIS12_E10value_typeET2_T3_PNS13_IS18_E10value_typeET4_jRbjT5_S1E_jjP12ihipStream_tbEUljE_ZNSN_ISO_Lb0ESQ_SR_ST_SU_SY_EESZ_S10_S11_S12_S16_S17_S18_S1B_S1C_jS1D_jS1E_S1E_jjS1G_bEUljE0_EEESZ_S10_S11_S18_S1C_S1E_T6_T7_T9_mT8_S1G_bDpT10_ENKUlT_T0_E_clISt17integral_constantIbLb0EES1T_IbLb1EEEEDaS1P_S1Q_EUlS1P_E_NS1_11comp_targetILNS1_3genE2ELNS1_11target_archE906ELNS1_3gpuE6ELNS1_3repE0EEENS1_30default_config_static_selectorELNS0_4arch9wavefront6targetE0EEEvS12_
		.amdhsa_group_segment_fixed_size 0
		.amdhsa_private_segment_fixed_size 0
		.amdhsa_kernarg_size 184
		.amdhsa_user_sgpr_count 2
		.amdhsa_user_sgpr_dispatch_ptr 0
		.amdhsa_user_sgpr_queue_ptr 0
		.amdhsa_user_sgpr_kernarg_segment_ptr 1
		.amdhsa_user_sgpr_dispatch_id 0
		.amdhsa_user_sgpr_kernarg_preload_length 0
		.amdhsa_user_sgpr_kernarg_preload_offset 0
		.amdhsa_user_sgpr_private_segment_size 0
		.amdhsa_wavefront_size32 1
		.amdhsa_uses_dynamic_stack 0
		.amdhsa_enable_private_segment 0
		.amdhsa_system_sgpr_workgroup_id_x 1
		.amdhsa_system_sgpr_workgroup_id_y 0
		.amdhsa_system_sgpr_workgroup_id_z 0
		.amdhsa_system_sgpr_workgroup_info 0
		.amdhsa_system_vgpr_workitem_id 0
		.amdhsa_next_free_vgpr 1
		.amdhsa_next_free_sgpr 1
		.amdhsa_named_barrier_count 0
		.amdhsa_reserve_vcc 0
		.amdhsa_float_round_mode_32 0
		.amdhsa_float_round_mode_16_64 0
		.amdhsa_float_denorm_mode_32 3
		.amdhsa_float_denorm_mode_16_64 3
		.amdhsa_fp16_overflow 0
		.amdhsa_memory_ordered 1
		.amdhsa_forward_progress 1
		.amdhsa_inst_pref_size 0
		.amdhsa_round_robin_scheduling 0
		.amdhsa_exception_fp_ieee_invalid_op 0
		.amdhsa_exception_fp_denorm_src 0
		.amdhsa_exception_fp_ieee_div_zero 0
		.amdhsa_exception_fp_ieee_overflow 0
		.amdhsa_exception_fp_ieee_underflow 0
		.amdhsa_exception_fp_ieee_inexact 0
		.amdhsa_exception_int_div_zero 0
	.end_amdhsa_kernel
	.section	.text._ZN7rocprim17ROCPRIM_400000_NS6detail17trampoline_kernelINS0_13select_configILj256ELj13ELNS0_17block_load_methodE3ELS4_3ELS4_3ELNS0_20block_scan_algorithmE0ELj4294967295EEENS1_25partition_config_selectorILNS1_17partition_subalgoE4EjNS0_10empty_typeEbEEZZNS1_14partition_implILS8_4ELb0ES6_15HIP_vector_typeIjLj2EENS0_17counting_iteratorIjlEEPS9_SG_NS0_5tupleIJPjSI_NS0_16reverse_iteratorISI_EEEEENSH_IJSG_SG_SG_EEES9_SI_JZNS1_25segmented_radix_sort_implINS0_14default_configELb0EPKfPfPKlPlN2at6native12_GLOBAL__N_18offset_tEEE10hipError_tPvRmT1_PNSt15iterator_traitsIS12_E10value_typeET2_T3_PNS13_IS18_E10value_typeET4_jRbjT5_S1E_jjP12ihipStream_tbEUljE_ZNSN_ISO_Lb0ESQ_SR_ST_SU_SY_EESZ_S10_S11_S12_S16_S17_S18_S1B_S1C_jS1D_jS1E_S1E_jjS1G_bEUljE0_EEESZ_S10_S11_S18_S1C_S1E_T6_T7_T9_mT8_S1G_bDpT10_ENKUlT_T0_E_clISt17integral_constantIbLb0EES1T_IbLb1EEEEDaS1P_S1Q_EUlS1P_E_NS1_11comp_targetILNS1_3genE2ELNS1_11target_archE906ELNS1_3gpuE6ELNS1_3repE0EEENS1_30default_config_static_selectorELNS0_4arch9wavefront6targetE0EEEvS12_,"axG",@progbits,_ZN7rocprim17ROCPRIM_400000_NS6detail17trampoline_kernelINS0_13select_configILj256ELj13ELNS0_17block_load_methodE3ELS4_3ELS4_3ELNS0_20block_scan_algorithmE0ELj4294967295EEENS1_25partition_config_selectorILNS1_17partition_subalgoE4EjNS0_10empty_typeEbEEZZNS1_14partition_implILS8_4ELb0ES6_15HIP_vector_typeIjLj2EENS0_17counting_iteratorIjlEEPS9_SG_NS0_5tupleIJPjSI_NS0_16reverse_iteratorISI_EEEEENSH_IJSG_SG_SG_EEES9_SI_JZNS1_25segmented_radix_sort_implINS0_14default_configELb0EPKfPfPKlPlN2at6native12_GLOBAL__N_18offset_tEEE10hipError_tPvRmT1_PNSt15iterator_traitsIS12_E10value_typeET2_T3_PNS13_IS18_E10value_typeET4_jRbjT5_S1E_jjP12ihipStream_tbEUljE_ZNSN_ISO_Lb0ESQ_SR_ST_SU_SY_EESZ_S10_S11_S12_S16_S17_S18_S1B_S1C_jS1D_jS1E_S1E_jjS1G_bEUljE0_EEESZ_S10_S11_S18_S1C_S1E_T6_T7_T9_mT8_S1G_bDpT10_ENKUlT_T0_E_clISt17integral_constantIbLb0EES1T_IbLb1EEEEDaS1P_S1Q_EUlS1P_E_NS1_11comp_targetILNS1_3genE2ELNS1_11target_archE906ELNS1_3gpuE6ELNS1_3repE0EEENS1_30default_config_static_selectorELNS0_4arch9wavefront6targetE0EEEvS12_,comdat
.Lfunc_end1385:
	.size	_ZN7rocprim17ROCPRIM_400000_NS6detail17trampoline_kernelINS0_13select_configILj256ELj13ELNS0_17block_load_methodE3ELS4_3ELS4_3ELNS0_20block_scan_algorithmE0ELj4294967295EEENS1_25partition_config_selectorILNS1_17partition_subalgoE4EjNS0_10empty_typeEbEEZZNS1_14partition_implILS8_4ELb0ES6_15HIP_vector_typeIjLj2EENS0_17counting_iteratorIjlEEPS9_SG_NS0_5tupleIJPjSI_NS0_16reverse_iteratorISI_EEEEENSH_IJSG_SG_SG_EEES9_SI_JZNS1_25segmented_radix_sort_implINS0_14default_configELb0EPKfPfPKlPlN2at6native12_GLOBAL__N_18offset_tEEE10hipError_tPvRmT1_PNSt15iterator_traitsIS12_E10value_typeET2_T3_PNS13_IS18_E10value_typeET4_jRbjT5_S1E_jjP12ihipStream_tbEUljE_ZNSN_ISO_Lb0ESQ_SR_ST_SU_SY_EESZ_S10_S11_S12_S16_S17_S18_S1B_S1C_jS1D_jS1E_S1E_jjS1G_bEUljE0_EEESZ_S10_S11_S18_S1C_S1E_T6_T7_T9_mT8_S1G_bDpT10_ENKUlT_T0_E_clISt17integral_constantIbLb0EES1T_IbLb1EEEEDaS1P_S1Q_EUlS1P_E_NS1_11comp_targetILNS1_3genE2ELNS1_11target_archE906ELNS1_3gpuE6ELNS1_3repE0EEENS1_30default_config_static_selectorELNS0_4arch9wavefront6targetE0EEEvS12_, .Lfunc_end1385-_ZN7rocprim17ROCPRIM_400000_NS6detail17trampoline_kernelINS0_13select_configILj256ELj13ELNS0_17block_load_methodE3ELS4_3ELS4_3ELNS0_20block_scan_algorithmE0ELj4294967295EEENS1_25partition_config_selectorILNS1_17partition_subalgoE4EjNS0_10empty_typeEbEEZZNS1_14partition_implILS8_4ELb0ES6_15HIP_vector_typeIjLj2EENS0_17counting_iteratorIjlEEPS9_SG_NS0_5tupleIJPjSI_NS0_16reverse_iteratorISI_EEEEENSH_IJSG_SG_SG_EEES9_SI_JZNS1_25segmented_radix_sort_implINS0_14default_configELb0EPKfPfPKlPlN2at6native12_GLOBAL__N_18offset_tEEE10hipError_tPvRmT1_PNSt15iterator_traitsIS12_E10value_typeET2_T3_PNS13_IS18_E10value_typeET4_jRbjT5_S1E_jjP12ihipStream_tbEUljE_ZNSN_ISO_Lb0ESQ_SR_ST_SU_SY_EESZ_S10_S11_S12_S16_S17_S18_S1B_S1C_jS1D_jS1E_S1E_jjS1G_bEUljE0_EEESZ_S10_S11_S18_S1C_S1E_T6_T7_T9_mT8_S1G_bDpT10_ENKUlT_T0_E_clISt17integral_constantIbLb0EES1T_IbLb1EEEEDaS1P_S1Q_EUlS1P_E_NS1_11comp_targetILNS1_3genE2ELNS1_11target_archE906ELNS1_3gpuE6ELNS1_3repE0EEENS1_30default_config_static_selectorELNS0_4arch9wavefront6targetE0EEEvS12_
                                        ; -- End function
	.set _ZN7rocprim17ROCPRIM_400000_NS6detail17trampoline_kernelINS0_13select_configILj256ELj13ELNS0_17block_load_methodE3ELS4_3ELS4_3ELNS0_20block_scan_algorithmE0ELj4294967295EEENS1_25partition_config_selectorILNS1_17partition_subalgoE4EjNS0_10empty_typeEbEEZZNS1_14partition_implILS8_4ELb0ES6_15HIP_vector_typeIjLj2EENS0_17counting_iteratorIjlEEPS9_SG_NS0_5tupleIJPjSI_NS0_16reverse_iteratorISI_EEEEENSH_IJSG_SG_SG_EEES9_SI_JZNS1_25segmented_radix_sort_implINS0_14default_configELb0EPKfPfPKlPlN2at6native12_GLOBAL__N_18offset_tEEE10hipError_tPvRmT1_PNSt15iterator_traitsIS12_E10value_typeET2_T3_PNS13_IS18_E10value_typeET4_jRbjT5_S1E_jjP12ihipStream_tbEUljE_ZNSN_ISO_Lb0ESQ_SR_ST_SU_SY_EESZ_S10_S11_S12_S16_S17_S18_S1B_S1C_jS1D_jS1E_S1E_jjS1G_bEUljE0_EEESZ_S10_S11_S18_S1C_S1E_T6_T7_T9_mT8_S1G_bDpT10_ENKUlT_T0_E_clISt17integral_constantIbLb0EES1T_IbLb1EEEEDaS1P_S1Q_EUlS1P_E_NS1_11comp_targetILNS1_3genE2ELNS1_11target_archE906ELNS1_3gpuE6ELNS1_3repE0EEENS1_30default_config_static_selectorELNS0_4arch9wavefront6targetE0EEEvS12_.num_vgpr, 0
	.set _ZN7rocprim17ROCPRIM_400000_NS6detail17trampoline_kernelINS0_13select_configILj256ELj13ELNS0_17block_load_methodE3ELS4_3ELS4_3ELNS0_20block_scan_algorithmE0ELj4294967295EEENS1_25partition_config_selectorILNS1_17partition_subalgoE4EjNS0_10empty_typeEbEEZZNS1_14partition_implILS8_4ELb0ES6_15HIP_vector_typeIjLj2EENS0_17counting_iteratorIjlEEPS9_SG_NS0_5tupleIJPjSI_NS0_16reverse_iteratorISI_EEEEENSH_IJSG_SG_SG_EEES9_SI_JZNS1_25segmented_radix_sort_implINS0_14default_configELb0EPKfPfPKlPlN2at6native12_GLOBAL__N_18offset_tEEE10hipError_tPvRmT1_PNSt15iterator_traitsIS12_E10value_typeET2_T3_PNS13_IS18_E10value_typeET4_jRbjT5_S1E_jjP12ihipStream_tbEUljE_ZNSN_ISO_Lb0ESQ_SR_ST_SU_SY_EESZ_S10_S11_S12_S16_S17_S18_S1B_S1C_jS1D_jS1E_S1E_jjS1G_bEUljE0_EEESZ_S10_S11_S18_S1C_S1E_T6_T7_T9_mT8_S1G_bDpT10_ENKUlT_T0_E_clISt17integral_constantIbLb0EES1T_IbLb1EEEEDaS1P_S1Q_EUlS1P_E_NS1_11comp_targetILNS1_3genE2ELNS1_11target_archE906ELNS1_3gpuE6ELNS1_3repE0EEENS1_30default_config_static_selectorELNS0_4arch9wavefront6targetE0EEEvS12_.num_agpr, 0
	.set _ZN7rocprim17ROCPRIM_400000_NS6detail17trampoline_kernelINS0_13select_configILj256ELj13ELNS0_17block_load_methodE3ELS4_3ELS4_3ELNS0_20block_scan_algorithmE0ELj4294967295EEENS1_25partition_config_selectorILNS1_17partition_subalgoE4EjNS0_10empty_typeEbEEZZNS1_14partition_implILS8_4ELb0ES6_15HIP_vector_typeIjLj2EENS0_17counting_iteratorIjlEEPS9_SG_NS0_5tupleIJPjSI_NS0_16reverse_iteratorISI_EEEEENSH_IJSG_SG_SG_EEES9_SI_JZNS1_25segmented_radix_sort_implINS0_14default_configELb0EPKfPfPKlPlN2at6native12_GLOBAL__N_18offset_tEEE10hipError_tPvRmT1_PNSt15iterator_traitsIS12_E10value_typeET2_T3_PNS13_IS18_E10value_typeET4_jRbjT5_S1E_jjP12ihipStream_tbEUljE_ZNSN_ISO_Lb0ESQ_SR_ST_SU_SY_EESZ_S10_S11_S12_S16_S17_S18_S1B_S1C_jS1D_jS1E_S1E_jjS1G_bEUljE0_EEESZ_S10_S11_S18_S1C_S1E_T6_T7_T9_mT8_S1G_bDpT10_ENKUlT_T0_E_clISt17integral_constantIbLb0EES1T_IbLb1EEEEDaS1P_S1Q_EUlS1P_E_NS1_11comp_targetILNS1_3genE2ELNS1_11target_archE906ELNS1_3gpuE6ELNS1_3repE0EEENS1_30default_config_static_selectorELNS0_4arch9wavefront6targetE0EEEvS12_.numbered_sgpr, 0
	.set _ZN7rocprim17ROCPRIM_400000_NS6detail17trampoline_kernelINS0_13select_configILj256ELj13ELNS0_17block_load_methodE3ELS4_3ELS4_3ELNS0_20block_scan_algorithmE0ELj4294967295EEENS1_25partition_config_selectorILNS1_17partition_subalgoE4EjNS0_10empty_typeEbEEZZNS1_14partition_implILS8_4ELb0ES6_15HIP_vector_typeIjLj2EENS0_17counting_iteratorIjlEEPS9_SG_NS0_5tupleIJPjSI_NS0_16reverse_iteratorISI_EEEEENSH_IJSG_SG_SG_EEES9_SI_JZNS1_25segmented_radix_sort_implINS0_14default_configELb0EPKfPfPKlPlN2at6native12_GLOBAL__N_18offset_tEEE10hipError_tPvRmT1_PNSt15iterator_traitsIS12_E10value_typeET2_T3_PNS13_IS18_E10value_typeET4_jRbjT5_S1E_jjP12ihipStream_tbEUljE_ZNSN_ISO_Lb0ESQ_SR_ST_SU_SY_EESZ_S10_S11_S12_S16_S17_S18_S1B_S1C_jS1D_jS1E_S1E_jjS1G_bEUljE0_EEESZ_S10_S11_S18_S1C_S1E_T6_T7_T9_mT8_S1G_bDpT10_ENKUlT_T0_E_clISt17integral_constantIbLb0EES1T_IbLb1EEEEDaS1P_S1Q_EUlS1P_E_NS1_11comp_targetILNS1_3genE2ELNS1_11target_archE906ELNS1_3gpuE6ELNS1_3repE0EEENS1_30default_config_static_selectorELNS0_4arch9wavefront6targetE0EEEvS12_.num_named_barrier, 0
	.set _ZN7rocprim17ROCPRIM_400000_NS6detail17trampoline_kernelINS0_13select_configILj256ELj13ELNS0_17block_load_methodE3ELS4_3ELS4_3ELNS0_20block_scan_algorithmE0ELj4294967295EEENS1_25partition_config_selectorILNS1_17partition_subalgoE4EjNS0_10empty_typeEbEEZZNS1_14partition_implILS8_4ELb0ES6_15HIP_vector_typeIjLj2EENS0_17counting_iteratorIjlEEPS9_SG_NS0_5tupleIJPjSI_NS0_16reverse_iteratorISI_EEEEENSH_IJSG_SG_SG_EEES9_SI_JZNS1_25segmented_radix_sort_implINS0_14default_configELb0EPKfPfPKlPlN2at6native12_GLOBAL__N_18offset_tEEE10hipError_tPvRmT1_PNSt15iterator_traitsIS12_E10value_typeET2_T3_PNS13_IS18_E10value_typeET4_jRbjT5_S1E_jjP12ihipStream_tbEUljE_ZNSN_ISO_Lb0ESQ_SR_ST_SU_SY_EESZ_S10_S11_S12_S16_S17_S18_S1B_S1C_jS1D_jS1E_S1E_jjS1G_bEUljE0_EEESZ_S10_S11_S18_S1C_S1E_T6_T7_T9_mT8_S1G_bDpT10_ENKUlT_T0_E_clISt17integral_constantIbLb0EES1T_IbLb1EEEEDaS1P_S1Q_EUlS1P_E_NS1_11comp_targetILNS1_3genE2ELNS1_11target_archE906ELNS1_3gpuE6ELNS1_3repE0EEENS1_30default_config_static_selectorELNS0_4arch9wavefront6targetE0EEEvS12_.private_seg_size, 0
	.set _ZN7rocprim17ROCPRIM_400000_NS6detail17trampoline_kernelINS0_13select_configILj256ELj13ELNS0_17block_load_methodE3ELS4_3ELS4_3ELNS0_20block_scan_algorithmE0ELj4294967295EEENS1_25partition_config_selectorILNS1_17partition_subalgoE4EjNS0_10empty_typeEbEEZZNS1_14partition_implILS8_4ELb0ES6_15HIP_vector_typeIjLj2EENS0_17counting_iteratorIjlEEPS9_SG_NS0_5tupleIJPjSI_NS0_16reverse_iteratorISI_EEEEENSH_IJSG_SG_SG_EEES9_SI_JZNS1_25segmented_radix_sort_implINS0_14default_configELb0EPKfPfPKlPlN2at6native12_GLOBAL__N_18offset_tEEE10hipError_tPvRmT1_PNSt15iterator_traitsIS12_E10value_typeET2_T3_PNS13_IS18_E10value_typeET4_jRbjT5_S1E_jjP12ihipStream_tbEUljE_ZNSN_ISO_Lb0ESQ_SR_ST_SU_SY_EESZ_S10_S11_S12_S16_S17_S18_S1B_S1C_jS1D_jS1E_S1E_jjS1G_bEUljE0_EEESZ_S10_S11_S18_S1C_S1E_T6_T7_T9_mT8_S1G_bDpT10_ENKUlT_T0_E_clISt17integral_constantIbLb0EES1T_IbLb1EEEEDaS1P_S1Q_EUlS1P_E_NS1_11comp_targetILNS1_3genE2ELNS1_11target_archE906ELNS1_3gpuE6ELNS1_3repE0EEENS1_30default_config_static_selectorELNS0_4arch9wavefront6targetE0EEEvS12_.uses_vcc, 0
	.set _ZN7rocprim17ROCPRIM_400000_NS6detail17trampoline_kernelINS0_13select_configILj256ELj13ELNS0_17block_load_methodE3ELS4_3ELS4_3ELNS0_20block_scan_algorithmE0ELj4294967295EEENS1_25partition_config_selectorILNS1_17partition_subalgoE4EjNS0_10empty_typeEbEEZZNS1_14partition_implILS8_4ELb0ES6_15HIP_vector_typeIjLj2EENS0_17counting_iteratorIjlEEPS9_SG_NS0_5tupleIJPjSI_NS0_16reverse_iteratorISI_EEEEENSH_IJSG_SG_SG_EEES9_SI_JZNS1_25segmented_radix_sort_implINS0_14default_configELb0EPKfPfPKlPlN2at6native12_GLOBAL__N_18offset_tEEE10hipError_tPvRmT1_PNSt15iterator_traitsIS12_E10value_typeET2_T3_PNS13_IS18_E10value_typeET4_jRbjT5_S1E_jjP12ihipStream_tbEUljE_ZNSN_ISO_Lb0ESQ_SR_ST_SU_SY_EESZ_S10_S11_S12_S16_S17_S18_S1B_S1C_jS1D_jS1E_S1E_jjS1G_bEUljE0_EEESZ_S10_S11_S18_S1C_S1E_T6_T7_T9_mT8_S1G_bDpT10_ENKUlT_T0_E_clISt17integral_constantIbLb0EES1T_IbLb1EEEEDaS1P_S1Q_EUlS1P_E_NS1_11comp_targetILNS1_3genE2ELNS1_11target_archE906ELNS1_3gpuE6ELNS1_3repE0EEENS1_30default_config_static_selectorELNS0_4arch9wavefront6targetE0EEEvS12_.uses_flat_scratch, 0
	.set _ZN7rocprim17ROCPRIM_400000_NS6detail17trampoline_kernelINS0_13select_configILj256ELj13ELNS0_17block_load_methodE3ELS4_3ELS4_3ELNS0_20block_scan_algorithmE0ELj4294967295EEENS1_25partition_config_selectorILNS1_17partition_subalgoE4EjNS0_10empty_typeEbEEZZNS1_14partition_implILS8_4ELb0ES6_15HIP_vector_typeIjLj2EENS0_17counting_iteratorIjlEEPS9_SG_NS0_5tupleIJPjSI_NS0_16reverse_iteratorISI_EEEEENSH_IJSG_SG_SG_EEES9_SI_JZNS1_25segmented_radix_sort_implINS0_14default_configELb0EPKfPfPKlPlN2at6native12_GLOBAL__N_18offset_tEEE10hipError_tPvRmT1_PNSt15iterator_traitsIS12_E10value_typeET2_T3_PNS13_IS18_E10value_typeET4_jRbjT5_S1E_jjP12ihipStream_tbEUljE_ZNSN_ISO_Lb0ESQ_SR_ST_SU_SY_EESZ_S10_S11_S12_S16_S17_S18_S1B_S1C_jS1D_jS1E_S1E_jjS1G_bEUljE0_EEESZ_S10_S11_S18_S1C_S1E_T6_T7_T9_mT8_S1G_bDpT10_ENKUlT_T0_E_clISt17integral_constantIbLb0EES1T_IbLb1EEEEDaS1P_S1Q_EUlS1P_E_NS1_11comp_targetILNS1_3genE2ELNS1_11target_archE906ELNS1_3gpuE6ELNS1_3repE0EEENS1_30default_config_static_selectorELNS0_4arch9wavefront6targetE0EEEvS12_.has_dyn_sized_stack, 0
	.set _ZN7rocprim17ROCPRIM_400000_NS6detail17trampoline_kernelINS0_13select_configILj256ELj13ELNS0_17block_load_methodE3ELS4_3ELS4_3ELNS0_20block_scan_algorithmE0ELj4294967295EEENS1_25partition_config_selectorILNS1_17partition_subalgoE4EjNS0_10empty_typeEbEEZZNS1_14partition_implILS8_4ELb0ES6_15HIP_vector_typeIjLj2EENS0_17counting_iteratorIjlEEPS9_SG_NS0_5tupleIJPjSI_NS0_16reverse_iteratorISI_EEEEENSH_IJSG_SG_SG_EEES9_SI_JZNS1_25segmented_radix_sort_implINS0_14default_configELb0EPKfPfPKlPlN2at6native12_GLOBAL__N_18offset_tEEE10hipError_tPvRmT1_PNSt15iterator_traitsIS12_E10value_typeET2_T3_PNS13_IS18_E10value_typeET4_jRbjT5_S1E_jjP12ihipStream_tbEUljE_ZNSN_ISO_Lb0ESQ_SR_ST_SU_SY_EESZ_S10_S11_S12_S16_S17_S18_S1B_S1C_jS1D_jS1E_S1E_jjS1G_bEUljE0_EEESZ_S10_S11_S18_S1C_S1E_T6_T7_T9_mT8_S1G_bDpT10_ENKUlT_T0_E_clISt17integral_constantIbLb0EES1T_IbLb1EEEEDaS1P_S1Q_EUlS1P_E_NS1_11comp_targetILNS1_3genE2ELNS1_11target_archE906ELNS1_3gpuE6ELNS1_3repE0EEENS1_30default_config_static_selectorELNS0_4arch9wavefront6targetE0EEEvS12_.has_recursion, 0
	.set _ZN7rocprim17ROCPRIM_400000_NS6detail17trampoline_kernelINS0_13select_configILj256ELj13ELNS0_17block_load_methodE3ELS4_3ELS4_3ELNS0_20block_scan_algorithmE0ELj4294967295EEENS1_25partition_config_selectorILNS1_17partition_subalgoE4EjNS0_10empty_typeEbEEZZNS1_14partition_implILS8_4ELb0ES6_15HIP_vector_typeIjLj2EENS0_17counting_iteratorIjlEEPS9_SG_NS0_5tupleIJPjSI_NS0_16reverse_iteratorISI_EEEEENSH_IJSG_SG_SG_EEES9_SI_JZNS1_25segmented_radix_sort_implINS0_14default_configELb0EPKfPfPKlPlN2at6native12_GLOBAL__N_18offset_tEEE10hipError_tPvRmT1_PNSt15iterator_traitsIS12_E10value_typeET2_T3_PNS13_IS18_E10value_typeET4_jRbjT5_S1E_jjP12ihipStream_tbEUljE_ZNSN_ISO_Lb0ESQ_SR_ST_SU_SY_EESZ_S10_S11_S12_S16_S17_S18_S1B_S1C_jS1D_jS1E_S1E_jjS1G_bEUljE0_EEESZ_S10_S11_S18_S1C_S1E_T6_T7_T9_mT8_S1G_bDpT10_ENKUlT_T0_E_clISt17integral_constantIbLb0EES1T_IbLb1EEEEDaS1P_S1Q_EUlS1P_E_NS1_11comp_targetILNS1_3genE2ELNS1_11target_archE906ELNS1_3gpuE6ELNS1_3repE0EEENS1_30default_config_static_selectorELNS0_4arch9wavefront6targetE0EEEvS12_.has_indirect_call, 0
	.section	.AMDGPU.csdata,"",@progbits
; Kernel info:
; codeLenInByte = 0
; TotalNumSgprs: 0
; NumVgprs: 0
; ScratchSize: 0
; MemoryBound: 0
; FloatMode: 240
; IeeeMode: 1
; LDSByteSize: 0 bytes/workgroup (compile time only)
; SGPRBlocks: 0
; VGPRBlocks: 0
; NumSGPRsForWavesPerEU: 1
; NumVGPRsForWavesPerEU: 1
; NamedBarCnt: 0
; Occupancy: 16
; WaveLimiterHint : 0
; COMPUTE_PGM_RSRC2:SCRATCH_EN: 0
; COMPUTE_PGM_RSRC2:USER_SGPR: 2
; COMPUTE_PGM_RSRC2:TRAP_HANDLER: 0
; COMPUTE_PGM_RSRC2:TGID_X_EN: 1
; COMPUTE_PGM_RSRC2:TGID_Y_EN: 0
; COMPUTE_PGM_RSRC2:TGID_Z_EN: 0
; COMPUTE_PGM_RSRC2:TIDIG_COMP_CNT: 0
	.section	.text._ZN7rocprim17ROCPRIM_400000_NS6detail17trampoline_kernelINS0_13select_configILj256ELj13ELNS0_17block_load_methodE3ELS4_3ELS4_3ELNS0_20block_scan_algorithmE0ELj4294967295EEENS1_25partition_config_selectorILNS1_17partition_subalgoE4EjNS0_10empty_typeEbEEZZNS1_14partition_implILS8_4ELb0ES6_15HIP_vector_typeIjLj2EENS0_17counting_iteratorIjlEEPS9_SG_NS0_5tupleIJPjSI_NS0_16reverse_iteratorISI_EEEEENSH_IJSG_SG_SG_EEES9_SI_JZNS1_25segmented_radix_sort_implINS0_14default_configELb0EPKfPfPKlPlN2at6native12_GLOBAL__N_18offset_tEEE10hipError_tPvRmT1_PNSt15iterator_traitsIS12_E10value_typeET2_T3_PNS13_IS18_E10value_typeET4_jRbjT5_S1E_jjP12ihipStream_tbEUljE_ZNSN_ISO_Lb0ESQ_SR_ST_SU_SY_EESZ_S10_S11_S12_S16_S17_S18_S1B_S1C_jS1D_jS1E_S1E_jjS1G_bEUljE0_EEESZ_S10_S11_S18_S1C_S1E_T6_T7_T9_mT8_S1G_bDpT10_ENKUlT_T0_E_clISt17integral_constantIbLb0EES1T_IbLb1EEEEDaS1P_S1Q_EUlS1P_E_NS1_11comp_targetILNS1_3genE10ELNS1_11target_archE1200ELNS1_3gpuE4ELNS1_3repE0EEENS1_30default_config_static_selectorELNS0_4arch9wavefront6targetE0EEEvS12_,"axG",@progbits,_ZN7rocprim17ROCPRIM_400000_NS6detail17trampoline_kernelINS0_13select_configILj256ELj13ELNS0_17block_load_methodE3ELS4_3ELS4_3ELNS0_20block_scan_algorithmE0ELj4294967295EEENS1_25partition_config_selectorILNS1_17partition_subalgoE4EjNS0_10empty_typeEbEEZZNS1_14partition_implILS8_4ELb0ES6_15HIP_vector_typeIjLj2EENS0_17counting_iteratorIjlEEPS9_SG_NS0_5tupleIJPjSI_NS0_16reverse_iteratorISI_EEEEENSH_IJSG_SG_SG_EEES9_SI_JZNS1_25segmented_radix_sort_implINS0_14default_configELb0EPKfPfPKlPlN2at6native12_GLOBAL__N_18offset_tEEE10hipError_tPvRmT1_PNSt15iterator_traitsIS12_E10value_typeET2_T3_PNS13_IS18_E10value_typeET4_jRbjT5_S1E_jjP12ihipStream_tbEUljE_ZNSN_ISO_Lb0ESQ_SR_ST_SU_SY_EESZ_S10_S11_S12_S16_S17_S18_S1B_S1C_jS1D_jS1E_S1E_jjS1G_bEUljE0_EEESZ_S10_S11_S18_S1C_S1E_T6_T7_T9_mT8_S1G_bDpT10_ENKUlT_T0_E_clISt17integral_constantIbLb0EES1T_IbLb1EEEEDaS1P_S1Q_EUlS1P_E_NS1_11comp_targetILNS1_3genE10ELNS1_11target_archE1200ELNS1_3gpuE4ELNS1_3repE0EEENS1_30default_config_static_selectorELNS0_4arch9wavefront6targetE0EEEvS12_,comdat
	.globl	_ZN7rocprim17ROCPRIM_400000_NS6detail17trampoline_kernelINS0_13select_configILj256ELj13ELNS0_17block_load_methodE3ELS4_3ELS4_3ELNS0_20block_scan_algorithmE0ELj4294967295EEENS1_25partition_config_selectorILNS1_17partition_subalgoE4EjNS0_10empty_typeEbEEZZNS1_14partition_implILS8_4ELb0ES6_15HIP_vector_typeIjLj2EENS0_17counting_iteratorIjlEEPS9_SG_NS0_5tupleIJPjSI_NS0_16reverse_iteratorISI_EEEEENSH_IJSG_SG_SG_EEES9_SI_JZNS1_25segmented_radix_sort_implINS0_14default_configELb0EPKfPfPKlPlN2at6native12_GLOBAL__N_18offset_tEEE10hipError_tPvRmT1_PNSt15iterator_traitsIS12_E10value_typeET2_T3_PNS13_IS18_E10value_typeET4_jRbjT5_S1E_jjP12ihipStream_tbEUljE_ZNSN_ISO_Lb0ESQ_SR_ST_SU_SY_EESZ_S10_S11_S12_S16_S17_S18_S1B_S1C_jS1D_jS1E_S1E_jjS1G_bEUljE0_EEESZ_S10_S11_S18_S1C_S1E_T6_T7_T9_mT8_S1G_bDpT10_ENKUlT_T0_E_clISt17integral_constantIbLb0EES1T_IbLb1EEEEDaS1P_S1Q_EUlS1P_E_NS1_11comp_targetILNS1_3genE10ELNS1_11target_archE1200ELNS1_3gpuE4ELNS1_3repE0EEENS1_30default_config_static_selectorELNS0_4arch9wavefront6targetE0EEEvS12_ ; -- Begin function _ZN7rocprim17ROCPRIM_400000_NS6detail17trampoline_kernelINS0_13select_configILj256ELj13ELNS0_17block_load_methodE3ELS4_3ELS4_3ELNS0_20block_scan_algorithmE0ELj4294967295EEENS1_25partition_config_selectorILNS1_17partition_subalgoE4EjNS0_10empty_typeEbEEZZNS1_14partition_implILS8_4ELb0ES6_15HIP_vector_typeIjLj2EENS0_17counting_iteratorIjlEEPS9_SG_NS0_5tupleIJPjSI_NS0_16reverse_iteratorISI_EEEEENSH_IJSG_SG_SG_EEES9_SI_JZNS1_25segmented_radix_sort_implINS0_14default_configELb0EPKfPfPKlPlN2at6native12_GLOBAL__N_18offset_tEEE10hipError_tPvRmT1_PNSt15iterator_traitsIS12_E10value_typeET2_T3_PNS13_IS18_E10value_typeET4_jRbjT5_S1E_jjP12ihipStream_tbEUljE_ZNSN_ISO_Lb0ESQ_SR_ST_SU_SY_EESZ_S10_S11_S12_S16_S17_S18_S1B_S1C_jS1D_jS1E_S1E_jjS1G_bEUljE0_EEESZ_S10_S11_S18_S1C_S1E_T6_T7_T9_mT8_S1G_bDpT10_ENKUlT_T0_E_clISt17integral_constantIbLb0EES1T_IbLb1EEEEDaS1P_S1Q_EUlS1P_E_NS1_11comp_targetILNS1_3genE10ELNS1_11target_archE1200ELNS1_3gpuE4ELNS1_3repE0EEENS1_30default_config_static_selectorELNS0_4arch9wavefront6targetE0EEEvS12_
	.p2align	8
	.type	_ZN7rocprim17ROCPRIM_400000_NS6detail17trampoline_kernelINS0_13select_configILj256ELj13ELNS0_17block_load_methodE3ELS4_3ELS4_3ELNS0_20block_scan_algorithmE0ELj4294967295EEENS1_25partition_config_selectorILNS1_17partition_subalgoE4EjNS0_10empty_typeEbEEZZNS1_14partition_implILS8_4ELb0ES6_15HIP_vector_typeIjLj2EENS0_17counting_iteratorIjlEEPS9_SG_NS0_5tupleIJPjSI_NS0_16reverse_iteratorISI_EEEEENSH_IJSG_SG_SG_EEES9_SI_JZNS1_25segmented_radix_sort_implINS0_14default_configELb0EPKfPfPKlPlN2at6native12_GLOBAL__N_18offset_tEEE10hipError_tPvRmT1_PNSt15iterator_traitsIS12_E10value_typeET2_T3_PNS13_IS18_E10value_typeET4_jRbjT5_S1E_jjP12ihipStream_tbEUljE_ZNSN_ISO_Lb0ESQ_SR_ST_SU_SY_EESZ_S10_S11_S12_S16_S17_S18_S1B_S1C_jS1D_jS1E_S1E_jjS1G_bEUljE0_EEESZ_S10_S11_S18_S1C_S1E_T6_T7_T9_mT8_S1G_bDpT10_ENKUlT_T0_E_clISt17integral_constantIbLb0EES1T_IbLb1EEEEDaS1P_S1Q_EUlS1P_E_NS1_11comp_targetILNS1_3genE10ELNS1_11target_archE1200ELNS1_3gpuE4ELNS1_3repE0EEENS1_30default_config_static_selectorELNS0_4arch9wavefront6targetE0EEEvS12_,@function
_ZN7rocprim17ROCPRIM_400000_NS6detail17trampoline_kernelINS0_13select_configILj256ELj13ELNS0_17block_load_methodE3ELS4_3ELS4_3ELNS0_20block_scan_algorithmE0ELj4294967295EEENS1_25partition_config_selectorILNS1_17partition_subalgoE4EjNS0_10empty_typeEbEEZZNS1_14partition_implILS8_4ELb0ES6_15HIP_vector_typeIjLj2EENS0_17counting_iteratorIjlEEPS9_SG_NS0_5tupleIJPjSI_NS0_16reverse_iteratorISI_EEEEENSH_IJSG_SG_SG_EEES9_SI_JZNS1_25segmented_radix_sort_implINS0_14default_configELb0EPKfPfPKlPlN2at6native12_GLOBAL__N_18offset_tEEE10hipError_tPvRmT1_PNSt15iterator_traitsIS12_E10value_typeET2_T3_PNS13_IS18_E10value_typeET4_jRbjT5_S1E_jjP12ihipStream_tbEUljE_ZNSN_ISO_Lb0ESQ_SR_ST_SU_SY_EESZ_S10_S11_S12_S16_S17_S18_S1B_S1C_jS1D_jS1E_S1E_jjS1G_bEUljE0_EEESZ_S10_S11_S18_S1C_S1E_T6_T7_T9_mT8_S1G_bDpT10_ENKUlT_T0_E_clISt17integral_constantIbLb0EES1T_IbLb1EEEEDaS1P_S1Q_EUlS1P_E_NS1_11comp_targetILNS1_3genE10ELNS1_11target_archE1200ELNS1_3gpuE4ELNS1_3repE0EEENS1_30default_config_static_selectorELNS0_4arch9wavefront6targetE0EEEvS12_: ; @_ZN7rocprim17ROCPRIM_400000_NS6detail17trampoline_kernelINS0_13select_configILj256ELj13ELNS0_17block_load_methodE3ELS4_3ELS4_3ELNS0_20block_scan_algorithmE0ELj4294967295EEENS1_25partition_config_selectorILNS1_17partition_subalgoE4EjNS0_10empty_typeEbEEZZNS1_14partition_implILS8_4ELb0ES6_15HIP_vector_typeIjLj2EENS0_17counting_iteratorIjlEEPS9_SG_NS0_5tupleIJPjSI_NS0_16reverse_iteratorISI_EEEEENSH_IJSG_SG_SG_EEES9_SI_JZNS1_25segmented_radix_sort_implINS0_14default_configELb0EPKfPfPKlPlN2at6native12_GLOBAL__N_18offset_tEEE10hipError_tPvRmT1_PNSt15iterator_traitsIS12_E10value_typeET2_T3_PNS13_IS18_E10value_typeET4_jRbjT5_S1E_jjP12ihipStream_tbEUljE_ZNSN_ISO_Lb0ESQ_SR_ST_SU_SY_EESZ_S10_S11_S12_S16_S17_S18_S1B_S1C_jS1D_jS1E_S1E_jjS1G_bEUljE0_EEESZ_S10_S11_S18_S1C_S1E_T6_T7_T9_mT8_S1G_bDpT10_ENKUlT_T0_E_clISt17integral_constantIbLb0EES1T_IbLb1EEEEDaS1P_S1Q_EUlS1P_E_NS1_11comp_targetILNS1_3genE10ELNS1_11target_archE1200ELNS1_3gpuE4ELNS1_3repE0EEENS1_30default_config_static_selectorELNS0_4arch9wavefront6targetE0EEEvS12_
; %bb.0:
	.section	.rodata,"a",@progbits
	.p2align	6, 0x0
	.amdhsa_kernel _ZN7rocprim17ROCPRIM_400000_NS6detail17trampoline_kernelINS0_13select_configILj256ELj13ELNS0_17block_load_methodE3ELS4_3ELS4_3ELNS0_20block_scan_algorithmE0ELj4294967295EEENS1_25partition_config_selectorILNS1_17partition_subalgoE4EjNS0_10empty_typeEbEEZZNS1_14partition_implILS8_4ELb0ES6_15HIP_vector_typeIjLj2EENS0_17counting_iteratorIjlEEPS9_SG_NS0_5tupleIJPjSI_NS0_16reverse_iteratorISI_EEEEENSH_IJSG_SG_SG_EEES9_SI_JZNS1_25segmented_radix_sort_implINS0_14default_configELb0EPKfPfPKlPlN2at6native12_GLOBAL__N_18offset_tEEE10hipError_tPvRmT1_PNSt15iterator_traitsIS12_E10value_typeET2_T3_PNS13_IS18_E10value_typeET4_jRbjT5_S1E_jjP12ihipStream_tbEUljE_ZNSN_ISO_Lb0ESQ_SR_ST_SU_SY_EESZ_S10_S11_S12_S16_S17_S18_S1B_S1C_jS1D_jS1E_S1E_jjS1G_bEUljE0_EEESZ_S10_S11_S18_S1C_S1E_T6_T7_T9_mT8_S1G_bDpT10_ENKUlT_T0_E_clISt17integral_constantIbLb0EES1T_IbLb1EEEEDaS1P_S1Q_EUlS1P_E_NS1_11comp_targetILNS1_3genE10ELNS1_11target_archE1200ELNS1_3gpuE4ELNS1_3repE0EEENS1_30default_config_static_selectorELNS0_4arch9wavefront6targetE0EEEvS12_
		.amdhsa_group_segment_fixed_size 0
		.amdhsa_private_segment_fixed_size 0
		.amdhsa_kernarg_size 184
		.amdhsa_user_sgpr_count 2
		.amdhsa_user_sgpr_dispatch_ptr 0
		.amdhsa_user_sgpr_queue_ptr 0
		.amdhsa_user_sgpr_kernarg_segment_ptr 1
		.amdhsa_user_sgpr_dispatch_id 0
		.amdhsa_user_sgpr_kernarg_preload_length 0
		.amdhsa_user_sgpr_kernarg_preload_offset 0
		.amdhsa_user_sgpr_private_segment_size 0
		.amdhsa_wavefront_size32 1
		.amdhsa_uses_dynamic_stack 0
		.amdhsa_enable_private_segment 0
		.amdhsa_system_sgpr_workgroup_id_x 1
		.amdhsa_system_sgpr_workgroup_id_y 0
		.amdhsa_system_sgpr_workgroup_id_z 0
		.amdhsa_system_sgpr_workgroup_info 0
		.amdhsa_system_vgpr_workitem_id 0
		.amdhsa_next_free_vgpr 1
		.amdhsa_next_free_sgpr 1
		.amdhsa_named_barrier_count 0
		.amdhsa_reserve_vcc 0
		.amdhsa_float_round_mode_32 0
		.amdhsa_float_round_mode_16_64 0
		.amdhsa_float_denorm_mode_32 3
		.amdhsa_float_denorm_mode_16_64 3
		.amdhsa_fp16_overflow 0
		.amdhsa_memory_ordered 1
		.amdhsa_forward_progress 1
		.amdhsa_inst_pref_size 0
		.amdhsa_round_robin_scheduling 0
		.amdhsa_exception_fp_ieee_invalid_op 0
		.amdhsa_exception_fp_denorm_src 0
		.amdhsa_exception_fp_ieee_div_zero 0
		.amdhsa_exception_fp_ieee_overflow 0
		.amdhsa_exception_fp_ieee_underflow 0
		.amdhsa_exception_fp_ieee_inexact 0
		.amdhsa_exception_int_div_zero 0
	.end_amdhsa_kernel
	.section	.text._ZN7rocprim17ROCPRIM_400000_NS6detail17trampoline_kernelINS0_13select_configILj256ELj13ELNS0_17block_load_methodE3ELS4_3ELS4_3ELNS0_20block_scan_algorithmE0ELj4294967295EEENS1_25partition_config_selectorILNS1_17partition_subalgoE4EjNS0_10empty_typeEbEEZZNS1_14partition_implILS8_4ELb0ES6_15HIP_vector_typeIjLj2EENS0_17counting_iteratorIjlEEPS9_SG_NS0_5tupleIJPjSI_NS0_16reverse_iteratorISI_EEEEENSH_IJSG_SG_SG_EEES9_SI_JZNS1_25segmented_radix_sort_implINS0_14default_configELb0EPKfPfPKlPlN2at6native12_GLOBAL__N_18offset_tEEE10hipError_tPvRmT1_PNSt15iterator_traitsIS12_E10value_typeET2_T3_PNS13_IS18_E10value_typeET4_jRbjT5_S1E_jjP12ihipStream_tbEUljE_ZNSN_ISO_Lb0ESQ_SR_ST_SU_SY_EESZ_S10_S11_S12_S16_S17_S18_S1B_S1C_jS1D_jS1E_S1E_jjS1G_bEUljE0_EEESZ_S10_S11_S18_S1C_S1E_T6_T7_T9_mT8_S1G_bDpT10_ENKUlT_T0_E_clISt17integral_constantIbLb0EES1T_IbLb1EEEEDaS1P_S1Q_EUlS1P_E_NS1_11comp_targetILNS1_3genE10ELNS1_11target_archE1200ELNS1_3gpuE4ELNS1_3repE0EEENS1_30default_config_static_selectorELNS0_4arch9wavefront6targetE0EEEvS12_,"axG",@progbits,_ZN7rocprim17ROCPRIM_400000_NS6detail17trampoline_kernelINS0_13select_configILj256ELj13ELNS0_17block_load_methodE3ELS4_3ELS4_3ELNS0_20block_scan_algorithmE0ELj4294967295EEENS1_25partition_config_selectorILNS1_17partition_subalgoE4EjNS0_10empty_typeEbEEZZNS1_14partition_implILS8_4ELb0ES6_15HIP_vector_typeIjLj2EENS0_17counting_iteratorIjlEEPS9_SG_NS0_5tupleIJPjSI_NS0_16reverse_iteratorISI_EEEEENSH_IJSG_SG_SG_EEES9_SI_JZNS1_25segmented_radix_sort_implINS0_14default_configELb0EPKfPfPKlPlN2at6native12_GLOBAL__N_18offset_tEEE10hipError_tPvRmT1_PNSt15iterator_traitsIS12_E10value_typeET2_T3_PNS13_IS18_E10value_typeET4_jRbjT5_S1E_jjP12ihipStream_tbEUljE_ZNSN_ISO_Lb0ESQ_SR_ST_SU_SY_EESZ_S10_S11_S12_S16_S17_S18_S1B_S1C_jS1D_jS1E_S1E_jjS1G_bEUljE0_EEESZ_S10_S11_S18_S1C_S1E_T6_T7_T9_mT8_S1G_bDpT10_ENKUlT_T0_E_clISt17integral_constantIbLb0EES1T_IbLb1EEEEDaS1P_S1Q_EUlS1P_E_NS1_11comp_targetILNS1_3genE10ELNS1_11target_archE1200ELNS1_3gpuE4ELNS1_3repE0EEENS1_30default_config_static_selectorELNS0_4arch9wavefront6targetE0EEEvS12_,comdat
.Lfunc_end1386:
	.size	_ZN7rocprim17ROCPRIM_400000_NS6detail17trampoline_kernelINS0_13select_configILj256ELj13ELNS0_17block_load_methodE3ELS4_3ELS4_3ELNS0_20block_scan_algorithmE0ELj4294967295EEENS1_25partition_config_selectorILNS1_17partition_subalgoE4EjNS0_10empty_typeEbEEZZNS1_14partition_implILS8_4ELb0ES6_15HIP_vector_typeIjLj2EENS0_17counting_iteratorIjlEEPS9_SG_NS0_5tupleIJPjSI_NS0_16reverse_iteratorISI_EEEEENSH_IJSG_SG_SG_EEES9_SI_JZNS1_25segmented_radix_sort_implINS0_14default_configELb0EPKfPfPKlPlN2at6native12_GLOBAL__N_18offset_tEEE10hipError_tPvRmT1_PNSt15iterator_traitsIS12_E10value_typeET2_T3_PNS13_IS18_E10value_typeET4_jRbjT5_S1E_jjP12ihipStream_tbEUljE_ZNSN_ISO_Lb0ESQ_SR_ST_SU_SY_EESZ_S10_S11_S12_S16_S17_S18_S1B_S1C_jS1D_jS1E_S1E_jjS1G_bEUljE0_EEESZ_S10_S11_S18_S1C_S1E_T6_T7_T9_mT8_S1G_bDpT10_ENKUlT_T0_E_clISt17integral_constantIbLb0EES1T_IbLb1EEEEDaS1P_S1Q_EUlS1P_E_NS1_11comp_targetILNS1_3genE10ELNS1_11target_archE1200ELNS1_3gpuE4ELNS1_3repE0EEENS1_30default_config_static_selectorELNS0_4arch9wavefront6targetE0EEEvS12_, .Lfunc_end1386-_ZN7rocprim17ROCPRIM_400000_NS6detail17trampoline_kernelINS0_13select_configILj256ELj13ELNS0_17block_load_methodE3ELS4_3ELS4_3ELNS0_20block_scan_algorithmE0ELj4294967295EEENS1_25partition_config_selectorILNS1_17partition_subalgoE4EjNS0_10empty_typeEbEEZZNS1_14partition_implILS8_4ELb0ES6_15HIP_vector_typeIjLj2EENS0_17counting_iteratorIjlEEPS9_SG_NS0_5tupleIJPjSI_NS0_16reverse_iteratorISI_EEEEENSH_IJSG_SG_SG_EEES9_SI_JZNS1_25segmented_radix_sort_implINS0_14default_configELb0EPKfPfPKlPlN2at6native12_GLOBAL__N_18offset_tEEE10hipError_tPvRmT1_PNSt15iterator_traitsIS12_E10value_typeET2_T3_PNS13_IS18_E10value_typeET4_jRbjT5_S1E_jjP12ihipStream_tbEUljE_ZNSN_ISO_Lb0ESQ_SR_ST_SU_SY_EESZ_S10_S11_S12_S16_S17_S18_S1B_S1C_jS1D_jS1E_S1E_jjS1G_bEUljE0_EEESZ_S10_S11_S18_S1C_S1E_T6_T7_T9_mT8_S1G_bDpT10_ENKUlT_T0_E_clISt17integral_constantIbLb0EES1T_IbLb1EEEEDaS1P_S1Q_EUlS1P_E_NS1_11comp_targetILNS1_3genE10ELNS1_11target_archE1200ELNS1_3gpuE4ELNS1_3repE0EEENS1_30default_config_static_selectorELNS0_4arch9wavefront6targetE0EEEvS12_
                                        ; -- End function
	.set _ZN7rocprim17ROCPRIM_400000_NS6detail17trampoline_kernelINS0_13select_configILj256ELj13ELNS0_17block_load_methodE3ELS4_3ELS4_3ELNS0_20block_scan_algorithmE0ELj4294967295EEENS1_25partition_config_selectorILNS1_17partition_subalgoE4EjNS0_10empty_typeEbEEZZNS1_14partition_implILS8_4ELb0ES6_15HIP_vector_typeIjLj2EENS0_17counting_iteratorIjlEEPS9_SG_NS0_5tupleIJPjSI_NS0_16reverse_iteratorISI_EEEEENSH_IJSG_SG_SG_EEES9_SI_JZNS1_25segmented_radix_sort_implINS0_14default_configELb0EPKfPfPKlPlN2at6native12_GLOBAL__N_18offset_tEEE10hipError_tPvRmT1_PNSt15iterator_traitsIS12_E10value_typeET2_T3_PNS13_IS18_E10value_typeET4_jRbjT5_S1E_jjP12ihipStream_tbEUljE_ZNSN_ISO_Lb0ESQ_SR_ST_SU_SY_EESZ_S10_S11_S12_S16_S17_S18_S1B_S1C_jS1D_jS1E_S1E_jjS1G_bEUljE0_EEESZ_S10_S11_S18_S1C_S1E_T6_T7_T9_mT8_S1G_bDpT10_ENKUlT_T0_E_clISt17integral_constantIbLb0EES1T_IbLb1EEEEDaS1P_S1Q_EUlS1P_E_NS1_11comp_targetILNS1_3genE10ELNS1_11target_archE1200ELNS1_3gpuE4ELNS1_3repE0EEENS1_30default_config_static_selectorELNS0_4arch9wavefront6targetE0EEEvS12_.num_vgpr, 0
	.set _ZN7rocprim17ROCPRIM_400000_NS6detail17trampoline_kernelINS0_13select_configILj256ELj13ELNS0_17block_load_methodE3ELS4_3ELS4_3ELNS0_20block_scan_algorithmE0ELj4294967295EEENS1_25partition_config_selectorILNS1_17partition_subalgoE4EjNS0_10empty_typeEbEEZZNS1_14partition_implILS8_4ELb0ES6_15HIP_vector_typeIjLj2EENS0_17counting_iteratorIjlEEPS9_SG_NS0_5tupleIJPjSI_NS0_16reverse_iteratorISI_EEEEENSH_IJSG_SG_SG_EEES9_SI_JZNS1_25segmented_radix_sort_implINS0_14default_configELb0EPKfPfPKlPlN2at6native12_GLOBAL__N_18offset_tEEE10hipError_tPvRmT1_PNSt15iterator_traitsIS12_E10value_typeET2_T3_PNS13_IS18_E10value_typeET4_jRbjT5_S1E_jjP12ihipStream_tbEUljE_ZNSN_ISO_Lb0ESQ_SR_ST_SU_SY_EESZ_S10_S11_S12_S16_S17_S18_S1B_S1C_jS1D_jS1E_S1E_jjS1G_bEUljE0_EEESZ_S10_S11_S18_S1C_S1E_T6_T7_T9_mT8_S1G_bDpT10_ENKUlT_T0_E_clISt17integral_constantIbLb0EES1T_IbLb1EEEEDaS1P_S1Q_EUlS1P_E_NS1_11comp_targetILNS1_3genE10ELNS1_11target_archE1200ELNS1_3gpuE4ELNS1_3repE0EEENS1_30default_config_static_selectorELNS0_4arch9wavefront6targetE0EEEvS12_.num_agpr, 0
	.set _ZN7rocprim17ROCPRIM_400000_NS6detail17trampoline_kernelINS0_13select_configILj256ELj13ELNS0_17block_load_methodE3ELS4_3ELS4_3ELNS0_20block_scan_algorithmE0ELj4294967295EEENS1_25partition_config_selectorILNS1_17partition_subalgoE4EjNS0_10empty_typeEbEEZZNS1_14partition_implILS8_4ELb0ES6_15HIP_vector_typeIjLj2EENS0_17counting_iteratorIjlEEPS9_SG_NS0_5tupleIJPjSI_NS0_16reverse_iteratorISI_EEEEENSH_IJSG_SG_SG_EEES9_SI_JZNS1_25segmented_radix_sort_implINS0_14default_configELb0EPKfPfPKlPlN2at6native12_GLOBAL__N_18offset_tEEE10hipError_tPvRmT1_PNSt15iterator_traitsIS12_E10value_typeET2_T3_PNS13_IS18_E10value_typeET4_jRbjT5_S1E_jjP12ihipStream_tbEUljE_ZNSN_ISO_Lb0ESQ_SR_ST_SU_SY_EESZ_S10_S11_S12_S16_S17_S18_S1B_S1C_jS1D_jS1E_S1E_jjS1G_bEUljE0_EEESZ_S10_S11_S18_S1C_S1E_T6_T7_T9_mT8_S1G_bDpT10_ENKUlT_T0_E_clISt17integral_constantIbLb0EES1T_IbLb1EEEEDaS1P_S1Q_EUlS1P_E_NS1_11comp_targetILNS1_3genE10ELNS1_11target_archE1200ELNS1_3gpuE4ELNS1_3repE0EEENS1_30default_config_static_selectorELNS0_4arch9wavefront6targetE0EEEvS12_.numbered_sgpr, 0
	.set _ZN7rocprim17ROCPRIM_400000_NS6detail17trampoline_kernelINS0_13select_configILj256ELj13ELNS0_17block_load_methodE3ELS4_3ELS4_3ELNS0_20block_scan_algorithmE0ELj4294967295EEENS1_25partition_config_selectorILNS1_17partition_subalgoE4EjNS0_10empty_typeEbEEZZNS1_14partition_implILS8_4ELb0ES6_15HIP_vector_typeIjLj2EENS0_17counting_iteratorIjlEEPS9_SG_NS0_5tupleIJPjSI_NS0_16reverse_iteratorISI_EEEEENSH_IJSG_SG_SG_EEES9_SI_JZNS1_25segmented_radix_sort_implINS0_14default_configELb0EPKfPfPKlPlN2at6native12_GLOBAL__N_18offset_tEEE10hipError_tPvRmT1_PNSt15iterator_traitsIS12_E10value_typeET2_T3_PNS13_IS18_E10value_typeET4_jRbjT5_S1E_jjP12ihipStream_tbEUljE_ZNSN_ISO_Lb0ESQ_SR_ST_SU_SY_EESZ_S10_S11_S12_S16_S17_S18_S1B_S1C_jS1D_jS1E_S1E_jjS1G_bEUljE0_EEESZ_S10_S11_S18_S1C_S1E_T6_T7_T9_mT8_S1G_bDpT10_ENKUlT_T0_E_clISt17integral_constantIbLb0EES1T_IbLb1EEEEDaS1P_S1Q_EUlS1P_E_NS1_11comp_targetILNS1_3genE10ELNS1_11target_archE1200ELNS1_3gpuE4ELNS1_3repE0EEENS1_30default_config_static_selectorELNS0_4arch9wavefront6targetE0EEEvS12_.num_named_barrier, 0
	.set _ZN7rocprim17ROCPRIM_400000_NS6detail17trampoline_kernelINS0_13select_configILj256ELj13ELNS0_17block_load_methodE3ELS4_3ELS4_3ELNS0_20block_scan_algorithmE0ELj4294967295EEENS1_25partition_config_selectorILNS1_17partition_subalgoE4EjNS0_10empty_typeEbEEZZNS1_14partition_implILS8_4ELb0ES6_15HIP_vector_typeIjLj2EENS0_17counting_iteratorIjlEEPS9_SG_NS0_5tupleIJPjSI_NS0_16reverse_iteratorISI_EEEEENSH_IJSG_SG_SG_EEES9_SI_JZNS1_25segmented_radix_sort_implINS0_14default_configELb0EPKfPfPKlPlN2at6native12_GLOBAL__N_18offset_tEEE10hipError_tPvRmT1_PNSt15iterator_traitsIS12_E10value_typeET2_T3_PNS13_IS18_E10value_typeET4_jRbjT5_S1E_jjP12ihipStream_tbEUljE_ZNSN_ISO_Lb0ESQ_SR_ST_SU_SY_EESZ_S10_S11_S12_S16_S17_S18_S1B_S1C_jS1D_jS1E_S1E_jjS1G_bEUljE0_EEESZ_S10_S11_S18_S1C_S1E_T6_T7_T9_mT8_S1G_bDpT10_ENKUlT_T0_E_clISt17integral_constantIbLb0EES1T_IbLb1EEEEDaS1P_S1Q_EUlS1P_E_NS1_11comp_targetILNS1_3genE10ELNS1_11target_archE1200ELNS1_3gpuE4ELNS1_3repE0EEENS1_30default_config_static_selectorELNS0_4arch9wavefront6targetE0EEEvS12_.private_seg_size, 0
	.set _ZN7rocprim17ROCPRIM_400000_NS6detail17trampoline_kernelINS0_13select_configILj256ELj13ELNS0_17block_load_methodE3ELS4_3ELS4_3ELNS0_20block_scan_algorithmE0ELj4294967295EEENS1_25partition_config_selectorILNS1_17partition_subalgoE4EjNS0_10empty_typeEbEEZZNS1_14partition_implILS8_4ELb0ES6_15HIP_vector_typeIjLj2EENS0_17counting_iteratorIjlEEPS9_SG_NS0_5tupleIJPjSI_NS0_16reverse_iteratorISI_EEEEENSH_IJSG_SG_SG_EEES9_SI_JZNS1_25segmented_radix_sort_implINS0_14default_configELb0EPKfPfPKlPlN2at6native12_GLOBAL__N_18offset_tEEE10hipError_tPvRmT1_PNSt15iterator_traitsIS12_E10value_typeET2_T3_PNS13_IS18_E10value_typeET4_jRbjT5_S1E_jjP12ihipStream_tbEUljE_ZNSN_ISO_Lb0ESQ_SR_ST_SU_SY_EESZ_S10_S11_S12_S16_S17_S18_S1B_S1C_jS1D_jS1E_S1E_jjS1G_bEUljE0_EEESZ_S10_S11_S18_S1C_S1E_T6_T7_T9_mT8_S1G_bDpT10_ENKUlT_T0_E_clISt17integral_constantIbLb0EES1T_IbLb1EEEEDaS1P_S1Q_EUlS1P_E_NS1_11comp_targetILNS1_3genE10ELNS1_11target_archE1200ELNS1_3gpuE4ELNS1_3repE0EEENS1_30default_config_static_selectorELNS0_4arch9wavefront6targetE0EEEvS12_.uses_vcc, 0
	.set _ZN7rocprim17ROCPRIM_400000_NS6detail17trampoline_kernelINS0_13select_configILj256ELj13ELNS0_17block_load_methodE3ELS4_3ELS4_3ELNS0_20block_scan_algorithmE0ELj4294967295EEENS1_25partition_config_selectorILNS1_17partition_subalgoE4EjNS0_10empty_typeEbEEZZNS1_14partition_implILS8_4ELb0ES6_15HIP_vector_typeIjLj2EENS0_17counting_iteratorIjlEEPS9_SG_NS0_5tupleIJPjSI_NS0_16reverse_iteratorISI_EEEEENSH_IJSG_SG_SG_EEES9_SI_JZNS1_25segmented_radix_sort_implINS0_14default_configELb0EPKfPfPKlPlN2at6native12_GLOBAL__N_18offset_tEEE10hipError_tPvRmT1_PNSt15iterator_traitsIS12_E10value_typeET2_T3_PNS13_IS18_E10value_typeET4_jRbjT5_S1E_jjP12ihipStream_tbEUljE_ZNSN_ISO_Lb0ESQ_SR_ST_SU_SY_EESZ_S10_S11_S12_S16_S17_S18_S1B_S1C_jS1D_jS1E_S1E_jjS1G_bEUljE0_EEESZ_S10_S11_S18_S1C_S1E_T6_T7_T9_mT8_S1G_bDpT10_ENKUlT_T0_E_clISt17integral_constantIbLb0EES1T_IbLb1EEEEDaS1P_S1Q_EUlS1P_E_NS1_11comp_targetILNS1_3genE10ELNS1_11target_archE1200ELNS1_3gpuE4ELNS1_3repE0EEENS1_30default_config_static_selectorELNS0_4arch9wavefront6targetE0EEEvS12_.uses_flat_scratch, 0
	.set _ZN7rocprim17ROCPRIM_400000_NS6detail17trampoline_kernelINS0_13select_configILj256ELj13ELNS0_17block_load_methodE3ELS4_3ELS4_3ELNS0_20block_scan_algorithmE0ELj4294967295EEENS1_25partition_config_selectorILNS1_17partition_subalgoE4EjNS0_10empty_typeEbEEZZNS1_14partition_implILS8_4ELb0ES6_15HIP_vector_typeIjLj2EENS0_17counting_iteratorIjlEEPS9_SG_NS0_5tupleIJPjSI_NS0_16reverse_iteratorISI_EEEEENSH_IJSG_SG_SG_EEES9_SI_JZNS1_25segmented_radix_sort_implINS0_14default_configELb0EPKfPfPKlPlN2at6native12_GLOBAL__N_18offset_tEEE10hipError_tPvRmT1_PNSt15iterator_traitsIS12_E10value_typeET2_T3_PNS13_IS18_E10value_typeET4_jRbjT5_S1E_jjP12ihipStream_tbEUljE_ZNSN_ISO_Lb0ESQ_SR_ST_SU_SY_EESZ_S10_S11_S12_S16_S17_S18_S1B_S1C_jS1D_jS1E_S1E_jjS1G_bEUljE0_EEESZ_S10_S11_S18_S1C_S1E_T6_T7_T9_mT8_S1G_bDpT10_ENKUlT_T0_E_clISt17integral_constantIbLb0EES1T_IbLb1EEEEDaS1P_S1Q_EUlS1P_E_NS1_11comp_targetILNS1_3genE10ELNS1_11target_archE1200ELNS1_3gpuE4ELNS1_3repE0EEENS1_30default_config_static_selectorELNS0_4arch9wavefront6targetE0EEEvS12_.has_dyn_sized_stack, 0
	.set _ZN7rocprim17ROCPRIM_400000_NS6detail17trampoline_kernelINS0_13select_configILj256ELj13ELNS0_17block_load_methodE3ELS4_3ELS4_3ELNS0_20block_scan_algorithmE0ELj4294967295EEENS1_25partition_config_selectorILNS1_17partition_subalgoE4EjNS0_10empty_typeEbEEZZNS1_14partition_implILS8_4ELb0ES6_15HIP_vector_typeIjLj2EENS0_17counting_iteratorIjlEEPS9_SG_NS0_5tupleIJPjSI_NS0_16reverse_iteratorISI_EEEEENSH_IJSG_SG_SG_EEES9_SI_JZNS1_25segmented_radix_sort_implINS0_14default_configELb0EPKfPfPKlPlN2at6native12_GLOBAL__N_18offset_tEEE10hipError_tPvRmT1_PNSt15iterator_traitsIS12_E10value_typeET2_T3_PNS13_IS18_E10value_typeET4_jRbjT5_S1E_jjP12ihipStream_tbEUljE_ZNSN_ISO_Lb0ESQ_SR_ST_SU_SY_EESZ_S10_S11_S12_S16_S17_S18_S1B_S1C_jS1D_jS1E_S1E_jjS1G_bEUljE0_EEESZ_S10_S11_S18_S1C_S1E_T6_T7_T9_mT8_S1G_bDpT10_ENKUlT_T0_E_clISt17integral_constantIbLb0EES1T_IbLb1EEEEDaS1P_S1Q_EUlS1P_E_NS1_11comp_targetILNS1_3genE10ELNS1_11target_archE1200ELNS1_3gpuE4ELNS1_3repE0EEENS1_30default_config_static_selectorELNS0_4arch9wavefront6targetE0EEEvS12_.has_recursion, 0
	.set _ZN7rocprim17ROCPRIM_400000_NS6detail17trampoline_kernelINS0_13select_configILj256ELj13ELNS0_17block_load_methodE3ELS4_3ELS4_3ELNS0_20block_scan_algorithmE0ELj4294967295EEENS1_25partition_config_selectorILNS1_17partition_subalgoE4EjNS0_10empty_typeEbEEZZNS1_14partition_implILS8_4ELb0ES6_15HIP_vector_typeIjLj2EENS0_17counting_iteratorIjlEEPS9_SG_NS0_5tupleIJPjSI_NS0_16reverse_iteratorISI_EEEEENSH_IJSG_SG_SG_EEES9_SI_JZNS1_25segmented_radix_sort_implINS0_14default_configELb0EPKfPfPKlPlN2at6native12_GLOBAL__N_18offset_tEEE10hipError_tPvRmT1_PNSt15iterator_traitsIS12_E10value_typeET2_T3_PNS13_IS18_E10value_typeET4_jRbjT5_S1E_jjP12ihipStream_tbEUljE_ZNSN_ISO_Lb0ESQ_SR_ST_SU_SY_EESZ_S10_S11_S12_S16_S17_S18_S1B_S1C_jS1D_jS1E_S1E_jjS1G_bEUljE0_EEESZ_S10_S11_S18_S1C_S1E_T6_T7_T9_mT8_S1G_bDpT10_ENKUlT_T0_E_clISt17integral_constantIbLb0EES1T_IbLb1EEEEDaS1P_S1Q_EUlS1P_E_NS1_11comp_targetILNS1_3genE10ELNS1_11target_archE1200ELNS1_3gpuE4ELNS1_3repE0EEENS1_30default_config_static_selectorELNS0_4arch9wavefront6targetE0EEEvS12_.has_indirect_call, 0
	.section	.AMDGPU.csdata,"",@progbits
; Kernel info:
; codeLenInByte = 0
; TotalNumSgprs: 0
; NumVgprs: 0
; ScratchSize: 0
; MemoryBound: 0
; FloatMode: 240
; IeeeMode: 1
; LDSByteSize: 0 bytes/workgroup (compile time only)
; SGPRBlocks: 0
; VGPRBlocks: 0
; NumSGPRsForWavesPerEU: 1
; NumVGPRsForWavesPerEU: 1
; NamedBarCnt: 0
; Occupancy: 16
; WaveLimiterHint : 0
; COMPUTE_PGM_RSRC2:SCRATCH_EN: 0
; COMPUTE_PGM_RSRC2:USER_SGPR: 2
; COMPUTE_PGM_RSRC2:TRAP_HANDLER: 0
; COMPUTE_PGM_RSRC2:TGID_X_EN: 1
; COMPUTE_PGM_RSRC2:TGID_Y_EN: 0
; COMPUTE_PGM_RSRC2:TGID_Z_EN: 0
; COMPUTE_PGM_RSRC2:TIDIG_COMP_CNT: 0
	.section	.text._ZN7rocprim17ROCPRIM_400000_NS6detail17trampoline_kernelINS0_13select_configILj256ELj13ELNS0_17block_load_methodE3ELS4_3ELS4_3ELNS0_20block_scan_algorithmE0ELj4294967295EEENS1_25partition_config_selectorILNS1_17partition_subalgoE4EjNS0_10empty_typeEbEEZZNS1_14partition_implILS8_4ELb0ES6_15HIP_vector_typeIjLj2EENS0_17counting_iteratorIjlEEPS9_SG_NS0_5tupleIJPjSI_NS0_16reverse_iteratorISI_EEEEENSH_IJSG_SG_SG_EEES9_SI_JZNS1_25segmented_radix_sort_implINS0_14default_configELb0EPKfPfPKlPlN2at6native12_GLOBAL__N_18offset_tEEE10hipError_tPvRmT1_PNSt15iterator_traitsIS12_E10value_typeET2_T3_PNS13_IS18_E10value_typeET4_jRbjT5_S1E_jjP12ihipStream_tbEUljE_ZNSN_ISO_Lb0ESQ_SR_ST_SU_SY_EESZ_S10_S11_S12_S16_S17_S18_S1B_S1C_jS1D_jS1E_S1E_jjS1G_bEUljE0_EEESZ_S10_S11_S18_S1C_S1E_T6_T7_T9_mT8_S1G_bDpT10_ENKUlT_T0_E_clISt17integral_constantIbLb0EES1T_IbLb1EEEEDaS1P_S1Q_EUlS1P_E_NS1_11comp_targetILNS1_3genE9ELNS1_11target_archE1100ELNS1_3gpuE3ELNS1_3repE0EEENS1_30default_config_static_selectorELNS0_4arch9wavefront6targetE0EEEvS12_,"axG",@progbits,_ZN7rocprim17ROCPRIM_400000_NS6detail17trampoline_kernelINS0_13select_configILj256ELj13ELNS0_17block_load_methodE3ELS4_3ELS4_3ELNS0_20block_scan_algorithmE0ELj4294967295EEENS1_25partition_config_selectorILNS1_17partition_subalgoE4EjNS0_10empty_typeEbEEZZNS1_14partition_implILS8_4ELb0ES6_15HIP_vector_typeIjLj2EENS0_17counting_iteratorIjlEEPS9_SG_NS0_5tupleIJPjSI_NS0_16reverse_iteratorISI_EEEEENSH_IJSG_SG_SG_EEES9_SI_JZNS1_25segmented_radix_sort_implINS0_14default_configELb0EPKfPfPKlPlN2at6native12_GLOBAL__N_18offset_tEEE10hipError_tPvRmT1_PNSt15iterator_traitsIS12_E10value_typeET2_T3_PNS13_IS18_E10value_typeET4_jRbjT5_S1E_jjP12ihipStream_tbEUljE_ZNSN_ISO_Lb0ESQ_SR_ST_SU_SY_EESZ_S10_S11_S12_S16_S17_S18_S1B_S1C_jS1D_jS1E_S1E_jjS1G_bEUljE0_EEESZ_S10_S11_S18_S1C_S1E_T6_T7_T9_mT8_S1G_bDpT10_ENKUlT_T0_E_clISt17integral_constantIbLb0EES1T_IbLb1EEEEDaS1P_S1Q_EUlS1P_E_NS1_11comp_targetILNS1_3genE9ELNS1_11target_archE1100ELNS1_3gpuE3ELNS1_3repE0EEENS1_30default_config_static_selectorELNS0_4arch9wavefront6targetE0EEEvS12_,comdat
	.globl	_ZN7rocprim17ROCPRIM_400000_NS6detail17trampoline_kernelINS0_13select_configILj256ELj13ELNS0_17block_load_methodE3ELS4_3ELS4_3ELNS0_20block_scan_algorithmE0ELj4294967295EEENS1_25partition_config_selectorILNS1_17partition_subalgoE4EjNS0_10empty_typeEbEEZZNS1_14partition_implILS8_4ELb0ES6_15HIP_vector_typeIjLj2EENS0_17counting_iteratorIjlEEPS9_SG_NS0_5tupleIJPjSI_NS0_16reverse_iteratorISI_EEEEENSH_IJSG_SG_SG_EEES9_SI_JZNS1_25segmented_radix_sort_implINS0_14default_configELb0EPKfPfPKlPlN2at6native12_GLOBAL__N_18offset_tEEE10hipError_tPvRmT1_PNSt15iterator_traitsIS12_E10value_typeET2_T3_PNS13_IS18_E10value_typeET4_jRbjT5_S1E_jjP12ihipStream_tbEUljE_ZNSN_ISO_Lb0ESQ_SR_ST_SU_SY_EESZ_S10_S11_S12_S16_S17_S18_S1B_S1C_jS1D_jS1E_S1E_jjS1G_bEUljE0_EEESZ_S10_S11_S18_S1C_S1E_T6_T7_T9_mT8_S1G_bDpT10_ENKUlT_T0_E_clISt17integral_constantIbLb0EES1T_IbLb1EEEEDaS1P_S1Q_EUlS1P_E_NS1_11comp_targetILNS1_3genE9ELNS1_11target_archE1100ELNS1_3gpuE3ELNS1_3repE0EEENS1_30default_config_static_selectorELNS0_4arch9wavefront6targetE0EEEvS12_ ; -- Begin function _ZN7rocprim17ROCPRIM_400000_NS6detail17trampoline_kernelINS0_13select_configILj256ELj13ELNS0_17block_load_methodE3ELS4_3ELS4_3ELNS0_20block_scan_algorithmE0ELj4294967295EEENS1_25partition_config_selectorILNS1_17partition_subalgoE4EjNS0_10empty_typeEbEEZZNS1_14partition_implILS8_4ELb0ES6_15HIP_vector_typeIjLj2EENS0_17counting_iteratorIjlEEPS9_SG_NS0_5tupleIJPjSI_NS0_16reverse_iteratorISI_EEEEENSH_IJSG_SG_SG_EEES9_SI_JZNS1_25segmented_radix_sort_implINS0_14default_configELb0EPKfPfPKlPlN2at6native12_GLOBAL__N_18offset_tEEE10hipError_tPvRmT1_PNSt15iterator_traitsIS12_E10value_typeET2_T3_PNS13_IS18_E10value_typeET4_jRbjT5_S1E_jjP12ihipStream_tbEUljE_ZNSN_ISO_Lb0ESQ_SR_ST_SU_SY_EESZ_S10_S11_S12_S16_S17_S18_S1B_S1C_jS1D_jS1E_S1E_jjS1G_bEUljE0_EEESZ_S10_S11_S18_S1C_S1E_T6_T7_T9_mT8_S1G_bDpT10_ENKUlT_T0_E_clISt17integral_constantIbLb0EES1T_IbLb1EEEEDaS1P_S1Q_EUlS1P_E_NS1_11comp_targetILNS1_3genE9ELNS1_11target_archE1100ELNS1_3gpuE3ELNS1_3repE0EEENS1_30default_config_static_selectorELNS0_4arch9wavefront6targetE0EEEvS12_
	.p2align	8
	.type	_ZN7rocprim17ROCPRIM_400000_NS6detail17trampoline_kernelINS0_13select_configILj256ELj13ELNS0_17block_load_methodE3ELS4_3ELS4_3ELNS0_20block_scan_algorithmE0ELj4294967295EEENS1_25partition_config_selectorILNS1_17partition_subalgoE4EjNS0_10empty_typeEbEEZZNS1_14partition_implILS8_4ELb0ES6_15HIP_vector_typeIjLj2EENS0_17counting_iteratorIjlEEPS9_SG_NS0_5tupleIJPjSI_NS0_16reverse_iteratorISI_EEEEENSH_IJSG_SG_SG_EEES9_SI_JZNS1_25segmented_radix_sort_implINS0_14default_configELb0EPKfPfPKlPlN2at6native12_GLOBAL__N_18offset_tEEE10hipError_tPvRmT1_PNSt15iterator_traitsIS12_E10value_typeET2_T3_PNS13_IS18_E10value_typeET4_jRbjT5_S1E_jjP12ihipStream_tbEUljE_ZNSN_ISO_Lb0ESQ_SR_ST_SU_SY_EESZ_S10_S11_S12_S16_S17_S18_S1B_S1C_jS1D_jS1E_S1E_jjS1G_bEUljE0_EEESZ_S10_S11_S18_S1C_S1E_T6_T7_T9_mT8_S1G_bDpT10_ENKUlT_T0_E_clISt17integral_constantIbLb0EES1T_IbLb1EEEEDaS1P_S1Q_EUlS1P_E_NS1_11comp_targetILNS1_3genE9ELNS1_11target_archE1100ELNS1_3gpuE3ELNS1_3repE0EEENS1_30default_config_static_selectorELNS0_4arch9wavefront6targetE0EEEvS12_,@function
_ZN7rocprim17ROCPRIM_400000_NS6detail17trampoline_kernelINS0_13select_configILj256ELj13ELNS0_17block_load_methodE3ELS4_3ELS4_3ELNS0_20block_scan_algorithmE0ELj4294967295EEENS1_25partition_config_selectorILNS1_17partition_subalgoE4EjNS0_10empty_typeEbEEZZNS1_14partition_implILS8_4ELb0ES6_15HIP_vector_typeIjLj2EENS0_17counting_iteratorIjlEEPS9_SG_NS0_5tupleIJPjSI_NS0_16reverse_iteratorISI_EEEEENSH_IJSG_SG_SG_EEES9_SI_JZNS1_25segmented_radix_sort_implINS0_14default_configELb0EPKfPfPKlPlN2at6native12_GLOBAL__N_18offset_tEEE10hipError_tPvRmT1_PNSt15iterator_traitsIS12_E10value_typeET2_T3_PNS13_IS18_E10value_typeET4_jRbjT5_S1E_jjP12ihipStream_tbEUljE_ZNSN_ISO_Lb0ESQ_SR_ST_SU_SY_EESZ_S10_S11_S12_S16_S17_S18_S1B_S1C_jS1D_jS1E_S1E_jjS1G_bEUljE0_EEESZ_S10_S11_S18_S1C_S1E_T6_T7_T9_mT8_S1G_bDpT10_ENKUlT_T0_E_clISt17integral_constantIbLb0EES1T_IbLb1EEEEDaS1P_S1Q_EUlS1P_E_NS1_11comp_targetILNS1_3genE9ELNS1_11target_archE1100ELNS1_3gpuE3ELNS1_3repE0EEENS1_30default_config_static_selectorELNS0_4arch9wavefront6targetE0EEEvS12_: ; @_ZN7rocprim17ROCPRIM_400000_NS6detail17trampoline_kernelINS0_13select_configILj256ELj13ELNS0_17block_load_methodE3ELS4_3ELS4_3ELNS0_20block_scan_algorithmE0ELj4294967295EEENS1_25partition_config_selectorILNS1_17partition_subalgoE4EjNS0_10empty_typeEbEEZZNS1_14partition_implILS8_4ELb0ES6_15HIP_vector_typeIjLj2EENS0_17counting_iteratorIjlEEPS9_SG_NS0_5tupleIJPjSI_NS0_16reverse_iteratorISI_EEEEENSH_IJSG_SG_SG_EEES9_SI_JZNS1_25segmented_radix_sort_implINS0_14default_configELb0EPKfPfPKlPlN2at6native12_GLOBAL__N_18offset_tEEE10hipError_tPvRmT1_PNSt15iterator_traitsIS12_E10value_typeET2_T3_PNS13_IS18_E10value_typeET4_jRbjT5_S1E_jjP12ihipStream_tbEUljE_ZNSN_ISO_Lb0ESQ_SR_ST_SU_SY_EESZ_S10_S11_S12_S16_S17_S18_S1B_S1C_jS1D_jS1E_S1E_jjS1G_bEUljE0_EEESZ_S10_S11_S18_S1C_S1E_T6_T7_T9_mT8_S1G_bDpT10_ENKUlT_T0_E_clISt17integral_constantIbLb0EES1T_IbLb1EEEEDaS1P_S1Q_EUlS1P_E_NS1_11comp_targetILNS1_3genE9ELNS1_11target_archE1100ELNS1_3gpuE3ELNS1_3repE0EEENS1_30default_config_static_selectorELNS0_4arch9wavefront6targetE0EEEvS12_
; %bb.0:
	.section	.rodata,"a",@progbits
	.p2align	6, 0x0
	.amdhsa_kernel _ZN7rocprim17ROCPRIM_400000_NS6detail17trampoline_kernelINS0_13select_configILj256ELj13ELNS0_17block_load_methodE3ELS4_3ELS4_3ELNS0_20block_scan_algorithmE0ELj4294967295EEENS1_25partition_config_selectorILNS1_17partition_subalgoE4EjNS0_10empty_typeEbEEZZNS1_14partition_implILS8_4ELb0ES6_15HIP_vector_typeIjLj2EENS0_17counting_iteratorIjlEEPS9_SG_NS0_5tupleIJPjSI_NS0_16reverse_iteratorISI_EEEEENSH_IJSG_SG_SG_EEES9_SI_JZNS1_25segmented_radix_sort_implINS0_14default_configELb0EPKfPfPKlPlN2at6native12_GLOBAL__N_18offset_tEEE10hipError_tPvRmT1_PNSt15iterator_traitsIS12_E10value_typeET2_T3_PNS13_IS18_E10value_typeET4_jRbjT5_S1E_jjP12ihipStream_tbEUljE_ZNSN_ISO_Lb0ESQ_SR_ST_SU_SY_EESZ_S10_S11_S12_S16_S17_S18_S1B_S1C_jS1D_jS1E_S1E_jjS1G_bEUljE0_EEESZ_S10_S11_S18_S1C_S1E_T6_T7_T9_mT8_S1G_bDpT10_ENKUlT_T0_E_clISt17integral_constantIbLb0EES1T_IbLb1EEEEDaS1P_S1Q_EUlS1P_E_NS1_11comp_targetILNS1_3genE9ELNS1_11target_archE1100ELNS1_3gpuE3ELNS1_3repE0EEENS1_30default_config_static_selectorELNS0_4arch9wavefront6targetE0EEEvS12_
		.amdhsa_group_segment_fixed_size 0
		.amdhsa_private_segment_fixed_size 0
		.amdhsa_kernarg_size 184
		.amdhsa_user_sgpr_count 2
		.amdhsa_user_sgpr_dispatch_ptr 0
		.amdhsa_user_sgpr_queue_ptr 0
		.amdhsa_user_sgpr_kernarg_segment_ptr 1
		.amdhsa_user_sgpr_dispatch_id 0
		.amdhsa_user_sgpr_kernarg_preload_length 0
		.amdhsa_user_sgpr_kernarg_preload_offset 0
		.amdhsa_user_sgpr_private_segment_size 0
		.amdhsa_wavefront_size32 1
		.amdhsa_uses_dynamic_stack 0
		.amdhsa_enable_private_segment 0
		.amdhsa_system_sgpr_workgroup_id_x 1
		.amdhsa_system_sgpr_workgroup_id_y 0
		.amdhsa_system_sgpr_workgroup_id_z 0
		.amdhsa_system_sgpr_workgroup_info 0
		.amdhsa_system_vgpr_workitem_id 0
		.amdhsa_next_free_vgpr 1
		.amdhsa_next_free_sgpr 1
		.amdhsa_named_barrier_count 0
		.amdhsa_reserve_vcc 0
		.amdhsa_float_round_mode_32 0
		.amdhsa_float_round_mode_16_64 0
		.amdhsa_float_denorm_mode_32 3
		.amdhsa_float_denorm_mode_16_64 3
		.amdhsa_fp16_overflow 0
		.amdhsa_memory_ordered 1
		.amdhsa_forward_progress 1
		.amdhsa_inst_pref_size 0
		.amdhsa_round_robin_scheduling 0
		.amdhsa_exception_fp_ieee_invalid_op 0
		.amdhsa_exception_fp_denorm_src 0
		.amdhsa_exception_fp_ieee_div_zero 0
		.amdhsa_exception_fp_ieee_overflow 0
		.amdhsa_exception_fp_ieee_underflow 0
		.amdhsa_exception_fp_ieee_inexact 0
		.amdhsa_exception_int_div_zero 0
	.end_amdhsa_kernel
	.section	.text._ZN7rocprim17ROCPRIM_400000_NS6detail17trampoline_kernelINS0_13select_configILj256ELj13ELNS0_17block_load_methodE3ELS4_3ELS4_3ELNS0_20block_scan_algorithmE0ELj4294967295EEENS1_25partition_config_selectorILNS1_17partition_subalgoE4EjNS0_10empty_typeEbEEZZNS1_14partition_implILS8_4ELb0ES6_15HIP_vector_typeIjLj2EENS0_17counting_iteratorIjlEEPS9_SG_NS0_5tupleIJPjSI_NS0_16reverse_iteratorISI_EEEEENSH_IJSG_SG_SG_EEES9_SI_JZNS1_25segmented_radix_sort_implINS0_14default_configELb0EPKfPfPKlPlN2at6native12_GLOBAL__N_18offset_tEEE10hipError_tPvRmT1_PNSt15iterator_traitsIS12_E10value_typeET2_T3_PNS13_IS18_E10value_typeET4_jRbjT5_S1E_jjP12ihipStream_tbEUljE_ZNSN_ISO_Lb0ESQ_SR_ST_SU_SY_EESZ_S10_S11_S12_S16_S17_S18_S1B_S1C_jS1D_jS1E_S1E_jjS1G_bEUljE0_EEESZ_S10_S11_S18_S1C_S1E_T6_T7_T9_mT8_S1G_bDpT10_ENKUlT_T0_E_clISt17integral_constantIbLb0EES1T_IbLb1EEEEDaS1P_S1Q_EUlS1P_E_NS1_11comp_targetILNS1_3genE9ELNS1_11target_archE1100ELNS1_3gpuE3ELNS1_3repE0EEENS1_30default_config_static_selectorELNS0_4arch9wavefront6targetE0EEEvS12_,"axG",@progbits,_ZN7rocprim17ROCPRIM_400000_NS6detail17trampoline_kernelINS0_13select_configILj256ELj13ELNS0_17block_load_methodE3ELS4_3ELS4_3ELNS0_20block_scan_algorithmE0ELj4294967295EEENS1_25partition_config_selectorILNS1_17partition_subalgoE4EjNS0_10empty_typeEbEEZZNS1_14partition_implILS8_4ELb0ES6_15HIP_vector_typeIjLj2EENS0_17counting_iteratorIjlEEPS9_SG_NS0_5tupleIJPjSI_NS0_16reverse_iteratorISI_EEEEENSH_IJSG_SG_SG_EEES9_SI_JZNS1_25segmented_radix_sort_implINS0_14default_configELb0EPKfPfPKlPlN2at6native12_GLOBAL__N_18offset_tEEE10hipError_tPvRmT1_PNSt15iterator_traitsIS12_E10value_typeET2_T3_PNS13_IS18_E10value_typeET4_jRbjT5_S1E_jjP12ihipStream_tbEUljE_ZNSN_ISO_Lb0ESQ_SR_ST_SU_SY_EESZ_S10_S11_S12_S16_S17_S18_S1B_S1C_jS1D_jS1E_S1E_jjS1G_bEUljE0_EEESZ_S10_S11_S18_S1C_S1E_T6_T7_T9_mT8_S1G_bDpT10_ENKUlT_T0_E_clISt17integral_constantIbLb0EES1T_IbLb1EEEEDaS1P_S1Q_EUlS1P_E_NS1_11comp_targetILNS1_3genE9ELNS1_11target_archE1100ELNS1_3gpuE3ELNS1_3repE0EEENS1_30default_config_static_selectorELNS0_4arch9wavefront6targetE0EEEvS12_,comdat
.Lfunc_end1387:
	.size	_ZN7rocprim17ROCPRIM_400000_NS6detail17trampoline_kernelINS0_13select_configILj256ELj13ELNS0_17block_load_methodE3ELS4_3ELS4_3ELNS0_20block_scan_algorithmE0ELj4294967295EEENS1_25partition_config_selectorILNS1_17partition_subalgoE4EjNS0_10empty_typeEbEEZZNS1_14partition_implILS8_4ELb0ES6_15HIP_vector_typeIjLj2EENS0_17counting_iteratorIjlEEPS9_SG_NS0_5tupleIJPjSI_NS0_16reverse_iteratorISI_EEEEENSH_IJSG_SG_SG_EEES9_SI_JZNS1_25segmented_radix_sort_implINS0_14default_configELb0EPKfPfPKlPlN2at6native12_GLOBAL__N_18offset_tEEE10hipError_tPvRmT1_PNSt15iterator_traitsIS12_E10value_typeET2_T3_PNS13_IS18_E10value_typeET4_jRbjT5_S1E_jjP12ihipStream_tbEUljE_ZNSN_ISO_Lb0ESQ_SR_ST_SU_SY_EESZ_S10_S11_S12_S16_S17_S18_S1B_S1C_jS1D_jS1E_S1E_jjS1G_bEUljE0_EEESZ_S10_S11_S18_S1C_S1E_T6_T7_T9_mT8_S1G_bDpT10_ENKUlT_T0_E_clISt17integral_constantIbLb0EES1T_IbLb1EEEEDaS1P_S1Q_EUlS1P_E_NS1_11comp_targetILNS1_3genE9ELNS1_11target_archE1100ELNS1_3gpuE3ELNS1_3repE0EEENS1_30default_config_static_selectorELNS0_4arch9wavefront6targetE0EEEvS12_, .Lfunc_end1387-_ZN7rocprim17ROCPRIM_400000_NS6detail17trampoline_kernelINS0_13select_configILj256ELj13ELNS0_17block_load_methodE3ELS4_3ELS4_3ELNS0_20block_scan_algorithmE0ELj4294967295EEENS1_25partition_config_selectorILNS1_17partition_subalgoE4EjNS0_10empty_typeEbEEZZNS1_14partition_implILS8_4ELb0ES6_15HIP_vector_typeIjLj2EENS0_17counting_iteratorIjlEEPS9_SG_NS0_5tupleIJPjSI_NS0_16reverse_iteratorISI_EEEEENSH_IJSG_SG_SG_EEES9_SI_JZNS1_25segmented_radix_sort_implINS0_14default_configELb0EPKfPfPKlPlN2at6native12_GLOBAL__N_18offset_tEEE10hipError_tPvRmT1_PNSt15iterator_traitsIS12_E10value_typeET2_T3_PNS13_IS18_E10value_typeET4_jRbjT5_S1E_jjP12ihipStream_tbEUljE_ZNSN_ISO_Lb0ESQ_SR_ST_SU_SY_EESZ_S10_S11_S12_S16_S17_S18_S1B_S1C_jS1D_jS1E_S1E_jjS1G_bEUljE0_EEESZ_S10_S11_S18_S1C_S1E_T6_T7_T9_mT8_S1G_bDpT10_ENKUlT_T0_E_clISt17integral_constantIbLb0EES1T_IbLb1EEEEDaS1P_S1Q_EUlS1P_E_NS1_11comp_targetILNS1_3genE9ELNS1_11target_archE1100ELNS1_3gpuE3ELNS1_3repE0EEENS1_30default_config_static_selectorELNS0_4arch9wavefront6targetE0EEEvS12_
                                        ; -- End function
	.set _ZN7rocprim17ROCPRIM_400000_NS6detail17trampoline_kernelINS0_13select_configILj256ELj13ELNS0_17block_load_methodE3ELS4_3ELS4_3ELNS0_20block_scan_algorithmE0ELj4294967295EEENS1_25partition_config_selectorILNS1_17partition_subalgoE4EjNS0_10empty_typeEbEEZZNS1_14partition_implILS8_4ELb0ES6_15HIP_vector_typeIjLj2EENS0_17counting_iteratorIjlEEPS9_SG_NS0_5tupleIJPjSI_NS0_16reverse_iteratorISI_EEEEENSH_IJSG_SG_SG_EEES9_SI_JZNS1_25segmented_radix_sort_implINS0_14default_configELb0EPKfPfPKlPlN2at6native12_GLOBAL__N_18offset_tEEE10hipError_tPvRmT1_PNSt15iterator_traitsIS12_E10value_typeET2_T3_PNS13_IS18_E10value_typeET4_jRbjT5_S1E_jjP12ihipStream_tbEUljE_ZNSN_ISO_Lb0ESQ_SR_ST_SU_SY_EESZ_S10_S11_S12_S16_S17_S18_S1B_S1C_jS1D_jS1E_S1E_jjS1G_bEUljE0_EEESZ_S10_S11_S18_S1C_S1E_T6_T7_T9_mT8_S1G_bDpT10_ENKUlT_T0_E_clISt17integral_constantIbLb0EES1T_IbLb1EEEEDaS1P_S1Q_EUlS1P_E_NS1_11comp_targetILNS1_3genE9ELNS1_11target_archE1100ELNS1_3gpuE3ELNS1_3repE0EEENS1_30default_config_static_selectorELNS0_4arch9wavefront6targetE0EEEvS12_.num_vgpr, 0
	.set _ZN7rocprim17ROCPRIM_400000_NS6detail17trampoline_kernelINS0_13select_configILj256ELj13ELNS0_17block_load_methodE3ELS4_3ELS4_3ELNS0_20block_scan_algorithmE0ELj4294967295EEENS1_25partition_config_selectorILNS1_17partition_subalgoE4EjNS0_10empty_typeEbEEZZNS1_14partition_implILS8_4ELb0ES6_15HIP_vector_typeIjLj2EENS0_17counting_iteratorIjlEEPS9_SG_NS0_5tupleIJPjSI_NS0_16reverse_iteratorISI_EEEEENSH_IJSG_SG_SG_EEES9_SI_JZNS1_25segmented_radix_sort_implINS0_14default_configELb0EPKfPfPKlPlN2at6native12_GLOBAL__N_18offset_tEEE10hipError_tPvRmT1_PNSt15iterator_traitsIS12_E10value_typeET2_T3_PNS13_IS18_E10value_typeET4_jRbjT5_S1E_jjP12ihipStream_tbEUljE_ZNSN_ISO_Lb0ESQ_SR_ST_SU_SY_EESZ_S10_S11_S12_S16_S17_S18_S1B_S1C_jS1D_jS1E_S1E_jjS1G_bEUljE0_EEESZ_S10_S11_S18_S1C_S1E_T6_T7_T9_mT8_S1G_bDpT10_ENKUlT_T0_E_clISt17integral_constantIbLb0EES1T_IbLb1EEEEDaS1P_S1Q_EUlS1P_E_NS1_11comp_targetILNS1_3genE9ELNS1_11target_archE1100ELNS1_3gpuE3ELNS1_3repE0EEENS1_30default_config_static_selectorELNS0_4arch9wavefront6targetE0EEEvS12_.num_agpr, 0
	.set _ZN7rocprim17ROCPRIM_400000_NS6detail17trampoline_kernelINS0_13select_configILj256ELj13ELNS0_17block_load_methodE3ELS4_3ELS4_3ELNS0_20block_scan_algorithmE0ELj4294967295EEENS1_25partition_config_selectorILNS1_17partition_subalgoE4EjNS0_10empty_typeEbEEZZNS1_14partition_implILS8_4ELb0ES6_15HIP_vector_typeIjLj2EENS0_17counting_iteratorIjlEEPS9_SG_NS0_5tupleIJPjSI_NS0_16reverse_iteratorISI_EEEEENSH_IJSG_SG_SG_EEES9_SI_JZNS1_25segmented_radix_sort_implINS0_14default_configELb0EPKfPfPKlPlN2at6native12_GLOBAL__N_18offset_tEEE10hipError_tPvRmT1_PNSt15iterator_traitsIS12_E10value_typeET2_T3_PNS13_IS18_E10value_typeET4_jRbjT5_S1E_jjP12ihipStream_tbEUljE_ZNSN_ISO_Lb0ESQ_SR_ST_SU_SY_EESZ_S10_S11_S12_S16_S17_S18_S1B_S1C_jS1D_jS1E_S1E_jjS1G_bEUljE0_EEESZ_S10_S11_S18_S1C_S1E_T6_T7_T9_mT8_S1G_bDpT10_ENKUlT_T0_E_clISt17integral_constantIbLb0EES1T_IbLb1EEEEDaS1P_S1Q_EUlS1P_E_NS1_11comp_targetILNS1_3genE9ELNS1_11target_archE1100ELNS1_3gpuE3ELNS1_3repE0EEENS1_30default_config_static_selectorELNS0_4arch9wavefront6targetE0EEEvS12_.numbered_sgpr, 0
	.set _ZN7rocprim17ROCPRIM_400000_NS6detail17trampoline_kernelINS0_13select_configILj256ELj13ELNS0_17block_load_methodE3ELS4_3ELS4_3ELNS0_20block_scan_algorithmE0ELj4294967295EEENS1_25partition_config_selectorILNS1_17partition_subalgoE4EjNS0_10empty_typeEbEEZZNS1_14partition_implILS8_4ELb0ES6_15HIP_vector_typeIjLj2EENS0_17counting_iteratorIjlEEPS9_SG_NS0_5tupleIJPjSI_NS0_16reverse_iteratorISI_EEEEENSH_IJSG_SG_SG_EEES9_SI_JZNS1_25segmented_radix_sort_implINS0_14default_configELb0EPKfPfPKlPlN2at6native12_GLOBAL__N_18offset_tEEE10hipError_tPvRmT1_PNSt15iterator_traitsIS12_E10value_typeET2_T3_PNS13_IS18_E10value_typeET4_jRbjT5_S1E_jjP12ihipStream_tbEUljE_ZNSN_ISO_Lb0ESQ_SR_ST_SU_SY_EESZ_S10_S11_S12_S16_S17_S18_S1B_S1C_jS1D_jS1E_S1E_jjS1G_bEUljE0_EEESZ_S10_S11_S18_S1C_S1E_T6_T7_T9_mT8_S1G_bDpT10_ENKUlT_T0_E_clISt17integral_constantIbLb0EES1T_IbLb1EEEEDaS1P_S1Q_EUlS1P_E_NS1_11comp_targetILNS1_3genE9ELNS1_11target_archE1100ELNS1_3gpuE3ELNS1_3repE0EEENS1_30default_config_static_selectorELNS0_4arch9wavefront6targetE0EEEvS12_.num_named_barrier, 0
	.set _ZN7rocprim17ROCPRIM_400000_NS6detail17trampoline_kernelINS0_13select_configILj256ELj13ELNS0_17block_load_methodE3ELS4_3ELS4_3ELNS0_20block_scan_algorithmE0ELj4294967295EEENS1_25partition_config_selectorILNS1_17partition_subalgoE4EjNS0_10empty_typeEbEEZZNS1_14partition_implILS8_4ELb0ES6_15HIP_vector_typeIjLj2EENS0_17counting_iteratorIjlEEPS9_SG_NS0_5tupleIJPjSI_NS0_16reverse_iteratorISI_EEEEENSH_IJSG_SG_SG_EEES9_SI_JZNS1_25segmented_radix_sort_implINS0_14default_configELb0EPKfPfPKlPlN2at6native12_GLOBAL__N_18offset_tEEE10hipError_tPvRmT1_PNSt15iterator_traitsIS12_E10value_typeET2_T3_PNS13_IS18_E10value_typeET4_jRbjT5_S1E_jjP12ihipStream_tbEUljE_ZNSN_ISO_Lb0ESQ_SR_ST_SU_SY_EESZ_S10_S11_S12_S16_S17_S18_S1B_S1C_jS1D_jS1E_S1E_jjS1G_bEUljE0_EEESZ_S10_S11_S18_S1C_S1E_T6_T7_T9_mT8_S1G_bDpT10_ENKUlT_T0_E_clISt17integral_constantIbLb0EES1T_IbLb1EEEEDaS1P_S1Q_EUlS1P_E_NS1_11comp_targetILNS1_3genE9ELNS1_11target_archE1100ELNS1_3gpuE3ELNS1_3repE0EEENS1_30default_config_static_selectorELNS0_4arch9wavefront6targetE0EEEvS12_.private_seg_size, 0
	.set _ZN7rocprim17ROCPRIM_400000_NS6detail17trampoline_kernelINS0_13select_configILj256ELj13ELNS0_17block_load_methodE3ELS4_3ELS4_3ELNS0_20block_scan_algorithmE0ELj4294967295EEENS1_25partition_config_selectorILNS1_17partition_subalgoE4EjNS0_10empty_typeEbEEZZNS1_14partition_implILS8_4ELb0ES6_15HIP_vector_typeIjLj2EENS0_17counting_iteratorIjlEEPS9_SG_NS0_5tupleIJPjSI_NS0_16reverse_iteratorISI_EEEEENSH_IJSG_SG_SG_EEES9_SI_JZNS1_25segmented_radix_sort_implINS0_14default_configELb0EPKfPfPKlPlN2at6native12_GLOBAL__N_18offset_tEEE10hipError_tPvRmT1_PNSt15iterator_traitsIS12_E10value_typeET2_T3_PNS13_IS18_E10value_typeET4_jRbjT5_S1E_jjP12ihipStream_tbEUljE_ZNSN_ISO_Lb0ESQ_SR_ST_SU_SY_EESZ_S10_S11_S12_S16_S17_S18_S1B_S1C_jS1D_jS1E_S1E_jjS1G_bEUljE0_EEESZ_S10_S11_S18_S1C_S1E_T6_T7_T9_mT8_S1G_bDpT10_ENKUlT_T0_E_clISt17integral_constantIbLb0EES1T_IbLb1EEEEDaS1P_S1Q_EUlS1P_E_NS1_11comp_targetILNS1_3genE9ELNS1_11target_archE1100ELNS1_3gpuE3ELNS1_3repE0EEENS1_30default_config_static_selectorELNS0_4arch9wavefront6targetE0EEEvS12_.uses_vcc, 0
	.set _ZN7rocprim17ROCPRIM_400000_NS6detail17trampoline_kernelINS0_13select_configILj256ELj13ELNS0_17block_load_methodE3ELS4_3ELS4_3ELNS0_20block_scan_algorithmE0ELj4294967295EEENS1_25partition_config_selectorILNS1_17partition_subalgoE4EjNS0_10empty_typeEbEEZZNS1_14partition_implILS8_4ELb0ES6_15HIP_vector_typeIjLj2EENS0_17counting_iteratorIjlEEPS9_SG_NS0_5tupleIJPjSI_NS0_16reverse_iteratorISI_EEEEENSH_IJSG_SG_SG_EEES9_SI_JZNS1_25segmented_radix_sort_implINS0_14default_configELb0EPKfPfPKlPlN2at6native12_GLOBAL__N_18offset_tEEE10hipError_tPvRmT1_PNSt15iterator_traitsIS12_E10value_typeET2_T3_PNS13_IS18_E10value_typeET4_jRbjT5_S1E_jjP12ihipStream_tbEUljE_ZNSN_ISO_Lb0ESQ_SR_ST_SU_SY_EESZ_S10_S11_S12_S16_S17_S18_S1B_S1C_jS1D_jS1E_S1E_jjS1G_bEUljE0_EEESZ_S10_S11_S18_S1C_S1E_T6_T7_T9_mT8_S1G_bDpT10_ENKUlT_T0_E_clISt17integral_constantIbLb0EES1T_IbLb1EEEEDaS1P_S1Q_EUlS1P_E_NS1_11comp_targetILNS1_3genE9ELNS1_11target_archE1100ELNS1_3gpuE3ELNS1_3repE0EEENS1_30default_config_static_selectorELNS0_4arch9wavefront6targetE0EEEvS12_.uses_flat_scratch, 0
	.set _ZN7rocprim17ROCPRIM_400000_NS6detail17trampoline_kernelINS0_13select_configILj256ELj13ELNS0_17block_load_methodE3ELS4_3ELS4_3ELNS0_20block_scan_algorithmE0ELj4294967295EEENS1_25partition_config_selectorILNS1_17partition_subalgoE4EjNS0_10empty_typeEbEEZZNS1_14partition_implILS8_4ELb0ES6_15HIP_vector_typeIjLj2EENS0_17counting_iteratorIjlEEPS9_SG_NS0_5tupleIJPjSI_NS0_16reverse_iteratorISI_EEEEENSH_IJSG_SG_SG_EEES9_SI_JZNS1_25segmented_radix_sort_implINS0_14default_configELb0EPKfPfPKlPlN2at6native12_GLOBAL__N_18offset_tEEE10hipError_tPvRmT1_PNSt15iterator_traitsIS12_E10value_typeET2_T3_PNS13_IS18_E10value_typeET4_jRbjT5_S1E_jjP12ihipStream_tbEUljE_ZNSN_ISO_Lb0ESQ_SR_ST_SU_SY_EESZ_S10_S11_S12_S16_S17_S18_S1B_S1C_jS1D_jS1E_S1E_jjS1G_bEUljE0_EEESZ_S10_S11_S18_S1C_S1E_T6_T7_T9_mT8_S1G_bDpT10_ENKUlT_T0_E_clISt17integral_constantIbLb0EES1T_IbLb1EEEEDaS1P_S1Q_EUlS1P_E_NS1_11comp_targetILNS1_3genE9ELNS1_11target_archE1100ELNS1_3gpuE3ELNS1_3repE0EEENS1_30default_config_static_selectorELNS0_4arch9wavefront6targetE0EEEvS12_.has_dyn_sized_stack, 0
	.set _ZN7rocprim17ROCPRIM_400000_NS6detail17trampoline_kernelINS0_13select_configILj256ELj13ELNS0_17block_load_methodE3ELS4_3ELS4_3ELNS0_20block_scan_algorithmE0ELj4294967295EEENS1_25partition_config_selectorILNS1_17partition_subalgoE4EjNS0_10empty_typeEbEEZZNS1_14partition_implILS8_4ELb0ES6_15HIP_vector_typeIjLj2EENS0_17counting_iteratorIjlEEPS9_SG_NS0_5tupleIJPjSI_NS0_16reverse_iteratorISI_EEEEENSH_IJSG_SG_SG_EEES9_SI_JZNS1_25segmented_radix_sort_implINS0_14default_configELb0EPKfPfPKlPlN2at6native12_GLOBAL__N_18offset_tEEE10hipError_tPvRmT1_PNSt15iterator_traitsIS12_E10value_typeET2_T3_PNS13_IS18_E10value_typeET4_jRbjT5_S1E_jjP12ihipStream_tbEUljE_ZNSN_ISO_Lb0ESQ_SR_ST_SU_SY_EESZ_S10_S11_S12_S16_S17_S18_S1B_S1C_jS1D_jS1E_S1E_jjS1G_bEUljE0_EEESZ_S10_S11_S18_S1C_S1E_T6_T7_T9_mT8_S1G_bDpT10_ENKUlT_T0_E_clISt17integral_constantIbLb0EES1T_IbLb1EEEEDaS1P_S1Q_EUlS1P_E_NS1_11comp_targetILNS1_3genE9ELNS1_11target_archE1100ELNS1_3gpuE3ELNS1_3repE0EEENS1_30default_config_static_selectorELNS0_4arch9wavefront6targetE0EEEvS12_.has_recursion, 0
	.set _ZN7rocprim17ROCPRIM_400000_NS6detail17trampoline_kernelINS0_13select_configILj256ELj13ELNS0_17block_load_methodE3ELS4_3ELS4_3ELNS0_20block_scan_algorithmE0ELj4294967295EEENS1_25partition_config_selectorILNS1_17partition_subalgoE4EjNS0_10empty_typeEbEEZZNS1_14partition_implILS8_4ELb0ES6_15HIP_vector_typeIjLj2EENS0_17counting_iteratorIjlEEPS9_SG_NS0_5tupleIJPjSI_NS0_16reverse_iteratorISI_EEEEENSH_IJSG_SG_SG_EEES9_SI_JZNS1_25segmented_radix_sort_implINS0_14default_configELb0EPKfPfPKlPlN2at6native12_GLOBAL__N_18offset_tEEE10hipError_tPvRmT1_PNSt15iterator_traitsIS12_E10value_typeET2_T3_PNS13_IS18_E10value_typeET4_jRbjT5_S1E_jjP12ihipStream_tbEUljE_ZNSN_ISO_Lb0ESQ_SR_ST_SU_SY_EESZ_S10_S11_S12_S16_S17_S18_S1B_S1C_jS1D_jS1E_S1E_jjS1G_bEUljE0_EEESZ_S10_S11_S18_S1C_S1E_T6_T7_T9_mT8_S1G_bDpT10_ENKUlT_T0_E_clISt17integral_constantIbLb0EES1T_IbLb1EEEEDaS1P_S1Q_EUlS1P_E_NS1_11comp_targetILNS1_3genE9ELNS1_11target_archE1100ELNS1_3gpuE3ELNS1_3repE0EEENS1_30default_config_static_selectorELNS0_4arch9wavefront6targetE0EEEvS12_.has_indirect_call, 0
	.section	.AMDGPU.csdata,"",@progbits
; Kernel info:
; codeLenInByte = 0
; TotalNumSgprs: 0
; NumVgprs: 0
; ScratchSize: 0
; MemoryBound: 0
; FloatMode: 240
; IeeeMode: 1
; LDSByteSize: 0 bytes/workgroup (compile time only)
; SGPRBlocks: 0
; VGPRBlocks: 0
; NumSGPRsForWavesPerEU: 1
; NumVGPRsForWavesPerEU: 1
; NamedBarCnt: 0
; Occupancy: 16
; WaveLimiterHint : 0
; COMPUTE_PGM_RSRC2:SCRATCH_EN: 0
; COMPUTE_PGM_RSRC2:USER_SGPR: 2
; COMPUTE_PGM_RSRC2:TRAP_HANDLER: 0
; COMPUTE_PGM_RSRC2:TGID_X_EN: 1
; COMPUTE_PGM_RSRC2:TGID_Y_EN: 0
; COMPUTE_PGM_RSRC2:TGID_Z_EN: 0
; COMPUTE_PGM_RSRC2:TIDIG_COMP_CNT: 0
	.section	.text._ZN7rocprim17ROCPRIM_400000_NS6detail17trampoline_kernelINS0_13select_configILj256ELj13ELNS0_17block_load_methodE3ELS4_3ELS4_3ELNS0_20block_scan_algorithmE0ELj4294967295EEENS1_25partition_config_selectorILNS1_17partition_subalgoE4EjNS0_10empty_typeEbEEZZNS1_14partition_implILS8_4ELb0ES6_15HIP_vector_typeIjLj2EENS0_17counting_iteratorIjlEEPS9_SG_NS0_5tupleIJPjSI_NS0_16reverse_iteratorISI_EEEEENSH_IJSG_SG_SG_EEES9_SI_JZNS1_25segmented_radix_sort_implINS0_14default_configELb0EPKfPfPKlPlN2at6native12_GLOBAL__N_18offset_tEEE10hipError_tPvRmT1_PNSt15iterator_traitsIS12_E10value_typeET2_T3_PNS13_IS18_E10value_typeET4_jRbjT5_S1E_jjP12ihipStream_tbEUljE_ZNSN_ISO_Lb0ESQ_SR_ST_SU_SY_EESZ_S10_S11_S12_S16_S17_S18_S1B_S1C_jS1D_jS1E_S1E_jjS1G_bEUljE0_EEESZ_S10_S11_S18_S1C_S1E_T6_T7_T9_mT8_S1G_bDpT10_ENKUlT_T0_E_clISt17integral_constantIbLb0EES1T_IbLb1EEEEDaS1P_S1Q_EUlS1P_E_NS1_11comp_targetILNS1_3genE8ELNS1_11target_archE1030ELNS1_3gpuE2ELNS1_3repE0EEENS1_30default_config_static_selectorELNS0_4arch9wavefront6targetE0EEEvS12_,"axG",@progbits,_ZN7rocprim17ROCPRIM_400000_NS6detail17trampoline_kernelINS0_13select_configILj256ELj13ELNS0_17block_load_methodE3ELS4_3ELS4_3ELNS0_20block_scan_algorithmE0ELj4294967295EEENS1_25partition_config_selectorILNS1_17partition_subalgoE4EjNS0_10empty_typeEbEEZZNS1_14partition_implILS8_4ELb0ES6_15HIP_vector_typeIjLj2EENS0_17counting_iteratorIjlEEPS9_SG_NS0_5tupleIJPjSI_NS0_16reverse_iteratorISI_EEEEENSH_IJSG_SG_SG_EEES9_SI_JZNS1_25segmented_radix_sort_implINS0_14default_configELb0EPKfPfPKlPlN2at6native12_GLOBAL__N_18offset_tEEE10hipError_tPvRmT1_PNSt15iterator_traitsIS12_E10value_typeET2_T3_PNS13_IS18_E10value_typeET4_jRbjT5_S1E_jjP12ihipStream_tbEUljE_ZNSN_ISO_Lb0ESQ_SR_ST_SU_SY_EESZ_S10_S11_S12_S16_S17_S18_S1B_S1C_jS1D_jS1E_S1E_jjS1G_bEUljE0_EEESZ_S10_S11_S18_S1C_S1E_T6_T7_T9_mT8_S1G_bDpT10_ENKUlT_T0_E_clISt17integral_constantIbLb0EES1T_IbLb1EEEEDaS1P_S1Q_EUlS1P_E_NS1_11comp_targetILNS1_3genE8ELNS1_11target_archE1030ELNS1_3gpuE2ELNS1_3repE0EEENS1_30default_config_static_selectorELNS0_4arch9wavefront6targetE0EEEvS12_,comdat
	.globl	_ZN7rocprim17ROCPRIM_400000_NS6detail17trampoline_kernelINS0_13select_configILj256ELj13ELNS0_17block_load_methodE3ELS4_3ELS4_3ELNS0_20block_scan_algorithmE0ELj4294967295EEENS1_25partition_config_selectorILNS1_17partition_subalgoE4EjNS0_10empty_typeEbEEZZNS1_14partition_implILS8_4ELb0ES6_15HIP_vector_typeIjLj2EENS0_17counting_iteratorIjlEEPS9_SG_NS0_5tupleIJPjSI_NS0_16reverse_iteratorISI_EEEEENSH_IJSG_SG_SG_EEES9_SI_JZNS1_25segmented_radix_sort_implINS0_14default_configELb0EPKfPfPKlPlN2at6native12_GLOBAL__N_18offset_tEEE10hipError_tPvRmT1_PNSt15iterator_traitsIS12_E10value_typeET2_T3_PNS13_IS18_E10value_typeET4_jRbjT5_S1E_jjP12ihipStream_tbEUljE_ZNSN_ISO_Lb0ESQ_SR_ST_SU_SY_EESZ_S10_S11_S12_S16_S17_S18_S1B_S1C_jS1D_jS1E_S1E_jjS1G_bEUljE0_EEESZ_S10_S11_S18_S1C_S1E_T6_T7_T9_mT8_S1G_bDpT10_ENKUlT_T0_E_clISt17integral_constantIbLb0EES1T_IbLb1EEEEDaS1P_S1Q_EUlS1P_E_NS1_11comp_targetILNS1_3genE8ELNS1_11target_archE1030ELNS1_3gpuE2ELNS1_3repE0EEENS1_30default_config_static_selectorELNS0_4arch9wavefront6targetE0EEEvS12_ ; -- Begin function _ZN7rocprim17ROCPRIM_400000_NS6detail17trampoline_kernelINS0_13select_configILj256ELj13ELNS0_17block_load_methodE3ELS4_3ELS4_3ELNS0_20block_scan_algorithmE0ELj4294967295EEENS1_25partition_config_selectorILNS1_17partition_subalgoE4EjNS0_10empty_typeEbEEZZNS1_14partition_implILS8_4ELb0ES6_15HIP_vector_typeIjLj2EENS0_17counting_iteratorIjlEEPS9_SG_NS0_5tupleIJPjSI_NS0_16reverse_iteratorISI_EEEEENSH_IJSG_SG_SG_EEES9_SI_JZNS1_25segmented_radix_sort_implINS0_14default_configELb0EPKfPfPKlPlN2at6native12_GLOBAL__N_18offset_tEEE10hipError_tPvRmT1_PNSt15iterator_traitsIS12_E10value_typeET2_T3_PNS13_IS18_E10value_typeET4_jRbjT5_S1E_jjP12ihipStream_tbEUljE_ZNSN_ISO_Lb0ESQ_SR_ST_SU_SY_EESZ_S10_S11_S12_S16_S17_S18_S1B_S1C_jS1D_jS1E_S1E_jjS1G_bEUljE0_EEESZ_S10_S11_S18_S1C_S1E_T6_T7_T9_mT8_S1G_bDpT10_ENKUlT_T0_E_clISt17integral_constantIbLb0EES1T_IbLb1EEEEDaS1P_S1Q_EUlS1P_E_NS1_11comp_targetILNS1_3genE8ELNS1_11target_archE1030ELNS1_3gpuE2ELNS1_3repE0EEENS1_30default_config_static_selectorELNS0_4arch9wavefront6targetE0EEEvS12_
	.p2align	8
	.type	_ZN7rocprim17ROCPRIM_400000_NS6detail17trampoline_kernelINS0_13select_configILj256ELj13ELNS0_17block_load_methodE3ELS4_3ELS4_3ELNS0_20block_scan_algorithmE0ELj4294967295EEENS1_25partition_config_selectorILNS1_17partition_subalgoE4EjNS0_10empty_typeEbEEZZNS1_14partition_implILS8_4ELb0ES6_15HIP_vector_typeIjLj2EENS0_17counting_iteratorIjlEEPS9_SG_NS0_5tupleIJPjSI_NS0_16reverse_iteratorISI_EEEEENSH_IJSG_SG_SG_EEES9_SI_JZNS1_25segmented_radix_sort_implINS0_14default_configELb0EPKfPfPKlPlN2at6native12_GLOBAL__N_18offset_tEEE10hipError_tPvRmT1_PNSt15iterator_traitsIS12_E10value_typeET2_T3_PNS13_IS18_E10value_typeET4_jRbjT5_S1E_jjP12ihipStream_tbEUljE_ZNSN_ISO_Lb0ESQ_SR_ST_SU_SY_EESZ_S10_S11_S12_S16_S17_S18_S1B_S1C_jS1D_jS1E_S1E_jjS1G_bEUljE0_EEESZ_S10_S11_S18_S1C_S1E_T6_T7_T9_mT8_S1G_bDpT10_ENKUlT_T0_E_clISt17integral_constantIbLb0EES1T_IbLb1EEEEDaS1P_S1Q_EUlS1P_E_NS1_11comp_targetILNS1_3genE8ELNS1_11target_archE1030ELNS1_3gpuE2ELNS1_3repE0EEENS1_30default_config_static_selectorELNS0_4arch9wavefront6targetE0EEEvS12_,@function
_ZN7rocprim17ROCPRIM_400000_NS6detail17trampoline_kernelINS0_13select_configILj256ELj13ELNS0_17block_load_methodE3ELS4_3ELS4_3ELNS0_20block_scan_algorithmE0ELj4294967295EEENS1_25partition_config_selectorILNS1_17partition_subalgoE4EjNS0_10empty_typeEbEEZZNS1_14partition_implILS8_4ELb0ES6_15HIP_vector_typeIjLj2EENS0_17counting_iteratorIjlEEPS9_SG_NS0_5tupleIJPjSI_NS0_16reverse_iteratorISI_EEEEENSH_IJSG_SG_SG_EEES9_SI_JZNS1_25segmented_radix_sort_implINS0_14default_configELb0EPKfPfPKlPlN2at6native12_GLOBAL__N_18offset_tEEE10hipError_tPvRmT1_PNSt15iterator_traitsIS12_E10value_typeET2_T3_PNS13_IS18_E10value_typeET4_jRbjT5_S1E_jjP12ihipStream_tbEUljE_ZNSN_ISO_Lb0ESQ_SR_ST_SU_SY_EESZ_S10_S11_S12_S16_S17_S18_S1B_S1C_jS1D_jS1E_S1E_jjS1G_bEUljE0_EEESZ_S10_S11_S18_S1C_S1E_T6_T7_T9_mT8_S1G_bDpT10_ENKUlT_T0_E_clISt17integral_constantIbLb0EES1T_IbLb1EEEEDaS1P_S1Q_EUlS1P_E_NS1_11comp_targetILNS1_3genE8ELNS1_11target_archE1030ELNS1_3gpuE2ELNS1_3repE0EEENS1_30default_config_static_selectorELNS0_4arch9wavefront6targetE0EEEvS12_: ; @_ZN7rocprim17ROCPRIM_400000_NS6detail17trampoline_kernelINS0_13select_configILj256ELj13ELNS0_17block_load_methodE3ELS4_3ELS4_3ELNS0_20block_scan_algorithmE0ELj4294967295EEENS1_25partition_config_selectorILNS1_17partition_subalgoE4EjNS0_10empty_typeEbEEZZNS1_14partition_implILS8_4ELb0ES6_15HIP_vector_typeIjLj2EENS0_17counting_iteratorIjlEEPS9_SG_NS0_5tupleIJPjSI_NS0_16reverse_iteratorISI_EEEEENSH_IJSG_SG_SG_EEES9_SI_JZNS1_25segmented_radix_sort_implINS0_14default_configELb0EPKfPfPKlPlN2at6native12_GLOBAL__N_18offset_tEEE10hipError_tPvRmT1_PNSt15iterator_traitsIS12_E10value_typeET2_T3_PNS13_IS18_E10value_typeET4_jRbjT5_S1E_jjP12ihipStream_tbEUljE_ZNSN_ISO_Lb0ESQ_SR_ST_SU_SY_EESZ_S10_S11_S12_S16_S17_S18_S1B_S1C_jS1D_jS1E_S1E_jjS1G_bEUljE0_EEESZ_S10_S11_S18_S1C_S1E_T6_T7_T9_mT8_S1G_bDpT10_ENKUlT_T0_E_clISt17integral_constantIbLb0EES1T_IbLb1EEEEDaS1P_S1Q_EUlS1P_E_NS1_11comp_targetILNS1_3genE8ELNS1_11target_archE1030ELNS1_3gpuE2ELNS1_3repE0EEENS1_30default_config_static_selectorELNS0_4arch9wavefront6targetE0EEEvS12_
; %bb.0:
	.section	.rodata,"a",@progbits
	.p2align	6, 0x0
	.amdhsa_kernel _ZN7rocprim17ROCPRIM_400000_NS6detail17trampoline_kernelINS0_13select_configILj256ELj13ELNS0_17block_load_methodE3ELS4_3ELS4_3ELNS0_20block_scan_algorithmE0ELj4294967295EEENS1_25partition_config_selectorILNS1_17partition_subalgoE4EjNS0_10empty_typeEbEEZZNS1_14partition_implILS8_4ELb0ES6_15HIP_vector_typeIjLj2EENS0_17counting_iteratorIjlEEPS9_SG_NS0_5tupleIJPjSI_NS0_16reverse_iteratorISI_EEEEENSH_IJSG_SG_SG_EEES9_SI_JZNS1_25segmented_radix_sort_implINS0_14default_configELb0EPKfPfPKlPlN2at6native12_GLOBAL__N_18offset_tEEE10hipError_tPvRmT1_PNSt15iterator_traitsIS12_E10value_typeET2_T3_PNS13_IS18_E10value_typeET4_jRbjT5_S1E_jjP12ihipStream_tbEUljE_ZNSN_ISO_Lb0ESQ_SR_ST_SU_SY_EESZ_S10_S11_S12_S16_S17_S18_S1B_S1C_jS1D_jS1E_S1E_jjS1G_bEUljE0_EEESZ_S10_S11_S18_S1C_S1E_T6_T7_T9_mT8_S1G_bDpT10_ENKUlT_T0_E_clISt17integral_constantIbLb0EES1T_IbLb1EEEEDaS1P_S1Q_EUlS1P_E_NS1_11comp_targetILNS1_3genE8ELNS1_11target_archE1030ELNS1_3gpuE2ELNS1_3repE0EEENS1_30default_config_static_selectorELNS0_4arch9wavefront6targetE0EEEvS12_
		.amdhsa_group_segment_fixed_size 0
		.amdhsa_private_segment_fixed_size 0
		.amdhsa_kernarg_size 184
		.amdhsa_user_sgpr_count 2
		.amdhsa_user_sgpr_dispatch_ptr 0
		.amdhsa_user_sgpr_queue_ptr 0
		.amdhsa_user_sgpr_kernarg_segment_ptr 1
		.amdhsa_user_sgpr_dispatch_id 0
		.amdhsa_user_sgpr_kernarg_preload_length 0
		.amdhsa_user_sgpr_kernarg_preload_offset 0
		.amdhsa_user_sgpr_private_segment_size 0
		.amdhsa_wavefront_size32 1
		.amdhsa_uses_dynamic_stack 0
		.amdhsa_enable_private_segment 0
		.amdhsa_system_sgpr_workgroup_id_x 1
		.amdhsa_system_sgpr_workgroup_id_y 0
		.amdhsa_system_sgpr_workgroup_id_z 0
		.amdhsa_system_sgpr_workgroup_info 0
		.amdhsa_system_vgpr_workitem_id 0
		.amdhsa_next_free_vgpr 1
		.amdhsa_next_free_sgpr 1
		.amdhsa_named_barrier_count 0
		.amdhsa_reserve_vcc 0
		.amdhsa_float_round_mode_32 0
		.amdhsa_float_round_mode_16_64 0
		.amdhsa_float_denorm_mode_32 3
		.amdhsa_float_denorm_mode_16_64 3
		.amdhsa_fp16_overflow 0
		.amdhsa_memory_ordered 1
		.amdhsa_forward_progress 1
		.amdhsa_inst_pref_size 0
		.amdhsa_round_robin_scheduling 0
		.amdhsa_exception_fp_ieee_invalid_op 0
		.amdhsa_exception_fp_denorm_src 0
		.amdhsa_exception_fp_ieee_div_zero 0
		.amdhsa_exception_fp_ieee_overflow 0
		.amdhsa_exception_fp_ieee_underflow 0
		.amdhsa_exception_fp_ieee_inexact 0
		.amdhsa_exception_int_div_zero 0
	.end_amdhsa_kernel
	.section	.text._ZN7rocprim17ROCPRIM_400000_NS6detail17trampoline_kernelINS0_13select_configILj256ELj13ELNS0_17block_load_methodE3ELS4_3ELS4_3ELNS0_20block_scan_algorithmE0ELj4294967295EEENS1_25partition_config_selectorILNS1_17partition_subalgoE4EjNS0_10empty_typeEbEEZZNS1_14partition_implILS8_4ELb0ES6_15HIP_vector_typeIjLj2EENS0_17counting_iteratorIjlEEPS9_SG_NS0_5tupleIJPjSI_NS0_16reverse_iteratorISI_EEEEENSH_IJSG_SG_SG_EEES9_SI_JZNS1_25segmented_radix_sort_implINS0_14default_configELb0EPKfPfPKlPlN2at6native12_GLOBAL__N_18offset_tEEE10hipError_tPvRmT1_PNSt15iterator_traitsIS12_E10value_typeET2_T3_PNS13_IS18_E10value_typeET4_jRbjT5_S1E_jjP12ihipStream_tbEUljE_ZNSN_ISO_Lb0ESQ_SR_ST_SU_SY_EESZ_S10_S11_S12_S16_S17_S18_S1B_S1C_jS1D_jS1E_S1E_jjS1G_bEUljE0_EEESZ_S10_S11_S18_S1C_S1E_T6_T7_T9_mT8_S1G_bDpT10_ENKUlT_T0_E_clISt17integral_constantIbLb0EES1T_IbLb1EEEEDaS1P_S1Q_EUlS1P_E_NS1_11comp_targetILNS1_3genE8ELNS1_11target_archE1030ELNS1_3gpuE2ELNS1_3repE0EEENS1_30default_config_static_selectorELNS0_4arch9wavefront6targetE0EEEvS12_,"axG",@progbits,_ZN7rocprim17ROCPRIM_400000_NS6detail17trampoline_kernelINS0_13select_configILj256ELj13ELNS0_17block_load_methodE3ELS4_3ELS4_3ELNS0_20block_scan_algorithmE0ELj4294967295EEENS1_25partition_config_selectorILNS1_17partition_subalgoE4EjNS0_10empty_typeEbEEZZNS1_14partition_implILS8_4ELb0ES6_15HIP_vector_typeIjLj2EENS0_17counting_iteratorIjlEEPS9_SG_NS0_5tupleIJPjSI_NS0_16reverse_iteratorISI_EEEEENSH_IJSG_SG_SG_EEES9_SI_JZNS1_25segmented_radix_sort_implINS0_14default_configELb0EPKfPfPKlPlN2at6native12_GLOBAL__N_18offset_tEEE10hipError_tPvRmT1_PNSt15iterator_traitsIS12_E10value_typeET2_T3_PNS13_IS18_E10value_typeET4_jRbjT5_S1E_jjP12ihipStream_tbEUljE_ZNSN_ISO_Lb0ESQ_SR_ST_SU_SY_EESZ_S10_S11_S12_S16_S17_S18_S1B_S1C_jS1D_jS1E_S1E_jjS1G_bEUljE0_EEESZ_S10_S11_S18_S1C_S1E_T6_T7_T9_mT8_S1G_bDpT10_ENKUlT_T0_E_clISt17integral_constantIbLb0EES1T_IbLb1EEEEDaS1P_S1Q_EUlS1P_E_NS1_11comp_targetILNS1_3genE8ELNS1_11target_archE1030ELNS1_3gpuE2ELNS1_3repE0EEENS1_30default_config_static_selectorELNS0_4arch9wavefront6targetE0EEEvS12_,comdat
.Lfunc_end1388:
	.size	_ZN7rocprim17ROCPRIM_400000_NS6detail17trampoline_kernelINS0_13select_configILj256ELj13ELNS0_17block_load_methodE3ELS4_3ELS4_3ELNS0_20block_scan_algorithmE0ELj4294967295EEENS1_25partition_config_selectorILNS1_17partition_subalgoE4EjNS0_10empty_typeEbEEZZNS1_14partition_implILS8_4ELb0ES6_15HIP_vector_typeIjLj2EENS0_17counting_iteratorIjlEEPS9_SG_NS0_5tupleIJPjSI_NS0_16reverse_iteratorISI_EEEEENSH_IJSG_SG_SG_EEES9_SI_JZNS1_25segmented_radix_sort_implINS0_14default_configELb0EPKfPfPKlPlN2at6native12_GLOBAL__N_18offset_tEEE10hipError_tPvRmT1_PNSt15iterator_traitsIS12_E10value_typeET2_T3_PNS13_IS18_E10value_typeET4_jRbjT5_S1E_jjP12ihipStream_tbEUljE_ZNSN_ISO_Lb0ESQ_SR_ST_SU_SY_EESZ_S10_S11_S12_S16_S17_S18_S1B_S1C_jS1D_jS1E_S1E_jjS1G_bEUljE0_EEESZ_S10_S11_S18_S1C_S1E_T6_T7_T9_mT8_S1G_bDpT10_ENKUlT_T0_E_clISt17integral_constantIbLb0EES1T_IbLb1EEEEDaS1P_S1Q_EUlS1P_E_NS1_11comp_targetILNS1_3genE8ELNS1_11target_archE1030ELNS1_3gpuE2ELNS1_3repE0EEENS1_30default_config_static_selectorELNS0_4arch9wavefront6targetE0EEEvS12_, .Lfunc_end1388-_ZN7rocprim17ROCPRIM_400000_NS6detail17trampoline_kernelINS0_13select_configILj256ELj13ELNS0_17block_load_methodE3ELS4_3ELS4_3ELNS0_20block_scan_algorithmE0ELj4294967295EEENS1_25partition_config_selectorILNS1_17partition_subalgoE4EjNS0_10empty_typeEbEEZZNS1_14partition_implILS8_4ELb0ES6_15HIP_vector_typeIjLj2EENS0_17counting_iteratorIjlEEPS9_SG_NS0_5tupleIJPjSI_NS0_16reverse_iteratorISI_EEEEENSH_IJSG_SG_SG_EEES9_SI_JZNS1_25segmented_radix_sort_implINS0_14default_configELb0EPKfPfPKlPlN2at6native12_GLOBAL__N_18offset_tEEE10hipError_tPvRmT1_PNSt15iterator_traitsIS12_E10value_typeET2_T3_PNS13_IS18_E10value_typeET4_jRbjT5_S1E_jjP12ihipStream_tbEUljE_ZNSN_ISO_Lb0ESQ_SR_ST_SU_SY_EESZ_S10_S11_S12_S16_S17_S18_S1B_S1C_jS1D_jS1E_S1E_jjS1G_bEUljE0_EEESZ_S10_S11_S18_S1C_S1E_T6_T7_T9_mT8_S1G_bDpT10_ENKUlT_T0_E_clISt17integral_constantIbLb0EES1T_IbLb1EEEEDaS1P_S1Q_EUlS1P_E_NS1_11comp_targetILNS1_3genE8ELNS1_11target_archE1030ELNS1_3gpuE2ELNS1_3repE0EEENS1_30default_config_static_selectorELNS0_4arch9wavefront6targetE0EEEvS12_
                                        ; -- End function
	.set _ZN7rocprim17ROCPRIM_400000_NS6detail17trampoline_kernelINS0_13select_configILj256ELj13ELNS0_17block_load_methodE3ELS4_3ELS4_3ELNS0_20block_scan_algorithmE0ELj4294967295EEENS1_25partition_config_selectorILNS1_17partition_subalgoE4EjNS0_10empty_typeEbEEZZNS1_14partition_implILS8_4ELb0ES6_15HIP_vector_typeIjLj2EENS0_17counting_iteratorIjlEEPS9_SG_NS0_5tupleIJPjSI_NS0_16reverse_iteratorISI_EEEEENSH_IJSG_SG_SG_EEES9_SI_JZNS1_25segmented_radix_sort_implINS0_14default_configELb0EPKfPfPKlPlN2at6native12_GLOBAL__N_18offset_tEEE10hipError_tPvRmT1_PNSt15iterator_traitsIS12_E10value_typeET2_T3_PNS13_IS18_E10value_typeET4_jRbjT5_S1E_jjP12ihipStream_tbEUljE_ZNSN_ISO_Lb0ESQ_SR_ST_SU_SY_EESZ_S10_S11_S12_S16_S17_S18_S1B_S1C_jS1D_jS1E_S1E_jjS1G_bEUljE0_EEESZ_S10_S11_S18_S1C_S1E_T6_T7_T9_mT8_S1G_bDpT10_ENKUlT_T0_E_clISt17integral_constantIbLb0EES1T_IbLb1EEEEDaS1P_S1Q_EUlS1P_E_NS1_11comp_targetILNS1_3genE8ELNS1_11target_archE1030ELNS1_3gpuE2ELNS1_3repE0EEENS1_30default_config_static_selectorELNS0_4arch9wavefront6targetE0EEEvS12_.num_vgpr, 0
	.set _ZN7rocprim17ROCPRIM_400000_NS6detail17trampoline_kernelINS0_13select_configILj256ELj13ELNS0_17block_load_methodE3ELS4_3ELS4_3ELNS0_20block_scan_algorithmE0ELj4294967295EEENS1_25partition_config_selectorILNS1_17partition_subalgoE4EjNS0_10empty_typeEbEEZZNS1_14partition_implILS8_4ELb0ES6_15HIP_vector_typeIjLj2EENS0_17counting_iteratorIjlEEPS9_SG_NS0_5tupleIJPjSI_NS0_16reverse_iteratorISI_EEEEENSH_IJSG_SG_SG_EEES9_SI_JZNS1_25segmented_radix_sort_implINS0_14default_configELb0EPKfPfPKlPlN2at6native12_GLOBAL__N_18offset_tEEE10hipError_tPvRmT1_PNSt15iterator_traitsIS12_E10value_typeET2_T3_PNS13_IS18_E10value_typeET4_jRbjT5_S1E_jjP12ihipStream_tbEUljE_ZNSN_ISO_Lb0ESQ_SR_ST_SU_SY_EESZ_S10_S11_S12_S16_S17_S18_S1B_S1C_jS1D_jS1E_S1E_jjS1G_bEUljE0_EEESZ_S10_S11_S18_S1C_S1E_T6_T7_T9_mT8_S1G_bDpT10_ENKUlT_T0_E_clISt17integral_constantIbLb0EES1T_IbLb1EEEEDaS1P_S1Q_EUlS1P_E_NS1_11comp_targetILNS1_3genE8ELNS1_11target_archE1030ELNS1_3gpuE2ELNS1_3repE0EEENS1_30default_config_static_selectorELNS0_4arch9wavefront6targetE0EEEvS12_.num_agpr, 0
	.set _ZN7rocprim17ROCPRIM_400000_NS6detail17trampoline_kernelINS0_13select_configILj256ELj13ELNS0_17block_load_methodE3ELS4_3ELS4_3ELNS0_20block_scan_algorithmE0ELj4294967295EEENS1_25partition_config_selectorILNS1_17partition_subalgoE4EjNS0_10empty_typeEbEEZZNS1_14partition_implILS8_4ELb0ES6_15HIP_vector_typeIjLj2EENS0_17counting_iteratorIjlEEPS9_SG_NS0_5tupleIJPjSI_NS0_16reverse_iteratorISI_EEEEENSH_IJSG_SG_SG_EEES9_SI_JZNS1_25segmented_radix_sort_implINS0_14default_configELb0EPKfPfPKlPlN2at6native12_GLOBAL__N_18offset_tEEE10hipError_tPvRmT1_PNSt15iterator_traitsIS12_E10value_typeET2_T3_PNS13_IS18_E10value_typeET4_jRbjT5_S1E_jjP12ihipStream_tbEUljE_ZNSN_ISO_Lb0ESQ_SR_ST_SU_SY_EESZ_S10_S11_S12_S16_S17_S18_S1B_S1C_jS1D_jS1E_S1E_jjS1G_bEUljE0_EEESZ_S10_S11_S18_S1C_S1E_T6_T7_T9_mT8_S1G_bDpT10_ENKUlT_T0_E_clISt17integral_constantIbLb0EES1T_IbLb1EEEEDaS1P_S1Q_EUlS1P_E_NS1_11comp_targetILNS1_3genE8ELNS1_11target_archE1030ELNS1_3gpuE2ELNS1_3repE0EEENS1_30default_config_static_selectorELNS0_4arch9wavefront6targetE0EEEvS12_.numbered_sgpr, 0
	.set _ZN7rocprim17ROCPRIM_400000_NS6detail17trampoline_kernelINS0_13select_configILj256ELj13ELNS0_17block_load_methodE3ELS4_3ELS4_3ELNS0_20block_scan_algorithmE0ELj4294967295EEENS1_25partition_config_selectorILNS1_17partition_subalgoE4EjNS0_10empty_typeEbEEZZNS1_14partition_implILS8_4ELb0ES6_15HIP_vector_typeIjLj2EENS0_17counting_iteratorIjlEEPS9_SG_NS0_5tupleIJPjSI_NS0_16reverse_iteratorISI_EEEEENSH_IJSG_SG_SG_EEES9_SI_JZNS1_25segmented_radix_sort_implINS0_14default_configELb0EPKfPfPKlPlN2at6native12_GLOBAL__N_18offset_tEEE10hipError_tPvRmT1_PNSt15iterator_traitsIS12_E10value_typeET2_T3_PNS13_IS18_E10value_typeET4_jRbjT5_S1E_jjP12ihipStream_tbEUljE_ZNSN_ISO_Lb0ESQ_SR_ST_SU_SY_EESZ_S10_S11_S12_S16_S17_S18_S1B_S1C_jS1D_jS1E_S1E_jjS1G_bEUljE0_EEESZ_S10_S11_S18_S1C_S1E_T6_T7_T9_mT8_S1G_bDpT10_ENKUlT_T0_E_clISt17integral_constantIbLb0EES1T_IbLb1EEEEDaS1P_S1Q_EUlS1P_E_NS1_11comp_targetILNS1_3genE8ELNS1_11target_archE1030ELNS1_3gpuE2ELNS1_3repE0EEENS1_30default_config_static_selectorELNS0_4arch9wavefront6targetE0EEEvS12_.num_named_barrier, 0
	.set _ZN7rocprim17ROCPRIM_400000_NS6detail17trampoline_kernelINS0_13select_configILj256ELj13ELNS0_17block_load_methodE3ELS4_3ELS4_3ELNS0_20block_scan_algorithmE0ELj4294967295EEENS1_25partition_config_selectorILNS1_17partition_subalgoE4EjNS0_10empty_typeEbEEZZNS1_14partition_implILS8_4ELb0ES6_15HIP_vector_typeIjLj2EENS0_17counting_iteratorIjlEEPS9_SG_NS0_5tupleIJPjSI_NS0_16reverse_iteratorISI_EEEEENSH_IJSG_SG_SG_EEES9_SI_JZNS1_25segmented_radix_sort_implINS0_14default_configELb0EPKfPfPKlPlN2at6native12_GLOBAL__N_18offset_tEEE10hipError_tPvRmT1_PNSt15iterator_traitsIS12_E10value_typeET2_T3_PNS13_IS18_E10value_typeET4_jRbjT5_S1E_jjP12ihipStream_tbEUljE_ZNSN_ISO_Lb0ESQ_SR_ST_SU_SY_EESZ_S10_S11_S12_S16_S17_S18_S1B_S1C_jS1D_jS1E_S1E_jjS1G_bEUljE0_EEESZ_S10_S11_S18_S1C_S1E_T6_T7_T9_mT8_S1G_bDpT10_ENKUlT_T0_E_clISt17integral_constantIbLb0EES1T_IbLb1EEEEDaS1P_S1Q_EUlS1P_E_NS1_11comp_targetILNS1_3genE8ELNS1_11target_archE1030ELNS1_3gpuE2ELNS1_3repE0EEENS1_30default_config_static_selectorELNS0_4arch9wavefront6targetE0EEEvS12_.private_seg_size, 0
	.set _ZN7rocprim17ROCPRIM_400000_NS6detail17trampoline_kernelINS0_13select_configILj256ELj13ELNS0_17block_load_methodE3ELS4_3ELS4_3ELNS0_20block_scan_algorithmE0ELj4294967295EEENS1_25partition_config_selectorILNS1_17partition_subalgoE4EjNS0_10empty_typeEbEEZZNS1_14partition_implILS8_4ELb0ES6_15HIP_vector_typeIjLj2EENS0_17counting_iteratorIjlEEPS9_SG_NS0_5tupleIJPjSI_NS0_16reverse_iteratorISI_EEEEENSH_IJSG_SG_SG_EEES9_SI_JZNS1_25segmented_radix_sort_implINS0_14default_configELb0EPKfPfPKlPlN2at6native12_GLOBAL__N_18offset_tEEE10hipError_tPvRmT1_PNSt15iterator_traitsIS12_E10value_typeET2_T3_PNS13_IS18_E10value_typeET4_jRbjT5_S1E_jjP12ihipStream_tbEUljE_ZNSN_ISO_Lb0ESQ_SR_ST_SU_SY_EESZ_S10_S11_S12_S16_S17_S18_S1B_S1C_jS1D_jS1E_S1E_jjS1G_bEUljE0_EEESZ_S10_S11_S18_S1C_S1E_T6_T7_T9_mT8_S1G_bDpT10_ENKUlT_T0_E_clISt17integral_constantIbLb0EES1T_IbLb1EEEEDaS1P_S1Q_EUlS1P_E_NS1_11comp_targetILNS1_3genE8ELNS1_11target_archE1030ELNS1_3gpuE2ELNS1_3repE0EEENS1_30default_config_static_selectorELNS0_4arch9wavefront6targetE0EEEvS12_.uses_vcc, 0
	.set _ZN7rocprim17ROCPRIM_400000_NS6detail17trampoline_kernelINS0_13select_configILj256ELj13ELNS0_17block_load_methodE3ELS4_3ELS4_3ELNS0_20block_scan_algorithmE0ELj4294967295EEENS1_25partition_config_selectorILNS1_17partition_subalgoE4EjNS0_10empty_typeEbEEZZNS1_14partition_implILS8_4ELb0ES6_15HIP_vector_typeIjLj2EENS0_17counting_iteratorIjlEEPS9_SG_NS0_5tupleIJPjSI_NS0_16reverse_iteratorISI_EEEEENSH_IJSG_SG_SG_EEES9_SI_JZNS1_25segmented_radix_sort_implINS0_14default_configELb0EPKfPfPKlPlN2at6native12_GLOBAL__N_18offset_tEEE10hipError_tPvRmT1_PNSt15iterator_traitsIS12_E10value_typeET2_T3_PNS13_IS18_E10value_typeET4_jRbjT5_S1E_jjP12ihipStream_tbEUljE_ZNSN_ISO_Lb0ESQ_SR_ST_SU_SY_EESZ_S10_S11_S12_S16_S17_S18_S1B_S1C_jS1D_jS1E_S1E_jjS1G_bEUljE0_EEESZ_S10_S11_S18_S1C_S1E_T6_T7_T9_mT8_S1G_bDpT10_ENKUlT_T0_E_clISt17integral_constantIbLb0EES1T_IbLb1EEEEDaS1P_S1Q_EUlS1P_E_NS1_11comp_targetILNS1_3genE8ELNS1_11target_archE1030ELNS1_3gpuE2ELNS1_3repE0EEENS1_30default_config_static_selectorELNS0_4arch9wavefront6targetE0EEEvS12_.uses_flat_scratch, 0
	.set _ZN7rocprim17ROCPRIM_400000_NS6detail17trampoline_kernelINS0_13select_configILj256ELj13ELNS0_17block_load_methodE3ELS4_3ELS4_3ELNS0_20block_scan_algorithmE0ELj4294967295EEENS1_25partition_config_selectorILNS1_17partition_subalgoE4EjNS0_10empty_typeEbEEZZNS1_14partition_implILS8_4ELb0ES6_15HIP_vector_typeIjLj2EENS0_17counting_iteratorIjlEEPS9_SG_NS0_5tupleIJPjSI_NS0_16reverse_iteratorISI_EEEEENSH_IJSG_SG_SG_EEES9_SI_JZNS1_25segmented_radix_sort_implINS0_14default_configELb0EPKfPfPKlPlN2at6native12_GLOBAL__N_18offset_tEEE10hipError_tPvRmT1_PNSt15iterator_traitsIS12_E10value_typeET2_T3_PNS13_IS18_E10value_typeET4_jRbjT5_S1E_jjP12ihipStream_tbEUljE_ZNSN_ISO_Lb0ESQ_SR_ST_SU_SY_EESZ_S10_S11_S12_S16_S17_S18_S1B_S1C_jS1D_jS1E_S1E_jjS1G_bEUljE0_EEESZ_S10_S11_S18_S1C_S1E_T6_T7_T9_mT8_S1G_bDpT10_ENKUlT_T0_E_clISt17integral_constantIbLb0EES1T_IbLb1EEEEDaS1P_S1Q_EUlS1P_E_NS1_11comp_targetILNS1_3genE8ELNS1_11target_archE1030ELNS1_3gpuE2ELNS1_3repE0EEENS1_30default_config_static_selectorELNS0_4arch9wavefront6targetE0EEEvS12_.has_dyn_sized_stack, 0
	.set _ZN7rocprim17ROCPRIM_400000_NS6detail17trampoline_kernelINS0_13select_configILj256ELj13ELNS0_17block_load_methodE3ELS4_3ELS4_3ELNS0_20block_scan_algorithmE0ELj4294967295EEENS1_25partition_config_selectorILNS1_17partition_subalgoE4EjNS0_10empty_typeEbEEZZNS1_14partition_implILS8_4ELb0ES6_15HIP_vector_typeIjLj2EENS0_17counting_iteratorIjlEEPS9_SG_NS0_5tupleIJPjSI_NS0_16reverse_iteratorISI_EEEEENSH_IJSG_SG_SG_EEES9_SI_JZNS1_25segmented_radix_sort_implINS0_14default_configELb0EPKfPfPKlPlN2at6native12_GLOBAL__N_18offset_tEEE10hipError_tPvRmT1_PNSt15iterator_traitsIS12_E10value_typeET2_T3_PNS13_IS18_E10value_typeET4_jRbjT5_S1E_jjP12ihipStream_tbEUljE_ZNSN_ISO_Lb0ESQ_SR_ST_SU_SY_EESZ_S10_S11_S12_S16_S17_S18_S1B_S1C_jS1D_jS1E_S1E_jjS1G_bEUljE0_EEESZ_S10_S11_S18_S1C_S1E_T6_T7_T9_mT8_S1G_bDpT10_ENKUlT_T0_E_clISt17integral_constantIbLb0EES1T_IbLb1EEEEDaS1P_S1Q_EUlS1P_E_NS1_11comp_targetILNS1_3genE8ELNS1_11target_archE1030ELNS1_3gpuE2ELNS1_3repE0EEENS1_30default_config_static_selectorELNS0_4arch9wavefront6targetE0EEEvS12_.has_recursion, 0
	.set _ZN7rocprim17ROCPRIM_400000_NS6detail17trampoline_kernelINS0_13select_configILj256ELj13ELNS0_17block_load_methodE3ELS4_3ELS4_3ELNS0_20block_scan_algorithmE0ELj4294967295EEENS1_25partition_config_selectorILNS1_17partition_subalgoE4EjNS0_10empty_typeEbEEZZNS1_14partition_implILS8_4ELb0ES6_15HIP_vector_typeIjLj2EENS0_17counting_iteratorIjlEEPS9_SG_NS0_5tupleIJPjSI_NS0_16reverse_iteratorISI_EEEEENSH_IJSG_SG_SG_EEES9_SI_JZNS1_25segmented_radix_sort_implINS0_14default_configELb0EPKfPfPKlPlN2at6native12_GLOBAL__N_18offset_tEEE10hipError_tPvRmT1_PNSt15iterator_traitsIS12_E10value_typeET2_T3_PNS13_IS18_E10value_typeET4_jRbjT5_S1E_jjP12ihipStream_tbEUljE_ZNSN_ISO_Lb0ESQ_SR_ST_SU_SY_EESZ_S10_S11_S12_S16_S17_S18_S1B_S1C_jS1D_jS1E_S1E_jjS1G_bEUljE0_EEESZ_S10_S11_S18_S1C_S1E_T6_T7_T9_mT8_S1G_bDpT10_ENKUlT_T0_E_clISt17integral_constantIbLb0EES1T_IbLb1EEEEDaS1P_S1Q_EUlS1P_E_NS1_11comp_targetILNS1_3genE8ELNS1_11target_archE1030ELNS1_3gpuE2ELNS1_3repE0EEENS1_30default_config_static_selectorELNS0_4arch9wavefront6targetE0EEEvS12_.has_indirect_call, 0
	.section	.AMDGPU.csdata,"",@progbits
; Kernel info:
; codeLenInByte = 0
; TotalNumSgprs: 0
; NumVgprs: 0
; ScratchSize: 0
; MemoryBound: 0
; FloatMode: 240
; IeeeMode: 1
; LDSByteSize: 0 bytes/workgroup (compile time only)
; SGPRBlocks: 0
; VGPRBlocks: 0
; NumSGPRsForWavesPerEU: 1
; NumVGPRsForWavesPerEU: 1
; NamedBarCnt: 0
; Occupancy: 16
; WaveLimiterHint : 0
; COMPUTE_PGM_RSRC2:SCRATCH_EN: 0
; COMPUTE_PGM_RSRC2:USER_SGPR: 2
; COMPUTE_PGM_RSRC2:TRAP_HANDLER: 0
; COMPUTE_PGM_RSRC2:TGID_X_EN: 1
; COMPUTE_PGM_RSRC2:TGID_Y_EN: 0
; COMPUTE_PGM_RSRC2:TGID_Z_EN: 0
; COMPUTE_PGM_RSRC2:TIDIG_COMP_CNT: 0
	.section	.text._ZN7rocprim17ROCPRIM_400000_NS6detail17trampoline_kernelINS0_13select_configILj256ELj13ELNS0_17block_load_methodE3ELS4_3ELS4_3ELNS0_20block_scan_algorithmE0ELj4294967295EEENS1_25partition_config_selectorILNS1_17partition_subalgoE3EjNS0_10empty_typeEbEEZZNS1_14partition_implILS8_3ELb0ES6_jNS0_17counting_iteratorIjlEEPS9_SE_NS0_5tupleIJPjSE_EEENSF_IJSE_SE_EEES9_SG_JZNS1_25segmented_radix_sort_implINS0_14default_configELb0EPKfPfPKlPlN2at6native12_GLOBAL__N_18offset_tEEE10hipError_tPvRmT1_PNSt15iterator_traitsISY_E10value_typeET2_T3_PNSZ_IS14_E10value_typeET4_jRbjT5_S1A_jjP12ihipStream_tbEUljE_EEESV_SW_SX_S14_S18_S1A_T6_T7_T9_mT8_S1C_bDpT10_ENKUlT_T0_E_clISt17integral_constantIbLb0EES1P_EEDaS1K_S1L_EUlS1K_E_NS1_11comp_targetILNS1_3genE0ELNS1_11target_archE4294967295ELNS1_3gpuE0ELNS1_3repE0EEENS1_30default_config_static_selectorELNS0_4arch9wavefront6targetE0EEEvSY_,"axG",@progbits,_ZN7rocprim17ROCPRIM_400000_NS6detail17trampoline_kernelINS0_13select_configILj256ELj13ELNS0_17block_load_methodE3ELS4_3ELS4_3ELNS0_20block_scan_algorithmE0ELj4294967295EEENS1_25partition_config_selectorILNS1_17partition_subalgoE3EjNS0_10empty_typeEbEEZZNS1_14partition_implILS8_3ELb0ES6_jNS0_17counting_iteratorIjlEEPS9_SE_NS0_5tupleIJPjSE_EEENSF_IJSE_SE_EEES9_SG_JZNS1_25segmented_radix_sort_implINS0_14default_configELb0EPKfPfPKlPlN2at6native12_GLOBAL__N_18offset_tEEE10hipError_tPvRmT1_PNSt15iterator_traitsISY_E10value_typeET2_T3_PNSZ_IS14_E10value_typeET4_jRbjT5_S1A_jjP12ihipStream_tbEUljE_EEESV_SW_SX_S14_S18_S1A_T6_T7_T9_mT8_S1C_bDpT10_ENKUlT_T0_E_clISt17integral_constantIbLb0EES1P_EEDaS1K_S1L_EUlS1K_E_NS1_11comp_targetILNS1_3genE0ELNS1_11target_archE4294967295ELNS1_3gpuE0ELNS1_3repE0EEENS1_30default_config_static_selectorELNS0_4arch9wavefront6targetE0EEEvSY_,comdat
	.globl	_ZN7rocprim17ROCPRIM_400000_NS6detail17trampoline_kernelINS0_13select_configILj256ELj13ELNS0_17block_load_methodE3ELS4_3ELS4_3ELNS0_20block_scan_algorithmE0ELj4294967295EEENS1_25partition_config_selectorILNS1_17partition_subalgoE3EjNS0_10empty_typeEbEEZZNS1_14partition_implILS8_3ELb0ES6_jNS0_17counting_iteratorIjlEEPS9_SE_NS0_5tupleIJPjSE_EEENSF_IJSE_SE_EEES9_SG_JZNS1_25segmented_radix_sort_implINS0_14default_configELb0EPKfPfPKlPlN2at6native12_GLOBAL__N_18offset_tEEE10hipError_tPvRmT1_PNSt15iterator_traitsISY_E10value_typeET2_T3_PNSZ_IS14_E10value_typeET4_jRbjT5_S1A_jjP12ihipStream_tbEUljE_EEESV_SW_SX_S14_S18_S1A_T6_T7_T9_mT8_S1C_bDpT10_ENKUlT_T0_E_clISt17integral_constantIbLb0EES1P_EEDaS1K_S1L_EUlS1K_E_NS1_11comp_targetILNS1_3genE0ELNS1_11target_archE4294967295ELNS1_3gpuE0ELNS1_3repE0EEENS1_30default_config_static_selectorELNS0_4arch9wavefront6targetE0EEEvSY_ ; -- Begin function _ZN7rocprim17ROCPRIM_400000_NS6detail17trampoline_kernelINS0_13select_configILj256ELj13ELNS0_17block_load_methodE3ELS4_3ELS4_3ELNS0_20block_scan_algorithmE0ELj4294967295EEENS1_25partition_config_selectorILNS1_17partition_subalgoE3EjNS0_10empty_typeEbEEZZNS1_14partition_implILS8_3ELb0ES6_jNS0_17counting_iteratorIjlEEPS9_SE_NS0_5tupleIJPjSE_EEENSF_IJSE_SE_EEES9_SG_JZNS1_25segmented_radix_sort_implINS0_14default_configELb0EPKfPfPKlPlN2at6native12_GLOBAL__N_18offset_tEEE10hipError_tPvRmT1_PNSt15iterator_traitsISY_E10value_typeET2_T3_PNSZ_IS14_E10value_typeET4_jRbjT5_S1A_jjP12ihipStream_tbEUljE_EEESV_SW_SX_S14_S18_S1A_T6_T7_T9_mT8_S1C_bDpT10_ENKUlT_T0_E_clISt17integral_constantIbLb0EES1P_EEDaS1K_S1L_EUlS1K_E_NS1_11comp_targetILNS1_3genE0ELNS1_11target_archE4294967295ELNS1_3gpuE0ELNS1_3repE0EEENS1_30default_config_static_selectorELNS0_4arch9wavefront6targetE0EEEvSY_
	.p2align	8
	.type	_ZN7rocprim17ROCPRIM_400000_NS6detail17trampoline_kernelINS0_13select_configILj256ELj13ELNS0_17block_load_methodE3ELS4_3ELS4_3ELNS0_20block_scan_algorithmE0ELj4294967295EEENS1_25partition_config_selectorILNS1_17partition_subalgoE3EjNS0_10empty_typeEbEEZZNS1_14partition_implILS8_3ELb0ES6_jNS0_17counting_iteratorIjlEEPS9_SE_NS0_5tupleIJPjSE_EEENSF_IJSE_SE_EEES9_SG_JZNS1_25segmented_radix_sort_implINS0_14default_configELb0EPKfPfPKlPlN2at6native12_GLOBAL__N_18offset_tEEE10hipError_tPvRmT1_PNSt15iterator_traitsISY_E10value_typeET2_T3_PNSZ_IS14_E10value_typeET4_jRbjT5_S1A_jjP12ihipStream_tbEUljE_EEESV_SW_SX_S14_S18_S1A_T6_T7_T9_mT8_S1C_bDpT10_ENKUlT_T0_E_clISt17integral_constantIbLb0EES1P_EEDaS1K_S1L_EUlS1K_E_NS1_11comp_targetILNS1_3genE0ELNS1_11target_archE4294967295ELNS1_3gpuE0ELNS1_3repE0EEENS1_30default_config_static_selectorELNS0_4arch9wavefront6targetE0EEEvSY_,@function
_ZN7rocprim17ROCPRIM_400000_NS6detail17trampoline_kernelINS0_13select_configILj256ELj13ELNS0_17block_load_methodE3ELS4_3ELS4_3ELNS0_20block_scan_algorithmE0ELj4294967295EEENS1_25partition_config_selectorILNS1_17partition_subalgoE3EjNS0_10empty_typeEbEEZZNS1_14partition_implILS8_3ELb0ES6_jNS0_17counting_iteratorIjlEEPS9_SE_NS0_5tupleIJPjSE_EEENSF_IJSE_SE_EEES9_SG_JZNS1_25segmented_radix_sort_implINS0_14default_configELb0EPKfPfPKlPlN2at6native12_GLOBAL__N_18offset_tEEE10hipError_tPvRmT1_PNSt15iterator_traitsISY_E10value_typeET2_T3_PNSZ_IS14_E10value_typeET4_jRbjT5_S1A_jjP12ihipStream_tbEUljE_EEESV_SW_SX_S14_S18_S1A_T6_T7_T9_mT8_S1C_bDpT10_ENKUlT_T0_E_clISt17integral_constantIbLb0EES1P_EEDaS1K_S1L_EUlS1K_E_NS1_11comp_targetILNS1_3genE0ELNS1_11target_archE4294967295ELNS1_3gpuE0ELNS1_3repE0EEENS1_30default_config_static_selectorELNS0_4arch9wavefront6targetE0EEEvSY_: ; @_ZN7rocprim17ROCPRIM_400000_NS6detail17trampoline_kernelINS0_13select_configILj256ELj13ELNS0_17block_load_methodE3ELS4_3ELS4_3ELNS0_20block_scan_algorithmE0ELj4294967295EEENS1_25partition_config_selectorILNS1_17partition_subalgoE3EjNS0_10empty_typeEbEEZZNS1_14partition_implILS8_3ELb0ES6_jNS0_17counting_iteratorIjlEEPS9_SE_NS0_5tupleIJPjSE_EEENSF_IJSE_SE_EEES9_SG_JZNS1_25segmented_radix_sort_implINS0_14default_configELb0EPKfPfPKlPlN2at6native12_GLOBAL__N_18offset_tEEE10hipError_tPvRmT1_PNSt15iterator_traitsISY_E10value_typeET2_T3_PNSZ_IS14_E10value_typeET4_jRbjT5_S1A_jjP12ihipStream_tbEUljE_EEESV_SW_SX_S14_S18_S1A_T6_T7_T9_mT8_S1C_bDpT10_ENKUlT_T0_E_clISt17integral_constantIbLb0EES1P_EEDaS1K_S1L_EUlS1K_E_NS1_11comp_targetILNS1_3genE0ELNS1_11target_archE4294967295ELNS1_3gpuE0ELNS1_3repE0EEENS1_30default_config_static_selectorELNS0_4arch9wavefront6targetE0EEEvSY_
; %bb.0:
	s_clause 0x4
	s_load_b128 s[8:11], s[0:1], 0x48
	s_load_b32 s2, s[0:1], 0x70
	s_load_b64 s[12:13], s[0:1], 0x10
	s_load_b64 s[14:15], s[0:1], 0x58
	s_load_b32 s20, s[0:1], 0x8
	s_bfe_u32 s3, ttmp6, 0x4000c
	s_and_b32 s4, ttmp6, 15
	s_add_co_i32 s3, s3, 1
	s_getreg_b32 s5, hwreg(HW_REG_IB_STS2, 6, 4)
	s_mul_i32 s3, ttmp9, s3
	s_mov_b32 s17, 0
	s_add_co_i32 s16, s4, s3
	s_cmp_eq_u32 s5, 0
	s_clause 0x1
	s_load_b32 s3, s[0:1], 0x88
	s_load_b128 s[4:7], s[0:1], 0x78
	s_cselect_b32 s24, ttmp9, s16
	v_lshlrev_b32_e32 v19, 2, v0
	s_wait_kmcnt 0x0
	s_load_b64 s[18:19], s[10:11], 0x0
	s_mul_i32 s16, s2, 0xd00
	s_add_co_i32 s2, s2, -1
	s_add_co_i32 s21, s16, s12
	s_wait_xcnt 0x0
	s_add_nc_u64 s[10:11], s[12:13], s[16:17]
	s_sub_co_i32 s23, s14, s21
	v_cmp_gt_u64_e64 s11, s[14:15], s[10:11]
	s_addk_co_i32 s23, 0xd00
	s_cmp_eq_u32 s24, s2
	s_mul_i32 s10, s24, 0xd00
	s_cselect_b32 s22, -1, 0
	s_cmp_lg_u32 s24, s2
	s_mov_b32 s17, -1
	s_cselect_b32 s2, -1, 0
	s_add_co_i32 s16, s20, s10
	s_or_b32 s11, s2, s11
	s_add_co_i32 s16, s16, s12
	s_and_b32 vcc_lo, exec_lo, s11
	v_add_nc_u32_e32 v1, s16, v0
	s_cbranch_vccz .LBB1389_2
; %bb.1:
	s_delay_alu instid0(VALU_DEP_1)
	v_add_nc_u32_e32 v2, 0x100, v1
	v_add_nc_u32_e32 v3, 0x200, v1
	;; [unrolled: 1-line block ×12, first 2 shown]
	ds_store_2addr_stride64_b32 v19, v1, v2 offset1:4
	ds_store_2addr_stride64_b32 v19, v3, v4 offset0:8 offset1:12
	ds_store_2addr_stride64_b32 v19, v5, v6 offset0:16 offset1:20
	;; [unrolled: 1-line block ×5, first 2 shown]
	ds_store_b32 v19, v13 offset:12288
	s_wait_dscnt 0x0
	s_barrier_signal -1
	s_mov_b32 s17, 0
	s_barrier_wait -1
.LBB1389_2:
	v_cmp_gt_u32_e64 s2, s23, v0
	v_or_b32_e32 v40, 0x100, v0
	v_or_b32_e32 v38, 0x200, v0
	v_or_b32_e32 v36, 0x300, v0
	v_or_b32_e32 v34, 0x400, v0
	v_or_b32_e32 v32, 0x500, v0
	v_or_b32_e32 v30, 0x600, v0
	v_or_b32_e32 v28, 0x700, v0
	v_or_b32_e32 v26, 0x800, v0
	v_or_b32_e32 v24, 0x900, v0
	v_or_b32_e32 v22, 0xa00, v0
	v_or_b32_e32 v20, 0xb00, v0
	v_or_b32_e32 v18, 0xc00, v0
	s_and_not1_b32 vcc_lo, exec_lo, s17
	s_cbranch_vccnz .LBB1389_4
; %bb.3:
	v_dual_add_nc_u32 v2, s16, v40 :: v_dual_cndmask_b32 v1, 0, v1, s2
	v_cmp_gt_u32_e32 vcc_lo, s23, v40
	v_dual_add_nc_u32 v3, s16, v38 :: v_dual_add_nc_u32 v4, s16, v36
	v_dual_add_nc_u32 v7, s16, v30 :: v_dual_add_nc_u32 v8, s16, v28
	s_delay_alu instid0(VALU_DEP_4)
	v_cndmask_b32_e32 v2, 0, v2, vcc_lo
	v_cmp_gt_u32_e32 vcc_lo, s23, v38
	v_dual_add_nc_u32 v11, s16, v22 :: v_dual_add_nc_u32 v12, s16, v20
	v_cndmask_b32_e32 v3, 0, v3, vcc_lo
	v_cmp_gt_u32_e32 vcc_lo, s23, v36
	v_dual_cndmask_b32 v4, 0, v4 :: v_dual_add_nc_u32 v5, s16, v34
	v_cmp_gt_u32_e32 vcc_lo, s23, v34
	s_delay_alu instid0(VALU_DEP_2) | instskip(SKIP_1) | instid1(VALU_DEP_2)
	v_dual_cndmask_b32 v5, 0, v5 :: v_dual_add_nc_u32 v6, s16, v32
	v_cmp_gt_u32_e32 vcc_lo, s23, v32
	v_cndmask_b32_e32 v6, 0, v6, vcc_lo
	v_cmp_gt_u32_e32 vcc_lo, s23, v30
	v_cndmask_b32_e32 v7, 0, v7, vcc_lo
	v_cmp_gt_u32_e32 vcc_lo, s23, v28
	v_dual_cndmask_b32 v8, 0, v8 :: v_dual_add_nc_u32 v9, s16, v26
	v_cmp_gt_u32_e32 vcc_lo, s23, v26
	s_delay_alu instid0(VALU_DEP_2) | instskip(SKIP_1) | instid1(VALU_DEP_2)
	v_dual_cndmask_b32 v9, 0, v9 :: v_dual_add_nc_u32 v10, s16, v24
	v_cmp_gt_u32_e32 vcc_lo, s23, v24
	v_cndmask_b32_e32 v10, 0, v10, vcc_lo
	v_cmp_gt_u32_e32 vcc_lo, s23, v22
	v_cndmask_b32_e32 v11, 0, v11, vcc_lo
	v_cmp_gt_u32_e32 vcc_lo, s23, v20
	v_dual_cndmask_b32 v12, 0, v12 :: v_dual_add_nc_u32 v13, s16, v18
	v_cmp_gt_u32_e32 vcc_lo, s23, v18
	s_delay_alu instid0(VALU_DEP_2)
	v_cndmask_b32_e32 v13, 0, v13, vcc_lo
	ds_store_2addr_stride64_b32 v19, v1, v2 offset1:4
	ds_store_2addr_stride64_b32 v19, v3, v4 offset0:8 offset1:12
	ds_store_2addr_stride64_b32 v19, v5, v6 offset0:16 offset1:20
	;; [unrolled: 1-line block ×5, first 2 shown]
	ds_store_b32 v19, v13 offset:12288
	s_wait_dscnt 0x0
	s_barrier_signal -1
	s_barrier_wait -1
.LBB1389_4:
	v_mul_u32_u24_e32 v23, 13, v0
	v_cndmask_b32_e64 v21, 0, 1, s11
	s_and_not1_b32 vcc_lo, exec_lo, s11
	s_delay_alu instid0(VALU_DEP_2)
	v_lshlrev_b32_e32 v2, 2, v23
	ds_load_2addr_b32 v[50:51], v2 offset0:2 offset1:3
	ds_load_2addr_b32 v[46:47], v2 offset0:6 offset1:7
	;; [unrolled: 1-line block ×3, first 2 shown]
	ds_load_2addr_b32 v[52:53], v2 offset1:1
	ds_load_2addr_b32 v[42:43], v2 offset0:10 offset1:11
	ds_load_b32 v1, v2 offset:48
	ds_load_2addr_b32 v[44:45], v2 offset0:8 offset1:9
	s_wait_dscnt 0x0
	s_barrier_signal -1
	s_barrier_wait -1
	s_cbranch_vccnz .LBB1389_6
; %bb.5:
	v_dual_add_nc_u32 v2, s5, v51 :: v_dual_add_nc_u32 v3, s5, v53
	v_dual_add_nc_u32 v4, s5, v52 :: v_dual_add_nc_u32 v5, s5, v50
	;; [unrolled: 1-line block ×4, first 2 shown]
	s_delay_alu instid0(VALU_DEP_3) | instskip(NEXT) | instid1(VALU_DEP_4)
	v_mul_lo_u32 v5, v5, s4
	v_mul_lo_u32 v4, v4, s4
	;; [unrolled: 1-line block ×8, first 2 shown]
	v_dual_add_nc_u32 v10, s5, v48 :: v_dual_add_nc_u32 v11, s7, v48
	v_dual_add_nc_u32 v14, s7, v43 :: v_dual_add_nc_u32 v15, s5, v42
	;; [unrolled: 1-line block ×3, first 2 shown]
	s_delay_alu instid0(VALU_DEP_3)
	v_mul_lo_u32 v10, v10, s4
	v_dual_sub_nc_u32 v2, v2, v6 :: v_dual_sub_nc_u32 v3, v3, v7
	v_dual_sub_nc_u32 v4, v4, v8 :: v_dual_sub_nc_u32 v5, v5, v9
	v_dual_add_nc_u32 v6, s5, v49 :: v_dual_add_nc_u32 v7, s7, v49
	v_dual_add_nc_u32 v8, s5, v47 :: v_dual_add_nc_u32 v9, s7, v47
	v_mul_lo_u32 v11, v11, s6
	s_delay_alu instid0(VALU_DEP_3) | instskip(NEXT) | instid1(VALU_DEP_4)
	v_mul_lo_u32 v6, v6, s4
	v_mul_lo_u32 v7, v7, s6
	s_delay_alu instid0(VALU_DEP_4)
	v_mul_lo_u32 v8, v8, s4
	v_mul_lo_u32 v9, v9, s6
	v_cmp_lt_u32_e32 vcc_lo, s3, v2
	v_dual_add_nc_u32 v12, s5, v46 :: v_dual_add_nc_u32 v13, s5, v44
	v_mul_lo_u32 v14, v14, s6
	v_mul_lo_u32 v16, v16, s6
	v_cndmask_b32_e64 v2, 0, 1, vcc_lo
	v_cmp_lt_u32_e32 vcc_lo, s3, v3
	v_mul_lo_u32 v13, v13, s4
	v_dual_sub_nc_u32 v6, v6, v7 :: v_dual_add_nc_u32 v7, s7, v46
	v_dual_sub_nc_u32 v8, v8, v9 :: v_dual_sub_nc_u32 v9, v10, v11
	v_dual_add_nc_u32 v11, s5, v45 :: v_dual_add_nc_u32 v10, s5, v43
	v_cndmask_b32_e64 v3, 0, 1, vcc_lo
	s_delay_alu instid0(VALU_DEP_4)
	v_cmp_lt_u32_e32 vcc_lo, s3, v6
	v_mul_lo_u32 v12, v12, s4
	v_mul_lo_u32 v7, v7, s6
	;; [unrolled: 1-line block ×4, first 2 shown]
	v_cndmask_b32_e64 v6, 0, 1, vcc_lo
	v_cmp_lt_u32_e32 vcc_lo, s3, v8
	v_lshlrev_b16 v3, 8, v3
	v_add_nc_u32_e32 v25, s7, v42
	v_mul_lo_u32 v17, v17, s6
	v_lshlrev_b16 v6, 8, v6
	v_cndmask_b32_e64 v8, 0, 1, vcc_lo
	v_cmp_lt_u32_e32 vcc_lo, s3, v4
	v_dual_sub_nc_u32 v7, v12, v7 :: v_dual_sub_nc_u32 v10, v10, v14
	v_mul_lo_u32 v12, v15, s4
	v_mul_lo_u32 v15, v25, s6
	v_dual_add_nc_u32 v25, s7, v1 :: v_dual_lshrrev_b32 v3, 8, v3
	v_sub_nc_u32_e32 v11, v11, v16
	v_cndmask_b32_e64 v4, 0, 1, vcc_lo
	v_cmp_lt_u32_e32 vcc_lo, s3, v10
	v_dual_lshrrev_b32 v6, 8, v6 :: v_dual_add_nc_u32 v14, s5, v1
	v_mul_lo_u32 v16, v25, s6
	v_lshlrev_b16 v2, 8, v2
	v_cndmask_b32_e64 v10, 0, 1, vcc_lo
	v_cmp_lt_u32_e32 vcc_lo, s3, v11
	v_mul_lo_u32 v14, v14, s4
	v_dual_sub_nc_u32 v13, v13, v17 :: v_dual_sub_nc_u32 v12, v12, v15
	v_lshlrev_b16 v3, 8, v3
	v_cndmask_b32_e64 v11, 0, 1, vcc_lo
	v_cmp_lt_u32_e32 vcc_lo, s3, v5
	v_lshrrev_b32_e32 v2, 8, v2
	v_lshlrev_b16 v8, 8, v8
	v_or_b32_e32 v3, v4, v3
	v_lshlrev_b16 v4, 8, v10
	v_cndmask_b32_e64 v5, 0, 1, vcc_lo
	v_cmp_lt_u32_e32 vcc_lo, s3, v9
	v_lshlrev_b16 v10, 8, v11
	v_sub_nc_u32_e32 v11, v14, v16
	v_lshlrev_b16 v2, 8, v2
	v_lshrrev_b32_e32 v4, 8, v4
	v_cndmask_b32_e64 v9, 0, 1, vcc_lo
	v_cmp_lt_u32_e32 vcc_lo, s3, v7
	v_lshrrev_b32_e32 v10, 8, v10
	v_lshlrev_b16 v6, 8, v6
	v_or_b32_e32 v2, v5, v2
	v_lshlrev_b16 v4, 8, v4
	v_cndmask_b32_e64 v7, 0, 1, vcc_lo
	v_cmp_lt_u32_e32 vcc_lo, s3, v13
	v_lshlrev_b16 v10, 8, v10
	v_or_b32_e32 v5, v9, v6
	v_and_b32_e32 v3, 0xffff, v3
	v_dual_lshlrev_b32 v2, 16, v2 :: v_dual_bitop2_b32 v6, v7, v8 bitop3:0x54
	v_cndmask_b32_e64 v13, 0, 1, vcc_lo
	v_cmp_lt_u32_e32 vcc_lo, s3, v12
	s_delay_alu instid0(VALU_DEP_3) | instskip(SKIP_4) | instid1(VALU_DEP_4)
	v_lshlrev_b32_e32 v6, 16, v6
	v_and_b32_e32 v5, 0xffff, v5
	v_or_b32_e32 v35, v3, v2
	v_cndmask_b32_e64 v12, 0, 1, vcc_lo
	v_cmp_lt_u32_e32 vcc_lo, s3, v11
	v_or_b32_e32 v31, v5, v6
	s_delay_alu instid0(VALU_DEP_3) | instskip(SKIP_2) | instid1(VALU_DEP_3)
	v_or_b32_e32 v4, v12, v4
	v_or_b32_e32 v7, v13, v10
	v_cndmask_b32_e64 v25, 0, 1, vcc_lo
	v_lshlrev_b32_e32 v4, 16, v4
	s_delay_alu instid0(VALU_DEP_3) | instskip(NEXT) | instid1(VALU_DEP_1)
	v_and_b32_e32 v7, 0xffff, v7
	v_or_b32_e32 v27, v7, v4
	s_load_b64 s[20:21], s[0:1], 0x68
	s_cbranch_execz .LBB1389_7
	s_branch .LBB1389_34
.LBB1389_6:
                                        ; implicit-def: $vgpr25
                                        ; implicit-def: $vgpr27
                                        ; implicit-def: $vgpr31
                                        ; implicit-def: $vgpr35
	s_load_b64 s[20:21], s[0:1], 0x68
.LBB1389_7:
	v_dual_mov_b32 v3, 0 :: v_dual_mov_b32 v2, 0
	s_mov_b32 s2, exec_lo
	v_cmpx_gt_u32_e64 s23, v23
	s_cbranch_execz .LBB1389_9
; %bb.8:
	v_dual_add_nc_u32 v2, s5, v52 :: v_dual_add_nc_u32 v4, s7, v52
	s_delay_alu instid0(VALU_DEP_1) | instskip(NEXT) | instid1(VALU_DEP_2)
	v_mul_lo_u32 v2, v2, s4
	v_mul_lo_u32 v4, v4, s6
	s_delay_alu instid0(VALU_DEP_1) | instskip(NEXT) | instid1(VALU_DEP_1)
	v_sub_nc_u32_e32 v2, v2, v4
	v_cmp_lt_u32_e32 vcc_lo, s3, v2
	v_cndmask_b32_e64 v2, 0, 1, vcc_lo
.LBB1389_9:
	s_or_b32 exec_lo, exec_lo, s2
	v_add_nc_u32_e32 v4, 1, v23
	s_mov_b32 s2, exec_lo
	s_delay_alu instid0(VALU_DEP_1)
	v_cmpx_gt_u32_e64 s23, v4
	s_cbranch_execz .LBB1389_11
; %bb.10:
	v_dual_add_nc_u32 v3, s5, v53 :: v_dual_add_nc_u32 v4, s7, v53
	s_delay_alu instid0(VALU_DEP_1) | instskip(NEXT) | instid1(VALU_DEP_2)
	v_mul_lo_u32 v3, v3, s4
	v_mul_lo_u32 v4, v4, s6
	s_delay_alu instid0(VALU_DEP_1) | instskip(NEXT) | instid1(VALU_DEP_1)
	v_sub_nc_u32_e32 v3, v3, v4
	v_cmp_lt_u32_e32 vcc_lo, s3, v3
	v_cndmask_b32_e64 v3, 0, 1, vcc_lo
.LBB1389_11:
	s_or_b32 exec_lo, exec_lo, s2
	v_dual_mov_b32 v5, 0 :: v_dual_add_nc_u32 v4, 2, v23
	s_delay_alu instid0(VALU_DEP_1)
	v_cmp_gt_u32_e32 vcc_lo, s23, v4
	v_mov_b32_e32 v4, 0
	s_and_saveexec_b32 s2, vcc_lo
	s_cbranch_execz .LBB1389_13
; %bb.12:
	v_dual_add_nc_u32 v4, s5, v50 :: v_dual_add_nc_u32 v6, s7, v50
	s_delay_alu instid0(VALU_DEP_1) | instskip(NEXT) | instid1(VALU_DEP_2)
	v_mul_lo_u32 v4, v4, s4
	v_mul_lo_u32 v6, v6, s6
	s_delay_alu instid0(VALU_DEP_1) | instskip(NEXT) | instid1(VALU_DEP_1)
	v_sub_nc_u32_e32 v4, v4, v6
	v_cmp_lt_u32_e32 vcc_lo, s3, v4
	v_cndmask_b32_e64 v4, 0, 1, vcc_lo
.LBB1389_13:
	s_or_b32 exec_lo, exec_lo, s2
	v_add_nc_u32_e32 v6, 3, v23
	s_mov_b32 s2, exec_lo
	s_delay_alu instid0(VALU_DEP_1)
	v_cmpx_gt_u32_e64 s23, v6
	s_cbranch_execz .LBB1389_15
; %bb.14:
	v_dual_add_nc_u32 v5, s5, v51 :: v_dual_add_nc_u32 v6, s7, v51
	s_delay_alu instid0(VALU_DEP_1) | instskip(NEXT) | instid1(VALU_DEP_2)
	v_mul_lo_u32 v5, v5, s4
	v_mul_lo_u32 v6, v6, s6
	s_delay_alu instid0(VALU_DEP_1) | instskip(NEXT) | instid1(VALU_DEP_1)
	v_sub_nc_u32_e32 v5, v5, v6
	v_cmp_lt_u32_e32 vcc_lo, s3, v5
	v_cndmask_b32_e64 v5, 0, 1, vcc_lo
.LBB1389_15:
	s_or_b32 exec_lo, exec_lo, s2
	v_dual_mov_b32 v7, 0 :: v_dual_add_nc_u32 v6, 4, v23
	s_delay_alu instid0(VALU_DEP_1)
	v_cmp_gt_u32_e32 vcc_lo, s23, v6
	v_mov_b32_e32 v6, 0
	s_and_saveexec_b32 s2, vcc_lo
	;; [unrolled: 33-line block ×5, first 2 shown]
	s_cbranch_execz .LBB1389_29
; %bb.28:
	v_dual_add_nc_u32 v12, s5, v42 :: v_dual_add_nc_u32 v14, s7, v42
	s_delay_alu instid0(VALU_DEP_1) | instskip(NEXT) | instid1(VALU_DEP_2)
	v_mul_lo_u32 v12, v12, s4
	v_mul_lo_u32 v14, v14, s6
	s_delay_alu instid0(VALU_DEP_1) | instskip(NEXT) | instid1(VALU_DEP_1)
	v_sub_nc_u32_e32 v12, v12, v14
	v_cmp_lt_u32_e32 vcc_lo, s3, v12
	v_cndmask_b32_e64 v12, 0, 1, vcc_lo
.LBB1389_29:
	s_or_b32 exec_lo, exec_lo, s2
	v_add_nc_u32_e32 v14, 11, v23
	s_mov_b32 s2, exec_lo
	s_delay_alu instid0(VALU_DEP_1)
	v_cmpx_gt_u32_e64 s23, v14
	s_cbranch_execz .LBB1389_31
; %bb.30:
	v_dual_add_nc_u32 v13, s5, v43 :: v_dual_add_nc_u32 v14, s7, v43
	s_delay_alu instid0(VALU_DEP_1) | instskip(NEXT) | instid1(VALU_DEP_2)
	v_mul_lo_u32 v13, v13, s4
	v_mul_lo_u32 v14, v14, s6
	s_delay_alu instid0(VALU_DEP_1) | instskip(NEXT) | instid1(VALU_DEP_1)
	v_sub_nc_u32_e32 v13, v13, v14
	v_cmp_lt_u32_e32 vcc_lo, s3, v13
	v_cndmask_b32_e64 v13, 0, 1, vcc_lo
.LBB1389_31:
	s_or_b32 exec_lo, exec_lo, s2
	v_dual_mov_b32 v25, 0 :: v_dual_add_nc_u32 v14, 12, v23
	s_mov_b32 s2, exec_lo
	s_delay_alu instid0(VALU_DEP_1)
	v_cmpx_gt_u32_e64 s23, v14
	s_cbranch_execz .LBB1389_33
; %bb.32:
	v_dual_add_nc_u32 v14, s7, v1 :: v_dual_add_nc_u32 v15, s5, v1
	s_delay_alu instid0(VALU_DEP_1) | instskip(NEXT) | instid1(VALU_DEP_2)
	v_mul_lo_u32 v14, v14, s6
	v_mul_lo_u32 v15, v15, s4
	s_delay_alu instid0(VALU_DEP_1) | instskip(NEXT) | instid1(VALU_DEP_1)
	v_sub_nc_u32_e32 v14, v15, v14
	v_cmp_lt_u32_e32 vcc_lo, s3, v14
	v_cndmask_b32_e64 v25, 0, 1, vcc_lo
.LBB1389_33:
	s_or_b32 exec_lo, exec_lo, s2
	v_lshlrev_b16 v5, 8, v5
	v_lshlrev_b16 v7, 8, v7
	;; [unrolled: 1-line block ×5, first 2 shown]
	v_or_b32_e32 v4, v4, v5
	v_or_b32_e32 v5, v6, v7
	;; [unrolled: 1-line block ×3, first 2 shown]
	s_delay_alu instid0(VALU_DEP_4) | instskip(NEXT) | instid1(VALU_DEP_3)
	v_or_b32_e32 v7, v10, v11
	v_and_b32_e32 v5, 0xffff, v5
	s_delay_alu instid0(VALU_DEP_3) | instskip(SKIP_3) | instid1(VALU_DEP_4)
	v_dual_lshlrev_b32 v6, 16, v6 :: v_dual_bitop2_b32 v2, v2, v3 bitop3:0x54
	v_lshlrev_b32_e32 v4, 16, v4
	v_lshlrev_b16 v3, 8, v13
	v_and_b32_e32 v7, 0xffff, v7
	v_or_b32_e32 v31, v5, v6
	v_and_b32_e32 v2, 0xffff, v2
	s_delay_alu instid0(VALU_DEP_4) | instskip(NEXT) | instid1(VALU_DEP_1)
	v_or_b32_e32 v3, v12, v3
	v_dual_lshlrev_b32 v3, 16, v3 :: v_dual_bitop2_b32 v35, v2, v4 bitop3:0x54
	s_delay_alu instid0(VALU_DEP_1)
	v_or_b32_e32 v27, v7, v3
.LBB1389_34:
	s_delay_alu instid0(VALU_DEP_2)
	v_bfe_u32 v39, v35, 16, 8
	v_bfe_u32 v41, v35, 8, 8
	v_and_b32_e32 v55, 0xff, v35
	v_and_b32_e32 v56, 0xff, v31
	v_mbcnt_lo_u32_b32 v62, -1, 0
	v_lshrrev_b32_e32 v37, 24, v35
	v_bfe_u32 v57, v31, 16, 8
	v_add3_u32 v2, v41, v55, v39
	v_bfe_u32 v58, v31, 8, 8
	v_and_b32_e32 v4, 15, v62
	s_load_b64 s[16:17], s[0:1], 0x28
	v_dual_lshrrev_b32 v33, 24, v31 :: v_dual_lshrrev_b32 v63, 5, v0
	v_add3_u32 v2, v2, v37, v56
	v_and_b32_e32 v59, 0xff, v27
	v_bfe_u32 v60, v27, 16, 8
	v_bfe_u32 v61, v27, 8, 8
	v_dual_lshrrev_b32 v29, 24, v27 :: v_dual_bitop2_b32 v5, 31, v0 bitop3:0x54
	v_add3_u32 v2, v2, v58, v57
	v_and_b32_e32 v3, 0xff, v25
	v_and_b32_e32 v6, 16, v62
	v_cmp_eq_u32_e64 s5, 0, v4
	v_cmp_lt_u32_e64 s4, 1, v4
	v_add3_u32 v2, v2, v33, v59
	v_cmp_lt_u32_e64 s3, 3, v4
	v_cmp_lt_u32_e64 s2, 7, v4
	s_wait_xcnt 0x0
	v_cmp_eq_u32_e64 s1, 0, v6
	v_cmp_eq_u32_e64 s0, v0, v5
	v_add3_u32 v2, v2, v61, v60
	s_cmp_lg_u32 s24, 0
	s_mov_b32 s6, -1
	s_delay_alu instid0(VALU_DEP_1)
	v_add3_u32 v64, v2, v29, v3
	s_cbranch_scc0 .LBB1389_56
; %bb.35:
	s_delay_alu instid0(VALU_DEP_1) | instskip(NEXT) | instid1(VALU_DEP_1)
	v_mov_b32_dpp v2, v64 row_shr:1 row_mask:0xf bank_mask:0xf
	v_cndmask_b32_e64 v2, v2, 0, s5
	s_delay_alu instid0(VALU_DEP_1) | instskip(NEXT) | instid1(VALU_DEP_1)
	v_add_nc_u32_e32 v2, v2, v64
	v_mov_b32_dpp v3, v2 row_shr:2 row_mask:0xf bank_mask:0xf
	s_delay_alu instid0(VALU_DEP_1) | instskip(NEXT) | instid1(VALU_DEP_1)
	v_cndmask_b32_e64 v3, 0, v3, s4
	v_add_nc_u32_e32 v2, v2, v3
	s_delay_alu instid0(VALU_DEP_1) | instskip(NEXT) | instid1(VALU_DEP_1)
	v_mov_b32_dpp v3, v2 row_shr:4 row_mask:0xf bank_mask:0xf
	v_cndmask_b32_e64 v3, 0, v3, s3
	s_delay_alu instid0(VALU_DEP_1) | instskip(NEXT) | instid1(VALU_DEP_1)
	v_add_nc_u32_e32 v2, v2, v3
	v_mov_b32_dpp v3, v2 row_shr:8 row_mask:0xf bank_mask:0xf
	s_delay_alu instid0(VALU_DEP_1) | instskip(NEXT) | instid1(VALU_DEP_1)
	v_cndmask_b32_e64 v3, 0, v3, s2
	v_add_nc_u32_e32 v2, v2, v3
	ds_swizzle_b32 v3, v2 offset:swizzle(BROADCAST,32,15)
	s_wait_dscnt 0x0
	v_cndmask_b32_e64 v3, v3, 0, s1
	s_delay_alu instid0(VALU_DEP_1)
	v_add_nc_u32_e32 v2, v2, v3
	s_and_saveexec_b32 s6, s0
; %bb.36:
	v_lshlrev_b32_e32 v3, 2, v63
	ds_store_b32 v3, v2
; %bb.37:
	s_or_b32 exec_lo, exec_lo, s6
	s_delay_alu instid0(SALU_CYCLE_1)
	s_mov_b32 s6, exec_lo
	s_wait_dscnt 0x0
	s_barrier_signal -1
	s_barrier_wait -1
	v_cmpx_gt_u32_e32 8, v0
	s_cbranch_execz .LBB1389_39
; %bb.38:
	ds_load_b32 v3, v19
	s_wait_dscnt 0x0
	v_mov_b32_dpp v5, v3 row_shr:1 row_mask:0xf bank_mask:0xf
	v_and_b32_e32 v4, 7, v62
	s_delay_alu instid0(VALU_DEP_1) | instskip(NEXT) | instid1(VALU_DEP_3)
	v_cmp_ne_u32_e32 vcc_lo, 0, v4
	v_cndmask_b32_e32 v5, 0, v5, vcc_lo
	v_cmp_lt_u32_e32 vcc_lo, 1, v4
	s_delay_alu instid0(VALU_DEP_2) | instskip(NEXT) | instid1(VALU_DEP_1)
	v_add_nc_u32_e32 v3, v5, v3
	v_mov_b32_dpp v5, v3 row_shr:2 row_mask:0xf bank_mask:0xf
	s_delay_alu instid0(VALU_DEP_1) | instskip(SKIP_1) | instid1(VALU_DEP_2)
	v_cndmask_b32_e32 v5, 0, v5, vcc_lo
	v_cmp_lt_u32_e32 vcc_lo, 3, v4
	v_add_nc_u32_e32 v3, v3, v5
	s_delay_alu instid0(VALU_DEP_1) | instskip(NEXT) | instid1(VALU_DEP_1)
	v_mov_b32_dpp v5, v3 row_shr:4 row_mask:0xf bank_mask:0xf
	v_cndmask_b32_e32 v4, 0, v5, vcc_lo
	s_delay_alu instid0(VALU_DEP_1)
	v_add_nc_u32_e32 v3, v3, v4
	ds_store_b32 v19, v3
.LBB1389_39:
	s_or_b32 exec_lo, exec_lo, s6
	s_delay_alu instid0(SALU_CYCLE_1)
	s_mov_b32 s7, exec_lo
	v_cmp_gt_u32_e32 vcc_lo, 32, v0
	s_wait_dscnt 0x0
	s_barrier_signal -1
	s_barrier_wait -1
                                        ; implicit-def: $vgpr10
	v_cmpx_lt_u32_e32 31, v0
	s_cbranch_execz .LBB1389_41
; %bb.40:
	v_lshl_add_u32 v3, v63, 2, -4
	ds_load_b32 v10, v3
	s_wait_dscnt 0x0
	v_add_nc_u32_e32 v2, v10, v2
.LBB1389_41:
	s_or_b32 exec_lo, exec_lo, s7
	v_sub_co_u32 v3, s6, v62, 1
	s_delay_alu instid0(VALU_DEP_1) | instskip(NEXT) | instid1(VALU_DEP_1)
	v_cmp_gt_i32_e64 s7, 0, v3
	v_cndmask_b32_e64 v3, v3, v62, s7
	s_delay_alu instid0(VALU_DEP_1)
	v_lshlrev_b32_e32 v3, 2, v3
	ds_bpermute_b32 v11, v3, v2
	s_and_saveexec_b32 s7, vcc_lo
	s_cbranch_execz .LBB1389_61
; %bb.42:
	v_mov_b32_e32 v9, 0
	ds_load_b32 v2, v9 offset:28
	s_and_saveexec_b32 s11, s6
	s_cbranch_execz .LBB1389_44
; %bb.43:
	s_add_co_i32 s25, s24, 32
	s_delay_alu instid0(SALU_CYCLE_1)
	v_dual_mov_b32 v3, 1 :: v_dual_mov_b32 v4, s25
	s_wait_dscnt 0x0
	s_wait_kmcnt 0x0
	global_store_b64 v4, v[2:3], s[20:21] scale_offset scope:SCOPE_DEV
.LBB1389_44:
	s_wait_xcnt 0x0
	s_or_b32 exec_lo, exec_lo, s11
	v_xad_u32 v4, v62, -1, s24
	s_mov_b32 s25, 0
	s_mov_b32 s11, exec_lo
	s_delay_alu instid0(VALU_DEP_1)
	v_add_nc_u32_e32 v8, 32, v4
	s_wait_kmcnt 0x0
	global_load_b64 v[6:7], v8, s[20:21] scale_offset scope:SCOPE_DEV
	s_wait_loadcnt 0x0
	v_and_b32_e32 v3, 0xff, v7
	s_wait_xcnt 0x0
	s_delay_alu instid0(VALU_DEP_1)
	v_cmpx_eq_u16_e32 0, v3
	s_cbranch_execz .LBB1389_48
; %bb.45:
	v_lshl_add_u64 v[8:9], v[8:9], 3, s[20:21]
.LBB1389_46:                            ; =>This Inner Loop Header: Depth=1
	global_load_b64 v[6:7], v[8:9], off scope:SCOPE_DEV
	s_wait_loadcnt 0x0
	v_and_b32_e32 v3, 0xff, v7
	s_delay_alu instid0(VALU_DEP_1)
	v_cmp_ne_u16_e32 vcc_lo, 0, v3
	s_or_b32 s25, vcc_lo, s25
	s_wait_xcnt 0x0
	s_and_not1_b32 exec_lo, exec_lo, s25
	s_cbranch_execnz .LBB1389_46
; %bb.47:
	s_or_b32 exec_lo, exec_lo, s25
.LBB1389_48:
	s_delay_alu instid0(SALU_CYCLE_1)
	s_or_b32 exec_lo, exec_lo, s11
	v_cmp_ne_u32_e32 vcc_lo, 31, v62
	v_lshlrev_b32_e64 v13, v62, -1
	v_dual_add_nc_u32 v15, 2, v62 :: v_dual_add_nc_u32 v17, 4, v62
	v_dual_add_nc_u32 v65, 8, v62 :: v_dual_add_nc_u32 v67, 16, v62
	v_add_co_ci_u32_e64 v3, null, 0, v62, vcc_lo
	v_lshl_or_b32 v66, v62, 2, 64
	s_delay_alu instid0(VALU_DEP_2)
	v_lshlrev_b32_e32 v12, 2, v3
	v_and_b32_e32 v3, 0xff, v7
	ds_bpermute_b32 v5, v12, v6
	v_cmp_eq_u16_e32 vcc_lo, 2, v3
	v_and_or_b32 v3, vcc_lo, v13, 0x80000000
	v_cmp_gt_u32_e32 vcc_lo, 30, v62
	s_delay_alu instid0(VALU_DEP_2) | instskip(SKIP_1) | instid1(VALU_DEP_2)
	v_ctz_i32_b32_e32 v3, v3
	v_cndmask_b32_e64 v8, 0, 2, vcc_lo
	v_cmp_lt_u32_e32 vcc_lo, v62, v3
	s_delay_alu instid0(VALU_DEP_2)
	v_add_lshl_u32 v14, v8, v62, 2
	s_wait_dscnt 0x0
	v_cndmask_b32_e32 v5, 0, v5, vcc_lo
	v_cmp_gt_u32_e32 vcc_lo, 28, v62
	v_cndmask_b32_e64 v8, 0, 4, vcc_lo
	v_cmp_le_u32_e32 vcc_lo, v15, v3
	s_delay_alu instid0(VALU_DEP_4) | instskip(NEXT) | instid1(VALU_DEP_3)
	v_add_nc_u32_e32 v5, v5, v6
	v_add_lshl_u32 v16, v8, v62, 2
	ds_bpermute_b32 v6, v14, v5
	s_wait_dscnt 0x0
	v_cndmask_b32_e32 v6, 0, v6, vcc_lo
	v_cmp_gt_u32_e32 vcc_lo, 24, v62
	v_cndmask_b32_e64 v8, 0, 8, vcc_lo
	v_cmp_le_u32_e32 vcc_lo, v17, v3
	s_delay_alu instid0(VALU_DEP_4) | instskip(NEXT) | instid1(VALU_DEP_3)
	v_add_nc_u32_e32 v5, v5, v6
	v_add_lshl_u32 v54, v8, v62, 2
	ds_bpermute_b32 v6, v16, v5
	s_wait_dscnt 0x0
	v_cndmask_b32_e32 v6, 0, v6, vcc_lo
	v_cmp_le_u32_e32 vcc_lo, v65, v3
	s_delay_alu instid0(VALU_DEP_2) | instskip(SKIP_4) | instid1(VALU_DEP_2)
	v_add_nc_u32_e32 v5, v5, v6
	ds_bpermute_b32 v6, v54, v5
	s_wait_dscnt 0x0
	v_cndmask_b32_e32 v6, 0, v6, vcc_lo
	v_cmp_le_u32_e32 vcc_lo, v67, v3
	v_add_nc_u32_e32 v5, v5, v6
	ds_bpermute_b32 v6, v66, v5
	s_wait_dscnt 0x0
	v_cndmask_b32_e32 v3, 0, v6, vcc_lo
	s_delay_alu instid0(VALU_DEP_1)
	v_dual_mov_b32 v5, 0 :: v_dual_add_nc_u32 v6, v5, v3
	s_branch .LBB1389_52
.LBB1389_49:                            ;   in Loop: Header=BB1389_52 Depth=1
	s_or_b32 exec_lo, exec_lo, s25
.LBB1389_50:                            ;   in Loop: Header=BB1389_52 Depth=1
	s_delay_alu instid0(SALU_CYCLE_1)
	s_or_b32 exec_lo, exec_lo, s11
	v_and_b32_e32 v8, 0xff, v7
	ds_bpermute_b32 v9, v12, v6
	v_subrev_nc_u32_e32 v4, 32, v4
	s_mov_b32 s11, 0
	v_cmp_eq_u16_e32 vcc_lo, 2, v8
	v_and_or_b32 v8, vcc_lo, v13, 0x80000000
	s_delay_alu instid0(VALU_DEP_1) | instskip(NEXT) | instid1(VALU_DEP_1)
	v_ctz_i32_b32_e32 v8, v8
	v_cmp_lt_u32_e32 vcc_lo, v62, v8
	s_wait_dscnt 0x0
	v_cndmask_b32_e32 v9, 0, v9, vcc_lo
	v_cmp_le_u32_e32 vcc_lo, v15, v8
	s_delay_alu instid0(VALU_DEP_2) | instskip(SKIP_4) | instid1(VALU_DEP_2)
	v_add_nc_u32_e32 v6, v9, v6
	ds_bpermute_b32 v9, v14, v6
	s_wait_dscnt 0x0
	v_cndmask_b32_e32 v9, 0, v9, vcc_lo
	v_cmp_le_u32_e32 vcc_lo, v17, v8
	v_add_nc_u32_e32 v6, v6, v9
	ds_bpermute_b32 v9, v16, v6
	s_wait_dscnt 0x0
	v_cndmask_b32_e32 v9, 0, v9, vcc_lo
	v_cmp_le_u32_e32 vcc_lo, v65, v8
	s_delay_alu instid0(VALU_DEP_2) | instskip(SKIP_4) | instid1(VALU_DEP_2)
	v_add_nc_u32_e32 v6, v6, v9
	ds_bpermute_b32 v9, v54, v6
	s_wait_dscnt 0x0
	v_cndmask_b32_e32 v9, 0, v9, vcc_lo
	v_cmp_le_u32_e32 vcc_lo, v67, v8
	v_add_nc_u32_e32 v6, v6, v9
	ds_bpermute_b32 v9, v66, v6
	s_wait_dscnt 0x0
	v_cndmask_b32_e32 v8, 0, v9, vcc_lo
	s_delay_alu instid0(VALU_DEP_1)
	v_add3_u32 v6, v8, v3, v6
.LBB1389_51:                            ;   in Loop: Header=BB1389_52 Depth=1
	s_and_b32 vcc_lo, exec_lo, s11
	s_cbranch_vccnz .LBB1389_57
.LBB1389_52:                            ; =>This Loop Header: Depth=1
                                        ;     Child Loop BB1389_55 Depth 2
	v_and_b32_e32 v3, 0xff, v7
	s_mov_b32 s11, -1
                                        ; implicit-def: $vgpr7
	s_delay_alu instid0(VALU_DEP_1)
	v_cmp_ne_u16_e32 vcc_lo, 2, v3
	v_mov_b32_e32 v3, v6
                                        ; implicit-def: $vgpr6
	s_cmp_lg_u32 vcc_lo, exec_lo
	s_cbranch_scc1 .LBB1389_51
; %bb.53:                               ;   in Loop: Header=BB1389_52 Depth=1
	global_load_b64 v[6:7], v4, s[20:21] scale_offset scope:SCOPE_DEV
	s_mov_b32 s11, exec_lo
	s_wait_loadcnt 0x0
	v_and_b32_e32 v8, 0xff, v7
	s_wait_xcnt 0x0
	s_delay_alu instid0(VALU_DEP_1)
	v_cmpx_eq_u16_e32 0, v8
	s_cbranch_execz .LBB1389_50
; %bb.54:                               ;   in Loop: Header=BB1389_52 Depth=1
	v_lshl_add_u64 v[8:9], v[4:5], 3, s[20:21]
	s_mov_b32 s25, 0
.LBB1389_55:                            ;   Parent Loop BB1389_52 Depth=1
                                        ; =>  This Inner Loop Header: Depth=2
	global_load_b64 v[6:7], v[8:9], off scope:SCOPE_DEV
	s_wait_loadcnt 0x0
	v_and_b32_e32 v68, 0xff, v7
	s_delay_alu instid0(VALU_DEP_1)
	v_cmp_ne_u16_e32 vcc_lo, 0, v68
	s_or_b32 s25, vcc_lo, s25
	s_wait_xcnt 0x0
	s_and_not1_b32 exec_lo, exec_lo, s25
	s_cbranch_execnz .LBB1389_55
	s_branch .LBB1389_49
.LBB1389_56:
                                        ; implicit-def: $vgpr2_vgpr3_vgpr4_vgpr5_vgpr6_vgpr7_vgpr8_vgpr9_vgpr10_vgpr11_vgpr12_vgpr13_vgpr14_vgpr15_vgpr16_vgpr17
                                        ; implicit-def: $vgpr54
                                        ; implicit-def: $vgpr16
	s_and_b32 vcc_lo, exec_lo, s6
	s_cbranch_vccnz .LBB1389_62
	s_branch .LBB1389_71
.LBB1389_57:
	s_and_saveexec_b32 s11, s6
	s_cbranch_execz .LBB1389_59
; %bb.58:
	s_add_co_i32 s24, s24, 32
	v_dual_mov_b32 v5, 2 :: v_dual_add_nc_u32 v4, v3, v2
	v_dual_mov_b32 v6, s24 :: v_dual_mov_b32 v7, 0
	global_store_b64 v6, v[4:5], s[20:21] scale_offset scope:SCOPE_DEV
	ds_store_b64 v7, v[2:3] offset:13312
.LBB1389_59:
	s_wait_xcnt 0x0
	s_or_b32 exec_lo, exec_lo, s11
	v_cmp_eq_u32_e32 vcc_lo, 0, v0
	s_and_b32 exec_lo, exec_lo, vcc_lo
; %bb.60:
	v_mov_b32_e32 v2, 0
	ds_store_b32 v2, v3 offset:28
.LBB1389_61:
	s_or_b32 exec_lo, exec_lo, s7
	s_wait_dscnt 0x0
	v_dual_mov_b32 v12, 0 :: v_dual_cndmask_b32 v3, v11, v10, s6
	s_wait_storecnt 0x0
	s_barrier_signal -1
	s_barrier_wait -1
	ds_load_b32 v2, v12 offset:28
	v_cmp_ne_u32_e32 vcc_lo, 0, v0
	s_wait_dscnt 0x0
	s_barrier_signal -1
	s_barrier_wait -1
	v_cndmask_b32_e32 v3, 0, v3, vcc_lo
	ds_load_b64 v[16:17], v12 offset:13312
	v_add_nc_u32_e32 v2, v2, v3
	s_wait_dscnt 0x0
	s_delay_alu instid0(VALU_DEP_1) | instskip(NEXT) | instid1(VALU_DEP_1)
	v_dual_mov_b32 v54, v17 :: v_dual_add_nc_u32 v3, v2, v55
	v_add_nc_u32_e32 v4, v3, v41
	s_delay_alu instid0(VALU_DEP_1) | instskip(NEXT) | instid1(VALU_DEP_1)
	v_add_nc_u32_e32 v5, v4, v39
	v_add_nc_u32_e32 v6, v5, v37
	s_delay_alu instid0(VALU_DEP_1) | instskip(NEXT) | instid1(VALU_DEP_1)
	v_add_nc_u32_e32 v7, v6, v56
	;; [unrolled: 3-line block ×5, first 2 shown]
	v_add_nc_u32_e32 v14, v13, v29
	s_branch .LBB1389_71
.LBB1389_62:
	v_mov_b32_dpp v2, v64 row_shr:1 row_mask:0xf bank_mask:0xf
	s_delay_alu instid0(VALU_DEP_1) | instskip(NEXT) | instid1(VALU_DEP_1)
	v_cndmask_b32_e64 v2, v2, 0, s5
	v_add_nc_u32_e32 v2, v2, v64
	s_delay_alu instid0(VALU_DEP_1) | instskip(NEXT) | instid1(VALU_DEP_1)
	v_mov_b32_dpp v3, v2 row_shr:2 row_mask:0xf bank_mask:0xf
	v_cndmask_b32_e64 v3, 0, v3, s4
	s_delay_alu instid0(VALU_DEP_1) | instskip(NEXT) | instid1(VALU_DEP_1)
	v_add_nc_u32_e32 v2, v2, v3
	v_mov_b32_dpp v3, v2 row_shr:4 row_mask:0xf bank_mask:0xf
	s_delay_alu instid0(VALU_DEP_1) | instskip(NEXT) | instid1(VALU_DEP_1)
	v_cndmask_b32_e64 v3, 0, v3, s3
	v_add_nc_u32_e32 v2, v2, v3
	s_delay_alu instid0(VALU_DEP_1) | instskip(NEXT) | instid1(VALU_DEP_1)
	v_mov_b32_dpp v3, v2 row_shr:8 row_mask:0xf bank_mask:0xf
	v_cndmask_b32_e64 v3, 0, v3, s2
	s_delay_alu instid0(VALU_DEP_1) | instskip(SKIP_3) | instid1(VALU_DEP_1)
	v_add_nc_u32_e32 v2, v2, v3
	ds_swizzle_b32 v3, v2 offset:swizzle(BROADCAST,32,15)
	s_wait_dscnt 0x0
	v_cndmask_b32_e64 v3, v3, 0, s1
	v_add_nc_u32_e32 v2, v2, v3
	s_and_saveexec_b32 s1, s0
; %bb.63:
	v_lshlrev_b32_e32 v3, 2, v63
	ds_store_b32 v3, v2
; %bb.64:
	s_or_b32 exec_lo, exec_lo, s1
	s_delay_alu instid0(SALU_CYCLE_1)
	s_mov_b32 s0, exec_lo
	s_wait_dscnt 0x0
	s_barrier_signal -1
	s_barrier_wait -1
	v_cmpx_gt_u32_e32 8, v0
	s_cbranch_execz .LBB1389_66
; %bb.65:
	ds_load_b32 v3, v19
	s_wait_dscnt 0x0
	v_mov_b32_dpp v5, v3 row_shr:1 row_mask:0xf bank_mask:0xf
	v_and_b32_e32 v4, 7, v62
	s_delay_alu instid0(VALU_DEP_1) | instskip(NEXT) | instid1(VALU_DEP_3)
	v_cmp_ne_u32_e32 vcc_lo, 0, v4
	v_cndmask_b32_e32 v5, 0, v5, vcc_lo
	v_cmp_lt_u32_e32 vcc_lo, 1, v4
	s_delay_alu instid0(VALU_DEP_2) | instskip(NEXT) | instid1(VALU_DEP_1)
	v_add_nc_u32_e32 v3, v5, v3
	v_mov_b32_dpp v5, v3 row_shr:2 row_mask:0xf bank_mask:0xf
	s_delay_alu instid0(VALU_DEP_1) | instskip(SKIP_1) | instid1(VALU_DEP_2)
	v_cndmask_b32_e32 v5, 0, v5, vcc_lo
	v_cmp_lt_u32_e32 vcc_lo, 3, v4
	v_add_nc_u32_e32 v3, v3, v5
	s_delay_alu instid0(VALU_DEP_1) | instskip(NEXT) | instid1(VALU_DEP_1)
	v_mov_b32_dpp v5, v3 row_shr:4 row_mask:0xf bank_mask:0xf
	v_cndmask_b32_e32 v4, 0, v5, vcc_lo
	s_delay_alu instid0(VALU_DEP_1)
	v_add_nc_u32_e32 v3, v3, v4
	ds_store_b32 v19, v3
.LBB1389_66:
	s_or_b32 exec_lo, exec_lo, s0
	v_dual_mov_b32 v4, 0 :: v_dual_mov_b32 v3, 0
	s_mov_b32 s0, exec_lo
	s_wait_dscnt 0x0
	s_barrier_signal -1
	s_barrier_wait -1
	v_cmpx_lt_u32_e32 31, v0
; %bb.67:
	v_lshl_add_u32 v3, v63, 2, -4
	ds_load_b32 v3, v3
; %bb.68:
	s_or_b32 exec_lo, exec_lo, s0
	v_sub_co_u32 v5, vcc_lo, v62, 1
	ds_load_b32 v16, v4 offset:28
	v_cmp_gt_i32_e64 s0, 0, v5
	s_delay_alu instid0(VALU_DEP_1) | instskip(SKIP_3) | instid1(VALU_DEP_3)
	v_cndmask_b32_e64 v5, v5, v62, s0
	s_wait_dscnt 0x1
	v_add_nc_u32_e32 v2, v3, v2
	v_cmp_eq_u32_e64 s0, 0, v0
	v_lshlrev_b32_e32 v5, 2, v5
	ds_bpermute_b32 v2, v5, v2
	s_and_saveexec_b32 s1, s0
	s_cbranch_execz .LBB1389_70
; %bb.69:
	v_dual_mov_b32 v4, 0 :: v_dual_mov_b32 v17, 2
	s_wait_dscnt 0x1
	s_wait_kmcnt 0x0
	global_store_b64 v4, v[16:17], s[20:21] offset:256 scope:SCOPE_DEV
.LBB1389_70:
	s_wait_xcnt 0x0
	s_or_b32 exec_lo, exec_lo, s1
	s_wait_dscnt 0x0
	v_cndmask_b32_e32 v2, v2, v3, vcc_lo
	s_wait_storecnt 0x0
	s_barrier_signal -1
	s_barrier_wait -1
	s_delay_alu instid0(VALU_DEP_1) | instskip(NEXT) | instid1(VALU_DEP_1)
	v_cndmask_b32_e64 v2, v2, 0, s0
	v_dual_mov_b32 v54, 0 :: v_dual_add_nc_u32 v3, v2, v55
	s_delay_alu instid0(VALU_DEP_1) | instskip(NEXT) | instid1(VALU_DEP_1)
	v_add_nc_u32_e32 v4, v3, v41
	v_add_nc_u32_e32 v5, v4, v39
	s_delay_alu instid0(VALU_DEP_1) | instskip(NEXT) | instid1(VALU_DEP_1)
	v_add_nc_u32_e32 v6, v5, v37
	v_add_nc_u32_e32 v7, v6, v56
	;; [unrolled: 3-line block ×5, first 2 shown]
	s_delay_alu instid0(VALU_DEP_1)
	v_add_nc_u32_e32 v14, v13, v29
.LBB1389_71:
	v_dual_lshrrev_b32 v55, 16, v35 :: v_dual_lshrrev_b32 v56, 8, v35
	v_dual_add_nc_u32 v23, v16, v23 :: v_dual_sub_nc_u32 v3, v3, v54
	v_dual_sub_nc_u32 v2, v2, v54 :: v_dual_bitop2_b32 v35, 1, v35 bitop3:0x40
	s_delay_alu instid0(VALU_DEP_3) | instskip(NEXT) | instid1(VALU_DEP_4)
	v_dual_sub_nc_u32 v4, v4, v54 :: v_dual_bitop2_b32 v56, 1, v56 bitop3:0x40
	v_and_b32_e32 v55, 1, v55
	s_delay_alu instid0(VALU_DEP_3) | instskip(NEXT) | instid1(VALU_DEP_4)
	v_dual_sub_nc_u32 v57, v23, v3 :: v_dual_sub_nc_u32 v58, v23, v2
	v_cmp_eq_u32_e32 vcc_lo, 1, v35
	s_delay_alu instid0(VALU_DEP_4) | instskip(NEXT) | instid1(VALU_DEP_3)
	v_dual_sub_nc_u32 v5, v5, v54 :: v_dual_sub_nc_u32 v59, v23, v4
	v_dual_add_nc_u32 v57, 1, v57 :: v_dual_sub_nc_u32 v6, v6, v54
	s_delay_alu instid0(VALU_DEP_4) | instskip(SKIP_1) | instid1(VALU_DEP_4)
	v_cndmask_b32_e32 v2, v58, v2, vcc_lo
	v_cmp_eq_u32_e32 vcc_lo, 1, v56
	v_dual_sub_nc_u32 v35, v23, v5 :: v_dual_add_nc_u32 v56, 2, v59
	v_dual_lshrrev_b32 v41, 8, v31 :: v_dual_lshrrev_b32 v39, 16, v31
	v_dual_cndmask_b32 v3, v57, v3, vcc_lo :: v_dual_bitop2_b32 v37, 1, v37 bitop3:0x40
	v_lshlrev_b32_e32 v2, 2, v2
	v_cmp_eq_u32_e32 vcc_lo, 1, v55
	v_add_nc_u32_e32 v35, 3, v35
	s_delay_alu instid0(VALU_DEP_4)
	v_lshlrev_b32_e32 v3, 2, v3
	v_dual_lshrrev_b32 v15, 16, v27 :: v_dual_lshrrev_b32 v17, 8, v27
	v_cndmask_b32_e32 v4, v56, v4, vcc_lo
	v_cmp_eq_u32_e32 vcc_lo, 1, v37
	ds_store_b32 v2, v52
	ds_store_b32 v3, v53
	v_dual_lshlrev_b32 v3, 2, v4 :: v_dual_cndmask_b32 v5, v35, v5, vcc_lo
	s_delay_alu instid0(VALU_DEP_1) | instskip(SKIP_1) | instid1(VALU_DEP_2)
	v_dual_sub_nc_u32 v2, v23, v6 :: v_dual_lshlrev_b32 v4, 2, v5
	v_dual_sub_nc_u32 v5, v7, v54 :: v_dual_bitop2_b32 v7, 1, v31 bitop3:0x40
	v_add_nc_u32_e32 v2, 4, v2
	ds_store_b32 v3, v50
	ds_store_b32 v4, v51
	v_sub_nc_u32_e32 v3, v23, v5
	v_cmp_eq_u32_e32 vcc_lo, 1, v7
	s_delay_alu instid0(VALU_DEP_2) | instskip(SKIP_1) | instid1(VALU_DEP_2)
	v_dual_sub_nc_u32 v4, v8, v54 :: v_dual_add_nc_u32 v3, 5, v3
	v_dual_cndmask_b32 v2, v2, v6, vcc_lo :: v_dual_bitop2_b32 v6, 1, v41 bitop3:0x40
	v_dual_sub_nc_u32 v7, v9, v54 :: v_dual_sub_nc_u32 v8, v23, v4
	s_delay_alu instid0(VALU_DEP_2) | instskip(NEXT) | instid1(VALU_DEP_2)
	v_cmp_eq_u32_e32 vcc_lo, 1, v6
	v_dual_lshlrev_b32 v2, 2, v2 :: v_dual_add_nc_u32 v8, 6, v8
	v_cndmask_b32_e32 v3, v3, v5, vcc_lo
	s_delay_alu instid0(VALU_DEP_4)
	v_sub_nc_u32_e32 v5, v23, v7
	v_and_b32_e32 v6, 1, v39
	ds_store_b32 v2, v48
	v_dual_lshlrev_b32 v3, 2, v3 :: v_dual_add_nc_u32 v5, 7, v5
	v_cmp_eq_u32_e32 vcc_lo, 1, v6
	v_dual_sub_nc_u32 v6, v11, v54 :: v_dual_bitop2_b32 v2, 1, v33 bitop3:0x40
	ds_store_b32 v3, v49
	v_cndmask_b32_e32 v4, v8, v4, vcc_lo
	v_cmp_eq_u32_e32 vcc_lo, 1, v2
	s_delay_alu instid0(VALU_DEP_2)
	v_dual_lshlrev_b32 v4, 2, v4 :: v_dual_cndmask_b32 v2, v5, v7, vcc_lo
	v_dual_sub_nc_u32 v5, v10, v54 :: v_dual_bitop2_b32 v7, 1, v17 bitop3:0x40
	v_sub_nc_u32_e32 v3, v23, v6
	ds_store_b32 v4, v46
	v_dual_sub_nc_u32 v4, v23, v5 :: v_dual_lshlrev_b32 v2, 2, v2
	v_add_nc_u32_e32 v3, 9, v3
	v_cmp_eq_u32_e32 vcc_lo, 1, v7
	s_delay_alu instid0(VALU_DEP_3) | instskip(SKIP_3) | instid1(VALU_DEP_2)
	v_dual_sub_nc_u32 v7, v12, v54 :: v_dual_add_nc_u32 v4, 8, v4
	ds_store_b32 v2, v47
	v_dual_cndmask_b32 v3, v3, v6, vcc_lo :: v_dual_bitop2_b32 v2, 1, v27 bitop3:0x40
	v_dual_sub_nc_u32 v6, v13, v54 :: v_dual_sub_nc_u32 v8, v14, v54
	v_cmp_eq_u32_e32 vcc_lo, 1, v2
	v_dual_cndmask_b32 v2, v4, v5 :: v_dual_sub_nc_u32 v5, v23, v7
	s_delay_alu instid0(VALU_DEP_3) | instskip(SKIP_1) | instid1(VALU_DEP_3)
	v_dual_sub_nc_u32 v4, v23, v6 :: v_dual_sub_nc_u32 v9, v23, v8
	v_and_b32_e32 v10, 1, v15
	v_dual_lshlrev_b32 v2, 2, v2 :: v_dual_bitop2_b32 v12, 1, v25 bitop3:0x40
	s_delay_alu instid0(VALU_DEP_3) | instskip(NEXT) | instid1(VALU_DEP_1)
	v_dual_add_nc_u32 v4, 11, v4 :: v_dual_bitop2_b32 v11, 1, v29 bitop3:0x40
	v_cmp_eq_u32_e32 vcc_lo, 1, v11
	s_delay_alu instid0(VALU_DEP_2) | instskip(SKIP_3) | instid1(VALU_DEP_1)
	v_cndmask_b32_e32 v4, v4, v6, vcc_lo
	v_cmp_eq_u32_e32 vcc_lo, 1, v10
	v_add_nc_u32_e32 v9, 12, v9
	v_add_nc_u32_e32 v5, 10, v5
	v_cndmask_b32_e32 v5, v5, v7, vcc_lo
	v_cmp_eq_u32_e32 vcc_lo, 1, v12
	s_delay_alu instid0(VALU_DEP_2) | instskip(SKIP_3) | instid1(VALU_DEP_3)
	v_dual_lshlrev_b32 v3, 2, v3 :: v_dual_lshlrev_b32 v5, 2, v5
	v_cndmask_b32_e32 v6, v9, v8, vcc_lo
	v_lshlrev_b32_e32 v4, 2, v4
	v_cmp_ne_u32_e32 vcc_lo, 1, v21
	v_lshlrev_b32_e32 v6, 2, v6
	ds_store_b32 v2, v44
	ds_store_b32 v3, v45
	;; [unrolled: 1-line block ×5, first 2 shown]
	s_wait_dscnt 0x0
	s_barrier_signal -1
	s_barrier_wait -1
	ds_load_2addr_stride64_b32 v[14:15], v19 offset1:4
	ds_load_2addr_stride64_b32 v[12:13], v19 offset0:8 offset1:12
	ds_load_2addr_stride64_b32 v[10:11], v19 offset0:16 offset1:20
	ds_load_2addr_stride64_b32 v[8:9], v19 offset0:24 offset1:28
	ds_load_2addr_stride64_b32 v[6:7], v19 offset0:32 offset1:36
	ds_load_2addr_stride64_b32 v[4:5], v19 offset0:40 offset1:44
	ds_load_b32 v46, v19 offset:12288
	v_mov_b32_e32 v1, 0
	s_and_b32 vcc_lo, exec_lo, vcc_lo
	s_delay_alu instid0(VALU_DEP_1) | instskip(SKIP_3) | instid1(VALU_DEP_3)
	v_dual_mov_b32 v29, v1 :: v_dual_mov_b32 v55, v1
	v_dual_mov_b32 v41, v1 :: v_dual_mov_b32 v39, v1
	;; [unrolled: 1-line block ×3, first 2 shown]
	s_wait_kmcnt 0x0
	v_add_nc_u64_e32 v[2:3], s[18:19], v[54:55]
	v_dual_mov_b32 v33, v1 :: v_dual_mov_b32 v31, v1
	v_dual_mov_b32 v27, v1 :: v_dual_mov_b32 v25, v1
	;; [unrolled: 1-line block ×3, first 2 shown]
	v_mov_b32_e32 v19, v1
	s_cbranch_vccnz .LBB1389_125
; %bb.72:
	v_mov_b32_e32 v17, v1
	s_mov_b32 s11, 0
	v_sub_nc_u64_e64 v[42:43], v[2:3], s[12:13]
	s_sub_nc_u64 s[0:1], s[14:15], s[10:11]
	s_delay_alu instid0(VALU_DEP_2) | instid1(SALU_CYCLE_1)
	v_add_nc_u64_e32 v[44:45], s[0:1], v[16:17]
	s_mov_b32 s0, exec_lo
	s_delay_alu instid0(VALU_DEP_1)
	v_add_nc_u64_e32 v[42:43], v[44:45], v[42:43]
                                        ; implicit-def: $vgpr44_vgpr45
	v_cmpx_ge_u32_e64 v0, v16
	s_xor_b32 s0, exec_lo, s0
; %bb.73:
	v_not_b32_e32 v44, v0
	s_delay_alu instid0(VALU_DEP_1) | instskip(NEXT) | instid1(VALU_DEP_1)
	v_ashrrev_i32_e32 v45, 31, v44
	v_add_nc_u64_e32 v[44:45], v[42:43], v[44:45]
; %bb.74:
	s_and_not1_saveexec_b32 s0, s0
; %bb.75:
	v_add_nc_u64_e32 v[44:45], v[2:3], v[0:1]
; %bb.76:
	s_or_b32 exec_lo, exec_lo, s0
	s_delay_alu instid0(VALU_DEP_1)
	v_lshl_add_u64 v[44:45], v[44:45], 2, s[16:17]
	s_mov_b32 s0, exec_lo
	s_wait_dscnt 0x6
	global_store_b32 v[44:45], v14, off
                                        ; implicit-def: $vgpr44_vgpr45
	s_wait_xcnt 0x0
	v_cmpx_ge_u32_e64 v40, v16
	s_xor_b32 s0, exec_lo, s0
; %bb.77:
	v_xor_b32_e32 v44, 0xfffffeff, v0
	s_delay_alu instid0(VALU_DEP_1) | instskip(NEXT) | instid1(VALU_DEP_1)
	v_ashrrev_i32_e32 v45, 31, v44
	v_add_nc_u64_e32 v[44:45], v[42:43], v[44:45]
; %bb.78:
	s_and_not1_saveexec_b32 s0, s0
; %bb.79:
	v_add_nc_u64_e32 v[44:45], v[2:3], v[40:41]
; %bb.80:
	s_or_b32 exec_lo, exec_lo, s0
	s_delay_alu instid0(VALU_DEP_1)
	v_lshl_add_u64 v[44:45], v[44:45], 2, s[16:17]
	s_mov_b32 s0, exec_lo
	global_store_b32 v[44:45], v15, off
                                        ; implicit-def: $vgpr44_vgpr45
	s_wait_xcnt 0x0
	v_cmpx_ge_u32_e64 v38, v16
	s_xor_b32 s0, exec_lo, s0
; %bb.81:
	v_xor_b32_e32 v44, 0xfffffdff, v0
	s_delay_alu instid0(VALU_DEP_1) | instskip(NEXT) | instid1(VALU_DEP_1)
	v_ashrrev_i32_e32 v45, 31, v44
	v_add_nc_u64_e32 v[44:45], v[42:43], v[44:45]
; %bb.82:
	s_and_not1_saveexec_b32 s0, s0
; %bb.83:
	v_add_nc_u64_e32 v[44:45], v[2:3], v[38:39]
; %bb.84:
	s_or_b32 exec_lo, exec_lo, s0
	s_delay_alu instid0(VALU_DEP_1)
	v_lshl_add_u64 v[44:45], v[44:45], 2, s[16:17]
	s_mov_b32 s0, exec_lo
	s_wait_dscnt 0x5
	global_store_b32 v[44:45], v12, off
                                        ; implicit-def: $vgpr44_vgpr45
	s_wait_xcnt 0x0
	v_cmpx_ge_u32_e64 v36, v16
	s_xor_b32 s0, exec_lo, s0
; %bb.85:
	v_xor_b32_e32 v44, 0xfffffcff, v0
	s_delay_alu instid0(VALU_DEP_1) | instskip(NEXT) | instid1(VALU_DEP_1)
	v_ashrrev_i32_e32 v45, 31, v44
	v_add_nc_u64_e32 v[44:45], v[42:43], v[44:45]
; %bb.86:
	s_and_not1_saveexec_b32 s0, s0
; %bb.87:
	v_add_nc_u64_e32 v[44:45], v[2:3], v[36:37]
; %bb.88:
	s_or_b32 exec_lo, exec_lo, s0
	s_delay_alu instid0(VALU_DEP_1)
	v_lshl_add_u64 v[44:45], v[44:45], 2, s[16:17]
	s_mov_b32 s0, exec_lo
	global_store_b32 v[44:45], v13, off
                                        ; implicit-def: $vgpr44_vgpr45
	s_wait_xcnt 0x0
	v_cmpx_ge_u32_e64 v34, v16
	s_xor_b32 s0, exec_lo, s0
; %bb.89:
	v_xor_b32_e32 v44, 0xfffffbff, v0
	;; [unrolled: 39-line block ×6, first 2 shown]
	s_delay_alu instid0(VALU_DEP_1) | instskip(NEXT) | instid1(VALU_DEP_1)
	v_ashrrev_i32_e32 v45, 31, v44
	v_add_nc_u64_e32 v[44:45], v[42:43], v[44:45]
; %bb.122:
	s_and_not1_saveexec_b32 s0, s0
; %bb.123:
	v_add_nc_u64_e32 v[44:45], v[2:3], v[18:19]
; %bb.124:
	s_or_b32 exec_lo, exec_lo, s0
	s_mov_b32 s0, -1
	s_branch .LBB1389_205
.LBB1389_125:
	s_mov_b32 s0, 0
                                        ; implicit-def: $vgpr44_vgpr45
	s_cbranch_execz .LBB1389_205
; %bb.126:
	s_mov_b32 s11, 0
	v_mov_b32_e32 v17, 0
	s_add_nc_u64 s[2:3], s[12:13], s[10:11]
	s_mov_b32 s1, exec_lo
	s_sub_nc_u64 s[2:3], s[14:15], s[2:3]
	s_delay_alu instid0(VALU_DEP_1) | instid1(SALU_CYCLE_1)
	v_add_nc_u64_e32 v[42:43], s[2:3], v[16:17]
	s_delay_alu instid0(VALU_DEP_1)
	v_add_nc_u64_e32 v[42:43], v[42:43], v[2:3]
	v_cmpx_gt_u32_e64 s23, v0
	s_cbranch_execz .LBB1389_162
; %bb.127:
	s_mov_b32 s2, exec_lo
                                        ; implicit-def: $vgpr44_vgpr45
	v_cmpx_ge_u32_e64 v0, v16
	s_xor_b32 s2, exec_lo, s2
; %bb.128:
	v_not_b32_e32 v44, v0
	s_delay_alu instid0(VALU_DEP_1) | instskip(NEXT) | instid1(VALU_DEP_1)
	v_ashrrev_i32_e32 v45, 31, v44
	v_add_nc_u64_e32 v[44:45], v[42:43], v[44:45]
; %bb.129:
	s_and_not1_saveexec_b32 s2, s2
; %bb.130:
	v_add_nc_u64_e32 v[44:45], v[2:3], v[0:1]
; %bb.131:
	s_or_b32 exec_lo, exec_lo, s2
	s_delay_alu instid0(VALU_DEP_1) | instskip(SKIP_4) | instid1(SALU_CYCLE_1)
	v_lshl_add_u64 v[44:45], v[44:45], 2, s[16:17]
	s_wait_dscnt 0x6
	global_store_b32 v[44:45], v14, off
	s_wait_xcnt 0x0
	s_or_b32 exec_lo, exec_lo, s1
	s_mov_b32 s1, exec_lo
	v_cmpx_gt_u32_e64 s23, v40
	s_cbranch_execnz .LBB1389_163
.LBB1389_132:
	s_or_b32 exec_lo, exec_lo, s1
	s_delay_alu instid0(SALU_CYCLE_1)
	s_mov_b32 s1, exec_lo
	v_cmpx_gt_u32_e64 s23, v38
	s_cbranch_execz .LBB1389_168
.LBB1389_133:
	s_mov_b32 s2, exec_lo
                                        ; implicit-def: $vgpr14_vgpr15
	v_cmpx_ge_u32_e64 v38, v16
	s_xor_b32 s2, exec_lo, s2
	s_cbranch_execz .LBB1389_135
; %bb.134:
	s_wait_dscnt 0x6
	v_xor_b32_e32 v14, 0xfffffdff, v0
                                        ; implicit-def: $vgpr38_vgpr39
	s_delay_alu instid0(VALU_DEP_1) | instskip(NEXT) | instid1(VALU_DEP_1)
	v_ashrrev_i32_e32 v15, 31, v14
	v_add_nc_u64_e32 v[14:15], v[42:43], v[14:15]
.LBB1389_135:
	s_and_not1_saveexec_b32 s2, s2
	s_cbranch_execz .LBB1389_137
; %bb.136:
	s_wait_dscnt 0x6
	v_add_nc_u64_e32 v[14:15], v[2:3], v[38:39]
.LBB1389_137:
	s_or_b32 exec_lo, exec_lo, s2
	s_wait_dscnt 0x6
	s_delay_alu instid0(VALU_DEP_1) | instskip(SKIP_4) | instid1(SALU_CYCLE_1)
	v_lshl_add_u64 v[14:15], v[14:15], 2, s[16:17]
	s_wait_dscnt 0x5
	global_store_b32 v[14:15], v12, off
	s_wait_xcnt 0x0
	s_or_b32 exec_lo, exec_lo, s1
	s_mov_b32 s1, exec_lo
	v_cmpx_gt_u32_e64 s23, v36
	s_cbranch_execnz .LBB1389_169
.LBB1389_138:
	s_or_b32 exec_lo, exec_lo, s1
	s_delay_alu instid0(SALU_CYCLE_1)
	s_mov_b32 s1, exec_lo
	v_cmpx_gt_u32_e64 s23, v34
	s_cbranch_execz .LBB1389_174
.LBB1389_139:
	s_mov_b32 s2, exec_lo
                                        ; implicit-def: $vgpr12_vgpr13
	v_cmpx_ge_u32_e64 v34, v16
	s_xor_b32 s2, exec_lo, s2
	s_cbranch_execz .LBB1389_141
; %bb.140:
	s_wait_dscnt 0x5
	v_xor_b32_e32 v12, 0xfffffbff, v0
                                        ; implicit-def: $vgpr34_vgpr35
	s_delay_alu instid0(VALU_DEP_1) | instskip(NEXT) | instid1(VALU_DEP_1)
	v_ashrrev_i32_e32 v13, 31, v12
	v_add_nc_u64_e32 v[12:13], v[42:43], v[12:13]
.LBB1389_141:
	s_and_not1_saveexec_b32 s2, s2
	s_cbranch_execz .LBB1389_143
; %bb.142:
	s_wait_dscnt 0x5
	v_add_nc_u64_e32 v[12:13], v[2:3], v[34:35]
.LBB1389_143:
	s_or_b32 exec_lo, exec_lo, s2
	s_wait_dscnt 0x5
	s_delay_alu instid0(VALU_DEP_1) | instskip(SKIP_4) | instid1(SALU_CYCLE_1)
	v_lshl_add_u64 v[12:13], v[12:13], 2, s[16:17]
	s_wait_dscnt 0x4
	global_store_b32 v[12:13], v10, off
	s_wait_xcnt 0x0
	s_or_b32 exec_lo, exec_lo, s1
	s_mov_b32 s1, exec_lo
	v_cmpx_gt_u32_e64 s23, v32
	s_cbranch_execnz .LBB1389_175
.LBB1389_144:
	s_or_b32 exec_lo, exec_lo, s1
	s_delay_alu instid0(SALU_CYCLE_1)
	s_mov_b32 s1, exec_lo
	v_cmpx_gt_u32_e64 s23, v30
	s_cbranch_execz .LBB1389_180
.LBB1389_145:
	s_mov_b32 s2, exec_lo
                                        ; implicit-def: $vgpr10_vgpr11
	v_cmpx_ge_u32_e64 v30, v16
	s_xor_b32 s2, exec_lo, s2
	s_cbranch_execz .LBB1389_147
; %bb.146:
	s_wait_dscnt 0x4
	v_xor_b32_e32 v10, 0xfffff9ff, v0
                                        ; implicit-def: $vgpr30_vgpr31
	s_delay_alu instid0(VALU_DEP_1) | instskip(NEXT) | instid1(VALU_DEP_1)
	v_ashrrev_i32_e32 v11, 31, v10
	v_add_nc_u64_e32 v[10:11], v[42:43], v[10:11]
.LBB1389_147:
	s_and_not1_saveexec_b32 s2, s2
	s_cbranch_execz .LBB1389_149
; %bb.148:
	s_wait_dscnt 0x4
	v_add_nc_u64_e32 v[10:11], v[2:3], v[30:31]
.LBB1389_149:
	s_or_b32 exec_lo, exec_lo, s2
	s_wait_dscnt 0x4
	s_delay_alu instid0(VALU_DEP_1) | instskip(SKIP_4) | instid1(SALU_CYCLE_1)
	v_lshl_add_u64 v[10:11], v[10:11], 2, s[16:17]
	s_wait_dscnt 0x3
	global_store_b32 v[10:11], v8, off
	s_wait_xcnt 0x0
	s_or_b32 exec_lo, exec_lo, s1
	s_mov_b32 s1, exec_lo
	v_cmpx_gt_u32_e64 s23, v28
	s_cbranch_execnz .LBB1389_181
.LBB1389_150:
	s_or_b32 exec_lo, exec_lo, s1
	s_delay_alu instid0(SALU_CYCLE_1)
	s_mov_b32 s1, exec_lo
	v_cmpx_gt_u32_e64 s23, v26
	s_cbranch_execz .LBB1389_186
.LBB1389_151:
	s_mov_b32 s2, exec_lo
                                        ; implicit-def: $vgpr8_vgpr9
	v_cmpx_ge_u32_e64 v26, v16
	s_xor_b32 s2, exec_lo, s2
	s_cbranch_execz .LBB1389_153
; %bb.152:
	s_wait_dscnt 0x3
	v_xor_b32_e32 v8, 0xfffff7ff, v0
                                        ; implicit-def: $vgpr26_vgpr27
	s_delay_alu instid0(VALU_DEP_1) | instskip(NEXT) | instid1(VALU_DEP_1)
	v_ashrrev_i32_e32 v9, 31, v8
	v_add_nc_u64_e32 v[8:9], v[42:43], v[8:9]
.LBB1389_153:
	s_and_not1_saveexec_b32 s2, s2
	s_cbranch_execz .LBB1389_155
; %bb.154:
	s_wait_dscnt 0x3
	v_add_nc_u64_e32 v[8:9], v[2:3], v[26:27]
.LBB1389_155:
	s_or_b32 exec_lo, exec_lo, s2
	s_wait_dscnt 0x3
	s_delay_alu instid0(VALU_DEP_1) | instskip(SKIP_4) | instid1(SALU_CYCLE_1)
	v_lshl_add_u64 v[8:9], v[8:9], 2, s[16:17]
	s_wait_dscnt 0x2
	global_store_b32 v[8:9], v6, off
	s_wait_xcnt 0x0
	s_or_b32 exec_lo, exec_lo, s1
	s_mov_b32 s1, exec_lo
	v_cmpx_gt_u32_e64 s23, v24
	s_cbranch_execnz .LBB1389_187
.LBB1389_156:
	s_or_b32 exec_lo, exec_lo, s1
	s_delay_alu instid0(SALU_CYCLE_1)
	s_mov_b32 s1, exec_lo
	v_cmpx_gt_u32_e64 s23, v22
	s_cbranch_execz .LBB1389_192
.LBB1389_157:
	s_mov_b32 s2, exec_lo
                                        ; implicit-def: $vgpr6_vgpr7
	v_cmpx_ge_u32_e64 v22, v16
	s_xor_b32 s2, exec_lo, s2
	s_cbranch_execz .LBB1389_159
; %bb.158:
	s_wait_dscnt 0x2
	v_xor_b32_e32 v6, 0xfffff5ff, v0
                                        ; implicit-def: $vgpr22_vgpr23
	s_delay_alu instid0(VALU_DEP_1) | instskip(NEXT) | instid1(VALU_DEP_1)
	v_ashrrev_i32_e32 v7, 31, v6
	v_add_nc_u64_e32 v[6:7], v[42:43], v[6:7]
.LBB1389_159:
	s_and_not1_saveexec_b32 s2, s2
	s_cbranch_execz .LBB1389_161
; %bb.160:
	s_wait_dscnt 0x2
	v_add_nc_u64_e32 v[6:7], v[2:3], v[22:23]
.LBB1389_161:
	s_or_b32 exec_lo, exec_lo, s2
	s_wait_dscnt 0x2
	s_delay_alu instid0(VALU_DEP_1) | instskip(SKIP_4) | instid1(SALU_CYCLE_1)
	v_lshl_add_u64 v[6:7], v[6:7], 2, s[16:17]
	s_wait_dscnt 0x1
	global_store_b32 v[6:7], v4, off
	s_wait_xcnt 0x0
	s_or_b32 exec_lo, exec_lo, s1
	s_mov_b32 s1, exec_lo
	v_cmpx_gt_u32_e64 s23, v20
	s_cbranch_execz .LBB1389_198
	s_branch .LBB1389_193
.LBB1389_162:
	s_or_b32 exec_lo, exec_lo, s1
	s_delay_alu instid0(SALU_CYCLE_1)
	s_mov_b32 s1, exec_lo
	v_cmpx_gt_u32_e64 s23, v40
	s_cbranch_execz .LBB1389_132
.LBB1389_163:
	s_mov_b32 s2, exec_lo
                                        ; implicit-def: $vgpr44_vgpr45
	v_cmpx_ge_u32_e64 v40, v16
	s_xor_b32 s2, exec_lo, s2
; %bb.164:
	v_xor_b32_e32 v40, 0xfffffeff, v0
	s_delay_alu instid0(VALU_DEP_1) | instskip(NEXT) | instid1(VALU_DEP_1)
	v_ashrrev_i32_e32 v41, 31, v40
	v_add_nc_u64_e32 v[44:45], v[42:43], v[40:41]
                                        ; implicit-def: $vgpr40_vgpr41
; %bb.165:
	s_and_not1_saveexec_b32 s2, s2
; %bb.166:
	v_add_nc_u64_e32 v[44:45], v[2:3], v[40:41]
; %bb.167:
	s_or_b32 exec_lo, exec_lo, s2
	s_delay_alu instid0(VALU_DEP_1) | instskip(SKIP_4) | instid1(SALU_CYCLE_1)
	v_lshl_add_u64 v[40:41], v[44:45], 2, s[16:17]
	s_wait_dscnt 0x6
	global_store_b32 v[40:41], v15, off
	s_wait_xcnt 0x0
	s_or_b32 exec_lo, exec_lo, s1
	s_mov_b32 s1, exec_lo
	v_cmpx_gt_u32_e64 s23, v38
	s_cbranch_execnz .LBB1389_133
.LBB1389_168:
	s_or_b32 exec_lo, exec_lo, s1
	s_delay_alu instid0(SALU_CYCLE_1)
	s_mov_b32 s1, exec_lo
	v_cmpx_gt_u32_e64 s23, v36
	s_cbranch_execz .LBB1389_138
.LBB1389_169:
	s_mov_b32 s2, exec_lo
                                        ; implicit-def: $vgpr14_vgpr15
	v_cmpx_ge_u32_e64 v36, v16
	s_xor_b32 s2, exec_lo, s2
	s_cbranch_execz .LBB1389_171
; %bb.170:
	s_wait_dscnt 0x6
	v_xor_b32_e32 v14, 0xfffffcff, v0
                                        ; implicit-def: $vgpr36_vgpr37
	s_delay_alu instid0(VALU_DEP_1) | instskip(NEXT) | instid1(VALU_DEP_1)
	v_ashrrev_i32_e32 v15, 31, v14
	v_add_nc_u64_e32 v[14:15], v[42:43], v[14:15]
.LBB1389_171:
	s_and_not1_saveexec_b32 s2, s2
	s_cbranch_execz .LBB1389_173
; %bb.172:
	s_wait_dscnt 0x6
	v_add_nc_u64_e32 v[14:15], v[2:3], v[36:37]
.LBB1389_173:
	s_or_b32 exec_lo, exec_lo, s2
	s_wait_dscnt 0x6
	s_delay_alu instid0(VALU_DEP_1) | instskip(SKIP_4) | instid1(SALU_CYCLE_1)
	v_lshl_add_u64 v[14:15], v[14:15], 2, s[16:17]
	s_wait_dscnt 0x5
	global_store_b32 v[14:15], v13, off
	s_wait_xcnt 0x0
	s_or_b32 exec_lo, exec_lo, s1
	s_mov_b32 s1, exec_lo
	v_cmpx_gt_u32_e64 s23, v34
	s_cbranch_execnz .LBB1389_139
.LBB1389_174:
	s_or_b32 exec_lo, exec_lo, s1
	s_delay_alu instid0(SALU_CYCLE_1)
	s_mov_b32 s1, exec_lo
	v_cmpx_gt_u32_e64 s23, v32
	s_cbranch_execz .LBB1389_144
.LBB1389_175:
	s_mov_b32 s2, exec_lo
                                        ; implicit-def: $vgpr12_vgpr13
	v_cmpx_ge_u32_e64 v32, v16
	s_xor_b32 s2, exec_lo, s2
	s_cbranch_execz .LBB1389_177
; %bb.176:
	s_wait_dscnt 0x5
	v_xor_b32_e32 v12, 0xfffffaff, v0
                                        ; implicit-def: $vgpr32_vgpr33
	s_delay_alu instid0(VALU_DEP_1) | instskip(NEXT) | instid1(VALU_DEP_1)
	v_ashrrev_i32_e32 v13, 31, v12
	v_add_nc_u64_e32 v[12:13], v[42:43], v[12:13]
.LBB1389_177:
	s_and_not1_saveexec_b32 s2, s2
	s_cbranch_execz .LBB1389_179
; %bb.178:
	s_wait_dscnt 0x5
	v_add_nc_u64_e32 v[12:13], v[2:3], v[32:33]
.LBB1389_179:
	s_or_b32 exec_lo, exec_lo, s2
	s_wait_dscnt 0x5
	s_delay_alu instid0(VALU_DEP_1) | instskip(SKIP_4) | instid1(SALU_CYCLE_1)
	v_lshl_add_u64 v[12:13], v[12:13], 2, s[16:17]
	s_wait_dscnt 0x4
	global_store_b32 v[12:13], v11, off
	s_wait_xcnt 0x0
	s_or_b32 exec_lo, exec_lo, s1
	s_mov_b32 s1, exec_lo
	v_cmpx_gt_u32_e64 s23, v30
	s_cbranch_execnz .LBB1389_145
.LBB1389_180:
	s_or_b32 exec_lo, exec_lo, s1
	s_delay_alu instid0(SALU_CYCLE_1)
	s_mov_b32 s1, exec_lo
	v_cmpx_gt_u32_e64 s23, v28
	s_cbranch_execz .LBB1389_150
.LBB1389_181:
	s_mov_b32 s2, exec_lo
                                        ; implicit-def: $vgpr10_vgpr11
	v_cmpx_ge_u32_e64 v28, v16
	s_xor_b32 s2, exec_lo, s2
	s_cbranch_execz .LBB1389_183
; %bb.182:
	s_wait_dscnt 0x4
	v_xor_b32_e32 v10, 0xfffff8ff, v0
                                        ; implicit-def: $vgpr28_vgpr29
	s_delay_alu instid0(VALU_DEP_1) | instskip(NEXT) | instid1(VALU_DEP_1)
	v_ashrrev_i32_e32 v11, 31, v10
	v_add_nc_u64_e32 v[10:11], v[42:43], v[10:11]
.LBB1389_183:
	s_and_not1_saveexec_b32 s2, s2
	s_cbranch_execz .LBB1389_185
; %bb.184:
	s_wait_dscnt 0x4
	v_add_nc_u64_e32 v[10:11], v[2:3], v[28:29]
.LBB1389_185:
	s_or_b32 exec_lo, exec_lo, s2
	s_wait_dscnt 0x4
	s_delay_alu instid0(VALU_DEP_1) | instskip(SKIP_4) | instid1(SALU_CYCLE_1)
	v_lshl_add_u64 v[10:11], v[10:11], 2, s[16:17]
	s_wait_dscnt 0x3
	global_store_b32 v[10:11], v9, off
	s_wait_xcnt 0x0
	s_or_b32 exec_lo, exec_lo, s1
	s_mov_b32 s1, exec_lo
	v_cmpx_gt_u32_e64 s23, v26
	s_cbranch_execnz .LBB1389_151
.LBB1389_186:
	s_or_b32 exec_lo, exec_lo, s1
	s_delay_alu instid0(SALU_CYCLE_1)
	s_mov_b32 s1, exec_lo
	v_cmpx_gt_u32_e64 s23, v24
	s_cbranch_execz .LBB1389_156
.LBB1389_187:
	s_mov_b32 s2, exec_lo
                                        ; implicit-def: $vgpr8_vgpr9
	v_cmpx_ge_u32_e64 v24, v16
	s_xor_b32 s2, exec_lo, s2
	s_cbranch_execz .LBB1389_189
; %bb.188:
	s_wait_dscnt 0x3
	v_xor_b32_e32 v8, 0xfffff6ff, v0
                                        ; implicit-def: $vgpr24_vgpr25
	s_delay_alu instid0(VALU_DEP_1) | instskip(NEXT) | instid1(VALU_DEP_1)
	v_ashrrev_i32_e32 v9, 31, v8
	v_add_nc_u64_e32 v[8:9], v[42:43], v[8:9]
.LBB1389_189:
	s_and_not1_saveexec_b32 s2, s2
	s_cbranch_execz .LBB1389_191
; %bb.190:
	s_wait_dscnt 0x3
	v_add_nc_u64_e32 v[8:9], v[2:3], v[24:25]
.LBB1389_191:
	s_or_b32 exec_lo, exec_lo, s2
	s_wait_dscnt 0x3
	s_delay_alu instid0(VALU_DEP_1) | instskip(SKIP_4) | instid1(SALU_CYCLE_1)
	v_lshl_add_u64 v[8:9], v[8:9], 2, s[16:17]
	s_wait_dscnt 0x2
	global_store_b32 v[8:9], v7, off
	s_wait_xcnt 0x0
	s_or_b32 exec_lo, exec_lo, s1
	s_mov_b32 s1, exec_lo
	v_cmpx_gt_u32_e64 s23, v22
	s_cbranch_execnz .LBB1389_157
.LBB1389_192:
	s_or_b32 exec_lo, exec_lo, s1
	s_delay_alu instid0(SALU_CYCLE_1)
	s_mov_b32 s1, exec_lo
	v_cmpx_gt_u32_e64 s23, v20
	s_cbranch_execz .LBB1389_198
.LBB1389_193:
	s_mov_b32 s2, exec_lo
                                        ; implicit-def: $vgpr6_vgpr7
	v_cmpx_ge_u32_e64 v20, v16
	s_xor_b32 s2, exec_lo, s2
	s_cbranch_execz .LBB1389_195
; %bb.194:
	s_wait_dscnt 0x2
	v_xor_b32_e32 v6, 0xfffff4ff, v0
                                        ; implicit-def: $vgpr20_vgpr21
	s_delay_alu instid0(VALU_DEP_1) | instskip(NEXT) | instid1(VALU_DEP_1)
	v_ashrrev_i32_e32 v7, 31, v6
	v_add_nc_u64_e32 v[6:7], v[42:43], v[6:7]
.LBB1389_195:
	s_and_not1_saveexec_b32 s2, s2
	s_cbranch_execz .LBB1389_197
; %bb.196:
	s_wait_dscnt 0x2
	v_add_nc_u64_e32 v[6:7], v[2:3], v[20:21]
.LBB1389_197:
	s_or_b32 exec_lo, exec_lo, s2
	s_wait_dscnt 0x2
	s_delay_alu instid0(VALU_DEP_1)
	v_lshl_add_u64 v[6:7], v[6:7], 2, s[16:17]
	s_wait_dscnt 0x1
	global_store_b32 v[6:7], v5, off
.LBB1389_198:
	s_wait_xcnt 0x0
	s_or_b32 exec_lo, exec_lo, s1
	s_delay_alu instid0(SALU_CYCLE_1)
	s_mov_b32 s1, exec_lo
                                        ; implicit-def: $vgpr44_vgpr45
	v_cmpx_gt_u32_e64 s23, v18
	s_cbranch_execz .LBB1389_204
; %bb.199:
	s_mov_b32 s2, exec_lo
                                        ; implicit-def: $vgpr44_vgpr45
	v_cmpx_ge_u32_e64 v18, v16
	s_xor_b32 s2, exec_lo, s2
	s_cbranch_execz .LBB1389_201
; %bb.200:
	s_wait_dscnt 0x1
	v_xor_b32_e32 v4, 0xfffff3ff, v0
                                        ; implicit-def: $vgpr18_vgpr19
	s_delay_alu instid0(VALU_DEP_1) | instskip(NEXT) | instid1(VALU_DEP_1)
	v_ashrrev_i32_e32 v5, 31, v4
	v_add_nc_u64_e32 v[44:45], v[42:43], v[4:5]
.LBB1389_201:
	s_and_not1_saveexec_b32 s2, s2
; %bb.202:
	v_add_nc_u64_e32 v[44:45], v[2:3], v[18:19]
; %bb.203:
	s_or_b32 exec_lo, exec_lo, s2
	s_delay_alu instid0(SALU_CYCLE_1)
	s_or_b32 s0, s0, exec_lo
.LBB1389_204:
	s_or_b32 exec_lo, exec_lo, s1
.LBB1389_205:
	s_and_saveexec_b32 s1, s0
	s_cbranch_execz .LBB1389_207
; %bb.206:
	s_wait_dscnt 0x1
	v_lshl_add_u64 v[4:5], v[44:45], 2, s[16:17]
	s_wait_dscnt 0x0
	global_store_b32 v[4:5], v46, off
.LBB1389_207:
	s_wait_xcnt 0x0
	s_or_b32 exec_lo, exec_lo, s1
	v_cmp_eq_u32_e32 vcc_lo, 0, v0
	s_and_b32 s0, vcc_lo, s22
	s_delay_alu instid0(SALU_CYCLE_1)
	s_and_saveexec_b32 s1, s0
	s_cbranch_execz .LBB1389_209
; %bb.208:
	v_mov_b32_e32 v17, 0
	s_delay_alu instid0(VALU_DEP_1)
	v_add_nc_u64_e32 v[0:1], v[2:3], v[16:17]
	global_store_b64 v17, v[0:1], s[8:9]
.LBB1389_209:
	s_sendmsg sendmsg(MSG_DEALLOC_VGPRS)
	s_endpgm
	.section	.rodata,"a",@progbits
	.p2align	6, 0x0
	.amdhsa_kernel _ZN7rocprim17ROCPRIM_400000_NS6detail17trampoline_kernelINS0_13select_configILj256ELj13ELNS0_17block_load_methodE3ELS4_3ELS4_3ELNS0_20block_scan_algorithmE0ELj4294967295EEENS1_25partition_config_selectorILNS1_17partition_subalgoE3EjNS0_10empty_typeEbEEZZNS1_14partition_implILS8_3ELb0ES6_jNS0_17counting_iteratorIjlEEPS9_SE_NS0_5tupleIJPjSE_EEENSF_IJSE_SE_EEES9_SG_JZNS1_25segmented_radix_sort_implINS0_14default_configELb0EPKfPfPKlPlN2at6native12_GLOBAL__N_18offset_tEEE10hipError_tPvRmT1_PNSt15iterator_traitsISY_E10value_typeET2_T3_PNSZ_IS14_E10value_typeET4_jRbjT5_S1A_jjP12ihipStream_tbEUljE_EEESV_SW_SX_S14_S18_S1A_T6_T7_T9_mT8_S1C_bDpT10_ENKUlT_T0_E_clISt17integral_constantIbLb0EES1P_EEDaS1K_S1L_EUlS1K_E_NS1_11comp_targetILNS1_3genE0ELNS1_11target_archE4294967295ELNS1_3gpuE0ELNS1_3repE0EEENS1_30default_config_static_selectorELNS0_4arch9wavefront6targetE0EEEvSY_
		.amdhsa_group_segment_fixed_size 13320
		.amdhsa_private_segment_fixed_size 0
		.amdhsa_kernarg_size 144
		.amdhsa_user_sgpr_count 2
		.amdhsa_user_sgpr_dispatch_ptr 0
		.amdhsa_user_sgpr_queue_ptr 0
		.amdhsa_user_sgpr_kernarg_segment_ptr 1
		.amdhsa_user_sgpr_dispatch_id 0
		.amdhsa_user_sgpr_kernarg_preload_length 0
		.amdhsa_user_sgpr_kernarg_preload_offset 0
		.amdhsa_user_sgpr_private_segment_size 0
		.amdhsa_wavefront_size32 1
		.amdhsa_uses_dynamic_stack 0
		.amdhsa_enable_private_segment 0
		.amdhsa_system_sgpr_workgroup_id_x 1
		.amdhsa_system_sgpr_workgroup_id_y 0
		.amdhsa_system_sgpr_workgroup_id_z 0
		.amdhsa_system_sgpr_workgroup_info 0
		.amdhsa_system_vgpr_workitem_id 0
		.amdhsa_next_free_vgpr 69
		.amdhsa_next_free_sgpr 26
		.amdhsa_named_barrier_count 0
		.amdhsa_reserve_vcc 1
		.amdhsa_float_round_mode_32 0
		.amdhsa_float_round_mode_16_64 0
		.amdhsa_float_denorm_mode_32 3
		.amdhsa_float_denorm_mode_16_64 3
		.amdhsa_fp16_overflow 0
		.amdhsa_memory_ordered 1
		.amdhsa_forward_progress 1
		.amdhsa_inst_pref_size 70
		.amdhsa_round_robin_scheduling 0
		.amdhsa_exception_fp_ieee_invalid_op 0
		.amdhsa_exception_fp_denorm_src 0
		.amdhsa_exception_fp_ieee_div_zero 0
		.amdhsa_exception_fp_ieee_overflow 0
		.amdhsa_exception_fp_ieee_underflow 0
		.amdhsa_exception_fp_ieee_inexact 0
		.amdhsa_exception_int_div_zero 0
	.end_amdhsa_kernel
	.section	.text._ZN7rocprim17ROCPRIM_400000_NS6detail17trampoline_kernelINS0_13select_configILj256ELj13ELNS0_17block_load_methodE3ELS4_3ELS4_3ELNS0_20block_scan_algorithmE0ELj4294967295EEENS1_25partition_config_selectorILNS1_17partition_subalgoE3EjNS0_10empty_typeEbEEZZNS1_14partition_implILS8_3ELb0ES6_jNS0_17counting_iteratorIjlEEPS9_SE_NS0_5tupleIJPjSE_EEENSF_IJSE_SE_EEES9_SG_JZNS1_25segmented_radix_sort_implINS0_14default_configELb0EPKfPfPKlPlN2at6native12_GLOBAL__N_18offset_tEEE10hipError_tPvRmT1_PNSt15iterator_traitsISY_E10value_typeET2_T3_PNSZ_IS14_E10value_typeET4_jRbjT5_S1A_jjP12ihipStream_tbEUljE_EEESV_SW_SX_S14_S18_S1A_T6_T7_T9_mT8_S1C_bDpT10_ENKUlT_T0_E_clISt17integral_constantIbLb0EES1P_EEDaS1K_S1L_EUlS1K_E_NS1_11comp_targetILNS1_3genE0ELNS1_11target_archE4294967295ELNS1_3gpuE0ELNS1_3repE0EEENS1_30default_config_static_selectorELNS0_4arch9wavefront6targetE0EEEvSY_,"axG",@progbits,_ZN7rocprim17ROCPRIM_400000_NS6detail17trampoline_kernelINS0_13select_configILj256ELj13ELNS0_17block_load_methodE3ELS4_3ELS4_3ELNS0_20block_scan_algorithmE0ELj4294967295EEENS1_25partition_config_selectorILNS1_17partition_subalgoE3EjNS0_10empty_typeEbEEZZNS1_14partition_implILS8_3ELb0ES6_jNS0_17counting_iteratorIjlEEPS9_SE_NS0_5tupleIJPjSE_EEENSF_IJSE_SE_EEES9_SG_JZNS1_25segmented_radix_sort_implINS0_14default_configELb0EPKfPfPKlPlN2at6native12_GLOBAL__N_18offset_tEEE10hipError_tPvRmT1_PNSt15iterator_traitsISY_E10value_typeET2_T3_PNSZ_IS14_E10value_typeET4_jRbjT5_S1A_jjP12ihipStream_tbEUljE_EEESV_SW_SX_S14_S18_S1A_T6_T7_T9_mT8_S1C_bDpT10_ENKUlT_T0_E_clISt17integral_constantIbLb0EES1P_EEDaS1K_S1L_EUlS1K_E_NS1_11comp_targetILNS1_3genE0ELNS1_11target_archE4294967295ELNS1_3gpuE0ELNS1_3repE0EEENS1_30default_config_static_selectorELNS0_4arch9wavefront6targetE0EEEvSY_,comdat
.Lfunc_end1389:
	.size	_ZN7rocprim17ROCPRIM_400000_NS6detail17trampoline_kernelINS0_13select_configILj256ELj13ELNS0_17block_load_methodE3ELS4_3ELS4_3ELNS0_20block_scan_algorithmE0ELj4294967295EEENS1_25partition_config_selectorILNS1_17partition_subalgoE3EjNS0_10empty_typeEbEEZZNS1_14partition_implILS8_3ELb0ES6_jNS0_17counting_iteratorIjlEEPS9_SE_NS0_5tupleIJPjSE_EEENSF_IJSE_SE_EEES9_SG_JZNS1_25segmented_radix_sort_implINS0_14default_configELb0EPKfPfPKlPlN2at6native12_GLOBAL__N_18offset_tEEE10hipError_tPvRmT1_PNSt15iterator_traitsISY_E10value_typeET2_T3_PNSZ_IS14_E10value_typeET4_jRbjT5_S1A_jjP12ihipStream_tbEUljE_EEESV_SW_SX_S14_S18_S1A_T6_T7_T9_mT8_S1C_bDpT10_ENKUlT_T0_E_clISt17integral_constantIbLb0EES1P_EEDaS1K_S1L_EUlS1K_E_NS1_11comp_targetILNS1_3genE0ELNS1_11target_archE4294967295ELNS1_3gpuE0ELNS1_3repE0EEENS1_30default_config_static_selectorELNS0_4arch9wavefront6targetE0EEEvSY_, .Lfunc_end1389-_ZN7rocprim17ROCPRIM_400000_NS6detail17trampoline_kernelINS0_13select_configILj256ELj13ELNS0_17block_load_methodE3ELS4_3ELS4_3ELNS0_20block_scan_algorithmE0ELj4294967295EEENS1_25partition_config_selectorILNS1_17partition_subalgoE3EjNS0_10empty_typeEbEEZZNS1_14partition_implILS8_3ELb0ES6_jNS0_17counting_iteratorIjlEEPS9_SE_NS0_5tupleIJPjSE_EEENSF_IJSE_SE_EEES9_SG_JZNS1_25segmented_radix_sort_implINS0_14default_configELb0EPKfPfPKlPlN2at6native12_GLOBAL__N_18offset_tEEE10hipError_tPvRmT1_PNSt15iterator_traitsISY_E10value_typeET2_T3_PNSZ_IS14_E10value_typeET4_jRbjT5_S1A_jjP12ihipStream_tbEUljE_EEESV_SW_SX_S14_S18_S1A_T6_T7_T9_mT8_S1C_bDpT10_ENKUlT_T0_E_clISt17integral_constantIbLb0EES1P_EEDaS1K_S1L_EUlS1K_E_NS1_11comp_targetILNS1_3genE0ELNS1_11target_archE4294967295ELNS1_3gpuE0ELNS1_3repE0EEENS1_30default_config_static_selectorELNS0_4arch9wavefront6targetE0EEEvSY_
                                        ; -- End function
	.set _ZN7rocprim17ROCPRIM_400000_NS6detail17trampoline_kernelINS0_13select_configILj256ELj13ELNS0_17block_load_methodE3ELS4_3ELS4_3ELNS0_20block_scan_algorithmE0ELj4294967295EEENS1_25partition_config_selectorILNS1_17partition_subalgoE3EjNS0_10empty_typeEbEEZZNS1_14partition_implILS8_3ELb0ES6_jNS0_17counting_iteratorIjlEEPS9_SE_NS0_5tupleIJPjSE_EEENSF_IJSE_SE_EEES9_SG_JZNS1_25segmented_radix_sort_implINS0_14default_configELb0EPKfPfPKlPlN2at6native12_GLOBAL__N_18offset_tEEE10hipError_tPvRmT1_PNSt15iterator_traitsISY_E10value_typeET2_T3_PNSZ_IS14_E10value_typeET4_jRbjT5_S1A_jjP12ihipStream_tbEUljE_EEESV_SW_SX_S14_S18_S1A_T6_T7_T9_mT8_S1C_bDpT10_ENKUlT_T0_E_clISt17integral_constantIbLb0EES1P_EEDaS1K_S1L_EUlS1K_E_NS1_11comp_targetILNS1_3genE0ELNS1_11target_archE4294967295ELNS1_3gpuE0ELNS1_3repE0EEENS1_30default_config_static_selectorELNS0_4arch9wavefront6targetE0EEEvSY_.num_vgpr, 69
	.set _ZN7rocprim17ROCPRIM_400000_NS6detail17trampoline_kernelINS0_13select_configILj256ELj13ELNS0_17block_load_methodE3ELS4_3ELS4_3ELNS0_20block_scan_algorithmE0ELj4294967295EEENS1_25partition_config_selectorILNS1_17partition_subalgoE3EjNS0_10empty_typeEbEEZZNS1_14partition_implILS8_3ELb0ES6_jNS0_17counting_iteratorIjlEEPS9_SE_NS0_5tupleIJPjSE_EEENSF_IJSE_SE_EEES9_SG_JZNS1_25segmented_radix_sort_implINS0_14default_configELb0EPKfPfPKlPlN2at6native12_GLOBAL__N_18offset_tEEE10hipError_tPvRmT1_PNSt15iterator_traitsISY_E10value_typeET2_T3_PNSZ_IS14_E10value_typeET4_jRbjT5_S1A_jjP12ihipStream_tbEUljE_EEESV_SW_SX_S14_S18_S1A_T6_T7_T9_mT8_S1C_bDpT10_ENKUlT_T0_E_clISt17integral_constantIbLb0EES1P_EEDaS1K_S1L_EUlS1K_E_NS1_11comp_targetILNS1_3genE0ELNS1_11target_archE4294967295ELNS1_3gpuE0ELNS1_3repE0EEENS1_30default_config_static_selectorELNS0_4arch9wavefront6targetE0EEEvSY_.num_agpr, 0
	.set _ZN7rocprim17ROCPRIM_400000_NS6detail17trampoline_kernelINS0_13select_configILj256ELj13ELNS0_17block_load_methodE3ELS4_3ELS4_3ELNS0_20block_scan_algorithmE0ELj4294967295EEENS1_25partition_config_selectorILNS1_17partition_subalgoE3EjNS0_10empty_typeEbEEZZNS1_14partition_implILS8_3ELb0ES6_jNS0_17counting_iteratorIjlEEPS9_SE_NS0_5tupleIJPjSE_EEENSF_IJSE_SE_EEES9_SG_JZNS1_25segmented_radix_sort_implINS0_14default_configELb0EPKfPfPKlPlN2at6native12_GLOBAL__N_18offset_tEEE10hipError_tPvRmT1_PNSt15iterator_traitsISY_E10value_typeET2_T3_PNSZ_IS14_E10value_typeET4_jRbjT5_S1A_jjP12ihipStream_tbEUljE_EEESV_SW_SX_S14_S18_S1A_T6_T7_T9_mT8_S1C_bDpT10_ENKUlT_T0_E_clISt17integral_constantIbLb0EES1P_EEDaS1K_S1L_EUlS1K_E_NS1_11comp_targetILNS1_3genE0ELNS1_11target_archE4294967295ELNS1_3gpuE0ELNS1_3repE0EEENS1_30default_config_static_selectorELNS0_4arch9wavefront6targetE0EEEvSY_.numbered_sgpr, 26
	.set _ZN7rocprim17ROCPRIM_400000_NS6detail17trampoline_kernelINS0_13select_configILj256ELj13ELNS0_17block_load_methodE3ELS4_3ELS4_3ELNS0_20block_scan_algorithmE0ELj4294967295EEENS1_25partition_config_selectorILNS1_17partition_subalgoE3EjNS0_10empty_typeEbEEZZNS1_14partition_implILS8_3ELb0ES6_jNS0_17counting_iteratorIjlEEPS9_SE_NS0_5tupleIJPjSE_EEENSF_IJSE_SE_EEES9_SG_JZNS1_25segmented_radix_sort_implINS0_14default_configELb0EPKfPfPKlPlN2at6native12_GLOBAL__N_18offset_tEEE10hipError_tPvRmT1_PNSt15iterator_traitsISY_E10value_typeET2_T3_PNSZ_IS14_E10value_typeET4_jRbjT5_S1A_jjP12ihipStream_tbEUljE_EEESV_SW_SX_S14_S18_S1A_T6_T7_T9_mT8_S1C_bDpT10_ENKUlT_T0_E_clISt17integral_constantIbLb0EES1P_EEDaS1K_S1L_EUlS1K_E_NS1_11comp_targetILNS1_3genE0ELNS1_11target_archE4294967295ELNS1_3gpuE0ELNS1_3repE0EEENS1_30default_config_static_selectorELNS0_4arch9wavefront6targetE0EEEvSY_.num_named_barrier, 0
	.set _ZN7rocprim17ROCPRIM_400000_NS6detail17trampoline_kernelINS0_13select_configILj256ELj13ELNS0_17block_load_methodE3ELS4_3ELS4_3ELNS0_20block_scan_algorithmE0ELj4294967295EEENS1_25partition_config_selectorILNS1_17partition_subalgoE3EjNS0_10empty_typeEbEEZZNS1_14partition_implILS8_3ELb0ES6_jNS0_17counting_iteratorIjlEEPS9_SE_NS0_5tupleIJPjSE_EEENSF_IJSE_SE_EEES9_SG_JZNS1_25segmented_radix_sort_implINS0_14default_configELb0EPKfPfPKlPlN2at6native12_GLOBAL__N_18offset_tEEE10hipError_tPvRmT1_PNSt15iterator_traitsISY_E10value_typeET2_T3_PNSZ_IS14_E10value_typeET4_jRbjT5_S1A_jjP12ihipStream_tbEUljE_EEESV_SW_SX_S14_S18_S1A_T6_T7_T9_mT8_S1C_bDpT10_ENKUlT_T0_E_clISt17integral_constantIbLb0EES1P_EEDaS1K_S1L_EUlS1K_E_NS1_11comp_targetILNS1_3genE0ELNS1_11target_archE4294967295ELNS1_3gpuE0ELNS1_3repE0EEENS1_30default_config_static_selectorELNS0_4arch9wavefront6targetE0EEEvSY_.private_seg_size, 0
	.set _ZN7rocprim17ROCPRIM_400000_NS6detail17trampoline_kernelINS0_13select_configILj256ELj13ELNS0_17block_load_methodE3ELS4_3ELS4_3ELNS0_20block_scan_algorithmE0ELj4294967295EEENS1_25partition_config_selectorILNS1_17partition_subalgoE3EjNS0_10empty_typeEbEEZZNS1_14partition_implILS8_3ELb0ES6_jNS0_17counting_iteratorIjlEEPS9_SE_NS0_5tupleIJPjSE_EEENSF_IJSE_SE_EEES9_SG_JZNS1_25segmented_radix_sort_implINS0_14default_configELb0EPKfPfPKlPlN2at6native12_GLOBAL__N_18offset_tEEE10hipError_tPvRmT1_PNSt15iterator_traitsISY_E10value_typeET2_T3_PNSZ_IS14_E10value_typeET4_jRbjT5_S1A_jjP12ihipStream_tbEUljE_EEESV_SW_SX_S14_S18_S1A_T6_T7_T9_mT8_S1C_bDpT10_ENKUlT_T0_E_clISt17integral_constantIbLb0EES1P_EEDaS1K_S1L_EUlS1K_E_NS1_11comp_targetILNS1_3genE0ELNS1_11target_archE4294967295ELNS1_3gpuE0ELNS1_3repE0EEENS1_30default_config_static_selectorELNS0_4arch9wavefront6targetE0EEEvSY_.uses_vcc, 1
	.set _ZN7rocprim17ROCPRIM_400000_NS6detail17trampoline_kernelINS0_13select_configILj256ELj13ELNS0_17block_load_methodE3ELS4_3ELS4_3ELNS0_20block_scan_algorithmE0ELj4294967295EEENS1_25partition_config_selectorILNS1_17partition_subalgoE3EjNS0_10empty_typeEbEEZZNS1_14partition_implILS8_3ELb0ES6_jNS0_17counting_iteratorIjlEEPS9_SE_NS0_5tupleIJPjSE_EEENSF_IJSE_SE_EEES9_SG_JZNS1_25segmented_radix_sort_implINS0_14default_configELb0EPKfPfPKlPlN2at6native12_GLOBAL__N_18offset_tEEE10hipError_tPvRmT1_PNSt15iterator_traitsISY_E10value_typeET2_T3_PNSZ_IS14_E10value_typeET4_jRbjT5_S1A_jjP12ihipStream_tbEUljE_EEESV_SW_SX_S14_S18_S1A_T6_T7_T9_mT8_S1C_bDpT10_ENKUlT_T0_E_clISt17integral_constantIbLb0EES1P_EEDaS1K_S1L_EUlS1K_E_NS1_11comp_targetILNS1_3genE0ELNS1_11target_archE4294967295ELNS1_3gpuE0ELNS1_3repE0EEENS1_30default_config_static_selectorELNS0_4arch9wavefront6targetE0EEEvSY_.uses_flat_scratch, 0
	.set _ZN7rocprim17ROCPRIM_400000_NS6detail17trampoline_kernelINS0_13select_configILj256ELj13ELNS0_17block_load_methodE3ELS4_3ELS4_3ELNS0_20block_scan_algorithmE0ELj4294967295EEENS1_25partition_config_selectorILNS1_17partition_subalgoE3EjNS0_10empty_typeEbEEZZNS1_14partition_implILS8_3ELb0ES6_jNS0_17counting_iteratorIjlEEPS9_SE_NS0_5tupleIJPjSE_EEENSF_IJSE_SE_EEES9_SG_JZNS1_25segmented_radix_sort_implINS0_14default_configELb0EPKfPfPKlPlN2at6native12_GLOBAL__N_18offset_tEEE10hipError_tPvRmT1_PNSt15iterator_traitsISY_E10value_typeET2_T3_PNSZ_IS14_E10value_typeET4_jRbjT5_S1A_jjP12ihipStream_tbEUljE_EEESV_SW_SX_S14_S18_S1A_T6_T7_T9_mT8_S1C_bDpT10_ENKUlT_T0_E_clISt17integral_constantIbLb0EES1P_EEDaS1K_S1L_EUlS1K_E_NS1_11comp_targetILNS1_3genE0ELNS1_11target_archE4294967295ELNS1_3gpuE0ELNS1_3repE0EEENS1_30default_config_static_selectorELNS0_4arch9wavefront6targetE0EEEvSY_.has_dyn_sized_stack, 0
	.set _ZN7rocprim17ROCPRIM_400000_NS6detail17trampoline_kernelINS0_13select_configILj256ELj13ELNS0_17block_load_methodE3ELS4_3ELS4_3ELNS0_20block_scan_algorithmE0ELj4294967295EEENS1_25partition_config_selectorILNS1_17partition_subalgoE3EjNS0_10empty_typeEbEEZZNS1_14partition_implILS8_3ELb0ES6_jNS0_17counting_iteratorIjlEEPS9_SE_NS0_5tupleIJPjSE_EEENSF_IJSE_SE_EEES9_SG_JZNS1_25segmented_radix_sort_implINS0_14default_configELb0EPKfPfPKlPlN2at6native12_GLOBAL__N_18offset_tEEE10hipError_tPvRmT1_PNSt15iterator_traitsISY_E10value_typeET2_T3_PNSZ_IS14_E10value_typeET4_jRbjT5_S1A_jjP12ihipStream_tbEUljE_EEESV_SW_SX_S14_S18_S1A_T6_T7_T9_mT8_S1C_bDpT10_ENKUlT_T0_E_clISt17integral_constantIbLb0EES1P_EEDaS1K_S1L_EUlS1K_E_NS1_11comp_targetILNS1_3genE0ELNS1_11target_archE4294967295ELNS1_3gpuE0ELNS1_3repE0EEENS1_30default_config_static_selectorELNS0_4arch9wavefront6targetE0EEEvSY_.has_recursion, 0
	.set _ZN7rocprim17ROCPRIM_400000_NS6detail17trampoline_kernelINS0_13select_configILj256ELj13ELNS0_17block_load_methodE3ELS4_3ELS4_3ELNS0_20block_scan_algorithmE0ELj4294967295EEENS1_25partition_config_selectorILNS1_17partition_subalgoE3EjNS0_10empty_typeEbEEZZNS1_14partition_implILS8_3ELb0ES6_jNS0_17counting_iteratorIjlEEPS9_SE_NS0_5tupleIJPjSE_EEENSF_IJSE_SE_EEES9_SG_JZNS1_25segmented_radix_sort_implINS0_14default_configELb0EPKfPfPKlPlN2at6native12_GLOBAL__N_18offset_tEEE10hipError_tPvRmT1_PNSt15iterator_traitsISY_E10value_typeET2_T3_PNSZ_IS14_E10value_typeET4_jRbjT5_S1A_jjP12ihipStream_tbEUljE_EEESV_SW_SX_S14_S18_S1A_T6_T7_T9_mT8_S1C_bDpT10_ENKUlT_T0_E_clISt17integral_constantIbLb0EES1P_EEDaS1K_S1L_EUlS1K_E_NS1_11comp_targetILNS1_3genE0ELNS1_11target_archE4294967295ELNS1_3gpuE0ELNS1_3repE0EEENS1_30default_config_static_selectorELNS0_4arch9wavefront6targetE0EEEvSY_.has_indirect_call, 0
	.section	.AMDGPU.csdata,"",@progbits
; Kernel info:
; codeLenInByte = 8920
; TotalNumSgprs: 28
; NumVgprs: 69
; ScratchSize: 0
; MemoryBound: 0
; FloatMode: 240
; IeeeMode: 1
; LDSByteSize: 13320 bytes/workgroup (compile time only)
; SGPRBlocks: 0
; VGPRBlocks: 4
; NumSGPRsForWavesPerEU: 28
; NumVGPRsForWavesPerEU: 69
; NamedBarCnt: 0
; Occupancy: 12
; WaveLimiterHint : 0
; COMPUTE_PGM_RSRC2:SCRATCH_EN: 0
; COMPUTE_PGM_RSRC2:USER_SGPR: 2
; COMPUTE_PGM_RSRC2:TRAP_HANDLER: 0
; COMPUTE_PGM_RSRC2:TGID_X_EN: 1
; COMPUTE_PGM_RSRC2:TGID_Y_EN: 0
; COMPUTE_PGM_RSRC2:TGID_Z_EN: 0
; COMPUTE_PGM_RSRC2:TIDIG_COMP_CNT: 0
	.section	.text._ZN7rocprim17ROCPRIM_400000_NS6detail17trampoline_kernelINS0_13select_configILj256ELj13ELNS0_17block_load_methodE3ELS4_3ELS4_3ELNS0_20block_scan_algorithmE0ELj4294967295EEENS1_25partition_config_selectorILNS1_17partition_subalgoE3EjNS0_10empty_typeEbEEZZNS1_14partition_implILS8_3ELb0ES6_jNS0_17counting_iteratorIjlEEPS9_SE_NS0_5tupleIJPjSE_EEENSF_IJSE_SE_EEES9_SG_JZNS1_25segmented_radix_sort_implINS0_14default_configELb0EPKfPfPKlPlN2at6native12_GLOBAL__N_18offset_tEEE10hipError_tPvRmT1_PNSt15iterator_traitsISY_E10value_typeET2_T3_PNSZ_IS14_E10value_typeET4_jRbjT5_S1A_jjP12ihipStream_tbEUljE_EEESV_SW_SX_S14_S18_S1A_T6_T7_T9_mT8_S1C_bDpT10_ENKUlT_T0_E_clISt17integral_constantIbLb0EES1P_EEDaS1K_S1L_EUlS1K_E_NS1_11comp_targetILNS1_3genE5ELNS1_11target_archE942ELNS1_3gpuE9ELNS1_3repE0EEENS1_30default_config_static_selectorELNS0_4arch9wavefront6targetE0EEEvSY_,"axG",@progbits,_ZN7rocprim17ROCPRIM_400000_NS6detail17trampoline_kernelINS0_13select_configILj256ELj13ELNS0_17block_load_methodE3ELS4_3ELS4_3ELNS0_20block_scan_algorithmE0ELj4294967295EEENS1_25partition_config_selectorILNS1_17partition_subalgoE3EjNS0_10empty_typeEbEEZZNS1_14partition_implILS8_3ELb0ES6_jNS0_17counting_iteratorIjlEEPS9_SE_NS0_5tupleIJPjSE_EEENSF_IJSE_SE_EEES9_SG_JZNS1_25segmented_radix_sort_implINS0_14default_configELb0EPKfPfPKlPlN2at6native12_GLOBAL__N_18offset_tEEE10hipError_tPvRmT1_PNSt15iterator_traitsISY_E10value_typeET2_T3_PNSZ_IS14_E10value_typeET4_jRbjT5_S1A_jjP12ihipStream_tbEUljE_EEESV_SW_SX_S14_S18_S1A_T6_T7_T9_mT8_S1C_bDpT10_ENKUlT_T0_E_clISt17integral_constantIbLb0EES1P_EEDaS1K_S1L_EUlS1K_E_NS1_11comp_targetILNS1_3genE5ELNS1_11target_archE942ELNS1_3gpuE9ELNS1_3repE0EEENS1_30default_config_static_selectorELNS0_4arch9wavefront6targetE0EEEvSY_,comdat
	.globl	_ZN7rocprim17ROCPRIM_400000_NS6detail17trampoline_kernelINS0_13select_configILj256ELj13ELNS0_17block_load_methodE3ELS4_3ELS4_3ELNS0_20block_scan_algorithmE0ELj4294967295EEENS1_25partition_config_selectorILNS1_17partition_subalgoE3EjNS0_10empty_typeEbEEZZNS1_14partition_implILS8_3ELb0ES6_jNS0_17counting_iteratorIjlEEPS9_SE_NS0_5tupleIJPjSE_EEENSF_IJSE_SE_EEES9_SG_JZNS1_25segmented_radix_sort_implINS0_14default_configELb0EPKfPfPKlPlN2at6native12_GLOBAL__N_18offset_tEEE10hipError_tPvRmT1_PNSt15iterator_traitsISY_E10value_typeET2_T3_PNSZ_IS14_E10value_typeET4_jRbjT5_S1A_jjP12ihipStream_tbEUljE_EEESV_SW_SX_S14_S18_S1A_T6_T7_T9_mT8_S1C_bDpT10_ENKUlT_T0_E_clISt17integral_constantIbLb0EES1P_EEDaS1K_S1L_EUlS1K_E_NS1_11comp_targetILNS1_3genE5ELNS1_11target_archE942ELNS1_3gpuE9ELNS1_3repE0EEENS1_30default_config_static_selectorELNS0_4arch9wavefront6targetE0EEEvSY_ ; -- Begin function _ZN7rocprim17ROCPRIM_400000_NS6detail17trampoline_kernelINS0_13select_configILj256ELj13ELNS0_17block_load_methodE3ELS4_3ELS4_3ELNS0_20block_scan_algorithmE0ELj4294967295EEENS1_25partition_config_selectorILNS1_17partition_subalgoE3EjNS0_10empty_typeEbEEZZNS1_14partition_implILS8_3ELb0ES6_jNS0_17counting_iteratorIjlEEPS9_SE_NS0_5tupleIJPjSE_EEENSF_IJSE_SE_EEES9_SG_JZNS1_25segmented_radix_sort_implINS0_14default_configELb0EPKfPfPKlPlN2at6native12_GLOBAL__N_18offset_tEEE10hipError_tPvRmT1_PNSt15iterator_traitsISY_E10value_typeET2_T3_PNSZ_IS14_E10value_typeET4_jRbjT5_S1A_jjP12ihipStream_tbEUljE_EEESV_SW_SX_S14_S18_S1A_T6_T7_T9_mT8_S1C_bDpT10_ENKUlT_T0_E_clISt17integral_constantIbLb0EES1P_EEDaS1K_S1L_EUlS1K_E_NS1_11comp_targetILNS1_3genE5ELNS1_11target_archE942ELNS1_3gpuE9ELNS1_3repE0EEENS1_30default_config_static_selectorELNS0_4arch9wavefront6targetE0EEEvSY_
	.p2align	8
	.type	_ZN7rocprim17ROCPRIM_400000_NS6detail17trampoline_kernelINS0_13select_configILj256ELj13ELNS0_17block_load_methodE3ELS4_3ELS4_3ELNS0_20block_scan_algorithmE0ELj4294967295EEENS1_25partition_config_selectorILNS1_17partition_subalgoE3EjNS0_10empty_typeEbEEZZNS1_14partition_implILS8_3ELb0ES6_jNS0_17counting_iteratorIjlEEPS9_SE_NS0_5tupleIJPjSE_EEENSF_IJSE_SE_EEES9_SG_JZNS1_25segmented_radix_sort_implINS0_14default_configELb0EPKfPfPKlPlN2at6native12_GLOBAL__N_18offset_tEEE10hipError_tPvRmT1_PNSt15iterator_traitsISY_E10value_typeET2_T3_PNSZ_IS14_E10value_typeET4_jRbjT5_S1A_jjP12ihipStream_tbEUljE_EEESV_SW_SX_S14_S18_S1A_T6_T7_T9_mT8_S1C_bDpT10_ENKUlT_T0_E_clISt17integral_constantIbLb0EES1P_EEDaS1K_S1L_EUlS1K_E_NS1_11comp_targetILNS1_3genE5ELNS1_11target_archE942ELNS1_3gpuE9ELNS1_3repE0EEENS1_30default_config_static_selectorELNS0_4arch9wavefront6targetE0EEEvSY_,@function
_ZN7rocprim17ROCPRIM_400000_NS6detail17trampoline_kernelINS0_13select_configILj256ELj13ELNS0_17block_load_methodE3ELS4_3ELS4_3ELNS0_20block_scan_algorithmE0ELj4294967295EEENS1_25partition_config_selectorILNS1_17partition_subalgoE3EjNS0_10empty_typeEbEEZZNS1_14partition_implILS8_3ELb0ES6_jNS0_17counting_iteratorIjlEEPS9_SE_NS0_5tupleIJPjSE_EEENSF_IJSE_SE_EEES9_SG_JZNS1_25segmented_radix_sort_implINS0_14default_configELb0EPKfPfPKlPlN2at6native12_GLOBAL__N_18offset_tEEE10hipError_tPvRmT1_PNSt15iterator_traitsISY_E10value_typeET2_T3_PNSZ_IS14_E10value_typeET4_jRbjT5_S1A_jjP12ihipStream_tbEUljE_EEESV_SW_SX_S14_S18_S1A_T6_T7_T9_mT8_S1C_bDpT10_ENKUlT_T0_E_clISt17integral_constantIbLb0EES1P_EEDaS1K_S1L_EUlS1K_E_NS1_11comp_targetILNS1_3genE5ELNS1_11target_archE942ELNS1_3gpuE9ELNS1_3repE0EEENS1_30default_config_static_selectorELNS0_4arch9wavefront6targetE0EEEvSY_: ; @_ZN7rocprim17ROCPRIM_400000_NS6detail17trampoline_kernelINS0_13select_configILj256ELj13ELNS0_17block_load_methodE3ELS4_3ELS4_3ELNS0_20block_scan_algorithmE0ELj4294967295EEENS1_25partition_config_selectorILNS1_17partition_subalgoE3EjNS0_10empty_typeEbEEZZNS1_14partition_implILS8_3ELb0ES6_jNS0_17counting_iteratorIjlEEPS9_SE_NS0_5tupleIJPjSE_EEENSF_IJSE_SE_EEES9_SG_JZNS1_25segmented_radix_sort_implINS0_14default_configELb0EPKfPfPKlPlN2at6native12_GLOBAL__N_18offset_tEEE10hipError_tPvRmT1_PNSt15iterator_traitsISY_E10value_typeET2_T3_PNSZ_IS14_E10value_typeET4_jRbjT5_S1A_jjP12ihipStream_tbEUljE_EEESV_SW_SX_S14_S18_S1A_T6_T7_T9_mT8_S1C_bDpT10_ENKUlT_T0_E_clISt17integral_constantIbLb0EES1P_EEDaS1K_S1L_EUlS1K_E_NS1_11comp_targetILNS1_3genE5ELNS1_11target_archE942ELNS1_3gpuE9ELNS1_3repE0EEENS1_30default_config_static_selectorELNS0_4arch9wavefront6targetE0EEEvSY_
; %bb.0:
	.section	.rodata,"a",@progbits
	.p2align	6, 0x0
	.amdhsa_kernel _ZN7rocprim17ROCPRIM_400000_NS6detail17trampoline_kernelINS0_13select_configILj256ELj13ELNS0_17block_load_methodE3ELS4_3ELS4_3ELNS0_20block_scan_algorithmE0ELj4294967295EEENS1_25partition_config_selectorILNS1_17partition_subalgoE3EjNS0_10empty_typeEbEEZZNS1_14partition_implILS8_3ELb0ES6_jNS0_17counting_iteratorIjlEEPS9_SE_NS0_5tupleIJPjSE_EEENSF_IJSE_SE_EEES9_SG_JZNS1_25segmented_radix_sort_implINS0_14default_configELb0EPKfPfPKlPlN2at6native12_GLOBAL__N_18offset_tEEE10hipError_tPvRmT1_PNSt15iterator_traitsISY_E10value_typeET2_T3_PNSZ_IS14_E10value_typeET4_jRbjT5_S1A_jjP12ihipStream_tbEUljE_EEESV_SW_SX_S14_S18_S1A_T6_T7_T9_mT8_S1C_bDpT10_ENKUlT_T0_E_clISt17integral_constantIbLb0EES1P_EEDaS1K_S1L_EUlS1K_E_NS1_11comp_targetILNS1_3genE5ELNS1_11target_archE942ELNS1_3gpuE9ELNS1_3repE0EEENS1_30default_config_static_selectorELNS0_4arch9wavefront6targetE0EEEvSY_
		.amdhsa_group_segment_fixed_size 0
		.amdhsa_private_segment_fixed_size 0
		.amdhsa_kernarg_size 144
		.amdhsa_user_sgpr_count 2
		.amdhsa_user_sgpr_dispatch_ptr 0
		.amdhsa_user_sgpr_queue_ptr 0
		.amdhsa_user_sgpr_kernarg_segment_ptr 1
		.amdhsa_user_sgpr_dispatch_id 0
		.amdhsa_user_sgpr_kernarg_preload_length 0
		.amdhsa_user_sgpr_kernarg_preload_offset 0
		.amdhsa_user_sgpr_private_segment_size 0
		.amdhsa_wavefront_size32 1
		.amdhsa_uses_dynamic_stack 0
		.amdhsa_enable_private_segment 0
		.amdhsa_system_sgpr_workgroup_id_x 1
		.amdhsa_system_sgpr_workgroup_id_y 0
		.amdhsa_system_sgpr_workgroup_id_z 0
		.amdhsa_system_sgpr_workgroup_info 0
		.amdhsa_system_vgpr_workitem_id 0
		.amdhsa_next_free_vgpr 1
		.amdhsa_next_free_sgpr 1
		.amdhsa_named_barrier_count 0
		.amdhsa_reserve_vcc 0
		.amdhsa_float_round_mode_32 0
		.amdhsa_float_round_mode_16_64 0
		.amdhsa_float_denorm_mode_32 3
		.amdhsa_float_denorm_mode_16_64 3
		.amdhsa_fp16_overflow 0
		.amdhsa_memory_ordered 1
		.amdhsa_forward_progress 1
		.amdhsa_inst_pref_size 0
		.amdhsa_round_robin_scheduling 0
		.amdhsa_exception_fp_ieee_invalid_op 0
		.amdhsa_exception_fp_denorm_src 0
		.amdhsa_exception_fp_ieee_div_zero 0
		.amdhsa_exception_fp_ieee_overflow 0
		.amdhsa_exception_fp_ieee_underflow 0
		.amdhsa_exception_fp_ieee_inexact 0
		.amdhsa_exception_int_div_zero 0
	.end_amdhsa_kernel
	.section	.text._ZN7rocprim17ROCPRIM_400000_NS6detail17trampoline_kernelINS0_13select_configILj256ELj13ELNS0_17block_load_methodE3ELS4_3ELS4_3ELNS0_20block_scan_algorithmE0ELj4294967295EEENS1_25partition_config_selectorILNS1_17partition_subalgoE3EjNS0_10empty_typeEbEEZZNS1_14partition_implILS8_3ELb0ES6_jNS0_17counting_iteratorIjlEEPS9_SE_NS0_5tupleIJPjSE_EEENSF_IJSE_SE_EEES9_SG_JZNS1_25segmented_radix_sort_implINS0_14default_configELb0EPKfPfPKlPlN2at6native12_GLOBAL__N_18offset_tEEE10hipError_tPvRmT1_PNSt15iterator_traitsISY_E10value_typeET2_T3_PNSZ_IS14_E10value_typeET4_jRbjT5_S1A_jjP12ihipStream_tbEUljE_EEESV_SW_SX_S14_S18_S1A_T6_T7_T9_mT8_S1C_bDpT10_ENKUlT_T0_E_clISt17integral_constantIbLb0EES1P_EEDaS1K_S1L_EUlS1K_E_NS1_11comp_targetILNS1_3genE5ELNS1_11target_archE942ELNS1_3gpuE9ELNS1_3repE0EEENS1_30default_config_static_selectorELNS0_4arch9wavefront6targetE0EEEvSY_,"axG",@progbits,_ZN7rocprim17ROCPRIM_400000_NS6detail17trampoline_kernelINS0_13select_configILj256ELj13ELNS0_17block_load_methodE3ELS4_3ELS4_3ELNS0_20block_scan_algorithmE0ELj4294967295EEENS1_25partition_config_selectorILNS1_17partition_subalgoE3EjNS0_10empty_typeEbEEZZNS1_14partition_implILS8_3ELb0ES6_jNS0_17counting_iteratorIjlEEPS9_SE_NS0_5tupleIJPjSE_EEENSF_IJSE_SE_EEES9_SG_JZNS1_25segmented_radix_sort_implINS0_14default_configELb0EPKfPfPKlPlN2at6native12_GLOBAL__N_18offset_tEEE10hipError_tPvRmT1_PNSt15iterator_traitsISY_E10value_typeET2_T3_PNSZ_IS14_E10value_typeET4_jRbjT5_S1A_jjP12ihipStream_tbEUljE_EEESV_SW_SX_S14_S18_S1A_T6_T7_T9_mT8_S1C_bDpT10_ENKUlT_T0_E_clISt17integral_constantIbLb0EES1P_EEDaS1K_S1L_EUlS1K_E_NS1_11comp_targetILNS1_3genE5ELNS1_11target_archE942ELNS1_3gpuE9ELNS1_3repE0EEENS1_30default_config_static_selectorELNS0_4arch9wavefront6targetE0EEEvSY_,comdat
.Lfunc_end1390:
	.size	_ZN7rocprim17ROCPRIM_400000_NS6detail17trampoline_kernelINS0_13select_configILj256ELj13ELNS0_17block_load_methodE3ELS4_3ELS4_3ELNS0_20block_scan_algorithmE0ELj4294967295EEENS1_25partition_config_selectorILNS1_17partition_subalgoE3EjNS0_10empty_typeEbEEZZNS1_14partition_implILS8_3ELb0ES6_jNS0_17counting_iteratorIjlEEPS9_SE_NS0_5tupleIJPjSE_EEENSF_IJSE_SE_EEES9_SG_JZNS1_25segmented_radix_sort_implINS0_14default_configELb0EPKfPfPKlPlN2at6native12_GLOBAL__N_18offset_tEEE10hipError_tPvRmT1_PNSt15iterator_traitsISY_E10value_typeET2_T3_PNSZ_IS14_E10value_typeET4_jRbjT5_S1A_jjP12ihipStream_tbEUljE_EEESV_SW_SX_S14_S18_S1A_T6_T7_T9_mT8_S1C_bDpT10_ENKUlT_T0_E_clISt17integral_constantIbLb0EES1P_EEDaS1K_S1L_EUlS1K_E_NS1_11comp_targetILNS1_3genE5ELNS1_11target_archE942ELNS1_3gpuE9ELNS1_3repE0EEENS1_30default_config_static_selectorELNS0_4arch9wavefront6targetE0EEEvSY_, .Lfunc_end1390-_ZN7rocprim17ROCPRIM_400000_NS6detail17trampoline_kernelINS0_13select_configILj256ELj13ELNS0_17block_load_methodE3ELS4_3ELS4_3ELNS0_20block_scan_algorithmE0ELj4294967295EEENS1_25partition_config_selectorILNS1_17partition_subalgoE3EjNS0_10empty_typeEbEEZZNS1_14partition_implILS8_3ELb0ES6_jNS0_17counting_iteratorIjlEEPS9_SE_NS0_5tupleIJPjSE_EEENSF_IJSE_SE_EEES9_SG_JZNS1_25segmented_radix_sort_implINS0_14default_configELb0EPKfPfPKlPlN2at6native12_GLOBAL__N_18offset_tEEE10hipError_tPvRmT1_PNSt15iterator_traitsISY_E10value_typeET2_T3_PNSZ_IS14_E10value_typeET4_jRbjT5_S1A_jjP12ihipStream_tbEUljE_EEESV_SW_SX_S14_S18_S1A_T6_T7_T9_mT8_S1C_bDpT10_ENKUlT_T0_E_clISt17integral_constantIbLb0EES1P_EEDaS1K_S1L_EUlS1K_E_NS1_11comp_targetILNS1_3genE5ELNS1_11target_archE942ELNS1_3gpuE9ELNS1_3repE0EEENS1_30default_config_static_selectorELNS0_4arch9wavefront6targetE0EEEvSY_
                                        ; -- End function
	.set _ZN7rocprim17ROCPRIM_400000_NS6detail17trampoline_kernelINS0_13select_configILj256ELj13ELNS0_17block_load_methodE3ELS4_3ELS4_3ELNS0_20block_scan_algorithmE0ELj4294967295EEENS1_25partition_config_selectorILNS1_17partition_subalgoE3EjNS0_10empty_typeEbEEZZNS1_14partition_implILS8_3ELb0ES6_jNS0_17counting_iteratorIjlEEPS9_SE_NS0_5tupleIJPjSE_EEENSF_IJSE_SE_EEES9_SG_JZNS1_25segmented_radix_sort_implINS0_14default_configELb0EPKfPfPKlPlN2at6native12_GLOBAL__N_18offset_tEEE10hipError_tPvRmT1_PNSt15iterator_traitsISY_E10value_typeET2_T3_PNSZ_IS14_E10value_typeET4_jRbjT5_S1A_jjP12ihipStream_tbEUljE_EEESV_SW_SX_S14_S18_S1A_T6_T7_T9_mT8_S1C_bDpT10_ENKUlT_T0_E_clISt17integral_constantIbLb0EES1P_EEDaS1K_S1L_EUlS1K_E_NS1_11comp_targetILNS1_3genE5ELNS1_11target_archE942ELNS1_3gpuE9ELNS1_3repE0EEENS1_30default_config_static_selectorELNS0_4arch9wavefront6targetE0EEEvSY_.num_vgpr, 0
	.set _ZN7rocprim17ROCPRIM_400000_NS6detail17trampoline_kernelINS0_13select_configILj256ELj13ELNS0_17block_load_methodE3ELS4_3ELS4_3ELNS0_20block_scan_algorithmE0ELj4294967295EEENS1_25partition_config_selectorILNS1_17partition_subalgoE3EjNS0_10empty_typeEbEEZZNS1_14partition_implILS8_3ELb0ES6_jNS0_17counting_iteratorIjlEEPS9_SE_NS0_5tupleIJPjSE_EEENSF_IJSE_SE_EEES9_SG_JZNS1_25segmented_radix_sort_implINS0_14default_configELb0EPKfPfPKlPlN2at6native12_GLOBAL__N_18offset_tEEE10hipError_tPvRmT1_PNSt15iterator_traitsISY_E10value_typeET2_T3_PNSZ_IS14_E10value_typeET4_jRbjT5_S1A_jjP12ihipStream_tbEUljE_EEESV_SW_SX_S14_S18_S1A_T6_T7_T9_mT8_S1C_bDpT10_ENKUlT_T0_E_clISt17integral_constantIbLb0EES1P_EEDaS1K_S1L_EUlS1K_E_NS1_11comp_targetILNS1_3genE5ELNS1_11target_archE942ELNS1_3gpuE9ELNS1_3repE0EEENS1_30default_config_static_selectorELNS0_4arch9wavefront6targetE0EEEvSY_.num_agpr, 0
	.set _ZN7rocprim17ROCPRIM_400000_NS6detail17trampoline_kernelINS0_13select_configILj256ELj13ELNS0_17block_load_methodE3ELS4_3ELS4_3ELNS0_20block_scan_algorithmE0ELj4294967295EEENS1_25partition_config_selectorILNS1_17partition_subalgoE3EjNS0_10empty_typeEbEEZZNS1_14partition_implILS8_3ELb0ES6_jNS0_17counting_iteratorIjlEEPS9_SE_NS0_5tupleIJPjSE_EEENSF_IJSE_SE_EEES9_SG_JZNS1_25segmented_radix_sort_implINS0_14default_configELb0EPKfPfPKlPlN2at6native12_GLOBAL__N_18offset_tEEE10hipError_tPvRmT1_PNSt15iterator_traitsISY_E10value_typeET2_T3_PNSZ_IS14_E10value_typeET4_jRbjT5_S1A_jjP12ihipStream_tbEUljE_EEESV_SW_SX_S14_S18_S1A_T6_T7_T9_mT8_S1C_bDpT10_ENKUlT_T0_E_clISt17integral_constantIbLb0EES1P_EEDaS1K_S1L_EUlS1K_E_NS1_11comp_targetILNS1_3genE5ELNS1_11target_archE942ELNS1_3gpuE9ELNS1_3repE0EEENS1_30default_config_static_selectorELNS0_4arch9wavefront6targetE0EEEvSY_.numbered_sgpr, 0
	.set _ZN7rocprim17ROCPRIM_400000_NS6detail17trampoline_kernelINS0_13select_configILj256ELj13ELNS0_17block_load_methodE3ELS4_3ELS4_3ELNS0_20block_scan_algorithmE0ELj4294967295EEENS1_25partition_config_selectorILNS1_17partition_subalgoE3EjNS0_10empty_typeEbEEZZNS1_14partition_implILS8_3ELb0ES6_jNS0_17counting_iteratorIjlEEPS9_SE_NS0_5tupleIJPjSE_EEENSF_IJSE_SE_EEES9_SG_JZNS1_25segmented_radix_sort_implINS0_14default_configELb0EPKfPfPKlPlN2at6native12_GLOBAL__N_18offset_tEEE10hipError_tPvRmT1_PNSt15iterator_traitsISY_E10value_typeET2_T3_PNSZ_IS14_E10value_typeET4_jRbjT5_S1A_jjP12ihipStream_tbEUljE_EEESV_SW_SX_S14_S18_S1A_T6_T7_T9_mT8_S1C_bDpT10_ENKUlT_T0_E_clISt17integral_constantIbLb0EES1P_EEDaS1K_S1L_EUlS1K_E_NS1_11comp_targetILNS1_3genE5ELNS1_11target_archE942ELNS1_3gpuE9ELNS1_3repE0EEENS1_30default_config_static_selectorELNS0_4arch9wavefront6targetE0EEEvSY_.num_named_barrier, 0
	.set _ZN7rocprim17ROCPRIM_400000_NS6detail17trampoline_kernelINS0_13select_configILj256ELj13ELNS0_17block_load_methodE3ELS4_3ELS4_3ELNS0_20block_scan_algorithmE0ELj4294967295EEENS1_25partition_config_selectorILNS1_17partition_subalgoE3EjNS0_10empty_typeEbEEZZNS1_14partition_implILS8_3ELb0ES6_jNS0_17counting_iteratorIjlEEPS9_SE_NS0_5tupleIJPjSE_EEENSF_IJSE_SE_EEES9_SG_JZNS1_25segmented_radix_sort_implINS0_14default_configELb0EPKfPfPKlPlN2at6native12_GLOBAL__N_18offset_tEEE10hipError_tPvRmT1_PNSt15iterator_traitsISY_E10value_typeET2_T3_PNSZ_IS14_E10value_typeET4_jRbjT5_S1A_jjP12ihipStream_tbEUljE_EEESV_SW_SX_S14_S18_S1A_T6_T7_T9_mT8_S1C_bDpT10_ENKUlT_T0_E_clISt17integral_constantIbLb0EES1P_EEDaS1K_S1L_EUlS1K_E_NS1_11comp_targetILNS1_3genE5ELNS1_11target_archE942ELNS1_3gpuE9ELNS1_3repE0EEENS1_30default_config_static_selectorELNS0_4arch9wavefront6targetE0EEEvSY_.private_seg_size, 0
	.set _ZN7rocprim17ROCPRIM_400000_NS6detail17trampoline_kernelINS0_13select_configILj256ELj13ELNS0_17block_load_methodE3ELS4_3ELS4_3ELNS0_20block_scan_algorithmE0ELj4294967295EEENS1_25partition_config_selectorILNS1_17partition_subalgoE3EjNS0_10empty_typeEbEEZZNS1_14partition_implILS8_3ELb0ES6_jNS0_17counting_iteratorIjlEEPS9_SE_NS0_5tupleIJPjSE_EEENSF_IJSE_SE_EEES9_SG_JZNS1_25segmented_radix_sort_implINS0_14default_configELb0EPKfPfPKlPlN2at6native12_GLOBAL__N_18offset_tEEE10hipError_tPvRmT1_PNSt15iterator_traitsISY_E10value_typeET2_T3_PNSZ_IS14_E10value_typeET4_jRbjT5_S1A_jjP12ihipStream_tbEUljE_EEESV_SW_SX_S14_S18_S1A_T6_T7_T9_mT8_S1C_bDpT10_ENKUlT_T0_E_clISt17integral_constantIbLb0EES1P_EEDaS1K_S1L_EUlS1K_E_NS1_11comp_targetILNS1_3genE5ELNS1_11target_archE942ELNS1_3gpuE9ELNS1_3repE0EEENS1_30default_config_static_selectorELNS0_4arch9wavefront6targetE0EEEvSY_.uses_vcc, 0
	.set _ZN7rocprim17ROCPRIM_400000_NS6detail17trampoline_kernelINS0_13select_configILj256ELj13ELNS0_17block_load_methodE3ELS4_3ELS4_3ELNS0_20block_scan_algorithmE0ELj4294967295EEENS1_25partition_config_selectorILNS1_17partition_subalgoE3EjNS0_10empty_typeEbEEZZNS1_14partition_implILS8_3ELb0ES6_jNS0_17counting_iteratorIjlEEPS9_SE_NS0_5tupleIJPjSE_EEENSF_IJSE_SE_EEES9_SG_JZNS1_25segmented_radix_sort_implINS0_14default_configELb0EPKfPfPKlPlN2at6native12_GLOBAL__N_18offset_tEEE10hipError_tPvRmT1_PNSt15iterator_traitsISY_E10value_typeET2_T3_PNSZ_IS14_E10value_typeET4_jRbjT5_S1A_jjP12ihipStream_tbEUljE_EEESV_SW_SX_S14_S18_S1A_T6_T7_T9_mT8_S1C_bDpT10_ENKUlT_T0_E_clISt17integral_constantIbLb0EES1P_EEDaS1K_S1L_EUlS1K_E_NS1_11comp_targetILNS1_3genE5ELNS1_11target_archE942ELNS1_3gpuE9ELNS1_3repE0EEENS1_30default_config_static_selectorELNS0_4arch9wavefront6targetE0EEEvSY_.uses_flat_scratch, 0
	.set _ZN7rocprim17ROCPRIM_400000_NS6detail17trampoline_kernelINS0_13select_configILj256ELj13ELNS0_17block_load_methodE3ELS4_3ELS4_3ELNS0_20block_scan_algorithmE0ELj4294967295EEENS1_25partition_config_selectorILNS1_17partition_subalgoE3EjNS0_10empty_typeEbEEZZNS1_14partition_implILS8_3ELb0ES6_jNS0_17counting_iteratorIjlEEPS9_SE_NS0_5tupleIJPjSE_EEENSF_IJSE_SE_EEES9_SG_JZNS1_25segmented_radix_sort_implINS0_14default_configELb0EPKfPfPKlPlN2at6native12_GLOBAL__N_18offset_tEEE10hipError_tPvRmT1_PNSt15iterator_traitsISY_E10value_typeET2_T3_PNSZ_IS14_E10value_typeET4_jRbjT5_S1A_jjP12ihipStream_tbEUljE_EEESV_SW_SX_S14_S18_S1A_T6_T7_T9_mT8_S1C_bDpT10_ENKUlT_T0_E_clISt17integral_constantIbLb0EES1P_EEDaS1K_S1L_EUlS1K_E_NS1_11comp_targetILNS1_3genE5ELNS1_11target_archE942ELNS1_3gpuE9ELNS1_3repE0EEENS1_30default_config_static_selectorELNS0_4arch9wavefront6targetE0EEEvSY_.has_dyn_sized_stack, 0
	.set _ZN7rocprim17ROCPRIM_400000_NS6detail17trampoline_kernelINS0_13select_configILj256ELj13ELNS0_17block_load_methodE3ELS4_3ELS4_3ELNS0_20block_scan_algorithmE0ELj4294967295EEENS1_25partition_config_selectorILNS1_17partition_subalgoE3EjNS0_10empty_typeEbEEZZNS1_14partition_implILS8_3ELb0ES6_jNS0_17counting_iteratorIjlEEPS9_SE_NS0_5tupleIJPjSE_EEENSF_IJSE_SE_EEES9_SG_JZNS1_25segmented_radix_sort_implINS0_14default_configELb0EPKfPfPKlPlN2at6native12_GLOBAL__N_18offset_tEEE10hipError_tPvRmT1_PNSt15iterator_traitsISY_E10value_typeET2_T3_PNSZ_IS14_E10value_typeET4_jRbjT5_S1A_jjP12ihipStream_tbEUljE_EEESV_SW_SX_S14_S18_S1A_T6_T7_T9_mT8_S1C_bDpT10_ENKUlT_T0_E_clISt17integral_constantIbLb0EES1P_EEDaS1K_S1L_EUlS1K_E_NS1_11comp_targetILNS1_3genE5ELNS1_11target_archE942ELNS1_3gpuE9ELNS1_3repE0EEENS1_30default_config_static_selectorELNS0_4arch9wavefront6targetE0EEEvSY_.has_recursion, 0
	.set _ZN7rocprim17ROCPRIM_400000_NS6detail17trampoline_kernelINS0_13select_configILj256ELj13ELNS0_17block_load_methodE3ELS4_3ELS4_3ELNS0_20block_scan_algorithmE0ELj4294967295EEENS1_25partition_config_selectorILNS1_17partition_subalgoE3EjNS0_10empty_typeEbEEZZNS1_14partition_implILS8_3ELb0ES6_jNS0_17counting_iteratorIjlEEPS9_SE_NS0_5tupleIJPjSE_EEENSF_IJSE_SE_EEES9_SG_JZNS1_25segmented_radix_sort_implINS0_14default_configELb0EPKfPfPKlPlN2at6native12_GLOBAL__N_18offset_tEEE10hipError_tPvRmT1_PNSt15iterator_traitsISY_E10value_typeET2_T3_PNSZ_IS14_E10value_typeET4_jRbjT5_S1A_jjP12ihipStream_tbEUljE_EEESV_SW_SX_S14_S18_S1A_T6_T7_T9_mT8_S1C_bDpT10_ENKUlT_T0_E_clISt17integral_constantIbLb0EES1P_EEDaS1K_S1L_EUlS1K_E_NS1_11comp_targetILNS1_3genE5ELNS1_11target_archE942ELNS1_3gpuE9ELNS1_3repE0EEENS1_30default_config_static_selectorELNS0_4arch9wavefront6targetE0EEEvSY_.has_indirect_call, 0
	.section	.AMDGPU.csdata,"",@progbits
; Kernel info:
; codeLenInByte = 0
; TotalNumSgprs: 0
; NumVgprs: 0
; ScratchSize: 0
; MemoryBound: 0
; FloatMode: 240
; IeeeMode: 1
; LDSByteSize: 0 bytes/workgroup (compile time only)
; SGPRBlocks: 0
; VGPRBlocks: 0
; NumSGPRsForWavesPerEU: 1
; NumVGPRsForWavesPerEU: 1
; NamedBarCnt: 0
; Occupancy: 16
; WaveLimiterHint : 0
; COMPUTE_PGM_RSRC2:SCRATCH_EN: 0
; COMPUTE_PGM_RSRC2:USER_SGPR: 2
; COMPUTE_PGM_RSRC2:TRAP_HANDLER: 0
; COMPUTE_PGM_RSRC2:TGID_X_EN: 1
; COMPUTE_PGM_RSRC2:TGID_Y_EN: 0
; COMPUTE_PGM_RSRC2:TGID_Z_EN: 0
; COMPUTE_PGM_RSRC2:TIDIG_COMP_CNT: 0
	.section	.text._ZN7rocprim17ROCPRIM_400000_NS6detail17trampoline_kernelINS0_13select_configILj256ELj13ELNS0_17block_load_methodE3ELS4_3ELS4_3ELNS0_20block_scan_algorithmE0ELj4294967295EEENS1_25partition_config_selectorILNS1_17partition_subalgoE3EjNS0_10empty_typeEbEEZZNS1_14partition_implILS8_3ELb0ES6_jNS0_17counting_iteratorIjlEEPS9_SE_NS0_5tupleIJPjSE_EEENSF_IJSE_SE_EEES9_SG_JZNS1_25segmented_radix_sort_implINS0_14default_configELb0EPKfPfPKlPlN2at6native12_GLOBAL__N_18offset_tEEE10hipError_tPvRmT1_PNSt15iterator_traitsISY_E10value_typeET2_T3_PNSZ_IS14_E10value_typeET4_jRbjT5_S1A_jjP12ihipStream_tbEUljE_EEESV_SW_SX_S14_S18_S1A_T6_T7_T9_mT8_S1C_bDpT10_ENKUlT_T0_E_clISt17integral_constantIbLb0EES1P_EEDaS1K_S1L_EUlS1K_E_NS1_11comp_targetILNS1_3genE4ELNS1_11target_archE910ELNS1_3gpuE8ELNS1_3repE0EEENS1_30default_config_static_selectorELNS0_4arch9wavefront6targetE0EEEvSY_,"axG",@progbits,_ZN7rocprim17ROCPRIM_400000_NS6detail17trampoline_kernelINS0_13select_configILj256ELj13ELNS0_17block_load_methodE3ELS4_3ELS4_3ELNS0_20block_scan_algorithmE0ELj4294967295EEENS1_25partition_config_selectorILNS1_17partition_subalgoE3EjNS0_10empty_typeEbEEZZNS1_14partition_implILS8_3ELb0ES6_jNS0_17counting_iteratorIjlEEPS9_SE_NS0_5tupleIJPjSE_EEENSF_IJSE_SE_EEES9_SG_JZNS1_25segmented_radix_sort_implINS0_14default_configELb0EPKfPfPKlPlN2at6native12_GLOBAL__N_18offset_tEEE10hipError_tPvRmT1_PNSt15iterator_traitsISY_E10value_typeET2_T3_PNSZ_IS14_E10value_typeET4_jRbjT5_S1A_jjP12ihipStream_tbEUljE_EEESV_SW_SX_S14_S18_S1A_T6_T7_T9_mT8_S1C_bDpT10_ENKUlT_T0_E_clISt17integral_constantIbLb0EES1P_EEDaS1K_S1L_EUlS1K_E_NS1_11comp_targetILNS1_3genE4ELNS1_11target_archE910ELNS1_3gpuE8ELNS1_3repE0EEENS1_30default_config_static_selectorELNS0_4arch9wavefront6targetE0EEEvSY_,comdat
	.globl	_ZN7rocprim17ROCPRIM_400000_NS6detail17trampoline_kernelINS0_13select_configILj256ELj13ELNS0_17block_load_methodE3ELS4_3ELS4_3ELNS0_20block_scan_algorithmE0ELj4294967295EEENS1_25partition_config_selectorILNS1_17partition_subalgoE3EjNS0_10empty_typeEbEEZZNS1_14partition_implILS8_3ELb0ES6_jNS0_17counting_iteratorIjlEEPS9_SE_NS0_5tupleIJPjSE_EEENSF_IJSE_SE_EEES9_SG_JZNS1_25segmented_radix_sort_implINS0_14default_configELb0EPKfPfPKlPlN2at6native12_GLOBAL__N_18offset_tEEE10hipError_tPvRmT1_PNSt15iterator_traitsISY_E10value_typeET2_T3_PNSZ_IS14_E10value_typeET4_jRbjT5_S1A_jjP12ihipStream_tbEUljE_EEESV_SW_SX_S14_S18_S1A_T6_T7_T9_mT8_S1C_bDpT10_ENKUlT_T0_E_clISt17integral_constantIbLb0EES1P_EEDaS1K_S1L_EUlS1K_E_NS1_11comp_targetILNS1_3genE4ELNS1_11target_archE910ELNS1_3gpuE8ELNS1_3repE0EEENS1_30default_config_static_selectorELNS0_4arch9wavefront6targetE0EEEvSY_ ; -- Begin function _ZN7rocprim17ROCPRIM_400000_NS6detail17trampoline_kernelINS0_13select_configILj256ELj13ELNS0_17block_load_methodE3ELS4_3ELS4_3ELNS0_20block_scan_algorithmE0ELj4294967295EEENS1_25partition_config_selectorILNS1_17partition_subalgoE3EjNS0_10empty_typeEbEEZZNS1_14partition_implILS8_3ELb0ES6_jNS0_17counting_iteratorIjlEEPS9_SE_NS0_5tupleIJPjSE_EEENSF_IJSE_SE_EEES9_SG_JZNS1_25segmented_radix_sort_implINS0_14default_configELb0EPKfPfPKlPlN2at6native12_GLOBAL__N_18offset_tEEE10hipError_tPvRmT1_PNSt15iterator_traitsISY_E10value_typeET2_T3_PNSZ_IS14_E10value_typeET4_jRbjT5_S1A_jjP12ihipStream_tbEUljE_EEESV_SW_SX_S14_S18_S1A_T6_T7_T9_mT8_S1C_bDpT10_ENKUlT_T0_E_clISt17integral_constantIbLb0EES1P_EEDaS1K_S1L_EUlS1K_E_NS1_11comp_targetILNS1_3genE4ELNS1_11target_archE910ELNS1_3gpuE8ELNS1_3repE0EEENS1_30default_config_static_selectorELNS0_4arch9wavefront6targetE0EEEvSY_
	.p2align	8
	.type	_ZN7rocprim17ROCPRIM_400000_NS6detail17trampoline_kernelINS0_13select_configILj256ELj13ELNS0_17block_load_methodE3ELS4_3ELS4_3ELNS0_20block_scan_algorithmE0ELj4294967295EEENS1_25partition_config_selectorILNS1_17partition_subalgoE3EjNS0_10empty_typeEbEEZZNS1_14partition_implILS8_3ELb0ES6_jNS0_17counting_iteratorIjlEEPS9_SE_NS0_5tupleIJPjSE_EEENSF_IJSE_SE_EEES9_SG_JZNS1_25segmented_radix_sort_implINS0_14default_configELb0EPKfPfPKlPlN2at6native12_GLOBAL__N_18offset_tEEE10hipError_tPvRmT1_PNSt15iterator_traitsISY_E10value_typeET2_T3_PNSZ_IS14_E10value_typeET4_jRbjT5_S1A_jjP12ihipStream_tbEUljE_EEESV_SW_SX_S14_S18_S1A_T6_T7_T9_mT8_S1C_bDpT10_ENKUlT_T0_E_clISt17integral_constantIbLb0EES1P_EEDaS1K_S1L_EUlS1K_E_NS1_11comp_targetILNS1_3genE4ELNS1_11target_archE910ELNS1_3gpuE8ELNS1_3repE0EEENS1_30default_config_static_selectorELNS0_4arch9wavefront6targetE0EEEvSY_,@function
_ZN7rocprim17ROCPRIM_400000_NS6detail17trampoline_kernelINS0_13select_configILj256ELj13ELNS0_17block_load_methodE3ELS4_3ELS4_3ELNS0_20block_scan_algorithmE0ELj4294967295EEENS1_25partition_config_selectorILNS1_17partition_subalgoE3EjNS0_10empty_typeEbEEZZNS1_14partition_implILS8_3ELb0ES6_jNS0_17counting_iteratorIjlEEPS9_SE_NS0_5tupleIJPjSE_EEENSF_IJSE_SE_EEES9_SG_JZNS1_25segmented_radix_sort_implINS0_14default_configELb0EPKfPfPKlPlN2at6native12_GLOBAL__N_18offset_tEEE10hipError_tPvRmT1_PNSt15iterator_traitsISY_E10value_typeET2_T3_PNSZ_IS14_E10value_typeET4_jRbjT5_S1A_jjP12ihipStream_tbEUljE_EEESV_SW_SX_S14_S18_S1A_T6_T7_T9_mT8_S1C_bDpT10_ENKUlT_T0_E_clISt17integral_constantIbLb0EES1P_EEDaS1K_S1L_EUlS1K_E_NS1_11comp_targetILNS1_3genE4ELNS1_11target_archE910ELNS1_3gpuE8ELNS1_3repE0EEENS1_30default_config_static_selectorELNS0_4arch9wavefront6targetE0EEEvSY_: ; @_ZN7rocprim17ROCPRIM_400000_NS6detail17trampoline_kernelINS0_13select_configILj256ELj13ELNS0_17block_load_methodE3ELS4_3ELS4_3ELNS0_20block_scan_algorithmE0ELj4294967295EEENS1_25partition_config_selectorILNS1_17partition_subalgoE3EjNS0_10empty_typeEbEEZZNS1_14partition_implILS8_3ELb0ES6_jNS0_17counting_iteratorIjlEEPS9_SE_NS0_5tupleIJPjSE_EEENSF_IJSE_SE_EEES9_SG_JZNS1_25segmented_radix_sort_implINS0_14default_configELb0EPKfPfPKlPlN2at6native12_GLOBAL__N_18offset_tEEE10hipError_tPvRmT1_PNSt15iterator_traitsISY_E10value_typeET2_T3_PNSZ_IS14_E10value_typeET4_jRbjT5_S1A_jjP12ihipStream_tbEUljE_EEESV_SW_SX_S14_S18_S1A_T6_T7_T9_mT8_S1C_bDpT10_ENKUlT_T0_E_clISt17integral_constantIbLb0EES1P_EEDaS1K_S1L_EUlS1K_E_NS1_11comp_targetILNS1_3genE4ELNS1_11target_archE910ELNS1_3gpuE8ELNS1_3repE0EEENS1_30default_config_static_selectorELNS0_4arch9wavefront6targetE0EEEvSY_
; %bb.0:
	.section	.rodata,"a",@progbits
	.p2align	6, 0x0
	.amdhsa_kernel _ZN7rocprim17ROCPRIM_400000_NS6detail17trampoline_kernelINS0_13select_configILj256ELj13ELNS0_17block_load_methodE3ELS4_3ELS4_3ELNS0_20block_scan_algorithmE0ELj4294967295EEENS1_25partition_config_selectorILNS1_17partition_subalgoE3EjNS0_10empty_typeEbEEZZNS1_14partition_implILS8_3ELb0ES6_jNS0_17counting_iteratorIjlEEPS9_SE_NS0_5tupleIJPjSE_EEENSF_IJSE_SE_EEES9_SG_JZNS1_25segmented_radix_sort_implINS0_14default_configELb0EPKfPfPKlPlN2at6native12_GLOBAL__N_18offset_tEEE10hipError_tPvRmT1_PNSt15iterator_traitsISY_E10value_typeET2_T3_PNSZ_IS14_E10value_typeET4_jRbjT5_S1A_jjP12ihipStream_tbEUljE_EEESV_SW_SX_S14_S18_S1A_T6_T7_T9_mT8_S1C_bDpT10_ENKUlT_T0_E_clISt17integral_constantIbLb0EES1P_EEDaS1K_S1L_EUlS1K_E_NS1_11comp_targetILNS1_3genE4ELNS1_11target_archE910ELNS1_3gpuE8ELNS1_3repE0EEENS1_30default_config_static_selectorELNS0_4arch9wavefront6targetE0EEEvSY_
		.amdhsa_group_segment_fixed_size 0
		.amdhsa_private_segment_fixed_size 0
		.amdhsa_kernarg_size 144
		.amdhsa_user_sgpr_count 2
		.amdhsa_user_sgpr_dispatch_ptr 0
		.amdhsa_user_sgpr_queue_ptr 0
		.amdhsa_user_sgpr_kernarg_segment_ptr 1
		.amdhsa_user_sgpr_dispatch_id 0
		.amdhsa_user_sgpr_kernarg_preload_length 0
		.amdhsa_user_sgpr_kernarg_preload_offset 0
		.amdhsa_user_sgpr_private_segment_size 0
		.amdhsa_wavefront_size32 1
		.amdhsa_uses_dynamic_stack 0
		.amdhsa_enable_private_segment 0
		.amdhsa_system_sgpr_workgroup_id_x 1
		.amdhsa_system_sgpr_workgroup_id_y 0
		.amdhsa_system_sgpr_workgroup_id_z 0
		.amdhsa_system_sgpr_workgroup_info 0
		.amdhsa_system_vgpr_workitem_id 0
		.amdhsa_next_free_vgpr 1
		.amdhsa_next_free_sgpr 1
		.amdhsa_named_barrier_count 0
		.amdhsa_reserve_vcc 0
		.amdhsa_float_round_mode_32 0
		.amdhsa_float_round_mode_16_64 0
		.amdhsa_float_denorm_mode_32 3
		.amdhsa_float_denorm_mode_16_64 3
		.amdhsa_fp16_overflow 0
		.amdhsa_memory_ordered 1
		.amdhsa_forward_progress 1
		.amdhsa_inst_pref_size 0
		.amdhsa_round_robin_scheduling 0
		.amdhsa_exception_fp_ieee_invalid_op 0
		.amdhsa_exception_fp_denorm_src 0
		.amdhsa_exception_fp_ieee_div_zero 0
		.amdhsa_exception_fp_ieee_overflow 0
		.amdhsa_exception_fp_ieee_underflow 0
		.amdhsa_exception_fp_ieee_inexact 0
		.amdhsa_exception_int_div_zero 0
	.end_amdhsa_kernel
	.section	.text._ZN7rocprim17ROCPRIM_400000_NS6detail17trampoline_kernelINS0_13select_configILj256ELj13ELNS0_17block_load_methodE3ELS4_3ELS4_3ELNS0_20block_scan_algorithmE0ELj4294967295EEENS1_25partition_config_selectorILNS1_17partition_subalgoE3EjNS0_10empty_typeEbEEZZNS1_14partition_implILS8_3ELb0ES6_jNS0_17counting_iteratorIjlEEPS9_SE_NS0_5tupleIJPjSE_EEENSF_IJSE_SE_EEES9_SG_JZNS1_25segmented_radix_sort_implINS0_14default_configELb0EPKfPfPKlPlN2at6native12_GLOBAL__N_18offset_tEEE10hipError_tPvRmT1_PNSt15iterator_traitsISY_E10value_typeET2_T3_PNSZ_IS14_E10value_typeET4_jRbjT5_S1A_jjP12ihipStream_tbEUljE_EEESV_SW_SX_S14_S18_S1A_T6_T7_T9_mT8_S1C_bDpT10_ENKUlT_T0_E_clISt17integral_constantIbLb0EES1P_EEDaS1K_S1L_EUlS1K_E_NS1_11comp_targetILNS1_3genE4ELNS1_11target_archE910ELNS1_3gpuE8ELNS1_3repE0EEENS1_30default_config_static_selectorELNS0_4arch9wavefront6targetE0EEEvSY_,"axG",@progbits,_ZN7rocprim17ROCPRIM_400000_NS6detail17trampoline_kernelINS0_13select_configILj256ELj13ELNS0_17block_load_methodE3ELS4_3ELS4_3ELNS0_20block_scan_algorithmE0ELj4294967295EEENS1_25partition_config_selectorILNS1_17partition_subalgoE3EjNS0_10empty_typeEbEEZZNS1_14partition_implILS8_3ELb0ES6_jNS0_17counting_iteratorIjlEEPS9_SE_NS0_5tupleIJPjSE_EEENSF_IJSE_SE_EEES9_SG_JZNS1_25segmented_radix_sort_implINS0_14default_configELb0EPKfPfPKlPlN2at6native12_GLOBAL__N_18offset_tEEE10hipError_tPvRmT1_PNSt15iterator_traitsISY_E10value_typeET2_T3_PNSZ_IS14_E10value_typeET4_jRbjT5_S1A_jjP12ihipStream_tbEUljE_EEESV_SW_SX_S14_S18_S1A_T6_T7_T9_mT8_S1C_bDpT10_ENKUlT_T0_E_clISt17integral_constantIbLb0EES1P_EEDaS1K_S1L_EUlS1K_E_NS1_11comp_targetILNS1_3genE4ELNS1_11target_archE910ELNS1_3gpuE8ELNS1_3repE0EEENS1_30default_config_static_selectorELNS0_4arch9wavefront6targetE0EEEvSY_,comdat
.Lfunc_end1391:
	.size	_ZN7rocprim17ROCPRIM_400000_NS6detail17trampoline_kernelINS0_13select_configILj256ELj13ELNS0_17block_load_methodE3ELS4_3ELS4_3ELNS0_20block_scan_algorithmE0ELj4294967295EEENS1_25partition_config_selectorILNS1_17partition_subalgoE3EjNS0_10empty_typeEbEEZZNS1_14partition_implILS8_3ELb0ES6_jNS0_17counting_iteratorIjlEEPS9_SE_NS0_5tupleIJPjSE_EEENSF_IJSE_SE_EEES9_SG_JZNS1_25segmented_radix_sort_implINS0_14default_configELb0EPKfPfPKlPlN2at6native12_GLOBAL__N_18offset_tEEE10hipError_tPvRmT1_PNSt15iterator_traitsISY_E10value_typeET2_T3_PNSZ_IS14_E10value_typeET4_jRbjT5_S1A_jjP12ihipStream_tbEUljE_EEESV_SW_SX_S14_S18_S1A_T6_T7_T9_mT8_S1C_bDpT10_ENKUlT_T0_E_clISt17integral_constantIbLb0EES1P_EEDaS1K_S1L_EUlS1K_E_NS1_11comp_targetILNS1_3genE4ELNS1_11target_archE910ELNS1_3gpuE8ELNS1_3repE0EEENS1_30default_config_static_selectorELNS0_4arch9wavefront6targetE0EEEvSY_, .Lfunc_end1391-_ZN7rocprim17ROCPRIM_400000_NS6detail17trampoline_kernelINS0_13select_configILj256ELj13ELNS0_17block_load_methodE3ELS4_3ELS4_3ELNS0_20block_scan_algorithmE0ELj4294967295EEENS1_25partition_config_selectorILNS1_17partition_subalgoE3EjNS0_10empty_typeEbEEZZNS1_14partition_implILS8_3ELb0ES6_jNS0_17counting_iteratorIjlEEPS9_SE_NS0_5tupleIJPjSE_EEENSF_IJSE_SE_EEES9_SG_JZNS1_25segmented_radix_sort_implINS0_14default_configELb0EPKfPfPKlPlN2at6native12_GLOBAL__N_18offset_tEEE10hipError_tPvRmT1_PNSt15iterator_traitsISY_E10value_typeET2_T3_PNSZ_IS14_E10value_typeET4_jRbjT5_S1A_jjP12ihipStream_tbEUljE_EEESV_SW_SX_S14_S18_S1A_T6_T7_T9_mT8_S1C_bDpT10_ENKUlT_T0_E_clISt17integral_constantIbLb0EES1P_EEDaS1K_S1L_EUlS1K_E_NS1_11comp_targetILNS1_3genE4ELNS1_11target_archE910ELNS1_3gpuE8ELNS1_3repE0EEENS1_30default_config_static_selectorELNS0_4arch9wavefront6targetE0EEEvSY_
                                        ; -- End function
	.set _ZN7rocprim17ROCPRIM_400000_NS6detail17trampoline_kernelINS0_13select_configILj256ELj13ELNS0_17block_load_methodE3ELS4_3ELS4_3ELNS0_20block_scan_algorithmE0ELj4294967295EEENS1_25partition_config_selectorILNS1_17partition_subalgoE3EjNS0_10empty_typeEbEEZZNS1_14partition_implILS8_3ELb0ES6_jNS0_17counting_iteratorIjlEEPS9_SE_NS0_5tupleIJPjSE_EEENSF_IJSE_SE_EEES9_SG_JZNS1_25segmented_radix_sort_implINS0_14default_configELb0EPKfPfPKlPlN2at6native12_GLOBAL__N_18offset_tEEE10hipError_tPvRmT1_PNSt15iterator_traitsISY_E10value_typeET2_T3_PNSZ_IS14_E10value_typeET4_jRbjT5_S1A_jjP12ihipStream_tbEUljE_EEESV_SW_SX_S14_S18_S1A_T6_T7_T9_mT8_S1C_bDpT10_ENKUlT_T0_E_clISt17integral_constantIbLb0EES1P_EEDaS1K_S1L_EUlS1K_E_NS1_11comp_targetILNS1_3genE4ELNS1_11target_archE910ELNS1_3gpuE8ELNS1_3repE0EEENS1_30default_config_static_selectorELNS0_4arch9wavefront6targetE0EEEvSY_.num_vgpr, 0
	.set _ZN7rocprim17ROCPRIM_400000_NS6detail17trampoline_kernelINS0_13select_configILj256ELj13ELNS0_17block_load_methodE3ELS4_3ELS4_3ELNS0_20block_scan_algorithmE0ELj4294967295EEENS1_25partition_config_selectorILNS1_17partition_subalgoE3EjNS0_10empty_typeEbEEZZNS1_14partition_implILS8_3ELb0ES6_jNS0_17counting_iteratorIjlEEPS9_SE_NS0_5tupleIJPjSE_EEENSF_IJSE_SE_EEES9_SG_JZNS1_25segmented_radix_sort_implINS0_14default_configELb0EPKfPfPKlPlN2at6native12_GLOBAL__N_18offset_tEEE10hipError_tPvRmT1_PNSt15iterator_traitsISY_E10value_typeET2_T3_PNSZ_IS14_E10value_typeET4_jRbjT5_S1A_jjP12ihipStream_tbEUljE_EEESV_SW_SX_S14_S18_S1A_T6_T7_T9_mT8_S1C_bDpT10_ENKUlT_T0_E_clISt17integral_constantIbLb0EES1P_EEDaS1K_S1L_EUlS1K_E_NS1_11comp_targetILNS1_3genE4ELNS1_11target_archE910ELNS1_3gpuE8ELNS1_3repE0EEENS1_30default_config_static_selectorELNS0_4arch9wavefront6targetE0EEEvSY_.num_agpr, 0
	.set _ZN7rocprim17ROCPRIM_400000_NS6detail17trampoline_kernelINS0_13select_configILj256ELj13ELNS0_17block_load_methodE3ELS4_3ELS4_3ELNS0_20block_scan_algorithmE0ELj4294967295EEENS1_25partition_config_selectorILNS1_17partition_subalgoE3EjNS0_10empty_typeEbEEZZNS1_14partition_implILS8_3ELb0ES6_jNS0_17counting_iteratorIjlEEPS9_SE_NS0_5tupleIJPjSE_EEENSF_IJSE_SE_EEES9_SG_JZNS1_25segmented_radix_sort_implINS0_14default_configELb0EPKfPfPKlPlN2at6native12_GLOBAL__N_18offset_tEEE10hipError_tPvRmT1_PNSt15iterator_traitsISY_E10value_typeET2_T3_PNSZ_IS14_E10value_typeET4_jRbjT5_S1A_jjP12ihipStream_tbEUljE_EEESV_SW_SX_S14_S18_S1A_T6_T7_T9_mT8_S1C_bDpT10_ENKUlT_T0_E_clISt17integral_constantIbLb0EES1P_EEDaS1K_S1L_EUlS1K_E_NS1_11comp_targetILNS1_3genE4ELNS1_11target_archE910ELNS1_3gpuE8ELNS1_3repE0EEENS1_30default_config_static_selectorELNS0_4arch9wavefront6targetE0EEEvSY_.numbered_sgpr, 0
	.set _ZN7rocprim17ROCPRIM_400000_NS6detail17trampoline_kernelINS0_13select_configILj256ELj13ELNS0_17block_load_methodE3ELS4_3ELS4_3ELNS0_20block_scan_algorithmE0ELj4294967295EEENS1_25partition_config_selectorILNS1_17partition_subalgoE3EjNS0_10empty_typeEbEEZZNS1_14partition_implILS8_3ELb0ES6_jNS0_17counting_iteratorIjlEEPS9_SE_NS0_5tupleIJPjSE_EEENSF_IJSE_SE_EEES9_SG_JZNS1_25segmented_radix_sort_implINS0_14default_configELb0EPKfPfPKlPlN2at6native12_GLOBAL__N_18offset_tEEE10hipError_tPvRmT1_PNSt15iterator_traitsISY_E10value_typeET2_T3_PNSZ_IS14_E10value_typeET4_jRbjT5_S1A_jjP12ihipStream_tbEUljE_EEESV_SW_SX_S14_S18_S1A_T6_T7_T9_mT8_S1C_bDpT10_ENKUlT_T0_E_clISt17integral_constantIbLb0EES1P_EEDaS1K_S1L_EUlS1K_E_NS1_11comp_targetILNS1_3genE4ELNS1_11target_archE910ELNS1_3gpuE8ELNS1_3repE0EEENS1_30default_config_static_selectorELNS0_4arch9wavefront6targetE0EEEvSY_.num_named_barrier, 0
	.set _ZN7rocprim17ROCPRIM_400000_NS6detail17trampoline_kernelINS0_13select_configILj256ELj13ELNS0_17block_load_methodE3ELS4_3ELS4_3ELNS0_20block_scan_algorithmE0ELj4294967295EEENS1_25partition_config_selectorILNS1_17partition_subalgoE3EjNS0_10empty_typeEbEEZZNS1_14partition_implILS8_3ELb0ES6_jNS0_17counting_iteratorIjlEEPS9_SE_NS0_5tupleIJPjSE_EEENSF_IJSE_SE_EEES9_SG_JZNS1_25segmented_radix_sort_implINS0_14default_configELb0EPKfPfPKlPlN2at6native12_GLOBAL__N_18offset_tEEE10hipError_tPvRmT1_PNSt15iterator_traitsISY_E10value_typeET2_T3_PNSZ_IS14_E10value_typeET4_jRbjT5_S1A_jjP12ihipStream_tbEUljE_EEESV_SW_SX_S14_S18_S1A_T6_T7_T9_mT8_S1C_bDpT10_ENKUlT_T0_E_clISt17integral_constantIbLb0EES1P_EEDaS1K_S1L_EUlS1K_E_NS1_11comp_targetILNS1_3genE4ELNS1_11target_archE910ELNS1_3gpuE8ELNS1_3repE0EEENS1_30default_config_static_selectorELNS0_4arch9wavefront6targetE0EEEvSY_.private_seg_size, 0
	.set _ZN7rocprim17ROCPRIM_400000_NS6detail17trampoline_kernelINS0_13select_configILj256ELj13ELNS0_17block_load_methodE3ELS4_3ELS4_3ELNS0_20block_scan_algorithmE0ELj4294967295EEENS1_25partition_config_selectorILNS1_17partition_subalgoE3EjNS0_10empty_typeEbEEZZNS1_14partition_implILS8_3ELb0ES6_jNS0_17counting_iteratorIjlEEPS9_SE_NS0_5tupleIJPjSE_EEENSF_IJSE_SE_EEES9_SG_JZNS1_25segmented_radix_sort_implINS0_14default_configELb0EPKfPfPKlPlN2at6native12_GLOBAL__N_18offset_tEEE10hipError_tPvRmT1_PNSt15iterator_traitsISY_E10value_typeET2_T3_PNSZ_IS14_E10value_typeET4_jRbjT5_S1A_jjP12ihipStream_tbEUljE_EEESV_SW_SX_S14_S18_S1A_T6_T7_T9_mT8_S1C_bDpT10_ENKUlT_T0_E_clISt17integral_constantIbLb0EES1P_EEDaS1K_S1L_EUlS1K_E_NS1_11comp_targetILNS1_3genE4ELNS1_11target_archE910ELNS1_3gpuE8ELNS1_3repE0EEENS1_30default_config_static_selectorELNS0_4arch9wavefront6targetE0EEEvSY_.uses_vcc, 0
	.set _ZN7rocprim17ROCPRIM_400000_NS6detail17trampoline_kernelINS0_13select_configILj256ELj13ELNS0_17block_load_methodE3ELS4_3ELS4_3ELNS0_20block_scan_algorithmE0ELj4294967295EEENS1_25partition_config_selectorILNS1_17partition_subalgoE3EjNS0_10empty_typeEbEEZZNS1_14partition_implILS8_3ELb0ES6_jNS0_17counting_iteratorIjlEEPS9_SE_NS0_5tupleIJPjSE_EEENSF_IJSE_SE_EEES9_SG_JZNS1_25segmented_radix_sort_implINS0_14default_configELb0EPKfPfPKlPlN2at6native12_GLOBAL__N_18offset_tEEE10hipError_tPvRmT1_PNSt15iterator_traitsISY_E10value_typeET2_T3_PNSZ_IS14_E10value_typeET4_jRbjT5_S1A_jjP12ihipStream_tbEUljE_EEESV_SW_SX_S14_S18_S1A_T6_T7_T9_mT8_S1C_bDpT10_ENKUlT_T0_E_clISt17integral_constantIbLb0EES1P_EEDaS1K_S1L_EUlS1K_E_NS1_11comp_targetILNS1_3genE4ELNS1_11target_archE910ELNS1_3gpuE8ELNS1_3repE0EEENS1_30default_config_static_selectorELNS0_4arch9wavefront6targetE0EEEvSY_.uses_flat_scratch, 0
	.set _ZN7rocprim17ROCPRIM_400000_NS6detail17trampoline_kernelINS0_13select_configILj256ELj13ELNS0_17block_load_methodE3ELS4_3ELS4_3ELNS0_20block_scan_algorithmE0ELj4294967295EEENS1_25partition_config_selectorILNS1_17partition_subalgoE3EjNS0_10empty_typeEbEEZZNS1_14partition_implILS8_3ELb0ES6_jNS0_17counting_iteratorIjlEEPS9_SE_NS0_5tupleIJPjSE_EEENSF_IJSE_SE_EEES9_SG_JZNS1_25segmented_radix_sort_implINS0_14default_configELb0EPKfPfPKlPlN2at6native12_GLOBAL__N_18offset_tEEE10hipError_tPvRmT1_PNSt15iterator_traitsISY_E10value_typeET2_T3_PNSZ_IS14_E10value_typeET4_jRbjT5_S1A_jjP12ihipStream_tbEUljE_EEESV_SW_SX_S14_S18_S1A_T6_T7_T9_mT8_S1C_bDpT10_ENKUlT_T0_E_clISt17integral_constantIbLb0EES1P_EEDaS1K_S1L_EUlS1K_E_NS1_11comp_targetILNS1_3genE4ELNS1_11target_archE910ELNS1_3gpuE8ELNS1_3repE0EEENS1_30default_config_static_selectorELNS0_4arch9wavefront6targetE0EEEvSY_.has_dyn_sized_stack, 0
	.set _ZN7rocprim17ROCPRIM_400000_NS6detail17trampoline_kernelINS0_13select_configILj256ELj13ELNS0_17block_load_methodE3ELS4_3ELS4_3ELNS0_20block_scan_algorithmE0ELj4294967295EEENS1_25partition_config_selectorILNS1_17partition_subalgoE3EjNS0_10empty_typeEbEEZZNS1_14partition_implILS8_3ELb0ES6_jNS0_17counting_iteratorIjlEEPS9_SE_NS0_5tupleIJPjSE_EEENSF_IJSE_SE_EEES9_SG_JZNS1_25segmented_radix_sort_implINS0_14default_configELb0EPKfPfPKlPlN2at6native12_GLOBAL__N_18offset_tEEE10hipError_tPvRmT1_PNSt15iterator_traitsISY_E10value_typeET2_T3_PNSZ_IS14_E10value_typeET4_jRbjT5_S1A_jjP12ihipStream_tbEUljE_EEESV_SW_SX_S14_S18_S1A_T6_T7_T9_mT8_S1C_bDpT10_ENKUlT_T0_E_clISt17integral_constantIbLb0EES1P_EEDaS1K_S1L_EUlS1K_E_NS1_11comp_targetILNS1_3genE4ELNS1_11target_archE910ELNS1_3gpuE8ELNS1_3repE0EEENS1_30default_config_static_selectorELNS0_4arch9wavefront6targetE0EEEvSY_.has_recursion, 0
	.set _ZN7rocprim17ROCPRIM_400000_NS6detail17trampoline_kernelINS0_13select_configILj256ELj13ELNS0_17block_load_methodE3ELS4_3ELS4_3ELNS0_20block_scan_algorithmE0ELj4294967295EEENS1_25partition_config_selectorILNS1_17partition_subalgoE3EjNS0_10empty_typeEbEEZZNS1_14partition_implILS8_3ELb0ES6_jNS0_17counting_iteratorIjlEEPS9_SE_NS0_5tupleIJPjSE_EEENSF_IJSE_SE_EEES9_SG_JZNS1_25segmented_radix_sort_implINS0_14default_configELb0EPKfPfPKlPlN2at6native12_GLOBAL__N_18offset_tEEE10hipError_tPvRmT1_PNSt15iterator_traitsISY_E10value_typeET2_T3_PNSZ_IS14_E10value_typeET4_jRbjT5_S1A_jjP12ihipStream_tbEUljE_EEESV_SW_SX_S14_S18_S1A_T6_T7_T9_mT8_S1C_bDpT10_ENKUlT_T0_E_clISt17integral_constantIbLb0EES1P_EEDaS1K_S1L_EUlS1K_E_NS1_11comp_targetILNS1_3genE4ELNS1_11target_archE910ELNS1_3gpuE8ELNS1_3repE0EEENS1_30default_config_static_selectorELNS0_4arch9wavefront6targetE0EEEvSY_.has_indirect_call, 0
	.section	.AMDGPU.csdata,"",@progbits
; Kernel info:
; codeLenInByte = 0
; TotalNumSgprs: 0
; NumVgprs: 0
; ScratchSize: 0
; MemoryBound: 0
; FloatMode: 240
; IeeeMode: 1
; LDSByteSize: 0 bytes/workgroup (compile time only)
; SGPRBlocks: 0
; VGPRBlocks: 0
; NumSGPRsForWavesPerEU: 1
; NumVGPRsForWavesPerEU: 1
; NamedBarCnt: 0
; Occupancy: 16
; WaveLimiterHint : 0
; COMPUTE_PGM_RSRC2:SCRATCH_EN: 0
; COMPUTE_PGM_RSRC2:USER_SGPR: 2
; COMPUTE_PGM_RSRC2:TRAP_HANDLER: 0
; COMPUTE_PGM_RSRC2:TGID_X_EN: 1
; COMPUTE_PGM_RSRC2:TGID_Y_EN: 0
; COMPUTE_PGM_RSRC2:TGID_Z_EN: 0
; COMPUTE_PGM_RSRC2:TIDIG_COMP_CNT: 0
	.section	.text._ZN7rocprim17ROCPRIM_400000_NS6detail17trampoline_kernelINS0_13select_configILj256ELj13ELNS0_17block_load_methodE3ELS4_3ELS4_3ELNS0_20block_scan_algorithmE0ELj4294967295EEENS1_25partition_config_selectorILNS1_17partition_subalgoE3EjNS0_10empty_typeEbEEZZNS1_14partition_implILS8_3ELb0ES6_jNS0_17counting_iteratorIjlEEPS9_SE_NS0_5tupleIJPjSE_EEENSF_IJSE_SE_EEES9_SG_JZNS1_25segmented_radix_sort_implINS0_14default_configELb0EPKfPfPKlPlN2at6native12_GLOBAL__N_18offset_tEEE10hipError_tPvRmT1_PNSt15iterator_traitsISY_E10value_typeET2_T3_PNSZ_IS14_E10value_typeET4_jRbjT5_S1A_jjP12ihipStream_tbEUljE_EEESV_SW_SX_S14_S18_S1A_T6_T7_T9_mT8_S1C_bDpT10_ENKUlT_T0_E_clISt17integral_constantIbLb0EES1P_EEDaS1K_S1L_EUlS1K_E_NS1_11comp_targetILNS1_3genE3ELNS1_11target_archE908ELNS1_3gpuE7ELNS1_3repE0EEENS1_30default_config_static_selectorELNS0_4arch9wavefront6targetE0EEEvSY_,"axG",@progbits,_ZN7rocprim17ROCPRIM_400000_NS6detail17trampoline_kernelINS0_13select_configILj256ELj13ELNS0_17block_load_methodE3ELS4_3ELS4_3ELNS0_20block_scan_algorithmE0ELj4294967295EEENS1_25partition_config_selectorILNS1_17partition_subalgoE3EjNS0_10empty_typeEbEEZZNS1_14partition_implILS8_3ELb0ES6_jNS0_17counting_iteratorIjlEEPS9_SE_NS0_5tupleIJPjSE_EEENSF_IJSE_SE_EEES9_SG_JZNS1_25segmented_radix_sort_implINS0_14default_configELb0EPKfPfPKlPlN2at6native12_GLOBAL__N_18offset_tEEE10hipError_tPvRmT1_PNSt15iterator_traitsISY_E10value_typeET2_T3_PNSZ_IS14_E10value_typeET4_jRbjT5_S1A_jjP12ihipStream_tbEUljE_EEESV_SW_SX_S14_S18_S1A_T6_T7_T9_mT8_S1C_bDpT10_ENKUlT_T0_E_clISt17integral_constantIbLb0EES1P_EEDaS1K_S1L_EUlS1K_E_NS1_11comp_targetILNS1_3genE3ELNS1_11target_archE908ELNS1_3gpuE7ELNS1_3repE0EEENS1_30default_config_static_selectorELNS0_4arch9wavefront6targetE0EEEvSY_,comdat
	.globl	_ZN7rocprim17ROCPRIM_400000_NS6detail17trampoline_kernelINS0_13select_configILj256ELj13ELNS0_17block_load_methodE3ELS4_3ELS4_3ELNS0_20block_scan_algorithmE0ELj4294967295EEENS1_25partition_config_selectorILNS1_17partition_subalgoE3EjNS0_10empty_typeEbEEZZNS1_14partition_implILS8_3ELb0ES6_jNS0_17counting_iteratorIjlEEPS9_SE_NS0_5tupleIJPjSE_EEENSF_IJSE_SE_EEES9_SG_JZNS1_25segmented_radix_sort_implINS0_14default_configELb0EPKfPfPKlPlN2at6native12_GLOBAL__N_18offset_tEEE10hipError_tPvRmT1_PNSt15iterator_traitsISY_E10value_typeET2_T3_PNSZ_IS14_E10value_typeET4_jRbjT5_S1A_jjP12ihipStream_tbEUljE_EEESV_SW_SX_S14_S18_S1A_T6_T7_T9_mT8_S1C_bDpT10_ENKUlT_T0_E_clISt17integral_constantIbLb0EES1P_EEDaS1K_S1L_EUlS1K_E_NS1_11comp_targetILNS1_3genE3ELNS1_11target_archE908ELNS1_3gpuE7ELNS1_3repE0EEENS1_30default_config_static_selectorELNS0_4arch9wavefront6targetE0EEEvSY_ ; -- Begin function _ZN7rocprim17ROCPRIM_400000_NS6detail17trampoline_kernelINS0_13select_configILj256ELj13ELNS0_17block_load_methodE3ELS4_3ELS4_3ELNS0_20block_scan_algorithmE0ELj4294967295EEENS1_25partition_config_selectorILNS1_17partition_subalgoE3EjNS0_10empty_typeEbEEZZNS1_14partition_implILS8_3ELb0ES6_jNS0_17counting_iteratorIjlEEPS9_SE_NS0_5tupleIJPjSE_EEENSF_IJSE_SE_EEES9_SG_JZNS1_25segmented_radix_sort_implINS0_14default_configELb0EPKfPfPKlPlN2at6native12_GLOBAL__N_18offset_tEEE10hipError_tPvRmT1_PNSt15iterator_traitsISY_E10value_typeET2_T3_PNSZ_IS14_E10value_typeET4_jRbjT5_S1A_jjP12ihipStream_tbEUljE_EEESV_SW_SX_S14_S18_S1A_T6_T7_T9_mT8_S1C_bDpT10_ENKUlT_T0_E_clISt17integral_constantIbLb0EES1P_EEDaS1K_S1L_EUlS1K_E_NS1_11comp_targetILNS1_3genE3ELNS1_11target_archE908ELNS1_3gpuE7ELNS1_3repE0EEENS1_30default_config_static_selectorELNS0_4arch9wavefront6targetE0EEEvSY_
	.p2align	8
	.type	_ZN7rocprim17ROCPRIM_400000_NS6detail17trampoline_kernelINS0_13select_configILj256ELj13ELNS0_17block_load_methodE3ELS4_3ELS4_3ELNS0_20block_scan_algorithmE0ELj4294967295EEENS1_25partition_config_selectorILNS1_17partition_subalgoE3EjNS0_10empty_typeEbEEZZNS1_14partition_implILS8_3ELb0ES6_jNS0_17counting_iteratorIjlEEPS9_SE_NS0_5tupleIJPjSE_EEENSF_IJSE_SE_EEES9_SG_JZNS1_25segmented_radix_sort_implINS0_14default_configELb0EPKfPfPKlPlN2at6native12_GLOBAL__N_18offset_tEEE10hipError_tPvRmT1_PNSt15iterator_traitsISY_E10value_typeET2_T3_PNSZ_IS14_E10value_typeET4_jRbjT5_S1A_jjP12ihipStream_tbEUljE_EEESV_SW_SX_S14_S18_S1A_T6_T7_T9_mT8_S1C_bDpT10_ENKUlT_T0_E_clISt17integral_constantIbLb0EES1P_EEDaS1K_S1L_EUlS1K_E_NS1_11comp_targetILNS1_3genE3ELNS1_11target_archE908ELNS1_3gpuE7ELNS1_3repE0EEENS1_30default_config_static_selectorELNS0_4arch9wavefront6targetE0EEEvSY_,@function
_ZN7rocprim17ROCPRIM_400000_NS6detail17trampoline_kernelINS0_13select_configILj256ELj13ELNS0_17block_load_methodE3ELS4_3ELS4_3ELNS0_20block_scan_algorithmE0ELj4294967295EEENS1_25partition_config_selectorILNS1_17partition_subalgoE3EjNS0_10empty_typeEbEEZZNS1_14partition_implILS8_3ELb0ES6_jNS0_17counting_iteratorIjlEEPS9_SE_NS0_5tupleIJPjSE_EEENSF_IJSE_SE_EEES9_SG_JZNS1_25segmented_radix_sort_implINS0_14default_configELb0EPKfPfPKlPlN2at6native12_GLOBAL__N_18offset_tEEE10hipError_tPvRmT1_PNSt15iterator_traitsISY_E10value_typeET2_T3_PNSZ_IS14_E10value_typeET4_jRbjT5_S1A_jjP12ihipStream_tbEUljE_EEESV_SW_SX_S14_S18_S1A_T6_T7_T9_mT8_S1C_bDpT10_ENKUlT_T0_E_clISt17integral_constantIbLb0EES1P_EEDaS1K_S1L_EUlS1K_E_NS1_11comp_targetILNS1_3genE3ELNS1_11target_archE908ELNS1_3gpuE7ELNS1_3repE0EEENS1_30default_config_static_selectorELNS0_4arch9wavefront6targetE0EEEvSY_: ; @_ZN7rocprim17ROCPRIM_400000_NS6detail17trampoline_kernelINS0_13select_configILj256ELj13ELNS0_17block_load_methodE3ELS4_3ELS4_3ELNS0_20block_scan_algorithmE0ELj4294967295EEENS1_25partition_config_selectorILNS1_17partition_subalgoE3EjNS0_10empty_typeEbEEZZNS1_14partition_implILS8_3ELb0ES6_jNS0_17counting_iteratorIjlEEPS9_SE_NS0_5tupleIJPjSE_EEENSF_IJSE_SE_EEES9_SG_JZNS1_25segmented_radix_sort_implINS0_14default_configELb0EPKfPfPKlPlN2at6native12_GLOBAL__N_18offset_tEEE10hipError_tPvRmT1_PNSt15iterator_traitsISY_E10value_typeET2_T3_PNSZ_IS14_E10value_typeET4_jRbjT5_S1A_jjP12ihipStream_tbEUljE_EEESV_SW_SX_S14_S18_S1A_T6_T7_T9_mT8_S1C_bDpT10_ENKUlT_T0_E_clISt17integral_constantIbLb0EES1P_EEDaS1K_S1L_EUlS1K_E_NS1_11comp_targetILNS1_3genE3ELNS1_11target_archE908ELNS1_3gpuE7ELNS1_3repE0EEENS1_30default_config_static_selectorELNS0_4arch9wavefront6targetE0EEEvSY_
; %bb.0:
	.section	.rodata,"a",@progbits
	.p2align	6, 0x0
	.amdhsa_kernel _ZN7rocprim17ROCPRIM_400000_NS6detail17trampoline_kernelINS0_13select_configILj256ELj13ELNS0_17block_load_methodE3ELS4_3ELS4_3ELNS0_20block_scan_algorithmE0ELj4294967295EEENS1_25partition_config_selectorILNS1_17partition_subalgoE3EjNS0_10empty_typeEbEEZZNS1_14partition_implILS8_3ELb0ES6_jNS0_17counting_iteratorIjlEEPS9_SE_NS0_5tupleIJPjSE_EEENSF_IJSE_SE_EEES9_SG_JZNS1_25segmented_radix_sort_implINS0_14default_configELb0EPKfPfPKlPlN2at6native12_GLOBAL__N_18offset_tEEE10hipError_tPvRmT1_PNSt15iterator_traitsISY_E10value_typeET2_T3_PNSZ_IS14_E10value_typeET4_jRbjT5_S1A_jjP12ihipStream_tbEUljE_EEESV_SW_SX_S14_S18_S1A_T6_T7_T9_mT8_S1C_bDpT10_ENKUlT_T0_E_clISt17integral_constantIbLb0EES1P_EEDaS1K_S1L_EUlS1K_E_NS1_11comp_targetILNS1_3genE3ELNS1_11target_archE908ELNS1_3gpuE7ELNS1_3repE0EEENS1_30default_config_static_selectorELNS0_4arch9wavefront6targetE0EEEvSY_
		.amdhsa_group_segment_fixed_size 0
		.amdhsa_private_segment_fixed_size 0
		.amdhsa_kernarg_size 144
		.amdhsa_user_sgpr_count 2
		.amdhsa_user_sgpr_dispatch_ptr 0
		.amdhsa_user_sgpr_queue_ptr 0
		.amdhsa_user_sgpr_kernarg_segment_ptr 1
		.amdhsa_user_sgpr_dispatch_id 0
		.amdhsa_user_sgpr_kernarg_preload_length 0
		.amdhsa_user_sgpr_kernarg_preload_offset 0
		.amdhsa_user_sgpr_private_segment_size 0
		.amdhsa_wavefront_size32 1
		.amdhsa_uses_dynamic_stack 0
		.amdhsa_enable_private_segment 0
		.amdhsa_system_sgpr_workgroup_id_x 1
		.amdhsa_system_sgpr_workgroup_id_y 0
		.amdhsa_system_sgpr_workgroup_id_z 0
		.amdhsa_system_sgpr_workgroup_info 0
		.amdhsa_system_vgpr_workitem_id 0
		.amdhsa_next_free_vgpr 1
		.amdhsa_next_free_sgpr 1
		.amdhsa_named_barrier_count 0
		.amdhsa_reserve_vcc 0
		.amdhsa_float_round_mode_32 0
		.amdhsa_float_round_mode_16_64 0
		.amdhsa_float_denorm_mode_32 3
		.amdhsa_float_denorm_mode_16_64 3
		.amdhsa_fp16_overflow 0
		.amdhsa_memory_ordered 1
		.amdhsa_forward_progress 1
		.amdhsa_inst_pref_size 0
		.amdhsa_round_robin_scheduling 0
		.amdhsa_exception_fp_ieee_invalid_op 0
		.amdhsa_exception_fp_denorm_src 0
		.amdhsa_exception_fp_ieee_div_zero 0
		.amdhsa_exception_fp_ieee_overflow 0
		.amdhsa_exception_fp_ieee_underflow 0
		.amdhsa_exception_fp_ieee_inexact 0
		.amdhsa_exception_int_div_zero 0
	.end_amdhsa_kernel
	.section	.text._ZN7rocprim17ROCPRIM_400000_NS6detail17trampoline_kernelINS0_13select_configILj256ELj13ELNS0_17block_load_methodE3ELS4_3ELS4_3ELNS0_20block_scan_algorithmE0ELj4294967295EEENS1_25partition_config_selectorILNS1_17partition_subalgoE3EjNS0_10empty_typeEbEEZZNS1_14partition_implILS8_3ELb0ES6_jNS0_17counting_iteratorIjlEEPS9_SE_NS0_5tupleIJPjSE_EEENSF_IJSE_SE_EEES9_SG_JZNS1_25segmented_radix_sort_implINS0_14default_configELb0EPKfPfPKlPlN2at6native12_GLOBAL__N_18offset_tEEE10hipError_tPvRmT1_PNSt15iterator_traitsISY_E10value_typeET2_T3_PNSZ_IS14_E10value_typeET4_jRbjT5_S1A_jjP12ihipStream_tbEUljE_EEESV_SW_SX_S14_S18_S1A_T6_T7_T9_mT8_S1C_bDpT10_ENKUlT_T0_E_clISt17integral_constantIbLb0EES1P_EEDaS1K_S1L_EUlS1K_E_NS1_11comp_targetILNS1_3genE3ELNS1_11target_archE908ELNS1_3gpuE7ELNS1_3repE0EEENS1_30default_config_static_selectorELNS0_4arch9wavefront6targetE0EEEvSY_,"axG",@progbits,_ZN7rocprim17ROCPRIM_400000_NS6detail17trampoline_kernelINS0_13select_configILj256ELj13ELNS0_17block_load_methodE3ELS4_3ELS4_3ELNS0_20block_scan_algorithmE0ELj4294967295EEENS1_25partition_config_selectorILNS1_17partition_subalgoE3EjNS0_10empty_typeEbEEZZNS1_14partition_implILS8_3ELb0ES6_jNS0_17counting_iteratorIjlEEPS9_SE_NS0_5tupleIJPjSE_EEENSF_IJSE_SE_EEES9_SG_JZNS1_25segmented_radix_sort_implINS0_14default_configELb0EPKfPfPKlPlN2at6native12_GLOBAL__N_18offset_tEEE10hipError_tPvRmT1_PNSt15iterator_traitsISY_E10value_typeET2_T3_PNSZ_IS14_E10value_typeET4_jRbjT5_S1A_jjP12ihipStream_tbEUljE_EEESV_SW_SX_S14_S18_S1A_T6_T7_T9_mT8_S1C_bDpT10_ENKUlT_T0_E_clISt17integral_constantIbLb0EES1P_EEDaS1K_S1L_EUlS1K_E_NS1_11comp_targetILNS1_3genE3ELNS1_11target_archE908ELNS1_3gpuE7ELNS1_3repE0EEENS1_30default_config_static_selectorELNS0_4arch9wavefront6targetE0EEEvSY_,comdat
.Lfunc_end1392:
	.size	_ZN7rocprim17ROCPRIM_400000_NS6detail17trampoline_kernelINS0_13select_configILj256ELj13ELNS0_17block_load_methodE3ELS4_3ELS4_3ELNS0_20block_scan_algorithmE0ELj4294967295EEENS1_25partition_config_selectorILNS1_17partition_subalgoE3EjNS0_10empty_typeEbEEZZNS1_14partition_implILS8_3ELb0ES6_jNS0_17counting_iteratorIjlEEPS9_SE_NS0_5tupleIJPjSE_EEENSF_IJSE_SE_EEES9_SG_JZNS1_25segmented_radix_sort_implINS0_14default_configELb0EPKfPfPKlPlN2at6native12_GLOBAL__N_18offset_tEEE10hipError_tPvRmT1_PNSt15iterator_traitsISY_E10value_typeET2_T3_PNSZ_IS14_E10value_typeET4_jRbjT5_S1A_jjP12ihipStream_tbEUljE_EEESV_SW_SX_S14_S18_S1A_T6_T7_T9_mT8_S1C_bDpT10_ENKUlT_T0_E_clISt17integral_constantIbLb0EES1P_EEDaS1K_S1L_EUlS1K_E_NS1_11comp_targetILNS1_3genE3ELNS1_11target_archE908ELNS1_3gpuE7ELNS1_3repE0EEENS1_30default_config_static_selectorELNS0_4arch9wavefront6targetE0EEEvSY_, .Lfunc_end1392-_ZN7rocprim17ROCPRIM_400000_NS6detail17trampoline_kernelINS0_13select_configILj256ELj13ELNS0_17block_load_methodE3ELS4_3ELS4_3ELNS0_20block_scan_algorithmE0ELj4294967295EEENS1_25partition_config_selectorILNS1_17partition_subalgoE3EjNS0_10empty_typeEbEEZZNS1_14partition_implILS8_3ELb0ES6_jNS0_17counting_iteratorIjlEEPS9_SE_NS0_5tupleIJPjSE_EEENSF_IJSE_SE_EEES9_SG_JZNS1_25segmented_radix_sort_implINS0_14default_configELb0EPKfPfPKlPlN2at6native12_GLOBAL__N_18offset_tEEE10hipError_tPvRmT1_PNSt15iterator_traitsISY_E10value_typeET2_T3_PNSZ_IS14_E10value_typeET4_jRbjT5_S1A_jjP12ihipStream_tbEUljE_EEESV_SW_SX_S14_S18_S1A_T6_T7_T9_mT8_S1C_bDpT10_ENKUlT_T0_E_clISt17integral_constantIbLb0EES1P_EEDaS1K_S1L_EUlS1K_E_NS1_11comp_targetILNS1_3genE3ELNS1_11target_archE908ELNS1_3gpuE7ELNS1_3repE0EEENS1_30default_config_static_selectorELNS0_4arch9wavefront6targetE0EEEvSY_
                                        ; -- End function
	.set _ZN7rocprim17ROCPRIM_400000_NS6detail17trampoline_kernelINS0_13select_configILj256ELj13ELNS0_17block_load_methodE3ELS4_3ELS4_3ELNS0_20block_scan_algorithmE0ELj4294967295EEENS1_25partition_config_selectorILNS1_17partition_subalgoE3EjNS0_10empty_typeEbEEZZNS1_14partition_implILS8_3ELb0ES6_jNS0_17counting_iteratorIjlEEPS9_SE_NS0_5tupleIJPjSE_EEENSF_IJSE_SE_EEES9_SG_JZNS1_25segmented_radix_sort_implINS0_14default_configELb0EPKfPfPKlPlN2at6native12_GLOBAL__N_18offset_tEEE10hipError_tPvRmT1_PNSt15iterator_traitsISY_E10value_typeET2_T3_PNSZ_IS14_E10value_typeET4_jRbjT5_S1A_jjP12ihipStream_tbEUljE_EEESV_SW_SX_S14_S18_S1A_T6_T7_T9_mT8_S1C_bDpT10_ENKUlT_T0_E_clISt17integral_constantIbLb0EES1P_EEDaS1K_S1L_EUlS1K_E_NS1_11comp_targetILNS1_3genE3ELNS1_11target_archE908ELNS1_3gpuE7ELNS1_3repE0EEENS1_30default_config_static_selectorELNS0_4arch9wavefront6targetE0EEEvSY_.num_vgpr, 0
	.set _ZN7rocprim17ROCPRIM_400000_NS6detail17trampoline_kernelINS0_13select_configILj256ELj13ELNS0_17block_load_methodE3ELS4_3ELS4_3ELNS0_20block_scan_algorithmE0ELj4294967295EEENS1_25partition_config_selectorILNS1_17partition_subalgoE3EjNS0_10empty_typeEbEEZZNS1_14partition_implILS8_3ELb0ES6_jNS0_17counting_iteratorIjlEEPS9_SE_NS0_5tupleIJPjSE_EEENSF_IJSE_SE_EEES9_SG_JZNS1_25segmented_radix_sort_implINS0_14default_configELb0EPKfPfPKlPlN2at6native12_GLOBAL__N_18offset_tEEE10hipError_tPvRmT1_PNSt15iterator_traitsISY_E10value_typeET2_T3_PNSZ_IS14_E10value_typeET4_jRbjT5_S1A_jjP12ihipStream_tbEUljE_EEESV_SW_SX_S14_S18_S1A_T6_T7_T9_mT8_S1C_bDpT10_ENKUlT_T0_E_clISt17integral_constantIbLb0EES1P_EEDaS1K_S1L_EUlS1K_E_NS1_11comp_targetILNS1_3genE3ELNS1_11target_archE908ELNS1_3gpuE7ELNS1_3repE0EEENS1_30default_config_static_selectorELNS0_4arch9wavefront6targetE0EEEvSY_.num_agpr, 0
	.set _ZN7rocprim17ROCPRIM_400000_NS6detail17trampoline_kernelINS0_13select_configILj256ELj13ELNS0_17block_load_methodE3ELS4_3ELS4_3ELNS0_20block_scan_algorithmE0ELj4294967295EEENS1_25partition_config_selectorILNS1_17partition_subalgoE3EjNS0_10empty_typeEbEEZZNS1_14partition_implILS8_3ELb0ES6_jNS0_17counting_iteratorIjlEEPS9_SE_NS0_5tupleIJPjSE_EEENSF_IJSE_SE_EEES9_SG_JZNS1_25segmented_radix_sort_implINS0_14default_configELb0EPKfPfPKlPlN2at6native12_GLOBAL__N_18offset_tEEE10hipError_tPvRmT1_PNSt15iterator_traitsISY_E10value_typeET2_T3_PNSZ_IS14_E10value_typeET4_jRbjT5_S1A_jjP12ihipStream_tbEUljE_EEESV_SW_SX_S14_S18_S1A_T6_T7_T9_mT8_S1C_bDpT10_ENKUlT_T0_E_clISt17integral_constantIbLb0EES1P_EEDaS1K_S1L_EUlS1K_E_NS1_11comp_targetILNS1_3genE3ELNS1_11target_archE908ELNS1_3gpuE7ELNS1_3repE0EEENS1_30default_config_static_selectorELNS0_4arch9wavefront6targetE0EEEvSY_.numbered_sgpr, 0
	.set _ZN7rocprim17ROCPRIM_400000_NS6detail17trampoline_kernelINS0_13select_configILj256ELj13ELNS0_17block_load_methodE3ELS4_3ELS4_3ELNS0_20block_scan_algorithmE0ELj4294967295EEENS1_25partition_config_selectorILNS1_17partition_subalgoE3EjNS0_10empty_typeEbEEZZNS1_14partition_implILS8_3ELb0ES6_jNS0_17counting_iteratorIjlEEPS9_SE_NS0_5tupleIJPjSE_EEENSF_IJSE_SE_EEES9_SG_JZNS1_25segmented_radix_sort_implINS0_14default_configELb0EPKfPfPKlPlN2at6native12_GLOBAL__N_18offset_tEEE10hipError_tPvRmT1_PNSt15iterator_traitsISY_E10value_typeET2_T3_PNSZ_IS14_E10value_typeET4_jRbjT5_S1A_jjP12ihipStream_tbEUljE_EEESV_SW_SX_S14_S18_S1A_T6_T7_T9_mT8_S1C_bDpT10_ENKUlT_T0_E_clISt17integral_constantIbLb0EES1P_EEDaS1K_S1L_EUlS1K_E_NS1_11comp_targetILNS1_3genE3ELNS1_11target_archE908ELNS1_3gpuE7ELNS1_3repE0EEENS1_30default_config_static_selectorELNS0_4arch9wavefront6targetE0EEEvSY_.num_named_barrier, 0
	.set _ZN7rocprim17ROCPRIM_400000_NS6detail17trampoline_kernelINS0_13select_configILj256ELj13ELNS0_17block_load_methodE3ELS4_3ELS4_3ELNS0_20block_scan_algorithmE0ELj4294967295EEENS1_25partition_config_selectorILNS1_17partition_subalgoE3EjNS0_10empty_typeEbEEZZNS1_14partition_implILS8_3ELb0ES6_jNS0_17counting_iteratorIjlEEPS9_SE_NS0_5tupleIJPjSE_EEENSF_IJSE_SE_EEES9_SG_JZNS1_25segmented_radix_sort_implINS0_14default_configELb0EPKfPfPKlPlN2at6native12_GLOBAL__N_18offset_tEEE10hipError_tPvRmT1_PNSt15iterator_traitsISY_E10value_typeET2_T3_PNSZ_IS14_E10value_typeET4_jRbjT5_S1A_jjP12ihipStream_tbEUljE_EEESV_SW_SX_S14_S18_S1A_T6_T7_T9_mT8_S1C_bDpT10_ENKUlT_T0_E_clISt17integral_constantIbLb0EES1P_EEDaS1K_S1L_EUlS1K_E_NS1_11comp_targetILNS1_3genE3ELNS1_11target_archE908ELNS1_3gpuE7ELNS1_3repE0EEENS1_30default_config_static_selectorELNS0_4arch9wavefront6targetE0EEEvSY_.private_seg_size, 0
	.set _ZN7rocprim17ROCPRIM_400000_NS6detail17trampoline_kernelINS0_13select_configILj256ELj13ELNS0_17block_load_methodE3ELS4_3ELS4_3ELNS0_20block_scan_algorithmE0ELj4294967295EEENS1_25partition_config_selectorILNS1_17partition_subalgoE3EjNS0_10empty_typeEbEEZZNS1_14partition_implILS8_3ELb0ES6_jNS0_17counting_iteratorIjlEEPS9_SE_NS0_5tupleIJPjSE_EEENSF_IJSE_SE_EEES9_SG_JZNS1_25segmented_radix_sort_implINS0_14default_configELb0EPKfPfPKlPlN2at6native12_GLOBAL__N_18offset_tEEE10hipError_tPvRmT1_PNSt15iterator_traitsISY_E10value_typeET2_T3_PNSZ_IS14_E10value_typeET4_jRbjT5_S1A_jjP12ihipStream_tbEUljE_EEESV_SW_SX_S14_S18_S1A_T6_T7_T9_mT8_S1C_bDpT10_ENKUlT_T0_E_clISt17integral_constantIbLb0EES1P_EEDaS1K_S1L_EUlS1K_E_NS1_11comp_targetILNS1_3genE3ELNS1_11target_archE908ELNS1_3gpuE7ELNS1_3repE0EEENS1_30default_config_static_selectorELNS0_4arch9wavefront6targetE0EEEvSY_.uses_vcc, 0
	.set _ZN7rocprim17ROCPRIM_400000_NS6detail17trampoline_kernelINS0_13select_configILj256ELj13ELNS0_17block_load_methodE3ELS4_3ELS4_3ELNS0_20block_scan_algorithmE0ELj4294967295EEENS1_25partition_config_selectorILNS1_17partition_subalgoE3EjNS0_10empty_typeEbEEZZNS1_14partition_implILS8_3ELb0ES6_jNS0_17counting_iteratorIjlEEPS9_SE_NS0_5tupleIJPjSE_EEENSF_IJSE_SE_EEES9_SG_JZNS1_25segmented_radix_sort_implINS0_14default_configELb0EPKfPfPKlPlN2at6native12_GLOBAL__N_18offset_tEEE10hipError_tPvRmT1_PNSt15iterator_traitsISY_E10value_typeET2_T3_PNSZ_IS14_E10value_typeET4_jRbjT5_S1A_jjP12ihipStream_tbEUljE_EEESV_SW_SX_S14_S18_S1A_T6_T7_T9_mT8_S1C_bDpT10_ENKUlT_T0_E_clISt17integral_constantIbLb0EES1P_EEDaS1K_S1L_EUlS1K_E_NS1_11comp_targetILNS1_3genE3ELNS1_11target_archE908ELNS1_3gpuE7ELNS1_3repE0EEENS1_30default_config_static_selectorELNS0_4arch9wavefront6targetE0EEEvSY_.uses_flat_scratch, 0
	.set _ZN7rocprim17ROCPRIM_400000_NS6detail17trampoline_kernelINS0_13select_configILj256ELj13ELNS0_17block_load_methodE3ELS4_3ELS4_3ELNS0_20block_scan_algorithmE0ELj4294967295EEENS1_25partition_config_selectorILNS1_17partition_subalgoE3EjNS0_10empty_typeEbEEZZNS1_14partition_implILS8_3ELb0ES6_jNS0_17counting_iteratorIjlEEPS9_SE_NS0_5tupleIJPjSE_EEENSF_IJSE_SE_EEES9_SG_JZNS1_25segmented_radix_sort_implINS0_14default_configELb0EPKfPfPKlPlN2at6native12_GLOBAL__N_18offset_tEEE10hipError_tPvRmT1_PNSt15iterator_traitsISY_E10value_typeET2_T3_PNSZ_IS14_E10value_typeET4_jRbjT5_S1A_jjP12ihipStream_tbEUljE_EEESV_SW_SX_S14_S18_S1A_T6_T7_T9_mT8_S1C_bDpT10_ENKUlT_T0_E_clISt17integral_constantIbLb0EES1P_EEDaS1K_S1L_EUlS1K_E_NS1_11comp_targetILNS1_3genE3ELNS1_11target_archE908ELNS1_3gpuE7ELNS1_3repE0EEENS1_30default_config_static_selectorELNS0_4arch9wavefront6targetE0EEEvSY_.has_dyn_sized_stack, 0
	.set _ZN7rocprim17ROCPRIM_400000_NS6detail17trampoline_kernelINS0_13select_configILj256ELj13ELNS0_17block_load_methodE3ELS4_3ELS4_3ELNS0_20block_scan_algorithmE0ELj4294967295EEENS1_25partition_config_selectorILNS1_17partition_subalgoE3EjNS0_10empty_typeEbEEZZNS1_14partition_implILS8_3ELb0ES6_jNS0_17counting_iteratorIjlEEPS9_SE_NS0_5tupleIJPjSE_EEENSF_IJSE_SE_EEES9_SG_JZNS1_25segmented_radix_sort_implINS0_14default_configELb0EPKfPfPKlPlN2at6native12_GLOBAL__N_18offset_tEEE10hipError_tPvRmT1_PNSt15iterator_traitsISY_E10value_typeET2_T3_PNSZ_IS14_E10value_typeET4_jRbjT5_S1A_jjP12ihipStream_tbEUljE_EEESV_SW_SX_S14_S18_S1A_T6_T7_T9_mT8_S1C_bDpT10_ENKUlT_T0_E_clISt17integral_constantIbLb0EES1P_EEDaS1K_S1L_EUlS1K_E_NS1_11comp_targetILNS1_3genE3ELNS1_11target_archE908ELNS1_3gpuE7ELNS1_3repE0EEENS1_30default_config_static_selectorELNS0_4arch9wavefront6targetE0EEEvSY_.has_recursion, 0
	.set _ZN7rocprim17ROCPRIM_400000_NS6detail17trampoline_kernelINS0_13select_configILj256ELj13ELNS0_17block_load_methodE3ELS4_3ELS4_3ELNS0_20block_scan_algorithmE0ELj4294967295EEENS1_25partition_config_selectorILNS1_17partition_subalgoE3EjNS0_10empty_typeEbEEZZNS1_14partition_implILS8_3ELb0ES6_jNS0_17counting_iteratorIjlEEPS9_SE_NS0_5tupleIJPjSE_EEENSF_IJSE_SE_EEES9_SG_JZNS1_25segmented_radix_sort_implINS0_14default_configELb0EPKfPfPKlPlN2at6native12_GLOBAL__N_18offset_tEEE10hipError_tPvRmT1_PNSt15iterator_traitsISY_E10value_typeET2_T3_PNSZ_IS14_E10value_typeET4_jRbjT5_S1A_jjP12ihipStream_tbEUljE_EEESV_SW_SX_S14_S18_S1A_T6_T7_T9_mT8_S1C_bDpT10_ENKUlT_T0_E_clISt17integral_constantIbLb0EES1P_EEDaS1K_S1L_EUlS1K_E_NS1_11comp_targetILNS1_3genE3ELNS1_11target_archE908ELNS1_3gpuE7ELNS1_3repE0EEENS1_30default_config_static_selectorELNS0_4arch9wavefront6targetE0EEEvSY_.has_indirect_call, 0
	.section	.AMDGPU.csdata,"",@progbits
; Kernel info:
; codeLenInByte = 0
; TotalNumSgprs: 0
; NumVgprs: 0
; ScratchSize: 0
; MemoryBound: 0
; FloatMode: 240
; IeeeMode: 1
; LDSByteSize: 0 bytes/workgroup (compile time only)
; SGPRBlocks: 0
; VGPRBlocks: 0
; NumSGPRsForWavesPerEU: 1
; NumVGPRsForWavesPerEU: 1
; NamedBarCnt: 0
; Occupancy: 16
; WaveLimiterHint : 0
; COMPUTE_PGM_RSRC2:SCRATCH_EN: 0
; COMPUTE_PGM_RSRC2:USER_SGPR: 2
; COMPUTE_PGM_RSRC2:TRAP_HANDLER: 0
; COMPUTE_PGM_RSRC2:TGID_X_EN: 1
; COMPUTE_PGM_RSRC2:TGID_Y_EN: 0
; COMPUTE_PGM_RSRC2:TGID_Z_EN: 0
; COMPUTE_PGM_RSRC2:TIDIG_COMP_CNT: 0
	.section	.text._ZN7rocprim17ROCPRIM_400000_NS6detail17trampoline_kernelINS0_13select_configILj256ELj13ELNS0_17block_load_methodE3ELS4_3ELS4_3ELNS0_20block_scan_algorithmE0ELj4294967295EEENS1_25partition_config_selectorILNS1_17partition_subalgoE3EjNS0_10empty_typeEbEEZZNS1_14partition_implILS8_3ELb0ES6_jNS0_17counting_iteratorIjlEEPS9_SE_NS0_5tupleIJPjSE_EEENSF_IJSE_SE_EEES9_SG_JZNS1_25segmented_radix_sort_implINS0_14default_configELb0EPKfPfPKlPlN2at6native12_GLOBAL__N_18offset_tEEE10hipError_tPvRmT1_PNSt15iterator_traitsISY_E10value_typeET2_T3_PNSZ_IS14_E10value_typeET4_jRbjT5_S1A_jjP12ihipStream_tbEUljE_EEESV_SW_SX_S14_S18_S1A_T6_T7_T9_mT8_S1C_bDpT10_ENKUlT_T0_E_clISt17integral_constantIbLb0EES1P_EEDaS1K_S1L_EUlS1K_E_NS1_11comp_targetILNS1_3genE2ELNS1_11target_archE906ELNS1_3gpuE6ELNS1_3repE0EEENS1_30default_config_static_selectorELNS0_4arch9wavefront6targetE0EEEvSY_,"axG",@progbits,_ZN7rocprim17ROCPRIM_400000_NS6detail17trampoline_kernelINS0_13select_configILj256ELj13ELNS0_17block_load_methodE3ELS4_3ELS4_3ELNS0_20block_scan_algorithmE0ELj4294967295EEENS1_25partition_config_selectorILNS1_17partition_subalgoE3EjNS0_10empty_typeEbEEZZNS1_14partition_implILS8_3ELb0ES6_jNS0_17counting_iteratorIjlEEPS9_SE_NS0_5tupleIJPjSE_EEENSF_IJSE_SE_EEES9_SG_JZNS1_25segmented_radix_sort_implINS0_14default_configELb0EPKfPfPKlPlN2at6native12_GLOBAL__N_18offset_tEEE10hipError_tPvRmT1_PNSt15iterator_traitsISY_E10value_typeET2_T3_PNSZ_IS14_E10value_typeET4_jRbjT5_S1A_jjP12ihipStream_tbEUljE_EEESV_SW_SX_S14_S18_S1A_T6_T7_T9_mT8_S1C_bDpT10_ENKUlT_T0_E_clISt17integral_constantIbLb0EES1P_EEDaS1K_S1L_EUlS1K_E_NS1_11comp_targetILNS1_3genE2ELNS1_11target_archE906ELNS1_3gpuE6ELNS1_3repE0EEENS1_30default_config_static_selectorELNS0_4arch9wavefront6targetE0EEEvSY_,comdat
	.globl	_ZN7rocprim17ROCPRIM_400000_NS6detail17trampoline_kernelINS0_13select_configILj256ELj13ELNS0_17block_load_methodE3ELS4_3ELS4_3ELNS0_20block_scan_algorithmE0ELj4294967295EEENS1_25partition_config_selectorILNS1_17partition_subalgoE3EjNS0_10empty_typeEbEEZZNS1_14partition_implILS8_3ELb0ES6_jNS0_17counting_iteratorIjlEEPS9_SE_NS0_5tupleIJPjSE_EEENSF_IJSE_SE_EEES9_SG_JZNS1_25segmented_radix_sort_implINS0_14default_configELb0EPKfPfPKlPlN2at6native12_GLOBAL__N_18offset_tEEE10hipError_tPvRmT1_PNSt15iterator_traitsISY_E10value_typeET2_T3_PNSZ_IS14_E10value_typeET4_jRbjT5_S1A_jjP12ihipStream_tbEUljE_EEESV_SW_SX_S14_S18_S1A_T6_T7_T9_mT8_S1C_bDpT10_ENKUlT_T0_E_clISt17integral_constantIbLb0EES1P_EEDaS1K_S1L_EUlS1K_E_NS1_11comp_targetILNS1_3genE2ELNS1_11target_archE906ELNS1_3gpuE6ELNS1_3repE0EEENS1_30default_config_static_selectorELNS0_4arch9wavefront6targetE0EEEvSY_ ; -- Begin function _ZN7rocprim17ROCPRIM_400000_NS6detail17trampoline_kernelINS0_13select_configILj256ELj13ELNS0_17block_load_methodE3ELS4_3ELS4_3ELNS0_20block_scan_algorithmE0ELj4294967295EEENS1_25partition_config_selectorILNS1_17partition_subalgoE3EjNS0_10empty_typeEbEEZZNS1_14partition_implILS8_3ELb0ES6_jNS0_17counting_iteratorIjlEEPS9_SE_NS0_5tupleIJPjSE_EEENSF_IJSE_SE_EEES9_SG_JZNS1_25segmented_radix_sort_implINS0_14default_configELb0EPKfPfPKlPlN2at6native12_GLOBAL__N_18offset_tEEE10hipError_tPvRmT1_PNSt15iterator_traitsISY_E10value_typeET2_T3_PNSZ_IS14_E10value_typeET4_jRbjT5_S1A_jjP12ihipStream_tbEUljE_EEESV_SW_SX_S14_S18_S1A_T6_T7_T9_mT8_S1C_bDpT10_ENKUlT_T0_E_clISt17integral_constantIbLb0EES1P_EEDaS1K_S1L_EUlS1K_E_NS1_11comp_targetILNS1_3genE2ELNS1_11target_archE906ELNS1_3gpuE6ELNS1_3repE0EEENS1_30default_config_static_selectorELNS0_4arch9wavefront6targetE0EEEvSY_
	.p2align	8
	.type	_ZN7rocprim17ROCPRIM_400000_NS6detail17trampoline_kernelINS0_13select_configILj256ELj13ELNS0_17block_load_methodE3ELS4_3ELS4_3ELNS0_20block_scan_algorithmE0ELj4294967295EEENS1_25partition_config_selectorILNS1_17partition_subalgoE3EjNS0_10empty_typeEbEEZZNS1_14partition_implILS8_3ELb0ES6_jNS0_17counting_iteratorIjlEEPS9_SE_NS0_5tupleIJPjSE_EEENSF_IJSE_SE_EEES9_SG_JZNS1_25segmented_radix_sort_implINS0_14default_configELb0EPKfPfPKlPlN2at6native12_GLOBAL__N_18offset_tEEE10hipError_tPvRmT1_PNSt15iterator_traitsISY_E10value_typeET2_T3_PNSZ_IS14_E10value_typeET4_jRbjT5_S1A_jjP12ihipStream_tbEUljE_EEESV_SW_SX_S14_S18_S1A_T6_T7_T9_mT8_S1C_bDpT10_ENKUlT_T0_E_clISt17integral_constantIbLb0EES1P_EEDaS1K_S1L_EUlS1K_E_NS1_11comp_targetILNS1_3genE2ELNS1_11target_archE906ELNS1_3gpuE6ELNS1_3repE0EEENS1_30default_config_static_selectorELNS0_4arch9wavefront6targetE0EEEvSY_,@function
_ZN7rocprim17ROCPRIM_400000_NS6detail17trampoline_kernelINS0_13select_configILj256ELj13ELNS0_17block_load_methodE3ELS4_3ELS4_3ELNS0_20block_scan_algorithmE0ELj4294967295EEENS1_25partition_config_selectorILNS1_17partition_subalgoE3EjNS0_10empty_typeEbEEZZNS1_14partition_implILS8_3ELb0ES6_jNS0_17counting_iteratorIjlEEPS9_SE_NS0_5tupleIJPjSE_EEENSF_IJSE_SE_EEES9_SG_JZNS1_25segmented_radix_sort_implINS0_14default_configELb0EPKfPfPKlPlN2at6native12_GLOBAL__N_18offset_tEEE10hipError_tPvRmT1_PNSt15iterator_traitsISY_E10value_typeET2_T3_PNSZ_IS14_E10value_typeET4_jRbjT5_S1A_jjP12ihipStream_tbEUljE_EEESV_SW_SX_S14_S18_S1A_T6_T7_T9_mT8_S1C_bDpT10_ENKUlT_T0_E_clISt17integral_constantIbLb0EES1P_EEDaS1K_S1L_EUlS1K_E_NS1_11comp_targetILNS1_3genE2ELNS1_11target_archE906ELNS1_3gpuE6ELNS1_3repE0EEENS1_30default_config_static_selectorELNS0_4arch9wavefront6targetE0EEEvSY_: ; @_ZN7rocprim17ROCPRIM_400000_NS6detail17trampoline_kernelINS0_13select_configILj256ELj13ELNS0_17block_load_methodE3ELS4_3ELS4_3ELNS0_20block_scan_algorithmE0ELj4294967295EEENS1_25partition_config_selectorILNS1_17partition_subalgoE3EjNS0_10empty_typeEbEEZZNS1_14partition_implILS8_3ELb0ES6_jNS0_17counting_iteratorIjlEEPS9_SE_NS0_5tupleIJPjSE_EEENSF_IJSE_SE_EEES9_SG_JZNS1_25segmented_radix_sort_implINS0_14default_configELb0EPKfPfPKlPlN2at6native12_GLOBAL__N_18offset_tEEE10hipError_tPvRmT1_PNSt15iterator_traitsISY_E10value_typeET2_T3_PNSZ_IS14_E10value_typeET4_jRbjT5_S1A_jjP12ihipStream_tbEUljE_EEESV_SW_SX_S14_S18_S1A_T6_T7_T9_mT8_S1C_bDpT10_ENKUlT_T0_E_clISt17integral_constantIbLb0EES1P_EEDaS1K_S1L_EUlS1K_E_NS1_11comp_targetILNS1_3genE2ELNS1_11target_archE906ELNS1_3gpuE6ELNS1_3repE0EEENS1_30default_config_static_selectorELNS0_4arch9wavefront6targetE0EEEvSY_
; %bb.0:
	.section	.rodata,"a",@progbits
	.p2align	6, 0x0
	.amdhsa_kernel _ZN7rocprim17ROCPRIM_400000_NS6detail17trampoline_kernelINS0_13select_configILj256ELj13ELNS0_17block_load_methodE3ELS4_3ELS4_3ELNS0_20block_scan_algorithmE0ELj4294967295EEENS1_25partition_config_selectorILNS1_17partition_subalgoE3EjNS0_10empty_typeEbEEZZNS1_14partition_implILS8_3ELb0ES6_jNS0_17counting_iteratorIjlEEPS9_SE_NS0_5tupleIJPjSE_EEENSF_IJSE_SE_EEES9_SG_JZNS1_25segmented_radix_sort_implINS0_14default_configELb0EPKfPfPKlPlN2at6native12_GLOBAL__N_18offset_tEEE10hipError_tPvRmT1_PNSt15iterator_traitsISY_E10value_typeET2_T3_PNSZ_IS14_E10value_typeET4_jRbjT5_S1A_jjP12ihipStream_tbEUljE_EEESV_SW_SX_S14_S18_S1A_T6_T7_T9_mT8_S1C_bDpT10_ENKUlT_T0_E_clISt17integral_constantIbLb0EES1P_EEDaS1K_S1L_EUlS1K_E_NS1_11comp_targetILNS1_3genE2ELNS1_11target_archE906ELNS1_3gpuE6ELNS1_3repE0EEENS1_30default_config_static_selectorELNS0_4arch9wavefront6targetE0EEEvSY_
		.amdhsa_group_segment_fixed_size 0
		.amdhsa_private_segment_fixed_size 0
		.amdhsa_kernarg_size 144
		.amdhsa_user_sgpr_count 2
		.amdhsa_user_sgpr_dispatch_ptr 0
		.amdhsa_user_sgpr_queue_ptr 0
		.amdhsa_user_sgpr_kernarg_segment_ptr 1
		.amdhsa_user_sgpr_dispatch_id 0
		.amdhsa_user_sgpr_kernarg_preload_length 0
		.amdhsa_user_sgpr_kernarg_preload_offset 0
		.amdhsa_user_sgpr_private_segment_size 0
		.amdhsa_wavefront_size32 1
		.amdhsa_uses_dynamic_stack 0
		.amdhsa_enable_private_segment 0
		.amdhsa_system_sgpr_workgroup_id_x 1
		.amdhsa_system_sgpr_workgroup_id_y 0
		.amdhsa_system_sgpr_workgroup_id_z 0
		.amdhsa_system_sgpr_workgroup_info 0
		.amdhsa_system_vgpr_workitem_id 0
		.amdhsa_next_free_vgpr 1
		.amdhsa_next_free_sgpr 1
		.amdhsa_named_barrier_count 0
		.amdhsa_reserve_vcc 0
		.amdhsa_float_round_mode_32 0
		.amdhsa_float_round_mode_16_64 0
		.amdhsa_float_denorm_mode_32 3
		.amdhsa_float_denorm_mode_16_64 3
		.amdhsa_fp16_overflow 0
		.amdhsa_memory_ordered 1
		.amdhsa_forward_progress 1
		.amdhsa_inst_pref_size 0
		.amdhsa_round_robin_scheduling 0
		.amdhsa_exception_fp_ieee_invalid_op 0
		.amdhsa_exception_fp_denorm_src 0
		.amdhsa_exception_fp_ieee_div_zero 0
		.amdhsa_exception_fp_ieee_overflow 0
		.amdhsa_exception_fp_ieee_underflow 0
		.amdhsa_exception_fp_ieee_inexact 0
		.amdhsa_exception_int_div_zero 0
	.end_amdhsa_kernel
	.section	.text._ZN7rocprim17ROCPRIM_400000_NS6detail17trampoline_kernelINS0_13select_configILj256ELj13ELNS0_17block_load_methodE3ELS4_3ELS4_3ELNS0_20block_scan_algorithmE0ELj4294967295EEENS1_25partition_config_selectorILNS1_17partition_subalgoE3EjNS0_10empty_typeEbEEZZNS1_14partition_implILS8_3ELb0ES6_jNS0_17counting_iteratorIjlEEPS9_SE_NS0_5tupleIJPjSE_EEENSF_IJSE_SE_EEES9_SG_JZNS1_25segmented_radix_sort_implINS0_14default_configELb0EPKfPfPKlPlN2at6native12_GLOBAL__N_18offset_tEEE10hipError_tPvRmT1_PNSt15iterator_traitsISY_E10value_typeET2_T3_PNSZ_IS14_E10value_typeET4_jRbjT5_S1A_jjP12ihipStream_tbEUljE_EEESV_SW_SX_S14_S18_S1A_T6_T7_T9_mT8_S1C_bDpT10_ENKUlT_T0_E_clISt17integral_constantIbLb0EES1P_EEDaS1K_S1L_EUlS1K_E_NS1_11comp_targetILNS1_3genE2ELNS1_11target_archE906ELNS1_3gpuE6ELNS1_3repE0EEENS1_30default_config_static_selectorELNS0_4arch9wavefront6targetE0EEEvSY_,"axG",@progbits,_ZN7rocprim17ROCPRIM_400000_NS6detail17trampoline_kernelINS0_13select_configILj256ELj13ELNS0_17block_load_methodE3ELS4_3ELS4_3ELNS0_20block_scan_algorithmE0ELj4294967295EEENS1_25partition_config_selectorILNS1_17partition_subalgoE3EjNS0_10empty_typeEbEEZZNS1_14partition_implILS8_3ELb0ES6_jNS0_17counting_iteratorIjlEEPS9_SE_NS0_5tupleIJPjSE_EEENSF_IJSE_SE_EEES9_SG_JZNS1_25segmented_radix_sort_implINS0_14default_configELb0EPKfPfPKlPlN2at6native12_GLOBAL__N_18offset_tEEE10hipError_tPvRmT1_PNSt15iterator_traitsISY_E10value_typeET2_T3_PNSZ_IS14_E10value_typeET4_jRbjT5_S1A_jjP12ihipStream_tbEUljE_EEESV_SW_SX_S14_S18_S1A_T6_T7_T9_mT8_S1C_bDpT10_ENKUlT_T0_E_clISt17integral_constantIbLb0EES1P_EEDaS1K_S1L_EUlS1K_E_NS1_11comp_targetILNS1_3genE2ELNS1_11target_archE906ELNS1_3gpuE6ELNS1_3repE0EEENS1_30default_config_static_selectorELNS0_4arch9wavefront6targetE0EEEvSY_,comdat
.Lfunc_end1393:
	.size	_ZN7rocprim17ROCPRIM_400000_NS6detail17trampoline_kernelINS0_13select_configILj256ELj13ELNS0_17block_load_methodE3ELS4_3ELS4_3ELNS0_20block_scan_algorithmE0ELj4294967295EEENS1_25partition_config_selectorILNS1_17partition_subalgoE3EjNS0_10empty_typeEbEEZZNS1_14partition_implILS8_3ELb0ES6_jNS0_17counting_iteratorIjlEEPS9_SE_NS0_5tupleIJPjSE_EEENSF_IJSE_SE_EEES9_SG_JZNS1_25segmented_radix_sort_implINS0_14default_configELb0EPKfPfPKlPlN2at6native12_GLOBAL__N_18offset_tEEE10hipError_tPvRmT1_PNSt15iterator_traitsISY_E10value_typeET2_T3_PNSZ_IS14_E10value_typeET4_jRbjT5_S1A_jjP12ihipStream_tbEUljE_EEESV_SW_SX_S14_S18_S1A_T6_T7_T9_mT8_S1C_bDpT10_ENKUlT_T0_E_clISt17integral_constantIbLb0EES1P_EEDaS1K_S1L_EUlS1K_E_NS1_11comp_targetILNS1_3genE2ELNS1_11target_archE906ELNS1_3gpuE6ELNS1_3repE0EEENS1_30default_config_static_selectorELNS0_4arch9wavefront6targetE0EEEvSY_, .Lfunc_end1393-_ZN7rocprim17ROCPRIM_400000_NS6detail17trampoline_kernelINS0_13select_configILj256ELj13ELNS0_17block_load_methodE3ELS4_3ELS4_3ELNS0_20block_scan_algorithmE0ELj4294967295EEENS1_25partition_config_selectorILNS1_17partition_subalgoE3EjNS0_10empty_typeEbEEZZNS1_14partition_implILS8_3ELb0ES6_jNS0_17counting_iteratorIjlEEPS9_SE_NS0_5tupleIJPjSE_EEENSF_IJSE_SE_EEES9_SG_JZNS1_25segmented_radix_sort_implINS0_14default_configELb0EPKfPfPKlPlN2at6native12_GLOBAL__N_18offset_tEEE10hipError_tPvRmT1_PNSt15iterator_traitsISY_E10value_typeET2_T3_PNSZ_IS14_E10value_typeET4_jRbjT5_S1A_jjP12ihipStream_tbEUljE_EEESV_SW_SX_S14_S18_S1A_T6_T7_T9_mT8_S1C_bDpT10_ENKUlT_T0_E_clISt17integral_constantIbLb0EES1P_EEDaS1K_S1L_EUlS1K_E_NS1_11comp_targetILNS1_3genE2ELNS1_11target_archE906ELNS1_3gpuE6ELNS1_3repE0EEENS1_30default_config_static_selectorELNS0_4arch9wavefront6targetE0EEEvSY_
                                        ; -- End function
	.set _ZN7rocprim17ROCPRIM_400000_NS6detail17trampoline_kernelINS0_13select_configILj256ELj13ELNS0_17block_load_methodE3ELS4_3ELS4_3ELNS0_20block_scan_algorithmE0ELj4294967295EEENS1_25partition_config_selectorILNS1_17partition_subalgoE3EjNS0_10empty_typeEbEEZZNS1_14partition_implILS8_3ELb0ES6_jNS0_17counting_iteratorIjlEEPS9_SE_NS0_5tupleIJPjSE_EEENSF_IJSE_SE_EEES9_SG_JZNS1_25segmented_radix_sort_implINS0_14default_configELb0EPKfPfPKlPlN2at6native12_GLOBAL__N_18offset_tEEE10hipError_tPvRmT1_PNSt15iterator_traitsISY_E10value_typeET2_T3_PNSZ_IS14_E10value_typeET4_jRbjT5_S1A_jjP12ihipStream_tbEUljE_EEESV_SW_SX_S14_S18_S1A_T6_T7_T9_mT8_S1C_bDpT10_ENKUlT_T0_E_clISt17integral_constantIbLb0EES1P_EEDaS1K_S1L_EUlS1K_E_NS1_11comp_targetILNS1_3genE2ELNS1_11target_archE906ELNS1_3gpuE6ELNS1_3repE0EEENS1_30default_config_static_selectorELNS0_4arch9wavefront6targetE0EEEvSY_.num_vgpr, 0
	.set _ZN7rocprim17ROCPRIM_400000_NS6detail17trampoline_kernelINS0_13select_configILj256ELj13ELNS0_17block_load_methodE3ELS4_3ELS4_3ELNS0_20block_scan_algorithmE0ELj4294967295EEENS1_25partition_config_selectorILNS1_17partition_subalgoE3EjNS0_10empty_typeEbEEZZNS1_14partition_implILS8_3ELb0ES6_jNS0_17counting_iteratorIjlEEPS9_SE_NS0_5tupleIJPjSE_EEENSF_IJSE_SE_EEES9_SG_JZNS1_25segmented_radix_sort_implINS0_14default_configELb0EPKfPfPKlPlN2at6native12_GLOBAL__N_18offset_tEEE10hipError_tPvRmT1_PNSt15iterator_traitsISY_E10value_typeET2_T3_PNSZ_IS14_E10value_typeET4_jRbjT5_S1A_jjP12ihipStream_tbEUljE_EEESV_SW_SX_S14_S18_S1A_T6_T7_T9_mT8_S1C_bDpT10_ENKUlT_T0_E_clISt17integral_constantIbLb0EES1P_EEDaS1K_S1L_EUlS1K_E_NS1_11comp_targetILNS1_3genE2ELNS1_11target_archE906ELNS1_3gpuE6ELNS1_3repE0EEENS1_30default_config_static_selectorELNS0_4arch9wavefront6targetE0EEEvSY_.num_agpr, 0
	.set _ZN7rocprim17ROCPRIM_400000_NS6detail17trampoline_kernelINS0_13select_configILj256ELj13ELNS0_17block_load_methodE3ELS4_3ELS4_3ELNS0_20block_scan_algorithmE0ELj4294967295EEENS1_25partition_config_selectorILNS1_17partition_subalgoE3EjNS0_10empty_typeEbEEZZNS1_14partition_implILS8_3ELb0ES6_jNS0_17counting_iteratorIjlEEPS9_SE_NS0_5tupleIJPjSE_EEENSF_IJSE_SE_EEES9_SG_JZNS1_25segmented_radix_sort_implINS0_14default_configELb0EPKfPfPKlPlN2at6native12_GLOBAL__N_18offset_tEEE10hipError_tPvRmT1_PNSt15iterator_traitsISY_E10value_typeET2_T3_PNSZ_IS14_E10value_typeET4_jRbjT5_S1A_jjP12ihipStream_tbEUljE_EEESV_SW_SX_S14_S18_S1A_T6_T7_T9_mT8_S1C_bDpT10_ENKUlT_T0_E_clISt17integral_constantIbLb0EES1P_EEDaS1K_S1L_EUlS1K_E_NS1_11comp_targetILNS1_3genE2ELNS1_11target_archE906ELNS1_3gpuE6ELNS1_3repE0EEENS1_30default_config_static_selectorELNS0_4arch9wavefront6targetE0EEEvSY_.numbered_sgpr, 0
	.set _ZN7rocprim17ROCPRIM_400000_NS6detail17trampoline_kernelINS0_13select_configILj256ELj13ELNS0_17block_load_methodE3ELS4_3ELS4_3ELNS0_20block_scan_algorithmE0ELj4294967295EEENS1_25partition_config_selectorILNS1_17partition_subalgoE3EjNS0_10empty_typeEbEEZZNS1_14partition_implILS8_3ELb0ES6_jNS0_17counting_iteratorIjlEEPS9_SE_NS0_5tupleIJPjSE_EEENSF_IJSE_SE_EEES9_SG_JZNS1_25segmented_radix_sort_implINS0_14default_configELb0EPKfPfPKlPlN2at6native12_GLOBAL__N_18offset_tEEE10hipError_tPvRmT1_PNSt15iterator_traitsISY_E10value_typeET2_T3_PNSZ_IS14_E10value_typeET4_jRbjT5_S1A_jjP12ihipStream_tbEUljE_EEESV_SW_SX_S14_S18_S1A_T6_T7_T9_mT8_S1C_bDpT10_ENKUlT_T0_E_clISt17integral_constantIbLb0EES1P_EEDaS1K_S1L_EUlS1K_E_NS1_11comp_targetILNS1_3genE2ELNS1_11target_archE906ELNS1_3gpuE6ELNS1_3repE0EEENS1_30default_config_static_selectorELNS0_4arch9wavefront6targetE0EEEvSY_.num_named_barrier, 0
	.set _ZN7rocprim17ROCPRIM_400000_NS6detail17trampoline_kernelINS0_13select_configILj256ELj13ELNS0_17block_load_methodE3ELS4_3ELS4_3ELNS0_20block_scan_algorithmE0ELj4294967295EEENS1_25partition_config_selectorILNS1_17partition_subalgoE3EjNS0_10empty_typeEbEEZZNS1_14partition_implILS8_3ELb0ES6_jNS0_17counting_iteratorIjlEEPS9_SE_NS0_5tupleIJPjSE_EEENSF_IJSE_SE_EEES9_SG_JZNS1_25segmented_radix_sort_implINS0_14default_configELb0EPKfPfPKlPlN2at6native12_GLOBAL__N_18offset_tEEE10hipError_tPvRmT1_PNSt15iterator_traitsISY_E10value_typeET2_T3_PNSZ_IS14_E10value_typeET4_jRbjT5_S1A_jjP12ihipStream_tbEUljE_EEESV_SW_SX_S14_S18_S1A_T6_T7_T9_mT8_S1C_bDpT10_ENKUlT_T0_E_clISt17integral_constantIbLb0EES1P_EEDaS1K_S1L_EUlS1K_E_NS1_11comp_targetILNS1_3genE2ELNS1_11target_archE906ELNS1_3gpuE6ELNS1_3repE0EEENS1_30default_config_static_selectorELNS0_4arch9wavefront6targetE0EEEvSY_.private_seg_size, 0
	.set _ZN7rocprim17ROCPRIM_400000_NS6detail17trampoline_kernelINS0_13select_configILj256ELj13ELNS0_17block_load_methodE3ELS4_3ELS4_3ELNS0_20block_scan_algorithmE0ELj4294967295EEENS1_25partition_config_selectorILNS1_17partition_subalgoE3EjNS0_10empty_typeEbEEZZNS1_14partition_implILS8_3ELb0ES6_jNS0_17counting_iteratorIjlEEPS9_SE_NS0_5tupleIJPjSE_EEENSF_IJSE_SE_EEES9_SG_JZNS1_25segmented_radix_sort_implINS0_14default_configELb0EPKfPfPKlPlN2at6native12_GLOBAL__N_18offset_tEEE10hipError_tPvRmT1_PNSt15iterator_traitsISY_E10value_typeET2_T3_PNSZ_IS14_E10value_typeET4_jRbjT5_S1A_jjP12ihipStream_tbEUljE_EEESV_SW_SX_S14_S18_S1A_T6_T7_T9_mT8_S1C_bDpT10_ENKUlT_T0_E_clISt17integral_constantIbLb0EES1P_EEDaS1K_S1L_EUlS1K_E_NS1_11comp_targetILNS1_3genE2ELNS1_11target_archE906ELNS1_3gpuE6ELNS1_3repE0EEENS1_30default_config_static_selectorELNS0_4arch9wavefront6targetE0EEEvSY_.uses_vcc, 0
	.set _ZN7rocprim17ROCPRIM_400000_NS6detail17trampoline_kernelINS0_13select_configILj256ELj13ELNS0_17block_load_methodE3ELS4_3ELS4_3ELNS0_20block_scan_algorithmE0ELj4294967295EEENS1_25partition_config_selectorILNS1_17partition_subalgoE3EjNS0_10empty_typeEbEEZZNS1_14partition_implILS8_3ELb0ES6_jNS0_17counting_iteratorIjlEEPS9_SE_NS0_5tupleIJPjSE_EEENSF_IJSE_SE_EEES9_SG_JZNS1_25segmented_radix_sort_implINS0_14default_configELb0EPKfPfPKlPlN2at6native12_GLOBAL__N_18offset_tEEE10hipError_tPvRmT1_PNSt15iterator_traitsISY_E10value_typeET2_T3_PNSZ_IS14_E10value_typeET4_jRbjT5_S1A_jjP12ihipStream_tbEUljE_EEESV_SW_SX_S14_S18_S1A_T6_T7_T9_mT8_S1C_bDpT10_ENKUlT_T0_E_clISt17integral_constantIbLb0EES1P_EEDaS1K_S1L_EUlS1K_E_NS1_11comp_targetILNS1_3genE2ELNS1_11target_archE906ELNS1_3gpuE6ELNS1_3repE0EEENS1_30default_config_static_selectorELNS0_4arch9wavefront6targetE0EEEvSY_.uses_flat_scratch, 0
	.set _ZN7rocprim17ROCPRIM_400000_NS6detail17trampoline_kernelINS0_13select_configILj256ELj13ELNS0_17block_load_methodE3ELS4_3ELS4_3ELNS0_20block_scan_algorithmE0ELj4294967295EEENS1_25partition_config_selectorILNS1_17partition_subalgoE3EjNS0_10empty_typeEbEEZZNS1_14partition_implILS8_3ELb0ES6_jNS0_17counting_iteratorIjlEEPS9_SE_NS0_5tupleIJPjSE_EEENSF_IJSE_SE_EEES9_SG_JZNS1_25segmented_radix_sort_implINS0_14default_configELb0EPKfPfPKlPlN2at6native12_GLOBAL__N_18offset_tEEE10hipError_tPvRmT1_PNSt15iterator_traitsISY_E10value_typeET2_T3_PNSZ_IS14_E10value_typeET4_jRbjT5_S1A_jjP12ihipStream_tbEUljE_EEESV_SW_SX_S14_S18_S1A_T6_T7_T9_mT8_S1C_bDpT10_ENKUlT_T0_E_clISt17integral_constantIbLb0EES1P_EEDaS1K_S1L_EUlS1K_E_NS1_11comp_targetILNS1_3genE2ELNS1_11target_archE906ELNS1_3gpuE6ELNS1_3repE0EEENS1_30default_config_static_selectorELNS0_4arch9wavefront6targetE0EEEvSY_.has_dyn_sized_stack, 0
	.set _ZN7rocprim17ROCPRIM_400000_NS6detail17trampoline_kernelINS0_13select_configILj256ELj13ELNS0_17block_load_methodE3ELS4_3ELS4_3ELNS0_20block_scan_algorithmE0ELj4294967295EEENS1_25partition_config_selectorILNS1_17partition_subalgoE3EjNS0_10empty_typeEbEEZZNS1_14partition_implILS8_3ELb0ES6_jNS0_17counting_iteratorIjlEEPS9_SE_NS0_5tupleIJPjSE_EEENSF_IJSE_SE_EEES9_SG_JZNS1_25segmented_radix_sort_implINS0_14default_configELb0EPKfPfPKlPlN2at6native12_GLOBAL__N_18offset_tEEE10hipError_tPvRmT1_PNSt15iterator_traitsISY_E10value_typeET2_T3_PNSZ_IS14_E10value_typeET4_jRbjT5_S1A_jjP12ihipStream_tbEUljE_EEESV_SW_SX_S14_S18_S1A_T6_T7_T9_mT8_S1C_bDpT10_ENKUlT_T0_E_clISt17integral_constantIbLb0EES1P_EEDaS1K_S1L_EUlS1K_E_NS1_11comp_targetILNS1_3genE2ELNS1_11target_archE906ELNS1_3gpuE6ELNS1_3repE0EEENS1_30default_config_static_selectorELNS0_4arch9wavefront6targetE0EEEvSY_.has_recursion, 0
	.set _ZN7rocprim17ROCPRIM_400000_NS6detail17trampoline_kernelINS0_13select_configILj256ELj13ELNS0_17block_load_methodE3ELS4_3ELS4_3ELNS0_20block_scan_algorithmE0ELj4294967295EEENS1_25partition_config_selectorILNS1_17partition_subalgoE3EjNS0_10empty_typeEbEEZZNS1_14partition_implILS8_3ELb0ES6_jNS0_17counting_iteratorIjlEEPS9_SE_NS0_5tupleIJPjSE_EEENSF_IJSE_SE_EEES9_SG_JZNS1_25segmented_radix_sort_implINS0_14default_configELb0EPKfPfPKlPlN2at6native12_GLOBAL__N_18offset_tEEE10hipError_tPvRmT1_PNSt15iterator_traitsISY_E10value_typeET2_T3_PNSZ_IS14_E10value_typeET4_jRbjT5_S1A_jjP12ihipStream_tbEUljE_EEESV_SW_SX_S14_S18_S1A_T6_T7_T9_mT8_S1C_bDpT10_ENKUlT_T0_E_clISt17integral_constantIbLb0EES1P_EEDaS1K_S1L_EUlS1K_E_NS1_11comp_targetILNS1_3genE2ELNS1_11target_archE906ELNS1_3gpuE6ELNS1_3repE0EEENS1_30default_config_static_selectorELNS0_4arch9wavefront6targetE0EEEvSY_.has_indirect_call, 0
	.section	.AMDGPU.csdata,"",@progbits
; Kernel info:
; codeLenInByte = 0
; TotalNumSgprs: 0
; NumVgprs: 0
; ScratchSize: 0
; MemoryBound: 0
; FloatMode: 240
; IeeeMode: 1
; LDSByteSize: 0 bytes/workgroup (compile time only)
; SGPRBlocks: 0
; VGPRBlocks: 0
; NumSGPRsForWavesPerEU: 1
; NumVGPRsForWavesPerEU: 1
; NamedBarCnt: 0
; Occupancy: 16
; WaveLimiterHint : 0
; COMPUTE_PGM_RSRC2:SCRATCH_EN: 0
; COMPUTE_PGM_RSRC2:USER_SGPR: 2
; COMPUTE_PGM_RSRC2:TRAP_HANDLER: 0
; COMPUTE_PGM_RSRC2:TGID_X_EN: 1
; COMPUTE_PGM_RSRC2:TGID_Y_EN: 0
; COMPUTE_PGM_RSRC2:TGID_Z_EN: 0
; COMPUTE_PGM_RSRC2:TIDIG_COMP_CNT: 0
	.section	.text._ZN7rocprim17ROCPRIM_400000_NS6detail17trampoline_kernelINS0_13select_configILj256ELj13ELNS0_17block_load_methodE3ELS4_3ELS4_3ELNS0_20block_scan_algorithmE0ELj4294967295EEENS1_25partition_config_selectorILNS1_17partition_subalgoE3EjNS0_10empty_typeEbEEZZNS1_14partition_implILS8_3ELb0ES6_jNS0_17counting_iteratorIjlEEPS9_SE_NS0_5tupleIJPjSE_EEENSF_IJSE_SE_EEES9_SG_JZNS1_25segmented_radix_sort_implINS0_14default_configELb0EPKfPfPKlPlN2at6native12_GLOBAL__N_18offset_tEEE10hipError_tPvRmT1_PNSt15iterator_traitsISY_E10value_typeET2_T3_PNSZ_IS14_E10value_typeET4_jRbjT5_S1A_jjP12ihipStream_tbEUljE_EEESV_SW_SX_S14_S18_S1A_T6_T7_T9_mT8_S1C_bDpT10_ENKUlT_T0_E_clISt17integral_constantIbLb0EES1P_EEDaS1K_S1L_EUlS1K_E_NS1_11comp_targetILNS1_3genE10ELNS1_11target_archE1200ELNS1_3gpuE4ELNS1_3repE0EEENS1_30default_config_static_selectorELNS0_4arch9wavefront6targetE0EEEvSY_,"axG",@progbits,_ZN7rocprim17ROCPRIM_400000_NS6detail17trampoline_kernelINS0_13select_configILj256ELj13ELNS0_17block_load_methodE3ELS4_3ELS4_3ELNS0_20block_scan_algorithmE0ELj4294967295EEENS1_25partition_config_selectorILNS1_17partition_subalgoE3EjNS0_10empty_typeEbEEZZNS1_14partition_implILS8_3ELb0ES6_jNS0_17counting_iteratorIjlEEPS9_SE_NS0_5tupleIJPjSE_EEENSF_IJSE_SE_EEES9_SG_JZNS1_25segmented_radix_sort_implINS0_14default_configELb0EPKfPfPKlPlN2at6native12_GLOBAL__N_18offset_tEEE10hipError_tPvRmT1_PNSt15iterator_traitsISY_E10value_typeET2_T3_PNSZ_IS14_E10value_typeET4_jRbjT5_S1A_jjP12ihipStream_tbEUljE_EEESV_SW_SX_S14_S18_S1A_T6_T7_T9_mT8_S1C_bDpT10_ENKUlT_T0_E_clISt17integral_constantIbLb0EES1P_EEDaS1K_S1L_EUlS1K_E_NS1_11comp_targetILNS1_3genE10ELNS1_11target_archE1200ELNS1_3gpuE4ELNS1_3repE0EEENS1_30default_config_static_selectorELNS0_4arch9wavefront6targetE0EEEvSY_,comdat
	.globl	_ZN7rocprim17ROCPRIM_400000_NS6detail17trampoline_kernelINS0_13select_configILj256ELj13ELNS0_17block_load_methodE3ELS4_3ELS4_3ELNS0_20block_scan_algorithmE0ELj4294967295EEENS1_25partition_config_selectorILNS1_17partition_subalgoE3EjNS0_10empty_typeEbEEZZNS1_14partition_implILS8_3ELb0ES6_jNS0_17counting_iteratorIjlEEPS9_SE_NS0_5tupleIJPjSE_EEENSF_IJSE_SE_EEES9_SG_JZNS1_25segmented_radix_sort_implINS0_14default_configELb0EPKfPfPKlPlN2at6native12_GLOBAL__N_18offset_tEEE10hipError_tPvRmT1_PNSt15iterator_traitsISY_E10value_typeET2_T3_PNSZ_IS14_E10value_typeET4_jRbjT5_S1A_jjP12ihipStream_tbEUljE_EEESV_SW_SX_S14_S18_S1A_T6_T7_T9_mT8_S1C_bDpT10_ENKUlT_T0_E_clISt17integral_constantIbLb0EES1P_EEDaS1K_S1L_EUlS1K_E_NS1_11comp_targetILNS1_3genE10ELNS1_11target_archE1200ELNS1_3gpuE4ELNS1_3repE0EEENS1_30default_config_static_selectorELNS0_4arch9wavefront6targetE0EEEvSY_ ; -- Begin function _ZN7rocprim17ROCPRIM_400000_NS6detail17trampoline_kernelINS0_13select_configILj256ELj13ELNS0_17block_load_methodE3ELS4_3ELS4_3ELNS0_20block_scan_algorithmE0ELj4294967295EEENS1_25partition_config_selectorILNS1_17partition_subalgoE3EjNS0_10empty_typeEbEEZZNS1_14partition_implILS8_3ELb0ES6_jNS0_17counting_iteratorIjlEEPS9_SE_NS0_5tupleIJPjSE_EEENSF_IJSE_SE_EEES9_SG_JZNS1_25segmented_radix_sort_implINS0_14default_configELb0EPKfPfPKlPlN2at6native12_GLOBAL__N_18offset_tEEE10hipError_tPvRmT1_PNSt15iterator_traitsISY_E10value_typeET2_T3_PNSZ_IS14_E10value_typeET4_jRbjT5_S1A_jjP12ihipStream_tbEUljE_EEESV_SW_SX_S14_S18_S1A_T6_T7_T9_mT8_S1C_bDpT10_ENKUlT_T0_E_clISt17integral_constantIbLb0EES1P_EEDaS1K_S1L_EUlS1K_E_NS1_11comp_targetILNS1_3genE10ELNS1_11target_archE1200ELNS1_3gpuE4ELNS1_3repE0EEENS1_30default_config_static_selectorELNS0_4arch9wavefront6targetE0EEEvSY_
	.p2align	8
	.type	_ZN7rocprim17ROCPRIM_400000_NS6detail17trampoline_kernelINS0_13select_configILj256ELj13ELNS0_17block_load_methodE3ELS4_3ELS4_3ELNS0_20block_scan_algorithmE0ELj4294967295EEENS1_25partition_config_selectorILNS1_17partition_subalgoE3EjNS0_10empty_typeEbEEZZNS1_14partition_implILS8_3ELb0ES6_jNS0_17counting_iteratorIjlEEPS9_SE_NS0_5tupleIJPjSE_EEENSF_IJSE_SE_EEES9_SG_JZNS1_25segmented_radix_sort_implINS0_14default_configELb0EPKfPfPKlPlN2at6native12_GLOBAL__N_18offset_tEEE10hipError_tPvRmT1_PNSt15iterator_traitsISY_E10value_typeET2_T3_PNSZ_IS14_E10value_typeET4_jRbjT5_S1A_jjP12ihipStream_tbEUljE_EEESV_SW_SX_S14_S18_S1A_T6_T7_T9_mT8_S1C_bDpT10_ENKUlT_T0_E_clISt17integral_constantIbLb0EES1P_EEDaS1K_S1L_EUlS1K_E_NS1_11comp_targetILNS1_3genE10ELNS1_11target_archE1200ELNS1_3gpuE4ELNS1_3repE0EEENS1_30default_config_static_selectorELNS0_4arch9wavefront6targetE0EEEvSY_,@function
_ZN7rocprim17ROCPRIM_400000_NS6detail17trampoline_kernelINS0_13select_configILj256ELj13ELNS0_17block_load_methodE3ELS4_3ELS4_3ELNS0_20block_scan_algorithmE0ELj4294967295EEENS1_25partition_config_selectorILNS1_17partition_subalgoE3EjNS0_10empty_typeEbEEZZNS1_14partition_implILS8_3ELb0ES6_jNS0_17counting_iteratorIjlEEPS9_SE_NS0_5tupleIJPjSE_EEENSF_IJSE_SE_EEES9_SG_JZNS1_25segmented_radix_sort_implINS0_14default_configELb0EPKfPfPKlPlN2at6native12_GLOBAL__N_18offset_tEEE10hipError_tPvRmT1_PNSt15iterator_traitsISY_E10value_typeET2_T3_PNSZ_IS14_E10value_typeET4_jRbjT5_S1A_jjP12ihipStream_tbEUljE_EEESV_SW_SX_S14_S18_S1A_T6_T7_T9_mT8_S1C_bDpT10_ENKUlT_T0_E_clISt17integral_constantIbLb0EES1P_EEDaS1K_S1L_EUlS1K_E_NS1_11comp_targetILNS1_3genE10ELNS1_11target_archE1200ELNS1_3gpuE4ELNS1_3repE0EEENS1_30default_config_static_selectorELNS0_4arch9wavefront6targetE0EEEvSY_: ; @_ZN7rocprim17ROCPRIM_400000_NS6detail17trampoline_kernelINS0_13select_configILj256ELj13ELNS0_17block_load_methodE3ELS4_3ELS4_3ELNS0_20block_scan_algorithmE0ELj4294967295EEENS1_25partition_config_selectorILNS1_17partition_subalgoE3EjNS0_10empty_typeEbEEZZNS1_14partition_implILS8_3ELb0ES6_jNS0_17counting_iteratorIjlEEPS9_SE_NS0_5tupleIJPjSE_EEENSF_IJSE_SE_EEES9_SG_JZNS1_25segmented_radix_sort_implINS0_14default_configELb0EPKfPfPKlPlN2at6native12_GLOBAL__N_18offset_tEEE10hipError_tPvRmT1_PNSt15iterator_traitsISY_E10value_typeET2_T3_PNSZ_IS14_E10value_typeET4_jRbjT5_S1A_jjP12ihipStream_tbEUljE_EEESV_SW_SX_S14_S18_S1A_T6_T7_T9_mT8_S1C_bDpT10_ENKUlT_T0_E_clISt17integral_constantIbLb0EES1P_EEDaS1K_S1L_EUlS1K_E_NS1_11comp_targetILNS1_3genE10ELNS1_11target_archE1200ELNS1_3gpuE4ELNS1_3repE0EEENS1_30default_config_static_selectorELNS0_4arch9wavefront6targetE0EEEvSY_
; %bb.0:
	.section	.rodata,"a",@progbits
	.p2align	6, 0x0
	.amdhsa_kernel _ZN7rocprim17ROCPRIM_400000_NS6detail17trampoline_kernelINS0_13select_configILj256ELj13ELNS0_17block_load_methodE3ELS4_3ELS4_3ELNS0_20block_scan_algorithmE0ELj4294967295EEENS1_25partition_config_selectorILNS1_17partition_subalgoE3EjNS0_10empty_typeEbEEZZNS1_14partition_implILS8_3ELb0ES6_jNS0_17counting_iteratorIjlEEPS9_SE_NS0_5tupleIJPjSE_EEENSF_IJSE_SE_EEES9_SG_JZNS1_25segmented_radix_sort_implINS0_14default_configELb0EPKfPfPKlPlN2at6native12_GLOBAL__N_18offset_tEEE10hipError_tPvRmT1_PNSt15iterator_traitsISY_E10value_typeET2_T3_PNSZ_IS14_E10value_typeET4_jRbjT5_S1A_jjP12ihipStream_tbEUljE_EEESV_SW_SX_S14_S18_S1A_T6_T7_T9_mT8_S1C_bDpT10_ENKUlT_T0_E_clISt17integral_constantIbLb0EES1P_EEDaS1K_S1L_EUlS1K_E_NS1_11comp_targetILNS1_3genE10ELNS1_11target_archE1200ELNS1_3gpuE4ELNS1_3repE0EEENS1_30default_config_static_selectorELNS0_4arch9wavefront6targetE0EEEvSY_
		.amdhsa_group_segment_fixed_size 0
		.amdhsa_private_segment_fixed_size 0
		.amdhsa_kernarg_size 144
		.amdhsa_user_sgpr_count 2
		.amdhsa_user_sgpr_dispatch_ptr 0
		.amdhsa_user_sgpr_queue_ptr 0
		.amdhsa_user_sgpr_kernarg_segment_ptr 1
		.amdhsa_user_sgpr_dispatch_id 0
		.amdhsa_user_sgpr_kernarg_preload_length 0
		.amdhsa_user_sgpr_kernarg_preload_offset 0
		.amdhsa_user_sgpr_private_segment_size 0
		.amdhsa_wavefront_size32 1
		.amdhsa_uses_dynamic_stack 0
		.amdhsa_enable_private_segment 0
		.amdhsa_system_sgpr_workgroup_id_x 1
		.amdhsa_system_sgpr_workgroup_id_y 0
		.amdhsa_system_sgpr_workgroup_id_z 0
		.amdhsa_system_sgpr_workgroup_info 0
		.amdhsa_system_vgpr_workitem_id 0
		.amdhsa_next_free_vgpr 1
		.amdhsa_next_free_sgpr 1
		.amdhsa_named_barrier_count 0
		.amdhsa_reserve_vcc 0
		.amdhsa_float_round_mode_32 0
		.amdhsa_float_round_mode_16_64 0
		.amdhsa_float_denorm_mode_32 3
		.amdhsa_float_denorm_mode_16_64 3
		.amdhsa_fp16_overflow 0
		.amdhsa_memory_ordered 1
		.amdhsa_forward_progress 1
		.amdhsa_inst_pref_size 0
		.amdhsa_round_robin_scheduling 0
		.amdhsa_exception_fp_ieee_invalid_op 0
		.amdhsa_exception_fp_denorm_src 0
		.amdhsa_exception_fp_ieee_div_zero 0
		.amdhsa_exception_fp_ieee_overflow 0
		.amdhsa_exception_fp_ieee_underflow 0
		.amdhsa_exception_fp_ieee_inexact 0
		.amdhsa_exception_int_div_zero 0
	.end_amdhsa_kernel
	.section	.text._ZN7rocprim17ROCPRIM_400000_NS6detail17trampoline_kernelINS0_13select_configILj256ELj13ELNS0_17block_load_methodE3ELS4_3ELS4_3ELNS0_20block_scan_algorithmE0ELj4294967295EEENS1_25partition_config_selectorILNS1_17partition_subalgoE3EjNS0_10empty_typeEbEEZZNS1_14partition_implILS8_3ELb0ES6_jNS0_17counting_iteratorIjlEEPS9_SE_NS0_5tupleIJPjSE_EEENSF_IJSE_SE_EEES9_SG_JZNS1_25segmented_radix_sort_implINS0_14default_configELb0EPKfPfPKlPlN2at6native12_GLOBAL__N_18offset_tEEE10hipError_tPvRmT1_PNSt15iterator_traitsISY_E10value_typeET2_T3_PNSZ_IS14_E10value_typeET4_jRbjT5_S1A_jjP12ihipStream_tbEUljE_EEESV_SW_SX_S14_S18_S1A_T6_T7_T9_mT8_S1C_bDpT10_ENKUlT_T0_E_clISt17integral_constantIbLb0EES1P_EEDaS1K_S1L_EUlS1K_E_NS1_11comp_targetILNS1_3genE10ELNS1_11target_archE1200ELNS1_3gpuE4ELNS1_3repE0EEENS1_30default_config_static_selectorELNS0_4arch9wavefront6targetE0EEEvSY_,"axG",@progbits,_ZN7rocprim17ROCPRIM_400000_NS6detail17trampoline_kernelINS0_13select_configILj256ELj13ELNS0_17block_load_methodE3ELS4_3ELS4_3ELNS0_20block_scan_algorithmE0ELj4294967295EEENS1_25partition_config_selectorILNS1_17partition_subalgoE3EjNS0_10empty_typeEbEEZZNS1_14partition_implILS8_3ELb0ES6_jNS0_17counting_iteratorIjlEEPS9_SE_NS0_5tupleIJPjSE_EEENSF_IJSE_SE_EEES9_SG_JZNS1_25segmented_radix_sort_implINS0_14default_configELb0EPKfPfPKlPlN2at6native12_GLOBAL__N_18offset_tEEE10hipError_tPvRmT1_PNSt15iterator_traitsISY_E10value_typeET2_T3_PNSZ_IS14_E10value_typeET4_jRbjT5_S1A_jjP12ihipStream_tbEUljE_EEESV_SW_SX_S14_S18_S1A_T6_T7_T9_mT8_S1C_bDpT10_ENKUlT_T0_E_clISt17integral_constantIbLb0EES1P_EEDaS1K_S1L_EUlS1K_E_NS1_11comp_targetILNS1_3genE10ELNS1_11target_archE1200ELNS1_3gpuE4ELNS1_3repE0EEENS1_30default_config_static_selectorELNS0_4arch9wavefront6targetE0EEEvSY_,comdat
.Lfunc_end1394:
	.size	_ZN7rocprim17ROCPRIM_400000_NS6detail17trampoline_kernelINS0_13select_configILj256ELj13ELNS0_17block_load_methodE3ELS4_3ELS4_3ELNS0_20block_scan_algorithmE0ELj4294967295EEENS1_25partition_config_selectorILNS1_17partition_subalgoE3EjNS0_10empty_typeEbEEZZNS1_14partition_implILS8_3ELb0ES6_jNS0_17counting_iteratorIjlEEPS9_SE_NS0_5tupleIJPjSE_EEENSF_IJSE_SE_EEES9_SG_JZNS1_25segmented_radix_sort_implINS0_14default_configELb0EPKfPfPKlPlN2at6native12_GLOBAL__N_18offset_tEEE10hipError_tPvRmT1_PNSt15iterator_traitsISY_E10value_typeET2_T3_PNSZ_IS14_E10value_typeET4_jRbjT5_S1A_jjP12ihipStream_tbEUljE_EEESV_SW_SX_S14_S18_S1A_T6_T7_T9_mT8_S1C_bDpT10_ENKUlT_T0_E_clISt17integral_constantIbLb0EES1P_EEDaS1K_S1L_EUlS1K_E_NS1_11comp_targetILNS1_3genE10ELNS1_11target_archE1200ELNS1_3gpuE4ELNS1_3repE0EEENS1_30default_config_static_selectorELNS0_4arch9wavefront6targetE0EEEvSY_, .Lfunc_end1394-_ZN7rocprim17ROCPRIM_400000_NS6detail17trampoline_kernelINS0_13select_configILj256ELj13ELNS0_17block_load_methodE3ELS4_3ELS4_3ELNS0_20block_scan_algorithmE0ELj4294967295EEENS1_25partition_config_selectorILNS1_17partition_subalgoE3EjNS0_10empty_typeEbEEZZNS1_14partition_implILS8_3ELb0ES6_jNS0_17counting_iteratorIjlEEPS9_SE_NS0_5tupleIJPjSE_EEENSF_IJSE_SE_EEES9_SG_JZNS1_25segmented_radix_sort_implINS0_14default_configELb0EPKfPfPKlPlN2at6native12_GLOBAL__N_18offset_tEEE10hipError_tPvRmT1_PNSt15iterator_traitsISY_E10value_typeET2_T3_PNSZ_IS14_E10value_typeET4_jRbjT5_S1A_jjP12ihipStream_tbEUljE_EEESV_SW_SX_S14_S18_S1A_T6_T7_T9_mT8_S1C_bDpT10_ENKUlT_T0_E_clISt17integral_constantIbLb0EES1P_EEDaS1K_S1L_EUlS1K_E_NS1_11comp_targetILNS1_3genE10ELNS1_11target_archE1200ELNS1_3gpuE4ELNS1_3repE0EEENS1_30default_config_static_selectorELNS0_4arch9wavefront6targetE0EEEvSY_
                                        ; -- End function
	.set _ZN7rocprim17ROCPRIM_400000_NS6detail17trampoline_kernelINS0_13select_configILj256ELj13ELNS0_17block_load_methodE3ELS4_3ELS4_3ELNS0_20block_scan_algorithmE0ELj4294967295EEENS1_25partition_config_selectorILNS1_17partition_subalgoE3EjNS0_10empty_typeEbEEZZNS1_14partition_implILS8_3ELb0ES6_jNS0_17counting_iteratorIjlEEPS9_SE_NS0_5tupleIJPjSE_EEENSF_IJSE_SE_EEES9_SG_JZNS1_25segmented_radix_sort_implINS0_14default_configELb0EPKfPfPKlPlN2at6native12_GLOBAL__N_18offset_tEEE10hipError_tPvRmT1_PNSt15iterator_traitsISY_E10value_typeET2_T3_PNSZ_IS14_E10value_typeET4_jRbjT5_S1A_jjP12ihipStream_tbEUljE_EEESV_SW_SX_S14_S18_S1A_T6_T7_T9_mT8_S1C_bDpT10_ENKUlT_T0_E_clISt17integral_constantIbLb0EES1P_EEDaS1K_S1L_EUlS1K_E_NS1_11comp_targetILNS1_3genE10ELNS1_11target_archE1200ELNS1_3gpuE4ELNS1_3repE0EEENS1_30default_config_static_selectorELNS0_4arch9wavefront6targetE0EEEvSY_.num_vgpr, 0
	.set _ZN7rocprim17ROCPRIM_400000_NS6detail17trampoline_kernelINS0_13select_configILj256ELj13ELNS0_17block_load_methodE3ELS4_3ELS4_3ELNS0_20block_scan_algorithmE0ELj4294967295EEENS1_25partition_config_selectorILNS1_17partition_subalgoE3EjNS0_10empty_typeEbEEZZNS1_14partition_implILS8_3ELb0ES6_jNS0_17counting_iteratorIjlEEPS9_SE_NS0_5tupleIJPjSE_EEENSF_IJSE_SE_EEES9_SG_JZNS1_25segmented_radix_sort_implINS0_14default_configELb0EPKfPfPKlPlN2at6native12_GLOBAL__N_18offset_tEEE10hipError_tPvRmT1_PNSt15iterator_traitsISY_E10value_typeET2_T3_PNSZ_IS14_E10value_typeET4_jRbjT5_S1A_jjP12ihipStream_tbEUljE_EEESV_SW_SX_S14_S18_S1A_T6_T7_T9_mT8_S1C_bDpT10_ENKUlT_T0_E_clISt17integral_constantIbLb0EES1P_EEDaS1K_S1L_EUlS1K_E_NS1_11comp_targetILNS1_3genE10ELNS1_11target_archE1200ELNS1_3gpuE4ELNS1_3repE0EEENS1_30default_config_static_selectorELNS0_4arch9wavefront6targetE0EEEvSY_.num_agpr, 0
	.set _ZN7rocprim17ROCPRIM_400000_NS6detail17trampoline_kernelINS0_13select_configILj256ELj13ELNS0_17block_load_methodE3ELS4_3ELS4_3ELNS0_20block_scan_algorithmE0ELj4294967295EEENS1_25partition_config_selectorILNS1_17partition_subalgoE3EjNS0_10empty_typeEbEEZZNS1_14partition_implILS8_3ELb0ES6_jNS0_17counting_iteratorIjlEEPS9_SE_NS0_5tupleIJPjSE_EEENSF_IJSE_SE_EEES9_SG_JZNS1_25segmented_radix_sort_implINS0_14default_configELb0EPKfPfPKlPlN2at6native12_GLOBAL__N_18offset_tEEE10hipError_tPvRmT1_PNSt15iterator_traitsISY_E10value_typeET2_T3_PNSZ_IS14_E10value_typeET4_jRbjT5_S1A_jjP12ihipStream_tbEUljE_EEESV_SW_SX_S14_S18_S1A_T6_T7_T9_mT8_S1C_bDpT10_ENKUlT_T0_E_clISt17integral_constantIbLb0EES1P_EEDaS1K_S1L_EUlS1K_E_NS1_11comp_targetILNS1_3genE10ELNS1_11target_archE1200ELNS1_3gpuE4ELNS1_3repE0EEENS1_30default_config_static_selectorELNS0_4arch9wavefront6targetE0EEEvSY_.numbered_sgpr, 0
	.set _ZN7rocprim17ROCPRIM_400000_NS6detail17trampoline_kernelINS0_13select_configILj256ELj13ELNS0_17block_load_methodE3ELS4_3ELS4_3ELNS0_20block_scan_algorithmE0ELj4294967295EEENS1_25partition_config_selectorILNS1_17partition_subalgoE3EjNS0_10empty_typeEbEEZZNS1_14partition_implILS8_3ELb0ES6_jNS0_17counting_iteratorIjlEEPS9_SE_NS0_5tupleIJPjSE_EEENSF_IJSE_SE_EEES9_SG_JZNS1_25segmented_radix_sort_implINS0_14default_configELb0EPKfPfPKlPlN2at6native12_GLOBAL__N_18offset_tEEE10hipError_tPvRmT1_PNSt15iterator_traitsISY_E10value_typeET2_T3_PNSZ_IS14_E10value_typeET4_jRbjT5_S1A_jjP12ihipStream_tbEUljE_EEESV_SW_SX_S14_S18_S1A_T6_T7_T9_mT8_S1C_bDpT10_ENKUlT_T0_E_clISt17integral_constantIbLb0EES1P_EEDaS1K_S1L_EUlS1K_E_NS1_11comp_targetILNS1_3genE10ELNS1_11target_archE1200ELNS1_3gpuE4ELNS1_3repE0EEENS1_30default_config_static_selectorELNS0_4arch9wavefront6targetE0EEEvSY_.num_named_barrier, 0
	.set _ZN7rocprim17ROCPRIM_400000_NS6detail17trampoline_kernelINS0_13select_configILj256ELj13ELNS0_17block_load_methodE3ELS4_3ELS4_3ELNS0_20block_scan_algorithmE0ELj4294967295EEENS1_25partition_config_selectorILNS1_17partition_subalgoE3EjNS0_10empty_typeEbEEZZNS1_14partition_implILS8_3ELb0ES6_jNS0_17counting_iteratorIjlEEPS9_SE_NS0_5tupleIJPjSE_EEENSF_IJSE_SE_EEES9_SG_JZNS1_25segmented_radix_sort_implINS0_14default_configELb0EPKfPfPKlPlN2at6native12_GLOBAL__N_18offset_tEEE10hipError_tPvRmT1_PNSt15iterator_traitsISY_E10value_typeET2_T3_PNSZ_IS14_E10value_typeET4_jRbjT5_S1A_jjP12ihipStream_tbEUljE_EEESV_SW_SX_S14_S18_S1A_T6_T7_T9_mT8_S1C_bDpT10_ENKUlT_T0_E_clISt17integral_constantIbLb0EES1P_EEDaS1K_S1L_EUlS1K_E_NS1_11comp_targetILNS1_3genE10ELNS1_11target_archE1200ELNS1_3gpuE4ELNS1_3repE0EEENS1_30default_config_static_selectorELNS0_4arch9wavefront6targetE0EEEvSY_.private_seg_size, 0
	.set _ZN7rocprim17ROCPRIM_400000_NS6detail17trampoline_kernelINS0_13select_configILj256ELj13ELNS0_17block_load_methodE3ELS4_3ELS4_3ELNS0_20block_scan_algorithmE0ELj4294967295EEENS1_25partition_config_selectorILNS1_17partition_subalgoE3EjNS0_10empty_typeEbEEZZNS1_14partition_implILS8_3ELb0ES6_jNS0_17counting_iteratorIjlEEPS9_SE_NS0_5tupleIJPjSE_EEENSF_IJSE_SE_EEES9_SG_JZNS1_25segmented_radix_sort_implINS0_14default_configELb0EPKfPfPKlPlN2at6native12_GLOBAL__N_18offset_tEEE10hipError_tPvRmT1_PNSt15iterator_traitsISY_E10value_typeET2_T3_PNSZ_IS14_E10value_typeET4_jRbjT5_S1A_jjP12ihipStream_tbEUljE_EEESV_SW_SX_S14_S18_S1A_T6_T7_T9_mT8_S1C_bDpT10_ENKUlT_T0_E_clISt17integral_constantIbLb0EES1P_EEDaS1K_S1L_EUlS1K_E_NS1_11comp_targetILNS1_3genE10ELNS1_11target_archE1200ELNS1_3gpuE4ELNS1_3repE0EEENS1_30default_config_static_selectorELNS0_4arch9wavefront6targetE0EEEvSY_.uses_vcc, 0
	.set _ZN7rocprim17ROCPRIM_400000_NS6detail17trampoline_kernelINS0_13select_configILj256ELj13ELNS0_17block_load_methodE3ELS4_3ELS4_3ELNS0_20block_scan_algorithmE0ELj4294967295EEENS1_25partition_config_selectorILNS1_17partition_subalgoE3EjNS0_10empty_typeEbEEZZNS1_14partition_implILS8_3ELb0ES6_jNS0_17counting_iteratorIjlEEPS9_SE_NS0_5tupleIJPjSE_EEENSF_IJSE_SE_EEES9_SG_JZNS1_25segmented_radix_sort_implINS0_14default_configELb0EPKfPfPKlPlN2at6native12_GLOBAL__N_18offset_tEEE10hipError_tPvRmT1_PNSt15iterator_traitsISY_E10value_typeET2_T3_PNSZ_IS14_E10value_typeET4_jRbjT5_S1A_jjP12ihipStream_tbEUljE_EEESV_SW_SX_S14_S18_S1A_T6_T7_T9_mT8_S1C_bDpT10_ENKUlT_T0_E_clISt17integral_constantIbLb0EES1P_EEDaS1K_S1L_EUlS1K_E_NS1_11comp_targetILNS1_3genE10ELNS1_11target_archE1200ELNS1_3gpuE4ELNS1_3repE0EEENS1_30default_config_static_selectorELNS0_4arch9wavefront6targetE0EEEvSY_.uses_flat_scratch, 0
	.set _ZN7rocprim17ROCPRIM_400000_NS6detail17trampoline_kernelINS0_13select_configILj256ELj13ELNS0_17block_load_methodE3ELS4_3ELS4_3ELNS0_20block_scan_algorithmE0ELj4294967295EEENS1_25partition_config_selectorILNS1_17partition_subalgoE3EjNS0_10empty_typeEbEEZZNS1_14partition_implILS8_3ELb0ES6_jNS0_17counting_iteratorIjlEEPS9_SE_NS0_5tupleIJPjSE_EEENSF_IJSE_SE_EEES9_SG_JZNS1_25segmented_radix_sort_implINS0_14default_configELb0EPKfPfPKlPlN2at6native12_GLOBAL__N_18offset_tEEE10hipError_tPvRmT1_PNSt15iterator_traitsISY_E10value_typeET2_T3_PNSZ_IS14_E10value_typeET4_jRbjT5_S1A_jjP12ihipStream_tbEUljE_EEESV_SW_SX_S14_S18_S1A_T6_T7_T9_mT8_S1C_bDpT10_ENKUlT_T0_E_clISt17integral_constantIbLb0EES1P_EEDaS1K_S1L_EUlS1K_E_NS1_11comp_targetILNS1_3genE10ELNS1_11target_archE1200ELNS1_3gpuE4ELNS1_3repE0EEENS1_30default_config_static_selectorELNS0_4arch9wavefront6targetE0EEEvSY_.has_dyn_sized_stack, 0
	.set _ZN7rocprim17ROCPRIM_400000_NS6detail17trampoline_kernelINS0_13select_configILj256ELj13ELNS0_17block_load_methodE3ELS4_3ELS4_3ELNS0_20block_scan_algorithmE0ELj4294967295EEENS1_25partition_config_selectorILNS1_17partition_subalgoE3EjNS0_10empty_typeEbEEZZNS1_14partition_implILS8_3ELb0ES6_jNS0_17counting_iteratorIjlEEPS9_SE_NS0_5tupleIJPjSE_EEENSF_IJSE_SE_EEES9_SG_JZNS1_25segmented_radix_sort_implINS0_14default_configELb0EPKfPfPKlPlN2at6native12_GLOBAL__N_18offset_tEEE10hipError_tPvRmT1_PNSt15iterator_traitsISY_E10value_typeET2_T3_PNSZ_IS14_E10value_typeET4_jRbjT5_S1A_jjP12ihipStream_tbEUljE_EEESV_SW_SX_S14_S18_S1A_T6_T7_T9_mT8_S1C_bDpT10_ENKUlT_T0_E_clISt17integral_constantIbLb0EES1P_EEDaS1K_S1L_EUlS1K_E_NS1_11comp_targetILNS1_3genE10ELNS1_11target_archE1200ELNS1_3gpuE4ELNS1_3repE0EEENS1_30default_config_static_selectorELNS0_4arch9wavefront6targetE0EEEvSY_.has_recursion, 0
	.set _ZN7rocprim17ROCPRIM_400000_NS6detail17trampoline_kernelINS0_13select_configILj256ELj13ELNS0_17block_load_methodE3ELS4_3ELS4_3ELNS0_20block_scan_algorithmE0ELj4294967295EEENS1_25partition_config_selectorILNS1_17partition_subalgoE3EjNS0_10empty_typeEbEEZZNS1_14partition_implILS8_3ELb0ES6_jNS0_17counting_iteratorIjlEEPS9_SE_NS0_5tupleIJPjSE_EEENSF_IJSE_SE_EEES9_SG_JZNS1_25segmented_radix_sort_implINS0_14default_configELb0EPKfPfPKlPlN2at6native12_GLOBAL__N_18offset_tEEE10hipError_tPvRmT1_PNSt15iterator_traitsISY_E10value_typeET2_T3_PNSZ_IS14_E10value_typeET4_jRbjT5_S1A_jjP12ihipStream_tbEUljE_EEESV_SW_SX_S14_S18_S1A_T6_T7_T9_mT8_S1C_bDpT10_ENKUlT_T0_E_clISt17integral_constantIbLb0EES1P_EEDaS1K_S1L_EUlS1K_E_NS1_11comp_targetILNS1_3genE10ELNS1_11target_archE1200ELNS1_3gpuE4ELNS1_3repE0EEENS1_30default_config_static_selectorELNS0_4arch9wavefront6targetE0EEEvSY_.has_indirect_call, 0
	.section	.AMDGPU.csdata,"",@progbits
; Kernel info:
; codeLenInByte = 0
; TotalNumSgprs: 0
; NumVgprs: 0
; ScratchSize: 0
; MemoryBound: 0
; FloatMode: 240
; IeeeMode: 1
; LDSByteSize: 0 bytes/workgroup (compile time only)
; SGPRBlocks: 0
; VGPRBlocks: 0
; NumSGPRsForWavesPerEU: 1
; NumVGPRsForWavesPerEU: 1
; NamedBarCnt: 0
; Occupancy: 16
; WaveLimiterHint : 0
; COMPUTE_PGM_RSRC2:SCRATCH_EN: 0
; COMPUTE_PGM_RSRC2:USER_SGPR: 2
; COMPUTE_PGM_RSRC2:TRAP_HANDLER: 0
; COMPUTE_PGM_RSRC2:TGID_X_EN: 1
; COMPUTE_PGM_RSRC2:TGID_Y_EN: 0
; COMPUTE_PGM_RSRC2:TGID_Z_EN: 0
; COMPUTE_PGM_RSRC2:TIDIG_COMP_CNT: 0
	.section	.text._ZN7rocprim17ROCPRIM_400000_NS6detail17trampoline_kernelINS0_13select_configILj256ELj13ELNS0_17block_load_methodE3ELS4_3ELS4_3ELNS0_20block_scan_algorithmE0ELj4294967295EEENS1_25partition_config_selectorILNS1_17partition_subalgoE3EjNS0_10empty_typeEbEEZZNS1_14partition_implILS8_3ELb0ES6_jNS0_17counting_iteratorIjlEEPS9_SE_NS0_5tupleIJPjSE_EEENSF_IJSE_SE_EEES9_SG_JZNS1_25segmented_radix_sort_implINS0_14default_configELb0EPKfPfPKlPlN2at6native12_GLOBAL__N_18offset_tEEE10hipError_tPvRmT1_PNSt15iterator_traitsISY_E10value_typeET2_T3_PNSZ_IS14_E10value_typeET4_jRbjT5_S1A_jjP12ihipStream_tbEUljE_EEESV_SW_SX_S14_S18_S1A_T6_T7_T9_mT8_S1C_bDpT10_ENKUlT_T0_E_clISt17integral_constantIbLb0EES1P_EEDaS1K_S1L_EUlS1K_E_NS1_11comp_targetILNS1_3genE9ELNS1_11target_archE1100ELNS1_3gpuE3ELNS1_3repE0EEENS1_30default_config_static_selectorELNS0_4arch9wavefront6targetE0EEEvSY_,"axG",@progbits,_ZN7rocprim17ROCPRIM_400000_NS6detail17trampoline_kernelINS0_13select_configILj256ELj13ELNS0_17block_load_methodE3ELS4_3ELS4_3ELNS0_20block_scan_algorithmE0ELj4294967295EEENS1_25partition_config_selectorILNS1_17partition_subalgoE3EjNS0_10empty_typeEbEEZZNS1_14partition_implILS8_3ELb0ES6_jNS0_17counting_iteratorIjlEEPS9_SE_NS0_5tupleIJPjSE_EEENSF_IJSE_SE_EEES9_SG_JZNS1_25segmented_radix_sort_implINS0_14default_configELb0EPKfPfPKlPlN2at6native12_GLOBAL__N_18offset_tEEE10hipError_tPvRmT1_PNSt15iterator_traitsISY_E10value_typeET2_T3_PNSZ_IS14_E10value_typeET4_jRbjT5_S1A_jjP12ihipStream_tbEUljE_EEESV_SW_SX_S14_S18_S1A_T6_T7_T9_mT8_S1C_bDpT10_ENKUlT_T0_E_clISt17integral_constantIbLb0EES1P_EEDaS1K_S1L_EUlS1K_E_NS1_11comp_targetILNS1_3genE9ELNS1_11target_archE1100ELNS1_3gpuE3ELNS1_3repE0EEENS1_30default_config_static_selectorELNS0_4arch9wavefront6targetE0EEEvSY_,comdat
	.globl	_ZN7rocprim17ROCPRIM_400000_NS6detail17trampoline_kernelINS0_13select_configILj256ELj13ELNS0_17block_load_methodE3ELS4_3ELS4_3ELNS0_20block_scan_algorithmE0ELj4294967295EEENS1_25partition_config_selectorILNS1_17partition_subalgoE3EjNS0_10empty_typeEbEEZZNS1_14partition_implILS8_3ELb0ES6_jNS0_17counting_iteratorIjlEEPS9_SE_NS0_5tupleIJPjSE_EEENSF_IJSE_SE_EEES9_SG_JZNS1_25segmented_radix_sort_implINS0_14default_configELb0EPKfPfPKlPlN2at6native12_GLOBAL__N_18offset_tEEE10hipError_tPvRmT1_PNSt15iterator_traitsISY_E10value_typeET2_T3_PNSZ_IS14_E10value_typeET4_jRbjT5_S1A_jjP12ihipStream_tbEUljE_EEESV_SW_SX_S14_S18_S1A_T6_T7_T9_mT8_S1C_bDpT10_ENKUlT_T0_E_clISt17integral_constantIbLb0EES1P_EEDaS1K_S1L_EUlS1K_E_NS1_11comp_targetILNS1_3genE9ELNS1_11target_archE1100ELNS1_3gpuE3ELNS1_3repE0EEENS1_30default_config_static_selectorELNS0_4arch9wavefront6targetE0EEEvSY_ ; -- Begin function _ZN7rocprim17ROCPRIM_400000_NS6detail17trampoline_kernelINS0_13select_configILj256ELj13ELNS0_17block_load_methodE3ELS4_3ELS4_3ELNS0_20block_scan_algorithmE0ELj4294967295EEENS1_25partition_config_selectorILNS1_17partition_subalgoE3EjNS0_10empty_typeEbEEZZNS1_14partition_implILS8_3ELb0ES6_jNS0_17counting_iteratorIjlEEPS9_SE_NS0_5tupleIJPjSE_EEENSF_IJSE_SE_EEES9_SG_JZNS1_25segmented_radix_sort_implINS0_14default_configELb0EPKfPfPKlPlN2at6native12_GLOBAL__N_18offset_tEEE10hipError_tPvRmT1_PNSt15iterator_traitsISY_E10value_typeET2_T3_PNSZ_IS14_E10value_typeET4_jRbjT5_S1A_jjP12ihipStream_tbEUljE_EEESV_SW_SX_S14_S18_S1A_T6_T7_T9_mT8_S1C_bDpT10_ENKUlT_T0_E_clISt17integral_constantIbLb0EES1P_EEDaS1K_S1L_EUlS1K_E_NS1_11comp_targetILNS1_3genE9ELNS1_11target_archE1100ELNS1_3gpuE3ELNS1_3repE0EEENS1_30default_config_static_selectorELNS0_4arch9wavefront6targetE0EEEvSY_
	.p2align	8
	.type	_ZN7rocprim17ROCPRIM_400000_NS6detail17trampoline_kernelINS0_13select_configILj256ELj13ELNS0_17block_load_methodE3ELS4_3ELS4_3ELNS0_20block_scan_algorithmE0ELj4294967295EEENS1_25partition_config_selectorILNS1_17partition_subalgoE3EjNS0_10empty_typeEbEEZZNS1_14partition_implILS8_3ELb0ES6_jNS0_17counting_iteratorIjlEEPS9_SE_NS0_5tupleIJPjSE_EEENSF_IJSE_SE_EEES9_SG_JZNS1_25segmented_radix_sort_implINS0_14default_configELb0EPKfPfPKlPlN2at6native12_GLOBAL__N_18offset_tEEE10hipError_tPvRmT1_PNSt15iterator_traitsISY_E10value_typeET2_T3_PNSZ_IS14_E10value_typeET4_jRbjT5_S1A_jjP12ihipStream_tbEUljE_EEESV_SW_SX_S14_S18_S1A_T6_T7_T9_mT8_S1C_bDpT10_ENKUlT_T0_E_clISt17integral_constantIbLb0EES1P_EEDaS1K_S1L_EUlS1K_E_NS1_11comp_targetILNS1_3genE9ELNS1_11target_archE1100ELNS1_3gpuE3ELNS1_3repE0EEENS1_30default_config_static_selectorELNS0_4arch9wavefront6targetE0EEEvSY_,@function
_ZN7rocprim17ROCPRIM_400000_NS6detail17trampoline_kernelINS0_13select_configILj256ELj13ELNS0_17block_load_methodE3ELS4_3ELS4_3ELNS0_20block_scan_algorithmE0ELj4294967295EEENS1_25partition_config_selectorILNS1_17partition_subalgoE3EjNS0_10empty_typeEbEEZZNS1_14partition_implILS8_3ELb0ES6_jNS0_17counting_iteratorIjlEEPS9_SE_NS0_5tupleIJPjSE_EEENSF_IJSE_SE_EEES9_SG_JZNS1_25segmented_radix_sort_implINS0_14default_configELb0EPKfPfPKlPlN2at6native12_GLOBAL__N_18offset_tEEE10hipError_tPvRmT1_PNSt15iterator_traitsISY_E10value_typeET2_T3_PNSZ_IS14_E10value_typeET4_jRbjT5_S1A_jjP12ihipStream_tbEUljE_EEESV_SW_SX_S14_S18_S1A_T6_T7_T9_mT8_S1C_bDpT10_ENKUlT_T0_E_clISt17integral_constantIbLb0EES1P_EEDaS1K_S1L_EUlS1K_E_NS1_11comp_targetILNS1_3genE9ELNS1_11target_archE1100ELNS1_3gpuE3ELNS1_3repE0EEENS1_30default_config_static_selectorELNS0_4arch9wavefront6targetE0EEEvSY_: ; @_ZN7rocprim17ROCPRIM_400000_NS6detail17trampoline_kernelINS0_13select_configILj256ELj13ELNS0_17block_load_methodE3ELS4_3ELS4_3ELNS0_20block_scan_algorithmE0ELj4294967295EEENS1_25partition_config_selectorILNS1_17partition_subalgoE3EjNS0_10empty_typeEbEEZZNS1_14partition_implILS8_3ELb0ES6_jNS0_17counting_iteratorIjlEEPS9_SE_NS0_5tupleIJPjSE_EEENSF_IJSE_SE_EEES9_SG_JZNS1_25segmented_radix_sort_implINS0_14default_configELb0EPKfPfPKlPlN2at6native12_GLOBAL__N_18offset_tEEE10hipError_tPvRmT1_PNSt15iterator_traitsISY_E10value_typeET2_T3_PNSZ_IS14_E10value_typeET4_jRbjT5_S1A_jjP12ihipStream_tbEUljE_EEESV_SW_SX_S14_S18_S1A_T6_T7_T9_mT8_S1C_bDpT10_ENKUlT_T0_E_clISt17integral_constantIbLb0EES1P_EEDaS1K_S1L_EUlS1K_E_NS1_11comp_targetILNS1_3genE9ELNS1_11target_archE1100ELNS1_3gpuE3ELNS1_3repE0EEENS1_30default_config_static_selectorELNS0_4arch9wavefront6targetE0EEEvSY_
; %bb.0:
	.section	.rodata,"a",@progbits
	.p2align	6, 0x0
	.amdhsa_kernel _ZN7rocprim17ROCPRIM_400000_NS6detail17trampoline_kernelINS0_13select_configILj256ELj13ELNS0_17block_load_methodE3ELS4_3ELS4_3ELNS0_20block_scan_algorithmE0ELj4294967295EEENS1_25partition_config_selectorILNS1_17partition_subalgoE3EjNS0_10empty_typeEbEEZZNS1_14partition_implILS8_3ELb0ES6_jNS0_17counting_iteratorIjlEEPS9_SE_NS0_5tupleIJPjSE_EEENSF_IJSE_SE_EEES9_SG_JZNS1_25segmented_radix_sort_implINS0_14default_configELb0EPKfPfPKlPlN2at6native12_GLOBAL__N_18offset_tEEE10hipError_tPvRmT1_PNSt15iterator_traitsISY_E10value_typeET2_T3_PNSZ_IS14_E10value_typeET4_jRbjT5_S1A_jjP12ihipStream_tbEUljE_EEESV_SW_SX_S14_S18_S1A_T6_T7_T9_mT8_S1C_bDpT10_ENKUlT_T0_E_clISt17integral_constantIbLb0EES1P_EEDaS1K_S1L_EUlS1K_E_NS1_11comp_targetILNS1_3genE9ELNS1_11target_archE1100ELNS1_3gpuE3ELNS1_3repE0EEENS1_30default_config_static_selectorELNS0_4arch9wavefront6targetE0EEEvSY_
		.amdhsa_group_segment_fixed_size 0
		.amdhsa_private_segment_fixed_size 0
		.amdhsa_kernarg_size 144
		.amdhsa_user_sgpr_count 2
		.amdhsa_user_sgpr_dispatch_ptr 0
		.amdhsa_user_sgpr_queue_ptr 0
		.amdhsa_user_sgpr_kernarg_segment_ptr 1
		.amdhsa_user_sgpr_dispatch_id 0
		.amdhsa_user_sgpr_kernarg_preload_length 0
		.amdhsa_user_sgpr_kernarg_preload_offset 0
		.amdhsa_user_sgpr_private_segment_size 0
		.amdhsa_wavefront_size32 1
		.amdhsa_uses_dynamic_stack 0
		.amdhsa_enable_private_segment 0
		.amdhsa_system_sgpr_workgroup_id_x 1
		.amdhsa_system_sgpr_workgroup_id_y 0
		.amdhsa_system_sgpr_workgroup_id_z 0
		.amdhsa_system_sgpr_workgroup_info 0
		.amdhsa_system_vgpr_workitem_id 0
		.amdhsa_next_free_vgpr 1
		.amdhsa_next_free_sgpr 1
		.amdhsa_named_barrier_count 0
		.amdhsa_reserve_vcc 0
		.amdhsa_float_round_mode_32 0
		.amdhsa_float_round_mode_16_64 0
		.amdhsa_float_denorm_mode_32 3
		.amdhsa_float_denorm_mode_16_64 3
		.amdhsa_fp16_overflow 0
		.amdhsa_memory_ordered 1
		.amdhsa_forward_progress 1
		.amdhsa_inst_pref_size 0
		.amdhsa_round_robin_scheduling 0
		.amdhsa_exception_fp_ieee_invalid_op 0
		.amdhsa_exception_fp_denorm_src 0
		.amdhsa_exception_fp_ieee_div_zero 0
		.amdhsa_exception_fp_ieee_overflow 0
		.amdhsa_exception_fp_ieee_underflow 0
		.amdhsa_exception_fp_ieee_inexact 0
		.amdhsa_exception_int_div_zero 0
	.end_amdhsa_kernel
	.section	.text._ZN7rocprim17ROCPRIM_400000_NS6detail17trampoline_kernelINS0_13select_configILj256ELj13ELNS0_17block_load_methodE3ELS4_3ELS4_3ELNS0_20block_scan_algorithmE0ELj4294967295EEENS1_25partition_config_selectorILNS1_17partition_subalgoE3EjNS0_10empty_typeEbEEZZNS1_14partition_implILS8_3ELb0ES6_jNS0_17counting_iteratorIjlEEPS9_SE_NS0_5tupleIJPjSE_EEENSF_IJSE_SE_EEES9_SG_JZNS1_25segmented_radix_sort_implINS0_14default_configELb0EPKfPfPKlPlN2at6native12_GLOBAL__N_18offset_tEEE10hipError_tPvRmT1_PNSt15iterator_traitsISY_E10value_typeET2_T3_PNSZ_IS14_E10value_typeET4_jRbjT5_S1A_jjP12ihipStream_tbEUljE_EEESV_SW_SX_S14_S18_S1A_T6_T7_T9_mT8_S1C_bDpT10_ENKUlT_T0_E_clISt17integral_constantIbLb0EES1P_EEDaS1K_S1L_EUlS1K_E_NS1_11comp_targetILNS1_3genE9ELNS1_11target_archE1100ELNS1_3gpuE3ELNS1_3repE0EEENS1_30default_config_static_selectorELNS0_4arch9wavefront6targetE0EEEvSY_,"axG",@progbits,_ZN7rocprim17ROCPRIM_400000_NS6detail17trampoline_kernelINS0_13select_configILj256ELj13ELNS0_17block_load_methodE3ELS4_3ELS4_3ELNS0_20block_scan_algorithmE0ELj4294967295EEENS1_25partition_config_selectorILNS1_17partition_subalgoE3EjNS0_10empty_typeEbEEZZNS1_14partition_implILS8_3ELb0ES6_jNS0_17counting_iteratorIjlEEPS9_SE_NS0_5tupleIJPjSE_EEENSF_IJSE_SE_EEES9_SG_JZNS1_25segmented_radix_sort_implINS0_14default_configELb0EPKfPfPKlPlN2at6native12_GLOBAL__N_18offset_tEEE10hipError_tPvRmT1_PNSt15iterator_traitsISY_E10value_typeET2_T3_PNSZ_IS14_E10value_typeET4_jRbjT5_S1A_jjP12ihipStream_tbEUljE_EEESV_SW_SX_S14_S18_S1A_T6_T7_T9_mT8_S1C_bDpT10_ENKUlT_T0_E_clISt17integral_constantIbLb0EES1P_EEDaS1K_S1L_EUlS1K_E_NS1_11comp_targetILNS1_3genE9ELNS1_11target_archE1100ELNS1_3gpuE3ELNS1_3repE0EEENS1_30default_config_static_selectorELNS0_4arch9wavefront6targetE0EEEvSY_,comdat
.Lfunc_end1395:
	.size	_ZN7rocprim17ROCPRIM_400000_NS6detail17trampoline_kernelINS0_13select_configILj256ELj13ELNS0_17block_load_methodE3ELS4_3ELS4_3ELNS0_20block_scan_algorithmE0ELj4294967295EEENS1_25partition_config_selectorILNS1_17partition_subalgoE3EjNS0_10empty_typeEbEEZZNS1_14partition_implILS8_3ELb0ES6_jNS0_17counting_iteratorIjlEEPS9_SE_NS0_5tupleIJPjSE_EEENSF_IJSE_SE_EEES9_SG_JZNS1_25segmented_radix_sort_implINS0_14default_configELb0EPKfPfPKlPlN2at6native12_GLOBAL__N_18offset_tEEE10hipError_tPvRmT1_PNSt15iterator_traitsISY_E10value_typeET2_T3_PNSZ_IS14_E10value_typeET4_jRbjT5_S1A_jjP12ihipStream_tbEUljE_EEESV_SW_SX_S14_S18_S1A_T6_T7_T9_mT8_S1C_bDpT10_ENKUlT_T0_E_clISt17integral_constantIbLb0EES1P_EEDaS1K_S1L_EUlS1K_E_NS1_11comp_targetILNS1_3genE9ELNS1_11target_archE1100ELNS1_3gpuE3ELNS1_3repE0EEENS1_30default_config_static_selectorELNS0_4arch9wavefront6targetE0EEEvSY_, .Lfunc_end1395-_ZN7rocprim17ROCPRIM_400000_NS6detail17trampoline_kernelINS0_13select_configILj256ELj13ELNS0_17block_load_methodE3ELS4_3ELS4_3ELNS0_20block_scan_algorithmE0ELj4294967295EEENS1_25partition_config_selectorILNS1_17partition_subalgoE3EjNS0_10empty_typeEbEEZZNS1_14partition_implILS8_3ELb0ES6_jNS0_17counting_iteratorIjlEEPS9_SE_NS0_5tupleIJPjSE_EEENSF_IJSE_SE_EEES9_SG_JZNS1_25segmented_radix_sort_implINS0_14default_configELb0EPKfPfPKlPlN2at6native12_GLOBAL__N_18offset_tEEE10hipError_tPvRmT1_PNSt15iterator_traitsISY_E10value_typeET2_T3_PNSZ_IS14_E10value_typeET4_jRbjT5_S1A_jjP12ihipStream_tbEUljE_EEESV_SW_SX_S14_S18_S1A_T6_T7_T9_mT8_S1C_bDpT10_ENKUlT_T0_E_clISt17integral_constantIbLb0EES1P_EEDaS1K_S1L_EUlS1K_E_NS1_11comp_targetILNS1_3genE9ELNS1_11target_archE1100ELNS1_3gpuE3ELNS1_3repE0EEENS1_30default_config_static_selectorELNS0_4arch9wavefront6targetE0EEEvSY_
                                        ; -- End function
	.set _ZN7rocprim17ROCPRIM_400000_NS6detail17trampoline_kernelINS0_13select_configILj256ELj13ELNS0_17block_load_methodE3ELS4_3ELS4_3ELNS0_20block_scan_algorithmE0ELj4294967295EEENS1_25partition_config_selectorILNS1_17partition_subalgoE3EjNS0_10empty_typeEbEEZZNS1_14partition_implILS8_3ELb0ES6_jNS0_17counting_iteratorIjlEEPS9_SE_NS0_5tupleIJPjSE_EEENSF_IJSE_SE_EEES9_SG_JZNS1_25segmented_radix_sort_implINS0_14default_configELb0EPKfPfPKlPlN2at6native12_GLOBAL__N_18offset_tEEE10hipError_tPvRmT1_PNSt15iterator_traitsISY_E10value_typeET2_T3_PNSZ_IS14_E10value_typeET4_jRbjT5_S1A_jjP12ihipStream_tbEUljE_EEESV_SW_SX_S14_S18_S1A_T6_T7_T9_mT8_S1C_bDpT10_ENKUlT_T0_E_clISt17integral_constantIbLb0EES1P_EEDaS1K_S1L_EUlS1K_E_NS1_11comp_targetILNS1_3genE9ELNS1_11target_archE1100ELNS1_3gpuE3ELNS1_3repE0EEENS1_30default_config_static_selectorELNS0_4arch9wavefront6targetE0EEEvSY_.num_vgpr, 0
	.set _ZN7rocprim17ROCPRIM_400000_NS6detail17trampoline_kernelINS0_13select_configILj256ELj13ELNS0_17block_load_methodE3ELS4_3ELS4_3ELNS0_20block_scan_algorithmE0ELj4294967295EEENS1_25partition_config_selectorILNS1_17partition_subalgoE3EjNS0_10empty_typeEbEEZZNS1_14partition_implILS8_3ELb0ES6_jNS0_17counting_iteratorIjlEEPS9_SE_NS0_5tupleIJPjSE_EEENSF_IJSE_SE_EEES9_SG_JZNS1_25segmented_radix_sort_implINS0_14default_configELb0EPKfPfPKlPlN2at6native12_GLOBAL__N_18offset_tEEE10hipError_tPvRmT1_PNSt15iterator_traitsISY_E10value_typeET2_T3_PNSZ_IS14_E10value_typeET4_jRbjT5_S1A_jjP12ihipStream_tbEUljE_EEESV_SW_SX_S14_S18_S1A_T6_T7_T9_mT8_S1C_bDpT10_ENKUlT_T0_E_clISt17integral_constantIbLb0EES1P_EEDaS1K_S1L_EUlS1K_E_NS1_11comp_targetILNS1_3genE9ELNS1_11target_archE1100ELNS1_3gpuE3ELNS1_3repE0EEENS1_30default_config_static_selectorELNS0_4arch9wavefront6targetE0EEEvSY_.num_agpr, 0
	.set _ZN7rocprim17ROCPRIM_400000_NS6detail17trampoline_kernelINS0_13select_configILj256ELj13ELNS0_17block_load_methodE3ELS4_3ELS4_3ELNS0_20block_scan_algorithmE0ELj4294967295EEENS1_25partition_config_selectorILNS1_17partition_subalgoE3EjNS0_10empty_typeEbEEZZNS1_14partition_implILS8_3ELb0ES6_jNS0_17counting_iteratorIjlEEPS9_SE_NS0_5tupleIJPjSE_EEENSF_IJSE_SE_EEES9_SG_JZNS1_25segmented_radix_sort_implINS0_14default_configELb0EPKfPfPKlPlN2at6native12_GLOBAL__N_18offset_tEEE10hipError_tPvRmT1_PNSt15iterator_traitsISY_E10value_typeET2_T3_PNSZ_IS14_E10value_typeET4_jRbjT5_S1A_jjP12ihipStream_tbEUljE_EEESV_SW_SX_S14_S18_S1A_T6_T7_T9_mT8_S1C_bDpT10_ENKUlT_T0_E_clISt17integral_constantIbLb0EES1P_EEDaS1K_S1L_EUlS1K_E_NS1_11comp_targetILNS1_3genE9ELNS1_11target_archE1100ELNS1_3gpuE3ELNS1_3repE0EEENS1_30default_config_static_selectorELNS0_4arch9wavefront6targetE0EEEvSY_.numbered_sgpr, 0
	.set _ZN7rocprim17ROCPRIM_400000_NS6detail17trampoline_kernelINS0_13select_configILj256ELj13ELNS0_17block_load_methodE3ELS4_3ELS4_3ELNS0_20block_scan_algorithmE0ELj4294967295EEENS1_25partition_config_selectorILNS1_17partition_subalgoE3EjNS0_10empty_typeEbEEZZNS1_14partition_implILS8_3ELb0ES6_jNS0_17counting_iteratorIjlEEPS9_SE_NS0_5tupleIJPjSE_EEENSF_IJSE_SE_EEES9_SG_JZNS1_25segmented_radix_sort_implINS0_14default_configELb0EPKfPfPKlPlN2at6native12_GLOBAL__N_18offset_tEEE10hipError_tPvRmT1_PNSt15iterator_traitsISY_E10value_typeET2_T3_PNSZ_IS14_E10value_typeET4_jRbjT5_S1A_jjP12ihipStream_tbEUljE_EEESV_SW_SX_S14_S18_S1A_T6_T7_T9_mT8_S1C_bDpT10_ENKUlT_T0_E_clISt17integral_constantIbLb0EES1P_EEDaS1K_S1L_EUlS1K_E_NS1_11comp_targetILNS1_3genE9ELNS1_11target_archE1100ELNS1_3gpuE3ELNS1_3repE0EEENS1_30default_config_static_selectorELNS0_4arch9wavefront6targetE0EEEvSY_.num_named_barrier, 0
	.set _ZN7rocprim17ROCPRIM_400000_NS6detail17trampoline_kernelINS0_13select_configILj256ELj13ELNS0_17block_load_methodE3ELS4_3ELS4_3ELNS0_20block_scan_algorithmE0ELj4294967295EEENS1_25partition_config_selectorILNS1_17partition_subalgoE3EjNS0_10empty_typeEbEEZZNS1_14partition_implILS8_3ELb0ES6_jNS0_17counting_iteratorIjlEEPS9_SE_NS0_5tupleIJPjSE_EEENSF_IJSE_SE_EEES9_SG_JZNS1_25segmented_radix_sort_implINS0_14default_configELb0EPKfPfPKlPlN2at6native12_GLOBAL__N_18offset_tEEE10hipError_tPvRmT1_PNSt15iterator_traitsISY_E10value_typeET2_T3_PNSZ_IS14_E10value_typeET4_jRbjT5_S1A_jjP12ihipStream_tbEUljE_EEESV_SW_SX_S14_S18_S1A_T6_T7_T9_mT8_S1C_bDpT10_ENKUlT_T0_E_clISt17integral_constantIbLb0EES1P_EEDaS1K_S1L_EUlS1K_E_NS1_11comp_targetILNS1_3genE9ELNS1_11target_archE1100ELNS1_3gpuE3ELNS1_3repE0EEENS1_30default_config_static_selectorELNS0_4arch9wavefront6targetE0EEEvSY_.private_seg_size, 0
	.set _ZN7rocprim17ROCPRIM_400000_NS6detail17trampoline_kernelINS0_13select_configILj256ELj13ELNS0_17block_load_methodE3ELS4_3ELS4_3ELNS0_20block_scan_algorithmE0ELj4294967295EEENS1_25partition_config_selectorILNS1_17partition_subalgoE3EjNS0_10empty_typeEbEEZZNS1_14partition_implILS8_3ELb0ES6_jNS0_17counting_iteratorIjlEEPS9_SE_NS0_5tupleIJPjSE_EEENSF_IJSE_SE_EEES9_SG_JZNS1_25segmented_radix_sort_implINS0_14default_configELb0EPKfPfPKlPlN2at6native12_GLOBAL__N_18offset_tEEE10hipError_tPvRmT1_PNSt15iterator_traitsISY_E10value_typeET2_T3_PNSZ_IS14_E10value_typeET4_jRbjT5_S1A_jjP12ihipStream_tbEUljE_EEESV_SW_SX_S14_S18_S1A_T6_T7_T9_mT8_S1C_bDpT10_ENKUlT_T0_E_clISt17integral_constantIbLb0EES1P_EEDaS1K_S1L_EUlS1K_E_NS1_11comp_targetILNS1_3genE9ELNS1_11target_archE1100ELNS1_3gpuE3ELNS1_3repE0EEENS1_30default_config_static_selectorELNS0_4arch9wavefront6targetE0EEEvSY_.uses_vcc, 0
	.set _ZN7rocprim17ROCPRIM_400000_NS6detail17trampoline_kernelINS0_13select_configILj256ELj13ELNS0_17block_load_methodE3ELS4_3ELS4_3ELNS0_20block_scan_algorithmE0ELj4294967295EEENS1_25partition_config_selectorILNS1_17partition_subalgoE3EjNS0_10empty_typeEbEEZZNS1_14partition_implILS8_3ELb0ES6_jNS0_17counting_iteratorIjlEEPS9_SE_NS0_5tupleIJPjSE_EEENSF_IJSE_SE_EEES9_SG_JZNS1_25segmented_radix_sort_implINS0_14default_configELb0EPKfPfPKlPlN2at6native12_GLOBAL__N_18offset_tEEE10hipError_tPvRmT1_PNSt15iterator_traitsISY_E10value_typeET2_T3_PNSZ_IS14_E10value_typeET4_jRbjT5_S1A_jjP12ihipStream_tbEUljE_EEESV_SW_SX_S14_S18_S1A_T6_T7_T9_mT8_S1C_bDpT10_ENKUlT_T0_E_clISt17integral_constantIbLb0EES1P_EEDaS1K_S1L_EUlS1K_E_NS1_11comp_targetILNS1_3genE9ELNS1_11target_archE1100ELNS1_3gpuE3ELNS1_3repE0EEENS1_30default_config_static_selectorELNS0_4arch9wavefront6targetE0EEEvSY_.uses_flat_scratch, 0
	.set _ZN7rocprim17ROCPRIM_400000_NS6detail17trampoline_kernelINS0_13select_configILj256ELj13ELNS0_17block_load_methodE3ELS4_3ELS4_3ELNS0_20block_scan_algorithmE0ELj4294967295EEENS1_25partition_config_selectorILNS1_17partition_subalgoE3EjNS0_10empty_typeEbEEZZNS1_14partition_implILS8_3ELb0ES6_jNS0_17counting_iteratorIjlEEPS9_SE_NS0_5tupleIJPjSE_EEENSF_IJSE_SE_EEES9_SG_JZNS1_25segmented_radix_sort_implINS0_14default_configELb0EPKfPfPKlPlN2at6native12_GLOBAL__N_18offset_tEEE10hipError_tPvRmT1_PNSt15iterator_traitsISY_E10value_typeET2_T3_PNSZ_IS14_E10value_typeET4_jRbjT5_S1A_jjP12ihipStream_tbEUljE_EEESV_SW_SX_S14_S18_S1A_T6_T7_T9_mT8_S1C_bDpT10_ENKUlT_T0_E_clISt17integral_constantIbLb0EES1P_EEDaS1K_S1L_EUlS1K_E_NS1_11comp_targetILNS1_3genE9ELNS1_11target_archE1100ELNS1_3gpuE3ELNS1_3repE0EEENS1_30default_config_static_selectorELNS0_4arch9wavefront6targetE0EEEvSY_.has_dyn_sized_stack, 0
	.set _ZN7rocprim17ROCPRIM_400000_NS6detail17trampoline_kernelINS0_13select_configILj256ELj13ELNS0_17block_load_methodE3ELS4_3ELS4_3ELNS0_20block_scan_algorithmE0ELj4294967295EEENS1_25partition_config_selectorILNS1_17partition_subalgoE3EjNS0_10empty_typeEbEEZZNS1_14partition_implILS8_3ELb0ES6_jNS0_17counting_iteratorIjlEEPS9_SE_NS0_5tupleIJPjSE_EEENSF_IJSE_SE_EEES9_SG_JZNS1_25segmented_radix_sort_implINS0_14default_configELb0EPKfPfPKlPlN2at6native12_GLOBAL__N_18offset_tEEE10hipError_tPvRmT1_PNSt15iterator_traitsISY_E10value_typeET2_T3_PNSZ_IS14_E10value_typeET4_jRbjT5_S1A_jjP12ihipStream_tbEUljE_EEESV_SW_SX_S14_S18_S1A_T6_T7_T9_mT8_S1C_bDpT10_ENKUlT_T0_E_clISt17integral_constantIbLb0EES1P_EEDaS1K_S1L_EUlS1K_E_NS1_11comp_targetILNS1_3genE9ELNS1_11target_archE1100ELNS1_3gpuE3ELNS1_3repE0EEENS1_30default_config_static_selectorELNS0_4arch9wavefront6targetE0EEEvSY_.has_recursion, 0
	.set _ZN7rocprim17ROCPRIM_400000_NS6detail17trampoline_kernelINS0_13select_configILj256ELj13ELNS0_17block_load_methodE3ELS4_3ELS4_3ELNS0_20block_scan_algorithmE0ELj4294967295EEENS1_25partition_config_selectorILNS1_17partition_subalgoE3EjNS0_10empty_typeEbEEZZNS1_14partition_implILS8_3ELb0ES6_jNS0_17counting_iteratorIjlEEPS9_SE_NS0_5tupleIJPjSE_EEENSF_IJSE_SE_EEES9_SG_JZNS1_25segmented_radix_sort_implINS0_14default_configELb0EPKfPfPKlPlN2at6native12_GLOBAL__N_18offset_tEEE10hipError_tPvRmT1_PNSt15iterator_traitsISY_E10value_typeET2_T3_PNSZ_IS14_E10value_typeET4_jRbjT5_S1A_jjP12ihipStream_tbEUljE_EEESV_SW_SX_S14_S18_S1A_T6_T7_T9_mT8_S1C_bDpT10_ENKUlT_T0_E_clISt17integral_constantIbLb0EES1P_EEDaS1K_S1L_EUlS1K_E_NS1_11comp_targetILNS1_3genE9ELNS1_11target_archE1100ELNS1_3gpuE3ELNS1_3repE0EEENS1_30default_config_static_selectorELNS0_4arch9wavefront6targetE0EEEvSY_.has_indirect_call, 0
	.section	.AMDGPU.csdata,"",@progbits
; Kernel info:
; codeLenInByte = 0
; TotalNumSgprs: 0
; NumVgprs: 0
; ScratchSize: 0
; MemoryBound: 0
; FloatMode: 240
; IeeeMode: 1
; LDSByteSize: 0 bytes/workgroup (compile time only)
; SGPRBlocks: 0
; VGPRBlocks: 0
; NumSGPRsForWavesPerEU: 1
; NumVGPRsForWavesPerEU: 1
; NamedBarCnt: 0
; Occupancy: 16
; WaveLimiterHint : 0
; COMPUTE_PGM_RSRC2:SCRATCH_EN: 0
; COMPUTE_PGM_RSRC2:USER_SGPR: 2
; COMPUTE_PGM_RSRC2:TRAP_HANDLER: 0
; COMPUTE_PGM_RSRC2:TGID_X_EN: 1
; COMPUTE_PGM_RSRC2:TGID_Y_EN: 0
; COMPUTE_PGM_RSRC2:TGID_Z_EN: 0
; COMPUTE_PGM_RSRC2:TIDIG_COMP_CNT: 0
	.section	.text._ZN7rocprim17ROCPRIM_400000_NS6detail17trampoline_kernelINS0_13select_configILj256ELj13ELNS0_17block_load_methodE3ELS4_3ELS4_3ELNS0_20block_scan_algorithmE0ELj4294967295EEENS1_25partition_config_selectorILNS1_17partition_subalgoE3EjNS0_10empty_typeEbEEZZNS1_14partition_implILS8_3ELb0ES6_jNS0_17counting_iteratorIjlEEPS9_SE_NS0_5tupleIJPjSE_EEENSF_IJSE_SE_EEES9_SG_JZNS1_25segmented_radix_sort_implINS0_14default_configELb0EPKfPfPKlPlN2at6native12_GLOBAL__N_18offset_tEEE10hipError_tPvRmT1_PNSt15iterator_traitsISY_E10value_typeET2_T3_PNSZ_IS14_E10value_typeET4_jRbjT5_S1A_jjP12ihipStream_tbEUljE_EEESV_SW_SX_S14_S18_S1A_T6_T7_T9_mT8_S1C_bDpT10_ENKUlT_T0_E_clISt17integral_constantIbLb0EES1P_EEDaS1K_S1L_EUlS1K_E_NS1_11comp_targetILNS1_3genE8ELNS1_11target_archE1030ELNS1_3gpuE2ELNS1_3repE0EEENS1_30default_config_static_selectorELNS0_4arch9wavefront6targetE0EEEvSY_,"axG",@progbits,_ZN7rocprim17ROCPRIM_400000_NS6detail17trampoline_kernelINS0_13select_configILj256ELj13ELNS0_17block_load_methodE3ELS4_3ELS4_3ELNS0_20block_scan_algorithmE0ELj4294967295EEENS1_25partition_config_selectorILNS1_17partition_subalgoE3EjNS0_10empty_typeEbEEZZNS1_14partition_implILS8_3ELb0ES6_jNS0_17counting_iteratorIjlEEPS9_SE_NS0_5tupleIJPjSE_EEENSF_IJSE_SE_EEES9_SG_JZNS1_25segmented_radix_sort_implINS0_14default_configELb0EPKfPfPKlPlN2at6native12_GLOBAL__N_18offset_tEEE10hipError_tPvRmT1_PNSt15iterator_traitsISY_E10value_typeET2_T3_PNSZ_IS14_E10value_typeET4_jRbjT5_S1A_jjP12ihipStream_tbEUljE_EEESV_SW_SX_S14_S18_S1A_T6_T7_T9_mT8_S1C_bDpT10_ENKUlT_T0_E_clISt17integral_constantIbLb0EES1P_EEDaS1K_S1L_EUlS1K_E_NS1_11comp_targetILNS1_3genE8ELNS1_11target_archE1030ELNS1_3gpuE2ELNS1_3repE0EEENS1_30default_config_static_selectorELNS0_4arch9wavefront6targetE0EEEvSY_,comdat
	.globl	_ZN7rocprim17ROCPRIM_400000_NS6detail17trampoline_kernelINS0_13select_configILj256ELj13ELNS0_17block_load_methodE3ELS4_3ELS4_3ELNS0_20block_scan_algorithmE0ELj4294967295EEENS1_25partition_config_selectorILNS1_17partition_subalgoE3EjNS0_10empty_typeEbEEZZNS1_14partition_implILS8_3ELb0ES6_jNS0_17counting_iteratorIjlEEPS9_SE_NS0_5tupleIJPjSE_EEENSF_IJSE_SE_EEES9_SG_JZNS1_25segmented_radix_sort_implINS0_14default_configELb0EPKfPfPKlPlN2at6native12_GLOBAL__N_18offset_tEEE10hipError_tPvRmT1_PNSt15iterator_traitsISY_E10value_typeET2_T3_PNSZ_IS14_E10value_typeET4_jRbjT5_S1A_jjP12ihipStream_tbEUljE_EEESV_SW_SX_S14_S18_S1A_T6_T7_T9_mT8_S1C_bDpT10_ENKUlT_T0_E_clISt17integral_constantIbLb0EES1P_EEDaS1K_S1L_EUlS1K_E_NS1_11comp_targetILNS1_3genE8ELNS1_11target_archE1030ELNS1_3gpuE2ELNS1_3repE0EEENS1_30default_config_static_selectorELNS0_4arch9wavefront6targetE0EEEvSY_ ; -- Begin function _ZN7rocprim17ROCPRIM_400000_NS6detail17trampoline_kernelINS0_13select_configILj256ELj13ELNS0_17block_load_methodE3ELS4_3ELS4_3ELNS0_20block_scan_algorithmE0ELj4294967295EEENS1_25partition_config_selectorILNS1_17partition_subalgoE3EjNS0_10empty_typeEbEEZZNS1_14partition_implILS8_3ELb0ES6_jNS0_17counting_iteratorIjlEEPS9_SE_NS0_5tupleIJPjSE_EEENSF_IJSE_SE_EEES9_SG_JZNS1_25segmented_radix_sort_implINS0_14default_configELb0EPKfPfPKlPlN2at6native12_GLOBAL__N_18offset_tEEE10hipError_tPvRmT1_PNSt15iterator_traitsISY_E10value_typeET2_T3_PNSZ_IS14_E10value_typeET4_jRbjT5_S1A_jjP12ihipStream_tbEUljE_EEESV_SW_SX_S14_S18_S1A_T6_T7_T9_mT8_S1C_bDpT10_ENKUlT_T0_E_clISt17integral_constantIbLb0EES1P_EEDaS1K_S1L_EUlS1K_E_NS1_11comp_targetILNS1_3genE8ELNS1_11target_archE1030ELNS1_3gpuE2ELNS1_3repE0EEENS1_30default_config_static_selectorELNS0_4arch9wavefront6targetE0EEEvSY_
	.p2align	8
	.type	_ZN7rocprim17ROCPRIM_400000_NS6detail17trampoline_kernelINS0_13select_configILj256ELj13ELNS0_17block_load_methodE3ELS4_3ELS4_3ELNS0_20block_scan_algorithmE0ELj4294967295EEENS1_25partition_config_selectorILNS1_17partition_subalgoE3EjNS0_10empty_typeEbEEZZNS1_14partition_implILS8_3ELb0ES6_jNS0_17counting_iteratorIjlEEPS9_SE_NS0_5tupleIJPjSE_EEENSF_IJSE_SE_EEES9_SG_JZNS1_25segmented_radix_sort_implINS0_14default_configELb0EPKfPfPKlPlN2at6native12_GLOBAL__N_18offset_tEEE10hipError_tPvRmT1_PNSt15iterator_traitsISY_E10value_typeET2_T3_PNSZ_IS14_E10value_typeET4_jRbjT5_S1A_jjP12ihipStream_tbEUljE_EEESV_SW_SX_S14_S18_S1A_T6_T7_T9_mT8_S1C_bDpT10_ENKUlT_T0_E_clISt17integral_constantIbLb0EES1P_EEDaS1K_S1L_EUlS1K_E_NS1_11comp_targetILNS1_3genE8ELNS1_11target_archE1030ELNS1_3gpuE2ELNS1_3repE0EEENS1_30default_config_static_selectorELNS0_4arch9wavefront6targetE0EEEvSY_,@function
_ZN7rocprim17ROCPRIM_400000_NS6detail17trampoline_kernelINS0_13select_configILj256ELj13ELNS0_17block_load_methodE3ELS4_3ELS4_3ELNS0_20block_scan_algorithmE0ELj4294967295EEENS1_25partition_config_selectorILNS1_17partition_subalgoE3EjNS0_10empty_typeEbEEZZNS1_14partition_implILS8_3ELb0ES6_jNS0_17counting_iteratorIjlEEPS9_SE_NS0_5tupleIJPjSE_EEENSF_IJSE_SE_EEES9_SG_JZNS1_25segmented_radix_sort_implINS0_14default_configELb0EPKfPfPKlPlN2at6native12_GLOBAL__N_18offset_tEEE10hipError_tPvRmT1_PNSt15iterator_traitsISY_E10value_typeET2_T3_PNSZ_IS14_E10value_typeET4_jRbjT5_S1A_jjP12ihipStream_tbEUljE_EEESV_SW_SX_S14_S18_S1A_T6_T7_T9_mT8_S1C_bDpT10_ENKUlT_T0_E_clISt17integral_constantIbLb0EES1P_EEDaS1K_S1L_EUlS1K_E_NS1_11comp_targetILNS1_3genE8ELNS1_11target_archE1030ELNS1_3gpuE2ELNS1_3repE0EEENS1_30default_config_static_selectorELNS0_4arch9wavefront6targetE0EEEvSY_: ; @_ZN7rocprim17ROCPRIM_400000_NS6detail17trampoline_kernelINS0_13select_configILj256ELj13ELNS0_17block_load_methodE3ELS4_3ELS4_3ELNS0_20block_scan_algorithmE0ELj4294967295EEENS1_25partition_config_selectorILNS1_17partition_subalgoE3EjNS0_10empty_typeEbEEZZNS1_14partition_implILS8_3ELb0ES6_jNS0_17counting_iteratorIjlEEPS9_SE_NS0_5tupleIJPjSE_EEENSF_IJSE_SE_EEES9_SG_JZNS1_25segmented_radix_sort_implINS0_14default_configELb0EPKfPfPKlPlN2at6native12_GLOBAL__N_18offset_tEEE10hipError_tPvRmT1_PNSt15iterator_traitsISY_E10value_typeET2_T3_PNSZ_IS14_E10value_typeET4_jRbjT5_S1A_jjP12ihipStream_tbEUljE_EEESV_SW_SX_S14_S18_S1A_T6_T7_T9_mT8_S1C_bDpT10_ENKUlT_T0_E_clISt17integral_constantIbLb0EES1P_EEDaS1K_S1L_EUlS1K_E_NS1_11comp_targetILNS1_3genE8ELNS1_11target_archE1030ELNS1_3gpuE2ELNS1_3repE0EEENS1_30default_config_static_selectorELNS0_4arch9wavefront6targetE0EEEvSY_
; %bb.0:
	.section	.rodata,"a",@progbits
	.p2align	6, 0x0
	.amdhsa_kernel _ZN7rocprim17ROCPRIM_400000_NS6detail17trampoline_kernelINS0_13select_configILj256ELj13ELNS0_17block_load_methodE3ELS4_3ELS4_3ELNS0_20block_scan_algorithmE0ELj4294967295EEENS1_25partition_config_selectorILNS1_17partition_subalgoE3EjNS0_10empty_typeEbEEZZNS1_14partition_implILS8_3ELb0ES6_jNS0_17counting_iteratorIjlEEPS9_SE_NS0_5tupleIJPjSE_EEENSF_IJSE_SE_EEES9_SG_JZNS1_25segmented_radix_sort_implINS0_14default_configELb0EPKfPfPKlPlN2at6native12_GLOBAL__N_18offset_tEEE10hipError_tPvRmT1_PNSt15iterator_traitsISY_E10value_typeET2_T3_PNSZ_IS14_E10value_typeET4_jRbjT5_S1A_jjP12ihipStream_tbEUljE_EEESV_SW_SX_S14_S18_S1A_T6_T7_T9_mT8_S1C_bDpT10_ENKUlT_T0_E_clISt17integral_constantIbLb0EES1P_EEDaS1K_S1L_EUlS1K_E_NS1_11comp_targetILNS1_3genE8ELNS1_11target_archE1030ELNS1_3gpuE2ELNS1_3repE0EEENS1_30default_config_static_selectorELNS0_4arch9wavefront6targetE0EEEvSY_
		.amdhsa_group_segment_fixed_size 0
		.amdhsa_private_segment_fixed_size 0
		.amdhsa_kernarg_size 144
		.amdhsa_user_sgpr_count 2
		.amdhsa_user_sgpr_dispatch_ptr 0
		.amdhsa_user_sgpr_queue_ptr 0
		.amdhsa_user_sgpr_kernarg_segment_ptr 1
		.amdhsa_user_sgpr_dispatch_id 0
		.amdhsa_user_sgpr_kernarg_preload_length 0
		.amdhsa_user_sgpr_kernarg_preload_offset 0
		.amdhsa_user_sgpr_private_segment_size 0
		.amdhsa_wavefront_size32 1
		.amdhsa_uses_dynamic_stack 0
		.amdhsa_enable_private_segment 0
		.amdhsa_system_sgpr_workgroup_id_x 1
		.amdhsa_system_sgpr_workgroup_id_y 0
		.amdhsa_system_sgpr_workgroup_id_z 0
		.amdhsa_system_sgpr_workgroup_info 0
		.amdhsa_system_vgpr_workitem_id 0
		.amdhsa_next_free_vgpr 1
		.amdhsa_next_free_sgpr 1
		.amdhsa_named_barrier_count 0
		.amdhsa_reserve_vcc 0
		.amdhsa_float_round_mode_32 0
		.amdhsa_float_round_mode_16_64 0
		.amdhsa_float_denorm_mode_32 3
		.amdhsa_float_denorm_mode_16_64 3
		.amdhsa_fp16_overflow 0
		.amdhsa_memory_ordered 1
		.amdhsa_forward_progress 1
		.amdhsa_inst_pref_size 0
		.amdhsa_round_robin_scheduling 0
		.amdhsa_exception_fp_ieee_invalid_op 0
		.amdhsa_exception_fp_denorm_src 0
		.amdhsa_exception_fp_ieee_div_zero 0
		.amdhsa_exception_fp_ieee_overflow 0
		.amdhsa_exception_fp_ieee_underflow 0
		.amdhsa_exception_fp_ieee_inexact 0
		.amdhsa_exception_int_div_zero 0
	.end_amdhsa_kernel
	.section	.text._ZN7rocprim17ROCPRIM_400000_NS6detail17trampoline_kernelINS0_13select_configILj256ELj13ELNS0_17block_load_methodE3ELS4_3ELS4_3ELNS0_20block_scan_algorithmE0ELj4294967295EEENS1_25partition_config_selectorILNS1_17partition_subalgoE3EjNS0_10empty_typeEbEEZZNS1_14partition_implILS8_3ELb0ES6_jNS0_17counting_iteratorIjlEEPS9_SE_NS0_5tupleIJPjSE_EEENSF_IJSE_SE_EEES9_SG_JZNS1_25segmented_radix_sort_implINS0_14default_configELb0EPKfPfPKlPlN2at6native12_GLOBAL__N_18offset_tEEE10hipError_tPvRmT1_PNSt15iterator_traitsISY_E10value_typeET2_T3_PNSZ_IS14_E10value_typeET4_jRbjT5_S1A_jjP12ihipStream_tbEUljE_EEESV_SW_SX_S14_S18_S1A_T6_T7_T9_mT8_S1C_bDpT10_ENKUlT_T0_E_clISt17integral_constantIbLb0EES1P_EEDaS1K_S1L_EUlS1K_E_NS1_11comp_targetILNS1_3genE8ELNS1_11target_archE1030ELNS1_3gpuE2ELNS1_3repE0EEENS1_30default_config_static_selectorELNS0_4arch9wavefront6targetE0EEEvSY_,"axG",@progbits,_ZN7rocprim17ROCPRIM_400000_NS6detail17trampoline_kernelINS0_13select_configILj256ELj13ELNS0_17block_load_methodE3ELS4_3ELS4_3ELNS0_20block_scan_algorithmE0ELj4294967295EEENS1_25partition_config_selectorILNS1_17partition_subalgoE3EjNS0_10empty_typeEbEEZZNS1_14partition_implILS8_3ELb0ES6_jNS0_17counting_iteratorIjlEEPS9_SE_NS0_5tupleIJPjSE_EEENSF_IJSE_SE_EEES9_SG_JZNS1_25segmented_radix_sort_implINS0_14default_configELb0EPKfPfPKlPlN2at6native12_GLOBAL__N_18offset_tEEE10hipError_tPvRmT1_PNSt15iterator_traitsISY_E10value_typeET2_T3_PNSZ_IS14_E10value_typeET4_jRbjT5_S1A_jjP12ihipStream_tbEUljE_EEESV_SW_SX_S14_S18_S1A_T6_T7_T9_mT8_S1C_bDpT10_ENKUlT_T0_E_clISt17integral_constantIbLb0EES1P_EEDaS1K_S1L_EUlS1K_E_NS1_11comp_targetILNS1_3genE8ELNS1_11target_archE1030ELNS1_3gpuE2ELNS1_3repE0EEENS1_30default_config_static_selectorELNS0_4arch9wavefront6targetE0EEEvSY_,comdat
.Lfunc_end1396:
	.size	_ZN7rocprim17ROCPRIM_400000_NS6detail17trampoline_kernelINS0_13select_configILj256ELj13ELNS0_17block_load_methodE3ELS4_3ELS4_3ELNS0_20block_scan_algorithmE0ELj4294967295EEENS1_25partition_config_selectorILNS1_17partition_subalgoE3EjNS0_10empty_typeEbEEZZNS1_14partition_implILS8_3ELb0ES6_jNS0_17counting_iteratorIjlEEPS9_SE_NS0_5tupleIJPjSE_EEENSF_IJSE_SE_EEES9_SG_JZNS1_25segmented_radix_sort_implINS0_14default_configELb0EPKfPfPKlPlN2at6native12_GLOBAL__N_18offset_tEEE10hipError_tPvRmT1_PNSt15iterator_traitsISY_E10value_typeET2_T3_PNSZ_IS14_E10value_typeET4_jRbjT5_S1A_jjP12ihipStream_tbEUljE_EEESV_SW_SX_S14_S18_S1A_T6_T7_T9_mT8_S1C_bDpT10_ENKUlT_T0_E_clISt17integral_constantIbLb0EES1P_EEDaS1K_S1L_EUlS1K_E_NS1_11comp_targetILNS1_3genE8ELNS1_11target_archE1030ELNS1_3gpuE2ELNS1_3repE0EEENS1_30default_config_static_selectorELNS0_4arch9wavefront6targetE0EEEvSY_, .Lfunc_end1396-_ZN7rocprim17ROCPRIM_400000_NS6detail17trampoline_kernelINS0_13select_configILj256ELj13ELNS0_17block_load_methodE3ELS4_3ELS4_3ELNS0_20block_scan_algorithmE0ELj4294967295EEENS1_25partition_config_selectorILNS1_17partition_subalgoE3EjNS0_10empty_typeEbEEZZNS1_14partition_implILS8_3ELb0ES6_jNS0_17counting_iteratorIjlEEPS9_SE_NS0_5tupleIJPjSE_EEENSF_IJSE_SE_EEES9_SG_JZNS1_25segmented_radix_sort_implINS0_14default_configELb0EPKfPfPKlPlN2at6native12_GLOBAL__N_18offset_tEEE10hipError_tPvRmT1_PNSt15iterator_traitsISY_E10value_typeET2_T3_PNSZ_IS14_E10value_typeET4_jRbjT5_S1A_jjP12ihipStream_tbEUljE_EEESV_SW_SX_S14_S18_S1A_T6_T7_T9_mT8_S1C_bDpT10_ENKUlT_T0_E_clISt17integral_constantIbLb0EES1P_EEDaS1K_S1L_EUlS1K_E_NS1_11comp_targetILNS1_3genE8ELNS1_11target_archE1030ELNS1_3gpuE2ELNS1_3repE0EEENS1_30default_config_static_selectorELNS0_4arch9wavefront6targetE0EEEvSY_
                                        ; -- End function
	.set _ZN7rocprim17ROCPRIM_400000_NS6detail17trampoline_kernelINS0_13select_configILj256ELj13ELNS0_17block_load_methodE3ELS4_3ELS4_3ELNS0_20block_scan_algorithmE0ELj4294967295EEENS1_25partition_config_selectorILNS1_17partition_subalgoE3EjNS0_10empty_typeEbEEZZNS1_14partition_implILS8_3ELb0ES6_jNS0_17counting_iteratorIjlEEPS9_SE_NS0_5tupleIJPjSE_EEENSF_IJSE_SE_EEES9_SG_JZNS1_25segmented_radix_sort_implINS0_14default_configELb0EPKfPfPKlPlN2at6native12_GLOBAL__N_18offset_tEEE10hipError_tPvRmT1_PNSt15iterator_traitsISY_E10value_typeET2_T3_PNSZ_IS14_E10value_typeET4_jRbjT5_S1A_jjP12ihipStream_tbEUljE_EEESV_SW_SX_S14_S18_S1A_T6_T7_T9_mT8_S1C_bDpT10_ENKUlT_T0_E_clISt17integral_constantIbLb0EES1P_EEDaS1K_S1L_EUlS1K_E_NS1_11comp_targetILNS1_3genE8ELNS1_11target_archE1030ELNS1_3gpuE2ELNS1_3repE0EEENS1_30default_config_static_selectorELNS0_4arch9wavefront6targetE0EEEvSY_.num_vgpr, 0
	.set _ZN7rocprim17ROCPRIM_400000_NS6detail17trampoline_kernelINS0_13select_configILj256ELj13ELNS0_17block_load_methodE3ELS4_3ELS4_3ELNS0_20block_scan_algorithmE0ELj4294967295EEENS1_25partition_config_selectorILNS1_17partition_subalgoE3EjNS0_10empty_typeEbEEZZNS1_14partition_implILS8_3ELb0ES6_jNS0_17counting_iteratorIjlEEPS9_SE_NS0_5tupleIJPjSE_EEENSF_IJSE_SE_EEES9_SG_JZNS1_25segmented_radix_sort_implINS0_14default_configELb0EPKfPfPKlPlN2at6native12_GLOBAL__N_18offset_tEEE10hipError_tPvRmT1_PNSt15iterator_traitsISY_E10value_typeET2_T3_PNSZ_IS14_E10value_typeET4_jRbjT5_S1A_jjP12ihipStream_tbEUljE_EEESV_SW_SX_S14_S18_S1A_T6_T7_T9_mT8_S1C_bDpT10_ENKUlT_T0_E_clISt17integral_constantIbLb0EES1P_EEDaS1K_S1L_EUlS1K_E_NS1_11comp_targetILNS1_3genE8ELNS1_11target_archE1030ELNS1_3gpuE2ELNS1_3repE0EEENS1_30default_config_static_selectorELNS0_4arch9wavefront6targetE0EEEvSY_.num_agpr, 0
	.set _ZN7rocprim17ROCPRIM_400000_NS6detail17trampoline_kernelINS0_13select_configILj256ELj13ELNS0_17block_load_methodE3ELS4_3ELS4_3ELNS0_20block_scan_algorithmE0ELj4294967295EEENS1_25partition_config_selectorILNS1_17partition_subalgoE3EjNS0_10empty_typeEbEEZZNS1_14partition_implILS8_3ELb0ES6_jNS0_17counting_iteratorIjlEEPS9_SE_NS0_5tupleIJPjSE_EEENSF_IJSE_SE_EEES9_SG_JZNS1_25segmented_radix_sort_implINS0_14default_configELb0EPKfPfPKlPlN2at6native12_GLOBAL__N_18offset_tEEE10hipError_tPvRmT1_PNSt15iterator_traitsISY_E10value_typeET2_T3_PNSZ_IS14_E10value_typeET4_jRbjT5_S1A_jjP12ihipStream_tbEUljE_EEESV_SW_SX_S14_S18_S1A_T6_T7_T9_mT8_S1C_bDpT10_ENKUlT_T0_E_clISt17integral_constantIbLb0EES1P_EEDaS1K_S1L_EUlS1K_E_NS1_11comp_targetILNS1_3genE8ELNS1_11target_archE1030ELNS1_3gpuE2ELNS1_3repE0EEENS1_30default_config_static_selectorELNS0_4arch9wavefront6targetE0EEEvSY_.numbered_sgpr, 0
	.set _ZN7rocprim17ROCPRIM_400000_NS6detail17trampoline_kernelINS0_13select_configILj256ELj13ELNS0_17block_load_methodE3ELS4_3ELS4_3ELNS0_20block_scan_algorithmE0ELj4294967295EEENS1_25partition_config_selectorILNS1_17partition_subalgoE3EjNS0_10empty_typeEbEEZZNS1_14partition_implILS8_3ELb0ES6_jNS0_17counting_iteratorIjlEEPS9_SE_NS0_5tupleIJPjSE_EEENSF_IJSE_SE_EEES9_SG_JZNS1_25segmented_radix_sort_implINS0_14default_configELb0EPKfPfPKlPlN2at6native12_GLOBAL__N_18offset_tEEE10hipError_tPvRmT1_PNSt15iterator_traitsISY_E10value_typeET2_T3_PNSZ_IS14_E10value_typeET4_jRbjT5_S1A_jjP12ihipStream_tbEUljE_EEESV_SW_SX_S14_S18_S1A_T6_T7_T9_mT8_S1C_bDpT10_ENKUlT_T0_E_clISt17integral_constantIbLb0EES1P_EEDaS1K_S1L_EUlS1K_E_NS1_11comp_targetILNS1_3genE8ELNS1_11target_archE1030ELNS1_3gpuE2ELNS1_3repE0EEENS1_30default_config_static_selectorELNS0_4arch9wavefront6targetE0EEEvSY_.num_named_barrier, 0
	.set _ZN7rocprim17ROCPRIM_400000_NS6detail17trampoline_kernelINS0_13select_configILj256ELj13ELNS0_17block_load_methodE3ELS4_3ELS4_3ELNS0_20block_scan_algorithmE0ELj4294967295EEENS1_25partition_config_selectorILNS1_17partition_subalgoE3EjNS0_10empty_typeEbEEZZNS1_14partition_implILS8_3ELb0ES6_jNS0_17counting_iteratorIjlEEPS9_SE_NS0_5tupleIJPjSE_EEENSF_IJSE_SE_EEES9_SG_JZNS1_25segmented_radix_sort_implINS0_14default_configELb0EPKfPfPKlPlN2at6native12_GLOBAL__N_18offset_tEEE10hipError_tPvRmT1_PNSt15iterator_traitsISY_E10value_typeET2_T3_PNSZ_IS14_E10value_typeET4_jRbjT5_S1A_jjP12ihipStream_tbEUljE_EEESV_SW_SX_S14_S18_S1A_T6_T7_T9_mT8_S1C_bDpT10_ENKUlT_T0_E_clISt17integral_constantIbLb0EES1P_EEDaS1K_S1L_EUlS1K_E_NS1_11comp_targetILNS1_3genE8ELNS1_11target_archE1030ELNS1_3gpuE2ELNS1_3repE0EEENS1_30default_config_static_selectorELNS0_4arch9wavefront6targetE0EEEvSY_.private_seg_size, 0
	.set _ZN7rocprim17ROCPRIM_400000_NS6detail17trampoline_kernelINS0_13select_configILj256ELj13ELNS0_17block_load_methodE3ELS4_3ELS4_3ELNS0_20block_scan_algorithmE0ELj4294967295EEENS1_25partition_config_selectorILNS1_17partition_subalgoE3EjNS0_10empty_typeEbEEZZNS1_14partition_implILS8_3ELb0ES6_jNS0_17counting_iteratorIjlEEPS9_SE_NS0_5tupleIJPjSE_EEENSF_IJSE_SE_EEES9_SG_JZNS1_25segmented_radix_sort_implINS0_14default_configELb0EPKfPfPKlPlN2at6native12_GLOBAL__N_18offset_tEEE10hipError_tPvRmT1_PNSt15iterator_traitsISY_E10value_typeET2_T3_PNSZ_IS14_E10value_typeET4_jRbjT5_S1A_jjP12ihipStream_tbEUljE_EEESV_SW_SX_S14_S18_S1A_T6_T7_T9_mT8_S1C_bDpT10_ENKUlT_T0_E_clISt17integral_constantIbLb0EES1P_EEDaS1K_S1L_EUlS1K_E_NS1_11comp_targetILNS1_3genE8ELNS1_11target_archE1030ELNS1_3gpuE2ELNS1_3repE0EEENS1_30default_config_static_selectorELNS0_4arch9wavefront6targetE0EEEvSY_.uses_vcc, 0
	.set _ZN7rocprim17ROCPRIM_400000_NS6detail17trampoline_kernelINS0_13select_configILj256ELj13ELNS0_17block_load_methodE3ELS4_3ELS4_3ELNS0_20block_scan_algorithmE0ELj4294967295EEENS1_25partition_config_selectorILNS1_17partition_subalgoE3EjNS0_10empty_typeEbEEZZNS1_14partition_implILS8_3ELb0ES6_jNS0_17counting_iteratorIjlEEPS9_SE_NS0_5tupleIJPjSE_EEENSF_IJSE_SE_EEES9_SG_JZNS1_25segmented_radix_sort_implINS0_14default_configELb0EPKfPfPKlPlN2at6native12_GLOBAL__N_18offset_tEEE10hipError_tPvRmT1_PNSt15iterator_traitsISY_E10value_typeET2_T3_PNSZ_IS14_E10value_typeET4_jRbjT5_S1A_jjP12ihipStream_tbEUljE_EEESV_SW_SX_S14_S18_S1A_T6_T7_T9_mT8_S1C_bDpT10_ENKUlT_T0_E_clISt17integral_constantIbLb0EES1P_EEDaS1K_S1L_EUlS1K_E_NS1_11comp_targetILNS1_3genE8ELNS1_11target_archE1030ELNS1_3gpuE2ELNS1_3repE0EEENS1_30default_config_static_selectorELNS0_4arch9wavefront6targetE0EEEvSY_.uses_flat_scratch, 0
	.set _ZN7rocprim17ROCPRIM_400000_NS6detail17trampoline_kernelINS0_13select_configILj256ELj13ELNS0_17block_load_methodE3ELS4_3ELS4_3ELNS0_20block_scan_algorithmE0ELj4294967295EEENS1_25partition_config_selectorILNS1_17partition_subalgoE3EjNS0_10empty_typeEbEEZZNS1_14partition_implILS8_3ELb0ES6_jNS0_17counting_iteratorIjlEEPS9_SE_NS0_5tupleIJPjSE_EEENSF_IJSE_SE_EEES9_SG_JZNS1_25segmented_radix_sort_implINS0_14default_configELb0EPKfPfPKlPlN2at6native12_GLOBAL__N_18offset_tEEE10hipError_tPvRmT1_PNSt15iterator_traitsISY_E10value_typeET2_T3_PNSZ_IS14_E10value_typeET4_jRbjT5_S1A_jjP12ihipStream_tbEUljE_EEESV_SW_SX_S14_S18_S1A_T6_T7_T9_mT8_S1C_bDpT10_ENKUlT_T0_E_clISt17integral_constantIbLb0EES1P_EEDaS1K_S1L_EUlS1K_E_NS1_11comp_targetILNS1_3genE8ELNS1_11target_archE1030ELNS1_3gpuE2ELNS1_3repE0EEENS1_30default_config_static_selectorELNS0_4arch9wavefront6targetE0EEEvSY_.has_dyn_sized_stack, 0
	.set _ZN7rocprim17ROCPRIM_400000_NS6detail17trampoline_kernelINS0_13select_configILj256ELj13ELNS0_17block_load_methodE3ELS4_3ELS4_3ELNS0_20block_scan_algorithmE0ELj4294967295EEENS1_25partition_config_selectorILNS1_17partition_subalgoE3EjNS0_10empty_typeEbEEZZNS1_14partition_implILS8_3ELb0ES6_jNS0_17counting_iteratorIjlEEPS9_SE_NS0_5tupleIJPjSE_EEENSF_IJSE_SE_EEES9_SG_JZNS1_25segmented_radix_sort_implINS0_14default_configELb0EPKfPfPKlPlN2at6native12_GLOBAL__N_18offset_tEEE10hipError_tPvRmT1_PNSt15iterator_traitsISY_E10value_typeET2_T3_PNSZ_IS14_E10value_typeET4_jRbjT5_S1A_jjP12ihipStream_tbEUljE_EEESV_SW_SX_S14_S18_S1A_T6_T7_T9_mT8_S1C_bDpT10_ENKUlT_T0_E_clISt17integral_constantIbLb0EES1P_EEDaS1K_S1L_EUlS1K_E_NS1_11comp_targetILNS1_3genE8ELNS1_11target_archE1030ELNS1_3gpuE2ELNS1_3repE0EEENS1_30default_config_static_selectorELNS0_4arch9wavefront6targetE0EEEvSY_.has_recursion, 0
	.set _ZN7rocprim17ROCPRIM_400000_NS6detail17trampoline_kernelINS0_13select_configILj256ELj13ELNS0_17block_load_methodE3ELS4_3ELS4_3ELNS0_20block_scan_algorithmE0ELj4294967295EEENS1_25partition_config_selectorILNS1_17partition_subalgoE3EjNS0_10empty_typeEbEEZZNS1_14partition_implILS8_3ELb0ES6_jNS0_17counting_iteratorIjlEEPS9_SE_NS0_5tupleIJPjSE_EEENSF_IJSE_SE_EEES9_SG_JZNS1_25segmented_radix_sort_implINS0_14default_configELb0EPKfPfPKlPlN2at6native12_GLOBAL__N_18offset_tEEE10hipError_tPvRmT1_PNSt15iterator_traitsISY_E10value_typeET2_T3_PNSZ_IS14_E10value_typeET4_jRbjT5_S1A_jjP12ihipStream_tbEUljE_EEESV_SW_SX_S14_S18_S1A_T6_T7_T9_mT8_S1C_bDpT10_ENKUlT_T0_E_clISt17integral_constantIbLb0EES1P_EEDaS1K_S1L_EUlS1K_E_NS1_11comp_targetILNS1_3genE8ELNS1_11target_archE1030ELNS1_3gpuE2ELNS1_3repE0EEENS1_30default_config_static_selectorELNS0_4arch9wavefront6targetE0EEEvSY_.has_indirect_call, 0
	.section	.AMDGPU.csdata,"",@progbits
; Kernel info:
; codeLenInByte = 0
; TotalNumSgprs: 0
; NumVgprs: 0
; ScratchSize: 0
; MemoryBound: 0
; FloatMode: 240
; IeeeMode: 1
; LDSByteSize: 0 bytes/workgroup (compile time only)
; SGPRBlocks: 0
; VGPRBlocks: 0
; NumSGPRsForWavesPerEU: 1
; NumVGPRsForWavesPerEU: 1
; NamedBarCnt: 0
; Occupancy: 16
; WaveLimiterHint : 0
; COMPUTE_PGM_RSRC2:SCRATCH_EN: 0
; COMPUTE_PGM_RSRC2:USER_SGPR: 2
; COMPUTE_PGM_RSRC2:TRAP_HANDLER: 0
; COMPUTE_PGM_RSRC2:TGID_X_EN: 1
; COMPUTE_PGM_RSRC2:TGID_Y_EN: 0
; COMPUTE_PGM_RSRC2:TGID_Z_EN: 0
; COMPUTE_PGM_RSRC2:TIDIG_COMP_CNT: 0
	.section	.text._ZN7rocprim17ROCPRIM_400000_NS6detail17trampoline_kernelINS0_13select_configILj256ELj13ELNS0_17block_load_methodE3ELS4_3ELS4_3ELNS0_20block_scan_algorithmE0ELj4294967295EEENS1_25partition_config_selectorILNS1_17partition_subalgoE3EjNS0_10empty_typeEbEEZZNS1_14partition_implILS8_3ELb0ES6_jNS0_17counting_iteratorIjlEEPS9_SE_NS0_5tupleIJPjSE_EEENSF_IJSE_SE_EEES9_SG_JZNS1_25segmented_radix_sort_implINS0_14default_configELb0EPKfPfPKlPlN2at6native12_GLOBAL__N_18offset_tEEE10hipError_tPvRmT1_PNSt15iterator_traitsISY_E10value_typeET2_T3_PNSZ_IS14_E10value_typeET4_jRbjT5_S1A_jjP12ihipStream_tbEUljE_EEESV_SW_SX_S14_S18_S1A_T6_T7_T9_mT8_S1C_bDpT10_ENKUlT_T0_E_clISt17integral_constantIbLb1EES1P_EEDaS1K_S1L_EUlS1K_E_NS1_11comp_targetILNS1_3genE0ELNS1_11target_archE4294967295ELNS1_3gpuE0ELNS1_3repE0EEENS1_30default_config_static_selectorELNS0_4arch9wavefront6targetE0EEEvSY_,"axG",@progbits,_ZN7rocprim17ROCPRIM_400000_NS6detail17trampoline_kernelINS0_13select_configILj256ELj13ELNS0_17block_load_methodE3ELS4_3ELS4_3ELNS0_20block_scan_algorithmE0ELj4294967295EEENS1_25partition_config_selectorILNS1_17partition_subalgoE3EjNS0_10empty_typeEbEEZZNS1_14partition_implILS8_3ELb0ES6_jNS0_17counting_iteratorIjlEEPS9_SE_NS0_5tupleIJPjSE_EEENSF_IJSE_SE_EEES9_SG_JZNS1_25segmented_radix_sort_implINS0_14default_configELb0EPKfPfPKlPlN2at6native12_GLOBAL__N_18offset_tEEE10hipError_tPvRmT1_PNSt15iterator_traitsISY_E10value_typeET2_T3_PNSZ_IS14_E10value_typeET4_jRbjT5_S1A_jjP12ihipStream_tbEUljE_EEESV_SW_SX_S14_S18_S1A_T6_T7_T9_mT8_S1C_bDpT10_ENKUlT_T0_E_clISt17integral_constantIbLb1EES1P_EEDaS1K_S1L_EUlS1K_E_NS1_11comp_targetILNS1_3genE0ELNS1_11target_archE4294967295ELNS1_3gpuE0ELNS1_3repE0EEENS1_30default_config_static_selectorELNS0_4arch9wavefront6targetE0EEEvSY_,comdat
	.globl	_ZN7rocprim17ROCPRIM_400000_NS6detail17trampoline_kernelINS0_13select_configILj256ELj13ELNS0_17block_load_methodE3ELS4_3ELS4_3ELNS0_20block_scan_algorithmE0ELj4294967295EEENS1_25partition_config_selectorILNS1_17partition_subalgoE3EjNS0_10empty_typeEbEEZZNS1_14partition_implILS8_3ELb0ES6_jNS0_17counting_iteratorIjlEEPS9_SE_NS0_5tupleIJPjSE_EEENSF_IJSE_SE_EEES9_SG_JZNS1_25segmented_radix_sort_implINS0_14default_configELb0EPKfPfPKlPlN2at6native12_GLOBAL__N_18offset_tEEE10hipError_tPvRmT1_PNSt15iterator_traitsISY_E10value_typeET2_T3_PNSZ_IS14_E10value_typeET4_jRbjT5_S1A_jjP12ihipStream_tbEUljE_EEESV_SW_SX_S14_S18_S1A_T6_T7_T9_mT8_S1C_bDpT10_ENKUlT_T0_E_clISt17integral_constantIbLb1EES1P_EEDaS1K_S1L_EUlS1K_E_NS1_11comp_targetILNS1_3genE0ELNS1_11target_archE4294967295ELNS1_3gpuE0ELNS1_3repE0EEENS1_30default_config_static_selectorELNS0_4arch9wavefront6targetE0EEEvSY_ ; -- Begin function _ZN7rocprim17ROCPRIM_400000_NS6detail17trampoline_kernelINS0_13select_configILj256ELj13ELNS0_17block_load_methodE3ELS4_3ELS4_3ELNS0_20block_scan_algorithmE0ELj4294967295EEENS1_25partition_config_selectorILNS1_17partition_subalgoE3EjNS0_10empty_typeEbEEZZNS1_14partition_implILS8_3ELb0ES6_jNS0_17counting_iteratorIjlEEPS9_SE_NS0_5tupleIJPjSE_EEENSF_IJSE_SE_EEES9_SG_JZNS1_25segmented_radix_sort_implINS0_14default_configELb0EPKfPfPKlPlN2at6native12_GLOBAL__N_18offset_tEEE10hipError_tPvRmT1_PNSt15iterator_traitsISY_E10value_typeET2_T3_PNSZ_IS14_E10value_typeET4_jRbjT5_S1A_jjP12ihipStream_tbEUljE_EEESV_SW_SX_S14_S18_S1A_T6_T7_T9_mT8_S1C_bDpT10_ENKUlT_T0_E_clISt17integral_constantIbLb1EES1P_EEDaS1K_S1L_EUlS1K_E_NS1_11comp_targetILNS1_3genE0ELNS1_11target_archE4294967295ELNS1_3gpuE0ELNS1_3repE0EEENS1_30default_config_static_selectorELNS0_4arch9wavefront6targetE0EEEvSY_
	.p2align	8
	.type	_ZN7rocprim17ROCPRIM_400000_NS6detail17trampoline_kernelINS0_13select_configILj256ELj13ELNS0_17block_load_methodE3ELS4_3ELS4_3ELNS0_20block_scan_algorithmE0ELj4294967295EEENS1_25partition_config_selectorILNS1_17partition_subalgoE3EjNS0_10empty_typeEbEEZZNS1_14partition_implILS8_3ELb0ES6_jNS0_17counting_iteratorIjlEEPS9_SE_NS0_5tupleIJPjSE_EEENSF_IJSE_SE_EEES9_SG_JZNS1_25segmented_radix_sort_implINS0_14default_configELb0EPKfPfPKlPlN2at6native12_GLOBAL__N_18offset_tEEE10hipError_tPvRmT1_PNSt15iterator_traitsISY_E10value_typeET2_T3_PNSZ_IS14_E10value_typeET4_jRbjT5_S1A_jjP12ihipStream_tbEUljE_EEESV_SW_SX_S14_S18_S1A_T6_T7_T9_mT8_S1C_bDpT10_ENKUlT_T0_E_clISt17integral_constantIbLb1EES1P_EEDaS1K_S1L_EUlS1K_E_NS1_11comp_targetILNS1_3genE0ELNS1_11target_archE4294967295ELNS1_3gpuE0ELNS1_3repE0EEENS1_30default_config_static_selectorELNS0_4arch9wavefront6targetE0EEEvSY_,@function
_ZN7rocprim17ROCPRIM_400000_NS6detail17trampoline_kernelINS0_13select_configILj256ELj13ELNS0_17block_load_methodE3ELS4_3ELS4_3ELNS0_20block_scan_algorithmE0ELj4294967295EEENS1_25partition_config_selectorILNS1_17partition_subalgoE3EjNS0_10empty_typeEbEEZZNS1_14partition_implILS8_3ELb0ES6_jNS0_17counting_iteratorIjlEEPS9_SE_NS0_5tupleIJPjSE_EEENSF_IJSE_SE_EEES9_SG_JZNS1_25segmented_radix_sort_implINS0_14default_configELb0EPKfPfPKlPlN2at6native12_GLOBAL__N_18offset_tEEE10hipError_tPvRmT1_PNSt15iterator_traitsISY_E10value_typeET2_T3_PNSZ_IS14_E10value_typeET4_jRbjT5_S1A_jjP12ihipStream_tbEUljE_EEESV_SW_SX_S14_S18_S1A_T6_T7_T9_mT8_S1C_bDpT10_ENKUlT_T0_E_clISt17integral_constantIbLb1EES1P_EEDaS1K_S1L_EUlS1K_E_NS1_11comp_targetILNS1_3genE0ELNS1_11target_archE4294967295ELNS1_3gpuE0ELNS1_3repE0EEENS1_30default_config_static_selectorELNS0_4arch9wavefront6targetE0EEEvSY_: ; @_ZN7rocprim17ROCPRIM_400000_NS6detail17trampoline_kernelINS0_13select_configILj256ELj13ELNS0_17block_load_methodE3ELS4_3ELS4_3ELNS0_20block_scan_algorithmE0ELj4294967295EEENS1_25partition_config_selectorILNS1_17partition_subalgoE3EjNS0_10empty_typeEbEEZZNS1_14partition_implILS8_3ELb0ES6_jNS0_17counting_iteratorIjlEEPS9_SE_NS0_5tupleIJPjSE_EEENSF_IJSE_SE_EEES9_SG_JZNS1_25segmented_radix_sort_implINS0_14default_configELb0EPKfPfPKlPlN2at6native12_GLOBAL__N_18offset_tEEE10hipError_tPvRmT1_PNSt15iterator_traitsISY_E10value_typeET2_T3_PNSZ_IS14_E10value_typeET4_jRbjT5_S1A_jjP12ihipStream_tbEUljE_EEESV_SW_SX_S14_S18_S1A_T6_T7_T9_mT8_S1C_bDpT10_ENKUlT_T0_E_clISt17integral_constantIbLb1EES1P_EEDaS1K_S1L_EUlS1K_E_NS1_11comp_targetILNS1_3genE0ELNS1_11target_archE4294967295ELNS1_3gpuE0ELNS1_3repE0EEENS1_30default_config_static_selectorELNS0_4arch9wavefront6targetE0EEEvSY_
; %bb.0:
	s_endpgm
	.section	.rodata,"a",@progbits
	.p2align	6, 0x0
	.amdhsa_kernel _ZN7rocprim17ROCPRIM_400000_NS6detail17trampoline_kernelINS0_13select_configILj256ELj13ELNS0_17block_load_methodE3ELS4_3ELS4_3ELNS0_20block_scan_algorithmE0ELj4294967295EEENS1_25partition_config_selectorILNS1_17partition_subalgoE3EjNS0_10empty_typeEbEEZZNS1_14partition_implILS8_3ELb0ES6_jNS0_17counting_iteratorIjlEEPS9_SE_NS0_5tupleIJPjSE_EEENSF_IJSE_SE_EEES9_SG_JZNS1_25segmented_radix_sort_implINS0_14default_configELb0EPKfPfPKlPlN2at6native12_GLOBAL__N_18offset_tEEE10hipError_tPvRmT1_PNSt15iterator_traitsISY_E10value_typeET2_T3_PNSZ_IS14_E10value_typeET4_jRbjT5_S1A_jjP12ihipStream_tbEUljE_EEESV_SW_SX_S14_S18_S1A_T6_T7_T9_mT8_S1C_bDpT10_ENKUlT_T0_E_clISt17integral_constantIbLb1EES1P_EEDaS1K_S1L_EUlS1K_E_NS1_11comp_targetILNS1_3genE0ELNS1_11target_archE4294967295ELNS1_3gpuE0ELNS1_3repE0EEENS1_30default_config_static_selectorELNS0_4arch9wavefront6targetE0EEEvSY_
		.amdhsa_group_segment_fixed_size 0
		.amdhsa_private_segment_fixed_size 0
		.amdhsa_kernarg_size 152
		.amdhsa_user_sgpr_count 2
		.amdhsa_user_sgpr_dispatch_ptr 0
		.amdhsa_user_sgpr_queue_ptr 0
		.amdhsa_user_sgpr_kernarg_segment_ptr 1
		.amdhsa_user_sgpr_dispatch_id 0
		.amdhsa_user_sgpr_kernarg_preload_length 0
		.amdhsa_user_sgpr_kernarg_preload_offset 0
		.amdhsa_user_sgpr_private_segment_size 0
		.amdhsa_wavefront_size32 1
		.amdhsa_uses_dynamic_stack 0
		.amdhsa_enable_private_segment 0
		.amdhsa_system_sgpr_workgroup_id_x 1
		.amdhsa_system_sgpr_workgroup_id_y 0
		.amdhsa_system_sgpr_workgroup_id_z 0
		.amdhsa_system_sgpr_workgroup_info 0
		.amdhsa_system_vgpr_workitem_id 0
		.amdhsa_next_free_vgpr 1
		.amdhsa_next_free_sgpr 1
		.amdhsa_named_barrier_count 0
		.amdhsa_reserve_vcc 0
		.amdhsa_float_round_mode_32 0
		.amdhsa_float_round_mode_16_64 0
		.amdhsa_float_denorm_mode_32 3
		.amdhsa_float_denorm_mode_16_64 3
		.amdhsa_fp16_overflow 0
		.amdhsa_memory_ordered 1
		.amdhsa_forward_progress 1
		.amdhsa_inst_pref_size 1
		.amdhsa_round_robin_scheduling 0
		.amdhsa_exception_fp_ieee_invalid_op 0
		.amdhsa_exception_fp_denorm_src 0
		.amdhsa_exception_fp_ieee_div_zero 0
		.amdhsa_exception_fp_ieee_overflow 0
		.amdhsa_exception_fp_ieee_underflow 0
		.amdhsa_exception_fp_ieee_inexact 0
		.amdhsa_exception_int_div_zero 0
	.end_amdhsa_kernel
	.section	.text._ZN7rocprim17ROCPRIM_400000_NS6detail17trampoline_kernelINS0_13select_configILj256ELj13ELNS0_17block_load_methodE3ELS4_3ELS4_3ELNS0_20block_scan_algorithmE0ELj4294967295EEENS1_25partition_config_selectorILNS1_17partition_subalgoE3EjNS0_10empty_typeEbEEZZNS1_14partition_implILS8_3ELb0ES6_jNS0_17counting_iteratorIjlEEPS9_SE_NS0_5tupleIJPjSE_EEENSF_IJSE_SE_EEES9_SG_JZNS1_25segmented_radix_sort_implINS0_14default_configELb0EPKfPfPKlPlN2at6native12_GLOBAL__N_18offset_tEEE10hipError_tPvRmT1_PNSt15iterator_traitsISY_E10value_typeET2_T3_PNSZ_IS14_E10value_typeET4_jRbjT5_S1A_jjP12ihipStream_tbEUljE_EEESV_SW_SX_S14_S18_S1A_T6_T7_T9_mT8_S1C_bDpT10_ENKUlT_T0_E_clISt17integral_constantIbLb1EES1P_EEDaS1K_S1L_EUlS1K_E_NS1_11comp_targetILNS1_3genE0ELNS1_11target_archE4294967295ELNS1_3gpuE0ELNS1_3repE0EEENS1_30default_config_static_selectorELNS0_4arch9wavefront6targetE0EEEvSY_,"axG",@progbits,_ZN7rocprim17ROCPRIM_400000_NS6detail17trampoline_kernelINS0_13select_configILj256ELj13ELNS0_17block_load_methodE3ELS4_3ELS4_3ELNS0_20block_scan_algorithmE0ELj4294967295EEENS1_25partition_config_selectorILNS1_17partition_subalgoE3EjNS0_10empty_typeEbEEZZNS1_14partition_implILS8_3ELb0ES6_jNS0_17counting_iteratorIjlEEPS9_SE_NS0_5tupleIJPjSE_EEENSF_IJSE_SE_EEES9_SG_JZNS1_25segmented_radix_sort_implINS0_14default_configELb0EPKfPfPKlPlN2at6native12_GLOBAL__N_18offset_tEEE10hipError_tPvRmT1_PNSt15iterator_traitsISY_E10value_typeET2_T3_PNSZ_IS14_E10value_typeET4_jRbjT5_S1A_jjP12ihipStream_tbEUljE_EEESV_SW_SX_S14_S18_S1A_T6_T7_T9_mT8_S1C_bDpT10_ENKUlT_T0_E_clISt17integral_constantIbLb1EES1P_EEDaS1K_S1L_EUlS1K_E_NS1_11comp_targetILNS1_3genE0ELNS1_11target_archE4294967295ELNS1_3gpuE0ELNS1_3repE0EEENS1_30default_config_static_selectorELNS0_4arch9wavefront6targetE0EEEvSY_,comdat
.Lfunc_end1397:
	.size	_ZN7rocprim17ROCPRIM_400000_NS6detail17trampoline_kernelINS0_13select_configILj256ELj13ELNS0_17block_load_methodE3ELS4_3ELS4_3ELNS0_20block_scan_algorithmE0ELj4294967295EEENS1_25partition_config_selectorILNS1_17partition_subalgoE3EjNS0_10empty_typeEbEEZZNS1_14partition_implILS8_3ELb0ES6_jNS0_17counting_iteratorIjlEEPS9_SE_NS0_5tupleIJPjSE_EEENSF_IJSE_SE_EEES9_SG_JZNS1_25segmented_radix_sort_implINS0_14default_configELb0EPKfPfPKlPlN2at6native12_GLOBAL__N_18offset_tEEE10hipError_tPvRmT1_PNSt15iterator_traitsISY_E10value_typeET2_T3_PNSZ_IS14_E10value_typeET4_jRbjT5_S1A_jjP12ihipStream_tbEUljE_EEESV_SW_SX_S14_S18_S1A_T6_T7_T9_mT8_S1C_bDpT10_ENKUlT_T0_E_clISt17integral_constantIbLb1EES1P_EEDaS1K_S1L_EUlS1K_E_NS1_11comp_targetILNS1_3genE0ELNS1_11target_archE4294967295ELNS1_3gpuE0ELNS1_3repE0EEENS1_30default_config_static_selectorELNS0_4arch9wavefront6targetE0EEEvSY_, .Lfunc_end1397-_ZN7rocprim17ROCPRIM_400000_NS6detail17trampoline_kernelINS0_13select_configILj256ELj13ELNS0_17block_load_methodE3ELS4_3ELS4_3ELNS0_20block_scan_algorithmE0ELj4294967295EEENS1_25partition_config_selectorILNS1_17partition_subalgoE3EjNS0_10empty_typeEbEEZZNS1_14partition_implILS8_3ELb0ES6_jNS0_17counting_iteratorIjlEEPS9_SE_NS0_5tupleIJPjSE_EEENSF_IJSE_SE_EEES9_SG_JZNS1_25segmented_radix_sort_implINS0_14default_configELb0EPKfPfPKlPlN2at6native12_GLOBAL__N_18offset_tEEE10hipError_tPvRmT1_PNSt15iterator_traitsISY_E10value_typeET2_T3_PNSZ_IS14_E10value_typeET4_jRbjT5_S1A_jjP12ihipStream_tbEUljE_EEESV_SW_SX_S14_S18_S1A_T6_T7_T9_mT8_S1C_bDpT10_ENKUlT_T0_E_clISt17integral_constantIbLb1EES1P_EEDaS1K_S1L_EUlS1K_E_NS1_11comp_targetILNS1_3genE0ELNS1_11target_archE4294967295ELNS1_3gpuE0ELNS1_3repE0EEENS1_30default_config_static_selectorELNS0_4arch9wavefront6targetE0EEEvSY_
                                        ; -- End function
	.set _ZN7rocprim17ROCPRIM_400000_NS6detail17trampoline_kernelINS0_13select_configILj256ELj13ELNS0_17block_load_methodE3ELS4_3ELS4_3ELNS0_20block_scan_algorithmE0ELj4294967295EEENS1_25partition_config_selectorILNS1_17partition_subalgoE3EjNS0_10empty_typeEbEEZZNS1_14partition_implILS8_3ELb0ES6_jNS0_17counting_iteratorIjlEEPS9_SE_NS0_5tupleIJPjSE_EEENSF_IJSE_SE_EEES9_SG_JZNS1_25segmented_radix_sort_implINS0_14default_configELb0EPKfPfPKlPlN2at6native12_GLOBAL__N_18offset_tEEE10hipError_tPvRmT1_PNSt15iterator_traitsISY_E10value_typeET2_T3_PNSZ_IS14_E10value_typeET4_jRbjT5_S1A_jjP12ihipStream_tbEUljE_EEESV_SW_SX_S14_S18_S1A_T6_T7_T9_mT8_S1C_bDpT10_ENKUlT_T0_E_clISt17integral_constantIbLb1EES1P_EEDaS1K_S1L_EUlS1K_E_NS1_11comp_targetILNS1_3genE0ELNS1_11target_archE4294967295ELNS1_3gpuE0ELNS1_3repE0EEENS1_30default_config_static_selectorELNS0_4arch9wavefront6targetE0EEEvSY_.num_vgpr, 0
	.set _ZN7rocprim17ROCPRIM_400000_NS6detail17trampoline_kernelINS0_13select_configILj256ELj13ELNS0_17block_load_methodE3ELS4_3ELS4_3ELNS0_20block_scan_algorithmE0ELj4294967295EEENS1_25partition_config_selectorILNS1_17partition_subalgoE3EjNS0_10empty_typeEbEEZZNS1_14partition_implILS8_3ELb0ES6_jNS0_17counting_iteratorIjlEEPS9_SE_NS0_5tupleIJPjSE_EEENSF_IJSE_SE_EEES9_SG_JZNS1_25segmented_radix_sort_implINS0_14default_configELb0EPKfPfPKlPlN2at6native12_GLOBAL__N_18offset_tEEE10hipError_tPvRmT1_PNSt15iterator_traitsISY_E10value_typeET2_T3_PNSZ_IS14_E10value_typeET4_jRbjT5_S1A_jjP12ihipStream_tbEUljE_EEESV_SW_SX_S14_S18_S1A_T6_T7_T9_mT8_S1C_bDpT10_ENKUlT_T0_E_clISt17integral_constantIbLb1EES1P_EEDaS1K_S1L_EUlS1K_E_NS1_11comp_targetILNS1_3genE0ELNS1_11target_archE4294967295ELNS1_3gpuE0ELNS1_3repE0EEENS1_30default_config_static_selectorELNS0_4arch9wavefront6targetE0EEEvSY_.num_agpr, 0
	.set _ZN7rocprim17ROCPRIM_400000_NS6detail17trampoline_kernelINS0_13select_configILj256ELj13ELNS0_17block_load_methodE3ELS4_3ELS4_3ELNS0_20block_scan_algorithmE0ELj4294967295EEENS1_25partition_config_selectorILNS1_17partition_subalgoE3EjNS0_10empty_typeEbEEZZNS1_14partition_implILS8_3ELb0ES6_jNS0_17counting_iteratorIjlEEPS9_SE_NS0_5tupleIJPjSE_EEENSF_IJSE_SE_EEES9_SG_JZNS1_25segmented_radix_sort_implINS0_14default_configELb0EPKfPfPKlPlN2at6native12_GLOBAL__N_18offset_tEEE10hipError_tPvRmT1_PNSt15iterator_traitsISY_E10value_typeET2_T3_PNSZ_IS14_E10value_typeET4_jRbjT5_S1A_jjP12ihipStream_tbEUljE_EEESV_SW_SX_S14_S18_S1A_T6_T7_T9_mT8_S1C_bDpT10_ENKUlT_T0_E_clISt17integral_constantIbLb1EES1P_EEDaS1K_S1L_EUlS1K_E_NS1_11comp_targetILNS1_3genE0ELNS1_11target_archE4294967295ELNS1_3gpuE0ELNS1_3repE0EEENS1_30default_config_static_selectorELNS0_4arch9wavefront6targetE0EEEvSY_.numbered_sgpr, 0
	.set _ZN7rocprim17ROCPRIM_400000_NS6detail17trampoline_kernelINS0_13select_configILj256ELj13ELNS0_17block_load_methodE3ELS4_3ELS4_3ELNS0_20block_scan_algorithmE0ELj4294967295EEENS1_25partition_config_selectorILNS1_17partition_subalgoE3EjNS0_10empty_typeEbEEZZNS1_14partition_implILS8_3ELb0ES6_jNS0_17counting_iteratorIjlEEPS9_SE_NS0_5tupleIJPjSE_EEENSF_IJSE_SE_EEES9_SG_JZNS1_25segmented_radix_sort_implINS0_14default_configELb0EPKfPfPKlPlN2at6native12_GLOBAL__N_18offset_tEEE10hipError_tPvRmT1_PNSt15iterator_traitsISY_E10value_typeET2_T3_PNSZ_IS14_E10value_typeET4_jRbjT5_S1A_jjP12ihipStream_tbEUljE_EEESV_SW_SX_S14_S18_S1A_T6_T7_T9_mT8_S1C_bDpT10_ENKUlT_T0_E_clISt17integral_constantIbLb1EES1P_EEDaS1K_S1L_EUlS1K_E_NS1_11comp_targetILNS1_3genE0ELNS1_11target_archE4294967295ELNS1_3gpuE0ELNS1_3repE0EEENS1_30default_config_static_selectorELNS0_4arch9wavefront6targetE0EEEvSY_.num_named_barrier, 0
	.set _ZN7rocprim17ROCPRIM_400000_NS6detail17trampoline_kernelINS0_13select_configILj256ELj13ELNS0_17block_load_methodE3ELS4_3ELS4_3ELNS0_20block_scan_algorithmE0ELj4294967295EEENS1_25partition_config_selectorILNS1_17partition_subalgoE3EjNS0_10empty_typeEbEEZZNS1_14partition_implILS8_3ELb0ES6_jNS0_17counting_iteratorIjlEEPS9_SE_NS0_5tupleIJPjSE_EEENSF_IJSE_SE_EEES9_SG_JZNS1_25segmented_radix_sort_implINS0_14default_configELb0EPKfPfPKlPlN2at6native12_GLOBAL__N_18offset_tEEE10hipError_tPvRmT1_PNSt15iterator_traitsISY_E10value_typeET2_T3_PNSZ_IS14_E10value_typeET4_jRbjT5_S1A_jjP12ihipStream_tbEUljE_EEESV_SW_SX_S14_S18_S1A_T6_T7_T9_mT8_S1C_bDpT10_ENKUlT_T0_E_clISt17integral_constantIbLb1EES1P_EEDaS1K_S1L_EUlS1K_E_NS1_11comp_targetILNS1_3genE0ELNS1_11target_archE4294967295ELNS1_3gpuE0ELNS1_3repE0EEENS1_30default_config_static_selectorELNS0_4arch9wavefront6targetE0EEEvSY_.private_seg_size, 0
	.set _ZN7rocprim17ROCPRIM_400000_NS6detail17trampoline_kernelINS0_13select_configILj256ELj13ELNS0_17block_load_methodE3ELS4_3ELS4_3ELNS0_20block_scan_algorithmE0ELj4294967295EEENS1_25partition_config_selectorILNS1_17partition_subalgoE3EjNS0_10empty_typeEbEEZZNS1_14partition_implILS8_3ELb0ES6_jNS0_17counting_iteratorIjlEEPS9_SE_NS0_5tupleIJPjSE_EEENSF_IJSE_SE_EEES9_SG_JZNS1_25segmented_radix_sort_implINS0_14default_configELb0EPKfPfPKlPlN2at6native12_GLOBAL__N_18offset_tEEE10hipError_tPvRmT1_PNSt15iterator_traitsISY_E10value_typeET2_T3_PNSZ_IS14_E10value_typeET4_jRbjT5_S1A_jjP12ihipStream_tbEUljE_EEESV_SW_SX_S14_S18_S1A_T6_T7_T9_mT8_S1C_bDpT10_ENKUlT_T0_E_clISt17integral_constantIbLb1EES1P_EEDaS1K_S1L_EUlS1K_E_NS1_11comp_targetILNS1_3genE0ELNS1_11target_archE4294967295ELNS1_3gpuE0ELNS1_3repE0EEENS1_30default_config_static_selectorELNS0_4arch9wavefront6targetE0EEEvSY_.uses_vcc, 0
	.set _ZN7rocprim17ROCPRIM_400000_NS6detail17trampoline_kernelINS0_13select_configILj256ELj13ELNS0_17block_load_methodE3ELS4_3ELS4_3ELNS0_20block_scan_algorithmE0ELj4294967295EEENS1_25partition_config_selectorILNS1_17partition_subalgoE3EjNS0_10empty_typeEbEEZZNS1_14partition_implILS8_3ELb0ES6_jNS0_17counting_iteratorIjlEEPS9_SE_NS0_5tupleIJPjSE_EEENSF_IJSE_SE_EEES9_SG_JZNS1_25segmented_radix_sort_implINS0_14default_configELb0EPKfPfPKlPlN2at6native12_GLOBAL__N_18offset_tEEE10hipError_tPvRmT1_PNSt15iterator_traitsISY_E10value_typeET2_T3_PNSZ_IS14_E10value_typeET4_jRbjT5_S1A_jjP12ihipStream_tbEUljE_EEESV_SW_SX_S14_S18_S1A_T6_T7_T9_mT8_S1C_bDpT10_ENKUlT_T0_E_clISt17integral_constantIbLb1EES1P_EEDaS1K_S1L_EUlS1K_E_NS1_11comp_targetILNS1_3genE0ELNS1_11target_archE4294967295ELNS1_3gpuE0ELNS1_3repE0EEENS1_30default_config_static_selectorELNS0_4arch9wavefront6targetE0EEEvSY_.uses_flat_scratch, 0
	.set _ZN7rocprim17ROCPRIM_400000_NS6detail17trampoline_kernelINS0_13select_configILj256ELj13ELNS0_17block_load_methodE3ELS4_3ELS4_3ELNS0_20block_scan_algorithmE0ELj4294967295EEENS1_25partition_config_selectorILNS1_17partition_subalgoE3EjNS0_10empty_typeEbEEZZNS1_14partition_implILS8_3ELb0ES6_jNS0_17counting_iteratorIjlEEPS9_SE_NS0_5tupleIJPjSE_EEENSF_IJSE_SE_EEES9_SG_JZNS1_25segmented_radix_sort_implINS0_14default_configELb0EPKfPfPKlPlN2at6native12_GLOBAL__N_18offset_tEEE10hipError_tPvRmT1_PNSt15iterator_traitsISY_E10value_typeET2_T3_PNSZ_IS14_E10value_typeET4_jRbjT5_S1A_jjP12ihipStream_tbEUljE_EEESV_SW_SX_S14_S18_S1A_T6_T7_T9_mT8_S1C_bDpT10_ENKUlT_T0_E_clISt17integral_constantIbLb1EES1P_EEDaS1K_S1L_EUlS1K_E_NS1_11comp_targetILNS1_3genE0ELNS1_11target_archE4294967295ELNS1_3gpuE0ELNS1_3repE0EEENS1_30default_config_static_selectorELNS0_4arch9wavefront6targetE0EEEvSY_.has_dyn_sized_stack, 0
	.set _ZN7rocprim17ROCPRIM_400000_NS6detail17trampoline_kernelINS0_13select_configILj256ELj13ELNS0_17block_load_methodE3ELS4_3ELS4_3ELNS0_20block_scan_algorithmE0ELj4294967295EEENS1_25partition_config_selectorILNS1_17partition_subalgoE3EjNS0_10empty_typeEbEEZZNS1_14partition_implILS8_3ELb0ES6_jNS0_17counting_iteratorIjlEEPS9_SE_NS0_5tupleIJPjSE_EEENSF_IJSE_SE_EEES9_SG_JZNS1_25segmented_radix_sort_implINS0_14default_configELb0EPKfPfPKlPlN2at6native12_GLOBAL__N_18offset_tEEE10hipError_tPvRmT1_PNSt15iterator_traitsISY_E10value_typeET2_T3_PNSZ_IS14_E10value_typeET4_jRbjT5_S1A_jjP12ihipStream_tbEUljE_EEESV_SW_SX_S14_S18_S1A_T6_T7_T9_mT8_S1C_bDpT10_ENKUlT_T0_E_clISt17integral_constantIbLb1EES1P_EEDaS1K_S1L_EUlS1K_E_NS1_11comp_targetILNS1_3genE0ELNS1_11target_archE4294967295ELNS1_3gpuE0ELNS1_3repE0EEENS1_30default_config_static_selectorELNS0_4arch9wavefront6targetE0EEEvSY_.has_recursion, 0
	.set _ZN7rocprim17ROCPRIM_400000_NS6detail17trampoline_kernelINS0_13select_configILj256ELj13ELNS0_17block_load_methodE3ELS4_3ELS4_3ELNS0_20block_scan_algorithmE0ELj4294967295EEENS1_25partition_config_selectorILNS1_17partition_subalgoE3EjNS0_10empty_typeEbEEZZNS1_14partition_implILS8_3ELb0ES6_jNS0_17counting_iteratorIjlEEPS9_SE_NS0_5tupleIJPjSE_EEENSF_IJSE_SE_EEES9_SG_JZNS1_25segmented_radix_sort_implINS0_14default_configELb0EPKfPfPKlPlN2at6native12_GLOBAL__N_18offset_tEEE10hipError_tPvRmT1_PNSt15iterator_traitsISY_E10value_typeET2_T3_PNSZ_IS14_E10value_typeET4_jRbjT5_S1A_jjP12ihipStream_tbEUljE_EEESV_SW_SX_S14_S18_S1A_T6_T7_T9_mT8_S1C_bDpT10_ENKUlT_T0_E_clISt17integral_constantIbLb1EES1P_EEDaS1K_S1L_EUlS1K_E_NS1_11comp_targetILNS1_3genE0ELNS1_11target_archE4294967295ELNS1_3gpuE0ELNS1_3repE0EEENS1_30default_config_static_selectorELNS0_4arch9wavefront6targetE0EEEvSY_.has_indirect_call, 0
	.section	.AMDGPU.csdata,"",@progbits
; Kernel info:
; codeLenInByte = 4
; TotalNumSgprs: 0
; NumVgprs: 0
; ScratchSize: 0
; MemoryBound: 0
; FloatMode: 240
; IeeeMode: 1
; LDSByteSize: 0 bytes/workgroup (compile time only)
; SGPRBlocks: 0
; VGPRBlocks: 0
; NumSGPRsForWavesPerEU: 1
; NumVGPRsForWavesPerEU: 1
; NamedBarCnt: 0
; Occupancy: 16
; WaveLimiterHint : 0
; COMPUTE_PGM_RSRC2:SCRATCH_EN: 0
; COMPUTE_PGM_RSRC2:USER_SGPR: 2
; COMPUTE_PGM_RSRC2:TRAP_HANDLER: 0
; COMPUTE_PGM_RSRC2:TGID_X_EN: 1
; COMPUTE_PGM_RSRC2:TGID_Y_EN: 0
; COMPUTE_PGM_RSRC2:TGID_Z_EN: 0
; COMPUTE_PGM_RSRC2:TIDIG_COMP_CNT: 0
	.section	.text._ZN7rocprim17ROCPRIM_400000_NS6detail17trampoline_kernelINS0_13select_configILj256ELj13ELNS0_17block_load_methodE3ELS4_3ELS4_3ELNS0_20block_scan_algorithmE0ELj4294967295EEENS1_25partition_config_selectorILNS1_17partition_subalgoE3EjNS0_10empty_typeEbEEZZNS1_14partition_implILS8_3ELb0ES6_jNS0_17counting_iteratorIjlEEPS9_SE_NS0_5tupleIJPjSE_EEENSF_IJSE_SE_EEES9_SG_JZNS1_25segmented_radix_sort_implINS0_14default_configELb0EPKfPfPKlPlN2at6native12_GLOBAL__N_18offset_tEEE10hipError_tPvRmT1_PNSt15iterator_traitsISY_E10value_typeET2_T3_PNSZ_IS14_E10value_typeET4_jRbjT5_S1A_jjP12ihipStream_tbEUljE_EEESV_SW_SX_S14_S18_S1A_T6_T7_T9_mT8_S1C_bDpT10_ENKUlT_T0_E_clISt17integral_constantIbLb1EES1P_EEDaS1K_S1L_EUlS1K_E_NS1_11comp_targetILNS1_3genE5ELNS1_11target_archE942ELNS1_3gpuE9ELNS1_3repE0EEENS1_30default_config_static_selectorELNS0_4arch9wavefront6targetE0EEEvSY_,"axG",@progbits,_ZN7rocprim17ROCPRIM_400000_NS6detail17trampoline_kernelINS0_13select_configILj256ELj13ELNS0_17block_load_methodE3ELS4_3ELS4_3ELNS0_20block_scan_algorithmE0ELj4294967295EEENS1_25partition_config_selectorILNS1_17partition_subalgoE3EjNS0_10empty_typeEbEEZZNS1_14partition_implILS8_3ELb0ES6_jNS0_17counting_iteratorIjlEEPS9_SE_NS0_5tupleIJPjSE_EEENSF_IJSE_SE_EEES9_SG_JZNS1_25segmented_radix_sort_implINS0_14default_configELb0EPKfPfPKlPlN2at6native12_GLOBAL__N_18offset_tEEE10hipError_tPvRmT1_PNSt15iterator_traitsISY_E10value_typeET2_T3_PNSZ_IS14_E10value_typeET4_jRbjT5_S1A_jjP12ihipStream_tbEUljE_EEESV_SW_SX_S14_S18_S1A_T6_T7_T9_mT8_S1C_bDpT10_ENKUlT_T0_E_clISt17integral_constantIbLb1EES1P_EEDaS1K_S1L_EUlS1K_E_NS1_11comp_targetILNS1_3genE5ELNS1_11target_archE942ELNS1_3gpuE9ELNS1_3repE0EEENS1_30default_config_static_selectorELNS0_4arch9wavefront6targetE0EEEvSY_,comdat
	.globl	_ZN7rocprim17ROCPRIM_400000_NS6detail17trampoline_kernelINS0_13select_configILj256ELj13ELNS0_17block_load_methodE3ELS4_3ELS4_3ELNS0_20block_scan_algorithmE0ELj4294967295EEENS1_25partition_config_selectorILNS1_17partition_subalgoE3EjNS0_10empty_typeEbEEZZNS1_14partition_implILS8_3ELb0ES6_jNS0_17counting_iteratorIjlEEPS9_SE_NS0_5tupleIJPjSE_EEENSF_IJSE_SE_EEES9_SG_JZNS1_25segmented_radix_sort_implINS0_14default_configELb0EPKfPfPKlPlN2at6native12_GLOBAL__N_18offset_tEEE10hipError_tPvRmT1_PNSt15iterator_traitsISY_E10value_typeET2_T3_PNSZ_IS14_E10value_typeET4_jRbjT5_S1A_jjP12ihipStream_tbEUljE_EEESV_SW_SX_S14_S18_S1A_T6_T7_T9_mT8_S1C_bDpT10_ENKUlT_T0_E_clISt17integral_constantIbLb1EES1P_EEDaS1K_S1L_EUlS1K_E_NS1_11comp_targetILNS1_3genE5ELNS1_11target_archE942ELNS1_3gpuE9ELNS1_3repE0EEENS1_30default_config_static_selectorELNS0_4arch9wavefront6targetE0EEEvSY_ ; -- Begin function _ZN7rocprim17ROCPRIM_400000_NS6detail17trampoline_kernelINS0_13select_configILj256ELj13ELNS0_17block_load_methodE3ELS4_3ELS4_3ELNS0_20block_scan_algorithmE0ELj4294967295EEENS1_25partition_config_selectorILNS1_17partition_subalgoE3EjNS0_10empty_typeEbEEZZNS1_14partition_implILS8_3ELb0ES6_jNS0_17counting_iteratorIjlEEPS9_SE_NS0_5tupleIJPjSE_EEENSF_IJSE_SE_EEES9_SG_JZNS1_25segmented_radix_sort_implINS0_14default_configELb0EPKfPfPKlPlN2at6native12_GLOBAL__N_18offset_tEEE10hipError_tPvRmT1_PNSt15iterator_traitsISY_E10value_typeET2_T3_PNSZ_IS14_E10value_typeET4_jRbjT5_S1A_jjP12ihipStream_tbEUljE_EEESV_SW_SX_S14_S18_S1A_T6_T7_T9_mT8_S1C_bDpT10_ENKUlT_T0_E_clISt17integral_constantIbLb1EES1P_EEDaS1K_S1L_EUlS1K_E_NS1_11comp_targetILNS1_3genE5ELNS1_11target_archE942ELNS1_3gpuE9ELNS1_3repE0EEENS1_30default_config_static_selectorELNS0_4arch9wavefront6targetE0EEEvSY_
	.p2align	8
	.type	_ZN7rocprim17ROCPRIM_400000_NS6detail17trampoline_kernelINS0_13select_configILj256ELj13ELNS0_17block_load_methodE3ELS4_3ELS4_3ELNS0_20block_scan_algorithmE0ELj4294967295EEENS1_25partition_config_selectorILNS1_17partition_subalgoE3EjNS0_10empty_typeEbEEZZNS1_14partition_implILS8_3ELb0ES6_jNS0_17counting_iteratorIjlEEPS9_SE_NS0_5tupleIJPjSE_EEENSF_IJSE_SE_EEES9_SG_JZNS1_25segmented_radix_sort_implINS0_14default_configELb0EPKfPfPKlPlN2at6native12_GLOBAL__N_18offset_tEEE10hipError_tPvRmT1_PNSt15iterator_traitsISY_E10value_typeET2_T3_PNSZ_IS14_E10value_typeET4_jRbjT5_S1A_jjP12ihipStream_tbEUljE_EEESV_SW_SX_S14_S18_S1A_T6_T7_T9_mT8_S1C_bDpT10_ENKUlT_T0_E_clISt17integral_constantIbLb1EES1P_EEDaS1K_S1L_EUlS1K_E_NS1_11comp_targetILNS1_3genE5ELNS1_11target_archE942ELNS1_3gpuE9ELNS1_3repE0EEENS1_30default_config_static_selectorELNS0_4arch9wavefront6targetE0EEEvSY_,@function
_ZN7rocprim17ROCPRIM_400000_NS6detail17trampoline_kernelINS0_13select_configILj256ELj13ELNS0_17block_load_methodE3ELS4_3ELS4_3ELNS0_20block_scan_algorithmE0ELj4294967295EEENS1_25partition_config_selectorILNS1_17partition_subalgoE3EjNS0_10empty_typeEbEEZZNS1_14partition_implILS8_3ELb0ES6_jNS0_17counting_iteratorIjlEEPS9_SE_NS0_5tupleIJPjSE_EEENSF_IJSE_SE_EEES9_SG_JZNS1_25segmented_radix_sort_implINS0_14default_configELb0EPKfPfPKlPlN2at6native12_GLOBAL__N_18offset_tEEE10hipError_tPvRmT1_PNSt15iterator_traitsISY_E10value_typeET2_T3_PNSZ_IS14_E10value_typeET4_jRbjT5_S1A_jjP12ihipStream_tbEUljE_EEESV_SW_SX_S14_S18_S1A_T6_T7_T9_mT8_S1C_bDpT10_ENKUlT_T0_E_clISt17integral_constantIbLb1EES1P_EEDaS1K_S1L_EUlS1K_E_NS1_11comp_targetILNS1_3genE5ELNS1_11target_archE942ELNS1_3gpuE9ELNS1_3repE0EEENS1_30default_config_static_selectorELNS0_4arch9wavefront6targetE0EEEvSY_: ; @_ZN7rocprim17ROCPRIM_400000_NS6detail17trampoline_kernelINS0_13select_configILj256ELj13ELNS0_17block_load_methodE3ELS4_3ELS4_3ELNS0_20block_scan_algorithmE0ELj4294967295EEENS1_25partition_config_selectorILNS1_17partition_subalgoE3EjNS0_10empty_typeEbEEZZNS1_14partition_implILS8_3ELb0ES6_jNS0_17counting_iteratorIjlEEPS9_SE_NS0_5tupleIJPjSE_EEENSF_IJSE_SE_EEES9_SG_JZNS1_25segmented_radix_sort_implINS0_14default_configELb0EPKfPfPKlPlN2at6native12_GLOBAL__N_18offset_tEEE10hipError_tPvRmT1_PNSt15iterator_traitsISY_E10value_typeET2_T3_PNSZ_IS14_E10value_typeET4_jRbjT5_S1A_jjP12ihipStream_tbEUljE_EEESV_SW_SX_S14_S18_S1A_T6_T7_T9_mT8_S1C_bDpT10_ENKUlT_T0_E_clISt17integral_constantIbLb1EES1P_EEDaS1K_S1L_EUlS1K_E_NS1_11comp_targetILNS1_3genE5ELNS1_11target_archE942ELNS1_3gpuE9ELNS1_3repE0EEENS1_30default_config_static_selectorELNS0_4arch9wavefront6targetE0EEEvSY_
; %bb.0:
	.section	.rodata,"a",@progbits
	.p2align	6, 0x0
	.amdhsa_kernel _ZN7rocprim17ROCPRIM_400000_NS6detail17trampoline_kernelINS0_13select_configILj256ELj13ELNS0_17block_load_methodE3ELS4_3ELS4_3ELNS0_20block_scan_algorithmE0ELj4294967295EEENS1_25partition_config_selectorILNS1_17partition_subalgoE3EjNS0_10empty_typeEbEEZZNS1_14partition_implILS8_3ELb0ES6_jNS0_17counting_iteratorIjlEEPS9_SE_NS0_5tupleIJPjSE_EEENSF_IJSE_SE_EEES9_SG_JZNS1_25segmented_radix_sort_implINS0_14default_configELb0EPKfPfPKlPlN2at6native12_GLOBAL__N_18offset_tEEE10hipError_tPvRmT1_PNSt15iterator_traitsISY_E10value_typeET2_T3_PNSZ_IS14_E10value_typeET4_jRbjT5_S1A_jjP12ihipStream_tbEUljE_EEESV_SW_SX_S14_S18_S1A_T6_T7_T9_mT8_S1C_bDpT10_ENKUlT_T0_E_clISt17integral_constantIbLb1EES1P_EEDaS1K_S1L_EUlS1K_E_NS1_11comp_targetILNS1_3genE5ELNS1_11target_archE942ELNS1_3gpuE9ELNS1_3repE0EEENS1_30default_config_static_selectorELNS0_4arch9wavefront6targetE0EEEvSY_
		.amdhsa_group_segment_fixed_size 0
		.amdhsa_private_segment_fixed_size 0
		.amdhsa_kernarg_size 152
		.amdhsa_user_sgpr_count 2
		.amdhsa_user_sgpr_dispatch_ptr 0
		.amdhsa_user_sgpr_queue_ptr 0
		.amdhsa_user_sgpr_kernarg_segment_ptr 1
		.amdhsa_user_sgpr_dispatch_id 0
		.amdhsa_user_sgpr_kernarg_preload_length 0
		.amdhsa_user_sgpr_kernarg_preload_offset 0
		.amdhsa_user_sgpr_private_segment_size 0
		.amdhsa_wavefront_size32 1
		.amdhsa_uses_dynamic_stack 0
		.amdhsa_enable_private_segment 0
		.amdhsa_system_sgpr_workgroup_id_x 1
		.amdhsa_system_sgpr_workgroup_id_y 0
		.amdhsa_system_sgpr_workgroup_id_z 0
		.amdhsa_system_sgpr_workgroup_info 0
		.amdhsa_system_vgpr_workitem_id 0
		.amdhsa_next_free_vgpr 1
		.amdhsa_next_free_sgpr 1
		.amdhsa_named_barrier_count 0
		.amdhsa_reserve_vcc 0
		.amdhsa_float_round_mode_32 0
		.amdhsa_float_round_mode_16_64 0
		.amdhsa_float_denorm_mode_32 3
		.amdhsa_float_denorm_mode_16_64 3
		.amdhsa_fp16_overflow 0
		.amdhsa_memory_ordered 1
		.amdhsa_forward_progress 1
		.amdhsa_inst_pref_size 0
		.amdhsa_round_robin_scheduling 0
		.amdhsa_exception_fp_ieee_invalid_op 0
		.amdhsa_exception_fp_denorm_src 0
		.amdhsa_exception_fp_ieee_div_zero 0
		.amdhsa_exception_fp_ieee_overflow 0
		.amdhsa_exception_fp_ieee_underflow 0
		.amdhsa_exception_fp_ieee_inexact 0
		.amdhsa_exception_int_div_zero 0
	.end_amdhsa_kernel
	.section	.text._ZN7rocprim17ROCPRIM_400000_NS6detail17trampoline_kernelINS0_13select_configILj256ELj13ELNS0_17block_load_methodE3ELS4_3ELS4_3ELNS0_20block_scan_algorithmE0ELj4294967295EEENS1_25partition_config_selectorILNS1_17partition_subalgoE3EjNS0_10empty_typeEbEEZZNS1_14partition_implILS8_3ELb0ES6_jNS0_17counting_iteratorIjlEEPS9_SE_NS0_5tupleIJPjSE_EEENSF_IJSE_SE_EEES9_SG_JZNS1_25segmented_radix_sort_implINS0_14default_configELb0EPKfPfPKlPlN2at6native12_GLOBAL__N_18offset_tEEE10hipError_tPvRmT1_PNSt15iterator_traitsISY_E10value_typeET2_T3_PNSZ_IS14_E10value_typeET4_jRbjT5_S1A_jjP12ihipStream_tbEUljE_EEESV_SW_SX_S14_S18_S1A_T6_T7_T9_mT8_S1C_bDpT10_ENKUlT_T0_E_clISt17integral_constantIbLb1EES1P_EEDaS1K_S1L_EUlS1K_E_NS1_11comp_targetILNS1_3genE5ELNS1_11target_archE942ELNS1_3gpuE9ELNS1_3repE0EEENS1_30default_config_static_selectorELNS0_4arch9wavefront6targetE0EEEvSY_,"axG",@progbits,_ZN7rocprim17ROCPRIM_400000_NS6detail17trampoline_kernelINS0_13select_configILj256ELj13ELNS0_17block_load_methodE3ELS4_3ELS4_3ELNS0_20block_scan_algorithmE0ELj4294967295EEENS1_25partition_config_selectorILNS1_17partition_subalgoE3EjNS0_10empty_typeEbEEZZNS1_14partition_implILS8_3ELb0ES6_jNS0_17counting_iteratorIjlEEPS9_SE_NS0_5tupleIJPjSE_EEENSF_IJSE_SE_EEES9_SG_JZNS1_25segmented_radix_sort_implINS0_14default_configELb0EPKfPfPKlPlN2at6native12_GLOBAL__N_18offset_tEEE10hipError_tPvRmT1_PNSt15iterator_traitsISY_E10value_typeET2_T3_PNSZ_IS14_E10value_typeET4_jRbjT5_S1A_jjP12ihipStream_tbEUljE_EEESV_SW_SX_S14_S18_S1A_T6_T7_T9_mT8_S1C_bDpT10_ENKUlT_T0_E_clISt17integral_constantIbLb1EES1P_EEDaS1K_S1L_EUlS1K_E_NS1_11comp_targetILNS1_3genE5ELNS1_11target_archE942ELNS1_3gpuE9ELNS1_3repE0EEENS1_30default_config_static_selectorELNS0_4arch9wavefront6targetE0EEEvSY_,comdat
.Lfunc_end1398:
	.size	_ZN7rocprim17ROCPRIM_400000_NS6detail17trampoline_kernelINS0_13select_configILj256ELj13ELNS0_17block_load_methodE3ELS4_3ELS4_3ELNS0_20block_scan_algorithmE0ELj4294967295EEENS1_25partition_config_selectorILNS1_17partition_subalgoE3EjNS0_10empty_typeEbEEZZNS1_14partition_implILS8_3ELb0ES6_jNS0_17counting_iteratorIjlEEPS9_SE_NS0_5tupleIJPjSE_EEENSF_IJSE_SE_EEES9_SG_JZNS1_25segmented_radix_sort_implINS0_14default_configELb0EPKfPfPKlPlN2at6native12_GLOBAL__N_18offset_tEEE10hipError_tPvRmT1_PNSt15iterator_traitsISY_E10value_typeET2_T3_PNSZ_IS14_E10value_typeET4_jRbjT5_S1A_jjP12ihipStream_tbEUljE_EEESV_SW_SX_S14_S18_S1A_T6_T7_T9_mT8_S1C_bDpT10_ENKUlT_T0_E_clISt17integral_constantIbLb1EES1P_EEDaS1K_S1L_EUlS1K_E_NS1_11comp_targetILNS1_3genE5ELNS1_11target_archE942ELNS1_3gpuE9ELNS1_3repE0EEENS1_30default_config_static_selectorELNS0_4arch9wavefront6targetE0EEEvSY_, .Lfunc_end1398-_ZN7rocprim17ROCPRIM_400000_NS6detail17trampoline_kernelINS0_13select_configILj256ELj13ELNS0_17block_load_methodE3ELS4_3ELS4_3ELNS0_20block_scan_algorithmE0ELj4294967295EEENS1_25partition_config_selectorILNS1_17partition_subalgoE3EjNS0_10empty_typeEbEEZZNS1_14partition_implILS8_3ELb0ES6_jNS0_17counting_iteratorIjlEEPS9_SE_NS0_5tupleIJPjSE_EEENSF_IJSE_SE_EEES9_SG_JZNS1_25segmented_radix_sort_implINS0_14default_configELb0EPKfPfPKlPlN2at6native12_GLOBAL__N_18offset_tEEE10hipError_tPvRmT1_PNSt15iterator_traitsISY_E10value_typeET2_T3_PNSZ_IS14_E10value_typeET4_jRbjT5_S1A_jjP12ihipStream_tbEUljE_EEESV_SW_SX_S14_S18_S1A_T6_T7_T9_mT8_S1C_bDpT10_ENKUlT_T0_E_clISt17integral_constantIbLb1EES1P_EEDaS1K_S1L_EUlS1K_E_NS1_11comp_targetILNS1_3genE5ELNS1_11target_archE942ELNS1_3gpuE9ELNS1_3repE0EEENS1_30default_config_static_selectorELNS0_4arch9wavefront6targetE0EEEvSY_
                                        ; -- End function
	.set _ZN7rocprim17ROCPRIM_400000_NS6detail17trampoline_kernelINS0_13select_configILj256ELj13ELNS0_17block_load_methodE3ELS4_3ELS4_3ELNS0_20block_scan_algorithmE0ELj4294967295EEENS1_25partition_config_selectorILNS1_17partition_subalgoE3EjNS0_10empty_typeEbEEZZNS1_14partition_implILS8_3ELb0ES6_jNS0_17counting_iteratorIjlEEPS9_SE_NS0_5tupleIJPjSE_EEENSF_IJSE_SE_EEES9_SG_JZNS1_25segmented_radix_sort_implINS0_14default_configELb0EPKfPfPKlPlN2at6native12_GLOBAL__N_18offset_tEEE10hipError_tPvRmT1_PNSt15iterator_traitsISY_E10value_typeET2_T3_PNSZ_IS14_E10value_typeET4_jRbjT5_S1A_jjP12ihipStream_tbEUljE_EEESV_SW_SX_S14_S18_S1A_T6_T7_T9_mT8_S1C_bDpT10_ENKUlT_T0_E_clISt17integral_constantIbLb1EES1P_EEDaS1K_S1L_EUlS1K_E_NS1_11comp_targetILNS1_3genE5ELNS1_11target_archE942ELNS1_3gpuE9ELNS1_3repE0EEENS1_30default_config_static_selectorELNS0_4arch9wavefront6targetE0EEEvSY_.num_vgpr, 0
	.set _ZN7rocprim17ROCPRIM_400000_NS6detail17trampoline_kernelINS0_13select_configILj256ELj13ELNS0_17block_load_methodE3ELS4_3ELS4_3ELNS0_20block_scan_algorithmE0ELj4294967295EEENS1_25partition_config_selectorILNS1_17partition_subalgoE3EjNS0_10empty_typeEbEEZZNS1_14partition_implILS8_3ELb0ES6_jNS0_17counting_iteratorIjlEEPS9_SE_NS0_5tupleIJPjSE_EEENSF_IJSE_SE_EEES9_SG_JZNS1_25segmented_radix_sort_implINS0_14default_configELb0EPKfPfPKlPlN2at6native12_GLOBAL__N_18offset_tEEE10hipError_tPvRmT1_PNSt15iterator_traitsISY_E10value_typeET2_T3_PNSZ_IS14_E10value_typeET4_jRbjT5_S1A_jjP12ihipStream_tbEUljE_EEESV_SW_SX_S14_S18_S1A_T6_T7_T9_mT8_S1C_bDpT10_ENKUlT_T0_E_clISt17integral_constantIbLb1EES1P_EEDaS1K_S1L_EUlS1K_E_NS1_11comp_targetILNS1_3genE5ELNS1_11target_archE942ELNS1_3gpuE9ELNS1_3repE0EEENS1_30default_config_static_selectorELNS0_4arch9wavefront6targetE0EEEvSY_.num_agpr, 0
	.set _ZN7rocprim17ROCPRIM_400000_NS6detail17trampoline_kernelINS0_13select_configILj256ELj13ELNS0_17block_load_methodE3ELS4_3ELS4_3ELNS0_20block_scan_algorithmE0ELj4294967295EEENS1_25partition_config_selectorILNS1_17partition_subalgoE3EjNS0_10empty_typeEbEEZZNS1_14partition_implILS8_3ELb0ES6_jNS0_17counting_iteratorIjlEEPS9_SE_NS0_5tupleIJPjSE_EEENSF_IJSE_SE_EEES9_SG_JZNS1_25segmented_radix_sort_implINS0_14default_configELb0EPKfPfPKlPlN2at6native12_GLOBAL__N_18offset_tEEE10hipError_tPvRmT1_PNSt15iterator_traitsISY_E10value_typeET2_T3_PNSZ_IS14_E10value_typeET4_jRbjT5_S1A_jjP12ihipStream_tbEUljE_EEESV_SW_SX_S14_S18_S1A_T6_T7_T9_mT8_S1C_bDpT10_ENKUlT_T0_E_clISt17integral_constantIbLb1EES1P_EEDaS1K_S1L_EUlS1K_E_NS1_11comp_targetILNS1_3genE5ELNS1_11target_archE942ELNS1_3gpuE9ELNS1_3repE0EEENS1_30default_config_static_selectorELNS0_4arch9wavefront6targetE0EEEvSY_.numbered_sgpr, 0
	.set _ZN7rocprim17ROCPRIM_400000_NS6detail17trampoline_kernelINS0_13select_configILj256ELj13ELNS0_17block_load_methodE3ELS4_3ELS4_3ELNS0_20block_scan_algorithmE0ELj4294967295EEENS1_25partition_config_selectorILNS1_17partition_subalgoE3EjNS0_10empty_typeEbEEZZNS1_14partition_implILS8_3ELb0ES6_jNS0_17counting_iteratorIjlEEPS9_SE_NS0_5tupleIJPjSE_EEENSF_IJSE_SE_EEES9_SG_JZNS1_25segmented_radix_sort_implINS0_14default_configELb0EPKfPfPKlPlN2at6native12_GLOBAL__N_18offset_tEEE10hipError_tPvRmT1_PNSt15iterator_traitsISY_E10value_typeET2_T3_PNSZ_IS14_E10value_typeET4_jRbjT5_S1A_jjP12ihipStream_tbEUljE_EEESV_SW_SX_S14_S18_S1A_T6_T7_T9_mT8_S1C_bDpT10_ENKUlT_T0_E_clISt17integral_constantIbLb1EES1P_EEDaS1K_S1L_EUlS1K_E_NS1_11comp_targetILNS1_3genE5ELNS1_11target_archE942ELNS1_3gpuE9ELNS1_3repE0EEENS1_30default_config_static_selectorELNS0_4arch9wavefront6targetE0EEEvSY_.num_named_barrier, 0
	.set _ZN7rocprim17ROCPRIM_400000_NS6detail17trampoline_kernelINS0_13select_configILj256ELj13ELNS0_17block_load_methodE3ELS4_3ELS4_3ELNS0_20block_scan_algorithmE0ELj4294967295EEENS1_25partition_config_selectorILNS1_17partition_subalgoE3EjNS0_10empty_typeEbEEZZNS1_14partition_implILS8_3ELb0ES6_jNS0_17counting_iteratorIjlEEPS9_SE_NS0_5tupleIJPjSE_EEENSF_IJSE_SE_EEES9_SG_JZNS1_25segmented_radix_sort_implINS0_14default_configELb0EPKfPfPKlPlN2at6native12_GLOBAL__N_18offset_tEEE10hipError_tPvRmT1_PNSt15iterator_traitsISY_E10value_typeET2_T3_PNSZ_IS14_E10value_typeET4_jRbjT5_S1A_jjP12ihipStream_tbEUljE_EEESV_SW_SX_S14_S18_S1A_T6_T7_T9_mT8_S1C_bDpT10_ENKUlT_T0_E_clISt17integral_constantIbLb1EES1P_EEDaS1K_S1L_EUlS1K_E_NS1_11comp_targetILNS1_3genE5ELNS1_11target_archE942ELNS1_3gpuE9ELNS1_3repE0EEENS1_30default_config_static_selectorELNS0_4arch9wavefront6targetE0EEEvSY_.private_seg_size, 0
	.set _ZN7rocprim17ROCPRIM_400000_NS6detail17trampoline_kernelINS0_13select_configILj256ELj13ELNS0_17block_load_methodE3ELS4_3ELS4_3ELNS0_20block_scan_algorithmE0ELj4294967295EEENS1_25partition_config_selectorILNS1_17partition_subalgoE3EjNS0_10empty_typeEbEEZZNS1_14partition_implILS8_3ELb0ES6_jNS0_17counting_iteratorIjlEEPS9_SE_NS0_5tupleIJPjSE_EEENSF_IJSE_SE_EEES9_SG_JZNS1_25segmented_radix_sort_implINS0_14default_configELb0EPKfPfPKlPlN2at6native12_GLOBAL__N_18offset_tEEE10hipError_tPvRmT1_PNSt15iterator_traitsISY_E10value_typeET2_T3_PNSZ_IS14_E10value_typeET4_jRbjT5_S1A_jjP12ihipStream_tbEUljE_EEESV_SW_SX_S14_S18_S1A_T6_T7_T9_mT8_S1C_bDpT10_ENKUlT_T0_E_clISt17integral_constantIbLb1EES1P_EEDaS1K_S1L_EUlS1K_E_NS1_11comp_targetILNS1_3genE5ELNS1_11target_archE942ELNS1_3gpuE9ELNS1_3repE0EEENS1_30default_config_static_selectorELNS0_4arch9wavefront6targetE0EEEvSY_.uses_vcc, 0
	.set _ZN7rocprim17ROCPRIM_400000_NS6detail17trampoline_kernelINS0_13select_configILj256ELj13ELNS0_17block_load_methodE3ELS4_3ELS4_3ELNS0_20block_scan_algorithmE0ELj4294967295EEENS1_25partition_config_selectorILNS1_17partition_subalgoE3EjNS0_10empty_typeEbEEZZNS1_14partition_implILS8_3ELb0ES6_jNS0_17counting_iteratorIjlEEPS9_SE_NS0_5tupleIJPjSE_EEENSF_IJSE_SE_EEES9_SG_JZNS1_25segmented_radix_sort_implINS0_14default_configELb0EPKfPfPKlPlN2at6native12_GLOBAL__N_18offset_tEEE10hipError_tPvRmT1_PNSt15iterator_traitsISY_E10value_typeET2_T3_PNSZ_IS14_E10value_typeET4_jRbjT5_S1A_jjP12ihipStream_tbEUljE_EEESV_SW_SX_S14_S18_S1A_T6_T7_T9_mT8_S1C_bDpT10_ENKUlT_T0_E_clISt17integral_constantIbLb1EES1P_EEDaS1K_S1L_EUlS1K_E_NS1_11comp_targetILNS1_3genE5ELNS1_11target_archE942ELNS1_3gpuE9ELNS1_3repE0EEENS1_30default_config_static_selectorELNS0_4arch9wavefront6targetE0EEEvSY_.uses_flat_scratch, 0
	.set _ZN7rocprim17ROCPRIM_400000_NS6detail17trampoline_kernelINS0_13select_configILj256ELj13ELNS0_17block_load_methodE3ELS4_3ELS4_3ELNS0_20block_scan_algorithmE0ELj4294967295EEENS1_25partition_config_selectorILNS1_17partition_subalgoE3EjNS0_10empty_typeEbEEZZNS1_14partition_implILS8_3ELb0ES6_jNS0_17counting_iteratorIjlEEPS9_SE_NS0_5tupleIJPjSE_EEENSF_IJSE_SE_EEES9_SG_JZNS1_25segmented_radix_sort_implINS0_14default_configELb0EPKfPfPKlPlN2at6native12_GLOBAL__N_18offset_tEEE10hipError_tPvRmT1_PNSt15iterator_traitsISY_E10value_typeET2_T3_PNSZ_IS14_E10value_typeET4_jRbjT5_S1A_jjP12ihipStream_tbEUljE_EEESV_SW_SX_S14_S18_S1A_T6_T7_T9_mT8_S1C_bDpT10_ENKUlT_T0_E_clISt17integral_constantIbLb1EES1P_EEDaS1K_S1L_EUlS1K_E_NS1_11comp_targetILNS1_3genE5ELNS1_11target_archE942ELNS1_3gpuE9ELNS1_3repE0EEENS1_30default_config_static_selectorELNS0_4arch9wavefront6targetE0EEEvSY_.has_dyn_sized_stack, 0
	.set _ZN7rocprim17ROCPRIM_400000_NS6detail17trampoline_kernelINS0_13select_configILj256ELj13ELNS0_17block_load_methodE3ELS4_3ELS4_3ELNS0_20block_scan_algorithmE0ELj4294967295EEENS1_25partition_config_selectorILNS1_17partition_subalgoE3EjNS0_10empty_typeEbEEZZNS1_14partition_implILS8_3ELb0ES6_jNS0_17counting_iteratorIjlEEPS9_SE_NS0_5tupleIJPjSE_EEENSF_IJSE_SE_EEES9_SG_JZNS1_25segmented_radix_sort_implINS0_14default_configELb0EPKfPfPKlPlN2at6native12_GLOBAL__N_18offset_tEEE10hipError_tPvRmT1_PNSt15iterator_traitsISY_E10value_typeET2_T3_PNSZ_IS14_E10value_typeET4_jRbjT5_S1A_jjP12ihipStream_tbEUljE_EEESV_SW_SX_S14_S18_S1A_T6_T7_T9_mT8_S1C_bDpT10_ENKUlT_T0_E_clISt17integral_constantIbLb1EES1P_EEDaS1K_S1L_EUlS1K_E_NS1_11comp_targetILNS1_3genE5ELNS1_11target_archE942ELNS1_3gpuE9ELNS1_3repE0EEENS1_30default_config_static_selectorELNS0_4arch9wavefront6targetE0EEEvSY_.has_recursion, 0
	.set _ZN7rocprim17ROCPRIM_400000_NS6detail17trampoline_kernelINS0_13select_configILj256ELj13ELNS0_17block_load_methodE3ELS4_3ELS4_3ELNS0_20block_scan_algorithmE0ELj4294967295EEENS1_25partition_config_selectorILNS1_17partition_subalgoE3EjNS0_10empty_typeEbEEZZNS1_14partition_implILS8_3ELb0ES6_jNS0_17counting_iteratorIjlEEPS9_SE_NS0_5tupleIJPjSE_EEENSF_IJSE_SE_EEES9_SG_JZNS1_25segmented_radix_sort_implINS0_14default_configELb0EPKfPfPKlPlN2at6native12_GLOBAL__N_18offset_tEEE10hipError_tPvRmT1_PNSt15iterator_traitsISY_E10value_typeET2_T3_PNSZ_IS14_E10value_typeET4_jRbjT5_S1A_jjP12ihipStream_tbEUljE_EEESV_SW_SX_S14_S18_S1A_T6_T7_T9_mT8_S1C_bDpT10_ENKUlT_T0_E_clISt17integral_constantIbLb1EES1P_EEDaS1K_S1L_EUlS1K_E_NS1_11comp_targetILNS1_3genE5ELNS1_11target_archE942ELNS1_3gpuE9ELNS1_3repE0EEENS1_30default_config_static_selectorELNS0_4arch9wavefront6targetE0EEEvSY_.has_indirect_call, 0
	.section	.AMDGPU.csdata,"",@progbits
; Kernel info:
; codeLenInByte = 0
; TotalNumSgprs: 0
; NumVgprs: 0
; ScratchSize: 0
; MemoryBound: 0
; FloatMode: 240
; IeeeMode: 1
; LDSByteSize: 0 bytes/workgroup (compile time only)
; SGPRBlocks: 0
; VGPRBlocks: 0
; NumSGPRsForWavesPerEU: 1
; NumVGPRsForWavesPerEU: 1
; NamedBarCnt: 0
; Occupancy: 16
; WaveLimiterHint : 0
; COMPUTE_PGM_RSRC2:SCRATCH_EN: 0
; COMPUTE_PGM_RSRC2:USER_SGPR: 2
; COMPUTE_PGM_RSRC2:TRAP_HANDLER: 0
; COMPUTE_PGM_RSRC2:TGID_X_EN: 1
; COMPUTE_PGM_RSRC2:TGID_Y_EN: 0
; COMPUTE_PGM_RSRC2:TGID_Z_EN: 0
; COMPUTE_PGM_RSRC2:TIDIG_COMP_CNT: 0
	.section	.text._ZN7rocprim17ROCPRIM_400000_NS6detail17trampoline_kernelINS0_13select_configILj256ELj13ELNS0_17block_load_methodE3ELS4_3ELS4_3ELNS0_20block_scan_algorithmE0ELj4294967295EEENS1_25partition_config_selectorILNS1_17partition_subalgoE3EjNS0_10empty_typeEbEEZZNS1_14partition_implILS8_3ELb0ES6_jNS0_17counting_iteratorIjlEEPS9_SE_NS0_5tupleIJPjSE_EEENSF_IJSE_SE_EEES9_SG_JZNS1_25segmented_radix_sort_implINS0_14default_configELb0EPKfPfPKlPlN2at6native12_GLOBAL__N_18offset_tEEE10hipError_tPvRmT1_PNSt15iterator_traitsISY_E10value_typeET2_T3_PNSZ_IS14_E10value_typeET4_jRbjT5_S1A_jjP12ihipStream_tbEUljE_EEESV_SW_SX_S14_S18_S1A_T6_T7_T9_mT8_S1C_bDpT10_ENKUlT_T0_E_clISt17integral_constantIbLb1EES1P_EEDaS1K_S1L_EUlS1K_E_NS1_11comp_targetILNS1_3genE4ELNS1_11target_archE910ELNS1_3gpuE8ELNS1_3repE0EEENS1_30default_config_static_selectorELNS0_4arch9wavefront6targetE0EEEvSY_,"axG",@progbits,_ZN7rocprim17ROCPRIM_400000_NS6detail17trampoline_kernelINS0_13select_configILj256ELj13ELNS0_17block_load_methodE3ELS4_3ELS4_3ELNS0_20block_scan_algorithmE0ELj4294967295EEENS1_25partition_config_selectorILNS1_17partition_subalgoE3EjNS0_10empty_typeEbEEZZNS1_14partition_implILS8_3ELb0ES6_jNS0_17counting_iteratorIjlEEPS9_SE_NS0_5tupleIJPjSE_EEENSF_IJSE_SE_EEES9_SG_JZNS1_25segmented_radix_sort_implINS0_14default_configELb0EPKfPfPKlPlN2at6native12_GLOBAL__N_18offset_tEEE10hipError_tPvRmT1_PNSt15iterator_traitsISY_E10value_typeET2_T3_PNSZ_IS14_E10value_typeET4_jRbjT5_S1A_jjP12ihipStream_tbEUljE_EEESV_SW_SX_S14_S18_S1A_T6_T7_T9_mT8_S1C_bDpT10_ENKUlT_T0_E_clISt17integral_constantIbLb1EES1P_EEDaS1K_S1L_EUlS1K_E_NS1_11comp_targetILNS1_3genE4ELNS1_11target_archE910ELNS1_3gpuE8ELNS1_3repE0EEENS1_30default_config_static_selectorELNS0_4arch9wavefront6targetE0EEEvSY_,comdat
	.globl	_ZN7rocprim17ROCPRIM_400000_NS6detail17trampoline_kernelINS0_13select_configILj256ELj13ELNS0_17block_load_methodE3ELS4_3ELS4_3ELNS0_20block_scan_algorithmE0ELj4294967295EEENS1_25partition_config_selectorILNS1_17partition_subalgoE3EjNS0_10empty_typeEbEEZZNS1_14partition_implILS8_3ELb0ES6_jNS0_17counting_iteratorIjlEEPS9_SE_NS0_5tupleIJPjSE_EEENSF_IJSE_SE_EEES9_SG_JZNS1_25segmented_radix_sort_implINS0_14default_configELb0EPKfPfPKlPlN2at6native12_GLOBAL__N_18offset_tEEE10hipError_tPvRmT1_PNSt15iterator_traitsISY_E10value_typeET2_T3_PNSZ_IS14_E10value_typeET4_jRbjT5_S1A_jjP12ihipStream_tbEUljE_EEESV_SW_SX_S14_S18_S1A_T6_T7_T9_mT8_S1C_bDpT10_ENKUlT_T0_E_clISt17integral_constantIbLb1EES1P_EEDaS1K_S1L_EUlS1K_E_NS1_11comp_targetILNS1_3genE4ELNS1_11target_archE910ELNS1_3gpuE8ELNS1_3repE0EEENS1_30default_config_static_selectorELNS0_4arch9wavefront6targetE0EEEvSY_ ; -- Begin function _ZN7rocprim17ROCPRIM_400000_NS6detail17trampoline_kernelINS0_13select_configILj256ELj13ELNS0_17block_load_methodE3ELS4_3ELS4_3ELNS0_20block_scan_algorithmE0ELj4294967295EEENS1_25partition_config_selectorILNS1_17partition_subalgoE3EjNS0_10empty_typeEbEEZZNS1_14partition_implILS8_3ELb0ES6_jNS0_17counting_iteratorIjlEEPS9_SE_NS0_5tupleIJPjSE_EEENSF_IJSE_SE_EEES9_SG_JZNS1_25segmented_radix_sort_implINS0_14default_configELb0EPKfPfPKlPlN2at6native12_GLOBAL__N_18offset_tEEE10hipError_tPvRmT1_PNSt15iterator_traitsISY_E10value_typeET2_T3_PNSZ_IS14_E10value_typeET4_jRbjT5_S1A_jjP12ihipStream_tbEUljE_EEESV_SW_SX_S14_S18_S1A_T6_T7_T9_mT8_S1C_bDpT10_ENKUlT_T0_E_clISt17integral_constantIbLb1EES1P_EEDaS1K_S1L_EUlS1K_E_NS1_11comp_targetILNS1_3genE4ELNS1_11target_archE910ELNS1_3gpuE8ELNS1_3repE0EEENS1_30default_config_static_selectorELNS0_4arch9wavefront6targetE0EEEvSY_
	.p2align	8
	.type	_ZN7rocprim17ROCPRIM_400000_NS6detail17trampoline_kernelINS0_13select_configILj256ELj13ELNS0_17block_load_methodE3ELS4_3ELS4_3ELNS0_20block_scan_algorithmE0ELj4294967295EEENS1_25partition_config_selectorILNS1_17partition_subalgoE3EjNS0_10empty_typeEbEEZZNS1_14partition_implILS8_3ELb0ES6_jNS0_17counting_iteratorIjlEEPS9_SE_NS0_5tupleIJPjSE_EEENSF_IJSE_SE_EEES9_SG_JZNS1_25segmented_radix_sort_implINS0_14default_configELb0EPKfPfPKlPlN2at6native12_GLOBAL__N_18offset_tEEE10hipError_tPvRmT1_PNSt15iterator_traitsISY_E10value_typeET2_T3_PNSZ_IS14_E10value_typeET4_jRbjT5_S1A_jjP12ihipStream_tbEUljE_EEESV_SW_SX_S14_S18_S1A_T6_T7_T9_mT8_S1C_bDpT10_ENKUlT_T0_E_clISt17integral_constantIbLb1EES1P_EEDaS1K_S1L_EUlS1K_E_NS1_11comp_targetILNS1_3genE4ELNS1_11target_archE910ELNS1_3gpuE8ELNS1_3repE0EEENS1_30default_config_static_selectorELNS0_4arch9wavefront6targetE0EEEvSY_,@function
_ZN7rocprim17ROCPRIM_400000_NS6detail17trampoline_kernelINS0_13select_configILj256ELj13ELNS0_17block_load_methodE3ELS4_3ELS4_3ELNS0_20block_scan_algorithmE0ELj4294967295EEENS1_25partition_config_selectorILNS1_17partition_subalgoE3EjNS0_10empty_typeEbEEZZNS1_14partition_implILS8_3ELb0ES6_jNS0_17counting_iteratorIjlEEPS9_SE_NS0_5tupleIJPjSE_EEENSF_IJSE_SE_EEES9_SG_JZNS1_25segmented_radix_sort_implINS0_14default_configELb0EPKfPfPKlPlN2at6native12_GLOBAL__N_18offset_tEEE10hipError_tPvRmT1_PNSt15iterator_traitsISY_E10value_typeET2_T3_PNSZ_IS14_E10value_typeET4_jRbjT5_S1A_jjP12ihipStream_tbEUljE_EEESV_SW_SX_S14_S18_S1A_T6_T7_T9_mT8_S1C_bDpT10_ENKUlT_T0_E_clISt17integral_constantIbLb1EES1P_EEDaS1K_S1L_EUlS1K_E_NS1_11comp_targetILNS1_3genE4ELNS1_11target_archE910ELNS1_3gpuE8ELNS1_3repE0EEENS1_30default_config_static_selectorELNS0_4arch9wavefront6targetE0EEEvSY_: ; @_ZN7rocprim17ROCPRIM_400000_NS6detail17trampoline_kernelINS0_13select_configILj256ELj13ELNS0_17block_load_methodE3ELS4_3ELS4_3ELNS0_20block_scan_algorithmE0ELj4294967295EEENS1_25partition_config_selectorILNS1_17partition_subalgoE3EjNS0_10empty_typeEbEEZZNS1_14partition_implILS8_3ELb0ES6_jNS0_17counting_iteratorIjlEEPS9_SE_NS0_5tupleIJPjSE_EEENSF_IJSE_SE_EEES9_SG_JZNS1_25segmented_radix_sort_implINS0_14default_configELb0EPKfPfPKlPlN2at6native12_GLOBAL__N_18offset_tEEE10hipError_tPvRmT1_PNSt15iterator_traitsISY_E10value_typeET2_T3_PNSZ_IS14_E10value_typeET4_jRbjT5_S1A_jjP12ihipStream_tbEUljE_EEESV_SW_SX_S14_S18_S1A_T6_T7_T9_mT8_S1C_bDpT10_ENKUlT_T0_E_clISt17integral_constantIbLb1EES1P_EEDaS1K_S1L_EUlS1K_E_NS1_11comp_targetILNS1_3genE4ELNS1_11target_archE910ELNS1_3gpuE8ELNS1_3repE0EEENS1_30default_config_static_selectorELNS0_4arch9wavefront6targetE0EEEvSY_
; %bb.0:
	.section	.rodata,"a",@progbits
	.p2align	6, 0x0
	.amdhsa_kernel _ZN7rocprim17ROCPRIM_400000_NS6detail17trampoline_kernelINS0_13select_configILj256ELj13ELNS0_17block_load_methodE3ELS4_3ELS4_3ELNS0_20block_scan_algorithmE0ELj4294967295EEENS1_25partition_config_selectorILNS1_17partition_subalgoE3EjNS0_10empty_typeEbEEZZNS1_14partition_implILS8_3ELb0ES6_jNS0_17counting_iteratorIjlEEPS9_SE_NS0_5tupleIJPjSE_EEENSF_IJSE_SE_EEES9_SG_JZNS1_25segmented_radix_sort_implINS0_14default_configELb0EPKfPfPKlPlN2at6native12_GLOBAL__N_18offset_tEEE10hipError_tPvRmT1_PNSt15iterator_traitsISY_E10value_typeET2_T3_PNSZ_IS14_E10value_typeET4_jRbjT5_S1A_jjP12ihipStream_tbEUljE_EEESV_SW_SX_S14_S18_S1A_T6_T7_T9_mT8_S1C_bDpT10_ENKUlT_T0_E_clISt17integral_constantIbLb1EES1P_EEDaS1K_S1L_EUlS1K_E_NS1_11comp_targetILNS1_3genE4ELNS1_11target_archE910ELNS1_3gpuE8ELNS1_3repE0EEENS1_30default_config_static_selectorELNS0_4arch9wavefront6targetE0EEEvSY_
		.amdhsa_group_segment_fixed_size 0
		.amdhsa_private_segment_fixed_size 0
		.amdhsa_kernarg_size 152
		.amdhsa_user_sgpr_count 2
		.amdhsa_user_sgpr_dispatch_ptr 0
		.amdhsa_user_sgpr_queue_ptr 0
		.amdhsa_user_sgpr_kernarg_segment_ptr 1
		.amdhsa_user_sgpr_dispatch_id 0
		.amdhsa_user_sgpr_kernarg_preload_length 0
		.amdhsa_user_sgpr_kernarg_preload_offset 0
		.amdhsa_user_sgpr_private_segment_size 0
		.amdhsa_wavefront_size32 1
		.amdhsa_uses_dynamic_stack 0
		.amdhsa_enable_private_segment 0
		.amdhsa_system_sgpr_workgroup_id_x 1
		.amdhsa_system_sgpr_workgroup_id_y 0
		.amdhsa_system_sgpr_workgroup_id_z 0
		.amdhsa_system_sgpr_workgroup_info 0
		.amdhsa_system_vgpr_workitem_id 0
		.amdhsa_next_free_vgpr 1
		.amdhsa_next_free_sgpr 1
		.amdhsa_named_barrier_count 0
		.amdhsa_reserve_vcc 0
		.amdhsa_float_round_mode_32 0
		.amdhsa_float_round_mode_16_64 0
		.amdhsa_float_denorm_mode_32 3
		.amdhsa_float_denorm_mode_16_64 3
		.amdhsa_fp16_overflow 0
		.amdhsa_memory_ordered 1
		.amdhsa_forward_progress 1
		.amdhsa_inst_pref_size 0
		.amdhsa_round_robin_scheduling 0
		.amdhsa_exception_fp_ieee_invalid_op 0
		.amdhsa_exception_fp_denorm_src 0
		.amdhsa_exception_fp_ieee_div_zero 0
		.amdhsa_exception_fp_ieee_overflow 0
		.amdhsa_exception_fp_ieee_underflow 0
		.amdhsa_exception_fp_ieee_inexact 0
		.amdhsa_exception_int_div_zero 0
	.end_amdhsa_kernel
	.section	.text._ZN7rocprim17ROCPRIM_400000_NS6detail17trampoline_kernelINS0_13select_configILj256ELj13ELNS0_17block_load_methodE3ELS4_3ELS4_3ELNS0_20block_scan_algorithmE0ELj4294967295EEENS1_25partition_config_selectorILNS1_17partition_subalgoE3EjNS0_10empty_typeEbEEZZNS1_14partition_implILS8_3ELb0ES6_jNS0_17counting_iteratorIjlEEPS9_SE_NS0_5tupleIJPjSE_EEENSF_IJSE_SE_EEES9_SG_JZNS1_25segmented_radix_sort_implINS0_14default_configELb0EPKfPfPKlPlN2at6native12_GLOBAL__N_18offset_tEEE10hipError_tPvRmT1_PNSt15iterator_traitsISY_E10value_typeET2_T3_PNSZ_IS14_E10value_typeET4_jRbjT5_S1A_jjP12ihipStream_tbEUljE_EEESV_SW_SX_S14_S18_S1A_T6_T7_T9_mT8_S1C_bDpT10_ENKUlT_T0_E_clISt17integral_constantIbLb1EES1P_EEDaS1K_S1L_EUlS1K_E_NS1_11comp_targetILNS1_3genE4ELNS1_11target_archE910ELNS1_3gpuE8ELNS1_3repE0EEENS1_30default_config_static_selectorELNS0_4arch9wavefront6targetE0EEEvSY_,"axG",@progbits,_ZN7rocprim17ROCPRIM_400000_NS6detail17trampoline_kernelINS0_13select_configILj256ELj13ELNS0_17block_load_methodE3ELS4_3ELS4_3ELNS0_20block_scan_algorithmE0ELj4294967295EEENS1_25partition_config_selectorILNS1_17partition_subalgoE3EjNS0_10empty_typeEbEEZZNS1_14partition_implILS8_3ELb0ES6_jNS0_17counting_iteratorIjlEEPS9_SE_NS0_5tupleIJPjSE_EEENSF_IJSE_SE_EEES9_SG_JZNS1_25segmented_radix_sort_implINS0_14default_configELb0EPKfPfPKlPlN2at6native12_GLOBAL__N_18offset_tEEE10hipError_tPvRmT1_PNSt15iterator_traitsISY_E10value_typeET2_T3_PNSZ_IS14_E10value_typeET4_jRbjT5_S1A_jjP12ihipStream_tbEUljE_EEESV_SW_SX_S14_S18_S1A_T6_T7_T9_mT8_S1C_bDpT10_ENKUlT_T0_E_clISt17integral_constantIbLb1EES1P_EEDaS1K_S1L_EUlS1K_E_NS1_11comp_targetILNS1_3genE4ELNS1_11target_archE910ELNS1_3gpuE8ELNS1_3repE0EEENS1_30default_config_static_selectorELNS0_4arch9wavefront6targetE0EEEvSY_,comdat
.Lfunc_end1399:
	.size	_ZN7rocprim17ROCPRIM_400000_NS6detail17trampoline_kernelINS0_13select_configILj256ELj13ELNS0_17block_load_methodE3ELS4_3ELS4_3ELNS0_20block_scan_algorithmE0ELj4294967295EEENS1_25partition_config_selectorILNS1_17partition_subalgoE3EjNS0_10empty_typeEbEEZZNS1_14partition_implILS8_3ELb0ES6_jNS0_17counting_iteratorIjlEEPS9_SE_NS0_5tupleIJPjSE_EEENSF_IJSE_SE_EEES9_SG_JZNS1_25segmented_radix_sort_implINS0_14default_configELb0EPKfPfPKlPlN2at6native12_GLOBAL__N_18offset_tEEE10hipError_tPvRmT1_PNSt15iterator_traitsISY_E10value_typeET2_T3_PNSZ_IS14_E10value_typeET4_jRbjT5_S1A_jjP12ihipStream_tbEUljE_EEESV_SW_SX_S14_S18_S1A_T6_T7_T9_mT8_S1C_bDpT10_ENKUlT_T0_E_clISt17integral_constantIbLb1EES1P_EEDaS1K_S1L_EUlS1K_E_NS1_11comp_targetILNS1_3genE4ELNS1_11target_archE910ELNS1_3gpuE8ELNS1_3repE0EEENS1_30default_config_static_selectorELNS0_4arch9wavefront6targetE0EEEvSY_, .Lfunc_end1399-_ZN7rocprim17ROCPRIM_400000_NS6detail17trampoline_kernelINS0_13select_configILj256ELj13ELNS0_17block_load_methodE3ELS4_3ELS4_3ELNS0_20block_scan_algorithmE0ELj4294967295EEENS1_25partition_config_selectorILNS1_17partition_subalgoE3EjNS0_10empty_typeEbEEZZNS1_14partition_implILS8_3ELb0ES6_jNS0_17counting_iteratorIjlEEPS9_SE_NS0_5tupleIJPjSE_EEENSF_IJSE_SE_EEES9_SG_JZNS1_25segmented_radix_sort_implINS0_14default_configELb0EPKfPfPKlPlN2at6native12_GLOBAL__N_18offset_tEEE10hipError_tPvRmT1_PNSt15iterator_traitsISY_E10value_typeET2_T3_PNSZ_IS14_E10value_typeET4_jRbjT5_S1A_jjP12ihipStream_tbEUljE_EEESV_SW_SX_S14_S18_S1A_T6_T7_T9_mT8_S1C_bDpT10_ENKUlT_T0_E_clISt17integral_constantIbLb1EES1P_EEDaS1K_S1L_EUlS1K_E_NS1_11comp_targetILNS1_3genE4ELNS1_11target_archE910ELNS1_3gpuE8ELNS1_3repE0EEENS1_30default_config_static_selectorELNS0_4arch9wavefront6targetE0EEEvSY_
                                        ; -- End function
	.set _ZN7rocprim17ROCPRIM_400000_NS6detail17trampoline_kernelINS0_13select_configILj256ELj13ELNS0_17block_load_methodE3ELS4_3ELS4_3ELNS0_20block_scan_algorithmE0ELj4294967295EEENS1_25partition_config_selectorILNS1_17partition_subalgoE3EjNS0_10empty_typeEbEEZZNS1_14partition_implILS8_3ELb0ES6_jNS0_17counting_iteratorIjlEEPS9_SE_NS0_5tupleIJPjSE_EEENSF_IJSE_SE_EEES9_SG_JZNS1_25segmented_radix_sort_implINS0_14default_configELb0EPKfPfPKlPlN2at6native12_GLOBAL__N_18offset_tEEE10hipError_tPvRmT1_PNSt15iterator_traitsISY_E10value_typeET2_T3_PNSZ_IS14_E10value_typeET4_jRbjT5_S1A_jjP12ihipStream_tbEUljE_EEESV_SW_SX_S14_S18_S1A_T6_T7_T9_mT8_S1C_bDpT10_ENKUlT_T0_E_clISt17integral_constantIbLb1EES1P_EEDaS1K_S1L_EUlS1K_E_NS1_11comp_targetILNS1_3genE4ELNS1_11target_archE910ELNS1_3gpuE8ELNS1_3repE0EEENS1_30default_config_static_selectorELNS0_4arch9wavefront6targetE0EEEvSY_.num_vgpr, 0
	.set _ZN7rocprim17ROCPRIM_400000_NS6detail17trampoline_kernelINS0_13select_configILj256ELj13ELNS0_17block_load_methodE3ELS4_3ELS4_3ELNS0_20block_scan_algorithmE0ELj4294967295EEENS1_25partition_config_selectorILNS1_17partition_subalgoE3EjNS0_10empty_typeEbEEZZNS1_14partition_implILS8_3ELb0ES6_jNS0_17counting_iteratorIjlEEPS9_SE_NS0_5tupleIJPjSE_EEENSF_IJSE_SE_EEES9_SG_JZNS1_25segmented_radix_sort_implINS0_14default_configELb0EPKfPfPKlPlN2at6native12_GLOBAL__N_18offset_tEEE10hipError_tPvRmT1_PNSt15iterator_traitsISY_E10value_typeET2_T3_PNSZ_IS14_E10value_typeET4_jRbjT5_S1A_jjP12ihipStream_tbEUljE_EEESV_SW_SX_S14_S18_S1A_T6_T7_T9_mT8_S1C_bDpT10_ENKUlT_T0_E_clISt17integral_constantIbLb1EES1P_EEDaS1K_S1L_EUlS1K_E_NS1_11comp_targetILNS1_3genE4ELNS1_11target_archE910ELNS1_3gpuE8ELNS1_3repE0EEENS1_30default_config_static_selectorELNS0_4arch9wavefront6targetE0EEEvSY_.num_agpr, 0
	.set _ZN7rocprim17ROCPRIM_400000_NS6detail17trampoline_kernelINS0_13select_configILj256ELj13ELNS0_17block_load_methodE3ELS4_3ELS4_3ELNS0_20block_scan_algorithmE0ELj4294967295EEENS1_25partition_config_selectorILNS1_17partition_subalgoE3EjNS0_10empty_typeEbEEZZNS1_14partition_implILS8_3ELb0ES6_jNS0_17counting_iteratorIjlEEPS9_SE_NS0_5tupleIJPjSE_EEENSF_IJSE_SE_EEES9_SG_JZNS1_25segmented_radix_sort_implINS0_14default_configELb0EPKfPfPKlPlN2at6native12_GLOBAL__N_18offset_tEEE10hipError_tPvRmT1_PNSt15iterator_traitsISY_E10value_typeET2_T3_PNSZ_IS14_E10value_typeET4_jRbjT5_S1A_jjP12ihipStream_tbEUljE_EEESV_SW_SX_S14_S18_S1A_T6_T7_T9_mT8_S1C_bDpT10_ENKUlT_T0_E_clISt17integral_constantIbLb1EES1P_EEDaS1K_S1L_EUlS1K_E_NS1_11comp_targetILNS1_3genE4ELNS1_11target_archE910ELNS1_3gpuE8ELNS1_3repE0EEENS1_30default_config_static_selectorELNS0_4arch9wavefront6targetE0EEEvSY_.numbered_sgpr, 0
	.set _ZN7rocprim17ROCPRIM_400000_NS6detail17trampoline_kernelINS0_13select_configILj256ELj13ELNS0_17block_load_methodE3ELS4_3ELS4_3ELNS0_20block_scan_algorithmE0ELj4294967295EEENS1_25partition_config_selectorILNS1_17partition_subalgoE3EjNS0_10empty_typeEbEEZZNS1_14partition_implILS8_3ELb0ES6_jNS0_17counting_iteratorIjlEEPS9_SE_NS0_5tupleIJPjSE_EEENSF_IJSE_SE_EEES9_SG_JZNS1_25segmented_radix_sort_implINS0_14default_configELb0EPKfPfPKlPlN2at6native12_GLOBAL__N_18offset_tEEE10hipError_tPvRmT1_PNSt15iterator_traitsISY_E10value_typeET2_T3_PNSZ_IS14_E10value_typeET4_jRbjT5_S1A_jjP12ihipStream_tbEUljE_EEESV_SW_SX_S14_S18_S1A_T6_T7_T9_mT8_S1C_bDpT10_ENKUlT_T0_E_clISt17integral_constantIbLb1EES1P_EEDaS1K_S1L_EUlS1K_E_NS1_11comp_targetILNS1_3genE4ELNS1_11target_archE910ELNS1_3gpuE8ELNS1_3repE0EEENS1_30default_config_static_selectorELNS0_4arch9wavefront6targetE0EEEvSY_.num_named_barrier, 0
	.set _ZN7rocprim17ROCPRIM_400000_NS6detail17trampoline_kernelINS0_13select_configILj256ELj13ELNS0_17block_load_methodE3ELS4_3ELS4_3ELNS0_20block_scan_algorithmE0ELj4294967295EEENS1_25partition_config_selectorILNS1_17partition_subalgoE3EjNS0_10empty_typeEbEEZZNS1_14partition_implILS8_3ELb0ES6_jNS0_17counting_iteratorIjlEEPS9_SE_NS0_5tupleIJPjSE_EEENSF_IJSE_SE_EEES9_SG_JZNS1_25segmented_radix_sort_implINS0_14default_configELb0EPKfPfPKlPlN2at6native12_GLOBAL__N_18offset_tEEE10hipError_tPvRmT1_PNSt15iterator_traitsISY_E10value_typeET2_T3_PNSZ_IS14_E10value_typeET4_jRbjT5_S1A_jjP12ihipStream_tbEUljE_EEESV_SW_SX_S14_S18_S1A_T6_T7_T9_mT8_S1C_bDpT10_ENKUlT_T0_E_clISt17integral_constantIbLb1EES1P_EEDaS1K_S1L_EUlS1K_E_NS1_11comp_targetILNS1_3genE4ELNS1_11target_archE910ELNS1_3gpuE8ELNS1_3repE0EEENS1_30default_config_static_selectorELNS0_4arch9wavefront6targetE0EEEvSY_.private_seg_size, 0
	.set _ZN7rocprim17ROCPRIM_400000_NS6detail17trampoline_kernelINS0_13select_configILj256ELj13ELNS0_17block_load_methodE3ELS4_3ELS4_3ELNS0_20block_scan_algorithmE0ELj4294967295EEENS1_25partition_config_selectorILNS1_17partition_subalgoE3EjNS0_10empty_typeEbEEZZNS1_14partition_implILS8_3ELb0ES6_jNS0_17counting_iteratorIjlEEPS9_SE_NS0_5tupleIJPjSE_EEENSF_IJSE_SE_EEES9_SG_JZNS1_25segmented_radix_sort_implINS0_14default_configELb0EPKfPfPKlPlN2at6native12_GLOBAL__N_18offset_tEEE10hipError_tPvRmT1_PNSt15iterator_traitsISY_E10value_typeET2_T3_PNSZ_IS14_E10value_typeET4_jRbjT5_S1A_jjP12ihipStream_tbEUljE_EEESV_SW_SX_S14_S18_S1A_T6_T7_T9_mT8_S1C_bDpT10_ENKUlT_T0_E_clISt17integral_constantIbLb1EES1P_EEDaS1K_S1L_EUlS1K_E_NS1_11comp_targetILNS1_3genE4ELNS1_11target_archE910ELNS1_3gpuE8ELNS1_3repE0EEENS1_30default_config_static_selectorELNS0_4arch9wavefront6targetE0EEEvSY_.uses_vcc, 0
	.set _ZN7rocprim17ROCPRIM_400000_NS6detail17trampoline_kernelINS0_13select_configILj256ELj13ELNS0_17block_load_methodE3ELS4_3ELS4_3ELNS0_20block_scan_algorithmE0ELj4294967295EEENS1_25partition_config_selectorILNS1_17partition_subalgoE3EjNS0_10empty_typeEbEEZZNS1_14partition_implILS8_3ELb0ES6_jNS0_17counting_iteratorIjlEEPS9_SE_NS0_5tupleIJPjSE_EEENSF_IJSE_SE_EEES9_SG_JZNS1_25segmented_radix_sort_implINS0_14default_configELb0EPKfPfPKlPlN2at6native12_GLOBAL__N_18offset_tEEE10hipError_tPvRmT1_PNSt15iterator_traitsISY_E10value_typeET2_T3_PNSZ_IS14_E10value_typeET4_jRbjT5_S1A_jjP12ihipStream_tbEUljE_EEESV_SW_SX_S14_S18_S1A_T6_T7_T9_mT8_S1C_bDpT10_ENKUlT_T0_E_clISt17integral_constantIbLb1EES1P_EEDaS1K_S1L_EUlS1K_E_NS1_11comp_targetILNS1_3genE4ELNS1_11target_archE910ELNS1_3gpuE8ELNS1_3repE0EEENS1_30default_config_static_selectorELNS0_4arch9wavefront6targetE0EEEvSY_.uses_flat_scratch, 0
	.set _ZN7rocprim17ROCPRIM_400000_NS6detail17trampoline_kernelINS0_13select_configILj256ELj13ELNS0_17block_load_methodE3ELS4_3ELS4_3ELNS0_20block_scan_algorithmE0ELj4294967295EEENS1_25partition_config_selectorILNS1_17partition_subalgoE3EjNS0_10empty_typeEbEEZZNS1_14partition_implILS8_3ELb0ES6_jNS0_17counting_iteratorIjlEEPS9_SE_NS0_5tupleIJPjSE_EEENSF_IJSE_SE_EEES9_SG_JZNS1_25segmented_radix_sort_implINS0_14default_configELb0EPKfPfPKlPlN2at6native12_GLOBAL__N_18offset_tEEE10hipError_tPvRmT1_PNSt15iterator_traitsISY_E10value_typeET2_T3_PNSZ_IS14_E10value_typeET4_jRbjT5_S1A_jjP12ihipStream_tbEUljE_EEESV_SW_SX_S14_S18_S1A_T6_T7_T9_mT8_S1C_bDpT10_ENKUlT_T0_E_clISt17integral_constantIbLb1EES1P_EEDaS1K_S1L_EUlS1K_E_NS1_11comp_targetILNS1_3genE4ELNS1_11target_archE910ELNS1_3gpuE8ELNS1_3repE0EEENS1_30default_config_static_selectorELNS0_4arch9wavefront6targetE0EEEvSY_.has_dyn_sized_stack, 0
	.set _ZN7rocprim17ROCPRIM_400000_NS6detail17trampoline_kernelINS0_13select_configILj256ELj13ELNS0_17block_load_methodE3ELS4_3ELS4_3ELNS0_20block_scan_algorithmE0ELj4294967295EEENS1_25partition_config_selectorILNS1_17partition_subalgoE3EjNS0_10empty_typeEbEEZZNS1_14partition_implILS8_3ELb0ES6_jNS0_17counting_iteratorIjlEEPS9_SE_NS0_5tupleIJPjSE_EEENSF_IJSE_SE_EEES9_SG_JZNS1_25segmented_radix_sort_implINS0_14default_configELb0EPKfPfPKlPlN2at6native12_GLOBAL__N_18offset_tEEE10hipError_tPvRmT1_PNSt15iterator_traitsISY_E10value_typeET2_T3_PNSZ_IS14_E10value_typeET4_jRbjT5_S1A_jjP12ihipStream_tbEUljE_EEESV_SW_SX_S14_S18_S1A_T6_T7_T9_mT8_S1C_bDpT10_ENKUlT_T0_E_clISt17integral_constantIbLb1EES1P_EEDaS1K_S1L_EUlS1K_E_NS1_11comp_targetILNS1_3genE4ELNS1_11target_archE910ELNS1_3gpuE8ELNS1_3repE0EEENS1_30default_config_static_selectorELNS0_4arch9wavefront6targetE0EEEvSY_.has_recursion, 0
	.set _ZN7rocprim17ROCPRIM_400000_NS6detail17trampoline_kernelINS0_13select_configILj256ELj13ELNS0_17block_load_methodE3ELS4_3ELS4_3ELNS0_20block_scan_algorithmE0ELj4294967295EEENS1_25partition_config_selectorILNS1_17partition_subalgoE3EjNS0_10empty_typeEbEEZZNS1_14partition_implILS8_3ELb0ES6_jNS0_17counting_iteratorIjlEEPS9_SE_NS0_5tupleIJPjSE_EEENSF_IJSE_SE_EEES9_SG_JZNS1_25segmented_radix_sort_implINS0_14default_configELb0EPKfPfPKlPlN2at6native12_GLOBAL__N_18offset_tEEE10hipError_tPvRmT1_PNSt15iterator_traitsISY_E10value_typeET2_T3_PNSZ_IS14_E10value_typeET4_jRbjT5_S1A_jjP12ihipStream_tbEUljE_EEESV_SW_SX_S14_S18_S1A_T6_T7_T9_mT8_S1C_bDpT10_ENKUlT_T0_E_clISt17integral_constantIbLb1EES1P_EEDaS1K_S1L_EUlS1K_E_NS1_11comp_targetILNS1_3genE4ELNS1_11target_archE910ELNS1_3gpuE8ELNS1_3repE0EEENS1_30default_config_static_selectorELNS0_4arch9wavefront6targetE0EEEvSY_.has_indirect_call, 0
	.section	.AMDGPU.csdata,"",@progbits
; Kernel info:
; codeLenInByte = 0
; TotalNumSgprs: 0
; NumVgprs: 0
; ScratchSize: 0
; MemoryBound: 0
; FloatMode: 240
; IeeeMode: 1
; LDSByteSize: 0 bytes/workgroup (compile time only)
; SGPRBlocks: 0
; VGPRBlocks: 0
; NumSGPRsForWavesPerEU: 1
; NumVGPRsForWavesPerEU: 1
; NamedBarCnt: 0
; Occupancy: 16
; WaveLimiterHint : 0
; COMPUTE_PGM_RSRC2:SCRATCH_EN: 0
; COMPUTE_PGM_RSRC2:USER_SGPR: 2
; COMPUTE_PGM_RSRC2:TRAP_HANDLER: 0
; COMPUTE_PGM_RSRC2:TGID_X_EN: 1
; COMPUTE_PGM_RSRC2:TGID_Y_EN: 0
; COMPUTE_PGM_RSRC2:TGID_Z_EN: 0
; COMPUTE_PGM_RSRC2:TIDIG_COMP_CNT: 0
	.section	.text._ZN7rocprim17ROCPRIM_400000_NS6detail17trampoline_kernelINS0_13select_configILj256ELj13ELNS0_17block_load_methodE3ELS4_3ELS4_3ELNS0_20block_scan_algorithmE0ELj4294967295EEENS1_25partition_config_selectorILNS1_17partition_subalgoE3EjNS0_10empty_typeEbEEZZNS1_14partition_implILS8_3ELb0ES6_jNS0_17counting_iteratorIjlEEPS9_SE_NS0_5tupleIJPjSE_EEENSF_IJSE_SE_EEES9_SG_JZNS1_25segmented_radix_sort_implINS0_14default_configELb0EPKfPfPKlPlN2at6native12_GLOBAL__N_18offset_tEEE10hipError_tPvRmT1_PNSt15iterator_traitsISY_E10value_typeET2_T3_PNSZ_IS14_E10value_typeET4_jRbjT5_S1A_jjP12ihipStream_tbEUljE_EEESV_SW_SX_S14_S18_S1A_T6_T7_T9_mT8_S1C_bDpT10_ENKUlT_T0_E_clISt17integral_constantIbLb1EES1P_EEDaS1K_S1L_EUlS1K_E_NS1_11comp_targetILNS1_3genE3ELNS1_11target_archE908ELNS1_3gpuE7ELNS1_3repE0EEENS1_30default_config_static_selectorELNS0_4arch9wavefront6targetE0EEEvSY_,"axG",@progbits,_ZN7rocprim17ROCPRIM_400000_NS6detail17trampoline_kernelINS0_13select_configILj256ELj13ELNS0_17block_load_methodE3ELS4_3ELS4_3ELNS0_20block_scan_algorithmE0ELj4294967295EEENS1_25partition_config_selectorILNS1_17partition_subalgoE3EjNS0_10empty_typeEbEEZZNS1_14partition_implILS8_3ELb0ES6_jNS0_17counting_iteratorIjlEEPS9_SE_NS0_5tupleIJPjSE_EEENSF_IJSE_SE_EEES9_SG_JZNS1_25segmented_radix_sort_implINS0_14default_configELb0EPKfPfPKlPlN2at6native12_GLOBAL__N_18offset_tEEE10hipError_tPvRmT1_PNSt15iterator_traitsISY_E10value_typeET2_T3_PNSZ_IS14_E10value_typeET4_jRbjT5_S1A_jjP12ihipStream_tbEUljE_EEESV_SW_SX_S14_S18_S1A_T6_T7_T9_mT8_S1C_bDpT10_ENKUlT_T0_E_clISt17integral_constantIbLb1EES1P_EEDaS1K_S1L_EUlS1K_E_NS1_11comp_targetILNS1_3genE3ELNS1_11target_archE908ELNS1_3gpuE7ELNS1_3repE0EEENS1_30default_config_static_selectorELNS0_4arch9wavefront6targetE0EEEvSY_,comdat
	.globl	_ZN7rocprim17ROCPRIM_400000_NS6detail17trampoline_kernelINS0_13select_configILj256ELj13ELNS0_17block_load_methodE3ELS4_3ELS4_3ELNS0_20block_scan_algorithmE0ELj4294967295EEENS1_25partition_config_selectorILNS1_17partition_subalgoE3EjNS0_10empty_typeEbEEZZNS1_14partition_implILS8_3ELb0ES6_jNS0_17counting_iteratorIjlEEPS9_SE_NS0_5tupleIJPjSE_EEENSF_IJSE_SE_EEES9_SG_JZNS1_25segmented_radix_sort_implINS0_14default_configELb0EPKfPfPKlPlN2at6native12_GLOBAL__N_18offset_tEEE10hipError_tPvRmT1_PNSt15iterator_traitsISY_E10value_typeET2_T3_PNSZ_IS14_E10value_typeET4_jRbjT5_S1A_jjP12ihipStream_tbEUljE_EEESV_SW_SX_S14_S18_S1A_T6_T7_T9_mT8_S1C_bDpT10_ENKUlT_T0_E_clISt17integral_constantIbLb1EES1P_EEDaS1K_S1L_EUlS1K_E_NS1_11comp_targetILNS1_3genE3ELNS1_11target_archE908ELNS1_3gpuE7ELNS1_3repE0EEENS1_30default_config_static_selectorELNS0_4arch9wavefront6targetE0EEEvSY_ ; -- Begin function _ZN7rocprim17ROCPRIM_400000_NS6detail17trampoline_kernelINS0_13select_configILj256ELj13ELNS0_17block_load_methodE3ELS4_3ELS4_3ELNS0_20block_scan_algorithmE0ELj4294967295EEENS1_25partition_config_selectorILNS1_17partition_subalgoE3EjNS0_10empty_typeEbEEZZNS1_14partition_implILS8_3ELb0ES6_jNS0_17counting_iteratorIjlEEPS9_SE_NS0_5tupleIJPjSE_EEENSF_IJSE_SE_EEES9_SG_JZNS1_25segmented_radix_sort_implINS0_14default_configELb0EPKfPfPKlPlN2at6native12_GLOBAL__N_18offset_tEEE10hipError_tPvRmT1_PNSt15iterator_traitsISY_E10value_typeET2_T3_PNSZ_IS14_E10value_typeET4_jRbjT5_S1A_jjP12ihipStream_tbEUljE_EEESV_SW_SX_S14_S18_S1A_T6_T7_T9_mT8_S1C_bDpT10_ENKUlT_T0_E_clISt17integral_constantIbLb1EES1P_EEDaS1K_S1L_EUlS1K_E_NS1_11comp_targetILNS1_3genE3ELNS1_11target_archE908ELNS1_3gpuE7ELNS1_3repE0EEENS1_30default_config_static_selectorELNS0_4arch9wavefront6targetE0EEEvSY_
	.p2align	8
	.type	_ZN7rocprim17ROCPRIM_400000_NS6detail17trampoline_kernelINS0_13select_configILj256ELj13ELNS0_17block_load_methodE3ELS4_3ELS4_3ELNS0_20block_scan_algorithmE0ELj4294967295EEENS1_25partition_config_selectorILNS1_17partition_subalgoE3EjNS0_10empty_typeEbEEZZNS1_14partition_implILS8_3ELb0ES6_jNS0_17counting_iteratorIjlEEPS9_SE_NS0_5tupleIJPjSE_EEENSF_IJSE_SE_EEES9_SG_JZNS1_25segmented_radix_sort_implINS0_14default_configELb0EPKfPfPKlPlN2at6native12_GLOBAL__N_18offset_tEEE10hipError_tPvRmT1_PNSt15iterator_traitsISY_E10value_typeET2_T3_PNSZ_IS14_E10value_typeET4_jRbjT5_S1A_jjP12ihipStream_tbEUljE_EEESV_SW_SX_S14_S18_S1A_T6_T7_T9_mT8_S1C_bDpT10_ENKUlT_T0_E_clISt17integral_constantIbLb1EES1P_EEDaS1K_S1L_EUlS1K_E_NS1_11comp_targetILNS1_3genE3ELNS1_11target_archE908ELNS1_3gpuE7ELNS1_3repE0EEENS1_30default_config_static_selectorELNS0_4arch9wavefront6targetE0EEEvSY_,@function
_ZN7rocprim17ROCPRIM_400000_NS6detail17trampoline_kernelINS0_13select_configILj256ELj13ELNS0_17block_load_methodE3ELS4_3ELS4_3ELNS0_20block_scan_algorithmE0ELj4294967295EEENS1_25partition_config_selectorILNS1_17partition_subalgoE3EjNS0_10empty_typeEbEEZZNS1_14partition_implILS8_3ELb0ES6_jNS0_17counting_iteratorIjlEEPS9_SE_NS0_5tupleIJPjSE_EEENSF_IJSE_SE_EEES9_SG_JZNS1_25segmented_radix_sort_implINS0_14default_configELb0EPKfPfPKlPlN2at6native12_GLOBAL__N_18offset_tEEE10hipError_tPvRmT1_PNSt15iterator_traitsISY_E10value_typeET2_T3_PNSZ_IS14_E10value_typeET4_jRbjT5_S1A_jjP12ihipStream_tbEUljE_EEESV_SW_SX_S14_S18_S1A_T6_T7_T9_mT8_S1C_bDpT10_ENKUlT_T0_E_clISt17integral_constantIbLb1EES1P_EEDaS1K_S1L_EUlS1K_E_NS1_11comp_targetILNS1_3genE3ELNS1_11target_archE908ELNS1_3gpuE7ELNS1_3repE0EEENS1_30default_config_static_selectorELNS0_4arch9wavefront6targetE0EEEvSY_: ; @_ZN7rocprim17ROCPRIM_400000_NS6detail17trampoline_kernelINS0_13select_configILj256ELj13ELNS0_17block_load_methodE3ELS4_3ELS4_3ELNS0_20block_scan_algorithmE0ELj4294967295EEENS1_25partition_config_selectorILNS1_17partition_subalgoE3EjNS0_10empty_typeEbEEZZNS1_14partition_implILS8_3ELb0ES6_jNS0_17counting_iteratorIjlEEPS9_SE_NS0_5tupleIJPjSE_EEENSF_IJSE_SE_EEES9_SG_JZNS1_25segmented_radix_sort_implINS0_14default_configELb0EPKfPfPKlPlN2at6native12_GLOBAL__N_18offset_tEEE10hipError_tPvRmT1_PNSt15iterator_traitsISY_E10value_typeET2_T3_PNSZ_IS14_E10value_typeET4_jRbjT5_S1A_jjP12ihipStream_tbEUljE_EEESV_SW_SX_S14_S18_S1A_T6_T7_T9_mT8_S1C_bDpT10_ENKUlT_T0_E_clISt17integral_constantIbLb1EES1P_EEDaS1K_S1L_EUlS1K_E_NS1_11comp_targetILNS1_3genE3ELNS1_11target_archE908ELNS1_3gpuE7ELNS1_3repE0EEENS1_30default_config_static_selectorELNS0_4arch9wavefront6targetE0EEEvSY_
; %bb.0:
	.section	.rodata,"a",@progbits
	.p2align	6, 0x0
	.amdhsa_kernel _ZN7rocprim17ROCPRIM_400000_NS6detail17trampoline_kernelINS0_13select_configILj256ELj13ELNS0_17block_load_methodE3ELS4_3ELS4_3ELNS0_20block_scan_algorithmE0ELj4294967295EEENS1_25partition_config_selectorILNS1_17partition_subalgoE3EjNS0_10empty_typeEbEEZZNS1_14partition_implILS8_3ELb0ES6_jNS0_17counting_iteratorIjlEEPS9_SE_NS0_5tupleIJPjSE_EEENSF_IJSE_SE_EEES9_SG_JZNS1_25segmented_radix_sort_implINS0_14default_configELb0EPKfPfPKlPlN2at6native12_GLOBAL__N_18offset_tEEE10hipError_tPvRmT1_PNSt15iterator_traitsISY_E10value_typeET2_T3_PNSZ_IS14_E10value_typeET4_jRbjT5_S1A_jjP12ihipStream_tbEUljE_EEESV_SW_SX_S14_S18_S1A_T6_T7_T9_mT8_S1C_bDpT10_ENKUlT_T0_E_clISt17integral_constantIbLb1EES1P_EEDaS1K_S1L_EUlS1K_E_NS1_11comp_targetILNS1_3genE3ELNS1_11target_archE908ELNS1_3gpuE7ELNS1_3repE0EEENS1_30default_config_static_selectorELNS0_4arch9wavefront6targetE0EEEvSY_
		.amdhsa_group_segment_fixed_size 0
		.amdhsa_private_segment_fixed_size 0
		.amdhsa_kernarg_size 152
		.amdhsa_user_sgpr_count 2
		.amdhsa_user_sgpr_dispatch_ptr 0
		.amdhsa_user_sgpr_queue_ptr 0
		.amdhsa_user_sgpr_kernarg_segment_ptr 1
		.amdhsa_user_sgpr_dispatch_id 0
		.amdhsa_user_sgpr_kernarg_preload_length 0
		.amdhsa_user_sgpr_kernarg_preload_offset 0
		.amdhsa_user_sgpr_private_segment_size 0
		.amdhsa_wavefront_size32 1
		.amdhsa_uses_dynamic_stack 0
		.amdhsa_enable_private_segment 0
		.amdhsa_system_sgpr_workgroup_id_x 1
		.amdhsa_system_sgpr_workgroup_id_y 0
		.amdhsa_system_sgpr_workgroup_id_z 0
		.amdhsa_system_sgpr_workgroup_info 0
		.amdhsa_system_vgpr_workitem_id 0
		.amdhsa_next_free_vgpr 1
		.amdhsa_next_free_sgpr 1
		.amdhsa_named_barrier_count 0
		.amdhsa_reserve_vcc 0
		.amdhsa_float_round_mode_32 0
		.amdhsa_float_round_mode_16_64 0
		.amdhsa_float_denorm_mode_32 3
		.amdhsa_float_denorm_mode_16_64 3
		.amdhsa_fp16_overflow 0
		.amdhsa_memory_ordered 1
		.amdhsa_forward_progress 1
		.amdhsa_inst_pref_size 0
		.amdhsa_round_robin_scheduling 0
		.amdhsa_exception_fp_ieee_invalid_op 0
		.amdhsa_exception_fp_denorm_src 0
		.amdhsa_exception_fp_ieee_div_zero 0
		.amdhsa_exception_fp_ieee_overflow 0
		.amdhsa_exception_fp_ieee_underflow 0
		.amdhsa_exception_fp_ieee_inexact 0
		.amdhsa_exception_int_div_zero 0
	.end_amdhsa_kernel
	.section	.text._ZN7rocprim17ROCPRIM_400000_NS6detail17trampoline_kernelINS0_13select_configILj256ELj13ELNS0_17block_load_methodE3ELS4_3ELS4_3ELNS0_20block_scan_algorithmE0ELj4294967295EEENS1_25partition_config_selectorILNS1_17partition_subalgoE3EjNS0_10empty_typeEbEEZZNS1_14partition_implILS8_3ELb0ES6_jNS0_17counting_iteratorIjlEEPS9_SE_NS0_5tupleIJPjSE_EEENSF_IJSE_SE_EEES9_SG_JZNS1_25segmented_radix_sort_implINS0_14default_configELb0EPKfPfPKlPlN2at6native12_GLOBAL__N_18offset_tEEE10hipError_tPvRmT1_PNSt15iterator_traitsISY_E10value_typeET2_T3_PNSZ_IS14_E10value_typeET4_jRbjT5_S1A_jjP12ihipStream_tbEUljE_EEESV_SW_SX_S14_S18_S1A_T6_T7_T9_mT8_S1C_bDpT10_ENKUlT_T0_E_clISt17integral_constantIbLb1EES1P_EEDaS1K_S1L_EUlS1K_E_NS1_11comp_targetILNS1_3genE3ELNS1_11target_archE908ELNS1_3gpuE7ELNS1_3repE0EEENS1_30default_config_static_selectorELNS0_4arch9wavefront6targetE0EEEvSY_,"axG",@progbits,_ZN7rocprim17ROCPRIM_400000_NS6detail17trampoline_kernelINS0_13select_configILj256ELj13ELNS0_17block_load_methodE3ELS4_3ELS4_3ELNS0_20block_scan_algorithmE0ELj4294967295EEENS1_25partition_config_selectorILNS1_17partition_subalgoE3EjNS0_10empty_typeEbEEZZNS1_14partition_implILS8_3ELb0ES6_jNS0_17counting_iteratorIjlEEPS9_SE_NS0_5tupleIJPjSE_EEENSF_IJSE_SE_EEES9_SG_JZNS1_25segmented_radix_sort_implINS0_14default_configELb0EPKfPfPKlPlN2at6native12_GLOBAL__N_18offset_tEEE10hipError_tPvRmT1_PNSt15iterator_traitsISY_E10value_typeET2_T3_PNSZ_IS14_E10value_typeET4_jRbjT5_S1A_jjP12ihipStream_tbEUljE_EEESV_SW_SX_S14_S18_S1A_T6_T7_T9_mT8_S1C_bDpT10_ENKUlT_T0_E_clISt17integral_constantIbLb1EES1P_EEDaS1K_S1L_EUlS1K_E_NS1_11comp_targetILNS1_3genE3ELNS1_11target_archE908ELNS1_3gpuE7ELNS1_3repE0EEENS1_30default_config_static_selectorELNS0_4arch9wavefront6targetE0EEEvSY_,comdat
.Lfunc_end1400:
	.size	_ZN7rocprim17ROCPRIM_400000_NS6detail17trampoline_kernelINS0_13select_configILj256ELj13ELNS0_17block_load_methodE3ELS4_3ELS4_3ELNS0_20block_scan_algorithmE0ELj4294967295EEENS1_25partition_config_selectorILNS1_17partition_subalgoE3EjNS0_10empty_typeEbEEZZNS1_14partition_implILS8_3ELb0ES6_jNS0_17counting_iteratorIjlEEPS9_SE_NS0_5tupleIJPjSE_EEENSF_IJSE_SE_EEES9_SG_JZNS1_25segmented_radix_sort_implINS0_14default_configELb0EPKfPfPKlPlN2at6native12_GLOBAL__N_18offset_tEEE10hipError_tPvRmT1_PNSt15iterator_traitsISY_E10value_typeET2_T3_PNSZ_IS14_E10value_typeET4_jRbjT5_S1A_jjP12ihipStream_tbEUljE_EEESV_SW_SX_S14_S18_S1A_T6_T7_T9_mT8_S1C_bDpT10_ENKUlT_T0_E_clISt17integral_constantIbLb1EES1P_EEDaS1K_S1L_EUlS1K_E_NS1_11comp_targetILNS1_3genE3ELNS1_11target_archE908ELNS1_3gpuE7ELNS1_3repE0EEENS1_30default_config_static_selectorELNS0_4arch9wavefront6targetE0EEEvSY_, .Lfunc_end1400-_ZN7rocprim17ROCPRIM_400000_NS6detail17trampoline_kernelINS0_13select_configILj256ELj13ELNS0_17block_load_methodE3ELS4_3ELS4_3ELNS0_20block_scan_algorithmE0ELj4294967295EEENS1_25partition_config_selectorILNS1_17partition_subalgoE3EjNS0_10empty_typeEbEEZZNS1_14partition_implILS8_3ELb0ES6_jNS0_17counting_iteratorIjlEEPS9_SE_NS0_5tupleIJPjSE_EEENSF_IJSE_SE_EEES9_SG_JZNS1_25segmented_radix_sort_implINS0_14default_configELb0EPKfPfPKlPlN2at6native12_GLOBAL__N_18offset_tEEE10hipError_tPvRmT1_PNSt15iterator_traitsISY_E10value_typeET2_T3_PNSZ_IS14_E10value_typeET4_jRbjT5_S1A_jjP12ihipStream_tbEUljE_EEESV_SW_SX_S14_S18_S1A_T6_T7_T9_mT8_S1C_bDpT10_ENKUlT_T0_E_clISt17integral_constantIbLb1EES1P_EEDaS1K_S1L_EUlS1K_E_NS1_11comp_targetILNS1_3genE3ELNS1_11target_archE908ELNS1_3gpuE7ELNS1_3repE0EEENS1_30default_config_static_selectorELNS0_4arch9wavefront6targetE0EEEvSY_
                                        ; -- End function
	.set _ZN7rocprim17ROCPRIM_400000_NS6detail17trampoline_kernelINS0_13select_configILj256ELj13ELNS0_17block_load_methodE3ELS4_3ELS4_3ELNS0_20block_scan_algorithmE0ELj4294967295EEENS1_25partition_config_selectorILNS1_17partition_subalgoE3EjNS0_10empty_typeEbEEZZNS1_14partition_implILS8_3ELb0ES6_jNS0_17counting_iteratorIjlEEPS9_SE_NS0_5tupleIJPjSE_EEENSF_IJSE_SE_EEES9_SG_JZNS1_25segmented_radix_sort_implINS0_14default_configELb0EPKfPfPKlPlN2at6native12_GLOBAL__N_18offset_tEEE10hipError_tPvRmT1_PNSt15iterator_traitsISY_E10value_typeET2_T3_PNSZ_IS14_E10value_typeET4_jRbjT5_S1A_jjP12ihipStream_tbEUljE_EEESV_SW_SX_S14_S18_S1A_T6_T7_T9_mT8_S1C_bDpT10_ENKUlT_T0_E_clISt17integral_constantIbLb1EES1P_EEDaS1K_S1L_EUlS1K_E_NS1_11comp_targetILNS1_3genE3ELNS1_11target_archE908ELNS1_3gpuE7ELNS1_3repE0EEENS1_30default_config_static_selectorELNS0_4arch9wavefront6targetE0EEEvSY_.num_vgpr, 0
	.set _ZN7rocprim17ROCPRIM_400000_NS6detail17trampoline_kernelINS0_13select_configILj256ELj13ELNS0_17block_load_methodE3ELS4_3ELS4_3ELNS0_20block_scan_algorithmE0ELj4294967295EEENS1_25partition_config_selectorILNS1_17partition_subalgoE3EjNS0_10empty_typeEbEEZZNS1_14partition_implILS8_3ELb0ES6_jNS0_17counting_iteratorIjlEEPS9_SE_NS0_5tupleIJPjSE_EEENSF_IJSE_SE_EEES9_SG_JZNS1_25segmented_radix_sort_implINS0_14default_configELb0EPKfPfPKlPlN2at6native12_GLOBAL__N_18offset_tEEE10hipError_tPvRmT1_PNSt15iterator_traitsISY_E10value_typeET2_T3_PNSZ_IS14_E10value_typeET4_jRbjT5_S1A_jjP12ihipStream_tbEUljE_EEESV_SW_SX_S14_S18_S1A_T6_T7_T9_mT8_S1C_bDpT10_ENKUlT_T0_E_clISt17integral_constantIbLb1EES1P_EEDaS1K_S1L_EUlS1K_E_NS1_11comp_targetILNS1_3genE3ELNS1_11target_archE908ELNS1_3gpuE7ELNS1_3repE0EEENS1_30default_config_static_selectorELNS0_4arch9wavefront6targetE0EEEvSY_.num_agpr, 0
	.set _ZN7rocprim17ROCPRIM_400000_NS6detail17trampoline_kernelINS0_13select_configILj256ELj13ELNS0_17block_load_methodE3ELS4_3ELS4_3ELNS0_20block_scan_algorithmE0ELj4294967295EEENS1_25partition_config_selectorILNS1_17partition_subalgoE3EjNS0_10empty_typeEbEEZZNS1_14partition_implILS8_3ELb0ES6_jNS0_17counting_iteratorIjlEEPS9_SE_NS0_5tupleIJPjSE_EEENSF_IJSE_SE_EEES9_SG_JZNS1_25segmented_radix_sort_implINS0_14default_configELb0EPKfPfPKlPlN2at6native12_GLOBAL__N_18offset_tEEE10hipError_tPvRmT1_PNSt15iterator_traitsISY_E10value_typeET2_T3_PNSZ_IS14_E10value_typeET4_jRbjT5_S1A_jjP12ihipStream_tbEUljE_EEESV_SW_SX_S14_S18_S1A_T6_T7_T9_mT8_S1C_bDpT10_ENKUlT_T0_E_clISt17integral_constantIbLb1EES1P_EEDaS1K_S1L_EUlS1K_E_NS1_11comp_targetILNS1_3genE3ELNS1_11target_archE908ELNS1_3gpuE7ELNS1_3repE0EEENS1_30default_config_static_selectorELNS0_4arch9wavefront6targetE0EEEvSY_.numbered_sgpr, 0
	.set _ZN7rocprim17ROCPRIM_400000_NS6detail17trampoline_kernelINS0_13select_configILj256ELj13ELNS0_17block_load_methodE3ELS4_3ELS4_3ELNS0_20block_scan_algorithmE0ELj4294967295EEENS1_25partition_config_selectorILNS1_17partition_subalgoE3EjNS0_10empty_typeEbEEZZNS1_14partition_implILS8_3ELb0ES6_jNS0_17counting_iteratorIjlEEPS9_SE_NS0_5tupleIJPjSE_EEENSF_IJSE_SE_EEES9_SG_JZNS1_25segmented_radix_sort_implINS0_14default_configELb0EPKfPfPKlPlN2at6native12_GLOBAL__N_18offset_tEEE10hipError_tPvRmT1_PNSt15iterator_traitsISY_E10value_typeET2_T3_PNSZ_IS14_E10value_typeET4_jRbjT5_S1A_jjP12ihipStream_tbEUljE_EEESV_SW_SX_S14_S18_S1A_T6_T7_T9_mT8_S1C_bDpT10_ENKUlT_T0_E_clISt17integral_constantIbLb1EES1P_EEDaS1K_S1L_EUlS1K_E_NS1_11comp_targetILNS1_3genE3ELNS1_11target_archE908ELNS1_3gpuE7ELNS1_3repE0EEENS1_30default_config_static_selectorELNS0_4arch9wavefront6targetE0EEEvSY_.num_named_barrier, 0
	.set _ZN7rocprim17ROCPRIM_400000_NS6detail17trampoline_kernelINS0_13select_configILj256ELj13ELNS0_17block_load_methodE3ELS4_3ELS4_3ELNS0_20block_scan_algorithmE0ELj4294967295EEENS1_25partition_config_selectorILNS1_17partition_subalgoE3EjNS0_10empty_typeEbEEZZNS1_14partition_implILS8_3ELb0ES6_jNS0_17counting_iteratorIjlEEPS9_SE_NS0_5tupleIJPjSE_EEENSF_IJSE_SE_EEES9_SG_JZNS1_25segmented_radix_sort_implINS0_14default_configELb0EPKfPfPKlPlN2at6native12_GLOBAL__N_18offset_tEEE10hipError_tPvRmT1_PNSt15iterator_traitsISY_E10value_typeET2_T3_PNSZ_IS14_E10value_typeET4_jRbjT5_S1A_jjP12ihipStream_tbEUljE_EEESV_SW_SX_S14_S18_S1A_T6_T7_T9_mT8_S1C_bDpT10_ENKUlT_T0_E_clISt17integral_constantIbLb1EES1P_EEDaS1K_S1L_EUlS1K_E_NS1_11comp_targetILNS1_3genE3ELNS1_11target_archE908ELNS1_3gpuE7ELNS1_3repE0EEENS1_30default_config_static_selectorELNS0_4arch9wavefront6targetE0EEEvSY_.private_seg_size, 0
	.set _ZN7rocprim17ROCPRIM_400000_NS6detail17trampoline_kernelINS0_13select_configILj256ELj13ELNS0_17block_load_methodE3ELS4_3ELS4_3ELNS0_20block_scan_algorithmE0ELj4294967295EEENS1_25partition_config_selectorILNS1_17partition_subalgoE3EjNS0_10empty_typeEbEEZZNS1_14partition_implILS8_3ELb0ES6_jNS0_17counting_iteratorIjlEEPS9_SE_NS0_5tupleIJPjSE_EEENSF_IJSE_SE_EEES9_SG_JZNS1_25segmented_radix_sort_implINS0_14default_configELb0EPKfPfPKlPlN2at6native12_GLOBAL__N_18offset_tEEE10hipError_tPvRmT1_PNSt15iterator_traitsISY_E10value_typeET2_T3_PNSZ_IS14_E10value_typeET4_jRbjT5_S1A_jjP12ihipStream_tbEUljE_EEESV_SW_SX_S14_S18_S1A_T6_T7_T9_mT8_S1C_bDpT10_ENKUlT_T0_E_clISt17integral_constantIbLb1EES1P_EEDaS1K_S1L_EUlS1K_E_NS1_11comp_targetILNS1_3genE3ELNS1_11target_archE908ELNS1_3gpuE7ELNS1_3repE0EEENS1_30default_config_static_selectorELNS0_4arch9wavefront6targetE0EEEvSY_.uses_vcc, 0
	.set _ZN7rocprim17ROCPRIM_400000_NS6detail17trampoline_kernelINS0_13select_configILj256ELj13ELNS0_17block_load_methodE3ELS4_3ELS4_3ELNS0_20block_scan_algorithmE0ELj4294967295EEENS1_25partition_config_selectorILNS1_17partition_subalgoE3EjNS0_10empty_typeEbEEZZNS1_14partition_implILS8_3ELb0ES6_jNS0_17counting_iteratorIjlEEPS9_SE_NS0_5tupleIJPjSE_EEENSF_IJSE_SE_EEES9_SG_JZNS1_25segmented_radix_sort_implINS0_14default_configELb0EPKfPfPKlPlN2at6native12_GLOBAL__N_18offset_tEEE10hipError_tPvRmT1_PNSt15iterator_traitsISY_E10value_typeET2_T3_PNSZ_IS14_E10value_typeET4_jRbjT5_S1A_jjP12ihipStream_tbEUljE_EEESV_SW_SX_S14_S18_S1A_T6_T7_T9_mT8_S1C_bDpT10_ENKUlT_T0_E_clISt17integral_constantIbLb1EES1P_EEDaS1K_S1L_EUlS1K_E_NS1_11comp_targetILNS1_3genE3ELNS1_11target_archE908ELNS1_3gpuE7ELNS1_3repE0EEENS1_30default_config_static_selectorELNS0_4arch9wavefront6targetE0EEEvSY_.uses_flat_scratch, 0
	.set _ZN7rocprim17ROCPRIM_400000_NS6detail17trampoline_kernelINS0_13select_configILj256ELj13ELNS0_17block_load_methodE3ELS4_3ELS4_3ELNS0_20block_scan_algorithmE0ELj4294967295EEENS1_25partition_config_selectorILNS1_17partition_subalgoE3EjNS0_10empty_typeEbEEZZNS1_14partition_implILS8_3ELb0ES6_jNS0_17counting_iteratorIjlEEPS9_SE_NS0_5tupleIJPjSE_EEENSF_IJSE_SE_EEES9_SG_JZNS1_25segmented_radix_sort_implINS0_14default_configELb0EPKfPfPKlPlN2at6native12_GLOBAL__N_18offset_tEEE10hipError_tPvRmT1_PNSt15iterator_traitsISY_E10value_typeET2_T3_PNSZ_IS14_E10value_typeET4_jRbjT5_S1A_jjP12ihipStream_tbEUljE_EEESV_SW_SX_S14_S18_S1A_T6_T7_T9_mT8_S1C_bDpT10_ENKUlT_T0_E_clISt17integral_constantIbLb1EES1P_EEDaS1K_S1L_EUlS1K_E_NS1_11comp_targetILNS1_3genE3ELNS1_11target_archE908ELNS1_3gpuE7ELNS1_3repE0EEENS1_30default_config_static_selectorELNS0_4arch9wavefront6targetE0EEEvSY_.has_dyn_sized_stack, 0
	.set _ZN7rocprim17ROCPRIM_400000_NS6detail17trampoline_kernelINS0_13select_configILj256ELj13ELNS0_17block_load_methodE3ELS4_3ELS4_3ELNS0_20block_scan_algorithmE0ELj4294967295EEENS1_25partition_config_selectorILNS1_17partition_subalgoE3EjNS0_10empty_typeEbEEZZNS1_14partition_implILS8_3ELb0ES6_jNS0_17counting_iteratorIjlEEPS9_SE_NS0_5tupleIJPjSE_EEENSF_IJSE_SE_EEES9_SG_JZNS1_25segmented_radix_sort_implINS0_14default_configELb0EPKfPfPKlPlN2at6native12_GLOBAL__N_18offset_tEEE10hipError_tPvRmT1_PNSt15iterator_traitsISY_E10value_typeET2_T3_PNSZ_IS14_E10value_typeET4_jRbjT5_S1A_jjP12ihipStream_tbEUljE_EEESV_SW_SX_S14_S18_S1A_T6_T7_T9_mT8_S1C_bDpT10_ENKUlT_T0_E_clISt17integral_constantIbLb1EES1P_EEDaS1K_S1L_EUlS1K_E_NS1_11comp_targetILNS1_3genE3ELNS1_11target_archE908ELNS1_3gpuE7ELNS1_3repE0EEENS1_30default_config_static_selectorELNS0_4arch9wavefront6targetE0EEEvSY_.has_recursion, 0
	.set _ZN7rocprim17ROCPRIM_400000_NS6detail17trampoline_kernelINS0_13select_configILj256ELj13ELNS0_17block_load_methodE3ELS4_3ELS4_3ELNS0_20block_scan_algorithmE0ELj4294967295EEENS1_25partition_config_selectorILNS1_17partition_subalgoE3EjNS0_10empty_typeEbEEZZNS1_14partition_implILS8_3ELb0ES6_jNS0_17counting_iteratorIjlEEPS9_SE_NS0_5tupleIJPjSE_EEENSF_IJSE_SE_EEES9_SG_JZNS1_25segmented_radix_sort_implINS0_14default_configELb0EPKfPfPKlPlN2at6native12_GLOBAL__N_18offset_tEEE10hipError_tPvRmT1_PNSt15iterator_traitsISY_E10value_typeET2_T3_PNSZ_IS14_E10value_typeET4_jRbjT5_S1A_jjP12ihipStream_tbEUljE_EEESV_SW_SX_S14_S18_S1A_T6_T7_T9_mT8_S1C_bDpT10_ENKUlT_T0_E_clISt17integral_constantIbLb1EES1P_EEDaS1K_S1L_EUlS1K_E_NS1_11comp_targetILNS1_3genE3ELNS1_11target_archE908ELNS1_3gpuE7ELNS1_3repE0EEENS1_30default_config_static_selectorELNS0_4arch9wavefront6targetE0EEEvSY_.has_indirect_call, 0
	.section	.AMDGPU.csdata,"",@progbits
; Kernel info:
; codeLenInByte = 0
; TotalNumSgprs: 0
; NumVgprs: 0
; ScratchSize: 0
; MemoryBound: 0
; FloatMode: 240
; IeeeMode: 1
; LDSByteSize: 0 bytes/workgroup (compile time only)
; SGPRBlocks: 0
; VGPRBlocks: 0
; NumSGPRsForWavesPerEU: 1
; NumVGPRsForWavesPerEU: 1
; NamedBarCnt: 0
; Occupancy: 16
; WaveLimiterHint : 0
; COMPUTE_PGM_RSRC2:SCRATCH_EN: 0
; COMPUTE_PGM_RSRC2:USER_SGPR: 2
; COMPUTE_PGM_RSRC2:TRAP_HANDLER: 0
; COMPUTE_PGM_RSRC2:TGID_X_EN: 1
; COMPUTE_PGM_RSRC2:TGID_Y_EN: 0
; COMPUTE_PGM_RSRC2:TGID_Z_EN: 0
; COMPUTE_PGM_RSRC2:TIDIG_COMP_CNT: 0
	.section	.text._ZN7rocprim17ROCPRIM_400000_NS6detail17trampoline_kernelINS0_13select_configILj256ELj13ELNS0_17block_load_methodE3ELS4_3ELS4_3ELNS0_20block_scan_algorithmE0ELj4294967295EEENS1_25partition_config_selectorILNS1_17partition_subalgoE3EjNS0_10empty_typeEbEEZZNS1_14partition_implILS8_3ELb0ES6_jNS0_17counting_iteratorIjlEEPS9_SE_NS0_5tupleIJPjSE_EEENSF_IJSE_SE_EEES9_SG_JZNS1_25segmented_radix_sort_implINS0_14default_configELb0EPKfPfPKlPlN2at6native12_GLOBAL__N_18offset_tEEE10hipError_tPvRmT1_PNSt15iterator_traitsISY_E10value_typeET2_T3_PNSZ_IS14_E10value_typeET4_jRbjT5_S1A_jjP12ihipStream_tbEUljE_EEESV_SW_SX_S14_S18_S1A_T6_T7_T9_mT8_S1C_bDpT10_ENKUlT_T0_E_clISt17integral_constantIbLb1EES1P_EEDaS1K_S1L_EUlS1K_E_NS1_11comp_targetILNS1_3genE2ELNS1_11target_archE906ELNS1_3gpuE6ELNS1_3repE0EEENS1_30default_config_static_selectorELNS0_4arch9wavefront6targetE0EEEvSY_,"axG",@progbits,_ZN7rocprim17ROCPRIM_400000_NS6detail17trampoline_kernelINS0_13select_configILj256ELj13ELNS0_17block_load_methodE3ELS4_3ELS4_3ELNS0_20block_scan_algorithmE0ELj4294967295EEENS1_25partition_config_selectorILNS1_17partition_subalgoE3EjNS0_10empty_typeEbEEZZNS1_14partition_implILS8_3ELb0ES6_jNS0_17counting_iteratorIjlEEPS9_SE_NS0_5tupleIJPjSE_EEENSF_IJSE_SE_EEES9_SG_JZNS1_25segmented_radix_sort_implINS0_14default_configELb0EPKfPfPKlPlN2at6native12_GLOBAL__N_18offset_tEEE10hipError_tPvRmT1_PNSt15iterator_traitsISY_E10value_typeET2_T3_PNSZ_IS14_E10value_typeET4_jRbjT5_S1A_jjP12ihipStream_tbEUljE_EEESV_SW_SX_S14_S18_S1A_T6_T7_T9_mT8_S1C_bDpT10_ENKUlT_T0_E_clISt17integral_constantIbLb1EES1P_EEDaS1K_S1L_EUlS1K_E_NS1_11comp_targetILNS1_3genE2ELNS1_11target_archE906ELNS1_3gpuE6ELNS1_3repE0EEENS1_30default_config_static_selectorELNS0_4arch9wavefront6targetE0EEEvSY_,comdat
	.globl	_ZN7rocprim17ROCPRIM_400000_NS6detail17trampoline_kernelINS0_13select_configILj256ELj13ELNS0_17block_load_methodE3ELS4_3ELS4_3ELNS0_20block_scan_algorithmE0ELj4294967295EEENS1_25partition_config_selectorILNS1_17partition_subalgoE3EjNS0_10empty_typeEbEEZZNS1_14partition_implILS8_3ELb0ES6_jNS0_17counting_iteratorIjlEEPS9_SE_NS0_5tupleIJPjSE_EEENSF_IJSE_SE_EEES9_SG_JZNS1_25segmented_radix_sort_implINS0_14default_configELb0EPKfPfPKlPlN2at6native12_GLOBAL__N_18offset_tEEE10hipError_tPvRmT1_PNSt15iterator_traitsISY_E10value_typeET2_T3_PNSZ_IS14_E10value_typeET4_jRbjT5_S1A_jjP12ihipStream_tbEUljE_EEESV_SW_SX_S14_S18_S1A_T6_T7_T9_mT8_S1C_bDpT10_ENKUlT_T0_E_clISt17integral_constantIbLb1EES1P_EEDaS1K_S1L_EUlS1K_E_NS1_11comp_targetILNS1_3genE2ELNS1_11target_archE906ELNS1_3gpuE6ELNS1_3repE0EEENS1_30default_config_static_selectorELNS0_4arch9wavefront6targetE0EEEvSY_ ; -- Begin function _ZN7rocprim17ROCPRIM_400000_NS6detail17trampoline_kernelINS0_13select_configILj256ELj13ELNS0_17block_load_methodE3ELS4_3ELS4_3ELNS0_20block_scan_algorithmE0ELj4294967295EEENS1_25partition_config_selectorILNS1_17partition_subalgoE3EjNS0_10empty_typeEbEEZZNS1_14partition_implILS8_3ELb0ES6_jNS0_17counting_iteratorIjlEEPS9_SE_NS0_5tupleIJPjSE_EEENSF_IJSE_SE_EEES9_SG_JZNS1_25segmented_radix_sort_implINS0_14default_configELb0EPKfPfPKlPlN2at6native12_GLOBAL__N_18offset_tEEE10hipError_tPvRmT1_PNSt15iterator_traitsISY_E10value_typeET2_T3_PNSZ_IS14_E10value_typeET4_jRbjT5_S1A_jjP12ihipStream_tbEUljE_EEESV_SW_SX_S14_S18_S1A_T6_T7_T9_mT8_S1C_bDpT10_ENKUlT_T0_E_clISt17integral_constantIbLb1EES1P_EEDaS1K_S1L_EUlS1K_E_NS1_11comp_targetILNS1_3genE2ELNS1_11target_archE906ELNS1_3gpuE6ELNS1_3repE0EEENS1_30default_config_static_selectorELNS0_4arch9wavefront6targetE0EEEvSY_
	.p2align	8
	.type	_ZN7rocprim17ROCPRIM_400000_NS6detail17trampoline_kernelINS0_13select_configILj256ELj13ELNS0_17block_load_methodE3ELS4_3ELS4_3ELNS0_20block_scan_algorithmE0ELj4294967295EEENS1_25partition_config_selectorILNS1_17partition_subalgoE3EjNS0_10empty_typeEbEEZZNS1_14partition_implILS8_3ELb0ES6_jNS0_17counting_iteratorIjlEEPS9_SE_NS0_5tupleIJPjSE_EEENSF_IJSE_SE_EEES9_SG_JZNS1_25segmented_radix_sort_implINS0_14default_configELb0EPKfPfPKlPlN2at6native12_GLOBAL__N_18offset_tEEE10hipError_tPvRmT1_PNSt15iterator_traitsISY_E10value_typeET2_T3_PNSZ_IS14_E10value_typeET4_jRbjT5_S1A_jjP12ihipStream_tbEUljE_EEESV_SW_SX_S14_S18_S1A_T6_T7_T9_mT8_S1C_bDpT10_ENKUlT_T0_E_clISt17integral_constantIbLb1EES1P_EEDaS1K_S1L_EUlS1K_E_NS1_11comp_targetILNS1_3genE2ELNS1_11target_archE906ELNS1_3gpuE6ELNS1_3repE0EEENS1_30default_config_static_selectorELNS0_4arch9wavefront6targetE0EEEvSY_,@function
_ZN7rocprim17ROCPRIM_400000_NS6detail17trampoline_kernelINS0_13select_configILj256ELj13ELNS0_17block_load_methodE3ELS4_3ELS4_3ELNS0_20block_scan_algorithmE0ELj4294967295EEENS1_25partition_config_selectorILNS1_17partition_subalgoE3EjNS0_10empty_typeEbEEZZNS1_14partition_implILS8_3ELb0ES6_jNS0_17counting_iteratorIjlEEPS9_SE_NS0_5tupleIJPjSE_EEENSF_IJSE_SE_EEES9_SG_JZNS1_25segmented_radix_sort_implINS0_14default_configELb0EPKfPfPKlPlN2at6native12_GLOBAL__N_18offset_tEEE10hipError_tPvRmT1_PNSt15iterator_traitsISY_E10value_typeET2_T3_PNSZ_IS14_E10value_typeET4_jRbjT5_S1A_jjP12ihipStream_tbEUljE_EEESV_SW_SX_S14_S18_S1A_T6_T7_T9_mT8_S1C_bDpT10_ENKUlT_T0_E_clISt17integral_constantIbLb1EES1P_EEDaS1K_S1L_EUlS1K_E_NS1_11comp_targetILNS1_3genE2ELNS1_11target_archE906ELNS1_3gpuE6ELNS1_3repE0EEENS1_30default_config_static_selectorELNS0_4arch9wavefront6targetE0EEEvSY_: ; @_ZN7rocprim17ROCPRIM_400000_NS6detail17trampoline_kernelINS0_13select_configILj256ELj13ELNS0_17block_load_methodE3ELS4_3ELS4_3ELNS0_20block_scan_algorithmE0ELj4294967295EEENS1_25partition_config_selectorILNS1_17partition_subalgoE3EjNS0_10empty_typeEbEEZZNS1_14partition_implILS8_3ELb0ES6_jNS0_17counting_iteratorIjlEEPS9_SE_NS0_5tupleIJPjSE_EEENSF_IJSE_SE_EEES9_SG_JZNS1_25segmented_radix_sort_implINS0_14default_configELb0EPKfPfPKlPlN2at6native12_GLOBAL__N_18offset_tEEE10hipError_tPvRmT1_PNSt15iterator_traitsISY_E10value_typeET2_T3_PNSZ_IS14_E10value_typeET4_jRbjT5_S1A_jjP12ihipStream_tbEUljE_EEESV_SW_SX_S14_S18_S1A_T6_T7_T9_mT8_S1C_bDpT10_ENKUlT_T0_E_clISt17integral_constantIbLb1EES1P_EEDaS1K_S1L_EUlS1K_E_NS1_11comp_targetILNS1_3genE2ELNS1_11target_archE906ELNS1_3gpuE6ELNS1_3repE0EEENS1_30default_config_static_selectorELNS0_4arch9wavefront6targetE0EEEvSY_
; %bb.0:
	.section	.rodata,"a",@progbits
	.p2align	6, 0x0
	.amdhsa_kernel _ZN7rocprim17ROCPRIM_400000_NS6detail17trampoline_kernelINS0_13select_configILj256ELj13ELNS0_17block_load_methodE3ELS4_3ELS4_3ELNS0_20block_scan_algorithmE0ELj4294967295EEENS1_25partition_config_selectorILNS1_17partition_subalgoE3EjNS0_10empty_typeEbEEZZNS1_14partition_implILS8_3ELb0ES6_jNS0_17counting_iteratorIjlEEPS9_SE_NS0_5tupleIJPjSE_EEENSF_IJSE_SE_EEES9_SG_JZNS1_25segmented_radix_sort_implINS0_14default_configELb0EPKfPfPKlPlN2at6native12_GLOBAL__N_18offset_tEEE10hipError_tPvRmT1_PNSt15iterator_traitsISY_E10value_typeET2_T3_PNSZ_IS14_E10value_typeET4_jRbjT5_S1A_jjP12ihipStream_tbEUljE_EEESV_SW_SX_S14_S18_S1A_T6_T7_T9_mT8_S1C_bDpT10_ENKUlT_T0_E_clISt17integral_constantIbLb1EES1P_EEDaS1K_S1L_EUlS1K_E_NS1_11comp_targetILNS1_3genE2ELNS1_11target_archE906ELNS1_3gpuE6ELNS1_3repE0EEENS1_30default_config_static_selectorELNS0_4arch9wavefront6targetE0EEEvSY_
		.amdhsa_group_segment_fixed_size 0
		.amdhsa_private_segment_fixed_size 0
		.amdhsa_kernarg_size 152
		.amdhsa_user_sgpr_count 2
		.amdhsa_user_sgpr_dispatch_ptr 0
		.amdhsa_user_sgpr_queue_ptr 0
		.amdhsa_user_sgpr_kernarg_segment_ptr 1
		.amdhsa_user_sgpr_dispatch_id 0
		.amdhsa_user_sgpr_kernarg_preload_length 0
		.amdhsa_user_sgpr_kernarg_preload_offset 0
		.amdhsa_user_sgpr_private_segment_size 0
		.amdhsa_wavefront_size32 1
		.amdhsa_uses_dynamic_stack 0
		.amdhsa_enable_private_segment 0
		.amdhsa_system_sgpr_workgroup_id_x 1
		.amdhsa_system_sgpr_workgroup_id_y 0
		.amdhsa_system_sgpr_workgroup_id_z 0
		.amdhsa_system_sgpr_workgroup_info 0
		.amdhsa_system_vgpr_workitem_id 0
		.amdhsa_next_free_vgpr 1
		.amdhsa_next_free_sgpr 1
		.amdhsa_named_barrier_count 0
		.amdhsa_reserve_vcc 0
		.amdhsa_float_round_mode_32 0
		.amdhsa_float_round_mode_16_64 0
		.amdhsa_float_denorm_mode_32 3
		.amdhsa_float_denorm_mode_16_64 3
		.amdhsa_fp16_overflow 0
		.amdhsa_memory_ordered 1
		.amdhsa_forward_progress 1
		.amdhsa_inst_pref_size 0
		.amdhsa_round_robin_scheduling 0
		.amdhsa_exception_fp_ieee_invalid_op 0
		.amdhsa_exception_fp_denorm_src 0
		.amdhsa_exception_fp_ieee_div_zero 0
		.amdhsa_exception_fp_ieee_overflow 0
		.amdhsa_exception_fp_ieee_underflow 0
		.amdhsa_exception_fp_ieee_inexact 0
		.amdhsa_exception_int_div_zero 0
	.end_amdhsa_kernel
	.section	.text._ZN7rocprim17ROCPRIM_400000_NS6detail17trampoline_kernelINS0_13select_configILj256ELj13ELNS0_17block_load_methodE3ELS4_3ELS4_3ELNS0_20block_scan_algorithmE0ELj4294967295EEENS1_25partition_config_selectorILNS1_17partition_subalgoE3EjNS0_10empty_typeEbEEZZNS1_14partition_implILS8_3ELb0ES6_jNS0_17counting_iteratorIjlEEPS9_SE_NS0_5tupleIJPjSE_EEENSF_IJSE_SE_EEES9_SG_JZNS1_25segmented_radix_sort_implINS0_14default_configELb0EPKfPfPKlPlN2at6native12_GLOBAL__N_18offset_tEEE10hipError_tPvRmT1_PNSt15iterator_traitsISY_E10value_typeET2_T3_PNSZ_IS14_E10value_typeET4_jRbjT5_S1A_jjP12ihipStream_tbEUljE_EEESV_SW_SX_S14_S18_S1A_T6_T7_T9_mT8_S1C_bDpT10_ENKUlT_T0_E_clISt17integral_constantIbLb1EES1P_EEDaS1K_S1L_EUlS1K_E_NS1_11comp_targetILNS1_3genE2ELNS1_11target_archE906ELNS1_3gpuE6ELNS1_3repE0EEENS1_30default_config_static_selectorELNS0_4arch9wavefront6targetE0EEEvSY_,"axG",@progbits,_ZN7rocprim17ROCPRIM_400000_NS6detail17trampoline_kernelINS0_13select_configILj256ELj13ELNS0_17block_load_methodE3ELS4_3ELS4_3ELNS0_20block_scan_algorithmE0ELj4294967295EEENS1_25partition_config_selectorILNS1_17partition_subalgoE3EjNS0_10empty_typeEbEEZZNS1_14partition_implILS8_3ELb0ES6_jNS0_17counting_iteratorIjlEEPS9_SE_NS0_5tupleIJPjSE_EEENSF_IJSE_SE_EEES9_SG_JZNS1_25segmented_radix_sort_implINS0_14default_configELb0EPKfPfPKlPlN2at6native12_GLOBAL__N_18offset_tEEE10hipError_tPvRmT1_PNSt15iterator_traitsISY_E10value_typeET2_T3_PNSZ_IS14_E10value_typeET4_jRbjT5_S1A_jjP12ihipStream_tbEUljE_EEESV_SW_SX_S14_S18_S1A_T6_T7_T9_mT8_S1C_bDpT10_ENKUlT_T0_E_clISt17integral_constantIbLb1EES1P_EEDaS1K_S1L_EUlS1K_E_NS1_11comp_targetILNS1_3genE2ELNS1_11target_archE906ELNS1_3gpuE6ELNS1_3repE0EEENS1_30default_config_static_selectorELNS0_4arch9wavefront6targetE0EEEvSY_,comdat
.Lfunc_end1401:
	.size	_ZN7rocprim17ROCPRIM_400000_NS6detail17trampoline_kernelINS0_13select_configILj256ELj13ELNS0_17block_load_methodE3ELS4_3ELS4_3ELNS0_20block_scan_algorithmE0ELj4294967295EEENS1_25partition_config_selectorILNS1_17partition_subalgoE3EjNS0_10empty_typeEbEEZZNS1_14partition_implILS8_3ELb0ES6_jNS0_17counting_iteratorIjlEEPS9_SE_NS0_5tupleIJPjSE_EEENSF_IJSE_SE_EEES9_SG_JZNS1_25segmented_radix_sort_implINS0_14default_configELb0EPKfPfPKlPlN2at6native12_GLOBAL__N_18offset_tEEE10hipError_tPvRmT1_PNSt15iterator_traitsISY_E10value_typeET2_T3_PNSZ_IS14_E10value_typeET4_jRbjT5_S1A_jjP12ihipStream_tbEUljE_EEESV_SW_SX_S14_S18_S1A_T6_T7_T9_mT8_S1C_bDpT10_ENKUlT_T0_E_clISt17integral_constantIbLb1EES1P_EEDaS1K_S1L_EUlS1K_E_NS1_11comp_targetILNS1_3genE2ELNS1_11target_archE906ELNS1_3gpuE6ELNS1_3repE0EEENS1_30default_config_static_selectorELNS0_4arch9wavefront6targetE0EEEvSY_, .Lfunc_end1401-_ZN7rocprim17ROCPRIM_400000_NS6detail17trampoline_kernelINS0_13select_configILj256ELj13ELNS0_17block_load_methodE3ELS4_3ELS4_3ELNS0_20block_scan_algorithmE0ELj4294967295EEENS1_25partition_config_selectorILNS1_17partition_subalgoE3EjNS0_10empty_typeEbEEZZNS1_14partition_implILS8_3ELb0ES6_jNS0_17counting_iteratorIjlEEPS9_SE_NS0_5tupleIJPjSE_EEENSF_IJSE_SE_EEES9_SG_JZNS1_25segmented_radix_sort_implINS0_14default_configELb0EPKfPfPKlPlN2at6native12_GLOBAL__N_18offset_tEEE10hipError_tPvRmT1_PNSt15iterator_traitsISY_E10value_typeET2_T3_PNSZ_IS14_E10value_typeET4_jRbjT5_S1A_jjP12ihipStream_tbEUljE_EEESV_SW_SX_S14_S18_S1A_T6_T7_T9_mT8_S1C_bDpT10_ENKUlT_T0_E_clISt17integral_constantIbLb1EES1P_EEDaS1K_S1L_EUlS1K_E_NS1_11comp_targetILNS1_3genE2ELNS1_11target_archE906ELNS1_3gpuE6ELNS1_3repE0EEENS1_30default_config_static_selectorELNS0_4arch9wavefront6targetE0EEEvSY_
                                        ; -- End function
	.set _ZN7rocprim17ROCPRIM_400000_NS6detail17trampoline_kernelINS0_13select_configILj256ELj13ELNS0_17block_load_methodE3ELS4_3ELS4_3ELNS0_20block_scan_algorithmE0ELj4294967295EEENS1_25partition_config_selectorILNS1_17partition_subalgoE3EjNS0_10empty_typeEbEEZZNS1_14partition_implILS8_3ELb0ES6_jNS0_17counting_iteratorIjlEEPS9_SE_NS0_5tupleIJPjSE_EEENSF_IJSE_SE_EEES9_SG_JZNS1_25segmented_radix_sort_implINS0_14default_configELb0EPKfPfPKlPlN2at6native12_GLOBAL__N_18offset_tEEE10hipError_tPvRmT1_PNSt15iterator_traitsISY_E10value_typeET2_T3_PNSZ_IS14_E10value_typeET4_jRbjT5_S1A_jjP12ihipStream_tbEUljE_EEESV_SW_SX_S14_S18_S1A_T6_T7_T9_mT8_S1C_bDpT10_ENKUlT_T0_E_clISt17integral_constantIbLb1EES1P_EEDaS1K_S1L_EUlS1K_E_NS1_11comp_targetILNS1_3genE2ELNS1_11target_archE906ELNS1_3gpuE6ELNS1_3repE0EEENS1_30default_config_static_selectorELNS0_4arch9wavefront6targetE0EEEvSY_.num_vgpr, 0
	.set _ZN7rocprim17ROCPRIM_400000_NS6detail17trampoline_kernelINS0_13select_configILj256ELj13ELNS0_17block_load_methodE3ELS4_3ELS4_3ELNS0_20block_scan_algorithmE0ELj4294967295EEENS1_25partition_config_selectorILNS1_17partition_subalgoE3EjNS0_10empty_typeEbEEZZNS1_14partition_implILS8_3ELb0ES6_jNS0_17counting_iteratorIjlEEPS9_SE_NS0_5tupleIJPjSE_EEENSF_IJSE_SE_EEES9_SG_JZNS1_25segmented_radix_sort_implINS0_14default_configELb0EPKfPfPKlPlN2at6native12_GLOBAL__N_18offset_tEEE10hipError_tPvRmT1_PNSt15iterator_traitsISY_E10value_typeET2_T3_PNSZ_IS14_E10value_typeET4_jRbjT5_S1A_jjP12ihipStream_tbEUljE_EEESV_SW_SX_S14_S18_S1A_T6_T7_T9_mT8_S1C_bDpT10_ENKUlT_T0_E_clISt17integral_constantIbLb1EES1P_EEDaS1K_S1L_EUlS1K_E_NS1_11comp_targetILNS1_3genE2ELNS1_11target_archE906ELNS1_3gpuE6ELNS1_3repE0EEENS1_30default_config_static_selectorELNS0_4arch9wavefront6targetE0EEEvSY_.num_agpr, 0
	.set _ZN7rocprim17ROCPRIM_400000_NS6detail17trampoline_kernelINS0_13select_configILj256ELj13ELNS0_17block_load_methodE3ELS4_3ELS4_3ELNS0_20block_scan_algorithmE0ELj4294967295EEENS1_25partition_config_selectorILNS1_17partition_subalgoE3EjNS0_10empty_typeEbEEZZNS1_14partition_implILS8_3ELb0ES6_jNS0_17counting_iteratorIjlEEPS9_SE_NS0_5tupleIJPjSE_EEENSF_IJSE_SE_EEES9_SG_JZNS1_25segmented_radix_sort_implINS0_14default_configELb0EPKfPfPKlPlN2at6native12_GLOBAL__N_18offset_tEEE10hipError_tPvRmT1_PNSt15iterator_traitsISY_E10value_typeET2_T3_PNSZ_IS14_E10value_typeET4_jRbjT5_S1A_jjP12ihipStream_tbEUljE_EEESV_SW_SX_S14_S18_S1A_T6_T7_T9_mT8_S1C_bDpT10_ENKUlT_T0_E_clISt17integral_constantIbLb1EES1P_EEDaS1K_S1L_EUlS1K_E_NS1_11comp_targetILNS1_3genE2ELNS1_11target_archE906ELNS1_3gpuE6ELNS1_3repE0EEENS1_30default_config_static_selectorELNS0_4arch9wavefront6targetE0EEEvSY_.numbered_sgpr, 0
	.set _ZN7rocprim17ROCPRIM_400000_NS6detail17trampoline_kernelINS0_13select_configILj256ELj13ELNS0_17block_load_methodE3ELS4_3ELS4_3ELNS0_20block_scan_algorithmE0ELj4294967295EEENS1_25partition_config_selectorILNS1_17partition_subalgoE3EjNS0_10empty_typeEbEEZZNS1_14partition_implILS8_3ELb0ES6_jNS0_17counting_iteratorIjlEEPS9_SE_NS0_5tupleIJPjSE_EEENSF_IJSE_SE_EEES9_SG_JZNS1_25segmented_radix_sort_implINS0_14default_configELb0EPKfPfPKlPlN2at6native12_GLOBAL__N_18offset_tEEE10hipError_tPvRmT1_PNSt15iterator_traitsISY_E10value_typeET2_T3_PNSZ_IS14_E10value_typeET4_jRbjT5_S1A_jjP12ihipStream_tbEUljE_EEESV_SW_SX_S14_S18_S1A_T6_T7_T9_mT8_S1C_bDpT10_ENKUlT_T0_E_clISt17integral_constantIbLb1EES1P_EEDaS1K_S1L_EUlS1K_E_NS1_11comp_targetILNS1_3genE2ELNS1_11target_archE906ELNS1_3gpuE6ELNS1_3repE0EEENS1_30default_config_static_selectorELNS0_4arch9wavefront6targetE0EEEvSY_.num_named_barrier, 0
	.set _ZN7rocprim17ROCPRIM_400000_NS6detail17trampoline_kernelINS0_13select_configILj256ELj13ELNS0_17block_load_methodE3ELS4_3ELS4_3ELNS0_20block_scan_algorithmE0ELj4294967295EEENS1_25partition_config_selectorILNS1_17partition_subalgoE3EjNS0_10empty_typeEbEEZZNS1_14partition_implILS8_3ELb0ES6_jNS0_17counting_iteratorIjlEEPS9_SE_NS0_5tupleIJPjSE_EEENSF_IJSE_SE_EEES9_SG_JZNS1_25segmented_radix_sort_implINS0_14default_configELb0EPKfPfPKlPlN2at6native12_GLOBAL__N_18offset_tEEE10hipError_tPvRmT1_PNSt15iterator_traitsISY_E10value_typeET2_T3_PNSZ_IS14_E10value_typeET4_jRbjT5_S1A_jjP12ihipStream_tbEUljE_EEESV_SW_SX_S14_S18_S1A_T6_T7_T9_mT8_S1C_bDpT10_ENKUlT_T0_E_clISt17integral_constantIbLb1EES1P_EEDaS1K_S1L_EUlS1K_E_NS1_11comp_targetILNS1_3genE2ELNS1_11target_archE906ELNS1_3gpuE6ELNS1_3repE0EEENS1_30default_config_static_selectorELNS0_4arch9wavefront6targetE0EEEvSY_.private_seg_size, 0
	.set _ZN7rocprim17ROCPRIM_400000_NS6detail17trampoline_kernelINS0_13select_configILj256ELj13ELNS0_17block_load_methodE3ELS4_3ELS4_3ELNS0_20block_scan_algorithmE0ELj4294967295EEENS1_25partition_config_selectorILNS1_17partition_subalgoE3EjNS0_10empty_typeEbEEZZNS1_14partition_implILS8_3ELb0ES6_jNS0_17counting_iteratorIjlEEPS9_SE_NS0_5tupleIJPjSE_EEENSF_IJSE_SE_EEES9_SG_JZNS1_25segmented_radix_sort_implINS0_14default_configELb0EPKfPfPKlPlN2at6native12_GLOBAL__N_18offset_tEEE10hipError_tPvRmT1_PNSt15iterator_traitsISY_E10value_typeET2_T3_PNSZ_IS14_E10value_typeET4_jRbjT5_S1A_jjP12ihipStream_tbEUljE_EEESV_SW_SX_S14_S18_S1A_T6_T7_T9_mT8_S1C_bDpT10_ENKUlT_T0_E_clISt17integral_constantIbLb1EES1P_EEDaS1K_S1L_EUlS1K_E_NS1_11comp_targetILNS1_3genE2ELNS1_11target_archE906ELNS1_3gpuE6ELNS1_3repE0EEENS1_30default_config_static_selectorELNS0_4arch9wavefront6targetE0EEEvSY_.uses_vcc, 0
	.set _ZN7rocprim17ROCPRIM_400000_NS6detail17trampoline_kernelINS0_13select_configILj256ELj13ELNS0_17block_load_methodE3ELS4_3ELS4_3ELNS0_20block_scan_algorithmE0ELj4294967295EEENS1_25partition_config_selectorILNS1_17partition_subalgoE3EjNS0_10empty_typeEbEEZZNS1_14partition_implILS8_3ELb0ES6_jNS0_17counting_iteratorIjlEEPS9_SE_NS0_5tupleIJPjSE_EEENSF_IJSE_SE_EEES9_SG_JZNS1_25segmented_radix_sort_implINS0_14default_configELb0EPKfPfPKlPlN2at6native12_GLOBAL__N_18offset_tEEE10hipError_tPvRmT1_PNSt15iterator_traitsISY_E10value_typeET2_T3_PNSZ_IS14_E10value_typeET4_jRbjT5_S1A_jjP12ihipStream_tbEUljE_EEESV_SW_SX_S14_S18_S1A_T6_T7_T9_mT8_S1C_bDpT10_ENKUlT_T0_E_clISt17integral_constantIbLb1EES1P_EEDaS1K_S1L_EUlS1K_E_NS1_11comp_targetILNS1_3genE2ELNS1_11target_archE906ELNS1_3gpuE6ELNS1_3repE0EEENS1_30default_config_static_selectorELNS0_4arch9wavefront6targetE0EEEvSY_.uses_flat_scratch, 0
	.set _ZN7rocprim17ROCPRIM_400000_NS6detail17trampoline_kernelINS0_13select_configILj256ELj13ELNS0_17block_load_methodE3ELS4_3ELS4_3ELNS0_20block_scan_algorithmE0ELj4294967295EEENS1_25partition_config_selectorILNS1_17partition_subalgoE3EjNS0_10empty_typeEbEEZZNS1_14partition_implILS8_3ELb0ES6_jNS0_17counting_iteratorIjlEEPS9_SE_NS0_5tupleIJPjSE_EEENSF_IJSE_SE_EEES9_SG_JZNS1_25segmented_radix_sort_implINS0_14default_configELb0EPKfPfPKlPlN2at6native12_GLOBAL__N_18offset_tEEE10hipError_tPvRmT1_PNSt15iterator_traitsISY_E10value_typeET2_T3_PNSZ_IS14_E10value_typeET4_jRbjT5_S1A_jjP12ihipStream_tbEUljE_EEESV_SW_SX_S14_S18_S1A_T6_T7_T9_mT8_S1C_bDpT10_ENKUlT_T0_E_clISt17integral_constantIbLb1EES1P_EEDaS1K_S1L_EUlS1K_E_NS1_11comp_targetILNS1_3genE2ELNS1_11target_archE906ELNS1_3gpuE6ELNS1_3repE0EEENS1_30default_config_static_selectorELNS0_4arch9wavefront6targetE0EEEvSY_.has_dyn_sized_stack, 0
	.set _ZN7rocprim17ROCPRIM_400000_NS6detail17trampoline_kernelINS0_13select_configILj256ELj13ELNS0_17block_load_methodE3ELS4_3ELS4_3ELNS0_20block_scan_algorithmE0ELj4294967295EEENS1_25partition_config_selectorILNS1_17partition_subalgoE3EjNS0_10empty_typeEbEEZZNS1_14partition_implILS8_3ELb0ES6_jNS0_17counting_iteratorIjlEEPS9_SE_NS0_5tupleIJPjSE_EEENSF_IJSE_SE_EEES9_SG_JZNS1_25segmented_radix_sort_implINS0_14default_configELb0EPKfPfPKlPlN2at6native12_GLOBAL__N_18offset_tEEE10hipError_tPvRmT1_PNSt15iterator_traitsISY_E10value_typeET2_T3_PNSZ_IS14_E10value_typeET4_jRbjT5_S1A_jjP12ihipStream_tbEUljE_EEESV_SW_SX_S14_S18_S1A_T6_T7_T9_mT8_S1C_bDpT10_ENKUlT_T0_E_clISt17integral_constantIbLb1EES1P_EEDaS1K_S1L_EUlS1K_E_NS1_11comp_targetILNS1_3genE2ELNS1_11target_archE906ELNS1_3gpuE6ELNS1_3repE0EEENS1_30default_config_static_selectorELNS0_4arch9wavefront6targetE0EEEvSY_.has_recursion, 0
	.set _ZN7rocprim17ROCPRIM_400000_NS6detail17trampoline_kernelINS0_13select_configILj256ELj13ELNS0_17block_load_methodE3ELS4_3ELS4_3ELNS0_20block_scan_algorithmE0ELj4294967295EEENS1_25partition_config_selectorILNS1_17partition_subalgoE3EjNS0_10empty_typeEbEEZZNS1_14partition_implILS8_3ELb0ES6_jNS0_17counting_iteratorIjlEEPS9_SE_NS0_5tupleIJPjSE_EEENSF_IJSE_SE_EEES9_SG_JZNS1_25segmented_radix_sort_implINS0_14default_configELb0EPKfPfPKlPlN2at6native12_GLOBAL__N_18offset_tEEE10hipError_tPvRmT1_PNSt15iterator_traitsISY_E10value_typeET2_T3_PNSZ_IS14_E10value_typeET4_jRbjT5_S1A_jjP12ihipStream_tbEUljE_EEESV_SW_SX_S14_S18_S1A_T6_T7_T9_mT8_S1C_bDpT10_ENKUlT_T0_E_clISt17integral_constantIbLb1EES1P_EEDaS1K_S1L_EUlS1K_E_NS1_11comp_targetILNS1_3genE2ELNS1_11target_archE906ELNS1_3gpuE6ELNS1_3repE0EEENS1_30default_config_static_selectorELNS0_4arch9wavefront6targetE0EEEvSY_.has_indirect_call, 0
	.section	.AMDGPU.csdata,"",@progbits
; Kernel info:
; codeLenInByte = 0
; TotalNumSgprs: 0
; NumVgprs: 0
; ScratchSize: 0
; MemoryBound: 0
; FloatMode: 240
; IeeeMode: 1
; LDSByteSize: 0 bytes/workgroup (compile time only)
; SGPRBlocks: 0
; VGPRBlocks: 0
; NumSGPRsForWavesPerEU: 1
; NumVGPRsForWavesPerEU: 1
; NamedBarCnt: 0
; Occupancy: 16
; WaveLimiterHint : 0
; COMPUTE_PGM_RSRC2:SCRATCH_EN: 0
; COMPUTE_PGM_RSRC2:USER_SGPR: 2
; COMPUTE_PGM_RSRC2:TRAP_HANDLER: 0
; COMPUTE_PGM_RSRC2:TGID_X_EN: 1
; COMPUTE_PGM_RSRC2:TGID_Y_EN: 0
; COMPUTE_PGM_RSRC2:TGID_Z_EN: 0
; COMPUTE_PGM_RSRC2:TIDIG_COMP_CNT: 0
	.section	.text._ZN7rocprim17ROCPRIM_400000_NS6detail17trampoline_kernelINS0_13select_configILj256ELj13ELNS0_17block_load_methodE3ELS4_3ELS4_3ELNS0_20block_scan_algorithmE0ELj4294967295EEENS1_25partition_config_selectorILNS1_17partition_subalgoE3EjNS0_10empty_typeEbEEZZNS1_14partition_implILS8_3ELb0ES6_jNS0_17counting_iteratorIjlEEPS9_SE_NS0_5tupleIJPjSE_EEENSF_IJSE_SE_EEES9_SG_JZNS1_25segmented_radix_sort_implINS0_14default_configELb0EPKfPfPKlPlN2at6native12_GLOBAL__N_18offset_tEEE10hipError_tPvRmT1_PNSt15iterator_traitsISY_E10value_typeET2_T3_PNSZ_IS14_E10value_typeET4_jRbjT5_S1A_jjP12ihipStream_tbEUljE_EEESV_SW_SX_S14_S18_S1A_T6_T7_T9_mT8_S1C_bDpT10_ENKUlT_T0_E_clISt17integral_constantIbLb1EES1P_EEDaS1K_S1L_EUlS1K_E_NS1_11comp_targetILNS1_3genE10ELNS1_11target_archE1200ELNS1_3gpuE4ELNS1_3repE0EEENS1_30default_config_static_selectorELNS0_4arch9wavefront6targetE0EEEvSY_,"axG",@progbits,_ZN7rocprim17ROCPRIM_400000_NS6detail17trampoline_kernelINS0_13select_configILj256ELj13ELNS0_17block_load_methodE3ELS4_3ELS4_3ELNS0_20block_scan_algorithmE0ELj4294967295EEENS1_25partition_config_selectorILNS1_17partition_subalgoE3EjNS0_10empty_typeEbEEZZNS1_14partition_implILS8_3ELb0ES6_jNS0_17counting_iteratorIjlEEPS9_SE_NS0_5tupleIJPjSE_EEENSF_IJSE_SE_EEES9_SG_JZNS1_25segmented_radix_sort_implINS0_14default_configELb0EPKfPfPKlPlN2at6native12_GLOBAL__N_18offset_tEEE10hipError_tPvRmT1_PNSt15iterator_traitsISY_E10value_typeET2_T3_PNSZ_IS14_E10value_typeET4_jRbjT5_S1A_jjP12ihipStream_tbEUljE_EEESV_SW_SX_S14_S18_S1A_T6_T7_T9_mT8_S1C_bDpT10_ENKUlT_T0_E_clISt17integral_constantIbLb1EES1P_EEDaS1K_S1L_EUlS1K_E_NS1_11comp_targetILNS1_3genE10ELNS1_11target_archE1200ELNS1_3gpuE4ELNS1_3repE0EEENS1_30default_config_static_selectorELNS0_4arch9wavefront6targetE0EEEvSY_,comdat
	.globl	_ZN7rocprim17ROCPRIM_400000_NS6detail17trampoline_kernelINS0_13select_configILj256ELj13ELNS0_17block_load_methodE3ELS4_3ELS4_3ELNS0_20block_scan_algorithmE0ELj4294967295EEENS1_25partition_config_selectorILNS1_17partition_subalgoE3EjNS0_10empty_typeEbEEZZNS1_14partition_implILS8_3ELb0ES6_jNS0_17counting_iteratorIjlEEPS9_SE_NS0_5tupleIJPjSE_EEENSF_IJSE_SE_EEES9_SG_JZNS1_25segmented_radix_sort_implINS0_14default_configELb0EPKfPfPKlPlN2at6native12_GLOBAL__N_18offset_tEEE10hipError_tPvRmT1_PNSt15iterator_traitsISY_E10value_typeET2_T3_PNSZ_IS14_E10value_typeET4_jRbjT5_S1A_jjP12ihipStream_tbEUljE_EEESV_SW_SX_S14_S18_S1A_T6_T7_T9_mT8_S1C_bDpT10_ENKUlT_T0_E_clISt17integral_constantIbLb1EES1P_EEDaS1K_S1L_EUlS1K_E_NS1_11comp_targetILNS1_3genE10ELNS1_11target_archE1200ELNS1_3gpuE4ELNS1_3repE0EEENS1_30default_config_static_selectorELNS0_4arch9wavefront6targetE0EEEvSY_ ; -- Begin function _ZN7rocprim17ROCPRIM_400000_NS6detail17trampoline_kernelINS0_13select_configILj256ELj13ELNS0_17block_load_methodE3ELS4_3ELS4_3ELNS0_20block_scan_algorithmE0ELj4294967295EEENS1_25partition_config_selectorILNS1_17partition_subalgoE3EjNS0_10empty_typeEbEEZZNS1_14partition_implILS8_3ELb0ES6_jNS0_17counting_iteratorIjlEEPS9_SE_NS0_5tupleIJPjSE_EEENSF_IJSE_SE_EEES9_SG_JZNS1_25segmented_radix_sort_implINS0_14default_configELb0EPKfPfPKlPlN2at6native12_GLOBAL__N_18offset_tEEE10hipError_tPvRmT1_PNSt15iterator_traitsISY_E10value_typeET2_T3_PNSZ_IS14_E10value_typeET4_jRbjT5_S1A_jjP12ihipStream_tbEUljE_EEESV_SW_SX_S14_S18_S1A_T6_T7_T9_mT8_S1C_bDpT10_ENKUlT_T0_E_clISt17integral_constantIbLb1EES1P_EEDaS1K_S1L_EUlS1K_E_NS1_11comp_targetILNS1_3genE10ELNS1_11target_archE1200ELNS1_3gpuE4ELNS1_3repE0EEENS1_30default_config_static_selectorELNS0_4arch9wavefront6targetE0EEEvSY_
	.p2align	8
	.type	_ZN7rocprim17ROCPRIM_400000_NS6detail17trampoline_kernelINS0_13select_configILj256ELj13ELNS0_17block_load_methodE3ELS4_3ELS4_3ELNS0_20block_scan_algorithmE0ELj4294967295EEENS1_25partition_config_selectorILNS1_17partition_subalgoE3EjNS0_10empty_typeEbEEZZNS1_14partition_implILS8_3ELb0ES6_jNS0_17counting_iteratorIjlEEPS9_SE_NS0_5tupleIJPjSE_EEENSF_IJSE_SE_EEES9_SG_JZNS1_25segmented_radix_sort_implINS0_14default_configELb0EPKfPfPKlPlN2at6native12_GLOBAL__N_18offset_tEEE10hipError_tPvRmT1_PNSt15iterator_traitsISY_E10value_typeET2_T3_PNSZ_IS14_E10value_typeET4_jRbjT5_S1A_jjP12ihipStream_tbEUljE_EEESV_SW_SX_S14_S18_S1A_T6_T7_T9_mT8_S1C_bDpT10_ENKUlT_T0_E_clISt17integral_constantIbLb1EES1P_EEDaS1K_S1L_EUlS1K_E_NS1_11comp_targetILNS1_3genE10ELNS1_11target_archE1200ELNS1_3gpuE4ELNS1_3repE0EEENS1_30default_config_static_selectorELNS0_4arch9wavefront6targetE0EEEvSY_,@function
_ZN7rocprim17ROCPRIM_400000_NS6detail17trampoline_kernelINS0_13select_configILj256ELj13ELNS0_17block_load_methodE3ELS4_3ELS4_3ELNS0_20block_scan_algorithmE0ELj4294967295EEENS1_25partition_config_selectorILNS1_17partition_subalgoE3EjNS0_10empty_typeEbEEZZNS1_14partition_implILS8_3ELb0ES6_jNS0_17counting_iteratorIjlEEPS9_SE_NS0_5tupleIJPjSE_EEENSF_IJSE_SE_EEES9_SG_JZNS1_25segmented_radix_sort_implINS0_14default_configELb0EPKfPfPKlPlN2at6native12_GLOBAL__N_18offset_tEEE10hipError_tPvRmT1_PNSt15iterator_traitsISY_E10value_typeET2_T3_PNSZ_IS14_E10value_typeET4_jRbjT5_S1A_jjP12ihipStream_tbEUljE_EEESV_SW_SX_S14_S18_S1A_T6_T7_T9_mT8_S1C_bDpT10_ENKUlT_T0_E_clISt17integral_constantIbLb1EES1P_EEDaS1K_S1L_EUlS1K_E_NS1_11comp_targetILNS1_3genE10ELNS1_11target_archE1200ELNS1_3gpuE4ELNS1_3repE0EEENS1_30default_config_static_selectorELNS0_4arch9wavefront6targetE0EEEvSY_: ; @_ZN7rocprim17ROCPRIM_400000_NS6detail17trampoline_kernelINS0_13select_configILj256ELj13ELNS0_17block_load_methodE3ELS4_3ELS4_3ELNS0_20block_scan_algorithmE0ELj4294967295EEENS1_25partition_config_selectorILNS1_17partition_subalgoE3EjNS0_10empty_typeEbEEZZNS1_14partition_implILS8_3ELb0ES6_jNS0_17counting_iteratorIjlEEPS9_SE_NS0_5tupleIJPjSE_EEENSF_IJSE_SE_EEES9_SG_JZNS1_25segmented_radix_sort_implINS0_14default_configELb0EPKfPfPKlPlN2at6native12_GLOBAL__N_18offset_tEEE10hipError_tPvRmT1_PNSt15iterator_traitsISY_E10value_typeET2_T3_PNSZ_IS14_E10value_typeET4_jRbjT5_S1A_jjP12ihipStream_tbEUljE_EEESV_SW_SX_S14_S18_S1A_T6_T7_T9_mT8_S1C_bDpT10_ENKUlT_T0_E_clISt17integral_constantIbLb1EES1P_EEDaS1K_S1L_EUlS1K_E_NS1_11comp_targetILNS1_3genE10ELNS1_11target_archE1200ELNS1_3gpuE4ELNS1_3repE0EEENS1_30default_config_static_selectorELNS0_4arch9wavefront6targetE0EEEvSY_
; %bb.0:
	.section	.rodata,"a",@progbits
	.p2align	6, 0x0
	.amdhsa_kernel _ZN7rocprim17ROCPRIM_400000_NS6detail17trampoline_kernelINS0_13select_configILj256ELj13ELNS0_17block_load_methodE3ELS4_3ELS4_3ELNS0_20block_scan_algorithmE0ELj4294967295EEENS1_25partition_config_selectorILNS1_17partition_subalgoE3EjNS0_10empty_typeEbEEZZNS1_14partition_implILS8_3ELb0ES6_jNS0_17counting_iteratorIjlEEPS9_SE_NS0_5tupleIJPjSE_EEENSF_IJSE_SE_EEES9_SG_JZNS1_25segmented_radix_sort_implINS0_14default_configELb0EPKfPfPKlPlN2at6native12_GLOBAL__N_18offset_tEEE10hipError_tPvRmT1_PNSt15iterator_traitsISY_E10value_typeET2_T3_PNSZ_IS14_E10value_typeET4_jRbjT5_S1A_jjP12ihipStream_tbEUljE_EEESV_SW_SX_S14_S18_S1A_T6_T7_T9_mT8_S1C_bDpT10_ENKUlT_T0_E_clISt17integral_constantIbLb1EES1P_EEDaS1K_S1L_EUlS1K_E_NS1_11comp_targetILNS1_3genE10ELNS1_11target_archE1200ELNS1_3gpuE4ELNS1_3repE0EEENS1_30default_config_static_selectorELNS0_4arch9wavefront6targetE0EEEvSY_
		.amdhsa_group_segment_fixed_size 0
		.amdhsa_private_segment_fixed_size 0
		.amdhsa_kernarg_size 152
		.amdhsa_user_sgpr_count 2
		.amdhsa_user_sgpr_dispatch_ptr 0
		.amdhsa_user_sgpr_queue_ptr 0
		.amdhsa_user_sgpr_kernarg_segment_ptr 1
		.amdhsa_user_sgpr_dispatch_id 0
		.amdhsa_user_sgpr_kernarg_preload_length 0
		.amdhsa_user_sgpr_kernarg_preload_offset 0
		.amdhsa_user_sgpr_private_segment_size 0
		.amdhsa_wavefront_size32 1
		.amdhsa_uses_dynamic_stack 0
		.amdhsa_enable_private_segment 0
		.amdhsa_system_sgpr_workgroup_id_x 1
		.amdhsa_system_sgpr_workgroup_id_y 0
		.amdhsa_system_sgpr_workgroup_id_z 0
		.amdhsa_system_sgpr_workgroup_info 0
		.amdhsa_system_vgpr_workitem_id 0
		.amdhsa_next_free_vgpr 1
		.amdhsa_next_free_sgpr 1
		.amdhsa_named_barrier_count 0
		.amdhsa_reserve_vcc 0
		.amdhsa_float_round_mode_32 0
		.amdhsa_float_round_mode_16_64 0
		.amdhsa_float_denorm_mode_32 3
		.amdhsa_float_denorm_mode_16_64 3
		.amdhsa_fp16_overflow 0
		.amdhsa_memory_ordered 1
		.amdhsa_forward_progress 1
		.amdhsa_inst_pref_size 0
		.amdhsa_round_robin_scheduling 0
		.amdhsa_exception_fp_ieee_invalid_op 0
		.amdhsa_exception_fp_denorm_src 0
		.amdhsa_exception_fp_ieee_div_zero 0
		.amdhsa_exception_fp_ieee_overflow 0
		.amdhsa_exception_fp_ieee_underflow 0
		.amdhsa_exception_fp_ieee_inexact 0
		.amdhsa_exception_int_div_zero 0
	.end_amdhsa_kernel
	.section	.text._ZN7rocprim17ROCPRIM_400000_NS6detail17trampoline_kernelINS0_13select_configILj256ELj13ELNS0_17block_load_methodE3ELS4_3ELS4_3ELNS0_20block_scan_algorithmE0ELj4294967295EEENS1_25partition_config_selectorILNS1_17partition_subalgoE3EjNS0_10empty_typeEbEEZZNS1_14partition_implILS8_3ELb0ES6_jNS0_17counting_iteratorIjlEEPS9_SE_NS0_5tupleIJPjSE_EEENSF_IJSE_SE_EEES9_SG_JZNS1_25segmented_radix_sort_implINS0_14default_configELb0EPKfPfPKlPlN2at6native12_GLOBAL__N_18offset_tEEE10hipError_tPvRmT1_PNSt15iterator_traitsISY_E10value_typeET2_T3_PNSZ_IS14_E10value_typeET4_jRbjT5_S1A_jjP12ihipStream_tbEUljE_EEESV_SW_SX_S14_S18_S1A_T6_T7_T9_mT8_S1C_bDpT10_ENKUlT_T0_E_clISt17integral_constantIbLb1EES1P_EEDaS1K_S1L_EUlS1K_E_NS1_11comp_targetILNS1_3genE10ELNS1_11target_archE1200ELNS1_3gpuE4ELNS1_3repE0EEENS1_30default_config_static_selectorELNS0_4arch9wavefront6targetE0EEEvSY_,"axG",@progbits,_ZN7rocprim17ROCPRIM_400000_NS6detail17trampoline_kernelINS0_13select_configILj256ELj13ELNS0_17block_load_methodE3ELS4_3ELS4_3ELNS0_20block_scan_algorithmE0ELj4294967295EEENS1_25partition_config_selectorILNS1_17partition_subalgoE3EjNS0_10empty_typeEbEEZZNS1_14partition_implILS8_3ELb0ES6_jNS0_17counting_iteratorIjlEEPS9_SE_NS0_5tupleIJPjSE_EEENSF_IJSE_SE_EEES9_SG_JZNS1_25segmented_radix_sort_implINS0_14default_configELb0EPKfPfPKlPlN2at6native12_GLOBAL__N_18offset_tEEE10hipError_tPvRmT1_PNSt15iterator_traitsISY_E10value_typeET2_T3_PNSZ_IS14_E10value_typeET4_jRbjT5_S1A_jjP12ihipStream_tbEUljE_EEESV_SW_SX_S14_S18_S1A_T6_T7_T9_mT8_S1C_bDpT10_ENKUlT_T0_E_clISt17integral_constantIbLb1EES1P_EEDaS1K_S1L_EUlS1K_E_NS1_11comp_targetILNS1_3genE10ELNS1_11target_archE1200ELNS1_3gpuE4ELNS1_3repE0EEENS1_30default_config_static_selectorELNS0_4arch9wavefront6targetE0EEEvSY_,comdat
.Lfunc_end1402:
	.size	_ZN7rocprim17ROCPRIM_400000_NS6detail17trampoline_kernelINS0_13select_configILj256ELj13ELNS0_17block_load_methodE3ELS4_3ELS4_3ELNS0_20block_scan_algorithmE0ELj4294967295EEENS1_25partition_config_selectorILNS1_17partition_subalgoE3EjNS0_10empty_typeEbEEZZNS1_14partition_implILS8_3ELb0ES6_jNS0_17counting_iteratorIjlEEPS9_SE_NS0_5tupleIJPjSE_EEENSF_IJSE_SE_EEES9_SG_JZNS1_25segmented_radix_sort_implINS0_14default_configELb0EPKfPfPKlPlN2at6native12_GLOBAL__N_18offset_tEEE10hipError_tPvRmT1_PNSt15iterator_traitsISY_E10value_typeET2_T3_PNSZ_IS14_E10value_typeET4_jRbjT5_S1A_jjP12ihipStream_tbEUljE_EEESV_SW_SX_S14_S18_S1A_T6_T7_T9_mT8_S1C_bDpT10_ENKUlT_T0_E_clISt17integral_constantIbLb1EES1P_EEDaS1K_S1L_EUlS1K_E_NS1_11comp_targetILNS1_3genE10ELNS1_11target_archE1200ELNS1_3gpuE4ELNS1_3repE0EEENS1_30default_config_static_selectorELNS0_4arch9wavefront6targetE0EEEvSY_, .Lfunc_end1402-_ZN7rocprim17ROCPRIM_400000_NS6detail17trampoline_kernelINS0_13select_configILj256ELj13ELNS0_17block_load_methodE3ELS4_3ELS4_3ELNS0_20block_scan_algorithmE0ELj4294967295EEENS1_25partition_config_selectorILNS1_17partition_subalgoE3EjNS0_10empty_typeEbEEZZNS1_14partition_implILS8_3ELb0ES6_jNS0_17counting_iteratorIjlEEPS9_SE_NS0_5tupleIJPjSE_EEENSF_IJSE_SE_EEES9_SG_JZNS1_25segmented_radix_sort_implINS0_14default_configELb0EPKfPfPKlPlN2at6native12_GLOBAL__N_18offset_tEEE10hipError_tPvRmT1_PNSt15iterator_traitsISY_E10value_typeET2_T3_PNSZ_IS14_E10value_typeET4_jRbjT5_S1A_jjP12ihipStream_tbEUljE_EEESV_SW_SX_S14_S18_S1A_T6_T7_T9_mT8_S1C_bDpT10_ENKUlT_T0_E_clISt17integral_constantIbLb1EES1P_EEDaS1K_S1L_EUlS1K_E_NS1_11comp_targetILNS1_3genE10ELNS1_11target_archE1200ELNS1_3gpuE4ELNS1_3repE0EEENS1_30default_config_static_selectorELNS0_4arch9wavefront6targetE0EEEvSY_
                                        ; -- End function
	.set _ZN7rocprim17ROCPRIM_400000_NS6detail17trampoline_kernelINS0_13select_configILj256ELj13ELNS0_17block_load_methodE3ELS4_3ELS4_3ELNS0_20block_scan_algorithmE0ELj4294967295EEENS1_25partition_config_selectorILNS1_17partition_subalgoE3EjNS0_10empty_typeEbEEZZNS1_14partition_implILS8_3ELb0ES6_jNS0_17counting_iteratorIjlEEPS9_SE_NS0_5tupleIJPjSE_EEENSF_IJSE_SE_EEES9_SG_JZNS1_25segmented_radix_sort_implINS0_14default_configELb0EPKfPfPKlPlN2at6native12_GLOBAL__N_18offset_tEEE10hipError_tPvRmT1_PNSt15iterator_traitsISY_E10value_typeET2_T3_PNSZ_IS14_E10value_typeET4_jRbjT5_S1A_jjP12ihipStream_tbEUljE_EEESV_SW_SX_S14_S18_S1A_T6_T7_T9_mT8_S1C_bDpT10_ENKUlT_T0_E_clISt17integral_constantIbLb1EES1P_EEDaS1K_S1L_EUlS1K_E_NS1_11comp_targetILNS1_3genE10ELNS1_11target_archE1200ELNS1_3gpuE4ELNS1_3repE0EEENS1_30default_config_static_selectorELNS0_4arch9wavefront6targetE0EEEvSY_.num_vgpr, 0
	.set _ZN7rocprim17ROCPRIM_400000_NS6detail17trampoline_kernelINS0_13select_configILj256ELj13ELNS0_17block_load_methodE3ELS4_3ELS4_3ELNS0_20block_scan_algorithmE0ELj4294967295EEENS1_25partition_config_selectorILNS1_17partition_subalgoE3EjNS0_10empty_typeEbEEZZNS1_14partition_implILS8_3ELb0ES6_jNS0_17counting_iteratorIjlEEPS9_SE_NS0_5tupleIJPjSE_EEENSF_IJSE_SE_EEES9_SG_JZNS1_25segmented_radix_sort_implINS0_14default_configELb0EPKfPfPKlPlN2at6native12_GLOBAL__N_18offset_tEEE10hipError_tPvRmT1_PNSt15iterator_traitsISY_E10value_typeET2_T3_PNSZ_IS14_E10value_typeET4_jRbjT5_S1A_jjP12ihipStream_tbEUljE_EEESV_SW_SX_S14_S18_S1A_T6_T7_T9_mT8_S1C_bDpT10_ENKUlT_T0_E_clISt17integral_constantIbLb1EES1P_EEDaS1K_S1L_EUlS1K_E_NS1_11comp_targetILNS1_3genE10ELNS1_11target_archE1200ELNS1_3gpuE4ELNS1_3repE0EEENS1_30default_config_static_selectorELNS0_4arch9wavefront6targetE0EEEvSY_.num_agpr, 0
	.set _ZN7rocprim17ROCPRIM_400000_NS6detail17trampoline_kernelINS0_13select_configILj256ELj13ELNS0_17block_load_methodE3ELS4_3ELS4_3ELNS0_20block_scan_algorithmE0ELj4294967295EEENS1_25partition_config_selectorILNS1_17partition_subalgoE3EjNS0_10empty_typeEbEEZZNS1_14partition_implILS8_3ELb0ES6_jNS0_17counting_iteratorIjlEEPS9_SE_NS0_5tupleIJPjSE_EEENSF_IJSE_SE_EEES9_SG_JZNS1_25segmented_radix_sort_implINS0_14default_configELb0EPKfPfPKlPlN2at6native12_GLOBAL__N_18offset_tEEE10hipError_tPvRmT1_PNSt15iterator_traitsISY_E10value_typeET2_T3_PNSZ_IS14_E10value_typeET4_jRbjT5_S1A_jjP12ihipStream_tbEUljE_EEESV_SW_SX_S14_S18_S1A_T6_T7_T9_mT8_S1C_bDpT10_ENKUlT_T0_E_clISt17integral_constantIbLb1EES1P_EEDaS1K_S1L_EUlS1K_E_NS1_11comp_targetILNS1_3genE10ELNS1_11target_archE1200ELNS1_3gpuE4ELNS1_3repE0EEENS1_30default_config_static_selectorELNS0_4arch9wavefront6targetE0EEEvSY_.numbered_sgpr, 0
	.set _ZN7rocprim17ROCPRIM_400000_NS6detail17trampoline_kernelINS0_13select_configILj256ELj13ELNS0_17block_load_methodE3ELS4_3ELS4_3ELNS0_20block_scan_algorithmE0ELj4294967295EEENS1_25partition_config_selectorILNS1_17partition_subalgoE3EjNS0_10empty_typeEbEEZZNS1_14partition_implILS8_3ELb0ES6_jNS0_17counting_iteratorIjlEEPS9_SE_NS0_5tupleIJPjSE_EEENSF_IJSE_SE_EEES9_SG_JZNS1_25segmented_radix_sort_implINS0_14default_configELb0EPKfPfPKlPlN2at6native12_GLOBAL__N_18offset_tEEE10hipError_tPvRmT1_PNSt15iterator_traitsISY_E10value_typeET2_T3_PNSZ_IS14_E10value_typeET4_jRbjT5_S1A_jjP12ihipStream_tbEUljE_EEESV_SW_SX_S14_S18_S1A_T6_T7_T9_mT8_S1C_bDpT10_ENKUlT_T0_E_clISt17integral_constantIbLb1EES1P_EEDaS1K_S1L_EUlS1K_E_NS1_11comp_targetILNS1_3genE10ELNS1_11target_archE1200ELNS1_3gpuE4ELNS1_3repE0EEENS1_30default_config_static_selectorELNS0_4arch9wavefront6targetE0EEEvSY_.num_named_barrier, 0
	.set _ZN7rocprim17ROCPRIM_400000_NS6detail17trampoline_kernelINS0_13select_configILj256ELj13ELNS0_17block_load_methodE3ELS4_3ELS4_3ELNS0_20block_scan_algorithmE0ELj4294967295EEENS1_25partition_config_selectorILNS1_17partition_subalgoE3EjNS0_10empty_typeEbEEZZNS1_14partition_implILS8_3ELb0ES6_jNS0_17counting_iteratorIjlEEPS9_SE_NS0_5tupleIJPjSE_EEENSF_IJSE_SE_EEES9_SG_JZNS1_25segmented_radix_sort_implINS0_14default_configELb0EPKfPfPKlPlN2at6native12_GLOBAL__N_18offset_tEEE10hipError_tPvRmT1_PNSt15iterator_traitsISY_E10value_typeET2_T3_PNSZ_IS14_E10value_typeET4_jRbjT5_S1A_jjP12ihipStream_tbEUljE_EEESV_SW_SX_S14_S18_S1A_T6_T7_T9_mT8_S1C_bDpT10_ENKUlT_T0_E_clISt17integral_constantIbLb1EES1P_EEDaS1K_S1L_EUlS1K_E_NS1_11comp_targetILNS1_3genE10ELNS1_11target_archE1200ELNS1_3gpuE4ELNS1_3repE0EEENS1_30default_config_static_selectorELNS0_4arch9wavefront6targetE0EEEvSY_.private_seg_size, 0
	.set _ZN7rocprim17ROCPRIM_400000_NS6detail17trampoline_kernelINS0_13select_configILj256ELj13ELNS0_17block_load_methodE3ELS4_3ELS4_3ELNS0_20block_scan_algorithmE0ELj4294967295EEENS1_25partition_config_selectorILNS1_17partition_subalgoE3EjNS0_10empty_typeEbEEZZNS1_14partition_implILS8_3ELb0ES6_jNS0_17counting_iteratorIjlEEPS9_SE_NS0_5tupleIJPjSE_EEENSF_IJSE_SE_EEES9_SG_JZNS1_25segmented_radix_sort_implINS0_14default_configELb0EPKfPfPKlPlN2at6native12_GLOBAL__N_18offset_tEEE10hipError_tPvRmT1_PNSt15iterator_traitsISY_E10value_typeET2_T3_PNSZ_IS14_E10value_typeET4_jRbjT5_S1A_jjP12ihipStream_tbEUljE_EEESV_SW_SX_S14_S18_S1A_T6_T7_T9_mT8_S1C_bDpT10_ENKUlT_T0_E_clISt17integral_constantIbLb1EES1P_EEDaS1K_S1L_EUlS1K_E_NS1_11comp_targetILNS1_3genE10ELNS1_11target_archE1200ELNS1_3gpuE4ELNS1_3repE0EEENS1_30default_config_static_selectorELNS0_4arch9wavefront6targetE0EEEvSY_.uses_vcc, 0
	.set _ZN7rocprim17ROCPRIM_400000_NS6detail17trampoline_kernelINS0_13select_configILj256ELj13ELNS0_17block_load_methodE3ELS4_3ELS4_3ELNS0_20block_scan_algorithmE0ELj4294967295EEENS1_25partition_config_selectorILNS1_17partition_subalgoE3EjNS0_10empty_typeEbEEZZNS1_14partition_implILS8_3ELb0ES6_jNS0_17counting_iteratorIjlEEPS9_SE_NS0_5tupleIJPjSE_EEENSF_IJSE_SE_EEES9_SG_JZNS1_25segmented_radix_sort_implINS0_14default_configELb0EPKfPfPKlPlN2at6native12_GLOBAL__N_18offset_tEEE10hipError_tPvRmT1_PNSt15iterator_traitsISY_E10value_typeET2_T3_PNSZ_IS14_E10value_typeET4_jRbjT5_S1A_jjP12ihipStream_tbEUljE_EEESV_SW_SX_S14_S18_S1A_T6_T7_T9_mT8_S1C_bDpT10_ENKUlT_T0_E_clISt17integral_constantIbLb1EES1P_EEDaS1K_S1L_EUlS1K_E_NS1_11comp_targetILNS1_3genE10ELNS1_11target_archE1200ELNS1_3gpuE4ELNS1_3repE0EEENS1_30default_config_static_selectorELNS0_4arch9wavefront6targetE0EEEvSY_.uses_flat_scratch, 0
	.set _ZN7rocprim17ROCPRIM_400000_NS6detail17trampoline_kernelINS0_13select_configILj256ELj13ELNS0_17block_load_methodE3ELS4_3ELS4_3ELNS0_20block_scan_algorithmE0ELj4294967295EEENS1_25partition_config_selectorILNS1_17partition_subalgoE3EjNS0_10empty_typeEbEEZZNS1_14partition_implILS8_3ELb0ES6_jNS0_17counting_iteratorIjlEEPS9_SE_NS0_5tupleIJPjSE_EEENSF_IJSE_SE_EEES9_SG_JZNS1_25segmented_radix_sort_implINS0_14default_configELb0EPKfPfPKlPlN2at6native12_GLOBAL__N_18offset_tEEE10hipError_tPvRmT1_PNSt15iterator_traitsISY_E10value_typeET2_T3_PNSZ_IS14_E10value_typeET4_jRbjT5_S1A_jjP12ihipStream_tbEUljE_EEESV_SW_SX_S14_S18_S1A_T6_T7_T9_mT8_S1C_bDpT10_ENKUlT_T0_E_clISt17integral_constantIbLb1EES1P_EEDaS1K_S1L_EUlS1K_E_NS1_11comp_targetILNS1_3genE10ELNS1_11target_archE1200ELNS1_3gpuE4ELNS1_3repE0EEENS1_30default_config_static_selectorELNS0_4arch9wavefront6targetE0EEEvSY_.has_dyn_sized_stack, 0
	.set _ZN7rocprim17ROCPRIM_400000_NS6detail17trampoline_kernelINS0_13select_configILj256ELj13ELNS0_17block_load_methodE3ELS4_3ELS4_3ELNS0_20block_scan_algorithmE0ELj4294967295EEENS1_25partition_config_selectorILNS1_17partition_subalgoE3EjNS0_10empty_typeEbEEZZNS1_14partition_implILS8_3ELb0ES6_jNS0_17counting_iteratorIjlEEPS9_SE_NS0_5tupleIJPjSE_EEENSF_IJSE_SE_EEES9_SG_JZNS1_25segmented_radix_sort_implINS0_14default_configELb0EPKfPfPKlPlN2at6native12_GLOBAL__N_18offset_tEEE10hipError_tPvRmT1_PNSt15iterator_traitsISY_E10value_typeET2_T3_PNSZ_IS14_E10value_typeET4_jRbjT5_S1A_jjP12ihipStream_tbEUljE_EEESV_SW_SX_S14_S18_S1A_T6_T7_T9_mT8_S1C_bDpT10_ENKUlT_T0_E_clISt17integral_constantIbLb1EES1P_EEDaS1K_S1L_EUlS1K_E_NS1_11comp_targetILNS1_3genE10ELNS1_11target_archE1200ELNS1_3gpuE4ELNS1_3repE0EEENS1_30default_config_static_selectorELNS0_4arch9wavefront6targetE0EEEvSY_.has_recursion, 0
	.set _ZN7rocprim17ROCPRIM_400000_NS6detail17trampoline_kernelINS0_13select_configILj256ELj13ELNS0_17block_load_methodE3ELS4_3ELS4_3ELNS0_20block_scan_algorithmE0ELj4294967295EEENS1_25partition_config_selectorILNS1_17partition_subalgoE3EjNS0_10empty_typeEbEEZZNS1_14partition_implILS8_3ELb0ES6_jNS0_17counting_iteratorIjlEEPS9_SE_NS0_5tupleIJPjSE_EEENSF_IJSE_SE_EEES9_SG_JZNS1_25segmented_radix_sort_implINS0_14default_configELb0EPKfPfPKlPlN2at6native12_GLOBAL__N_18offset_tEEE10hipError_tPvRmT1_PNSt15iterator_traitsISY_E10value_typeET2_T3_PNSZ_IS14_E10value_typeET4_jRbjT5_S1A_jjP12ihipStream_tbEUljE_EEESV_SW_SX_S14_S18_S1A_T6_T7_T9_mT8_S1C_bDpT10_ENKUlT_T0_E_clISt17integral_constantIbLb1EES1P_EEDaS1K_S1L_EUlS1K_E_NS1_11comp_targetILNS1_3genE10ELNS1_11target_archE1200ELNS1_3gpuE4ELNS1_3repE0EEENS1_30default_config_static_selectorELNS0_4arch9wavefront6targetE0EEEvSY_.has_indirect_call, 0
	.section	.AMDGPU.csdata,"",@progbits
; Kernel info:
; codeLenInByte = 0
; TotalNumSgprs: 0
; NumVgprs: 0
; ScratchSize: 0
; MemoryBound: 0
; FloatMode: 240
; IeeeMode: 1
; LDSByteSize: 0 bytes/workgroup (compile time only)
; SGPRBlocks: 0
; VGPRBlocks: 0
; NumSGPRsForWavesPerEU: 1
; NumVGPRsForWavesPerEU: 1
; NamedBarCnt: 0
; Occupancy: 16
; WaveLimiterHint : 0
; COMPUTE_PGM_RSRC2:SCRATCH_EN: 0
; COMPUTE_PGM_RSRC2:USER_SGPR: 2
; COMPUTE_PGM_RSRC2:TRAP_HANDLER: 0
; COMPUTE_PGM_RSRC2:TGID_X_EN: 1
; COMPUTE_PGM_RSRC2:TGID_Y_EN: 0
; COMPUTE_PGM_RSRC2:TGID_Z_EN: 0
; COMPUTE_PGM_RSRC2:TIDIG_COMP_CNT: 0
	.section	.text._ZN7rocprim17ROCPRIM_400000_NS6detail17trampoline_kernelINS0_13select_configILj256ELj13ELNS0_17block_load_methodE3ELS4_3ELS4_3ELNS0_20block_scan_algorithmE0ELj4294967295EEENS1_25partition_config_selectorILNS1_17partition_subalgoE3EjNS0_10empty_typeEbEEZZNS1_14partition_implILS8_3ELb0ES6_jNS0_17counting_iteratorIjlEEPS9_SE_NS0_5tupleIJPjSE_EEENSF_IJSE_SE_EEES9_SG_JZNS1_25segmented_radix_sort_implINS0_14default_configELb0EPKfPfPKlPlN2at6native12_GLOBAL__N_18offset_tEEE10hipError_tPvRmT1_PNSt15iterator_traitsISY_E10value_typeET2_T3_PNSZ_IS14_E10value_typeET4_jRbjT5_S1A_jjP12ihipStream_tbEUljE_EEESV_SW_SX_S14_S18_S1A_T6_T7_T9_mT8_S1C_bDpT10_ENKUlT_T0_E_clISt17integral_constantIbLb1EES1P_EEDaS1K_S1L_EUlS1K_E_NS1_11comp_targetILNS1_3genE9ELNS1_11target_archE1100ELNS1_3gpuE3ELNS1_3repE0EEENS1_30default_config_static_selectorELNS0_4arch9wavefront6targetE0EEEvSY_,"axG",@progbits,_ZN7rocprim17ROCPRIM_400000_NS6detail17trampoline_kernelINS0_13select_configILj256ELj13ELNS0_17block_load_methodE3ELS4_3ELS4_3ELNS0_20block_scan_algorithmE0ELj4294967295EEENS1_25partition_config_selectorILNS1_17partition_subalgoE3EjNS0_10empty_typeEbEEZZNS1_14partition_implILS8_3ELb0ES6_jNS0_17counting_iteratorIjlEEPS9_SE_NS0_5tupleIJPjSE_EEENSF_IJSE_SE_EEES9_SG_JZNS1_25segmented_radix_sort_implINS0_14default_configELb0EPKfPfPKlPlN2at6native12_GLOBAL__N_18offset_tEEE10hipError_tPvRmT1_PNSt15iterator_traitsISY_E10value_typeET2_T3_PNSZ_IS14_E10value_typeET4_jRbjT5_S1A_jjP12ihipStream_tbEUljE_EEESV_SW_SX_S14_S18_S1A_T6_T7_T9_mT8_S1C_bDpT10_ENKUlT_T0_E_clISt17integral_constantIbLb1EES1P_EEDaS1K_S1L_EUlS1K_E_NS1_11comp_targetILNS1_3genE9ELNS1_11target_archE1100ELNS1_3gpuE3ELNS1_3repE0EEENS1_30default_config_static_selectorELNS0_4arch9wavefront6targetE0EEEvSY_,comdat
	.globl	_ZN7rocprim17ROCPRIM_400000_NS6detail17trampoline_kernelINS0_13select_configILj256ELj13ELNS0_17block_load_methodE3ELS4_3ELS4_3ELNS0_20block_scan_algorithmE0ELj4294967295EEENS1_25partition_config_selectorILNS1_17partition_subalgoE3EjNS0_10empty_typeEbEEZZNS1_14partition_implILS8_3ELb0ES6_jNS0_17counting_iteratorIjlEEPS9_SE_NS0_5tupleIJPjSE_EEENSF_IJSE_SE_EEES9_SG_JZNS1_25segmented_radix_sort_implINS0_14default_configELb0EPKfPfPKlPlN2at6native12_GLOBAL__N_18offset_tEEE10hipError_tPvRmT1_PNSt15iterator_traitsISY_E10value_typeET2_T3_PNSZ_IS14_E10value_typeET4_jRbjT5_S1A_jjP12ihipStream_tbEUljE_EEESV_SW_SX_S14_S18_S1A_T6_T7_T9_mT8_S1C_bDpT10_ENKUlT_T0_E_clISt17integral_constantIbLb1EES1P_EEDaS1K_S1L_EUlS1K_E_NS1_11comp_targetILNS1_3genE9ELNS1_11target_archE1100ELNS1_3gpuE3ELNS1_3repE0EEENS1_30default_config_static_selectorELNS0_4arch9wavefront6targetE0EEEvSY_ ; -- Begin function _ZN7rocprim17ROCPRIM_400000_NS6detail17trampoline_kernelINS0_13select_configILj256ELj13ELNS0_17block_load_methodE3ELS4_3ELS4_3ELNS0_20block_scan_algorithmE0ELj4294967295EEENS1_25partition_config_selectorILNS1_17partition_subalgoE3EjNS0_10empty_typeEbEEZZNS1_14partition_implILS8_3ELb0ES6_jNS0_17counting_iteratorIjlEEPS9_SE_NS0_5tupleIJPjSE_EEENSF_IJSE_SE_EEES9_SG_JZNS1_25segmented_radix_sort_implINS0_14default_configELb0EPKfPfPKlPlN2at6native12_GLOBAL__N_18offset_tEEE10hipError_tPvRmT1_PNSt15iterator_traitsISY_E10value_typeET2_T3_PNSZ_IS14_E10value_typeET4_jRbjT5_S1A_jjP12ihipStream_tbEUljE_EEESV_SW_SX_S14_S18_S1A_T6_T7_T9_mT8_S1C_bDpT10_ENKUlT_T0_E_clISt17integral_constantIbLb1EES1P_EEDaS1K_S1L_EUlS1K_E_NS1_11comp_targetILNS1_3genE9ELNS1_11target_archE1100ELNS1_3gpuE3ELNS1_3repE0EEENS1_30default_config_static_selectorELNS0_4arch9wavefront6targetE0EEEvSY_
	.p2align	8
	.type	_ZN7rocprim17ROCPRIM_400000_NS6detail17trampoline_kernelINS0_13select_configILj256ELj13ELNS0_17block_load_methodE3ELS4_3ELS4_3ELNS0_20block_scan_algorithmE0ELj4294967295EEENS1_25partition_config_selectorILNS1_17partition_subalgoE3EjNS0_10empty_typeEbEEZZNS1_14partition_implILS8_3ELb0ES6_jNS0_17counting_iteratorIjlEEPS9_SE_NS0_5tupleIJPjSE_EEENSF_IJSE_SE_EEES9_SG_JZNS1_25segmented_radix_sort_implINS0_14default_configELb0EPKfPfPKlPlN2at6native12_GLOBAL__N_18offset_tEEE10hipError_tPvRmT1_PNSt15iterator_traitsISY_E10value_typeET2_T3_PNSZ_IS14_E10value_typeET4_jRbjT5_S1A_jjP12ihipStream_tbEUljE_EEESV_SW_SX_S14_S18_S1A_T6_T7_T9_mT8_S1C_bDpT10_ENKUlT_T0_E_clISt17integral_constantIbLb1EES1P_EEDaS1K_S1L_EUlS1K_E_NS1_11comp_targetILNS1_3genE9ELNS1_11target_archE1100ELNS1_3gpuE3ELNS1_3repE0EEENS1_30default_config_static_selectorELNS0_4arch9wavefront6targetE0EEEvSY_,@function
_ZN7rocprim17ROCPRIM_400000_NS6detail17trampoline_kernelINS0_13select_configILj256ELj13ELNS0_17block_load_methodE3ELS4_3ELS4_3ELNS0_20block_scan_algorithmE0ELj4294967295EEENS1_25partition_config_selectorILNS1_17partition_subalgoE3EjNS0_10empty_typeEbEEZZNS1_14partition_implILS8_3ELb0ES6_jNS0_17counting_iteratorIjlEEPS9_SE_NS0_5tupleIJPjSE_EEENSF_IJSE_SE_EEES9_SG_JZNS1_25segmented_radix_sort_implINS0_14default_configELb0EPKfPfPKlPlN2at6native12_GLOBAL__N_18offset_tEEE10hipError_tPvRmT1_PNSt15iterator_traitsISY_E10value_typeET2_T3_PNSZ_IS14_E10value_typeET4_jRbjT5_S1A_jjP12ihipStream_tbEUljE_EEESV_SW_SX_S14_S18_S1A_T6_T7_T9_mT8_S1C_bDpT10_ENKUlT_T0_E_clISt17integral_constantIbLb1EES1P_EEDaS1K_S1L_EUlS1K_E_NS1_11comp_targetILNS1_3genE9ELNS1_11target_archE1100ELNS1_3gpuE3ELNS1_3repE0EEENS1_30default_config_static_selectorELNS0_4arch9wavefront6targetE0EEEvSY_: ; @_ZN7rocprim17ROCPRIM_400000_NS6detail17trampoline_kernelINS0_13select_configILj256ELj13ELNS0_17block_load_methodE3ELS4_3ELS4_3ELNS0_20block_scan_algorithmE0ELj4294967295EEENS1_25partition_config_selectorILNS1_17partition_subalgoE3EjNS0_10empty_typeEbEEZZNS1_14partition_implILS8_3ELb0ES6_jNS0_17counting_iteratorIjlEEPS9_SE_NS0_5tupleIJPjSE_EEENSF_IJSE_SE_EEES9_SG_JZNS1_25segmented_radix_sort_implINS0_14default_configELb0EPKfPfPKlPlN2at6native12_GLOBAL__N_18offset_tEEE10hipError_tPvRmT1_PNSt15iterator_traitsISY_E10value_typeET2_T3_PNSZ_IS14_E10value_typeET4_jRbjT5_S1A_jjP12ihipStream_tbEUljE_EEESV_SW_SX_S14_S18_S1A_T6_T7_T9_mT8_S1C_bDpT10_ENKUlT_T0_E_clISt17integral_constantIbLb1EES1P_EEDaS1K_S1L_EUlS1K_E_NS1_11comp_targetILNS1_3genE9ELNS1_11target_archE1100ELNS1_3gpuE3ELNS1_3repE0EEENS1_30default_config_static_selectorELNS0_4arch9wavefront6targetE0EEEvSY_
; %bb.0:
	.section	.rodata,"a",@progbits
	.p2align	6, 0x0
	.amdhsa_kernel _ZN7rocprim17ROCPRIM_400000_NS6detail17trampoline_kernelINS0_13select_configILj256ELj13ELNS0_17block_load_methodE3ELS4_3ELS4_3ELNS0_20block_scan_algorithmE0ELj4294967295EEENS1_25partition_config_selectorILNS1_17partition_subalgoE3EjNS0_10empty_typeEbEEZZNS1_14partition_implILS8_3ELb0ES6_jNS0_17counting_iteratorIjlEEPS9_SE_NS0_5tupleIJPjSE_EEENSF_IJSE_SE_EEES9_SG_JZNS1_25segmented_radix_sort_implINS0_14default_configELb0EPKfPfPKlPlN2at6native12_GLOBAL__N_18offset_tEEE10hipError_tPvRmT1_PNSt15iterator_traitsISY_E10value_typeET2_T3_PNSZ_IS14_E10value_typeET4_jRbjT5_S1A_jjP12ihipStream_tbEUljE_EEESV_SW_SX_S14_S18_S1A_T6_T7_T9_mT8_S1C_bDpT10_ENKUlT_T0_E_clISt17integral_constantIbLb1EES1P_EEDaS1K_S1L_EUlS1K_E_NS1_11comp_targetILNS1_3genE9ELNS1_11target_archE1100ELNS1_3gpuE3ELNS1_3repE0EEENS1_30default_config_static_selectorELNS0_4arch9wavefront6targetE0EEEvSY_
		.amdhsa_group_segment_fixed_size 0
		.amdhsa_private_segment_fixed_size 0
		.amdhsa_kernarg_size 152
		.amdhsa_user_sgpr_count 2
		.amdhsa_user_sgpr_dispatch_ptr 0
		.amdhsa_user_sgpr_queue_ptr 0
		.amdhsa_user_sgpr_kernarg_segment_ptr 1
		.amdhsa_user_sgpr_dispatch_id 0
		.amdhsa_user_sgpr_kernarg_preload_length 0
		.amdhsa_user_sgpr_kernarg_preload_offset 0
		.amdhsa_user_sgpr_private_segment_size 0
		.amdhsa_wavefront_size32 1
		.amdhsa_uses_dynamic_stack 0
		.amdhsa_enable_private_segment 0
		.amdhsa_system_sgpr_workgroup_id_x 1
		.amdhsa_system_sgpr_workgroup_id_y 0
		.amdhsa_system_sgpr_workgroup_id_z 0
		.amdhsa_system_sgpr_workgroup_info 0
		.amdhsa_system_vgpr_workitem_id 0
		.amdhsa_next_free_vgpr 1
		.amdhsa_next_free_sgpr 1
		.amdhsa_named_barrier_count 0
		.amdhsa_reserve_vcc 0
		.amdhsa_float_round_mode_32 0
		.amdhsa_float_round_mode_16_64 0
		.amdhsa_float_denorm_mode_32 3
		.amdhsa_float_denorm_mode_16_64 3
		.amdhsa_fp16_overflow 0
		.amdhsa_memory_ordered 1
		.amdhsa_forward_progress 1
		.amdhsa_inst_pref_size 0
		.amdhsa_round_robin_scheduling 0
		.amdhsa_exception_fp_ieee_invalid_op 0
		.amdhsa_exception_fp_denorm_src 0
		.amdhsa_exception_fp_ieee_div_zero 0
		.amdhsa_exception_fp_ieee_overflow 0
		.amdhsa_exception_fp_ieee_underflow 0
		.amdhsa_exception_fp_ieee_inexact 0
		.amdhsa_exception_int_div_zero 0
	.end_amdhsa_kernel
	.section	.text._ZN7rocprim17ROCPRIM_400000_NS6detail17trampoline_kernelINS0_13select_configILj256ELj13ELNS0_17block_load_methodE3ELS4_3ELS4_3ELNS0_20block_scan_algorithmE0ELj4294967295EEENS1_25partition_config_selectorILNS1_17partition_subalgoE3EjNS0_10empty_typeEbEEZZNS1_14partition_implILS8_3ELb0ES6_jNS0_17counting_iteratorIjlEEPS9_SE_NS0_5tupleIJPjSE_EEENSF_IJSE_SE_EEES9_SG_JZNS1_25segmented_radix_sort_implINS0_14default_configELb0EPKfPfPKlPlN2at6native12_GLOBAL__N_18offset_tEEE10hipError_tPvRmT1_PNSt15iterator_traitsISY_E10value_typeET2_T3_PNSZ_IS14_E10value_typeET4_jRbjT5_S1A_jjP12ihipStream_tbEUljE_EEESV_SW_SX_S14_S18_S1A_T6_T7_T9_mT8_S1C_bDpT10_ENKUlT_T0_E_clISt17integral_constantIbLb1EES1P_EEDaS1K_S1L_EUlS1K_E_NS1_11comp_targetILNS1_3genE9ELNS1_11target_archE1100ELNS1_3gpuE3ELNS1_3repE0EEENS1_30default_config_static_selectorELNS0_4arch9wavefront6targetE0EEEvSY_,"axG",@progbits,_ZN7rocprim17ROCPRIM_400000_NS6detail17trampoline_kernelINS0_13select_configILj256ELj13ELNS0_17block_load_methodE3ELS4_3ELS4_3ELNS0_20block_scan_algorithmE0ELj4294967295EEENS1_25partition_config_selectorILNS1_17partition_subalgoE3EjNS0_10empty_typeEbEEZZNS1_14partition_implILS8_3ELb0ES6_jNS0_17counting_iteratorIjlEEPS9_SE_NS0_5tupleIJPjSE_EEENSF_IJSE_SE_EEES9_SG_JZNS1_25segmented_radix_sort_implINS0_14default_configELb0EPKfPfPKlPlN2at6native12_GLOBAL__N_18offset_tEEE10hipError_tPvRmT1_PNSt15iterator_traitsISY_E10value_typeET2_T3_PNSZ_IS14_E10value_typeET4_jRbjT5_S1A_jjP12ihipStream_tbEUljE_EEESV_SW_SX_S14_S18_S1A_T6_T7_T9_mT8_S1C_bDpT10_ENKUlT_T0_E_clISt17integral_constantIbLb1EES1P_EEDaS1K_S1L_EUlS1K_E_NS1_11comp_targetILNS1_3genE9ELNS1_11target_archE1100ELNS1_3gpuE3ELNS1_3repE0EEENS1_30default_config_static_selectorELNS0_4arch9wavefront6targetE0EEEvSY_,comdat
.Lfunc_end1403:
	.size	_ZN7rocprim17ROCPRIM_400000_NS6detail17trampoline_kernelINS0_13select_configILj256ELj13ELNS0_17block_load_methodE3ELS4_3ELS4_3ELNS0_20block_scan_algorithmE0ELj4294967295EEENS1_25partition_config_selectorILNS1_17partition_subalgoE3EjNS0_10empty_typeEbEEZZNS1_14partition_implILS8_3ELb0ES6_jNS0_17counting_iteratorIjlEEPS9_SE_NS0_5tupleIJPjSE_EEENSF_IJSE_SE_EEES9_SG_JZNS1_25segmented_radix_sort_implINS0_14default_configELb0EPKfPfPKlPlN2at6native12_GLOBAL__N_18offset_tEEE10hipError_tPvRmT1_PNSt15iterator_traitsISY_E10value_typeET2_T3_PNSZ_IS14_E10value_typeET4_jRbjT5_S1A_jjP12ihipStream_tbEUljE_EEESV_SW_SX_S14_S18_S1A_T6_T7_T9_mT8_S1C_bDpT10_ENKUlT_T0_E_clISt17integral_constantIbLb1EES1P_EEDaS1K_S1L_EUlS1K_E_NS1_11comp_targetILNS1_3genE9ELNS1_11target_archE1100ELNS1_3gpuE3ELNS1_3repE0EEENS1_30default_config_static_selectorELNS0_4arch9wavefront6targetE0EEEvSY_, .Lfunc_end1403-_ZN7rocprim17ROCPRIM_400000_NS6detail17trampoline_kernelINS0_13select_configILj256ELj13ELNS0_17block_load_methodE3ELS4_3ELS4_3ELNS0_20block_scan_algorithmE0ELj4294967295EEENS1_25partition_config_selectorILNS1_17partition_subalgoE3EjNS0_10empty_typeEbEEZZNS1_14partition_implILS8_3ELb0ES6_jNS0_17counting_iteratorIjlEEPS9_SE_NS0_5tupleIJPjSE_EEENSF_IJSE_SE_EEES9_SG_JZNS1_25segmented_radix_sort_implINS0_14default_configELb0EPKfPfPKlPlN2at6native12_GLOBAL__N_18offset_tEEE10hipError_tPvRmT1_PNSt15iterator_traitsISY_E10value_typeET2_T3_PNSZ_IS14_E10value_typeET4_jRbjT5_S1A_jjP12ihipStream_tbEUljE_EEESV_SW_SX_S14_S18_S1A_T6_T7_T9_mT8_S1C_bDpT10_ENKUlT_T0_E_clISt17integral_constantIbLb1EES1P_EEDaS1K_S1L_EUlS1K_E_NS1_11comp_targetILNS1_3genE9ELNS1_11target_archE1100ELNS1_3gpuE3ELNS1_3repE0EEENS1_30default_config_static_selectorELNS0_4arch9wavefront6targetE0EEEvSY_
                                        ; -- End function
	.set _ZN7rocprim17ROCPRIM_400000_NS6detail17trampoline_kernelINS0_13select_configILj256ELj13ELNS0_17block_load_methodE3ELS4_3ELS4_3ELNS0_20block_scan_algorithmE0ELj4294967295EEENS1_25partition_config_selectorILNS1_17partition_subalgoE3EjNS0_10empty_typeEbEEZZNS1_14partition_implILS8_3ELb0ES6_jNS0_17counting_iteratorIjlEEPS9_SE_NS0_5tupleIJPjSE_EEENSF_IJSE_SE_EEES9_SG_JZNS1_25segmented_radix_sort_implINS0_14default_configELb0EPKfPfPKlPlN2at6native12_GLOBAL__N_18offset_tEEE10hipError_tPvRmT1_PNSt15iterator_traitsISY_E10value_typeET2_T3_PNSZ_IS14_E10value_typeET4_jRbjT5_S1A_jjP12ihipStream_tbEUljE_EEESV_SW_SX_S14_S18_S1A_T6_T7_T9_mT8_S1C_bDpT10_ENKUlT_T0_E_clISt17integral_constantIbLb1EES1P_EEDaS1K_S1L_EUlS1K_E_NS1_11comp_targetILNS1_3genE9ELNS1_11target_archE1100ELNS1_3gpuE3ELNS1_3repE0EEENS1_30default_config_static_selectorELNS0_4arch9wavefront6targetE0EEEvSY_.num_vgpr, 0
	.set _ZN7rocprim17ROCPRIM_400000_NS6detail17trampoline_kernelINS0_13select_configILj256ELj13ELNS0_17block_load_methodE3ELS4_3ELS4_3ELNS0_20block_scan_algorithmE0ELj4294967295EEENS1_25partition_config_selectorILNS1_17partition_subalgoE3EjNS0_10empty_typeEbEEZZNS1_14partition_implILS8_3ELb0ES6_jNS0_17counting_iteratorIjlEEPS9_SE_NS0_5tupleIJPjSE_EEENSF_IJSE_SE_EEES9_SG_JZNS1_25segmented_radix_sort_implINS0_14default_configELb0EPKfPfPKlPlN2at6native12_GLOBAL__N_18offset_tEEE10hipError_tPvRmT1_PNSt15iterator_traitsISY_E10value_typeET2_T3_PNSZ_IS14_E10value_typeET4_jRbjT5_S1A_jjP12ihipStream_tbEUljE_EEESV_SW_SX_S14_S18_S1A_T6_T7_T9_mT8_S1C_bDpT10_ENKUlT_T0_E_clISt17integral_constantIbLb1EES1P_EEDaS1K_S1L_EUlS1K_E_NS1_11comp_targetILNS1_3genE9ELNS1_11target_archE1100ELNS1_3gpuE3ELNS1_3repE0EEENS1_30default_config_static_selectorELNS0_4arch9wavefront6targetE0EEEvSY_.num_agpr, 0
	.set _ZN7rocprim17ROCPRIM_400000_NS6detail17trampoline_kernelINS0_13select_configILj256ELj13ELNS0_17block_load_methodE3ELS4_3ELS4_3ELNS0_20block_scan_algorithmE0ELj4294967295EEENS1_25partition_config_selectorILNS1_17partition_subalgoE3EjNS0_10empty_typeEbEEZZNS1_14partition_implILS8_3ELb0ES6_jNS0_17counting_iteratorIjlEEPS9_SE_NS0_5tupleIJPjSE_EEENSF_IJSE_SE_EEES9_SG_JZNS1_25segmented_radix_sort_implINS0_14default_configELb0EPKfPfPKlPlN2at6native12_GLOBAL__N_18offset_tEEE10hipError_tPvRmT1_PNSt15iterator_traitsISY_E10value_typeET2_T3_PNSZ_IS14_E10value_typeET4_jRbjT5_S1A_jjP12ihipStream_tbEUljE_EEESV_SW_SX_S14_S18_S1A_T6_T7_T9_mT8_S1C_bDpT10_ENKUlT_T0_E_clISt17integral_constantIbLb1EES1P_EEDaS1K_S1L_EUlS1K_E_NS1_11comp_targetILNS1_3genE9ELNS1_11target_archE1100ELNS1_3gpuE3ELNS1_3repE0EEENS1_30default_config_static_selectorELNS0_4arch9wavefront6targetE0EEEvSY_.numbered_sgpr, 0
	.set _ZN7rocprim17ROCPRIM_400000_NS6detail17trampoline_kernelINS0_13select_configILj256ELj13ELNS0_17block_load_methodE3ELS4_3ELS4_3ELNS0_20block_scan_algorithmE0ELj4294967295EEENS1_25partition_config_selectorILNS1_17partition_subalgoE3EjNS0_10empty_typeEbEEZZNS1_14partition_implILS8_3ELb0ES6_jNS0_17counting_iteratorIjlEEPS9_SE_NS0_5tupleIJPjSE_EEENSF_IJSE_SE_EEES9_SG_JZNS1_25segmented_radix_sort_implINS0_14default_configELb0EPKfPfPKlPlN2at6native12_GLOBAL__N_18offset_tEEE10hipError_tPvRmT1_PNSt15iterator_traitsISY_E10value_typeET2_T3_PNSZ_IS14_E10value_typeET4_jRbjT5_S1A_jjP12ihipStream_tbEUljE_EEESV_SW_SX_S14_S18_S1A_T6_T7_T9_mT8_S1C_bDpT10_ENKUlT_T0_E_clISt17integral_constantIbLb1EES1P_EEDaS1K_S1L_EUlS1K_E_NS1_11comp_targetILNS1_3genE9ELNS1_11target_archE1100ELNS1_3gpuE3ELNS1_3repE0EEENS1_30default_config_static_selectorELNS0_4arch9wavefront6targetE0EEEvSY_.num_named_barrier, 0
	.set _ZN7rocprim17ROCPRIM_400000_NS6detail17trampoline_kernelINS0_13select_configILj256ELj13ELNS0_17block_load_methodE3ELS4_3ELS4_3ELNS0_20block_scan_algorithmE0ELj4294967295EEENS1_25partition_config_selectorILNS1_17partition_subalgoE3EjNS0_10empty_typeEbEEZZNS1_14partition_implILS8_3ELb0ES6_jNS0_17counting_iteratorIjlEEPS9_SE_NS0_5tupleIJPjSE_EEENSF_IJSE_SE_EEES9_SG_JZNS1_25segmented_radix_sort_implINS0_14default_configELb0EPKfPfPKlPlN2at6native12_GLOBAL__N_18offset_tEEE10hipError_tPvRmT1_PNSt15iterator_traitsISY_E10value_typeET2_T3_PNSZ_IS14_E10value_typeET4_jRbjT5_S1A_jjP12ihipStream_tbEUljE_EEESV_SW_SX_S14_S18_S1A_T6_T7_T9_mT8_S1C_bDpT10_ENKUlT_T0_E_clISt17integral_constantIbLb1EES1P_EEDaS1K_S1L_EUlS1K_E_NS1_11comp_targetILNS1_3genE9ELNS1_11target_archE1100ELNS1_3gpuE3ELNS1_3repE0EEENS1_30default_config_static_selectorELNS0_4arch9wavefront6targetE0EEEvSY_.private_seg_size, 0
	.set _ZN7rocprim17ROCPRIM_400000_NS6detail17trampoline_kernelINS0_13select_configILj256ELj13ELNS0_17block_load_methodE3ELS4_3ELS4_3ELNS0_20block_scan_algorithmE0ELj4294967295EEENS1_25partition_config_selectorILNS1_17partition_subalgoE3EjNS0_10empty_typeEbEEZZNS1_14partition_implILS8_3ELb0ES6_jNS0_17counting_iteratorIjlEEPS9_SE_NS0_5tupleIJPjSE_EEENSF_IJSE_SE_EEES9_SG_JZNS1_25segmented_radix_sort_implINS0_14default_configELb0EPKfPfPKlPlN2at6native12_GLOBAL__N_18offset_tEEE10hipError_tPvRmT1_PNSt15iterator_traitsISY_E10value_typeET2_T3_PNSZ_IS14_E10value_typeET4_jRbjT5_S1A_jjP12ihipStream_tbEUljE_EEESV_SW_SX_S14_S18_S1A_T6_T7_T9_mT8_S1C_bDpT10_ENKUlT_T0_E_clISt17integral_constantIbLb1EES1P_EEDaS1K_S1L_EUlS1K_E_NS1_11comp_targetILNS1_3genE9ELNS1_11target_archE1100ELNS1_3gpuE3ELNS1_3repE0EEENS1_30default_config_static_selectorELNS0_4arch9wavefront6targetE0EEEvSY_.uses_vcc, 0
	.set _ZN7rocprim17ROCPRIM_400000_NS6detail17trampoline_kernelINS0_13select_configILj256ELj13ELNS0_17block_load_methodE3ELS4_3ELS4_3ELNS0_20block_scan_algorithmE0ELj4294967295EEENS1_25partition_config_selectorILNS1_17partition_subalgoE3EjNS0_10empty_typeEbEEZZNS1_14partition_implILS8_3ELb0ES6_jNS0_17counting_iteratorIjlEEPS9_SE_NS0_5tupleIJPjSE_EEENSF_IJSE_SE_EEES9_SG_JZNS1_25segmented_radix_sort_implINS0_14default_configELb0EPKfPfPKlPlN2at6native12_GLOBAL__N_18offset_tEEE10hipError_tPvRmT1_PNSt15iterator_traitsISY_E10value_typeET2_T3_PNSZ_IS14_E10value_typeET4_jRbjT5_S1A_jjP12ihipStream_tbEUljE_EEESV_SW_SX_S14_S18_S1A_T6_T7_T9_mT8_S1C_bDpT10_ENKUlT_T0_E_clISt17integral_constantIbLb1EES1P_EEDaS1K_S1L_EUlS1K_E_NS1_11comp_targetILNS1_3genE9ELNS1_11target_archE1100ELNS1_3gpuE3ELNS1_3repE0EEENS1_30default_config_static_selectorELNS0_4arch9wavefront6targetE0EEEvSY_.uses_flat_scratch, 0
	.set _ZN7rocprim17ROCPRIM_400000_NS6detail17trampoline_kernelINS0_13select_configILj256ELj13ELNS0_17block_load_methodE3ELS4_3ELS4_3ELNS0_20block_scan_algorithmE0ELj4294967295EEENS1_25partition_config_selectorILNS1_17partition_subalgoE3EjNS0_10empty_typeEbEEZZNS1_14partition_implILS8_3ELb0ES6_jNS0_17counting_iteratorIjlEEPS9_SE_NS0_5tupleIJPjSE_EEENSF_IJSE_SE_EEES9_SG_JZNS1_25segmented_radix_sort_implINS0_14default_configELb0EPKfPfPKlPlN2at6native12_GLOBAL__N_18offset_tEEE10hipError_tPvRmT1_PNSt15iterator_traitsISY_E10value_typeET2_T3_PNSZ_IS14_E10value_typeET4_jRbjT5_S1A_jjP12ihipStream_tbEUljE_EEESV_SW_SX_S14_S18_S1A_T6_T7_T9_mT8_S1C_bDpT10_ENKUlT_T0_E_clISt17integral_constantIbLb1EES1P_EEDaS1K_S1L_EUlS1K_E_NS1_11comp_targetILNS1_3genE9ELNS1_11target_archE1100ELNS1_3gpuE3ELNS1_3repE0EEENS1_30default_config_static_selectorELNS0_4arch9wavefront6targetE0EEEvSY_.has_dyn_sized_stack, 0
	.set _ZN7rocprim17ROCPRIM_400000_NS6detail17trampoline_kernelINS0_13select_configILj256ELj13ELNS0_17block_load_methodE3ELS4_3ELS4_3ELNS0_20block_scan_algorithmE0ELj4294967295EEENS1_25partition_config_selectorILNS1_17partition_subalgoE3EjNS0_10empty_typeEbEEZZNS1_14partition_implILS8_3ELb0ES6_jNS0_17counting_iteratorIjlEEPS9_SE_NS0_5tupleIJPjSE_EEENSF_IJSE_SE_EEES9_SG_JZNS1_25segmented_radix_sort_implINS0_14default_configELb0EPKfPfPKlPlN2at6native12_GLOBAL__N_18offset_tEEE10hipError_tPvRmT1_PNSt15iterator_traitsISY_E10value_typeET2_T3_PNSZ_IS14_E10value_typeET4_jRbjT5_S1A_jjP12ihipStream_tbEUljE_EEESV_SW_SX_S14_S18_S1A_T6_T7_T9_mT8_S1C_bDpT10_ENKUlT_T0_E_clISt17integral_constantIbLb1EES1P_EEDaS1K_S1L_EUlS1K_E_NS1_11comp_targetILNS1_3genE9ELNS1_11target_archE1100ELNS1_3gpuE3ELNS1_3repE0EEENS1_30default_config_static_selectorELNS0_4arch9wavefront6targetE0EEEvSY_.has_recursion, 0
	.set _ZN7rocprim17ROCPRIM_400000_NS6detail17trampoline_kernelINS0_13select_configILj256ELj13ELNS0_17block_load_methodE3ELS4_3ELS4_3ELNS0_20block_scan_algorithmE0ELj4294967295EEENS1_25partition_config_selectorILNS1_17partition_subalgoE3EjNS0_10empty_typeEbEEZZNS1_14partition_implILS8_3ELb0ES6_jNS0_17counting_iteratorIjlEEPS9_SE_NS0_5tupleIJPjSE_EEENSF_IJSE_SE_EEES9_SG_JZNS1_25segmented_radix_sort_implINS0_14default_configELb0EPKfPfPKlPlN2at6native12_GLOBAL__N_18offset_tEEE10hipError_tPvRmT1_PNSt15iterator_traitsISY_E10value_typeET2_T3_PNSZ_IS14_E10value_typeET4_jRbjT5_S1A_jjP12ihipStream_tbEUljE_EEESV_SW_SX_S14_S18_S1A_T6_T7_T9_mT8_S1C_bDpT10_ENKUlT_T0_E_clISt17integral_constantIbLb1EES1P_EEDaS1K_S1L_EUlS1K_E_NS1_11comp_targetILNS1_3genE9ELNS1_11target_archE1100ELNS1_3gpuE3ELNS1_3repE0EEENS1_30default_config_static_selectorELNS0_4arch9wavefront6targetE0EEEvSY_.has_indirect_call, 0
	.section	.AMDGPU.csdata,"",@progbits
; Kernel info:
; codeLenInByte = 0
; TotalNumSgprs: 0
; NumVgprs: 0
; ScratchSize: 0
; MemoryBound: 0
; FloatMode: 240
; IeeeMode: 1
; LDSByteSize: 0 bytes/workgroup (compile time only)
; SGPRBlocks: 0
; VGPRBlocks: 0
; NumSGPRsForWavesPerEU: 1
; NumVGPRsForWavesPerEU: 1
; NamedBarCnt: 0
; Occupancy: 16
; WaveLimiterHint : 0
; COMPUTE_PGM_RSRC2:SCRATCH_EN: 0
; COMPUTE_PGM_RSRC2:USER_SGPR: 2
; COMPUTE_PGM_RSRC2:TRAP_HANDLER: 0
; COMPUTE_PGM_RSRC2:TGID_X_EN: 1
; COMPUTE_PGM_RSRC2:TGID_Y_EN: 0
; COMPUTE_PGM_RSRC2:TGID_Z_EN: 0
; COMPUTE_PGM_RSRC2:TIDIG_COMP_CNT: 0
	.section	.text._ZN7rocprim17ROCPRIM_400000_NS6detail17trampoline_kernelINS0_13select_configILj256ELj13ELNS0_17block_load_methodE3ELS4_3ELS4_3ELNS0_20block_scan_algorithmE0ELj4294967295EEENS1_25partition_config_selectorILNS1_17partition_subalgoE3EjNS0_10empty_typeEbEEZZNS1_14partition_implILS8_3ELb0ES6_jNS0_17counting_iteratorIjlEEPS9_SE_NS0_5tupleIJPjSE_EEENSF_IJSE_SE_EEES9_SG_JZNS1_25segmented_radix_sort_implINS0_14default_configELb0EPKfPfPKlPlN2at6native12_GLOBAL__N_18offset_tEEE10hipError_tPvRmT1_PNSt15iterator_traitsISY_E10value_typeET2_T3_PNSZ_IS14_E10value_typeET4_jRbjT5_S1A_jjP12ihipStream_tbEUljE_EEESV_SW_SX_S14_S18_S1A_T6_T7_T9_mT8_S1C_bDpT10_ENKUlT_T0_E_clISt17integral_constantIbLb1EES1P_EEDaS1K_S1L_EUlS1K_E_NS1_11comp_targetILNS1_3genE8ELNS1_11target_archE1030ELNS1_3gpuE2ELNS1_3repE0EEENS1_30default_config_static_selectorELNS0_4arch9wavefront6targetE0EEEvSY_,"axG",@progbits,_ZN7rocprim17ROCPRIM_400000_NS6detail17trampoline_kernelINS0_13select_configILj256ELj13ELNS0_17block_load_methodE3ELS4_3ELS4_3ELNS0_20block_scan_algorithmE0ELj4294967295EEENS1_25partition_config_selectorILNS1_17partition_subalgoE3EjNS0_10empty_typeEbEEZZNS1_14partition_implILS8_3ELb0ES6_jNS0_17counting_iteratorIjlEEPS9_SE_NS0_5tupleIJPjSE_EEENSF_IJSE_SE_EEES9_SG_JZNS1_25segmented_radix_sort_implINS0_14default_configELb0EPKfPfPKlPlN2at6native12_GLOBAL__N_18offset_tEEE10hipError_tPvRmT1_PNSt15iterator_traitsISY_E10value_typeET2_T3_PNSZ_IS14_E10value_typeET4_jRbjT5_S1A_jjP12ihipStream_tbEUljE_EEESV_SW_SX_S14_S18_S1A_T6_T7_T9_mT8_S1C_bDpT10_ENKUlT_T0_E_clISt17integral_constantIbLb1EES1P_EEDaS1K_S1L_EUlS1K_E_NS1_11comp_targetILNS1_3genE8ELNS1_11target_archE1030ELNS1_3gpuE2ELNS1_3repE0EEENS1_30default_config_static_selectorELNS0_4arch9wavefront6targetE0EEEvSY_,comdat
	.globl	_ZN7rocprim17ROCPRIM_400000_NS6detail17trampoline_kernelINS0_13select_configILj256ELj13ELNS0_17block_load_methodE3ELS4_3ELS4_3ELNS0_20block_scan_algorithmE0ELj4294967295EEENS1_25partition_config_selectorILNS1_17partition_subalgoE3EjNS0_10empty_typeEbEEZZNS1_14partition_implILS8_3ELb0ES6_jNS0_17counting_iteratorIjlEEPS9_SE_NS0_5tupleIJPjSE_EEENSF_IJSE_SE_EEES9_SG_JZNS1_25segmented_radix_sort_implINS0_14default_configELb0EPKfPfPKlPlN2at6native12_GLOBAL__N_18offset_tEEE10hipError_tPvRmT1_PNSt15iterator_traitsISY_E10value_typeET2_T3_PNSZ_IS14_E10value_typeET4_jRbjT5_S1A_jjP12ihipStream_tbEUljE_EEESV_SW_SX_S14_S18_S1A_T6_T7_T9_mT8_S1C_bDpT10_ENKUlT_T0_E_clISt17integral_constantIbLb1EES1P_EEDaS1K_S1L_EUlS1K_E_NS1_11comp_targetILNS1_3genE8ELNS1_11target_archE1030ELNS1_3gpuE2ELNS1_3repE0EEENS1_30default_config_static_selectorELNS0_4arch9wavefront6targetE0EEEvSY_ ; -- Begin function _ZN7rocprim17ROCPRIM_400000_NS6detail17trampoline_kernelINS0_13select_configILj256ELj13ELNS0_17block_load_methodE3ELS4_3ELS4_3ELNS0_20block_scan_algorithmE0ELj4294967295EEENS1_25partition_config_selectorILNS1_17partition_subalgoE3EjNS0_10empty_typeEbEEZZNS1_14partition_implILS8_3ELb0ES6_jNS0_17counting_iteratorIjlEEPS9_SE_NS0_5tupleIJPjSE_EEENSF_IJSE_SE_EEES9_SG_JZNS1_25segmented_radix_sort_implINS0_14default_configELb0EPKfPfPKlPlN2at6native12_GLOBAL__N_18offset_tEEE10hipError_tPvRmT1_PNSt15iterator_traitsISY_E10value_typeET2_T3_PNSZ_IS14_E10value_typeET4_jRbjT5_S1A_jjP12ihipStream_tbEUljE_EEESV_SW_SX_S14_S18_S1A_T6_T7_T9_mT8_S1C_bDpT10_ENKUlT_T0_E_clISt17integral_constantIbLb1EES1P_EEDaS1K_S1L_EUlS1K_E_NS1_11comp_targetILNS1_3genE8ELNS1_11target_archE1030ELNS1_3gpuE2ELNS1_3repE0EEENS1_30default_config_static_selectorELNS0_4arch9wavefront6targetE0EEEvSY_
	.p2align	8
	.type	_ZN7rocprim17ROCPRIM_400000_NS6detail17trampoline_kernelINS0_13select_configILj256ELj13ELNS0_17block_load_methodE3ELS4_3ELS4_3ELNS0_20block_scan_algorithmE0ELj4294967295EEENS1_25partition_config_selectorILNS1_17partition_subalgoE3EjNS0_10empty_typeEbEEZZNS1_14partition_implILS8_3ELb0ES6_jNS0_17counting_iteratorIjlEEPS9_SE_NS0_5tupleIJPjSE_EEENSF_IJSE_SE_EEES9_SG_JZNS1_25segmented_radix_sort_implINS0_14default_configELb0EPKfPfPKlPlN2at6native12_GLOBAL__N_18offset_tEEE10hipError_tPvRmT1_PNSt15iterator_traitsISY_E10value_typeET2_T3_PNSZ_IS14_E10value_typeET4_jRbjT5_S1A_jjP12ihipStream_tbEUljE_EEESV_SW_SX_S14_S18_S1A_T6_T7_T9_mT8_S1C_bDpT10_ENKUlT_T0_E_clISt17integral_constantIbLb1EES1P_EEDaS1K_S1L_EUlS1K_E_NS1_11comp_targetILNS1_3genE8ELNS1_11target_archE1030ELNS1_3gpuE2ELNS1_3repE0EEENS1_30default_config_static_selectorELNS0_4arch9wavefront6targetE0EEEvSY_,@function
_ZN7rocprim17ROCPRIM_400000_NS6detail17trampoline_kernelINS0_13select_configILj256ELj13ELNS0_17block_load_methodE3ELS4_3ELS4_3ELNS0_20block_scan_algorithmE0ELj4294967295EEENS1_25partition_config_selectorILNS1_17partition_subalgoE3EjNS0_10empty_typeEbEEZZNS1_14partition_implILS8_3ELb0ES6_jNS0_17counting_iteratorIjlEEPS9_SE_NS0_5tupleIJPjSE_EEENSF_IJSE_SE_EEES9_SG_JZNS1_25segmented_radix_sort_implINS0_14default_configELb0EPKfPfPKlPlN2at6native12_GLOBAL__N_18offset_tEEE10hipError_tPvRmT1_PNSt15iterator_traitsISY_E10value_typeET2_T3_PNSZ_IS14_E10value_typeET4_jRbjT5_S1A_jjP12ihipStream_tbEUljE_EEESV_SW_SX_S14_S18_S1A_T6_T7_T9_mT8_S1C_bDpT10_ENKUlT_T0_E_clISt17integral_constantIbLb1EES1P_EEDaS1K_S1L_EUlS1K_E_NS1_11comp_targetILNS1_3genE8ELNS1_11target_archE1030ELNS1_3gpuE2ELNS1_3repE0EEENS1_30default_config_static_selectorELNS0_4arch9wavefront6targetE0EEEvSY_: ; @_ZN7rocprim17ROCPRIM_400000_NS6detail17trampoline_kernelINS0_13select_configILj256ELj13ELNS0_17block_load_methodE3ELS4_3ELS4_3ELNS0_20block_scan_algorithmE0ELj4294967295EEENS1_25partition_config_selectorILNS1_17partition_subalgoE3EjNS0_10empty_typeEbEEZZNS1_14partition_implILS8_3ELb0ES6_jNS0_17counting_iteratorIjlEEPS9_SE_NS0_5tupleIJPjSE_EEENSF_IJSE_SE_EEES9_SG_JZNS1_25segmented_radix_sort_implINS0_14default_configELb0EPKfPfPKlPlN2at6native12_GLOBAL__N_18offset_tEEE10hipError_tPvRmT1_PNSt15iterator_traitsISY_E10value_typeET2_T3_PNSZ_IS14_E10value_typeET4_jRbjT5_S1A_jjP12ihipStream_tbEUljE_EEESV_SW_SX_S14_S18_S1A_T6_T7_T9_mT8_S1C_bDpT10_ENKUlT_T0_E_clISt17integral_constantIbLb1EES1P_EEDaS1K_S1L_EUlS1K_E_NS1_11comp_targetILNS1_3genE8ELNS1_11target_archE1030ELNS1_3gpuE2ELNS1_3repE0EEENS1_30default_config_static_selectorELNS0_4arch9wavefront6targetE0EEEvSY_
; %bb.0:
	.section	.rodata,"a",@progbits
	.p2align	6, 0x0
	.amdhsa_kernel _ZN7rocprim17ROCPRIM_400000_NS6detail17trampoline_kernelINS0_13select_configILj256ELj13ELNS0_17block_load_methodE3ELS4_3ELS4_3ELNS0_20block_scan_algorithmE0ELj4294967295EEENS1_25partition_config_selectorILNS1_17partition_subalgoE3EjNS0_10empty_typeEbEEZZNS1_14partition_implILS8_3ELb0ES6_jNS0_17counting_iteratorIjlEEPS9_SE_NS0_5tupleIJPjSE_EEENSF_IJSE_SE_EEES9_SG_JZNS1_25segmented_radix_sort_implINS0_14default_configELb0EPKfPfPKlPlN2at6native12_GLOBAL__N_18offset_tEEE10hipError_tPvRmT1_PNSt15iterator_traitsISY_E10value_typeET2_T3_PNSZ_IS14_E10value_typeET4_jRbjT5_S1A_jjP12ihipStream_tbEUljE_EEESV_SW_SX_S14_S18_S1A_T6_T7_T9_mT8_S1C_bDpT10_ENKUlT_T0_E_clISt17integral_constantIbLb1EES1P_EEDaS1K_S1L_EUlS1K_E_NS1_11comp_targetILNS1_3genE8ELNS1_11target_archE1030ELNS1_3gpuE2ELNS1_3repE0EEENS1_30default_config_static_selectorELNS0_4arch9wavefront6targetE0EEEvSY_
		.amdhsa_group_segment_fixed_size 0
		.amdhsa_private_segment_fixed_size 0
		.amdhsa_kernarg_size 152
		.amdhsa_user_sgpr_count 2
		.amdhsa_user_sgpr_dispatch_ptr 0
		.amdhsa_user_sgpr_queue_ptr 0
		.amdhsa_user_sgpr_kernarg_segment_ptr 1
		.amdhsa_user_sgpr_dispatch_id 0
		.amdhsa_user_sgpr_kernarg_preload_length 0
		.amdhsa_user_sgpr_kernarg_preload_offset 0
		.amdhsa_user_sgpr_private_segment_size 0
		.amdhsa_wavefront_size32 1
		.amdhsa_uses_dynamic_stack 0
		.amdhsa_enable_private_segment 0
		.amdhsa_system_sgpr_workgroup_id_x 1
		.amdhsa_system_sgpr_workgroup_id_y 0
		.amdhsa_system_sgpr_workgroup_id_z 0
		.amdhsa_system_sgpr_workgroup_info 0
		.amdhsa_system_vgpr_workitem_id 0
		.amdhsa_next_free_vgpr 1
		.amdhsa_next_free_sgpr 1
		.amdhsa_named_barrier_count 0
		.amdhsa_reserve_vcc 0
		.amdhsa_float_round_mode_32 0
		.amdhsa_float_round_mode_16_64 0
		.amdhsa_float_denorm_mode_32 3
		.amdhsa_float_denorm_mode_16_64 3
		.amdhsa_fp16_overflow 0
		.amdhsa_memory_ordered 1
		.amdhsa_forward_progress 1
		.amdhsa_inst_pref_size 0
		.amdhsa_round_robin_scheduling 0
		.amdhsa_exception_fp_ieee_invalid_op 0
		.amdhsa_exception_fp_denorm_src 0
		.amdhsa_exception_fp_ieee_div_zero 0
		.amdhsa_exception_fp_ieee_overflow 0
		.amdhsa_exception_fp_ieee_underflow 0
		.amdhsa_exception_fp_ieee_inexact 0
		.amdhsa_exception_int_div_zero 0
	.end_amdhsa_kernel
	.section	.text._ZN7rocprim17ROCPRIM_400000_NS6detail17trampoline_kernelINS0_13select_configILj256ELj13ELNS0_17block_load_methodE3ELS4_3ELS4_3ELNS0_20block_scan_algorithmE0ELj4294967295EEENS1_25partition_config_selectorILNS1_17partition_subalgoE3EjNS0_10empty_typeEbEEZZNS1_14partition_implILS8_3ELb0ES6_jNS0_17counting_iteratorIjlEEPS9_SE_NS0_5tupleIJPjSE_EEENSF_IJSE_SE_EEES9_SG_JZNS1_25segmented_radix_sort_implINS0_14default_configELb0EPKfPfPKlPlN2at6native12_GLOBAL__N_18offset_tEEE10hipError_tPvRmT1_PNSt15iterator_traitsISY_E10value_typeET2_T3_PNSZ_IS14_E10value_typeET4_jRbjT5_S1A_jjP12ihipStream_tbEUljE_EEESV_SW_SX_S14_S18_S1A_T6_T7_T9_mT8_S1C_bDpT10_ENKUlT_T0_E_clISt17integral_constantIbLb1EES1P_EEDaS1K_S1L_EUlS1K_E_NS1_11comp_targetILNS1_3genE8ELNS1_11target_archE1030ELNS1_3gpuE2ELNS1_3repE0EEENS1_30default_config_static_selectorELNS0_4arch9wavefront6targetE0EEEvSY_,"axG",@progbits,_ZN7rocprim17ROCPRIM_400000_NS6detail17trampoline_kernelINS0_13select_configILj256ELj13ELNS0_17block_load_methodE3ELS4_3ELS4_3ELNS0_20block_scan_algorithmE0ELj4294967295EEENS1_25partition_config_selectorILNS1_17partition_subalgoE3EjNS0_10empty_typeEbEEZZNS1_14partition_implILS8_3ELb0ES6_jNS0_17counting_iteratorIjlEEPS9_SE_NS0_5tupleIJPjSE_EEENSF_IJSE_SE_EEES9_SG_JZNS1_25segmented_radix_sort_implINS0_14default_configELb0EPKfPfPKlPlN2at6native12_GLOBAL__N_18offset_tEEE10hipError_tPvRmT1_PNSt15iterator_traitsISY_E10value_typeET2_T3_PNSZ_IS14_E10value_typeET4_jRbjT5_S1A_jjP12ihipStream_tbEUljE_EEESV_SW_SX_S14_S18_S1A_T6_T7_T9_mT8_S1C_bDpT10_ENKUlT_T0_E_clISt17integral_constantIbLb1EES1P_EEDaS1K_S1L_EUlS1K_E_NS1_11comp_targetILNS1_3genE8ELNS1_11target_archE1030ELNS1_3gpuE2ELNS1_3repE0EEENS1_30default_config_static_selectorELNS0_4arch9wavefront6targetE0EEEvSY_,comdat
.Lfunc_end1404:
	.size	_ZN7rocprim17ROCPRIM_400000_NS6detail17trampoline_kernelINS0_13select_configILj256ELj13ELNS0_17block_load_methodE3ELS4_3ELS4_3ELNS0_20block_scan_algorithmE0ELj4294967295EEENS1_25partition_config_selectorILNS1_17partition_subalgoE3EjNS0_10empty_typeEbEEZZNS1_14partition_implILS8_3ELb0ES6_jNS0_17counting_iteratorIjlEEPS9_SE_NS0_5tupleIJPjSE_EEENSF_IJSE_SE_EEES9_SG_JZNS1_25segmented_radix_sort_implINS0_14default_configELb0EPKfPfPKlPlN2at6native12_GLOBAL__N_18offset_tEEE10hipError_tPvRmT1_PNSt15iterator_traitsISY_E10value_typeET2_T3_PNSZ_IS14_E10value_typeET4_jRbjT5_S1A_jjP12ihipStream_tbEUljE_EEESV_SW_SX_S14_S18_S1A_T6_T7_T9_mT8_S1C_bDpT10_ENKUlT_T0_E_clISt17integral_constantIbLb1EES1P_EEDaS1K_S1L_EUlS1K_E_NS1_11comp_targetILNS1_3genE8ELNS1_11target_archE1030ELNS1_3gpuE2ELNS1_3repE0EEENS1_30default_config_static_selectorELNS0_4arch9wavefront6targetE0EEEvSY_, .Lfunc_end1404-_ZN7rocprim17ROCPRIM_400000_NS6detail17trampoline_kernelINS0_13select_configILj256ELj13ELNS0_17block_load_methodE3ELS4_3ELS4_3ELNS0_20block_scan_algorithmE0ELj4294967295EEENS1_25partition_config_selectorILNS1_17partition_subalgoE3EjNS0_10empty_typeEbEEZZNS1_14partition_implILS8_3ELb0ES6_jNS0_17counting_iteratorIjlEEPS9_SE_NS0_5tupleIJPjSE_EEENSF_IJSE_SE_EEES9_SG_JZNS1_25segmented_radix_sort_implINS0_14default_configELb0EPKfPfPKlPlN2at6native12_GLOBAL__N_18offset_tEEE10hipError_tPvRmT1_PNSt15iterator_traitsISY_E10value_typeET2_T3_PNSZ_IS14_E10value_typeET4_jRbjT5_S1A_jjP12ihipStream_tbEUljE_EEESV_SW_SX_S14_S18_S1A_T6_T7_T9_mT8_S1C_bDpT10_ENKUlT_T0_E_clISt17integral_constantIbLb1EES1P_EEDaS1K_S1L_EUlS1K_E_NS1_11comp_targetILNS1_3genE8ELNS1_11target_archE1030ELNS1_3gpuE2ELNS1_3repE0EEENS1_30default_config_static_selectorELNS0_4arch9wavefront6targetE0EEEvSY_
                                        ; -- End function
	.set _ZN7rocprim17ROCPRIM_400000_NS6detail17trampoline_kernelINS0_13select_configILj256ELj13ELNS0_17block_load_methodE3ELS4_3ELS4_3ELNS0_20block_scan_algorithmE0ELj4294967295EEENS1_25partition_config_selectorILNS1_17partition_subalgoE3EjNS0_10empty_typeEbEEZZNS1_14partition_implILS8_3ELb0ES6_jNS0_17counting_iteratorIjlEEPS9_SE_NS0_5tupleIJPjSE_EEENSF_IJSE_SE_EEES9_SG_JZNS1_25segmented_radix_sort_implINS0_14default_configELb0EPKfPfPKlPlN2at6native12_GLOBAL__N_18offset_tEEE10hipError_tPvRmT1_PNSt15iterator_traitsISY_E10value_typeET2_T3_PNSZ_IS14_E10value_typeET4_jRbjT5_S1A_jjP12ihipStream_tbEUljE_EEESV_SW_SX_S14_S18_S1A_T6_T7_T9_mT8_S1C_bDpT10_ENKUlT_T0_E_clISt17integral_constantIbLb1EES1P_EEDaS1K_S1L_EUlS1K_E_NS1_11comp_targetILNS1_3genE8ELNS1_11target_archE1030ELNS1_3gpuE2ELNS1_3repE0EEENS1_30default_config_static_selectorELNS0_4arch9wavefront6targetE0EEEvSY_.num_vgpr, 0
	.set _ZN7rocprim17ROCPRIM_400000_NS6detail17trampoline_kernelINS0_13select_configILj256ELj13ELNS0_17block_load_methodE3ELS4_3ELS4_3ELNS0_20block_scan_algorithmE0ELj4294967295EEENS1_25partition_config_selectorILNS1_17partition_subalgoE3EjNS0_10empty_typeEbEEZZNS1_14partition_implILS8_3ELb0ES6_jNS0_17counting_iteratorIjlEEPS9_SE_NS0_5tupleIJPjSE_EEENSF_IJSE_SE_EEES9_SG_JZNS1_25segmented_radix_sort_implINS0_14default_configELb0EPKfPfPKlPlN2at6native12_GLOBAL__N_18offset_tEEE10hipError_tPvRmT1_PNSt15iterator_traitsISY_E10value_typeET2_T3_PNSZ_IS14_E10value_typeET4_jRbjT5_S1A_jjP12ihipStream_tbEUljE_EEESV_SW_SX_S14_S18_S1A_T6_T7_T9_mT8_S1C_bDpT10_ENKUlT_T0_E_clISt17integral_constantIbLb1EES1P_EEDaS1K_S1L_EUlS1K_E_NS1_11comp_targetILNS1_3genE8ELNS1_11target_archE1030ELNS1_3gpuE2ELNS1_3repE0EEENS1_30default_config_static_selectorELNS0_4arch9wavefront6targetE0EEEvSY_.num_agpr, 0
	.set _ZN7rocprim17ROCPRIM_400000_NS6detail17trampoline_kernelINS0_13select_configILj256ELj13ELNS0_17block_load_methodE3ELS4_3ELS4_3ELNS0_20block_scan_algorithmE0ELj4294967295EEENS1_25partition_config_selectorILNS1_17partition_subalgoE3EjNS0_10empty_typeEbEEZZNS1_14partition_implILS8_3ELb0ES6_jNS0_17counting_iteratorIjlEEPS9_SE_NS0_5tupleIJPjSE_EEENSF_IJSE_SE_EEES9_SG_JZNS1_25segmented_radix_sort_implINS0_14default_configELb0EPKfPfPKlPlN2at6native12_GLOBAL__N_18offset_tEEE10hipError_tPvRmT1_PNSt15iterator_traitsISY_E10value_typeET2_T3_PNSZ_IS14_E10value_typeET4_jRbjT5_S1A_jjP12ihipStream_tbEUljE_EEESV_SW_SX_S14_S18_S1A_T6_T7_T9_mT8_S1C_bDpT10_ENKUlT_T0_E_clISt17integral_constantIbLb1EES1P_EEDaS1K_S1L_EUlS1K_E_NS1_11comp_targetILNS1_3genE8ELNS1_11target_archE1030ELNS1_3gpuE2ELNS1_3repE0EEENS1_30default_config_static_selectorELNS0_4arch9wavefront6targetE0EEEvSY_.numbered_sgpr, 0
	.set _ZN7rocprim17ROCPRIM_400000_NS6detail17trampoline_kernelINS0_13select_configILj256ELj13ELNS0_17block_load_methodE3ELS4_3ELS4_3ELNS0_20block_scan_algorithmE0ELj4294967295EEENS1_25partition_config_selectorILNS1_17partition_subalgoE3EjNS0_10empty_typeEbEEZZNS1_14partition_implILS8_3ELb0ES6_jNS0_17counting_iteratorIjlEEPS9_SE_NS0_5tupleIJPjSE_EEENSF_IJSE_SE_EEES9_SG_JZNS1_25segmented_radix_sort_implINS0_14default_configELb0EPKfPfPKlPlN2at6native12_GLOBAL__N_18offset_tEEE10hipError_tPvRmT1_PNSt15iterator_traitsISY_E10value_typeET2_T3_PNSZ_IS14_E10value_typeET4_jRbjT5_S1A_jjP12ihipStream_tbEUljE_EEESV_SW_SX_S14_S18_S1A_T6_T7_T9_mT8_S1C_bDpT10_ENKUlT_T0_E_clISt17integral_constantIbLb1EES1P_EEDaS1K_S1L_EUlS1K_E_NS1_11comp_targetILNS1_3genE8ELNS1_11target_archE1030ELNS1_3gpuE2ELNS1_3repE0EEENS1_30default_config_static_selectorELNS0_4arch9wavefront6targetE0EEEvSY_.num_named_barrier, 0
	.set _ZN7rocprim17ROCPRIM_400000_NS6detail17trampoline_kernelINS0_13select_configILj256ELj13ELNS0_17block_load_methodE3ELS4_3ELS4_3ELNS0_20block_scan_algorithmE0ELj4294967295EEENS1_25partition_config_selectorILNS1_17partition_subalgoE3EjNS0_10empty_typeEbEEZZNS1_14partition_implILS8_3ELb0ES6_jNS0_17counting_iteratorIjlEEPS9_SE_NS0_5tupleIJPjSE_EEENSF_IJSE_SE_EEES9_SG_JZNS1_25segmented_radix_sort_implINS0_14default_configELb0EPKfPfPKlPlN2at6native12_GLOBAL__N_18offset_tEEE10hipError_tPvRmT1_PNSt15iterator_traitsISY_E10value_typeET2_T3_PNSZ_IS14_E10value_typeET4_jRbjT5_S1A_jjP12ihipStream_tbEUljE_EEESV_SW_SX_S14_S18_S1A_T6_T7_T9_mT8_S1C_bDpT10_ENKUlT_T0_E_clISt17integral_constantIbLb1EES1P_EEDaS1K_S1L_EUlS1K_E_NS1_11comp_targetILNS1_3genE8ELNS1_11target_archE1030ELNS1_3gpuE2ELNS1_3repE0EEENS1_30default_config_static_selectorELNS0_4arch9wavefront6targetE0EEEvSY_.private_seg_size, 0
	.set _ZN7rocprim17ROCPRIM_400000_NS6detail17trampoline_kernelINS0_13select_configILj256ELj13ELNS0_17block_load_methodE3ELS4_3ELS4_3ELNS0_20block_scan_algorithmE0ELj4294967295EEENS1_25partition_config_selectorILNS1_17partition_subalgoE3EjNS0_10empty_typeEbEEZZNS1_14partition_implILS8_3ELb0ES6_jNS0_17counting_iteratorIjlEEPS9_SE_NS0_5tupleIJPjSE_EEENSF_IJSE_SE_EEES9_SG_JZNS1_25segmented_radix_sort_implINS0_14default_configELb0EPKfPfPKlPlN2at6native12_GLOBAL__N_18offset_tEEE10hipError_tPvRmT1_PNSt15iterator_traitsISY_E10value_typeET2_T3_PNSZ_IS14_E10value_typeET4_jRbjT5_S1A_jjP12ihipStream_tbEUljE_EEESV_SW_SX_S14_S18_S1A_T6_T7_T9_mT8_S1C_bDpT10_ENKUlT_T0_E_clISt17integral_constantIbLb1EES1P_EEDaS1K_S1L_EUlS1K_E_NS1_11comp_targetILNS1_3genE8ELNS1_11target_archE1030ELNS1_3gpuE2ELNS1_3repE0EEENS1_30default_config_static_selectorELNS0_4arch9wavefront6targetE0EEEvSY_.uses_vcc, 0
	.set _ZN7rocprim17ROCPRIM_400000_NS6detail17trampoline_kernelINS0_13select_configILj256ELj13ELNS0_17block_load_methodE3ELS4_3ELS4_3ELNS0_20block_scan_algorithmE0ELj4294967295EEENS1_25partition_config_selectorILNS1_17partition_subalgoE3EjNS0_10empty_typeEbEEZZNS1_14partition_implILS8_3ELb0ES6_jNS0_17counting_iteratorIjlEEPS9_SE_NS0_5tupleIJPjSE_EEENSF_IJSE_SE_EEES9_SG_JZNS1_25segmented_radix_sort_implINS0_14default_configELb0EPKfPfPKlPlN2at6native12_GLOBAL__N_18offset_tEEE10hipError_tPvRmT1_PNSt15iterator_traitsISY_E10value_typeET2_T3_PNSZ_IS14_E10value_typeET4_jRbjT5_S1A_jjP12ihipStream_tbEUljE_EEESV_SW_SX_S14_S18_S1A_T6_T7_T9_mT8_S1C_bDpT10_ENKUlT_T0_E_clISt17integral_constantIbLb1EES1P_EEDaS1K_S1L_EUlS1K_E_NS1_11comp_targetILNS1_3genE8ELNS1_11target_archE1030ELNS1_3gpuE2ELNS1_3repE0EEENS1_30default_config_static_selectorELNS0_4arch9wavefront6targetE0EEEvSY_.uses_flat_scratch, 0
	.set _ZN7rocprim17ROCPRIM_400000_NS6detail17trampoline_kernelINS0_13select_configILj256ELj13ELNS0_17block_load_methodE3ELS4_3ELS4_3ELNS0_20block_scan_algorithmE0ELj4294967295EEENS1_25partition_config_selectorILNS1_17partition_subalgoE3EjNS0_10empty_typeEbEEZZNS1_14partition_implILS8_3ELb0ES6_jNS0_17counting_iteratorIjlEEPS9_SE_NS0_5tupleIJPjSE_EEENSF_IJSE_SE_EEES9_SG_JZNS1_25segmented_radix_sort_implINS0_14default_configELb0EPKfPfPKlPlN2at6native12_GLOBAL__N_18offset_tEEE10hipError_tPvRmT1_PNSt15iterator_traitsISY_E10value_typeET2_T3_PNSZ_IS14_E10value_typeET4_jRbjT5_S1A_jjP12ihipStream_tbEUljE_EEESV_SW_SX_S14_S18_S1A_T6_T7_T9_mT8_S1C_bDpT10_ENKUlT_T0_E_clISt17integral_constantIbLb1EES1P_EEDaS1K_S1L_EUlS1K_E_NS1_11comp_targetILNS1_3genE8ELNS1_11target_archE1030ELNS1_3gpuE2ELNS1_3repE0EEENS1_30default_config_static_selectorELNS0_4arch9wavefront6targetE0EEEvSY_.has_dyn_sized_stack, 0
	.set _ZN7rocprim17ROCPRIM_400000_NS6detail17trampoline_kernelINS0_13select_configILj256ELj13ELNS0_17block_load_methodE3ELS4_3ELS4_3ELNS0_20block_scan_algorithmE0ELj4294967295EEENS1_25partition_config_selectorILNS1_17partition_subalgoE3EjNS0_10empty_typeEbEEZZNS1_14partition_implILS8_3ELb0ES6_jNS0_17counting_iteratorIjlEEPS9_SE_NS0_5tupleIJPjSE_EEENSF_IJSE_SE_EEES9_SG_JZNS1_25segmented_radix_sort_implINS0_14default_configELb0EPKfPfPKlPlN2at6native12_GLOBAL__N_18offset_tEEE10hipError_tPvRmT1_PNSt15iterator_traitsISY_E10value_typeET2_T3_PNSZ_IS14_E10value_typeET4_jRbjT5_S1A_jjP12ihipStream_tbEUljE_EEESV_SW_SX_S14_S18_S1A_T6_T7_T9_mT8_S1C_bDpT10_ENKUlT_T0_E_clISt17integral_constantIbLb1EES1P_EEDaS1K_S1L_EUlS1K_E_NS1_11comp_targetILNS1_3genE8ELNS1_11target_archE1030ELNS1_3gpuE2ELNS1_3repE0EEENS1_30default_config_static_selectorELNS0_4arch9wavefront6targetE0EEEvSY_.has_recursion, 0
	.set _ZN7rocprim17ROCPRIM_400000_NS6detail17trampoline_kernelINS0_13select_configILj256ELj13ELNS0_17block_load_methodE3ELS4_3ELS4_3ELNS0_20block_scan_algorithmE0ELj4294967295EEENS1_25partition_config_selectorILNS1_17partition_subalgoE3EjNS0_10empty_typeEbEEZZNS1_14partition_implILS8_3ELb0ES6_jNS0_17counting_iteratorIjlEEPS9_SE_NS0_5tupleIJPjSE_EEENSF_IJSE_SE_EEES9_SG_JZNS1_25segmented_radix_sort_implINS0_14default_configELb0EPKfPfPKlPlN2at6native12_GLOBAL__N_18offset_tEEE10hipError_tPvRmT1_PNSt15iterator_traitsISY_E10value_typeET2_T3_PNSZ_IS14_E10value_typeET4_jRbjT5_S1A_jjP12ihipStream_tbEUljE_EEESV_SW_SX_S14_S18_S1A_T6_T7_T9_mT8_S1C_bDpT10_ENKUlT_T0_E_clISt17integral_constantIbLb1EES1P_EEDaS1K_S1L_EUlS1K_E_NS1_11comp_targetILNS1_3genE8ELNS1_11target_archE1030ELNS1_3gpuE2ELNS1_3repE0EEENS1_30default_config_static_selectorELNS0_4arch9wavefront6targetE0EEEvSY_.has_indirect_call, 0
	.section	.AMDGPU.csdata,"",@progbits
; Kernel info:
; codeLenInByte = 0
; TotalNumSgprs: 0
; NumVgprs: 0
; ScratchSize: 0
; MemoryBound: 0
; FloatMode: 240
; IeeeMode: 1
; LDSByteSize: 0 bytes/workgroup (compile time only)
; SGPRBlocks: 0
; VGPRBlocks: 0
; NumSGPRsForWavesPerEU: 1
; NumVGPRsForWavesPerEU: 1
; NamedBarCnt: 0
; Occupancy: 16
; WaveLimiterHint : 0
; COMPUTE_PGM_RSRC2:SCRATCH_EN: 0
; COMPUTE_PGM_RSRC2:USER_SGPR: 2
; COMPUTE_PGM_RSRC2:TRAP_HANDLER: 0
; COMPUTE_PGM_RSRC2:TGID_X_EN: 1
; COMPUTE_PGM_RSRC2:TGID_Y_EN: 0
; COMPUTE_PGM_RSRC2:TGID_Z_EN: 0
; COMPUTE_PGM_RSRC2:TIDIG_COMP_CNT: 0
	.section	.text._ZN7rocprim17ROCPRIM_400000_NS6detail17trampoline_kernelINS0_13select_configILj256ELj13ELNS0_17block_load_methodE3ELS4_3ELS4_3ELNS0_20block_scan_algorithmE0ELj4294967295EEENS1_25partition_config_selectorILNS1_17partition_subalgoE3EjNS0_10empty_typeEbEEZZNS1_14partition_implILS8_3ELb0ES6_jNS0_17counting_iteratorIjlEEPS9_SE_NS0_5tupleIJPjSE_EEENSF_IJSE_SE_EEES9_SG_JZNS1_25segmented_radix_sort_implINS0_14default_configELb0EPKfPfPKlPlN2at6native12_GLOBAL__N_18offset_tEEE10hipError_tPvRmT1_PNSt15iterator_traitsISY_E10value_typeET2_T3_PNSZ_IS14_E10value_typeET4_jRbjT5_S1A_jjP12ihipStream_tbEUljE_EEESV_SW_SX_S14_S18_S1A_T6_T7_T9_mT8_S1C_bDpT10_ENKUlT_T0_E_clISt17integral_constantIbLb1EES1O_IbLb0EEEEDaS1K_S1L_EUlS1K_E_NS1_11comp_targetILNS1_3genE0ELNS1_11target_archE4294967295ELNS1_3gpuE0ELNS1_3repE0EEENS1_30default_config_static_selectorELNS0_4arch9wavefront6targetE0EEEvSY_,"axG",@progbits,_ZN7rocprim17ROCPRIM_400000_NS6detail17trampoline_kernelINS0_13select_configILj256ELj13ELNS0_17block_load_methodE3ELS4_3ELS4_3ELNS0_20block_scan_algorithmE0ELj4294967295EEENS1_25partition_config_selectorILNS1_17partition_subalgoE3EjNS0_10empty_typeEbEEZZNS1_14partition_implILS8_3ELb0ES6_jNS0_17counting_iteratorIjlEEPS9_SE_NS0_5tupleIJPjSE_EEENSF_IJSE_SE_EEES9_SG_JZNS1_25segmented_radix_sort_implINS0_14default_configELb0EPKfPfPKlPlN2at6native12_GLOBAL__N_18offset_tEEE10hipError_tPvRmT1_PNSt15iterator_traitsISY_E10value_typeET2_T3_PNSZ_IS14_E10value_typeET4_jRbjT5_S1A_jjP12ihipStream_tbEUljE_EEESV_SW_SX_S14_S18_S1A_T6_T7_T9_mT8_S1C_bDpT10_ENKUlT_T0_E_clISt17integral_constantIbLb1EES1O_IbLb0EEEEDaS1K_S1L_EUlS1K_E_NS1_11comp_targetILNS1_3genE0ELNS1_11target_archE4294967295ELNS1_3gpuE0ELNS1_3repE0EEENS1_30default_config_static_selectorELNS0_4arch9wavefront6targetE0EEEvSY_,comdat
	.globl	_ZN7rocprim17ROCPRIM_400000_NS6detail17trampoline_kernelINS0_13select_configILj256ELj13ELNS0_17block_load_methodE3ELS4_3ELS4_3ELNS0_20block_scan_algorithmE0ELj4294967295EEENS1_25partition_config_selectorILNS1_17partition_subalgoE3EjNS0_10empty_typeEbEEZZNS1_14partition_implILS8_3ELb0ES6_jNS0_17counting_iteratorIjlEEPS9_SE_NS0_5tupleIJPjSE_EEENSF_IJSE_SE_EEES9_SG_JZNS1_25segmented_radix_sort_implINS0_14default_configELb0EPKfPfPKlPlN2at6native12_GLOBAL__N_18offset_tEEE10hipError_tPvRmT1_PNSt15iterator_traitsISY_E10value_typeET2_T3_PNSZ_IS14_E10value_typeET4_jRbjT5_S1A_jjP12ihipStream_tbEUljE_EEESV_SW_SX_S14_S18_S1A_T6_T7_T9_mT8_S1C_bDpT10_ENKUlT_T0_E_clISt17integral_constantIbLb1EES1O_IbLb0EEEEDaS1K_S1L_EUlS1K_E_NS1_11comp_targetILNS1_3genE0ELNS1_11target_archE4294967295ELNS1_3gpuE0ELNS1_3repE0EEENS1_30default_config_static_selectorELNS0_4arch9wavefront6targetE0EEEvSY_ ; -- Begin function _ZN7rocprim17ROCPRIM_400000_NS6detail17trampoline_kernelINS0_13select_configILj256ELj13ELNS0_17block_load_methodE3ELS4_3ELS4_3ELNS0_20block_scan_algorithmE0ELj4294967295EEENS1_25partition_config_selectorILNS1_17partition_subalgoE3EjNS0_10empty_typeEbEEZZNS1_14partition_implILS8_3ELb0ES6_jNS0_17counting_iteratorIjlEEPS9_SE_NS0_5tupleIJPjSE_EEENSF_IJSE_SE_EEES9_SG_JZNS1_25segmented_radix_sort_implINS0_14default_configELb0EPKfPfPKlPlN2at6native12_GLOBAL__N_18offset_tEEE10hipError_tPvRmT1_PNSt15iterator_traitsISY_E10value_typeET2_T3_PNSZ_IS14_E10value_typeET4_jRbjT5_S1A_jjP12ihipStream_tbEUljE_EEESV_SW_SX_S14_S18_S1A_T6_T7_T9_mT8_S1C_bDpT10_ENKUlT_T0_E_clISt17integral_constantIbLb1EES1O_IbLb0EEEEDaS1K_S1L_EUlS1K_E_NS1_11comp_targetILNS1_3genE0ELNS1_11target_archE4294967295ELNS1_3gpuE0ELNS1_3repE0EEENS1_30default_config_static_selectorELNS0_4arch9wavefront6targetE0EEEvSY_
	.p2align	8
	.type	_ZN7rocprim17ROCPRIM_400000_NS6detail17trampoline_kernelINS0_13select_configILj256ELj13ELNS0_17block_load_methodE3ELS4_3ELS4_3ELNS0_20block_scan_algorithmE0ELj4294967295EEENS1_25partition_config_selectorILNS1_17partition_subalgoE3EjNS0_10empty_typeEbEEZZNS1_14partition_implILS8_3ELb0ES6_jNS0_17counting_iteratorIjlEEPS9_SE_NS0_5tupleIJPjSE_EEENSF_IJSE_SE_EEES9_SG_JZNS1_25segmented_radix_sort_implINS0_14default_configELb0EPKfPfPKlPlN2at6native12_GLOBAL__N_18offset_tEEE10hipError_tPvRmT1_PNSt15iterator_traitsISY_E10value_typeET2_T3_PNSZ_IS14_E10value_typeET4_jRbjT5_S1A_jjP12ihipStream_tbEUljE_EEESV_SW_SX_S14_S18_S1A_T6_T7_T9_mT8_S1C_bDpT10_ENKUlT_T0_E_clISt17integral_constantIbLb1EES1O_IbLb0EEEEDaS1K_S1L_EUlS1K_E_NS1_11comp_targetILNS1_3genE0ELNS1_11target_archE4294967295ELNS1_3gpuE0ELNS1_3repE0EEENS1_30default_config_static_selectorELNS0_4arch9wavefront6targetE0EEEvSY_,@function
_ZN7rocprim17ROCPRIM_400000_NS6detail17trampoline_kernelINS0_13select_configILj256ELj13ELNS0_17block_load_methodE3ELS4_3ELS4_3ELNS0_20block_scan_algorithmE0ELj4294967295EEENS1_25partition_config_selectorILNS1_17partition_subalgoE3EjNS0_10empty_typeEbEEZZNS1_14partition_implILS8_3ELb0ES6_jNS0_17counting_iteratorIjlEEPS9_SE_NS0_5tupleIJPjSE_EEENSF_IJSE_SE_EEES9_SG_JZNS1_25segmented_radix_sort_implINS0_14default_configELb0EPKfPfPKlPlN2at6native12_GLOBAL__N_18offset_tEEE10hipError_tPvRmT1_PNSt15iterator_traitsISY_E10value_typeET2_T3_PNSZ_IS14_E10value_typeET4_jRbjT5_S1A_jjP12ihipStream_tbEUljE_EEESV_SW_SX_S14_S18_S1A_T6_T7_T9_mT8_S1C_bDpT10_ENKUlT_T0_E_clISt17integral_constantIbLb1EES1O_IbLb0EEEEDaS1K_S1L_EUlS1K_E_NS1_11comp_targetILNS1_3genE0ELNS1_11target_archE4294967295ELNS1_3gpuE0ELNS1_3repE0EEENS1_30default_config_static_selectorELNS0_4arch9wavefront6targetE0EEEvSY_: ; @_ZN7rocprim17ROCPRIM_400000_NS6detail17trampoline_kernelINS0_13select_configILj256ELj13ELNS0_17block_load_methodE3ELS4_3ELS4_3ELNS0_20block_scan_algorithmE0ELj4294967295EEENS1_25partition_config_selectorILNS1_17partition_subalgoE3EjNS0_10empty_typeEbEEZZNS1_14partition_implILS8_3ELb0ES6_jNS0_17counting_iteratorIjlEEPS9_SE_NS0_5tupleIJPjSE_EEENSF_IJSE_SE_EEES9_SG_JZNS1_25segmented_radix_sort_implINS0_14default_configELb0EPKfPfPKlPlN2at6native12_GLOBAL__N_18offset_tEEE10hipError_tPvRmT1_PNSt15iterator_traitsISY_E10value_typeET2_T3_PNSZ_IS14_E10value_typeET4_jRbjT5_S1A_jjP12ihipStream_tbEUljE_EEESV_SW_SX_S14_S18_S1A_T6_T7_T9_mT8_S1C_bDpT10_ENKUlT_T0_E_clISt17integral_constantIbLb1EES1O_IbLb0EEEEDaS1K_S1L_EUlS1K_E_NS1_11comp_targetILNS1_3genE0ELNS1_11target_archE4294967295ELNS1_3gpuE0ELNS1_3repE0EEENS1_30default_config_static_selectorELNS0_4arch9wavefront6targetE0EEEvSY_
; %bb.0:
	s_endpgm
	.section	.rodata,"a",@progbits
	.p2align	6, 0x0
	.amdhsa_kernel _ZN7rocprim17ROCPRIM_400000_NS6detail17trampoline_kernelINS0_13select_configILj256ELj13ELNS0_17block_load_methodE3ELS4_3ELS4_3ELNS0_20block_scan_algorithmE0ELj4294967295EEENS1_25partition_config_selectorILNS1_17partition_subalgoE3EjNS0_10empty_typeEbEEZZNS1_14partition_implILS8_3ELb0ES6_jNS0_17counting_iteratorIjlEEPS9_SE_NS0_5tupleIJPjSE_EEENSF_IJSE_SE_EEES9_SG_JZNS1_25segmented_radix_sort_implINS0_14default_configELb0EPKfPfPKlPlN2at6native12_GLOBAL__N_18offset_tEEE10hipError_tPvRmT1_PNSt15iterator_traitsISY_E10value_typeET2_T3_PNSZ_IS14_E10value_typeET4_jRbjT5_S1A_jjP12ihipStream_tbEUljE_EEESV_SW_SX_S14_S18_S1A_T6_T7_T9_mT8_S1C_bDpT10_ENKUlT_T0_E_clISt17integral_constantIbLb1EES1O_IbLb0EEEEDaS1K_S1L_EUlS1K_E_NS1_11comp_targetILNS1_3genE0ELNS1_11target_archE4294967295ELNS1_3gpuE0ELNS1_3repE0EEENS1_30default_config_static_selectorELNS0_4arch9wavefront6targetE0EEEvSY_
		.amdhsa_group_segment_fixed_size 0
		.amdhsa_private_segment_fixed_size 0
		.amdhsa_kernarg_size 144
		.amdhsa_user_sgpr_count 2
		.amdhsa_user_sgpr_dispatch_ptr 0
		.amdhsa_user_sgpr_queue_ptr 0
		.amdhsa_user_sgpr_kernarg_segment_ptr 1
		.amdhsa_user_sgpr_dispatch_id 0
		.amdhsa_user_sgpr_kernarg_preload_length 0
		.amdhsa_user_sgpr_kernarg_preload_offset 0
		.amdhsa_user_sgpr_private_segment_size 0
		.amdhsa_wavefront_size32 1
		.amdhsa_uses_dynamic_stack 0
		.amdhsa_enable_private_segment 0
		.amdhsa_system_sgpr_workgroup_id_x 1
		.amdhsa_system_sgpr_workgroup_id_y 0
		.amdhsa_system_sgpr_workgroup_id_z 0
		.amdhsa_system_sgpr_workgroup_info 0
		.amdhsa_system_vgpr_workitem_id 0
		.amdhsa_next_free_vgpr 1
		.amdhsa_next_free_sgpr 1
		.amdhsa_named_barrier_count 0
		.amdhsa_reserve_vcc 0
		.amdhsa_float_round_mode_32 0
		.amdhsa_float_round_mode_16_64 0
		.amdhsa_float_denorm_mode_32 3
		.amdhsa_float_denorm_mode_16_64 3
		.amdhsa_fp16_overflow 0
		.amdhsa_memory_ordered 1
		.amdhsa_forward_progress 1
		.amdhsa_inst_pref_size 1
		.amdhsa_round_robin_scheduling 0
		.amdhsa_exception_fp_ieee_invalid_op 0
		.amdhsa_exception_fp_denorm_src 0
		.amdhsa_exception_fp_ieee_div_zero 0
		.amdhsa_exception_fp_ieee_overflow 0
		.amdhsa_exception_fp_ieee_underflow 0
		.amdhsa_exception_fp_ieee_inexact 0
		.amdhsa_exception_int_div_zero 0
	.end_amdhsa_kernel
	.section	.text._ZN7rocprim17ROCPRIM_400000_NS6detail17trampoline_kernelINS0_13select_configILj256ELj13ELNS0_17block_load_methodE3ELS4_3ELS4_3ELNS0_20block_scan_algorithmE0ELj4294967295EEENS1_25partition_config_selectorILNS1_17partition_subalgoE3EjNS0_10empty_typeEbEEZZNS1_14partition_implILS8_3ELb0ES6_jNS0_17counting_iteratorIjlEEPS9_SE_NS0_5tupleIJPjSE_EEENSF_IJSE_SE_EEES9_SG_JZNS1_25segmented_radix_sort_implINS0_14default_configELb0EPKfPfPKlPlN2at6native12_GLOBAL__N_18offset_tEEE10hipError_tPvRmT1_PNSt15iterator_traitsISY_E10value_typeET2_T3_PNSZ_IS14_E10value_typeET4_jRbjT5_S1A_jjP12ihipStream_tbEUljE_EEESV_SW_SX_S14_S18_S1A_T6_T7_T9_mT8_S1C_bDpT10_ENKUlT_T0_E_clISt17integral_constantIbLb1EES1O_IbLb0EEEEDaS1K_S1L_EUlS1K_E_NS1_11comp_targetILNS1_3genE0ELNS1_11target_archE4294967295ELNS1_3gpuE0ELNS1_3repE0EEENS1_30default_config_static_selectorELNS0_4arch9wavefront6targetE0EEEvSY_,"axG",@progbits,_ZN7rocprim17ROCPRIM_400000_NS6detail17trampoline_kernelINS0_13select_configILj256ELj13ELNS0_17block_load_methodE3ELS4_3ELS4_3ELNS0_20block_scan_algorithmE0ELj4294967295EEENS1_25partition_config_selectorILNS1_17partition_subalgoE3EjNS0_10empty_typeEbEEZZNS1_14partition_implILS8_3ELb0ES6_jNS0_17counting_iteratorIjlEEPS9_SE_NS0_5tupleIJPjSE_EEENSF_IJSE_SE_EEES9_SG_JZNS1_25segmented_radix_sort_implINS0_14default_configELb0EPKfPfPKlPlN2at6native12_GLOBAL__N_18offset_tEEE10hipError_tPvRmT1_PNSt15iterator_traitsISY_E10value_typeET2_T3_PNSZ_IS14_E10value_typeET4_jRbjT5_S1A_jjP12ihipStream_tbEUljE_EEESV_SW_SX_S14_S18_S1A_T6_T7_T9_mT8_S1C_bDpT10_ENKUlT_T0_E_clISt17integral_constantIbLb1EES1O_IbLb0EEEEDaS1K_S1L_EUlS1K_E_NS1_11comp_targetILNS1_3genE0ELNS1_11target_archE4294967295ELNS1_3gpuE0ELNS1_3repE0EEENS1_30default_config_static_selectorELNS0_4arch9wavefront6targetE0EEEvSY_,comdat
.Lfunc_end1405:
	.size	_ZN7rocprim17ROCPRIM_400000_NS6detail17trampoline_kernelINS0_13select_configILj256ELj13ELNS0_17block_load_methodE3ELS4_3ELS4_3ELNS0_20block_scan_algorithmE0ELj4294967295EEENS1_25partition_config_selectorILNS1_17partition_subalgoE3EjNS0_10empty_typeEbEEZZNS1_14partition_implILS8_3ELb0ES6_jNS0_17counting_iteratorIjlEEPS9_SE_NS0_5tupleIJPjSE_EEENSF_IJSE_SE_EEES9_SG_JZNS1_25segmented_radix_sort_implINS0_14default_configELb0EPKfPfPKlPlN2at6native12_GLOBAL__N_18offset_tEEE10hipError_tPvRmT1_PNSt15iterator_traitsISY_E10value_typeET2_T3_PNSZ_IS14_E10value_typeET4_jRbjT5_S1A_jjP12ihipStream_tbEUljE_EEESV_SW_SX_S14_S18_S1A_T6_T7_T9_mT8_S1C_bDpT10_ENKUlT_T0_E_clISt17integral_constantIbLb1EES1O_IbLb0EEEEDaS1K_S1L_EUlS1K_E_NS1_11comp_targetILNS1_3genE0ELNS1_11target_archE4294967295ELNS1_3gpuE0ELNS1_3repE0EEENS1_30default_config_static_selectorELNS0_4arch9wavefront6targetE0EEEvSY_, .Lfunc_end1405-_ZN7rocprim17ROCPRIM_400000_NS6detail17trampoline_kernelINS0_13select_configILj256ELj13ELNS0_17block_load_methodE3ELS4_3ELS4_3ELNS0_20block_scan_algorithmE0ELj4294967295EEENS1_25partition_config_selectorILNS1_17partition_subalgoE3EjNS0_10empty_typeEbEEZZNS1_14partition_implILS8_3ELb0ES6_jNS0_17counting_iteratorIjlEEPS9_SE_NS0_5tupleIJPjSE_EEENSF_IJSE_SE_EEES9_SG_JZNS1_25segmented_radix_sort_implINS0_14default_configELb0EPKfPfPKlPlN2at6native12_GLOBAL__N_18offset_tEEE10hipError_tPvRmT1_PNSt15iterator_traitsISY_E10value_typeET2_T3_PNSZ_IS14_E10value_typeET4_jRbjT5_S1A_jjP12ihipStream_tbEUljE_EEESV_SW_SX_S14_S18_S1A_T6_T7_T9_mT8_S1C_bDpT10_ENKUlT_T0_E_clISt17integral_constantIbLb1EES1O_IbLb0EEEEDaS1K_S1L_EUlS1K_E_NS1_11comp_targetILNS1_3genE0ELNS1_11target_archE4294967295ELNS1_3gpuE0ELNS1_3repE0EEENS1_30default_config_static_selectorELNS0_4arch9wavefront6targetE0EEEvSY_
                                        ; -- End function
	.set _ZN7rocprim17ROCPRIM_400000_NS6detail17trampoline_kernelINS0_13select_configILj256ELj13ELNS0_17block_load_methodE3ELS4_3ELS4_3ELNS0_20block_scan_algorithmE0ELj4294967295EEENS1_25partition_config_selectorILNS1_17partition_subalgoE3EjNS0_10empty_typeEbEEZZNS1_14partition_implILS8_3ELb0ES6_jNS0_17counting_iteratorIjlEEPS9_SE_NS0_5tupleIJPjSE_EEENSF_IJSE_SE_EEES9_SG_JZNS1_25segmented_radix_sort_implINS0_14default_configELb0EPKfPfPKlPlN2at6native12_GLOBAL__N_18offset_tEEE10hipError_tPvRmT1_PNSt15iterator_traitsISY_E10value_typeET2_T3_PNSZ_IS14_E10value_typeET4_jRbjT5_S1A_jjP12ihipStream_tbEUljE_EEESV_SW_SX_S14_S18_S1A_T6_T7_T9_mT8_S1C_bDpT10_ENKUlT_T0_E_clISt17integral_constantIbLb1EES1O_IbLb0EEEEDaS1K_S1L_EUlS1K_E_NS1_11comp_targetILNS1_3genE0ELNS1_11target_archE4294967295ELNS1_3gpuE0ELNS1_3repE0EEENS1_30default_config_static_selectorELNS0_4arch9wavefront6targetE0EEEvSY_.num_vgpr, 0
	.set _ZN7rocprim17ROCPRIM_400000_NS6detail17trampoline_kernelINS0_13select_configILj256ELj13ELNS0_17block_load_methodE3ELS4_3ELS4_3ELNS0_20block_scan_algorithmE0ELj4294967295EEENS1_25partition_config_selectorILNS1_17partition_subalgoE3EjNS0_10empty_typeEbEEZZNS1_14partition_implILS8_3ELb0ES6_jNS0_17counting_iteratorIjlEEPS9_SE_NS0_5tupleIJPjSE_EEENSF_IJSE_SE_EEES9_SG_JZNS1_25segmented_radix_sort_implINS0_14default_configELb0EPKfPfPKlPlN2at6native12_GLOBAL__N_18offset_tEEE10hipError_tPvRmT1_PNSt15iterator_traitsISY_E10value_typeET2_T3_PNSZ_IS14_E10value_typeET4_jRbjT5_S1A_jjP12ihipStream_tbEUljE_EEESV_SW_SX_S14_S18_S1A_T6_T7_T9_mT8_S1C_bDpT10_ENKUlT_T0_E_clISt17integral_constantIbLb1EES1O_IbLb0EEEEDaS1K_S1L_EUlS1K_E_NS1_11comp_targetILNS1_3genE0ELNS1_11target_archE4294967295ELNS1_3gpuE0ELNS1_3repE0EEENS1_30default_config_static_selectorELNS0_4arch9wavefront6targetE0EEEvSY_.num_agpr, 0
	.set _ZN7rocprim17ROCPRIM_400000_NS6detail17trampoline_kernelINS0_13select_configILj256ELj13ELNS0_17block_load_methodE3ELS4_3ELS4_3ELNS0_20block_scan_algorithmE0ELj4294967295EEENS1_25partition_config_selectorILNS1_17partition_subalgoE3EjNS0_10empty_typeEbEEZZNS1_14partition_implILS8_3ELb0ES6_jNS0_17counting_iteratorIjlEEPS9_SE_NS0_5tupleIJPjSE_EEENSF_IJSE_SE_EEES9_SG_JZNS1_25segmented_radix_sort_implINS0_14default_configELb0EPKfPfPKlPlN2at6native12_GLOBAL__N_18offset_tEEE10hipError_tPvRmT1_PNSt15iterator_traitsISY_E10value_typeET2_T3_PNSZ_IS14_E10value_typeET4_jRbjT5_S1A_jjP12ihipStream_tbEUljE_EEESV_SW_SX_S14_S18_S1A_T6_T7_T9_mT8_S1C_bDpT10_ENKUlT_T0_E_clISt17integral_constantIbLb1EES1O_IbLb0EEEEDaS1K_S1L_EUlS1K_E_NS1_11comp_targetILNS1_3genE0ELNS1_11target_archE4294967295ELNS1_3gpuE0ELNS1_3repE0EEENS1_30default_config_static_selectorELNS0_4arch9wavefront6targetE0EEEvSY_.numbered_sgpr, 0
	.set _ZN7rocprim17ROCPRIM_400000_NS6detail17trampoline_kernelINS0_13select_configILj256ELj13ELNS0_17block_load_methodE3ELS4_3ELS4_3ELNS0_20block_scan_algorithmE0ELj4294967295EEENS1_25partition_config_selectorILNS1_17partition_subalgoE3EjNS0_10empty_typeEbEEZZNS1_14partition_implILS8_3ELb0ES6_jNS0_17counting_iteratorIjlEEPS9_SE_NS0_5tupleIJPjSE_EEENSF_IJSE_SE_EEES9_SG_JZNS1_25segmented_radix_sort_implINS0_14default_configELb0EPKfPfPKlPlN2at6native12_GLOBAL__N_18offset_tEEE10hipError_tPvRmT1_PNSt15iterator_traitsISY_E10value_typeET2_T3_PNSZ_IS14_E10value_typeET4_jRbjT5_S1A_jjP12ihipStream_tbEUljE_EEESV_SW_SX_S14_S18_S1A_T6_T7_T9_mT8_S1C_bDpT10_ENKUlT_T0_E_clISt17integral_constantIbLb1EES1O_IbLb0EEEEDaS1K_S1L_EUlS1K_E_NS1_11comp_targetILNS1_3genE0ELNS1_11target_archE4294967295ELNS1_3gpuE0ELNS1_3repE0EEENS1_30default_config_static_selectorELNS0_4arch9wavefront6targetE0EEEvSY_.num_named_barrier, 0
	.set _ZN7rocprim17ROCPRIM_400000_NS6detail17trampoline_kernelINS0_13select_configILj256ELj13ELNS0_17block_load_methodE3ELS4_3ELS4_3ELNS0_20block_scan_algorithmE0ELj4294967295EEENS1_25partition_config_selectorILNS1_17partition_subalgoE3EjNS0_10empty_typeEbEEZZNS1_14partition_implILS8_3ELb0ES6_jNS0_17counting_iteratorIjlEEPS9_SE_NS0_5tupleIJPjSE_EEENSF_IJSE_SE_EEES9_SG_JZNS1_25segmented_radix_sort_implINS0_14default_configELb0EPKfPfPKlPlN2at6native12_GLOBAL__N_18offset_tEEE10hipError_tPvRmT1_PNSt15iterator_traitsISY_E10value_typeET2_T3_PNSZ_IS14_E10value_typeET4_jRbjT5_S1A_jjP12ihipStream_tbEUljE_EEESV_SW_SX_S14_S18_S1A_T6_T7_T9_mT8_S1C_bDpT10_ENKUlT_T0_E_clISt17integral_constantIbLb1EES1O_IbLb0EEEEDaS1K_S1L_EUlS1K_E_NS1_11comp_targetILNS1_3genE0ELNS1_11target_archE4294967295ELNS1_3gpuE0ELNS1_3repE0EEENS1_30default_config_static_selectorELNS0_4arch9wavefront6targetE0EEEvSY_.private_seg_size, 0
	.set _ZN7rocprim17ROCPRIM_400000_NS6detail17trampoline_kernelINS0_13select_configILj256ELj13ELNS0_17block_load_methodE3ELS4_3ELS4_3ELNS0_20block_scan_algorithmE0ELj4294967295EEENS1_25partition_config_selectorILNS1_17partition_subalgoE3EjNS0_10empty_typeEbEEZZNS1_14partition_implILS8_3ELb0ES6_jNS0_17counting_iteratorIjlEEPS9_SE_NS0_5tupleIJPjSE_EEENSF_IJSE_SE_EEES9_SG_JZNS1_25segmented_radix_sort_implINS0_14default_configELb0EPKfPfPKlPlN2at6native12_GLOBAL__N_18offset_tEEE10hipError_tPvRmT1_PNSt15iterator_traitsISY_E10value_typeET2_T3_PNSZ_IS14_E10value_typeET4_jRbjT5_S1A_jjP12ihipStream_tbEUljE_EEESV_SW_SX_S14_S18_S1A_T6_T7_T9_mT8_S1C_bDpT10_ENKUlT_T0_E_clISt17integral_constantIbLb1EES1O_IbLb0EEEEDaS1K_S1L_EUlS1K_E_NS1_11comp_targetILNS1_3genE0ELNS1_11target_archE4294967295ELNS1_3gpuE0ELNS1_3repE0EEENS1_30default_config_static_selectorELNS0_4arch9wavefront6targetE0EEEvSY_.uses_vcc, 0
	.set _ZN7rocprim17ROCPRIM_400000_NS6detail17trampoline_kernelINS0_13select_configILj256ELj13ELNS0_17block_load_methodE3ELS4_3ELS4_3ELNS0_20block_scan_algorithmE0ELj4294967295EEENS1_25partition_config_selectorILNS1_17partition_subalgoE3EjNS0_10empty_typeEbEEZZNS1_14partition_implILS8_3ELb0ES6_jNS0_17counting_iteratorIjlEEPS9_SE_NS0_5tupleIJPjSE_EEENSF_IJSE_SE_EEES9_SG_JZNS1_25segmented_radix_sort_implINS0_14default_configELb0EPKfPfPKlPlN2at6native12_GLOBAL__N_18offset_tEEE10hipError_tPvRmT1_PNSt15iterator_traitsISY_E10value_typeET2_T3_PNSZ_IS14_E10value_typeET4_jRbjT5_S1A_jjP12ihipStream_tbEUljE_EEESV_SW_SX_S14_S18_S1A_T6_T7_T9_mT8_S1C_bDpT10_ENKUlT_T0_E_clISt17integral_constantIbLb1EES1O_IbLb0EEEEDaS1K_S1L_EUlS1K_E_NS1_11comp_targetILNS1_3genE0ELNS1_11target_archE4294967295ELNS1_3gpuE0ELNS1_3repE0EEENS1_30default_config_static_selectorELNS0_4arch9wavefront6targetE0EEEvSY_.uses_flat_scratch, 0
	.set _ZN7rocprim17ROCPRIM_400000_NS6detail17trampoline_kernelINS0_13select_configILj256ELj13ELNS0_17block_load_methodE3ELS4_3ELS4_3ELNS0_20block_scan_algorithmE0ELj4294967295EEENS1_25partition_config_selectorILNS1_17partition_subalgoE3EjNS0_10empty_typeEbEEZZNS1_14partition_implILS8_3ELb0ES6_jNS0_17counting_iteratorIjlEEPS9_SE_NS0_5tupleIJPjSE_EEENSF_IJSE_SE_EEES9_SG_JZNS1_25segmented_radix_sort_implINS0_14default_configELb0EPKfPfPKlPlN2at6native12_GLOBAL__N_18offset_tEEE10hipError_tPvRmT1_PNSt15iterator_traitsISY_E10value_typeET2_T3_PNSZ_IS14_E10value_typeET4_jRbjT5_S1A_jjP12ihipStream_tbEUljE_EEESV_SW_SX_S14_S18_S1A_T6_T7_T9_mT8_S1C_bDpT10_ENKUlT_T0_E_clISt17integral_constantIbLb1EES1O_IbLb0EEEEDaS1K_S1L_EUlS1K_E_NS1_11comp_targetILNS1_3genE0ELNS1_11target_archE4294967295ELNS1_3gpuE0ELNS1_3repE0EEENS1_30default_config_static_selectorELNS0_4arch9wavefront6targetE0EEEvSY_.has_dyn_sized_stack, 0
	.set _ZN7rocprim17ROCPRIM_400000_NS6detail17trampoline_kernelINS0_13select_configILj256ELj13ELNS0_17block_load_methodE3ELS4_3ELS4_3ELNS0_20block_scan_algorithmE0ELj4294967295EEENS1_25partition_config_selectorILNS1_17partition_subalgoE3EjNS0_10empty_typeEbEEZZNS1_14partition_implILS8_3ELb0ES6_jNS0_17counting_iteratorIjlEEPS9_SE_NS0_5tupleIJPjSE_EEENSF_IJSE_SE_EEES9_SG_JZNS1_25segmented_radix_sort_implINS0_14default_configELb0EPKfPfPKlPlN2at6native12_GLOBAL__N_18offset_tEEE10hipError_tPvRmT1_PNSt15iterator_traitsISY_E10value_typeET2_T3_PNSZ_IS14_E10value_typeET4_jRbjT5_S1A_jjP12ihipStream_tbEUljE_EEESV_SW_SX_S14_S18_S1A_T6_T7_T9_mT8_S1C_bDpT10_ENKUlT_T0_E_clISt17integral_constantIbLb1EES1O_IbLb0EEEEDaS1K_S1L_EUlS1K_E_NS1_11comp_targetILNS1_3genE0ELNS1_11target_archE4294967295ELNS1_3gpuE0ELNS1_3repE0EEENS1_30default_config_static_selectorELNS0_4arch9wavefront6targetE0EEEvSY_.has_recursion, 0
	.set _ZN7rocprim17ROCPRIM_400000_NS6detail17trampoline_kernelINS0_13select_configILj256ELj13ELNS0_17block_load_methodE3ELS4_3ELS4_3ELNS0_20block_scan_algorithmE0ELj4294967295EEENS1_25partition_config_selectorILNS1_17partition_subalgoE3EjNS0_10empty_typeEbEEZZNS1_14partition_implILS8_3ELb0ES6_jNS0_17counting_iteratorIjlEEPS9_SE_NS0_5tupleIJPjSE_EEENSF_IJSE_SE_EEES9_SG_JZNS1_25segmented_radix_sort_implINS0_14default_configELb0EPKfPfPKlPlN2at6native12_GLOBAL__N_18offset_tEEE10hipError_tPvRmT1_PNSt15iterator_traitsISY_E10value_typeET2_T3_PNSZ_IS14_E10value_typeET4_jRbjT5_S1A_jjP12ihipStream_tbEUljE_EEESV_SW_SX_S14_S18_S1A_T6_T7_T9_mT8_S1C_bDpT10_ENKUlT_T0_E_clISt17integral_constantIbLb1EES1O_IbLb0EEEEDaS1K_S1L_EUlS1K_E_NS1_11comp_targetILNS1_3genE0ELNS1_11target_archE4294967295ELNS1_3gpuE0ELNS1_3repE0EEENS1_30default_config_static_selectorELNS0_4arch9wavefront6targetE0EEEvSY_.has_indirect_call, 0
	.section	.AMDGPU.csdata,"",@progbits
; Kernel info:
; codeLenInByte = 4
; TotalNumSgprs: 0
; NumVgprs: 0
; ScratchSize: 0
; MemoryBound: 0
; FloatMode: 240
; IeeeMode: 1
; LDSByteSize: 0 bytes/workgroup (compile time only)
; SGPRBlocks: 0
; VGPRBlocks: 0
; NumSGPRsForWavesPerEU: 1
; NumVGPRsForWavesPerEU: 1
; NamedBarCnt: 0
; Occupancy: 16
; WaveLimiterHint : 0
; COMPUTE_PGM_RSRC2:SCRATCH_EN: 0
; COMPUTE_PGM_RSRC2:USER_SGPR: 2
; COMPUTE_PGM_RSRC2:TRAP_HANDLER: 0
; COMPUTE_PGM_RSRC2:TGID_X_EN: 1
; COMPUTE_PGM_RSRC2:TGID_Y_EN: 0
; COMPUTE_PGM_RSRC2:TGID_Z_EN: 0
; COMPUTE_PGM_RSRC2:TIDIG_COMP_CNT: 0
	.section	.text._ZN7rocprim17ROCPRIM_400000_NS6detail17trampoline_kernelINS0_13select_configILj256ELj13ELNS0_17block_load_methodE3ELS4_3ELS4_3ELNS0_20block_scan_algorithmE0ELj4294967295EEENS1_25partition_config_selectorILNS1_17partition_subalgoE3EjNS0_10empty_typeEbEEZZNS1_14partition_implILS8_3ELb0ES6_jNS0_17counting_iteratorIjlEEPS9_SE_NS0_5tupleIJPjSE_EEENSF_IJSE_SE_EEES9_SG_JZNS1_25segmented_radix_sort_implINS0_14default_configELb0EPKfPfPKlPlN2at6native12_GLOBAL__N_18offset_tEEE10hipError_tPvRmT1_PNSt15iterator_traitsISY_E10value_typeET2_T3_PNSZ_IS14_E10value_typeET4_jRbjT5_S1A_jjP12ihipStream_tbEUljE_EEESV_SW_SX_S14_S18_S1A_T6_T7_T9_mT8_S1C_bDpT10_ENKUlT_T0_E_clISt17integral_constantIbLb1EES1O_IbLb0EEEEDaS1K_S1L_EUlS1K_E_NS1_11comp_targetILNS1_3genE5ELNS1_11target_archE942ELNS1_3gpuE9ELNS1_3repE0EEENS1_30default_config_static_selectorELNS0_4arch9wavefront6targetE0EEEvSY_,"axG",@progbits,_ZN7rocprim17ROCPRIM_400000_NS6detail17trampoline_kernelINS0_13select_configILj256ELj13ELNS0_17block_load_methodE3ELS4_3ELS4_3ELNS0_20block_scan_algorithmE0ELj4294967295EEENS1_25partition_config_selectorILNS1_17partition_subalgoE3EjNS0_10empty_typeEbEEZZNS1_14partition_implILS8_3ELb0ES6_jNS0_17counting_iteratorIjlEEPS9_SE_NS0_5tupleIJPjSE_EEENSF_IJSE_SE_EEES9_SG_JZNS1_25segmented_radix_sort_implINS0_14default_configELb0EPKfPfPKlPlN2at6native12_GLOBAL__N_18offset_tEEE10hipError_tPvRmT1_PNSt15iterator_traitsISY_E10value_typeET2_T3_PNSZ_IS14_E10value_typeET4_jRbjT5_S1A_jjP12ihipStream_tbEUljE_EEESV_SW_SX_S14_S18_S1A_T6_T7_T9_mT8_S1C_bDpT10_ENKUlT_T0_E_clISt17integral_constantIbLb1EES1O_IbLb0EEEEDaS1K_S1L_EUlS1K_E_NS1_11comp_targetILNS1_3genE5ELNS1_11target_archE942ELNS1_3gpuE9ELNS1_3repE0EEENS1_30default_config_static_selectorELNS0_4arch9wavefront6targetE0EEEvSY_,comdat
	.globl	_ZN7rocprim17ROCPRIM_400000_NS6detail17trampoline_kernelINS0_13select_configILj256ELj13ELNS0_17block_load_methodE3ELS4_3ELS4_3ELNS0_20block_scan_algorithmE0ELj4294967295EEENS1_25partition_config_selectorILNS1_17partition_subalgoE3EjNS0_10empty_typeEbEEZZNS1_14partition_implILS8_3ELb0ES6_jNS0_17counting_iteratorIjlEEPS9_SE_NS0_5tupleIJPjSE_EEENSF_IJSE_SE_EEES9_SG_JZNS1_25segmented_radix_sort_implINS0_14default_configELb0EPKfPfPKlPlN2at6native12_GLOBAL__N_18offset_tEEE10hipError_tPvRmT1_PNSt15iterator_traitsISY_E10value_typeET2_T3_PNSZ_IS14_E10value_typeET4_jRbjT5_S1A_jjP12ihipStream_tbEUljE_EEESV_SW_SX_S14_S18_S1A_T6_T7_T9_mT8_S1C_bDpT10_ENKUlT_T0_E_clISt17integral_constantIbLb1EES1O_IbLb0EEEEDaS1K_S1L_EUlS1K_E_NS1_11comp_targetILNS1_3genE5ELNS1_11target_archE942ELNS1_3gpuE9ELNS1_3repE0EEENS1_30default_config_static_selectorELNS0_4arch9wavefront6targetE0EEEvSY_ ; -- Begin function _ZN7rocprim17ROCPRIM_400000_NS6detail17trampoline_kernelINS0_13select_configILj256ELj13ELNS0_17block_load_methodE3ELS4_3ELS4_3ELNS0_20block_scan_algorithmE0ELj4294967295EEENS1_25partition_config_selectorILNS1_17partition_subalgoE3EjNS0_10empty_typeEbEEZZNS1_14partition_implILS8_3ELb0ES6_jNS0_17counting_iteratorIjlEEPS9_SE_NS0_5tupleIJPjSE_EEENSF_IJSE_SE_EEES9_SG_JZNS1_25segmented_radix_sort_implINS0_14default_configELb0EPKfPfPKlPlN2at6native12_GLOBAL__N_18offset_tEEE10hipError_tPvRmT1_PNSt15iterator_traitsISY_E10value_typeET2_T3_PNSZ_IS14_E10value_typeET4_jRbjT5_S1A_jjP12ihipStream_tbEUljE_EEESV_SW_SX_S14_S18_S1A_T6_T7_T9_mT8_S1C_bDpT10_ENKUlT_T0_E_clISt17integral_constantIbLb1EES1O_IbLb0EEEEDaS1K_S1L_EUlS1K_E_NS1_11comp_targetILNS1_3genE5ELNS1_11target_archE942ELNS1_3gpuE9ELNS1_3repE0EEENS1_30default_config_static_selectorELNS0_4arch9wavefront6targetE0EEEvSY_
	.p2align	8
	.type	_ZN7rocprim17ROCPRIM_400000_NS6detail17trampoline_kernelINS0_13select_configILj256ELj13ELNS0_17block_load_methodE3ELS4_3ELS4_3ELNS0_20block_scan_algorithmE0ELj4294967295EEENS1_25partition_config_selectorILNS1_17partition_subalgoE3EjNS0_10empty_typeEbEEZZNS1_14partition_implILS8_3ELb0ES6_jNS0_17counting_iteratorIjlEEPS9_SE_NS0_5tupleIJPjSE_EEENSF_IJSE_SE_EEES9_SG_JZNS1_25segmented_radix_sort_implINS0_14default_configELb0EPKfPfPKlPlN2at6native12_GLOBAL__N_18offset_tEEE10hipError_tPvRmT1_PNSt15iterator_traitsISY_E10value_typeET2_T3_PNSZ_IS14_E10value_typeET4_jRbjT5_S1A_jjP12ihipStream_tbEUljE_EEESV_SW_SX_S14_S18_S1A_T6_T7_T9_mT8_S1C_bDpT10_ENKUlT_T0_E_clISt17integral_constantIbLb1EES1O_IbLb0EEEEDaS1K_S1L_EUlS1K_E_NS1_11comp_targetILNS1_3genE5ELNS1_11target_archE942ELNS1_3gpuE9ELNS1_3repE0EEENS1_30default_config_static_selectorELNS0_4arch9wavefront6targetE0EEEvSY_,@function
_ZN7rocprim17ROCPRIM_400000_NS6detail17trampoline_kernelINS0_13select_configILj256ELj13ELNS0_17block_load_methodE3ELS4_3ELS4_3ELNS0_20block_scan_algorithmE0ELj4294967295EEENS1_25partition_config_selectorILNS1_17partition_subalgoE3EjNS0_10empty_typeEbEEZZNS1_14partition_implILS8_3ELb0ES6_jNS0_17counting_iteratorIjlEEPS9_SE_NS0_5tupleIJPjSE_EEENSF_IJSE_SE_EEES9_SG_JZNS1_25segmented_radix_sort_implINS0_14default_configELb0EPKfPfPKlPlN2at6native12_GLOBAL__N_18offset_tEEE10hipError_tPvRmT1_PNSt15iterator_traitsISY_E10value_typeET2_T3_PNSZ_IS14_E10value_typeET4_jRbjT5_S1A_jjP12ihipStream_tbEUljE_EEESV_SW_SX_S14_S18_S1A_T6_T7_T9_mT8_S1C_bDpT10_ENKUlT_T0_E_clISt17integral_constantIbLb1EES1O_IbLb0EEEEDaS1K_S1L_EUlS1K_E_NS1_11comp_targetILNS1_3genE5ELNS1_11target_archE942ELNS1_3gpuE9ELNS1_3repE0EEENS1_30default_config_static_selectorELNS0_4arch9wavefront6targetE0EEEvSY_: ; @_ZN7rocprim17ROCPRIM_400000_NS6detail17trampoline_kernelINS0_13select_configILj256ELj13ELNS0_17block_load_methodE3ELS4_3ELS4_3ELNS0_20block_scan_algorithmE0ELj4294967295EEENS1_25partition_config_selectorILNS1_17partition_subalgoE3EjNS0_10empty_typeEbEEZZNS1_14partition_implILS8_3ELb0ES6_jNS0_17counting_iteratorIjlEEPS9_SE_NS0_5tupleIJPjSE_EEENSF_IJSE_SE_EEES9_SG_JZNS1_25segmented_radix_sort_implINS0_14default_configELb0EPKfPfPKlPlN2at6native12_GLOBAL__N_18offset_tEEE10hipError_tPvRmT1_PNSt15iterator_traitsISY_E10value_typeET2_T3_PNSZ_IS14_E10value_typeET4_jRbjT5_S1A_jjP12ihipStream_tbEUljE_EEESV_SW_SX_S14_S18_S1A_T6_T7_T9_mT8_S1C_bDpT10_ENKUlT_T0_E_clISt17integral_constantIbLb1EES1O_IbLb0EEEEDaS1K_S1L_EUlS1K_E_NS1_11comp_targetILNS1_3genE5ELNS1_11target_archE942ELNS1_3gpuE9ELNS1_3repE0EEENS1_30default_config_static_selectorELNS0_4arch9wavefront6targetE0EEEvSY_
; %bb.0:
	.section	.rodata,"a",@progbits
	.p2align	6, 0x0
	.amdhsa_kernel _ZN7rocprim17ROCPRIM_400000_NS6detail17trampoline_kernelINS0_13select_configILj256ELj13ELNS0_17block_load_methodE3ELS4_3ELS4_3ELNS0_20block_scan_algorithmE0ELj4294967295EEENS1_25partition_config_selectorILNS1_17partition_subalgoE3EjNS0_10empty_typeEbEEZZNS1_14partition_implILS8_3ELb0ES6_jNS0_17counting_iteratorIjlEEPS9_SE_NS0_5tupleIJPjSE_EEENSF_IJSE_SE_EEES9_SG_JZNS1_25segmented_radix_sort_implINS0_14default_configELb0EPKfPfPKlPlN2at6native12_GLOBAL__N_18offset_tEEE10hipError_tPvRmT1_PNSt15iterator_traitsISY_E10value_typeET2_T3_PNSZ_IS14_E10value_typeET4_jRbjT5_S1A_jjP12ihipStream_tbEUljE_EEESV_SW_SX_S14_S18_S1A_T6_T7_T9_mT8_S1C_bDpT10_ENKUlT_T0_E_clISt17integral_constantIbLb1EES1O_IbLb0EEEEDaS1K_S1L_EUlS1K_E_NS1_11comp_targetILNS1_3genE5ELNS1_11target_archE942ELNS1_3gpuE9ELNS1_3repE0EEENS1_30default_config_static_selectorELNS0_4arch9wavefront6targetE0EEEvSY_
		.amdhsa_group_segment_fixed_size 0
		.amdhsa_private_segment_fixed_size 0
		.amdhsa_kernarg_size 144
		.amdhsa_user_sgpr_count 2
		.amdhsa_user_sgpr_dispatch_ptr 0
		.amdhsa_user_sgpr_queue_ptr 0
		.amdhsa_user_sgpr_kernarg_segment_ptr 1
		.amdhsa_user_sgpr_dispatch_id 0
		.amdhsa_user_sgpr_kernarg_preload_length 0
		.amdhsa_user_sgpr_kernarg_preload_offset 0
		.amdhsa_user_sgpr_private_segment_size 0
		.amdhsa_wavefront_size32 1
		.amdhsa_uses_dynamic_stack 0
		.amdhsa_enable_private_segment 0
		.amdhsa_system_sgpr_workgroup_id_x 1
		.amdhsa_system_sgpr_workgroup_id_y 0
		.amdhsa_system_sgpr_workgroup_id_z 0
		.amdhsa_system_sgpr_workgroup_info 0
		.amdhsa_system_vgpr_workitem_id 0
		.amdhsa_next_free_vgpr 1
		.amdhsa_next_free_sgpr 1
		.amdhsa_named_barrier_count 0
		.amdhsa_reserve_vcc 0
		.amdhsa_float_round_mode_32 0
		.amdhsa_float_round_mode_16_64 0
		.amdhsa_float_denorm_mode_32 3
		.amdhsa_float_denorm_mode_16_64 3
		.amdhsa_fp16_overflow 0
		.amdhsa_memory_ordered 1
		.amdhsa_forward_progress 1
		.amdhsa_inst_pref_size 0
		.amdhsa_round_robin_scheduling 0
		.amdhsa_exception_fp_ieee_invalid_op 0
		.amdhsa_exception_fp_denorm_src 0
		.amdhsa_exception_fp_ieee_div_zero 0
		.amdhsa_exception_fp_ieee_overflow 0
		.amdhsa_exception_fp_ieee_underflow 0
		.amdhsa_exception_fp_ieee_inexact 0
		.amdhsa_exception_int_div_zero 0
	.end_amdhsa_kernel
	.section	.text._ZN7rocprim17ROCPRIM_400000_NS6detail17trampoline_kernelINS0_13select_configILj256ELj13ELNS0_17block_load_methodE3ELS4_3ELS4_3ELNS0_20block_scan_algorithmE0ELj4294967295EEENS1_25partition_config_selectorILNS1_17partition_subalgoE3EjNS0_10empty_typeEbEEZZNS1_14partition_implILS8_3ELb0ES6_jNS0_17counting_iteratorIjlEEPS9_SE_NS0_5tupleIJPjSE_EEENSF_IJSE_SE_EEES9_SG_JZNS1_25segmented_radix_sort_implINS0_14default_configELb0EPKfPfPKlPlN2at6native12_GLOBAL__N_18offset_tEEE10hipError_tPvRmT1_PNSt15iterator_traitsISY_E10value_typeET2_T3_PNSZ_IS14_E10value_typeET4_jRbjT5_S1A_jjP12ihipStream_tbEUljE_EEESV_SW_SX_S14_S18_S1A_T6_T7_T9_mT8_S1C_bDpT10_ENKUlT_T0_E_clISt17integral_constantIbLb1EES1O_IbLb0EEEEDaS1K_S1L_EUlS1K_E_NS1_11comp_targetILNS1_3genE5ELNS1_11target_archE942ELNS1_3gpuE9ELNS1_3repE0EEENS1_30default_config_static_selectorELNS0_4arch9wavefront6targetE0EEEvSY_,"axG",@progbits,_ZN7rocprim17ROCPRIM_400000_NS6detail17trampoline_kernelINS0_13select_configILj256ELj13ELNS0_17block_load_methodE3ELS4_3ELS4_3ELNS0_20block_scan_algorithmE0ELj4294967295EEENS1_25partition_config_selectorILNS1_17partition_subalgoE3EjNS0_10empty_typeEbEEZZNS1_14partition_implILS8_3ELb0ES6_jNS0_17counting_iteratorIjlEEPS9_SE_NS0_5tupleIJPjSE_EEENSF_IJSE_SE_EEES9_SG_JZNS1_25segmented_radix_sort_implINS0_14default_configELb0EPKfPfPKlPlN2at6native12_GLOBAL__N_18offset_tEEE10hipError_tPvRmT1_PNSt15iterator_traitsISY_E10value_typeET2_T3_PNSZ_IS14_E10value_typeET4_jRbjT5_S1A_jjP12ihipStream_tbEUljE_EEESV_SW_SX_S14_S18_S1A_T6_T7_T9_mT8_S1C_bDpT10_ENKUlT_T0_E_clISt17integral_constantIbLb1EES1O_IbLb0EEEEDaS1K_S1L_EUlS1K_E_NS1_11comp_targetILNS1_3genE5ELNS1_11target_archE942ELNS1_3gpuE9ELNS1_3repE0EEENS1_30default_config_static_selectorELNS0_4arch9wavefront6targetE0EEEvSY_,comdat
.Lfunc_end1406:
	.size	_ZN7rocprim17ROCPRIM_400000_NS6detail17trampoline_kernelINS0_13select_configILj256ELj13ELNS0_17block_load_methodE3ELS4_3ELS4_3ELNS0_20block_scan_algorithmE0ELj4294967295EEENS1_25partition_config_selectorILNS1_17partition_subalgoE3EjNS0_10empty_typeEbEEZZNS1_14partition_implILS8_3ELb0ES6_jNS0_17counting_iteratorIjlEEPS9_SE_NS0_5tupleIJPjSE_EEENSF_IJSE_SE_EEES9_SG_JZNS1_25segmented_radix_sort_implINS0_14default_configELb0EPKfPfPKlPlN2at6native12_GLOBAL__N_18offset_tEEE10hipError_tPvRmT1_PNSt15iterator_traitsISY_E10value_typeET2_T3_PNSZ_IS14_E10value_typeET4_jRbjT5_S1A_jjP12ihipStream_tbEUljE_EEESV_SW_SX_S14_S18_S1A_T6_T7_T9_mT8_S1C_bDpT10_ENKUlT_T0_E_clISt17integral_constantIbLb1EES1O_IbLb0EEEEDaS1K_S1L_EUlS1K_E_NS1_11comp_targetILNS1_3genE5ELNS1_11target_archE942ELNS1_3gpuE9ELNS1_3repE0EEENS1_30default_config_static_selectorELNS0_4arch9wavefront6targetE0EEEvSY_, .Lfunc_end1406-_ZN7rocprim17ROCPRIM_400000_NS6detail17trampoline_kernelINS0_13select_configILj256ELj13ELNS0_17block_load_methodE3ELS4_3ELS4_3ELNS0_20block_scan_algorithmE0ELj4294967295EEENS1_25partition_config_selectorILNS1_17partition_subalgoE3EjNS0_10empty_typeEbEEZZNS1_14partition_implILS8_3ELb0ES6_jNS0_17counting_iteratorIjlEEPS9_SE_NS0_5tupleIJPjSE_EEENSF_IJSE_SE_EEES9_SG_JZNS1_25segmented_radix_sort_implINS0_14default_configELb0EPKfPfPKlPlN2at6native12_GLOBAL__N_18offset_tEEE10hipError_tPvRmT1_PNSt15iterator_traitsISY_E10value_typeET2_T3_PNSZ_IS14_E10value_typeET4_jRbjT5_S1A_jjP12ihipStream_tbEUljE_EEESV_SW_SX_S14_S18_S1A_T6_T7_T9_mT8_S1C_bDpT10_ENKUlT_T0_E_clISt17integral_constantIbLb1EES1O_IbLb0EEEEDaS1K_S1L_EUlS1K_E_NS1_11comp_targetILNS1_3genE5ELNS1_11target_archE942ELNS1_3gpuE9ELNS1_3repE0EEENS1_30default_config_static_selectorELNS0_4arch9wavefront6targetE0EEEvSY_
                                        ; -- End function
	.set _ZN7rocprim17ROCPRIM_400000_NS6detail17trampoline_kernelINS0_13select_configILj256ELj13ELNS0_17block_load_methodE3ELS4_3ELS4_3ELNS0_20block_scan_algorithmE0ELj4294967295EEENS1_25partition_config_selectorILNS1_17partition_subalgoE3EjNS0_10empty_typeEbEEZZNS1_14partition_implILS8_3ELb0ES6_jNS0_17counting_iteratorIjlEEPS9_SE_NS0_5tupleIJPjSE_EEENSF_IJSE_SE_EEES9_SG_JZNS1_25segmented_radix_sort_implINS0_14default_configELb0EPKfPfPKlPlN2at6native12_GLOBAL__N_18offset_tEEE10hipError_tPvRmT1_PNSt15iterator_traitsISY_E10value_typeET2_T3_PNSZ_IS14_E10value_typeET4_jRbjT5_S1A_jjP12ihipStream_tbEUljE_EEESV_SW_SX_S14_S18_S1A_T6_T7_T9_mT8_S1C_bDpT10_ENKUlT_T0_E_clISt17integral_constantIbLb1EES1O_IbLb0EEEEDaS1K_S1L_EUlS1K_E_NS1_11comp_targetILNS1_3genE5ELNS1_11target_archE942ELNS1_3gpuE9ELNS1_3repE0EEENS1_30default_config_static_selectorELNS0_4arch9wavefront6targetE0EEEvSY_.num_vgpr, 0
	.set _ZN7rocprim17ROCPRIM_400000_NS6detail17trampoline_kernelINS0_13select_configILj256ELj13ELNS0_17block_load_methodE3ELS4_3ELS4_3ELNS0_20block_scan_algorithmE0ELj4294967295EEENS1_25partition_config_selectorILNS1_17partition_subalgoE3EjNS0_10empty_typeEbEEZZNS1_14partition_implILS8_3ELb0ES6_jNS0_17counting_iteratorIjlEEPS9_SE_NS0_5tupleIJPjSE_EEENSF_IJSE_SE_EEES9_SG_JZNS1_25segmented_radix_sort_implINS0_14default_configELb0EPKfPfPKlPlN2at6native12_GLOBAL__N_18offset_tEEE10hipError_tPvRmT1_PNSt15iterator_traitsISY_E10value_typeET2_T3_PNSZ_IS14_E10value_typeET4_jRbjT5_S1A_jjP12ihipStream_tbEUljE_EEESV_SW_SX_S14_S18_S1A_T6_T7_T9_mT8_S1C_bDpT10_ENKUlT_T0_E_clISt17integral_constantIbLb1EES1O_IbLb0EEEEDaS1K_S1L_EUlS1K_E_NS1_11comp_targetILNS1_3genE5ELNS1_11target_archE942ELNS1_3gpuE9ELNS1_3repE0EEENS1_30default_config_static_selectorELNS0_4arch9wavefront6targetE0EEEvSY_.num_agpr, 0
	.set _ZN7rocprim17ROCPRIM_400000_NS6detail17trampoline_kernelINS0_13select_configILj256ELj13ELNS0_17block_load_methodE3ELS4_3ELS4_3ELNS0_20block_scan_algorithmE0ELj4294967295EEENS1_25partition_config_selectorILNS1_17partition_subalgoE3EjNS0_10empty_typeEbEEZZNS1_14partition_implILS8_3ELb0ES6_jNS0_17counting_iteratorIjlEEPS9_SE_NS0_5tupleIJPjSE_EEENSF_IJSE_SE_EEES9_SG_JZNS1_25segmented_radix_sort_implINS0_14default_configELb0EPKfPfPKlPlN2at6native12_GLOBAL__N_18offset_tEEE10hipError_tPvRmT1_PNSt15iterator_traitsISY_E10value_typeET2_T3_PNSZ_IS14_E10value_typeET4_jRbjT5_S1A_jjP12ihipStream_tbEUljE_EEESV_SW_SX_S14_S18_S1A_T6_T7_T9_mT8_S1C_bDpT10_ENKUlT_T0_E_clISt17integral_constantIbLb1EES1O_IbLb0EEEEDaS1K_S1L_EUlS1K_E_NS1_11comp_targetILNS1_3genE5ELNS1_11target_archE942ELNS1_3gpuE9ELNS1_3repE0EEENS1_30default_config_static_selectorELNS0_4arch9wavefront6targetE0EEEvSY_.numbered_sgpr, 0
	.set _ZN7rocprim17ROCPRIM_400000_NS6detail17trampoline_kernelINS0_13select_configILj256ELj13ELNS0_17block_load_methodE3ELS4_3ELS4_3ELNS0_20block_scan_algorithmE0ELj4294967295EEENS1_25partition_config_selectorILNS1_17partition_subalgoE3EjNS0_10empty_typeEbEEZZNS1_14partition_implILS8_3ELb0ES6_jNS0_17counting_iteratorIjlEEPS9_SE_NS0_5tupleIJPjSE_EEENSF_IJSE_SE_EEES9_SG_JZNS1_25segmented_radix_sort_implINS0_14default_configELb0EPKfPfPKlPlN2at6native12_GLOBAL__N_18offset_tEEE10hipError_tPvRmT1_PNSt15iterator_traitsISY_E10value_typeET2_T3_PNSZ_IS14_E10value_typeET4_jRbjT5_S1A_jjP12ihipStream_tbEUljE_EEESV_SW_SX_S14_S18_S1A_T6_T7_T9_mT8_S1C_bDpT10_ENKUlT_T0_E_clISt17integral_constantIbLb1EES1O_IbLb0EEEEDaS1K_S1L_EUlS1K_E_NS1_11comp_targetILNS1_3genE5ELNS1_11target_archE942ELNS1_3gpuE9ELNS1_3repE0EEENS1_30default_config_static_selectorELNS0_4arch9wavefront6targetE0EEEvSY_.num_named_barrier, 0
	.set _ZN7rocprim17ROCPRIM_400000_NS6detail17trampoline_kernelINS0_13select_configILj256ELj13ELNS0_17block_load_methodE3ELS4_3ELS4_3ELNS0_20block_scan_algorithmE0ELj4294967295EEENS1_25partition_config_selectorILNS1_17partition_subalgoE3EjNS0_10empty_typeEbEEZZNS1_14partition_implILS8_3ELb0ES6_jNS0_17counting_iteratorIjlEEPS9_SE_NS0_5tupleIJPjSE_EEENSF_IJSE_SE_EEES9_SG_JZNS1_25segmented_radix_sort_implINS0_14default_configELb0EPKfPfPKlPlN2at6native12_GLOBAL__N_18offset_tEEE10hipError_tPvRmT1_PNSt15iterator_traitsISY_E10value_typeET2_T3_PNSZ_IS14_E10value_typeET4_jRbjT5_S1A_jjP12ihipStream_tbEUljE_EEESV_SW_SX_S14_S18_S1A_T6_T7_T9_mT8_S1C_bDpT10_ENKUlT_T0_E_clISt17integral_constantIbLb1EES1O_IbLb0EEEEDaS1K_S1L_EUlS1K_E_NS1_11comp_targetILNS1_3genE5ELNS1_11target_archE942ELNS1_3gpuE9ELNS1_3repE0EEENS1_30default_config_static_selectorELNS0_4arch9wavefront6targetE0EEEvSY_.private_seg_size, 0
	.set _ZN7rocprim17ROCPRIM_400000_NS6detail17trampoline_kernelINS0_13select_configILj256ELj13ELNS0_17block_load_methodE3ELS4_3ELS4_3ELNS0_20block_scan_algorithmE0ELj4294967295EEENS1_25partition_config_selectorILNS1_17partition_subalgoE3EjNS0_10empty_typeEbEEZZNS1_14partition_implILS8_3ELb0ES6_jNS0_17counting_iteratorIjlEEPS9_SE_NS0_5tupleIJPjSE_EEENSF_IJSE_SE_EEES9_SG_JZNS1_25segmented_radix_sort_implINS0_14default_configELb0EPKfPfPKlPlN2at6native12_GLOBAL__N_18offset_tEEE10hipError_tPvRmT1_PNSt15iterator_traitsISY_E10value_typeET2_T3_PNSZ_IS14_E10value_typeET4_jRbjT5_S1A_jjP12ihipStream_tbEUljE_EEESV_SW_SX_S14_S18_S1A_T6_T7_T9_mT8_S1C_bDpT10_ENKUlT_T0_E_clISt17integral_constantIbLb1EES1O_IbLb0EEEEDaS1K_S1L_EUlS1K_E_NS1_11comp_targetILNS1_3genE5ELNS1_11target_archE942ELNS1_3gpuE9ELNS1_3repE0EEENS1_30default_config_static_selectorELNS0_4arch9wavefront6targetE0EEEvSY_.uses_vcc, 0
	.set _ZN7rocprim17ROCPRIM_400000_NS6detail17trampoline_kernelINS0_13select_configILj256ELj13ELNS0_17block_load_methodE3ELS4_3ELS4_3ELNS0_20block_scan_algorithmE0ELj4294967295EEENS1_25partition_config_selectorILNS1_17partition_subalgoE3EjNS0_10empty_typeEbEEZZNS1_14partition_implILS8_3ELb0ES6_jNS0_17counting_iteratorIjlEEPS9_SE_NS0_5tupleIJPjSE_EEENSF_IJSE_SE_EEES9_SG_JZNS1_25segmented_radix_sort_implINS0_14default_configELb0EPKfPfPKlPlN2at6native12_GLOBAL__N_18offset_tEEE10hipError_tPvRmT1_PNSt15iterator_traitsISY_E10value_typeET2_T3_PNSZ_IS14_E10value_typeET4_jRbjT5_S1A_jjP12ihipStream_tbEUljE_EEESV_SW_SX_S14_S18_S1A_T6_T7_T9_mT8_S1C_bDpT10_ENKUlT_T0_E_clISt17integral_constantIbLb1EES1O_IbLb0EEEEDaS1K_S1L_EUlS1K_E_NS1_11comp_targetILNS1_3genE5ELNS1_11target_archE942ELNS1_3gpuE9ELNS1_3repE0EEENS1_30default_config_static_selectorELNS0_4arch9wavefront6targetE0EEEvSY_.uses_flat_scratch, 0
	.set _ZN7rocprim17ROCPRIM_400000_NS6detail17trampoline_kernelINS0_13select_configILj256ELj13ELNS0_17block_load_methodE3ELS4_3ELS4_3ELNS0_20block_scan_algorithmE0ELj4294967295EEENS1_25partition_config_selectorILNS1_17partition_subalgoE3EjNS0_10empty_typeEbEEZZNS1_14partition_implILS8_3ELb0ES6_jNS0_17counting_iteratorIjlEEPS9_SE_NS0_5tupleIJPjSE_EEENSF_IJSE_SE_EEES9_SG_JZNS1_25segmented_radix_sort_implINS0_14default_configELb0EPKfPfPKlPlN2at6native12_GLOBAL__N_18offset_tEEE10hipError_tPvRmT1_PNSt15iterator_traitsISY_E10value_typeET2_T3_PNSZ_IS14_E10value_typeET4_jRbjT5_S1A_jjP12ihipStream_tbEUljE_EEESV_SW_SX_S14_S18_S1A_T6_T7_T9_mT8_S1C_bDpT10_ENKUlT_T0_E_clISt17integral_constantIbLb1EES1O_IbLb0EEEEDaS1K_S1L_EUlS1K_E_NS1_11comp_targetILNS1_3genE5ELNS1_11target_archE942ELNS1_3gpuE9ELNS1_3repE0EEENS1_30default_config_static_selectorELNS0_4arch9wavefront6targetE0EEEvSY_.has_dyn_sized_stack, 0
	.set _ZN7rocprim17ROCPRIM_400000_NS6detail17trampoline_kernelINS0_13select_configILj256ELj13ELNS0_17block_load_methodE3ELS4_3ELS4_3ELNS0_20block_scan_algorithmE0ELj4294967295EEENS1_25partition_config_selectorILNS1_17partition_subalgoE3EjNS0_10empty_typeEbEEZZNS1_14partition_implILS8_3ELb0ES6_jNS0_17counting_iteratorIjlEEPS9_SE_NS0_5tupleIJPjSE_EEENSF_IJSE_SE_EEES9_SG_JZNS1_25segmented_radix_sort_implINS0_14default_configELb0EPKfPfPKlPlN2at6native12_GLOBAL__N_18offset_tEEE10hipError_tPvRmT1_PNSt15iterator_traitsISY_E10value_typeET2_T3_PNSZ_IS14_E10value_typeET4_jRbjT5_S1A_jjP12ihipStream_tbEUljE_EEESV_SW_SX_S14_S18_S1A_T6_T7_T9_mT8_S1C_bDpT10_ENKUlT_T0_E_clISt17integral_constantIbLb1EES1O_IbLb0EEEEDaS1K_S1L_EUlS1K_E_NS1_11comp_targetILNS1_3genE5ELNS1_11target_archE942ELNS1_3gpuE9ELNS1_3repE0EEENS1_30default_config_static_selectorELNS0_4arch9wavefront6targetE0EEEvSY_.has_recursion, 0
	.set _ZN7rocprim17ROCPRIM_400000_NS6detail17trampoline_kernelINS0_13select_configILj256ELj13ELNS0_17block_load_methodE3ELS4_3ELS4_3ELNS0_20block_scan_algorithmE0ELj4294967295EEENS1_25partition_config_selectorILNS1_17partition_subalgoE3EjNS0_10empty_typeEbEEZZNS1_14partition_implILS8_3ELb0ES6_jNS0_17counting_iteratorIjlEEPS9_SE_NS0_5tupleIJPjSE_EEENSF_IJSE_SE_EEES9_SG_JZNS1_25segmented_radix_sort_implINS0_14default_configELb0EPKfPfPKlPlN2at6native12_GLOBAL__N_18offset_tEEE10hipError_tPvRmT1_PNSt15iterator_traitsISY_E10value_typeET2_T3_PNSZ_IS14_E10value_typeET4_jRbjT5_S1A_jjP12ihipStream_tbEUljE_EEESV_SW_SX_S14_S18_S1A_T6_T7_T9_mT8_S1C_bDpT10_ENKUlT_T0_E_clISt17integral_constantIbLb1EES1O_IbLb0EEEEDaS1K_S1L_EUlS1K_E_NS1_11comp_targetILNS1_3genE5ELNS1_11target_archE942ELNS1_3gpuE9ELNS1_3repE0EEENS1_30default_config_static_selectorELNS0_4arch9wavefront6targetE0EEEvSY_.has_indirect_call, 0
	.section	.AMDGPU.csdata,"",@progbits
; Kernel info:
; codeLenInByte = 0
; TotalNumSgprs: 0
; NumVgprs: 0
; ScratchSize: 0
; MemoryBound: 0
; FloatMode: 240
; IeeeMode: 1
; LDSByteSize: 0 bytes/workgroup (compile time only)
; SGPRBlocks: 0
; VGPRBlocks: 0
; NumSGPRsForWavesPerEU: 1
; NumVGPRsForWavesPerEU: 1
; NamedBarCnt: 0
; Occupancy: 16
; WaveLimiterHint : 0
; COMPUTE_PGM_RSRC2:SCRATCH_EN: 0
; COMPUTE_PGM_RSRC2:USER_SGPR: 2
; COMPUTE_PGM_RSRC2:TRAP_HANDLER: 0
; COMPUTE_PGM_RSRC2:TGID_X_EN: 1
; COMPUTE_PGM_RSRC2:TGID_Y_EN: 0
; COMPUTE_PGM_RSRC2:TGID_Z_EN: 0
; COMPUTE_PGM_RSRC2:TIDIG_COMP_CNT: 0
	.section	.text._ZN7rocprim17ROCPRIM_400000_NS6detail17trampoline_kernelINS0_13select_configILj256ELj13ELNS0_17block_load_methodE3ELS4_3ELS4_3ELNS0_20block_scan_algorithmE0ELj4294967295EEENS1_25partition_config_selectorILNS1_17partition_subalgoE3EjNS0_10empty_typeEbEEZZNS1_14partition_implILS8_3ELb0ES6_jNS0_17counting_iteratorIjlEEPS9_SE_NS0_5tupleIJPjSE_EEENSF_IJSE_SE_EEES9_SG_JZNS1_25segmented_radix_sort_implINS0_14default_configELb0EPKfPfPKlPlN2at6native12_GLOBAL__N_18offset_tEEE10hipError_tPvRmT1_PNSt15iterator_traitsISY_E10value_typeET2_T3_PNSZ_IS14_E10value_typeET4_jRbjT5_S1A_jjP12ihipStream_tbEUljE_EEESV_SW_SX_S14_S18_S1A_T6_T7_T9_mT8_S1C_bDpT10_ENKUlT_T0_E_clISt17integral_constantIbLb1EES1O_IbLb0EEEEDaS1K_S1L_EUlS1K_E_NS1_11comp_targetILNS1_3genE4ELNS1_11target_archE910ELNS1_3gpuE8ELNS1_3repE0EEENS1_30default_config_static_selectorELNS0_4arch9wavefront6targetE0EEEvSY_,"axG",@progbits,_ZN7rocprim17ROCPRIM_400000_NS6detail17trampoline_kernelINS0_13select_configILj256ELj13ELNS0_17block_load_methodE3ELS4_3ELS4_3ELNS0_20block_scan_algorithmE0ELj4294967295EEENS1_25partition_config_selectorILNS1_17partition_subalgoE3EjNS0_10empty_typeEbEEZZNS1_14partition_implILS8_3ELb0ES6_jNS0_17counting_iteratorIjlEEPS9_SE_NS0_5tupleIJPjSE_EEENSF_IJSE_SE_EEES9_SG_JZNS1_25segmented_radix_sort_implINS0_14default_configELb0EPKfPfPKlPlN2at6native12_GLOBAL__N_18offset_tEEE10hipError_tPvRmT1_PNSt15iterator_traitsISY_E10value_typeET2_T3_PNSZ_IS14_E10value_typeET4_jRbjT5_S1A_jjP12ihipStream_tbEUljE_EEESV_SW_SX_S14_S18_S1A_T6_T7_T9_mT8_S1C_bDpT10_ENKUlT_T0_E_clISt17integral_constantIbLb1EES1O_IbLb0EEEEDaS1K_S1L_EUlS1K_E_NS1_11comp_targetILNS1_3genE4ELNS1_11target_archE910ELNS1_3gpuE8ELNS1_3repE0EEENS1_30default_config_static_selectorELNS0_4arch9wavefront6targetE0EEEvSY_,comdat
	.globl	_ZN7rocprim17ROCPRIM_400000_NS6detail17trampoline_kernelINS0_13select_configILj256ELj13ELNS0_17block_load_methodE3ELS4_3ELS4_3ELNS0_20block_scan_algorithmE0ELj4294967295EEENS1_25partition_config_selectorILNS1_17partition_subalgoE3EjNS0_10empty_typeEbEEZZNS1_14partition_implILS8_3ELb0ES6_jNS0_17counting_iteratorIjlEEPS9_SE_NS0_5tupleIJPjSE_EEENSF_IJSE_SE_EEES9_SG_JZNS1_25segmented_radix_sort_implINS0_14default_configELb0EPKfPfPKlPlN2at6native12_GLOBAL__N_18offset_tEEE10hipError_tPvRmT1_PNSt15iterator_traitsISY_E10value_typeET2_T3_PNSZ_IS14_E10value_typeET4_jRbjT5_S1A_jjP12ihipStream_tbEUljE_EEESV_SW_SX_S14_S18_S1A_T6_T7_T9_mT8_S1C_bDpT10_ENKUlT_T0_E_clISt17integral_constantIbLb1EES1O_IbLb0EEEEDaS1K_S1L_EUlS1K_E_NS1_11comp_targetILNS1_3genE4ELNS1_11target_archE910ELNS1_3gpuE8ELNS1_3repE0EEENS1_30default_config_static_selectorELNS0_4arch9wavefront6targetE0EEEvSY_ ; -- Begin function _ZN7rocprim17ROCPRIM_400000_NS6detail17trampoline_kernelINS0_13select_configILj256ELj13ELNS0_17block_load_methodE3ELS4_3ELS4_3ELNS0_20block_scan_algorithmE0ELj4294967295EEENS1_25partition_config_selectorILNS1_17partition_subalgoE3EjNS0_10empty_typeEbEEZZNS1_14partition_implILS8_3ELb0ES6_jNS0_17counting_iteratorIjlEEPS9_SE_NS0_5tupleIJPjSE_EEENSF_IJSE_SE_EEES9_SG_JZNS1_25segmented_radix_sort_implINS0_14default_configELb0EPKfPfPKlPlN2at6native12_GLOBAL__N_18offset_tEEE10hipError_tPvRmT1_PNSt15iterator_traitsISY_E10value_typeET2_T3_PNSZ_IS14_E10value_typeET4_jRbjT5_S1A_jjP12ihipStream_tbEUljE_EEESV_SW_SX_S14_S18_S1A_T6_T7_T9_mT8_S1C_bDpT10_ENKUlT_T0_E_clISt17integral_constantIbLb1EES1O_IbLb0EEEEDaS1K_S1L_EUlS1K_E_NS1_11comp_targetILNS1_3genE4ELNS1_11target_archE910ELNS1_3gpuE8ELNS1_3repE0EEENS1_30default_config_static_selectorELNS0_4arch9wavefront6targetE0EEEvSY_
	.p2align	8
	.type	_ZN7rocprim17ROCPRIM_400000_NS6detail17trampoline_kernelINS0_13select_configILj256ELj13ELNS0_17block_load_methodE3ELS4_3ELS4_3ELNS0_20block_scan_algorithmE0ELj4294967295EEENS1_25partition_config_selectorILNS1_17partition_subalgoE3EjNS0_10empty_typeEbEEZZNS1_14partition_implILS8_3ELb0ES6_jNS0_17counting_iteratorIjlEEPS9_SE_NS0_5tupleIJPjSE_EEENSF_IJSE_SE_EEES9_SG_JZNS1_25segmented_radix_sort_implINS0_14default_configELb0EPKfPfPKlPlN2at6native12_GLOBAL__N_18offset_tEEE10hipError_tPvRmT1_PNSt15iterator_traitsISY_E10value_typeET2_T3_PNSZ_IS14_E10value_typeET4_jRbjT5_S1A_jjP12ihipStream_tbEUljE_EEESV_SW_SX_S14_S18_S1A_T6_T7_T9_mT8_S1C_bDpT10_ENKUlT_T0_E_clISt17integral_constantIbLb1EES1O_IbLb0EEEEDaS1K_S1L_EUlS1K_E_NS1_11comp_targetILNS1_3genE4ELNS1_11target_archE910ELNS1_3gpuE8ELNS1_3repE0EEENS1_30default_config_static_selectorELNS0_4arch9wavefront6targetE0EEEvSY_,@function
_ZN7rocprim17ROCPRIM_400000_NS6detail17trampoline_kernelINS0_13select_configILj256ELj13ELNS0_17block_load_methodE3ELS4_3ELS4_3ELNS0_20block_scan_algorithmE0ELj4294967295EEENS1_25partition_config_selectorILNS1_17partition_subalgoE3EjNS0_10empty_typeEbEEZZNS1_14partition_implILS8_3ELb0ES6_jNS0_17counting_iteratorIjlEEPS9_SE_NS0_5tupleIJPjSE_EEENSF_IJSE_SE_EEES9_SG_JZNS1_25segmented_radix_sort_implINS0_14default_configELb0EPKfPfPKlPlN2at6native12_GLOBAL__N_18offset_tEEE10hipError_tPvRmT1_PNSt15iterator_traitsISY_E10value_typeET2_T3_PNSZ_IS14_E10value_typeET4_jRbjT5_S1A_jjP12ihipStream_tbEUljE_EEESV_SW_SX_S14_S18_S1A_T6_T7_T9_mT8_S1C_bDpT10_ENKUlT_T0_E_clISt17integral_constantIbLb1EES1O_IbLb0EEEEDaS1K_S1L_EUlS1K_E_NS1_11comp_targetILNS1_3genE4ELNS1_11target_archE910ELNS1_3gpuE8ELNS1_3repE0EEENS1_30default_config_static_selectorELNS0_4arch9wavefront6targetE0EEEvSY_: ; @_ZN7rocprim17ROCPRIM_400000_NS6detail17trampoline_kernelINS0_13select_configILj256ELj13ELNS0_17block_load_methodE3ELS4_3ELS4_3ELNS0_20block_scan_algorithmE0ELj4294967295EEENS1_25partition_config_selectorILNS1_17partition_subalgoE3EjNS0_10empty_typeEbEEZZNS1_14partition_implILS8_3ELb0ES6_jNS0_17counting_iteratorIjlEEPS9_SE_NS0_5tupleIJPjSE_EEENSF_IJSE_SE_EEES9_SG_JZNS1_25segmented_radix_sort_implINS0_14default_configELb0EPKfPfPKlPlN2at6native12_GLOBAL__N_18offset_tEEE10hipError_tPvRmT1_PNSt15iterator_traitsISY_E10value_typeET2_T3_PNSZ_IS14_E10value_typeET4_jRbjT5_S1A_jjP12ihipStream_tbEUljE_EEESV_SW_SX_S14_S18_S1A_T6_T7_T9_mT8_S1C_bDpT10_ENKUlT_T0_E_clISt17integral_constantIbLb1EES1O_IbLb0EEEEDaS1K_S1L_EUlS1K_E_NS1_11comp_targetILNS1_3genE4ELNS1_11target_archE910ELNS1_3gpuE8ELNS1_3repE0EEENS1_30default_config_static_selectorELNS0_4arch9wavefront6targetE0EEEvSY_
; %bb.0:
	.section	.rodata,"a",@progbits
	.p2align	6, 0x0
	.amdhsa_kernel _ZN7rocprim17ROCPRIM_400000_NS6detail17trampoline_kernelINS0_13select_configILj256ELj13ELNS0_17block_load_methodE3ELS4_3ELS4_3ELNS0_20block_scan_algorithmE0ELj4294967295EEENS1_25partition_config_selectorILNS1_17partition_subalgoE3EjNS0_10empty_typeEbEEZZNS1_14partition_implILS8_3ELb0ES6_jNS0_17counting_iteratorIjlEEPS9_SE_NS0_5tupleIJPjSE_EEENSF_IJSE_SE_EEES9_SG_JZNS1_25segmented_radix_sort_implINS0_14default_configELb0EPKfPfPKlPlN2at6native12_GLOBAL__N_18offset_tEEE10hipError_tPvRmT1_PNSt15iterator_traitsISY_E10value_typeET2_T3_PNSZ_IS14_E10value_typeET4_jRbjT5_S1A_jjP12ihipStream_tbEUljE_EEESV_SW_SX_S14_S18_S1A_T6_T7_T9_mT8_S1C_bDpT10_ENKUlT_T0_E_clISt17integral_constantIbLb1EES1O_IbLb0EEEEDaS1K_S1L_EUlS1K_E_NS1_11comp_targetILNS1_3genE4ELNS1_11target_archE910ELNS1_3gpuE8ELNS1_3repE0EEENS1_30default_config_static_selectorELNS0_4arch9wavefront6targetE0EEEvSY_
		.amdhsa_group_segment_fixed_size 0
		.amdhsa_private_segment_fixed_size 0
		.amdhsa_kernarg_size 144
		.amdhsa_user_sgpr_count 2
		.amdhsa_user_sgpr_dispatch_ptr 0
		.amdhsa_user_sgpr_queue_ptr 0
		.amdhsa_user_sgpr_kernarg_segment_ptr 1
		.amdhsa_user_sgpr_dispatch_id 0
		.amdhsa_user_sgpr_kernarg_preload_length 0
		.amdhsa_user_sgpr_kernarg_preload_offset 0
		.amdhsa_user_sgpr_private_segment_size 0
		.amdhsa_wavefront_size32 1
		.amdhsa_uses_dynamic_stack 0
		.amdhsa_enable_private_segment 0
		.amdhsa_system_sgpr_workgroup_id_x 1
		.amdhsa_system_sgpr_workgroup_id_y 0
		.amdhsa_system_sgpr_workgroup_id_z 0
		.amdhsa_system_sgpr_workgroup_info 0
		.amdhsa_system_vgpr_workitem_id 0
		.amdhsa_next_free_vgpr 1
		.amdhsa_next_free_sgpr 1
		.amdhsa_named_barrier_count 0
		.amdhsa_reserve_vcc 0
		.amdhsa_float_round_mode_32 0
		.amdhsa_float_round_mode_16_64 0
		.amdhsa_float_denorm_mode_32 3
		.amdhsa_float_denorm_mode_16_64 3
		.amdhsa_fp16_overflow 0
		.amdhsa_memory_ordered 1
		.amdhsa_forward_progress 1
		.amdhsa_inst_pref_size 0
		.amdhsa_round_robin_scheduling 0
		.amdhsa_exception_fp_ieee_invalid_op 0
		.amdhsa_exception_fp_denorm_src 0
		.amdhsa_exception_fp_ieee_div_zero 0
		.amdhsa_exception_fp_ieee_overflow 0
		.amdhsa_exception_fp_ieee_underflow 0
		.amdhsa_exception_fp_ieee_inexact 0
		.amdhsa_exception_int_div_zero 0
	.end_amdhsa_kernel
	.section	.text._ZN7rocprim17ROCPRIM_400000_NS6detail17trampoline_kernelINS0_13select_configILj256ELj13ELNS0_17block_load_methodE3ELS4_3ELS4_3ELNS0_20block_scan_algorithmE0ELj4294967295EEENS1_25partition_config_selectorILNS1_17partition_subalgoE3EjNS0_10empty_typeEbEEZZNS1_14partition_implILS8_3ELb0ES6_jNS0_17counting_iteratorIjlEEPS9_SE_NS0_5tupleIJPjSE_EEENSF_IJSE_SE_EEES9_SG_JZNS1_25segmented_radix_sort_implINS0_14default_configELb0EPKfPfPKlPlN2at6native12_GLOBAL__N_18offset_tEEE10hipError_tPvRmT1_PNSt15iterator_traitsISY_E10value_typeET2_T3_PNSZ_IS14_E10value_typeET4_jRbjT5_S1A_jjP12ihipStream_tbEUljE_EEESV_SW_SX_S14_S18_S1A_T6_T7_T9_mT8_S1C_bDpT10_ENKUlT_T0_E_clISt17integral_constantIbLb1EES1O_IbLb0EEEEDaS1K_S1L_EUlS1K_E_NS1_11comp_targetILNS1_3genE4ELNS1_11target_archE910ELNS1_3gpuE8ELNS1_3repE0EEENS1_30default_config_static_selectorELNS0_4arch9wavefront6targetE0EEEvSY_,"axG",@progbits,_ZN7rocprim17ROCPRIM_400000_NS6detail17trampoline_kernelINS0_13select_configILj256ELj13ELNS0_17block_load_methodE3ELS4_3ELS4_3ELNS0_20block_scan_algorithmE0ELj4294967295EEENS1_25partition_config_selectorILNS1_17partition_subalgoE3EjNS0_10empty_typeEbEEZZNS1_14partition_implILS8_3ELb0ES6_jNS0_17counting_iteratorIjlEEPS9_SE_NS0_5tupleIJPjSE_EEENSF_IJSE_SE_EEES9_SG_JZNS1_25segmented_radix_sort_implINS0_14default_configELb0EPKfPfPKlPlN2at6native12_GLOBAL__N_18offset_tEEE10hipError_tPvRmT1_PNSt15iterator_traitsISY_E10value_typeET2_T3_PNSZ_IS14_E10value_typeET4_jRbjT5_S1A_jjP12ihipStream_tbEUljE_EEESV_SW_SX_S14_S18_S1A_T6_T7_T9_mT8_S1C_bDpT10_ENKUlT_T0_E_clISt17integral_constantIbLb1EES1O_IbLb0EEEEDaS1K_S1L_EUlS1K_E_NS1_11comp_targetILNS1_3genE4ELNS1_11target_archE910ELNS1_3gpuE8ELNS1_3repE0EEENS1_30default_config_static_selectorELNS0_4arch9wavefront6targetE0EEEvSY_,comdat
.Lfunc_end1407:
	.size	_ZN7rocprim17ROCPRIM_400000_NS6detail17trampoline_kernelINS0_13select_configILj256ELj13ELNS0_17block_load_methodE3ELS4_3ELS4_3ELNS0_20block_scan_algorithmE0ELj4294967295EEENS1_25partition_config_selectorILNS1_17partition_subalgoE3EjNS0_10empty_typeEbEEZZNS1_14partition_implILS8_3ELb0ES6_jNS0_17counting_iteratorIjlEEPS9_SE_NS0_5tupleIJPjSE_EEENSF_IJSE_SE_EEES9_SG_JZNS1_25segmented_radix_sort_implINS0_14default_configELb0EPKfPfPKlPlN2at6native12_GLOBAL__N_18offset_tEEE10hipError_tPvRmT1_PNSt15iterator_traitsISY_E10value_typeET2_T3_PNSZ_IS14_E10value_typeET4_jRbjT5_S1A_jjP12ihipStream_tbEUljE_EEESV_SW_SX_S14_S18_S1A_T6_T7_T9_mT8_S1C_bDpT10_ENKUlT_T0_E_clISt17integral_constantIbLb1EES1O_IbLb0EEEEDaS1K_S1L_EUlS1K_E_NS1_11comp_targetILNS1_3genE4ELNS1_11target_archE910ELNS1_3gpuE8ELNS1_3repE0EEENS1_30default_config_static_selectorELNS0_4arch9wavefront6targetE0EEEvSY_, .Lfunc_end1407-_ZN7rocprim17ROCPRIM_400000_NS6detail17trampoline_kernelINS0_13select_configILj256ELj13ELNS0_17block_load_methodE3ELS4_3ELS4_3ELNS0_20block_scan_algorithmE0ELj4294967295EEENS1_25partition_config_selectorILNS1_17partition_subalgoE3EjNS0_10empty_typeEbEEZZNS1_14partition_implILS8_3ELb0ES6_jNS0_17counting_iteratorIjlEEPS9_SE_NS0_5tupleIJPjSE_EEENSF_IJSE_SE_EEES9_SG_JZNS1_25segmented_radix_sort_implINS0_14default_configELb0EPKfPfPKlPlN2at6native12_GLOBAL__N_18offset_tEEE10hipError_tPvRmT1_PNSt15iterator_traitsISY_E10value_typeET2_T3_PNSZ_IS14_E10value_typeET4_jRbjT5_S1A_jjP12ihipStream_tbEUljE_EEESV_SW_SX_S14_S18_S1A_T6_T7_T9_mT8_S1C_bDpT10_ENKUlT_T0_E_clISt17integral_constantIbLb1EES1O_IbLb0EEEEDaS1K_S1L_EUlS1K_E_NS1_11comp_targetILNS1_3genE4ELNS1_11target_archE910ELNS1_3gpuE8ELNS1_3repE0EEENS1_30default_config_static_selectorELNS0_4arch9wavefront6targetE0EEEvSY_
                                        ; -- End function
	.set _ZN7rocprim17ROCPRIM_400000_NS6detail17trampoline_kernelINS0_13select_configILj256ELj13ELNS0_17block_load_methodE3ELS4_3ELS4_3ELNS0_20block_scan_algorithmE0ELj4294967295EEENS1_25partition_config_selectorILNS1_17partition_subalgoE3EjNS0_10empty_typeEbEEZZNS1_14partition_implILS8_3ELb0ES6_jNS0_17counting_iteratorIjlEEPS9_SE_NS0_5tupleIJPjSE_EEENSF_IJSE_SE_EEES9_SG_JZNS1_25segmented_radix_sort_implINS0_14default_configELb0EPKfPfPKlPlN2at6native12_GLOBAL__N_18offset_tEEE10hipError_tPvRmT1_PNSt15iterator_traitsISY_E10value_typeET2_T3_PNSZ_IS14_E10value_typeET4_jRbjT5_S1A_jjP12ihipStream_tbEUljE_EEESV_SW_SX_S14_S18_S1A_T6_T7_T9_mT8_S1C_bDpT10_ENKUlT_T0_E_clISt17integral_constantIbLb1EES1O_IbLb0EEEEDaS1K_S1L_EUlS1K_E_NS1_11comp_targetILNS1_3genE4ELNS1_11target_archE910ELNS1_3gpuE8ELNS1_3repE0EEENS1_30default_config_static_selectorELNS0_4arch9wavefront6targetE0EEEvSY_.num_vgpr, 0
	.set _ZN7rocprim17ROCPRIM_400000_NS6detail17trampoline_kernelINS0_13select_configILj256ELj13ELNS0_17block_load_methodE3ELS4_3ELS4_3ELNS0_20block_scan_algorithmE0ELj4294967295EEENS1_25partition_config_selectorILNS1_17partition_subalgoE3EjNS0_10empty_typeEbEEZZNS1_14partition_implILS8_3ELb0ES6_jNS0_17counting_iteratorIjlEEPS9_SE_NS0_5tupleIJPjSE_EEENSF_IJSE_SE_EEES9_SG_JZNS1_25segmented_radix_sort_implINS0_14default_configELb0EPKfPfPKlPlN2at6native12_GLOBAL__N_18offset_tEEE10hipError_tPvRmT1_PNSt15iterator_traitsISY_E10value_typeET2_T3_PNSZ_IS14_E10value_typeET4_jRbjT5_S1A_jjP12ihipStream_tbEUljE_EEESV_SW_SX_S14_S18_S1A_T6_T7_T9_mT8_S1C_bDpT10_ENKUlT_T0_E_clISt17integral_constantIbLb1EES1O_IbLb0EEEEDaS1K_S1L_EUlS1K_E_NS1_11comp_targetILNS1_3genE4ELNS1_11target_archE910ELNS1_3gpuE8ELNS1_3repE0EEENS1_30default_config_static_selectorELNS0_4arch9wavefront6targetE0EEEvSY_.num_agpr, 0
	.set _ZN7rocprim17ROCPRIM_400000_NS6detail17trampoline_kernelINS0_13select_configILj256ELj13ELNS0_17block_load_methodE3ELS4_3ELS4_3ELNS0_20block_scan_algorithmE0ELj4294967295EEENS1_25partition_config_selectorILNS1_17partition_subalgoE3EjNS0_10empty_typeEbEEZZNS1_14partition_implILS8_3ELb0ES6_jNS0_17counting_iteratorIjlEEPS9_SE_NS0_5tupleIJPjSE_EEENSF_IJSE_SE_EEES9_SG_JZNS1_25segmented_radix_sort_implINS0_14default_configELb0EPKfPfPKlPlN2at6native12_GLOBAL__N_18offset_tEEE10hipError_tPvRmT1_PNSt15iterator_traitsISY_E10value_typeET2_T3_PNSZ_IS14_E10value_typeET4_jRbjT5_S1A_jjP12ihipStream_tbEUljE_EEESV_SW_SX_S14_S18_S1A_T6_T7_T9_mT8_S1C_bDpT10_ENKUlT_T0_E_clISt17integral_constantIbLb1EES1O_IbLb0EEEEDaS1K_S1L_EUlS1K_E_NS1_11comp_targetILNS1_3genE4ELNS1_11target_archE910ELNS1_3gpuE8ELNS1_3repE0EEENS1_30default_config_static_selectorELNS0_4arch9wavefront6targetE0EEEvSY_.numbered_sgpr, 0
	.set _ZN7rocprim17ROCPRIM_400000_NS6detail17trampoline_kernelINS0_13select_configILj256ELj13ELNS0_17block_load_methodE3ELS4_3ELS4_3ELNS0_20block_scan_algorithmE0ELj4294967295EEENS1_25partition_config_selectorILNS1_17partition_subalgoE3EjNS0_10empty_typeEbEEZZNS1_14partition_implILS8_3ELb0ES6_jNS0_17counting_iteratorIjlEEPS9_SE_NS0_5tupleIJPjSE_EEENSF_IJSE_SE_EEES9_SG_JZNS1_25segmented_radix_sort_implINS0_14default_configELb0EPKfPfPKlPlN2at6native12_GLOBAL__N_18offset_tEEE10hipError_tPvRmT1_PNSt15iterator_traitsISY_E10value_typeET2_T3_PNSZ_IS14_E10value_typeET4_jRbjT5_S1A_jjP12ihipStream_tbEUljE_EEESV_SW_SX_S14_S18_S1A_T6_T7_T9_mT8_S1C_bDpT10_ENKUlT_T0_E_clISt17integral_constantIbLb1EES1O_IbLb0EEEEDaS1K_S1L_EUlS1K_E_NS1_11comp_targetILNS1_3genE4ELNS1_11target_archE910ELNS1_3gpuE8ELNS1_3repE0EEENS1_30default_config_static_selectorELNS0_4arch9wavefront6targetE0EEEvSY_.num_named_barrier, 0
	.set _ZN7rocprim17ROCPRIM_400000_NS6detail17trampoline_kernelINS0_13select_configILj256ELj13ELNS0_17block_load_methodE3ELS4_3ELS4_3ELNS0_20block_scan_algorithmE0ELj4294967295EEENS1_25partition_config_selectorILNS1_17partition_subalgoE3EjNS0_10empty_typeEbEEZZNS1_14partition_implILS8_3ELb0ES6_jNS0_17counting_iteratorIjlEEPS9_SE_NS0_5tupleIJPjSE_EEENSF_IJSE_SE_EEES9_SG_JZNS1_25segmented_radix_sort_implINS0_14default_configELb0EPKfPfPKlPlN2at6native12_GLOBAL__N_18offset_tEEE10hipError_tPvRmT1_PNSt15iterator_traitsISY_E10value_typeET2_T3_PNSZ_IS14_E10value_typeET4_jRbjT5_S1A_jjP12ihipStream_tbEUljE_EEESV_SW_SX_S14_S18_S1A_T6_T7_T9_mT8_S1C_bDpT10_ENKUlT_T0_E_clISt17integral_constantIbLb1EES1O_IbLb0EEEEDaS1K_S1L_EUlS1K_E_NS1_11comp_targetILNS1_3genE4ELNS1_11target_archE910ELNS1_3gpuE8ELNS1_3repE0EEENS1_30default_config_static_selectorELNS0_4arch9wavefront6targetE0EEEvSY_.private_seg_size, 0
	.set _ZN7rocprim17ROCPRIM_400000_NS6detail17trampoline_kernelINS0_13select_configILj256ELj13ELNS0_17block_load_methodE3ELS4_3ELS4_3ELNS0_20block_scan_algorithmE0ELj4294967295EEENS1_25partition_config_selectorILNS1_17partition_subalgoE3EjNS0_10empty_typeEbEEZZNS1_14partition_implILS8_3ELb0ES6_jNS0_17counting_iteratorIjlEEPS9_SE_NS0_5tupleIJPjSE_EEENSF_IJSE_SE_EEES9_SG_JZNS1_25segmented_radix_sort_implINS0_14default_configELb0EPKfPfPKlPlN2at6native12_GLOBAL__N_18offset_tEEE10hipError_tPvRmT1_PNSt15iterator_traitsISY_E10value_typeET2_T3_PNSZ_IS14_E10value_typeET4_jRbjT5_S1A_jjP12ihipStream_tbEUljE_EEESV_SW_SX_S14_S18_S1A_T6_T7_T9_mT8_S1C_bDpT10_ENKUlT_T0_E_clISt17integral_constantIbLb1EES1O_IbLb0EEEEDaS1K_S1L_EUlS1K_E_NS1_11comp_targetILNS1_3genE4ELNS1_11target_archE910ELNS1_3gpuE8ELNS1_3repE0EEENS1_30default_config_static_selectorELNS0_4arch9wavefront6targetE0EEEvSY_.uses_vcc, 0
	.set _ZN7rocprim17ROCPRIM_400000_NS6detail17trampoline_kernelINS0_13select_configILj256ELj13ELNS0_17block_load_methodE3ELS4_3ELS4_3ELNS0_20block_scan_algorithmE0ELj4294967295EEENS1_25partition_config_selectorILNS1_17partition_subalgoE3EjNS0_10empty_typeEbEEZZNS1_14partition_implILS8_3ELb0ES6_jNS0_17counting_iteratorIjlEEPS9_SE_NS0_5tupleIJPjSE_EEENSF_IJSE_SE_EEES9_SG_JZNS1_25segmented_radix_sort_implINS0_14default_configELb0EPKfPfPKlPlN2at6native12_GLOBAL__N_18offset_tEEE10hipError_tPvRmT1_PNSt15iterator_traitsISY_E10value_typeET2_T3_PNSZ_IS14_E10value_typeET4_jRbjT5_S1A_jjP12ihipStream_tbEUljE_EEESV_SW_SX_S14_S18_S1A_T6_T7_T9_mT8_S1C_bDpT10_ENKUlT_T0_E_clISt17integral_constantIbLb1EES1O_IbLb0EEEEDaS1K_S1L_EUlS1K_E_NS1_11comp_targetILNS1_3genE4ELNS1_11target_archE910ELNS1_3gpuE8ELNS1_3repE0EEENS1_30default_config_static_selectorELNS0_4arch9wavefront6targetE0EEEvSY_.uses_flat_scratch, 0
	.set _ZN7rocprim17ROCPRIM_400000_NS6detail17trampoline_kernelINS0_13select_configILj256ELj13ELNS0_17block_load_methodE3ELS4_3ELS4_3ELNS0_20block_scan_algorithmE0ELj4294967295EEENS1_25partition_config_selectorILNS1_17partition_subalgoE3EjNS0_10empty_typeEbEEZZNS1_14partition_implILS8_3ELb0ES6_jNS0_17counting_iteratorIjlEEPS9_SE_NS0_5tupleIJPjSE_EEENSF_IJSE_SE_EEES9_SG_JZNS1_25segmented_radix_sort_implINS0_14default_configELb0EPKfPfPKlPlN2at6native12_GLOBAL__N_18offset_tEEE10hipError_tPvRmT1_PNSt15iterator_traitsISY_E10value_typeET2_T3_PNSZ_IS14_E10value_typeET4_jRbjT5_S1A_jjP12ihipStream_tbEUljE_EEESV_SW_SX_S14_S18_S1A_T6_T7_T9_mT8_S1C_bDpT10_ENKUlT_T0_E_clISt17integral_constantIbLb1EES1O_IbLb0EEEEDaS1K_S1L_EUlS1K_E_NS1_11comp_targetILNS1_3genE4ELNS1_11target_archE910ELNS1_3gpuE8ELNS1_3repE0EEENS1_30default_config_static_selectorELNS0_4arch9wavefront6targetE0EEEvSY_.has_dyn_sized_stack, 0
	.set _ZN7rocprim17ROCPRIM_400000_NS6detail17trampoline_kernelINS0_13select_configILj256ELj13ELNS0_17block_load_methodE3ELS4_3ELS4_3ELNS0_20block_scan_algorithmE0ELj4294967295EEENS1_25partition_config_selectorILNS1_17partition_subalgoE3EjNS0_10empty_typeEbEEZZNS1_14partition_implILS8_3ELb0ES6_jNS0_17counting_iteratorIjlEEPS9_SE_NS0_5tupleIJPjSE_EEENSF_IJSE_SE_EEES9_SG_JZNS1_25segmented_radix_sort_implINS0_14default_configELb0EPKfPfPKlPlN2at6native12_GLOBAL__N_18offset_tEEE10hipError_tPvRmT1_PNSt15iterator_traitsISY_E10value_typeET2_T3_PNSZ_IS14_E10value_typeET4_jRbjT5_S1A_jjP12ihipStream_tbEUljE_EEESV_SW_SX_S14_S18_S1A_T6_T7_T9_mT8_S1C_bDpT10_ENKUlT_T0_E_clISt17integral_constantIbLb1EES1O_IbLb0EEEEDaS1K_S1L_EUlS1K_E_NS1_11comp_targetILNS1_3genE4ELNS1_11target_archE910ELNS1_3gpuE8ELNS1_3repE0EEENS1_30default_config_static_selectorELNS0_4arch9wavefront6targetE0EEEvSY_.has_recursion, 0
	.set _ZN7rocprim17ROCPRIM_400000_NS6detail17trampoline_kernelINS0_13select_configILj256ELj13ELNS0_17block_load_methodE3ELS4_3ELS4_3ELNS0_20block_scan_algorithmE0ELj4294967295EEENS1_25partition_config_selectorILNS1_17partition_subalgoE3EjNS0_10empty_typeEbEEZZNS1_14partition_implILS8_3ELb0ES6_jNS0_17counting_iteratorIjlEEPS9_SE_NS0_5tupleIJPjSE_EEENSF_IJSE_SE_EEES9_SG_JZNS1_25segmented_radix_sort_implINS0_14default_configELb0EPKfPfPKlPlN2at6native12_GLOBAL__N_18offset_tEEE10hipError_tPvRmT1_PNSt15iterator_traitsISY_E10value_typeET2_T3_PNSZ_IS14_E10value_typeET4_jRbjT5_S1A_jjP12ihipStream_tbEUljE_EEESV_SW_SX_S14_S18_S1A_T6_T7_T9_mT8_S1C_bDpT10_ENKUlT_T0_E_clISt17integral_constantIbLb1EES1O_IbLb0EEEEDaS1K_S1L_EUlS1K_E_NS1_11comp_targetILNS1_3genE4ELNS1_11target_archE910ELNS1_3gpuE8ELNS1_3repE0EEENS1_30default_config_static_selectorELNS0_4arch9wavefront6targetE0EEEvSY_.has_indirect_call, 0
	.section	.AMDGPU.csdata,"",@progbits
; Kernel info:
; codeLenInByte = 0
; TotalNumSgprs: 0
; NumVgprs: 0
; ScratchSize: 0
; MemoryBound: 0
; FloatMode: 240
; IeeeMode: 1
; LDSByteSize: 0 bytes/workgroup (compile time only)
; SGPRBlocks: 0
; VGPRBlocks: 0
; NumSGPRsForWavesPerEU: 1
; NumVGPRsForWavesPerEU: 1
; NamedBarCnt: 0
; Occupancy: 16
; WaveLimiterHint : 0
; COMPUTE_PGM_RSRC2:SCRATCH_EN: 0
; COMPUTE_PGM_RSRC2:USER_SGPR: 2
; COMPUTE_PGM_RSRC2:TRAP_HANDLER: 0
; COMPUTE_PGM_RSRC2:TGID_X_EN: 1
; COMPUTE_PGM_RSRC2:TGID_Y_EN: 0
; COMPUTE_PGM_RSRC2:TGID_Z_EN: 0
; COMPUTE_PGM_RSRC2:TIDIG_COMP_CNT: 0
	.section	.text._ZN7rocprim17ROCPRIM_400000_NS6detail17trampoline_kernelINS0_13select_configILj256ELj13ELNS0_17block_load_methodE3ELS4_3ELS4_3ELNS0_20block_scan_algorithmE0ELj4294967295EEENS1_25partition_config_selectorILNS1_17partition_subalgoE3EjNS0_10empty_typeEbEEZZNS1_14partition_implILS8_3ELb0ES6_jNS0_17counting_iteratorIjlEEPS9_SE_NS0_5tupleIJPjSE_EEENSF_IJSE_SE_EEES9_SG_JZNS1_25segmented_radix_sort_implINS0_14default_configELb0EPKfPfPKlPlN2at6native12_GLOBAL__N_18offset_tEEE10hipError_tPvRmT1_PNSt15iterator_traitsISY_E10value_typeET2_T3_PNSZ_IS14_E10value_typeET4_jRbjT5_S1A_jjP12ihipStream_tbEUljE_EEESV_SW_SX_S14_S18_S1A_T6_T7_T9_mT8_S1C_bDpT10_ENKUlT_T0_E_clISt17integral_constantIbLb1EES1O_IbLb0EEEEDaS1K_S1L_EUlS1K_E_NS1_11comp_targetILNS1_3genE3ELNS1_11target_archE908ELNS1_3gpuE7ELNS1_3repE0EEENS1_30default_config_static_selectorELNS0_4arch9wavefront6targetE0EEEvSY_,"axG",@progbits,_ZN7rocprim17ROCPRIM_400000_NS6detail17trampoline_kernelINS0_13select_configILj256ELj13ELNS0_17block_load_methodE3ELS4_3ELS4_3ELNS0_20block_scan_algorithmE0ELj4294967295EEENS1_25partition_config_selectorILNS1_17partition_subalgoE3EjNS0_10empty_typeEbEEZZNS1_14partition_implILS8_3ELb0ES6_jNS0_17counting_iteratorIjlEEPS9_SE_NS0_5tupleIJPjSE_EEENSF_IJSE_SE_EEES9_SG_JZNS1_25segmented_radix_sort_implINS0_14default_configELb0EPKfPfPKlPlN2at6native12_GLOBAL__N_18offset_tEEE10hipError_tPvRmT1_PNSt15iterator_traitsISY_E10value_typeET2_T3_PNSZ_IS14_E10value_typeET4_jRbjT5_S1A_jjP12ihipStream_tbEUljE_EEESV_SW_SX_S14_S18_S1A_T6_T7_T9_mT8_S1C_bDpT10_ENKUlT_T0_E_clISt17integral_constantIbLb1EES1O_IbLb0EEEEDaS1K_S1L_EUlS1K_E_NS1_11comp_targetILNS1_3genE3ELNS1_11target_archE908ELNS1_3gpuE7ELNS1_3repE0EEENS1_30default_config_static_selectorELNS0_4arch9wavefront6targetE0EEEvSY_,comdat
	.globl	_ZN7rocprim17ROCPRIM_400000_NS6detail17trampoline_kernelINS0_13select_configILj256ELj13ELNS0_17block_load_methodE3ELS4_3ELS4_3ELNS0_20block_scan_algorithmE0ELj4294967295EEENS1_25partition_config_selectorILNS1_17partition_subalgoE3EjNS0_10empty_typeEbEEZZNS1_14partition_implILS8_3ELb0ES6_jNS0_17counting_iteratorIjlEEPS9_SE_NS0_5tupleIJPjSE_EEENSF_IJSE_SE_EEES9_SG_JZNS1_25segmented_radix_sort_implINS0_14default_configELb0EPKfPfPKlPlN2at6native12_GLOBAL__N_18offset_tEEE10hipError_tPvRmT1_PNSt15iterator_traitsISY_E10value_typeET2_T3_PNSZ_IS14_E10value_typeET4_jRbjT5_S1A_jjP12ihipStream_tbEUljE_EEESV_SW_SX_S14_S18_S1A_T6_T7_T9_mT8_S1C_bDpT10_ENKUlT_T0_E_clISt17integral_constantIbLb1EES1O_IbLb0EEEEDaS1K_S1L_EUlS1K_E_NS1_11comp_targetILNS1_3genE3ELNS1_11target_archE908ELNS1_3gpuE7ELNS1_3repE0EEENS1_30default_config_static_selectorELNS0_4arch9wavefront6targetE0EEEvSY_ ; -- Begin function _ZN7rocprim17ROCPRIM_400000_NS6detail17trampoline_kernelINS0_13select_configILj256ELj13ELNS0_17block_load_methodE3ELS4_3ELS4_3ELNS0_20block_scan_algorithmE0ELj4294967295EEENS1_25partition_config_selectorILNS1_17partition_subalgoE3EjNS0_10empty_typeEbEEZZNS1_14partition_implILS8_3ELb0ES6_jNS0_17counting_iteratorIjlEEPS9_SE_NS0_5tupleIJPjSE_EEENSF_IJSE_SE_EEES9_SG_JZNS1_25segmented_radix_sort_implINS0_14default_configELb0EPKfPfPKlPlN2at6native12_GLOBAL__N_18offset_tEEE10hipError_tPvRmT1_PNSt15iterator_traitsISY_E10value_typeET2_T3_PNSZ_IS14_E10value_typeET4_jRbjT5_S1A_jjP12ihipStream_tbEUljE_EEESV_SW_SX_S14_S18_S1A_T6_T7_T9_mT8_S1C_bDpT10_ENKUlT_T0_E_clISt17integral_constantIbLb1EES1O_IbLb0EEEEDaS1K_S1L_EUlS1K_E_NS1_11comp_targetILNS1_3genE3ELNS1_11target_archE908ELNS1_3gpuE7ELNS1_3repE0EEENS1_30default_config_static_selectorELNS0_4arch9wavefront6targetE0EEEvSY_
	.p2align	8
	.type	_ZN7rocprim17ROCPRIM_400000_NS6detail17trampoline_kernelINS0_13select_configILj256ELj13ELNS0_17block_load_methodE3ELS4_3ELS4_3ELNS0_20block_scan_algorithmE0ELj4294967295EEENS1_25partition_config_selectorILNS1_17partition_subalgoE3EjNS0_10empty_typeEbEEZZNS1_14partition_implILS8_3ELb0ES6_jNS0_17counting_iteratorIjlEEPS9_SE_NS0_5tupleIJPjSE_EEENSF_IJSE_SE_EEES9_SG_JZNS1_25segmented_radix_sort_implINS0_14default_configELb0EPKfPfPKlPlN2at6native12_GLOBAL__N_18offset_tEEE10hipError_tPvRmT1_PNSt15iterator_traitsISY_E10value_typeET2_T3_PNSZ_IS14_E10value_typeET4_jRbjT5_S1A_jjP12ihipStream_tbEUljE_EEESV_SW_SX_S14_S18_S1A_T6_T7_T9_mT8_S1C_bDpT10_ENKUlT_T0_E_clISt17integral_constantIbLb1EES1O_IbLb0EEEEDaS1K_S1L_EUlS1K_E_NS1_11comp_targetILNS1_3genE3ELNS1_11target_archE908ELNS1_3gpuE7ELNS1_3repE0EEENS1_30default_config_static_selectorELNS0_4arch9wavefront6targetE0EEEvSY_,@function
_ZN7rocprim17ROCPRIM_400000_NS6detail17trampoline_kernelINS0_13select_configILj256ELj13ELNS0_17block_load_methodE3ELS4_3ELS4_3ELNS0_20block_scan_algorithmE0ELj4294967295EEENS1_25partition_config_selectorILNS1_17partition_subalgoE3EjNS0_10empty_typeEbEEZZNS1_14partition_implILS8_3ELb0ES6_jNS0_17counting_iteratorIjlEEPS9_SE_NS0_5tupleIJPjSE_EEENSF_IJSE_SE_EEES9_SG_JZNS1_25segmented_radix_sort_implINS0_14default_configELb0EPKfPfPKlPlN2at6native12_GLOBAL__N_18offset_tEEE10hipError_tPvRmT1_PNSt15iterator_traitsISY_E10value_typeET2_T3_PNSZ_IS14_E10value_typeET4_jRbjT5_S1A_jjP12ihipStream_tbEUljE_EEESV_SW_SX_S14_S18_S1A_T6_T7_T9_mT8_S1C_bDpT10_ENKUlT_T0_E_clISt17integral_constantIbLb1EES1O_IbLb0EEEEDaS1K_S1L_EUlS1K_E_NS1_11comp_targetILNS1_3genE3ELNS1_11target_archE908ELNS1_3gpuE7ELNS1_3repE0EEENS1_30default_config_static_selectorELNS0_4arch9wavefront6targetE0EEEvSY_: ; @_ZN7rocprim17ROCPRIM_400000_NS6detail17trampoline_kernelINS0_13select_configILj256ELj13ELNS0_17block_load_methodE3ELS4_3ELS4_3ELNS0_20block_scan_algorithmE0ELj4294967295EEENS1_25partition_config_selectorILNS1_17partition_subalgoE3EjNS0_10empty_typeEbEEZZNS1_14partition_implILS8_3ELb0ES6_jNS0_17counting_iteratorIjlEEPS9_SE_NS0_5tupleIJPjSE_EEENSF_IJSE_SE_EEES9_SG_JZNS1_25segmented_radix_sort_implINS0_14default_configELb0EPKfPfPKlPlN2at6native12_GLOBAL__N_18offset_tEEE10hipError_tPvRmT1_PNSt15iterator_traitsISY_E10value_typeET2_T3_PNSZ_IS14_E10value_typeET4_jRbjT5_S1A_jjP12ihipStream_tbEUljE_EEESV_SW_SX_S14_S18_S1A_T6_T7_T9_mT8_S1C_bDpT10_ENKUlT_T0_E_clISt17integral_constantIbLb1EES1O_IbLb0EEEEDaS1K_S1L_EUlS1K_E_NS1_11comp_targetILNS1_3genE3ELNS1_11target_archE908ELNS1_3gpuE7ELNS1_3repE0EEENS1_30default_config_static_selectorELNS0_4arch9wavefront6targetE0EEEvSY_
; %bb.0:
	.section	.rodata,"a",@progbits
	.p2align	6, 0x0
	.amdhsa_kernel _ZN7rocprim17ROCPRIM_400000_NS6detail17trampoline_kernelINS0_13select_configILj256ELj13ELNS0_17block_load_methodE3ELS4_3ELS4_3ELNS0_20block_scan_algorithmE0ELj4294967295EEENS1_25partition_config_selectorILNS1_17partition_subalgoE3EjNS0_10empty_typeEbEEZZNS1_14partition_implILS8_3ELb0ES6_jNS0_17counting_iteratorIjlEEPS9_SE_NS0_5tupleIJPjSE_EEENSF_IJSE_SE_EEES9_SG_JZNS1_25segmented_radix_sort_implINS0_14default_configELb0EPKfPfPKlPlN2at6native12_GLOBAL__N_18offset_tEEE10hipError_tPvRmT1_PNSt15iterator_traitsISY_E10value_typeET2_T3_PNSZ_IS14_E10value_typeET4_jRbjT5_S1A_jjP12ihipStream_tbEUljE_EEESV_SW_SX_S14_S18_S1A_T6_T7_T9_mT8_S1C_bDpT10_ENKUlT_T0_E_clISt17integral_constantIbLb1EES1O_IbLb0EEEEDaS1K_S1L_EUlS1K_E_NS1_11comp_targetILNS1_3genE3ELNS1_11target_archE908ELNS1_3gpuE7ELNS1_3repE0EEENS1_30default_config_static_selectorELNS0_4arch9wavefront6targetE0EEEvSY_
		.amdhsa_group_segment_fixed_size 0
		.amdhsa_private_segment_fixed_size 0
		.amdhsa_kernarg_size 144
		.amdhsa_user_sgpr_count 2
		.amdhsa_user_sgpr_dispatch_ptr 0
		.amdhsa_user_sgpr_queue_ptr 0
		.amdhsa_user_sgpr_kernarg_segment_ptr 1
		.amdhsa_user_sgpr_dispatch_id 0
		.amdhsa_user_sgpr_kernarg_preload_length 0
		.amdhsa_user_sgpr_kernarg_preload_offset 0
		.amdhsa_user_sgpr_private_segment_size 0
		.amdhsa_wavefront_size32 1
		.amdhsa_uses_dynamic_stack 0
		.amdhsa_enable_private_segment 0
		.amdhsa_system_sgpr_workgroup_id_x 1
		.amdhsa_system_sgpr_workgroup_id_y 0
		.amdhsa_system_sgpr_workgroup_id_z 0
		.amdhsa_system_sgpr_workgroup_info 0
		.amdhsa_system_vgpr_workitem_id 0
		.amdhsa_next_free_vgpr 1
		.amdhsa_next_free_sgpr 1
		.amdhsa_named_barrier_count 0
		.amdhsa_reserve_vcc 0
		.amdhsa_float_round_mode_32 0
		.amdhsa_float_round_mode_16_64 0
		.amdhsa_float_denorm_mode_32 3
		.amdhsa_float_denorm_mode_16_64 3
		.amdhsa_fp16_overflow 0
		.amdhsa_memory_ordered 1
		.amdhsa_forward_progress 1
		.amdhsa_inst_pref_size 0
		.amdhsa_round_robin_scheduling 0
		.amdhsa_exception_fp_ieee_invalid_op 0
		.amdhsa_exception_fp_denorm_src 0
		.amdhsa_exception_fp_ieee_div_zero 0
		.amdhsa_exception_fp_ieee_overflow 0
		.amdhsa_exception_fp_ieee_underflow 0
		.amdhsa_exception_fp_ieee_inexact 0
		.amdhsa_exception_int_div_zero 0
	.end_amdhsa_kernel
	.section	.text._ZN7rocprim17ROCPRIM_400000_NS6detail17trampoline_kernelINS0_13select_configILj256ELj13ELNS0_17block_load_methodE3ELS4_3ELS4_3ELNS0_20block_scan_algorithmE0ELj4294967295EEENS1_25partition_config_selectorILNS1_17partition_subalgoE3EjNS0_10empty_typeEbEEZZNS1_14partition_implILS8_3ELb0ES6_jNS0_17counting_iteratorIjlEEPS9_SE_NS0_5tupleIJPjSE_EEENSF_IJSE_SE_EEES9_SG_JZNS1_25segmented_radix_sort_implINS0_14default_configELb0EPKfPfPKlPlN2at6native12_GLOBAL__N_18offset_tEEE10hipError_tPvRmT1_PNSt15iterator_traitsISY_E10value_typeET2_T3_PNSZ_IS14_E10value_typeET4_jRbjT5_S1A_jjP12ihipStream_tbEUljE_EEESV_SW_SX_S14_S18_S1A_T6_T7_T9_mT8_S1C_bDpT10_ENKUlT_T0_E_clISt17integral_constantIbLb1EES1O_IbLb0EEEEDaS1K_S1L_EUlS1K_E_NS1_11comp_targetILNS1_3genE3ELNS1_11target_archE908ELNS1_3gpuE7ELNS1_3repE0EEENS1_30default_config_static_selectorELNS0_4arch9wavefront6targetE0EEEvSY_,"axG",@progbits,_ZN7rocprim17ROCPRIM_400000_NS6detail17trampoline_kernelINS0_13select_configILj256ELj13ELNS0_17block_load_methodE3ELS4_3ELS4_3ELNS0_20block_scan_algorithmE0ELj4294967295EEENS1_25partition_config_selectorILNS1_17partition_subalgoE3EjNS0_10empty_typeEbEEZZNS1_14partition_implILS8_3ELb0ES6_jNS0_17counting_iteratorIjlEEPS9_SE_NS0_5tupleIJPjSE_EEENSF_IJSE_SE_EEES9_SG_JZNS1_25segmented_radix_sort_implINS0_14default_configELb0EPKfPfPKlPlN2at6native12_GLOBAL__N_18offset_tEEE10hipError_tPvRmT1_PNSt15iterator_traitsISY_E10value_typeET2_T3_PNSZ_IS14_E10value_typeET4_jRbjT5_S1A_jjP12ihipStream_tbEUljE_EEESV_SW_SX_S14_S18_S1A_T6_T7_T9_mT8_S1C_bDpT10_ENKUlT_T0_E_clISt17integral_constantIbLb1EES1O_IbLb0EEEEDaS1K_S1L_EUlS1K_E_NS1_11comp_targetILNS1_3genE3ELNS1_11target_archE908ELNS1_3gpuE7ELNS1_3repE0EEENS1_30default_config_static_selectorELNS0_4arch9wavefront6targetE0EEEvSY_,comdat
.Lfunc_end1408:
	.size	_ZN7rocprim17ROCPRIM_400000_NS6detail17trampoline_kernelINS0_13select_configILj256ELj13ELNS0_17block_load_methodE3ELS4_3ELS4_3ELNS0_20block_scan_algorithmE0ELj4294967295EEENS1_25partition_config_selectorILNS1_17partition_subalgoE3EjNS0_10empty_typeEbEEZZNS1_14partition_implILS8_3ELb0ES6_jNS0_17counting_iteratorIjlEEPS9_SE_NS0_5tupleIJPjSE_EEENSF_IJSE_SE_EEES9_SG_JZNS1_25segmented_radix_sort_implINS0_14default_configELb0EPKfPfPKlPlN2at6native12_GLOBAL__N_18offset_tEEE10hipError_tPvRmT1_PNSt15iterator_traitsISY_E10value_typeET2_T3_PNSZ_IS14_E10value_typeET4_jRbjT5_S1A_jjP12ihipStream_tbEUljE_EEESV_SW_SX_S14_S18_S1A_T6_T7_T9_mT8_S1C_bDpT10_ENKUlT_T0_E_clISt17integral_constantIbLb1EES1O_IbLb0EEEEDaS1K_S1L_EUlS1K_E_NS1_11comp_targetILNS1_3genE3ELNS1_11target_archE908ELNS1_3gpuE7ELNS1_3repE0EEENS1_30default_config_static_selectorELNS0_4arch9wavefront6targetE0EEEvSY_, .Lfunc_end1408-_ZN7rocprim17ROCPRIM_400000_NS6detail17trampoline_kernelINS0_13select_configILj256ELj13ELNS0_17block_load_methodE3ELS4_3ELS4_3ELNS0_20block_scan_algorithmE0ELj4294967295EEENS1_25partition_config_selectorILNS1_17partition_subalgoE3EjNS0_10empty_typeEbEEZZNS1_14partition_implILS8_3ELb0ES6_jNS0_17counting_iteratorIjlEEPS9_SE_NS0_5tupleIJPjSE_EEENSF_IJSE_SE_EEES9_SG_JZNS1_25segmented_radix_sort_implINS0_14default_configELb0EPKfPfPKlPlN2at6native12_GLOBAL__N_18offset_tEEE10hipError_tPvRmT1_PNSt15iterator_traitsISY_E10value_typeET2_T3_PNSZ_IS14_E10value_typeET4_jRbjT5_S1A_jjP12ihipStream_tbEUljE_EEESV_SW_SX_S14_S18_S1A_T6_T7_T9_mT8_S1C_bDpT10_ENKUlT_T0_E_clISt17integral_constantIbLb1EES1O_IbLb0EEEEDaS1K_S1L_EUlS1K_E_NS1_11comp_targetILNS1_3genE3ELNS1_11target_archE908ELNS1_3gpuE7ELNS1_3repE0EEENS1_30default_config_static_selectorELNS0_4arch9wavefront6targetE0EEEvSY_
                                        ; -- End function
	.set _ZN7rocprim17ROCPRIM_400000_NS6detail17trampoline_kernelINS0_13select_configILj256ELj13ELNS0_17block_load_methodE3ELS4_3ELS4_3ELNS0_20block_scan_algorithmE0ELj4294967295EEENS1_25partition_config_selectorILNS1_17partition_subalgoE3EjNS0_10empty_typeEbEEZZNS1_14partition_implILS8_3ELb0ES6_jNS0_17counting_iteratorIjlEEPS9_SE_NS0_5tupleIJPjSE_EEENSF_IJSE_SE_EEES9_SG_JZNS1_25segmented_radix_sort_implINS0_14default_configELb0EPKfPfPKlPlN2at6native12_GLOBAL__N_18offset_tEEE10hipError_tPvRmT1_PNSt15iterator_traitsISY_E10value_typeET2_T3_PNSZ_IS14_E10value_typeET4_jRbjT5_S1A_jjP12ihipStream_tbEUljE_EEESV_SW_SX_S14_S18_S1A_T6_T7_T9_mT8_S1C_bDpT10_ENKUlT_T0_E_clISt17integral_constantIbLb1EES1O_IbLb0EEEEDaS1K_S1L_EUlS1K_E_NS1_11comp_targetILNS1_3genE3ELNS1_11target_archE908ELNS1_3gpuE7ELNS1_3repE0EEENS1_30default_config_static_selectorELNS0_4arch9wavefront6targetE0EEEvSY_.num_vgpr, 0
	.set _ZN7rocprim17ROCPRIM_400000_NS6detail17trampoline_kernelINS0_13select_configILj256ELj13ELNS0_17block_load_methodE3ELS4_3ELS4_3ELNS0_20block_scan_algorithmE0ELj4294967295EEENS1_25partition_config_selectorILNS1_17partition_subalgoE3EjNS0_10empty_typeEbEEZZNS1_14partition_implILS8_3ELb0ES6_jNS0_17counting_iteratorIjlEEPS9_SE_NS0_5tupleIJPjSE_EEENSF_IJSE_SE_EEES9_SG_JZNS1_25segmented_radix_sort_implINS0_14default_configELb0EPKfPfPKlPlN2at6native12_GLOBAL__N_18offset_tEEE10hipError_tPvRmT1_PNSt15iterator_traitsISY_E10value_typeET2_T3_PNSZ_IS14_E10value_typeET4_jRbjT5_S1A_jjP12ihipStream_tbEUljE_EEESV_SW_SX_S14_S18_S1A_T6_T7_T9_mT8_S1C_bDpT10_ENKUlT_T0_E_clISt17integral_constantIbLb1EES1O_IbLb0EEEEDaS1K_S1L_EUlS1K_E_NS1_11comp_targetILNS1_3genE3ELNS1_11target_archE908ELNS1_3gpuE7ELNS1_3repE0EEENS1_30default_config_static_selectorELNS0_4arch9wavefront6targetE0EEEvSY_.num_agpr, 0
	.set _ZN7rocprim17ROCPRIM_400000_NS6detail17trampoline_kernelINS0_13select_configILj256ELj13ELNS0_17block_load_methodE3ELS4_3ELS4_3ELNS0_20block_scan_algorithmE0ELj4294967295EEENS1_25partition_config_selectorILNS1_17partition_subalgoE3EjNS0_10empty_typeEbEEZZNS1_14partition_implILS8_3ELb0ES6_jNS0_17counting_iteratorIjlEEPS9_SE_NS0_5tupleIJPjSE_EEENSF_IJSE_SE_EEES9_SG_JZNS1_25segmented_radix_sort_implINS0_14default_configELb0EPKfPfPKlPlN2at6native12_GLOBAL__N_18offset_tEEE10hipError_tPvRmT1_PNSt15iterator_traitsISY_E10value_typeET2_T3_PNSZ_IS14_E10value_typeET4_jRbjT5_S1A_jjP12ihipStream_tbEUljE_EEESV_SW_SX_S14_S18_S1A_T6_T7_T9_mT8_S1C_bDpT10_ENKUlT_T0_E_clISt17integral_constantIbLb1EES1O_IbLb0EEEEDaS1K_S1L_EUlS1K_E_NS1_11comp_targetILNS1_3genE3ELNS1_11target_archE908ELNS1_3gpuE7ELNS1_3repE0EEENS1_30default_config_static_selectorELNS0_4arch9wavefront6targetE0EEEvSY_.numbered_sgpr, 0
	.set _ZN7rocprim17ROCPRIM_400000_NS6detail17trampoline_kernelINS0_13select_configILj256ELj13ELNS0_17block_load_methodE3ELS4_3ELS4_3ELNS0_20block_scan_algorithmE0ELj4294967295EEENS1_25partition_config_selectorILNS1_17partition_subalgoE3EjNS0_10empty_typeEbEEZZNS1_14partition_implILS8_3ELb0ES6_jNS0_17counting_iteratorIjlEEPS9_SE_NS0_5tupleIJPjSE_EEENSF_IJSE_SE_EEES9_SG_JZNS1_25segmented_radix_sort_implINS0_14default_configELb0EPKfPfPKlPlN2at6native12_GLOBAL__N_18offset_tEEE10hipError_tPvRmT1_PNSt15iterator_traitsISY_E10value_typeET2_T3_PNSZ_IS14_E10value_typeET4_jRbjT5_S1A_jjP12ihipStream_tbEUljE_EEESV_SW_SX_S14_S18_S1A_T6_T7_T9_mT8_S1C_bDpT10_ENKUlT_T0_E_clISt17integral_constantIbLb1EES1O_IbLb0EEEEDaS1K_S1L_EUlS1K_E_NS1_11comp_targetILNS1_3genE3ELNS1_11target_archE908ELNS1_3gpuE7ELNS1_3repE0EEENS1_30default_config_static_selectorELNS0_4arch9wavefront6targetE0EEEvSY_.num_named_barrier, 0
	.set _ZN7rocprim17ROCPRIM_400000_NS6detail17trampoline_kernelINS0_13select_configILj256ELj13ELNS0_17block_load_methodE3ELS4_3ELS4_3ELNS0_20block_scan_algorithmE0ELj4294967295EEENS1_25partition_config_selectorILNS1_17partition_subalgoE3EjNS0_10empty_typeEbEEZZNS1_14partition_implILS8_3ELb0ES6_jNS0_17counting_iteratorIjlEEPS9_SE_NS0_5tupleIJPjSE_EEENSF_IJSE_SE_EEES9_SG_JZNS1_25segmented_radix_sort_implINS0_14default_configELb0EPKfPfPKlPlN2at6native12_GLOBAL__N_18offset_tEEE10hipError_tPvRmT1_PNSt15iterator_traitsISY_E10value_typeET2_T3_PNSZ_IS14_E10value_typeET4_jRbjT5_S1A_jjP12ihipStream_tbEUljE_EEESV_SW_SX_S14_S18_S1A_T6_T7_T9_mT8_S1C_bDpT10_ENKUlT_T0_E_clISt17integral_constantIbLb1EES1O_IbLb0EEEEDaS1K_S1L_EUlS1K_E_NS1_11comp_targetILNS1_3genE3ELNS1_11target_archE908ELNS1_3gpuE7ELNS1_3repE0EEENS1_30default_config_static_selectorELNS0_4arch9wavefront6targetE0EEEvSY_.private_seg_size, 0
	.set _ZN7rocprim17ROCPRIM_400000_NS6detail17trampoline_kernelINS0_13select_configILj256ELj13ELNS0_17block_load_methodE3ELS4_3ELS4_3ELNS0_20block_scan_algorithmE0ELj4294967295EEENS1_25partition_config_selectorILNS1_17partition_subalgoE3EjNS0_10empty_typeEbEEZZNS1_14partition_implILS8_3ELb0ES6_jNS0_17counting_iteratorIjlEEPS9_SE_NS0_5tupleIJPjSE_EEENSF_IJSE_SE_EEES9_SG_JZNS1_25segmented_radix_sort_implINS0_14default_configELb0EPKfPfPKlPlN2at6native12_GLOBAL__N_18offset_tEEE10hipError_tPvRmT1_PNSt15iterator_traitsISY_E10value_typeET2_T3_PNSZ_IS14_E10value_typeET4_jRbjT5_S1A_jjP12ihipStream_tbEUljE_EEESV_SW_SX_S14_S18_S1A_T6_T7_T9_mT8_S1C_bDpT10_ENKUlT_T0_E_clISt17integral_constantIbLb1EES1O_IbLb0EEEEDaS1K_S1L_EUlS1K_E_NS1_11comp_targetILNS1_3genE3ELNS1_11target_archE908ELNS1_3gpuE7ELNS1_3repE0EEENS1_30default_config_static_selectorELNS0_4arch9wavefront6targetE0EEEvSY_.uses_vcc, 0
	.set _ZN7rocprim17ROCPRIM_400000_NS6detail17trampoline_kernelINS0_13select_configILj256ELj13ELNS0_17block_load_methodE3ELS4_3ELS4_3ELNS0_20block_scan_algorithmE0ELj4294967295EEENS1_25partition_config_selectorILNS1_17partition_subalgoE3EjNS0_10empty_typeEbEEZZNS1_14partition_implILS8_3ELb0ES6_jNS0_17counting_iteratorIjlEEPS9_SE_NS0_5tupleIJPjSE_EEENSF_IJSE_SE_EEES9_SG_JZNS1_25segmented_radix_sort_implINS0_14default_configELb0EPKfPfPKlPlN2at6native12_GLOBAL__N_18offset_tEEE10hipError_tPvRmT1_PNSt15iterator_traitsISY_E10value_typeET2_T3_PNSZ_IS14_E10value_typeET4_jRbjT5_S1A_jjP12ihipStream_tbEUljE_EEESV_SW_SX_S14_S18_S1A_T6_T7_T9_mT8_S1C_bDpT10_ENKUlT_T0_E_clISt17integral_constantIbLb1EES1O_IbLb0EEEEDaS1K_S1L_EUlS1K_E_NS1_11comp_targetILNS1_3genE3ELNS1_11target_archE908ELNS1_3gpuE7ELNS1_3repE0EEENS1_30default_config_static_selectorELNS0_4arch9wavefront6targetE0EEEvSY_.uses_flat_scratch, 0
	.set _ZN7rocprim17ROCPRIM_400000_NS6detail17trampoline_kernelINS0_13select_configILj256ELj13ELNS0_17block_load_methodE3ELS4_3ELS4_3ELNS0_20block_scan_algorithmE0ELj4294967295EEENS1_25partition_config_selectorILNS1_17partition_subalgoE3EjNS0_10empty_typeEbEEZZNS1_14partition_implILS8_3ELb0ES6_jNS0_17counting_iteratorIjlEEPS9_SE_NS0_5tupleIJPjSE_EEENSF_IJSE_SE_EEES9_SG_JZNS1_25segmented_radix_sort_implINS0_14default_configELb0EPKfPfPKlPlN2at6native12_GLOBAL__N_18offset_tEEE10hipError_tPvRmT1_PNSt15iterator_traitsISY_E10value_typeET2_T3_PNSZ_IS14_E10value_typeET4_jRbjT5_S1A_jjP12ihipStream_tbEUljE_EEESV_SW_SX_S14_S18_S1A_T6_T7_T9_mT8_S1C_bDpT10_ENKUlT_T0_E_clISt17integral_constantIbLb1EES1O_IbLb0EEEEDaS1K_S1L_EUlS1K_E_NS1_11comp_targetILNS1_3genE3ELNS1_11target_archE908ELNS1_3gpuE7ELNS1_3repE0EEENS1_30default_config_static_selectorELNS0_4arch9wavefront6targetE0EEEvSY_.has_dyn_sized_stack, 0
	.set _ZN7rocprim17ROCPRIM_400000_NS6detail17trampoline_kernelINS0_13select_configILj256ELj13ELNS0_17block_load_methodE3ELS4_3ELS4_3ELNS0_20block_scan_algorithmE0ELj4294967295EEENS1_25partition_config_selectorILNS1_17partition_subalgoE3EjNS0_10empty_typeEbEEZZNS1_14partition_implILS8_3ELb0ES6_jNS0_17counting_iteratorIjlEEPS9_SE_NS0_5tupleIJPjSE_EEENSF_IJSE_SE_EEES9_SG_JZNS1_25segmented_radix_sort_implINS0_14default_configELb0EPKfPfPKlPlN2at6native12_GLOBAL__N_18offset_tEEE10hipError_tPvRmT1_PNSt15iterator_traitsISY_E10value_typeET2_T3_PNSZ_IS14_E10value_typeET4_jRbjT5_S1A_jjP12ihipStream_tbEUljE_EEESV_SW_SX_S14_S18_S1A_T6_T7_T9_mT8_S1C_bDpT10_ENKUlT_T0_E_clISt17integral_constantIbLb1EES1O_IbLb0EEEEDaS1K_S1L_EUlS1K_E_NS1_11comp_targetILNS1_3genE3ELNS1_11target_archE908ELNS1_3gpuE7ELNS1_3repE0EEENS1_30default_config_static_selectorELNS0_4arch9wavefront6targetE0EEEvSY_.has_recursion, 0
	.set _ZN7rocprim17ROCPRIM_400000_NS6detail17trampoline_kernelINS0_13select_configILj256ELj13ELNS0_17block_load_methodE3ELS4_3ELS4_3ELNS0_20block_scan_algorithmE0ELj4294967295EEENS1_25partition_config_selectorILNS1_17partition_subalgoE3EjNS0_10empty_typeEbEEZZNS1_14partition_implILS8_3ELb0ES6_jNS0_17counting_iteratorIjlEEPS9_SE_NS0_5tupleIJPjSE_EEENSF_IJSE_SE_EEES9_SG_JZNS1_25segmented_radix_sort_implINS0_14default_configELb0EPKfPfPKlPlN2at6native12_GLOBAL__N_18offset_tEEE10hipError_tPvRmT1_PNSt15iterator_traitsISY_E10value_typeET2_T3_PNSZ_IS14_E10value_typeET4_jRbjT5_S1A_jjP12ihipStream_tbEUljE_EEESV_SW_SX_S14_S18_S1A_T6_T7_T9_mT8_S1C_bDpT10_ENKUlT_T0_E_clISt17integral_constantIbLb1EES1O_IbLb0EEEEDaS1K_S1L_EUlS1K_E_NS1_11comp_targetILNS1_3genE3ELNS1_11target_archE908ELNS1_3gpuE7ELNS1_3repE0EEENS1_30default_config_static_selectorELNS0_4arch9wavefront6targetE0EEEvSY_.has_indirect_call, 0
	.section	.AMDGPU.csdata,"",@progbits
; Kernel info:
; codeLenInByte = 0
; TotalNumSgprs: 0
; NumVgprs: 0
; ScratchSize: 0
; MemoryBound: 0
; FloatMode: 240
; IeeeMode: 1
; LDSByteSize: 0 bytes/workgroup (compile time only)
; SGPRBlocks: 0
; VGPRBlocks: 0
; NumSGPRsForWavesPerEU: 1
; NumVGPRsForWavesPerEU: 1
; NamedBarCnt: 0
; Occupancy: 16
; WaveLimiterHint : 0
; COMPUTE_PGM_RSRC2:SCRATCH_EN: 0
; COMPUTE_PGM_RSRC2:USER_SGPR: 2
; COMPUTE_PGM_RSRC2:TRAP_HANDLER: 0
; COMPUTE_PGM_RSRC2:TGID_X_EN: 1
; COMPUTE_PGM_RSRC2:TGID_Y_EN: 0
; COMPUTE_PGM_RSRC2:TGID_Z_EN: 0
; COMPUTE_PGM_RSRC2:TIDIG_COMP_CNT: 0
	.section	.text._ZN7rocprim17ROCPRIM_400000_NS6detail17trampoline_kernelINS0_13select_configILj256ELj13ELNS0_17block_load_methodE3ELS4_3ELS4_3ELNS0_20block_scan_algorithmE0ELj4294967295EEENS1_25partition_config_selectorILNS1_17partition_subalgoE3EjNS0_10empty_typeEbEEZZNS1_14partition_implILS8_3ELb0ES6_jNS0_17counting_iteratorIjlEEPS9_SE_NS0_5tupleIJPjSE_EEENSF_IJSE_SE_EEES9_SG_JZNS1_25segmented_radix_sort_implINS0_14default_configELb0EPKfPfPKlPlN2at6native12_GLOBAL__N_18offset_tEEE10hipError_tPvRmT1_PNSt15iterator_traitsISY_E10value_typeET2_T3_PNSZ_IS14_E10value_typeET4_jRbjT5_S1A_jjP12ihipStream_tbEUljE_EEESV_SW_SX_S14_S18_S1A_T6_T7_T9_mT8_S1C_bDpT10_ENKUlT_T0_E_clISt17integral_constantIbLb1EES1O_IbLb0EEEEDaS1K_S1L_EUlS1K_E_NS1_11comp_targetILNS1_3genE2ELNS1_11target_archE906ELNS1_3gpuE6ELNS1_3repE0EEENS1_30default_config_static_selectorELNS0_4arch9wavefront6targetE0EEEvSY_,"axG",@progbits,_ZN7rocprim17ROCPRIM_400000_NS6detail17trampoline_kernelINS0_13select_configILj256ELj13ELNS0_17block_load_methodE3ELS4_3ELS4_3ELNS0_20block_scan_algorithmE0ELj4294967295EEENS1_25partition_config_selectorILNS1_17partition_subalgoE3EjNS0_10empty_typeEbEEZZNS1_14partition_implILS8_3ELb0ES6_jNS0_17counting_iteratorIjlEEPS9_SE_NS0_5tupleIJPjSE_EEENSF_IJSE_SE_EEES9_SG_JZNS1_25segmented_radix_sort_implINS0_14default_configELb0EPKfPfPKlPlN2at6native12_GLOBAL__N_18offset_tEEE10hipError_tPvRmT1_PNSt15iterator_traitsISY_E10value_typeET2_T3_PNSZ_IS14_E10value_typeET4_jRbjT5_S1A_jjP12ihipStream_tbEUljE_EEESV_SW_SX_S14_S18_S1A_T6_T7_T9_mT8_S1C_bDpT10_ENKUlT_T0_E_clISt17integral_constantIbLb1EES1O_IbLb0EEEEDaS1K_S1L_EUlS1K_E_NS1_11comp_targetILNS1_3genE2ELNS1_11target_archE906ELNS1_3gpuE6ELNS1_3repE0EEENS1_30default_config_static_selectorELNS0_4arch9wavefront6targetE0EEEvSY_,comdat
	.globl	_ZN7rocprim17ROCPRIM_400000_NS6detail17trampoline_kernelINS0_13select_configILj256ELj13ELNS0_17block_load_methodE3ELS4_3ELS4_3ELNS0_20block_scan_algorithmE0ELj4294967295EEENS1_25partition_config_selectorILNS1_17partition_subalgoE3EjNS0_10empty_typeEbEEZZNS1_14partition_implILS8_3ELb0ES6_jNS0_17counting_iteratorIjlEEPS9_SE_NS0_5tupleIJPjSE_EEENSF_IJSE_SE_EEES9_SG_JZNS1_25segmented_radix_sort_implINS0_14default_configELb0EPKfPfPKlPlN2at6native12_GLOBAL__N_18offset_tEEE10hipError_tPvRmT1_PNSt15iterator_traitsISY_E10value_typeET2_T3_PNSZ_IS14_E10value_typeET4_jRbjT5_S1A_jjP12ihipStream_tbEUljE_EEESV_SW_SX_S14_S18_S1A_T6_T7_T9_mT8_S1C_bDpT10_ENKUlT_T0_E_clISt17integral_constantIbLb1EES1O_IbLb0EEEEDaS1K_S1L_EUlS1K_E_NS1_11comp_targetILNS1_3genE2ELNS1_11target_archE906ELNS1_3gpuE6ELNS1_3repE0EEENS1_30default_config_static_selectorELNS0_4arch9wavefront6targetE0EEEvSY_ ; -- Begin function _ZN7rocprim17ROCPRIM_400000_NS6detail17trampoline_kernelINS0_13select_configILj256ELj13ELNS0_17block_load_methodE3ELS4_3ELS4_3ELNS0_20block_scan_algorithmE0ELj4294967295EEENS1_25partition_config_selectorILNS1_17partition_subalgoE3EjNS0_10empty_typeEbEEZZNS1_14partition_implILS8_3ELb0ES6_jNS0_17counting_iteratorIjlEEPS9_SE_NS0_5tupleIJPjSE_EEENSF_IJSE_SE_EEES9_SG_JZNS1_25segmented_radix_sort_implINS0_14default_configELb0EPKfPfPKlPlN2at6native12_GLOBAL__N_18offset_tEEE10hipError_tPvRmT1_PNSt15iterator_traitsISY_E10value_typeET2_T3_PNSZ_IS14_E10value_typeET4_jRbjT5_S1A_jjP12ihipStream_tbEUljE_EEESV_SW_SX_S14_S18_S1A_T6_T7_T9_mT8_S1C_bDpT10_ENKUlT_T0_E_clISt17integral_constantIbLb1EES1O_IbLb0EEEEDaS1K_S1L_EUlS1K_E_NS1_11comp_targetILNS1_3genE2ELNS1_11target_archE906ELNS1_3gpuE6ELNS1_3repE0EEENS1_30default_config_static_selectorELNS0_4arch9wavefront6targetE0EEEvSY_
	.p2align	8
	.type	_ZN7rocprim17ROCPRIM_400000_NS6detail17trampoline_kernelINS0_13select_configILj256ELj13ELNS0_17block_load_methodE3ELS4_3ELS4_3ELNS0_20block_scan_algorithmE0ELj4294967295EEENS1_25partition_config_selectorILNS1_17partition_subalgoE3EjNS0_10empty_typeEbEEZZNS1_14partition_implILS8_3ELb0ES6_jNS0_17counting_iteratorIjlEEPS9_SE_NS0_5tupleIJPjSE_EEENSF_IJSE_SE_EEES9_SG_JZNS1_25segmented_radix_sort_implINS0_14default_configELb0EPKfPfPKlPlN2at6native12_GLOBAL__N_18offset_tEEE10hipError_tPvRmT1_PNSt15iterator_traitsISY_E10value_typeET2_T3_PNSZ_IS14_E10value_typeET4_jRbjT5_S1A_jjP12ihipStream_tbEUljE_EEESV_SW_SX_S14_S18_S1A_T6_T7_T9_mT8_S1C_bDpT10_ENKUlT_T0_E_clISt17integral_constantIbLb1EES1O_IbLb0EEEEDaS1K_S1L_EUlS1K_E_NS1_11comp_targetILNS1_3genE2ELNS1_11target_archE906ELNS1_3gpuE6ELNS1_3repE0EEENS1_30default_config_static_selectorELNS0_4arch9wavefront6targetE0EEEvSY_,@function
_ZN7rocprim17ROCPRIM_400000_NS6detail17trampoline_kernelINS0_13select_configILj256ELj13ELNS0_17block_load_methodE3ELS4_3ELS4_3ELNS0_20block_scan_algorithmE0ELj4294967295EEENS1_25partition_config_selectorILNS1_17partition_subalgoE3EjNS0_10empty_typeEbEEZZNS1_14partition_implILS8_3ELb0ES6_jNS0_17counting_iteratorIjlEEPS9_SE_NS0_5tupleIJPjSE_EEENSF_IJSE_SE_EEES9_SG_JZNS1_25segmented_radix_sort_implINS0_14default_configELb0EPKfPfPKlPlN2at6native12_GLOBAL__N_18offset_tEEE10hipError_tPvRmT1_PNSt15iterator_traitsISY_E10value_typeET2_T3_PNSZ_IS14_E10value_typeET4_jRbjT5_S1A_jjP12ihipStream_tbEUljE_EEESV_SW_SX_S14_S18_S1A_T6_T7_T9_mT8_S1C_bDpT10_ENKUlT_T0_E_clISt17integral_constantIbLb1EES1O_IbLb0EEEEDaS1K_S1L_EUlS1K_E_NS1_11comp_targetILNS1_3genE2ELNS1_11target_archE906ELNS1_3gpuE6ELNS1_3repE0EEENS1_30default_config_static_selectorELNS0_4arch9wavefront6targetE0EEEvSY_: ; @_ZN7rocprim17ROCPRIM_400000_NS6detail17trampoline_kernelINS0_13select_configILj256ELj13ELNS0_17block_load_methodE3ELS4_3ELS4_3ELNS0_20block_scan_algorithmE0ELj4294967295EEENS1_25partition_config_selectorILNS1_17partition_subalgoE3EjNS0_10empty_typeEbEEZZNS1_14partition_implILS8_3ELb0ES6_jNS0_17counting_iteratorIjlEEPS9_SE_NS0_5tupleIJPjSE_EEENSF_IJSE_SE_EEES9_SG_JZNS1_25segmented_radix_sort_implINS0_14default_configELb0EPKfPfPKlPlN2at6native12_GLOBAL__N_18offset_tEEE10hipError_tPvRmT1_PNSt15iterator_traitsISY_E10value_typeET2_T3_PNSZ_IS14_E10value_typeET4_jRbjT5_S1A_jjP12ihipStream_tbEUljE_EEESV_SW_SX_S14_S18_S1A_T6_T7_T9_mT8_S1C_bDpT10_ENKUlT_T0_E_clISt17integral_constantIbLb1EES1O_IbLb0EEEEDaS1K_S1L_EUlS1K_E_NS1_11comp_targetILNS1_3genE2ELNS1_11target_archE906ELNS1_3gpuE6ELNS1_3repE0EEENS1_30default_config_static_selectorELNS0_4arch9wavefront6targetE0EEEvSY_
; %bb.0:
	.section	.rodata,"a",@progbits
	.p2align	6, 0x0
	.amdhsa_kernel _ZN7rocprim17ROCPRIM_400000_NS6detail17trampoline_kernelINS0_13select_configILj256ELj13ELNS0_17block_load_methodE3ELS4_3ELS4_3ELNS0_20block_scan_algorithmE0ELj4294967295EEENS1_25partition_config_selectorILNS1_17partition_subalgoE3EjNS0_10empty_typeEbEEZZNS1_14partition_implILS8_3ELb0ES6_jNS0_17counting_iteratorIjlEEPS9_SE_NS0_5tupleIJPjSE_EEENSF_IJSE_SE_EEES9_SG_JZNS1_25segmented_radix_sort_implINS0_14default_configELb0EPKfPfPKlPlN2at6native12_GLOBAL__N_18offset_tEEE10hipError_tPvRmT1_PNSt15iterator_traitsISY_E10value_typeET2_T3_PNSZ_IS14_E10value_typeET4_jRbjT5_S1A_jjP12ihipStream_tbEUljE_EEESV_SW_SX_S14_S18_S1A_T6_T7_T9_mT8_S1C_bDpT10_ENKUlT_T0_E_clISt17integral_constantIbLb1EES1O_IbLb0EEEEDaS1K_S1L_EUlS1K_E_NS1_11comp_targetILNS1_3genE2ELNS1_11target_archE906ELNS1_3gpuE6ELNS1_3repE0EEENS1_30default_config_static_selectorELNS0_4arch9wavefront6targetE0EEEvSY_
		.amdhsa_group_segment_fixed_size 0
		.amdhsa_private_segment_fixed_size 0
		.amdhsa_kernarg_size 144
		.amdhsa_user_sgpr_count 2
		.amdhsa_user_sgpr_dispatch_ptr 0
		.amdhsa_user_sgpr_queue_ptr 0
		.amdhsa_user_sgpr_kernarg_segment_ptr 1
		.amdhsa_user_sgpr_dispatch_id 0
		.amdhsa_user_sgpr_kernarg_preload_length 0
		.amdhsa_user_sgpr_kernarg_preload_offset 0
		.amdhsa_user_sgpr_private_segment_size 0
		.amdhsa_wavefront_size32 1
		.amdhsa_uses_dynamic_stack 0
		.amdhsa_enable_private_segment 0
		.amdhsa_system_sgpr_workgroup_id_x 1
		.amdhsa_system_sgpr_workgroup_id_y 0
		.amdhsa_system_sgpr_workgroup_id_z 0
		.amdhsa_system_sgpr_workgroup_info 0
		.amdhsa_system_vgpr_workitem_id 0
		.amdhsa_next_free_vgpr 1
		.amdhsa_next_free_sgpr 1
		.amdhsa_named_barrier_count 0
		.amdhsa_reserve_vcc 0
		.amdhsa_float_round_mode_32 0
		.amdhsa_float_round_mode_16_64 0
		.amdhsa_float_denorm_mode_32 3
		.amdhsa_float_denorm_mode_16_64 3
		.amdhsa_fp16_overflow 0
		.amdhsa_memory_ordered 1
		.amdhsa_forward_progress 1
		.amdhsa_inst_pref_size 0
		.amdhsa_round_robin_scheduling 0
		.amdhsa_exception_fp_ieee_invalid_op 0
		.amdhsa_exception_fp_denorm_src 0
		.amdhsa_exception_fp_ieee_div_zero 0
		.amdhsa_exception_fp_ieee_overflow 0
		.amdhsa_exception_fp_ieee_underflow 0
		.amdhsa_exception_fp_ieee_inexact 0
		.amdhsa_exception_int_div_zero 0
	.end_amdhsa_kernel
	.section	.text._ZN7rocprim17ROCPRIM_400000_NS6detail17trampoline_kernelINS0_13select_configILj256ELj13ELNS0_17block_load_methodE3ELS4_3ELS4_3ELNS0_20block_scan_algorithmE0ELj4294967295EEENS1_25partition_config_selectorILNS1_17partition_subalgoE3EjNS0_10empty_typeEbEEZZNS1_14partition_implILS8_3ELb0ES6_jNS0_17counting_iteratorIjlEEPS9_SE_NS0_5tupleIJPjSE_EEENSF_IJSE_SE_EEES9_SG_JZNS1_25segmented_radix_sort_implINS0_14default_configELb0EPKfPfPKlPlN2at6native12_GLOBAL__N_18offset_tEEE10hipError_tPvRmT1_PNSt15iterator_traitsISY_E10value_typeET2_T3_PNSZ_IS14_E10value_typeET4_jRbjT5_S1A_jjP12ihipStream_tbEUljE_EEESV_SW_SX_S14_S18_S1A_T6_T7_T9_mT8_S1C_bDpT10_ENKUlT_T0_E_clISt17integral_constantIbLb1EES1O_IbLb0EEEEDaS1K_S1L_EUlS1K_E_NS1_11comp_targetILNS1_3genE2ELNS1_11target_archE906ELNS1_3gpuE6ELNS1_3repE0EEENS1_30default_config_static_selectorELNS0_4arch9wavefront6targetE0EEEvSY_,"axG",@progbits,_ZN7rocprim17ROCPRIM_400000_NS6detail17trampoline_kernelINS0_13select_configILj256ELj13ELNS0_17block_load_methodE3ELS4_3ELS4_3ELNS0_20block_scan_algorithmE0ELj4294967295EEENS1_25partition_config_selectorILNS1_17partition_subalgoE3EjNS0_10empty_typeEbEEZZNS1_14partition_implILS8_3ELb0ES6_jNS0_17counting_iteratorIjlEEPS9_SE_NS0_5tupleIJPjSE_EEENSF_IJSE_SE_EEES9_SG_JZNS1_25segmented_radix_sort_implINS0_14default_configELb0EPKfPfPKlPlN2at6native12_GLOBAL__N_18offset_tEEE10hipError_tPvRmT1_PNSt15iterator_traitsISY_E10value_typeET2_T3_PNSZ_IS14_E10value_typeET4_jRbjT5_S1A_jjP12ihipStream_tbEUljE_EEESV_SW_SX_S14_S18_S1A_T6_T7_T9_mT8_S1C_bDpT10_ENKUlT_T0_E_clISt17integral_constantIbLb1EES1O_IbLb0EEEEDaS1K_S1L_EUlS1K_E_NS1_11comp_targetILNS1_3genE2ELNS1_11target_archE906ELNS1_3gpuE6ELNS1_3repE0EEENS1_30default_config_static_selectorELNS0_4arch9wavefront6targetE0EEEvSY_,comdat
.Lfunc_end1409:
	.size	_ZN7rocprim17ROCPRIM_400000_NS6detail17trampoline_kernelINS0_13select_configILj256ELj13ELNS0_17block_load_methodE3ELS4_3ELS4_3ELNS0_20block_scan_algorithmE0ELj4294967295EEENS1_25partition_config_selectorILNS1_17partition_subalgoE3EjNS0_10empty_typeEbEEZZNS1_14partition_implILS8_3ELb0ES6_jNS0_17counting_iteratorIjlEEPS9_SE_NS0_5tupleIJPjSE_EEENSF_IJSE_SE_EEES9_SG_JZNS1_25segmented_radix_sort_implINS0_14default_configELb0EPKfPfPKlPlN2at6native12_GLOBAL__N_18offset_tEEE10hipError_tPvRmT1_PNSt15iterator_traitsISY_E10value_typeET2_T3_PNSZ_IS14_E10value_typeET4_jRbjT5_S1A_jjP12ihipStream_tbEUljE_EEESV_SW_SX_S14_S18_S1A_T6_T7_T9_mT8_S1C_bDpT10_ENKUlT_T0_E_clISt17integral_constantIbLb1EES1O_IbLb0EEEEDaS1K_S1L_EUlS1K_E_NS1_11comp_targetILNS1_3genE2ELNS1_11target_archE906ELNS1_3gpuE6ELNS1_3repE0EEENS1_30default_config_static_selectorELNS0_4arch9wavefront6targetE0EEEvSY_, .Lfunc_end1409-_ZN7rocprim17ROCPRIM_400000_NS6detail17trampoline_kernelINS0_13select_configILj256ELj13ELNS0_17block_load_methodE3ELS4_3ELS4_3ELNS0_20block_scan_algorithmE0ELj4294967295EEENS1_25partition_config_selectorILNS1_17partition_subalgoE3EjNS0_10empty_typeEbEEZZNS1_14partition_implILS8_3ELb0ES6_jNS0_17counting_iteratorIjlEEPS9_SE_NS0_5tupleIJPjSE_EEENSF_IJSE_SE_EEES9_SG_JZNS1_25segmented_radix_sort_implINS0_14default_configELb0EPKfPfPKlPlN2at6native12_GLOBAL__N_18offset_tEEE10hipError_tPvRmT1_PNSt15iterator_traitsISY_E10value_typeET2_T3_PNSZ_IS14_E10value_typeET4_jRbjT5_S1A_jjP12ihipStream_tbEUljE_EEESV_SW_SX_S14_S18_S1A_T6_T7_T9_mT8_S1C_bDpT10_ENKUlT_T0_E_clISt17integral_constantIbLb1EES1O_IbLb0EEEEDaS1K_S1L_EUlS1K_E_NS1_11comp_targetILNS1_3genE2ELNS1_11target_archE906ELNS1_3gpuE6ELNS1_3repE0EEENS1_30default_config_static_selectorELNS0_4arch9wavefront6targetE0EEEvSY_
                                        ; -- End function
	.set _ZN7rocprim17ROCPRIM_400000_NS6detail17trampoline_kernelINS0_13select_configILj256ELj13ELNS0_17block_load_methodE3ELS4_3ELS4_3ELNS0_20block_scan_algorithmE0ELj4294967295EEENS1_25partition_config_selectorILNS1_17partition_subalgoE3EjNS0_10empty_typeEbEEZZNS1_14partition_implILS8_3ELb0ES6_jNS0_17counting_iteratorIjlEEPS9_SE_NS0_5tupleIJPjSE_EEENSF_IJSE_SE_EEES9_SG_JZNS1_25segmented_radix_sort_implINS0_14default_configELb0EPKfPfPKlPlN2at6native12_GLOBAL__N_18offset_tEEE10hipError_tPvRmT1_PNSt15iterator_traitsISY_E10value_typeET2_T3_PNSZ_IS14_E10value_typeET4_jRbjT5_S1A_jjP12ihipStream_tbEUljE_EEESV_SW_SX_S14_S18_S1A_T6_T7_T9_mT8_S1C_bDpT10_ENKUlT_T0_E_clISt17integral_constantIbLb1EES1O_IbLb0EEEEDaS1K_S1L_EUlS1K_E_NS1_11comp_targetILNS1_3genE2ELNS1_11target_archE906ELNS1_3gpuE6ELNS1_3repE0EEENS1_30default_config_static_selectorELNS0_4arch9wavefront6targetE0EEEvSY_.num_vgpr, 0
	.set _ZN7rocprim17ROCPRIM_400000_NS6detail17trampoline_kernelINS0_13select_configILj256ELj13ELNS0_17block_load_methodE3ELS4_3ELS4_3ELNS0_20block_scan_algorithmE0ELj4294967295EEENS1_25partition_config_selectorILNS1_17partition_subalgoE3EjNS0_10empty_typeEbEEZZNS1_14partition_implILS8_3ELb0ES6_jNS0_17counting_iteratorIjlEEPS9_SE_NS0_5tupleIJPjSE_EEENSF_IJSE_SE_EEES9_SG_JZNS1_25segmented_radix_sort_implINS0_14default_configELb0EPKfPfPKlPlN2at6native12_GLOBAL__N_18offset_tEEE10hipError_tPvRmT1_PNSt15iterator_traitsISY_E10value_typeET2_T3_PNSZ_IS14_E10value_typeET4_jRbjT5_S1A_jjP12ihipStream_tbEUljE_EEESV_SW_SX_S14_S18_S1A_T6_T7_T9_mT8_S1C_bDpT10_ENKUlT_T0_E_clISt17integral_constantIbLb1EES1O_IbLb0EEEEDaS1K_S1L_EUlS1K_E_NS1_11comp_targetILNS1_3genE2ELNS1_11target_archE906ELNS1_3gpuE6ELNS1_3repE0EEENS1_30default_config_static_selectorELNS0_4arch9wavefront6targetE0EEEvSY_.num_agpr, 0
	.set _ZN7rocprim17ROCPRIM_400000_NS6detail17trampoline_kernelINS0_13select_configILj256ELj13ELNS0_17block_load_methodE3ELS4_3ELS4_3ELNS0_20block_scan_algorithmE0ELj4294967295EEENS1_25partition_config_selectorILNS1_17partition_subalgoE3EjNS0_10empty_typeEbEEZZNS1_14partition_implILS8_3ELb0ES6_jNS0_17counting_iteratorIjlEEPS9_SE_NS0_5tupleIJPjSE_EEENSF_IJSE_SE_EEES9_SG_JZNS1_25segmented_radix_sort_implINS0_14default_configELb0EPKfPfPKlPlN2at6native12_GLOBAL__N_18offset_tEEE10hipError_tPvRmT1_PNSt15iterator_traitsISY_E10value_typeET2_T3_PNSZ_IS14_E10value_typeET4_jRbjT5_S1A_jjP12ihipStream_tbEUljE_EEESV_SW_SX_S14_S18_S1A_T6_T7_T9_mT8_S1C_bDpT10_ENKUlT_T0_E_clISt17integral_constantIbLb1EES1O_IbLb0EEEEDaS1K_S1L_EUlS1K_E_NS1_11comp_targetILNS1_3genE2ELNS1_11target_archE906ELNS1_3gpuE6ELNS1_3repE0EEENS1_30default_config_static_selectorELNS0_4arch9wavefront6targetE0EEEvSY_.numbered_sgpr, 0
	.set _ZN7rocprim17ROCPRIM_400000_NS6detail17trampoline_kernelINS0_13select_configILj256ELj13ELNS0_17block_load_methodE3ELS4_3ELS4_3ELNS0_20block_scan_algorithmE0ELj4294967295EEENS1_25partition_config_selectorILNS1_17partition_subalgoE3EjNS0_10empty_typeEbEEZZNS1_14partition_implILS8_3ELb0ES6_jNS0_17counting_iteratorIjlEEPS9_SE_NS0_5tupleIJPjSE_EEENSF_IJSE_SE_EEES9_SG_JZNS1_25segmented_radix_sort_implINS0_14default_configELb0EPKfPfPKlPlN2at6native12_GLOBAL__N_18offset_tEEE10hipError_tPvRmT1_PNSt15iterator_traitsISY_E10value_typeET2_T3_PNSZ_IS14_E10value_typeET4_jRbjT5_S1A_jjP12ihipStream_tbEUljE_EEESV_SW_SX_S14_S18_S1A_T6_T7_T9_mT8_S1C_bDpT10_ENKUlT_T0_E_clISt17integral_constantIbLb1EES1O_IbLb0EEEEDaS1K_S1L_EUlS1K_E_NS1_11comp_targetILNS1_3genE2ELNS1_11target_archE906ELNS1_3gpuE6ELNS1_3repE0EEENS1_30default_config_static_selectorELNS0_4arch9wavefront6targetE0EEEvSY_.num_named_barrier, 0
	.set _ZN7rocprim17ROCPRIM_400000_NS6detail17trampoline_kernelINS0_13select_configILj256ELj13ELNS0_17block_load_methodE3ELS4_3ELS4_3ELNS0_20block_scan_algorithmE0ELj4294967295EEENS1_25partition_config_selectorILNS1_17partition_subalgoE3EjNS0_10empty_typeEbEEZZNS1_14partition_implILS8_3ELb0ES6_jNS0_17counting_iteratorIjlEEPS9_SE_NS0_5tupleIJPjSE_EEENSF_IJSE_SE_EEES9_SG_JZNS1_25segmented_radix_sort_implINS0_14default_configELb0EPKfPfPKlPlN2at6native12_GLOBAL__N_18offset_tEEE10hipError_tPvRmT1_PNSt15iterator_traitsISY_E10value_typeET2_T3_PNSZ_IS14_E10value_typeET4_jRbjT5_S1A_jjP12ihipStream_tbEUljE_EEESV_SW_SX_S14_S18_S1A_T6_T7_T9_mT8_S1C_bDpT10_ENKUlT_T0_E_clISt17integral_constantIbLb1EES1O_IbLb0EEEEDaS1K_S1L_EUlS1K_E_NS1_11comp_targetILNS1_3genE2ELNS1_11target_archE906ELNS1_3gpuE6ELNS1_3repE0EEENS1_30default_config_static_selectorELNS0_4arch9wavefront6targetE0EEEvSY_.private_seg_size, 0
	.set _ZN7rocprim17ROCPRIM_400000_NS6detail17trampoline_kernelINS0_13select_configILj256ELj13ELNS0_17block_load_methodE3ELS4_3ELS4_3ELNS0_20block_scan_algorithmE0ELj4294967295EEENS1_25partition_config_selectorILNS1_17partition_subalgoE3EjNS0_10empty_typeEbEEZZNS1_14partition_implILS8_3ELb0ES6_jNS0_17counting_iteratorIjlEEPS9_SE_NS0_5tupleIJPjSE_EEENSF_IJSE_SE_EEES9_SG_JZNS1_25segmented_radix_sort_implINS0_14default_configELb0EPKfPfPKlPlN2at6native12_GLOBAL__N_18offset_tEEE10hipError_tPvRmT1_PNSt15iterator_traitsISY_E10value_typeET2_T3_PNSZ_IS14_E10value_typeET4_jRbjT5_S1A_jjP12ihipStream_tbEUljE_EEESV_SW_SX_S14_S18_S1A_T6_T7_T9_mT8_S1C_bDpT10_ENKUlT_T0_E_clISt17integral_constantIbLb1EES1O_IbLb0EEEEDaS1K_S1L_EUlS1K_E_NS1_11comp_targetILNS1_3genE2ELNS1_11target_archE906ELNS1_3gpuE6ELNS1_3repE0EEENS1_30default_config_static_selectorELNS0_4arch9wavefront6targetE0EEEvSY_.uses_vcc, 0
	.set _ZN7rocprim17ROCPRIM_400000_NS6detail17trampoline_kernelINS0_13select_configILj256ELj13ELNS0_17block_load_methodE3ELS4_3ELS4_3ELNS0_20block_scan_algorithmE0ELj4294967295EEENS1_25partition_config_selectorILNS1_17partition_subalgoE3EjNS0_10empty_typeEbEEZZNS1_14partition_implILS8_3ELb0ES6_jNS0_17counting_iteratorIjlEEPS9_SE_NS0_5tupleIJPjSE_EEENSF_IJSE_SE_EEES9_SG_JZNS1_25segmented_radix_sort_implINS0_14default_configELb0EPKfPfPKlPlN2at6native12_GLOBAL__N_18offset_tEEE10hipError_tPvRmT1_PNSt15iterator_traitsISY_E10value_typeET2_T3_PNSZ_IS14_E10value_typeET4_jRbjT5_S1A_jjP12ihipStream_tbEUljE_EEESV_SW_SX_S14_S18_S1A_T6_T7_T9_mT8_S1C_bDpT10_ENKUlT_T0_E_clISt17integral_constantIbLb1EES1O_IbLb0EEEEDaS1K_S1L_EUlS1K_E_NS1_11comp_targetILNS1_3genE2ELNS1_11target_archE906ELNS1_3gpuE6ELNS1_3repE0EEENS1_30default_config_static_selectorELNS0_4arch9wavefront6targetE0EEEvSY_.uses_flat_scratch, 0
	.set _ZN7rocprim17ROCPRIM_400000_NS6detail17trampoline_kernelINS0_13select_configILj256ELj13ELNS0_17block_load_methodE3ELS4_3ELS4_3ELNS0_20block_scan_algorithmE0ELj4294967295EEENS1_25partition_config_selectorILNS1_17partition_subalgoE3EjNS0_10empty_typeEbEEZZNS1_14partition_implILS8_3ELb0ES6_jNS0_17counting_iteratorIjlEEPS9_SE_NS0_5tupleIJPjSE_EEENSF_IJSE_SE_EEES9_SG_JZNS1_25segmented_radix_sort_implINS0_14default_configELb0EPKfPfPKlPlN2at6native12_GLOBAL__N_18offset_tEEE10hipError_tPvRmT1_PNSt15iterator_traitsISY_E10value_typeET2_T3_PNSZ_IS14_E10value_typeET4_jRbjT5_S1A_jjP12ihipStream_tbEUljE_EEESV_SW_SX_S14_S18_S1A_T6_T7_T9_mT8_S1C_bDpT10_ENKUlT_T0_E_clISt17integral_constantIbLb1EES1O_IbLb0EEEEDaS1K_S1L_EUlS1K_E_NS1_11comp_targetILNS1_3genE2ELNS1_11target_archE906ELNS1_3gpuE6ELNS1_3repE0EEENS1_30default_config_static_selectorELNS0_4arch9wavefront6targetE0EEEvSY_.has_dyn_sized_stack, 0
	.set _ZN7rocprim17ROCPRIM_400000_NS6detail17trampoline_kernelINS0_13select_configILj256ELj13ELNS0_17block_load_methodE3ELS4_3ELS4_3ELNS0_20block_scan_algorithmE0ELj4294967295EEENS1_25partition_config_selectorILNS1_17partition_subalgoE3EjNS0_10empty_typeEbEEZZNS1_14partition_implILS8_3ELb0ES6_jNS0_17counting_iteratorIjlEEPS9_SE_NS0_5tupleIJPjSE_EEENSF_IJSE_SE_EEES9_SG_JZNS1_25segmented_radix_sort_implINS0_14default_configELb0EPKfPfPKlPlN2at6native12_GLOBAL__N_18offset_tEEE10hipError_tPvRmT1_PNSt15iterator_traitsISY_E10value_typeET2_T3_PNSZ_IS14_E10value_typeET4_jRbjT5_S1A_jjP12ihipStream_tbEUljE_EEESV_SW_SX_S14_S18_S1A_T6_T7_T9_mT8_S1C_bDpT10_ENKUlT_T0_E_clISt17integral_constantIbLb1EES1O_IbLb0EEEEDaS1K_S1L_EUlS1K_E_NS1_11comp_targetILNS1_3genE2ELNS1_11target_archE906ELNS1_3gpuE6ELNS1_3repE0EEENS1_30default_config_static_selectorELNS0_4arch9wavefront6targetE0EEEvSY_.has_recursion, 0
	.set _ZN7rocprim17ROCPRIM_400000_NS6detail17trampoline_kernelINS0_13select_configILj256ELj13ELNS0_17block_load_methodE3ELS4_3ELS4_3ELNS0_20block_scan_algorithmE0ELj4294967295EEENS1_25partition_config_selectorILNS1_17partition_subalgoE3EjNS0_10empty_typeEbEEZZNS1_14partition_implILS8_3ELb0ES6_jNS0_17counting_iteratorIjlEEPS9_SE_NS0_5tupleIJPjSE_EEENSF_IJSE_SE_EEES9_SG_JZNS1_25segmented_radix_sort_implINS0_14default_configELb0EPKfPfPKlPlN2at6native12_GLOBAL__N_18offset_tEEE10hipError_tPvRmT1_PNSt15iterator_traitsISY_E10value_typeET2_T3_PNSZ_IS14_E10value_typeET4_jRbjT5_S1A_jjP12ihipStream_tbEUljE_EEESV_SW_SX_S14_S18_S1A_T6_T7_T9_mT8_S1C_bDpT10_ENKUlT_T0_E_clISt17integral_constantIbLb1EES1O_IbLb0EEEEDaS1K_S1L_EUlS1K_E_NS1_11comp_targetILNS1_3genE2ELNS1_11target_archE906ELNS1_3gpuE6ELNS1_3repE0EEENS1_30default_config_static_selectorELNS0_4arch9wavefront6targetE0EEEvSY_.has_indirect_call, 0
	.section	.AMDGPU.csdata,"",@progbits
; Kernel info:
; codeLenInByte = 0
; TotalNumSgprs: 0
; NumVgprs: 0
; ScratchSize: 0
; MemoryBound: 0
; FloatMode: 240
; IeeeMode: 1
; LDSByteSize: 0 bytes/workgroup (compile time only)
; SGPRBlocks: 0
; VGPRBlocks: 0
; NumSGPRsForWavesPerEU: 1
; NumVGPRsForWavesPerEU: 1
; NamedBarCnt: 0
; Occupancy: 16
; WaveLimiterHint : 0
; COMPUTE_PGM_RSRC2:SCRATCH_EN: 0
; COMPUTE_PGM_RSRC2:USER_SGPR: 2
; COMPUTE_PGM_RSRC2:TRAP_HANDLER: 0
; COMPUTE_PGM_RSRC2:TGID_X_EN: 1
; COMPUTE_PGM_RSRC2:TGID_Y_EN: 0
; COMPUTE_PGM_RSRC2:TGID_Z_EN: 0
; COMPUTE_PGM_RSRC2:TIDIG_COMP_CNT: 0
	.section	.text._ZN7rocprim17ROCPRIM_400000_NS6detail17trampoline_kernelINS0_13select_configILj256ELj13ELNS0_17block_load_methodE3ELS4_3ELS4_3ELNS0_20block_scan_algorithmE0ELj4294967295EEENS1_25partition_config_selectorILNS1_17partition_subalgoE3EjNS0_10empty_typeEbEEZZNS1_14partition_implILS8_3ELb0ES6_jNS0_17counting_iteratorIjlEEPS9_SE_NS0_5tupleIJPjSE_EEENSF_IJSE_SE_EEES9_SG_JZNS1_25segmented_radix_sort_implINS0_14default_configELb0EPKfPfPKlPlN2at6native12_GLOBAL__N_18offset_tEEE10hipError_tPvRmT1_PNSt15iterator_traitsISY_E10value_typeET2_T3_PNSZ_IS14_E10value_typeET4_jRbjT5_S1A_jjP12ihipStream_tbEUljE_EEESV_SW_SX_S14_S18_S1A_T6_T7_T9_mT8_S1C_bDpT10_ENKUlT_T0_E_clISt17integral_constantIbLb1EES1O_IbLb0EEEEDaS1K_S1L_EUlS1K_E_NS1_11comp_targetILNS1_3genE10ELNS1_11target_archE1200ELNS1_3gpuE4ELNS1_3repE0EEENS1_30default_config_static_selectorELNS0_4arch9wavefront6targetE0EEEvSY_,"axG",@progbits,_ZN7rocprim17ROCPRIM_400000_NS6detail17trampoline_kernelINS0_13select_configILj256ELj13ELNS0_17block_load_methodE3ELS4_3ELS4_3ELNS0_20block_scan_algorithmE0ELj4294967295EEENS1_25partition_config_selectorILNS1_17partition_subalgoE3EjNS0_10empty_typeEbEEZZNS1_14partition_implILS8_3ELb0ES6_jNS0_17counting_iteratorIjlEEPS9_SE_NS0_5tupleIJPjSE_EEENSF_IJSE_SE_EEES9_SG_JZNS1_25segmented_radix_sort_implINS0_14default_configELb0EPKfPfPKlPlN2at6native12_GLOBAL__N_18offset_tEEE10hipError_tPvRmT1_PNSt15iterator_traitsISY_E10value_typeET2_T3_PNSZ_IS14_E10value_typeET4_jRbjT5_S1A_jjP12ihipStream_tbEUljE_EEESV_SW_SX_S14_S18_S1A_T6_T7_T9_mT8_S1C_bDpT10_ENKUlT_T0_E_clISt17integral_constantIbLb1EES1O_IbLb0EEEEDaS1K_S1L_EUlS1K_E_NS1_11comp_targetILNS1_3genE10ELNS1_11target_archE1200ELNS1_3gpuE4ELNS1_3repE0EEENS1_30default_config_static_selectorELNS0_4arch9wavefront6targetE0EEEvSY_,comdat
	.globl	_ZN7rocprim17ROCPRIM_400000_NS6detail17trampoline_kernelINS0_13select_configILj256ELj13ELNS0_17block_load_methodE3ELS4_3ELS4_3ELNS0_20block_scan_algorithmE0ELj4294967295EEENS1_25partition_config_selectorILNS1_17partition_subalgoE3EjNS0_10empty_typeEbEEZZNS1_14partition_implILS8_3ELb0ES6_jNS0_17counting_iteratorIjlEEPS9_SE_NS0_5tupleIJPjSE_EEENSF_IJSE_SE_EEES9_SG_JZNS1_25segmented_radix_sort_implINS0_14default_configELb0EPKfPfPKlPlN2at6native12_GLOBAL__N_18offset_tEEE10hipError_tPvRmT1_PNSt15iterator_traitsISY_E10value_typeET2_T3_PNSZ_IS14_E10value_typeET4_jRbjT5_S1A_jjP12ihipStream_tbEUljE_EEESV_SW_SX_S14_S18_S1A_T6_T7_T9_mT8_S1C_bDpT10_ENKUlT_T0_E_clISt17integral_constantIbLb1EES1O_IbLb0EEEEDaS1K_S1L_EUlS1K_E_NS1_11comp_targetILNS1_3genE10ELNS1_11target_archE1200ELNS1_3gpuE4ELNS1_3repE0EEENS1_30default_config_static_selectorELNS0_4arch9wavefront6targetE0EEEvSY_ ; -- Begin function _ZN7rocprim17ROCPRIM_400000_NS6detail17trampoline_kernelINS0_13select_configILj256ELj13ELNS0_17block_load_methodE3ELS4_3ELS4_3ELNS0_20block_scan_algorithmE0ELj4294967295EEENS1_25partition_config_selectorILNS1_17partition_subalgoE3EjNS0_10empty_typeEbEEZZNS1_14partition_implILS8_3ELb0ES6_jNS0_17counting_iteratorIjlEEPS9_SE_NS0_5tupleIJPjSE_EEENSF_IJSE_SE_EEES9_SG_JZNS1_25segmented_radix_sort_implINS0_14default_configELb0EPKfPfPKlPlN2at6native12_GLOBAL__N_18offset_tEEE10hipError_tPvRmT1_PNSt15iterator_traitsISY_E10value_typeET2_T3_PNSZ_IS14_E10value_typeET4_jRbjT5_S1A_jjP12ihipStream_tbEUljE_EEESV_SW_SX_S14_S18_S1A_T6_T7_T9_mT8_S1C_bDpT10_ENKUlT_T0_E_clISt17integral_constantIbLb1EES1O_IbLb0EEEEDaS1K_S1L_EUlS1K_E_NS1_11comp_targetILNS1_3genE10ELNS1_11target_archE1200ELNS1_3gpuE4ELNS1_3repE0EEENS1_30default_config_static_selectorELNS0_4arch9wavefront6targetE0EEEvSY_
	.p2align	8
	.type	_ZN7rocprim17ROCPRIM_400000_NS6detail17trampoline_kernelINS0_13select_configILj256ELj13ELNS0_17block_load_methodE3ELS4_3ELS4_3ELNS0_20block_scan_algorithmE0ELj4294967295EEENS1_25partition_config_selectorILNS1_17partition_subalgoE3EjNS0_10empty_typeEbEEZZNS1_14partition_implILS8_3ELb0ES6_jNS0_17counting_iteratorIjlEEPS9_SE_NS0_5tupleIJPjSE_EEENSF_IJSE_SE_EEES9_SG_JZNS1_25segmented_radix_sort_implINS0_14default_configELb0EPKfPfPKlPlN2at6native12_GLOBAL__N_18offset_tEEE10hipError_tPvRmT1_PNSt15iterator_traitsISY_E10value_typeET2_T3_PNSZ_IS14_E10value_typeET4_jRbjT5_S1A_jjP12ihipStream_tbEUljE_EEESV_SW_SX_S14_S18_S1A_T6_T7_T9_mT8_S1C_bDpT10_ENKUlT_T0_E_clISt17integral_constantIbLb1EES1O_IbLb0EEEEDaS1K_S1L_EUlS1K_E_NS1_11comp_targetILNS1_3genE10ELNS1_11target_archE1200ELNS1_3gpuE4ELNS1_3repE0EEENS1_30default_config_static_selectorELNS0_4arch9wavefront6targetE0EEEvSY_,@function
_ZN7rocprim17ROCPRIM_400000_NS6detail17trampoline_kernelINS0_13select_configILj256ELj13ELNS0_17block_load_methodE3ELS4_3ELS4_3ELNS0_20block_scan_algorithmE0ELj4294967295EEENS1_25partition_config_selectorILNS1_17partition_subalgoE3EjNS0_10empty_typeEbEEZZNS1_14partition_implILS8_3ELb0ES6_jNS0_17counting_iteratorIjlEEPS9_SE_NS0_5tupleIJPjSE_EEENSF_IJSE_SE_EEES9_SG_JZNS1_25segmented_radix_sort_implINS0_14default_configELb0EPKfPfPKlPlN2at6native12_GLOBAL__N_18offset_tEEE10hipError_tPvRmT1_PNSt15iterator_traitsISY_E10value_typeET2_T3_PNSZ_IS14_E10value_typeET4_jRbjT5_S1A_jjP12ihipStream_tbEUljE_EEESV_SW_SX_S14_S18_S1A_T6_T7_T9_mT8_S1C_bDpT10_ENKUlT_T0_E_clISt17integral_constantIbLb1EES1O_IbLb0EEEEDaS1K_S1L_EUlS1K_E_NS1_11comp_targetILNS1_3genE10ELNS1_11target_archE1200ELNS1_3gpuE4ELNS1_3repE0EEENS1_30default_config_static_selectorELNS0_4arch9wavefront6targetE0EEEvSY_: ; @_ZN7rocprim17ROCPRIM_400000_NS6detail17trampoline_kernelINS0_13select_configILj256ELj13ELNS0_17block_load_methodE3ELS4_3ELS4_3ELNS0_20block_scan_algorithmE0ELj4294967295EEENS1_25partition_config_selectorILNS1_17partition_subalgoE3EjNS0_10empty_typeEbEEZZNS1_14partition_implILS8_3ELb0ES6_jNS0_17counting_iteratorIjlEEPS9_SE_NS0_5tupleIJPjSE_EEENSF_IJSE_SE_EEES9_SG_JZNS1_25segmented_radix_sort_implINS0_14default_configELb0EPKfPfPKlPlN2at6native12_GLOBAL__N_18offset_tEEE10hipError_tPvRmT1_PNSt15iterator_traitsISY_E10value_typeET2_T3_PNSZ_IS14_E10value_typeET4_jRbjT5_S1A_jjP12ihipStream_tbEUljE_EEESV_SW_SX_S14_S18_S1A_T6_T7_T9_mT8_S1C_bDpT10_ENKUlT_T0_E_clISt17integral_constantIbLb1EES1O_IbLb0EEEEDaS1K_S1L_EUlS1K_E_NS1_11comp_targetILNS1_3genE10ELNS1_11target_archE1200ELNS1_3gpuE4ELNS1_3repE0EEENS1_30default_config_static_selectorELNS0_4arch9wavefront6targetE0EEEvSY_
; %bb.0:
	.section	.rodata,"a",@progbits
	.p2align	6, 0x0
	.amdhsa_kernel _ZN7rocprim17ROCPRIM_400000_NS6detail17trampoline_kernelINS0_13select_configILj256ELj13ELNS0_17block_load_methodE3ELS4_3ELS4_3ELNS0_20block_scan_algorithmE0ELj4294967295EEENS1_25partition_config_selectorILNS1_17partition_subalgoE3EjNS0_10empty_typeEbEEZZNS1_14partition_implILS8_3ELb0ES6_jNS0_17counting_iteratorIjlEEPS9_SE_NS0_5tupleIJPjSE_EEENSF_IJSE_SE_EEES9_SG_JZNS1_25segmented_radix_sort_implINS0_14default_configELb0EPKfPfPKlPlN2at6native12_GLOBAL__N_18offset_tEEE10hipError_tPvRmT1_PNSt15iterator_traitsISY_E10value_typeET2_T3_PNSZ_IS14_E10value_typeET4_jRbjT5_S1A_jjP12ihipStream_tbEUljE_EEESV_SW_SX_S14_S18_S1A_T6_T7_T9_mT8_S1C_bDpT10_ENKUlT_T0_E_clISt17integral_constantIbLb1EES1O_IbLb0EEEEDaS1K_S1L_EUlS1K_E_NS1_11comp_targetILNS1_3genE10ELNS1_11target_archE1200ELNS1_3gpuE4ELNS1_3repE0EEENS1_30default_config_static_selectorELNS0_4arch9wavefront6targetE0EEEvSY_
		.amdhsa_group_segment_fixed_size 0
		.amdhsa_private_segment_fixed_size 0
		.amdhsa_kernarg_size 144
		.amdhsa_user_sgpr_count 2
		.amdhsa_user_sgpr_dispatch_ptr 0
		.amdhsa_user_sgpr_queue_ptr 0
		.amdhsa_user_sgpr_kernarg_segment_ptr 1
		.amdhsa_user_sgpr_dispatch_id 0
		.amdhsa_user_sgpr_kernarg_preload_length 0
		.amdhsa_user_sgpr_kernarg_preload_offset 0
		.amdhsa_user_sgpr_private_segment_size 0
		.amdhsa_wavefront_size32 1
		.amdhsa_uses_dynamic_stack 0
		.amdhsa_enable_private_segment 0
		.amdhsa_system_sgpr_workgroup_id_x 1
		.amdhsa_system_sgpr_workgroup_id_y 0
		.amdhsa_system_sgpr_workgroup_id_z 0
		.amdhsa_system_sgpr_workgroup_info 0
		.amdhsa_system_vgpr_workitem_id 0
		.amdhsa_next_free_vgpr 1
		.amdhsa_next_free_sgpr 1
		.amdhsa_named_barrier_count 0
		.amdhsa_reserve_vcc 0
		.amdhsa_float_round_mode_32 0
		.amdhsa_float_round_mode_16_64 0
		.amdhsa_float_denorm_mode_32 3
		.amdhsa_float_denorm_mode_16_64 3
		.amdhsa_fp16_overflow 0
		.amdhsa_memory_ordered 1
		.amdhsa_forward_progress 1
		.amdhsa_inst_pref_size 0
		.amdhsa_round_robin_scheduling 0
		.amdhsa_exception_fp_ieee_invalid_op 0
		.amdhsa_exception_fp_denorm_src 0
		.amdhsa_exception_fp_ieee_div_zero 0
		.amdhsa_exception_fp_ieee_overflow 0
		.amdhsa_exception_fp_ieee_underflow 0
		.amdhsa_exception_fp_ieee_inexact 0
		.amdhsa_exception_int_div_zero 0
	.end_amdhsa_kernel
	.section	.text._ZN7rocprim17ROCPRIM_400000_NS6detail17trampoline_kernelINS0_13select_configILj256ELj13ELNS0_17block_load_methodE3ELS4_3ELS4_3ELNS0_20block_scan_algorithmE0ELj4294967295EEENS1_25partition_config_selectorILNS1_17partition_subalgoE3EjNS0_10empty_typeEbEEZZNS1_14partition_implILS8_3ELb0ES6_jNS0_17counting_iteratorIjlEEPS9_SE_NS0_5tupleIJPjSE_EEENSF_IJSE_SE_EEES9_SG_JZNS1_25segmented_radix_sort_implINS0_14default_configELb0EPKfPfPKlPlN2at6native12_GLOBAL__N_18offset_tEEE10hipError_tPvRmT1_PNSt15iterator_traitsISY_E10value_typeET2_T3_PNSZ_IS14_E10value_typeET4_jRbjT5_S1A_jjP12ihipStream_tbEUljE_EEESV_SW_SX_S14_S18_S1A_T6_T7_T9_mT8_S1C_bDpT10_ENKUlT_T0_E_clISt17integral_constantIbLb1EES1O_IbLb0EEEEDaS1K_S1L_EUlS1K_E_NS1_11comp_targetILNS1_3genE10ELNS1_11target_archE1200ELNS1_3gpuE4ELNS1_3repE0EEENS1_30default_config_static_selectorELNS0_4arch9wavefront6targetE0EEEvSY_,"axG",@progbits,_ZN7rocprim17ROCPRIM_400000_NS6detail17trampoline_kernelINS0_13select_configILj256ELj13ELNS0_17block_load_methodE3ELS4_3ELS4_3ELNS0_20block_scan_algorithmE0ELj4294967295EEENS1_25partition_config_selectorILNS1_17partition_subalgoE3EjNS0_10empty_typeEbEEZZNS1_14partition_implILS8_3ELb0ES6_jNS0_17counting_iteratorIjlEEPS9_SE_NS0_5tupleIJPjSE_EEENSF_IJSE_SE_EEES9_SG_JZNS1_25segmented_radix_sort_implINS0_14default_configELb0EPKfPfPKlPlN2at6native12_GLOBAL__N_18offset_tEEE10hipError_tPvRmT1_PNSt15iterator_traitsISY_E10value_typeET2_T3_PNSZ_IS14_E10value_typeET4_jRbjT5_S1A_jjP12ihipStream_tbEUljE_EEESV_SW_SX_S14_S18_S1A_T6_T7_T9_mT8_S1C_bDpT10_ENKUlT_T0_E_clISt17integral_constantIbLb1EES1O_IbLb0EEEEDaS1K_S1L_EUlS1K_E_NS1_11comp_targetILNS1_3genE10ELNS1_11target_archE1200ELNS1_3gpuE4ELNS1_3repE0EEENS1_30default_config_static_selectorELNS0_4arch9wavefront6targetE0EEEvSY_,comdat
.Lfunc_end1410:
	.size	_ZN7rocprim17ROCPRIM_400000_NS6detail17trampoline_kernelINS0_13select_configILj256ELj13ELNS0_17block_load_methodE3ELS4_3ELS4_3ELNS0_20block_scan_algorithmE0ELj4294967295EEENS1_25partition_config_selectorILNS1_17partition_subalgoE3EjNS0_10empty_typeEbEEZZNS1_14partition_implILS8_3ELb0ES6_jNS0_17counting_iteratorIjlEEPS9_SE_NS0_5tupleIJPjSE_EEENSF_IJSE_SE_EEES9_SG_JZNS1_25segmented_radix_sort_implINS0_14default_configELb0EPKfPfPKlPlN2at6native12_GLOBAL__N_18offset_tEEE10hipError_tPvRmT1_PNSt15iterator_traitsISY_E10value_typeET2_T3_PNSZ_IS14_E10value_typeET4_jRbjT5_S1A_jjP12ihipStream_tbEUljE_EEESV_SW_SX_S14_S18_S1A_T6_T7_T9_mT8_S1C_bDpT10_ENKUlT_T0_E_clISt17integral_constantIbLb1EES1O_IbLb0EEEEDaS1K_S1L_EUlS1K_E_NS1_11comp_targetILNS1_3genE10ELNS1_11target_archE1200ELNS1_3gpuE4ELNS1_3repE0EEENS1_30default_config_static_selectorELNS0_4arch9wavefront6targetE0EEEvSY_, .Lfunc_end1410-_ZN7rocprim17ROCPRIM_400000_NS6detail17trampoline_kernelINS0_13select_configILj256ELj13ELNS0_17block_load_methodE3ELS4_3ELS4_3ELNS0_20block_scan_algorithmE0ELj4294967295EEENS1_25partition_config_selectorILNS1_17partition_subalgoE3EjNS0_10empty_typeEbEEZZNS1_14partition_implILS8_3ELb0ES6_jNS0_17counting_iteratorIjlEEPS9_SE_NS0_5tupleIJPjSE_EEENSF_IJSE_SE_EEES9_SG_JZNS1_25segmented_radix_sort_implINS0_14default_configELb0EPKfPfPKlPlN2at6native12_GLOBAL__N_18offset_tEEE10hipError_tPvRmT1_PNSt15iterator_traitsISY_E10value_typeET2_T3_PNSZ_IS14_E10value_typeET4_jRbjT5_S1A_jjP12ihipStream_tbEUljE_EEESV_SW_SX_S14_S18_S1A_T6_T7_T9_mT8_S1C_bDpT10_ENKUlT_T0_E_clISt17integral_constantIbLb1EES1O_IbLb0EEEEDaS1K_S1L_EUlS1K_E_NS1_11comp_targetILNS1_3genE10ELNS1_11target_archE1200ELNS1_3gpuE4ELNS1_3repE0EEENS1_30default_config_static_selectorELNS0_4arch9wavefront6targetE0EEEvSY_
                                        ; -- End function
	.set _ZN7rocprim17ROCPRIM_400000_NS6detail17trampoline_kernelINS0_13select_configILj256ELj13ELNS0_17block_load_methodE3ELS4_3ELS4_3ELNS0_20block_scan_algorithmE0ELj4294967295EEENS1_25partition_config_selectorILNS1_17partition_subalgoE3EjNS0_10empty_typeEbEEZZNS1_14partition_implILS8_3ELb0ES6_jNS0_17counting_iteratorIjlEEPS9_SE_NS0_5tupleIJPjSE_EEENSF_IJSE_SE_EEES9_SG_JZNS1_25segmented_radix_sort_implINS0_14default_configELb0EPKfPfPKlPlN2at6native12_GLOBAL__N_18offset_tEEE10hipError_tPvRmT1_PNSt15iterator_traitsISY_E10value_typeET2_T3_PNSZ_IS14_E10value_typeET4_jRbjT5_S1A_jjP12ihipStream_tbEUljE_EEESV_SW_SX_S14_S18_S1A_T6_T7_T9_mT8_S1C_bDpT10_ENKUlT_T0_E_clISt17integral_constantIbLb1EES1O_IbLb0EEEEDaS1K_S1L_EUlS1K_E_NS1_11comp_targetILNS1_3genE10ELNS1_11target_archE1200ELNS1_3gpuE4ELNS1_3repE0EEENS1_30default_config_static_selectorELNS0_4arch9wavefront6targetE0EEEvSY_.num_vgpr, 0
	.set _ZN7rocprim17ROCPRIM_400000_NS6detail17trampoline_kernelINS0_13select_configILj256ELj13ELNS0_17block_load_methodE3ELS4_3ELS4_3ELNS0_20block_scan_algorithmE0ELj4294967295EEENS1_25partition_config_selectorILNS1_17partition_subalgoE3EjNS0_10empty_typeEbEEZZNS1_14partition_implILS8_3ELb0ES6_jNS0_17counting_iteratorIjlEEPS9_SE_NS0_5tupleIJPjSE_EEENSF_IJSE_SE_EEES9_SG_JZNS1_25segmented_radix_sort_implINS0_14default_configELb0EPKfPfPKlPlN2at6native12_GLOBAL__N_18offset_tEEE10hipError_tPvRmT1_PNSt15iterator_traitsISY_E10value_typeET2_T3_PNSZ_IS14_E10value_typeET4_jRbjT5_S1A_jjP12ihipStream_tbEUljE_EEESV_SW_SX_S14_S18_S1A_T6_T7_T9_mT8_S1C_bDpT10_ENKUlT_T0_E_clISt17integral_constantIbLb1EES1O_IbLb0EEEEDaS1K_S1L_EUlS1K_E_NS1_11comp_targetILNS1_3genE10ELNS1_11target_archE1200ELNS1_3gpuE4ELNS1_3repE0EEENS1_30default_config_static_selectorELNS0_4arch9wavefront6targetE0EEEvSY_.num_agpr, 0
	.set _ZN7rocprim17ROCPRIM_400000_NS6detail17trampoline_kernelINS0_13select_configILj256ELj13ELNS0_17block_load_methodE3ELS4_3ELS4_3ELNS0_20block_scan_algorithmE0ELj4294967295EEENS1_25partition_config_selectorILNS1_17partition_subalgoE3EjNS0_10empty_typeEbEEZZNS1_14partition_implILS8_3ELb0ES6_jNS0_17counting_iteratorIjlEEPS9_SE_NS0_5tupleIJPjSE_EEENSF_IJSE_SE_EEES9_SG_JZNS1_25segmented_radix_sort_implINS0_14default_configELb0EPKfPfPKlPlN2at6native12_GLOBAL__N_18offset_tEEE10hipError_tPvRmT1_PNSt15iterator_traitsISY_E10value_typeET2_T3_PNSZ_IS14_E10value_typeET4_jRbjT5_S1A_jjP12ihipStream_tbEUljE_EEESV_SW_SX_S14_S18_S1A_T6_T7_T9_mT8_S1C_bDpT10_ENKUlT_T0_E_clISt17integral_constantIbLb1EES1O_IbLb0EEEEDaS1K_S1L_EUlS1K_E_NS1_11comp_targetILNS1_3genE10ELNS1_11target_archE1200ELNS1_3gpuE4ELNS1_3repE0EEENS1_30default_config_static_selectorELNS0_4arch9wavefront6targetE0EEEvSY_.numbered_sgpr, 0
	.set _ZN7rocprim17ROCPRIM_400000_NS6detail17trampoline_kernelINS0_13select_configILj256ELj13ELNS0_17block_load_methodE3ELS4_3ELS4_3ELNS0_20block_scan_algorithmE0ELj4294967295EEENS1_25partition_config_selectorILNS1_17partition_subalgoE3EjNS0_10empty_typeEbEEZZNS1_14partition_implILS8_3ELb0ES6_jNS0_17counting_iteratorIjlEEPS9_SE_NS0_5tupleIJPjSE_EEENSF_IJSE_SE_EEES9_SG_JZNS1_25segmented_radix_sort_implINS0_14default_configELb0EPKfPfPKlPlN2at6native12_GLOBAL__N_18offset_tEEE10hipError_tPvRmT1_PNSt15iterator_traitsISY_E10value_typeET2_T3_PNSZ_IS14_E10value_typeET4_jRbjT5_S1A_jjP12ihipStream_tbEUljE_EEESV_SW_SX_S14_S18_S1A_T6_T7_T9_mT8_S1C_bDpT10_ENKUlT_T0_E_clISt17integral_constantIbLb1EES1O_IbLb0EEEEDaS1K_S1L_EUlS1K_E_NS1_11comp_targetILNS1_3genE10ELNS1_11target_archE1200ELNS1_3gpuE4ELNS1_3repE0EEENS1_30default_config_static_selectorELNS0_4arch9wavefront6targetE0EEEvSY_.num_named_barrier, 0
	.set _ZN7rocprim17ROCPRIM_400000_NS6detail17trampoline_kernelINS0_13select_configILj256ELj13ELNS0_17block_load_methodE3ELS4_3ELS4_3ELNS0_20block_scan_algorithmE0ELj4294967295EEENS1_25partition_config_selectorILNS1_17partition_subalgoE3EjNS0_10empty_typeEbEEZZNS1_14partition_implILS8_3ELb0ES6_jNS0_17counting_iteratorIjlEEPS9_SE_NS0_5tupleIJPjSE_EEENSF_IJSE_SE_EEES9_SG_JZNS1_25segmented_radix_sort_implINS0_14default_configELb0EPKfPfPKlPlN2at6native12_GLOBAL__N_18offset_tEEE10hipError_tPvRmT1_PNSt15iterator_traitsISY_E10value_typeET2_T3_PNSZ_IS14_E10value_typeET4_jRbjT5_S1A_jjP12ihipStream_tbEUljE_EEESV_SW_SX_S14_S18_S1A_T6_T7_T9_mT8_S1C_bDpT10_ENKUlT_T0_E_clISt17integral_constantIbLb1EES1O_IbLb0EEEEDaS1K_S1L_EUlS1K_E_NS1_11comp_targetILNS1_3genE10ELNS1_11target_archE1200ELNS1_3gpuE4ELNS1_3repE0EEENS1_30default_config_static_selectorELNS0_4arch9wavefront6targetE0EEEvSY_.private_seg_size, 0
	.set _ZN7rocprim17ROCPRIM_400000_NS6detail17trampoline_kernelINS0_13select_configILj256ELj13ELNS0_17block_load_methodE3ELS4_3ELS4_3ELNS0_20block_scan_algorithmE0ELj4294967295EEENS1_25partition_config_selectorILNS1_17partition_subalgoE3EjNS0_10empty_typeEbEEZZNS1_14partition_implILS8_3ELb0ES6_jNS0_17counting_iteratorIjlEEPS9_SE_NS0_5tupleIJPjSE_EEENSF_IJSE_SE_EEES9_SG_JZNS1_25segmented_radix_sort_implINS0_14default_configELb0EPKfPfPKlPlN2at6native12_GLOBAL__N_18offset_tEEE10hipError_tPvRmT1_PNSt15iterator_traitsISY_E10value_typeET2_T3_PNSZ_IS14_E10value_typeET4_jRbjT5_S1A_jjP12ihipStream_tbEUljE_EEESV_SW_SX_S14_S18_S1A_T6_T7_T9_mT8_S1C_bDpT10_ENKUlT_T0_E_clISt17integral_constantIbLb1EES1O_IbLb0EEEEDaS1K_S1L_EUlS1K_E_NS1_11comp_targetILNS1_3genE10ELNS1_11target_archE1200ELNS1_3gpuE4ELNS1_3repE0EEENS1_30default_config_static_selectorELNS0_4arch9wavefront6targetE0EEEvSY_.uses_vcc, 0
	.set _ZN7rocprim17ROCPRIM_400000_NS6detail17trampoline_kernelINS0_13select_configILj256ELj13ELNS0_17block_load_methodE3ELS4_3ELS4_3ELNS0_20block_scan_algorithmE0ELj4294967295EEENS1_25partition_config_selectorILNS1_17partition_subalgoE3EjNS0_10empty_typeEbEEZZNS1_14partition_implILS8_3ELb0ES6_jNS0_17counting_iteratorIjlEEPS9_SE_NS0_5tupleIJPjSE_EEENSF_IJSE_SE_EEES9_SG_JZNS1_25segmented_radix_sort_implINS0_14default_configELb0EPKfPfPKlPlN2at6native12_GLOBAL__N_18offset_tEEE10hipError_tPvRmT1_PNSt15iterator_traitsISY_E10value_typeET2_T3_PNSZ_IS14_E10value_typeET4_jRbjT5_S1A_jjP12ihipStream_tbEUljE_EEESV_SW_SX_S14_S18_S1A_T6_T7_T9_mT8_S1C_bDpT10_ENKUlT_T0_E_clISt17integral_constantIbLb1EES1O_IbLb0EEEEDaS1K_S1L_EUlS1K_E_NS1_11comp_targetILNS1_3genE10ELNS1_11target_archE1200ELNS1_3gpuE4ELNS1_3repE0EEENS1_30default_config_static_selectorELNS0_4arch9wavefront6targetE0EEEvSY_.uses_flat_scratch, 0
	.set _ZN7rocprim17ROCPRIM_400000_NS6detail17trampoline_kernelINS0_13select_configILj256ELj13ELNS0_17block_load_methodE3ELS4_3ELS4_3ELNS0_20block_scan_algorithmE0ELj4294967295EEENS1_25partition_config_selectorILNS1_17partition_subalgoE3EjNS0_10empty_typeEbEEZZNS1_14partition_implILS8_3ELb0ES6_jNS0_17counting_iteratorIjlEEPS9_SE_NS0_5tupleIJPjSE_EEENSF_IJSE_SE_EEES9_SG_JZNS1_25segmented_radix_sort_implINS0_14default_configELb0EPKfPfPKlPlN2at6native12_GLOBAL__N_18offset_tEEE10hipError_tPvRmT1_PNSt15iterator_traitsISY_E10value_typeET2_T3_PNSZ_IS14_E10value_typeET4_jRbjT5_S1A_jjP12ihipStream_tbEUljE_EEESV_SW_SX_S14_S18_S1A_T6_T7_T9_mT8_S1C_bDpT10_ENKUlT_T0_E_clISt17integral_constantIbLb1EES1O_IbLb0EEEEDaS1K_S1L_EUlS1K_E_NS1_11comp_targetILNS1_3genE10ELNS1_11target_archE1200ELNS1_3gpuE4ELNS1_3repE0EEENS1_30default_config_static_selectorELNS0_4arch9wavefront6targetE0EEEvSY_.has_dyn_sized_stack, 0
	.set _ZN7rocprim17ROCPRIM_400000_NS6detail17trampoline_kernelINS0_13select_configILj256ELj13ELNS0_17block_load_methodE3ELS4_3ELS4_3ELNS0_20block_scan_algorithmE0ELj4294967295EEENS1_25partition_config_selectorILNS1_17partition_subalgoE3EjNS0_10empty_typeEbEEZZNS1_14partition_implILS8_3ELb0ES6_jNS0_17counting_iteratorIjlEEPS9_SE_NS0_5tupleIJPjSE_EEENSF_IJSE_SE_EEES9_SG_JZNS1_25segmented_radix_sort_implINS0_14default_configELb0EPKfPfPKlPlN2at6native12_GLOBAL__N_18offset_tEEE10hipError_tPvRmT1_PNSt15iterator_traitsISY_E10value_typeET2_T3_PNSZ_IS14_E10value_typeET4_jRbjT5_S1A_jjP12ihipStream_tbEUljE_EEESV_SW_SX_S14_S18_S1A_T6_T7_T9_mT8_S1C_bDpT10_ENKUlT_T0_E_clISt17integral_constantIbLb1EES1O_IbLb0EEEEDaS1K_S1L_EUlS1K_E_NS1_11comp_targetILNS1_3genE10ELNS1_11target_archE1200ELNS1_3gpuE4ELNS1_3repE0EEENS1_30default_config_static_selectorELNS0_4arch9wavefront6targetE0EEEvSY_.has_recursion, 0
	.set _ZN7rocprim17ROCPRIM_400000_NS6detail17trampoline_kernelINS0_13select_configILj256ELj13ELNS0_17block_load_methodE3ELS4_3ELS4_3ELNS0_20block_scan_algorithmE0ELj4294967295EEENS1_25partition_config_selectorILNS1_17partition_subalgoE3EjNS0_10empty_typeEbEEZZNS1_14partition_implILS8_3ELb0ES6_jNS0_17counting_iteratorIjlEEPS9_SE_NS0_5tupleIJPjSE_EEENSF_IJSE_SE_EEES9_SG_JZNS1_25segmented_radix_sort_implINS0_14default_configELb0EPKfPfPKlPlN2at6native12_GLOBAL__N_18offset_tEEE10hipError_tPvRmT1_PNSt15iterator_traitsISY_E10value_typeET2_T3_PNSZ_IS14_E10value_typeET4_jRbjT5_S1A_jjP12ihipStream_tbEUljE_EEESV_SW_SX_S14_S18_S1A_T6_T7_T9_mT8_S1C_bDpT10_ENKUlT_T0_E_clISt17integral_constantIbLb1EES1O_IbLb0EEEEDaS1K_S1L_EUlS1K_E_NS1_11comp_targetILNS1_3genE10ELNS1_11target_archE1200ELNS1_3gpuE4ELNS1_3repE0EEENS1_30default_config_static_selectorELNS0_4arch9wavefront6targetE0EEEvSY_.has_indirect_call, 0
	.section	.AMDGPU.csdata,"",@progbits
; Kernel info:
; codeLenInByte = 0
; TotalNumSgprs: 0
; NumVgprs: 0
; ScratchSize: 0
; MemoryBound: 0
; FloatMode: 240
; IeeeMode: 1
; LDSByteSize: 0 bytes/workgroup (compile time only)
; SGPRBlocks: 0
; VGPRBlocks: 0
; NumSGPRsForWavesPerEU: 1
; NumVGPRsForWavesPerEU: 1
; NamedBarCnt: 0
; Occupancy: 16
; WaveLimiterHint : 0
; COMPUTE_PGM_RSRC2:SCRATCH_EN: 0
; COMPUTE_PGM_RSRC2:USER_SGPR: 2
; COMPUTE_PGM_RSRC2:TRAP_HANDLER: 0
; COMPUTE_PGM_RSRC2:TGID_X_EN: 1
; COMPUTE_PGM_RSRC2:TGID_Y_EN: 0
; COMPUTE_PGM_RSRC2:TGID_Z_EN: 0
; COMPUTE_PGM_RSRC2:TIDIG_COMP_CNT: 0
	.section	.text._ZN7rocprim17ROCPRIM_400000_NS6detail17trampoline_kernelINS0_13select_configILj256ELj13ELNS0_17block_load_methodE3ELS4_3ELS4_3ELNS0_20block_scan_algorithmE0ELj4294967295EEENS1_25partition_config_selectorILNS1_17partition_subalgoE3EjNS0_10empty_typeEbEEZZNS1_14partition_implILS8_3ELb0ES6_jNS0_17counting_iteratorIjlEEPS9_SE_NS0_5tupleIJPjSE_EEENSF_IJSE_SE_EEES9_SG_JZNS1_25segmented_radix_sort_implINS0_14default_configELb0EPKfPfPKlPlN2at6native12_GLOBAL__N_18offset_tEEE10hipError_tPvRmT1_PNSt15iterator_traitsISY_E10value_typeET2_T3_PNSZ_IS14_E10value_typeET4_jRbjT5_S1A_jjP12ihipStream_tbEUljE_EEESV_SW_SX_S14_S18_S1A_T6_T7_T9_mT8_S1C_bDpT10_ENKUlT_T0_E_clISt17integral_constantIbLb1EES1O_IbLb0EEEEDaS1K_S1L_EUlS1K_E_NS1_11comp_targetILNS1_3genE9ELNS1_11target_archE1100ELNS1_3gpuE3ELNS1_3repE0EEENS1_30default_config_static_selectorELNS0_4arch9wavefront6targetE0EEEvSY_,"axG",@progbits,_ZN7rocprim17ROCPRIM_400000_NS6detail17trampoline_kernelINS0_13select_configILj256ELj13ELNS0_17block_load_methodE3ELS4_3ELS4_3ELNS0_20block_scan_algorithmE0ELj4294967295EEENS1_25partition_config_selectorILNS1_17partition_subalgoE3EjNS0_10empty_typeEbEEZZNS1_14partition_implILS8_3ELb0ES6_jNS0_17counting_iteratorIjlEEPS9_SE_NS0_5tupleIJPjSE_EEENSF_IJSE_SE_EEES9_SG_JZNS1_25segmented_radix_sort_implINS0_14default_configELb0EPKfPfPKlPlN2at6native12_GLOBAL__N_18offset_tEEE10hipError_tPvRmT1_PNSt15iterator_traitsISY_E10value_typeET2_T3_PNSZ_IS14_E10value_typeET4_jRbjT5_S1A_jjP12ihipStream_tbEUljE_EEESV_SW_SX_S14_S18_S1A_T6_T7_T9_mT8_S1C_bDpT10_ENKUlT_T0_E_clISt17integral_constantIbLb1EES1O_IbLb0EEEEDaS1K_S1L_EUlS1K_E_NS1_11comp_targetILNS1_3genE9ELNS1_11target_archE1100ELNS1_3gpuE3ELNS1_3repE0EEENS1_30default_config_static_selectorELNS0_4arch9wavefront6targetE0EEEvSY_,comdat
	.globl	_ZN7rocprim17ROCPRIM_400000_NS6detail17trampoline_kernelINS0_13select_configILj256ELj13ELNS0_17block_load_methodE3ELS4_3ELS4_3ELNS0_20block_scan_algorithmE0ELj4294967295EEENS1_25partition_config_selectorILNS1_17partition_subalgoE3EjNS0_10empty_typeEbEEZZNS1_14partition_implILS8_3ELb0ES6_jNS0_17counting_iteratorIjlEEPS9_SE_NS0_5tupleIJPjSE_EEENSF_IJSE_SE_EEES9_SG_JZNS1_25segmented_radix_sort_implINS0_14default_configELb0EPKfPfPKlPlN2at6native12_GLOBAL__N_18offset_tEEE10hipError_tPvRmT1_PNSt15iterator_traitsISY_E10value_typeET2_T3_PNSZ_IS14_E10value_typeET4_jRbjT5_S1A_jjP12ihipStream_tbEUljE_EEESV_SW_SX_S14_S18_S1A_T6_T7_T9_mT8_S1C_bDpT10_ENKUlT_T0_E_clISt17integral_constantIbLb1EES1O_IbLb0EEEEDaS1K_S1L_EUlS1K_E_NS1_11comp_targetILNS1_3genE9ELNS1_11target_archE1100ELNS1_3gpuE3ELNS1_3repE0EEENS1_30default_config_static_selectorELNS0_4arch9wavefront6targetE0EEEvSY_ ; -- Begin function _ZN7rocprim17ROCPRIM_400000_NS6detail17trampoline_kernelINS0_13select_configILj256ELj13ELNS0_17block_load_methodE3ELS4_3ELS4_3ELNS0_20block_scan_algorithmE0ELj4294967295EEENS1_25partition_config_selectorILNS1_17partition_subalgoE3EjNS0_10empty_typeEbEEZZNS1_14partition_implILS8_3ELb0ES6_jNS0_17counting_iteratorIjlEEPS9_SE_NS0_5tupleIJPjSE_EEENSF_IJSE_SE_EEES9_SG_JZNS1_25segmented_radix_sort_implINS0_14default_configELb0EPKfPfPKlPlN2at6native12_GLOBAL__N_18offset_tEEE10hipError_tPvRmT1_PNSt15iterator_traitsISY_E10value_typeET2_T3_PNSZ_IS14_E10value_typeET4_jRbjT5_S1A_jjP12ihipStream_tbEUljE_EEESV_SW_SX_S14_S18_S1A_T6_T7_T9_mT8_S1C_bDpT10_ENKUlT_T0_E_clISt17integral_constantIbLb1EES1O_IbLb0EEEEDaS1K_S1L_EUlS1K_E_NS1_11comp_targetILNS1_3genE9ELNS1_11target_archE1100ELNS1_3gpuE3ELNS1_3repE0EEENS1_30default_config_static_selectorELNS0_4arch9wavefront6targetE0EEEvSY_
	.p2align	8
	.type	_ZN7rocprim17ROCPRIM_400000_NS6detail17trampoline_kernelINS0_13select_configILj256ELj13ELNS0_17block_load_methodE3ELS4_3ELS4_3ELNS0_20block_scan_algorithmE0ELj4294967295EEENS1_25partition_config_selectorILNS1_17partition_subalgoE3EjNS0_10empty_typeEbEEZZNS1_14partition_implILS8_3ELb0ES6_jNS0_17counting_iteratorIjlEEPS9_SE_NS0_5tupleIJPjSE_EEENSF_IJSE_SE_EEES9_SG_JZNS1_25segmented_radix_sort_implINS0_14default_configELb0EPKfPfPKlPlN2at6native12_GLOBAL__N_18offset_tEEE10hipError_tPvRmT1_PNSt15iterator_traitsISY_E10value_typeET2_T3_PNSZ_IS14_E10value_typeET4_jRbjT5_S1A_jjP12ihipStream_tbEUljE_EEESV_SW_SX_S14_S18_S1A_T6_T7_T9_mT8_S1C_bDpT10_ENKUlT_T0_E_clISt17integral_constantIbLb1EES1O_IbLb0EEEEDaS1K_S1L_EUlS1K_E_NS1_11comp_targetILNS1_3genE9ELNS1_11target_archE1100ELNS1_3gpuE3ELNS1_3repE0EEENS1_30default_config_static_selectorELNS0_4arch9wavefront6targetE0EEEvSY_,@function
_ZN7rocprim17ROCPRIM_400000_NS6detail17trampoline_kernelINS0_13select_configILj256ELj13ELNS0_17block_load_methodE3ELS4_3ELS4_3ELNS0_20block_scan_algorithmE0ELj4294967295EEENS1_25partition_config_selectorILNS1_17partition_subalgoE3EjNS0_10empty_typeEbEEZZNS1_14partition_implILS8_3ELb0ES6_jNS0_17counting_iteratorIjlEEPS9_SE_NS0_5tupleIJPjSE_EEENSF_IJSE_SE_EEES9_SG_JZNS1_25segmented_radix_sort_implINS0_14default_configELb0EPKfPfPKlPlN2at6native12_GLOBAL__N_18offset_tEEE10hipError_tPvRmT1_PNSt15iterator_traitsISY_E10value_typeET2_T3_PNSZ_IS14_E10value_typeET4_jRbjT5_S1A_jjP12ihipStream_tbEUljE_EEESV_SW_SX_S14_S18_S1A_T6_T7_T9_mT8_S1C_bDpT10_ENKUlT_T0_E_clISt17integral_constantIbLb1EES1O_IbLb0EEEEDaS1K_S1L_EUlS1K_E_NS1_11comp_targetILNS1_3genE9ELNS1_11target_archE1100ELNS1_3gpuE3ELNS1_3repE0EEENS1_30default_config_static_selectorELNS0_4arch9wavefront6targetE0EEEvSY_: ; @_ZN7rocprim17ROCPRIM_400000_NS6detail17trampoline_kernelINS0_13select_configILj256ELj13ELNS0_17block_load_methodE3ELS4_3ELS4_3ELNS0_20block_scan_algorithmE0ELj4294967295EEENS1_25partition_config_selectorILNS1_17partition_subalgoE3EjNS0_10empty_typeEbEEZZNS1_14partition_implILS8_3ELb0ES6_jNS0_17counting_iteratorIjlEEPS9_SE_NS0_5tupleIJPjSE_EEENSF_IJSE_SE_EEES9_SG_JZNS1_25segmented_radix_sort_implINS0_14default_configELb0EPKfPfPKlPlN2at6native12_GLOBAL__N_18offset_tEEE10hipError_tPvRmT1_PNSt15iterator_traitsISY_E10value_typeET2_T3_PNSZ_IS14_E10value_typeET4_jRbjT5_S1A_jjP12ihipStream_tbEUljE_EEESV_SW_SX_S14_S18_S1A_T6_T7_T9_mT8_S1C_bDpT10_ENKUlT_T0_E_clISt17integral_constantIbLb1EES1O_IbLb0EEEEDaS1K_S1L_EUlS1K_E_NS1_11comp_targetILNS1_3genE9ELNS1_11target_archE1100ELNS1_3gpuE3ELNS1_3repE0EEENS1_30default_config_static_selectorELNS0_4arch9wavefront6targetE0EEEvSY_
; %bb.0:
	.section	.rodata,"a",@progbits
	.p2align	6, 0x0
	.amdhsa_kernel _ZN7rocprim17ROCPRIM_400000_NS6detail17trampoline_kernelINS0_13select_configILj256ELj13ELNS0_17block_load_methodE3ELS4_3ELS4_3ELNS0_20block_scan_algorithmE0ELj4294967295EEENS1_25partition_config_selectorILNS1_17partition_subalgoE3EjNS0_10empty_typeEbEEZZNS1_14partition_implILS8_3ELb0ES6_jNS0_17counting_iteratorIjlEEPS9_SE_NS0_5tupleIJPjSE_EEENSF_IJSE_SE_EEES9_SG_JZNS1_25segmented_radix_sort_implINS0_14default_configELb0EPKfPfPKlPlN2at6native12_GLOBAL__N_18offset_tEEE10hipError_tPvRmT1_PNSt15iterator_traitsISY_E10value_typeET2_T3_PNSZ_IS14_E10value_typeET4_jRbjT5_S1A_jjP12ihipStream_tbEUljE_EEESV_SW_SX_S14_S18_S1A_T6_T7_T9_mT8_S1C_bDpT10_ENKUlT_T0_E_clISt17integral_constantIbLb1EES1O_IbLb0EEEEDaS1K_S1L_EUlS1K_E_NS1_11comp_targetILNS1_3genE9ELNS1_11target_archE1100ELNS1_3gpuE3ELNS1_3repE0EEENS1_30default_config_static_selectorELNS0_4arch9wavefront6targetE0EEEvSY_
		.amdhsa_group_segment_fixed_size 0
		.amdhsa_private_segment_fixed_size 0
		.amdhsa_kernarg_size 144
		.amdhsa_user_sgpr_count 2
		.amdhsa_user_sgpr_dispatch_ptr 0
		.amdhsa_user_sgpr_queue_ptr 0
		.amdhsa_user_sgpr_kernarg_segment_ptr 1
		.amdhsa_user_sgpr_dispatch_id 0
		.amdhsa_user_sgpr_kernarg_preload_length 0
		.amdhsa_user_sgpr_kernarg_preload_offset 0
		.amdhsa_user_sgpr_private_segment_size 0
		.amdhsa_wavefront_size32 1
		.amdhsa_uses_dynamic_stack 0
		.amdhsa_enable_private_segment 0
		.amdhsa_system_sgpr_workgroup_id_x 1
		.amdhsa_system_sgpr_workgroup_id_y 0
		.amdhsa_system_sgpr_workgroup_id_z 0
		.amdhsa_system_sgpr_workgroup_info 0
		.amdhsa_system_vgpr_workitem_id 0
		.amdhsa_next_free_vgpr 1
		.amdhsa_next_free_sgpr 1
		.amdhsa_named_barrier_count 0
		.amdhsa_reserve_vcc 0
		.amdhsa_float_round_mode_32 0
		.amdhsa_float_round_mode_16_64 0
		.amdhsa_float_denorm_mode_32 3
		.amdhsa_float_denorm_mode_16_64 3
		.amdhsa_fp16_overflow 0
		.amdhsa_memory_ordered 1
		.amdhsa_forward_progress 1
		.amdhsa_inst_pref_size 0
		.amdhsa_round_robin_scheduling 0
		.amdhsa_exception_fp_ieee_invalid_op 0
		.amdhsa_exception_fp_denorm_src 0
		.amdhsa_exception_fp_ieee_div_zero 0
		.amdhsa_exception_fp_ieee_overflow 0
		.amdhsa_exception_fp_ieee_underflow 0
		.amdhsa_exception_fp_ieee_inexact 0
		.amdhsa_exception_int_div_zero 0
	.end_amdhsa_kernel
	.section	.text._ZN7rocprim17ROCPRIM_400000_NS6detail17trampoline_kernelINS0_13select_configILj256ELj13ELNS0_17block_load_methodE3ELS4_3ELS4_3ELNS0_20block_scan_algorithmE0ELj4294967295EEENS1_25partition_config_selectorILNS1_17partition_subalgoE3EjNS0_10empty_typeEbEEZZNS1_14partition_implILS8_3ELb0ES6_jNS0_17counting_iteratorIjlEEPS9_SE_NS0_5tupleIJPjSE_EEENSF_IJSE_SE_EEES9_SG_JZNS1_25segmented_radix_sort_implINS0_14default_configELb0EPKfPfPKlPlN2at6native12_GLOBAL__N_18offset_tEEE10hipError_tPvRmT1_PNSt15iterator_traitsISY_E10value_typeET2_T3_PNSZ_IS14_E10value_typeET4_jRbjT5_S1A_jjP12ihipStream_tbEUljE_EEESV_SW_SX_S14_S18_S1A_T6_T7_T9_mT8_S1C_bDpT10_ENKUlT_T0_E_clISt17integral_constantIbLb1EES1O_IbLb0EEEEDaS1K_S1L_EUlS1K_E_NS1_11comp_targetILNS1_3genE9ELNS1_11target_archE1100ELNS1_3gpuE3ELNS1_3repE0EEENS1_30default_config_static_selectorELNS0_4arch9wavefront6targetE0EEEvSY_,"axG",@progbits,_ZN7rocprim17ROCPRIM_400000_NS6detail17trampoline_kernelINS0_13select_configILj256ELj13ELNS0_17block_load_methodE3ELS4_3ELS4_3ELNS0_20block_scan_algorithmE0ELj4294967295EEENS1_25partition_config_selectorILNS1_17partition_subalgoE3EjNS0_10empty_typeEbEEZZNS1_14partition_implILS8_3ELb0ES6_jNS0_17counting_iteratorIjlEEPS9_SE_NS0_5tupleIJPjSE_EEENSF_IJSE_SE_EEES9_SG_JZNS1_25segmented_radix_sort_implINS0_14default_configELb0EPKfPfPKlPlN2at6native12_GLOBAL__N_18offset_tEEE10hipError_tPvRmT1_PNSt15iterator_traitsISY_E10value_typeET2_T3_PNSZ_IS14_E10value_typeET4_jRbjT5_S1A_jjP12ihipStream_tbEUljE_EEESV_SW_SX_S14_S18_S1A_T6_T7_T9_mT8_S1C_bDpT10_ENKUlT_T0_E_clISt17integral_constantIbLb1EES1O_IbLb0EEEEDaS1K_S1L_EUlS1K_E_NS1_11comp_targetILNS1_3genE9ELNS1_11target_archE1100ELNS1_3gpuE3ELNS1_3repE0EEENS1_30default_config_static_selectorELNS0_4arch9wavefront6targetE0EEEvSY_,comdat
.Lfunc_end1411:
	.size	_ZN7rocprim17ROCPRIM_400000_NS6detail17trampoline_kernelINS0_13select_configILj256ELj13ELNS0_17block_load_methodE3ELS4_3ELS4_3ELNS0_20block_scan_algorithmE0ELj4294967295EEENS1_25partition_config_selectorILNS1_17partition_subalgoE3EjNS0_10empty_typeEbEEZZNS1_14partition_implILS8_3ELb0ES6_jNS0_17counting_iteratorIjlEEPS9_SE_NS0_5tupleIJPjSE_EEENSF_IJSE_SE_EEES9_SG_JZNS1_25segmented_radix_sort_implINS0_14default_configELb0EPKfPfPKlPlN2at6native12_GLOBAL__N_18offset_tEEE10hipError_tPvRmT1_PNSt15iterator_traitsISY_E10value_typeET2_T3_PNSZ_IS14_E10value_typeET4_jRbjT5_S1A_jjP12ihipStream_tbEUljE_EEESV_SW_SX_S14_S18_S1A_T6_T7_T9_mT8_S1C_bDpT10_ENKUlT_T0_E_clISt17integral_constantIbLb1EES1O_IbLb0EEEEDaS1K_S1L_EUlS1K_E_NS1_11comp_targetILNS1_3genE9ELNS1_11target_archE1100ELNS1_3gpuE3ELNS1_3repE0EEENS1_30default_config_static_selectorELNS0_4arch9wavefront6targetE0EEEvSY_, .Lfunc_end1411-_ZN7rocprim17ROCPRIM_400000_NS6detail17trampoline_kernelINS0_13select_configILj256ELj13ELNS0_17block_load_methodE3ELS4_3ELS4_3ELNS0_20block_scan_algorithmE0ELj4294967295EEENS1_25partition_config_selectorILNS1_17partition_subalgoE3EjNS0_10empty_typeEbEEZZNS1_14partition_implILS8_3ELb0ES6_jNS0_17counting_iteratorIjlEEPS9_SE_NS0_5tupleIJPjSE_EEENSF_IJSE_SE_EEES9_SG_JZNS1_25segmented_radix_sort_implINS0_14default_configELb0EPKfPfPKlPlN2at6native12_GLOBAL__N_18offset_tEEE10hipError_tPvRmT1_PNSt15iterator_traitsISY_E10value_typeET2_T3_PNSZ_IS14_E10value_typeET4_jRbjT5_S1A_jjP12ihipStream_tbEUljE_EEESV_SW_SX_S14_S18_S1A_T6_T7_T9_mT8_S1C_bDpT10_ENKUlT_T0_E_clISt17integral_constantIbLb1EES1O_IbLb0EEEEDaS1K_S1L_EUlS1K_E_NS1_11comp_targetILNS1_3genE9ELNS1_11target_archE1100ELNS1_3gpuE3ELNS1_3repE0EEENS1_30default_config_static_selectorELNS0_4arch9wavefront6targetE0EEEvSY_
                                        ; -- End function
	.set _ZN7rocprim17ROCPRIM_400000_NS6detail17trampoline_kernelINS0_13select_configILj256ELj13ELNS0_17block_load_methodE3ELS4_3ELS4_3ELNS0_20block_scan_algorithmE0ELj4294967295EEENS1_25partition_config_selectorILNS1_17partition_subalgoE3EjNS0_10empty_typeEbEEZZNS1_14partition_implILS8_3ELb0ES6_jNS0_17counting_iteratorIjlEEPS9_SE_NS0_5tupleIJPjSE_EEENSF_IJSE_SE_EEES9_SG_JZNS1_25segmented_radix_sort_implINS0_14default_configELb0EPKfPfPKlPlN2at6native12_GLOBAL__N_18offset_tEEE10hipError_tPvRmT1_PNSt15iterator_traitsISY_E10value_typeET2_T3_PNSZ_IS14_E10value_typeET4_jRbjT5_S1A_jjP12ihipStream_tbEUljE_EEESV_SW_SX_S14_S18_S1A_T6_T7_T9_mT8_S1C_bDpT10_ENKUlT_T0_E_clISt17integral_constantIbLb1EES1O_IbLb0EEEEDaS1K_S1L_EUlS1K_E_NS1_11comp_targetILNS1_3genE9ELNS1_11target_archE1100ELNS1_3gpuE3ELNS1_3repE0EEENS1_30default_config_static_selectorELNS0_4arch9wavefront6targetE0EEEvSY_.num_vgpr, 0
	.set _ZN7rocprim17ROCPRIM_400000_NS6detail17trampoline_kernelINS0_13select_configILj256ELj13ELNS0_17block_load_methodE3ELS4_3ELS4_3ELNS0_20block_scan_algorithmE0ELj4294967295EEENS1_25partition_config_selectorILNS1_17partition_subalgoE3EjNS0_10empty_typeEbEEZZNS1_14partition_implILS8_3ELb0ES6_jNS0_17counting_iteratorIjlEEPS9_SE_NS0_5tupleIJPjSE_EEENSF_IJSE_SE_EEES9_SG_JZNS1_25segmented_radix_sort_implINS0_14default_configELb0EPKfPfPKlPlN2at6native12_GLOBAL__N_18offset_tEEE10hipError_tPvRmT1_PNSt15iterator_traitsISY_E10value_typeET2_T3_PNSZ_IS14_E10value_typeET4_jRbjT5_S1A_jjP12ihipStream_tbEUljE_EEESV_SW_SX_S14_S18_S1A_T6_T7_T9_mT8_S1C_bDpT10_ENKUlT_T0_E_clISt17integral_constantIbLb1EES1O_IbLb0EEEEDaS1K_S1L_EUlS1K_E_NS1_11comp_targetILNS1_3genE9ELNS1_11target_archE1100ELNS1_3gpuE3ELNS1_3repE0EEENS1_30default_config_static_selectorELNS0_4arch9wavefront6targetE0EEEvSY_.num_agpr, 0
	.set _ZN7rocprim17ROCPRIM_400000_NS6detail17trampoline_kernelINS0_13select_configILj256ELj13ELNS0_17block_load_methodE3ELS4_3ELS4_3ELNS0_20block_scan_algorithmE0ELj4294967295EEENS1_25partition_config_selectorILNS1_17partition_subalgoE3EjNS0_10empty_typeEbEEZZNS1_14partition_implILS8_3ELb0ES6_jNS0_17counting_iteratorIjlEEPS9_SE_NS0_5tupleIJPjSE_EEENSF_IJSE_SE_EEES9_SG_JZNS1_25segmented_radix_sort_implINS0_14default_configELb0EPKfPfPKlPlN2at6native12_GLOBAL__N_18offset_tEEE10hipError_tPvRmT1_PNSt15iterator_traitsISY_E10value_typeET2_T3_PNSZ_IS14_E10value_typeET4_jRbjT5_S1A_jjP12ihipStream_tbEUljE_EEESV_SW_SX_S14_S18_S1A_T6_T7_T9_mT8_S1C_bDpT10_ENKUlT_T0_E_clISt17integral_constantIbLb1EES1O_IbLb0EEEEDaS1K_S1L_EUlS1K_E_NS1_11comp_targetILNS1_3genE9ELNS1_11target_archE1100ELNS1_3gpuE3ELNS1_3repE0EEENS1_30default_config_static_selectorELNS0_4arch9wavefront6targetE0EEEvSY_.numbered_sgpr, 0
	.set _ZN7rocprim17ROCPRIM_400000_NS6detail17trampoline_kernelINS0_13select_configILj256ELj13ELNS0_17block_load_methodE3ELS4_3ELS4_3ELNS0_20block_scan_algorithmE0ELj4294967295EEENS1_25partition_config_selectorILNS1_17partition_subalgoE3EjNS0_10empty_typeEbEEZZNS1_14partition_implILS8_3ELb0ES6_jNS0_17counting_iteratorIjlEEPS9_SE_NS0_5tupleIJPjSE_EEENSF_IJSE_SE_EEES9_SG_JZNS1_25segmented_radix_sort_implINS0_14default_configELb0EPKfPfPKlPlN2at6native12_GLOBAL__N_18offset_tEEE10hipError_tPvRmT1_PNSt15iterator_traitsISY_E10value_typeET2_T3_PNSZ_IS14_E10value_typeET4_jRbjT5_S1A_jjP12ihipStream_tbEUljE_EEESV_SW_SX_S14_S18_S1A_T6_T7_T9_mT8_S1C_bDpT10_ENKUlT_T0_E_clISt17integral_constantIbLb1EES1O_IbLb0EEEEDaS1K_S1L_EUlS1K_E_NS1_11comp_targetILNS1_3genE9ELNS1_11target_archE1100ELNS1_3gpuE3ELNS1_3repE0EEENS1_30default_config_static_selectorELNS0_4arch9wavefront6targetE0EEEvSY_.num_named_barrier, 0
	.set _ZN7rocprim17ROCPRIM_400000_NS6detail17trampoline_kernelINS0_13select_configILj256ELj13ELNS0_17block_load_methodE3ELS4_3ELS4_3ELNS0_20block_scan_algorithmE0ELj4294967295EEENS1_25partition_config_selectorILNS1_17partition_subalgoE3EjNS0_10empty_typeEbEEZZNS1_14partition_implILS8_3ELb0ES6_jNS0_17counting_iteratorIjlEEPS9_SE_NS0_5tupleIJPjSE_EEENSF_IJSE_SE_EEES9_SG_JZNS1_25segmented_radix_sort_implINS0_14default_configELb0EPKfPfPKlPlN2at6native12_GLOBAL__N_18offset_tEEE10hipError_tPvRmT1_PNSt15iterator_traitsISY_E10value_typeET2_T3_PNSZ_IS14_E10value_typeET4_jRbjT5_S1A_jjP12ihipStream_tbEUljE_EEESV_SW_SX_S14_S18_S1A_T6_T7_T9_mT8_S1C_bDpT10_ENKUlT_T0_E_clISt17integral_constantIbLb1EES1O_IbLb0EEEEDaS1K_S1L_EUlS1K_E_NS1_11comp_targetILNS1_3genE9ELNS1_11target_archE1100ELNS1_3gpuE3ELNS1_3repE0EEENS1_30default_config_static_selectorELNS0_4arch9wavefront6targetE0EEEvSY_.private_seg_size, 0
	.set _ZN7rocprim17ROCPRIM_400000_NS6detail17trampoline_kernelINS0_13select_configILj256ELj13ELNS0_17block_load_methodE3ELS4_3ELS4_3ELNS0_20block_scan_algorithmE0ELj4294967295EEENS1_25partition_config_selectorILNS1_17partition_subalgoE3EjNS0_10empty_typeEbEEZZNS1_14partition_implILS8_3ELb0ES6_jNS0_17counting_iteratorIjlEEPS9_SE_NS0_5tupleIJPjSE_EEENSF_IJSE_SE_EEES9_SG_JZNS1_25segmented_radix_sort_implINS0_14default_configELb0EPKfPfPKlPlN2at6native12_GLOBAL__N_18offset_tEEE10hipError_tPvRmT1_PNSt15iterator_traitsISY_E10value_typeET2_T3_PNSZ_IS14_E10value_typeET4_jRbjT5_S1A_jjP12ihipStream_tbEUljE_EEESV_SW_SX_S14_S18_S1A_T6_T7_T9_mT8_S1C_bDpT10_ENKUlT_T0_E_clISt17integral_constantIbLb1EES1O_IbLb0EEEEDaS1K_S1L_EUlS1K_E_NS1_11comp_targetILNS1_3genE9ELNS1_11target_archE1100ELNS1_3gpuE3ELNS1_3repE0EEENS1_30default_config_static_selectorELNS0_4arch9wavefront6targetE0EEEvSY_.uses_vcc, 0
	.set _ZN7rocprim17ROCPRIM_400000_NS6detail17trampoline_kernelINS0_13select_configILj256ELj13ELNS0_17block_load_methodE3ELS4_3ELS4_3ELNS0_20block_scan_algorithmE0ELj4294967295EEENS1_25partition_config_selectorILNS1_17partition_subalgoE3EjNS0_10empty_typeEbEEZZNS1_14partition_implILS8_3ELb0ES6_jNS0_17counting_iteratorIjlEEPS9_SE_NS0_5tupleIJPjSE_EEENSF_IJSE_SE_EEES9_SG_JZNS1_25segmented_radix_sort_implINS0_14default_configELb0EPKfPfPKlPlN2at6native12_GLOBAL__N_18offset_tEEE10hipError_tPvRmT1_PNSt15iterator_traitsISY_E10value_typeET2_T3_PNSZ_IS14_E10value_typeET4_jRbjT5_S1A_jjP12ihipStream_tbEUljE_EEESV_SW_SX_S14_S18_S1A_T6_T7_T9_mT8_S1C_bDpT10_ENKUlT_T0_E_clISt17integral_constantIbLb1EES1O_IbLb0EEEEDaS1K_S1L_EUlS1K_E_NS1_11comp_targetILNS1_3genE9ELNS1_11target_archE1100ELNS1_3gpuE3ELNS1_3repE0EEENS1_30default_config_static_selectorELNS0_4arch9wavefront6targetE0EEEvSY_.uses_flat_scratch, 0
	.set _ZN7rocprim17ROCPRIM_400000_NS6detail17trampoline_kernelINS0_13select_configILj256ELj13ELNS0_17block_load_methodE3ELS4_3ELS4_3ELNS0_20block_scan_algorithmE0ELj4294967295EEENS1_25partition_config_selectorILNS1_17partition_subalgoE3EjNS0_10empty_typeEbEEZZNS1_14partition_implILS8_3ELb0ES6_jNS0_17counting_iteratorIjlEEPS9_SE_NS0_5tupleIJPjSE_EEENSF_IJSE_SE_EEES9_SG_JZNS1_25segmented_radix_sort_implINS0_14default_configELb0EPKfPfPKlPlN2at6native12_GLOBAL__N_18offset_tEEE10hipError_tPvRmT1_PNSt15iterator_traitsISY_E10value_typeET2_T3_PNSZ_IS14_E10value_typeET4_jRbjT5_S1A_jjP12ihipStream_tbEUljE_EEESV_SW_SX_S14_S18_S1A_T6_T7_T9_mT8_S1C_bDpT10_ENKUlT_T0_E_clISt17integral_constantIbLb1EES1O_IbLb0EEEEDaS1K_S1L_EUlS1K_E_NS1_11comp_targetILNS1_3genE9ELNS1_11target_archE1100ELNS1_3gpuE3ELNS1_3repE0EEENS1_30default_config_static_selectorELNS0_4arch9wavefront6targetE0EEEvSY_.has_dyn_sized_stack, 0
	.set _ZN7rocprim17ROCPRIM_400000_NS6detail17trampoline_kernelINS0_13select_configILj256ELj13ELNS0_17block_load_methodE3ELS4_3ELS4_3ELNS0_20block_scan_algorithmE0ELj4294967295EEENS1_25partition_config_selectorILNS1_17partition_subalgoE3EjNS0_10empty_typeEbEEZZNS1_14partition_implILS8_3ELb0ES6_jNS0_17counting_iteratorIjlEEPS9_SE_NS0_5tupleIJPjSE_EEENSF_IJSE_SE_EEES9_SG_JZNS1_25segmented_radix_sort_implINS0_14default_configELb0EPKfPfPKlPlN2at6native12_GLOBAL__N_18offset_tEEE10hipError_tPvRmT1_PNSt15iterator_traitsISY_E10value_typeET2_T3_PNSZ_IS14_E10value_typeET4_jRbjT5_S1A_jjP12ihipStream_tbEUljE_EEESV_SW_SX_S14_S18_S1A_T6_T7_T9_mT8_S1C_bDpT10_ENKUlT_T0_E_clISt17integral_constantIbLb1EES1O_IbLb0EEEEDaS1K_S1L_EUlS1K_E_NS1_11comp_targetILNS1_3genE9ELNS1_11target_archE1100ELNS1_3gpuE3ELNS1_3repE0EEENS1_30default_config_static_selectorELNS0_4arch9wavefront6targetE0EEEvSY_.has_recursion, 0
	.set _ZN7rocprim17ROCPRIM_400000_NS6detail17trampoline_kernelINS0_13select_configILj256ELj13ELNS0_17block_load_methodE3ELS4_3ELS4_3ELNS0_20block_scan_algorithmE0ELj4294967295EEENS1_25partition_config_selectorILNS1_17partition_subalgoE3EjNS0_10empty_typeEbEEZZNS1_14partition_implILS8_3ELb0ES6_jNS0_17counting_iteratorIjlEEPS9_SE_NS0_5tupleIJPjSE_EEENSF_IJSE_SE_EEES9_SG_JZNS1_25segmented_radix_sort_implINS0_14default_configELb0EPKfPfPKlPlN2at6native12_GLOBAL__N_18offset_tEEE10hipError_tPvRmT1_PNSt15iterator_traitsISY_E10value_typeET2_T3_PNSZ_IS14_E10value_typeET4_jRbjT5_S1A_jjP12ihipStream_tbEUljE_EEESV_SW_SX_S14_S18_S1A_T6_T7_T9_mT8_S1C_bDpT10_ENKUlT_T0_E_clISt17integral_constantIbLb1EES1O_IbLb0EEEEDaS1K_S1L_EUlS1K_E_NS1_11comp_targetILNS1_3genE9ELNS1_11target_archE1100ELNS1_3gpuE3ELNS1_3repE0EEENS1_30default_config_static_selectorELNS0_4arch9wavefront6targetE0EEEvSY_.has_indirect_call, 0
	.section	.AMDGPU.csdata,"",@progbits
; Kernel info:
; codeLenInByte = 0
; TotalNumSgprs: 0
; NumVgprs: 0
; ScratchSize: 0
; MemoryBound: 0
; FloatMode: 240
; IeeeMode: 1
; LDSByteSize: 0 bytes/workgroup (compile time only)
; SGPRBlocks: 0
; VGPRBlocks: 0
; NumSGPRsForWavesPerEU: 1
; NumVGPRsForWavesPerEU: 1
; NamedBarCnt: 0
; Occupancy: 16
; WaveLimiterHint : 0
; COMPUTE_PGM_RSRC2:SCRATCH_EN: 0
; COMPUTE_PGM_RSRC2:USER_SGPR: 2
; COMPUTE_PGM_RSRC2:TRAP_HANDLER: 0
; COMPUTE_PGM_RSRC2:TGID_X_EN: 1
; COMPUTE_PGM_RSRC2:TGID_Y_EN: 0
; COMPUTE_PGM_RSRC2:TGID_Z_EN: 0
; COMPUTE_PGM_RSRC2:TIDIG_COMP_CNT: 0
	.section	.text._ZN7rocprim17ROCPRIM_400000_NS6detail17trampoline_kernelINS0_13select_configILj256ELj13ELNS0_17block_load_methodE3ELS4_3ELS4_3ELNS0_20block_scan_algorithmE0ELj4294967295EEENS1_25partition_config_selectorILNS1_17partition_subalgoE3EjNS0_10empty_typeEbEEZZNS1_14partition_implILS8_3ELb0ES6_jNS0_17counting_iteratorIjlEEPS9_SE_NS0_5tupleIJPjSE_EEENSF_IJSE_SE_EEES9_SG_JZNS1_25segmented_radix_sort_implINS0_14default_configELb0EPKfPfPKlPlN2at6native12_GLOBAL__N_18offset_tEEE10hipError_tPvRmT1_PNSt15iterator_traitsISY_E10value_typeET2_T3_PNSZ_IS14_E10value_typeET4_jRbjT5_S1A_jjP12ihipStream_tbEUljE_EEESV_SW_SX_S14_S18_S1A_T6_T7_T9_mT8_S1C_bDpT10_ENKUlT_T0_E_clISt17integral_constantIbLb1EES1O_IbLb0EEEEDaS1K_S1L_EUlS1K_E_NS1_11comp_targetILNS1_3genE8ELNS1_11target_archE1030ELNS1_3gpuE2ELNS1_3repE0EEENS1_30default_config_static_selectorELNS0_4arch9wavefront6targetE0EEEvSY_,"axG",@progbits,_ZN7rocprim17ROCPRIM_400000_NS6detail17trampoline_kernelINS0_13select_configILj256ELj13ELNS0_17block_load_methodE3ELS4_3ELS4_3ELNS0_20block_scan_algorithmE0ELj4294967295EEENS1_25partition_config_selectorILNS1_17partition_subalgoE3EjNS0_10empty_typeEbEEZZNS1_14partition_implILS8_3ELb0ES6_jNS0_17counting_iteratorIjlEEPS9_SE_NS0_5tupleIJPjSE_EEENSF_IJSE_SE_EEES9_SG_JZNS1_25segmented_radix_sort_implINS0_14default_configELb0EPKfPfPKlPlN2at6native12_GLOBAL__N_18offset_tEEE10hipError_tPvRmT1_PNSt15iterator_traitsISY_E10value_typeET2_T3_PNSZ_IS14_E10value_typeET4_jRbjT5_S1A_jjP12ihipStream_tbEUljE_EEESV_SW_SX_S14_S18_S1A_T6_T7_T9_mT8_S1C_bDpT10_ENKUlT_T0_E_clISt17integral_constantIbLb1EES1O_IbLb0EEEEDaS1K_S1L_EUlS1K_E_NS1_11comp_targetILNS1_3genE8ELNS1_11target_archE1030ELNS1_3gpuE2ELNS1_3repE0EEENS1_30default_config_static_selectorELNS0_4arch9wavefront6targetE0EEEvSY_,comdat
	.globl	_ZN7rocprim17ROCPRIM_400000_NS6detail17trampoline_kernelINS0_13select_configILj256ELj13ELNS0_17block_load_methodE3ELS4_3ELS4_3ELNS0_20block_scan_algorithmE0ELj4294967295EEENS1_25partition_config_selectorILNS1_17partition_subalgoE3EjNS0_10empty_typeEbEEZZNS1_14partition_implILS8_3ELb0ES6_jNS0_17counting_iteratorIjlEEPS9_SE_NS0_5tupleIJPjSE_EEENSF_IJSE_SE_EEES9_SG_JZNS1_25segmented_radix_sort_implINS0_14default_configELb0EPKfPfPKlPlN2at6native12_GLOBAL__N_18offset_tEEE10hipError_tPvRmT1_PNSt15iterator_traitsISY_E10value_typeET2_T3_PNSZ_IS14_E10value_typeET4_jRbjT5_S1A_jjP12ihipStream_tbEUljE_EEESV_SW_SX_S14_S18_S1A_T6_T7_T9_mT8_S1C_bDpT10_ENKUlT_T0_E_clISt17integral_constantIbLb1EES1O_IbLb0EEEEDaS1K_S1L_EUlS1K_E_NS1_11comp_targetILNS1_3genE8ELNS1_11target_archE1030ELNS1_3gpuE2ELNS1_3repE0EEENS1_30default_config_static_selectorELNS0_4arch9wavefront6targetE0EEEvSY_ ; -- Begin function _ZN7rocprim17ROCPRIM_400000_NS6detail17trampoline_kernelINS0_13select_configILj256ELj13ELNS0_17block_load_methodE3ELS4_3ELS4_3ELNS0_20block_scan_algorithmE0ELj4294967295EEENS1_25partition_config_selectorILNS1_17partition_subalgoE3EjNS0_10empty_typeEbEEZZNS1_14partition_implILS8_3ELb0ES6_jNS0_17counting_iteratorIjlEEPS9_SE_NS0_5tupleIJPjSE_EEENSF_IJSE_SE_EEES9_SG_JZNS1_25segmented_radix_sort_implINS0_14default_configELb0EPKfPfPKlPlN2at6native12_GLOBAL__N_18offset_tEEE10hipError_tPvRmT1_PNSt15iterator_traitsISY_E10value_typeET2_T3_PNSZ_IS14_E10value_typeET4_jRbjT5_S1A_jjP12ihipStream_tbEUljE_EEESV_SW_SX_S14_S18_S1A_T6_T7_T9_mT8_S1C_bDpT10_ENKUlT_T0_E_clISt17integral_constantIbLb1EES1O_IbLb0EEEEDaS1K_S1L_EUlS1K_E_NS1_11comp_targetILNS1_3genE8ELNS1_11target_archE1030ELNS1_3gpuE2ELNS1_3repE0EEENS1_30default_config_static_selectorELNS0_4arch9wavefront6targetE0EEEvSY_
	.p2align	8
	.type	_ZN7rocprim17ROCPRIM_400000_NS6detail17trampoline_kernelINS0_13select_configILj256ELj13ELNS0_17block_load_methodE3ELS4_3ELS4_3ELNS0_20block_scan_algorithmE0ELj4294967295EEENS1_25partition_config_selectorILNS1_17partition_subalgoE3EjNS0_10empty_typeEbEEZZNS1_14partition_implILS8_3ELb0ES6_jNS0_17counting_iteratorIjlEEPS9_SE_NS0_5tupleIJPjSE_EEENSF_IJSE_SE_EEES9_SG_JZNS1_25segmented_radix_sort_implINS0_14default_configELb0EPKfPfPKlPlN2at6native12_GLOBAL__N_18offset_tEEE10hipError_tPvRmT1_PNSt15iterator_traitsISY_E10value_typeET2_T3_PNSZ_IS14_E10value_typeET4_jRbjT5_S1A_jjP12ihipStream_tbEUljE_EEESV_SW_SX_S14_S18_S1A_T6_T7_T9_mT8_S1C_bDpT10_ENKUlT_T0_E_clISt17integral_constantIbLb1EES1O_IbLb0EEEEDaS1K_S1L_EUlS1K_E_NS1_11comp_targetILNS1_3genE8ELNS1_11target_archE1030ELNS1_3gpuE2ELNS1_3repE0EEENS1_30default_config_static_selectorELNS0_4arch9wavefront6targetE0EEEvSY_,@function
_ZN7rocprim17ROCPRIM_400000_NS6detail17trampoline_kernelINS0_13select_configILj256ELj13ELNS0_17block_load_methodE3ELS4_3ELS4_3ELNS0_20block_scan_algorithmE0ELj4294967295EEENS1_25partition_config_selectorILNS1_17partition_subalgoE3EjNS0_10empty_typeEbEEZZNS1_14partition_implILS8_3ELb0ES6_jNS0_17counting_iteratorIjlEEPS9_SE_NS0_5tupleIJPjSE_EEENSF_IJSE_SE_EEES9_SG_JZNS1_25segmented_radix_sort_implINS0_14default_configELb0EPKfPfPKlPlN2at6native12_GLOBAL__N_18offset_tEEE10hipError_tPvRmT1_PNSt15iterator_traitsISY_E10value_typeET2_T3_PNSZ_IS14_E10value_typeET4_jRbjT5_S1A_jjP12ihipStream_tbEUljE_EEESV_SW_SX_S14_S18_S1A_T6_T7_T9_mT8_S1C_bDpT10_ENKUlT_T0_E_clISt17integral_constantIbLb1EES1O_IbLb0EEEEDaS1K_S1L_EUlS1K_E_NS1_11comp_targetILNS1_3genE8ELNS1_11target_archE1030ELNS1_3gpuE2ELNS1_3repE0EEENS1_30default_config_static_selectorELNS0_4arch9wavefront6targetE0EEEvSY_: ; @_ZN7rocprim17ROCPRIM_400000_NS6detail17trampoline_kernelINS0_13select_configILj256ELj13ELNS0_17block_load_methodE3ELS4_3ELS4_3ELNS0_20block_scan_algorithmE0ELj4294967295EEENS1_25partition_config_selectorILNS1_17partition_subalgoE3EjNS0_10empty_typeEbEEZZNS1_14partition_implILS8_3ELb0ES6_jNS0_17counting_iteratorIjlEEPS9_SE_NS0_5tupleIJPjSE_EEENSF_IJSE_SE_EEES9_SG_JZNS1_25segmented_radix_sort_implINS0_14default_configELb0EPKfPfPKlPlN2at6native12_GLOBAL__N_18offset_tEEE10hipError_tPvRmT1_PNSt15iterator_traitsISY_E10value_typeET2_T3_PNSZ_IS14_E10value_typeET4_jRbjT5_S1A_jjP12ihipStream_tbEUljE_EEESV_SW_SX_S14_S18_S1A_T6_T7_T9_mT8_S1C_bDpT10_ENKUlT_T0_E_clISt17integral_constantIbLb1EES1O_IbLb0EEEEDaS1K_S1L_EUlS1K_E_NS1_11comp_targetILNS1_3genE8ELNS1_11target_archE1030ELNS1_3gpuE2ELNS1_3repE0EEENS1_30default_config_static_selectorELNS0_4arch9wavefront6targetE0EEEvSY_
; %bb.0:
	.section	.rodata,"a",@progbits
	.p2align	6, 0x0
	.amdhsa_kernel _ZN7rocprim17ROCPRIM_400000_NS6detail17trampoline_kernelINS0_13select_configILj256ELj13ELNS0_17block_load_methodE3ELS4_3ELS4_3ELNS0_20block_scan_algorithmE0ELj4294967295EEENS1_25partition_config_selectorILNS1_17partition_subalgoE3EjNS0_10empty_typeEbEEZZNS1_14partition_implILS8_3ELb0ES6_jNS0_17counting_iteratorIjlEEPS9_SE_NS0_5tupleIJPjSE_EEENSF_IJSE_SE_EEES9_SG_JZNS1_25segmented_radix_sort_implINS0_14default_configELb0EPKfPfPKlPlN2at6native12_GLOBAL__N_18offset_tEEE10hipError_tPvRmT1_PNSt15iterator_traitsISY_E10value_typeET2_T3_PNSZ_IS14_E10value_typeET4_jRbjT5_S1A_jjP12ihipStream_tbEUljE_EEESV_SW_SX_S14_S18_S1A_T6_T7_T9_mT8_S1C_bDpT10_ENKUlT_T0_E_clISt17integral_constantIbLb1EES1O_IbLb0EEEEDaS1K_S1L_EUlS1K_E_NS1_11comp_targetILNS1_3genE8ELNS1_11target_archE1030ELNS1_3gpuE2ELNS1_3repE0EEENS1_30default_config_static_selectorELNS0_4arch9wavefront6targetE0EEEvSY_
		.amdhsa_group_segment_fixed_size 0
		.amdhsa_private_segment_fixed_size 0
		.amdhsa_kernarg_size 144
		.amdhsa_user_sgpr_count 2
		.amdhsa_user_sgpr_dispatch_ptr 0
		.amdhsa_user_sgpr_queue_ptr 0
		.amdhsa_user_sgpr_kernarg_segment_ptr 1
		.amdhsa_user_sgpr_dispatch_id 0
		.amdhsa_user_sgpr_kernarg_preload_length 0
		.amdhsa_user_sgpr_kernarg_preload_offset 0
		.amdhsa_user_sgpr_private_segment_size 0
		.amdhsa_wavefront_size32 1
		.amdhsa_uses_dynamic_stack 0
		.amdhsa_enable_private_segment 0
		.amdhsa_system_sgpr_workgroup_id_x 1
		.amdhsa_system_sgpr_workgroup_id_y 0
		.amdhsa_system_sgpr_workgroup_id_z 0
		.amdhsa_system_sgpr_workgroup_info 0
		.amdhsa_system_vgpr_workitem_id 0
		.amdhsa_next_free_vgpr 1
		.amdhsa_next_free_sgpr 1
		.amdhsa_named_barrier_count 0
		.amdhsa_reserve_vcc 0
		.amdhsa_float_round_mode_32 0
		.amdhsa_float_round_mode_16_64 0
		.amdhsa_float_denorm_mode_32 3
		.amdhsa_float_denorm_mode_16_64 3
		.amdhsa_fp16_overflow 0
		.amdhsa_memory_ordered 1
		.amdhsa_forward_progress 1
		.amdhsa_inst_pref_size 0
		.amdhsa_round_robin_scheduling 0
		.amdhsa_exception_fp_ieee_invalid_op 0
		.amdhsa_exception_fp_denorm_src 0
		.amdhsa_exception_fp_ieee_div_zero 0
		.amdhsa_exception_fp_ieee_overflow 0
		.amdhsa_exception_fp_ieee_underflow 0
		.amdhsa_exception_fp_ieee_inexact 0
		.amdhsa_exception_int_div_zero 0
	.end_amdhsa_kernel
	.section	.text._ZN7rocprim17ROCPRIM_400000_NS6detail17trampoline_kernelINS0_13select_configILj256ELj13ELNS0_17block_load_methodE3ELS4_3ELS4_3ELNS0_20block_scan_algorithmE0ELj4294967295EEENS1_25partition_config_selectorILNS1_17partition_subalgoE3EjNS0_10empty_typeEbEEZZNS1_14partition_implILS8_3ELb0ES6_jNS0_17counting_iteratorIjlEEPS9_SE_NS0_5tupleIJPjSE_EEENSF_IJSE_SE_EEES9_SG_JZNS1_25segmented_radix_sort_implINS0_14default_configELb0EPKfPfPKlPlN2at6native12_GLOBAL__N_18offset_tEEE10hipError_tPvRmT1_PNSt15iterator_traitsISY_E10value_typeET2_T3_PNSZ_IS14_E10value_typeET4_jRbjT5_S1A_jjP12ihipStream_tbEUljE_EEESV_SW_SX_S14_S18_S1A_T6_T7_T9_mT8_S1C_bDpT10_ENKUlT_T0_E_clISt17integral_constantIbLb1EES1O_IbLb0EEEEDaS1K_S1L_EUlS1K_E_NS1_11comp_targetILNS1_3genE8ELNS1_11target_archE1030ELNS1_3gpuE2ELNS1_3repE0EEENS1_30default_config_static_selectorELNS0_4arch9wavefront6targetE0EEEvSY_,"axG",@progbits,_ZN7rocprim17ROCPRIM_400000_NS6detail17trampoline_kernelINS0_13select_configILj256ELj13ELNS0_17block_load_methodE3ELS4_3ELS4_3ELNS0_20block_scan_algorithmE0ELj4294967295EEENS1_25partition_config_selectorILNS1_17partition_subalgoE3EjNS0_10empty_typeEbEEZZNS1_14partition_implILS8_3ELb0ES6_jNS0_17counting_iteratorIjlEEPS9_SE_NS0_5tupleIJPjSE_EEENSF_IJSE_SE_EEES9_SG_JZNS1_25segmented_radix_sort_implINS0_14default_configELb0EPKfPfPKlPlN2at6native12_GLOBAL__N_18offset_tEEE10hipError_tPvRmT1_PNSt15iterator_traitsISY_E10value_typeET2_T3_PNSZ_IS14_E10value_typeET4_jRbjT5_S1A_jjP12ihipStream_tbEUljE_EEESV_SW_SX_S14_S18_S1A_T6_T7_T9_mT8_S1C_bDpT10_ENKUlT_T0_E_clISt17integral_constantIbLb1EES1O_IbLb0EEEEDaS1K_S1L_EUlS1K_E_NS1_11comp_targetILNS1_3genE8ELNS1_11target_archE1030ELNS1_3gpuE2ELNS1_3repE0EEENS1_30default_config_static_selectorELNS0_4arch9wavefront6targetE0EEEvSY_,comdat
.Lfunc_end1412:
	.size	_ZN7rocprim17ROCPRIM_400000_NS6detail17trampoline_kernelINS0_13select_configILj256ELj13ELNS0_17block_load_methodE3ELS4_3ELS4_3ELNS0_20block_scan_algorithmE0ELj4294967295EEENS1_25partition_config_selectorILNS1_17partition_subalgoE3EjNS0_10empty_typeEbEEZZNS1_14partition_implILS8_3ELb0ES6_jNS0_17counting_iteratorIjlEEPS9_SE_NS0_5tupleIJPjSE_EEENSF_IJSE_SE_EEES9_SG_JZNS1_25segmented_radix_sort_implINS0_14default_configELb0EPKfPfPKlPlN2at6native12_GLOBAL__N_18offset_tEEE10hipError_tPvRmT1_PNSt15iterator_traitsISY_E10value_typeET2_T3_PNSZ_IS14_E10value_typeET4_jRbjT5_S1A_jjP12ihipStream_tbEUljE_EEESV_SW_SX_S14_S18_S1A_T6_T7_T9_mT8_S1C_bDpT10_ENKUlT_T0_E_clISt17integral_constantIbLb1EES1O_IbLb0EEEEDaS1K_S1L_EUlS1K_E_NS1_11comp_targetILNS1_3genE8ELNS1_11target_archE1030ELNS1_3gpuE2ELNS1_3repE0EEENS1_30default_config_static_selectorELNS0_4arch9wavefront6targetE0EEEvSY_, .Lfunc_end1412-_ZN7rocprim17ROCPRIM_400000_NS6detail17trampoline_kernelINS0_13select_configILj256ELj13ELNS0_17block_load_methodE3ELS4_3ELS4_3ELNS0_20block_scan_algorithmE0ELj4294967295EEENS1_25partition_config_selectorILNS1_17partition_subalgoE3EjNS0_10empty_typeEbEEZZNS1_14partition_implILS8_3ELb0ES6_jNS0_17counting_iteratorIjlEEPS9_SE_NS0_5tupleIJPjSE_EEENSF_IJSE_SE_EEES9_SG_JZNS1_25segmented_radix_sort_implINS0_14default_configELb0EPKfPfPKlPlN2at6native12_GLOBAL__N_18offset_tEEE10hipError_tPvRmT1_PNSt15iterator_traitsISY_E10value_typeET2_T3_PNSZ_IS14_E10value_typeET4_jRbjT5_S1A_jjP12ihipStream_tbEUljE_EEESV_SW_SX_S14_S18_S1A_T6_T7_T9_mT8_S1C_bDpT10_ENKUlT_T0_E_clISt17integral_constantIbLb1EES1O_IbLb0EEEEDaS1K_S1L_EUlS1K_E_NS1_11comp_targetILNS1_3genE8ELNS1_11target_archE1030ELNS1_3gpuE2ELNS1_3repE0EEENS1_30default_config_static_selectorELNS0_4arch9wavefront6targetE0EEEvSY_
                                        ; -- End function
	.set _ZN7rocprim17ROCPRIM_400000_NS6detail17trampoline_kernelINS0_13select_configILj256ELj13ELNS0_17block_load_methodE3ELS4_3ELS4_3ELNS0_20block_scan_algorithmE0ELj4294967295EEENS1_25partition_config_selectorILNS1_17partition_subalgoE3EjNS0_10empty_typeEbEEZZNS1_14partition_implILS8_3ELb0ES6_jNS0_17counting_iteratorIjlEEPS9_SE_NS0_5tupleIJPjSE_EEENSF_IJSE_SE_EEES9_SG_JZNS1_25segmented_radix_sort_implINS0_14default_configELb0EPKfPfPKlPlN2at6native12_GLOBAL__N_18offset_tEEE10hipError_tPvRmT1_PNSt15iterator_traitsISY_E10value_typeET2_T3_PNSZ_IS14_E10value_typeET4_jRbjT5_S1A_jjP12ihipStream_tbEUljE_EEESV_SW_SX_S14_S18_S1A_T6_T7_T9_mT8_S1C_bDpT10_ENKUlT_T0_E_clISt17integral_constantIbLb1EES1O_IbLb0EEEEDaS1K_S1L_EUlS1K_E_NS1_11comp_targetILNS1_3genE8ELNS1_11target_archE1030ELNS1_3gpuE2ELNS1_3repE0EEENS1_30default_config_static_selectorELNS0_4arch9wavefront6targetE0EEEvSY_.num_vgpr, 0
	.set _ZN7rocprim17ROCPRIM_400000_NS6detail17trampoline_kernelINS0_13select_configILj256ELj13ELNS0_17block_load_methodE3ELS4_3ELS4_3ELNS0_20block_scan_algorithmE0ELj4294967295EEENS1_25partition_config_selectorILNS1_17partition_subalgoE3EjNS0_10empty_typeEbEEZZNS1_14partition_implILS8_3ELb0ES6_jNS0_17counting_iteratorIjlEEPS9_SE_NS0_5tupleIJPjSE_EEENSF_IJSE_SE_EEES9_SG_JZNS1_25segmented_radix_sort_implINS0_14default_configELb0EPKfPfPKlPlN2at6native12_GLOBAL__N_18offset_tEEE10hipError_tPvRmT1_PNSt15iterator_traitsISY_E10value_typeET2_T3_PNSZ_IS14_E10value_typeET4_jRbjT5_S1A_jjP12ihipStream_tbEUljE_EEESV_SW_SX_S14_S18_S1A_T6_T7_T9_mT8_S1C_bDpT10_ENKUlT_T0_E_clISt17integral_constantIbLb1EES1O_IbLb0EEEEDaS1K_S1L_EUlS1K_E_NS1_11comp_targetILNS1_3genE8ELNS1_11target_archE1030ELNS1_3gpuE2ELNS1_3repE0EEENS1_30default_config_static_selectorELNS0_4arch9wavefront6targetE0EEEvSY_.num_agpr, 0
	.set _ZN7rocprim17ROCPRIM_400000_NS6detail17trampoline_kernelINS0_13select_configILj256ELj13ELNS0_17block_load_methodE3ELS4_3ELS4_3ELNS0_20block_scan_algorithmE0ELj4294967295EEENS1_25partition_config_selectorILNS1_17partition_subalgoE3EjNS0_10empty_typeEbEEZZNS1_14partition_implILS8_3ELb0ES6_jNS0_17counting_iteratorIjlEEPS9_SE_NS0_5tupleIJPjSE_EEENSF_IJSE_SE_EEES9_SG_JZNS1_25segmented_radix_sort_implINS0_14default_configELb0EPKfPfPKlPlN2at6native12_GLOBAL__N_18offset_tEEE10hipError_tPvRmT1_PNSt15iterator_traitsISY_E10value_typeET2_T3_PNSZ_IS14_E10value_typeET4_jRbjT5_S1A_jjP12ihipStream_tbEUljE_EEESV_SW_SX_S14_S18_S1A_T6_T7_T9_mT8_S1C_bDpT10_ENKUlT_T0_E_clISt17integral_constantIbLb1EES1O_IbLb0EEEEDaS1K_S1L_EUlS1K_E_NS1_11comp_targetILNS1_3genE8ELNS1_11target_archE1030ELNS1_3gpuE2ELNS1_3repE0EEENS1_30default_config_static_selectorELNS0_4arch9wavefront6targetE0EEEvSY_.numbered_sgpr, 0
	.set _ZN7rocprim17ROCPRIM_400000_NS6detail17trampoline_kernelINS0_13select_configILj256ELj13ELNS0_17block_load_methodE3ELS4_3ELS4_3ELNS0_20block_scan_algorithmE0ELj4294967295EEENS1_25partition_config_selectorILNS1_17partition_subalgoE3EjNS0_10empty_typeEbEEZZNS1_14partition_implILS8_3ELb0ES6_jNS0_17counting_iteratorIjlEEPS9_SE_NS0_5tupleIJPjSE_EEENSF_IJSE_SE_EEES9_SG_JZNS1_25segmented_radix_sort_implINS0_14default_configELb0EPKfPfPKlPlN2at6native12_GLOBAL__N_18offset_tEEE10hipError_tPvRmT1_PNSt15iterator_traitsISY_E10value_typeET2_T3_PNSZ_IS14_E10value_typeET4_jRbjT5_S1A_jjP12ihipStream_tbEUljE_EEESV_SW_SX_S14_S18_S1A_T6_T7_T9_mT8_S1C_bDpT10_ENKUlT_T0_E_clISt17integral_constantIbLb1EES1O_IbLb0EEEEDaS1K_S1L_EUlS1K_E_NS1_11comp_targetILNS1_3genE8ELNS1_11target_archE1030ELNS1_3gpuE2ELNS1_3repE0EEENS1_30default_config_static_selectorELNS0_4arch9wavefront6targetE0EEEvSY_.num_named_barrier, 0
	.set _ZN7rocprim17ROCPRIM_400000_NS6detail17trampoline_kernelINS0_13select_configILj256ELj13ELNS0_17block_load_methodE3ELS4_3ELS4_3ELNS0_20block_scan_algorithmE0ELj4294967295EEENS1_25partition_config_selectorILNS1_17partition_subalgoE3EjNS0_10empty_typeEbEEZZNS1_14partition_implILS8_3ELb0ES6_jNS0_17counting_iteratorIjlEEPS9_SE_NS0_5tupleIJPjSE_EEENSF_IJSE_SE_EEES9_SG_JZNS1_25segmented_radix_sort_implINS0_14default_configELb0EPKfPfPKlPlN2at6native12_GLOBAL__N_18offset_tEEE10hipError_tPvRmT1_PNSt15iterator_traitsISY_E10value_typeET2_T3_PNSZ_IS14_E10value_typeET4_jRbjT5_S1A_jjP12ihipStream_tbEUljE_EEESV_SW_SX_S14_S18_S1A_T6_T7_T9_mT8_S1C_bDpT10_ENKUlT_T0_E_clISt17integral_constantIbLb1EES1O_IbLb0EEEEDaS1K_S1L_EUlS1K_E_NS1_11comp_targetILNS1_3genE8ELNS1_11target_archE1030ELNS1_3gpuE2ELNS1_3repE0EEENS1_30default_config_static_selectorELNS0_4arch9wavefront6targetE0EEEvSY_.private_seg_size, 0
	.set _ZN7rocprim17ROCPRIM_400000_NS6detail17trampoline_kernelINS0_13select_configILj256ELj13ELNS0_17block_load_methodE3ELS4_3ELS4_3ELNS0_20block_scan_algorithmE0ELj4294967295EEENS1_25partition_config_selectorILNS1_17partition_subalgoE3EjNS0_10empty_typeEbEEZZNS1_14partition_implILS8_3ELb0ES6_jNS0_17counting_iteratorIjlEEPS9_SE_NS0_5tupleIJPjSE_EEENSF_IJSE_SE_EEES9_SG_JZNS1_25segmented_radix_sort_implINS0_14default_configELb0EPKfPfPKlPlN2at6native12_GLOBAL__N_18offset_tEEE10hipError_tPvRmT1_PNSt15iterator_traitsISY_E10value_typeET2_T3_PNSZ_IS14_E10value_typeET4_jRbjT5_S1A_jjP12ihipStream_tbEUljE_EEESV_SW_SX_S14_S18_S1A_T6_T7_T9_mT8_S1C_bDpT10_ENKUlT_T0_E_clISt17integral_constantIbLb1EES1O_IbLb0EEEEDaS1K_S1L_EUlS1K_E_NS1_11comp_targetILNS1_3genE8ELNS1_11target_archE1030ELNS1_3gpuE2ELNS1_3repE0EEENS1_30default_config_static_selectorELNS0_4arch9wavefront6targetE0EEEvSY_.uses_vcc, 0
	.set _ZN7rocprim17ROCPRIM_400000_NS6detail17trampoline_kernelINS0_13select_configILj256ELj13ELNS0_17block_load_methodE3ELS4_3ELS4_3ELNS0_20block_scan_algorithmE0ELj4294967295EEENS1_25partition_config_selectorILNS1_17partition_subalgoE3EjNS0_10empty_typeEbEEZZNS1_14partition_implILS8_3ELb0ES6_jNS0_17counting_iteratorIjlEEPS9_SE_NS0_5tupleIJPjSE_EEENSF_IJSE_SE_EEES9_SG_JZNS1_25segmented_radix_sort_implINS0_14default_configELb0EPKfPfPKlPlN2at6native12_GLOBAL__N_18offset_tEEE10hipError_tPvRmT1_PNSt15iterator_traitsISY_E10value_typeET2_T3_PNSZ_IS14_E10value_typeET4_jRbjT5_S1A_jjP12ihipStream_tbEUljE_EEESV_SW_SX_S14_S18_S1A_T6_T7_T9_mT8_S1C_bDpT10_ENKUlT_T0_E_clISt17integral_constantIbLb1EES1O_IbLb0EEEEDaS1K_S1L_EUlS1K_E_NS1_11comp_targetILNS1_3genE8ELNS1_11target_archE1030ELNS1_3gpuE2ELNS1_3repE0EEENS1_30default_config_static_selectorELNS0_4arch9wavefront6targetE0EEEvSY_.uses_flat_scratch, 0
	.set _ZN7rocprim17ROCPRIM_400000_NS6detail17trampoline_kernelINS0_13select_configILj256ELj13ELNS0_17block_load_methodE3ELS4_3ELS4_3ELNS0_20block_scan_algorithmE0ELj4294967295EEENS1_25partition_config_selectorILNS1_17partition_subalgoE3EjNS0_10empty_typeEbEEZZNS1_14partition_implILS8_3ELb0ES6_jNS0_17counting_iteratorIjlEEPS9_SE_NS0_5tupleIJPjSE_EEENSF_IJSE_SE_EEES9_SG_JZNS1_25segmented_radix_sort_implINS0_14default_configELb0EPKfPfPKlPlN2at6native12_GLOBAL__N_18offset_tEEE10hipError_tPvRmT1_PNSt15iterator_traitsISY_E10value_typeET2_T3_PNSZ_IS14_E10value_typeET4_jRbjT5_S1A_jjP12ihipStream_tbEUljE_EEESV_SW_SX_S14_S18_S1A_T6_T7_T9_mT8_S1C_bDpT10_ENKUlT_T0_E_clISt17integral_constantIbLb1EES1O_IbLb0EEEEDaS1K_S1L_EUlS1K_E_NS1_11comp_targetILNS1_3genE8ELNS1_11target_archE1030ELNS1_3gpuE2ELNS1_3repE0EEENS1_30default_config_static_selectorELNS0_4arch9wavefront6targetE0EEEvSY_.has_dyn_sized_stack, 0
	.set _ZN7rocprim17ROCPRIM_400000_NS6detail17trampoline_kernelINS0_13select_configILj256ELj13ELNS0_17block_load_methodE3ELS4_3ELS4_3ELNS0_20block_scan_algorithmE0ELj4294967295EEENS1_25partition_config_selectorILNS1_17partition_subalgoE3EjNS0_10empty_typeEbEEZZNS1_14partition_implILS8_3ELb0ES6_jNS0_17counting_iteratorIjlEEPS9_SE_NS0_5tupleIJPjSE_EEENSF_IJSE_SE_EEES9_SG_JZNS1_25segmented_radix_sort_implINS0_14default_configELb0EPKfPfPKlPlN2at6native12_GLOBAL__N_18offset_tEEE10hipError_tPvRmT1_PNSt15iterator_traitsISY_E10value_typeET2_T3_PNSZ_IS14_E10value_typeET4_jRbjT5_S1A_jjP12ihipStream_tbEUljE_EEESV_SW_SX_S14_S18_S1A_T6_T7_T9_mT8_S1C_bDpT10_ENKUlT_T0_E_clISt17integral_constantIbLb1EES1O_IbLb0EEEEDaS1K_S1L_EUlS1K_E_NS1_11comp_targetILNS1_3genE8ELNS1_11target_archE1030ELNS1_3gpuE2ELNS1_3repE0EEENS1_30default_config_static_selectorELNS0_4arch9wavefront6targetE0EEEvSY_.has_recursion, 0
	.set _ZN7rocprim17ROCPRIM_400000_NS6detail17trampoline_kernelINS0_13select_configILj256ELj13ELNS0_17block_load_methodE3ELS4_3ELS4_3ELNS0_20block_scan_algorithmE0ELj4294967295EEENS1_25partition_config_selectorILNS1_17partition_subalgoE3EjNS0_10empty_typeEbEEZZNS1_14partition_implILS8_3ELb0ES6_jNS0_17counting_iteratorIjlEEPS9_SE_NS0_5tupleIJPjSE_EEENSF_IJSE_SE_EEES9_SG_JZNS1_25segmented_radix_sort_implINS0_14default_configELb0EPKfPfPKlPlN2at6native12_GLOBAL__N_18offset_tEEE10hipError_tPvRmT1_PNSt15iterator_traitsISY_E10value_typeET2_T3_PNSZ_IS14_E10value_typeET4_jRbjT5_S1A_jjP12ihipStream_tbEUljE_EEESV_SW_SX_S14_S18_S1A_T6_T7_T9_mT8_S1C_bDpT10_ENKUlT_T0_E_clISt17integral_constantIbLb1EES1O_IbLb0EEEEDaS1K_S1L_EUlS1K_E_NS1_11comp_targetILNS1_3genE8ELNS1_11target_archE1030ELNS1_3gpuE2ELNS1_3repE0EEENS1_30default_config_static_selectorELNS0_4arch9wavefront6targetE0EEEvSY_.has_indirect_call, 0
	.section	.AMDGPU.csdata,"",@progbits
; Kernel info:
; codeLenInByte = 0
; TotalNumSgprs: 0
; NumVgprs: 0
; ScratchSize: 0
; MemoryBound: 0
; FloatMode: 240
; IeeeMode: 1
; LDSByteSize: 0 bytes/workgroup (compile time only)
; SGPRBlocks: 0
; VGPRBlocks: 0
; NumSGPRsForWavesPerEU: 1
; NumVGPRsForWavesPerEU: 1
; NamedBarCnt: 0
; Occupancy: 16
; WaveLimiterHint : 0
; COMPUTE_PGM_RSRC2:SCRATCH_EN: 0
; COMPUTE_PGM_RSRC2:USER_SGPR: 2
; COMPUTE_PGM_RSRC2:TRAP_HANDLER: 0
; COMPUTE_PGM_RSRC2:TGID_X_EN: 1
; COMPUTE_PGM_RSRC2:TGID_Y_EN: 0
; COMPUTE_PGM_RSRC2:TGID_Z_EN: 0
; COMPUTE_PGM_RSRC2:TIDIG_COMP_CNT: 0
	.section	.text._ZN7rocprim17ROCPRIM_400000_NS6detail17trampoline_kernelINS0_13select_configILj256ELj13ELNS0_17block_load_methodE3ELS4_3ELS4_3ELNS0_20block_scan_algorithmE0ELj4294967295EEENS1_25partition_config_selectorILNS1_17partition_subalgoE3EjNS0_10empty_typeEbEEZZNS1_14partition_implILS8_3ELb0ES6_jNS0_17counting_iteratorIjlEEPS9_SE_NS0_5tupleIJPjSE_EEENSF_IJSE_SE_EEES9_SG_JZNS1_25segmented_radix_sort_implINS0_14default_configELb0EPKfPfPKlPlN2at6native12_GLOBAL__N_18offset_tEEE10hipError_tPvRmT1_PNSt15iterator_traitsISY_E10value_typeET2_T3_PNSZ_IS14_E10value_typeET4_jRbjT5_S1A_jjP12ihipStream_tbEUljE_EEESV_SW_SX_S14_S18_S1A_T6_T7_T9_mT8_S1C_bDpT10_ENKUlT_T0_E_clISt17integral_constantIbLb0EES1O_IbLb1EEEEDaS1K_S1L_EUlS1K_E_NS1_11comp_targetILNS1_3genE0ELNS1_11target_archE4294967295ELNS1_3gpuE0ELNS1_3repE0EEENS1_30default_config_static_selectorELNS0_4arch9wavefront6targetE0EEEvSY_,"axG",@progbits,_ZN7rocprim17ROCPRIM_400000_NS6detail17trampoline_kernelINS0_13select_configILj256ELj13ELNS0_17block_load_methodE3ELS4_3ELS4_3ELNS0_20block_scan_algorithmE0ELj4294967295EEENS1_25partition_config_selectorILNS1_17partition_subalgoE3EjNS0_10empty_typeEbEEZZNS1_14partition_implILS8_3ELb0ES6_jNS0_17counting_iteratorIjlEEPS9_SE_NS0_5tupleIJPjSE_EEENSF_IJSE_SE_EEES9_SG_JZNS1_25segmented_radix_sort_implINS0_14default_configELb0EPKfPfPKlPlN2at6native12_GLOBAL__N_18offset_tEEE10hipError_tPvRmT1_PNSt15iterator_traitsISY_E10value_typeET2_T3_PNSZ_IS14_E10value_typeET4_jRbjT5_S1A_jjP12ihipStream_tbEUljE_EEESV_SW_SX_S14_S18_S1A_T6_T7_T9_mT8_S1C_bDpT10_ENKUlT_T0_E_clISt17integral_constantIbLb0EES1O_IbLb1EEEEDaS1K_S1L_EUlS1K_E_NS1_11comp_targetILNS1_3genE0ELNS1_11target_archE4294967295ELNS1_3gpuE0ELNS1_3repE0EEENS1_30default_config_static_selectorELNS0_4arch9wavefront6targetE0EEEvSY_,comdat
	.globl	_ZN7rocprim17ROCPRIM_400000_NS6detail17trampoline_kernelINS0_13select_configILj256ELj13ELNS0_17block_load_methodE3ELS4_3ELS4_3ELNS0_20block_scan_algorithmE0ELj4294967295EEENS1_25partition_config_selectorILNS1_17partition_subalgoE3EjNS0_10empty_typeEbEEZZNS1_14partition_implILS8_3ELb0ES6_jNS0_17counting_iteratorIjlEEPS9_SE_NS0_5tupleIJPjSE_EEENSF_IJSE_SE_EEES9_SG_JZNS1_25segmented_radix_sort_implINS0_14default_configELb0EPKfPfPKlPlN2at6native12_GLOBAL__N_18offset_tEEE10hipError_tPvRmT1_PNSt15iterator_traitsISY_E10value_typeET2_T3_PNSZ_IS14_E10value_typeET4_jRbjT5_S1A_jjP12ihipStream_tbEUljE_EEESV_SW_SX_S14_S18_S1A_T6_T7_T9_mT8_S1C_bDpT10_ENKUlT_T0_E_clISt17integral_constantIbLb0EES1O_IbLb1EEEEDaS1K_S1L_EUlS1K_E_NS1_11comp_targetILNS1_3genE0ELNS1_11target_archE4294967295ELNS1_3gpuE0ELNS1_3repE0EEENS1_30default_config_static_selectorELNS0_4arch9wavefront6targetE0EEEvSY_ ; -- Begin function _ZN7rocprim17ROCPRIM_400000_NS6detail17trampoline_kernelINS0_13select_configILj256ELj13ELNS0_17block_load_methodE3ELS4_3ELS4_3ELNS0_20block_scan_algorithmE0ELj4294967295EEENS1_25partition_config_selectorILNS1_17partition_subalgoE3EjNS0_10empty_typeEbEEZZNS1_14partition_implILS8_3ELb0ES6_jNS0_17counting_iteratorIjlEEPS9_SE_NS0_5tupleIJPjSE_EEENSF_IJSE_SE_EEES9_SG_JZNS1_25segmented_radix_sort_implINS0_14default_configELb0EPKfPfPKlPlN2at6native12_GLOBAL__N_18offset_tEEE10hipError_tPvRmT1_PNSt15iterator_traitsISY_E10value_typeET2_T3_PNSZ_IS14_E10value_typeET4_jRbjT5_S1A_jjP12ihipStream_tbEUljE_EEESV_SW_SX_S14_S18_S1A_T6_T7_T9_mT8_S1C_bDpT10_ENKUlT_T0_E_clISt17integral_constantIbLb0EES1O_IbLb1EEEEDaS1K_S1L_EUlS1K_E_NS1_11comp_targetILNS1_3genE0ELNS1_11target_archE4294967295ELNS1_3gpuE0ELNS1_3repE0EEENS1_30default_config_static_selectorELNS0_4arch9wavefront6targetE0EEEvSY_
	.p2align	8
	.type	_ZN7rocprim17ROCPRIM_400000_NS6detail17trampoline_kernelINS0_13select_configILj256ELj13ELNS0_17block_load_methodE3ELS4_3ELS4_3ELNS0_20block_scan_algorithmE0ELj4294967295EEENS1_25partition_config_selectorILNS1_17partition_subalgoE3EjNS0_10empty_typeEbEEZZNS1_14partition_implILS8_3ELb0ES6_jNS0_17counting_iteratorIjlEEPS9_SE_NS0_5tupleIJPjSE_EEENSF_IJSE_SE_EEES9_SG_JZNS1_25segmented_radix_sort_implINS0_14default_configELb0EPKfPfPKlPlN2at6native12_GLOBAL__N_18offset_tEEE10hipError_tPvRmT1_PNSt15iterator_traitsISY_E10value_typeET2_T3_PNSZ_IS14_E10value_typeET4_jRbjT5_S1A_jjP12ihipStream_tbEUljE_EEESV_SW_SX_S14_S18_S1A_T6_T7_T9_mT8_S1C_bDpT10_ENKUlT_T0_E_clISt17integral_constantIbLb0EES1O_IbLb1EEEEDaS1K_S1L_EUlS1K_E_NS1_11comp_targetILNS1_3genE0ELNS1_11target_archE4294967295ELNS1_3gpuE0ELNS1_3repE0EEENS1_30default_config_static_selectorELNS0_4arch9wavefront6targetE0EEEvSY_,@function
_ZN7rocprim17ROCPRIM_400000_NS6detail17trampoline_kernelINS0_13select_configILj256ELj13ELNS0_17block_load_methodE3ELS4_3ELS4_3ELNS0_20block_scan_algorithmE0ELj4294967295EEENS1_25partition_config_selectorILNS1_17partition_subalgoE3EjNS0_10empty_typeEbEEZZNS1_14partition_implILS8_3ELb0ES6_jNS0_17counting_iteratorIjlEEPS9_SE_NS0_5tupleIJPjSE_EEENSF_IJSE_SE_EEES9_SG_JZNS1_25segmented_radix_sort_implINS0_14default_configELb0EPKfPfPKlPlN2at6native12_GLOBAL__N_18offset_tEEE10hipError_tPvRmT1_PNSt15iterator_traitsISY_E10value_typeET2_T3_PNSZ_IS14_E10value_typeET4_jRbjT5_S1A_jjP12ihipStream_tbEUljE_EEESV_SW_SX_S14_S18_S1A_T6_T7_T9_mT8_S1C_bDpT10_ENKUlT_T0_E_clISt17integral_constantIbLb0EES1O_IbLb1EEEEDaS1K_S1L_EUlS1K_E_NS1_11comp_targetILNS1_3genE0ELNS1_11target_archE4294967295ELNS1_3gpuE0ELNS1_3repE0EEENS1_30default_config_static_selectorELNS0_4arch9wavefront6targetE0EEEvSY_: ; @_ZN7rocprim17ROCPRIM_400000_NS6detail17trampoline_kernelINS0_13select_configILj256ELj13ELNS0_17block_load_methodE3ELS4_3ELS4_3ELNS0_20block_scan_algorithmE0ELj4294967295EEENS1_25partition_config_selectorILNS1_17partition_subalgoE3EjNS0_10empty_typeEbEEZZNS1_14partition_implILS8_3ELb0ES6_jNS0_17counting_iteratorIjlEEPS9_SE_NS0_5tupleIJPjSE_EEENSF_IJSE_SE_EEES9_SG_JZNS1_25segmented_radix_sort_implINS0_14default_configELb0EPKfPfPKlPlN2at6native12_GLOBAL__N_18offset_tEEE10hipError_tPvRmT1_PNSt15iterator_traitsISY_E10value_typeET2_T3_PNSZ_IS14_E10value_typeET4_jRbjT5_S1A_jjP12ihipStream_tbEUljE_EEESV_SW_SX_S14_S18_S1A_T6_T7_T9_mT8_S1C_bDpT10_ENKUlT_T0_E_clISt17integral_constantIbLb0EES1O_IbLb1EEEEDaS1K_S1L_EUlS1K_E_NS1_11comp_targetILNS1_3genE0ELNS1_11target_archE4294967295ELNS1_3gpuE0ELNS1_3repE0EEENS1_30default_config_static_selectorELNS0_4arch9wavefront6targetE0EEEvSY_
; %bb.0:
	s_clause 0x5
	s_load_b64 s[16:17], s[0:1], 0x10
	s_load_b128 s[12:15], s[0:1], 0x48
	s_load_b64 s[18:19], s[0:1], 0x58
	s_load_b64 s[20:21], s[0:1], 0x68
	s_load_b32 s3, s[0:1], 0x90
	s_load_b128 s[4:7], s[0:1], 0x80
	v_cmp_eq_u32_e64 s2, 0, v0
	s_and_saveexec_b32 s8, s2
	s_cbranch_execz .LBB1413_4
; %bb.1:
	s_mov_b32 s10, exec_lo
	s_mov_b32 s9, exec_lo
	v_mbcnt_lo_u32_b32 v1, s10, 0
                                        ; implicit-def: $vgpr2
	s_delay_alu instid0(VALU_DEP_1)
	v_cmpx_eq_u32_e32 0, v1
	s_cbranch_execz .LBB1413_3
; %bb.2:
	s_load_b64 s[22:23], s[0:1], 0x78
	s_bcnt1_i32_b32 s10, s10
	s_delay_alu instid0(SALU_CYCLE_1)
	v_dual_mov_b32 v2, 0 :: v_dual_mov_b32 v3, s10
	s_wait_xcnt 0x0
	s_wait_kmcnt 0x0
	global_atomic_add_u32 v2, v2, v3, s[22:23] th:TH_ATOMIC_RETURN scope:SCOPE_DEV
.LBB1413_3:
	s_wait_xcnt 0x0
	s_or_b32 exec_lo, exec_lo, s9
	s_wait_loadcnt 0x0
	v_readfirstlane_b32 s9, v2
	s_delay_alu instid0(VALU_DEP_1)
	v_dual_mov_b32 v2, 0 :: v_dual_add_nc_u32 v1, s9, v1
	ds_store_b32 v2, v1
.LBB1413_4:
	s_or_b32 exec_lo, exec_lo, s8
	v_dual_mov_b32 v1, 0 :: v_dual_lshlrev_b32 v19, 2, v0
	s_clause 0x2
	s_load_b32 s8, s[0:1], 0x8
	s_load_b64 s[10:11], s[0:1], 0x28
	s_load_b32 s9, s[0:1], 0x70
	s_wait_dscnt 0x0
	s_barrier_signal -1
	s_barrier_wait -1
	ds_load_b32 v4, v1
	s_wait_dscnt 0x0
	s_barrier_signal -1
	s_barrier_wait -1
	s_wait_kmcnt 0x0
	global_load_b64 v[42:43], v1, s[14:15]
	s_mov_b32 s1, 0
	s_add_co_i32 s8, s8, s16
	s_mul_i32 s0, s9, 0xd00
	s_add_co_i32 s9, s9, -1
	s_wait_xcnt 0x0
	s_add_nc_u64 s[14:15], s[16:17], s[0:1]
	s_add_co_i32 s0, s0, s16
	v_cmp_gt_u64_e64 s1, s[18:19], s[14:15]
	v_readfirstlane_b32 s23, v4
	s_sub_co_i32 s22, s18, s0
	v_cmp_ne_u32_e32 vcc_lo, s9, v4
	s_addk_co_i32 s22, 0xd00
	s_mov_b32 s15, -1
	s_cmp_eq_u32 s23, s9
	s_mul_i32 s14, s23, 0xd00
	s_cselect_b32 s9, -1, 0
	s_or_b32 s1, s1, vcc_lo
	s_delay_alu instid0(SALU_CYCLE_1)
	s_and_b32 vcc_lo, exec_lo, s1
	s_cbranch_vccz .LBB1413_6
; %bb.5:
	v_add3_u32 v1, s14, s8, v0
	s_mov_b32 s15, 0
	s_delay_alu instid0(VALU_DEP_1)
	v_add_nc_u32_e32 v2, 0x100, v1
	v_add_nc_u32_e32 v3, 0x200, v1
	;; [unrolled: 1-line block ×12, first 2 shown]
	ds_store_2addr_stride64_b32 v19, v1, v2 offset1:4
	ds_store_2addr_stride64_b32 v19, v3, v5 offset0:8 offset1:12
	ds_store_2addr_stride64_b32 v19, v6, v7 offset0:16 offset1:20
	;; [unrolled: 1-line block ×5, first 2 shown]
	ds_store_b32 v19, v14 offset:12288
	s_wait_loadcnt_dscnt 0x0
	s_barrier_signal -1
	s_barrier_wait -1
.LBB1413_6:
	v_cmp_gt_u32_e64 s0, s22, v0
	v_or_b32_e32 v40, 0x100, v0
	v_or_b32_e32 v38, 0x200, v0
	;; [unrolled: 1-line block ×12, first 2 shown]
	s_and_not1_b32 vcc_lo, exec_lo, s15
	s_cbranch_vccnz .LBB1413_8
; %bb.7:
	s_add_co_i32 s8, s14, s8
	v_cmp_gt_u32_e32 vcc_lo, s22, v40
	v_dual_add_nc_u32 v1, s8, v0 :: v_dual_add_nc_u32 v3, s8, v38
	v_dual_add_nc_u32 v2, s8, v40 :: v_dual_add_nc_u32 v8, s8, v30
	s_delay_alu instid0(VALU_DEP_2) | instskip(NEXT) | instid1(VALU_DEP_2)
	v_dual_add_nc_u32 v9, s8, v28 :: v_dual_cndmask_b32 v1, 0, v1, s0
	v_dual_cndmask_b32 v2, 0, v2 :: v_dual_add_nc_u32 v5, s8, v36
	v_cmp_gt_u32_e32 vcc_lo, s22, v38
	v_dual_add_nc_u32 v12, s8, v22 :: v_dual_add_nc_u32 v13, s8, v20
	v_dual_add_nc_u32 v6, s8, v34 :: v_dual_add_nc_u32 v7, s8, v32
	v_cndmask_b32_e32 v3, 0, v3, vcc_lo
	v_cmp_gt_u32_e32 vcc_lo, s22, v36
	v_dual_add_nc_u32 v10, s8, v26 :: v_dual_add_nc_u32 v11, s8, v24
	v_cndmask_b32_e32 v5, 0, v5, vcc_lo
	v_cmp_gt_u32_e32 vcc_lo, s22, v34
	v_cndmask_b32_e32 v6, 0, v6, vcc_lo
	v_cmp_gt_u32_e32 vcc_lo, s22, v32
	;; [unrolled: 2-line block ×7, first 2 shown]
	v_dual_add_nc_u32 v14, s8, v18 :: v_dual_cndmask_b32 v12, 0, v12, vcc_lo
	v_cmp_gt_u32_e32 vcc_lo, s22, v20
	v_cndmask_b32_e32 v13, 0, v13, vcc_lo
	v_cmp_gt_u32_e32 vcc_lo, s22, v18
	s_delay_alu instid0(VALU_DEP_4)
	v_cndmask_b32_e32 v14, 0, v14, vcc_lo
	ds_store_2addr_stride64_b32 v19, v1, v2 offset1:4
	ds_store_2addr_stride64_b32 v19, v3, v5 offset0:8 offset1:12
	ds_store_2addr_stride64_b32 v19, v6, v7 offset0:16 offset1:20
	;; [unrolled: 1-line block ×5, first 2 shown]
	ds_store_b32 v19, v14 offset:12288
	s_wait_loadcnt_dscnt 0x0
	s_barrier_signal -1
	s_barrier_wait -1
.LBB1413_8:
	v_mul_u32_u24_e32 v23, 13, v0
	s_wait_loadcnt 0x0
	v_cndmask_b32_e64 v21, 0, 1, s1
	s_and_not1_b32 vcc_lo, exec_lo, s1
	s_delay_alu instid0(VALU_DEP_2)
	v_lshlrev_b32_e32 v2, 2, v23
	ds_load_2addr_b32 v[52:53], v2 offset0:2 offset1:3
	ds_load_2addr_b32 v[48:49], v2 offset0:6 offset1:7
	;; [unrolled: 1-line block ×3, first 2 shown]
	ds_load_2addr_b32 v[54:55], v2 offset1:1
	ds_load_2addr_b32 v[44:45], v2 offset0:10 offset1:11
	ds_load_b32 v1, v2 offset:48
	ds_load_2addr_b32 v[46:47], v2 offset0:8 offset1:9
	s_wait_dscnt 0x0
	s_barrier_signal -1
	s_barrier_wait -1
	s_cbranch_vccnz .LBB1413_10
; %bb.9:
	v_dual_add_nc_u32 v2, s5, v53 :: v_dual_add_nc_u32 v3, s5, v55
	v_dual_add_nc_u32 v5, s5, v54 :: v_dual_add_nc_u32 v6, s5, v52
	;; [unrolled: 1-line block ×4, first 2 shown]
	s_delay_alu instid0(VALU_DEP_3) | instskip(NEXT) | instid1(VALU_DEP_4)
	v_mul_lo_u32 v6, v6, s4
	v_mul_lo_u32 v5, v5, s4
	;; [unrolled: 1-line block ×8, first 2 shown]
	v_dual_add_nc_u32 v11, s5, v50 :: v_dual_add_nc_u32 v12, s7, v50
	v_dual_add_nc_u32 v13, s5, v48 :: v_dual_add_nc_u32 v15, s7, v45
	v_add_nc_u32_e32 v16, s5, v44
	s_delay_alu instid0(VALU_DEP_3) | instskip(NEXT) | instid1(VALU_DEP_4)
	v_mul_lo_u32 v11, v11, s4
	v_mul_lo_u32 v12, v12, s6
	v_dual_sub_nc_u32 v2, v2, v7 :: v_dual_sub_nc_u32 v3, v3, v8
	v_dual_sub_nc_u32 v5, v5, v9 :: v_dual_sub_nc_u32 v6, v6, v10
	v_dual_add_nc_u32 v7, s5, v51 :: v_dual_add_nc_u32 v8, s7, v51
	v_dual_add_nc_u32 v9, s5, v49 :: v_dual_add_nc_u32 v10, s7, v49
	s_delay_alu instid0(VALU_DEP_4) | instskip(NEXT) | instid1(VALU_DEP_3)
	v_cmp_lt_u32_e32 vcc_lo, s3, v2
	v_mul_lo_u32 v7, v7, s4
	s_delay_alu instid0(VALU_DEP_4) | instskip(NEXT) | instid1(VALU_DEP_4)
	v_mul_lo_u32 v8, v8, s6
	v_mul_lo_u32 v9, v9, s4
	;; [unrolled: 1-line block ×3, first 2 shown]
	v_cndmask_b32_e64 v2, 0, 1, vcc_lo
	v_cmp_lt_u32_e32 vcc_lo, s3, v3
	v_dual_add_nc_u32 v17, s7, v47 :: v_dual_add_nc_u32 v25, s7, v46
	v_mul_lo_u32 v15, v15, s6
	v_add_nc_u32_e32 v14, s5, v46
	v_cndmask_b32_e64 v3, 0, 1, vcc_lo
	s_delay_alu instid0(VALU_DEP_4) | instskip(SKIP_4) | instid1(VALU_DEP_3)
	v_mul_lo_u32 v17, v17, s6
	v_sub_nc_u32_e32 v7, v7, v8
	v_dual_add_nc_u32 v8, s7, v48 :: v_dual_sub_nc_u32 v9, v9, v10
	v_dual_sub_nc_u32 v10, v11, v12 :: v_dual_add_nc_u32 v11, s5, v45
	v_mul_lo_u32 v13, v13, s4
	v_mul_lo_u32 v8, v8, s6
	v_add_nc_u32_e32 v12, s5, v47
	v_cmp_lt_u32_e32 vcc_lo, s3, v7
	v_mul_lo_u32 v11, v11, s4
	v_lshlrev_b16 v3, 8, v3
	v_mul_lo_u32 v14, v14, s4
	v_mul_lo_u32 v12, v12, s4
	v_cndmask_b32_e64 v7, 0, 1, vcc_lo
	v_cmp_lt_u32_e32 vcc_lo, s3, v9
	v_lshrrev_b32_e32 v3, 8, v3
	v_mul_lo_u32 v25, v25, s6
	v_sub_nc_u32_e32 v8, v13, v8
	v_lshlrev_b16 v7, 8, v7
	v_cndmask_b32_e64 v9, 0, 1, vcc_lo
	v_sub_nc_u32_e32 v11, v11, v15
	v_cmp_lt_u32_e32 vcc_lo, s3, v5
	s_delay_alu instid0(VALU_DEP_4)
	v_dual_add_nc_u32 v27, s7, v44 :: v_dual_lshrrev_b32 v7, 8, v7
	v_sub_nc_u32_e32 v12, v12, v17
	v_mul_lo_u32 v13, v16, s4
	v_cndmask_b32_e64 v5, 0, 1, vcc_lo
	v_cmp_lt_u32_e32 vcc_lo, s3, v11
	v_mul_lo_u32 v16, v27, s6
	v_dual_add_nc_u32 v15, s5, v1 :: v_dual_add_nc_u32 v27, s7, v1
	v_lshlrev_b16 v2, 8, v2
	v_cndmask_b32_e64 v11, 0, 1, vcc_lo
	v_cmp_lt_u32_e32 vcc_lo, s3, v12
	s_delay_alu instid0(VALU_DEP_4)
	v_mul_lo_u32 v15, v15, s4
	v_mul_lo_u32 v17, v27, s6
	v_sub_nc_u32_e32 v14, v14, v25
	v_lshlrev_b16 v3, 8, v3
	v_cndmask_b32_e64 v12, 0, 1, vcc_lo
	v_cmp_lt_u32_e32 vcc_lo, s3, v6
	v_dual_sub_nc_u32 v13, v13, v16 :: v_dual_lshrrev_b32 v2, 8, v2
	s_delay_alu instid0(VALU_DEP_4)
	v_or_b32_e32 v3, v5, v3
	v_lshlrev_b16 v5, 8, v11
	v_cndmask_b32_e64 v6, 0, 1, vcc_lo
	v_cmp_lt_u32_e32 vcc_lo, s3, v10
	v_lshlrev_b16 v11, 8, v12
	v_lshlrev_b16 v9, 8, v9
	v_sub_nc_u32_e32 v12, v15, v17
	v_lshlrev_b16 v2, 8, v2
	v_cndmask_b32_e64 v10, 0, 1, vcc_lo
	v_cmp_lt_u32_e32 vcc_lo, s3, v8
	v_lshlrev_b16 v7, 8, v7
	v_dual_lshrrev_b32 v11, 8, v11 :: v_dual_lshrrev_b32 v5, 8, v5
	v_or_b32_e32 v2, v6, v2
	v_cndmask_b32_e64 v8, 0, 1, vcc_lo
	v_cmp_lt_u32_e32 vcc_lo, s3, v14
	s_delay_alu instid0(VALU_DEP_4)
	v_lshlrev_b16 v11, 8, v11
	v_lshlrev_b16 v5, 8, v5
	v_dual_lshlrev_b32 v2, 16, v2 :: v_dual_bitop2_b32 v6, v10, v7 bitop3:0x54
	v_cndmask_b32_e64 v14, 0, 1, vcc_lo
	v_cmp_lt_u32_e32 vcc_lo, s3, v13
	v_or_b32_e32 v7, v8, v9
	v_and_b32_e32 v3, 0xffff, v3
	v_and_b32_e32 v6, 0xffff, v6
	v_cndmask_b32_e64 v13, 0, 1, vcc_lo
	s_delay_alu instid0(VALU_DEP_4) | instskip(SKIP_2) | instid1(VALU_DEP_4)
	v_lshlrev_b32_e32 v7, 16, v7
	v_cmp_lt_u32_e32 vcc_lo, s3, v12
	v_or_b32_e32 v35, v3, v2
	v_or_b32_e32 v5, v13, v5
	;; [unrolled: 1-line block ×3, first 2 shown]
	v_cndmask_b32_e64 v25, 0, 1, vcc_lo
	s_delay_alu instid0(VALU_DEP_3) | instskip(NEXT) | instid1(VALU_DEP_3)
	v_dual_lshlrev_b32 v5, 16, v5 :: v_dual_bitop2_b32 v31, v6, v7 bitop3:0x54
	v_and_b32_e32 v8, 0xffff, v8
	s_delay_alu instid0(VALU_DEP_1)
	v_or_b32_e32 v27, v8, v5
	s_cbranch_execz .LBB1413_11
	s_branch .LBB1413_38
.LBB1413_10:
                                        ; implicit-def: $vgpr25
                                        ; implicit-def: $vgpr27
                                        ; implicit-def: $vgpr31
                                        ; implicit-def: $vgpr35
.LBB1413_11:
	v_dual_mov_b32 v3, 0 :: v_dual_mov_b32 v2, 0
	s_mov_b32 s0, exec_lo
	v_cmpx_gt_u32_e64 s22, v23
	s_cbranch_execz .LBB1413_13
; %bb.12:
	v_dual_add_nc_u32 v2, s5, v54 :: v_dual_add_nc_u32 v5, s7, v54
	s_delay_alu instid0(VALU_DEP_1) | instskip(NEXT) | instid1(VALU_DEP_2)
	v_mul_lo_u32 v2, v2, s4
	v_mul_lo_u32 v5, v5, s6
	s_delay_alu instid0(VALU_DEP_1) | instskip(NEXT) | instid1(VALU_DEP_1)
	v_sub_nc_u32_e32 v2, v2, v5
	v_cmp_lt_u32_e32 vcc_lo, s3, v2
	v_cndmask_b32_e64 v2, 0, 1, vcc_lo
.LBB1413_13:
	s_or_b32 exec_lo, exec_lo, s0
	v_add_nc_u32_e32 v5, 1, v23
	s_mov_b32 s0, exec_lo
	s_delay_alu instid0(VALU_DEP_1)
	v_cmpx_gt_u32_e64 s22, v5
	s_cbranch_execz .LBB1413_15
; %bb.14:
	v_dual_add_nc_u32 v3, s5, v55 :: v_dual_add_nc_u32 v5, s7, v55
	s_delay_alu instid0(VALU_DEP_1) | instskip(NEXT) | instid1(VALU_DEP_2)
	v_mul_lo_u32 v3, v3, s4
	v_mul_lo_u32 v5, v5, s6
	s_delay_alu instid0(VALU_DEP_1) | instskip(NEXT) | instid1(VALU_DEP_1)
	v_sub_nc_u32_e32 v3, v3, v5
	v_cmp_lt_u32_e32 vcc_lo, s3, v3
	v_cndmask_b32_e64 v3, 0, 1, vcc_lo
.LBB1413_15:
	s_or_b32 exec_lo, exec_lo, s0
	v_dual_mov_b32 v6, 0 :: v_dual_add_nc_u32 v5, 2, v23
	s_delay_alu instid0(VALU_DEP_1)
	v_cmp_gt_u32_e32 vcc_lo, s22, v5
	v_mov_b32_e32 v5, 0
	s_and_saveexec_b32 s0, vcc_lo
	s_cbranch_execz .LBB1413_17
; %bb.16:
	v_dual_add_nc_u32 v5, s5, v52 :: v_dual_add_nc_u32 v7, s7, v52
	s_delay_alu instid0(VALU_DEP_1) | instskip(NEXT) | instid1(VALU_DEP_2)
	v_mul_lo_u32 v5, v5, s4
	v_mul_lo_u32 v7, v7, s6
	s_delay_alu instid0(VALU_DEP_1) | instskip(NEXT) | instid1(VALU_DEP_1)
	v_sub_nc_u32_e32 v5, v5, v7
	v_cmp_lt_u32_e32 vcc_lo, s3, v5
	v_cndmask_b32_e64 v5, 0, 1, vcc_lo
.LBB1413_17:
	s_or_b32 exec_lo, exec_lo, s0
	v_add_nc_u32_e32 v7, 3, v23
	s_mov_b32 s0, exec_lo
	s_delay_alu instid0(VALU_DEP_1)
	v_cmpx_gt_u32_e64 s22, v7
	s_cbranch_execz .LBB1413_19
; %bb.18:
	v_dual_add_nc_u32 v6, s5, v53 :: v_dual_add_nc_u32 v7, s7, v53
	s_delay_alu instid0(VALU_DEP_1) | instskip(NEXT) | instid1(VALU_DEP_2)
	v_mul_lo_u32 v6, v6, s4
	v_mul_lo_u32 v7, v7, s6
	s_delay_alu instid0(VALU_DEP_1) | instskip(NEXT) | instid1(VALU_DEP_1)
	v_sub_nc_u32_e32 v6, v6, v7
	v_cmp_lt_u32_e32 vcc_lo, s3, v6
	v_cndmask_b32_e64 v6, 0, 1, vcc_lo
.LBB1413_19:
	s_or_b32 exec_lo, exec_lo, s0
	v_dual_mov_b32 v8, 0 :: v_dual_add_nc_u32 v7, 4, v23
	s_delay_alu instid0(VALU_DEP_1)
	v_cmp_gt_u32_e32 vcc_lo, s22, v7
	v_mov_b32_e32 v7, 0
	s_and_saveexec_b32 s0, vcc_lo
	;; [unrolled: 33-line block ×5, first 2 shown]
	s_cbranch_execz .LBB1413_33
; %bb.32:
	v_dual_add_nc_u32 v13, s5, v44 :: v_dual_add_nc_u32 v15, s7, v44
	s_delay_alu instid0(VALU_DEP_1) | instskip(NEXT) | instid1(VALU_DEP_2)
	v_mul_lo_u32 v13, v13, s4
	v_mul_lo_u32 v15, v15, s6
	s_delay_alu instid0(VALU_DEP_1) | instskip(NEXT) | instid1(VALU_DEP_1)
	v_sub_nc_u32_e32 v13, v13, v15
	v_cmp_lt_u32_e32 vcc_lo, s3, v13
	v_cndmask_b32_e64 v13, 0, 1, vcc_lo
.LBB1413_33:
	s_or_b32 exec_lo, exec_lo, s0
	v_add_nc_u32_e32 v15, 11, v23
	s_mov_b32 s0, exec_lo
	s_delay_alu instid0(VALU_DEP_1)
	v_cmpx_gt_u32_e64 s22, v15
	s_cbranch_execz .LBB1413_35
; %bb.34:
	v_dual_add_nc_u32 v14, s5, v45 :: v_dual_add_nc_u32 v15, s7, v45
	s_delay_alu instid0(VALU_DEP_1) | instskip(NEXT) | instid1(VALU_DEP_2)
	v_mul_lo_u32 v14, v14, s4
	v_mul_lo_u32 v15, v15, s6
	s_delay_alu instid0(VALU_DEP_1) | instskip(NEXT) | instid1(VALU_DEP_1)
	v_sub_nc_u32_e32 v14, v14, v15
	v_cmp_lt_u32_e32 vcc_lo, s3, v14
	v_cndmask_b32_e64 v14, 0, 1, vcc_lo
.LBB1413_35:
	s_or_b32 exec_lo, exec_lo, s0
	v_dual_add_nc_u32 v15, 12, v23 :: v_dual_mov_b32 v25, 0
	s_mov_b32 s0, exec_lo
	s_delay_alu instid0(VALU_DEP_1)
	v_cmpx_gt_u32_e64 s22, v15
	s_cbranch_execz .LBB1413_37
; %bb.36:
	v_dual_add_nc_u32 v15, s7, v1 :: v_dual_add_nc_u32 v16, s5, v1
	s_delay_alu instid0(VALU_DEP_1) | instskip(NEXT) | instid1(VALU_DEP_2)
	v_mul_lo_u32 v15, v15, s6
	v_mul_lo_u32 v16, v16, s4
	s_delay_alu instid0(VALU_DEP_1) | instskip(NEXT) | instid1(VALU_DEP_1)
	v_sub_nc_u32_e32 v15, v16, v15
	v_cmp_lt_u32_e32 vcc_lo, s3, v15
	v_cndmask_b32_e64 v25, 0, 1, vcc_lo
.LBB1413_37:
	s_or_b32 exec_lo, exec_lo, s0
	v_lshlrev_b16 v6, 8, v6
	v_lshlrev_b16 v8, 8, v8
	;; [unrolled: 1-line block ×5, first 2 shown]
	v_or_b32_e32 v5, v5, v6
	v_or_b32_e32 v6, v7, v8
	;; [unrolled: 1-line block ×3, first 2 shown]
	s_delay_alu instid0(VALU_DEP_1) | instskip(NEXT) | instid1(VALU_DEP_4)
	v_dual_lshlrev_b32 v7, 16, v7 :: v_dual_bitop2_b32 v8, v11, v12 bitop3:0x54
	v_dual_lshlrev_b32 v5, 16, v5 :: v_dual_bitop2_b32 v2, v2, v3 bitop3:0x54
	v_lshlrev_b16 v3, 8, v14
	s_delay_alu instid0(VALU_DEP_3) | instskip(NEXT) | instid1(VALU_DEP_3)
	v_and_b32_e32 v8, 0xffff, v8
	v_and_b32_e32 v2, 0xffff, v2
	s_delay_alu instid0(VALU_DEP_3) | instskip(NEXT) | instid1(VALU_DEP_1)
	v_or_b32_e32 v3, v13, v3
	v_dual_lshlrev_b32 v3, 16, v3 :: v_dual_bitop2_b32 v35, v2, v5 bitop3:0x54
	v_and_b32_e32 v6, 0xffff, v6
	s_delay_alu instid0(VALU_DEP_2) | instskip(NEXT) | instid1(VALU_DEP_2)
	v_or_b32_e32 v27, v8, v3
	v_or_b32_e32 v31, v6, v7
.LBB1413_38:
	s_delay_alu instid0(VALU_DEP_4) | instskip(SKIP_2) | instid1(VALU_DEP_4)
	v_bfe_u32 v39, v35, 16, 8
	v_bfe_u32 v41, v35, 8, 8
	v_and_b32_e32 v57, 0xff, v35
	v_and_b32_e32 v58, 0xff, v31
	v_mbcnt_lo_u32_b32 v64, -1, 0
	v_lshrrev_b32_e32 v37, 24, v35
	v_bfe_u32 v59, v31, 16, 8
	v_add3_u32 v2, v41, v57, v39
	v_bfe_u32 v60, v31, 8, 8
	v_dual_lshrrev_b32 v33, 24, v31 :: v_dual_bitop2_b32 v5, 15, v64 bitop3:0x40
	v_lshrrev_b32_e32 v65, 5, v0
	s_delay_alu instid0(VALU_DEP_4)
	v_add3_u32 v2, v2, v37, v58
	v_and_b32_e32 v61, 0xff, v27
	v_bfe_u32 v62, v27, 16, 8
	v_bfe_u32 v63, v27, 8, 8
	v_dual_lshrrev_b32 v29, 24, v27 :: v_dual_bitop2_b32 v6, 31, v0 bitop3:0x54
	v_add3_u32 v2, v2, v60, v59
	v_and_b32_e32 v3, 0xff, v25
	v_and_b32_e32 v7, 16, v64
	v_cmp_ne_u32_e32 vcc_lo, 0, v4
	v_cmp_eq_u32_e64 s6, 0, v5
	v_add3_u32 v2, v2, v33, v61
	v_cmp_lt_u32_e64 s5, 1, v5
	v_cmp_lt_u32_e64 s4, 3, v5
	;; [unrolled: 1-line block ×3, first 2 shown]
	v_cmp_eq_u32_e64 s1, 0, v7
	v_add3_u32 v2, v2, v63, v62
	v_cmp_eq_u32_e64 s0, v0, v6
	s_mov_b32 s7, -1
	v_add3_u32 v66, v2, v29, v3
	s_cbranch_vccz .LBB1413_60
; %bb.39:
	s_delay_alu instid0(VALU_DEP_1) | instskip(NEXT) | instid1(VALU_DEP_1)
	v_mov_b32_dpp v2, v66 row_shr:1 row_mask:0xf bank_mask:0xf
	v_cndmask_b32_e64 v2, v2, 0, s6
	s_delay_alu instid0(VALU_DEP_1) | instskip(NEXT) | instid1(VALU_DEP_1)
	v_add_nc_u32_e32 v2, v2, v66
	v_mov_b32_dpp v3, v2 row_shr:2 row_mask:0xf bank_mask:0xf
	s_delay_alu instid0(VALU_DEP_1) | instskip(NEXT) | instid1(VALU_DEP_1)
	v_cndmask_b32_e64 v3, 0, v3, s5
	v_add_nc_u32_e32 v2, v2, v3
	s_delay_alu instid0(VALU_DEP_1) | instskip(NEXT) | instid1(VALU_DEP_1)
	v_mov_b32_dpp v3, v2 row_shr:4 row_mask:0xf bank_mask:0xf
	v_cndmask_b32_e64 v3, 0, v3, s4
	s_delay_alu instid0(VALU_DEP_1) | instskip(NEXT) | instid1(VALU_DEP_1)
	v_add_nc_u32_e32 v2, v2, v3
	v_mov_b32_dpp v3, v2 row_shr:8 row_mask:0xf bank_mask:0xf
	s_delay_alu instid0(VALU_DEP_1) | instskip(NEXT) | instid1(VALU_DEP_1)
	v_cndmask_b32_e64 v3, 0, v3, s3
	v_add_nc_u32_e32 v2, v2, v3
	ds_swizzle_b32 v3, v2 offset:swizzle(BROADCAST,32,15)
	s_wait_dscnt 0x0
	v_cndmask_b32_e64 v3, v3, 0, s1
	s_delay_alu instid0(VALU_DEP_1)
	v_add_nc_u32_e32 v2, v2, v3
	s_and_saveexec_b32 s7, s0
; %bb.40:
	v_lshlrev_b32_e32 v3, 2, v65
	ds_store_b32 v3, v2
; %bb.41:
	s_or_b32 exec_lo, exec_lo, s7
	s_delay_alu instid0(SALU_CYCLE_1)
	s_mov_b32 s7, exec_lo
	s_wait_dscnt 0x0
	s_barrier_signal -1
	s_barrier_wait -1
	v_cmpx_gt_u32_e32 8, v0
	s_cbranch_execz .LBB1413_43
; %bb.42:
	ds_load_b32 v3, v19
	s_wait_dscnt 0x0
	v_mov_b32_dpp v6, v3 row_shr:1 row_mask:0xf bank_mask:0xf
	v_and_b32_e32 v5, 7, v64
	s_delay_alu instid0(VALU_DEP_1) | instskip(NEXT) | instid1(VALU_DEP_3)
	v_cmp_ne_u32_e32 vcc_lo, 0, v5
	v_cndmask_b32_e32 v6, 0, v6, vcc_lo
	v_cmp_lt_u32_e32 vcc_lo, 1, v5
	s_delay_alu instid0(VALU_DEP_2) | instskip(NEXT) | instid1(VALU_DEP_1)
	v_add_nc_u32_e32 v3, v6, v3
	v_mov_b32_dpp v6, v3 row_shr:2 row_mask:0xf bank_mask:0xf
	s_delay_alu instid0(VALU_DEP_1) | instskip(SKIP_1) | instid1(VALU_DEP_2)
	v_cndmask_b32_e32 v6, 0, v6, vcc_lo
	v_cmp_lt_u32_e32 vcc_lo, 3, v5
	v_add_nc_u32_e32 v3, v3, v6
	s_delay_alu instid0(VALU_DEP_1) | instskip(NEXT) | instid1(VALU_DEP_1)
	v_mov_b32_dpp v6, v3 row_shr:4 row_mask:0xf bank_mask:0xf
	v_cndmask_b32_e32 v5, 0, v6, vcc_lo
	s_delay_alu instid0(VALU_DEP_1)
	v_add_nc_u32_e32 v3, v3, v5
	ds_store_b32 v19, v3
.LBB1413_43:
	s_or_b32 exec_lo, exec_lo, s7
	s_delay_alu instid0(SALU_CYCLE_1)
	s_mov_b32 s8, exec_lo
	v_cmp_gt_u32_e32 vcc_lo, 32, v0
	s_wait_dscnt 0x0
	s_barrier_signal -1
	s_barrier_wait -1
                                        ; implicit-def: $vgpr10
	v_cmpx_lt_u32_e32 31, v0
	s_cbranch_execz .LBB1413_45
; %bb.44:
	v_lshl_add_u32 v3, v65, 2, -4
	ds_load_b32 v10, v3
	s_wait_dscnt 0x0
	v_add_nc_u32_e32 v2, v10, v2
.LBB1413_45:
	s_or_b32 exec_lo, exec_lo, s8
	v_sub_co_u32 v3, s7, v64, 1
	s_delay_alu instid0(VALU_DEP_1) | instskip(NEXT) | instid1(VALU_DEP_1)
	v_cmp_gt_i32_e64 s8, 0, v3
	v_cndmask_b32_e64 v3, v3, v64, s8
	s_delay_alu instid0(VALU_DEP_1)
	v_lshlrev_b32_e32 v3, 2, v3
	ds_bpermute_b32 v11, v3, v2
	s_and_saveexec_b32 s8, vcc_lo
	s_cbranch_execz .LBB1413_65
; %bb.46:
	v_dual_mov_b32 v9, 0 :: v_dual_add_nc_u32 v12, 32, v4
	ds_load_b32 v2, v9 offset:28
	s_and_saveexec_b32 s15, s7
	s_cbranch_execz .LBB1413_48
; %bb.47:
	v_mov_b32_e32 v3, 1
	s_wait_dscnt 0x0
	global_store_b64 v12, v[2:3], s[20:21] scale_offset scope:SCOPE_DEV
.LBB1413_48:
	s_wait_xcnt 0x0
	s_or_b32 exec_lo, exec_lo, s15
	v_xad_u32 v4, v64, -1, v4
	s_mov_b32 s23, 0
	s_mov_b32 s15, exec_lo
	s_delay_alu instid0(VALU_DEP_1) | instskip(SKIP_4) | instid1(VALU_DEP_1)
	v_add_nc_u32_e32 v8, 32, v4
	global_load_b64 v[6:7], v8, s[20:21] scale_offset scope:SCOPE_DEV
	s_wait_loadcnt 0x0
	v_and_b32_e32 v3, 0xff, v7
	s_wait_xcnt 0x0
	v_cmpx_eq_u16_e32 0, v3
	s_cbranch_execz .LBB1413_52
; %bb.49:
	v_lshl_add_u64 v[8:9], v[8:9], 3, s[20:21]
.LBB1413_50:                            ; =>This Inner Loop Header: Depth=1
	global_load_b64 v[6:7], v[8:9], off scope:SCOPE_DEV
	s_wait_loadcnt 0x0
	v_and_b32_e32 v3, 0xff, v7
	s_delay_alu instid0(VALU_DEP_1)
	v_cmp_ne_u16_e32 vcc_lo, 0, v3
	s_or_b32 s23, vcc_lo, s23
	s_wait_xcnt 0x0
	s_and_not1_b32 exec_lo, exec_lo, s23
	s_cbranch_execnz .LBB1413_50
; %bb.51:
	s_or_b32 exec_lo, exec_lo, s23
.LBB1413_52:
	s_delay_alu instid0(SALU_CYCLE_1)
	s_or_b32 exec_lo, exec_lo, s15
	v_cmp_ne_u32_e32 vcc_lo, 31, v64
	v_lshlrev_b32_e64 v14, v64, -1
	v_lshl_or_b32 v69, v64, 2, 64
	v_dual_add_nc_u32 v16, 2, v64 :: v_dual_add_nc_u32 v56, 4, v64
	v_add_co_ci_u32_e64 v3, null, 0, v64, vcc_lo
	v_dual_add_nc_u32 v68, 8, v64 :: v_dual_add_nc_u32 v70, 16, v64
	s_delay_alu instid0(VALU_DEP_2)
	v_lshlrev_b32_e32 v13, 2, v3
	v_and_b32_e32 v3, 0xff, v7
	ds_bpermute_b32 v5, v13, v6
	v_cmp_eq_u16_e32 vcc_lo, 2, v3
	v_and_or_b32 v3, vcc_lo, v14, 0x80000000
	v_cmp_gt_u32_e32 vcc_lo, 30, v64
	s_delay_alu instid0(VALU_DEP_2) | instskip(SKIP_1) | instid1(VALU_DEP_2)
	v_ctz_i32_b32_e32 v3, v3
	v_cndmask_b32_e64 v8, 0, 2, vcc_lo
	v_cmp_lt_u32_e32 vcc_lo, v64, v3
	s_delay_alu instid0(VALU_DEP_2) | instskip(SKIP_3) | instid1(VALU_DEP_2)
	v_add_lshl_u32 v15, v8, v64, 2
	s_wait_dscnt 0x0
	v_cndmask_b32_e32 v5, 0, v5, vcc_lo
	v_cmp_gt_u32_e32 vcc_lo, 28, v64
	v_add_nc_u32_e32 v5, v5, v6
	v_cndmask_b32_e64 v8, 0, 4, vcc_lo
	v_cmp_le_u32_e32 vcc_lo, v16, v3
	ds_bpermute_b32 v6, v15, v5
	v_add_lshl_u32 v17, v8, v64, 2
	s_wait_dscnt 0x0
	v_cndmask_b32_e32 v6, 0, v6, vcc_lo
	v_cmp_gt_u32_e32 vcc_lo, 24, v64
	v_cndmask_b32_e64 v8, 0, 8, vcc_lo
	v_cmp_le_u32_e32 vcc_lo, v56, v3
	s_delay_alu instid0(VALU_DEP_4) | instskip(NEXT) | instid1(VALU_DEP_3)
	v_add_nc_u32_e32 v5, v5, v6
	v_add_lshl_u32 v67, v8, v64, 2
	ds_bpermute_b32 v6, v17, v5
	s_wait_dscnt 0x0
	v_cndmask_b32_e32 v6, 0, v6, vcc_lo
	v_cmp_le_u32_e32 vcc_lo, v68, v3
	s_delay_alu instid0(VALU_DEP_2) | instskip(SKIP_4) | instid1(VALU_DEP_2)
	v_add_nc_u32_e32 v5, v5, v6
	ds_bpermute_b32 v6, v67, v5
	s_wait_dscnt 0x0
	v_cndmask_b32_e32 v6, 0, v6, vcc_lo
	v_cmp_le_u32_e32 vcc_lo, v70, v3
	v_add_nc_u32_e32 v5, v5, v6
	ds_bpermute_b32 v6, v69, v5
	s_wait_dscnt 0x0
	v_cndmask_b32_e32 v3, 0, v6, vcc_lo
	s_delay_alu instid0(VALU_DEP_1)
	v_dual_mov_b32 v5, 0 :: v_dual_add_nc_u32 v6, v5, v3
	s_branch .LBB1413_56
.LBB1413_53:                            ;   in Loop: Header=BB1413_56 Depth=1
	s_or_b32 exec_lo, exec_lo, s23
.LBB1413_54:                            ;   in Loop: Header=BB1413_56 Depth=1
	s_delay_alu instid0(SALU_CYCLE_1)
	s_or_b32 exec_lo, exec_lo, s15
	v_and_b32_e32 v8, 0xff, v7
	ds_bpermute_b32 v9, v13, v6
	v_subrev_nc_u32_e32 v4, 32, v4
	s_mov_b32 s15, 0
	v_cmp_eq_u16_e32 vcc_lo, 2, v8
	v_and_or_b32 v8, vcc_lo, v14, 0x80000000
	s_delay_alu instid0(VALU_DEP_1) | instskip(NEXT) | instid1(VALU_DEP_1)
	v_ctz_i32_b32_e32 v8, v8
	v_cmp_lt_u32_e32 vcc_lo, v64, v8
	s_wait_dscnt 0x0
	v_cndmask_b32_e32 v9, 0, v9, vcc_lo
	v_cmp_le_u32_e32 vcc_lo, v16, v8
	s_delay_alu instid0(VALU_DEP_2) | instskip(SKIP_4) | instid1(VALU_DEP_2)
	v_add_nc_u32_e32 v6, v9, v6
	ds_bpermute_b32 v9, v15, v6
	s_wait_dscnt 0x0
	v_cndmask_b32_e32 v9, 0, v9, vcc_lo
	v_cmp_le_u32_e32 vcc_lo, v56, v8
	v_add_nc_u32_e32 v6, v6, v9
	ds_bpermute_b32 v9, v17, v6
	s_wait_dscnt 0x0
	v_cndmask_b32_e32 v9, 0, v9, vcc_lo
	v_cmp_le_u32_e32 vcc_lo, v68, v8
	s_delay_alu instid0(VALU_DEP_2) | instskip(SKIP_4) | instid1(VALU_DEP_2)
	v_add_nc_u32_e32 v6, v6, v9
	ds_bpermute_b32 v9, v67, v6
	s_wait_dscnt 0x0
	v_cndmask_b32_e32 v9, 0, v9, vcc_lo
	v_cmp_le_u32_e32 vcc_lo, v70, v8
	v_add_nc_u32_e32 v6, v6, v9
	ds_bpermute_b32 v9, v69, v6
	s_wait_dscnt 0x0
	v_cndmask_b32_e32 v8, 0, v9, vcc_lo
	s_delay_alu instid0(VALU_DEP_1)
	v_add3_u32 v6, v8, v3, v6
.LBB1413_55:                            ;   in Loop: Header=BB1413_56 Depth=1
	s_and_b32 vcc_lo, exec_lo, s15
	s_cbranch_vccnz .LBB1413_61
.LBB1413_56:                            ; =>This Loop Header: Depth=1
                                        ;     Child Loop BB1413_59 Depth 2
	v_and_b32_e32 v3, 0xff, v7
	s_mov_b32 s15, -1
                                        ; implicit-def: $vgpr7
	s_delay_alu instid0(VALU_DEP_1)
	v_cmp_ne_u16_e32 vcc_lo, 2, v3
	v_mov_b32_e32 v3, v6
                                        ; implicit-def: $vgpr6
	s_cmp_lg_u32 vcc_lo, exec_lo
	s_cbranch_scc1 .LBB1413_55
; %bb.57:                               ;   in Loop: Header=BB1413_56 Depth=1
	global_load_b64 v[6:7], v4, s[20:21] scale_offset scope:SCOPE_DEV
	s_mov_b32 s15, exec_lo
	s_wait_loadcnt 0x0
	v_and_b32_e32 v8, 0xff, v7
	s_wait_xcnt 0x0
	s_delay_alu instid0(VALU_DEP_1)
	v_cmpx_eq_u16_e32 0, v8
	s_cbranch_execz .LBB1413_54
; %bb.58:                               ;   in Loop: Header=BB1413_56 Depth=1
	v_lshl_add_u64 v[8:9], v[4:5], 3, s[20:21]
	s_mov_b32 s23, 0
.LBB1413_59:                            ;   Parent Loop BB1413_56 Depth=1
                                        ; =>  This Inner Loop Header: Depth=2
	global_load_b64 v[6:7], v[8:9], off scope:SCOPE_DEV
	s_wait_loadcnt 0x0
	v_and_b32_e32 v71, 0xff, v7
	s_delay_alu instid0(VALU_DEP_1)
	v_cmp_ne_u16_e32 vcc_lo, 0, v71
	s_or_b32 s23, vcc_lo, s23
	s_wait_xcnt 0x0
	s_and_not1_b32 exec_lo, exec_lo, s23
	s_cbranch_execnz .LBB1413_59
	s_branch .LBB1413_53
.LBB1413_60:
                                        ; implicit-def: $vgpr2_vgpr3_vgpr4_vgpr5_vgpr6_vgpr7_vgpr8_vgpr9_vgpr10_vgpr11_vgpr12_vgpr13_vgpr14_vgpr15_vgpr16_vgpr17
                                        ; implicit-def: $vgpr56
                                        ; implicit-def: $vgpr16
	s_and_b32 vcc_lo, exec_lo, s7
	s_cbranch_vccnz .LBB1413_66
	s_branch .LBB1413_75
.LBB1413_61:
	s_and_saveexec_b32 s15, s7
	s_cbranch_execz .LBB1413_63
; %bb.62:
	v_dual_mov_b32 v5, 2 :: v_dual_add_nc_u32 v4, v3, v2
	v_mov_b32_e32 v6, 0
	global_store_b64 v12, v[4:5], s[20:21] scale_offset scope:SCOPE_DEV
	ds_store_b64 v6, v[2:3] offset:13312
.LBB1413_63:
	s_wait_xcnt 0x0
	s_or_b32 exec_lo, exec_lo, s15
	s_delay_alu instid0(SALU_CYCLE_1)
	s_and_b32 exec_lo, exec_lo, s2
; %bb.64:
	v_mov_b32_e32 v2, 0
	ds_store_b32 v2, v3 offset:28
.LBB1413_65:
	s_or_b32 exec_lo, exec_lo, s8
	s_wait_dscnt 0x0
	v_dual_mov_b32 v12, 0 :: v_dual_cndmask_b32 v3, v11, v10, s7
	s_wait_storecnt 0x0
	s_barrier_signal -1
	s_barrier_wait -1
	ds_load_b32 v2, v12 offset:28
	v_cndmask_b32_e64 v3, v3, 0, s2
	s_wait_dscnt 0x0
	s_barrier_signal -1
	s_barrier_wait -1
	ds_load_b64 v[16:17], v12 offset:13312
	v_add_nc_u32_e32 v2, v2, v3
	s_wait_dscnt 0x0
	s_delay_alu instid0(VALU_DEP_1) | instskip(NEXT) | instid1(VALU_DEP_1)
	v_dual_mov_b32 v56, v17 :: v_dual_add_nc_u32 v3, v2, v57
	v_add_nc_u32_e32 v4, v3, v41
	s_delay_alu instid0(VALU_DEP_1) | instskip(NEXT) | instid1(VALU_DEP_1)
	v_add_nc_u32_e32 v5, v4, v39
	v_add_nc_u32_e32 v6, v5, v37
	s_delay_alu instid0(VALU_DEP_1) | instskip(NEXT) | instid1(VALU_DEP_1)
	v_add_nc_u32_e32 v7, v6, v58
	;; [unrolled: 3-line block ×5, first 2 shown]
	v_add_nc_u32_e32 v14, v13, v29
	s_branch .LBB1413_75
.LBB1413_66:
	v_mov_b32_dpp v2, v66 row_shr:1 row_mask:0xf bank_mask:0xf
	s_delay_alu instid0(VALU_DEP_1) | instskip(NEXT) | instid1(VALU_DEP_1)
	v_cndmask_b32_e64 v2, v2, 0, s6
	v_add_nc_u32_e32 v2, v2, v66
	s_delay_alu instid0(VALU_DEP_1) | instskip(NEXT) | instid1(VALU_DEP_1)
	v_mov_b32_dpp v3, v2 row_shr:2 row_mask:0xf bank_mask:0xf
	v_cndmask_b32_e64 v3, 0, v3, s5
	s_delay_alu instid0(VALU_DEP_1) | instskip(NEXT) | instid1(VALU_DEP_1)
	v_add_nc_u32_e32 v2, v2, v3
	v_mov_b32_dpp v3, v2 row_shr:4 row_mask:0xf bank_mask:0xf
	s_delay_alu instid0(VALU_DEP_1) | instskip(NEXT) | instid1(VALU_DEP_1)
	v_cndmask_b32_e64 v3, 0, v3, s4
	v_add_nc_u32_e32 v2, v2, v3
	s_delay_alu instid0(VALU_DEP_1) | instskip(NEXT) | instid1(VALU_DEP_1)
	v_mov_b32_dpp v3, v2 row_shr:8 row_mask:0xf bank_mask:0xf
	v_cndmask_b32_e64 v3, 0, v3, s3
	s_delay_alu instid0(VALU_DEP_1) | instskip(SKIP_3) | instid1(VALU_DEP_1)
	v_add_nc_u32_e32 v2, v2, v3
	ds_swizzle_b32 v3, v2 offset:swizzle(BROADCAST,32,15)
	s_wait_dscnt 0x0
	v_cndmask_b32_e64 v3, v3, 0, s1
	v_add_nc_u32_e32 v2, v2, v3
	s_and_saveexec_b32 s1, s0
; %bb.67:
	v_lshlrev_b32_e32 v3, 2, v65
	ds_store_b32 v3, v2
; %bb.68:
	s_or_b32 exec_lo, exec_lo, s1
	s_delay_alu instid0(SALU_CYCLE_1)
	s_mov_b32 s0, exec_lo
	s_wait_dscnt 0x0
	s_barrier_signal -1
	s_barrier_wait -1
	v_cmpx_gt_u32_e32 8, v0
	s_cbranch_execz .LBB1413_70
; %bb.69:
	ds_load_b32 v3, v19
	s_wait_dscnt 0x0
	v_mov_b32_dpp v5, v3 row_shr:1 row_mask:0xf bank_mask:0xf
	v_and_b32_e32 v4, 7, v64
	s_delay_alu instid0(VALU_DEP_1) | instskip(NEXT) | instid1(VALU_DEP_3)
	v_cmp_ne_u32_e32 vcc_lo, 0, v4
	v_cndmask_b32_e32 v5, 0, v5, vcc_lo
	v_cmp_lt_u32_e32 vcc_lo, 1, v4
	s_delay_alu instid0(VALU_DEP_2) | instskip(NEXT) | instid1(VALU_DEP_1)
	v_add_nc_u32_e32 v3, v5, v3
	v_mov_b32_dpp v5, v3 row_shr:2 row_mask:0xf bank_mask:0xf
	s_delay_alu instid0(VALU_DEP_1) | instskip(SKIP_1) | instid1(VALU_DEP_2)
	v_cndmask_b32_e32 v5, 0, v5, vcc_lo
	v_cmp_lt_u32_e32 vcc_lo, 3, v4
	v_add_nc_u32_e32 v3, v3, v5
	s_delay_alu instid0(VALU_DEP_1) | instskip(NEXT) | instid1(VALU_DEP_1)
	v_mov_b32_dpp v5, v3 row_shr:4 row_mask:0xf bank_mask:0xf
	v_cndmask_b32_e32 v4, 0, v5, vcc_lo
	s_delay_alu instid0(VALU_DEP_1)
	v_add_nc_u32_e32 v3, v3, v4
	ds_store_b32 v19, v3
.LBB1413_70:
	s_or_b32 exec_lo, exec_lo, s0
	v_dual_mov_b32 v4, 0 :: v_dual_mov_b32 v3, 0
	s_mov_b32 s0, exec_lo
	s_wait_dscnt 0x0
	s_barrier_signal -1
	s_barrier_wait -1
	v_cmpx_lt_u32_e32 31, v0
; %bb.71:
	v_lshl_add_u32 v3, v65, 2, -4
	ds_load_b32 v3, v3
; %bb.72:
	s_or_b32 exec_lo, exec_lo, s0
	v_sub_co_u32 v5, vcc_lo, v64, 1
	ds_load_b32 v16, v4 offset:28
	s_wait_dscnt 0x1
	v_add_nc_u32_e32 v2, v3, v2
	v_cmp_gt_i32_e64 s0, 0, v5
	s_delay_alu instid0(VALU_DEP_1) | instskip(NEXT) | instid1(VALU_DEP_1)
	v_cndmask_b32_e64 v5, v5, v64, s0
	v_lshlrev_b32_e32 v5, 2, v5
	ds_bpermute_b32 v2, v5, v2
	s_and_saveexec_b32 s0, s2
	s_cbranch_execz .LBB1413_74
; %bb.73:
	v_dual_mov_b32 v4, 0 :: v_dual_mov_b32 v17, 2
	s_wait_dscnt 0x1
	global_store_b64 v4, v[16:17], s[20:21] offset:256 scope:SCOPE_DEV
.LBB1413_74:
	s_wait_xcnt 0x0
	s_or_b32 exec_lo, exec_lo, s0
	s_wait_dscnt 0x0
	v_cndmask_b32_e32 v2, v2, v3, vcc_lo
	s_wait_storecnt 0x0
	s_barrier_signal -1
	s_barrier_wait -1
	s_delay_alu instid0(VALU_DEP_1) | instskip(NEXT) | instid1(VALU_DEP_1)
	v_cndmask_b32_e64 v2, v2, 0, s2
	v_dual_mov_b32 v56, 0 :: v_dual_add_nc_u32 v3, v2, v57
	s_delay_alu instid0(VALU_DEP_1) | instskip(NEXT) | instid1(VALU_DEP_1)
	v_add_nc_u32_e32 v4, v3, v41
	v_add_nc_u32_e32 v5, v4, v39
	s_delay_alu instid0(VALU_DEP_1) | instskip(NEXT) | instid1(VALU_DEP_1)
	v_add_nc_u32_e32 v6, v5, v37
	v_add_nc_u32_e32 v7, v6, v58
	;; [unrolled: 3-line block ×5, first 2 shown]
	s_delay_alu instid0(VALU_DEP_1)
	v_add_nc_u32_e32 v14, v13, v29
.LBB1413_75:
	v_dual_lshrrev_b32 v57, 16, v35 :: v_dual_lshrrev_b32 v58, 8, v35
	v_dual_add_nc_u32 v23, v16, v23 :: v_dual_sub_nc_u32 v3, v3, v56
	v_dual_sub_nc_u32 v2, v2, v56 :: v_dual_bitop2_b32 v35, 1, v35 bitop3:0x40
	s_delay_alu instid0(VALU_DEP_3) | instskip(NEXT) | instid1(VALU_DEP_3)
	v_dual_sub_nc_u32 v4, v4, v56 :: v_dual_bitop2_b32 v58, 1, v58 bitop3:0x40
	v_dual_sub_nc_u32 v59, v23, v3 :: v_dual_bitop2_b32 v57, 1, v57 bitop3:0x40
	s_delay_alu instid0(VALU_DEP_3) | instskip(NEXT) | instid1(VALU_DEP_4)
	v_dual_sub_nc_u32 v60, v23, v2 :: v_dual_sub_nc_u32 v5, v5, v56
	v_cmp_eq_u32_e32 vcc_lo, 1, v35
	s_delay_alu instid0(VALU_DEP_3) | instskip(SKIP_1) | instid1(VALU_DEP_4)
	v_dual_sub_nc_u32 v61, v23, v4 :: v_dual_add_nc_u32 v59, 1, v59
	v_dual_lshrrev_b32 v41, 8, v31 :: v_dual_lshrrev_b32 v39, 16, v31
	v_cndmask_b32_e32 v2, v60, v2, vcc_lo
	v_cmp_eq_u32_e32 vcc_lo, 1, v58
	v_dual_lshrrev_b32 v15, 16, v27 :: v_dual_lshrrev_b32 v17, 8, v27
	v_cndmask_b32_e32 v3, v59, v3, vcc_lo
	s_delay_alu instid0(VALU_DEP_4)
	v_dual_sub_nc_u32 v35, v23, v5 :: v_dual_lshlrev_b32 v2, 2, v2
	v_and_b32_e32 v37, 1, v37
	v_add_nc_u32_e32 v58, 2, v61
	v_cmp_eq_u32_e32 vcc_lo, 1, v57
	v_lshlrev_b32_e32 v3, 2, v3
	v_add_nc_u32_e32 v35, 3, v35
	ds_store_b32 v2, v54
	ds_store_b32 v3, v55
	v_cndmask_b32_e32 v4, v58, v4, vcc_lo
	v_cmp_eq_u32_e32 vcc_lo, 1, v37
	v_dual_cndmask_b32 v5, v35, v5 :: v_dual_sub_nc_u32 v6, v6, v56
	s_delay_alu instid0(VALU_DEP_1) | instskip(NEXT) | instid1(VALU_DEP_2)
	v_dual_lshlrev_b32 v3, 2, v4 :: v_dual_lshlrev_b32 v4, 2, v5
	v_sub_nc_u32_e32 v2, v23, v6
	v_dual_sub_nc_u32 v5, v7, v56 :: v_dual_bitop2_b32 v7, 1, v31 bitop3:0x40
	s_delay_alu instid0(VALU_DEP_2)
	v_add_nc_u32_e32 v2, 4, v2
	ds_store_b32 v3, v52
	ds_store_b32 v4, v53
	v_cmp_eq_u32_e32 vcc_lo, 1, v7
	v_dual_sub_nc_u32 v4, v8, v56 :: v_dual_cndmask_b32 v2, v2, v6, vcc_lo
	v_sub_nc_u32_e32 v3, v23, v5
	v_dual_sub_nc_u32 v7, v9, v56 :: v_dual_bitop2_b32 v6, 1, v41 bitop3:0x40
	s_delay_alu instid0(VALU_DEP_2) | instskip(NEXT) | instid1(VALU_DEP_2)
	v_dual_lshlrev_b32 v2, 2, v2 :: v_dual_add_nc_u32 v3, 5, v3
	v_cmp_eq_u32_e32 vcc_lo, 1, v6
	v_dual_sub_nc_u32 v8, v23, v4 :: v_dual_bitop2_b32 v6, 1, v39 bitop3:0x40
	ds_store_b32 v2, v50
	v_and_b32_e32 v2, 1, v33
	v_cndmask_b32_e32 v3, v3, v5, vcc_lo
	v_dual_sub_nc_u32 v5, v23, v7 :: v_dual_add_nc_u32 v8, 6, v8
	v_cmp_eq_u32_e32 vcc_lo, 1, v6
	s_delay_alu instid0(VALU_DEP_3) | instskip(NEXT) | instid1(VALU_DEP_3)
	v_dual_sub_nc_u32 v6, v11, v56 :: v_dual_lshlrev_b32 v3, 2, v3
	v_dual_cndmask_b32 v4, v8, v4 :: v_dual_add_nc_u32 v5, 7, v5
	v_cmp_eq_u32_e32 vcc_lo, 1, v2
	ds_store_b32 v3, v51
	v_dual_sub_nc_u32 v3, v23, v6 :: v_dual_sub_nc_u32 v8, v14, v56
	v_dual_lshlrev_b32 v4, 2, v4 :: v_dual_cndmask_b32 v2, v5, v7, vcc_lo
	v_dual_sub_nc_u32 v5, v10, v56 :: v_dual_bitop2_b32 v7, 1, v17 bitop3:0x40
	s_delay_alu instid0(VALU_DEP_3)
	v_add_nc_u32_e32 v3, 9, v3
	ds_store_b32 v4, v48
	v_dual_lshlrev_b32 v2, 2, v2 :: v_dual_sub_nc_u32 v4, v23, v5
	v_cmp_eq_u32_e32 vcc_lo, 1, v7
	v_sub_nc_u32_e32 v7, v12, v56
	v_sub_nc_u32_e32 v9, v23, v8
	ds_store_b32 v2, v49
	v_dual_add_nc_u32 v4, 8, v4 :: v_dual_bitop2_b32 v2, 1, v27 bitop3:0x40
	v_dual_cndmask_b32 v3, v3, v6 :: v_dual_sub_nc_u32 v6, v13, v56
	s_delay_alu instid0(VALU_DEP_2) | instskip(NEXT) | instid1(VALU_DEP_2)
	v_cmp_eq_u32_e32 vcc_lo, 1, v2
	v_dual_cndmask_b32 v2, v4, v5, vcc_lo :: v_dual_sub_nc_u32 v4, v23, v6
	v_and_b32_e32 v10, 1, v15
	v_dual_sub_nc_u32 v5, v23, v7 :: v_dual_bitop2_b32 v12, 1, v25 bitop3:0x40
	s_delay_alu instid0(VALU_DEP_3) | instskip(SKIP_1) | instid1(VALU_DEP_1)
	v_dual_lshlrev_b32 v2, 2, v2 :: v_dual_add_nc_u32 v4, 11, v4
	v_and_b32_e32 v11, 1, v29
	v_cmp_eq_u32_e32 vcc_lo, 1, v11
	s_delay_alu instid0(VALU_DEP_3) | instskip(SKIP_3) | instid1(VALU_DEP_1)
	v_cndmask_b32_e32 v4, v4, v6, vcc_lo
	v_cmp_eq_u32_e32 vcc_lo, 1, v10
	v_add_nc_u32_e32 v9, 12, v9
	v_add_nc_u32_e32 v5, 10, v5
	v_cndmask_b32_e32 v5, v5, v7, vcc_lo
	v_cmp_eq_u32_e32 vcc_lo, 1, v12
	s_delay_alu instid0(VALU_DEP_2) | instskip(SKIP_3) | instid1(VALU_DEP_3)
	v_dual_lshlrev_b32 v3, 2, v3 :: v_dual_lshlrev_b32 v5, 2, v5
	v_cndmask_b32_e32 v6, v9, v8, vcc_lo
	v_lshlrev_b32_e32 v4, 2, v4
	v_cmp_ne_u32_e32 vcc_lo, 1, v21
	v_lshlrev_b32_e32 v6, 2, v6
	ds_store_b32 v2, v46
	ds_store_b32 v3, v47
	;; [unrolled: 1-line block ×5, first 2 shown]
	s_wait_dscnt 0x0
	s_barrier_signal -1
	s_barrier_wait -1
	ds_load_2addr_stride64_b32 v[14:15], v19 offset1:4
	ds_load_2addr_stride64_b32 v[12:13], v19 offset0:8 offset1:12
	ds_load_2addr_stride64_b32 v[10:11], v19 offset0:16 offset1:20
	;; [unrolled: 1-line block ×5, first 2 shown]
	ds_load_b32 v46, v19 offset:12288
	v_mov_b32_e32 v1, 0
	s_and_b32 vcc_lo, exec_lo, vcc_lo
	s_delay_alu instid0(VALU_DEP_1) | instskip(SKIP_2) | instid1(VALU_DEP_3)
	v_dual_mov_b32 v29, v1 :: v_dual_mov_b32 v57, v1
	v_dual_mov_b32 v41, v1 :: v_dual_mov_b32 v39, v1
	;; [unrolled: 1-line block ×3, first 2 shown]
	v_add_nc_u64_e32 v[2:3], v[42:43], v[56:57]
	v_dual_mov_b32 v33, v1 :: v_dual_mov_b32 v31, v1
	v_dual_mov_b32 v27, v1 :: v_dual_mov_b32 v25, v1
	v_dual_mov_b32 v23, v1 :: v_dual_mov_b32 v21, v1
	v_mov_b32_e32 v19, v1
	s_cbranch_vccnz .LBB1413_132
; %bb.76:
	v_mov_b32_e32 v17, v1
	s_mov_b32 s15, 0
	v_sub_nc_u64_e64 v[42:43], v[2:3], s[16:17]
	s_sub_nc_u64 s[0:1], s[18:19], s[14:15]
	s_delay_alu instid0(VALU_DEP_2) | instid1(SALU_CYCLE_1)
	v_add_nc_u64_e32 v[44:45], s[0:1], v[16:17]
	s_mov_b32 s0, exec_lo
	s_delay_alu instid0(VALU_DEP_1)
	v_add_nc_u64_e32 v[42:43], v[44:45], v[42:43]
                                        ; implicit-def: $vgpr44_vgpr45
	v_cmpx_ge_u32_e64 v0, v16
	s_xor_b32 s0, exec_lo, s0
; %bb.77:
	v_not_b32_e32 v44, v0
	s_delay_alu instid0(VALU_DEP_1) | instskip(NEXT) | instid1(VALU_DEP_1)
	v_ashrrev_i32_e32 v45, 31, v44
	v_add_nc_u64_e32 v[44:45], v[42:43], v[44:45]
; %bb.78:
	s_and_not1_saveexec_b32 s0, s0
; %bb.79:
	v_add_nc_u64_e32 v[44:45], v[2:3], v[0:1]
; %bb.80:
	s_or_b32 exec_lo, exec_lo, s0
	s_delay_alu instid0(VALU_DEP_1)
	v_lshl_add_u64 v[44:45], v[44:45], 2, s[10:11]
	s_mov_b32 s0, exec_lo
	s_wait_dscnt 0x6
	global_store_b32 v[44:45], v14, off
                                        ; implicit-def: $vgpr44_vgpr45
	s_wait_xcnt 0x0
	v_cmpx_ge_u32_e64 v40, v16
	s_xor_b32 s0, exec_lo, s0
; %bb.81:
	v_xor_b32_e32 v44, 0xfffffeff, v0
	s_delay_alu instid0(VALU_DEP_1) | instskip(NEXT) | instid1(VALU_DEP_1)
	v_ashrrev_i32_e32 v45, 31, v44
	v_add_nc_u64_e32 v[44:45], v[42:43], v[44:45]
; %bb.82:
	s_and_not1_saveexec_b32 s0, s0
; %bb.83:
	v_add_nc_u64_e32 v[44:45], v[2:3], v[40:41]
; %bb.84:
	s_or_b32 exec_lo, exec_lo, s0
	s_delay_alu instid0(VALU_DEP_1)
	v_lshl_add_u64 v[44:45], v[44:45], 2, s[10:11]
	s_mov_b32 s0, exec_lo
	global_store_b32 v[44:45], v15, off
                                        ; implicit-def: $vgpr44_vgpr45
	s_wait_xcnt 0x0
	v_cmpx_ge_u32_e64 v38, v16
	s_xor_b32 s0, exec_lo, s0
; %bb.85:
	v_xor_b32_e32 v44, 0xfffffdff, v0
	s_delay_alu instid0(VALU_DEP_1) | instskip(NEXT) | instid1(VALU_DEP_1)
	v_ashrrev_i32_e32 v45, 31, v44
	v_add_nc_u64_e32 v[44:45], v[42:43], v[44:45]
; %bb.86:
	s_and_not1_saveexec_b32 s0, s0
; %bb.87:
	v_add_nc_u64_e32 v[44:45], v[2:3], v[38:39]
; %bb.88:
	s_or_b32 exec_lo, exec_lo, s0
	s_delay_alu instid0(VALU_DEP_1)
	v_lshl_add_u64 v[44:45], v[44:45], 2, s[10:11]
	s_mov_b32 s0, exec_lo
	s_wait_dscnt 0x5
	global_store_b32 v[44:45], v12, off
                                        ; implicit-def: $vgpr44_vgpr45
	s_wait_xcnt 0x0
	v_cmpx_ge_u32_e64 v36, v16
	s_xor_b32 s0, exec_lo, s0
; %bb.89:
	v_xor_b32_e32 v44, 0xfffffcff, v0
	s_delay_alu instid0(VALU_DEP_1) | instskip(NEXT) | instid1(VALU_DEP_1)
	v_ashrrev_i32_e32 v45, 31, v44
	v_add_nc_u64_e32 v[44:45], v[42:43], v[44:45]
; %bb.90:
	s_and_not1_saveexec_b32 s0, s0
; %bb.91:
	v_add_nc_u64_e32 v[44:45], v[2:3], v[36:37]
; %bb.92:
	s_or_b32 exec_lo, exec_lo, s0
	s_delay_alu instid0(VALU_DEP_1)
	v_lshl_add_u64 v[44:45], v[44:45], 2, s[10:11]
	s_mov_b32 s0, exec_lo
	global_store_b32 v[44:45], v13, off
                                        ; implicit-def: $vgpr44_vgpr45
	s_wait_xcnt 0x0
	v_cmpx_ge_u32_e64 v34, v16
	s_xor_b32 s0, exec_lo, s0
; %bb.93:
	v_xor_b32_e32 v44, 0xfffffbff, v0
	;; [unrolled: 39-line block ×6, first 2 shown]
	s_delay_alu instid0(VALU_DEP_1) | instskip(NEXT) | instid1(VALU_DEP_1)
	v_ashrrev_i32_e32 v45, 31, v44
	v_add_nc_u64_e32 v[44:45], v[42:43], v[44:45]
; %bb.126:
	s_and_not1_saveexec_b32 s0, s0
; %bb.127:
	v_add_nc_u64_e32 v[44:45], v[2:3], v[18:19]
; %bb.128:
	s_or_b32 exec_lo, exec_lo, s0
	s_mov_b32 s0, -1
.LBB1413_129:
	s_delay_alu instid0(SALU_CYCLE_1)
	s_and_saveexec_b32 s1, s0
	s_cbranch_execz .LBB1413_212
.LBB1413_130:
	s_delay_alu instid0(VALU_DEP_1)
	v_lshl_add_u64 v[0:1], v[44:45], 2, s[10:11]
	s_wait_dscnt 0x0
	global_store_b32 v[0:1], v46, off
	s_wait_xcnt 0x0
	s_or_b32 exec_lo, exec_lo, s1
	s_and_b32 s0, s2, s9
	s_delay_alu instid0(SALU_CYCLE_1)
	s_and_saveexec_b32 s1, s0
	s_cbranch_execnz .LBB1413_213
.LBB1413_131:
	s_sendmsg sendmsg(MSG_DEALLOC_VGPRS)
	s_endpgm
.LBB1413_132:
	s_mov_b32 s0, 0
                                        ; implicit-def: $vgpr44_vgpr45
	s_cbranch_execz .LBB1413_129
; %bb.133:
	s_mov_b32 s15, 0
	v_mov_b32_e32 v17, 0
	s_add_nc_u64 s[4:5], s[16:17], s[14:15]
	s_mov_b32 s1, exec_lo
	s_sub_nc_u64 s[4:5], s[18:19], s[4:5]
	s_delay_alu instid0(VALU_DEP_1) | instid1(SALU_CYCLE_1)
	v_add_nc_u64_e32 v[42:43], s[4:5], v[16:17]
	s_delay_alu instid0(VALU_DEP_1)
	v_add_nc_u64_e32 v[42:43], v[42:43], v[2:3]
	v_cmpx_gt_u32_e64 s22, v0
	s_cbranch_execz .LBB1413_169
; %bb.134:
	s_mov_b32 s3, exec_lo
                                        ; implicit-def: $vgpr44_vgpr45
	v_cmpx_ge_u32_e64 v0, v16
	s_xor_b32 s3, exec_lo, s3
; %bb.135:
	v_not_b32_e32 v44, v0
	s_delay_alu instid0(VALU_DEP_1) | instskip(NEXT) | instid1(VALU_DEP_1)
	v_ashrrev_i32_e32 v45, 31, v44
	v_add_nc_u64_e32 v[44:45], v[42:43], v[44:45]
; %bb.136:
	s_and_not1_saveexec_b32 s3, s3
; %bb.137:
	v_add_nc_u64_e32 v[44:45], v[2:3], v[0:1]
; %bb.138:
	s_or_b32 exec_lo, exec_lo, s3
	s_delay_alu instid0(VALU_DEP_1) | instskip(SKIP_4) | instid1(SALU_CYCLE_1)
	v_lshl_add_u64 v[44:45], v[44:45], 2, s[10:11]
	s_wait_dscnt 0x6
	global_store_b32 v[44:45], v14, off
	s_wait_xcnt 0x0
	s_or_b32 exec_lo, exec_lo, s1
	s_mov_b32 s1, exec_lo
	v_cmpx_gt_u32_e64 s22, v40
	s_cbranch_execnz .LBB1413_170
.LBB1413_139:
	s_or_b32 exec_lo, exec_lo, s1
	s_delay_alu instid0(SALU_CYCLE_1)
	s_mov_b32 s1, exec_lo
	v_cmpx_gt_u32_e64 s22, v38
	s_cbranch_execz .LBB1413_175
.LBB1413_140:
	s_mov_b32 s3, exec_lo
                                        ; implicit-def: $vgpr14_vgpr15
	v_cmpx_ge_u32_e64 v38, v16
	s_xor_b32 s3, exec_lo, s3
	s_cbranch_execz .LBB1413_142
; %bb.141:
	s_wait_dscnt 0x6
	v_xor_b32_e32 v14, 0xfffffdff, v0
                                        ; implicit-def: $vgpr38_vgpr39
	s_delay_alu instid0(VALU_DEP_1) | instskip(NEXT) | instid1(VALU_DEP_1)
	v_ashrrev_i32_e32 v15, 31, v14
	v_add_nc_u64_e32 v[14:15], v[42:43], v[14:15]
.LBB1413_142:
	s_and_not1_saveexec_b32 s3, s3
	s_cbranch_execz .LBB1413_144
; %bb.143:
	s_wait_dscnt 0x6
	v_add_nc_u64_e32 v[14:15], v[2:3], v[38:39]
.LBB1413_144:
	s_or_b32 exec_lo, exec_lo, s3
	s_wait_dscnt 0x6
	s_delay_alu instid0(VALU_DEP_1) | instskip(SKIP_4) | instid1(SALU_CYCLE_1)
	v_lshl_add_u64 v[14:15], v[14:15], 2, s[10:11]
	s_wait_dscnt 0x5
	global_store_b32 v[14:15], v12, off
	s_wait_xcnt 0x0
	s_or_b32 exec_lo, exec_lo, s1
	s_mov_b32 s1, exec_lo
	v_cmpx_gt_u32_e64 s22, v36
	s_cbranch_execnz .LBB1413_176
.LBB1413_145:
	s_or_b32 exec_lo, exec_lo, s1
	s_delay_alu instid0(SALU_CYCLE_1)
	s_mov_b32 s1, exec_lo
	v_cmpx_gt_u32_e64 s22, v34
	s_cbranch_execz .LBB1413_181
.LBB1413_146:
	s_mov_b32 s3, exec_lo
                                        ; implicit-def: $vgpr12_vgpr13
	v_cmpx_ge_u32_e64 v34, v16
	s_xor_b32 s3, exec_lo, s3
	s_cbranch_execz .LBB1413_148
; %bb.147:
	s_wait_dscnt 0x5
	v_xor_b32_e32 v12, 0xfffffbff, v0
                                        ; implicit-def: $vgpr34_vgpr35
	s_delay_alu instid0(VALU_DEP_1) | instskip(NEXT) | instid1(VALU_DEP_1)
	v_ashrrev_i32_e32 v13, 31, v12
	v_add_nc_u64_e32 v[12:13], v[42:43], v[12:13]
.LBB1413_148:
	s_and_not1_saveexec_b32 s3, s3
	s_cbranch_execz .LBB1413_150
; %bb.149:
	s_wait_dscnt 0x5
	v_add_nc_u64_e32 v[12:13], v[2:3], v[34:35]
.LBB1413_150:
	s_or_b32 exec_lo, exec_lo, s3
	s_wait_dscnt 0x5
	s_delay_alu instid0(VALU_DEP_1) | instskip(SKIP_4) | instid1(SALU_CYCLE_1)
	v_lshl_add_u64 v[12:13], v[12:13], 2, s[10:11]
	s_wait_dscnt 0x4
	global_store_b32 v[12:13], v10, off
	s_wait_xcnt 0x0
	s_or_b32 exec_lo, exec_lo, s1
	s_mov_b32 s1, exec_lo
	v_cmpx_gt_u32_e64 s22, v32
	s_cbranch_execnz .LBB1413_182
.LBB1413_151:
	s_or_b32 exec_lo, exec_lo, s1
	s_delay_alu instid0(SALU_CYCLE_1)
	s_mov_b32 s1, exec_lo
	v_cmpx_gt_u32_e64 s22, v30
	s_cbranch_execz .LBB1413_187
.LBB1413_152:
	s_mov_b32 s3, exec_lo
                                        ; implicit-def: $vgpr10_vgpr11
	v_cmpx_ge_u32_e64 v30, v16
	s_xor_b32 s3, exec_lo, s3
	s_cbranch_execz .LBB1413_154
; %bb.153:
	s_wait_dscnt 0x4
	v_xor_b32_e32 v10, 0xfffff9ff, v0
                                        ; implicit-def: $vgpr30_vgpr31
	s_delay_alu instid0(VALU_DEP_1) | instskip(NEXT) | instid1(VALU_DEP_1)
	v_ashrrev_i32_e32 v11, 31, v10
	v_add_nc_u64_e32 v[10:11], v[42:43], v[10:11]
.LBB1413_154:
	s_and_not1_saveexec_b32 s3, s3
	s_cbranch_execz .LBB1413_156
; %bb.155:
	s_wait_dscnt 0x4
	v_add_nc_u64_e32 v[10:11], v[2:3], v[30:31]
.LBB1413_156:
	s_or_b32 exec_lo, exec_lo, s3
	s_wait_dscnt 0x4
	s_delay_alu instid0(VALU_DEP_1) | instskip(SKIP_4) | instid1(SALU_CYCLE_1)
	v_lshl_add_u64 v[10:11], v[10:11], 2, s[10:11]
	s_wait_dscnt 0x3
	global_store_b32 v[10:11], v8, off
	s_wait_xcnt 0x0
	s_or_b32 exec_lo, exec_lo, s1
	s_mov_b32 s1, exec_lo
	v_cmpx_gt_u32_e64 s22, v28
	s_cbranch_execnz .LBB1413_188
.LBB1413_157:
	s_or_b32 exec_lo, exec_lo, s1
	s_delay_alu instid0(SALU_CYCLE_1)
	s_mov_b32 s1, exec_lo
	v_cmpx_gt_u32_e64 s22, v26
	s_cbranch_execz .LBB1413_193
.LBB1413_158:
	s_mov_b32 s3, exec_lo
                                        ; implicit-def: $vgpr8_vgpr9
	v_cmpx_ge_u32_e64 v26, v16
	s_xor_b32 s3, exec_lo, s3
	s_cbranch_execz .LBB1413_160
; %bb.159:
	s_wait_dscnt 0x3
	v_xor_b32_e32 v8, 0xfffff7ff, v0
                                        ; implicit-def: $vgpr26_vgpr27
	s_delay_alu instid0(VALU_DEP_1) | instskip(NEXT) | instid1(VALU_DEP_1)
	v_ashrrev_i32_e32 v9, 31, v8
	v_add_nc_u64_e32 v[8:9], v[42:43], v[8:9]
.LBB1413_160:
	s_and_not1_saveexec_b32 s3, s3
	s_cbranch_execz .LBB1413_162
; %bb.161:
	s_wait_dscnt 0x3
	v_add_nc_u64_e32 v[8:9], v[2:3], v[26:27]
.LBB1413_162:
	s_or_b32 exec_lo, exec_lo, s3
	s_wait_dscnt 0x3
	s_delay_alu instid0(VALU_DEP_1) | instskip(SKIP_4) | instid1(SALU_CYCLE_1)
	v_lshl_add_u64 v[8:9], v[8:9], 2, s[10:11]
	s_wait_dscnt 0x2
	global_store_b32 v[8:9], v6, off
	s_wait_xcnt 0x0
	s_or_b32 exec_lo, exec_lo, s1
	s_mov_b32 s1, exec_lo
	v_cmpx_gt_u32_e64 s22, v24
	s_cbranch_execnz .LBB1413_194
.LBB1413_163:
	s_or_b32 exec_lo, exec_lo, s1
	s_delay_alu instid0(SALU_CYCLE_1)
	s_mov_b32 s1, exec_lo
	v_cmpx_gt_u32_e64 s22, v22
	s_cbranch_execz .LBB1413_199
.LBB1413_164:
	s_mov_b32 s3, exec_lo
                                        ; implicit-def: $vgpr6_vgpr7
	v_cmpx_ge_u32_e64 v22, v16
	s_xor_b32 s3, exec_lo, s3
	s_cbranch_execz .LBB1413_166
; %bb.165:
	s_wait_dscnt 0x2
	v_xor_b32_e32 v6, 0xfffff5ff, v0
                                        ; implicit-def: $vgpr22_vgpr23
	s_delay_alu instid0(VALU_DEP_1) | instskip(NEXT) | instid1(VALU_DEP_1)
	v_ashrrev_i32_e32 v7, 31, v6
	v_add_nc_u64_e32 v[6:7], v[42:43], v[6:7]
.LBB1413_166:
	s_and_not1_saveexec_b32 s3, s3
	s_cbranch_execz .LBB1413_168
; %bb.167:
	s_wait_dscnt 0x2
	v_add_nc_u64_e32 v[6:7], v[2:3], v[22:23]
.LBB1413_168:
	s_or_b32 exec_lo, exec_lo, s3
	s_wait_dscnt 0x2
	s_delay_alu instid0(VALU_DEP_1) | instskip(SKIP_4) | instid1(SALU_CYCLE_1)
	v_lshl_add_u64 v[6:7], v[6:7], 2, s[10:11]
	s_wait_dscnt 0x1
	global_store_b32 v[6:7], v4, off
	s_wait_xcnt 0x0
	s_or_b32 exec_lo, exec_lo, s1
	s_mov_b32 s1, exec_lo
	v_cmpx_gt_u32_e64 s22, v20
	s_cbranch_execz .LBB1413_205
	s_branch .LBB1413_200
.LBB1413_169:
	s_or_b32 exec_lo, exec_lo, s1
	s_delay_alu instid0(SALU_CYCLE_1)
	s_mov_b32 s1, exec_lo
	v_cmpx_gt_u32_e64 s22, v40
	s_cbranch_execz .LBB1413_139
.LBB1413_170:
	s_mov_b32 s3, exec_lo
                                        ; implicit-def: $vgpr44_vgpr45
	v_cmpx_ge_u32_e64 v40, v16
	s_xor_b32 s3, exec_lo, s3
; %bb.171:
	v_xor_b32_e32 v40, 0xfffffeff, v0
	s_delay_alu instid0(VALU_DEP_1) | instskip(NEXT) | instid1(VALU_DEP_1)
	v_ashrrev_i32_e32 v41, 31, v40
	v_add_nc_u64_e32 v[44:45], v[42:43], v[40:41]
                                        ; implicit-def: $vgpr40_vgpr41
; %bb.172:
	s_and_not1_saveexec_b32 s3, s3
; %bb.173:
	v_add_nc_u64_e32 v[44:45], v[2:3], v[40:41]
; %bb.174:
	s_or_b32 exec_lo, exec_lo, s3
	s_delay_alu instid0(VALU_DEP_1) | instskip(SKIP_4) | instid1(SALU_CYCLE_1)
	v_lshl_add_u64 v[40:41], v[44:45], 2, s[10:11]
	s_wait_dscnt 0x6
	global_store_b32 v[40:41], v15, off
	s_wait_xcnt 0x0
	s_or_b32 exec_lo, exec_lo, s1
	s_mov_b32 s1, exec_lo
	v_cmpx_gt_u32_e64 s22, v38
	s_cbranch_execnz .LBB1413_140
.LBB1413_175:
	s_or_b32 exec_lo, exec_lo, s1
	s_delay_alu instid0(SALU_CYCLE_1)
	s_mov_b32 s1, exec_lo
	v_cmpx_gt_u32_e64 s22, v36
	s_cbranch_execz .LBB1413_145
.LBB1413_176:
	s_mov_b32 s3, exec_lo
                                        ; implicit-def: $vgpr14_vgpr15
	v_cmpx_ge_u32_e64 v36, v16
	s_xor_b32 s3, exec_lo, s3
	s_cbranch_execz .LBB1413_178
; %bb.177:
	s_wait_dscnt 0x6
	v_xor_b32_e32 v14, 0xfffffcff, v0
                                        ; implicit-def: $vgpr36_vgpr37
	s_delay_alu instid0(VALU_DEP_1) | instskip(NEXT) | instid1(VALU_DEP_1)
	v_ashrrev_i32_e32 v15, 31, v14
	v_add_nc_u64_e32 v[14:15], v[42:43], v[14:15]
.LBB1413_178:
	s_and_not1_saveexec_b32 s3, s3
	s_cbranch_execz .LBB1413_180
; %bb.179:
	s_wait_dscnt 0x6
	v_add_nc_u64_e32 v[14:15], v[2:3], v[36:37]
.LBB1413_180:
	s_or_b32 exec_lo, exec_lo, s3
	s_wait_dscnt 0x6
	s_delay_alu instid0(VALU_DEP_1) | instskip(SKIP_4) | instid1(SALU_CYCLE_1)
	v_lshl_add_u64 v[14:15], v[14:15], 2, s[10:11]
	s_wait_dscnt 0x5
	global_store_b32 v[14:15], v13, off
	s_wait_xcnt 0x0
	s_or_b32 exec_lo, exec_lo, s1
	s_mov_b32 s1, exec_lo
	v_cmpx_gt_u32_e64 s22, v34
	s_cbranch_execnz .LBB1413_146
.LBB1413_181:
	s_or_b32 exec_lo, exec_lo, s1
	s_delay_alu instid0(SALU_CYCLE_1)
	s_mov_b32 s1, exec_lo
	v_cmpx_gt_u32_e64 s22, v32
	s_cbranch_execz .LBB1413_151
.LBB1413_182:
	s_mov_b32 s3, exec_lo
                                        ; implicit-def: $vgpr12_vgpr13
	v_cmpx_ge_u32_e64 v32, v16
	s_xor_b32 s3, exec_lo, s3
	s_cbranch_execz .LBB1413_184
; %bb.183:
	s_wait_dscnt 0x5
	v_xor_b32_e32 v12, 0xfffffaff, v0
                                        ; implicit-def: $vgpr32_vgpr33
	s_delay_alu instid0(VALU_DEP_1) | instskip(NEXT) | instid1(VALU_DEP_1)
	v_ashrrev_i32_e32 v13, 31, v12
	v_add_nc_u64_e32 v[12:13], v[42:43], v[12:13]
.LBB1413_184:
	s_and_not1_saveexec_b32 s3, s3
	s_cbranch_execz .LBB1413_186
; %bb.185:
	s_wait_dscnt 0x5
	v_add_nc_u64_e32 v[12:13], v[2:3], v[32:33]
.LBB1413_186:
	s_or_b32 exec_lo, exec_lo, s3
	s_wait_dscnt 0x5
	s_delay_alu instid0(VALU_DEP_1) | instskip(SKIP_4) | instid1(SALU_CYCLE_1)
	v_lshl_add_u64 v[12:13], v[12:13], 2, s[10:11]
	s_wait_dscnt 0x4
	global_store_b32 v[12:13], v11, off
	s_wait_xcnt 0x0
	s_or_b32 exec_lo, exec_lo, s1
	s_mov_b32 s1, exec_lo
	v_cmpx_gt_u32_e64 s22, v30
	s_cbranch_execnz .LBB1413_152
.LBB1413_187:
	s_or_b32 exec_lo, exec_lo, s1
	s_delay_alu instid0(SALU_CYCLE_1)
	s_mov_b32 s1, exec_lo
	v_cmpx_gt_u32_e64 s22, v28
	s_cbranch_execz .LBB1413_157
.LBB1413_188:
	s_mov_b32 s3, exec_lo
                                        ; implicit-def: $vgpr10_vgpr11
	v_cmpx_ge_u32_e64 v28, v16
	s_xor_b32 s3, exec_lo, s3
	s_cbranch_execz .LBB1413_190
; %bb.189:
	s_wait_dscnt 0x4
	v_xor_b32_e32 v10, 0xfffff8ff, v0
                                        ; implicit-def: $vgpr28_vgpr29
	s_delay_alu instid0(VALU_DEP_1) | instskip(NEXT) | instid1(VALU_DEP_1)
	v_ashrrev_i32_e32 v11, 31, v10
	v_add_nc_u64_e32 v[10:11], v[42:43], v[10:11]
.LBB1413_190:
	s_and_not1_saveexec_b32 s3, s3
	s_cbranch_execz .LBB1413_192
; %bb.191:
	s_wait_dscnt 0x4
	v_add_nc_u64_e32 v[10:11], v[2:3], v[28:29]
.LBB1413_192:
	s_or_b32 exec_lo, exec_lo, s3
	s_wait_dscnt 0x4
	s_delay_alu instid0(VALU_DEP_1) | instskip(SKIP_4) | instid1(SALU_CYCLE_1)
	v_lshl_add_u64 v[10:11], v[10:11], 2, s[10:11]
	s_wait_dscnt 0x3
	global_store_b32 v[10:11], v9, off
	s_wait_xcnt 0x0
	s_or_b32 exec_lo, exec_lo, s1
	s_mov_b32 s1, exec_lo
	v_cmpx_gt_u32_e64 s22, v26
	s_cbranch_execnz .LBB1413_158
.LBB1413_193:
	s_or_b32 exec_lo, exec_lo, s1
	s_delay_alu instid0(SALU_CYCLE_1)
	s_mov_b32 s1, exec_lo
	v_cmpx_gt_u32_e64 s22, v24
	s_cbranch_execz .LBB1413_163
.LBB1413_194:
	s_mov_b32 s3, exec_lo
                                        ; implicit-def: $vgpr8_vgpr9
	v_cmpx_ge_u32_e64 v24, v16
	s_xor_b32 s3, exec_lo, s3
	s_cbranch_execz .LBB1413_196
; %bb.195:
	s_wait_dscnt 0x3
	v_xor_b32_e32 v8, 0xfffff6ff, v0
                                        ; implicit-def: $vgpr24_vgpr25
	s_delay_alu instid0(VALU_DEP_1) | instskip(NEXT) | instid1(VALU_DEP_1)
	v_ashrrev_i32_e32 v9, 31, v8
	v_add_nc_u64_e32 v[8:9], v[42:43], v[8:9]
.LBB1413_196:
	s_and_not1_saveexec_b32 s3, s3
	s_cbranch_execz .LBB1413_198
; %bb.197:
	s_wait_dscnt 0x3
	v_add_nc_u64_e32 v[8:9], v[2:3], v[24:25]
.LBB1413_198:
	s_or_b32 exec_lo, exec_lo, s3
	s_wait_dscnt 0x3
	s_delay_alu instid0(VALU_DEP_1) | instskip(SKIP_4) | instid1(SALU_CYCLE_1)
	v_lshl_add_u64 v[8:9], v[8:9], 2, s[10:11]
	s_wait_dscnt 0x2
	global_store_b32 v[8:9], v7, off
	s_wait_xcnt 0x0
	s_or_b32 exec_lo, exec_lo, s1
	s_mov_b32 s1, exec_lo
	v_cmpx_gt_u32_e64 s22, v22
	s_cbranch_execnz .LBB1413_164
.LBB1413_199:
	s_or_b32 exec_lo, exec_lo, s1
	s_delay_alu instid0(SALU_CYCLE_1)
	s_mov_b32 s1, exec_lo
	v_cmpx_gt_u32_e64 s22, v20
	s_cbranch_execz .LBB1413_205
.LBB1413_200:
	s_mov_b32 s3, exec_lo
                                        ; implicit-def: $vgpr6_vgpr7
	v_cmpx_ge_u32_e64 v20, v16
	s_xor_b32 s3, exec_lo, s3
	s_cbranch_execz .LBB1413_202
; %bb.201:
	s_wait_dscnt 0x2
	v_xor_b32_e32 v6, 0xfffff4ff, v0
                                        ; implicit-def: $vgpr20_vgpr21
	s_delay_alu instid0(VALU_DEP_1) | instskip(NEXT) | instid1(VALU_DEP_1)
	v_ashrrev_i32_e32 v7, 31, v6
	v_add_nc_u64_e32 v[6:7], v[42:43], v[6:7]
.LBB1413_202:
	s_and_not1_saveexec_b32 s3, s3
	s_cbranch_execz .LBB1413_204
; %bb.203:
	s_wait_dscnt 0x2
	v_add_nc_u64_e32 v[6:7], v[2:3], v[20:21]
.LBB1413_204:
	s_or_b32 exec_lo, exec_lo, s3
	s_wait_dscnt 0x2
	s_delay_alu instid0(VALU_DEP_1)
	v_lshl_add_u64 v[6:7], v[6:7], 2, s[10:11]
	s_wait_dscnt 0x1
	global_store_b32 v[6:7], v5, off
.LBB1413_205:
	s_wait_xcnt 0x0
	s_or_b32 exec_lo, exec_lo, s1
	s_delay_alu instid0(SALU_CYCLE_1)
	s_mov_b32 s1, exec_lo
                                        ; implicit-def: $vgpr44_vgpr45
	v_cmpx_gt_u32_e64 s22, v18
	s_cbranch_execz .LBB1413_211
; %bb.206:
	s_mov_b32 s3, exec_lo
                                        ; implicit-def: $vgpr44_vgpr45
	v_cmpx_ge_u32_e64 v18, v16
	s_xor_b32 s3, exec_lo, s3
; %bb.207:
	v_xor_b32_e32 v0, 0xfffff3ff, v0
                                        ; implicit-def: $vgpr18_vgpr19
	s_delay_alu instid0(VALU_DEP_1) | instskip(NEXT) | instid1(VALU_DEP_1)
	v_ashrrev_i32_e32 v1, 31, v0
	v_add_nc_u64_e32 v[44:45], v[42:43], v[0:1]
; %bb.208:
	s_and_not1_saveexec_b32 s3, s3
; %bb.209:
	v_add_nc_u64_e32 v[44:45], v[2:3], v[18:19]
; %bb.210:
	s_or_b32 exec_lo, exec_lo, s3
	s_delay_alu instid0(SALU_CYCLE_1)
	s_or_b32 s0, s0, exec_lo
.LBB1413_211:
	s_or_b32 exec_lo, exec_lo, s1
	s_and_saveexec_b32 s1, s0
	s_cbranch_execnz .LBB1413_130
.LBB1413_212:
	s_or_b32 exec_lo, exec_lo, s1
	s_and_b32 s0, s2, s9
	s_delay_alu instid0(SALU_CYCLE_1)
	s_and_saveexec_b32 s1, s0
	s_cbranch_execz .LBB1413_131
.LBB1413_213:
	v_mov_b32_e32 v17, 0
	s_delay_alu instid0(VALU_DEP_1)
	v_add_nc_u64_e32 v[0:1], v[2:3], v[16:17]
	global_store_b64 v17, v[0:1], s[12:13]
	s_sendmsg sendmsg(MSG_DEALLOC_VGPRS)
	s_endpgm
	.section	.rodata,"a",@progbits
	.p2align	6, 0x0
	.amdhsa_kernel _ZN7rocprim17ROCPRIM_400000_NS6detail17trampoline_kernelINS0_13select_configILj256ELj13ELNS0_17block_load_methodE3ELS4_3ELS4_3ELNS0_20block_scan_algorithmE0ELj4294967295EEENS1_25partition_config_selectorILNS1_17partition_subalgoE3EjNS0_10empty_typeEbEEZZNS1_14partition_implILS8_3ELb0ES6_jNS0_17counting_iteratorIjlEEPS9_SE_NS0_5tupleIJPjSE_EEENSF_IJSE_SE_EEES9_SG_JZNS1_25segmented_radix_sort_implINS0_14default_configELb0EPKfPfPKlPlN2at6native12_GLOBAL__N_18offset_tEEE10hipError_tPvRmT1_PNSt15iterator_traitsISY_E10value_typeET2_T3_PNSZ_IS14_E10value_typeET4_jRbjT5_S1A_jjP12ihipStream_tbEUljE_EEESV_SW_SX_S14_S18_S1A_T6_T7_T9_mT8_S1C_bDpT10_ENKUlT_T0_E_clISt17integral_constantIbLb0EES1O_IbLb1EEEEDaS1K_S1L_EUlS1K_E_NS1_11comp_targetILNS1_3genE0ELNS1_11target_archE4294967295ELNS1_3gpuE0ELNS1_3repE0EEENS1_30default_config_static_selectorELNS0_4arch9wavefront6targetE0EEEvSY_
		.amdhsa_group_segment_fixed_size 13320
		.amdhsa_private_segment_fixed_size 0
		.amdhsa_kernarg_size 152
		.amdhsa_user_sgpr_count 2
		.amdhsa_user_sgpr_dispatch_ptr 0
		.amdhsa_user_sgpr_queue_ptr 0
		.amdhsa_user_sgpr_kernarg_segment_ptr 1
		.amdhsa_user_sgpr_dispatch_id 0
		.amdhsa_user_sgpr_kernarg_preload_length 0
		.amdhsa_user_sgpr_kernarg_preload_offset 0
		.amdhsa_user_sgpr_private_segment_size 0
		.amdhsa_wavefront_size32 1
		.amdhsa_uses_dynamic_stack 0
		.amdhsa_enable_private_segment 0
		.amdhsa_system_sgpr_workgroup_id_x 1
		.amdhsa_system_sgpr_workgroup_id_y 0
		.amdhsa_system_sgpr_workgroup_id_z 0
		.amdhsa_system_sgpr_workgroup_info 0
		.amdhsa_system_vgpr_workitem_id 0
		.amdhsa_next_free_vgpr 72
		.amdhsa_next_free_sgpr 24
		.amdhsa_named_barrier_count 0
		.amdhsa_reserve_vcc 1
		.amdhsa_float_round_mode_32 0
		.amdhsa_float_round_mode_16_64 0
		.amdhsa_float_denorm_mode_32 3
		.amdhsa_float_denorm_mode_16_64 3
		.amdhsa_fp16_overflow 0
		.amdhsa_memory_ordered 1
		.amdhsa_forward_progress 1
		.amdhsa_inst_pref_size 71
		.amdhsa_round_robin_scheduling 0
		.amdhsa_exception_fp_ieee_invalid_op 0
		.amdhsa_exception_fp_denorm_src 0
		.amdhsa_exception_fp_ieee_div_zero 0
		.amdhsa_exception_fp_ieee_overflow 0
		.amdhsa_exception_fp_ieee_underflow 0
		.amdhsa_exception_fp_ieee_inexact 0
		.amdhsa_exception_int_div_zero 0
	.end_amdhsa_kernel
	.section	.text._ZN7rocprim17ROCPRIM_400000_NS6detail17trampoline_kernelINS0_13select_configILj256ELj13ELNS0_17block_load_methodE3ELS4_3ELS4_3ELNS0_20block_scan_algorithmE0ELj4294967295EEENS1_25partition_config_selectorILNS1_17partition_subalgoE3EjNS0_10empty_typeEbEEZZNS1_14partition_implILS8_3ELb0ES6_jNS0_17counting_iteratorIjlEEPS9_SE_NS0_5tupleIJPjSE_EEENSF_IJSE_SE_EEES9_SG_JZNS1_25segmented_radix_sort_implINS0_14default_configELb0EPKfPfPKlPlN2at6native12_GLOBAL__N_18offset_tEEE10hipError_tPvRmT1_PNSt15iterator_traitsISY_E10value_typeET2_T3_PNSZ_IS14_E10value_typeET4_jRbjT5_S1A_jjP12ihipStream_tbEUljE_EEESV_SW_SX_S14_S18_S1A_T6_T7_T9_mT8_S1C_bDpT10_ENKUlT_T0_E_clISt17integral_constantIbLb0EES1O_IbLb1EEEEDaS1K_S1L_EUlS1K_E_NS1_11comp_targetILNS1_3genE0ELNS1_11target_archE4294967295ELNS1_3gpuE0ELNS1_3repE0EEENS1_30default_config_static_selectorELNS0_4arch9wavefront6targetE0EEEvSY_,"axG",@progbits,_ZN7rocprim17ROCPRIM_400000_NS6detail17trampoline_kernelINS0_13select_configILj256ELj13ELNS0_17block_load_methodE3ELS4_3ELS4_3ELNS0_20block_scan_algorithmE0ELj4294967295EEENS1_25partition_config_selectorILNS1_17partition_subalgoE3EjNS0_10empty_typeEbEEZZNS1_14partition_implILS8_3ELb0ES6_jNS0_17counting_iteratorIjlEEPS9_SE_NS0_5tupleIJPjSE_EEENSF_IJSE_SE_EEES9_SG_JZNS1_25segmented_radix_sort_implINS0_14default_configELb0EPKfPfPKlPlN2at6native12_GLOBAL__N_18offset_tEEE10hipError_tPvRmT1_PNSt15iterator_traitsISY_E10value_typeET2_T3_PNSZ_IS14_E10value_typeET4_jRbjT5_S1A_jjP12ihipStream_tbEUljE_EEESV_SW_SX_S14_S18_S1A_T6_T7_T9_mT8_S1C_bDpT10_ENKUlT_T0_E_clISt17integral_constantIbLb0EES1O_IbLb1EEEEDaS1K_S1L_EUlS1K_E_NS1_11comp_targetILNS1_3genE0ELNS1_11target_archE4294967295ELNS1_3gpuE0ELNS1_3repE0EEENS1_30default_config_static_selectorELNS0_4arch9wavefront6targetE0EEEvSY_,comdat
.Lfunc_end1413:
	.size	_ZN7rocprim17ROCPRIM_400000_NS6detail17trampoline_kernelINS0_13select_configILj256ELj13ELNS0_17block_load_methodE3ELS4_3ELS4_3ELNS0_20block_scan_algorithmE0ELj4294967295EEENS1_25partition_config_selectorILNS1_17partition_subalgoE3EjNS0_10empty_typeEbEEZZNS1_14partition_implILS8_3ELb0ES6_jNS0_17counting_iteratorIjlEEPS9_SE_NS0_5tupleIJPjSE_EEENSF_IJSE_SE_EEES9_SG_JZNS1_25segmented_radix_sort_implINS0_14default_configELb0EPKfPfPKlPlN2at6native12_GLOBAL__N_18offset_tEEE10hipError_tPvRmT1_PNSt15iterator_traitsISY_E10value_typeET2_T3_PNSZ_IS14_E10value_typeET4_jRbjT5_S1A_jjP12ihipStream_tbEUljE_EEESV_SW_SX_S14_S18_S1A_T6_T7_T9_mT8_S1C_bDpT10_ENKUlT_T0_E_clISt17integral_constantIbLb0EES1O_IbLb1EEEEDaS1K_S1L_EUlS1K_E_NS1_11comp_targetILNS1_3genE0ELNS1_11target_archE4294967295ELNS1_3gpuE0ELNS1_3repE0EEENS1_30default_config_static_selectorELNS0_4arch9wavefront6targetE0EEEvSY_, .Lfunc_end1413-_ZN7rocprim17ROCPRIM_400000_NS6detail17trampoline_kernelINS0_13select_configILj256ELj13ELNS0_17block_load_methodE3ELS4_3ELS4_3ELNS0_20block_scan_algorithmE0ELj4294967295EEENS1_25partition_config_selectorILNS1_17partition_subalgoE3EjNS0_10empty_typeEbEEZZNS1_14partition_implILS8_3ELb0ES6_jNS0_17counting_iteratorIjlEEPS9_SE_NS0_5tupleIJPjSE_EEENSF_IJSE_SE_EEES9_SG_JZNS1_25segmented_radix_sort_implINS0_14default_configELb0EPKfPfPKlPlN2at6native12_GLOBAL__N_18offset_tEEE10hipError_tPvRmT1_PNSt15iterator_traitsISY_E10value_typeET2_T3_PNSZ_IS14_E10value_typeET4_jRbjT5_S1A_jjP12ihipStream_tbEUljE_EEESV_SW_SX_S14_S18_S1A_T6_T7_T9_mT8_S1C_bDpT10_ENKUlT_T0_E_clISt17integral_constantIbLb0EES1O_IbLb1EEEEDaS1K_S1L_EUlS1K_E_NS1_11comp_targetILNS1_3genE0ELNS1_11target_archE4294967295ELNS1_3gpuE0ELNS1_3repE0EEENS1_30default_config_static_selectorELNS0_4arch9wavefront6targetE0EEEvSY_
                                        ; -- End function
	.set _ZN7rocprim17ROCPRIM_400000_NS6detail17trampoline_kernelINS0_13select_configILj256ELj13ELNS0_17block_load_methodE3ELS4_3ELS4_3ELNS0_20block_scan_algorithmE0ELj4294967295EEENS1_25partition_config_selectorILNS1_17partition_subalgoE3EjNS0_10empty_typeEbEEZZNS1_14partition_implILS8_3ELb0ES6_jNS0_17counting_iteratorIjlEEPS9_SE_NS0_5tupleIJPjSE_EEENSF_IJSE_SE_EEES9_SG_JZNS1_25segmented_radix_sort_implINS0_14default_configELb0EPKfPfPKlPlN2at6native12_GLOBAL__N_18offset_tEEE10hipError_tPvRmT1_PNSt15iterator_traitsISY_E10value_typeET2_T3_PNSZ_IS14_E10value_typeET4_jRbjT5_S1A_jjP12ihipStream_tbEUljE_EEESV_SW_SX_S14_S18_S1A_T6_T7_T9_mT8_S1C_bDpT10_ENKUlT_T0_E_clISt17integral_constantIbLb0EES1O_IbLb1EEEEDaS1K_S1L_EUlS1K_E_NS1_11comp_targetILNS1_3genE0ELNS1_11target_archE4294967295ELNS1_3gpuE0ELNS1_3repE0EEENS1_30default_config_static_selectorELNS0_4arch9wavefront6targetE0EEEvSY_.num_vgpr, 72
	.set _ZN7rocprim17ROCPRIM_400000_NS6detail17trampoline_kernelINS0_13select_configILj256ELj13ELNS0_17block_load_methodE3ELS4_3ELS4_3ELNS0_20block_scan_algorithmE0ELj4294967295EEENS1_25partition_config_selectorILNS1_17partition_subalgoE3EjNS0_10empty_typeEbEEZZNS1_14partition_implILS8_3ELb0ES6_jNS0_17counting_iteratorIjlEEPS9_SE_NS0_5tupleIJPjSE_EEENSF_IJSE_SE_EEES9_SG_JZNS1_25segmented_radix_sort_implINS0_14default_configELb0EPKfPfPKlPlN2at6native12_GLOBAL__N_18offset_tEEE10hipError_tPvRmT1_PNSt15iterator_traitsISY_E10value_typeET2_T3_PNSZ_IS14_E10value_typeET4_jRbjT5_S1A_jjP12ihipStream_tbEUljE_EEESV_SW_SX_S14_S18_S1A_T6_T7_T9_mT8_S1C_bDpT10_ENKUlT_T0_E_clISt17integral_constantIbLb0EES1O_IbLb1EEEEDaS1K_S1L_EUlS1K_E_NS1_11comp_targetILNS1_3genE0ELNS1_11target_archE4294967295ELNS1_3gpuE0ELNS1_3repE0EEENS1_30default_config_static_selectorELNS0_4arch9wavefront6targetE0EEEvSY_.num_agpr, 0
	.set _ZN7rocprim17ROCPRIM_400000_NS6detail17trampoline_kernelINS0_13select_configILj256ELj13ELNS0_17block_load_methodE3ELS4_3ELS4_3ELNS0_20block_scan_algorithmE0ELj4294967295EEENS1_25partition_config_selectorILNS1_17partition_subalgoE3EjNS0_10empty_typeEbEEZZNS1_14partition_implILS8_3ELb0ES6_jNS0_17counting_iteratorIjlEEPS9_SE_NS0_5tupleIJPjSE_EEENSF_IJSE_SE_EEES9_SG_JZNS1_25segmented_radix_sort_implINS0_14default_configELb0EPKfPfPKlPlN2at6native12_GLOBAL__N_18offset_tEEE10hipError_tPvRmT1_PNSt15iterator_traitsISY_E10value_typeET2_T3_PNSZ_IS14_E10value_typeET4_jRbjT5_S1A_jjP12ihipStream_tbEUljE_EEESV_SW_SX_S14_S18_S1A_T6_T7_T9_mT8_S1C_bDpT10_ENKUlT_T0_E_clISt17integral_constantIbLb0EES1O_IbLb1EEEEDaS1K_S1L_EUlS1K_E_NS1_11comp_targetILNS1_3genE0ELNS1_11target_archE4294967295ELNS1_3gpuE0ELNS1_3repE0EEENS1_30default_config_static_selectorELNS0_4arch9wavefront6targetE0EEEvSY_.numbered_sgpr, 24
	.set _ZN7rocprim17ROCPRIM_400000_NS6detail17trampoline_kernelINS0_13select_configILj256ELj13ELNS0_17block_load_methodE3ELS4_3ELS4_3ELNS0_20block_scan_algorithmE0ELj4294967295EEENS1_25partition_config_selectorILNS1_17partition_subalgoE3EjNS0_10empty_typeEbEEZZNS1_14partition_implILS8_3ELb0ES6_jNS0_17counting_iteratorIjlEEPS9_SE_NS0_5tupleIJPjSE_EEENSF_IJSE_SE_EEES9_SG_JZNS1_25segmented_radix_sort_implINS0_14default_configELb0EPKfPfPKlPlN2at6native12_GLOBAL__N_18offset_tEEE10hipError_tPvRmT1_PNSt15iterator_traitsISY_E10value_typeET2_T3_PNSZ_IS14_E10value_typeET4_jRbjT5_S1A_jjP12ihipStream_tbEUljE_EEESV_SW_SX_S14_S18_S1A_T6_T7_T9_mT8_S1C_bDpT10_ENKUlT_T0_E_clISt17integral_constantIbLb0EES1O_IbLb1EEEEDaS1K_S1L_EUlS1K_E_NS1_11comp_targetILNS1_3genE0ELNS1_11target_archE4294967295ELNS1_3gpuE0ELNS1_3repE0EEENS1_30default_config_static_selectorELNS0_4arch9wavefront6targetE0EEEvSY_.num_named_barrier, 0
	.set _ZN7rocprim17ROCPRIM_400000_NS6detail17trampoline_kernelINS0_13select_configILj256ELj13ELNS0_17block_load_methodE3ELS4_3ELS4_3ELNS0_20block_scan_algorithmE0ELj4294967295EEENS1_25partition_config_selectorILNS1_17partition_subalgoE3EjNS0_10empty_typeEbEEZZNS1_14partition_implILS8_3ELb0ES6_jNS0_17counting_iteratorIjlEEPS9_SE_NS0_5tupleIJPjSE_EEENSF_IJSE_SE_EEES9_SG_JZNS1_25segmented_radix_sort_implINS0_14default_configELb0EPKfPfPKlPlN2at6native12_GLOBAL__N_18offset_tEEE10hipError_tPvRmT1_PNSt15iterator_traitsISY_E10value_typeET2_T3_PNSZ_IS14_E10value_typeET4_jRbjT5_S1A_jjP12ihipStream_tbEUljE_EEESV_SW_SX_S14_S18_S1A_T6_T7_T9_mT8_S1C_bDpT10_ENKUlT_T0_E_clISt17integral_constantIbLb0EES1O_IbLb1EEEEDaS1K_S1L_EUlS1K_E_NS1_11comp_targetILNS1_3genE0ELNS1_11target_archE4294967295ELNS1_3gpuE0ELNS1_3repE0EEENS1_30default_config_static_selectorELNS0_4arch9wavefront6targetE0EEEvSY_.private_seg_size, 0
	.set _ZN7rocprim17ROCPRIM_400000_NS6detail17trampoline_kernelINS0_13select_configILj256ELj13ELNS0_17block_load_methodE3ELS4_3ELS4_3ELNS0_20block_scan_algorithmE0ELj4294967295EEENS1_25partition_config_selectorILNS1_17partition_subalgoE3EjNS0_10empty_typeEbEEZZNS1_14partition_implILS8_3ELb0ES6_jNS0_17counting_iteratorIjlEEPS9_SE_NS0_5tupleIJPjSE_EEENSF_IJSE_SE_EEES9_SG_JZNS1_25segmented_radix_sort_implINS0_14default_configELb0EPKfPfPKlPlN2at6native12_GLOBAL__N_18offset_tEEE10hipError_tPvRmT1_PNSt15iterator_traitsISY_E10value_typeET2_T3_PNSZ_IS14_E10value_typeET4_jRbjT5_S1A_jjP12ihipStream_tbEUljE_EEESV_SW_SX_S14_S18_S1A_T6_T7_T9_mT8_S1C_bDpT10_ENKUlT_T0_E_clISt17integral_constantIbLb0EES1O_IbLb1EEEEDaS1K_S1L_EUlS1K_E_NS1_11comp_targetILNS1_3genE0ELNS1_11target_archE4294967295ELNS1_3gpuE0ELNS1_3repE0EEENS1_30default_config_static_selectorELNS0_4arch9wavefront6targetE0EEEvSY_.uses_vcc, 1
	.set _ZN7rocprim17ROCPRIM_400000_NS6detail17trampoline_kernelINS0_13select_configILj256ELj13ELNS0_17block_load_methodE3ELS4_3ELS4_3ELNS0_20block_scan_algorithmE0ELj4294967295EEENS1_25partition_config_selectorILNS1_17partition_subalgoE3EjNS0_10empty_typeEbEEZZNS1_14partition_implILS8_3ELb0ES6_jNS0_17counting_iteratorIjlEEPS9_SE_NS0_5tupleIJPjSE_EEENSF_IJSE_SE_EEES9_SG_JZNS1_25segmented_radix_sort_implINS0_14default_configELb0EPKfPfPKlPlN2at6native12_GLOBAL__N_18offset_tEEE10hipError_tPvRmT1_PNSt15iterator_traitsISY_E10value_typeET2_T3_PNSZ_IS14_E10value_typeET4_jRbjT5_S1A_jjP12ihipStream_tbEUljE_EEESV_SW_SX_S14_S18_S1A_T6_T7_T9_mT8_S1C_bDpT10_ENKUlT_T0_E_clISt17integral_constantIbLb0EES1O_IbLb1EEEEDaS1K_S1L_EUlS1K_E_NS1_11comp_targetILNS1_3genE0ELNS1_11target_archE4294967295ELNS1_3gpuE0ELNS1_3repE0EEENS1_30default_config_static_selectorELNS0_4arch9wavefront6targetE0EEEvSY_.uses_flat_scratch, 0
	.set _ZN7rocprim17ROCPRIM_400000_NS6detail17trampoline_kernelINS0_13select_configILj256ELj13ELNS0_17block_load_methodE3ELS4_3ELS4_3ELNS0_20block_scan_algorithmE0ELj4294967295EEENS1_25partition_config_selectorILNS1_17partition_subalgoE3EjNS0_10empty_typeEbEEZZNS1_14partition_implILS8_3ELb0ES6_jNS0_17counting_iteratorIjlEEPS9_SE_NS0_5tupleIJPjSE_EEENSF_IJSE_SE_EEES9_SG_JZNS1_25segmented_radix_sort_implINS0_14default_configELb0EPKfPfPKlPlN2at6native12_GLOBAL__N_18offset_tEEE10hipError_tPvRmT1_PNSt15iterator_traitsISY_E10value_typeET2_T3_PNSZ_IS14_E10value_typeET4_jRbjT5_S1A_jjP12ihipStream_tbEUljE_EEESV_SW_SX_S14_S18_S1A_T6_T7_T9_mT8_S1C_bDpT10_ENKUlT_T0_E_clISt17integral_constantIbLb0EES1O_IbLb1EEEEDaS1K_S1L_EUlS1K_E_NS1_11comp_targetILNS1_3genE0ELNS1_11target_archE4294967295ELNS1_3gpuE0ELNS1_3repE0EEENS1_30default_config_static_selectorELNS0_4arch9wavefront6targetE0EEEvSY_.has_dyn_sized_stack, 0
	.set _ZN7rocprim17ROCPRIM_400000_NS6detail17trampoline_kernelINS0_13select_configILj256ELj13ELNS0_17block_load_methodE3ELS4_3ELS4_3ELNS0_20block_scan_algorithmE0ELj4294967295EEENS1_25partition_config_selectorILNS1_17partition_subalgoE3EjNS0_10empty_typeEbEEZZNS1_14partition_implILS8_3ELb0ES6_jNS0_17counting_iteratorIjlEEPS9_SE_NS0_5tupleIJPjSE_EEENSF_IJSE_SE_EEES9_SG_JZNS1_25segmented_radix_sort_implINS0_14default_configELb0EPKfPfPKlPlN2at6native12_GLOBAL__N_18offset_tEEE10hipError_tPvRmT1_PNSt15iterator_traitsISY_E10value_typeET2_T3_PNSZ_IS14_E10value_typeET4_jRbjT5_S1A_jjP12ihipStream_tbEUljE_EEESV_SW_SX_S14_S18_S1A_T6_T7_T9_mT8_S1C_bDpT10_ENKUlT_T0_E_clISt17integral_constantIbLb0EES1O_IbLb1EEEEDaS1K_S1L_EUlS1K_E_NS1_11comp_targetILNS1_3genE0ELNS1_11target_archE4294967295ELNS1_3gpuE0ELNS1_3repE0EEENS1_30default_config_static_selectorELNS0_4arch9wavefront6targetE0EEEvSY_.has_recursion, 0
	.set _ZN7rocprim17ROCPRIM_400000_NS6detail17trampoline_kernelINS0_13select_configILj256ELj13ELNS0_17block_load_methodE3ELS4_3ELS4_3ELNS0_20block_scan_algorithmE0ELj4294967295EEENS1_25partition_config_selectorILNS1_17partition_subalgoE3EjNS0_10empty_typeEbEEZZNS1_14partition_implILS8_3ELb0ES6_jNS0_17counting_iteratorIjlEEPS9_SE_NS0_5tupleIJPjSE_EEENSF_IJSE_SE_EEES9_SG_JZNS1_25segmented_radix_sort_implINS0_14default_configELb0EPKfPfPKlPlN2at6native12_GLOBAL__N_18offset_tEEE10hipError_tPvRmT1_PNSt15iterator_traitsISY_E10value_typeET2_T3_PNSZ_IS14_E10value_typeET4_jRbjT5_S1A_jjP12ihipStream_tbEUljE_EEESV_SW_SX_S14_S18_S1A_T6_T7_T9_mT8_S1C_bDpT10_ENKUlT_T0_E_clISt17integral_constantIbLb0EES1O_IbLb1EEEEDaS1K_S1L_EUlS1K_E_NS1_11comp_targetILNS1_3genE0ELNS1_11target_archE4294967295ELNS1_3gpuE0ELNS1_3repE0EEENS1_30default_config_static_selectorELNS0_4arch9wavefront6targetE0EEEvSY_.has_indirect_call, 0
	.section	.AMDGPU.csdata,"",@progbits
; Kernel info:
; codeLenInByte = 9040
; TotalNumSgprs: 26
; NumVgprs: 72
; ScratchSize: 0
; MemoryBound: 0
; FloatMode: 240
; IeeeMode: 1
; LDSByteSize: 13320 bytes/workgroup (compile time only)
; SGPRBlocks: 0
; VGPRBlocks: 4
; NumSGPRsForWavesPerEU: 26
; NumVGPRsForWavesPerEU: 72
; NamedBarCnt: 0
; Occupancy: 12
; WaveLimiterHint : 0
; COMPUTE_PGM_RSRC2:SCRATCH_EN: 0
; COMPUTE_PGM_RSRC2:USER_SGPR: 2
; COMPUTE_PGM_RSRC2:TRAP_HANDLER: 0
; COMPUTE_PGM_RSRC2:TGID_X_EN: 1
; COMPUTE_PGM_RSRC2:TGID_Y_EN: 0
; COMPUTE_PGM_RSRC2:TGID_Z_EN: 0
; COMPUTE_PGM_RSRC2:TIDIG_COMP_CNT: 0
	.section	.text._ZN7rocprim17ROCPRIM_400000_NS6detail17trampoline_kernelINS0_13select_configILj256ELj13ELNS0_17block_load_methodE3ELS4_3ELS4_3ELNS0_20block_scan_algorithmE0ELj4294967295EEENS1_25partition_config_selectorILNS1_17partition_subalgoE3EjNS0_10empty_typeEbEEZZNS1_14partition_implILS8_3ELb0ES6_jNS0_17counting_iteratorIjlEEPS9_SE_NS0_5tupleIJPjSE_EEENSF_IJSE_SE_EEES9_SG_JZNS1_25segmented_radix_sort_implINS0_14default_configELb0EPKfPfPKlPlN2at6native12_GLOBAL__N_18offset_tEEE10hipError_tPvRmT1_PNSt15iterator_traitsISY_E10value_typeET2_T3_PNSZ_IS14_E10value_typeET4_jRbjT5_S1A_jjP12ihipStream_tbEUljE_EEESV_SW_SX_S14_S18_S1A_T6_T7_T9_mT8_S1C_bDpT10_ENKUlT_T0_E_clISt17integral_constantIbLb0EES1O_IbLb1EEEEDaS1K_S1L_EUlS1K_E_NS1_11comp_targetILNS1_3genE5ELNS1_11target_archE942ELNS1_3gpuE9ELNS1_3repE0EEENS1_30default_config_static_selectorELNS0_4arch9wavefront6targetE0EEEvSY_,"axG",@progbits,_ZN7rocprim17ROCPRIM_400000_NS6detail17trampoline_kernelINS0_13select_configILj256ELj13ELNS0_17block_load_methodE3ELS4_3ELS4_3ELNS0_20block_scan_algorithmE0ELj4294967295EEENS1_25partition_config_selectorILNS1_17partition_subalgoE3EjNS0_10empty_typeEbEEZZNS1_14partition_implILS8_3ELb0ES6_jNS0_17counting_iteratorIjlEEPS9_SE_NS0_5tupleIJPjSE_EEENSF_IJSE_SE_EEES9_SG_JZNS1_25segmented_radix_sort_implINS0_14default_configELb0EPKfPfPKlPlN2at6native12_GLOBAL__N_18offset_tEEE10hipError_tPvRmT1_PNSt15iterator_traitsISY_E10value_typeET2_T3_PNSZ_IS14_E10value_typeET4_jRbjT5_S1A_jjP12ihipStream_tbEUljE_EEESV_SW_SX_S14_S18_S1A_T6_T7_T9_mT8_S1C_bDpT10_ENKUlT_T0_E_clISt17integral_constantIbLb0EES1O_IbLb1EEEEDaS1K_S1L_EUlS1K_E_NS1_11comp_targetILNS1_3genE5ELNS1_11target_archE942ELNS1_3gpuE9ELNS1_3repE0EEENS1_30default_config_static_selectorELNS0_4arch9wavefront6targetE0EEEvSY_,comdat
	.globl	_ZN7rocprim17ROCPRIM_400000_NS6detail17trampoline_kernelINS0_13select_configILj256ELj13ELNS0_17block_load_methodE3ELS4_3ELS4_3ELNS0_20block_scan_algorithmE0ELj4294967295EEENS1_25partition_config_selectorILNS1_17partition_subalgoE3EjNS0_10empty_typeEbEEZZNS1_14partition_implILS8_3ELb0ES6_jNS0_17counting_iteratorIjlEEPS9_SE_NS0_5tupleIJPjSE_EEENSF_IJSE_SE_EEES9_SG_JZNS1_25segmented_radix_sort_implINS0_14default_configELb0EPKfPfPKlPlN2at6native12_GLOBAL__N_18offset_tEEE10hipError_tPvRmT1_PNSt15iterator_traitsISY_E10value_typeET2_T3_PNSZ_IS14_E10value_typeET4_jRbjT5_S1A_jjP12ihipStream_tbEUljE_EEESV_SW_SX_S14_S18_S1A_T6_T7_T9_mT8_S1C_bDpT10_ENKUlT_T0_E_clISt17integral_constantIbLb0EES1O_IbLb1EEEEDaS1K_S1L_EUlS1K_E_NS1_11comp_targetILNS1_3genE5ELNS1_11target_archE942ELNS1_3gpuE9ELNS1_3repE0EEENS1_30default_config_static_selectorELNS0_4arch9wavefront6targetE0EEEvSY_ ; -- Begin function _ZN7rocprim17ROCPRIM_400000_NS6detail17trampoline_kernelINS0_13select_configILj256ELj13ELNS0_17block_load_methodE3ELS4_3ELS4_3ELNS0_20block_scan_algorithmE0ELj4294967295EEENS1_25partition_config_selectorILNS1_17partition_subalgoE3EjNS0_10empty_typeEbEEZZNS1_14partition_implILS8_3ELb0ES6_jNS0_17counting_iteratorIjlEEPS9_SE_NS0_5tupleIJPjSE_EEENSF_IJSE_SE_EEES9_SG_JZNS1_25segmented_radix_sort_implINS0_14default_configELb0EPKfPfPKlPlN2at6native12_GLOBAL__N_18offset_tEEE10hipError_tPvRmT1_PNSt15iterator_traitsISY_E10value_typeET2_T3_PNSZ_IS14_E10value_typeET4_jRbjT5_S1A_jjP12ihipStream_tbEUljE_EEESV_SW_SX_S14_S18_S1A_T6_T7_T9_mT8_S1C_bDpT10_ENKUlT_T0_E_clISt17integral_constantIbLb0EES1O_IbLb1EEEEDaS1K_S1L_EUlS1K_E_NS1_11comp_targetILNS1_3genE5ELNS1_11target_archE942ELNS1_3gpuE9ELNS1_3repE0EEENS1_30default_config_static_selectorELNS0_4arch9wavefront6targetE0EEEvSY_
	.p2align	8
	.type	_ZN7rocprim17ROCPRIM_400000_NS6detail17trampoline_kernelINS0_13select_configILj256ELj13ELNS0_17block_load_methodE3ELS4_3ELS4_3ELNS0_20block_scan_algorithmE0ELj4294967295EEENS1_25partition_config_selectorILNS1_17partition_subalgoE3EjNS0_10empty_typeEbEEZZNS1_14partition_implILS8_3ELb0ES6_jNS0_17counting_iteratorIjlEEPS9_SE_NS0_5tupleIJPjSE_EEENSF_IJSE_SE_EEES9_SG_JZNS1_25segmented_radix_sort_implINS0_14default_configELb0EPKfPfPKlPlN2at6native12_GLOBAL__N_18offset_tEEE10hipError_tPvRmT1_PNSt15iterator_traitsISY_E10value_typeET2_T3_PNSZ_IS14_E10value_typeET4_jRbjT5_S1A_jjP12ihipStream_tbEUljE_EEESV_SW_SX_S14_S18_S1A_T6_T7_T9_mT8_S1C_bDpT10_ENKUlT_T0_E_clISt17integral_constantIbLb0EES1O_IbLb1EEEEDaS1K_S1L_EUlS1K_E_NS1_11comp_targetILNS1_3genE5ELNS1_11target_archE942ELNS1_3gpuE9ELNS1_3repE0EEENS1_30default_config_static_selectorELNS0_4arch9wavefront6targetE0EEEvSY_,@function
_ZN7rocprim17ROCPRIM_400000_NS6detail17trampoline_kernelINS0_13select_configILj256ELj13ELNS0_17block_load_methodE3ELS4_3ELS4_3ELNS0_20block_scan_algorithmE0ELj4294967295EEENS1_25partition_config_selectorILNS1_17partition_subalgoE3EjNS0_10empty_typeEbEEZZNS1_14partition_implILS8_3ELb0ES6_jNS0_17counting_iteratorIjlEEPS9_SE_NS0_5tupleIJPjSE_EEENSF_IJSE_SE_EEES9_SG_JZNS1_25segmented_radix_sort_implINS0_14default_configELb0EPKfPfPKlPlN2at6native12_GLOBAL__N_18offset_tEEE10hipError_tPvRmT1_PNSt15iterator_traitsISY_E10value_typeET2_T3_PNSZ_IS14_E10value_typeET4_jRbjT5_S1A_jjP12ihipStream_tbEUljE_EEESV_SW_SX_S14_S18_S1A_T6_T7_T9_mT8_S1C_bDpT10_ENKUlT_T0_E_clISt17integral_constantIbLb0EES1O_IbLb1EEEEDaS1K_S1L_EUlS1K_E_NS1_11comp_targetILNS1_3genE5ELNS1_11target_archE942ELNS1_3gpuE9ELNS1_3repE0EEENS1_30default_config_static_selectorELNS0_4arch9wavefront6targetE0EEEvSY_: ; @_ZN7rocprim17ROCPRIM_400000_NS6detail17trampoline_kernelINS0_13select_configILj256ELj13ELNS0_17block_load_methodE3ELS4_3ELS4_3ELNS0_20block_scan_algorithmE0ELj4294967295EEENS1_25partition_config_selectorILNS1_17partition_subalgoE3EjNS0_10empty_typeEbEEZZNS1_14partition_implILS8_3ELb0ES6_jNS0_17counting_iteratorIjlEEPS9_SE_NS0_5tupleIJPjSE_EEENSF_IJSE_SE_EEES9_SG_JZNS1_25segmented_radix_sort_implINS0_14default_configELb0EPKfPfPKlPlN2at6native12_GLOBAL__N_18offset_tEEE10hipError_tPvRmT1_PNSt15iterator_traitsISY_E10value_typeET2_T3_PNSZ_IS14_E10value_typeET4_jRbjT5_S1A_jjP12ihipStream_tbEUljE_EEESV_SW_SX_S14_S18_S1A_T6_T7_T9_mT8_S1C_bDpT10_ENKUlT_T0_E_clISt17integral_constantIbLb0EES1O_IbLb1EEEEDaS1K_S1L_EUlS1K_E_NS1_11comp_targetILNS1_3genE5ELNS1_11target_archE942ELNS1_3gpuE9ELNS1_3repE0EEENS1_30default_config_static_selectorELNS0_4arch9wavefront6targetE0EEEvSY_
; %bb.0:
	.section	.rodata,"a",@progbits
	.p2align	6, 0x0
	.amdhsa_kernel _ZN7rocprim17ROCPRIM_400000_NS6detail17trampoline_kernelINS0_13select_configILj256ELj13ELNS0_17block_load_methodE3ELS4_3ELS4_3ELNS0_20block_scan_algorithmE0ELj4294967295EEENS1_25partition_config_selectorILNS1_17partition_subalgoE3EjNS0_10empty_typeEbEEZZNS1_14partition_implILS8_3ELb0ES6_jNS0_17counting_iteratorIjlEEPS9_SE_NS0_5tupleIJPjSE_EEENSF_IJSE_SE_EEES9_SG_JZNS1_25segmented_radix_sort_implINS0_14default_configELb0EPKfPfPKlPlN2at6native12_GLOBAL__N_18offset_tEEE10hipError_tPvRmT1_PNSt15iterator_traitsISY_E10value_typeET2_T3_PNSZ_IS14_E10value_typeET4_jRbjT5_S1A_jjP12ihipStream_tbEUljE_EEESV_SW_SX_S14_S18_S1A_T6_T7_T9_mT8_S1C_bDpT10_ENKUlT_T0_E_clISt17integral_constantIbLb0EES1O_IbLb1EEEEDaS1K_S1L_EUlS1K_E_NS1_11comp_targetILNS1_3genE5ELNS1_11target_archE942ELNS1_3gpuE9ELNS1_3repE0EEENS1_30default_config_static_selectorELNS0_4arch9wavefront6targetE0EEEvSY_
		.amdhsa_group_segment_fixed_size 0
		.amdhsa_private_segment_fixed_size 0
		.amdhsa_kernarg_size 152
		.amdhsa_user_sgpr_count 2
		.amdhsa_user_sgpr_dispatch_ptr 0
		.amdhsa_user_sgpr_queue_ptr 0
		.amdhsa_user_sgpr_kernarg_segment_ptr 1
		.amdhsa_user_sgpr_dispatch_id 0
		.amdhsa_user_sgpr_kernarg_preload_length 0
		.amdhsa_user_sgpr_kernarg_preload_offset 0
		.amdhsa_user_sgpr_private_segment_size 0
		.amdhsa_wavefront_size32 1
		.amdhsa_uses_dynamic_stack 0
		.amdhsa_enable_private_segment 0
		.amdhsa_system_sgpr_workgroup_id_x 1
		.amdhsa_system_sgpr_workgroup_id_y 0
		.amdhsa_system_sgpr_workgroup_id_z 0
		.amdhsa_system_sgpr_workgroup_info 0
		.amdhsa_system_vgpr_workitem_id 0
		.amdhsa_next_free_vgpr 1
		.amdhsa_next_free_sgpr 1
		.amdhsa_named_barrier_count 0
		.amdhsa_reserve_vcc 0
		.amdhsa_float_round_mode_32 0
		.amdhsa_float_round_mode_16_64 0
		.amdhsa_float_denorm_mode_32 3
		.amdhsa_float_denorm_mode_16_64 3
		.amdhsa_fp16_overflow 0
		.amdhsa_memory_ordered 1
		.amdhsa_forward_progress 1
		.amdhsa_inst_pref_size 0
		.amdhsa_round_robin_scheduling 0
		.amdhsa_exception_fp_ieee_invalid_op 0
		.amdhsa_exception_fp_denorm_src 0
		.amdhsa_exception_fp_ieee_div_zero 0
		.amdhsa_exception_fp_ieee_overflow 0
		.amdhsa_exception_fp_ieee_underflow 0
		.amdhsa_exception_fp_ieee_inexact 0
		.amdhsa_exception_int_div_zero 0
	.end_amdhsa_kernel
	.section	.text._ZN7rocprim17ROCPRIM_400000_NS6detail17trampoline_kernelINS0_13select_configILj256ELj13ELNS0_17block_load_methodE3ELS4_3ELS4_3ELNS0_20block_scan_algorithmE0ELj4294967295EEENS1_25partition_config_selectorILNS1_17partition_subalgoE3EjNS0_10empty_typeEbEEZZNS1_14partition_implILS8_3ELb0ES6_jNS0_17counting_iteratorIjlEEPS9_SE_NS0_5tupleIJPjSE_EEENSF_IJSE_SE_EEES9_SG_JZNS1_25segmented_radix_sort_implINS0_14default_configELb0EPKfPfPKlPlN2at6native12_GLOBAL__N_18offset_tEEE10hipError_tPvRmT1_PNSt15iterator_traitsISY_E10value_typeET2_T3_PNSZ_IS14_E10value_typeET4_jRbjT5_S1A_jjP12ihipStream_tbEUljE_EEESV_SW_SX_S14_S18_S1A_T6_T7_T9_mT8_S1C_bDpT10_ENKUlT_T0_E_clISt17integral_constantIbLb0EES1O_IbLb1EEEEDaS1K_S1L_EUlS1K_E_NS1_11comp_targetILNS1_3genE5ELNS1_11target_archE942ELNS1_3gpuE9ELNS1_3repE0EEENS1_30default_config_static_selectorELNS0_4arch9wavefront6targetE0EEEvSY_,"axG",@progbits,_ZN7rocprim17ROCPRIM_400000_NS6detail17trampoline_kernelINS0_13select_configILj256ELj13ELNS0_17block_load_methodE3ELS4_3ELS4_3ELNS0_20block_scan_algorithmE0ELj4294967295EEENS1_25partition_config_selectorILNS1_17partition_subalgoE3EjNS0_10empty_typeEbEEZZNS1_14partition_implILS8_3ELb0ES6_jNS0_17counting_iteratorIjlEEPS9_SE_NS0_5tupleIJPjSE_EEENSF_IJSE_SE_EEES9_SG_JZNS1_25segmented_radix_sort_implINS0_14default_configELb0EPKfPfPKlPlN2at6native12_GLOBAL__N_18offset_tEEE10hipError_tPvRmT1_PNSt15iterator_traitsISY_E10value_typeET2_T3_PNSZ_IS14_E10value_typeET4_jRbjT5_S1A_jjP12ihipStream_tbEUljE_EEESV_SW_SX_S14_S18_S1A_T6_T7_T9_mT8_S1C_bDpT10_ENKUlT_T0_E_clISt17integral_constantIbLb0EES1O_IbLb1EEEEDaS1K_S1L_EUlS1K_E_NS1_11comp_targetILNS1_3genE5ELNS1_11target_archE942ELNS1_3gpuE9ELNS1_3repE0EEENS1_30default_config_static_selectorELNS0_4arch9wavefront6targetE0EEEvSY_,comdat
.Lfunc_end1414:
	.size	_ZN7rocprim17ROCPRIM_400000_NS6detail17trampoline_kernelINS0_13select_configILj256ELj13ELNS0_17block_load_methodE3ELS4_3ELS4_3ELNS0_20block_scan_algorithmE0ELj4294967295EEENS1_25partition_config_selectorILNS1_17partition_subalgoE3EjNS0_10empty_typeEbEEZZNS1_14partition_implILS8_3ELb0ES6_jNS0_17counting_iteratorIjlEEPS9_SE_NS0_5tupleIJPjSE_EEENSF_IJSE_SE_EEES9_SG_JZNS1_25segmented_radix_sort_implINS0_14default_configELb0EPKfPfPKlPlN2at6native12_GLOBAL__N_18offset_tEEE10hipError_tPvRmT1_PNSt15iterator_traitsISY_E10value_typeET2_T3_PNSZ_IS14_E10value_typeET4_jRbjT5_S1A_jjP12ihipStream_tbEUljE_EEESV_SW_SX_S14_S18_S1A_T6_T7_T9_mT8_S1C_bDpT10_ENKUlT_T0_E_clISt17integral_constantIbLb0EES1O_IbLb1EEEEDaS1K_S1L_EUlS1K_E_NS1_11comp_targetILNS1_3genE5ELNS1_11target_archE942ELNS1_3gpuE9ELNS1_3repE0EEENS1_30default_config_static_selectorELNS0_4arch9wavefront6targetE0EEEvSY_, .Lfunc_end1414-_ZN7rocprim17ROCPRIM_400000_NS6detail17trampoline_kernelINS0_13select_configILj256ELj13ELNS0_17block_load_methodE3ELS4_3ELS4_3ELNS0_20block_scan_algorithmE0ELj4294967295EEENS1_25partition_config_selectorILNS1_17partition_subalgoE3EjNS0_10empty_typeEbEEZZNS1_14partition_implILS8_3ELb0ES6_jNS0_17counting_iteratorIjlEEPS9_SE_NS0_5tupleIJPjSE_EEENSF_IJSE_SE_EEES9_SG_JZNS1_25segmented_radix_sort_implINS0_14default_configELb0EPKfPfPKlPlN2at6native12_GLOBAL__N_18offset_tEEE10hipError_tPvRmT1_PNSt15iterator_traitsISY_E10value_typeET2_T3_PNSZ_IS14_E10value_typeET4_jRbjT5_S1A_jjP12ihipStream_tbEUljE_EEESV_SW_SX_S14_S18_S1A_T6_T7_T9_mT8_S1C_bDpT10_ENKUlT_T0_E_clISt17integral_constantIbLb0EES1O_IbLb1EEEEDaS1K_S1L_EUlS1K_E_NS1_11comp_targetILNS1_3genE5ELNS1_11target_archE942ELNS1_3gpuE9ELNS1_3repE0EEENS1_30default_config_static_selectorELNS0_4arch9wavefront6targetE0EEEvSY_
                                        ; -- End function
	.set _ZN7rocprim17ROCPRIM_400000_NS6detail17trampoline_kernelINS0_13select_configILj256ELj13ELNS0_17block_load_methodE3ELS4_3ELS4_3ELNS0_20block_scan_algorithmE0ELj4294967295EEENS1_25partition_config_selectorILNS1_17partition_subalgoE3EjNS0_10empty_typeEbEEZZNS1_14partition_implILS8_3ELb0ES6_jNS0_17counting_iteratorIjlEEPS9_SE_NS0_5tupleIJPjSE_EEENSF_IJSE_SE_EEES9_SG_JZNS1_25segmented_radix_sort_implINS0_14default_configELb0EPKfPfPKlPlN2at6native12_GLOBAL__N_18offset_tEEE10hipError_tPvRmT1_PNSt15iterator_traitsISY_E10value_typeET2_T3_PNSZ_IS14_E10value_typeET4_jRbjT5_S1A_jjP12ihipStream_tbEUljE_EEESV_SW_SX_S14_S18_S1A_T6_T7_T9_mT8_S1C_bDpT10_ENKUlT_T0_E_clISt17integral_constantIbLb0EES1O_IbLb1EEEEDaS1K_S1L_EUlS1K_E_NS1_11comp_targetILNS1_3genE5ELNS1_11target_archE942ELNS1_3gpuE9ELNS1_3repE0EEENS1_30default_config_static_selectorELNS0_4arch9wavefront6targetE0EEEvSY_.num_vgpr, 0
	.set _ZN7rocprim17ROCPRIM_400000_NS6detail17trampoline_kernelINS0_13select_configILj256ELj13ELNS0_17block_load_methodE3ELS4_3ELS4_3ELNS0_20block_scan_algorithmE0ELj4294967295EEENS1_25partition_config_selectorILNS1_17partition_subalgoE3EjNS0_10empty_typeEbEEZZNS1_14partition_implILS8_3ELb0ES6_jNS0_17counting_iteratorIjlEEPS9_SE_NS0_5tupleIJPjSE_EEENSF_IJSE_SE_EEES9_SG_JZNS1_25segmented_radix_sort_implINS0_14default_configELb0EPKfPfPKlPlN2at6native12_GLOBAL__N_18offset_tEEE10hipError_tPvRmT1_PNSt15iterator_traitsISY_E10value_typeET2_T3_PNSZ_IS14_E10value_typeET4_jRbjT5_S1A_jjP12ihipStream_tbEUljE_EEESV_SW_SX_S14_S18_S1A_T6_T7_T9_mT8_S1C_bDpT10_ENKUlT_T0_E_clISt17integral_constantIbLb0EES1O_IbLb1EEEEDaS1K_S1L_EUlS1K_E_NS1_11comp_targetILNS1_3genE5ELNS1_11target_archE942ELNS1_3gpuE9ELNS1_3repE0EEENS1_30default_config_static_selectorELNS0_4arch9wavefront6targetE0EEEvSY_.num_agpr, 0
	.set _ZN7rocprim17ROCPRIM_400000_NS6detail17trampoline_kernelINS0_13select_configILj256ELj13ELNS0_17block_load_methodE3ELS4_3ELS4_3ELNS0_20block_scan_algorithmE0ELj4294967295EEENS1_25partition_config_selectorILNS1_17partition_subalgoE3EjNS0_10empty_typeEbEEZZNS1_14partition_implILS8_3ELb0ES6_jNS0_17counting_iteratorIjlEEPS9_SE_NS0_5tupleIJPjSE_EEENSF_IJSE_SE_EEES9_SG_JZNS1_25segmented_radix_sort_implINS0_14default_configELb0EPKfPfPKlPlN2at6native12_GLOBAL__N_18offset_tEEE10hipError_tPvRmT1_PNSt15iterator_traitsISY_E10value_typeET2_T3_PNSZ_IS14_E10value_typeET4_jRbjT5_S1A_jjP12ihipStream_tbEUljE_EEESV_SW_SX_S14_S18_S1A_T6_T7_T9_mT8_S1C_bDpT10_ENKUlT_T0_E_clISt17integral_constantIbLb0EES1O_IbLb1EEEEDaS1K_S1L_EUlS1K_E_NS1_11comp_targetILNS1_3genE5ELNS1_11target_archE942ELNS1_3gpuE9ELNS1_3repE0EEENS1_30default_config_static_selectorELNS0_4arch9wavefront6targetE0EEEvSY_.numbered_sgpr, 0
	.set _ZN7rocprim17ROCPRIM_400000_NS6detail17trampoline_kernelINS0_13select_configILj256ELj13ELNS0_17block_load_methodE3ELS4_3ELS4_3ELNS0_20block_scan_algorithmE0ELj4294967295EEENS1_25partition_config_selectorILNS1_17partition_subalgoE3EjNS0_10empty_typeEbEEZZNS1_14partition_implILS8_3ELb0ES6_jNS0_17counting_iteratorIjlEEPS9_SE_NS0_5tupleIJPjSE_EEENSF_IJSE_SE_EEES9_SG_JZNS1_25segmented_radix_sort_implINS0_14default_configELb0EPKfPfPKlPlN2at6native12_GLOBAL__N_18offset_tEEE10hipError_tPvRmT1_PNSt15iterator_traitsISY_E10value_typeET2_T3_PNSZ_IS14_E10value_typeET4_jRbjT5_S1A_jjP12ihipStream_tbEUljE_EEESV_SW_SX_S14_S18_S1A_T6_T7_T9_mT8_S1C_bDpT10_ENKUlT_T0_E_clISt17integral_constantIbLb0EES1O_IbLb1EEEEDaS1K_S1L_EUlS1K_E_NS1_11comp_targetILNS1_3genE5ELNS1_11target_archE942ELNS1_3gpuE9ELNS1_3repE0EEENS1_30default_config_static_selectorELNS0_4arch9wavefront6targetE0EEEvSY_.num_named_barrier, 0
	.set _ZN7rocprim17ROCPRIM_400000_NS6detail17trampoline_kernelINS0_13select_configILj256ELj13ELNS0_17block_load_methodE3ELS4_3ELS4_3ELNS0_20block_scan_algorithmE0ELj4294967295EEENS1_25partition_config_selectorILNS1_17partition_subalgoE3EjNS0_10empty_typeEbEEZZNS1_14partition_implILS8_3ELb0ES6_jNS0_17counting_iteratorIjlEEPS9_SE_NS0_5tupleIJPjSE_EEENSF_IJSE_SE_EEES9_SG_JZNS1_25segmented_radix_sort_implINS0_14default_configELb0EPKfPfPKlPlN2at6native12_GLOBAL__N_18offset_tEEE10hipError_tPvRmT1_PNSt15iterator_traitsISY_E10value_typeET2_T3_PNSZ_IS14_E10value_typeET4_jRbjT5_S1A_jjP12ihipStream_tbEUljE_EEESV_SW_SX_S14_S18_S1A_T6_T7_T9_mT8_S1C_bDpT10_ENKUlT_T0_E_clISt17integral_constantIbLb0EES1O_IbLb1EEEEDaS1K_S1L_EUlS1K_E_NS1_11comp_targetILNS1_3genE5ELNS1_11target_archE942ELNS1_3gpuE9ELNS1_3repE0EEENS1_30default_config_static_selectorELNS0_4arch9wavefront6targetE0EEEvSY_.private_seg_size, 0
	.set _ZN7rocprim17ROCPRIM_400000_NS6detail17trampoline_kernelINS0_13select_configILj256ELj13ELNS0_17block_load_methodE3ELS4_3ELS4_3ELNS0_20block_scan_algorithmE0ELj4294967295EEENS1_25partition_config_selectorILNS1_17partition_subalgoE3EjNS0_10empty_typeEbEEZZNS1_14partition_implILS8_3ELb0ES6_jNS0_17counting_iteratorIjlEEPS9_SE_NS0_5tupleIJPjSE_EEENSF_IJSE_SE_EEES9_SG_JZNS1_25segmented_radix_sort_implINS0_14default_configELb0EPKfPfPKlPlN2at6native12_GLOBAL__N_18offset_tEEE10hipError_tPvRmT1_PNSt15iterator_traitsISY_E10value_typeET2_T3_PNSZ_IS14_E10value_typeET4_jRbjT5_S1A_jjP12ihipStream_tbEUljE_EEESV_SW_SX_S14_S18_S1A_T6_T7_T9_mT8_S1C_bDpT10_ENKUlT_T0_E_clISt17integral_constantIbLb0EES1O_IbLb1EEEEDaS1K_S1L_EUlS1K_E_NS1_11comp_targetILNS1_3genE5ELNS1_11target_archE942ELNS1_3gpuE9ELNS1_3repE0EEENS1_30default_config_static_selectorELNS0_4arch9wavefront6targetE0EEEvSY_.uses_vcc, 0
	.set _ZN7rocprim17ROCPRIM_400000_NS6detail17trampoline_kernelINS0_13select_configILj256ELj13ELNS0_17block_load_methodE3ELS4_3ELS4_3ELNS0_20block_scan_algorithmE0ELj4294967295EEENS1_25partition_config_selectorILNS1_17partition_subalgoE3EjNS0_10empty_typeEbEEZZNS1_14partition_implILS8_3ELb0ES6_jNS0_17counting_iteratorIjlEEPS9_SE_NS0_5tupleIJPjSE_EEENSF_IJSE_SE_EEES9_SG_JZNS1_25segmented_radix_sort_implINS0_14default_configELb0EPKfPfPKlPlN2at6native12_GLOBAL__N_18offset_tEEE10hipError_tPvRmT1_PNSt15iterator_traitsISY_E10value_typeET2_T3_PNSZ_IS14_E10value_typeET4_jRbjT5_S1A_jjP12ihipStream_tbEUljE_EEESV_SW_SX_S14_S18_S1A_T6_T7_T9_mT8_S1C_bDpT10_ENKUlT_T0_E_clISt17integral_constantIbLb0EES1O_IbLb1EEEEDaS1K_S1L_EUlS1K_E_NS1_11comp_targetILNS1_3genE5ELNS1_11target_archE942ELNS1_3gpuE9ELNS1_3repE0EEENS1_30default_config_static_selectorELNS0_4arch9wavefront6targetE0EEEvSY_.uses_flat_scratch, 0
	.set _ZN7rocprim17ROCPRIM_400000_NS6detail17trampoline_kernelINS0_13select_configILj256ELj13ELNS0_17block_load_methodE3ELS4_3ELS4_3ELNS0_20block_scan_algorithmE0ELj4294967295EEENS1_25partition_config_selectorILNS1_17partition_subalgoE3EjNS0_10empty_typeEbEEZZNS1_14partition_implILS8_3ELb0ES6_jNS0_17counting_iteratorIjlEEPS9_SE_NS0_5tupleIJPjSE_EEENSF_IJSE_SE_EEES9_SG_JZNS1_25segmented_radix_sort_implINS0_14default_configELb0EPKfPfPKlPlN2at6native12_GLOBAL__N_18offset_tEEE10hipError_tPvRmT1_PNSt15iterator_traitsISY_E10value_typeET2_T3_PNSZ_IS14_E10value_typeET4_jRbjT5_S1A_jjP12ihipStream_tbEUljE_EEESV_SW_SX_S14_S18_S1A_T6_T7_T9_mT8_S1C_bDpT10_ENKUlT_T0_E_clISt17integral_constantIbLb0EES1O_IbLb1EEEEDaS1K_S1L_EUlS1K_E_NS1_11comp_targetILNS1_3genE5ELNS1_11target_archE942ELNS1_3gpuE9ELNS1_3repE0EEENS1_30default_config_static_selectorELNS0_4arch9wavefront6targetE0EEEvSY_.has_dyn_sized_stack, 0
	.set _ZN7rocprim17ROCPRIM_400000_NS6detail17trampoline_kernelINS0_13select_configILj256ELj13ELNS0_17block_load_methodE3ELS4_3ELS4_3ELNS0_20block_scan_algorithmE0ELj4294967295EEENS1_25partition_config_selectorILNS1_17partition_subalgoE3EjNS0_10empty_typeEbEEZZNS1_14partition_implILS8_3ELb0ES6_jNS0_17counting_iteratorIjlEEPS9_SE_NS0_5tupleIJPjSE_EEENSF_IJSE_SE_EEES9_SG_JZNS1_25segmented_radix_sort_implINS0_14default_configELb0EPKfPfPKlPlN2at6native12_GLOBAL__N_18offset_tEEE10hipError_tPvRmT1_PNSt15iterator_traitsISY_E10value_typeET2_T3_PNSZ_IS14_E10value_typeET4_jRbjT5_S1A_jjP12ihipStream_tbEUljE_EEESV_SW_SX_S14_S18_S1A_T6_T7_T9_mT8_S1C_bDpT10_ENKUlT_T0_E_clISt17integral_constantIbLb0EES1O_IbLb1EEEEDaS1K_S1L_EUlS1K_E_NS1_11comp_targetILNS1_3genE5ELNS1_11target_archE942ELNS1_3gpuE9ELNS1_3repE0EEENS1_30default_config_static_selectorELNS0_4arch9wavefront6targetE0EEEvSY_.has_recursion, 0
	.set _ZN7rocprim17ROCPRIM_400000_NS6detail17trampoline_kernelINS0_13select_configILj256ELj13ELNS0_17block_load_methodE3ELS4_3ELS4_3ELNS0_20block_scan_algorithmE0ELj4294967295EEENS1_25partition_config_selectorILNS1_17partition_subalgoE3EjNS0_10empty_typeEbEEZZNS1_14partition_implILS8_3ELb0ES6_jNS0_17counting_iteratorIjlEEPS9_SE_NS0_5tupleIJPjSE_EEENSF_IJSE_SE_EEES9_SG_JZNS1_25segmented_radix_sort_implINS0_14default_configELb0EPKfPfPKlPlN2at6native12_GLOBAL__N_18offset_tEEE10hipError_tPvRmT1_PNSt15iterator_traitsISY_E10value_typeET2_T3_PNSZ_IS14_E10value_typeET4_jRbjT5_S1A_jjP12ihipStream_tbEUljE_EEESV_SW_SX_S14_S18_S1A_T6_T7_T9_mT8_S1C_bDpT10_ENKUlT_T0_E_clISt17integral_constantIbLb0EES1O_IbLb1EEEEDaS1K_S1L_EUlS1K_E_NS1_11comp_targetILNS1_3genE5ELNS1_11target_archE942ELNS1_3gpuE9ELNS1_3repE0EEENS1_30default_config_static_selectorELNS0_4arch9wavefront6targetE0EEEvSY_.has_indirect_call, 0
	.section	.AMDGPU.csdata,"",@progbits
; Kernel info:
; codeLenInByte = 0
; TotalNumSgprs: 0
; NumVgprs: 0
; ScratchSize: 0
; MemoryBound: 0
; FloatMode: 240
; IeeeMode: 1
; LDSByteSize: 0 bytes/workgroup (compile time only)
; SGPRBlocks: 0
; VGPRBlocks: 0
; NumSGPRsForWavesPerEU: 1
; NumVGPRsForWavesPerEU: 1
; NamedBarCnt: 0
; Occupancy: 16
; WaveLimiterHint : 0
; COMPUTE_PGM_RSRC2:SCRATCH_EN: 0
; COMPUTE_PGM_RSRC2:USER_SGPR: 2
; COMPUTE_PGM_RSRC2:TRAP_HANDLER: 0
; COMPUTE_PGM_RSRC2:TGID_X_EN: 1
; COMPUTE_PGM_RSRC2:TGID_Y_EN: 0
; COMPUTE_PGM_RSRC2:TGID_Z_EN: 0
; COMPUTE_PGM_RSRC2:TIDIG_COMP_CNT: 0
	.section	.text._ZN7rocprim17ROCPRIM_400000_NS6detail17trampoline_kernelINS0_13select_configILj256ELj13ELNS0_17block_load_methodE3ELS4_3ELS4_3ELNS0_20block_scan_algorithmE0ELj4294967295EEENS1_25partition_config_selectorILNS1_17partition_subalgoE3EjNS0_10empty_typeEbEEZZNS1_14partition_implILS8_3ELb0ES6_jNS0_17counting_iteratorIjlEEPS9_SE_NS0_5tupleIJPjSE_EEENSF_IJSE_SE_EEES9_SG_JZNS1_25segmented_radix_sort_implINS0_14default_configELb0EPKfPfPKlPlN2at6native12_GLOBAL__N_18offset_tEEE10hipError_tPvRmT1_PNSt15iterator_traitsISY_E10value_typeET2_T3_PNSZ_IS14_E10value_typeET4_jRbjT5_S1A_jjP12ihipStream_tbEUljE_EEESV_SW_SX_S14_S18_S1A_T6_T7_T9_mT8_S1C_bDpT10_ENKUlT_T0_E_clISt17integral_constantIbLb0EES1O_IbLb1EEEEDaS1K_S1L_EUlS1K_E_NS1_11comp_targetILNS1_3genE4ELNS1_11target_archE910ELNS1_3gpuE8ELNS1_3repE0EEENS1_30default_config_static_selectorELNS0_4arch9wavefront6targetE0EEEvSY_,"axG",@progbits,_ZN7rocprim17ROCPRIM_400000_NS6detail17trampoline_kernelINS0_13select_configILj256ELj13ELNS0_17block_load_methodE3ELS4_3ELS4_3ELNS0_20block_scan_algorithmE0ELj4294967295EEENS1_25partition_config_selectorILNS1_17partition_subalgoE3EjNS0_10empty_typeEbEEZZNS1_14partition_implILS8_3ELb0ES6_jNS0_17counting_iteratorIjlEEPS9_SE_NS0_5tupleIJPjSE_EEENSF_IJSE_SE_EEES9_SG_JZNS1_25segmented_radix_sort_implINS0_14default_configELb0EPKfPfPKlPlN2at6native12_GLOBAL__N_18offset_tEEE10hipError_tPvRmT1_PNSt15iterator_traitsISY_E10value_typeET2_T3_PNSZ_IS14_E10value_typeET4_jRbjT5_S1A_jjP12ihipStream_tbEUljE_EEESV_SW_SX_S14_S18_S1A_T6_T7_T9_mT8_S1C_bDpT10_ENKUlT_T0_E_clISt17integral_constantIbLb0EES1O_IbLb1EEEEDaS1K_S1L_EUlS1K_E_NS1_11comp_targetILNS1_3genE4ELNS1_11target_archE910ELNS1_3gpuE8ELNS1_3repE0EEENS1_30default_config_static_selectorELNS0_4arch9wavefront6targetE0EEEvSY_,comdat
	.globl	_ZN7rocprim17ROCPRIM_400000_NS6detail17trampoline_kernelINS0_13select_configILj256ELj13ELNS0_17block_load_methodE3ELS4_3ELS4_3ELNS0_20block_scan_algorithmE0ELj4294967295EEENS1_25partition_config_selectorILNS1_17partition_subalgoE3EjNS0_10empty_typeEbEEZZNS1_14partition_implILS8_3ELb0ES6_jNS0_17counting_iteratorIjlEEPS9_SE_NS0_5tupleIJPjSE_EEENSF_IJSE_SE_EEES9_SG_JZNS1_25segmented_radix_sort_implINS0_14default_configELb0EPKfPfPKlPlN2at6native12_GLOBAL__N_18offset_tEEE10hipError_tPvRmT1_PNSt15iterator_traitsISY_E10value_typeET2_T3_PNSZ_IS14_E10value_typeET4_jRbjT5_S1A_jjP12ihipStream_tbEUljE_EEESV_SW_SX_S14_S18_S1A_T6_T7_T9_mT8_S1C_bDpT10_ENKUlT_T0_E_clISt17integral_constantIbLb0EES1O_IbLb1EEEEDaS1K_S1L_EUlS1K_E_NS1_11comp_targetILNS1_3genE4ELNS1_11target_archE910ELNS1_3gpuE8ELNS1_3repE0EEENS1_30default_config_static_selectorELNS0_4arch9wavefront6targetE0EEEvSY_ ; -- Begin function _ZN7rocprim17ROCPRIM_400000_NS6detail17trampoline_kernelINS0_13select_configILj256ELj13ELNS0_17block_load_methodE3ELS4_3ELS4_3ELNS0_20block_scan_algorithmE0ELj4294967295EEENS1_25partition_config_selectorILNS1_17partition_subalgoE3EjNS0_10empty_typeEbEEZZNS1_14partition_implILS8_3ELb0ES6_jNS0_17counting_iteratorIjlEEPS9_SE_NS0_5tupleIJPjSE_EEENSF_IJSE_SE_EEES9_SG_JZNS1_25segmented_radix_sort_implINS0_14default_configELb0EPKfPfPKlPlN2at6native12_GLOBAL__N_18offset_tEEE10hipError_tPvRmT1_PNSt15iterator_traitsISY_E10value_typeET2_T3_PNSZ_IS14_E10value_typeET4_jRbjT5_S1A_jjP12ihipStream_tbEUljE_EEESV_SW_SX_S14_S18_S1A_T6_T7_T9_mT8_S1C_bDpT10_ENKUlT_T0_E_clISt17integral_constantIbLb0EES1O_IbLb1EEEEDaS1K_S1L_EUlS1K_E_NS1_11comp_targetILNS1_3genE4ELNS1_11target_archE910ELNS1_3gpuE8ELNS1_3repE0EEENS1_30default_config_static_selectorELNS0_4arch9wavefront6targetE0EEEvSY_
	.p2align	8
	.type	_ZN7rocprim17ROCPRIM_400000_NS6detail17trampoline_kernelINS0_13select_configILj256ELj13ELNS0_17block_load_methodE3ELS4_3ELS4_3ELNS0_20block_scan_algorithmE0ELj4294967295EEENS1_25partition_config_selectorILNS1_17partition_subalgoE3EjNS0_10empty_typeEbEEZZNS1_14partition_implILS8_3ELb0ES6_jNS0_17counting_iteratorIjlEEPS9_SE_NS0_5tupleIJPjSE_EEENSF_IJSE_SE_EEES9_SG_JZNS1_25segmented_radix_sort_implINS0_14default_configELb0EPKfPfPKlPlN2at6native12_GLOBAL__N_18offset_tEEE10hipError_tPvRmT1_PNSt15iterator_traitsISY_E10value_typeET2_T3_PNSZ_IS14_E10value_typeET4_jRbjT5_S1A_jjP12ihipStream_tbEUljE_EEESV_SW_SX_S14_S18_S1A_T6_T7_T9_mT8_S1C_bDpT10_ENKUlT_T0_E_clISt17integral_constantIbLb0EES1O_IbLb1EEEEDaS1K_S1L_EUlS1K_E_NS1_11comp_targetILNS1_3genE4ELNS1_11target_archE910ELNS1_3gpuE8ELNS1_3repE0EEENS1_30default_config_static_selectorELNS0_4arch9wavefront6targetE0EEEvSY_,@function
_ZN7rocprim17ROCPRIM_400000_NS6detail17trampoline_kernelINS0_13select_configILj256ELj13ELNS0_17block_load_methodE3ELS4_3ELS4_3ELNS0_20block_scan_algorithmE0ELj4294967295EEENS1_25partition_config_selectorILNS1_17partition_subalgoE3EjNS0_10empty_typeEbEEZZNS1_14partition_implILS8_3ELb0ES6_jNS0_17counting_iteratorIjlEEPS9_SE_NS0_5tupleIJPjSE_EEENSF_IJSE_SE_EEES9_SG_JZNS1_25segmented_radix_sort_implINS0_14default_configELb0EPKfPfPKlPlN2at6native12_GLOBAL__N_18offset_tEEE10hipError_tPvRmT1_PNSt15iterator_traitsISY_E10value_typeET2_T3_PNSZ_IS14_E10value_typeET4_jRbjT5_S1A_jjP12ihipStream_tbEUljE_EEESV_SW_SX_S14_S18_S1A_T6_T7_T9_mT8_S1C_bDpT10_ENKUlT_T0_E_clISt17integral_constantIbLb0EES1O_IbLb1EEEEDaS1K_S1L_EUlS1K_E_NS1_11comp_targetILNS1_3genE4ELNS1_11target_archE910ELNS1_3gpuE8ELNS1_3repE0EEENS1_30default_config_static_selectorELNS0_4arch9wavefront6targetE0EEEvSY_: ; @_ZN7rocprim17ROCPRIM_400000_NS6detail17trampoline_kernelINS0_13select_configILj256ELj13ELNS0_17block_load_methodE3ELS4_3ELS4_3ELNS0_20block_scan_algorithmE0ELj4294967295EEENS1_25partition_config_selectorILNS1_17partition_subalgoE3EjNS0_10empty_typeEbEEZZNS1_14partition_implILS8_3ELb0ES6_jNS0_17counting_iteratorIjlEEPS9_SE_NS0_5tupleIJPjSE_EEENSF_IJSE_SE_EEES9_SG_JZNS1_25segmented_radix_sort_implINS0_14default_configELb0EPKfPfPKlPlN2at6native12_GLOBAL__N_18offset_tEEE10hipError_tPvRmT1_PNSt15iterator_traitsISY_E10value_typeET2_T3_PNSZ_IS14_E10value_typeET4_jRbjT5_S1A_jjP12ihipStream_tbEUljE_EEESV_SW_SX_S14_S18_S1A_T6_T7_T9_mT8_S1C_bDpT10_ENKUlT_T0_E_clISt17integral_constantIbLb0EES1O_IbLb1EEEEDaS1K_S1L_EUlS1K_E_NS1_11comp_targetILNS1_3genE4ELNS1_11target_archE910ELNS1_3gpuE8ELNS1_3repE0EEENS1_30default_config_static_selectorELNS0_4arch9wavefront6targetE0EEEvSY_
; %bb.0:
	.section	.rodata,"a",@progbits
	.p2align	6, 0x0
	.amdhsa_kernel _ZN7rocprim17ROCPRIM_400000_NS6detail17trampoline_kernelINS0_13select_configILj256ELj13ELNS0_17block_load_methodE3ELS4_3ELS4_3ELNS0_20block_scan_algorithmE0ELj4294967295EEENS1_25partition_config_selectorILNS1_17partition_subalgoE3EjNS0_10empty_typeEbEEZZNS1_14partition_implILS8_3ELb0ES6_jNS0_17counting_iteratorIjlEEPS9_SE_NS0_5tupleIJPjSE_EEENSF_IJSE_SE_EEES9_SG_JZNS1_25segmented_radix_sort_implINS0_14default_configELb0EPKfPfPKlPlN2at6native12_GLOBAL__N_18offset_tEEE10hipError_tPvRmT1_PNSt15iterator_traitsISY_E10value_typeET2_T3_PNSZ_IS14_E10value_typeET4_jRbjT5_S1A_jjP12ihipStream_tbEUljE_EEESV_SW_SX_S14_S18_S1A_T6_T7_T9_mT8_S1C_bDpT10_ENKUlT_T0_E_clISt17integral_constantIbLb0EES1O_IbLb1EEEEDaS1K_S1L_EUlS1K_E_NS1_11comp_targetILNS1_3genE4ELNS1_11target_archE910ELNS1_3gpuE8ELNS1_3repE0EEENS1_30default_config_static_selectorELNS0_4arch9wavefront6targetE0EEEvSY_
		.amdhsa_group_segment_fixed_size 0
		.amdhsa_private_segment_fixed_size 0
		.amdhsa_kernarg_size 152
		.amdhsa_user_sgpr_count 2
		.amdhsa_user_sgpr_dispatch_ptr 0
		.amdhsa_user_sgpr_queue_ptr 0
		.amdhsa_user_sgpr_kernarg_segment_ptr 1
		.amdhsa_user_sgpr_dispatch_id 0
		.amdhsa_user_sgpr_kernarg_preload_length 0
		.amdhsa_user_sgpr_kernarg_preload_offset 0
		.amdhsa_user_sgpr_private_segment_size 0
		.amdhsa_wavefront_size32 1
		.amdhsa_uses_dynamic_stack 0
		.amdhsa_enable_private_segment 0
		.amdhsa_system_sgpr_workgroup_id_x 1
		.amdhsa_system_sgpr_workgroup_id_y 0
		.amdhsa_system_sgpr_workgroup_id_z 0
		.amdhsa_system_sgpr_workgroup_info 0
		.amdhsa_system_vgpr_workitem_id 0
		.amdhsa_next_free_vgpr 1
		.amdhsa_next_free_sgpr 1
		.amdhsa_named_barrier_count 0
		.amdhsa_reserve_vcc 0
		.amdhsa_float_round_mode_32 0
		.amdhsa_float_round_mode_16_64 0
		.amdhsa_float_denorm_mode_32 3
		.amdhsa_float_denorm_mode_16_64 3
		.amdhsa_fp16_overflow 0
		.amdhsa_memory_ordered 1
		.amdhsa_forward_progress 1
		.amdhsa_inst_pref_size 0
		.amdhsa_round_robin_scheduling 0
		.amdhsa_exception_fp_ieee_invalid_op 0
		.amdhsa_exception_fp_denorm_src 0
		.amdhsa_exception_fp_ieee_div_zero 0
		.amdhsa_exception_fp_ieee_overflow 0
		.amdhsa_exception_fp_ieee_underflow 0
		.amdhsa_exception_fp_ieee_inexact 0
		.amdhsa_exception_int_div_zero 0
	.end_amdhsa_kernel
	.section	.text._ZN7rocprim17ROCPRIM_400000_NS6detail17trampoline_kernelINS0_13select_configILj256ELj13ELNS0_17block_load_methodE3ELS4_3ELS4_3ELNS0_20block_scan_algorithmE0ELj4294967295EEENS1_25partition_config_selectorILNS1_17partition_subalgoE3EjNS0_10empty_typeEbEEZZNS1_14partition_implILS8_3ELb0ES6_jNS0_17counting_iteratorIjlEEPS9_SE_NS0_5tupleIJPjSE_EEENSF_IJSE_SE_EEES9_SG_JZNS1_25segmented_radix_sort_implINS0_14default_configELb0EPKfPfPKlPlN2at6native12_GLOBAL__N_18offset_tEEE10hipError_tPvRmT1_PNSt15iterator_traitsISY_E10value_typeET2_T3_PNSZ_IS14_E10value_typeET4_jRbjT5_S1A_jjP12ihipStream_tbEUljE_EEESV_SW_SX_S14_S18_S1A_T6_T7_T9_mT8_S1C_bDpT10_ENKUlT_T0_E_clISt17integral_constantIbLb0EES1O_IbLb1EEEEDaS1K_S1L_EUlS1K_E_NS1_11comp_targetILNS1_3genE4ELNS1_11target_archE910ELNS1_3gpuE8ELNS1_3repE0EEENS1_30default_config_static_selectorELNS0_4arch9wavefront6targetE0EEEvSY_,"axG",@progbits,_ZN7rocprim17ROCPRIM_400000_NS6detail17trampoline_kernelINS0_13select_configILj256ELj13ELNS0_17block_load_methodE3ELS4_3ELS4_3ELNS0_20block_scan_algorithmE0ELj4294967295EEENS1_25partition_config_selectorILNS1_17partition_subalgoE3EjNS0_10empty_typeEbEEZZNS1_14partition_implILS8_3ELb0ES6_jNS0_17counting_iteratorIjlEEPS9_SE_NS0_5tupleIJPjSE_EEENSF_IJSE_SE_EEES9_SG_JZNS1_25segmented_radix_sort_implINS0_14default_configELb0EPKfPfPKlPlN2at6native12_GLOBAL__N_18offset_tEEE10hipError_tPvRmT1_PNSt15iterator_traitsISY_E10value_typeET2_T3_PNSZ_IS14_E10value_typeET4_jRbjT5_S1A_jjP12ihipStream_tbEUljE_EEESV_SW_SX_S14_S18_S1A_T6_T7_T9_mT8_S1C_bDpT10_ENKUlT_T0_E_clISt17integral_constantIbLb0EES1O_IbLb1EEEEDaS1K_S1L_EUlS1K_E_NS1_11comp_targetILNS1_3genE4ELNS1_11target_archE910ELNS1_3gpuE8ELNS1_3repE0EEENS1_30default_config_static_selectorELNS0_4arch9wavefront6targetE0EEEvSY_,comdat
.Lfunc_end1415:
	.size	_ZN7rocprim17ROCPRIM_400000_NS6detail17trampoline_kernelINS0_13select_configILj256ELj13ELNS0_17block_load_methodE3ELS4_3ELS4_3ELNS0_20block_scan_algorithmE0ELj4294967295EEENS1_25partition_config_selectorILNS1_17partition_subalgoE3EjNS0_10empty_typeEbEEZZNS1_14partition_implILS8_3ELb0ES6_jNS0_17counting_iteratorIjlEEPS9_SE_NS0_5tupleIJPjSE_EEENSF_IJSE_SE_EEES9_SG_JZNS1_25segmented_radix_sort_implINS0_14default_configELb0EPKfPfPKlPlN2at6native12_GLOBAL__N_18offset_tEEE10hipError_tPvRmT1_PNSt15iterator_traitsISY_E10value_typeET2_T3_PNSZ_IS14_E10value_typeET4_jRbjT5_S1A_jjP12ihipStream_tbEUljE_EEESV_SW_SX_S14_S18_S1A_T6_T7_T9_mT8_S1C_bDpT10_ENKUlT_T0_E_clISt17integral_constantIbLb0EES1O_IbLb1EEEEDaS1K_S1L_EUlS1K_E_NS1_11comp_targetILNS1_3genE4ELNS1_11target_archE910ELNS1_3gpuE8ELNS1_3repE0EEENS1_30default_config_static_selectorELNS0_4arch9wavefront6targetE0EEEvSY_, .Lfunc_end1415-_ZN7rocprim17ROCPRIM_400000_NS6detail17trampoline_kernelINS0_13select_configILj256ELj13ELNS0_17block_load_methodE3ELS4_3ELS4_3ELNS0_20block_scan_algorithmE0ELj4294967295EEENS1_25partition_config_selectorILNS1_17partition_subalgoE3EjNS0_10empty_typeEbEEZZNS1_14partition_implILS8_3ELb0ES6_jNS0_17counting_iteratorIjlEEPS9_SE_NS0_5tupleIJPjSE_EEENSF_IJSE_SE_EEES9_SG_JZNS1_25segmented_radix_sort_implINS0_14default_configELb0EPKfPfPKlPlN2at6native12_GLOBAL__N_18offset_tEEE10hipError_tPvRmT1_PNSt15iterator_traitsISY_E10value_typeET2_T3_PNSZ_IS14_E10value_typeET4_jRbjT5_S1A_jjP12ihipStream_tbEUljE_EEESV_SW_SX_S14_S18_S1A_T6_T7_T9_mT8_S1C_bDpT10_ENKUlT_T0_E_clISt17integral_constantIbLb0EES1O_IbLb1EEEEDaS1K_S1L_EUlS1K_E_NS1_11comp_targetILNS1_3genE4ELNS1_11target_archE910ELNS1_3gpuE8ELNS1_3repE0EEENS1_30default_config_static_selectorELNS0_4arch9wavefront6targetE0EEEvSY_
                                        ; -- End function
	.set _ZN7rocprim17ROCPRIM_400000_NS6detail17trampoline_kernelINS0_13select_configILj256ELj13ELNS0_17block_load_methodE3ELS4_3ELS4_3ELNS0_20block_scan_algorithmE0ELj4294967295EEENS1_25partition_config_selectorILNS1_17partition_subalgoE3EjNS0_10empty_typeEbEEZZNS1_14partition_implILS8_3ELb0ES6_jNS0_17counting_iteratorIjlEEPS9_SE_NS0_5tupleIJPjSE_EEENSF_IJSE_SE_EEES9_SG_JZNS1_25segmented_radix_sort_implINS0_14default_configELb0EPKfPfPKlPlN2at6native12_GLOBAL__N_18offset_tEEE10hipError_tPvRmT1_PNSt15iterator_traitsISY_E10value_typeET2_T3_PNSZ_IS14_E10value_typeET4_jRbjT5_S1A_jjP12ihipStream_tbEUljE_EEESV_SW_SX_S14_S18_S1A_T6_T7_T9_mT8_S1C_bDpT10_ENKUlT_T0_E_clISt17integral_constantIbLb0EES1O_IbLb1EEEEDaS1K_S1L_EUlS1K_E_NS1_11comp_targetILNS1_3genE4ELNS1_11target_archE910ELNS1_3gpuE8ELNS1_3repE0EEENS1_30default_config_static_selectorELNS0_4arch9wavefront6targetE0EEEvSY_.num_vgpr, 0
	.set _ZN7rocprim17ROCPRIM_400000_NS6detail17trampoline_kernelINS0_13select_configILj256ELj13ELNS0_17block_load_methodE3ELS4_3ELS4_3ELNS0_20block_scan_algorithmE0ELj4294967295EEENS1_25partition_config_selectorILNS1_17partition_subalgoE3EjNS0_10empty_typeEbEEZZNS1_14partition_implILS8_3ELb0ES6_jNS0_17counting_iteratorIjlEEPS9_SE_NS0_5tupleIJPjSE_EEENSF_IJSE_SE_EEES9_SG_JZNS1_25segmented_radix_sort_implINS0_14default_configELb0EPKfPfPKlPlN2at6native12_GLOBAL__N_18offset_tEEE10hipError_tPvRmT1_PNSt15iterator_traitsISY_E10value_typeET2_T3_PNSZ_IS14_E10value_typeET4_jRbjT5_S1A_jjP12ihipStream_tbEUljE_EEESV_SW_SX_S14_S18_S1A_T6_T7_T9_mT8_S1C_bDpT10_ENKUlT_T0_E_clISt17integral_constantIbLb0EES1O_IbLb1EEEEDaS1K_S1L_EUlS1K_E_NS1_11comp_targetILNS1_3genE4ELNS1_11target_archE910ELNS1_3gpuE8ELNS1_3repE0EEENS1_30default_config_static_selectorELNS0_4arch9wavefront6targetE0EEEvSY_.num_agpr, 0
	.set _ZN7rocprim17ROCPRIM_400000_NS6detail17trampoline_kernelINS0_13select_configILj256ELj13ELNS0_17block_load_methodE3ELS4_3ELS4_3ELNS0_20block_scan_algorithmE0ELj4294967295EEENS1_25partition_config_selectorILNS1_17partition_subalgoE3EjNS0_10empty_typeEbEEZZNS1_14partition_implILS8_3ELb0ES6_jNS0_17counting_iteratorIjlEEPS9_SE_NS0_5tupleIJPjSE_EEENSF_IJSE_SE_EEES9_SG_JZNS1_25segmented_radix_sort_implINS0_14default_configELb0EPKfPfPKlPlN2at6native12_GLOBAL__N_18offset_tEEE10hipError_tPvRmT1_PNSt15iterator_traitsISY_E10value_typeET2_T3_PNSZ_IS14_E10value_typeET4_jRbjT5_S1A_jjP12ihipStream_tbEUljE_EEESV_SW_SX_S14_S18_S1A_T6_T7_T9_mT8_S1C_bDpT10_ENKUlT_T0_E_clISt17integral_constantIbLb0EES1O_IbLb1EEEEDaS1K_S1L_EUlS1K_E_NS1_11comp_targetILNS1_3genE4ELNS1_11target_archE910ELNS1_3gpuE8ELNS1_3repE0EEENS1_30default_config_static_selectorELNS0_4arch9wavefront6targetE0EEEvSY_.numbered_sgpr, 0
	.set _ZN7rocprim17ROCPRIM_400000_NS6detail17trampoline_kernelINS0_13select_configILj256ELj13ELNS0_17block_load_methodE3ELS4_3ELS4_3ELNS0_20block_scan_algorithmE0ELj4294967295EEENS1_25partition_config_selectorILNS1_17partition_subalgoE3EjNS0_10empty_typeEbEEZZNS1_14partition_implILS8_3ELb0ES6_jNS0_17counting_iteratorIjlEEPS9_SE_NS0_5tupleIJPjSE_EEENSF_IJSE_SE_EEES9_SG_JZNS1_25segmented_radix_sort_implINS0_14default_configELb0EPKfPfPKlPlN2at6native12_GLOBAL__N_18offset_tEEE10hipError_tPvRmT1_PNSt15iterator_traitsISY_E10value_typeET2_T3_PNSZ_IS14_E10value_typeET4_jRbjT5_S1A_jjP12ihipStream_tbEUljE_EEESV_SW_SX_S14_S18_S1A_T6_T7_T9_mT8_S1C_bDpT10_ENKUlT_T0_E_clISt17integral_constantIbLb0EES1O_IbLb1EEEEDaS1K_S1L_EUlS1K_E_NS1_11comp_targetILNS1_3genE4ELNS1_11target_archE910ELNS1_3gpuE8ELNS1_3repE0EEENS1_30default_config_static_selectorELNS0_4arch9wavefront6targetE0EEEvSY_.num_named_barrier, 0
	.set _ZN7rocprim17ROCPRIM_400000_NS6detail17trampoline_kernelINS0_13select_configILj256ELj13ELNS0_17block_load_methodE3ELS4_3ELS4_3ELNS0_20block_scan_algorithmE0ELj4294967295EEENS1_25partition_config_selectorILNS1_17partition_subalgoE3EjNS0_10empty_typeEbEEZZNS1_14partition_implILS8_3ELb0ES6_jNS0_17counting_iteratorIjlEEPS9_SE_NS0_5tupleIJPjSE_EEENSF_IJSE_SE_EEES9_SG_JZNS1_25segmented_radix_sort_implINS0_14default_configELb0EPKfPfPKlPlN2at6native12_GLOBAL__N_18offset_tEEE10hipError_tPvRmT1_PNSt15iterator_traitsISY_E10value_typeET2_T3_PNSZ_IS14_E10value_typeET4_jRbjT5_S1A_jjP12ihipStream_tbEUljE_EEESV_SW_SX_S14_S18_S1A_T6_T7_T9_mT8_S1C_bDpT10_ENKUlT_T0_E_clISt17integral_constantIbLb0EES1O_IbLb1EEEEDaS1K_S1L_EUlS1K_E_NS1_11comp_targetILNS1_3genE4ELNS1_11target_archE910ELNS1_3gpuE8ELNS1_3repE0EEENS1_30default_config_static_selectorELNS0_4arch9wavefront6targetE0EEEvSY_.private_seg_size, 0
	.set _ZN7rocprim17ROCPRIM_400000_NS6detail17trampoline_kernelINS0_13select_configILj256ELj13ELNS0_17block_load_methodE3ELS4_3ELS4_3ELNS0_20block_scan_algorithmE0ELj4294967295EEENS1_25partition_config_selectorILNS1_17partition_subalgoE3EjNS0_10empty_typeEbEEZZNS1_14partition_implILS8_3ELb0ES6_jNS0_17counting_iteratorIjlEEPS9_SE_NS0_5tupleIJPjSE_EEENSF_IJSE_SE_EEES9_SG_JZNS1_25segmented_radix_sort_implINS0_14default_configELb0EPKfPfPKlPlN2at6native12_GLOBAL__N_18offset_tEEE10hipError_tPvRmT1_PNSt15iterator_traitsISY_E10value_typeET2_T3_PNSZ_IS14_E10value_typeET4_jRbjT5_S1A_jjP12ihipStream_tbEUljE_EEESV_SW_SX_S14_S18_S1A_T6_T7_T9_mT8_S1C_bDpT10_ENKUlT_T0_E_clISt17integral_constantIbLb0EES1O_IbLb1EEEEDaS1K_S1L_EUlS1K_E_NS1_11comp_targetILNS1_3genE4ELNS1_11target_archE910ELNS1_3gpuE8ELNS1_3repE0EEENS1_30default_config_static_selectorELNS0_4arch9wavefront6targetE0EEEvSY_.uses_vcc, 0
	.set _ZN7rocprim17ROCPRIM_400000_NS6detail17trampoline_kernelINS0_13select_configILj256ELj13ELNS0_17block_load_methodE3ELS4_3ELS4_3ELNS0_20block_scan_algorithmE0ELj4294967295EEENS1_25partition_config_selectorILNS1_17partition_subalgoE3EjNS0_10empty_typeEbEEZZNS1_14partition_implILS8_3ELb0ES6_jNS0_17counting_iteratorIjlEEPS9_SE_NS0_5tupleIJPjSE_EEENSF_IJSE_SE_EEES9_SG_JZNS1_25segmented_radix_sort_implINS0_14default_configELb0EPKfPfPKlPlN2at6native12_GLOBAL__N_18offset_tEEE10hipError_tPvRmT1_PNSt15iterator_traitsISY_E10value_typeET2_T3_PNSZ_IS14_E10value_typeET4_jRbjT5_S1A_jjP12ihipStream_tbEUljE_EEESV_SW_SX_S14_S18_S1A_T6_T7_T9_mT8_S1C_bDpT10_ENKUlT_T0_E_clISt17integral_constantIbLb0EES1O_IbLb1EEEEDaS1K_S1L_EUlS1K_E_NS1_11comp_targetILNS1_3genE4ELNS1_11target_archE910ELNS1_3gpuE8ELNS1_3repE0EEENS1_30default_config_static_selectorELNS0_4arch9wavefront6targetE0EEEvSY_.uses_flat_scratch, 0
	.set _ZN7rocprim17ROCPRIM_400000_NS6detail17trampoline_kernelINS0_13select_configILj256ELj13ELNS0_17block_load_methodE3ELS4_3ELS4_3ELNS0_20block_scan_algorithmE0ELj4294967295EEENS1_25partition_config_selectorILNS1_17partition_subalgoE3EjNS0_10empty_typeEbEEZZNS1_14partition_implILS8_3ELb0ES6_jNS0_17counting_iteratorIjlEEPS9_SE_NS0_5tupleIJPjSE_EEENSF_IJSE_SE_EEES9_SG_JZNS1_25segmented_radix_sort_implINS0_14default_configELb0EPKfPfPKlPlN2at6native12_GLOBAL__N_18offset_tEEE10hipError_tPvRmT1_PNSt15iterator_traitsISY_E10value_typeET2_T3_PNSZ_IS14_E10value_typeET4_jRbjT5_S1A_jjP12ihipStream_tbEUljE_EEESV_SW_SX_S14_S18_S1A_T6_T7_T9_mT8_S1C_bDpT10_ENKUlT_T0_E_clISt17integral_constantIbLb0EES1O_IbLb1EEEEDaS1K_S1L_EUlS1K_E_NS1_11comp_targetILNS1_3genE4ELNS1_11target_archE910ELNS1_3gpuE8ELNS1_3repE0EEENS1_30default_config_static_selectorELNS0_4arch9wavefront6targetE0EEEvSY_.has_dyn_sized_stack, 0
	.set _ZN7rocprim17ROCPRIM_400000_NS6detail17trampoline_kernelINS0_13select_configILj256ELj13ELNS0_17block_load_methodE3ELS4_3ELS4_3ELNS0_20block_scan_algorithmE0ELj4294967295EEENS1_25partition_config_selectorILNS1_17partition_subalgoE3EjNS0_10empty_typeEbEEZZNS1_14partition_implILS8_3ELb0ES6_jNS0_17counting_iteratorIjlEEPS9_SE_NS0_5tupleIJPjSE_EEENSF_IJSE_SE_EEES9_SG_JZNS1_25segmented_radix_sort_implINS0_14default_configELb0EPKfPfPKlPlN2at6native12_GLOBAL__N_18offset_tEEE10hipError_tPvRmT1_PNSt15iterator_traitsISY_E10value_typeET2_T3_PNSZ_IS14_E10value_typeET4_jRbjT5_S1A_jjP12ihipStream_tbEUljE_EEESV_SW_SX_S14_S18_S1A_T6_T7_T9_mT8_S1C_bDpT10_ENKUlT_T0_E_clISt17integral_constantIbLb0EES1O_IbLb1EEEEDaS1K_S1L_EUlS1K_E_NS1_11comp_targetILNS1_3genE4ELNS1_11target_archE910ELNS1_3gpuE8ELNS1_3repE0EEENS1_30default_config_static_selectorELNS0_4arch9wavefront6targetE0EEEvSY_.has_recursion, 0
	.set _ZN7rocprim17ROCPRIM_400000_NS6detail17trampoline_kernelINS0_13select_configILj256ELj13ELNS0_17block_load_methodE3ELS4_3ELS4_3ELNS0_20block_scan_algorithmE0ELj4294967295EEENS1_25partition_config_selectorILNS1_17partition_subalgoE3EjNS0_10empty_typeEbEEZZNS1_14partition_implILS8_3ELb0ES6_jNS0_17counting_iteratorIjlEEPS9_SE_NS0_5tupleIJPjSE_EEENSF_IJSE_SE_EEES9_SG_JZNS1_25segmented_radix_sort_implINS0_14default_configELb0EPKfPfPKlPlN2at6native12_GLOBAL__N_18offset_tEEE10hipError_tPvRmT1_PNSt15iterator_traitsISY_E10value_typeET2_T3_PNSZ_IS14_E10value_typeET4_jRbjT5_S1A_jjP12ihipStream_tbEUljE_EEESV_SW_SX_S14_S18_S1A_T6_T7_T9_mT8_S1C_bDpT10_ENKUlT_T0_E_clISt17integral_constantIbLb0EES1O_IbLb1EEEEDaS1K_S1L_EUlS1K_E_NS1_11comp_targetILNS1_3genE4ELNS1_11target_archE910ELNS1_3gpuE8ELNS1_3repE0EEENS1_30default_config_static_selectorELNS0_4arch9wavefront6targetE0EEEvSY_.has_indirect_call, 0
	.section	.AMDGPU.csdata,"",@progbits
; Kernel info:
; codeLenInByte = 0
; TotalNumSgprs: 0
; NumVgprs: 0
; ScratchSize: 0
; MemoryBound: 0
; FloatMode: 240
; IeeeMode: 1
; LDSByteSize: 0 bytes/workgroup (compile time only)
; SGPRBlocks: 0
; VGPRBlocks: 0
; NumSGPRsForWavesPerEU: 1
; NumVGPRsForWavesPerEU: 1
; NamedBarCnt: 0
; Occupancy: 16
; WaveLimiterHint : 0
; COMPUTE_PGM_RSRC2:SCRATCH_EN: 0
; COMPUTE_PGM_RSRC2:USER_SGPR: 2
; COMPUTE_PGM_RSRC2:TRAP_HANDLER: 0
; COMPUTE_PGM_RSRC2:TGID_X_EN: 1
; COMPUTE_PGM_RSRC2:TGID_Y_EN: 0
; COMPUTE_PGM_RSRC2:TGID_Z_EN: 0
; COMPUTE_PGM_RSRC2:TIDIG_COMP_CNT: 0
	.section	.text._ZN7rocprim17ROCPRIM_400000_NS6detail17trampoline_kernelINS0_13select_configILj256ELj13ELNS0_17block_load_methodE3ELS4_3ELS4_3ELNS0_20block_scan_algorithmE0ELj4294967295EEENS1_25partition_config_selectorILNS1_17partition_subalgoE3EjNS0_10empty_typeEbEEZZNS1_14partition_implILS8_3ELb0ES6_jNS0_17counting_iteratorIjlEEPS9_SE_NS0_5tupleIJPjSE_EEENSF_IJSE_SE_EEES9_SG_JZNS1_25segmented_radix_sort_implINS0_14default_configELb0EPKfPfPKlPlN2at6native12_GLOBAL__N_18offset_tEEE10hipError_tPvRmT1_PNSt15iterator_traitsISY_E10value_typeET2_T3_PNSZ_IS14_E10value_typeET4_jRbjT5_S1A_jjP12ihipStream_tbEUljE_EEESV_SW_SX_S14_S18_S1A_T6_T7_T9_mT8_S1C_bDpT10_ENKUlT_T0_E_clISt17integral_constantIbLb0EES1O_IbLb1EEEEDaS1K_S1L_EUlS1K_E_NS1_11comp_targetILNS1_3genE3ELNS1_11target_archE908ELNS1_3gpuE7ELNS1_3repE0EEENS1_30default_config_static_selectorELNS0_4arch9wavefront6targetE0EEEvSY_,"axG",@progbits,_ZN7rocprim17ROCPRIM_400000_NS6detail17trampoline_kernelINS0_13select_configILj256ELj13ELNS0_17block_load_methodE3ELS4_3ELS4_3ELNS0_20block_scan_algorithmE0ELj4294967295EEENS1_25partition_config_selectorILNS1_17partition_subalgoE3EjNS0_10empty_typeEbEEZZNS1_14partition_implILS8_3ELb0ES6_jNS0_17counting_iteratorIjlEEPS9_SE_NS0_5tupleIJPjSE_EEENSF_IJSE_SE_EEES9_SG_JZNS1_25segmented_radix_sort_implINS0_14default_configELb0EPKfPfPKlPlN2at6native12_GLOBAL__N_18offset_tEEE10hipError_tPvRmT1_PNSt15iterator_traitsISY_E10value_typeET2_T3_PNSZ_IS14_E10value_typeET4_jRbjT5_S1A_jjP12ihipStream_tbEUljE_EEESV_SW_SX_S14_S18_S1A_T6_T7_T9_mT8_S1C_bDpT10_ENKUlT_T0_E_clISt17integral_constantIbLb0EES1O_IbLb1EEEEDaS1K_S1L_EUlS1K_E_NS1_11comp_targetILNS1_3genE3ELNS1_11target_archE908ELNS1_3gpuE7ELNS1_3repE0EEENS1_30default_config_static_selectorELNS0_4arch9wavefront6targetE0EEEvSY_,comdat
	.globl	_ZN7rocprim17ROCPRIM_400000_NS6detail17trampoline_kernelINS0_13select_configILj256ELj13ELNS0_17block_load_methodE3ELS4_3ELS4_3ELNS0_20block_scan_algorithmE0ELj4294967295EEENS1_25partition_config_selectorILNS1_17partition_subalgoE3EjNS0_10empty_typeEbEEZZNS1_14partition_implILS8_3ELb0ES6_jNS0_17counting_iteratorIjlEEPS9_SE_NS0_5tupleIJPjSE_EEENSF_IJSE_SE_EEES9_SG_JZNS1_25segmented_radix_sort_implINS0_14default_configELb0EPKfPfPKlPlN2at6native12_GLOBAL__N_18offset_tEEE10hipError_tPvRmT1_PNSt15iterator_traitsISY_E10value_typeET2_T3_PNSZ_IS14_E10value_typeET4_jRbjT5_S1A_jjP12ihipStream_tbEUljE_EEESV_SW_SX_S14_S18_S1A_T6_T7_T9_mT8_S1C_bDpT10_ENKUlT_T0_E_clISt17integral_constantIbLb0EES1O_IbLb1EEEEDaS1K_S1L_EUlS1K_E_NS1_11comp_targetILNS1_3genE3ELNS1_11target_archE908ELNS1_3gpuE7ELNS1_3repE0EEENS1_30default_config_static_selectorELNS0_4arch9wavefront6targetE0EEEvSY_ ; -- Begin function _ZN7rocprim17ROCPRIM_400000_NS6detail17trampoline_kernelINS0_13select_configILj256ELj13ELNS0_17block_load_methodE3ELS4_3ELS4_3ELNS0_20block_scan_algorithmE0ELj4294967295EEENS1_25partition_config_selectorILNS1_17partition_subalgoE3EjNS0_10empty_typeEbEEZZNS1_14partition_implILS8_3ELb0ES6_jNS0_17counting_iteratorIjlEEPS9_SE_NS0_5tupleIJPjSE_EEENSF_IJSE_SE_EEES9_SG_JZNS1_25segmented_radix_sort_implINS0_14default_configELb0EPKfPfPKlPlN2at6native12_GLOBAL__N_18offset_tEEE10hipError_tPvRmT1_PNSt15iterator_traitsISY_E10value_typeET2_T3_PNSZ_IS14_E10value_typeET4_jRbjT5_S1A_jjP12ihipStream_tbEUljE_EEESV_SW_SX_S14_S18_S1A_T6_T7_T9_mT8_S1C_bDpT10_ENKUlT_T0_E_clISt17integral_constantIbLb0EES1O_IbLb1EEEEDaS1K_S1L_EUlS1K_E_NS1_11comp_targetILNS1_3genE3ELNS1_11target_archE908ELNS1_3gpuE7ELNS1_3repE0EEENS1_30default_config_static_selectorELNS0_4arch9wavefront6targetE0EEEvSY_
	.p2align	8
	.type	_ZN7rocprim17ROCPRIM_400000_NS6detail17trampoline_kernelINS0_13select_configILj256ELj13ELNS0_17block_load_methodE3ELS4_3ELS4_3ELNS0_20block_scan_algorithmE0ELj4294967295EEENS1_25partition_config_selectorILNS1_17partition_subalgoE3EjNS0_10empty_typeEbEEZZNS1_14partition_implILS8_3ELb0ES6_jNS0_17counting_iteratorIjlEEPS9_SE_NS0_5tupleIJPjSE_EEENSF_IJSE_SE_EEES9_SG_JZNS1_25segmented_radix_sort_implINS0_14default_configELb0EPKfPfPKlPlN2at6native12_GLOBAL__N_18offset_tEEE10hipError_tPvRmT1_PNSt15iterator_traitsISY_E10value_typeET2_T3_PNSZ_IS14_E10value_typeET4_jRbjT5_S1A_jjP12ihipStream_tbEUljE_EEESV_SW_SX_S14_S18_S1A_T6_T7_T9_mT8_S1C_bDpT10_ENKUlT_T0_E_clISt17integral_constantIbLb0EES1O_IbLb1EEEEDaS1K_S1L_EUlS1K_E_NS1_11comp_targetILNS1_3genE3ELNS1_11target_archE908ELNS1_3gpuE7ELNS1_3repE0EEENS1_30default_config_static_selectorELNS0_4arch9wavefront6targetE0EEEvSY_,@function
_ZN7rocprim17ROCPRIM_400000_NS6detail17trampoline_kernelINS0_13select_configILj256ELj13ELNS0_17block_load_methodE3ELS4_3ELS4_3ELNS0_20block_scan_algorithmE0ELj4294967295EEENS1_25partition_config_selectorILNS1_17partition_subalgoE3EjNS0_10empty_typeEbEEZZNS1_14partition_implILS8_3ELb0ES6_jNS0_17counting_iteratorIjlEEPS9_SE_NS0_5tupleIJPjSE_EEENSF_IJSE_SE_EEES9_SG_JZNS1_25segmented_radix_sort_implINS0_14default_configELb0EPKfPfPKlPlN2at6native12_GLOBAL__N_18offset_tEEE10hipError_tPvRmT1_PNSt15iterator_traitsISY_E10value_typeET2_T3_PNSZ_IS14_E10value_typeET4_jRbjT5_S1A_jjP12ihipStream_tbEUljE_EEESV_SW_SX_S14_S18_S1A_T6_T7_T9_mT8_S1C_bDpT10_ENKUlT_T0_E_clISt17integral_constantIbLb0EES1O_IbLb1EEEEDaS1K_S1L_EUlS1K_E_NS1_11comp_targetILNS1_3genE3ELNS1_11target_archE908ELNS1_3gpuE7ELNS1_3repE0EEENS1_30default_config_static_selectorELNS0_4arch9wavefront6targetE0EEEvSY_: ; @_ZN7rocprim17ROCPRIM_400000_NS6detail17trampoline_kernelINS0_13select_configILj256ELj13ELNS0_17block_load_methodE3ELS4_3ELS4_3ELNS0_20block_scan_algorithmE0ELj4294967295EEENS1_25partition_config_selectorILNS1_17partition_subalgoE3EjNS0_10empty_typeEbEEZZNS1_14partition_implILS8_3ELb0ES6_jNS0_17counting_iteratorIjlEEPS9_SE_NS0_5tupleIJPjSE_EEENSF_IJSE_SE_EEES9_SG_JZNS1_25segmented_radix_sort_implINS0_14default_configELb0EPKfPfPKlPlN2at6native12_GLOBAL__N_18offset_tEEE10hipError_tPvRmT1_PNSt15iterator_traitsISY_E10value_typeET2_T3_PNSZ_IS14_E10value_typeET4_jRbjT5_S1A_jjP12ihipStream_tbEUljE_EEESV_SW_SX_S14_S18_S1A_T6_T7_T9_mT8_S1C_bDpT10_ENKUlT_T0_E_clISt17integral_constantIbLb0EES1O_IbLb1EEEEDaS1K_S1L_EUlS1K_E_NS1_11comp_targetILNS1_3genE3ELNS1_11target_archE908ELNS1_3gpuE7ELNS1_3repE0EEENS1_30default_config_static_selectorELNS0_4arch9wavefront6targetE0EEEvSY_
; %bb.0:
	.section	.rodata,"a",@progbits
	.p2align	6, 0x0
	.amdhsa_kernel _ZN7rocprim17ROCPRIM_400000_NS6detail17trampoline_kernelINS0_13select_configILj256ELj13ELNS0_17block_load_methodE3ELS4_3ELS4_3ELNS0_20block_scan_algorithmE0ELj4294967295EEENS1_25partition_config_selectorILNS1_17partition_subalgoE3EjNS0_10empty_typeEbEEZZNS1_14partition_implILS8_3ELb0ES6_jNS0_17counting_iteratorIjlEEPS9_SE_NS0_5tupleIJPjSE_EEENSF_IJSE_SE_EEES9_SG_JZNS1_25segmented_radix_sort_implINS0_14default_configELb0EPKfPfPKlPlN2at6native12_GLOBAL__N_18offset_tEEE10hipError_tPvRmT1_PNSt15iterator_traitsISY_E10value_typeET2_T3_PNSZ_IS14_E10value_typeET4_jRbjT5_S1A_jjP12ihipStream_tbEUljE_EEESV_SW_SX_S14_S18_S1A_T6_T7_T9_mT8_S1C_bDpT10_ENKUlT_T0_E_clISt17integral_constantIbLb0EES1O_IbLb1EEEEDaS1K_S1L_EUlS1K_E_NS1_11comp_targetILNS1_3genE3ELNS1_11target_archE908ELNS1_3gpuE7ELNS1_3repE0EEENS1_30default_config_static_selectorELNS0_4arch9wavefront6targetE0EEEvSY_
		.amdhsa_group_segment_fixed_size 0
		.amdhsa_private_segment_fixed_size 0
		.amdhsa_kernarg_size 152
		.amdhsa_user_sgpr_count 2
		.amdhsa_user_sgpr_dispatch_ptr 0
		.amdhsa_user_sgpr_queue_ptr 0
		.amdhsa_user_sgpr_kernarg_segment_ptr 1
		.amdhsa_user_sgpr_dispatch_id 0
		.amdhsa_user_sgpr_kernarg_preload_length 0
		.amdhsa_user_sgpr_kernarg_preload_offset 0
		.amdhsa_user_sgpr_private_segment_size 0
		.amdhsa_wavefront_size32 1
		.amdhsa_uses_dynamic_stack 0
		.amdhsa_enable_private_segment 0
		.amdhsa_system_sgpr_workgroup_id_x 1
		.amdhsa_system_sgpr_workgroup_id_y 0
		.amdhsa_system_sgpr_workgroup_id_z 0
		.amdhsa_system_sgpr_workgroup_info 0
		.amdhsa_system_vgpr_workitem_id 0
		.amdhsa_next_free_vgpr 1
		.amdhsa_next_free_sgpr 1
		.amdhsa_named_barrier_count 0
		.amdhsa_reserve_vcc 0
		.amdhsa_float_round_mode_32 0
		.amdhsa_float_round_mode_16_64 0
		.amdhsa_float_denorm_mode_32 3
		.amdhsa_float_denorm_mode_16_64 3
		.amdhsa_fp16_overflow 0
		.amdhsa_memory_ordered 1
		.amdhsa_forward_progress 1
		.amdhsa_inst_pref_size 0
		.amdhsa_round_robin_scheduling 0
		.amdhsa_exception_fp_ieee_invalid_op 0
		.amdhsa_exception_fp_denorm_src 0
		.amdhsa_exception_fp_ieee_div_zero 0
		.amdhsa_exception_fp_ieee_overflow 0
		.amdhsa_exception_fp_ieee_underflow 0
		.amdhsa_exception_fp_ieee_inexact 0
		.amdhsa_exception_int_div_zero 0
	.end_amdhsa_kernel
	.section	.text._ZN7rocprim17ROCPRIM_400000_NS6detail17trampoline_kernelINS0_13select_configILj256ELj13ELNS0_17block_load_methodE3ELS4_3ELS4_3ELNS0_20block_scan_algorithmE0ELj4294967295EEENS1_25partition_config_selectorILNS1_17partition_subalgoE3EjNS0_10empty_typeEbEEZZNS1_14partition_implILS8_3ELb0ES6_jNS0_17counting_iteratorIjlEEPS9_SE_NS0_5tupleIJPjSE_EEENSF_IJSE_SE_EEES9_SG_JZNS1_25segmented_radix_sort_implINS0_14default_configELb0EPKfPfPKlPlN2at6native12_GLOBAL__N_18offset_tEEE10hipError_tPvRmT1_PNSt15iterator_traitsISY_E10value_typeET2_T3_PNSZ_IS14_E10value_typeET4_jRbjT5_S1A_jjP12ihipStream_tbEUljE_EEESV_SW_SX_S14_S18_S1A_T6_T7_T9_mT8_S1C_bDpT10_ENKUlT_T0_E_clISt17integral_constantIbLb0EES1O_IbLb1EEEEDaS1K_S1L_EUlS1K_E_NS1_11comp_targetILNS1_3genE3ELNS1_11target_archE908ELNS1_3gpuE7ELNS1_3repE0EEENS1_30default_config_static_selectorELNS0_4arch9wavefront6targetE0EEEvSY_,"axG",@progbits,_ZN7rocprim17ROCPRIM_400000_NS6detail17trampoline_kernelINS0_13select_configILj256ELj13ELNS0_17block_load_methodE3ELS4_3ELS4_3ELNS0_20block_scan_algorithmE0ELj4294967295EEENS1_25partition_config_selectorILNS1_17partition_subalgoE3EjNS0_10empty_typeEbEEZZNS1_14partition_implILS8_3ELb0ES6_jNS0_17counting_iteratorIjlEEPS9_SE_NS0_5tupleIJPjSE_EEENSF_IJSE_SE_EEES9_SG_JZNS1_25segmented_radix_sort_implINS0_14default_configELb0EPKfPfPKlPlN2at6native12_GLOBAL__N_18offset_tEEE10hipError_tPvRmT1_PNSt15iterator_traitsISY_E10value_typeET2_T3_PNSZ_IS14_E10value_typeET4_jRbjT5_S1A_jjP12ihipStream_tbEUljE_EEESV_SW_SX_S14_S18_S1A_T6_T7_T9_mT8_S1C_bDpT10_ENKUlT_T0_E_clISt17integral_constantIbLb0EES1O_IbLb1EEEEDaS1K_S1L_EUlS1K_E_NS1_11comp_targetILNS1_3genE3ELNS1_11target_archE908ELNS1_3gpuE7ELNS1_3repE0EEENS1_30default_config_static_selectorELNS0_4arch9wavefront6targetE0EEEvSY_,comdat
.Lfunc_end1416:
	.size	_ZN7rocprim17ROCPRIM_400000_NS6detail17trampoline_kernelINS0_13select_configILj256ELj13ELNS0_17block_load_methodE3ELS4_3ELS4_3ELNS0_20block_scan_algorithmE0ELj4294967295EEENS1_25partition_config_selectorILNS1_17partition_subalgoE3EjNS0_10empty_typeEbEEZZNS1_14partition_implILS8_3ELb0ES6_jNS0_17counting_iteratorIjlEEPS9_SE_NS0_5tupleIJPjSE_EEENSF_IJSE_SE_EEES9_SG_JZNS1_25segmented_radix_sort_implINS0_14default_configELb0EPKfPfPKlPlN2at6native12_GLOBAL__N_18offset_tEEE10hipError_tPvRmT1_PNSt15iterator_traitsISY_E10value_typeET2_T3_PNSZ_IS14_E10value_typeET4_jRbjT5_S1A_jjP12ihipStream_tbEUljE_EEESV_SW_SX_S14_S18_S1A_T6_T7_T9_mT8_S1C_bDpT10_ENKUlT_T0_E_clISt17integral_constantIbLb0EES1O_IbLb1EEEEDaS1K_S1L_EUlS1K_E_NS1_11comp_targetILNS1_3genE3ELNS1_11target_archE908ELNS1_3gpuE7ELNS1_3repE0EEENS1_30default_config_static_selectorELNS0_4arch9wavefront6targetE0EEEvSY_, .Lfunc_end1416-_ZN7rocprim17ROCPRIM_400000_NS6detail17trampoline_kernelINS0_13select_configILj256ELj13ELNS0_17block_load_methodE3ELS4_3ELS4_3ELNS0_20block_scan_algorithmE0ELj4294967295EEENS1_25partition_config_selectorILNS1_17partition_subalgoE3EjNS0_10empty_typeEbEEZZNS1_14partition_implILS8_3ELb0ES6_jNS0_17counting_iteratorIjlEEPS9_SE_NS0_5tupleIJPjSE_EEENSF_IJSE_SE_EEES9_SG_JZNS1_25segmented_radix_sort_implINS0_14default_configELb0EPKfPfPKlPlN2at6native12_GLOBAL__N_18offset_tEEE10hipError_tPvRmT1_PNSt15iterator_traitsISY_E10value_typeET2_T3_PNSZ_IS14_E10value_typeET4_jRbjT5_S1A_jjP12ihipStream_tbEUljE_EEESV_SW_SX_S14_S18_S1A_T6_T7_T9_mT8_S1C_bDpT10_ENKUlT_T0_E_clISt17integral_constantIbLb0EES1O_IbLb1EEEEDaS1K_S1L_EUlS1K_E_NS1_11comp_targetILNS1_3genE3ELNS1_11target_archE908ELNS1_3gpuE7ELNS1_3repE0EEENS1_30default_config_static_selectorELNS0_4arch9wavefront6targetE0EEEvSY_
                                        ; -- End function
	.set _ZN7rocprim17ROCPRIM_400000_NS6detail17trampoline_kernelINS0_13select_configILj256ELj13ELNS0_17block_load_methodE3ELS4_3ELS4_3ELNS0_20block_scan_algorithmE0ELj4294967295EEENS1_25partition_config_selectorILNS1_17partition_subalgoE3EjNS0_10empty_typeEbEEZZNS1_14partition_implILS8_3ELb0ES6_jNS0_17counting_iteratorIjlEEPS9_SE_NS0_5tupleIJPjSE_EEENSF_IJSE_SE_EEES9_SG_JZNS1_25segmented_radix_sort_implINS0_14default_configELb0EPKfPfPKlPlN2at6native12_GLOBAL__N_18offset_tEEE10hipError_tPvRmT1_PNSt15iterator_traitsISY_E10value_typeET2_T3_PNSZ_IS14_E10value_typeET4_jRbjT5_S1A_jjP12ihipStream_tbEUljE_EEESV_SW_SX_S14_S18_S1A_T6_T7_T9_mT8_S1C_bDpT10_ENKUlT_T0_E_clISt17integral_constantIbLb0EES1O_IbLb1EEEEDaS1K_S1L_EUlS1K_E_NS1_11comp_targetILNS1_3genE3ELNS1_11target_archE908ELNS1_3gpuE7ELNS1_3repE0EEENS1_30default_config_static_selectorELNS0_4arch9wavefront6targetE0EEEvSY_.num_vgpr, 0
	.set _ZN7rocprim17ROCPRIM_400000_NS6detail17trampoline_kernelINS0_13select_configILj256ELj13ELNS0_17block_load_methodE3ELS4_3ELS4_3ELNS0_20block_scan_algorithmE0ELj4294967295EEENS1_25partition_config_selectorILNS1_17partition_subalgoE3EjNS0_10empty_typeEbEEZZNS1_14partition_implILS8_3ELb0ES6_jNS0_17counting_iteratorIjlEEPS9_SE_NS0_5tupleIJPjSE_EEENSF_IJSE_SE_EEES9_SG_JZNS1_25segmented_radix_sort_implINS0_14default_configELb0EPKfPfPKlPlN2at6native12_GLOBAL__N_18offset_tEEE10hipError_tPvRmT1_PNSt15iterator_traitsISY_E10value_typeET2_T3_PNSZ_IS14_E10value_typeET4_jRbjT5_S1A_jjP12ihipStream_tbEUljE_EEESV_SW_SX_S14_S18_S1A_T6_T7_T9_mT8_S1C_bDpT10_ENKUlT_T0_E_clISt17integral_constantIbLb0EES1O_IbLb1EEEEDaS1K_S1L_EUlS1K_E_NS1_11comp_targetILNS1_3genE3ELNS1_11target_archE908ELNS1_3gpuE7ELNS1_3repE0EEENS1_30default_config_static_selectorELNS0_4arch9wavefront6targetE0EEEvSY_.num_agpr, 0
	.set _ZN7rocprim17ROCPRIM_400000_NS6detail17trampoline_kernelINS0_13select_configILj256ELj13ELNS0_17block_load_methodE3ELS4_3ELS4_3ELNS0_20block_scan_algorithmE0ELj4294967295EEENS1_25partition_config_selectorILNS1_17partition_subalgoE3EjNS0_10empty_typeEbEEZZNS1_14partition_implILS8_3ELb0ES6_jNS0_17counting_iteratorIjlEEPS9_SE_NS0_5tupleIJPjSE_EEENSF_IJSE_SE_EEES9_SG_JZNS1_25segmented_radix_sort_implINS0_14default_configELb0EPKfPfPKlPlN2at6native12_GLOBAL__N_18offset_tEEE10hipError_tPvRmT1_PNSt15iterator_traitsISY_E10value_typeET2_T3_PNSZ_IS14_E10value_typeET4_jRbjT5_S1A_jjP12ihipStream_tbEUljE_EEESV_SW_SX_S14_S18_S1A_T6_T7_T9_mT8_S1C_bDpT10_ENKUlT_T0_E_clISt17integral_constantIbLb0EES1O_IbLb1EEEEDaS1K_S1L_EUlS1K_E_NS1_11comp_targetILNS1_3genE3ELNS1_11target_archE908ELNS1_3gpuE7ELNS1_3repE0EEENS1_30default_config_static_selectorELNS0_4arch9wavefront6targetE0EEEvSY_.numbered_sgpr, 0
	.set _ZN7rocprim17ROCPRIM_400000_NS6detail17trampoline_kernelINS0_13select_configILj256ELj13ELNS0_17block_load_methodE3ELS4_3ELS4_3ELNS0_20block_scan_algorithmE0ELj4294967295EEENS1_25partition_config_selectorILNS1_17partition_subalgoE3EjNS0_10empty_typeEbEEZZNS1_14partition_implILS8_3ELb0ES6_jNS0_17counting_iteratorIjlEEPS9_SE_NS0_5tupleIJPjSE_EEENSF_IJSE_SE_EEES9_SG_JZNS1_25segmented_radix_sort_implINS0_14default_configELb0EPKfPfPKlPlN2at6native12_GLOBAL__N_18offset_tEEE10hipError_tPvRmT1_PNSt15iterator_traitsISY_E10value_typeET2_T3_PNSZ_IS14_E10value_typeET4_jRbjT5_S1A_jjP12ihipStream_tbEUljE_EEESV_SW_SX_S14_S18_S1A_T6_T7_T9_mT8_S1C_bDpT10_ENKUlT_T0_E_clISt17integral_constantIbLb0EES1O_IbLb1EEEEDaS1K_S1L_EUlS1K_E_NS1_11comp_targetILNS1_3genE3ELNS1_11target_archE908ELNS1_3gpuE7ELNS1_3repE0EEENS1_30default_config_static_selectorELNS0_4arch9wavefront6targetE0EEEvSY_.num_named_barrier, 0
	.set _ZN7rocprim17ROCPRIM_400000_NS6detail17trampoline_kernelINS0_13select_configILj256ELj13ELNS0_17block_load_methodE3ELS4_3ELS4_3ELNS0_20block_scan_algorithmE0ELj4294967295EEENS1_25partition_config_selectorILNS1_17partition_subalgoE3EjNS0_10empty_typeEbEEZZNS1_14partition_implILS8_3ELb0ES6_jNS0_17counting_iteratorIjlEEPS9_SE_NS0_5tupleIJPjSE_EEENSF_IJSE_SE_EEES9_SG_JZNS1_25segmented_radix_sort_implINS0_14default_configELb0EPKfPfPKlPlN2at6native12_GLOBAL__N_18offset_tEEE10hipError_tPvRmT1_PNSt15iterator_traitsISY_E10value_typeET2_T3_PNSZ_IS14_E10value_typeET4_jRbjT5_S1A_jjP12ihipStream_tbEUljE_EEESV_SW_SX_S14_S18_S1A_T6_T7_T9_mT8_S1C_bDpT10_ENKUlT_T0_E_clISt17integral_constantIbLb0EES1O_IbLb1EEEEDaS1K_S1L_EUlS1K_E_NS1_11comp_targetILNS1_3genE3ELNS1_11target_archE908ELNS1_3gpuE7ELNS1_3repE0EEENS1_30default_config_static_selectorELNS0_4arch9wavefront6targetE0EEEvSY_.private_seg_size, 0
	.set _ZN7rocprim17ROCPRIM_400000_NS6detail17trampoline_kernelINS0_13select_configILj256ELj13ELNS0_17block_load_methodE3ELS4_3ELS4_3ELNS0_20block_scan_algorithmE0ELj4294967295EEENS1_25partition_config_selectorILNS1_17partition_subalgoE3EjNS0_10empty_typeEbEEZZNS1_14partition_implILS8_3ELb0ES6_jNS0_17counting_iteratorIjlEEPS9_SE_NS0_5tupleIJPjSE_EEENSF_IJSE_SE_EEES9_SG_JZNS1_25segmented_radix_sort_implINS0_14default_configELb0EPKfPfPKlPlN2at6native12_GLOBAL__N_18offset_tEEE10hipError_tPvRmT1_PNSt15iterator_traitsISY_E10value_typeET2_T3_PNSZ_IS14_E10value_typeET4_jRbjT5_S1A_jjP12ihipStream_tbEUljE_EEESV_SW_SX_S14_S18_S1A_T6_T7_T9_mT8_S1C_bDpT10_ENKUlT_T0_E_clISt17integral_constantIbLb0EES1O_IbLb1EEEEDaS1K_S1L_EUlS1K_E_NS1_11comp_targetILNS1_3genE3ELNS1_11target_archE908ELNS1_3gpuE7ELNS1_3repE0EEENS1_30default_config_static_selectorELNS0_4arch9wavefront6targetE0EEEvSY_.uses_vcc, 0
	.set _ZN7rocprim17ROCPRIM_400000_NS6detail17trampoline_kernelINS0_13select_configILj256ELj13ELNS0_17block_load_methodE3ELS4_3ELS4_3ELNS0_20block_scan_algorithmE0ELj4294967295EEENS1_25partition_config_selectorILNS1_17partition_subalgoE3EjNS0_10empty_typeEbEEZZNS1_14partition_implILS8_3ELb0ES6_jNS0_17counting_iteratorIjlEEPS9_SE_NS0_5tupleIJPjSE_EEENSF_IJSE_SE_EEES9_SG_JZNS1_25segmented_radix_sort_implINS0_14default_configELb0EPKfPfPKlPlN2at6native12_GLOBAL__N_18offset_tEEE10hipError_tPvRmT1_PNSt15iterator_traitsISY_E10value_typeET2_T3_PNSZ_IS14_E10value_typeET4_jRbjT5_S1A_jjP12ihipStream_tbEUljE_EEESV_SW_SX_S14_S18_S1A_T6_T7_T9_mT8_S1C_bDpT10_ENKUlT_T0_E_clISt17integral_constantIbLb0EES1O_IbLb1EEEEDaS1K_S1L_EUlS1K_E_NS1_11comp_targetILNS1_3genE3ELNS1_11target_archE908ELNS1_3gpuE7ELNS1_3repE0EEENS1_30default_config_static_selectorELNS0_4arch9wavefront6targetE0EEEvSY_.uses_flat_scratch, 0
	.set _ZN7rocprim17ROCPRIM_400000_NS6detail17trampoline_kernelINS0_13select_configILj256ELj13ELNS0_17block_load_methodE3ELS4_3ELS4_3ELNS0_20block_scan_algorithmE0ELj4294967295EEENS1_25partition_config_selectorILNS1_17partition_subalgoE3EjNS0_10empty_typeEbEEZZNS1_14partition_implILS8_3ELb0ES6_jNS0_17counting_iteratorIjlEEPS9_SE_NS0_5tupleIJPjSE_EEENSF_IJSE_SE_EEES9_SG_JZNS1_25segmented_radix_sort_implINS0_14default_configELb0EPKfPfPKlPlN2at6native12_GLOBAL__N_18offset_tEEE10hipError_tPvRmT1_PNSt15iterator_traitsISY_E10value_typeET2_T3_PNSZ_IS14_E10value_typeET4_jRbjT5_S1A_jjP12ihipStream_tbEUljE_EEESV_SW_SX_S14_S18_S1A_T6_T7_T9_mT8_S1C_bDpT10_ENKUlT_T0_E_clISt17integral_constantIbLb0EES1O_IbLb1EEEEDaS1K_S1L_EUlS1K_E_NS1_11comp_targetILNS1_3genE3ELNS1_11target_archE908ELNS1_3gpuE7ELNS1_3repE0EEENS1_30default_config_static_selectorELNS0_4arch9wavefront6targetE0EEEvSY_.has_dyn_sized_stack, 0
	.set _ZN7rocprim17ROCPRIM_400000_NS6detail17trampoline_kernelINS0_13select_configILj256ELj13ELNS0_17block_load_methodE3ELS4_3ELS4_3ELNS0_20block_scan_algorithmE0ELj4294967295EEENS1_25partition_config_selectorILNS1_17partition_subalgoE3EjNS0_10empty_typeEbEEZZNS1_14partition_implILS8_3ELb0ES6_jNS0_17counting_iteratorIjlEEPS9_SE_NS0_5tupleIJPjSE_EEENSF_IJSE_SE_EEES9_SG_JZNS1_25segmented_radix_sort_implINS0_14default_configELb0EPKfPfPKlPlN2at6native12_GLOBAL__N_18offset_tEEE10hipError_tPvRmT1_PNSt15iterator_traitsISY_E10value_typeET2_T3_PNSZ_IS14_E10value_typeET4_jRbjT5_S1A_jjP12ihipStream_tbEUljE_EEESV_SW_SX_S14_S18_S1A_T6_T7_T9_mT8_S1C_bDpT10_ENKUlT_T0_E_clISt17integral_constantIbLb0EES1O_IbLb1EEEEDaS1K_S1L_EUlS1K_E_NS1_11comp_targetILNS1_3genE3ELNS1_11target_archE908ELNS1_3gpuE7ELNS1_3repE0EEENS1_30default_config_static_selectorELNS0_4arch9wavefront6targetE0EEEvSY_.has_recursion, 0
	.set _ZN7rocprim17ROCPRIM_400000_NS6detail17trampoline_kernelINS0_13select_configILj256ELj13ELNS0_17block_load_methodE3ELS4_3ELS4_3ELNS0_20block_scan_algorithmE0ELj4294967295EEENS1_25partition_config_selectorILNS1_17partition_subalgoE3EjNS0_10empty_typeEbEEZZNS1_14partition_implILS8_3ELb0ES6_jNS0_17counting_iteratorIjlEEPS9_SE_NS0_5tupleIJPjSE_EEENSF_IJSE_SE_EEES9_SG_JZNS1_25segmented_radix_sort_implINS0_14default_configELb0EPKfPfPKlPlN2at6native12_GLOBAL__N_18offset_tEEE10hipError_tPvRmT1_PNSt15iterator_traitsISY_E10value_typeET2_T3_PNSZ_IS14_E10value_typeET4_jRbjT5_S1A_jjP12ihipStream_tbEUljE_EEESV_SW_SX_S14_S18_S1A_T6_T7_T9_mT8_S1C_bDpT10_ENKUlT_T0_E_clISt17integral_constantIbLb0EES1O_IbLb1EEEEDaS1K_S1L_EUlS1K_E_NS1_11comp_targetILNS1_3genE3ELNS1_11target_archE908ELNS1_3gpuE7ELNS1_3repE0EEENS1_30default_config_static_selectorELNS0_4arch9wavefront6targetE0EEEvSY_.has_indirect_call, 0
	.section	.AMDGPU.csdata,"",@progbits
; Kernel info:
; codeLenInByte = 0
; TotalNumSgprs: 0
; NumVgprs: 0
; ScratchSize: 0
; MemoryBound: 0
; FloatMode: 240
; IeeeMode: 1
; LDSByteSize: 0 bytes/workgroup (compile time only)
; SGPRBlocks: 0
; VGPRBlocks: 0
; NumSGPRsForWavesPerEU: 1
; NumVGPRsForWavesPerEU: 1
; NamedBarCnt: 0
; Occupancy: 16
; WaveLimiterHint : 0
; COMPUTE_PGM_RSRC2:SCRATCH_EN: 0
; COMPUTE_PGM_RSRC2:USER_SGPR: 2
; COMPUTE_PGM_RSRC2:TRAP_HANDLER: 0
; COMPUTE_PGM_RSRC2:TGID_X_EN: 1
; COMPUTE_PGM_RSRC2:TGID_Y_EN: 0
; COMPUTE_PGM_RSRC2:TGID_Z_EN: 0
; COMPUTE_PGM_RSRC2:TIDIG_COMP_CNT: 0
	.section	.text._ZN7rocprim17ROCPRIM_400000_NS6detail17trampoline_kernelINS0_13select_configILj256ELj13ELNS0_17block_load_methodE3ELS4_3ELS4_3ELNS0_20block_scan_algorithmE0ELj4294967295EEENS1_25partition_config_selectorILNS1_17partition_subalgoE3EjNS0_10empty_typeEbEEZZNS1_14partition_implILS8_3ELb0ES6_jNS0_17counting_iteratorIjlEEPS9_SE_NS0_5tupleIJPjSE_EEENSF_IJSE_SE_EEES9_SG_JZNS1_25segmented_radix_sort_implINS0_14default_configELb0EPKfPfPKlPlN2at6native12_GLOBAL__N_18offset_tEEE10hipError_tPvRmT1_PNSt15iterator_traitsISY_E10value_typeET2_T3_PNSZ_IS14_E10value_typeET4_jRbjT5_S1A_jjP12ihipStream_tbEUljE_EEESV_SW_SX_S14_S18_S1A_T6_T7_T9_mT8_S1C_bDpT10_ENKUlT_T0_E_clISt17integral_constantIbLb0EES1O_IbLb1EEEEDaS1K_S1L_EUlS1K_E_NS1_11comp_targetILNS1_3genE2ELNS1_11target_archE906ELNS1_3gpuE6ELNS1_3repE0EEENS1_30default_config_static_selectorELNS0_4arch9wavefront6targetE0EEEvSY_,"axG",@progbits,_ZN7rocprim17ROCPRIM_400000_NS6detail17trampoline_kernelINS0_13select_configILj256ELj13ELNS0_17block_load_methodE3ELS4_3ELS4_3ELNS0_20block_scan_algorithmE0ELj4294967295EEENS1_25partition_config_selectorILNS1_17partition_subalgoE3EjNS0_10empty_typeEbEEZZNS1_14partition_implILS8_3ELb0ES6_jNS0_17counting_iteratorIjlEEPS9_SE_NS0_5tupleIJPjSE_EEENSF_IJSE_SE_EEES9_SG_JZNS1_25segmented_radix_sort_implINS0_14default_configELb0EPKfPfPKlPlN2at6native12_GLOBAL__N_18offset_tEEE10hipError_tPvRmT1_PNSt15iterator_traitsISY_E10value_typeET2_T3_PNSZ_IS14_E10value_typeET4_jRbjT5_S1A_jjP12ihipStream_tbEUljE_EEESV_SW_SX_S14_S18_S1A_T6_T7_T9_mT8_S1C_bDpT10_ENKUlT_T0_E_clISt17integral_constantIbLb0EES1O_IbLb1EEEEDaS1K_S1L_EUlS1K_E_NS1_11comp_targetILNS1_3genE2ELNS1_11target_archE906ELNS1_3gpuE6ELNS1_3repE0EEENS1_30default_config_static_selectorELNS0_4arch9wavefront6targetE0EEEvSY_,comdat
	.globl	_ZN7rocprim17ROCPRIM_400000_NS6detail17trampoline_kernelINS0_13select_configILj256ELj13ELNS0_17block_load_methodE3ELS4_3ELS4_3ELNS0_20block_scan_algorithmE0ELj4294967295EEENS1_25partition_config_selectorILNS1_17partition_subalgoE3EjNS0_10empty_typeEbEEZZNS1_14partition_implILS8_3ELb0ES6_jNS0_17counting_iteratorIjlEEPS9_SE_NS0_5tupleIJPjSE_EEENSF_IJSE_SE_EEES9_SG_JZNS1_25segmented_radix_sort_implINS0_14default_configELb0EPKfPfPKlPlN2at6native12_GLOBAL__N_18offset_tEEE10hipError_tPvRmT1_PNSt15iterator_traitsISY_E10value_typeET2_T3_PNSZ_IS14_E10value_typeET4_jRbjT5_S1A_jjP12ihipStream_tbEUljE_EEESV_SW_SX_S14_S18_S1A_T6_T7_T9_mT8_S1C_bDpT10_ENKUlT_T0_E_clISt17integral_constantIbLb0EES1O_IbLb1EEEEDaS1K_S1L_EUlS1K_E_NS1_11comp_targetILNS1_3genE2ELNS1_11target_archE906ELNS1_3gpuE6ELNS1_3repE0EEENS1_30default_config_static_selectorELNS0_4arch9wavefront6targetE0EEEvSY_ ; -- Begin function _ZN7rocprim17ROCPRIM_400000_NS6detail17trampoline_kernelINS0_13select_configILj256ELj13ELNS0_17block_load_methodE3ELS4_3ELS4_3ELNS0_20block_scan_algorithmE0ELj4294967295EEENS1_25partition_config_selectorILNS1_17partition_subalgoE3EjNS0_10empty_typeEbEEZZNS1_14partition_implILS8_3ELb0ES6_jNS0_17counting_iteratorIjlEEPS9_SE_NS0_5tupleIJPjSE_EEENSF_IJSE_SE_EEES9_SG_JZNS1_25segmented_radix_sort_implINS0_14default_configELb0EPKfPfPKlPlN2at6native12_GLOBAL__N_18offset_tEEE10hipError_tPvRmT1_PNSt15iterator_traitsISY_E10value_typeET2_T3_PNSZ_IS14_E10value_typeET4_jRbjT5_S1A_jjP12ihipStream_tbEUljE_EEESV_SW_SX_S14_S18_S1A_T6_T7_T9_mT8_S1C_bDpT10_ENKUlT_T0_E_clISt17integral_constantIbLb0EES1O_IbLb1EEEEDaS1K_S1L_EUlS1K_E_NS1_11comp_targetILNS1_3genE2ELNS1_11target_archE906ELNS1_3gpuE6ELNS1_3repE0EEENS1_30default_config_static_selectorELNS0_4arch9wavefront6targetE0EEEvSY_
	.p2align	8
	.type	_ZN7rocprim17ROCPRIM_400000_NS6detail17trampoline_kernelINS0_13select_configILj256ELj13ELNS0_17block_load_methodE3ELS4_3ELS4_3ELNS0_20block_scan_algorithmE0ELj4294967295EEENS1_25partition_config_selectorILNS1_17partition_subalgoE3EjNS0_10empty_typeEbEEZZNS1_14partition_implILS8_3ELb0ES6_jNS0_17counting_iteratorIjlEEPS9_SE_NS0_5tupleIJPjSE_EEENSF_IJSE_SE_EEES9_SG_JZNS1_25segmented_radix_sort_implINS0_14default_configELb0EPKfPfPKlPlN2at6native12_GLOBAL__N_18offset_tEEE10hipError_tPvRmT1_PNSt15iterator_traitsISY_E10value_typeET2_T3_PNSZ_IS14_E10value_typeET4_jRbjT5_S1A_jjP12ihipStream_tbEUljE_EEESV_SW_SX_S14_S18_S1A_T6_T7_T9_mT8_S1C_bDpT10_ENKUlT_T0_E_clISt17integral_constantIbLb0EES1O_IbLb1EEEEDaS1K_S1L_EUlS1K_E_NS1_11comp_targetILNS1_3genE2ELNS1_11target_archE906ELNS1_3gpuE6ELNS1_3repE0EEENS1_30default_config_static_selectorELNS0_4arch9wavefront6targetE0EEEvSY_,@function
_ZN7rocprim17ROCPRIM_400000_NS6detail17trampoline_kernelINS0_13select_configILj256ELj13ELNS0_17block_load_methodE3ELS4_3ELS4_3ELNS0_20block_scan_algorithmE0ELj4294967295EEENS1_25partition_config_selectorILNS1_17partition_subalgoE3EjNS0_10empty_typeEbEEZZNS1_14partition_implILS8_3ELb0ES6_jNS0_17counting_iteratorIjlEEPS9_SE_NS0_5tupleIJPjSE_EEENSF_IJSE_SE_EEES9_SG_JZNS1_25segmented_radix_sort_implINS0_14default_configELb0EPKfPfPKlPlN2at6native12_GLOBAL__N_18offset_tEEE10hipError_tPvRmT1_PNSt15iterator_traitsISY_E10value_typeET2_T3_PNSZ_IS14_E10value_typeET4_jRbjT5_S1A_jjP12ihipStream_tbEUljE_EEESV_SW_SX_S14_S18_S1A_T6_T7_T9_mT8_S1C_bDpT10_ENKUlT_T0_E_clISt17integral_constantIbLb0EES1O_IbLb1EEEEDaS1K_S1L_EUlS1K_E_NS1_11comp_targetILNS1_3genE2ELNS1_11target_archE906ELNS1_3gpuE6ELNS1_3repE0EEENS1_30default_config_static_selectorELNS0_4arch9wavefront6targetE0EEEvSY_: ; @_ZN7rocprim17ROCPRIM_400000_NS6detail17trampoline_kernelINS0_13select_configILj256ELj13ELNS0_17block_load_methodE3ELS4_3ELS4_3ELNS0_20block_scan_algorithmE0ELj4294967295EEENS1_25partition_config_selectorILNS1_17partition_subalgoE3EjNS0_10empty_typeEbEEZZNS1_14partition_implILS8_3ELb0ES6_jNS0_17counting_iteratorIjlEEPS9_SE_NS0_5tupleIJPjSE_EEENSF_IJSE_SE_EEES9_SG_JZNS1_25segmented_radix_sort_implINS0_14default_configELb0EPKfPfPKlPlN2at6native12_GLOBAL__N_18offset_tEEE10hipError_tPvRmT1_PNSt15iterator_traitsISY_E10value_typeET2_T3_PNSZ_IS14_E10value_typeET4_jRbjT5_S1A_jjP12ihipStream_tbEUljE_EEESV_SW_SX_S14_S18_S1A_T6_T7_T9_mT8_S1C_bDpT10_ENKUlT_T0_E_clISt17integral_constantIbLb0EES1O_IbLb1EEEEDaS1K_S1L_EUlS1K_E_NS1_11comp_targetILNS1_3genE2ELNS1_11target_archE906ELNS1_3gpuE6ELNS1_3repE0EEENS1_30default_config_static_selectorELNS0_4arch9wavefront6targetE0EEEvSY_
; %bb.0:
	.section	.rodata,"a",@progbits
	.p2align	6, 0x0
	.amdhsa_kernel _ZN7rocprim17ROCPRIM_400000_NS6detail17trampoline_kernelINS0_13select_configILj256ELj13ELNS0_17block_load_methodE3ELS4_3ELS4_3ELNS0_20block_scan_algorithmE0ELj4294967295EEENS1_25partition_config_selectorILNS1_17partition_subalgoE3EjNS0_10empty_typeEbEEZZNS1_14partition_implILS8_3ELb0ES6_jNS0_17counting_iteratorIjlEEPS9_SE_NS0_5tupleIJPjSE_EEENSF_IJSE_SE_EEES9_SG_JZNS1_25segmented_radix_sort_implINS0_14default_configELb0EPKfPfPKlPlN2at6native12_GLOBAL__N_18offset_tEEE10hipError_tPvRmT1_PNSt15iterator_traitsISY_E10value_typeET2_T3_PNSZ_IS14_E10value_typeET4_jRbjT5_S1A_jjP12ihipStream_tbEUljE_EEESV_SW_SX_S14_S18_S1A_T6_T7_T9_mT8_S1C_bDpT10_ENKUlT_T0_E_clISt17integral_constantIbLb0EES1O_IbLb1EEEEDaS1K_S1L_EUlS1K_E_NS1_11comp_targetILNS1_3genE2ELNS1_11target_archE906ELNS1_3gpuE6ELNS1_3repE0EEENS1_30default_config_static_selectorELNS0_4arch9wavefront6targetE0EEEvSY_
		.amdhsa_group_segment_fixed_size 0
		.amdhsa_private_segment_fixed_size 0
		.amdhsa_kernarg_size 152
		.amdhsa_user_sgpr_count 2
		.amdhsa_user_sgpr_dispatch_ptr 0
		.amdhsa_user_sgpr_queue_ptr 0
		.amdhsa_user_sgpr_kernarg_segment_ptr 1
		.amdhsa_user_sgpr_dispatch_id 0
		.amdhsa_user_sgpr_kernarg_preload_length 0
		.amdhsa_user_sgpr_kernarg_preload_offset 0
		.amdhsa_user_sgpr_private_segment_size 0
		.amdhsa_wavefront_size32 1
		.amdhsa_uses_dynamic_stack 0
		.amdhsa_enable_private_segment 0
		.amdhsa_system_sgpr_workgroup_id_x 1
		.amdhsa_system_sgpr_workgroup_id_y 0
		.amdhsa_system_sgpr_workgroup_id_z 0
		.amdhsa_system_sgpr_workgroup_info 0
		.amdhsa_system_vgpr_workitem_id 0
		.amdhsa_next_free_vgpr 1
		.amdhsa_next_free_sgpr 1
		.amdhsa_named_barrier_count 0
		.amdhsa_reserve_vcc 0
		.amdhsa_float_round_mode_32 0
		.amdhsa_float_round_mode_16_64 0
		.amdhsa_float_denorm_mode_32 3
		.amdhsa_float_denorm_mode_16_64 3
		.amdhsa_fp16_overflow 0
		.amdhsa_memory_ordered 1
		.amdhsa_forward_progress 1
		.amdhsa_inst_pref_size 0
		.amdhsa_round_robin_scheduling 0
		.amdhsa_exception_fp_ieee_invalid_op 0
		.amdhsa_exception_fp_denorm_src 0
		.amdhsa_exception_fp_ieee_div_zero 0
		.amdhsa_exception_fp_ieee_overflow 0
		.amdhsa_exception_fp_ieee_underflow 0
		.amdhsa_exception_fp_ieee_inexact 0
		.amdhsa_exception_int_div_zero 0
	.end_amdhsa_kernel
	.section	.text._ZN7rocprim17ROCPRIM_400000_NS6detail17trampoline_kernelINS0_13select_configILj256ELj13ELNS0_17block_load_methodE3ELS4_3ELS4_3ELNS0_20block_scan_algorithmE0ELj4294967295EEENS1_25partition_config_selectorILNS1_17partition_subalgoE3EjNS0_10empty_typeEbEEZZNS1_14partition_implILS8_3ELb0ES6_jNS0_17counting_iteratorIjlEEPS9_SE_NS0_5tupleIJPjSE_EEENSF_IJSE_SE_EEES9_SG_JZNS1_25segmented_radix_sort_implINS0_14default_configELb0EPKfPfPKlPlN2at6native12_GLOBAL__N_18offset_tEEE10hipError_tPvRmT1_PNSt15iterator_traitsISY_E10value_typeET2_T3_PNSZ_IS14_E10value_typeET4_jRbjT5_S1A_jjP12ihipStream_tbEUljE_EEESV_SW_SX_S14_S18_S1A_T6_T7_T9_mT8_S1C_bDpT10_ENKUlT_T0_E_clISt17integral_constantIbLb0EES1O_IbLb1EEEEDaS1K_S1L_EUlS1K_E_NS1_11comp_targetILNS1_3genE2ELNS1_11target_archE906ELNS1_3gpuE6ELNS1_3repE0EEENS1_30default_config_static_selectorELNS0_4arch9wavefront6targetE0EEEvSY_,"axG",@progbits,_ZN7rocprim17ROCPRIM_400000_NS6detail17trampoline_kernelINS0_13select_configILj256ELj13ELNS0_17block_load_methodE3ELS4_3ELS4_3ELNS0_20block_scan_algorithmE0ELj4294967295EEENS1_25partition_config_selectorILNS1_17partition_subalgoE3EjNS0_10empty_typeEbEEZZNS1_14partition_implILS8_3ELb0ES6_jNS0_17counting_iteratorIjlEEPS9_SE_NS0_5tupleIJPjSE_EEENSF_IJSE_SE_EEES9_SG_JZNS1_25segmented_radix_sort_implINS0_14default_configELb0EPKfPfPKlPlN2at6native12_GLOBAL__N_18offset_tEEE10hipError_tPvRmT1_PNSt15iterator_traitsISY_E10value_typeET2_T3_PNSZ_IS14_E10value_typeET4_jRbjT5_S1A_jjP12ihipStream_tbEUljE_EEESV_SW_SX_S14_S18_S1A_T6_T7_T9_mT8_S1C_bDpT10_ENKUlT_T0_E_clISt17integral_constantIbLb0EES1O_IbLb1EEEEDaS1K_S1L_EUlS1K_E_NS1_11comp_targetILNS1_3genE2ELNS1_11target_archE906ELNS1_3gpuE6ELNS1_3repE0EEENS1_30default_config_static_selectorELNS0_4arch9wavefront6targetE0EEEvSY_,comdat
.Lfunc_end1417:
	.size	_ZN7rocprim17ROCPRIM_400000_NS6detail17trampoline_kernelINS0_13select_configILj256ELj13ELNS0_17block_load_methodE3ELS4_3ELS4_3ELNS0_20block_scan_algorithmE0ELj4294967295EEENS1_25partition_config_selectorILNS1_17partition_subalgoE3EjNS0_10empty_typeEbEEZZNS1_14partition_implILS8_3ELb0ES6_jNS0_17counting_iteratorIjlEEPS9_SE_NS0_5tupleIJPjSE_EEENSF_IJSE_SE_EEES9_SG_JZNS1_25segmented_radix_sort_implINS0_14default_configELb0EPKfPfPKlPlN2at6native12_GLOBAL__N_18offset_tEEE10hipError_tPvRmT1_PNSt15iterator_traitsISY_E10value_typeET2_T3_PNSZ_IS14_E10value_typeET4_jRbjT5_S1A_jjP12ihipStream_tbEUljE_EEESV_SW_SX_S14_S18_S1A_T6_T7_T9_mT8_S1C_bDpT10_ENKUlT_T0_E_clISt17integral_constantIbLb0EES1O_IbLb1EEEEDaS1K_S1L_EUlS1K_E_NS1_11comp_targetILNS1_3genE2ELNS1_11target_archE906ELNS1_3gpuE6ELNS1_3repE0EEENS1_30default_config_static_selectorELNS0_4arch9wavefront6targetE0EEEvSY_, .Lfunc_end1417-_ZN7rocprim17ROCPRIM_400000_NS6detail17trampoline_kernelINS0_13select_configILj256ELj13ELNS0_17block_load_methodE3ELS4_3ELS4_3ELNS0_20block_scan_algorithmE0ELj4294967295EEENS1_25partition_config_selectorILNS1_17partition_subalgoE3EjNS0_10empty_typeEbEEZZNS1_14partition_implILS8_3ELb0ES6_jNS0_17counting_iteratorIjlEEPS9_SE_NS0_5tupleIJPjSE_EEENSF_IJSE_SE_EEES9_SG_JZNS1_25segmented_radix_sort_implINS0_14default_configELb0EPKfPfPKlPlN2at6native12_GLOBAL__N_18offset_tEEE10hipError_tPvRmT1_PNSt15iterator_traitsISY_E10value_typeET2_T3_PNSZ_IS14_E10value_typeET4_jRbjT5_S1A_jjP12ihipStream_tbEUljE_EEESV_SW_SX_S14_S18_S1A_T6_T7_T9_mT8_S1C_bDpT10_ENKUlT_T0_E_clISt17integral_constantIbLb0EES1O_IbLb1EEEEDaS1K_S1L_EUlS1K_E_NS1_11comp_targetILNS1_3genE2ELNS1_11target_archE906ELNS1_3gpuE6ELNS1_3repE0EEENS1_30default_config_static_selectorELNS0_4arch9wavefront6targetE0EEEvSY_
                                        ; -- End function
	.set _ZN7rocprim17ROCPRIM_400000_NS6detail17trampoline_kernelINS0_13select_configILj256ELj13ELNS0_17block_load_methodE3ELS4_3ELS4_3ELNS0_20block_scan_algorithmE0ELj4294967295EEENS1_25partition_config_selectorILNS1_17partition_subalgoE3EjNS0_10empty_typeEbEEZZNS1_14partition_implILS8_3ELb0ES6_jNS0_17counting_iteratorIjlEEPS9_SE_NS0_5tupleIJPjSE_EEENSF_IJSE_SE_EEES9_SG_JZNS1_25segmented_radix_sort_implINS0_14default_configELb0EPKfPfPKlPlN2at6native12_GLOBAL__N_18offset_tEEE10hipError_tPvRmT1_PNSt15iterator_traitsISY_E10value_typeET2_T3_PNSZ_IS14_E10value_typeET4_jRbjT5_S1A_jjP12ihipStream_tbEUljE_EEESV_SW_SX_S14_S18_S1A_T6_T7_T9_mT8_S1C_bDpT10_ENKUlT_T0_E_clISt17integral_constantIbLb0EES1O_IbLb1EEEEDaS1K_S1L_EUlS1K_E_NS1_11comp_targetILNS1_3genE2ELNS1_11target_archE906ELNS1_3gpuE6ELNS1_3repE0EEENS1_30default_config_static_selectorELNS0_4arch9wavefront6targetE0EEEvSY_.num_vgpr, 0
	.set _ZN7rocprim17ROCPRIM_400000_NS6detail17trampoline_kernelINS0_13select_configILj256ELj13ELNS0_17block_load_methodE3ELS4_3ELS4_3ELNS0_20block_scan_algorithmE0ELj4294967295EEENS1_25partition_config_selectorILNS1_17partition_subalgoE3EjNS0_10empty_typeEbEEZZNS1_14partition_implILS8_3ELb0ES6_jNS0_17counting_iteratorIjlEEPS9_SE_NS0_5tupleIJPjSE_EEENSF_IJSE_SE_EEES9_SG_JZNS1_25segmented_radix_sort_implINS0_14default_configELb0EPKfPfPKlPlN2at6native12_GLOBAL__N_18offset_tEEE10hipError_tPvRmT1_PNSt15iterator_traitsISY_E10value_typeET2_T3_PNSZ_IS14_E10value_typeET4_jRbjT5_S1A_jjP12ihipStream_tbEUljE_EEESV_SW_SX_S14_S18_S1A_T6_T7_T9_mT8_S1C_bDpT10_ENKUlT_T0_E_clISt17integral_constantIbLb0EES1O_IbLb1EEEEDaS1K_S1L_EUlS1K_E_NS1_11comp_targetILNS1_3genE2ELNS1_11target_archE906ELNS1_3gpuE6ELNS1_3repE0EEENS1_30default_config_static_selectorELNS0_4arch9wavefront6targetE0EEEvSY_.num_agpr, 0
	.set _ZN7rocprim17ROCPRIM_400000_NS6detail17trampoline_kernelINS0_13select_configILj256ELj13ELNS0_17block_load_methodE3ELS4_3ELS4_3ELNS0_20block_scan_algorithmE0ELj4294967295EEENS1_25partition_config_selectorILNS1_17partition_subalgoE3EjNS0_10empty_typeEbEEZZNS1_14partition_implILS8_3ELb0ES6_jNS0_17counting_iteratorIjlEEPS9_SE_NS0_5tupleIJPjSE_EEENSF_IJSE_SE_EEES9_SG_JZNS1_25segmented_radix_sort_implINS0_14default_configELb0EPKfPfPKlPlN2at6native12_GLOBAL__N_18offset_tEEE10hipError_tPvRmT1_PNSt15iterator_traitsISY_E10value_typeET2_T3_PNSZ_IS14_E10value_typeET4_jRbjT5_S1A_jjP12ihipStream_tbEUljE_EEESV_SW_SX_S14_S18_S1A_T6_T7_T9_mT8_S1C_bDpT10_ENKUlT_T0_E_clISt17integral_constantIbLb0EES1O_IbLb1EEEEDaS1K_S1L_EUlS1K_E_NS1_11comp_targetILNS1_3genE2ELNS1_11target_archE906ELNS1_3gpuE6ELNS1_3repE0EEENS1_30default_config_static_selectorELNS0_4arch9wavefront6targetE0EEEvSY_.numbered_sgpr, 0
	.set _ZN7rocprim17ROCPRIM_400000_NS6detail17trampoline_kernelINS0_13select_configILj256ELj13ELNS0_17block_load_methodE3ELS4_3ELS4_3ELNS0_20block_scan_algorithmE0ELj4294967295EEENS1_25partition_config_selectorILNS1_17partition_subalgoE3EjNS0_10empty_typeEbEEZZNS1_14partition_implILS8_3ELb0ES6_jNS0_17counting_iteratorIjlEEPS9_SE_NS0_5tupleIJPjSE_EEENSF_IJSE_SE_EEES9_SG_JZNS1_25segmented_radix_sort_implINS0_14default_configELb0EPKfPfPKlPlN2at6native12_GLOBAL__N_18offset_tEEE10hipError_tPvRmT1_PNSt15iterator_traitsISY_E10value_typeET2_T3_PNSZ_IS14_E10value_typeET4_jRbjT5_S1A_jjP12ihipStream_tbEUljE_EEESV_SW_SX_S14_S18_S1A_T6_T7_T9_mT8_S1C_bDpT10_ENKUlT_T0_E_clISt17integral_constantIbLb0EES1O_IbLb1EEEEDaS1K_S1L_EUlS1K_E_NS1_11comp_targetILNS1_3genE2ELNS1_11target_archE906ELNS1_3gpuE6ELNS1_3repE0EEENS1_30default_config_static_selectorELNS0_4arch9wavefront6targetE0EEEvSY_.num_named_barrier, 0
	.set _ZN7rocprim17ROCPRIM_400000_NS6detail17trampoline_kernelINS0_13select_configILj256ELj13ELNS0_17block_load_methodE3ELS4_3ELS4_3ELNS0_20block_scan_algorithmE0ELj4294967295EEENS1_25partition_config_selectorILNS1_17partition_subalgoE3EjNS0_10empty_typeEbEEZZNS1_14partition_implILS8_3ELb0ES6_jNS0_17counting_iteratorIjlEEPS9_SE_NS0_5tupleIJPjSE_EEENSF_IJSE_SE_EEES9_SG_JZNS1_25segmented_radix_sort_implINS0_14default_configELb0EPKfPfPKlPlN2at6native12_GLOBAL__N_18offset_tEEE10hipError_tPvRmT1_PNSt15iterator_traitsISY_E10value_typeET2_T3_PNSZ_IS14_E10value_typeET4_jRbjT5_S1A_jjP12ihipStream_tbEUljE_EEESV_SW_SX_S14_S18_S1A_T6_T7_T9_mT8_S1C_bDpT10_ENKUlT_T0_E_clISt17integral_constantIbLb0EES1O_IbLb1EEEEDaS1K_S1L_EUlS1K_E_NS1_11comp_targetILNS1_3genE2ELNS1_11target_archE906ELNS1_3gpuE6ELNS1_3repE0EEENS1_30default_config_static_selectorELNS0_4arch9wavefront6targetE0EEEvSY_.private_seg_size, 0
	.set _ZN7rocprim17ROCPRIM_400000_NS6detail17trampoline_kernelINS0_13select_configILj256ELj13ELNS0_17block_load_methodE3ELS4_3ELS4_3ELNS0_20block_scan_algorithmE0ELj4294967295EEENS1_25partition_config_selectorILNS1_17partition_subalgoE3EjNS0_10empty_typeEbEEZZNS1_14partition_implILS8_3ELb0ES6_jNS0_17counting_iteratorIjlEEPS9_SE_NS0_5tupleIJPjSE_EEENSF_IJSE_SE_EEES9_SG_JZNS1_25segmented_radix_sort_implINS0_14default_configELb0EPKfPfPKlPlN2at6native12_GLOBAL__N_18offset_tEEE10hipError_tPvRmT1_PNSt15iterator_traitsISY_E10value_typeET2_T3_PNSZ_IS14_E10value_typeET4_jRbjT5_S1A_jjP12ihipStream_tbEUljE_EEESV_SW_SX_S14_S18_S1A_T6_T7_T9_mT8_S1C_bDpT10_ENKUlT_T0_E_clISt17integral_constantIbLb0EES1O_IbLb1EEEEDaS1K_S1L_EUlS1K_E_NS1_11comp_targetILNS1_3genE2ELNS1_11target_archE906ELNS1_3gpuE6ELNS1_3repE0EEENS1_30default_config_static_selectorELNS0_4arch9wavefront6targetE0EEEvSY_.uses_vcc, 0
	.set _ZN7rocprim17ROCPRIM_400000_NS6detail17trampoline_kernelINS0_13select_configILj256ELj13ELNS0_17block_load_methodE3ELS4_3ELS4_3ELNS0_20block_scan_algorithmE0ELj4294967295EEENS1_25partition_config_selectorILNS1_17partition_subalgoE3EjNS0_10empty_typeEbEEZZNS1_14partition_implILS8_3ELb0ES6_jNS0_17counting_iteratorIjlEEPS9_SE_NS0_5tupleIJPjSE_EEENSF_IJSE_SE_EEES9_SG_JZNS1_25segmented_radix_sort_implINS0_14default_configELb0EPKfPfPKlPlN2at6native12_GLOBAL__N_18offset_tEEE10hipError_tPvRmT1_PNSt15iterator_traitsISY_E10value_typeET2_T3_PNSZ_IS14_E10value_typeET4_jRbjT5_S1A_jjP12ihipStream_tbEUljE_EEESV_SW_SX_S14_S18_S1A_T6_T7_T9_mT8_S1C_bDpT10_ENKUlT_T0_E_clISt17integral_constantIbLb0EES1O_IbLb1EEEEDaS1K_S1L_EUlS1K_E_NS1_11comp_targetILNS1_3genE2ELNS1_11target_archE906ELNS1_3gpuE6ELNS1_3repE0EEENS1_30default_config_static_selectorELNS0_4arch9wavefront6targetE0EEEvSY_.uses_flat_scratch, 0
	.set _ZN7rocprim17ROCPRIM_400000_NS6detail17trampoline_kernelINS0_13select_configILj256ELj13ELNS0_17block_load_methodE3ELS4_3ELS4_3ELNS0_20block_scan_algorithmE0ELj4294967295EEENS1_25partition_config_selectorILNS1_17partition_subalgoE3EjNS0_10empty_typeEbEEZZNS1_14partition_implILS8_3ELb0ES6_jNS0_17counting_iteratorIjlEEPS9_SE_NS0_5tupleIJPjSE_EEENSF_IJSE_SE_EEES9_SG_JZNS1_25segmented_radix_sort_implINS0_14default_configELb0EPKfPfPKlPlN2at6native12_GLOBAL__N_18offset_tEEE10hipError_tPvRmT1_PNSt15iterator_traitsISY_E10value_typeET2_T3_PNSZ_IS14_E10value_typeET4_jRbjT5_S1A_jjP12ihipStream_tbEUljE_EEESV_SW_SX_S14_S18_S1A_T6_T7_T9_mT8_S1C_bDpT10_ENKUlT_T0_E_clISt17integral_constantIbLb0EES1O_IbLb1EEEEDaS1K_S1L_EUlS1K_E_NS1_11comp_targetILNS1_3genE2ELNS1_11target_archE906ELNS1_3gpuE6ELNS1_3repE0EEENS1_30default_config_static_selectorELNS0_4arch9wavefront6targetE0EEEvSY_.has_dyn_sized_stack, 0
	.set _ZN7rocprim17ROCPRIM_400000_NS6detail17trampoline_kernelINS0_13select_configILj256ELj13ELNS0_17block_load_methodE3ELS4_3ELS4_3ELNS0_20block_scan_algorithmE0ELj4294967295EEENS1_25partition_config_selectorILNS1_17partition_subalgoE3EjNS0_10empty_typeEbEEZZNS1_14partition_implILS8_3ELb0ES6_jNS0_17counting_iteratorIjlEEPS9_SE_NS0_5tupleIJPjSE_EEENSF_IJSE_SE_EEES9_SG_JZNS1_25segmented_radix_sort_implINS0_14default_configELb0EPKfPfPKlPlN2at6native12_GLOBAL__N_18offset_tEEE10hipError_tPvRmT1_PNSt15iterator_traitsISY_E10value_typeET2_T3_PNSZ_IS14_E10value_typeET4_jRbjT5_S1A_jjP12ihipStream_tbEUljE_EEESV_SW_SX_S14_S18_S1A_T6_T7_T9_mT8_S1C_bDpT10_ENKUlT_T0_E_clISt17integral_constantIbLb0EES1O_IbLb1EEEEDaS1K_S1L_EUlS1K_E_NS1_11comp_targetILNS1_3genE2ELNS1_11target_archE906ELNS1_3gpuE6ELNS1_3repE0EEENS1_30default_config_static_selectorELNS0_4arch9wavefront6targetE0EEEvSY_.has_recursion, 0
	.set _ZN7rocprim17ROCPRIM_400000_NS6detail17trampoline_kernelINS0_13select_configILj256ELj13ELNS0_17block_load_methodE3ELS4_3ELS4_3ELNS0_20block_scan_algorithmE0ELj4294967295EEENS1_25partition_config_selectorILNS1_17partition_subalgoE3EjNS0_10empty_typeEbEEZZNS1_14partition_implILS8_3ELb0ES6_jNS0_17counting_iteratorIjlEEPS9_SE_NS0_5tupleIJPjSE_EEENSF_IJSE_SE_EEES9_SG_JZNS1_25segmented_radix_sort_implINS0_14default_configELb0EPKfPfPKlPlN2at6native12_GLOBAL__N_18offset_tEEE10hipError_tPvRmT1_PNSt15iterator_traitsISY_E10value_typeET2_T3_PNSZ_IS14_E10value_typeET4_jRbjT5_S1A_jjP12ihipStream_tbEUljE_EEESV_SW_SX_S14_S18_S1A_T6_T7_T9_mT8_S1C_bDpT10_ENKUlT_T0_E_clISt17integral_constantIbLb0EES1O_IbLb1EEEEDaS1K_S1L_EUlS1K_E_NS1_11comp_targetILNS1_3genE2ELNS1_11target_archE906ELNS1_3gpuE6ELNS1_3repE0EEENS1_30default_config_static_selectorELNS0_4arch9wavefront6targetE0EEEvSY_.has_indirect_call, 0
	.section	.AMDGPU.csdata,"",@progbits
; Kernel info:
; codeLenInByte = 0
; TotalNumSgprs: 0
; NumVgprs: 0
; ScratchSize: 0
; MemoryBound: 0
; FloatMode: 240
; IeeeMode: 1
; LDSByteSize: 0 bytes/workgroup (compile time only)
; SGPRBlocks: 0
; VGPRBlocks: 0
; NumSGPRsForWavesPerEU: 1
; NumVGPRsForWavesPerEU: 1
; NamedBarCnt: 0
; Occupancy: 16
; WaveLimiterHint : 0
; COMPUTE_PGM_RSRC2:SCRATCH_EN: 0
; COMPUTE_PGM_RSRC2:USER_SGPR: 2
; COMPUTE_PGM_RSRC2:TRAP_HANDLER: 0
; COMPUTE_PGM_RSRC2:TGID_X_EN: 1
; COMPUTE_PGM_RSRC2:TGID_Y_EN: 0
; COMPUTE_PGM_RSRC2:TGID_Z_EN: 0
; COMPUTE_PGM_RSRC2:TIDIG_COMP_CNT: 0
	.section	.text._ZN7rocprim17ROCPRIM_400000_NS6detail17trampoline_kernelINS0_13select_configILj256ELj13ELNS0_17block_load_methodE3ELS4_3ELS4_3ELNS0_20block_scan_algorithmE0ELj4294967295EEENS1_25partition_config_selectorILNS1_17partition_subalgoE3EjNS0_10empty_typeEbEEZZNS1_14partition_implILS8_3ELb0ES6_jNS0_17counting_iteratorIjlEEPS9_SE_NS0_5tupleIJPjSE_EEENSF_IJSE_SE_EEES9_SG_JZNS1_25segmented_radix_sort_implINS0_14default_configELb0EPKfPfPKlPlN2at6native12_GLOBAL__N_18offset_tEEE10hipError_tPvRmT1_PNSt15iterator_traitsISY_E10value_typeET2_T3_PNSZ_IS14_E10value_typeET4_jRbjT5_S1A_jjP12ihipStream_tbEUljE_EEESV_SW_SX_S14_S18_S1A_T6_T7_T9_mT8_S1C_bDpT10_ENKUlT_T0_E_clISt17integral_constantIbLb0EES1O_IbLb1EEEEDaS1K_S1L_EUlS1K_E_NS1_11comp_targetILNS1_3genE10ELNS1_11target_archE1200ELNS1_3gpuE4ELNS1_3repE0EEENS1_30default_config_static_selectorELNS0_4arch9wavefront6targetE0EEEvSY_,"axG",@progbits,_ZN7rocprim17ROCPRIM_400000_NS6detail17trampoline_kernelINS0_13select_configILj256ELj13ELNS0_17block_load_methodE3ELS4_3ELS4_3ELNS0_20block_scan_algorithmE0ELj4294967295EEENS1_25partition_config_selectorILNS1_17partition_subalgoE3EjNS0_10empty_typeEbEEZZNS1_14partition_implILS8_3ELb0ES6_jNS0_17counting_iteratorIjlEEPS9_SE_NS0_5tupleIJPjSE_EEENSF_IJSE_SE_EEES9_SG_JZNS1_25segmented_radix_sort_implINS0_14default_configELb0EPKfPfPKlPlN2at6native12_GLOBAL__N_18offset_tEEE10hipError_tPvRmT1_PNSt15iterator_traitsISY_E10value_typeET2_T3_PNSZ_IS14_E10value_typeET4_jRbjT5_S1A_jjP12ihipStream_tbEUljE_EEESV_SW_SX_S14_S18_S1A_T6_T7_T9_mT8_S1C_bDpT10_ENKUlT_T0_E_clISt17integral_constantIbLb0EES1O_IbLb1EEEEDaS1K_S1L_EUlS1K_E_NS1_11comp_targetILNS1_3genE10ELNS1_11target_archE1200ELNS1_3gpuE4ELNS1_3repE0EEENS1_30default_config_static_selectorELNS0_4arch9wavefront6targetE0EEEvSY_,comdat
	.globl	_ZN7rocprim17ROCPRIM_400000_NS6detail17trampoline_kernelINS0_13select_configILj256ELj13ELNS0_17block_load_methodE3ELS4_3ELS4_3ELNS0_20block_scan_algorithmE0ELj4294967295EEENS1_25partition_config_selectorILNS1_17partition_subalgoE3EjNS0_10empty_typeEbEEZZNS1_14partition_implILS8_3ELb0ES6_jNS0_17counting_iteratorIjlEEPS9_SE_NS0_5tupleIJPjSE_EEENSF_IJSE_SE_EEES9_SG_JZNS1_25segmented_radix_sort_implINS0_14default_configELb0EPKfPfPKlPlN2at6native12_GLOBAL__N_18offset_tEEE10hipError_tPvRmT1_PNSt15iterator_traitsISY_E10value_typeET2_T3_PNSZ_IS14_E10value_typeET4_jRbjT5_S1A_jjP12ihipStream_tbEUljE_EEESV_SW_SX_S14_S18_S1A_T6_T7_T9_mT8_S1C_bDpT10_ENKUlT_T0_E_clISt17integral_constantIbLb0EES1O_IbLb1EEEEDaS1K_S1L_EUlS1K_E_NS1_11comp_targetILNS1_3genE10ELNS1_11target_archE1200ELNS1_3gpuE4ELNS1_3repE0EEENS1_30default_config_static_selectorELNS0_4arch9wavefront6targetE0EEEvSY_ ; -- Begin function _ZN7rocprim17ROCPRIM_400000_NS6detail17trampoline_kernelINS0_13select_configILj256ELj13ELNS0_17block_load_methodE3ELS4_3ELS4_3ELNS0_20block_scan_algorithmE0ELj4294967295EEENS1_25partition_config_selectorILNS1_17partition_subalgoE3EjNS0_10empty_typeEbEEZZNS1_14partition_implILS8_3ELb0ES6_jNS0_17counting_iteratorIjlEEPS9_SE_NS0_5tupleIJPjSE_EEENSF_IJSE_SE_EEES9_SG_JZNS1_25segmented_radix_sort_implINS0_14default_configELb0EPKfPfPKlPlN2at6native12_GLOBAL__N_18offset_tEEE10hipError_tPvRmT1_PNSt15iterator_traitsISY_E10value_typeET2_T3_PNSZ_IS14_E10value_typeET4_jRbjT5_S1A_jjP12ihipStream_tbEUljE_EEESV_SW_SX_S14_S18_S1A_T6_T7_T9_mT8_S1C_bDpT10_ENKUlT_T0_E_clISt17integral_constantIbLb0EES1O_IbLb1EEEEDaS1K_S1L_EUlS1K_E_NS1_11comp_targetILNS1_3genE10ELNS1_11target_archE1200ELNS1_3gpuE4ELNS1_3repE0EEENS1_30default_config_static_selectorELNS0_4arch9wavefront6targetE0EEEvSY_
	.p2align	8
	.type	_ZN7rocprim17ROCPRIM_400000_NS6detail17trampoline_kernelINS0_13select_configILj256ELj13ELNS0_17block_load_methodE3ELS4_3ELS4_3ELNS0_20block_scan_algorithmE0ELj4294967295EEENS1_25partition_config_selectorILNS1_17partition_subalgoE3EjNS0_10empty_typeEbEEZZNS1_14partition_implILS8_3ELb0ES6_jNS0_17counting_iteratorIjlEEPS9_SE_NS0_5tupleIJPjSE_EEENSF_IJSE_SE_EEES9_SG_JZNS1_25segmented_radix_sort_implINS0_14default_configELb0EPKfPfPKlPlN2at6native12_GLOBAL__N_18offset_tEEE10hipError_tPvRmT1_PNSt15iterator_traitsISY_E10value_typeET2_T3_PNSZ_IS14_E10value_typeET4_jRbjT5_S1A_jjP12ihipStream_tbEUljE_EEESV_SW_SX_S14_S18_S1A_T6_T7_T9_mT8_S1C_bDpT10_ENKUlT_T0_E_clISt17integral_constantIbLb0EES1O_IbLb1EEEEDaS1K_S1L_EUlS1K_E_NS1_11comp_targetILNS1_3genE10ELNS1_11target_archE1200ELNS1_3gpuE4ELNS1_3repE0EEENS1_30default_config_static_selectorELNS0_4arch9wavefront6targetE0EEEvSY_,@function
_ZN7rocprim17ROCPRIM_400000_NS6detail17trampoline_kernelINS0_13select_configILj256ELj13ELNS0_17block_load_methodE3ELS4_3ELS4_3ELNS0_20block_scan_algorithmE0ELj4294967295EEENS1_25partition_config_selectorILNS1_17partition_subalgoE3EjNS0_10empty_typeEbEEZZNS1_14partition_implILS8_3ELb0ES6_jNS0_17counting_iteratorIjlEEPS9_SE_NS0_5tupleIJPjSE_EEENSF_IJSE_SE_EEES9_SG_JZNS1_25segmented_radix_sort_implINS0_14default_configELb0EPKfPfPKlPlN2at6native12_GLOBAL__N_18offset_tEEE10hipError_tPvRmT1_PNSt15iterator_traitsISY_E10value_typeET2_T3_PNSZ_IS14_E10value_typeET4_jRbjT5_S1A_jjP12ihipStream_tbEUljE_EEESV_SW_SX_S14_S18_S1A_T6_T7_T9_mT8_S1C_bDpT10_ENKUlT_T0_E_clISt17integral_constantIbLb0EES1O_IbLb1EEEEDaS1K_S1L_EUlS1K_E_NS1_11comp_targetILNS1_3genE10ELNS1_11target_archE1200ELNS1_3gpuE4ELNS1_3repE0EEENS1_30default_config_static_selectorELNS0_4arch9wavefront6targetE0EEEvSY_: ; @_ZN7rocprim17ROCPRIM_400000_NS6detail17trampoline_kernelINS0_13select_configILj256ELj13ELNS0_17block_load_methodE3ELS4_3ELS4_3ELNS0_20block_scan_algorithmE0ELj4294967295EEENS1_25partition_config_selectorILNS1_17partition_subalgoE3EjNS0_10empty_typeEbEEZZNS1_14partition_implILS8_3ELb0ES6_jNS0_17counting_iteratorIjlEEPS9_SE_NS0_5tupleIJPjSE_EEENSF_IJSE_SE_EEES9_SG_JZNS1_25segmented_radix_sort_implINS0_14default_configELb0EPKfPfPKlPlN2at6native12_GLOBAL__N_18offset_tEEE10hipError_tPvRmT1_PNSt15iterator_traitsISY_E10value_typeET2_T3_PNSZ_IS14_E10value_typeET4_jRbjT5_S1A_jjP12ihipStream_tbEUljE_EEESV_SW_SX_S14_S18_S1A_T6_T7_T9_mT8_S1C_bDpT10_ENKUlT_T0_E_clISt17integral_constantIbLb0EES1O_IbLb1EEEEDaS1K_S1L_EUlS1K_E_NS1_11comp_targetILNS1_3genE10ELNS1_11target_archE1200ELNS1_3gpuE4ELNS1_3repE0EEENS1_30default_config_static_selectorELNS0_4arch9wavefront6targetE0EEEvSY_
; %bb.0:
	.section	.rodata,"a",@progbits
	.p2align	6, 0x0
	.amdhsa_kernel _ZN7rocprim17ROCPRIM_400000_NS6detail17trampoline_kernelINS0_13select_configILj256ELj13ELNS0_17block_load_methodE3ELS4_3ELS4_3ELNS0_20block_scan_algorithmE0ELj4294967295EEENS1_25partition_config_selectorILNS1_17partition_subalgoE3EjNS0_10empty_typeEbEEZZNS1_14partition_implILS8_3ELb0ES6_jNS0_17counting_iteratorIjlEEPS9_SE_NS0_5tupleIJPjSE_EEENSF_IJSE_SE_EEES9_SG_JZNS1_25segmented_radix_sort_implINS0_14default_configELb0EPKfPfPKlPlN2at6native12_GLOBAL__N_18offset_tEEE10hipError_tPvRmT1_PNSt15iterator_traitsISY_E10value_typeET2_T3_PNSZ_IS14_E10value_typeET4_jRbjT5_S1A_jjP12ihipStream_tbEUljE_EEESV_SW_SX_S14_S18_S1A_T6_T7_T9_mT8_S1C_bDpT10_ENKUlT_T0_E_clISt17integral_constantIbLb0EES1O_IbLb1EEEEDaS1K_S1L_EUlS1K_E_NS1_11comp_targetILNS1_3genE10ELNS1_11target_archE1200ELNS1_3gpuE4ELNS1_3repE0EEENS1_30default_config_static_selectorELNS0_4arch9wavefront6targetE0EEEvSY_
		.amdhsa_group_segment_fixed_size 0
		.amdhsa_private_segment_fixed_size 0
		.amdhsa_kernarg_size 152
		.amdhsa_user_sgpr_count 2
		.amdhsa_user_sgpr_dispatch_ptr 0
		.amdhsa_user_sgpr_queue_ptr 0
		.amdhsa_user_sgpr_kernarg_segment_ptr 1
		.amdhsa_user_sgpr_dispatch_id 0
		.amdhsa_user_sgpr_kernarg_preload_length 0
		.amdhsa_user_sgpr_kernarg_preload_offset 0
		.amdhsa_user_sgpr_private_segment_size 0
		.amdhsa_wavefront_size32 1
		.amdhsa_uses_dynamic_stack 0
		.amdhsa_enable_private_segment 0
		.amdhsa_system_sgpr_workgroup_id_x 1
		.amdhsa_system_sgpr_workgroup_id_y 0
		.amdhsa_system_sgpr_workgroup_id_z 0
		.amdhsa_system_sgpr_workgroup_info 0
		.amdhsa_system_vgpr_workitem_id 0
		.amdhsa_next_free_vgpr 1
		.amdhsa_next_free_sgpr 1
		.amdhsa_named_barrier_count 0
		.amdhsa_reserve_vcc 0
		.amdhsa_float_round_mode_32 0
		.amdhsa_float_round_mode_16_64 0
		.amdhsa_float_denorm_mode_32 3
		.amdhsa_float_denorm_mode_16_64 3
		.amdhsa_fp16_overflow 0
		.amdhsa_memory_ordered 1
		.amdhsa_forward_progress 1
		.amdhsa_inst_pref_size 0
		.amdhsa_round_robin_scheduling 0
		.amdhsa_exception_fp_ieee_invalid_op 0
		.amdhsa_exception_fp_denorm_src 0
		.amdhsa_exception_fp_ieee_div_zero 0
		.amdhsa_exception_fp_ieee_overflow 0
		.amdhsa_exception_fp_ieee_underflow 0
		.amdhsa_exception_fp_ieee_inexact 0
		.amdhsa_exception_int_div_zero 0
	.end_amdhsa_kernel
	.section	.text._ZN7rocprim17ROCPRIM_400000_NS6detail17trampoline_kernelINS0_13select_configILj256ELj13ELNS0_17block_load_methodE3ELS4_3ELS4_3ELNS0_20block_scan_algorithmE0ELj4294967295EEENS1_25partition_config_selectorILNS1_17partition_subalgoE3EjNS0_10empty_typeEbEEZZNS1_14partition_implILS8_3ELb0ES6_jNS0_17counting_iteratorIjlEEPS9_SE_NS0_5tupleIJPjSE_EEENSF_IJSE_SE_EEES9_SG_JZNS1_25segmented_radix_sort_implINS0_14default_configELb0EPKfPfPKlPlN2at6native12_GLOBAL__N_18offset_tEEE10hipError_tPvRmT1_PNSt15iterator_traitsISY_E10value_typeET2_T3_PNSZ_IS14_E10value_typeET4_jRbjT5_S1A_jjP12ihipStream_tbEUljE_EEESV_SW_SX_S14_S18_S1A_T6_T7_T9_mT8_S1C_bDpT10_ENKUlT_T0_E_clISt17integral_constantIbLb0EES1O_IbLb1EEEEDaS1K_S1L_EUlS1K_E_NS1_11comp_targetILNS1_3genE10ELNS1_11target_archE1200ELNS1_3gpuE4ELNS1_3repE0EEENS1_30default_config_static_selectorELNS0_4arch9wavefront6targetE0EEEvSY_,"axG",@progbits,_ZN7rocprim17ROCPRIM_400000_NS6detail17trampoline_kernelINS0_13select_configILj256ELj13ELNS0_17block_load_methodE3ELS4_3ELS4_3ELNS0_20block_scan_algorithmE0ELj4294967295EEENS1_25partition_config_selectorILNS1_17partition_subalgoE3EjNS0_10empty_typeEbEEZZNS1_14partition_implILS8_3ELb0ES6_jNS0_17counting_iteratorIjlEEPS9_SE_NS0_5tupleIJPjSE_EEENSF_IJSE_SE_EEES9_SG_JZNS1_25segmented_radix_sort_implINS0_14default_configELb0EPKfPfPKlPlN2at6native12_GLOBAL__N_18offset_tEEE10hipError_tPvRmT1_PNSt15iterator_traitsISY_E10value_typeET2_T3_PNSZ_IS14_E10value_typeET4_jRbjT5_S1A_jjP12ihipStream_tbEUljE_EEESV_SW_SX_S14_S18_S1A_T6_T7_T9_mT8_S1C_bDpT10_ENKUlT_T0_E_clISt17integral_constantIbLb0EES1O_IbLb1EEEEDaS1K_S1L_EUlS1K_E_NS1_11comp_targetILNS1_3genE10ELNS1_11target_archE1200ELNS1_3gpuE4ELNS1_3repE0EEENS1_30default_config_static_selectorELNS0_4arch9wavefront6targetE0EEEvSY_,comdat
.Lfunc_end1418:
	.size	_ZN7rocprim17ROCPRIM_400000_NS6detail17trampoline_kernelINS0_13select_configILj256ELj13ELNS0_17block_load_methodE3ELS4_3ELS4_3ELNS0_20block_scan_algorithmE0ELj4294967295EEENS1_25partition_config_selectorILNS1_17partition_subalgoE3EjNS0_10empty_typeEbEEZZNS1_14partition_implILS8_3ELb0ES6_jNS0_17counting_iteratorIjlEEPS9_SE_NS0_5tupleIJPjSE_EEENSF_IJSE_SE_EEES9_SG_JZNS1_25segmented_radix_sort_implINS0_14default_configELb0EPKfPfPKlPlN2at6native12_GLOBAL__N_18offset_tEEE10hipError_tPvRmT1_PNSt15iterator_traitsISY_E10value_typeET2_T3_PNSZ_IS14_E10value_typeET4_jRbjT5_S1A_jjP12ihipStream_tbEUljE_EEESV_SW_SX_S14_S18_S1A_T6_T7_T9_mT8_S1C_bDpT10_ENKUlT_T0_E_clISt17integral_constantIbLb0EES1O_IbLb1EEEEDaS1K_S1L_EUlS1K_E_NS1_11comp_targetILNS1_3genE10ELNS1_11target_archE1200ELNS1_3gpuE4ELNS1_3repE0EEENS1_30default_config_static_selectorELNS0_4arch9wavefront6targetE0EEEvSY_, .Lfunc_end1418-_ZN7rocprim17ROCPRIM_400000_NS6detail17trampoline_kernelINS0_13select_configILj256ELj13ELNS0_17block_load_methodE3ELS4_3ELS4_3ELNS0_20block_scan_algorithmE0ELj4294967295EEENS1_25partition_config_selectorILNS1_17partition_subalgoE3EjNS0_10empty_typeEbEEZZNS1_14partition_implILS8_3ELb0ES6_jNS0_17counting_iteratorIjlEEPS9_SE_NS0_5tupleIJPjSE_EEENSF_IJSE_SE_EEES9_SG_JZNS1_25segmented_radix_sort_implINS0_14default_configELb0EPKfPfPKlPlN2at6native12_GLOBAL__N_18offset_tEEE10hipError_tPvRmT1_PNSt15iterator_traitsISY_E10value_typeET2_T3_PNSZ_IS14_E10value_typeET4_jRbjT5_S1A_jjP12ihipStream_tbEUljE_EEESV_SW_SX_S14_S18_S1A_T6_T7_T9_mT8_S1C_bDpT10_ENKUlT_T0_E_clISt17integral_constantIbLb0EES1O_IbLb1EEEEDaS1K_S1L_EUlS1K_E_NS1_11comp_targetILNS1_3genE10ELNS1_11target_archE1200ELNS1_3gpuE4ELNS1_3repE0EEENS1_30default_config_static_selectorELNS0_4arch9wavefront6targetE0EEEvSY_
                                        ; -- End function
	.set _ZN7rocprim17ROCPRIM_400000_NS6detail17trampoline_kernelINS0_13select_configILj256ELj13ELNS0_17block_load_methodE3ELS4_3ELS4_3ELNS0_20block_scan_algorithmE0ELj4294967295EEENS1_25partition_config_selectorILNS1_17partition_subalgoE3EjNS0_10empty_typeEbEEZZNS1_14partition_implILS8_3ELb0ES6_jNS0_17counting_iteratorIjlEEPS9_SE_NS0_5tupleIJPjSE_EEENSF_IJSE_SE_EEES9_SG_JZNS1_25segmented_radix_sort_implINS0_14default_configELb0EPKfPfPKlPlN2at6native12_GLOBAL__N_18offset_tEEE10hipError_tPvRmT1_PNSt15iterator_traitsISY_E10value_typeET2_T3_PNSZ_IS14_E10value_typeET4_jRbjT5_S1A_jjP12ihipStream_tbEUljE_EEESV_SW_SX_S14_S18_S1A_T6_T7_T9_mT8_S1C_bDpT10_ENKUlT_T0_E_clISt17integral_constantIbLb0EES1O_IbLb1EEEEDaS1K_S1L_EUlS1K_E_NS1_11comp_targetILNS1_3genE10ELNS1_11target_archE1200ELNS1_3gpuE4ELNS1_3repE0EEENS1_30default_config_static_selectorELNS0_4arch9wavefront6targetE0EEEvSY_.num_vgpr, 0
	.set _ZN7rocprim17ROCPRIM_400000_NS6detail17trampoline_kernelINS0_13select_configILj256ELj13ELNS0_17block_load_methodE3ELS4_3ELS4_3ELNS0_20block_scan_algorithmE0ELj4294967295EEENS1_25partition_config_selectorILNS1_17partition_subalgoE3EjNS0_10empty_typeEbEEZZNS1_14partition_implILS8_3ELb0ES6_jNS0_17counting_iteratorIjlEEPS9_SE_NS0_5tupleIJPjSE_EEENSF_IJSE_SE_EEES9_SG_JZNS1_25segmented_radix_sort_implINS0_14default_configELb0EPKfPfPKlPlN2at6native12_GLOBAL__N_18offset_tEEE10hipError_tPvRmT1_PNSt15iterator_traitsISY_E10value_typeET2_T3_PNSZ_IS14_E10value_typeET4_jRbjT5_S1A_jjP12ihipStream_tbEUljE_EEESV_SW_SX_S14_S18_S1A_T6_T7_T9_mT8_S1C_bDpT10_ENKUlT_T0_E_clISt17integral_constantIbLb0EES1O_IbLb1EEEEDaS1K_S1L_EUlS1K_E_NS1_11comp_targetILNS1_3genE10ELNS1_11target_archE1200ELNS1_3gpuE4ELNS1_3repE0EEENS1_30default_config_static_selectorELNS0_4arch9wavefront6targetE0EEEvSY_.num_agpr, 0
	.set _ZN7rocprim17ROCPRIM_400000_NS6detail17trampoline_kernelINS0_13select_configILj256ELj13ELNS0_17block_load_methodE3ELS4_3ELS4_3ELNS0_20block_scan_algorithmE0ELj4294967295EEENS1_25partition_config_selectorILNS1_17partition_subalgoE3EjNS0_10empty_typeEbEEZZNS1_14partition_implILS8_3ELb0ES6_jNS0_17counting_iteratorIjlEEPS9_SE_NS0_5tupleIJPjSE_EEENSF_IJSE_SE_EEES9_SG_JZNS1_25segmented_radix_sort_implINS0_14default_configELb0EPKfPfPKlPlN2at6native12_GLOBAL__N_18offset_tEEE10hipError_tPvRmT1_PNSt15iterator_traitsISY_E10value_typeET2_T3_PNSZ_IS14_E10value_typeET4_jRbjT5_S1A_jjP12ihipStream_tbEUljE_EEESV_SW_SX_S14_S18_S1A_T6_T7_T9_mT8_S1C_bDpT10_ENKUlT_T0_E_clISt17integral_constantIbLb0EES1O_IbLb1EEEEDaS1K_S1L_EUlS1K_E_NS1_11comp_targetILNS1_3genE10ELNS1_11target_archE1200ELNS1_3gpuE4ELNS1_3repE0EEENS1_30default_config_static_selectorELNS0_4arch9wavefront6targetE0EEEvSY_.numbered_sgpr, 0
	.set _ZN7rocprim17ROCPRIM_400000_NS6detail17trampoline_kernelINS0_13select_configILj256ELj13ELNS0_17block_load_methodE3ELS4_3ELS4_3ELNS0_20block_scan_algorithmE0ELj4294967295EEENS1_25partition_config_selectorILNS1_17partition_subalgoE3EjNS0_10empty_typeEbEEZZNS1_14partition_implILS8_3ELb0ES6_jNS0_17counting_iteratorIjlEEPS9_SE_NS0_5tupleIJPjSE_EEENSF_IJSE_SE_EEES9_SG_JZNS1_25segmented_radix_sort_implINS0_14default_configELb0EPKfPfPKlPlN2at6native12_GLOBAL__N_18offset_tEEE10hipError_tPvRmT1_PNSt15iterator_traitsISY_E10value_typeET2_T3_PNSZ_IS14_E10value_typeET4_jRbjT5_S1A_jjP12ihipStream_tbEUljE_EEESV_SW_SX_S14_S18_S1A_T6_T7_T9_mT8_S1C_bDpT10_ENKUlT_T0_E_clISt17integral_constantIbLb0EES1O_IbLb1EEEEDaS1K_S1L_EUlS1K_E_NS1_11comp_targetILNS1_3genE10ELNS1_11target_archE1200ELNS1_3gpuE4ELNS1_3repE0EEENS1_30default_config_static_selectorELNS0_4arch9wavefront6targetE0EEEvSY_.num_named_barrier, 0
	.set _ZN7rocprim17ROCPRIM_400000_NS6detail17trampoline_kernelINS0_13select_configILj256ELj13ELNS0_17block_load_methodE3ELS4_3ELS4_3ELNS0_20block_scan_algorithmE0ELj4294967295EEENS1_25partition_config_selectorILNS1_17partition_subalgoE3EjNS0_10empty_typeEbEEZZNS1_14partition_implILS8_3ELb0ES6_jNS0_17counting_iteratorIjlEEPS9_SE_NS0_5tupleIJPjSE_EEENSF_IJSE_SE_EEES9_SG_JZNS1_25segmented_radix_sort_implINS0_14default_configELb0EPKfPfPKlPlN2at6native12_GLOBAL__N_18offset_tEEE10hipError_tPvRmT1_PNSt15iterator_traitsISY_E10value_typeET2_T3_PNSZ_IS14_E10value_typeET4_jRbjT5_S1A_jjP12ihipStream_tbEUljE_EEESV_SW_SX_S14_S18_S1A_T6_T7_T9_mT8_S1C_bDpT10_ENKUlT_T0_E_clISt17integral_constantIbLb0EES1O_IbLb1EEEEDaS1K_S1L_EUlS1K_E_NS1_11comp_targetILNS1_3genE10ELNS1_11target_archE1200ELNS1_3gpuE4ELNS1_3repE0EEENS1_30default_config_static_selectorELNS0_4arch9wavefront6targetE0EEEvSY_.private_seg_size, 0
	.set _ZN7rocprim17ROCPRIM_400000_NS6detail17trampoline_kernelINS0_13select_configILj256ELj13ELNS0_17block_load_methodE3ELS4_3ELS4_3ELNS0_20block_scan_algorithmE0ELj4294967295EEENS1_25partition_config_selectorILNS1_17partition_subalgoE3EjNS0_10empty_typeEbEEZZNS1_14partition_implILS8_3ELb0ES6_jNS0_17counting_iteratorIjlEEPS9_SE_NS0_5tupleIJPjSE_EEENSF_IJSE_SE_EEES9_SG_JZNS1_25segmented_radix_sort_implINS0_14default_configELb0EPKfPfPKlPlN2at6native12_GLOBAL__N_18offset_tEEE10hipError_tPvRmT1_PNSt15iterator_traitsISY_E10value_typeET2_T3_PNSZ_IS14_E10value_typeET4_jRbjT5_S1A_jjP12ihipStream_tbEUljE_EEESV_SW_SX_S14_S18_S1A_T6_T7_T9_mT8_S1C_bDpT10_ENKUlT_T0_E_clISt17integral_constantIbLb0EES1O_IbLb1EEEEDaS1K_S1L_EUlS1K_E_NS1_11comp_targetILNS1_3genE10ELNS1_11target_archE1200ELNS1_3gpuE4ELNS1_3repE0EEENS1_30default_config_static_selectorELNS0_4arch9wavefront6targetE0EEEvSY_.uses_vcc, 0
	.set _ZN7rocprim17ROCPRIM_400000_NS6detail17trampoline_kernelINS0_13select_configILj256ELj13ELNS0_17block_load_methodE3ELS4_3ELS4_3ELNS0_20block_scan_algorithmE0ELj4294967295EEENS1_25partition_config_selectorILNS1_17partition_subalgoE3EjNS0_10empty_typeEbEEZZNS1_14partition_implILS8_3ELb0ES6_jNS0_17counting_iteratorIjlEEPS9_SE_NS0_5tupleIJPjSE_EEENSF_IJSE_SE_EEES9_SG_JZNS1_25segmented_radix_sort_implINS0_14default_configELb0EPKfPfPKlPlN2at6native12_GLOBAL__N_18offset_tEEE10hipError_tPvRmT1_PNSt15iterator_traitsISY_E10value_typeET2_T3_PNSZ_IS14_E10value_typeET4_jRbjT5_S1A_jjP12ihipStream_tbEUljE_EEESV_SW_SX_S14_S18_S1A_T6_T7_T9_mT8_S1C_bDpT10_ENKUlT_T0_E_clISt17integral_constantIbLb0EES1O_IbLb1EEEEDaS1K_S1L_EUlS1K_E_NS1_11comp_targetILNS1_3genE10ELNS1_11target_archE1200ELNS1_3gpuE4ELNS1_3repE0EEENS1_30default_config_static_selectorELNS0_4arch9wavefront6targetE0EEEvSY_.uses_flat_scratch, 0
	.set _ZN7rocprim17ROCPRIM_400000_NS6detail17trampoline_kernelINS0_13select_configILj256ELj13ELNS0_17block_load_methodE3ELS4_3ELS4_3ELNS0_20block_scan_algorithmE0ELj4294967295EEENS1_25partition_config_selectorILNS1_17partition_subalgoE3EjNS0_10empty_typeEbEEZZNS1_14partition_implILS8_3ELb0ES6_jNS0_17counting_iteratorIjlEEPS9_SE_NS0_5tupleIJPjSE_EEENSF_IJSE_SE_EEES9_SG_JZNS1_25segmented_radix_sort_implINS0_14default_configELb0EPKfPfPKlPlN2at6native12_GLOBAL__N_18offset_tEEE10hipError_tPvRmT1_PNSt15iterator_traitsISY_E10value_typeET2_T3_PNSZ_IS14_E10value_typeET4_jRbjT5_S1A_jjP12ihipStream_tbEUljE_EEESV_SW_SX_S14_S18_S1A_T6_T7_T9_mT8_S1C_bDpT10_ENKUlT_T0_E_clISt17integral_constantIbLb0EES1O_IbLb1EEEEDaS1K_S1L_EUlS1K_E_NS1_11comp_targetILNS1_3genE10ELNS1_11target_archE1200ELNS1_3gpuE4ELNS1_3repE0EEENS1_30default_config_static_selectorELNS0_4arch9wavefront6targetE0EEEvSY_.has_dyn_sized_stack, 0
	.set _ZN7rocprim17ROCPRIM_400000_NS6detail17trampoline_kernelINS0_13select_configILj256ELj13ELNS0_17block_load_methodE3ELS4_3ELS4_3ELNS0_20block_scan_algorithmE0ELj4294967295EEENS1_25partition_config_selectorILNS1_17partition_subalgoE3EjNS0_10empty_typeEbEEZZNS1_14partition_implILS8_3ELb0ES6_jNS0_17counting_iteratorIjlEEPS9_SE_NS0_5tupleIJPjSE_EEENSF_IJSE_SE_EEES9_SG_JZNS1_25segmented_radix_sort_implINS0_14default_configELb0EPKfPfPKlPlN2at6native12_GLOBAL__N_18offset_tEEE10hipError_tPvRmT1_PNSt15iterator_traitsISY_E10value_typeET2_T3_PNSZ_IS14_E10value_typeET4_jRbjT5_S1A_jjP12ihipStream_tbEUljE_EEESV_SW_SX_S14_S18_S1A_T6_T7_T9_mT8_S1C_bDpT10_ENKUlT_T0_E_clISt17integral_constantIbLb0EES1O_IbLb1EEEEDaS1K_S1L_EUlS1K_E_NS1_11comp_targetILNS1_3genE10ELNS1_11target_archE1200ELNS1_3gpuE4ELNS1_3repE0EEENS1_30default_config_static_selectorELNS0_4arch9wavefront6targetE0EEEvSY_.has_recursion, 0
	.set _ZN7rocprim17ROCPRIM_400000_NS6detail17trampoline_kernelINS0_13select_configILj256ELj13ELNS0_17block_load_methodE3ELS4_3ELS4_3ELNS0_20block_scan_algorithmE0ELj4294967295EEENS1_25partition_config_selectorILNS1_17partition_subalgoE3EjNS0_10empty_typeEbEEZZNS1_14partition_implILS8_3ELb0ES6_jNS0_17counting_iteratorIjlEEPS9_SE_NS0_5tupleIJPjSE_EEENSF_IJSE_SE_EEES9_SG_JZNS1_25segmented_radix_sort_implINS0_14default_configELb0EPKfPfPKlPlN2at6native12_GLOBAL__N_18offset_tEEE10hipError_tPvRmT1_PNSt15iterator_traitsISY_E10value_typeET2_T3_PNSZ_IS14_E10value_typeET4_jRbjT5_S1A_jjP12ihipStream_tbEUljE_EEESV_SW_SX_S14_S18_S1A_T6_T7_T9_mT8_S1C_bDpT10_ENKUlT_T0_E_clISt17integral_constantIbLb0EES1O_IbLb1EEEEDaS1K_S1L_EUlS1K_E_NS1_11comp_targetILNS1_3genE10ELNS1_11target_archE1200ELNS1_3gpuE4ELNS1_3repE0EEENS1_30default_config_static_selectorELNS0_4arch9wavefront6targetE0EEEvSY_.has_indirect_call, 0
	.section	.AMDGPU.csdata,"",@progbits
; Kernel info:
; codeLenInByte = 0
; TotalNumSgprs: 0
; NumVgprs: 0
; ScratchSize: 0
; MemoryBound: 0
; FloatMode: 240
; IeeeMode: 1
; LDSByteSize: 0 bytes/workgroup (compile time only)
; SGPRBlocks: 0
; VGPRBlocks: 0
; NumSGPRsForWavesPerEU: 1
; NumVGPRsForWavesPerEU: 1
; NamedBarCnt: 0
; Occupancy: 16
; WaveLimiterHint : 0
; COMPUTE_PGM_RSRC2:SCRATCH_EN: 0
; COMPUTE_PGM_RSRC2:USER_SGPR: 2
; COMPUTE_PGM_RSRC2:TRAP_HANDLER: 0
; COMPUTE_PGM_RSRC2:TGID_X_EN: 1
; COMPUTE_PGM_RSRC2:TGID_Y_EN: 0
; COMPUTE_PGM_RSRC2:TGID_Z_EN: 0
; COMPUTE_PGM_RSRC2:TIDIG_COMP_CNT: 0
	.section	.text._ZN7rocprim17ROCPRIM_400000_NS6detail17trampoline_kernelINS0_13select_configILj256ELj13ELNS0_17block_load_methodE3ELS4_3ELS4_3ELNS0_20block_scan_algorithmE0ELj4294967295EEENS1_25partition_config_selectorILNS1_17partition_subalgoE3EjNS0_10empty_typeEbEEZZNS1_14partition_implILS8_3ELb0ES6_jNS0_17counting_iteratorIjlEEPS9_SE_NS0_5tupleIJPjSE_EEENSF_IJSE_SE_EEES9_SG_JZNS1_25segmented_radix_sort_implINS0_14default_configELb0EPKfPfPKlPlN2at6native12_GLOBAL__N_18offset_tEEE10hipError_tPvRmT1_PNSt15iterator_traitsISY_E10value_typeET2_T3_PNSZ_IS14_E10value_typeET4_jRbjT5_S1A_jjP12ihipStream_tbEUljE_EEESV_SW_SX_S14_S18_S1A_T6_T7_T9_mT8_S1C_bDpT10_ENKUlT_T0_E_clISt17integral_constantIbLb0EES1O_IbLb1EEEEDaS1K_S1L_EUlS1K_E_NS1_11comp_targetILNS1_3genE9ELNS1_11target_archE1100ELNS1_3gpuE3ELNS1_3repE0EEENS1_30default_config_static_selectorELNS0_4arch9wavefront6targetE0EEEvSY_,"axG",@progbits,_ZN7rocprim17ROCPRIM_400000_NS6detail17trampoline_kernelINS0_13select_configILj256ELj13ELNS0_17block_load_methodE3ELS4_3ELS4_3ELNS0_20block_scan_algorithmE0ELj4294967295EEENS1_25partition_config_selectorILNS1_17partition_subalgoE3EjNS0_10empty_typeEbEEZZNS1_14partition_implILS8_3ELb0ES6_jNS0_17counting_iteratorIjlEEPS9_SE_NS0_5tupleIJPjSE_EEENSF_IJSE_SE_EEES9_SG_JZNS1_25segmented_radix_sort_implINS0_14default_configELb0EPKfPfPKlPlN2at6native12_GLOBAL__N_18offset_tEEE10hipError_tPvRmT1_PNSt15iterator_traitsISY_E10value_typeET2_T3_PNSZ_IS14_E10value_typeET4_jRbjT5_S1A_jjP12ihipStream_tbEUljE_EEESV_SW_SX_S14_S18_S1A_T6_T7_T9_mT8_S1C_bDpT10_ENKUlT_T0_E_clISt17integral_constantIbLb0EES1O_IbLb1EEEEDaS1K_S1L_EUlS1K_E_NS1_11comp_targetILNS1_3genE9ELNS1_11target_archE1100ELNS1_3gpuE3ELNS1_3repE0EEENS1_30default_config_static_selectorELNS0_4arch9wavefront6targetE0EEEvSY_,comdat
	.globl	_ZN7rocprim17ROCPRIM_400000_NS6detail17trampoline_kernelINS0_13select_configILj256ELj13ELNS0_17block_load_methodE3ELS4_3ELS4_3ELNS0_20block_scan_algorithmE0ELj4294967295EEENS1_25partition_config_selectorILNS1_17partition_subalgoE3EjNS0_10empty_typeEbEEZZNS1_14partition_implILS8_3ELb0ES6_jNS0_17counting_iteratorIjlEEPS9_SE_NS0_5tupleIJPjSE_EEENSF_IJSE_SE_EEES9_SG_JZNS1_25segmented_radix_sort_implINS0_14default_configELb0EPKfPfPKlPlN2at6native12_GLOBAL__N_18offset_tEEE10hipError_tPvRmT1_PNSt15iterator_traitsISY_E10value_typeET2_T3_PNSZ_IS14_E10value_typeET4_jRbjT5_S1A_jjP12ihipStream_tbEUljE_EEESV_SW_SX_S14_S18_S1A_T6_T7_T9_mT8_S1C_bDpT10_ENKUlT_T0_E_clISt17integral_constantIbLb0EES1O_IbLb1EEEEDaS1K_S1L_EUlS1K_E_NS1_11comp_targetILNS1_3genE9ELNS1_11target_archE1100ELNS1_3gpuE3ELNS1_3repE0EEENS1_30default_config_static_selectorELNS0_4arch9wavefront6targetE0EEEvSY_ ; -- Begin function _ZN7rocprim17ROCPRIM_400000_NS6detail17trampoline_kernelINS0_13select_configILj256ELj13ELNS0_17block_load_methodE3ELS4_3ELS4_3ELNS0_20block_scan_algorithmE0ELj4294967295EEENS1_25partition_config_selectorILNS1_17partition_subalgoE3EjNS0_10empty_typeEbEEZZNS1_14partition_implILS8_3ELb0ES6_jNS0_17counting_iteratorIjlEEPS9_SE_NS0_5tupleIJPjSE_EEENSF_IJSE_SE_EEES9_SG_JZNS1_25segmented_radix_sort_implINS0_14default_configELb0EPKfPfPKlPlN2at6native12_GLOBAL__N_18offset_tEEE10hipError_tPvRmT1_PNSt15iterator_traitsISY_E10value_typeET2_T3_PNSZ_IS14_E10value_typeET4_jRbjT5_S1A_jjP12ihipStream_tbEUljE_EEESV_SW_SX_S14_S18_S1A_T6_T7_T9_mT8_S1C_bDpT10_ENKUlT_T0_E_clISt17integral_constantIbLb0EES1O_IbLb1EEEEDaS1K_S1L_EUlS1K_E_NS1_11comp_targetILNS1_3genE9ELNS1_11target_archE1100ELNS1_3gpuE3ELNS1_3repE0EEENS1_30default_config_static_selectorELNS0_4arch9wavefront6targetE0EEEvSY_
	.p2align	8
	.type	_ZN7rocprim17ROCPRIM_400000_NS6detail17trampoline_kernelINS0_13select_configILj256ELj13ELNS0_17block_load_methodE3ELS4_3ELS4_3ELNS0_20block_scan_algorithmE0ELj4294967295EEENS1_25partition_config_selectorILNS1_17partition_subalgoE3EjNS0_10empty_typeEbEEZZNS1_14partition_implILS8_3ELb0ES6_jNS0_17counting_iteratorIjlEEPS9_SE_NS0_5tupleIJPjSE_EEENSF_IJSE_SE_EEES9_SG_JZNS1_25segmented_radix_sort_implINS0_14default_configELb0EPKfPfPKlPlN2at6native12_GLOBAL__N_18offset_tEEE10hipError_tPvRmT1_PNSt15iterator_traitsISY_E10value_typeET2_T3_PNSZ_IS14_E10value_typeET4_jRbjT5_S1A_jjP12ihipStream_tbEUljE_EEESV_SW_SX_S14_S18_S1A_T6_T7_T9_mT8_S1C_bDpT10_ENKUlT_T0_E_clISt17integral_constantIbLb0EES1O_IbLb1EEEEDaS1K_S1L_EUlS1K_E_NS1_11comp_targetILNS1_3genE9ELNS1_11target_archE1100ELNS1_3gpuE3ELNS1_3repE0EEENS1_30default_config_static_selectorELNS0_4arch9wavefront6targetE0EEEvSY_,@function
_ZN7rocprim17ROCPRIM_400000_NS6detail17trampoline_kernelINS0_13select_configILj256ELj13ELNS0_17block_load_methodE3ELS4_3ELS4_3ELNS0_20block_scan_algorithmE0ELj4294967295EEENS1_25partition_config_selectorILNS1_17partition_subalgoE3EjNS0_10empty_typeEbEEZZNS1_14partition_implILS8_3ELb0ES6_jNS0_17counting_iteratorIjlEEPS9_SE_NS0_5tupleIJPjSE_EEENSF_IJSE_SE_EEES9_SG_JZNS1_25segmented_radix_sort_implINS0_14default_configELb0EPKfPfPKlPlN2at6native12_GLOBAL__N_18offset_tEEE10hipError_tPvRmT1_PNSt15iterator_traitsISY_E10value_typeET2_T3_PNSZ_IS14_E10value_typeET4_jRbjT5_S1A_jjP12ihipStream_tbEUljE_EEESV_SW_SX_S14_S18_S1A_T6_T7_T9_mT8_S1C_bDpT10_ENKUlT_T0_E_clISt17integral_constantIbLb0EES1O_IbLb1EEEEDaS1K_S1L_EUlS1K_E_NS1_11comp_targetILNS1_3genE9ELNS1_11target_archE1100ELNS1_3gpuE3ELNS1_3repE0EEENS1_30default_config_static_selectorELNS0_4arch9wavefront6targetE0EEEvSY_: ; @_ZN7rocprim17ROCPRIM_400000_NS6detail17trampoline_kernelINS0_13select_configILj256ELj13ELNS0_17block_load_methodE3ELS4_3ELS4_3ELNS0_20block_scan_algorithmE0ELj4294967295EEENS1_25partition_config_selectorILNS1_17partition_subalgoE3EjNS0_10empty_typeEbEEZZNS1_14partition_implILS8_3ELb0ES6_jNS0_17counting_iteratorIjlEEPS9_SE_NS0_5tupleIJPjSE_EEENSF_IJSE_SE_EEES9_SG_JZNS1_25segmented_radix_sort_implINS0_14default_configELb0EPKfPfPKlPlN2at6native12_GLOBAL__N_18offset_tEEE10hipError_tPvRmT1_PNSt15iterator_traitsISY_E10value_typeET2_T3_PNSZ_IS14_E10value_typeET4_jRbjT5_S1A_jjP12ihipStream_tbEUljE_EEESV_SW_SX_S14_S18_S1A_T6_T7_T9_mT8_S1C_bDpT10_ENKUlT_T0_E_clISt17integral_constantIbLb0EES1O_IbLb1EEEEDaS1K_S1L_EUlS1K_E_NS1_11comp_targetILNS1_3genE9ELNS1_11target_archE1100ELNS1_3gpuE3ELNS1_3repE0EEENS1_30default_config_static_selectorELNS0_4arch9wavefront6targetE0EEEvSY_
; %bb.0:
	.section	.rodata,"a",@progbits
	.p2align	6, 0x0
	.amdhsa_kernel _ZN7rocprim17ROCPRIM_400000_NS6detail17trampoline_kernelINS0_13select_configILj256ELj13ELNS0_17block_load_methodE3ELS4_3ELS4_3ELNS0_20block_scan_algorithmE0ELj4294967295EEENS1_25partition_config_selectorILNS1_17partition_subalgoE3EjNS0_10empty_typeEbEEZZNS1_14partition_implILS8_3ELb0ES6_jNS0_17counting_iteratorIjlEEPS9_SE_NS0_5tupleIJPjSE_EEENSF_IJSE_SE_EEES9_SG_JZNS1_25segmented_radix_sort_implINS0_14default_configELb0EPKfPfPKlPlN2at6native12_GLOBAL__N_18offset_tEEE10hipError_tPvRmT1_PNSt15iterator_traitsISY_E10value_typeET2_T3_PNSZ_IS14_E10value_typeET4_jRbjT5_S1A_jjP12ihipStream_tbEUljE_EEESV_SW_SX_S14_S18_S1A_T6_T7_T9_mT8_S1C_bDpT10_ENKUlT_T0_E_clISt17integral_constantIbLb0EES1O_IbLb1EEEEDaS1K_S1L_EUlS1K_E_NS1_11comp_targetILNS1_3genE9ELNS1_11target_archE1100ELNS1_3gpuE3ELNS1_3repE0EEENS1_30default_config_static_selectorELNS0_4arch9wavefront6targetE0EEEvSY_
		.amdhsa_group_segment_fixed_size 0
		.amdhsa_private_segment_fixed_size 0
		.amdhsa_kernarg_size 152
		.amdhsa_user_sgpr_count 2
		.amdhsa_user_sgpr_dispatch_ptr 0
		.amdhsa_user_sgpr_queue_ptr 0
		.amdhsa_user_sgpr_kernarg_segment_ptr 1
		.amdhsa_user_sgpr_dispatch_id 0
		.amdhsa_user_sgpr_kernarg_preload_length 0
		.amdhsa_user_sgpr_kernarg_preload_offset 0
		.amdhsa_user_sgpr_private_segment_size 0
		.amdhsa_wavefront_size32 1
		.amdhsa_uses_dynamic_stack 0
		.amdhsa_enable_private_segment 0
		.amdhsa_system_sgpr_workgroup_id_x 1
		.amdhsa_system_sgpr_workgroup_id_y 0
		.amdhsa_system_sgpr_workgroup_id_z 0
		.amdhsa_system_sgpr_workgroup_info 0
		.amdhsa_system_vgpr_workitem_id 0
		.amdhsa_next_free_vgpr 1
		.amdhsa_next_free_sgpr 1
		.amdhsa_named_barrier_count 0
		.amdhsa_reserve_vcc 0
		.amdhsa_float_round_mode_32 0
		.amdhsa_float_round_mode_16_64 0
		.amdhsa_float_denorm_mode_32 3
		.amdhsa_float_denorm_mode_16_64 3
		.amdhsa_fp16_overflow 0
		.amdhsa_memory_ordered 1
		.amdhsa_forward_progress 1
		.amdhsa_inst_pref_size 0
		.amdhsa_round_robin_scheduling 0
		.amdhsa_exception_fp_ieee_invalid_op 0
		.amdhsa_exception_fp_denorm_src 0
		.amdhsa_exception_fp_ieee_div_zero 0
		.amdhsa_exception_fp_ieee_overflow 0
		.amdhsa_exception_fp_ieee_underflow 0
		.amdhsa_exception_fp_ieee_inexact 0
		.amdhsa_exception_int_div_zero 0
	.end_amdhsa_kernel
	.section	.text._ZN7rocprim17ROCPRIM_400000_NS6detail17trampoline_kernelINS0_13select_configILj256ELj13ELNS0_17block_load_methodE3ELS4_3ELS4_3ELNS0_20block_scan_algorithmE0ELj4294967295EEENS1_25partition_config_selectorILNS1_17partition_subalgoE3EjNS0_10empty_typeEbEEZZNS1_14partition_implILS8_3ELb0ES6_jNS0_17counting_iteratorIjlEEPS9_SE_NS0_5tupleIJPjSE_EEENSF_IJSE_SE_EEES9_SG_JZNS1_25segmented_radix_sort_implINS0_14default_configELb0EPKfPfPKlPlN2at6native12_GLOBAL__N_18offset_tEEE10hipError_tPvRmT1_PNSt15iterator_traitsISY_E10value_typeET2_T3_PNSZ_IS14_E10value_typeET4_jRbjT5_S1A_jjP12ihipStream_tbEUljE_EEESV_SW_SX_S14_S18_S1A_T6_T7_T9_mT8_S1C_bDpT10_ENKUlT_T0_E_clISt17integral_constantIbLb0EES1O_IbLb1EEEEDaS1K_S1L_EUlS1K_E_NS1_11comp_targetILNS1_3genE9ELNS1_11target_archE1100ELNS1_3gpuE3ELNS1_3repE0EEENS1_30default_config_static_selectorELNS0_4arch9wavefront6targetE0EEEvSY_,"axG",@progbits,_ZN7rocprim17ROCPRIM_400000_NS6detail17trampoline_kernelINS0_13select_configILj256ELj13ELNS0_17block_load_methodE3ELS4_3ELS4_3ELNS0_20block_scan_algorithmE0ELj4294967295EEENS1_25partition_config_selectorILNS1_17partition_subalgoE3EjNS0_10empty_typeEbEEZZNS1_14partition_implILS8_3ELb0ES6_jNS0_17counting_iteratorIjlEEPS9_SE_NS0_5tupleIJPjSE_EEENSF_IJSE_SE_EEES9_SG_JZNS1_25segmented_radix_sort_implINS0_14default_configELb0EPKfPfPKlPlN2at6native12_GLOBAL__N_18offset_tEEE10hipError_tPvRmT1_PNSt15iterator_traitsISY_E10value_typeET2_T3_PNSZ_IS14_E10value_typeET4_jRbjT5_S1A_jjP12ihipStream_tbEUljE_EEESV_SW_SX_S14_S18_S1A_T6_T7_T9_mT8_S1C_bDpT10_ENKUlT_T0_E_clISt17integral_constantIbLb0EES1O_IbLb1EEEEDaS1K_S1L_EUlS1K_E_NS1_11comp_targetILNS1_3genE9ELNS1_11target_archE1100ELNS1_3gpuE3ELNS1_3repE0EEENS1_30default_config_static_selectorELNS0_4arch9wavefront6targetE0EEEvSY_,comdat
.Lfunc_end1419:
	.size	_ZN7rocprim17ROCPRIM_400000_NS6detail17trampoline_kernelINS0_13select_configILj256ELj13ELNS0_17block_load_methodE3ELS4_3ELS4_3ELNS0_20block_scan_algorithmE0ELj4294967295EEENS1_25partition_config_selectorILNS1_17partition_subalgoE3EjNS0_10empty_typeEbEEZZNS1_14partition_implILS8_3ELb0ES6_jNS0_17counting_iteratorIjlEEPS9_SE_NS0_5tupleIJPjSE_EEENSF_IJSE_SE_EEES9_SG_JZNS1_25segmented_radix_sort_implINS0_14default_configELb0EPKfPfPKlPlN2at6native12_GLOBAL__N_18offset_tEEE10hipError_tPvRmT1_PNSt15iterator_traitsISY_E10value_typeET2_T3_PNSZ_IS14_E10value_typeET4_jRbjT5_S1A_jjP12ihipStream_tbEUljE_EEESV_SW_SX_S14_S18_S1A_T6_T7_T9_mT8_S1C_bDpT10_ENKUlT_T0_E_clISt17integral_constantIbLb0EES1O_IbLb1EEEEDaS1K_S1L_EUlS1K_E_NS1_11comp_targetILNS1_3genE9ELNS1_11target_archE1100ELNS1_3gpuE3ELNS1_3repE0EEENS1_30default_config_static_selectorELNS0_4arch9wavefront6targetE0EEEvSY_, .Lfunc_end1419-_ZN7rocprim17ROCPRIM_400000_NS6detail17trampoline_kernelINS0_13select_configILj256ELj13ELNS0_17block_load_methodE3ELS4_3ELS4_3ELNS0_20block_scan_algorithmE0ELj4294967295EEENS1_25partition_config_selectorILNS1_17partition_subalgoE3EjNS0_10empty_typeEbEEZZNS1_14partition_implILS8_3ELb0ES6_jNS0_17counting_iteratorIjlEEPS9_SE_NS0_5tupleIJPjSE_EEENSF_IJSE_SE_EEES9_SG_JZNS1_25segmented_radix_sort_implINS0_14default_configELb0EPKfPfPKlPlN2at6native12_GLOBAL__N_18offset_tEEE10hipError_tPvRmT1_PNSt15iterator_traitsISY_E10value_typeET2_T3_PNSZ_IS14_E10value_typeET4_jRbjT5_S1A_jjP12ihipStream_tbEUljE_EEESV_SW_SX_S14_S18_S1A_T6_T7_T9_mT8_S1C_bDpT10_ENKUlT_T0_E_clISt17integral_constantIbLb0EES1O_IbLb1EEEEDaS1K_S1L_EUlS1K_E_NS1_11comp_targetILNS1_3genE9ELNS1_11target_archE1100ELNS1_3gpuE3ELNS1_3repE0EEENS1_30default_config_static_selectorELNS0_4arch9wavefront6targetE0EEEvSY_
                                        ; -- End function
	.set _ZN7rocprim17ROCPRIM_400000_NS6detail17trampoline_kernelINS0_13select_configILj256ELj13ELNS0_17block_load_methodE3ELS4_3ELS4_3ELNS0_20block_scan_algorithmE0ELj4294967295EEENS1_25partition_config_selectorILNS1_17partition_subalgoE3EjNS0_10empty_typeEbEEZZNS1_14partition_implILS8_3ELb0ES6_jNS0_17counting_iteratorIjlEEPS9_SE_NS0_5tupleIJPjSE_EEENSF_IJSE_SE_EEES9_SG_JZNS1_25segmented_radix_sort_implINS0_14default_configELb0EPKfPfPKlPlN2at6native12_GLOBAL__N_18offset_tEEE10hipError_tPvRmT1_PNSt15iterator_traitsISY_E10value_typeET2_T3_PNSZ_IS14_E10value_typeET4_jRbjT5_S1A_jjP12ihipStream_tbEUljE_EEESV_SW_SX_S14_S18_S1A_T6_T7_T9_mT8_S1C_bDpT10_ENKUlT_T0_E_clISt17integral_constantIbLb0EES1O_IbLb1EEEEDaS1K_S1L_EUlS1K_E_NS1_11comp_targetILNS1_3genE9ELNS1_11target_archE1100ELNS1_3gpuE3ELNS1_3repE0EEENS1_30default_config_static_selectorELNS0_4arch9wavefront6targetE0EEEvSY_.num_vgpr, 0
	.set _ZN7rocprim17ROCPRIM_400000_NS6detail17trampoline_kernelINS0_13select_configILj256ELj13ELNS0_17block_load_methodE3ELS4_3ELS4_3ELNS0_20block_scan_algorithmE0ELj4294967295EEENS1_25partition_config_selectorILNS1_17partition_subalgoE3EjNS0_10empty_typeEbEEZZNS1_14partition_implILS8_3ELb0ES6_jNS0_17counting_iteratorIjlEEPS9_SE_NS0_5tupleIJPjSE_EEENSF_IJSE_SE_EEES9_SG_JZNS1_25segmented_radix_sort_implINS0_14default_configELb0EPKfPfPKlPlN2at6native12_GLOBAL__N_18offset_tEEE10hipError_tPvRmT1_PNSt15iterator_traitsISY_E10value_typeET2_T3_PNSZ_IS14_E10value_typeET4_jRbjT5_S1A_jjP12ihipStream_tbEUljE_EEESV_SW_SX_S14_S18_S1A_T6_T7_T9_mT8_S1C_bDpT10_ENKUlT_T0_E_clISt17integral_constantIbLb0EES1O_IbLb1EEEEDaS1K_S1L_EUlS1K_E_NS1_11comp_targetILNS1_3genE9ELNS1_11target_archE1100ELNS1_3gpuE3ELNS1_3repE0EEENS1_30default_config_static_selectorELNS0_4arch9wavefront6targetE0EEEvSY_.num_agpr, 0
	.set _ZN7rocprim17ROCPRIM_400000_NS6detail17trampoline_kernelINS0_13select_configILj256ELj13ELNS0_17block_load_methodE3ELS4_3ELS4_3ELNS0_20block_scan_algorithmE0ELj4294967295EEENS1_25partition_config_selectorILNS1_17partition_subalgoE3EjNS0_10empty_typeEbEEZZNS1_14partition_implILS8_3ELb0ES6_jNS0_17counting_iteratorIjlEEPS9_SE_NS0_5tupleIJPjSE_EEENSF_IJSE_SE_EEES9_SG_JZNS1_25segmented_radix_sort_implINS0_14default_configELb0EPKfPfPKlPlN2at6native12_GLOBAL__N_18offset_tEEE10hipError_tPvRmT1_PNSt15iterator_traitsISY_E10value_typeET2_T3_PNSZ_IS14_E10value_typeET4_jRbjT5_S1A_jjP12ihipStream_tbEUljE_EEESV_SW_SX_S14_S18_S1A_T6_T7_T9_mT8_S1C_bDpT10_ENKUlT_T0_E_clISt17integral_constantIbLb0EES1O_IbLb1EEEEDaS1K_S1L_EUlS1K_E_NS1_11comp_targetILNS1_3genE9ELNS1_11target_archE1100ELNS1_3gpuE3ELNS1_3repE0EEENS1_30default_config_static_selectorELNS0_4arch9wavefront6targetE0EEEvSY_.numbered_sgpr, 0
	.set _ZN7rocprim17ROCPRIM_400000_NS6detail17trampoline_kernelINS0_13select_configILj256ELj13ELNS0_17block_load_methodE3ELS4_3ELS4_3ELNS0_20block_scan_algorithmE0ELj4294967295EEENS1_25partition_config_selectorILNS1_17partition_subalgoE3EjNS0_10empty_typeEbEEZZNS1_14partition_implILS8_3ELb0ES6_jNS0_17counting_iteratorIjlEEPS9_SE_NS0_5tupleIJPjSE_EEENSF_IJSE_SE_EEES9_SG_JZNS1_25segmented_radix_sort_implINS0_14default_configELb0EPKfPfPKlPlN2at6native12_GLOBAL__N_18offset_tEEE10hipError_tPvRmT1_PNSt15iterator_traitsISY_E10value_typeET2_T3_PNSZ_IS14_E10value_typeET4_jRbjT5_S1A_jjP12ihipStream_tbEUljE_EEESV_SW_SX_S14_S18_S1A_T6_T7_T9_mT8_S1C_bDpT10_ENKUlT_T0_E_clISt17integral_constantIbLb0EES1O_IbLb1EEEEDaS1K_S1L_EUlS1K_E_NS1_11comp_targetILNS1_3genE9ELNS1_11target_archE1100ELNS1_3gpuE3ELNS1_3repE0EEENS1_30default_config_static_selectorELNS0_4arch9wavefront6targetE0EEEvSY_.num_named_barrier, 0
	.set _ZN7rocprim17ROCPRIM_400000_NS6detail17trampoline_kernelINS0_13select_configILj256ELj13ELNS0_17block_load_methodE3ELS4_3ELS4_3ELNS0_20block_scan_algorithmE0ELj4294967295EEENS1_25partition_config_selectorILNS1_17partition_subalgoE3EjNS0_10empty_typeEbEEZZNS1_14partition_implILS8_3ELb0ES6_jNS0_17counting_iteratorIjlEEPS9_SE_NS0_5tupleIJPjSE_EEENSF_IJSE_SE_EEES9_SG_JZNS1_25segmented_radix_sort_implINS0_14default_configELb0EPKfPfPKlPlN2at6native12_GLOBAL__N_18offset_tEEE10hipError_tPvRmT1_PNSt15iterator_traitsISY_E10value_typeET2_T3_PNSZ_IS14_E10value_typeET4_jRbjT5_S1A_jjP12ihipStream_tbEUljE_EEESV_SW_SX_S14_S18_S1A_T6_T7_T9_mT8_S1C_bDpT10_ENKUlT_T0_E_clISt17integral_constantIbLb0EES1O_IbLb1EEEEDaS1K_S1L_EUlS1K_E_NS1_11comp_targetILNS1_3genE9ELNS1_11target_archE1100ELNS1_3gpuE3ELNS1_3repE0EEENS1_30default_config_static_selectorELNS0_4arch9wavefront6targetE0EEEvSY_.private_seg_size, 0
	.set _ZN7rocprim17ROCPRIM_400000_NS6detail17trampoline_kernelINS0_13select_configILj256ELj13ELNS0_17block_load_methodE3ELS4_3ELS4_3ELNS0_20block_scan_algorithmE0ELj4294967295EEENS1_25partition_config_selectorILNS1_17partition_subalgoE3EjNS0_10empty_typeEbEEZZNS1_14partition_implILS8_3ELb0ES6_jNS0_17counting_iteratorIjlEEPS9_SE_NS0_5tupleIJPjSE_EEENSF_IJSE_SE_EEES9_SG_JZNS1_25segmented_radix_sort_implINS0_14default_configELb0EPKfPfPKlPlN2at6native12_GLOBAL__N_18offset_tEEE10hipError_tPvRmT1_PNSt15iterator_traitsISY_E10value_typeET2_T3_PNSZ_IS14_E10value_typeET4_jRbjT5_S1A_jjP12ihipStream_tbEUljE_EEESV_SW_SX_S14_S18_S1A_T6_T7_T9_mT8_S1C_bDpT10_ENKUlT_T0_E_clISt17integral_constantIbLb0EES1O_IbLb1EEEEDaS1K_S1L_EUlS1K_E_NS1_11comp_targetILNS1_3genE9ELNS1_11target_archE1100ELNS1_3gpuE3ELNS1_3repE0EEENS1_30default_config_static_selectorELNS0_4arch9wavefront6targetE0EEEvSY_.uses_vcc, 0
	.set _ZN7rocprim17ROCPRIM_400000_NS6detail17trampoline_kernelINS0_13select_configILj256ELj13ELNS0_17block_load_methodE3ELS4_3ELS4_3ELNS0_20block_scan_algorithmE0ELj4294967295EEENS1_25partition_config_selectorILNS1_17partition_subalgoE3EjNS0_10empty_typeEbEEZZNS1_14partition_implILS8_3ELb0ES6_jNS0_17counting_iteratorIjlEEPS9_SE_NS0_5tupleIJPjSE_EEENSF_IJSE_SE_EEES9_SG_JZNS1_25segmented_radix_sort_implINS0_14default_configELb0EPKfPfPKlPlN2at6native12_GLOBAL__N_18offset_tEEE10hipError_tPvRmT1_PNSt15iterator_traitsISY_E10value_typeET2_T3_PNSZ_IS14_E10value_typeET4_jRbjT5_S1A_jjP12ihipStream_tbEUljE_EEESV_SW_SX_S14_S18_S1A_T6_T7_T9_mT8_S1C_bDpT10_ENKUlT_T0_E_clISt17integral_constantIbLb0EES1O_IbLb1EEEEDaS1K_S1L_EUlS1K_E_NS1_11comp_targetILNS1_3genE9ELNS1_11target_archE1100ELNS1_3gpuE3ELNS1_3repE0EEENS1_30default_config_static_selectorELNS0_4arch9wavefront6targetE0EEEvSY_.uses_flat_scratch, 0
	.set _ZN7rocprim17ROCPRIM_400000_NS6detail17trampoline_kernelINS0_13select_configILj256ELj13ELNS0_17block_load_methodE3ELS4_3ELS4_3ELNS0_20block_scan_algorithmE0ELj4294967295EEENS1_25partition_config_selectorILNS1_17partition_subalgoE3EjNS0_10empty_typeEbEEZZNS1_14partition_implILS8_3ELb0ES6_jNS0_17counting_iteratorIjlEEPS9_SE_NS0_5tupleIJPjSE_EEENSF_IJSE_SE_EEES9_SG_JZNS1_25segmented_radix_sort_implINS0_14default_configELb0EPKfPfPKlPlN2at6native12_GLOBAL__N_18offset_tEEE10hipError_tPvRmT1_PNSt15iterator_traitsISY_E10value_typeET2_T3_PNSZ_IS14_E10value_typeET4_jRbjT5_S1A_jjP12ihipStream_tbEUljE_EEESV_SW_SX_S14_S18_S1A_T6_T7_T9_mT8_S1C_bDpT10_ENKUlT_T0_E_clISt17integral_constantIbLb0EES1O_IbLb1EEEEDaS1K_S1L_EUlS1K_E_NS1_11comp_targetILNS1_3genE9ELNS1_11target_archE1100ELNS1_3gpuE3ELNS1_3repE0EEENS1_30default_config_static_selectorELNS0_4arch9wavefront6targetE0EEEvSY_.has_dyn_sized_stack, 0
	.set _ZN7rocprim17ROCPRIM_400000_NS6detail17trampoline_kernelINS0_13select_configILj256ELj13ELNS0_17block_load_methodE3ELS4_3ELS4_3ELNS0_20block_scan_algorithmE0ELj4294967295EEENS1_25partition_config_selectorILNS1_17partition_subalgoE3EjNS0_10empty_typeEbEEZZNS1_14partition_implILS8_3ELb0ES6_jNS0_17counting_iteratorIjlEEPS9_SE_NS0_5tupleIJPjSE_EEENSF_IJSE_SE_EEES9_SG_JZNS1_25segmented_radix_sort_implINS0_14default_configELb0EPKfPfPKlPlN2at6native12_GLOBAL__N_18offset_tEEE10hipError_tPvRmT1_PNSt15iterator_traitsISY_E10value_typeET2_T3_PNSZ_IS14_E10value_typeET4_jRbjT5_S1A_jjP12ihipStream_tbEUljE_EEESV_SW_SX_S14_S18_S1A_T6_T7_T9_mT8_S1C_bDpT10_ENKUlT_T0_E_clISt17integral_constantIbLb0EES1O_IbLb1EEEEDaS1K_S1L_EUlS1K_E_NS1_11comp_targetILNS1_3genE9ELNS1_11target_archE1100ELNS1_3gpuE3ELNS1_3repE0EEENS1_30default_config_static_selectorELNS0_4arch9wavefront6targetE0EEEvSY_.has_recursion, 0
	.set _ZN7rocprim17ROCPRIM_400000_NS6detail17trampoline_kernelINS0_13select_configILj256ELj13ELNS0_17block_load_methodE3ELS4_3ELS4_3ELNS0_20block_scan_algorithmE0ELj4294967295EEENS1_25partition_config_selectorILNS1_17partition_subalgoE3EjNS0_10empty_typeEbEEZZNS1_14partition_implILS8_3ELb0ES6_jNS0_17counting_iteratorIjlEEPS9_SE_NS0_5tupleIJPjSE_EEENSF_IJSE_SE_EEES9_SG_JZNS1_25segmented_radix_sort_implINS0_14default_configELb0EPKfPfPKlPlN2at6native12_GLOBAL__N_18offset_tEEE10hipError_tPvRmT1_PNSt15iterator_traitsISY_E10value_typeET2_T3_PNSZ_IS14_E10value_typeET4_jRbjT5_S1A_jjP12ihipStream_tbEUljE_EEESV_SW_SX_S14_S18_S1A_T6_T7_T9_mT8_S1C_bDpT10_ENKUlT_T0_E_clISt17integral_constantIbLb0EES1O_IbLb1EEEEDaS1K_S1L_EUlS1K_E_NS1_11comp_targetILNS1_3genE9ELNS1_11target_archE1100ELNS1_3gpuE3ELNS1_3repE0EEENS1_30default_config_static_selectorELNS0_4arch9wavefront6targetE0EEEvSY_.has_indirect_call, 0
	.section	.AMDGPU.csdata,"",@progbits
; Kernel info:
; codeLenInByte = 0
; TotalNumSgprs: 0
; NumVgprs: 0
; ScratchSize: 0
; MemoryBound: 0
; FloatMode: 240
; IeeeMode: 1
; LDSByteSize: 0 bytes/workgroup (compile time only)
; SGPRBlocks: 0
; VGPRBlocks: 0
; NumSGPRsForWavesPerEU: 1
; NumVGPRsForWavesPerEU: 1
; NamedBarCnt: 0
; Occupancy: 16
; WaveLimiterHint : 0
; COMPUTE_PGM_RSRC2:SCRATCH_EN: 0
; COMPUTE_PGM_RSRC2:USER_SGPR: 2
; COMPUTE_PGM_RSRC2:TRAP_HANDLER: 0
; COMPUTE_PGM_RSRC2:TGID_X_EN: 1
; COMPUTE_PGM_RSRC2:TGID_Y_EN: 0
; COMPUTE_PGM_RSRC2:TGID_Z_EN: 0
; COMPUTE_PGM_RSRC2:TIDIG_COMP_CNT: 0
	.section	.text._ZN7rocprim17ROCPRIM_400000_NS6detail17trampoline_kernelINS0_13select_configILj256ELj13ELNS0_17block_load_methodE3ELS4_3ELS4_3ELNS0_20block_scan_algorithmE0ELj4294967295EEENS1_25partition_config_selectorILNS1_17partition_subalgoE3EjNS0_10empty_typeEbEEZZNS1_14partition_implILS8_3ELb0ES6_jNS0_17counting_iteratorIjlEEPS9_SE_NS0_5tupleIJPjSE_EEENSF_IJSE_SE_EEES9_SG_JZNS1_25segmented_radix_sort_implINS0_14default_configELb0EPKfPfPKlPlN2at6native12_GLOBAL__N_18offset_tEEE10hipError_tPvRmT1_PNSt15iterator_traitsISY_E10value_typeET2_T3_PNSZ_IS14_E10value_typeET4_jRbjT5_S1A_jjP12ihipStream_tbEUljE_EEESV_SW_SX_S14_S18_S1A_T6_T7_T9_mT8_S1C_bDpT10_ENKUlT_T0_E_clISt17integral_constantIbLb0EES1O_IbLb1EEEEDaS1K_S1L_EUlS1K_E_NS1_11comp_targetILNS1_3genE8ELNS1_11target_archE1030ELNS1_3gpuE2ELNS1_3repE0EEENS1_30default_config_static_selectorELNS0_4arch9wavefront6targetE0EEEvSY_,"axG",@progbits,_ZN7rocprim17ROCPRIM_400000_NS6detail17trampoline_kernelINS0_13select_configILj256ELj13ELNS0_17block_load_methodE3ELS4_3ELS4_3ELNS0_20block_scan_algorithmE0ELj4294967295EEENS1_25partition_config_selectorILNS1_17partition_subalgoE3EjNS0_10empty_typeEbEEZZNS1_14partition_implILS8_3ELb0ES6_jNS0_17counting_iteratorIjlEEPS9_SE_NS0_5tupleIJPjSE_EEENSF_IJSE_SE_EEES9_SG_JZNS1_25segmented_radix_sort_implINS0_14default_configELb0EPKfPfPKlPlN2at6native12_GLOBAL__N_18offset_tEEE10hipError_tPvRmT1_PNSt15iterator_traitsISY_E10value_typeET2_T3_PNSZ_IS14_E10value_typeET4_jRbjT5_S1A_jjP12ihipStream_tbEUljE_EEESV_SW_SX_S14_S18_S1A_T6_T7_T9_mT8_S1C_bDpT10_ENKUlT_T0_E_clISt17integral_constantIbLb0EES1O_IbLb1EEEEDaS1K_S1L_EUlS1K_E_NS1_11comp_targetILNS1_3genE8ELNS1_11target_archE1030ELNS1_3gpuE2ELNS1_3repE0EEENS1_30default_config_static_selectorELNS0_4arch9wavefront6targetE0EEEvSY_,comdat
	.globl	_ZN7rocprim17ROCPRIM_400000_NS6detail17trampoline_kernelINS0_13select_configILj256ELj13ELNS0_17block_load_methodE3ELS4_3ELS4_3ELNS0_20block_scan_algorithmE0ELj4294967295EEENS1_25partition_config_selectorILNS1_17partition_subalgoE3EjNS0_10empty_typeEbEEZZNS1_14partition_implILS8_3ELb0ES6_jNS0_17counting_iteratorIjlEEPS9_SE_NS0_5tupleIJPjSE_EEENSF_IJSE_SE_EEES9_SG_JZNS1_25segmented_radix_sort_implINS0_14default_configELb0EPKfPfPKlPlN2at6native12_GLOBAL__N_18offset_tEEE10hipError_tPvRmT1_PNSt15iterator_traitsISY_E10value_typeET2_T3_PNSZ_IS14_E10value_typeET4_jRbjT5_S1A_jjP12ihipStream_tbEUljE_EEESV_SW_SX_S14_S18_S1A_T6_T7_T9_mT8_S1C_bDpT10_ENKUlT_T0_E_clISt17integral_constantIbLb0EES1O_IbLb1EEEEDaS1K_S1L_EUlS1K_E_NS1_11comp_targetILNS1_3genE8ELNS1_11target_archE1030ELNS1_3gpuE2ELNS1_3repE0EEENS1_30default_config_static_selectorELNS0_4arch9wavefront6targetE0EEEvSY_ ; -- Begin function _ZN7rocprim17ROCPRIM_400000_NS6detail17trampoline_kernelINS0_13select_configILj256ELj13ELNS0_17block_load_methodE3ELS4_3ELS4_3ELNS0_20block_scan_algorithmE0ELj4294967295EEENS1_25partition_config_selectorILNS1_17partition_subalgoE3EjNS0_10empty_typeEbEEZZNS1_14partition_implILS8_3ELb0ES6_jNS0_17counting_iteratorIjlEEPS9_SE_NS0_5tupleIJPjSE_EEENSF_IJSE_SE_EEES9_SG_JZNS1_25segmented_radix_sort_implINS0_14default_configELb0EPKfPfPKlPlN2at6native12_GLOBAL__N_18offset_tEEE10hipError_tPvRmT1_PNSt15iterator_traitsISY_E10value_typeET2_T3_PNSZ_IS14_E10value_typeET4_jRbjT5_S1A_jjP12ihipStream_tbEUljE_EEESV_SW_SX_S14_S18_S1A_T6_T7_T9_mT8_S1C_bDpT10_ENKUlT_T0_E_clISt17integral_constantIbLb0EES1O_IbLb1EEEEDaS1K_S1L_EUlS1K_E_NS1_11comp_targetILNS1_3genE8ELNS1_11target_archE1030ELNS1_3gpuE2ELNS1_3repE0EEENS1_30default_config_static_selectorELNS0_4arch9wavefront6targetE0EEEvSY_
	.p2align	8
	.type	_ZN7rocprim17ROCPRIM_400000_NS6detail17trampoline_kernelINS0_13select_configILj256ELj13ELNS0_17block_load_methodE3ELS4_3ELS4_3ELNS0_20block_scan_algorithmE0ELj4294967295EEENS1_25partition_config_selectorILNS1_17partition_subalgoE3EjNS0_10empty_typeEbEEZZNS1_14partition_implILS8_3ELb0ES6_jNS0_17counting_iteratorIjlEEPS9_SE_NS0_5tupleIJPjSE_EEENSF_IJSE_SE_EEES9_SG_JZNS1_25segmented_radix_sort_implINS0_14default_configELb0EPKfPfPKlPlN2at6native12_GLOBAL__N_18offset_tEEE10hipError_tPvRmT1_PNSt15iterator_traitsISY_E10value_typeET2_T3_PNSZ_IS14_E10value_typeET4_jRbjT5_S1A_jjP12ihipStream_tbEUljE_EEESV_SW_SX_S14_S18_S1A_T6_T7_T9_mT8_S1C_bDpT10_ENKUlT_T0_E_clISt17integral_constantIbLb0EES1O_IbLb1EEEEDaS1K_S1L_EUlS1K_E_NS1_11comp_targetILNS1_3genE8ELNS1_11target_archE1030ELNS1_3gpuE2ELNS1_3repE0EEENS1_30default_config_static_selectorELNS0_4arch9wavefront6targetE0EEEvSY_,@function
_ZN7rocprim17ROCPRIM_400000_NS6detail17trampoline_kernelINS0_13select_configILj256ELj13ELNS0_17block_load_methodE3ELS4_3ELS4_3ELNS0_20block_scan_algorithmE0ELj4294967295EEENS1_25partition_config_selectorILNS1_17partition_subalgoE3EjNS0_10empty_typeEbEEZZNS1_14partition_implILS8_3ELb0ES6_jNS0_17counting_iteratorIjlEEPS9_SE_NS0_5tupleIJPjSE_EEENSF_IJSE_SE_EEES9_SG_JZNS1_25segmented_radix_sort_implINS0_14default_configELb0EPKfPfPKlPlN2at6native12_GLOBAL__N_18offset_tEEE10hipError_tPvRmT1_PNSt15iterator_traitsISY_E10value_typeET2_T3_PNSZ_IS14_E10value_typeET4_jRbjT5_S1A_jjP12ihipStream_tbEUljE_EEESV_SW_SX_S14_S18_S1A_T6_T7_T9_mT8_S1C_bDpT10_ENKUlT_T0_E_clISt17integral_constantIbLb0EES1O_IbLb1EEEEDaS1K_S1L_EUlS1K_E_NS1_11comp_targetILNS1_3genE8ELNS1_11target_archE1030ELNS1_3gpuE2ELNS1_3repE0EEENS1_30default_config_static_selectorELNS0_4arch9wavefront6targetE0EEEvSY_: ; @_ZN7rocprim17ROCPRIM_400000_NS6detail17trampoline_kernelINS0_13select_configILj256ELj13ELNS0_17block_load_methodE3ELS4_3ELS4_3ELNS0_20block_scan_algorithmE0ELj4294967295EEENS1_25partition_config_selectorILNS1_17partition_subalgoE3EjNS0_10empty_typeEbEEZZNS1_14partition_implILS8_3ELb0ES6_jNS0_17counting_iteratorIjlEEPS9_SE_NS0_5tupleIJPjSE_EEENSF_IJSE_SE_EEES9_SG_JZNS1_25segmented_radix_sort_implINS0_14default_configELb0EPKfPfPKlPlN2at6native12_GLOBAL__N_18offset_tEEE10hipError_tPvRmT1_PNSt15iterator_traitsISY_E10value_typeET2_T3_PNSZ_IS14_E10value_typeET4_jRbjT5_S1A_jjP12ihipStream_tbEUljE_EEESV_SW_SX_S14_S18_S1A_T6_T7_T9_mT8_S1C_bDpT10_ENKUlT_T0_E_clISt17integral_constantIbLb0EES1O_IbLb1EEEEDaS1K_S1L_EUlS1K_E_NS1_11comp_targetILNS1_3genE8ELNS1_11target_archE1030ELNS1_3gpuE2ELNS1_3repE0EEENS1_30default_config_static_selectorELNS0_4arch9wavefront6targetE0EEEvSY_
; %bb.0:
	.section	.rodata,"a",@progbits
	.p2align	6, 0x0
	.amdhsa_kernel _ZN7rocprim17ROCPRIM_400000_NS6detail17trampoline_kernelINS0_13select_configILj256ELj13ELNS0_17block_load_methodE3ELS4_3ELS4_3ELNS0_20block_scan_algorithmE0ELj4294967295EEENS1_25partition_config_selectorILNS1_17partition_subalgoE3EjNS0_10empty_typeEbEEZZNS1_14partition_implILS8_3ELb0ES6_jNS0_17counting_iteratorIjlEEPS9_SE_NS0_5tupleIJPjSE_EEENSF_IJSE_SE_EEES9_SG_JZNS1_25segmented_radix_sort_implINS0_14default_configELb0EPKfPfPKlPlN2at6native12_GLOBAL__N_18offset_tEEE10hipError_tPvRmT1_PNSt15iterator_traitsISY_E10value_typeET2_T3_PNSZ_IS14_E10value_typeET4_jRbjT5_S1A_jjP12ihipStream_tbEUljE_EEESV_SW_SX_S14_S18_S1A_T6_T7_T9_mT8_S1C_bDpT10_ENKUlT_T0_E_clISt17integral_constantIbLb0EES1O_IbLb1EEEEDaS1K_S1L_EUlS1K_E_NS1_11comp_targetILNS1_3genE8ELNS1_11target_archE1030ELNS1_3gpuE2ELNS1_3repE0EEENS1_30default_config_static_selectorELNS0_4arch9wavefront6targetE0EEEvSY_
		.amdhsa_group_segment_fixed_size 0
		.amdhsa_private_segment_fixed_size 0
		.amdhsa_kernarg_size 152
		.amdhsa_user_sgpr_count 2
		.amdhsa_user_sgpr_dispatch_ptr 0
		.amdhsa_user_sgpr_queue_ptr 0
		.amdhsa_user_sgpr_kernarg_segment_ptr 1
		.amdhsa_user_sgpr_dispatch_id 0
		.amdhsa_user_sgpr_kernarg_preload_length 0
		.amdhsa_user_sgpr_kernarg_preload_offset 0
		.amdhsa_user_sgpr_private_segment_size 0
		.amdhsa_wavefront_size32 1
		.amdhsa_uses_dynamic_stack 0
		.amdhsa_enable_private_segment 0
		.amdhsa_system_sgpr_workgroup_id_x 1
		.amdhsa_system_sgpr_workgroup_id_y 0
		.amdhsa_system_sgpr_workgroup_id_z 0
		.amdhsa_system_sgpr_workgroup_info 0
		.amdhsa_system_vgpr_workitem_id 0
		.amdhsa_next_free_vgpr 1
		.amdhsa_next_free_sgpr 1
		.amdhsa_named_barrier_count 0
		.amdhsa_reserve_vcc 0
		.amdhsa_float_round_mode_32 0
		.amdhsa_float_round_mode_16_64 0
		.amdhsa_float_denorm_mode_32 3
		.amdhsa_float_denorm_mode_16_64 3
		.amdhsa_fp16_overflow 0
		.amdhsa_memory_ordered 1
		.amdhsa_forward_progress 1
		.amdhsa_inst_pref_size 0
		.amdhsa_round_robin_scheduling 0
		.amdhsa_exception_fp_ieee_invalid_op 0
		.amdhsa_exception_fp_denorm_src 0
		.amdhsa_exception_fp_ieee_div_zero 0
		.amdhsa_exception_fp_ieee_overflow 0
		.amdhsa_exception_fp_ieee_underflow 0
		.amdhsa_exception_fp_ieee_inexact 0
		.amdhsa_exception_int_div_zero 0
	.end_amdhsa_kernel
	.section	.text._ZN7rocprim17ROCPRIM_400000_NS6detail17trampoline_kernelINS0_13select_configILj256ELj13ELNS0_17block_load_methodE3ELS4_3ELS4_3ELNS0_20block_scan_algorithmE0ELj4294967295EEENS1_25partition_config_selectorILNS1_17partition_subalgoE3EjNS0_10empty_typeEbEEZZNS1_14partition_implILS8_3ELb0ES6_jNS0_17counting_iteratorIjlEEPS9_SE_NS0_5tupleIJPjSE_EEENSF_IJSE_SE_EEES9_SG_JZNS1_25segmented_radix_sort_implINS0_14default_configELb0EPKfPfPKlPlN2at6native12_GLOBAL__N_18offset_tEEE10hipError_tPvRmT1_PNSt15iterator_traitsISY_E10value_typeET2_T3_PNSZ_IS14_E10value_typeET4_jRbjT5_S1A_jjP12ihipStream_tbEUljE_EEESV_SW_SX_S14_S18_S1A_T6_T7_T9_mT8_S1C_bDpT10_ENKUlT_T0_E_clISt17integral_constantIbLb0EES1O_IbLb1EEEEDaS1K_S1L_EUlS1K_E_NS1_11comp_targetILNS1_3genE8ELNS1_11target_archE1030ELNS1_3gpuE2ELNS1_3repE0EEENS1_30default_config_static_selectorELNS0_4arch9wavefront6targetE0EEEvSY_,"axG",@progbits,_ZN7rocprim17ROCPRIM_400000_NS6detail17trampoline_kernelINS0_13select_configILj256ELj13ELNS0_17block_load_methodE3ELS4_3ELS4_3ELNS0_20block_scan_algorithmE0ELj4294967295EEENS1_25partition_config_selectorILNS1_17partition_subalgoE3EjNS0_10empty_typeEbEEZZNS1_14partition_implILS8_3ELb0ES6_jNS0_17counting_iteratorIjlEEPS9_SE_NS0_5tupleIJPjSE_EEENSF_IJSE_SE_EEES9_SG_JZNS1_25segmented_radix_sort_implINS0_14default_configELb0EPKfPfPKlPlN2at6native12_GLOBAL__N_18offset_tEEE10hipError_tPvRmT1_PNSt15iterator_traitsISY_E10value_typeET2_T3_PNSZ_IS14_E10value_typeET4_jRbjT5_S1A_jjP12ihipStream_tbEUljE_EEESV_SW_SX_S14_S18_S1A_T6_T7_T9_mT8_S1C_bDpT10_ENKUlT_T0_E_clISt17integral_constantIbLb0EES1O_IbLb1EEEEDaS1K_S1L_EUlS1K_E_NS1_11comp_targetILNS1_3genE8ELNS1_11target_archE1030ELNS1_3gpuE2ELNS1_3repE0EEENS1_30default_config_static_selectorELNS0_4arch9wavefront6targetE0EEEvSY_,comdat
.Lfunc_end1420:
	.size	_ZN7rocprim17ROCPRIM_400000_NS6detail17trampoline_kernelINS0_13select_configILj256ELj13ELNS0_17block_load_methodE3ELS4_3ELS4_3ELNS0_20block_scan_algorithmE0ELj4294967295EEENS1_25partition_config_selectorILNS1_17partition_subalgoE3EjNS0_10empty_typeEbEEZZNS1_14partition_implILS8_3ELb0ES6_jNS0_17counting_iteratorIjlEEPS9_SE_NS0_5tupleIJPjSE_EEENSF_IJSE_SE_EEES9_SG_JZNS1_25segmented_radix_sort_implINS0_14default_configELb0EPKfPfPKlPlN2at6native12_GLOBAL__N_18offset_tEEE10hipError_tPvRmT1_PNSt15iterator_traitsISY_E10value_typeET2_T3_PNSZ_IS14_E10value_typeET4_jRbjT5_S1A_jjP12ihipStream_tbEUljE_EEESV_SW_SX_S14_S18_S1A_T6_T7_T9_mT8_S1C_bDpT10_ENKUlT_T0_E_clISt17integral_constantIbLb0EES1O_IbLb1EEEEDaS1K_S1L_EUlS1K_E_NS1_11comp_targetILNS1_3genE8ELNS1_11target_archE1030ELNS1_3gpuE2ELNS1_3repE0EEENS1_30default_config_static_selectorELNS0_4arch9wavefront6targetE0EEEvSY_, .Lfunc_end1420-_ZN7rocprim17ROCPRIM_400000_NS6detail17trampoline_kernelINS0_13select_configILj256ELj13ELNS0_17block_load_methodE3ELS4_3ELS4_3ELNS0_20block_scan_algorithmE0ELj4294967295EEENS1_25partition_config_selectorILNS1_17partition_subalgoE3EjNS0_10empty_typeEbEEZZNS1_14partition_implILS8_3ELb0ES6_jNS0_17counting_iteratorIjlEEPS9_SE_NS0_5tupleIJPjSE_EEENSF_IJSE_SE_EEES9_SG_JZNS1_25segmented_radix_sort_implINS0_14default_configELb0EPKfPfPKlPlN2at6native12_GLOBAL__N_18offset_tEEE10hipError_tPvRmT1_PNSt15iterator_traitsISY_E10value_typeET2_T3_PNSZ_IS14_E10value_typeET4_jRbjT5_S1A_jjP12ihipStream_tbEUljE_EEESV_SW_SX_S14_S18_S1A_T6_T7_T9_mT8_S1C_bDpT10_ENKUlT_T0_E_clISt17integral_constantIbLb0EES1O_IbLb1EEEEDaS1K_S1L_EUlS1K_E_NS1_11comp_targetILNS1_3genE8ELNS1_11target_archE1030ELNS1_3gpuE2ELNS1_3repE0EEENS1_30default_config_static_selectorELNS0_4arch9wavefront6targetE0EEEvSY_
                                        ; -- End function
	.set _ZN7rocprim17ROCPRIM_400000_NS6detail17trampoline_kernelINS0_13select_configILj256ELj13ELNS0_17block_load_methodE3ELS4_3ELS4_3ELNS0_20block_scan_algorithmE0ELj4294967295EEENS1_25partition_config_selectorILNS1_17partition_subalgoE3EjNS0_10empty_typeEbEEZZNS1_14partition_implILS8_3ELb0ES6_jNS0_17counting_iteratorIjlEEPS9_SE_NS0_5tupleIJPjSE_EEENSF_IJSE_SE_EEES9_SG_JZNS1_25segmented_radix_sort_implINS0_14default_configELb0EPKfPfPKlPlN2at6native12_GLOBAL__N_18offset_tEEE10hipError_tPvRmT1_PNSt15iterator_traitsISY_E10value_typeET2_T3_PNSZ_IS14_E10value_typeET4_jRbjT5_S1A_jjP12ihipStream_tbEUljE_EEESV_SW_SX_S14_S18_S1A_T6_T7_T9_mT8_S1C_bDpT10_ENKUlT_T0_E_clISt17integral_constantIbLb0EES1O_IbLb1EEEEDaS1K_S1L_EUlS1K_E_NS1_11comp_targetILNS1_3genE8ELNS1_11target_archE1030ELNS1_3gpuE2ELNS1_3repE0EEENS1_30default_config_static_selectorELNS0_4arch9wavefront6targetE0EEEvSY_.num_vgpr, 0
	.set _ZN7rocprim17ROCPRIM_400000_NS6detail17trampoline_kernelINS0_13select_configILj256ELj13ELNS0_17block_load_methodE3ELS4_3ELS4_3ELNS0_20block_scan_algorithmE0ELj4294967295EEENS1_25partition_config_selectorILNS1_17partition_subalgoE3EjNS0_10empty_typeEbEEZZNS1_14partition_implILS8_3ELb0ES6_jNS0_17counting_iteratorIjlEEPS9_SE_NS0_5tupleIJPjSE_EEENSF_IJSE_SE_EEES9_SG_JZNS1_25segmented_radix_sort_implINS0_14default_configELb0EPKfPfPKlPlN2at6native12_GLOBAL__N_18offset_tEEE10hipError_tPvRmT1_PNSt15iterator_traitsISY_E10value_typeET2_T3_PNSZ_IS14_E10value_typeET4_jRbjT5_S1A_jjP12ihipStream_tbEUljE_EEESV_SW_SX_S14_S18_S1A_T6_T7_T9_mT8_S1C_bDpT10_ENKUlT_T0_E_clISt17integral_constantIbLb0EES1O_IbLb1EEEEDaS1K_S1L_EUlS1K_E_NS1_11comp_targetILNS1_3genE8ELNS1_11target_archE1030ELNS1_3gpuE2ELNS1_3repE0EEENS1_30default_config_static_selectorELNS0_4arch9wavefront6targetE0EEEvSY_.num_agpr, 0
	.set _ZN7rocprim17ROCPRIM_400000_NS6detail17trampoline_kernelINS0_13select_configILj256ELj13ELNS0_17block_load_methodE3ELS4_3ELS4_3ELNS0_20block_scan_algorithmE0ELj4294967295EEENS1_25partition_config_selectorILNS1_17partition_subalgoE3EjNS0_10empty_typeEbEEZZNS1_14partition_implILS8_3ELb0ES6_jNS0_17counting_iteratorIjlEEPS9_SE_NS0_5tupleIJPjSE_EEENSF_IJSE_SE_EEES9_SG_JZNS1_25segmented_radix_sort_implINS0_14default_configELb0EPKfPfPKlPlN2at6native12_GLOBAL__N_18offset_tEEE10hipError_tPvRmT1_PNSt15iterator_traitsISY_E10value_typeET2_T3_PNSZ_IS14_E10value_typeET4_jRbjT5_S1A_jjP12ihipStream_tbEUljE_EEESV_SW_SX_S14_S18_S1A_T6_T7_T9_mT8_S1C_bDpT10_ENKUlT_T0_E_clISt17integral_constantIbLb0EES1O_IbLb1EEEEDaS1K_S1L_EUlS1K_E_NS1_11comp_targetILNS1_3genE8ELNS1_11target_archE1030ELNS1_3gpuE2ELNS1_3repE0EEENS1_30default_config_static_selectorELNS0_4arch9wavefront6targetE0EEEvSY_.numbered_sgpr, 0
	.set _ZN7rocprim17ROCPRIM_400000_NS6detail17trampoline_kernelINS0_13select_configILj256ELj13ELNS0_17block_load_methodE3ELS4_3ELS4_3ELNS0_20block_scan_algorithmE0ELj4294967295EEENS1_25partition_config_selectorILNS1_17partition_subalgoE3EjNS0_10empty_typeEbEEZZNS1_14partition_implILS8_3ELb0ES6_jNS0_17counting_iteratorIjlEEPS9_SE_NS0_5tupleIJPjSE_EEENSF_IJSE_SE_EEES9_SG_JZNS1_25segmented_radix_sort_implINS0_14default_configELb0EPKfPfPKlPlN2at6native12_GLOBAL__N_18offset_tEEE10hipError_tPvRmT1_PNSt15iterator_traitsISY_E10value_typeET2_T3_PNSZ_IS14_E10value_typeET4_jRbjT5_S1A_jjP12ihipStream_tbEUljE_EEESV_SW_SX_S14_S18_S1A_T6_T7_T9_mT8_S1C_bDpT10_ENKUlT_T0_E_clISt17integral_constantIbLb0EES1O_IbLb1EEEEDaS1K_S1L_EUlS1K_E_NS1_11comp_targetILNS1_3genE8ELNS1_11target_archE1030ELNS1_3gpuE2ELNS1_3repE0EEENS1_30default_config_static_selectorELNS0_4arch9wavefront6targetE0EEEvSY_.num_named_barrier, 0
	.set _ZN7rocprim17ROCPRIM_400000_NS6detail17trampoline_kernelINS0_13select_configILj256ELj13ELNS0_17block_load_methodE3ELS4_3ELS4_3ELNS0_20block_scan_algorithmE0ELj4294967295EEENS1_25partition_config_selectorILNS1_17partition_subalgoE3EjNS0_10empty_typeEbEEZZNS1_14partition_implILS8_3ELb0ES6_jNS0_17counting_iteratorIjlEEPS9_SE_NS0_5tupleIJPjSE_EEENSF_IJSE_SE_EEES9_SG_JZNS1_25segmented_radix_sort_implINS0_14default_configELb0EPKfPfPKlPlN2at6native12_GLOBAL__N_18offset_tEEE10hipError_tPvRmT1_PNSt15iterator_traitsISY_E10value_typeET2_T3_PNSZ_IS14_E10value_typeET4_jRbjT5_S1A_jjP12ihipStream_tbEUljE_EEESV_SW_SX_S14_S18_S1A_T6_T7_T9_mT8_S1C_bDpT10_ENKUlT_T0_E_clISt17integral_constantIbLb0EES1O_IbLb1EEEEDaS1K_S1L_EUlS1K_E_NS1_11comp_targetILNS1_3genE8ELNS1_11target_archE1030ELNS1_3gpuE2ELNS1_3repE0EEENS1_30default_config_static_selectorELNS0_4arch9wavefront6targetE0EEEvSY_.private_seg_size, 0
	.set _ZN7rocprim17ROCPRIM_400000_NS6detail17trampoline_kernelINS0_13select_configILj256ELj13ELNS0_17block_load_methodE3ELS4_3ELS4_3ELNS0_20block_scan_algorithmE0ELj4294967295EEENS1_25partition_config_selectorILNS1_17partition_subalgoE3EjNS0_10empty_typeEbEEZZNS1_14partition_implILS8_3ELb0ES6_jNS0_17counting_iteratorIjlEEPS9_SE_NS0_5tupleIJPjSE_EEENSF_IJSE_SE_EEES9_SG_JZNS1_25segmented_radix_sort_implINS0_14default_configELb0EPKfPfPKlPlN2at6native12_GLOBAL__N_18offset_tEEE10hipError_tPvRmT1_PNSt15iterator_traitsISY_E10value_typeET2_T3_PNSZ_IS14_E10value_typeET4_jRbjT5_S1A_jjP12ihipStream_tbEUljE_EEESV_SW_SX_S14_S18_S1A_T6_T7_T9_mT8_S1C_bDpT10_ENKUlT_T0_E_clISt17integral_constantIbLb0EES1O_IbLb1EEEEDaS1K_S1L_EUlS1K_E_NS1_11comp_targetILNS1_3genE8ELNS1_11target_archE1030ELNS1_3gpuE2ELNS1_3repE0EEENS1_30default_config_static_selectorELNS0_4arch9wavefront6targetE0EEEvSY_.uses_vcc, 0
	.set _ZN7rocprim17ROCPRIM_400000_NS6detail17trampoline_kernelINS0_13select_configILj256ELj13ELNS0_17block_load_methodE3ELS4_3ELS4_3ELNS0_20block_scan_algorithmE0ELj4294967295EEENS1_25partition_config_selectorILNS1_17partition_subalgoE3EjNS0_10empty_typeEbEEZZNS1_14partition_implILS8_3ELb0ES6_jNS0_17counting_iteratorIjlEEPS9_SE_NS0_5tupleIJPjSE_EEENSF_IJSE_SE_EEES9_SG_JZNS1_25segmented_radix_sort_implINS0_14default_configELb0EPKfPfPKlPlN2at6native12_GLOBAL__N_18offset_tEEE10hipError_tPvRmT1_PNSt15iterator_traitsISY_E10value_typeET2_T3_PNSZ_IS14_E10value_typeET4_jRbjT5_S1A_jjP12ihipStream_tbEUljE_EEESV_SW_SX_S14_S18_S1A_T6_T7_T9_mT8_S1C_bDpT10_ENKUlT_T0_E_clISt17integral_constantIbLb0EES1O_IbLb1EEEEDaS1K_S1L_EUlS1K_E_NS1_11comp_targetILNS1_3genE8ELNS1_11target_archE1030ELNS1_3gpuE2ELNS1_3repE0EEENS1_30default_config_static_selectorELNS0_4arch9wavefront6targetE0EEEvSY_.uses_flat_scratch, 0
	.set _ZN7rocprim17ROCPRIM_400000_NS6detail17trampoline_kernelINS0_13select_configILj256ELj13ELNS0_17block_load_methodE3ELS4_3ELS4_3ELNS0_20block_scan_algorithmE0ELj4294967295EEENS1_25partition_config_selectorILNS1_17partition_subalgoE3EjNS0_10empty_typeEbEEZZNS1_14partition_implILS8_3ELb0ES6_jNS0_17counting_iteratorIjlEEPS9_SE_NS0_5tupleIJPjSE_EEENSF_IJSE_SE_EEES9_SG_JZNS1_25segmented_radix_sort_implINS0_14default_configELb0EPKfPfPKlPlN2at6native12_GLOBAL__N_18offset_tEEE10hipError_tPvRmT1_PNSt15iterator_traitsISY_E10value_typeET2_T3_PNSZ_IS14_E10value_typeET4_jRbjT5_S1A_jjP12ihipStream_tbEUljE_EEESV_SW_SX_S14_S18_S1A_T6_T7_T9_mT8_S1C_bDpT10_ENKUlT_T0_E_clISt17integral_constantIbLb0EES1O_IbLb1EEEEDaS1K_S1L_EUlS1K_E_NS1_11comp_targetILNS1_3genE8ELNS1_11target_archE1030ELNS1_3gpuE2ELNS1_3repE0EEENS1_30default_config_static_selectorELNS0_4arch9wavefront6targetE0EEEvSY_.has_dyn_sized_stack, 0
	.set _ZN7rocprim17ROCPRIM_400000_NS6detail17trampoline_kernelINS0_13select_configILj256ELj13ELNS0_17block_load_methodE3ELS4_3ELS4_3ELNS0_20block_scan_algorithmE0ELj4294967295EEENS1_25partition_config_selectorILNS1_17partition_subalgoE3EjNS0_10empty_typeEbEEZZNS1_14partition_implILS8_3ELb0ES6_jNS0_17counting_iteratorIjlEEPS9_SE_NS0_5tupleIJPjSE_EEENSF_IJSE_SE_EEES9_SG_JZNS1_25segmented_radix_sort_implINS0_14default_configELb0EPKfPfPKlPlN2at6native12_GLOBAL__N_18offset_tEEE10hipError_tPvRmT1_PNSt15iterator_traitsISY_E10value_typeET2_T3_PNSZ_IS14_E10value_typeET4_jRbjT5_S1A_jjP12ihipStream_tbEUljE_EEESV_SW_SX_S14_S18_S1A_T6_T7_T9_mT8_S1C_bDpT10_ENKUlT_T0_E_clISt17integral_constantIbLb0EES1O_IbLb1EEEEDaS1K_S1L_EUlS1K_E_NS1_11comp_targetILNS1_3genE8ELNS1_11target_archE1030ELNS1_3gpuE2ELNS1_3repE0EEENS1_30default_config_static_selectorELNS0_4arch9wavefront6targetE0EEEvSY_.has_recursion, 0
	.set _ZN7rocprim17ROCPRIM_400000_NS6detail17trampoline_kernelINS0_13select_configILj256ELj13ELNS0_17block_load_methodE3ELS4_3ELS4_3ELNS0_20block_scan_algorithmE0ELj4294967295EEENS1_25partition_config_selectorILNS1_17partition_subalgoE3EjNS0_10empty_typeEbEEZZNS1_14partition_implILS8_3ELb0ES6_jNS0_17counting_iteratorIjlEEPS9_SE_NS0_5tupleIJPjSE_EEENSF_IJSE_SE_EEES9_SG_JZNS1_25segmented_radix_sort_implINS0_14default_configELb0EPKfPfPKlPlN2at6native12_GLOBAL__N_18offset_tEEE10hipError_tPvRmT1_PNSt15iterator_traitsISY_E10value_typeET2_T3_PNSZ_IS14_E10value_typeET4_jRbjT5_S1A_jjP12ihipStream_tbEUljE_EEESV_SW_SX_S14_S18_S1A_T6_T7_T9_mT8_S1C_bDpT10_ENKUlT_T0_E_clISt17integral_constantIbLb0EES1O_IbLb1EEEEDaS1K_S1L_EUlS1K_E_NS1_11comp_targetILNS1_3genE8ELNS1_11target_archE1030ELNS1_3gpuE2ELNS1_3repE0EEENS1_30default_config_static_selectorELNS0_4arch9wavefront6targetE0EEEvSY_.has_indirect_call, 0
	.section	.AMDGPU.csdata,"",@progbits
; Kernel info:
; codeLenInByte = 0
; TotalNumSgprs: 0
; NumVgprs: 0
; ScratchSize: 0
; MemoryBound: 0
; FloatMode: 240
; IeeeMode: 1
; LDSByteSize: 0 bytes/workgroup (compile time only)
; SGPRBlocks: 0
; VGPRBlocks: 0
; NumSGPRsForWavesPerEU: 1
; NumVGPRsForWavesPerEU: 1
; NamedBarCnt: 0
; Occupancy: 16
; WaveLimiterHint : 0
; COMPUTE_PGM_RSRC2:SCRATCH_EN: 0
; COMPUTE_PGM_RSRC2:USER_SGPR: 2
; COMPUTE_PGM_RSRC2:TRAP_HANDLER: 0
; COMPUTE_PGM_RSRC2:TGID_X_EN: 1
; COMPUTE_PGM_RSRC2:TGID_Y_EN: 0
; COMPUTE_PGM_RSRC2:TGID_Z_EN: 0
; COMPUTE_PGM_RSRC2:TIDIG_COMP_CNT: 0
	.text
	.p2align	2                               ; -- Begin function _ZN7rocprim17ROCPRIM_400000_NS6detail40segmented_radix_sort_single_block_helperIflLj256ELj17ELb0EE4sortIPKfPfPKlPlEEbT_T0_T1_T2_jjjjRNS3_12storage_typeE
	.type	_ZN7rocprim17ROCPRIM_400000_NS6detail40segmented_radix_sort_single_block_helperIflLj256ELj17ELb0EE4sortIPKfPfPKlPlEEbT_T0_T1_T2_jjjjRNS3_12storage_typeE,@function
_ZN7rocprim17ROCPRIM_400000_NS6detail40segmented_radix_sort_single_block_helperIflLj256ELj17ELb0EE4sortIPKfPfPKlPlEEbT_T0_T1_T2_jjjjRNS3_12storage_typeE: ; @_ZN7rocprim17ROCPRIM_400000_NS6detail40segmented_radix_sort_single_block_helperIflLj256ELj17ELb0EE4sortIPKfPfPKlPlEEbT_T0_T1_T2_jjjjRNS3_12storage_typeE
; %bb.0:
	s_wait_loadcnt_dscnt 0x0
	s_wait_kmcnt 0x0
	s_set_vgpr_msb 64                       ;  msbs: dst=1 src0=0 src1=0 src2=0
	v_sub_nc_u32_e32 v10 /*v266*/, v9, v8
	s_mov_b32 s21, exec_lo
	s_set_vgpr_msb 4                        ;  msbs: dst=0 src0=0 src1=1 src2=0
	s_delay_alu instid0(VALU_DEP_1)
	v_cmpx_gt_u32_e32 0x1101, v10 /*v266*/
	s_set_vgpr_msb 0                        ;  msbs: dst=0 src0=0 src1=0 src2=0
	s_cbranch_execz .LBB1421_382
; %bb.1:
	v_bfe_u32 v9, v31, 10, 10
	v_bfe_u32 v14, v31, 20, 10
	v_and_b32_e32 v22, 0x3ff, v31
	v_mbcnt_lo_u32_b32 v68, -1, 0
	s_getreg_b32 s22, hwreg(HW_REG_IB_STS2, 6, 4)
	s_mov_b32 s0, exec_lo
	s_set_vgpr_msb 4                        ;  msbs: dst=0 src0=0 src1=1 src2=0
	v_cmpx_lt_u32_e32 0x800, v10 /*v266*/
	s_xor_b32 s20, exec_lo, s0
	s_set_vgpr_msb 0                        ;  msbs: dst=0 src0=0 src1=0 src2=0
	s_cbranch_execz .LBB1421_151
; %bb.2:
	s_load_b64 s[0:1], s[8:9], 0x0
	s_bfe_u32 s3, ttmp6, 0x4000c
	s_bfe_u32 s5, ttmp6, 0x40010
	s_and_b32 s4, ttmp7, 0xffff
	s_add_co_i32 s3, s3, 1
	s_add_co_i32 s5, s5, 1
	s_and_b32 s2, ttmp6, 15
	s_bfe_u32 s6, ttmp6, 0x40004
	s_mul_i32 s3, ttmp9, s3
	s_mul_i32 s5, s4, s5
	s_add_co_i32 s2, s2, s3
	s_add_co_i32 s6, s6, s5
	s_cmp_eq_u32 s22, 0
	s_mov_b32 s3, 0
	s_cselect_b32 s2, ttmp9, s2
	s_cselect_b32 s4, s4, s6
	s_wait_kmcnt 0x0
	s_cmp_lt_u32 s2, s0
	s_cselect_b32 s2, 12, 18
	s_cmp_lt_u32 s4, s1
	s_mov_b32 s1, s3
	s_cselect_b32 s0, 14, 20
	s_delay_alu instid0(SALU_CYCLE_1)
	s_add_nc_u64 s[0:1], s[8:9], s[0:1]
	s_load_u16 s4, s[0:1], 0x0
	s_wait_xcnt 0x0
	s_add_nc_u64 s[0:1], s[8:9], s[2:3]
	s_load_u16 s0, s[0:1], 0x0
	s_wait_kmcnt 0x0
	v_mad_u32_u24 v9, v14, s4, v9
	v_lshlrev_b32_e32 v14, 2, v68
	s_delay_alu instid0(VALU_DEP_2) | instskip(SKIP_1) | instid1(VALU_DEP_1)
	v_mad_u32 v38, v9, s0, v22
	v_mov_b32_e32 v9, 0
	v_lshl_add_u64 v[16:17], v[8:9], 2, v[0:1]
	v_dual_mov_b32 v15, v9 :: v_dual_mov_b32 v1, v9
	s_delay_alu instid0(VALU_DEP_4) | instskip(NEXT) | instid1(VALU_DEP_2)
	v_and_b32_e32 v18, 0xffffffe0, v38
	v_add_nc_u64_e32 v[14:15], v[16:17], v[14:15]
	v_bfrev_b32_e32 v16, -2
	v_bfrev_b32_e32 v17, -2
	s_delay_alu instid0(VALU_DEP_4) | instskip(NEXT) | instid1(VALU_DEP_1)
	v_lshl_add_u32 v0, v18, 4, v18
	v_or_b32_e32 v33, v0, v68
	v_lshl_add_u64 v[14:15], v[0:1], 2, v[14:15]
	s_set_vgpr_msb 4                        ;  msbs: dst=0 src0=0 src1=1 src2=0
	s_delay_alu instid0(VALU_DEP_2)
	v_cmp_lt_u32_e32 vcc_lo, v33, v10 /*v266*/
	s_and_saveexec_b32 s0, vcc_lo
	s_set_vgpr_msb 0                        ;  msbs: dst=0 src0=0 src1=0 src2=0
	s_cbranch_execz .LBB1421_4
; %bb.3:
	flat_load_b32 v17, v[14:15]
.LBB1421_4:
	s_wait_xcnt 0x0
	s_or_b32 exec_lo, exec_lo, s0
	v_add_nc_u32_e32 v18, 32, v33
	s_set_vgpr_msb 4                        ;  msbs: dst=0 src0=0 src1=1 src2=0
	s_delay_alu instid0(VALU_DEP_1)
	v_cmp_lt_u32_e64 s0, v18, v10 /*v266*/
	s_and_saveexec_b32 s1, s0
	s_set_vgpr_msb 0                        ;  msbs: dst=0 src0=0 src1=0 src2=0
	s_cbranch_execz .LBB1421_6
; %bb.5:
	flat_load_b32 v16, v[14:15] offset:128
.LBB1421_6:
	s_wait_xcnt 0x0
	s_or_b32 exec_lo, exec_lo, s1
	v_add_nc_u32_e32 v19, 64, v33
	v_bfrev_b32_e32 v18, -2
	s_set_vgpr_msb 4                        ;  msbs: dst=0 src0=0 src1=1 src2=0
	s_delay_alu instid0(VALU_DEP_2)
	v_cmp_lt_u32_e64 s1, v19, v10 /*v266*/
	v_bfrev_b32_e32 v19, -2
	s_and_saveexec_b32 s2, s1
	s_set_vgpr_msb 0                        ;  msbs: dst=0 src0=0 src1=0 src2=0
	s_cbranch_execz .LBB1421_8
; %bb.7:
	flat_load_b32 v19, v[14:15] offset:256
.LBB1421_8:
	s_wait_xcnt 0x0
	s_or_b32 exec_lo, exec_lo, s2
	v_add_nc_u32_e32 v20, 0x60, v33
	s_set_vgpr_msb 4                        ;  msbs: dst=0 src0=0 src1=1 src2=0
	s_delay_alu instid0(VALU_DEP_1)
	v_cmp_lt_u32_e64 s2, v20, v10 /*v266*/
	s_and_saveexec_b32 s3, s2
	s_set_vgpr_msb 0                        ;  msbs: dst=0 src0=0 src1=0 src2=0
	s_cbranch_execz .LBB1421_10
; %bb.9:
	flat_load_b32 v18, v[14:15] offset:384
.LBB1421_10:
	s_wait_xcnt 0x0
	s_or_b32 exec_lo, exec_lo, s3
	v_add_nc_u32_e32 v21, 0x80, v33
	v_bfrev_b32_e32 v20, -2
	s_set_vgpr_msb 4                        ;  msbs: dst=0 src0=0 src1=1 src2=0
	s_delay_alu instid0(VALU_DEP_2)
	v_cmp_lt_u32_e64 s3, v21, v10 /*v266*/
	v_bfrev_b32_e32 v21, -2
	s_and_saveexec_b32 s4, s3
	s_set_vgpr_msb 0                        ;  msbs: dst=0 src0=0 src1=0 src2=0
	s_cbranch_execz .LBB1421_12
; %bb.11:
	flat_load_b32 v21, v[14:15] offset:512
.LBB1421_12:
	;; [unrolled: 26-line block ×7, first 2 shown]
	s_wait_xcnt 0x0
	s_or_b32 exec_lo, exec_lo, s16
	v_add_nc_u32_e32 v34, 0x1e0, v33
	s_set_vgpr_msb 4                        ;  msbs: dst=0 src0=0 src1=1 src2=0
	s_delay_alu instid0(VALU_DEP_1)
	v_cmp_lt_u32_e64 s16, v34, v10 /*v266*/
	s_and_saveexec_b32 s17, s16
	s_set_vgpr_msb 0                        ;  msbs: dst=0 src0=0 src1=0 src2=0
	s_cbranch_execz .LBB1421_34
; %bb.33:
	flat_load_b32 v31, v[14:15] offset:1920
.LBB1421_34:
	s_wait_xcnt 0x0
	s_or_b32 exec_lo, exec_lo, s17
	v_add_nc_u32_e32 v33, 0x200, v33
	s_set_vgpr_msb 4                        ;  msbs: dst=0 src0=0 src1=1 src2=0
	s_delay_alu instid0(VALU_DEP_1)
	v_cmp_lt_u32_e64 s17, v33, v10 /*v266*/
	v_bfrev_b32_e32 v33, -2
	s_and_saveexec_b32 s18, s17
	s_set_vgpr_msb 0                        ;  msbs: dst=0 src0=0 src1=0 src2=0
	s_cbranch_execz .LBB1421_36
; %bb.35:
	flat_load_b32 v33, v[14:15] offset:2048
.LBB1421_36:
	s_wait_xcnt 0x0
	s_or_b32 exec_lo, exec_lo, s18
	v_lshl_add_u64 v[4:5], v[8:9], 3, v[4:5]
	v_dual_mov_b32 v15, 0 :: v_dual_lshlrev_b32 v14, 3, v68
                                        ; implicit-def: $vgpr70_vgpr71
	s_delay_alu instid0(VALU_DEP_1) | instskip(NEXT) | instid1(VALU_DEP_1)
	v_add_nc_u64_e32 v[4:5], v[4:5], v[14:15]
	v_lshl_add_u64 v[0:1], v[0:1], 3, v[4:5]
	s_and_saveexec_b32 s18, vcc_lo
	s_cbranch_execnz .LBB1421_204
; %bb.37:
	s_or_b32 exec_lo, exec_lo, s18
                                        ; implicit-def: $vgpr80_vgpr81
	s_and_saveexec_b32 s18, s0
	s_cbranch_execnz .LBB1421_205
.LBB1421_38:
	s_or_b32 exec_lo, exec_lo, s18
                                        ; implicit-def: $vgpr82_vgpr83
	s_and_saveexec_b32 s0, s1
	s_cbranch_execnz .LBB1421_206
.LBB1421_39:
	s_or_b32 exec_lo, exec_lo, s0
                                        ; implicit-def: $vgpr84_vgpr85
	s_and_saveexec_b32 s0, s2
	s_cbranch_execnz .LBB1421_207
.LBB1421_40:
	s_or_b32 exec_lo, exec_lo, s0
                                        ; implicit-def: $vgpr86_vgpr87
	s_and_saveexec_b32 s0, s3
	s_cbranch_execnz .LBB1421_208
.LBB1421_41:
	s_or_b32 exec_lo, exec_lo, s0
                                        ; implicit-def: $vgpr96_vgpr97
	s_and_saveexec_b32 s0, s4
	s_cbranch_execnz .LBB1421_209
.LBB1421_42:
	s_or_b32 exec_lo, exec_lo, s0
                                        ; implicit-def: $vgpr98_vgpr99
	s_and_saveexec_b32 s0, s5
	s_cbranch_execnz .LBB1421_210
.LBB1421_43:
	s_or_b32 exec_lo, exec_lo, s0
                                        ; implicit-def: $vgpr100_vgpr101
	s_and_saveexec_b32 s0, s6
	s_cbranch_execnz .LBB1421_211
.LBB1421_44:
	s_or_b32 exec_lo, exec_lo, s0
                                        ; implicit-def: $vgpr102_vgpr103
	s_and_saveexec_b32 s0, s7
	s_cbranch_execnz .LBB1421_212
.LBB1421_45:
	s_or_b32 exec_lo, exec_lo, s0
                                        ; implicit-def: $vgpr112_vgpr113
	s_and_saveexec_b32 s0, s10
	s_cbranch_execnz .LBB1421_213
.LBB1421_46:
	s_or_b32 exec_lo, exec_lo, s0
                                        ; implicit-def: $vgpr114_vgpr115
	s_and_saveexec_b32 s0, s11
	s_cbranch_execnz .LBB1421_214
.LBB1421_47:
	s_or_b32 exec_lo, exec_lo, s0
                                        ; implicit-def: $vgpr118_vgpr119
	s_and_saveexec_b32 s0, s12
	s_cbranch_execnz .LBB1421_215
.LBB1421_48:
	s_or_b32 exec_lo, exec_lo, s0
                                        ; implicit-def: $vgpr130_vgpr131
	s_and_saveexec_b32 s0, s13
	s_cbranch_execnz .LBB1421_216
.LBB1421_49:
	s_or_b32 exec_lo, exec_lo, s0
                                        ; implicit-def: $vgpr116_vgpr117
	s_and_saveexec_b32 s0, s14
	s_cbranch_execnz .LBB1421_217
.LBB1421_50:
	s_or_b32 exec_lo, exec_lo, s0
                                        ; implicit-def: $vgpr128_vgpr129
	s_and_saveexec_b32 s0, s15
	s_cbranch_execnz .LBB1421_218
.LBB1421_51:
	s_or_b32 exec_lo, exec_lo, s0
                                        ; implicit-def: $vgpr132_vgpr133
	s_and_saveexec_b32 s0, s16
	s_cbranch_execnz .LBB1421_219
.LBB1421_52:
	s_or_b32 exec_lo, exec_lo, s0
                                        ; implicit-def: $vgpr182_vgpr183
	s_and_saveexec_b32 s0, s17
	s_cbranch_execz .LBB1421_54
.LBB1421_53:
	flat_load_b64 v[182:183], v[0:1] offset:4096
.LBB1421_54:
	s_wait_xcnt 0x0
	s_or_b32 exec_lo, exec_lo, s0
	s_wait_loadcnt_dscnt 0x0
	v_cmp_lt_i32_e32 vcc_lo, -1, v17
	s_get_pc_i64 s[0:1]
	s_add_nc_u64 s[0:1], s[0:1], _ZN7rocprim17ROCPRIM_400000_NS16block_radix_sortIfLj256ELj17ElLj1ELj1ELj8ELNS0_26block_radix_rank_algorithmE2ELNS0_18block_padding_hintE2ELNS0_4arch9wavefront6targetE0EE19radix_bits_per_passE@rel64+4
	v_and_b32_e32 v15, 7, v68
	s_load_b32 s23, s[0:1], 0x0
	v_mov_b64_e32 v[52:53], 0
	v_cndmask_b32_e64 v0, -1, 0x80000000, vcc_lo
	v_cmp_lt_i32_e32 vcc_lo, -1, v16
	v_cmp_lt_u32_e64 s7, 31, v22
	v_cmp_eq_u32_e64 s10, 0, v22
	v_cmp_eq_u32_e64 s11, 0, v15
	v_xor_b32_e32 v209, v0, v17
	v_cndmask_b32_e64 v1, -1, 0x80000000, vcc_lo
	v_cmp_lt_i32_e32 vcc_lo, -1, v19
	v_cmp_lt_u32_e64 s12, 1, v15
	v_cmp_lt_u32_e64 s13, 3, v15
	s_set_vgpr_msb 64                       ;  msbs: dst=1 src0=0 src1=0 src2=0
	v_sub_nc_u32_e32 v46 /*v302*/, v11, v10
	s_set_vgpr_msb 0                        ;  msbs: dst=0 src0=0 src1=0 src2=0
	v_xor_b32_e32 v163, v1, v16
	v_cndmask_b32_e64 v4, -1, 0x80000000, vcc_lo
	v_cmp_lt_i32_e32 vcc_lo, -1, v18
	s_mov_b32 s24, 0
	s_wait_storecnt 0x0
	s_barrier_signal -1
	v_xor_b32_e32 v165, v4, v19
	v_cndmask_b32_e64 v5, -1, 0x80000000, vcc_lo
	v_cmp_lt_i32_e32 vcc_lo, -1, v21
	s_barrier_wait -1
	s_delay_alu instid0(VALU_DEP_2) | instskip(SKIP_2) | instid1(VALU_DEP_2)
	v_xor_b32_e32 v167, v5, v18
	v_cndmask_b32_e64 v0, -1, 0x80000000, vcc_lo
	v_cmp_lt_i32_e32 vcc_lo, -1, v20
	v_xor_b32_e32 v197, v0, v21
	v_cndmask_b32_e64 v1, -1, 0x80000000, vcc_lo
	v_cmp_lt_i32_e32 vcc_lo, -1, v24
	s_delay_alu instid0(VALU_DEP_2) | instskip(SKIP_2) | instid1(VALU_DEP_2)
	v_xor_b32_e32 v181, v1, v20
	v_cndmask_b32_e64 v4, -1, 0x80000000, vcc_lo
	v_cmp_lt_i32_e32 vcc_lo, -1, v23
	v_xor_b32_e32 v193, v4, v24
	v_cndmask_b32_e64 v5, -1, 0x80000000, vcc_lo
	v_cmp_lt_i32_e32 vcc_lo, -1, v26
	;; [unrolled: 7-line block ×5, first 2 shown]
	v_lshl_add_u32 v5, v22, 5, v12
	s_delay_alu instid0(VALU_DEP_3) | instskip(SKIP_3) | instid1(VALU_DEP_3)
	v_xor_b32_e32 v145, v14, v29
	v_cndmask_b32_e64 v0, -1, 0x80000000, vcc_lo
	v_cmp_lt_i32_e32 vcc_lo, -1, v31
	v_sub_co_u32 v14, s2, v68, 1
	v_dual_add_nc_u32 v23, 32, v5 :: v_dual_bitop2_b32 v149, v0, v32 bitop3:0x14
	v_cndmask_b32_e64 v1, -1, 0x80000000, vcc_lo
	v_cmp_lt_i32_e32 vcc_lo, -1, v33
	v_and_b32_e32 v0, 0x3e0, v22
	v_cmp_gt_i32_e64 s6, 0, v14
	s_delay_alu instid0(VALU_DEP_4)
	v_dual_add_nc_u32 v39, 36, v5 :: v_dual_bitop2_b32 v161, v1, v31 bitop3:0x14
	v_cndmask_b32_e64 v4, -1, 0x80000000, vcc_lo
	v_and_b32_e32 v1, 15, v68
	s_set_vgpr_msb 64                       ;  msbs: dst=1 src0=0 src1=0 src2=0
	v_dual_add_nc_u32 v11 /*v267*/, 40, v5 :: v_dual_add_nc_u32 v12 /*v268*/, 44, v5
	v_dual_add_nc_u32 v13 /*v269*/, 48, v5 :: v_dual_add_nc_u32 v14 /*v270*/, 52, v5
	s_set_vgpr_msb 0                        ;  msbs: dst=0 src0=0 src1=0 src2=0
	v_xor_b32_e32 v151, v4, v33
	v_min_u32_e32 v4, 0xe0, v0
	v_mul_u32_u24_e32 v0, 17, v0
	v_cmp_eq_u32_e32 vcc_lo, 0, v1
	s_wait_xcnt 0x0
	v_cmp_lt_u32_e64 s0, 1, v1
	v_cmp_lt_u32_e64 s1, 3, v1
	v_or_b32_e32 v4, 31, v4
	v_or_b32_e32 v0, v68, v0
	v_cmp_lt_u32_e64 s3, 7, v1
	v_cndmask_b32_e64 v1, v14, v68, s6
	s_set_vgpr_msb 64                       ;  msbs: dst=1 src0=0 src1=0 src2=0
	v_dual_add_nc_u32 v15 /*v271*/, 56, v5 :: v_dual_add_nc_u32 v16 /*v272*/, 60, v5
	v_cmp_eq_u32_e64 s5, v22, v4
	s_set_vgpr_msb 0                        ;  msbs: dst=0 src0=0 src1=0 src2=0
	v_dual_lshrrev_b32 v4, 3, v22 :: v_dual_lshlrev_b32 v14, 2, v0
	s_set_vgpr_msb 64                       ;  msbs: dst=1 src0=0 src1=0 src2=0
	v_dual_lshrrev_b32 v17 /*v273*/, 5, v38 :: v_dual_lshlrev_b32 v18 /*v274*/, 2, v1
	s_set_vgpr_msb 0                        ;  msbs: dst=0 src0=0 src1=0 src2=0
	v_and_b32_e32 v5, 16, v68
	v_and_b32_e32 v4, 0x7c, v4
	s_set_vgpr_msb 64                       ;  msbs: dst=1 src0=0 src1=0 src2=0
	v_add_nc_u32_e32 v20 /*v276*/, v12, v14
	s_set_vgpr_msb 0                        ;  msbs: dst=0 src0=0 src1=0 src2=0
	v_dual_mov_b32 v1, 0 :: v_dual_lshlrev_b32 v0, 2, v22
	v_cmp_eq_u32_e64 s4, 0, v5
	s_set_vgpr_msb 64                       ;  msbs: dst=1 src0=0 src1=0 src2=0
	v_add_nc_u32_e32 v19 /*v275*/, v12, v4
	s_set_vgpr_msb 0x41                     ;  msbs: dst=1 src0=1 src1=0 src2=0
	v_add_nc_u32_e32 v25 /*v281*/, v20 /*v276*/, v14
	v_cmp_gt_u32_e64 s6, 8, v22
	s_set_vgpr_msb 0                        ;  msbs: dst=0 src0=0 src1=0 src2=0
	v_add_nc_u64_e32 v[4:5], v[12:13], v[0:1]
	s_set_vgpr_msb 4                        ;  msbs: dst=0 src0=0 src1=1 src2=0
	v_add_nc_u32_e32 v5, 0x400, v20 /*v276*/
	s_set_vgpr_msb 0x44                     ;  msbs: dst=1 src0=0 src1=1 src2=0
	v_add_nc_u32_e32 v21 /*v277*/, 0x480, v20 /*v276*/
	v_add_nc_u32_e32 v22 /*v278*/, 0x500, v20 /*v276*/
	;; [unrolled: 1-line block ×24, first 2 shown]
	s_set_vgpr_msb 0                        ;  msbs: dst=0 src0=0 src1=0 src2=0
	s_branch .LBB1421_56
.LBB1421_55:                            ;   in Loop: Header=BB1421_56 Depth=1
	s_or_b32 exec_lo, exec_lo, s15
	s_delay_alu instid0(SALU_CYCLE_1) | instskip(NEXT) | instid1(SALU_CYCLE_1)
	s_and_b32 s14, exec_lo, s16
	s_or_b32 s24, s14, s24
	s_delay_alu instid0(SALU_CYCLE_1)
	s_and_not1_b32 exec_lo, exec_lo, s24
	s_cbranch_execz .LBB1421_98
.LBB1421_56:                            ; =>This Inner Loop Header: Depth=1
	s_set_vgpr_msb 64                       ;  msbs: dst=1 src0=0 src1=0 src2=0
	v_dual_mov_b32 v47 /*v303*/, v209 :: v_dual_mov_b32 v50 /*v306*/, v163
	s_wait_kmcnt 0x0
	s_set_vgpr_msb 4                        ;  msbs: dst=0 src0=0 src1=1 src2=0
	v_min_u32_e32 v0, s23, v46 /*v302*/
	v_mov_b64_e32 v[48:49], v[80:81]
	v_mov_b64_e32 v[50:51], v[70:71]
	v_cmp_ne_u32_e64 s14, 0x7fffffff, v47 /*v303*/
	v_mov_b64_e32 v[36:37], v[82:83]
	v_lshlrev_b32_e64 v80, v0, -1
	v_mov_b64_e32 v[34:35], v[84:85]
	v_mov_b64_e32 v[32:33], v[86:87]
	v_cndmask_b32_e64 v68, 0x80000000, v47 /*v303*/, s14
	v_mov_b64_e32 v[30:31], v[96:97]
	v_mov_b64_e32 v[28:29], v[98:99]
	;; [unrolled: 1-line block ×4, first 2 shown]
	s_set_vgpr_msb 0                        ;  msbs: dst=0 src0=0 src1=0 src2=0
	v_lshrrev_b32_e32 v0, v10, v68
	v_mov_b64_e32 v[16:17], v[112:113]
	v_mov_b64_e32 v[26:27], v[114:115]
	;; [unrolled: 1-line block ×4, first 2 shown]
	v_bitop3_b32 v70, v0, v80, v0 bitop3:0x30
	v_mov_b64_e32 v[66:67], v[116:117]
	v_mov_b64_e32 v[64:65], v[128:129]
	;; [unrolled: 1-line block ×4, first 2 shown]
	v_lshlrev_b32_e32 v71, 30, v70
	v_bitop3_b32 v0, v0, 1, v80 bitop3:0x40
	v_lshlrev_b32_e32 v85, 25, v70
	s_set_vgpr_msb 64                       ;  msbs: dst=1 src0=0 src1=0 src2=0
	v_dual_mov_b32 v49 /*v305*/, v165 :: v_dual_mov_b32 v48 /*v304*/, v167
	s_set_vgpr_msb 0                        ;  msbs: dst=0 src0=0 src1=0 src2=0
	v_not_b32_e32 v82, v71
	v_add_co_u32 v0, s14, v0, -1
	s_delay_alu instid0(VALU_DEP_1)
	v_cndmask_b32_e64 v81, 0, 1, s14
	v_cmp_gt_i32_e64 s15, 0, v71
	s_set_vgpr_msb 64                       ;  msbs: dst=1 src0=0 src1=0 src2=0
	v_dual_mov_b32 v51 /*v307*/, v197 :: v_dual_mov_b32 v53 /*v309*/, v181
	v_dual_mov_b32 v52 /*v308*/, v193 :: v_dual_mov_b32 v55 /*v311*/, v177
	v_cmp_ne_u32_e64 s14, 0, v81
	s_set_vgpr_msb 0                        ;  msbs: dst=0 src0=0 src1=0 src2=0
	v_lshlrev_b32_e32 v81, 29, v70
	v_ashrrev_i32_e32 v71, 31, v82
	v_lshlrev_b32_e32 v82, 28, v70
	s_set_vgpr_msb 64                       ;  msbs: dst=1 src0=0 src1=0 src2=0
	v_dual_mov_b32 v54 /*v310*/, v179 :: v_dual_mov_b32 v56 /*v312*/, v199
	s_set_vgpr_msb 0                        ;  msbs: dst=0 src0=0 src1=0 src2=0
	v_not_b32_e32 v83, v81
	v_xor_b32_e32 v0, s14, v0
	v_xor_b32_e32 v71, s15, v71
	v_not_b32_e32 v84, v82
	v_cmp_gt_i32_e64 s14, 0, v81
	v_dual_ashrrev_i32 v81, 31, v83 :: v_dual_lshlrev_b32 v83, 27, v70
	v_cmp_gt_i32_e64 s15, 0, v82
	s_delay_alu instid0(VALU_DEP_4) | instskip(SKIP_1) | instid1(VALU_DEP_4)
	v_ashrrev_i32_e32 v82, 31, v84
	v_bitop3_b32 v0, v0, v71, exec_lo bitop3:0x80
	v_dual_lshlrev_b32 v71, 26, v70 :: v_dual_bitop2_b32 v81, s14, v81 bitop3:0x14
	v_not_b32_e32 v84, v83
	s_delay_alu instid0(VALU_DEP_4) | instskip(SKIP_1) | instid1(VALU_DEP_4)
	v_xor_b32_e32 v82, s15, v82
	v_cmp_gt_i32_e64 s14, 0, v83
	v_not_b32_e32 v83, v71
	v_cmp_gt_i32_e64 s15, 0, v71
	v_dual_ashrrev_i32 v84, 31, v84 :: v_dual_lshlrev_b32 v71, 24, v70
	v_bitop3_b32 v0, v0, v82, v81 bitop3:0x80
	s_delay_alu instid0(VALU_DEP_4) | instskip(SKIP_1) | instid1(VALU_DEP_4)
	v_ashrrev_i32_e32 v83, 31, v83
	v_not_b32_e32 v81, v85
	v_xor_b32_e32 v82, s14, v84
	v_not_b32_e32 v84, v71
	v_cmp_gt_i32_e64 s14, 0, v85
	s_delay_alu instid0(VALU_DEP_4) | instskip(SKIP_1) | instid1(VALU_DEP_4)
	v_dual_ashrrev_i32 v81, 31, v81 :: v_dual_bitop2_b32 v83, s15, v83 bitop3:0x14
	v_cmp_gt_i32_e64 s15, 0, v71
	v_ashrrev_i32_e32 v71, 31, v84
	s_set_vgpr_msb 64                       ;  msbs: dst=1 src0=0 src1=0 src2=0
	v_dual_mov_b32 v57 /*v313*/, v195 :: v_dual_mov_b32 v59 /*v315*/, v135
	s_set_vgpr_msb 0                        ;  msbs: dst=0 src0=0 src1=0 src2=0
	v_bitop3_b32 v82, v0, v83, v82 bitop3:0x80
	v_xor_b32_e32 v81, s14, v81
	v_xor_b32_e32 v71, s15, v71
	s_set_vgpr_msb 16                       ;  msbs: dst=0 src0=0 src1=0 src2=1
	v_lshl_add_u32 v0, v70, 3, v17 /*v273*/
	s_set_vgpr_msb 64                       ;  msbs: dst=1 src0=0 src1=0 src2=0
	v_dual_mov_b32 v58 /*v314*/, v147 :: v_dual_mov_b32 v62 /*v318*/, v145
	v_dual_mov_b32 v61 /*v317*/, v149 :: v_dual_mov_b32 v60 /*v316*/, v161
	s_set_vgpr_msb 0                        ;  msbs: dst=0 src0=0 src1=0 src2=0
	v_bitop3_b32 v81, v82, v71, v81 bitop3:0x80
	v_lshl_add_u64 v[70:71], v[0:1], 2, v[12:13]
	s_set_vgpr_msb 64                       ;  msbs: dst=1 src0=0 src1=0 src2=0
	v_mov_b32_e32 v63 /*v319*/, v151
	ds_store_b64 v23, v[52:53]
	s_set_vgpr_msb 1                        ;  msbs: dst=0 src0=1 src1=0 src2=0
	ds_store_b64 v11 /*v267*/, v[52:53]
	ds_store_b64 v13 /*v269*/, v[52:53]
	;; [unrolled: 1-line block ×3, first 2 shown]
	s_set_vgpr_msb 0                        ;  msbs: dst=0 src0=0 src1=0 src2=0
	v_mbcnt_lo_u32_b32 v0, v81, 0
	v_add_nc_u64_e32 v[70:71], 32, v[70:71]
	v_cmp_ne_u32_e64 s15, 0, v81
	s_wait_dscnt 0x0
	s_barrier_signal -1
	v_cmp_eq_u32_e64 s14, 0, v0
	s_barrier_wait -1
	; wave barrier
	s_and_b32 s15, s15, s14
	s_delay_alu instid0(SALU_CYCLE_1)
	s_and_saveexec_b32 s14, s15
; %bb.57:                               ;   in Loop: Header=BB1421_56 Depth=1
	v_bcnt_u32_b32 v71, v81, 0
	ds_store_b32 v70, v71
; %bb.58:                               ;   in Loop: Header=BB1421_56 Depth=1
	s_or_b32 exec_lo, exec_lo, s14
	s_set_vgpr_msb 4                        ;  msbs: dst=0 src0=0 src1=1 src2=0
	v_cmp_ne_u32_e64 s14, 0x7fffffff, v50 /*v306*/
	v_not_b32_e32 v87, v80
	; wave barrier
	s_delay_alu instid0(VALU_DEP_2) | instskip(SKIP_1) | instid1(VALU_DEP_1)
	v_cndmask_b32_e64 v71, 0x80000000, v50 /*v306*/, s14
	s_set_vgpr_msb 0                        ;  msbs: dst=0 src0=0 src1=0 src2=0
	v_lshrrev_b32_e32 v71, v10, v71
	s_delay_alu instid0(VALU_DEP_1) | instskip(NEXT) | instid1(VALU_DEP_1)
	v_and_b32_e32 v80, v71, v87
	v_lshlrev_b32_e32 v83, 30, v80
	v_bitop3_b32 v71, v71, 1, v87 bitop3:0x80
	s_delay_alu instid0(VALU_DEP_2) | instskip(NEXT) | instid1(VALU_DEP_2)
	v_cmp_gt_i32_e64 s15, 0, v83
	v_add_co_u32 v71, s14, v71, -1
	s_delay_alu instid0(VALU_DEP_1) | instskip(NEXT) | instid1(VALU_DEP_1)
	v_cndmask_b32_e64 v82, 0, 1, s14
	v_cmp_ne_u32_e64 s14, 0, v82
	v_not_b32_e32 v82, v83
	s_delay_alu instid0(VALU_DEP_1)
	v_dual_ashrrev_i32 v82, 31, v82 :: v_dual_lshlrev_b32 v84, 29, v80
	v_dual_lshlrev_b32 v85, 28, v80 :: v_dual_lshlrev_b32 v86, 27, v80
	v_lshlrev_b32_e32 v96, 26, v80
	s_set_vgpr_msb 16                       ;  msbs: dst=0 src0=0 src1=0 src2=1
	v_lshl_add_u32 v81, v80, 3, v17 /*v273*/
	v_cmp_gt_i32_e64 s16, 0, v84
	v_not_b32_e32 v83, v84
	v_not_b32_e32 v84, v85
	v_cmp_gt_i32_e64 s17, 0, v85
	v_not_b32_e32 v85, v86
	v_xor_b32_e32 v71, s14, v71
	v_dual_ashrrev_i32 v83, 31, v83 :: v_dual_bitop2_b32 v82, s15, v82 bitop3:0x14
	v_ashrrev_i32_e32 v84, 31, v84
	v_dual_lshlrev_b32 v97, 25, v80 :: v_dual_lshlrev_b32 v80, 24, v80
	v_cmp_gt_i32_e64 s18, 0, v86
	v_not_b32_e32 v86, v96
	v_dual_ashrrev_i32 v85, 31, v85 :: v_dual_bitop2_b32 v83, s16, v83 bitop3:0x14
	v_xor_b32_e32 v84, s17, v84
	v_bitop3_b32 v71, v71, v82, exec_lo bitop3:0x80
	v_cmp_gt_i32_e64 s14, 0, v96
	v_ashrrev_i32_e32 v82, 31, v86
	v_not_b32_e32 v86, v97
	v_xor_b32_e32 v85, s18, v85
	s_set_vgpr_msb 0                        ;  msbs: dst=0 src0=0 src1=0 src2=0
	v_bitop3_b32 v71, v71, v84, v83 bitop3:0x80
	v_not_b32_e32 v83, v80
	v_xor_b32_e32 v82, s14, v82
	v_cmp_gt_i32_e64 s14, 0, v97
	v_ashrrev_i32_e32 v84, 31, v86
	v_cmp_gt_i32_e64 s15, 0, v80
	v_ashrrev_i32_e32 v80, 31, v83
	v_lshl_add_u32 v81, v81, 2, v12
	v_bitop3_b32 v82, v71, v82, v85 bitop3:0x80
	v_xor_b32_e32 v83, s14, v84
	s_delay_alu instid0(VALU_DEP_4) | instskip(SKIP_3) | instid1(VALU_DEP_1)
	v_xor_b32_e32 v80, s15, v80
	ds_load_b32 v71, v81 offset:32
	v_add_nc_u32_e32 v81, 32, v81
	; wave barrier
	v_bitop3_b32 v82, v82, v80, v83 bitop3:0x80
	v_mbcnt_lo_u32_b32 v80, v82, 0
	v_cmp_ne_u32_e64 s15, 0, v82
	s_delay_alu instid0(VALU_DEP_2) | instskip(SKIP_1) | instid1(SALU_CYCLE_1)
	v_cmp_eq_u32_e64 s14, 0, v80
	s_and_b32 s15, s15, s14
	s_and_saveexec_b32 s14, s15
	s_cbranch_execz .LBB1421_60
; %bb.59:                               ;   in Loop: Header=BB1421_56 Depth=1
	s_wait_dscnt 0x0
	v_bcnt_u32_b32 v82, v82, v71
	ds_store_b32 v81, v82
.LBB1421_60:                            ;   in Loop: Header=BB1421_56 Depth=1
	s_or_b32 exec_lo, exec_lo, s14
	s_set_vgpr_msb 4                        ;  msbs: dst=0 src0=0 src1=1 src2=0
	v_cmp_ne_u32_e64 s14, 0x7fffffff, v49 /*v305*/
	; wave barrier
	s_delay_alu instid0(VALU_DEP_1) | instskip(SKIP_1) | instid1(VALU_DEP_1)
	v_cndmask_b32_e64 v82, 0x80000000, v49 /*v305*/, s14
	s_set_vgpr_msb 0                        ;  msbs: dst=0 src0=0 src1=0 src2=0
	v_lshrrev_b32_e32 v82, v10, v82
	s_delay_alu instid0(VALU_DEP_1) | instskip(NEXT) | instid1(VALU_DEP_1)
	v_and_b32_e32 v83, v82, v87
	v_lshlrev_b32_e32 v86, 30, v83
	v_bitop3_b32 v82, v82, 1, v87 bitop3:0x80
	s_delay_alu instid0(VALU_DEP_2) | instskip(NEXT) | instid1(VALU_DEP_2)
	v_cmp_gt_i32_e64 s15, 0, v86
	v_add_co_u32 v82, s14, v82, -1
	s_delay_alu instid0(VALU_DEP_1) | instskip(NEXT) | instid1(VALU_DEP_1)
	v_cndmask_b32_e64 v85, 0, 1, s14
	v_cmp_ne_u32_e64 s14, 0, v85
	v_not_b32_e32 v85, v86
	s_delay_alu instid0(VALU_DEP_1)
	v_dual_ashrrev_i32 v85, 31, v85 :: v_dual_lshlrev_b32 v96, 29, v83
	v_dual_lshlrev_b32 v97, 28, v83 :: v_dual_lshlrev_b32 v98, 27, v83
	v_lshlrev_b32_e32 v99, 26, v83
	s_set_vgpr_msb 16                       ;  msbs: dst=0 src0=0 src1=0 src2=1
	v_lshl_add_u32 v84, v83, 3, v17 /*v273*/
	v_cmp_gt_i32_e64 s16, 0, v96
	v_not_b32_e32 v86, v96
	v_not_b32_e32 v96, v97
	v_dual_lshlrev_b32 v100, 25, v83 :: v_dual_lshlrev_b32 v83, 24, v83
	v_cmp_gt_i32_e64 s17, 0, v97
	v_cmp_gt_i32_e64 s18, 0, v98
	v_not_b32_e32 v97, v98
	v_dual_ashrrev_i32 v96, 31, v96 :: v_dual_bitop2_b32 v82, s14, v82 bitop3:0x14
	v_dual_ashrrev_i32 v86, 31, v86 :: v_dual_bitop2_b32 v85, s15, v85 bitop3:0x14
	v_not_b32_e32 v98, v99
	v_cmp_gt_i32_e64 s19, 0, v99
	s_delay_alu instid0(VALU_DEP_3)
	v_dual_ashrrev_i32 v97, 31, v97 :: v_dual_bitop2_b32 v86, s16, v86 bitop3:0x14
	v_xor_b32_e32 v96, s17, v96
	v_bitop3_b32 v82, v82, v85, exec_lo bitop3:0x80
	v_ashrrev_i32_e32 v85, 31, v98
	v_not_b32_e32 v98, v100
	v_not_b32_e32 v99, v83
	v_xor_b32_e32 v97, s18, v97
	s_set_vgpr_msb 0                        ;  msbs: dst=0 src0=0 src1=0 src2=0
	v_bitop3_b32 v82, v82, v96, v86 bitop3:0x80
	v_xor_b32_e32 v85, s19, v85
	v_cmp_gt_i32_e64 s14, 0, v100
	v_ashrrev_i32_e32 v86, 31, v98
	v_cmp_gt_i32_e64 s15, 0, v83
	v_ashrrev_i32_e32 v83, 31, v99
	v_lshl_add_u32 v84, v84, 2, v12
	v_bitop3_b32 v85, v82, v85, v97 bitop3:0x80
	v_xor_b32_e32 v86, s14, v86
	s_delay_alu instid0(VALU_DEP_4) | instskip(SKIP_3) | instid1(VALU_DEP_1)
	v_xor_b32_e32 v83, s15, v83
	ds_load_b32 v82, v84 offset:32
	v_add_nc_u32_e32 v84, 32, v84
	; wave barrier
	v_bitop3_b32 v85, v85, v83, v86 bitop3:0x80
	v_mbcnt_lo_u32_b32 v83, v85, 0
	v_cmp_ne_u32_e64 s15, 0, v85
	s_delay_alu instid0(VALU_DEP_2) | instskip(SKIP_1) | instid1(SALU_CYCLE_1)
	v_cmp_eq_u32_e64 s14, 0, v83
	s_and_b32 s15, s15, s14
	s_and_saveexec_b32 s14, s15
	s_cbranch_execz .LBB1421_62
; %bb.61:                               ;   in Loop: Header=BB1421_56 Depth=1
	s_wait_dscnt 0x0
	v_bcnt_u32_b32 v85, v85, v82
	ds_store_b32 v84, v85
.LBB1421_62:                            ;   in Loop: Header=BB1421_56 Depth=1
	s_or_b32 exec_lo, exec_lo, s14
	s_set_vgpr_msb 4                        ;  msbs: dst=0 src0=0 src1=1 src2=0
	v_cmp_ne_u32_e64 s14, 0x7fffffff, v48 /*v304*/
	; wave barrier
	s_delay_alu instid0(VALU_DEP_1) | instskip(SKIP_1) | instid1(VALU_DEP_1)
	v_cndmask_b32_e64 v85, 0x80000000, v48 /*v304*/, s14
	s_set_vgpr_msb 0                        ;  msbs: dst=0 src0=0 src1=0 src2=0
	v_lshrrev_b32_e32 v85, v10, v85
	s_delay_alu instid0(VALU_DEP_1) | instskip(NEXT) | instid1(VALU_DEP_1)
	v_and_b32_e32 v86, v85, v87
	v_lshlrev_b32_e32 v98, 30, v86
	v_bitop3_b32 v85, v85, 1, v87 bitop3:0x80
	s_delay_alu instid0(VALU_DEP_2) | instskip(NEXT) | instid1(VALU_DEP_2)
	v_cmp_gt_i32_e64 s15, 0, v98
	v_add_co_u32 v85, s14, v85, -1
	s_delay_alu instid0(VALU_DEP_1) | instskip(NEXT) | instid1(VALU_DEP_1)
	v_cndmask_b32_e64 v97, 0, 1, s14
	v_cmp_ne_u32_e64 s14, 0, v97
	v_not_b32_e32 v97, v98
	s_delay_alu instid0(VALU_DEP_1)
	v_dual_ashrrev_i32 v97, 31, v97 :: v_dual_lshlrev_b32 v99, 29, v86
	v_dual_lshlrev_b32 v100, 28, v86 :: v_dual_lshlrev_b32 v101, 27, v86
	v_lshlrev_b32_e32 v102, 26, v86
	s_set_vgpr_msb 16                       ;  msbs: dst=0 src0=0 src1=0 src2=1
	v_lshl_add_u32 v96, v86, 3, v17 /*v273*/
	v_cmp_gt_i32_e64 s16, 0, v99
	v_not_b32_e32 v98, v99
	v_not_b32_e32 v99, v100
	v_dual_lshlrev_b32 v103, 25, v86 :: v_dual_lshlrev_b32 v86, 24, v86
	v_cmp_gt_i32_e64 s17, 0, v100
	v_cmp_gt_i32_e64 s18, 0, v101
	v_not_b32_e32 v100, v101
	v_dual_ashrrev_i32 v98, 31, v98 :: v_dual_bitop2_b32 v85, s14, v85 bitop3:0x14
	v_dual_ashrrev_i32 v99, 31, v99 :: v_dual_bitop2_b32 v97, s15, v97 bitop3:0x14
	v_not_b32_e32 v101, v102
	v_cmp_gt_i32_e64 s19, 0, v102
	s_delay_alu instid0(VALU_DEP_4) | instskip(NEXT) | instid1(VALU_DEP_4)
	v_dual_ashrrev_i32 v100, 31, v100 :: v_dual_bitop2_b32 v98, s16, v98 bitop3:0x14
	v_xor_b32_e32 v99, s17, v99
	v_bitop3_b32 v85, v85, v97, exec_lo bitop3:0x80
	v_ashrrev_i32_e32 v97, 31, v101
	v_not_b32_e32 v101, v103
	v_not_b32_e32 v102, v86
	v_xor_b32_e32 v100, s18, v100
	s_set_vgpr_msb 0                        ;  msbs: dst=0 src0=0 src1=0 src2=0
	v_bitop3_b32 v85, v85, v99, v98 bitop3:0x80
	v_xor_b32_e32 v97, s19, v97
	v_cmp_gt_i32_e64 s14, 0, v103
	v_ashrrev_i32_e32 v98, 31, v101
	v_cmp_gt_i32_e64 s15, 0, v86
	v_ashrrev_i32_e32 v86, 31, v102
	v_lshl_add_u32 v96, v96, 2, v12
	v_bitop3_b32 v97, v85, v97, v100 bitop3:0x80
	v_xor_b32_e32 v98, s14, v98
	s_delay_alu instid0(VALU_DEP_4) | instskip(SKIP_3) | instid1(VALU_DEP_1)
	v_xor_b32_e32 v86, s15, v86
	ds_load_b32 v85, v96 offset:32
	v_add_nc_u32_e32 v96, 32, v96
	; wave barrier
	v_bitop3_b32 v97, v97, v86, v98 bitop3:0x80
	v_mbcnt_lo_u32_b32 v86, v97, 0
	v_cmp_ne_u32_e64 s15, 0, v97
	s_delay_alu instid0(VALU_DEP_2) | instskip(SKIP_1) | instid1(SALU_CYCLE_1)
	v_cmp_eq_u32_e64 s14, 0, v86
	s_and_b32 s15, s15, s14
	s_and_saveexec_b32 s14, s15
	s_cbranch_execz .LBB1421_64
; %bb.63:                               ;   in Loop: Header=BB1421_56 Depth=1
	s_wait_dscnt 0x0
	v_bcnt_u32_b32 v97, v97, v85
	ds_store_b32 v96, v97
.LBB1421_64:                            ;   in Loop: Header=BB1421_56 Depth=1
	s_or_b32 exec_lo, exec_lo, s14
	s_set_vgpr_msb 4                        ;  msbs: dst=0 src0=0 src1=1 src2=0
	v_cmp_ne_u32_e64 s14, 0x7fffffff, v51 /*v307*/
	; wave barrier
	s_delay_alu instid0(VALU_DEP_1) | instskip(SKIP_1) | instid1(VALU_DEP_1)
	v_cndmask_b32_e64 v97, 0x80000000, v51 /*v307*/, s14
	s_set_vgpr_msb 0                        ;  msbs: dst=0 src0=0 src1=0 src2=0
	v_lshrrev_b32_e32 v97, v10, v97
	s_delay_alu instid0(VALU_DEP_1) | instskip(NEXT) | instid1(VALU_DEP_1)
	v_and_b32_e32 v98, v97, v87
	v_lshlrev_b32_e32 v101, 30, v98
	v_bitop3_b32 v97, v97, 1, v87 bitop3:0x80
	s_delay_alu instid0(VALU_DEP_2) | instskip(NEXT) | instid1(VALU_DEP_2)
	v_cmp_gt_i32_e64 s15, 0, v101
	v_add_co_u32 v97, s14, v97, -1
	s_delay_alu instid0(VALU_DEP_1) | instskip(NEXT) | instid1(VALU_DEP_1)
	v_cndmask_b32_e64 v100, 0, 1, s14
	v_cmp_ne_u32_e64 s14, 0, v100
	v_not_b32_e32 v100, v101
	s_delay_alu instid0(VALU_DEP_1)
	v_dual_ashrrev_i32 v100, 31, v100 :: v_dual_lshlrev_b32 v102, 29, v98
	v_dual_lshlrev_b32 v103, 28, v98 :: v_dual_lshlrev_b32 v112, 27, v98
	v_lshlrev_b32_e32 v113, 26, v98
	s_set_vgpr_msb 16                       ;  msbs: dst=0 src0=0 src1=0 src2=1
	v_lshl_add_u32 v99, v98, 3, v17 /*v273*/
	v_cmp_gt_i32_e64 s16, 0, v102
	v_not_b32_e32 v101, v102
	v_not_b32_e32 v102, v103
	v_dual_lshlrev_b32 v114, 25, v98 :: v_dual_lshlrev_b32 v98, 24, v98
	v_cmp_gt_i32_e64 s17, 0, v103
	v_cmp_gt_i32_e64 s18, 0, v112
	v_not_b32_e32 v103, v112
	v_dual_ashrrev_i32 v102, 31, v102 :: v_dual_bitop2_b32 v97, s14, v97 bitop3:0x14
	v_dual_ashrrev_i32 v101, 31, v101 :: v_dual_bitop2_b32 v100, s15, v100 bitop3:0x14
	v_not_b32_e32 v112, v113
	v_cmp_gt_i32_e64 s19, 0, v113
	s_delay_alu instid0(VALU_DEP_3)
	v_dual_ashrrev_i32 v103, 31, v103 :: v_dual_bitop2_b32 v101, s16, v101 bitop3:0x14
	v_xor_b32_e32 v102, s17, v102
	v_bitop3_b32 v97, v97, v100, exec_lo bitop3:0x80
	v_ashrrev_i32_e32 v100, 31, v112
	v_not_b32_e32 v112, v114
	v_not_b32_e32 v113, v98
	v_xor_b32_e32 v103, s18, v103
	s_set_vgpr_msb 0                        ;  msbs: dst=0 src0=0 src1=0 src2=0
	v_bitop3_b32 v97, v97, v102, v101 bitop3:0x80
	v_xor_b32_e32 v100, s19, v100
	v_cmp_gt_i32_e64 s14, 0, v114
	v_ashrrev_i32_e32 v101, 31, v112
	v_cmp_gt_i32_e64 s15, 0, v98
	v_ashrrev_i32_e32 v98, 31, v113
	v_lshl_add_u32 v99, v99, 2, v12
	v_bitop3_b32 v100, v97, v100, v103 bitop3:0x80
	v_xor_b32_e32 v101, s14, v101
	s_delay_alu instid0(VALU_DEP_4) | instskip(SKIP_3) | instid1(VALU_DEP_1)
	v_xor_b32_e32 v98, s15, v98
	ds_load_b32 v97, v99 offset:32
	v_add_nc_u32_e32 v99, 32, v99
	; wave barrier
	v_bitop3_b32 v100, v100, v98, v101 bitop3:0x80
	v_mbcnt_lo_u32_b32 v98, v100, 0
	v_cmp_ne_u32_e64 s15, 0, v100
	s_delay_alu instid0(VALU_DEP_2) | instskip(SKIP_1) | instid1(SALU_CYCLE_1)
	v_cmp_eq_u32_e64 s14, 0, v98
	s_and_b32 s15, s15, s14
	s_and_saveexec_b32 s14, s15
	s_cbranch_execz .LBB1421_66
; %bb.65:                               ;   in Loop: Header=BB1421_56 Depth=1
	s_wait_dscnt 0x0
	v_bcnt_u32_b32 v100, v100, v97
	ds_store_b32 v99, v100
.LBB1421_66:                            ;   in Loop: Header=BB1421_56 Depth=1
	s_or_b32 exec_lo, exec_lo, s14
	s_set_vgpr_msb 4                        ;  msbs: dst=0 src0=0 src1=1 src2=0
	v_cmp_ne_u32_e64 s14, 0x7fffffff, v53 /*v309*/
	; wave barrier
	s_delay_alu instid0(VALU_DEP_1) | instskip(SKIP_1) | instid1(VALU_DEP_1)
	v_cndmask_b32_e64 v100, 0x80000000, v53 /*v309*/, s14
	s_set_vgpr_msb 0                        ;  msbs: dst=0 src0=0 src1=0 src2=0
	v_lshrrev_b32_e32 v100, v10, v100
	s_delay_alu instid0(VALU_DEP_1) | instskip(NEXT) | instid1(VALU_DEP_1)
	v_and_b32_e32 v101, v100, v87
	v_lshlrev_b32_e32 v112, 30, v101
	v_bitop3_b32 v100, v100, 1, v87 bitop3:0x80
	v_lshlrev_b32_e32 v113, 29, v101
	s_delay_alu instid0(VALU_DEP_3) | instskip(NEXT) | instid1(VALU_DEP_3)
	v_cmp_gt_i32_e64 s15, 0, v112
	v_add_co_u32 v100, s14, v100, -1
	s_delay_alu instid0(VALU_DEP_1) | instskip(NEXT) | instid1(VALU_DEP_1)
	v_cndmask_b32_e64 v103, 0, 1, s14
	v_cmp_ne_u32_e64 s14, 0, v103
	v_not_b32_e32 v103, v112
	v_not_b32_e32 v112, v113
	s_delay_alu instid0(VALU_DEP_2) | instskip(NEXT) | instid1(VALU_DEP_2)
	v_dual_ashrrev_i32 v103, 31, v103 :: v_dual_bitop2_b32 v100, s14, v100 bitop3:0x14
	v_dual_ashrrev_i32 v112, 31, v112 :: v_dual_lshlrev_b32 v114, 28, v101
	v_dual_lshlrev_b32 v115, 27, v101 :: v_dual_lshlrev_b32 v116, 26, v101
	v_cmp_gt_i32_e64 s16, 0, v113
	s_set_vgpr_msb 16                       ;  msbs: dst=0 src0=0 src1=0 src2=1
	v_lshl_add_u32 v102, v101, 3, v17 /*v273*/
	v_not_b32_e32 v113, v114
	v_dual_lshlrev_b32 v117, 25, v101 :: v_dual_lshlrev_b32 v101, 24, v101
	v_cmp_gt_i32_e64 s17, 0, v114
	v_cmp_gt_i32_e64 s18, 0, v115
	v_not_b32_e32 v114, v115
	v_dual_ashrrev_i32 v113, 31, v113 :: v_dual_bitop2_b32 v103, s15, v103 bitop3:0x14
	v_not_b32_e32 v115, v116
	v_cmp_gt_i32_e64 s19, 0, v116
	s_delay_alu instid0(VALU_DEP_4) | instskip(NEXT) | instid1(VALU_DEP_4)
	v_dual_ashrrev_i32 v114, 31, v114 :: v_dual_bitop2_b32 v112, s16, v112 bitop3:0x14
	v_xor_b32_e32 v113, s17, v113
	v_bitop3_b32 v100, v100, v103, exec_lo bitop3:0x80
	v_ashrrev_i32_e32 v103, 31, v115
	v_not_b32_e32 v115, v117
	v_not_b32_e32 v116, v101
	v_xor_b32_e32 v114, s18, v114
	s_set_vgpr_msb 0                        ;  msbs: dst=0 src0=0 src1=0 src2=0
	v_bitop3_b32 v100, v100, v113, v112 bitop3:0x80
	v_xor_b32_e32 v103, s19, v103
	v_cmp_gt_i32_e64 s14, 0, v117
	v_ashrrev_i32_e32 v112, 31, v115
	v_cmp_gt_i32_e64 s15, 0, v101
	v_ashrrev_i32_e32 v101, 31, v116
	v_lshl_add_u32 v102, v102, 2, v12
	v_bitop3_b32 v103, v100, v103, v114 bitop3:0x80
	v_xor_b32_e32 v112, s14, v112
	s_delay_alu instid0(VALU_DEP_4) | instskip(SKIP_3) | instid1(VALU_DEP_1)
	v_xor_b32_e32 v101, s15, v101
	ds_load_b32 v100, v102 offset:32
	v_add_nc_u32_e32 v102, 32, v102
	; wave barrier
	v_bitop3_b32 v103, v103, v101, v112 bitop3:0x80
	v_mbcnt_lo_u32_b32 v101, v103, 0
	v_cmp_ne_u32_e64 s15, 0, v103
	s_delay_alu instid0(VALU_DEP_2) | instskip(SKIP_1) | instid1(SALU_CYCLE_1)
	v_cmp_eq_u32_e64 s14, 0, v101
	s_and_b32 s15, s15, s14
	s_and_saveexec_b32 s14, s15
	s_cbranch_execz .LBB1421_68
; %bb.67:                               ;   in Loop: Header=BB1421_56 Depth=1
	s_wait_dscnt 0x0
	v_bcnt_u32_b32 v103, v103, v100
	ds_store_b32 v102, v103
.LBB1421_68:                            ;   in Loop: Header=BB1421_56 Depth=1
	s_or_b32 exec_lo, exec_lo, s14
	s_set_vgpr_msb 4                        ;  msbs: dst=0 src0=0 src1=1 src2=0
	v_cmp_ne_u32_e64 s14, 0x7fffffff, v52 /*v308*/
	; wave barrier
	s_delay_alu instid0(VALU_DEP_1) | instskip(SKIP_1) | instid1(VALU_DEP_1)
	v_cndmask_b32_e64 v103, 0x80000000, v52 /*v308*/, s14
	s_set_vgpr_msb 0                        ;  msbs: dst=0 src0=0 src1=0 src2=0
	v_lshrrev_b32_e32 v103, v10, v103
	s_delay_alu instid0(VALU_DEP_1) | instskip(NEXT) | instid1(VALU_DEP_1)
	v_and_b32_e32 v112, v103, v87
	v_lshlrev_b32_e32 v115, 30, v112
	v_bitop3_b32 v103, v103, 1, v87 bitop3:0x80
	s_delay_alu instid0(VALU_DEP_2) | instskip(NEXT) | instid1(VALU_DEP_2)
	v_cmp_gt_i32_e64 s15, 0, v115
	v_add_co_u32 v103, s14, v103, -1
	s_delay_alu instid0(VALU_DEP_1) | instskip(NEXT) | instid1(VALU_DEP_1)
	v_cndmask_b32_e64 v114, 0, 1, s14
	v_cmp_ne_u32_e64 s14, 0, v114
	v_not_b32_e32 v114, v115
	s_delay_alu instid0(VALU_DEP_1)
	v_dual_ashrrev_i32 v114, 31, v114 :: v_dual_lshlrev_b32 v116, 29, v112
	v_dual_lshlrev_b32 v117, 28, v112 :: v_dual_lshlrev_b32 v118, 27, v112
	v_lshlrev_b32_e32 v119, 26, v112
	s_set_vgpr_msb 16                       ;  msbs: dst=0 src0=0 src1=0 src2=1
	v_lshl_add_u32 v113, v112, 3, v17 /*v273*/
	v_cmp_gt_i32_e64 s16, 0, v116
	v_not_b32_e32 v115, v116
	v_not_b32_e32 v116, v117
	v_dual_lshlrev_b32 v128, 25, v112 :: v_dual_lshlrev_b32 v112, 24, v112
	v_cmp_gt_i32_e64 s17, 0, v117
	v_cmp_gt_i32_e64 s18, 0, v118
	v_not_b32_e32 v117, v118
	v_dual_ashrrev_i32 v116, 31, v116 :: v_dual_bitop2_b32 v103, s14, v103 bitop3:0x14
	v_dual_ashrrev_i32 v115, 31, v115 :: v_dual_bitop2_b32 v114, s15, v114 bitop3:0x14
	v_not_b32_e32 v118, v119
	v_cmp_gt_i32_e64 s19, 0, v119
	s_delay_alu instid0(VALU_DEP_3)
	v_dual_ashrrev_i32 v117, 31, v117 :: v_dual_bitop2_b32 v115, s16, v115 bitop3:0x14
	v_xor_b32_e32 v116, s17, v116
	v_bitop3_b32 v103, v103, v114, exec_lo bitop3:0x80
	v_ashrrev_i32_e32 v114, 31, v118
	v_not_b32_e32 v118, v128
	v_not_b32_e32 v119, v112
	v_xor_b32_e32 v117, s18, v117
	s_set_vgpr_msb 0                        ;  msbs: dst=0 src0=0 src1=0 src2=0
	v_bitop3_b32 v103, v103, v116, v115 bitop3:0x80
	v_xor_b32_e32 v114, s19, v114
	v_cmp_gt_i32_e64 s14, 0, v128
	v_ashrrev_i32_e32 v115, 31, v118
	v_cmp_gt_i32_e64 s15, 0, v112
	v_ashrrev_i32_e32 v112, 31, v119
	v_lshl_add_u32 v113, v113, 2, v12
	v_bitop3_b32 v114, v103, v114, v117 bitop3:0x80
	v_xor_b32_e32 v115, s14, v115
	s_delay_alu instid0(VALU_DEP_4) | instskip(SKIP_3) | instid1(VALU_DEP_1)
	v_xor_b32_e32 v112, s15, v112
	ds_load_b32 v103, v113 offset:32
	v_add_nc_u32_e32 v113, 32, v113
	; wave barrier
	v_bitop3_b32 v114, v114, v112, v115 bitop3:0x80
	v_mbcnt_lo_u32_b32 v112, v114, 0
	v_cmp_ne_u32_e64 s15, 0, v114
	s_delay_alu instid0(VALU_DEP_2) | instskip(SKIP_1) | instid1(SALU_CYCLE_1)
	v_cmp_eq_u32_e64 s14, 0, v112
	s_and_b32 s15, s15, s14
	s_and_saveexec_b32 s14, s15
	s_cbranch_execz .LBB1421_70
; %bb.69:                               ;   in Loop: Header=BB1421_56 Depth=1
	s_wait_dscnt 0x0
	v_bcnt_u32_b32 v114, v114, v103
	ds_store_b32 v113, v114
.LBB1421_70:                            ;   in Loop: Header=BB1421_56 Depth=1
	s_or_b32 exec_lo, exec_lo, s14
	s_set_vgpr_msb 4                        ;  msbs: dst=0 src0=0 src1=1 src2=0
	v_cmp_ne_u32_e64 s14, 0x7fffffff, v55 /*v311*/
	; wave barrier
	s_delay_alu instid0(VALU_DEP_1) | instskip(SKIP_1) | instid1(VALU_DEP_1)
	v_cndmask_b32_e64 v114, 0x80000000, v55 /*v311*/, s14
	s_set_vgpr_msb 0                        ;  msbs: dst=0 src0=0 src1=0 src2=0
	v_lshrrev_b32_e32 v114, v10, v114
	s_delay_alu instid0(VALU_DEP_1) | instskip(NEXT) | instid1(VALU_DEP_1)
	v_and_b32_e32 v115, v114, v87
	v_lshlrev_b32_e32 v118, 30, v115
	v_bitop3_b32 v114, v114, 1, v87 bitop3:0x80
	s_delay_alu instid0(VALU_DEP_2) | instskip(NEXT) | instid1(VALU_DEP_2)
	v_cmp_gt_i32_e64 s15, 0, v118
	v_add_co_u32 v114, s14, v114, -1
	s_delay_alu instid0(VALU_DEP_1) | instskip(NEXT) | instid1(VALU_DEP_1)
	v_cndmask_b32_e64 v117, 0, 1, s14
	v_cmp_ne_u32_e64 s14, 0, v117
	v_not_b32_e32 v117, v118
	s_delay_alu instid0(VALU_DEP_1)
	v_dual_ashrrev_i32 v117, 31, v117 :: v_dual_lshlrev_b32 v119, 29, v115
	v_dual_lshlrev_b32 v128, 28, v115 :: v_dual_lshlrev_b32 v129, 27, v115
	v_lshlrev_b32_e32 v130, 26, v115
	s_set_vgpr_msb 16                       ;  msbs: dst=0 src0=0 src1=0 src2=1
	v_lshl_add_u32 v116, v115, 3, v17 /*v273*/
	v_cmp_gt_i32_e64 s16, 0, v119
	v_not_b32_e32 v118, v119
	v_not_b32_e32 v119, v128
	v_dual_lshlrev_b32 v131, 25, v115 :: v_dual_lshlrev_b32 v115, 24, v115
	v_cmp_gt_i32_e64 s17, 0, v128
	v_cmp_gt_i32_e64 s18, 0, v129
	v_not_b32_e32 v128, v129
	v_dual_ashrrev_i32 v119, 31, v119 :: v_dual_bitop2_b32 v114, s14, v114 bitop3:0x14
	v_dual_ashrrev_i32 v118, 31, v118 :: v_dual_bitop2_b32 v117, s15, v117 bitop3:0x14
	v_not_b32_e32 v129, v130
	v_cmp_gt_i32_e64 s19, 0, v130
	s_delay_alu instid0(VALU_DEP_3)
	v_dual_ashrrev_i32 v128, 31, v128 :: v_dual_bitop2_b32 v118, s16, v118 bitop3:0x14
	v_xor_b32_e32 v119, s17, v119
	v_bitop3_b32 v114, v114, v117, exec_lo bitop3:0x80
	v_ashrrev_i32_e32 v117, 31, v129
	v_not_b32_e32 v129, v131
	v_not_b32_e32 v130, v115
	v_xor_b32_e32 v128, s18, v128
	s_set_vgpr_msb 0                        ;  msbs: dst=0 src0=0 src1=0 src2=0
	v_bitop3_b32 v114, v114, v119, v118 bitop3:0x80
	v_xor_b32_e32 v117, s19, v117
	v_cmp_gt_i32_e64 s14, 0, v131
	v_ashrrev_i32_e32 v118, 31, v129
	v_cmp_gt_i32_e64 s15, 0, v115
	v_ashrrev_i32_e32 v115, 31, v130
	v_lshl_add_u32 v116, v116, 2, v12
	v_bitop3_b32 v117, v114, v117, v128 bitop3:0x80
	v_xor_b32_e32 v118, s14, v118
	s_delay_alu instid0(VALU_DEP_4) | instskip(SKIP_3) | instid1(VALU_DEP_1)
	v_xor_b32_e32 v115, s15, v115
	ds_load_b32 v114, v116 offset:32
	v_add_nc_u32_e32 v116, 32, v116
	; wave barrier
	v_bitop3_b32 v117, v117, v115, v118 bitop3:0x80
	v_mbcnt_lo_u32_b32 v115, v117, 0
	v_cmp_ne_u32_e64 s15, 0, v117
	s_delay_alu instid0(VALU_DEP_2) | instskip(SKIP_1) | instid1(SALU_CYCLE_1)
	v_cmp_eq_u32_e64 s14, 0, v115
	s_and_b32 s15, s15, s14
	s_and_saveexec_b32 s14, s15
	s_cbranch_execz .LBB1421_72
; %bb.71:                               ;   in Loop: Header=BB1421_56 Depth=1
	s_wait_dscnt 0x0
	v_bcnt_u32_b32 v117, v117, v114
	ds_store_b32 v116, v117
.LBB1421_72:                            ;   in Loop: Header=BB1421_56 Depth=1
	s_or_b32 exec_lo, exec_lo, s14
	s_set_vgpr_msb 4                        ;  msbs: dst=0 src0=0 src1=1 src2=0
	v_cmp_ne_u32_e64 s14, 0x7fffffff, v54 /*v310*/
	; wave barrier
	s_delay_alu instid0(VALU_DEP_1) | instskip(SKIP_1) | instid1(VALU_DEP_1)
	v_cndmask_b32_e64 v117, 0x80000000, v54 /*v310*/, s14
	s_set_vgpr_msb 0                        ;  msbs: dst=0 src0=0 src1=0 src2=0
	v_lshrrev_b32_e32 v117, v10, v117
	s_delay_alu instid0(VALU_DEP_1) | instskip(NEXT) | instid1(VALU_DEP_1)
	v_and_b32_e32 v118, v117, v87
	v_lshlrev_b32_e32 v129, 30, v118
	v_bitop3_b32 v117, v117, 1, v87 bitop3:0x80
	s_delay_alu instid0(VALU_DEP_2) | instskip(NEXT) | instid1(VALU_DEP_2)
	v_cmp_gt_i32_e64 s15, 0, v129
	v_add_co_u32 v117, s14, v117, -1
	s_delay_alu instid0(VALU_DEP_1) | instskip(NEXT) | instid1(VALU_DEP_1)
	v_cndmask_b32_e64 v128, 0, 1, s14
	v_cmp_ne_u32_e64 s14, 0, v128
	v_not_b32_e32 v128, v129
	s_delay_alu instid0(VALU_DEP_1)
	v_dual_ashrrev_i32 v128, 31, v128 :: v_dual_lshlrev_b32 v130, 29, v118
	v_dual_lshlrev_b32 v131, 28, v118 :: v_dual_lshlrev_b32 v132, 27, v118
	v_lshlrev_b32_e32 v133, 26, v118
	s_set_vgpr_msb 16                       ;  msbs: dst=0 src0=0 src1=0 src2=1
	v_lshl_add_u32 v119, v118, 3, v17 /*v273*/
	v_cmp_gt_i32_e64 s16, 0, v130
	v_not_b32_e32 v129, v130
	v_not_b32_e32 v130, v131
	v_dual_lshlrev_b32 v134, 25, v118 :: v_dual_lshlrev_b32 v118, 24, v118
	v_cmp_gt_i32_e64 s17, 0, v131
	v_cmp_gt_i32_e64 s18, 0, v132
	v_not_b32_e32 v131, v132
	v_dual_ashrrev_i32 v130, 31, v130 :: v_dual_bitop2_b32 v117, s14, v117 bitop3:0x14
	v_dual_ashrrev_i32 v129, 31, v129 :: v_dual_bitop2_b32 v128, s15, v128 bitop3:0x14
	v_not_b32_e32 v132, v133
	v_cmp_gt_i32_e64 s19, 0, v133
	s_delay_alu instid0(VALU_DEP_3)
	v_dual_ashrrev_i32 v131, 31, v131 :: v_dual_bitop2_b32 v129, s16, v129 bitop3:0x14
	v_xor_b32_e32 v130, s17, v130
	v_bitop3_b32 v117, v117, v128, exec_lo bitop3:0x80
	v_ashrrev_i32_e32 v128, 31, v132
	v_not_b32_e32 v132, v134
	v_not_b32_e32 v133, v118
	v_xor_b32_e32 v131, s18, v131
	s_set_vgpr_msb 0                        ;  msbs: dst=0 src0=0 src1=0 src2=0
	v_bitop3_b32 v117, v117, v130, v129 bitop3:0x80
	v_xor_b32_e32 v128, s19, v128
	v_cmp_gt_i32_e64 s14, 0, v134
	v_ashrrev_i32_e32 v129, 31, v132
	v_cmp_gt_i32_e64 s15, 0, v118
	v_ashrrev_i32_e32 v118, 31, v133
	v_lshl_add_u32 v119, v119, 2, v12
	v_bitop3_b32 v128, v117, v128, v131 bitop3:0x80
	v_xor_b32_e32 v129, s14, v129
	s_delay_alu instid0(VALU_DEP_4) | instskip(SKIP_3) | instid1(VALU_DEP_1)
	v_xor_b32_e32 v118, s15, v118
	ds_load_b32 v117, v119 offset:32
	v_add_nc_u32_e32 v119, 32, v119
	; wave barrier
	v_bitop3_b32 v128, v128, v118, v129 bitop3:0x80
	v_mbcnt_lo_u32_b32 v118, v128, 0
	v_cmp_ne_u32_e64 s15, 0, v128
	s_delay_alu instid0(VALU_DEP_2) | instskip(SKIP_1) | instid1(SALU_CYCLE_1)
	v_cmp_eq_u32_e64 s14, 0, v118
	s_and_b32 s15, s15, s14
	s_and_saveexec_b32 s14, s15
	s_cbranch_execz .LBB1421_74
; %bb.73:                               ;   in Loop: Header=BB1421_56 Depth=1
	s_wait_dscnt 0x0
	v_bcnt_u32_b32 v128, v128, v117
	ds_store_b32 v119, v128
.LBB1421_74:                            ;   in Loop: Header=BB1421_56 Depth=1
	s_or_b32 exec_lo, exec_lo, s14
	s_set_vgpr_msb 4                        ;  msbs: dst=0 src0=0 src1=1 src2=0
	v_cmp_ne_u32_e64 s14, 0x7fffffff, v56 /*v312*/
	; wave barrier
	s_delay_alu instid0(VALU_DEP_1) | instskip(SKIP_1) | instid1(VALU_DEP_1)
	v_cndmask_b32_e64 v128, 0x80000000, v56 /*v312*/, s14
	s_set_vgpr_msb 0                        ;  msbs: dst=0 src0=0 src1=0 src2=0
	v_lshrrev_b32_e32 v128, v10, v128
	s_delay_alu instid0(VALU_DEP_1) | instskip(NEXT) | instid1(VALU_DEP_1)
	v_and_b32_e32 v129, v128, v87
	v_lshlrev_b32_e32 v132, 30, v129
	v_bitop3_b32 v128, v128, 1, v87 bitop3:0x80
	v_lshlrev_b32_e32 v133, 29, v129
	s_delay_alu instid0(VALU_DEP_3) | instskip(NEXT) | instid1(VALU_DEP_3)
	v_cmp_gt_i32_e64 s15, 0, v132
	v_add_co_u32 v128, s14, v128, -1
	s_delay_alu instid0(VALU_DEP_1) | instskip(NEXT) | instid1(VALU_DEP_1)
	v_cndmask_b32_e64 v131, 0, 1, s14
	v_cmp_ne_u32_e64 s14, 0, v131
	v_not_b32_e32 v131, v132
	v_not_b32_e32 v132, v133
	s_delay_alu instid0(VALU_DEP_2) | instskip(NEXT) | instid1(VALU_DEP_2)
	v_dual_ashrrev_i32 v131, 31, v131 :: v_dual_bitop2_b32 v128, s14, v128 bitop3:0x14
	v_dual_ashrrev_i32 v132, 31, v132 :: v_dual_lshlrev_b32 v134, 28, v129
	v_dual_lshlrev_b32 v135, 27, v129 :: v_dual_lshlrev_b32 v144, 26, v129
	v_cmp_gt_i32_e64 s16, 0, v133
	s_set_vgpr_msb 16                       ;  msbs: dst=0 src0=0 src1=0 src2=1
	v_lshl_add_u32 v130, v129, 3, v17 /*v273*/
	v_not_b32_e32 v133, v134
	v_dual_lshlrev_b32 v145, 25, v129 :: v_dual_lshlrev_b32 v129, 24, v129
	v_cmp_gt_i32_e64 s17, 0, v134
	v_cmp_gt_i32_e64 s18, 0, v135
	v_not_b32_e32 v134, v135
	v_dual_ashrrev_i32 v133, 31, v133 :: v_dual_bitop2_b32 v131, s15, v131 bitop3:0x14
	v_not_b32_e32 v135, v144
	v_cmp_gt_i32_e64 s19, 0, v144
	s_delay_alu instid0(VALU_DEP_4) | instskip(NEXT) | instid1(VALU_DEP_4)
	v_dual_ashrrev_i32 v134, 31, v134 :: v_dual_bitop2_b32 v132, s16, v132 bitop3:0x14
	v_xor_b32_e32 v133, s17, v133
	v_bitop3_b32 v128, v128, v131, exec_lo bitop3:0x80
	v_ashrrev_i32_e32 v131, 31, v135
	v_not_b32_e32 v135, v145
	v_not_b32_e32 v144, v129
	v_xor_b32_e32 v134, s18, v134
	s_set_vgpr_msb 0                        ;  msbs: dst=0 src0=0 src1=0 src2=0
	v_bitop3_b32 v128, v128, v133, v132 bitop3:0x80
	v_xor_b32_e32 v131, s19, v131
	v_cmp_gt_i32_e64 s14, 0, v145
	v_ashrrev_i32_e32 v132, 31, v135
	v_cmp_gt_i32_e64 s15, 0, v129
	v_ashrrev_i32_e32 v129, 31, v144
	v_lshl_add_u32 v130, v130, 2, v12
	v_bitop3_b32 v131, v128, v131, v134 bitop3:0x80
	v_xor_b32_e32 v132, s14, v132
	s_delay_alu instid0(VALU_DEP_4) | instskip(SKIP_3) | instid1(VALU_DEP_1)
	v_xor_b32_e32 v129, s15, v129
	ds_load_b32 v128, v130 offset:32
	v_add_nc_u32_e32 v130, 32, v130
	; wave barrier
	v_bitop3_b32 v131, v131, v129, v132 bitop3:0x80
	v_mbcnt_lo_u32_b32 v129, v131, 0
	v_cmp_ne_u32_e64 s15, 0, v131
	s_delay_alu instid0(VALU_DEP_2) | instskip(SKIP_1) | instid1(SALU_CYCLE_1)
	v_cmp_eq_u32_e64 s14, 0, v129
	s_and_b32 s15, s15, s14
	s_and_saveexec_b32 s14, s15
	s_cbranch_execz .LBB1421_76
; %bb.75:                               ;   in Loop: Header=BB1421_56 Depth=1
	s_wait_dscnt 0x0
	v_bcnt_u32_b32 v131, v131, v128
	ds_store_b32 v130, v131
.LBB1421_76:                            ;   in Loop: Header=BB1421_56 Depth=1
	s_or_b32 exec_lo, exec_lo, s14
	s_set_vgpr_msb 4                        ;  msbs: dst=0 src0=0 src1=1 src2=0
	v_cmp_ne_u32_e64 s14, 0x7fffffff, v57 /*v313*/
	; wave barrier
	s_delay_alu instid0(VALU_DEP_1) | instskip(SKIP_1) | instid1(VALU_DEP_1)
	v_cndmask_b32_e64 v131, 0x80000000, v57 /*v313*/, s14
	s_set_vgpr_msb 0                        ;  msbs: dst=0 src0=0 src1=0 src2=0
	v_lshrrev_b32_e32 v131, v10, v131
	s_delay_alu instid0(VALU_DEP_1) | instskip(NEXT) | instid1(VALU_DEP_1)
	v_and_b32_e32 v132, v131, v87
	v_lshlrev_b32_e32 v135, 30, v132
	v_bitop3_b32 v131, v131, 1, v87 bitop3:0x80
	s_delay_alu instid0(VALU_DEP_2) | instskip(NEXT) | instid1(VALU_DEP_2)
	v_cmp_gt_i32_e64 s15, 0, v135
	v_add_co_u32 v131, s14, v131, -1
	s_delay_alu instid0(VALU_DEP_1) | instskip(NEXT) | instid1(VALU_DEP_1)
	v_cndmask_b32_e64 v134, 0, 1, s14
	v_cmp_ne_u32_e64 s14, 0, v134
	v_not_b32_e32 v134, v135
	s_delay_alu instid0(VALU_DEP_1)
	v_dual_ashrrev_i32 v134, 31, v134 :: v_dual_lshlrev_b32 v144, 29, v132
	v_dual_lshlrev_b32 v145, 28, v132 :: v_dual_lshlrev_b32 v146, 27, v132
	v_lshlrev_b32_e32 v147, 26, v132
	s_set_vgpr_msb 16                       ;  msbs: dst=0 src0=0 src1=0 src2=1
	v_lshl_add_u32 v133, v132, 3, v17 /*v273*/
	v_cmp_gt_i32_e64 s16, 0, v144
	v_not_b32_e32 v135, v144
	v_not_b32_e32 v144, v145
	v_dual_lshlrev_b32 v148, 25, v132 :: v_dual_lshlrev_b32 v132, 24, v132
	v_cmp_gt_i32_e64 s17, 0, v145
	v_cmp_gt_i32_e64 s18, 0, v146
	v_not_b32_e32 v145, v146
	v_dual_ashrrev_i32 v144, 31, v144 :: v_dual_bitop2_b32 v131, s14, v131 bitop3:0x14
	v_dual_ashrrev_i32 v135, 31, v135 :: v_dual_bitop2_b32 v134, s15, v134 bitop3:0x14
	v_not_b32_e32 v146, v147
	v_cmp_gt_i32_e64 s19, 0, v147
	s_delay_alu instid0(VALU_DEP_3)
	v_dual_ashrrev_i32 v145, 31, v145 :: v_dual_bitop2_b32 v135, s16, v135 bitop3:0x14
	v_xor_b32_e32 v144, s17, v144
	v_bitop3_b32 v131, v131, v134, exec_lo bitop3:0x80
	v_ashrrev_i32_e32 v134, 31, v146
	v_not_b32_e32 v146, v148
	v_not_b32_e32 v147, v132
	v_xor_b32_e32 v145, s18, v145
	s_set_vgpr_msb 0                        ;  msbs: dst=0 src0=0 src1=0 src2=0
	v_bitop3_b32 v131, v131, v144, v135 bitop3:0x80
	v_xor_b32_e32 v134, s19, v134
	v_cmp_gt_i32_e64 s14, 0, v148
	v_ashrrev_i32_e32 v135, 31, v146
	v_cmp_gt_i32_e64 s15, 0, v132
	v_ashrrev_i32_e32 v132, 31, v147
	v_lshl_add_u32 v133, v133, 2, v12
	v_bitop3_b32 v134, v131, v134, v145 bitop3:0x80
	v_xor_b32_e32 v135, s14, v135
	s_delay_alu instid0(VALU_DEP_4) | instskip(SKIP_3) | instid1(VALU_DEP_1)
	v_xor_b32_e32 v132, s15, v132
	ds_load_b32 v131, v133 offset:32
	v_add_nc_u32_e32 v133, 32, v133
	; wave barrier
	v_bitop3_b32 v134, v134, v132, v135 bitop3:0x80
	v_mbcnt_lo_u32_b32 v132, v134, 0
	v_cmp_ne_u32_e64 s15, 0, v134
	s_delay_alu instid0(VALU_DEP_2) | instskip(SKIP_1) | instid1(SALU_CYCLE_1)
	v_cmp_eq_u32_e64 s14, 0, v132
	s_and_b32 s15, s15, s14
	s_and_saveexec_b32 s14, s15
	s_cbranch_execz .LBB1421_78
; %bb.77:                               ;   in Loop: Header=BB1421_56 Depth=1
	s_wait_dscnt 0x0
	v_bcnt_u32_b32 v134, v134, v131
	ds_store_b32 v133, v134
.LBB1421_78:                            ;   in Loop: Header=BB1421_56 Depth=1
	s_or_b32 exec_lo, exec_lo, s14
	s_set_vgpr_msb 4                        ;  msbs: dst=0 src0=0 src1=1 src2=0
	v_cmp_ne_u32_e64 s14, 0x7fffffff, v59 /*v315*/
	; wave barrier
	s_delay_alu instid0(VALU_DEP_1) | instskip(SKIP_1) | instid1(VALU_DEP_1)
	v_cndmask_b32_e64 v134, 0x80000000, v59 /*v315*/, s14
	s_set_vgpr_msb 0                        ;  msbs: dst=0 src0=0 src1=0 src2=0
	v_lshrrev_b32_e32 v134, v10, v134
	s_delay_alu instid0(VALU_DEP_1) | instskip(NEXT) | instid1(VALU_DEP_1)
	v_and_b32_e32 v135, v134, v87
	v_lshlrev_b32_e32 v146, 30, v135
	v_bitop3_b32 v134, v134, 1, v87 bitop3:0x80
	s_delay_alu instid0(VALU_DEP_2) | instskip(NEXT) | instid1(VALU_DEP_2)
	v_cmp_gt_i32_e64 s15, 0, v146
	v_add_co_u32 v134, s14, v134, -1
	s_delay_alu instid0(VALU_DEP_1) | instskip(NEXT) | instid1(VALU_DEP_1)
	v_cndmask_b32_e64 v145, 0, 1, s14
	v_cmp_ne_u32_e64 s14, 0, v145
	v_not_b32_e32 v145, v146
	s_delay_alu instid0(VALU_DEP_1)
	v_dual_ashrrev_i32 v145, 31, v145 :: v_dual_lshlrev_b32 v147, 29, v135
	v_dual_lshlrev_b32 v148, 28, v135 :: v_dual_lshlrev_b32 v149, 27, v135
	v_lshlrev_b32_e32 v150, 26, v135
	s_set_vgpr_msb 16                       ;  msbs: dst=0 src0=0 src1=0 src2=1
	v_lshl_add_u32 v144, v135, 3, v17 /*v273*/
	v_cmp_gt_i32_e64 s16, 0, v147
	v_not_b32_e32 v146, v147
	v_not_b32_e32 v147, v148
	v_dual_lshlrev_b32 v151, 25, v135 :: v_dual_lshlrev_b32 v135, 24, v135
	v_cmp_gt_i32_e64 s17, 0, v148
	v_cmp_gt_i32_e64 s18, 0, v149
	v_not_b32_e32 v148, v149
	v_dual_ashrrev_i32 v147, 31, v147 :: v_dual_bitop2_b32 v134, s14, v134 bitop3:0x14
	v_dual_ashrrev_i32 v146, 31, v146 :: v_dual_bitop2_b32 v145, s15, v145 bitop3:0x14
	v_not_b32_e32 v149, v150
	v_cmp_gt_i32_e64 s19, 0, v150
	s_delay_alu instid0(VALU_DEP_3)
	v_dual_ashrrev_i32 v148, 31, v148 :: v_dual_bitop2_b32 v146, s16, v146 bitop3:0x14
	v_xor_b32_e32 v147, s17, v147
	v_bitop3_b32 v134, v134, v145, exec_lo bitop3:0x80
	v_ashrrev_i32_e32 v145, 31, v149
	v_not_b32_e32 v149, v151
	v_not_b32_e32 v150, v135
	v_xor_b32_e32 v148, s18, v148
	s_set_vgpr_msb 0                        ;  msbs: dst=0 src0=0 src1=0 src2=0
	v_bitop3_b32 v134, v134, v147, v146 bitop3:0x80
	v_xor_b32_e32 v145, s19, v145
	v_cmp_gt_i32_e64 s14, 0, v151
	v_ashrrev_i32_e32 v146, 31, v149
	v_cmp_gt_i32_e64 s15, 0, v135
	v_ashrrev_i32_e32 v135, 31, v150
	v_lshl_add_u32 v144, v144, 2, v12
	v_bitop3_b32 v134, v134, v145, v148 bitop3:0x80
	v_xor_b32_e32 v145, s14, v146
	s_delay_alu instid0(VALU_DEP_4) | instskip(SKIP_3) | instid1(VALU_DEP_2)
	v_xor_b32_e32 v135, s15, v135
	ds_load_b32 v164, v144 offset:32
	; wave barrier
	v_bitop3_b32 v135, v134, v135, v145 bitop3:0x80
	v_add_nc_u32_e32 v134, 32, v144
	v_mbcnt_lo_u32_b32 v176, v135, 0
	v_cmp_ne_u32_e64 s15, 0, v135
	s_delay_alu instid0(VALU_DEP_2) | instskip(SKIP_1) | instid1(SALU_CYCLE_1)
	v_cmp_eq_u32_e64 s14, 0, v176
	s_and_b32 s15, s15, s14
	s_and_saveexec_b32 s14, s15
	s_cbranch_execz .LBB1421_80
; %bb.79:                               ;   in Loop: Header=BB1421_56 Depth=1
	s_wait_dscnt 0x0
	v_bcnt_u32_b32 v135, v135, v164
	ds_store_b32 v134, v135
.LBB1421_80:                            ;   in Loop: Header=BB1421_56 Depth=1
	s_or_b32 exec_lo, exec_lo, s14
	s_set_vgpr_msb 4                        ;  msbs: dst=0 src0=0 src1=1 src2=0
	v_cmp_ne_u32_e64 s14, 0x7fffffff, v58 /*v314*/
	; wave barrier
	s_delay_alu instid0(VALU_DEP_1) | instskip(SKIP_1) | instid1(VALU_DEP_1)
	v_cndmask_b32_e64 v135, 0x80000000, v58 /*v314*/, s14
	s_set_vgpr_msb 0                        ;  msbs: dst=0 src0=0 src1=0 src2=0
	v_lshrrev_b32_e32 v135, v10, v135
	s_delay_alu instid0(VALU_DEP_1) | instskip(NEXT) | instid1(VALU_DEP_1)
	v_and_b32_e32 v144, v135, v87
	v_lshlrev_b32_e32 v147, 30, v144
	v_bitop3_b32 v135, v135, 1, v87 bitop3:0x80
	s_delay_alu instid0(VALU_DEP_2) | instskip(NEXT) | instid1(VALU_DEP_2)
	v_cmp_gt_i32_e64 s15, 0, v147
	v_add_co_u32 v135, s14, v135, -1
	s_delay_alu instid0(VALU_DEP_1) | instskip(NEXT) | instid1(VALU_DEP_1)
	v_cndmask_b32_e64 v146, 0, 1, s14
	v_cmp_ne_u32_e64 s14, 0, v146
	v_not_b32_e32 v146, v147
	s_delay_alu instid0(VALU_DEP_1)
	v_dual_ashrrev_i32 v146, 31, v146 :: v_dual_lshlrev_b32 v148, 29, v144
	v_dual_lshlrev_b32 v149, 28, v144 :: v_dual_lshlrev_b32 v150, 27, v144
	v_lshlrev_b32_e32 v151, 26, v144
	s_set_vgpr_msb 16                       ;  msbs: dst=0 src0=0 src1=0 src2=1
	v_lshl_add_u32 v145, v144, 3, v17 /*v273*/
	v_cmp_gt_i32_e64 s16, 0, v148
	v_not_b32_e32 v147, v148
	v_not_b32_e32 v148, v149
	v_dual_lshlrev_b32 v160, 25, v144 :: v_dual_lshlrev_b32 v144, 24, v144
	v_cmp_gt_i32_e64 s17, 0, v149
	v_cmp_gt_i32_e64 s18, 0, v150
	v_not_b32_e32 v149, v150
	v_dual_ashrrev_i32 v148, 31, v148 :: v_dual_bitop2_b32 v135, s14, v135 bitop3:0x14
	v_dual_ashrrev_i32 v147, 31, v147 :: v_dual_bitop2_b32 v146, s15, v146 bitop3:0x14
	v_not_b32_e32 v150, v151
	v_cmp_gt_i32_e64 s19, 0, v151
	s_delay_alu instid0(VALU_DEP_3)
	v_dual_ashrrev_i32 v149, 31, v149 :: v_dual_bitop2_b32 v147, s16, v147 bitop3:0x14
	v_xor_b32_e32 v148, s17, v148
	v_bitop3_b32 v135, v135, v146, exec_lo bitop3:0x80
	v_ashrrev_i32_e32 v146, 31, v150
	v_not_b32_e32 v150, v160
	v_not_b32_e32 v151, v144
	v_xor_b32_e32 v149, s18, v149
	s_set_vgpr_msb 0                        ;  msbs: dst=0 src0=0 src1=0 src2=0
	v_bitop3_b32 v135, v135, v148, v147 bitop3:0x80
	v_xor_b32_e32 v146, s19, v146
	v_cmp_gt_i32_e64 s14, 0, v160
	v_ashrrev_i32_e32 v147, 31, v150
	v_cmp_gt_i32_e64 s15, 0, v144
	v_ashrrev_i32_e32 v144, 31, v151
	v_lshl_add_u32 v145, v145, 2, v12
	v_bitop3_b32 v135, v135, v146, v149 bitop3:0x80
	v_xor_b32_e32 v146, s14, v147
	s_delay_alu instid0(VALU_DEP_4) | instskip(SKIP_3) | instid1(VALU_DEP_2)
	v_xor_b32_e32 v144, s15, v144
	ds_load_b32 v182, v145 offset:32
	; wave barrier
	v_bitop3_b32 v135, v135, v144, v146 bitop3:0x80
	v_add_nc_u32_e32 v144, 32, v145
	v_mbcnt_lo_u32_b32 v183, v135, 0
	v_cmp_ne_u32_e64 s15, 0, v135
	s_delay_alu instid0(VALU_DEP_2) | instskip(SKIP_1) | instid1(SALU_CYCLE_1)
	v_cmp_eq_u32_e64 s14, 0, v183
	s_and_b32 s15, s15, s14
	s_and_saveexec_b32 s14, s15
	s_cbranch_execz .LBB1421_82
; %bb.81:                               ;   in Loop: Header=BB1421_56 Depth=1
	s_wait_dscnt 0x0
	v_bcnt_u32_b32 v135, v135, v182
	ds_store_b32 v144, v135
.LBB1421_82:                            ;   in Loop: Header=BB1421_56 Depth=1
	s_or_b32 exec_lo, exec_lo, s14
	s_set_vgpr_msb 4                        ;  msbs: dst=0 src0=0 src1=1 src2=0
	v_cmp_ne_u32_e64 s14, 0x7fffffff, v62 /*v318*/
	; wave barrier
	s_delay_alu instid0(VALU_DEP_1) | instskip(SKIP_1) | instid1(VALU_DEP_1)
	v_cndmask_b32_e64 v135, 0x80000000, v62 /*v318*/, s14
	s_set_vgpr_msb 0                        ;  msbs: dst=0 src0=0 src1=0 src2=0
	v_lshrrev_b32_e32 v135, v10, v135
	s_delay_alu instid0(VALU_DEP_1) | instskip(NEXT) | instid1(VALU_DEP_1)
	v_and_b32_e32 v145, v135, v87
	v_lshlrev_b32_e32 v148, 30, v145
	v_bitop3_b32 v135, v135, 1, v87 bitop3:0x80
	v_lshlrev_b32_e32 v149, 29, v145
	s_delay_alu instid0(VALU_DEP_3) | instskip(NEXT) | instid1(VALU_DEP_3)
	v_cmp_gt_i32_e64 s15, 0, v148
	v_add_co_u32 v135, s14, v135, -1
	s_delay_alu instid0(VALU_DEP_1) | instskip(NEXT) | instid1(VALU_DEP_1)
	v_cndmask_b32_e64 v147, 0, 1, s14
	v_cmp_ne_u32_e64 s14, 0, v147
	v_not_b32_e32 v147, v148
	v_not_b32_e32 v148, v149
	s_delay_alu instid0(VALU_DEP_1)
	v_dual_ashrrev_i32 v148, 31, v148 :: v_dual_lshlrev_b32 v150, 28, v145
	s_set_vgpr_msb 16                       ;  msbs: dst=0 src0=0 src1=0 src2=1
	v_lshl_add_u32 v146, v145, 3, v17 /*v273*/
	v_dual_lshlrev_b32 v151, 27, v145 :: v_dual_lshlrev_b32 v160, 26, v145
	v_dual_lshlrev_b32 v161, 25, v145 :: v_dual_lshlrev_b32 v145, 24, v145
	v_cmp_gt_i32_e64 s16, 0, v149
	v_not_b32_e32 v149, v150
	v_ashrrev_i32_e32 v147, 31, v147
	v_cmp_gt_i32_e64 s17, 0, v150
	v_cmp_gt_i32_e64 s18, 0, v151
	v_not_b32_e32 v150, v151
	v_cmp_gt_i32_e64 s19, 0, v160
	v_dual_ashrrev_i32 v149, 31, v149 :: v_dual_bitop2_b32 v135, s14, v135 bitop3:0x14
	v_not_b32_e32 v151, v160
	v_not_b32_e32 v160, v145
	v_dual_ashrrev_i32 v150, 31, v150 :: v_dual_bitop2_b32 v147, s15, v147 bitop3:0x14
	v_xor_b32_e32 v148, s16, v148
	v_cmp_gt_i32_e64 s15, 0, v145
	s_delay_alu instid0(VALU_DEP_4) | instskip(NEXT) | instid1(VALU_DEP_4)
	v_ashrrev_i32_e32 v145, 31, v160
	v_bitop3_b32 v135, v135, v147, exec_lo bitop3:0x80
	v_ashrrev_i32_e32 v147, 31, v151
	v_not_b32_e32 v151, v161
	v_xor_b32_e32 v149, s17, v149
	v_xor_b32_e32 v150, s18, v150
	v_cmp_gt_i32_e64 s14, 0, v161
	s_set_vgpr_msb 0                        ;  msbs: dst=0 src0=0 src1=0 src2=0
	v_lshl_add_u32 v146, v146, 2, v12
	v_xor_b32_e32 v147, s19, v147
	v_bitop3_b32 v135, v135, v149, v148 bitop3:0x80
	v_dual_ashrrev_i32 v148, 31, v151 :: v_dual_bitop2_b32 v145, s15, v145 bitop3:0x14
	ds_load_b32 v192, v146 offset:32
	v_add_nc_u32_e32 v146, 32, v146
	v_bitop3_b32 v135, v135, v147, v150 bitop3:0x80
	v_xor_b32_e32 v147, s14, v148
	; wave barrier
	s_delay_alu instid0(VALU_DEP_1) | instskip(NEXT) | instid1(VALU_DEP_1)
	v_bitop3_b32 v135, v135, v145, v147 bitop3:0x80
	v_mbcnt_lo_u32_b32 v196, v135, 0
	v_cmp_ne_u32_e64 s15, 0, v135
	s_delay_alu instid0(VALU_DEP_2) | instskip(SKIP_1) | instid1(SALU_CYCLE_1)
	v_cmp_eq_u32_e64 s14, 0, v196
	s_and_b32 s15, s15, s14
	s_and_saveexec_b32 s14, s15
	s_cbranch_execz .LBB1421_84
; %bb.83:                               ;   in Loop: Header=BB1421_56 Depth=1
	s_wait_dscnt 0x0
	v_bcnt_u32_b32 v135, v135, v192
	ds_store_b32 v146, v135
.LBB1421_84:                            ;   in Loop: Header=BB1421_56 Depth=1
	s_or_b32 exec_lo, exec_lo, s14
	s_set_vgpr_msb 4                        ;  msbs: dst=0 src0=0 src1=1 src2=0
	v_cmp_ne_u32_e64 s14, 0x7fffffff, v61 /*v317*/
	; wave barrier
	s_delay_alu instid0(VALU_DEP_1) | instskip(SKIP_1) | instid1(VALU_DEP_1)
	v_cndmask_b32_e64 v135, 0x80000000, v61 /*v317*/, s14
	s_set_vgpr_msb 0                        ;  msbs: dst=0 src0=0 src1=0 src2=0
	v_lshrrev_b32_e32 v135, v10, v135
	s_delay_alu instid0(VALU_DEP_1) | instskip(NEXT) | instid1(VALU_DEP_1)
	v_and_b32_e32 v145, v135, v87
	v_lshlrev_b32_e32 v149, 30, v145
	v_bitop3_b32 v135, v135, 1, v87 bitop3:0x80
	s_delay_alu instid0(VALU_DEP_2) | instskip(NEXT) | instid1(VALU_DEP_2)
	v_cmp_gt_i32_e64 s15, 0, v149
	v_add_co_u32 v135, s14, v135, -1
	s_delay_alu instid0(VALU_DEP_1) | instskip(NEXT) | instid1(VALU_DEP_1)
	v_cndmask_b32_e64 v148, 0, 1, s14
	v_cmp_ne_u32_e64 s14, 0, v148
	v_not_b32_e32 v148, v149
	s_delay_alu instid0(VALU_DEP_1)
	v_dual_ashrrev_i32 v148, 31, v148 :: v_dual_lshlrev_b32 v150, 29, v145
	v_dual_lshlrev_b32 v151, 28, v145 :: v_dual_lshlrev_b32 v160, 27, v145
	v_lshlrev_b32_e32 v161, 26, v145
	s_set_vgpr_msb 16                       ;  msbs: dst=0 src0=0 src1=0 src2=1
	v_lshl_add_u32 v147, v145, 3, v17 /*v273*/
	v_cmp_gt_i32_e64 s16, 0, v150
	v_not_b32_e32 v149, v150
	v_not_b32_e32 v150, v151
	v_dual_lshlrev_b32 v162, 25, v145 :: v_dual_lshlrev_b32 v145, 24, v145
	v_cmp_gt_i32_e64 s17, 0, v151
	v_cmp_gt_i32_e64 s18, 0, v160
	v_not_b32_e32 v151, v160
	v_dual_ashrrev_i32 v149, 31, v149 :: v_dual_bitop2_b32 v135, s14, v135 bitop3:0x14
	v_dual_ashrrev_i32 v150, 31, v150 :: v_dual_bitop2_b32 v148, s15, v148 bitop3:0x14
	v_not_b32_e32 v160, v161
	v_cmp_gt_i32_e64 s19, 0, v161
	s_delay_alu instid0(VALU_DEP_4) | instskip(NEXT) | instid1(VALU_DEP_4)
	v_dual_ashrrev_i32 v151, 31, v151 :: v_dual_bitop2_b32 v149, s16, v149 bitop3:0x14
	v_xor_b32_e32 v150, s17, v150
	v_bitop3_b32 v135, v135, v148, exec_lo bitop3:0x80
	v_ashrrev_i32_e32 v148, 31, v160
	v_not_b32_e32 v160, v162
	v_not_b32_e32 v161, v145
	v_xor_b32_e32 v151, s18, v151
	s_set_vgpr_msb 0                        ;  msbs: dst=0 src0=0 src1=0 src2=0
	v_bitop3_b32 v135, v135, v150, v149 bitop3:0x80
	v_xor_b32_e32 v148, s19, v148
	v_cmp_gt_i32_e64 s14, 0, v162
	v_ashrrev_i32_e32 v149, 31, v160
	v_cmp_gt_i32_e64 s15, 0, v145
	v_ashrrev_i32_e32 v145, 31, v161
	v_lshl_add_u32 v147, v147, 2, v12
	v_bitop3_b32 v135, v135, v148, v151 bitop3:0x80
	v_xor_b32_e32 v148, s14, v149
	s_delay_alu instid0(VALU_DEP_4) | instskip(SKIP_3) | instid1(VALU_DEP_2)
	v_xor_b32_e32 v145, s15, v145
	ds_load_b32 v198, v147 offset:32
	; wave barrier
	v_bitop3_b32 v135, v135, v145, v148 bitop3:0x80
	v_add_nc_u32_e32 v148, 32, v147
	v_mbcnt_lo_u32_b32 v208, v135, 0
	v_cmp_ne_u32_e64 s15, 0, v135
	s_delay_alu instid0(VALU_DEP_2) | instskip(SKIP_1) | instid1(SALU_CYCLE_1)
	v_cmp_eq_u32_e64 s14, 0, v208
	s_and_b32 s15, s15, s14
	s_and_saveexec_b32 s14, s15
	s_cbranch_execz .LBB1421_86
; %bb.85:                               ;   in Loop: Header=BB1421_56 Depth=1
	s_wait_dscnt 0x0
	v_bcnt_u32_b32 v135, v135, v198
	ds_store_b32 v148, v135
.LBB1421_86:                            ;   in Loop: Header=BB1421_56 Depth=1
	s_or_b32 exec_lo, exec_lo, s14
	s_set_vgpr_msb 4                        ;  msbs: dst=0 src0=0 src1=1 src2=0
	v_cmp_ne_u32_e64 s14, 0x7fffffff, v60 /*v316*/
	; wave barrier
	s_delay_alu instid0(VALU_DEP_1) | instskip(SKIP_1) | instid1(VALU_DEP_1)
	v_cndmask_b32_e64 v135, 0x80000000, v60 /*v316*/, s14
	s_set_vgpr_msb 0                        ;  msbs: dst=0 src0=0 src1=0 src2=0
	v_lshrrev_b32_e32 v135, v10, v135
	s_delay_alu instid0(VALU_DEP_1) | instskip(NEXT) | instid1(VALU_DEP_1)
	v_and_b32_e32 v145, v135, v87
	v_lshlrev_b32_e32 v150, 30, v145
	v_bitop3_b32 v135, v135, 1, v87 bitop3:0x80
	s_delay_alu instid0(VALU_DEP_2) | instskip(NEXT) | instid1(VALU_DEP_2)
	v_cmp_gt_i32_e64 s15, 0, v150
	v_add_co_u32 v135, s14, v135, -1
	s_delay_alu instid0(VALU_DEP_1) | instskip(NEXT) | instid1(VALU_DEP_1)
	v_cndmask_b32_e64 v149, 0, 1, s14
	v_cmp_ne_u32_e64 s14, 0, v149
	v_not_b32_e32 v149, v150
	s_delay_alu instid0(VALU_DEP_1) | instskip(SKIP_4) | instid1(VALU_DEP_3)
	v_ashrrev_i32_e32 v149, 31, v149
	v_dual_lshlrev_b32 v151, 29, v145 :: v_dual_lshlrev_b32 v160, 28, v145
	v_dual_lshlrev_b32 v161, 27, v145 :: v_dual_lshlrev_b32 v162, 26, v145
	s_set_vgpr_msb 16                       ;  msbs: dst=0 src0=0 src1=0 src2=1
	v_lshl_add_u32 v147, v145, 3, v17 /*v273*/
	v_cmp_gt_i32_e64 s16, 0, v151
	v_not_b32_e32 v150, v151
	v_not_b32_e32 v151, v160
	v_dual_lshlrev_b32 v163, 25, v145 :: v_dual_lshlrev_b32 v145, 24, v145
	v_cmp_gt_i32_e64 s17, 0, v160
	v_cmp_gt_i32_e64 s18, 0, v161
	v_not_b32_e32 v160, v161
	v_dual_ashrrev_i32 v150, 31, v150 :: v_dual_bitop2_b32 v135, s14, v135 bitop3:0x14
	v_dual_ashrrev_i32 v151, 31, v151 :: v_dual_bitop2_b32 v149, s15, v149 bitop3:0x14
	v_not_b32_e32 v161, v162
	v_cmp_gt_i32_e64 s19, 0, v162
	s_delay_alu instid0(VALU_DEP_4) | instskip(NEXT) | instid1(VALU_DEP_4)
	v_dual_ashrrev_i32 v160, 31, v160 :: v_dual_bitop2_b32 v150, s16, v150 bitop3:0x14
	v_xor_b32_e32 v151, s17, v151
	v_bitop3_b32 v135, v135, v149, exec_lo bitop3:0x80
	v_ashrrev_i32_e32 v149, 31, v161
	v_not_b32_e32 v161, v163
	v_not_b32_e32 v162, v145
	v_xor_b32_e32 v160, s18, v160
	s_set_vgpr_msb 0                        ;  msbs: dst=0 src0=0 src1=0 src2=0
	v_bitop3_b32 v135, v135, v151, v150 bitop3:0x80
	v_xor_b32_e32 v149, s19, v149
	v_cmp_gt_i32_e64 s14, 0, v163
	v_ashrrev_i32_e32 v150, 31, v161
	v_cmp_gt_i32_e64 s15, 0, v145
	v_ashrrev_i32_e32 v145, 31, v162
	v_lshl_add_u32 v147, v147, 2, v12
	v_bitop3_b32 v135, v135, v149, v160 bitop3:0x80
	v_xor_b32_e32 v149, s14, v150
	s_delay_alu instid0(VALU_DEP_4) | instskip(SKIP_3) | instid1(VALU_DEP_1)
	v_xor_b32_e32 v145, s15, v145
	ds_load_b32 v209, v147 offset:32
	v_add_nc_u32_e32 v150, 32, v147
	; wave barrier
	v_bitop3_b32 v135, v135, v145, v149 bitop3:0x80
	v_mbcnt_lo_u32_b32 v210, v135, 0
	v_cmp_ne_u32_e64 s15, 0, v135
	s_delay_alu instid0(VALU_DEP_2) | instskip(SKIP_1) | instid1(SALU_CYCLE_1)
	v_cmp_eq_u32_e64 s14, 0, v210
	s_and_b32 s15, s15, s14
	s_and_saveexec_b32 s14, s15
	s_cbranch_execz .LBB1421_88
; %bb.87:                               ;   in Loop: Header=BB1421_56 Depth=1
	s_wait_dscnt 0x0
	v_bcnt_u32_b32 v135, v135, v209
	ds_store_b32 v150, v135
.LBB1421_88:                            ;   in Loop: Header=BB1421_56 Depth=1
	s_or_b32 exec_lo, exec_lo, s14
	s_set_vgpr_msb 4                        ;  msbs: dst=0 src0=0 src1=1 src2=0
	v_cmp_ne_u32_e64 s14, 0x7fffffff, v63 /*v319*/
	; wave barrier
	s_delay_alu instid0(VALU_DEP_1) | instskip(SKIP_1) | instid1(VALU_DEP_1)
	v_cndmask_b32_e64 v135, 0x80000000, v63 /*v319*/, s14
	s_set_vgpr_msb 0                        ;  msbs: dst=0 src0=0 src1=0 src2=0
	v_lshrrev_b32_e32 v135, v10, v135
	s_delay_alu instid0(VALU_DEP_1) | instskip(NEXT) | instid1(VALU_DEP_1)
	v_and_b32_e32 v145, v135, v87
	v_lshlrev_b32_e32 v149, 30, v145
	v_bitop3_b32 v87, v135, 1, v87 bitop3:0x80
	v_lshlrev_b32_e32 v151, 29, v145
	s_delay_alu instid0(VALU_DEP_3) | instskip(NEXT) | instid1(VALU_DEP_3)
	v_cmp_gt_i32_e64 s15, 0, v149
	v_add_co_u32 v87, s14, v87, -1
	s_delay_alu instid0(VALU_DEP_1) | instskip(NEXT) | instid1(VALU_DEP_1)
	v_cndmask_b32_e64 v147, 0, 1, s14
	v_cmp_ne_u32_e64 s14, 0, v147
	v_not_b32_e32 v147, v149
	v_not_b32_e32 v149, v151
	s_delay_alu instid0(VALU_DEP_1)
	v_ashrrev_i32_e32 v149, 31, v149
	v_dual_lshlrev_b32 v160, 28, v145 :: v_dual_lshlrev_b32 v161, 27, v145
	v_lshlrev_b32_e32 v162, 26, v145
	v_cmp_gt_i32_e64 s16, 0, v151
	s_set_vgpr_msb 16                       ;  msbs: dst=0 src0=0 src1=0 src2=1
	v_lshl_add_u32 v135, v145, 3, v17 /*v273*/
	v_cmp_gt_i32_e64 s17, 0, v160
	v_not_b32_e32 v151, v160
	v_not_b32_e32 v160, v161
	v_dual_ashrrev_i32 v147, 31, v147 :: v_dual_lshlrev_b32 v163, 25, v145
	v_lshlrev_b32_e32 v145, 24, v145
	v_cmp_gt_i32_e64 s18, 0, v161
	v_dual_ashrrev_i32 v151, 31, v151 :: v_dual_bitop2_b32 v149, s16, v149 bitop3:0x14
	v_not_b32_e32 v161, v162
	v_dual_ashrrev_i32 v160, 31, v160 :: v_dual_bitop2_b32 v87, s14, v87 bitop3:0x14
	v_xor_b32_e32 v147, s15, v147
	v_cmp_gt_i32_e64 s19, 0, v162
	v_not_b32_e32 v162, v145
	v_xor_b32_e32 v151, s17, v151
	v_xor_b32_e32 v160, s18, v160
	v_bitop3_b32 v87, v87, v147, exec_lo bitop3:0x80
	v_ashrrev_i32_e32 v147, 31, v161
	v_not_b32_e32 v161, v163
	v_cmp_gt_i32_e64 s14, 0, v163
	v_cmp_gt_i32_e64 s15, 0, v145
	v_ashrrev_i32_e32 v145, 31, v162
	s_set_vgpr_msb 0                        ;  msbs: dst=0 src0=0 src1=0 src2=0
	v_bitop3_b32 v87, v87, v151, v149 bitop3:0x80
	v_dual_ashrrev_i32 v149, 31, v161 :: v_dual_bitop2_b32 v147, s19, v147 bitop3:0x14
	v_lshl_add_u32 v151, v135, 2, v12
	v_xor_b32_e32 v145, s15, v145
	s_delay_alu instid0(VALU_DEP_3) | instskip(NEXT) | instid1(VALU_DEP_3)
	v_bitop3_b32 v135, v87, v147, v160 bitop3:0x80
	v_dual_add_nc_u32 v160, 32, v151 :: v_dual_bitop2_b32 v147, s14, v149 bitop3:0x14
	ds_load_b32 v87, v151 offset:32
	; wave barrier
	v_bitop3_b32 v135, v135, v145, v147 bitop3:0x80
	s_delay_alu instid0(VALU_DEP_1) | instskip(SKIP_1) | instid1(VALU_DEP_2)
	v_mbcnt_lo_u32_b32 v211, v135, 0
	v_cmp_ne_u32_e64 s15, 0, v135
	v_cmp_eq_u32_e64 s14, 0, v211
	s_and_b32 s15, s15, s14
	s_delay_alu instid0(SALU_CYCLE_1)
	s_and_saveexec_b32 s14, s15
	s_cbranch_execz .LBB1421_90
; %bb.89:                               ;   in Loop: Header=BB1421_56 Depth=1
	s_wait_dscnt 0x0
	v_bcnt_u32_b32 v135, v135, v87
	ds_store_b32 v160, v135
.LBB1421_90:                            ;   in Loop: Header=BB1421_56 Depth=1
	s_or_b32 exec_lo, exec_lo, s14
	; wave barrier
	s_wait_dscnt 0x0
	s_barrier_signal -1
	s_barrier_wait -1
	ds_load_b32 v145, v23
	ds_load_b32 v149, v39
	s_set_vgpr_msb 1                        ;  msbs: dst=0 src0=1 src1=0 src2=0
	ds_load_b32 v135, v11 /*v267*/
	ds_load_b32 v147, v12 /*v268*/
	;; [unrolled: 1-line block ×6, first 2 shown]
	s_wait_dscnt 0x6
	s_set_vgpr_msb 0                        ;  msbs: dst=0 src0=0 src1=0 src2=0
	v_add_nc_u32_e32 v161, v149, v145
	s_wait_dscnt 0x4
	s_delay_alu instid0(VALU_DEP_1) | instskip(SKIP_1) | instid1(VALU_DEP_1)
	v_add3_u32 v161, v161, v135, v147
	s_wait_dscnt 0x2
	v_add3_u32 v161, v161, v165, v166
	s_wait_dscnt 0x0
	s_delay_alu instid0(VALU_DEP_1) | instskip(NEXT) | instid1(VALU_DEP_1)
	v_add3_u32 v151, v161, v162, v151
	v_mov_b32_dpp v161, v151 row_shr:1 row_mask:0xf bank_mask:0xf
	s_delay_alu instid0(VALU_DEP_1) | instskip(NEXT) | instid1(VALU_DEP_1)
	v_cndmask_b32_e64 v161, v161, 0, vcc_lo
	v_add_nc_u32_e32 v151, v161, v151
	s_delay_alu instid0(VALU_DEP_1) | instskip(NEXT) | instid1(VALU_DEP_1)
	v_mov_b32_dpp v161, v151 row_shr:2 row_mask:0xf bank_mask:0xf
	v_cndmask_b32_e64 v161, 0, v161, s0
	s_delay_alu instid0(VALU_DEP_1) | instskip(NEXT) | instid1(VALU_DEP_1)
	v_add_nc_u32_e32 v151, v151, v161
	v_mov_b32_dpp v161, v151 row_shr:4 row_mask:0xf bank_mask:0xf
	s_delay_alu instid0(VALU_DEP_1) | instskip(NEXT) | instid1(VALU_DEP_1)
	v_cndmask_b32_e64 v161, 0, v161, s1
	v_add_nc_u32_e32 v151, v151, v161
	s_delay_alu instid0(VALU_DEP_1) | instskip(NEXT) | instid1(VALU_DEP_1)
	v_mov_b32_dpp v161, v151 row_shr:8 row_mask:0xf bank_mask:0xf
	v_cndmask_b32_e64 v161, 0, v161, s3
	s_delay_alu instid0(VALU_DEP_1) | instskip(SKIP_3) | instid1(VALU_DEP_1)
	v_add_nc_u32_e32 v151, v151, v161
	ds_swizzle_b32 v161, v151 offset:swizzle(BROADCAST,32,15)
	s_wait_dscnt 0x0
	v_cndmask_b32_e64 v161, v161, 0, s4
	v_add_nc_u32_e32 v151, v151, v161
	s_and_saveexec_b32 s14, s5
; %bb.91:                               ;   in Loop: Header=BB1421_56 Depth=1
	s_set_vgpr_msb 1                        ;  msbs: dst=0 src0=1 src1=0 src2=0
	ds_store_b32 v19 /*v275*/, v151
; %bb.92:                               ;   in Loop: Header=BB1421_56 Depth=1
	s_or_b32 exec_lo, exec_lo, s14
	s_wait_dscnt 0x0
	s_barrier_signal -1
	s_barrier_wait -1
	s_and_saveexec_b32 s14, s6
	s_set_vgpr_msb 0                        ;  msbs: dst=0 src0=0 src1=0 src2=0
	s_cbranch_execz .LBB1421_94
; %bb.93:                               ;   in Loop: Header=BB1421_56 Depth=1
	ds_load_b32 v161, v4
	s_wait_dscnt 0x0
	v_mov_b32_dpp v163, v161 row_shr:1 row_mask:0xf bank_mask:0xf
	s_delay_alu instid0(VALU_DEP_1) | instskip(NEXT) | instid1(VALU_DEP_1)
	v_cndmask_b32_e64 v163, v163, 0, s11
	v_add_nc_u32_e32 v161, v163, v161
	s_delay_alu instid0(VALU_DEP_1) | instskip(NEXT) | instid1(VALU_DEP_1)
	v_mov_b32_dpp v163, v161 row_shr:2 row_mask:0xf bank_mask:0xf
	v_cndmask_b32_e64 v163, 0, v163, s12
	s_delay_alu instid0(VALU_DEP_1) | instskip(NEXT) | instid1(VALU_DEP_1)
	v_add_nc_u32_e32 v161, v161, v163
	v_mov_b32_dpp v163, v161 row_shr:4 row_mask:0xf bank_mask:0xf
	s_delay_alu instid0(VALU_DEP_1) | instskip(NEXT) | instid1(VALU_DEP_1)
	v_cndmask_b32_e64 v163, 0, v163, s13
	v_add_nc_u32_e32 v161, v161, v163
	ds_store_b32 v4, v161
.LBB1421_94:                            ;   in Loop: Header=BB1421_56 Depth=1
	s_or_b32 exec_lo, exec_lo, s14
	v_mov_b32_e32 v161, 0
	s_wait_dscnt 0x0
	s_barrier_signal -1
	s_barrier_wait -1
	s_and_saveexec_b32 s14, s7
; %bb.95:                               ;   in Loop: Header=BB1421_56 Depth=1
	s_set_vgpr_msb 4                        ;  msbs: dst=0 src0=0 src1=1 src2=0
	v_add_nc_u32_e32 v161, -4, v19 /*v275*/
	ds_load_b32 v161, v161
; %bb.96:                               ;   in Loop: Header=BB1421_56 Depth=1
	s_or_b32 exec_lo, exec_lo, s14
	s_wait_dscnt 0x0
	s_set_vgpr_msb 0                        ;  msbs: dst=0 src0=0 src1=0 src2=0
	v_add_nc_u32_e32 v151, v161, v151
	v_dual_mov_b32 v163, v1 :: v_dual_mov_b32 v179, v1
	v_dual_mov_b32 v181, v1 :: v_dual_mov_b32 v195, v1
	s_set_vgpr_msb 1                        ;  msbs: dst=0 src0=1 src1=0 src2=0
	ds_bpermute_b32 v151, v18 /*v274*/, v151
	s_mov_b32 s16, -1
	s_set_vgpr_msb 0                        ;  msbs: dst=0 src0=0 src1=0 src2=0
	v_dual_mov_b32 v177, v1 :: v_dual_add_nc_u32 v10, 8, v10
	s_delay_alu instid0(VALU_DEP_1) | instskip(SKIP_2) | instid1(VALU_DEP_1)
	v_cmp_lt_u32_e64 s14, v10, v11
	s_wait_dscnt 0x0
	v_dual_cndmask_b32 v151, v151, v161, s2 :: v_dual_mov_b32 v161, v1
	v_cndmask_b32_e64 v178, v151, 0, s10
	s_delay_alu instid0(VALU_DEP_1) | instskip(NEXT) | instid1(VALU_DEP_1)
	v_dual_mov_b32 v151, v1 :: v_dual_add_nc_u32 v180, v178, v145
	v_dual_mov_b32 v145, v1 :: v_dual_add_nc_u32 v194, v180, v149
	ds_store_b32 v23, v178
	ds_store_b32 v39, v180
	s_set_vgpr_msb 1                        ;  msbs: dst=0 src0=1 src1=0 src2=0
	ds_store_b32 v11 /*v267*/, v194
	s_set_vgpr_msb 0                        ;  msbs: dst=0 src0=0 src1=0 src2=0
	v_dual_mov_b32 v149, v1 :: v_dual_add_nc_u32 v197, v194, v135
	v_mov_b32_e32 v135, v1
	s_delay_alu instid0(VALU_DEP_2) | instskip(SKIP_1) | instid1(VALU_DEP_2)
	v_add_nc_u32_e32 v199, v197, v147
	v_dual_mov_b32 v167, v1 :: v_dual_mov_b32 v147, v1
	v_dual_mov_b32 v165, v1 :: v_dual_add_nc_u32 v212, v199, v165
	s_delay_alu instid0(VALU_DEP_1) | instskip(NEXT) | instid1(VALU_DEP_1)
	v_dual_mov_b32 v193, v1 :: v_dual_add_nc_u32 v166, v212, v166
	v_add_nc_u32_e32 v162, v166, v162
	s_set_vgpr_msb 1                        ;  msbs: dst=0 src0=1 src1=0 src2=0
	ds_store_b32 v12 /*v268*/, v197
	ds_store_b32 v13 /*v269*/, v199
	;; [unrolled: 1-line block ×5, first 2 shown]
	s_wait_dscnt 0x0
	s_barrier_signal -1
	s_barrier_wait -1
	s_set_vgpr_msb 0                        ;  msbs: dst=0 src0=0 src1=0 src2=0
	ds_load_b32 v70, v70
	ds_load_b32 v81, v81
	;; [unrolled: 1-line block ×17, first 2 shown]
	v_dual_mov_b32 v197, v1 :: v_dual_mov_b32 v199, v1
	s_wait_dscnt 0x0
	v_add_nc_u32_e32 v0, v70, v0
	v_add3_u32 v150, v80, v71, v81
	v_add3_u32 v134, v83, v82, v84
	;; [unrolled: 1-line block ×16, first 2 shown]
	s_set_vgpr_msb 64                       ;  msbs: dst=1 src0=0 src1=0 src2=0
	v_lshl_add_u64 v[8:9] /*v[264:265]*/, v[0:1], 2, v[12:13]
	v_lshl_add_u64 v[6:7] /*v[262:263]*/, v[150:151], 2, v[12:13]
	;; [unrolled: 1-line block ×5, first 2 shown]
	s_set_vgpr_msb 0                        ;  msbs: dst=0 src0=0 src1=0 src2=0
	v_lshl_add_u64 v[246:247], v[162:163], 2, v[12:13]
	v_lshl_add_u64 v[244:245], v[178:179], 2, v[12:13]
	;; [unrolled: 1-line block ×12, first 2 shown]
                                        ; implicit-def: $vgpr70_vgpr71
                                        ; implicit-def: $vgpr80_vgpr81
                                        ; implicit-def: $vgpr82_vgpr83
                                        ; implicit-def: $vgpr84_vgpr85
                                        ; implicit-def: $vgpr86_vgpr87
                                        ; implicit-def: $vgpr96_vgpr97
                                        ; implicit-def: $vgpr98_vgpr99
                                        ; implicit-def: $vgpr100_vgpr101
                                        ; implicit-def: $vgpr102_vgpr103
                                        ; implicit-def: $vgpr112_vgpr113
                                        ; implicit-def: $vgpr114_vgpr115
                                        ; implicit-def: $vgpr118_vgpr119
                                        ; implicit-def: $vgpr130_vgpr131
                                        ; implicit-def: $vgpr116_vgpr117
                                        ; implicit-def: $vgpr128_vgpr129
                                        ; implicit-def: $vgpr132_vgpr133
                                        ; implicit-def: $vgpr182_vgpr183
                                        ; implicit-def: $vgpr209
                                        ; implicit-def: $vgpr163
                                        ; implicit-def: $vgpr165
                                        ; implicit-def: $vgpr167
                                        ; implicit-def: $vgpr197
                                        ; implicit-def: $vgpr181
                                        ; implicit-def: $vgpr193
                                        ; implicit-def: $vgpr177
                                        ; implicit-def: $vgpr179
                                        ; implicit-def: $vgpr199
                                        ; implicit-def: $vgpr195
                                        ; implicit-def: $vgpr135
                                        ; implicit-def: $vgpr147
                                        ; implicit-def: $vgpr145
                                        ; implicit-def: $vgpr149
                                        ; implicit-def: $vgpr161
                                        ; implicit-def: $vgpr151
	s_and_saveexec_b32 s15, s14
	s_cbranch_execz .LBB1421_55
; %bb.97:                               ;   in Loop: Header=BB1421_56 Depth=1
	s_set_vgpr_msb 5                        ;  msbs: dst=0 src0=1 src1=1 src2=0
	v_add_nc_u32_e32 v70, 0x80, v20 /*v276*/
	v_add_nc_u32_e32 v71, 0x100, v20 /*v276*/
	s_barrier_signal -1
	s_barrier_wait -1
	ds_store_b32 v8 /*v264*/, v47 /*v303*/
	ds_store_b32 v6 /*v262*/, v50 /*v306*/
	;; [unrolled: 1-line block ×5, first 2 shown]
	s_set_vgpr_msb 4                        ;  msbs: dst=0 src0=0 src1=1 src2=0
	ds_store_b32 v246, v53 /*v309*/
	ds_store_b32 v244, v52 /*v308*/
	;; [unrolled: 1-line block ×12, first 2 shown]
	s_wait_dscnt 0x0
	s_barrier_signal -1
	s_barrier_wait -1
	s_set_vgpr_msb 1                        ;  msbs: dst=0 src0=1 src1=0 src2=0
	ds_load_b32 v209, v20 /*v276*/
	s_set_vgpr_msb 4                        ;  msbs: dst=0 src0=0 src1=1 src2=0
	ds_load_b32 v163, v70
	ds_load_b32 v165, v71
	v_add_nc_u32_e32 v70, 0x180, v20 /*v276*/
	v_add_nc_u32_e32 v71, 0x200, v20 /*v276*/
	;; [unrolled: 1-line block ×5, first 2 shown]
	ds_load_b32 v167, v70
	ds_load_b32 v197, v71
	;; [unrolled: 1-line block ×6, first 2 shown]
	s_set_vgpr_msb 1                        ;  msbs: dst=0 src0=1 src1=0 src2=0
	ds_load_b32 v199, v21 /*v277*/
	ds_load_b32 v195, v22 /*v278*/
	;; [unrolled: 1-line block ×8, first 2 shown]
	s_set_vgpr_msb 16                       ;  msbs: dst=0 src0=0 src1=0 src2=1
	v_lshl_add_u32 v70, v0, 2, v8 /*v264*/
	v_lshl_add_u32 v71, v150, 2, v6 /*v262*/
	s_wait_dscnt 0x0
	s_barrier_signal -1
	s_barrier_wait -1
	ds_store_b64 v70, v[50:51]
	ds_store_b64 v71, v[48:49]
	v_lshl_add_u32 v70, v134, 2, v4 /*v260*/
	v_lshl_add_u32 v71, v144, 2, v2 /*v258*/
	;; [unrolled: 1-line block ×3, first 2 shown]
	s_set_vgpr_msb 0                        ;  msbs: dst=0 src0=0 src1=0 src2=0
	v_lshl_add_u32 v81, v162, 2, v246
	v_lshl_add_u32 v82, v178, 2, v244
	ds_store_b64 v70, v[36:37]
	ds_store_b64 v71, v[34:35]
	;; [unrolled: 1-line block ×5, first 2 shown]
	v_lshl_add_u32 v70, v146, 2, v242
	v_lshl_add_u32 v71, v160, 2, v240
	;; [unrolled: 1-line block ×5, first 2 shown]
	ds_store_b64 v70, v[20:21]
	ds_store_b64 v71, v[18:19]
	;; [unrolled: 1-line block ×5, first 2 shown]
	v_lshl_add_u32 v70, v164, 2, v224
	v_lshl_add_u32 v71, v176, 2, v214
	;; [unrolled: 1-line block ×5, first 2 shown]
	ds_store_b64 v70, v[14:15]
	ds_store_b64 v71, v[66:67]
	;; [unrolled: 1-line block ×5, first 2 shown]
	s_wait_dscnt 0x0
	s_barrier_signal -1
	s_barrier_wait -1
	s_set_vgpr_msb 1                        ;  msbs: dst=0 src0=1 src1=0 src2=0
	ds_load_b64 v[70:71], v25 /*v281*/
	ds_load_b64 v[80:81], v30 /*v286*/
	;; [unrolled: 1-line block ×17, first 2 shown]
	s_set_vgpr_msb 0x44                     ;  msbs: dst=1 src0=0 src1=1 src2=0
	v_add_nc_u32_e32 v46 /*v302*/, -8, v46 /*v302*/
	s_xor_b32 s16, exec_lo, -1
	s_wait_dscnt 0x0
	s_barrier_signal -1
	s_barrier_wait -1
	s_set_vgpr_msb 0                        ;  msbs: dst=0 src0=0 src1=0 src2=0
	s_branch .LBB1421_55
.LBB1421_98:
	s_or_b32 exec_lo, exec_lo, s24
	s_set_vgpr_msb 16                       ;  msbs: dst=0 src0=0 src1=0 src2=1
	v_lshl_add_u32 v0, v0, 2, v8 /*v264*/
	v_lshl_add_u32 v1, v150, 2, v6 /*v262*/
	s_barrier_signal -1
	s_barrier_wait -1
	s_set_vgpr_msb 5                        ;  msbs: dst=0 src0=1 src1=1 src2=0
	ds_store_b32 v8 /*v264*/, v47 /*v303*/
	ds_store_b32 v6 /*v262*/, v50 /*v306*/
	;; [unrolled: 1-line block ×5, first 2 shown]
	s_set_vgpr_msb 4                        ;  msbs: dst=0 src0=0 src1=1 src2=0
	ds_store_b32 v246, v53 /*v309*/
	ds_store_b32 v244, v52 /*v308*/
	;; [unrolled: 1-line block ×12, first 2 shown]
	s_wait_dscnt 0x0
	s_barrier_signal -1
	s_barrier_wait -1
	ds_load_2addr_stride64_b32 v[98:99], v4 offset1:4
	ds_load_2addr_stride64_b32 v[96:97], v4 offset0:8 offset1:12
	ds_load_2addr_stride64_b32 v[86:87], v4 offset0:16 offset1:20
	;; [unrolled: 1-line block ×7, first 2 shown]
	ds_load_b32 v4, v4 offset:16384
	s_wait_dscnt 0x0
	s_barrier_signal -1
	s_barrier_wait -1
	s_set_vgpr_msb 16                       ;  msbs: dst=0 src0=0 src1=0 src2=1
	ds_store_b64 v0, v[50:51]
	ds_store_b64 v1, v[48:49]
	v_lshl_add_u32 v0, v134, 2, v4 /*v260*/
	v_lshl_add_u32 v1, v144, 2, v2 /*v258*/
	v_lshl_add_u32 v5, v148, 2, v0 /*v256*/
	s_set_vgpr_msb 0                        ;  msbs: dst=0 src0=0 src1=0 src2=0
	v_lshl_add_u32 v10, v162, 2, v246
	v_lshl_add_u32 v11, v178, 2, v244
	ds_store_b64 v0, v[36:37]
	ds_store_b64 v1, v[34:35]
	ds_store_b64 v5, v[32:33]
	ds_store_b64 v10, v[30:31]
	ds_store_b64 v11, v[28:29]
	v_lshl_add_u32 v0, v146, 2, v242
	v_lshl_add_u32 v1, v160, 2, v240
	;; [unrolled: 1-line block ×5, first 2 shown]
	ds_store_b64 v0, v[20:21]
	ds_store_b64 v1, v[18:19]
	;; [unrolled: 1-line block ×5, first 2 shown]
	v_lshl_add_u32 v0, v164, 2, v224
	v_lshl_add_u32 v1, v176, 2, v214
	;; [unrolled: 1-line block ×5, first 2 shown]
	ds_store_b64 v0, v[14:15]
	ds_store_b64 v1, v[66:67]
	;; [unrolled: 1-line block ×5, first 2 shown]
	v_lshl_add_u32 v0, v22, 3, v12
	s_wait_dscnt 0x0
	s_barrier_signal -1
	s_barrier_wait -1
	ds_load_2addr_stride64_b64 v[48:51], v0 offset1:4
	ds_load_2addr_stride64_b64 v[34:37], v0 offset0:8 offset1:12
	ds_load_2addr_stride64_b64 v[30:33], v0 offset0:16 offset1:20
	;; [unrolled: 1-line block ×7, first 2 shown]
	ds_load_b64 v[0:1], v0 offset:32768
	v_lshl_add_u64 v[2:3], v[8:9], 2, v[2:3]
	v_mov_b32_e32 v39, 0
	s_set_vgpr_msb 4                        ;  msbs: dst=0 src0=0 src1=1 src2=0
	v_cmp_lt_u32_e32 vcc_lo, v38, v10 /*v266*/
	s_wait_dscnt 0x0
	s_barrier_signal -1
	s_barrier_wait -1
	v_lshl_add_u64 v[2:3], v[38:39], 2, v[2:3]
	s_and_saveexec_b32 s1, vcc_lo
	s_set_vgpr_msb 0                        ;  msbs: dst=0 src0=0 src1=0 src2=0
	s_cbranch_execz .LBB1421_100
; %bb.99:
	v_cmp_lt_i32_e64 s0, -1, v98
	s_delay_alu instid0(VALU_DEP_1) | instskip(NEXT) | instid1(VALU_DEP_1)
	v_cndmask_b32_e64 v5, 0x80000000, -1, s0
	v_xor_b32_e32 v5, v5, v98
	flat_store_b32 v[2:3], v5
.LBB1421_100:
	s_wait_xcnt 0x0
	s_or_b32 exec_lo, exec_lo, s1
	v_add_nc_u32_e32 v5, 0x100, v38
	s_set_vgpr_msb 4                        ;  msbs: dst=0 src0=0 src1=1 src2=0
	s_delay_alu instid0(VALU_DEP_1)
	v_cmp_lt_u32_e64 s0, v5, v10 /*v266*/
	s_and_saveexec_b32 s2, s0
	s_set_vgpr_msb 0                        ;  msbs: dst=0 src0=0 src1=0 src2=0
	s_cbranch_execz .LBB1421_102
; %bb.101:
	v_cmp_lt_i32_e64 s1, -1, v99
	s_delay_alu instid0(VALU_DEP_1) | instskip(NEXT) | instid1(VALU_DEP_1)
	v_cndmask_b32_e64 v5, 0x80000000, -1, s1
	v_xor_b32_e32 v5, v5, v99
	flat_store_b32 v[2:3], v5 offset:1024
.LBB1421_102:
	s_wait_xcnt 0x0
	s_or_b32 exec_lo, exec_lo, s2
	v_add_nc_u32_e32 v5, 0x200, v38
	s_set_vgpr_msb 4                        ;  msbs: dst=0 src0=0 src1=1 src2=0
	s_delay_alu instid0(VALU_DEP_1)
	v_cmp_lt_u32_e64 s1, v5, v10 /*v266*/
	s_and_saveexec_b32 s3, s1
	s_set_vgpr_msb 0                        ;  msbs: dst=0 src0=0 src1=0 src2=0
	s_cbranch_execz .LBB1421_104
; %bb.103:
	v_cmp_lt_i32_e64 s2, -1, v96
	s_delay_alu instid0(VALU_DEP_1) | instskip(NEXT) | instid1(VALU_DEP_1)
	v_cndmask_b32_e64 v5, 0x80000000, -1, s2
	v_xor_b32_e32 v5, v5, v96
	flat_store_b32 v[2:3], v5 offset:2048
.LBB1421_104:
	;; [unrolled: 16-line block ×16, first 2 shown]
	s_wait_xcnt 0x0
	s_or_b32 exec_lo, exec_lo, s19
	v_lshl_add_u64 v[2:3], v[8:9], 3, v[6:7]
	s_delay_alu instid0(VALU_DEP_1)
	v_lshl_add_u64 v[2:3], v[38:39], 3, v[2:3]
	s_and_saveexec_b32 s18, vcc_lo
	s_cbranch_execnz .LBB1421_220
; %bb.133:
	s_or_b32 exec_lo, exec_lo, s18
	s_and_saveexec_b32 s18, s0
	s_cbranch_execnz .LBB1421_221
.LBB1421_134:
	s_or_b32 exec_lo, exec_lo, s18
	s_and_saveexec_b32 s0, s1
	s_cbranch_execnz .LBB1421_222
.LBB1421_135:
	s_or_b32 exec_lo, exec_lo, s0
	s_and_saveexec_b32 s0, s2
	s_cbranch_execnz .LBB1421_223
.LBB1421_136:
	s_or_b32 exec_lo, exec_lo, s0
	s_and_saveexec_b32 s0, s3
	s_cbranch_execnz .LBB1421_224
.LBB1421_137:
	s_or_b32 exec_lo, exec_lo, s0
	s_and_saveexec_b32 s0, s4
	s_cbranch_execnz .LBB1421_225
.LBB1421_138:
	s_or_b32 exec_lo, exec_lo, s0
	s_and_saveexec_b32 s0, s5
	s_cbranch_execnz .LBB1421_226
.LBB1421_139:
	s_or_b32 exec_lo, exec_lo, s0
	s_and_saveexec_b32 s0, s6
	s_cbranch_execnz .LBB1421_227
.LBB1421_140:
	s_or_b32 exec_lo, exec_lo, s0
	s_and_saveexec_b32 s0, s7
	s_cbranch_execnz .LBB1421_228
.LBB1421_141:
	s_or_b32 exec_lo, exec_lo, s0
	s_and_saveexec_b32 s0, s10
	s_cbranch_execnz .LBB1421_229
.LBB1421_142:
	s_or_b32 exec_lo, exec_lo, s0
	s_and_saveexec_b32 s0, s11
	s_cbranch_execnz .LBB1421_230
.LBB1421_143:
	s_or_b32 exec_lo, exec_lo, s0
	s_and_saveexec_b32 s0, s12
	s_cbranch_execnz .LBB1421_231
.LBB1421_144:
	s_or_b32 exec_lo, exec_lo, s0
	s_and_saveexec_b32 s0, s13
	s_cbranch_execnz .LBB1421_232
.LBB1421_145:
	s_or_b32 exec_lo, exec_lo, s0
	s_and_saveexec_b32 s0, s14
	s_cbranch_execnz .LBB1421_233
.LBB1421_146:
	s_or_b32 exec_lo, exec_lo, s0
	s_and_saveexec_b32 s0, s15
	s_cbranch_execnz .LBB1421_234
.LBB1421_147:
	s_or_b32 exec_lo, exec_lo, s0
	s_and_saveexec_b32 s0, s16
	s_cbranch_execnz .LBB1421_235
.LBB1421_148:
	s_or_b32 exec_lo, exec_lo, s0
	s_and_saveexec_b32 s0, s17
	s_cbranch_execz .LBB1421_150
.LBB1421_149:
	flat_store_b64 v[2:3], v[0:1] offset:32768
.LBB1421_150:
	s_wait_xcnt 0x0
	s_or_b32 exec_lo, exec_lo, s0
                                        ; implicit-def: $vgpr266
                                        ; implicit-def: $vgpr8
                                        ; implicit-def: $vgpr10
                                        ; implicit-def: $vgpr11
                                        ; implicit-def: $vgpr0_vgpr1
                                        ; implicit-def: $vgpr2_vgpr3
                                        ; implicit-def: $vgpr4_vgpr5
                                        ; implicit-def: $vgpr6_vgpr7
                                        ; implicit-def: $vgpr12_vgpr13
                                        ; implicit-def: $vgpr9
                                        ; implicit-def: $vgpr14
                                        ; implicit-def: $vgpr22
                                        ; implicit-def: $vgpr68
.LBB1421_151:
	s_and_not1_saveexec_b32 s0, s20
	s_cbranch_execz .LBB1421_382
; %bb.152:
	s_mov_b32 s0, exec_lo
	s_set_vgpr_msb 4                        ;  msbs: dst=0 src0=0 src1=1 src2=0
	v_cmpx_lt_u32_e32 0x400, v10 /*v266*/
	s_xor_b32 s20, exec_lo, s0
	s_set_vgpr_msb 0                        ;  msbs: dst=0 src0=0 src1=0 src2=0
	s_cbranch_execz .LBB1421_262
; %bb.153:
	s_load_b64 s[0:1], s[8:9], 0x0
	s_bfe_u32 s3, ttmp6, 0x4000c
	s_bfe_u32 s5, ttmp6, 0x40010
	s_and_b32 s4, ttmp7, 0xffff
	s_add_co_i32 s3, s3, 1
	s_add_co_i32 s5, s5, 1
	s_and_b32 s2, ttmp6, 15
	s_bfe_u32 s6, ttmp6, 0x40004
	s_mul_i32 s3, ttmp9, s3
	s_mul_i32 s5, s4, s5
	s_add_co_i32 s2, s2, s3
	s_add_co_i32 s6, s6, s5
	s_cmp_eq_u32 s22, 0
	s_mov_b32 s3, 0
	s_cselect_b32 s2, ttmp9, s2
	s_cselect_b32 s4, s4, s6
	v_lshlrev_b32_e32 v16, 2, v68
	s_wait_kmcnt 0x0
	s_cmp_lt_u32 s2, s0
	s_cselect_b32 s2, 12, 18
	s_cmp_lt_u32 s4, s1
	s_mov_b32 s1, s3
	s_cselect_b32 s0, 14, 20
	s_delay_alu instid0(SALU_CYCLE_1)
	s_add_nc_u64 s[0:1], s[8:9], s[0:1]
	s_load_u16 s4, s[0:1], 0x0
	s_wait_xcnt 0x0
	s_add_nc_u64 s[0:1], s[8:9], s[2:3]
	s_load_u16 s0, s[0:1], 0x0
	s_wait_kmcnt 0x0
	v_mad_u32_u24 v9, v14, s4, v9
	v_bfrev_b32_e32 v14, -2
	s_delay_alu instid0(VALU_DEP_2) | instskip(NEXT) | instid1(VALU_DEP_2)
	v_mad_u32 v26, v9, s0, v22
	v_dual_mov_b32 v9, 0 :: v_dual_mov_b32 v21, v14
	v_mov_b32_e32 v20, v14
	s_delay_alu instid0(VALU_DEP_2) | instskip(SKIP_2) | instid1(VALU_DEP_2)
	v_lshl_add_u64 v[18:19], v[8:9], 2, v[0:1]
	v_dual_mov_b32 v17, v9 :: v_dual_mov_b32 v1, v9
	v_lshlrev_b32_e32 v15, 3, v26
	v_add_nc_u64_e32 v[24:25], v[18:19], v[16:17]
	v_dual_mov_b32 v16, v14 :: v_dual_mov_b32 v17, v14
	v_mov_b32_e32 v19, v14
	s_delay_alu instid0(VALU_DEP_4) | instskip(SKIP_1) | instid1(VALU_DEP_2)
	v_and_b32_e32 v0, 0xffffff00, v15
	v_dual_mov_b32 v15, v14 :: v_dual_mov_b32 v18, v14
	v_or_b32_e32 v23, v0, v68
	v_lshl_add_u64 v[24:25], v[0:1], 2, v[24:25]
	s_set_vgpr_msb 4                        ;  msbs: dst=0 src0=0 src1=1 src2=0
	s_delay_alu instid0(VALU_DEP_2)
	v_cmp_lt_u32_e32 vcc_lo, v23, v10 /*v266*/
	s_and_saveexec_b32 s0, vcc_lo
	s_set_vgpr_msb 0                        ;  msbs: dst=0 src0=0 src1=0 src2=0
	s_cbranch_execz .LBB1421_155
; %bb.154:
	flat_load_b32 v28, v[24:25]
	v_dual_mov_b32 v29, v14 :: v_dual_mov_b32 v30, v14
	v_dual_mov_b32 v31, v14 :: v_dual_mov_b32 v32, v14
	;; [unrolled: 1-line block ×3, first 2 shown]
	v_mov_b32_e32 v35, v14
	s_wait_loadcnt_dscnt 0x0
	v_mov_b64_e32 v[14:15], v[28:29]
	v_mov_b64_e32 v[16:17], v[30:31]
	;; [unrolled: 1-line block ×4, first 2 shown]
.LBB1421_155:
	s_wait_xcnt 0x0
	s_or_b32 exec_lo, exec_lo, s0
	v_or_b32_e32 v27, 32, v23
	s_set_vgpr_msb 4                        ;  msbs: dst=0 src0=0 src1=1 src2=0
	s_delay_alu instid0(VALU_DEP_1)
	v_cmp_lt_u32_e64 s0, v27, v10 /*v266*/
	s_and_saveexec_b32 s1, s0
	s_set_vgpr_msb 0                        ;  msbs: dst=0 src0=0 src1=0 src2=0
	s_cbranch_execz .LBB1421_157
; %bb.156:
	flat_load_b32 v15, v[24:25] offset:128
.LBB1421_157:
	s_wait_xcnt 0x0
	s_or_b32 exec_lo, exec_lo, s1
	v_or_b32_e32 v27, 64, v23
	s_set_vgpr_msb 4                        ;  msbs: dst=0 src0=0 src1=1 src2=0
	s_delay_alu instid0(VALU_DEP_1)
	v_cmp_lt_u32_e64 s1, v27, v10 /*v266*/
	s_and_saveexec_b32 s2, s1
	s_set_vgpr_msb 0                        ;  msbs: dst=0 src0=0 src1=0 src2=0
	s_cbranch_execz .LBB1421_159
; %bb.158:
	flat_load_b32 v16, v[24:25] offset:256
.LBB1421_159:
	;; [unrolled: 12-line block ×7, first 2 shown]
	s_wait_xcnt 0x0
	s_or_b32 exec_lo, exec_lo, s7
	v_lshl_add_u64 v[4:5], v[8:9], 3, v[4:5]
	v_dual_mov_b32 v25, 0 :: v_dual_lshlrev_b32 v24, 3, v68
                                        ; implicit-def: $vgpr52_vgpr53
	s_delay_alu instid0(VALU_DEP_1) | instskip(NEXT) | instid1(VALU_DEP_1)
	v_add_nc_u64_e32 v[4:5], v[4:5], v[24:25]
	v_lshl_add_u64 v[0:1], v[0:1], 3, v[4:5]
	s_and_saveexec_b32 s7, vcc_lo
	s_cbranch_execnz .LBB1421_295
; %bb.170:
	s_or_b32 exec_lo, exec_lo, s7
                                        ; implicit-def: $vgpr64_vgpr65
	s_and_saveexec_b32 s7, s0
	s_cbranch_execnz .LBB1421_296
.LBB1421_171:
	s_or_b32 exec_lo, exec_lo, s7
                                        ; implicit-def: $vgpr36_vgpr37
	s_and_saveexec_b32 s0, s1
	s_cbranch_execnz .LBB1421_297
.LBB1421_172:
	s_or_b32 exec_lo, exec_lo, s0
                                        ; implicit-def: $vgpr38_vgpr39
	s_and_saveexec_b32 s0, s2
	s_cbranch_execnz .LBB1421_298
.LBB1421_173:
	s_or_b32 exec_lo, exec_lo, s0
                                        ; implicit-def: $vgpr48_vgpr49
	s_and_saveexec_b32 s0, s3
	s_cbranch_execnz .LBB1421_299
.LBB1421_174:
	s_or_b32 exec_lo, exec_lo, s0
                                        ; implicit-def: $vgpr50_vgpr51
	s_and_saveexec_b32 s0, s4
	s_cbranch_execnz .LBB1421_300
.LBB1421_175:
	s_or_b32 exec_lo, exec_lo, s0
                                        ; implicit-def: $vgpr54_vgpr55
	s_and_saveexec_b32 s0, s5
	s_cbranch_execnz .LBB1421_301
.LBB1421_176:
	s_or_b32 exec_lo, exec_lo, s0
                                        ; implicit-def: $vgpr66_vgpr67
	s_and_saveexec_b32 s0, s6
	s_cbranch_execz .LBB1421_178
.LBB1421_177:
	flat_load_b64 v[66:67], v[0:1] offset:1792
.LBB1421_178:
	s_wait_xcnt 0x0
	s_or_b32 exec_lo, exec_lo, s0
	v_cmp_lt_i32_e32 vcc_lo, -1, v14
	s_get_pc_i64 s[0:1]
	s_add_nc_u64 s[0:1], s[0:1], _ZN7rocprim17ROCPRIM_400000_NS16block_radix_sortIfLj256ELj8ElLj1ELj1ELj8ELNS0_26block_radix_rank_algorithmE2ELNS0_18block_padding_hintE2ELNS0_4arch9wavefront6targetE0EE19radix_bits_per_passE@rel64+4
	v_cmp_lt_u32_e64 s7, 31, v22
	s_load_b32 s23, s[0:1], 0x0
	v_cmp_eq_u32_e64 s10, 0, v22
	v_cndmask_b32_e64 v0, -1, 0x80000000, vcc_lo
	s_wait_loadcnt_dscnt 0x0
	v_cmp_lt_i32_e32 vcc_lo, -1, v15
	v_sub_nc_u32_e32 v179, v11, v10
	s_mov_b32 s24, 0
	s_wait_storecnt 0x0
	v_xor_b32_e32 v99, v0, v14
	v_cndmask_b32_e64 v1, -1, 0x80000000, vcc_lo
	v_cmp_lt_i32_e32 vcc_lo, -1, v16
	s_wait_xcnt 0x0
	v_sub_co_u32 v14, s1, v68, 1
	s_barrier_signal -1
	v_xor_b32_e32 v69, v1, v15
	v_cndmask_b32_e64 v4, -1, 0x80000000, vcc_lo
	v_cmp_lt_i32_e32 vcc_lo, -1, v17
	v_cmp_gt_i32_e64 s6, 0, v14
	v_lshrrev_b32_e32 v144, 5, v26
	s_barrier_wait -1
	v_xor_b32_e32 v71, v4, v16
	v_cndmask_b32_e64 v5, -1, 0x80000000, vcc_lo
	v_cmp_lt_i32_e32 vcc_lo, -1, v18
	v_and_b32_e32 v15, 7, v68
	v_cndmask_b32_e64 v23, -1, 0x80000000, vcc_lo
	v_cmp_lt_i32_e32 vcc_lo, -1, v19
	s_delay_alu instid0(VALU_DEP_3) | instskip(SKIP_4) | instid1(VALU_DEP_2)
	v_cmp_eq_u32_e64 s11, 0, v15
	v_cmp_lt_u32_e64 s12, 1, v15
	v_cmp_lt_u32_e64 s13, 3, v15
	v_cndmask_b32_e64 v0, -1, 0x80000000, vcc_lo
	v_cmp_lt_i32_e32 vcc_lo, -1, v20
	v_xor_b32_e32 v85, v0, v19
	v_cndmask_b32_e64 v1, -1, 0x80000000, vcc_lo
	v_cmp_lt_i32_e32 vcc_lo, -1, v21
	v_lshl_add_u32 v0, v22, 5, v12
	v_xor_b32_e32 v81, v5, v17
	v_xor_b32_e32 v83, v23, v18
	;; [unrolled: 1-line block ×3, first 2 shown]
	v_cndmask_b32_e64 v4, -1, 0x80000000, vcc_lo
	v_dual_add_nc_u32 v23, 32, v0 :: v_dual_add_nc_u32 v27, 36, v0
	v_dual_add_nc_u32 v130, 40, v0 :: v_dual_add_nc_u32 v131, 44, v0
	s_delay_alu instid0(VALU_DEP_3) | instskip(SKIP_3) | instid1(VALU_DEP_3)
	v_dual_add_nc_u32 v132, 48, v0 :: v_dual_bitop2_b32 v97, v4, v21 bitop3:0x14
	v_and_b32_e32 v4, 0x3e0, v22
	v_dual_add_nc_u32 v133, 52, v0 :: v_dual_add_nc_u32 v134, 56, v0
	v_dual_add_nc_u32 v135, 60, v0 :: v_dual_lshlrev_b32 v1, 3, v22
	v_min_u32_e32 v0, 0xe0, v4
	v_and_b32_e32 v5, 15, v68
	v_and_b32_e32 v4, 16, v68
	s_delay_alu instid0(VALU_DEP_3) | instskip(NEXT) | instid1(VALU_DEP_1)
	v_or_b32_e32 v0, 31, v0
	v_cmp_eq_u32_e64 s5, v22, v0
	v_cndmask_b32_e64 v0, v14, v68, s6
	v_cmp_eq_u32_e32 vcc_lo, 0, v5
	v_cmp_lt_u32_e64 s0, 1, v5
	v_cmp_lt_u32_e64 s2, 3, v5
	;; [unrolled: 1-line block ×3, first 2 shown]
	v_and_or_b32 v5, 0x1f00, v1, v68
	v_mov_b32_e32 v1, 0
	v_cmp_eq_u32_e64 s4, 0, v4
	v_dual_lshrrev_b32 v4, 3, v22 :: v_dual_lshlrev_b32 v145, 2, v0
	s_delay_alu instid0(VALU_DEP_4) | instskip(SKIP_1) | instid1(VALU_DEP_3)
	v_dual_lshlrev_b32 v0, 2, v22 :: v_dual_lshlrev_b32 v14, 2, v5
	v_cmp_gt_u32_e64 s6, 8, v22
	v_and_b32_e32 v4, 0x7c, v4
	s_delay_alu instid0(VALU_DEP_1) | instskip(NEXT) | instid1(VALU_DEP_4)
	v_add_nc_u32_e32 v146, v12, v4
	v_add_nc_u64_e32 v[4:5], v[12:13], v[0:1]
	v_add_nc_u32_e32 v5, v12, v14
	s_delay_alu instid0(VALU_DEP_3) | instskip(NEXT) | instid1(VALU_DEP_2)
	v_add_nc_u32_e32 v147, -4, v146
	v_add_nc_u32_e32 v151, v5, v14
	v_mov_b64_e32 v[14:15], 0
	v_add_nc_u32_e32 v148, 0x80, v5
	v_add_nc_u32_e32 v149, 0x100, v5
	;; [unrolled: 1-line block ×14, first 2 shown]
	s_branch .LBB1421_180
.LBB1421_179:                           ;   in Loop: Header=BB1421_180 Depth=1
	s_or_b32 exec_lo, exec_lo, s15
	s_delay_alu instid0(SALU_CYCLE_1) | instskip(NEXT) | instid1(SALU_CYCLE_1)
	s_and_b32 s14, exec_lo, s16
	s_or_b32 s24, s14, s24
	s_delay_alu instid0(SALU_CYCLE_1)
	s_and_not1_b32 exec_lo, exec_lo, s24
	s_cbranch_execz .LBB1421_236
.LBB1421_180:                           ; =>This Inner Loop Header: Depth=1
	v_dual_mov_b32 v180, v99 :: v_dual_mov_b32 v181, v97
	s_wait_kmcnt 0x0
	v_min_u32_e32 v0, s23, v179
	v_mov_b64_e32 v[34:35], v[36:37]
	v_mov_b64_e32 v[18:19], v[64:65]
	v_cmp_ne_u32_e64 s14, 0x7fffffff, v180
	v_dual_mov_b32 v182, v87 :: v_dual_mov_b32 v183, v85
	v_lshlrev_b32_e64 v68, v0, -1
	v_dual_mov_b32 v193, v81 :: v_dual_mov_b32 v194, v71
	s_delay_alu instid0(VALU_DEP_4)
	v_cndmask_b32_e64 v16, 0x80000000, v180, s14
	ds_store_b64 v23, v[14:15]
	ds_store_b64 v130, v[14:15]
	;; [unrolled: 1-line block ×4, first 2 shown]
	s_wait_dscnt 0x0
	v_dual_mov_b32 v192, v83 :: v_dual_lshrrev_b32 v0, v10, v16
	v_mov_b64_e32 v[16:17], v[52:53]
	s_barrier_signal -1
	s_barrier_wait -1
	s_delay_alu instid0(VALU_DEP_2) | instskip(SKIP_2) | instid1(VALU_DEP_3)
	v_bitop3_b32 v20, v0, 1, v68 bitop3:0x40
	v_bitop3_b32 v0, v0, v68, v0 bitop3:0x30
	v_mov_b32_e32 v195, v69
	; wave barrier
	v_add_co_u32 v20, s14, v20, -1
	s_delay_alu instid0(VALU_DEP_1) | instskip(NEXT) | instid1(VALU_DEP_4)
	v_cndmask_b32_e64 v21, 0, 1, s14
	v_dual_lshlrev_b32 v24, 30, v0 :: v_dual_lshlrev_b32 v25, 29, v0
	v_lshlrev_b32_e32 v28, 28, v0
	s_delay_alu instid0(VALU_DEP_3) | instskip(NEXT) | instid1(VALU_DEP_3)
	v_cmp_ne_u32_e64 s14, 0, v21
	v_not_b32_e32 v21, v24
	v_lshlrev_b32_e32 v29, 27, v0
	v_cmp_gt_i32_e64 s15, 0, v24
	v_cmp_gt_i32_e64 s16, 0, v25
	v_not_b32_e32 v24, v25
	v_not_b32_e32 v25, v28
	v_ashrrev_i32_e32 v21, 31, v21
	v_cmp_gt_i32_e64 s17, 0, v28
	v_xor_b32_e32 v20, s14, v20
	s_delay_alu instid0(VALU_DEP_4) | instskip(NEXT) | instid1(VALU_DEP_4)
	v_dual_ashrrev_i32 v24, 31, v24 :: v_dual_ashrrev_i32 v25, 31, v25
	v_dual_lshlrev_b32 v28, 26, v0 :: v_dual_bitop2_b32 v21, s15, v21 bitop3:0x14
	v_not_b32_e32 v30, v29
	s_delay_alu instid0(VALU_DEP_3) | instskip(NEXT) | instid1(VALU_DEP_4)
	v_xor_b32_e32 v24, s16, v24
	v_xor_b32_e32 v25, s17, v25
	s_delay_alu instid0(VALU_DEP_4)
	v_bitop3_b32 v20, v20, v21, exec_lo bitop3:0x80
	v_cmp_gt_i32_e64 s14, 0, v29
	v_not_b32_e32 v21, v28
	v_dual_ashrrev_i32 v29, 31, v30 :: v_dual_lshlrev_b32 v30, 25, v0
	v_cmp_gt_i32_e64 s15, 0, v28
	v_lshlrev_b32_e32 v28, 24, v0
	v_bitop3_b32 v24, v20, v25, v24 bitop3:0x80
	s_delay_alu instid0(VALU_DEP_4)
	v_xor_b32_e32 v25, s14, v29
	v_not_b32_e32 v20, v30
	v_ashrrev_i32_e32 v21, 31, v21
	v_not_b32_e32 v29, v28
	v_cmp_gt_i32_e64 s14, 0, v30
	v_lshl_add_u32 v0, v0, 3, v144
	s_delay_alu instid0(VALU_DEP_4) | instskip(SKIP_3) | instid1(VALU_DEP_4)
	v_dual_ashrrev_i32 v30, 31, v20 :: v_dual_bitop2_b32 v31, s15, v21 bitop3:0x14
	v_cmp_gt_i32_e64 s15, 0, v28
	v_ashrrev_i32_e32 v28, 31, v29
	v_mov_b64_e32 v[20:21], v[38:39]
	v_xor_b32_e32 v33, s14, v30
	v_bitop3_b32 v32, v24, v31, v25 bitop3:0x80
	v_mov_b64_e32 v[30:31], v[48:49]
	v_xor_b32_e32 v36, s15, v28
	v_mov_b64_e32 v[28:29], v[50:51]
	v_mov_b64_e32 v[24:25], v[54:55]
	s_delay_alu instid0(VALU_DEP_3) | instskip(SKIP_2) | instid1(VALU_DEP_3)
	v_bitop3_b32 v38, v32, v36, v33 bitop3:0x80
	v_lshl_add_u64 v[36:37], v[0:1], 2, v[12:13]
	v_mov_b64_e32 v[32:33], v[66:67]
	v_mbcnt_lo_u32_b32 v0, v38, 0
	s_delay_alu instid0(VALU_DEP_3) | instskip(SKIP_1) | instid1(VALU_DEP_3)
	v_add_nc_u64_e32 v[36:37], 32, v[36:37]
	v_cmp_ne_u32_e64 s15, 0, v38
	v_cmp_eq_u32_e64 s14, 0, v0
	s_and_b32 s15, s15, s14
	s_delay_alu instid0(SALU_CYCLE_1)
	s_and_saveexec_b32 s14, s15
; %bb.181:                              ;   in Loop: Header=BB1421_180 Depth=1
	v_bcnt_u32_b32 v37, v38, 0
	ds_store_b32 v36, v37
; %bb.182:                              ;   in Loop: Header=BB1421_180 Depth=1
	s_or_b32 exec_lo, exec_lo, s14
	v_cmp_ne_u32_e64 s14, 0x7fffffff, v195
	v_not_b32_e32 v51, v68
	; wave barrier
	s_delay_alu instid0(VALU_DEP_2) | instskip(NEXT) | instid1(VALU_DEP_1)
	v_cndmask_b32_e64 v37, 0x80000000, v195, s14
	v_lshrrev_b32_e32 v37, v10, v37
	s_delay_alu instid0(VALU_DEP_1) | instskip(NEXT) | instid1(VALU_DEP_1)
	v_and_b32_e32 v38, v37, v51
	v_lshlrev_b32_e32 v49, 30, v38
	v_bitop3_b32 v37, v37, 1, v51 bitop3:0x80
	s_delay_alu instid0(VALU_DEP_2) | instskip(NEXT) | instid1(VALU_DEP_2)
	v_cmp_gt_i32_e64 s15, 0, v49
	v_add_co_u32 v37, s14, v37, -1
	s_delay_alu instid0(VALU_DEP_1) | instskip(NEXT) | instid1(VALU_DEP_1)
	v_cndmask_b32_e64 v48, 0, 1, s14
	v_cmp_ne_u32_e64 s14, 0, v48
	v_not_b32_e32 v48, v49
	s_delay_alu instid0(VALU_DEP_1) | instskip(SKIP_3) | instid1(VALU_DEP_4)
	v_dual_ashrrev_i32 v48, 31, v48 :: v_dual_lshlrev_b32 v50, 29, v38
	v_dual_lshlrev_b32 v52, 28, v38 :: v_dual_lshlrev_b32 v53, 27, v38
	v_lshlrev_b32_e32 v54, 26, v38
	v_lshl_add_u32 v39, v38, 3, v144
	v_cmp_gt_i32_e64 s16, 0, v50
	v_not_b32_e32 v49, v50
	v_not_b32_e32 v50, v52
	v_cmp_gt_i32_e64 s17, 0, v52
	v_not_b32_e32 v52, v53
	v_xor_b32_e32 v37, s14, v37
	v_dual_ashrrev_i32 v49, 31, v49 :: v_dual_bitop2_b32 v48, s15, v48 bitop3:0x14
	v_ashrrev_i32_e32 v50, 31, v50
	v_dual_lshlrev_b32 v55, 25, v38 :: v_dual_lshlrev_b32 v38, 24, v38
	v_cmp_gt_i32_e64 s18, 0, v53
	v_not_b32_e32 v53, v54
	v_dual_ashrrev_i32 v52, 31, v52 :: v_dual_bitop2_b32 v49, s16, v49 bitop3:0x14
	v_xor_b32_e32 v50, s17, v50
	v_bitop3_b32 v37, v37, v48, exec_lo bitop3:0x80
	v_cmp_gt_i32_e64 s14, 0, v54
	v_ashrrev_i32_e32 v48, 31, v53
	v_not_b32_e32 v53, v55
	v_xor_b32_e32 v52, s18, v52
	v_bitop3_b32 v37, v37, v50, v49 bitop3:0x80
	v_not_b32_e32 v49, v38
	v_xor_b32_e32 v48, s14, v48
	v_cmp_gt_i32_e64 s14, 0, v55
	v_ashrrev_i32_e32 v50, 31, v53
	v_cmp_gt_i32_e64 s15, 0, v38
	v_ashrrev_i32_e32 v38, 31, v49
	v_lshl_add_u32 v39, v39, 2, v12
	v_bitop3_b32 v48, v37, v48, v52 bitop3:0x80
	v_xor_b32_e32 v49, s14, v50
	s_delay_alu instid0(VALU_DEP_4) | instskip(SKIP_3) | instid1(VALU_DEP_1)
	v_xor_b32_e32 v38, s15, v38
	ds_load_b32 v37, v39 offset:32
	v_add_nc_u32_e32 v39, 32, v39
	; wave barrier
	v_bitop3_b32 v48, v48, v38, v49 bitop3:0x80
	v_mbcnt_lo_u32_b32 v38, v48, 0
	v_cmp_ne_u32_e64 s15, 0, v48
	s_delay_alu instid0(VALU_DEP_2) | instskip(SKIP_1) | instid1(SALU_CYCLE_1)
	v_cmp_eq_u32_e64 s14, 0, v38
	s_and_b32 s15, s15, s14
	s_and_saveexec_b32 s14, s15
	s_cbranch_execz .LBB1421_184
; %bb.183:                              ;   in Loop: Header=BB1421_180 Depth=1
	s_wait_dscnt 0x0
	v_bcnt_u32_b32 v48, v48, v37
	ds_store_b32 v39, v48
.LBB1421_184:                           ;   in Loop: Header=BB1421_180 Depth=1
	s_or_b32 exec_lo, exec_lo, s14
	v_cmp_ne_u32_e64 s14, 0x7fffffff, v194
	; wave barrier
	s_delay_alu instid0(VALU_DEP_1) | instskip(NEXT) | instid1(VALU_DEP_1)
	v_cndmask_b32_e64 v48, 0x80000000, v194, s14
	v_lshrrev_b32_e32 v48, v10, v48
	s_delay_alu instid0(VALU_DEP_1) | instskip(NEXT) | instid1(VALU_DEP_1)
	v_and_b32_e32 v49, v48, v51
	v_lshlrev_b32_e32 v53, 30, v49
	v_bitop3_b32 v48, v48, 1, v51 bitop3:0x80
	s_delay_alu instid0(VALU_DEP_2) | instskip(NEXT) | instid1(VALU_DEP_2)
	v_cmp_gt_i32_e64 s15, 0, v53
	v_add_co_u32 v48, s14, v48, -1
	s_delay_alu instid0(VALU_DEP_1) | instskip(NEXT) | instid1(VALU_DEP_1)
	v_cndmask_b32_e64 v52, 0, 1, s14
	v_cmp_ne_u32_e64 s14, 0, v52
	v_not_b32_e32 v52, v53
	s_delay_alu instid0(VALU_DEP_1) | instskip(SKIP_3) | instid1(VALU_DEP_4)
	v_dual_ashrrev_i32 v52, 31, v52 :: v_dual_lshlrev_b32 v54, 29, v49
	v_dual_lshlrev_b32 v55, 28, v49 :: v_dual_lshlrev_b32 v64, 27, v49
	v_lshlrev_b32_e32 v65, 26, v49
	v_lshl_add_u32 v50, v49, 3, v144
	v_cmp_gt_i32_e64 s16, 0, v54
	v_not_b32_e32 v53, v54
	v_not_b32_e32 v54, v55
	v_dual_lshlrev_b32 v66, 25, v49 :: v_dual_lshlrev_b32 v49, 24, v49
	v_cmp_gt_i32_e64 s17, 0, v55
	v_cmp_gt_i32_e64 s18, 0, v64
	v_not_b32_e32 v55, v64
	v_dual_ashrrev_i32 v53, 31, v53 :: v_dual_bitop2_b32 v48, s14, v48 bitop3:0x14
	v_dual_ashrrev_i32 v54, 31, v54 :: v_dual_bitop2_b32 v52, s15, v52 bitop3:0x14
	v_not_b32_e32 v64, v65
	v_cmp_gt_i32_e64 s19, 0, v65
	s_delay_alu instid0(VALU_DEP_4) | instskip(NEXT) | instid1(VALU_DEP_4)
	v_dual_ashrrev_i32 v55, 31, v55 :: v_dual_bitop2_b32 v53, s16, v53 bitop3:0x14
	v_xor_b32_e32 v54, s17, v54
	v_bitop3_b32 v48, v48, v52, exec_lo bitop3:0x80
	v_ashrrev_i32_e32 v52, 31, v64
	v_not_b32_e32 v64, v66
	v_not_b32_e32 v65, v49
	v_xor_b32_e32 v55, s18, v55
	v_bitop3_b32 v48, v48, v54, v53 bitop3:0x80
	v_xor_b32_e32 v52, s19, v52
	v_cmp_gt_i32_e64 s14, 0, v66
	v_ashrrev_i32_e32 v53, 31, v64
	v_cmp_gt_i32_e64 s15, 0, v49
	v_ashrrev_i32_e32 v49, 31, v65
	v_lshl_add_u32 v50, v50, 2, v12
	v_bitop3_b32 v52, v48, v52, v55 bitop3:0x80
	v_xor_b32_e32 v53, s14, v53
	s_delay_alu instid0(VALU_DEP_4) | instskip(SKIP_3) | instid1(VALU_DEP_1)
	v_xor_b32_e32 v49, s15, v49
	ds_load_b32 v48, v50 offset:32
	v_add_nc_u32_e32 v50, 32, v50
	; wave barrier
	v_bitop3_b32 v52, v52, v49, v53 bitop3:0x80
	v_mbcnt_lo_u32_b32 v49, v52, 0
	v_cmp_ne_u32_e64 s15, 0, v52
	s_delay_alu instid0(VALU_DEP_2) | instskip(SKIP_1) | instid1(SALU_CYCLE_1)
	v_cmp_eq_u32_e64 s14, 0, v49
	s_and_b32 s15, s15, s14
	s_and_saveexec_b32 s14, s15
	s_cbranch_execz .LBB1421_186
; %bb.185:                              ;   in Loop: Header=BB1421_180 Depth=1
	s_wait_dscnt 0x0
	v_bcnt_u32_b32 v52, v52, v48
	ds_store_b32 v50, v52
.LBB1421_186:                           ;   in Loop: Header=BB1421_180 Depth=1
	s_or_b32 exec_lo, exec_lo, s14
	v_cmp_ne_u32_e64 s14, 0x7fffffff, v193
	; wave barrier
	s_delay_alu instid0(VALU_DEP_1) | instskip(NEXT) | instid1(VALU_DEP_1)
	v_cndmask_b32_e64 v52, 0x80000000, v193, s14
	v_lshrrev_b32_e32 v52, v10, v52
	s_delay_alu instid0(VALU_DEP_1) | instskip(NEXT) | instid1(VALU_DEP_1)
	v_and_b32_e32 v53, v52, v51
	v_lshlrev_b32_e32 v64, 30, v53
	v_bitop3_b32 v52, v52, 1, v51 bitop3:0x80
	v_lshlrev_b32_e32 v65, 29, v53
	s_delay_alu instid0(VALU_DEP_3) | instskip(NEXT) | instid1(VALU_DEP_3)
	v_cmp_gt_i32_e64 s15, 0, v64
	v_add_co_u32 v52, s14, v52, -1
	s_delay_alu instid0(VALU_DEP_1) | instskip(NEXT) | instid1(VALU_DEP_1)
	v_cndmask_b32_e64 v55, 0, 1, s14
	v_cmp_ne_u32_e64 s14, 0, v55
	v_not_b32_e32 v55, v64
	v_not_b32_e32 v64, v65
	s_delay_alu instid0(VALU_DEP_2) | instskip(NEXT) | instid1(VALU_DEP_2)
	v_dual_ashrrev_i32 v55, 31, v55 :: v_dual_bitop2_b32 v52, s14, v52 bitop3:0x14
	v_dual_ashrrev_i32 v64, 31, v64 :: v_dual_lshlrev_b32 v66, 28, v53
	v_dual_lshlrev_b32 v67, 27, v53 :: v_dual_lshlrev_b32 v68, 26, v53
	v_cmp_gt_i32_e64 s16, 0, v65
	v_lshl_add_u32 v54, v53, 3, v144
	s_delay_alu instid0(VALU_DEP_4)
	v_not_b32_e32 v65, v66
	v_dual_lshlrev_b32 v69, 25, v53 :: v_dual_lshlrev_b32 v53, 24, v53
	v_cmp_gt_i32_e64 s17, 0, v66
	v_cmp_gt_i32_e64 s18, 0, v67
	v_not_b32_e32 v66, v67
	v_dual_ashrrev_i32 v65, 31, v65 :: v_dual_bitop2_b32 v55, s15, v55 bitop3:0x14
	v_not_b32_e32 v67, v68
	v_cmp_gt_i32_e64 s19, 0, v68
	s_delay_alu instid0(VALU_DEP_4) | instskip(NEXT) | instid1(VALU_DEP_4)
	v_dual_ashrrev_i32 v66, 31, v66 :: v_dual_bitop2_b32 v64, s16, v64 bitop3:0x14
	v_xor_b32_e32 v65, s17, v65
	v_bitop3_b32 v52, v52, v55, exec_lo bitop3:0x80
	v_ashrrev_i32_e32 v55, 31, v67
	v_not_b32_e32 v67, v69
	v_not_b32_e32 v68, v53
	v_xor_b32_e32 v66, s18, v66
	v_bitop3_b32 v52, v52, v65, v64 bitop3:0x80
	v_xor_b32_e32 v55, s19, v55
	v_cmp_gt_i32_e64 s14, 0, v69
	v_ashrrev_i32_e32 v64, 31, v67
	v_cmp_gt_i32_e64 s15, 0, v53
	v_ashrrev_i32_e32 v53, 31, v68
	v_lshl_add_u32 v54, v54, 2, v12
	v_bitop3_b32 v55, v52, v55, v66 bitop3:0x80
	v_xor_b32_e32 v64, s14, v64
	s_delay_alu instid0(VALU_DEP_4) | instskip(SKIP_3) | instid1(VALU_DEP_1)
	v_xor_b32_e32 v53, s15, v53
	ds_load_b32 v52, v54 offset:32
	v_add_nc_u32_e32 v54, 32, v54
	; wave barrier
	v_bitop3_b32 v55, v55, v53, v64 bitop3:0x80
	v_mbcnt_lo_u32_b32 v53, v55, 0
	v_cmp_ne_u32_e64 s15, 0, v55
	s_delay_alu instid0(VALU_DEP_2) | instskip(SKIP_1) | instid1(SALU_CYCLE_1)
	v_cmp_eq_u32_e64 s14, 0, v53
	s_and_b32 s15, s15, s14
	s_and_saveexec_b32 s14, s15
	s_cbranch_execz .LBB1421_188
; %bb.187:                              ;   in Loop: Header=BB1421_180 Depth=1
	s_wait_dscnt 0x0
	v_bcnt_u32_b32 v55, v55, v52
	ds_store_b32 v54, v55
.LBB1421_188:                           ;   in Loop: Header=BB1421_180 Depth=1
	s_or_b32 exec_lo, exec_lo, s14
	v_cmp_ne_u32_e64 s14, 0x7fffffff, v192
	; wave barrier
	s_delay_alu instid0(VALU_DEP_1) | instskip(NEXT) | instid1(VALU_DEP_1)
	v_cndmask_b32_e64 v55, 0x80000000, v192, s14
	v_lshrrev_b32_e32 v55, v10, v55
	s_delay_alu instid0(VALU_DEP_1) | instskip(NEXT) | instid1(VALU_DEP_1)
	v_and_b32_e32 v64, v55, v51
	v_lshlrev_b32_e32 v67, 30, v64
	v_bitop3_b32 v55, v55, 1, v51 bitop3:0x80
	s_delay_alu instid0(VALU_DEP_2) | instskip(NEXT) | instid1(VALU_DEP_2)
	v_cmp_gt_i32_e64 s15, 0, v67
	v_add_co_u32 v55, s14, v55, -1
	s_delay_alu instid0(VALU_DEP_1) | instskip(NEXT) | instid1(VALU_DEP_1)
	v_cndmask_b32_e64 v66, 0, 1, s14
	v_cmp_ne_u32_e64 s14, 0, v66
	v_not_b32_e32 v66, v67
	s_delay_alu instid0(VALU_DEP_1) | instskip(SKIP_3) | instid1(VALU_DEP_4)
	v_dual_ashrrev_i32 v66, 31, v66 :: v_dual_lshlrev_b32 v68, 29, v64
	v_dual_lshlrev_b32 v69, 28, v64 :: v_dual_lshlrev_b32 v70, 27, v64
	v_lshlrev_b32_e32 v71, 26, v64
	v_lshl_add_u32 v65, v64, 3, v144
	v_cmp_gt_i32_e64 s16, 0, v68
	v_not_b32_e32 v67, v68
	v_not_b32_e32 v68, v69
	v_dual_lshlrev_b32 v80, 25, v64 :: v_dual_lshlrev_b32 v64, 24, v64
	v_cmp_gt_i32_e64 s17, 0, v69
	v_cmp_gt_i32_e64 s18, 0, v70
	v_not_b32_e32 v69, v70
	v_dual_ashrrev_i32 v68, 31, v68 :: v_dual_bitop2_b32 v55, s14, v55 bitop3:0x14
	v_dual_ashrrev_i32 v67, 31, v67 :: v_dual_bitop2_b32 v66, s15, v66 bitop3:0x14
	v_not_b32_e32 v70, v71
	v_cmp_gt_i32_e64 s19, 0, v71
	s_delay_alu instid0(VALU_DEP_3)
	v_dual_ashrrev_i32 v69, 31, v69 :: v_dual_bitop2_b32 v67, s16, v67 bitop3:0x14
	v_xor_b32_e32 v68, s17, v68
	v_bitop3_b32 v55, v55, v66, exec_lo bitop3:0x80
	v_ashrrev_i32_e32 v66, 31, v70
	v_not_b32_e32 v70, v80
	v_not_b32_e32 v71, v64
	v_xor_b32_e32 v69, s18, v69
	v_bitop3_b32 v55, v55, v68, v67 bitop3:0x80
	v_xor_b32_e32 v66, s19, v66
	v_cmp_gt_i32_e64 s14, 0, v80
	v_ashrrev_i32_e32 v67, 31, v70
	v_cmp_gt_i32_e64 s15, 0, v64
	v_ashrrev_i32_e32 v64, 31, v71
	v_lshl_add_u32 v65, v65, 2, v12
	v_bitop3_b32 v66, v55, v66, v69 bitop3:0x80
	v_xor_b32_e32 v67, s14, v67
	s_delay_alu instid0(VALU_DEP_4) | instskip(SKIP_3) | instid1(VALU_DEP_1)
	v_xor_b32_e32 v64, s15, v64
	ds_load_b32 v55, v65 offset:32
	v_add_nc_u32_e32 v65, 32, v65
	; wave barrier
	v_bitop3_b32 v66, v66, v64, v67 bitop3:0x80
	v_mbcnt_lo_u32_b32 v64, v66, 0
	v_cmp_ne_u32_e64 s15, 0, v66
	s_delay_alu instid0(VALU_DEP_2) | instskip(SKIP_1) | instid1(SALU_CYCLE_1)
	v_cmp_eq_u32_e64 s14, 0, v64
	s_and_b32 s15, s15, s14
	s_and_saveexec_b32 s14, s15
	s_cbranch_execz .LBB1421_190
; %bb.189:                              ;   in Loop: Header=BB1421_180 Depth=1
	s_wait_dscnt 0x0
	v_bcnt_u32_b32 v66, v66, v55
	ds_store_b32 v65, v66
.LBB1421_190:                           ;   in Loop: Header=BB1421_180 Depth=1
	s_or_b32 exec_lo, exec_lo, s14
	v_cmp_ne_u32_e64 s14, 0x7fffffff, v183
	; wave barrier
	s_delay_alu instid0(VALU_DEP_1) | instskip(NEXT) | instid1(VALU_DEP_1)
	v_cndmask_b32_e64 v66, 0x80000000, v183, s14
	v_lshrrev_b32_e32 v66, v10, v66
	s_delay_alu instid0(VALU_DEP_1) | instskip(NEXT) | instid1(VALU_DEP_1)
	v_and_b32_e32 v67, v66, v51
	v_lshlrev_b32_e32 v70, 30, v67
	v_bitop3_b32 v66, v66, 1, v51 bitop3:0x80
	s_delay_alu instid0(VALU_DEP_2) | instskip(NEXT) | instid1(VALU_DEP_2)
	v_cmp_gt_i32_e64 s15, 0, v70
	v_add_co_u32 v66, s14, v66, -1
	s_delay_alu instid0(VALU_DEP_1) | instskip(NEXT) | instid1(VALU_DEP_1)
	v_cndmask_b32_e64 v69, 0, 1, s14
	v_cmp_ne_u32_e64 s14, 0, v69
	v_not_b32_e32 v69, v70
	s_delay_alu instid0(VALU_DEP_1) | instskip(SKIP_3) | instid1(VALU_DEP_4)
	v_dual_ashrrev_i32 v69, 31, v69 :: v_dual_lshlrev_b32 v71, 29, v67
	v_dual_lshlrev_b32 v80, 28, v67 :: v_dual_lshlrev_b32 v81, 27, v67
	v_lshlrev_b32_e32 v82, 26, v67
	v_lshl_add_u32 v68, v67, 3, v144
	v_cmp_gt_i32_e64 s16, 0, v71
	v_not_b32_e32 v70, v71
	v_not_b32_e32 v71, v80
	v_dual_lshlrev_b32 v83, 25, v67 :: v_dual_lshlrev_b32 v67, 24, v67
	v_cmp_gt_i32_e64 s17, 0, v80
	v_cmp_gt_i32_e64 s18, 0, v81
	v_not_b32_e32 v80, v81
	v_dual_ashrrev_i32 v71, 31, v71 :: v_dual_bitop2_b32 v66, s14, v66 bitop3:0x14
	v_dual_ashrrev_i32 v70, 31, v70 :: v_dual_bitop2_b32 v69, s15, v69 bitop3:0x14
	v_not_b32_e32 v81, v82
	v_cmp_gt_i32_e64 s19, 0, v82
	s_delay_alu instid0(VALU_DEP_3)
	v_dual_ashrrev_i32 v80, 31, v80 :: v_dual_bitop2_b32 v70, s16, v70 bitop3:0x14
	v_xor_b32_e32 v71, s17, v71
	v_bitop3_b32 v66, v66, v69, exec_lo bitop3:0x80
	v_ashrrev_i32_e32 v69, 31, v81
	v_not_b32_e32 v81, v83
	v_not_b32_e32 v82, v67
	v_xor_b32_e32 v80, s18, v80
	v_bitop3_b32 v66, v66, v71, v70 bitop3:0x80
	v_xor_b32_e32 v69, s19, v69
	v_cmp_gt_i32_e64 s14, 0, v83
	v_ashrrev_i32_e32 v70, 31, v81
	v_cmp_gt_i32_e64 s15, 0, v67
	v_ashrrev_i32_e32 v67, 31, v82
	v_lshl_add_u32 v68, v68, 2, v12
	v_bitop3_b32 v69, v66, v69, v80 bitop3:0x80
	v_xor_b32_e32 v70, s14, v70
	s_delay_alu instid0(VALU_DEP_4) | instskip(SKIP_3) | instid1(VALU_DEP_1)
	v_xor_b32_e32 v67, s15, v67
	ds_load_b32 v66, v68 offset:32
	v_add_nc_u32_e32 v68, 32, v68
	; wave barrier
	v_bitop3_b32 v69, v69, v67, v70 bitop3:0x80
	v_mbcnt_lo_u32_b32 v67, v69, 0
	v_cmp_ne_u32_e64 s15, 0, v69
	s_delay_alu instid0(VALU_DEP_2) | instskip(SKIP_1) | instid1(SALU_CYCLE_1)
	v_cmp_eq_u32_e64 s14, 0, v67
	s_and_b32 s15, s15, s14
	s_and_saveexec_b32 s14, s15
	s_cbranch_execz .LBB1421_192
; %bb.191:                              ;   in Loop: Header=BB1421_180 Depth=1
	s_wait_dscnt 0x0
	v_bcnt_u32_b32 v69, v69, v66
	ds_store_b32 v68, v69
.LBB1421_192:                           ;   in Loop: Header=BB1421_180 Depth=1
	s_or_b32 exec_lo, exec_lo, s14
	v_cmp_ne_u32_e64 s14, 0x7fffffff, v182
	; wave barrier
	s_delay_alu instid0(VALU_DEP_1) | instskip(NEXT) | instid1(VALU_DEP_1)
	v_cndmask_b32_e64 v69, 0x80000000, v182, s14
	v_lshrrev_b32_e32 v69, v10, v69
	s_delay_alu instid0(VALU_DEP_1) | instskip(NEXT) | instid1(VALU_DEP_1)
	v_and_b32_e32 v70, v69, v51
	v_lshlrev_b32_e32 v81, 30, v70
	v_bitop3_b32 v69, v69, 1, v51 bitop3:0x80
	s_delay_alu instid0(VALU_DEP_2) | instskip(NEXT) | instid1(VALU_DEP_2)
	v_cmp_gt_i32_e64 s15, 0, v81
	v_add_co_u32 v69, s14, v69, -1
	s_delay_alu instid0(VALU_DEP_1) | instskip(NEXT) | instid1(VALU_DEP_1)
	v_cndmask_b32_e64 v80, 0, 1, s14
	v_cmp_ne_u32_e64 s14, 0, v80
	v_not_b32_e32 v80, v81
	s_delay_alu instid0(VALU_DEP_1) | instskip(SKIP_3) | instid1(VALU_DEP_4)
	v_dual_ashrrev_i32 v80, 31, v80 :: v_dual_lshlrev_b32 v82, 29, v70
	v_dual_lshlrev_b32 v83, 28, v70 :: v_dual_lshlrev_b32 v84, 27, v70
	v_lshlrev_b32_e32 v85, 26, v70
	v_lshl_add_u32 v71, v70, 3, v144
	v_cmp_gt_i32_e64 s16, 0, v82
	v_not_b32_e32 v81, v82
	v_not_b32_e32 v82, v83
	v_dual_lshlrev_b32 v86, 25, v70 :: v_dual_lshlrev_b32 v70, 24, v70
	v_cmp_gt_i32_e64 s17, 0, v83
	v_cmp_gt_i32_e64 s18, 0, v84
	v_not_b32_e32 v83, v84
	v_dual_ashrrev_i32 v82, 31, v82 :: v_dual_bitop2_b32 v69, s14, v69 bitop3:0x14
	v_dual_ashrrev_i32 v81, 31, v81 :: v_dual_bitop2_b32 v80, s15, v80 bitop3:0x14
	v_not_b32_e32 v84, v85
	v_cmp_gt_i32_e64 s19, 0, v85
	s_delay_alu instid0(VALU_DEP_3)
	v_dual_ashrrev_i32 v83, 31, v83 :: v_dual_bitop2_b32 v81, s16, v81 bitop3:0x14
	v_xor_b32_e32 v82, s17, v82
	v_bitop3_b32 v69, v69, v80, exec_lo bitop3:0x80
	v_ashrrev_i32_e32 v80, 31, v84
	v_not_b32_e32 v84, v86
	v_not_b32_e32 v85, v70
	v_xor_b32_e32 v83, s18, v83
	v_bitop3_b32 v69, v69, v82, v81 bitop3:0x80
	v_xor_b32_e32 v80, s19, v80
	v_cmp_gt_i32_e64 s14, 0, v86
	v_ashrrev_i32_e32 v81, 31, v84
	v_cmp_gt_i32_e64 s15, 0, v70
	v_ashrrev_i32_e32 v70, 31, v85
	v_lshl_add_u32 v71, v71, 2, v12
	v_bitop3_b32 v69, v69, v80, v83 bitop3:0x80
	v_xor_b32_e32 v80, s14, v81
	s_delay_alu instid0(VALU_DEP_4) | instskip(SKIP_3) | instid1(VALU_DEP_2)
	v_xor_b32_e32 v70, s15, v70
	ds_load_b32 v84, v71 offset:32
	; wave barrier
	v_bitop3_b32 v70, v69, v70, v80 bitop3:0x80
	v_add_nc_u32_e32 v69, 32, v71
	v_mbcnt_lo_u32_b32 v96, v70, 0
	v_cmp_ne_u32_e64 s15, 0, v70
	s_delay_alu instid0(VALU_DEP_2) | instskip(SKIP_1) | instid1(SALU_CYCLE_1)
	v_cmp_eq_u32_e64 s14, 0, v96
	s_and_b32 s15, s15, s14
	s_and_saveexec_b32 s14, s15
	s_cbranch_execz .LBB1421_194
; %bb.193:                              ;   in Loop: Header=BB1421_180 Depth=1
	s_wait_dscnt 0x0
	v_bcnt_u32_b32 v70, v70, v84
	ds_store_b32 v69, v70
.LBB1421_194:                           ;   in Loop: Header=BB1421_180 Depth=1
	s_or_b32 exec_lo, exec_lo, s14
	v_cmp_ne_u32_e64 s14, 0x7fffffff, v181
	; wave barrier
	s_delay_alu instid0(VALU_DEP_1) | instskip(NEXT) | instid1(VALU_DEP_1)
	v_cndmask_b32_e64 v70, 0x80000000, v181, s14
	v_lshrrev_b32_e32 v70, v10, v70
	s_delay_alu instid0(VALU_DEP_1) | instskip(NEXT) | instid1(VALU_DEP_1)
	v_and_b32_e32 v71, v70, v51
	v_lshlrev_b32_e32 v81, 30, v71
	v_bitop3_b32 v51, v70, 1, v51 bitop3:0x80
	s_delay_alu instid0(VALU_DEP_2) | instskip(NEXT) | instid1(VALU_DEP_2)
	v_cmp_gt_i32_e64 s15, 0, v81
	v_add_co_u32 v51, s14, v51, -1
	s_delay_alu instid0(VALU_DEP_1) | instskip(NEXT) | instid1(VALU_DEP_1)
	v_cndmask_b32_e64 v80, 0, 1, s14
	v_cmp_ne_u32_e64 s14, 0, v80
	v_not_b32_e32 v80, v81
	s_delay_alu instid0(VALU_DEP_1) | instskip(SKIP_3) | instid1(VALU_DEP_4)
	v_dual_ashrrev_i32 v80, 31, v80 :: v_dual_lshlrev_b32 v82, 29, v71
	v_dual_lshlrev_b32 v83, 28, v71 :: v_dual_lshlrev_b32 v85, 27, v71
	v_lshlrev_b32_e32 v86, 26, v71
	v_lshl_add_u32 v70, v71, 3, v144
	v_cmp_gt_i32_e64 s16, 0, v82
	v_not_b32_e32 v81, v82
	v_not_b32_e32 v82, v83
	v_dual_lshlrev_b32 v87, 25, v71 :: v_dual_lshlrev_b32 v71, 24, v71
	v_cmp_gt_i32_e64 s17, 0, v83
	v_cmp_gt_i32_e64 s18, 0, v85
	v_not_b32_e32 v83, v85
	v_dual_ashrrev_i32 v81, 31, v81 :: v_dual_bitop2_b32 v51, s14, v51 bitop3:0x14
	v_dual_ashrrev_i32 v82, 31, v82 :: v_dual_bitop2_b32 v80, s15, v80 bitop3:0x14
	v_not_b32_e32 v85, v86
	v_cmp_gt_i32_e64 s19, 0, v86
	s_delay_alu instid0(VALU_DEP_4) | instskip(NEXT) | instid1(VALU_DEP_4)
	v_dual_ashrrev_i32 v83, 31, v83 :: v_dual_bitop2_b32 v81, s16, v81 bitop3:0x14
	v_xor_b32_e32 v82, s17, v82
	v_bitop3_b32 v51, v51, v80, exec_lo bitop3:0x80
	v_ashrrev_i32_e32 v80, 31, v85
	v_not_b32_e32 v85, v87
	v_not_b32_e32 v86, v71
	v_xor_b32_e32 v83, s18, v83
	v_bitop3_b32 v51, v51, v82, v81 bitop3:0x80
	v_xor_b32_e32 v80, s19, v80
	v_cmp_gt_i32_e64 s14, 0, v87
	v_ashrrev_i32_e32 v81, 31, v85
	v_cmp_gt_i32_e64 s15, 0, v71
	v_ashrrev_i32_e32 v71, 31, v86
	v_lshl_add_u32 v70, v70, 2, v12
	v_bitop3_b32 v80, v51, v80, v83 bitop3:0x80
	v_xor_b32_e32 v81, s14, v81
	s_delay_alu instid0(VALU_DEP_4) | instskip(SKIP_3) | instid1(VALU_DEP_1)
	v_xor_b32_e32 v71, s15, v71
	ds_load_b32 v51, v70 offset:32
	v_add_nc_u32_e32 v70, 32, v70
	; wave barrier
	v_bitop3_b32 v71, v80, v71, v81 bitop3:0x80
	v_mbcnt_lo_u32_b32 v98, v71, 0
	v_cmp_ne_u32_e64 s15, 0, v71
	s_delay_alu instid0(VALU_DEP_2) | instskip(SKIP_1) | instid1(SALU_CYCLE_1)
	v_cmp_eq_u32_e64 s14, 0, v98
	s_and_b32 s15, s15, s14
	s_and_saveexec_b32 s14, s15
	s_cbranch_execz .LBB1421_196
; %bb.195:                              ;   in Loop: Header=BB1421_180 Depth=1
	s_wait_dscnt 0x0
	v_bcnt_u32_b32 v71, v71, v51
	ds_store_b32 v70, v71
.LBB1421_196:                           ;   in Loop: Header=BB1421_180 Depth=1
	s_or_b32 exec_lo, exec_lo, s14
	; wave barrier
	s_wait_dscnt 0x0
	s_barrier_signal -1
	s_barrier_wait -1
	ds_load_b32 v80, v23
	ds_load_b32 v81, v27
	;; [unrolled: 1-line block ×8, first 2 shown]
	s_wait_dscnt 0x6
	v_add_nc_u32_e32 v97, v81, v80
	s_wait_dscnt 0x4
	s_delay_alu instid0(VALU_DEP_1) | instskip(SKIP_1) | instid1(VALU_DEP_1)
	v_add3_u32 v97, v97, v82, v83
	s_wait_dscnt 0x2
	v_add3_u32 v97, v97, v85, v86
	s_wait_dscnt 0x0
	s_delay_alu instid0(VALU_DEP_1) | instskip(NEXT) | instid1(VALU_DEP_1)
	v_add3_u32 v87, v97, v71, v87
	v_mov_b32_dpp v97, v87 row_shr:1 row_mask:0xf bank_mask:0xf
	s_delay_alu instid0(VALU_DEP_1) | instskip(NEXT) | instid1(VALU_DEP_1)
	v_cndmask_b32_e64 v97, v97, 0, vcc_lo
	v_add_nc_u32_e32 v87, v97, v87
	s_delay_alu instid0(VALU_DEP_1) | instskip(NEXT) | instid1(VALU_DEP_1)
	v_mov_b32_dpp v97, v87 row_shr:2 row_mask:0xf bank_mask:0xf
	v_cndmask_b32_e64 v97, 0, v97, s0
	s_delay_alu instid0(VALU_DEP_1) | instskip(NEXT) | instid1(VALU_DEP_1)
	v_add_nc_u32_e32 v87, v87, v97
	v_mov_b32_dpp v97, v87 row_shr:4 row_mask:0xf bank_mask:0xf
	s_delay_alu instid0(VALU_DEP_1) | instskip(NEXT) | instid1(VALU_DEP_1)
	v_cndmask_b32_e64 v97, 0, v97, s2
	v_add_nc_u32_e32 v87, v87, v97
	s_delay_alu instid0(VALU_DEP_1) | instskip(NEXT) | instid1(VALU_DEP_1)
	v_mov_b32_dpp v97, v87 row_shr:8 row_mask:0xf bank_mask:0xf
	v_cndmask_b32_e64 v97, 0, v97, s3
	s_delay_alu instid0(VALU_DEP_1) | instskip(SKIP_3) | instid1(VALU_DEP_1)
	v_add_nc_u32_e32 v87, v87, v97
	ds_swizzle_b32 v97, v87 offset:swizzle(BROADCAST,32,15)
	s_wait_dscnt 0x0
	v_cndmask_b32_e64 v97, v97, 0, s4
	v_add_nc_u32_e32 v87, v87, v97
	s_and_saveexec_b32 s14, s5
; %bb.197:                              ;   in Loop: Header=BB1421_180 Depth=1
	ds_store_b32 v146, v87
; %bb.198:                              ;   in Loop: Header=BB1421_180 Depth=1
	s_or_b32 exec_lo, exec_lo, s14
	s_wait_dscnt 0x0
	s_barrier_signal -1
	s_barrier_wait -1
	s_and_saveexec_b32 s14, s6
	s_cbranch_execz .LBB1421_200
; %bb.199:                              ;   in Loop: Header=BB1421_180 Depth=1
	ds_load_b32 v97, v4
	s_wait_dscnt 0x0
	v_mov_b32_dpp v99, v97 row_shr:1 row_mask:0xf bank_mask:0xf
	s_delay_alu instid0(VALU_DEP_1) | instskip(NEXT) | instid1(VALU_DEP_1)
	v_cndmask_b32_e64 v99, v99, 0, s11
	v_add_nc_u32_e32 v97, v99, v97
	s_delay_alu instid0(VALU_DEP_1) | instskip(NEXT) | instid1(VALU_DEP_1)
	v_mov_b32_dpp v99, v97 row_shr:2 row_mask:0xf bank_mask:0xf
	v_cndmask_b32_e64 v99, 0, v99, s12
	s_delay_alu instid0(VALU_DEP_1) | instskip(NEXT) | instid1(VALU_DEP_1)
	v_add_nc_u32_e32 v97, v97, v99
	v_mov_b32_dpp v99, v97 row_shr:4 row_mask:0xf bank_mask:0xf
	s_delay_alu instid0(VALU_DEP_1) | instskip(NEXT) | instid1(VALU_DEP_1)
	v_cndmask_b32_e64 v99, 0, v99, s13
	v_add_nc_u32_e32 v97, v97, v99
	ds_store_b32 v4, v97
.LBB1421_200:                           ;   in Loop: Header=BB1421_180 Depth=1
	s_or_b32 exec_lo, exec_lo, s14
	v_mov_b32_e32 v97, 0
	s_wait_dscnt 0x0
	s_barrier_signal -1
	s_barrier_wait -1
	s_and_saveexec_b32 s14, s7
; %bb.201:                              ;   in Loop: Header=BB1421_180 Depth=1
	ds_load_b32 v97, v147
; %bb.202:                              ;   in Loop: Header=BB1421_180 Depth=1
	s_or_b32 exec_lo, exec_lo, s14
	s_wait_dscnt 0x0
	v_dual_add_nc_u32 v87, v97, v87 :: v_dual_add_nc_u32 v10, 8, v10
	s_mov_b32 s16, -1
	ds_bpermute_b32 v87, v145, v87
	s_wait_dscnt 0x0
	v_dual_cndmask_b32 v87, v87, v97, s1 :: v_dual_mov_b32 v97, v1
	s_delay_alu instid0(VALU_DEP_1) | instskip(NEXT) | instid1(VALU_DEP_1)
	v_cndmask_b32_e64 v87, v87, 0, s10
	v_add_nc_u32_e32 v80, v87, v80
	s_delay_alu instid0(VALU_DEP_1) | instskip(NEXT) | instid1(VALU_DEP_1)
	v_add_nc_u32_e32 v81, v80, v81
	v_add_nc_u32_e32 v82, v81, v82
	s_delay_alu instid0(VALU_DEP_1)
	v_add_nc_u32_e32 v83, v82, v83
	ds_store_b32 v23, v87
	ds_store_b32 v27, v80
	;; [unrolled: 1-line block ×3, first 2 shown]
	v_dual_mov_b32 v87, v1 :: v_dual_mov_b32 v81, v1
	v_add_nc_u32_e32 v85, v83, v85
	s_delay_alu instid0(VALU_DEP_1) | instskip(NEXT) | instid1(VALU_DEP_1)
	v_add_nc_u32_e32 v86, v85, v86
	v_add_nc_u32_e32 v71, v86, v71
	ds_store_b32 v131, v82
	ds_store_b32 v132, v83
	;; [unrolled: 1-line block ×5, first 2 shown]
	s_wait_dscnt 0x0
	s_barrier_signal -1
	s_barrier_wait -1
	ds_load_b32 v36, v36
	ds_load_b32 v39, v39
	;; [unrolled: 1-line block ×8, first 2 shown]
	v_dual_mov_b32 v83, v1 :: v_dual_mov_b32 v69, v1
	v_dual_mov_b32 v71, v1 :: v_dual_mov_b32 v85, v1
	v_cmp_lt_u32_e64 s14, v10, v11
	s_wait_dscnt 0x0
	v_add_nc_u32_e32 v0, v36, v0
	v_add3_u32 v82, v38, v37, v39
	v_add3_u32 v86, v49, v48, v50
	;; [unrolled: 1-line block ×7, first 2 shown]
	v_lshl_add_u64 v[128:129], v[0:1], 2, v[12:13]
	v_lshl_add_u64 v[118:119], v[82:83], 2, v[12:13]
	;; [unrolled: 1-line block ×8, first 2 shown]
                                        ; implicit-def: $vgpr97
                                        ; implicit-def: $vgpr87
                                        ; implicit-def: $vgpr85
                                        ; implicit-def: $vgpr83
                                        ; implicit-def: $vgpr81
                                        ; implicit-def: $vgpr71
                                        ; implicit-def: $vgpr69
                                        ; implicit-def: $vgpr99
                                        ; implicit-def: $vgpr52_vgpr53
                                        ; implicit-def: $vgpr64_vgpr65
                                        ; implicit-def: $vgpr36_vgpr37
                                        ; implicit-def: $vgpr38_vgpr39
                                        ; implicit-def: $vgpr48_vgpr49
                                        ; implicit-def: $vgpr50_vgpr51
                                        ; implicit-def: $vgpr54_vgpr55
                                        ; implicit-def: $vgpr66_vgpr67
	s_and_saveexec_b32 s15, s14
	s_cbranch_execz .LBB1421_179
; %bb.203:                              ;   in Loop: Header=BB1421_180 Depth=1
	v_lshl_add_u32 v36, v0, 2, v128
	v_lshl_add_u32 v37, v82, 2, v118
	;; [unrolled: 1-line block ×3, first 2 shown]
	s_barrier_signal -1
	s_barrier_wait -1
	ds_store_b32 v128, v180
	ds_store_b32 v118, v195
	;; [unrolled: 1-line block ×8, first 2 shown]
	s_wait_dscnt 0x0
	s_barrier_signal -1
	s_barrier_wait -1
	ds_load_b32 v99, v5
	ds_load_b32 v69, v148
	;; [unrolled: 1-line block ×8, first 2 shown]
	s_wait_dscnt 0x0
	s_barrier_signal -1
	s_barrier_wait -1
	ds_store_b64 v36, v[16:17]
	ds_store_b64 v37, v[18:19]
	;; [unrolled: 1-line block ×3, first 2 shown]
	v_lshl_add_u32 v36, v68, 2, v114
	v_lshl_add_u32 v37, v70, 2, v112
	;; [unrolled: 1-line block ×5, first 2 shown]
	ds_store_b64 v36, v[20:21]
	ds_store_b64 v37, v[30:31]
	;; [unrolled: 1-line block ×5, first 2 shown]
	s_wait_dscnt 0x0
	s_barrier_signal -1
	s_barrier_wait -1
	ds_load_b64 v[52:53], v151
	ds_load_b64 v[64:65], v164
	;; [unrolled: 1-line block ×8, first 2 shown]
	v_add_nc_u32_e32 v179, -8, v179
	s_xor_b32 s16, exec_lo, -1
	s_wait_dscnt 0x0
	s_barrier_signal -1
	s_barrier_wait -1
	s_branch .LBB1421_179
.LBB1421_204:
	flat_load_b64 v[70:71], v[0:1]
	s_wait_xcnt 0x0
	s_or_b32 exec_lo, exec_lo, s18
                                        ; implicit-def: $vgpr80_vgpr81
	s_and_saveexec_b32 s18, s0
	s_cbranch_execz .LBB1421_38
.LBB1421_205:
	flat_load_b64 v[80:81], v[0:1] offset:256
	s_wait_xcnt 0x0
	s_or_b32 exec_lo, exec_lo, s18
                                        ; implicit-def: $vgpr82_vgpr83
	s_and_saveexec_b32 s0, s1
	s_cbranch_execz .LBB1421_39
.LBB1421_206:
	flat_load_b64 v[82:83], v[0:1] offset:512
	s_wait_xcnt 0x0
	s_or_b32 exec_lo, exec_lo, s0
                                        ; implicit-def: $vgpr84_vgpr85
	s_and_saveexec_b32 s0, s2
	s_cbranch_execz .LBB1421_40
.LBB1421_207:
	flat_load_b64 v[84:85], v[0:1] offset:768
	s_wait_xcnt 0x0
	s_or_b32 exec_lo, exec_lo, s0
                                        ; implicit-def: $vgpr86_vgpr87
	s_and_saveexec_b32 s0, s3
	s_cbranch_execz .LBB1421_41
.LBB1421_208:
	flat_load_b64 v[86:87], v[0:1] offset:1024
	s_wait_xcnt 0x0
	s_or_b32 exec_lo, exec_lo, s0
                                        ; implicit-def: $vgpr96_vgpr97
	s_and_saveexec_b32 s0, s4
	s_cbranch_execz .LBB1421_42
.LBB1421_209:
	flat_load_b64 v[96:97], v[0:1] offset:1280
	s_wait_xcnt 0x0
	s_or_b32 exec_lo, exec_lo, s0
                                        ; implicit-def: $vgpr98_vgpr99
	s_and_saveexec_b32 s0, s5
	s_cbranch_execz .LBB1421_43
.LBB1421_210:
	flat_load_b64 v[98:99], v[0:1] offset:1536
	s_wait_xcnt 0x0
	s_or_b32 exec_lo, exec_lo, s0
                                        ; implicit-def: $vgpr100_vgpr101
	s_and_saveexec_b32 s0, s6
	s_cbranch_execz .LBB1421_44
.LBB1421_211:
	flat_load_b64 v[100:101], v[0:1] offset:1792
	s_wait_xcnt 0x0
	s_or_b32 exec_lo, exec_lo, s0
                                        ; implicit-def: $vgpr102_vgpr103
	s_and_saveexec_b32 s0, s7
	s_cbranch_execz .LBB1421_45
.LBB1421_212:
	flat_load_b64 v[102:103], v[0:1] offset:2048
	s_wait_xcnt 0x0
	s_or_b32 exec_lo, exec_lo, s0
                                        ; implicit-def: $vgpr112_vgpr113
	s_and_saveexec_b32 s0, s10
	s_cbranch_execz .LBB1421_46
.LBB1421_213:
	flat_load_b64 v[112:113], v[0:1] offset:2304
	s_wait_xcnt 0x0
	s_or_b32 exec_lo, exec_lo, s0
                                        ; implicit-def: $vgpr114_vgpr115
	s_and_saveexec_b32 s0, s11
	s_cbranch_execz .LBB1421_47
.LBB1421_214:
	flat_load_b64 v[114:115], v[0:1] offset:2560
	s_wait_xcnt 0x0
	s_or_b32 exec_lo, exec_lo, s0
                                        ; implicit-def: $vgpr118_vgpr119
	s_and_saveexec_b32 s0, s12
	s_cbranch_execz .LBB1421_48
.LBB1421_215:
	flat_load_b64 v[118:119], v[0:1] offset:2816
	s_wait_xcnt 0x0
	s_or_b32 exec_lo, exec_lo, s0
                                        ; implicit-def: $vgpr130_vgpr131
	s_and_saveexec_b32 s0, s13
	s_cbranch_execz .LBB1421_49
.LBB1421_216:
	flat_load_b64 v[130:131], v[0:1] offset:3072
	s_wait_xcnt 0x0
	s_or_b32 exec_lo, exec_lo, s0
                                        ; implicit-def: $vgpr116_vgpr117
	s_and_saveexec_b32 s0, s14
	s_cbranch_execz .LBB1421_50
.LBB1421_217:
	flat_load_b64 v[116:117], v[0:1] offset:3328
	s_wait_xcnt 0x0
	s_or_b32 exec_lo, exec_lo, s0
                                        ; implicit-def: $vgpr128_vgpr129
	s_and_saveexec_b32 s0, s15
	s_cbranch_execz .LBB1421_51
.LBB1421_218:
	flat_load_b64 v[128:129], v[0:1] offset:3584
	s_wait_xcnt 0x0
	s_or_b32 exec_lo, exec_lo, s0
                                        ; implicit-def: $vgpr132_vgpr133
	s_and_saveexec_b32 s0, s16
	s_cbranch_execz .LBB1421_52
.LBB1421_219:
	flat_load_b64 v[132:133], v[0:1] offset:3840
	s_wait_xcnt 0x0
	s_or_b32 exec_lo, exec_lo, s0
                                        ; implicit-def: $vgpr182_vgpr183
	s_and_saveexec_b32 s0, s17
	s_cbranch_execnz .LBB1421_53
	s_branch .LBB1421_54
.LBB1421_220:
	flat_store_b64 v[2:3], v[48:49]
	s_wait_xcnt 0x0
	s_or_b32 exec_lo, exec_lo, s18
	s_and_saveexec_b32 s18, s0
	s_cbranch_execz .LBB1421_134
.LBB1421_221:
	flat_store_b64 v[2:3], v[50:51] offset:2048
	s_wait_xcnt 0x0
	s_or_b32 exec_lo, exec_lo, s18
	s_and_saveexec_b32 s0, s1
	s_cbranch_execz .LBB1421_135
.LBB1421_222:
	flat_store_b64 v[2:3], v[34:35] offset:4096
	s_wait_xcnt 0x0
	s_or_b32 exec_lo, exec_lo, s0
	s_and_saveexec_b32 s0, s2
	s_cbranch_execz .LBB1421_136
.LBB1421_223:
	flat_store_b64 v[2:3], v[36:37] offset:6144
	s_wait_xcnt 0x0
	s_or_b32 exec_lo, exec_lo, s0
	s_and_saveexec_b32 s0, s3
	s_cbranch_execz .LBB1421_137
.LBB1421_224:
	flat_store_b64 v[2:3], v[30:31] offset:8192
	s_wait_xcnt 0x0
	s_or_b32 exec_lo, exec_lo, s0
	s_and_saveexec_b32 s0, s4
	s_cbranch_execz .LBB1421_138
.LBB1421_225:
	flat_store_b64 v[2:3], v[32:33] offset:10240
	s_wait_xcnt 0x0
	s_or_b32 exec_lo, exec_lo, s0
	s_and_saveexec_b32 s0, s5
	s_cbranch_execz .LBB1421_139
.LBB1421_226:
	flat_store_b64 v[2:3], v[26:27] offset:12288
	s_wait_xcnt 0x0
	s_or_b32 exec_lo, exec_lo, s0
	s_and_saveexec_b32 s0, s6
	s_cbranch_execz .LBB1421_140
.LBB1421_227:
	flat_store_b64 v[2:3], v[28:29] offset:14336
	s_wait_xcnt 0x0
	s_or_b32 exec_lo, exec_lo, s0
	s_and_saveexec_b32 s0, s7
	s_cbranch_execz .LBB1421_141
.LBB1421_228:
	flat_store_b64 v[2:3], v[22:23] offset:16384
	s_wait_xcnt 0x0
	s_or_b32 exec_lo, exec_lo, s0
	s_and_saveexec_b32 s0, s10
	s_cbranch_execz .LBB1421_142
.LBB1421_229:
	flat_store_b64 v[2:3], v[24:25] offset:18432
	s_wait_xcnt 0x0
	s_or_b32 exec_lo, exec_lo, s0
	s_and_saveexec_b32 s0, s11
	s_cbranch_execz .LBB1421_143
.LBB1421_230:
	flat_store_b64 v[2:3], v[18:19] offset:20480
	s_wait_xcnt 0x0
	s_or_b32 exec_lo, exec_lo, s0
	s_and_saveexec_b32 s0, s12
	s_cbranch_execz .LBB1421_144
.LBB1421_231:
	flat_store_b64 v[2:3], v[20:21] offset:22528
	s_wait_xcnt 0x0
	s_or_b32 exec_lo, exec_lo, s0
	s_and_saveexec_b32 s0, s13
	s_cbranch_execz .LBB1421_145
.LBB1421_232:
	flat_store_b64 v[2:3], v[14:15] offset:24576
	s_wait_xcnt 0x0
	s_or_b32 exec_lo, exec_lo, s0
	s_and_saveexec_b32 s0, s14
	s_cbranch_execz .LBB1421_146
.LBB1421_233:
	flat_store_b64 v[2:3], v[16:17] offset:26624
	s_wait_xcnt 0x0
	s_or_b32 exec_lo, exec_lo, s0
	s_and_saveexec_b32 s0, s15
	s_cbranch_execz .LBB1421_147
.LBB1421_234:
	flat_store_b64 v[2:3], v[10:11] offset:28672
	s_wait_xcnt 0x0
	s_or_b32 exec_lo, exec_lo, s0
	s_and_saveexec_b32 s0, s16
	s_cbranch_execz .LBB1421_148
.LBB1421_235:
	flat_store_b64 v[2:3], v[12:13] offset:30720
	s_wait_xcnt 0x0
	s_or_b32 exec_lo, exec_lo, s0
	s_and_saveexec_b32 s0, s17
	s_cbranch_execnz .LBB1421_149
	s_branch .LBB1421_150
.LBB1421_236:
	s_or_b32 exec_lo, exec_lo, s24
	v_lshl_add_u32 v0, v0, 2, v128
	v_lshl_add_u32 v1, v82, 2, v118
	;; [unrolled: 1-line block ×3, first 2 shown]
	s_barrier_signal -1
	s_barrier_wait -1
	ds_store_b32 v128, v180
	ds_store_b32 v118, v195
	ds_store_b32 v116, v194
	ds_store_b32 v114, v193
	ds_store_b32 v112, v192
	ds_store_b32 v102, v183
	ds_store_b32 v100, v182
	ds_store_b32 v98, v181
	s_wait_dscnt 0x0
	s_barrier_signal -1
	s_barrier_wait -1
	ds_load_2addr_stride64_b32 v[48:49], v4 offset1:4
	ds_load_2addr_stride64_b32 v[38:39], v4 offset0:8 offset1:12
	ds_load_2addr_stride64_b32 v[36:37], v4 offset0:16 offset1:20
	;; [unrolled: 1-line block ×3, first 2 shown]
	s_wait_dscnt 0x0
	s_barrier_signal -1
	s_barrier_wait -1
	ds_store_b64 v0, v[16:17]
	ds_store_b64 v1, v[18:19]
	;; [unrolled: 1-line block ×3, first 2 shown]
	v_lshl_add_u32 v0, v68, 2, v114
	v_lshl_add_u32 v1, v70, 2, v112
	;; [unrolled: 1-line block ×5, first 2 shown]
	ds_store_b64 v0, v[20:21]
	ds_store_b64 v1, v[30:31]
	;; [unrolled: 1-line block ×5, first 2 shown]
	v_lshl_add_u32 v0, v22, 3, v12
	s_wait_dscnt 0x0
	s_barrier_signal -1
	s_barrier_wait -1
	ds_load_2addr_stride64_b64 v[22:25], v0 offset1:4
	ds_load_2addr_stride64_b64 v[18:21], v0 offset0:8 offset1:12
	ds_load_2addr_stride64_b64 v[14:17], v0 offset0:16 offset1:20
	;; [unrolled: 1-line block ×3, first 2 shown]
	v_lshl_add_u64 v[0:1], v[8:9], 2, v[2:3]
	v_mov_b32_e32 v27, 0
	s_set_vgpr_msb 4                        ;  msbs: dst=0 src0=0 src1=1 src2=0
	v_cmp_lt_u32_e32 vcc_lo, v26, v10 /*v266*/
	s_wait_dscnt 0x0
	s_barrier_signal -1
	s_barrier_wait -1
	v_lshl_add_u64 v[0:1], v[26:27], 2, v[0:1]
	s_and_saveexec_b32 s1, vcc_lo
	s_set_vgpr_msb 0                        ;  msbs: dst=0 src0=0 src1=0 src2=0
	s_cbranch_execz .LBB1421_238
; %bb.237:
	v_cmp_lt_i32_e64 s0, -1, v48
	s_delay_alu instid0(VALU_DEP_1) | instskip(NEXT) | instid1(VALU_DEP_1)
	v_cndmask_b32_e64 v2, 0x80000000, -1, s0
	v_xor_b32_e32 v2, v2, v48
	flat_store_b32 v[0:1], v2
.LBB1421_238:
	s_wait_xcnt 0x0
	s_or_b32 exec_lo, exec_lo, s1
	v_add_nc_u32_e32 v2, 0x100, v26
	s_set_vgpr_msb 4                        ;  msbs: dst=0 src0=0 src1=1 src2=0
	s_delay_alu instid0(VALU_DEP_1)
	v_cmp_lt_u32_e64 s0, v2, v10 /*v266*/
	s_and_saveexec_b32 s2, s0
	s_set_vgpr_msb 0                        ;  msbs: dst=0 src0=0 src1=0 src2=0
	s_cbranch_execz .LBB1421_240
; %bb.239:
	v_cmp_lt_i32_e64 s1, -1, v49
	s_delay_alu instid0(VALU_DEP_1) | instskip(NEXT) | instid1(VALU_DEP_1)
	v_cndmask_b32_e64 v2, 0x80000000, -1, s1
	v_xor_b32_e32 v2, v2, v49
	flat_store_b32 v[0:1], v2 offset:1024
.LBB1421_240:
	s_wait_xcnt 0x0
	s_or_b32 exec_lo, exec_lo, s2
	v_add_nc_u32_e32 v2, 0x200, v26
	s_set_vgpr_msb 4                        ;  msbs: dst=0 src0=0 src1=1 src2=0
	s_delay_alu instid0(VALU_DEP_1)
	v_cmp_lt_u32_e64 s1, v2, v10 /*v266*/
	s_and_saveexec_b32 s3, s1
	s_set_vgpr_msb 0                        ;  msbs: dst=0 src0=0 src1=0 src2=0
	s_cbranch_execz .LBB1421_242
; %bb.241:
	v_cmp_lt_i32_e64 s2, -1, v38
	s_delay_alu instid0(VALU_DEP_1) | instskip(NEXT) | instid1(VALU_DEP_1)
	v_cndmask_b32_e64 v2, 0x80000000, -1, s2
	v_xor_b32_e32 v2, v2, v38
	flat_store_b32 v[0:1], v2 offset:2048
.LBB1421_242:
	s_wait_xcnt 0x0
	s_or_b32 exec_lo, exec_lo, s3
	v_add_nc_u32_e32 v2, 0x300, v26
	s_set_vgpr_msb 4                        ;  msbs: dst=0 src0=0 src1=1 src2=0
	s_delay_alu instid0(VALU_DEP_1)
	v_cmp_lt_u32_e64 s2, v2, v10 /*v266*/
	s_and_saveexec_b32 s4, s2
	s_set_vgpr_msb 0                        ;  msbs: dst=0 src0=0 src1=0 src2=0
	s_cbranch_execz .LBB1421_244
; %bb.243:
	v_cmp_lt_i32_e64 s3, -1, v39
	s_delay_alu instid0(VALU_DEP_1) | instskip(NEXT) | instid1(VALU_DEP_1)
	v_cndmask_b32_e64 v2, 0x80000000, -1, s3
	v_xor_b32_e32 v2, v2, v39
	flat_store_b32 v[0:1], v2 offset:3072
.LBB1421_244:
	s_wait_xcnt 0x0
	s_or_b32 exec_lo, exec_lo, s4
	v_add_nc_u32_e32 v2, 0x400, v26
	s_set_vgpr_msb 4                        ;  msbs: dst=0 src0=0 src1=1 src2=0
	s_delay_alu instid0(VALU_DEP_1)
	v_cmp_lt_u32_e64 s3, v2, v10 /*v266*/
	s_and_saveexec_b32 s5, s3
	s_set_vgpr_msb 0                        ;  msbs: dst=0 src0=0 src1=0 src2=0
	s_cbranch_execz .LBB1421_246
; %bb.245:
	v_cmp_lt_i32_e64 s4, -1, v36
	s_delay_alu instid0(VALU_DEP_1) | instskip(NEXT) | instid1(VALU_DEP_1)
	v_cndmask_b32_e64 v2, 0x80000000, -1, s4
	v_xor_b32_e32 v2, v2, v36
	flat_store_b32 v[0:1], v2 offset:4096
.LBB1421_246:
	s_wait_xcnt 0x0
	s_or_b32 exec_lo, exec_lo, s5
	v_add_nc_u32_e32 v2, 0x500, v26
	s_set_vgpr_msb 4                        ;  msbs: dst=0 src0=0 src1=1 src2=0
	s_delay_alu instid0(VALU_DEP_1)
	v_cmp_lt_u32_e64 s4, v2, v10 /*v266*/
	s_and_saveexec_b32 s6, s4
	s_set_vgpr_msb 0                        ;  msbs: dst=0 src0=0 src1=0 src2=0
	s_cbranch_execz .LBB1421_248
; %bb.247:
	v_cmp_lt_i32_e64 s5, -1, v37
	s_delay_alu instid0(VALU_DEP_1) | instskip(NEXT) | instid1(VALU_DEP_1)
	v_cndmask_b32_e64 v2, 0x80000000, -1, s5
	v_xor_b32_e32 v2, v2, v37
	flat_store_b32 v[0:1], v2 offset:5120
.LBB1421_248:
	s_wait_xcnt 0x0
	s_or_b32 exec_lo, exec_lo, s6
	v_add_nc_u32_e32 v2, 0x600, v26
	s_set_vgpr_msb 4                        ;  msbs: dst=0 src0=0 src1=1 src2=0
	s_delay_alu instid0(VALU_DEP_1)
	v_cmp_lt_u32_e64 s5, v2, v10 /*v266*/
	s_and_saveexec_b32 s7, s5
	s_set_vgpr_msb 0                        ;  msbs: dst=0 src0=0 src1=0 src2=0
	s_cbranch_execz .LBB1421_250
; %bb.249:
	v_cmp_lt_i32_e64 s6, -1, v4
	s_delay_alu instid0(VALU_DEP_1) | instskip(NEXT) | instid1(VALU_DEP_1)
	v_cndmask_b32_e64 v2, 0x80000000, -1, s6
	v_xor_b32_e32 v2, v2, v4
	flat_store_b32 v[0:1], v2 offset:6144
.LBB1421_250:
	s_wait_xcnt 0x0
	s_or_b32 exec_lo, exec_lo, s7
	v_add_nc_u32_e32 v2, 0x700, v26
	s_set_vgpr_msb 4                        ;  msbs: dst=0 src0=0 src1=1 src2=0
	s_delay_alu instid0(VALU_DEP_1)
	v_cmp_lt_u32_e64 s6, v2, v10 /*v266*/
	s_and_saveexec_b32 s10, s6
	s_set_vgpr_msb 0                        ;  msbs: dst=0 src0=0 src1=0 src2=0
	s_cbranch_execz .LBB1421_252
; %bb.251:
	v_cmp_lt_i32_e64 s7, -1, v5
	s_delay_alu instid0(VALU_DEP_1) | instskip(NEXT) | instid1(VALU_DEP_1)
	v_cndmask_b32_e64 v2, 0x80000000, -1, s7
	v_xor_b32_e32 v2, v2, v5
	flat_store_b32 v[0:1], v2 offset:7168
.LBB1421_252:
	s_wait_xcnt 0x0
	s_or_b32 exec_lo, exec_lo, s10
	v_lshl_add_u64 v[0:1], v[8:9], 3, v[6:7]
	s_delay_alu instid0(VALU_DEP_1)
	v_lshl_add_u64 v[0:1], v[26:27], 3, v[0:1]
	s_and_saveexec_b32 s7, vcc_lo
	s_cbranch_execnz .LBB1421_302
; %bb.253:
	s_or_b32 exec_lo, exec_lo, s7
	s_and_saveexec_b32 s7, s0
	s_cbranch_execnz .LBB1421_303
.LBB1421_254:
	s_or_b32 exec_lo, exec_lo, s7
	s_and_saveexec_b32 s0, s1
	s_cbranch_execnz .LBB1421_304
.LBB1421_255:
	s_or_b32 exec_lo, exec_lo, s0
	s_and_saveexec_b32 s0, s2
	s_cbranch_execnz .LBB1421_305
.LBB1421_256:
	s_or_b32 exec_lo, exec_lo, s0
	s_and_saveexec_b32 s0, s3
	s_cbranch_execnz .LBB1421_306
.LBB1421_257:
	s_or_b32 exec_lo, exec_lo, s0
	s_and_saveexec_b32 s0, s4
	s_cbranch_execnz .LBB1421_307
.LBB1421_258:
	s_or_b32 exec_lo, exec_lo, s0
	s_and_saveexec_b32 s0, s5
	s_cbranch_execnz .LBB1421_308
.LBB1421_259:
	s_or_b32 exec_lo, exec_lo, s0
	s_and_saveexec_b32 s0, s6
	s_cbranch_execz .LBB1421_261
.LBB1421_260:
	flat_store_b64 v[0:1], v[12:13] offset:14336
.LBB1421_261:
	s_wait_xcnt 0x0
	s_or_b32 exec_lo, exec_lo, s0
                                        ; implicit-def: $vgpr266
                                        ; implicit-def: $vgpr8
                                        ; implicit-def: $vgpr10
                                        ; implicit-def: $vgpr11
                                        ; implicit-def: $vgpr0_vgpr1
                                        ; implicit-def: $vgpr2_vgpr3
                                        ; implicit-def: $vgpr4_vgpr5
                                        ; implicit-def: $vgpr6_vgpr7
                                        ; implicit-def: $vgpr12_vgpr13
                                        ; implicit-def: $vgpr9
                                        ; implicit-def: $vgpr14
                                        ; implicit-def: $vgpr22
                                        ; implicit-def: $vgpr68
.LBB1421_262:
	s_and_not1_saveexec_b32 s0, s20
	s_cbranch_execz .LBB1421_382
; %bb.263:
	s_mov_b32 s0, exec_lo
	s_set_vgpr_msb 4                        ;  msbs: dst=0 src0=0 src1=1 src2=0
	v_cmpx_lt_u32_e32 0x200, v10 /*v266*/
	s_xor_b32 s23, exec_lo, s0
	s_set_vgpr_msb 0                        ;  msbs: dst=0 src0=0 src1=0 src2=0
	s_cbranch_execz .LBB1421_323
; %bb.264:
	s_load_b64 s[0:1], s[8:9], 0x0
	s_bfe_u32 s3, ttmp6, 0x4000c
	s_bfe_u32 s5, ttmp6, 0x40010
	s_and_b32 s4, ttmp7, 0xffff
	s_add_co_i32 s3, s3, 1
	s_add_co_i32 s5, s5, 1
	s_and_b32 s2, ttmp6, 15
	s_bfe_u32 s6, ttmp6, 0x40004
	s_mul_i32 s3, ttmp9, s3
	s_mul_i32 s5, s4, s5
	s_add_co_i32 s2, s2, s3
	s_add_co_i32 s6, s6, s5
	s_cmp_eq_u32 s22, 0
	s_mov_b32 s3, 0
	s_cselect_b32 s2, ttmp9, s2
	s_cselect_b32 s4, s4, s6
	v_lshlrev_b32_e32 v16, 2, v68
	s_wait_kmcnt 0x0
	s_cmp_lt_u32 s2, s0
	s_cselect_b32 s2, 12, 18
	s_cmp_lt_u32 s4, s1
	s_mov_b32 s1, s3
	s_cselect_b32 s0, 14, 20
	s_delay_alu instid0(SALU_CYCLE_1)
	s_add_nc_u64 s[0:1], s[8:9], s[0:1]
	s_load_u16 s4, s[0:1], 0x0
	s_wait_xcnt 0x0
	s_add_nc_u64 s[0:1], s[8:9], s[2:3]
	s_load_u16 s0, s[0:1], 0x0
	s_wait_kmcnt 0x0
	v_mad_u32_u24 v9, v14, s4, v9
	s_delay_alu instid0(VALU_DEP_1) | instskip(SKIP_1) | instid1(VALU_DEP_1)
	v_mad_u32 v18, v9, s0, v22
	v_mov_b32_e32 v9, 0
	v_lshl_add_u64 v[20:21], v[8:9], 2, v[0:1]
	s_delay_alu instid0(VALU_DEP_3) | instskip(NEXT) | instid1(VALU_DEP_1)
	v_dual_mov_b32 v17, v9 :: v_dual_lshlrev_b32 v14, 2, v18
	v_add_nc_u64_e32 v[20:21], v[20:21], v[16:17]
	s_delay_alu instid0(VALU_DEP_2) | instskip(SKIP_1) | instid1(VALU_DEP_2)
	v_and_b32_e32 v0, 0xffffff80, v14
	v_bfrev_b32_e32 v14, -2
	v_dual_mov_b32 v1, v9 :: v_dual_bitop2_b32 v19, v0, v68 bitop3:0x54
	s_delay_alu instid0(VALU_DEP_2) | instskip(NEXT) | instid1(VALU_DEP_2)
	v_dual_mov_b32 v15, v14 :: v_dual_mov_b32 v16, v14
	v_lshl_add_u64 v[20:21], v[0:1], 2, v[20:21]
	v_mov_b32_e32 v17, v14
	s_set_vgpr_msb 4                        ;  msbs: dst=0 src0=0 src1=1 src2=0
	v_cmp_lt_u32_e32 vcc_lo, v19, v10 /*v266*/
	s_and_saveexec_b32 s0, vcc_lo
	s_set_vgpr_msb 0                        ;  msbs: dst=0 src0=0 src1=0 src2=0
	s_cbranch_execz .LBB1421_266
; %bb.265:
	flat_load_b32 v24, v[20:21]
	v_dual_mov_b32 v25, v14 :: v_dual_mov_b32 v26, v14
	v_mov_b32_e32 v27, v14
	s_wait_loadcnt_dscnt 0x0
	s_delay_alu instid0(VALU_DEP_2) | instskip(NEXT) | instid1(VALU_DEP_2)
	v_mov_b64_e32 v[14:15], v[24:25]
	v_mov_b64_e32 v[16:17], v[26:27]
.LBB1421_266:
	s_wait_xcnt 0x0
	s_or_b32 exec_lo, exec_lo, s0
	v_or_b32_e32 v23, 32, v19
	s_set_vgpr_msb 4                        ;  msbs: dst=0 src0=0 src1=1 src2=0
	s_delay_alu instid0(VALU_DEP_1)
	v_cmp_lt_u32_e64 s0, v23, v10 /*v266*/
	s_and_saveexec_b32 s1, s0
	s_set_vgpr_msb 0                        ;  msbs: dst=0 src0=0 src1=0 src2=0
	s_cbranch_execz .LBB1421_268
; %bb.267:
	flat_load_b32 v15, v[20:21] offset:128
.LBB1421_268:
	s_wait_xcnt 0x0
	s_or_b32 exec_lo, exec_lo, s1
	v_or_b32_e32 v23, 64, v19
	s_set_vgpr_msb 4                        ;  msbs: dst=0 src0=0 src1=1 src2=0
	s_delay_alu instid0(VALU_DEP_1)
	v_cmp_lt_u32_e64 s1, v23, v10 /*v266*/
	s_and_saveexec_b32 s2, s1
	s_set_vgpr_msb 0                        ;  msbs: dst=0 src0=0 src1=0 src2=0
	s_cbranch_execz .LBB1421_270
; %bb.269:
	flat_load_b32 v16, v[20:21] offset:256
.LBB1421_270:
	;; [unrolled: 12-line block ×3, first 2 shown]
	s_wait_xcnt 0x0
	s_or_b32 exec_lo, exec_lo, s3
	v_lshl_add_u64 v[4:5], v[8:9], 3, v[4:5]
	v_dual_mov_b32 v21, 0 :: v_dual_lshlrev_b32 v20, 3, v68
                                        ; implicit-def: $vgpr28_vgpr29
	s_delay_alu instid0(VALU_DEP_1) | instskip(NEXT) | instid1(VALU_DEP_1)
	v_add_nc_u64_e32 v[4:5], v[4:5], v[20:21]
	v_lshl_add_u64 v[0:1], v[0:1], 3, v[4:5]
	s_and_saveexec_b32 s3, vcc_lo
	s_cbranch_execnz .LBB1421_347
; %bb.273:
	s_or_b32 exec_lo, exec_lo, s3
                                        ; implicit-def: $vgpr30_vgpr31
	s_and_saveexec_b32 s3, s0
	s_cbranch_execnz .LBB1421_348
.LBB1421_274:
	s_or_b32 exec_lo, exec_lo, s3
                                        ; implicit-def: $vgpr32_vgpr33
	s_and_saveexec_b32 s0, s1
	s_cbranch_execnz .LBB1421_349
.LBB1421_275:
	s_or_b32 exec_lo, exec_lo, s0
                                        ; implicit-def: $vgpr34_vgpr35
	s_and_saveexec_b32 s0, s2
	s_cbranch_execz .LBB1421_277
.LBB1421_276:
	flat_load_b64 v[34:35], v[0:1] offset:768
.LBB1421_277:
	s_wait_xcnt 0x0
	s_or_b32 exec_lo, exec_lo, s0
	v_cmp_lt_i32_e32 vcc_lo, -1, v14
	v_lshl_add_u32 v5, v22, 5, v12
	s_get_pc_i64 s[0:1]
	s_add_nc_u64 s[0:1], s[0:1], _ZN7rocprim17ROCPRIM_400000_NS16block_radix_sortIfLj256ELj4ElLj1ELj1ELj8ELNS0_26block_radix_rank_algorithmE2ELNS0_18block_padding_hintE2ELNS0_4arch9wavefront6targetE0EE19radix_bits_per_passE@rel64+4
	v_cmp_lt_u32_e64 s7, 31, v22
	s_load_b32 s24, s[0:1], 0x0
	v_cndmask_b32_e64 v0, -1, 0x80000000, vcc_lo
	s_wait_loadcnt_dscnt 0x0
	v_cmp_lt_i32_e32 vcc_lo, -1, v15
	v_dual_add_nc_u32 v67, 44, v5 :: v_dual_add_nc_u32 v69, 48, v5
	s_delay_alu instid0(VALU_DEP_3) | instskip(SKIP_4) | instid1(VALU_DEP_3)
	v_dual_add_nc_u32 v70, 52, v5 :: v_dual_bitop2_b32 v51, v0, v14 bitop3:0x14
	v_add_nc_u32_e32 v19, 32, v5
	v_cndmask_b32_e64 v1, -1, 0x80000000, vcc_lo
	v_cmp_lt_i32_e32 vcc_lo, -1, v16
	v_sub_co_u32 v14, s2, v68, 1
	v_dual_add_nc_u32 v23, 36, v5 :: v_dual_bitop2_b32 v37, v1, v15 bitop3:0x14
	v_cndmask_b32_e64 v0, -1, 0x80000000, vcc_lo
	v_cmp_lt_i32_e32 vcc_lo, -1, v17
	v_dual_add_nc_u32 v66, 40, v5 :: v_dual_add_nc_u32 v71, 56, v5
	s_delay_alu instid0(VALU_DEP_3)
	v_dual_add_nc_u32 v80, 60, v5 :: v_dual_bitop2_b32 v39, v0, v16 bitop3:0x14
	v_and_b32_e32 v0, 0x3e0, v22
	v_cndmask_b32_e64 v4, -1, 0x80000000, vcc_lo
	v_and_b32_e32 v1, 15, v68
	v_cmp_gt_i32_e64 s6, 0, v14
	v_lshrrev_b32_e32 v81, 5, v18
	v_min_u32_e32 v0, 0xe0, v0
	v_xor_b32_e32 v49, v4, v17
	v_and_b32_e32 v4, 16, v68
	v_cmp_eq_u32_e32 vcc_lo, 0, v1
	s_wait_xcnt 0x0
	v_cmp_lt_u32_e64 s0, 1, v1
	v_dual_lshlrev_b32 v0, 2, v22 :: v_dual_bitop2_b32 v5, 31, v0 bitop3:0x54
	v_cmp_eq_u32_e64 s4, 0, v4
	v_lshrrev_b32_e32 v4, 3, v22
	v_cmp_lt_u32_e64 s1, 3, v1
	s_delay_alu instid0(VALU_DEP_4)
	v_cmp_eq_u32_e64 s5, v22, v5
	v_and_or_b32 v5, 0xf80, v0, v68
	v_cmp_lt_u32_e64 s3, 7, v1
	v_cndmask_b32_e64 v1, v14, v68, s6
	v_and_b32_e32 v4, 0x7c, v4
	v_cmp_gt_u32_e64 s6, 8, v22
	v_dual_lshlrev_b32 v14, 2, v5 :: v_dual_bitop2_b32 v15, 7, v68 bitop3:0x40
	s_delay_alu instid0(VALU_DEP_4) | instskip(SKIP_1) | instid1(VALU_DEP_3)
	v_dual_mov_b32 v1, 0 :: v_dual_lshlrev_b32 v82, 2, v1
	v_cmp_eq_u32_e64 s10, 0, v22
	v_dual_add_nc_u32 v83, v12, v14 :: v_dual_add_nc_u32 v68, v12, v4
	s_delay_alu instid0(VALU_DEP_4) | instskip(NEXT) | instid1(VALU_DEP_4)
	v_cmp_eq_u32_e64 s11, 0, v15
	v_add_nc_u64_e32 v[4:5], v[12:13], v[0:1]
	v_cmp_lt_u32_e64 s12, 1, v15
	s_delay_alu instid0(VALU_DEP_4)
	v_add_nc_u32_e32 v5, v83, v14
	v_cmp_lt_u32_e64 s13, 3, v15
	v_mov_b64_e32 v[14:15], 0
	v_dual_add_nc_u32 v84, -4, v68 :: v_dual_sub_nc_u32 v99, v11, v10
	v_add_nc_u32_e32 v85, 0x80, v83
	v_add_nc_u32_e32 v86, 0x100, v83
	;; [unrolled: 1-line block ×6, first 2 shown]
	s_mov_b32 s25, 0
	s_wait_storecnt 0x0
	s_barrier_signal -1
	s_barrier_wait -1
	s_branch .LBB1421_279
.LBB1421_278:                           ;   in Loop: Header=BB1421_279 Depth=1
	s_or_b32 exec_lo, exec_lo, s15
	s_delay_alu instid0(SALU_CYCLE_1) | instskip(NEXT) | instid1(SALU_CYCLE_1)
	s_and_b32 s14, exec_lo, s16
	s_or_b32 s25, s14, s25
	s_delay_alu instid0(SALU_CYCLE_1)
	s_and_not1_b32 exec_lo, exec_lo, s25
	s_cbranch_execz .LBB1421_309
.LBB1421_279:                           ; =>This Inner Loop Header: Depth=1
	v_mov_b32_e32 v100, v51
	s_wait_kmcnt 0x0
	v_min_u32_e32 v0, s24, v99
	ds_store_b64 v19, v[14:15]
	ds_store_b64 v66, v[14:15]
	;; [unrolled: 1-line block ×4, first 2 shown]
	s_wait_dscnt 0x0
	v_cmp_ne_u32_e64 s14, 0x7fffffff, v100
	v_lshlrev_b32_e64 v36, v0, -1
	s_barrier_signal -1
	s_barrier_wait -1
	s_delay_alu instid0(VALU_DEP_2) | instskip(NEXT) | instid1(VALU_DEP_1)
	v_cndmask_b32_e64 v16, 0x80000000, v100, s14
	; wave barrier
	v_dual_mov_b32 v102, v39 :: v_dual_lshrrev_b32 v0, v10, v16
	s_delay_alu instid0(VALU_DEP_1) | instskip(SKIP_2) | instid1(VALU_DEP_3)
	v_bitop3_b32 v16, v0, 1, v36 bitop3:0x40
	v_bitop3_b32 v0, v0, v36, v0 bitop3:0x30
	v_mov_b32_e32 v101, v49
	v_add_co_u32 v16, s14, v16, -1
	s_delay_alu instid0(VALU_DEP_1) | instskip(NEXT) | instid1(VALU_DEP_4)
	v_cndmask_b32_e64 v17, 0, 1, s14
	v_dual_lshlrev_b32 v20, 30, v0 :: v_dual_lshlrev_b32 v21, 29, v0
	v_dual_lshlrev_b32 v24, 28, v0 :: v_dual_lshlrev_b32 v25, 27, v0
	v_lshlrev_b32_e32 v26, 26, v0
	s_delay_alu instid0(VALU_DEP_4) | instskip(NEXT) | instid1(VALU_DEP_4)
	v_cmp_ne_u32_e64 s14, 0, v17
	v_not_b32_e32 v17, v20
	v_cmp_gt_i32_e64 s15, 0, v20
	v_cmp_gt_i32_e64 s16, 0, v21
	v_not_b32_e32 v20, v21
	v_not_b32_e32 v21, v24
	v_dual_ashrrev_i32 v17, 31, v17 :: v_dual_bitop2_b32 v16, s14, v16 bitop3:0x14
	v_dual_lshlrev_b32 v27, 25, v0 :: v_dual_lshlrev_b32 v38, 24, v0
	v_cmp_gt_i32_e64 s17, 0, v24
	v_cmp_gt_i32_e64 s18, 0, v25
	v_not_b32_e32 v24, v25
	v_not_b32_e32 v25, v26
	v_dual_ashrrev_i32 v20, 31, v20 :: v_dual_ashrrev_i32 v21, 31, v21
	s_delay_alu instid0(VALU_DEP_3) | instskip(SKIP_1) | instid1(VALU_DEP_3)
	v_dual_ashrrev_i32 v24, 31, v24 :: v_dual_bitop2_b32 v17, s15, v17 bitop3:0x14
	v_cmp_gt_i32_e64 s19, 0, v26
	v_dual_ashrrev_i32 v25, 31, v25 :: v_dual_bitop2_b32 v20, s16, v20 bitop3:0x14
	s_delay_alu instid0(VALU_DEP_3) | instskip(SKIP_4) | instid1(VALU_DEP_4)
	v_bitop3_b32 v16, v16, v17, exec_lo bitop3:0x80
	v_not_b32_e32 v17, v27
	v_not_b32_e32 v26, v38
	v_xor_b32_e32 v21, s17, v21
	v_cmp_gt_i32_e64 s20, 0, v27
	v_dual_ashrrev_i32 v17, 31, v17 :: v_dual_bitop2_b32 v24, s18, v24 bitop3:0x14
	v_xor_b32_e32 v25, s19, v25
	s_delay_alu instid0(VALU_DEP_4) | instskip(SKIP_3) | instid1(VALU_DEP_4)
	v_bitop3_b32 v16, v16, v21, v20 bitop3:0x80
	v_cmp_gt_i32_e64 s14, 0, v38
	v_dual_mov_b32 v103, v37 :: v_dual_ashrrev_i32 v20, 31, v26
	v_xor_b32_e32 v27, s20, v17
	v_bitop3_b32 v26, v16, v25, v24 bitop3:0x80
	v_lshl_add_u32 v0, v0, 3, v81
	s_delay_alu instid0(VALU_DEP_4)
	v_xor_b32_e32 v37, s14, v20
	v_mov_b64_e32 v[20:21], v[30:31]
	v_mov_b64_e32 v[24:25], v[28:29]
	;; [unrolled: 1-line block ×3, first 2 shown]
	v_lshl_add_u64 v[28:29], v[0:1], 2, v[12:13]
	v_bitop3_b32 v30, v26, v37, v27 bitop3:0x80
	v_mov_b64_e32 v[26:27], v[34:35]
	s_delay_alu instid0(VALU_DEP_3) | instskip(NEXT) | instid1(VALU_DEP_3)
	v_add_nc_u64_e32 v[28:29], 32, v[28:29]
	v_mbcnt_lo_u32_b32 v0, v30, 0
	v_cmp_ne_u32_e64 s15, 0, v30
	s_delay_alu instid0(VALU_DEP_2) | instskip(SKIP_1) | instid1(SALU_CYCLE_1)
	v_cmp_eq_u32_e64 s14, 0, v0
	s_and_b32 s15, s15, s14
	s_and_saveexec_b32 s14, s15
; %bb.280:                              ;   in Loop: Header=BB1421_279 Depth=1
	v_bcnt_u32_b32 v29, v30, 0
	ds_store_b32 v28, v29
; %bb.281:                              ;   in Loop: Header=BB1421_279 Depth=1
	s_or_b32 exec_lo, exec_lo, s14
	v_cmp_ne_u32_e64 s14, 0x7fffffff, v103
	v_not_b32_e32 v35, v36
	; wave barrier
	s_delay_alu instid0(VALU_DEP_2) | instskip(NEXT) | instid1(VALU_DEP_1)
	v_cndmask_b32_e64 v29, 0x80000000, v103, s14
	v_lshrrev_b32_e32 v29, v10, v29
	s_delay_alu instid0(VALU_DEP_1) | instskip(NEXT) | instid1(VALU_DEP_1)
	v_and_b32_e32 v30, v29, v35
	v_lshlrev_b32_e32 v33, 30, v30
	v_bitop3_b32 v29, v29, 1, v35 bitop3:0x80
	s_delay_alu instid0(VALU_DEP_2) | instskip(NEXT) | instid1(VALU_DEP_2)
	v_cmp_gt_i32_e64 s15, 0, v33
	v_add_co_u32 v29, s14, v29, -1
	s_delay_alu instid0(VALU_DEP_1) | instskip(NEXT) | instid1(VALU_DEP_1)
	v_cndmask_b32_e64 v32, 0, 1, s14
	v_cmp_ne_u32_e64 s14, 0, v32
	v_not_b32_e32 v32, v33
	s_delay_alu instid0(VALU_DEP_1) | instskip(SKIP_3) | instid1(VALU_DEP_4)
	v_dual_ashrrev_i32 v32, 31, v32 :: v_dual_lshlrev_b32 v34, 29, v30
	v_dual_lshlrev_b32 v36, 28, v30 :: v_dual_lshlrev_b32 v37, 27, v30
	v_lshlrev_b32_e32 v38, 26, v30
	v_lshl_add_u32 v31, v30, 3, v81
	v_cmp_gt_i32_e64 s16, 0, v34
	v_not_b32_e32 v33, v34
	v_not_b32_e32 v34, v36
	v_cmp_gt_i32_e64 s17, 0, v36
	v_not_b32_e32 v36, v37
	v_xor_b32_e32 v29, s14, v29
	v_dual_ashrrev_i32 v33, 31, v33 :: v_dual_bitop2_b32 v32, s15, v32 bitop3:0x14
	v_ashrrev_i32_e32 v34, 31, v34
	v_dual_lshlrev_b32 v39, 25, v30 :: v_dual_lshlrev_b32 v30, 24, v30
	v_cmp_gt_i32_e64 s18, 0, v37
	v_not_b32_e32 v37, v38
	v_dual_ashrrev_i32 v36, 31, v36 :: v_dual_bitop2_b32 v33, s16, v33 bitop3:0x14
	v_xor_b32_e32 v34, s17, v34
	v_bitop3_b32 v29, v29, v32, exec_lo bitop3:0x80
	v_cmp_gt_i32_e64 s14, 0, v38
	v_ashrrev_i32_e32 v32, 31, v37
	v_not_b32_e32 v37, v39
	v_xor_b32_e32 v36, s18, v36
	v_bitop3_b32 v29, v29, v34, v33 bitop3:0x80
	v_not_b32_e32 v33, v30
	v_xor_b32_e32 v32, s14, v32
	v_cmp_gt_i32_e64 s14, 0, v39
	v_ashrrev_i32_e32 v34, 31, v37
	v_cmp_gt_i32_e64 s15, 0, v30
	v_ashrrev_i32_e32 v30, 31, v33
	v_lshl_add_u32 v31, v31, 2, v12
	v_bitop3_b32 v32, v29, v32, v36 bitop3:0x80
	v_xor_b32_e32 v33, s14, v34
	s_delay_alu instid0(VALU_DEP_4) | instskip(SKIP_3) | instid1(VALU_DEP_1)
	v_xor_b32_e32 v30, s15, v30
	ds_load_b32 v29, v31 offset:32
	v_add_nc_u32_e32 v31, 32, v31
	; wave barrier
	v_bitop3_b32 v32, v32, v30, v33 bitop3:0x80
	v_mbcnt_lo_u32_b32 v30, v32, 0
	v_cmp_ne_u32_e64 s15, 0, v32
	s_delay_alu instid0(VALU_DEP_2) | instskip(SKIP_1) | instid1(SALU_CYCLE_1)
	v_cmp_eq_u32_e64 s14, 0, v30
	s_and_b32 s15, s15, s14
	s_and_saveexec_b32 s14, s15
	s_cbranch_execz .LBB1421_283
; %bb.282:                              ;   in Loop: Header=BB1421_279 Depth=1
	s_wait_dscnt 0x0
	v_bcnt_u32_b32 v32, v32, v29
	ds_store_b32 v31, v32
.LBB1421_283:                           ;   in Loop: Header=BB1421_279 Depth=1
	s_or_b32 exec_lo, exec_lo, s14
	v_cmp_ne_u32_e64 s14, 0x7fffffff, v102
	; wave barrier
	s_delay_alu instid0(VALU_DEP_1) | instskip(NEXT) | instid1(VALU_DEP_1)
	v_cndmask_b32_e64 v32, 0x80000000, v102, s14
	v_lshrrev_b32_e32 v32, v10, v32
	s_delay_alu instid0(VALU_DEP_1) | instskip(NEXT) | instid1(VALU_DEP_1)
	v_and_b32_e32 v33, v32, v35
	v_lshlrev_b32_e32 v37, 30, v33
	v_bitop3_b32 v32, v32, 1, v35 bitop3:0x80
	s_delay_alu instid0(VALU_DEP_2) | instskip(NEXT) | instid1(VALU_DEP_2)
	v_cmp_gt_i32_e64 s15, 0, v37
	v_add_co_u32 v32, s14, v32, -1
	s_delay_alu instid0(VALU_DEP_1) | instskip(NEXT) | instid1(VALU_DEP_1)
	v_cndmask_b32_e64 v36, 0, 1, s14
	v_cmp_ne_u32_e64 s14, 0, v36
	v_not_b32_e32 v36, v37
	s_delay_alu instid0(VALU_DEP_1) | instskip(SKIP_3) | instid1(VALU_DEP_4)
	v_dual_ashrrev_i32 v36, 31, v36 :: v_dual_lshlrev_b32 v38, 29, v33
	v_dual_lshlrev_b32 v39, 28, v33 :: v_dual_lshlrev_b32 v48, 27, v33
	v_lshlrev_b32_e32 v49, 26, v33
	v_lshl_add_u32 v34, v33, 3, v81
	v_cmp_gt_i32_e64 s16, 0, v38
	v_not_b32_e32 v37, v38
	v_not_b32_e32 v38, v39
	v_dual_lshlrev_b32 v50, 25, v33 :: v_dual_lshlrev_b32 v33, 24, v33
	v_cmp_gt_i32_e64 s17, 0, v39
	v_cmp_gt_i32_e64 s18, 0, v48
	v_not_b32_e32 v39, v48
	v_dual_ashrrev_i32 v37, 31, v37 :: v_dual_bitop2_b32 v32, s14, v32 bitop3:0x14
	v_dual_ashrrev_i32 v38, 31, v38 :: v_dual_bitop2_b32 v36, s15, v36 bitop3:0x14
	v_not_b32_e32 v48, v49
	v_cmp_gt_i32_e64 s19, 0, v49
	s_delay_alu instid0(VALU_DEP_4) | instskip(NEXT) | instid1(VALU_DEP_4)
	v_dual_ashrrev_i32 v39, 31, v39 :: v_dual_bitop2_b32 v37, s16, v37 bitop3:0x14
	v_xor_b32_e32 v38, s17, v38
	v_bitop3_b32 v32, v32, v36, exec_lo bitop3:0x80
	v_ashrrev_i32_e32 v36, 31, v48
	v_not_b32_e32 v48, v50
	v_not_b32_e32 v49, v33
	v_xor_b32_e32 v39, s18, v39
	v_bitop3_b32 v32, v32, v38, v37 bitop3:0x80
	v_xor_b32_e32 v36, s19, v36
	v_cmp_gt_i32_e64 s14, 0, v50
	v_ashrrev_i32_e32 v37, 31, v48
	v_cmp_gt_i32_e64 s15, 0, v33
	v_ashrrev_i32_e32 v33, 31, v49
	v_lshl_add_u32 v34, v34, 2, v12
	v_bitop3_b32 v36, v32, v36, v39 bitop3:0x80
	v_xor_b32_e32 v37, s14, v37
	s_delay_alu instid0(VALU_DEP_4) | instskip(SKIP_3) | instid1(VALU_DEP_1)
	v_xor_b32_e32 v33, s15, v33
	ds_load_b32 v32, v34 offset:32
	v_add_nc_u32_e32 v34, 32, v34
	; wave barrier
	v_bitop3_b32 v36, v36, v33, v37 bitop3:0x80
	v_mbcnt_lo_u32_b32 v33, v36, 0
	v_cmp_ne_u32_e64 s15, 0, v36
	s_delay_alu instid0(VALU_DEP_2) | instskip(SKIP_1) | instid1(SALU_CYCLE_1)
	v_cmp_eq_u32_e64 s14, 0, v33
	s_and_b32 s15, s15, s14
	s_and_saveexec_b32 s14, s15
	s_cbranch_execz .LBB1421_285
; %bb.284:                              ;   in Loop: Header=BB1421_279 Depth=1
	s_wait_dscnt 0x0
	v_bcnt_u32_b32 v36, v36, v32
	ds_store_b32 v34, v36
.LBB1421_285:                           ;   in Loop: Header=BB1421_279 Depth=1
	s_or_b32 exec_lo, exec_lo, s14
	v_cmp_ne_u32_e64 s14, 0x7fffffff, v101
	; wave barrier
	s_delay_alu instid0(VALU_DEP_1) | instskip(NEXT) | instid1(VALU_DEP_1)
	v_cndmask_b32_e64 v36, 0x80000000, v101, s14
	v_lshrrev_b32_e32 v36, v10, v36
	s_delay_alu instid0(VALU_DEP_1) | instskip(NEXT) | instid1(VALU_DEP_1)
	v_and_b32_e32 v37, v36, v35
	v_lshlrev_b32_e32 v39, 30, v37
	v_bitop3_b32 v35, v36, 1, v35 bitop3:0x80
	s_delay_alu instid0(VALU_DEP_2) | instskip(NEXT) | instid1(VALU_DEP_2)
	v_cmp_gt_i32_e64 s15, 0, v39
	v_add_co_u32 v35, s14, v35, -1
	s_delay_alu instid0(VALU_DEP_1) | instskip(NEXT) | instid1(VALU_DEP_1)
	v_cndmask_b32_e64 v38, 0, 1, s14
	v_cmp_ne_u32_e64 s14, 0, v38
	v_not_b32_e32 v38, v39
	s_delay_alu instid0(VALU_DEP_1) | instskip(SKIP_3) | instid1(VALU_DEP_4)
	v_dual_ashrrev_i32 v38, 31, v38 :: v_dual_lshlrev_b32 v48, 29, v37
	v_dual_lshlrev_b32 v49, 28, v37 :: v_dual_lshlrev_b32 v50, 27, v37
	v_lshlrev_b32_e32 v51, 26, v37
	v_lshl_add_u32 v36, v37, 3, v81
	v_cmp_gt_i32_e64 s16, 0, v48
	v_not_b32_e32 v39, v48
	v_not_b32_e32 v48, v49
	v_dual_lshlrev_b32 v52, 25, v37 :: v_dual_lshlrev_b32 v37, 24, v37
	v_cmp_gt_i32_e64 s17, 0, v49
	v_cmp_gt_i32_e64 s18, 0, v50
	v_not_b32_e32 v49, v50
	v_dual_ashrrev_i32 v48, 31, v48 :: v_dual_bitop2_b32 v35, s14, v35 bitop3:0x14
	v_dual_ashrrev_i32 v39, 31, v39 :: v_dual_bitop2_b32 v38, s15, v38 bitop3:0x14
	v_not_b32_e32 v50, v51
	v_cmp_gt_i32_e64 s19, 0, v51
	s_delay_alu instid0(VALU_DEP_3)
	v_dual_ashrrev_i32 v49, 31, v49 :: v_dual_bitop2_b32 v39, s16, v39 bitop3:0x14
	v_xor_b32_e32 v48, s17, v48
	v_bitop3_b32 v35, v35, v38, exec_lo bitop3:0x80
	v_ashrrev_i32_e32 v38, 31, v50
	v_not_b32_e32 v50, v52
	v_not_b32_e32 v51, v37
	v_xor_b32_e32 v49, s18, v49
	v_bitop3_b32 v35, v35, v48, v39 bitop3:0x80
	v_xor_b32_e32 v38, s19, v38
	v_cmp_gt_i32_e64 s14, 0, v52
	v_ashrrev_i32_e32 v39, 31, v50
	v_cmp_gt_i32_e64 s15, 0, v37
	v_ashrrev_i32_e32 v37, 31, v51
	v_lshl_add_u32 v36, v36, 2, v12
	v_bitop3_b32 v38, v35, v38, v49 bitop3:0x80
	v_xor_b32_e32 v39, s14, v39
	s_delay_alu instid0(VALU_DEP_4) | instskip(SKIP_3) | instid1(VALU_DEP_1)
	v_xor_b32_e32 v37, s15, v37
	ds_load_b32 v35, v36 offset:32
	v_add_nc_u32_e32 v36, 32, v36
	; wave barrier
	v_bitop3_b32 v37, v38, v37, v39 bitop3:0x80
	v_mbcnt_lo_u32_b32 v48, v37, 0
	v_cmp_ne_u32_e64 s15, 0, v37
	s_delay_alu instid0(VALU_DEP_2) | instskip(SKIP_1) | instid1(SALU_CYCLE_1)
	v_cmp_eq_u32_e64 s14, 0, v48
	s_and_b32 s15, s15, s14
	s_and_saveexec_b32 s14, s15
	s_cbranch_execz .LBB1421_287
; %bb.286:                              ;   in Loop: Header=BB1421_279 Depth=1
	s_wait_dscnt 0x0
	v_bcnt_u32_b32 v37, v37, v35
	ds_store_b32 v36, v37
.LBB1421_287:                           ;   in Loop: Header=BB1421_279 Depth=1
	s_or_b32 exec_lo, exec_lo, s14
	; wave barrier
	s_wait_dscnt 0x0
	s_barrier_signal -1
	s_barrier_wait -1
	ds_load_b32 v38, v19
	ds_load_b32 v39, v23
	;; [unrolled: 1-line block ×8, first 2 shown]
	s_wait_dscnt 0x6
	v_add_nc_u32_e32 v54, v39, v38
	s_wait_dscnt 0x4
	s_delay_alu instid0(VALU_DEP_1) | instskip(SKIP_1) | instid1(VALU_DEP_1)
	v_add3_u32 v54, v54, v49, v50
	s_wait_dscnt 0x2
	v_add3_u32 v54, v54, v51, v52
	s_wait_dscnt 0x0
	s_delay_alu instid0(VALU_DEP_1) | instskip(NEXT) | instid1(VALU_DEP_1)
	v_add3_u32 v53, v54, v37, v53
	v_mov_b32_dpp v54, v53 row_shr:1 row_mask:0xf bank_mask:0xf
	s_delay_alu instid0(VALU_DEP_1) | instskip(NEXT) | instid1(VALU_DEP_1)
	v_cndmask_b32_e64 v54, v54, 0, vcc_lo
	v_add_nc_u32_e32 v53, v54, v53
	s_delay_alu instid0(VALU_DEP_1) | instskip(NEXT) | instid1(VALU_DEP_1)
	v_mov_b32_dpp v54, v53 row_shr:2 row_mask:0xf bank_mask:0xf
	v_cndmask_b32_e64 v54, 0, v54, s0
	s_delay_alu instid0(VALU_DEP_1) | instskip(NEXT) | instid1(VALU_DEP_1)
	v_add_nc_u32_e32 v53, v53, v54
	v_mov_b32_dpp v54, v53 row_shr:4 row_mask:0xf bank_mask:0xf
	s_delay_alu instid0(VALU_DEP_1) | instskip(NEXT) | instid1(VALU_DEP_1)
	v_cndmask_b32_e64 v54, 0, v54, s1
	v_add_nc_u32_e32 v53, v53, v54
	s_delay_alu instid0(VALU_DEP_1) | instskip(NEXT) | instid1(VALU_DEP_1)
	v_mov_b32_dpp v54, v53 row_shr:8 row_mask:0xf bank_mask:0xf
	v_cndmask_b32_e64 v54, 0, v54, s3
	s_delay_alu instid0(VALU_DEP_1) | instskip(SKIP_3) | instid1(VALU_DEP_1)
	v_add_nc_u32_e32 v53, v53, v54
	ds_swizzle_b32 v54, v53 offset:swizzle(BROADCAST,32,15)
	s_wait_dscnt 0x0
	v_cndmask_b32_e64 v54, v54, 0, s4
	v_add_nc_u32_e32 v53, v53, v54
	s_and_saveexec_b32 s14, s5
; %bb.288:                              ;   in Loop: Header=BB1421_279 Depth=1
	ds_store_b32 v68, v53
; %bb.289:                              ;   in Loop: Header=BB1421_279 Depth=1
	s_or_b32 exec_lo, exec_lo, s14
	s_wait_dscnt 0x0
	s_barrier_signal -1
	s_barrier_wait -1
	s_and_saveexec_b32 s14, s6
	s_cbranch_execz .LBB1421_291
; %bb.290:                              ;   in Loop: Header=BB1421_279 Depth=1
	ds_load_b32 v54, v4
	s_wait_dscnt 0x0
	v_mov_b32_dpp v55, v54 row_shr:1 row_mask:0xf bank_mask:0xf
	s_delay_alu instid0(VALU_DEP_1) | instskip(NEXT) | instid1(VALU_DEP_1)
	v_cndmask_b32_e64 v55, v55, 0, s11
	v_add_nc_u32_e32 v54, v55, v54
	s_delay_alu instid0(VALU_DEP_1) | instskip(NEXT) | instid1(VALU_DEP_1)
	v_mov_b32_dpp v55, v54 row_shr:2 row_mask:0xf bank_mask:0xf
	v_cndmask_b32_e64 v55, 0, v55, s12
	s_delay_alu instid0(VALU_DEP_1) | instskip(NEXT) | instid1(VALU_DEP_1)
	v_add_nc_u32_e32 v54, v54, v55
	v_mov_b32_dpp v55, v54 row_shr:4 row_mask:0xf bank_mask:0xf
	s_delay_alu instid0(VALU_DEP_1) | instskip(NEXT) | instid1(VALU_DEP_1)
	v_cndmask_b32_e64 v55, 0, v55, s13
	v_add_nc_u32_e32 v54, v54, v55
	ds_store_b32 v4, v54
.LBB1421_291:                           ;   in Loop: Header=BB1421_279 Depth=1
	s_or_b32 exec_lo, exec_lo, s14
	v_mov_b32_e32 v54, 0
	s_wait_dscnt 0x0
	s_barrier_signal -1
	s_barrier_wait -1
	s_and_saveexec_b32 s14, s7
; %bb.292:                              ;   in Loop: Header=BB1421_279 Depth=1
	ds_load_b32 v54, v84
; %bb.293:                              ;   in Loop: Header=BB1421_279 Depth=1
	s_or_b32 exec_lo, exec_lo, s14
	s_wait_dscnt 0x0
	v_add_nc_u32_e32 v53, v54, v53
	s_mov_b32 s16, -1
	s_mov_b32 s15, exec_lo
	v_add_nc_u32_e32 v10, 8, v10
	ds_bpermute_b32 v53, v82, v53
	s_wait_dscnt 0x0
	v_cndmask_b32_e64 v53, v53, v54, s2
	s_delay_alu instid0(VALU_DEP_1) | instskip(NEXT) | instid1(VALU_DEP_1)
	v_cndmask_b32_e64 v53, v53, 0, s10
	v_add_nc_u32_e32 v38, v53, v38
	s_delay_alu instid0(VALU_DEP_1) | instskip(NEXT) | instid1(VALU_DEP_1)
	v_add_nc_u32_e32 v39, v38, v39
	v_add_nc_u32_e32 v49, v39, v49
	ds_store_b32 v19, v53
	ds_store_b32 v23, v38
	;; [unrolled: 1-line block ×3, first 2 shown]
	v_mov_b32_e32 v39, v1
	v_add_nc_u32_e32 v50, v49, v50
	s_delay_alu instid0(VALU_DEP_1) | instskip(NEXT) | instid1(VALU_DEP_1)
	v_add_nc_u32_e32 v51, v50, v51
	v_add_nc_u32_e32 v52, v51, v52
	s_delay_alu instid0(VALU_DEP_1)
	v_add_nc_u32_e32 v37, v52, v37
	ds_store_b32 v67, v49
	ds_store_b32 v69, v50
	ds_store_b32 v70, v51
	ds_store_b32 v71, v52
	ds_store_b32 v80, v37
	s_wait_dscnt 0x0
	s_barrier_signal -1
	s_barrier_wait -1
	ds_load_b32 v28, v28
	ds_load_b32 v31, v31
	;; [unrolled: 1-line block ×4, first 2 shown]
	v_dual_mov_b32 v37, v1 :: v_dual_mov_b32 v49, v1
	s_wait_dscnt 0x0
	v_add_nc_u32_e32 v0, v28, v0
	v_add3_u32 v36, v30, v29, v31
	v_add3_u32 v38, v33, v32, v34
	;; [unrolled: 1-line block ×3, first 2 shown]
                                        ; implicit-def: $vgpr28_vgpr29
                                        ; implicit-def: $vgpr30_vgpr31
                                        ; implicit-def: $vgpr32_vgpr33
                                        ; implicit-def: $vgpr34_vgpr35
	s_delay_alu instid0(VALU_DEP_4) | instskip(NEXT) | instid1(VALU_DEP_4)
	v_lshl_add_u64 v[64:65], v[0:1], 2, v[12:13]
	v_lshl_add_u64 v[54:55], v[36:37], 2, v[12:13]
	s_delay_alu instid0(VALU_DEP_4) | instskip(NEXT) | instid1(VALU_DEP_4)
	v_lshl_add_u64 v[52:53], v[38:39], 2, v[12:13]
	v_lshl_add_u64 v[50:51], v[48:49], 2, v[12:13]
                                        ; implicit-def: $vgpr49
                                        ; implicit-def: $vgpr39
                                        ; implicit-def: $vgpr37
                                        ; implicit-def: $vgpr51
	v_cmpx_lt_u32_e64 v10, v11
	s_cbranch_execz .LBB1421_278
; %bb.294:                              ;   in Loop: Header=BB1421_279 Depth=1
	v_lshl_add_u32 v28, v0, 2, v64
	v_lshl_add_u32 v29, v36, 2, v54
	;; [unrolled: 1-line block ×4, first 2 shown]
	s_barrier_signal -1
	s_barrier_wait -1
	ds_store_b32 v64, v100
	ds_store_b32 v54, v103
	;; [unrolled: 1-line block ×4, first 2 shown]
	s_wait_dscnt 0x0
	s_barrier_signal -1
	s_barrier_wait -1
	ds_load_b32 v51, v83
	ds_load_b32 v37, v85
	;; [unrolled: 1-line block ×4, first 2 shown]
	s_wait_dscnt 0x0
	s_barrier_signal -1
	s_barrier_wait -1
	ds_store_b64 v28, v[24:25]
	ds_store_b64 v29, v[20:21]
	;; [unrolled: 1-line block ×4, first 2 shown]
	s_wait_dscnt 0x0
	s_barrier_signal -1
	s_barrier_wait -1
	ds_load_b64 v[28:29], v5
	ds_load_b64 v[30:31], v96
	;; [unrolled: 1-line block ×4, first 2 shown]
	v_add_nc_u32_e32 v99, -8, v99
	s_xor_b32 s16, exec_lo, -1
	s_wait_dscnt 0x0
	s_barrier_signal -1
	s_barrier_wait -1
	s_branch .LBB1421_278
.LBB1421_295:
	flat_load_b64 v[52:53], v[0:1]
	s_wait_xcnt 0x0
	s_or_b32 exec_lo, exec_lo, s7
                                        ; implicit-def: $vgpr64_vgpr65
	s_and_saveexec_b32 s7, s0
	s_cbranch_execz .LBB1421_171
.LBB1421_296:
	flat_load_b64 v[64:65], v[0:1] offset:256
	s_wait_xcnt 0x0
	s_or_b32 exec_lo, exec_lo, s7
                                        ; implicit-def: $vgpr36_vgpr37
	s_and_saveexec_b32 s0, s1
	s_cbranch_execz .LBB1421_172
.LBB1421_297:
	flat_load_b64 v[36:37], v[0:1] offset:512
	s_wait_xcnt 0x0
	s_or_b32 exec_lo, exec_lo, s0
                                        ; implicit-def: $vgpr38_vgpr39
	s_and_saveexec_b32 s0, s2
	s_cbranch_execz .LBB1421_173
.LBB1421_298:
	flat_load_b64 v[38:39], v[0:1] offset:768
	s_wait_xcnt 0x0
	s_or_b32 exec_lo, exec_lo, s0
                                        ; implicit-def: $vgpr48_vgpr49
	s_and_saveexec_b32 s0, s3
	s_cbranch_execz .LBB1421_174
.LBB1421_299:
	flat_load_b64 v[48:49], v[0:1] offset:1024
	s_wait_xcnt 0x0
	s_or_b32 exec_lo, exec_lo, s0
                                        ; implicit-def: $vgpr50_vgpr51
	s_and_saveexec_b32 s0, s4
	s_cbranch_execz .LBB1421_175
.LBB1421_300:
	flat_load_b64 v[50:51], v[0:1] offset:1280
	s_wait_xcnt 0x0
	s_or_b32 exec_lo, exec_lo, s0
                                        ; implicit-def: $vgpr54_vgpr55
	s_and_saveexec_b32 s0, s5
	s_cbranch_execz .LBB1421_176
.LBB1421_301:
	flat_load_b64 v[54:55], v[0:1] offset:1536
	s_wait_xcnt 0x0
	s_or_b32 exec_lo, exec_lo, s0
                                        ; implicit-def: $vgpr66_vgpr67
	s_and_saveexec_b32 s0, s6
	s_cbranch_execnz .LBB1421_177
	s_branch .LBB1421_178
.LBB1421_302:
	flat_store_b64 v[0:1], v[22:23]
	s_wait_xcnt 0x0
	s_or_b32 exec_lo, exec_lo, s7
	s_and_saveexec_b32 s7, s0
	s_cbranch_execz .LBB1421_254
.LBB1421_303:
	flat_store_b64 v[0:1], v[24:25] offset:2048
	s_wait_xcnt 0x0
	s_or_b32 exec_lo, exec_lo, s7
	s_and_saveexec_b32 s0, s1
	s_cbranch_execz .LBB1421_255
.LBB1421_304:
	flat_store_b64 v[0:1], v[18:19] offset:4096
	s_wait_xcnt 0x0
	s_or_b32 exec_lo, exec_lo, s0
	s_and_saveexec_b32 s0, s2
	s_cbranch_execz .LBB1421_256
.LBB1421_305:
	flat_store_b64 v[0:1], v[20:21] offset:6144
	s_wait_xcnt 0x0
	s_or_b32 exec_lo, exec_lo, s0
	s_and_saveexec_b32 s0, s3
	s_cbranch_execz .LBB1421_257
.LBB1421_306:
	flat_store_b64 v[0:1], v[14:15] offset:8192
	s_wait_xcnt 0x0
	s_or_b32 exec_lo, exec_lo, s0
	s_and_saveexec_b32 s0, s4
	s_cbranch_execz .LBB1421_258
.LBB1421_307:
	flat_store_b64 v[0:1], v[16:17] offset:10240
	s_wait_xcnt 0x0
	s_or_b32 exec_lo, exec_lo, s0
	s_and_saveexec_b32 s0, s5
	s_cbranch_execz .LBB1421_259
.LBB1421_308:
	flat_store_b64 v[0:1], v[10:11] offset:12288
	s_wait_xcnt 0x0
	s_or_b32 exec_lo, exec_lo, s0
	s_and_saveexec_b32 s0, s6
	s_cbranch_execnz .LBB1421_260
	s_branch .LBB1421_261
.LBB1421_309:
	s_or_b32 exec_lo, exec_lo, s25
	v_lshl_add_u32 v0, v0, 2, v64
	v_lshl_add_u32 v1, v36, 2, v54
	;; [unrolled: 1-line block ×4, first 2 shown]
	s_barrier_signal -1
	s_barrier_wait -1
	ds_store_b32 v64, v100
	ds_store_b32 v54, v103
	ds_store_b32 v52, v102
	ds_store_b32 v50, v101
	s_wait_dscnt 0x0
	s_barrier_signal -1
	s_barrier_wait -1
	ds_load_2addr_stride64_b32 v[28:29], v4 offset1:4
	ds_load_2addr_stride64_b32 v[4:5], v4 offset0:8 offset1:12
	s_wait_dscnt 0x0
	s_barrier_signal -1
	s_barrier_wait -1
	ds_store_b64 v0, v[24:25]
	ds_store_b64 v1, v[20:21]
	;; [unrolled: 1-line block ×4, first 2 shown]
	v_lshl_add_u32 v0, v22, 3, v12
	s_wait_dscnt 0x0
	s_barrier_signal -1
	s_barrier_wait -1
	ds_load_2addr_stride64_b64 v[14:17], v0 offset1:4
	ds_load_2addr_stride64_b64 v[10:13], v0 offset0:8 offset1:12
	v_lshl_add_u64 v[0:1], v[8:9], 2, v[2:3]
	v_mov_b32_e32 v19, 0
	s_set_vgpr_msb 4                        ;  msbs: dst=0 src0=0 src1=1 src2=0
	v_cmp_lt_u32_e32 vcc_lo, v18, v10 /*v266*/
	s_wait_dscnt 0x0
	s_barrier_signal -1
	s_barrier_wait -1
	v_lshl_add_u64 v[0:1], v[18:19], 2, v[0:1]
	s_and_saveexec_b32 s1, vcc_lo
	s_set_vgpr_msb 0                        ;  msbs: dst=0 src0=0 src1=0 src2=0
	s_cbranch_execz .LBB1421_311
; %bb.310:
	v_cmp_lt_i32_e64 s0, -1, v28
	s_delay_alu instid0(VALU_DEP_1) | instskip(NEXT) | instid1(VALU_DEP_1)
	v_cndmask_b32_e64 v2, 0x80000000, -1, s0
	v_xor_b32_e32 v2, v2, v28
	flat_store_b32 v[0:1], v2
.LBB1421_311:
	s_wait_xcnt 0x0
	s_or_b32 exec_lo, exec_lo, s1
	v_add_nc_u32_e32 v2, 0x100, v18
	s_set_vgpr_msb 4                        ;  msbs: dst=0 src0=0 src1=1 src2=0
	s_delay_alu instid0(VALU_DEP_1)
	v_cmp_lt_u32_e64 s0, v2, v10 /*v266*/
	s_and_saveexec_b32 s2, s0
	s_set_vgpr_msb 0                        ;  msbs: dst=0 src0=0 src1=0 src2=0
	s_cbranch_execz .LBB1421_313
; %bb.312:
	v_cmp_lt_i32_e64 s1, -1, v29
	s_delay_alu instid0(VALU_DEP_1) | instskip(NEXT) | instid1(VALU_DEP_1)
	v_cndmask_b32_e64 v2, 0x80000000, -1, s1
	v_xor_b32_e32 v2, v2, v29
	flat_store_b32 v[0:1], v2 offset:1024
.LBB1421_313:
	s_wait_xcnt 0x0
	s_or_b32 exec_lo, exec_lo, s2
	v_add_nc_u32_e32 v2, 0x200, v18
	s_set_vgpr_msb 4                        ;  msbs: dst=0 src0=0 src1=1 src2=0
	s_delay_alu instid0(VALU_DEP_1)
	v_cmp_lt_u32_e64 s1, v2, v10 /*v266*/
	s_and_saveexec_b32 s3, s1
	s_set_vgpr_msb 0                        ;  msbs: dst=0 src0=0 src1=0 src2=0
	s_cbranch_execz .LBB1421_315
; %bb.314:
	v_cmp_lt_i32_e64 s2, -1, v4
	s_delay_alu instid0(VALU_DEP_1) | instskip(NEXT) | instid1(VALU_DEP_1)
	v_cndmask_b32_e64 v2, 0x80000000, -1, s2
	v_xor_b32_e32 v2, v2, v4
	flat_store_b32 v[0:1], v2 offset:2048
.LBB1421_315:
	;; [unrolled: 16-line block ×3, first 2 shown]
	s_wait_xcnt 0x0
	s_or_b32 exec_lo, exec_lo, s4
	v_lshl_add_u64 v[0:1], v[8:9], 3, v[6:7]
	s_delay_alu instid0(VALU_DEP_1)
	v_lshl_add_u64 v[0:1], v[18:19], 3, v[0:1]
	s_and_saveexec_b32 s3, vcc_lo
	s_cbranch_execnz .LBB1421_350
; %bb.318:
	s_or_b32 exec_lo, exec_lo, s3
	s_and_saveexec_b32 s3, s0
	s_cbranch_execnz .LBB1421_351
.LBB1421_319:
	s_or_b32 exec_lo, exec_lo, s3
	s_and_saveexec_b32 s0, s1
	s_cbranch_execnz .LBB1421_352
.LBB1421_320:
	s_or_b32 exec_lo, exec_lo, s0
	s_and_saveexec_b32 s0, s2
	s_cbranch_execz .LBB1421_322
.LBB1421_321:
	flat_store_b64 v[0:1], v[12:13] offset:6144
.LBB1421_322:
	s_wait_xcnt 0x0
	s_or_b32 exec_lo, exec_lo, s0
                                        ; implicit-def: $vgpr266
                                        ; implicit-def: $vgpr8
                                        ; implicit-def: $vgpr10
                                        ; implicit-def: $vgpr11
                                        ; implicit-def: $vgpr0_vgpr1
                                        ; implicit-def: $vgpr2_vgpr3
                                        ; implicit-def: $vgpr4_vgpr5
                                        ; implicit-def: $vgpr6_vgpr7
                                        ; implicit-def: $vgpr12_vgpr13
                                        ; implicit-def: $vgpr9
                                        ; implicit-def: $vgpr14
                                        ; implicit-def: $vgpr22
                                        ; implicit-def: $vgpr68
.LBB1421_323:
	s_and_not1_saveexec_b32 s0, s23
	s_cbranch_execz .LBB1421_382
; %bb.324:
	s_load_b64 s[0:1], s[8:9], 0x0
	s_bfe_u32 s3, ttmp6, 0x4000c
	s_bfe_u32 s5, ttmp6, 0x40010
	s_and_b32 s4, ttmp7, 0xffff
	s_add_co_i32 s3, s3, 1
	s_add_co_i32 s5, s5, 1
	s_and_b32 s2, ttmp6, 15
	s_bfe_u32 s6, ttmp6, 0x40004
	s_mul_i32 s3, ttmp9, s3
	s_mul_i32 s5, s4, s5
	s_add_co_i32 s2, s2, s3
	s_add_co_i32 s6, s6, s5
	s_cmp_eq_u32 s22, 0
	s_cselect_b32 s2, ttmp9, s2
	s_cselect_b32 s3, s4, s6
	s_wait_kmcnt 0x0
	s_cmp_lt_u32 s2, s0
	s_cselect_b32 s0, 12, 18
	s_cmp_lt_u32 s3, s1
	s_mov_b32 s1, 0
	s_cselect_b32 s2, 14, 20
	s_mov_b32 s3, s1
	s_add_nc_u64 s[0:1], s[8:9], s[0:1]
	s_add_nc_u64 s[2:3], s[8:9], s[2:3]
	s_clause 0x1
	s_load_u16 s0, s[0:1], 0x0
	s_nop 0
	s_load_u16 s2, s[2:3], 0x0
	s_wait_kmcnt 0x0
	v_mad_u32_u24 v9, v14, s2, v9
	s_delay_alu instid0(VALU_DEP_1)
	v_mad_u32 v14, v9, s0, v22
	v_mov_b32_e32 v9, 0
	s_mov_b32 s0, exec_lo
	s_set_vgpr_msb 4                        ;  msbs: dst=0 src0=0 src1=1 src2=0
	v_cmpx_lt_u32_e32 0x100, v10 /*v266*/
	s_xor_b32 s18, exec_lo, s0
	s_set_vgpr_msb 0                        ;  msbs: dst=0 src0=0 src1=0 src2=0
	s_cbranch_execz .LBB1421_362
; %bb.325:
	s_delay_alu instid0(VALU_DEP_3) | instskip(SKIP_2) | instid1(VALU_DEP_3)
	v_dual_lshlrev_b32 v15, 1, v14 :: v_dual_lshlrev_b32 v18, 2, v68
	v_lshl_add_u64 v[0:1], v[8:9], 2, v[0:1]
	v_dual_mov_b32 v19, v9 :: v_dual_mov_b32 v17, v9
	v_and_b32_e32 v16, 0xffffffc0, v15
	s_delay_alu instid0(VALU_DEP_2) | instskip(SKIP_1) | instid1(VALU_DEP_3)
	v_add_nc_u64_e32 v[18:19], v[0:1], v[18:19]
	v_mov_b64_e32 v[0:1], 0x7fffffff7fffffff
	v_or_b32_e32 v15, v68, v16
	s_delay_alu instid0(VALU_DEP_3) | instskip(SKIP_1) | instid1(VALU_DEP_2)
	v_lshl_add_u64 v[18:19], v[16:17], 2, v[18:19]
	s_set_vgpr_msb 4                        ;  msbs: dst=0 src0=0 src1=1 src2=0
	v_cmp_lt_u32_e32 vcc_lo, v15, v10 /*v266*/
	s_and_saveexec_b32 s0, vcc_lo
	s_set_vgpr_msb 0                        ;  msbs: dst=0 src0=0 src1=0 src2=0
	s_cbranch_execz .LBB1421_327
; %bb.326:
	flat_load_b32 v0, v[18:19]
	v_bfrev_b32_e32 v1, -2
.LBB1421_327:
	s_wait_xcnt 0x0
	s_or_b32 exec_lo, exec_lo, s0
	v_or_b32_e32 v15, 32, v15
	s_set_vgpr_msb 4                        ;  msbs: dst=0 src0=0 src1=1 src2=0
	s_delay_alu instid0(VALU_DEP_1)
	v_cmp_lt_u32_e64 s0, v15, v10 /*v266*/
	s_and_saveexec_b32 s1, s0
	s_set_vgpr_msb 0                        ;  msbs: dst=0 src0=0 src1=0 src2=0
	s_cbranch_execz .LBB1421_329
; %bb.328:
	flat_load_b32 v1, v[18:19] offset:128
.LBB1421_329:
	s_wait_xcnt 0x0
	s_or_b32 exec_lo, exec_lo, s1
	v_lshl_add_u64 v[4:5], v[8:9], 3, v[4:5]
	v_dual_mov_b32 v19, 0 :: v_dual_lshlrev_b32 v18, 3, v68
	v_mov_b64_e32 v[26:27], 0
	v_mov_b64_e32 v[24:25], 0
	s_delay_alu instid0(VALU_DEP_3) | instskip(NEXT) | instid1(VALU_DEP_1)
	v_add_nc_u64_e32 v[4:5], v[4:5], v[18:19]
	v_lshl_add_u64 v[4:5], v[16:17], 3, v[4:5]
	s_and_saveexec_b32 s1, vcc_lo
	s_cbranch_execz .LBB1421_331
; %bb.330:
	flat_load_b64 v[24:25], v[4:5]
.LBB1421_331:
	s_wait_xcnt 0x0
	s_or_b32 exec_lo, exec_lo, s1
	s_and_saveexec_b32 s1, s0
	s_cbranch_execz .LBB1421_333
; %bb.332:
	flat_load_b64 v[26:27], v[4:5] offset:256
.LBB1421_333:
	s_wait_xcnt 0x0
	s_or_b32 exec_lo, exec_lo, s1
	s_wait_loadcnt_dscnt 0x0
	v_cmp_lt_i32_e32 vcc_lo, -1, v0
	v_lshl_add_u32 v16, v22, 5, v12
	s_get_pc_i64 s[0:1]
	s_add_nc_u64 s[0:1], s[0:1], _ZN7rocprim17ROCPRIM_400000_NS16block_radix_sortIfLj256ELj2ElLj1ELj1ELj8ELNS0_26block_radix_rank_algorithmE2ELNS0_18block_padding_hintE2ELNS0_4arch9wavefront6targetE0EE19radix_bits_per_passE@rel64+4
	v_cmp_lt_u32_e64 s7, 31, v22
	s_load_b32 s19, s[0:1], 0x0
	v_cndmask_b32_e64 v4, -1, 0x80000000, vcc_lo
	v_cmp_lt_i32_e32 vcc_lo, -1, v1
	v_dual_add_nc_u32 v39, 60, v16 :: v_dual_add_nc_u32 v23, 36, v16
	v_add_nc_u32_e32 v34, 40, v16
	s_delay_alu instid0(VALU_DEP_4) | instskip(SKIP_3) | instid1(VALU_DEP_3)
	v_dual_lshrrev_b32 v48, 5, v14 :: v_dual_bitop2_b32 v31, v4, v0 bitop3:0x14
	v_cndmask_b32_e64 v5, -1, 0x80000000, vcc_lo
	v_and_b32_e32 v0, 0x3e0, v22
	v_dual_add_nc_u32 v35, 44, v16 :: v_dual_add_nc_u32 v36, 48, v16
	v_dual_add_nc_u32 v15, 32, v16 :: v_dual_bitop2_b32 v29, v5, v1 bitop3:0x14
	s_delay_alu instid0(VALU_DEP_3) | instskip(SKIP_2) | instid1(VALU_DEP_3)
	v_min_u32_e32 v0, 0xe0, v0
	v_sub_co_u32 v5, s2, v68, 1
	v_dual_add_nc_u32 v37, 52, v16 :: v_dual_add_nc_u32 v38, 56, v16
	v_or_b32_e32 v0, 31, v0
	s_delay_alu instid0(VALU_DEP_3)
	v_cmp_gt_i32_e64 s6, 0, v5
	v_and_b32_e32 v1, 15, v68
	v_cmp_eq_u32_e64 s8, 0, v22
	s_mov_b32 s20, 0
	v_cmp_eq_u32_e64 s5, v22, v0
	v_cndmask_b32_e64 v0, v5, v68, s6
	v_cmp_eq_u32_e32 vcc_lo, 0, v1
	s_wait_xcnt 0x0
	v_cmp_lt_u32_e64 s0, 1, v1
	v_cmp_lt_u32_e64 s1, 3, v1
	;; [unrolled: 1-line block ×3, first 2 shown]
	v_dual_lshlrev_b32 v1, 1, v22 :: v_dual_lshlrev_b32 v49, 2, v0
	v_dual_lshlrev_b32 v0, 2, v22 :: v_dual_bitop2_b32 v17, 7, v68 bitop3:0x40
	v_cmp_gt_u32_e64 s6, 8, v22
	s_delay_alu instid0(VALU_DEP_3)
	v_and_or_b32 v1, 0x7c0, v1, v68
	v_and_b32_e32 v4, 16, v68
	s_wait_storecnt 0x0
	v_cmp_eq_u32_e64 s9, 0, v17
	v_cmp_lt_u32_e64 s10, 1, v17
	v_lshlrev_b32_e32 v16, 2, v1
	v_cmp_eq_u32_e64 s4, 0, v4
	v_dual_mov_b32 v1, 0 :: v_dual_lshrrev_b32 v4, 3, v22
	v_sub_nc_u32_e32 v55, v11, v10
	v_cmp_lt_u32_e64 s11, 3, v17
	s_barrier_signal -1
	s_delay_alu instid0(VALU_DEP_3) | instskip(SKIP_1) | instid1(VALU_DEP_1)
	v_and_b32_e32 v4, 0x7c, v4
	s_barrier_wait -1
	v_add_nc_u32_e32 v51, v12, v4
	v_add_nc_u32_e32 v50, v12, v16
	v_add_nc_u64_e32 v[4:5], v[12:13], v[0:1]
	s_delay_alu instid0(VALU_DEP_2) | instskip(SKIP_2) | instid1(VALU_DEP_3)
	v_dual_add_nc_u32 v52, -4, v51 :: v_dual_add_nc_u32 v5, v50, v16
	v_mov_b64_e32 v[16:17], 0
	v_add_nc_u32_e32 v53, 0x80, v50
	v_add_nc_u32_e32 v54, 0x100, v5
	s_branch .LBB1421_335
.LBB1421_334:                           ;   in Loop: Header=BB1421_335 Depth=1
	s_or_b32 exec_lo, exec_lo, s13
	s_delay_alu instid0(SALU_CYCLE_1) | instskip(NEXT) | instid1(SALU_CYCLE_1)
	s_and_b32 s12, exec_lo, s14
	s_or_b32 s20, s12, s20
	s_delay_alu instid0(SALU_CYCLE_1)
	s_and_not1_b32 exec_lo, exec_lo, s20
	s_cbranch_execz .LBB1421_353
.LBB1421_335:                           ; =>This Inner Loop Header: Depth=1
	v_mov_b32_e32 v64, v31
	s_wait_kmcnt 0x0
	v_min_u32_e32 v0, s19, v55
	ds_store_b64 v15, v[16:17]
	ds_store_b64 v34, v[16:17]
	ds_store_b64 v36, v[16:17]
	ds_store_b64 v38, v[16:17]
	s_wait_dscnt 0x0
	v_cmp_ne_u32_e64 s12, 0x7fffffff, v64
	v_lshlrev_b32_e64 v28, v0, -1
	s_barrier_signal -1
	s_barrier_wait -1
	s_delay_alu instid0(VALU_DEP_2) | instskip(NEXT) | instid1(VALU_DEP_1)
	v_cndmask_b32_e64 v18, 0x80000000, v64, s12
	; wave barrier
	v_lshrrev_b32_e32 v0, v10, v18
	s_delay_alu instid0(VALU_DEP_1) | instskip(SKIP_1) | instid1(VALU_DEP_2)
	v_bitop3_b32 v18, v0, 1, v28 bitop3:0x40
	v_bitop3_b32 v0, v0, v28, v0 bitop3:0x30
	v_add_co_u32 v18, s12, v18, -1
	s_delay_alu instid0(VALU_DEP_1) | instskip(NEXT) | instid1(VALU_DEP_3)
	v_cndmask_b32_e64 v19, 0, 1, s12
	v_dual_lshlrev_b32 v20, 30, v0 :: v_dual_lshlrev_b32 v21, 29, v0
	v_dual_lshlrev_b32 v30, 28, v0 :: v_dual_lshlrev_b32 v31, 27, v0
	s_delay_alu instid0(VALU_DEP_3) | instskip(NEXT) | instid1(VALU_DEP_3)
	v_cmp_ne_u32_e64 s12, 0, v19
	v_not_b32_e32 v19, v20
	v_dual_lshlrev_b32 v32, 26, v0 :: v_dual_lshlrev_b32 v33, 25, v0
	v_lshlrev_b32_e32 v65, 24, v0
	v_cmp_gt_i32_e64 s13, 0, v20
	v_cmp_gt_i32_e64 s14, 0, v21
	v_not_b32_e32 v20, v21
	v_not_b32_e32 v21, v30
	v_ashrrev_i32_e32 v19, 31, v19
	v_cmp_gt_i32_e64 s15, 0, v30
	v_cmp_gt_i32_e64 s16, 0, v31
	v_not_b32_e32 v30, v31
	v_cmp_gt_i32_e64 s17, 0, v32
	v_not_b32_e32 v31, v32
	v_not_b32_e32 v32, v33
	v_dual_ashrrev_i32 v20, 31, v20 :: v_dual_bitop2_b32 v18, s12, v18 bitop3:0x14
	v_dual_ashrrev_i32 v21, 31, v21 :: v_dual_ashrrev_i32 v30, 31, v30
	s_delay_alu instid0(VALU_DEP_3) | instskip(NEXT) | instid1(VALU_DEP_3)
	v_dual_ashrrev_i32 v32, 31, v32 :: v_dual_bitop2_b32 v19, s13, v19 bitop3:0x14
	v_dual_ashrrev_i32 v31, 31, v31 :: v_dual_bitop2_b32 v20, s14, v20 bitop3:0x14
	s_delay_alu instid0(VALU_DEP_3) | instskip(NEXT) | instid1(VALU_DEP_3)
	v_xor_b32_e32 v30, s16, v30
	v_bitop3_b32 v18, v18, v19, exec_lo bitop3:0x80
	v_not_b32_e32 v19, v65
	v_xor_b32_e32 v21, s15, v21
	v_xor_b32_e32 v31, s17, v31
	v_cmp_gt_i32_e64 s12, 0, v33
	v_cmp_gt_i32_e64 s13, 0, v65
	v_ashrrev_i32_e32 v19, 31, v19
	v_bitop3_b32 v18, v18, v21, v20 bitop3:0x80
	s_delay_alu instid0(VALU_DEP_4) | instskip(SKIP_1) | instid1(VALU_DEP_4)
	v_dual_mov_b32 v65, v29 :: v_dual_bitop2_b32 v20, s12, v32 bitop3:0x14
	v_lshl_add_u32 v0, v0, 3, v48
	v_xor_b32_e32 v21, s13, v19
	s_delay_alu instid0(VALU_DEP_4) | instskip(SKIP_1) | instid1(VALU_DEP_2)
	v_bitop3_b32 v30, v18, v31, v30 bitop3:0x80
	v_mov_b64_e32 v[18:19], v[26:27]
	v_bitop3_b32 v26, v30, v21, v20 bitop3:0x80
	v_mov_b64_e32 v[20:21], v[24:25]
	v_lshl_add_u64 v[24:25], v[0:1], 2, v[12:13]
	s_delay_alu instid0(VALU_DEP_3) | instskip(SKIP_1) | instid1(VALU_DEP_3)
	v_mbcnt_lo_u32_b32 v0, v26, 0
	v_cmp_ne_u32_e64 s13, 0, v26
	v_add_nc_u64_e32 v[24:25], 32, v[24:25]
	s_delay_alu instid0(VALU_DEP_3) | instskip(SKIP_1) | instid1(SALU_CYCLE_1)
	v_cmp_eq_u32_e64 s12, 0, v0
	s_and_b32 s13, s13, s12
	s_and_saveexec_b32 s12, s13
; %bb.336:                              ;   in Loop: Header=BB1421_335 Depth=1
	v_bcnt_u32_b32 v25, v26, 0
	ds_store_b32 v24, v25
; %bb.337:                              ;   in Loop: Header=BB1421_335 Depth=1
	s_or_b32 exec_lo, exec_lo, s12
	v_cmp_ne_u32_e64 s12, 0x7fffffff, v65
	v_not_b32_e32 v26, v28
	; wave barrier
	s_delay_alu instid0(VALU_DEP_2) | instskip(NEXT) | instid1(VALU_DEP_1)
	v_cndmask_b32_e64 v25, 0x80000000, v65, s12
	v_lshrrev_b32_e32 v25, v10, v25
	s_delay_alu instid0(VALU_DEP_1) | instskip(NEXT) | instid1(VALU_DEP_1)
	v_and_b32_e32 v27, v25, v26
	v_lshlrev_b32_e32 v29, 30, v27
	v_bitop3_b32 v25, v25, 1, v26 bitop3:0x80
	s_delay_alu instid0(VALU_DEP_2) | instskip(NEXT) | instid1(VALU_DEP_2)
	v_cmp_gt_i32_e64 s13, 0, v29
	v_add_co_u32 v25, s12, v25, -1
	s_delay_alu instid0(VALU_DEP_1) | instskip(NEXT) | instid1(VALU_DEP_1)
	v_cndmask_b32_e64 v28, 0, 1, s12
	v_cmp_ne_u32_e64 s12, 0, v28
	v_not_b32_e32 v28, v29
	s_delay_alu instid0(VALU_DEP_1) | instskip(SKIP_3) | instid1(VALU_DEP_4)
	v_dual_ashrrev_i32 v28, 31, v28 :: v_dual_lshlrev_b32 v30, 29, v27
	v_dual_lshlrev_b32 v31, 28, v27 :: v_dual_lshlrev_b32 v32, 27, v27
	v_lshlrev_b32_e32 v33, 26, v27
	v_lshl_add_u32 v26, v27, 3, v48
	v_cmp_gt_i32_e64 s14, 0, v30
	v_not_b32_e32 v29, v30
	v_not_b32_e32 v30, v31
	v_cmp_gt_i32_e64 s15, 0, v31
	v_not_b32_e32 v31, v32
	v_xor_b32_e32 v25, s12, v25
	v_dual_ashrrev_i32 v29, 31, v29 :: v_dual_bitop2_b32 v28, s13, v28 bitop3:0x14
	v_dual_ashrrev_i32 v30, 31, v30 :: v_dual_lshlrev_b32 v66, 25, v27
	v_lshlrev_b32_e32 v27, 24, v27
	v_cmp_gt_i32_e64 s16, 0, v32
	v_not_b32_e32 v32, v33
	v_dual_ashrrev_i32 v31, 31, v31 :: v_dual_bitop2_b32 v29, s14, v29 bitop3:0x14
	v_xor_b32_e32 v30, s15, v30
	v_bitop3_b32 v25, v25, v28, exec_lo bitop3:0x80
	v_cmp_gt_i32_e64 s12, 0, v33
	v_ashrrev_i32_e32 v28, 31, v32
	v_not_b32_e32 v32, v66
	v_xor_b32_e32 v31, s16, v31
	v_bitop3_b32 v25, v25, v30, v29 bitop3:0x80
	v_not_b32_e32 v29, v27
	v_xor_b32_e32 v28, s12, v28
	v_cmp_gt_i32_e64 s12, 0, v66
	v_ashrrev_i32_e32 v30, 31, v32
	v_cmp_gt_i32_e64 s13, 0, v27
	v_ashrrev_i32_e32 v27, 31, v29
	v_lshl_add_u32 v29, v26, 2, v12
	v_bitop3_b32 v26, v25, v28, v31 bitop3:0x80
	v_xor_b32_e32 v28, s12, v30
	s_delay_alu instid0(VALU_DEP_4) | instskip(SKIP_3) | instid1(VALU_DEP_2)
	v_xor_b32_e32 v27, s13, v27
	ds_load_b32 v25, v29 offset:32
	; wave barrier
	v_bitop3_b32 v28, v26, v27, v28 bitop3:0x80
	v_add_nc_u32_e32 v27, 32, v29
	v_mbcnt_lo_u32_b32 v26, v28, 0
	v_cmp_ne_u32_e64 s13, 0, v28
	s_delay_alu instid0(VALU_DEP_2) | instskip(SKIP_1) | instid1(SALU_CYCLE_1)
	v_cmp_eq_u32_e64 s12, 0, v26
	s_and_b32 s13, s13, s12
	s_and_saveexec_b32 s12, s13
	s_cbranch_execz .LBB1421_339
; %bb.338:                              ;   in Loop: Header=BB1421_335 Depth=1
	s_wait_dscnt 0x0
	v_bcnt_u32_b32 v28, v28, v25
	ds_store_b32 v27, v28
.LBB1421_339:                           ;   in Loop: Header=BB1421_335 Depth=1
	s_or_b32 exec_lo, exec_lo, s12
	; wave barrier
	s_wait_dscnt 0x0
	s_barrier_signal -1
	s_barrier_wait -1
	ds_load_b32 v29, v15
	ds_load_b32 v30, v23
	;; [unrolled: 1-line block ×8, first 2 shown]
	s_wait_dscnt 0x6
	v_add_nc_u32_e32 v68, v30, v29
	s_wait_dscnt 0x4
	s_delay_alu instid0(VALU_DEP_1) | instskip(SKIP_1) | instid1(VALU_DEP_1)
	v_add3_u32 v68, v68, v31, v32
	s_wait_dscnt 0x2
	v_add3_u32 v68, v68, v33, v66
	s_wait_dscnt 0x0
	s_delay_alu instid0(VALU_DEP_1) | instskip(NEXT) | instid1(VALU_DEP_1)
	v_add3_u32 v67, v68, v28, v67
	v_mov_b32_dpp v68, v67 row_shr:1 row_mask:0xf bank_mask:0xf
	s_delay_alu instid0(VALU_DEP_1) | instskip(NEXT) | instid1(VALU_DEP_1)
	v_cndmask_b32_e64 v68, v68, 0, vcc_lo
	v_add_nc_u32_e32 v67, v68, v67
	s_delay_alu instid0(VALU_DEP_1) | instskip(NEXT) | instid1(VALU_DEP_1)
	v_mov_b32_dpp v68, v67 row_shr:2 row_mask:0xf bank_mask:0xf
	v_cndmask_b32_e64 v68, 0, v68, s0
	s_delay_alu instid0(VALU_DEP_1) | instskip(NEXT) | instid1(VALU_DEP_1)
	v_add_nc_u32_e32 v67, v67, v68
	v_mov_b32_dpp v68, v67 row_shr:4 row_mask:0xf bank_mask:0xf
	s_delay_alu instid0(VALU_DEP_1) | instskip(NEXT) | instid1(VALU_DEP_1)
	v_cndmask_b32_e64 v68, 0, v68, s1
	v_add_nc_u32_e32 v67, v67, v68
	s_delay_alu instid0(VALU_DEP_1) | instskip(NEXT) | instid1(VALU_DEP_1)
	v_mov_b32_dpp v68, v67 row_shr:8 row_mask:0xf bank_mask:0xf
	v_cndmask_b32_e64 v68, 0, v68, s3
	s_delay_alu instid0(VALU_DEP_1) | instskip(SKIP_3) | instid1(VALU_DEP_1)
	v_add_nc_u32_e32 v67, v67, v68
	ds_swizzle_b32 v68, v67 offset:swizzle(BROADCAST,32,15)
	s_wait_dscnt 0x0
	v_cndmask_b32_e64 v68, v68, 0, s4
	v_add_nc_u32_e32 v67, v67, v68
	s_and_saveexec_b32 s12, s5
; %bb.340:                              ;   in Loop: Header=BB1421_335 Depth=1
	ds_store_b32 v51, v67
; %bb.341:                              ;   in Loop: Header=BB1421_335 Depth=1
	s_or_b32 exec_lo, exec_lo, s12
	s_wait_dscnt 0x0
	s_barrier_signal -1
	s_barrier_wait -1
	s_and_saveexec_b32 s12, s6
	s_cbranch_execz .LBB1421_343
; %bb.342:                              ;   in Loop: Header=BB1421_335 Depth=1
	ds_load_b32 v68, v4
	s_wait_dscnt 0x0
	v_mov_b32_dpp v69, v68 row_shr:1 row_mask:0xf bank_mask:0xf
	s_delay_alu instid0(VALU_DEP_1) | instskip(NEXT) | instid1(VALU_DEP_1)
	v_cndmask_b32_e64 v69, v69, 0, s9
	v_add_nc_u32_e32 v68, v69, v68
	s_delay_alu instid0(VALU_DEP_1) | instskip(NEXT) | instid1(VALU_DEP_1)
	v_mov_b32_dpp v69, v68 row_shr:2 row_mask:0xf bank_mask:0xf
	v_cndmask_b32_e64 v69, 0, v69, s10
	s_delay_alu instid0(VALU_DEP_1) | instskip(NEXT) | instid1(VALU_DEP_1)
	v_add_nc_u32_e32 v68, v68, v69
	v_mov_b32_dpp v69, v68 row_shr:4 row_mask:0xf bank_mask:0xf
	s_delay_alu instid0(VALU_DEP_1) | instskip(NEXT) | instid1(VALU_DEP_1)
	v_cndmask_b32_e64 v69, 0, v69, s11
	v_add_nc_u32_e32 v68, v68, v69
	ds_store_b32 v4, v68
.LBB1421_343:                           ;   in Loop: Header=BB1421_335 Depth=1
	s_or_b32 exec_lo, exec_lo, s12
	v_mov_b32_e32 v68, 0
	s_wait_dscnt 0x0
	s_barrier_signal -1
	s_barrier_wait -1
	s_and_saveexec_b32 s12, s7
; %bb.344:                              ;   in Loop: Header=BB1421_335 Depth=1
	ds_load_b32 v68, v52
; %bb.345:                              ;   in Loop: Header=BB1421_335 Depth=1
	s_or_b32 exec_lo, exec_lo, s12
	s_wait_dscnt 0x0
	v_add_nc_u32_e32 v67, v68, v67
	s_mov_b32 s14, -1
	s_mov_b32 s13, exec_lo
	v_add_nc_u32_e32 v10, 8, v10
	ds_bpermute_b32 v67, v49, v67
	s_wait_dscnt 0x0
	v_cndmask_b32_e64 v67, v67, v68, s2
	s_delay_alu instid0(VALU_DEP_1) | instskip(NEXT) | instid1(VALU_DEP_1)
	v_cndmask_b32_e64 v67, v67, 0, s8
	v_add_nc_u32_e32 v29, v67, v29
	s_delay_alu instid0(VALU_DEP_1) | instskip(NEXT) | instid1(VALU_DEP_1)
	v_add_nc_u32_e32 v30, v29, v30
	v_add_nc_u32_e32 v31, v30, v31
	s_delay_alu instid0(VALU_DEP_1) | instskip(NEXT) | instid1(VALU_DEP_1)
	v_add_nc_u32_e32 v32, v31, v32
	v_add_nc_u32_e32 v33, v32, v33
	s_delay_alu instid0(VALU_DEP_1)
	v_add_nc_u32_e32 v66, v33, v66
	ds_store_b32 v15, v67
	ds_store_b32 v23, v29
	;; [unrolled: 1-line block ×3, first 2 shown]
	v_add_nc_u32_e32 v28, v66, v28
	ds_store_b32 v35, v31
	ds_store_b32 v36, v32
	;; [unrolled: 1-line block ×5, first 2 shown]
	s_wait_dscnt 0x0
	s_barrier_signal -1
	s_barrier_wait -1
	ds_load_b32 v24, v24
	ds_load_b32 v27, v27
	v_mov_b32_e32 v29, v1
	s_wait_dscnt 0x0
	v_add_nc_u32_e32 v0, v24, v0
	v_add3_u32 v28, v26, v25, v27
                                        ; implicit-def: $vgpr26_vgpr27
                                        ; implicit-def: $vgpr24_vgpr25
	s_delay_alu instid0(VALU_DEP_2) | instskip(NEXT) | instid1(VALU_DEP_2)
	v_lshl_add_u64 v[32:33], v[0:1], 2, v[12:13]
	v_lshl_add_u64 v[30:31], v[28:29], 2, v[12:13]
                                        ; implicit-def: $vgpr29
                                        ; implicit-def: $vgpr31
	v_cmpx_lt_u32_e64 v10, v11
	s_cbranch_execz .LBB1421_334
; %bb.346:                              ;   in Loop: Header=BB1421_335 Depth=1
	s_delay_alu instid0(VALU_DEP_3) | instskip(NEXT) | instid1(VALU_DEP_3)
	v_lshl_add_u32 v24, v0, 2, v32
	v_lshl_add_u32 v25, v28, 2, v30
	s_barrier_signal -1
	s_barrier_wait -1
	ds_store_b32 v32, v64
	ds_store_b32 v30, v65
	s_wait_dscnt 0x0
	s_barrier_signal -1
	s_barrier_wait -1
	ds_load_b32 v31, v50
	ds_load_b32 v29, v53
	s_wait_dscnt 0x0
	s_barrier_signal -1
	s_barrier_wait -1
	ds_store_b64 v24, v[20:21]
	ds_store_b64 v25, v[18:19]
	s_wait_dscnt 0x0
	s_barrier_signal -1
	s_barrier_wait -1
	ds_load_b64 v[24:25], v5
	ds_load_b64 v[26:27], v54
	v_add_nc_u32_e32 v55, -8, v55
	s_xor_b32 s14, exec_lo, -1
	s_wait_dscnt 0x0
	s_barrier_signal -1
	s_barrier_wait -1
	s_branch .LBB1421_334
.LBB1421_347:
	flat_load_b64 v[28:29], v[0:1]
	s_wait_xcnt 0x0
	s_or_b32 exec_lo, exec_lo, s3
                                        ; implicit-def: $vgpr30_vgpr31
	s_and_saveexec_b32 s3, s0
	s_cbranch_execz .LBB1421_274
.LBB1421_348:
	flat_load_b64 v[30:31], v[0:1] offset:256
	s_wait_xcnt 0x0
	s_or_b32 exec_lo, exec_lo, s3
                                        ; implicit-def: $vgpr32_vgpr33
	s_and_saveexec_b32 s0, s1
	s_cbranch_execz .LBB1421_275
.LBB1421_349:
	flat_load_b64 v[32:33], v[0:1] offset:512
	s_wait_xcnt 0x0
	s_or_b32 exec_lo, exec_lo, s0
                                        ; implicit-def: $vgpr34_vgpr35
	s_and_saveexec_b32 s0, s2
	s_cbranch_execnz .LBB1421_276
	s_branch .LBB1421_277
.LBB1421_350:
	flat_store_b64 v[0:1], v[14:15]
	s_wait_xcnt 0x0
	s_or_b32 exec_lo, exec_lo, s3
	s_and_saveexec_b32 s3, s0
	s_cbranch_execz .LBB1421_319
.LBB1421_351:
	flat_store_b64 v[0:1], v[16:17] offset:2048
	s_wait_xcnt 0x0
	s_or_b32 exec_lo, exec_lo, s3
	s_and_saveexec_b32 s0, s1
	s_cbranch_execz .LBB1421_320
.LBB1421_352:
	flat_store_b64 v[0:1], v[10:11] offset:4096
	s_wait_xcnt 0x0
	s_or_b32 exec_lo, exec_lo, s0
	s_and_saveexec_b32 s0, s2
	s_cbranch_execnz .LBB1421_321
	s_branch .LBB1421_322
.LBB1421_353:
	s_or_b32 exec_lo, exec_lo, s20
	v_lshl_add_u32 v0, v0, 2, v32
	v_lshl_add_u32 v1, v28, 2, v30
	s_barrier_signal -1
	s_barrier_wait -1
	ds_store_b32 v32, v64
	ds_store_b32 v30, v65
	s_wait_dscnt 0x0
	s_barrier_signal -1
	s_barrier_wait -1
	ds_load_2addr_stride64_b32 v[4:5], v4 offset1:4
	s_wait_dscnt 0x0
	s_barrier_signal -1
	s_barrier_wait -1
	ds_store_b64 v0, v[20:21]
	ds_store_b64 v1, v[18:19]
	v_lshl_add_u32 v0, v22, 3, v12
	s_wait_dscnt 0x0
	s_barrier_signal -1
	s_barrier_wait -1
	ds_load_2addr_stride64_b64 v[10:13], v0 offset1:4
	v_lshl_add_u64 v[0:1], v[8:9], 2, v[2:3]
	v_mov_b32_e32 v15, 0
	s_set_vgpr_msb 4                        ;  msbs: dst=0 src0=0 src1=1 src2=0
	v_cmp_lt_u32_e32 vcc_lo, v14, v10 /*v266*/
	s_wait_dscnt 0x0
	s_barrier_signal -1
	s_barrier_wait -1
	v_lshl_add_u64 v[0:1], v[14:15], 2, v[0:1]
	s_and_saveexec_b32 s1, vcc_lo
	s_set_vgpr_msb 0                        ;  msbs: dst=0 src0=0 src1=0 src2=0
	s_cbranch_execz .LBB1421_355
; %bb.354:
	v_cmp_lt_i32_e64 s0, -1, v4
	s_delay_alu instid0(VALU_DEP_1) | instskip(NEXT) | instid1(VALU_DEP_1)
	v_cndmask_b32_e64 v2, 0x80000000, -1, s0
	v_xor_b32_e32 v2, v2, v4
	flat_store_b32 v[0:1], v2
.LBB1421_355:
	s_wait_xcnt 0x0
	s_or_b32 exec_lo, exec_lo, s1
	v_add_nc_u32_e32 v2, 0x100, v14
	s_set_vgpr_msb 4                        ;  msbs: dst=0 src0=0 src1=1 src2=0
	s_delay_alu instid0(VALU_DEP_1)
	v_cmp_lt_u32_e64 s0, v2, v10 /*v266*/
	s_and_saveexec_b32 s2, s0
	s_set_vgpr_msb 0                        ;  msbs: dst=0 src0=0 src1=0 src2=0
	s_cbranch_execz .LBB1421_357
; %bb.356:
	v_cmp_lt_i32_e64 s1, -1, v5
	s_delay_alu instid0(VALU_DEP_1) | instskip(NEXT) | instid1(VALU_DEP_1)
	v_cndmask_b32_e64 v2, 0x80000000, -1, s1
	v_xor_b32_e32 v2, v2, v5
	flat_store_b32 v[0:1], v2 offset:1024
.LBB1421_357:
	s_wait_xcnt 0x0
	s_or_b32 exec_lo, exec_lo, s2
	v_lshl_add_u64 v[0:1], v[8:9], 3, v[6:7]
	s_delay_alu instid0(VALU_DEP_1)
	v_lshl_add_u64 v[0:1], v[14:15], 3, v[0:1]
	s_and_saveexec_b32 s1, vcc_lo
	s_cbranch_execz .LBB1421_359
; %bb.358:
	flat_store_b64 v[0:1], v[10:11]
.LBB1421_359:
	s_wait_xcnt 0x0
	s_or_b32 exec_lo, exec_lo, s1
	s_and_saveexec_b32 s1, s0
	s_cbranch_execz .LBB1421_361
; %bb.360:
	flat_store_b64 v[0:1], v[12:13] offset:2048
.LBB1421_361:
	s_wait_xcnt 0x0
	s_or_b32 exec_lo, exec_lo, s1
                                        ; implicit-def: $vgpr14
                                        ; implicit-def: $vgpr8_vgpr9
                                        ; implicit-def: $vgpr266
                                        ; implicit-def: $vgpr10
                                        ; implicit-def: $vgpr11
                                        ; implicit-def: $vgpr0_vgpr1
                                        ; implicit-def: $vgpr2_vgpr3
                                        ; implicit-def: $vgpr4_vgpr5
                                        ; implicit-def: $vgpr6_vgpr7
                                        ; implicit-def: $vgpr12_vgpr13
                                        ; implicit-def: $vgpr22
                                        ; implicit-def: $vgpr68
.LBB1421_362:
	s_and_not1_saveexec_b32 s0, s18
	s_cbranch_execz .LBB1421_382
; %bb.363:
	s_delay_alu instid0(VALU_DEP_3) | instskip(NEXT) | instid1(VALU_DEP_1)
	v_and_b32_e32 v18, 0xffffffe0, v14
	v_or_b32_e32 v15, v68, v18
	s_set_vgpr_msb 4                        ;  msbs: dst=0 src0=0 src1=1 src2=0
	s_delay_alu instid0(VALU_DEP_1)
	v_cmp_lt_u32_e32 vcc_lo, v15, v10 /*v266*/
	v_bfrev_b32_e32 v15, -2
	s_and_saveexec_b32 s0, vcc_lo
	s_set_vgpr_msb 0                        ;  msbs: dst=0 src0=0 src1=0 src2=0
	s_cbranch_execz .LBB1421_365
; %bb.364:
	v_lshl_add_u64 v[0:1], v[8:9], 2, v[0:1]
	v_dual_mov_b32 v17, 0 :: v_dual_lshlrev_b32 v16, 2, v68
	s_delay_alu instid0(VALU_DEP_1) | instskip(SKIP_1) | instid1(VALU_DEP_1)
	v_add_nc_u64_e32 v[0:1], v[0:1], v[16:17]
	v_mov_b32_e32 v19, v17
	v_lshl_add_u64 v[0:1], v[18:19], 2, v[0:1]
	flat_load_b32 v15, v[0:1]
.LBB1421_365:
	s_wait_xcnt 0x0
	s_or_b32 exec_lo, exec_lo, s0
                                        ; implicit-def: $vgpr16_vgpr17
	s_and_saveexec_b32 s0, vcc_lo
	s_cbranch_execz .LBB1421_367
; %bb.366:
	v_lshl_add_u64 v[0:1], v[8:9], 3, v[4:5]
	v_dual_mov_b32 v5, 0 :: v_dual_lshlrev_b32 v4, 3, v68
	s_delay_alu instid0(VALU_DEP_1) | instskip(SKIP_1) | instid1(VALU_DEP_1)
	v_add_nc_u64_e32 v[0:1], v[0:1], v[4:5]
	v_mov_b32_e32 v19, v5
	v_lshl_add_u64 v[0:1], v[18:19], 3, v[0:1]
	flat_load_b64 v[16:17], v[0:1]
.LBB1421_367:
	s_wait_xcnt 0x0
	s_or_b32 exec_lo, exec_lo, s0
	s_wait_loadcnt_dscnt 0x0
	v_cmp_lt_i32_e32 vcc_lo, -1, v15
	v_lshl_add_u32 v1, v22, 5, v12
	v_and_b32_e32 v4, 0x3e0, v22
	v_sub_co_u32 v19, s2, v68, 1
	v_cndmask_b32_e64 v0, -1, 0x80000000, vcc_lo
	s_delay_alu instid0(VALU_DEP_4) | instskip(SKIP_1) | instid1(VALU_DEP_3)
	v_dual_add_nc_u32 v23, 36, v1 :: v_dual_add_nc_u32 v26, 40, v1
	v_dual_add_nc_u32 v27, 44, v1 :: v_dual_add_nc_u32 v28, 48, v1
	v_dual_add_nc_u32 v15, 32, v1 :: v_dual_bitop2_b32 v0, v0, v15 bitop3:0x14
	v_dual_add_nc_u32 v29, 52, v1 :: v_dual_bitop2_b32 v5, 15, v68 bitop3:0x40
	v_dual_add_nc_u32 v30, 56, v1 :: v_dual_add_nc_u32 v31, 60, v1
	v_min_u32_e32 v1, 0xe0, v4
	v_cmp_gt_i32_e64 s6, 0, v19
	s_get_pc_i64 s[0:1]
	s_add_nc_u64 s[0:1], s[0:1], _ZN7rocprim17ROCPRIM_400000_NS16block_radix_sortIfLj256ELj1ElLj1ELj1ELj8ELNS0_26block_radix_rank_algorithmE2ELNS0_18block_padding_hintE2ELNS0_4arch9wavefront6targetE0EE19radix_bits_per_passE@rel64+4
	v_dual_lshrrev_b32 v32, 5, v14 :: v_dual_bitop2_b32 v18, 16, v68 bitop3:0x40
	v_or_b32_e32 v1, 31, v1
	s_load_b32 s18, s[0:1], 0x0
	v_cmp_eq_u32_e32 vcc_lo, 0, v5
	s_wait_xcnt 0x0
	v_cmp_lt_u32_e64 s0, 1, v5
	v_cmp_lt_u32_e64 s1, 3, v5
	;; [unrolled: 1-line block ×3, first 2 shown]
	v_cndmask_b32_e64 v5, v19, v68, s6
	v_cmp_eq_u32_e64 s5, v22, v1
	v_dual_lshrrev_b32 v1, 3, v22 :: v_dual_bitop2_b32 v4, v68, v4 bitop3:0x54
	v_cmp_eq_u32_e64 s4, 0, v18
	s_delay_alu instid0(VALU_DEP_4) | instskip(NEXT) | instid1(VALU_DEP_3)
	v_dual_lshlrev_b32 v34, 2, v5 :: v_dual_bitop2_b32 v5, 7, v68 bitop3:0x40
	v_and_b32_e32 v1, 0x7c, v1
	s_delay_alu instid0(VALU_DEP_4)
	v_lshlrev_b32_e32 v18, 2, v4
	v_cmp_gt_u32_e64 s6, 8, v22
	v_cmp_lt_u32_e64 s7, 31, v22
	v_cmp_eq_u32_e64 s9, 0, v5
	v_dual_add_nc_u32 v35, v12, v1 :: v_dual_mov_b32 v1, 0
	v_add_nc_u32_e32 v36, v12, v18
	v_cmp_lt_u32_e64 s10, 1, v5
	v_cmp_lt_u32_e64 s11, 3, v5
	v_mov_b64_e32 v[4:5], 0
	v_cmp_eq_u32_e64 s8, 0, v22
	v_lshl_add_u32 v33, v22, 2, v12
	v_dual_add_nc_u32 v37, -4, v35 :: v_dual_add_nc_u32 v38, v36, v18
	v_sub_nc_u32_e32 v39, v11, v10
	s_mov_b32 s19, 0
	s_wait_storecnt 0x0
	s_barrier_signal -1
	s_barrier_wait -1
	s_branch .LBB1421_369
.LBB1421_368:                           ;   in Loop: Header=BB1421_369 Depth=1
	s_or_b32 exec_lo, exec_lo, s13
	s_delay_alu instid0(SALU_CYCLE_1) | instskip(NEXT) | instid1(SALU_CYCLE_1)
	s_and_b32 s12, exec_lo, s14
	s_or_b32 s19, s12, s19
	s_delay_alu instid0(SALU_CYCLE_1)
	s_and_not1_b32 exec_lo, exec_lo, s19
	s_cbranch_execz .LBB1421_379
.LBB1421_369:                           ; =>This Inner Loop Header: Depth=1
	v_mov_b32_e32 v48, v0
	s_wait_kmcnt 0x0
	v_min_u32_e32 v0, s18, v39
	ds_store_b64 v15, v[4:5]
	ds_store_b64 v26, v[4:5]
	;; [unrolled: 1-line block ×4, first 2 shown]
	s_wait_dscnt 0x0
	v_cmp_ne_u32_e64 s12, 0x7fffffff, v48
	v_lshlrev_b32_e64 v0, v0, -1
	s_barrier_signal -1
	s_barrier_wait -1
	s_delay_alu instid0(VALU_DEP_2) | instskip(NEXT) | instid1(VALU_DEP_1)
	v_cndmask_b32_e64 v18, 0x80000000, v48, s12
	; wave barrier
	v_lshrrev_b32_e32 v18, v10, v18
	s_delay_alu instid0(VALU_DEP_1) | instskip(SKIP_1) | instid1(VALU_DEP_2)
	v_bitop3_b32 v19, v18, 1, v0 bitop3:0x40
	v_bitop3_b32 v0, v18, v0, v18 bitop3:0x30
	v_add_co_u32 v18, s12, v19, -1
	s_delay_alu instid0(VALU_DEP_1) | instskip(NEXT) | instid1(VALU_DEP_3)
	v_cndmask_b32_e64 v19, 0, 1, s12
	v_dual_lshlrev_b32 v20, 30, v0 :: v_dual_lshlrev_b32 v21, 29, v0
	v_dual_lshlrev_b32 v24, 28, v0 :: v_dual_lshlrev_b32 v25, 27, v0
	s_delay_alu instid0(VALU_DEP_3) | instskip(NEXT) | instid1(VALU_DEP_3)
	v_cmp_ne_u32_e64 s12, 0, v19
	v_not_b32_e32 v19, v20
	v_dual_lshlrev_b32 v49, 26, v0 :: v_dual_lshlrev_b32 v50, 25, v0
	v_lshlrev_b32_e32 v51, 24, v0
	v_cmp_gt_i32_e64 s13, 0, v20
	v_cmp_gt_i32_e64 s14, 0, v21
	v_not_b32_e32 v20, v21
	v_not_b32_e32 v21, v24
	v_ashrrev_i32_e32 v19, 31, v19
	v_cmp_gt_i32_e64 s15, 0, v24
	v_cmp_gt_i32_e64 s16, 0, v25
	v_not_b32_e32 v24, v25
	v_not_b32_e32 v25, v49
	v_dual_ashrrev_i32 v20, 31, v20 :: v_dual_bitop2_b32 v18, s12, v18 bitop3:0x14
	s_delay_alu instid0(VALU_DEP_3) | instskip(NEXT) | instid1(VALU_DEP_3)
	v_dual_ashrrev_i32 v21, 31, v21 :: v_dual_ashrrev_i32 v24, 31, v24
	v_dual_ashrrev_i32 v25, 31, v25 :: v_dual_bitop2_b32 v19, s13, v19 bitop3:0x14
	v_cmp_gt_i32_e64 s17, 0, v49
	v_not_b32_e32 v49, v50
	v_xor_b32_e32 v20, s14, v20
	s_delay_alu instid0(VALU_DEP_4)
	v_bitop3_b32 v18, v18, v19, exec_lo bitop3:0x80
	v_not_b32_e32 v19, v51
	v_xor_b32_e32 v21, s15, v21
	v_xor_b32_e32 v24, s16, v24
	;; [unrolled: 1-line block ×3, first 2 shown]
	v_cmp_gt_i32_e64 s12, 0, v50
	v_ashrrev_i32_e32 v49, 31, v49
	v_cmp_gt_i32_e64 s13, 0, v51
	v_ashrrev_i32_e32 v19, 31, v19
	v_bitop3_b32 v18, v18, v21, v20 bitop3:0x80
	v_lshl_add_u32 v0, v0, 3, v32
	v_xor_b32_e32 v20, s12, v49
	s_delay_alu instid0(VALU_DEP_4) | instskip(NEXT) | instid1(VALU_DEP_4)
	v_xor_b32_e32 v19, s13, v19
	v_bitop3_b32 v18, v18, v25, v24 bitop3:0x80
	s_delay_alu instid0(VALU_DEP_1) | instskip(SKIP_2) | instid1(VALU_DEP_3)
	v_bitop3_b32 v20, v18, v19, v20 bitop3:0x80
	v_mov_b64_e32 v[18:19], v[16:17]
	v_lshl_add_u64 v[16:17], v[0:1], 2, v[12:13]
	v_mbcnt_lo_u32_b32 v0, v20, 0
	v_cmp_ne_u32_e64 s13, 0, v20
	s_delay_alu instid0(VALU_DEP_3) | instskip(NEXT) | instid1(VALU_DEP_3)
	v_add_nc_u64_e32 v[16:17], 32, v[16:17]
	v_cmp_eq_u32_e64 s12, 0, v0
	s_and_b32 s13, s13, s12
	s_delay_alu instid0(SALU_CYCLE_1)
	s_and_saveexec_b32 s12, s13
; %bb.370:                              ;   in Loop: Header=BB1421_369 Depth=1
	v_bcnt_u32_b32 v17, v20, 0
	ds_store_b32 v16, v17
; %bb.371:                              ;   in Loop: Header=BB1421_369 Depth=1
	s_or_b32 exec_lo, exec_lo, s12
	; wave barrier
	s_wait_dscnt 0x0
	s_barrier_signal -1
	s_barrier_wait -1
	ds_load_b32 v20, v15
	ds_load_b32 v21, v23
	;; [unrolled: 1-line block ×8, first 2 shown]
	s_wait_dscnt 0x6
	v_add_nc_u32_e32 v52, v21, v20
	s_wait_dscnt 0x4
	s_delay_alu instid0(VALU_DEP_1) | instskip(SKIP_1) | instid1(VALU_DEP_1)
	v_add3_u32 v52, v52, v24, v25
	s_wait_dscnt 0x2
	v_add3_u32 v52, v52, v49, v50
	s_wait_dscnt 0x0
	s_delay_alu instid0(VALU_DEP_1) | instskip(NEXT) | instid1(VALU_DEP_1)
	v_add3_u32 v51, v52, v17, v51
	v_mov_b32_dpp v52, v51 row_shr:1 row_mask:0xf bank_mask:0xf
	s_delay_alu instid0(VALU_DEP_1) | instskip(NEXT) | instid1(VALU_DEP_1)
	v_cndmask_b32_e64 v52, v52, 0, vcc_lo
	v_add_nc_u32_e32 v51, v52, v51
	s_delay_alu instid0(VALU_DEP_1) | instskip(NEXT) | instid1(VALU_DEP_1)
	v_mov_b32_dpp v52, v51 row_shr:2 row_mask:0xf bank_mask:0xf
	v_cndmask_b32_e64 v52, 0, v52, s0
	s_delay_alu instid0(VALU_DEP_1) | instskip(NEXT) | instid1(VALU_DEP_1)
	v_add_nc_u32_e32 v51, v51, v52
	v_mov_b32_dpp v52, v51 row_shr:4 row_mask:0xf bank_mask:0xf
	s_delay_alu instid0(VALU_DEP_1) | instskip(NEXT) | instid1(VALU_DEP_1)
	v_cndmask_b32_e64 v52, 0, v52, s1
	v_add_nc_u32_e32 v51, v51, v52
	s_delay_alu instid0(VALU_DEP_1) | instskip(NEXT) | instid1(VALU_DEP_1)
	v_mov_b32_dpp v52, v51 row_shr:8 row_mask:0xf bank_mask:0xf
	v_cndmask_b32_e64 v52, 0, v52, s3
	s_delay_alu instid0(VALU_DEP_1) | instskip(SKIP_3) | instid1(VALU_DEP_1)
	v_add_nc_u32_e32 v51, v51, v52
	ds_swizzle_b32 v52, v51 offset:swizzle(BROADCAST,32,15)
	s_wait_dscnt 0x0
	v_cndmask_b32_e64 v52, v52, 0, s4
	v_add_nc_u32_e32 v51, v51, v52
	s_and_saveexec_b32 s12, s5
; %bb.372:                              ;   in Loop: Header=BB1421_369 Depth=1
	ds_store_b32 v35, v51
; %bb.373:                              ;   in Loop: Header=BB1421_369 Depth=1
	s_or_b32 exec_lo, exec_lo, s12
	s_wait_dscnt 0x0
	s_barrier_signal -1
	s_barrier_wait -1
	s_and_saveexec_b32 s12, s6
	s_cbranch_execz .LBB1421_375
; %bb.374:                              ;   in Loop: Header=BB1421_369 Depth=1
	ds_load_b32 v52, v33
	s_wait_dscnt 0x0
	v_mov_b32_dpp v53, v52 row_shr:1 row_mask:0xf bank_mask:0xf
	s_delay_alu instid0(VALU_DEP_1) | instskip(NEXT) | instid1(VALU_DEP_1)
	v_cndmask_b32_e64 v53, v53, 0, s9
	v_add_nc_u32_e32 v52, v53, v52
	s_delay_alu instid0(VALU_DEP_1) | instskip(NEXT) | instid1(VALU_DEP_1)
	v_mov_b32_dpp v53, v52 row_shr:2 row_mask:0xf bank_mask:0xf
	v_cndmask_b32_e64 v53, 0, v53, s10
	s_delay_alu instid0(VALU_DEP_1) | instskip(NEXT) | instid1(VALU_DEP_1)
	v_add_nc_u32_e32 v52, v52, v53
	v_mov_b32_dpp v53, v52 row_shr:4 row_mask:0xf bank_mask:0xf
	s_delay_alu instid0(VALU_DEP_1) | instskip(NEXT) | instid1(VALU_DEP_1)
	v_cndmask_b32_e64 v53, 0, v53, s11
	v_add_nc_u32_e32 v52, v52, v53
	ds_store_b32 v33, v52
.LBB1421_375:                           ;   in Loop: Header=BB1421_369 Depth=1
	s_or_b32 exec_lo, exec_lo, s12
	v_mov_b32_e32 v52, 0
	s_wait_dscnt 0x0
	s_barrier_signal -1
	s_barrier_wait -1
	s_and_saveexec_b32 s12, s7
; %bb.376:                              ;   in Loop: Header=BB1421_369 Depth=1
	ds_load_b32 v52, v37
; %bb.377:                              ;   in Loop: Header=BB1421_369 Depth=1
	s_or_b32 exec_lo, exec_lo, s12
	s_wait_dscnt 0x0
	v_add_nc_u32_e32 v51, v52, v51
	s_mov_b32 s14, -1
	s_mov_b32 s13, exec_lo
	v_add_nc_u32_e32 v10, 8, v10
	ds_bpermute_b32 v51, v34, v51
	s_wait_dscnt 0x0
	v_cndmask_b32_e64 v51, v51, v52, s2
	s_delay_alu instid0(VALU_DEP_1) | instskip(NEXT) | instid1(VALU_DEP_1)
	v_cndmask_b32_e64 v51, v51, 0, s8
	v_add_nc_u32_e32 v20, v51, v20
	s_delay_alu instid0(VALU_DEP_1) | instskip(NEXT) | instid1(VALU_DEP_1)
	v_add_nc_u32_e32 v21, v20, v21
	v_add_nc_u32_e32 v24, v21, v24
	s_delay_alu instid0(VALU_DEP_1) | instskip(SKIP_4) | instid1(VALU_DEP_1)
	v_add_nc_u32_e32 v25, v24, v25
	ds_store_b32 v15, v51
	ds_store_b32 v23, v20
	;; [unrolled: 1-line block ×3, first 2 shown]
	v_add_nc_u32_e32 v49, v25, v49
	v_add_nc_u32_e32 v50, v49, v50
	s_delay_alu instid0(VALU_DEP_1)
	v_add_nc_u32_e32 v17, v50, v17
	ds_store_b32 v27, v24
	ds_store_b32 v28, v25
	;; [unrolled: 1-line block ×5, first 2 shown]
	s_wait_dscnt 0x0
	s_barrier_signal -1
	s_barrier_wait -1
	ds_load_b32 v16, v16
	s_wait_dscnt 0x0
	v_add_nc_u32_e32 v0, v16, v0
	s_delay_alu instid0(VALU_DEP_1) | instskip(NEXT) | instid1(VALU_DEP_1)
	v_lshlrev_b64_e32 v[16:17], 2, v[0:1]
                                        ; implicit-def: $vgpr0
	v_add_nc_u64_e32 v[24:25], v[12:13], v[16:17]
	s_delay_alu instid0(VALU_DEP_1)
	v_add_nc_u64_e32 v[20:21], v[24:25], v[16:17]
                                        ; implicit-def: $vgpr16_vgpr17
	v_cmpx_lt_u32_e64 v10, v11
	s_cbranch_execz .LBB1421_368
; %bb.378:                              ;   in Loop: Header=BB1421_369 Depth=1
	s_barrier_signal -1
	s_barrier_wait -1
	ds_store_b32 v24, v48
	s_wait_dscnt 0x0
	s_barrier_signal -1
	s_barrier_wait -1
	ds_load_b32 v0, v36
	s_wait_dscnt 0x0
	s_barrier_signal -1
	s_barrier_wait -1
	ds_store_b64 v20, v[18:19]
	s_wait_dscnt 0x0
	s_barrier_signal -1
	s_barrier_wait -1
	ds_load_b64 v[16:17], v38
	v_add_nc_u32_e32 v39, -8, v39
	s_xor_b32 s14, exec_lo, -1
	s_wait_dscnt 0x0
	s_barrier_signal -1
	s_barrier_wait -1
	s_branch .LBB1421_368
.LBB1421_379:
	s_or_b32 exec_lo, exec_lo, s19
	v_lshl_add_u32 v0, v22, 3, v12
	s_barrier_signal -1
	s_barrier_wait -1
	ds_store_b32 v24, v48
	s_wait_dscnt 0x0
	s_barrier_signal -1
	s_barrier_wait -1
	ds_load_b32 v4, v33
	s_wait_dscnt 0x0
	s_barrier_signal -1
	s_barrier_wait -1
	ds_store_b64 v20, v[18:19]
	s_wait_dscnt 0x0
	s_barrier_signal -1
	s_barrier_wait -1
	ds_load_b64 v[0:1], v0
	s_mov_b32 s0, exec_lo
	s_wait_dscnt 0x0
	s_barrier_signal -1
	s_barrier_wait -1
	s_set_vgpr_msb 4                        ;  msbs: dst=0 src0=0 src1=1 src2=0
	v_cmpx_lt_u32_e64 v14, v10 /*v266*/
	s_set_vgpr_msb 0                        ;  msbs: dst=0 src0=0 src1=0 src2=0
	s_cbranch_execz .LBB1421_381
; %bb.380:
	v_cmp_lt_i32_e32 vcc_lo, -1, v4
	v_lshl_add_u64 v[2:3], v[8:9], 2, v[2:3]
	v_lshl_add_u64 v[6:7], v[8:9], 3, v[6:7]
	v_cndmask_b32_e64 v5, 0x80000000, -1, vcc_lo
	s_delay_alu instid0(VALU_DEP_1) | instskip(NEXT) | instid1(VALU_DEP_1)
	v_dual_mov_b32 v15, 0 :: v_dual_bitop2_b32 v8, v5, v4 bitop3:0x14
	v_lshl_add_u64 v[2:3], v[14:15], 2, v[2:3]
	s_delay_alu instid0(VALU_DEP_4)
	v_lshl_add_u64 v[4:5], v[14:15], 3, v[6:7]
	flat_store_b32 v[2:3], v8
	flat_store_b64 v[4:5], v[0:1]
.LBB1421_381:
	s_wait_xcnt 0x0
	s_or_b32 exec_lo, exec_lo, s0
.LBB1421_382:
	s_delay_alu instid0(SALU_CYCLE_1)
	s_or_b32 exec_lo, exec_lo, s21
	s_wait_dscnt 0x0
	s_set_pc_i64 s[30:31]
.Lfunc_end1421:
	.size	_ZN7rocprim17ROCPRIM_400000_NS6detail40segmented_radix_sort_single_block_helperIflLj256ELj17ELb0EE4sortIPKfPfPKlPlEEbT_T0_T1_T2_jjjjRNS3_12storage_typeE, .Lfunc_end1421-_ZN7rocprim17ROCPRIM_400000_NS6detail40segmented_radix_sort_single_block_helperIflLj256ELj17ELb0EE4sortIPKfPfPKlPlEEbT_T0_T1_T2_jjjjRNS3_12storage_typeE
                                        ; -- End function
	.set .L_ZN7rocprim17ROCPRIM_400000_NS6detail40segmented_radix_sort_single_block_helperIflLj256ELj17ELb0EE4sortIPKfPfPKlPlEEbT_T0_T1_T2_jjjjRNS3_12storage_typeE.num_vgpr, 320
	.set .L_ZN7rocprim17ROCPRIM_400000_NS6detail40segmented_radix_sort_single_block_helperIflLj256ELj17ELb0EE4sortIPKfPfPKlPlEEbT_T0_T1_T2_jjjjRNS3_12storage_typeE.num_agpr, 0
	.set .L_ZN7rocprim17ROCPRIM_400000_NS6detail40segmented_radix_sort_single_block_helperIflLj256ELj17ELb0EE4sortIPKfPfPKlPlEEbT_T0_T1_T2_jjjjRNS3_12storage_typeE.numbered_sgpr, 32
	.set .L_ZN7rocprim17ROCPRIM_400000_NS6detail40segmented_radix_sort_single_block_helperIflLj256ELj17ELb0EE4sortIPKfPfPKlPlEEbT_T0_T1_T2_jjjjRNS3_12storage_typeE.num_named_barrier, 0
	.set .L_ZN7rocprim17ROCPRIM_400000_NS6detail40segmented_radix_sort_single_block_helperIflLj256ELj17ELb0EE4sortIPKfPfPKlPlEEbT_T0_T1_T2_jjjjRNS3_12storage_typeE.private_seg_size, 0
	.set .L_ZN7rocprim17ROCPRIM_400000_NS6detail40segmented_radix_sort_single_block_helperIflLj256ELj17ELb0EE4sortIPKfPfPKlPlEEbT_T0_T1_T2_jjjjRNS3_12storage_typeE.uses_vcc, 1
	.set .L_ZN7rocprim17ROCPRIM_400000_NS6detail40segmented_radix_sort_single_block_helperIflLj256ELj17ELb0EE4sortIPKfPfPKlPlEEbT_T0_T1_T2_jjjjRNS3_12storage_typeE.uses_flat_scratch, 0
	.set .L_ZN7rocprim17ROCPRIM_400000_NS6detail40segmented_radix_sort_single_block_helperIflLj256ELj17ELb0EE4sortIPKfPfPKlPlEEbT_T0_T1_T2_jjjjRNS3_12storage_typeE.has_dyn_sized_stack, 0
	.set .L_ZN7rocprim17ROCPRIM_400000_NS6detail40segmented_radix_sort_single_block_helperIflLj256ELj17ELb0EE4sortIPKfPfPKlPlEEbT_T0_T1_T2_jjjjRNS3_12storage_typeE.has_recursion, 0
	.set .L_ZN7rocprim17ROCPRIM_400000_NS6detail40segmented_radix_sort_single_block_helperIflLj256ELj17ELb0EE4sortIPKfPfPKlPlEEbT_T0_T1_T2_jjjjRNS3_12storage_typeE.has_indirect_call, 0
	.section	.AMDGPU.csdata,"",@progbits
; Function info:
; codeLenInByte = 32764
; TotalNumSgprs: 34
; NumVgprs: 320
; ScratchSize: 0
; MemoryBound: 1
	.section	.text._ZN7rocprim17ROCPRIM_400000_NS6detail17trampoline_kernelINS0_14default_configENS1_36segmented_radix_sort_config_selectorIflEEZNS1_25segmented_radix_sort_implIS3_Lb0EPKfPfPKlPlN2at6native12_GLOBAL__N_18offset_tEEE10hipError_tPvRmT1_PNSt15iterator_traitsISK_E10value_typeET2_T3_PNSL_ISQ_E10value_typeET4_jRbjT5_SW_jjP12ihipStream_tbEUlT_E_NS1_11comp_targetILNS1_3genE0ELNS1_11target_archE4294967295ELNS1_3gpuE0ELNS1_3repE0EEENS1_30default_config_static_selectorELNS0_4arch9wavefront6targetE0EEEvSK_,"axG",@progbits,_ZN7rocprim17ROCPRIM_400000_NS6detail17trampoline_kernelINS0_14default_configENS1_36segmented_radix_sort_config_selectorIflEEZNS1_25segmented_radix_sort_implIS3_Lb0EPKfPfPKlPlN2at6native12_GLOBAL__N_18offset_tEEE10hipError_tPvRmT1_PNSt15iterator_traitsISK_E10value_typeET2_T3_PNSL_ISQ_E10value_typeET4_jRbjT5_SW_jjP12ihipStream_tbEUlT_E_NS1_11comp_targetILNS1_3genE0ELNS1_11target_archE4294967295ELNS1_3gpuE0ELNS1_3repE0EEENS1_30default_config_static_selectorELNS0_4arch9wavefront6targetE0EEEvSK_,comdat
	.globl	_ZN7rocprim17ROCPRIM_400000_NS6detail17trampoline_kernelINS0_14default_configENS1_36segmented_radix_sort_config_selectorIflEEZNS1_25segmented_radix_sort_implIS3_Lb0EPKfPfPKlPlN2at6native12_GLOBAL__N_18offset_tEEE10hipError_tPvRmT1_PNSt15iterator_traitsISK_E10value_typeET2_T3_PNSL_ISQ_E10value_typeET4_jRbjT5_SW_jjP12ihipStream_tbEUlT_E_NS1_11comp_targetILNS1_3genE0ELNS1_11target_archE4294967295ELNS1_3gpuE0ELNS1_3repE0EEENS1_30default_config_static_selectorELNS0_4arch9wavefront6targetE0EEEvSK_ ; -- Begin function _ZN7rocprim17ROCPRIM_400000_NS6detail17trampoline_kernelINS0_14default_configENS1_36segmented_radix_sort_config_selectorIflEEZNS1_25segmented_radix_sort_implIS3_Lb0EPKfPfPKlPlN2at6native12_GLOBAL__N_18offset_tEEE10hipError_tPvRmT1_PNSt15iterator_traitsISK_E10value_typeET2_T3_PNSL_ISQ_E10value_typeET4_jRbjT5_SW_jjP12ihipStream_tbEUlT_E_NS1_11comp_targetILNS1_3genE0ELNS1_11target_archE4294967295ELNS1_3gpuE0ELNS1_3repE0EEENS1_30default_config_static_selectorELNS0_4arch9wavefront6targetE0EEEvSK_
	.p2align	8
	.type	_ZN7rocprim17ROCPRIM_400000_NS6detail17trampoline_kernelINS0_14default_configENS1_36segmented_radix_sort_config_selectorIflEEZNS1_25segmented_radix_sort_implIS3_Lb0EPKfPfPKlPlN2at6native12_GLOBAL__N_18offset_tEEE10hipError_tPvRmT1_PNSt15iterator_traitsISK_E10value_typeET2_T3_PNSL_ISQ_E10value_typeET4_jRbjT5_SW_jjP12ihipStream_tbEUlT_E_NS1_11comp_targetILNS1_3genE0ELNS1_11target_archE4294967295ELNS1_3gpuE0ELNS1_3repE0EEENS1_30default_config_static_selectorELNS0_4arch9wavefront6targetE0EEEvSK_,@function
_ZN7rocprim17ROCPRIM_400000_NS6detail17trampoline_kernelINS0_14default_configENS1_36segmented_radix_sort_config_selectorIflEEZNS1_25segmented_radix_sort_implIS3_Lb0EPKfPfPKlPlN2at6native12_GLOBAL__N_18offset_tEEE10hipError_tPvRmT1_PNSt15iterator_traitsISK_E10value_typeET2_T3_PNSL_ISQ_E10value_typeET4_jRbjT5_SW_jjP12ihipStream_tbEUlT_E_NS1_11comp_targetILNS1_3genE0ELNS1_11target_archE4294967295ELNS1_3gpuE0ELNS1_3repE0EEENS1_30default_config_static_selectorELNS0_4arch9wavefront6targetE0EEEvSK_: ; @_ZN7rocprim17ROCPRIM_400000_NS6detail17trampoline_kernelINS0_14default_configENS1_36segmented_radix_sort_config_selectorIflEEZNS1_25segmented_radix_sort_implIS3_Lb0EPKfPfPKlPlN2at6native12_GLOBAL__N_18offset_tEEE10hipError_tPvRmT1_PNSt15iterator_traitsISK_E10value_typeET2_T3_PNSL_ISQ_E10value_typeET4_jRbjT5_SW_jjP12ihipStream_tbEUlT_E_NS1_11comp_targetILNS1_3genE0ELNS1_11target_archE4294967295ELNS1_3gpuE0ELNS1_3repE0EEENS1_30default_config_static_selectorELNS0_4arch9wavefront6targetE0EEEvSK_
; %bb.0:
	s_load_b64 s[8:9], s[2:3], 0x38
	s_bfe_u32 s4, ttmp6, 0x4000c
	s_and_b32 s5, ttmp6, 15
	s_add_co_i32 s4, s4, 1
	s_getreg_b32 s33, hwreg(HW_REG_IB_STS2, 6, 4)
	s_mul_i32 s4, ttmp9, s4
	s_mov_b32 s32, 0
	s_add_co_i32 s5, s5, s4
	s_cmp_eq_u32 s33, 0
	s_cselect_b32 s51, ttmp9, s5
	s_load_b128 s[4:7], s[2:3], 0x40
	s_wait_kmcnt 0x0
	s_load_b32 s10, s[8:9], s51 offset:0x0 scale_offset
	s_wait_kmcnt 0x0
	s_add_co_i32 s54, s10, s7
	s_add_co_i32 s55, s10, s5
	s_mul_i32 s54, s54, s6
	s_mul_i32 s55, s55, s4
	s_delay_alu instid0(SALU_CYCLE_1)
	s_cmp_le_u32 s54, s55
	s_cbranch_scc1 .LBB1422_1254
; %bb.1:
	s_clause 0x3
	s_load_b32 s4, s[2:3], 0x30
	s_load_b128 s[44:47], s[2:3], 0x20
	s_load_b96 s[48:50], s[2:3], 0x50
	s_load_b256 s[36:43], s[2:3], 0x0
	s_wait_kmcnt 0x0
	s_bitcmp1_b32 s4, 0
	s_mov_b32 s4, -1
	s_cselect_b32 s56, -1, 0
	s_sub_co_i32 s57, s54, s55
	s_delay_alu instid0(SALU_CYCLE_1)
	s_cmp_lt_u32 s57, 0x1101
	s_cbranch_scc0 .LBB1422_7
; %bb.2:
	v_cndmask_b32_e64 v1, 0, 1, s56
	s_and_b32 s4, s48, 1
	s_get_pc_i64 s[26:27]
	s_add_nc_u64 s[26:27], s[26:27], _ZN7rocprim17ROCPRIM_400000_NS6detail40segmented_radix_sort_single_block_helperIflLj256ELj17ELb0EE4sortIPKfPfPKlPlEEbT_T0_T1_T2_jjjjRNS3_12storage_typeE@rel64+4
	s_delay_alu instid0(VALU_DEP_1)
	v_cmp_ne_u32_e32 vcc_lo, s4, v1
	s_mov_b32 s4, -1
	s_cbranch_vccnz .LBB1422_4
; %bb.3:
	s_mov_b64 s[4:5], src_shared_base
	v_dual_mov_b32 v31, v0 :: v_dual_mov_b32 v40, v0
	v_dual_mov_b32 v0, s36 :: v_dual_mov_b32 v1, s37
	;; [unrolled: 1-line block ×8, first 2 shown]
	s_add_nc_u64 s[8:9], s[2:3], 0x60
	s_mov_b64 s[6:7], s[0:1]
	s_mov_b64 s[28:29], s[2:3]
	;; [unrolled: 1-line block ×3, first 2 shown]
	s_swap_pc_i64 s[30:31], s[26:27]
	v_mov_b32_e32 v0, v40
	s_mov_b64 s[0:1], s[34:35]
	s_mov_b64 s[2:3], s[28:29]
	s_mov_b32 s4, 0
.LBB1422_4:
	s_delay_alu instid0(SALU_CYCLE_1)
	s_and_not1_b32 vcc_lo, exec_lo, s4
	s_cbranch_vccnz .LBB1422_6
; %bb.5:
	s_mov_b64 s[4:5], src_shared_base
	v_dual_mov_b32 v31, v0 :: v_dual_mov_b32 v40, v0
	v_dual_mov_b32 v0, s36 :: v_dual_mov_b32 v1, s37
	;; [unrolled: 1-line block ×8, first 2 shown]
	s_add_nc_u64 s[8:9], s[2:3], 0x60
	s_mov_b64 s[6:7], s[0:1]
	s_mov_b64 s[28:29], s[2:3]
	s_swap_pc_i64 s[30:31], s[26:27]
	v_mov_b32_e32 v0, v40
	s_mov_b64 s[2:3], s[28:29]
.LBB1422_6:
	s_mov_b32 s4, 0
.LBB1422_7:
	s_delay_alu instid0(SALU_CYCLE_1)
	s_and_not1_b32 vcc_lo, exec_lo, s4
	s_cbranch_vccnz .LBB1422_1254
; %bb.8:
	s_cmp_ge_u32 s49, s50
	s_cbranch_scc1 .LBB1422_1254
; %bb.9:
	v_and_b32_e32 v2, 0x3ff, v0
	v_dual_mov_b32 v1, 0 :: v_dual_bitop2_b32 v6, 3, v0 bitop3:0x40
	v_and_b32_e32 v7, 0xe0, v0
	s_delay_alu instid0(VALU_DEP_3) | instskip(NEXT) | instid1(VALU_DEP_3)
	v_dual_lshrrev_b32 v9, 3, v0 :: v_dual_lshlrev_b32 v4, 2, v2
	v_dual_mov_b32 v5, v1 :: v_dual_lshlrev_b32 v84, 2, v6
	s_delay_alu instid0(VALU_DEP_3) | instskip(SKIP_1) | instid1(VALU_DEP_4)
	v_min_u32_e32 v8, 0x60, v7
	v_mul_u32_u24_e32 v18, 17, v7
	v_mad_u32_u24 v85, v2, 12, v4
	v_and_b32_e32 v83, 28, v9
	v_mbcnt_lo_u32_b32 v95, -1, 0
	v_or_b32_e32 v8, 31, v8
	s_bfe_u32 s6, ttmp6, 0x40010
	v_dual_add_nc_u32 v90, v85, v4 :: v_dual_bitop2_b32 v6, 31, v7 bitop3:0x54
	v_lshlrev_b32_e32 v7, 4, v2
	v_dual_mov_b32 v17, v1 :: v_dual_add_nc_u32 v88, 0x89fc, v83
	v_bfe_u32 v89, v0, 20, 10
	s_add_nc_u64 s[52:53], s[2:3], 0x60
	v_bfe_u32 v91, v0, 10, 10
	v_sub_nc_u32_e32 v92, v90, v7
	v_cmp_eq_u32_e64 s2, v2, v6
	v_dual_add_nc_u32 v6, 1, v2 :: v_dual_bitop2_b32 v97, 15, v95 bitop3:0x40
	v_dual_lshlrev_b32 v0, 3, v18 :: v_dual_lshlrev_b32 v16, 2, v18
	s_add_co_i32 s6, s6, 1
	v_dual_lshlrev_b32 v24, 2, v95 :: v_dual_bitop2_b32 v101, v95, v18 bitop3:0x54
	s_mul_i32 s6, ttmp7, s6
	s_bfe_u32 s7, ttmp6, 0x40004
	v_cmp_eq_u32_e64 s1, v2, v8
	s_add_co_i32 s9, s7, s6
	v_mul_u32_u24_e32 v93, 36, v6
	v_cmp_ne_u32_e64 s7, 0x80, v6
	v_add_nc_u64_e32 v[6:7], s[46:47], v[0:1]
	v_add_nc_u64_e32 v[8:9], s[40:41], v[16:17]
	;; [unrolled: 1-line block ×9, first 2 shown]
	v_or_b32_e32 v3, 0x100, v2
	v_or_b32_e32 v68, 0x200, v2
	;; [unrolled: 1-line block ×16, first 2 shown]
	v_cmp_gt_u32_e64 s0, 0x80, v2
	v_or_b32_e32 v86, 0x8a00, v83
	v_cmp_gt_u32_e64 s4, 4, v2
	v_dual_mov_b32 v96, 1 :: v_dual_add_nc_u32 v87, 0x8a00, v4
	v_cmp_lt_u32_e64 s5, 31, v2
	v_cmp_gt_u32_e64 s3, 8, v2
	v_cmp_eq_u32_e64 s6, 0, v2
	v_lshl_add_u32 v94, v2, 5, v92
	v_bfe_i32 v98, v95, 4, 1
	v_dual_lshlrev_b32 v0, 3, v95 :: v_dual_bitop2_b32 v99, 16, v95 bitop3:0x40
	v_dual_add_nc_u32 v104, 32, v101 :: v_dual_bitop2_b32 v100, 3, v95 bitop3:0x40
	v_sub_co_u32 v102, s8, v95, 1
	v_dual_add_nc_u32 v105, 64, v101 :: v_dual_bitop2_b32 v103, 7, v95 bitop3:0x40
	v_add_nc_u32_e32 v106, 0x60, v101
	v_add_nc_u32_e32 v107, 0x80, v101
	;; [unrolled: 1-line block ×14, first 2 shown]
	s_cmp_eq_u32 s33, 0
	s_mov_b32 s43, 0
	s_cselect_b32 s35, ttmp7, s9
	s_mov_b32 s48, s49
	s_branch .LBB1422_12
.LBB1422_10:                            ;   in Loop: Header=BB1422_12 Depth=1
	s_wait_dscnt 0x0
	s_barrier_signal -1
	s_barrier_wait -1
.LBB1422_11:                            ;   in Loop: Header=BB1422_12 Depth=1
	s_add_co_i32 s48, s48, 7
	s_delay_alu instid0(SALU_CYCLE_1)
	s_cmp_ge_u32 s48, s50
	s_cbranch_scc1 .LBB1422_1254
.LBB1422_12:                            ; =>This Loop Header: Depth=1
                                        ;     Child Loop BB1422_16 Depth 2
                                        ;     Child Loop BB1422_100 Depth 2
	;; [unrolled: 1-line block ×8, first 2 shown]
	s_sub_co_i32 s9, s50, s48
	s_xor_b32 s56, s56, -1
	s_min_u32 s9, s9, 7
	ds_store_2addr_stride64_b32 v4, v1, v1 offset1:4
	s_lshl_b32 s9, -1, s9
	s_wait_storecnt_dscnt 0x0
	s_not_b32 s58, s9
	s_cmp_lg_u32 s48, s49
	s_mov_b32 s9, -1
	s_cbranch_scc0 .LBB1422_634
; %bb.13:                               ;   in Loop: Header=BB1422_12 Depth=1
	s_and_b32 vcc_lo, exec_lo, s56
	s_cbranch_vccz .LBB1422_323
; %bb.14:                               ;   in Loop: Header=BB1422_12 Depth=1
	s_mov_b32 s9, s57
	s_mov_b32 s42, s55
	s_barrier_signal -1
	s_barrier_wait -1
                                        ; implicit-def: $vgpr25
                                        ; implicit-def: $vgpr26
                                        ; implicit-def: $vgpr27
                                        ; implicit-def: $vgpr28
                                        ; implicit-def: $vgpr29
                                        ; implicit-def: $vgpr30
                                        ; implicit-def: $vgpr31
                                        ; implicit-def: $vgpr32
                                        ; implicit-def: $vgpr33
                                        ; implicit-def: $vgpr34
                                        ; implicit-def: $vgpr35
                                        ; implicit-def: $vgpr36
                                        ; implicit-def: $vgpr37
                                        ; implicit-def: $vgpr38
                                        ; implicit-def: $vgpr39
                                        ; implicit-def: $vgpr40
                                        ; implicit-def: $vgpr41
	s_branch .LBB1422_16
.LBB1422_15:                            ;   in Loop: Header=BB1422_16 Depth=2
	s_or_b32 exec_lo, exec_lo, s10
	s_addk_co_i32 s9, 0xef00
	s_cmp_ge_u32 s12, s54
	s_mov_b32 s42, s12
	s_cbranch_scc1 .LBB1422_88
.LBB1422_16:                            ;   Parent Loop BB1422_12 Depth=1
                                        ; =>  This Inner Loop Header: Depth=2
	s_add_co_i32 s12, s42, 0x1100
	s_mov_b32 s10, -1
	s_cmp_gt_u32 s12, s54
                                        ; implicit-def: $vgpr42
                                        ; implicit-def: $vgpr43
                                        ; implicit-def: $vgpr44
                                        ; implicit-def: $vgpr45
                                        ; implicit-def: $vgpr46
                                        ; implicit-def: $vgpr47
                                        ; implicit-def: $vgpr48
                                        ; implicit-def: $vgpr49
                                        ; implicit-def: $vgpr50
                                        ; implicit-def: $vgpr51
                                        ; implicit-def: $vgpr52
                                        ; implicit-def: $vgpr53
                                        ; implicit-def: $vgpr54
                                        ; implicit-def: $vgpr55
                                        ; implicit-def: $vgpr56
                                        ; implicit-def: $vgpr57
                                        ; implicit-def: $vgpr58
	s_cbranch_scc1 .LBB1422_18
; %bb.17:                               ;   in Loop: Header=BB1422_16 Depth=2
	v_lshl_add_u64 v[60:61], s[42:43], 2, v[18:19]
	s_mov_b32 s10, 0
	s_clause 0x10
	global_load_b32 v42, v[60:61], off
	global_load_b32 v43, v[60:61], off offset:1024
	global_load_b32 v44, v[60:61], off offset:2048
	global_load_b32 v45, v[60:61], off offset:3072
	global_load_b32 v46, v[60:61], off offset:4096
	global_load_b32 v47, v[60:61], off offset:5120
	global_load_b32 v48, v[60:61], off offset:6144
	global_load_b32 v49, v[60:61], off offset:7168
	global_load_b32 v50, v[60:61], off offset:8192
	global_load_b32 v51, v[60:61], off offset:9216
	global_load_b32 v52, v[60:61], off offset:10240
	global_load_b32 v53, v[60:61], off offset:11264
	global_load_b32 v54, v[60:61], off offset:12288
	global_load_b32 v55, v[60:61], off offset:13312
	global_load_b32 v56, v[60:61], off offset:14336
	global_load_b32 v57, v[60:61], off offset:15360
	global_load_b32 v58, v[60:61], off offset:16384
.LBB1422_18:                            ;   in Loop: Header=BB1422_16 Depth=2
	s_and_not1_b32 vcc_lo, exec_lo, s10
	s_movk_i32 s10, 0x1100
	s_cbranch_vccnz .LBB1422_38
; %bb.19:                               ;   in Loop: Header=BB1422_16 Depth=2
	s_lshl_b64 s[10:11], s[42:43], 2
	s_mov_b32 s13, exec_lo
	s_add_nc_u64 s[10:11], s[40:41], s[10:11]
	s_wait_xcnt 0x0
	v_cmpx_gt_u32_e64 s9, v2
	s_cbranch_execnz .LBB1422_72
; %bb.20:                               ;   in Loop: Header=BB1422_16 Depth=2
	s_or_b32 exec_lo, exec_lo, s13
	s_delay_alu instid0(SALU_CYCLE_1)
	s_mov_b32 s13, exec_lo
	v_cmpx_gt_u32_e64 s9, v3
	s_cbranch_execnz .LBB1422_73
.LBB1422_21:                            ;   in Loop: Header=BB1422_16 Depth=2
	s_or_b32 exec_lo, exec_lo, s13
	s_delay_alu instid0(SALU_CYCLE_1)
	s_mov_b32 s13, exec_lo
	v_cmpx_gt_u32_e64 s9, v68
	s_cbranch_execnz .LBB1422_74
.LBB1422_22:                            ;   in Loop: Header=BB1422_16 Depth=2
	s_or_b32 exec_lo, exec_lo, s13
	s_delay_alu instid0(SALU_CYCLE_1)
	s_mov_b32 s13, exec_lo
	v_cmpx_gt_u32_e64 s9, v69
	s_cbranch_execnz .LBB1422_75
.LBB1422_23:                            ;   in Loop: Header=BB1422_16 Depth=2
	s_or_b32 exec_lo, exec_lo, s13
	s_delay_alu instid0(SALU_CYCLE_1)
	s_mov_b32 s13, exec_lo
	v_cmpx_gt_u32_e64 s9, v70
	s_cbranch_execnz .LBB1422_76
.LBB1422_24:                            ;   in Loop: Header=BB1422_16 Depth=2
	s_or_b32 exec_lo, exec_lo, s13
	s_delay_alu instid0(SALU_CYCLE_1)
	s_mov_b32 s13, exec_lo
	v_cmpx_gt_u32_e64 s9, v71
	s_cbranch_execnz .LBB1422_77
.LBB1422_25:                            ;   in Loop: Header=BB1422_16 Depth=2
	s_or_b32 exec_lo, exec_lo, s13
	s_delay_alu instid0(SALU_CYCLE_1)
	s_mov_b32 s13, exec_lo
	v_cmpx_gt_u32_e64 s9, v72
	s_cbranch_execnz .LBB1422_78
.LBB1422_26:                            ;   in Loop: Header=BB1422_16 Depth=2
	s_or_b32 exec_lo, exec_lo, s13
	s_delay_alu instid0(SALU_CYCLE_1)
	s_mov_b32 s13, exec_lo
	v_cmpx_gt_u32_e64 s9, v73
	s_cbranch_execnz .LBB1422_79
.LBB1422_27:                            ;   in Loop: Header=BB1422_16 Depth=2
	s_or_b32 exec_lo, exec_lo, s13
	s_delay_alu instid0(SALU_CYCLE_1)
	s_mov_b32 s13, exec_lo
	v_cmpx_gt_u32_e64 s9, v74
	s_cbranch_execnz .LBB1422_80
.LBB1422_28:                            ;   in Loop: Header=BB1422_16 Depth=2
	s_or_b32 exec_lo, exec_lo, s13
	s_delay_alu instid0(SALU_CYCLE_1)
	s_mov_b32 s13, exec_lo
	v_cmpx_gt_u32_e64 s9, v75
	s_cbranch_execnz .LBB1422_81
.LBB1422_29:                            ;   in Loop: Header=BB1422_16 Depth=2
	s_or_b32 exec_lo, exec_lo, s13
	s_delay_alu instid0(SALU_CYCLE_1)
	s_mov_b32 s13, exec_lo
	v_cmpx_gt_u32_e64 s9, v76
	s_cbranch_execnz .LBB1422_82
.LBB1422_30:                            ;   in Loop: Header=BB1422_16 Depth=2
	s_or_b32 exec_lo, exec_lo, s13
	s_delay_alu instid0(SALU_CYCLE_1)
	s_mov_b32 s13, exec_lo
	v_cmpx_gt_u32_e64 s9, v77
	s_cbranch_execnz .LBB1422_83
.LBB1422_31:                            ;   in Loop: Header=BB1422_16 Depth=2
	s_or_b32 exec_lo, exec_lo, s13
	s_delay_alu instid0(SALU_CYCLE_1)
	s_mov_b32 s13, exec_lo
	v_cmpx_gt_u32_e64 s9, v78
	s_cbranch_execnz .LBB1422_84
.LBB1422_32:                            ;   in Loop: Header=BB1422_16 Depth=2
	s_or_b32 exec_lo, exec_lo, s13
	s_delay_alu instid0(SALU_CYCLE_1)
	s_mov_b32 s13, exec_lo
	v_cmpx_gt_u32_e64 s9, v79
	s_cbranch_execnz .LBB1422_85
.LBB1422_33:                            ;   in Loop: Header=BB1422_16 Depth=2
	s_or_b32 exec_lo, exec_lo, s13
	s_delay_alu instid0(SALU_CYCLE_1)
	s_mov_b32 s13, exec_lo
	v_cmpx_gt_u32_e64 s9, v80
	s_cbranch_execnz .LBB1422_86
.LBB1422_34:                            ;   in Loop: Header=BB1422_16 Depth=2
	s_or_b32 exec_lo, exec_lo, s13
	s_delay_alu instid0(SALU_CYCLE_1)
	s_mov_b32 s13, exec_lo
	v_cmpx_gt_u32_e64 s9, v81
	s_cbranch_execnz .LBB1422_87
.LBB1422_35:                            ;   in Loop: Header=BB1422_16 Depth=2
	s_or_b32 exec_lo, exec_lo, s13
	s_delay_alu instid0(SALU_CYCLE_1)
	s_mov_b32 s13, exec_lo
	v_cmpx_gt_u32_e64 s9, v82
	s_cbranch_execz .LBB1422_37
.LBB1422_36:                            ;   in Loop: Header=BB1422_16 Depth=2
	global_load_b32 v25, v2, s[10:11] offset:16384 scale_offset
.LBB1422_37:                            ;   in Loop: Header=BB1422_16 Depth=2
	s_wait_xcnt 0x0
	s_or_b32 exec_lo, exec_lo, s13
	s_wait_loadcnt 0x0
	v_dual_mov_b32 v42, v41 :: v_dual_mov_b32 v43, v40
	v_dual_mov_b32 v44, v39 :: v_dual_mov_b32 v45, v38
	;; [unrolled: 1-line block ×8, first 2 shown]
	v_mov_b32_e32 v58, v25
	s_mov_b32 s10, s9
.LBB1422_38:                            ;   in Loop: Header=BB1422_16 Depth=2
	s_wait_loadcnt 0x0
	s_delay_alu instid0(VALU_DEP_1)
	v_dual_mov_b32 v25, v58 :: v_dual_mov_b32 v26, v57
	v_dual_mov_b32 v27, v56 :: v_dual_mov_b32 v28, v55
	v_dual_mov_b32 v29, v54 :: v_dual_mov_b32 v30, v53
	v_dual_mov_b32 v31, v52 :: v_dual_mov_b32 v32, v51
	v_dual_mov_b32 v33, v50 :: v_dual_mov_b32 v34, v49
	v_dual_mov_b32 v35, v48 :: v_dual_mov_b32 v36, v47
	v_dual_mov_b32 v37, v46 :: v_dual_mov_b32 v38, v45
	v_dual_mov_b32 v39, v44 :: v_dual_mov_b32 v40, v43
	v_mov_b32_e32 v41, v42
	s_mov_b32 s11, exec_lo
	s_wait_xcnt 0x0
	v_cmpx_gt_u32_e64 s10, v2
	s_cbranch_execnz .LBB1422_55
; %bb.39:                               ;   in Loop: Header=BB1422_16 Depth=2
	s_or_b32 exec_lo, exec_lo, s11
	s_delay_alu instid0(SALU_CYCLE_1)
	s_mov_b32 s11, exec_lo
	v_cmpx_gt_u32_e64 s10, v3
	s_cbranch_execnz .LBB1422_56
.LBB1422_40:                            ;   in Loop: Header=BB1422_16 Depth=2
	s_or_b32 exec_lo, exec_lo, s11
	s_delay_alu instid0(SALU_CYCLE_1)
	s_mov_b32 s11, exec_lo
	v_cmpx_gt_u32_e64 s10, v68
	s_cbranch_execnz .LBB1422_57
.LBB1422_41:                            ;   in Loop: Header=BB1422_16 Depth=2
	s_or_b32 exec_lo, exec_lo, s11
	s_delay_alu instid0(SALU_CYCLE_1)
	s_mov_b32 s11, exec_lo
	v_cmpx_gt_u32_e64 s10, v69
	s_cbranch_execnz .LBB1422_58
.LBB1422_42:                            ;   in Loop: Header=BB1422_16 Depth=2
	s_or_b32 exec_lo, exec_lo, s11
	s_delay_alu instid0(SALU_CYCLE_1)
	s_mov_b32 s11, exec_lo
	v_cmpx_gt_u32_e64 s10, v70
	s_cbranch_execnz .LBB1422_59
.LBB1422_43:                            ;   in Loop: Header=BB1422_16 Depth=2
	s_or_b32 exec_lo, exec_lo, s11
	s_delay_alu instid0(SALU_CYCLE_1)
	s_mov_b32 s11, exec_lo
	v_cmpx_gt_u32_e64 s10, v71
	s_cbranch_execnz .LBB1422_60
.LBB1422_44:                            ;   in Loop: Header=BB1422_16 Depth=2
	s_or_b32 exec_lo, exec_lo, s11
	s_delay_alu instid0(SALU_CYCLE_1)
	s_mov_b32 s11, exec_lo
	v_cmpx_gt_u32_e64 s10, v72
	s_cbranch_execnz .LBB1422_61
.LBB1422_45:                            ;   in Loop: Header=BB1422_16 Depth=2
	s_or_b32 exec_lo, exec_lo, s11
	s_delay_alu instid0(SALU_CYCLE_1)
	s_mov_b32 s11, exec_lo
	v_cmpx_gt_u32_e64 s10, v73
	s_cbranch_execnz .LBB1422_62
.LBB1422_46:                            ;   in Loop: Header=BB1422_16 Depth=2
	s_or_b32 exec_lo, exec_lo, s11
	s_delay_alu instid0(SALU_CYCLE_1)
	s_mov_b32 s11, exec_lo
	v_cmpx_gt_u32_e64 s10, v74
	s_cbranch_execnz .LBB1422_63
.LBB1422_47:                            ;   in Loop: Header=BB1422_16 Depth=2
	s_or_b32 exec_lo, exec_lo, s11
	s_delay_alu instid0(SALU_CYCLE_1)
	s_mov_b32 s11, exec_lo
	v_cmpx_gt_u32_e64 s10, v75
	s_cbranch_execnz .LBB1422_64
.LBB1422_48:                            ;   in Loop: Header=BB1422_16 Depth=2
	s_or_b32 exec_lo, exec_lo, s11
	s_delay_alu instid0(SALU_CYCLE_1)
	s_mov_b32 s11, exec_lo
	v_cmpx_gt_u32_e64 s10, v76
	s_cbranch_execnz .LBB1422_65
.LBB1422_49:                            ;   in Loop: Header=BB1422_16 Depth=2
	s_or_b32 exec_lo, exec_lo, s11
	s_delay_alu instid0(SALU_CYCLE_1)
	s_mov_b32 s11, exec_lo
	v_cmpx_gt_u32_e64 s10, v77
	s_cbranch_execnz .LBB1422_66
.LBB1422_50:                            ;   in Loop: Header=BB1422_16 Depth=2
	s_or_b32 exec_lo, exec_lo, s11
	s_delay_alu instid0(SALU_CYCLE_1)
	s_mov_b32 s11, exec_lo
	v_cmpx_gt_u32_e64 s10, v78
	s_cbranch_execnz .LBB1422_67
.LBB1422_51:                            ;   in Loop: Header=BB1422_16 Depth=2
	s_or_b32 exec_lo, exec_lo, s11
	s_delay_alu instid0(SALU_CYCLE_1)
	s_mov_b32 s11, exec_lo
	v_cmpx_gt_u32_e64 s10, v79
	s_cbranch_execnz .LBB1422_68
.LBB1422_52:                            ;   in Loop: Header=BB1422_16 Depth=2
	s_or_b32 exec_lo, exec_lo, s11
	s_delay_alu instid0(SALU_CYCLE_1)
	s_mov_b32 s11, exec_lo
	v_cmpx_gt_u32_e64 s10, v80
	s_cbranch_execnz .LBB1422_69
.LBB1422_53:                            ;   in Loop: Header=BB1422_16 Depth=2
	s_or_b32 exec_lo, exec_lo, s11
	s_delay_alu instid0(SALU_CYCLE_1)
	s_mov_b32 s11, exec_lo
	v_cmpx_gt_u32_e64 s10, v81
	s_cbranch_execnz .LBB1422_70
.LBB1422_54:                            ;   in Loop: Header=BB1422_16 Depth=2
	s_or_b32 exec_lo, exec_lo, s11
	v_cmp_gt_u32_e32 vcc_lo, s10, v82
	s_and_saveexec_b32 s10, vcc_lo
	s_cbranch_execz .LBB1422_15
	s_branch .LBB1422_71
.LBB1422_55:                            ;   in Loop: Header=BB1422_16 Depth=2
	v_cmp_lt_i32_e32 vcc_lo, -1, v41
	v_cndmask_b32_e64 v42, -1, 0x80000000, vcc_lo
	s_delay_alu instid0(VALU_DEP_1) | instskip(NEXT) | instid1(VALU_DEP_1)
	v_xor_b32_e32 v42, v42, v41
	v_cmp_ne_u32_e32 vcc_lo, 0x7fffffff, v42
	v_cndmask_b32_e32 v42, 0x80000000, v42, vcc_lo
	s_delay_alu instid0(VALU_DEP_1) | instskip(NEXT) | instid1(VALU_DEP_1)
	v_lshrrev_b32_e32 v42, s48, v42
	v_and_b32_e32 v42, s58, v42
	s_delay_alu instid0(VALU_DEP_1) | instskip(SKIP_2) | instid1(SALU_CYCLE_1)
	v_lshl_or_b32 v42, v42, 4, v84
	ds_add_u32 v42, v96
	s_or_b32 exec_lo, exec_lo, s11
	s_mov_b32 s11, exec_lo
	v_cmpx_gt_u32_e64 s10, v3
	s_cbranch_execz .LBB1422_40
.LBB1422_56:                            ;   in Loop: Header=BB1422_16 Depth=2
	v_cmp_lt_i32_e32 vcc_lo, -1, v40
	v_cndmask_b32_e64 v42, -1, 0x80000000, vcc_lo
	s_delay_alu instid0(VALU_DEP_1) | instskip(NEXT) | instid1(VALU_DEP_1)
	v_xor_b32_e32 v42, v42, v40
	v_cmp_ne_u32_e32 vcc_lo, 0x7fffffff, v42
	v_cndmask_b32_e32 v42, 0x80000000, v42, vcc_lo
	s_delay_alu instid0(VALU_DEP_1) | instskip(NEXT) | instid1(VALU_DEP_1)
	v_lshrrev_b32_e32 v42, s48, v42
	v_and_b32_e32 v42, s58, v42
	s_delay_alu instid0(VALU_DEP_1) | instskip(SKIP_2) | instid1(SALU_CYCLE_1)
	v_lshl_or_b32 v42, v42, 4, v84
	ds_add_u32 v42, v96
	s_or_b32 exec_lo, exec_lo, s11
	s_mov_b32 s11, exec_lo
	v_cmpx_gt_u32_e64 s10, v68
	s_cbranch_execz .LBB1422_41
.LBB1422_57:                            ;   in Loop: Header=BB1422_16 Depth=2
	v_cmp_lt_i32_e32 vcc_lo, -1, v39
	v_cndmask_b32_e64 v42, -1, 0x80000000, vcc_lo
	s_delay_alu instid0(VALU_DEP_1) | instskip(NEXT) | instid1(VALU_DEP_1)
	v_xor_b32_e32 v42, v42, v39
	v_cmp_ne_u32_e32 vcc_lo, 0x7fffffff, v42
	v_cndmask_b32_e32 v42, 0x80000000, v42, vcc_lo
	s_delay_alu instid0(VALU_DEP_1) | instskip(NEXT) | instid1(VALU_DEP_1)
	v_lshrrev_b32_e32 v42, s48, v42
	v_and_b32_e32 v42, s58, v42
	s_delay_alu instid0(VALU_DEP_1) | instskip(SKIP_2) | instid1(SALU_CYCLE_1)
	v_lshl_or_b32 v42, v42, 4, v84
	ds_add_u32 v42, v96
	s_or_b32 exec_lo, exec_lo, s11
	s_mov_b32 s11, exec_lo
	v_cmpx_gt_u32_e64 s10, v69
	s_cbranch_execz .LBB1422_42
.LBB1422_58:                            ;   in Loop: Header=BB1422_16 Depth=2
	v_cmp_lt_i32_e32 vcc_lo, -1, v38
	v_cndmask_b32_e64 v42, -1, 0x80000000, vcc_lo
	s_delay_alu instid0(VALU_DEP_1) | instskip(NEXT) | instid1(VALU_DEP_1)
	v_xor_b32_e32 v42, v42, v38
	v_cmp_ne_u32_e32 vcc_lo, 0x7fffffff, v42
	v_cndmask_b32_e32 v42, 0x80000000, v42, vcc_lo
	s_delay_alu instid0(VALU_DEP_1) | instskip(NEXT) | instid1(VALU_DEP_1)
	v_lshrrev_b32_e32 v42, s48, v42
	v_and_b32_e32 v42, s58, v42
	s_delay_alu instid0(VALU_DEP_1) | instskip(SKIP_2) | instid1(SALU_CYCLE_1)
	v_lshl_or_b32 v42, v42, 4, v84
	ds_add_u32 v42, v96
	s_or_b32 exec_lo, exec_lo, s11
	s_mov_b32 s11, exec_lo
	v_cmpx_gt_u32_e64 s10, v70
	s_cbranch_execz .LBB1422_43
.LBB1422_59:                            ;   in Loop: Header=BB1422_16 Depth=2
	v_cmp_lt_i32_e32 vcc_lo, -1, v37
	v_cndmask_b32_e64 v42, -1, 0x80000000, vcc_lo
	s_delay_alu instid0(VALU_DEP_1) | instskip(NEXT) | instid1(VALU_DEP_1)
	v_xor_b32_e32 v42, v42, v37
	v_cmp_ne_u32_e32 vcc_lo, 0x7fffffff, v42
	v_cndmask_b32_e32 v42, 0x80000000, v42, vcc_lo
	s_delay_alu instid0(VALU_DEP_1) | instskip(NEXT) | instid1(VALU_DEP_1)
	v_lshrrev_b32_e32 v42, s48, v42
	v_and_b32_e32 v42, s58, v42
	s_delay_alu instid0(VALU_DEP_1) | instskip(SKIP_2) | instid1(SALU_CYCLE_1)
	v_lshl_or_b32 v42, v42, 4, v84
	ds_add_u32 v42, v96
	s_or_b32 exec_lo, exec_lo, s11
	s_mov_b32 s11, exec_lo
	v_cmpx_gt_u32_e64 s10, v71
	s_cbranch_execz .LBB1422_44
.LBB1422_60:                            ;   in Loop: Header=BB1422_16 Depth=2
	v_cmp_lt_i32_e32 vcc_lo, -1, v36
	v_cndmask_b32_e64 v42, -1, 0x80000000, vcc_lo
	s_delay_alu instid0(VALU_DEP_1) | instskip(NEXT) | instid1(VALU_DEP_1)
	v_xor_b32_e32 v42, v42, v36
	v_cmp_ne_u32_e32 vcc_lo, 0x7fffffff, v42
	v_cndmask_b32_e32 v42, 0x80000000, v42, vcc_lo
	s_delay_alu instid0(VALU_DEP_1) | instskip(NEXT) | instid1(VALU_DEP_1)
	v_lshrrev_b32_e32 v42, s48, v42
	v_and_b32_e32 v42, s58, v42
	s_delay_alu instid0(VALU_DEP_1) | instskip(SKIP_2) | instid1(SALU_CYCLE_1)
	v_lshl_or_b32 v42, v42, 4, v84
	ds_add_u32 v42, v96
	s_or_b32 exec_lo, exec_lo, s11
	s_mov_b32 s11, exec_lo
	v_cmpx_gt_u32_e64 s10, v72
	s_cbranch_execz .LBB1422_45
.LBB1422_61:                            ;   in Loop: Header=BB1422_16 Depth=2
	v_cmp_lt_i32_e32 vcc_lo, -1, v35
	v_cndmask_b32_e64 v42, -1, 0x80000000, vcc_lo
	s_delay_alu instid0(VALU_DEP_1) | instskip(NEXT) | instid1(VALU_DEP_1)
	v_xor_b32_e32 v42, v42, v35
	v_cmp_ne_u32_e32 vcc_lo, 0x7fffffff, v42
	v_cndmask_b32_e32 v42, 0x80000000, v42, vcc_lo
	s_delay_alu instid0(VALU_DEP_1) | instskip(NEXT) | instid1(VALU_DEP_1)
	v_lshrrev_b32_e32 v42, s48, v42
	v_and_b32_e32 v42, s58, v42
	s_delay_alu instid0(VALU_DEP_1) | instskip(SKIP_2) | instid1(SALU_CYCLE_1)
	v_lshl_or_b32 v42, v42, 4, v84
	ds_add_u32 v42, v96
	s_or_b32 exec_lo, exec_lo, s11
	s_mov_b32 s11, exec_lo
	v_cmpx_gt_u32_e64 s10, v73
	s_cbranch_execz .LBB1422_46
.LBB1422_62:                            ;   in Loop: Header=BB1422_16 Depth=2
	v_cmp_lt_i32_e32 vcc_lo, -1, v34
	v_cndmask_b32_e64 v42, -1, 0x80000000, vcc_lo
	s_delay_alu instid0(VALU_DEP_1) | instskip(NEXT) | instid1(VALU_DEP_1)
	v_xor_b32_e32 v42, v42, v34
	v_cmp_ne_u32_e32 vcc_lo, 0x7fffffff, v42
	v_cndmask_b32_e32 v42, 0x80000000, v42, vcc_lo
	s_delay_alu instid0(VALU_DEP_1) | instskip(NEXT) | instid1(VALU_DEP_1)
	v_lshrrev_b32_e32 v42, s48, v42
	v_and_b32_e32 v42, s58, v42
	s_delay_alu instid0(VALU_DEP_1) | instskip(SKIP_2) | instid1(SALU_CYCLE_1)
	v_lshl_or_b32 v42, v42, 4, v84
	ds_add_u32 v42, v96
	s_or_b32 exec_lo, exec_lo, s11
	s_mov_b32 s11, exec_lo
	v_cmpx_gt_u32_e64 s10, v74
	s_cbranch_execz .LBB1422_47
.LBB1422_63:                            ;   in Loop: Header=BB1422_16 Depth=2
	v_cmp_lt_i32_e32 vcc_lo, -1, v33
	v_cndmask_b32_e64 v42, -1, 0x80000000, vcc_lo
	s_delay_alu instid0(VALU_DEP_1) | instskip(NEXT) | instid1(VALU_DEP_1)
	v_xor_b32_e32 v42, v42, v33
	v_cmp_ne_u32_e32 vcc_lo, 0x7fffffff, v42
	v_cndmask_b32_e32 v42, 0x80000000, v42, vcc_lo
	s_delay_alu instid0(VALU_DEP_1) | instskip(NEXT) | instid1(VALU_DEP_1)
	v_lshrrev_b32_e32 v42, s48, v42
	v_and_b32_e32 v42, s58, v42
	s_delay_alu instid0(VALU_DEP_1) | instskip(SKIP_2) | instid1(SALU_CYCLE_1)
	v_lshl_or_b32 v42, v42, 4, v84
	ds_add_u32 v42, v96
	s_or_b32 exec_lo, exec_lo, s11
	s_mov_b32 s11, exec_lo
	v_cmpx_gt_u32_e64 s10, v75
	s_cbranch_execz .LBB1422_48
.LBB1422_64:                            ;   in Loop: Header=BB1422_16 Depth=2
	v_cmp_lt_i32_e32 vcc_lo, -1, v32
	v_cndmask_b32_e64 v42, -1, 0x80000000, vcc_lo
	s_delay_alu instid0(VALU_DEP_1) | instskip(NEXT) | instid1(VALU_DEP_1)
	v_xor_b32_e32 v42, v42, v32
	v_cmp_ne_u32_e32 vcc_lo, 0x7fffffff, v42
	v_cndmask_b32_e32 v42, 0x80000000, v42, vcc_lo
	s_delay_alu instid0(VALU_DEP_1) | instskip(NEXT) | instid1(VALU_DEP_1)
	v_lshrrev_b32_e32 v42, s48, v42
	v_and_b32_e32 v42, s58, v42
	s_delay_alu instid0(VALU_DEP_1) | instskip(SKIP_2) | instid1(SALU_CYCLE_1)
	v_lshl_or_b32 v42, v42, 4, v84
	ds_add_u32 v42, v96
	s_or_b32 exec_lo, exec_lo, s11
	s_mov_b32 s11, exec_lo
	v_cmpx_gt_u32_e64 s10, v76
	s_cbranch_execz .LBB1422_49
.LBB1422_65:                            ;   in Loop: Header=BB1422_16 Depth=2
	v_cmp_lt_i32_e32 vcc_lo, -1, v31
	v_cndmask_b32_e64 v42, -1, 0x80000000, vcc_lo
	s_delay_alu instid0(VALU_DEP_1) | instskip(NEXT) | instid1(VALU_DEP_1)
	v_xor_b32_e32 v42, v42, v31
	v_cmp_ne_u32_e32 vcc_lo, 0x7fffffff, v42
	v_cndmask_b32_e32 v42, 0x80000000, v42, vcc_lo
	s_delay_alu instid0(VALU_DEP_1) | instskip(NEXT) | instid1(VALU_DEP_1)
	v_lshrrev_b32_e32 v42, s48, v42
	v_and_b32_e32 v42, s58, v42
	s_delay_alu instid0(VALU_DEP_1) | instskip(SKIP_2) | instid1(SALU_CYCLE_1)
	v_lshl_or_b32 v42, v42, 4, v84
	ds_add_u32 v42, v96
	s_or_b32 exec_lo, exec_lo, s11
	s_mov_b32 s11, exec_lo
	v_cmpx_gt_u32_e64 s10, v77
	s_cbranch_execz .LBB1422_50
.LBB1422_66:                            ;   in Loop: Header=BB1422_16 Depth=2
	v_cmp_lt_i32_e32 vcc_lo, -1, v30
	v_cndmask_b32_e64 v42, -1, 0x80000000, vcc_lo
	s_delay_alu instid0(VALU_DEP_1) | instskip(NEXT) | instid1(VALU_DEP_1)
	v_xor_b32_e32 v42, v42, v30
	v_cmp_ne_u32_e32 vcc_lo, 0x7fffffff, v42
	v_cndmask_b32_e32 v42, 0x80000000, v42, vcc_lo
	s_delay_alu instid0(VALU_DEP_1) | instskip(NEXT) | instid1(VALU_DEP_1)
	v_lshrrev_b32_e32 v42, s48, v42
	v_and_b32_e32 v42, s58, v42
	s_delay_alu instid0(VALU_DEP_1) | instskip(SKIP_2) | instid1(SALU_CYCLE_1)
	v_lshl_or_b32 v42, v42, 4, v84
	ds_add_u32 v42, v96
	s_or_b32 exec_lo, exec_lo, s11
	s_mov_b32 s11, exec_lo
	v_cmpx_gt_u32_e64 s10, v78
	s_cbranch_execz .LBB1422_51
.LBB1422_67:                            ;   in Loop: Header=BB1422_16 Depth=2
	v_cmp_lt_i32_e32 vcc_lo, -1, v29
	v_cndmask_b32_e64 v42, -1, 0x80000000, vcc_lo
	s_delay_alu instid0(VALU_DEP_1) | instskip(NEXT) | instid1(VALU_DEP_1)
	v_xor_b32_e32 v42, v42, v29
	v_cmp_ne_u32_e32 vcc_lo, 0x7fffffff, v42
	v_cndmask_b32_e32 v42, 0x80000000, v42, vcc_lo
	s_delay_alu instid0(VALU_DEP_1) | instskip(NEXT) | instid1(VALU_DEP_1)
	v_lshrrev_b32_e32 v42, s48, v42
	v_and_b32_e32 v42, s58, v42
	s_delay_alu instid0(VALU_DEP_1) | instskip(SKIP_2) | instid1(SALU_CYCLE_1)
	v_lshl_or_b32 v42, v42, 4, v84
	ds_add_u32 v42, v96
	s_or_b32 exec_lo, exec_lo, s11
	s_mov_b32 s11, exec_lo
	v_cmpx_gt_u32_e64 s10, v79
	s_cbranch_execz .LBB1422_52
.LBB1422_68:                            ;   in Loop: Header=BB1422_16 Depth=2
	v_cmp_lt_i32_e32 vcc_lo, -1, v28
	v_cndmask_b32_e64 v42, -1, 0x80000000, vcc_lo
	s_delay_alu instid0(VALU_DEP_1) | instskip(NEXT) | instid1(VALU_DEP_1)
	v_xor_b32_e32 v42, v42, v28
	v_cmp_ne_u32_e32 vcc_lo, 0x7fffffff, v42
	v_cndmask_b32_e32 v42, 0x80000000, v42, vcc_lo
	s_delay_alu instid0(VALU_DEP_1) | instskip(NEXT) | instid1(VALU_DEP_1)
	v_lshrrev_b32_e32 v42, s48, v42
	v_and_b32_e32 v42, s58, v42
	s_delay_alu instid0(VALU_DEP_1) | instskip(SKIP_2) | instid1(SALU_CYCLE_1)
	v_lshl_or_b32 v42, v42, 4, v84
	ds_add_u32 v42, v96
	s_or_b32 exec_lo, exec_lo, s11
	s_mov_b32 s11, exec_lo
	v_cmpx_gt_u32_e64 s10, v80
	s_cbranch_execz .LBB1422_53
.LBB1422_69:                            ;   in Loop: Header=BB1422_16 Depth=2
	v_cmp_lt_i32_e32 vcc_lo, -1, v27
	v_cndmask_b32_e64 v42, -1, 0x80000000, vcc_lo
	s_delay_alu instid0(VALU_DEP_1) | instskip(NEXT) | instid1(VALU_DEP_1)
	v_xor_b32_e32 v42, v42, v27
	v_cmp_ne_u32_e32 vcc_lo, 0x7fffffff, v42
	v_cndmask_b32_e32 v42, 0x80000000, v42, vcc_lo
	s_delay_alu instid0(VALU_DEP_1) | instskip(NEXT) | instid1(VALU_DEP_1)
	v_lshrrev_b32_e32 v42, s48, v42
	v_and_b32_e32 v42, s58, v42
	s_delay_alu instid0(VALU_DEP_1) | instskip(SKIP_2) | instid1(SALU_CYCLE_1)
	v_lshl_or_b32 v42, v42, 4, v84
	ds_add_u32 v42, v96
	s_or_b32 exec_lo, exec_lo, s11
	s_mov_b32 s11, exec_lo
	v_cmpx_gt_u32_e64 s10, v81
	s_cbranch_execz .LBB1422_54
.LBB1422_70:                            ;   in Loop: Header=BB1422_16 Depth=2
	v_cmp_lt_i32_e32 vcc_lo, -1, v26
	v_cndmask_b32_e64 v42, -1, 0x80000000, vcc_lo
	s_delay_alu instid0(VALU_DEP_1) | instskip(NEXT) | instid1(VALU_DEP_1)
	v_xor_b32_e32 v42, v42, v26
	v_cmp_ne_u32_e32 vcc_lo, 0x7fffffff, v42
	v_cndmask_b32_e32 v42, 0x80000000, v42, vcc_lo
	s_delay_alu instid0(VALU_DEP_1) | instskip(NEXT) | instid1(VALU_DEP_1)
	v_lshrrev_b32_e32 v42, s48, v42
	v_and_b32_e32 v42, s58, v42
	s_delay_alu instid0(VALU_DEP_1)
	v_lshl_or_b32 v42, v42, 4, v84
	ds_add_u32 v42, v96
	s_or_b32 exec_lo, exec_lo, s11
	v_cmp_gt_u32_e32 vcc_lo, s10, v82
	s_and_saveexec_b32 s10, vcc_lo
	s_cbranch_execz .LBB1422_15
.LBB1422_71:                            ;   in Loop: Header=BB1422_16 Depth=2
	v_cmp_lt_i32_e32 vcc_lo, -1, v25
	v_cndmask_b32_e64 v42, -1, 0x80000000, vcc_lo
	s_delay_alu instid0(VALU_DEP_1) | instskip(NEXT) | instid1(VALU_DEP_1)
	v_xor_b32_e32 v42, v42, v25
	v_cmp_ne_u32_e32 vcc_lo, 0x7fffffff, v42
	v_cndmask_b32_e32 v42, 0x80000000, v42, vcc_lo
	s_delay_alu instid0(VALU_DEP_1) | instskip(NEXT) | instid1(VALU_DEP_1)
	v_lshrrev_b32_e32 v42, s48, v42
	v_and_b32_e32 v42, s58, v42
	s_delay_alu instid0(VALU_DEP_1)
	v_lshl_or_b32 v42, v42, 4, v84
	ds_add_u32 v42, v96
	s_branch .LBB1422_15
.LBB1422_72:                            ;   in Loop: Header=BB1422_16 Depth=2
	global_load_b32 v41, v2, s[10:11] scale_offset
	s_wait_xcnt 0x0
	s_or_b32 exec_lo, exec_lo, s13
	s_delay_alu instid0(SALU_CYCLE_1)
	s_mov_b32 s13, exec_lo
	v_cmpx_gt_u32_e64 s9, v3
	s_cbranch_execz .LBB1422_21
.LBB1422_73:                            ;   in Loop: Header=BB1422_16 Depth=2
	global_load_b32 v40, v2, s[10:11] offset:1024 scale_offset
	s_wait_xcnt 0x0
	s_or_b32 exec_lo, exec_lo, s13
	s_delay_alu instid0(SALU_CYCLE_1)
	s_mov_b32 s13, exec_lo
	v_cmpx_gt_u32_e64 s9, v68
	s_cbranch_execz .LBB1422_22
.LBB1422_74:                            ;   in Loop: Header=BB1422_16 Depth=2
	global_load_b32 v39, v2, s[10:11] offset:2048 scale_offset
	s_wait_xcnt 0x0
	s_or_b32 exec_lo, exec_lo, s13
	s_delay_alu instid0(SALU_CYCLE_1)
	s_mov_b32 s13, exec_lo
	v_cmpx_gt_u32_e64 s9, v69
	s_cbranch_execz .LBB1422_23
.LBB1422_75:                            ;   in Loop: Header=BB1422_16 Depth=2
	global_load_b32 v38, v2, s[10:11] offset:3072 scale_offset
	s_wait_xcnt 0x0
	s_or_b32 exec_lo, exec_lo, s13
	s_delay_alu instid0(SALU_CYCLE_1)
	s_mov_b32 s13, exec_lo
	v_cmpx_gt_u32_e64 s9, v70
	s_cbranch_execz .LBB1422_24
.LBB1422_76:                            ;   in Loop: Header=BB1422_16 Depth=2
	global_load_b32 v37, v2, s[10:11] offset:4096 scale_offset
	s_wait_xcnt 0x0
	s_or_b32 exec_lo, exec_lo, s13
	s_delay_alu instid0(SALU_CYCLE_1)
	s_mov_b32 s13, exec_lo
	v_cmpx_gt_u32_e64 s9, v71
	s_cbranch_execz .LBB1422_25
.LBB1422_77:                            ;   in Loop: Header=BB1422_16 Depth=2
	global_load_b32 v36, v2, s[10:11] offset:5120 scale_offset
	s_wait_xcnt 0x0
	s_or_b32 exec_lo, exec_lo, s13
	s_delay_alu instid0(SALU_CYCLE_1)
	s_mov_b32 s13, exec_lo
	v_cmpx_gt_u32_e64 s9, v72
	s_cbranch_execz .LBB1422_26
.LBB1422_78:                            ;   in Loop: Header=BB1422_16 Depth=2
	global_load_b32 v35, v2, s[10:11] offset:6144 scale_offset
	s_wait_xcnt 0x0
	s_or_b32 exec_lo, exec_lo, s13
	s_delay_alu instid0(SALU_CYCLE_1)
	s_mov_b32 s13, exec_lo
	v_cmpx_gt_u32_e64 s9, v73
	s_cbranch_execz .LBB1422_27
.LBB1422_79:                            ;   in Loop: Header=BB1422_16 Depth=2
	global_load_b32 v34, v2, s[10:11] offset:7168 scale_offset
	s_wait_xcnt 0x0
	s_or_b32 exec_lo, exec_lo, s13
	s_delay_alu instid0(SALU_CYCLE_1)
	s_mov_b32 s13, exec_lo
	v_cmpx_gt_u32_e64 s9, v74
	s_cbranch_execz .LBB1422_28
.LBB1422_80:                            ;   in Loop: Header=BB1422_16 Depth=2
	global_load_b32 v33, v2, s[10:11] offset:8192 scale_offset
	s_wait_xcnt 0x0
	s_or_b32 exec_lo, exec_lo, s13
	s_delay_alu instid0(SALU_CYCLE_1)
	s_mov_b32 s13, exec_lo
	v_cmpx_gt_u32_e64 s9, v75
	s_cbranch_execz .LBB1422_29
.LBB1422_81:                            ;   in Loop: Header=BB1422_16 Depth=2
	global_load_b32 v32, v2, s[10:11] offset:9216 scale_offset
	s_wait_xcnt 0x0
	s_or_b32 exec_lo, exec_lo, s13
	s_delay_alu instid0(SALU_CYCLE_1)
	s_mov_b32 s13, exec_lo
	v_cmpx_gt_u32_e64 s9, v76
	s_cbranch_execz .LBB1422_30
.LBB1422_82:                            ;   in Loop: Header=BB1422_16 Depth=2
	global_load_b32 v31, v2, s[10:11] offset:10240 scale_offset
	s_wait_xcnt 0x0
	s_or_b32 exec_lo, exec_lo, s13
	s_delay_alu instid0(SALU_CYCLE_1)
	s_mov_b32 s13, exec_lo
	v_cmpx_gt_u32_e64 s9, v77
	s_cbranch_execz .LBB1422_31
.LBB1422_83:                            ;   in Loop: Header=BB1422_16 Depth=2
	global_load_b32 v30, v2, s[10:11] offset:11264 scale_offset
	s_wait_xcnt 0x0
	s_or_b32 exec_lo, exec_lo, s13
	s_delay_alu instid0(SALU_CYCLE_1)
	s_mov_b32 s13, exec_lo
	v_cmpx_gt_u32_e64 s9, v78
	s_cbranch_execz .LBB1422_32
.LBB1422_84:                            ;   in Loop: Header=BB1422_16 Depth=2
	global_load_b32 v29, v2, s[10:11] offset:12288 scale_offset
	s_wait_xcnt 0x0
	s_or_b32 exec_lo, exec_lo, s13
	s_delay_alu instid0(SALU_CYCLE_1)
	s_mov_b32 s13, exec_lo
	v_cmpx_gt_u32_e64 s9, v79
	s_cbranch_execz .LBB1422_33
.LBB1422_85:                            ;   in Loop: Header=BB1422_16 Depth=2
	global_load_b32 v28, v2, s[10:11] offset:13312 scale_offset
	s_wait_xcnt 0x0
	s_or_b32 exec_lo, exec_lo, s13
	s_delay_alu instid0(SALU_CYCLE_1)
	s_mov_b32 s13, exec_lo
	v_cmpx_gt_u32_e64 s9, v80
	s_cbranch_execz .LBB1422_34
.LBB1422_86:                            ;   in Loop: Header=BB1422_16 Depth=2
	global_load_b32 v27, v2, s[10:11] offset:14336 scale_offset
	s_wait_xcnt 0x0
	s_or_b32 exec_lo, exec_lo, s13
	s_delay_alu instid0(SALU_CYCLE_1)
	s_mov_b32 s13, exec_lo
	v_cmpx_gt_u32_e64 s9, v81
	s_cbranch_execz .LBB1422_35
.LBB1422_87:                            ;   in Loop: Header=BB1422_16 Depth=2
	global_load_b32 v26, v2, s[10:11] offset:15360 scale_offset
	s_wait_xcnt 0x0
	s_or_b32 exec_lo, exec_lo, s13
	s_delay_alu instid0(SALU_CYCLE_1)
	s_mov_b32 s13, exec_lo
	v_cmpx_gt_u32_e64 s9, v82
	s_cbranch_execnz .LBB1422_36
	s_branch .LBB1422_37
.LBB1422_88:                            ;   in Loop: Header=BB1422_12 Depth=1
	v_mov_b32_e32 v25, 0
	s_wait_dscnt 0x0
	s_barrier_signal -1
	s_barrier_wait -1
	s_and_saveexec_b32 s9, s0
	s_cbranch_execz .LBB1422_90
; %bb.89:                               ;   in Loop: Header=BB1422_12 Depth=1
	ds_load_2addr_b64 v[26:29], v85 offset1:1
	s_wait_dscnt 0x0
	v_add_nc_u32_e32 v25, v27, v26
	s_delay_alu instid0(VALU_DEP_1)
	v_add3_u32 v25, v25, v28, v29
.LBB1422_90:                            ;   in Loop: Header=BB1422_12 Depth=1
	s_or_b32 exec_lo, exec_lo, s9
	s_delay_alu instid0(VALU_DEP_1)
	v_mov_b32_dpp v26, v25 row_shr:1 row_mask:0xf bank_mask:0xf
	v_cmp_eq_u32_e64 s9, 0, v97
	v_cmp_lt_u32_e64 s10, 1, v97
	v_cmp_lt_u32_e64 s11, 3, v97
	v_cmp_lt_u32_e64 s12, 7, v97
	v_cmp_eq_u32_e64 s13, 0, v99
	v_cndmask_b32_e64 v26, v26, 0, s9
	s_delay_alu instid0(VALU_DEP_1) | instskip(NEXT) | instid1(VALU_DEP_1)
	v_add_nc_u32_e32 v25, v26, v25
	v_mov_b32_dpp v26, v25 row_shr:2 row_mask:0xf bank_mask:0xf
	s_delay_alu instid0(VALU_DEP_1) | instskip(NEXT) | instid1(VALU_DEP_1)
	v_cndmask_b32_e64 v26, 0, v26, s10
	v_add_nc_u32_e32 v25, v25, v26
	s_delay_alu instid0(VALU_DEP_1) | instskip(NEXT) | instid1(VALU_DEP_1)
	v_mov_b32_dpp v26, v25 row_shr:4 row_mask:0xf bank_mask:0xf
	v_cndmask_b32_e64 v26, 0, v26, s11
	s_delay_alu instid0(VALU_DEP_1) | instskip(NEXT) | instid1(VALU_DEP_1)
	v_add_nc_u32_e32 v25, v25, v26
	v_mov_b32_dpp v26, v25 row_shr:8 row_mask:0xf bank_mask:0xf
	s_delay_alu instid0(VALU_DEP_1) | instskip(NEXT) | instid1(VALU_DEP_1)
	v_cndmask_b32_e64 v26, 0, v26, s12
	v_add_nc_u32_e32 v25, v25, v26
	ds_swizzle_b32 v26, v25 offset:swizzle(BROADCAST,32,15)
	s_wait_dscnt 0x0
	v_and_b32_e32 v26, v98, v26
	s_delay_alu instid0(VALU_DEP_1)
	v_add_nc_u32_e32 v25, v25, v26
	s_and_saveexec_b32 s14, s1
; %bb.91:                               ;   in Loop: Header=BB1422_12 Depth=1
	ds_store_b32 v86, v25
; %bb.92:                               ;   in Loop: Header=BB1422_12 Depth=1
	s_or_b32 exec_lo, exec_lo, s14
	s_wait_dscnt 0x0
	s_barrier_signal -1
	s_barrier_wait -1
	s_and_saveexec_b32 s14, s4
	s_cbranch_execz .LBB1422_94
; %bb.93:                               ;   in Loop: Header=BB1422_12 Depth=1
	ds_load_b32 v26, v87
	v_cmp_ne_u32_e32 vcc_lo, 0, v100
	s_wait_dscnt 0x0
	v_mov_b32_dpp v27, v26 row_shr:1 row_mask:0xf bank_mask:0xf
	s_delay_alu instid0(VALU_DEP_1) | instskip(SKIP_1) | instid1(VALU_DEP_2)
	v_cndmask_b32_e32 v27, 0, v27, vcc_lo
	v_cmp_lt_u32_e32 vcc_lo, 1, v100
	v_add_nc_u32_e32 v26, v27, v26
	s_delay_alu instid0(VALU_DEP_1) | instskip(NEXT) | instid1(VALU_DEP_1)
	v_mov_b32_dpp v27, v26 row_shr:2 row_mask:0xf bank_mask:0xf
	v_cndmask_b32_e32 v27, 0, v27, vcc_lo
	s_delay_alu instid0(VALU_DEP_1)
	v_add_nc_u32_e32 v26, v26, v27
	ds_store_b32 v87, v26
.LBB1422_94:                            ;   in Loop: Header=BB1422_12 Depth=1
	s_or_b32 exec_lo, exec_lo, s14
	v_mov_b32_e32 v26, 0
	s_wait_dscnt 0x0
	s_barrier_signal -1
	s_barrier_wait -1
	s_and_saveexec_b32 s14, s5
; %bb.95:                               ;   in Loop: Header=BB1422_12 Depth=1
	ds_load_b32 v26, v88
; %bb.96:                               ;   in Loop: Header=BB1422_12 Depth=1
	s_or_b32 exec_lo, exec_lo, s14
	v_cmp_gt_i32_e32 vcc_lo, 0, v102
	s_wait_dscnt 0x0
	s_barrier_signal -1
	s_barrier_wait -1
	v_cndmask_b32_e32 v27, v102, v95, vcc_lo
	s_delay_alu instid0(VALU_DEP_1)
	v_dual_add_nc_u32 v25, v26, v25 :: v_dual_lshlrev_b32 v119, 2, v27
	ds_bpermute_b32 v25, v119, v25
	s_and_saveexec_b32 s14, s0
	s_cbranch_execz .LBB1422_98
; %bb.97:                               ;   in Loop: Header=BB1422_12 Depth=1
	s_wait_dscnt 0x0
	v_cndmask_b32_e64 v25, v25, v26, s8
	s_delay_alu instid0(VALU_DEP_1)
	v_add_nc_u32_e32 v25, s55, v25
	ds_store_b32 v4, v25
.LBB1422_98:                            ;   in Loop: Header=BB1422_12 Depth=1
	s_or_b32 exec_lo, exec_lo, s14
	s_clause 0x1
	s_load_b32 s14, s[52:53], 0x4
	s_load_b32 s16, s[52:53], 0xc
	s_mov_b32 s59, s57
                                        ; implicit-def: $vgpr32_vgpr33
                                        ; implicit-def: $vgpr34_vgpr35
                                        ; implicit-def: $vgpr36_vgpr37
                                        ; implicit-def: $vgpr38_vgpr39
                                        ; implicit-def: $vgpr40_vgpr41
                                        ; implicit-def: $vgpr42_vgpr43
                                        ; implicit-def: $vgpr44_vgpr45
                                        ; implicit-def: $vgpr46_vgpr47
                                        ; implicit-def: $vgpr48_vgpr49
                                        ; implicit-def: $vgpr50_vgpr51
                                        ; implicit-def: $vgpr52_vgpr53
                                        ; implicit-def: $vgpr54_vgpr55
                                        ; implicit-def: $vgpr56_vgpr57
                                        ; implicit-def: $vgpr58_vgpr59
                                        ; implicit-def: $vgpr60_vgpr61
                                        ; implicit-def: $vgpr62_vgpr63
                                        ; implicit-def: $vgpr120
                                        ; implicit-def: $vgpr121
                                        ; implicit-def: $vgpr122
                                        ; implicit-def: $vgpr123
                                        ; implicit-def: $vgpr124
                                        ; implicit-def: $vgpr125
                                        ; implicit-def: $vgpr126
                                        ; implicit-def: $vgpr127
                                        ; implicit-def: $vgpr128
                                        ; implicit-def: $vgpr129
                                        ; implicit-def: $vgpr130
                                        ; implicit-def: $vgpr131
                                        ; implicit-def: $vgpr132
                                        ; implicit-def: $vgpr134
                                        ; implicit-def: $vgpr135
                                        ; implicit-def: $vgpr136
                                        ; implicit-def: $vgpr137
                                        ; implicit-def: $vgpr133
                                        ; implicit-def: $vgpr138
	s_wait_kmcnt 0x0
	s_cmp_lt_u32 s35, s14
	s_cselect_b32 s42, 14, 20
	s_delay_alu instid0(SALU_CYCLE_1)
	s_add_nc_u64 s[14:15], s[52:53], s[42:43]
	s_mov_b32 s42, s55
	s_load_u16 s14, s[14:15], 0x0
	s_wait_xcnt 0x0
	v_cmp_lt_u32_e64 s15, 1, v103
	s_wait_dscnt 0x0
	s_wait_kmcnt 0x0
	v_mad_u32_u24 v25, v89, s14, v91
	s_and_b32 s14, s16, 0xffff
	v_cmp_lt_u32_e64 s16, 3, v103
	s_delay_alu instid0(VALU_DEP_2) | instskip(SKIP_2) | instid1(VALU_DEP_3)
	v_mad_u32 v26, v25, s14, v2
	v_mov_b32_e32 v25, v1
	v_cmp_eq_u32_e64 s14, 0, v103
	v_lshrrev_b32_e32 v30, 3, v26
	v_add_nc_u64_e32 v[26:27], v[6:7], v[0:1]
	s_delay_alu instid0(VALU_DEP_4) | instskip(NEXT) | instid1(VALU_DEP_3)
	v_add_nc_u64_e32 v[28:29], v[8:9], v[24:25]
	v_and_b32_e32 v25, 0x1ffffffc, v30
                                        ; implicit-def: $vgpr30_vgpr31
	s_branch .LBB1422_100
.LBB1422_99:                            ;   in Loop: Header=BB1422_100 Depth=2
	s_or_b32 exec_lo, exec_lo, s17
	s_addk_co_i32 s59, 0xef00
	s_cmp_lt_u32 s60, s54
	s_mov_b32 s42, s60
	s_cbranch_scc0 .LBB1422_322
.LBB1422_100:                           ;   Parent Loop BB1422_12 Depth=1
                                        ; =>  This Inner Loop Header: Depth=2
	s_add_co_i32 s60, s42, 0x1100
	s_delay_alu instid0(SALU_CYCLE_1)
	s_cmp_gt_u32 s60, s54
	s_cbranch_scc1 .LBB1422_102
; %bb.101:                              ;   in Loop: Header=BB1422_100 Depth=2
	s_delay_alu instid0(VALU_DEP_2)
	v_lshl_add_u64 v[64:65], s[42:43], 2, v[28:29]
	s_mov_b32 s17, -1
	s_clause 0xf
	global_load_b32 v140, v[64:65], off
	global_load_b32 v142, v[64:65], off offset:128
	global_load_b32 v144, v[64:65], off offset:256
	;; [unrolled: 1-line block ×15, first 2 shown]
	s_movk_i32 s18, 0x1100
	s_cbranch_execz .LBB1422_103
	s_branch .LBB1422_136
.LBB1422_102:                           ;   in Loop: Header=BB1422_100 Depth=2
	s_mov_b32 s17, 0
                                        ; implicit-def: $vgpr140
                                        ; implicit-def: $vgpr142
                                        ; implicit-def: $vgpr144
                                        ; implicit-def: $vgpr148
                                        ; implicit-def: $vgpr153
                                        ; implicit-def: $vgpr158
                                        ; implicit-def: $vgpr163
                                        ; implicit-def: $vgpr168
                                        ; implicit-def: $vgpr173
                                        ; implicit-def: $vgpr171
                                        ; implicit-def: $vgpr166
                                        ; implicit-def: $vgpr161
                                        ; implicit-def: $vgpr157
                                        ; implicit-def: $vgpr152
                                        ; implicit-def: $vgpr67
                                        ; implicit-def: $vgpr66
	s_movk_i32 s18, 0x1100
.LBB1422_103:                           ;   in Loop: Header=BB1422_100 Depth=2
	s_wait_xcnt 0x0
	v_lshl_add_u64 v[64:65], s[42:43], 2, v[28:29]
	s_wait_loadcnt 0xe
	v_bfrev_b32_e32 v142, -2
	v_bfrev_b32_e32 v140, -2
	s_mov_b32 s17, exec_lo
	v_cmpx_gt_u32_e64 s59, v101
	s_cbranch_execz .LBB1422_105
; %bb.104:                              ;   in Loop: Header=BB1422_100 Depth=2
	global_load_b32 v140, v[64:65], off
.LBB1422_105:                           ;   in Loop: Header=BB1422_100 Depth=2
	s_wait_xcnt 0x0
	s_or_b32 exec_lo, exec_lo, s17
	s_delay_alu instid0(SALU_CYCLE_1)
	s_mov_b32 s17, exec_lo
	v_cmpx_gt_u32_e64 s59, v104
	s_cbranch_execz .LBB1422_107
; %bb.106:                              ;   in Loop: Header=BB1422_100 Depth=2
	global_load_b32 v142, v[64:65], off offset:128
.LBB1422_107:                           ;   in Loop: Header=BB1422_100 Depth=2
	s_wait_xcnt 0x0
	s_or_b32 exec_lo, exec_lo, s17
	s_wait_loadcnt 0xc
	v_bfrev_b32_e32 v148, -2
	v_bfrev_b32_e32 v144, -2
	s_mov_b32 s17, exec_lo
	v_cmpx_gt_u32_e64 s59, v105
	s_cbranch_execz .LBB1422_109
; %bb.108:                              ;   in Loop: Header=BB1422_100 Depth=2
	global_load_b32 v144, v[64:65], off offset:256
.LBB1422_109:                           ;   in Loop: Header=BB1422_100 Depth=2
	s_wait_xcnt 0x0
	s_or_b32 exec_lo, exec_lo, s17
	s_delay_alu instid0(SALU_CYCLE_1)
	s_mov_b32 s17, exec_lo
	v_cmpx_gt_u32_e64 s59, v106
	s_cbranch_execz .LBB1422_111
; %bb.110:                              ;   in Loop: Header=BB1422_100 Depth=2
	global_load_b32 v148, v[64:65], off offset:384
.LBB1422_111:                           ;   in Loop: Header=BB1422_100 Depth=2
	s_wait_xcnt 0x0
	s_or_b32 exec_lo, exec_lo, s17
	s_wait_loadcnt 0xa
	v_bfrev_b32_e32 v158, -2
	v_bfrev_b32_e32 v153, -2
	s_mov_b32 s17, exec_lo
	v_cmpx_gt_u32_e64 s59, v107
	s_cbranch_execz .LBB1422_113
; %bb.112:                              ;   in Loop: Header=BB1422_100 Depth=2
	global_load_b32 v153, v[64:65], off offset:512
.LBB1422_113:                           ;   in Loop: Header=BB1422_100 Depth=2
	;; [unrolled: 20-line block ×7, first 2 shown]
	s_wait_xcnt 0x0
	s_or_b32 exec_lo, exec_lo, s17
	s_delay_alu instid0(SALU_CYCLE_1)
	s_mov_b32 s17, exec_lo
	v_cmpx_gt_u32_e64 s59, v118
	s_cbranch_execz .LBB1422_135
; %bb.134:                              ;   in Loop: Header=BB1422_100 Depth=2
	global_load_b32 v66, v[64:65], off offset:1920
.LBB1422_135:                           ;   in Loop: Header=BB1422_100 Depth=2
	s_wait_xcnt 0x0
	s_or_b32 exec_lo, exec_lo, s17
	v_cmp_gt_u32_e64 s17, s59, v5
	s_sub_co_i32 s18, s54, s42
.LBB1422_136:                           ;   in Loop: Header=BB1422_100 Depth=2
	s_wait_xcnt 0x0
	v_bfrev_b32_e32 v64, -2
	v_mov_b32_e32 v139, s59
	s_and_saveexec_b32 s19, s17
	s_cbranch_execz .LBB1422_138
; %bb.137:                              ;   in Loop: Header=BB1422_100 Depth=2
	v_lshl_add_u64 v[64:65], s[42:43], 2, v[28:29]
	v_mov_b32_e32 v139, s18
	global_load_b32 v64, v[64:65], off offset:2048
.LBB1422_138:                           ;   in Loop: Header=BB1422_100 Depth=2
	s_wait_xcnt 0x0
	s_or_b32 exec_lo, exec_lo, s19
	s_wait_loadcnt 0xf
	v_cmp_lt_i32_e32 vcc_lo, -1, v140
	ds_store_2addr_b32 v90, v1, v1 offset0:136 offset1:137
	ds_store_2addr_b32 v90, v1, v1 offset0:138 offset1:139
	ds_store_b32 v90, v1 offset:560
	s_wait_loadcnt_dscnt 0x0
	s_barrier_signal -1
	s_barrier_wait -1
	v_cndmask_b32_e64 v65, -1, 0x80000000, vcc_lo
	; wave barrier
	s_delay_alu instid0(VALU_DEP_1) | instskip(NEXT) | instid1(VALU_DEP_1)
	v_xor_b32_e32 v140, v65, v140
	v_cmp_ne_u32_e32 vcc_lo, 0x7fffffff, v140
	v_cndmask_b32_e32 v65, 0x80000000, v140, vcc_lo
	s_delay_alu instid0(VALU_DEP_1) | instskip(NEXT) | instid1(VALU_DEP_1)
	v_lshrrev_b32_e32 v65, s48, v65
	v_bitop3_b32 v141, v65, 1, s58 bitop3:0x80
	v_and_b32_e32 v143, s58, v65
	s_delay_alu instid0(VALU_DEP_2) | instskip(NEXT) | instid1(VALU_DEP_1)
	v_add_co_u32 v65, s17, v141, -1
	v_cndmask_b32_e64 v141, 0, 1, s17
	s_delay_alu instid0(VALU_DEP_3) | instskip(SKIP_1) | instid1(VALU_DEP_3)
	v_dual_lshlrev_b32 v145, 30, v143 :: v_dual_lshlrev_b32 v147, 28, v143
	v_lshlrev_b32_e32 v146, 29, v143
	v_cmp_ne_u32_e32 vcc_lo, 0, v141
	s_delay_alu instid0(VALU_DEP_3) | instskip(SKIP_1) | instid1(VALU_DEP_4)
	v_cmp_gt_i32_e64 s17, 0, v145
	v_not_b32_e32 v141, v145
	v_cmp_gt_i32_e64 s18, 0, v146
	v_not_b32_e32 v145, v146
	v_not_b32_e32 v146, v147
	v_cmp_gt_i32_e64 s19, 0, v147
	v_ashrrev_i32_e32 v141, 31, v141
	v_bitop3_b32 v65, vcc_lo, exec_lo, v65 bitop3:0x48
	s_delay_alu instid0(VALU_DEP_4) | instskip(SKIP_2) | instid1(VALU_DEP_3)
	v_dual_ashrrev_i32 v146, 31, v146 :: v_dual_lshlrev_b32 v149, 27, v143
	v_dual_lshlrev_b32 v150, 26, v143 :: v_dual_lshlrev_b32 v151, 25, v143
	v_mul_u32_u24_e32 v143, 36, v143
	v_xor_b32_e32 v146, s19, v146
	s_delay_alu instid0(VALU_DEP_4)
	v_not_b32_e32 v147, v149
	v_ashrrev_i32_e32 v145, 31, v145
	v_cmp_gt_i32_e64 s20, 0, v149
	v_cmp_gt_i32_e64 s21, 0, v150
	v_not_b32_e32 v149, v150
	v_not_b32_e32 v150, v151
	v_dual_ashrrev_i32 v147, 31, v147 :: v_dual_bitop2_b32 v141, s17, v141 bitop3:0x14
	v_dual_add_nc_u32 v143, v25, v143 :: v_dual_bitop2_b32 v145, s18, v145 bitop3:0x14
	v_cmp_gt_i32_e64 s22, 0, v151
	s_delay_alu instid0(VALU_DEP_4) | instskip(NEXT) | instid1(VALU_DEP_4)
	v_dual_ashrrev_i32 v149, 31, v149 :: v_dual_ashrrev_i32 v150, 31, v150
	v_xor_b32_e32 v147, s20, v147
	s_delay_alu instid0(VALU_DEP_4) | instskip(NEXT) | instid1(VALU_DEP_3)
	v_bitop3_b32 v65, v65, v145, v141 bitop3:0x80
	v_xor_b32_e32 v141, s21, v149
	s_delay_alu instid0(VALU_DEP_4) | instskip(NEXT) | instid1(VALU_DEP_3)
	v_xor_b32_e32 v145, s22, v150
	v_bitop3_b32 v65, v65, v147, v146 bitop3:0x80
	s_delay_alu instid0(VALU_DEP_1) | instskip(NEXT) | instid1(VALU_DEP_1)
	v_bitop3_b32 v65, v65, v145, v141 bitop3:0x80
	v_mbcnt_lo_u32_b32 v141, v65, 0
	v_cmp_ne_u32_e64 s17, 0, v65
	s_delay_alu instid0(VALU_DEP_2) | instskip(SKIP_1) | instid1(SALU_CYCLE_1)
	v_cmp_eq_u32_e32 vcc_lo, 0, v141
	s_and_b32 s18, s17, vcc_lo
	s_and_saveexec_b32 s17, s18
; %bb.139:                              ;   in Loop: Header=BB1422_100 Depth=2
	v_bcnt_u32_b32 v65, v65, 0
	ds_store_b32 v143, v65 offset:544
; %bb.140:                              ;   in Loop: Header=BB1422_100 Depth=2
	s_or_b32 exec_lo, exec_lo, s17
	v_cmp_lt_i32_e32 vcc_lo, -1, v142
	; wave barrier
	v_cndmask_b32_e64 v65, -1, 0x80000000, vcc_lo
	s_delay_alu instid0(VALU_DEP_1) | instskip(NEXT) | instid1(VALU_DEP_1)
	v_xor_b32_e32 v142, v65, v142
	v_cmp_ne_u32_e32 vcc_lo, 0x7fffffff, v142
	v_cndmask_b32_e32 v65, 0x80000000, v142, vcc_lo
	s_delay_alu instid0(VALU_DEP_1) | instskip(NEXT) | instid1(VALU_DEP_1)
	v_lshrrev_b32_e32 v65, s48, v65
	v_bitop3_b32 v145, v65, 1, s58 bitop3:0x80
	v_and_b32_e32 v147, s58, v65
	s_delay_alu instid0(VALU_DEP_2) | instskip(NEXT) | instid1(VALU_DEP_1)
	v_add_co_u32 v65, s17, v145, -1
	v_cndmask_b32_e64 v145, 0, 1, s17
	s_delay_alu instid0(VALU_DEP_3) | instskip(NEXT) | instid1(VALU_DEP_2)
	v_dual_lshlrev_b32 v146, 30, v147 :: v_dual_lshlrev_b32 v149, 29, v147
	v_cmp_ne_u32_e32 vcc_lo, 0, v145
	s_delay_alu instid0(VALU_DEP_2) | instskip(SKIP_1) | instid1(VALU_DEP_4)
	v_cmp_gt_i32_e64 s17, 0, v146
	v_not_b32_e32 v145, v146
	v_not_b32_e32 v146, v149
	v_bitop3_b32 v65, vcc_lo, exec_lo, v65 bitop3:0x48
	s_delay_alu instid0(VALU_DEP_2) | instskip(SKIP_3) | instid1(VALU_DEP_3)
	v_dual_ashrrev_i32 v145, 31, v145 :: v_dual_ashrrev_i32 v146, 31, v146
	v_dual_lshlrev_b32 v150, 28, v147 :: v_dual_lshlrev_b32 v151, 27, v147
	v_dual_lshlrev_b32 v154, 26, v147 :: v_dual_lshlrev_b32 v155, 25, v147
	v_cmp_gt_i32_e64 s18, 0, v149
	v_cmp_gt_i32_e64 s19, 0, v150
	v_not_b32_e32 v149, v150
	v_not_b32_e32 v150, v151
	v_cmp_gt_i32_e64 s20, 0, v151
	v_cmp_gt_i32_e64 s21, 0, v154
	v_not_b32_e32 v151, v154
	v_not_b32_e32 v154, v155
	v_dual_ashrrev_i32 v149, 31, v149 :: v_dual_ashrrev_i32 v150, 31, v150
	s_delay_alu instid0(VALU_DEP_3) | instskip(SKIP_2) | instid1(VALU_DEP_4)
	v_dual_ashrrev_i32 v151, 31, v151 :: v_dual_bitop2_b32 v145, s17, v145 bitop3:0x14
	v_xor_b32_e32 v146, s18, v146
	v_cmp_gt_i32_e64 s22, 0, v155
	v_dual_ashrrev_i32 v154, 31, v154 :: v_dual_bitop2_b32 v149, s19, v149 bitop3:0x14
	v_xor_b32_e32 v150, s20, v150
	s_delay_alu instid0(VALU_DEP_4)
	v_bitop3_b32 v65, v65, v146, v145 bitop3:0x80
	v_mad_u32_u24 v145, v147, 36, v25
	v_xor_b32_e32 v146, s21, v151
	v_xor_b32_e32 v151, s22, v154
	v_mul_u32_u24_e32 v147, 36, v147
	v_bitop3_b32 v65, v65, v150, v149 bitop3:0x80
	ds_load_b32 v145, v145 offset:544
	; wave barrier
	v_add_nc_u32_e32 v147, v25, v147
	v_bitop3_b32 v65, v65, v151, v146 bitop3:0x80
	s_delay_alu instid0(VALU_DEP_1) | instskip(SKIP_1) | instid1(VALU_DEP_2)
	v_mbcnt_lo_u32_b32 v146, v65, 0
	v_cmp_ne_u32_e64 s17, 0, v65
	v_cmp_eq_u32_e32 vcc_lo, 0, v146
	s_and_b32 s18, s17, vcc_lo
	s_delay_alu instid0(SALU_CYCLE_1)
	s_and_saveexec_b32 s17, s18
	s_cbranch_execz .LBB1422_142
; %bb.141:                              ;   in Loop: Header=BB1422_100 Depth=2
	s_wait_dscnt 0x0
	v_bcnt_u32_b32 v65, v65, v145
	ds_store_b32 v147, v65 offset:544
.LBB1422_142:                           ;   in Loop: Header=BB1422_100 Depth=2
	s_or_b32 exec_lo, exec_lo, s17
	v_cmp_lt_i32_e32 vcc_lo, -1, v144
	; wave barrier
	v_cndmask_b32_e64 v65, -1, 0x80000000, vcc_lo
	s_delay_alu instid0(VALU_DEP_1) | instskip(NEXT) | instid1(VALU_DEP_1)
	v_xor_b32_e32 v144, v65, v144
	v_cmp_ne_u32_e32 vcc_lo, 0x7fffffff, v144
	v_cndmask_b32_e32 v65, 0x80000000, v144, vcc_lo
	s_delay_alu instid0(VALU_DEP_1) | instskip(NEXT) | instid1(VALU_DEP_1)
	v_lshrrev_b32_e32 v65, s48, v65
	v_bitop3_b32 v149, v65, 1, s58 bitop3:0x80
	v_and_b32_e32 v151, s58, v65
	s_delay_alu instid0(VALU_DEP_2) | instskip(NEXT) | instid1(VALU_DEP_1)
	v_add_co_u32 v65, s17, v149, -1
	v_cndmask_b32_e64 v149, 0, 1, s17
	s_delay_alu instid0(VALU_DEP_3) | instskip(NEXT) | instid1(VALU_DEP_2)
	v_dual_lshlrev_b32 v150, 30, v151 :: v_dual_lshlrev_b32 v154, 29, v151
	v_cmp_ne_u32_e32 vcc_lo, 0, v149
	s_delay_alu instid0(VALU_DEP_2) | instskip(SKIP_1) | instid1(VALU_DEP_4)
	v_cmp_gt_i32_e64 s17, 0, v150
	v_not_b32_e32 v149, v150
	v_not_b32_e32 v150, v154
	v_bitop3_b32 v65, vcc_lo, exec_lo, v65 bitop3:0x48
	s_delay_alu instid0(VALU_DEP_2) | instskip(SKIP_3) | instid1(VALU_DEP_3)
	v_dual_ashrrev_i32 v149, 31, v149 :: v_dual_ashrrev_i32 v150, 31, v150
	v_dual_lshlrev_b32 v155, 28, v151 :: v_dual_lshlrev_b32 v156, 27, v151
	v_dual_lshlrev_b32 v159, 26, v151 :: v_dual_lshlrev_b32 v160, 25, v151
	v_cmp_gt_i32_e64 s18, 0, v154
	v_cmp_gt_i32_e64 s19, 0, v155
	v_not_b32_e32 v154, v155
	v_not_b32_e32 v155, v156
	v_cmp_gt_i32_e64 s20, 0, v156
	v_cmp_gt_i32_e64 s21, 0, v159
	v_not_b32_e32 v156, v159
	v_not_b32_e32 v159, v160
	v_dual_ashrrev_i32 v154, 31, v154 :: v_dual_ashrrev_i32 v155, 31, v155
	s_delay_alu instid0(VALU_DEP_3) | instskip(NEXT) | instid1(VALU_DEP_3)
	v_dual_ashrrev_i32 v156, 31, v156 :: v_dual_bitop2_b32 v149, s17, v149 bitop3:0x14
	v_dual_ashrrev_i32 v159, 31, v159 :: v_dual_bitop2_b32 v150, s18, v150 bitop3:0x14
	v_cmp_gt_i32_e64 s22, 0, v160
	s_delay_alu instid0(VALU_DEP_4) | instskip(NEXT) | instid1(VALU_DEP_3)
	v_xor_b32_e32 v155, s20, v155
	v_bitop3_b32 v65, v65, v150, v149 bitop3:0x80
	v_mad_u32_u24 v149, v151, 36, v25
	v_mul_u32_u24_e32 v151, 36, v151
	v_xor_b32_e32 v154, s19, v154
	v_xor_b32_e32 v150, s21, v156
	;; [unrolled: 1-line block ×3, first 2 shown]
	ds_load_b32 v149, v149 offset:544
	v_add_nc_u32_e32 v151, v25, v151
	v_bitop3_b32 v65, v65, v155, v154 bitop3:0x80
	; wave barrier
	s_delay_alu instid0(VALU_DEP_1) | instskip(NEXT) | instid1(VALU_DEP_1)
	v_bitop3_b32 v65, v65, v156, v150 bitop3:0x80
	v_mbcnt_lo_u32_b32 v150, v65, 0
	v_cmp_ne_u32_e64 s17, 0, v65
	s_delay_alu instid0(VALU_DEP_2) | instskip(SKIP_1) | instid1(SALU_CYCLE_1)
	v_cmp_eq_u32_e32 vcc_lo, 0, v150
	s_and_b32 s18, s17, vcc_lo
	s_and_saveexec_b32 s17, s18
	s_cbranch_execz .LBB1422_144
; %bb.143:                              ;   in Loop: Header=BB1422_100 Depth=2
	s_wait_dscnt 0x0
	v_bcnt_u32_b32 v65, v65, v149
	ds_store_b32 v151, v65 offset:544
.LBB1422_144:                           ;   in Loop: Header=BB1422_100 Depth=2
	s_or_b32 exec_lo, exec_lo, s17
	v_cmp_lt_i32_e32 vcc_lo, -1, v148
	; wave barrier
	v_cndmask_b32_e64 v65, -1, 0x80000000, vcc_lo
	s_delay_alu instid0(VALU_DEP_1) | instskip(NEXT) | instid1(VALU_DEP_1)
	v_xor_b32_e32 v148, v65, v148
	v_cmp_ne_u32_e32 vcc_lo, 0x7fffffff, v148
	v_cndmask_b32_e32 v65, 0x80000000, v148, vcc_lo
	s_delay_alu instid0(VALU_DEP_1) | instskip(NEXT) | instid1(VALU_DEP_1)
	v_lshrrev_b32_e32 v65, s48, v65
	v_bitop3_b32 v154, v65, 1, s58 bitop3:0x80
	v_and_b32_e32 v156, s58, v65
	s_delay_alu instid0(VALU_DEP_2) | instskip(NEXT) | instid1(VALU_DEP_1)
	v_add_co_u32 v65, s17, v154, -1
	v_cndmask_b32_e64 v154, 0, 1, s17
	s_delay_alu instid0(VALU_DEP_3) | instskip(NEXT) | instid1(VALU_DEP_2)
	v_dual_lshlrev_b32 v155, 30, v156 :: v_dual_lshlrev_b32 v159, 29, v156
	v_cmp_ne_u32_e32 vcc_lo, 0, v154
	s_delay_alu instid0(VALU_DEP_2) | instskip(SKIP_1) | instid1(VALU_DEP_4)
	v_cmp_gt_i32_e64 s17, 0, v155
	v_not_b32_e32 v154, v155
	v_not_b32_e32 v155, v159
	v_cmp_gt_i32_e64 s18, 0, v159
	v_bitop3_b32 v65, vcc_lo, exec_lo, v65 bitop3:0x48
	s_delay_alu instid0(VALU_DEP_3) | instskip(SKIP_2) | instid1(VALU_DEP_2)
	v_dual_ashrrev_i32 v154, 31, v154 :: v_dual_ashrrev_i32 v155, 31, v155
	v_dual_lshlrev_b32 v160, 28, v156 :: v_dual_lshlrev_b32 v162, 27, v156
	v_dual_lshlrev_b32 v164, 26, v156 :: v_dual_lshlrev_b32 v165, 25, v156
	v_cmp_gt_i32_e64 s19, 0, v160
	v_not_b32_e32 v159, v160
	s_delay_alu instid0(VALU_DEP_4)
	v_not_b32_e32 v160, v162
	v_cmp_gt_i32_e64 s20, 0, v162
	v_cmp_gt_i32_e64 s21, 0, v164
	v_not_b32_e32 v162, v164
	v_not_b32_e32 v164, v165
	v_dual_ashrrev_i32 v159, 31, v159 :: v_dual_ashrrev_i32 v160, 31, v160
	v_xor_b32_e32 v154, s17, v154
	s_delay_alu instid0(VALU_DEP_4) | instskip(SKIP_3) | instid1(VALU_DEP_4)
	v_dual_ashrrev_i32 v162, 31, v162 :: v_dual_bitop2_b32 v155, s18, v155 bitop3:0x14
	v_cmp_gt_i32_e64 s22, 0, v165
	v_ashrrev_i32_e32 v164, 31, v164
	v_xor_b32_e32 v160, s20, v160
	v_bitop3_b32 v65, v65, v155, v154 bitop3:0x80
	v_mad_u32_u24 v154, v156, 36, v25
	v_mul_u32_u24_e32 v156, 36, v156
	v_xor_b32_e32 v159, s19, v159
	v_xor_b32_e32 v155, s21, v162
	;; [unrolled: 1-line block ×3, first 2 shown]
	ds_load_b32 v154, v154 offset:544
	v_add_nc_u32_e32 v156, v25, v156
	v_bitop3_b32 v65, v65, v160, v159 bitop3:0x80
	; wave barrier
	s_delay_alu instid0(VALU_DEP_1) | instskip(NEXT) | instid1(VALU_DEP_1)
	v_bitop3_b32 v65, v65, v162, v155 bitop3:0x80
	v_mbcnt_lo_u32_b32 v155, v65, 0
	v_cmp_ne_u32_e64 s17, 0, v65
	s_delay_alu instid0(VALU_DEP_2) | instskip(SKIP_1) | instid1(SALU_CYCLE_1)
	v_cmp_eq_u32_e32 vcc_lo, 0, v155
	s_and_b32 s18, s17, vcc_lo
	s_and_saveexec_b32 s17, s18
	s_cbranch_execz .LBB1422_146
; %bb.145:                              ;   in Loop: Header=BB1422_100 Depth=2
	s_wait_dscnt 0x0
	v_bcnt_u32_b32 v65, v65, v154
	ds_store_b32 v156, v65 offset:544
.LBB1422_146:                           ;   in Loop: Header=BB1422_100 Depth=2
	s_or_b32 exec_lo, exec_lo, s17
	v_cmp_lt_i32_e32 vcc_lo, -1, v153
	; wave barrier
	v_cndmask_b32_e64 v65, -1, 0x80000000, vcc_lo
	s_delay_alu instid0(VALU_DEP_1) | instskip(NEXT) | instid1(VALU_DEP_1)
	v_xor_b32_e32 v153, v65, v153
	v_cmp_ne_u32_e32 vcc_lo, 0x7fffffff, v153
	v_cndmask_b32_e32 v65, 0x80000000, v153, vcc_lo
	s_delay_alu instid0(VALU_DEP_1) | instskip(NEXT) | instid1(VALU_DEP_1)
	v_lshrrev_b32_e32 v65, s48, v65
	v_and_b32_e32 v162, s58, v65
	s_delay_alu instid0(VALU_DEP_1) | instskip(SKIP_2) | instid1(VALU_DEP_3)
	v_lshlrev_b32_e32 v165, 28, v162
	v_bitop3_b32 v159, v65, 1, s58 bitop3:0x80
	v_lshlrev_b32_e32 v160, 30, v162
	v_cmp_gt_i32_e64 s19, 0, v165
	s_delay_alu instid0(VALU_DEP_3) | instskip(NEXT) | instid1(VALU_DEP_1)
	v_add_co_u32 v65, s17, v159, -1
	v_cndmask_b32_e64 v159, 0, 1, s17
	s_delay_alu instid0(VALU_DEP_4) | instskip(NEXT) | instid1(VALU_DEP_2)
	v_cmp_gt_i32_e64 s17, 0, v160
	v_cmp_ne_u32_e32 vcc_lo, 0, v159
	v_not_b32_e32 v159, v160
	v_bitop3_b32 v65, vcc_lo, exec_lo, v65 bitop3:0x48
	s_delay_alu instid0(VALU_DEP_2) | instskip(SKIP_1) | instid1(VALU_DEP_2)
	v_dual_ashrrev_i32 v159, 31, v159 :: v_dual_lshlrev_b32 v164, 29, v162
	v_dual_lshlrev_b32 v167, 27, v162 :: v_dual_lshlrev_b32 v169, 26, v162
	v_not_b32_e32 v160, v164
	v_lshlrev_b32_e32 v170, 25, v162
	v_cmp_gt_i32_e64 s18, 0, v164
	v_not_b32_e32 v164, v165
	v_not_b32_e32 v165, v167
	v_ashrrev_i32_e32 v160, 31, v160
	v_cmp_gt_i32_e64 s20, 0, v167
	v_cmp_gt_i32_e64 s21, 0, v169
	v_not_b32_e32 v167, v169
	v_not_b32_e32 v169, v170
	v_dual_ashrrev_i32 v164, 31, v164 :: v_dual_ashrrev_i32 v165, 31, v165
	v_xor_b32_e32 v159, s17, v159
	s_delay_alu instid0(VALU_DEP_4) | instskip(SKIP_3) | instid1(VALU_DEP_4)
	v_dual_ashrrev_i32 v167, 31, v167 :: v_dual_bitop2_b32 v160, s18, v160 bitop3:0x14
	v_cmp_gt_i32_e64 s22, 0, v170
	v_ashrrev_i32_e32 v169, 31, v169
	v_xor_b32_e32 v165, s20, v165
	v_bitop3_b32 v65, v65, v160, v159 bitop3:0x80
	v_mad_u32_u24 v159, v162, 36, v25
	v_mul_u32_u24_e32 v162, 36, v162
	v_xor_b32_e32 v164, s19, v164
	v_xor_b32_e32 v160, s21, v167
	;; [unrolled: 1-line block ×3, first 2 shown]
	ds_load_b32 v159, v159 offset:544
	v_add_nc_u32_e32 v162, v25, v162
	v_bitop3_b32 v65, v65, v165, v164 bitop3:0x80
	; wave barrier
	s_delay_alu instid0(VALU_DEP_1) | instskip(NEXT) | instid1(VALU_DEP_1)
	v_bitop3_b32 v65, v65, v167, v160 bitop3:0x80
	v_mbcnt_lo_u32_b32 v160, v65, 0
	v_cmp_ne_u32_e64 s17, 0, v65
	s_delay_alu instid0(VALU_DEP_2) | instskip(SKIP_1) | instid1(SALU_CYCLE_1)
	v_cmp_eq_u32_e32 vcc_lo, 0, v160
	s_and_b32 s18, s17, vcc_lo
	s_and_saveexec_b32 s17, s18
	s_cbranch_execz .LBB1422_148
; %bb.147:                              ;   in Loop: Header=BB1422_100 Depth=2
	s_wait_dscnt 0x0
	v_bcnt_u32_b32 v65, v65, v159
	ds_store_b32 v162, v65 offset:544
.LBB1422_148:                           ;   in Loop: Header=BB1422_100 Depth=2
	s_or_b32 exec_lo, exec_lo, s17
	v_cmp_lt_i32_e32 vcc_lo, -1, v158
	; wave barrier
	v_cndmask_b32_e64 v65, -1, 0x80000000, vcc_lo
	s_delay_alu instid0(VALU_DEP_1) | instskip(NEXT) | instid1(VALU_DEP_1)
	v_xor_b32_e32 v158, v65, v158
	v_cmp_ne_u32_e32 vcc_lo, 0x7fffffff, v158
	v_cndmask_b32_e32 v65, 0x80000000, v158, vcc_lo
	s_delay_alu instid0(VALU_DEP_1) | instskip(NEXT) | instid1(VALU_DEP_1)
	v_lshrrev_b32_e32 v65, s48, v65
	v_bitop3_b32 v164, v65, 1, s58 bitop3:0x80
	v_and_b32_e32 v167, s58, v65
	s_delay_alu instid0(VALU_DEP_2) | instskip(NEXT) | instid1(VALU_DEP_1)
	v_add_co_u32 v65, s17, v164, -1
	v_cndmask_b32_e64 v164, 0, 1, s17
	s_delay_alu instid0(VALU_DEP_3) | instskip(NEXT) | instid1(VALU_DEP_2)
	v_lshlrev_b32_e32 v165, 30, v167
	v_cmp_ne_u32_e32 vcc_lo, 0, v164
	s_delay_alu instid0(VALU_DEP_2) | instskip(SKIP_1) | instid1(VALU_DEP_2)
	v_not_b32_e32 v164, v165
	v_bitop3_b32 v65, vcc_lo, exec_lo, v65 bitop3:0x48
	v_dual_ashrrev_i32 v164, 31, v164 :: v_dual_lshlrev_b32 v169, 29, v167
	v_dual_lshlrev_b32 v170, 28, v167 :: v_dual_lshlrev_b32 v172, 27, v167
	v_lshlrev_b32_e32 v174, 26, v167
	v_cmp_gt_i32_e64 s17, 0, v165
	s_delay_alu instid0(VALU_DEP_4)
	v_not_b32_e32 v165, v169
	v_lshlrev_b32_e32 v175, 25, v167
	v_cmp_gt_i32_e64 s18, 0, v169
	v_cmp_gt_i32_e64 s19, 0, v170
	v_not_b32_e32 v169, v170
	v_not_b32_e32 v170, v172
	v_ashrrev_i32_e32 v165, 31, v165
	v_cmp_gt_i32_e64 s20, 0, v172
	v_cmp_gt_i32_e64 s21, 0, v174
	v_not_b32_e32 v172, v174
	v_not_b32_e32 v174, v175
	v_dual_ashrrev_i32 v169, 31, v169 :: v_dual_ashrrev_i32 v170, 31, v170
	v_xor_b32_e32 v164, s17, v164
	s_delay_alu instid0(VALU_DEP_4) | instskip(SKIP_3) | instid1(VALU_DEP_4)
	v_dual_ashrrev_i32 v172, 31, v172 :: v_dual_bitop2_b32 v165, s18, v165 bitop3:0x14
	v_cmp_gt_i32_e64 s22, 0, v175
	v_ashrrev_i32_e32 v174, 31, v174
	v_xor_b32_e32 v170, s20, v170
	v_bitop3_b32 v65, v65, v165, v164 bitop3:0x80
	v_mad_u32_u24 v164, v167, 36, v25
	v_mul_u32_u24_e32 v167, 36, v167
	v_xor_b32_e32 v169, s19, v169
	v_xor_b32_e32 v165, s21, v172
	;; [unrolled: 1-line block ×3, first 2 shown]
	ds_load_b32 v164, v164 offset:544
	v_add_nc_u32_e32 v167, v25, v167
	v_bitop3_b32 v65, v65, v170, v169 bitop3:0x80
	; wave barrier
	s_delay_alu instid0(VALU_DEP_1) | instskip(NEXT) | instid1(VALU_DEP_1)
	v_bitop3_b32 v65, v65, v172, v165 bitop3:0x80
	v_mbcnt_lo_u32_b32 v165, v65, 0
	v_cmp_ne_u32_e64 s17, 0, v65
	s_delay_alu instid0(VALU_DEP_2) | instskip(SKIP_1) | instid1(SALU_CYCLE_1)
	v_cmp_eq_u32_e32 vcc_lo, 0, v165
	s_and_b32 s18, s17, vcc_lo
	s_and_saveexec_b32 s17, s18
	s_cbranch_execz .LBB1422_150
; %bb.149:                              ;   in Loop: Header=BB1422_100 Depth=2
	s_wait_dscnt 0x0
	v_bcnt_u32_b32 v65, v65, v164
	ds_store_b32 v167, v65 offset:544
.LBB1422_150:                           ;   in Loop: Header=BB1422_100 Depth=2
	s_or_b32 exec_lo, exec_lo, s17
	v_cmp_lt_i32_e32 vcc_lo, -1, v163
	; wave barrier
	v_cndmask_b32_e64 v65, -1, 0x80000000, vcc_lo
	s_delay_alu instid0(VALU_DEP_1) | instskip(NEXT) | instid1(VALU_DEP_1)
	v_xor_b32_e32 v163, v65, v163
	v_cmp_ne_u32_e32 vcc_lo, 0x7fffffff, v163
	v_cndmask_b32_e32 v65, 0x80000000, v163, vcc_lo
	s_delay_alu instid0(VALU_DEP_1) | instskip(NEXT) | instid1(VALU_DEP_1)
	v_lshrrev_b32_e32 v65, s48, v65
	v_bitop3_b32 v169, v65, 1, s58 bitop3:0x80
	v_and_b32_e32 v172, s58, v65
	s_delay_alu instid0(VALU_DEP_2) | instskip(NEXT) | instid1(VALU_DEP_1)
	v_add_co_u32 v65, s17, v169, -1
	v_cndmask_b32_e64 v169, 0, 1, s17
	s_delay_alu instid0(VALU_DEP_3) | instskip(NEXT) | instid1(VALU_DEP_2)
	v_dual_lshlrev_b32 v170, 30, v172 :: v_dual_lshlrev_b32 v174, 29, v172
	v_cmp_ne_u32_e32 vcc_lo, 0, v169
	s_delay_alu instid0(VALU_DEP_2) | instskip(SKIP_1) | instid1(VALU_DEP_4)
	v_cmp_gt_i32_e64 s17, 0, v170
	v_not_b32_e32 v169, v170
	v_not_b32_e32 v170, v174
	v_bitop3_b32 v65, vcc_lo, exec_lo, v65 bitop3:0x48
	s_delay_alu instid0(VALU_DEP_2) | instskip(SKIP_3) | instid1(VALU_DEP_3)
	v_dual_ashrrev_i32 v169, 31, v169 :: v_dual_ashrrev_i32 v170, 31, v170
	v_dual_lshlrev_b32 v175, 28, v172 :: v_dual_lshlrev_b32 v176, 27, v172
	v_dual_lshlrev_b32 v177, 26, v172 :: v_dual_lshlrev_b32 v178, 25, v172
	v_cmp_gt_i32_e64 s18, 0, v174
	v_cmp_gt_i32_e64 s19, 0, v175
	v_not_b32_e32 v174, v175
	v_not_b32_e32 v175, v176
	v_cmp_gt_i32_e64 s20, 0, v176
	v_cmp_gt_i32_e64 s21, 0, v177
	v_not_b32_e32 v176, v177
	v_not_b32_e32 v177, v178
	v_dual_ashrrev_i32 v174, 31, v174 :: v_dual_ashrrev_i32 v175, 31, v175
	s_delay_alu instid0(VALU_DEP_3) | instskip(NEXT) | instid1(VALU_DEP_3)
	v_dual_ashrrev_i32 v176, 31, v176 :: v_dual_bitop2_b32 v169, s17, v169 bitop3:0x14
	v_dual_ashrrev_i32 v177, 31, v177 :: v_dual_bitop2_b32 v170, s18, v170 bitop3:0x14
	v_cmp_gt_i32_e64 s22, 0, v178
	s_delay_alu instid0(VALU_DEP_4) | instskip(NEXT) | instid1(VALU_DEP_3)
	v_xor_b32_e32 v175, s20, v175
	v_bitop3_b32 v65, v65, v170, v169 bitop3:0x80
	v_mad_u32_u24 v169, v172, 36, v25
	v_mul_u32_u24_e32 v172, 36, v172
	v_xor_b32_e32 v174, s19, v174
	v_xor_b32_e32 v170, s21, v176
	;; [unrolled: 1-line block ×3, first 2 shown]
	ds_load_b32 v169, v169 offset:544
	v_add_nc_u32_e32 v172, v25, v172
	v_bitop3_b32 v65, v65, v175, v174 bitop3:0x80
	; wave barrier
	s_delay_alu instid0(VALU_DEP_1) | instskip(NEXT) | instid1(VALU_DEP_1)
	v_bitop3_b32 v65, v65, v176, v170 bitop3:0x80
	v_mbcnt_lo_u32_b32 v170, v65, 0
	v_cmp_ne_u32_e64 s17, 0, v65
	s_delay_alu instid0(VALU_DEP_2) | instskip(SKIP_1) | instid1(SALU_CYCLE_1)
	v_cmp_eq_u32_e32 vcc_lo, 0, v170
	s_and_b32 s18, s17, vcc_lo
	s_and_saveexec_b32 s17, s18
	s_cbranch_execz .LBB1422_152
; %bb.151:                              ;   in Loop: Header=BB1422_100 Depth=2
	s_wait_dscnt 0x0
	v_bcnt_u32_b32 v65, v65, v169
	ds_store_b32 v172, v65 offset:544
.LBB1422_152:                           ;   in Loop: Header=BB1422_100 Depth=2
	s_or_b32 exec_lo, exec_lo, s17
	v_cmp_lt_i32_e32 vcc_lo, -1, v168
	; wave barrier
	v_cndmask_b32_e64 v65, -1, 0x80000000, vcc_lo
	s_delay_alu instid0(VALU_DEP_1) | instskip(NEXT) | instid1(VALU_DEP_1)
	v_xor_b32_e32 v168, v65, v168
	v_cmp_ne_u32_e32 vcc_lo, 0x7fffffff, v168
	v_cndmask_b32_e32 v65, 0x80000000, v168, vcc_lo
	s_delay_alu instid0(VALU_DEP_1) | instskip(NEXT) | instid1(VALU_DEP_1)
	v_lshrrev_b32_e32 v65, s48, v65
	v_bitop3_b32 v174, v65, 1, s58 bitop3:0x80
	v_and_b32_e32 v176, s58, v65
	s_delay_alu instid0(VALU_DEP_2) | instskip(NEXT) | instid1(VALU_DEP_1)
	v_add_co_u32 v65, s17, v174, -1
	v_cndmask_b32_e64 v174, 0, 1, s17
	s_delay_alu instid0(VALU_DEP_3) | instskip(NEXT) | instid1(VALU_DEP_2)
	v_dual_lshlrev_b32 v175, 30, v176 :: v_dual_lshlrev_b32 v177, 29, v176
	v_cmp_ne_u32_e32 vcc_lo, 0, v174
	s_delay_alu instid0(VALU_DEP_2) | instskip(SKIP_1) | instid1(VALU_DEP_4)
	v_cmp_gt_i32_e64 s17, 0, v175
	v_not_b32_e32 v174, v175
	v_not_b32_e32 v175, v177
	v_cmp_gt_i32_e64 s18, 0, v177
	v_bitop3_b32 v65, vcc_lo, exec_lo, v65 bitop3:0x48
	s_delay_alu instid0(VALU_DEP_3) | instskip(SKIP_2) | instid1(VALU_DEP_2)
	v_dual_ashrrev_i32 v174, 31, v174 :: v_dual_ashrrev_i32 v175, 31, v175
	v_dual_lshlrev_b32 v178, 28, v176 :: v_dual_lshlrev_b32 v179, 27, v176
	v_dual_lshlrev_b32 v180, 26, v176 :: v_dual_lshlrev_b32 v181, 25, v176
	v_cmp_gt_i32_e64 s19, 0, v178
	v_not_b32_e32 v177, v178
	s_delay_alu instid0(VALU_DEP_4)
	v_not_b32_e32 v178, v179
	v_cmp_gt_i32_e64 s20, 0, v179
	v_cmp_gt_i32_e64 s21, 0, v180
	v_not_b32_e32 v179, v180
	v_not_b32_e32 v180, v181
	v_dual_ashrrev_i32 v177, 31, v177 :: v_dual_ashrrev_i32 v178, 31, v178
	s_delay_alu instid0(VALU_DEP_3) | instskip(NEXT) | instid1(VALU_DEP_3)
	v_dual_ashrrev_i32 v179, 31, v179 :: v_dual_bitop2_b32 v174, s17, v174 bitop3:0x14
	v_dual_ashrrev_i32 v180, 31, v180 :: v_dual_bitop2_b32 v175, s18, v175 bitop3:0x14
	v_cmp_gt_i32_e64 s22, 0, v181
	s_delay_alu instid0(VALU_DEP_4) | instskip(NEXT) | instid1(VALU_DEP_3)
	v_xor_b32_e32 v178, s20, v178
	v_bitop3_b32 v65, v65, v175, v174 bitop3:0x80
	v_mad_u32_u24 v174, v176, 36, v25
	v_mul_u32_u24_e32 v176, 36, v176
	v_xor_b32_e32 v177, s19, v177
	v_xor_b32_e32 v175, s21, v179
	;; [unrolled: 1-line block ×3, first 2 shown]
	ds_load_b32 v174, v174 offset:544
	v_add_nc_u32_e32 v176, v25, v176
	v_bitop3_b32 v65, v65, v178, v177 bitop3:0x80
	; wave barrier
	s_delay_alu instid0(VALU_DEP_1) | instskip(NEXT) | instid1(VALU_DEP_1)
	v_bitop3_b32 v65, v65, v179, v175 bitop3:0x80
	v_mbcnt_lo_u32_b32 v175, v65, 0
	v_cmp_ne_u32_e64 s17, 0, v65
	s_delay_alu instid0(VALU_DEP_2) | instskip(SKIP_1) | instid1(SALU_CYCLE_1)
	v_cmp_eq_u32_e32 vcc_lo, 0, v175
	s_and_b32 s18, s17, vcc_lo
	s_and_saveexec_b32 s17, s18
	s_cbranch_execz .LBB1422_154
; %bb.153:                              ;   in Loop: Header=BB1422_100 Depth=2
	s_wait_dscnt 0x0
	v_bcnt_u32_b32 v65, v65, v174
	ds_store_b32 v176, v65 offset:544
.LBB1422_154:                           ;   in Loop: Header=BB1422_100 Depth=2
	s_or_b32 exec_lo, exec_lo, s17
	v_cmp_lt_i32_e32 vcc_lo, -1, v173
	; wave barrier
	v_cndmask_b32_e64 v65, -1, 0x80000000, vcc_lo
	s_delay_alu instid0(VALU_DEP_1) | instskip(NEXT) | instid1(VALU_DEP_1)
	v_xor_b32_e32 v173, v65, v173
	v_cmp_ne_u32_e32 vcc_lo, 0x7fffffff, v173
	v_cndmask_b32_e32 v65, 0x80000000, v173, vcc_lo
	s_delay_alu instid0(VALU_DEP_1) | instskip(NEXT) | instid1(VALU_DEP_1)
	v_lshrrev_b32_e32 v65, s48, v65
	v_and_b32_e32 v179, s58, v65
	s_delay_alu instid0(VALU_DEP_1) | instskip(SKIP_2) | instid1(VALU_DEP_3)
	v_lshlrev_b32_e32 v181, 28, v179
	v_bitop3_b32 v177, v65, 1, s58 bitop3:0x80
	v_dual_lshlrev_b32 v178, 30, v179 :: v_dual_lshlrev_b32 v180, 29, v179
	v_cmp_gt_i32_e64 s19, 0, v181
	s_delay_alu instid0(VALU_DEP_3) | instskip(NEXT) | instid1(VALU_DEP_1)
	v_add_co_u32 v65, s17, v177, -1
	v_cndmask_b32_e64 v177, 0, 1, s17
	s_delay_alu instid0(VALU_DEP_4) | instskip(SKIP_1) | instid1(VALU_DEP_3)
	v_cmp_gt_i32_e64 s17, 0, v178
	v_cmp_gt_i32_e64 s18, 0, v180
	v_cmp_ne_u32_e32 vcc_lo, 0, v177
	v_not_b32_e32 v177, v178
	v_not_b32_e32 v178, v180
	;; [unrolled: 1-line block ×3, first 2 shown]
	v_bitop3_b32 v65, vcc_lo, exec_lo, v65 bitop3:0x48
	s_delay_alu instid0(VALU_DEP_3) | instskip(SKIP_2) | instid1(VALU_DEP_2)
	v_dual_ashrrev_i32 v177, 31, v177 :: v_dual_ashrrev_i32 v178, 31, v178
	v_dual_lshlrev_b32 v182, 27, v179 :: v_dual_lshlrev_b32 v183, 26, v179
	v_lshlrev_b32_e32 v184, 25, v179
	v_not_b32_e32 v181, v182
	v_cmp_gt_i32_e64 s20, 0, v182
	s_delay_alu instid0(VALU_DEP_4) | instskip(SKIP_3) | instid1(VALU_DEP_3)
	v_cmp_gt_i32_e64 s21, 0, v183
	v_not_b32_e32 v182, v183
	v_not_b32_e32 v183, v184
	v_dual_ashrrev_i32 v180, 31, v180 :: v_dual_ashrrev_i32 v181, 31, v181
	v_dual_ashrrev_i32 v182, 31, v182 :: v_dual_bitop2_b32 v177, s17, v177 bitop3:0x14
	s_delay_alu instid0(VALU_DEP_3) | instskip(SKIP_1) | instid1(VALU_DEP_4)
	v_dual_ashrrev_i32 v183, 31, v183 :: v_dual_bitop2_b32 v178, s18, v178 bitop3:0x14
	v_cmp_gt_i32_e64 s22, 0, v184
	v_xor_b32_e32 v181, s20, v181
	s_delay_alu instid0(VALU_DEP_3)
	v_bitop3_b32 v65, v65, v178, v177 bitop3:0x80
	v_mad_u32_u24 v177, v179, 36, v25
	v_mul_u32_u24_e32 v179, 36, v179
	v_xor_b32_e32 v180, s19, v180
	v_xor_b32_e32 v178, s21, v182
	v_xor_b32_e32 v182, s22, v183
	ds_load_b32 v177, v177 offset:544
	v_add_nc_u32_e32 v179, v25, v179
	v_bitop3_b32 v65, v65, v181, v180 bitop3:0x80
	; wave barrier
	s_delay_alu instid0(VALU_DEP_1) | instskip(NEXT) | instid1(VALU_DEP_1)
	v_bitop3_b32 v65, v65, v182, v178 bitop3:0x80
	v_mbcnt_lo_u32_b32 v178, v65, 0
	v_cmp_ne_u32_e64 s17, 0, v65
	s_delay_alu instid0(VALU_DEP_2) | instskip(SKIP_1) | instid1(SALU_CYCLE_1)
	v_cmp_eq_u32_e32 vcc_lo, 0, v178
	s_and_b32 s18, s17, vcc_lo
	s_and_saveexec_b32 s17, s18
	s_cbranch_execz .LBB1422_156
; %bb.155:                              ;   in Loop: Header=BB1422_100 Depth=2
	s_wait_dscnt 0x0
	v_bcnt_u32_b32 v65, v65, v177
	ds_store_b32 v179, v65 offset:544
.LBB1422_156:                           ;   in Loop: Header=BB1422_100 Depth=2
	s_or_b32 exec_lo, exec_lo, s17
	v_cmp_lt_i32_e32 vcc_lo, -1, v171
	; wave barrier
	v_cndmask_b32_e64 v65, -1, 0x80000000, vcc_lo
	s_delay_alu instid0(VALU_DEP_1) | instskip(NEXT) | instid1(VALU_DEP_1)
	v_xor_b32_e32 v171, v65, v171
	v_cmp_ne_u32_e32 vcc_lo, 0x7fffffff, v171
	v_cndmask_b32_e32 v65, 0x80000000, v171, vcc_lo
	s_delay_alu instid0(VALU_DEP_1) | instskip(NEXT) | instid1(VALU_DEP_1)
	v_lshrrev_b32_e32 v65, s48, v65
	v_bitop3_b32 v180, v65, 1, s58 bitop3:0x80
	v_and_b32_e32 v182, s58, v65
	s_delay_alu instid0(VALU_DEP_2) | instskip(NEXT) | instid1(VALU_DEP_1)
	v_add_co_u32 v65, s17, v180, -1
	v_cndmask_b32_e64 v180, 0, 1, s17
	s_delay_alu instid0(VALU_DEP_3) | instskip(NEXT) | instid1(VALU_DEP_2)
	v_lshlrev_b32_e32 v181, 30, v182
	v_cmp_ne_u32_e32 vcc_lo, 0, v180
	s_delay_alu instid0(VALU_DEP_2) | instskip(SKIP_1) | instid1(VALU_DEP_2)
	v_not_b32_e32 v180, v181
	v_bitop3_b32 v65, vcc_lo, exec_lo, v65 bitop3:0x48
	v_dual_ashrrev_i32 v180, 31, v180 :: v_dual_lshlrev_b32 v183, 29, v182
	v_dual_lshlrev_b32 v184, 28, v182 :: v_dual_lshlrev_b32 v185, 27, v182
	v_lshlrev_b32_e32 v186, 26, v182
	v_cmp_gt_i32_e64 s17, 0, v181
	s_delay_alu instid0(VALU_DEP_4)
	v_not_b32_e32 v181, v183
	v_lshlrev_b32_e32 v187, 25, v182
	v_cmp_gt_i32_e64 s18, 0, v183
	v_cmp_gt_i32_e64 s19, 0, v184
	v_not_b32_e32 v183, v184
	v_not_b32_e32 v184, v185
	v_ashrrev_i32_e32 v181, 31, v181
	v_cmp_gt_i32_e64 s20, 0, v185
	v_cmp_gt_i32_e64 s21, 0, v186
	v_not_b32_e32 v185, v186
	v_not_b32_e32 v186, v187
	v_dual_ashrrev_i32 v183, 31, v183 :: v_dual_ashrrev_i32 v184, 31, v184
	s_delay_alu instid0(VALU_DEP_3) | instskip(NEXT) | instid1(VALU_DEP_3)
	v_dual_ashrrev_i32 v185, 31, v185 :: v_dual_bitop2_b32 v180, s17, v180 bitop3:0x14
	v_dual_ashrrev_i32 v186, 31, v186 :: v_dual_bitop2_b32 v181, s18, v181 bitop3:0x14
	v_cmp_gt_i32_e64 s22, 0, v187
	s_delay_alu instid0(VALU_DEP_4) | instskip(NEXT) | instid1(VALU_DEP_3)
	v_xor_b32_e32 v184, s20, v184
	v_bitop3_b32 v65, v65, v181, v180 bitop3:0x80
	v_mad_u32_u24 v180, v182, 36, v25
	v_mul_u32_u24_e32 v182, 36, v182
	v_xor_b32_e32 v183, s19, v183
	v_xor_b32_e32 v181, s21, v185
	;; [unrolled: 1-line block ×3, first 2 shown]
	ds_load_b32 v180, v180 offset:544
	v_add_nc_u32_e32 v182, v25, v182
	v_bitop3_b32 v65, v65, v184, v183 bitop3:0x80
	; wave barrier
	s_delay_alu instid0(VALU_DEP_1) | instskip(NEXT) | instid1(VALU_DEP_1)
	v_bitop3_b32 v65, v65, v185, v181 bitop3:0x80
	v_mbcnt_lo_u32_b32 v181, v65, 0
	v_cmp_ne_u32_e64 s17, 0, v65
	s_delay_alu instid0(VALU_DEP_2) | instskip(SKIP_1) | instid1(SALU_CYCLE_1)
	v_cmp_eq_u32_e32 vcc_lo, 0, v181
	s_and_b32 s18, s17, vcc_lo
	s_and_saveexec_b32 s17, s18
	s_cbranch_execz .LBB1422_158
; %bb.157:                              ;   in Loop: Header=BB1422_100 Depth=2
	s_wait_dscnt 0x0
	v_bcnt_u32_b32 v65, v65, v180
	ds_store_b32 v182, v65 offset:544
.LBB1422_158:                           ;   in Loop: Header=BB1422_100 Depth=2
	s_or_b32 exec_lo, exec_lo, s17
	v_cmp_lt_i32_e32 vcc_lo, -1, v166
	; wave barrier
	v_cndmask_b32_e64 v65, -1, 0x80000000, vcc_lo
	s_delay_alu instid0(VALU_DEP_1) | instskip(NEXT) | instid1(VALU_DEP_1)
	v_xor_b32_e32 v166, v65, v166
	v_cmp_ne_u32_e32 vcc_lo, 0x7fffffff, v166
	v_cndmask_b32_e32 v65, 0x80000000, v166, vcc_lo
	s_delay_alu instid0(VALU_DEP_1) | instskip(NEXT) | instid1(VALU_DEP_1)
	v_lshrrev_b32_e32 v65, s48, v65
	v_bitop3_b32 v183, v65, 1, s58 bitop3:0x80
	v_and_b32_e32 v186, s58, v65
	s_delay_alu instid0(VALU_DEP_2) | instskip(NEXT) | instid1(VALU_DEP_1)
	v_add_co_u32 v65, s17, v183, -1
	v_cndmask_b32_e64 v183, 0, 1, s17
	s_delay_alu instid0(VALU_DEP_3) | instskip(NEXT) | instid1(VALU_DEP_2)
	v_lshlrev_b32_e32 v184, 30, v186
	v_cmp_ne_u32_e32 vcc_lo, 0, v183
	s_delay_alu instid0(VALU_DEP_2) | instskip(SKIP_1) | instid1(VALU_DEP_2)
	v_not_b32_e32 v183, v184
	v_bitop3_b32 v65, vcc_lo, exec_lo, v65 bitop3:0x48
	v_dual_ashrrev_i32 v183, 31, v183 :: v_dual_lshlrev_b32 v185, 29, v186
	v_cmp_gt_i32_e64 s17, 0, v184
	v_dual_lshlrev_b32 v187, 28, v186 :: v_dual_lshlrev_b32 v188, 27, v186
	v_dual_lshlrev_b32 v189, 26, v186 :: v_dual_lshlrev_b32 v190, 25, v186
	s_delay_alu instid0(VALU_DEP_4) | instskip(SKIP_1) | instid1(VALU_DEP_4)
	v_not_b32_e32 v184, v185
	v_cmp_gt_i32_e64 s18, 0, v185
	v_cmp_gt_i32_e64 s19, 0, v187
	v_not_b32_e32 v185, v187
	v_cmp_gt_i32_e64 s20, 0, v188
	v_ashrrev_i32_e32 v184, 31, v184
	v_not_b32_e32 v187, v188
	v_cmp_gt_i32_e64 s21, 0, v189
	v_not_b32_e32 v188, v189
	v_not_b32_e32 v189, v190
	v_xor_b32_e32 v183, s17, v183
	v_dual_ashrrev_i32 v185, 31, v185 :: v_dual_bitop2_b32 v184, s18, v184 bitop3:0x14
	s_delay_alu instid0(VALU_DEP_4) | instskip(NEXT) | instid1(VALU_DEP_4)
	v_dual_ashrrev_i32 v187, 31, v187 :: v_dual_ashrrev_i32 v188, 31, v188
	v_ashrrev_i32_e32 v189, 31, v189
	s_delay_alu instid0(VALU_DEP_3)
	v_bitop3_b32 v65, v65, v184, v183 bitop3:0x80
	v_mad_u32_u24 v183, v186, 36, v25
	v_cmp_gt_i32_e64 s22, 0, v190
	v_xor_b32_e32 v187, s20, v187
	v_xor_b32_e32 v188, s21, v188
	ds_load_b32 v184, v183 offset:544
	v_mul_u32_u24_e32 v183, 36, v186
	v_xor_b32_e32 v185, s19, v185
	v_xor_b32_e32 v189, s22, v189
	; wave barrier
	s_delay_alu instid0(VALU_DEP_3) | instskip(NEXT) | instid1(VALU_DEP_3)
	v_add_nc_u32_e32 v186, v25, v183
	v_bitop3_b32 v65, v65, v187, v185 bitop3:0x80
	s_delay_alu instid0(VALU_DEP_1) | instskip(NEXT) | instid1(VALU_DEP_1)
	v_bitop3_b32 v65, v65, v189, v188 bitop3:0x80
	v_mbcnt_lo_u32_b32 v185, v65, 0
	v_cmp_ne_u32_e64 s17, 0, v65
	s_delay_alu instid0(VALU_DEP_2) | instskip(SKIP_1) | instid1(SALU_CYCLE_1)
	v_cmp_eq_u32_e32 vcc_lo, 0, v185
	s_and_b32 s18, s17, vcc_lo
	s_and_saveexec_b32 s17, s18
	s_cbranch_execz .LBB1422_160
; %bb.159:                              ;   in Loop: Header=BB1422_100 Depth=2
	s_wait_dscnt 0x0
	v_bcnt_u32_b32 v65, v65, v184
	ds_store_b32 v186, v65 offset:544
.LBB1422_160:                           ;   in Loop: Header=BB1422_100 Depth=2
	s_or_b32 exec_lo, exec_lo, s17
	v_cmp_lt_i32_e32 vcc_lo, -1, v161
	; wave barrier
	v_cndmask_b32_e64 v65, -1, 0x80000000, vcc_lo
	s_delay_alu instid0(VALU_DEP_1) | instskip(NEXT) | instid1(VALU_DEP_1)
	v_xor_b32_e32 v183, v65, v161
	v_cmp_ne_u32_e32 vcc_lo, 0x7fffffff, v183
	v_cndmask_b32_e32 v65, 0x80000000, v183, vcc_lo
	s_delay_alu instid0(VALU_DEP_1) | instskip(NEXT) | instid1(VALU_DEP_1)
	v_lshrrev_b32_e32 v65, s48, v65
	v_and_b32_e32 v187, s58, v65
	s_delay_alu instid0(VALU_DEP_1) | instskip(SKIP_3) | instid1(VALU_DEP_4)
	v_lshlrev_b32_e32 v189, 29, v187
	v_bitop3_b32 v161, v65, 1, s58 bitop3:0x80
	v_dual_lshlrev_b32 v188, 30, v187 :: v_dual_lshlrev_b32 v190, 28, v187
	v_lshlrev_b32_e32 v191, 27, v187
	v_cmp_gt_i32_e64 s18, 0, v189
	s_delay_alu instid0(VALU_DEP_4) | instskip(NEXT) | instid1(VALU_DEP_1)
	v_add_co_u32 v65, s17, v161, -1
	v_cndmask_b32_e64 v161, 0, 1, s17
	v_cmp_gt_i32_e64 s17, 0, v188
	v_cmp_gt_i32_e64 s19, 0, v190
	;; [unrolled: 1-line block ×3, first 2 shown]
	s_delay_alu instid0(VALU_DEP_4)
	v_cmp_ne_u32_e32 vcc_lo, 0, v161
	v_not_b32_e32 v161, v188
	v_not_b32_e32 v188, v189
	;; [unrolled: 1-line block ×4, first 2 shown]
	v_bitop3_b32 v65, vcc_lo, exec_lo, v65 bitop3:0x48
	s_delay_alu instid0(VALU_DEP_4) | instskip(NEXT) | instid1(VALU_DEP_3)
	v_dual_ashrrev_i32 v188, 31, v188 :: v_dual_ashrrev_i32 v161, 31, v161
	v_dual_ashrrev_i32 v190, 31, v190 :: v_dual_lshlrev_b32 v192, 26, v187
	s_delay_alu instid0(VALU_DEP_2) | instskip(NEXT) | instid1(VALU_DEP_2)
	v_dual_lshlrev_b32 v193, 25, v187 :: v_dual_bitop2_b32 v188, s18, v188 bitop3:0x14
	v_cmp_gt_i32_e64 s21, 0, v192
	v_not_b32_e32 v191, v192
	s_delay_alu instid0(VALU_DEP_3) | instskip(SKIP_3) | instid1(VALU_DEP_4)
	v_not_b32_e32 v192, v193
	v_xor_b32_e32 v161, s17, v161
	v_ashrrev_i32_e32 v189, 31, v189
	v_cmp_gt_i32_e64 s22, 0, v193
	v_dual_ashrrev_i32 v191, 31, v191 :: v_dual_ashrrev_i32 v192, 31, v192
	s_delay_alu instid0(VALU_DEP_4) | instskip(SKIP_2) | instid1(VALU_DEP_4)
	v_bitop3_b32 v65, v65, v188, v161 bitop3:0x80
	v_mad_u32_u24 v161, v187, 36, v25
	v_xor_b32_e32 v189, s19, v189
	v_xor_b32_e32 v191, s21, v191
	;; [unrolled: 1-line block ×3, first 2 shown]
	ds_load_b32 v188, v161 offset:544
	v_mul_u32_u24_e32 v161, 36, v187
	v_xor_b32_e32 v190, s20, v190
	; wave barrier
	s_delay_alu instid0(VALU_DEP_2) | instskip(NEXT) | instid1(VALU_DEP_2)
	v_add_nc_u32_e32 v161, v25, v161
	v_bitop3_b32 v65, v65, v190, v189 bitop3:0x80
	s_delay_alu instid0(VALU_DEP_1) | instskip(NEXT) | instid1(VALU_DEP_1)
	v_bitop3_b32 v65, v65, v192, v191 bitop3:0x80
	v_mbcnt_lo_u32_b32 v189, v65, 0
	v_cmp_ne_u32_e64 s17, 0, v65
	s_delay_alu instid0(VALU_DEP_2) | instskip(SKIP_1) | instid1(SALU_CYCLE_1)
	v_cmp_eq_u32_e32 vcc_lo, 0, v189
	s_and_b32 s18, s17, vcc_lo
	s_and_saveexec_b32 s17, s18
	s_cbranch_execz .LBB1422_162
; %bb.161:                              ;   in Loop: Header=BB1422_100 Depth=2
	s_wait_dscnt 0x0
	v_bcnt_u32_b32 v65, v65, v188
	ds_store_b32 v161, v65 offset:544
.LBB1422_162:                           ;   in Loop: Header=BB1422_100 Depth=2
	s_or_b32 exec_lo, exec_lo, s17
	v_cmp_lt_i32_e32 vcc_lo, -1, v157
	; wave barrier
	v_cndmask_b32_e64 v65, -1, 0x80000000, vcc_lo
	s_delay_alu instid0(VALU_DEP_1) | instskip(NEXT) | instid1(VALU_DEP_1)
	v_xor_b32_e32 v187, v65, v157
	v_cmp_ne_u32_e32 vcc_lo, 0x7fffffff, v187
	v_cndmask_b32_e32 v65, 0x80000000, v187, vcc_lo
	s_delay_alu instid0(VALU_DEP_1) | instskip(NEXT) | instid1(VALU_DEP_1)
	v_lshrrev_b32_e32 v65, s48, v65
	v_and_b32_e32 v190, s58, v65
	s_delay_alu instid0(VALU_DEP_1) | instskip(SKIP_2) | instid1(VALU_DEP_3)
	v_lshlrev_b32_e32 v193, 28, v190
	v_bitop3_b32 v157, v65, 1, s58 bitop3:0x80
	v_dual_lshlrev_b32 v191, 30, v190 :: v_dual_lshlrev_b32 v192, 29, v190
	v_cmp_gt_i32_e64 s19, 0, v193
	s_delay_alu instid0(VALU_DEP_3) | instskip(NEXT) | instid1(VALU_DEP_1)
	v_add_co_u32 v65, s17, v157, -1
	v_cndmask_b32_e64 v157, 0, 1, s17
	s_delay_alu instid0(VALU_DEP_4) | instskip(SKIP_1) | instid1(VALU_DEP_3)
	v_cmp_gt_i32_e64 s17, 0, v191
	v_cmp_gt_i32_e64 s18, 0, v192
	v_cmp_ne_u32_e32 vcc_lo, 0, v157
	v_not_b32_e32 v157, v191
	v_not_b32_e32 v191, v192
	;; [unrolled: 1-line block ×3, first 2 shown]
	v_bitop3_b32 v65, vcc_lo, exec_lo, v65 bitop3:0x48
	s_delay_alu instid0(VALU_DEP_3) | instskip(SKIP_1) | instid1(VALU_DEP_2)
	v_dual_ashrrev_i32 v157, 31, v157 :: v_dual_ashrrev_i32 v191, 31, v191
	v_dual_lshlrev_b32 v194, 27, v190 :: v_dual_lshlrev_b32 v195, 26, v190
	v_dual_lshlrev_b32 v196, 25, v190 :: v_dual_bitop2_b32 v191, s18, v191 bitop3:0x14
	s_delay_alu instid0(VALU_DEP_2) | instskip(SKIP_1) | instid1(VALU_DEP_4)
	v_not_b32_e32 v193, v194
	v_cmp_gt_i32_e64 s20, 0, v194
	v_cmp_gt_i32_e64 s21, 0, v195
	v_not_b32_e32 v194, v195
	v_not_b32_e32 v195, v196
	v_dual_ashrrev_i32 v192, 31, v192 :: v_dual_ashrrev_i32 v193, 31, v193
	s_delay_alu instid0(VALU_DEP_3) | instskip(SKIP_1) | instid1(VALU_DEP_3)
	v_dual_ashrrev_i32 v194, 31, v194 :: v_dual_bitop2_b32 v157, s17, v157 bitop3:0x14
	v_cmp_gt_i32_e64 s22, 0, v196
	v_dual_ashrrev_i32 v195, 31, v195 :: v_dual_bitop2_b32 v192, s19, v192 bitop3:0x14
	s_delay_alu instid0(VALU_DEP_4) | instskip(NEXT) | instid1(VALU_DEP_4)
	v_xor_b32_e32 v193, s20, v193
	v_bitop3_b32 v65, v65, v191, v157 bitop3:0x80
	v_mad_u32_u24 v157, v190, 36, v25
	v_xor_b32_e32 v194, s21, v194
	v_xor_b32_e32 v195, s22, v195
	s_delay_alu instid0(VALU_DEP_4) | instskip(SKIP_3) | instid1(VALU_DEP_2)
	v_bitop3_b32 v65, v65, v193, v192 bitop3:0x80
	ds_load_b32 v191, v157 offset:544
	v_mul_u32_u24_e32 v157, 36, v190
	; wave barrier
	v_bitop3_b32 v65, v65, v195, v194 bitop3:0x80
	v_add_nc_u32_e32 v157, v25, v157
	s_delay_alu instid0(VALU_DEP_2) | instskip(SKIP_1) | instid1(VALU_DEP_2)
	v_mbcnt_lo_u32_b32 v192, v65, 0
	v_cmp_ne_u32_e64 s17, 0, v65
	v_cmp_eq_u32_e32 vcc_lo, 0, v192
	s_and_b32 s18, s17, vcc_lo
	s_delay_alu instid0(SALU_CYCLE_1)
	s_and_saveexec_b32 s17, s18
	s_cbranch_execz .LBB1422_164
; %bb.163:                              ;   in Loop: Header=BB1422_100 Depth=2
	s_wait_dscnt 0x0
	v_bcnt_u32_b32 v65, v65, v191
	ds_store_b32 v157, v65 offset:544
.LBB1422_164:                           ;   in Loop: Header=BB1422_100 Depth=2
	s_or_b32 exec_lo, exec_lo, s17
	v_cmp_lt_i32_e32 vcc_lo, -1, v152
	; wave barrier
	v_cndmask_b32_e64 v65, -1, 0x80000000, vcc_lo
	s_delay_alu instid0(VALU_DEP_1) | instskip(NEXT) | instid1(VALU_DEP_1)
	v_xor_b32_e32 v190, v65, v152
	v_cmp_ne_u32_e32 vcc_lo, 0x7fffffff, v190
	v_cndmask_b32_e32 v65, 0x80000000, v190, vcc_lo
	s_delay_alu instid0(VALU_DEP_1) | instskip(NEXT) | instid1(VALU_DEP_1)
	v_lshrrev_b32_e32 v65, s48, v65
	v_bitop3_b32 v152, v65, 1, s58 bitop3:0x80
	v_and_b32_e32 v193, s58, v65
	s_delay_alu instid0(VALU_DEP_2) | instskip(NEXT) | instid1(VALU_DEP_1)
	v_add_co_u32 v65, s17, v152, -1
	v_cndmask_b32_e64 v152, 0, 1, s17
	s_delay_alu instid0(VALU_DEP_3) | instskip(NEXT) | instid1(VALU_DEP_2)
	v_lshlrev_b32_e32 v194, 30, v193
	v_cmp_ne_u32_e32 vcc_lo, 0, v152
	s_delay_alu instid0(VALU_DEP_2) | instskip(SKIP_2) | instid1(VALU_DEP_3)
	v_not_b32_e32 v152, v194
	v_cmp_gt_i32_e64 s17, 0, v194
	v_bitop3_b32 v65, vcc_lo, exec_lo, v65 bitop3:0x48
	v_dual_ashrrev_i32 v152, 31, v152 :: v_dual_lshlrev_b32 v195, 29, v193
	v_dual_lshlrev_b32 v196, 28, v193 :: v_dual_lshlrev_b32 v197, 27, v193
	v_lshlrev_b32_e32 v198, 26, v193
	s_delay_alu instid0(VALU_DEP_3)
	v_not_b32_e32 v194, v195
	v_lshlrev_b32_e32 v199, 25, v193
	v_cmp_gt_i32_e64 s18, 0, v195
	v_cmp_gt_i32_e64 s19, 0, v196
	v_not_b32_e32 v195, v196
	v_not_b32_e32 v196, v197
	v_ashrrev_i32_e32 v194, 31, v194
	v_cmp_gt_i32_e64 s20, 0, v197
	v_cmp_gt_i32_e64 s21, 0, v198
	v_not_b32_e32 v197, v198
	v_not_b32_e32 v198, v199
	v_dual_ashrrev_i32 v195, 31, v195 :: v_dual_ashrrev_i32 v196, 31, v196
	s_delay_alu instid0(VALU_DEP_3) | instskip(SKIP_2) | instid1(VALU_DEP_4)
	v_dual_ashrrev_i32 v197, 31, v197 :: v_dual_bitop2_b32 v152, s17, v152 bitop3:0x14
	v_xor_b32_e32 v194, s18, v194
	v_cmp_gt_i32_e64 s22, 0, v199
	v_dual_ashrrev_i32 v198, 31, v198 :: v_dual_bitop2_b32 v195, s19, v195 bitop3:0x14
	v_xor_b32_e32 v196, s20, v196
	s_delay_alu instid0(VALU_DEP_4) | instskip(SKIP_3) | instid1(VALU_DEP_4)
	v_bitop3_b32 v65, v65, v194, v152 bitop3:0x80
	v_mad_u32_u24 v152, v193, 36, v25
	v_xor_b32_e32 v197, s21, v197
	v_xor_b32_e32 v198, s22, v198
	v_bitop3_b32 v65, v65, v196, v195 bitop3:0x80
	ds_load_b32 v194, v152 offset:544
	v_mul_u32_u24_e32 v152, 36, v193
	; wave barrier
	v_bitop3_b32 v65, v65, v198, v197 bitop3:0x80
	s_delay_alu instid0(VALU_DEP_2) | instskip(NEXT) | instid1(VALU_DEP_2)
	v_add_nc_u32_e32 v152, v25, v152
	v_mbcnt_lo_u32_b32 v195, v65, 0
	v_cmp_ne_u32_e64 s17, 0, v65
	s_delay_alu instid0(VALU_DEP_2) | instskip(SKIP_1) | instid1(SALU_CYCLE_1)
	v_cmp_eq_u32_e32 vcc_lo, 0, v195
	s_and_b32 s18, s17, vcc_lo
	s_and_saveexec_b32 s17, s18
	s_cbranch_execz .LBB1422_166
; %bb.165:                              ;   in Loop: Header=BB1422_100 Depth=2
	s_wait_dscnt 0x0
	v_bcnt_u32_b32 v65, v65, v194
	ds_store_b32 v152, v65 offset:544
.LBB1422_166:                           ;   in Loop: Header=BB1422_100 Depth=2
	s_or_b32 exec_lo, exec_lo, s17
	v_cmp_lt_i32_e32 vcc_lo, -1, v67
	; wave barrier
	v_cndmask_b32_e64 v65, -1, 0x80000000, vcc_lo
	s_delay_alu instid0(VALU_DEP_1) | instskip(NEXT) | instid1(VALU_DEP_1)
	v_xor_b32_e32 v193, v65, v67
	v_cmp_ne_u32_e32 vcc_lo, 0x7fffffff, v193
	v_cndmask_b32_e32 v65, 0x80000000, v193, vcc_lo
	s_delay_alu instid0(VALU_DEP_1) | instskip(NEXT) | instid1(VALU_DEP_1)
	v_lshrrev_b32_e32 v65, s48, v65
	v_bitop3_b32 v67, v65, 1, s58 bitop3:0x80
	v_and_b32_e32 v196, s58, v65
	s_delay_alu instid0(VALU_DEP_2) | instskip(NEXT) | instid1(VALU_DEP_1)
	v_add_co_u32 v65, s17, v67, -1
	v_cndmask_b32_e64 v67, 0, 1, s17
	s_delay_alu instid0(VALU_DEP_3) | instskip(NEXT) | instid1(VALU_DEP_2)
	v_lshlrev_b32_e32 v197, 30, v196
	v_cmp_ne_u32_e32 vcc_lo, 0, v67
	s_delay_alu instid0(VALU_DEP_2) | instskip(SKIP_1) | instid1(VALU_DEP_2)
	v_not_b32_e32 v67, v197
	v_bitop3_b32 v65, vcc_lo, exec_lo, v65 bitop3:0x48
	v_dual_ashrrev_i32 v67, 31, v67 :: v_dual_lshlrev_b32 v198, 29, v196
	v_dual_lshlrev_b32 v199, 28, v196 :: v_dual_lshlrev_b32 v200, 27, v196
	v_lshlrev_b32_e32 v201, 26, v196
	v_cmp_gt_i32_e64 s17, 0, v197
	s_delay_alu instid0(VALU_DEP_4)
	v_not_b32_e32 v197, v198
	v_lshlrev_b32_e32 v202, 25, v196
	v_cmp_gt_i32_e64 s18, 0, v198
	v_cmp_gt_i32_e64 s19, 0, v199
	v_not_b32_e32 v198, v199
	v_not_b32_e32 v199, v200
	v_ashrrev_i32_e32 v197, 31, v197
	v_cmp_gt_i32_e64 s20, 0, v200
	v_cmp_gt_i32_e64 s21, 0, v201
	v_not_b32_e32 v200, v201
	v_not_b32_e32 v201, v202
	v_dual_ashrrev_i32 v198, 31, v198 :: v_dual_ashrrev_i32 v199, 31, v199
	s_delay_alu instid0(VALU_DEP_3) | instskip(SKIP_2) | instid1(VALU_DEP_4)
	v_dual_ashrrev_i32 v200, 31, v200 :: v_dual_bitop2_b32 v67, s17, v67 bitop3:0x14
	v_xor_b32_e32 v197, s18, v197
	v_cmp_gt_i32_e64 s22, 0, v202
	v_dual_ashrrev_i32 v201, 31, v201 :: v_dual_bitop2_b32 v198, s19, v198 bitop3:0x14
	v_xor_b32_e32 v199, s20, v199
	s_delay_alu instid0(VALU_DEP_4) | instskip(SKIP_3) | instid1(VALU_DEP_4)
	v_bitop3_b32 v65, v65, v197, v67 bitop3:0x80
	v_mad_u32_u24 v67, v196, 36, v25
	v_xor_b32_e32 v200, s21, v200
	v_xor_b32_e32 v201, s22, v201
	v_bitop3_b32 v65, v65, v199, v198 bitop3:0x80
	ds_load_b32 v197, v67 offset:544
	v_mul_u32_u24_e32 v67, 36, v196
	; wave barrier
	v_bitop3_b32 v65, v65, v201, v200 bitop3:0x80
	s_delay_alu instid0(VALU_DEP_2) | instskip(NEXT) | instid1(VALU_DEP_2)
	v_add_nc_u32_e32 v199, v25, v67
	v_mbcnt_lo_u32_b32 v198, v65, 0
	v_cmp_ne_u32_e64 s17, 0, v65
	s_delay_alu instid0(VALU_DEP_2) | instskip(SKIP_1) | instid1(SALU_CYCLE_1)
	v_cmp_eq_u32_e32 vcc_lo, 0, v198
	s_and_b32 s18, s17, vcc_lo
	s_and_saveexec_b32 s17, s18
	s_cbranch_execz .LBB1422_168
; %bb.167:                              ;   in Loop: Header=BB1422_100 Depth=2
	s_wait_dscnt 0x0
	v_bcnt_u32_b32 v65, v65, v197
	ds_store_b32 v199, v65 offset:544
.LBB1422_168:                           ;   in Loop: Header=BB1422_100 Depth=2
	s_or_b32 exec_lo, exec_lo, s17
	v_cmp_lt_i32_e32 vcc_lo, -1, v66
	; wave barrier
	v_cndmask_b32_e64 v65, -1, 0x80000000, vcc_lo
	s_delay_alu instid0(VALU_DEP_1) | instskip(NEXT) | instid1(VALU_DEP_1)
	v_xor_b32_e32 v196, v65, v66
	v_cmp_ne_u32_e32 vcc_lo, 0x7fffffff, v196
	v_cndmask_b32_e32 v65, 0x80000000, v196, vcc_lo
	s_delay_alu instid0(VALU_DEP_1) | instskip(NEXT) | instid1(VALU_DEP_1)
	v_lshrrev_b32_e32 v65, s48, v65
	v_bitop3_b32 v66, v65, 1, s58 bitop3:0x80
	v_and_b32_e32 v67, s58, v65
	s_delay_alu instid0(VALU_DEP_2) | instskip(NEXT) | instid1(VALU_DEP_1)
	v_add_co_u32 v65, s17, v66, -1
	v_cndmask_b32_e64 v66, 0, 1, s17
	s_delay_alu instid0(VALU_DEP_3) | instskip(NEXT) | instid1(VALU_DEP_2)
	v_lshlrev_b32_e32 v200, 30, v67
	v_cmp_ne_u32_e32 vcc_lo, 0, v66
	s_delay_alu instid0(VALU_DEP_2) | instskip(SKIP_2) | instid1(VALU_DEP_3)
	v_not_b32_e32 v66, v200
	v_cmp_gt_i32_e64 s17, 0, v200
	v_bitop3_b32 v65, vcc_lo, exec_lo, v65 bitop3:0x48
	v_dual_ashrrev_i32 v66, 31, v66 :: v_dual_lshlrev_b32 v201, 29, v67
	v_dual_lshlrev_b32 v202, 28, v67 :: v_dual_lshlrev_b32 v203, 27, v67
	v_lshlrev_b32_e32 v204, 26, v67
	s_delay_alu instid0(VALU_DEP_3)
	v_not_b32_e32 v200, v201
	v_lshlrev_b32_e32 v205, 25, v67
	v_cmp_gt_i32_e64 s18, 0, v201
	v_cmp_gt_i32_e64 s19, 0, v202
	v_not_b32_e32 v201, v202
	v_not_b32_e32 v202, v203
	v_ashrrev_i32_e32 v200, 31, v200
	v_cmp_gt_i32_e64 s20, 0, v203
	v_cmp_gt_i32_e64 s21, 0, v204
	v_not_b32_e32 v203, v204
	v_not_b32_e32 v204, v205
	v_dual_ashrrev_i32 v201, 31, v201 :: v_dual_ashrrev_i32 v202, 31, v202
	s_delay_alu instid0(VALU_DEP_3) | instskip(SKIP_2) | instid1(VALU_DEP_4)
	v_dual_ashrrev_i32 v203, 31, v203 :: v_dual_bitop2_b32 v66, s17, v66 bitop3:0x14
	v_xor_b32_e32 v200, s18, v200
	v_cmp_gt_i32_e64 s22, 0, v205
	v_dual_ashrrev_i32 v204, 31, v204 :: v_dual_bitop2_b32 v201, s19, v201 bitop3:0x14
	v_xor_b32_e32 v202, s20, v202
	s_delay_alu instid0(VALU_DEP_4) | instskip(SKIP_3) | instid1(VALU_DEP_4)
	v_bitop3_b32 v65, v65, v200, v66 bitop3:0x80
	v_mad_u32_u24 v66, v67, 36, v25
	v_xor_b32_e32 v200, s21, v203
	v_xor_b32_e32 v203, s22, v204
	v_bitop3_b32 v65, v65, v202, v201 bitop3:0x80
	ds_load_b32 v201, v66 offset:544
	v_mul_u32_u24_e32 v66, 36, v67
	; wave barrier
	v_bitop3_b32 v65, v65, v203, v200 bitop3:0x80
	s_delay_alu instid0(VALU_DEP_2) | instskip(NEXT) | instid1(VALU_DEP_2)
	v_add_nc_u32_e32 v203, v25, v66
	v_mbcnt_lo_u32_b32 v202, v65, 0
	v_cmp_ne_u32_e64 s17, 0, v65
	s_delay_alu instid0(VALU_DEP_2) | instskip(SKIP_1) | instid1(SALU_CYCLE_1)
	v_cmp_eq_u32_e32 vcc_lo, 0, v202
	s_and_b32 s18, s17, vcc_lo
	s_and_saveexec_b32 s17, s18
	s_cbranch_execz .LBB1422_170
; %bb.169:                              ;   in Loop: Header=BB1422_100 Depth=2
	s_wait_dscnt 0x0
	v_bcnt_u32_b32 v65, v65, v201
	ds_store_b32 v203, v65 offset:544
.LBB1422_170:                           ;   in Loop: Header=BB1422_100 Depth=2
	s_or_b32 exec_lo, exec_lo, s17
	v_cmp_lt_i32_e32 vcc_lo, -1, v64
	; wave barrier
	v_cndmask_b32_e64 v65, -1, 0x80000000, vcc_lo
	s_delay_alu instid0(VALU_DEP_1) | instskip(NEXT) | instid1(VALU_DEP_1)
	v_xor_b32_e32 v200, v65, v64
	v_cmp_ne_u32_e32 vcc_lo, 0x7fffffff, v200
	v_cndmask_b32_e32 v64, 0x80000000, v200, vcc_lo
	s_delay_alu instid0(VALU_DEP_1) | instskip(NEXT) | instid1(VALU_DEP_1)
	v_lshrrev_b32_e32 v64, s48, v64
	v_bitop3_b32 v65, v64, 1, s58 bitop3:0x80
	v_and_b32_e32 v66, s58, v64
	s_delay_alu instid0(VALU_DEP_2) | instskip(NEXT) | instid1(VALU_DEP_1)
	v_add_co_u32 v64, s17, v65, -1
	v_cndmask_b32_e64 v65, 0, 1, s17
	s_delay_alu instid0(VALU_DEP_3) | instskip(NEXT) | instid1(VALU_DEP_2)
	v_lshlrev_b32_e32 v67, 30, v66
	v_cmp_ne_u32_e32 vcc_lo, 0, v65
	s_delay_alu instid0(VALU_DEP_2) | instskip(SKIP_2) | instid1(VALU_DEP_3)
	v_not_b32_e32 v65, v67
	v_cmp_gt_i32_e64 s17, 0, v67
	v_bitop3_b32 v64, vcc_lo, exec_lo, v64 bitop3:0x48
	v_dual_ashrrev_i32 v65, 31, v65 :: v_dual_lshlrev_b32 v204, 29, v66
	v_dual_lshlrev_b32 v205, 28, v66 :: v_dual_lshlrev_b32 v206, 27, v66
	v_lshlrev_b32_e32 v207, 26, v66
	s_delay_alu instid0(VALU_DEP_3)
	v_not_b32_e32 v67, v204
	v_lshlrev_b32_e32 v208, 25, v66
	v_cmp_gt_i32_e64 s18, 0, v204
	v_cmp_gt_i32_e64 s19, 0, v205
	v_not_b32_e32 v204, v205
	v_not_b32_e32 v205, v206
	v_ashrrev_i32_e32 v67, 31, v67
	v_cmp_gt_i32_e64 s20, 0, v206
	v_cmp_gt_i32_e64 s21, 0, v207
	v_not_b32_e32 v206, v207
	v_not_b32_e32 v207, v208
	v_dual_ashrrev_i32 v204, 31, v204 :: v_dual_ashrrev_i32 v205, 31, v205
	s_delay_alu instid0(VALU_DEP_3) | instskip(SKIP_2) | instid1(VALU_DEP_4)
	v_dual_ashrrev_i32 v206, 31, v206 :: v_dual_bitop2_b32 v65, s17, v65 bitop3:0x14
	v_xor_b32_e32 v67, s18, v67
	v_cmp_gt_i32_e64 s22, 0, v208
	v_dual_ashrrev_i32 v207, 31, v207 :: v_dual_bitop2_b32 v204, s19, v204 bitop3:0x14
	v_xor_b32_e32 v205, s20, v205
	s_delay_alu instid0(VALU_DEP_4) | instskip(SKIP_3) | instid1(VALU_DEP_4)
	v_bitop3_b32 v64, v64, v67, v65 bitop3:0x80
	v_mad_u32_u24 v65, v66, 36, v25
	v_xor_b32_e32 v67, s21, v206
	v_xor_b32_e32 v206, s22, v207
	v_bitop3_b32 v64, v64, v205, v204 bitop3:0x80
	ds_load_b32 v204, v65 offset:544
	v_mul_u32_u24_e32 v65, 36, v66
	; wave barrier
	v_bitop3_b32 v64, v64, v206, v67 bitop3:0x80
	s_delay_alu instid0(VALU_DEP_2) | instskip(NEXT) | instid1(VALU_DEP_2)
	v_add_nc_u32_e32 v206, v25, v65
	v_mbcnt_lo_u32_b32 v205, v64, 0
	v_cmp_ne_u32_e64 s17, 0, v64
	s_delay_alu instid0(VALU_DEP_2) | instskip(SKIP_1) | instid1(SALU_CYCLE_1)
	v_cmp_eq_u32_e32 vcc_lo, 0, v205
	s_and_b32 s18, s17, vcc_lo
	s_and_saveexec_b32 s17, s18
	s_cbranch_execz .LBB1422_172
; %bb.171:                              ;   in Loop: Header=BB1422_100 Depth=2
	s_wait_dscnt 0x0
	v_bcnt_u32_b32 v64, v64, v204
	ds_store_b32 v206, v64 offset:544
.LBB1422_172:                           ;   in Loop: Header=BB1422_100 Depth=2
	s_or_b32 exec_lo, exec_lo, s17
	; wave barrier
	s_wait_dscnt 0x0
	s_barrier_signal -1
	s_barrier_wait -1
	ds_load_2addr_b32 v[66:67], v90 offset0:136 offset1:137
	ds_load_2addr_b32 v[64:65], v90 offset0:138 offset1:139
	ds_load_b32 v207, v90 offset:560
	s_wait_dscnt 0x1
	v_add3_u32 v208, v67, v66, v64
	s_wait_dscnt 0x0
	s_delay_alu instid0(VALU_DEP_1) | instskip(NEXT) | instid1(VALU_DEP_1)
	v_add3_u32 v207, v208, v65, v207
	v_mov_b32_dpp v208, v207 row_shr:1 row_mask:0xf bank_mask:0xf
	s_delay_alu instid0(VALU_DEP_1) | instskip(NEXT) | instid1(VALU_DEP_1)
	v_cndmask_b32_e64 v208, v208, 0, s9
	v_add_nc_u32_e32 v207, v208, v207
	s_delay_alu instid0(VALU_DEP_1) | instskip(NEXT) | instid1(VALU_DEP_1)
	v_mov_b32_dpp v208, v207 row_shr:2 row_mask:0xf bank_mask:0xf
	v_cndmask_b32_e64 v208, 0, v208, s10
	s_delay_alu instid0(VALU_DEP_1) | instskip(NEXT) | instid1(VALU_DEP_1)
	v_add_nc_u32_e32 v207, v207, v208
	v_mov_b32_dpp v208, v207 row_shr:4 row_mask:0xf bank_mask:0xf
	s_delay_alu instid0(VALU_DEP_1) | instskip(NEXT) | instid1(VALU_DEP_1)
	v_cndmask_b32_e64 v208, 0, v208, s11
	v_add_nc_u32_e32 v207, v207, v208
	s_delay_alu instid0(VALU_DEP_1) | instskip(NEXT) | instid1(VALU_DEP_1)
	v_mov_b32_dpp v208, v207 row_shr:8 row_mask:0xf bank_mask:0xf
	v_cndmask_b32_e64 v208, 0, v208, s12
	s_delay_alu instid0(VALU_DEP_1) | instskip(SKIP_3) | instid1(VALU_DEP_1)
	v_add_nc_u32_e32 v207, v207, v208
	ds_swizzle_b32 v208, v207 offset:swizzle(BROADCAST,32,15)
	s_wait_dscnt 0x0
	v_cndmask_b32_e64 v208, v208, 0, s13
	v_add_nc_u32_e32 v207, v207, v208
	s_and_saveexec_b32 s17, s2
; %bb.173:                              ;   in Loop: Header=BB1422_100 Depth=2
	ds_store_b32 v83, v207 offset:512
; %bb.174:                              ;   in Loop: Header=BB1422_100 Depth=2
	s_or_b32 exec_lo, exec_lo, s17
	s_wait_dscnt 0x0
	s_barrier_signal -1
	s_barrier_wait -1
	s_and_saveexec_b32 s17, s3
	s_cbranch_execz .LBB1422_176
; %bb.175:                              ;   in Loop: Header=BB1422_100 Depth=2
	ds_load_b32 v208, v92 offset:512
	s_wait_dscnt 0x0
	v_mov_b32_dpp v209, v208 row_shr:1 row_mask:0xf bank_mask:0xf
	s_delay_alu instid0(VALU_DEP_1) | instskip(NEXT) | instid1(VALU_DEP_1)
	v_cndmask_b32_e64 v209, v209, 0, s14
	v_add_nc_u32_e32 v208, v209, v208
	s_delay_alu instid0(VALU_DEP_1) | instskip(NEXT) | instid1(VALU_DEP_1)
	v_mov_b32_dpp v209, v208 row_shr:2 row_mask:0xf bank_mask:0xf
	v_cndmask_b32_e64 v209, 0, v209, s15
	s_delay_alu instid0(VALU_DEP_1) | instskip(NEXT) | instid1(VALU_DEP_1)
	v_add_nc_u32_e32 v208, v208, v209
	v_mov_b32_dpp v209, v208 row_shr:4 row_mask:0xf bank_mask:0xf
	s_delay_alu instid0(VALU_DEP_1) | instskip(NEXT) | instid1(VALU_DEP_1)
	v_cndmask_b32_e64 v209, 0, v209, s16
	v_add_nc_u32_e32 v208, v208, v209
	ds_store_b32 v92, v208 offset:512
.LBB1422_176:                           ;   in Loop: Header=BB1422_100 Depth=2
	s_or_b32 exec_lo, exec_lo, s17
	v_mov_b32_e32 v208, 0
	s_wait_dscnt 0x0
	s_barrier_signal -1
	s_barrier_wait -1
	s_and_saveexec_b32 s17, s5
; %bb.177:                              ;   in Loop: Header=BB1422_100 Depth=2
	ds_load_b32 v208, v83 offset:508
; %bb.178:                              ;   in Loop: Header=BB1422_100 Depth=2
	s_or_b32 exec_lo, exec_lo, s17
	s_wait_dscnt 0x0
	v_add_nc_u32_e32 v207, v208, v207
	ds_bpermute_b32 v207, v119, v207
	s_wait_dscnt 0x0
	v_cndmask_b32_e64 v207, v207, v208, s8
	s_delay_alu instid0(VALU_DEP_1) | instskip(NEXT) | instid1(VALU_DEP_1)
	v_cndmask_b32_e64 v207, v207, 0, s6
	v_add_nc_u32_e32 v66, v207, v66
	s_delay_alu instid0(VALU_DEP_1) | instskip(NEXT) | instid1(VALU_DEP_1)
	v_add_nc_u32_e32 v67, v66, v67
	v_add_nc_u32_e32 v64, v67, v64
	s_delay_alu instid0(VALU_DEP_1)
	v_add_nc_u32_e32 v65, v64, v65
	ds_store_2addr_b32 v90, v207, v66 offset0:136 offset1:137
	ds_store_2addr_b32 v90, v67, v64 offset0:138 offset1:139
	ds_store_b32 v90, v65 offset:560
	s_wait_dscnt 0x0
	s_barrier_signal -1
	s_barrier_wait -1
	ds_load_b32 v66, v143 offset:544
	ds_load_b32 v67, v147 offset:544
	;; [unrolled: 1-line block ×17, first 2 shown]
	s_and_saveexec_b32 s17, s0
	s_cbranch_execz .LBB1422_182
; %bb.179:                              ;   in Loop: Header=BB1422_100 Depth=2
	ds_load_b32 v133, v94 offset:544
	v_mov_b32_e32 v138, 0x1100
	s_and_saveexec_b32 s18, s7
; %bb.180:                              ;   in Loop: Header=BB1422_100 Depth=2
	ds_load_b32 v138, v93 offset:544
; %bb.181:                              ;   in Loop: Header=BB1422_100 Depth=2
	s_or_b32 exec_lo, exec_lo, s18
	s_wait_dscnt 0x0
	v_sub_nc_u32_e32 v138, v138, v133
.LBB1422_182:                           ;   in Loop: Header=BB1422_100 Depth=2
	s_or_b32 exec_lo, exec_lo, s17
	s_wait_dscnt 0x0
	s_barrier_signal -1
	s_barrier_wait -1
	s_and_saveexec_b32 s17, s0
	s_cbranch_execz .LBB1422_184
; %bb.183:                              ;   in Loop: Header=BB1422_100 Depth=2
	ds_load_b32 v152, v4
	s_wait_dscnt 0x0
	v_sub_nc_u32_e32 v152, v152, v133
	ds_store_b32 v4, v152
.LBB1422_184:                           ;   in Loop: Header=BB1422_100 Depth=2
	s_or_b32 exec_lo, exec_lo, s17
	v_add3_u32 v156, v155, v154, v147
	v_add_nc_u32_e32 v162, v66, v141
	v_add3_u32 v161, v146, v145, v67
	v_add3_u32 v157, v150, v149, v143
	;; [unrolled: 1-line block ×4, first 2 shown]
	v_dual_lshlrev_b32 v65, 2, v156 :: v_dual_lshlrev_b32 v159, 2, v162
	v_lshlrev_b32_e32 v160, 2, v161
	v_add3_u32 v154, v165, v164, v207
	v_add3_u32 v152, v170, v169, v172
	;; [unrolled: 1-line block ×4, first 2 shown]
	v_lshlrev_b32_e32 v64, 2, v157
	v_add3_u32 v150, v178, v177, v179
	v_add3_u32 v149, v181, v180, v182
	ds_store_b32 v159, v140 offset:512
	ds_store_b32 v160, v142 offset:512
	v_lshlrev_b32_e32 v140, 2, v155
	v_add3_u32 v147, v185, v184, v186
	v_dual_lshlrev_b32 v142, 2, v154 :: v_dual_lshlrev_b32 v159, 2, v152
	v_add3_u32 v146, v189, v188, v208
	v_add3_u32 v67, v192, v191, v209
	ds_store_b32 v64, v144 offset:512
	ds_store_b32 v65, v148 offset:512
	;; [unrolled: 1-line block ×5, first 2 shown]
	v_dual_lshlrev_b32 v64, 2, v151 :: v_dual_lshlrev_b32 v65, 2, v150
	v_add3_u32 v66, v195, v194, v210
	v_dual_lshlrev_b32 v140, 2, v149 :: v_dual_lshlrev_b32 v142, 2, v147
	v_add3_u32 v141, v205, v204, v167
	v_lshlrev_b32_e32 v144, 2, v146
	ds_store_b32 v64, v168 offset:512
	ds_store_b32 v65, v173 offset:512
	;; [unrolled: 1-line block ×5, first 2 shown]
	v_lshlrev_b32_e32 v64, 2, v67
	v_cmp_lt_u32_e32 vcc_lo, v2, v139
	v_dual_lshlrev_b32 v65, 2, v66 :: v_dual_lshlrev_b32 v140, 2, v145
	v_dual_lshlrev_b32 v142, 2, v143 :: v_dual_lshlrev_b32 v144, 2, v141
	ds_store_b32 v64, v187 offset:512
	ds_store_b32 v65, v190 offset:512
	ds_store_b32 v140, v193 offset:512
	ds_store_b32 v142, v196 offset:512
	ds_store_b32 v144, v200 offset:512
	s_wait_dscnt 0x0
	s_barrier_signal -1
	s_barrier_wait -1
	s_and_saveexec_b32 s18, vcc_lo
	s_cbranch_execnz .LBB1422_257
; %bb.185:                              ;   in Loop: Header=BB1422_100 Depth=2
	s_or_b32 exec_lo, exec_lo, s18
	v_cmp_lt_u32_e64 s17, v3, v139
	s_and_saveexec_b32 s19, s17
	s_cbranch_execnz .LBB1422_258
.LBB1422_186:                           ;   in Loop: Header=BB1422_100 Depth=2
	s_or_b32 exec_lo, exec_lo, s19
	v_cmp_lt_u32_e64 s18, v68, v139
	s_and_saveexec_b32 s20, s18
	s_cbranch_execnz .LBB1422_259
.LBB1422_187:                           ;   in Loop: Header=BB1422_100 Depth=2
	s_or_b32 exec_lo, exec_lo, s20
	v_cmp_lt_u32_e64 s19, v69, v139
	s_and_saveexec_b32 s21, s19
	s_cbranch_execnz .LBB1422_260
.LBB1422_188:                           ;   in Loop: Header=BB1422_100 Depth=2
	s_or_b32 exec_lo, exec_lo, s21
	v_cmp_lt_u32_e64 s20, v70, v139
	s_and_saveexec_b32 s22, s20
	s_cbranch_execnz .LBB1422_261
.LBB1422_189:                           ;   in Loop: Header=BB1422_100 Depth=2
	s_or_b32 exec_lo, exec_lo, s22
	v_cmp_lt_u32_e64 s21, v71, v139
	s_and_saveexec_b32 s23, s21
	s_cbranch_execnz .LBB1422_262
.LBB1422_190:                           ;   in Loop: Header=BB1422_100 Depth=2
	s_or_b32 exec_lo, exec_lo, s23
	v_cmp_lt_u32_e64 s22, v72, v139
	s_and_saveexec_b32 s24, s22
	s_cbranch_execnz .LBB1422_263
.LBB1422_191:                           ;   in Loop: Header=BB1422_100 Depth=2
	s_or_b32 exec_lo, exec_lo, s24
	v_cmp_lt_u32_e64 s23, v73, v139
	s_and_saveexec_b32 s25, s23
	s_cbranch_execnz .LBB1422_264
.LBB1422_192:                           ;   in Loop: Header=BB1422_100 Depth=2
	s_or_b32 exec_lo, exec_lo, s25
	v_cmp_lt_u32_e64 s24, v74, v139
	s_and_saveexec_b32 s26, s24
	s_cbranch_execnz .LBB1422_265
.LBB1422_193:                           ;   in Loop: Header=BB1422_100 Depth=2
	s_or_b32 exec_lo, exec_lo, s26
	v_cmp_lt_u32_e64 s25, v75, v139
	s_and_saveexec_b32 s27, s25
	s_cbranch_execnz .LBB1422_266
.LBB1422_194:                           ;   in Loop: Header=BB1422_100 Depth=2
	s_or_b32 exec_lo, exec_lo, s27
	v_cmp_lt_u32_e64 s26, v76, v139
	s_and_saveexec_b32 s28, s26
	s_cbranch_execnz .LBB1422_267
.LBB1422_195:                           ;   in Loop: Header=BB1422_100 Depth=2
	s_or_b32 exec_lo, exec_lo, s28
	v_cmp_lt_u32_e64 s27, v77, v139
	s_and_saveexec_b32 s29, s27
	s_cbranch_execnz .LBB1422_268
.LBB1422_196:                           ;   in Loop: Header=BB1422_100 Depth=2
	s_or_b32 exec_lo, exec_lo, s29
	v_cmp_lt_u32_e64 s28, v78, v139
	s_and_saveexec_b32 s30, s28
	s_cbranch_execnz .LBB1422_269
.LBB1422_197:                           ;   in Loop: Header=BB1422_100 Depth=2
	s_or_b32 exec_lo, exec_lo, s30
	v_cmp_lt_u32_e64 s29, v79, v139
	s_and_saveexec_b32 s31, s29
	s_cbranch_execnz .LBB1422_270
.LBB1422_198:                           ;   in Loop: Header=BB1422_100 Depth=2
	s_or_b32 exec_lo, exec_lo, s31
	v_cmp_lt_u32_e64 s30, v80, v139
	s_and_saveexec_b32 s33, s30
	s_cbranch_execnz .LBB1422_271
.LBB1422_199:                           ;   in Loop: Header=BB1422_100 Depth=2
	s_or_b32 exec_lo, exec_lo, s33
	v_cmp_lt_u32_e64 s31, v81, v139
	s_and_saveexec_b32 s34, s31
	s_cbranch_execnz .LBB1422_272
.LBB1422_200:                           ;   in Loop: Header=BB1422_100 Depth=2
	s_or_b32 exec_lo, exec_lo, s34
	v_cmp_lt_u32_e64 s33, v82, v139
	s_and_saveexec_b32 s61, s33
	s_cbranch_execz .LBB1422_202
.LBB1422_201:                           ;   in Loop: Header=BB1422_100 Depth=2
	ds_load_b32 v64, v92 offset:16896
	s_wait_dscnt 0x0
	v_cmp_ne_u32_e64 s34, 0x7fffffff, v64
	s_delay_alu instid0(VALU_DEP_1) | instskip(SKIP_1) | instid1(VALU_DEP_1)
	v_cndmask_b32_e64 v65, 0x80000000, v64, s34
	v_cmp_lt_i32_e64 s34, -1, v64
	v_cndmask_b32_e64 v140, 0x80000000, -1, s34
	s_delay_alu instid0(VALU_DEP_1) | instskip(NEXT) | instid1(VALU_DEP_1)
	v_dual_lshrrev_b32 v65, s48, v65 :: v_dual_bitop2_b32 v64, v140, v64 bitop3:0x14
	v_and_b32_e32 v65, s58, v65
	s_delay_alu instid0(VALU_DEP_1)
	v_lshlrev_b32_e32 v65, 2, v65
	ds_load_b32 v65, v65
	s_wait_dscnt 0x0
	v_add_nc_u32_e32 v65, v65, v82
	global_store_b32 v65, v64, s[38:39] scale_offset
.LBB1422_202:                           ;   in Loop: Header=BB1422_100 Depth=2
	s_wait_xcnt 0x0
	s_or_b32 exec_lo, exec_lo, s61
	v_lshl_add_u64 v[64:65], s[42:43], 3, v[26:27]
	v_cmp_lt_u32_e64 s34, v101, v139
	s_and_saveexec_b32 s42, s34
	s_delay_alu instid0(SALU_CYCLE_1)
	s_xor_b32 s34, exec_lo, s42
	s_cbranch_execnz .LBB1422_273
; %bb.203:                              ;   in Loop: Header=BB1422_100 Depth=2
	s_or_b32 exec_lo, exec_lo, s34
	s_delay_alu instid0(SALU_CYCLE_1)
	s_mov_b32 s42, exec_lo
	v_cmpx_lt_u32_e64 v104, v139
	s_cbranch_execnz .LBB1422_274
.LBB1422_204:                           ;   in Loop: Header=BB1422_100 Depth=2
	s_or_b32 exec_lo, exec_lo, s42
	s_delay_alu instid0(SALU_CYCLE_1)
	s_mov_b32 s42, exec_lo
	v_cmpx_lt_u32_e64 v105, v139
	s_cbranch_execnz .LBB1422_275
.LBB1422_205:                           ;   in Loop: Header=BB1422_100 Depth=2
	s_or_b32 exec_lo, exec_lo, s42
	s_delay_alu instid0(SALU_CYCLE_1)
	s_mov_b32 s42, exec_lo
	v_cmpx_lt_u32_e64 v106, v139
	s_cbranch_execnz .LBB1422_276
.LBB1422_206:                           ;   in Loop: Header=BB1422_100 Depth=2
	s_or_b32 exec_lo, exec_lo, s42
	s_delay_alu instid0(SALU_CYCLE_1)
	s_mov_b32 s42, exec_lo
	v_cmpx_lt_u32_e64 v107, v139
	s_cbranch_execnz .LBB1422_277
.LBB1422_207:                           ;   in Loop: Header=BB1422_100 Depth=2
	s_or_b32 exec_lo, exec_lo, s42
	s_delay_alu instid0(SALU_CYCLE_1)
	s_mov_b32 s42, exec_lo
	v_cmpx_lt_u32_e64 v108, v139
	s_cbranch_execnz .LBB1422_278
.LBB1422_208:                           ;   in Loop: Header=BB1422_100 Depth=2
	s_or_b32 exec_lo, exec_lo, s42
	s_delay_alu instid0(SALU_CYCLE_1)
	s_mov_b32 s42, exec_lo
	v_cmpx_lt_u32_e64 v109, v139
	s_cbranch_execnz .LBB1422_279
.LBB1422_209:                           ;   in Loop: Header=BB1422_100 Depth=2
	s_or_b32 exec_lo, exec_lo, s42
	s_delay_alu instid0(SALU_CYCLE_1)
	s_mov_b32 s42, exec_lo
	v_cmpx_lt_u32_e64 v110, v139
	s_cbranch_execnz .LBB1422_280
.LBB1422_210:                           ;   in Loop: Header=BB1422_100 Depth=2
	s_or_b32 exec_lo, exec_lo, s42
	s_delay_alu instid0(SALU_CYCLE_1)
	s_mov_b32 s42, exec_lo
	v_cmpx_lt_u32_e64 v111, v139
	s_cbranch_execnz .LBB1422_281
.LBB1422_211:                           ;   in Loop: Header=BB1422_100 Depth=2
	s_or_b32 exec_lo, exec_lo, s42
	s_delay_alu instid0(SALU_CYCLE_1)
	s_mov_b32 s42, exec_lo
	v_cmpx_lt_u32_e64 v112, v139
	s_cbranch_execnz .LBB1422_282
.LBB1422_212:                           ;   in Loop: Header=BB1422_100 Depth=2
	s_or_b32 exec_lo, exec_lo, s42
	s_delay_alu instid0(SALU_CYCLE_1)
	s_mov_b32 s42, exec_lo
	v_cmpx_lt_u32_e64 v113, v139
	s_cbranch_execnz .LBB1422_283
.LBB1422_213:                           ;   in Loop: Header=BB1422_100 Depth=2
	s_or_b32 exec_lo, exec_lo, s42
	s_delay_alu instid0(SALU_CYCLE_1)
	s_mov_b32 s42, exec_lo
	v_cmpx_lt_u32_e64 v114, v139
	s_cbranch_execnz .LBB1422_284
.LBB1422_214:                           ;   in Loop: Header=BB1422_100 Depth=2
	s_or_b32 exec_lo, exec_lo, s42
	s_delay_alu instid0(SALU_CYCLE_1)
	s_mov_b32 s42, exec_lo
	v_cmpx_lt_u32_e64 v115, v139
	s_cbranch_execnz .LBB1422_285
.LBB1422_215:                           ;   in Loop: Header=BB1422_100 Depth=2
	s_or_b32 exec_lo, exec_lo, s42
	s_delay_alu instid0(SALU_CYCLE_1)
	s_mov_b32 s42, exec_lo
	v_cmpx_lt_u32_e64 v116, v139
	s_cbranch_execnz .LBB1422_286
.LBB1422_216:                           ;   in Loop: Header=BB1422_100 Depth=2
	s_or_b32 exec_lo, exec_lo, s42
	s_delay_alu instid0(SALU_CYCLE_1)
	s_mov_b32 s42, exec_lo
	v_cmpx_lt_u32_e64 v117, v139
	s_cbranch_execnz .LBB1422_287
.LBB1422_217:                           ;   in Loop: Header=BB1422_100 Depth=2
	s_or_b32 exec_lo, exec_lo, s42
	s_delay_alu instid0(SALU_CYCLE_1)
	s_mov_b32 s42, exec_lo
	v_cmpx_lt_u32_e64 v118, v139
	s_cbranch_execnz .LBB1422_288
.LBB1422_218:                           ;   in Loop: Header=BB1422_100 Depth=2
	s_or_b32 exec_lo, exec_lo, s42
	s_delay_alu instid0(SALU_CYCLE_1)
	s_mov_b32 s42, exec_lo
	v_cmpx_lt_u32_e64 v5, v139
	s_cbranch_execnz .LBB1422_289
.LBB1422_219:                           ;   in Loop: Header=BB1422_100 Depth=2
	s_or_b32 exec_lo, exec_lo, s42
	s_and_saveexec_b32 s42, vcc_lo
	s_cbranch_execnz .LBB1422_290
.LBB1422_220:                           ;   in Loop: Header=BB1422_100 Depth=2
	s_or_b32 exec_lo, exec_lo, s42
	s_and_saveexec_b32 s42, s17
	s_cbranch_execnz .LBB1422_291
.LBB1422_221:                           ;   in Loop: Header=BB1422_100 Depth=2
	s_or_b32 exec_lo, exec_lo, s42
	s_and_saveexec_b32 s42, s18
	s_cbranch_execnz .LBB1422_292
.LBB1422_222:                           ;   in Loop: Header=BB1422_100 Depth=2
	s_or_b32 exec_lo, exec_lo, s42
	s_and_saveexec_b32 s42, s19
	s_cbranch_execnz .LBB1422_293
.LBB1422_223:                           ;   in Loop: Header=BB1422_100 Depth=2
	s_or_b32 exec_lo, exec_lo, s42
	s_and_saveexec_b32 s42, s20
	s_cbranch_execnz .LBB1422_294
.LBB1422_224:                           ;   in Loop: Header=BB1422_100 Depth=2
	s_or_b32 exec_lo, exec_lo, s42
	s_and_saveexec_b32 s42, s21
	s_cbranch_execnz .LBB1422_295
.LBB1422_225:                           ;   in Loop: Header=BB1422_100 Depth=2
	s_or_b32 exec_lo, exec_lo, s42
	s_and_saveexec_b32 s42, s22
	s_cbranch_execnz .LBB1422_296
.LBB1422_226:                           ;   in Loop: Header=BB1422_100 Depth=2
	s_or_b32 exec_lo, exec_lo, s42
	s_and_saveexec_b32 s42, s23
	s_cbranch_execnz .LBB1422_297
.LBB1422_227:                           ;   in Loop: Header=BB1422_100 Depth=2
	s_or_b32 exec_lo, exec_lo, s42
	s_and_saveexec_b32 s42, s24
	s_cbranch_execnz .LBB1422_298
.LBB1422_228:                           ;   in Loop: Header=BB1422_100 Depth=2
	s_or_b32 exec_lo, exec_lo, s42
	s_and_saveexec_b32 s42, s25
	s_cbranch_execnz .LBB1422_299
.LBB1422_229:                           ;   in Loop: Header=BB1422_100 Depth=2
	s_or_b32 exec_lo, exec_lo, s42
	s_and_saveexec_b32 s42, s26
	s_cbranch_execnz .LBB1422_300
.LBB1422_230:                           ;   in Loop: Header=BB1422_100 Depth=2
	s_or_b32 exec_lo, exec_lo, s42
	s_and_saveexec_b32 s42, s27
	s_cbranch_execnz .LBB1422_301
.LBB1422_231:                           ;   in Loop: Header=BB1422_100 Depth=2
	s_or_b32 exec_lo, exec_lo, s42
	s_and_saveexec_b32 s42, s28
	s_cbranch_execnz .LBB1422_302
.LBB1422_232:                           ;   in Loop: Header=BB1422_100 Depth=2
	s_or_b32 exec_lo, exec_lo, s42
	s_and_saveexec_b32 s42, s29
	s_cbranch_execnz .LBB1422_303
.LBB1422_233:                           ;   in Loop: Header=BB1422_100 Depth=2
	s_or_b32 exec_lo, exec_lo, s42
	s_and_saveexec_b32 s42, s30
	s_cbranch_execnz .LBB1422_304
.LBB1422_234:                           ;   in Loop: Header=BB1422_100 Depth=2
	s_or_b32 exec_lo, exec_lo, s42
	s_and_saveexec_b32 s42, s31
	s_cbranch_execnz .LBB1422_305
.LBB1422_235:                           ;   in Loop: Header=BB1422_100 Depth=2
	s_or_b32 exec_lo, exec_lo, s42
	s_and_saveexec_b32 s42, s33
	s_cbranch_execz .LBB1422_237
.LBB1422_236:                           ;   in Loop: Header=BB1422_100 Depth=2
	ds_load_b32 v64, v92 offset:16896
	s_wait_dscnt 0x0
	v_cmp_ne_u32_e64 s34, 0x7fffffff, v64
	s_delay_alu instid0(VALU_DEP_1) | instskip(NEXT) | instid1(VALU_DEP_1)
	v_cndmask_b32_e64 v64, 0x80000000, v64, s34
	v_lshrrev_b32_e32 v64, s48, v64
	s_delay_alu instid0(VALU_DEP_1)
	v_and_b32_e32 v120, s58, v64
.LBB1422_237:                           ;   in Loop: Header=BB1422_100 Depth=2
	s_or_b32 exec_lo, exec_lo, s42
	v_dual_lshlrev_b32 v64, 3, v162 :: v_dual_lshlrev_b32 v65, 3, v161
	s_wait_loadcnt 0x0
	s_wait_storecnt 0x0
	s_barrier_signal -1
	s_barrier_wait -1
	ds_store_b64 v64, v[62:63] offset:512
	ds_store_b64 v65, v[60:61] offset:512
	v_dual_lshlrev_b32 v64, 3, v157 :: v_dual_lshlrev_b32 v65, 3, v156
	v_dual_lshlrev_b32 v139, 3, v155 :: v_dual_lshlrev_b32 v140, 3, v154
	v_lshlrev_b32_e32 v142, 3, v152
	ds_store_b64 v64, v[58:59] offset:512
	ds_store_b64 v65, v[56:57] offset:512
	ds_store_b64 v139, v[54:55] offset:512
	ds_store_b64 v140, v[52:53] offset:512
	ds_store_b64 v142, v[50:51] offset:512
	v_dual_lshlrev_b32 v64, 3, v151 :: v_dual_lshlrev_b32 v65, 3, v150
	v_dual_lshlrev_b32 v139, 3, v149 :: v_dual_lshlrev_b32 v140, 3, v147
	v_lshlrev_b32_e32 v142, 3, v146
	ds_store_b64 v64, v[48:49] offset:512
	ds_store_b64 v65, v[46:47] offset:512
	ds_store_b64 v139, v[44:45] offset:512
	;; [unrolled: 8-line block ×3, first 2 shown]
	ds_store_b64 v67, v[32:33] offset:512
	ds_store_b64 v139, v[30:31] offset:512
	s_wait_dscnt 0x0
	s_barrier_signal -1
	s_barrier_wait -1
	s_and_saveexec_b32 s34, vcc_lo
	s_cbranch_execnz .LBB1422_306
; %bb.238:                              ;   in Loop: Header=BB1422_100 Depth=2
	s_or_b32 exec_lo, exec_lo, s34
	s_and_saveexec_b32 s34, s17
	s_cbranch_execnz .LBB1422_307
.LBB1422_239:                           ;   in Loop: Header=BB1422_100 Depth=2
	s_or_b32 exec_lo, exec_lo, s34
	s_and_saveexec_b32 s17, s18
	s_cbranch_execnz .LBB1422_308
.LBB1422_240:                           ;   in Loop: Header=BB1422_100 Depth=2
	s_or_b32 exec_lo, exec_lo, s17
	s_and_saveexec_b32 s17, s19
	s_cbranch_execnz .LBB1422_309
.LBB1422_241:                           ;   in Loop: Header=BB1422_100 Depth=2
	s_or_b32 exec_lo, exec_lo, s17
	s_and_saveexec_b32 s17, s20
	s_cbranch_execnz .LBB1422_310
.LBB1422_242:                           ;   in Loop: Header=BB1422_100 Depth=2
	s_or_b32 exec_lo, exec_lo, s17
	s_and_saveexec_b32 s17, s21
	s_cbranch_execnz .LBB1422_311
.LBB1422_243:                           ;   in Loop: Header=BB1422_100 Depth=2
	s_or_b32 exec_lo, exec_lo, s17
	s_and_saveexec_b32 s17, s22
	s_cbranch_execnz .LBB1422_312
.LBB1422_244:                           ;   in Loop: Header=BB1422_100 Depth=2
	s_or_b32 exec_lo, exec_lo, s17
	s_and_saveexec_b32 s17, s23
	s_cbranch_execnz .LBB1422_313
.LBB1422_245:                           ;   in Loop: Header=BB1422_100 Depth=2
	s_or_b32 exec_lo, exec_lo, s17
	s_and_saveexec_b32 s17, s24
	s_cbranch_execnz .LBB1422_314
.LBB1422_246:                           ;   in Loop: Header=BB1422_100 Depth=2
	s_or_b32 exec_lo, exec_lo, s17
	s_and_saveexec_b32 s17, s25
	s_cbranch_execnz .LBB1422_315
.LBB1422_247:                           ;   in Loop: Header=BB1422_100 Depth=2
	s_or_b32 exec_lo, exec_lo, s17
	s_and_saveexec_b32 s17, s26
	s_cbranch_execnz .LBB1422_316
.LBB1422_248:                           ;   in Loop: Header=BB1422_100 Depth=2
	s_or_b32 exec_lo, exec_lo, s17
	s_and_saveexec_b32 s17, s27
	s_cbranch_execnz .LBB1422_317
.LBB1422_249:                           ;   in Loop: Header=BB1422_100 Depth=2
	s_or_b32 exec_lo, exec_lo, s17
	s_and_saveexec_b32 s17, s28
	s_cbranch_execnz .LBB1422_318
.LBB1422_250:                           ;   in Loop: Header=BB1422_100 Depth=2
	s_or_b32 exec_lo, exec_lo, s17
	s_and_saveexec_b32 s17, s29
	s_cbranch_execnz .LBB1422_319
.LBB1422_251:                           ;   in Loop: Header=BB1422_100 Depth=2
	s_or_b32 exec_lo, exec_lo, s17
	s_and_saveexec_b32 s17, s30
	s_cbranch_execnz .LBB1422_320
.LBB1422_252:                           ;   in Loop: Header=BB1422_100 Depth=2
	s_or_b32 exec_lo, exec_lo, s17
	s_and_saveexec_b32 s17, s31
	s_cbranch_execnz .LBB1422_321
.LBB1422_253:                           ;   in Loop: Header=BB1422_100 Depth=2
	s_or_b32 exec_lo, exec_lo, s17
	s_and_saveexec_b32 s17, s33
	s_cbranch_execz .LBB1422_255
.LBB1422_254:                           ;   in Loop: Header=BB1422_100 Depth=2
	v_lshlrev_b32_e32 v64, 2, v120
	v_add_nc_u32_e32 v65, v92, v4
	ds_load_b32 v66, v64
	ds_load_b64 v[64:65], v65 offset:33280
	s_wait_dscnt 0x1
	v_add_nc_u32_e32 v66, v66, v82
	s_wait_dscnt 0x0
	global_store_b64 v66, v[64:65], s[44:45] scale_offset
.LBB1422_255:                           ;   in Loop: Header=BB1422_100 Depth=2
	s_wait_xcnt 0x0
	s_or_b32 exec_lo, exec_lo, s17
	s_wait_storecnt 0x0
	s_barrier_signal -1
	s_barrier_wait -1
	s_and_saveexec_b32 s17, s0
	s_cbranch_execz .LBB1422_99
; %bb.256:                              ;   in Loop: Header=BB1422_100 Depth=2
	ds_load_b32 v64, v4
	s_wait_dscnt 0x0
	v_add3_u32 v64, v133, v138, v64
	ds_store_b32 v4, v64
	s_branch .LBB1422_99
.LBB1422_257:                           ;   in Loop: Header=BB1422_100 Depth=2
	ds_load_b32 v64, v92 offset:512
	s_wait_dscnt 0x0
	v_cmp_ne_u32_e64 s17, 0x7fffffff, v64
	s_delay_alu instid0(VALU_DEP_1) | instskip(SKIP_1) | instid1(VALU_DEP_1)
	v_cndmask_b32_e64 v65, 0x80000000, v64, s17
	v_cmp_lt_i32_e64 s17, -1, v64
	v_cndmask_b32_e64 v140, 0x80000000, -1, s17
	s_delay_alu instid0(VALU_DEP_1) | instskip(NEXT) | instid1(VALU_DEP_1)
	v_dual_lshrrev_b32 v65, s48, v65 :: v_dual_bitop2_b32 v64, v140, v64 bitop3:0x14
	v_and_b32_e32 v65, s58, v65
	s_delay_alu instid0(VALU_DEP_1)
	v_lshlrev_b32_e32 v65, 2, v65
	ds_load_b32 v65, v65
	s_wait_dscnt 0x0
	v_add_nc_u32_e32 v65, v65, v2
	global_store_b32 v65, v64, s[38:39] scale_offset
	s_wait_xcnt 0x0
	s_or_b32 exec_lo, exec_lo, s18
	v_cmp_lt_u32_e64 s17, v3, v139
	s_and_saveexec_b32 s19, s17
	s_cbranch_execz .LBB1422_186
.LBB1422_258:                           ;   in Loop: Header=BB1422_100 Depth=2
	ds_load_b32 v64, v92 offset:1536
	s_wait_dscnt 0x0
	v_cmp_ne_u32_e64 s18, 0x7fffffff, v64
	s_delay_alu instid0(VALU_DEP_1) | instskip(SKIP_1) | instid1(VALU_DEP_1)
	v_cndmask_b32_e64 v65, 0x80000000, v64, s18
	v_cmp_lt_i32_e64 s18, -1, v64
	v_cndmask_b32_e64 v140, 0x80000000, -1, s18
	s_delay_alu instid0(VALU_DEP_1) | instskip(NEXT) | instid1(VALU_DEP_1)
	v_dual_lshrrev_b32 v65, s48, v65 :: v_dual_bitop2_b32 v64, v140, v64 bitop3:0x14
	v_and_b32_e32 v65, s58, v65
	s_delay_alu instid0(VALU_DEP_1)
	v_lshlrev_b32_e32 v65, 2, v65
	ds_load_b32 v65, v65
	s_wait_dscnt 0x0
	v_add_nc_u32_e32 v65, v65, v3
	global_store_b32 v65, v64, s[38:39] scale_offset
	s_wait_xcnt 0x0
	s_or_b32 exec_lo, exec_lo, s19
	v_cmp_lt_u32_e64 s18, v68, v139
	s_and_saveexec_b32 s20, s18
	s_cbranch_execz .LBB1422_187
.LBB1422_259:                           ;   in Loop: Header=BB1422_100 Depth=2
	ds_load_b32 v64, v92 offset:2560
	s_wait_dscnt 0x0
	v_cmp_ne_u32_e64 s19, 0x7fffffff, v64
	s_delay_alu instid0(VALU_DEP_1) | instskip(SKIP_1) | instid1(VALU_DEP_1)
	v_cndmask_b32_e64 v65, 0x80000000, v64, s19
	v_cmp_lt_i32_e64 s19, -1, v64
	v_cndmask_b32_e64 v140, 0x80000000, -1, s19
	s_delay_alu instid0(VALU_DEP_1) | instskip(NEXT) | instid1(VALU_DEP_1)
	v_dual_lshrrev_b32 v65, s48, v65 :: v_dual_bitop2_b32 v64, v140, v64 bitop3:0x14
	v_and_b32_e32 v65, s58, v65
	s_delay_alu instid0(VALU_DEP_1)
	v_lshlrev_b32_e32 v65, 2, v65
	ds_load_b32 v65, v65
	s_wait_dscnt 0x0
	v_add_nc_u32_e32 v65, v65, v68
	global_store_b32 v65, v64, s[38:39] scale_offset
	s_wait_xcnt 0x0
	s_or_b32 exec_lo, exec_lo, s20
	v_cmp_lt_u32_e64 s19, v69, v139
	s_and_saveexec_b32 s21, s19
	s_cbranch_execz .LBB1422_188
.LBB1422_260:                           ;   in Loop: Header=BB1422_100 Depth=2
	ds_load_b32 v64, v92 offset:3584
	s_wait_dscnt 0x0
	v_cmp_ne_u32_e64 s20, 0x7fffffff, v64
	s_delay_alu instid0(VALU_DEP_1) | instskip(SKIP_1) | instid1(VALU_DEP_1)
	v_cndmask_b32_e64 v65, 0x80000000, v64, s20
	v_cmp_lt_i32_e64 s20, -1, v64
	v_cndmask_b32_e64 v140, 0x80000000, -1, s20
	s_delay_alu instid0(VALU_DEP_1) | instskip(NEXT) | instid1(VALU_DEP_1)
	v_dual_lshrrev_b32 v65, s48, v65 :: v_dual_bitop2_b32 v64, v140, v64 bitop3:0x14
	v_and_b32_e32 v65, s58, v65
	s_delay_alu instid0(VALU_DEP_1)
	v_lshlrev_b32_e32 v65, 2, v65
	ds_load_b32 v65, v65
	s_wait_dscnt 0x0
	v_add_nc_u32_e32 v65, v65, v69
	global_store_b32 v65, v64, s[38:39] scale_offset
	s_wait_xcnt 0x0
	s_or_b32 exec_lo, exec_lo, s21
	v_cmp_lt_u32_e64 s20, v70, v139
	s_and_saveexec_b32 s22, s20
	s_cbranch_execz .LBB1422_189
.LBB1422_261:                           ;   in Loop: Header=BB1422_100 Depth=2
	ds_load_b32 v64, v92 offset:4608
	s_wait_dscnt 0x0
	v_cmp_ne_u32_e64 s21, 0x7fffffff, v64
	s_delay_alu instid0(VALU_DEP_1) | instskip(SKIP_1) | instid1(VALU_DEP_1)
	v_cndmask_b32_e64 v65, 0x80000000, v64, s21
	v_cmp_lt_i32_e64 s21, -1, v64
	v_cndmask_b32_e64 v140, 0x80000000, -1, s21
	s_delay_alu instid0(VALU_DEP_1) | instskip(NEXT) | instid1(VALU_DEP_1)
	v_dual_lshrrev_b32 v65, s48, v65 :: v_dual_bitop2_b32 v64, v140, v64 bitop3:0x14
	v_and_b32_e32 v65, s58, v65
	s_delay_alu instid0(VALU_DEP_1)
	v_lshlrev_b32_e32 v65, 2, v65
	ds_load_b32 v65, v65
	s_wait_dscnt 0x0
	v_add_nc_u32_e32 v65, v65, v70
	global_store_b32 v65, v64, s[38:39] scale_offset
	s_wait_xcnt 0x0
	s_or_b32 exec_lo, exec_lo, s22
	v_cmp_lt_u32_e64 s21, v71, v139
	s_and_saveexec_b32 s23, s21
	s_cbranch_execz .LBB1422_190
.LBB1422_262:                           ;   in Loop: Header=BB1422_100 Depth=2
	ds_load_b32 v64, v92 offset:5632
	s_wait_dscnt 0x0
	v_cmp_ne_u32_e64 s22, 0x7fffffff, v64
	s_delay_alu instid0(VALU_DEP_1) | instskip(SKIP_1) | instid1(VALU_DEP_1)
	v_cndmask_b32_e64 v65, 0x80000000, v64, s22
	v_cmp_lt_i32_e64 s22, -1, v64
	v_cndmask_b32_e64 v140, 0x80000000, -1, s22
	s_delay_alu instid0(VALU_DEP_1) | instskip(NEXT) | instid1(VALU_DEP_1)
	v_dual_lshrrev_b32 v65, s48, v65 :: v_dual_bitop2_b32 v64, v140, v64 bitop3:0x14
	v_and_b32_e32 v65, s58, v65
	s_delay_alu instid0(VALU_DEP_1)
	v_lshlrev_b32_e32 v65, 2, v65
	ds_load_b32 v65, v65
	s_wait_dscnt 0x0
	v_add_nc_u32_e32 v65, v65, v71
	global_store_b32 v65, v64, s[38:39] scale_offset
	s_wait_xcnt 0x0
	s_or_b32 exec_lo, exec_lo, s23
	v_cmp_lt_u32_e64 s22, v72, v139
	s_and_saveexec_b32 s24, s22
	s_cbranch_execz .LBB1422_191
.LBB1422_263:                           ;   in Loop: Header=BB1422_100 Depth=2
	ds_load_b32 v64, v92 offset:6656
	s_wait_dscnt 0x0
	v_cmp_ne_u32_e64 s23, 0x7fffffff, v64
	s_delay_alu instid0(VALU_DEP_1) | instskip(SKIP_1) | instid1(VALU_DEP_1)
	v_cndmask_b32_e64 v65, 0x80000000, v64, s23
	v_cmp_lt_i32_e64 s23, -1, v64
	v_cndmask_b32_e64 v140, 0x80000000, -1, s23
	s_delay_alu instid0(VALU_DEP_1) | instskip(NEXT) | instid1(VALU_DEP_1)
	v_dual_lshrrev_b32 v65, s48, v65 :: v_dual_bitop2_b32 v64, v140, v64 bitop3:0x14
	v_and_b32_e32 v65, s58, v65
	s_delay_alu instid0(VALU_DEP_1)
	v_lshlrev_b32_e32 v65, 2, v65
	ds_load_b32 v65, v65
	s_wait_dscnt 0x0
	v_add_nc_u32_e32 v65, v65, v72
	global_store_b32 v65, v64, s[38:39] scale_offset
	s_wait_xcnt 0x0
	s_or_b32 exec_lo, exec_lo, s24
	v_cmp_lt_u32_e64 s23, v73, v139
	s_and_saveexec_b32 s25, s23
	s_cbranch_execz .LBB1422_192
.LBB1422_264:                           ;   in Loop: Header=BB1422_100 Depth=2
	ds_load_b32 v64, v92 offset:7680
	s_wait_dscnt 0x0
	v_cmp_ne_u32_e64 s24, 0x7fffffff, v64
	s_delay_alu instid0(VALU_DEP_1) | instskip(SKIP_1) | instid1(VALU_DEP_1)
	v_cndmask_b32_e64 v65, 0x80000000, v64, s24
	v_cmp_lt_i32_e64 s24, -1, v64
	v_cndmask_b32_e64 v140, 0x80000000, -1, s24
	s_delay_alu instid0(VALU_DEP_1) | instskip(NEXT) | instid1(VALU_DEP_1)
	v_dual_lshrrev_b32 v65, s48, v65 :: v_dual_bitop2_b32 v64, v140, v64 bitop3:0x14
	v_and_b32_e32 v65, s58, v65
	s_delay_alu instid0(VALU_DEP_1)
	v_lshlrev_b32_e32 v65, 2, v65
	ds_load_b32 v65, v65
	s_wait_dscnt 0x0
	v_add_nc_u32_e32 v65, v65, v73
	global_store_b32 v65, v64, s[38:39] scale_offset
	s_wait_xcnt 0x0
	s_or_b32 exec_lo, exec_lo, s25
	v_cmp_lt_u32_e64 s24, v74, v139
	s_and_saveexec_b32 s26, s24
	s_cbranch_execz .LBB1422_193
.LBB1422_265:                           ;   in Loop: Header=BB1422_100 Depth=2
	ds_load_b32 v64, v92 offset:8704
	s_wait_dscnt 0x0
	v_cmp_ne_u32_e64 s25, 0x7fffffff, v64
	s_delay_alu instid0(VALU_DEP_1) | instskip(SKIP_1) | instid1(VALU_DEP_1)
	v_cndmask_b32_e64 v65, 0x80000000, v64, s25
	v_cmp_lt_i32_e64 s25, -1, v64
	v_cndmask_b32_e64 v140, 0x80000000, -1, s25
	s_delay_alu instid0(VALU_DEP_1) | instskip(NEXT) | instid1(VALU_DEP_1)
	v_dual_lshrrev_b32 v65, s48, v65 :: v_dual_bitop2_b32 v64, v140, v64 bitop3:0x14
	v_and_b32_e32 v65, s58, v65
	s_delay_alu instid0(VALU_DEP_1)
	v_lshlrev_b32_e32 v65, 2, v65
	ds_load_b32 v65, v65
	s_wait_dscnt 0x0
	v_add_nc_u32_e32 v65, v65, v74
	global_store_b32 v65, v64, s[38:39] scale_offset
	s_wait_xcnt 0x0
	s_or_b32 exec_lo, exec_lo, s26
	v_cmp_lt_u32_e64 s25, v75, v139
	s_and_saveexec_b32 s27, s25
	s_cbranch_execz .LBB1422_194
.LBB1422_266:                           ;   in Loop: Header=BB1422_100 Depth=2
	ds_load_b32 v64, v92 offset:9728
	s_wait_dscnt 0x0
	v_cmp_ne_u32_e64 s26, 0x7fffffff, v64
	s_delay_alu instid0(VALU_DEP_1) | instskip(SKIP_1) | instid1(VALU_DEP_1)
	v_cndmask_b32_e64 v65, 0x80000000, v64, s26
	v_cmp_lt_i32_e64 s26, -1, v64
	v_cndmask_b32_e64 v140, 0x80000000, -1, s26
	s_delay_alu instid0(VALU_DEP_1) | instskip(NEXT) | instid1(VALU_DEP_1)
	v_dual_lshrrev_b32 v65, s48, v65 :: v_dual_bitop2_b32 v64, v140, v64 bitop3:0x14
	v_and_b32_e32 v65, s58, v65
	s_delay_alu instid0(VALU_DEP_1)
	v_lshlrev_b32_e32 v65, 2, v65
	ds_load_b32 v65, v65
	s_wait_dscnt 0x0
	v_add_nc_u32_e32 v65, v65, v75
	global_store_b32 v65, v64, s[38:39] scale_offset
	s_wait_xcnt 0x0
	s_or_b32 exec_lo, exec_lo, s27
	v_cmp_lt_u32_e64 s26, v76, v139
	s_and_saveexec_b32 s28, s26
	s_cbranch_execz .LBB1422_195
.LBB1422_267:                           ;   in Loop: Header=BB1422_100 Depth=2
	ds_load_b32 v64, v92 offset:10752
	s_wait_dscnt 0x0
	v_cmp_ne_u32_e64 s27, 0x7fffffff, v64
	s_delay_alu instid0(VALU_DEP_1) | instskip(SKIP_1) | instid1(VALU_DEP_1)
	v_cndmask_b32_e64 v65, 0x80000000, v64, s27
	v_cmp_lt_i32_e64 s27, -1, v64
	v_cndmask_b32_e64 v140, 0x80000000, -1, s27
	s_delay_alu instid0(VALU_DEP_1) | instskip(NEXT) | instid1(VALU_DEP_1)
	v_dual_lshrrev_b32 v65, s48, v65 :: v_dual_bitop2_b32 v64, v140, v64 bitop3:0x14
	v_and_b32_e32 v65, s58, v65
	s_delay_alu instid0(VALU_DEP_1)
	v_lshlrev_b32_e32 v65, 2, v65
	ds_load_b32 v65, v65
	s_wait_dscnt 0x0
	v_add_nc_u32_e32 v65, v65, v76
	global_store_b32 v65, v64, s[38:39] scale_offset
	s_wait_xcnt 0x0
	s_or_b32 exec_lo, exec_lo, s28
	v_cmp_lt_u32_e64 s27, v77, v139
	s_and_saveexec_b32 s29, s27
	s_cbranch_execz .LBB1422_196
.LBB1422_268:                           ;   in Loop: Header=BB1422_100 Depth=2
	ds_load_b32 v64, v92 offset:11776
	s_wait_dscnt 0x0
	v_cmp_ne_u32_e64 s28, 0x7fffffff, v64
	s_delay_alu instid0(VALU_DEP_1) | instskip(SKIP_1) | instid1(VALU_DEP_1)
	v_cndmask_b32_e64 v65, 0x80000000, v64, s28
	v_cmp_lt_i32_e64 s28, -1, v64
	v_cndmask_b32_e64 v140, 0x80000000, -1, s28
	s_delay_alu instid0(VALU_DEP_1) | instskip(NEXT) | instid1(VALU_DEP_1)
	v_dual_lshrrev_b32 v65, s48, v65 :: v_dual_bitop2_b32 v64, v140, v64 bitop3:0x14
	v_and_b32_e32 v65, s58, v65
	s_delay_alu instid0(VALU_DEP_1)
	v_lshlrev_b32_e32 v65, 2, v65
	ds_load_b32 v65, v65
	s_wait_dscnt 0x0
	v_add_nc_u32_e32 v65, v65, v77
	global_store_b32 v65, v64, s[38:39] scale_offset
	s_wait_xcnt 0x0
	s_or_b32 exec_lo, exec_lo, s29
	v_cmp_lt_u32_e64 s28, v78, v139
	s_and_saveexec_b32 s30, s28
	s_cbranch_execz .LBB1422_197
.LBB1422_269:                           ;   in Loop: Header=BB1422_100 Depth=2
	ds_load_b32 v64, v92 offset:12800
	s_wait_dscnt 0x0
	v_cmp_ne_u32_e64 s29, 0x7fffffff, v64
	s_delay_alu instid0(VALU_DEP_1) | instskip(SKIP_1) | instid1(VALU_DEP_1)
	v_cndmask_b32_e64 v65, 0x80000000, v64, s29
	v_cmp_lt_i32_e64 s29, -1, v64
	v_cndmask_b32_e64 v140, 0x80000000, -1, s29
	s_delay_alu instid0(VALU_DEP_1) | instskip(NEXT) | instid1(VALU_DEP_1)
	v_dual_lshrrev_b32 v65, s48, v65 :: v_dual_bitop2_b32 v64, v140, v64 bitop3:0x14
	v_and_b32_e32 v65, s58, v65
	s_delay_alu instid0(VALU_DEP_1)
	v_lshlrev_b32_e32 v65, 2, v65
	ds_load_b32 v65, v65
	s_wait_dscnt 0x0
	v_add_nc_u32_e32 v65, v65, v78
	global_store_b32 v65, v64, s[38:39] scale_offset
	s_wait_xcnt 0x0
	s_or_b32 exec_lo, exec_lo, s30
	v_cmp_lt_u32_e64 s29, v79, v139
	s_and_saveexec_b32 s31, s29
	s_cbranch_execz .LBB1422_198
.LBB1422_270:                           ;   in Loop: Header=BB1422_100 Depth=2
	ds_load_b32 v64, v92 offset:13824
	s_wait_dscnt 0x0
	v_cmp_ne_u32_e64 s30, 0x7fffffff, v64
	s_delay_alu instid0(VALU_DEP_1) | instskip(SKIP_1) | instid1(VALU_DEP_1)
	v_cndmask_b32_e64 v65, 0x80000000, v64, s30
	v_cmp_lt_i32_e64 s30, -1, v64
	v_cndmask_b32_e64 v140, 0x80000000, -1, s30
	s_delay_alu instid0(VALU_DEP_1) | instskip(NEXT) | instid1(VALU_DEP_1)
	v_dual_lshrrev_b32 v65, s48, v65 :: v_dual_bitop2_b32 v64, v140, v64 bitop3:0x14
	v_and_b32_e32 v65, s58, v65
	s_delay_alu instid0(VALU_DEP_1)
	v_lshlrev_b32_e32 v65, 2, v65
	ds_load_b32 v65, v65
	s_wait_dscnt 0x0
	v_add_nc_u32_e32 v65, v65, v79
	global_store_b32 v65, v64, s[38:39] scale_offset
	s_wait_xcnt 0x0
	s_or_b32 exec_lo, exec_lo, s31
	v_cmp_lt_u32_e64 s30, v80, v139
	s_and_saveexec_b32 s33, s30
	s_cbranch_execz .LBB1422_199
.LBB1422_271:                           ;   in Loop: Header=BB1422_100 Depth=2
	ds_load_b32 v64, v92 offset:14848
	s_wait_dscnt 0x0
	v_cmp_ne_u32_e64 s31, 0x7fffffff, v64
	s_delay_alu instid0(VALU_DEP_1) | instskip(SKIP_1) | instid1(VALU_DEP_1)
	v_cndmask_b32_e64 v65, 0x80000000, v64, s31
	v_cmp_lt_i32_e64 s31, -1, v64
	v_cndmask_b32_e64 v140, 0x80000000, -1, s31
	s_delay_alu instid0(VALU_DEP_1) | instskip(NEXT) | instid1(VALU_DEP_1)
	v_dual_lshrrev_b32 v65, s48, v65 :: v_dual_bitop2_b32 v64, v140, v64 bitop3:0x14
	v_and_b32_e32 v65, s58, v65
	s_delay_alu instid0(VALU_DEP_1)
	v_lshlrev_b32_e32 v65, 2, v65
	ds_load_b32 v65, v65
	s_wait_dscnt 0x0
	v_add_nc_u32_e32 v65, v65, v80
	global_store_b32 v65, v64, s[38:39] scale_offset
	s_wait_xcnt 0x0
	s_or_b32 exec_lo, exec_lo, s33
	v_cmp_lt_u32_e64 s31, v81, v139
	s_and_saveexec_b32 s34, s31
	s_cbranch_execz .LBB1422_200
.LBB1422_272:                           ;   in Loop: Header=BB1422_100 Depth=2
	ds_load_b32 v64, v92 offset:15872
	s_wait_dscnt 0x0
	v_cmp_ne_u32_e64 s33, 0x7fffffff, v64
	s_delay_alu instid0(VALU_DEP_1) | instskip(SKIP_1) | instid1(VALU_DEP_1)
	v_cndmask_b32_e64 v65, 0x80000000, v64, s33
	v_cmp_lt_i32_e64 s33, -1, v64
	v_cndmask_b32_e64 v140, 0x80000000, -1, s33
	s_delay_alu instid0(VALU_DEP_1) | instskip(NEXT) | instid1(VALU_DEP_1)
	v_dual_lshrrev_b32 v65, s48, v65 :: v_dual_bitop2_b32 v64, v140, v64 bitop3:0x14
	v_and_b32_e32 v65, s58, v65
	s_delay_alu instid0(VALU_DEP_1)
	v_lshlrev_b32_e32 v65, 2, v65
	ds_load_b32 v65, v65
	s_wait_dscnt 0x0
	v_add_nc_u32_e32 v65, v65, v81
	global_store_b32 v65, v64, s[38:39] scale_offset
	s_wait_xcnt 0x0
	s_or_b32 exec_lo, exec_lo, s34
	v_cmp_lt_u32_e64 s33, v82, v139
	s_and_saveexec_b32 s61, s33
	s_cbranch_execnz .LBB1422_201
	s_branch .LBB1422_202
.LBB1422_273:                           ;   in Loop: Header=BB1422_100 Depth=2
	global_load_b64 v[62:63], v[64:65], off
	s_wait_xcnt 0x0
	s_or_b32 exec_lo, exec_lo, s34
	s_delay_alu instid0(SALU_CYCLE_1)
	s_mov_b32 s42, exec_lo
	v_cmpx_lt_u32_e64 v104, v139
	s_cbranch_execz .LBB1422_204
.LBB1422_274:                           ;   in Loop: Header=BB1422_100 Depth=2
	global_load_b64 v[60:61], v[64:65], off offset:256
	s_wait_xcnt 0x0
	s_or_b32 exec_lo, exec_lo, s42
	s_delay_alu instid0(SALU_CYCLE_1)
	s_mov_b32 s42, exec_lo
	v_cmpx_lt_u32_e64 v105, v139
	s_cbranch_execz .LBB1422_205
.LBB1422_275:                           ;   in Loop: Header=BB1422_100 Depth=2
	global_load_b64 v[58:59], v[64:65], off offset:512
	s_wait_xcnt 0x0
	s_or_b32 exec_lo, exec_lo, s42
	s_delay_alu instid0(SALU_CYCLE_1)
	s_mov_b32 s42, exec_lo
	v_cmpx_lt_u32_e64 v106, v139
	s_cbranch_execz .LBB1422_206
.LBB1422_276:                           ;   in Loop: Header=BB1422_100 Depth=2
	global_load_b64 v[56:57], v[64:65], off offset:768
	s_wait_xcnt 0x0
	s_or_b32 exec_lo, exec_lo, s42
	s_delay_alu instid0(SALU_CYCLE_1)
	s_mov_b32 s42, exec_lo
	v_cmpx_lt_u32_e64 v107, v139
	s_cbranch_execz .LBB1422_207
.LBB1422_277:                           ;   in Loop: Header=BB1422_100 Depth=2
	global_load_b64 v[54:55], v[64:65], off offset:1024
	s_wait_xcnt 0x0
	s_or_b32 exec_lo, exec_lo, s42
	s_delay_alu instid0(SALU_CYCLE_1)
	s_mov_b32 s42, exec_lo
	v_cmpx_lt_u32_e64 v108, v139
	s_cbranch_execz .LBB1422_208
.LBB1422_278:                           ;   in Loop: Header=BB1422_100 Depth=2
	global_load_b64 v[52:53], v[64:65], off offset:1280
	s_wait_xcnt 0x0
	s_or_b32 exec_lo, exec_lo, s42
	s_delay_alu instid0(SALU_CYCLE_1)
	s_mov_b32 s42, exec_lo
	v_cmpx_lt_u32_e64 v109, v139
	s_cbranch_execz .LBB1422_209
.LBB1422_279:                           ;   in Loop: Header=BB1422_100 Depth=2
	global_load_b64 v[50:51], v[64:65], off offset:1536
	s_wait_xcnt 0x0
	s_or_b32 exec_lo, exec_lo, s42
	s_delay_alu instid0(SALU_CYCLE_1)
	s_mov_b32 s42, exec_lo
	v_cmpx_lt_u32_e64 v110, v139
	s_cbranch_execz .LBB1422_210
.LBB1422_280:                           ;   in Loop: Header=BB1422_100 Depth=2
	global_load_b64 v[48:49], v[64:65], off offset:1792
	s_wait_xcnt 0x0
	s_or_b32 exec_lo, exec_lo, s42
	s_delay_alu instid0(SALU_CYCLE_1)
	s_mov_b32 s42, exec_lo
	v_cmpx_lt_u32_e64 v111, v139
	s_cbranch_execz .LBB1422_211
.LBB1422_281:                           ;   in Loop: Header=BB1422_100 Depth=2
	global_load_b64 v[46:47], v[64:65], off offset:2048
	s_wait_xcnt 0x0
	s_or_b32 exec_lo, exec_lo, s42
	s_delay_alu instid0(SALU_CYCLE_1)
	s_mov_b32 s42, exec_lo
	v_cmpx_lt_u32_e64 v112, v139
	s_cbranch_execz .LBB1422_212
.LBB1422_282:                           ;   in Loop: Header=BB1422_100 Depth=2
	global_load_b64 v[44:45], v[64:65], off offset:2304
	s_wait_xcnt 0x0
	s_or_b32 exec_lo, exec_lo, s42
	s_delay_alu instid0(SALU_CYCLE_1)
	s_mov_b32 s42, exec_lo
	v_cmpx_lt_u32_e64 v113, v139
	s_cbranch_execz .LBB1422_213
.LBB1422_283:                           ;   in Loop: Header=BB1422_100 Depth=2
	global_load_b64 v[42:43], v[64:65], off offset:2560
	s_wait_xcnt 0x0
	s_or_b32 exec_lo, exec_lo, s42
	s_delay_alu instid0(SALU_CYCLE_1)
	s_mov_b32 s42, exec_lo
	v_cmpx_lt_u32_e64 v114, v139
	s_cbranch_execz .LBB1422_214
.LBB1422_284:                           ;   in Loop: Header=BB1422_100 Depth=2
	global_load_b64 v[40:41], v[64:65], off offset:2816
	s_wait_xcnt 0x0
	s_or_b32 exec_lo, exec_lo, s42
	s_delay_alu instid0(SALU_CYCLE_1)
	s_mov_b32 s42, exec_lo
	v_cmpx_lt_u32_e64 v115, v139
	s_cbranch_execz .LBB1422_215
.LBB1422_285:                           ;   in Loop: Header=BB1422_100 Depth=2
	global_load_b64 v[38:39], v[64:65], off offset:3072
	s_wait_xcnt 0x0
	s_or_b32 exec_lo, exec_lo, s42
	s_delay_alu instid0(SALU_CYCLE_1)
	s_mov_b32 s42, exec_lo
	v_cmpx_lt_u32_e64 v116, v139
	s_cbranch_execz .LBB1422_216
.LBB1422_286:                           ;   in Loop: Header=BB1422_100 Depth=2
	global_load_b64 v[36:37], v[64:65], off offset:3328
	s_wait_xcnt 0x0
	s_or_b32 exec_lo, exec_lo, s42
	s_delay_alu instid0(SALU_CYCLE_1)
	s_mov_b32 s42, exec_lo
	v_cmpx_lt_u32_e64 v117, v139
	s_cbranch_execz .LBB1422_217
.LBB1422_287:                           ;   in Loop: Header=BB1422_100 Depth=2
	global_load_b64 v[34:35], v[64:65], off offset:3584
	s_wait_xcnt 0x0
	s_or_b32 exec_lo, exec_lo, s42
	s_delay_alu instid0(SALU_CYCLE_1)
	s_mov_b32 s42, exec_lo
	v_cmpx_lt_u32_e64 v118, v139
	s_cbranch_execz .LBB1422_218
.LBB1422_288:                           ;   in Loop: Header=BB1422_100 Depth=2
	global_load_b64 v[32:33], v[64:65], off offset:3840
	s_wait_xcnt 0x0
	s_or_b32 exec_lo, exec_lo, s42
	s_delay_alu instid0(SALU_CYCLE_1)
	s_mov_b32 s42, exec_lo
	v_cmpx_lt_u32_e64 v5, v139
	s_cbranch_execz .LBB1422_219
.LBB1422_289:                           ;   in Loop: Header=BB1422_100 Depth=2
	global_load_b64 v[30:31], v[64:65], off offset:4096
	s_wait_xcnt 0x0
	s_or_b32 exec_lo, exec_lo, s42
	s_and_saveexec_b32 s42, vcc_lo
	s_cbranch_execz .LBB1422_220
.LBB1422_290:                           ;   in Loop: Header=BB1422_100 Depth=2
	ds_load_b32 v64, v92 offset:512
	s_wait_dscnt 0x0
	v_cmp_ne_u32_e64 s34, 0x7fffffff, v64
	s_delay_alu instid0(VALU_DEP_1) | instskip(NEXT) | instid1(VALU_DEP_1)
	v_cndmask_b32_e64 v64, 0x80000000, v64, s34
	v_lshrrev_b32_e32 v64, s48, v64
	s_delay_alu instid0(VALU_DEP_1)
	v_and_b32_e32 v137, s58, v64
	s_or_b32 exec_lo, exec_lo, s42
	s_and_saveexec_b32 s42, s17
	s_cbranch_execz .LBB1422_221
.LBB1422_291:                           ;   in Loop: Header=BB1422_100 Depth=2
	ds_load_b32 v64, v92 offset:1536
	s_wait_dscnt 0x0
	v_cmp_ne_u32_e64 s34, 0x7fffffff, v64
	s_delay_alu instid0(VALU_DEP_1) | instskip(NEXT) | instid1(VALU_DEP_1)
	v_cndmask_b32_e64 v64, 0x80000000, v64, s34
	v_lshrrev_b32_e32 v64, s48, v64
	s_delay_alu instid0(VALU_DEP_1)
	v_and_b32_e32 v136, s58, v64
	s_or_b32 exec_lo, exec_lo, s42
	s_and_saveexec_b32 s42, s18
	s_cbranch_execz .LBB1422_222
.LBB1422_292:                           ;   in Loop: Header=BB1422_100 Depth=2
	ds_load_b32 v64, v92 offset:2560
	s_wait_dscnt 0x0
	v_cmp_ne_u32_e64 s34, 0x7fffffff, v64
	s_delay_alu instid0(VALU_DEP_1) | instskip(NEXT) | instid1(VALU_DEP_1)
	v_cndmask_b32_e64 v64, 0x80000000, v64, s34
	v_lshrrev_b32_e32 v64, s48, v64
	s_delay_alu instid0(VALU_DEP_1)
	v_and_b32_e32 v135, s58, v64
	s_or_b32 exec_lo, exec_lo, s42
	s_and_saveexec_b32 s42, s19
	s_cbranch_execz .LBB1422_223
.LBB1422_293:                           ;   in Loop: Header=BB1422_100 Depth=2
	ds_load_b32 v64, v92 offset:3584
	s_wait_dscnt 0x0
	v_cmp_ne_u32_e64 s34, 0x7fffffff, v64
	s_delay_alu instid0(VALU_DEP_1) | instskip(NEXT) | instid1(VALU_DEP_1)
	v_cndmask_b32_e64 v64, 0x80000000, v64, s34
	v_lshrrev_b32_e32 v64, s48, v64
	s_delay_alu instid0(VALU_DEP_1)
	v_and_b32_e32 v134, s58, v64
	s_or_b32 exec_lo, exec_lo, s42
	s_and_saveexec_b32 s42, s20
	s_cbranch_execz .LBB1422_224
.LBB1422_294:                           ;   in Loop: Header=BB1422_100 Depth=2
	ds_load_b32 v64, v92 offset:4608
	s_wait_dscnt 0x0
	v_cmp_ne_u32_e64 s34, 0x7fffffff, v64
	s_delay_alu instid0(VALU_DEP_1) | instskip(NEXT) | instid1(VALU_DEP_1)
	v_cndmask_b32_e64 v64, 0x80000000, v64, s34
	v_lshrrev_b32_e32 v64, s48, v64
	s_delay_alu instid0(VALU_DEP_1)
	v_and_b32_e32 v132, s58, v64
	s_or_b32 exec_lo, exec_lo, s42
	s_and_saveexec_b32 s42, s21
	s_cbranch_execz .LBB1422_225
.LBB1422_295:                           ;   in Loop: Header=BB1422_100 Depth=2
	ds_load_b32 v64, v92 offset:5632
	s_wait_dscnt 0x0
	v_cmp_ne_u32_e64 s34, 0x7fffffff, v64
	s_delay_alu instid0(VALU_DEP_1) | instskip(NEXT) | instid1(VALU_DEP_1)
	v_cndmask_b32_e64 v64, 0x80000000, v64, s34
	v_lshrrev_b32_e32 v64, s48, v64
	s_delay_alu instid0(VALU_DEP_1)
	v_and_b32_e32 v131, s58, v64
	s_or_b32 exec_lo, exec_lo, s42
	s_and_saveexec_b32 s42, s22
	s_cbranch_execz .LBB1422_226
.LBB1422_296:                           ;   in Loop: Header=BB1422_100 Depth=2
	ds_load_b32 v64, v92 offset:6656
	s_wait_dscnt 0x0
	v_cmp_ne_u32_e64 s34, 0x7fffffff, v64
	s_delay_alu instid0(VALU_DEP_1) | instskip(NEXT) | instid1(VALU_DEP_1)
	v_cndmask_b32_e64 v64, 0x80000000, v64, s34
	v_lshrrev_b32_e32 v64, s48, v64
	s_delay_alu instid0(VALU_DEP_1)
	v_and_b32_e32 v130, s58, v64
	s_or_b32 exec_lo, exec_lo, s42
	s_and_saveexec_b32 s42, s23
	s_cbranch_execz .LBB1422_227
.LBB1422_297:                           ;   in Loop: Header=BB1422_100 Depth=2
	ds_load_b32 v64, v92 offset:7680
	s_wait_dscnt 0x0
	v_cmp_ne_u32_e64 s34, 0x7fffffff, v64
	s_delay_alu instid0(VALU_DEP_1) | instskip(NEXT) | instid1(VALU_DEP_1)
	v_cndmask_b32_e64 v64, 0x80000000, v64, s34
	v_lshrrev_b32_e32 v64, s48, v64
	s_delay_alu instid0(VALU_DEP_1)
	v_and_b32_e32 v129, s58, v64
	s_or_b32 exec_lo, exec_lo, s42
	s_and_saveexec_b32 s42, s24
	s_cbranch_execz .LBB1422_228
.LBB1422_298:                           ;   in Loop: Header=BB1422_100 Depth=2
	ds_load_b32 v64, v92 offset:8704
	s_wait_dscnt 0x0
	v_cmp_ne_u32_e64 s34, 0x7fffffff, v64
	s_delay_alu instid0(VALU_DEP_1) | instskip(NEXT) | instid1(VALU_DEP_1)
	v_cndmask_b32_e64 v64, 0x80000000, v64, s34
	v_lshrrev_b32_e32 v64, s48, v64
	s_delay_alu instid0(VALU_DEP_1)
	v_and_b32_e32 v128, s58, v64
	s_or_b32 exec_lo, exec_lo, s42
	s_and_saveexec_b32 s42, s25
	s_cbranch_execz .LBB1422_229
.LBB1422_299:                           ;   in Loop: Header=BB1422_100 Depth=2
	ds_load_b32 v64, v92 offset:9728
	s_wait_dscnt 0x0
	v_cmp_ne_u32_e64 s34, 0x7fffffff, v64
	s_delay_alu instid0(VALU_DEP_1) | instskip(NEXT) | instid1(VALU_DEP_1)
	v_cndmask_b32_e64 v64, 0x80000000, v64, s34
	v_lshrrev_b32_e32 v64, s48, v64
	s_delay_alu instid0(VALU_DEP_1)
	v_and_b32_e32 v127, s58, v64
	s_or_b32 exec_lo, exec_lo, s42
	s_and_saveexec_b32 s42, s26
	s_cbranch_execz .LBB1422_230
.LBB1422_300:                           ;   in Loop: Header=BB1422_100 Depth=2
	ds_load_b32 v64, v92 offset:10752
	s_wait_dscnt 0x0
	v_cmp_ne_u32_e64 s34, 0x7fffffff, v64
	s_delay_alu instid0(VALU_DEP_1) | instskip(NEXT) | instid1(VALU_DEP_1)
	v_cndmask_b32_e64 v64, 0x80000000, v64, s34
	v_lshrrev_b32_e32 v64, s48, v64
	s_delay_alu instid0(VALU_DEP_1)
	v_and_b32_e32 v126, s58, v64
	s_or_b32 exec_lo, exec_lo, s42
	s_and_saveexec_b32 s42, s27
	s_cbranch_execz .LBB1422_231
.LBB1422_301:                           ;   in Loop: Header=BB1422_100 Depth=2
	ds_load_b32 v64, v92 offset:11776
	s_wait_dscnt 0x0
	v_cmp_ne_u32_e64 s34, 0x7fffffff, v64
	s_delay_alu instid0(VALU_DEP_1) | instskip(NEXT) | instid1(VALU_DEP_1)
	v_cndmask_b32_e64 v64, 0x80000000, v64, s34
	v_lshrrev_b32_e32 v64, s48, v64
	s_delay_alu instid0(VALU_DEP_1)
	v_and_b32_e32 v125, s58, v64
	s_or_b32 exec_lo, exec_lo, s42
	s_and_saveexec_b32 s42, s28
	s_cbranch_execz .LBB1422_232
.LBB1422_302:                           ;   in Loop: Header=BB1422_100 Depth=2
	ds_load_b32 v64, v92 offset:12800
	s_wait_dscnt 0x0
	v_cmp_ne_u32_e64 s34, 0x7fffffff, v64
	s_delay_alu instid0(VALU_DEP_1) | instskip(NEXT) | instid1(VALU_DEP_1)
	v_cndmask_b32_e64 v64, 0x80000000, v64, s34
	v_lshrrev_b32_e32 v64, s48, v64
	s_delay_alu instid0(VALU_DEP_1)
	v_and_b32_e32 v124, s58, v64
	s_or_b32 exec_lo, exec_lo, s42
	s_and_saveexec_b32 s42, s29
	s_cbranch_execz .LBB1422_233
.LBB1422_303:                           ;   in Loop: Header=BB1422_100 Depth=2
	ds_load_b32 v64, v92 offset:13824
	s_wait_dscnt 0x0
	v_cmp_ne_u32_e64 s34, 0x7fffffff, v64
	s_delay_alu instid0(VALU_DEP_1) | instskip(NEXT) | instid1(VALU_DEP_1)
	v_cndmask_b32_e64 v64, 0x80000000, v64, s34
	v_lshrrev_b32_e32 v64, s48, v64
	s_delay_alu instid0(VALU_DEP_1)
	v_and_b32_e32 v123, s58, v64
	s_or_b32 exec_lo, exec_lo, s42
	s_and_saveexec_b32 s42, s30
	s_cbranch_execz .LBB1422_234
.LBB1422_304:                           ;   in Loop: Header=BB1422_100 Depth=2
	ds_load_b32 v64, v92 offset:14848
	s_wait_dscnt 0x0
	v_cmp_ne_u32_e64 s34, 0x7fffffff, v64
	s_delay_alu instid0(VALU_DEP_1) | instskip(NEXT) | instid1(VALU_DEP_1)
	v_cndmask_b32_e64 v64, 0x80000000, v64, s34
	v_lshrrev_b32_e32 v64, s48, v64
	s_delay_alu instid0(VALU_DEP_1)
	v_and_b32_e32 v122, s58, v64
	s_or_b32 exec_lo, exec_lo, s42
	s_and_saveexec_b32 s42, s31
	s_cbranch_execz .LBB1422_235
.LBB1422_305:                           ;   in Loop: Header=BB1422_100 Depth=2
	ds_load_b32 v64, v92 offset:15872
	s_wait_dscnt 0x0
	v_cmp_ne_u32_e64 s34, 0x7fffffff, v64
	s_delay_alu instid0(VALU_DEP_1) | instskip(NEXT) | instid1(VALU_DEP_1)
	v_cndmask_b32_e64 v64, 0x80000000, v64, s34
	v_lshrrev_b32_e32 v64, s48, v64
	s_delay_alu instid0(VALU_DEP_1)
	v_and_b32_e32 v121, s58, v64
	s_or_b32 exec_lo, exec_lo, s42
	s_and_saveexec_b32 s42, s33
	s_cbranch_execnz .LBB1422_236
	s_branch .LBB1422_237
.LBB1422_306:                           ;   in Loop: Header=BB1422_100 Depth=2
	v_dual_lshlrev_b32 v64, 2, v137 :: v_dual_add_nc_u32 v65, v92, v4
	ds_load_b32 v66, v64
	ds_load_b64 v[64:65], v65 offset:512
	s_wait_dscnt 0x1
	v_add_nc_u32_e32 v66, v66, v2
	s_wait_dscnt 0x0
	global_store_b64 v66, v[64:65], s[44:45] scale_offset
	s_wait_xcnt 0x0
	s_or_b32 exec_lo, exec_lo, s34
	s_and_saveexec_b32 s34, s17
	s_cbranch_execz .LBB1422_239
.LBB1422_307:                           ;   in Loop: Header=BB1422_100 Depth=2
	v_lshlrev_b32_e32 v64, 2, v136
	v_add_nc_u32_e32 v65, v92, v4
	ds_load_b32 v66, v64
	ds_load_b64 v[64:65], v65 offset:2560
	s_wait_dscnt 0x1
	v_add_nc_u32_e32 v66, v66, v3
	s_wait_dscnt 0x0
	global_store_b64 v66, v[64:65], s[44:45] scale_offset
	s_wait_xcnt 0x0
	s_or_b32 exec_lo, exec_lo, s34
	s_and_saveexec_b32 s17, s18
	s_cbranch_execz .LBB1422_240
.LBB1422_308:                           ;   in Loop: Header=BB1422_100 Depth=2
	v_dual_lshlrev_b32 v64, 2, v135 :: v_dual_add_nc_u32 v65, v92, v4
	ds_load_b32 v66, v64
	ds_load_b64 v[64:65], v65 offset:4608
	s_wait_dscnt 0x1
	v_add_nc_u32_e32 v66, v66, v68
	s_wait_dscnt 0x0
	global_store_b64 v66, v[64:65], s[44:45] scale_offset
	s_wait_xcnt 0x0
	s_or_b32 exec_lo, exec_lo, s17
	s_and_saveexec_b32 s17, s19
	s_cbranch_execz .LBB1422_241
.LBB1422_309:                           ;   in Loop: Header=BB1422_100 Depth=2
	v_dual_lshlrev_b32 v64, 2, v134 :: v_dual_add_nc_u32 v65, v92, v4
	ds_load_b32 v66, v64
	ds_load_b64 v[64:65], v65 offset:6656
	s_wait_dscnt 0x1
	v_add_nc_u32_e32 v66, v66, v69
	s_wait_dscnt 0x0
	global_store_b64 v66, v[64:65], s[44:45] scale_offset
	s_wait_xcnt 0x0
	s_or_b32 exec_lo, exec_lo, s17
	s_and_saveexec_b32 s17, s20
	s_cbranch_execz .LBB1422_242
.LBB1422_310:                           ;   in Loop: Header=BB1422_100 Depth=2
	v_lshlrev_b32_e32 v64, 2, v132
	v_add_nc_u32_e32 v65, v92, v4
	ds_load_b32 v66, v64
	ds_load_b64 v[64:65], v65 offset:8704
	s_wait_dscnt 0x1
	v_add_nc_u32_e32 v66, v66, v70
	s_wait_dscnt 0x0
	global_store_b64 v66, v[64:65], s[44:45] scale_offset
	s_wait_xcnt 0x0
	s_or_b32 exec_lo, exec_lo, s17
	s_and_saveexec_b32 s17, s21
	s_cbranch_execz .LBB1422_243
.LBB1422_311:                           ;   in Loop: Header=BB1422_100 Depth=2
	v_dual_lshlrev_b32 v64, 2, v131 :: v_dual_add_nc_u32 v65, v92, v4
	ds_load_b32 v66, v64
	ds_load_b64 v[64:65], v65 offset:10752
	s_wait_dscnt 0x1
	v_add_nc_u32_e32 v66, v66, v71
	s_wait_dscnt 0x0
	global_store_b64 v66, v[64:65], s[44:45] scale_offset
	s_wait_xcnt 0x0
	s_or_b32 exec_lo, exec_lo, s17
	s_and_saveexec_b32 s17, s22
	s_cbranch_execz .LBB1422_244
.LBB1422_312:                           ;   in Loop: Header=BB1422_100 Depth=2
	v_dual_lshlrev_b32 v64, 2, v130 :: v_dual_add_nc_u32 v65, v92, v4
	ds_load_b32 v66, v64
	ds_load_b64 v[64:65], v65 offset:12800
	s_wait_dscnt 0x1
	v_add_nc_u32_e32 v66, v66, v72
	s_wait_dscnt 0x0
	global_store_b64 v66, v[64:65], s[44:45] scale_offset
	s_wait_xcnt 0x0
	s_or_b32 exec_lo, exec_lo, s17
	s_and_saveexec_b32 s17, s23
	s_cbranch_execz .LBB1422_245
.LBB1422_313:                           ;   in Loop: Header=BB1422_100 Depth=2
	v_dual_lshlrev_b32 v64, 2, v129 :: v_dual_add_nc_u32 v65, v92, v4
	ds_load_b32 v66, v64
	ds_load_b64 v[64:65], v65 offset:14848
	s_wait_dscnt 0x1
	v_add_nc_u32_e32 v66, v66, v73
	s_wait_dscnt 0x0
	global_store_b64 v66, v[64:65], s[44:45] scale_offset
	s_wait_xcnt 0x0
	s_or_b32 exec_lo, exec_lo, s17
	s_and_saveexec_b32 s17, s24
	s_cbranch_execz .LBB1422_246
.LBB1422_314:                           ;   in Loop: Header=BB1422_100 Depth=2
	v_lshlrev_b32_e32 v64, 2, v128
	v_add_nc_u32_e32 v65, v92, v4
	ds_load_b32 v66, v64
	ds_load_b64 v[64:65], v65 offset:16896
	s_wait_dscnt 0x1
	v_add_nc_u32_e32 v66, v66, v74
	s_wait_dscnt 0x0
	global_store_b64 v66, v[64:65], s[44:45] scale_offset
	s_wait_xcnt 0x0
	s_or_b32 exec_lo, exec_lo, s17
	s_and_saveexec_b32 s17, s25
	s_cbranch_execz .LBB1422_247
.LBB1422_315:                           ;   in Loop: Header=BB1422_100 Depth=2
	v_dual_lshlrev_b32 v64, 2, v127 :: v_dual_add_nc_u32 v65, v92, v4
	ds_load_b32 v66, v64
	ds_load_b64 v[64:65], v65 offset:18944
	s_wait_dscnt 0x1
	v_add_nc_u32_e32 v66, v66, v75
	s_wait_dscnt 0x0
	global_store_b64 v66, v[64:65], s[44:45] scale_offset
	s_wait_xcnt 0x0
	s_or_b32 exec_lo, exec_lo, s17
	s_and_saveexec_b32 s17, s26
	s_cbranch_execz .LBB1422_248
.LBB1422_316:                           ;   in Loop: Header=BB1422_100 Depth=2
	v_dual_lshlrev_b32 v64, 2, v126 :: v_dual_add_nc_u32 v65, v92, v4
	ds_load_b32 v66, v64
	ds_load_b64 v[64:65], v65 offset:20992
	s_wait_dscnt 0x1
	v_add_nc_u32_e32 v66, v66, v76
	s_wait_dscnt 0x0
	global_store_b64 v66, v[64:65], s[44:45] scale_offset
	s_wait_xcnt 0x0
	s_or_b32 exec_lo, exec_lo, s17
	s_and_saveexec_b32 s17, s27
	s_cbranch_execz .LBB1422_249
.LBB1422_317:                           ;   in Loop: Header=BB1422_100 Depth=2
	v_dual_lshlrev_b32 v64, 2, v125 :: v_dual_add_nc_u32 v65, v92, v4
	ds_load_b32 v66, v64
	ds_load_b64 v[64:65], v65 offset:23040
	s_wait_dscnt 0x1
	v_add_nc_u32_e32 v66, v66, v77
	s_wait_dscnt 0x0
	global_store_b64 v66, v[64:65], s[44:45] scale_offset
	s_wait_xcnt 0x0
	s_or_b32 exec_lo, exec_lo, s17
	s_and_saveexec_b32 s17, s28
	s_cbranch_execz .LBB1422_250
.LBB1422_318:                           ;   in Loop: Header=BB1422_100 Depth=2
	v_lshlrev_b32_e32 v64, 2, v124
	v_add_nc_u32_e32 v65, v92, v4
	ds_load_b32 v66, v64
	ds_load_b64 v[64:65], v65 offset:25088
	s_wait_dscnt 0x1
	v_add_nc_u32_e32 v66, v66, v78
	s_wait_dscnt 0x0
	global_store_b64 v66, v[64:65], s[44:45] scale_offset
	s_wait_xcnt 0x0
	s_or_b32 exec_lo, exec_lo, s17
	s_and_saveexec_b32 s17, s29
	s_cbranch_execz .LBB1422_251
.LBB1422_319:                           ;   in Loop: Header=BB1422_100 Depth=2
	v_dual_lshlrev_b32 v64, 2, v123 :: v_dual_add_nc_u32 v65, v92, v4
	ds_load_b32 v66, v64
	ds_load_b64 v[64:65], v65 offset:27136
	s_wait_dscnt 0x1
	v_add_nc_u32_e32 v66, v66, v79
	s_wait_dscnt 0x0
	global_store_b64 v66, v[64:65], s[44:45] scale_offset
	s_wait_xcnt 0x0
	s_or_b32 exec_lo, exec_lo, s17
	s_and_saveexec_b32 s17, s30
	s_cbranch_execz .LBB1422_252
.LBB1422_320:                           ;   in Loop: Header=BB1422_100 Depth=2
	v_dual_lshlrev_b32 v64, 2, v122 :: v_dual_add_nc_u32 v65, v92, v4
	ds_load_b32 v66, v64
	ds_load_b64 v[64:65], v65 offset:29184
	s_wait_dscnt 0x1
	v_add_nc_u32_e32 v66, v66, v80
	s_wait_dscnt 0x0
	global_store_b64 v66, v[64:65], s[44:45] scale_offset
	s_wait_xcnt 0x0
	s_or_b32 exec_lo, exec_lo, s17
	s_and_saveexec_b32 s17, s31
	s_cbranch_execz .LBB1422_253
.LBB1422_321:                           ;   in Loop: Header=BB1422_100 Depth=2
	v_dual_lshlrev_b32 v64, 2, v121 :: v_dual_add_nc_u32 v65, v92, v4
	ds_load_b32 v66, v64
	ds_load_b64 v[64:65], v65 offset:31232
	s_wait_dscnt 0x1
	v_add_nc_u32_e32 v66, v66, v81
	s_wait_dscnt 0x0
	global_store_b64 v66, v[64:65], s[44:45] scale_offset
	s_wait_xcnt 0x0
	s_or_b32 exec_lo, exec_lo, s17
	s_and_saveexec_b32 s17, s33
	s_cbranch_execnz .LBB1422_254
	s_branch .LBB1422_255
.LBB1422_322:                           ;   in Loop: Header=BB1422_12 Depth=1
	s_wait_dscnt 0x0
	s_barrier_signal -1
	s_mov_b32 s9, 0
	s_barrier_wait -1
.LBB1422_323:                           ;   in Loop: Header=BB1422_12 Depth=1
	s_and_b32 vcc_lo, exec_lo, s9
	s_cbranch_vccz .LBB1422_633
; %bb.324:                              ;   in Loop: Header=BB1422_12 Depth=1
	s_mov_b32 s9, s57
	s_mov_b32 s42, s55
	s_barrier_signal -1
	s_barrier_wait -1
                                        ; implicit-def: $vgpr25
                                        ; implicit-def: $vgpr26
                                        ; implicit-def: $vgpr27
                                        ; implicit-def: $vgpr28
                                        ; implicit-def: $vgpr29
                                        ; implicit-def: $vgpr30
                                        ; implicit-def: $vgpr31
                                        ; implicit-def: $vgpr32
                                        ; implicit-def: $vgpr33
                                        ; implicit-def: $vgpr34
                                        ; implicit-def: $vgpr35
                                        ; implicit-def: $vgpr36
                                        ; implicit-def: $vgpr37
                                        ; implicit-def: $vgpr38
                                        ; implicit-def: $vgpr39
                                        ; implicit-def: $vgpr40
                                        ; implicit-def: $vgpr41
	s_branch .LBB1422_326
.LBB1422_325:                           ;   in Loop: Header=BB1422_326 Depth=2
	s_or_b32 exec_lo, exec_lo, s10
	s_addk_co_i32 s9, 0xef00
	s_cmp_ge_u32 s12, s54
	s_mov_b32 s42, s12
	s_cbranch_scc1 .LBB1422_398
.LBB1422_326:                           ;   Parent Loop BB1422_12 Depth=1
                                        ; =>  This Inner Loop Header: Depth=2
	s_add_co_i32 s12, s42, 0x1100
	s_mov_b32 s10, -1
	s_cmp_gt_u32 s12, s54
                                        ; implicit-def: $vgpr42
                                        ; implicit-def: $vgpr43
                                        ; implicit-def: $vgpr44
                                        ; implicit-def: $vgpr45
                                        ; implicit-def: $vgpr46
                                        ; implicit-def: $vgpr47
                                        ; implicit-def: $vgpr48
                                        ; implicit-def: $vgpr49
                                        ; implicit-def: $vgpr50
                                        ; implicit-def: $vgpr51
                                        ; implicit-def: $vgpr52
                                        ; implicit-def: $vgpr53
                                        ; implicit-def: $vgpr54
                                        ; implicit-def: $vgpr55
                                        ; implicit-def: $vgpr56
                                        ; implicit-def: $vgpr57
                                        ; implicit-def: $vgpr58
	s_cbranch_scc1 .LBB1422_328
; %bb.327:                              ;   in Loop: Header=BB1422_326 Depth=2
	v_lshl_add_u64 v[60:61], s[42:43], 2, v[20:21]
	s_mov_b32 s10, 0
	s_clause 0x10
	global_load_b32 v42, v[60:61], off
	global_load_b32 v43, v[60:61], off offset:1024
	global_load_b32 v44, v[60:61], off offset:2048
	;; [unrolled: 1-line block ×16, first 2 shown]
.LBB1422_328:                           ;   in Loop: Header=BB1422_326 Depth=2
	s_and_not1_b32 vcc_lo, exec_lo, s10
	s_movk_i32 s10, 0x1100
	s_cbranch_vccnz .LBB1422_348
; %bb.329:                              ;   in Loop: Header=BB1422_326 Depth=2
	s_lshl_b64 s[10:11], s[42:43], 2
	s_mov_b32 s13, exec_lo
	s_add_nc_u64 s[10:11], s[38:39], s[10:11]
	s_wait_xcnt 0x0
	v_cmpx_gt_u32_e64 s9, v2
	s_cbranch_execnz .LBB1422_382
; %bb.330:                              ;   in Loop: Header=BB1422_326 Depth=2
	s_or_b32 exec_lo, exec_lo, s13
	s_delay_alu instid0(SALU_CYCLE_1)
	s_mov_b32 s13, exec_lo
	v_cmpx_gt_u32_e64 s9, v3
	s_cbranch_execnz .LBB1422_383
.LBB1422_331:                           ;   in Loop: Header=BB1422_326 Depth=2
	s_or_b32 exec_lo, exec_lo, s13
	s_delay_alu instid0(SALU_CYCLE_1)
	s_mov_b32 s13, exec_lo
	v_cmpx_gt_u32_e64 s9, v68
	s_cbranch_execnz .LBB1422_384
.LBB1422_332:                           ;   in Loop: Header=BB1422_326 Depth=2
	s_or_b32 exec_lo, exec_lo, s13
	s_delay_alu instid0(SALU_CYCLE_1)
	s_mov_b32 s13, exec_lo
	v_cmpx_gt_u32_e64 s9, v69
	s_cbranch_execnz .LBB1422_385
.LBB1422_333:                           ;   in Loop: Header=BB1422_326 Depth=2
	s_or_b32 exec_lo, exec_lo, s13
	s_delay_alu instid0(SALU_CYCLE_1)
	s_mov_b32 s13, exec_lo
	v_cmpx_gt_u32_e64 s9, v70
	s_cbranch_execnz .LBB1422_386
.LBB1422_334:                           ;   in Loop: Header=BB1422_326 Depth=2
	s_or_b32 exec_lo, exec_lo, s13
	s_delay_alu instid0(SALU_CYCLE_1)
	s_mov_b32 s13, exec_lo
	v_cmpx_gt_u32_e64 s9, v71
	s_cbranch_execnz .LBB1422_387
.LBB1422_335:                           ;   in Loop: Header=BB1422_326 Depth=2
	s_or_b32 exec_lo, exec_lo, s13
	s_delay_alu instid0(SALU_CYCLE_1)
	s_mov_b32 s13, exec_lo
	v_cmpx_gt_u32_e64 s9, v72
	s_cbranch_execnz .LBB1422_388
.LBB1422_336:                           ;   in Loop: Header=BB1422_326 Depth=2
	s_or_b32 exec_lo, exec_lo, s13
	s_delay_alu instid0(SALU_CYCLE_1)
	s_mov_b32 s13, exec_lo
	v_cmpx_gt_u32_e64 s9, v73
	s_cbranch_execnz .LBB1422_389
.LBB1422_337:                           ;   in Loop: Header=BB1422_326 Depth=2
	s_or_b32 exec_lo, exec_lo, s13
	s_delay_alu instid0(SALU_CYCLE_1)
	s_mov_b32 s13, exec_lo
	v_cmpx_gt_u32_e64 s9, v74
	s_cbranch_execnz .LBB1422_390
.LBB1422_338:                           ;   in Loop: Header=BB1422_326 Depth=2
	s_or_b32 exec_lo, exec_lo, s13
	s_delay_alu instid0(SALU_CYCLE_1)
	s_mov_b32 s13, exec_lo
	v_cmpx_gt_u32_e64 s9, v75
	s_cbranch_execnz .LBB1422_391
.LBB1422_339:                           ;   in Loop: Header=BB1422_326 Depth=2
	s_or_b32 exec_lo, exec_lo, s13
	s_delay_alu instid0(SALU_CYCLE_1)
	s_mov_b32 s13, exec_lo
	v_cmpx_gt_u32_e64 s9, v76
	s_cbranch_execnz .LBB1422_392
.LBB1422_340:                           ;   in Loop: Header=BB1422_326 Depth=2
	s_or_b32 exec_lo, exec_lo, s13
	s_delay_alu instid0(SALU_CYCLE_1)
	s_mov_b32 s13, exec_lo
	v_cmpx_gt_u32_e64 s9, v77
	s_cbranch_execnz .LBB1422_393
.LBB1422_341:                           ;   in Loop: Header=BB1422_326 Depth=2
	s_or_b32 exec_lo, exec_lo, s13
	s_delay_alu instid0(SALU_CYCLE_1)
	s_mov_b32 s13, exec_lo
	v_cmpx_gt_u32_e64 s9, v78
	s_cbranch_execnz .LBB1422_394
.LBB1422_342:                           ;   in Loop: Header=BB1422_326 Depth=2
	s_or_b32 exec_lo, exec_lo, s13
	s_delay_alu instid0(SALU_CYCLE_1)
	s_mov_b32 s13, exec_lo
	v_cmpx_gt_u32_e64 s9, v79
	s_cbranch_execnz .LBB1422_395
.LBB1422_343:                           ;   in Loop: Header=BB1422_326 Depth=2
	s_or_b32 exec_lo, exec_lo, s13
	s_delay_alu instid0(SALU_CYCLE_1)
	s_mov_b32 s13, exec_lo
	v_cmpx_gt_u32_e64 s9, v80
	s_cbranch_execnz .LBB1422_396
.LBB1422_344:                           ;   in Loop: Header=BB1422_326 Depth=2
	s_or_b32 exec_lo, exec_lo, s13
	s_delay_alu instid0(SALU_CYCLE_1)
	s_mov_b32 s13, exec_lo
	v_cmpx_gt_u32_e64 s9, v81
	s_cbranch_execnz .LBB1422_397
.LBB1422_345:                           ;   in Loop: Header=BB1422_326 Depth=2
	s_or_b32 exec_lo, exec_lo, s13
	s_delay_alu instid0(SALU_CYCLE_1)
	s_mov_b32 s13, exec_lo
	v_cmpx_gt_u32_e64 s9, v82
	s_cbranch_execz .LBB1422_347
.LBB1422_346:                           ;   in Loop: Header=BB1422_326 Depth=2
	global_load_b32 v25, v2, s[10:11] offset:16384 scale_offset
.LBB1422_347:                           ;   in Loop: Header=BB1422_326 Depth=2
	s_wait_xcnt 0x0
	s_or_b32 exec_lo, exec_lo, s13
	s_wait_loadcnt 0x0
	v_dual_mov_b32 v42, v41 :: v_dual_mov_b32 v43, v40
	v_dual_mov_b32 v44, v39 :: v_dual_mov_b32 v45, v38
	;; [unrolled: 1-line block ×8, first 2 shown]
	v_mov_b32_e32 v58, v25
	s_mov_b32 s10, s9
.LBB1422_348:                           ;   in Loop: Header=BB1422_326 Depth=2
	s_wait_loadcnt 0x0
	s_delay_alu instid0(VALU_DEP_1)
	v_dual_mov_b32 v25, v58 :: v_dual_mov_b32 v26, v57
	v_dual_mov_b32 v27, v56 :: v_dual_mov_b32 v28, v55
	;; [unrolled: 1-line block ×8, first 2 shown]
	v_mov_b32_e32 v41, v42
	s_mov_b32 s11, exec_lo
	s_wait_xcnt 0x0
	v_cmpx_gt_u32_e64 s10, v2
	s_cbranch_execnz .LBB1422_365
; %bb.349:                              ;   in Loop: Header=BB1422_326 Depth=2
	s_or_b32 exec_lo, exec_lo, s11
	s_delay_alu instid0(SALU_CYCLE_1)
	s_mov_b32 s11, exec_lo
	v_cmpx_gt_u32_e64 s10, v3
	s_cbranch_execnz .LBB1422_366
.LBB1422_350:                           ;   in Loop: Header=BB1422_326 Depth=2
	s_or_b32 exec_lo, exec_lo, s11
	s_delay_alu instid0(SALU_CYCLE_1)
	s_mov_b32 s11, exec_lo
	v_cmpx_gt_u32_e64 s10, v68
	s_cbranch_execnz .LBB1422_367
.LBB1422_351:                           ;   in Loop: Header=BB1422_326 Depth=2
	s_or_b32 exec_lo, exec_lo, s11
	s_delay_alu instid0(SALU_CYCLE_1)
	s_mov_b32 s11, exec_lo
	v_cmpx_gt_u32_e64 s10, v69
	s_cbranch_execnz .LBB1422_368
.LBB1422_352:                           ;   in Loop: Header=BB1422_326 Depth=2
	s_or_b32 exec_lo, exec_lo, s11
	s_delay_alu instid0(SALU_CYCLE_1)
	s_mov_b32 s11, exec_lo
	v_cmpx_gt_u32_e64 s10, v70
	s_cbranch_execnz .LBB1422_369
.LBB1422_353:                           ;   in Loop: Header=BB1422_326 Depth=2
	s_or_b32 exec_lo, exec_lo, s11
	s_delay_alu instid0(SALU_CYCLE_1)
	s_mov_b32 s11, exec_lo
	v_cmpx_gt_u32_e64 s10, v71
	s_cbranch_execnz .LBB1422_370
.LBB1422_354:                           ;   in Loop: Header=BB1422_326 Depth=2
	s_or_b32 exec_lo, exec_lo, s11
	s_delay_alu instid0(SALU_CYCLE_1)
	s_mov_b32 s11, exec_lo
	v_cmpx_gt_u32_e64 s10, v72
	s_cbranch_execnz .LBB1422_371
.LBB1422_355:                           ;   in Loop: Header=BB1422_326 Depth=2
	s_or_b32 exec_lo, exec_lo, s11
	s_delay_alu instid0(SALU_CYCLE_1)
	s_mov_b32 s11, exec_lo
	v_cmpx_gt_u32_e64 s10, v73
	s_cbranch_execnz .LBB1422_372
.LBB1422_356:                           ;   in Loop: Header=BB1422_326 Depth=2
	s_or_b32 exec_lo, exec_lo, s11
	s_delay_alu instid0(SALU_CYCLE_1)
	s_mov_b32 s11, exec_lo
	v_cmpx_gt_u32_e64 s10, v74
	s_cbranch_execnz .LBB1422_373
.LBB1422_357:                           ;   in Loop: Header=BB1422_326 Depth=2
	s_or_b32 exec_lo, exec_lo, s11
	s_delay_alu instid0(SALU_CYCLE_1)
	s_mov_b32 s11, exec_lo
	v_cmpx_gt_u32_e64 s10, v75
	s_cbranch_execnz .LBB1422_374
.LBB1422_358:                           ;   in Loop: Header=BB1422_326 Depth=2
	s_or_b32 exec_lo, exec_lo, s11
	s_delay_alu instid0(SALU_CYCLE_1)
	s_mov_b32 s11, exec_lo
	v_cmpx_gt_u32_e64 s10, v76
	s_cbranch_execnz .LBB1422_375
.LBB1422_359:                           ;   in Loop: Header=BB1422_326 Depth=2
	s_or_b32 exec_lo, exec_lo, s11
	s_delay_alu instid0(SALU_CYCLE_1)
	s_mov_b32 s11, exec_lo
	v_cmpx_gt_u32_e64 s10, v77
	s_cbranch_execnz .LBB1422_376
.LBB1422_360:                           ;   in Loop: Header=BB1422_326 Depth=2
	s_or_b32 exec_lo, exec_lo, s11
	s_delay_alu instid0(SALU_CYCLE_1)
	s_mov_b32 s11, exec_lo
	v_cmpx_gt_u32_e64 s10, v78
	s_cbranch_execnz .LBB1422_377
.LBB1422_361:                           ;   in Loop: Header=BB1422_326 Depth=2
	s_or_b32 exec_lo, exec_lo, s11
	s_delay_alu instid0(SALU_CYCLE_1)
	s_mov_b32 s11, exec_lo
	v_cmpx_gt_u32_e64 s10, v79
	s_cbranch_execnz .LBB1422_378
.LBB1422_362:                           ;   in Loop: Header=BB1422_326 Depth=2
	s_or_b32 exec_lo, exec_lo, s11
	s_delay_alu instid0(SALU_CYCLE_1)
	s_mov_b32 s11, exec_lo
	v_cmpx_gt_u32_e64 s10, v80
	s_cbranch_execnz .LBB1422_379
.LBB1422_363:                           ;   in Loop: Header=BB1422_326 Depth=2
	s_or_b32 exec_lo, exec_lo, s11
	s_delay_alu instid0(SALU_CYCLE_1)
	s_mov_b32 s11, exec_lo
	v_cmpx_gt_u32_e64 s10, v81
	s_cbranch_execnz .LBB1422_380
.LBB1422_364:                           ;   in Loop: Header=BB1422_326 Depth=2
	s_or_b32 exec_lo, exec_lo, s11
	v_cmp_gt_u32_e32 vcc_lo, s10, v82
	s_and_saveexec_b32 s10, vcc_lo
	s_cbranch_execz .LBB1422_325
	s_branch .LBB1422_381
.LBB1422_365:                           ;   in Loop: Header=BB1422_326 Depth=2
	v_cmp_lt_i32_e32 vcc_lo, -1, v41
	v_cndmask_b32_e64 v42, -1, 0x80000000, vcc_lo
	s_delay_alu instid0(VALU_DEP_1) | instskip(NEXT) | instid1(VALU_DEP_1)
	v_xor_b32_e32 v42, v42, v41
	v_cmp_ne_u32_e32 vcc_lo, 0x7fffffff, v42
	v_cndmask_b32_e32 v42, 0x80000000, v42, vcc_lo
	s_delay_alu instid0(VALU_DEP_1) | instskip(NEXT) | instid1(VALU_DEP_1)
	v_lshrrev_b32_e32 v42, s48, v42
	v_and_b32_e32 v42, s58, v42
	s_delay_alu instid0(VALU_DEP_1) | instskip(SKIP_2) | instid1(SALU_CYCLE_1)
	v_lshl_or_b32 v42, v42, 4, v84
	ds_add_u32 v42, v96
	s_or_b32 exec_lo, exec_lo, s11
	s_mov_b32 s11, exec_lo
	v_cmpx_gt_u32_e64 s10, v3
	s_cbranch_execz .LBB1422_350
.LBB1422_366:                           ;   in Loop: Header=BB1422_326 Depth=2
	v_cmp_lt_i32_e32 vcc_lo, -1, v40
	v_cndmask_b32_e64 v42, -1, 0x80000000, vcc_lo
	s_delay_alu instid0(VALU_DEP_1) | instskip(NEXT) | instid1(VALU_DEP_1)
	v_xor_b32_e32 v42, v42, v40
	v_cmp_ne_u32_e32 vcc_lo, 0x7fffffff, v42
	v_cndmask_b32_e32 v42, 0x80000000, v42, vcc_lo
	s_delay_alu instid0(VALU_DEP_1) | instskip(NEXT) | instid1(VALU_DEP_1)
	v_lshrrev_b32_e32 v42, s48, v42
	v_and_b32_e32 v42, s58, v42
	s_delay_alu instid0(VALU_DEP_1) | instskip(SKIP_2) | instid1(SALU_CYCLE_1)
	v_lshl_or_b32 v42, v42, 4, v84
	ds_add_u32 v42, v96
	s_or_b32 exec_lo, exec_lo, s11
	s_mov_b32 s11, exec_lo
	v_cmpx_gt_u32_e64 s10, v68
	s_cbranch_execz .LBB1422_351
.LBB1422_367:                           ;   in Loop: Header=BB1422_326 Depth=2
	v_cmp_lt_i32_e32 vcc_lo, -1, v39
	v_cndmask_b32_e64 v42, -1, 0x80000000, vcc_lo
	s_delay_alu instid0(VALU_DEP_1) | instskip(NEXT) | instid1(VALU_DEP_1)
	v_xor_b32_e32 v42, v42, v39
	v_cmp_ne_u32_e32 vcc_lo, 0x7fffffff, v42
	v_cndmask_b32_e32 v42, 0x80000000, v42, vcc_lo
	s_delay_alu instid0(VALU_DEP_1) | instskip(NEXT) | instid1(VALU_DEP_1)
	v_lshrrev_b32_e32 v42, s48, v42
	v_and_b32_e32 v42, s58, v42
	s_delay_alu instid0(VALU_DEP_1) | instskip(SKIP_2) | instid1(SALU_CYCLE_1)
	v_lshl_or_b32 v42, v42, 4, v84
	ds_add_u32 v42, v96
	s_or_b32 exec_lo, exec_lo, s11
	s_mov_b32 s11, exec_lo
	v_cmpx_gt_u32_e64 s10, v69
	s_cbranch_execz .LBB1422_352
.LBB1422_368:                           ;   in Loop: Header=BB1422_326 Depth=2
	v_cmp_lt_i32_e32 vcc_lo, -1, v38
	v_cndmask_b32_e64 v42, -1, 0x80000000, vcc_lo
	s_delay_alu instid0(VALU_DEP_1) | instskip(NEXT) | instid1(VALU_DEP_1)
	v_xor_b32_e32 v42, v42, v38
	v_cmp_ne_u32_e32 vcc_lo, 0x7fffffff, v42
	v_cndmask_b32_e32 v42, 0x80000000, v42, vcc_lo
	s_delay_alu instid0(VALU_DEP_1) | instskip(NEXT) | instid1(VALU_DEP_1)
	v_lshrrev_b32_e32 v42, s48, v42
	v_and_b32_e32 v42, s58, v42
	s_delay_alu instid0(VALU_DEP_1) | instskip(SKIP_2) | instid1(SALU_CYCLE_1)
	v_lshl_or_b32 v42, v42, 4, v84
	ds_add_u32 v42, v96
	s_or_b32 exec_lo, exec_lo, s11
	s_mov_b32 s11, exec_lo
	v_cmpx_gt_u32_e64 s10, v70
	s_cbranch_execz .LBB1422_353
.LBB1422_369:                           ;   in Loop: Header=BB1422_326 Depth=2
	v_cmp_lt_i32_e32 vcc_lo, -1, v37
	v_cndmask_b32_e64 v42, -1, 0x80000000, vcc_lo
	s_delay_alu instid0(VALU_DEP_1) | instskip(NEXT) | instid1(VALU_DEP_1)
	v_xor_b32_e32 v42, v42, v37
	v_cmp_ne_u32_e32 vcc_lo, 0x7fffffff, v42
	v_cndmask_b32_e32 v42, 0x80000000, v42, vcc_lo
	s_delay_alu instid0(VALU_DEP_1) | instskip(NEXT) | instid1(VALU_DEP_1)
	v_lshrrev_b32_e32 v42, s48, v42
	v_and_b32_e32 v42, s58, v42
	s_delay_alu instid0(VALU_DEP_1) | instskip(SKIP_2) | instid1(SALU_CYCLE_1)
	v_lshl_or_b32 v42, v42, 4, v84
	ds_add_u32 v42, v96
	s_or_b32 exec_lo, exec_lo, s11
	s_mov_b32 s11, exec_lo
	v_cmpx_gt_u32_e64 s10, v71
	s_cbranch_execz .LBB1422_354
.LBB1422_370:                           ;   in Loop: Header=BB1422_326 Depth=2
	v_cmp_lt_i32_e32 vcc_lo, -1, v36
	v_cndmask_b32_e64 v42, -1, 0x80000000, vcc_lo
	s_delay_alu instid0(VALU_DEP_1) | instskip(NEXT) | instid1(VALU_DEP_1)
	v_xor_b32_e32 v42, v42, v36
	v_cmp_ne_u32_e32 vcc_lo, 0x7fffffff, v42
	v_cndmask_b32_e32 v42, 0x80000000, v42, vcc_lo
	s_delay_alu instid0(VALU_DEP_1) | instskip(NEXT) | instid1(VALU_DEP_1)
	v_lshrrev_b32_e32 v42, s48, v42
	v_and_b32_e32 v42, s58, v42
	s_delay_alu instid0(VALU_DEP_1) | instskip(SKIP_2) | instid1(SALU_CYCLE_1)
	v_lshl_or_b32 v42, v42, 4, v84
	ds_add_u32 v42, v96
	s_or_b32 exec_lo, exec_lo, s11
	s_mov_b32 s11, exec_lo
	v_cmpx_gt_u32_e64 s10, v72
	s_cbranch_execz .LBB1422_355
.LBB1422_371:                           ;   in Loop: Header=BB1422_326 Depth=2
	v_cmp_lt_i32_e32 vcc_lo, -1, v35
	v_cndmask_b32_e64 v42, -1, 0x80000000, vcc_lo
	s_delay_alu instid0(VALU_DEP_1) | instskip(NEXT) | instid1(VALU_DEP_1)
	v_xor_b32_e32 v42, v42, v35
	v_cmp_ne_u32_e32 vcc_lo, 0x7fffffff, v42
	v_cndmask_b32_e32 v42, 0x80000000, v42, vcc_lo
	s_delay_alu instid0(VALU_DEP_1) | instskip(NEXT) | instid1(VALU_DEP_1)
	v_lshrrev_b32_e32 v42, s48, v42
	v_and_b32_e32 v42, s58, v42
	s_delay_alu instid0(VALU_DEP_1) | instskip(SKIP_2) | instid1(SALU_CYCLE_1)
	v_lshl_or_b32 v42, v42, 4, v84
	ds_add_u32 v42, v96
	s_or_b32 exec_lo, exec_lo, s11
	s_mov_b32 s11, exec_lo
	v_cmpx_gt_u32_e64 s10, v73
	s_cbranch_execz .LBB1422_356
.LBB1422_372:                           ;   in Loop: Header=BB1422_326 Depth=2
	v_cmp_lt_i32_e32 vcc_lo, -1, v34
	v_cndmask_b32_e64 v42, -1, 0x80000000, vcc_lo
	s_delay_alu instid0(VALU_DEP_1) | instskip(NEXT) | instid1(VALU_DEP_1)
	v_xor_b32_e32 v42, v42, v34
	v_cmp_ne_u32_e32 vcc_lo, 0x7fffffff, v42
	v_cndmask_b32_e32 v42, 0x80000000, v42, vcc_lo
	s_delay_alu instid0(VALU_DEP_1) | instskip(NEXT) | instid1(VALU_DEP_1)
	v_lshrrev_b32_e32 v42, s48, v42
	v_and_b32_e32 v42, s58, v42
	s_delay_alu instid0(VALU_DEP_1) | instskip(SKIP_2) | instid1(SALU_CYCLE_1)
	v_lshl_or_b32 v42, v42, 4, v84
	ds_add_u32 v42, v96
	s_or_b32 exec_lo, exec_lo, s11
	s_mov_b32 s11, exec_lo
	v_cmpx_gt_u32_e64 s10, v74
	s_cbranch_execz .LBB1422_357
.LBB1422_373:                           ;   in Loop: Header=BB1422_326 Depth=2
	v_cmp_lt_i32_e32 vcc_lo, -1, v33
	v_cndmask_b32_e64 v42, -1, 0x80000000, vcc_lo
	s_delay_alu instid0(VALU_DEP_1) | instskip(NEXT) | instid1(VALU_DEP_1)
	v_xor_b32_e32 v42, v42, v33
	v_cmp_ne_u32_e32 vcc_lo, 0x7fffffff, v42
	v_cndmask_b32_e32 v42, 0x80000000, v42, vcc_lo
	s_delay_alu instid0(VALU_DEP_1) | instskip(NEXT) | instid1(VALU_DEP_1)
	v_lshrrev_b32_e32 v42, s48, v42
	v_and_b32_e32 v42, s58, v42
	s_delay_alu instid0(VALU_DEP_1) | instskip(SKIP_2) | instid1(SALU_CYCLE_1)
	v_lshl_or_b32 v42, v42, 4, v84
	ds_add_u32 v42, v96
	s_or_b32 exec_lo, exec_lo, s11
	s_mov_b32 s11, exec_lo
	v_cmpx_gt_u32_e64 s10, v75
	s_cbranch_execz .LBB1422_358
.LBB1422_374:                           ;   in Loop: Header=BB1422_326 Depth=2
	v_cmp_lt_i32_e32 vcc_lo, -1, v32
	v_cndmask_b32_e64 v42, -1, 0x80000000, vcc_lo
	s_delay_alu instid0(VALU_DEP_1) | instskip(NEXT) | instid1(VALU_DEP_1)
	v_xor_b32_e32 v42, v42, v32
	v_cmp_ne_u32_e32 vcc_lo, 0x7fffffff, v42
	v_cndmask_b32_e32 v42, 0x80000000, v42, vcc_lo
	s_delay_alu instid0(VALU_DEP_1) | instskip(NEXT) | instid1(VALU_DEP_1)
	v_lshrrev_b32_e32 v42, s48, v42
	v_and_b32_e32 v42, s58, v42
	s_delay_alu instid0(VALU_DEP_1) | instskip(SKIP_2) | instid1(SALU_CYCLE_1)
	v_lshl_or_b32 v42, v42, 4, v84
	ds_add_u32 v42, v96
	s_or_b32 exec_lo, exec_lo, s11
	s_mov_b32 s11, exec_lo
	v_cmpx_gt_u32_e64 s10, v76
	s_cbranch_execz .LBB1422_359
.LBB1422_375:                           ;   in Loop: Header=BB1422_326 Depth=2
	v_cmp_lt_i32_e32 vcc_lo, -1, v31
	v_cndmask_b32_e64 v42, -1, 0x80000000, vcc_lo
	s_delay_alu instid0(VALU_DEP_1) | instskip(NEXT) | instid1(VALU_DEP_1)
	v_xor_b32_e32 v42, v42, v31
	v_cmp_ne_u32_e32 vcc_lo, 0x7fffffff, v42
	v_cndmask_b32_e32 v42, 0x80000000, v42, vcc_lo
	s_delay_alu instid0(VALU_DEP_1) | instskip(NEXT) | instid1(VALU_DEP_1)
	v_lshrrev_b32_e32 v42, s48, v42
	v_and_b32_e32 v42, s58, v42
	s_delay_alu instid0(VALU_DEP_1) | instskip(SKIP_2) | instid1(SALU_CYCLE_1)
	v_lshl_or_b32 v42, v42, 4, v84
	ds_add_u32 v42, v96
	s_or_b32 exec_lo, exec_lo, s11
	s_mov_b32 s11, exec_lo
	v_cmpx_gt_u32_e64 s10, v77
	s_cbranch_execz .LBB1422_360
.LBB1422_376:                           ;   in Loop: Header=BB1422_326 Depth=2
	v_cmp_lt_i32_e32 vcc_lo, -1, v30
	v_cndmask_b32_e64 v42, -1, 0x80000000, vcc_lo
	s_delay_alu instid0(VALU_DEP_1) | instskip(NEXT) | instid1(VALU_DEP_1)
	v_xor_b32_e32 v42, v42, v30
	v_cmp_ne_u32_e32 vcc_lo, 0x7fffffff, v42
	v_cndmask_b32_e32 v42, 0x80000000, v42, vcc_lo
	s_delay_alu instid0(VALU_DEP_1) | instskip(NEXT) | instid1(VALU_DEP_1)
	v_lshrrev_b32_e32 v42, s48, v42
	v_and_b32_e32 v42, s58, v42
	s_delay_alu instid0(VALU_DEP_1) | instskip(SKIP_2) | instid1(SALU_CYCLE_1)
	v_lshl_or_b32 v42, v42, 4, v84
	ds_add_u32 v42, v96
	s_or_b32 exec_lo, exec_lo, s11
	s_mov_b32 s11, exec_lo
	v_cmpx_gt_u32_e64 s10, v78
	s_cbranch_execz .LBB1422_361
.LBB1422_377:                           ;   in Loop: Header=BB1422_326 Depth=2
	v_cmp_lt_i32_e32 vcc_lo, -1, v29
	v_cndmask_b32_e64 v42, -1, 0x80000000, vcc_lo
	s_delay_alu instid0(VALU_DEP_1) | instskip(NEXT) | instid1(VALU_DEP_1)
	v_xor_b32_e32 v42, v42, v29
	v_cmp_ne_u32_e32 vcc_lo, 0x7fffffff, v42
	v_cndmask_b32_e32 v42, 0x80000000, v42, vcc_lo
	s_delay_alu instid0(VALU_DEP_1) | instskip(NEXT) | instid1(VALU_DEP_1)
	v_lshrrev_b32_e32 v42, s48, v42
	v_and_b32_e32 v42, s58, v42
	s_delay_alu instid0(VALU_DEP_1) | instskip(SKIP_2) | instid1(SALU_CYCLE_1)
	v_lshl_or_b32 v42, v42, 4, v84
	ds_add_u32 v42, v96
	s_or_b32 exec_lo, exec_lo, s11
	s_mov_b32 s11, exec_lo
	v_cmpx_gt_u32_e64 s10, v79
	s_cbranch_execz .LBB1422_362
.LBB1422_378:                           ;   in Loop: Header=BB1422_326 Depth=2
	v_cmp_lt_i32_e32 vcc_lo, -1, v28
	v_cndmask_b32_e64 v42, -1, 0x80000000, vcc_lo
	s_delay_alu instid0(VALU_DEP_1) | instskip(NEXT) | instid1(VALU_DEP_1)
	v_xor_b32_e32 v42, v42, v28
	v_cmp_ne_u32_e32 vcc_lo, 0x7fffffff, v42
	v_cndmask_b32_e32 v42, 0x80000000, v42, vcc_lo
	s_delay_alu instid0(VALU_DEP_1) | instskip(NEXT) | instid1(VALU_DEP_1)
	v_lshrrev_b32_e32 v42, s48, v42
	v_and_b32_e32 v42, s58, v42
	s_delay_alu instid0(VALU_DEP_1) | instskip(SKIP_2) | instid1(SALU_CYCLE_1)
	v_lshl_or_b32 v42, v42, 4, v84
	ds_add_u32 v42, v96
	s_or_b32 exec_lo, exec_lo, s11
	s_mov_b32 s11, exec_lo
	v_cmpx_gt_u32_e64 s10, v80
	s_cbranch_execz .LBB1422_363
.LBB1422_379:                           ;   in Loop: Header=BB1422_326 Depth=2
	v_cmp_lt_i32_e32 vcc_lo, -1, v27
	v_cndmask_b32_e64 v42, -1, 0x80000000, vcc_lo
	s_delay_alu instid0(VALU_DEP_1) | instskip(NEXT) | instid1(VALU_DEP_1)
	v_xor_b32_e32 v42, v42, v27
	v_cmp_ne_u32_e32 vcc_lo, 0x7fffffff, v42
	v_cndmask_b32_e32 v42, 0x80000000, v42, vcc_lo
	s_delay_alu instid0(VALU_DEP_1) | instskip(NEXT) | instid1(VALU_DEP_1)
	v_lshrrev_b32_e32 v42, s48, v42
	v_and_b32_e32 v42, s58, v42
	s_delay_alu instid0(VALU_DEP_1) | instskip(SKIP_2) | instid1(SALU_CYCLE_1)
	v_lshl_or_b32 v42, v42, 4, v84
	ds_add_u32 v42, v96
	s_or_b32 exec_lo, exec_lo, s11
	s_mov_b32 s11, exec_lo
	v_cmpx_gt_u32_e64 s10, v81
	s_cbranch_execz .LBB1422_364
.LBB1422_380:                           ;   in Loop: Header=BB1422_326 Depth=2
	v_cmp_lt_i32_e32 vcc_lo, -1, v26
	v_cndmask_b32_e64 v42, -1, 0x80000000, vcc_lo
	s_delay_alu instid0(VALU_DEP_1) | instskip(NEXT) | instid1(VALU_DEP_1)
	v_xor_b32_e32 v42, v42, v26
	v_cmp_ne_u32_e32 vcc_lo, 0x7fffffff, v42
	v_cndmask_b32_e32 v42, 0x80000000, v42, vcc_lo
	s_delay_alu instid0(VALU_DEP_1) | instskip(NEXT) | instid1(VALU_DEP_1)
	v_lshrrev_b32_e32 v42, s48, v42
	v_and_b32_e32 v42, s58, v42
	s_delay_alu instid0(VALU_DEP_1)
	v_lshl_or_b32 v42, v42, 4, v84
	ds_add_u32 v42, v96
	s_or_b32 exec_lo, exec_lo, s11
	v_cmp_gt_u32_e32 vcc_lo, s10, v82
	s_and_saveexec_b32 s10, vcc_lo
	s_cbranch_execz .LBB1422_325
.LBB1422_381:                           ;   in Loop: Header=BB1422_326 Depth=2
	v_cmp_lt_i32_e32 vcc_lo, -1, v25
	v_cndmask_b32_e64 v42, -1, 0x80000000, vcc_lo
	s_delay_alu instid0(VALU_DEP_1) | instskip(NEXT) | instid1(VALU_DEP_1)
	v_xor_b32_e32 v42, v42, v25
	v_cmp_ne_u32_e32 vcc_lo, 0x7fffffff, v42
	v_cndmask_b32_e32 v42, 0x80000000, v42, vcc_lo
	s_delay_alu instid0(VALU_DEP_1) | instskip(NEXT) | instid1(VALU_DEP_1)
	v_lshrrev_b32_e32 v42, s48, v42
	v_and_b32_e32 v42, s58, v42
	s_delay_alu instid0(VALU_DEP_1)
	v_lshl_or_b32 v42, v42, 4, v84
	ds_add_u32 v42, v96
	s_branch .LBB1422_325
.LBB1422_382:                           ;   in Loop: Header=BB1422_326 Depth=2
	global_load_b32 v41, v2, s[10:11] scale_offset
	s_wait_xcnt 0x0
	s_or_b32 exec_lo, exec_lo, s13
	s_delay_alu instid0(SALU_CYCLE_1)
	s_mov_b32 s13, exec_lo
	v_cmpx_gt_u32_e64 s9, v3
	s_cbranch_execz .LBB1422_331
.LBB1422_383:                           ;   in Loop: Header=BB1422_326 Depth=2
	global_load_b32 v40, v2, s[10:11] offset:1024 scale_offset
	s_wait_xcnt 0x0
	s_or_b32 exec_lo, exec_lo, s13
	s_delay_alu instid0(SALU_CYCLE_1)
	s_mov_b32 s13, exec_lo
	v_cmpx_gt_u32_e64 s9, v68
	s_cbranch_execz .LBB1422_332
.LBB1422_384:                           ;   in Loop: Header=BB1422_326 Depth=2
	global_load_b32 v39, v2, s[10:11] offset:2048 scale_offset
	s_wait_xcnt 0x0
	s_or_b32 exec_lo, exec_lo, s13
	s_delay_alu instid0(SALU_CYCLE_1)
	s_mov_b32 s13, exec_lo
	v_cmpx_gt_u32_e64 s9, v69
	s_cbranch_execz .LBB1422_333
.LBB1422_385:                           ;   in Loop: Header=BB1422_326 Depth=2
	global_load_b32 v38, v2, s[10:11] offset:3072 scale_offset
	s_wait_xcnt 0x0
	s_or_b32 exec_lo, exec_lo, s13
	s_delay_alu instid0(SALU_CYCLE_1)
	s_mov_b32 s13, exec_lo
	v_cmpx_gt_u32_e64 s9, v70
	s_cbranch_execz .LBB1422_334
.LBB1422_386:                           ;   in Loop: Header=BB1422_326 Depth=2
	global_load_b32 v37, v2, s[10:11] offset:4096 scale_offset
	s_wait_xcnt 0x0
	s_or_b32 exec_lo, exec_lo, s13
	s_delay_alu instid0(SALU_CYCLE_1)
	s_mov_b32 s13, exec_lo
	v_cmpx_gt_u32_e64 s9, v71
	s_cbranch_execz .LBB1422_335
.LBB1422_387:                           ;   in Loop: Header=BB1422_326 Depth=2
	global_load_b32 v36, v2, s[10:11] offset:5120 scale_offset
	s_wait_xcnt 0x0
	s_or_b32 exec_lo, exec_lo, s13
	s_delay_alu instid0(SALU_CYCLE_1)
	s_mov_b32 s13, exec_lo
	v_cmpx_gt_u32_e64 s9, v72
	s_cbranch_execz .LBB1422_336
.LBB1422_388:                           ;   in Loop: Header=BB1422_326 Depth=2
	global_load_b32 v35, v2, s[10:11] offset:6144 scale_offset
	s_wait_xcnt 0x0
	s_or_b32 exec_lo, exec_lo, s13
	s_delay_alu instid0(SALU_CYCLE_1)
	s_mov_b32 s13, exec_lo
	v_cmpx_gt_u32_e64 s9, v73
	s_cbranch_execz .LBB1422_337
.LBB1422_389:                           ;   in Loop: Header=BB1422_326 Depth=2
	global_load_b32 v34, v2, s[10:11] offset:7168 scale_offset
	s_wait_xcnt 0x0
	s_or_b32 exec_lo, exec_lo, s13
	s_delay_alu instid0(SALU_CYCLE_1)
	s_mov_b32 s13, exec_lo
	v_cmpx_gt_u32_e64 s9, v74
	s_cbranch_execz .LBB1422_338
.LBB1422_390:                           ;   in Loop: Header=BB1422_326 Depth=2
	global_load_b32 v33, v2, s[10:11] offset:8192 scale_offset
	s_wait_xcnt 0x0
	s_or_b32 exec_lo, exec_lo, s13
	s_delay_alu instid0(SALU_CYCLE_1)
	s_mov_b32 s13, exec_lo
	v_cmpx_gt_u32_e64 s9, v75
	s_cbranch_execz .LBB1422_339
.LBB1422_391:                           ;   in Loop: Header=BB1422_326 Depth=2
	global_load_b32 v32, v2, s[10:11] offset:9216 scale_offset
	s_wait_xcnt 0x0
	s_or_b32 exec_lo, exec_lo, s13
	s_delay_alu instid0(SALU_CYCLE_1)
	s_mov_b32 s13, exec_lo
	v_cmpx_gt_u32_e64 s9, v76
	s_cbranch_execz .LBB1422_340
.LBB1422_392:                           ;   in Loop: Header=BB1422_326 Depth=2
	global_load_b32 v31, v2, s[10:11] offset:10240 scale_offset
	s_wait_xcnt 0x0
	s_or_b32 exec_lo, exec_lo, s13
	s_delay_alu instid0(SALU_CYCLE_1)
	s_mov_b32 s13, exec_lo
	v_cmpx_gt_u32_e64 s9, v77
	s_cbranch_execz .LBB1422_341
.LBB1422_393:                           ;   in Loop: Header=BB1422_326 Depth=2
	global_load_b32 v30, v2, s[10:11] offset:11264 scale_offset
	s_wait_xcnt 0x0
	s_or_b32 exec_lo, exec_lo, s13
	s_delay_alu instid0(SALU_CYCLE_1)
	s_mov_b32 s13, exec_lo
	v_cmpx_gt_u32_e64 s9, v78
	s_cbranch_execz .LBB1422_342
.LBB1422_394:                           ;   in Loop: Header=BB1422_326 Depth=2
	global_load_b32 v29, v2, s[10:11] offset:12288 scale_offset
	s_wait_xcnt 0x0
	s_or_b32 exec_lo, exec_lo, s13
	s_delay_alu instid0(SALU_CYCLE_1)
	s_mov_b32 s13, exec_lo
	v_cmpx_gt_u32_e64 s9, v79
	s_cbranch_execz .LBB1422_343
.LBB1422_395:                           ;   in Loop: Header=BB1422_326 Depth=2
	global_load_b32 v28, v2, s[10:11] offset:13312 scale_offset
	s_wait_xcnt 0x0
	s_or_b32 exec_lo, exec_lo, s13
	s_delay_alu instid0(SALU_CYCLE_1)
	s_mov_b32 s13, exec_lo
	v_cmpx_gt_u32_e64 s9, v80
	s_cbranch_execz .LBB1422_344
.LBB1422_396:                           ;   in Loop: Header=BB1422_326 Depth=2
	global_load_b32 v27, v2, s[10:11] offset:14336 scale_offset
	s_wait_xcnt 0x0
	s_or_b32 exec_lo, exec_lo, s13
	s_delay_alu instid0(SALU_CYCLE_1)
	s_mov_b32 s13, exec_lo
	v_cmpx_gt_u32_e64 s9, v81
	s_cbranch_execz .LBB1422_345
.LBB1422_397:                           ;   in Loop: Header=BB1422_326 Depth=2
	global_load_b32 v26, v2, s[10:11] offset:15360 scale_offset
	s_wait_xcnt 0x0
	s_or_b32 exec_lo, exec_lo, s13
	s_delay_alu instid0(SALU_CYCLE_1)
	s_mov_b32 s13, exec_lo
	v_cmpx_gt_u32_e64 s9, v82
	s_cbranch_execnz .LBB1422_346
	s_branch .LBB1422_347
.LBB1422_398:                           ;   in Loop: Header=BB1422_12 Depth=1
	v_mov_b32_e32 v25, 0
	s_wait_dscnt 0x0
	s_barrier_signal -1
	s_barrier_wait -1
	s_and_saveexec_b32 s9, s0
	s_cbranch_execz .LBB1422_400
; %bb.399:                              ;   in Loop: Header=BB1422_12 Depth=1
	ds_load_2addr_b64 v[26:29], v85 offset1:1
	s_wait_dscnt 0x0
	v_add_nc_u32_e32 v25, v27, v26
	s_delay_alu instid0(VALU_DEP_1)
	v_add3_u32 v25, v25, v28, v29
.LBB1422_400:                           ;   in Loop: Header=BB1422_12 Depth=1
	s_or_b32 exec_lo, exec_lo, s9
	s_delay_alu instid0(VALU_DEP_1)
	v_mov_b32_dpp v26, v25 row_shr:1 row_mask:0xf bank_mask:0xf
	v_cmp_eq_u32_e64 s9, 0, v97
	v_cmp_lt_u32_e64 s10, 1, v97
	v_cmp_lt_u32_e64 s11, 3, v97
	;; [unrolled: 1-line block ×3, first 2 shown]
	v_cmp_eq_u32_e64 s13, 0, v99
	v_cndmask_b32_e64 v26, v26, 0, s9
	s_delay_alu instid0(VALU_DEP_1) | instskip(NEXT) | instid1(VALU_DEP_1)
	v_add_nc_u32_e32 v25, v26, v25
	v_mov_b32_dpp v26, v25 row_shr:2 row_mask:0xf bank_mask:0xf
	s_delay_alu instid0(VALU_DEP_1) | instskip(NEXT) | instid1(VALU_DEP_1)
	v_cndmask_b32_e64 v26, 0, v26, s10
	v_add_nc_u32_e32 v25, v25, v26
	s_delay_alu instid0(VALU_DEP_1) | instskip(NEXT) | instid1(VALU_DEP_1)
	v_mov_b32_dpp v26, v25 row_shr:4 row_mask:0xf bank_mask:0xf
	v_cndmask_b32_e64 v26, 0, v26, s11
	s_delay_alu instid0(VALU_DEP_1) | instskip(NEXT) | instid1(VALU_DEP_1)
	v_add_nc_u32_e32 v25, v25, v26
	v_mov_b32_dpp v26, v25 row_shr:8 row_mask:0xf bank_mask:0xf
	s_delay_alu instid0(VALU_DEP_1) | instskip(NEXT) | instid1(VALU_DEP_1)
	v_cndmask_b32_e64 v26, 0, v26, s12
	v_add_nc_u32_e32 v25, v25, v26
	ds_swizzle_b32 v26, v25 offset:swizzle(BROADCAST,32,15)
	s_wait_dscnt 0x0
	v_and_b32_e32 v26, v98, v26
	s_delay_alu instid0(VALU_DEP_1)
	v_add_nc_u32_e32 v25, v25, v26
	s_and_saveexec_b32 s14, s1
; %bb.401:                              ;   in Loop: Header=BB1422_12 Depth=1
	ds_store_b32 v86, v25
; %bb.402:                              ;   in Loop: Header=BB1422_12 Depth=1
	s_or_b32 exec_lo, exec_lo, s14
	s_wait_dscnt 0x0
	s_barrier_signal -1
	s_barrier_wait -1
	s_and_saveexec_b32 s14, s4
	s_cbranch_execz .LBB1422_404
; %bb.403:                              ;   in Loop: Header=BB1422_12 Depth=1
	ds_load_b32 v26, v87
	v_cmp_ne_u32_e32 vcc_lo, 0, v100
	s_wait_dscnt 0x0
	v_mov_b32_dpp v27, v26 row_shr:1 row_mask:0xf bank_mask:0xf
	s_delay_alu instid0(VALU_DEP_1) | instskip(SKIP_1) | instid1(VALU_DEP_2)
	v_cndmask_b32_e32 v27, 0, v27, vcc_lo
	v_cmp_lt_u32_e32 vcc_lo, 1, v100
	v_add_nc_u32_e32 v26, v27, v26
	s_delay_alu instid0(VALU_DEP_1) | instskip(NEXT) | instid1(VALU_DEP_1)
	v_mov_b32_dpp v27, v26 row_shr:2 row_mask:0xf bank_mask:0xf
	v_cndmask_b32_e32 v27, 0, v27, vcc_lo
	s_delay_alu instid0(VALU_DEP_1)
	v_add_nc_u32_e32 v26, v26, v27
	ds_store_b32 v87, v26
.LBB1422_404:                           ;   in Loop: Header=BB1422_12 Depth=1
	s_or_b32 exec_lo, exec_lo, s14
	v_mov_b32_e32 v26, 0
	s_wait_dscnt 0x0
	s_barrier_signal -1
	s_barrier_wait -1
	s_and_saveexec_b32 s14, s5
; %bb.405:                              ;   in Loop: Header=BB1422_12 Depth=1
	ds_load_b32 v26, v88
; %bb.406:                              ;   in Loop: Header=BB1422_12 Depth=1
	s_or_b32 exec_lo, exec_lo, s14
	v_cmp_gt_i32_e32 vcc_lo, 0, v102
	s_wait_dscnt 0x0
	s_barrier_signal -1
	s_barrier_wait -1
	v_cndmask_b32_e32 v27, v102, v95, vcc_lo
	s_delay_alu instid0(VALU_DEP_1)
	v_dual_add_nc_u32 v25, v26, v25 :: v_dual_lshlrev_b32 v119, 2, v27
	ds_bpermute_b32 v25, v119, v25
	s_and_saveexec_b32 s14, s0
	s_cbranch_execz .LBB1422_408
; %bb.407:                              ;   in Loop: Header=BB1422_12 Depth=1
	s_wait_dscnt 0x0
	v_cndmask_b32_e64 v25, v25, v26, s8
	s_delay_alu instid0(VALU_DEP_1)
	v_add_nc_u32_e32 v25, s55, v25
	ds_store_b32 v4, v25
.LBB1422_408:                           ;   in Loop: Header=BB1422_12 Depth=1
	s_or_b32 exec_lo, exec_lo, s14
	s_load_b64 s[14:15], s[52:53], 0x0
	s_mov_b32 s59, s57
                                        ; implicit-def: $vgpr32_vgpr33
                                        ; implicit-def: $vgpr34_vgpr35
                                        ; implicit-def: $vgpr36_vgpr37
                                        ; implicit-def: $vgpr38_vgpr39
                                        ; implicit-def: $vgpr40_vgpr41
                                        ; implicit-def: $vgpr42_vgpr43
                                        ; implicit-def: $vgpr44_vgpr45
                                        ; implicit-def: $vgpr46_vgpr47
                                        ; implicit-def: $vgpr48_vgpr49
                                        ; implicit-def: $vgpr50_vgpr51
                                        ; implicit-def: $vgpr52_vgpr53
                                        ; implicit-def: $vgpr54_vgpr55
                                        ; implicit-def: $vgpr56_vgpr57
                                        ; implicit-def: $vgpr58_vgpr59
                                        ; implicit-def: $vgpr60_vgpr61
                                        ; implicit-def: $vgpr62_vgpr63
                                        ; implicit-def: $vgpr120
                                        ; implicit-def: $vgpr121
                                        ; implicit-def: $vgpr122
                                        ; implicit-def: $vgpr123
                                        ; implicit-def: $vgpr124
                                        ; implicit-def: $vgpr125
                                        ; implicit-def: $vgpr126
                                        ; implicit-def: $vgpr127
                                        ; implicit-def: $vgpr128
                                        ; implicit-def: $vgpr129
                                        ; implicit-def: $vgpr130
                                        ; implicit-def: $vgpr131
                                        ; implicit-def: $vgpr132
                                        ; implicit-def: $vgpr134
                                        ; implicit-def: $vgpr135
                                        ; implicit-def: $vgpr136
                                        ; implicit-def: $vgpr137
                                        ; implicit-def: $vgpr133
                                        ; implicit-def: $vgpr138
	s_wait_kmcnt 0x0
	s_cmp_lt_u32 s51, s14
	s_cselect_b32 s42, 12, 18
	s_cmp_lt_u32 s35, s15
	s_mov_b32 s15, s43
	s_cselect_b32 s14, 14, 20
	s_delay_alu instid0(SALU_CYCLE_1)
	s_add_nc_u64 s[14:15], s[52:53], s[14:15]
	s_load_u16 s16, s[14:15], 0x0
	s_wait_xcnt 0x0
	s_add_nc_u64 s[14:15], s[52:53], s[42:43]
	s_mov_b32 s42, s55
	s_load_u16 s14, s[14:15], 0x0
	s_wait_xcnt 0x0
	v_cmp_lt_u32_e64 s15, 1, v103
	s_wait_dscnt 0x0
	s_wait_kmcnt 0x0
	v_mad_u32_u24 v25, v89, s16, v91
	v_cmp_lt_u32_e64 s16, 3, v103
	s_delay_alu instid0(VALU_DEP_2) | instskip(SKIP_2) | instid1(VALU_DEP_3)
	v_mad_u32 v26, v25, s14, v2
	v_mov_b32_e32 v25, v1
	v_cmp_eq_u32_e64 s14, 0, v103
	v_lshrrev_b32_e32 v30, 3, v26
	v_add_nc_u64_e32 v[26:27], v[10:11], v[0:1]
	s_delay_alu instid0(VALU_DEP_4) | instskip(NEXT) | instid1(VALU_DEP_3)
	v_add_nc_u64_e32 v[28:29], v[12:13], v[24:25]
	v_and_b32_e32 v25, 0x1ffffffc, v30
                                        ; implicit-def: $vgpr30_vgpr31
	s_branch .LBB1422_410
.LBB1422_409:                           ;   in Loop: Header=BB1422_410 Depth=2
	s_or_b32 exec_lo, exec_lo, s17
	s_addk_co_i32 s59, 0xef00
	s_cmp_lt_u32 s60, s54
	s_mov_b32 s42, s60
	s_cbranch_scc0 .LBB1422_632
.LBB1422_410:                           ;   Parent Loop BB1422_12 Depth=1
                                        ; =>  This Inner Loop Header: Depth=2
	s_add_co_i32 s60, s42, 0x1100
	s_delay_alu instid0(SALU_CYCLE_1)
	s_cmp_gt_u32 s60, s54
	s_cbranch_scc1 .LBB1422_412
; %bb.411:                              ;   in Loop: Header=BB1422_410 Depth=2
	s_delay_alu instid0(VALU_DEP_2)
	v_lshl_add_u64 v[64:65], s[42:43], 2, v[28:29]
	s_mov_b32 s17, -1
	s_clause 0xf
	global_load_b32 v140, v[64:65], off
	global_load_b32 v142, v[64:65], off offset:128
	global_load_b32 v144, v[64:65], off offset:256
	;; [unrolled: 1-line block ×15, first 2 shown]
	s_movk_i32 s18, 0x1100
	s_cbranch_execz .LBB1422_413
	s_branch .LBB1422_446
.LBB1422_412:                           ;   in Loop: Header=BB1422_410 Depth=2
	s_mov_b32 s17, 0
                                        ; implicit-def: $vgpr140
                                        ; implicit-def: $vgpr142
                                        ; implicit-def: $vgpr144
                                        ; implicit-def: $vgpr148
                                        ; implicit-def: $vgpr153
                                        ; implicit-def: $vgpr158
                                        ; implicit-def: $vgpr163
                                        ; implicit-def: $vgpr168
                                        ; implicit-def: $vgpr173
                                        ; implicit-def: $vgpr171
                                        ; implicit-def: $vgpr166
                                        ; implicit-def: $vgpr161
                                        ; implicit-def: $vgpr157
                                        ; implicit-def: $vgpr152
                                        ; implicit-def: $vgpr67
                                        ; implicit-def: $vgpr66
	s_movk_i32 s18, 0x1100
.LBB1422_413:                           ;   in Loop: Header=BB1422_410 Depth=2
	s_wait_xcnt 0x0
	v_lshl_add_u64 v[64:65], s[42:43], 2, v[28:29]
	s_wait_loadcnt 0xe
	v_bfrev_b32_e32 v142, -2
	v_bfrev_b32_e32 v140, -2
	s_mov_b32 s17, exec_lo
	v_cmpx_gt_u32_e64 s59, v101
	s_cbranch_execz .LBB1422_415
; %bb.414:                              ;   in Loop: Header=BB1422_410 Depth=2
	global_load_b32 v140, v[64:65], off
.LBB1422_415:                           ;   in Loop: Header=BB1422_410 Depth=2
	s_wait_xcnt 0x0
	s_or_b32 exec_lo, exec_lo, s17
	s_delay_alu instid0(SALU_CYCLE_1)
	s_mov_b32 s17, exec_lo
	v_cmpx_gt_u32_e64 s59, v104
	s_cbranch_execz .LBB1422_417
; %bb.416:                              ;   in Loop: Header=BB1422_410 Depth=2
	global_load_b32 v142, v[64:65], off offset:128
.LBB1422_417:                           ;   in Loop: Header=BB1422_410 Depth=2
	s_wait_xcnt 0x0
	s_or_b32 exec_lo, exec_lo, s17
	s_wait_loadcnt 0xc
	v_bfrev_b32_e32 v148, -2
	v_bfrev_b32_e32 v144, -2
	s_mov_b32 s17, exec_lo
	v_cmpx_gt_u32_e64 s59, v105
	s_cbranch_execz .LBB1422_419
; %bb.418:                              ;   in Loop: Header=BB1422_410 Depth=2
	global_load_b32 v144, v[64:65], off offset:256
.LBB1422_419:                           ;   in Loop: Header=BB1422_410 Depth=2
	s_wait_xcnt 0x0
	s_or_b32 exec_lo, exec_lo, s17
	s_delay_alu instid0(SALU_CYCLE_1)
	s_mov_b32 s17, exec_lo
	v_cmpx_gt_u32_e64 s59, v106
	s_cbranch_execz .LBB1422_421
; %bb.420:                              ;   in Loop: Header=BB1422_410 Depth=2
	global_load_b32 v148, v[64:65], off offset:384
.LBB1422_421:                           ;   in Loop: Header=BB1422_410 Depth=2
	s_wait_xcnt 0x0
	s_or_b32 exec_lo, exec_lo, s17
	s_wait_loadcnt 0xa
	v_bfrev_b32_e32 v158, -2
	v_bfrev_b32_e32 v153, -2
	s_mov_b32 s17, exec_lo
	v_cmpx_gt_u32_e64 s59, v107
	s_cbranch_execz .LBB1422_423
; %bb.422:                              ;   in Loop: Header=BB1422_410 Depth=2
	global_load_b32 v153, v[64:65], off offset:512
.LBB1422_423:                           ;   in Loop: Header=BB1422_410 Depth=2
	;; [unrolled: 20-line block ×7, first 2 shown]
	s_wait_xcnt 0x0
	s_or_b32 exec_lo, exec_lo, s17
	s_delay_alu instid0(SALU_CYCLE_1)
	s_mov_b32 s17, exec_lo
	v_cmpx_gt_u32_e64 s59, v118
	s_cbranch_execz .LBB1422_445
; %bb.444:                              ;   in Loop: Header=BB1422_410 Depth=2
	global_load_b32 v66, v[64:65], off offset:1920
.LBB1422_445:                           ;   in Loop: Header=BB1422_410 Depth=2
	s_wait_xcnt 0x0
	s_or_b32 exec_lo, exec_lo, s17
	v_cmp_gt_u32_e64 s17, s59, v5
	s_sub_co_i32 s18, s54, s42
.LBB1422_446:                           ;   in Loop: Header=BB1422_410 Depth=2
	s_wait_xcnt 0x0
	v_bfrev_b32_e32 v64, -2
	v_mov_b32_e32 v139, s59
	s_and_saveexec_b32 s19, s17
	s_cbranch_execz .LBB1422_448
; %bb.447:                              ;   in Loop: Header=BB1422_410 Depth=2
	v_lshl_add_u64 v[64:65], s[42:43], 2, v[28:29]
	v_mov_b32_e32 v139, s18
	global_load_b32 v64, v[64:65], off offset:2048
.LBB1422_448:                           ;   in Loop: Header=BB1422_410 Depth=2
	s_wait_xcnt 0x0
	s_or_b32 exec_lo, exec_lo, s19
	s_wait_loadcnt 0xf
	v_cmp_lt_i32_e32 vcc_lo, -1, v140
	ds_store_2addr_b32 v90, v1, v1 offset0:136 offset1:137
	ds_store_2addr_b32 v90, v1, v1 offset0:138 offset1:139
	ds_store_b32 v90, v1 offset:560
	s_wait_loadcnt_dscnt 0x0
	s_barrier_signal -1
	s_barrier_wait -1
	v_cndmask_b32_e64 v65, -1, 0x80000000, vcc_lo
	; wave barrier
	s_delay_alu instid0(VALU_DEP_1) | instskip(NEXT) | instid1(VALU_DEP_1)
	v_xor_b32_e32 v140, v65, v140
	v_cmp_ne_u32_e32 vcc_lo, 0x7fffffff, v140
	v_cndmask_b32_e32 v65, 0x80000000, v140, vcc_lo
	s_delay_alu instid0(VALU_DEP_1) | instskip(NEXT) | instid1(VALU_DEP_1)
	v_lshrrev_b32_e32 v65, s48, v65
	v_bitop3_b32 v141, v65, 1, s58 bitop3:0x80
	v_and_b32_e32 v143, s58, v65
	s_delay_alu instid0(VALU_DEP_2) | instskip(NEXT) | instid1(VALU_DEP_1)
	v_add_co_u32 v65, s17, v141, -1
	v_cndmask_b32_e64 v141, 0, 1, s17
	s_delay_alu instid0(VALU_DEP_3) | instskip(SKIP_1) | instid1(VALU_DEP_3)
	v_dual_lshlrev_b32 v145, 30, v143 :: v_dual_lshlrev_b32 v147, 28, v143
	v_lshlrev_b32_e32 v146, 29, v143
	v_cmp_ne_u32_e32 vcc_lo, 0, v141
	s_delay_alu instid0(VALU_DEP_3) | instskip(SKIP_1) | instid1(VALU_DEP_4)
	v_cmp_gt_i32_e64 s17, 0, v145
	v_not_b32_e32 v141, v145
	v_cmp_gt_i32_e64 s18, 0, v146
	v_not_b32_e32 v145, v146
	v_not_b32_e32 v146, v147
	v_cmp_gt_i32_e64 s19, 0, v147
	v_ashrrev_i32_e32 v141, 31, v141
	v_bitop3_b32 v65, vcc_lo, exec_lo, v65 bitop3:0x48
	s_delay_alu instid0(VALU_DEP_4) | instskip(SKIP_2) | instid1(VALU_DEP_3)
	v_dual_ashrrev_i32 v146, 31, v146 :: v_dual_lshlrev_b32 v149, 27, v143
	v_dual_lshlrev_b32 v150, 26, v143 :: v_dual_lshlrev_b32 v151, 25, v143
	v_mul_u32_u24_e32 v143, 36, v143
	v_xor_b32_e32 v146, s19, v146
	s_delay_alu instid0(VALU_DEP_4)
	v_not_b32_e32 v147, v149
	v_ashrrev_i32_e32 v145, 31, v145
	v_cmp_gt_i32_e64 s20, 0, v149
	v_cmp_gt_i32_e64 s21, 0, v150
	v_not_b32_e32 v149, v150
	v_not_b32_e32 v150, v151
	v_dual_ashrrev_i32 v147, 31, v147 :: v_dual_bitop2_b32 v141, s17, v141 bitop3:0x14
	v_dual_add_nc_u32 v143, v25, v143 :: v_dual_bitop2_b32 v145, s18, v145 bitop3:0x14
	v_cmp_gt_i32_e64 s22, 0, v151
	s_delay_alu instid0(VALU_DEP_4) | instskip(NEXT) | instid1(VALU_DEP_4)
	v_dual_ashrrev_i32 v149, 31, v149 :: v_dual_ashrrev_i32 v150, 31, v150
	v_xor_b32_e32 v147, s20, v147
	s_delay_alu instid0(VALU_DEP_4) | instskip(NEXT) | instid1(VALU_DEP_3)
	v_bitop3_b32 v65, v65, v145, v141 bitop3:0x80
	v_xor_b32_e32 v141, s21, v149
	s_delay_alu instid0(VALU_DEP_4) | instskip(NEXT) | instid1(VALU_DEP_3)
	v_xor_b32_e32 v145, s22, v150
	v_bitop3_b32 v65, v65, v147, v146 bitop3:0x80
	s_delay_alu instid0(VALU_DEP_1) | instskip(NEXT) | instid1(VALU_DEP_1)
	v_bitop3_b32 v65, v65, v145, v141 bitop3:0x80
	v_mbcnt_lo_u32_b32 v141, v65, 0
	v_cmp_ne_u32_e64 s17, 0, v65
	s_delay_alu instid0(VALU_DEP_2) | instskip(SKIP_1) | instid1(SALU_CYCLE_1)
	v_cmp_eq_u32_e32 vcc_lo, 0, v141
	s_and_b32 s18, s17, vcc_lo
	s_and_saveexec_b32 s17, s18
; %bb.449:                              ;   in Loop: Header=BB1422_410 Depth=2
	v_bcnt_u32_b32 v65, v65, 0
	ds_store_b32 v143, v65 offset:544
; %bb.450:                              ;   in Loop: Header=BB1422_410 Depth=2
	s_or_b32 exec_lo, exec_lo, s17
	v_cmp_lt_i32_e32 vcc_lo, -1, v142
	; wave barrier
	v_cndmask_b32_e64 v65, -1, 0x80000000, vcc_lo
	s_delay_alu instid0(VALU_DEP_1) | instskip(NEXT) | instid1(VALU_DEP_1)
	v_xor_b32_e32 v142, v65, v142
	v_cmp_ne_u32_e32 vcc_lo, 0x7fffffff, v142
	v_cndmask_b32_e32 v65, 0x80000000, v142, vcc_lo
	s_delay_alu instid0(VALU_DEP_1) | instskip(NEXT) | instid1(VALU_DEP_1)
	v_lshrrev_b32_e32 v65, s48, v65
	v_bitop3_b32 v145, v65, 1, s58 bitop3:0x80
	v_and_b32_e32 v147, s58, v65
	s_delay_alu instid0(VALU_DEP_2) | instskip(NEXT) | instid1(VALU_DEP_1)
	v_add_co_u32 v65, s17, v145, -1
	v_cndmask_b32_e64 v145, 0, 1, s17
	s_delay_alu instid0(VALU_DEP_3) | instskip(NEXT) | instid1(VALU_DEP_2)
	v_dual_lshlrev_b32 v146, 30, v147 :: v_dual_lshlrev_b32 v149, 29, v147
	v_cmp_ne_u32_e32 vcc_lo, 0, v145
	s_delay_alu instid0(VALU_DEP_2) | instskip(SKIP_1) | instid1(VALU_DEP_4)
	v_cmp_gt_i32_e64 s17, 0, v146
	v_not_b32_e32 v145, v146
	v_not_b32_e32 v146, v149
	v_bitop3_b32 v65, vcc_lo, exec_lo, v65 bitop3:0x48
	s_delay_alu instid0(VALU_DEP_2) | instskip(SKIP_3) | instid1(VALU_DEP_3)
	v_dual_ashrrev_i32 v145, 31, v145 :: v_dual_ashrrev_i32 v146, 31, v146
	v_dual_lshlrev_b32 v150, 28, v147 :: v_dual_lshlrev_b32 v151, 27, v147
	v_dual_lshlrev_b32 v154, 26, v147 :: v_dual_lshlrev_b32 v155, 25, v147
	v_cmp_gt_i32_e64 s18, 0, v149
	v_cmp_gt_i32_e64 s19, 0, v150
	v_not_b32_e32 v149, v150
	v_not_b32_e32 v150, v151
	v_cmp_gt_i32_e64 s20, 0, v151
	v_cmp_gt_i32_e64 s21, 0, v154
	v_not_b32_e32 v151, v154
	v_not_b32_e32 v154, v155
	v_dual_ashrrev_i32 v149, 31, v149 :: v_dual_ashrrev_i32 v150, 31, v150
	s_delay_alu instid0(VALU_DEP_3) | instskip(SKIP_2) | instid1(VALU_DEP_4)
	v_dual_ashrrev_i32 v151, 31, v151 :: v_dual_bitop2_b32 v145, s17, v145 bitop3:0x14
	v_xor_b32_e32 v146, s18, v146
	v_cmp_gt_i32_e64 s22, 0, v155
	v_dual_ashrrev_i32 v154, 31, v154 :: v_dual_bitop2_b32 v149, s19, v149 bitop3:0x14
	v_xor_b32_e32 v150, s20, v150
	s_delay_alu instid0(VALU_DEP_4)
	v_bitop3_b32 v65, v65, v146, v145 bitop3:0x80
	v_mad_u32_u24 v145, v147, 36, v25
	v_xor_b32_e32 v146, s21, v151
	v_xor_b32_e32 v151, s22, v154
	v_mul_u32_u24_e32 v147, 36, v147
	v_bitop3_b32 v65, v65, v150, v149 bitop3:0x80
	ds_load_b32 v145, v145 offset:544
	; wave barrier
	v_add_nc_u32_e32 v147, v25, v147
	v_bitop3_b32 v65, v65, v151, v146 bitop3:0x80
	s_delay_alu instid0(VALU_DEP_1) | instskip(SKIP_1) | instid1(VALU_DEP_2)
	v_mbcnt_lo_u32_b32 v146, v65, 0
	v_cmp_ne_u32_e64 s17, 0, v65
	v_cmp_eq_u32_e32 vcc_lo, 0, v146
	s_and_b32 s18, s17, vcc_lo
	s_delay_alu instid0(SALU_CYCLE_1)
	s_and_saveexec_b32 s17, s18
	s_cbranch_execz .LBB1422_452
; %bb.451:                              ;   in Loop: Header=BB1422_410 Depth=2
	s_wait_dscnt 0x0
	v_bcnt_u32_b32 v65, v65, v145
	ds_store_b32 v147, v65 offset:544
.LBB1422_452:                           ;   in Loop: Header=BB1422_410 Depth=2
	s_or_b32 exec_lo, exec_lo, s17
	v_cmp_lt_i32_e32 vcc_lo, -1, v144
	; wave barrier
	v_cndmask_b32_e64 v65, -1, 0x80000000, vcc_lo
	s_delay_alu instid0(VALU_DEP_1) | instskip(NEXT) | instid1(VALU_DEP_1)
	v_xor_b32_e32 v144, v65, v144
	v_cmp_ne_u32_e32 vcc_lo, 0x7fffffff, v144
	v_cndmask_b32_e32 v65, 0x80000000, v144, vcc_lo
	s_delay_alu instid0(VALU_DEP_1) | instskip(NEXT) | instid1(VALU_DEP_1)
	v_lshrrev_b32_e32 v65, s48, v65
	v_bitop3_b32 v149, v65, 1, s58 bitop3:0x80
	v_and_b32_e32 v151, s58, v65
	s_delay_alu instid0(VALU_DEP_2) | instskip(NEXT) | instid1(VALU_DEP_1)
	v_add_co_u32 v65, s17, v149, -1
	v_cndmask_b32_e64 v149, 0, 1, s17
	s_delay_alu instid0(VALU_DEP_3) | instskip(NEXT) | instid1(VALU_DEP_2)
	v_dual_lshlrev_b32 v150, 30, v151 :: v_dual_lshlrev_b32 v154, 29, v151
	v_cmp_ne_u32_e32 vcc_lo, 0, v149
	s_delay_alu instid0(VALU_DEP_2) | instskip(SKIP_1) | instid1(VALU_DEP_4)
	v_cmp_gt_i32_e64 s17, 0, v150
	v_not_b32_e32 v149, v150
	v_not_b32_e32 v150, v154
	v_bitop3_b32 v65, vcc_lo, exec_lo, v65 bitop3:0x48
	s_delay_alu instid0(VALU_DEP_2) | instskip(SKIP_3) | instid1(VALU_DEP_3)
	v_dual_ashrrev_i32 v149, 31, v149 :: v_dual_ashrrev_i32 v150, 31, v150
	v_dual_lshlrev_b32 v155, 28, v151 :: v_dual_lshlrev_b32 v156, 27, v151
	v_dual_lshlrev_b32 v159, 26, v151 :: v_dual_lshlrev_b32 v160, 25, v151
	v_cmp_gt_i32_e64 s18, 0, v154
	v_cmp_gt_i32_e64 s19, 0, v155
	v_not_b32_e32 v154, v155
	v_not_b32_e32 v155, v156
	v_cmp_gt_i32_e64 s20, 0, v156
	v_cmp_gt_i32_e64 s21, 0, v159
	v_not_b32_e32 v156, v159
	v_not_b32_e32 v159, v160
	v_dual_ashrrev_i32 v154, 31, v154 :: v_dual_ashrrev_i32 v155, 31, v155
	s_delay_alu instid0(VALU_DEP_3) | instskip(NEXT) | instid1(VALU_DEP_3)
	v_dual_ashrrev_i32 v156, 31, v156 :: v_dual_bitop2_b32 v149, s17, v149 bitop3:0x14
	v_dual_ashrrev_i32 v159, 31, v159 :: v_dual_bitop2_b32 v150, s18, v150 bitop3:0x14
	v_cmp_gt_i32_e64 s22, 0, v160
	s_delay_alu instid0(VALU_DEP_4) | instskip(NEXT) | instid1(VALU_DEP_3)
	v_xor_b32_e32 v155, s20, v155
	v_bitop3_b32 v65, v65, v150, v149 bitop3:0x80
	v_mad_u32_u24 v149, v151, 36, v25
	v_mul_u32_u24_e32 v151, 36, v151
	v_xor_b32_e32 v154, s19, v154
	v_xor_b32_e32 v150, s21, v156
	;; [unrolled: 1-line block ×3, first 2 shown]
	ds_load_b32 v149, v149 offset:544
	v_add_nc_u32_e32 v151, v25, v151
	v_bitop3_b32 v65, v65, v155, v154 bitop3:0x80
	; wave barrier
	s_delay_alu instid0(VALU_DEP_1) | instskip(NEXT) | instid1(VALU_DEP_1)
	v_bitop3_b32 v65, v65, v156, v150 bitop3:0x80
	v_mbcnt_lo_u32_b32 v150, v65, 0
	v_cmp_ne_u32_e64 s17, 0, v65
	s_delay_alu instid0(VALU_DEP_2) | instskip(SKIP_1) | instid1(SALU_CYCLE_1)
	v_cmp_eq_u32_e32 vcc_lo, 0, v150
	s_and_b32 s18, s17, vcc_lo
	s_and_saveexec_b32 s17, s18
	s_cbranch_execz .LBB1422_454
; %bb.453:                              ;   in Loop: Header=BB1422_410 Depth=2
	s_wait_dscnt 0x0
	v_bcnt_u32_b32 v65, v65, v149
	ds_store_b32 v151, v65 offset:544
.LBB1422_454:                           ;   in Loop: Header=BB1422_410 Depth=2
	s_or_b32 exec_lo, exec_lo, s17
	v_cmp_lt_i32_e32 vcc_lo, -1, v148
	; wave barrier
	v_cndmask_b32_e64 v65, -1, 0x80000000, vcc_lo
	s_delay_alu instid0(VALU_DEP_1) | instskip(NEXT) | instid1(VALU_DEP_1)
	v_xor_b32_e32 v148, v65, v148
	v_cmp_ne_u32_e32 vcc_lo, 0x7fffffff, v148
	v_cndmask_b32_e32 v65, 0x80000000, v148, vcc_lo
	s_delay_alu instid0(VALU_DEP_1) | instskip(NEXT) | instid1(VALU_DEP_1)
	v_lshrrev_b32_e32 v65, s48, v65
	v_bitop3_b32 v154, v65, 1, s58 bitop3:0x80
	v_and_b32_e32 v156, s58, v65
	s_delay_alu instid0(VALU_DEP_2) | instskip(NEXT) | instid1(VALU_DEP_1)
	v_add_co_u32 v65, s17, v154, -1
	v_cndmask_b32_e64 v154, 0, 1, s17
	s_delay_alu instid0(VALU_DEP_3) | instskip(NEXT) | instid1(VALU_DEP_2)
	v_dual_lshlrev_b32 v155, 30, v156 :: v_dual_lshlrev_b32 v159, 29, v156
	v_cmp_ne_u32_e32 vcc_lo, 0, v154
	s_delay_alu instid0(VALU_DEP_2) | instskip(SKIP_1) | instid1(VALU_DEP_4)
	v_cmp_gt_i32_e64 s17, 0, v155
	v_not_b32_e32 v154, v155
	v_not_b32_e32 v155, v159
	v_cmp_gt_i32_e64 s18, 0, v159
	v_bitop3_b32 v65, vcc_lo, exec_lo, v65 bitop3:0x48
	s_delay_alu instid0(VALU_DEP_3) | instskip(SKIP_2) | instid1(VALU_DEP_2)
	v_dual_ashrrev_i32 v154, 31, v154 :: v_dual_ashrrev_i32 v155, 31, v155
	v_dual_lshlrev_b32 v160, 28, v156 :: v_dual_lshlrev_b32 v162, 27, v156
	v_dual_lshlrev_b32 v164, 26, v156 :: v_dual_lshlrev_b32 v165, 25, v156
	v_cmp_gt_i32_e64 s19, 0, v160
	v_not_b32_e32 v159, v160
	s_delay_alu instid0(VALU_DEP_4)
	v_not_b32_e32 v160, v162
	v_cmp_gt_i32_e64 s20, 0, v162
	v_cmp_gt_i32_e64 s21, 0, v164
	v_not_b32_e32 v162, v164
	v_not_b32_e32 v164, v165
	v_dual_ashrrev_i32 v159, 31, v159 :: v_dual_ashrrev_i32 v160, 31, v160
	v_xor_b32_e32 v154, s17, v154
	s_delay_alu instid0(VALU_DEP_4) | instskip(SKIP_3) | instid1(VALU_DEP_4)
	v_dual_ashrrev_i32 v162, 31, v162 :: v_dual_bitop2_b32 v155, s18, v155 bitop3:0x14
	v_cmp_gt_i32_e64 s22, 0, v165
	v_ashrrev_i32_e32 v164, 31, v164
	v_xor_b32_e32 v160, s20, v160
	v_bitop3_b32 v65, v65, v155, v154 bitop3:0x80
	v_mad_u32_u24 v154, v156, 36, v25
	v_mul_u32_u24_e32 v156, 36, v156
	v_xor_b32_e32 v159, s19, v159
	v_xor_b32_e32 v155, s21, v162
	;; [unrolled: 1-line block ×3, first 2 shown]
	ds_load_b32 v154, v154 offset:544
	v_add_nc_u32_e32 v156, v25, v156
	v_bitop3_b32 v65, v65, v160, v159 bitop3:0x80
	; wave barrier
	s_delay_alu instid0(VALU_DEP_1) | instskip(NEXT) | instid1(VALU_DEP_1)
	v_bitop3_b32 v65, v65, v162, v155 bitop3:0x80
	v_mbcnt_lo_u32_b32 v155, v65, 0
	v_cmp_ne_u32_e64 s17, 0, v65
	s_delay_alu instid0(VALU_DEP_2) | instskip(SKIP_1) | instid1(SALU_CYCLE_1)
	v_cmp_eq_u32_e32 vcc_lo, 0, v155
	s_and_b32 s18, s17, vcc_lo
	s_and_saveexec_b32 s17, s18
	s_cbranch_execz .LBB1422_456
; %bb.455:                              ;   in Loop: Header=BB1422_410 Depth=2
	s_wait_dscnt 0x0
	v_bcnt_u32_b32 v65, v65, v154
	ds_store_b32 v156, v65 offset:544
.LBB1422_456:                           ;   in Loop: Header=BB1422_410 Depth=2
	s_or_b32 exec_lo, exec_lo, s17
	v_cmp_lt_i32_e32 vcc_lo, -1, v153
	; wave barrier
	v_cndmask_b32_e64 v65, -1, 0x80000000, vcc_lo
	s_delay_alu instid0(VALU_DEP_1) | instskip(NEXT) | instid1(VALU_DEP_1)
	v_xor_b32_e32 v153, v65, v153
	v_cmp_ne_u32_e32 vcc_lo, 0x7fffffff, v153
	v_cndmask_b32_e32 v65, 0x80000000, v153, vcc_lo
	s_delay_alu instid0(VALU_DEP_1) | instskip(NEXT) | instid1(VALU_DEP_1)
	v_lshrrev_b32_e32 v65, s48, v65
	v_and_b32_e32 v162, s58, v65
	s_delay_alu instid0(VALU_DEP_1) | instskip(SKIP_2) | instid1(VALU_DEP_3)
	v_lshlrev_b32_e32 v165, 28, v162
	v_bitop3_b32 v159, v65, 1, s58 bitop3:0x80
	v_lshlrev_b32_e32 v160, 30, v162
	v_cmp_gt_i32_e64 s19, 0, v165
	s_delay_alu instid0(VALU_DEP_3) | instskip(NEXT) | instid1(VALU_DEP_1)
	v_add_co_u32 v65, s17, v159, -1
	v_cndmask_b32_e64 v159, 0, 1, s17
	s_delay_alu instid0(VALU_DEP_4) | instskip(NEXT) | instid1(VALU_DEP_2)
	v_cmp_gt_i32_e64 s17, 0, v160
	v_cmp_ne_u32_e32 vcc_lo, 0, v159
	v_not_b32_e32 v159, v160
	v_bitop3_b32 v65, vcc_lo, exec_lo, v65 bitop3:0x48
	s_delay_alu instid0(VALU_DEP_2) | instskip(SKIP_1) | instid1(VALU_DEP_2)
	v_dual_ashrrev_i32 v159, 31, v159 :: v_dual_lshlrev_b32 v164, 29, v162
	v_dual_lshlrev_b32 v167, 27, v162 :: v_dual_lshlrev_b32 v169, 26, v162
	v_not_b32_e32 v160, v164
	v_lshlrev_b32_e32 v170, 25, v162
	v_cmp_gt_i32_e64 s18, 0, v164
	v_not_b32_e32 v164, v165
	v_not_b32_e32 v165, v167
	v_ashrrev_i32_e32 v160, 31, v160
	v_cmp_gt_i32_e64 s20, 0, v167
	v_cmp_gt_i32_e64 s21, 0, v169
	v_not_b32_e32 v167, v169
	v_not_b32_e32 v169, v170
	v_dual_ashrrev_i32 v164, 31, v164 :: v_dual_ashrrev_i32 v165, 31, v165
	v_xor_b32_e32 v159, s17, v159
	s_delay_alu instid0(VALU_DEP_4) | instskip(SKIP_3) | instid1(VALU_DEP_4)
	v_dual_ashrrev_i32 v167, 31, v167 :: v_dual_bitop2_b32 v160, s18, v160 bitop3:0x14
	v_cmp_gt_i32_e64 s22, 0, v170
	v_ashrrev_i32_e32 v169, 31, v169
	v_xor_b32_e32 v165, s20, v165
	v_bitop3_b32 v65, v65, v160, v159 bitop3:0x80
	v_mad_u32_u24 v159, v162, 36, v25
	v_mul_u32_u24_e32 v162, 36, v162
	v_xor_b32_e32 v164, s19, v164
	v_xor_b32_e32 v160, s21, v167
	;; [unrolled: 1-line block ×3, first 2 shown]
	ds_load_b32 v159, v159 offset:544
	v_add_nc_u32_e32 v162, v25, v162
	v_bitop3_b32 v65, v65, v165, v164 bitop3:0x80
	; wave barrier
	s_delay_alu instid0(VALU_DEP_1) | instskip(NEXT) | instid1(VALU_DEP_1)
	v_bitop3_b32 v65, v65, v167, v160 bitop3:0x80
	v_mbcnt_lo_u32_b32 v160, v65, 0
	v_cmp_ne_u32_e64 s17, 0, v65
	s_delay_alu instid0(VALU_DEP_2) | instskip(SKIP_1) | instid1(SALU_CYCLE_1)
	v_cmp_eq_u32_e32 vcc_lo, 0, v160
	s_and_b32 s18, s17, vcc_lo
	s_and_saveexec_b32 s17, s18
	s_cbranch_execz .LBB1422_458
; %bb.457:                              ;   in Loop: Header=BB1422_410 Depth=2
	s_wait_dscnt 0x0
	v_bcnt_u32_b32 v65, v65, v159
	ds_store_b32 v162, v65 offset:544
.LBB1422_458:                           ;   in Loop: Header=BB1422_410 Depth=2
	s_or_b32 exec_lo, exec_lo, s17
	v_cmp_lt_i32_e32 vcc_lo, -1, v158
	; wave barrier
	v_cndmask_b32_e64 v65, -1, 0x80000000, vcc_lo
	s_delay_alu instid0(VALU_DEP_1) | instskip(NEXT) | instid1(VALU_DEP_1)
	v_xor_b32_e32 v158, v65, v158
	v_cmp_ne_u32_e32 vcc_lo, 0x7fffffff, v158
	v_cndmask_b32_e32 v65, 0x80000000, v158, vcc_lo
	s_delay_alu instid0(VALU_DEP_1) | instskip(NEXT) | instid1(VALU_DEP_1)
	v_lshrrev_b32_e32 v65, s48, v65
	v_bitop3_b32 v164, v65, 1, s58 bitop3:0x80
	v_and_b32_e32 v167, s58, v65
	s_delay_alu instid0(VALU_DEP_2) | instskip(NEXT) | instid1(VALU_DEP_1)
	v_add_co_u32 v65, s17, v164, -1
	v_cndmask_b32_e64 v164, 0, 1, s17
	s_delay_alu instid0(VALU_DEP_3) | instskip(NEXT) | instid1(VALU_DEP_2)
	v_lshlrev_b32_e32 v165, 30, v167
	v_cmp_ne_u32_e32 vcc_lo, 0, v164
	s_delay_alu instid0(VALU_DEP_2) | instskip(SKIP_1) | instid1(VALU_DEP_2)
	v_not_b32_e32 v164, v165
	v_bitop3_b32 v65, vcc_lo, exec_lo, v65 bitop3:0x48
	v_dual_ashrrev_i32 v164, 31, v164 :: v_dual_lshlrev_b32 v169, 29, v167
	v_dual_lshlrev_b32 v170, 28, v167 :: v_dual_lshlrev_b32 v172, 27, v167
	v_lshlrev_b32_e32 v174, 26, v167
	v_cmp_gt_i32_e64 s17, 0, v165
	s_delay_alu instid0(VALU_DEP_4)
	v_not_b32_e32 v165, v169
	v_lshlrev_b32_e32 v175, 25, v167
	v_cmp_gt_i32_e64 s18, 0, v169
	v_cmp_gt_i32_e64 s19, 0, v170
	v_not_b32_e32 v169, v170
	v_not_b32_e32 v170, v172
	v_ashrrev_i32_e32 v165, 31, v165
	v_cmp_gt_i32_e64 s20, 0, v172
	v_cmp_gt_i32_e64 s21, 0, v174
	v_not_b32_e32 v172, v174
	v_not_b32_e32 v174, v175
	v_dual_ashrrev_i32 v169, 31, v169 :: v_dual_ashrrev_i32 v170, 31, v170
	v_xor_b32_e32 v164, s17, v164
	s_delay_alu instid0(VALU_DEP_4) | instskip(SKIP_3) | instid1(VALU_DEP_4)
	v_dual_ashrrev_i32 v172, 31, v172 :: v_dual_bitop2_b32 v165, s18, v165 bitop3:0x14
	v_cmp_gt_i32_e64 s22, 0, v175
	v_ashrrev_i32_e32 v174, 31, v174
	v_xor_b32_e32 v170, s20, v170
	v_bitop3_b32 v65, v65, v165, v164 bitop3:0x80
	v_mad_u32_u24 v164, v167, 36, v25
	v_mul_u32_u24_e32 v167, 36, v167
	v_xor_b32_e32 v169, s19, v169
	v_xor_b32_e32 v165, s21, v172
	;; [unrolled: 1-line block ×3, first 2 shown]
	ds_load_b32 v164, v164 offset:544
	v_add_nc_u32_e32 v167, v25, v167
	v_bitop3_b32 v65, v65, v170, v169 bitop3:0x80
	; wave barrier
	s_delay_alu instid0(VALU_DEP_1) | instskip(NEXT) | instid1(VALU_DEP_1)
	v_bitop3_b32 v65, v65, v172, v165 bitop3:0x80
	v_mbcnt_lo_u32_b32 v165, v65, 0
	v_cmp_ne_u32_e64 s17, 0, v65
	s_delay_alu instid0(VALU_DEP_2) | instskip(SKIP_1) | instid1(SALU_CYCLE_1)
	v_cmp_eq_u32_e32 vcc_lo, 0, v165
	s_and_b32 s18, s17, vcc_lo
	s_and_saveexec_b32 s17, s18
	s_cbranch_execz .LBB1422_460
; %bb.459:                              ;   in Loop: Header=BB1422_410 Depth=2
	s_wait_dscnt 0x0
	v_bcnt_u32_b32 v65, v65, v164
	ds_store_b32 v167, v65 offset:544
.LBB1422_460:                           ;   in Loop: Header=BB1422_410 Depth=2
	s_or_b32 exec_lo, exec_lo, s17
	v_cmp_lt_i32_e32 vcc_lo, -1, v163
	; wave barrier
	v_cndmask_b32_e64 v65, -1, 0x80000000, vcc_lo
	s_delay_alu instid0(VALU_DEP_1) | instskip(NEXT) | instid1(VALU_DEP_1)
	v_xor_b32_e32 v163, v65, v163
	v_cmp_ne_u32_e32 vcc_lo, 0x7fffffff, v163
	v_cndmask_b32_e32 v65, 0x80000000, v163, vcc_lo
	s_delay_alu instid0(VALU_DEP_1) | instskip(NEXT) | instid1(VALU_DEP_1)
	v_lshrrev_b32_e32 v65, s48, v65
	v_bitop3_b32 v169, v65, 1, s58 bitop3:0x80
	v_and_b32_e32 v172, s58, v65
	s_delay_alu instid0(VALU_DEP_2) | instskip(NEXT) | instid1(VALU_DEP_1)
	v_add_co_u32 v65, s17, v169, -1
	v_cndmask_b32_e64 v169, 0, 1, s17
	s_delay_alu instid0(VALU_DEP_3) | instskip(NEXT) | instid1(VALU_DEP_2)
	v_dual_lshlrev_b32 v170, 30, v172 :: v_dual_lshlrev_b32 v174, 29, v172
	v_cmp_ne_u32_e32 vcc_lo, 0, v169
	s_delay_alu instid0(VALU_DEP_2) | instskip(SKIP_1) | instid1(VALU_DEP_4)
	v_cmp_gt_i32_e64 s17, 0, v170
	v_not_b32_e32 v169, v170
	v_not_b32_e32 v170, v174
	v_bitop3_b32 v65, vcc_lo, exec_lo, v65 bitop3:0x48
	s_delay_alu instid0(VALU_DEP_2) | instskip(SKIP_3) | instid1(VALU_DEP_3)
	v_dual_ashrrev_i32 v169, 31, v169 :: v_dual_ashrrev_i32 v170, 31, v170
	v_dual_lshlrev_b32 v175, 28, v172 :: v_dual_lshlrev_b32 v176, 27, v172
	v_dual_lshlrev_b32 v177, 26, v172 :: v_dual_lshlrev_b32 v178, 25, v172
	v_cmp_gt_i32_e64 s18, 0, v174
	v_cmp_gt_i32_e64 s19, 0, v175
	v_not_b32_e32 v174, v175
	v_not_b32_e32 v175, v176
	v_cmp_gt_i32_e64 s20, 0, v176
	v_cmp_gt_i32_e64 s21, 0, v177
	v_not_b32_e32 v176, v177
	v_not_b32_e32 v177, v178
	v_dual_ashrrev_i32 v174, 31, v174 :: v_dual_ashrrev_i32 v175, 31, v175
	s_delay_alu instid0(VALU_DEP_3) | instskip(NEXT) | instid1(VALU_DEP_3)
	v_dual_ashrrev_i32 v176, 31, v176 :: v_dual_bitop2_b32 v169, s17, v169 bitop3:0x14
	v_dual_ashrrev_i32 v177, 31, v177 :: v_dual_bitop2_b32 v170, s18, v170 bitop3:0x14
	v_cmp_gt_i32_e64 s22, 0, v178
	s_delay_alu instid0(VALU_DEP_4) | instskip(NEXT) | instid1(VALU_DEP_3)
	v_xor_b32_e32 v175, s20, v175
	v_bitop3_b32 v65, v65, v170, v169 bitop3:0x80
	v_mad_u32_u24 v169, v172, 36, v25
	v_mul_u32_u24_e32 v172, 36, v172
	v_xor_b32_e32 v174, s19, v174
	v_xor_b32_e32 v170, s21, v176
	;; [unrolled: 1-line block ×3, first 2 shown]
	ds_load_b32 v169, v169 offset:544
	v_add_nc_u32_e32 v172, v25, v172
	v_bitop3_b32 v65, v65, v175, v174 bitop3:0x80
	; wave barrier
	s_delay_alu instid0(VALU_DEP_1) | instskip(NEXT) | instid1(VALU_DEP_1)
	v_bitop3_b32 v65, v65, v176, v170 bitop3:0x80
	v_mbcnt_lo_u32_b32 v170, v65, 0
	v_cmp_ne_u32_e64 s17, 0, v65
	s_delay_alu instid0(VALU_DEP_2) | instskip(SKIP_1) | instid1(SALU_CYCLE_1)
	v_cmp_eq_u32_e32 vcc_lo, 0, v170
	s_and_b32 s18, s17, vcc_lo
	s_and_saveexec_b32 s17, s18
	s_cbranch_execz .LBB1422_462
; %bb.461:                              ;   in Loop: Header=BB1422_410 Depth=2
	s_wait_dscnt 0x0
	v_bcnt_u32_b32 v65, v65, v169
	ds_store_b32 v172, v65 offset:544
.LBB1422_462:                           ;   in Loop: Header=BB1422_410 Depth=2
	s_or_b32 exec_lo, exec_lo, s17
	v_cmp_lt_i32_e32 vcc_lo, -1, v168
	; wave barrier
	v_cndmask_b32_e64 v65, -1, 0x80000000, vcc_lo
	s_delay_alu instid0(VALU_DEP_1) | instskip(NEXT) | instid1(VALU_DEP_1)
	v_xor_b32_e32 v168, v65, v168
	v_cmp_ne_u32_e32 vcc_lo, 0x7fffffff, v168
	v_cndmask_b32_e32 v65, 0x80000000, v168, vcc_lo
	s_delay_alu instid0(VALU_DEP_1) | instskip(NEXT) | instid1(VALU_DEP_1)
	v_lshrrev_b32_e32 v65, s48, v65
	v_bitop3_b32 v174, v65, 1, s58 bitop3:0x80
	v_and_b32_e32 v176, s58, v65
	s_delay_alu instid0(VALU_DEP_2) | instskip(NEXT) | instid1(VALU_DEP_1)
	v_add_co_u32 v65, s17, v174, -1
	v_cndmask_b32_e64 v174, 0, 1, s17
	s_delay_alu instid0(VALU_DEP_3) | instskip(NEXT) | instid1(VALU_DEP_2)
	v_dual_lshlrev_b32 v175, 30, v176 :: v_dual_lshlrev_b32 v177, 29, v176
	v_cmp_ne_u32_e32 vcc_lo, 0, v174
	s_delay_alu instid0(VALU_DEP_2) | instskip(SKIP_1) | instid1(VALU_DEP_4)
	v_cmp_gt_i32_e64 s17, 0, v175
	v_not_b32_e32 v174, v175
	v_not_b32_e32 v175, v177
	v_cmp_gt_i32_e64 s18, 0, v177
	v_bitop3_b32 v65, vcc_lo, exec_lo, v65 bitop3:0x48
	s_delay_alu instid0(VALU_DEP_3) | instskip(SKIP_2) | instid1(VALU_DEP_2)
	v_dual_ashrrev_i32 v174, 31, v174 :: v_dual_ashrrev_i32 v175, 31, v175
	v_dual_lshlrev_b32 v178, 28, v176 :: v_dual_lshlrev_b32 v179, 27, v176
	v_dual_lshlrev_b32 v180, 26, v176 :: v_dual_lshlrev_b32 v181, 25, v176
	v_cmp_gt_i32_e64 s19, 0, v178
	v_not_b32_e32 v177, v178
	s_delay_alu instid0(VALU_DEP_4)
	v_not_b32_e32 v178, v179
	v_cmp_gt_i32_e64 s20, 0, v179
	v_cmp_gt_i32_e64 s21, 0, v180
	v_not_b32_e32 v179, v180
	v_not_b32_e32 v180, v181
	v_dual_ashrrev_i32 v177, 31, v177 :: v_dual_ashrrev_i32 v178, 31, v178
	s_delay_alu instid0(VALU_DEP_3) | instskip(NEXT) | instid1(VALU_DEP_3)
	v_dual_ashrrev_i32 v179, 31, v179 :: v_dual_bitop2_b32 v174, s17, v174 bitop3:0x14
	v_dual_ashrrev_i32 v180, 31, v180 :: v_dual_bitop2_b32 v175, s18, v175 bitop3:0x14
	v_cmp_gt_i32_e64 s22, 0, v181
	s_delay_alu instid0(VALU_DEP_4) | instskip(NEXT) | instid1(VALU_DEP_3)
	v_xor_b32_e32 v178, s20, v178
	v_bitop3_b32 v65, v65, v175, v174 bitop3:0x80
	v_mad_u32_u24 v174, v176, 36, v25
	v_mul_u32_u24_e32 v176, 36, v176
	v_xor_b32_e32 v177, s19, v177
	v_xor_b32_e32 v175, s21, v179
	;; [unrolled: 1-line block ×3, first 2 shown]
	ds_load_b32 v174, v174 offset:544
	v_add_nc_u32_e32 v176, v25, v176
	v_bitop3_b32 v65, v65, v178, v177 bitop3:0x80
	; wave barrier
	s_delay_alu instid0(VALU_DEP_1) | instskip(NEXT) | instid1(VALU_DEP_1)
	v_bitop3_b32 v65, v65, v179, v175 bitop3:0x80
	v_mbcnt_lo_u32_b32 v175, v65, 0
	v_cmp_ne_u32_e64 s17, 0, v65
	s_delay_alu instid0(VALU_DEP_2) | instskip(SKIP_1) | instid1(SALU_CYCLE_1)
	v_cmp_eq_u32_e32 vcc_lo, 0, v175
	s_and_b32 s18, s17, vcc_lo
	s_and_saveexec_b32 s17, s18
	s_cbranch_execz .LBB1422_464
; %bb.463:                              ;   in Loop: Header=BB1422_410 Depth=2
	s_wait_dscnt 0x0
	v_bcnt_u32_b32 v65, v65, v174
	ds_store_b32 v176, v65 offset:544
.LBB1422_464:                           ;   in Loop: Header=BB1422_410 Depth=2
	s_or_b32 exec_lo, exec_lo, s17
	v_cmp_lt_i32_e32 vcc_lo, -1, v173
	; wave barrier
	v_cndmask_b32_e64 v65, -1, 0x80000000, vcc_lo
	s_delay_alu instid0(VALU_DEP_1) | instskip(NEXT) | instid1(VALU_DEP_1)
	v_xor_b32_e32 v173, v65, v173
	v_cmp_ne_u32_e32 vcc_lo, 0x7fffffff, v173
	v_cndmask_b32_e32 v65, 0x80000000, v173, vcc_lo
	s_delay_alu instid0(VALU_DEP_1) | instskip(NEXT) | instid1(VALU_DEP_1)
	v_lshrrev_b32_e32 v65, s48, v65
	v_and_b32_e32 v179, s58, v65
	s_delay_alu instid0(VALU_DEP_1) | instskip(SKIP_2) | instid1(VALU_DEP_3)
	v_lshlrev_b32_e32 v181, 28, v179
	v_bitop3_b32 v177, v65, 1, s58 bitop3:0x80
	v_dual_lshlrev_b32 v178, 30, v179 :: v_dual_lshlrev_b32 v180, 29, v179
	v_cmp_gt_i32_e64 s19, 0, v181
	s_delay_alu instid0(VALU_DEP_3) | instskip(NEXT) | instid1(VALU_DEP_1)
	v_add_co_u32 v65, s17, v177, -1
	v_cndmask_b32_e64 v177, 0, 1, s17
	s_delay_alu instid0(VALU_DEP_4) | instskip(SKIP_1) | instid1(VALU_DEP_3)
	v_cmp_gt_i32_e64 s17, 0, v178
	v_cmp_gt_i32_e64 s18, 0, v180
	v_cmp_ne_u32_e32 vcc_lo, 0, v177
	v_not_b32_e32 v177, v178
	v_not_b32_e32 v178, v180
	v_not_b32_e32 v180, v181
	v_bitop3_b32 v65, vcc_lo, exec_lo, v65 bitop3:0x48
	s_delay_alu instid0(VALU_DEP_3) | instskip(SKIP_2) | instid1(VALU_DEP_2)
	v_dual_ashrrev_i32 v177, 31, v177 :: v_dual_ashrrev_i32 v178, 31, v178
	v_dual_lshlrev_b32 v182, 27, v179 :: v_dual_lshlrev_b32 v183, 26, v179
	v_lshlrev_b32_e32 v184, 25, v179
	v_not_b32_e32 v181, v182
	v_cmp_gt_i32_e64 s20, 0, v182
	s_delay_alu instid0(VALU_DEP_4) | instskip(SKIP_3) | instid1(VALU_DEP_3)
	v_cmp_gt_i32_e64 s21, 0, v183
	v_not_b32_e32 v182, v183
	v_not_b32_e32 v183, v184
	v_dual_ashrrev_i32 v180, 31, v180 :: v_dual_ashrrev_i32 v181, 31, v181
	v_dual_ashrrev_i32 v182, 31, v182 :: v_dual_bitop2_b32 v177, s17, v177 bitop3:0x14
	s_delay_alu instid0(VALU_DEP_3) | instskip(SKIP_1) | instid1(VALU_DEP_4)
	v_dual_ashrrev_i32 v183, 31, v183 :: v_dual_bitop2_b32 v178, s18, v178 bitop3:0x14
	v_cmp_gt_i32_e64 s22, 0, v184
	v_xor_b32_e32 v181, s20, v181
	s_delay_alu instid0(VALU_DEP_3)
	v_bitop3_b32 v65, v65, v178, v177 bitop3:0x80
	v_mad_u32_u24 v177, v179, 36, v25
	v_mul_u32_u24_e32 v179, 36, v179
	v_xor_b32_e32 v180, s19, v180
	v_xor_b32_e32 v178, s21, v182
	;; [unrolled: 1-line block ×3, first 2 shown]
	ds_load_b32 v177, v177 offset:544
	v_add_nc_u32_e32 v179, v25, v179
	v_bitop3_b32 v65, v65, v181, v180 bitop3:0x80
	; wave barrier
	s_delay_alu instid0(VALU_DEP_1) | instskip(NEXT) | instid1(VALU_DEP_1)
	v_bitop3_b32 v65, v65, v182, v178 bitop3:0x80
	v_mbcnt_lo_u32_b32 v178, v65, 0
	v_cmp_ne_u32_e64 s17, 0, v65
	s_delay_alu instid0(VALU_DEP_2) | instskip(SKIP_1) | instid1(SALU_CYCLE_1)
	v_cmp_eq_u32_e32 vcc_lo, 0, v178
	s_and_b32 s18, s17, vcc_lo
	s_and_saveexec_b32 s17, s18
	s_cbranch_execz .LBB1422_466
; %bb.465:                              ;   in Loop: Header=BB1422_410 Depth=2
	s_wait_dscnt 0x0
	v_bcnt_u32_b32 v65, v65, v177
	ds_store_b32 v179, v65 offset:544
.LBB1422_466:                           ;   in Loop: Header=BB1422_410 Depth=2
	s_or_b32 exec_lo, exec_lo, s17
	v_cmp_lt_i32_e32 vcc_lo, -1, v171
	; wave barrier
	v_cndmask_b32_e64 v65, -1, 0x80000000, vcc_lo
	s_delay_alu instid0(VALU_DEP_1) | instskip(NEXT) | instid1(VALU_DEP_1)
	v_xor_b32_e32 v171, v65, v171
	v_cmp_ne_u32_e32 vcc_lo, 0x7fffffff, v171
	v_cndmask_b32_e32 v65, 0x80000000, v171, vcc_lo
	s_delay_alu instid0(VALU_DEP_1) | instskip(NEXT) | instid1(VALU_DEP_1)
	v_lshrrev_b32_e32 v65, s48, v65
	v_bitop3_b32 v180, v65, 1, s58 bitop3:0x80
	v_and_b32_e32 v182, s58, v65
	s_delay_alu instid0(VALU_DEP_2) | instskip(NEXT) | instid1(VALU_DEP_1)
	v_add_co_u32 v65, s17, v180, -1
	v_cndmask_b32_e64 v180, 0, 1, s17
	s_delay_alu instid0(VALU_DEP_3) | instskip(NEXT) | instid1(VALU_DEP_2)
	v_lshlrev_b32_e32 v181, 30, v182
	v_cmp_ne_u32_e32 vcc_lo, 0, v180
	s_delay_alu instid0(VALU_DEP_2) | instskip(SKIP_1) | instid1(VALU_DEP_2)
	v_not_b32_e32 v180, v181
	v_bitop3_b32 v65, vcc_lo, exec_lo, v65 bitop3:0x48
	v_dual_ashrrev_i32 v180, 31, v180 :: v_dual_lshlrev_b32 v183, 29, v182
	v_dual_lshlrev_b32 v184, 28, v182 :: v_dual_lshlrev_b32 v185, 27, v182
	v_lshlrev_b32_e32 v186, 26, v182
	v_cmp_gt_i32_e64 s17, 0, v181
	s_delay_alu instid0(VALU_DEP_4)
	v_not_b32_e32 v181, v183
	v_lshlrev_b32_e32 v187, 25, v182
	v_cmp_gt_i32_e64 s18, 0, v183
	v_cmp_gt_i32_e64 s19, 0, v184
	v_not_b32_e32 v183, v184
	v_not_b32_e32 v184, v185
	v_ashrrev_i32_e32 v181, 31, v181
	v_cmp_gt_i32_e64 s20, 0, v185
	v_cmp_gt_i32_e64 s21, 0, v186
	v_not_b32_e32 v185, v186
	v_not_b32_e32 v186, v187
	v_dual_ashrrev_i32 v183, 31, v183 :: v_dual_ashrrev_i32 v184, 31, v184
	s_delay_alu instid0(VALU_DEP_3) | instskip(NEXT) | instid1(VALU_DEP_3)
	v_dual_ashrrev_i32 v185, 31, v185 :: v_dual_bitop2_b32 v180, s17, v180 bitop3:0x14
	v_dual_ashrrev_i32 v186, 31, v186 :: v_dual_bitop2_b32 v181, s18, v181 bitop3:0x14
	v_cmp_gt_i32_e64 s22, 0, v187
	s_delay_alu instid0(VALU_DEP_4) | instskip(NEXT) | instid1(VALU_DEP_3)
	v_xor_b32_e32 v184, s20, v184
	v_bitop3_b32 v65, v65, v181, v180 bitop3:0x80
	v_mad_u32_u24 v180, v182, 36, v25
	v_mul_u32_u24_e32 v182, 36, v182
	v_xor_b32_e32 v183, s19, v183
	v_xor_b32_e32 v181, s21, v185
	;; [unrolled: 1-line block ×3, first 2 shown]
	ds_load_b32 v180, v180 offset:544
	v_add_nc_u32_e32 v182, v25, v182
	v_bitop3_b32 v65, v65, v184, v183 bitop3:0x80
	; wave barrier
	s_delay_alu instid0(VALU_DEP_1) | instskip(NEXT) | instid1(VALU_DEP_1)
	v_bitop3_b32 v65, v65, v185, v181 bitop3:0x80
	v_mbcnt_lo_u32_b32 v181, v65, 0
	v_cmp_ne_u32_e64 s17, 0, v65
	s_delay_alu instid0(VALU_DEP_2) | instskip(SKIP_1) | instid1(SALU_CYCLE_1)
	v_cmp_eq_u32_e32 vcc_lo, 0, v181
	s_and_b32 s18, s17, vcc_lo
	s_and_saveexec_b32 s17, s18
	s_cbranch_execz .LBB1422_468
; %bb.467:                              ;   in Loop: Header=BB1422_410 Depth=2
	s_wait_dscnt 0x0
	v_bcnt_u32_b32 v65, v65, v180
	ds_store_b32 v182, v65 offset:544
.LBB1422_468:                           ;   in Loop: Header=BB1422_410 Depth=2
	s_or_b32 exec_lo, exec_lo, s17
	v_cmp_lt_i32_e32 vcc_lo, -1, v166
	; wave barrier
	v_cndmask_b32_e64 v65, -1, 0x80000000, vcc_lo
	s_delay_alu instid0(VALU_DEP_1) | instskip(NEXT) | instid1(VALU_DEP_1)
	v_xor_b32_e32 v166, v65, v166
	v_cmp_ne_u32_e32 vcc_lo, 0x7fffffff, v166
	v_cndmask_b32_e32 v65, 0x80000000, v166, vcc_lo
	s_delay_alu instid0(VALU_DEP_1) | instskip(NEXT) | instid1(VALU_DEP_1)
	v_lshrrev_b32_e32 v65, s48, v65
	v_bitop3_b32 v183, v65, 1, s58 bitop3:0x80
	v_and_b32_e32 v186, s58, v65
	s_delay_alu instid0(VALU_DEP_2) | instskip(NEXT) | instid1(VALU_DEP_1)
	v_add_co_u32 v65, s17, v183, -1
	v_cndmask_b32_e64 v183, 0, 1, s17
	s_delay_alu instid0(VALU_DEP_3) | instskip(NEXT) | instid1(VALU_DEP_2)
	v_lshlrev_b32_e32 v184, 30, v186
	v_cmp_ne_u32_e32 vcc_lo, 0, v183
	s_delay_alu instid0(VALU_DEP_2) | instskip(SKIP_1) | instid1(VALU_DEP_2)
	v_not_b32_e32 v183, v184
	v_bitop3_b32 v65, vcc_lo, exec_lo, v65 bitop3:0x48
	v_dual_ashrrev_i32 v183, 31, v183 :: v_dual_lshlrev_b32 v185, 29, v186
	v_cmp_gt_i32_e64 s17, 0, v184
	v_dual_lshlrev_b32 v187, 28, v186 :: v_dual_lshlrev_b32 v188, 27, v186
	v_dual_lshlrev_b32 v189, 26, v186 :: v_dual_lshlrev_b32 v190, 25, v186
	s_delay_alu instid0(VALU_DEP_4) | instskip(SKIP_1) | instid1(VALU_DEP_4)
	v_not_b32_e32 v184, v185
	v_cmp_gt_i32_e64 s18, 0, v185
	v_cmp_gt_i32_e64 s19, 0, v187
	v_not_b32_e32 v185, v187
	v_cmp_gt_i32_e64 s20, 0, v188
	v_ashrrev_i32_e32 v184, 31, v184
	v_not_b32_e32 v187, v188
	v_cmp_gt_i32_e64 s21, 0, v189
	v_not_b32_e32 v188, v189
	v_not_b32_e32 v189, v190
	v_xor_b32_e32 v183, s17, v183
	v_dual_ashrrev_i32 v185, 31, v185 :: v_dual_bitop2_b32 v184, s18, v184 bitop3:0x14
	s_delay_alu instid0(VALU_DEP_4) | instskip(NEXT) | instid1(VALU_DEP_4)
	v_dual_ashrrev_i32 v187, 31, v187 :: v_dual_ashrrev_i32 v188, 31, v188
	v_ashrrev_i32_e32 v189, 31, v189
	s_delay_alu instid0(VALU_DEP_3)
	v_bitop3_b32 v65, v65, v184, v183 bitop3:0x80
	v_mad_u32_u24 v183, v186, 36, v25
	v_cmp_gt_i32_e64 s22, 0, v190
	v_xor_b32_e32 v187, s20, v187
	v_xor_b32_e32 v188, s21, v188
	ds_load_b32 v184, v183 offset:544
	v_mul_u32_u24_e32 v183, 36, v186
	v_xor_b32_e32 v185, s19, v185
	v_xor_b32_e32 v189, s22, v189
	; wave barrier
	s_delay_alu instid0(VALU_DEP_3) | instskip(NEXT) | instid1(VALU_DEP_3)
	v_add_nc_u32_e32 v186, v25, v183
	v_bitop3_b32 v65, v65, v187, v185 bitop3:0x80
	s_delay_alu instid0(VALU_DEP_1) | instskip(NEXT) | instid1(VALU_DEP_1)
	v_bitop3_b32 v65, v65, v189, v188 bitop3:0x80
	v_mbcnt_lo_u32_b32 v185, v65, 0
	v_cmp_ne_u32_e64 s17, 0, v65
	s_delay_alu instid0(VALU_DEP_2) | instskip(SKIP_1) | instid1(SALU_CYCLE_1)
	v_cmp_eq_u32_e32 vcc_lo, 0, v185
	s_and_b32 s18, s17, vcc_lo
	s_and_saveexec_b32 s17, s18
	s_cbranch_execz .LBB1422_470
; %bb.469:                              ;   in Loop: Header=BB1422_410 Depth=2
	s_wait_dscnt 0x0
	v_bcnt_u32_b32 v65, v65, v184
	ds_store_b32 v186, v65 offset:544
.LBB1422_470:                           ;   in Loop: Header=BB1422_410 Depth=2
	s_or_b32 exec_lo, exec_lo, s17
	v_cmp_lt_i32_e32 vcc_lo, -1, v161
	; wave barrier
	v_cndmask_b32_e64 v65, -1, 0x80000000, vcc_lo
	s_delay_alu instid0(VALU_DEP_1) | instskip(NEXT) | instid1(VALU_DEP_1)
	v_xor_b32_e32 v183, v65, v161
	v_cmp_ne_u32_e32 vcc_lo, 0x7fffffff, v183
	v_cndmask_b32_e32 v65, 0x80000000, v183, vcc_lo
	s_delay_alu instid0(VALU_DEP_1) | instskip(NEXT) | instid1(VALU_DEP_1)
	v_lshrrev_b32_e32 v65, s48, v65
	v_and_b32_e32 v187, s58, v65
	s_delay_alu instid0(VALU_DEP_1) | instskip(SKIP_3) | instid1(VALU_DEP_4)
	v_lshlrev_b32_e32 v189, 29, v187
	v_bitop3_b32 v161, v65, 1, s58 bitop3:0x80
	v_dual_lshlrev_b32 v188, 30, v187 :: v_dual_lshlrev_b32 v190, 28, v187
	v_lshlrev_b32_e32 v191, 27, v187
	v_cmp_gt_i32_e64 s18, 0, v189
	s_delay_alu instid0(VALU_DEP_4) | instskip(NEXT) | instid1(VALU_DEP_1)
	v_add_co_u32 v65, s17, v161, -1
	v_cndmask_b32_e64 v161, 0, 1, s17
	v_cmp_gt_i32_e64 s17, 0, v188
	v_cmp_gt_i32_e64 s19, 0, v190
	;; [unrolled: 1-line block ×3, first 2 shown]
	s_delay_alu instid0(VALU_DEP_4)
	v_cmp_ne_u32_e32 vcc_lo, 0, v161
	v_not_b32_e32 v161, v188
	v_not_b32_e32 v188, v189
	v_not_b32_e32 v189, v190
	v_not_b32_e32 v190, v191
	v_bitop3_b32 v65, vcc_lo, exec_lo, v65 bitop3:0x48
	s_delay_alu instid0(VALU_DEP_4) | instskip(NEXT) | instid1(VALU_DEP_3)
	v_dual_ashrrev_i32 v188, 31, v188 :: v_dual_ashrrev_i32 v161, 31, v161
	v_dual_ashrrev_i32 v190, 31, v190 :: v_dual_lshlrev_b32 v192, 26, v187
	s_delay_alu instid0(VALU_DEP_2) | instskip(NEXT) | instid1(VALU_DEP_2)
	v_dual_lshlrev_b32 v193, 25, v187 :: v_dual_bitop2_b32 v188, s18, v188 bitop3:0x14
	v_cmp_gt_i32_e64 s21, 0, v192
	v_not_b32_e32 v191, v192
	s_delay_alu instid0(VALU_DEP_3) | instskip(SKIP_3) | instid1(VALU_DEP_4)
	v_not_b32_e32 v192, v193
	v_xor_b32_e32 v161, s17, v161
	v_ashrrev_i32_e32 v189, 31, v189
	v_cmp_gt_i32_e64 s22, 0, v193
	v_dual_ashrrev_i32 v191, 31, v191 :: v_dual_ashrrev_i32 v192, 31, v192
	s_delay_alu instid0(VALU_DEP_4) | instskip(SKIP_2) | instid1(VALU_DEP_4)
	v_bitop3_b32 v65, v65, v188, v161 bitop3:0x80
	v_mad_u32_u24 v161, v187, 36, v25
	v_xor_b32_e32 v189, s19, v189
	v_xor_b32_e32 v191, s21, v191
	;; [unrolled: 1-line block ×3, first 2 shown]
	ds_load_b32 v188, v161 offset:544
	v_mul_u32_u24_e32 v161, 36, v187
	v_xor_b32_e32 v190, s20, v190
	; wave barrier
	s_delay_alu instid0(VALU_DEP_2) | instskip(NEXT) | instid1(VALU_DEP_2)
	v_add_nc_u32_e32 v161, v25, v161
	v_bitop3_b32 v65, v65, v190, v189 bitop3:0x80
	s_delay_alu instid0(VALU_DEP_1) | instskip(NEXT) | instid1(VALU_DEP_1)
	v_bitop3_b32 v65, v65, v192, v191 bitop3:0x80
	v_mbcnt_lo_u32_b32 v189, v65, 0
	v_cmp_ne_u32_e64 s17, 0, v65
	s_delay_alu instid0(VALU_DEP_2) | instskip(SKIP_1) | instid1(SALU_CYCLE_1)
	v_cmp_eq_u32_e32 vcc_lo, 0, v189
	s_and_b32 s18, s17, vcc_lo
	s_and_saveexec_b32 s17, s18
	s_cbranch_execz .LBB1422_472
; %bb.471:                              ;   in Loop: Header=BB1422_410 Depth=2
	s_wait_dscnt 0x0
	v_bcnt_u32_b32 v65, v65, v188
	ds_store_b32 v161, v65 offset:544
.LBB1422_472:                           ;   in Loop: Header=BB1422_410 Depth=2
	s_or_b32 exec_lo, exec_lo, s17
	v_cmp_lt_i32_e32 vcc_lo, -1, v157
	; wave barrier
	v_cndmask_b32_e64 v65, -1, 0x80000000, vcc_lo
	s_delay_alu instid0(VALU_DEP_1) | instskip(NEXT) | instid1(VALU_DEP_1)
	v_xor_b32_e32 v187, v65, v157
	v_cmp_ne_u32_e32 vcc_lo, 0x7fffffff, v187
	v_cndmask_b32_e32 v65, 0x80000000, v187, vcc_lo
	s_delay_alu instid0(VALU_DEP_1) | instskip(NEXT) | instid1(VALU_DEP_1)
	v_lshrrev_b32_e32 v65, s48, v65
	v_and_b32_e32 v190, s58, v65
	s_delay_alu instid0(VALU_DEP_1) | instskip(SKIP_2) | instid1(VALU_DEP_3)
	v_lshlrev_b32_e32 v193, 28, v190
	v_bitop3_b32 v157, v65, 1, s58 bitop3:0x80
	v_dual_lshlrev_b32 v191, 30, v190 :: v_dual_lshlrev_b32 v192, 29, v190
	v_cmp_gt_i32_e64 s19, 0, v193
	s_delay_alu instid0(VALU_DEP_3) | instskip(NEXT) | instid1(VALU_DEP_1)
	v_add_co_u32 v65, s17, v157, -1
	v_cndmask_b32_e64 v157, 0, 1, s17
	s_delay_alu instid0(VALU_DEP_4) | instskip(SKIP_1) | instid1(VALU_DEP_3)
	v_cmp_gt_i32_e64 s17, 0, v191
	v_cmp_gt_i32_e64 s18, 0, v192
	v_cmp_ne_u32_e32 vcc_lo, 0, v157
	v_not_b32_e32 v157, v191
	v_not_b32_e32 v191, v192
	;; [unrolled: 1-line block ×3, first 2 shown]
	v_bitop3_b32 v65, vcc_lo, exec_lo, v65 bitop3:0x48
	s_delay_alu instid0(VALU_DEP_3) | instskip(SKIP_1) | instid1(VALU_DEP_2)
	v_dual_ashrrev_i32 v157, 31, v157 :: v_dual_ashrrev_i32 v191, 31, v191
	v_dual_lshlrev_b32 v194, 27, v190 :: v_dual_lshlrev_b32 v195, 26, v190
	v_dual_lshlrev_b32 v196, 25, v190 :: v_dual_bitop2_b32 v191, s18, v191 bitop3:0x14
	s_delay_alu instid0(VALU_DEP_2) | instskip(SKIP_1) | instid1(VALU_DEP_4)
	v_not_b32_e32 v193, v194
	v_cmp_gt_i32_e64 s20, 0, v194
	v_cmp_gt_i32_e64 s21, 0, v195
	v_not_b32_e32 v194, v195
	v_not_b32_e32 v195, v196
	v_dual_ashrrev_i32 v192, 31, v192 :: v_dual_ashrrev_i32 v193, 31, v193
	s_delay_alu instid0(VALU_DEP_3) | instskip(SKIP_1) | instid1(VALU_DEP_3)
	v_dual_ashrrev_i32 v194, 31, v194 :: v_dual_bitop2_b32 v157, s17, v157 bitop3:0x14
	v_cmp_gt_i32_e64 s22, 0, v196
	v_dual_ashrrev_i32 v195, 31, v195 :: v_dual_bitop2_b32 v192, s19, v192 bitop3:0x14
	s_delay_alu instid0(VALU_DEP_4) | instskip(NEXT) | instid1(VALU_DEP_4)
	v_xor_b32_e32 v193, s20, v193
	v_bitop3_b32 v65, v65, v191, v157 bitop3:0x80
	v_mad_u32_u24 v157, v190, 36, v25
	v_xor_b32_e32 v194, s21, v194
	v_xor_b32_e32 v195, s22, v195
	s_delay_alu instid0(VALU_DEP_4) | instskip(SKIP_3) | instid1(VALU_DEP_2)
	v_bitop3_b32 v65, v65, v193, v192 bitop3:0x80
	ds_load_b32 v191, v157 offset:544
	v_mul_u32_u24_e32 v157, 36, v190
	; wave barrier
	v_bitop3_b32 v65, v65, v195, v194 bitop3:0x80
	v_add_nc_u32_e32 v157, v25, v157
	s_delay_alu instid0(VALU_DEP_2) | instskip(SKIP_1) | instid1(VALU_DEP_2)
	v_mbcnt_lo_u32_b32 v192, v65, 0
	v_cmp_ne_u32_e64 s17, 0, v65
	v_cmp_eq_u32_e32 vcc_lo, 0, v192
	s_and_b32 s18, s17, vcc_lo
	s_delay_alu instid0(SALU_CYCLE_1)
	s_and_saveexec_b32 s17, s18
	s_cbranch_execz .LBB1422_474
; %bb.473:                              ;   in Loop: Header=BB1422_410 Depth=2
	s_wait_dscnt 0x0
	v_bcnt_u32_b32 v65, v65, v191
	ds_store_b32 v157, v65 offset:544
.LBB1422_474:                           ;   in Loop: Header=BB1422_410 Depth=2
	s_or_b32 exec_lo, exec_lo, s17
	v_cmp_lt_i32_e32 vcc_lo, -1, v152
	; wave barrier
	v_cndmask_b32_e64 v65, -1, 0x80000000, vcc_lo
	s_delay_alu instid0(VALU_DEP_1) | instskip(NEXT) | instid1(VALU_DEP_1)
	v_xor_b32_e32 v190, v65, v152
	v_cmp_ne_u32_e32 vcc_lo, 0x7fffffff, v190
	v_cndmask_b32_e32 v65, 0x80000000, v190, vcc_lo
	s_delay_alu instid0(VALU_DEP_1) | instskip(NEXT) | instid1(VALU_DEP_1)
	v_lshrrev_b32_e32 v65, s48, v65
	v_bitop3_b32 v152, v65, 1, s58 bitop3:0x80
	v_and_b32_e32 v193, s58, v65
	s_delay_alu instid0(VALU_DEP_2) | instskip(NEXT) | instid1(VALU_DEP_1)
	v_add_co_u32 v65, s17, v152, -1
	v_cndmask_b32_e64 v152, 0, 1, s17
	s_delay_alu instid0(VALU_DEP_3) | instskip(NEXT) | instid1(VALU_DEP_2)
	v_lshlrev_b32_e32 v194, 30, v193
	v_cmp_ne_u32_e32 vcc_lo, 0, v152
	s_delay_alu instid0(VALU_DEP_2) | instskip(SKIP_2) | instid1(VALU_DEP_3)
	v_not_b32_e32 v152, v194
	v_cmp_gt_i32_e64 s17, 0, v194
	v_bitop3_b32 v65, vcc_lo, exec_lo, v65 bitop3:0x48
	v_dual_ashrrev_i32 v152, 31, v152 :: v_dual_lshlrev_b32 v195, 29, v193
	v_dual_lshlrev_b32 v196, 28, v193 :: v_dual_lshlrev_b32 v197, 27, v193
	v_lshlrev_b32_e32 v198, 26, v193
	s_delay_alu instid0(VALU_DEP_3)
	v_not_b32_e32 v194, v195
	v_lshlrev_b32_e32 v199, 25, v193
	v_cmp_gt_i32_e64 s18, 0, v195
	v_cmp_gt_i32_e64 s19, 0, v196
	v_not_b32_e32 v195, v196
	v_not_b32_e32 v196, v197
	v_ashrrev_i32_e32 v194, 31, v194
	v_cmp_gt_i32_e64 s20, 0, v197
	v_cmp_gt_i32_e64 s21, 0, v198
	v_not_b32_e32 v197, v198
	v_not_b32_e32 v198, v199
	v_dual_ashrrev_i32 v195, 31, v195 :: v_dual_ashrrev_i32 v196, 31, v196
	s_delay_alu instid0(VALU_DEP_3) | instskip(SKIP_2) | instid1(VALU_DEP_4)
	v_dual_ashrrev_i32 v197, 31, v197 :: v_dual_bitop2_b32 v152, s17, v152 bitop3:0x14
	v_xor_b32_e32 v194, s18, v194
	v_cmp_gt_i32_e64 s22, 0, v199
	v_dual_ashrrev_i32 v198, 31, v198 :: v_dual_bitop2_b32 v195, s19, v195 bitop3:0x14
	v_xor_b32_e32 v196, s20, v196
	s_delay_alu instid0(VALU_DEP_4) | instskip(SKIP_3) | instid1(VALU_DEP_4)
	v_bitop3_b32 v65, v65, v194, v152 bitop3:0x80
	v_mad_u32_u24 v152, v193, 36, v25
	v_xor_b32_e32 v197, s21, v197
	v_xor_b32_e32 v198, s22, v198
	v_bitop3_b32 v65, v65, v196, v195 bitop3:0x80
	ds_load_b32 v194, v152 offset:544
	v_mul_u32_u24_e32 v152, 36, v193
	; wave barrier
	v_bitop3_b32 v65, v65, v198, v197 bitop3:0x80
	s_delay_alu instid0(VALU_DEP_2) | instskip(NEXT) | instid1(VALU_DEP_2)
	v_add_nc_u32_e32 v152, v25, v152
	v_mbcnt_lo_u32_b32 v195, v65, 0
	v_cmp_ne_u32_e64 s17, 0, v65
	s_delay_alu instid0(VALU_DEP_2) | instskip(SKIP_1) | instid1(SALU_CYCLE_1)
	v_cmp_eq_u32_e32 vcc_lo, 0, v195
	s_and_b32 s18, s17, vcc_lo
	s_and_saveexec_b32 s17, s18
	s_cbranch_execz .LBB1422_476
; %bb.475:                              ;   in Loop: Header=BB1422_410 Depth=2
	s_wait_dscnt 0x0
	v_bcnt_u32_b32 v65, v65, v194
	ds_store_b32 v152, v65 offset:544
.LBB1422_476:                           ;   in Loop: Header=BB1422_410 Depth=2
	s_or_b32 exec_lo, exec_lo, s17
	v_cmp_lt_i32_e32 vcc_lo, -1, v67
	; wave barrier
	v_cndmask_b32_e64 v65, -1, 0x80000000, vcc_lo
	s_delay_alu instid0(VALU_DEP_1) | instskip(NEXT) | instid1(VALU_DEP_1)
	v_xor_b32_e32 v193, v65, v67
	v_cmp_ne_u32_e32 vcc_lo, 0x7fffffff, v193
	v_cndmask_b32_e32 v65, 0x80000000, v193, vcc_lo
	s_delay_alu instid0(VALU_DEP_1) | instskip(NEXT) | instid1(VALU_DEP_1)
	v_lshrrev_b32_e32 v65, s48, v65
	v_bitop3_b32 v67, v65, 1, s58 bitop3:0x80
	v_and_b32_e32 v196, s58, v65
	s_delay_alu instid0(VALU_DEP_2) | instskip(NEXT) | instid1(VALU_DEP_1)
	v_add_co_u32 v65, s17, v67, -1
	v_cndmask_b32_e64 v67, 0, 1, s17
	s_delay_alu instid0(VALU_DEP_3) | instskip(NEXT) | instid1(VALU_DEP_2)
	v_lshlrev_b32_e32 v197, 30, v196
	v_cmp_ne_u32_e32 vcc_lo, 0, v67
	s_delay_alu instid0(VALU_DEP_2) | instskip(SKIP_1) | instid1(VALU_DEP_2)
	v_not_b32_e32 v67, v197
	v_bitop3_b32 v65, vcc_lo, exec_lo, v65 bitop3:0x48
	v_dual_ashrrev_i32 v67, 31, v67 :: v_dual_lshlrev_b32 v198, 29, v196
	v_dual_lshlrev_b32 v199, 28, v196 :: v_dual_lshlrev_b32 v200, 27, v196
	v_lshlrev_b32_e32 v201, 26, v196
	v_cmp_gt_i32_e64 s17, 0, v197
	s_delay_alu instid0(VALU_DEP_4)
	v_not_b32_e32 v197, v198
	v_lshlrev_b32_e32 v202, 25, v196
	v_cmp_gt_i32_e64 s18, 0, v198
	v_cmp_gt_i32_e64 s19, 0, v199
	v_not_b32_e32 v198, v199
	v_not_b32_e32 v199, v200
	v_ashrrev_i32_e32 v197, 31, v197
	v_cmp_gt_i32_e64 s20, 0, v200
	v_cmp_gt_i32_e64 s21, 0, v201
	v_not_b32_e32 v200, v201
	v_not_b32_e32 v201, v202
	v_dual_ashrrev_i32 v198, 31, v198 :: v_dual_ashrrev_i32 v199, 31, v199
	s_delay_alu instid0(VALU_DEP_3) | instskip(SKIP_2) | instid1(VALU_DEP_4)
	v_dual_ashrrev_i32 v200, 31, v200 :: v_dual_bitop2_b32 v67, s17, v67 bitop3:0x14
	v_xor_b32_e32 v197, s18, v197
	v_cmp_gt_i32_e64 s22, 0, v202
	v_dual_ashrrev_i32 v201, 31, v201 :: v_dual_bitop2_b32 v198, s19, v198 bitop3:0x14
	v_xor_b32_e32 v199, s20, v199
	s_delay_alu instid0(VALU_DEP_4) | instskip(SKIP_3) | instid1(VALU_DEP_4)
	v_bitop3_b32 v65, v65, v197, v67 bitop3:0x80
	v_mad_u32_u24 v67, v196, 36, v25
	v_xor_b32_e32 v200, s21, v200
	v_xor_b32_e32 v201, s22, v201
	v_bitop3_b32 v65, v65, v199, v198 bitop3:0x80
	ds_load_b32 v197, v67 offset:544
	v_mul_u32_u24_e32 v67, 36, v196
	; wave barrier
	v_bitop3_b32 v65, v65, v201, v200 bitop3:0x80
	s_delay_alu instid0(VALU_DEP_2) | instskip(NEXT) | instid1(VALU_DEP_2)
	v_add_nc_u32_e32 v199, v25, v67
	v_mbcnt_lo_u32_b32 v198, v65, 0
	v_cmp_ne_u32_e64 s17, 0, v65
	s_delay_alu instid0(VALU_DEP_2) | instskip(SKIP_1) | instid1(SALU_CYCLE_1)
	v_cmp_eq_u32_e32 vcc_lo, 0, v198
	s_and_b32 s18, s17, vcc_lo
	s_and_saveexec_b32 s17, s18
	s_cbranch_execz .LBB1422_478
; %bb.477:                              ;   in Loop: Header=BB1422_410 Depth=2
	s_wait_dscnt 0x0
	v_bcnt_u32_b32 v65, v65, v197
	ds_store_b32 v199, v65 offset:544
.LBB1422_478:                           ;   in Loop: Header=BB1422_410 Depth=2
	s_or_b32 exec_lo, exec_lo, s17
	v_cmp_lt_i32_e32 vcc_lo, -1, v66
	; wave barrier
	v_cndmask_b32_e64 v65, -1, 0x80000000, vcc_lo
	s_delay_alu instid0(VALU_DEP_1) | instskip(NEXT) | instid1(VALU_DEP_1)
	v_xor_b32_e32 v196, v65, v66
	v_cmp_ne_u32_e32 vcc_lo, 0x7fffffff, v196
	v_cndmask_b32_e32 v65, 0x80000000, v196, vcc_lo
	s_delay_alu instid0(VALU_DEP_1) | instskip(NEXT) | instid1(VALU_DEP_1)
	v_lshrrev_b32_e32 v65, s48, v65
	v_bitop3_b32 v66, v65, 1, s58 bitop3:0x80
	v_and_b32_e32 v67, s58, v65
	s_delay_alu instid0(VALU_DEP_2) | instskip(NEXT) | instid1(VALU_DEP_1)
	v_add_co_u32 v65, s17, v66, -1
	v_cndmask_b32_e64 v66, 0, 1, s17
	s_delay_alu instid0(VALU_DEP_3) | instskip(NEXT) | instid1(VALU_DEP_2)
	v_lshlrev_b32_e32 v200, 30, v67
	v_cmp_ne_u32_e32 vcc_lo, 0, v66
	s_delay_alu instid0(VALU_DEP_2) | instskip(SKIP_2) | instid1(VALU_DEP_3)
	v_not_b32_e32 v66, v200
	v_cmp_gt_i32_e64 s17, 0, v200
	v_bitop3_b32 v65, vcc_lo, exec_lo, v65 bitop3:0x48
	v_dual_ashrrev_i32 v66, 31, v66 :: v_dual_lshlrev_b32 v201, 29, v67
	v_dual_lshlrev_b32 v202, 28, v67 :: v_dual_lshlrev_b32 v203, 27, v67
	v_lshlrev_b32_e32 v204, 26, v67
	s_delay_alu instid0(VALU_DEP_3)
	v_not_b32_e32 v200, v201
	v_lshlrev_b32_e32 v205, 25, v67
	v_cmp_gt_i32_e64 s18, 0, v201
	v_cmp_gt_i32_e64 s19, 0, v202
	v_not_b32_e32 v201, v202
	v_not_b32_e32 v202, v203
	v_ashrrev_i32_e32 v200, 31, v200
	v_cmp_gt_i32_e64 s20, 0, v203
	v_cmp_gt_i32_e64 s21, 0, v204
	v_not_b32_e32 v203, v204
	v_not_b32_e32 v204, v205
	v_dual_ashrrev_i32 v201, 31, v201 :: v_dual_ashrrev_i32 v202, 31, v202
	s_delay_alu instid0(VALU_DEP_3) | instskip(SKIP_2) | instid1(VALU_DEP_4)
	v_dual_ashrrev_i32 v203, 31, v203 :: v_dual_bitop2_b32 v66, s17, v66 bitop3:0x14
	v_xor_b32_e32 v200, s18, v200
	v_cmp_gt_i32_e64 s22, 0, v205
	v_dual_ashrrev_i32 v204, 31, v204 :: v_dual_bitop2_b32 v201, s19, v201 bitop3:0x14
	v_xor_b32_e32 v202, s20, v202
	s_delay_alu instid0(VALU_DEP_4) | instskip(SKIP_3) | instid1(VALU_DEP_4)
	v_bitop3_b32 v65, v65, v200, v66 bitop3:0x80
	v_mad_u32_u24 v66, v67, 36, v25
	v_xor_b32_e32 v200, s21, v203
	v_xor_b32_e32 v203, s22, v204
	v_bitop3_b32 v65, v65, v202, v201 bitop3:0x80
	ds_load_b32 v201, v66 offset:544
	v_mul_u32_u24_e32 v66, 36, v67
	; wave barrier
	v_bitop3_b32 v65, v65, v203, v200 bitop3:0x80
	s_delay_alu instid0(VALU_DEP_2) | instskip(NEXT) | instid1(VALU_DEP_2)
	v_add_nc_u32_e32 v203, v25, v66
	v_mbcnt_lo_u32_b32 v202, v65, 0
	v_cmp_ne_u32_e64 s17, 0, v65
	s_delay_alu instid0(VALU_DEP_2) | instskip(SKIP_1) | instid1(SALU_CYCLE_1)
	v_cmp_eq_u32_e32 vcc_lo, 0, v202
	s_and_b32 s18, s17, vcc_lo
	s_and_saveexec_b32 s17, s18
	s_cbranch_execz .LBB1422_480
; %bb.479:                              ;   in Loop: Header=BB1422_410 Depth=2
	s_wait_dscnt 0x0
	v_bcnt_u32_b32 v65, v65, v201
	ds_store_b32 v203, v65 offset:544
.LBB1422_480:                           ;   in Loop: Header=BB1422_410 Depth=2
	s_or_b32 exec_lo, exec_lo, s17
	v_cmp_lt_i32_e32 vcc_lo, -1, v64
	; wave barrier
	v_cndmask_b32_e64 v65, -1, 0x80000000, vcc_lo
	s_delay_alu instid0(VALU_DEP_1) | instskip(NEXT) | instid1(VALU_DEP_1)
	v_xor_b32_e32 v200, v65, v64
	v_cmp_ne_u32_e32 vcc_lo, 0x7fffffff, v200
	v_cndmask_b32_e32 v64, 0x80000000, v200, vcc_lo
	s_delay_alu instid0(VALU_DEP_1) | instskip(NEXT) | instid1(VALU_DEP_1)
	v_lshrrev_b32_e32 v64, s48, v64
	v_bitop3_b32 v65, v64, 1, s58 bitop3:0x80
	v_and_b32_e32 v66, s58, v64
	s_delay_alu instid0(VALU_DEP_2) | instskip(NEXT) | instid1(VALU_DEP_1)
	v_add_co_u32 v64, s17, v65, -1
	v_cndmask_b32_e64 v65, 0, 1, s17
	s_delay_alu instid0(VALU_DEP_3) | instskip(NEXT) | instid1(VALU_DEP_2)
	v_lshlrev_b32_e32 v67, 30, v66
	v_cmp_ne_u32_e32 vcc_lo, 0, v65
	s_delay_alu instid0(VALU_DEP_2) | instskip(SKIP_2) | instid1(VALU_DEP_3)
	v_not_b32_e32 v65, v67
	v_cmp_gt_i32_e64 s17, 0, v67
	v_bitop3_b32 v64, vcc_lo, exec_lo, v64 bitop3:0x48
	v_dual_ashrrev_i32 v65, 31, v65 :: v_dual_lshlrev_b32 v204, 29, v66
	v_dual_lshlrev_b32 v205, 28, v66 :: v_dual_lshlrev_b32 v206, 27, v66
	v_lshlrev_b32_e32 v207, 26, v66
	s_delay_alu instid0(VALU_DEP_3)
	v_not_b32_e32 v67, v204
	v_lshlrev_b32_e32 v208, 25, v66
	v_cmp_gt_i32_e64 s18, 0, v204
	v_cmp_gt_i32_e64 s19, 0, v205
	v_not_b32_e32 v204, v205
	v_not_b32_e32 v205, v206
	v_ashrrev_i32_e32 v67, 31, v67
	v_cmp_gt_i32_e64 s20, 0, v206
	v_cmp_gt_i32_e64 s21, 0, v207
	v_not_b32_e32 v206, v207
	v_not_b32_e32 v207, v208
	v_dual_ashrrev_i32 v204, 31, v204 :: v_dual_ashrrev_i32 v205, 31, v205
	s_delay_alu instid0(VALU_DEP_3) | instskip(SKIP_2) | instid1(VALU_DEP_4)
	v_dual_ashrrev_i32 v206, 31, v206 :: v_dual_bitop2_b32 v65, s17, v65 bitop3:0x14
	v_xor_b32_e32 v67, s18, v67
	v_cmp_gt_i32_e64 s22, 0, v208
	v_dual_ashrrev_i32 v207, 31, v207 :: v_dual_bitop2_b32 v204, s19, v204 bitop3:0x14
	v_xor_b32_e32 v205, s20, v205
	s_delay_alu instid0(VALU_DEP_4) | instskip(SKIP_3) | instid1(VALU_DEP_4)
	v_bitop3_b32 v64, v64, v67, v65 bitop3:0x80
	v_mad_u32_u24 v65, v66, 36, v25
	v_xor_b32_e32 v67, s21, v206
	v_xor_b32_e32 v206, s22, v207
	v_bitop3_b32 v64, v64, v205, v204 bitop3:0x80
	ds_load_b32 v204, v65 offset:544
	v_mul_u32_u24_e32 v65, 36, v66
	; wave barrier
	v_bitop3_b32 v64, v64, v206, v67 bitop3:0x80
	s_delay_alu instid0(VALU_DEP_2) | instskip(NEXT) | instid1(VALU_DEP_2)
	v_add_nc_u32_e32 v206, v25, v65
	v_mbcnt_lo_u32_b32 v205, v64, 0
	v_cmp_ne_u32_e64 s17, 0, v64
	s_delay_alu instid0(VALU_DEP_2) | instskip(SKIP_1) | instid1(SALU_CYCLE_1)
	v_cmp_eq_u32_e32 vcc_lo, 0, v205
	s_and_b32 s18, s17, vcc_lo
	s_and_saveexec_b32 s17, s18
	s_cbranch_execz .LBB1422_482
; %bb.481:                              ;   in Loop: Header=BB1422_410 Depth=2
	s_wait_dscnt 0x0
	v_bcnt_u32_b32 v64, v64, v204
	ds_store_b32 v206, v64 offset:544
.LBB1422_482:                           ;   in Loop: Header=BB1422_410 Depth=2
	s_or_b32 exec_lo, exec_lo, s17
	; wave barrier
	s_wait_dscnt 0x0
	s_barrier_signal -1
	s_barrier_wait -1
	ds_load_2addr_b32 v[66:67], v90 offset0:136 offset1:137
	ds_load_2addr_b32 v[64:65], v90 offset0:138 offset1:139
	ds_load_b32 v207, v90 offset:560
	s_wait_dscnt 0x1
	v_add3_u32 v208, v67, v66, v64
	s_wait_dscnt 0x0
	s_delay_alu instid0(VALU_DEP_1) | instskip(NEXT) | instid1(VALU_DEP_1)
	v_add3_u32 v207, v208, v65, v207
	v_mov_b32_dpp v208, v207 row_shr:1 row_mask:0xf bank_mask:0xf
	s_delay_alu instid0(VALU_DEP_1) | instskip(NEXT) | instid1(VALU_DEP_1)
	v_cndmask_b32_e64 v208, v208, 0, s9
	v_add_nc_u32_e32 v207, v208, v207
	s_delay_alu instid0(VALU_DEP_1) | instskip(NEXT) | instid1(VALU_DEP_1)
	v_mov_b32_dpp v208, v207 row_shr:2 row_mask:0xf bank_mask:0xf
	v_cndmask_b32_e64 v208, 0, v208, s10
	s_delay_alu instid0(VALU_DEP_1) | instskip(NEXT) | instid1(VALU_DEP_1)
	v_add_nc_u32_e32 v207, v207, v208
	v_mov_b32_dpp v208, v207 row_shr:4 row_mask:0xf bank_mask:0xf
	s_delay_alu instid0(VALU_DEP_1) | instskip(NEXT) | instid1(VALU_DEP_1)
	v_cndmask_b32_e64 v208, 0, v208, s11
	v_add_nc_u32_e32 v207, v207, v208
	s_delay_alu instid0(VALU_DEP_1) | instskip(NEXT) | instid1(VALU_DEP_1)
	v_mov_b32_dpp v208, v207 row_shr:8 row_mask:0xf bank_mask:0xf
	v_cndmask_b32_e64 v208, 0, v208, s12
	s_delay_alu instid0(VALU_DEP_1) | instskip(SKIP_3) | instid1(VALU_DEP_1)
	v_add_nc_u32_e32 v207, v207, v208
	ds_swizzle_b32 v208, v207 offset:swizzle(BROADCAST,32,15)
	s_wait_dscnt 0x0
	v_cndmask_b32_e64 v208, v208, 0, s13
	v_add_nc_u32_e32 v207, v207, v208
	s_and_saveexec_b32 s17, s2
; %bb.483:                              ;   in Loop: Header=BB1422_410 Depth=2
	ds_store_b32 v83, v207 offset:512
; %bb.484:                              ;   in Loop: Header=BB1422_410 Depth=2
	s_or_b32 exec_lo, exec_lo, s17
	s_wait_dscnt 0x0
	s_barrier_signal -1
	s_barrier_wait -1
	s_and_saveexec_b32 s17, s3
	s_cbranch_execz .LBB1422_486
; %bb.485:                              ;   in Loop: Header=BB1422_410 Depth=2
	ds_load_b32 v208, v92 offset:512
	s_wait_dscnt 0x0
	v_mov_b32_dpp v209, v208 row_shr:1 row_mask:0xf bank_mask:0xf
	s_delay_alu instid0(VALU_DEP_1) | instskip(NEXT) | instid1(VALU_DEP_1)
	v_cndmask_b32_e64 v209, v209, 0, s14
	v_add_nc_u32_e32 v208, v209, v208
	s_delay_alu instid0(VALU_DEP_1) | instskip(NEXT) | instid1(VALU_DEP_1)
	v_mov_b32_dpp v209, v208 row_shr:2 row_mask:0xf bank_mask:0xf
	v_cndmask_b32_e64 v209, 0, v209, s15
	s_delay_alu instid0(VALU_DEP_1) | instskip(NEXT) | instid1(VALU_DEP_1)
	v_add_nc_u32_e32 v208, v208, v209
	v_mov_b32_dpp v209, v208 row_shr:4 row_mask:0xf bank_mask:0xf
	s_delay_alu instid0(VALU_DEP_1) | instskip(NEXT) | instid1(VALU_DEP_1)
	v_cndmask_b32_e64 v209, 0, v209, s16
	v_add_nc_u32_e32 v208, v208, v209
	ds_store_b32 v92, v208 offset:512
.LBB1422_486:                           ;   in Loop: Header=BB1422_410 Depth=2
	s_or_b32 exec_lo, exec_lo, s17
	v_mov_b32_e32 v208, 0
	s_wait_dscnt 0x0
	s_barrier_signal -1
	s_barrier_wait -1
	s_and_saveexec_b32 s17, s5
; %bb.487:                              ;   in Loop: Header=BB1422_410 Depth=2
	ds_load_b32 v208, v83 offset:508
; %bb.488:                              ;   in Loop: Header=BB1422_410 Depth=2
	s_or_b32 exec_lo, exec_lo, s17
	s_wait_dscnt 0x0
	v_add_nc_u32_e32 v207, v208, v207
	ds_bpermute_b32 v207, v119, v207
	s_wait_dscnt 0x0
	v_cndmask_b32_e64 v207, v207, v208, s8
	s_delay_alu instid0(VALU_DEP_1) | instskip(NEXT) | instid1(VALU_DEP_1)
	v_cndmask_b32_e64 v207, v207, 0, s6
	v_add_nc_u32_e32 v66, v207, v66
	s_delay_alu instid0(VALU_DEP_1) | instskip(NEXT) | instid1(VALU_DEP_1)
	v_add_nc_u32_e32 v67, v66, v67
	v_add_nc_u32_e32 v64, v67, v64
	s_delay_alu instid0(VALU_DEP_1)
	v_add_nc_u32_e32 v65, v64, v65
	ds_store_2addr_b32 v90, v207, v66 offset0:136 offset1:137
	ds_store_2addr_b32 v90, v67, v64 offset0:138 offset1:139
	ds_store_b32 v90, v65 offset:560
	s_wait_dscnt 0x0
	s_barrier_signal -1
	s_barrier_wait -1
	ds_load_b32 v66, v143 offset:544
	ds_load_b32 v67, v147 offset:544
	;; [unrolled: 1-line block ×17, first 2 shown]
	s_and_saveexec_b32 s17, s0
	s_cbranch_execz .LBB1422_492
; %bb.489:                              ;   in Loop: Header=BB1422_410 Depth=2
	ds_load_b32 v133, v94 offset:544
	v_mov_b32_e32 v138, 0x1100
	s_and_saveexec_b32 s18, s7
; %bb.490:                              ;   in Loop: Header=BB1422_410 Depth=2
	ds_load_b32 v138, v93 offset:544
; %bb.491:                              ;   in Loop: Header=BB1422_410 Depth=2
	s_or_b32 exec_lo, exec_lo, s18
	s_wait_dscnt 0x0
	v_sub_nc_u32_e32 v138, v138, v133
.LBB1422_492:                           ;   in Loop: Header=BB1422_410 Depth=2
	s_or_b32 exec_lo, exec_lo, s17
	s_wait_dscnt 0x0
	s_barrier_signal -1
	s_barrier_wait -1
	s_and_saveexec_b32 s17, s0
	s_cbranch_execz .LBB1422_494
; %bb.493:                              ;   in Loop: Header=BB1422_410 Depth=2
	ds_load_b32 v152, v4
	s_wait_dscnt 0x0
	v_sub_nc_u32_e32 v152, v152, v133
	ds_store_b32 v4, v152
.LBB1422_494:                           ;   in Loop: Header=BB1422_410 Depth=2
	s_or_b32 exec_lo, exec_lo, s17
	v_add3_u32 v156, v155, v154, v147
	v_add_nc_u32_e32 v162, v66, v141
	v_add3_u32 v161, v146, v145, v67
	v_add3_u32 v157, v150, v149, v143
	;; [unrolled: 1-line block ×4, first 2 shown]
	v_dual_lshlrev_b32 v65, 2, v156 :: v_dual_lshlrev_b32 v159, 2, v162
	v_lshlrev_b32_e32 v160, 2, v161
	v_add3_u32 v154, v165, v164, v207
	v_add3_u32 v152, v170, v169, v172
	v_add3_u32 v151, v175, v174, v176
	v_add3_u32 v145, v198, v197, v64
	v_lshlrev_b32_e32 v64, 2, v157
	v_add3_u32 v150, v178, v177, v179
	v_add3_u32 v149, v181, v180, v182
	ds_store_b32 v159, v140 offset:512
	ds_store_b32 v160, v142 offset:512
	v_lshlrev_b32_e32 v140, 2, v155
	v_add3_u32 v147, v185, v184, v186
	v_dual_lshlrev_b32 v142, 2, v154 :: v_dual_lshlrev_b32 v159, 2, v152
	v_add3_u32 v146, v189, v188, v208
	v_add3_u32 v67, v192, v191, v209
	ds_store_b32 v64, v144 offset:512
	ds_store_b32 v65, v148 offset:512
	;; [unrolled: 1-line block ×5, first 2 shown]
	v_dual_lshlrev_b32 v64, 2, v151 :: v_dual_lshlrev_b32 v65, 2, v150
	v_add3_u32 v66, v195, v194, v210
	v_dual_lshlrev_b32 v140, 2, v149 :: v_dual_lshlrev_b32 v142, 2, v147
	v_add3_u32 v141, v205, v204, v167
	v_lshlrev_b32_e32 v144, 2, v146
	ds_store_b32 v64, v168 offset:512
	ds_store_b32 v65, v173 offset:512
	;; [unrolled: 1-line block ×5, first 2 shown]
	v_lshlrev_b32_e32 v64, 2, v67
	v_cmp_lt_u32_e32 vcc_lo, v2, v139
	v_dual_lshlrev_b32 v65, 2, v66 :: v_dual_lshlrev_b32 v140, 2, v145
	v_dual_lshlrev_b32 v142, 2, v143 :: v_dual_lshlrev_b32 v144, 2, v141
	ds_store_b32 v64, v187 offset:512
	ds_store_b32 v65, v190 offset:512
	;; [unrolled: 1-line block ×5, first 2 shown]
	s_wait_dscnt 0x0
	s_barrier_signal -1
	s_barrier_wait -1
	s_and_saveexec_b32 s18, vcc_lo
	s_cbranch_execnz .LBB1422_567
; %bb.495:                              ;   in Loop: Header=BB1422_410 Depth=2
	s_or_b32 exec_lo, exec_lo, s18
	v_cmp_lt_u32_e64 s17, v3, v139
	s_and_saveexec_b32 s19, s17
	s_cbranch_execnz .LBB1422_568
.LBB1422_496:                           ;   in Loop: Header=BB1422_410 Depth=2
	s_or_b32 exec_lo, exec_lo, s19
	v_cmp_lt_u32_e64 s18, v68, v139
	s_and_saveexec_b32 s20, s18
	s_cbranch_execnz .LBB1422_569
.LBB1422_497:                           ;   in Loop: Header=BB1422_410 Depth=2
	s_or_b32 exec_lo, exec_lo, s20
	v_cmp_lt_u32_e64 s19, v69, v139
	s_and_saveexec_b32 s21, s19
	s_cbranch_execnz .LBB1422_570
.LBB1422_498:                           ;   in Loop: Header=BB1422_410 Depth=2
	s_or_b32 exec_lo, exec_lo, s21
	v_cmp_lt_u32_e64 s20, v70, v139
	s_and_saveexec_b32 s22, s20
	s_cbranch_execnz .LBB1422_571
.LBB1422_499:                           ;   in Loop: Header=BB1422_410 Depth=2
	s_or_b32 exec_lo, exec_lo, s22
	v_cmp_lt_u32_e64 s21, v71, v139
	s_and_saveexec_b32 s23, s21
	s_cbranch_execnz .LBB1422_572
.LBB1422_500:                           ;   in Loop: Header=BB1422_410 Depth=2
	s_or_b32 exec_lo, exec_lo, s23
	v_cmp_lt_u32_e64 s22, v72, v139
	s_and_saveexec_b32 s24, s22
	s_cbranch_execnz .LBB1422_573
.LBB1422_501:                           ;   in Loop: Header=BB1422_410 Depth=2
	s_or_b32 exec_lo, exec_lo, s24
	v_cmp_lt_u32_e64 s23, v73, v139
	s_and_saveexec_b32 s25, s23
	s_cbranch_execnz .LBB1422_574
.LBB1422_502:                           ;   in Loop: Header=BB1422_410 Depth=2
	s_or_b32 exec_lo, exec_lo, s25
	v_cmp_lt_u32_e64 s24, v74, v139
	s_and_saveexec_b32 s26, s24
	s_cbranch_execnz .LBB1422_575
.LBB1422_503:                           ;   in Loop: Header=BB1422_410 Depth=2
	s_or_b32 exec_lo, exec_lo, s26
	v_cmp_lt_u32_e64 s25, v75, v139
	s_and_saveexec_b32 s27, s25
	s_cbranch_execnz .LBB1422_576
.LBB1422_504:                           ;   in Loop: Header=BB1422_410 Depth=2
	s_or_b32 exec_lo, exec_lo, s27
	v_cmp_lt_u32_e64 s26, v76, v139
	s_and_saveexec_b32 s28, s26
	s_cbranch_execnz .LBB1422_577
.LBB1422_505:                           ;   in Loop: Header=BB1422_410 Depth=2
	s_or_b32 exec_lo, exec_lo, s28
	v_cmp_lt_u32_e64 s27, v77, v139
	s_and_saveexec_b32 s29, s27
	s_cbranch_execnz .LBB1422_578
.LBB1422_506:                           ;   in Loop: Header=BB1422_410 Depth=2
	s_or_b32 exec_lo, exec_lo, s29
	v_cmp_lt_u32_e64 s28, v78, v139
	s_and_saveexec_b32 s30, s28
	s_cbranch_execnz .LBB1422_579
.LBB1422_507:                           ;   in Loop: Header=BB1422_410 Depth=2
	s_or_b32 exec_lo, exec_lo, s30
	v_cmp_lt_u32_e64 s29, v79, v139
	s_and_saveexec_b32 s31, s29
	s_cbranch_execnz .LBB1422_580
.LBB1422_508:                           ;   in Loop: Header=BB1422_410 Depth=2
	s_or_b32 exec_lo, exec_lo, s31
	v_cmp_lt_u32_e64 s30, v80, v139
	s_and_saveexec_b32 s33, s30
	s_cbranch_execnz .LBB1422_581
.LBB1422_509:                           ;   in Loop: Header=BB1422_410 Depth=2
	s_or_b32 exec_lo, exec_lo, s33
	v_cmp_lt_u32_e64 s31, v81, v139
	s_and_saveexec_b32 s34, s31
	s_cbranch_execnz .LBB1422_582
.LBB1422_510:                           ;   in Loop: Header=BB1422_410 Depth=2
	s_or_b32 exec_lo, exec_lo, s34
	v_cmp_lt_u32_e64 s33, v82, v139
	s_and_saveexec_b32 s61, s33
	s_cbranch_execz .LBB1422_512
.LBB1422_511:                           ;   in Loop: Header=BB1422_410 Depth=2
	ds_load_b32 v64, v92 offset:16896
	s_wait_dscnt 0x0
	v_cmp_ne_u32_e64 s34, 0x7fffffff, v64
	s_delay_alu instid0(VALU_DEP_1) | instskip(SKIP_1) | instid1(VALU_DEP_1)
	v_cndmask_b32_e64 v65, 0x80000000, v64, s34
	v_cmp_lt_i32_e64 s34, -1, v64
	v_cndmask_b32_e64 v140, 0x80000000, -1, s34
	s_delay_alu instid0(VALU_DEP_1) | instskip(NEXT) | instid1(VALU_DEP_1)
	v_dual_lshrrev_b32 v65, s48, v65 :: v_dual_bitop2_b32 v64, v140, v64 bitop3:0x14
	v_and_b32_e32 v65, s58, v65
	s_delay_alu instid0(VALU_DEP_1)
	v_lshlrev_b32_e32 v65, 2, v65
	ds_load_b32 v65, v65
	s_wait_dscnt 0x0
	v_add_nc_u32_e32 v65, v65, v82
	global_store_b32 v65, v64, s[40:41] scale_offset
.LBB1422_512:                           ;   in Loop: Header=BB1422_410 Depth=2
	s_wait_xcnt 0x0
	s_or_b32 exec_lo, exec_lo, s61
	v_lshl_add_u64 v[64:65], s[42:43], 3, v[26:27]
	v_cmp_lt_u32_e64 s34, v101, v139
	s_and_saveexec_b32 s42, s34
	s_delay_alu instid0(SALU_CYCLE_1)
	s_xor_b32 s34, exec_lo, s42
	s_cbranch_execnz .LBB1422_583
; %bb.513:                              ;   in Loop: Header=BB1422_410 Depth=2
	s_or_b32 exec_lo, exec_lo, s34
	s_delay_alu instid0(SALU_CYCLE_1)
	s_mov_b32 s42, exec_lo
	v_cmpx_lt_u32_e64 v104, v139
	s_cbranch_execnz .LBB1422_584
.LBB1422_514:                           ;   in Loop: Header=BB1422_410 Depth=2
	s_or_b32 exec_lo, exec_lo, s42
	s_delay_alu instid0(SALU_CYCLE_1)
	s_mov_b32 s42, exec_lo
	v_cmpx_lt_u32_e64 v105, v139
	s_cbranch_execnz .LBB1422_585
.LBB1422_515:                           ;   in Loop: Header=BB1422_410 Depth=2
	s_or_b32 exec_lo, exec_lo, s42
	s_delay_alu instid0(SALU_CYCLE_1)
	s_mov_b32 s42, exec_lo
	v_cmpx_lt_u32_e64 v106, v139
	s_cbranch_execnz .LBB1422_586
.LBB1422_516:                           ;   in Loop: Header=BB1422_410 Depth=2
	s_or_b32 exec_lo, exec_lo, s42
	s_delay_alu instid0(SALU_CYCLE_1)
	s_mov_b32 s42, exec_lo
	v_cmpx_lt_u32_e64 v107, v139
	s_cbranch_execnz .LBB1422_587
.LBB1422_517:                           ;   in Loop: Header=BB1422_410 Depth=2
	s_or_b32 exec_lo, exec_lo, s42
	s_delay_alu instid0(SALU_CYCLE_1)
	s_mov_b32 s42, exec_lo
	v_cmpx_lt_u32_e64 v108, v139
	s_cbranch_execnz .LBB1422_588
.LBB1422_518:                           ;   in Loop: Header=BB1422_410 Depth=2
	s_or_b32 exec_lo, exec_lo, s42
	s_delay_alu instid0(SALU_CYCLE_1)
	s_mov_b32 s42, exec_lo
	v_cmpx_lt_u32_e64 v109, v139
	s_cbranch_execnz .LBB1422_589
.LBB1422_519:                           ;   in Loop: Header=BB1422_410 Depth=2
	s_or_b32 exec_lo, exec_lo, s42
	s_delay_alu instid0(SALU_CYCLE_1)
	s_mov_b32 s42, exec_lo
	v_cmpx_lt_u32_e64 v110, v139
	s_cbranch_execnz .LBB1422_590
.LBB1422_520:                           ;   in Loop: Header=BB1422_410 Depth=2
	s_or_b32 exec_lo, exec_lo, s42
	s_delay_alu instid0(SALU_CYCLE_1)
	s_mov_b32 s42, exec_lo
	v_cmpx_lt_u32_e64 v111, v139
	s_cbranch_execnz .LBB1422_591
.LBB1422_521:                           ;   in Loop: Header=BB1422_410 Depth=2
	s_or_b32 exec_lo, exec_lo, s42
	s_delay_alu instid0(SALU_CYCLE_1)
	s_mov_b32 s42, exec_lo
	v_cmpx_lt_u32_e64 v112, v139
	s_cbranch_execnz .LBB1422_592
.LBB1422_522:                           ;   in Loop: Header=BB1422_410 Depth=2
	s_or_b32 exec_lo, exec_lo, s42
	s_delay_alu instid0(SALU_CYCLE_1)
	s_mov_b32 s42, exec_lo
	v_cmpx_lt_u32_e64 v113, v139
	s_cbranch_execnz .LBB1422_593
.LBB1422_523:                           ;   in Loop: Header=BB1422_410 Depth=2
	s_or_b32 exec_lo, exec_lo, s42
	s_delay_alu instid0(SALU_CYCLE_1)
	s_mov_b32 s42, exec_lo
	v_cmpx_lt_u32_e64 v114, v139
	s_cbranch_execnz .LBB1422_594
.LBB1422_524:                           ;   in Loop: Header=BB1422_410 Depth=2
	s_or_b32 exec_lo, exec_lo, s42
	s_delay_alu instid0(SALU_CYCLE_1)
	s_mov_b32 s42, exec_lo
	v_cmpx_lt_u32_e64 v115, v139
	s_cbranch_execnz .LBB1422_595
.LBB1422_525:                           ;   in Loop: Header=BB1422_410 Depth=2
	s_or_b32 exec_lo, exec_lo, s42
	s_delay_alu instid0(SALU_CYCLE_1)
	s_mov_b32 s42, exec_lo
	v_cmpx_lt_u32_e64 v116, v139
	s_cbranch_execnz .LBB1422_596
.LBB1422_526:                           ;   in Loop: Header=BB1422_410 Depth=2
	s_or_b32 exec_lo, exec_lo, s42
	s_delay_alu instid0(SALU_CYCLE_1)
	s_mov_b32 s42, exec_lo
	v_cmpx_lt_u32_e64 v117, v139
	s_cbranch_execnz .LBB1422_597
.LBB1422_527:                           ;   in Loop: Header=BB1422_410 Depth=2
	s_or_b32 exec_lo, exec_lo, s42
	s_delay_alu instid0(SALU_CYCLE_1)
	s_mov_b32 s42, exec_lo
	v_cmpx_lt_u32_e64 v118, v139
	s_cbranch_execnz .LBB1422_598
.LBB1422_528:                           ;   in Loop: Header=BB1422_410 Depth=2
	s_or_b32 exec_lo, exec_lo, s42
	s_delay_alu instid0(SALU_CYCLE_1)
	s_mov_b32 s42, exec_lo
	v_cmpx_lt_u32_e64 v5, v139
	s_cbranch_execnz .LBB1422_599
.LBB1422_529:                           ;   in Loop: Header=BB1422_410 Depth=2
	s_or_b32 exec_lo, exec_lo, s42
	s_and_saveexec_b32 s42, vcc_lo
	s_cbranch_execnz .LBB1422_600
.LBB1422_530:                           ;   in Loop: Header=BB1422_410 Depth=2
	s_or_b32 exec_lo, exec_lo, s42
	s_and_saveexec_b32 s42, s17
	s_cbranch_execnz .LBB1422_601
.LBB1422_531:                           ;   in Loop: Header=BB1422_410 Depth=2
	s_or_b32 exec_lo, exec_lo, s42
	s_and_saveexec_b32 s42, s18
	s_cbranch_execnz .LBB1422_602
.LBB1422_532:                           ;   in Loop: Header=BB1422_410 Depth=2
	s_or_b32 exec_lo, exec_lo, s42
	s_and_saveexec_b32 s42, s19
	s_cbranch_execnz .LBB1422_603
.LBB1422_533:                           ;   in Loop: Header=BB1422_410 Depth=2
	s_or_b32 exec_lo, exec_lo, s42
	s_and_saveexec_b32 s42, s20
	s_cbranch_execnz .LBB1422_604
.LBB1422_534:                           ;   in Loop: Header=BB1422_410 Depth=2
	s_or_b32 exec_lo, exec_lo, s42
	s_and_saveexec_b32 s42, s21
	s_cbranch_execnz .LBB1422_605
.LBB1422_535:                           ;   in Loop: Header=BB1422_410 Depth=2
	s_or_b32 exec_lo, exec_lo, s42
	s_and_saveexec_b32 s42, s22
	s_cbranch_execnz .LBB1422_606
.LBB1422_536:                           ;   in Loop: Header=BB1422_410 Depth=2
	s_or_b32 exec_lo, exec_lo, s42
	s_and_saveexec_b32 s42, s23
	s_cbranch_execnz .LBB1422_607
.LBB1422_537:                           ;   in Loop: Header=BB1422_410 Depth=2
	s_or_b32 exec_lo, exec_lo, s42
	s_and_saveexec_b32 s42, s24
	s_cbranch_execnz .LBB1422_608
.LBB1422_538:                           ;   in Loop: Header=BB1422_410 Depth=2
	s_or_b32 exec_lo, exec_lo, s42
	s_and_saveexec_b32 s42, s25
	s_cbranch_execnz .LBB1422_609
.LBB1422_539:                           ;   in Loop: Header=BB1422_410 Depth=2
	s_or_b32 exec_lo, exec_lo, s42
	s_and_saveexec_b32 s42, s26
	s_cbranch_execnz .LBB1422_610
.LBB1422_540:                           ;   in Loop: Header=BB1422_410 Depth=2
	s_or_b32 exec_lo, exec_lo, s42
	s_and_saveexec_b32 s42, s27
	s_cbranch_execnz .LBB1422_611
.LBB1422_541:                           ;   in Loop: Header=BB1422_410 Depth=2
	s_or_b32 exec_lo, exec_lo, s42
	s_and_saveexec_b32 s42, s28
	s_cbranch_execnz .LBB1422_612
.LBB1422_542:                           ;   in Loop: Header=BB1422_410 Depth=2
	s_or_b32 exec_lo, exec_lo, s42
	s_and_saveexec_b32 s42, s29
	s_cbranch_execnz .LBB1422_613
.LBB1422_543:                           ;   in Loop: Header=BB1422_410 Depth=2
	s_or_b32 exec_lo, exec_lo, s42
	s_and_saveexec_b32 s42, s30
	s_cbranch_execnz .LBB1422_614
.LBB1422_544:                           ;   in Loop: Header=BB1422_410 Depth=2
	s_or_b32 exec_lo, exec_lo, s42
	s_and_saveexec_b32 s42, s31
	s_cbranch_execnz .LBB1422_615
.LBB1422_545:                           ;   in Loop: Header=BB1422_410 Depth=2
	s_or_b32 exec_lo, exec_lo, s42
	s_and_saveexec_b32 s42, s33
	s_cbranch_execz .LBB1422_547
.LBB1422_546:                           ;   in Loop: Header=BB1422_410 Depth=2
	ds_load_b32 v64, v92 offset:16896
	s_wait_dscnt 0x0
	v_cmp_ne_u32_e64 s34, 0x7fffffff, v64
	s_delay_alu instid0(VALU_DEP_1) | instskip(NEXT) | instid1(VALU_DEP_1)
	v_cndmask_b32_e64 v64, 0x80000000, v64, s34
	v_lshrrev_b32_e32 v64, s48, v64
	s_delay_alu instid0(VALU_DEP_1)
	v_and_b32_e32 v120, s58, v64
.LBB1422_547:                           ;   in Loop: Header=BB1422_410 Depth=2
	s_or_b32 exec_lo, exec_lo, s42
	v_dual_lshlrev_b32 v64, 3, v162 :: v_dual_lshlrev_b32 v65, 3, v161
	s_wait_loadcnt 0x0
	s_wait_storecnt 0x0
	s_barrier_signal -1
	s_barrier_wait -1
	ds_store_b64 v64, v[62:63] offset:512
	ds_store_b64 v65, v[60:61] offset:512
	v_dual_lshlrev_b32 v64, 3, v157 :: v_dual_lshlrev_b32 v65, 3, v156
	v_dual_lshlrev_b32 v139, 3, v155 :: v_dual_lshlrev_b32 v140, 3, v154
	v_lshlrev_b32_e32 v142, 3, v152
	ds_store_b64 v64, v[58:59] offset:512
	ds_store_b64 v65, v[56:57] offset:512
	ds_store_b64 v139, v[54:55] offset:512
	ds_store_b64 v140, v[52:53] offset:512
	ds_store_b64 v142, v[50:51] offset:512
	v_dual_lshlrev_b32 v64, 3, v151 :: v_dual_lshlrev_b32 v65, 3, v150
	v_dual_lshlrev_b32 v139, 3, v149 :: v_dual_lshlrev_b32 v140, 3, v147
	v_lshlrev_b32_e32 v142, 3, v146
	ds_store_b64 v64, v[48:49] offset:512
	ds_store_b64 v65, v[46:47] offset:512
	ds_store_b64 v139, v[44:45] offset:512
	;; [unrolled: 8-line block ×3, first 2 shown]
	ds_store_b64 v67, v[32:33] offset:512
	ds_store_b64 v139, v[30:31] offset:512
	s_wait_dscnt 0x0
	s_barrier_signal -1
	s_barrier_wait -1
	s_and_saveexec_b32 s34, vcc_lo
	s_cbranch_execnz .LBB1422_616
; %bb.548:                              ;   in Loop: Header=BB1422_410 Depth=2
	s_or_b32 exec_lo, exec_lo, s34
	s_and_saveexec_b32 s34, s17
	s_cbranch_execnz .LBB1422_617
.LBB1422_549:                           ;   in Loop: Header=BB1422_410 Depth=2
	s_or_b32 exec_lo, exec_lo, s34
	s_and_saveexec_b32 s17, s18
	s_cbranch_execnz .LBB1422_618
.LBB1422_550:                           ;   in Loop: Header=BB1422_410 Depth=2
	s_or_b32 exec_lo, exec_lo, s17
	s_and_saveexec_b32 s17, s19
	s_cbranch_execnz .LBB1422_619
.LBB1422_551:                           ;   in Loop: Header=BB1422_410 Depth=2
	s_or_b32 exec_lo, exec_lo, s17
	s_and_saveexec_b32 s17, s20
	s_cbranch_execnz .LBB1422_620
.LBB1422_552:                           ;   in Loop: Header=BB1422_410 Depth=2
	s_or_b32 exec_lo, exec_lo, s17
	s_and_saveexec_b32 s17, s21
	s_cbranch_execnz .LBB1422_621
.LBB1422_553:                           ;   in Loop: Header=BB1422_410 Depth=2
	s_or_b32 exec_lo, exec_lo, s17
	s_and_saveexec_b32 s17, s22
	s_cbranch_execnz .LBB1422_622
.LBB1422_554:                           ;   in Loop: Header=BB1422_410 Depth=2
	s_or_b32 exec_lo, exec_lo, s17
	s_and_saveexec_b32 s17, s23
	s_cbranch_execnz .LBB1422_623
.LBB1422_555:                           ;   in Loop: Header=BB1422_410 Depth=2
	s_or_b32 exec_lo, exec_lo, s17
	s_and_saveexec_b32 s17, s24
	s_cbranch_execnz .LBB1422_624
.LBB1422_556:                           ;   in Loop: Header=BB1422_410 Depth=2
	s_or_b32 exec_lo, exec_lo, s17
	s_and_saveexec_b32 s17, s25
	s_cbranch_execnz .LBB1422_625
.LBB1422_557:                           ;   in Loop: Header=BB1422_410 Depth=2
	s_or_b32 exec_lo, exec_lo, s17
	s_and_saveexec_b32 s17, s26
	s_cbranch_execnz .LBB1422_626
.LBB1422_558:                           ;   in Loop: Header=BB1422_410 Depth=2
	s_or_b32 exec_lo, exec_lo, s17
	s_and_saveexec_b32 s17, s27
	s_cbranch_execnz .LBB1422_627
.LBB1422_559:                           ;   in Loop: Header=BB1422_410 Depth=2
	s_or_b32 exec_lo, exec_lo, s17
	s_and_saveexec_b32 s17, s28
	s_cbranch_execnz .LBB1422_628
.LBB1422_560:                           ;   in Loop: Header=BB1422_410 Depth=2
	s_or_b32 exec_lo, exec_lo, s17
	s_and_saveexec_b32 s17, s29
	s_cbranch_execnz .LBB1422_629
.LBB1422_561:                           ;   in Loop: Header=BB1422_410 Depth=2
	s_or_b32 exec_lo, exec_lo, s17
	s_and_saveexec_b32 s17, s30
	s_cbranch_execnz .LBB1422_630
.LBB1422_562:                           ;   in Loop: Header=BB1422_410 Depth=2
	s_or_b32 exec_lo, exec_lo, s17
	s_and_saveexec_b32 s17, s31
	s_cbranch_execnz .LBB1422_631
.LBB1422_563:                           ;   in Loop: Header=BB1422_410 Depth=2
	s_or_b32 exec_lo, exec_lo, s17
	s_and_saveexec_b32 s17, s33
	s_cbranch_execz .LBB1422_565
.LBB1422_564:                           ;   in Loop: Header=BB1422_410 Depth=2
	v_lshlrev_b32_e32 v64, 2, v120
	v_add_nc_u32_e32 v65, v92, v4
	ds_load_b32 v66, v64
	ds_load_b64 v[64:65], v65 offset:33280
	s_wait_dscnt 0x1
	v_add_nc_u32_e32 v66, v66, v82
	s_wait_dscnt 0x0
	global_store_b64 v66, v[64:65], s[46:47] scale_offset
.LBB1422_565:                           ;   in Loop: Header=BB1422_410 Depth=2
	s_wait_xcnt 0x0
	s_or_b32 exec_lo, exec_lo, s17
	s_wait_storecnt 0x0
	s_barrier_signal -1
	s_barrier_wait -1
	s_and_saveexec_b32 s17, s0
	s_cbranch_execz .LBB1422_409
; %bb.566:                              ;   in Loop: Header=BB1422_410 Depth=2
	ds_load_b32 v64, v4
	s_wait_dscnt 0x0
	v_add3_u32 v64, v133, v138, v64
	ds_store_b32 v4, v64
	s_branch .LBB1422_409
.LBB1422_567:                           ;   in Loop: Header=BB1422_410 Depth=2
	ds_load_b32 v64, v92 offset:512
	s_wait_dscnt 0x0
	v_cmp_ne_u32_e64 s17, 0x7fffffff, v64
	s_delay_alu instid0(VALU_DEP_1) | instskip(SKIP_1) | instid1(VALU_DEP_1)
	v_cndmask_b32_e64 v65, 0x80000000, v64, s17
	v_cmp_lt_i32_e64 s17, -1, v64
	v_cndmask_b32_e64 v140, 0x80000000, -1, s17
	s_delay_alu instid0(VALU_DEP_1) | instskip(NEXT) | instid1(VALU_DEP_1)
	v_dual_lshrrev_b32 v65, s48, v65 :: v_dual_bitop2_b32 v64, v140, v64 bitop3:0x14
	v_and_b32_e32 v65, s58, v65
	s_delay_alu instid0(VALU_DEP_1)
	v_lshlrev_b32_e32 v65, 2, v65
	ds_load_b32 v65, v65
	s_wait_dscnt 0x0
	v_add_nc_u32_e32 v65, v65, v2
	global_store_b32 v65, v64, s[40:41] scale_offset
	s_wait_xcnt 0x0
	s_or_b32 exec_lo, exec_lo, s18
	v_cmp_lt_u32_e64 s17, v3, v139
	s_and_saveexec_b32 s19, s17
	s_cbranch_execz .LBB1422_496
.LBB1422_568:                           ;   in Loop: Header=BB1422_410 Depth=2
	ds_load_b32 v64, v92 offset:1536
	s_wait_dscnt 0x0
	v_cmp_ne_u32_e64 s18, 0x7fffffff, v64
	s_delay_alu instid0(VALU_DEP_1) | instskip(SKIP_1) | instid1(VALU_DEP_1)
	v_cndmask_b32_e64 v65, 0x80000000, v64, s18
	v_cmp_lt_i32_e64 s18, -1, v64
	v_cndmask_b32_e64 v140, 0x80000000, -1, s18
	s_delay_alu instid0(VALU_DEP_1) | instskip(NEXT) | instid1(VALU_DEP_1)
	v_dual_lshrrev_b32 v65, s48, v65 :: v_dual_bitop2_b32 v64, v140, v64 bitop3:0x14
	v_and_b32_e32 v65, s58, v65
	s_delay_alu instid0(VALU_DEP_1)
	v_lshlrev_b32_e32 v65, 2, v65
	ds_load_b32 v65, v65
	s_wait_dscnt 0x0
	v_add_nc_u32_e32 v65, v65, v3
	global_store_b32 v65, v64, s[40:41] scale_offset
	s_wait_xcnt 0x0
	s_or_b32 exec_lo, exec_lo, s19
	v_cmp_lt_u32_e64 s18, v68, v139
	s_and_saveexec_b32 s20, s18
	s_cbranch_execz .LBB1422_497
.LBB1422_569:                           ;   in Loop: Header=BB1422_410 Depth=2
	ds_load_b32 v64, v92 offset:2560
	s_wait_dscnt 0x0
	v_cmp_ne_u32_e64 s19, 0x7fffffff, v64
	s_delay_alu instid0(VALU_DEP_1) | instskip(SKIP_1) | instid1(VALU_DEP_1)
	v_cndmask_b32_e64 v65, 0x80000000, v64, s19
	v_cmp_lt_i32_e64 s19, -1, v64
	v_cndmask_b32_e64 v140, 0x80000000, -1, s19
	s_delay_alu instid0(VALU_DEP_1) | instskip(NEXT) | instid1(VALU_DEP_1)
	v_dual_lshrrev_b32 v65, s48, v65 :: v_dual_bitop2_b32 v64, v140, v64 bitop3:0x14
	v_and_b32_e32 v65, s58, v65
	s_delay_alu instid0(VALU_DEP_1)
	v_lshlrev_b32_e32 v65, 2, v65
	ds_load_b32 v65, v65
	s_wait_dscnt 0x0
	v_add_nc_u32_e32 v65, v65, v68
	global_store_b32 v65, v64, s[40:41] scale_offset
	s_wait_xcnt 0x0
	s_or_b32 exec_lo, exec_lo, s20
	v_cmp_lt_u32_e64 s19, v69, v139
	s_and_saveexec_b32 s21, s19
	s_cbranch_execz .LBB1422_498
.LBB1422_570:                           ;   in Loop: Header=BB1422_410 Depth=2
	ds_load_b32 v64, v92 offset:3584
	s_wait_dscnt 0x0
	v_cmp_ne_u32_e64 s20, 0x7fffffff, v64
	s_delay_alu instid0(VALU_DEP_1) | instskip(SKIP_1) | instid1(VALU_DEP_1)
	v_cndmask_b32_e64 v65, 0x80000000, v64, s20
	v_cmp_lt_i32_e64 s20, -1, v64
	v_cndmask_b32_e64 v140, 0x80000000, -1, s20
	s_delay_alu instid0(VALU_DEP_1) | instskip(NEXT) | instid1(VALU_DEP_1)
	v_dual_lshrrev_b32 v65, s48, v65 :: v_dual_bitop2_b32 v64, v140, v64 bitop3:0x14
	v_and_b32_e32 v65, s58, v65
	s_delay_alu instid0(VALU_DEP_1)
	v_lshlrev_b32_e32 v65, 2, v65
	ds_load_b32 v65, v65
	s_wait_dscnt 0x0
	v_add_nc_u32_e32 v65, v65, v69
	global_store_b32 v65, v64, s[40:41] scale_offset
	s_wait_xcnt 0x0
	s_or_b32 exec_lo, exec_lo, s21
	v_cmp_lt_u32_e64 s20, v70, v139
	s_and_saveexec_b32 s22, s20
	s_cbranch_execz .LBB1422_499
.LBB1422_571:                           ;   in Loop: Header=BB1422_410 Depth=2
	ds_load_b32 v64, v92 offset:4608
	s_wait_dscnt 0x0
	v_cmp_ne_u32_e64 s21, 0x7fffffff, v64
	s_delay_alu instid0(VALU_DEP_1) | instskip(SKIP_1) | instid1(VALU_DEP_1)
	v_cndmask_b32_e64 v65, 0x80000000, v64, s21
	v_cmp_lt_i32_e64 s21, -1, v64
	v_cndmask_b32_e64 v140, 0x80000000, -1, s21
	s_delay_alu instid0(VALU_DEP_1) | instskip(NEXT) | instid1(VALU_DEP_1)
	v_dual_lshrrev_b32 v65, s48, v65 :: v_dual_bitop2_b32 v64, v140, v64 bitop3:0x14
	v_and_b32_e32 v65, s58, v65
	s_delay_alu instid0(VALU_DEP_1)
	v_lshlrev_b32_e32 v65, 2, v65
	ds_load_b32 v65, v65
	s_wait_dscnt 0x0
	v_add_nc_u32_e32 v65, v65, v70
	global_store_b32 v65, v64, s[40:41] scale_offset
	s_wait_xcnt 0x0
	s_or_b32 exec_lo, exec_lo, s22
	v_cmp_lt_u32_e64 s21, v71, v139
	s_and_saveexec_b32 s23, s21
	s_cbranch_execz .LBB1422_500
.LBB1422_572:                           ;   in Loop: Header=BB1422_410 Depth=2
	ds_load_b32 v64, v92 offset:5632
	s_wait_dscnt 0x0
	v_cmp_ne_u32_e64 s22, 0x7fffffff, v64
	s_delay_alu instid0(VALU_DEP_1) | instskip(SKIP_1) | instid1(VALU_DEP_1)
	v_cndmask_b32_e64 v65, 0x80000000, v64, s22
	v_cmp_lt_i32_e64 s22, -1, v64
	v_cndmask_b32_e64 v140, 0x80000000, -1, s22
	s_delay_alu instid0(VALU_DEP_1) | instskip(NEXT) | instid1(VALU_DEP_1)
	v_dual_lshrrev_b32 v65, s48, v65 :: v_dual_bitop2_b32 v64, v140, v64 bitop3:0x14
	v_and_b32_e32 v65, s58, v65
	s_delay_alu instid0(VALU_DEP_1)
	v_lshlrev_b32_e32 v65, 2, v65
	ds_load_b32 v65, v65
	s_wait_dscnt 0x0
	v_add_nc_u32_e32 v65, v65, v71
	global_store_b32 v65, v64, s[40:41] scale_offset
	s_wait_xcnt 0x0
	s_or_b32 exec_lo, exec_lo, s23
	v_cmp_lt_u32_e64 s22, v72, v139
	s_and_saveexec_b32 s24, s22
	s_cbranch_execz .LBB1422_501
.LBB1422_573:                           ;   in Loop: Header=BB1422_410 Depth=2
	ds_load_b32 v64, v92 offset:6656
	s_wait_dscnt 0x0
	v_cmp_ne_u32_e64 s23, 0x7fffffff, v64
	s_delay_alu instid0(VALU_DEP_1) | instskip(SKIP_1) | instid1(VALU_DEP_1)
	v_cndmask_b32_e64 v65, 0x80000000, v64, s23
	v_cmp_lt_i32_e64 s23, -1, v64
	v_cndmask_b32_e64 v140, 0x80000000, -1, s23
	s_delay_alu instid0(VALU_DEP_1) | instskip(NEXT) | instid1(VALU_DEP_1)
	v_dual_lshrrev_b32 v65, s48, v65 :: v_dual_bitop2_b32 v64, v140, v64 bitop3:0x14
	v_and_b32_e32 v65, s58, v65
	s_delay_alu instid0(VALU_DEP_1)
	v_lshlrev_b32_e32 v65, 2, v65
	ds_load_b32 v65, v65
	s_wait_dscnt 0x0
	v_add_nc_u32_e32 v65, v65, v72
	global_store_b32 v65, v64, s[40:41] scale_offset
	s_wait_xcnt 0x0
	s_or_b32 exec_lo, exec_lo, s24
	v_cmp_lt_u32_e64 s23, v73, v139
	s_and_saveexec_b32 s25, s23
	s_cbranch_execz .LBB1422_502
.LBB1422_574:                           ;   in Loop: Header=BB1422_410 Depth=2
	ds_load_b32 v64, v92 offset:7680
	s_wait_dscnt 0x0
	v_cmp_ne_u32_e64 s24, 0x7fffffff, v64
	s_delay_alu instid0(VALU_DEP_1) | instskip(SKIP_1) | instid1(VALU_DEP_1)
	v_cndmask_b32_e64 v65, 0x80000000, v64, s24
	v_cmp_lt_i32_e64 s24, -1, v64
	v_cndmask_b32_e64 v140, 0x80000000, -1, s24
	s_delay_alu instid0(VALU_DEP_1) | instskip(NEXT) | instid1(VALU_DEP_1)
	v_dual_lshrrev_b32 v65, s48, v65 :: v_dual_bitop2_b32 v64, v140, v64 bitop3:0x14
	v_and_b32_e32 v65, s58, v65
	s_delay_alu instid0(VALU_DEP_1)
	v_lshlrev_b32_e32 v65, 2, v65
	ds_load_b32 v65, v65
	s_wait_dscnt 0x0
	v_add_nc_u32_e32 v65, v65, v73
	global_store_b32 v65, v64, s[40:41] scale_offset
	s_wait_xcnt 0x0
	s_or_b32 exec_lo, exec_lo, s25
	v_cmp_lt_u32_e64 s24, v74, v139
	s_and_saveexec_b32 s26, s24
	s_cbranch_execz .LBB1422_503
.LBB1422_575:                           ;   in Loop: Header=BB1422_410 Depth=2
	ds_load_b32 v64, v92 offset:8704
	s_wait_dscnt 0x0
	v_cmp_ne_u32_e64 s25, 0x7fffffff, v64
	s_delay_alu instid0(VALU_DEP_1) | instskip(SKIP_1) | instid1(VALU_DEP_1)
	v_cndmask_b32_e64 v65, 0x80000000, v64, s25
	v_cmp_lt_i32_e64 s25, -1, v64
	v_cndmask_b32_e64 v140, 0x80000000, -1, s25
	s_delay_alu instid0(VALU_DEP_1) | instskip(NEXT) | instid1(VALU_DEP_1)
	v_dual_lshrrev_b32 v65, s48, v65 :: v_dual_bitop2_b32 v64, v140, v64 bitop3:0x14
	v_and_b32_e32 v65, s58, v65
	s_delay_alu instid0(VALU_DEP_1)
	v_lshlrev_b32_e32 v65, 2, v65
	ds_load_b32 v65, v65
	s_wait_dscnt 0x0
	v_add_nc_u32_e32 v65, v65, v74
	global_store_b32 v65, v64, s[40:41] scale_offset
	s_wait_xcnt 0x0
	s_or_b32 exec_lo, exec_lo, s26
	v_cmp_lt_u32_e64 s25, v75, v139
	s_and_saveexec_b32 s27, s25
	s_cbranch_execz .LBB1422_504
.LBB1422_576:                           ;   in Loop: Header=BB1422_410 Depth=2
	ds_load_b32 v64, v92 offset:9728
	s_wait_dscnt 0x0
	v_cmp_ne_u32_e64 s26, 0x7fffffff, v64
	s_delay_alu instid0(VALU_DEP_1) | instskip(SKIP_1) | instid1(VALU_DEP_1)
	v_cndmask_b32_e64 v65, 0x80000000, v64, s26
	v_cmp_lt_i32_e64 s26, -1, v64
	v_cndmask_b32_e64 v140, 0x80000000, -1, s26
	s_delay_alu instid0(VALU_DEP_1) | instskip(NEXT) | instid1(VALU_DEP_1)
	v_dual_lshrrev_b32 v65, s48, v65 :: v_dual_bitop2_b32 v64, v140, v64 bitop3:0x14
	v_and_b32_e32 v65, s58, v65
	s_delay_alu instid0(VALU_DEP_1)
	v_lshlrev_b32_e32 v65, 2, v65
	ds_load_b32 v65, v65
	s_wait_dscnt 0x0
	v_add_nc_u32_e32 v65, v65, v75
	global_store_b32 v65, v64, s[40:41] scale_offset
	s_wait_xcnt 0x0
	s_or_b32 exec_lo, exec_lo, s27
	v_cmp_lt_u32_e64 s26, v76, v139
	s_and_saveexec_b32 s28, s26
	s_cbranch_execz .LBB1422_505
.LBB1422_577:                           ;   in Loop: Header=BB1422_410 Depth=2
	ds_load_b32 v64, v92 offset:10752
	s_wait_dscnt 0x0
	v_cmp_ne_u32_e64 s27, 0x7fffffff, v64
	s_delay_alu instid0(VALU_DEP_1) | instskip(SKIP_1) | instid1(VALU_DEP_1)
	v_cndmask_b32_e64 v65, 0x80000000, v64, s27
	v_cmp_lt_i32_e64 s27, -1, v64
	v_cndmask_b32_e64 v140, 0x80000000, -1, s27
	s_delay_alu instid0(VALU_DEP_1) | instskip(NEXT) | instid1(VALU_DEP_1)
	v_dual_lshrrev_b32 v65, s48, v65 :: v_dual_bitop2_b32 v64, v140, v64 bitop3:0x14
	v_and_b32_e32 v65, s58, v65
	s_delay_alu instid0(VALU_DEP_1)
	v_lshlrev_b32_e32 v65, 2, v65
	ds_load_b32 v65, v65
	s_wait_dscnt 0x0
	v_add_nc_u32_e32 v65, v65, v76
	global_store_b32 v65, v64, s[40:41] scale_offset
	s_wait_xcnt 0x0
	s_or_b32 exec_lo, exec_lo, s28
	v_cmp_lt_u32_e64 s27, v77, v139
	s_and_saveexec_b32 s29, s27
	s_cbranch_execz .LBB1422_506
.LBB1422_578:                           ;   in Loop: Header=BB1422_410 Depth=2
	ds_load_b32 v64, v92 offset:11776
	s_wait_dscnt 0x0
	v_cmp_ne_u32_e64 s28, 0x7fffffff, v64
	s_delay_alu instid0(VALU_DEP_1) | instskip(SKIP_1) | instid1(VALU_DEP_1)
	v_cndmask_b32_e64 v65, 0x80000000, v64, s28
	v_cmp_lt_i32_e64 s28, -1, v64
	v_cndmask_b32_e64 v140, 0x80000000, -1, s28
	s_delay_alu instid0(VALU_DEP_1) | instskip(NEXT) | instid1(VALU_DEP_1)
	v_dual_lshrrev_b32 v65, s48, v65 :: v_dual_bitop2_b32 v64, v140, v64 bitop3:0x14
	v_and_b32_e32 v65, s58, v65
	s_delay_alu instid0(VALU_DEP_1)
	v_lshlrev_b32_e32 v65, 2, v65
	ds_load_b32 v65, v65
	s_wait_dscnt 0x0
	v_add_nc_u32_e32 v65, v65, v77
	global_store_b32 v65, v64, s[40:41] scale_offset
	s_wait_xcnt 0x0
	s_or_b32 exec_lo, exec_lo, s29
	v_cmp_lt_u32_e64 s28, v78, v139
	s_and_saveexec_b32 s30, s28
	s_cbranch_execz .LBB1422_507
.LBB1422_579:                           ;   in Loop: Header=BB1422_410 Depth=2
	ds_load_b32 v64, v92 offset:12800
	s_wait_dscnt 0x0
	v_cmp_ne_u32_e64 s29, 0x7fffffff, v64
	s_delay_alu instid0(VALU_DEP_1) | instskip(SKIP_1) | instid1(VALU_DEP_1)
	v_cndmask_b32_e64 v65, 0x80000000, v64, s29
	v_cmp_lt_i32_e64 s29, -1, v64
	v_cndmask_b32_e64 v140, 0x80000000, -1, s29
	s_delay_alu instid0(VALU_DEP_1) | instskip(NEXT) | instid1(VALU_DEP_1)
	v_dual_lshrrev_b32 v65, s48, v65 :: v_dual_bitop2_b32 v64, v140, v64 bitop3:0x14
	v_and_b32_e32 v65, s58, v65
	s_delay_alu instid0(VALU_DEP_1)
	v_lshlrev_b32_e32 v65, 2, v65
	ds_load_b32 v65, v65
	s_wait_dscnt 0x0
	v_add_nc_u32_e32 v65, v65, v78
	global_store_b32 v65, v64, s[40:41] scale_offset
	s_wait_xcnt 0x0
	s_or_b32 exec_lo, exec_lo, s30
	v_cmp_lt_u32_e64 s29, v79, v139
	s_and_saveexec_b32 s31, s29
	s_cbranch_execz .LBB1422_508
.LBB1422_580:                           ;   in Loop: Header=BB1422_410 Depth=2
	ds_load_b32 v64, v92 offset:13824
	s_wait_dscnt 0x0
	v_cmp_ne_u32_e64 s30, 0x7fffffff, v64
	s_delay_alu instid0(VALU_DEP_1) | instskip(SKIP_1) | instid1(VALU_DEP_1)
	v_cndmask_b32_e64 v65, 0x80000000, v64, s30
	v_cmp_lt_i32_e64 s30, -1, v64
	v_cndmask_b32_e64 v140, 0x80000000, -1, s30
	s_delay_alu instid0(VALU_DEP_1) | instskip(NEXT) | instid1(VALU_DEP_1)
	v_dual_lshrrev_b32 v65, s48, v65 :: v_dual_bitop2_b32 v64, v140, v64 bitop3:0x14
	v_and_b32_e32 v65, s58, v65
	s_delay_alu instid0(VALU_DEP_1)
	v_lshlrev_b32_e32 v65, 2, v65
	ds_load_b32 v65, v65
	s_wait_dscnt 0x0
	v_add_nc_u32_e32 v65, v65, v79
	global_store_b32 v65, v64, s[40:41] scale_offset
	s_wait_xcnt 0x0
	s_or_b32 exec_lo, exec_lo, s31
	v_cmp_lt_u32_e64 s30, v80, v139
	s_and_saveexec_b32 s33, s30
	s_cbranch_execz .LBB1422_509
.LBB1422_581:                           ;   in Loop: Header=BB1422_410 Depth=2
	ds_load_b32 v64, v92 offset:14848
	s_wait_dscnt 0x0
	v_cmp_ne_u32_e64 s31, 0x7fffffff, v64
	s_delay_alu instid0(VALU_DEP_1) | instskip(SKIP_1) | instid1(VALU_DEP_1)
	v_cndmask_b32_e64 v65, 0x80000000, v64, s31
	v_cmp_lt_i32_e64 s31, -1, v64
	v_cndmask_b32_e64 v140, 0x80000000, -1, s31
	s_delay_alu instid0(VALU_DEP_1) | instskip(NEXT) | instid1(VALU_DEP_1)
	v_dual_lshrrev_b32 v65, s48, v65 :: v_dual_bitop2_b32 v64, v140, v64 bitop3:0x14
	v_and_b32_e32 v65, s58, v65
	s_delay_alu instid0(VALU_DEP_1)
	v_lshlrev_b32_e32 v65, 2, v65
	ds_load_b32 v65, v65
	s_wait_dscnt 0x0
	v_add_nc_u32_e32 v65, v65, v80
	global_store_b32 v65, v64, s[40:41] scale_offset
	s_wait_xcnt 0x0
	s_or_b32 exec_lo, exec_lo, s33
	v_cmp_lt_u32_e64 s31, v81, v139
	s_and_saveexec_b32 s34, s31
	s_cbranch_execz .LBB1422_510
.LBB1422_582:                           ;   in Loop: Header=BB1422_410 Depth=2
	ds_load_b32 v64, v92 offset:15872
	s_wait_dscnt 0x0
	v_cmp_ne_u32_e64 s33, 0x7fffffff, v64
	s_delay_alu instid0(VALU_DEP_1) | instskip(SKIP_1) | instid1(VALU_DEP_1)
	v_cndmask_b32_e64 v65, 0x80000000, v64, s33
	v_cmp_lt_i32_e64 s33, -1, v64
	v_cndmask_b32_e64 v140, 0x80000000, -1, s33
	s_delay_alu instid0(VALU_DEP_1) | instskip(NEXT) | instid1(VALU_DEP_1)
	v_dual_lshrrev_b32 v65, s48, v65 :: v_dual_bitop2_b32 v64, v140, v64 bitop3:0x14
	v_and_b32_e32 v65, s58, v65
	s_delay_alu instid0(VALU_DEP_1)
	v_lshlrev_b32_e32 v65, 2, v65
	ds_load_b32 v65, v65
	s_wait_dscnt 0x0
	v_add_nc_u32_e32 v65, v65, v81
	global_store_b32 v65, v64, s[40:41] scale_offset
	s_wait_xcnt 0x0
	s_or_b32 exec_lo, exec_lo, s34
	v_cmp_lt_u32_e64 s33, v82, v139
	s_and_saveexec_b32 s61, s33
	s_cbranch_execnz .LBB1422_511
	s_branch .LBB1422_512
.LBB1422_583:                           ;   in Loop: Header=BB1422_410 Depth=2
	global_load_b64 v[62:63], v[64:65], off
	s_wait_xcnt 0x0
	s_or_b32 exec_lo, exec_lo, s34
	s_delay_alu instid0(SALU_CYCLE_1)
	s_mov_b32 s42, exec_lo
	v_cmpx_lt_u32_e64 v104, v139
	s_cbranch_execz .LBB1422_514
.LBB1422_584:                           ;   in Loop: Header=BB1422_410 Depth=2
	global_load_b64 v[60:61], v[64:65], off offset:256
	s_wait_xcnt 0x0
	s_or_b32 exec_lo, exec_lo, s42
	s_delay_alu instid0(SALU_CYCLE_1)
	s_mov_b32 s42, exec_lo
	v_cmpx_lt_u32_e64 v105, v139
	s_cbranch_execz .LBB1422_515
.LBB1422_585:                           ;   in Loop: Header=BB1422_410 Depth=2
	global_load_b64 v[58:59], v[64:65], off offset:512
	s_wait_xcnt 0x0
	s_or_b32 exec_lo, exec_lo, s42
	s_delay_alu instid0(SALU_CYCLE_1)
	s_mov_b32 s42, exec_lo
	v_cmpx_lt_u32_e64 v106, v139
	s_cbranch_execz .LBB1422_516
.LBB1422_586:                           ;   in Loop: Header=BB1422_410 Depth=2
	global_load_b64 v[56:57], v[64:65], off offset:768
	s_wait_xcnt 0x0
	s_or_b32 exec_lo, exec_lo, s42
	s_delay_alu instid0(SALU_CYCLE_1)
	s_mov_b32 s42, exec_lo
	v_cmpx_lt_u32_e64 v107, v139
	s_cbranch_execz .LBB1422_517
.LBB1422_587:                           ;   in Loop: Header=BB1422_410 Depth=2
	global_load_b64 v[54:55], v[64:65], off offset:1024
	s_wait_xcnt 0x0
	s_or_b32 exec_lo, exec_lo, s42
	s_delay_alu instid0(SALU_CYCLE_1)
	s_mov_b32 s42, exec_lo
	v_cmpx_lt_u32_e64 v108, v139
	s_cbranch_execz .LBB1422_518
.LBB1422_588:                           ;   in Loop: Header=BB1422_410 Depth=2
	global_load_b64 v[52:53], v[64:65], off offset:1280
	s_wait_xcnt 0x0
	s_or_b32 exec_lo, exec_lo, s42
	s_delay_alu instid0(SALU_CYCLE_1)
	s_mov_b32 s42, exec_lo
	v_cmpx_lt_u32_e64 v109, v139
	s_cbranch_execz .LBB1422_519
.LBB1422_589:                           ;   in Loop: Header=BB1422_410 Depth=2
	global_load_b64 v[50:51], v[64:65], off offset:1536
	s_wait_xcnt 0x0
	s_or_b32 exec_lo, exec_lo, s42
	s_delay_alu instid0(SALU_CYCLE_1)
	s_mov_b32 s42, exec_lo
	v_cmpx_lt_u32_e64 v110, v139
	s_cbranch_execz .LBB1422_520
.LBB1422_590:                           ;   in Loop: Header=BB1422_410 Depth=2
	global_load_b64 v[48:49], v[64:65], off offset:1792
	s_wait_xcnt 0x0
	s_or_b32 exec_lo, exec_lo, s42
	s_delay_alu instid0(SALU_CYCLE_1)
	s_mov_b32 s42, exec_lo
	v_cmpx_lt_u32_e64 v111, v139
	s_cbranch_execz .LBB1422_521
.LBB1422_591:                           ;   in Loop: Header=BB1422_410 Depth=2
	global_load_b64 v[46:47], v[64:65], off offset:2048
	s_wait_xcnt 0x0
	s_or_b32 exec_lo, exec_lo, s42
	s_delay_alu instid0(SALU_CYCLE_1)
	s_mov_b32 s42, exec_lo
	v_cmpx_lt_u32_e64 v112, v139
	s_cbranch_execz .LBB1422_522
.LBB1422_592:                           ;   in Loop: Header=BB1422_410 Depth=2
	global_load_b64 v[44:45], v[64:65], off offset:2304
	s_wait_xcnt 0x0
	s_or_b32 exec_lo, exec_lo, s42
	s_delay_alu instid0(SALU_CYCLE_1)
	s_mov_b32 s42, exec_lo
	v_cmpx_lt_u32_e64 v113, v139
	s_cbranch_execz .LBB1422_523
.LBB1422_593:                           ;   in Loop: Header=BB1422_410 Depth=2
	global_load_b64 v[42:43], v[64:65], off offset:2560
	s_wait_xcnt 0x0
	s_or_b32 exec_lo, exec_lo, s42
	s_delay_alu instid0(SALU_CYCLE_1)
	s_mov_b32 s42, exec_lo
	v_cmpx_lt_u32_e64 v114, v139
	s_cbranch_execz .LBB1422_524
.LBB1422_594:                           ;   in Loop: Header=BB1422_410 Depth=2
	global_load_b64 v[40:41], v[64:65], off offset:2816
	s_wait_xcnt 0x0
	s_or_b32 exec_lo, exec_lo, s42
	s_delay_alu instid0(SALU_CYCLE_1)
	s_mov_b32 s42, exec_lo
	v_cmpx_lt_u32_e64 v115, v139
	s_cbranch_execz .LBB1422_525
.LBB1422_595:                           ;   in Loop: Header=BB1422_410 Depth=2
	global_load_b64 v[38:39], v[64:65], off offset:3072
	s_wait_xcnt 0x0
	s_or_b32 exec_lo, exec_lo, s42
	s_delay_alu instid0(SALU_CYCLE_1)
	s_mov_b32 s42, exec_lo
	v_cmpx_lt_u32_e64 v116, v139
	s_cbranch_execz .LBB1422_526
.LBB1422_596:                           ;   in Loop: Header=BB1422_410 Depth=2
	global_load_b64 v[36:37], v[64:65], off offset:3328
	s_wait_xcnt 0x0
	s_or_b32 exec_lo, exec_lo, s42
	s_delay_alu instid0(SALU_CYCLE_1)
	s_mov_b32 s42, exec_lo
	v_cmpx_lt_u32_e64 v117, v139
	s_cbranch_execz .LBB1422_527
.LBB1422_597:                           ;   in Loop: Header=BB1422_410 Depth=2
	global_load_b64 v[34:35], v[64:65], off offset:3584
	s_wait_xcnt 0x0
	s_or_b32 exec_lo, exec_lo, s42
	s_delay_alu instid0(SALU_CYCLE_1)
	s_mov_b32 s42, exec_lo
	v_cmpx_lt_u32_e64 v118, v139
	s_cbranch_execz .LBB1422_528
.LBB1422_598:                           ;   in Loop: Header=BB1422_410 Depth=2
	global_load_b64 v[32:33], v[64:65], off offset:3840
	s_wait_xcnt 0x0
	s_or_b32 exec_lo, exec_lo, s42
	s_delay_alu instid0(SALU_CYCLE_1)
	s_mov_b32 s42, exec_lo
	v_cmpx_lt_u32_e64 v5, v139
	s_cbranch_execz .LBB1422_529
.LBB1422_599:                           ;   in Loop: Header=BB1422_410 Depth=2
	global_load_b64 v[30:31], v[64:65], off offset:4096
	s_wait_xcnt 0x0
	s_or_b32 exec_lo, exec_lo, s42
	s_and_saveexec_b32 s42, vcc_lo
	s_cbranch_execz .LBB1422_530
.LBB1422_600:                           ;   in Loop: Header=BB1422_410 Depth=2
	ds_load_b32 v64, v92 offset:512
	s_wait_dscnt 0x0
	v_cmp_ne_u32_e64 s34, 0x7fffffff, v64
	s_delay_alu instid0(VALU_DEP_1) | instskip(NEXT) | instid1(VALU_DEP_1)
	v_cndmask_b32_e64 v64, 0x80000000, v64, s34
	v_lshrrev_b32_e32 v64, s48, v64
	s_delay_alu instid0(VALU_DEP_1)
	v_and_b32_e32 v137, s58, v64
	s_or_b32 exec_lo, exec_lo, s42
	s_and_saveexec_b32 s42, s17
	s_cbranch_execz .LBB1422_531
.LBB1422_601:                           ;   in Loop: Header=BB1422_410 Depth=2
	ds_load_b32 v64, v92 offset:1536
	s_wait_dscnt 0x0
	v_cmp_ne_u32_e64 s34, 0x7fffffff, v64
	s_delay_alu instid0(VALU_DEP_1) | instskip(NEXT) | instid1(VALU_DEP_1)
	v_cndmask_b32_e64 v64, 0x80000000, v64, s34
	v_lshrrev_b32_e32 v64, s48, v64
	s_delay_alu instid0(VALU_DEP_1)
	v_and_b32_e32 v136, s58, v64
	s_or_b32 exec_lo, exec_lo, s42
	s_and_saveexec_b32 s42, s18
	s_cbranch_execz .LBB1422_532
.LBB1422_602:                           ;   in Loop: Header=BB1422_410 Depth=2
	ds_load_b32 v64, v92 offset:2560
	s_wait_dscnt 0x0
	v_cmp_ne_u32_e64 s34, 0x7fffffff, v64
	s_delay_alu instid0(VALU_DEP_1) | instskip(NEXT) | instid1(VALU_DEP_1)
	v_cndmask_b32_e64 v64, 0x80000000, v64, s34
	v_lshrrev_b32_e32 v64, s48, v64
	s_delay_alu instid0(VALU_DEP_1)
	v_and_b32_e32 v135, s58, v64
	s_or_b32 exec_lo, exec_lo, s42
	s_and_saveexec_b32 s42, s19
	s_cbranch_execz .LBB1422_533
.LBB1422_603:                           ;   in Loop: Header=BB1422_410 Depth=2
	ds_load_b32 v64, v92 offset:3584
	s_wait_dscnt 0x0
	v_cmp_ne_u32_e64 s34, 0x7fffffff, v64
	s_delay_alu instid0(VALU_DEP_1) | instskip(NEXT) | instid1(VALU_DEP_1)
	v_cndmask_b32_e64 v64, 0x80000000, v64, s34
	v_lshrrev_b32_e32 v64, s48, v64
	s_delay_alu instid0(VALU_DEP_1)
	v_and_b32_e32 v134, s58, v64
	s_or_b32 exec_lo, exec_lo, s42
	s_and_saveexec_b32 s42, s20
	s_cbranch_execz .LBB1422_534
.LBB1422_604:                           ;   in Loop: Header=BB1422_410 Depth=2
	ds_load_b32 v64, v92 offset:4608
	s_wait_dscnt 0x0
	v_cmp_ne_u32_e64 s34, 0x7fffffff, v64
	s_delay_alu instid0(VALU_DEP_1) | instskip(NEXT) | instid1(VALU_DEP_1)
	v_cndmask_b32_e64 v64, 0x80000000, v64, s34
	v_lshrrev_b32_e32 v64, s48, v64
	s_delay_alu instid0(VALU_DEP_1)
	v_and_b32_e32 v132, s58, v64
	s_or_b32 exec_lo, exec_lo, s42
	s_and_saveexec_b32 s42, s21
	s_cbranch_execz .LBB1422_535
.LBB1422_605:                           ;   in Loop: Header=BB1422_410 Depth=2
	ds_load_b32 v64, v92 offset:5632
	s_wait_dscnt 0x0
	v_cmp_ne_u32_e64 s34, 0x7fffffff, v64
	s_delay_alu instid0(VALU_DEP_1) | instskip(NEXT) | instid1(VALU_DEP_1)
	v_cndmask_b32_e64 v64, 0x80000000, v64, s34
	v_lshrrev_b32_e32 v64, s48, v64
	s_delay_alu instid0(VALU_DEP_1)
	v_and_b32_e32 v131, s58, v64
	s_or_b32 exec_lo, exec_lo, s42
	s_and_saveexec_b32 s42, s22
	s_cbranch_execz .LBB1422_536
.LBB1422_606:                           ;   in Loop: Header=BB1422_410 Depth=2
	ds_load_b32 v64, v92 offset:6656
	s_wait_dscnt 0x0
	v_cmp_ne_u32_e64 s34, 0x7fffffff, v64
	s_delay_alu instid0(VALU_DEP_1) | instskip(NEXT) | instid1(VALU_DEP_1)
	v_cndmask_b32_e64 v64, 0x80000000, v64, s34
	v_lshrrev_b32_e32 v64, s48, v64
	s_delay_alu instid0(VALU_DEP_1)
	v_and_b32_e32 v130, s58, v64
	s_or_b32 exec_lo, exec_lo, s42
	s_and_saveexec_b32 s42, s23
	s_cbranch_execz .LBB1422_537
.LBB1422_607:                           ;   in Loop: Header=BB1422_410 Depth=2
	ds_load_b32 v64, v92 offset:7680
	s_wait_dscnt 0x0
	v_cmp_ne_u32_e64 s34, 0x7fffffff, v64
	s_delay_alu instid0(VALU_DEP_1) | instskip(NEXT) | instid1(VALU_DEP_1)
	v_cndmask_b32_e64 v64, 0x80000000, v64, s34
	v_lshrrev_b32_e32 v64, s48, v64
	s_delay_alu instid0(VALU_DEP_1)
	v_and_b32_e32 v129, s58, v64
	s_or_b32 exec_lo, exec_lo, s42
	s_and_saveexec_b32 s42, s24
	s_cbranch_execz .LBB1422_538
.LBB1422_608:                           ;   in Loop: Header=BB1422_410 Depth=2
	ds_load_b32 v64, v92 offset:8704
	s_wait_dscnt 0x0
	v_cmp_ne_u32_e64 s34, 0x7fffffff, v64
	s_delay_alu instid0(VALU_DEP_1) | instskip(NEXT) | instid1(VALU_DEP_1)
	v_cndmask_b32_e64 v64, 0x80000000, v64, s34
	v_lshrrev_b32_e32 v64, s48, v64
	s_delay_alu instid0(VALU_DEP_1)
	v_and_b32_e32 v128, s58, v64
	s_or_b32 exec_lo, exec_lo, s42
	s_and_saveexec_b32 s42, s25
	s_cbranch_execz .LBB1422_539
.LBB1422_609:                           ;   in Loop: Header=BB1422_410 Depth=2
	ds_load_b32 v64, v92 offset:9728
	s_wait_dscnt 0x0
	v_cmp_ne_u32_e64 s34, 0x7fffffff, v64
	s_delay_alu instid0(VALU_DEP_1) | instskip(NEXT) | instid1(VALU_DEP_1)
	v_cndmask_b32_e64 v64, 0x80000000, v64, s34
	v_lshrrev_b32_e32 v64, s48, v64
	s_delay_alu instid0(VALU_DEP_1)
	v_and_b32_e32 v127, s58, v64
	s_or_b32 exec_lo, exec_lo, s42
	s_and_saveexec_b32 s42, s26
	s_cbranch_execz .LBB1422_540
.LBB1422_610:                           ;   in Loop: Header=BB1422_410 Depth=2
	ds_load_b32 v64, v92 offset:10752
	s_wait_dscnt 0x0
	v_cmp_ne_u32_e64 s34, 0x7fffffff, v64
	s_delay_alu instid0(VALU_DEP_1) | instskip(NEXT) | instid1(VALU_DEP_1)
	v_cndmask_b32_e64 v64, 0x80000000, v64, s34
	v_lshrrev_b32_e32 v64, s48, v64
	s_delay_alu instid0(VALU_DEP_1)
	v_and_b32_e32 v126, s58, v64
	s_or_b32 exec_lo, exec_lo, s42
	s_and_saveexec_b32 s42, s27
	s_cbranch_execz .LBB1422_541
.LBB1422_611:                           ;   in Loop: Header=BB1422_410 Depth=2
	ds_load_b32 v64, v92 offset:11776
	s_wait_dscnt 0x0
	v_cmp_ne_u32_e64 s34, 0x7fffffff, v64
	s_delay_alu instid0(VALU_DEP_1) | instskip(NEXT) | instid1(VALU_DEP_1)
	v_cndmask_b32_e64 v64, 0x80000000, v64, s34
	v_lshrrev_b32_e32 v64, s48, v64
	s_delay_alu instid0(VALU_DEP_1)
	v_and_b32_e32 v125, s58, v64
	s_or_b32 exec_lo, exec_lo, s42
	s_and_saveexec_b32 s42, s28
	s_cbranch_execz .LBB1422_542
.LBB1422_612:                           ;   in Loop: Header=BB1422_410 Depth=2
	ds_load_b32 v64, v92 offset:12800
	s_wait_dscnt 0x0
	v_cmp_ne_u32_e64 s34, 0x7fffffff, v64
	s_delay_alu instid0(VALU_DEP_1) | instskip(NEXT) | instid1(VALU_DEP_1)
	v_cndmask_b32_e64 v64, 0x80000000, v64, s34
	v_lshrrev_b32_e32 v64, s48, v64
	s_delay_alu instid0(VALU_DEP_1)
	v_and_b32_e32 v124, s58, v64
	s_or_b32 exec_lo, exec_lo, s42
	s_and_saveexec_b32 s42, s29
	s_cbranch_execz .LBB1422_543
.LBB1422_613:                           ;   in Loop: Header=BB1422_410 Depth=2
	ds_load_b32 v64, v92 offset:13824
	s_wait_dscnt 0x0
	v_cmp_ne_u32_e64 s34, 0x7fffffff, v64
	s_delay_alu instid0(VALU_DEP_1) | instskip(NEXT) | instid1(VALU_DEP_1)
	v_cndmask_b32_e64 v64, 0x80000000, v64, s34
	v_lshrrev_b32_e32 v64, s48, v64
	s_delay_alu instid0(VALU_DEP_1)
	v_and_b32_e32 v123, s58, v64
	s_or_b32 exec_lo, exec_lo, s42
	s_and_saveexec_b32 s42, s30
	s_cbranch_execz .LBB1422_544
.LBB1422_614:                           ;   in Loop: Header=BB1422_410 Depth=2
	ds_load_b32 v64, v92 offset:14848
	s_wait_dscnt 0x0
	v_cmp_ne_u32_e64 s34, 0x7fffffff, v64
	s_delay_alu instid0(VALU_DEP_1) | instskip(NEXT) | instid1(VALU_DEP_1)
	v_cndmask_b32_e64 v64, 0x80000000, v64, s34
	v_lshrrev_b32_e32 v64, s48, v64
	s_delay_alu instid0(VALU_DEP_1)
	v_and_b32_e32 v122, s58, v64
	s_or_b32 exec_lo, exec_lo, s42
	s_and_saveexec_b32 s42, s31
	s_cbranch_execz .LBB1422_545
.LBB1422_615:                           ;   in Loop: Header=BB1422_410 Depth=2
	ds_load_b32 v64, v92 offset:15872
	s_wait_dscnt 0x0
	v_cmp_ne_u32_e64 s34, 0x7fffffff, v64
	s_delay_alu instid0(VALU_DEP_1) | instskip(NEXT) | instid1(VALU_DEP_1)
	v_cndmask_b32_e64 v64, 0x80000000, v64, s34
	v_lshrrev_b32_e32 v64, s48, v64
	s_delay_alu instid0(VALU_DEP_1)
	v_and_b32_e32 v121, s58, v64
	s_or_b32 exec_lo, exec_lo, s42
	s_and_saveexec_b32 s42, s33
	s_cbranch_execnz .LBB1422_546
	s_branch .LBB1422_547
.LBB1422_616:                           ;   in Loop: Header=BB1422_410 Depth=2
	v_dual_lshlrev_b32 v64, 2, v137 :: v_dual_add_nc_u32 v65, v92, v4
	ds_load_b32 v66, v64
	ds_load_b64 v[64:65], v65 offset:512
	s_wait_dscnt 0x1
	v_add_nc_u32_e32 v66, v66, v2
	s_wait_dscnt 0x0
	global_store_b64 v66, v[64:65], s[46:47] scale_offset
	s_wait_xcnt 0x0
	s_or_b32 exec_lo, exec_lo, s34
	s_and_saveexec_b32 s34, s17
	s_cbranch_execz .LBB1422_549
.LBB1422_617:                           ;   in Loop: Header=BB1422_410 Depth=2
	v_lshlrev_b32_e32 v64, 2, v136
	v_add_nc_u32_e32 v65, v92, v4
	ds_load_b32 v66, v64
	ds_load_b64 v[64:65], v65 offset:2560
	s_wait_dscnt 0x1
	v_add_nc_u32_e32 v66, v66, v3
	s_wait_dscnt 0x0
	global_store_b64 v66, v[64:65], s[46:47] scale_offset
	s_wait_xcnt 0x0
	s_or_b32 exec_lo, exec_lo, s34
	s_and_saveexec_b32 s17, s18
	s_cbranch_execz .LBB1422_550
.LBB1422_618:                           ;   in Loop: Header=BB1422_410 Depth=2
	v_dual_lshlrev_b32 v64, 2, v135 :: v_dual_add_nc_u32 v65, v92, v4
	ds_load_b32 v66, v64
	ds_load_b64 v[64:65], v65 offset:4608
	s_wait_dscnt 0x1
	v_add_nc_u32_e32 v66, v66, v68
	s_wait_dscnt 0x0
	global_store_b64 v66, v[64:65], s[46:47] scale_offset
	s_wait_xcnt 0x0
	s_or_b32 exec_lo, exec_lo, s17
	s_and_saveexec_b32 s17, s19
	s_cbranch_execz .LBB1422_551
.LBB1422_619:                           ;   in Loop: Header=BB1422_410 Depth=2
	v_dual_lshlrev_b32 v64, 2, v134 :: v_dual_add_nc_u32 v65, v92, v4
	ds_load_b32 v66, v64
	ds_load_b64 v[64:65], v65 offset:6656
	s_wait_dscnt 0x1
	v_add_nc_u32_e32 v66, v66, v69
	s_wait_dscnt 0x0
	global_store_b64 v66, v[64:65], s[46:47] scale_offset
	s_wait_xcnt 0x0
	s_or_b32 exec_lo, exec_lo, s17
	s_and_saveexec_b32 s17, s20
	s_cbranch_execz .LBB1422_552
.LBB1422_620:                           ;   in Loop: Header=BB1422_410 Depth=2
	v_lshlrev_b32_e32 v64, 2, v132
	v_add_nc_u32_e32 v65, v92, v4
	ds_load_b32 v66, v64
	ds_load_b64 v[64:65], v65 offset:8704
	s_wait_dscnt 0x1
	v_add_nc_u32_e32 v66, v66, v70
	s_wait_dscnt 0x0
	global_store_b64 v66, v[64:65], s[46:47] scale_offset
	s_wait_xcnt 0x0
	s_or_b32 exec_lo, exec_lo, s17
	s_and_saveexec_b32 s17, s21
	s_cbranch_execz .LBB1422_553
.LBB1422_621:                           ;   in Loop: Header=BB1422_410 Depth=2
	v_dual_lshlrev_b32 v64, 2, v131 :: v_dual_add_nc_u32 v65, v92, v4
	ds_load_b32 v66, v64
	ds_load_b64 v[64:65], v65 offset:10752
	s_wait_dscnt 0x1
	v_add_nc_u32_e32 v66, v66, v71
	s_wait_dscnt 0x0
	global_store_b64 v66, v[64:65], s[46:47] scale_offset
	s_wait_xcnt 0x0
	s_or_b32 exec_lo, exec_lo, s17
	s_and_saveexec_b32 s17, s22
	s_cbranch_execz .LBB1422_554
.LBB1422_622:                           ;   in Loop: Header=BB1422_410 Depth=2
	v_dual_lshlrev_b32 v64, 2, v130 :: v_dual_add_nc_u32 v65, v92, v4
	ds_load_b32 v66, v64
	ds_load_b64 v[64:65], v65 offset:12800
	s_wait_dscnt 0x1
	v_add_nc_u32_e32 v66, v66, v72
	s_wait_dscnt 0x0
	global_store_b64 v66, v[64:65], s[46:47] scale_offset
	s_wait_xcnt 0x0
	s_or_b32 exec_lo, exec_lo, s17
	s_and_saveexec_b32 s17, s23
	s_cbranch_execz .LBB1422_555
.LBB1422_623:                           ;   in Loop: Header=BB1422_410 Depth=2
	v_dual_lshlrev_b32 v64, 2, v129 :: v_dual_add_nc_u32 v65, v92, v4
	ds_load_b32 v66, v64
	ds_load_b64 v[64:65], v65 offset:14848
	s_wait_dscnt 0x1
	v_add_nc_u32_e32 v66, v66, v73
	s_wait_dscnt 0x0
	global_store_b64 v66, v[64:65], s[46:47] scale_offset
	s_wait_xcnt 0x0
	s_or_b32 exec_lo, exec_lo, s17
	s_and_saveexec_b32 s17, s24
	s_cbranch_execz .LBB1422_556
.LBB1422_624:                           ;   in Loop: Header=BB1422_410 Depth=2
	v_lshlrev_b32_e32 v64, 2, v128
	v_add_nc_u32_e32 v65, v92, v4
	ds_load_b32 v66, v64
	ds_load_b64 v[64:65], v65 offset:16896
	s_wait_dscnt 0x1
	v_add_nc_u32_e32 v66, v66, v74
	s_wait_dscnt 0x0
	global_store_b64 v66, v[64:65], s[46:47] scale_offset
	s_wait_xcnt 0x0
	s_or_b32 exec_lo, exec_lo, s17
	s_and_saveexec_b32 s17, s25
	s_cbranch_execz .LBB1422_557
.LBB1422_625:                           ;   in Loop: Header=BB1422_410 Depth=2
	v_dual_lshlrev_b32 v64, 2, v127 :: v_dual_add_nc_u32 v65, v92, v4
	ds_load_b32 v66, v64
	ds_load_b64 v[64:65], v65 offset:18944
	s_wait_dscnt 0x1
	v_add_nc_u32_e32 v66, v66, v75
	s_wait_dscnt 0x0
	global_store_b64 v66, v[64:65], s[46:47] scale_offset
	s_wait_xcnt 0x0
	s_or_b32 exec_lo, exec_lo, s17
	s_and_saveexec_b32 s17, s26
	s_cbranch_execz .LBB1422_558
.LBB1422_626:                           ;   in Loop: Header=BB1422_410 Depth=2
	v_dual_lshlrev_b32 v64, 2, v126 :: v_dual_add_nc_u32 v65, v92, v4
	ds_load_b32 v66, v64
	ds_load_b64 v[64:65], v65 offset:20992
	s_wait_dscnt 0x1
	v_add_nc_u32_e32 v66, v66, v76
	s_wait_dscnt 0x0
	global_store_b64 v66, v[64:65], s[46:47] scale_offset
	s_wait_xcnt 0x0
	s_or_b32 exec_lo, exec_lo, s17
	s_and_saveexec_b32 s17, s27
	s_cbranch_execz .LBB1422_559
.LBB1422_627:                           ;   in Loop: Header=BB1422_410 Depth=2
	v_dual_lshlrev_b32 v64, 2, v125 :: v_dual_add_nc_u32 v65, v92, v4
	ds_load_b32 v66, v64
	ds_load_b64 v[64:65], v65 offset:23040
	s_wait_dscnt 0x1
	v_add_nc_u32_e32 v66, v66, v77
	s_wait_dscnt 0x0
	global_store_b64 v66, v[64:65], s[46:47] scale_offset
	s_wait_xcnt 0x0
	s_or_b32 exec_lo, exec_lo, s17
	s_and_saveexec_b32 s17, s28
	s_cbranch_execz .LBB1422_560
.LBB1422_628:                           ;   in Loop: Header=BB1422_410 Depth=2
	v_lshlrev_b32_e32 v64, 2, v124
	v_add_nc_u32_e32 v65, v92, v4
	ds_load_b32 v66, v64
	ds_load_b64 v[64:65], v65 offset:25088
	s_wait_dscnt 0x1
	v_add_nc_u32_e32 v66, v66, v78
	s_wait_dscnt 0x0
	global_store_b64 v66, v[64:65], s[46:47] scale_offset
	s_wait_xcnt 0x0
	s_or_b32 exec_lo, exec_lo, s17
	s_and_saveexec_b32 s17, s29
	s_cbranch_execz .LBB1422_561
.LBB1422_629:                           ;   in Loop: Header=BB1422_410 Depth=2
	v_dual_lshlrev_b32 v64, 2, v123 :: v_dual_add_nc_u32 v65, v92, v4
	ds_load_b32 v66, v64
	ds_load_b64 v[64:65], v65 offset:27136
	s_wait_dscnt 0x1
	v_add_nc_u32_e32 v66, v66, v79
	s_wait_dscnt 0x0
	global_store_b64 v66, v[64:65], s[46:47] scale_offset
	s_wait_xcnt 0x0
	s_or_b32 exec_lo, exec_lo, s17
	s_and_saveexec_b32 s17, s30
	s_cbranch_execz .LBB1422_562
.LBB1422_630:                           ;   in Loop: Header=BB1422_410 Depth=2
	v_dual_lshlrev_b32 v64, 2, v122 :: v_dual_add_nc_u32 v65, v92, v4
	ds_load_b32 v66, v64
	ds_load_b64 v[64:65], v65 offset:29184
	s_wait_dscnt 0x1
	v_add_nc_u32_e32 v66, v66, v80
	s_wait_dscnt 0x0
	global_store_b64 v66, v[64:65], s[46:47] scale_offset
	s_wait_xcnt 0x0
	s_or_b32 exec_lo, exec_lo, s17
	s_and_saveexec_b32 s17, s31
	s_cbranch_execz .LBB1422_563
.LBB1422_631:                           ;   in Loop: Header=BB1422_410 Depth=2
	v_dual_lshlrev_b32 v64, 2, v121 :: v_dual_add_nc_u32 v65, v92, v4
	ds_load_b32 v66, v64
	ds_load_b64 v[64:65], v65 offset:31232
	s_wait_dscnt 0x1
	v_add_nc_u32_e32 v66, v66, v81
	s_wait_dscnt 0x0
	global_store_b64 v66, v[64:65], s[46:47] scale_offset
	s_wait_xcnt 0x0
	s_or_b32 exec_lo, exec_lo, s17
	s_and_saveexec_b32 s17, s33
	s_cbranch_execnz .LBB1422_564
	s_branch .LBB1422_565
.LBB1422_632:                           ;   in Loop: Header=BB1422_12 Depth=1
	s_wait_dscnt 0x0
	s_barrier_signal -1
	s_barrier_wait -1
.LBB1422_633:                           ;   in Loop: Header=BB1422_12 Depth=1
	s_mov_b32 s9, 0
.LBB1422_634:                           ;   in Loop: Header=BB1422_12 Depth=1
	s_delay_alu instid0(SALU_CYCLE_1)
	s_and_not1_b32 vcc_lo, exec_lo, s9
	s_cbranch_vccnz .LBB1422_11
; %bb.635:                              ;   in Loop: Header=BB1422_12 Depth=1
	s_and_b32 vcc_lo, exec_lo, s56
	s_mov_b32 s9, -1
	s_cbranch_vccz .LBB1422_945
; %bb.636:                              ;   in Loop: Header=BB1422_12 Depth=1
	s_mov_b32 s9, s57
	s_mov_b32 s42, s55
	s_barrier_signal -1
	s_barrier_wait -1
                                        ; implicit-def: $vgpr25
                                        ; implicit-def: $vgpr26
                                        ; implicit-def: $vgpr27
                                        ; implicit-def: $vgpr28
                                        ; implicit-def: $vgpr29
                                        ; implicit-def: $vgpr30
                                        ; implicit-def: $vgpr31
                                        ; implicit-def: $vgpr32
                                        ; implicit-def: $vgpr33
                                        ; implicit-def: $vgpr34
                                        ; implicit-def: $vgpr35
                                        ; implicit-def: $vgpr36
                                        ; implicit-def: $vgpr37
                                        ; implicit-def: $vgpr38
                                        ; implicit-def: $vgpr39
                                        ; implicit-def: $vgpr40
                                        ; implicit-def: $vgpr41
	s_branch .LBB1422_638
.LBB1422_637:                           ;   in Loop: Header=BB1422_638 Depth=2
	s_or_b32 exec_lo, exec_lo, s10
	s_addk_co_i32 s9, 0xef00
	s_cmp_ge_u32 s12, s54
	s_mov_b32 s42, s12
	s_cbranch_scc1 .LBB1422_710
.LBB1422_638:                           ;   Parent Loop BB1422_12 Depth=1
                                        ; =>  This Inner Loop Header: Depth=2
	s_add_co_i32 s12, s42, 0x1100
	s_mov_b32 s10, -1
	s_cmp_gt_u32 s12, s54
                                        ; implicit-def: $vgpr42
                                        ; implicit-def: $vgpr43
                                        ; implicit-def: $vgpr44
                                        ; implicit-def: $vgpr45
                                        ; implicit-def: $vgpr46
                                        ; implicit-def: $vgpr47
                                        ; implicit-def: $vgpr48
                                        ; implicit-def: $vgpr49
                                        ; implicit-def: $vgpr50
                                        ; implicit-def: $vgpr51
                                        ; implicit-def: $vgpr52
                                        ; implicit-def: $vgpr53
                                        ; implicit-def: $vgpr54
                                        ; implicit-def: $vgpr55
                                        ; implicit-def: $vgpr56
                                        ; implicit-def: $vgpr57
                                        ; implicit-def: $vgpr58
	s_cbranch_scc1 .LBB1422_640
; %bb.639:                              ;   in Loop: Header=BB1422_638 Depth=2
	v_lshl_add_u64 v[60:61], s[42:43], 2, v[22:23]
	s_mov_b32 s10, 0
	s_clause 0x10
	global_load_b32 v42, v[60:61], off
	global_load_b32 v43, v[60:61], off offset:1024
	global_load_b32 v44, v[60:61], off offset:2048
	;; [unrolled: 1-line block ×16, first 2 shown]
.LBB1422_640:                           ;   in Loop: Header=BB1422_638 Depth=2
	s_and_not1_b32 vcc_lo, exec_lo, s10
	s_movk_i32 s10, 0x1100
	s_cbranch_vccnz .LBB1422_660
; %bb.641:                              ;   in Loop: Header=BB1422_638 Depth=2
	s_lshl_b64 s[10:11], s[42:43], 2
	s_mov_b32 s13, exec_lo
	s_add_nc_u64 s[10:11], s[36:37], s[10:11]
	s_wait_xcnt 0x0
	v_cmpx_gt_u32_e64 s9, v2
	s_cbranch_execnz .LBB1422_694
; %bb.642:                              ;   in Loop: Header=BB1422_638 Depth=2
	s_or_b32 exec_lo, exec_lo, s13
	s_delay_alu instid0(SALU_CYCLE_1)
	s_mov_b32 s13, exec_lo
	v_cmpx_gt_u32_e64 s9, v3
	s_cbranch_execnz .LBB1422_695
.LBB1422_643:                           ;   in Loop: Header=BB1422_638 Depth=2
	s_or_b32 exec_lo, exec_lo, s13
	s_delay_alu instid0(SALU_CYCLE_1)
	s_mov_b32 s13, exec_lo
	v_cmpx_gt_u32_e64 s9, v68
	s_cbranch_execnz .LBB1422_696
.LBB1422_644:                           ;   in Loop: Header=BB1422_638 Depth=2
	s_or_b32 exec_lo, exec_lo, s13
	s_delay_alu instid0(SALU_CYCLE_1)
	s_mov_b32 s13, exec_lo
	v_cmpx_gt_u32_e64 s9, v69
	s_cbranch_execnz .LBB1422_697
.LBB1422_645:                           ;   in Loop: Header=BB1422_638 Depth=2
	s_or_b32 exec_lo, exec_lo, s13
	s_delay_alu instid0(SALU_CYCLE_1)
	s_mov_b32 s13, exec_lo
	v_cmpx_gt_u32_e64 s9, v70
	s_cbranch_execnz .LBB1422_698
.LBB1422_646:                           ;   in Loop: Header=BB1422_638 Depth=2
	s_or_b32 exec_lo, exec_lo, s13
	s_delay_alu instid0(SALU_CYCLE_1)
	s_mov_b32 s13, exec_lo
	v_cmpx_gt_u32_e64 s9, v71
	s_cbranch_execnz .LBB1422_699
.LBB1422_647:                           ;   in Loop: Header=BB1422_638 Depth=2
	s_or_b32 exec_lo, exec_lo, s13
	s_delay_alu instid0(SALU_CYCLE_1)
	s_mov_b32 s13, exec_lo
	v_cmpx_gt_u32_e64 s9, v72
	s_cbranch_execnz .LBB1422_700
.LBB1422_648:                           ;   in Loop: Header=BB1422_638 Depth=2
	s_or_b32 exec_lo, exec_lo, s13
	s_delay_alu instid0(SALU_CYCLE_1)
	s_mov_b32 s13, exec_lo
	v_cmpx_gt_u32_e64 s9, v73
	s_cbranch_execnz .LBB1422_701
.LBB1422_649:                           ;   in Loop: Header=BB1422_638 Depth=2
	s_or_b32 exec_lo, exec_lo, s13
	s_delay_alu instid0(SALU_CYCLE_1)
	s_mov_b32 s13, exec_lo
	v_cmpx_gt_u32_e64 s9, v74
	s_cbranch_execnz .LBB1422_702
.LBB1422_650:                           ;   in Loop: Header=BB1422_638 Depth=2
	s_or_b32 exec_lo, exec_lo, s13
	s_delay_alu instid0(SALU_CYCLE_1)
	s_mov_b32 s13, exec_lo
	v_cmpx_gt_u32_e64 s9, v75
	s_cbranch_execnz .LBB1422_703
.LBB1422_651:                           ;   in Loop: Header=BB1422_638 Depth=2
	s_or_b32 exec_lo, exec_lo, s13
	s_delay_alu instid0(SALU_CYCLE_1)
	s_mov_b32 s13, exec_lo
	v_cmpx_gt_u32_e64 s9, v76
	s_cbranch_execnz .LBB1422_704
.LBB1422_652:                           ;   in Loop: Header=BB1422_638 Depth=2
	s_or_b32 exec_lo, exec_lo, s13
	s_delay_alu instid0(SALU_CYCLE_1)
	s_mov_b32 s13, exec_lo
	v_cmpx_gt_u32_e64 s9, v77
	s_cbranch_execnz .LBB1422_705
.LBB1422_653:                           ;   in Loop: Header=BB1422_638 Depth=2
	s_or_b32 exec_lo, exec_lo, s13
	s_delay_alu instid0(SALU_CYCLE_1)
	s_mov_b32 s13, exec_lo
	v_cmpx_gt_u32_e64 s9, v78
	s_cbranch_execnz .LBB1422_706
.LBB1422_654:                           ;   in Loop: Header=BB1422_638 Depth=2
	s_or_b32 exec_lo, exec_lo, s13
	s_delay_alu instid0(SALU_CYCLE_1)
	s_mov_b32 s13, exec_lo
	v_cmpx_gt_u32_e64 s9, v79
	s_cbranch_execnz .LBB1422_707
.LBB1422_655:                           ;   in Loop: Header=BB1422_638 Depth=2
	s_or_b32 exec_lo, exec_lo, s13
	s_delay_alu instid0(SALU_CYCLE_1)
	s_mov_b32 s13, exec_lo
	v_cmpx_gt_u32_e64 s9, v80
	s_cbranch_execnz .LBB1422_708
.LBB1422_656:                           ;   in Loop: Header=BB1422_638 Depth=2
	s_or_b32 exec_lo, exec_lo, s13
	s_delay_alu instid0(SALU_CYCLE_1)
	s_mov_b32 s13, exec_lo
	v_cmpx_gt_u32_e64 s9, v81
	s_cbranch_execnz .LBB1422_709
.LBB1422_657:                           ;   in Loop: Header=BB1422_638 Depth=2
	s_or_b32 exec_lo, exec_lo, s13
	s_delay_alu instid0(SALU_CYCLE_1)
	s_mov_b32 s13, exec_lo
	v_cmpx_gt_u32_e64 s9, v82
	s_cbranch_execz .LBB1422_659
.LBB1422_658:                           ;   in Loop: Header=BB1422_638 Depth=2
	global_load_b32 v25, v2, s[10:11] offset:16384 scale_offset
.LBB1422_659:                           ;   in Loop: Header=BB1422_638 Depth=2
	s_wait_xcnt 0x0
	s_or_b32 exec_lo, exec_lo, s13
	s_wait_loadcnt 0x0
	v_dual_mov_b32 v42, v41 :: v_dual_mov_b32 v43, v40
	v_dual_mov_b32 v44, v39 :: v_dual_mov_b32 v45, v38
	;; [unrolled: 1-line block ×8, first 2 shown]
	v_mov_b32_e32 v58, v25
	s_mov_b32 s10, s9
.LBB1422_660:                           ;   in Loop: Header=BB1422_638 Depth=2
	s_wait_loadcnt 0x0
	s_delay_alu instid0(VALU_DEP_1)
	v_dual_mov_b32 v25, v58 :: v_dual_mov_b32 v26, v57
	v_dual_mov_b32 v27, v56 :: v_dual_mov_b32 v28, v55
	;; [unrolled: 1-line block ×8, first 2 shown]
	v_mov_b32_e32 v41, v42
	s_mov_b32 s11, exec_lo
	s_wait_xcnt 0x0
	v_cmpx_gt_u32_e64 s10, v2
	s_cbranch_execnz .LBB1422_677
; %bb.661:                              ;   in Loop: Header=BB1422_638 Depth=2
	s_or_b32 exec_lo, exec_lo, s11
	s_delay_alu instid0(SALU_CYCLE_1)
	s_mov_b32 s11, exec_lo
	v_cmpx_gt_u32_e64 s10, v3
	s_cbranch_execnz .LBB1422_678
.LBB1422_662:                           ;   in Loop: Header=BB1422_638 Depth=2
	s_or_b32 exec_lo, exec_lo, s11
	s_delay_alu instid0(SALU_CYCLE_1)
	s_mov_b32 s11, exec_lo
	v_cmpx_gt_u32_e64 s10, v68
	s_cbranch_execnz .LBB1422_679
.LBB1422_663:                           ;   in Loop: Header=BB1422_638 Depth=2
	s_or_b32 exec_lo, exec_lo, s11
	s_delay_alu instid0(SALU_CYCLE_1)
	s_mov_b32 s11, exec_lo
	v_cmpx_gt_u32_e64 s10, v69
	s_cbranch_execnz .LBB1422_680
.LBB1422_664:                           ;   in Loop: Header=BB1422_638 Depth=2
	s_or_b32 exec_lo, exec_lo, s11
	s_delay_alu instid0(SALU_CYCLE_1)
	s_mov_b32 s11, exec_lo
	v_cmpx_gt_u32_e64 s10, v70
	s_cbranch_execnz .LBB1422_681
.LBB1422_665:                           ;   in Loop: Header=BB1422_638 Depth=2
	s_or_b32 exec_lo, exec_lo, s11
	s_delay_alu instid0(SALU_CYCLE_1)
	s_mov_b32 s11, exec_lo
	v_cmpx_gt_u32_e64 s10, v71
	s_cbranch_execnz .LBB1422_682
.LBB1422_666:                           ;   in Loop: Header=BB1422_638 Depth=2
	s_or_b32 exec_lo, exec_lo, s11
	s_delay_alu instid0(SALU_CYCLE_1)
	s_mov_b32 s11, exec_lo
	v_cmpx_gt_u32_e64 s10, v72
	s_cbranch_execnz .LBB1422_683
.LBB1422_667:                           ;   in Loop: Header=BB1422_638 Depth=2
	s_or_b32 exec_lo, exec_lo, s11
	s_delay_alu instid0(SALU_CYCLE_1)
	s_mov_b32 s11, exec_lo
	v_cmpx_gt_u32_e64 s10, v73
	s_cbranch_execnz .LBB1422_684
.LBB1422_668:                           ;   in Loop: Header=BB1422_638 Depth=2
	s_or_b32 exec_lo, exec_lo, s11
	s_delay_alu instid0(SALU_CYCLE_1)
	s_mov_b32 s11, exec_lo
	v_cmpx_gt_u32_e64 s10, v74
	s_cbranch_execnz .LBB1422_685
.LBB1422_669:                           ;   in Loop: Header=BB1422_638 Depth=2
	s_or_b32 exec_lo, exec_lo, s11
	s_delay_alu instid0(SALU_CYCLE_1)
	s_mov_b32 s11, exec_lo
	v_cmpx_gt_u32_e64 s10, v75
	s_cbranch_execnz .LBB1422_686
.LBB1422_670:                           ;   in Loop: Header=BB1422_638 Depth=2
	s_or_b32 exec_lo, exec_lo, s11
	s_delay_alu instid0(SALU_CYCLE_1)
	s_mov_b32 s11, exec_lo
	v_cmpx_gt_u32_e64 s10, v76
	s_cbranch_execnz .LBB1422_687
.LBB1422_671:                           ;   in Loop: Header=BB1422_638 Depth=2
	s_or_b32 exec_lo, exec_lo, s11
	s_delay_alu instid0(SALU_CYCLE_1)
	s_mov_b32 s11, exec_lo
	v_cmpx_gt_u32_e64 s10, v77
	s_cbranch_execnz .LBB1422_688
.LBB1422_672:                           ;   in Loop: Header=BB1422_638 Depth=2
	s_or_b32 exec_lo, exec_lo, s11
	s_delay_alu instid0(SALU_CYCLE_1)
	s_mov_b32 s11, exec_lo
	v_cmpx_gt_u32_e64 s10, v78
	s_cbranch_execnz .LBB1422_689
.LBB1422_673:                           ;   in Loop: Header=BB1422_638 Depth=2
	s_or_b32 exec_lo, exec_lo, s11
	s_delay_alu instid0(SALU_CYCLE_1)
	s_mov_b32 s11, exec_lo
	v_cmpx_gt_u32_e64 s10, v79
	s_cbranch_execnz .LBB1422_690
.LBB1422_674:                           ;   in Loop: Header=BB1422_638 Depth=2
	s_or_b32 exec_lo, exec_lo, s11
	s_delay_alu instid0(SALU_CYCLE_1)
	s_mov_b32 s11, exec_lo
	v_cmpx_gt_u32_e64 s10, v80
	s_cbranch_execnz .LBB1422_691
.LBB1422_675:                           ;   in Loop: Header=BB1422_638 Depth=2
	s_or_b32 exec_lo, exec_lo, s11
	s_delay_alu instid0(SALU_CYCLE_1)
	s_mov_b32 s11, exec_lo
	v_cmpx_gt_u32_e64 s10, v81
	s_cbranch_execnz .LBB1422_692
.LBB1422_676:                           ;   in Loop: Header=BB1422_638 Depth=2
	s_or_b32 exec_lo, exec_lo, s11
	v_cmp_gt_u32_e32 vcc_lo, s10, v82
	s_and_saveexec_b32 s10, vcc_lo
	s_cbranch_execz .LBB1422_637
	s_branch .LBB1422_693
.LBB1422_677:                           ;   in Loop: Header=BB1422_638 Depth=2
	v_cmp_lt_i32_e32 vcc_lo, -1, v41
	v_cndmask_b32_e64 v42, -1, 0x80000000, vcc_lo
	s_delay_alu instid0(VALU_DEP_1) | instskip(NEXT) | instid1(VALU_DEP_1)
	v_xor_b32_e32 v42, v42, v41
	v_cmp_ne_u32_e32 vcc_lo, 0x7fffffff, v42
	v_cndmask_b32_e32 v42, 0x80000000, v42, vcc_lo
	s_delay_alu instid0(VALU_DEP_1) | instskip(NEXT) | instid1(VALU_DEP_1)
	v_lshrrev_b32_e32 v42, s49, v42
	v_and_b32_e32 v42, s58, v42
	s_delay_alu instid0(VALU_DEP_1) | instskip(SKIP_2) | instid1(SALU_CYCLE_1)
	v_lshl_or_b32 v42, v42, 4, v84
	ds_add_u32 v42, v96
	s_or_b32 exec_lo, exec_lo, s11
	s_mov_b32 s11, exec_lo
	v_cmpx_gt_u32_e64 s10, v3
	s_cbranch_execz .LBB1422_662
.LBB1422_678:                           ;   in Loop: Header=BB1422_638 Depth=2
	v_cmp_lt_i32_e32 vcc_lo, -1, v40
	v_cndmask_b32_e64 v42, -1, 0x80000000, vcc_lo
	s_delay_alu instid0(VALU_DEP_1) | instskip(NEXT) | instid1(VALU_DEP_1)
	v_xor_b32_e32 v42, v42, v40
	v_cmp_ne_u32_e32 vcc_lo, 0x7fffffff, v42
	v_cndmask_b32_e32 v42, 0x80000000, v42, vcc_lo
	s_delay_alu instid0(VALU_DEP_1) | instskip(NEXT) | instid1(VALU_DEP_1)
	v_lshrrev_b32_e32 v42, s49, v42
	v_and_b32_e32 v42, s58, v42
	s_delay_alu instid0(VALU_DEP_1) | instskip(SKIP_2) | instid1(SALU_CYCLE_1)
	v_lshl_or_b32 v42, v42, 4, v84
	ds_add_u32 v42, v96
	s_or_b32 exec_lo, exec_lo, s11
	s_mov_b32 s11, exec_lo
	v_cmpx_gt_u32_e64 s10, v68
	s_cbranch_execz .LBB1422_663
.LBB1422_679:                           ;   in Loop: Header=BB1422_638 Depth=2
	v_cmp_lt_i32_e32 vcc_lo, -1, v39
	v_cndmask_b32_e64 v42, -1, 0x80000000, vcc_lo
	s_delay_alu instid0(VALU_DEP_1) | instskip(NEXT) | instid1(VALU_DEP_1)
	v_xor_b32_e32 v42, v42, v39
	v_cmp_ne_u32_e32 vcc_lo, 0x7fffffff, v42
	v_cndmask_b32_e32 v42, 0x80000000, v42, vcc_lo
	s_delay_alu instid0(VALU_DEP_1) | instskip(NEXT) | instid1(VALU_DEP_1)
	v_lshrrev_b32_e32 v42, s49, v42
	v_and_b32_e32 v42, s58, v42
	s_delay_alu instid0(VALU_DEP_1) | instskip(SKIP_2) | instid1(SALU_CYCLE_1)
	v_lshl_or_b32 v42, v42, 4, v84
	ds_add_u32 v42, v96
	s_or_b32 exec_lo, exec_lo, s11
	s_mov_b32 s11, exec_lo
	v_cmpx_gt_u32_e64 s10, v69
	s_cbranch_execz .LBB1422_664
.LBB1422_680:                           ;   in Loop: Header=BB1422_638 Depth=2
	v_cmp_lt_i32_e32 vcc_lo, -1, v38
	v_cndmask_b32_e64 v42, -1, 0x80000000, vcc_lo
	s_delay_alu instid0(VALU_DEP_1) | instskip(NEXT) | instid1(VALU_DEP_1)
	v_xor_b32_e32 v42, v42, v38
	v_cmp_ne_u32_e32 vcc_lo, 0x7fffffff, v42
	v_cndmask_b32_e32 v42, 0x80000000, v42, vcc_lo
	s_delay_alu instid0(VALU_DEP_1) | instskip(NEXT) | instid1(VALU_DEP_1)
	v_lshrrev_b32_e32 v42, s49, v42
	v_and_b32_e32 v42, s58, v42
	s_delay_alu instid0(VALU_DEP_1) | instskip(SKIP_2) | instid1(SALU_CYCLE_1)
	v_lshl_or_b32 v42, v42, 4, v84
	ds_add_u32 v42, v96
	s_or_b32 exec_lo, exec_lo, s11
	s_mov_b32 s11, exec_lo
	v_cmpx_gt_u32_e64 s10, v70
	s_cbranch_execz .LBB1422_665
.LBB1422_681:                           ;   in Loop: Header=BB1422_638 Depth=2
	v_cmp_lt_i32_e32 vcc_lo, -1, v37
	v_cndmask_b32_e64 v42, -1, 0x80000000, vcc_lo
	s_delay_alu instid0(VALU_DEP_1) | instskip(NEXT) | instid1(VALU_DEP_1)
	v_xor_b32_e32 v42, v42, v37
	v_cmp_ne_u32_e32 vcc_lo, 0x7fffffff, v42
	v_cndmask_b32_e32 v42, 0x80000000, v42, vcc_lo
	s_delay_alu instid0(VALU_DEP_1) | instskip(NEXT) | instid1(VALU_DEP_1)
	v_lshrrev_b32_e32 v42, s49, v42
	v_and_b32_e32 v42, s58, v42
	s_delay_alu instid0(VALU_DEP_1) | instskip(SKIP_2) | instid1(SALU_CYCLE_1)
	v_lshl_or_b32 v42, v42, 4, v84
	ds_add_u32 v42, v96
	s_or_b32 exec_lo, exec_lo, s11
	s_mov_b32 s11, exec_lo
	v_cmpx_gt_u32_e64 s10, v71
	s_cbranch_execz .LBB1422_666
.LBB1422_682:                           ;   in Loop: Header=BB1422_638 Depth=2
	v_cmp_lt_i32_e32 vcc_lo, -1, v36
	v_cndmask_b32_e64 v42, -1, 0x80000000, vcc_lo
	s_delay_alu instid0(VALU_DEP_1) | instskip(NEXT) | instid1(VALU_DEP_1)
	v_xor_b32_e32 v42, v42, v36
	v_cmp_ne_u32_e32 vcc_lo, 0x7fffffff, v42
	v_cndmask_b32_e32 v42, 0x80000000, v42, vcc_lo
	s_delay_alu instid0(VALU_DEP_1) | instskip(NEXT) | instid1(VALU_DEP_1)
	v_lshrrev_b32_e32 v42, s49, v42
	v_and_b32_e32 v42, s58, v42
	s_delay_alu instid0(VALU_DEP_1) | instskip(SKIP_2) | instid1(SALU_CYCLE_1)
	v_lshl_or_b32 v42, v42, 4, v84
	ds_add_u32 v42, v96
	s_or_b32 exec_lo, exec_lo, s11
	s_mov_b32 s11, exec_lo
	v_cmpx_gt_u32_e64 s10, v72
	s_cbranch_execz .LBB1422_667
.LBB1422_683:                           ;   in Loop: Header=BB1422_638 Depth=2
	v_cmp_lt_i32_e32 vcc_lo, -1, v35
	v_cndmask_b32_e64 v42, -1, 0x80000000, vcc_lo
	s_delay_alu instid0(VALU_DEP_1) | instskip(NEXT) | instid1(VALU_DEP_1)
	v_xor_b32_e32 v42, v42, v35
	v_cmp_ne_u32_e32 vcc_lo, 0x7fffffff, v42
	v_cndmask_b32_e32 v42, 0x80000000, v42, vcc_lo
	s_delay_alu instid0(VALU_DEP_1) | instskip(NEXT) | instid1(VALU_DEP_1)
	v_lshrrev_b32_e32 v42, s49, v42
	v_and_b32_e32 v42, s58, v42
	s_delay_alu instid0(VALU_DEP_1) | instskip(SKIP_2) | instid1(SALU_CYCLE_1)
	v_lshl_or_b32 v42, v42, 4, v84
	ds_add_u32 v42, v96
	s_or_b32 exec_lo, exec_lo, s11
	s_mov_b32 s11, exec_lo
	v_cmpx_gt_u32_e64 s10, v73
	s_cbranch_execz .LBB1422_668
.LBB1422_684:                           ;   in Loop: Header=BB1422_638 Depth=2
	v_cmp_lt_i32_e32 vcc_lo, -1, v34
	v_cndmask_b32_e64 v42, -1, 0x80000000, vcc_lo
	s_delay_alu instid0(VALU_DEP_1) | instskip(NEXT) | instid1(VALU_DEP_1)
	v_xor_b32_e32 v42, v42, v34
	v_cmp_ne_u32_e32 vcc_lo, 0x7fffffff, v42
	v_cndmask_b32_e32 v42, 0x80000000, v42, vcc_lo
	s_delay_alu instid0(VALU_DEP_1) | instskip(NEXT) | instid1(VALU_DEP_1)
	v_lshrrev_b32_e32 v42, s49, v42
	v_and_b32_e32 v42, s58, v42
	s_delay_alu instid0(VALU_DEP_1) | instskip(SKIP_2) | instid1(SALU_CYCLE_1)
	v_lshl_or_b32 v42, v42, 4, v84
	ds_add_u32 v42, v96
	s_or_b32 exec_lo, exec_lo, s11
	s_mov_b32 s11, exec_lo
	v_cmpx_gt_u32_e64 s10, v74
	s_cbranch_execz .LBB1422_669
.LBB1422_685:                           ;   in Loop: Header=BB1422_638 Depth=2
	v_cmp_lt_i32_e32 vcc_lo, -1, v33
	v_cndmask_b32_e64 v42, -1, 0x80000000, vcc_lo
	s_delay_alu instid0(VALU_DEP_1) | instskip(NEXT) | instid1(VALU_DEP_1)
	v_xor_b32_e32 v42, v42, v33
	v_cmp_ne_u32_e32 vcc_lo, 0x7fffffff, v42
	v_cndmask_b32_e32 v42, 0x80000000, v42, vcc_lo
	s_delay_alu instid0(VALU_DEP_1) | instskip(NEXT) | instid1(VALU_DEP_1)
	v_lshrrev_b32_e32 v42, s49, v42
	v_and_b32_e32 v42, s58, v42
	s_delay_alu instid0(VALU_DEP_1) | instskip(SKIP_2) | instid1(SALU_CYCLE_1)
	v_lshl_or_b32 v42, v42, 4, v84
	ds_add_u32 v42, v96
	s_or_b32 exec_lo, exec_lo, s11
	s_mov_b32 s11, exec_lo
	v_cmpx_gt_u32_e64 s10, v75
	s_cbranch_execz .LBB1422_670
.LBB1422_686:                           ;   in Loop: Header=BB1422_638 Depth=2
	v_cmp_lt_i32_e32 vcc_lo, -1, v32
	v_cndmask_b32_e64 v42, -1, 0x80000000, vcc_lo
	s_delay_alu instid0(VALU_DEP_1) | instskip(NEXT) | instid1(VALU_DEP_1)
	v_xor_b32_e32 v42, v42, v32
	v_cmp_ne_u32_e32 vcc_lo, 0x7fffffff, v42
	v_cndmask_b32_e32 v42, 0x80000000, v42, vcc_lo
	s_delay_alu instid0(VALU_DEP_1) | instskip(NEXT) | instid1(VALU_DEP_1)
	v_lshrrev_b32_e32 v42, s49, v42
	v_and_b32_e32 v42, s58, v42
	s_delay_alu instid0(VALU_DEP_1) | instskip(SKIP_2) | instid1(SALU_CYCLE_1)
	v_lshl_or_b32 v42, v42, 4, v84
	ds_add_u32 v42, v96
	s_or_b32 exec_lo, exec_lo, s11
	s_mov_b32 s11, exec_lo
	v_cmpx_gt_u32_e64 s10, v76
	s_cbranch_execz .LBB1422_671
.LBB1422_687:                           ;   in Loop: Header=BB1422_638 Depth=2
	v_cmp_lt_i32_e32 vcc_lo, -1, v31
	v_cndmask_b32_e64 v42, -1, 0x80000000, vcc_lo
	s_delay_alu instid0(VALU_DEP_1) | instskip(NEXT) | instid1(VALU_DEP_1)
	v_xor_b32_e32 v42, v42, v31
	v_cmp_ne_u32_e32 vcc_lo, 0x7fffffff, v42
	v_cndmask_b32_e32 v42, 0x80000000, v42, vcc_lo
	s_delay_alu instid0(VALU_DEP_1) | instskip(NEXT) | instid1(VALU_DEP_1)
	v_lshrrev_b32_e32 v42, s49, v42
	v_and_b32_e32 v42, s58, v42
	s_delay_alu instid0(VALU_DEP_1) | instskip(SKIP_2) | instid1(SALU_CYCLE_1)
	v_lshl_or_b32 v42, v42, 4, v84
	ds_add_u32 v42, v96
	s_or_b32 exec_lo, exec_lo, s11
	s_mov_b32 s11, exec_lo
	v_cmpx_gt_u32_e64 s10, v77
	s_cbranch_execz .LBB1422_672
.LBB1422_688:                           ;   in Loop: Header=BB1422_638 Depth=2
	v_cmp_lt_i32_e32 vcc_lo, -1, v30
	v_cndmask_b32_e64 v42, -1, 0x80000000, vcc_lo
	s_delay_alu instid0(VALU_DEP_1) | instskip(NEXT) | instid1(VALU_DEP_1)
	v_xor_b32_e32 v42, v42, v30
	v_cmp_ne_u32_e32 vcc_lo, 0x7fffffff, v42
	v_cndmask_b32_e32 v42, 0x80000000, v42, vcc_lo
	s_delay_alu instid0(VALU_DEP_1) | instskip(NEXT) | instid1(VALU_DEP_1)
	v_lshrrev_b32_e32 v42, s49, v42
	v_and_b32_e32 v42, s58, v42
	s_delay_alu instid0(VALU_DEP_1) | instskip(SKIP_2) | instid1(SALU_CYCLE_1)
	v_lshl_or_b32 v42, v42, 4, v84
	ds_add_u32 v42, v96
	s_or_b32 exec_lo, exec_lo, s11
	s_mov_b32 s11, exec_lo
	v_cmpx_gt_u32_e64 s10, v78
	s_cbranch_execz .LBB1422_673
.LBB1422_689:                           ;   in Loop: Header=BB1422_638 Depth=2
	v_cmp_lt_i32_e32 vcc_lo, -1, v29
	v_cndmask_b32_e64 v42, -1, 0x80000000, vcc_lo
	s_delay_alu instid0(VALU_DEP_1) | instskip(NEXT) | instid1(VALU_DEP_1)
	v_xor_b32_e32 v42, v42, v29
	v_cmp_ne_u32_e32 vcc_lo, 0x7fffffff, v42
	v_cndmask_b32_e32 v42, 0x80000000, v42, vcc_lo
	s_delay_alu instid0(VALU_DEP_1) | instskip(NEXT) | instid1(VALU_DEP_1)
	v_lshrrev_b32_e32 v42, s49, v42
	v_and_b32_e32 v42, s58, v42
	s_delay_alu instid0(VALU_DEP_1) | instskip(SKIP_2) | instid1(SALU_CYCLE_1)
	v_lshl_or_b32 v42, v42, 4, v84
	ds_add_u32 v42, v96
	s_or_b32 exec_lo, exec_lo, s11
	s_mov_b32 s11, exec_lo
	v_cmpx_gt_u32_e64 s10, v79
	s_cbranch_execz .LBB1422_674
.LBB1422_690:                           ;   in Loop: Header=BB1422_638 Depth=2
	v_cmp_lt_i32_e32 vcc_lo, -1, v28
	v_cndmask_b32_e64 v42, -1, 0x80000000, vcc_lo
	s_delay_alu instid0(VALU_DEP_1) | instskip(NEXT) | instid1(VALU_DEP_1)
	v_xor_b32_e32 v42, v42, v28
	v_cmp_ne_u32_e32 vcc_lo, 0x7fffffff, v42
	v_cndmask_b32_e32 v42, 0x80000000, v42, vcc_lo
	s_delay_alu instid0(VALU_DEP_1) | instskip(NEXT) | instid1(VALU_DEP_1)
	v_lshrrev_b32_e32 v42, s49, v42
	v_and_b32_e32 v42, s58, v42
	s_delay_alu instid0(VALU_DEP_1) | instskip(SKIP_2) | instid1(SALU_CYCLE_1)
	v_lshl_or_b32 v42, v42, 4, v84
	ds_add_u32 v42, v96
	s_or_b32 exec_lo, exec_lo, s11
	s_mov_b32 s11, exec_lo
	v_cmpx_gt_u32_e64 s10, v80
	s_cbranch_execz .LBB1422_675
.LBB1422_691:                           ;   in Loop: Header=BB1422_638 Depth=2
	v_cmp_lt_i32_e32 vcc_lo, -1, v27
	v_cndmask_b32_e64 v42, -1, 0x80000000, vcc_lo
	s_delay_alu instid0(VALU_DEP_1) | instskip(NEXT) | instid1(VALU_DEP_1)
	v_xor_b32_e32 v42, v42, v27
	v_cmp_ne_u32_e32 vcc_lo, 0x7fffffff, v42
	v_cndmask_b32_e32 v42, 0x80000000, v42, vcc_lo
	s_delay_alu instid0(VALU_DEP_1) | instskip(NEXT) | instid1(VALU_DEP_1)
	v_lshrrev_b32_e32 v42, s49, v42
	v_and_b32_e32 v42, s58, v42
	s_delay_alu instid0(VALU_DEP_1) | instskip(SKIP_2) | instid1(SALU_CYCLE_1)
	v_lshl_or_b32 v42, v42, 4, v84
	ds_add_u32 v42, v96
	s_or_b32 exec_lo, exec_lo, s11
	s_mov_b32 s11, exec_lo
	v_cmpx_gt_u32_e64 s10, v81
	s_cbranch_execz .LBB1422_676
.LBB1422_692:                           ;   in Loop: Header=BB1422_638 Depth=2
	v_cmp_lt_i32_e32 vcc_lo, -1, v26
	v_cndmask_b32_e64 v42, -1, 0x80000000, vcc_lo
	s_delay_alu instid0(VALU_DEP_1) | instskip(NEXT) | instid1(VALU_DEP_1)
	v_xor_b32_e32 v42, v42, v26
	v_cmp_ne_u32_e32 vcc_lo, 0x7fffffff, v42
	v_cndmask_b32_e32 v42, 0x80000000, v42, vcc_lo
	s_delay_alu instid0(VALU_DEP_1) | instskip(NEXT) | instid1(VALU_DEP_1)
	v_lshrrev_b32_e32 v42, s49, v42
	v_and_b32_e32 v42, s58, v42
	s_delay_alu instid0(VALU_DEP_1)
	v_lshl_or_b32 v42, v42, 4, v84
	ds_add_u32 v42, v96
	s_or_b32 exec_lo, exec_lo, s11
	v_cmp_gt_u32_e32 vcc_lo, s10, v82
	s_and_saveexec_b32 s10, vcc_lo
	s_cbranch_execz .LBB1422_637
.LBB1422_693:                           ;   in Loop: Header=BB1422_638 Depth=2
	v_cmp_lt_i32_e32 vcc_lo, -1, v25
	v_cndmask_b32_e64 v42, -1, 0x80000000, vcc_lo
	s_delay_alu instid0(VALU_DEP_1) | instskip(NEXT) | instid1(VALU_DEP_1)
	v_xor_b32_e32 v42, v42, v25
	v_cmp_ne_u32_e32 vcc_lo, 0x7fffffff, v42
	v_cndmask_b32_e32 v42, 0x80000000, v42, vcc_lo
	s_delay_alu instid0(VALU_DEP_1) | instskip(NEXT) | instid1(VALU_DEP_1)
	v_lshrrev_b32_e32 v42, s49, v42
	v_and_b32_e32 v42, s58, v42
	s_delay_alu instid0(VALU_DEP_1)
	v_lshl_or_b32 v42, v42, 4, v84
	ds_add_u32 v42, v96
	s_branch .LBB1422_637
.LBB1422_694:                           ;   in Loop: Header=BB1422_638 Depth=2
	global_load_b32 v41, v2, s[10:11] scale_offset
	s_wait_xcnt 0x0
	s_or_b32 exec_lo, exec_lo, s13
	s_delay_alu instid0(SALU_CYCLE_1)
	s_mov_b32 s13, exec_lo
	v_cmpx_gt_u32_e64 s9, v3
	s_cbranch_execz .LBB1422_643
.LBB1422_695:                           ;   in Loop: Header=BB1422_638 Depth=2
	global_load_b32 v40, v2, s[10:11] offset:1024 scale_offset
	s_wait_xcnt 0x0
	s_or_b32 exec_lo, exec_lo, s13
	s_delay_alu instid0(SALU_CYCLE_1)
	s_mov_b32 s13, exec_lo
	v_cmpx_gt_u32_e64 s9, v68
	s_cbranch_execz .LBB1422_644
.LBB1422_696:                           ;   in Loop: Header=BB1422_638 Depth=2
	global_load_b32 v39, v2, s[10:11] offset:2048 scale_offset
	s_wait_xcnt 0x0
	s_or_b32 exec_lo, exec_lo, s13
	s_delay_alu instid0(SALU_CYCLE_1)
	s_mov_b32 s13, exec_lo
	v_cmpx_gt_u32_e64 s9, v69
	s_cbranch_execz .LBB1422_645
.LBB1422_697:                           ;   in Loop: Header=BB1422_638 Depth=2
	global_load_b32 v38, v2, s[10:11] offset:3072 scale_offset
	s_wait_xcnt 0x0
	s_or_b32 exec_lo, exec_lo, s13
	s_delay_alu instid0(SALU_CYCLE_1)
	s_mov_b32 s13, exec_lo
	v_cmpx_gt_u32_e64 s9, v70
	s_cbranch_execz .LBB1422_646
.LBB1422_698:                           ;   in Loop: Header=BB1422_638 Depth=2
	global_load_b32 v37, v2, s[10:11] offset:4096 scale_offset
	s_wait_xcnt 0x0
	s_or_b32 exec_lo, exec_lo, s13
	s_delay_alu instid0(SALU_CYCLE_1)
	s_mov_b32 s13, exec_lo
	v_cmpx_gt_u32_e64 s9, v71
	s_cbranch_execz .LBB1422_647
.LBB1422_699:                           ;   in Loop: Header=BB1422_638 Depth=2
	global_load_b32 v36, v2, s[10:11] offset:5120 scale_offset
	s_wait_xcnt 0x0
	s_or_b32 exec_lo, exec_lo, s13
	s_delay_alu instid0(SALU_CYCLE_1)
	s_mov_b32 s13, exec_lo
	v_cmpx_gt_u32_e64 s9, v72
	s_cbranch_execz .LBB1422_648
.LBB1422_700:                           ;   in Loop: Header=BB1422_638 Depth=2
	global_load_b32 v35, v2, s[10:11] offset:6144 scale_offset
	s_wait_xcnt 0x0
	s_or_b32 exec_lo, exec_lo, s13
	s_delay_alu instid0(SALU_CYCLE_1)
	s_mov_b32 s13, exec_lo
	v_cmpx_gt_u32_e64 s9, v73
	s_cbranch_execz .LBB1422_649
.LBB1422_701:                           ;   in Loop: Header=BB1422_638 Depth=2
	global_load_b32 v34, v2, s[10:11] offset:7168 scale_offset
	s_wait_xcnt 0x0
	s_or_b32 exec_lo, exec_lo, s13
	s_delay_alu instid0(SALU_CYCLE_1)
	s_mov_b32 s13, exec_lo
	v_cmpx_gt_u32_e64 s9, v74
	s_cbranch_execz .LBB1422_650
.LBB1422_702:                           ;   in Loop: Header=BB1422_638 Depth=2
	global_load_b32 v33, v2, s[10:11] offset:8192 scale_offset
	s_wait_xcnt 0x0
	s_or_b32 exec_lo, exec_lo, s13
	s_delay_alu instid0(SALU_CYCLE_1)
	s_mov_b32 s13, exec_lo
	v_cmpx_gt_u32_e64 s9, v75
	s_cbranch_execz .LBB1422_651
.LBB1422_703:                           ;   in Loop: Header=BB1422_638 Depth=2
	global_load_b32 v32, v2, s[10:11] offset:9216 scale_offset
	s_wait_xcnt 0x0
	s_or_b32 exec_lo, exec_lo, s13
	s_delay_alu instid0(SALU_CYCLE_1)
	s_mov_b32 s13, exec_lo
	v_cmpx_gt_u32_e64 s9, v76
	s_cbranch_execz .LBB1422_652
.LBB1422_704:                           ;   in Loop: Header=BB1422_638 Depth=2
	global_load_b32 v31, v2, s[10:11] offset:10240 scale_offset
	s_wait_xcnt 0x0
	s_or_b32 exec_lo, exec_lo, s13
	s_delay_alu instid0(SALU_CYCLE_1)
	s_mov_b32 s13, exec_lo
	v_cmpx_gt_u32_e64 s9, v77
	s_cbranch_execz .LBB1422_653
.LBB1422_705:                           ;   in Loop: Header=BB1422_638 Depth=2
	global_load_b32 v30, v2, s[10:11] offset:11264 scale_offset
	s_wait_xcnt 0x0
	s_or_b32 exec_lo, exec_lo, s13
	s_delay_alu instid0(SALU_CYCLE_1)
	s_mov_b32 s13, exec_lo
	v_cmpx_gt_u32_e64 s9, v78
	s_cbranch_execz .LBB1422_654
.LBB1422_706:                           ;   in Loop: Header=BB1422_638 Depth=2
	global_load_b32 v29, v2, s[10:11] offset:12288 scale_offset
	s_wait_xcnt 0x0
	s_or_b32 exec_lo, exec_lo, s13
	s_delay_alu instid0(SALU_CYCLE_1)
	s_mov_b32 s13, exec_lo
	v_cmpx_gt_u32_e64 s9, v79
	s_cbranch_execz .LBB1422_655
.LBB1422_707:                           ;   in Loop: Header=BB1422_638 Depth=2
	global_load_b32 v28, v2, s[10:11] offset:13312 scale_offset
	s_wait_xcnt 0x0
	s_or_b32 exec_lo, exec_lo, s13
	s_delay_alu instid0(SALU_CYCLE_1)
	s_mov_b32 s13, exec_lo
	v_cmpx_gt_u32_e64 s9, v80
	s_cbranch_execz .LBB1422_656
.LBB1422_708:                           ;   in Loop: Header=BB1422_638 Depth=2
	global_load_b32 v27, v2, s[10:11] offset:14336 scale_offset
	s_wait_xcnt 0x0
	s_or_b32 exec_lo, exec_lo, s13
	s_delay_alu instid0(SALU_CYCLE_1)
	s_mov_b32 s13, exec_lo
	v_cmpx_gt_u32_e64 s9, v81
	s_cbranch_execz .LBB1422_657
.LBB1422_709:                           ;   in Loop: Header=BB1422_638 Depth=2
	global_load_b32 v26, v2, s[10:11] offset:15360 scale_offset
	s_wait_xcnt 0x0
	s_or_b32 exec_lo, exec_lo, s13
	s_delay_alu instid0(SALU_CYCLE_1)
	s_mov_b32 s13, exec_lo
	v_cmpx_gt_u32_e64 s9, v82
	s_cbranch_execnz .LBB1422_658
	s_branch .LBB1422_659
.LBB1422_710:                           ;   in Loop: Header=BB1422_12 Depth=1
	v_mov_b32_e32 v25, 0
	s_wait_dscnt 0x0
	s_barrier_signal -1
	s_barrier_wait -1
	s_and_saveexec_b32 s9, s0
	s_cbranch_execz .LBB1422_712
; %bb.711:                              ;   in Loop: Header=BB1422_12 Depth=1
	ds_load_2addr_b64 v[26:29], v85 offset1:1
	s_wait_dscnt 0x0
	v_add_nc_u32_e32 v25, v27, v26
	s_delay_alu instid0(VALU_DEP_1)
	v_add3_u32 v25, v25, v28, v29
.LBB1422_712:                           ;   in Loop: Header=BB1422_12 Depth=1
	s_or_b32 exec_lo, exec_lo, s9
	s_delay_alu instid0(VALU_DEP_1)
	v_mov_b32_dpp v26, v25 row_shr:1 row_mask:0xf bank_mask:0xf
	v_cmp_eq_u32_e64 s9, 0, v97
	v_cmp_lt_u32_e64 s10, 1, v97
	v_cmp_lt_u32_e64 s11, 3, v97
	;; [unrolled: 1-line block ×3, first 2 shown]
	v_cmp_eq_u32_e64 s13, 0, v99
	v_cndmask_b32_e64 v26, v26, 0, s9
	s_delay_alu instid0(VALU_DEP_1) | instskip(NEXT) | instid1(VALU_DEP_1)
	v_add_nc_u32_e32 v25, v26, v25
	v_mov_b32_dpp v26, v25 row_shr:2 row_mask:0xf bank_mask:0xf
	s_delay_alu instid0(VALU_DEP_1) | instskip(NEXT) | instid1(VALU_DEP_1)
	v_cndmask_b32_e64 v26, 0, v26, s10
	v_add_nc_u32_e32 v25, v25, v26
	s_delay_alu instid0(VALU_DEP_1) | instskip(NEXT) | instid1(VALU_DEP_1)
	v_mov_b32_dpp v26, v25 row_shr:4 row_mask:0xf bank_mask:0xf
	v_cndmask_b32_e64 v26, 0, v26, s11
	s_delay_alu instid0(VALU_DEP_1) | instskip(NEXT) | instid1(VALU_DEP_1)
	v_add_nc_u32_e32 v25, v25, v26
	v_mov_b32_dpp v26, v25 row_shr:8 row_mask:0xf bank_mask:0xf
	s_delay_alu instid0(VALU_DEP_1) | instskip(NEXT) | instid1(VALU_DEP_1)
	v_cndmask_b32_e64 v26, 0, v26, s12
	v_add_nc_u32_e32 v25, v25, v26
	ds_swizzle_b32 v26, v25 offset:swizzle(BROADCAST,32,15)
	s_wait_dscnt 0x0
	v_and_b32_e32 v26, v98, v26
	s_delay_alu instid0(VALU_DEP_1)
	v_add_nc_u32_e32 v25, v25, v26
	s_and_saveexec_b32 s14, s1
; %bb.713:                              ;   in Loop: Header=BB1422_12 Depth=1
	ds_store_b32 v86, v25
; %bb.714:                              ;   in Loop: Header=BB1422_12 Depth=1
	s_or_b32 exec_lo, exec_lo, s14
	s_wait_dscnt 0x0
	s_barrier_signal -1
	s_barrier_wait -1
	s_and_saveexec_b32 s14, s4
	s_cbranch_execz .LBB1422_716
; %bb.715:                              ;   in Loop: Header=BB1422_12 Depth=1
	ds_load_b32 v26, v87
	v_cmp_ne_u32_e32 vcc_lo, 0, v100
	s_wait_dscnt 0x0
	v_mov_b32_dpp v27, v26 row_shr:1 row_mask:0xf bank_mask:0xf
	s_delay_alu instid0(VALU_DEP_1) | instskip(SKIP_1) | instid1(VALU_DEP_2)
	v_cndmask_b32_e32 v27, 0, v27, vcc_lo
	v_cmp_lt_u32_e32 vcc_lo, 1, v100
	v_add_nc_u32_e32 v26, v27, v26
	s_delay_alu instid0(VALU_DEP_1) | instskip(NEXT) | instid1(VALU_DEP_1)
	v_mov_b32_dpp v27, v26 row_shr:2 row_mask:0xf bank_mask:0xf
	v_cndmask_b32_e32 v27, 0, v27, vcc_lo
	s_delay_alu instid0(VALU_DEP_1)
	v_add_nc_u32_e32 v26, v26, v27
	ds_store_b32 v87, v26
.LBB1422_716:                           ;   in Loop: Header=BB1422_12 Depth=1
	s_or_b32 exec_lo, exec_lo, s14
	v_mov_b32_e32 v26, 0
	s_wait_dscnt 0x0
	s_barrier_signal -1
	s_barrier_wait -1
	s_and_saveexec_b32 s14, s5
; %bb.717:                              ;   in Loop: Header=BB1422_12 Depth=1
	ds_load_b32 v26, v88
; %bb.718:                              ;   in Loop: Header=BB1422_12 Depth=1
	s_or_b32 exec_lo, exec_lo, s14
	v_cmp_gt_i32_e32 vcc_lo, 0, v102
	s_wait_dscnt 0x0
	s_barrier_signal -1
	s_barrier_wait -1
	v_cndmask_b32_e32 v27, v102, v95, vcc_lo
	s_delay_alu instid0(VALU_DEP_1)
	v_dual_add_nc_u32 v25, v26, v25 :: v_dual_lshlrev_b32 v119, 2, v27
	ds_bpermute_b32 v25, v119, v25
	s_and_saveexec_b32 s14, s0
	s_cbranch_execz .LBB1422_720
; %bb.719:                              ;   in Loop: Header=BB1422_12 Depth=1
	s_wait_dscnt 0x0
	v_cndmask_b32_e64 v25, v25, v26, s8
	s_delay_alu instid0(VALU_DEP_1)
	v_add_nc_u32_e32 v25, s55, v25
	ds_store_b32 v4, v25
.LBB1422_720:                           ;   in Loop: Header=BB1422_12 Depth=1
	s_or_b32 exec_lo, exec_lo, s14
	s_load_b64 s[14:15], s[52:53], 0x0
	s_mov_b32 s59, s57
                                        ; implicit-def: $vgpr32_vgpr33
                                        ; implicit-def: $vgpr34_vgpr35
                                        ; implicit-def: $vgpr36_vgpr37
                                        ; implicit-def: $vgpr38_vgpr39
                                        ; implicit-def: $vgpr40_vgpr41
                                        ; implicit-def: $vgpr42_vgpr43
                                        ; implicit-def: $vgpr44_vgpr45
                                        ; implicit-def: $vgpr46_vgpr47
                                        ; implicit-def: $vgpr48_vgpr49
                                        ; implicit-def: $vgpr50_vgpr51
                                        ; implicit-def: $vgpr52_vgpr53
                                        ; implicit-def: $vgpr54_vgpr55
                                        ; implicit-def: $vgpr56_vgpr57
                                        ; implicit-def: $vgpr58_vgpr59
                                        ; implicit-def: $vgpr60_vgpr61
                                        ; implicit-def: $vgpr62_vgpr63
                                        ; implicit-def: $vgpr120
                                        ; implicit-def: $vgpr121
                                        ; implicit-def: $vgpr122
                                        ; implicit-def: $vgpr123
                                        ; implicit-def: $vgpr124
                                        ; implicit-def: $vgpr125
                                        ; implicit-def: $vgpr126
                                        ; implicit-def: $vgpr127
                                        ; implicit-def: $vgpr128
                                        ; implicit-def: $vgpr129
                                        ; implicit-def: $vgpr130
                                        ; implicit-def: $vgpr131
                                        ; implicit-def: $vgpr132
                                        ; implicit-def: $vgpr134
                                        ; implicit-def: $vgpr135
                                        ; implicit-def: $vgpr136
                                        ; implicit-def: $vgpr137
                                        ; implicit-def: $vgpr133
                                        ; implicit-def: $vgpr138
	s_wait_kmcnt 0x0
	s_cmp_lt_u32 s51, s14
	s_cselect_b32 s42, 12, 18
	s_cmp_lt_u32 s35, s15
	s_mov_b32 s15, s43
	s_cselect_b32 s14, 14, 20
	s_delay_alu instid0(SALU_CYCLE_1)
	s_add_nc_u64 s[14:15], s[52:53], s[14:15]
	s_load_u16 s16, s[14:15], 0x0
	s_wait_xcnt 0x0
	s_add_nc_u64 s[14:15], s[52:53], s[42:43]
	s_mov_b32 s42, s55
	s_load_u16 s14, s[14:15], 0x0
	s_wait_xcnt 0x0
	v_cmp_lt_u32_e64 s15, 1, v103
	s_wait_dscnt 0x0
	s_wait_kmcnt 0x0
	v_mad_u32_u24 v25, v89, s16, v91
	v_cmp_lt_u32_e64 s16, 3, v103
	s_delay_alu instid0(VALU_DEP_2) | instskip(SKIP_2) | instid1(VALU_DEP_3)
	v_mad_u32 v26, v25, s14, v2
	v_mov_b32_e32 v25, v1
	v_cmp_eq_u32_e64 s14, 0, v103
	v_lshrrev_b32_e32 v30, 3, v26
	v_add_nc_u64_e32 v[26:27], v[14:15], v[0:1]
	s_delay_alu instid0(VALU_DEP_4) | instskip(NEXT) | instid1(VALU_DEP_3)
	v_add_nc_u64_e32 v[28:29], v[16:17], v[24:25]
	v_and_b32_e32 v25, 0x1ffffffc, v30
                                        ; implicit-def: $vgpr30_vgpr31
	s_branch .LBB1422_722
.LBB1422_721:                           ;   in Loop: Header=BB1422_722 Depth=2
	s_or_b32 exec_lo, exec_lo, s17
	s_addk_co_i32 s59, 0xef00
	s_cmp_lt_u32 s60, s54
	s_mov_b32 s42, s60
	s_cbranch_scc0 .LBB1422_944
.LBB1422_722:                           ;   Parent Loop BB1422_12 Depth=1
                                        ; =>  This Inner Loop Header: Depth=2
	s_add_co_i32 s60, s42, 0x1100
	s_delay_alu instid0(SALU_CYCLE_1)
	s_cmp_gt_u32 s60, s54
	s_cbranch_scc1 .LBB1422_724
; %bb.723:                              ;   in Loop: Header=BB1422_722 Depth=2
	s_delay_alu instid0(VALU_DEP_2)
	v_lshl_add_u64 v[64:65], s[42:43], 2, v[28:29]
	s_mov_b32 s17, -1
	s_clause 0xf
	global_load_b32 v140, v[64:65], off
	global_load_b32 v142, v[64:65], off offset:128
	global_load_b32 v144, v[64:65], off offset:256
	global_load_b32 v148, v[64:65], off offset:384
	global_load_b32 v153, v[64:65], off offset:512
	global_load_b32 v158, v[64:65], off offset:640
	global_load_b32 v163, v[64:65], off offset:768
	global_load_b32 v168, v[64:65], off offset:896
	global_load_b32 v173, v[64:65], off offset:1024
	global_load_b32 v171, v[64:65], off offset:1152
	global_load_b32 v166, v[64:65], off offset:1280
	global_load_b32 v161, v[64:65], off offset:1408
	global_load_b32 v157, v[64:65], off offset:1536
	global_load_b32 v152, v[64:65], off offset:1664
	global_load_b32 v67, v[64:65], off offset:1792
	global_load_b32 v66, v[64:65], off offset:1920
	s_movk_i32 s18, 0x1100
	s_cbranch_execz .LBB1422_725
	s_branch .LBB1422_758
.LBB1422_724:                           ;   in Loop: Header=BB1422_722 Depth=2
	s_mov_b32 s17, 0
                                        ; implicit-def: $vgpr140
                                        ; implicit-def: $vgpr142
                                        ; implicit-def: $vgpr144
                                        ; implicit-def: $vgpr148
                                        ; implicit-def: $vgpr153
                                        ; implicit-def: $vgpr158
                                        ; implicit-def: $vgpr163
                                        ; implicit-def: $vgpr168
                                        ; implicit-def: $vgpr173
                                        ; implicit-def: $vgpr171
                                        ; implicit-def: $vgpr166
                                        ; implicit-def: $vgpr161
                                        ; implicit-def: $vgpr157
                                        ; implicit-def: $vgpr152
                                        ; implicit-def: $vgpr67
                                        ; implicit-def: $vgpr66
	s_movk_i32 s18, 0x1100
.LBB1422_725:                           ;   in Loop: Header=BB1422_722 Depth=2
	s_wait_xcnt 0x0
	v_lshl_add_u64 v[64:65], s[42:43], 2, v[28:29]
	s_wait_loadcnt 0xe
	v_bfrev_b32_e32 v142, -2
	v_bfrev_b32_e32 v140, -2
	s_mov_b32 s17, exec_lo
	v_cmpx_gt_u32_e64 s59, v101
	s_cbranch_execz .LBB1422_727
; %bb.726:                              ;   in Loop: Header=BB1422_722 Depth=2
	global_load_b32 v140, v[64:65], off
.LBB1422_727:                           ;   in Loop: Header=BB1422_722 Depth=2
	s_wait_xcnt 0x0
	s_or_b32 exec_lo, exec_lo, s17
	s_delay_alu instid0(SALU_CYCLE_1)
	s_mov_b32 s17, exec_lo
	v_cmpx_gt_u32_e64 s59, v104
	s_cbranch_execz .LBB1422_729
; %bb.728:                              ;   in Loop: Header=BB1422_722 Depth=2
	global_load_b32 v142, v[64:65], off offset:128
.LBB1422_729:                           ;   in Loop: Header=BB1422_722 Depth=2
	s_wait_xcnt 0x0
	s_or_b32 exec_lo, exec_lo, s17
	s_wait_loadcnt 0xc
	v_bfrev_b32_e32 v148, -2
	v_bfrev_b32_e32 v144, -2
	s_mov_b32 s17, exec_lo
	v_cmpx_gt_u32_e64 s59, v105
	s_cbranch_execz .LBB1422_731
; %bb.730:                              ;   in Loop: Header=BB1422_722 Depth=2
	global_load_b32 v144, v[64:65], off offset:256
.LBB1422_731:                           ;   in Loop: Header=BB1422_722 Depth=2
	s_wait_xcnt 0x0
	s_or_b32 exec_lo, exec_lo, s17
	s_delay_alu instid0(SALU_CYCLE_1)
	s_mov_b32 s17, exec_lo
	v_cmpx_gt_u32_e64 s59, v106
	s_cbranch_execz .LBB1422_733
; %bb.732:                              ;   in Loop: Header=BB1422_722 Depth=2
	global_load_b32 v148, v[64:65], off offset:384
.LBB1422_733:                           ;   in Loop: Header=BB1422_722 Depth=2
	s_wait_xcnt 0x0
	s_or_b32 exec_lo, exec_lo, s17
	s_wait_loadcnt 0xa
	v_bfrev_b32_e32 v158, -2
	v_bfrev_b32_e32 v153, -2
	s_mov_b32 s17, exec_lo
	v_cmpx_gt_u32_e64 s59, v107
	s_cbranch_execz .LBB1422_735
; %bb.734:                              ;   in Loop: Header=BB1422_722 Depth=2
	global_load_b32 v153, v[64:65], off offset:512
.LBB1422_735:                           ;   in Loop: Header=BB1422_722 Depth=2
	;; [unrolled: 20-line block ×7, first 2 shown]
	s_wait_xcnt 0x0
	s_or_b32 exec_lo, exec_lo, s17
	s_delay_alu instid0(SALU_CYCLE_1)
	s_mov_b32 s17, exec_lo
	v_cmpx_gt_u32_e64 s59, v118
	s_cbranch_execz .LBB1422_757
; %bb.756:                              ;   in Loop: Header=BB1422_722 Depth=2
	global_load_b32 v66, v[64:65], off offset:1920
.LBB1422_757:                           ;   in Loop: Header=BB1422_722 Depth=2
	s_wait_xcnt 0x0
	s_or_b32 exec_lo, exec_lo, s17
	v_cmp_gt_u32_e64 s17, s59, v5
	s_sub_co_i32 s18, s54, s42
.LBB1422_758:                           ;   in Loop: Header=BB1422_722 Depth=2
	s_wait_xcnt 0x0
	v_bfrev_b32_e32 v64, -2
	v_mov_b32_e32 v139, s59
	s_and_saveexec_b32 s19, s17
	s_cbranch_execz .LBB1422_760
; %bb.759:                              ;   in Loop: Header=BB1422_722 Depth=2
	v_lshl_add_u64 v[64:65], s[42:43], 2, v[28:29]
	v_mov_b32_e32 v139, s18
	global_load_b32 v64, v[64:65], off offset:2048
.LBB1422_760:                           ;   in Loop: Header=BB1422_722 Depth=2
	s_wait_xcnt 0x0
	s_or_b32 exec_lo, exec_lo, s19
	s_wait_loadcnt 0xf
	v_cmp_lt_i32_e32 vcc_lo, -1, v140
	ds_store_2addr_b32 v90, v1, v1 offset0:136 offset1:137
	ds_store_2addr_b32 v90, v1, v1 offset0:138 offset1:139
	ds_store_b32 v90, v1 offset:560
	s_wait_loadcnt_dscnt 0x0
	s_barrier_signal -1
	s_barrier_wait -1
	v_cndmask_b32_e64 v65, -1, 0x80000000, vcc_lo
	; wave barrier
	s_delay_alu instid0(VALU_DEP_1) | instskip(NEXT) | instid1(VALU_DEP_1)
	v_xor_b32_e32 v140, v65, v140
	v_cmp_ne_u32_e32 vcc_lo, 0x7fffffff, v140
	v_cndmask_b32_e32 v65, 0x80000000, v140, vcc_lo
	s_delay_alu instid0(VALU_DEP_1) | instskip(NEXT) | instid1(VALU_DEP_1)
	v_lshrrev_b32_e32 v65, s49, v65
	v_bitop3_b32 v141, v65, 1, s58 bitop3:0x80
	v_and_b32_e32 v143, s58, v65
	s_delay_alu instid0(VALU_DEP_2) | instskip(NEXT) | instid1(VALU_DEP_1)
	v_add_co_u32 v65, s17, v141, -1
	v_cndmask_b32_e64 v141, 0, 1, s17
	s_delay_alu instid0(VALU_DEP_3) | instskip(SKIP_1) | instid1(VALU_DEP_3)
	v_dual_lshlrev_b32 v145, 30, v143 :: v_dual_lshlrev_b32 v147, 28, v143
	v_lshlrev_b32_e32 v146, 29, v143
	v_cmp_ne_u32_e32 vcc_lo, 0, v141
	s_delay_alu instid0(VALU_DEP_3) | instskip(SKIP_1) | instid1(VALU_DEP_4)
	v_cmp_gt_i32_e64 s17, 0, v145
	v_not_b32_e32 v141, v145
	v_cmp_gt_i32_e64 s18, 0, v146
	v_not_b32_e32 v145, v146
	v_not_b32_e32 v146, v147
	v_cmp_gt_i32_e64 s19, 0, v147
	v_ashrrev_i32_e32 v141, 31, v141
	v_bitop3_b32 v65, vcc_lo, exec_lo, v65 bitop3:0x48
	s_delay_alu instid0(VALU_DEP_4) | instskip(SKIP_2) | instid1(VALU_DEP_3)
	v_dual_ashrrev_i32 v146, 31, v146 :: v_dual_lshlrev_b32 v149, 27, v143
	v_dual_lshlrev_b32 v150, 26, v143 :: v_dual_lshlrev_b32 v151, 25, v143
	v_mul_u32_u24_e32 v143, 36, v143
	v_xor_b32_e32 v146, s19, v146
	s_delay_alu instid0(VALU_DEP_4)
	v_not_b32_e32 v147, v149
	v_ashrrev_i32_e32 v145, 31, v145
	v_cmp_gt_i32_e64 s20, 0, v149
	v_cmp_gt_i32_e64 s21, 0, v150
	v_not_b32_e32 v149, v150
	v_not_b32_e32 v150, v151
	v_dual_ashrrev_i32 v147, 31, v147 :: v_dual_bitop2_b32 v141, s17, v141 bitop3:0x14
	v_dual_add_nc_u32 v143, v25, v143 :: v_dual_bitop2_b32 v145, s18, v145 bitop3:0x14
	v_cmp_gt_i32_e64 s22, 0, v151
	s_delay_alu instid0(VALU_DEP_4) | instskip(NEXT) | instid1(VALU_DEP_4)
	v_dual_ashrrev_i32 v149, 31, v149 :: v_dual_ashrrev_i32 v150, 31, v150
	v_xor_b32_e32 v147, s20, v147
	s_delay_alu instid0(VALU_DEP_4) | instskip(NEXT) | instid1(VALU_DEP_3)
	v_bitop3_b32 v65, v65, v145, v141 bitop3:0x80
	v_xor_b32_e32 v141, s21, v149
	s_delay_alu instid0(VALU_DEP_4) | instskip(NEXT) | instid1(VALU_DEP_3)
	v_xor_b32_e32 v145, s22, v150
	v_bitop3_b32 v65, v65, v147, v146 bitop3:0x80
	s_delay_alu instid0(VALU_DEP_1) | instskip(NEXT) | instid1(VALU_DEP_1)
	v_bitop3_b32 v65, v65, v145, v141 bitop3:0x80
	v_mbcnt_lo_u32_b32 v141, v65, 0
	v_cmp_ne_u32_e64 s17, 0, v65
	s_delay_alu instid0(VALU_DEP_2) | instskip(SKIP_1) | instid1(SALU_CYCLE_1)
	v_cmp_eq_u32_e32 vcc_lo, 0, v141
	s_and_b32 s18, s17, vcc_lo
	s_and_saveexec_b32 s17, s18
; %bb.761:                              ;   in Loop: Header=BB1422_722 Depth=2
	v_bcnt_u32_b32 v65, v65, 0
	ds_store_b32 v143, v65 offset:544
; %bb.762:                              ;   in Loop: Header=BB1422_722 Depth=2
	s_or_b32 exec_lo, exec_lo, s17
	v_cmp_lt_i32_e32 vcc_lo, -1, v142
	; wave barrier
	v_cndmask_b32_e64 v65, -1, 0x80000000, vcc_lo
	s_delay_alu instid0(VALU_DEP_1) | instskip(NEXT) | instid1(VALU_DEP_1)
	v_xor_b32_e32 v142, v65, v142
	v_cmp_ne_u32_e32 vcc_lo, 0x7fffffff, v142
	v_cndmask_b32_e32 v65, 0x80000000, v142, vcc_lo
	s_delay_alu instid0(VALU_DEP_1) | instskip(NEXT) | instid1(VALU_DEP_1)
	v_lshrrev_b32_e32 v65, s49, v65
	v_bitop3_b32 v145, v65, 1, s58 bitop3:0x80
	v_and_b32_e32 v147, s58, v65
	s_delay_alu instid0(VALU_DEP_2) | instskip(NEXT) | instid1(VALU_DEP_1)
	v_add_co_u32 v65, s17, v145, -1
	v_cndmask_b32_e64 v145, 0, 1, s17
	s_delay_alu instid0(VALU_DEP_3) | instskip(NEXT) | instid1(VALU_DEP_2)
	v_dual_lshlrev_b32 v146, 30, v147 :: v_dual_lshlrev_b32 v149, 29, v147
	v_cmp_ne_u32_e32 vcc_lo, 0, v145
	s_delay_alu instid0(VALU_DEP_2) | instskip(SKIP_1) | instid1(VALU_DEP_4)
	v_cmp_gt_i32_e64 s17, 0, v146
	v_not_b32_e32 v145, v146
	v_not_b32_e32 v146, v149
	v_bitop3_b32 v65, vcc_lo, exec_lo, v65 bitop3:0x48
	s_delay_alu instid0(VALU_DEP_2) | instskip(SKIP_3) | instid1(VALU_DEP_3)
	v_dual_ashrrev_i32 v145, 31, v145 :: v_dual_ashrrev_i32 v146, 31, v146
	v_dual_lshlrev_b32 v150, 28, v147 :: v_dual_lshlrev_b32 v151, 27, v147
	v_dual_lshlrev_b32 v154, 26, v147 :: v_dual_lshlrev_b32 v155, 25, v147
	v_cmp_gt_i32_e64 s18, 0, v149
	v_cmp_gt_i32_e64 s19, 0, v150
	v_not_b32_e32 v149, v150
	v_not_b32_e32 v150, v151
	v_cmp_gt_i32_e64 s20, 0, v151
	v_cmp_gt_i32_e64 s21, 0, v154
	v_not_b32_e32 v151, v154
	v_not_b32_e32 v154, v155
	v_dual_ashrrev_i32 v149, 31, v149 :: v_dual_ashrrev_i32 v150, 31, v150
	s_delay_alu instid0(VALU_DEP_3) | instskip(SKIP_2) | instid1(VALU_DEP_4)
	v_dual_ashrrev_i32 v151, 31, v151 :: v_dual_bitop2_b32 v145, s17, v145 bitop3:0x14
	v_xor_b32_e32 v146, s18, v146
	v_cmp_gt_i32_e64 s22, 0, v155
	v_dual_ashrrev_i32 v154, 31, v154 :: v_dual_bitop2_b32 v149, s19, v149 bitop3:0x14
	v_xor_b32_e32 v150, s20, v150
	s_delay_alu instid0(VALU_DEP_4)
	v_bitop3_b32 v65, v65, v146, v145 bitop3:0x80
	v_mad_u32_u24 v145, v147, 36, v25
	v_xor_b32_e32 v146, s21, v151
	v_xor_b32_e32 v151, s22, v154
	v_mul_u32_u24_e32 v147, 36, v147
	v_bitop3_b32 v65, v65, v150, v149 bitop3:0x80
	ds_load_b32 v145, v145 offset:544
	; wave barrier
	v_add_nc_u32_e32 v147, v25, v147
	v_bitop3_b32 v65, v65, v151, v146 bitop3:0x80
	s_delay_alu instid0(VALU_DEP_1) | instskip(SKIP_1) | instid1(VALU_DEP_2)
	v_mbcnt_lo_u32_b32 v146, v65, 0
	v_cmp_ne_u32_e64 s17, 0, v65
	v_cmp_eq_u32_e32 vcc_lo, 0, v146
	s_and_b32 s18, s17, vcc_lo
	s_delay_alu instid0(SALU_CYCLE_1)
	s_and_saveexec_b32 s17, s18
	s_cbranch_execz .LBB1422_764
; %bb.763:                              ;   in Loop: Header=BB1422_722 Depth=2
	s_wait_dscnt 0x0
	v_bcnt_u32_b32 v65, v65, v145
	ds_store_b32 v147, v65 offset:544
.LBB1422_764:                           ;   in Loop: Header=BB1422_722 Depth=2
	s_or_b32 exec_lo, exec_lo, s17
	v_cmp_lt_i32_e32 vcc_lo, -1, v144
	; wave barrier
	v_cndmask_b32_e64 v65, -1, 0x80000000, vcc_lo
	s_delay_alu instid0(VALU_DEP_1) | instskip(NEXT) | instid1(VALU_DEP_1)
	v_xor_b32_e32 v144, v65, v144
	v_cmp_ne_u32_e32 vcc_lo, 0x7fffffff, v144
	v_cndmask_b32_e32 v65, 0x80000000, v144, vcc_lo
	s_delay_alu instid0(VALU_DEP_1) | instskip(NEXT) | instid1(VALU_DEP_1)
	v_lshrrev_b32_e32 v65, s49, v65
	v_bitop3_b32 v149, v65, 1, s58 bitop3:0x80
	v_and_b32_e32 v151, s58, v65
	s_delay_alu instid0(VALU_DEP_2) | instskip(NEXT) | instid1(VALU_DEP_1)
	v_add_co_u32 v65, s17, v149, -1
	v_cndmask_b32_e64 v149, 0, 1, s17
	s_delay_alu instid0(VALU_DEP_3) | instskip(NEXT) | instid1(VALU_DEP_2)
	v_dual_lshlrev_b32 v150, 30, v151 :: v_dual_lshlrev_b32 v154, 29, v151
	v_cmp_ne_u32_e32 vcc_lo, 0, v149
	s_delay_alu instid0(VALU_DEP_2) | instskip(SKIP_1) | instid1(VALU_DEP_4)
	v_cmp_gt_i32_e64 s17, 0, v150
	v_not_b32_e32 v149, v150
	v_not_b32_e32 v150, v154
	v_bitop3_b32 v65, vcc_lo, exec_lo, v65 bitop3:0x48
	s_delay_alu instid0(VALU_DEP_2) | instskip(SKIP_3) | instid1(VALU_DEP_3)
	v_dual_ashrrev_i32 v149, 31, v149 :: v_dual_ashrrev_i32 v150, 31, v150
	v_dual_lshlrev_b32 v155, 28, v151 :: v_dual_lshlrev_b32 v156, 27, v151
	v_dual_lshlrev_b32 v159, 26, v151 :: v_dual_lshlrev_b32 v160, 25, v151
	v_cmp_gt_i32_e64 s18, 0, v154
	v_cmp_gt_i32_e64 s19, 0, v155
	v_not_b32_e32 v154, v155
	v_not_b32_e32 v155, v156
	v_cmp_gt_i32_e64 s20, 0, v156
	v_cmp_gt_i32_e64 s21, 0, v159
	v_not_b32_e32 v156, v159
	v_not_b32_e32 v159, v160
	v_dual_ashrrev_i32 v154, 31, v154 :: v_dual_ashrrev_i32 v155, 31, v155
	s_delay_alu instid0(VALU_DEP_3) | instskip(NEXT) | instid1(VALU_DEP_3)
	v_dual_ashrrev_i32 v156, 31, v156 :: v_dual_bitop2_b32 v149, s17, v149 bitop3:0x14
	v_dual_ashrrev_i32 v159, 31, v159 :: v_dual_bitop2_b32 v150, s18, v150 bitop3:0x14
	v_cmp_gt_i32_e64 s22, 0, v160
	s_delay_alu instid0(VALU_DEP_4) | instskip(NEXT) | instid1(VALU_DEP_3)
	v_xor_b32_e32 v155, s20, v155
	v_bitop3_b32 v65, v65, v150, v149 bitop3:0x80
	v_mad_u32_u24 v149, v151, 36, v25
	v_mul_u32_u24_e32 v151, 36, v151
	v_xor_b32_e32 v154, s19, v154
	v_xor_b32_e32 v150, s21, v156
	;; [unrolled: 1-line block ×3, first 2 shown]
	ds_load_b32 v149, v149 offset:544
	v_add_nc_u32_e32 v151, v25, v151
	v_bitop3_b32 v65, v65, v155, v154 bitop3:0x80
	; wave barrier
	s_delay_alu instid0(VALU_DEP_1) | instskip(NEXT) | instid1(VALU_DEP_1)
	v_bitop3_b32 v65, v65, v156, v150 bitop3:0x80
	v_mbcnt_lo_u32_b32 v150, v65, 0
	v_cmp_ne_u32_e64 s17, 0, v65
	s_delay_alu instid0(VALU_DEP_2) | instskip(SKIP_1) | instid1(SALU_CYCLE_1)
	v_cmp_eq_u32_e32 vcc_lo, 0, v150
	s_and_b32 s18, s17, vcc_lo
	s_and_saveexec_b32 s17, s18
	s_cbranch_execz .LBB1422_766
; %bb.765:                              ;   in Loop: Header=BB1422_722 Depth=2
	s_wait_dscnt 0x0
	v_bcnt_u32_b32 v65, v65, v149
	ds_store_b32 v151, v65 offset:544
.LBB1422_766:                           ;   in Loop: Header=BB1422_722 Depth=2
	s_or_b32 exec_lo, exec_lo, s17
	v_cmp_lt_i32_e32 vcc_lo, -1, v148
	; wave barrier
	v_cndmask_b32_e64 v65, -1, 0x80000000, vcc_lo
	s_delay_alu instid0(VALU_DEP_1) | instskip(NEXT) | instid1(VALU_DEP_1)
	v_xor_b32_e32 v148, v65, v148
	v_cmp_ne_u32_e32 vcc_lo, 0x7fffffff, v148
	v_cndmask_b32_e32 v65, 0x80000000, v148, vcc_lo
	s_delay_alu instid0(VALU_DEP_1) | instskip(NEXT) | instid1(VALU_DEP_1)
	v_lshrrev_b32_e32 v65, s49, v65
	v_bitop3_b32 v154, v65, 1, s58 bitop3:0x80
	v_and_b32_e32 v156, s58, v65
	s_delay_alu instid0(VALU_DEP_2) | instskip(NEXT) | instid1(VALU_DEP_1)
	v_add_co_u32 v65, s17, v154, -1
	v_cndmask_b32_e64 v154, 0, 1, s17
	s_delay_alu instid0(VALU_DEP_3) | instskip(NEXT) | instid1(VALU_DEP_2)
	v_dual_lshlrev_b32 v155, 30, v156 :: v_dual_lshlrev_b32 v159, 29, v156
	v_cmp_ne_u32_e32 vcc_lo, 0, v154
	s_delay_alu instid0(VALU_DEP_2) | instskip(SKIP_1) | instid1(VALU_DEP_4)
	v_cmp_gt_i32_e64 s17, 0, v155
	v_not_b32_e32 v154, v155
	v_not_b32_e32 v155, v159
	v_cmp_gt_i32_e64 s18, 0, v159
	v_bitop3_b32 v65, vcc_lo, exec_lo, v65 bitop3:0x48
	s_delay_alu instid0(VALU_DEP_3) | instskip(SKIP_2) | instid1(VALU_DEP_2)
	v_dual_ashrrev_i32 v154, 31, v154 :: v_dual_ashrrev_i32 v155, 31, v155
	v_dual_lshlrev_b32 v160, 28, v156 :: v_dual_lshlrev_b32 v162, 27, v156
	v_dual_lshlrev_b32 v164, 26, v156 :: v_dual_lshlrev_b32 v165, 25, v156
	v_cmp_gt_i32_e64 s19, 0, v160
	v_not_b32_e32 v159, v160
	s_delay_alu instid0(VALU_DEP_4)
	v_not_b32_e32 v160, v162
	v_cmp_gt_i32_e64 s20, 0, v162
	v_cmp_gt_i32_e64 s21, 0, v164
	v_not_b32_e32 v162, v164
	v_not_b32_e32 v164, v165
	v_dual_ashrrev_i32 v159, 31, v159 :: v_dual_ashrrev_i32 v160, 31, v160
	v_xor_b32_e32 v154, s17, v154
	s_delay_alu instid0(VALU_DEP_4) | instskip(SKIP_3) | instid1(VALU_DEP_4)
	v_dual_ashrrev_i32 v162, 31, v162 :: v_dual_bitop2_b32 v155, s18, v155 bitop3:0x14
	v_cmp_gt_i32_e64 s22, 0, v165
	v_ashrrev_i32_e32 v164, 31, v164
	v_xor_b32_e32 v160, s20, v160
	v_bitop3_b32 v65, v65, v155, v154 bitop3:0x80
	v_mad_u32_u24 v154, v156, 36, v25
	v_mul_u32_u24_e32 v156, 36, v156
	v_xor_b32_e32 v159, s19, v159
	v_xor_b32_e32 v155, s21, v162
	v_xor_b32_e32 v162, s22, v164
	ds_load_b32 v154, v154 offset:544
	v_add_nc_u32_e32 v156, v25, v156
	v_bitop3_b32 v65, v65, v160, v159 bitop3:0x80
	; wave barrier
	s_delay_alu instid0(VALU_DEP_1) | instskip(NEXT) | instid1(VALU_DEP_1)
	v_bitop3_b32 v65, v65, v162, v155 bitop3:0x80
	v_mbcnt_lo_u32_b32 v155, v65, 0
	v_cmp_ne_u32_e64 s17, 0, v65
	s_delay_alu instid0(VALU_DEP_2) | instskip(SKIP_1) | instid1(SALU_CYCLE_1)
	v_cmp_eq_u32_e32 vcc_lo, 0, v155
	s_and_b32 s18, s17, vcc_lo
	s_and_saveexec_b32 s17, s18
	s_cbranch_execz .LBB1422_768
; %bb.767:                              ;   in Loop: Header=BB1422_722 Depth=2
	s_wait_dscnt 0x0
	v_bcnt_u32_b32 v65, v65, v154
	ds_store_b32 v156, v65 offset:544
.LBB1422_768:                           ;   in Loop: Header=BB1422_722 Depth=2
	s_or_b32 exec_lo, exec_lo, s17
	v_cmp_lt_i32_e32 vcc_lo, -1, v153
	; wave barrier
	v_cndmask_b32_e64 v65, -1, 0x80000000, vcc_lo
	s_delay_alu instid0(VALU_DEP_1) | instskip(NEXT) | instid1(VALU_DEP_1)
	v_xor_b32_e32 v153, v65, v153
	v_cmp_ne_u32_e32 vcc_lo, 0x7fffffff, v153
	v_cndmask_b32_e32 v65, 0x80000000, v153, vcc_lo
	s_delay_alu instid0(VALU_DEP_1) | instskip(NEXT) | instid1(VALU_DEP_1)
	v_lshrrev_b32_e32 v65, s49, v65
	v_and_b32_e32 v162, s58, v65
	s_delay_alu instid0(VALU_DEP_1) | instskip(SKIP_2) | instid1(VALU_DEP_3)
	v_lshlrev_b32_e32 v165, 28, v162
	v_bitop3_b32 v159, v65, 1, s58 bitop3:0x80
	v_lshlrev_b32_e32 v160, 30, v162
	v_cmp_gt_i32_e64 s19, 0, v165
	s_delay_alu instid0(VALU_DEP_3) | instskip(NEXT) | instid1(VALU_DEP_1)
	v_add_co_u32 v65, s17, v159, -1
	v_cndmask_b32_e64 v159, 0, 1, s17
	s_delay_alu instid0(VALU_DEP_4) | instskip(NEXT) | instid1(VALU_DEP_2)
	v_cmp_gt_i32_e64 s17, 0, v160
	v_cmp_ne_u32_e32 vcc_lo, 0, v159
	v_not_b32_e32 v159, v160
	v_bitop3_b32 v65, vcc_lo, exec_lo, v65 bitop3:0x48
	s_delay_alu instid0(VALU_DEP_2) | instskip(SKIP_1) | instid1(VALU_DEP_2)
	v_dual_ashrrev_i32 v159, 31, v159 :: v_dual_lshlrev_b32 v164, 29, v162
	v_dual_lshlrev_b32 v167, 27, v162 :: v_dual_lshlrev_b32 v169, 26, v162
	v_not_b32_e32 v160, v164
	v_lshlrev_b32_e32 v170, 25, v162
	v_cmp_gt_i32_e64 s18, 0, v164
	v_not_b32_e32 v164, v165
	v_not_b32_e32 v165, v167
	v_ashrrev_i32_e32 v160, 31, v160
	v_cmp_gt_i32_e64 s20, 0, v167
	v_cmp_gt_i32_e64 s21, 0, v169
	v_not_b32_e32 v167, v169
	v_not_b32_e32 v169, v170
	v_dual_ashrrev_i32 v164, 31, v164 :: v_dual_ashrrev_i32 v165, 31, v165
	v_xor_b32_e32 v159, s17, v159
	s_delay_alu instid0(VALU_DEP_4) | instskip(SKIP_3) | instid1(VALU_DEP_4)
	v_dual_ashrrev_i32 v167, 31, v167 :: v_dual_bitop2_b32 v160, s18, v160 bitop3:0x14
	v_cmp_gt_i32_e64 s22, 0, v170
	v_ashrrev_i32_e32 v169, 31, v169
	v_xor_b32_e32 v165, s20, v165
	v_bitop3_b32 v65, v65, v160, v159 bitop3:0x80
	v_mad_u32_u24 v159, v162, 36, v25
	v_mul_u32_u24_e32 v162, 36, v162
	v_xor_b32_e32 v164, s19, v164
	v_xor_b32_e32 v160, s21, v167
	;; [unrolled: 1-line block ×3, first 2 shown]
	ds_load_b32 v159, v159 offset:544
	v_add_nc_u32_e32 v162, v25, v162
	v_bitop3_b32 v65, v65, v165, v164 bitop3:0x80
	; wave barrier
	s_delay_alu instid0(VALU_DEP_1) | instskip(NEXT) | instid1(VALU_DEP_1)
	v_bitop3_b32 v65, v65, v167, v160 bitop3:0x80
	v_mbcnt_lo_u32_b32 v160, v65, 0
	v_cmp_ne_u32_e64 s17, 0, v65
	s_delay_alu instid0(VALU_DEP_2) | instskip(SKIP_1) | instid1(SALU_CYCLE_1)
	v_cmp_eq_u32_e32 vcc_lo, 0, v160
	s_and_b32 s18, s17, vcc_lo
	s_and_saveexec_b32 s17, s18
	s_cbranch_execz .LBB1422_770
; %bb.769:                              ;   in Loop: Header=BB1422_722 Depth=2
	s_wait_dscnt 0x0
	v_bcnt_u32_b32 v65, v65, v159
	ds_store_b32 v162, v65 offset:544
.LBB1422_770:                           ;   in Loop: Header=BB1422_722 Depth=2
	s_or_b32 exec_lo, exec_lo, s17
	v_cmp_lt_i32_e32 vcc_lo, -1, v158
	; wave barrier
	v_cndmask_b32_e64 v65, -1, 0x80000000, vcc_lo
	s_delay_alu instid0(VALU_DEP_1) | instskip(NEXT) | instid1(VALU_DEP_1)
	v_xor_b32_e32 v158, v65, v158
	v_cmp_ne_u32_e32 vcc_lo, 0x7fffffff, v158
	v_cndmask_b32_e32 v65, 0x80000000, v158, vcc_lo
	s_delay_alu instid0(VALU_DEP_1) | instskip(NEXT) | instid1(VALU_DEP_1)
	v_lshrrev_b32_e32 v65, s49, v65
	v_bitop3_b32 v164, v65, 1, s58 bitop3:0x80
	v_and_b32_e32 v167, s58, v65
	s_delay_alu instid0(VALU_DEP_2) | instskip(NEXT) | instid1(VALU_DEP_1)
	v_add_co_u32 v65, s17, v164, -1
	v_cndmask_b32_e64 v164, 0, 1, s17
	s_delay_alu instid0(VALU_DEP_3) | instskip(NEXT) | instid1(VALU_DEP_2)
	v_lshlrev_b32_e32 v165, 30, v167
	v_cmp_ne_u32_e32 vcc_lo, 0, v164
	s_delay_alu instid0(VALU_DEP_2) | instskip(SKIP_1) | instid1(VALU_DEP_2)
	v_not_b32_e32 v164, v165
	v_bitop3_b32 v65, vcc_lo, exec_lo, v65 bitop3:0x48
	v_dual_ashrrev_i32 v164, 31, v164 :: v_dual_lshlrev_b32 v169, 29, v167
	v_dual_lshlrev_b32 v170, 28, v167 :: v_dual_lshlrev_b32 v172, 27, v167
	v_lshlrev_b32_e32 v174, 26, v167
	v_cmp_gt_i32_e64 s17, 0, v165
	s_delay_alu instid0(VALU_DEP_4)
	v_not_b32_e32 v165, v169
	v_lshlrev_b32_e32 v175, 25, v167
	v_cmp_gt_i32_e64 s18, 0, v169
	v_cmp_gt_i32_e64 s19, 0, v170
	v_not_b32_e32 v169, v170
	v_not_b32_e32 v170, v172
	v_ashrrev_i32_e32 v165, 31, v165
	v_cmp_gt_i32_e64 s20, 0, v172
	v_cmp_gt_i32_e64 s21, 0, v174
	v_not_b32_e32 v172, v174
	v_not_b32_e32 v174, v175
	v_dual_ashrrev_i32 v169, 31, v169 :: v_dual_ashrrev_i32 v170, 31, v170
	v_xor_b32_e32 v164, s17, v164
	s_delay_alu instid0(VALU_DEP_4) | instskip(SKIP_3) | instid1(VALU_DEP_4)
	v_dual_ashrrev_i32 v172, 31, v172 :: v_dual_bitop2_b32 v165, s18, v165 bitop3:0x14
	v_cmp_gt_i32_e64 s22, 0, v175
	v_ashrrev_i32_e32 v174, 31, v174
	v_xor_b32_e32 v170, s20, v170
	v_bitop3_b32 v65, v65, v165, v164 bitop3:0x80
	v_mad_u32_u24 v164, v167, 36, v25
	v_mul_u32_u24_e32 v167, 36, v167
	v_xor_b32_e32 v169, s19, v169
	v_xor_b32_e32 v165, s21, v172
	;; [unrolled: 1-line block ×3, first 2 shown]
	ds_load_b32 v164, v164 offset:544
	v_add_nc_u32_e32 v167, v25, v167
	v_bitop3_b32 v65, v65, v170, v169 bitop3:0x80
	; wave barrier
	s_delay_alu instid0(VALU_DEP_1) | instskip(NEXT) | instid1(VALU_DEP_1)
	v_bitop3_b32 v65, v65, v172, v165 bitop3:0x80
	v_mbcnt_lo_u32_b32 v165, v65, 0
	v_cmp_ne_u32_e64 s17, 0, v65
	s_delay_alu instid0(VALU_DEP_2) | instskip(SKIP_1) | instid1(SALU_CYCLE_1)
	v_cmp_eq_u32_e32 vcc_lo, 0, v165
	s_and_b32 s18, s17, vcc_lo
	s_and_saveexec_b32 s17, s18
	s_cbranch_execz .LBB1422_772
; %bb.771:                              ;   in Loop: Header=BB1422_722 Depth=2
	s_wait_dscnt 0x0
	v_bcnt_u32_b32 v65, v65, v164
	ds_store_b32 v167, v65 offset:544
.LBB1422_772:                           ;   in Loop: Header=BB1422_722 Depth=2
	s_or_b32 exec_lo, exec_lo, s17
	v_cmp_lt_i32_e32 vcc_lo, -1, v163
	; wave barrier
	v_cndmask_b32_e64 v65, -1, 0x80000000, vcc_lo
	s_delay_alu instid0(VALU_DEP_1) | instskip(NEXT) | instid1(VALU_DEP_1)
	v_xor_b32_e32 v163, v65, v163
	v_cmp_ne_u32_e32 vcc_lo, 0x7fffffff, v163
	v_cndmask_b32_e32 v65, 0x80000000, v163, vcc_lo
	s_delay_alu instid0(VALU_DEP_1) | instskip(NEXT) | instid1(VALU_DEP_1)
	v_lshrrev_b32_e32 v65, s49, v65
	v_bitop3_b32 v169, v65, 1, s58 bitop3:0x80
	v_and_b32_e32 v172, s58, v65
	s_delay_alu instid0(VALU_DEP_2) | instskip(NEXT) | instid1(VALU_DEP_1)
	v_add_co_u32 v65, s17, v169, -1
	v_cndmask_b32_e64 v169, 0, 1, s17
	s_delay_alu instid0(VALU_DEP_3) | instskip(NEXT) | instid1(VALU_DEP_2)
	v_dual_lshlrev_b32 v170, 30, v172 :: v_dual_lshlrev_b32 v174, 29, v172
	v_cmp_ne_u32_e32 vcc_lo, 0, v169
	s_delay_alu instid0(VALU_DEP_2) | instskip(SKIP_1) | instid1(VALU_DEP_4)
	v_cmp_gt_i32_e64 s17, 0, v170
	v_not_b32_e32 v169, v170
	v_not_b32_e32 v170, v174
	v_bitop3_b32 v65, vcc_lo, exec_lo, v65 bitop3:0x48
	s_delay_alu instid0(VALU_DEP_2) | instskip(SKIP_3) | instid1(VALU_DEP_3)
	v_dual_ashrrev_i32 v169, 31, v169 :: v_dual_ashrrev_i32 v170, 31, v170
	v_dual_lshlrev_b32 v175, 28, v172 :: v_dual_lshlrev_b32 v176, 27, v172
	v_dual_lshlrev_b32 v177, 26, v172 :: v_dual_lshlrev_b32 v178, 25, v172
	v_cmp_gt_i32_e64 s18, 0, v174
	v_cmp_gt_i32_e64 s19, 0, v175
	v_not_b32_e32 v174, v175
	v_not_b32_e32 v175, v176
	v_cmp_gt_i32_e64 s20, 0, v176
	v_cmp_gt_i32_e64 s21, 0, v177
	v_not_b32_e32 v176, v177
	v_not_b32_e32 v177, v178
	v_dual_ashrrev_i32 v174, 31, v174 :: v_dual_ashrrev_i32 v175, 31, v175
	s_delay_alu instid0(VALU_DEP_3) | instskip(NEXT) | instid1(VALU_DEP_3)
	v_dual_ashrrev_i32 v176, 31, v176 :: v_dual_bitop2_b32 v169, s17, v169 bitop3:0x14
	v_dual_ashrrev_i32 v177, 31, v177 :: v_dual_bitop2_b32 v170, s18, v170 bitop3:0x14
	v_cmp_gt_i32_e64 s22, 0, v178
	s_delay_alu instid0(VALU_DEP_4) | instskip(NEXT) | instid1(VALU_DEP_3)
	v_xor_b32_e32 v175, s20, v175
	v_bitop3_b32 v65, v65, v170, v169 bitop3:0x80
	v_mad_u32_u24 v169, v172, 36, v25
	v_mul_u32_u24_e32 v172, 36, v172
	v_xor_b32_e32 v174, s19, v174
	v_xor_b32_e32 v170, s21, v176
	;; [unrolled: 1-line block ×3, first 2 shown]
	ds_load_b32 v169, v169 offset:544
	v_add_nc_u32_e32 v172, v25, v172
	v_bitop3_b32 v65, v65, v175, v174 bitop3:0x80
	; wave barrier
	s_delay_alu instid0(VALU_DEP_1) | instskip(NEXT) | instid1(VALU_DEP_1)
	v_bitop3_b32 v65, v65, v176, v170 bitop3:0x80
	v_mbcnt_lo_u32_b32 v170, v65, 0
	v_cmp_ne_u32_e64 s17, 0, v65
	s_delay_alu instid0(VALU_DEP_2) | instskip(SKIP_1) | instid1(SALU_CYCLE_1)
	v_cmp_eq_u32_e32 vcc_lo, 0, v170
	s_and_b32 s18, s17, vcc_lo
	s_and_saveexec_b32 s17, s18
	s_cbranch_execz .LBB1422_774
; %bb.773:                              ;   in Loop: Header=BB1422_722 Depth=2
	s_wait_dscnt 0x0
	v_bcnt_u32_b32 v65, v65, v169
	ds_store_b32 v172, v65 offset:544
.LBB1422_774:                           ;   in Loop: Header=BB1422_722 Depth=2
	s_or_b32 exec_lo, exec_lo, s17
	v_cmp_lt_i32_e32 vcc_lo, -1, v168
	; wave barrier
	v_cndmask_b32_e64 v65, -1, 0x80000000, vcc_lo
	s_delay_alu instid0(VALU_DEP_1) | instskip(NEXT) | instid1(VALU_DEP_1)
	v_xor_b32_e32 v168, v65, v168
	v_cmp_ne_u32_e32 vcc_lo, 0x7fffffff, v168
	v_cndmask_b32_e32 v65, 0x80000000, v168, vcc_lo
	s_delay_alu instid0(VALU_DEP_1) | instskip(NEXT) | instid1(VALU_DEP_1)
	v_lshrrev_b32_e32 v65, s49, v65
	v_bitop3_b32 v174, v65, 1, s58 bitop3:0x80
	v_and_b32_e32 v176, s58, v65
	s_delay_alu instid0(VALU_DEP_2) | instskip(NEXT) | instid1(VALU_DEP_1)
	v_add_co_u32 v65, s17, v174, -1
	v_cndmask_b32_e64 v174, 0, 1, s17
	s_delay_alu instid0(VALU_DEP_3) | instskip(NEXT) | instid1(VALU_DEP_2)
	v_dual_lshlrev_b32 v175, 30, v176 :: v_dual_lshlrev_b32 v177, 29, v176
	v_cmp_ne_u32_e32 vcc_lo, 0, v174
	s_delay_alu instid0(VALU_DEP_2) | instskip(SKIP_1) | instid1(VALU_DEP_4)
	v_cmp_gt_i32_e64 s17, 0, v175
	v_not_b32_e32 v174, v175
	v_not_b32_e32 v175, v177
	v_cmp_gt_i32_e64 s18, 0, v177
	v_bitop3_b32 v65, vcc_lo, exec_lo, v65 bitop3:0x48
	s_delay_alu instid0(VALU_DEP_3) | instskip(SKIP_2) | instid1(VALU_DEP_2)
	v_dual_ashrrev_i32 v174, 31, v174 :: v_dual_ashrrev_i32 v175, 31, v175
	v_dual_lshlrev_b32 v178, 28, v176 :: v_dual_lshlrev_b32 v179, 27, v176
	v_dual_lshlrev_b32 v180, 26, v176 :: v_dual_lshlrev_b32 v181, 25, v176
	v_cmp_gt_i32_e64 s19, 0, v178
	v_not_b32_e32 v177, v178
	s_delay_alu instid0(VALU_DEP_4)
	v_not_b32_e32 v178, v179
	v_cmp_gt_i32_e64 s20, 0, v179
	v_cmp_gt_i32_e64 s21, 0, v180
	v_not_b32_e32 v179, v180
	v_not_b32_e32 v180, v181
	v_dual_ashrrev_i32 v177, 31, v177 :: v_dual_ashrrev_i32 v178, 31, v178
	s_delay_alu instid0(VALU_DEP_3) | instskip(NEXT) | instid1(VALU_DEP_3)
	v_dual_ashrrev_i32 v179, 31, v179 :: v_dual_bitop2_b32 v174, s17, v174 bitop3:0x14
	v_dual_ashrrev_i32 v180, 31, v180 :: v_dual_bitop2_b32 v175, s18, v175 bitop3:0x14
	v_cmp_gt_i32_e64 s22, 0, v181
	s_delay_alu instid0(VALU_DEP_4) | instskip(NEXT) | instid1(VALU_DEP_3)
	v_xor_b32_e32 v178, s20, v178
	v_bitop3_b32 v65, v65, v175, v174 bitop3:0x80
	v_mad_u32_u24 v174, v176, 36, v25
	v_mul_u32_u24_e32 v176, 36, v176
	v_xor_b32_e32 v177, s19, v177
	v_xor_b32_e32 v175, s21, v179
	;; [unrolled: 1-line block ×3, first 2 shown]
	ds_load_b32 v174, v174 offset:544
	v_add_nc_u32_e32 v176, v25, v176
	v_bitop3_b32 v65, v65, v178, v177 bitop3:0x80
	; wave barrier
	s_delay_alu instid0(VALU_DEP_1) | instskip(NEXT) | instid1(VALU_DEP_1)
	v_bitop3_b32 v65, v65, v179, v175 bitop3:0x80
	v_mbcnt_lo_u32_b32 v175, v65, 0
	v_cmp_ne_u32_e64 s17, 0, v65
	s_delay_alu instid0(VALU_DEP_2) | instskip(SKIP_1) | instid1(SALU_CYCLE_1)
	v_cmp_eq_u32_e32 vcc_lo, 0, v175
	s_and_b32 s18, s17, vcc_lo
	s_and_saveexec_b32 s17, s18
	s_cbranch_execz .LBB1422_776
; %bb.775:                              ;   in Loop: Header=BB1422_722 Depth=2
	s_wait_dscnt 0x0
	v_bcnt_u32_b32 v65, v65, v174
	ds_store_b32 v176, v65 offset:544
.LBB1422_776:                           ;   in Loop: Header=BB1422_722 Depth=2
	s_or_b32 exec_lo, exec_lo, s17
	v_cmp_lt_i32_e32 vcc_lo, -1, v173
	; wave barrier
	v_cndmask_b32_e64 v65, -1, 0x80000000, vcc_lo
	s_delay_alu instid0(VALU_DEP_1) | instskip(NEXT) | instid1(VALU_DEP_1)
	v_xor_b32_e32 v173, v65, v173
	v_cmp_ne_u32_e32 vcc_lo, 0x7fffffff, v173
	v_cndmask_b32_e32 v65, 0x80000000, v173, vcc_lo
	s_delay_alu instid0(VALU_DEP_1) | instskip(NEXT) | instid1(VALU_DEP_1)
	v_lshrrev_b32_e32 v65, s49, v65
	v_and_b32_e32 v179, s58, v65
	s_delay_alu instid0(VALU_DEP_1) | instskip(SKIP_2) | instid1(VALU_DEP_3)
	v_lshlrev_b32_e32 v181, 28, v179
	v_bitop3_b32 v177, v65, 1, s58 bitop3:0x80
	v_dual_lshlrev_b32 v178, 30, v179 :: v_dual_lshlrev_b32 v180, 29, v179
	v_cmp_gt_i32_e64 s19, 0, v181
	s_delay_alu instid0(VALU_DEP_3) | instskip(NEXT) | instid1(VALU_DEP_1)
	v_add_co_u32 v65, s17, v177, -1
	v_cndmask_b32_e64 v177, 0, 1, s17
	s_delay_alu instid0(VALU_DEP_4) | instskip(SKIP_1) | instid1(VALU_DEP_3)
	v_cmp_gt_i32_e64 s17, 0, v178
	v_cmp_gt_i32_e64 s18, 0, v180
	v_cmp_ne_u32_e32 vcc_lo, 0, v177
	v_not_b32_e32 v177, v178
	v_not_b32_e32 v178, v180
	;; [unrolled: 1-line block ×3, first 2 shown]
	v_bitop3_b32 v65, vcc_lo, exec_lo, v65 bitop3:0x48
	s_delay_alu instid0(VALU_DEP_3) | instskip(SKIP_2) | instid1(VALU_DEP_2)
	v_dual_ashrrev_i32 v177, 31, v177 :: v_dual_ashrrev_i32 v178, 31, v178
	v_dual_lshlrev_b32 v182, 27, v179 :: v_dual_lshlrev_b32 v183, 26, v179
	v_lshlrev_b32_e32 v184, 25, v179
	v_not_b32_e32 v181, v182
	v_cmp_gt_i32_e64 s20, 0, v182
	s_delay_alu instid0(VALU_DEP_4) | instskip(SKIP_3) | instid1(VALU_DEP_3)
	v_cmp_gt_i32_e64 s21, 0, v183
	v_not_b32_e32 v182, v183
	v_not_b32_e32 v183, v184
	v_dual_ashrrev_i32 v180, 31, v180 :: v_dual_ashrrev_i32 v181, 31, v181
	v_dual_ashrrev_i32 v182, 31, v182 :: v_dual_bitop2_b32 v177, s17, v177 bitop3:0x14
	s_delay_alu instid0(VALU_DEP_3) | instskip(SKIP_1) | instid1(VALU_DEP_4)
	v_dual_ashrrev_i32 v183, 31, v183 :: v_dual_bitop2_b32 v178, s18, v178 bitop3:0x14
	v_cmp_gt_i32_e64 s22, 0, v184
	v_xor_b32_e32 v181, s20, v181
	s_delay_alu instid0(VALU_DEP_3)
	v_bitop3_b32 v65, v65, v178, v177 bitop3:0x80
	v_mad_u32_u24 v177, v179, 36, v25
	v_mul_u32_u24_e32 v179, 36, v179
	v_xor_b32_e32 v180, s19, v180
	v_xor_b32_e32 v178, s21, v182
	;; [unrolled: 1-line block ×3, first 2 shown]
	ds_load_b32 v177, v177 offset:544
	v_add_nc_u32_e32 v179, v25, v179
	v_bitop3_b32 v65, v65, v181, v180 bitop3:0x80
	; wave barrier
	s_delay_alu instid0(VALU_DEP_1) | instskip(NEXT) | instid1(VALU_DEP_1)
	v_bitop3_b32 v65, v65, v182, v178 bitop3:0x80
	v_mbcnt_lo_u32_b32 v178, v65, 0
	v_cmp_ne_u32_e64 s17, 0, v65
	s_delay_alu instid0(VALU_DEP_2) | instskip(SKIP_1) | instid1(SALU_CYCLE_1)
	v_cmp_eq_u32_e32 vcc_lo, 0, v178
	s_and_b32 s18, s17, vcc_lo
	s_and_saveexec_b32 s17, s18
	s_cbranch_execz .LBB1422_778
; %bb.777:                              ;   in Loop: Header=BB1422_722 Depth=2
	s_wait_dscnt 0x0
	v_bcnt_u32_b32 v65, v65, v177
	ds_store_b32 v179, v65 offset:544
.LBB1422_778:                           ;   in Loop: Header=BB1422_722 Depth=2
	s_or_b32 exec_lo, exec_lo, s17
	v_cmp_lt_i32_e32 vcc_lo, -1, v171
	; wave barrier
	v_cndmask_b32_e64 v65, -1, 0x80000000, vcc_lo
	s_delay_alu instid0(VALU_DEP_1) | instskip(NEXT) | instid1(VALU_DEP_1)
	v_xor_b32_e32 v171, v65, v171
	v_cmp_ne_u32_e32 vcc_lo, 0x7fffffff, v171
	v_cndmask_b32_e32 v65, 0x80000000, v171, vcc_lo
	s_delay_alu instid0(VALU_DEP_1) | instskip(NEXT) | instid1(VALU_DEP_1)
	v_lshrrev_b32_e32 v65, s49, v65
	v_bitop3_b32 v180, v65, 1, s58 bitop3:0x80
	v_and_b32_e32 v182, s58, v65
	s_delay_alu instid0(VALU_DEP_2) | instskip(NEXT) | instid1(VALU_DEP_1)
	v_add_co_u32 v65, s17, v180, -1
	v_cndmask_b32_e64 v180, 0, 1, s17
	s_delay_alu instid0(VALU_DEP_3) | instskip(NEXT) | instid1(VALU_DEP_2)
	v_lshlrev_b32_e32 v181, 30, v182
	v_cmp_ne_u32_e32 vcc_lo, 0, v180
	s_delay_alu instid0(VALU_DEP_2) | instskip(SKIP_1) | instid1(VALU_DEP_2)
	v_not_b32_e32 v180, v181
	v_bitop3_b32 v65, vcc_lo, exec_lo, v65 bitop3:0x48
	v_dual_ashrrev_i32 v180, 31, v180 :: v_dual_lshlrev_b32 v183, 29, v182
	v_dual_lshlrev_b32 v184, 28, v182 :: v_dual_lshlrev_b32 v185, 27, v182
	v_lshlrev_b32_e32 v186, 26, v182
	v_cmp_gt_i32_e64 s17, 0, v181
	s_delay_alu instid0(VALU_DEP_4)
	v_not_b32_e32 v181, v183
	v_lshlrev_b32_e32 v187, 25, v182
	v_cmp_gt_i32_e64 s18, 0, v183
	v_cmp_gt_i32_e64 s19, 0, v184
	v_not_b32_e32 v183, v184
	v_not_b32_e32 v184, v185
	v_ashrrev_i32_e32 v181, 31, v181
	v_cmp_gt_i32_e64 s20, 0, v185
	v_cmp_gt_i32_e64 s21, 0, v186
	v_not_b32_e32 v185, v186
	v_not_b32_e32 v186, v187
	v_dual_ashrrev_i32 v183, 31, v183 :: v_dual_ashrrev_i32 v184, 31, v184
	s_delay_alu instid0(VALU_DEP_3) | instskip(NEXT) | instid1(VALU_DEP_3)
	v_dual_ashrrev_i32 v185, 31, v185 :: v_dual_bitop2_b32 v180, s17, v180 bitop3:0x14
	v_dual_ashrrev_i32 v186, 31, v186 :: v_dual_bitop2_b32 v181, s18, v181 bitop3:0x14
	v_cmp_gt_i32_e64 s22, 0, v187
	s_delay_alu instid0(VALU_DEP_4) | instskip(NEXT) | instid1(VALU_DEP_3)
	v_xor_b32_e32 v184, s20, v184
	v_bitop3_b32 v65, v65, v181, v180 bitop3:0x80
	v_mad_u32_u24 v180, v182, 36, v25
	v_mul_u32_u24_e32 v182, 36, v182
	v_xor_b32_e32 v183, s19, v183
	v_xor_b32_e32 v181, s21, v185
	;; [unrolled: 1-line block ×3, first 2 shown]
	ds_load_b32 v180, v180 offset:544
	v_add_nc_u32_e32 v182, v25, v182
	v_bitop3_b32 v65, v65, v184, v183 bitop3:0x80
	; wave barrier
	s_delay_alu instid0(VALU_DEP_1) | instskip(NEXT) | instid1(VALU_DEP_1)
	v_bitop3_b32 v65, v65, v185, v181 bitop3:0x80
	v_mbcnt_lo_u32_b32 v181, v65, 0
	v_cmp_ne_u32_e64 s17, 0, v65
	s_delay_alu instid0(VALU_DEP_2) | instskip(SKIP_1) | instid1(SALU_CYCLE_1)
	v_cmp_eq_u32_e32 vcc_lo, 0, v181
	s_and_b32 s18, s17, vcc_lo
	s_and_saveexec_b32 s17, s18
	s_cbranch_execz .LBB1422_780
; %bb.779:                              ;   in Loop: Header=BB1422_722 Depth=2
	s_wait_dscnt 0x0
	v_bcnt_u32_b32 v65, v65, v180
	ds_store_b32 v182, v65 offset:544
.LBB1422_780:                           ;   in Loop: Header=BB1422_722 Depth=2
	s_or_b32 exec_lo, exec_lo, s17
	v_cmp_lt_i32_e32 vcc_lo, -1, v166
	; wave barrier
	v_cndmask_b32_e64 v65, -1, 0x80000000, vcc_lo
	s_delay_alu instid0(VALU_DEP_1) | instskip(NEXT) | instid1(VALU_DEP_1)
	v_xor_b32_e32 v166, v65, v166
	v_cmp_ne_u32_e32 vcc_lo, 0x7fffffff, v166
	v_cndmask_b32_e32 v65, 0x80000000, v166, vcc_lo
	s_delay_alu instid0(VALU_DEP_1) | instskip(NEXT) | instid1(VALU_DEP_1)
	v_lshrrev_b32_e32 v65, s49, v65
	v_bitop3_b32 v183, v65, 1, s58 bitop3:0x80
	v_and_b32_e32 v186, s58, v65
	s_delay_alu instid0(VALU_DEP_2) | instskip(NEXT) | instid1(VALU_DEP_1)
	v_add_co_u32 v65, s17, v183, -1
	v_cndmask_b32_e64 v183, 0, 1, s17
	s_delay_alu instid0(VALU_DEP_3) | instskip(NEXT) | instid1(VALU_DEP_2)
	v_lshlrev_b32_e32 v184, 30, v186
	v_cmp_ne_u32_e32 vcc_lo, 0, v183
	s_delay_alu instid0(VALU_DEP_2) | instskip(SKIP_1) | instid1(VALU_DEP_2)
	v_not_b32_e32 v183, v184
	v_bitop3_b32 v65, vcc_lo, exec_lo, v65 bitop3:0x48
	v_dual_ashrrev_i32 v183, 31, v183 :: v_dual_lshlrev_b32 v185, 29, v186
	v_cmp_gt_i32_e64 s17, 0, v184
	v_dual_lshlrev_b32 v187, 28, v186 :: v_dual_lshlrev_b32 v188, 27, v186
	v_dual_lshlrev_b32 v189, 26, v186 :: v_dual_lshlrev_b32 v190, 25, v186
	s_delay_alu instid0(VALU_DEP_4) | instskip(SKIP_1) | instid1(VALU_DEP_4)
	v_not_b32_e32 v184, v185
	v_cmp_gt_i32_e64 s18, 0, v185
	v_cmp_gt_i32_e64 s19, 0, v187
	v_not_b32_e32 v185, v187
	v_cmp_gt_i32_e64 s20, 0, v188
	v_ashrrev_i32_e32 v184, 31, v184
	v_not_b32_e32 v187, v188
	v_cmp_gt_i32_e64 s21, 0, v189
	v_not_b32_e32 v188, v189
	v_not_b32_e32 v189, v190
	v_xor_b32_e32 v183, s17, v183
	v_dual_ashrrev_i32 v185, 31, v185 :: v_dual_bitop2_b32 v184, s18, v184 bitop3:0x14
	s_delay_alu instid0(VALU_DEP_4) | instskip(NEXT) | instid1(VALU_DEP_4)
	v_dual_ashrrev_i32 v187, 31, v187 :: v_dual_ashrrev_i32 v188, 31, v188
	v_ashrrev_i32_e32 v189, 31, v189
	s_delay_alu instid0(VALU_DEP_3)
	v_bitop3_b32 v65, v65, v184, v183 bitop3:0x80
	v_mad_u32_u24 v183, v186, 36, v25
	v_cmp_gt_i32_e64 s22, 0, v190
	v_xor_b32_e32 v187, s20, v187
	v_xor_b32_e32 v188, s21, v188
	ds_load_b32 v184, v183 offset:544
	v_mul_u32_u24_e32 v183, 36, v186
	v_xor_b32_e32 v185, s19, v185
	v_xor_b32_e32 v189, s22, v189
	; wave barrier
	s_delay_alu instid0(VALU_DEP_3) | instskip(NEXT) | instid1(VALU_DEP_3)
	v_add_nc_u32_e32 v186, v25, v183
	v_bitop3_b32 v65, v65, v187, v185 bitop3:0x80
	s_delay_alu instid0(VALU_DEP_1) | instskip(NEXT) | instid1(VALU_DEP_1)
	v_bitop3_b32 v65, v65, v189, v188 bitop3:0x80
	v_mbcnt_lo_u32_b32 v185, v65, 0
	v_cmp_ne_u32_e64 s17, 0, v65
	s_delay_alu instid0(VALU_DEP_2) | instskip(SKIP_1) | instid1(SALU_CYCLE_1)
	v_cmp_eq_u32_e32 vcc_lo, 0, v185
	s_and_b32 s18, s17, vcc_lo
	s_and_saveexec_b32 s17, s18
	s_cbranch_execz .LBB1422_782
; %bb.781:                              ;   in Loop: Header=BB1422_722 Depth=2
	s_wait_dscnt 0x0
	v_bcnt_u32_b32 v65, v65, v184
	ds_store_b32 v186, v65 offset:544
.LBB1422_782:                           ;   in Loop: Header=BB1422_722 Depth=2
	s_or_b32 exec_lo, exec_lo, s17
	v_cmp_lt_i32_e32 vcc_lo, -1, v161
	; wave barrier
	v_cndmask_b32_e64 v65, -1, 0x80000000, vcc_lo
	s_delay_alu instid0(VALU_DEP_1) | instskip(NEXT) | instid1(VALU_DEP_1)
	v_xor_b32_e32 v183, v65, v161
	v_cmp_ne_u32_e32 vcc_lo, 0x7fffffff, v183
	v_cndmask_b32_e32 v65, 0x80000000, v183, vcc_lo
	s_delay_alu instid0(VALU_DEP_1) | instskip(NEXT) | instid1(VALU_DEP_1)
	v_lshrrev_b32_e32 v65, s49, v65
	v_and_b32_e32 v187, s58, v65
	s_delay_alu instid0(VALU_DEP_1) | instskip(SKIP_3) | instid1(VALU_DEP_4)
	v_lshlrev_b32_e32 v189, 29, v187
	v_bitop3_b32 v161, v65, 1, s58 bitop3:0x80
	v_dual_lshlrev_b32 v188, 30, v187 :: v_dual_lshlrev_b32 v190, 28, v187
	v_lshlrev_b32_e32 v191, 27, v187
	v_cmp_gt_i32_e64 s18, 0, v189
	s_delay_alu instid0(VALU_DEP_4) | instskip(NEXT) | instid1(VALU_DEP_1)
	v_add_co_u32 v65, s17, v161, -1
	v_cndmask_b32_e64 v161, 0, 1, s17
	v_cmp_gt_i32_e64 s17, 0, v188
	v_cmp_gt_i32_e64 s19, 0, v190
	;; [unrolled: 1-line block ×3, first 2 shown]
	s_delay_alu instid0(VALU_DEP_4)
	v_cmp_ne_u32_e32 vcc_lo, 0, v161
	v_not_b32_e32 v161, v188
	v_not_b32_e32 v188, v189
	;; [unrolled: 1-line block ×4, first 2 shown]
	v_bitop3_b32 v65, vcc_lo, exec_lo, v65 bitop3:0x48
	s_delay_alu instid0(VALU_DEP_4) | instskip(NEXT) | instid1(VALU_DEP_3)
	v_dual_ashrrev_i32 v188, 31, v188 :: v_dual_ashrrev_i32 v161, 31, v161
	v_dual_ashrrev_i32 v190, 31, v190 :: v_dual_lshlrev_b32 v192, 26, v187
	s_delay_alu instid0(VALU_DEP_2) | instskip(NEXT) | instid1(VALU_DEP_2)
	v_dual_lshlrev_b32 v193, 25, v187 :: v_dual_bitop2_b32 v188, s18, v188 bitop3:0x14
	v_cmp_gt_i32_e64 s21, 0, v192
	v_not_b32_e32 v191, v192
	s_delay_alu instid0(VALU_DEP_3) | instskip(SKIP_3) | instid1(VALU_DEP_4)
	v_not_b32_e32 v192, v193
	v_xor_b32_e32 v161, s17, v161
	v_ashrrev_i32_e32 v189, 31, v189
	v_cmp_gt_i32_e64 s22, 0, v193
	v_dual_ashrrev_i32 v191, 31, v191 :: v_dual_ashrrev_i32 v192, 31, v192
	s_delay_alu instid0(VALU_DEP_4) | instskip(SKIP_2) | instid1(VALU_DEP_4)
	v_bitop3_b32 v65, v65, v188, v161 bitop3:0x80
	v_mad_u32_u24 v161, v187, 36, v25
	v_xor_b32_e32 v189, s19, v189
	v_xor_b32_e32 v191, s21, v191
	;; [unrolled: 1-line block ×3, first 2 shown]
	ds_load_b32 v188, v161 offset:544
	v_mul_u32_u24_e32 v161, 36, v187
	v_xor_b32_e32 v190, s20, v190
	; wave barrier
	s_delay_alu instid0(VALU_DEP_2) | instskip(NEXT) | instid1(VALU_DEP_2)
	v_add_nc_u32_e32 v161, v25, v161
	v_bitop3_b32 v65, v65, v190, v189 bitop3:0x80
	s_delay_alu instid0(VALU_DEP_1) | instskip(NEXT) | instid1(VALU_DEP_1)
	v_bitop3_b32 v65, v65, v192, v191 bitop3:0x80
	v_mbcnt_lo_u32_b32 v189, v65, 0
	v_cmp_ne_u32_e64 s17, 0, v65
	s_delay_alu instid0(VALU_DEP_2) | instskip(SKIP_1) | instid1(SALU_CYCLE_1)
	v_cmp_eq_u32_e32 vcc_lo, 0, v189
	s_and_b32 s18, s17, vcc_lo
	s_and_saveexec_b32 s17, s18
	s_cbranch_execz .LBB1422_784
; %bb.783:                              ;   in Loop: Header=BB1422_722 Depth=2
	s_wait_dscnt 0x0
	v_bcnt_u32_b32 v65, v65, v188
	ds_store_b32 v161, v65 offset:544
.LBB1422_784:                           ;   in Loop: Header=BB1422_722 Depth=2
	s_or_b32 exec_lo, exec_lo, s17
	v_cmp_lt_i32_e32 vcc_lo, -1, v157
	; wave barrier
	v_cndmask_b32_e64 v65, -1, 0x80000000, vcc_lo
	s_delay_alu instid0(VALU_DEP_1) | instskip(NEXT) | instid1(VALU_DEP_1)
	v_xor_b32_e32 v187, v65, v157
	v_cmp_ne_u32_e32 vcc_lo, 0x7fffffff, v187
	v_cndmask_b32_e32 v65, 0x80000000, v187, vcc_lo
	s_delay_alu instid0(VALU_DEP_1) | instskip(NEXT) | instid1(VALU_DEP_1)
	v_lshrrev_b32_e32 v65, s49, v65
	v_and_b32_e32 v190, s58, v65
	s_delay_alu instid0(VALU_DEP_1) | instskip(SKIP_2) | instid1(VALU_DEP_3)
	v_lshlrev_b32_e32 v193, 28, v190
	v_bitop3_b32 v157, v65, 1, s58 bitop3:0x80
	v_dual_lshlrev_b32 v191, 30, v190 :: v_dual_lshlrev_b32 v192, 29, v190
	v_cmp_gt_i32_e64 s19, 0, v193
	s_delay_alu instid0(VALU_DEP_3) | instskip(NEXT) | instid1(VALU_DEP_1)
	v_add_co_u32 v65, s17, v157, -1
	v_cndmask_b32_e64 v157, 0, 1, s17
	s_delay_alu instid0(VALU_DEP_4) | instskip(SKIP_1) | instid1(VALU_DEP_3)
	v_cmp_gt_i32_e64 s17, 0, v191
	v_cmp_gt_i32_e64 s18, 0, v192
	v_cmp_ne_u32_e32 vcc_lo, 0, v157
	v_not_b32_e32 v157, v191
	v_not_b32_e32 v191, v192
	;; [unrolled: 1-line block ×3, first 2 shown]
	v_bitop3_b32 v65, vcc_lo, exec_lo, v65 bitop3:0x48
	s_delay_alu instid0(VALU_DEP_3) | instskip(SKIP_1) | instid1(VALU_DEP_2)
	v_dual_ashrrev_i32 v157, 31, v157 :: v_dual_ashrrev_i32 v191, 31, v191
	v_dual_lshlrev_b32 v194, 27, v190 :: v_dual_lshlrev_b32 v195, 26, v190
	v_dual_lshlrev_b32 v196, 25, v190 :: v_dual_bitop2_b32 v191, s18, v191 bitop3:0x14
	s_delay_alu instid0(VALU_DEP_2) | instskip(SKIP_1) | instid1(VALU_DEP_4)
	v_not_b32_e32 v193, v194
	v_cmp_gt_i32_e64 s20, 0, v194
	v_cmp_gt_i32_e64 s21, 0, v195
	v_not_b32_e32 v194, v195
	v_not_b32_e32 v195, v196
	v_dual_ashrrev_i32 v192, 31, v192 :: v_dual_ashrrev_i32 v193, 31, v193
	s_delay_alu instid0(VALU_DEP_3) | instskip(SKIP_1) | instid1(VALU_DEP_3)
	v_dual_ashrrev_i32 v194, 31, v194 :: v_dual_bitop2_b32 v157, s17, v157 bitop3:0x14
	v_cmp_gt_i32_e64 s22, 0, v196
	v_dual_ashrrev_i32 v195, 31, v195 :: v_dual_bitop2_b32 v192, s19, v192 bitop3:0x14
	s_delay_alu instid0(VALU_DEP_4) | instskip(NEXT) | instid1(VALU_DEP_4)
	v_xor_b32_e32 v193, s20, v193
	v_bitop3_b32 v65, v65, v191, v157 bitop3:0x80
	v_mad_u32_u24 v157, v190, 36, v25
	v_xor_b32_e32 v194, s21, v194
	v_xor_b32_e32 v195, s22, v195
	s_delay_alu instid0(VALU_DEP_4) | instskip(SKIP_3) | instid1(VALU_DEP_2)
	v_bitop3_b32 v65, v65, v193, v192 bitop3:0x80
	ds_load_b32 v191, v157 offset:544
	v_mul_u32_u24_e32 v157, 36, v190
	; wave barrier
	v_bitop3_b32 v65, v65, v195, v194 bitop3:0x80
	v_add_nc_u32_e32 v157, v25, v157
	s_delay_alu instid0(VALU_DEP_2) | instskip(SKIP_1) | instid1(VALU_DEP_2)
	v_mbcnt_lo_u32_b32 v192, v65, 0
	v_cmp_ne_u32_e64 s17, 0, v65
	v_cmp_eq_u32_e32 vcc_lo, 0, v192
	s_and_b32 s18, s17, vcc_lo
	s_delay_alu instid0(SALU_CYCLE_1)
	s_and_saveexec_b32 s17, s18
	s_cbranch_execz .LBB1422_786
; %bb.785:                              ;   in Loop: Header=BB1422_722 Depth=2
	s_wait_dscnt 0x0
	v_bcnt_u32_b32 v65, v65, v191
	ds_store_b32 v157, v65 offset:544
.LBB1422_786:                           ;   in Loop: Header=BB1422_722 Depth=2
	s_or_b32 exec_lo, exec_lo, s17
	v_cmp_lt_i32_e32 vcc_lo, -1, v152
	; wave barrier
	v_cndmask_b32_e64 v65, -1, 0x80000000, vcc_lo
	s_delay_alu instid0(VALU_DEP_1) | instskip(NEXT) | instid1(VALU_DEP_1)
	v_xor_b32_e32 v190, v65, v152
	v_cmp_ne_u32_e32 vcc_lo, 0x7fffffff, v190
	v_cndmask_b32_e32 v65, 0x80000000, v190, vcc_lo
	s_delay_alu instid0(VALU_DEP_1) | instskip(NEXT) | instid1(VALU_DEP_1)
	v_lshrrev_b32_e32 v65, s49, v65
	v_bitop3_b32 v152, v65, 1, s58 bitop3:0x80
	v_and_b32_e32 v193, s58, v65
	s_delay_alu instid0(VALU_DEP_2) | instskip(NEXT) | instid1(VALU_DEP_1)
	v_add_co_u32 v65, s17, v152, -1
	v_cndmask_b32_e64 v152, 0, 1, s17
	s_delay_alu instid0(VALU_DEP_3) | instskip(NEXT) | instid1(VALU_DEP_2)
	v_lshlrev_b32_e32 v194, 30, v193
	v_cmp_ne_u32_e32 vcc_lo, 0, v152
	s_delay_alu instid0(VALU_DEP_2) | instskip(SKIP_2) | instid1(VALU_DEP_3)
	v_not_b32_e32 v152, v194
	v_cmp_gt_i32_e64 s17, 0, v194
	v_bitop3_b32 v65, vcc_lo, exec_lo, v65 bitop3:0x48
	v_dual_ashrrev_i32 v152, 31, v152 :: v_dual_lshlrev_b32 v195, 29, v193
	v_dual_lshlrev_b32 v196, 28, v193 :: v_dual_lshlrev_b32 v197, 27, v193
	v_lshlrev_b32_e32 v198, 26, v193
	s_delay_alu instid0(VALU_DEP_3)
	v_not_b32_e32 v194, v195
	v_lshlrev_b32_e32 v199, 25, v193
	v_cmp_gt_i32_e64 s18, 0, v195
	v_cmp_gt_i32_e64 s19, 0, v196
	v_not_b32_e32 v195, v196
	v_not_b32_e32 v196, v197
	v_ashrrev_i32_e32 v194, 31, v194
	v_cmp_gt_i32_e64 s20, 0, v197
	v_cmp_gt_i32_e64 s21, 0, v198
	v_not_b32_e32 v197, v198
	v_not_b32_e32 v198, v199
	v_dual_ashrrev_i32 v195, 31, v195 :: v_dual_ashrrev_i32 v196, 31, v196
	s_delay_alu instid0(VALU_DEP_3) | instskip(SKIP_2) | instid1(VALU_DEP_4)
	v_dual_ashrrev_i32 v197, 31, v197 :: v_dual_bitop2_b32 v152, s17, v152 bitop3:0x14
	v_xor_b32_e32 v194, s18, v194
	v_cmp_gt_i32_e64 s22, 0, v199
	v_dual_ashrrev_i32 v198, 31, v198 :: v_dual_bitop2_b32 v195, s19, v195 bitop3:0x14
	v_xor_b32_e32 v196, s20, v196
	s_delay_alu instid0(VALU_DEP_4) | instskip(SKIP_3) | instid1(VALU_DEP_4)
	v_bitop3_b32 v65, v65, v194, v152 bitop3:0x80
	v_mad_u32_u24 v152, v193, 36, v25
	v_xor_b32_e32 v197, s21, v197
	v_xor_b32_e32 v198, s22, v198
	v_bitop3_b32 v65, v65, v196, v195 bitop3:0x80
	ds_load_b32 v194, v152 offset:544
	v_mul_u32_u24_e32 v152, 36, v193
	; wave barrier
	v_bitop3_b32 v65, v65, v198, v197 bitop3:0x80
	s_delay_alu instid0(VALU_DEP_2) | instskip(NEXT) | instid1(VALU_DEP_2)
	v_add_nc_u32_e32 v152, v25, v152
	v_mbcnt_lo_u32_b32 v195, v65, 0
	v_cmp_ne_u32_e64 s17, 0, v65
	s_delay_alu instid0(VALU_DEP_2) | instskip(SKIP_1) | instid1(SALU_CYCLE_1)
	v_cmp_eq_u32_e32 vcc_lo, 0, v195
	s_and_b32 s18, s17, vcc_lo
	s_and_saveexec_b32 s17, s18
	s_cbranch_execz .LBB1422_788
; %bb.787:                              ;   in Loop: Header=BB1422_722 Depth=2
	s_wait_dscnt 0x0
	v_bcnt_u32_b32 v65, v65, v194
	ds_store_b32 v152, v65 offset:544
.LBB1422_788:                           ;   in Loop: Header=BB1422_722 Depth=2
	s_or_b32 exec_lo, exec_lo, s17
	v_cmp_lt_i32_e32 vcc_lo, -1, v67
	; wave barrier
	v_cndmask_b32_e64 v65, -1, 0x80000000, vcc_lo
	s_delay_alu instid0(VALU_DEP_1) | instskip(NEXT) | instid1(VALU_DEP_1)
	v_xor_b32_e32 v193, v65, v67
	v_cmp_ne_u32_e32 vcc_lo, 0x7fffffff, v193
	v_cndmask_b32_e32 v65, 0x80000000, v193, vcc_lo
	s_delay_alu instid0(VALU_DEP_1) | instskip(NEXT) | instid1(VALU_DEP_1)
	v_lshrrev_b32_e32 v65, s49, v65
	v_bitop3_b32 v67, v65, 1, s58 bitop3:0x80
	v_and_b32_e32 v196, s58, v65
	s_delay_alu instid0(VALU_DEP_2) | instskip(NEXT) | instid1(VALU_DEP_1)
	v_add_co_u32 v65, s17, v67, -1
	v_cndmask_b32_e64 v67, 0, 1, s17
	s_delay_alu instid0(VALU_DEP_3) | instskip(NEXT) | instid1(VALU_DEP_2)
	v_lshlrev_b32_e32 v197, 30, v196
	v_cmp_ne_u32_e32 vcc_lo, 0, v67
	s_delay_alu instid0(VALU_DEP_2) | instskip(SKIP_1) | instid1(VALU_DEP_2)
	v_not_b32_e32 v67, v197
	v_bitop3_b32 v65, vcc_lo, exec_lo, v65 bitop3:0x48
	v_dual_ashrrev_i32 v67, 31, v67 :: v_dual_lshlrev_b32 v198, 29, v196
	v_dual_lshlrev_b32 v199, 28, v196 :: v_dual_lshlrev_b32 v200, 27, v196
	v_lshlrev_b32_e32 v201, 26, v196
	v_cmp_gt_i32_e64 s17, 0, v197
	s_delay_alu instid0(VALU_DEP_4)
	v_not_b32_e32 v197, v198
	v_lshlrev_b32_e32 v202, 25, v196
	v_cmp_gt_i32_e64 s18, 0, v198
	v_cmp_gt_i32_e64 s19, 0, v199
	v_not_b32_e32 v198, v199
	v_not_b32_e32 v199, v200
	v_ashrrev_i32_e32 v197, 31, v197
	v_cmp_gt_i32_e64 s20, 0, v200
	v_cmp_gt_i32_e64 s21, 0, v201
	v_not_b32_e32 v200, v201
	v_not_b32_e32 v201, v202
	v_dual_ashrrev_i32 v198, 31, v198 :: v_dual_ashrrev_i32 v199, 31, v199
	s_delay_alu instid0(VALU_DEP_3) | instskip(SKIP_2) | instid1(VALU_DEP_4)
	v_dual_ashrrev_i32 v200, 31, v200 :: v_dual_bitop2_b32 v67, s17, v67 bitop3:0x14
	v_xor_b32_e32 v197, s18, v197
	v_cmp_gt_i32_e64 s22, 0, v202
	v_dual_ashrrev_i32 v201, 31, v201 :: v_dual_bitop2_b32 v198, s19, v198 bitop3:0x14
	v_xor_b32_e32 v199, s20, v199
	s_delay_alu instid0(VALU_DEP_4) | instskip(SKIP_3) | instid1(VALU_DEP_4)
	v_bitop3_b32 v65, v65, v197, v67 bitop3:0x80
	v_mad_u32_u24 v67, v196, 36, v25
	v_xor_b32_e32 v200, s21, v200
	v_xor_b32_e32 v201, s22, v201
	v_bitop3_b32 v65, v65, v199, v198 bitop3:0x80
	ds_load_b32 v197, v67 offset:544
	v_mul_u32_u24_e32 v67, 36, v196
	; wave barrier
	v_bitop3_b32 v65, v65, v201, v200 bitop3:0x80
	s_delay_alu instid0(VALU_DEP_2) | instskip(NEXT) | instid1(VALU_DEP_2)
	v_add_nc_u32_e32 v199, v25, v67
	v_mbcnt_lo_u32_b32 v198, v65, 0
	v_cmp_ne_u32_e64 s17, 0, v65
	s_delay_alu instid0(VALU_DEP_2) | instskip(SKIP_1) | instid1(SALU_CYCLE_1)
	v_cmp_eq_u32_e32 vcc_lo, 0, v198
	s_and_b32 s18, s17, vcc_lo
	s_and_saveexec_b32 s17, s18
	s_cbranch_execz .LBB1422_790
; %bb.789:                              ;   in Loop: Header=BB1422_722 Depth=2
	s_wait_dscnt 0x0
	v_bcnt_u32_b32 v65, v65, v197
	ds_store_b32 v199, v65 offset:544
.LBB1422_790:                           ;   in Loop: Header=BB1422_722 Depth=2
	s_or_b32 exec_lo, exec_lo, s17
	v_cmp_lt_i32_e32 vcc_lo, -1, v66
	; wave barrier
	v_cndmask_b32_e64 v65, -1, 0x80000000, vcc_lo
	s_delay_alu instid0(VALU_DEP_1) | instskip(NEXT) | instid1(VALU_DEP_1)
	v_xor_b32_e32 v196, v65, v66
	v_cmp_ne_u32_e32 vcc_lo, 0x7fffffff, v196
	v_cndmask_b32_e32 v65, 0x80000000, v196, vcc_lo
	s_delay_alu instid0(VALU_DEP_1) | instskip(NEXT) | instid1(VALU_DEP_1)
	v_lshrrev_b32_e32 v65, s49, v65
	v_bitop3_b32 v66, v65, 1, s58 bitop3:0x80
	v_and_b32_e32 v67, s58, v65
	s_delay_alu instid0(VALU_DEP_2) | instskip(NEXT) | instid1(VALU_DEP_1)
	v_add_co_u32 v65, s17, v66, -1
	v_cndmask_b32_e64 v66, 0, 1, s17
	s_delay_alu instid0(VALU_DEP_3) | instskip(NEXT) | instid1(VALU_DEP_2)
	v_lshlrev_b32_e32 v200, 30, v67
	v_cmp_ne_u32_e32 vcc_lo, 0, v66
	s_delay_alu instid0(VALU_DEP_2) | instskip(SKIP_2) | instid1(VALU_DEP_3)
	v_not_b32_e32 v66, v200
	v_cmp_gt_i32_e64 s17, 0, v200
	v_bitop3_b32 v65, vcc_lo, exec_lo, v65 bitop3:0x48
	v_dual_ashrrev_i32 v66, 31, v66 :: v_dual_lshlrev_b32 v201, 29, v67
	v_dual_lshlrev_b32 v202, 28, v67 :: v_dual_lshlrev_b32 v203, 27, v67
	v_lshlrev_b32_e32 v204, 26, v67
	s_delay_alu instid0(VALU_DEP_3)
	v_not_b32_e32 v200, v201
	v_lshlrev_b32_e32 v205, 25, v67
	v_cmp_gt_i32_e64 s18, 0, v201
	v_cmp_gt_i32_e64 s19, 0, v202
	v_not_b32_e32 v201, v202
	v_not_b32_e32 v202, v203
	v_ashrrev_i32_e32 v200, 31, v200
	v_cmp_gt_i32_e64 s20, 0, v203
	v_cmp_gt_i32_e64 s21, 0, v204
	v_not_b32_e32 v203, v204
	v_not_b32_e32 v204, v205
	v_dual_ashrrev_i32 v201, 31, v201 :: v_dual_ashrrev_i32 v202, 31, v202
	s_delay_alu instid0(VALU_DEP_3) | instskip(SKIP_2) | instid1(VALU_DEP_4)
	v_dual_ashrrev_i32 v203, 31, v203 :: v_dual_bitop2_b32 v66, s17, v66 bitop3:0x14
	v_xor_b32_e32 v200, s18, v200
	v_cmp_gt_i32_e64 s22, 0, v205
	v_dual_ashrrev_i32 v204, 31, v204 :: v_dual_bitop2_b32 v201, s19, v201 bitop3:0x14
	v_xor_b32_e32 v202, s20, v202
	s_delay_alu instid0(VALU_DEP_4) | instskip(SKIP_3) | instid1(VALU_DEP_4)
	v_bitop3_b32 v65, v65, v200, v66 bitop3:0x80
	v_mad_u32_u24 v66, v67, 36, v25
	v_xor_b32_e32 v200, s21, v203
	v_xor_b32_e32 v203, s22, v204
	v_bitop3_b32 v65, v65, v202, v201 bitop3:0x80
	ds_load_b32 v201, v66 offset:544
	v_mul_u32_u24_e32 v66, 36, v67
	; wave barrier
	v_bitop3_b32 v65, v65, v203, v200 bitop3:0x80
	s_delay_alu instid0(VALU_DEP_2) | instskip(NEXT) | instid1(VALU_DEP_2)
	v_add_nc_u32_e32 v203, v25, v66
	v_mbcnt_lo_u32_b32 v202, v65, 0
	v_cmp_ne_u32_e64 s17, 0, v65
	s_delay_alu instid0(VALU_DEP_2) | instskip(SKIP_1) | instid1(SALU_CYCLE_1)
	v_cmp_eq_u32_e32 vcc_lo, 0, v202
	s_and_b32 s18, s17, vcc_lo
	s_and_saveexec_b32 s17, s18
	s_cbranch_execz .LBB1422_792
; %bb.791:                              ;   in Loop: Header=BB1422_722 Depth=2
	s_wait_dscnt 0x0
	v_bcnt_u32_b32 v65, v65, v201
	ds_store_b32 v203, v65 offset:544
.LBB1422_792:                           ;   in Loop: Header=BB1422_722 Depth=2
	s_or_b32 exec_lo, exec_lo, s17
	v_cmp_lt_i32_e32 vcc_lo, -1, v64
	; wave barrier
	v_cndmask_b32_e64 v65, -1, 0x80000000, vcc_lo
	s_delay_alu instid0(VALU_DEP_1) | instskip(NEXT) | instid1(VALU_DEP_1)
	v_xor_b32_e32 v200, v65, v64
	v_cmp_ne_u32_e32 vcc_lo, 0x7fffffff, v200
	v_cndmask_b32_e32 v64, 0x80000000, v200, vcc_lo
	s_delay_alu instid0(VALU_DEP_1) | instskip(NEXT) | instid1(VALU_DEP_1)
	v_lshrrev_b32_e32 v64, s49, v64
	v_bitop3_b32 v65, v64, 1, s58 bitop3:0x80
	v_and_b32_e32 v66, s58, v64
	s_delay_alu instid0(VALU_DEP_2) | instskip(NEXT) | instid1(VALU_DEP_1)
	v_add_co_u32 v64, s17, v65, -1
	v_cndmask_b32_e64 v65, 0, 1, s17
	s_delay_alu instid0(VALU_DEP_3) | instskip(NEXT) | instid1(VALU_DEP_2)
	v_lshlrev_b32_e32 v67, 30, v66
	v_cmp_ne_u32_e32 vcc_lo, 0, v65
	s_delay_alu instid0(VALU_DEP_2) | instskip(SKIP_2) | instid1(VALU_DEP_3)
	v_not_b32_e32 v65, v67
	v_cmp_gt_i32_e64 s17, 0, v67
	v_bitop3_b32 v64, vcc_lo, exec_lo, v64 bitop3:0x48
	v_dual_ashrrev_i32 v65, 31, v65 :: v_dual_lshlrev_b32 v204, 29, v66
	v_dual_lshlrev_b32 v205, 28, v66 :: v_dual_lshlrev_b32 v206, 27, v66
	v_lshlrev_b32_e32 v207, 26, v66
	s_delay_alu instid0(VALU_DEP_3)
	v_not_b32_e32 v67, v204
	v_lshlrev_b32_e32 v208, 25, v66
	v_cmp_gt_i32_e64 s18, 0, v204
	v_cmp_gt_i32_e64 s19, 0, v205
	v_not_b32_e32 v204, v205
	v_not_b32_e32 v205, v206
	v_ashrrev_i32_e32 v67, 31, v67
	v_cmp_gt_i32_e64 s20, 0, v206
	v_cmp_gt_i32_e64 s21, 0, v207
	v_not_b32_e32 v206, v207
	v_not_b32_e32 v207, v208
	v_dual_ashrrev_i32 v204, 31, v204 :: v_dual_ashrrev_i32 v205, 31, v205
	s_delay_alu instid0(VALU_DEP_3) | instskip(SKIP_2) | instid1(VALU_DEP_4)
	v_dual_ashrrev_i32 v206, 31, v206 :: v_dual_bitop2_b32 v65, s17, v65 bitop3:0x14
	v_xor_b32_e32 v67, s18, v67
	v_cmp_gt_i32_e64 s22, 0, v208
	v_dual_ashrrev_i32 v207, 31, v207 :: v_dual_bitop2_b32 v204, s19, v204 bitop3:0x14
	v_xor_b32_e32 v205, s20, v205
	s_delay_alu instid0(VALU_DEP_4) | instskip(SKIP_3) | instid1(VALU_DEP_4)
	v_bitop3_b32 v64, v64, v67, v65 bitop3:0x80
	v_mad_u32_u24 v65, v66, 36, v25
	v_xor_b32_e32 v67, s21, v206
	v_xor_b32_e32 v206, s22, v207
	v_bitop3_b32 v64, v64, v205, v204 bitop3:0x80
	ds_load_b32 v204, v65 offset:544
	v_mul_u32_u24_e32 v65, 36, v66
	; wave barrier
	v_bitop3_b32 v64, v64, v206, v67 bitop3:0x80
	s_delay_alu instid0(VALU_DEP_2) | instskip(NEXT) | instid1(VALU_DEP_2)
	v_add_nc_u32_e32 v206, v25, v65
	v_mbcnt_lo_u32_b32 v205, v64, 0
	v_cmp_ne_u32_e64 s17, 0, v64
	s_delay_alu instid0(VALU_DEP_2) | instskip(SKIP_1) | instid1(SALU_CYCLE_1)
	v_cmp_eq_u32_e32 vcc_lo, 0, v205
	s_and_b32 s18, s17, vcc_lo
	s_and_saveexec_b32 s17, s18
	s_cbranch_execz .LBB1422_794
; %bb.793:                              ;   in Loop: Header=BB1422_722 Depth=2
	s_wait_dscnt 0x0
	v_bcnt_u32_b32 v64, v64, v204
	ds_store_b32 v206, v64 offset:544
.LBB1422_794:                           ;   in Loop: Header=BB1422_722 Depth=2
	s_or_b32 exec_lo, exec_lo, s17
	; wave barrier
	s_wait_dscnt 0x0
	s_barrier_signal -1
	s_barrier_wait -1
	ds_load_2addr_b32 v[66:67], v90 offset0:136 offset1:137
	ds_load_2addr_b32 v[64:65], v90 offset0:138 offset1:139
	ds_load_b32 v207, v90 offset:560
	s_wait_dscnt 0x1
	v_add3_u32 v208, v67, v66, v64
	s_wait_dscnt 0x0
	s_delay_alu instid0(VALU_DEP_1) | instskip(NEXT) | instid1(VALU_DEP_1)
	v_add3_u32 v207, v208, v65, v207
	v_mov_b32_dpp v208, v207 row_shr:1 row_mask:0xf bank_mask:0xf
	s_delay_alu instid0(VALU_DEP_1) | instskip(NEXT) | instid1(VALU_DEP_1)
	v_cndmask_b32_e64 v208, v208, 0, s9
	v_add_nc_u32_e32 v207, v208, v207
	s_delay_alu instid0(VALU_DEP_1) | instskip(NEXT) | instid1(VALU_DEP_1)
	v_mov_b32_dpp v208, v207 row_shr:2 row_mask:0xf bank_mask:0xf
	v_cndmask_b32_e64 v208, 0, v208, s10
	s_delay_alu instid0(VALU_DEP_1) | instskip(NEXT) | instid1(VALU_DEP_1)
	v_add_nc_u32_e32 v207, v207, v208
	v_mov_b32_dpp v208, v207 row_shr:4 row_mask:0xf bank_mask:0xf
	s_delay_alu instid0(VALU_DEP_1) | instskip(NEXT) | instid1(VALU_DEP_1)
	v_cndmask_b32_e64 v208, 0, v208, s11
	v_add_nc_u32_e32 v207, v207, v208
	s_delay_alu instid0(VALU_DEP_1) | instskip(NEXT) | instid1(VALU_DEP_1)
	v_mov_b32_dpp v208, v207 row_shr:8 row_mask:0xf bank_mask:0xf
	v_cndmask_b32_e64 v208, 0, v208, s12
	s_delay_alu instid0(VALU_DEP_1) | instskip(SKIP_3) | instid1(VALU_DEP_1)
	v_add_nc_u32_e32 v207, v207, v208
	ds_swizzle_b32 v208, v207 offset:swizzle(BROADCAST,32,15)
	s_wait_dscnt 0x0
	v_cndmask_b32_e64 v208, v208, 0, s13
	v_add_nc_u32_e32 v207, v207, v208
	s_and_saveexec_b32 s17, s2
; %bb.795:                              ;   in Loop: Header=BB1422_722 Depth=2
	ds_store_b32 v83, v207 offset:512
; %bb.796:                              ;   in Loop: Header=BB1422_722 Depth=2
	s_or_b32 exec_lo, exec_lo, s17
	s_wait_dscnt 0x0
	s_barrier_signal -1
	s_barrier_wait -1
	s_and_saveexec_b32 s17, s3
	s_cbranch_execz .LBB1422_798
; %bb.797:                              ;   in Loop: Header=BB1422_722 Depth=2
	ds_load_b32 v208, v92 offset:512
	s_wait_dscnt 0x0
	v_mov_b32_dpp v209, v208 row_shr:1 row_mask:0xf bank_mask:0xf
	s_delay_alu instid0(VALU_DEP_1) | instskip(NEXT) | instid1(VALU_DEP_1)
	v_cndmask_b32_e64 v209, v209, 0, s14
	v_add_nc_u32_e32 v208, v209, v208
	s_delay_alu instid0(VALU_DEP_1) | instskip(NEXT) | instid1(VALU_DEP_1)
	v_mov_b32_dpp v209, v208 row_shr:2 row_mask:0xf bank_mask:0xf
	v_cndmask_b32_e64 v209, 0, v209, s15
	s_delay_alu instid0(VALU_DEP_1) | instskip(NEXT) | instid1(VALU_DEP_1)
	v_add_nc_u32_e32 v208, v208, v209
	v_mov_b32_dpp v209, v208 row_shr:4 row_mask:0xf bank_mask:0xf
	s_delay_alu instid0(VALU_DEP_1) | instskip(NEXT) | instid1(VALU_DEP_1)
	v_cndmask_b32_e64 v209, 0, v209, s16
	v_add_nc_u32_e32 v208, v208, v209
	ds_store_b32 v92, v208 offset:512
.LBB1422_798:                           ;   in Loop: Header=BB1422_722 Depth=2
	s_or_b32 exec_lo, exec_lo, s17
	v_mov_b32_e32 v208, 0
	s_wait_dscnt 0x0
	s_barrier_signal -1
	s_barrier_wait -1
	s_and_saveexec_b32 s17, s5
; %bb.799:                              ;   in Loop: Header=BB1422_722 Depth=2
	ds_load_b32 v208, v83 offset:508
; %bb.800:                              ;   in Loop: Header=BB1422_722 Depth=2
	s_or_b32 exec_lo, exec_lo, s17
	s_wait_dscnt 0x0
	v_add_nc_u32_e32 v207, v208, v207
	ds_bpermute_b32 v207, v119, v207
	s_wait_dscnt 0x0
	v_cndmask_b32_e64 v207, v207, v208, s8
	s_delay_alu instid0(VALU_DEP_1) | instskip(NEXT) | instid1(VALU_DEP_1)
	v_cndmask_b32_e64 v207, v207, 0, s6
	v_add_nc_u32_e32 v66, v207, v66
	s_delay_alu instid0(VALU_DEP_1) | instskip(NEXT) | instid1(VALU_DEP_1)
	v_add_nc_u32_e32 v67, v66, v67
	v_add_nc_u32_e32 v64, v67, v64
	s_delay_alu instid0(VALU_DEP_1)
	v_add_nc_u32_e32 v65, v64, v65
	ds_store_2addr_b32 v90, v207, v66 offset0:136 offset1:137
	ds_store_2addr_b32 v90, v67, v64 offset0:138 offset1:139
	ds_store_b32 v90, v65 offset:560
	s_wait_dscnt 0x0
	s_barrier_signal -1
	s_barrier_wait -1
	ds_load_b32 v66, v143 offset:544
	ds_load_b32 v67, v147 offset:544
	ds_load_b32 v143, v151 offset:544
	ds_load_b32 v147, v156 offset:544
	ds_load_b32 v151, v162 offset:544
	ds_load_b32 v207, v167 offset:544
	ds_load_b32 v172, v172 offset:544
	ds_load_b32 v176, v176 offset:544
	ds_load_b32 v179, v179 offset:544
	ds_load_b32 v182, v182 offset:544
	ds_load_b32 v186, v186 offset:544
	ds_load_b32 v208, v161 offset:544
	ds_load_b32 v209, v157 offset:544
	ds_load_b32 v210, v152 offset:544
	ds_load_b32 v64, v199 offset:544
	ds_load_b32 v65, v203 offset:544
	ds_load_b32 v167, v206 offset:544
	s_and_saveexec_b32 s17, s0
	s_cbranch_execz .LBB1422_804
; %bb.801:                              ;   in Loop: Header=BB1422_722 Depth=2
	ds_load_b32 v133, v94 offset:544
	v_mov_b32_e32 v138, 0x1100
	s_and_saveexec_b32 s18, s7
; %bb.802:                              ;   in Loop: Header=BB1422_722 Depth=2
	ds_load_b32 v138, v93 offset:544
; %bb.803:                              ;   in Loop: Header=BB1422_722 Depth=2
	s_or_b32 exec_lo, exec_lo, s18
	s_wait_dscnt 0x0
	v_sub_nc_u32_e32 v138, v138, v133
.LBB1422_804:                           ;   in Loop: Header=BB1422_722 Depth=2
	s_or_b32 exec_lo, exec_lo, s17
	s_wait_dscnt 0x0
	s_barrier_signal -1
	s_barrier_wait -1
	s_and_saveexec_b32 s17, s0
	s_cbranch_execz .LBB1422_806
; %bb.805:                              ;   in Loop: Header=BB1422_722 Depth=2
	ds_load_b32 v152, v4
	s_wait_dscnt 0x0
	v_sub_nc_u32_e32 v152, v152, v133
	ds_store_b32 v4, v152
.LBB1422_806:                           ;   in Loop: Header=BB1422_722 Depth=2
	s_or_b32 exec_lo, exec_lo, s17
	v_add3_u32 v156, v155, v154, v147
	v_add_nc_u32_e32 v162, v66, v141
	v_add3_u32 v161, v146, v145, v67
	v_add3_u32 v157, v150, v149, v143
	;; [unrolled: 1-line block ×4, first 2 shown]
	v_dual_lshlrev_b32 v65, 2, v156 :: v_dual_lshlrev_b32 v159, 2, v162
	v_lshlrev_b32_e32 v160, 2, v161
	v_add3_u32 v154, v165, v164, v207
	v_add3_u32 v152, v170, v169, v172
	;; [unrolled: 1-line block ×4, first 2 shown]
	v_lshlrev_b32_e32 v64, 2, v157
	v_add3_u32 v150, v178, v177, v179
	v_add3_u32 v149, v181, v180, v182
	ds_store_b32 v159, v140 offset:512
	ds_store_b32 v160, v142 offset:512
	v_lshlrev_b32_e32 v140, 2, v155
	v_add3_u32 v147, v185, v184, v186
	v_dual_lshlrev_b32 v142, 2, v154 :: v_dual_lshlrev_b32 v159, 2, v152
	v_add3_u32 v146, v189, v188, v208
	v_add3_u32 v67, v192, v191, v209
	ds_store_b32 v64, v144 offset:512
	ds_store_b32 v65, v148 offset:512
	;; [unrolled: 1-line block ×5, first 2 shown]
	v_dual_lshlrev_b32 v64, 2, v151 :: v_dual_lshlrev_b32 v65, 2, v150
	v_add3_u32 v66, v195, v194, v210
	v_dual_lshlrev_b32 v140, 2, v149 :: v_dual_lshlrev_b32 v142, 2, v147
	v_add3_u32 v141, v205, v204, v167
	v_lshlrev_b32_e32 v144, 2, v146
	ds_store_b32 v64, v168 offset:512
	ds_store_b32 v65, v173 offset:512
	;; [unrolled: 1-line block ×5, first 2 shown]
	v_lshlrev_b32_e32 v64, 2, v67
	v_cmp_lt_u32_e32 vcc_lo, v2, v139
	v_dual_lshlrev_b32 v65, 2, v66 :: v_dual_lshlrev_b32 v140, 2, v145
	v_dual_lshlrev_b32 v142, 2, v143 :: v_dual_lshlrev_b32 v144, 2, v141
	ds_store_b32 v64, v187 offset:512
	ds_store_b32 v65, v190 offset:512
	;; [unrolled: 1-line block ×5, first 2 shown]
	s_wait_dscnt 0x0
	s_barrier_signal -1
	s_barrier_wait -1
	s_and_saveexec_b32 s18, vcc_lo
	s_cbranch_execnz .LBB1422_879
; %bb.807:                              ;   in Loop: Header=BB1422_722 Depth=2
	s_or_b32 exec_lo, exec_lo, s18
	v_cmp_lt_u32_e64 s17, v3, v139
	s_and_saveexec_b32 s19, s17
	s_cbranch_execnz .LBB1422_880
.LBB1422_808:                           ;   in Loop: Header=BB1422_722 Depth=2
	s_or_b32 exec_lo, exec_lo, s19
	v_cmp_lt_u32_e64 s18, v68, v139
	s_and_saveexec_b32 s20, s18
	s_cbranch_execnz .LBB1422_881
.LBB1422_809:                           ;   in Loop: Header=BB1422_722 Depth=2
	s_or_b32 exec_lo, exec_lo, s20
	v_cmp_lt_u32_e64 s19, v69, v139
	s_and_saveexec_b32 s21, s19
	s_cbranch_execnz .LBB1422_882
.LBB1422_810:                           ;   in Loop: Header=BB1422_722 Depth=2
	s_or_b32 exec_lo, exec_lo, s21
	v_cmp_lt_u32_e64 s20, v70, v139
	s_and_saveexec_b32 s22, s20
	s_cbranch_execnz .LBB1422_883
.LBB1422_811:                           ;   in Loop: Header=BB1422_722 Depth=2
	s_or_b32 exec_lo, exec_lo, s22
	v_cmp_lt_u32_e64 s21, v71, v139
	s_and_saveexec_b32 s23, s21
	s_cbranch_execnz .LBB1422_884
.LBB1422_812:                           ;   in Loop: Header=BB1422_722 Depth=2
	s_or_b32 exec_lo, exec_lo, s23
	v_cmp_lt_u32_e64 s22, v72, v139
	s_and_saveexec_b32 s24, s22
	s_cbranch_execnz .LBB1422_885
.LBB1422_813:                           ;   in Loop: Header=BB1422_722 Depth=2
	s_or_b32 exec_lo, exec_lo, s24
	v_cmp_lt_u32_e64 s23, v73, v139
	s_and_saveexec_b32 s25, s23
	s_cbranch_execnz .LBB1422_886
.LBB1422_814:                           ;   in Loop: Header=BB1422_722 Depth=2
	s_or_b32 exec_lo, exec_lo, s25
	v_cmp_lt_u32_e64 s24, v74, v139
	s_and_saveexec_b32 s26, s24
	s_cbranch_execnz .LBB1422_887
.LBB1422_815:                           ;   in Loop: Header=BB1422_722 Depth=2
	s_or_b32 exec_lo, exec_lo, s26
	v_cmp_lt_u32_e64 s25, v75, v139
	s_and_saveexec_b32 s27, s25
	s_cbranch_execnz .LBB1422_888
.LBB1422_816:                           ;   in Loop: Header=BB1422_722 Depth=2
	s_or_b32 exec_lo, exec_lo, s27
	v_cmp_lt_u32_e64 s26, v76, v139
	s_and_saveexec_b32 s28, s26
	s_cbranch_execnz .LBB1422_889
.LBB1422_817:                           ;   in Loop: Header=BB1422_722 Depth=2
	s_or_b32 exec_lo, exec_lo, s28
	v_cmp_lt_u32_e64 s27, v77, v139
	s_and_saveexec_b32 s29, s27
	s_cbranch_execnz .LBB1422_890
.LBB1422_818:                           ;   in Loop: Header=BB1422_722 Depth=2
	s_or_b32 exec_lo, exec_lo, s29
	v_cmp_lt_u32_e64 s28, v78, v139
	s_and_saveexec_b32 s30, s28
	s_cbranch_execnz .LBB1422_891
.LBB1422_819:                           ;   in Loop: Header=BB1422_722 Depth=2
	s_or_b32 exec_lo, exec_lo, s30
	v_cmp_lt_u32_e64 s29, v79, v139
	s_and_saveexec_b32 s31, s29
	s_cbranch_execnz .LBB1422_892
.LBB1422_820:                           ;   in Loop: Header=BB1422_722 Depth=2
	s_or_b32 exec_lo, exec_lo, s31
	v_cmp_lt_u32_e64 s30, v80, v139
	s_and_saveexec_b32 s33, s30
	s_cbranch_execnz .LBB1422_893
.LBB1422_821:                           ;   in Loop: Header=BB1422_722 Depth=2
	s_or_b32 exec_lo, exec_lo, s33
	v_cmp_lt_u32_e64 s31, v81, v139
	s_and_saveexec_b32 s34, s31
	s_cbranch_execnz .LBB1422_894
.LBB1422_822:                           ;   in Loop: Header=BB1422_722 Depth=2
	s_or_b32 exec_lo, exec_lo, s34
	v_cmp_lt_u32_e64 s33, v82, v139
	s_and_saveexec_b32 s61, s33
	s_cbranch_execz .LBB1422_824
.LBB1422_823:                           ;   in Loop: Header=BB1422_722 Depth=2
	ds_load_b32 v64, v92 offset:16896
	s_wait_dscnt 0x0
	v_cmp_ne_u32_e64 s34, 0x7fffffff, v64
	s_delay_alu instid0(VALU_DEP_1) | instskip(SKIP_1) | instid1(VALU_DEP_1)
	v_cndmask_b32_e64 v65, 0x80000000, v64, s34
	v_cmp_lt_i32_e64 s34, -1, v64
	v_cndmask_b32_e64 v140, 0x80000000, -1, s34
	s_delay_alu instid0(VALU_DEP_1) | instskip(NEXT) | instid1(VALU_DEP_1)
	v_dual_lshrrev_b32 v65, s49, v65 :: v_dual_bitop2_b32 v64, v140, v64 bitop3:0x14
	v_and_b32_e32 v65, s58, v65
	s_delay_alu instid0(VALU_DEP_1)
	v_lshlrev_b32_e32 v65, 2, v65
	ds_load_b32 v65, v65
	s_wait_dscnt 0x0
	v_add_nc_u32_e32 v65, v65, v82
	global_store_b32 v65, v64, s[38:39] scale_offset
.LBB1422_824:                           ;   in Loop: Header=BB1422_722 Depth=2
	s_wait_xcnt 0x0
	s_or_b32 exec_lo, exec_lo, s61
	v_lshl_add_u64 v[64:65], s[42:43], 3, v[26:27]
	v_cmp_lt_u32_e64 s34, v101, v139
	s_and_saveexec_b32 s42, s34
	s_delay_alu instid0(SALU_CYCLE_1)
	s_xor_b32 s34, exec_lo, s42
	s_cbranch_execnz .LBB1422_895
; %bb.825:                              ;   in Loop: Header=BB1422_722 Depth=2
	s_or_b32 exec_lo, exec_lo, s34
	s_delay_alu instid0(SALU_CYCLE_1)
	s_mov_b32 s42, exec_lo
	v_cmpx_lt_u32_e64 v104, v139
	s_cbranch_execnz .LBB1422_896
.LBB1422_826:                           ;   in Loop: Header=BB1422_722 Depth=2
	s_or_b32 exec_lo, exec_lo, s42
	s_delay_alu instid0(SALU_CYCLE_1)
	s_mov_b32 s42, exec_lo
	v_cmpx_lt_u32_e64 v105, v139
	s_cbranch_execnz .LBB1422_897
.LBB1422_827:                           ;   in Loop: Header=BB1422_722 Depth=2
	s_or_b32 exec_lo, exec_lo, s42
	s_delay_alu instid0(SALU_CYCLE_1)
	s_mov_b32 s42, exec_lo
	v_cmpx_lt_u32_e64 v106, v139
	s_cbranch_execnz .LBB1422_898
.LBB1422_828:                           ;   in Loop: Header=BB1422_722 Depth=2
	s_or_b32 exec_lo, exec_lo, s42
	s_delay_alu instid0(SALU_CYCLE_1)
	s_mov_b32 s42, exec_lo
	v_cmpx_lt_u32_e64 v107, v139
	s_cbranch_execnz .LBB1422_899
.LBB1422_829:                           ;   in Loop: Header=BB1422_722 Depth=2
	s_or_b32 exec_lo, exec_lo, s42
	s_delay_alu instid0(SALU_CYCLE_1)
	s_mov_b32 s42, exec_lo
	v_cmpx_lt_u32_e64 v108, v139
	s_cbranch_execnz .LBB1422_900
.LBB1422_830:                           ;   in Loop: Header=BB1422_722 Depth=2
	s_or_b32 exec_lo, exec_lo, s42
	s_delay_alu instid0(SALU_CYCLE_1)
	s_mov_b32 s42, exec_lo
	v_cmpx_lt_u32_e64 v109, v139
	s_cbranch_execnz .LBB1422_901
.LBB1422_831:                           ;   in Loop: Header=BB1422_722 Depth=2
	s_or_b32 exec_lo, exec_lo, s42
	s_delay_alu instid0(SALU_CYCLE_1)
	s_mov_b32 s42, exec_lo
	v_cmpx_lt_u32_e64 v110, v139
	s_cbranch_execnz .LBB1422_902
.LBB1422_832:                           ;   in Loop: Header=BB1422_722 Depth=2
	s_or_b32 exec_lo, exec_lo, s42
	s_delay_alu instid0(SALU_CYCLE_1)
	s_mov_b32 s42, exec_lo
	v_cmpx_lt_u32_e64 v111, v139
	s_cbranch_execnz .LBB1422_903
.LBB1422_833:                           ;   in Loop: Header=BB1422_722 Depth=2
	s_or_b32 exec_lo, exec_lo, s42
	s_delay_alu instid0(SALU_CYCLE_1)
	s_mov_b32 s42, exec_lo
	v_cmpx_lt_u32_e64 v112, v139
	s_cbranch_execnz .LBB1422_904
.LBB1422_834:                           ;   in Loop: Header=BB1422_722 Depth=2
	s_or_b32 exec_lo, exec_lo, s42
	s_delay_alu instid0(SALU_CYCLE_1)
	s_mov_b32 s42, exec_lo
	v_cmpx_lt_u32_e64 v113, v139
	s_cbranch_execnz .LBB1422_905
.LBB1422_835:                           ;   in Loop: Header=BB1422_722 Depth=2
	s_or_b32 exec_lo, exec_lo, s42
	s_delay_alu instid0(SALU_CYCLE_1)
	s_mov_b32 s42, exec_lo
	v_cmpx_lt_u32_e64 v114, v139
	s_cbranch_execnz .LBB1422_906
.LBB1422_836:                           ;   in Loop: Header=BB1422_722 Depth=2
	s_or_b32 exec_lo, exec_lo, s42
	s_delay_alu instid0(SALU_CYCLE_1)
	s_mov_b32 s42, exec_lo
	v_cmpx_lt_u32_e64 v115, v139
	s_cbranch_execnz .LBB1422_907
.LBB1422_837:                           ;   in Loop: Header=BB1422_722 Depth=2
	s_or_b32 exec_lo, exec_lo, s42
	s_delay_alu instid0(SALU_CYCLE_1)
	s_mov_b32 s42, exec_lo
	v_cmpx_lt_u32_e64 v116, v139
	s_cbranch_execnz .LBB1422_908
.LBB1422_838:                           ;   in Loop: Header=BB1422_722 Depth=2
	s_or_b32 exec_lo, exec_lo, s42
	s_delay_alu instid0(SALU_CYCLE_1)
	s_mov_b32 s42, exec_lo
	v_cmpx_lt_u32_e64 v117, v139
	s_cbranch_execnz .LBB1422_909
.LBB1422_839:                           ;   in Loop: Header=BB1422_722 Depth=2
	s_or_b32 exec_lo, exec_lo, s42
	s_delay_alu instid0(SALU_CYCLE_1)
	s_mov_b32 s42, exec_lo
	v_cmpx_lt_u32_e64 v118, v139
	s_cbranch_execnz .LBB1422_910
.LBB1422_840:                           ;   in Loop: Header=BB1422_722 Depth=2
	s_or_b32 exec_lo, exec_lo, s42
	s_delay_alu instid0(SALU_CYCLE_1)
	s_mov_b32 s42, exec_lo
	v_cmpx_lt_u32_e64 v5, v139
	s_cbranch_execnz .LBB1422_911
.LBB1422_841:                           ;   in Loop: Header=BB1422_722 Depth=2
	s_or_b32 exec_lo, exec_lo, s42
	s_and_saveexec_b32 s42, vcc_lo
	s_cbranch_execnz .LBB1422_912
.LBB1422_842:                           ;   in Loop: Header=BB1422_722 Depth=2
	s_or_b32 exec_lo, exec_lo, s42
	s_and_saveexec_b32 s42, s17
	s_cbranch_execnz .LBB1422_913
.LBB1422_843:                           ;   in Loop: Header=BB1422_722 Depth=2
	s_or_b32 exec_lo, exec_lo, s42
	s_and_saveexec_b32 s42, s18
	s_cbranch_execnz .LBB1422_914
.LBB1422_844:                           ;   in Loop: Header=BB1422_722 Depth=2
	s_or_b32 exec_lo, exec_lo, s42
	s_and_saveexec_b32 s42, s19
	s_cbranch_execnz .LBB1422_915
.LBB1422_845:                           ;   in Loop: Header=BB1422_722 Depth=2
	s_or_b32 exec_lo, exec_lo, s42
	s_and_saveexec_b32 s42, s20
	s_cbranch_execnz .LBB1422_916
.LBB1422_846:                           ;   in Loop: Header=BB1422_722 Depth=2
	s_or_b32 exec_lo, exec_lo, s42
	s_and_saveexec_b32 s42, s21
	s_cbranch_execnz .LBB1422_917
.LBB1422_847:                           ;   in Loop: Header=BB1422_722 Depth=2
	s_or_b32 exec_lo, exec_lo, s42
	s_and_saveexec_b32 s42, s22
	s_cbranch_execnz .LBB1422_918
.LBB1422_848:                           ;   in Loop: Header=BB1422_722 Depth=2
	s_or_b32 exec_lo, exec_lo, s42
	s_and_saveexec_b32 s42, s23
	s_cbranch_execnz .LBB1422_919
.LBB1422_849:                           ;   in Loop: Header=BB1422_722 Depth=2
	s_or_b32 exec_lo, exec_lo, s42
	s_and_saveexec_b32 s42, s24
	s_cbranch_execnz .LBB1422_920
.LBB1422_850:                           ;   in Loop: Header=BB1422_722 Depth=2
	s_or_b32 exec_lo, exec_lo, s42
	s_and_saveexec_b32 s42, s25
	s_cbranch_execnz .LBB1422_921
.LBB1422_851:                           ;   in Loop: Header=BB1422_722 Depth=2
	s_or_b32 exec_lo, exec_lo, s42
	s_and_saveexec_b32 s42, s26
	s_cbranch_execnz .LBB1422_922
.LBB1422_852:                           ;   in Loop: Header=BB1422_722 Depth=2
	s_or_b32 exec_lo, exec_lo, s42
	s_and_saveexec_b32 s42, s27
	s_cbranch_execnz .LBB1422_923
.LBB1422_853:                           ;   in Loop: Header=BB1422_722 Depth=2
	s_or_b32 exec_lo, exec_lo, s42
	s_and_saveexec_b32 s42, s28
	s_cbranch_execnz .LBB1422_924
.LBB1422_854:                           ;   in Loop: Header=BB1422_722 Depth=2
	s_or_b32 exec_lo, exec_lo, s42
	s_and_saveexec_b32 s42, s29
	s_cbranch_execnz .LBB1422_925
.LBB1422_855:                           ;   in Loop: Header=BB1422_722 Depth=2
	s_or_b32 exec_lo, exec_lo, s42
	s_and_saveexec_b32 s42, s30
	s_cbranch_execnz .LBB1422_926
.LBB1422_856:                           ;   in Loop: Header=BB1422_722 Depth=2
	s_or_b32 exec_lo, exec_lo, s42
	s_and_saveexec_b32 s42, s31
	s_cbranch_execnz .LBB1422_927
.LBB1422_857:                           ;   in Loop: Header=BB1422_722 Depth=2
	s_or_b32 exec_lo, exec_lo, s42
	s_and_saveexec_b32 s42, s33
	s_cbranch_execz .LBB1422_859
.LBB1422_858:                           ;   in Loop: Header=BB1422_722 Depth=2
	ds_load_b32 v64, v92 offset:16896
	s_wait_dscnt 0x0
	v_cmp_ne_u32_e64 s34, 0x7fffffff, v64
	s_delay_alu instid0(VALU_DEP_1) | instskip(NEXT) | instid1(VALU_DEP_1)
	v_cndmask_b32_e64 v64, 0x80000000, v64, s34
	v_lshrrev_b32_e32 v64, s49, v64
	s_delay_alu instid0(VALU_DEP_1)
	v_and_b32_e32 v120, s58, v64
.LBB1422_859:                           ;   in Loop: Header=BB1422_722 Depth=2
	s_or_b32 exec_lo, exec_lo, s42
	v_dual_lshlrev_b32 v64, 3, v162 :: v_dual_lshlrev_b32 v65, 3, v161
	s_wait_loadcnt 0x0
	s_wait_storecnt 0x0
	s_barrier_signal -1
	s_barrier_wait -1
	ds_store_b64 v64, v[62:63] offset:512
	ds_store_b64 v65, v[60:61] offset:512
	v_dual_lshlrev_b32 v64, 3, v157 :: v_dual_lshlrev_b32 v65, 3, v156
	v_dual_lshlrev_b32 v139, 3, v155 :: v_dual_lshlrev_b32 v140, 3, v154
	v_lshlrev_b32_e32 v142, 3, v152
	ds_store_b64 v64, v[58:59] offset:512
	ds_store_b64 v65, v[56:57] offset:512
	ds_store_b64 v139, v[54:55] offset:512
	ds_store_b64 v140, v[52:53] offset:512
	ds_store_b64 v142, v[50:51] offset:512
	v_dual_lshlrev_b32 v64, 3, v151 :: v_dual_lshlrev_b32 v65, 3, v150
	v_dual_lshlrev_b32 v139, 3, v149 :: v_dual_lshlrev_b32 v140, 3, v147
	v_lshlrev_b32_e32 v142, 3, v146
	ds_store_b64 v64, v[48:49] offset:512
	ds_store_b64 v65, v[46:47] offset:512
	ds_store_b64 v139, v[44:45] offset:512
	;; [unrolled: 8-line block ×3, first 2 shown]
	ds_store_b64 v67, v[32:33] offset:512
	ds_store_b64 v139, v[30:31] offset:512
	s_wait_dscnt 0x0
	s_barrier_signal -1
	s_barrier_wait -1
	s_and_saveexec_b32 s34, vcc_lo
	s_cbranch_execnz .LBB1422_928
; %bb.860:                              ;   in Loop: Header=BB1422_722 Depth=2
	s_or_b32 exec_lo, exec_lo, s34
	s_and_saveexec_b32 s34, s17
	s_cbranch_execnz .LBB1422_929
.LBB1422_861:                           ;   in Loop: Header=BB1422_722 Depth=2
	s_or_b32 exec_lo, exec_lo, s34
	s_and_saveexec_b32 s17, s18
	s_cbranch_execnz .LBB1422_930
.LBB1422_862:                           ;   in Loop: Header=BB1422_722 Depth=2
	s_or_b32 exec_lo, exec_lo, s17
	s_and_saveexec_b32 s17, s19
	s_cbranch_execnz .LBB1422_931
.LBB1422_863:                           ;   in Loop: Header=BB1422_722 Depth=2
	s_or_b32 exec_lo, exec_lo, s17
	s_and_saveexec_b32 s17, s20
	s_cbranch_execnz .LBB1422_932
.LBB1422_864:                           ;   in Loop: Header=BB1422_722 Depth=2
	s_or_b32 exec_lo, exec_lo, s17
	s_and_saveexec_b32 s17, s21
	s_cbranch_execnz .LBB1422_933
.LBB1422_865:                           ;   in Loop: Header=BB1422_722 Depth=2
	s_or_b32 exec_lo, exec_lo, s17
	s_and_saveexec_b32 s17, s22
	s_cbranch_execnz .LBB1422_934
.LBB1422_866:                           ;   in Loop: Header=BB1422_722 Depth=2
	s_or_b32 exec_lo, exec_lo, s17
	s_and_saveexec_b32 s17, s23
	s_cbranch_execnz .LBB1422_935
.LBB1422_867:                           ;   in Loop: Header=BB1422_722 Depth=2
	s_or_b32 exec_lo, exec_lo, s17
	s_and_saveexec_b32 s17, s24
	s_cbranch_execnz .LBB1422_936
.LBB1422_868:                           ;   in Loop: Header=BB1422_722 Depth=2
	s_or_b32 exec_lo, exec_lo, s17
	s_and_saveexec_b32 s17, s25
	s_cbranch_execnz .LBB1422_937
.LBB1422_869:                           ;   in Loop: Header=BB1422_722 Depth=2
	s_or_b32 exec_lo, exec_lo, s17
	s_and_saveexec_b32 s17, s26
	s_cbranch_execnz .LBB1422_938
.LBB1422_870:                           ;   in Loop: Header=BB1422_722 Depth=2
	s_or_b32 exec_lo, exec_lo, s17
	s_and_saveexec_b32 s17, s27
	s_cbranch_execnz .LBB1422_939
.LBB1422_871:                           ;   in Loop: Header=BB1422_722 Depth=2
	s_or_b32 exec_lo, exec_lo, s17
	s_and_saveexec_b32 s17, s28
	s_cbranch_execnz .LBB1422_940
.LBB1422_872:                           ;   in Loop: Header=BB1422_722 Depth=2
	s_or_b32 exec_lo, exec_lo, s17
	s_and_saveexec_b32 s17, s29
	s_cbranch_execnz .LBB1422_941
.LBB1422_873:                           ;   in Loop: Header=BB1422_722 Depth=2
	s_or_b32 exec_lo, exec_lo, s17
	s_and_saveexec_b32 s17, s30
	s_cbranch_execnz .LBB1422_942
.LBB1422_874:                           ;   in Loop: Header=BB1422_722 Depth=2
	s_or_b32 exec_lo, exec_lo, s17
	s_and_saveexec_b32 s17, s31
	s_cbranch_execnz .LBB1422_943
.LBB1422_875:                           ;   in Loop: Header=BB1422_722 Depth=2
	s_or_b32 exec_lo, exec_lo, s17
	s_and_saveexec_b32 s17, s33
	s_cbranch_execz .LBB1422_877
.LBB1422_876:                           ;   in Loop: Header=BB1422_722 Depth=2
	v_lshlrev_b32_e32 v64, 2, v120
	v_add_nc_u32_e32 v65, v92, v4
	ds_load_b32 v66, v64
	ds_load_b64 v[64:65], v65 offset:33280
	s_wait_dscnt 0x1
	v_add_nc_u32_e32 v66, v66, v82
	s_wait_dscnt 0x0
	global_store_b64 v66, v[64:65], s[44:45] scale_offset
.LBB1422_877:                           ;   in Loop: Header=BB1422_722 Depth=2
	s_wait_xcnt 0x0
	s_or_b32 exec_lo, exec_lo, s17
	s_wait_storecnt 0x0
	s_barrier_signal -1
	s_barrier_wait -1
	s_and_saveexec_b32 s17, s0
	s_cbranch_execz .LBB1422_721
; %bb.878:                              ;   in Loop: Header=BB1422_722 Depth=2
	ds_load_b32 v64, v4
	s_wait_dscnt 0x0
	v_add3_u32 v64, v133, v138, v64
	ds_store_b32 v4, v64
	s_branch .LBB1422_721
.LBB1422_879:                           ;   in Loop: Header=BB1422_722 Depth=2
	ds_load_b32 v64, v92 offset:512
	s_wait_dscnt 0x0
	v_cmp_ne_u32_e64 s17, 0x7fffffff, v64
	s_delay_alu instid0(VALU_DEP_1) | instskip(SKIP_1) | instid1(VALU_DEP_1)
	v_cndmask_b32_e64 v65, 0x80000000, v64, s17
	v_cmp_lt_i32_e64 s17, -1, v64
	v_cndmask_b32_e64 v140, 0x80000000, -1, s17
	s_delay_alu instid0(VALU_DEP_1) | instskip(NEXT) | instid1(VALU_DEP_1)
	v_dual_lshrrev_b32 v65, s49, v65 :: v_dual_bitop2_b32 v64, v140, v64 bitop3:0x14
	v_and_b32_e32 v65, s58, v65
	s_delay_alu instid0(VALU_DEP_1)
	v_lshlrev_b32_e32 v65, 2, v65
	ds_load_b32 v65, v65
	s_wait_dscnt 0x0
	v_add_nc_u32_e32 v65, v65, v2
	global_store_b32 v65, v64, s[38:39] scale_offset
	s_wait_xcnt 0x0
	s_or_b32 exec_lo, exec_lo, s18
	v_cmp_lt_u32_e64 s17, v3, v139
	s_and_saveexec_b32 s19, s17
	s_cbranch_execz .LBB1422_808
.LBB1422_880:                           ;   in Loop: Header=BB1422_722 Depth=2
	ds_load_b32 v64, v92 offset:1536
	s_wait_dscnt 0x0
	v_cmp_ne_u32_e64 s18, 0x7fffffff, v64
	s_delay_alu instid0(VALU_DEP_1) | instskip(SKIP_1) | instid1(VALU_DEP_1)
	v_cndmask_b32_e64 v65, 0x80000000, v64, s18
	v_cmp_lt_i32_e64 s18, -1, v64
	v_cndmask_b32_e64 v140, 0x80000000, -1, s18
	s_delay_alu instid0(VALU_DEP_1) | instskip(NEXT) | instid1(VALU_DEP_1)
	v_dual_lshrrev_b32 v65, s49, v65 :: v_dual_bitop2_b32 v64, v140, v64 bitop3:0x14
	v_and_b32_e32 v65, s58, v65
	s_delay_alu instid0(VALU_DEP_1)
	v_lshlrev_b32_e32 v65, 2, v65
	ds_load_b32 v65, v65
	s_wait_dscnt 0x0
	v_add_nc_u32_e32 v65, v65, v3
	global_store_b32 v65, v64, s[38:39] scale_offset
	s_wait_xcnt 0x0
	s_or_b32 exec_lo, exec_lo, s19
	v_cmp_lt_u32_e64 s18, v68, v139
	s_and_saveexec_b32 s20, s18
	s_cbranch_execz .LBB1422_809
.LBB1422_881:                           ;   in Loop: Header=BB1422_722 Depth=2
	ds_load_b32 v64, v92 offset:2560
	s_wait_dscnt 0x0
	v_cmp_ne_u32_e64 s19, 0x7fffffff, v64
	s_delay_alu instid0(VALU_DEP_1) | instskip(SKIP_1) | instid1(VALU_DEP_1)
	v_cndmask_b32_e64 v65, 0x80000000, v64, s19
	v_cmp_lt_i32_e64 s19, -1, v64
	v_cndmask_b32_e64 v140, 0x80000000, -1, s19
	s_delay_alu instid0(VALU_DEP_1) | instskip(NEXT) | instid1(VALU_DEP_1)
	v_dual_lshrrev_b32 v65, s49, v65 :: v_dual_bitop2_b32 v64, v140, v64 bitop3:0x14
	v_and_b32_e32 v65, s58, v65
	s_delay_alu instid0(VALU_DEP_1)
	v_lshlrev_b32_e32 v65, 2, v65
	ds_load_b32 v65, v65
	s_wait_dscnt 0x0
	v_add_nc_u32_e32 v65, v65, v68
	global_store_b32 v65, v64, s[38:39] scale_offset
	s_wait_xcnt 0x0
	s_or_b32 exec_lo, exec_lo, s20
	v_cmp_lt_u32_e64 s19, v69, v139
	s_and_saveexec_b32 s21, s19
	s_cbranch_execz .LBB1422_810
.LBB1422_882:                           ;   in Loop: Header=BB1422_722 Depth=2
	ds_load_b32 v64, v92 offset:3584
	s_wait_dscnt 0x0
	v_cmp_ne_u32_e64 s20, 0x7fffffff, v64
	s_delay_alu instid0(VALU_DEP_1) | instskip(SKIP_1) | instid1(VALU_DEP_1)
	v_cndmask_b32_e64 v65, 0x80000000, v64, s20
	v_cmp_lt_i32_e64 s20, -1, v64
	v_cndmask_b32_e64 v140, 0x80000000, -1, s20
	s_delay_alu instid0(VALU_DEP_1) | instskip(NEXT) | instid1(VALU_DEP_1)
	v_dual_lshrrev_b32 v65, s49, v65 :: v_dual_bitop2_b32 v64, v140, v64 bitop3:0x14
	v_and_b32_e32 v65, s58, v65
	s_delay_alu instid0(VALU_DEP_1)
	v_lshlrev_b32_e32 v65, 2, v65
	ds_load_b32 v65, v65
	s_wait_dscnt 0x0
	v_add_nc_u32_e32 v65, v65, v69
	global_store_b32 v65, v64, s[38:39] scale_offset
	s_wait_xcnt 0x0
	s_or_b32 exec_lo, exec_lo, s21
	v_cmp_lt_u32_e64 s20, v70, v139
	s_and_saveexec_b32 s22, s20
	s_cbranch_execz .LBB1422_811
.LBB1422_883:                           ;   in Loop: Header=BB1422_722 Depth=2
	ds_load_b32 v64, v92 offset:4608
	s_wait_dscnt 0x0
	v_cmp_ne_u32_e64 s21, 0x7fffffff, v64
	s_delay_alu instid0(VALU_DEP_1) | instskip(SKIP_1) | instid1(VALU_DEP_1)
	v_cndmask_b32_e64 v65, 0x80000000, v64, s21
	v_cmp_lt_i32_e64 s21, -1, v64
	v_cndmask_b32_e64 v140, 0x80000000, -1, s21
	s_delay_alu instid0(VALU_DEP_1) | instskip(NEXT) | instid1(VALU_DEP_1)
	v_dual_lshrrev_b32 v65, s49, v65 :: v_dual_bitop2_b32 v64, v140, v64 bitop3:0x14
	v_and_b32_e32 v65, s58, v65
	s_delay_alu instid0(VALU_DEP_1)
	v_lshlrev_b32_e32 v65, 2, v65
	ds_load_b32 v65, v65
	s_wait_dscnt 0x0
	v_add_nc_u32_e32 v65, v65, v70
	global_store_b32 v65, v64, s[38:39] scale_offset
	s_wait_xcnt 0x0
	s_or_b32 exec_lo, exec_lo, s22
	v_cmp_lt_u32_e64 s21, v71, v139
	s_and_saveexec_b32 s23, s21
	s_cbranch_execz .LBB1422_812
.LBB1422_884:                           ;   in Loop: Header=BB1422_722 Depth=2
	ds_load_b32 v64, v92 offset:5632
	s_wait_dscnt 0x0
	v_cmp_ne_u32_e64 s22, 0x7fffffff, v64
	s_delay_alu instid0(VALU_DEP_1) | instskip(SKIP_1) | instid1(VALU_DEP_1)
	v_cndmask_b32_e64 v65, 0x80000000, v64, s22
	v_cmp_lt_i32_e64 s22, -1, v64
	v_cndmask_b32_e64 v140, 0x80000000, -1, s22
	s_delay_alu instid0(VALU_DEP_1) | instskip(NEXT) | instid1(VALU_DEP_1)
	v_dual_lshrrev_b32 v65, s49, v65 :: v_dual_bitop2_b32 v64, v140, v64 bitop3:0x14
	v_and_b32_e32 v65, s58, v65
	s_delay_alu instid0(VALU_DEP_1)
	v_lshlrev_b32_e32 v65, 2, v65
	ds_load_b32 v65, v65
	s_wait_dscnt 0x0
	v_add_nc_u32_e32 v65, v65, v71
	global_store_b32 v65, v64, s[38:39] scale_offset
	s_wait_xcnt 0x0
	s_or_b32 exec_lo, exec_lo, s23
	v_cmp_lt_u32_e64 s22, v72, v139
	s_and_saveexec_b32 s24, s22
	s_cbranch_execz .LBB1422_813
.LBB1422_885:                           ;   in Loop: Header=BB1422_722 Depth=2
	ds_load_b32 v64, v92 offset:6656
	s_wait_dscnt 0x0
	v_cmp_ne_u32_e64 s23, 0x7fffffff, v64
	s_delay_alu instid0(VALU_DEP_1) | instskip(SKIP_1) | instid1(VALU_DEP_1)
	v_cndmask_b32_e64 v65, 0x80000000, v64, s23
	v_cmp_lt_i32_e64 s23, -1, v64
	v_cndmask_b32_e64 v140, 0x80000000, -1, s23
	s_delay_alu instid0(VALU_DEP_1) | instskip(NEXT) | instid1(VALU_DEP_1)
	v_dual_lshrrev_b32 v65, s49, v65 :: v_dual_bitop2_b32 v64, v140, v64 bitop3:0x14
	v_and_b32_e32 v65, s58, v65
	s_delay_alu instid0(VALU_DEP_1)
	v_lshlrev_b32_e32 v65, 2, v65
	ds_load_b32 v65, v65
	s_wait_dscnt 0x0
	v_add_nc_u32_e32 v65, v65, v72
	global_store_b32 v65, v64, s[38:39] scale_offset
	s_wait_xcnt 0x0
	s_or_b32 exec_lo, exec_lo, s24
	v_cmp_lt_u32_e64 s23, v73, v139
	s_and_saveexec_b32 s25, s23
	s_cbranch_execz .LBB1422_814
.LBB1422_886:                           ;   in Loop: Header=BB1422_722 Depth=2
	ds_load_b32 v64, v92 offset:7680
	s_wait_dscnt 0x0
	v_cmp_ne_u32_e64 s24, 0x7fffffff, v64
	s_delay_alu instid0(VALU_DEP_1) | instskip(SKIP_1) | instid1(VALU_DEP_1)
	v_cndmask_b32_e64 v65, 0x80000000, v64, s24
	v_cmp_lt_i32_e64 s24, -1, v64
	v_cndmask_b32_e64 v140, 0x80000000, -1, s24
	s_delay_alu instid0(VALU_DEP_1) | instskip(NEXT) | instid1(VALU_DEP_1)
	v_dual_lshrrev_b32 v65, s49, v65 :: v_dual_bitop2_b32 v64, v140, v64 bitop3:0x14
	v_and_b32_e32 v65, s58, v65
	s_delay_alu instid0(VALU_DEP_1)
	v_lshlrev_b32_e32 v65, 2, v65
	ds_load_b32 v65, v65
	s_wait_dscnt 0x0
	v_add_nc_u32_e32 v65, v65, v73
	global_store_b32 v65, v64, s[38:39] scale_offset
	s_wait_xcnt 0x0
	s_or_b32 exec_lo, exec_lo, s25
	v_cmp_lt_u32_e64 s24, v74, v139
	s_and_saveexec_b32 s26, s24
	s_cbranch_execz .LBB1422_815
.LBB1422_887:                           ;   in Loop: Header=BB1422_722 Depth=2
	ds_load_b32 v64, v92 offset:8704
	s_wait_dscnt 0x0
	v_cmp_ne_u32_e64 s25, 0x7fffffff, v64
	s_delay_alu instid0(VALU_DEP_1) | instskip(SKIP_1) | instid1(VALU_DEP_1)
	v_cndmask_b32_e64 v65, 0x80000000, v64, s25
	v_cmp_lt_i32_e64 s25, -1, v64
	v_cndmask_b32_e64 v140, 0x80000000, -1, s25
	s_delay_alu instid0(VALU_DEP_1) | instskip(NEXT) | instid1(VALU_DEP_1)
	v_dual_lshrrev_b32 v65, s49, v65 :: v_dual_bitop2_b32 v64, v140, v64 bitop3:0x14
	v_and_b32_e32 v65, s58, v65
	s_delay_alu instid0(VALU_DEP_1)
	v_lshlrev_b32_e32 v65, 2, v65
	ds_load_b32 v65, v65
	s_wait_dscnt 0x0
	v_add_nc_u32_e32 v65, v65, v74
	global_store_b32 v65, v64, s[38:39] scale_offset
	s_wait_xcnt 0x0
	s_or_b32 exec_lo, exec_lo, s26
	v_cmp_lt_u32_e64 s25, v75, v139
	s_and_saveexec_b32 s27, s25
	s_cbranch_execz .LBB1422_816
.LBB1422_888:                           ;   in Loop: Header=BB1422_722 Depth=2
	ds_load_b32 v64, v92 offset:9728
	s_wait_dscnt 0x0
	v_cmp_ne_u32_e64 s26, 0x7fffffff, v64
	s_delay_alu instid0(VALU_DEP_1) | instskip(SKIP_1) | instid1(VALU_DEP_1)
	v_cndmask_b32_e64 v65, 0x80000000, v64, s26
	v_cmp_lt_i32_e64 s26, -1, v64
	v_cndmask_b32_e64 v140, 0x80000000, -1, s26
	s_delay_alu instid0(VALU_DEP_1) | instskip(NEXT) | instid1(VALU_DEP_1)
	v_dual_lshrrev_b32 v65, s49, v65 :: v_dual_bitop2_b32 v64, v140, v64 bitop3:0x14
	v_and_b32_e32 v65, s58, v65
	s_delay_alu instid0(VALU_DEP_1)
	v_lshlrev_b32_e32 v65, 2, v65
	ds_load_b32 v65, v65
	s_wait_dscnt 0x0
	v_add_nc_u32_e32 v65, v65, v75
	global_store_b32 v65, v64, s[38:39] scale_offset
	s_wait_xcnt 0x0
	s_or_b32 exec_lo, exec_lo, s27
	v_cmp_lt_u32_e64 s26, v76, v139
	s_and_saveexec_b32 s28, s26
	s_cbranch_execz .LBB1422_817
.LBB1422_889:                           ;   in Loop: Header=BB1422_722 Depth=2
	ds_load_b32 v64, v92 offset:10752
	s_wait_dscnt 0x0
	v_cmp_ne_u32_e64 s27, 0x7fffffff, v64
	s_delay_alu instid0(VALU_DEP_1) | instskip(SKIP_1) | instid1(VALU_DEP_1)
	v_cndmask_b32_e64 v65, 0x80000000, v64, s27
	v_cmp_lt_i32_e64 s27, -1, v64
	v_cndmask_b32_e64 v140, 0x80000000, -1, s27
	s_delay_alu instid0(VALU_DEP_1) | instskip(NEXT) | instid1(VALU_DEP_1)
	v_dual_lshrrev_b32 v65, s49, v65 :: v_dual_bitop2_b32 v64, v140, v64 bitop3:0x14
	v_and_b32_e32 v65, s58, v65
	s_delay_alu instid0(VALU_DEP_1)
	v_lshlrev_b32_e32 v65, 2, v65
	ds_load_b32 v65, v65
	s_wait_dscnt 0x0
	v_add_nc_u32_e32 v65, v65, v76
	global_store_b32 v65, v64, s[38:39] scale_offset
	s_wait_xcnt 0x0
	s_or_b32 exec_lo, exec_lo, s28
	v_cmp_lt_u32_e64 s27, v77, v139
	s_and_saveexec_b32 s29, s27
	s_cbranch_execz .LBB1422_818
.LBB1422_890:                           ;   in Loop: Header=BB1422_722 Depth=2
	ds_load_b32 v64, v92 offset:11776
	s_wait_dscnt 0x0
	v_cmp_ne_u32_e64 s28, 0x7fffffff, v64
	s_delay_alu instid0(VALU_DEP_1) | instskip(SKIP_1) | instid1(VALU_DEP_1)
	v_cndmask_b32_e64 v65, 0x80000000, v64, s28
	v_cmp_lt_i32_e64 s28, -1, v64
	v_cndmask_b32_e64 v140, 0x80000000, -1, s28
	s_delay_alu instid0(VALU_DEP_1) | instskip(NEXT) | instid1(VALU_DEP_1)
	v_dual_lshrrev_b32 v65, s49, v65 :: v_dual_bitop2_b32 v64, v140, v64 bitop3:0x14
	v_and_b32_e32 v65, s58, v65
	s_delay_alu instid0(VALU_DEP_1)
	v_lshlrev_b32_e32 v65, 2, v65
	ds_load_b32 v65, v65
	s_wait_dscnt 0x0
	v_add_nc_u32_e32 v65, v65, v77
	global_store_b32 v65, v64, s[38:39] scale_offset
	s_wait_xcnt 0x0
	s_or_b32 exec_lo, exec_lo, s29
	v_cmp_lt_u32_e64 s28, v78, v139
	s_and_saveexec_b32 s30, s28
	s_cbranch_execz .LBB1422_819
.LBB1422_891:                           ;   in Loop: Header=BB1422_722 Depth=2
	ds_load_b32 v64, v92 offset:12800
	s_wait_dscnt 0x0
	v_cmp_ne_u32_e64 s29, 0x7fffffff, v64
	s_delay_alu instid0(VALU_DEP_1) | instskip(SKIP_1) | instid1(VALU_DEP_1)
	v_cndmask_b32_e64 v65, 0x80000000, v64, s29
	v_cmp_lt_i32_e64 s29, -1, v64
	v_cndmask_b32_e64 v140, 0x80000000, -1, s29
	s_delay_alu instid0(VALU_DEP_1) | instskip(NEXT) | instid1(VALU_DEP_1)
	v_dual_lshrrev_b32 v65, s49, v65 :: v_dual_bitop2_b32 v64, v140, v64 bitop3:0x14
	v_and_b32_e32 v65, s58, v65
	s_delay_alu instid0(VALU_DEP_1)
	v_lshlrev_b32_e32 v65, 2, v65
	ds_load_b32 v65, v65
	s_wait_dscnt 0x0
	v_add_nc_u32_e32 v65, v65, v78
	global_store_b32 v65, v64, s[38:39] scale_offset
	s_wait_xcnt 0x0
	s_or_b32 exec_lo, exec_lo, s30
	v_cmp_lt_u32_e64 s29, v79, v139
	s_and_saveexec_b32 s31, s29
	s_cbranch_execz .LBB1422_820
.LBB1422_892:                           ;   in Loop: Header=BB1422_722 Depth=2
	ds_load_b32 v64, v92 offset:13824
	s_wait_dscnt 0x0
	v_cmp_ne_u32_e64 s30, 0x7fffffff, v64
	s_delay_alu instid0(VALU_DEP_1) | instskip(SKIP_1) | instid1(VALU_DEP_1)
	v_cndmask_b32_e64 v65, 0x80000000, v64, s30
	v_cmp_lt_i32_e64 s30, -1, v64
	v_cndmask_b32_e64 v140, 0x80000000, -1, s30
	s_delay_alu instid0(VALU_DEP_1) | instskip(NEXT) | instid1(VALU_DEP_1)
	v_dual_lshrrev_b32 v65, s49, v65 :: v_dual_bitop2_b32 v64, v140, v64 bitop3:0x14
	v_and_b32_e32 v65, s58, v65
	s_delay_alu instid0(VALU_DEP_1)
	v_lshlrev_b32_e32 v65, 2, v65
	ds_load_b32 v65, v65
	s_wait_dscnt 0x0
	v_add_nc_u32_e32 v65, v65, v79
	global_store_b32 v65, v64, s[38:39] scale_offset
	s_wait_xcnt 0x0
	s_or_b32 exec_lo, exec_lo, s31
	v_cmp_lt_u32_e64 s30, v80, v139
	s_and_saveexec_b32 s33, s30
	s_cbranch_execz .LBB1422_821
.LBB1422_893:                           ;   in Loop: Header=BB1422_722 Depth=2
	ds_load_b32 v64, v92 offset:14848
	s_wait_dscnt 0x0
	v_cmp_ne_u32_e64 s31, 0x7fffffff, v64
	s_delay_alu instid0(VALU_DEP_1) | instskip(SKIP_1) | instid1(VALU_DEP_1)
	v_cndmask_b32_e64 v65, 0x80000000, v64, s31
	v_cmp_lt_i32_e64 s31, -1, v64
	v_cndmask_b32_e64 v140, 0x80000000, -1, s31
	s_delay_alu instid0(VALU_DEP_1) | instskip(NEXT) | instid1(VALU_DEP_1)
	v_dual_lshrrev_b32 v65, s49, v65 :: v_dual_bitop2_b32 v64, v140, v64 bitop3:0x14
	v_and_b32_e32 v65, s58, v65
	s_delay_alu instid0(VALU_DEP_1)
	v_lshlrev_b32_e32 v65, 2, v65
	ds_load_b32 v65, v65
	s_wait_dscnt 0x0
	v_add_nc_u32_e32 v65, v65, v80
	global_store_b32 v65, v64, s[38:39] scale_offset
	s_wait_xcnt 0x0
	s_or_b32 exec_lo, exec_lo, s33
	v_cmp_lt_u32_e64 s31, v81, v139
	s_and_saveexec_b32 s34, s31
	s_cbranch_execz .LBB1422_822
.LBB1422_894:                           ;   in Loop: Header=BB1422_722 Depth=2
	ds_load_b32 v64, v92 offset:15872
	s_wait_dscnt 0x0
	v_cmp_ne_u32_e64 s33, 0x7fffffff, v64
	s_delay_alu instid0(VALU_DEP_1) | instskip(SKIP_1) | instid1(VALU_DEP_1)
	v_cndmask_b32_e64 v65, 0x80000000, v64, s33
	v_cmp_lt_i32_e64 s33, -1, v64
	v_cndmask_b32_e64 v140, 0x80000000, -1, s33
	s_delay_alu instid0(VALU_DEP_1) | instskip(NEXT) | instid1(VALU_DEP_1)
	v_dual_lshrrev_b32 v65, s49, v65 :: v_dual_bitop2_b32 v64, v140, v64 bitop3:0x14
	v_and_b32_e32 v65, s58, v65
	s_delay_alu instid0(VALU_DEP_1)
	v_lshlrev_b32_e32 v65, 2, v65
	ds_load_b32 v65, v65
	s_wait_dscnt 0x0
	v_add_nc_u32_e32 v65, v65, v81
	global_store_b32 v65, v64, s[38:39] scale_offset
	s_wait_xcnt 0x0
	s_or_b32 exec_lo, exec_lo, s34
	v_cmp_lt_u32_e64 s33, v82, v139
	s_and_saveexec_b32 s61, s33
	s_cbranch_execnz .LBB1422_823
	s_branch .LBB1422_824
.LBB1422_895:                           ;   in Loop: Header=BB1422_722 Depth=2
	global_load_b64 v[62:63], v[64:65], off
	s_wait_xcnt 0x0
	s_or_b32 exec_lo, exec_lo, s34
	s_delay_alu instid0(SALU_CYCLE_1)
	s_mov_b32 s42, exec_lo
	v_cmpx_lt_u32_e64 v104, v139
	s_cbranch_execz .LBB1422_826
.LBB1422_896:                           ;   in Loop: Header=BB1422_722 Depth=2
	global_load_b64 v[60:61], v[64:65], off offset:256
	s_wait_xcnt 0x0
	s_or_b32 exec_lo, exec_lo, s42
	s_delay_alu instid0(SALU_CYCLE_1)
	s_mov_b32 s42, exec_lo
	v_cmpx_lt_u32_e64 v105, v139
	s_cbranch_execz .LBB1422_827
.LBB1422_897:                           ;   in Loop: Header=BB1422_722 Depth=2
	global_load_b64 v[58:59], v[64:65], off offset:512
	s_wait_xcnt 0x0
	s_or_b32 exec_lo, exec_lo, s42
	s_delay_alu instid0(SALU_CYCLE_1)
	s_mov_b32 s42, exec_lo
	v_cmpx_lt_u32_e64 v106, v139
	s_cbranch_execz .LBB1422_828
.LBB1422_898:                           ;   in Loop: Header=BB1422_722 Depth=2
	global_load_b64 v[56:57], v[64:65], off offset:768
	s_wait_xcnt 0x0
	s_or_b32 exec_lo, exec_lo, s42
	s_delay_alu instid0(SALU_CYCLE_1)
	s_mov_b32 s42, exec_lo
	v_cmpx_lt_u32_e64 v107, v139
	s_cbranch_execz .LBB1422_829
.LBB1422_899:                           ;   in Loop: Header=BB1422_722 Depth=2
	global_load_b64 v[54:55], v[64:65], off offset:1024
	s_wait_xcnt 0x0
	s_or_b32 exec_lo, exec_lo, s42
	s_delay_alu instid0(SALU_CYCLE_1)
	s_mov_b32 s42, exec_lo
	v_cmpx_lt_u32_e64 v108, v139
	s_cbranch_execz .LBB1422_830
.LBB1422_900:                           ;   in Loop: Header=BB1422_722 Depth=2
	global_load_b64 v[52:53], v[64:65], off offset:1280
	s_wait_xcnt 0x0
	s_or_b32 exec_lo, exec_lo, s42
	s_delay_alu instid0(SALU_CYCLE_1)
	s_mov_b32 s42, exec_lo
	v_cmpx_lt_u32_e64 v109, v139
	s_cbranch_execz .LBB1422_831
.LBB1422_901:                           ;   in Loop: Header=BB1422_722 Depth=2
	global_load_b64 v[50:51], v[64:65], off offset:1536
	s_wait_xcnt 0x0
	s_or_b32 exec_lo, exec_lo, s42
	s_delay_alu instid0(SALU_CYCLE_1)
	s_mov_b32 s42, exec_lo
	v_cmpx_lt_u32_e64 v110, v139
	s_cbranch_execz .LBB1422_832
.LBB1422_902:                           ;   in Loop: Header=BB1422_722 Depth=2
	global_load_b64 v[48:49], v[64:65], off offset:1792
	s_wait_xcnt 0x0
	s_or_b32 exec_lo, exec_lo, s42
	s_delay_alu instid0(SALU_CYCLE_1)
	s_mov_b32 s42, exec_lo
	v_cmpx_lt_u32_e64 v111, v139
	s_cbranch_execz .LBB1422_833
.LBB1422_903:                           ;   in Loop: Header=BB1422_722 Depth=2
	global_load_b64 v[46:47], v[64:65], off offset:2048
	s_wait_xcnt 0x0
	s_or_b32 exec_lo, exec_lo, s42
	s_delay_alu instid0(SALU_CYCLE_1)
	s_mov_b32 s42, exec_lo
	v_cmpx_lt_u32_e64 v112, v139
	s_cbranch_execz .LBB1422_834
.LBB1422_904:                           ;   in Loop: Header=BB1422_722 Depth=2
	global_load_b64 v[44:45], v[64:65], off offset:2304
	s_wait_xcnt 0x0
	s_or_b32 exec_lo, exec_lo, s42
	s_delay_alu instid0(SALU_CYCLE_1)
	s_mov_b32 s42, exec_lo
	v_cmpx_lt_u32_e64 v113, v139
	s_cbranch_execz .LBB1422_835
.LBB1422_905:                           ;   in Loop: Header=BB1422_722 Depth=2
	global_load_b64 v[42:43], v[64:65], off offset:2560
	s_wait_xcnt 0x0
	s_or_b32 exec_lo, exec_lo, s42
	s_delay_alu instid0(SALU_CYCLE_1)
	s_mov_b32 s42, exec_lo
	v_cmpx_lt_u32_e64 v114, v139
	s_cbranch_execz .LBB1422_836
.LBB1422_906:                           ;   in Loop: Header=BB1422_722 Depth=2
	global_load_b64 v[40:41], v[64:65], off offset:2816
	s_wait_xcnt 0x0
	s_or_b32 exec_lo, exec_lo, s42
	s_delay_alu instid0(SALU_CYCLE_1)
	s_mov_b32 s42, exec_lo
	v_cmpx_lt_u32_e64 v115, v139
	s_cbranch_execz .LBB1422_837
.LBB1422_907:                           ;   in Loop: Header=BB1422_722 Depth=2
	global_load_b64 v[38:39], v[64:65], off offset:3072
	s_wait_xcnt 0x0
	s_or_b32 exec_lo, exec_lo, s42
	s_delay_alu instid0(SALU_CYCLE_1)
	s_mov_b32 s42, exec_lo
	v_cmpx_lt_u32_e64 v116, v139
	s_cbranch_execz .LBB1422_838
.LBB1422_908:                           ;   in Loop: Header=BB1422_722 Depth=2
	global_load_b64 v[36:37], v[64:65], off offset:3328
	s_wait_xcnt 0x0
	s_or_b32 exec_lo, exec_lo, s42
	s_delay_alu instid0(SALU_CYCLE_1)
	s_mov_b32 s42, exec_lo
	v_cmpx_lt_u32_e64 v117, v139
	s_cbranch_execz .LBB1422_839
.LBB1422_909:                           ;   in Loop: Header=BB1422_722 Depth=2
	global_load_b64 v[34:35], v[64:65], off offset:3584
	s_wait_xcnt 0x0
	s_or_b32 exec_lo, exec_lo, s42
	s_delay_alu instid0(SALU_CYCLE_1)
	s_mov_b32 s42, exec_lo
	v_cmpx_lt_u32_e64 v118, v139
	s_cbranch_execz .LBB1422_840
.LBB1422_910:                           ;   in Loop: Header=BB1422_722 Depth=2
	global_load_b64 v[32:33], v[64:65], off offset:3840
	s_wait_xcnt 0x0
	s_or_b32 exec_lo, exec_lo, s42
	s_delay_alu instid0(SALU_CYCLE_1)
	s_mov_b32 s42, exec_lo
	v_cmpx_lt_u32_e64 v5, v139
	s_cbranch_execz .LBB1422_841
.LBB1422_911:                           ;   in Loop: Header=BB1422_722 Depth=2
	global_load_b64 v[30:31], v[64:65], off offset:4096
	s_wait_xcnt 0x0
	s_or_b32 exec_lo, exec_lo, s42
	s_and_saveexec_b32 s42, vcc_lo
	s_cbranch_execz .LBB1422_842
.LBB1422_912:                           ;   in Loop: Header=BB1422_722 Depth=2
	ds_load_b32 v64, v92 offset:512
	s_wait_dscnt 0x0
	v_cmp_ne_u32_e64 s34, 0x7fffffff, v64
	s_delay_alu instid0(VALU_DEP_1) | instskip(NEXT) | instid1(VALU_DEP_1)
	v_cndmask_b32_e64 v64, 0x80000000, v64, s34
	v_lshrrev_b32_e32 v64, s49, v64
	s_delay_alu instid0(VALU_DEP_1)
	v_and_b32_e32 v137, s58, v64
	s_or_b32 exec_lo, exec_lo, s42
	s_and_saveexec_b32 s42, s17
	s_cbranch_execz .LBB1422_843
.LBB1422_913:                           ;   in Loop: Header=BB1422_722 Depth=2
	ds_load_b32 v64, v92 offset:1536
	s_wait_dscnt 0x0
	v_cmp_ne_u32_e64 s34, 0x7fffffff, v64
	s_delay_alu instid0(VALU_DEP_1) | instskip(NEXT) | instid1(VALU_DEP_1)
	v_cndmask_b32_e64 v64, 0x80000000, v64, s34
	v_lshrrev_b32_e32 v64, s49, v64
	s_delay_alu instid0(VALU_DEP_1)
	v_and_b32_e32 v136, s58, v64
	s_or_b32 exec_lo, exec_lo, s42
	s_and_saveexec_b32 s42, s18
	s_cbranch_execz .LBB1422_844
.LBB1422_914:                           ;   in Loop: Header=BB1422_722 Depth=2
	ds_load_b32 v64, v92 offset:2560
	s_wait_dscnt 0x0
	v_cmp_ne_u32_e64 s34, 0x7fffffff, v64
	s_delay_alu instid0(VALU_DEP_1) | instskip(NEXT) | instid1(VALU_DEP_1)
	v_cndmask_b32_e64 v64, 0x80000000, v64, s34
	v_lshrrev_b32_e32 v64, s49, v64
	s_delay_alu instid0(VALU_DEP_1)
	v_and_b32_e32 v135, s58, v64
	s_or_b32 exec_lo, exec_lo, s42
	s_and_saveexec_b32 s42, s19
	s_cbranch_execz .LBB1422_845
.LBB1422_915:                           ;   in Loop: Header=BB1422_722 Depth=2
	ds_load_b32 v64, v92 offset:3584
	s_wait_dscnt 0x0
	v_cmp_ne_u32_e64 s34, 0x7fffffff, v64
	s_delay_alu instid0(VALU_DEP_1) | instskip(NEXT) | instid1(VALU_DEP_1)
	v_cndmask_b32_e64 v64, 0x80000000, v64, s34
	v_lshrrev_b32_e32 v64, s49, v64
	s_delay_alu instid0(VALU_DEP_1)
	v_and_b32_e32 v134, s58, v64
	s_or_b32 exec_lo, exec_lo, s42
	s_and_saveexec_b32 s42, s20
	s_cbranch_execz .LBB1422_846
.LBB1422_916:                           ;   in Loop: Header=BB1422_722 Depth=2
	ds_load_b32 v64, v92 offset:4608
	s_wait_dscnt 0x0
	v_cmp_ne_u32_e64 s34, 0x7fffffff, v64
	s_delay_alu instid0(VALU_DEP_1) | instskip(NEXT) | instid1(VALU_DEP_1)
	v_cndmask_b32_e64 v64, 0x80000000, v64, s34
	v_lshrrev_b32_e32 v64, s49, v64
	s_delay_alu instid0(VALU_DEP_1)
	v_and_b32_e32 v132, s58, v64
	s_or_b32 exec_lo, exec_lo, s42
	s_and_saveexec_b32 s42, s21
	s_cbranch_execz .LBB1422_847
.LBB1422_917:                           ;   in Loop: Header=BB1422_722 Depth=2
	ds_load_b32 v64, v92 offset:5632
	s_wait_dscnt 0x0
	v_cmp_ne_u32_e64 s34, 0x7fffffff, v64
	s_delay_alu instid0(VALU_DEP_1) | instskip(NEXT) | instid1(VALU_DEP_1)
	v_cndmask_b32_e64 v64, 0x80000000, v64, s34
	v_lshrrev_b32_e32 v64, s49, v64
	s_delay_alu instid0(VALU_DEP_1)
	v_and_b32_e32 v131, s58, v64
	s_or_b32 exec_lo, exec_lo, s42
	s_and_saveexec_b32 s42, s22
	s_cbranch_execz .LBB1422_848
.LBB1422_918:                           ;   in Loop: Header=BB1422_722 Depth=2
	ds_load_b32 v64, v92 offset:6656
	s_wait_dscnt 0x0
	v_cmp_ne_u32_e64 s34, 0x7fffffff, v64
	s_delay_alu instid0(VALU_DEP_1) | instskip(NEXT) | instid1(VALU_DEP_1)
	v_cndmask_b32_e64 v64, 0x80000000, v64, s34
	v_lshrrev_b32_e32 v64, s49, v64
	s_delay_alu instid0(VALU_DEP_1)
	v_and_b32_e32 v130, s58, v64
	s_or_b32 exec_lo, exec_lo, s42
	s_and_saveexec_b32 s42, s23
	s_cbranch_execz .LBB1422_849
.LBB1422_919:                           ;   in Loop: Header=BB1422_722 Depth=2
	ds_load_b32 v64, v92 offset:7680
	s_wait_dscnt 0x0
	v_cmp_ne_u32_e64 s34, 0x7fffffff, v64
	s_delay_alu instid0(VALU_DEP_1) | instskip(NEXT) | instid1(VALU_DEP_1)
	v_cndmask_b32_e64 v64, 0x80000000, v64, s34
	v_lshrrev_b32_e32 v64, s49, v64
	s_delay_alu instid0(VALU_DEP_1)
	v_and_b32_e32 v129, s58, v64
	s_or_b32 exec_lo, exec_lo, s42
	s_and_saveexec_b32 s42, s24
	s_cbranch_execz .LBB1422_850
.LBB1422_920:                           ;   in Loop: Header=BB1422_722 Depth=2
	ds_load_b32 v64, v92 offset:8704
	s_wait_dscnt 0x0
	v_cmp_ne_u32_e64 s34, 0x7fffffff, v64
	s_delay_alu instid0(VALU_DEP_1) | instskip(NEXT) | instid1(VALU_DEP_1)
	v_cndmask_b32_e64 v64, 0x80000000, v64, s34
	v_lshrrev_b32_e32 v64, s49, v64
	s_delay_alu instid0(VALU_DEP_1)
	v_and_b32_e32 v128, s58, v64
	s_or_b32 exec_lo, exec_lo, s42
	s_and_saveexec_b32 s42, s25
	s_cbranch_execz .LBB1422_851
.LBB1422_921:                           ;   in Loop: Header=BB1422_722 Depth=2
	ds_load_b32 v64, v92 offset:9728
	s_wait_dscnt 0x0
	v_cmp_ne_u32_e64 s34, 0x7fffffff, v64
	s_delay_alu instid0(VALU_DEP_1) | instskip(NEXT) | instid1(VALU_DEP_1)
	v_cndmask_b32_e64 v64, 0x80000000, v64, s34
	v_lshrrev_b32_e32 v64, s49, v64
	s_delay_alu instid0(VALU_DEP_1)
	v_and_b32_e32 v127, s58, v64
	s_or_b32 exec_lo, exec_lo, s42
	s_and_saveexec_b32 s42, s26
	s_cbranch_execz .LBB1422_852
.LBB1422_922:                           ;   in Loop: Header=BB1422_722 Depth=2
	ds_load_b32 v64, v92 offset:10752
	s_wait_dscnt 0x0
	v_cmp_ne_u32_e64 s34, 0x7fffffff, v64
	s_delay_alu instid0(VALU_DEP_1) | instskip(NEXT) | instid1(VALU_DEP_1)
	v_cndmask_b32_e64 v64, 0x80000000, v64, s34
	v_lshrrev_b32_e32 v64, s49, v64
	s_delay_alu instid0(VALU_DEP_1)
	v_and_b32_e32 v126, s58, v64
	s_or_b32 exec_lo, exec_lo, s42
	s_and_saveexec_b32 s42, s27
	s_cbranch_execz .LBB1422_853
.LBB1422_923:                           ;   in Loop: Header=BB1422_722 Depth=2
	ds_load_b32 v64, v92 offset:11776
	s_wait_dscnt 0x0
	v_cmp_ne_u32_e64 s34, 0x7fffffff, v64
	s_delay_alu instid0(VALU_DEP_1) | instskip(NEXT) | instid1(VALU_DEP_1)
	v_cndmask_b32_e64 v64, 0x80000000, v64, s34
	v_lshrrev_b32_e32 v64, s49, v64
	s_delay_alu instid0(VALU_DEP_1)
	v_and_b32_e32 v125, s58, v64
	s_or_b32 exec_lo, exec_lo, s42
	s_and_saveexec_b32 s42, s28
	s_cbranch_execz .LBB1422_854
.LBB1422_924:                           ;   in Loop: Header=BB1422_722 Depth=2
	ds_load_b32 v64, v92 offset:12800
	s_wait_dscnt 0x0
	v_cmp_ne_u32_e64 s34, 0x7fffffff, v64
	s_delay_alu instid0(VALU_DEP_1) | instskip(NEXT) | instid1(VALU_DEP_1)
	v_cndmask_b32_e64 v64, 0x80000000, v64, s34
	v_lshrrev_b32_e32 v64, s49, v64
	s_delay_alu instid0(VALU_DEP_1)
	v_and_b32_e32 v124, s58, v64
	s_or_b32 exec_lo, exec_lo, s42
	s_and_saveexec_b32 s42, s29
	s_cbranch_execz .LBB1422_855
.LBB1422_925:                           ;   in Loop: Header=BB1422_722 Depth=2
	ds_load_b32 v64, v92 offset:13824
	s_wait_dscnt 0x0
	v_cmp_ne_u32_e64 s34, 0x7fffffff, v64
	s_delay_alu instid0(VALU_DEP_1) | instskip(NEXT) | instid1(VALU_DEP_1)
	v_cndmask_b32_e64 v64, 0x80000000, v64, s34
	v_lshrrev_b32_e32 v64, s49, v64
	s_delay_alu instid0(VALU_DEP_1)
	v_and_b32_e32 v123, s58, v64
	s_or_b32 exec_lo, exec_lo, s42
	s_and_saveexec_b32 s42, s30
	s_cbranch_execz .LBB1422_856
.LBB1422_926:                           ;   in Loop: Header=BB1422_722 Depth=2
	ds_load_b32 v64, v92 offset:14848
	s_wait_dscnt 0x0
	v_cmp_ne_u32_e64 s34, 0x7fffffff, v64
	s_delay_alu instid0(VALU_DEP_1) | instskip(NEXT) | instid1(VALU_DEP_1)
	v_cndmask_b32_e64 v64, 0x80000000, v64, s34
	v_lshrrev_b32_e32 v64, s49, v64
	s_delay_alu instid0(VALU_DEP_1)
	v_and_b32_e32 v122, s58, v64
	s_or_b32 exec_lo, exec_lo, s42
	s_and_saveexec_b32 s42, s31
	s_cbranch_execz .LBB1422_857
.LBB1422_927:                           ;   in Loop: Header=BB1422_722 Depth=2
	ds_load_b32 v64, v92 offset:15872
	s_wait_dscnt 0x0
	v_cmp_ne_u32_e64 s34, 0x7fffffff, v64
	s_delay_alu instid0(VALU_DEP_1) | instskip(NEXT) | instid1(VALU_DEP_1)
	v_cndmask_b32_e64 v64, 0x80000000, v64, s34
	v_lshrrev_b32_e32 v64, s49, v64
	s_delay_alu instid0(VALU_DEP_1)
	v_and_b32_e32 v121, s58, v64
	s_or_b32 exec_lo, exec_lo, s42
	s_and_saveexec_b32 s42, s33
	s_cbranch_execnz .LBB1422_858
	s_branch .LBB1422_859
.LBB1422_928:                           ;   in Loop: Header=BB1422_722 Depth=2
	v_dual_lshlrev_b32 v64, 2, v137 :: v_dual_add_nc_u32 v65, v92, v4
	ds_load_b32 v66, v64
	ds_load_b64 v[64:65], v65 offset:512
	s_wait_dscnt 0x1
	v_add_nc_u32_e32 v66, v66, v2
	s_wait_dscnt 0x0
	global_store_b64 v66, v[64:65], s[44:45] scale_offset
	s_wait_xcnt 0x0
	s_or_b32 exec_lo, exec_lo, s34
	s_and_saveexec_b32 s34, s17
	s_cbranch_execz .LBB1422_861
.LBB1422_929:                           ;   in Loop: Header=BB1422_722 Depth=2
	v_lshlrev_b32_e32 v64, 2, v136
	v_add_nc_u32_e32 v65, v92, v4
	ds_load_b32 v66, v64
	ds_load_b64 v[64:65], v65 offset:2560
	s_wait_dscnt 0x1
	v_add_nc_u32_e32 v66, v66, v3
	s_wait_dscnt 0x0
	global_store_b64 v66, v[64:65], s[44:45] scale_offset
	s_wait_xcnt 0x0
	s_or_b32 exec_lo, exec_lo, s34
	s_and_saveexec_b32 s17, s18
	s_cbranch_execz .LBB1422_862
.LBB1422_930:                           ;   in Loop: Header=BB1422_722 Depth=2
	v_dual_lshlrev_b32 v64, 2, v135 :: v_dual_add_nc_u32 v65, v92, v4
	ds_load_b32 v66, v64
	ds_load_b64 v[64:65], v65 offset:4608
	s_wait_dscnt 0x1
	v_add_nc_u32_e32 v66, v66, v68
	s_wait_dscnt 0x0
	global_store_b64 v66, v[64:65], s[44:45] scale_offset
	s_wait_xcnt 0x0
	s_or_b32 exec_lo, exec_lo, s17
	s_and_saveexec_b32 s17, s19
	s_cbranch_execz .LBB1422_863
.LBB1422_931:                           ;   in Loop: Header=BB1422_722 Depth=2
	v_dual_lshlrev_b32 v64, 2, v134 :: v_dual_add_nc_u32 v65, v92, v4
	ds_load_b32 v66, v64
	ds_load_b64 v[64:65], v65 offset:6656
	s_wait_dscnt 0x1
	v_add_nc_u32_e32 v66, v66, v69
	s_wait_dscnt 0x0
	global_store_b64 v66, v[64:65], s[44:45] scale_offset
	s_wait_xcnt 0x0
	s_or_b32 exec_lo, exec_lo, s17
	s_and_saveexec_b32 s17, s20
	s_cbranch_execz .LBB1422_864
.LBB1422_932:                           ;   in Loop: Header=BB1422_722 Depth=2
	v_lshlrev_b32_e32 v64, 2, v132
	v_add_nc_u32_e32 v65, v92, v4
	ds_load_b32 v66, v64
	ds_load_b64 v[64:65], v65 offset:8704
	s_wait_dscnt 0x1
	v_add_nc_u32_e32 v66, v66, v70
	s_wait_dscnt 0x0
	global_store_b64 v66, v[64:65], s[44:45] scale_offset
	s_wait_xcnt 0x0
	s_or_b32 exec_lo, exec_lo, s17
	s_and_saveexec_b32 s17, s21
	s_cbranch_execz .LBB1422_865
.LBB1422_933:                           ;   in Loop: Header=BB1422_722 Depth=2
	v_dual_lshlrev_b32 v64, 2, v131 :: v_dual_add_nc_u32 v65, v92, v4
	ds_load_b32 v66, v64
	ds_load_b64 v[64:65], v65 offset:10752
	s_wait_dscnt 0x1
	v_add_nc_u32_e32 v66, v66, v71
	s_wait_dscnt 0x0
	global_store_b64 v66, v[64:65], s[44:45] scale_offset
	s_wait_xcnt 0x0
	s_or_b32 exec_lo, exec_lo, s17
	s_and_saveexec_b32 s17, s22
	s_cbranch_execz .LBB1422_866
.LBB1422_934:                           ;   in Loop: Header=BB1422_722 Depth=2
	v_dual_lshlrev_b32 v64, 2, v130 :: v_dual_add_nc_u32 v65, v92, v4
	ds_load_b32 v66, v64
	ds_load_b64 v[64:65], v65 offset:12800
	s_wait_dscnt 0x1
	v_add_nc_u32_e32 v66, v66, v72
	s_wait_dscnt 0x0
	global_store_b64 v66, v[64:65], s[44:45] scale_offset
	s_wait_xcnt 0x0
	s_or_b32 exec_lo, exec_lo, s17
	s_and_saveexec_b32 s17, s23
	s_cbranch_execz .LBB1422_867
.LBB1422_935:                           ;   in Loop: Header=BB1422_722 Depth=2
	v_dual_lshlrev_b32 v64, 2, v129 :: v_dual_add_nc_u32 v65, v92, v4
	ds_load_b32 v66, v64
	ds_load_b64 v[64:65], v65 offset:14848
	s_wait_dscnt 0x1
	v_add_nc_u32_e32 v66, v66, v73
	s_wait_dscnt 0x0
	global_store_b64 v66, v[64:65], s[44:45] scale_offset
	s_wait_xcnt 0x0
	s_or_b32 exec_lo, exec_lo, s17
	s_and_saveexec_b32 s17, s24
	s_cbranch_execz .LBB1422_868
.LBB1422_936:                           ;   in Loop: Header=BB1422_722 Depth=2
	v_lshlrev_b32_e32 v64, 2, v128
	v_add_nc_u32_e32 v65, v92, v4
	ds_load_b32 v66, v64
	ds_load_b64 v[64:65], v65 offset:16896
	s_wait_dscnt 0x1
	v_add_nc_u32_e32 v66, v66, v74
	s_wait_dscnt 0x0
	global_store_b64 v66, v[64:65], s[44:45] scale_offset
	s_wait_xcnt 0x0
	s_or_b32 exec_lo, exec_lo, s17
	s_and_saveexec_b32 s17, s25
	s_cbranch_execz .LBB1422_869
.LBB1422_937:                           ;   in Loop: Header=BB1422_722 Depth=2
	v_dual_lshlrev_b32 v64, 2, v127 :: v_dual_add_nc_u32 v65, v92, v4
	ds_load_b32 v66, v64
	ds_load_b64 v[64:65], v65 offset:18944
	s_wait_dscnt 0x1
	v_add_nc_u32_e32 v66, v66, v75
	s_wait_dscnt 0x0
	global_store_b64 v66, v[64:65], s[44:45] scale_offset
	s_wait_xcnt 0x0
	s_or_b32 exec_lo, exec_lo, s17
	s_and_saveexec_b32 s17, s26
	s_cbranch_execz .LBB1422_870
.LBB1422_938:                           ;   in Loop: Header=BB1422_722 Depth=2
	v_dual_lshlrev_b32 v64, 2, v126 :: v_dual_add_nc_u32 v65, v92, v4
	ds_load_b32 v66, v64
	ds_load_b64 v[64:65], v65 offset:20992
	s_wait_dscnt 0x1
	v_add_nc_u32_e32 v66, v66, v76
	s_wait_dscnt 0x0
	global_store_b64 v66, v[64:65], s[44:45] scale_offset
	s_wait_xcnt 0x0
	s_or_b32 exec_lo, exec_lo, s17
	s_and_saveexec_b32 s17, s27
	s_cbranch_execz .LBB1422_871
.LBB1422_939:                           ;   in Loop: Header=BB1422_722 Depth=2
	v_dual_lshlrev_b32 v64, 2, v125 :: v_dual_add_nc_u32 v65, v92, v4
	ds_load_b32 v66, v64
	ds_load_b64 v[64:65], v65 offset:23040
	s_wait_dscnt 0x1
	v_add_nc_u32_e32 v66, v66, v77
	s_wait_dscnt 0x0
	global_store_b64 v66, v[64:65], s[44:45] scale_offset
	s_wait_xcnt 0x0
	s_or_b32 exec_lo, exec_lo, s17
	s_and_saveexec_b32 s17, s28
	s_cbranch_execz .LBB1422_872
.LBB1422_940:                           ;   in Loop: Header=BB1422_722 Depth=2
	v_lshlrev_b32_e32 v64, 2, v124
	v_add_nc_u32_e32 v65, v92, v4
	ds_load_b32 v66, v64
	ds_load_b64 v[64:65], v65 offset:25088
	s_wait_dscnt 0x1
	v_add_nc_u32_e32 v66, v66, v78
	s_wait_dscnt 0x0
	global_store_b64 v66, v[64:65], s[44:45] scale_offset
	s_wait_xcnt 0x0
	s_or_b32 exec_lo, exec_lo, s17
	s_and_saveexec_b32 s17, s29
	s_cbranch_execz .LBB1422_873
.LBB1422_941:                           ;   in Loop: Header=BB1422_722 Depth=2
	v_dual_lshlrev_b32 v64, 2, v123 :: v_dual_add_nc_u32 v65, v92, v4
	ds_load_b32 v66, v64
	ds_load_b64 v[64:65], v65 offset:27136
	s_wait_dscnt 0x1
	v_add_nc_u32_e32 v66, v66, v79
	s_wait_dscnt 0x0
	global_store_b64 v66, v[64:65], s[44:45] scale_offset
	s_wait_xcnt 0x0
	s_or_b32 exec_lo, exec_lo, s17
	s_and_saveexec_b32 s17, s30
	s_cbranch_execz .LBB1422_874
.LBB1422_942:                           ;   in Loop: Header=BB1422_722 Depth=2
	v_dual_lshlrev_b32 v64, 2, v122 :: v_dual_add_nc_u32 v65, v92, v4
	ds_load_b32 v66, v64
	ds_load_b64 v[64:65], v65 offset:29184
	s_wait_dscnt 0x1
	v_add_nc_u32_e32 v66, v66, v80
	s_wait_dscnt 0x0
	global_store_b64 v66, v[64:65], s[44:45] scale_offset
	s_wait_xcnt 0x0
	s_or_b32 exec_lo, exec_lo, s17
	s_and_saveexec_b32 s17, s31
	s_cbranch_execz .LBB1422_875
.LBB1422_943:                           ;   in Loop: Header=BB1422_722 Depth=2
	v_dual_lshlrev_b32 v64, 2, v121 :: v_dual_add_nc_u32 v65, v92, v4
	ds_load_b32 v66, v64
	ds_load_b64 v[64:65], v65 offset:31232
	s_wait_dscnt 0x1
	v_add_nc_u32_e32 v66, v66, v81
	s_wait_dscnt 0x0
	global_store_b64 v66, v[64:65], s[44:45] scale_offset
	s_wait_xcnt 0x0
	s_or_b32 exec_lo, exec_lo, s17
	s_and_saveexec_b32 s17, s33
	s_cbranch_execnz .LBB1422_876
	s_branch .LBB1422_877
.LBB1422_944:                           ;   in Loop: Header=BB1422_12 Depth=1
	s_wait_dscnt 0x0
	s_barrier_signal -1
	s_mov_b32 s9, 0
	s_barrier_wait -1
.LBB1422_945:                           ;   in Loop: Header=BB1422_12 Depth=1
	s_and_b32 vcc_lo, exec_lo, s9
	s_cbranch_vccz .LBB1422_11
; %bb.946:                              ;   in Loop: Header=BB1422_12 Depth=1
	s_mov_b32 s9, s57
	s_mov_b32 s42, s55
	s_barrier_signal -1
	s_barrier_wait -1
                                        ; implicit-def: $vgpr25
                                        ; implicit-def: $vgpr26
                                        ; implicit-def: $vgpr27
                                        ; implicit-def: $vgpr28
                                        ; implicit-def: $vgpr29
                                        ; implicit-def: $vgpr30
                                        ; implicit-def: $vgpr31
                                        ; implicit-def: $vgpr32
                                        ; implicit-def: $vgpr33
                                        ; implicit-def: $vgpr34
                                        ; implicit-def: $vgpr35
                                        ; implicit-def: $vgpr36
                                        ; implicit-def: $vgpr37
                                        ; implicit-def: $vgpr38
                                        ; implicit-def: $vgpr39
                                        ; implicit-def: $vgpr40
                                        ; implicit-def: $vgpr41
	s_branch .LBB1422_948
.LBB1422_947:                           ;   in Loop: Header=BB1422_948 Depth=2
	s_or_b32 exec_lo, exec_lo, s10
	s_addk_co_i32 s9, 0xef00
	s_cmp_ge_u32 s12, s54
	s_mov_b32 s42, s12
	s_cbranch_scc1 .LBB1422_1020
.LBB1422_948:                           ;   Parent Loop BB1422_12 Depth=1
                                        ; =>  This Inner Loop Header: Depth=2
	s_add_co_i32 s12, s42, 0x1100
	s_mov_b32 s10, -1
	s_cmp_gt_u32 s12, s54
                                        ; implicit-def: $vgpr42
                                        ; implicit-def: $vgpr43
                                        ; implicit-def: $vgpr44
                                        ; implicit-def: $vgpr45
                                        ; implicit-def: $vgpr46
                                        ; implicit-def: $vgpr47
                                        ; implicit-def: $vgpr48
                                        ; implicit-def: $vgpr49
                                        ; implicit-def: $vgpr50
                                        ; implicit-def: $vgpr51
                                        ; implicit-def: $vgpr52
                                        ; implicit-def: $vgpr53
                                        ; implicit-def: $vgpr54
                                        ; implicit-def: $vgpr55
                                        ; implicit-def: $vgpr56
                                        ; implicit-def: $vgpr57
                                        ; implicit-def: $vgpr58
	s_cbranch_scc1 .LBB1422_950
; %bb.949:                              ;   in Loop: Header=BB1422_948 Depth=2
	v_lshl_add_u64 v[60:61], s[42:43], 2, v[22:23]
	s_mov_b32 s10, 0
	s_clause 0x10
	global_load_b32 v42, v[60:61], off
	global_load_b32 v43, v[60:61], off offset:1024
	global_load_b32 v44, v[60:61], off offset:2048
	;; [unrolled: 1-line block ×16, first 2 shown]
.LBB1422_950:                           ;   in Loop: Header=BB1422_948 Depth=2
	s_and_not1_b32 vcc_lo, exec_lo, s10
	s_movk_i32 s10, 0x1100
	s_cbranch_vccnz .LBB1422_970
; %bb.951:                              ;   in Loop: Header=BB1422_948 Depth=2
	s_lshl_b64 s[10:11], s[42:43], 2
	s_mov_b32 s13, exec_lo
	s_add_nc_u64 s[10:11], s[36:37], s[10:11]
	s_wait_xcnt 0x0
	v_cmpx_gt_u32_e64 s9, v2
	s_cbranch_execnz .LBB1422_1004
; %bb.952:                              ;   in Loop: Header=BB1422_948 Depth=2
	s_or_b32 exec_lo, exec_lo, s13
	s_delay_alu instid0(SALU_CYCLE_1)
	s_mov_b32 s13, exec_lo
	v_cmpx_gt_u32_e64 s9, v3
	s_cbranch_execnz .LBB1422_1005
.LBB1422_953:                           ;   in Loop: Header=BB1422_948 Depth=2
	s_or_b32 exec_lo, exec_lo, s13
	s_delay_alu instid0(SALU_CYCLE_1)
	s_mov_b32 s13, exec_lo
	v_cmpx_gt_u32_e64 s9, v68
	s_cbranch_execnz .LBB1422_1006
.LBB1422_954:                           ;   in Loop: Header=BB1422_948 Depth=2
	s_or_b32 exec_lo, exec_lo, s13
	s_delay_alu instid0(SALU_CYCLE_1)
	s_mov_b32 s13, exec_lo
	v_cmpx_gt_u32_e64 s9, v69
	s_cbranch_execnz .LBB1422_1007
.LBB1422_955:                           ;   in Loop: Header=BB1422_948 Depth=2
	s_or_b32 exec_lo, exec_lo, s13
	s_delay_alu instid0(SALU_CYCLE_1)
	s_mov_b32 s13, exec_lo
	v_cmpx_gt_u32_e64 s9, v70
	s_cbranch_execnz .LBB1422_1008
.LBB1422_956:                           ;   in Loop: Header=BB1422_948 Depth=2
	s_or_b32 exec_lo, exec_lo, s13
	s_delay_alu instid0(SALU_CYCLE_1)
	s_mov_b32 s13, exec_lo
	v_cmpx_gt_u32_e64 s9, v71
	s_cbranch_execnz .LBB1422_1009
.LBB1422_957:                           ;   in Loop: Header=BB1422_948 Depth=2
	s_or_b32 exec_lo, exec_lo, s13
	s_delay_alu instid0(SALU_CYCLE_1)
	s_mov_b32 s13, exec_lo
	v_cmpx_gt_u32_e64 s9, v72
	s_cbranch_execnz .LBB1422_1010
.LBB1422_958:                           ;   in Loop: Header=BB1422_948 Depth=2
	s_or_b32 exec_lo, exec_lo, s13
	s_delay_alu instid0(SALU_CYCLE_1)
	s_mov_b32 s13, exec_lo
	v_cmpx_gt_u32_e64 s9, v73
	s_cbranch_execnz .LBB1422_1011
.LBB1422_959:                           ;   in Loop: Header=BB1422_948 Depth=2
	s_or_b32 exec_lo, exec_lo, s13
	s_delay_alu instid0(SALU_CYCLE_1)
	s_mov_b32 s13, exec_lo
	v_cmpx_gt_u32_e64 s9, v74
	s_cbranch_execnz .LBB1422_1012
.LBB1422_960:                           ;   in Loop: Header=BB1422_948 Depth=2
	s_or_b32 exec_lo, exec_lo, s13
	s_delay_alu instid0(SALU_CYCLE_1)
	s_mov_b32 s13, exec_lo
	v_cmpx_gt_u32_e64 s9, v75
	s_cbranch_execnz .LBB1422_1013
.LBB1422_961:                           ;   in Loop: Header=BB1422_948 Depth=2
	s_or_b32 exec_lo, exec_lo, s13
	s_delay_alu instid0(SALU_CYCLE_1)
	s_mov_b32 s13, exec_lo
	v_cmpx_gt_u32_e64 s9, v76
	s_cbranch_execnz .LBB1422_1014
.LBB1422_962:                           ;   in Loop: Header=BB1422_948 Depth=2
	s_or_b32 exec_lo, exec_lo, s13
	s_delay_alu instid0(SALU_CYCLE_1)
	s_mov_b32 s13, exec_lo
	v_cmpx_gt_u32_e64 s9, v77
	s_cbranch_execnz .LBB1422_1015
.LBB1422_963:                           ;   in Loop: Header=BB1422_948 Depth=2
	s_or_b32 exec_lo, exec_lo, s13
	s_delay_alu instid0(SALU_CYCLE_1)
	s_mov_b32 s13, exec_lo
	v_cmpx_gt_u32_e64 s9, v78
	s_cbranch_execnz .LBB1422_1016
.LBB1422_964:                           ;   in Loop: Header=BB1422_948 Depth=2
	s_or_b32 exec_lo, exec_lo, s13
	s_delay_alu instid0(SALU_CYCLE_1)
	s_mov_b32 s13, exec_lo
	v_cmpx_gt_u32_e64 s9, v79
	s_cbranch_execnz .LBB1422_1017
.LBB1422_965:                           ;   in Loop: Header=BB1422_948 Depth=2
	s_or_b32 exec_lo, exec_lo, s13
	s_delay_alu instid0(SALU_CYCLE_1)
	s_mov_b32 s13, exec_lo
	v_cmpx_gt_u32_e64 s9, v80
	s_cbranch_execnz .LBB1422_1018
.LBB1422_966:                           ;   in Loop: Header=BB1422_948 Depth=2
	s_or_b32 exec_lo, exec_lo, s13
	s_delay_alu instid0(SALU_CYCLE_1)
	s_mov_b32 s13, exec_lo
	v_cmpx_gt_u32_e64 s9, v81
	s_cbranch_execnz .LBB1422_1019
.LBB1422_967:                           ;   in Loop: Header=BB1422_948 Depth=2
	s_or_b32 exec_lo, exec_lo, s13
	s_delay_alu instid0(SALU_CYCLE_1)
	s_mov_b32 s13, exec_lo
	v_cmpx_gt_u32_e64 s9, v82
	s_cbranch_execz .LBB1422_969
.LBB1422_968:                           ;   in Loop: Header=BB1422_948 Depth=2
	global_load_b32 v25, v2, s[10:11] offset:16384 scale_offset
.LBB1422_969:                           ;   in Loop: Header=BB1422_948 Depth=2
	s_wait_xcnt 0x0
	s_or_b32 exec_lo, exec_lo, s13
	s_wait_loadcnt 0x0
	v_dual_mov_b32 v42, v41 :: v_dual_mov_b32 v43, v40
	v_dual_mov_b32 v44, v39 :: v_dual_mov_b32 v45, v38
	;; [unrolled: 1-line block ×8, first 2 shown]
	v_mov_b32_e32 v58, v25
	s_mov_b32 s10, s9
.LBB1422_970:                           ;   in Loop: Header=BB1422_948 Depth=2
	s_wait_loadcnt 0x0
	s_delay_alu instid0(VALU_DEP_1)
	v_dual_mov_b32 v25, v58 :: v_dual_mov_b32 v26, v57
	v_dual_mov_b32 v27, v56 :: v_dual_mov_b32 v28, v55
	;; [unrolled: 1-line block ×8, first 2 shown]
	v_mov_b32_e32 v41, v42
	s_mov_b32 s11, exec_lo
	s_wait_xcnt 0x0
	v_cmpx_gt_u32_e64 s10, v2
	s_cbranch_execnz .LBB1422_987
; %bb.971:                              ;   in Loop: Header=BB1422_948 Depth=2
	s_or_b32 exec_lo, exec_lo, s11
	s_delay_alu instid0(SALU_CYCLE_1)
	s_mov_b32 s11, exec_lo
	v_cmpx_gt_u32_e64 s10, v3
	s_cbranch_execnz .LBB1422_988
.LBB1422_972:                           ;   in Loop: Header=BB1422_948 Depth=2
	s_or_b32 exec_lo, exec_lo, s11
	s_delay_alu instid0(SALU_CYCLE_1)
	s_mov_b32 s11, exec_lo
	v_cmpx_gt_u32_e64 s10, v68
	s_cbranch_execnz .LBB1422_989
.LBB1422_973:                           ;   in Loop: Header=BB1422_948 Depth=2
	s_or_b32 exec_lo, exec_lo, s11
	s_delay_alu instid0(SALU_CYCLE_1)
	s_mov_b32 s11, exec_lo
	v_cmpx_gt_u32_e64 s10, v69
	s_cbranch_execnz .LBB1422_990
.LBB1422_974:                           ;   in Loop: Header=BB1422_948 Depth=2
	s_or_b32 exec_lo, exec_lo, s11
	s_delay_alu instid0(SALU_CYCLE_1)
	s_mov_b32 s11, exec_lo
	v_cmpx_gt_u32_e64 s10, v70
	s_cbranch_execnz .LBB1422_991
.LBB1422_975:                           ;   in Loop: Header=BB1422_948 Depth=2
	s_or_b32 exec_lo, exec_lo, s11
	s_delay_alu instid0(SALU_CYCLE_1)
	s_mov_b32 s11, exec_lo
	v_cmpx_gt_u32_e64 s10, v71
	s_cbranch_execnz .LBB1422_992
.LBB1422_976:                           ;   in Loop: Header=BB1422_948 Depth=2
	s_or_b32 exec_lo, exec_lo, s11
	s_delay_alu instid0(SALU_CYCLE_1)
	s_mov_b32 s11, exec_lo
	v_cmpx_gt_u32_e64 s10, v72
	s_cbranch_execnz .LBB1422_993
.LBB1422_977:                           ;   in Loop: Header=BB1422_948 Depth=2
	s_or_b32 exec_lo, exec_lo, s11
	s_delay_alu instid0(SALU_CYCLE_1)
	s_mov_b32 s11, exec_lo
	v_cmpx_gt_u32_e64 s10, v73
	s_cbranch_execnz .LBB1422_994
.LBB1422_978:                           ;   in Loop: Header=BB1422_948 Depth=2
	s_or_b32 exec_lo, exec_lo, s11
	s_delay_alu instid0(SALU_CYCLE_1)
	s_mov_b32 s11, exec_lo
	v_cmpx_gt_u32_e64 s10, v74
	s_cbranch_execnz .LBB1422_995
.LBB1422_979:                           ;   in Loop: Header=BB1422_948 Depth=2
	s_or_b32 exec_lo, exec_lo, s11
	s_delay_alu instid0(SALU_CYCLE_1)
	s_mov_b32 s11, exec_lo
	v_cmpx_gt_u32_e64 s10, v75
	s_cbranch_execnz .LBB1422_996
.LBB1422_980:                           ;   in Loop: Header=BB1422_948 Depth=2
	s_or_b32 exec_lo, exec_lo, s11
	s_delay_alu instid0(SALU_CYCLE_1)
	s_mov_b32 s11, exec_lo
	v_cmpx_gt_u32_e64 s10, v76
	s_cbranch_execnz .LBB1422_997
.LBB1422_981:                           ;   in Loop: Header=BB1422_948 Depth=2
	s_or_b32 exec_lo, exec_lo, s11
	s_delay_alu instid0(SALU_CYCLE_1)
	s_mov_b32 s11, exec_lo
	v_cmpx_gt_u32_e64 s10, v77
	s_cbranch_execnz .LBB1422_998
.LBB1422_982:                           ;   in Loop: Header=BB1422_948 Depth=2
	s_or_b32 exec_lo, exec_lo, s11
	s_delay_alu instid0(SALU_CYCLE_1)
	s_mov_b32 s11, exec_lo
	v_cmpx_gt_u32_e64 s10, v78
	s_cbranch_execnz .LBB1422_999
.LBB1422_983:                           ;   in Loop: Header=BB1422_948 Depth=2
	s_or_b32 exec_lo, exec_lo, s11
	s_delay_alu instid0(SALU_CYCLE_1)
	s_mov_b32 s11, exec_lo
	v_cmpx_gt_u32_e64 s10, v79
	s_cbranch_execnz .LBB1422_1000
.LBB1422_984:                           ;   in Loop: Header=BB1422_948 Depth=2
	s_or_b32 exec_lo, exec_lo, s11
	s_delay_alu instid0(SALU_CYCLE_1)
	s_mov_b32 s11, exec_lo
	v_cmpx_gt_u32_e64 s10, v80
	s_cbranch_execnz .LBB1422_1001
.LBB1422_985:                           ;   in Loop: Header=BB1422_948 Depth=2
	s_or_b32 exec_lo, exec_lo, s11
	s_delay_alu instid0(SALU_CYCLE_1)
	s_mov_b32 s11, exec_lo
	v_cmpx_gt_u32_e64 s10, v81
	s_cbranch_execnz .LBB1422_1002
.LBB1422_986:                           ;   in Loop: Header=BB1422_948 Depth=2
	s_or_b32 exec_lo, exec_lo, s11
	v_cmp_gt_u32_e32 vcc_lo, s10, v82
	s_and_saveexec_b32 s10, vcc_lo
	s_cbranch_execz .LBB1422_947
	s_branch .LBB1422_1003
.LBB1422_987:                           ;   in Loop: Header=BB1422_948 Depth=2
	v_cmp_lt_i32_e32 vcc_lo, -1, v41
	v_cndmask_b32_e64 v42, -1, 0x80000000, vcc_lo
	s_delay_alu instid0(VALU_DEP_1) | instskip(NEXT) | instid1(VALU_DEP_1)
	v_xor_b32_e32 v42, v42, v41
	v_cmp_ne_u32_e32 vcc_lo, 0x7fffffff, v42
	v_cndmask_b32_e32 v42, 0x80000000, v42, vcc_lo
	s_delay_alu instid0(VALU_DEP_1) | instskip(NEXT) | instid1(VALU_DEP_1)
	v_lshrrev_b32_e32 v42, s49, v42
	v_and_b32_e32 v42, s58, v42
	s_delay_alu instid0(VALU_DEP_1) | instskip(SKIP_2) | instid1(SALU_CYCLE_1)
	v_lshl_or_b32 v42, v42, 4, v84
	ds_add_u32 v42, v96
	s_or_b32 exec_lo, exec_lo, s11
	s_mov_b32 s11, exec_lo
	v_cmpx_gt_u32_e64 s10, v3
	s_cbranch_execz .LBB1422_972
.LBB1422_988:                           ;   in Loop: Header=BB1422_948 Depth=2
	v_cmp_lt_i32_e32 vcc_lo, -1, v40
	v_cndmask_b32_e64 v42, -1, 0x80000000, vcc_lo
	s_delay_alu instid0(VALU_DEP_1) | instskip(NEXT) | instid1(VALU_DEP_1)
	v_xor_b32_e32 v42, v42, v40
	v_cmp_ne_u32_e32 vcc_lo, 0x7fffffff, v42
	v_cndmask_b32_e32 v42, 0x80000000, v42, vcc_lo
	s_delay_alu instid0(VALU_DEP_1) | instskip(NEXT) | instid1(VALU_DEP_1)
	v_lshrrev_b32_e32 v42, s49, v42
	v_and_b32_e32 v42, s58, v42
	s_delay_alu instid0(VALU_DEP_1) | instskip(SKIP_2) | instid1(SALU_CYCLE_1)
	v_lshl_or_b32 v42, v42, 4, v84
	ds_add_u32 v42, v96
	s_or_b32 exec_lo, exec_lo, s11
	s_mov_b32 s11, exec_lo
	v_cmpx_gt_u32_e64 s10, v68
	s_cbranch_execz .LBB1422_973
.LBB1422_989:                           ;   in Loop: Header=BB1422_948 Depth=2
	v_cmp_lt_i32_e32 vcc_lo, -1, v39
	v_cndmask_b32_e64 v42, -1, 0x80000000, vcc_lo
	s_delay_alu instid0(VALU_DEP_1) | instskip(NEXT) | instid1(VALU_DEP_1)
	v_xor_b32_e32 v42, v42, v39
	v_cmp_ne_u32_e32 vcc_lo, 0x7fffffff, v42
	v_cndmask_b32_e32 v42, 0x80000000, v42, vcc_lo
	s_delay_alu instid0(VALU_DEP_1) | instskip(NEXT) | instid1(VALU_DEP_1)
	v_lshrrev_b32_e32 v42, s49, v42
	v_and_b32_e32 v42, s58, v42
	s_delay_alu instid0(VALU_DEP_1) | instskip(SKIP_2) | instid1(SALU_CYCLE_1)
	v_lshl_or_b32 v42, v42, 4, v84
	ds_add_u32 v42, v96
	s_or_b32 exec_lo, exec_lo, s11
	s_mov_b32 s11, exec_lo
	v_cmpx_gt_u32_e64 s10, v69
	s_cbranch_execz .LBB1422_974
.LBB1422_990:                           ;   in Loop: Header=BB1422_948 Depth=2
	v_cmp_lt_i32_e32 vcc_lo, -1, v38
	v_cndmask_b32_e64 v42, -1, 0x80000000, vcc_lo
	s_delay_alu instid0(VALU_DEP_1) | instskip(NEXT) | instid1(VALU_DEP_1)
	v_xor_b32_e32 v42, v42, v38
	v_cmp_ne_u32_e32 vcc_lo, 0x7fffffff, v42
	v_cndmask_b32_e32 v42, 0x80000000, v42, vcc_lo
	s_delay_alu instid0(VALU_DEP_1) | instskip(NEXT) | instid1(VALU_DEP_1)
	v_lshrrev_b32_e32 v42, s49, v42
	v_and_b32_e32 v42, s58, v42
	s_delay_alu instid0(VALU_DEP_1) | instskip(SKIP_2) | instid1(SALU_CYCLE_1)
	v_lshl_or_b32 v42, v42, 4, v84
	ds_add_u32 v42, v96
	s_or_b32 exec_lo, exec_lo, s11
	s_mov_b32 s11, exec_lo
	v_cmpx_gt_u32_e64 s10, v70
	s_cbranch_execz .LBB1422_975
.LBB1422_991:                           ;   in Loop: Header=BB1422_948 Depth=2
	v_cmp_lt_i32_e32 vcc_lo, -1, v37
	v_cndmask_b32_e64 v42, -1, 0x80000000, vcc_lo
	s_delay_alu instid0(VALU_DEP_1) | instskip(NEXT) | instid1(VALU_DEP_1)
	v_xor_b32_e32 v42, v42, v37
	v_cmp_ne_u32_e32 vcc_lo, 0x7fffffff, v42
	v_cndmask_b32_e32 v42, 0x80000000, v42, vcc_lo
	s_delay_alu instid0(VALU_DEP_1) | instskip(NEXT) | instid1(VALU_DEP_1)
	v_lshrrev_b32_e32 v42, s49, v42
	v_and_b32_e32 v42, s58, v42
	s_delay_alu instid0(VALU_DEP_1) | instskip(SKIP_2) | instid1(SALU_CYCLE_1)
	v_lshl_or_b32 v42, v42, 4, v84
	ds_add_u32 v42, v96
	s_or_b32 exec_lo, exec_lo, s11
	s_mov_b32 s11, exec_lo
	v_cmpx_gt_u32_e64 s10, v71
	s_cbranch_execz .LBB1422_976
.LBB1422_992:                           ;   in Loop: Header=BB1422_948 Depth=2
	v_cmp_lt_i32_e32 vcc_lo, -1, v36
	v_cndmask_b32_e64 v42, -1, 0x80000000, vcc_lo
	s_delay_alu instid0(VALU_DEP_1) | instskip(NEXT) | instid1(VALU_DEP_1)
	v_xor_b32_e32 v42, v42, v36
	v_cmp_ne_u32_e32 vcc_lo, 0x7fffffff, v42
	v_cndmask_b32_e32 v42, 0x80000000, v42, vcc_lo
	s_delay_alu instid0(VALU_DEP_1) | instskip(NEXT) | instid1(VALU_DEP_1)
	v_lshrrev_b32_e32 v42, s49, v42
	v_and_b32_e32 v42, s58, v42
	s_delay_alu instid0(VALU_DEP_1) | instskip(SKIP_2) | instid1(SALU_CYCLE_1)
	v_lshl_or_b32 v42, v42, 4, v84
	ds_add_u32 v42, v96
	s_or_b32 exec_lo, exec_lo, s11
	s_mov_b32 s11, exec_lo
	v_cmpx_gt_u32_e64 s10, v72
	s_cbranch_execz .LBB1422_977
.LBB1422_993:                           ;   in Loop: Header=BB1422_948 Depth=2
	v_cmp_lt_i32_e32 vcc_lo, -1, v35
	v_cndmask_b32_e64 v42, -1, 0x80000000, vcc_lo
	s_delay_alu instid0(VALU_DEP_1) | instskip(NEXT) | instid1(VALU_DEP_1)
	v_xor_b32_e32 v42, v42, v35
	v_cmp_ne_u32_e32 vcc_lo, 0x7fffffff, v42
	v_cndmask_b32_e32 v42, 0x80000000, v42, vcc_lo
	s_delay_alu instid0(VALU_DEP_1) | instskip(NEXT) | instid1(VALU_DEP_1)
	v_lshrrev_b32_e32 v42, s49, v42
	v_and_b32_e32 v42, s58, v42
	s_delay_alu instid0(VALU_DEP_1) | instskip(SKIP_2) | instid1(SALU_CYCLE_1)
	v_lshl_or_b32 v42, v42, 4, v84
	ds_add_u32 v42, v96
	s_or_b32 exec_lo, exec_lo, s11
	s_mov_b32 s11, exec_lo
	v_cmpx_gt_u32_e64 s10, v73
	s_cbranch_execz .LBB1422_978
.LBB1422_994:                           ;   in Loop: Header=BB1422_948 Depth=2
	v_cmp_lt_i32_e32 vcc_lo, -1, v34
	v_cndmask_b32_e64 v42, -1, 0x80000000, vcc_lo
	s_delay_alu instid0(VALU_DEP_1) | instskip(NEXT) | instid1(VALU_DEP_1)
	v_xor_b32_e32 v42, v42, v34
	v_cmp_ne_u32_e32 vcc_lo, 0x7fffffff, v42
	v_cndmask_b32_e32 v42, 0x80000000, v42, vcc_lo
	s_delay_alu instid0(VALU_DEP_1) | instskip(NEXT) | instid1(VALU_DEP_1)
	v_lshrrev_b32_e32 v42, s49, v42
	v_and_b32_e32 v42, s58, v42
	s_delay_alu instid0(VALU_DEP_1) | instskip(SKIP_2) | instid1(SALU_CYCLE_1)
	v_lshl_or_b32 v42, v42, 4, v84
	ds_add_u32 v42, v96
	s_or_b32 exec_lo, exec_lo, s11
	s_mov_b32 s11, exec_lo
	v_cmpx_gt_u32_e64 s10, v74
	s_cbranch_execz .LBB1422_979
.LBB1422_995:                           ;   in Loop: Header=BB1422_948 Depth=2
	v_cmp_lt_i32_e32 vcc_lo, -1, v33
	v_cndmask_b32_e64 v42, -1, 0x80000000, vcc_lo
	s_delay_alu instid0(VALU_DEP_1) | instskip(NEXT) | instid1(VALU_DEP_1)
	v_xor_b32_e32 v42, v42, v33
	v_cmp_ne_u32_e32 vcc_lo, 0x7fffffff, v42
	v_cndmask_b32_e32 v42, 0x80000000, v42, vcc_lo
	s_delay_alu instid0(VALU_DEP_1) | instskip(NEXT) | instid1(VALU_DEP_1)
	v_lshrrev_b32_e32 v42, s49, v42
	v_and_b32_e32 v42, s58, v42
	s_delay_alu instid0(VALU_DEP_1) | instskip(SKIP_2) | instid1(SALU_CYCLE_1)
	v_lshl_or_b32 v42, v42, 4, v84
	ds_add_u32 v42, v96
	s_or_b32 exec_lo, exec_lo, s11
	s_mov_b32 s11, exec_lo
	v_cmpx_gt_u32_e64 s10, v75
	s_cbranch_execz .LBB1422_980
.LBB1422_996:                           ;   in Loop: Header=BB1422_948 Depth=2
	v_cmp_lt_i32_e32 vcc_lo, -1, v32
	v_cndmask_b32_e64 v42, -1, 0x80000000, vcc_lo
	s_delay_alu instid0(VALU_DEP_1) | instskip(NEXT) | instid1(VALU_DEP_1)
	v_xor_b32_e32 v42, v42, v32
	v_cmp_ne_u32_e32 vcc_lo, 0x7fffffff, v42
	v_cndmask_b32_e32 v42, 0x80000000, v42, vcc_lo
	s_delay_alu instid0(VALU_DEP_1) | instskip(NEXT) | instid1(VALU_DEP_1)
	v_lshrrev_b32_e32 v42, s49, v42
	v_and_b32_e32 v42, s58, v42
	s_delay_alu instid0(VALU_DEP_1) | instskip(SKIP_2) | instid1(SALU_CYCLE_1)
	v_lshl_or_b32 v42, v42, 4, v84
	ds_add_u32 v42, v96
	s_or_b32 exec_lo, exec_lo, s11
	s_mov_b32 s11, exec_lo
	v_cmpx_gt_u32_e64 s10, v76
	s_cbranch_execz .LBB1422_981
.LBB1422_997:                           ;   in Loop: Header=BB1422_948 Depth=2
	v_cmp_lt_i32_e32 vcc_lo, -1, v31
	v_cndmask_b32_e64 v42, -1, 0x80000000, vcc_lo
	s_delay_alu instid0(VALU_DEP_1) | instskip(NEXT) | instid1(VALU_DEP_1)
	v_xor_b32_e32 v42, v42, v31
	v_cmp_ne_u32_e32 vcc_lo, 0x7fffffff, v42
	v_cndmask_b32_e32 v42, 0x80000000, v42, vcc_lo
	s_delay_alu instid0(VALU_DEP_1) | instskip(NEXT) | instid1(VALU_DEP_1)
	v_lshrrev_b32_e32 v42, s49, v42
	v_and_b32_e32 v42, s58, v42
	s_delay_alu instid0(VALU_DEP_1) | instskip(SKIP_2) | instid1(SALU_CYCLE_1)
	v_lshl_or_b32 v42, v42, 4, v84
	ds_add_u32 v42, v96
	s_or_b32 exec_lo, exec_lo, s11
	s_mov_b32 s11, exec_lo
	v_cmpx_gt_u32_e64 s10, v77
	s_cbranch_execz .LBB1422_982
.LBB1422_998:                           ;   in Loop: Header=BB1422_948 Depth=2
	v_cmp_lt_i32_e32 vcc_lo, -1, v30
	v_cndmask_b32_e64 v42, -1, 0x80000000, vcc_lo
	s_delay_alu instid0(VALU_DEP_1) | instskip(NEXT) | instid1(VALU_DEP_1)
	v_xor_b32_e32 v42, v42, v30
	v_cmp_ne_u32_e32 vcc_lo, 0x7fffffff, v42
	v_cndmask_b32_e32 v42, 0x80000000, v42, vcc_lo
	s_delay_alu instid0(VALU_DEP_1) | instskip(NEXT) | instid1(VALU_DEP_1)
	v_lshrrev_b32_e32 v42, s49, v42
	v_and_b32_e32 v42, s58, v42
	s_delay_alu instid0(VALU_DEP_1) | instskip(SKIP_2) | instid1(SALU_CYCLE_1)
	v_lshl_or_b32 v42, v42, 4, v84
	ds_add_u32 v42, v96
	s_or_b32 exec_lo, exec_lo, s11
	s_mov_b32 s11, exec_lo
	v_cmpx_gt_u32_e64 s10, v78
	s_cbranch_execz .LBB1422_983
.LBB1422_999:                           ;   in Loop: Header=BB1422_948 Depth=2
	v_cmp_lt_i32_e32 vcc_lo, -1, v29
	v_cndmask_b32_e64 v42, -1, 0x80000000, vcc_lo
	s_delay_alu instid0(VALU_DEP_1) | instskip(NEXT) | instid1(VALU_DEP_1)
	v_xor_b32_e32 v42, v42, v29
	v_cmp_ne_u32_e32 vcc_lo, 0x7fffffff, v42
	v_cndmask_b32_e32 v42, 0x80000000, v42, vcc_lo
	s_delay_alu instid0(VALU_DEP_1) | instskip(NEXT) | instid1(VALU_DEP_1)
	v_lshrrev_b32_e32 v42, s49, v42
	v_and_b32_e32 v42, s58, v42
	s_delay_alu instid0(VALU_DEP_1) | instskip(SKIP_2) | instid1(SALU_CYCLE_1)
	v_lshl_or_b32 v42, v42, 4, v84
	ds_add_u32 v42, v96
	s_or_b32 exec_lo, exec_lo, s11
	s_mov_b32 s11, exec_lo
	v_cmpx_gt_u32_e64 s10, v79
	s_cbranch_execz .LBB1422_984
.LBB1422_1000:                          ;   in Loop: Header=BB1422_948 Depth=2
	v_cmp_lt_i32_e32 vcc_lo, -1, v28
	v_cndmask_b32_e64 v42, -1, 0x80000000, vcc_lo
	s_delay_alu instid0(VALU_DEP_1) | instskip(NEXT) | instid1(VALU_DEP_1)
	v_xor_b32_e32 v42, v42, v28
	v_cmp_ne_u32_e32 vcc_lo, 0x7fffffff, v42
	v_cndmask_b32_e32 v42, 0x80000000, v42, vcc_lo
	s_delay_alu instid0(VALU_DEP_1) | instskip(NEXT) | instid1(VALU_DEP_1)
	v_lshrrev_b32_e32 v42, s49, v42
	v_and_b32_e32 v42, s58, v42
	s_delay_alu instid0(VALU_DEP_1) | instskip(SKIP_2) | instid1(SALU_CYCLE_1)
	v_lshl_or_b32 v42, v42, 4, v84
	ds_add_u32 v42, v96
	s_or_b32 exec_lo, exec_lo, s11
	s_mov_b32 s11, exec_lo
	v_cmpx_gt_u32_e64 s10, v80
	s_cbranch_execz .LBB1422_985
.LBB1422_1001:                          ;   in Loop: Header=BB1422_948 Depth=2
	v_cmp_lt_i32_e32 vcc_lo, -1, v27
	v_cndmask_b32_e64 v42, -1, 0x80000000, vcc_lo
	s_delay_alu instid0(VALU_DEP_1) | instskip(NEXT) | instid1(VALU_DEP_1)
	v_xor_b32_e32 v42, v42, v27
	v_cmp_ne_u32_e32 vcc_lo, 0x7fffffff, v42
	v_cndmask_b32_e32 v42, 0x80000000, v42, vcc_lo
	s_delay_alu instid0(VALU_DEP_1) | instskip(NEXT) | instid1(VALU_DEP_1)
	v_lshrrev_b32_e32 v42, s49, v42
	v_and_b32_e32 v42, s58, v42
	s_delay_alu instid0(VALU_DEP_1) | instskip(SKIP_2) | instid1(SALU_CYCLE_1)
	v_lshl_or_b32 v42, v42, 4, v84
	ds_add_u32 v42, v96
	s_or_b32 exec_lo, exec_lo, s11
	s_mov_b32 s11, exec_lo
	v_cmpx_gt_u32_e64 s10, v81
	s_cbranch_execz .LBB1422_986
.LBB1422_1002:                          ;   in Loop: Header=BB1422_948 Depth=2
	v_cmp_lt_i32_e32 vcc_lo, -1, v26
	v_cndmask_b32_e64 v42, -1, 0x80000000, vcc_lo
	s_delay_alu instid0(VALU_DEP_1) | instskip(NEXT) | instid1(VALU_DEP_1)
	v_xor_b32_e32 v42, v42, v26
	v_cmp_ne_u32_e32 vcc_lo, 0x7fffffff, v42
	v_cndmask_b32_e32 v42, 0x80000000, v42, vcc_lo
	s_delay_alu instid0(VALU_DEP_1) | instskip(NEXT) | instid1(VALU_DEP_1)
	v_lshrrev_b32_e32 v42, s49, v42
	v_and_b32_e32 v42, s58, v42
	s_delay_alu instid0(VALU_DEP_1)
	v_lshl_or_b32 v42, v42, 4, v84
	ds_add_u32 v42, v96
	s_or_b32 exec_lo, exec_lo, s11
	v_cmp_gt_u32_e32 vcc_lo, s10, v82
	s_and_saveexec_b32 s10, vcc_lo
	s_cbranch_execz .LBB1422_947
.LBB1422_1003:                          ;   in Loop: Header=BB1422_948 Depth=2
	v_cmp_lt_i32_e32 vcc_lo, -1, v25
	v_cndmask_b32_e64 v42, -1, 0x80000000, vcc_lo
	s_delay_alu instid0(VALU_DEP_1) | instskip(NEXT) | instid1(VALU_DEP_1)
	v_xor_b32_e32 v42, v42, v25
	v_cmp_ne_u32_e32 vcc_lo, 0x7fffffff, v42
	v_cndmask_b32_e32 v42, 0x80000000, v42, vcc_lo
	s_delay_alu instid0(VALU_DEP_1) | instskip(NEXT) | instid1(VALU_DEP_1)
	v_lshrrev_b32_e32 v42, s49, v42
	v_and_b32_e32 v42, s58, v42
	s_delay_alu instid0(VALU_DEP_1)
	v_lshl_or_b32 v42, v42, 4, v84
	ds_add_u32 v42, v96
	s_branch .LBB1422_947
.LBB1422_1004:                          ;   in Loop: Header=BB1422_948 Depth=2
	global_load_b32 v41, v2, s[10:11] scale_offset
	s_wait_xcnt 0x0
	s_or_b32 exec_lo, exec_lo, s13
	s_delay_alu instid0(SALU_CYCLE_1)
	s_mov_b32 s13, exec_lo
	v_cmpx_gt_u32_e64 s9, v3
	s_cbranch_execz .LBB1422_953
.LBB1422_1005:                          ;   in Loop: Header=BB1422_948 Depth=2
	global_load_b32 v40, v2, s[10:11] offset:1024 scale_offset
	s_wait_xcnt 0x0
	s_or_b32 exec_lo, exec_lo, s13
	s_delay_alu instid0(SALU_CYCLE_1)
	s_mov_b32 s13, exec_lo
	v_cmpx_gt_u32_e64 s9, v68
	s_cbranch_execz .LBB1422_954
.LBB1422_1006:                          ;   in Loop: Header=BB1422_948 Depth=2
	global_load_b32 v39, v2, s[10:11] offset:2048 scale_offset
	s_wait_xcnt 0x0
	s_or_b32 exec_lo, exec_lo, s13
	s_delay_alu instid0(SALU_CYCLE_1)
	s_mov_b32 s13, exec_lo
	v_cmpx_gt_u32_e64 s9, v69
	s_cbranch_execz .LBB1422_955
.LBB1422_1007:                          ;   in Loop: Header=BB1422_948 Depth=2
	global_load_b32 v38, v2, s[10:11] offset:3072 scale_offset
	s_wait_xcnt 0x0
	s_or_b32 exec_lo, exec_lo, s13
	s_delay_alu instid0(SALU_CYCLE_1)
	s_mov_b32 s13, exec_lo
	v_cmpx_gt_u32_e64 s9, v70
	s_cbranch_execz .LBB1422_956
.LBB1422_1008:                          ;   in Loop: Header=BB1422_948 Depth=2
	global_load_b32 v37, v2, s[10:11] offset:4096 scale_offset
	s_wait_xcnt 0x0
	s_or_b32 exec_lo, exec_lo, s13
	s_delay_alu instid0(SALU_CYCLE_1)
	s_mov_b32 s13, exec_lo
	v_cmpx_gt_u32_e64 s9, v71
	s_cbranch_execz .LBB1422_957
.LBB1422_1009:                          ;   in Loop: Header=BB1422_948 Depth=2
	global_load_b32 v36, v2, s[10:11] offset:5120 scale_offset
	s_wait_xcnt 0x0
	s_or_b32 exec_lo, exec_lo, s13
	s_delay_alu instid0(SALU_CYCLE_1)
	s_mov_b32 s13, exec_lo
	v_cmpx_gt_u32_e64 s9, v72
	s_cbranch_execz .LBB1422_958
.LBB1422_1010:                          ;   in Loop: Header=BB1422_948 Depth=2
	global_load_b32 v35, v2, s[10:11] offset:6144 scale_offset
	s_wait_xcnt 0x0
	s_or_b32 exec_lo, exec_lo, s13
	s_delay_alu instid0(SALU_CYCLE_1)
	s_mov_b32 s13, exec_lo
	v_cmpx_gt_u32_e64 s9, v73
	s_cbranch_execz .LBB1422_959
.LBB1422_1011:                          ;   in Loop: Header=BB1422_948 Depth=2
	global_load_b32 v34, v2, s[10:11] offset:7168 scale_offset
	s_wait_xcnt 0x0
	s_or_b32 exec_lo, exec_lo, s13
	s_delay_alu instid0(SALU_CYCLE_1)
	s_mov_b32 s13, exec_lo
	v_cmpx_gt_u32_e64 s9, v74
	s_cbranch_execz .LBB1422_960
.LBB1422_1012:                          ;   in Loop: Header=BB1422_948 Depth=2
	global_load_b32 v33, v2, s[10:11] offset:8192 scale_offset
	s_wait_xcnt 0x0
	s_or_b32 exec_lo, exec_lo, s13
	s_delay_alu instid0(SALU_CYCLE_1)
	s_mov_b32 s13, exec_lo
	v_cmpx_gt_u32_e64 s9, v75
	s_cbranch_execz .LBB1422_961
.LBB1422_1013:                          ;   in Loop: Header=BB1422_948 Depth=2
	global_load_b32 v32, v2, s[10:11] offset:9216 scale_offset
	s_wait_xcnt 0x0
	s_or_b32 exec_lo, exec_lo, s13
	s_delay_alu instid0(SALU_CYCLE_1)
	s_mov_b32 s13, exec_lo
	v_cmpx_gt_u32_e64 s9, v76
	s_cbranch_execz .LBB1422_962
.LBB1422_1014:                          ;   in Loop: Header=BB1422_948 Depth=2
	global_load_b32 v31, v2, s[10:11] offset:10240 scale_offset
	s_wait_xcnt 0x0
	s_or_b32 exec_lo, exec_lo, s13
	s_delay_alu instid0(SALU_CYCLE_1)
	s_mov_b32 s13, exec_lo
	v_cmpx_gt_u32_e64 s9, v77
	s_cbranch_execz .LBB1422_963
.LBB1422_1015:                          ;   in Loop: Header=BB1422_948 Depth=2
	global_load_b32 v30, v2, s[10:11] offset:11264 scale_offset
	s_wait_xcnt 0x0
	s_or_b32 exec_lo, exec_lo, s13
	s_delay_alu instid0(SALU_CYCLE_1)
	s_mov_b32 s13, exec_lo
	v_cmpx_gt_u32_e64 s9, v78
	s_cbranch_execz .LBB1422_964
.LBB1422_1016:                          ;   in Loop: Header=BB1422_948 Depth=2
	global_load_b32 v29, v2, s[10:11] offset:12288 scale_offset
	s_wait_xcnt 0x0
	s_or_b32 exec_lo, exec_lo, s13
	s_delay_alu instid0(SALU_CYCLE_1)
	s_mov_b32 s13, exec_lo
	v_cmpx_gt_u32_e64 s9, v79
	s_cbranch_execz .LBB1422_965
.LBB1422_1017:                          ;   in Loop: Header=BB1422_948 Depth=2
	global_load_b32 v28, v2, s[10:11] offset:13312 scale_offset
	s_wait_xcnt 0x0
	s_or_b32 exec_lo, exec_lo, s13
	s_delay_alu instid0(SALU_CYCLE_1)
	s_mov_b32 s13, exec_lo
	v_cmpx_gt_u32_e64 s9, v80
	s_cbranch_execz .LBB1422_966
.LBB1422_1018:                          ;   in Loop: Header=BB1422_948 Depth=2
	global_load_b32 v27, v2, s[10:11] offset:14336 scale_offset
	s_wait_xcnt 0x0
	s_or_b32 exec_lo, exec_lo, s13
	s_delay_alu instid0(SALU_CYCLE_1)
	s_mov_b32 s13, exec_lo
	v_cmpx_gt_u32_e64 s9, v81
	s_cbranch_execz .LBB1422_967
.LBB1422_1019:                          ;   in Loop: Header=BB1422_948 Depth=2
	global_load_b32 v26, v2, s[10:11] offset:15360 scale_offset
	s_wait_xcnt 0x0
	s_or_b32 exec_lo, exec_lo, s13
	s_delay_alu instid0(SALU_CYCLE_1)
	s_mov_b32 s13, exec_lo
	v_cmpx_gt_u32_e64 s9, v82
	s_cbranch_execnz .LBB1422_968
	s_branch .LBB1422_969
.LBB1422_1020:                          ;   in Loop: Header=BB1422_12 Depth=1
	v_mov_b32_e32 v25, 0
	s_wait_dscnt 0x0
	s_barrier_signal -1
	s_barrier_wait -1
	s_and_saveexec_b32 s9, s0
	s_cbranch_execz .LBB1422_1022
; %bb.1021:                             ;   in Loop: Header=BB1422_12 Depth=1
	ds_load_2addr_b64 v[26:29], v85 offset1:1
	s_wait_dscnt 0x0
	v_add_nc_u32_e32 v25, v27, v26
	s_delay_alu instid0(VALU_DEP_1)
	v_add3_u32 v25, v25, v28, v29
.LBB1422_1022:                          ;   in Loop: Header=BB1422_12 Depth=1
	s_or_b32 exec_lo, exec_lo, s9
	s_delay_alu instid0(VALU_DEP_1)
	v_mov_b32_dpp v26, v25 row_shr:1 row_mask:0xf bank_mask:0xf
	v_cmp_eq_u32_e64 s9, 0, v97
	v_cmp_lt_u32_e64 s10, 1, v97
	v_cmp_lt_u32_e64 s11, 3, v97
	;; [unrolled: 1-line block ×3, first 2 shown]
	v_cmp_eq_u32_e64 s13, 0, v99
	v_cndmask_b32_e64 v26, v26, 0, s9
	s_delay_alu instid0(VALU_DEP_1) | instskip(NEXT) | instid1(VALU_DEP_1)
	v_add_nc_u32_e32 v25, v26, v25
	v_mov_b32_dpp v26, v25 row_shr:2 row_mask:0xf bank_mask:0xf
	s_delay_alu instid0(VALU_DEP_1) | instskip(NEXT) | instid1(VALU_DEP_1)
	v_cndmask_b32_e64 v26, 0, v26, s10
	v_add_nc_u32_e32 v25, v25, v26
	s_delay_alu instid0(VALU_DEP_1) | instskip(NEXT) | instid1(VALU_DEP_1)
	v_mov_b32_dpp v26, v25 row_shr:4 row_mask:0xf bank_mask:0xf
	v_cndmask_b32_e64 v26, 0, v26, s11
	s_delay_alu instid0(VALU_DEP_1) | instskip(NEXT) | instid1(VALU_DEP_1)
	v_add_nc_u32_e32 v25, v25, v26
	v_mov_b32_dpp v26, v25 row_shr:8 row_mask:0xf bank_mask:0xf
	s_delay_alu instid0(VALU_DEP_1) | instskip(NEXT) | instid1(VALU_DEP_1)
	v_cndmask_b32_e64 v26, 0, v26, s12
	v_add_nc_u32_e32 v25, v25, v26
	ds_swizzle_b32 v26, v25 offset:swizzle(BROADCAST,32,15)
	s_wait_dscnt 0x0
	v_and_b32_e32 v26, v98, v26
	s_delay_alu instid0(VALU_DEP_1)
	v_add_nc_u32_e32 v25, v25, v26
	s_and_saveexec_b32 s14, s1
; %bb.1023:                             ;   in Loop: Header=BB1422_12 Depth=1
	ds_store_b32 v86, v25
; %bb.1024:                             ;   in Loop: Header=BB1422_12 Depth=1
	s_or_b32 exec_lo, exec_lo, s14
	s_wait_dscnt 0x0
	s_barrier_signal -1
	s_barrier_wait -1
	s_and_saveexec_b32 s14, s4
	s_cbranch_execz .LBB1422_1026
; %bb.1025:                             ;   in Loop: Header=BB1422_12 Depth=1
	ds_load_b32 v26, v87
	v_cmp_ne_u32_e32 vcc_lo, 0, v100
	s_wait_dscnt 0x0
	v_mov_b32_dpp v27, v26 row_shr:1 row_mask:0xf bank_mask:0xf
	s_delay_alu instid0(VALU_DEP_1) | instskip(SKIP_1) | instid1(VALU_DEP_2)
	v_cndmask_b32_e32 v27, 0, v27, vcc_lo
	v_cmp_lt_u32_e32 vcc_lo, 1, v100
	v_add_nc_u32_e32 v26, v27, v26
	s_delay_alu instid0(VALU_DEP_1) | instskip(NEXT) | instid1(VALU_DEP_1)
	v_mov_b32_dpp v27, v26 row_shr:2 row_mask:0xf bank_mask:0xf
	v_cndmask_b32_e32 v27, 0, v27, vcc_lo
	s_delay_alu instid0(VALU_DEP_1)
	v_add_nc_u32_e32 v26, v26, v27
	ds_store_b32 v87, v26
.LBB1422_1026:                          ;   in Loop: Header=BB1422_12 Depth=1
	s_or_b32 exec_lo, exec_lo, s14
	v_mov_b32_e32 v26, 0
	s_wait_dscnt 0x0
	s_barrier_signal -1
	s_barrier_wait -1
	s_and_saveexec_b32 s14, s5
; %bb.1027:                             ;   in Loop: Header=BB1422_12 Depth=1
	ds_load_b32 v26, v88
; %bb.1028:                             ;   in Loop: Header=BB1422_12 Depth=1
	s_or_b32 exec_lo, exec_lo, s14
	v_cmp_gt_i32_e32 vcc_lo, 0, v102
	s_wait_dscnt 0x0
	s_barrier_signal -1
	s_barrier_wait -1
	v_cndmask_b32_e32 v27, v102, v95, vcc_lo
	s_delay_alu instid0(VALU_DEP_1)
	v_dual_add_nc_u32 v25, v26, v25 :: v_dual_lshlrev_b32 v119, 2, v27
	ds_bpermute_b32 v25, v119, v25
	s_and_saveexec_b32 s14, s0
	s_cbranch_execz .LBB1422_1030
; %bb.1029:                             ;   in Loop: Header=BB1422_12 Depth=1
	s_wait_dscnt 0x0
	v_cndmask_b32_e64 v25, v25, v26, s8
	s_delay_alu instid0(VALU_DEP_1)
	v_add_nc_u32_e32 v25, s55, v25
	ds_store_b32 v4, v25
.LBB1422_1030:                          ;   in Loop: Header=BB1422_12 Depth=1
	s_or_b32 exec_lo, exec_lo, s14
	s_load_b64 s[14:15], s[52:53], 0x0
	s_mov_b32 s59, s57
                                        ; implicit-def: $vgpr32_vgpr33
                                        ; implicit-def: $vgpr34_vgpr35
                                        ; implicit-def: $vgpr36_vgpr37
                                        ; implicit-def: $vgpr38_vgpr39
                                        ; implicit-def: $vgpr40_vgpr41
                                        ; implicit-def: $vgpr42_vgpr43
                                        ; implicit-def: $vgpr44_vgpr45
                                        ; implicit-def: $vgpr46_vgpr47
                                        ; implicit-def: $vgpr48_vgpr49
                                        ; implicit-def: $vgpr50_vgpr51
                                        ; implicit-def: $vgpr52_vgpr53
                                        ; implicit-def: $vgpr54_vgpr55
                                        ; implicit-def: $vgpr56_vgpr57
                                        ; implicit-def: $vgpr58_vgpr59
                                        ; implicit-def: $vgpr60_vgpr61
                                        ; implicit-def: $vgpr62_vgpr63
                                        ; implicit-def: $vgpr120
                                        ; implicit-def: $vgpr121
                                        ; implicit-def: $vgpr122
                                        ; implicit-def: $vgpr123
                                        ; implicit-def: $vgpr124
                                        ; implicit-def: $vgpr125
                                        ; implicit-def: $vgpr126
                                        ; implicit-def: $vgpr127
                                        ; implicit-def: $vgpr128
                                        ; implicit-def: $vgpr129
                                        ; implicit-def: $vgpr130
                                        ; implicit-def: $vgpr131
                                        ; implicit-def: $vgpr132
                                        ; implicit-def: $vgpr134
                                        ; implicit-def: $vgpr135
                                        ; implicit-def: $vgpr136
                                        ; implicit-def: $vgpr137
                                        ; implicit-def: $vgpr133
                                        ; implicit-def: $vgpr138
	s_wait_kmcnt 0x0
	s_cmp_lt_u32 s51, s14
	s_cselect_b32 s42, 12, 18
	s_cmp_lt_u32 s35, s15
	s_mov_b32 s15, s43
	s_cselect_b32 s14, 14, 20
	s_delay_alu instid0(SALU_CYCLE_1)
	s_add_nc_u64 s[14:15], s[52:53], s[14:15]
	s_load_u16 s16, s[14:15], 0x0
	s_wait_xcnt 0x0
	s_add_nc_u64 s[14:15], s[52:53], s[42:43]
	s_mov_b32 s42, s55
	s_load_u16 s14, s[14:15], 0x0
	s_wait_xcnt 0x0
	v_cmp_lt_u32_e64 s15, 1, v103
	s_wait_dscnt 0x0
	s_wait_kmcnt 0x0
	v_mad_u32_u24 v25, v89, s16, v91
	v_cmp_lt_u32_e64 s16, 3, v103
	s_delay_alu instid0(VALU_DEP_2) | instskip(SKIP_2) | instid1(VALU_DEP_3)
	v_mad_u32 v26, v25, s14, v2
	v_mov_b32_e32 v25, v1
	v_cmp_eq_u32_e64 s14, 0, v103
	v_lshrrev_b32_e32 v30, 3, v26
	v_add_nc_u64_e32 v[26:27], v[14:15], v[0:1]
	s_delay_alu instid0(VALU_DEP_4) | instskip(NEXT) | instid1(VALU_DEP_3)
	v_add_nc_u64_e32 v[28:29], v[16:17], v[24:25]
	v_and_b32_e32 v25, 0x1ffffffc, v30
                                        ; implicit-def: $vgpr30_vgpr31
	s_branch .LBB1422_1032
.LBB1422_1031:                          ;   in Loop: Header=BB1422_1032 Depth=2
	s_or_b32 exec_lo, exec_lo, s17
	s_addk_co_i32 s59, 0xef00
	s_cmp_lt_u32 s60, s54
	s_mov_b32 s42, s60
	s_cbranch_scc0 .LBB1422_10
.LBB1422_1032:                          ;   Parent Loop BB1422_12 Depth=1
                                        ; =>  This Inner Loop Header: Depth=2
	s_add_co_i32 s60, s42, 0x1100
	s_delay_alu instid0(SALU_CYCLE_1)
	s_cmp_gt_u32 s60, s54
	s_cbranch_scc1 .LBB1422_1034
; %bb.1033:                             ;   in Loop: Header=BB1422_1032 Depth=2
	s_delay_alu instid0(VALU_DEP_2)
	v_lshl_add_u64 v[64:65], s[42:43], 2, v[28:29]
	s_mov_b32 s17, -1
	s_clause 0xf
	global_load_b32 v140, v[64:65], off
	global_load_b32 v142, v[64:65], off offset:128
	global_load_b32 v144, v[64:65], off offset:256
	;; [unrolled: 1-line block ×15, first 2 shown]
	s_movk_i32 s18, 0x1100
	s_cbranch_execz .LBB1422_1035
	s_branch .LBB1422_1068
.LBB1422_1034:                          ;   in Loop: Header=BB1422_1032 Depth=2
	s_mov_b32 s17, 0
                                        ; implicit-def: $vgpr140
                                        ; implicit-def: $vgpr142
                                        ; implicit-def: $vgpr144
                                        ; implicit-def: $vgpr148
                                        ; implicit-def: $vgpr153
                                        ; implicit-def: $vgpr158
                                        ; implicit-def: $vgpr163
                                        ; implicit-def: $vgpr168
                                        ; implicit-def: $vgpr173
                                        ; implicit-def: $vgpr171
                                        ; implicit-def: $vgpr166
                                        ; implicit-def: $vgpr161
                                        ; implicit-def: $vgpr157
                                        ; implicit-def: $vgpr152
                                        ; implicit-def: $vgpr67
                                        ; implicit-def: $vgpr66
	s_movk_i32 s18, 0x1100
.LBB1422_1035:                          ;   in Loop: Header=BB1422_1032 Depth=2
	s_wait_xcnt 0x0
	v_lshl_add_u64 v[64:65], s[42:43], 2, v[28:29]
	s_wait_loadcnt 0xe
	v_bfrev_b32_e32 v142, -2
	v_bfrev_b32_e32 v140, -2
	s_mov_b32 s17, exec_lo
	v_cmpx_gt_u32_e64 s59, v101
	s_cbranch_execz .LBB1422_1037
; %bb.1036:                             ;   in Loop: Header=BB1422_1032 Depth=2
	global_load_b32 v140, v[64:65], off
.LBB1422_1037:                          ;   in Loop: Header=BB1422_1032 Depth=2
	s_wait_xcnt 0x0
	s_or_b32 exec_lo, exec_lo, s17
	s_delay_alu instid0(SALU_CYCLE_1)
	s_mov_b32 s17, exec_lo
	v_cmpx_gt_u32_e64 s59, v104
	s_cbranch_execz .LBB1422_1039
; %bb.1038:                             ;   in Loop: Header=BB1422_1032 Depth=2
	global_load_b32 v142, v[64:65], off offset:128
.LBB1422_1039:                          ;   in Loop: Header=BB1422_1032 Depth=2
	s_wait_xcnt 0x0
	s_or_b32 exec_lo, exec_lo, s17
	s_wait_loadcnt 0xc
	v_bfrev_b32_e32 v148, -2
	v_bfrev_b32_e32 v144, -2
	s_mov_b32 s17, exec_lo
	v_cmpx_gt_u32_e64 s59, v105
	s_cbranch_execz .LBB1422_1041
; %bb.1040:                             ;   in Loop: Header=BB1422_1032 Depth=2
	global_load_b32 v144, v[64:65], off offset:256
.LBB1422_1041:                          ;   in Loop: Header=BB1422_1032 Depth=2
	s_wait_xcnt 0x0
	s_or_b32 exec_lo, exec_lo, s17
	s_delay_alu instid0(SALU_CYCLE_1)
	s_mov_b32 s17, exec_lo
	v_cmpx_gt_u32_e64 s59, v106
	s_cbranch_execz .LBB1422_1043
; %bb.1042:                             ;   in Loop: Header=BB1422_1032 Depth=2
	global_load_b32 v148, v[64:65], off offset:384
.LBB1422_1043:                          ;   in Loop: Header=BB1422_1032 Depth=2
	s_wait_xcnt 0x0
	s_or_b32 exec_lo, exec_lo, s17
	s_wait_loadcnt 0xa
	v_bfrev_b32_e32 v158, -2
	v_bfrev_b32_e32 v153, -2
	s_mov_b32 s17, exec_lo
	v_cmpx_gt_u32_e64 s59, v107
	s_cbranch_execz .LBB1422_1045
; %bb.1044:                             ;   in Loop: Header=BB1422_1032 Depth=2
	global_load_b32 v153, v[64:65], off offset:512
.LBB1422_1045:                          ;   in Loop: Header=BB1422_1032 Depth=2
	;; [unrolled: 20-line block ×7, first 2 shown]
	s_wait_xcnt 0x0
	s_or_b32 exec_lo, exec_lo, s17
	s_delay_alu instid0(SALU_CYCLE_1)
	s_mov_b32 s17, exec_lo
	v_cmpx_gt_u32_e64 s59, v118
	s_cbranch_execz .LBB1422_1067
; %bb.1066:                             ;   in Loop: Header=BB1422_1032 Depth=2
	global_load_b32 v66, v[64:65], off offset:1920
.LBB1422_1067:                          ;   in Loop: Header=BB1422_1032 Depth=2
	s_wait_xcnt 0x0
	s_or_b32 exec_lo, exec_lo, s17
	v_cmp_gt_u32_e64 s17, s59, v5
	s_sub_co_i32 s18, s54, s42
.LBB1422_1068:                          ;   in Loop: Header=BB1422_1032 Depth=2
	s_wait_xcnt 0x0
	v_bfrev_b32_e32 v64, -2
	v_mov_b32_e32 v139, s59
	s_and_saveexec_b32 s19, s17
	s_cbranch_execz .LBB1422_1070
; %bb.1069:                             ;   in Loop: Header=BB1422_1032 Depth=2
	v_lshl_add_u64 v[64:65], s[42:43], 2, v[28:29]
	v_mov_b32_e32 v139, s18
	global_load_b32 v64, v[64:65], off offset:2048
.LBB1422_1070:                          ;   in Loop: Header=BB1422_1032 Depth=2
	s_wait_xcnt 0x0
	s_or_b32 exec_lo, exec_lo, s19
	s_wait_loadcnt 0xf
	v_cmp_lt_i32_e32 vcc_lo, -1, v140
	ds_store_2addr_b32 v90, v1, v1 offset0:136 offset1:137
	ds_store_2addr_b32 v90, v1, v1 offset0:138 offset1:139
	ds_store_b32 v90, v1 offset:560
	s_wait_loadcnt_dscnt 0x0
	s_barrier_signal -1
	s_barrier_wait -1
	v_cndmask_b32_e64 v65, -1, 0x80000000, vcc_lo
	; wave barrier
	s_delay_alu instid0(VALU_DEP_1) | instskip(NEXT) | instid1(VALU_DEP_1)
	v_xor_b32_e32 v140, v65, v140
	v_cmp_ne_u32_e32 vcc_lo, 0x7fffffff, v140
	v_cndmask_b32_e32 v65, 0x80000000, v140, vcc_lo
	s_delay_alu instid0(VALU_DEP_1) | instskip(NEXT) | instid1(VALU_DEP_1)
	v_lshrrev_b32_e32 v65, s49, v65
	v_bitop3_b32 v141, v65, 1, s58 bitop3:0x80
	v_and_b32_e32 v143, s58, v65
	s_delay_alu instid0(VALU_DEP_2) | instskip(NEXT) | instid1(VALU_DEP_1)
	v_add_co_u32 v65, s17, v141, -1
	v_cndmask_b32_e64 v141, 0, 1, s17
	s_delay_alu instid0(VALU_DEP_3) | instskip(SKIP_1) | instid1(VALU_DEP_3)
	v_dual_lshlrev_b32 v145, 30, v143 :: v_dual_lshlrev_b32 v147, 28, v143
	v_lshlrev_b32_e32 v146, 29, v143
	v_cmp_ne_u32_e32 vcc_lo, 0, v141
	s_delay_alu instid0(VALU_DEP_3) | instskip(SKIP_1) | instid1(VALU_DEP_4)
	v_cmp_gt_i32_e64 s17, 0, v145
	v_not_b32_e32 v141, v145
	v_cmp_gt_i32_e64 s18, 0, v146
	v_not_b32_e32 v145, v146
	v_not_b32_e32 v146, v147
	v_cmp_gt_i32_e64 s19, 0, v147
	v_ashrrev_i32_e32 v141, 31, v141
	v_bitop3_b32 v65, vcc_lo, exec_lo, v65 bitop3:0x48
	s_delay_alu instid0(VALU_DEP_4) | instskip(SKIP_2) | instid1(VALU_DEP_3)
	v_dual_ashrrev_i32 v146, 31, v146 :: v_dual_lshlrev_b32 v149, 27, v143
	v_dual_lshlrev_b32 v150, 26, v143 :: v_dual_lshlrev_b32 v151, 25, v143
	v_mul_u32_u24_e32 v143, 36, v143
	v_xor_b32_e32 v146, s19, v146
	s_delay_alu instid0(VALU_DEP_4)
	v_not_b32_e32 v147, v149
	v_ashrrev_i32_e32 v145, 31, v145
	v_cmp_gt_i32_e64 s20, 0, v149
	v_cmp_gt_i32_e64 s21, 0, v150
	v_not_b32_e32 v149, v150
	v_not_b32_e32 v150, v151
	v_dual_ashrrev_i32 v147, 31, v147 :: v_dual_bitop2_b32 v141, s17, v141 bitop3:0x14
	v_dual_add_nc_u32 v143, v25, v143 :: v_dual_bitop2_b32 v145, s18, v145 bitop3:0x14
	v_cmp_gt_i32_e64 s22, 0, v151
	s_delay_alu instid0(VALU_DEP_4) | instskip(NEXT) | instid1(VALU_DEP_4)
	v_dual_ashrrev_i32 v149, 31, v149 :: v_dual_ashrrev_i32 v150, 31, v150
	v_xor_b32_e32 v147, s20, v147
	s_delay_alu instid0(VALU_DEP_4) | instskip(NEXT) | instid1(VALU_DEP_3)
	v_bitop3_b32 v65, v65, v145, v141 bitop3:0x80
	v_xor_b32_e32 v141, s21, v149
	s_delay_alu instid0(VALU_DEP_4) | instskip(NEXT) | instid1(VALU_DEP_3)
	v_xor_b32_e32 v145, s22, v150
	v_bitop3_b32 v65, v65, v147, v146 bitop3:0x80
	s_delay_alu instid0(VALU_DEP_1) | instskip(NEXT) | instid1(VALU_DEP_1)
	v_bitop3_b32 v65, v65, v145, v141 bitop3:0x80
	v_mbcnt_lo_u32_b32 v141, v65, 0
	v_cmp_ne_u32_e64 s17, 0, v65
	s_delay_alu instid0(VALU_DEP_2) | instskip(SKIP_1) | instid1(SALU_CYCLE_1)
	v_cmp_eq_u32_e32 vcc_lo, 0, v141
	s_and_b32 s18, s17, vcc_lo
	s_and_saveexec_b32 s17, s18
; %bb.1071:                             ;   in Loop: Header=BB1422_1032 Depth=2
	v_bcnt_u32_b32 v65, v65, 0
	ds_store_b32 v143, v65 offset:544
; %bb.1072:                             ;   in Loop: Header=BB1422_1032 Depth=2
	s_or_b32 exec_lo, exec_lo, s17
	v_cmp_lt_i32_e32 vcc_lo, -1, v142
	; wave barrier
	v_cndmask_b32_e64 v65, -1, 0x80000000, vcc_lo
	s_delay_alu instid0(VALU_DEP_1) | instskip(NEXT) | instid1(VALU_DEP_1)
	v_xor_b32_e32 v142, v65, v142
	v_cmp_ne_u32_e32 vcc_lo, 0x7fffffff, v142
	v_cndmask_b32_e32 v65, 0x80000000, v142, vcc_lo
	s_delay_alu instid0(VALU_DEP_1) | instskip(NEXT) | instid1(VALU_DEP_1)
	v_lshrrev_b32_e32 v65, s49, v65
	v_bitop3_b32 v145, v65, 1, s58 bitop3:0x80
	v_and_b32_e32 v147, s58, v65
	s_delay_alu instid0(VALU_DEP_2) | instskip(NEXT) | instid1(VALU_DEP_1)
	v_add_co_u32 v65, s17, v145, -1
	v_cndmask_b32_e64 v145, 0, 1, s17
	s_delay_alu instid0(VALU_DEP_3) | instskip(NEXT) | instid1(VALU_DEP_2)
	v_dual_lshlrev_b32 v146, 30, v147 :: v_dual_lshlrev_b32 v149, 29, v147
	v_cmp_ne_u32_e32 vcc_lo, 0, v145
	s_delay_alu instid0(VALU_DEP_2) | instskip(SKIP_1) | instid1(VALU_DEP_4)
	v_cmp_gt_i32_e64 s17, 0, v146
	v_not_b32_e32 v145, v146
	v_not_b32_e32 v146, v149
	v_bitop3_b32 v65, vcc_lo, exec_lo, v65 bitop3:0x48
	s_delay_alu instid0(VALU_DEP_2) | instskip(SKIP_3) | instid1(VALU_DEP_3)
	v_dual_ashrrev_i32 v145, 31, v145 :: v_dual_ashrrev_i32 v146, 31, v146
	v_dual_lshlrev_b32 v150, 28, v147 :: v_dual_lshlrev_b32 v151, 27, v147
	v_dual_lshlrev_b32 v154, 26, v147 :: v_dual_lshlrev_b32 v155, 25, v147
	v_cmp_gt_i32_e64 s18, 0, v149
	v_cmp_gt_i32_e64 s19, 0, v150
	v_not_b32_e32 v149, v150
	v_not_b32_e32 v150, v151
	v_cmp_gt_i32_e64 s20, 0, v151
	v_cmp_gt_i32_e64 s21, 0, v154
	v_not_b32_e32 v151, v154
	v_not_b32_e32 v154, v155
	v_dual_ashrrev_i32 v149, 31, v149 :: v_dual_ashrrev_i32 v150, 31, v150
	s_delay_alu instid0(VALU_DEP_3) | instskip(SKIP_2) | instid1(VALU_DEP_4)
	v_dual_ashrrev_i32 v151, 31, v151 :: v_dual_bitop2_b32 v145, s17, v145 bitop3:0x14
	v_xor_b32_e32 v146, s18, v146
	v_cmp_gt_i32_e64 s22, 0, v155
	v_dual_ashrrev_i32 v154, 31, v154 :: v_dual_bitop2_b32 v149, s19, v149 bitop3:0x14
	v_xor_b32_e32 v150, s20, v150
	s_delay_alu instid0(VALU_DEP_4)
	v_bitop3_b32 v65, v65, v146, v145 bitop3:0x80
	v_mad_u32_u24 v145, v147, 36, v25
	v_xor_b32_e32 v146, s21, v151
	v_xor_b32_e32 v151, s22, v154
	v_mul_u32_u24_e32 v147, 36, v147
	v_bitop3_b32 v65, v65, v150, v149 bitop3:0x80
	ds_load_b32 v145, v145 offset:544
	; wave barrier
	v_add_nc_u32_e32 v147, v25, v147
	v_bitop3_b32 v65, v65, v151, v146 bitop3:0x80
	s_delay_alu instid0(VALU_DEP_1) | instskip(SKIP_1) | instid1(VALU_DEP_2)
	v_mbcnt_lo_u32_b32 v146, v65, 0
	v_cmp_ne_u32_e64 s17, 0, v65
	v_cmp_eq_u32_e32 vcc_lo, 0, v146
	s_and_b32 s18, s17, vcc_lo
	s_delay_alu instid0(SALU_CYCLE_1)
	s_and_saveexec_b32 s17, s18
	s_cbranch_execz .LBB1422_1074
; %bb.1073:                             ;   in Loop: Header=BB1422_1032 Depth=2
	s_wait_dscnt 0x0
	v_bcnt_u32_b32 v65, v65, v145
	ds_store_b32 v147, v65 offset:544
.LBB1422_1074:                          ;   in Loop: Header=BB1422_1032 Depth=2
	s_or_b32 exec_lo, exec_lo, s17
	v_cmp_lt_i32_e32 vcc_lo, -1, v144
	; wave barrier
	v_cndmask_b32_e64 v65, -1, 0x80000000, vcc_lo
	s_delay_alu instid0(VALU_DEP_1) | instskip(NEXT) | instid1(VALU_DEP_1)
	v_xor_b32_e32 v144, v65, v144
	v_cmp_ne_u32_e32 vcc_lo, 0x7fffffff, v144
	v_cndmask_b32_e32 v65, 0x80000000, v144, vcc_lo
	s_delay_alu instid0(VALU_DEP_1) | instskip(NEXT) | instid1(VALU_DEP_1)
	v_lshrrev_b32_e32 v65, s49, v65
	v_bitop3_b32 v149, v65, 1, s58 bitop3:0x80
	v_and_b32_e32 v151, s58, v65
	s_delay_alu instid0(VALU_DEP_2) | instskip(NEXT) | instid1(VALU_DEP_1)
	v_add_co_u32 v65, s17, v149, -1
	v_cndmask_b32_e64 v149, 0, 1, s17
	s_delay_alu instid0(VALU_DEP_3) | instskip(NEXT) | instid1(VALU_DEP_2)
	v_dual_lshlrev_b32 v150, 30, v151 :: v_dual_lshlrev_b32 v154, 29, v151
	v_cmp_ne_u32_e32 vcc_lo, 0, v149
	s_delay_alu instid0(VALU_DEP_2) | instskip(SKIP_1) | instid1(VALU_DEP_4)
	v_cmp_gt_i32_e64 s17, 0, v150
	v_not_b32_e32 v149, v150
	v_not_b32_e32 v150, v154
	v_bitop3_b32 v65, vcc_lo, exec_lo, v65 bitop3:0x48
	s_delay_alu instid0(VALU_DEP_2) | instskip(SKIP_3) | instid1(VALU_DEP_3)
	v_dual_ashrrev_i32 v149, 31, v149 :: v_dual_ashrrev_i32 v150, 31, v150
	v_dual_lshlrev_b32 v155, 28, v151 :: v_dual_lshlrev_b32 v156, 27, v151
	v_dual_lshlrev_b32 v159, 26, v151 :: v_dual_lshlrev_b32 v160, 25, v151
	v_cmp_gt_i32_e64 s18, 0, v154
	v_cmp_gt_i32_e64 s19, 0, v155
	v_not_b32_e32 v154, v155
	v_not_b32_e32 v155, v156
	v_cmp_gt_i32_e64 s20, 0, v156
	v_cmp_gt_i32_e64 s21, 0, v159
	v_not_b32_e32 v156, v159
	v_not_b32_e32 v159, v160
	v_dual_ashrrev_i32 v154, 31, v154 :: v_dual_ashrrev_i32 v155, 31, v155
	s_delay_alu instid0(VALU_DEP_3) | instskip(NEXT) | instid1(VALU_DEP_3)
	v_dual_ashrrev_i32 v156, 31, v156 :: v_dual_bitop2_b32 v149, s17, v149 bitop3:0x14
	v_dual_ashrrev_i32 v159, 31, v159 :: v_dual_bitop2_b32 v150, s18, v150 bitop3:0x14
	v_cmp_gt_i32_e64 s22, 0, v160
	s_delay_alu instid0(VALU_DEP_4) | instskip(NEXT) | instid1(VALU_DEP_3)
	v_xor_b32_e32 v155, s20, v155
	v_bitop3_b32 v65, v65, v150, v149 bitop3:0x80
	v_mad_u32_u24 v149, v151, 36, v25
	v_mul_u32_u24_e32 v151, 36, v151
	v_xor_b32_e32 v154, s19, v154
	v_xor_b32_e32 v150, s21, v156
	;; [unrolled: 1-line block ×3, first 2 shown]
	ds_load_b32 v149, v149 offset:544
	v_add_nc_u32_e32 v151, v25, v151
	v_bitop3_b32 v65, v65, v155, v154 bitop3:0x80
	; wave barrier
	s_delay_alu instid0(VALU_DEP_1) | instskip(NEXT) | instid1(VALU_DEP_1)
	v_bitop3_b32 v65, v65, v156, v150 bitop3:0x80
	v_mbcnt_lo_u32_b32 v150, v65, 0
	v_cmp_ne_u32_e64 s17, 0, v65
	s_delay_alu instid0(VALU_DEP_2) | instskip(SKIP_1) | instid1(SALU_CYCLE_1)
	v_cmp_eq_u32_e32 vcc_lo, 0, v150
	s_and_b32 s18, s17, vcc_lo
	s_and_saveexec_b32 s17, s18
	s_cbranch_execz .LBB1422_1076
; %bb.1075:                             ;   in Loop: Header=BB1422_1032 Depth=2
	s_wait_dscnt 0x0
	v_bcnt_u32_b32 v65, v65, v149
	ds_store_b32 v151, v65 offset:544
.LBB1422_1076:                          ;   in Loop: Header=BB1422_1032 Depth=2
	s_or_b32 exec_lo, exec_lo, s17
	v_cmp_lt_i32_e32 vcc_lo, -1, v148
	; wave barrier
	v_cndmask_b32_e64 v65, -1, 0x80000000, vcc_lo
	s_delay_alu instid0(VALU_DEP_1) | instskip(NEXT) | instid1(VALU_DEP_1)
	v_xor_b32_e32 v148, v65, v148
	v_cmp_ne_u32_e32 vcc_lo, 0x7fffffff, v148
	v_cndmask_b32_e32 v65, 0x80000000, v148, vcc_lo
	s_delay_alu instid0(VALU_DEP_1) | instskip(NEXT) | instid1(VALU_DEP_1)
	v_lshrrev_b32_e32 v65, s49, v65
	v_bitop3_b32 v154, v65, 1, s58 bitop3:0x80
	v_and_b32_e32 v156, s58, v65
	s_delay_alu instid0(VALU_DEP_2) | instskip(NEXT) | instid1(VALU_DEP_1)
	v_add_co_u32 v65, s17, v154, -1
	v_cndmask_b32_e64 v154, 0, 1, s17
	s_delay_alu instid0(VALU_DEP_3) | instskip(NEXT) | instid1(VALU_DEP_2)
	v_dual_lshlrev_b32 v155, 30, v156 :: v_dual_lshlrev_b32 v159, 29, v156
	v_cmp_ne_u32_e32 vcc_lo, 0, v154
	s_delay_alu instid0(VALU_DEP_2) | instskip(SKIP_1) | instid1(VALU_DEP_4)
	v_cmp_gt_i32_e64 s17, 0, v155
	v_not_b32_e32 v154, v155
	v_not_b32_e32 v155, v159
	v_cmp_gt_i32_e64 s18, 0, v159
	v_bitop3_b32 v65, vcc_lo, exec_lo, v65 bitop3:0x48
	s_delay_alu instid0(VALU_DEP_3) | instskip(SKIP_2) | instid1(VALU_DEP_2)
	v_dual_ashrrev_i32 v154, 31, v154 :: v_dual_ashrrev_i32 v155, 31, v155
	v_dual_lshlrev_b32 v160, 28, v156 :: v_dual_lshlrev_b32 v162, 27, v156
	v_dual_lshlrev_b32 v164, 26, v156 :: v_dual_lshlrev_b32 v165, 25, v156
	v_cmp_gt_i32_e64 s19, 0, v160
	v_not_b32_e32 v159, v160
	s_delay_alu instid0(VALU_DEP_4)
	v_not_b32_e32 v160, v162
	v_cmp_gt_i32_e64 s20, 0, v162
	v_cmp_gt_i32_e64 s21, 0, v164
	v_not_b32_e32 v162, v164
	v_not_b32_e32 v164, v165
	v_dual_ashrrev_i32 v159, 31, v159 :: v_dual_ashrrev_i32 v160, 31, v160
	v_xor_b32_e32 v154, s17, v154
	s_delay_alu instid0(VALU_DEP_4) | instskip(SKIP_3) | instid1(VALU_DEP_4)
	v_dual_ashrrev_i32 v162, 31, v162 :: v_dual_bitop2_b32 v155, s18, v155 bitop3:0x14
	v_cmp_gt_i32_e64 s22, 0, v165
	v_ashrrev_i32_e32 v164, 31, v164
	v_xor_b32_e32 v160, s20, v160
	v_bitop3_b32 v65, v65, v155, v154 bitop3:0x80
	v_mad_u32_u24 v154, v156, 36, v25
	v_mul_u32_u24_e32 v156, 36, v156
	v_xor_b32_e32 v159, s19, v159
	v_xor_b32_e32 v155, s21, v162
	;; [unrolled: 1-line block ×3, first 2 shown]
	ds_load_b32 v154, v154 offset:544
	v_add_nc_u32_e32 v156, v25, v156
	v_bitop3_b32 v65, v65, v160, v159 bitop3:0x80
	; wave barrier
	s_delay_alu instid0(VALU_DEP_1) | instskip(NEXT) | instid1(VALU_DEP_1)
	v_bitop3_b32 v65, v65, v162, v155 bitop3:0x80
	v_mbcnt_lo_u32_b32 v155, v65, 0
	v_cmp_ne_u32_e64 s17, 0, v65
	s_delay_alu instid0(VALU_DEP_2) | instskip(SKIP_1) | instid1(SALU_CYCLE_1)
	v_cmp_eq_u32_e32 vcc_lo, 0, v155
	s_and_b32 s18, s17, vcc_lo
	s_and_saveexec_b32 s17, s18
	s_cbranch_execz .LBB1422_1078
; %bb.1077:                             ;   in Loop: Header=BB1422_1032 Depth=2
	s_wait_dscnt 0x0
	v_bcnt_u32_b32 v65, v65, v154
	ds_store_b32 v156, v65 offset:544
.LBB1422_1078:                          ;   in Loop: Header=BB1422_1032 Depth=2
	s_or_b32 exec_lo, exec_lo, s17
	v_cmp_lt_i32_e32 vcc_lo, -1, v153
	; wave barrier
	v_cndmask_b32_e64 v65, -1, 0x80000000, vcc_lo
	s_delay_alu instid0(VALU_DEP_1) | instskip(NEXT) | instid1(VALU_DEP_1)
	v_xor_b32_e32 v153, v65, v153
	v_cmp_ne_u32_e32 vcc_lo, 0x7fffffff, v153
	v_cndmask_b32_e32 v65, 0x80000000, v153, vcc_lo
	s_delay_alu instid0(VALU_DEP_1) | instskip(NEXT) | instid1(VALU_DEP_1)
	v_lshrrev_b32_e32 v65, s49, v65
	v_and_b32_e32 v162, s58, v65
	s_delay_alu instid0(VALU_DEP_1) | instskip(SKIP_2) | instid1(VALU_DEP_3)
	v_lshlrev_b32_e32 v165, 28, v162
	v_bitop3_b32 v159, v65, 1, s58 bitop3:0x80
	v_lshlrev_b32_e32 v160, 30, v162
	v_cmp_gt_i32_e64 s19, 0, v165
	s_delay_alu instid0(VALU_DEP_3) | instskip(NEXT) | instid1(VALU_DEP_1)
	v_add_co_u32 v65, s17, v159, -1
	v_cndmask_b32_e64 v159, 0, 1, s17
	s_delay_alu instid0(VALU_DEP_4) | instskip(NEXT) | instid1(VALU_DEP_2)
	v_cmp_gt_i32_e64 s17, 0, v160
	v_cmp_ne_u32_e32 vcc_lo, 0, v159
	v_not_b32_e32 v159, v160
	v_bitop3_b32 v65, vcc_lo, exec_lo, v65 bitop3:0x48
	s_delay_alu instid0(VALU_DEP_2) | instskip(SKIP_1) | instid1(VALU_DEP_2)
	v_dual_ashrrev_i32 v159, 31, v159 :: v_dual_lshlrev_b32 v164, 29, v162
	v_dual_lshlrev_b32 v167, 27, v162 :: v_dual_lshlrev_b32 v169, 26, v162
	v_not_b32_e32 v160, v164
	v_lshlrev_b32_e32 v170, 25, v162
	v_cmp_gt_i32_e64 s18, 0, v164
	v_not_b32_e32 v164, v165
	v_not_b32_e32 v165, v167
	v_ashrrev_i32_e32 v160, 31, v160
	v_cmp_gt_i32_e64 s20, 0, v167
	v_cmp_gt_i32_e64 s21, 0, v169
	v_not_b32_e32 v167, v169
	v_not_b32_e32 v169, v170
	v_dual_ashrrev_i32 v164, 31, v164 :: v_dual_ashrrev_i32 v165, 31, v165
	v_xor_b32_e32 v159, s17, v159
	s_delay_alu instid0(VALU_DEP_4) | instskip(SKIP_3) | instid1(VALU_DEP_4)
	v_dual_ashrrev_i32 v167, 31, v167 :: v_dual_bitop2_b32 v160, s18, v160 bitop3:0x14
	v_cmp_gt_i32_e64 s22, 0, v170
	v_ashrrev_i32_e32 v169, 31, v169
	v_xor_b32_e32 v165, s20, v165
	v_bitop3_b32 v65, v65, v160, v159 bitop3:0x80
	v_mad_u32_u24 v159, v162, 36, v25
	v_mul_u32_u24_e32 v162, 36, v162
	v_xor_b32_e32 v164, s19, v164
	v_xor_b32_e32 v160, s21, v167
	;; [unrolled: 1-line block ×3, first 2 shown]
	ds_load_b32 v159, v159 offset:544
	v_add_nc_u32_e32 v162, v25, v162
	v_bitop3_b32 v65, v65, v165, v164 bitop3:0x80
	; wave barrier
	s_delay_alu instid0(VALU_DEP_1) | instskip(NEXT) | instid1(VALU_DEP_1)
	v_bitop3_b32 v65, v65, v167, v160 bitop3:0x80
	v_mbcnt_lo_u32_b32 v160, v65, 0
	v_cmp_ne_u32_e64 s17, 0, v65
	s_delay_alu instid0(VALU_DEP_2) | instskip(SKIP_1) | instid1(SALU_CYCLE_1)
	v_cmp_eq_u32_e32 vcc_lo, 0, v160
	s_and_b32 s18, s17, vcc_lo
	s_and_saveexec_b32 s17, s18
	s_cbranch_execz .LBB1422_1080
; %bb.1079:                             ;   in Loop: Header=BB1422_1032 Depth=2
	s_wait_dscnt 0x0
	v_bcnt_u32_b32 v65, v65, v159
	ds_store_b32 v162, v65 offset:544
.LBB1422_1080:                          ;   in Loop: Header=BB1422_1032 Depth=2
	s_or_b32 exec_lo, exec_lo, s17
	v_cmp_lt_i32_e32 vcc_lo, -1, v158
	; wave barrier
	v_cndmask_b32_e64 v65, -1, 0x80000000, vcc_lo
	s_delay_alu instid0(VALU_DEP_1) | instskip(NEXT) | instid1(VALU_DEP_1)
	v_xor_b32_e32 v158, v65, v158
	v_cmp_ne_u32_e32 vcc_lo, 0x7fffffff, v158
	v_cndmask_b32_e32 v65, 0x80000000, v158, vcc_lo
	s_delay_alu instid0(VALU_DEP_1) | instskip(NEXT) | instid1(VALU_DEP_1)
	v_lshrrev_b32_e32 v65, s49, v65
	v_bitop3_b32 v164, v65, 1, s58 bitop3:0x80
	v_and_b32_e32 v167, s58, v65
	s_delay_alu instid0(VALU_DEP_2) | instskip(NEXT) | instid1(VALU_DEP_1)
	v_add_co_u32 v65, s17, v164, -1
	v_cndmask_b32_e64 v164, 0, 1, s17
	s_delay_alu instid0(VALU_DEP_3) | instskip(NEXT) | instid1(VALU_DEP_2)
	v_lshlrev_b32_e32 v165, 30, v167
	v_cmp_ne_u32_e32 vcc_lo, 0, v164
	s_delay_alu instid0(VALU_DEP_2) | instskip(SKIP_1) | instid1(VALU_DEP_2)
	v_not_b32_e32 v164, v165
	v_bitop3_b32 v65, vcc_lo, exec_lo, v65 bitop3:0x48
	v_dual_ashrrev_i32 v164, 31, v164 :: v_dual_lshlrev_b32 v169, 29, v167
	v_dual_lshlrev_b32 v170, 28, v167 :: v_dual_lshlrev_b32 v172, 27, v167
	v_lshlrev_b32_e32 v174, 26, v167
	v_cmp_gt_i32_e64 s17, 0, v165
	s_delay_alu instid0(VALU_DEP_4)
	v_not_b32_e32 v165, v169
	v_lshlrev_b32_e32 v175, 25, v167
	v_cmp_gt_i32_e64 s18, 0, v169
	v_cmp_gt_i32_e64 s19, 0, v170
	v_not_b32_e32 v169, v170
	v_not_b32_e32 v170, v172
	v_ashrrev_i32_e32 v165, 31, v165
	v_cmp_gt_i32_e64 s20, 0, v172
	v_cmp_gt_i32_e64 s21, 0, v174
	v_not_b32_e32 v172, v174
	v_not_b32_e32 v174, v175
	v_dual_ashrrev_i32 v169, 31, v169 :: v_dual_ashrrev_i32 v170, 31, v170
	v_xor_b32_e32 v164, s17, v164
	s_delay_alu instid0(VALU_DEP_4) | instskip(SKIP_3) | instid1(VALU_DEP_4)
	v_dual_ashrrev_i32 v172, 31, v172 :: v_dual_bitop2_b32 v165, s18, v165 bitop3:0x14
	v_cmp_gt_i32_e64 s22, 0, v175
	v_ashrrev_i32_e32 v174, 31, v174
	v_xor_b32_e32 v170, s20, v170
	v_bitop3_b32 v65, v65, v165, v164 bitop3:0x80
	v_mad_u32_u24 v164, v167, 36, v25
	v_mul_u32_u24_e32 v167, 36, v167
	v_xor_b32_e32 v169, s19, v169
	v_xor_b32_e32 v165, s21, v172
	;; [unrolled: 1-line block ×3, first 2 shown]
	ds_load_b32 v164, v164 offset:544
	v_add_nc_u32_e32 v167, v25, v167
	v_bitop3_b32 v65, v65, v170, v169 bitop3:0x80
	; wave barrier
	s_delay_alu instid0(VALU_DEP_1) | instskip(NEXT) | instid1(VALU_DEP_1)
	v_bitop3_b32 v65, v65, v172, v165 bitop3:0x80
	v_mbcnt_lo_u32_b32 v165, v65, 0
	v_cmp_ne_u32_e64 s17, 0, v65
	s_delay_alu instid0(VALU_DEP_2) | instskip(SKIP_1) | instid1(SALU_CYCLE_1)
	v_cmp_eq_u32_e32 vcc_lo, 0, v165
	s_and_b32 s18, s17, vcc_lo
	s_and_saveexec_b32 s17, s18
	s_cbranch_execz .LBB1422_1082
; %bb.1081:                             ;   in Loop: Header=BB1422_1032 Depth=2
	s_wait_dscnt 0x0
	v_bcnt_u32_b32 v65, v65, v164
	ds_store_b32 v167, v65 offset:544
.LBB1422_1082:                          ;   in Loop: Header=BB1422_1032 Depth=2
	s_or_b32 exec_lo, exec_lo, s17
	v_cmp_lt_i32_e32 vcc_lo, -1, v163
	; wave barrier
	v_cndmask_b32_e64 v65, -1, 0x80000000, vcc_lo
	s_delay_alu instid0(VALU_DEP_1) | instskip(NEXT) | instid1(VALU_DEP_1)
	v_xor_b32_e32 v163, v65, v163
	v_cmp_ne_u32_e32 vcc_lo, 0x7fffffff, v163
	v_cndmask_b32_e32 v65, 0x80000000, v163, vcc_lo
	s_delay_alu instid0(VALU_DEP_1) | instskip(NEXT) | instid1(VALU_DEP_1)
	v_lshrrev_b32_e32 v65, s49, v65
	v_bitop3_b32 v169, v65, 1, s58 bitop3:0x80
	v_and_b32_e32 v172, s58, v65
	s_delay_alu instid0(VALU_DEP_2) | instskip(NEXT) | instid1(VALU_DEP_1)
	v_add_co_u32 v65, s17, v169, -1
	v_cndmask_b32_e64 v169, 0, 1, s17
	s_delay_alu instid0(VALU_DEP_3) | instskip(NEXT) | instid1(VALU_DEP_2)
	v_dual_lshlrev_b32 v170, 30, v172 :: v_dual_lshlrev_b32 v174, 29, v172
	v_cmp_ne_u32_e32 vcc_lo, 0, v169
	s_delay_alu instid0(VALU_DEP_2) | instskip(SKIP_1) | instid1(VALU_DEP_4)
	v_cmp_gt_i32_e64 s17, 0, v170
	v_not_b32_e32 v169, v170
	v_not_b32_e32 v170, v174
	v_bitop3_b32 v65, vcc_lo, exec_lo, v65 bitop3:0x48
	s_delay_alu instid0(VALU_DEP_2) | instskip(SKIP_3) | instid1(VALU_DEP_3)
	v_dual_ashrrev_i32 v169, 31, v169 :: v_dual_ashrrev_i32 v170, 31, v170
	v_dual_lshlrev_b32 v175, 28, v172 :: v_dual_lshlrev_b32 v176, 27, v172
	v_dual_lshlrev_b32 v177, 26, v172 :: v_dual_lshlrev_b32 v178, 25, v172
	v_cmp_gt_i32_e64 s18, 0, v174
	v_cmp_gt_i32_e64 s19, 0, v175
	v_not_b32_e32 v174, v175
	v_not_b32_e32 v175, v176
	v_cmp_gt_i32_e64 s20, 0, v176
	v_cmp_gt_i32_e64 s21, 0, v177
	v_not_b32_e32 v176, v177
	v_not_b32_e32 v177, v178
	v_dual_ashrrev_i32 v174, 31, v174 :: v_dual_ashrrev_i32 v175, 31, v175
	s_delay_alu instid0(VALU_DEP_3) | instskip(NEXT) | instid1(VALU_DEP_3)
	v_dual_ashrrev_i32 v176, 31, v176 :: v_dual_bitop2_b32 v169, s17, v169 bitop3:0x14
	v_dual_ashrrev_i32 v177, 31, v177 :: v_dual_bitop2_b32 v170, s18, v170 bitop3:0x14
	v_cmp_gt_i32_e64 s22, 0, v178
	s_delay_alu instid0(VALU_DEP_4) | instskip(NEXT) | instid1(VALU_DEP_3)
	v_xor_b32_e32 v175, s20, v175
	v_bitop3_b32 v65, v65, v170, v169 bitop3:0x80
	v_mad_u32_u24 v169, v172, 36, v25
	v_mul_u32_u24_e32 v172, 36, v172
	v_xor_b32_e32 v174, s19, v174
	v_xor_b32_e32 v170, s21, v176
	;; [unrolled: 1-line block ×3, first 2 shown]
	ds_load_b32 v169, v169 offset:544
	v_add_nc_u32_e32 v172, v25, v172
	v_bitop3_b32 v65, v65, v175, v174 bitop3:0x80
	; wave barrier
	s_delay_alu instid0(VALU_DEP_1) | instskip(NEXT) | instid1(VALU_DEP_1)
	v_bitop3_b32 v65, v65, v176, v170 bitop3:0x80
	v_mbcnt_lo_u32_b32 v170, v65, 0
	v_cmp_ne_u32_e64 s17, 0, v65
	s_delay_alu instid0(VALU_DEP_2) | instskip(SKIP_1) | instid1(SALU_CYCLE_1)
	v_cmp_eq_u32_e32 vcc_lo, 0, v170
	s_and_b32 s18, s17, vcc_lo
	s_and_saveexec_b32 s17, s18
	s_cbranch_execz .LBB1422_1084
; %bb.1083:                             ;   in Loop: Header=BB1422_1032 Depth=2
	s_wait_dscnt 0x0
	v_bcnt_u32_b32 v65, v65, v169
	ds_store_b32 v172, v65 offset:544
.LBB1422_1084:                          ;   in Loop: Header=BB1422_1032 Depth=2
	s_or_b32 exec_lo, exec_lo, s17
	v_cmp_lt_i32_e32 vcc_lo, -1, v168
	; wave barrier
	v_cndmask_b32_e64 v65, -1, 0x80000000, vcc_lo
	s_delay_alu instid0(VALU_DEP_1) | instskip(NEXT) | instid1(VALU_DEP_1)
	v_xor_b32_e32 v168, v65, v168
	v_cmp_ne_u32_e32 vcc_lo, 0x7fffffff, v168
	v_cndmask_b32_e32 v65, 0x80000000, v168, vcc_lo
	s_delay_alu instid0(VALU_DEP_1) | instskip(NEXT) | instid1(VALU_DEP_1)
	v_lshrrev_b32_e32 v65, s49, v65
	v_bitop3_b32 v174, v65, 1, s58 bitop3:0x80
	v_and_b32_e32 v176, s58, v65
	s_delay_alu instid0(VALU_DEP_2) | instskip(NEXT) | instid1(VALU_DEP_1)
	v_add_co_u32 v65, s17, v174, -1
	v_cndmask_b32_e64 v174, 0, 1, s17
	s_delay_alu instid0(VALU_DEP_3) | instskip(NEXT) | instid1(VALU_DEP_2)
	v_dual_lshlrev_b32 v175, 30, v176 :: v_dual_lshlrev_b32 v177, 29, v176
	v_cmp_ne_u32_e32 vcc_lo, 0, v174
	s_delay_alu instid0(VALU_DEP_2) | instskip(SKIP_1) | instid1(VALU_DEP_4)
	v_cmp_gt_i32_e64 s17, 0, v175
	v_not_b32_e32 v174, v175
	v_not_b32_e32 v175, v177
	v_cmp_gt_i32_e64 s18, 0, v177
	v_bitop3_b32 v65, vcc_lo, exec_lo, v65 bitop3:0x48
	s_delay_alu instid0(VALU_DEP_3) | instskip(SKIP_2) | instid1(VALU_DEP_2)
	v_dual_ashrrev_i32 v174, 31, v174 :: v_dual_ashrrev_i32 v175, 31, v175
	v_dual_lshlrev_b32 v178, 28, v176 :: v_dual_lshlrev_b32 v179, 27, v176
	v_dual_lshlrev_b32 v180, 26, v176 :: v_dual_lshlrev_b32 v181, 25, v176
	v_cmp_gt_i32_e64 s19, 0, v178
	v_not_b32_e32 v177, v178
	s_delay_alu instid0(VALU_DEP_4)
	v_not_b32_e32 v178, v179
	v_cmp_gt_i32_e64 s20, 0, v179
	v_cmp_gt_i32_e64 s21, 0, v180
	v_not_b32_e32 v179, v180
	v_not_b32_e32 v180, v181
	v_dual_ashrrev_i32 v177, 31, v177 :: v_dual_ashrrev_i32 v178, 31, v178
	s_delay_alu instid0(VALU_DEP_3) | instskip(NEXT) | instid1(VALU_DEP_3)
	v_dual_ashrrev_i32 v179, 31, v179 :: v_dual_bitop2_b32 v174, s17, v174 bitop3:0x14
	v_dual_ashrrev_i32 v180, 31, v180 :: v_dual_bitop2_b32 v175, s18, v175 bitop3:0x14
	v_cmp_gt_i32_e64 s22, 0, v181
	s_delay_alu instid0(VALU_DEP_4) | instskip(NEXT) | instid1(VALU_DEP_3)
	v_xor_b32_e32 v178, s20, v178
	v_bitop3_b32 v65, v65, v175, v174 bitop3:0x80
	v_mad_u32_u24 v174, v176, 36, v25
	v_mul_u32_u24_e32 v176, 36, v176
	v_xor_b32_e32 v177, s19, v177
	v_xor_b32_e32 v175, s21, v179
	;; [unrolled: 1-line block ×3, first 2 shown]
	ds_load_b32 v174, v174 offset:544
	v_add_nc_u32_e32 v176, v25, v176
	v_bitop3_b32 v65, v65, v178, v177 bitop3:0x80
	; wave barrier
	s_delay_alu instid0(VALU_DEP_1) | instskip(NEXT) | instid1(VALU_DEP_1)
	v_bitop3_b32 v65, v65, v179, v175 bitop3:0x80
	v_mbcnt_lo_u32_b32 v175, v65, 0
	v_cmp_ne_u32_e64 s17, 0, v65
	s_delay_alu instid0(VALU_DEP_2) | instskip(SKIP_1) | instid1(SALU_CYCLE_1)
	v_cmp_eq_u32_e32 vcc_lo, 0, v175
	s_and_b32 s18, s17, vcc_lo
	s_and_saveexec_b32 s17, s18
	s_cbranch_execz .LBB1422_1086
; %bb.1085:                             ;   in Loop: Header=BB1422_1032 Depth=2
	s_wait_dscnt 0x0
	v_bcnt_u32_b32 v65, v65, v174
	ds_store_b32 v176, v65 offset:544
.LBB1422_1086:                          ;   in Loop: Header=BB1422_1032 Depth=2
	s_or_b32 exec_lo, exec_lo, s17
	v_cmp_lt_i32_e32 vcc_lo, -1, v173
	; wave barrier
	v_cndmask_b32_e64 v65, -1, 0x80000000, vcc_lo
	s_delay_alu instid0(VALU_DEP_1) | instskip(NEXT) | instid1(VALU_DEP_1)
	v_xor_b32_e32 v173, v65, v173
	v_cmp_ne_u32_e32 vcc_lo, 0x7fffffff, v173
	v_cndmask_b32_e32 v65, 0x80000000, v173, vcc_lo
	s_delay_alu instid0(VALU_DEP_1) | instskip(NEXT) | instid1(VALU_DEP_1)
	v_lshrrev_b32_e32 v65, s49, v65
	v_and_b32_e32 v179, s58, v65
	s_delay_alu instid0(VALU_DEP_1) | instskip(SKIP_2) | instid1(VALU_DEP_3)
	v_lshlrev_b32_e32 v181, 28, v179
	v_bitop3_b32 v177, v65, 1, s58 bitop3:0x80
	v_dual_lshlrev_b32 v178, 30, v179 :: v_dual_lshlrev_b32 v180, 29, v179
	v_cmp_gt_i32_e64 s19, 0, v181
	s_delay_alu instid0(VALU_DEP_3) | instskip(NEXT) | instid1(VALU_DEP_1)
	v_add_co_u32 v65, s17, v177, -1
	v_cndmask_b32_e64 v177, 0, 1, s17
	s_delay_alu instid0(VALU_DEP_4) | instskip(SKIP_1) | instid1(VALU_DEP_3)
	v_cmp_gt_i32_e64 s17, 0, v178
	v_cmp_gt_i32_e64 s18, 0, v180
	v_cmp_ne_u32_e32 vcc_lo, 0, v177
	v_not_b32_e32 v177, v178
	v_not_b32_e32 v178, v180
	;; [unrolled: 1-line block ×3, first 2 shown]
	v_bitop3_b32 v65, vcc_lo, exec_lo, v65 bitop3:0x48
	s_delay_alu instid0(VALU_DEP_3) | instskip(SKIP_2) | instid1(VALU_DEP_2)
	v_dual_ashrrev_i32 v177, 31, v177 :: v_dual_ashrrev_i32 v178, 31, v178
	v_dual_lshlrev_b32 v182, 27, v179 :: v_dual_lshlrev_b32 v183, 26, v179
	v_lshlrev_b32_e32 v184, 25, v179
	v_not_b32_e32 v181, v182
	v_cmp_gt_i32_e64 s20, 0, v182
	s_delay_alu instid0(VALU_DEP_4) | instskip(SKIP_3) | instid1(VALU_DEP_3)
	v_cmp_gt_i32_e64 s21, 0, v183
	v_not_b32_e32 v182, v183
	v_not_b32_e32 v183, v184
	v_dual_ashrrev_i32 v180, 31, v180 :: v_dual_ashrrev_i32 v181, 31, v181
	v_dual_ashrrev_i32 v182, 31, v182 :: v_dual_bitop2_b32 v177, s17, v177 bitop3:0x14
	s_delay_alu instid0(VALU_DEP_3) | instskip(SKIP_1) | instid1(VALU_DEP_4)
	v_dual_ashrrev_i32 v183, 31, v183 :: v_dual_bitop2_b32 v178, s18, v178 bitop3:0x14
	v_cmp_gt_i32_e64 s22, 0, v184
	v_xor_b32_e32 v181, s20, v181
	s_delay_alu instid0(VALU_DEP_3)
	v_bitop3_b32 v65, v65, v178, v177 bitop3:0x80
	v_mad_u32_u24 v177, v179, 36, v25
	v_mul_u32_u24_e32 v179, 36, v179
	v_xor_b32_e32 v180, s19, v180
	v_xor_b32_e32 v178, s21, v182
	;; [unrolled: 1-line block ×3, first 2 shown]
	ds_load_b32 v177, v177 offset:544
	v_add_nc_u32_e32 v179, v25, v179
	v_bitop3_b32 v65, v65, v181, v180 bitop3:0x80
	; wave barrier
	s_delay_alu instid0(VALU_DEP_1) | instskip(NEXT) | instid1(VALU_DEP_1)
	v_bitop3_b32 v65, v65, v182, v178 bitop3:0x80
	v_mbcnt_lo_u32_b32 v178, v65, 0
	v_cmp_ne_u32_e64 s17, 0, v65
	s_delay_alu instid0(VALU_DEP_2) | instskip(SKIP_1) | instid1(SALU_CYCLE_1)
	v_cmp_eq_u32_e32 vcc_lo, 0, v178
	s_and_b32 s18, s17, vcc_lo
	s_and_saveexec_b32 s17, s18
	s_cbranch_execz .LBB1422_1088
; %bb.1087:                             ;   in Loop: Header=BB1422_1032 Depth=2
	s_wait_dscnt 0x0
	v_bcnt_u32_b32 v65, v65, v177
	ds_store_b32 v179, v65 offset:544
.LBB1422_1088:                          ;   in Loop: Header=BB1422_1032 Depth=2
	s_or_b32 exec_lo, exec_lo, s17
	v_cmp_lt_i32_e32 vcc_lo, -1, v171
	; wave barrier
	v_cndmask_b32_e64 v65, -1, 0x80000000, vcc_lo
	s_delay_alu instid0(VALU_DEP_1) | instskip(NEXT) | instid1(VALU_DEP_1)
	v_xor_b32_e32 v171, v65, v171
	v_cmp_ne_u32_e32 vcc_lo, 0x7fffffff, v171
	v_cndmask_b32_e32 v65, 0x80000000, v171, vcc_lo
	s_delay_alu instid0(VALU_DEP_1) | instskip(NEXT) | instid1(VALU_DEP_1)
	v_lshrrev_b32_e32 v65, s49, v65
	v_bitop3_b32 v180, v65, 1, s58 bitop3:0x80
	v_and_b32_e32 v182, s58, v65
	s_delay_alu instid0(VALU_DEP_2) | instskip(NEXT) | instid1(VALU_DEP_1)
	v_add_co_u32 v65, s17, v180, -1
	v_cndmask_b32_e64 v180, 0, 1, s17
	s_delay_alu instid0(VALU_DEP_3) | instskip(NEXT) | instid1(VALU_DEP_2)
	v_lshlrev_b32_e32 v181, 30, v182
	v_cmp_ne_u32_e32 vcc_lo, 0, v180
	s_delay_alu instid0(VALU_DEP_2) | instskip(SKIP_1) | instid1(VALU_DEP_2)
	v_not_b32_e32 v180, v181
	v_bitop3_b32 v65, vcc_lo, exec_lo, v65 bitop3:0x48
	v_dual_ashrrev_i32 v180, 31, v180 :: v_dual_lshlrev_b32 v183, 29, v182
	v_dual_lshlrev_b32 v184, 28, v182 :: v_dual_lshlrev_b32 v185, 27, v182
	v_lshlrev_b32_e32 v186, 26, v182
	v_cmp_gt_i32_e64 s17, 0, v181
	s_delay_alu instid0(VALU_DEP_4)
	v_not_b32_e32 v181, v183
	v_lshlrev_b32_e32 v187, 25, v182
	v_cmp_gt_i32_e64 s18, 0, v183
	v_cmp_gt_i32_e64 s19, 0, v184
	v_not_b32_e32 v183, v184
	v_not_b32_e32 v184, v185
	v_ashrrev_i32_e32 v181, 31, v181
	v_cmp_gt_i32_e64 s20, 0, v185
	v_cmp_gt_i32_e64 s21, 0, v186
	v_not_b32_e32 v185, v186
	v_not_b32_e32 v186, v187
	v_dual_ashrrev_i32 v183, 31, v183 :: v_dual_ashrrev_i32 v184, 31, v184
	s_delay_alu instid0(VALU_DEP_3) | instskip(NEXT) | instid1(VALU_DEP_3)
	v_dual_ashrrev_i32 v185, 31, v185 :: v_dual_bitop2_b32 v180, s17, v180 bitop3:0x14
	v_dual_ashrrev_i32 v186, 31, v186 :: v_dual_bitop2_b32 v181, s18, v181 bitop3:0x14
	v_cmp_gt_i32_e64 s22, 0, v187
	s_delay_alu instid0(VALU_DEP_4) | instskip(NEXT) | instid1(VALU_DEP_3)
	v_xor_b32_e32 v184, s20, v184
	v_bitop3_b32 v65, v65, v181, v180 bitop3:0x80
	v_mad_u32_u24 v180, v182, 36, v25
	v_mul_u32_u24_e32 v182, 36, v182
	v_xor_b32_e32 v183, s19, v183
	v_xor_b32_e32 v181, s21, v185
	;; [unrolled: 1-line block ×3, first 2 shown]
	ds_load_b32 v180, v180 offset:544
	v_add_nc_u32_e32 v182, v25, v182
	v_bitop3_b32 v65, v65, v184, v183 bitop3:0x80
	; wave barrier
	s_delay_alu instid0(VALU_DEP_1) | instskip(NEXT) | instid1(VALU_DEP_1)
	v_bitop3_b32 v65, v65, v185, v181 bitop3:0x80
	v_mbcnt_lo_u32_b32 v181, v65, 0
	v_cmp_ne_u32_e64 s17, 0, v65
	s_delay_alu instid0(VALU_DEP_2) | instskip(SKIP_1) | instid1(SALU_CYCLE_1)
	v_cmp_eq_u32_e32 vcc_lo, 0, v181
	s_and_b32 s18, s17, vcc_lo
	s_and_saveexec_b32 s17, s18
	s_cbranch_execz .LBB1422_1090
; %bb.1089:                             ;   in Loop: Header=BB1422_1032 Depth=2
	s_wait_dscnt 0x0
	v_bcnt_u32_b32 v65, v65, v180
	ds_store_b32 v182, v65 offset:544
.LBB1422_1090:                          ;   in Loop: Header=BB1422_1032 Depth=2
	s_or_b32 exec_lo, exec_lo, s17
	v_cmp_lt_i32_e32 vcc_lo, -1, v166
	; wave barrier
	v_cndmask_b32_e64 v65, -1, 0x80000000, vcc_lo
	s_delay_alu instid0(VALU_DEP_1) | instskip(NEXT) | instid1(VALU_DEP_1)
	v_xor_b32_e32 v166, v65, v166
	v_cmp_ne_u32_e32 vcc_lo, 0x7fffffff, v166
	v_cndmask_b32_e32 v65, 0x80000000, v166, vcc_lo
	s_delay_alu instid0(VALU_DEP_1) | instskip(NEXT) | instid1(VALU_DEP_1)
	v_lshrrev_b32_e32 v65, s49, v65
	v_bitop3_b32 v183, v65, 1, s58 bitop3:0x80
	v_and_b32_e32 v186, s58, v65
	s_delay_alu instid0(VALU_DEP_2) | instskip(NEXT) | instid1(VALU_DEP_1)
	v_add_co_u32 v65, s17, v183, -1
	v_cndmask_b32_e64 v183, 0, 1, s17
	s_delay_alu instid0(VALU_DEP_3) | instskip(NEXT) | instid1(VALU_DEP_2)
	v_lshlrev_b32_e32 v184, 30, v186
	v_cmp_ne_u32_e32 vcc_lo, 0, v183
	s_delay_alu instid0(VALU_DEP_2) | instskip(SKIP_1) | instid1(VALU_DEP_2)
	v_not_b32_e32 v183, v184
	v_bitop3_b32 v65, vcc_lo, exec_lo, v65 bitop3:0x48
	v_dual_ashrrev_i32 v183, 31, v183 :: v_dual_lshlrev_b32 v185, 29, v186
	v_cmp_gt_i32_e64 s17, 0, v184
	v_dual_lshlrev_b32 v187, 28, v186 :: v_dual_lshlrev_b32 v188, 27, v186
	v_dual_lshlrev_b32 v189, 26, v186 :: v_dual_lshlrev_b32 v190, 25, v186
	s_delay_alu instid0(VALU_DEP_4) | instskip(SKIP_1) | instid1(VALU_DEP_4)
	v_not_b32_e32 v184, v185
	v_cmp_gt_i32_e64 s18, 0, v185
	v_cmp_gt_i32_e64 s19, 0, v187
	v_not_b32_e32 v185, v187
	v_cmp_gt_i32_e64 s20, 0, v188
	v_ashrrev_i32_e32 v184, 31, v184
	v_not_b32_e32 v187, v188
	v_cmp_gt_i32_e64 s21, 0, v189
	v_not_b32_e32 v188, v189
	v_not_b32_e32 v189, v190
	v_xor_b32_e32 v183, s17, v183
	v_dual_ashrrev_i32 v185, 31, v185 :: v_dual_bitop2_b32 v184, s18, v184 bitop3:0x14
	s_delay_alu instid0(VALU_DEP_4) | instskip(NEXT) | instid1(VALU_DEP_4)
	v_dual_ashrrev_i32 v187, 31, v187 :: v_dual_ashrrev_i32 v188, 31, v188
	v_ashrrev_i32_e32 v189, 31, v189
	s_delay_alu instid0(VALU_DEP_3)
	v_bitop3_b32 v65, v65, v184, v183 bitop3:0x80
	v_mad_u32_u24 v183, v186, 36, v25
	v_cmp_gt_i32_e64 s22, 0, v190
	v_xor_b32_e32 v187, s20, v187
	v_xor_b32_e32 v188, s21, v188
	ds_load_b32 v184, v183 offset:544
	v_mul_u32_u24_e32 v183, 36, v186
	v_xor_b32_e32 v185, s19, v185
	v_xor_b32_e32 v189, s22, v189
	; wave barrier
	s_delay_alu instid0(VALU_DEP_3) | instskip(NEXT) | instid1(VALU_DEP_3)
	v_add_nc_u32_e32 v186, v25, v183
	v_bitop3_b32 v65, v65, v187, v185 bitop3:0x80
	s_delay_alu instid0(VALU_DEP_1) | instskip(NEXT) | instid1(VALU_DEP_1)
	v_bitop3_b32 v65, v65, v189, v188 bitop3:0x80
	v_mbcnt_lo_u32_b32 v185, v65, 0
	v_cmp_ne_u32_e64 s17, 0, v65
	s_delay_alu instid0(VALU_DEP_2) | instskip(SKIP_1) | instid1(SALU_CYCLE_1)
	v_cmp_eq_u32_e32 vcc_lo, 0, v185
	s_and_b32 s18, s17, vcc_lo
	s_and_saveexec_b32 s17, s18
	s_cbranch_execz .LBB1422_1092
; %bb.1091:                             ;   in Loop: Header=BB1422_1032 Depth=2
	s_wait_dscnt 0x0
	v_bcnt_u32_b32 v65, v65, v184
	ds_store_b32 v186, v65 offset:544
.LBB1422_1092:                          ;   in Loop: Header=BB1422_1032 Depth=2
	s_or_b32 exec_lo, exec_lo, s17
	v_cmp_lt_i32_e32 vcc_lo, -1, v161
	; wave barrier
	v_cndmask_b32_e64 v65, -1, 0x80000000, vcc_lo
	s_delay_alu instid0(VALU_DEP_1) | instskip(NEXT) | instid1(VALU_DEP_1)
	v_xor_b32_e32 v183, v65, v161
	v_cmp_ne_u32_e32 vcc_lo, 0x7fffffff, v183
	v_cndmask_b32_e32 v65, 0x80000000, v183, vcc_lo
	s_delay_alu instid0(VALU_DEP_1) | instskip(NEXT) | instid1(VALU_DEP_1)
	v_lshrrev_b32_e32 v65, s49, v65
	v_and_b32_e32 v187, s58, v65
	s_delay_alu instid0(VALU_DEP_1) | instskip(NEXT) | instid1(VALU_DEP_1)
	v_lshlrev_b32_e32 v190, 27, v187
	v_cmp_gt_i32_e64 s19, 0, v190
	v_not_b32_e32 v190, v190
	s_delay_alu instid0(VALU_DEP_1) | instskip(SKIP_3) | instid1(VALU_DEP_3)
	v_dual_ashrrev_i32 v190, 31, v190 :: v_dual_lshlrev_b32 v188, 29, v187
	v_bitop3_b32 v161, v65, 1, s58 bitop3:0x80
	v_dual_lshlrev_b32 v189, 28, v187 :: v_dual_lshlrev_b32 v191, 26, v187
	v_lshlrev_b32_e32 v192, 25, v187
	v_add_co_u32 v65, s17, v161, -1
	v_lshlrev_b32_e32 v161, 30, v187
	v_cndmask_b32_e64 v193, 0, 1, s17
	v_cmp_gt_i32_e64 s17, 0, v188
	v_not_b32_e32 v188, v188
	v_cmp_gt_i32_e64 s18, 0, v189
	v_cmp_gt_i32_e32 vcc_lo, 0, v161
	v_not_b32_e32 v161, v161
	v_cmp_ne_u32_e64 s22, 0, v193
	v_ashrrev_i32_e32 v188, 31, v188
	v_not_b32_e32 v189, v189
	v_cmp_gt_i32_e64 s21, 0, v192
	v_ashrrev_i32_e32 v161, 31, v161
	v_not_b32_e32 v192, v192
	v_bitop3_b32 v65, s22, exec_lo, v65 bitop3:0x48
	v_xor_b32_e32 v188, s17, v188
	v_cmp_gt_i32_e64 s20, 0, v191
	s_delay_alu instid0(VALU_DEP_4) | instskip(SKIP_2) | instid1(VALU_DEP_3)
	v_dual_ashrrev_i32 v192, 31, v192 :: v_dual_bitop2_b32 v161, vcc_lo, v161 bitop3:0x14
	v_not_b32_e32 v191, v191
	v_ashrrev_i32_e32 v189, 31, v189
	v_bitop3_b32 v65, v65, v188, v161 bitop3:0x80
	v_mad_u32_u24 v161, v187, 36, v25
	s_delay_alu instid0(VALU_DEP_3)
	v_dual_ashrrev_i32 v191, 31, v191 :: v_dual_bitop2_b32 v189, s18, v189 bitop3:0x14
	v_xor_b32_e32 v192, s21, v192
	ds_load_b32 v188, v161 offset:544
	v_mul_u32_u24_e32 v161, 36, v187
	v_xor_b32_e32 v190, s19, v190
	v_xor_b32_e32 v191, s20, v191
	; wave barrier
	s_delay_alu instid0(VALU_DEP_3) | instskip(NEXT) | instid1(VALU_DEP_3)
	v_add_nc_u32_e32 v161, v25, v161
	v_bitop3_b32 v65, v65, v190, v189 bitop3:0x80
	s_delay_alu instid0(VALU_DEP_1) | instskip(NEXT) | instid1(VALU_DEP_1)
	v_bitop3_b32 v65, v65, v192, v191 bitop3:0x80
	v_mbcnt_lo_u32_b32 v189, v65, 0
	v_cmp_ne_u32_e64 s17, 0, v65
	s_delay_alu instid0(VALU_DEP_2) | instskip(SKIP_1) | instid1(SALU_CYCLE_1)
	v_cmp_eq_u32_e32 vcc_lo, 0, v189
	s_and_b32 s18, s17, vcc_lo
	s_and_saveexec_b32 s17, s18
	s_cbranch_execz .LBB1422_1094
; %bb.1093:                             ;   in Loop: Header=BB1422_1032 Depth=2
	s_wait_dscnt 0x0
	v_bcnt_u32_b32 v65, v65, v188
	ds_store_b32 v161, v65 offset:544
.LBB1422_1094:                          ;   in Loop: Header=BB1422_1032 Depth=2
	s_or_b32 exec_lo, exec_lo, s17
	v_cmp_lt_i32_e32 vcc_lo, -1, v157
	; wave barrier
	v_cndmask_b32_e64 v65, -1, 0x80000000, vcc_lo
	s_delay_alu instid0(VALU_DEP_1) | instskip(NEXT) | instid1(VALU_DEP_1)
	v_xor_b32_e32 v187, v65, v157
	v_cmp_ne_u32_e32 vcc_lo, 0x7fffffff, v187
	v_cndmask_b32_e32 v65, 0x80000000, v187, vcc_lo
	s_delay_alu instid0(VALU_DEP_1) | instskip(NEXT) | instid1(VALU_DEP_1)
	v_lshrrev_b32_e32 v65, s49, v65
	v_and_b32_e32 v190, s58, v65
	s_delay_alu instid0(VALU_DEP_1) | instskip(SKIP_2) | instid1(VALU_DEP_3)
	v_lshlrev_b32_e32 v193, 28, v190
	v_bitop3_b32 v157, v65, 1, s58 bitop3:0x80
	v_dual_lshlrev_b32 v191, 30, v190 :: v_dual_lshlrev_b32 v192, 29, v190
	v_cmp_gt_i32_e64 s19, 0, v193
	s_delay_alu instid0(VALU_DEP_3) | instskip(NEXT) | instid1(VALU_DEP_1)
	v_add_co_u32 v65, s17, v157, -1
	v_cndmask_b32_e64 v157, 0, 1, s17
	s_delay_alu instid0(VALU_DEP_4) | instskip(SKIP_1) | instid1(VALU_DEP_3)
	v_cmp_gt_i32_e64 s17, 0, v191
	v_cmp_gt_i32_e64 s18, 0, v192
	v_cmp_ne_u32_e32 vcc_lo, 0, v157
	v_not_b32_e32 v157, v191
	v_not_b32_e32 v191, v192
	v_not_b32_e32 v192, v193
	v_bitop3_b32 v65, vcc_lo, exec_lo, v65 bitop3:0x48
	s_delay_alu instid0(VALU_DEP_3) | instskip(SKIP_1) | instid1(VALU_DEP_2)
	v_dual_ashrrev_i32 v157, 31, v157 :: v_dual_ashrrev_i32 v191, 31, v191
	v_dual_lshlrev_b32 v194, 27, v190 :: v_dual_lshlrev_b32 v195, 26, v190
	v_dual_lshlrev_b32 v196, 25, v190 :: v_dual_bitop2_b32 v191, s18, v191 bitop3:0x14
	s_delay_alu instid0(VALU_DEP_2) | instskip(SKIP_1) | instid1(VALU_DEP_4)
	v_not_b32_e32 v193, v194
	v_cmp_gt_i32_e64 s20, 0, v194
	v_cmp_gt_i32_e64 s21, 0, v195
	v_not_b32_e32 v194, v195
	v_not_b32_e32 v195, v196
	v_dual_ashrrev_i32 v192, 31, v192 :: v_dual_ashrrev_i32 v193, 31, v193
	s_delay_alu instid0(VALU_DEP_3) | instskip(SKIP_1) | instid1(VALU_DEP_3)
	v_dual_ashrrev_i32 v194, 31, v194 :: v_dual_bitop2_b32 v157, s17, v157 bitop3:0x14
	v_cmp_gt_i32_e64 s22, 0, v196
	v_dual_ashrrev_i32 v195, 31, v195 :: v_dual_bitop2_b32 v192, s19, v192 bitop3:0x14
	s_delay_alu instid0(VALU_DEP_4) | instskip(NEXT) | instid1(VALU_DEP_4)
	v_xor_b32_e32 v193, s20, v193
	v_bitop3_b32 v65, v65, v191, v157 bitop3:0x80
	v_mad_u32_u24 v157, v190, 36, v25
	v_xor_b32_e32 v194, s21, v194
	v_xor_b32_e32 v195, s22, v195
	s_delay_alu instid0(VALU_DEP_4) | instskip(SKIP_3) | instid1(VALU_DEP_2)
	v_bitop3_b32 v65, v65, v193, v192 bitop3:0x80
	ds_load_b32 v191, v157 offset:544
	v_mul_u32_u24_e32 v157, 36, v190
	; wave barrier
	v_bitop3_b32 v65, v65, v195, v194 bitop3:0x80
	v_add_nc_u32_e32 v157, v25, v157
	s_delay_alu instid0(VALU_DEP_2) | instskip(SKIP_1) | instid1(VALU_DEP_2)
	v_mbcnt_lo_u32_b32 v192, v65, 0
	v_cmp_ne_u32_e64 s17, 0, v65
	v_cmp_eq_u32_e32 vcc_lo, 0, v192
	s_and_b32 s18, s17, vcc_lo
	s_delay_alu instid0(SALU_CYCLE_1)
	s_and_saveexec_b32 s17, s18
	s_cbranch_execz .LBB1422_1096
; %bb.1095:                             ;   in Loop: Header=BB1422_1032 Depth=2
	s_wait_dscnt 0x0
	v_bcnt_u32_b32 v65, v65, v191
	ds_store_b32 v157, v65 offset:544
.LBB1422_1096:                          ;   in Loop: Header=BB1422_1032 Depth=2
	s_or_b32 exec_lo, exec_lo, s17
	v_cmp_lt_i32_e32 vcc_lo, -1, v152
	; wave barrier
	v_cndmask_b32_e64 v65, -1, 0x80000000, vcc_lo
	s_delay_alu instid0(VALU_DEP_1) | instskip(NEXT) | instid1(VALU_DEP_1)
	v_xor_b32_e32 v190, v65, v152
	v_cmp_ne_u32_e32 vcc_lo, 0x7fffffff, v190
	v_cndmask_b32_e32 v65, 0x80000000, v190, vcc_lo
	s_delay_alu instid0(VALU_DEP_1) | instskip(NEXT) | instid1(VALU_DEP_1)
	v_lshrrev_b32_e32 v65, s49, v65
	v_bitop3_b32 v152, v65, 1, s58 bitop3:0x80
	v_and_b32_e32 v193, s58, v65
	s_delay_alu instid0(VALU_DEP_2) | instskip(NEXT) | instid1(VALU_DEP_1)
	v_add_co_u32 v65, s17, v152, -1
	v_cndmask_b32_e64 v152, 0, 1, s17
	s_delay_alu instid0(VALU_DEP_3) | instskip(NEXT) | instid1(VALU_DEP_2)
	v_lshlrev_b32_e32 v194, 30, v193
	v_cmp_ne_u32_e32 vcc_lo, 0, v152
	s_delay_alu instid0(VALU_DEP_2) | instskip(SKIP_2) | instid1(VALU_DEP_3)
	v_not_b32_e32 v152, v194
	v_cmp_gt_i32_e64 s17, 0, v194
	v_bitop3_b32 v65, vcc_lo, exec_lo, v65 bitop3:0x48
	v_dual_ashrrev_i32 v152, 31, v152 :: v_dual_lshlrev_b32 v195, 29, v193
	v_dual_lshlrev_b32 v196, 28, v193 :: v_dual_lshlrev_b32 v197, 27, v193
	v_lshlrev_b32_e32 v198, 26, v193
	s_delay_alu instid0(VALU_DEP_3)
	v_not_b32_e32 v194, v195
	v_lshlrev_b32_e32 v199, 25, v193
	v_cmp_gt_i32_e64 s18, 0, v195
	v_cmp_gt_i32_e64 s19, 0, v196
	v_not_b32_e32 v195, v196
	v_not_b32_e32 v196, v197
	v_ashrrev_i32_e32 v194, 31, v194
	v_cmp_gt_i32_e64 s20, 0, v197
	v_cmp_gt_i32_e64 s21, 0, v198
	v_not_b32_e32 v197, v198
	v_not_b32_e32 v198, v199
	v_dual_ashrrev_i32 v195, 31, v195 :: v_dual_ashrrev_i32 v196, 31, v196
	s_delay_alu instid0(VALU_DEP_3) | instskip(SKIP_2) | instid1(VALU_DEP_4)
	v_dual_ashrrev_i32 v197, 31, v197 :: v_dual_bitop2_b32 v152, s17, v152 bitop3:0x14
	v_xor_b32_e32 v194, s18, v194
	v_cmp_gt_i32_e64 s22, 0, v199
	v_dual_ashrrev_i32 v198, 31, v198 :: v_dual_bitop2_b32 v195, s19, v195 bitop3:0x14
	v_xor_b32_e32 v196, s20, v196
	s_delay_alu instid0(VALU_DEP_4) | instskip(SKIP_3) | instid1(VALU_DEP_4)
	v_bitop3_b32 v65, v65, v194, v152 bitop3:0x80
	v_mad_u32_u24 v152, v193, 36, v25
	v_xor_b32_e32 v197, s21, v197
	v_xor_b32_e32 v198, s22, v198
	v_bitop3_b32 v65, v65, v196, v195 bitop3:0x80
	ds_load_b32 v194, v152 offset:544
	v_mul_u32_u24_e32 v152, 36, v193
	; wave barrier
	v_bitop3_b32 v65, v65, v198, v197 bitop3:0x80
	s_delay_alu instid0(VALU_DEP_2) | instskip(NEXT) | instid1(VALU_DEP_2)
	v_add_nc_u32_e32 v152, v25, v152
	v_mbcnt_lo_u32_b32 v195, v65, 0
	v_cmp_ne_u32_e64 s17, 0, v65
	s_delay_alu instid0(VALU_DEP_2) | instskip(SKIP_1) | instid1(SALU_CYCLE_1)
	v_cmp_eq_u32_e32 vcc_lo, 0, v195
	s_and_b32 s18, s17, vcc_lo
	s_and_saveexec_b32 s17, s18
	s_cbranch_execz .LBB1422_1098
; %bb.1097:                             ;   in Loop: Header=BB1422_1032 Depth=2
	s_wait_dscnt 0x0
	v_bcnt_u32_b32 v65, v65, v194
	ds_store_b32 v152, v65 offset:544
.LBB1422_1098:                          ;   in Loop: Header=BB1422_1032 Depth=2
	s_or_b32 exec_lo, exec_lo, s17
	v_cmp_lt_i32_e32 vcc_lo, -1, v67
	; wave barrier
	v_cndmask_b32_e64 v65, -1, 0x80000000, vcc_lo
	s_delay_alu instid0(VALU_DEP_1) | instskip(NEXT) | instid1(VALU_DEP_1)
	v_xor_b32_e32 v193, v65, v67
	v_cmp_ne_u32_e32 vcc_lo, 0x7fffffff, v193
	v_cndmask_b32_e32 v65, 0x80000000, v193, vcc_lo
	s_delay_alu instid0(VALU_DEP_1) | instskip(NEXT) | instid1(VALU_DEP_1)
	v_lshrrev_b32_e32 v65, s49, v65
	v_bitop3_b32 v67, v65, 1, s58 bitop3:0x80
	v_and_b32_e32 v196, s58, v65
	s_delay_alu instid0(VALU_DEP_2) | instskip(NEXT) | instid1(VALU_DEP_1)
	v_add_co_u32 v65, s17, v67, -1
	v_cndmask_b32_e64 v67, 0, 1, s17
	s_delay_alu instid0(VALU_DEP_3) | instskip(NEXT) | instid1(VALU_DEP_2)
	v_lshlrev_b32_e32 v197, 30, v196
	v_cmp_ne_u32_e32 vcc_lo, 0, v67
	s_delay_alu instid0(VALU_DEP_2) | instskip(SKIP_1) | instid1(VALU_DEP_2)
	v_not_b32_e32 v67, v197
	v_bitop3_b32 v65, vcc_lo, exec_lo, v65 bitop3:0x48
	v_dual_ashrrev_i32 v67, 31, v67 :: v_dual_lshlrev_b32 v198, 29, v196
	v_dual_lshlrev_b32 v199, 28, v196 :: v_dual_lshlrev_b32 v200, 27, v196
	v_lshlrev_b32_e32 v201, 26, v196
	v_cmp_gt_i32_e64 s17, 0, v197
	s_delay_alu instid0(VALU_DEP_4)
	v_not_b32_e32 v197, v198
	v_lshlrev_b32_e32 v202, 25, v196
	v_cmp_gt_i32_e64 s18, 0, v198
	v_cmp_gt_i32_e64 s19, 0, v199
	v_not_b32_e32 v198, v199
	v_not_b32_e32 v199, v200
	v_ashrrev_i32_e32 v197, 31, v197
	v_cmp_gt_i32_e64 s20, 0, v200
	v_cmp_gt_i32_e64 s21, 0, v201
	v_not_b32_e32 v200, v201
	v_not_b32_e32 v201, v202
	v_dual_ashrrev_i32 v198, 31, v198 :: v_dual_ashrrev_i32 v199, 31, v199
	s_delay_alu instid0(VALU_DEP_3) | instskip(SKIP_2) | instid1(VALU_DEP_4)
	v_dual_ashrrev_i32 v200, 31, v200 :: v_dual_bitop2_b32 v67, s17, v67 bitop3:0x14
	v_xor_b32_e32 v197, s18, v197
	v_cmp_gt_i32_e64 s22, 0, v202
	v_dual_ashrrev_i32 v201, 31, v201 :: v_dual_bitop2_b32 v198, s19, v198 bitop3:0x14
	v_xor_b32_e32 v199, s20, v199
	s_delay_alu instid0(VALU_DEP_4) | instskip(SKIP_3) | instid1(VALU_DEP_4)
	v_bitop3_b32 v65, v65, v197, v67 bitop3:0x80
	v_mad_u32_u24 v67, v196, 36, v25
	v_xor_b32_e32 v200, s21, v200
	v_xor_b32_e32 v201, s22, v201
	v_bitop3_b32 v65, v65, v199, v198 bitop3:0x80
	ds_load_b32 v197, v67 offset:544
	v_mul_u32_u24_e32 v67, 36, v196
	; wave barrier
	v_bitop3_b32 v65, v65, v201, v200 bitop3:0x80
	s_delay_alu instid0(VALU_DEP_2) | instskip(NEXT) | instid1(VALU_DEP_2)
	v_add_nc_u32_e32 v199, v25, v67
	v_mbcnt_lo_u32_b32 v198, v65, 0
	v_cmp_ne_u32_e64 s17, 0, v65
	s_delay_alu instid0(VALU_DEP_2) | instskip(SKIP_1) | instid1(SALU_CYCLE_1)
	v_cmp_eq_u32_e32 vcc_lo, 0, v198
	s_and_b32 s18, s17, vcc_lo
	s_and_saveexec_b32 s17, s18
	s_cbranch_execz .LBB1422_1100
; %bb.1099:                             ;   in Loop: Header=BB1422_1032 Depth=2
	s_wait_dscnt 0x0
	v_bcnt_u32_b32 v65, v65, v197
	ds_store_b32 v199, v65 offset:544
.LBB1422_1100:                          ;   in Loop: Header=BB1422_1032 Depth=2
	s_or_b32 exec_lo, exec_lo, s17
	v_cmp_lt_i32_e32 vcc_lo, -1, v66
	; wave barrier
	v_cndmask_b32_e64 v65, -1, 0x80000000, vcc_lo
	s_delay_alu instid0(VALU_DEP_1) | instskip(NEXT) | instid1(VALU_DEP_1)
	v_xor_b32_e32 v196, v65, v66
	v_cmp_ne_u32_e32 vcc_lo, 0x7fffffff, v196
	v_cndmask_b32_e32 v65, 0x80000000, v196, vcc_lo
	s_delay_alu instid0(VALU_DEP_1) | instskip(NEXT) | instid1(VALU_DEP_1)
	v_lshrrev_b32_e32 v65, s49, v65
	v_bitop3_b32 v66, v65, 1, s58 bitop3:0x80
	v_and_b32_e32 v67, s58, v65
	s_delay_alu instid0(VALU_DEP_2) | instskip(NEXT) | instid1(VALU_DEP_1)
	v_add_co_u32 v65, s17, v66, -1
	v_cndmask_b32_e64 v66, 0, 1, s17
	s_delay_alu instid0(VALU_DEP_3) | instskip(NEXT) | instid1(VALU_DEP_2)
	v_lshlrev_b32_e32 v200, 30, v67
	v_cmp_ne_u32_e32 vcc_lo, 0, v66
	s_delay_alu instid0(VALU_DEP_2) | instskip(SKIP_2) | instid1(VALU_DEP_3)
	v_not_b32_e32 v66, v200
	v_cmp_gt_i32_e64 s17, 0, v200
	v_bitop3_b32 v65, vcc_lo, exec_lo, v65 bitop3:0x48
	v_dual_ashrrev_i32 v66, 31, v66 :: v_dual_lshlrev_b32 v201, 29, v67
	v_dual_lshlrev_b32 v202, 28, v67 :: v_dual_lshlrev_b32 v203, 27, v67
	v_lshlrev_b32_e32 v204, 26, v67
	s_delay_alu instid0(VALU_DEP_3)
	v_not_b32_e32 v200, v201
	v_lshlrev_b32_e32 v205, 25, v67
	v_cmp_gt_i32_e64 s18, 0, v201
	v_cmp_gt_i32_e64 s19, 0, v202
	v_not_b32_e32 v201, v202
	v_not_b32_e32 v202, v203
	v_ashrrev_i32_e32 v200, 31, v200
	v_cmp_gt_i32_e64 s20, 0, v203
	v_cmp_gt_i32_e64 s21, 0, v204
	v_not_b32_e32 v203, v204
	v_not_b32_e32 v204, v205
	v_dual_ashrrev_i32 v201, 31, v201 :: v_dual_ashrrev_i32 v202, 31, v202
	s_delay_alu instid0(VALU_DEP_3) | instskip(SKIP_2) | instid1(VALU_DEP_4)
	v_dual_ashrrev_i32 v203, 31, v203 :: v_dual_bitop2_b32 v66, s17, v66 bitop3:0x14
	v_xor_b32_e32 v200, s18, v200
	v_cmp_gt_i32_e64 s22, 0, v205
	v_dual_ashrrev_i32 v204, 31, v204 :: v_dual_bitop2_b32 v201, s19, v201 bitop3:0x14
	v_xor_b32_e32 v202, s20, v202
	s_delay_alu instid0(VALU_DEP_4) | instskip(SKIP_3) | instid1(VALU_DEP_4)
	v_bitop3_b32 v65, v65, v200, v66 bitop3:0x80
	v_mad_u32_u24 v66, v67, 36, v25
	v_xor_b32_e32 v200, s21, v203
	v_xor_b32_e32 v203, s22, v204
	v_bitop3_b32 v65, v65, v202, v201 bitop3:0x80
	ds_load_b32 v201, v66 offset:544
	v_mul_u32_u24_e32 v66, 36, v67
	; wave barrier
	v_bitop3_b32 v65, v65, v203, v200 bitop3:0x80
	s_delay_alu instid0(VALU_DEP_2) | instskip(NEXT) | instid1(VALU_DEP_2)
	v_add_nc_u32_e32 v203, v25, v66
	v_mbcnt_lo_u32_b32 v202, v65, 0
	v_cmp_ne_u32_e64 s17, 0, v65
	s_delay_alu instid0(VALU_DEP_2) | instskip(SKIP_1) | instid1(SALU_CYCLE_1)
	v_cmp_eq_u32_e32 vcc_lo, 0, v202
	s_and_b32 s18, s17, vcc_lo
	s_and_saveexec_b32 s17, s18
	s_cbranch_execz .LBB1422_1102
; %bb.1101:                             ;   in Loop: Header=BB1422_1032 Depth=2
	s_wait_dscnt 0x0
	v_bcnt_u32_b32 v65, v65, v201
	ds_store_b32 v203, v65 offset:544
.LBB1422_1102:                          ;   in Loop: Header=BB1422_1032 Depth=2
	s_or_b32 exec_lo, exec_lo, s17
	v_cmp_lt_i32_e32 vcc_lo, -1, v64
	; wave barrier
	v_cndmask_b32_e64 v65, -1, 0x80000000, vcc_lo
	s_delay_alu instid0(VALU_DEP_1) | instskip(NEXT) | instid1(VALU_DEP_1)
	v_xor_b32_e32 v200, v65, v64
	v_cmp_ne_u32_e32 vcc_lo, 0x7fffffff, v200
	v_cndmask_b32_e32 v64, 0x80000000, v200, vcc_lo
	s_delay_alu instid0(VALU_DEP_1) | instskip(NEXT) | instid1(VALU_DEP_1)
	v_lshrrev_b32_e32 v64, s49, v64
	v_bitop3_b32 v65, v64, 1, s58 bitop3:0x80
	v_and_b32_e32 v66, s58, v64
	s_delay_alu instid0(VALU_DEP_2) | instskip(NEXT) | instid1(VALU_DEP_1)
	v_add_co_u32 v64, s17, v65, -1
	v_cndmask_b32_e64 v65, 0, 1, s17
	s_delay_alu instid0(VALU_DEP_3) | instskip(NEXT) | instid1(VALU_DEP_2)
	v_lshlrev_b32_e32 v67, 30, v66
	v_cmp_ne_u32_e32 vcc_lo, 0, v65
	s_delay_alu instid0(VALU_DEP_2) | instskip(SKIP_2) | instid1(VALU_DEP_3)
	v_not_b32_e32 v65, v67
	v_cmp_gt_i32_e64 s17, 0, v67
	v_bitop3_b32 v64, vcc_lo, exec_lo, v64 bitop3:0x48
	v_dual_ashrrev_i32 v65, 31, v65 :: v_dual_lshlrev_b32 v204, 29, v66
	v_dual_lshlrev_b32 v205, 28, v66 :: v_dual_lshlrev_b32 v206, 27, v66
	v_lshlrev_b32_e32 v207, 26, v66
	s_delay_alu instid0(VALU_DEP_3)
	v_not_b32_e32 v67, v204
	v_lshlrev_b32_e32 v208, 25, v66
	v_cmp_gt_i32_e64 s18, 0, v204
	v_cmp_gt_i32_e64 s19, 0, v205
	v_not_b32_e32 v204, v205
	v_not_b32_e32 v205, v206
	v_ashrrev_i32_e32 v67, 31, v67
	v_cmp_gt_i32_e64 s20, 0, v206
	v_cmp_gt_i32_e64 s21, 0, v207
	v_not_b32_e32 v206, v207
	v_not_b32_e32 v207, v208
	v_dual_ashrrev_i32 v204, 31, v204 :: v_dual_ashrrev_i32 v205, 31, v205
	s_delay_alu instid0(VALU_DEP_3) | instskip(SKIP_2) | instid1(VALU_DEP_4)
	v_dual_ashrrev_i32 v206, 31, v206 :: v_dual_bitop2_b32 v65, s17, v65 bitop3:0x14
	v_xor_b32_e32 v67, s18, v67
	v_cmp_gt_i32_e64 s22, 0, v208
	v_dual_ashrrev_i32 v207, 31, v207 :: v_dual_bitop2_b32 v204, s19, v204 bitop3:0x14
	v_xor_b32_e32 v205, s20, v205
	s_delay_alu instid0(VALU_DEP_4) | instskip(SKIP_3) | instid1(VALU_DEP_4)
	v_bitop3_b32 v64, v64, v67, v65 bitop3:0x80
	v_mad_u32_u24 v65, v66, 36, v25
	v_xor_b32_e32 v67, s21, v206
	v_xor_b32_e32 v206, s22, v207
	v_bitop3_b32 v64, v64, v205, v204 bitop3:0x80
	ds_load_b32 v204, v65 offset:544
	v_mul_u32_u24_e32 v65, 36, v66
	; wave barrier
	v_bitop3_b32 v64, v64, v206, v67 bitop3:0x80
	s_delay_alu instid0(VALU_DEP_2) | instskip(NEXT) | instid1(VALU_DEP_2)
	v_add_nc_u32_e32 v206, v25, v65
	v_mbcnt_lo_u32_b32 v205, v64, 0
	v_cmp_ne_u32_e64 s17, 0, v64
	s_delay_alu instid0(VALU_DEP_2) | instskip(SKIP_1) | instid1(SALU_CYCLE_1)
	v_cmp_eq_u32_e32 vcc_lo, 0, v205
	s_and_b32 s18, s17, vcc_lo
	s_and_saveexec_b32 s17, s18
	s_cbranch_execz .LBB1422_1104
; %bb.1103:                             ;   in Loop: Header=BB1422_1032 Depth=2
	s_wait_dscnt 0x0
	v_bcnt_u32_b32 v64, v64, v204
	ds_store_b32 v206, v64 offset:544
.LBB1422_1104:                          ;   in Loop: Header=BB1422_1032 Depth=2
	s_or_b32 exec_lo, exec_lo, s17
	; wave barrier
	s_wait_dscnt 0x0
	s_barrier_signal -1
	s_barrier_wait -1
	ds_load_2addr_b32 v[66:67], v90 offset0:136 offset1:137
	ds_load_2addr_b32 v[64:65], v90 offset0:138 offset1:139
	ds_load_b32 v207, v90 offset:560
	s_wait_dscnt 0x1
	v_add3_u32 v208, v67, v66, v64
	s_wait_dscnt 0x0
	s_delay_alu instid0(VALU_DEP_1) | instskip(NEXT) | instid1(VALU_DEP_1)
	v_add3_u32 v207, v208, v65, v207
	v_mov_b32_dpp v208, v207 row_shr:1 row_mask:0xf bank_mask:0xf
	s_delay_alu instid0(VALU_DEP_1) | instskip(NEXT) | instid1(VALU_DEP_1)
	v_cndmask_b32_e64 v208, v208, 0, s9
	v_add_nc_u32_e32 v207, v208, v207
	s_delay_alu instid0(VALU_DEP_1) | instskip(NEXT) | instid1(VALU_DEP_1)
	v_mov_b32_dpp v208, v207 row_shr:2 row_mask:0xf bank_mask:0xf
	v_cndmask_b32_e64 v208, 0, v208, s10
	s_delay_alu instid0(VALU_DEP_1) | instskip(NEXT) | instid1(VALU_DEP_1)
	v_add_nc_u32_e32 v207, v207, v208
	v_mov_b32_dpp v208, v207 row_shr:4 row_mask:0xf bank_mask:0xf
	s_delay_alu instid0(VALU_DEP_1) | instskip(NEXT) | instid1(VALU_DEP_1)
	v_cndmask_b32_e64 v208, 0, v208, s11
	v_add_nc_u32_e32 v207, v207, v208
	s_delay_alu instid0(VALU_DEP_1) | instskip(NEXT) | instid1(VALU_DEP_1)
	v_mov_b32_dpp v208, v207 row_shr:8 row_mask:0xf bank_mask:0xf
	v_cndmask_b32_e64 v208, 0, v208, s12
	s_delay_alu instid0(VALU_DEP_1) | instskip(SKIP_3) | instid1(VALU_DEP_1)
	v_add_nc_u32_e32 v207, v207, v208
	ds_swizzle_b32 v208, v207 offset:swizzle(BROADCAST,32,15)
	s_wait_dscnt 0x0
	v_cndmask_b32_e64 v208, v208, 0, s13
	v_add_nc_u32_e32 v207, v207, v208
	s_and_saveexec_b32 s17, s2
; %bb.1105:                             ;   in Loop: Header=BB1422_1032 Depth=2
	ds_store_b32 v83, v207 offset:512
; %bb.1106:                             ;   in Loop: Header=BB1422_1032 Depth=2
	s_or_b32 exec_lo, exec_lo, s17
	s_wait_dscnt 0x0
	s_barrier_signal -1
	s_barrier_wait -1
	s_and_saveexec_b32 s17, s3
	s_cbranch_execz .LBB1422_1108
; %bb.1107:                             ;   in Loop: Header=BB1422_1032 Depth=2
	ds_load_b32 v208, v92 offset:512
	s_wait_dscnt 0x0
	v_mov_b32_dpp v209, v208 row_shr:1 row_mask:0xf bank_mask:0xf
	s_delay_alu instid0(VALU_DEP_1) | instskip(NEXT) | instid1(VALU_DEP_1)
	v_cndmask_b32_e64 v209, v209, 0, s14
	v_add_nc_u32_e32 v208, v209, v208
	s_delay_alu instid0(VALU_DEP_1) | instskip(NEXT) | instid1(VALU_DEP_1)
	v_mov_b32_dpp v209, v208 row_shr:2 row_mask:0xf bank_mask:0xf
	v_cndmask_b32_e64 v209, 0, v209, s15
	s_delay_alu instid0(VALU_DEP_1) | instskip(NEXT) | instid1(VALU_DEP_1)
	v_add_nc_u32_e32 v208, v208, v209
	v_mov_b32_dpp v209, v208 row_shr:4 row_mask:0xf bank_mask:0xf
	s_delay_alu instid0(VALU_DEP_1) | instskip(NEXT) | instid1(VALU_DEP_1)
	v_cndmask_b32_e64 v209, 0, v209, s16
	v_add_nc_u32_e32 v208, v208, v209
	ds_store_b32 v92, v208 offset:512
.LBB1422_1108:                          ;   in Loop: Header=BB1422_1032 Depth=2
	s_or_b32 exec_lo, exec_lo, s17
	v_mov_b32_e32 v208, 0
	s_wait_dscnt 0x0
	s_barrier_signal -1
	s_barrier_wait -1
	s_and_saveexec_b32 s17, s5
; %bb.1109:                             ;   in Loop: Header=BB1422_1032 Depth=2
	ds_load_b32 v208, v83 offset:508
; %bb.1110:                             ;   in Loop: Header=BB1422_1032 Depth=2
	s_or_b32 exec_lo, exec_lo, s17
	s_wait_dscnt 0x0
	v_add_nc_u32_e32 v207, v208, v207
	ds_bpermute_b32 v207, v119, v207
	s_wait_dscnt 0x0
	v_cndmask_b32_e64 v207, v207, v208, s8
	s_delay_alu instid0(VALU_DEP_1) | instskip(NEXT) | instid1(VALU_DEP_1)
	v_cndmask_b32_e64 v207, v207, 0, s6
	v_add_nc_u32_e32 v66, v207, v66
	s_delay_alu instid0(VALU_DEP_1) | instskip(NEXT) | instid1(VALU_DEP_1)
	v_add_nc_u32_e32 v67, v66, v67
	v_add_nc_u32_e32 v64, v67, v64
	s_delay_alu instid0(VALU_DEP_1)
	v_add_nc_u32_e32 v65, v64, v65
	ds_store_2addr_b32 v90, v207, v66 offset0:136 offset1:137
	ds_store_2addr_b32 v90, v67, v64 offset0:138 offset1:139
	ds_store_b32 v90, v65 offset:560
	s_wait_dscnt 0x0
	s_barrier_signal -1
	s_barrier_wait -1
	ds_load_b32 v66, v143 offset:544
	ds_load_b32 v67, v147 offset:544
	;; [unrolled: 1-line block ×17, first 2 shown]
	s_and_saveexec_b32 s17, s0
	s_cbranch_execz .LBB1422_1114
; %bb.1111:                             ;   in Loop: Header=BB1422_1032 Depth=2
	ds_load_b32 v133, v94 offset:544
	v_mov_b32_e32 v138, 0x1100
	s_and_saveexec_b32 s18, s7
; %bb.1112:                             ;   in Loop: Header=BB1422_1032 Depth=2
	ds_load_b32 v138, v93 offset:544
; %bb.1113:                             ;   in Loop: Header=BB1422_1032 Depth=2
	s_or_b32 exec_lo, exec_lo, s18
	s_wait_dscnt 0x0
	v_sub_nc_u32_e32 v138, v138, v133
.LBB1422_1114:                          ;   in Loop: Header=BB1422_1032 Depth=2
	s_or_b32 exec_lo, exec_lo, s17
	s_wait_dscnt 0x0
	s_barrier_signal -1
	s_barrier_wait -1
	s_and_saveexec_b32 s17, s0
	s_cbranch_execz .LBB1422_1116
; %bb.1115:                             ;   in Loop: Header=BB1422_1032 Depth=2
	ds_load_b32 v152, v4
	s_wait_dscnt 0x0
	v_sub_nc_u32_e32 v152, v152, v133
	ds_store_b32 v4, v152
.LBB1422_1116:                          ;   in Loop: Header=BB1422_1032 Depth=2
	s_or_b32 exec_lo, exec_lo, s17
	v_add3_u32 v156, v155, v154, v147
	v_add_nc_u32_e32 v162, v66, v141
	v_add3_u32 v161, v146, v145, v67
	v_add3_u32 v157, v150, v149, v143
	;; [unrolled: 1-line block ×4, first 2 shown]
	v_dual_lshlrev_b32 v65, 2, v156 :: v_dual_lshlrev_b32 v159, 2, v162
	v_lshlrev_b32_e32 v160, 2, v161
	v_add3_u32 v154, v165, v164, v207
	v_add3_u32 v152, v170, v169, v172
	;; [unrolled: 1-line block ×4, first 2 shown]
	v_lshlrev_b32_e32 v64, 2, v157
	v_add3_u32 v150, v178, v177, v179
	v_add3_u32 v149, v181, v180, v182
	ds_store_b32 v159, v140 offset:512
	ds_store_b32 v160, v142 offset:512
	v_lshlrev_b32_e32 v140, 2, v155
	v_add3_u32 v147, v185, v184, v186
	v_dual_lshlrev_b32 v142, 2, v154 :: v_dual_lshlrev_b32 v159, 2, v152
	v_add3_u32 v146, v189, v188, v208
	v_add3_u32 v67, v192, v191, v209
	ds_store_b32 v64, v144 offset:512
	ds_store_b32 v65, v148 offset:512
	;; [unrolled: 1-line block ×5, first 2 shown]
	v_dual_lshlrev_b32 v64, 2, v151 :: v_dual_lshlrev_b32 v65, 2, v150
	v_add3_u32 v66, v195, v194, v210
	v_dual_lshlrev_b32 v140, 2, v149 :: v_dual_lshlrev_b32 v142, 2, v147
	v_add3_u32 v141, v205, v204, v167
	v_lshlrev_b32_e32 v144, 2, v146
	ds_store_b32 v64, v168 offset:512
	ds_store_b32 v65, v173 offset:512
	;; [unrolled: 1-line block ×5, first 2 shown]
	v_lshlrev_b32_e32 v64, 2, v67
	v_cmp_lt_u32_e32 vcc_lo, v2, v139
	v_dual_lshlrev_b32 v65, 2, v66 :: v_dual_lshlrev_b32 v140, 2, v145
	v_dual_lshlrev_b32 v142, 2, v143 :: v_dual_lshlrev_b32 v144, 2, v141
	ds_store_b32 v64, v187 offset:512
	ds_store_b32 v65, v190 offset:512
	;; [unrolled: 1-line block ×5, first 2 shown]
	s_wait_dscnt 0x0
	s_barrier_signal -1
	s_barrier_wait -1
	s_and_saveexec_b32 s18, vcc_lo
	s_cbranch_execnz .LBB1422_1189
; %bb.1117:                             ;   in Loop: Header=BB1422_1032 Depth=2
	s_or_b32 exec_lo, exec_lo, s18
	v_cmp_lt_u32_e64 s17, v3, v139
	s_and_saveexec_b32 s19, s17
	s_cbranch_execnz .LBB1422_1190
.LBB1422_1118:                          ;   in Loop: Header=BB1422_1032 Depth=2
	s_or_b32 exec_lo, exec_lo, s19
	v_cmp_lt_u32_e64 s18, v68, v139
	s_and_saveexec_b32 s20, s18
	s_cbranch_execnz .LBB1422_1191
.LBB1422_1119:                          ;   in Loop: Header=BB1422_1032 Depth=2
	s_or_b32 exec_lo, exec_lo, s20
	v_cmp_lt_u32_e64 s19, v69, v139
	s_and_saveexec_b32 s21, s19
	s_cbranch_execnz .LBB1422_1192
.LBB1422_1120:                          ;   in Loop: Header=BB1422_1032 Depth=2
	s_or_b32 exec_lo, exec_lo, s21
	v_cmp_lt_u32_e64 s20, v70, v139
	s_and_saveexec_b32 s22, s20
	s_cbranch_execnz .LBB1422_1193
.LBB1422_1121:                          ;   in Loop: Header=BB1422_1032 Depth=2
	s_or_b32 exec_lo, exec_lo, s22
	v_cmp_lt_u32_e64 s21, v71, v139
	s_and_saveexec_b32 s23, s21
	s_cbranch_execnz .LBB1422_1194
.LBB1422_1122:                          ;   in Loop: Header=BB1422_1032 Depth=2
	s_or_b32 exec_lo, exec_lo, s23
	v_cmp_lt_u32_e64 s22, v72, v139
	s_and_saveexec_b32 s24, s22
	s_cbranch_execnz .LBB1422_1195
.LBB1422_1123:                          ;   in Loop: Header=BB1422_1032 Depth=2
	s_or_b32 exec_lo, exec_lo, s24
	v_cmp_lt_u32_e64 s23, v73, v139
	s_and_saveexec_b32 s25, s23
	s_cbranch_execnz .LBB1422_1196
.LBB1422_1124:                          ;   in Loop: Header=BB1422_1032 Depth=2
	s_or_b32 exec_lo, exec_lo, s25
	v_cmp_lt_u32_e64 s24, v74, v139
	s_and_saveexec_b32 s26, s24
	s_cbranch_execnz .LBB1422_1197
.LBB1422_1125:                          ;   in Loop: Header=BB1422_1032 Depth=2
	s_or_b32 exec_lo, exec_lo, s26
	v_cmp_lt_u32_e64 s25, v75, v139
	s_and_saveexec_b32 s27, s25
	s_cbranch_execnz .LBB1422_1198
.LBB1422_1126:                          ;   in Loop: Header=BB1422_1032 Depth=2
	s_or_b32 exec_lo, exec_lo, s27
	v_cmp_lt_u32_e64 s26, v76, v139
	s_and_saveexec_b32 s28, s26
	s_cbranch_execnz .LBB1422_1199
.LBB1422_1127:                          ;   in Loop: Header=BB1422_1032 Depth=2
	s_or_b32 exec_lo, exec_lo, s28
	v_cmp_lt_u32_e64 s27, v77, v139
	s_and_saveexec_b32 s29, s27
	s_cbranch_execnz .LBB1422_1200
.LBB1422_1128:                          ;   in Loop: Header=BB1422_1032 Depth=2
	s_or_b32 exec_lo, exec_lo, s29
	v_cmp_lt_u32_e64 s28, v78, v139
	s_and_saveexec_b32 s30, s28
	s_cbranch_execnz .LBB1422_1201
.LBB1422_1129:                          ;   in Loop: Header=BB1422_1032 Depth=2
	s_or_b32 exec_lo, exec_lo, s30
	v_cmp_lt_u32_e64 s29, v79, v139
	s_and_saveexec_b32 s31, s29
	s_cbranch_execnz .LBB1422_1202
.LBB1422_1130:                          ;   in Loop: Header=BB1422_1032 Depth=2
	s_or_b32 exec_lo, exec_lo, s31
	v_cmp_lt_u32_e64 s30, v80, v139
	s_and_saveexec_b32 s33, s30
	s_cbranch_execnz .LBB1422_1203
.LBB1422_1131:                          ;   in Loop: Header=BB1422_1032 Depth=2
	s_or_b32 exec_lo, exec_lo, s33
	v_cmp_lt_u32_e64 s31, v81, v139
	s_and_saveexec_b32 s34, s31
	s_cbranch_execnz .LBB1422_1204
.LBB1422_1132:                          ;   in Loop: Header=BB1422_1032 Depth=2
	s_or_b32 exec_lo, exec_lo, s34
	v_cmp_lt_u32_e64 s33, v82, v139
	s_and_saveexec_b32 s61, s33
	s_cbranch_execz .LBB1422_1134
.LBB1422_1133:                          ;   in Loop: Header=BB1422_1032 Depth=2
	ds_load_b32 v64, v92 offset:16896
	s_wait_dscnt 0x0
	v_cmp_ne_u32_e64 s34, 0x7fffffff, v64
	s_delay_alu instid0(VALU_DEP_1) | instskip(SKIP_1) | instid1(VALU_DEP_1)
	v_cndmask_b32_e64 v65, 0x80000000, v64, s34
	v_cmp_lt_i32_e64 s34, -1, v64
	v_cndmask_b32_e64 v140, 0x80000000, -1, s34
	s_delay_alu instid0(VALU_DEP_1) | instskip(NEXT) | instid1(VALU_DEP_1)
	v_dual_lshrrev_b32 v65, s49, v65 :: v_dual_bitop2_b32 v64, v140, v64 bitop3:0x14
	v_and_b32_e32 v65, s58, v65
	s_delay_alu instid0(VALU_DEP_1)
	v_lshlrev_b32_e32 v65, 2, v65
	ds_load_b32 v65, v65
	s_wait_dscnt 0x0
	v_add_nc_u32_e32 v65, v65, v82
	global_store_b32 v65, v64, s[40:41] scale_offset
.LBB1422_1134:                          ;   in Loop: Header=BB1422_1032 Depth=2
	s_wait_xcnt 0x0
	s_or_b32 exec_lo, exec_lo, s61
	v_lshl_add_u64 v[64:65], s[42:43], 3, v[26:27]
	v_cmp_lt_u32_e64 s34, v101, v139
	s_and_saveexec_b32 s42, s34
	s_delay_alu instid0(SALU_CYCLE_1)
	s_xor_b32 s34, exec_lo, s42
	s_cbranch_execnz .LBB1422_1205
; %bb.1135:                             ;   in Loop: Header=BB1422_1032 Depth=2
	s_or_b32 exec_lo, exec_lo, s34
	s_delay_alu instid0(SALU_CYCLE_1)
	s_mov_b32 s42, exec_lo
	v_cmpx_lt_u32_e64 v104, v139
	s_cbranch_execnz .LBB1422_1206
.LBB1422_1136:                          ;   in Loop: Header=BB1422_1032 Depth=2
	s_or_b32 exec_lo, exec_lo, s42
	s_delay_alu instid0(SALU_CYCLE_1)
	s_mov_b32 s42, exec_lo
	v_cmpx_lt_u32_e64 v105, v139
	s_cbranch_execnz .LBB1422_1207
.LBB1422_1137:                          ;   in Loop: Header=BB1422_1032 Depth=2
	s_or_b32 exec_lo, exec_lo, s42
	s_delay_alu instid0(SALU_CYCLE_1)
	s_mov_b32 s42, exec_lo
	v_cmpx_lt_u32_e64 v106, v139
	s_cbranch_execnz .LBB1422_1208
.LBB1422_1138:                          ;   in Loop: Header=BB1422_1032 Depth=2
	s_or_b32 exec_lo, exec_lo, s42
	s_delay_alu instid0(SALU_CYCLE_1)
	s_mov_b32 s42, exec_lo
	v_cmpx_lt_u32_e64 v107, v139
	s_cbranch_execnz .LBB1422_1209
.LBB1422_1139:                          ;   in Loop: Header=BB1422_1032 Depth=2
	s_or_b32 exec_lo, exec_lo, s42
	s_delay_alu instid0(SALU_CYCLE_1)
	s_mov_b32 s42, exec_lo
	v_cmpx_lt_u32_e64 v108, v139
	s_cbranch_execnz .LBB1422_1210
.LBB1422_1140:                          ;   in Loop: Header=BB1422_1032 Depth=2
	s_or_b32 exec_lo, exec_lo, s42
	s_delay_alu instid0(SALU_CYCLE_1)
	s_mov_b32 s42, exec_lo
	v_cmpx_lt_u32_e64 v109, v139
	s_cbranch_execnz .LBB1422_1211
.LBB1422_1141:                          ;   in Loop: Header=BB1422_1032 Depth=2
	s_or_b32 exec_lo, exec_lo, s42
	s_delay_alu instid0(SALU_CYCLE_1)
	s_mov_b32 s42, exec_lo
	v_cmpx_lt_u32_e64 v110, v139
	s_cbranch_execnz .LBB1422_1212
.LBB1422_1142:                          ;   in Loop: Header=BB1422_1032 Depth=2
	s_or_b32 exec_lo, exec_lo, s42
	s_delay_alu instid0(SALU_CYCLE_1)
	s_mov_b32 s42, exec_lo
	v_cmpx_lt_u32_e64 v111, v139
	s_cbranch_execnz .LBB1422_1213
.LBB1422_1143:                          ;   in Loop: Header=BB1422_1032 Depth=2
	s_or_b32 exec_lo, exec_lo, s42
	s_delay_alu instid0(SALU_CYCLE_1)
	s_mov_b32 s42, exec_lo
	v_cmpx_lt_u32_e64 v112, v139
	s_cbranch_execnz .LBB1422_1214
.LBB1422_1144:                          ;   in Loop: Header=BB1422_1032 Depth=2
	s_or_b32 exec_lo, exec_lo, s42
	s_delay_alu instid0(SALU_CYCLE_1)
	s_mov_b32 s42, exec_lo
	v_cmpx_lt_u32_e64 v113, v139
	s_cbranch_execnz .LBB1422_1215
.LBB1422_1145:                          ;   in Loop: Header=BB1422_1032 Depth=2
	s_or_b32 exec_lo, exec_lo, s42
	s_delay_alu instid0(SALU_CYCLE_1)
	s_mov_b32 s42, exec_lo
	v_cmpx_lt_u32_e64 v114, v139
	s_cbranch_execnz .LBB1422_1216
.LBB1422_1146:                          ;   in Loop: Header=BB1422_1032 Depth=2
	s_or_b32 exec_lo, exec_lo, s42
	s_delay_alu instid0(SALU_CYCLE_1)
	s_mov_b32 s42, exec_lo
	v_cmpx_lt_u32_e64 v115, v139
	s_cbranch_execnz .LBB1422_1217
.LBB1422_1147:                          ;   in Loop: Header=BB1422_1032 Depth=2
	s_or_b32 exec_lo, exec_lo, s42
	s_delay_alu instid0(SALU_CYCLE_1)
	s_mov_b32 s42, exec_lo
	v_cmpx_lt_u32_e64 v116, v139
	s_cbranch_execnz .LBB1422_1218
.LBB1422_1148:                          ;   in Loop: Header=BB1422_1032 Depth=2
	s_or_b32 exec_lo, exec_lo, s42
	s_delay_alu instid0(SALU_CYCLE_1)
	s_mov_b32 s42, exec_lo
	v_cmpx_lt_u32_e64 v117, v139
	s_cbranch_execnz .LBB1422_1219
.LBB1422_1149:                          ;   in Loop: Header=BB1422_1032 Depth=2
	s_or_b32 exec_lo, exec_lo, s42
	s_delay_alu instid0(SALU_CYCLE_1)
	s_mov_b32 s42, exec_lo
	v_cmpx_lt_u32_e64 v118, v139
	s_cbranch_execnz .LBB1422_1220
.LBB1422_1150:                          ;   in Loop: Header=BB1422_1032 Depth=2
	s_or_b32 exec_lo, exec_lo, s42
	s_delay_alu instid0(SALU_CYCLE_1)
	s_mov_b32 s42, exec_lo
	v_cmpx_lt_u32_e64 v5, v139
	s_cbranch_execnz .LBB1422_1221
.LBB1422_1151:                          ;   in Loop: Header=BB1422_1032 Depth=2
	s_or_b32 exec_lo, exec_lo, s42
	s_and_saveexec_b32 s42, vcc_lo
	s_cbranch_execnz .LBB1422_1222
.LBB1422_1152:                          ;   in Loop: Header=BB1422_1032 Depth=2
	s_or_b32 exec_lo, exec_lo, s42
	s_and_saveexec_b32 s42, s17
	s_cbranch_execnz .LBB1422_1223
.LBB1422_1153:                          ;   in Loop: Header=BB1422_1032 Depth=2
	s_or_b32 exec_lo, exec_lo, s42
	s_and_saveexec_b32 s42, s18
	s_cbranch_execnz .LBB1422_1224
.LBB1422_1154:                          ;   in Loop: Header=BB1422_1032 Depth=2
	s_or_b32 exec_lo, exec_lo, s42
	s_and_saveexec_b32 s42, s19
	s_cbranch_execnz .LBB1422_1225
.LBB1422_1155:                          ;   in Loop: Header=BB1422_1032 Depth=2
	s_or_b32 exec_lo, exec_lo, s42
	s_and_saveexec_b32 s42, s20
	s_cbranch_execnz .LBB1422_1226
.LBB1422_1156:                          ;   in Loop: Header=BB1422_1032 Depth=2
	s_or_b32 exec_lo, exec_lo, s42
	s_and_saveexec_b32 s42, s21
	s_cbranch_execnz .LBB1422_1227
.LBB1422_1157:                          ;   in Loop: Header=BB1422_1032 Depth=2
	s_or_b32 exec_lo, exec_lo, s42
	s_and_saveexec_b32 s42, s22
	s_cbranch_execnz .LBB1422_1228
.LBB1422_1158:                          ;   in Loop: Header=BB1422_1032 Depth=2
	s_or_b32 exec_lo, exec_lo, s42
	s_and_saveexec_b32 s42, s23
	s_cbranch_execnz .LBB1422_1229
.LBB1422_1159:                          ;   in Loop: Header=BB1422_1032 Depth=2
	s_or_b32 exec_lo, exec_lo, s42
	s_and_saveexec_b32 s42, s24
	s_cbranch_execnz .LBB1422_1230
.LBB1422_1160:                          ;   in Loop: Header=BB1422_1032 Depth=2
	s_or_b32 exec_lo, exec_lo, s42
	s_and_saveexec_b32 s42, s25
	s_cbranch_execnz .LBB1422_1231
.LBB1422_1161:                          ;   in Loop: Header=BB1422_1032 Depth=2
	s_or_b32 exec_lo, exec_lo, s42
	s_and_saveexec_b32 s42, s26
	s_cbranch_execnz .LBB1422_1232
.LBB1422_1162:                          ;   in Loop: Header=BB1422_1032 Depth=2
	s_or_b32 exec_lo, exec_lo, s42
	s_and_saveexec_b32 s42, s27
	s_cbranch_execnz .LBB1422_1233
.LBB1422_1163:                          ;   in Loop: Header=BB1422_1032 Depth=2
	s_or_b32 exec_lo, exec_lo, s42
	s_and_saveexec_b32 s42, s28
	s_cbranch_execnz .LBB1422_1234
.LBB1422_1164:                          ;   in Loop: Header=BB1422_1032 Depth=2
	s_or_b32 exec_lo, exec_lo, s42
	s_and_saveexec_b32 s42, s29
	s_cbranch_execnz .LBB1422_1235
.LBB1422_1165:                          ;   in Loop: Header=BB1422_1032 Depth=2
	s_or_b32 exec_lo, exec_lo, s42
	s_and_saveexec_b32 s42, s30
	s_cbranch_execnz .LBB1422_1236
.LBB1422_1166:                          ;   in Loop: Header=BB1422_1032 Depth=2
	s_or_b32 exec_lo, exec_lo, s42
	s_and_saveexec_b32 s42, s31
	s_cbranch_execnz .LBB1422_1237
.LBB1422_1167:                          ;   in Loop: Header=BB1422_1032 Depth=2
	s_or_b32 exec_lo, exec_lo, s42
	s_and_saveexec_b32 s42, s33
	s_cbranch_execz .LBB1422_1169
.LBB1422_1168:                          ;   in Loop: Header=BB1422_1032 Depth=2
	ds_load_b32 v64, v92 offset:16896
	s_wait_dscnt 0x0
	v_cmp_ne_u32_e64 s34, 0x7fffffff, v64
	s_delay_alu instid0(VALU_DEP_1) | instskip(NEXT) | instid1(VALU_DEP_1)
	v_cndmask_b32_e64 v64, 0x80000000, v64, s34
	v_lshrrev_b32_e32 v64, s49, v64
	s_delay_alu instid0(VALU_DEP_1)
	v_and_b32_e32 v120, s58, v64
.LBB1422_1169:                          ;   in Loop: Header=BB1422_1032 Depth=2
	s_or_b32 exec_lo, exec_lo, s42
	v_dual_lshlrev_b32 v64, 3, v162 :: v_dual_lshlrev_b32 v65, 3, v161
	s_wait_loadcnt 0x0
	s_wait_storecnt 0x0
	s_barrier_signal -1
	s_barrier_wait -1
	ds_store_b64 v64, v[62:63] offset:512
	ds_store_b64 v65, v[60:61] offset:512
	v_dual_lshlrev_b32 v64, 3, v157 :: v_dual_lshlrev_b32 v65, 3, v156
	v_dual_lshlrev_b32 v139, 3, v155 :: v_dual_lshlrev_b32 v140, 3, v154
	v_lshlrev_b32_e32 v142, 3, v152
	ds_store_b64 v64, v[58:59] offset:512
	ds_store_b64 v65, v[56:57] offset:512
	ds_store_b64 v139, v[54:55] offset:512
	ds_store_b64 v140, v[52:53] offset:512
	ds_store_b64 v142, v[50:51] offset:512
	v_dual_lshlrev_b32 v64, 3, v151 :: v_dual_lshlrev_b32 v65, 3, v150
	v_dual_lshlrev_b32 v139, 3, v149 :: v_dual_lshlrev_b32 v140, 3, v147
	v_lshlrev_b32_e32 v142, 3, v146
	ds_store_b64 v64, v[48:49] offset:512
	ds_store_b64 v65, v[46:47] offset:512
	ds_store_b64 v139, v[44:45] offset:512
	;; [unrolled: 8-line block ×3, first 2 shown]
	ds_store_b64 v67, v[32:33] offset:512
	ds_store_b64 v139, v[30:31] offset:512
	v_add_nc_u32_e32 v64, v92, v4
	s_wait_dscnt 0x0
	s_barrier_signal -1
	s_barrier_wait -1
	s_and_saveexec_b32 s34, vcc_lo
	s_cbranch_execnz .LBB1422_1238
; %bb.1170:                             ;   in Loop: Header=BB1422_1032 Depth=2
	s_or_b32 exec_lo, exec_lo, s34
	s_and_saveexec_b32 s34, s17
	s_cbranch_execnz .LBB1422_1239
.LBB1422_1171:                          ;   in Loop: Header=BB1422_1032 Depth=2
	s_or_b32 exec_lo, exec_lo, s34
	s_and_saveexec_b32 s17, s18
	s_cbranch_execnz .LBB1422_1240
.LBB1422_1172:                          ;   in Loop: Header=BB1422_1032 Depth=2
	s_or_b32 exec_lo, exec_lo, s17
	s_and_saveexec_b32 s17, s19
	s_cbranch_execnz .LBB1422_1241
.LBB1422_1173:                          ;   in Loop: Header=BB1422_1032 Depth=2
	s_or_b32 exec_lo, exec_lo, s17
	s_and_saveexec_b32 s17, s20
	s_cbranch_execnz .LBB1422_1242
.LBB1422_1174:                          ;   in Loop: Header=BB1422_1032 Depth=2
	s_or_b32 exec_lo, exec_lo, s17
	s_and_saveexec_b32 s17, s21
	s_cbranch_execnz .LBB1422_1243
.LBB1422_1175:                          ;   in Loop: Header=BB1422_1032 Depth=2
	s_or_b32 exec_lo, exec_lo, s17
	s_and_saveexec_b32 s17, s22
	s_cbranch_execnz .LBB1422_1244
.LBB1422_1176:                          ;   in Loop: Header=BB1422_1032 Depth=2
	s_or_b32 exec_lo, exec_lo, s17
	s_and_saveexec_b32 s17, s23
	s_cbranch_execnz .LBB1422_1245
.LBB1422_1177:                          ;   in Loop: Header=BB1422_1032 Depth=2
	s_or_b32 exec_lo, exec_lo, s17
	s_and_saveexec_b32 s17, s24
	s_cbranch_execnz .LBB1422_1246
.LBB1422_1178:                          ;   in Loop: Header=BB1422_1032 Depth=2
	s_or_b32 exec_lo, exec_lo, s17
	s_and_saveexec_b32 s17, s25
	s_cbranch_execnz .LBB1422_1247
.LBB1422_1179:                          ;   in Loop: Header=BB1422_1032 Depth=2
	s_or_b32 exec_lo, exec_lo, s17
	s_and_saveexec_b32 s17, s26
	s_cbranch_execnz .LBB1422_1248
.LBB1422_1180:                          ;   in Loop: Header=BB1422_1032 Depth=2
	s_or_b32 exec_lo, exec_lo, s17
	s_and_saveexec_b32 s17, s27
	s_cbranch_execnz .LBB1422_1249
.LBB1422_1181:                          ;   in Loop: Header=BB1422_1032 Depth=2
	s_or_b32 exec_lo, exec_lo, s17
	s_and_saveexec_b32 s17, s28
	s_cbranch_execnz .LBB1422_1250
.LBB1422_1182:                          ;   in Loop: Header=BB1422_1032 Depth=2
	s_or_b32 exec_lo, exec_lo, s17
	s_and_saveexec_b32 s17, s29
	s_cbranch_execnz .LBB1422_1251
.LBB1422_1183:                          ;   in Loop: Header=BB1422_1032 Depth=2
	s_or_b32 exec_lo, exec_lo, s17
	s_and_saveexec_b32 s17, s30
	s_cbranch_execnz .LBB1422_1252
.LBB1422_1184:                          ;   in Loop: Header=BB1422_1032 Depth=2
	s_or_b32 exec_lo, exec_lo, s17
	s_and_saveexec_b32 s17, s31
	s_cbranch_execnz .LBB1422_1253
.LBB1422_1185:                          ;   in Loop: Header=BB1422_1032 Depth=2
	s_or_b32 exec_lo, exec_lo, s17
	s_and_saveexec_b32 s17, s33
	s_cbranch_execz .LBB1422_1187
.LBB1422_1186:                          ;   in Loop: Header=BB1422_1032 Depth=2
	v_lshlrev_b32_e32 v65, 2, v120
	ds_load_b32 v66, v65
	ds_load_b64 v[64:65], v64 offset:33280
	s_wait_dscnt 0x1
	v_add_nc_u32_e32 v66, v66, v82
	s_wait_dscnt 0x0
	global_store_b64 v66, v[64:65], s[46:47] scale_offset
.LBB1422_1187:                          ;   in Loop: Header=BB1422_1032 Depth=2
	s_wait_xcnt 0x0
	s_or_b32 exec_lo, exec_lo, s17
	s_wait_storecnt 0x0
	s_barrier_signal -1
	s_barrier_wait -1
	s_and_saveexec_b32 s17, s0
	s_cbranch_execz .LBB1422_1031
; %bb.1188:                             ;   in Loop: Header=BB1422_1032 Depth=2
	ds_load_b32 v64, v4
	s_wait_dscnt 0x0
	v_add3_u32 v64, v133, v138, v64
	ds_store_b32 v4, v64
	s_branch .LBB1422_1031
.LBB1422_1189:                          ;   in Loop: Header=BB1422_1032 Depth=2
	ds_load_b32 v64, v92 offset:512
	s_wait_dscnt 0x0
	v_cmp_ne_u32_e64 s17, 0x7fffffff, v64
	s_delay_alu instid0(VALU_DEP_1) | instskip(SKIP_1) | instid1(VALU_DEP_1)
	v_cndmask_b32_e64 v65, 0x80000000, v64, s17
	v_cmp_lt_i32_e64 s17, -1, v64
	v_cndmask_b32_e64 v140, 0x80000000, -1, s17
	s_delay_alu instid0(VALU_DEP_1) | instskip(NEXT) | instid1(VALU_DEP_1)
	v_dual_lshrrev_b32 v65, s49, v65 :: v_dual_bitop2_b32 v64, v140, v64 bitop3:0x14
	v_and_b32_e32 v65, s58, v65
	s_delay_alu instid0(VALU_DEP_1)
	v_lshlrev_b32_e32 v65, 2, v65
	ds_load_b32 v65, v65
	s_wait_dscnt 0x0
	v_add_nc_u32_e32 v65, v65, v2
	global_store_b32 v65, v64, s[40:41] scale_offset
	s_wait_xcnt 0x0
	s_or_b32 exec_lo, exec_lo, s18
	v_cmp_lt_u32_e64 s17, v3, v139
	s_and_saveexec_b32 s19, s17
	s_cbranch_execz .LBB1422_1118
.LBB1422_1190:                          ;   in Loop: Header=BB1422_1032 Depth=2
	ds_load_b32 v64, v92 offset:1536
	s_wait_dscnt 0x0
	v_cmp_ne_u32_e64 s18, 0x7fffffff, v64
	s_delay_alu instid0(VALU_DEP_1) | instskip(SKIP_1) | instid1(VALU_DEP_1)
	v_cndmask_b32_e64 v65, 0x80000000, v64, s18
	v_cmp_lt_i32_e64 s18, -1, v64
	v_cndmask_b32_e64 v140, 0x80000000, -1, s18
	s_delay_alu instid0(VALU_DEP_1) | instskip(NEXT) | instid1(VALU_DEP_1)
	v_dual_lshrrev_b32 v65, s49, v65 :: v_dual_bitop2_b32 v64, v140, v64 bitop3:0x14
	v_and_b32_e32 v65, s58, v65
	s_delay_alu instid0(VALU_DEP_1)
	v_lshlrev_b32_e32 v65, 2, v65
	ds_load_b32 v65, v65
	s_wait_dscnt 0x0
	v_add_nc_u32_e32 v65, v65, v3
	global_store_b32 v65, v64, s[40:41] scale_offset
	s_wait_xcnt 0x0
	s_or_b32 exec_lo, exec_lo, s19
	v_cmp_lt_u32_e64 s18, v68, v139
	s_and_saveexec_b32 s20, s18
	s_cbranch_execz .LBB1422_1119
.LBB1422_1191:                          ;   in Loop: Header=BB1422_1032 Depth=2
	ds_load_b32 v64, v92 offset:2560
	s_wait_dscnt 0x0
	v_cmp_ne_u32_e64 s19, 0x7fffffff, v64
	s_delay_alu instid0(VALU_DEP_1) | instskip(SKIP_1) | instid1(VALU_DEP_1)
	v_cndmask_b32_e64 v65, 0x80000000, v64, s19
	v_cmp_lt_i32_e64 s19, -1, v64
	v_cndmask_b32_e64 v140, 0x80000000, -1, s19
	s_delay_alu instid0(VALU_DEP_1) | instskip(NEXT) | instid1(VALU_DEP_1)
	v_dual_lshrrev_b32 v65, s49, v65 :: v_dual_bitop2_b32 v64, v140, v64 bitop3:0x14
	v_and_b32_e32 v65, s58, v65
	s_delay_alu instid0(VALU_DEP_1)
	v_lshlrev_b32_e32 v65, 2, v65
	ds_load_b32 v65, v65
	s_wait_dscnt 0x0
	v_add_nc_u32_e32 v65, v65, v68
	global_store_b32 v65, v64, s[40:41] scale_offset
	s_wait_xcnt 0x0
	s_or_b32 exec_lo, exec_lo, s20
	v_cmp_lt_u32_e64 s19, v69, v139
	s_and_saveexec_b32 s21, s19
	s_cbranch_execz .LBB1422_1120
.LBB1422_1192:                          ;   in Loop: Header=BB1422_1032 Depth=2
	ds_load_b32 v64, v92 offset:3584
	s_wait_dscnt 0x0
	v_cmp_ne_u32_e64 s20, 0x7fffffff, v64
	s_delay_alu instid0(VALU_DEP_1) | instskip(SKIP_1) | instid1(VALU_DEP_1)
	v_cndmask_b32_e64 v65, 0x80000000, v64, s20
	v_cmp_lt_i32_e64 s20, -1, v64
	v_cndmask_b32_e64 v140, 0x80000000, -1, s20
	s_delay_alu instid0(VALU_DEP_1) | instskip(NEXT) | instid1(VALU_DEP_1)
	v_dual_lshrrev_b32 v65, s49, v65 :: v_dual_bitop2_b32 v64, v140, v64 bitop3:0x14
	v_and_b32_e32 v65, s58, v65
	s_delay_alu instid0(VALU_DEP_1)
	v_lshlrev_b32_e32 v65, 2, v65
	ds_load_b32 v65, v65
	s_wait_dscnt 0x0
	v_add_nc_u32_e32 v65, v65, v69
	global_store_b32 v65, v64, s[40:41] scale_offset
	s_wait_xcnt 0x0
	s_or_b32 exec_lo, exec_lo, s21
	v_cmp_lt_u32_e64 s20, v70, v139
	s_and_saveexec_b32 s22, s20
	s_cbranch_execz .LBB1422_1121
.LBB1422_1193:                          ;   in Loop: Header=BB1422_1032 Depth=2
	ds_load_b32 v64, v92 offset:4608
	s_wait_dscnt 0x0
	v_cmp_ne_u32_e64 s21, 0x7fffffff, v64
	s_delay_alu instid0(VALU_DEP_1) | instskip(SKIP_1) | instid1(VALU_DEP_1)
	v_cndmask_b32_e64 v65, 0x80000000, v64, s21
	v_cmp_lt_i32_e64 s21, -1, v64
	v_cndmask_b32_e64 v140, 0x80000000, -1, s21
	s_delay_alu instid0(VALU_DEP_1) | instskip(NEXT) | instid1(VALU_DEP_1)
	v_dual_lshrrev_b32 v65, s49, v65 :: v_dual_bitop2_b32 v64, v140, v64 bitop3:0x14
	v_and_b32_e32 v65, s58, v65
	s_delay_alu instid0(VALU_DEP_1)
	v_lshlrev_b32_e32 v65, 2, v65
	ds_load_b32 v65, v65
	s_wait_dscnt 0x0
	v_add_nc_u32_e32 v65, v65, v70
	global_store_b32 v65, v64, s[40:41] scale_offset
	s_wait_xcnt 0x0
	s_or_b32 exec_lo, exec_lo, s22
	v_cmp_lt_u32_e64 s21, v71, v139
	s_and_saveexec_b32 s23, s21
	s_cbranch_execz .LBB1422_1122
.LBB1422_1194:                          ;   in Loop: Header=BB1422_1032 Depth=2
	ds_load_b32 v64, v92 offset:5632
	s_wait_dscnt 0x0
	v_cmp_ne_u32_e64 s22, 0x7fffffff, v64
	s_delay_alu instid0(VALU_DEP_1) | instskip(SKIP_1) | instid1(VALU_DEP_1)
	v_cndmask_b32_e64 v65, 0x80000000, v64, s22
	v_cmp_lt_i32_e64 s22, -1, v64
	v_cndmask_b32_e64 v140, 0x80000000, -1, s22
	s_delay_alu instid0(VALU_DEP_1) | instskip(NEXT) | instid1(VALU_DEP_1)
	v_dual_lshrrev_b32 v65, s49, v65 :: v_dual_bitop2_b32 v64, v140, v64 bitop3:0x14
	v_and_b32_e32 v65, s58, v65
	s_delay_alu instid0(VALU_DEP_1)
	v_lshlrev_b32_e32 v65, 2, v65
	ds_load_b32 v65, v65
	s_wait_dscnt 0x0
	v_add_nc_u32_e32 v65, v65, v71
	global_store_b32 v65, v64, s[40:41] scale_offset
	s_wait_xcnt 0x0
	s_or_b32 exec_lo, exec_lo, s23
	v_cmp_lt_u32_e64 s22, v72, v139
	s_and_saveexec_b32 s24, s22
	s_cbranch_execz .LBB1422_1123
.LBB1422_1195:                          ;   in Loop: Header=BB1422_1032 Depth=2
	ds_load_b32 v64, v92 offset:6656
	s_wait_dscnt 0x0
	v_cmp_ne_u32_e64 s23, 0x7fffffff, v64
	s_delay_alu instid0(VALU_DEP_1) | instskip(SKIP_1) | instid1(VALU_DEP_1)
	v_cndmask_b32_e64 v65, 0x80000000, v64, s23
	v_cmp_lt_i32_e64 s23, -1, v64
	v_cndmask_b32_e64 v140, 0x80000000, -1, s23
	s_delay_alu instid0(VALU_DEP_1) | instskip(NEXT) | instid1(VALU_DEP_1)
	v_dual_lshrrev_b32 v65, s49, v65 :: v_dual_bitop2_b32 v64, v140, v64 bitop3:0x14
	v_and_b32_e32 v65, s58, v65
	s_delay_alu instid0(VALU_DEP_1)
	v_lshlrev_b32_e32 v65, 2, v65
	ds_load_b32 v65, v65
	s_wait_dscnt 0x0
	v_add_nc_u32_e32 v65, v65, v72
	global_store_b32 v65, v64, s[40:41] scale_offset
	s_wait_xcnt 0x0
	s_or_b32 exec_lo, exec_lo, s24
	v_cmp_lt_u32_e64 s23, v73, v139
	s_and_saveexec_b32 s25, s23
	s_cbranch_execz .LBB1422_1124
.LBB1422_1196:                          ;   in Loop: Header=BB1422_1032 Depth=2
	ds_load_b32 v64, v92 offset:7680
	s_wait_dscnt 0x0
	v_cmp_ne_u32_e64 s24, 0x7fffffff, v64
	s_delay_alu instid0(VALU_DEP_1) | instskip(SKIP_1) | instid1(VALU_DEP_1)
	v_cndmask_b32_e64 v65, 0x80000000, v64, s24
	v_cmp_lt_i32_e64 s24, -1, v64
	v_cndmask_b32_e64 v140, 0x80000000, -1, s24
	s_delay_alu instid0(VALU_DEP_1) | instskip(NEXT) | instid1(VALU_DEP_1)
	v_dual_lshrrev_b32 v65, s49, v65 :: v_dual_bitop2_b32 v64, v140, v64 bitop3:0x14
	v_and_b32_e32 v65, s58, v65
	s_delay_alu instid0(VALU_DEP_1)
	v_lshlrev_b32_e32 v65, 2, v65
	ds_load_b32 v65, v65
	s_wait_dscnt 0x0
	v_add_nc_u32_e32 v65, v65, v73
	global_store_b32 v65, v64, s[40:41] scale_offset
	s_wait_xcnt 0x0
	s_or_b32 exec_lo, exec_lo, s25
	v_cmp_lt_u32_e64 s24, v74, v139
	s_and_saveexec_b32 s26, s24
	s_cbranch_execz .LBB1422_1125
.LBB1422_1197:                          ;   in Loop: Header=BB1422_1032 Depth=2
	ds_load_b32 v64, v92 offset:8704
	s_wait_dscnt 0x0
	v_cmp_ne_u32_e64 s25, 0x7fffffff, v64
	s_delay_alu instid0(VALU_DEP_1) | instskip(SKIP_1) | instid1(VALU_DEP_1)
	v_cndmask_b32_e64 v65, 0x80000000, v64, s25
	v_cmp_lt_i32_e64 s25, -1, v64
	v_cndmask_b32_e64 v140, 0x80000000, -1, s25
	s_delay_alu instid0(VALU_DEP_1) | instskip(NEXT) | instid1(VALU_DEP_1)
	v_dual_lshrrev_b32 v65, s49, v65 :: v_dual_bitop2_b32 v64, v140, v64 bitop3:0x14
	v_and_b32_e32 v65, s58, v65
	s_delay_alu instid0(VALU_DEP_1)
	v_lshlrev_b32_e32 v65, 2, v65
	ds_load_b32 v65, v65
	s_wait_dscnt 0x0
	v_add_nc_u32_e32 v65, v65, v74
	global_store_b32 v65, v64, s[40:41] scale_offset
	s_wait_xcnt 0x0
	s_or_b32 exec_lo, exec_lo, s26
	v_cmp_lt_u32_e64 s25, v75, v139
	s_and_saveexec_b32 s27, s25
	s_cbranch_execz .LBB1422_1126
.LBB1422_1198:                          ;   in Loop: Header=BB1422_1032 Depth=2
	ds_load_b32 v64, v92 offset:9728
	s_wait_dscnt 0x0
	v_cmp_ne_u32_e64 s26, 0x7fffffff, v64
	s_delay_alu instid0(VALU_DEP_1) | instskip(SKIP_1) | instid1(VALU_DEP_1)
	v_cndmask_b32_e64 v65, 0x80000000, v64, s26
	v_cmp_lt_i32_e64 s26, -1, v64
	v_cndmask_b32_e64 v140, 0x80000000, -1, s26
	s_delay_alu instid0(VALU_DEP_1) | instskip(NEXT) | instid1(VALU_DEP_1)
	v_dual_lshrrev_b32 v65, s49, v65 :: v_dual_bitop2_b32 v64, v140, v64 bitop3:0x14
	v_and_b32_e32 v65, s58, v65
	s_delay_alu instid0(VALU_DEP_1)
	v_lshlrev_b32_e32 v65, 2, v65
	ds_load_b32 v65, v65
	s_wait_dscnt 0x0
	v_add_nc_u32_e32 v65, v65, v75
	global_store_b32 v65, v64, s[40:41] scale_offset
	s_wait_xcnt 0x0
	s_or_b32 exec_lo, exec_lo, s27
	v_cmp_lt_u32_e64 s26, v76, v139
	s_and_saveexec_b32 s28, s26
	s_cbranch_execz .LBB1422_1127
.LBB1422_1199:                          ;   in Loop: Header=BB1422_1032 Depth=2
	ds_load_b32 v64, v92 offset:10752
	s_wait_dscnt 0x0
	v_cmp_ne_u32_e64 s27, 0x7fffffff, v64
	s_delay_alu instid0(VALU_DEP_1) | instskip(SKIP_1) | instid1(VALU_DEP_1)
	v_cndmask_b32_e64 v65, 0x80000000, v64, s27
	v_cmp_lt_i32_e64 s27, -1, v64
	v_cndmask_b32_e64 v140, 0x80000000, -1, s27
	s_delay_alu instid0(VALU_DEP_1) | instskip(NEXT) | instid1(VALU_DEP_1)
	v_dual_lshrrev_b32 v65, s49, v65 :: v_dual_bitop2_b32 v64, v140, v64 bitop3:0x14
	v_and_b32_e32 v65, s58, v65
	s_delay_alu instid0(VALU_DEP_1)
	v_lshlrev_b32_e32 v65, 2, v65
	ds_load_b32 v65, v65
	s_wait_dscnt 0x0
	v_add_nc_u32_e32 v65, v65, v76
	global_store_b32 v65, v64, s[40:41] scale_offset
	s_wait_xcnt 0x0
	s_or_b32 exec_lo, exec_lo, s28
	v_cmp_lt_u32_e64 s27, v77, v139
	s_and_saveexec_b32 s29, s27
	s_cbranch_execz .LBB1422_1128
.LBB1422_1200:                          ;   in Loop: Header=BB1422_1032 Depth=2
	ds_load_b32 v64, v92 offset:11776
	s_wait_dscnt 0x0
	v_cmp_ne_u32_e64 s28, 0x7fffffff, v64
	s_delay_alu instid0(VALU_DEP_1) | instskip(SKIP_1) | instid1(VALU_DEP_1)
	v_cndmask_b32_e64 v65, 0x80000000, v64, s28
	v_cmp_lt_i32_e64 s28, -1, v64
	v_cndmask_b32_e64 v140, 0x80000000, -1, s28
	s_delay_alu instid0(VALU_DEP_1) | instskip(NEXT) | instid1(VALU_DEP_1)
	v_dual_lshrrev_b32 v65, s49, v65 :: v_dual_bitop2_b32 v64, v140, v64 bitop3:0x14
	v_and_b32_e32 v65, s58, v65
	s_delay_alu instid0(VALU_DEP_1)
	v_lshlrev_b32_e32 v65, 2, v65
	ds_load_b32 v65, v65
	s_wait_dscnt 0x0
	v_add_nc_u32_e32 v65, v65, v77
	global_store_b32 v65, v64, s[40:41] scale_offset
	s_wait_xcnt 0x0
	s_or_b32 exec_lo, exec_lo, s29
	v_cmp_lt_u32_e64 s28, v78, v139
	s_and_saveexec_b32 s30, s28
	s_cbranch_execz .LBB1422_1129
.LBB1422_1201:                          ;   in Loop: Header=BB1422_1032 Depth=2
	ds_load_b32 v64, v92 offset:12800
	s_wait_dscnt 0x0
	v_cmp_ne_u32_e64 s29, 0x7fffffff, v64
	s_delay_alu instid0(VALU_DEP_1) | instskip(SKIP_1) | instid1(VALU_DEP_1)
	v_cndmask_b32_e64 v65, 0x80000000, v64, s29
	v_cmp_lt_i32_e64 s29, -1, v64
	v_cndmask_b32_e64 v140, 0x80000000, -1, s29
	s_delay_alu instid0(VALU_DEP_1) | instskip(NEXT) | instid1(VALU_DEP_1)
	v_dual_lshrrev_b32 v65, s49, v65 :: v_dual_bitop2_b32 v64, v140, v64 bitop3:0x14
	v_and_b32_e32 v65, s58, v65
	s_delay_alu instid0(VALU_DEP_1)
	v_lshlrev_b32_e32 v65, 2, v65
	ds_load_b32 v65, v65
	s_wait_dscnt 0x0
	v_add_nc_u32_e32 v65, v65, v78
	global_store_b32 v65, v64, s[40:41] scale_offset
	s_wait_xcnt 0x0
	s_or_b32 exec_lo, exec_lo, s30
	v_cmp_lt_u32_e64 s29, v79, v139
	s_and_saveexec_b32 s31, s29
	s_cbranch_execz .LBB1422_1130
.LBB1422_1202:                          ;   in Loop: Header=BB1422_1032 Depth=2
	ds_load_b32 v64, v92 offset:13824
	s_wait_dscnt 0x0
	v_cmp_ne_u32_e64 s30, 0x7fffffff, v64
	s_delay_alu instid0(VALU_DEP_1) | instskip(SKIP_1) | instid1(VALU_DEP_1)
	v_cndmask_b32_e64 v65, 0x80000000, v64, s30
	v_cmp_lt_i32_e64 s30, -1, v64
	v_cndmask_b32_e64 v140, 0x80000000, -1, s30
	s_delay_alu instid0(VALU_DEP_1) | instskip(NEXT) | instid1(VALU_DEP_1)
	v_dual_lshrrev_b32 v65, s49, v65 :: v_dual_bitop2_b32 v64, v140, v64 bitop3:0x14
	v_and_b32_e32 v65, s58, v65
	s_delay_alu instid0(VALU_DEP_1)
	v_lshlrev_b32_e32 v65, 2, v65
	ds_load_b32 v65, v65
	s_wait_dscnt 0x0
	v_add_nc_u32_e32 v65, v65, v79
	global_store_b32 v65, v64, s[40:41] scale_offset
	s_wait_xcnt 0x0
	s_or_b32 exec_lo, exec_lo, s31
	v_cmp_lt_u32_e64 s30, v80, v139
	s_and_saveexec_b32 s33, s30
	s_cbranch_execz .LBB1422_1131
.LBB1422_1203:                          ;   in Loop: Header=BB1422_1032 Depth=2
	ds_load_b32 v64, v92 offset:14848
	s_wait_dscnt 0x0
	v_cmp_ne_u32_e64 s31, 0x7fffffff, v64
	s_delay_alu instid0(VALU_DEP_1) | instskip(SKIP_1) | instid1(VALU_DEP_1)
	v_cndmask_b32_e64 v65, 0x80000000, v64, s31
	v_cmp_lt_i32_e64 s31, -1, v64
	v_cndmask_b32_e64 v140, 0x80000000, -1, s31
	s_delay_alu instid0(VALU_DEP_1) | instskip(NEXT) | instid1(VALU_DEP_1)
	v_dual_lshrrev_b32 v65, s49, v65 :: v_dual_bitop2_b32 v64, v140, v64 bitop3:0x14
	v_and_b32_e32 v65, s58, v65
	s_delay_alu instid0(VALU_DEP_1)
	v_lshlrev_b32_e32 v65, 2, v65
	ds_load_b32 v65, v65
	s_wait_dscnt 0x0
	v_add_nc_u32_e32 v65, v65, v80
	global_store_b32 v65, v64, s[40:41] scale_offset
	s_wait_xcnt 0x0
	s_or_b32 exec_lo, exec_lo, s33
	v_cmp_lt_u32_e64 s31, v81, v139
	s_and_saveexec_b32 s34, s31
	s_cbranch_execz .LBB1422_1132
.LBB1422_1204:                          ;   in Loop: Header=BB1422_1032 Depth=2
	ds_load_b32 v64, v92 offset:15872
	s_wait_dscnt 0x0
	v_cmp_ne_u32_e64 s33, 0x7fffffff, v64
	s_delay_alu instid0(VALU_DEP_1) | instskip(SKIP_1) | instid1(VALU_DEP_1)
	v_cndmask_b32_e64 v65, 0x80000000, v64, s33
	v_cmp_lt_i32_e64 s33, -1, v64
	v_cndmask_b32_e64 v140, 0x80000000, -1, s33
	s_delay_alu instid0(VALU_DEP_1) | instskip(NEXT) | instid1(VALU_DEP_1)
	v_dual_lshrrev_b32 v65, s49, v65 :: v_dual_bitop2_b32 v64, v140, v64 bitop3:0x14
	v_and_b32_e32 v65, s58, v65
	s_delay_alu instid0(VALU_DEP_1)
	v_lshlrev_b32_e32 v65, 2, v65
	ds_load_b32 v65, v65
	s_wait_dscnt 0x0
	v_add_nc_u32_e32 v65, v65, v81
	global_store_b32 v65, v64, s[40:41] scale_offset
	s_wait_xcnt 0x0
	s_or_b32 exec_lo, exec_lo, s34
	v_cmp_lt_u32_e64 s33, v82, v139
	s_and_saveexec_b32 s61, s33
	s_cbranch_execnz .LBB1422_1133
	s_branch .LBB1422_1134
.LBB1422_1205:                          ;   in Loop: Header=BB1422_1032 Depth=2
	global_load_b64 v[62:63], v[64:65], off
	s_wait_xcnt 0x0
	s_or_b32 exec_lo, exec_lo, s34
	s_delay_alu instid0(SALU_CYCLE_1)
	s_mov_b32 s42, exec_lo
	v_cmpx_lt_u32_e64 v104, v139
	s_cbranch_execz .LBB1422_1136
.LBB1422_1206:                          ;   in Loop: Header=BB1422_1032 Depth=2
	global_load_b64 v[60:61], v[64:65], off offset:256
	s_wait_xcnt 0x0
	s_or_b32 exec_lo, exec_lo, s42
	s_delay_alu instid0(SALU_CYCLE_1)
	s_mov_b32 s42, exec_lo
	v_cmpx_lt_u32_e64 v105, v139
	s_cbranch_execz .LBB1422_1137
.LBB1422_1207:                          ;   in Loop: Header=BB1422_1032 Depth=2
	global_load_b64 v[58:59], v[64:65], off offset:512
	s_wait_xcnt 0x0
	s_or_b32 exec_lo, exec_lo, s42
	s_delay_alu instid0(SALU_CYCLE_1)
	s_mov_b32 s42, exec_lo
	v_cmpx_lt_u32_e64 v106, v139
	s_cbranch_execz .LBB1422_1138
.LBB1422_1208:                          ;   in Loop: Header=BB1422_1032 Depth=2
	global_load_b64 v[56:57], v[64:65], off offset:768
	s_wait_xcnt 0x0
	s_or_b32 exec_lo, exec_lo, s42
	s_delay_alu instid0(SALU_CYCLE_1)
	s_mov_b32 s42, exec_lo
	v_cmpx_lt_u32_e64 v107, v139
	s_cbranch_execz .LBB1422_1139
.LBB1422_1209:                          ;   in Loop: Header=BB1422_1032 Depth=2
	global_load_b64 v[54:55], v[64:65], off offset:1024
	s_wait_xcnt 0x0
	s_or_b32 exec_lo, exec_lo, s42
	s_delay_alu instid0(SALU_CYCLE_1)
	s_mov_b32 s42, exec_lo
	v_cmpx_lt_u32_e64 v108, v139
	s_cbranch_execz .LBB1422_1140
.LBB1422_1210:                          ;   in Loop: Header=BB1422_1032 Depth=2
	global_load_b64 v[52:53], v[64:65], off offset:1280
	s_wait_xcnt 0x0
	s_or_b32 exec_lo, exec_lo, s42
	s_delay_alu instid0(SALU_CYCLE_1)
	s_mov_b32 s42, exec_lo
	v_cmpx_lt_u32_e64 v109, v139
	s_cbranch_execz .LBB1422_1141
.LBB1422_1211:                          ;   in Loop: Header=BB1422_1032 Depth=2
	global_load_b64 v[50:51], v[64:65], off offset:1536
	s_wait_xcnt 0x0
	s_or_b32 exec_lo, exec_lo, s42
	s_delay_alu instid0(SALU_CYCLE_1)
	s_mov_b32 s42, exec_lo
	v_cmpx_lt_u32_e64 v110, v139
	s_cbranch_execz .LBB1422_1142
.LBB1422_1212:                          ;   in Loop: Header=BB1422_1032 Depth=2
	global_load_b64 v[48:49], v[64:65], off offset:1792
	s_wait_xcnt 0x0
	s_or_b32 exec_lo, exec_lo, s42
	s_delay_alu instid0(SALU_CYCLE_1)
	s_mov_b32 s42, exec_lo
	v_cmpx_lt_u32_e64 v111, v139
	s_cbranch_execz .LBB1422_1143
.LBB1422_1213:                          ;   in Loop: Header=BB1422_1032 Depth=2
	global_load_b64 v[46:47], v[64:65], off offset:2048
	s_wait_xcnt 0x0
	s_or_b32 exec_lo, exec_lo, s42
	s_delay_alu instid0(SALU_CYCLE_1)
	s_mov_b32 s42, exec_lo
	v_cmpx_lt_u32_e64 v112, v139
	s_cbranch_execz .LBB1422_1144
.LBB1422_1214:                          ;   in Loop: Header=BB1422_1032 Depth=2
	global_load_b64 v[44:45], v[64:65], off offset:2304
	s_wait_xcnt 0x0
	s_or_b32 exec_lo, exec_lo, s42
	s_delay_alu instid0(SALU_CYCLE_1)
	s_mov_b32 s42, exec_lo
	v_cmpx_lt_u32_e64 v113, v139
	s_cbranch_execz .LBB1422_1145
.LBB1422_1215:                          ;   in Loop: Header=BB1422_1032 Depth=2
	global_load_b64 v[42:43], v[64:65], off offset:2560
	s_wait_xcnt 0x0
	s_or_b32 exec_lo, exec_lo, s42
	s_delay_alu instid0(SALU_CYCLE_1)
	s_mov_b32 s42, exec_lo
	v_cmpx_lt_u32_e64 v114, v139
	s_cbranch_execz .LBB1422_1146
.LBB1422_1216:                          ;   in Loop: Header=BB1422_1032 Depth=2
	global_load_b64 v[40:41], v[64:65], off offset:2816
	s_wait_xcnt 0x0
	s_or_b32 exec_lo, exec_lo, s42
	s_delay_alu instid0(SALU_CYCLE_1)
	s_mov_b32 s42, exec_lo
	v_cmpx_lt_u32_e64 v115, v139
	s_cbranch_execz .LBB1422_1147
.LBB1422_1217:                          ;   in Loop: Header=BB1422_1032 Depth=2
	global_load_b64 v[38:39], v[64:65], off offset:3072
	s_wait_xcnt 0x0
	s_or_b32 exec_lo, exec_lo, s42
	s_delay_alu instid0(SALU_CYCLE_1)
	s_mov_b32 s42, exec_lo
	v_cmpx_lt_u32_e64 v116, v139
	s_cbranch_execz .LBB1422_1148
.LBB1422_1218:                          ;   in Loop: Header=BB1422_1032 Depth=2
	global_load_b64 v[36:37], v[64:65], off offset:3328
	s_wait_xcnt 0x0
	s_or_b32 exec_lo, exec_lo, s42
	s_delay_alu instid0(SALU_CYCLE_1)
	s_mov_b32 s42, exec_lo
	v_cmpx_lt_u32_e64 v117, v139
	s_cbranch_execz .LBB1422_1149
.LBB1422_1219:                          ;   in Loop: Header=BB1422_1032 Depth=2
	global_load_b64 v[34:35], v[64:65], off offset:3584
	s_wait_xcnt 0x0
	s_or_b32 exec_lo, exec_lo, s42
	s_delay_alu instid0(SALU_CYCLE_1)
	s_mov_b32 s42, exec_lo
	v_cmpx_lt_u32_e64 v118, v139
	s_cbranch_execz .LBB1422_1150
.LBB1422_1220:                          ;   in Loop: Header=BB1422_1032 Depth=2
	global_load_b64 v[32:33], v[64:65], off offset:3840
	s_wait_xcnt 0x0
	s_or_b32 exec_lo, exec_lo, s42
	s_delay_alu instid0(SALU_CYCLE_1)
	s_mov_b32 s42, exec_lo
	v_cmpx_lt_u32_e64 v5, v139
	s_cbranch_execz .LBB1422_1151
.LBB1422_1221:                          ;   in Loop: Header=BB1422_1032 Depth=2
	global_load_b64 v[30:31], v[64:65], off offset:4096
	s_wait_xcnt 0x0
	s_or_b32 exec_lo, exec_lo, s42
	s_and_saveexec_b32 s42, vcc_lo
	s_cbranch_execz .LBB1422_1152
.LBB1422_1222:                          ;   in Loop: Header=BB1422_1032 Depth=2
	ds_load_b32 v64, v92 offset:512
	s_wait_dscnt 0x0
	v_cmp_ne_u32_e64 s34, 0x7fffffff, v64
	s_delay_alu instid0(VALU_DEP_1) | instskip(NEXT) | instid1(VALU_DEP_1)
	v_cndmask_b32_e64 v64, 0x80000000, v64, s34
	v_lshrrev_b32_e32 v64, s49, v64
	s_delay_alu instid0(VALU_DEP_1)
	v_and_b32_e32 v137, s58, v64
	s_or_b32 exec_lo, exec_lo, s42
	s_and_saveexec_b32 s42, s17
	s_cbranch_execz .LBB1422_1153
.LBB1422_1223:                          ;   in Loop: Header=BB1422_1032 Depth=2
	ds_load_b32 v64, v92 offset:1536
	s_wait_dscnt 0x0
	v_cmp_ne_u32_e64 s34, 0x7fffffff, v64
	s_delay_alu instid0(VALU_DEP_1) | instskip(NEXT) | instid1(VALU_DEP_1)
	v_cndmask_b32_e64 v64, 0x80000000, v64, s34
	v_lshrrev_b32_e32 v64, s49, v64
	s_delay_alu instid0(VALU_DEP_1)
	v_and_b32_e32 v136, s58, v64
	s_or_b32 exec_lo, exec_lo, s42
	s_and_saveexec_b32 s42, s18
	s_cbranch_execz .LBB1422_1154
.LBB1422_1224:                          ;   in Loop: Header=BB1422_1032 Depth=2
	ds_load_b32 v64, v92 offset:2560
	s_wait_dscnt 0x0
	v_cmp_ne_u32_e64 s34, 0x7fffffff, v64
	s_delay_alu instid0(VALU_DEP_1) | instskip(NEXT) | instid1(VALU_DEP_1)
	v_cndmask_b32_e64 v64, 0x80000000, v64, s34
	v_lshrrev_b32_e32 v64, s49, v64
	s_delay_alu instid0(VALU_DEP_1)
	v_and_b32_e32 v135, s58, v64
	s_or_b32 exec_lo, exec_lo, s42
	s_and_saveexec_b32 s42, s19
	s_cbranch_execz .LBB1422_1155
.LBB1422_1225:                          ;   in Loop: Header=BB1422_1032 Depth=2
	ds_load_b32 v64, v92 offset:3584
	s_wait_dscnt 0x0
	v_cmp_ne_u32_e64 s34, 0x7fffffff, v64
	s_delay_alu instid0(VALU_DEP_1) | instskip(NEXT) | instid1(VALU_DEP_1)
	v_cndmask_b32_e64 v64, 0x80000000, v64, s34
	v_lshrrev_b32_e32 v64, s49, v64
	s_delay_alu instid0(VALU_DEP_1)
	v_and_b32_e32 v134, s58, v64
	s_or_b32 exec_lo, exec_lo, s42
	s_and_saveexec_b32 s42, s20
	s_cbranch_execz .LBB1422_1156
.LBB1422_1226:                          ;   in Loop: Header=BB1422_1032 Depth=2
	ds_load_b32 v64, v92 offset:4608
	s_wait_dscnt 0x0
	v_cmp_ne_u32_e64 s34, 0x7fffffff, v64
	s_delay_alu instid0(VALU_DEP_1) | instskip(NEXT) | instid1(VALU_DEP_1)
	v_cndmask_b32_e64 v64, 0x80000000, v64, s34
	v_lshrrev_b32_e32 v64, s49, v64
	s_delay_alu instid0(VALU_DEP_1)
	v_and_b32_e32 v132, s58, v64
	s_or_b32 exec_lo, exec_lo, s42
	s_and_saveexec_b32 s42, s21
	s_cbranch_execz .LBB1422_1157
.LBB1422_1227:                          ;   in Loop: Header=BB1422_1032 Depth=2
	ds_load_b32 v64, v92 offset:5632
	s_wait_dscnt 0x0
	v_cmp_ne_u32_e64 s34, 0x7fffffff, v64
	s_delay_alu instid0(VALU_DEP_1) | instskip(NEXT) | instid1(VALU_DEP_1)
	v_cndmask_b32_e64 v64, 0x80000000, v64, s34
	v_lshrrev_b32_e32 v64, s49, v64
	s_delay_alu instid0(VALU_DEP_1)
	v_and_b32_e32 v131, s58, v64
	s_or_b32 exec_lo, exec_lo, s42
	s_and_saveexec_b32 s42, s22
	s_cbranch_execz .LBB1422_1158
.LBB1422_1228:                          ;   in Loop: Header=BB1422_1032 Depth=2
	ds_load_b32 v64, v92 offset:6656
	s_wait_dscnt 0x0
	v_cmp_ne_u32_e64 s34, 0x7fffffff, v64
	s_delay_alu instid0(VALU_DEP_1) | instskip(NEXT) | instid1(VALU_DEP_1)
	v_cndmask_b32_e64 v64, 0x80000000, v64, s34
	v_lshrrev_b32_e32 v64, s49, v64
	s_delay_alu instid0(VALU_DEP_1)
	v_and_b32_e32 v130, s58, v64
	s_or_b32 exec_lo, exec_lo, s42
	s_and_saveexec_b32 s42, s23
	s_cbranch_execz .LBB1422_1159
.LBB1422_1229:                          ;   in Loop: Header=BB1422_1032 Depth=2
	ds_load_b32 v64, v92 offset:7680
	s_wait_dscnt 0x0
	v_cmp_ne_u32_e64 s34, 0x7fffffff, v64
	s_delay_alu instid0(VALU_DEP_1) | instskip(NEXT) | instid1(VALU_DEP_1)
	v_cndmask_b32_e64 v64, 0x80000000, v64, s34
	v_lshrrev_b32_e32 v64, s49, v64
	s_delay_alu instid0(VALU_DEP_1)
	v_and_b32_e32 v129, s58, v64
	s_or_b32 exec_lo, exec_lo, s42
	s_and_saveexec_b32 s42, s24
	s_cbranch_execz .LBB1422_1160
.LBB1422_1230:                          ;   in Loop: Header=BB1422_1032 Depth=2
	ds_load_b32 v64, v92 offset:8704
	s_wait_dscnt 0x0
	v_cmp_ne_u32_e64 s34, 0x7fffffff, v64
	s_delay_alu instid0(VALU_DEP_1) | instskip(NEXT) | instid1(VALU_DEP_1)
	v_cndmask_b32_e64 v64, 0x80000000, v64, s34
	v_lshrrev_b32_e32 v64, s49, v64
	s_delay_alu instid0(VALU_DEP_1)
	v_and_b32_e32 v128, s58, v64
	s_or_b32 exec_lo, exec_lo, s42
	s_and_saveexec_b32 s42, s25
	s_cbranch_execz .LBB1422_1161
.LBB1422_1231:                          ;   in Loop: Header=BB1422_1032 Depth=2
	ds_load_b32 v64, v92 offset:9728
	s_wait_dscnt 0x0
	v_cmp_ne_u32_e64 s34, 0x7fffffff, v64
	s_delay_alu instid0(VALU_DEP_1) | instskip(NEXT) | instid1(VALU_DEP_1)
	v_cndmask_b32_e64 v64, 0x80000000, v64, s34
	v_lshrrev_b32_e32 v64, s49, v64
	s_delay_alu instid0(VALU_DEP_1)
	v_and_b32_e32 v127, s58, v64
	s_or_b32 exec_lo, exec_lo, s42
	s_and_saveexec_b32 s42, s26
	s_cbranch_execz .LBB1422_1162
.LBB1422_1232:                          ;   in Loop: Header=BB1422_1032 Depth=2
	ds_load_b32 v64, v92 offset:10752
	s_wait_dscnt 0x0
	v_cmp_ne_u32_e64 s34, 0x7fffffff, v64
	s_delay_alu instid0(VALU_DEP_1) | instskip(NEXT) | instid1(VALU_DEP_1)
	v_cndmask_b32_e64 v64, 0x80000000, v64, s34
	v_lshrrev_b32_e32 v64, s49, v64
	s_delay_alu instid0(VALU_DEP_1)
	v_and_b32_e32 v126, s58, v64
	s_or_b32 exec_lo, exec_lo, s42
	s_and_saveexec_b32 s42, s27
	s_cbranch_execz .LBB1422_1163
.LBB1422_1233:                          ;   in Loop: Header=BB1422_1032 Depth=2
	ds_load_b32 v64, v92 offset:11776
	s_wait_dscnt 0x0
	v_cmp_ne_u32_e64 s34, 0x7fffffff, v64
	s_delay_alu instid0(VALU_DEP_1) | instskip(NEXT) | instid1(VALU_DEP_1)
	v_cndmask_b32_e64 v64, 0x80000000, v64, s34
	v_lshrrev_b32_e32 v64, s49, v64
	s_delay_alu instid0(VALU_DEP_1)
	v_and_b32_e32 v125, s58, v64
	s_or_b32 exec_lo, exec_lo, s42
	s_and_saveexec_b32 s42, s28
	s_cbranch_execz .LBB1422_1164
.LBB1422_1234:                          ;   in Loop: Header=BB1422_1032 Depth=2
	ds_load_b32 v64, v92 offset:12800
	s_wait_dscnt 0x0
	v_cmp_ne_u32_e64 s34, 0x7fffffff, v64
	s_delay_alu instid0(VALU_DEP_1) | instskip(NEXT) | instid1(VALU_DEP_1)
	v_cndmask_b32_e64 v64, 0x80000000, v64, s34
	v_lshrrev_b32_e32 v64, s49, v64
	s_delay_alu instid0(VALU_DEP_1)
	v_and_b32_e32 v124, s58, v64
	s_or_b32 exec_lo, exec_lo, s42
	s_and_saveexec_b32 s42, s29
	s_cbranch_execz .LBB1422_1165
.LBB1422_1235:                          ;   in Loop: Header=BB1422_1032 Depth=2
	ds_load_b32 v64, v92 offset:13824
	s_wait_dscnt 0x0
	v_cmp_ne_u32_e64 s34, 0x7fffffff, v64
	s_delay_alu instid0(VALU_DEP_1) | instskip(NEXT) | instid1(VALU_DEP_1)
	v_cndmask_b32_e64 v64, 0x80000000, v64, s34
	v_lshrrev_b32_e32 v64, s49, v64
	s_delay_alu instid0(VALU_DEP_1)
	v_and_b32_e32 v123, s58, v64
	s_or_b32 exec_lo, exec_lo, s42
	s_and_saveexec_b32 s42, s30
	s_cbranch_execz .LBB1422_1166
.LBB1422_1236:                          ;   in Loop: Header=BB1422_1032 Depth=2
	ds_load_b32 v64, v92 offset:14848
	s_wait_dscnt 0x0
	v_cmp_ne_u32_e64 s34, 0x7fffffff, v64
	s_delay_alu instid0(VALU_DEP_1) | instskip(NEXT) | instid1(VALU_DEP_1)
	v_cndmask_b32_e64 v64, 0x80000000, v64, s34
	v_lshrrev_b32_e32 v64, s49, v64
	s_delay_alu instid0(VALU_DEP_1)
	v_and_b32_e32 v122, s58, v64
	s_or_b32 exec_lo, exec_lo, s42
	s_and_saveexec_b32 s42, s31
	s_cbranch_execz .LBB1422_1167
.LBB1422_1237:                          ;   in Loop: Header=BB1422_1032 Depth=2
	ds_load_b32 v64, v92 offset:15872
	s_wait_dscnt 0x0
	v_cmp_ne_u32_e64 s34, 0x7fffffff, v64
	s_delay_alu instid0(VALU_DEP_1) | instskip(NEXT) | instid1(VALU_DEP_1)
	v_cndmask_b32_e64 v64, 0x80000000, v64, s34
	v_lshrrev_b32_e32 v64, s49, v64
	s_delay_alu instid0(VALU_DEP_1)
	v_and_b32_e32 v121, s58, v64
	s_or_b32 exec_lo, exec_lo, s42
	s_and_saveexec_b32 s42, s33
	s_cbranch_execnz .LBB1422_1168
	s_branch .LBB1422_1169
.LBB1422_1238:                          ;   in Loop: Header=BB1422_1032 Depth=2
	v_lshlrev_b32_e32 v65, 2, v137
	ds_load_b32 v65, v65
	ds_load_b64 v[66:67], v64 offset:512
	s_wait_dscnt 0x1
	v_add_nc_u32_e32 v65, v65, v2
	s_wait_dscnt 0x0
	global_store_b64 v65, v[66:67], s[46:47] scale_offset
	s_wait_xcnt 0x0
	s_or_b32 exec_lo, exec_lo, s34
	s_and_saveexec_b32 s34, s17
	s_cbranch_execz .LBB1422_1171
.LBB1422_1239:                          ;   in Loop: Header=BB1422_1032 Depth=2
	v_lshlrev_b32_e32 v65, 2, v136
	ds_load_b32 v65, v65
	ds_load_b64 v[66:67], v64 offset:2560
	s_wait_dscnt 0x1
	v_add_nc_u32_e32 v65, v65, v3
	s_wait_dscnt 0x0
	global_store_b64 v65, v[66:67], s[46:47] scale_offset
	s_wait_xcnt 0x0
	s_or_b32 exec_lo, exec_lo, s34
	s_and_saveexec_b32 s17, s18
	s_cbranch_execz .LBB1422_1172
.LBB1422_1240:                          ;   in Loop: Header=BB1422_1032 Depth=2
	v_lshlrev_b32_e32 v65, 2, v135
	ds_load_b32 v65, v65
	ds_load_b64 v[66:67], v64 offset:4608
	s_wait_dscnt 0x1
	v_add_nc_u32_e32 v65, v65, v68
	s_wait_dscnt 0x0
	global_store_b64 v65, v[66:67], s[46:47] scale_offset
	s_wait_xcnt 0x0
	s_or_b32 exec_lo, exec_lo, s17
	s_and_saveexec_b32 s17, s19
	s_cbranch_execz .LBB1422_1173
.LBB1422_1241:                          ;   in Loop: Header=BB1422_1032 Depth=2
	v_lshlrev_b32_e32 v65, 2, v134
	ds_load_b32 v65, v65
	ds_load_b64 v[66:67], v64 offset:6656
	s_wait_dscnt 0x1
	v_add_nc_u32_e32 v65, v65, v69
	s_wait_dscnt 0x0
	global_store_b64 v65, v[66:67], s[46:47] scale_offset
	s_wait_xcnt 0x0
	s_or_b32 exec_lo, exec_lo, s17
	s_and_saveexec_b32 s17, s20
	s_cbranch_execz .LBB1422_1174
.LBB1422_1242:                          ;   in Loop: Header=BB1422_1032 Depth=2
	v_lshlrev_b32_e32 v65, 2, v132
	ds_load_b32 v65, v65
	ds_load_b64 v[66:67], v64 offset:8704
	s_wait_dscnt 0x1
	v_add_nc_u32_e32 v65, v65, v70
	s_wait_dscnt 0x0
	global_store_b64 v65, v[66:67], s[46:47] scale_offset
	s_wait_xcnt 0x0
	s_or_b32 exec_lo, exec_lo, s17
	s_and_saveexec_b32 s17, s21
	s_cbranch_execz .LBB1422_1175
.LBB1422_1243:                          ;   in Loop: Header=BB1422_1032 Depth=2
	v_lshlrev_b32_e32 v65, 2, v131
	ds_load_b32 v65, v65
	ds_load_b64 v[66:67], v64 offset:10752
	s_wait_dscnt 0x1
	v_add_nc_u32_e32 v65, v65, v71
	s_wait_dscnt 0x0
	global_store_b64 v65, v[66:67], s[46:47] scale_offset
	s_wait_xcnt 0x0
	s_or_b32 exec_lo, exec_lo, s17
	s_and_saveexec_b32 s17, s22
	s_cbranch_execz .LBB1422_1176
.LBB1422_1244:                          ;   in Loop: Header=BB1422_1032 Depth=2
	v_lshlrev_b32_e32 v65, 2, v130
	ds_load_b32 v65, v65
	ds_load_b64 v[66:67], v64 offset:12800
	s_wait_dscnt 0x1
	v_add_nc_u32_e32 v65, v65, v72
	s_wait_dscnt 0x0
	global_store_b64 v65, v[66:67], s[46:47] scale_offset
	s_wait_xcnt 0x0
	s_or_b32 exec_lo, exec_lo, s17
	s_and_saveexec_b32 s17, s23
	s_cbranch_execz .LBB1422_1177
.LBB1422_1245:                          ;   in Loop: Header=BB1422_1032 Depth=2
	v_lshlrev_b32_e32 v65, 2, v129
	ds_load_b32 v65, v65
	ds_load_b64 v[66:67], v64 offset:14848
	s_wait_dscnt 0x1
	v_add_nc_u32_e32 v65, v65, v73
	s_wait_dscnt 0x0
	global_store_b64 v65, v[66:67], s[46:47] scale_offset
	s_wait_xcnt 0x0
	s_or_b32 exec_lo, exec_lo, s17
	s_and_saveexec_b32 s17, s24
	s_cbranch_execz .LBB1422_1178
.LBB1422_1246:                          ;   in Loop: Header=BB1422_1032 Depth=2
	v_lshlrev_b32_e32 v65, 2, v128
	ds_load_b32 v65, v65
	ds_load_b64 v[66:67], v64 offset:16896
	s_wait_dscnt 0x1
	v_add_nc_u32_e32 v65, v65, v74
	s_wait_dscnt 0x0
	global_store_b64 v65, v[66:67], s[46:47] scale_offset
	s_wait_xcnt 0x0
	s_or_b32 exec_lo, exec_lo, s17
	s_and_saveexec_b32 s17, s25
	s_cbranch_execz .LBB1422_1179
.LBB1422_1247:                          ;   in Loop: Header=BB1422_1032 Depth=2
	v_lshlrev_b32_e32 v65, 2, v127
	ds_load_b32 v65, v65
	ds_load_b64 v[66:67], v64 offset:18944
	s_wait_dscnt 0x1
	v_add_nc_u32_e32 v65, v65, v75
	s_wait_dscnt 0x0
	global_store_b64 v65, v[66:67], s[46:47] scale_offset
	s_wait_xcnt 0x0
	s_or_b32 exec_lo, exec_lo, s17
	s_and_saveexec_b32 s17, s26
	s_cbranch_execz .LBB1422_1180
.LBB1422_1248:                          ;   in Loop: Header=BB1422_1032 Depth=2
	v_lshlrev_b32_e32 v65, 2, v126
	ds_load_b32 v65, v65
	ds_load_b64 v[66:67], v64 offset:20992
	s_wait_dscnt 0x1
	v_add_nc_u32_e32 v65, v65, v76
	s_wait_dscnt 0x0
	global_store_b64 v65, v[66:67], s[46:47] scale_offset
	s_wait_xcnt 0x0
	s_or_b32 exec_lo, exec_lo, s17
	s_and_saveexec_b32 s17, s27
	s_cbranch_execz .LBB1422_1181
.LBB1422_1249:                          ;   in Loop: Header=BB1422_1032 Depth=2
	v_lshlrev_b32_e32 v65, 2, v125
	ds_load_b32 v65, v65
	ds_load_b64 v[66:67], v64 offset:23040
	s_wait_dscnt 0x1
	v_add_nc_u32_e32 v65, v65, v77
	s_wait_dscnt 0x0
	global_store_b64 v65, v[66:67], s[46:47] scale_offset
	s_wait_xcnt 0x0
	s_or_b32 exec_lo, exec_lo, s17
	s_and_saveexec_b32 s17, s28
	s_cbranch_execz .LBB1422_1182
.LBB1422_1250:                          ;   in Loop: Header=BB1422_1032 Depth=2
	v_lshlrev_b32_e32 v65, 2, v124
	ds_load_b32 v65, v65
	ds_load_b64 v[66:67], v64 offset:25088
	s_wait_dscnt 0x1
	v_add_nc_u32_e32 v65, v65, v78
	s_wait_dscnt 0x0
	global_store_b64 v65, v[66:67], s[46:47] scale_offset
	s_wait_xcnt 0x0
	s_or_b32 exec_lo, exec_lo, s17
	s_and_saveexec_b32 s17, s29
	s_cbranch_execz .LBB1422_1183
.LBB1422_1251:                          ;   in Loop: Header=BB1422_1032 Depth=2
	v_lshlrev_b32_e32 v65, 2, v123
	ds_load_b32 v65, v65
	ds_load_b64 v[66:67], v64 offset:27136
	s_wait_dscnt 0x1
	v_add_nc_u32_e32 v65, v65, v79
	s_wait_dscnt 0x0
	global_store_b64 v65, v[66:67], s[46:47] scale_offset
	s_wait_xcnt 0x0
	s_or_b32 exec_lo, exec_lo, s17
	s_and_saveexec_b32 s17, s30
	s_cbranch_execz .LBB1422_1184
.LBB1422_1252:                          ;   in Loop: Header=BB1422_1032 Depth=2
	v_lshlrev_b32_e32 v65, 2, v122
	ds_load_b32 v65, v65
	ds_load_b64 v[66:67], v64 offset:29184
	s_wait_dscnt 0x1
	v_add_nc_u32_e32 v65, v65, v80
	s_wait_dscnt 0x0
	global_store_b64 v65, v[66:67], s[46:47] scale_offset
	s_wait_xcnt 0x0
	s_or_b32 exec_lo, exec_lo, s17
	s_and_saveexec_b32 s17, s31
	s_cbranch_execz .LBB1422_1185
.LBB1422_1253:                          ;   in Loop: Header=BB1422_1032 Depth=2
	v_lshlrev_b32_e32 v65, 2, v121
	ds_load_b32 v65, v65
	ds_load_b64 v[66:67], v64 offset:31232
	s_wait_dscnt 0x1
	v_add_nc_u32_e32 v65, v65, v81
	s_wait_dscnt 0x0
	global_store_b64 v65, v[66:67], s[46:47] scale_offset
	s_wait_xcnt 0x0
	s_or_b32 exec_lo, exec_lo, s17
	s_and_saveexec_b32 s17, s33
	s_cbranch_execnz .LBB1422_1186
	s_branch .LBB1422_1187
.LBB1422_1254:
	s_endpgm
	.section	.rodata,"a",@progbits
	.p2align	6, 0x0
	.amdhsa_kernel _ZN7rocprim17ROCPRIM_400000_NS6detail17trampoline_kernelINS0_14default_configENS1_36segmented_radix_sort_config_selectorIflEEZNS1_25segmented_radix_sort_implIS3_Lb0EPKfPfPKlPlN2at6native12_GLOBAL__N_18offset_tEEE10hipError_tPvRmT1_PNSt15iterator_traitsISK_E10value_typeET2_T3_PNSL_ISQ_E10value_typeET4_jRbjT5_SW_jjP12ihipStream_tbEUlT_E_NS1_11comp_targetILNS1_3genE0ELNS1_11target_archE4294967295ELNS1_3gpuE0ELNS1_3repE0EEENS1_30default_config_static_selectorELNS0_4arch9wavefront6targetE0EEEvSK_
		.amdhsa_group_segment_fixed_size 35344
		.amdhsa_private_segment_fixed_size 0
		.amdhsa_kernarg_size 352
		.amdhsa_user_sgpr_count 4
		.amdhsa_user_sgpr_dispatch_ptr 0
		.amdhsa_user_sgpr_queue_ptr 1
		.amdhsa_user_sgpr_kernarg_segment_ptr 1
		.amdhsa_user_sgpr_dispatch_id 0
		.amdhsa_user_sgpr_kernarg_preload_length 0
		.amdhsa_user_sgpr_kernarg_preload_offset 0
		.amdhsa_user_sgpr_private_segment_size 0
		.amdhsa_wavefront_size32 1
		.amdhsa_uses_dynamic_stack 0
		.amdhsa_enable_private_segment 0
		.amdhsa_system_sgpr_workgroup_id_x 1
		.amdhsa_system_sgpr_workgroup_id_y 1
		.amdhsa_system_sgpr_workgroup_id_z 0
		.amdhsa_system_sgpr_workgroup_info 0
		.amdhsa_system_vgpr_workitem_id 2
		.amdhsa_next_free_vgpr 320
		.amdhsa_next_free_sgpr 62
		.amdhsa_named_barrier_count 0
		.amdhsa_reserve_vcc 1
		.amdhsa_float_round_mode_32 0
		.amdhsa_float_round_mode_16_64 0
		.amdhsa_float_denorm_mode_32 3
		.amdhsa_float_denorm_mode_16_64 3
		.amdhsa_fp16_overflow 0
		.amdhsa_memory_ordered 1
		.amdhsa_forward_progress 1
		.amdhsa_inst_pref_size 255
		.amdhsa_round_robin_scheduling 0
		.amdhsa_exception_fp_ieee_invalid_op 0
		.amdhsa_exception_fp_denorm_src 0
		.amdhsa_exception_fp_ieee_div_zero 0
		.amdhsa_exception_fp_ieee_overflow 0
		.amdhsa_exception_fp_ieee_underflow 0
		.amdhsa_exception_fp_ieee_inexact 0
		.amdhsa_exception_int_div_zero 0
	.end_amdhsa_kernel
	.section	.text._ZN7rocprim17ROCPRIM_400000_NS6detail17trampoline_kernelINS0_14default_configENS1_36segmented_radix_sort_config_selectorIflEEZNS1_25segmented_radix_sort_implIS3_Lb0EPKfPfPKlPlN2at6native12_GLOBAL__N_18offset_tEEE10hipError_tPvRmT1_PNSt15iterator_traitsISK_E10value_typeET2_T3_PNSL_ISQ_E10value_typeET4_jRbjT5_SW_jjP12ihipStream_tbEUlT_E_NS1_11comp_targetILNS1_3genE0ELNS1_11target_archE4294967295ELNS1_3gpuE0ELNS1_3repE0EEENS1_30default_config_static_selectorELNS0_4arch9wavefront6targetE0EEEvSK_,"axG",@progbits,_ZN7rocprim17ROCPRIM_400000_NS6detail17trampoline_kernelINS0_14default_configENS1_36segmented_radix_sort_config_selectorIflEEZNS1_25segmented_radix_sort_implIS3_Lb0EPKfPfPKlPlN2at6native12_GLOBAL__N_18offset_tEEE10hipError_tPvRmT1_PNSt15iterator_traitsISK_E10value_typeET2_T3_PNSL_ISQ_E10value_typeET4_jRbjT5_SW_jjP12ihipStream_tbEUlT_E_NS1_11comp_targetILNS1_3genE0ELNS1_11target_archE4294967295ELNS1_3gpuE0ELNS1_3repE0EEENS1_30default_config_static_selectorELNS0_4arch9wavefront6targetE0EEEvSK_,comdat
.Lfunc_end1422:
	.size	_ZN7rocprim17ROCPRIM_400000_NS6detail17trampoline_kernelINS0_14default_configENS1_36segmented_radix_sort_config_selectorIflEEZNS1_25segmented_radix_sort_implIS3_Lb0EPKfPfPKlPlN2at6native12_GLOBAL__N_18offset_tEEE10hipError_tPvRmT1_PNSt15iterator_traitsISK_E10value_typeET2_T3_PNSL_ISQ_E10value_typeET4_jRbjT5_SW_jjP12ihipStream_tbEUlT_E_NS1_11comp_targetILNS1_3genE0ELNS1_11target_archE4294967295ELNS1_3gpuE0ELNS1_3repE0EEENS1_30default_config_static_selectorELNS0_4arch9wavefront6targetE0EEEvSK_, .Lfunc_end1422-_ZN7rocprim17ROCPRIM_400000_NS6detail17trampoline_kernelINS0_14default_configENS1_36segmented_radix_sort_config_selectorIflEEZNS1_25segmented_radix_sort_implIS3_Lb0EPKfPfPKlPlN2at6native12_GLOBAL__N_18offset_tEEE10hipError_tPvRmT1_PNSt15iterator_traitsISK_E10value_typeET2_T3_PNSL_ISQ_E10value_typeET4_jRbjT5_SW_jjP12ihipStream_tbEUlT_E_NS1_11comp_targetILNS1_3genE0ELNS1_11target_archE4294967295ELNS1_3gpuE0ELNS1_3repE0EEENS1_30default_config_static_selectorELNS0_4arch9wavefront6targetE0EEEvSK_
                                        ; -- End function
	.set _ZN7rocprim17ROCPRIM_400000_NS6detail17trampoline_kernelINS0_14default_configENS1_36segmented_radix_sort_config_selectorIflEEZNS1_25segmented_radix_sort_implIS3_Lb0EPKfPfPKlPlN2at6native12_GLOBAL__N_18offset_tEEE10hipError_tPvRmT1_PNSt15iterator_traitsISK_E10value_typeET2_T3_PNSL_ISQ_E10value_typeET4_jRbjT5_SW_jjP12ihipStream_tbEUlT_E_NS1_11comp_targetILNS1_3genE0ELNS1_11target_archE4294967295ELNS1_3gpuE0ELNS1_3repE0EEENS1_30default_config_static_selectorELNS0_4arch9wavefront6targetE0EEEvSK_.num_vgpr, max(211, .L_ZN7rocprim17ROCPRIM_400000_NS6detail40segmented_radix_sort_single_block_helperIflLj256ELj17ELb0EE4sortIPKfPfPKlPlEEbT_T0_T1_T2_jjjjRNS3_12storage_typeE.num_vgpr)
	.set _ZN7rocprim17ROCPRIM_400000_NS6detail17trampoline_kernelINS0_14default_configENS1_36segmented_radix_sort_config_selectorIflEEZNS1_25segmented_radix_sort_implIS3_Lb0EPKfPfPKlPlN2at6native12_GLOBAL__N_18offset_tEEE10hipError_tPvRmT1_PNSt15iterator_traitsISK_E10value_typeET2_T3_PNSL_ISQ_E10value_typeET4_jRbjT5_SW_jjP12ihipStream_tbEUlT_E_NS1_11comp_targetILNS1_3genE0ELNS1_11target_archE4294967295ELNS1_3gpuE0ELNS1_3repE0EEENS1_30default_config_static_selectorELNS0_4arch9wavefront6targetE0EEEvSK_.num_agpr, max(0, .L_ZN7rocprim17ROCPRIM_400000_NS6detail40segmented_radix_sort_single_block_helperIflLj256ELj17ELb0EE4sortIPKfPfPKlPlEEbT_T0_T1_T2_jjjjRNS3_12storage_typeE.num_agpr)
	.set _ZN7rocprim17ROCPRIM_400000_NS6detail17trampoline_kernelINS0_14default_configENS1_36segmented_radix_sort_config_selectorIflEEZNS1_25segmented_radix_sort_implIS3_Lb0EPKfPfPKlPlN2at6native12_GLOBAL__N_18offset_tEEE10hipError_tPvRmT1_PNSt15iterator_traitsISK_E10value_typeET2_T3_PNSL_ISQ_E10value_typeET4_jRbjT5_SW_jjP12ihipStream_tbEUlT_E_NS1_11comp_targetILNS1_3genE0ELNS1_11target_archE4294967295ELNS1_3gpuE0ELNS1_3repE0EEENS1_30default_config_static_selectorELNS0_4arch9wavefront6targetE0EEEvSK_.numbered_sgpr, max(62, .L_ZN7rocprim17ROCPRIM_400000_NS6detail40segmented_radix_sort_single_block_helperIflLj256ELj17ELb0EE4sortIPKfPfPKlPlEEbT_T0_T1_T2_jjjjRNS3_12storage_typeE.numbered_sgpr)
	.set _ZN7rocprim17ROCPRIM_400000_NS6detail17trampoline_kernelINS0_14default_configENS1_36segmented_radix_sort_config_selectorIflEEZNS1_25segmented_radix_sort_implIS3_Lb0EPKfPfPKlPlN2at6native12_GLOBAL__N_18offset_tEEE10hipError_tPvRmT1_PNSt15iterator_traitsISK_E10value_typeET2_T3_PNSL_ISQ_E10value_typeET4_jRbjT5_SW_jjP12ihipStream_tbEUlT_E_NS1_11comp_targetILNS1_3genE0ELNS1_11target_archE4294967295ELNS1_3gpuE0ELNS1_3repE0EEENS1_30default_config_static_selectorELNS0_4arch9wavefront6targetE0EEEvSK_.num_named_barrier, max(0, .L_ZN7rocprim17ROCPRIM_400000_NS6detail40segmented_radix_sort_single_block_helperIflLj256ELj17ELb0EE4sortIPKfPfPKlPlEEbT_T0_T1_T2_jjjjRNS3_12storage_typeE.num_named_barrier)
	.set _ZN7rocprim17ROCPRIM_400000_NS6detail17trampoline_kernelINS0_14default_configENS1_36segmented_radix_sort_config_selectorIflEEZNS1_25segmented_radix_sort_implIS3_Lb0EPKfPfPKlPlN2at6native12_GLOBAL__N_18offset_tEEE10hipError_tPvRmT1_PNSt15iterator_traitsISK_E10value_typeET2_T3_PNSL_ISQ_E10value_typeET4_jRbjT5_SW_jjP12ihipStream_tbEUlT_E_NS1_11comp_targetILNS1_3genE0ELNS1_11target_archE4294967295ELNS1_3gpuE0ELNS1_3repE0EEENS1_30default_config_static_selectorELNS0_4arch9wavefront6targetE0EEEvSK_.private_seg_size, 0+max(.L_ZN7rocprim17ROCPRIM_400000_NS6detail40segmented_radix_sort_single_block_helperIflLj256ELj17ELb0EE4sortIPKfPfPKlPlEEbT_T0_T1_T2_jjjjRNS3_12storage_typeE.private_seg_size)
	.set _ZN7rocprim17ROCPRIM_400000_NS6detail17trampoline_kernelINS0_14default_configENS1_36segmented_radix_sort_config_selectorIflEEZNS1_25segmented_radix_sort_implIS3_Lb0EPKfPfPKlPlN2at6native12_GLOBAL__N_18offset_tEEE10hipError_tPvRmT1_PNSt15iterator_traitsISK_E10value_typeET2_T3_PNSL_ISQ_E10value_typeET4_jRbjT5_SW_jjP12ihipStream_tbEUlT_E_NS1_11comp_targetILNS1_3genE0ELNS1_11target_archE4294967295ELNS1_3gpuE0ELNS1_3repE0EEENS1_30default_config_static_selectorELNS0_4arch9wavefront6targetE0EEEvSK_.uses_vcc, or(1, .L_ZN7rocprim17ROCPRIM_400000_NS6detail40segmented_radix_sort_single_block_helperIflLj256ELj17ELb0EE4sortIPKfPfPKlPlEEbT_T0_T1_T2_jjjjRNS3_12storage_typeE.uses_vcc)
	.set _ZN7rocprim17ROCPRIM_400000_NS6detail17trampoline_kernelINS0_14default_configENS1_36segmented_radix_sort_config_selectorIflEEZNS1_25segmented_radix_sort_implIS3_Lb0EPKfPfPKlPlN2at6native12_GLOBAL__N_18offset_tEEE10hipError_tPvRmT1_PNSt15iterator_traitsISK_E10value_typeET2_T3_PNSL_ISQ_E10value_typeET4_jRbjT5_SW_jjP12ihipStream_tbEUlT_E_NS1_11comp_targetILNS1_3genE0ELNS1_11target_archE4294967295ELNS1_3gpuE0ELNS1_3repE0EEENS1_30default_config_static_selectorELNS0_4arch9wavefront6targetE0EEEvSK_.uses_flat_scratch, or(0, .L_ZN7rocprim17ROCPRIM_400000_NS6detail40segmented_radix_sort_single_block_helperIflLj256ELj17ELb0EE4sortIPKfPfPKlPlEEbT_T0_T1_T2_jjjjRNS3_12storage_typeE.uses_flat_scratch)
	.set _ZN7rocprim17ROCPRIM_400000_NS6detail17trampoline_kernelINS0_14default_configENS1_36segmented_radix_sort_config_selectorIflEEZNS1_25segmented_radix_sort_implIS3_Lb0EPKfPfPKlPlN2at6native12_GLOBAL__N_18offset_tEEE10hipError_tPvRmT1_PNSt15iterator_traitsISK_E10value_typeET2_T3_PNSL_ISQ_E10value_typeET4_jRbjT5_SW_jjP12ihipStream_tbEUlT_E_NS1_11comp_targetILNS1_3genE0ELNS1_11target_archE4294967295ELNS1_3gpuE0ELNS1_3repE0EEENS1_30default_config_static_selectorELNS0_4arch9wavefront6targetE0EEEvSK_.has_dyn_sized_stack, or(0, .L_ZN7rocprim17ROCPRIM_400000_NS6detail40segmented_radix_sort_single_block_helperIflLj256ELj17ELb0EE4sortIPKfPfPKlPlEEbT_T0_T1_T2_jjjjRNS3_12storage_typeE.has_dyn_sized_stack)
	.set _ZN7rocprim17ROCPRIM_400000_NS6detail17trampoline_kernelINS0_14default_configENS1_36segmented_radix_sort_config_selectorIflEEZNS1_25segmented_radix_sort_implIS3_Lb0EPKfPfPKlPlN2at6native12_GLOBAL__N_18offset_tEEE10hipError_tPvRmT1_PNSt15iterator_traitsISK_E10value_typeET2_T3_PNSL_ISQ_E10value_typeET4_jRbjT5_SW_jjP12ihipStream_tbEUlT_E_NS1_11comp_targetILNS1_3genE0ELNS1_11target_archE4294967295ELNS1_3gpuE0ELNS1_3repE0EEENS1_30default_config_static_selectorELNS0_4arch9wavefront6targetE0EEEvSK_.has_recursion, or(0, .L_ZN7rocprim17ROCPRIM_400000_NS6detail40segmented_radix_sort_single_block_helperIflLj256ELj17ELb0EE4sortIPKfPfPKlPlEEbT_T0_T1_T2_jjjjRNS3_12storage_typeE.has_recursion)
	.set _ZN7rocprim17ROCPRIM_400000_NS6detail17trampoline_kernelINS0_14default_configENS1_36segmented_radix_sort_config_selectorIflEEZNS1_25segmented_radix_sort_implIS3_Lb0EPKfPfPKlPlN2at6native12_GLOBAL__N_18offset_tEEE10hipError_tPvRmT1_PNSt15iterator_traitsISK_E10value_typeET2_T3_PNSL_ISQ_E10value_typeET4_jRbjT5_SW_jjP12ihipStream_tbEUlT_E_NS1_11comp_targetILNS1_3genE0ELNS1_11target_archE4294967295ELNS1_3gpuE0ELNS1_3repE0EEENS1_30default_config_static_selectorELNS0_4arch9wavefront6targetE0EEEvSK_.has_indirect_call, or(0, .L_ZN7rocprim17ROCPRIM_400000_NS6detail40segmented_radix_sort_single_block_helperIflLj256ELj17ELb0EE4sortIPKfPfPKlPlEEbT_T0_T1_T2_jjjjRNS3_12storage_typeE.has_indirect_call)
	.section	.AMDGPU.csdata,"",@progbits
; Kernel info:
; codeLenInByte = 79540
; TotalNumSgprs: 64
; NumVgprs: 320
; ScratchSize: 0
; MemoryBound: 0
; FloatMode: 240
; IeeeMode: 1
; LDSByteSize: 35344 bytes/workgroup (compile time only)
; SGPRBlocks: 0
; VGPRBlocks: 19
; NumSGPRsForWavesPerEU: 64
; NumVGPRsForWavesPerEU: 320
; NamedBarCnt: 0
; Occupancy: 3
; WaveLimiterHint : 1
; COMPUTE_PGM_RSRC2:SCRATCH_EN: 0
; COMPUTE_PGM_RSRC2:USER_SGPR: 4
; COMPUTE_PGM_RSRC2:TRAP_HANDLER: 0
; COMPUTE_PGM_RSRC2:TGID_X_EN: 1
; COMPUTE_PGM_RSRC2:TGID_Y_EN: 1
; COMPUTE_PGM_RSRC2:TGID_Z_EN: 0
; COMPUTE_PGM_RSRC2:TIDIG_COMP_CNT: 2
	.section	.text._ZN7rocprim17ROCPRIM_400000_NS6detail17trampoline_kernelINS0_14default_configENS1_36segmented_radix_sort_config_selectorIflEEZNS1_25segmented_radix_sort_implIS3_Lb0EPKfPfPKlPlN2at6native12_GLOBAL__N_18offset_tEEE10hipError_tPvRmT1_PNSt15iterator_traitsISK_E10value_typeET2_T3_PNSL_ISQ_E10value_typeET4_jRbjT5_SW_jjP12ihipStream_tbEUlT_E_NS1_11comp_targetILNS1_3genE5ELNS1_11target_archE942ELNS1_3gpuE9ELNS1_3repE0EEENS1_30default_config_static_selectorELNS0_4arch9wavefront6targetE0EEEvSK_,"axG",@progbits,_ZN7rocprim17ROCPRIM_400000_NS6detail17trampoline_kernelINS0_14default_configENS1_36segmented_radix_sort_config_selectorIflEEZNS1_25segmented_radix_sort_implIS3_Lb0EPKfPfPKlPlN2at6native12_GLOBAL__N_18offset_tEEE10hipError_tPvRmT1_PNSt15iterator_traitsISK_E10value_typeET2_T3_PNSL_ISQ_E10value_typeET4_jRbjT5_SW_jjP12ihipStream_tbEUlT_E_NS1_11comp_targetILNS1_3genE5ELNS1_11target_archE942ELNS1_3gpuE9ELNS1_3repE0EEENS1_30default_config_static_selectorELNS0_4arch9wavefront6targetE0EEEvSK_,comdat
	.globl	_ZN7rocprim17ROCPRIM_400000_NS6detail17trampoline_kernelINS0_14default_configENS1_36segmented_radix_sort_config_selectorIflEEZNS1_25segmented_radix_sort_implIS3_Lb0EPKfPfPKlPlN2at6native12_GLOBAL__N_18offset_tEEE10hipError_tPvRmT1_PNSt15iterator_traitsISK_E10value_typeET2_T3_PNSL_ISQ_E10value_typeET4_jRbjT5_SW_jjP12ihipStream_tbEUlT_E_NS1_11comp_targetILNS1_3genE5ELNS1_11target_archE942ELNS1_3gpuE9ELNS1_3repE0EEENS1_30default_config_static_selectorELNS0_4arch9wavefront6targetE0EEEvSK_ ; -- Begin function _ZN7rocprim17ROCPRIM_400000_NS6detail17trampoline_kernelINS0_14default_configENS1_36segmented_radix_sort_config_selectorIflEEZNS1_25segmented_radix_sort_implIS3_Lb0EPKfPfPKlPlN2at6native12_GLOBAL__N_18offset_tEEE10hipError_tPvRmT1_PNSt15iterator_traitsISK_E10value_typeET2_T3_PNSL_ISQ_E10value_typeET4_jRbjT5_SW_jjP12ihipStream_tbEUlT_E_NS1_11comp_targetILNS1_3genE5ELNS1_11target_archE942ELNS1_3gpuE9ELNS1_3repE0EEENS1_30default_config_static_selectorELNS0_4arch9wavefront6targetE0EEEvSK_
	.p2align	8
	.type	_ZN7rocprim17ROCPRIM_400000_NS6detail17trampoline_kernelINS0_14default_configENS1_36segmented_radix_sort_config_selectorIflEEZNS1_25segmented_radix_sort_implIS3_Lb0EPKfPfPKlPlN2at6native12_GLOBAL__N_18offset_tEEE10hipError_tPvRmT1_PNSt15iterator_traitsISK_E10value_typeET2_T3_PNSL_ISQ_E10value_typeET4_jRbjT5_SW_jjP12ihipStream_tbEUlT_E_NS1_11comp_targetILNS1_3genE5ELNS1_11target_archE942ELNS1_3gpuE9ELNS1_3repE0EEENS1_30default_config_static_selectorELNS0_4arch9wavefront6targetE0EEEvSK_,@function
_ZN7rocprim17ROCPRIM_400000_NS6detail17trampoline_kernelINS0_14default_configENS1_36segmented_radix_sort_config_selectorIflEEZNS1_25segmented_radix_sort_implIS3_Lb0EPKfPfPKlPlN2at6native12_GLOBAL__N_18offset_tEEE10hipError_tPvRmT1_PNSt15iterator_traitsISK_E10value_typeET2_T3_PNSL_ISQ_E10value_typeET4_jRbjT5_SW_jjP12ihipStream_tbEUlT_E_NS1_11comp_targetILNS1_3genE5ELNS1_11target_archE942ELNS1_3gpuE9ELNS1_3repE0EEENS1_30default_config_static_selectorELNS0_4arch9wavefront6targetE0EEEvSK_: ; @_ZN7rocprim17ROCPRIM_400000_NS6detail17trampoline_kernelINS0_14default_configENS1_36segmented_radix_sort_config_selectorIflEEZNS1_25segmented_radix_sort_implIS3_Lb0EPKfPfPKlPlN2at6native12_GLOBAL__N_18offset_tEEE10hipError_tPvRmT1_PNSt15iterator_traitsISK_E10value_typeET2_T3_PNSL_ISQ_E10value_typeET4_jRbjT5_SW_jjP12ihipStream_tbEUlT_E_NS1_11comp_targetILNS1_3genE5ELNS1_11target_archE942ELNS1_3gpuE9ELNS1_3repE0EEENS1_30default_config_static_selectorELNS0_4arch9wavefront6targetE0EEEvSK_
; %bb.0:
	.section	.rodata,"a",@progbits
	.p2align	6, 0x0
	.amdhsa_kernel _ZN7rocprim17ROCPRIM_400000_NS6detail17trampoline_kernelINS0_14default_configENS1_36segmented_radix_sort_config_selectorIflEEZNS1_25segmented_radix_sort_implIS3_Lb0EPKfPfPKlPlN2at6native12_GLOBAL__N_18offset_tEEE10hipError_tPvRmT1_PNSt15iterator_traitsISK_E10value_typeET2_T3_PNSL_ISQ_E10value_typeET4_jRbjT5_SW_jjP12ihipStream_tbEUlT_E_NS1_11comp_targetILNS1_3genE5ELNS1_11target_archE942ELNS1_3gpuE9ELNS1_3repE0EEENS1_30default_config_static_selectorELNS0_4arch9wavefront6targetE0EEEvSK_
		.amdhsa_group_segment_fixed_size 0
		.amdhsa_private_segment_fixed_size 0
		.amdhsa_kernarg_size 96
		.amdhsa_user_sgpr_count 2
		.amdhsa_user_sgpr_dispatch_ptr 0
		.amdhsa_user_sgpr_queue_ptr 0
		.amdhsa_user_sgpr_kernarg_segment_ptr 1
		.amdhsa_user_sgpr_dispatch_id 0
		.amdhsa_user_sgpr_kernarg_preload_length 0
		.amdhsa_user_sgpr_kernarg_preload_offset 0
		.amdhsa_user_sgpr_private_segment_size 0
		.amdhsa_wavefront_size32 1
		.amdhsa_uses_dynamic_stack 0
		.amdhsa_enable_private_segment 0
		.amdhsa_system_sgpr_workgroup_id_x 1
		.amdhsa_system_sgpr_workgroup_id_y 0
		.amdhsa_system_sgpr_workgroup_id_z 0
		.amdhsa_system_sgpr_workgroup_info 0
		.amdhsa_system_vgpr_workitem_id 0
		.amdhsa_next_free_vgpr 1
		.amdhsa_next_free_sgpr 1
		.amdhsa_named_barrier_count 0
		.amdhsa_reserve_vcc 0
		.amdhsa_float_round_mode_32 0
		.amdhsa_float_round_mode_16_64 0
		.amdhsa_float_denorm_mode_32 3
		.amdhsa_float_denorm_mode_16_64 3
		.amdhsa_fp16_overflow 0
		.amdhsa_memory_ordered 1
		.amdhsa_forward_progress 1
		.amdhsa_inst_pref_size 0
		.amdhsa_round_robin_scheduling 0
		.amdhsa_exception_fp_ieee_invalid_op 0
		.amdhsa_exception_fp_denorm_src 0
		.amdhsa_exception_fp_ieee_div_zero 0
		.amdhsa_exception_fp_ieee_overflow 0
		.amdhsa_exception_fp_ieee_underflow 0
		.amdhsa_exception_fp_ieee_inexact 0
		.amdhsa_exception_int_div_zero 0
	.end_amdhsa_kernel
	.section	.text._ZN7rocprim17ROCPRIM_400000_NS6detail17trampoline_kernelINS0_14default_configENS1_36segmented_radix_sort_config_selectorIflEEZNS1_25segmented_radix_sort_implIS3_Lb0EPKfPfPKlPlN2at6native12_GLOBAL__N_18offset_tEEE10hipError_tPvRmT1_PNSt15iterator_traitsISK_E10value_typeET2_T3_PNSL_ISQ_E10value_typeET4_jRbjT5_SW_jjP12ihipStream_tbEUlT_E_NS1_11comp_targetILNS1_3genE5ELNS1_11target_archE942ELNS1_3gpuE9ELNS1_3repE0EEENS1_30default_config_static_selectorELNS0_4arch9wavefront6targetE0EEEvSK_,"axG",@progbits,_ZN7rocprim17ROCPRIM_400000_NS6detail17trampoline_kernelINS0_14default_configENS1_36segmented_radix_sort_config_selectorIflEEZNS1_25segmented_radix_sort_implIS3_Lb0EPKfPfPKlPlN2at6native12_GLOBAL__N_18offset_tEEE10hipError_tPvRmT1_PNSt15iterator_traitsISK_E10value_typeET2_T3_PNSL_ISQ_E10value_typeET4_jRbjT5_SW_jjP12ihipStream_tbEUlT_E_NS1_11comp_targetILNS1_3genE5ELNS1_11target_archE942ELNS1_3gpuE9ELNS1_3repE0EEENS1_30default_config_static_selectorELNS0_4arch9wavefront6targetE0EEEvSK_,comdat
.Lfunc_end1423:
	.size	_ZN7rocprim17ROCPRIM_400000_NS6detail17trampoline_kernelINS0_14default_configENS1_36segmented_radix_sort_config_selectorIflEEZNS1_25segmented_radix_sort_implIS3_Lb0EPKfPfPKlPlN2at6native12_GLOBAL__N_18offset_tEEE10hipError_tPvRmT1_PNSt15iterator_traitsISK_E10value_typeET2_T3_PNSL_ISQ_E10value_typeET4_jRbjT5_SW_jjP12ihipStream_tbEUlT_E_NS1_11comp_targetILNS1_3genE5ELNS1_11target_archE942ELNS1_3gpuE9ELNS1_3repE0EEENS1_30default_config_static_selectorELNS0_4arch9wavefront6targetE0EEEvSK_, .Lfunc_end1423-_ZN7rocprim17ROCPRIM_400000_NS6detail17trampoline_kernelINS0_14default_configENS1_36segmented_radix_sort_config_selectorIflEEZNS1_25segmented_radix_sort_implIS3_Lb0EPKfPfPKlPlN2at6native12_GLOBAL__N_18offset_tEEE10hipError_tPvRmT1_PNSt15iterator_traitsISK_E10value_typeET2_T3_PNSL_ISQ_E10value_typeET4_jRbjT5_SW_jjP12ihipStream_tbEUlT_E_NS1_11comp_targetILNS1_3genE5ELNS1_11target_archE942ELNS1_3gpuE9ELNS1_3repE0EEENS1_30default_config_static_selectorELNS0_4arch9wavefront6targetE0EEEvSK_
                                        ; -- End function
	.set _ZN7rocprim17ROCPRIM_400000_NS6detail17trampoline_kernelINS0_14default_configENS1_36segmented_radix_sort_config_selectorIflEEZNS1_25segmented_radix_sort_implIS3_Lb0EPKfPfPKlPlN2at6native12_GLOBAL__N_18offset_tEEE10hipError_tPvRmT1_PNSt15iterator_traitsISK_E10value_typeET2_T3_PNSL_ISQ_E10value_typeET4_jRbjT5_SW_jjP12ihipStream_tbEUlT_E_NS1_11comp_targetILNS1_3genE5ELNS1_11target_archE942ELNS1_3gpuE9ELNS1_3repE0EEENS1_30default_config_static_selectorELNS0_4arch9wavefront6targetE0EEEvSK_.num_vgpr, 0
	.set _ZN7rocprim17ROCPRIM_400000_NS6detail17trampoline_kernelINS0_14default_configENS1_36segmented_radix_sort_config_selectorIflEEZNS1_25segmented_radix_sort_implIS3_Lb0EPKfPfPKlPlN2at6native12_GLOBAL__N_18offset_tEEE10hipError_tPvRmT1_PNSt15iterator_traitsISK_E10value_typeET2_T3_PNSL_ISQ_E10value_typeET4_jRbjT5_SW_jjP12ihipStream_tbEUlT_E_NS1_11comp_targetILNS1_3genE5ELNS1_11target_archE942ELNS1_3gpuE9ELNS1_3repE0EEENS1_30default_config_static_selectorELNS0_4arch9wavefront6targetE0EEEvSK_.num_agpr, 0
	.set _ZN7rocprim17ROCPRIM_400000_NS6detail17trampoline_kernelINS0_14default_configENS1_36segmented_radix_sort_config_selectorIflEEZNS1_25segmented_radix_sort_implIS3_Lb0EPKfPfPKlPlN2at6native12_GLOBAL__N_18offset_tEEE10hipError_tPvRmT1_PNSt15iterator_traitsISK_E10value_typeET2_T3_PNSL_ISQ_E10value_typeET4_jRbjT5_SW_jjP12ihipStream_tbEUlT_E_NS1_11comp_targetILNS1_3genE5ELNS1_11target_archE942ELNS1_3gpuE9ELNS1_3repE0EEENS1_30default_config_static_selectorELNS0_4arch9wavefront6targetE0EEEvSK_.numbered_sgpr, 0
	.set _ZN7rocprim17ROCPRIM_400000_NS6detail17trampoline_kernelINS0_14default_configENS1_36segmented_radix_sort_config_selectorIflEEZNS1_25segmented_radix_sort_implIS3_Lb0EPKfPfPKlPlN2at6native12_GLOBAL__N_18offset_tEEE10hipError_tPvRmT1_PNSt15iterator_traitsISK_E10value_typeET2_T3_PNSL_ISQ_E10value_typeET4_jRbjT5_SW_jjP12ihipStream_tbEUlT_E_NS1_11comp_targetILNS1_3genE5ELNS1_11target_archE942ELNS1_3gpuE9ELNS1_3repE0EEENS1_30default_config_static_selectorELNS0_4arch9wavefront6targetE0EEEvSK_.num_named_barrier, 0
	.set _ZN7rocprim17ROCPRIM_400000_NS6detail17trampoline_kernelINS0_14default_configENS1_36segmented_radix_sort_config_selectorIflEEZNS1_25segmented_radix_sort_implIS3_Lb0EPKfPfPKlPlN2at6native12_GLOBAL__N_18offset_tEEE10hipError_tPvRmT1_PNSt15iterator_traitsISK_E10value_typeET2_T3_PNSL_ISQ_E10value_typeET4_jRbjT5_SW_jjP12ihipStream_tbEUlT_E_NS1_11comp_targetILNS1_3genE5ELNS1_11target_archE942ELNS1_3gpuE9ELNS1_3repE0EEENS1_30default_config_static_selectorELNS0_4arch9wavefront6targetE0EEEvSK_.private_seg_size, 0
	.set _ZN7rocprim17ROCPRIM_400000_NS6detail17trampoline_kernelINS0_14default_configENS1_36segmented_radix_sort_config_selectorIflEEZNS1_25segmented_radix_sort_implIS3_Lb0EPKfPfPKlPlN2at6native12_GLOBAL__N_18offset_tEEE10hipError_tPvRmT1_PNSt15iterator_traitsISK_E10value_typeET2_T3_PNSL_ISQ_E10value_typeET4_jRbjT5_SW_jjP12ihipStream_tbEUlT_E_NS1_11comp_targetILNS1_3genE5ELNS1_11target_archE942ELNS1_3gpuE9ELNS1_3repE0EEENS1_30default_config_static_selectorELNS0_4arch9wavefront6targetE0EEEvSK_.uses_vcc, 0
	.set _ZN7rocprim17ROCPRIM_400000_NS6detail17trampoline_kernelINS0_14default_configENS1_36segmented_radix_sort_config_selectorIflEEZNS1_25segmented_radix_sort_implIS3_Lb0EPKfPfPKlPlN2at6native12_GLOBAL__N_18offset_tEEE10hipError_tPvRmT1_PNSt15iterator_traitsISK_E10value_typeET2_T3_PNSL_ISQ_E10value_typeET4_jRbjT5_SW_jjP12ihipStream_tbEUlT_E_NS1_11comp_targetILNS1_3genE5ELNS1_11target_archE942ELNS1_3gpuE9ELNS1_3repE0EEENS1_30default_config_static_selectorELNS0_4arch9wavefront6targetE0EEEvSK_.uses_flat_scratch, 0
	.set _ZN7rocprim17ROCPRIM_400000_NS6detail17trampoline_kernelINS0_14default_configENS1_36segmented_radix_sort_config_selectorIflEEZNS1_25segmented_radix_sort_implIS3_Lb0EPKfPfPKlPlN2at6native12_GLOBAL__N_18offset_tEEE10hipError_tPvRmT1_PNSt15iterator_traitsISK_E10value_typeET2_T3_PNSL_ISQ_E10value_typeET4_jRbjT5_SW_jjP12ihipStream_tbEUlT_E_NS1_11comp_targetILNS1_3genE5ELNS1_11target_archE942ELNS1_3gpuE9ELNS1_3repE0EEENS1_30default_config_static_selectorELNS0_4arch9wavefront6targetE0EEEvSK_.has_dyn_sized_stack, 0
	.set _ZN7rocprim17ROCPRIM_400000_NS6detail17trampoline_kernelINS0_14default_configENS1_36segmented_radix_sort_config_selectorIflEEZNS1_25segmented_radix_sort_implIS3_Lb0EPKfPfPKlPlN2at6native12_GLOBAL__N_18offset_tEEE10hipError_tPvRmT1_PNSt15iterator_traitsISK_E10value_typeET2_T3_PNSL_ISQ_E10value_typeET4_jRbjT5_SW_jjP12ihipStream_tbEUlT_E_NS1_11comp_targetILNS1_3genE5ELNS1_11target_archE942ELNS1_3gpuE9ELNS1_3repE0EEENS1_30default_config_static_selectorELNS0_4arch9wavefront6targetE0EEEvSK_.has_recursion, 0
	.set _ZN7rocprim17ROCPRIM_400000_NS6detail17trampoline_kernelINS0_14default_configENS1_36segmented_radix_sort_config_selectorIflEEZNS1_25segmented_radix_sort_implIS3_Lb0EPKfPfPKlPlN2at6native12_GLOBAL__N_18offset_tEEE10hipError_tPvRmT1_PNSt15iterator_traitsISK_E10value_typeET2_T3_PNSL_ISQ_E10value_typeET4_jRbjT5_SW_jjP12ihipStream_tbEUlT_E_NS1_11comp_targetILNS1_3genE5ELNS1_11target_archE942ELNS1_3gpuE9ELNS1_3repE0EEENS1_30default_config_static_selectorELNS0_4arch9wavefront6targetE0EEEvSK_.has_indirect_call, 0
	.section	.AMDGPU.csdata,"",@progbits
; Kernel info:
; codeLenInByte = 0
; TotalNumSgprs: 0
; NumVgprs: 0
; ScratchSize: 0
; MemoryBound: 0
; FloatMode: 240
; IeeeMode: 1
; LDSByteSize: 0 bytes/workgroup (compile time only)
; SGPRBlocks: 0
; VGPRBlocks: 0
; NumSGPRsForWavesPerEU: 1
; NumVGPRsForWavesPerEU: 1
; NamedBarCnt: 0
; Occupancy: 16
; WaveLimiterHint : 0
; COMPUTE_PGM_RSRC2:SCRATCH_EN: 0
; COMPUTE_PGM_RSRC2:USER_SGPR: 2
; COMPUTE_PGM_RSRC2:TRAP_HANDLER: 0
; COMPUTE_PGM_RSRC2:TGID_X_EN: 1
; COMPUTE_PGM_RSRC2:TGID_Y_EN: 0
; COMPUTE_PGM_RSRC2:TGID_Z_EN: 0
; COMPUTE_PGM_RSRC2:TIDIG_COMP_CNT: 0
	.section	.text._ZN7rocprim17ROCPRIM_400000_NS6detail17trampoline_kernelINS0_14default_configENS1_36segmented_radix_sort_config_selectorIflEEZNS1_25segmented_radix_sort_implIS3_Lb0EPKfPfPKlPlN2at6native12_GLOBAL__N_18offset_tEEE10hipError_tPvRmT1_PNSt15iterator_traitsISK_E10value_typeET2_T3_PNSL_ISQ_E10value_typeET4_jRbjT5_SW_jjP12ihipStream_tbEUlT_E_NS1_11comp_targetILNS1_3genE4ELNS1_11target_archE910ELNS1_3gpuE8ELNS1_3repE0EEENS1_30default_config_static_selectorELNS0_4arch9wavefront6targetE0EEEvSK_,"axG",@progbits,_ZN7rocprim17ROCPRIM_400000_NS6detail17trampoline_kernelINS0_14default_configENS1_36segmented_radix_sort_config_selectorIflEEZNS1_25segmented_radix_sort_implIS3_Lb0EPKfPfPKlPlN2at6native12_GLOBAL__N_18offset_tEEE10hipError_tPvRmT1_PNSt15iterator_traitsISK_E10value_typeET2_T3_PNSL_ISQ_E10value_typeET4_jRbjT5_SW_jjP12ihipStream_tbEUlT_E_NS1_11comp_targetILNS1_3genE4ELNS1_11target_archE910ELNS1_3gpuE8ELNS1_3repE0EEENS1_30default_config_static_selectorELNS0_4arch9wavefront6targetE0EEEvSK_,comdat
	.globl	_ZN7rocprim17ROCPRIM_400000_NS6detail17trampoline_kernelINS0_14default_configENS1_36segmented_radix_sort_config_selectorIflEEZNS1_25segmented_radix_sort_implIS3_Lb0EPKfPfPKlPlN2at6native12_GLOBAL__N_18offset_tEEE10hipError_tPvRmT1_PNSt15iterator_traitsISK_E10value_typeET2_T3_PNSL_ISQ_E10value_typeET4_jRbjT5_SW_jjP12ihipStream_tbEUlT_E_NS1_11comp_targetILNS1_3genE4ELNS1_11target_archE910ELNS1_3gpuE8ELNS1_3repE0EEENS1_30default_config_static_selectorELNS0_4arch9wavefront6targetE0EEEvSK_ ; -- Begin function _ZN7rocprim17ROCPRIM_400000_NS6detail17trampoline_kernelINS0_14default_configENS1_36segmented_radix_sort_config_selectorIflEEZNS1_25segmented_radix_sort_implIS3_Lb0EPKfPfPKlPlN2at6native12_GLOBAL__N_18offset_tEEE10hipError_tPvRmT1_PNSt15iterator_traitsISK_E10value_typeET2_T3_PNSL_ISQ_E10value_typeET4_jRbjT5_SW_jjP12ihipStream_tbEUlT_E_NS1_11comp_targetILNS1_3genE4ELNS1_11target_archE910ELNS1_3gpuE8ELNS1_3repE0EEENS1_30default_config_static_selectorELNS0_4arch9wavefront6targetE0EEEvSK_
	.p2align	8
	.type	_ZN7rocprim17ROCPRIM_400000_NS6detail17trampoline_kernelINS0_14default_configENS1_36segmented_radix_sort_config_selectorIflEEZNS1_25segmented_radix_sort_implIS3_Lb0EPKfPfPKlPlN2at6native12_GLOBAL__N_18offset_tEEE10hipError_tPvRmT1_PNSt15iterator_traitsISK_E10value_typeET2_T3_PNSL_ISQ_E10value_typeET4_jRbjT5_SW_jjP12ihipStream_tbEUlT_E_NS1_11comp_targetILNS1_3genE4ELNS1_11target_archE910ELNS1_3gpuE8ELNS1_3repE0EEENS1_30default_config_static_selectorELNS0_4arch9wavefront6targetE0EEEvSK_,@function
_ZN7rocprim17ROCPRIM_400000_NS6detail17trampoline_kernelINS0_14default_configENS1_36segmented_radix_sort_config_selectorIflEEZNS1_25segmented_radix_sort_implIS3_Lb0EPKfPfPKlPlN2at6native12_GLOBAL__N_18offset_tEEE10hipError_tPvRmT1_PNSt15iterator_traitsISK_E10value_typeET2_T3_PNSL_ISQ_E10value_typeET4_jRbjT5_SW_jjP12ihipStream_tbEUlT_E_NS1_11comp_targetILNS1_3genE4ELNS1_11target_archE910ELNS1_3gpuE8ELNS1_3repE0EEENS1_30default_config_static_selectorELNS0_4arch9wavefront6targetE0EEEvSK_: ; @_ZN7rocprim17ROCPRIM_400000_NS6detail17trampoline_kernelINS0_14default_configENS1_36segmented_radix_sort_config_selectorIflEEZNS1_25segmented_radix_sort_implIS3_Lb0EPKfPfPKlPlN2at6native12_GLOBAL__N_18offset_tEEE10hipError_tPvRmT1_PNSt15iterator_traitsISK_E10value_typeET2_T3_PNSL_ISQ_E10value_typeET4_jRbjT5_SW_jjP12ihipStream_tbEUlT_E_NS1_11comp_targetILNS1_3genE4ELNS1_11target_archE910ELNS1_3gpuE8ELNS1_3repE0EEENS1_30default_config_static_selectorELNS0_4arch9wavefront6targetE0EEEvSK_
; %bb.0:
	.section	.rodata,"a",@progbits
	.p2align	6, 0x0
	.amdhsa_kernel _ZN7rocprim17ROCPRIM_400000_NS6detail17trampoline_kernelINS0_14default_configENS1_36segmented_radix_sort_config_selectorIflEEZNS1_25segmented_radix_sort_implIS3_Lb0EPKfPfPKlPlN2at6native12_GLOBAL__N_18offset_tEEE10hipError_tPvRmT1_PNSt15iterator_traitsISK_E10value_typeET2_T3_PNSL_ISQ_E10value_typeET4_jRbjT5_SW_jjP12ihipStream_tbEUlT_E_NS1_11comp_targetILNS1_3genE4ELNS1_11target_archE910ELNS1_3gpuE8ELNS1_3repE0EEENS1_30default_config_static_selectorELNS0_4arch9wavefront6targetE0EEEvSK_
		.amdhsa_group_segment_fixed_size 0
		.amdhsa_private_segment_fixed_size 0
		.amdhsa_kernarg_size 96
		.amdhsa_user_sgpr_count 2
		.amdhsa_user_sgpr_dispatch_ptr 0
		.amdhsa_user_sgpr_queue_ptr 0
		.amdhsa_user_sgpr_kernarg_segment_ptr 1
		.amdhsa_user_sgpr_dispatch_id 0
		.amdhsa_user_sgpr_kernarg_preload_length 0
		.amdhsa_user_sgpr_kernarg_preload_offset 0
		.amdhsa_user_sgpr_private_segment_size 0
		.amdhsa_wavefront_size32 1
		.amdhsa_uses_dynamic_stack 0
		.amdhsa_enable_private_segment 0
		.amdhsa_system_sgpr_workgroup_id_x 1
		.amdhsa_system_sgpr_workgroup_id_y 0
		.amdhsa_system_sgpr_workgroup_id_z 0
		.amdhsa_system_sgpr_workgroup_info 0
		.amdhsa_system_vgpr_workitem_id 0
		.amdhsa_next_free_vgpr 1
		.amdhsa_next_free_sgpr 1
		.amdhsa_named_barrier_count 0
		.amdhsa_reserve_vcc 0
		.amdhsa_float_round_mode_32 0
		.amdhsa_float_round_mode_16_64 0
		.amdhsa_float_denorm_mode_32 3
		.amdhsa_float_denorm_mode_16_64 3
		.amdhsa_fp16_overflow 0
		.amdhsa_memory_ordered 1
		.amdhsa_forward_progress 1
		.amdhsa_inst_pref_size 0
		.amdhsa_round_robin_scheduling 0
		.amdhsa_exception_fp_ieee_invalid_op 0
		.amdhsa_exception_fp_denorm_src 0
		.amdhsa_exception_fp_ieee_div_zero 0
		.amdhsa_exception_fp_ieee_overflow 0
		.amdhsa_exception_fp_ieee_underflow 0
		.amdhsa_exception_fp_ieee_inexact 0
		.amdhsa_exception_int_div_zero 0
	.end_amdhsa_kernel
	.section	.text._ZN7rocprim17ROCPRIM_400000_NS6detail17trampoline_kernelINS0_14default_configENS1_36segmented_radix_sort_config_selectorIflEEZNS1_25segmented_radix_sort_implIS3_Lb0EPKfPfPKlPlN2at6native12_GLOBAL__N_18offset_tEEE10hipError_tPvRmT1_PNSt15iterator_traitsISK_E10value_typeET2_T3_PNSL_ISQ_E10value_typeET4_jRbjT5_SW_jjP12ihipStream_tbEUlT_E_NS1_11comp_targetILNS1_3genE4ELNS1_11target_archE910ELNS1_3gpuE8ELNS1_3repE0EEENS1_30default_config_static_selectorELNS0_4arch9wavefront6targetE0EEEvSK_,"axG",@progbits,_ZN7rocprim17ROCPRIM_400000_NS6detail17trampoline_kernelINS0_14default_configENS1_36segmented_radix_sort_config_selectorIflEEZNS1_25segmented_radix_sort_implIS3_Lb0EPKfPfPKlPlN2at6native12_GLOBAL__N_18offset_tEEE10hipError_tPvRmT1_PNSt15iterator_traitsISK_E10value_typeET2_T3_PNSL_ISQ_E10value_typeET4_jRbjT5_SW_jjP12ihipStream_tbEUlT_E_NS1_11comp_targetILNS1_3genE4ELNS1_11target_archE910ELNS1_3gpuE8ELNS1_3repE0EEENS1_30default_config_static_selectorELNS0_4arch9wavefront6targetE0EEEvSK_,comdat
.Lfunc_end1424:
	.size	_ZN7rocprim17ROCPRIM_400000_NS6detail17trampoline_kernelINS0_14default_configENS1_36segmented_radix_sort_config_selectorIflEEZNS1_25segmented_radix_sort_implIS3_Lb0EPKfPfPKlPlN2at6native12_GLOBAL__N_18offset_tEEE10hipError_tPvRmT1_PNSt15iterator_traitsISK_E10value_typeET2_T3_PNSL_ISQ_E10value_typeET4_jRbjT5_SW_jjP12ihipStream_tbEUlT_E_NS1_11comp_targetILNS1_3genE4ELNS1_11target_archE910ELNS1_3gpuE8ELNS1_3repE0EEENS1_30default_config_static_selectorELNS0_4arch9wavefront6targetE0EEEvSK_, .Lfunc_end1424-_ZN7rocprim17ROCPRIM_400000_NS6detail17trampoline_kernelINS0_14default_configENS1_36segmented_radix_sort_config_selectorIflEEZNS1_25segmented_radix_sort_implIS3_Lb0EPKfPfPKlPlN2at6native12_GLOBAL__N_18offset_tEEE10hipError_tPvRmT1_PNSt15iterator_traitsISK_E10value_typeET2_T3_PNSL_ISQ_E10value_typeET4_jRbjT5_SW_jjP12ihipStream_tbEUlT_E_NS1_11comp_targetILNS1_3genE4ELNS1_11target_archE910ELNS1_3gpuE8ELNS1_3repE0EEENS1_30default_config_static_selectorELNS0_4arch9wavefront6targetE0EEEvSK_
                                        ; -- End function
	.set _ZN7rocprim17ROCPRIM_400000_NS6detail17trampoline_kernelINS0_14default_configENS1_36segmented_radix_sort_config_selectorIflEEZNS1_25segmented_radix_sort_implIS3_Lb0EPKfPfPKlPlN2at6native12_GLOBAL__N_18offset_tEEE10hipError_tPvRmT1_PNSt15iterator_traitsISK_E10value_typeET2_T3_PNSL_ISQ_E10value_typeET4_jRbjT5_SW_jjP12ihipStream_tbEUlT_E_NS1_11comp_targetILNS1_3genE4ELNS1_11target_archE910ELNS1_3gpuE8ELNS1_3repE0EEENS1_30default_config_static_selectorELNS0_4arch9wavefront6targetE0EEEvSK_.num_vgpr, 0
	.set _ZN7rocprim17ROCPRIM_400000_NS6detail17trampoline_kernelINS0_14default_configENS1_36segmented_radix_sort_config_selectorIflEEZNS1_25segmented_radix_sort_implIS3_Lb0EPKfPfPKlPlN2at6native12_GLOBAL__N_18offset_tEEE10hipError_tPvRmT1_PNSt15iterator_traitsISK_E10value_typeET2_T3_PNSL_ISQ_E10value_typeET4_jRbjT5_SW_jjP12ihipStream_tbEUlT_E_NS1_11comp_targetILNS1_3genE4ELNS1_11target_archE910ELNS1_3gpuE8ELNS1_3repE0EEENS1_30default_config_static_selectorELNS0_4arch9wavefront6targetE0EEEvSK_.num_agpr, 0
	.set _ZN7rocprim17ROCPRIM_400000_NS6detail17trampoline_kernelINS0_14default_configENS1_36segmented_radix_sort_config_selectorIflEEZNS1_25segmented_radix_sort_implIS3_Lb0EPKfPfPKlPlN2at6native12_GLOBAL__N_18offset_tEEE10hipError_tPvRmT1_PNSt15iterator_traitsISK_E10value_typeET2_T3_PNSL_ISQ_E10value_typeET4_jRbjT5_SW_jjP12ihipStream_tbEUlT_E_NS1_11comp_targetILNS1_3genE4ELNS1_11target_archE910ELNS1_3gpuE8ELNS1_3repE0EEENS1_30default_config_static_selectorELNS0_4arch9wavefront6targetE0EEEvSK_.numbered_sgpr, 0
	.set _ZN7rocprim17ROCPRIM_400000_NS6detail17trampoline_kernelINS0_14default_configENS1_36segmented_radix_sort_config_selectorIflEEZNS1_25segmented_radix_sort_implIS3_Lb0EPKfPfPKlPlN2at6native12_GLOBAL__N_18offset_tEEE10hipError_tPvRmT1_PNSt15iterator_traitsISK_E10value_typeET2_T3_PNSL_ISQ_E10value_typeET4_jRbjT5_SW_jjP12ihipStream_tbEUlT_E_NS1_11comp_targetILNS1_3genE4ELNS1_11target_archE910ELNS1_3gpuE8ELNS1_3repE0EEENS1_30default_config_static_selectorELNS0_4arch9wavefront6targetE0EEEvSK_.num_named_barrier, 0
	.set _ZN7rocprim17ROCPRIM_400000_NS6detail17trampoline_kernelINS0_14default_configENS1_36segmented_radix_sort_config_selectorIflEEZNS1_25segmented_radix_sort_implIS3_Lb0EPKfPfPKlPlN2at6native12_GLOBAL__N_18offset_tEEE10hipError_tPvRmT1_PNSt15iterator_traitsISK_E10value_typeET2_T3_PNSL_ISQ_E10value_typeET4_jRbjT5_SW_jjP12ihipStream_tbEUlT_E_NS1_11comp_targetILNS1_3genE4ELNS1_11target_archE910ELNS1_3gpuE8ELNS1_3repE0EEENS1_30default_config_static_selectorELNS0_4arch9wavefront6targetE0EEEvSK_.private_seg_size, 0
	.set _ZN7rocprim17ROCPRIM_400000_NS6detail17trampoline_kernelINS0_14default_configENS1_36segmented_radix_sort_config_selectorIflEEZNS1_25segmented_radix_sort_implIS3_Lb0EPKfPfPKlPlN2at6native12_GLOBAL__N_18offset_tEEE10hipError_tPvRmT1_PNSt15iterator_traitsISK_E10value_typeET2_T3_PNSL_ISQ_E10value_typeET4_jRbjT5_SW_jjP12ihipStream_tbEUlT_E_NS1_11comp_targetILNS1_3genE4ELNS1_11target_archE910ELNS1_3gpuE8ELNS1_3repE0EEENS1_30default_config_static_selectorELNS0_4arch9wavefront6targetE0EEEvSK_.uses_vcc, 0
	.set _ZN7rocprim17ROCPRIM_400000_NS6detail17trampoline_kernelINS0_14default_configENS1_36segmented_radix_sort_config_selectorIflEEZNS1_25segmented_radix_sort_implIS3_Lb0EPKfPfPKlPlN2at6native12_GLOBAL__N_18offset_tEEE10hipError_tPvRmT1_PNSt15iterator_traitsISK_E10value_typeET2_T3_PNSL_ISQ_E10value_typeET4_jRbjT5_SW_jjP12ihipStream_tbEUlT_E_NS1_11comp_targetILNS1_3genE4ELNS1_11target_archE910ELNS1_3gpuE8ELNS1_3repE0EEENS1_30default_config_static_selectorELNS0_4arch9wavefront6targetE0EEEvSK_.uses_flat_scratch, 0
	.set _ZN7rocprim17ROCPRIM_400000_NS6detail17trampoline_kernelINS0_14default_configENS1_36segmented_radix_sort_config_selectorIflEEZNS1_25segmented_radix_sort_implIS3_Lb0EPKfPfPKlPlN2at6native12_GLOBAL__N_18offset_tEEE10hipError_tPvRmT1_PNSt15iterator_traitsISK_E10value_typeET2_T3_PNSL_ISQ_E10value_typeET4_jRbjT5_SW_jjP12ihipStream_tbEUlT_E_NS1_11comp_targetILNS1_3genE4ELNS1_11target_archE910ELNS1_3gpuE8ELNS1_3repE0EEENS1_30default_config_static_selectorELNS0_4arch9wavefront6targetE0EEEvSK_.has_dyn_sized_stack, 0
	.set _ZN7rocprim17ROCPRIM_400000_NS6detail17trampoline_kernelINS0_14default_configENS1_36segmented_radix_sort_config_selectorIflEEZNS1_25segmented_radix_sort_implIS3_Lb0EPKfPfPKlPlN2at6native12_GLOBAL__N_18offset_tEEE10hipError_tPvRmT1_PNSt15iterator_traitsISK_E10value_typeET2_T3_PNSL_ISQ_E10value_typeET4_jRbjT5_SW_jjP12ihipStream_tbEUlT_E_NS1_11comp_targetILNS1_3genE4ELNS1_11target_archE910ELNS1_3gpuE8ELNS1_3repE0EEENS1_30default_config_static_selectorELNS0_4arch9wavefront6targetE0EEEvSK_.has_recursion, 0
	.set _ZN7rocprim17ROCPRIM_400000_NS6detail17trampoline_kernelINS0_14default_configENS1_36segmented_radix_sort_config_selectorIflEEZNS1_25segmented_radix_sort_implIS3_Lb0EPKfPfPKlPlN2at6native12_GLOBAL__N_18offset_tEEE10hipError_tPvRmT1_PNSt15iterator_traitsISK_E10value_typeET2_T3_PNSL_ISQ_E10value_typeET4_jRbjT5_SW_jjP12ihipStream_tbEUlT_E_NS1_11comp_targetILNS1_3genE4ELNS1_11target_archE910ELNS1_3gpuE8ELNS1_3repE0EEENS1_30default_config_static_selectorELNS0_4arch9wavefront6targetE0EEEvSK_.has_indirect_call, 0
	.section	.AMDGPU.csdata,"",@progbits
; Kernel info:
; codeLenInByte = 0
; TotalNumSgprs: 0
; NumVgprs: 0
; ScratchSize: 0
; MemoryBound: 0
; FloatMode: 240
; IeeeMode: 1
; LDSByteSize: 0 bytes/workgroup (compile time only)
; SGPRBlocks: 0
; VGPRBlocks: 0
; NumSGPRsForWavesPerEU: 1
; NumVGPRsForWavesPerEU: 1
; NamedBarCnt: 0
; Occupancy: 16
; WaveLimiterHint : 0
; COMPUTE_PGM_RSRC2:SCRATCH_EN: 0
; COMPUTE_PGM_RSRC2:USER_SGPR: 2
; COMPUTE_PGM_RSRC2:TRAP_HANDLER: 0
; COMPUTE_PGM_RSRC2:TGID_X_EN: 1
; COMPUTE_PGM_RSRC2:TGID_Y_EN: 0
; COMPUTE_PGM_RSRC2:TGID_Z_EN: 0
; COMPUTE_PGM_RSRC2:TIDIG_COMP_CNT: 0
	.section	.text._ZN7rocprim17ROCPRIM_400000_NS6detail17trampoline_kernelINS0_14default_configENS1_36segmented_radix_sort_config_selectorIflEEZNS1_25segmented_radix_sort_implIS3_Lb0EPKfPfPKlPlN2at6native12_GLOBAL__N_18offset_tEEE10hipError_tPvRmT1_PNSt15iterator_traitsISK_E10value_typeET2_T3_PNSL_ISQ_E10value_typeET4_jRbjT5_SW_jjP12ihipStream_tbEUlT_E_NS1_11comp_targetILNS1_3genE3ELNS1_11target_archE908ELNS1_3gpuE7ELNS1_3repE0EEENS1_30default_config_static_selectorELNS0_4arch9wavefront6targetE0EEEvSK_,"axG",@progbits,_ZN7rocprim17ROCPRIM_400000_NS6detail17trampoline_kernelINS0_14default_configENS1_36segmented_radix_sort_config_selectorIflEEZNS1_25segmented_radix_sort_implIS3_Lb0EPKfPfPKlPlN2at6native12_GLOBAL__N_18offset_tEEE10hipError_tPvRmT1_PNSt15iterator_traitsISK_E10value_typeET2_T3_PNSL_ISQ_E10value_typeET4_jRbjT5_SW_jjP12ihipStream_tbEUlT_E_NS1_11comp_targetILNS1_3genE3ELNS1_11target_archE908ELNS1_3gpuE7ELNS1_3repE0EEENS1_30default_config_static_selectorELNS0_4arch9wavefront6targetE0EEEvSK_,comdat
	.globl	_ZN7rocprim17ROCPRIM_400000_NS6detail17trampoline_kernelINS0_14default_configENS1_36segmented_radix_sort_config_selectorIflEEZNS1_25segmented_radix_sort_implIS3_Lb0EPKfPfPKlPlN2at6native12_GLOBAL__N_18offset_tEEE10hipError_tPvRmT1_PNSt15iterator_traitsISK_E10value_typeET2_T3_PNSL_ISQ_E10value_typeET4_jRbjT5_SW_jjP12ihipStream_tbEUlT_E_NS1_11comp_targetILNS1_3genE3ELNS1_11target_archE908ELNS1_3gpuE7ELNS1_3repE0EEENS1_30default_config_static_selectorELNS0_4arch9wavefront6targetE0EEEvSK_ ; -- Begin function _ZN7rocprim17ROCPRIM_400000_NS6detail17trampoline_kernelINS0_14default_configENS1_36segmented_radix_sort_config_selectorIflEEZNS1_25segmented_radix_sort_implIS3_Lb0EPKfPfPKlPlN2at6native12_GLOBAL__N_18offset_tEEE10hipError_tPvRmT1_PNSt15iterator_traitsISK_E10value_typeET2_T3_PNSL_ISQ_E10value_typeET4_jRbjT5_SW_jjP12ihipStream_tbEUlT_E_NS1_11comp_targetILNS1_3genE3ELNS1_11target_archE908ELNS1_3gpuE7ELNS1_3repE0EEENS1_30default_config_static_selectorELNS0_4arch9wavefront6targetE0EEEvSK_
	.p2align	8
	.type	_ZN7rocprim17ROCPRIM_400000_NS6detail17trampoline_kernelINS0_14default_configENS1_36segmented_radix_sort_config_selectorIflEEZNS1_25segmented_radix_sort_implIS3_Lb0EPKfPfPKlPlN2at6native12_GLOBAL__N_18offset_tEEE10hipError_tPvRmT1_PNSt15iterator_traitsISK_E10value_typeET2_T3_PNSL_ISQ_E10value_typeET4_jRbjT5_SW_jjP12ihipStream_tbEUlT_E_NS1_11comp_targetILNS1_3genE3ELNS1_11target_archE908ELNS1_3gpuE7ELNS1_3repE0EEENS1_30default_config_static_selectorELNS0_4arch9wavefront6targetE0EEEvSK_,@function
_ZN7rocprim17ROCPRIM_400000_NS6detail17trampoline_kernelINS0_14default_configENS1_36segmented_radix_sort_config_selectorIflEEZNS1_25segmented_radix_sort_implIS3_Lb0EPKfPfPKlPlN2at6native12_GLOBAL__N_18offset_tEEE10hipError_tPvRmT1_PNSt15iterator_traitsISK_E10value_typeET2_T3_PNSL_ISQ_E10value_typeET4_jRbjT5_SW_jjP12ihipStream_tbEUlT_E_NS1_11comp_targetILNS1_3genE3ELNS1_11target_archE908ELNS1_3gpuE7ELNS1_3repE0EEENS1_30default_config_static_selectorELNS0_4arch9wavefront6targetE0EEEvSK_: ; @_ZN7rocprim17ROCPRIM_400000_NS6detail17trampoline_kernelINS0_14default_configENS1_36segmented_radix_sort_config_selectorIflEEZNS1_25segmented_radix_sort_implIS3_Lb0EPKfPfPKlPlN2at6native12_GLOBAL__N_18offset_tEEE10hipError_tPvRmT1_PNSt15iterator_traitsISK_E10value_typeET2_T3_PNSL_ISQ_E10value_typeET4_jRbjT5_SW_jjP12ihipStream_tbEUlT_E_NS1_11comp_targetILNS1_3genE3ELNS1_11target_archE908ELNS1_3gpuE7ELNS1_3repE0EEENS1_30default_config_static_selectorELNS0_4arch9wavefront6targetE0EEEvSK_
; %bb.0:
	.section	.rodata,"a",@progbits
	.p2align	6, 0x0
	.amdhsa_kernel _ZN7rocprim17ROCPRIM_400000_NS6detail17trampoline_kernelINS0_14default_configENS1_36segmented_radix_sort_config_selectorIflEEZNS1_25segmented_radix_sort_implIS3_Lb0EPKfPfPKlPlN2at6native12_GLOBAL__N_18offset_tEEE10hipError_tPvRmT1_PNSt15iterator_traitsISK_E10value_typeET2_T3_PNSL_ISQ_E10value_typeET4_jRbjT5_SW_jjP12ihipStream_tbEUlT_E_NS1_11comp_targetILNS1_3genE3ELNS1_11target_archE908ELNS1_3gpuE7ELNS1_3repE0EEENS1_30default_config_static_selectorELNS0_4arch9wavefront6targetE0EEEvSK_
		.amdhsa_group_segment_fixed_size 0
		.amdhsa_private_segment_fixed_size 0
		.amdhsa_kernarg_size 96
		.amdhsa_user_sgpr_count 2
		.amdhsa_user_sgpr_dispatch_ptr 0
		.amdhsa_user_sgpr_queue_ptr 0
		.amdhsa_user_sgpr_kernarg_segment_ptr 1
		.amdhsa_user_sgpr_dispatch_id 0
		.amdhsa_user_sgpr_kernarg_preload_length 0
		.amdhsa_user_sgpr_kernarg_preload_offset 0
		.amdhsa_user_sgpr_private_segment_size 0
		.amdhsa_wavefront_size32 1
		.amdhsa_uses_dynamic_stack 0
		.amdhsa_enable_private_segment 0
		.amdhsa_system_sgpr_workgroup_id_x 1
		.amdhsa_system_sgpr_workgroup_id_y 0
		.amdhsa_system_sgpr_workgroup_id_z 0
		.amdhsa_system_sgpr_workgroup_info 0
		.amdhsa_system_vgpr_workitem_id 0
		.amdhsa_next_free_vgpr 1
		.amdhsa_next_free_sgpr 1
		.amdhsa_named_barrier_count 0
		.amdhsa_reserve_vcc 0
		.amdhsa_float_round_mode_32 0
		.amdhsa_float_round_mode_16_64 0
		.amdhsa_float_denorm_mode_32 3
		.amdhsa_float_denorm_mode_16_64 3
		.amdhsa_fp16_overflow 0
		.amdhsa_memory_ordered 1
		.amdhsa_forward_progress 1
		.amdhsa_inst_pref_size 0
		.amdhsa_round_robin_scheduling 0
		.amdhsa_exception_fp_ieee_invalid_op 0
		.amdhsa_exception_fp_denorm_src 0
		.amdhsa_exception_fp_ieee_div_zero 0
		.amdhsa_exception_fp_ieee_overflow 0
		.amdhsa_exception_fp_ieee_underflow 0
		.amdhsa_exception_fp_ieee_inexact 0
		.amdhsa_exception_int_div_zero 0
	.end_amdhsa_kernel
	.section	.text._ZN7rocprim17ROCPRIM_400000_NS6detail17trampoline_kernelINS0_14default_configENS1_36segmented_radix_sort_config_selectorIflEEZNS1_25segmented_radix_sort_implIS3_Lb0EPKfPfPKlPlN2at6native12_GLOBAL__N_18offset_tEEE10hipError_tPvRmT1_PNSt15iterator_traitsISK_E10value_typeET2_T3_PNSL_ISQ_E10value_typeET4_jRbjT5_SW_jjP12ihipStream_tbEUlT_E_NS1_11comp_targetILNS1_3genE3ELNS1_11target_archE908ELNS1_3gpuE7ELNS1_3repE0EEENS1_30default_config_static_selectorELNS0_4arch9wavefront6targetE0EEEvSK_,"axG",@progbits,_ZN7rocprim17ROCPRIM_400000_NS6detail17trampoline_kernelINS0_14default_configENS1_36segmented_radix_sort_config_selectorIflEEZNS1_25segmented_radix_sort_implIS3_Lb0EPKfPfPKlPlN2at6native12_GLOBAL__N_18offset_tEEE10hipError_tPvRmT1_PNSt15iterator_traitsISK_E10value_typeET2_T3_PNSL_ISQ_E10value_typeET4_jRbjT5_SW_jjP12ihipStream_tbEUlT_E_NS1_11comp_targetILNS1_3genE3ELNS1_11target_archE908ELNS1_3gpuE7ELNS1_3repE0EEENS1_30default_config_static_selectorELNS0_4arch9wavefront6targetE0EEEvSK_,comdat
.Lfunc_end1425:
	.size	_ZN7rocprim17ROCPRIM_400000_NS6detail17trampoline_kernelINS0_14default_configENS1_36segmented_radix_sort_config_selectorIflEEZNS1_25segmented_radix_sort_implIS3_Lb0EPKfPfPKlPlN2at6native12_GLOBAL__N_18offset_tEEE10hipError_tPvRmT1_PNSt15iterator_traitsISK_E10value_typeET2_T3_PNSL_ISQ_E10value_typeET4_jRbjT5_SW_jjP12ihipStream_tbEUlT_E_NS1_11comp_targetILNS1_3genE3ELNS1_11target_archE908ELNS1_3gpuE7ELNS1_3repE0EEENS1_30default_config_static_selectorELNS0_4arch9wavefront6targetE0EEEvSK_, .Lfunc_end1425-_ZN7rocprim17ROCPRIM_400000_NS6detail17trampoline_kernelINS0_14default_configENS1_36segmented_radix_sort_config_selectorIflEEZNS1_25segmented_radix_sort_implIS3_Lb0EPKfPfPKlPlN2at6native12_GLOBAL__N_18offset_tEEE10hipError_tPvRmT1_PNSt15iterator_traitsISK_E10value_typeET2_T3_PNSL_ISQ_E10value_typeET4_jRbjT5_SW_jjP12ihipStream_tbEUlT_E_NS1_11comp_targetILNS1_3genE3ELNS1_11target_archE908ELNS1_3gpuE7ELNS1_3repE0EEENS1_30default_config_static_selectorELNS0_4arch9wavefront6targetE0EEEvSK_
                                        ; -- End function
	.set _ZN7rocprim17ROCPRIM_400000_NS6detail17trampoline_kernelINS0_14default_configENS1_36segmented_radix_sort_config_selectorIflEEZNS1_25segmented_radix_sort_implIS3_Lb0EPKfPfPKlPlN2at6native12_GLOBAL__N_18offset_tEEE10hipError_tPvRmT1_PNSt15iterator_traitsISK_E10value_typeET2_T3_PNSL_ISQ_E10value_typeET4_jRbjT5_SW_jjP12ihipStream_tbEUlT_E_NS1_11comp_targetILNS1_3genE3ELNS1_11target_archE908ELNS1_3gpuE7ELNS1_3repE0EEENS1_30default_config_static_selectorELNS0_4arch9wavefront6targetE0EEEvSK_.num_vgpr, 0
	.set _ZN7rocprim17ROCPRIM_400000_NS6detail17trampoline_kernelINS0_14default_configENS1_36segmented_radix_sort_config_selectorIflEEZNS1_25segmented_radix_sort_implIS3_Lb0EPKfPfPKlPlN2at6native12_GLOBAL__N_18offset_tEEE10hipError_tPvRmT1_PNSt15iterator_traitsISK_E10value_typeET2_T3_PNSL_ISQ_E10value_typeET4_jRbjT5_SW_jjP12ihipStream_tbEUlT_E_NS1_11comp_targetILNS1_3genE3ELNS1_11target_archE908ELNS1_3gpuE7ELNS1_3repE0EEENS1_30default_config_static_selectorELNS0_4arch9wavefront6targetE0EEEvSK_.num_agpr, 0
	.set _ZN7rocprim17ROCPRIM_400000_NS6detail17trampoline_kernelINS0_14default_configENS1_36segmented_radix_sort_config_selectorIflEEZNS1_25segmented_radix_sort_implIS3_Lb0EPKfPfPKlPlN2at6native12_GLOBAL__N_18offset_tEEE10hipError_tPvRmT1_PNSt15iterator_traitsISK_E10value_typeET2_T3_PNSL_ISQ_E10value_typeET4_jRbjT5_SW_jjP12ihipStream_tbEUlT_E_NS1_11comp_targetILNS1_3genE3ELNS1_11target_archE908ELNS1_3gpuE7ELNS1_3repE0EEENS1_30default_config_static_selectorELNS0_4arch9wavefront6targetE0EEEvSK_.numbered_sgpr, 0
	.set _ZN7rocprim17ROCPRIM_400000_NS6detail17trampoline_kernelINS0_14default_configENS1_36segmented_radix_sort_config_selectorIflEEZNS1_25segmented_radix_sort_implIS3_Lb0EPKfPfPKlPlN2at6native12_GLOBAL__N_18offset_tEEE10hipError_tPvRmT1_PNSt15iterator_traitsISK_E10value_typeET2_T3_PNSL_ISQ_E10value_typeET4_jRbjT5_SW_jjP12ihipStream_tbEUlT_E_NS1_11comp_targetILNS1_3genE3ELNS1_11target_archE908ELNS1_3gpuE7ELNS1_3repE0EEENS1_30default_config_static_selectorELNS0_4arch9wavefront6targetE0EEEvSK_.num_named_barrier, 0
	.set _ZN7rocprim17ROCPRIM_400000_NS6detail17trampoline_kernelINS0_14default_configENS1_36segmented_radix_sort_config_selectorIflEEZNS1_25segmented_radix_sort_implIS3_Lb0EPKfPfPKlPlN2at6native12_GLOBAL__N_18offset_tEEE10hipError_tPvRmT1_PNSt15iterator_traitsISK_E10value_typeET2_T3_PNSL_ISQ_E10value_typeET4_jRbjT5_SW_jjP12ihipStream_tbEUlT_E_NS1_11comp_targetILNS1_3genE3ELNS1_11target_archE908ELNS1_3gpuE7ELNS1_3repE0EEENS1_30default_config_static_selectorELNS0_4arch9wavefront6targetE0EEEvSK_.private_seg_size, 0
	.set _ZN7rocprim17ROCPRIM_400000_NS6detail17trampoline_kernelINS0_14default_configENS1_36segmented_radix_sort_config_selectorIflEEZNS1_25segmented_radix_sort_implIS3_Lb0EPKfPfPKlPlN2at6native12_GLOBAL__N_18offset_tEEE10hipError_tPvRmT1_PNSt15iterator_traitsISK_E10value_typeET2_T3_PNSL_ISQ_E10value_typeET4_jRbjT5_SW_jjP12ihipStream_tbEUlT_E_NS1_11comp_targetILNS1_3genE3ELNS1_11target_archE908ELNS1_3gpuE7ELNS1_3repE0EEENS1_30default_config_static_selectorELNS0_4arch9wavefront6targetE0EEEvSK_.uses_vcc, 0
	.set _ZN7rocprim17ROCPRIM_400000_NS6detail17trampoline_kernelINS0_14default_configENS1_36segmented_radix_sort_config_selectorIflEEZNS1_25segmented_radix_sort_implIS3_Lb0EPKfPfPKlPlN2at6native12_GLOBAL__N_18offset_tEEE10hipError_tPvRmT1_PNSt15iterator_traitsISK_E10value_typeET2_T3_PNSL_ISQ_E10value_typeET4_jRbjT5_SW_jjP12ihipStream_tbEUlT_E_NS1_11comp_targetILNS1_3genE3ELNS1_11target_archE908ELNS1_3gpuE7ELNS1_3repE0EEENS1_30default_config_static_selectorELNS0_4arch9wavefront6targetE0EEEvSK_.uses_flat_scratch, 0
	.set _ZN7rocprim17ROCPRIM_400000_NS6detail17trampoline_kernelINS0_14default_configENS1_36segmented_radix_sort_config_selectorIflEEZNS1_25segmented_radix_sort_implIS3_Lb0EPKfPfPKlPlN2at6native12_GLOBAL__N_18offset_tEEE10hipError_tPvRmT1_PNSt15iterator_traitsISK_E10value_typeET2_T3_PNSL_ISQ_E10value_typeET4_jRbjT5_SW_jjP12ihipStream_tbEUlT_E_NS1_11comp_targetILNS1_3genE3ELNS1_11target_archE908ELNS1_3gpuE7ELNS1_3repE0EEENS1_30default_config_static_selectorELNS0_4arch9wavefront6targetE0EEEvSK_.has_dyn_sized_stack, 0
	.set _ZN7rocprim17ROCPRIM_400000_NS6detail17trampoline_kernelINS0_14default_configENS1_36segmented_radix_sort_config_selectorIflEEZNS1_25segmented_radix_sort_implIS3_Lb0EPKfPfPKlPlN2at6native12_GLOBAL__N_18offset_tEEE10hipError_tPvRmT1_PNSt15iterator_traitsISK_E10value_typeET2_T3_PNSL_ISQ_E10value_typeET4_jRbjT5_SW_jjP12ihipStream_tbEUlT_E_NS1_11comp_targetILNS1_3genE3ELNS1_11target_archE908ELNS1_3gpuE7ELNS1_3repE0EEENS1_30default_config_static_selectorELNS0_4arch9wavefront6targetE0EEEvSK_.has_recursion, 0
	.set _ZN7rocprim17ROCPRIM_400000_NS6detail17trampoline_kernelINS0_14default_configENS1_36segmented_radix_sort_config_selectorIflEEZNS1_25segmented_radix_sort_implIS3_Lb0EPKfPfPKlPlN2at6native12_GLOBAL__N_18offset_tEEE10hipError_tPvRmT1_PNSt15iterator_traitsISK_E10value_typeET2_T3_PNSL_ISQ_E10value_typeET4_jRbjT5_SW_jjP12ihipStream_tbEUlT_E_NS1_11comp_targetILNS1_3genE3ELNS1_11target_archE908ELNS1_3gpuE7ELNS1_3repE0EEENS1_30default_config_static_selectorELNS0_4arch9wavefront6targetE0EEEvSK_.has_indirect_call, 0
	.section	.AMDGPU.csdata,"",@progbits
; Kernel info:
; codeLenInByte = 0
; TotalNumSgprs: 0
; NumVgprs: 0
; ScratchSize: 0
; MemoryBound: 0
; FloatMode: 240
; IeeeMode: 1
; LDSByteSize: 0 bytes/workgroup (compile time only)
; SGPRBlocks: 0
; VGPRBlocks: 0
; NumSGPRsForWavesPerEU: 1
; NumVGPRsForWavesPerEU: 1
; NamedBarCnt: 0
; Occupancy: 16
; WaveLimiterHint : 0
; COMPUTE_PGM_RSRC2:SCRATCH_EN: 0
; COMPUTE_PGM_RSRC2:USER_SGPR: 2
; COMPUTE_PGM_RSRC2:TRAP_HANDLER: 0
; COMPUTE_PGM_RSRC2:TGID_X_EN: 1
; COMPUTE_PGM_RSRC2:TGID_Y_EN: 0
; COMPUTE_PGM_RSRC2:TGID_Z_EN: 0
; COMPUTE_PGM_RSRC2:TIDIG_COMP_CNT: 0
	.section	.text._ZN7rocprim17ROCPRIM_400000_NS6detail17trampoline_kernelINS0_14default_configENS1_36segmented_radix_sort_config_selectorIflEEZNS1_25segmented_radix_sort_implIS3_Lb0EPKfPfPKlPlN2at6native12_GLOBAL__N_18offset_tEEE10hipError_tPvRmT1_PNSt15iterator_traitsISK_E10value_typeET2_T3_PNSL_ISQ_E10value_typeET4_jRbjT5_SW_jjP12ihipStream_tbEUlT_E_NS1_11comp_targetILNS1_3genE2ELNS1_11target_archE906ELNS1_3gpuE6ELNS1_3repE0EEENS1_30default_config_static_selectorELNS0_4arch9wavefront6targetE0EEEvSK_,"axG",@progbits,_ZN7rocprim17ROCPRIM_400000_NS6detail17trampoline_kernelINS0_14default_configENS1_36segmented_radix_sort_config_selectorIflEEZNS1_25segmented_radix_sort_implIS3_Lb0EPKfPfPKlPlN2at6native12_GLOBAL__N_18offset_tEEE10hipError_tPvRmT1_PNSt15iterator_traitsISK_E10value_typeET2_T3_PNSL_ISQ_E10value_typeET4_jRbjT5_SW_jjP12ihipStream_tbEUlT_E_NS1_11comp_targetILNS1_3genE2ELNS1_11target_archE906ELNS1_3gpuE6ELNS1_3repE0EEENS1_30default_config_static_selectorELNS0_4arch9wavefront6targetE0EEEvSK_,comdat
	.globl	_ZN7rocprim17ROCPRIM_400000_NS6detail17trampoline_kernelINS0_14default_configENS1_36segmented_radix_sort_config_selectorIflEEZNS1_25segmented_radix_sort_implIS3_Lb0EPKfPfPKlPlN2at6native12_GLOBAL__N_18offset_tEEE10hipError_tPvRmT1_PNSt15iterator_traitsISK_E10value_typeET2_T3_PNSL_ISQ_E10value_typeET4_jRbjT5_SW_jjP12ihipStream_tbEUlT_E_NS1_11comp_targetILNS1_3genE2ELNS1_11target_archE906ELNS1_3gpuE6ELNS1_3repE0EEENS1_30default_config_static_selectorELNS0_4arch9wavefront6targetE0EEEvSK_ ; -- Begin function _ZN7rocprim17ROCPRIM_400000_NS6detail17trampoline_kernelINS0_14default_configENS1_36segmented_radix_sort_config_selectorIflEEZNS1_25segmented_radix_sort_implIS3_Lb0EPKfPfPKlPlN2at6native12_GLOBAL__N_18offset_tEEE10hipError_tPvRmT1_PNSt15iterator_traitsISK_E10value_typeET2_T3_PNSL_ISQ_E10value_typeET4_jRbjT5_SW_jjP12ihipStream_tbEUlT_E_NS1_11comp_targetILNS1_3genE2ELNS1_11target_archE906ELNS1_3gpuE6ELNS1_3repE0EEENS1_30default_config_static_selectorELNS0_4arch9wavefront6targetE0EEEvSK_
	.p2align	8
	.type	_ZN7rocprim17ROCPRIM_400000_NS6detail17trampoline_kernelINS0_14default_configENS1_36segmented_radix_sort_config_selectorIflEEZNS1_25segmented_radix_sort_implIS3_Lb0EPKfPfPKlPlN2at6native12_GLOBAL__N_18offset_tEEE10hipError_tPvRmT1_PNSt15iterator_traitsISK_E10value_typeET2_T3_PNSL_ISQ_E10value_typeET4_jRbjT5_SW_jjP12ihipStream_tbEUlT_E_NS1_11comp_targetILNS1_3genE2ELNS1_11target_archE906ELNS1_3gpuE6ELNS1_3repE0EEENS1_30default_config_static_selectorELNS0_4arch9wavefront6targetE0EEEvSK_,@function
_ZN7rocprim17ROCPRIM_400000_NS6detail17trampoline_kernelINS0_14default_configENS1_36segmented_radix_sort_config_selectorIflEEZNS1_25segmented_radix_sort_implIS3_Lb0EPKfPfPKlPlN2at6native12_GLOBAL__N_18offset_tEEE10hipError_tPvRmT1_PNSt15iterator_traitsISK_E10value_typeET2_T3_PNSL_ISQ_E10value_typeET4_jRbjT5_SW_jjP12ihipStream_tbEUlT_E_NS1_11comp_targetILNS1_3genE2ELNS1_11target_archE906ELNS1_3gpuE6ELNS1_3repE0EEENS1_30default_config_static_selectorELNS0_4arch9wavefront6targetE0EEEvSK_: ; @_ZN7rocprim17ROCPRIM_400000_NS6detail17trampoline_kernelINS0_14default_configENS1_36segmented_radix_sort_config_selectorIflEEZNS1_25segmented_radix_sort_implIS3_Lb0EPKfPfPKlPlN2at6native12_GLOBAL__N_18offset_tEEE10hipError_tPvRmT1_PNSt15iterator_traitsISK_E10value_typeET2_T3_PNSL_ISQ_E10value_typeET4_jRbjT5_SW_jjP12ihipStream_tbEUlT_E_NS1_11comp_targetILNS1_3genE2ELNS1_11target_archE906ELNS1_3gpuE6ELNS1_3repE0EEENS1_30default_config_static_selectorELNS0_4arch9wavefront6targetE0EEEvSK_
; %bb.0:
	.section	.rodata,"a",@progbits
	.p2align	6, 0x0
	.amdhsa_kernel _ZN7rocprim17ROCPRIM_400000_NS6detail17trampoline_kernelINS0_14default_configENS1_36segmented_radix_sort_config_selectorIflEEZNS1_25segmented_radix_sort_implIS3_Lb0EPKfPfPKlPlN2at6native12_GLOBAL__N_18offset_tEEE10hipError_tPvRmT1_PNSt15iterator_traitsISK_E10value_typeET2_T3_PNSL_ISQ_E10value_typeET4_jRbjT5_SW_jjP12ihipStream_tbEUlT_E_NS1_11comp_targetILNS1_3genE2ELNS1_11target_archE906ELNS1_3gpuE6ELNS1_3repE0EEENS1_30default_config_static_selectorELNS0_4arch9wavefront6targetE0EEEvSK_
		.amdhsa_group_segment_fixed_size 0
		.amdhsa_private_segment_fixed_size 0
		.amdhsa_kernarg_size 96
		.amdhsa_user_sgpr_count 2
		.amdhsa_user_sgpr_dispatch_ptr 0
		.amdhsa_user_sgpr_queue_ptr 0
		.amdhsa_user_sgpr_kernarg_segment_ptr 1
		.amdhsa_user_sgpr_dispatch_id 0
		.amdhsa_user_sgpr_kernarg_preload_length 0
		.amdhsa_user_sgpr_kernarg_preload_offset 0
		.amdhsa_user_sgpr_private_segment_size 0
		.amdhsa_wavefront_size32 1
		.amdhsa_uses_dynamic_stack 0
		.amdhsa_enable_private_segment 0
		.amdhsa_system_sgpr_workgroup_id_x 1
		.amdhsa_system_sgpr_workgroup_id_y 0
		.amdhsa_system_sgpr_workgroup_id_z 0
		.amdhsa_system_sgpr_workgroup_info 0
		.amdhsa_system_vgpr_workitem_id 0
		.amdhsa_next_free_vgpr 1
		.amdhsa_next_free_sgpr 1
		.amdhsa_named_barrier_count 0
		.amdhsa_reserve_vcc 0
		.amdhsa_float_round_mode_32 0
		.amdhsa_float_round_mode_16_64 0
		.amdhsa_float_denorm_mode_32 3
		.amdhsa_float_denorm_mode_16_64 3
		.amdhsa_fp16_overflow 0
		.amdhsa_memory_ordered 1
		.amdhsa_forward_progress 1
		.amdhsa_inst_pref_size 0
		.amdhsa_round_robin_scheduling 0
		.amdhsa_exception_fp_ieee_invalid_op 0
		.amdhsa_exception_fp_denorm_src 0
		.amdhsa_exception_fp_ieee_div_zero 0
		.amdhsa_exception_fp_ieee_overflow 0
		.amdhsa_exception_fp_ieee_underflow 0
		.amdhsa_exception_fp_ieee_inexact 0
		.amdhsa_exception_int_div_zero 0
	.end_amdhsa_kernel
	.section	.text._ZN7rocprim17ROCPRIM_400000_NS6detail17trampoline_kernelINS0_14default_configENS1_36segmented_radix_sort_config_selectorIflEEZNS1_25segmented_radix_sort_implIS3_Lb0EPKfPfPKlPlN2at6native12_GLOBAL__N_18offset_tEEE10hipError_tPvRmT1_PNSt15iterator_traitsISK_E10value_typeET2_T3_PNSL_ISQ_E10value_typeET4_jRbjT5_SW_jjP12ihipStream_tbEUlT_E_NS1_11comp_targetILNS1_3genE2ELNS1_11target_archE906ELNS1_3gpuE6ELNS1_3repE0EEENS1_30default_config_static_selectorELNS0_4arch9wavefront6targetE0EEEvSK_,"axG",@progbits,_ZN7rocprim17ROCPRIM_400000_NS6detail17trampoline_kernelINS0_14default_configENS1_36segmented_radix_sort_config_selectorIflEEZNS1_25segmented_radix_sort_implIS3_Lb0EPKfPfPKlPlN2at6native12_GLOBAL__N_18offset_tEEE10hipError_tPvRmT1_PNSt15iterator_traitsISK_E10value_typeET2_T3_PNSL_ISQ_E10value_typeET4_jRbjT5_SW_jjP12ihipStream_tbEUlT_E_NS1_11comp_targetILNS1_3genE2ELNS1_11target_archE906ELNS1_3gpuE6ELNS1_3repE0EEENS1_30default_config_static_selectorELNS0_4arch9wavefront6targetE0EEEvSK_,comdat
.Lfunc_end1426:
	.size	_ZN7rocprim17ROCPRIM_400000_NS6detail17trampoline_kernelINS0_14default_configENS1_36segmented_radix_sort_config_selectorIflEEZNS1_25segmented_radix_sort_implIS3_Lb0EPKfPfPKlPlN2at6native12_GLOBAL__N_18offset_tEEE10hipError_tPvRmT1_PNSt15iterator_traitsISK_E10value_typeET2_T3_PNSL_ISQ_E10value_typeET4_jRbjT5_SW_jjP12ihipStream_tbEUlT_E_NS1_11comp_targetILNS1_3genE2ELNS1_11target_archE906ELNS1_3gpuE6ELNS1_3repE0EEENS1_30default_config_static_selectorELNS0_4arch9wavefront6targetE0EEEvSK_, .Lfunc_end1426-_ZN7rocprim17ROCPRIM_400000_NS6detail17trampoline_kernelINS0_14default_configENS1_36segmented_radix_sort_config_selectorIflEEZNS1_25segmented_radix_sort_implIS3_Lb0EPKfPfPKlPlN2at6native12_GLOBAL__N_18offset_tEEE10hipError_tPvRmT1_PNSt15iterator_traitsISK_E10value_typeET2_T3_PNSL_ISQ_E10value_typeET4_jRbjT5_SW_jjP12ihipStream_tbEUlT_E_NS1_11comp_targetILNS1_3genE2ELNS1_11target_archE906ELNS1_3gpuE6ELNS1_3repE0EEENS1_30default_config_static_selectorELNS0_4arch9wavefront6targetE0EEEvSK_
                                        ; -- End function
	.set _ZN7rocprim17ROCPRIM_400000_NS6detail17trampoline_kernelINS0_14default_configENS1_36segmented_radix_sort_config_selectorIflEEZNS1_25segmented_radix_sort_implIS3_Lb0EPKfPfPKlPlN2at6native12_GLOBAL__N_18offset_tEEE10hipError_tPvRmT1_PNSt15iterator_traitsISK_E10value_typeET2_T3_PNSL_ISQ_E10value_typeET4_jRbjT5_SW_jjP12ihipStream_tbEUlT_E_NS1_11comp_targetILNS1_3genE2ELNS1_11target_archE906ELNS1_3gpuE6ELNS1_3repE0EEENS1_30default_config_static_selectorELNS0_4arch9wavefront6targetE0EEEvSK_.num_vgpr, 0
	.set _ZN7rocprim17ROCPRIM_400000_NS6detail17trampoline_kernelINS0_14default_configENS1_36segmented_radix_sort_config_selectorIflEEZNS1_25segmented_radix_sort_implIS3_Lb0EPKfPfPKlPlN2at6native12_GLOBAL__N_18offset_tEEE10hipError_tPvRmT1_PNSt15iterator_traitsISK_E10value_typeET2_T3_PNSL_ISQ_E10value_typeET4_jRbjT5_SW_jjP12ihipStream_tbEUlT_E_NS1_11comp_targetILNS1_3genE2ELNS1_11target_archE906ELNS1_3gpuE6ELNS1_3repE0EEENS1_30default_config_static_selectorELNS0_4arch9wavefront6targetE0EEEvSK_.num_agpr, 0
	.set _ZN7rocprim17ROCPRIM_400000_NS6detail17trampoline_kernelINS0_14default_configENS1_36segmented_radix_sort_config_selectorIflEEZNS1_25segmented_radix_sort_implIS3_Lb0EPKfPfPKlPlN2at6native12_GLOBAL__N_18offset_tEEE10hipError_tPvRmT1_PNSt15iterator_traitsISK_E10value_typeET2_T3_PNSL_ISQ_E10value_typeET4_jRbjT5_SW_jjP12ihipStream_tbEUlT_E_NS1_11comp_targetILNS1_3genE2ELNS1_11target_archE906ELNS1_3gpuE6ELNS1_3repE0EEENS1_30default_config_static_selectorELNS0_4arch9wavefront6targetE0EEEvSK_.numbered_sgpr, 0
	.set _ZN7rocprim17ROCPRIM_400000_NS6detail17trampoline_kernelINS0_14default_configENS1_36segmented_radix_sort_config_selectorIflEEZNS1_25segmented_radix_sort_implIS3_Lb0EPKfPfPKlPlN2at6native12_GLOBAL__N_18offset_tEEE10hipError_tPvRmT1_PNSt15iterator_traitsISK_E10value_typeET2_T3_PNSL_ISQ_E10value_typeET4_jRbjT5_SW_jjP12ihipStream_tbEUlT_E_NS1_11comp_targetILNS1_3genE2ELNS1_11target_archE906ELNS1_3gpuE6ELNS1_3repE0EEENS1_30default_config_static_selectorELNS0_4arch9wavefront6targetE0EEEvSK_.num_named_barrier, 0
	.set _ZN7rocprim17ROCPRIM_400000_NS6detail17trampoline_kernelINS0_14default_configENS1_36segmented_radix_sort_config_selectorIflEEZNS1_25segmented_radix_sort_implIS3_Lb0EPKfPfPKlPlN2at6native12_GLOBAL__N_18offset_tEEE10hipError_tPvRmT1_PNSt15iterator_traitsISK_E10value_typeET2_T3_PNSL_ISQ_E10value_typeET4_jRbjT5_SW_jjP12ihipStream_tbEUlT_E_NS1_11comp_targetILNS1_3genE2ELNS1_11target_archE906ELNS1_3gpuE6ELNS1_3repE0EEENS1_30default_config_static_selectorELNS0_4arch9wavefront6targetE0EEEvSK_.private_seg_size, 0
	.set _ZN7rocprim17ROCPRIM_400000_NS6detail17trampoline_kernelINS0_14default_configENS1_36segmented_radix_sort_config_selectorIflEEZNS1_25segmented_radix_sort_implIS3_Lb0EPKfPfPKlPlN2at6native12_GLOBAL__N_18offset_tEEE10hipError_tPvRmT1_PNSt15iterator_traitsISK_E10value_typeET2_T3_PNSL_ISQ_E10value_typeET4_jRbjT5_SW_jjP12ihipStream_tbEUlT_E_NS1_11comp_targetILNS1_3genE2ELNS1_11target_archE906ELNS1_3gpuE6ELNS1_3repE0EEENS1_30default_config_static_selectorELNS0_4arch9wavefront6targetE0EEEvSK_.uses_vcc, 0
	.set _ZN7rocprim17ROCPRIM_400000_NS6detail17trampoline_kernelINS0_14default_configENS1_36segmented_radix_sort_config_selectorIflEEZNS1_25segmented_radix_sort_implIS3_Lb0EPKfPfPKlPlN2at6native12_GLOBAL__N_18offset_tEEE10hipError_tPvRmT1_PNSt15iterator_traitsISK_E10value_typeET2_T3_PNSL_ISQ_E10value_typeET4_jRbjT5_SW_jjP12ihipStream_tbEUlT_E_NS1_11comp_targetILNS1_3genE2ELNS1_11target_archE906ELNS1_3gpuE6ELNS1_3repE0EEENS1_30default_config_static_selectorELNS0_4arch9wavefront6targetE0EEEvSK_.uses_flat_scratch, 0
	.set _ZN7rocprim17ROCPRIM_400000_NS6detail17trampoline_kernelINS0_14default_configENS1_36segmented_radix_sort_config_selectorIflEEZNS1_25segmented_radix_sort_implIS3_Lb0EPKfPfPKlPlN2at6native12_GLOBAL__N_18offset_tEEE10hipError_tPvRmT1_PNSt15iterator_traitsISK_E10value_typeET2_T3_PNSL_ISQ_E10value_typeET4_jRbjT5_SW_jjP12ihipStream_tbEUlT_E_NS1_11comp_targetILNS1_3genE2ELNS1_11target_archE906ELNS1_3gpuE6ELNS1_3repE0EEENS1_30default_config_static_selectorELNS0_4arch9wavefront6targetE0EEEvSK_.has_dyn_sized_stack, 0
	.set _ZN7rocprim17ROCPRIM_400000_NS6detail17trampoline_kernelINS0_14default_configENS1_36segmented_radix_sort_config_selectorIflEEZNS1_25segmented_radix_sort_implIS3_Lb0EPKfPfPKlPlN2at6native12_GLOBAL__N_18offset_tEEE10hipError_tPvRmT1_PNSt15iterator_traitsISK_E10value_typeET2_T3_PNSL_ISQ_E10value_typeET4_jRbjT5_SW_jjP12ihipStream_tbEUlT_E_NS1_11comp_targetILNS1_3genE2ELNS1_11target_archE906ELNS1_3gpuE6ELNS1_3repE0EEENS1_30default_config_static_selectorELNS0_4arch9wavefront6targetE0EEEvSK_.has_recursion, 0
	.set _ZN7rocprim17ROCPRIM_400000_NS6detail17trampoline_kernelINS0_14default_configENS1_36segmented_radix_sort_config_selectorIflEEZNS1_25segmented_radix_sort_implIS3_Lb0EPKfPfPKlPlN2at6native12_GLOBAL__N_18offset_tEEE10hipError_tPvRmT1_PNSt15iterator_traitsISK_E10value_typeET2_T3_PNSL_ISQ_E10value_typeET4_jRbjT5_SW_jjP12ihipStream_tbEUlT_E_NS1_11comp_targetILNS1_3genE2ELNS1_11target_archE906ELNS1_3gpuE6ELNS1_3repE0EEENS1_30default_config_static_selectorELNS0_4arch9wavefront6targetE0EEEvSK_.has_indirect_call, 0
	.section	.AMDGPU.csdata,"",@progbits
; Kernel info:
; codeLenInByte = 0
; TotalNumSgprs: 0
; NumVgprs: 0
; ScratchSize: 0
; MemoryBound: 0
; FloatMode: 240
; IeeeMode: 1
; LDSByteSize: 0 bytes/workgroup (compile time only)
; SGPRBlocks: 0
; VGPRBlocks: 0
; NumSGPRsForWavesPerEU: 1
; NumVGPRsForWavesPerEU: 1
; NamedBarCnt: 0
; Occupancy: 16
; WaveLimiterHint : 0
; COMPUTE_PGM_RSRC2:SCRATCH_EN: 0
; COMPUTE_PGM_RSRC2:USER_SGPR: 2
; COMPUTE_PGM_RSRC2:TRAP_HANDLER: 0
; COMPUTE_PGM_RSRC2:TGID_X_EN: 1
; COMPUTE_PGM_RSRC2:TGID_Y_EN: 0
; COMPUTE_PGM_RSRC2:TGID_Z_EN: 0
; COMPUTE_PGM_RSRC2:TIDIG_COMP_CNT: 0
	.section	.text._ZN7rocprim17ROCPRIM_400000_NS6detail17trampoline_kernelINS0_14default_configENS1_36segmented_radix_sort_config_selectorIflEEZNS1_25segmented_radix_sort_implIS3_Lb0EPKfPfPKlPlN2at6native12_GLOBAL__N_18offset_tEEE10hipError_tPvRmT1_PNSt15iterator_traitsISK_E10value_typeET2_T3_PNSL_ISQ_E10value_typeET4_jRbjT5_SW_jjP12ihipStream_tbEUlT_E_NS1_11comp_targetILNS1_3genE10ELNS1_11target_archE1201ELNS1_3gpuE5ELNS1_3repE0EEENS1_30default_config_static_selectorELNS0_4arch9wavefront6targetE0EEEvSK_,"axG",@progbits,_ZN7rocprim17ROCPRIM_400000_NS6detail17trampoline_kernelINS0_14default_configENS1_36segmented_radix_sort_config_selectorIflEEZNS1_25segmented_radix_sort_implIS3_Lb0EPKfPfPKlPlN2at6native12_GLOBAL__N_18offset_tEEE10hipError_tPvRmT1_PNSt15iterator_traitsISK_E10value_typeET2_T3_PNSL_ISQ_E10value_typeET4_jRbjT5_SW_jjP12ihipStream_tbEUlT_E_NS1_11comp_targetILNS1_3genE10ELNS1_11target_archE1201ELNS1_3gpuE5ELNS1_3repE0EEENS1_30default_config_static_selectorELNS0_4arch9wavefront6targetE0EEEvSK_,comdat
	.globl	_ZN7rocprim17ROCPRIM_400000_NS6detail17trampoline_kernelINS0_14default_configENS1_36segmented_radix_sort_config_selectorIflEEZNS1_25segmented_radix_sort_implIS3_Lb0EPKfPfPKlPlN2at6native12_GLOBAL__N_18offset_tEEE10hipError_tPvRmT1_PNSt15iterator_traitsISK_E10value_typeET2_T3_PNSL_ISQ_E10value_typeET4_jRbjT5_SW_jjP12ihipStream_tbEUlT_E_NS1_11comp_targetILNS1_3genE10ELNS1_11target_archE1201ELNS1_3gpuE5ELNS1_3repE0EEENS1_30default_config_static_selectorELNS0_4arch9wavefront6targetE0EEEvSK_ ; -- Begin function _ZN7rocprim17ROCPRIM_400000_NS6detail17trampoline_kernelINS0_14default_configENS1_36segmented_radix_sort_config_selectorIflEEZNS1_25segmented_radix_sort_implIS3_Lb0EPKfPfPKlPlN2at6native12_GLOBAL__N_18offset_tEEE10hipError_tPvRmT1_PNSt15iterator_traitsISK_E10value_typeET2_T3_PNSL_ISQ_E10value_typeET4_jRbjT5_SW_jjP12ihipStream_tbEUlT_E_NS1_11comp_targetILNS1_3genE10ELNS1_11target_archE1201ELNS1_3gpuE5ELNS1_3repE0EEENS1_30default_config_static_selectorELNS0_4arch9wavefront6targetE0EEEvSK_
	.p2align	8
	.type	_ZN7rocprim17ROCPRIM_400000_NS6detail17trampoline_kernelINS0_14default_configENS1_36segmented_radix_sort_config_selectorIflEEZNS1_25segmented_radix_sort_implIS3_Lb0EPKfPfPKlPlN2at6native12_GLOBAL__N_18offset_tEEE10hipError_tPvRmT1_PNSt15iterator_traitsISK_E10value_typeET2_T3_PNSL_ISQ_E10value_typeET4_jRbjT5_SW_jjP12ihipStream_tbEUlT_E_NS1_11comp_targetILNS1_3genE10ELNS1_11target_archE1201ELNS1_3gpuE5ELNS1_3repE0EEENS1_30default_config_static_selectorELNS0_4arch9wavefront6targetE0EEEvSK_,@function
_ZN7rocprim17ROCPRIM_400000_NS6detail17trampoline_kernelINS0_14default_configENS1_36segmented_radix_sort_config_selectorIflEEZNS1_25segmented_radix_sort_implIS3_Lb0EPKfPfPKlPlN2at6native12_GLOBAL__N_18offset_tEEE10hipError_tPvRmT1_PNSt15iterator_traitsISK_E10value_typeET2_T3_PNSL_ISQ_E10value_typeET4_jRbjT5_SW_jjP12ihipStream_tbEUlT_E_NS1_11comp_targetILNS1_3genE10ELNS1_11target_archE1201ELNS1_3gpuE5ELNS1_3repE0EEENS1_30default_config_static_selectorELNS0_4arch9wavefront6targetE0EEEvSK_: ; @_ZN7rocprim17ROCPRIM_400000_NS6detail17trampoline_kernelINS0_14default_configENS1_36segmented_radix_sort_config_selectorIflEEZNS1_25segmented_radix_sort_implIS3_Lb0EPKfPfPKlPlN2at6native12_GLOBAL__N_18offset_tEEE10hipError_tPvRmT1_PNSt15iterator_traitsISK_E10value_typeET2_T3_PNSL_ISQ_E10value_typeET4_jRbjT5_SW_jjP12ihipStream_tbEUlT_E_NS1_11comp_targetILNS1_3genE10ELNS1_11target_archE1201ELNS1_3gpuE5ELNS1_3repE0EEENS1_30default_config_static_selectorELNS0_4arch9wavefront6targetE0EEEvSK_
; %bb.0:
	.section	.rodata,"a",@progbits
	.p2align	6, 0x0
	.amdhsa_kernel _ZN7rocprim17ROCPRIM_400000_NS6detail17trampoline_kernelINS0_14default_configENS1_36segmented_radix_sort_config_selectorIflEEZNS1_25segmented_radix_sort_implIS3_Lb0EPKfPfPKlPlN2at6native12_GLOBAL__N_18offset_tEEE10hipError_tPvRmT1_PNSt15iterator_traitsISK_E10value_typeET2_T3_PNSL_ISQ_E10value_typeET4_jRbjT5_SW_jjP12ihipStream_tbEUlT_E_NS1_11comp_targetILNS1_3genE10ELNS1_11target_archE1201ELNS1_3gpuE5ELNS1_3repE0EEENS1_30default_config_static_selectorELNS0_4arch9wavefront6targetE0EEEvSK_
		.amdhsa_group_segment_fixed_size 0
		.amdhsa_private_segment_fixed_size 0
		.amdhsa_kernarg_size 96
		.amdhsa_user_sgpr_count 2
		.amdhsa_user_sgpr_dispatch_ptr 0
		.amdhsa_user_sgpr_queue_ptr 0
		.amdhsa_user_sgpr_kernarg_segment_ptr 1
		.amdhsa_user_sgpr_dispatch_id 0
		.amdhsa_user_sgpr_kernarg_preload_length 0
		.amdhsa_user_sgpr_kernarg_preload_offset 0
		.amdhsa_user_sgpr_private_segment_size 0
		.amdhsa_wavefront_size32 1
		.amdhsa_uses_dynamic_stack 0
		.amdhsa_enable_private_segment 0
		.amdhsa_system_sgpr_workgroup_id_x 1
		.amdhsa_system_sgpr_workgroup_id_y 0
		.amdhsa_system_sgpr_workgroup_id_z 0
		.amdhsa_system_sgpr_workgroup_info 0
		.amdhsa_system_vgpr_workitem_id 0
		.amdhsa_next_free_vgpr 1
		.amdhsa_next_free_sgpr 1
		.amdhsa_named_barrier_count 0
		.amdhsa_reserve_vcc 0
		.amdhsa_float_round_mode_32 0
		.amdhsa_float_round_mode_16_64 0
		.amdhsa_float_denorm_mode_32 3
		.amdhsa_float_denorm_mode_16_64 3
		.amdhsa_fp16_overflow 0
		.amdhsa_memory_ordered 1
		.amdhsa_forward_progress 1
		.amdhsa_inst_pref_size 0
		.amdhsa_round_robin_scheduling 0
		.amdhsa_exception_fp_ieee_invalid_op 0
		.amdhsa_exception_fp_denorm_src 0
		.amdhsa_exception_fp_ieee_div_zero 0
		.amdhsa_exception_fp_ieee_overflow 0
		.amdhsa_exception_fp_ieee_underflow 0
		.amdhsa_exception_fp_ieee_inexact 0
		.amdhsa_exception_int_div_zero 0
	.end_amdhsa_kernel
	.section	.text._ZN7rocprim17ROCPRIM_400000_NS6detail17trampoline_kernelINS0_14default_configENS1_36segmented_radix_sort_config_selectorIflEEZNS1_25segmented_radix_sort_implIS3_Lb0EPKfPfPKlPlN2at6native12_GLOBAL__N_18offset_tEEE10hipError_tPvRmT1_PNSt15iterator_traitsISK_E10value_typeET2_T3_PNSL_ISQ_E10value_typeET4_jRbjT5_SW_jjP12ihipStream_tbEUlT_E_NS1_11comp_targetILNS1_3genE10ELNS1_11target_archE1201ELNS1_3gpuE5ELNS1_3repE0EEENS1_30default_config_static_selectorELNS0_4arch9wavefront6targetE0EEEvSK_,"axG",@progbits,_ZN7rocprim17ROCPRIM_400000_NS6detail17trampoline_kernelINS0_14default_configENS1_36segmented_radix_sort_config_selectorIflEEZNS1_25segmented_radix_sort_implIS3_Lb0EPKfPfPKlPlN2at6native12_GLOBAL__N_18offset_tEEE10hipError_tPvRmT1_PNSt15iterator_traitsISK_E10value_typeET2_T3_PNSL_ISQ_E10value_typeET4_jRbjT5_SW_jjP12ihipStream_tbEUlT_E_NS1_11comp_targetILNS1_3genE10ELNS1_11target_archE1201ELNS1_3gpuE5ELNS1_3repE0EEENS1_30default_config_static_selectorELNS0_4arch9wavefront6targetE0EEEvSK_,comdat
.Lfunc_end1427:
	.size	_ZN7rocprim17ROCPRIM_400000_NS6detail17trampoline_kernelINS0_14default_configENS1_36segmented_radix_sort_config_selectorIflEEZNS1_25segmented_radix_sort_implIS3_Lb0EPKfPfPKlPlN2at6native12_GLOBAL__N_18offset_tEEE10hipError_tPvRmT1_PNSt15iterator_traitsISK_E10value_typeET2_T3_PNSL_ISQ_E10value_typeET4_jRbjT5_SW_jjP12ihipStream_tbEUlT_E_NS1_11comp_targetILNS1_3genE10ELNS1_11target_archE1201ELNS1_3gpuE5ELNS1_3repE0EEENS1_30default_config_static_selectorELNS0_4arch9wavefront6targetE0EEEvSK_, .Lfunc_end1427-_ZN7rocprim17ROCPRIM_400000_NS6detail17trampoline_kernelINS0_14default_configENS1_36segmented_radix_sort_config_selectorIflEEZNS1_25segmented_radix_sort_implIS3_Lb0EPKfPfPKlPlN2at6native12_GLOBAL__N_18offset_tEEE10hipError_tPvRmT1_PNSt15iterator_traitsISK_E10value_typeET2_T3_PNSL_ISQ_E10value_typeET4_jRbjT5_SW_jjP12ihipStream_tbEUlT_E_NS1_11comp_targetILNS1_3genE10ELNS1_11target_archE1201ELNS1_3gpuE5ELNS1_3repE0EEENS1_30default_config_static_selectorELNS0_4arch9wavefront6targetE0EEEvSK_
                                        ; -- End function
	.set _ZN7rocprim17ROCPRIM_400000_NS6detail17trampoline_kernelINS0_14default_configENS1_36segmented_radix_sort_config_selectorIflEEZNS1_25segmented_radix_sort_implIS3_Lb0EPKfPfPKlPlN2at6native12_GLOBAL__N_18offset_tEEE10hipError_tPvRmT1_PNSt15iterator_traitsISK_E10value_typeET2_T3_PNSL_ISQ_E10value_typeET4_jRbjT5_SW_jjP12ihipStream_tbEUlT_E_NS1_11comp_targetILNS1_3genE10ELNS1_11target_archE1201ELNS1_3gpuE5ELNS1_3repE0EEENS1_30default_config_static_selectorELNS0_4arch9wavefront6targetE0EEEvSK_.num_vgpr, 0
	.set _ZN7rocprim17ROCPRIM_400000_NS6detail17trampoline_kernelINS0_14default_configENS1_36segmented_radix_sort_config_selectorIflEEZNS1_25segmented_radix_sort_implIS3_Lb0EPKfPfPKlPlN2at6native12_GLOBAL__N_18offset_tEEE10hipError_tPvRmT1_PNSt15iterator_traitsISK_E10value_typeET2_T3_PNSL_ISQ_E10value_typeET4_jRbjT5_SW_jjP12ihipStream_tbEUlT_E_NS1_11comp_targetILNS1_3genE10ELNS1_11target_archE1201ELNS1_3gpuE5ELNS1_3repE0EEENS1_30default_config_static_selectorELNS0_4arch9wavefront6targetE0EEEvSK_.num_agpr, 0
	.set _ZN7rocprim17ROCPRIM_400000_NS6detail17trampoline_kernelINS0_14default_configENS1_36segmented_radix_sort_config_selectorIflEEZNS1_25segmented_radix_sort_implIS3_Lb0EPKfPfPKlPlN2at6native12_GLOBAL__N_18offset_tEEE10hipError_tPvRmT1_PNSt15iterator_traitsISK_E10value_typeET2_T3_PNSL_ISQ_E10value_typeET4_jRbjT5_SW_jjP12ihipStream_tbEUlT_E_NS1_11comp_targetILNS1_3genE10ELNS1_11target_archE1201ELNS1_3gpuE5ELNS1_3repE0EEENS1_30default_config_static_selectorELNS0_4arch9wavefront6targetE0EEEvSK_.numbered_sgpr, 0
	.set _ZN7rocprim17ROCPRIM_400000_NS6detail17trampoline_kernelINS0_14default_configENS1_36segmented_radix_sort_config_selectorIflEEZNS1_25segmented_radix_sort_implIS3_Lb0EPKfPfPKlPlN2at6native12_GLOBAL__N_18offset_tEEE10hipError_tPvRmT1_PNSt15iterator_traitsISK_E10value_typeET2_T3_PNSL_ISQ_E10value_typeET4_jRbjT5_SW_jjP12ihipStream_tbEUlT_E_NS1_11comp_targetILNS1_3genE10ELNS1_11target_archE1201ELNS1_3gpuE5ELNS1_3repE0EEENS1_30default_config_static_selectorELNS0_4arch9wavefront6targetE0EEEvSK_.num_named_barrier, 0
	.set _ZN7rocprim17ROCPRIM_400000_NS6detail17trampoline_kernelINS0_14default_configENS1_36segmented_radix_sort_config_selectorIflEEZNS1_25segmented_radix_sort_implIS3_Lb0EPKfPfPKlPlN2at6native12_GLOBAL__N_18offset_tEEE10hipError_tPvRmT1_PNSt15iterator_traitsISK_E10value_typeET2_T3_PNSL_ISQ_E10value_typeET4_jRbjT5_SW_jjP12ihipStream_tbEUlT_E_NS1_11comp_targetILNS1_3genE10ELNS1_11target_archE1201ELNS1_3gpuE5ELNS1_3repE0EEENS1_30default_config_static_selectorELNS0_4arch9wavefront6targetE0EEEvSK_.private_seg_size, 0
	.set _ZN7rocprim17ROCPRIM_400000_NS6detail17trampoline_kernelINS0_14default_configENS1_36segmented_radix_sort_config_selectorIflEEZNS1_25segmented_radix_sort_implIS3_Lb0EPKfPfPKlPlN2at6native12_GLOBAL__N_18offset_tEEE10hipError_tPvRmT1_PNSt15iterator_traitsISK_E10value_typeET2_T3_PNSL_ISQ_E10value_typeET4_jRbjT5_SW_jjP12ihipStream_tbEUlT_E_NS1_11comp_targetILNS1_3genE10ELNS1_11target_archE1201ELNS1_3gpuE5ELNS1_3repE0EEENS1_30default_config_static_selectorELNS0_4arch9wavefront6targetE0EEEvSK_.uses_vcc, 0
	.set _ZN7rocprim17ROCPRIM_400000_NS6detail17trampoline_kernelINS0_14default_configENS1_36segmented_radix_sort_config_selectorIflEEZNS1_25segmented_radix_sort_implIS3_Lb0EPKfPfPKlPlN2at6native12_GLOBAL__N_18offset_tEEE10hipError_tPvRmT1_PNSt15iterator_traitsISK_E10value_typeET2_T3_PNSL_ISQ_E10value_typeET4_jRbjT5_SW_jjP12ihipStream_tbEUlT_E_NS1_11comp_targetILNS1_3genE10ELNS1_11target_archE1201ELNS1_3gpuE5ELNS1_3repE0EEENS1_30default_config_static_selectorELNS0_4arch9wavefront6targetE0EEEvSK_.uses_flat_scratch, 0
	.set _ZN7rocprim17ROCPRIM_400000_NS6detail17trampoline_kernelINS0_14default_configENS1_36segmented_radix_sort_config_selectorIflEEZNS1_25segmented_radix_sort_implIS3_Lb0EPKfPfPKlPlN2at6native12_GLOBAL__N_18offset_tEEE10hipError_tPvRmT1_PNSt15iterator_traitsISK_E10value_typeET2_T3_PNSL_ISQ_E10value_typeET4_jRbjT5_SW_jjP12ihipStream_tbEUlT_E_NS1_11comp_targetILNS1_3genE10ELNS1_11target_archE1201ELNS1_3gpuE5ELNS1_3repE0EEENS1_30default_config_static_selectorELNS0_4arch9wavefront6targetE0EEEvSK_.has_dyn_sized_stack, 0
	.set _ZN7rocprim17ROCPRIM_400000_NS6detail17trampoline_kernelINS0_14default_configENS1_36segmented_radix_sort_config_selectorIflEEZNS1_25segmented_radix_sort_implIS3_Lb0EPKfPfPKlPlN2at6native12_GLOBAL__N_18offset_tEEE10hipError_tPvRmT1_PNSt15iterator_traitsISK_E10value_typeET2_T3_PNSL_ISQ_E10value_typeET4_jRbjT5_SW_jjP12ihipStream_tbEUlT_E_NS1_11comp_targetILNS1_3genE10ELNS1_11target_archE1201ELNS1_3gpuE5ELNS1_3repE0EEENS1_30default_config_static_selectorELNS0_4arch9wavefront6targetE0EEEvSK_.has_recursion, 0
	.set _ZN7rocprim17ROCPRIM_400000_NS6detail17trampoline_kernelINS0_14default_configENS1_36segmented_radix_sort_config_selectorIflEEZNS1_25segmented_radix_sort_implIS3_Lb0EPKfPfPKlPlN2at6native12_GLOBAL__N_18offset_tEEE10hipError_tPvRmT1_PNSt15iterator_traitsISK_E10value_typeET2_T3_PNSL_ISQ_E10value_typeET4_jRbjT5_SW_jjP12ihipStream_tbEUlT_E_NS1_11comp_targetILNS1_3genE10ELNS1_11target_archE1201ELNS1_3gpuE5ELNS1_3repE0EEENS1_30default_config_static_selectorELNS0_4arch9wavefront6targetE0EEEvSK_.has_indirect_call, 0
	.section	.AMDGPU.csdata,"",@progbits
; Kernel info:
; codeLenInByte = 0
; TotalNumSgprs: 0
; NumVgprs: 0
; ScratchSize: 0
; MemoryBound: 0
; FloatMode: 240
; IeeeMode: 1
; LDSByteSize: 0 bytes/workgroup (compile time only)
; SGPRBlocks: 0
; VGPRBlocks: 0
; NumSGPRsForWavesPerEU: 1
; NumVGPRsForWavesPerEU: 1
; NamedBarCnt: 0
; Occupancy: 16
; WaveLimiterHint : 0
; COMPUTE_PGM_RSRC2:SCRATCH_EN: 0
; COMPUTE_PGM_RSRC2:USER_SGPR: 2
; COMPUTE_PGM_RSRC2:TRAP_HANDLER: 0
; COMPUTE_PGM_RSRC2:TGID_X_EN: 1
; COMPUTE_PGM_RSRC2:TGID_Y_EN: 0
; COMPUTE_PGM_RSRC2:TGID_Z_EN: 0
; COMPUTE_PGM_RSRC2:TIDIG_COMP_CNT: 0
	.section	.text._ZN7rocprim17ROCPRIM_400000_NS6detail17trampoline_kernelINS0_14default_configENS1_36segmented_radix_sort_config_selectorIflEEZNS1_25segmented_radix_sort_implIS3_Lb0EPKfPfPKlPlN2at6native12_GLOBAL__N_18offset_tEEE10hipError_tPvRmT1_PNSt15iterator_traitsISK_E10value_typeET2_T3_PNSL_ISQ_E10value_typeET4_jRbjT5_SW_jjP12ihipStream_tbEUlT_E_NS1_11comp_targetILNS1_3genE10ELNS1_11target_archE1200ELNS1_3gpuE4ELNS1_3repE0EEENS1_30default_config_static_selectorELNS0_4arch9wavefront6targetE0EEEvSK_,"axG",@progbits,_ZN7rocprim17ROCPRIM_400000_NS6detail17trampoline_kernelINS0_14default_configENS1_36segmented_radix_sort_config_selectorIflEEZNS1_25segmented_radix_sort_implIS3_Lb0EPKfPfPKlPlN2at6native12_GLOBAL__N_18offset_tEEE10hipError_tPvRmT1_PNSt15iterator_traitsISK_E10value_typeET2_T3_PNSL_ISQ_E10value_typeET4_jRbjT5_SW_jjP12ihipStream_tbEUlT_E_NS1_11comp_targetILNS1_3genE10ELNS1_11target_archE1200ELNS1_3gpuE4ELNS1_3repE0EEENS1_30default_config_static_selectorELNS0_4arch9wavefront6targetE0EEEvSK_,comdat
	.globl	_ZN7rocprim17ROCPRIM_400000_NS6detail17trampoline_kernelINS0_14default_configENS1_36segmented_radix_sort_config_selectorIflEEZNS1_25segmented_radix_sort_implIS3_Lb0EPKfPfPKlPlN2at6native12_GLOBAL__N_18offset_tEEE10hipError_tPvRmT1_PNSt15iterator_traitsISK_E10value_typeET2_T3_PNSL_ISQ_E10value_typeET4_jRbjT5_SW_jjP12ihipStream_tbEUlT_E_NS1_11comp_targetILNS1_3genE10ELNS1_11target_archE1200ELNS1_3gpuE4ELNS1_3repE0EEENS1_30default_config_static_selectorELNS0_4arch9wavefront6targetE0EEEvSK_ ; -- Begin function _ZN7rocprim17ROCPRIM_400000_NS6detail17trampoline_kernelINS0_14default_configENS1_36segmented_radix_sort_config_selectorIflEEZNS1_25segmented_radix_sort_implIS3_Lb0EPKfPfPKlPlN2at6native12_GLOBAL__N_18offset_tEEE10hipError_tPvRmT1_PNSt15iterator_traitsISK_E10value_typeET2_T3_PNSL_ISQ_E10value_typeET4_jRbjT5_SW_jjP12ihipStream_tbEUlT_E_NS1_11comp_targetILNS1_3genE10ELNS1_11target_archE1200ELNS1_3gpuE4ELNS1_3repE0EEENS1_30default_config_static_selectorELNS0_4arch9wavefront6targetE0EEEvSK_
	.p2align	8
	.type	_ZN7rocprim17ROCPRIM_400000_NS6detail17trampoline_kernelINS0_14default_configENS1_36segmented_radix_sort_config_selectorIflEEZNS1_25segmented_radix_sort_implIS3_Lb0EPKfPfPKlPlN2at6native12_GLOBAL__N_18offset_tEEE10hipError_tPvRmT1_PNSt15iterator_traitsISK_E10value_typeET2_T3_PNSL_ISQ_E10value_typeET4_jRbjT5_SW_jjP12ihipStream_tbEUlT_E_NS1_11comp_targetILNS1_3genE10ELNS1_11target_archE1200ELNS1_3gpuE4ELNS1_3repE0EEENS1_30default_config_static_selectorELNS0_4arch9wavefront6targetE0EEEvSK_,@function
_ZN7rocprim17ROCPRIM_400000_NS6detail17trampoline_kernelINS0_14default_configENS1_36segmented_radix_sort_config_selectorIflEEZNS1_25segmented_radix_sort_implIS3_Lb0EPKfPfPKlPlN2at6native12_GLOBAL__N_18offset_tEEE10hipError_tPvRmT1_PNSt15iterator_traitsISK_E10value_typeET2_T3_PNSL_ISQ_E10value_typeET4_jRbjT5_SW_jjP12ihipStream_tbEUlT_E_NS1_11comp_targetILNS1_3genE10ELNS1_11target_archE1200ELNS1_3gpuE4ELNS1_3repE0EEENS1_30default_config_static_selectorELNS0_4arch9wavefront6targetE0EEEvSK_: ; @_ZN7rocprim17ROCPRIM_400000_NS6detail17trampoline_kernelINS0_14default_configENS1_36segmented_radix_sort_config_selectorIflEEZNS1_25segmented_radix_sort_implIS3_Lb0EPKfPfPKlPlN2at6native12_GLOBAL__N_18offset_tEEE10hipError_tPvRmT1_PNSt15iterator_traitsISK_E10value_typeET2_T3_PNSL_ISQ_E10value_typeET4_jRbjT5_SW_jjP12ihipStream_tbEUlT_E_NS1_11comp_targetILNS1_3genE10ELNS1_11target_archE1200ELNS1_3gpuE4ELNS1_3repE0EEENS1_30default_config_static_selectorELNS0_4arch9wavefront6targetE0EEEvSK_
; %bb.0:
	.section	.rodata,"a",@progbits
	.p2align	6, 0x0
	.amdhsa_kernel _ZN7rocprim17ROCPRIM_400000_NS6detail17trampoline_kernelINS0_14default_configENS1_36segmented_radix_sort_config_selectorIflEEZNS1_25segmented_radix_sort_implIS3_Lb0EPKfPfPKlPlN2at6native12_GLOBAL__N_18offset_tEEE10hipError_tPvRmT1_PNSt15iterator_traitsISK_E10value_typeET2_T3_PNSL_ISQ_E10value_typeET4_jRbjT5_SW_jjP12ihipStream_tbEUlT_E_NS1_11comp_targetILNS1_3genE10ELNS1_11target_archE1200ELNS1_3gpuE4ELNS1_3repE0EEENS1_30default_config_static_selectorELNS0_4arch9wavefront6targetE0EEEvSK_
		.amdhsa_group_segment_fixed_size 0
		.amdhsa_private_segment_fixed_size 0
		.amdhsa_kernarg_size 96
		.amdhsa_user_sgpr_count 2
		.amdhsa_user_sgpr_dispatch_ptr 0
		.amdhsa_user_sgpr_queue_ptr 0
		.amdhsa_user_sgpr_kernarg_segment_ptr 1
		.amdhsa_user_sgpr_dispatch_id 0
		.amdhsa_user_sgpr_kernarg_preload_length 0
		.amdhsa_user_sgpr_kernarg_preload_offset 0
		.amdhsa_user_sgpr_private_segment_size 0
		.amdhsa_wavefront_size32 1
		.amdhsa_uses_dynamic_stack 0
		.amdhsa_enable_private_segment 0
		.amdhsa_system_sgpr_workgroup_id_x 1
		.amdhsa_system_sgpr_workgroup_id_y 0
		.amdhsa_system_sgpr_workgroup_id_z 0
		.amdhsa_system_sgpr_workgroup_info 0
		.amdhsa_system_vgpr_workitem_id 0
		.amdhsa_next_free_vgpr 1
		.amdhsa_next_free_sgpr 1
		.amdhsa_named_barrier_count 0
		.amdhsa_reserve_vcc 0
		.amdhsa_float_round_mode_32 0
		.amdhsa_float_round_mode_16_64 0
		.amdhsa_float_denorm_mode_32 3
		.amdhsa_float_denorm_mode_16_64 3
		.amdhsa_fp16_overflow 0
		.amdhsa_memory_ordered 1
		.amdhsa_forward_progress 1
		.amdhsa_inst_pref_size 0
		.amdhsa_round_robin_scheduling 0
		.amdhsa_exception_fp_ieee_invalid_op 0
		.amdhsa_exception_fp_denorm_src 0
		.amdhsa_exception_fp_ieee_div_zero 0
		.amdhsa_exception_fp_ieee_overflow 0
		.amdhsa_exception_fp_ieee_underflow 0
		.amdhsa_exception_fp_ieee_inexact 0
		.amdhsa_exception_int_div_zero 0
	.end_amdhsa_kernel
	.section	.text._ZN7rocprim17ROCPRIM_400000_NS6detail17trampoline_kernelINS0_14default_configENS1_36segmented_radix_sort_config_selectorIflEEZNS1_25segmented_radix_sort_implIS3_Lb0EPKfPfPKlPlN2at6native12_GLOBAL__N_18offset_tEEE10hipError_tPvRmT1_PNSt15iterator_traitsISK_E10value_typeET2_T3_PNSL_ISQ_E10value_typeET4_jRbjT5_SW_jjP12ihipStream_tbEUlT_E_NS1_11comp_targetILNS1_3genE10ELNS1_11target_archE1200ELNS1_3gpuE4ELNS1_3repE0EEENS1_30default_config_static_selectorELNS0_4arch9wavefront6targetE0EEEvSK_,"axG",@progbits,_ZN7rocprim17ROCPRIM_400000_NS6detail17trampoline_kernelINS0_14default_configENS1_36segmented_radix_sort_config_selectorIflEEZNS1_25segmented_radix_sort_implIS3_Lb0EPKfPfPKlPlN2at6native12_GLOBAL__N_18offset_tEEE10hipError_tPvRmT1_PNSt15iterator_traitsISK_E10value_typeET2_T3_PNSL_ISQ_E10value_typeET4_jRbjT5_SW_jjP12ihipStream_tbEUlT_E_NS1_11comp_targetILNS1_3genE10ELNS1_11target_archE1200ELNS1_3gpuE4ELNS1_3repE0EEENS1_30default_config_static_selectorELNS0_4arch9wavefront6targetE0EEEvSK_,comdat
.Lfunc_end1428:
	.size	_ZN7rocprim17ROCPRIM_400000_NS6detail17trampoline_kernelINS0_14default_configENS1_36segmented_radix_sort_config_selectorIflEEZNS1_25segmented_radix_sort_implIS3_Lb0EPKfPfPKlPlN2at6native12_GLOBAL__N_18offset_tEEE10hipError_tPvRmT1_PNSt15iterator_traitsISK_E10value_typeET2_T3_PNSL_ISQ_E10value_typeET4_jRbjT5_SW_jjP12ihipStream_tbEUlT_E_NS1_11comp_targetILNS1_3genE10ELNS1_11target_archE1200ELNS1_3gpuE4ELNS1_3repE0EEENS1_30default_config_static_selectorELNS0_4arch9wavefront6targetE0EEEvSK_, .Lfunc_end1428-_ZN7rocprim17ROCPRIM_400000_NS6detail17trampoline_kernelINS0_14default_configENS1_36segmented_radix_sort_config_selectorIflEEZNS1_25segmented_radix_sort_implIS3_Lb0EPKfPfPKlPlN2at6native12_GLOBAL__N_18offset_tEEE10hipError_tPvRmT1_PNSt15iterator_traitsISK_E10value_typeET2_T3_PNSL_ISQ_E10value_typeET4_jRbjT5_SW_jjP12ihipStream_tbEUlT_E_NS1_11comp_targetILNS1_3genE10ELNS1_11target_archE1200ELNS1_3gpuE4ELNS1_3repE0EEENS1_30default_config_static_selectorELNS0_4arch9wavefront6targetE0EEEvSK_
                                        ; -- End function
	.set _ZN7rocprim17ROCPRIM_400000_NS6detail17trampoline_kernelINS0_14default_configENS1_36segmented_radix_sort_config_selectorIflEEZNS1_25segmented_radix_sort_implIS3_Lb0EPKfPfPKlPlN2at6native12_GLOBAL__N_18offset_tEEE10hipError_tPvRmT1_PNSt15iterator_traitsISK_E10value_typeET2_T3_PNSL_ISQ_E10value_typeET4_jRbjT5_SW_jjP12ihipStream_tbEUlT_E_NS1_11comp_targetILNS1_3genE10ELNS1_11target_archE1200ELNS1_3gpuE4ELNS1_3repE0EEENS1_30default_config_static_selectorELNS0_4arch9wavefront6targetE0EEEvSK_.num_vgpr, 0
	.set _ZN7rocprim17ROCPRIM_400000_NS6detail17trampoline_kernelINS0_14default_configENS1_36segmented_radix_sort_config_selectorIflEEZNS1_25segmented_radix_sort_implIS3_Lb0EPKfPfPKlPlN2at6native12_GLOBAL__N_18offset_tEEE10hipError_tPvRmT1_PNSt15iterator_traitsISK_E10value_typeET2_T3_PNSL_ISQ_E10value_typeET4_jRbjT5_SW_jjP12ihipStream_tbEUlT_E_NS1_11comp_targetILNS1_3genE10ELNS1_11target_archE1200ELNS1_3gpuE4ELNS1_3repE0EEENS1_30default_config_static_selectorELNS0_4arch9wavefront6targetE0EEEvSK_.num_agpr, 0
	.set _ZN7rocprim17ROCPRIM_400000_NS6detail17trampoline_kernelINS0_14default_configENS1_36segmented_radix_sort_config_selectorIflEEZNS1_25segmented_radix_sort_implIS3_Lb0EPKfPfPKlPlN2at6native12_GLOBAL__N_18offset_tEEE10hipError_tPvRmT1_PNSt15iterator_traitsISK_E10value_typeET2_T3_PNSL_ISQ_E10value_typeET4_jRbjT5_SW_jjP12ihipStream_tbEUlT_E_NS1_11comp_targetILNS1_3genE10ELNS1_11target_archE1200ELNS1_3gpuE4ELNS1_3repE0EEENS1_30default_config_static_selectorELNS0_4arch9wavefront6targetE0EEEvSK_.numbered_sgpr, 0
	.set _ZN7rocprim17ROCPRIM_400000_NS6detail17trampoline_kernelINS0_14default_configENS1_36segmented_radix_sort_config_selectorIflEEZNS1_25segmented_radix_sort_implIS3_Lb0EPKfPfPKlPlN2at6native12_GLOBAL__N_18offset_tEEE10hipError_tPvRmT1_PNSt15iterator_traitsISK_E10value_typeET2_T3_PNSL_ISQ_E10value_typeET4_jRbjT5_SW_jjP12ihipStream_tbEUlT_E_NS1_11comp_targetILNS1_3genE10ELNS1_11target_archE1200ELNS1_3gpuE4ELNS1_3repE0EEENS1_30default_config_static_selectorELNS0_4arch9wavefront6targetE0EEEvSK_.num_named_barrier, 0
	.set _ZN7rocprim17ROCPRIM_400000_NS6detail17trampoline_kernelINS0_14default_configENS1_36segmented_radix_sort_config_selectorIflEEZNS1_25segmented_radix_sort_implIS3_Lb0EPKfPfPKlPlN2at6native12_GLOBAL__N_18offset_tEEE10hipError_tPvRmT1_PNSt15iterator_traitsISK_E10value_typeET2_T3_PNSL_ISQ_E10value_typeET4_jRbjT5_SW_jjP12ihipStream_tbEUlT_E_NS1_11comp_targetILNS1_3genE10ELNS1_11target_archE1200ELNS1_3gpuE4ELNS1_3repE0EEENS1_30default_config_static_selectorELNS0_4arch9wavefront6targetE0EEEvSK_.private_seg_size, 0
	.set _ZN7rocprim17ROCPRIM_400000_NS6detail17trampoline_kernelINS0_14default_configENS1_36segmented_radix_sort_config_selectorIflEEZNS1_25segmented_radix_sort_implIS3_Lb0EPKfPfPKlPlN2at6native12_GLOBAL__N_18offset_tEEE10hipError_tPvRmT1_PNSt15iterator_traitsISK_E10value_typeET2_T3_PNSL_ISQ_E10value_typeET4_jRbjT5_SW_jjP12ihipStream_tbEUlT_E_NS1_11comp_targetILNS1_3genE10ELNS1_11target_archE1200ELNS1_3gpuE4ELNS1_3repE0EEENS1_30default_config_static_selectorELNS0_4arch9wavefront6targetE0EEEvSK_.uses_vcc, 0
	.set _ZN7rocprim17ROCPRIM_400000_NS6detail17trampoline_kernelINS0_14default_configENS1_36segmented_radix_sort_config_selectorIflEEZNS1_25segmented_radix_sort_implIS3_Lb0EPKfPfPKlPlN2at6native12_GLOBAL__N_18offset_tEEE10hipError_tPvRmT1_PNSt15iterator_traitsISK_E10value_typeET2_T3_PNSL_ISQ_E10value_typeET4_jRbjT5_SW_jjP12ihipStream_tbEUlT_E_NS1_11comp_targetILNS1_3genE10ELNS1_11target_archE1200ELNS1_3gpuE4ELNS1_3repE0EEENS1_30default_config_static_selectorELNS0_4arch9wavefront6targetE0EEEvSK_.uses_flat_scratch, 0
	.set _ZN7rocprim17ROCPRIM_400000_NS6detail17trampoline_kernelINS0_14default_configENS1_36segmented_radix_sort_config_selectorIflEEZNS1_25segmented_radix_sort_implIS3_Lb0EPKfPfPKlPlN2at6native12_GLOBAL__N_18offset_tEEE10hipError_tPvRmT1_PNSt15iterator_traitsISK_E10value_typeET2_T3_PNSL_ISQ_E10value_typeET4_jRbjT5_SW_jjP12ihipStream_tbEUlT_E_NS1_11comp_targetILNS1_3genE10ELNS1_11target_archE1200ELNS1_3gpuE4ELNS1_3repE0EEENS1_30default_config_static_selectorELNS0_4arch9wavefront6targetE0EEEvSK_.has_dyn_sized_stack, 0
	.set _ZN7rocprim17ROCPRIM_400000_NS6detail17trampoline_kernelINS0_14default_configENS1_36segmented_radix_sort_config_selectorIflEEZNS1_25segmented_radix_sort_implIS3_Lb0EPKfPfPKlPlN2at6native12_GLOBAL__N_18offset_tEEE10hipError_tPvRmT1_PNSt15iterator_traitsISK_E10value_typeET2_T3_PNSL_ISQ_E10value_typeET4_jRbjT5_SW_jjP12ihipStream_tbEUlT_E_NS1_11comp_targetILNS1_3genE10ELNS1_11target_archE1200ELNS1_3gpuE4ELNS1_3repE0EEENS1_30default_config_static_selectorELNS0_4arch9wavefront6targetE0EEEvSK_.has_recursion, 0
	.set _ZN7rocprim17ROCPRIM_400000_NS6detail17trampoline_kernelINS0_14default_configENS1_36segmented_radix_sort_config_selectorIflEEZNS1_25segmented_radix_sort_implIS3_Lb0EPKfPfPKlPlN2at6native12_GLOBAL__N_18offset_tEEE10hipError_tPvRmT1_PNSt15iterator_traitsISK_E10value_typeET2_T3_PNSL_ISQ_E10value_typeET4_jRbjT5_SW_jjP12ihipStream_tbEUlT_E_NS1_11comp_targetILNS1_3genE10ELNS1_11target_archE1200ELNS1_3gpuE4ELNS1_3repE0EEENS1_30default_config_static_selectorELNS0_4arch9wavefront6targetE0EEEvSK_.has_indirect_call, 0
	.section	.AMDGPU.csdata,"",@progbits
; Kernel info:
; codeLenInByte = 0
; TotalNumSgprs: 0
; NumVgprs: 0
; ScratchSize: 0
; MemoryBound: 0
; FloatMode: 240
; IeeeMode: 1
; LDSByteSize: 0 bytes/workgroup (compile time only)
; SGPRBlocks: 0
; VGPRBlocks: 0
; NumSGPRsForWavesPerEU: 1
; NumVGPRsForWavesPerEU: 1
; NamedBarCnt: 0
; Occupancy: 16
; WaveLimiterHint : 0
; COMPUTE_PGM_RSRC2:SCRATCH_EN: 0
; COMPUTE_PGM_RSRC2:USER_SGPR: 2
; COMPUTE_PGM_RSRC2:TRAP_HANDLER: 0
; COMPUTE_PGM_RSRC2:TGID_X_EN: 1
; COMPUTE_PGM_RSRC2:TGID_Y_EN: 0
; COMPUTE_PGM_RSRC2:TGID_Z_EN: 0
; COMPUTE_PGM_RSRC2:TIDIG_COMP_CNT: 0
	.section	.text._ZN7rocprim17ROCPRIM_400000_NS6detail17trampoline_kernelINS0_14default_configENS1_36segmented_radix_sort_config_selectorIflEEZNS1_25segmented_radix_sort_implIS3_Lb0EPKfPfPKlPlN2at6native12_GLOBAL__N_18offset_tEEE10hipError_tPvRmT1_PNSt15iterator_traitsISK_E10value_typeET2_T3_PNSL_ISQ_E10value_typeET4_jRbjT5_SW_jjP12ihipStream_tbEUlT_E_NS1_11comp_targetILNS1_3genE9ELNS1_11target_archE1100ELNS1_3gpuE3ELNS1_3repE0EEENS1_30default_config_static_selectorELNS0_4arch9wavefront6targetE0EEEvSK_,"axG",@progbits,_ZN7rocprim17ROCPRIM_400000_NS6detail17trampoline_kernelINS0_14default_configENS1_36segmented_radix_sort_config_selectorIflEEZNS1_25segmented_radix_sort_implIS3_Lb0EPKfPfPKlPlN2at6native12_GLOBAL__N_18offset_tEEE10hipError_tPvRmT1_PNSt15iterator_traitsISK_E10value_typeET2_T3_PNSL_ISQ_E10value_typeET4_jRbjT5_SW_jjP12ihipStream_tbEUlT_E_NS1_11comp_targetILNS1_3genE9ELNS1_11target_archE1100ELNS1_3gpuE3ELNS1_3repE0EEENS1_30default_config_static_selectorELNS0_4arch9wavefront6targetE0EEEvSK_,comdat
	.globl	_ZN7rocprim17ROCPRIM_400000_NS6detail17trampoline_kernelINS0_14default_configENS1_36segmented_radix_sort_config_selectorIflEEZNS1_25segmented_radix_sort_implIS3_Lb0EPKfPfPKlPlN2at6native12_GLOBAL__N_18offset_tEEE10hipError_tPvRmT1_PNSt15iterator_traitsISK_E10value_typeET2_T3_PNSL_ISQ_E10value_typeET4_jRbjT5_SW_jjP12ihipStream_tbEUlT_E_NS1_11comp_targetILNS1_3genE9ELNS1_11target_archE1100ELNS1_3gpuE3ELNS1_3repE0EEENS1_30default_config_static_selectorELNS0_4arch9wavefront6targetE0EEEvSK_ ; -- Begin function _ZN7rocprim17ROCPRIM_400000_NS6detail17trampoline_kernelINS0_14default_configENS1_36segmented_radix_sort_config_selectorIflEEZNS1_25segmented_radix_sort_implIS3_Lb0EPKfPfPKlPlN2at6native12_GLOBAL__N_18offset_tEEE10hipError_tPvRmT1_PNSt15iterator_traitsISK_E10value_typeET2_T3_PNSL_ISQ_E10value_typeET4_jRbjT5_SW_jjP12ihipStream_tbEUlT_E_NS1_11comp_targetILNS1_3genE9ELNS1_11target_archE1100ELNS1_3gpuE3ELNS1_3repE0EEENS1_30default_config_static_selectorELNS0_4arch9wavefront6targetE0EEEvSK_
	.p2align	8
	.type	_ZN7rocprim17ROCPRIM_400000_NS6detail17trampoline_kernelINS0_14default_configENS1_36segmented_radix_sort_config_selectorIflEEZNS1_25segmented_radix_sort_implIS3_Lb0EPKfPfPKlPlN2at6native12_GLOBAL__N_18offset_tEEE10hipError_tPvRmT1_PNSt15iterator_traitsISK_E10value_typeET2_T3_PNSL_ISQ_E10value_typeET4_jRbjT5_SW_jjP12ihipStream_tbEUlT_E_NS1_11comp_targetILNS1_3genE9ELNS1_11target_archE1100ELNS1_3gpuE3ELNS1_3repE0EEENS1_30default_config_static_selectorELNS0_4arch9wavefront6targetE0EEEvSK_,@function
_ZN7rocprim17ROCPRIM_400000_NS6detail17trampoline_kernelINS0_14default_configENS1_36segmented_radix_sort_config_selectorIflEEZNS1_25segmented_radix_sort_implIS3_Lb0EPKfPfPKlPlN2at6native12_GLOBAL__N_18offset_tEEE10hipError_tPvRmT1_PNSt15iterator_traitsISK_E10value_typeET2_T3_PNSL_ISQ_E10value_typeET4_jRbjT5_SW_jjP12ihipStream_tbEUlT_E_NS1_11comp_targetILNS1_3genE9ELNS1_11target_archE1100ELNS1_3gpuE3ELNS1_3repE0EEENS1_30default_config_static_selectorELNS0_4arch9wavefront6targetE0EEEvSK_: ; @_ZN7rocprim17ROCPRIM_400000_NS6detail17trampoline_kernelINS0_14default_configENS1_36segmented_radix_sort_config_selectorIflEEZNS1_25segmented_radix_sort_implIS3_Lb0EPKfPfPKlPlN2at6native12_GLOBAL__N_18offset_tEEE10hipError_tPvRmT1_PNSt15iterator_traitsISK_E10value_typeET2_T3_PNSL_ISQ_E10value_typeET4_jRbjT5_SW_jjP12ihipStream_tbEUlT_E_NS1_11comp_targetILNS1_3genE9ELNS1_11target_archE1100ELNS1_3gpuE3ELNS1_3repE0EEENS1_30default_config_static_selectorELNS0_4arch9wavefront6targetE0EEEvSK_
; %bb.0:
	.section	.rodata,"a",@progbits
	.p2align	6, 0x0
	.amdhsa_kernel _ZN7rocprim17ROCPRIM_400000_NS6detail17trampoline_kernelINS0_14default_configENS1_36segmented_radix_sort_config_selectorIflEEZNS1_25segmented_radix_sort_implIS3_Lb0EPKfPfPKlPlN2at6native12_GLOBAL__N_18offset_tEEE10hipError_tPvRmT1_PNSt15iterator_traitsISK_E10value_typeET2_T3_PNSL_ISQ_E10value_typeET4_jRbjT5_SW_jjP12ihipStream_tbEUlT_E_NS1_11comp_targetILNS1_3genE9ELNS1_11target_archE1100ELNS1_3gpuE3ELNS1_3repE0EEENS1_30default_config_static_selectorELNS0_4arch9wavefront6targetE0EEEvSK_
		.amdhsa_group_segment_fixed_size 0
		.amdhsa_private_segment_fixed_size 0
		.amdhsa_kernarg_size 96
		.amdhsa_user_sgpr_count 2
		.amdhsa_user_sgpr_dispatch_ptr 0
		.amdhsa_user_sgpr_queue_ptr 0
		.amdhsa_user_sgpr_kernarg_segment_ptr 1
		.amdhsa_user_sgpr_dispatch_id 0
		.amdhsa_user_sgpr_kernarg_preload_length 0
		.amdhsa_user_sgpr_kernarg_preload_offset 0
		.amdhsa_user_sgpr_private_segment_size 0
		.amdhsa_wavefront_size32 1
		.amdhsa_uses_dynamic_stack 0
		.amdhsa_enable_private_segment 0
		.amdhsa_system_sgpr_workgroup_id_x 1
		.amdhsa_system_sgpr_workgroup_id_y 0
		.amdhsa_system_sgpr_workgroup_id_z 0
		.amdhsa_system_sgpr_workgroup_info 0
		.amdhsa_system_vgpr_workitem_id 0
		.amdhsa_next_free_vgpr 1
		.amdhsa_next_free_sgpr 1
		.amdhsa_named_barrier_count 0
		.amdhsa_reserve_vcc 0
		.amdhsa_float_round_mode_32 0
		.amdhsa_float_round_mode_16_64 0
		.amdhsa_float_denorm_mode_32 3
		.amdhsa_float_denorm_mode_16_64 3
		.amdhsa_fp16_overflow 0
		.amdhsa_memory_ordered 1
		.amdhsa_forward_progress 1
		.amdhsa_inst_pref_size 0
		.amdhsa_round_robin_scheduling 0
		.amdhsa_exception_fp_ieee_invalid_op 0
		.amdhsa_exception_fp_denorm_src 0
		.amdhsa_exception_fp_ieee_div_zero 0
		.amdhsa_exception_fp_ieee_overflow 0
		.amdhsa_exception_fp_ieee_underflow 0
		.amdhsa_exception_fp_ieee_inexact 0
		.amdhsa_exception_int_div_zero 0
	.end_amdhsa_kernel
	.section	.text._ZN7rocprim17ROCPRIM_400000_NS6detail17trampoline_kernelINS0_14default_configENS1_36segmented_radix_sort_config_selectorIflEEZNS1_25segmented_radix_sort_implIS3_Lb0EPKfPfPKlPlN2at6native12_GLOBAL__N_18offset_tEEE10hipError_tPvRmT1_PNSt15iterator_traitsISK_E10value_typeET2_T3_PNSL_ISQ_E10value_typeET4_jRbjT5_SW_jjP12ihipStream_tbEUlT_E_NS1_11comp_targetILNS1_3genE9ELNS1_11target_archE1100ELNS1_3gpuE3ELNS1_3repE0EEENS1_30default_config_static_selectorELNS0_4arch9wavefront6targetE0EEEvSK_,"axG",@progbits,_ZN7rocprim17ROCPRIM_400000_NS6detail17trampoline_kernelINS0_14default_configENS1_36segmented_radix_sort_config_selectorIflEEZNS1_25segmented_radix_sort_implIS3_Lb0EPKfPfPKlPlN2at6native12_GLOBAL__N_18offset_tEEE10hipError_tPvRmT1_PNSt15iterator_traitsISK_E10value_typeET2_T3_PNSL_ISQ_E10value_typeET4_jRbjT5_SW_jjP12ihipStream_tbEUlT_E_NS1_11comp_targetILNS1_3genE9ELNS1_11target_archE1100ELNS1_3gpuE3ELNS1_3repE0EEENS1_30default_config_static_selectorELNS0_4arch9wavefront6targetE0EEEvSK_,comdat
.Lfunc_end1429:
	.size	_ZN7rocprim17ROCPRIM_400000_NS6detail17trampoline_kernelINS0_14default_configENS1_36segmented_radix_sort_config_selectorIflEEZNS1_25segmented_radix_sort_implIS3_Lb0EPKfPfPKlPlN2at6native12_GLOBAL__N_18offset_tEEE10hipError_tPvRmT1_PNSt15iterator_traitsISK_E10value_typeET2_T3_PNSL_ISQ_E10value_typeET4_jRbjT5_SW_jjP12ihipStream_tbEUlT_E_NS1_11comp_targetILNS1_3genE9ELNS1_11target_archE1100ELNS1_3gpuE3ELNS1_3repE0EEENS1_30default_config_static_selectorELNS0_4arch9wavefront6targetE0EEEvSK_, .Lfunc_end1429-_ZN7rocprim17ROCPRIM_400000_NS6detail17trampoline_kernelINS0_14default_configENS1_36segmented_radix_sort_config_selectorIflEEZNS1_25segmented_radix_sort_implIS3_Lb0EPKfPfPKlPlN2at6native12_GLOBAL__N_18offset_tEEE10hipError_tPvRmT1_PNSt15iterator_traitsISK_E10value_typeET2_T3_PNSL_ISQ_E10value_typeET4_jRbjT5_SW_jjP12ihipStream_tbEUlT_E_NS1_11comp_targetILNS1_3genE9ELNS1_11target_archE1100ELNS1_3gpuE3ELNS1_3repE0EEENS1_30default_config_static_selectorELNS0_4arch9wavefront6targetE0EEEvSK_
                                        ; -- End function
	.set _ZN7rocprim17ROCPRIM_400000_NS6detail17trampoline_kernelINS0_14default_configENS1_36segmented_radix_sort_config_selectorIflEEZNS1_25segmented_radix_sort_implIS3_Lb0EPKfPfPKlPlN2at6native12_GLOBAL__N_18offset_tEEE10hipError_tPvRmT1_PNSt15iterator_traitsISK_E10value_typeET2_T3_PNSL_ISQ_E10value_typeET4_jRbjT5_SW_jjP12ihipStream_tbEUlT_E_NS1_11comp_targetILNS1_3genE9ELNS1_11target_archE1100ELNS1_3gpuE3ELNS1_3repE0EEENS1_30default_config_static_selectorELNS0_4arch9wavefront6targetE0EEEvSK_.num_vgpr, 0
	.set _ZN7rocprim17ROCPRIM_400000_NS6detail17trampoline_kernelINS0_14default_configENS1_36segmented_radix_sort_config_selectorIflEEZNS1_25segmented_radix_sort_implIS3_Lb0EPKfPfPKlPlN2at6native12_GLOBAL__N_18offset_tEEE10hipError_tPvRmT1_PNSt15iterator_traitsISK_E10value_typeET2_T3_PNSL_ISQ_E10value_typeET4_jRbjT5_SW_jjP12ihipStream_tbEUlT_E_NS1_11comp_targetILNS1_3genE9ELNS1_11target_archE1100ELNS1_3gpuE3ELNS1_3repE0EEENS1_30default_config_static_selectorELNS0_4arch9wavefront6targetE0EEEvSK_.num_agpr, 0
	.set _ZN7rocprim17ROCPRIM_400000_NS6detail17trampoline_kernelINS0_14default_configENS1_36segmented_radix_sort_config_selectorIflEEZNS1_25segmented_radix_sort_implIS3_Lb0EPKfPfPKlPlN2at6native12_GLOBAL__N_18offset_tEEE10hipError_tPvRmT1_PNSt15iterator_traitsISK_E10value_typeET2_T3_PNSL_ISQ_E10value_typeET4_jRbjT5_SW_jjP12ihipStream_tbEUlT_E_NS1_11comp_targetILNS1_3genE9ELNS1_11target_archE1100ELNS1_3gpuE3ELNS1_3repE0EEENS1_30default_config_static_selectorELNS0_4arch9wavefront6targetE0EEEvSK_.numbered_sgpr, 0
	.set _ZN7rocprim17ROCPRIM_400000_NS6detail17trampoline_kernelINS0_14default_configENS1_36segmented_radix_sort_config_selectorIflEEZNS1_25segmented_radix_sort_implIS3_Lb0EPKfPfPKlPlN2at6native12_GLOBAL__N_18offset_tEEE10hipError_tPvRmT1_PNSt15iterator_traitsISK_E10value_typeET2_T3_PNSL_ISQ_E10value_typeET4_jRbjT5_SW_jjP12ihipStream_tbEUlT_E_NS1_11comp_targetILNS1_3genE9ELNS1_11target_archE1100ELNS1_3gpuE3ELNS1_3repE0EEENS1_30default_config_static_selectorELNS0_4arch9wavefront6targetE0EEEvSK_.num_named_barrier, 0
	.set _ZN7rocprim17ROCPRIM_400000_NS6detail17trampoline_kernelINS0_14default_configENS1_36segmented_radix_sort_config_selectorIflEEZNS1_25segmented_radix_sort_implIS3_Lb0EPKfPfPKlPlN2at6native12_GLOBAL__N_18offset_tEEE10hipError_tPvRmT1_PNSt15iterator_traitsISK_E10value_typeET2_T3_PNSL_ISQ_E10value_typeET4_jRbjT5_SW_jjP12ihipStream_tbEUlT_E_NS1_11comp_targetILNS1_3genE9ELNS1_11target_archE1100ELNS1_3gpuE3ELNS1_3repE0EEENS1_30default_config_static_selectorELNS0_4arch9wavefront6targetE0EEEvSK_.private_seg_size, 0
	.set _ZN7rocprim17ROCPRIM_400000_NS6detail17trampoline_kernelINS0_14default_configENS1_36segmented_radix_sort_config_selectorIflEEZNS1_25segmented_radix_sort_implIS3_Lb0EPKfPfPKlPlN2at6native12_GLOBAL__N_18offset_tEEE10hipError_tPvRmT1_PNSt15iterator_traitsISK_E10value_typeET2_T3_PNSL_ISQ_E10value_typeET4_jRbjT5_SW_jjP12ihipStream_tbEUlT_E_NS1_11comp_targetILNS1_3genE9ELNS1_11target_archE1100ELNS1_3gpuE3ELNS1_3repE0EEENS1_30default_config_static_selectorELNS0_4arch9wavefront6targetE0EEEvSK_.uses_vcc, 0
	.set _ZN7rocprim17ROCPRIM_400000_NS6detail17trampoline_kernelINS0_14default_configENS1_36segmented_radix_sort_config_selectorIflEEZNS1_25segmented_radix_sort_implIS3_Lb0EPKfPfPKlPlN2at6native12_GLOBAL__N_18offset_tEEE10hipError_tPvRmT1_PNSt15iterator_traitsISK_E10value_typeET2_T3_PNSL_ISQ_E10value_typeET4_jRbjT5_SW_jjP12ihipStream_tbEUlT_E_NS1_11comp_targetILNS1_3genE9ELNS1_11target_archE1100ELNS1_3gpuE3ELNS1_3repE0EEENS1_30default_config_static_selectorELNS0_4arch9wavefront6targetE0EEEvSK_.uses_flat_scratch, 0
	.set _ZN7rocprim17ROCPRIM_400000_NS6detail17trampoline_kernelINS0_14default_configENS1_36segmented_radix_sort_config_selectorIflEEZNS1_25segmented_radix_sort_implIS3_Lb0EPKfPfPKlPlN2at6native12_GLOBAL__N_18offset_tEEE10hipError_tPvRmT1_PNSt15iterator_traitsISK_E10value_typeET2_T3_PNSL_ISQ_E10value_typeET4_jRbjT5_SW_jjP12ihipStream_tbEUlT_E_NS1_11comp_targetILNS1_3genE9ELNS1_11target_archE1100ELNS1_3gpuE3ELNS1_3repE0EEENS1_30default_config_static_selectorELNS0_4arch9wavefront6targetE0EEEvSK_.has_dyn_sized_stack, 0
	.set _ZN7rocprim17ROCPRIM_400000_NS6detail17trampoline_kernelINS0_14default_configENS1_36segmented_radix_sort_config_selectorIflEEZNS1_25segmented_radix_sort_implIS3_Lb0EPKfPfPKlPlN2at6native12_GLOBAL__N_18offset_tEEE10hipError_tPvRmT1_PNSt15iterator_traitsISK_E10value_typeET2_T3_PNSL_ISQ_E10value_typeET4_jRbjT5_SW_jjP12ihipStream_tbEUlT_E_NS1_11comp_targetILNS1_3genE9ELNS1_11target_archE1100ELNS1_3gpuE3ELNS1_3repE0EEENS1_30default_config_static_selectorELNS0_4arch9wavefront6targetE0EEEvSK_.has_recursion, 0
	.set _ZN7rocprim17ROCPRIM_400000_NS6detail17trampoline_kernelINS0_14default_configENS1_36segmented_radix_sort_config_selectorIflEEZNS1_25segmented_radix_sort_implIS3_Lb0EPKfPfPKlPlN2at6native12_GLOBAL__N_18offset_tEEE10hipError_tPvRmT1_PNSt15iterator_traitsISK_E10value_typeET2_T3_PNSL_ISQ_E10value_typeET4_jRbjT5_SW_jjP12ihipStream_tbEUlT_E_NS1_11comp_targetILNS1_3genE9ELNS1_11target_archE1100ELNS1_3gpuE3ELNS1_3repE0EEENS1_30default_config_static_selectorELNS0_4arch9wavefront6targetE0EEEvSK_.has_indirect_call, 0
	.section	.AMDGPU.csdata,"",@progbits
; Kernel info:
; codeLenInByte = 0
; TotalNumSgprs: 0
; NumVgprs: 0
; ScratchSize: 0
; MemoryBound: 0
; FloatMode: 240
; IeeeMode: 1
; LDSByteSize: 0 bytes/workgroup (compile time only)
; SGPRBlocks: 0
; VGPRBlocks: 0
; NumSGPRsForWavesPerEU: 1
; NumVGPRsForWavesPerEU: 1
; NamedBarCnt: 0
; Occupancy: 16
; WaveLimiterHint : 0
; COMPUTE_PGM_RSRC2:SCRATCH_EN: 0
; COMPUTE_PGM_RSRC2:USER_SGPR: 2
; COMPUTE_PGM_RSRC2:TRAP_HANDLER: 0
; COMPUTE_PGM_RSRC2:TGID_X_EN: 1
; COMPUTE_PGM_RSRC2:TGID_Y_EN: 0
; COMPUTE_PGM_RSRC2:TGID_Z_EN: 0
; COMPUTE_PGM_RSRC2:TIDIG_COMP_CNT: 0
	.section	.text._ZN7rocprim17ROCPRIM_400000_NS6detail17trampoline_kernelINS0_14default_configENS1_36segmented_radix_sort_config_selectorIflEEZNS1_25segmented_radix_sort_implIS3_Lb0EPKfPfPKlPlN2at6native12_GLOBAL__N_18offset_tEEE10hipError_tPvRmT1_PNSt15iterator_traitsISK_E10value_typeET2_T3_PNSL_ISQ_E10value_typeET4_jRbjT5_SW_jjP12ihipStream_tbEUlT_E_NS1_11comp_targetILNS1_3genE8ELNS1_11target_archE1030ELNS1_3gpuE2ELNS1_3repE0EEENS1_30default_config_static_selectorELNS0_4arch9wavefront6targetE0EEEvSK_,"axG",@progbits,_ZN7rocprim17ROCPRIM_400000_NS6detail17trampoline_kernelINS0_14default_configENS1_36segmented_radix_sort_config_selectorIflEEZNS1_25segmented_radix_sort_implIS3_Lb0EPKfPfPKlPlN2at6native12_GLOBAL__N_18offset_tEEE10hipError_tPvRmT1_PNSt15iterator_traitsISK_E10value_typeET2_T3_PNSL_ISQ_E10value_typeET4_jRbjT5_SW_jjP12ihipStream_tbEUlT_E_NS1_11comp_targetILNS1_3genE8ELNS1_11target_archE1030ELNS1_3gpuE2ELNS1_3repE0EEENS1_30default_config_static_selectorELNS0_4arch9wavefront6targetE0EEEvSK_,comdat
	.globl	_ZN7rocprim17ROCPRIM_400000_NS6detail17trampoline_kernelINS0_14default_configENS1_36segmented_radix_sort_config_selectorIflEEZNS1_25segmented_radix_sort_implIS3_Lb0EPKfPfPKlPlN2at6native12_GLOBAL__N_18offset_tEEE10hipError_tPvRmT1_PNSt15iterator_traitsISK_E10value_typeET2_T3_PNSL_ISQ_E10value_typeET4_jRbjT5_SW_jjP12ihipStream_tbEUlT_E_NS1_11comp_targetILNS1_3genE8ELNS1_11target_archE1030ELNS1_3gpuE2ELNS1_3repE0EEENS1_30default_config_static_selectorELNS0_4arch9wavefront6targetE0EEEvSK_ ; -- Begin function _ZN7rocprim17ROCPRIM_400000_NS6detail17trampoline_kernelINS0_14default_configENS1_36segmented_radix_sort_config_selectorIflEEZNS1_25segmented_radix_sort_implIS3_Lb0EPKfPfPKlPlN2at6native12_GLOBAL__N_18offset_tEEE10hipError_tPvRmT1_PNSt15iterator_traitsISK_E10value_typeET2_T3_PNSL_ISQ_E10value_typeET4_jRbjT5_SW_jjP12ihipStream_tbEUlT_E_NS1_11comp_targetILNS1_3genE8ELNS1_11target_archE1030ELNS1_3gpuE2ELNS1_3repE0EEENS1_30default_config_static_selectorELNS0_4arch9wavefront6targetE0EEEvSK_
	.p2align	8
	.type	_ZN7rocprim17ROCPRIM_400000_NS6detail17trampoline_kernelINS0_14default_configENS1_36segmented_radix_sort_config_selectorIflEEZNS1_25segmented_radix_sort_implIS3_Lb0EPKfPfPKlPlN2at6native12_GLOBAL__N_18offset_tEEE10hipError_tPvRmT1_PNSt15iterator_traitsISK_E10value_typeET2_T3_PNSL_ISQ_E10value_typeET4_jRbjT5_SW_jjP12ihipStream_tbEUlT_E_NS1_11comp_targetILNS1_3genE8ELNS1_11target_archE1030ELNS1_3gpuE2ELNS1_3repE0EEENS1_30default_config_static_selectorELNS0_4arch9wavefront6targetE0EEEvSK_,@function
_ZN7rocprim17ROCPRIM_400000_NS6detail17trampoline_kernelINS0_14default_configENS1_36segmented_radix_sort_config_selectorIflEEZNS1_25segmented_radix_sort_implIS3_Lb0EPKfPfPKlPlN2at6native12_GLOBAL__N_18offset_tEEE10hipError_tPvRmT1_PNSt15iterator_traitsISK_E10value_typeET2_T3_PNSL_ISQ_E10value_typeET4_jRbjT5_SW_jjP12ihipStream_tbEUlT_E_NS1_11comp_targetILNS1_3genE8ELNS1_11target_archE1030ELNS1_3gpuE2ELNS1_3repE0EEENS1_30default_config_static_selectorELNS0_4arch9wavefront6targetE0EEEvSK_: ; @_ZN7rocprim17ROCPRIM_400000_NS6detail17trampoline_kernelINS0_14default_configENS1_36segmented_radix_sort_config_selectorIflEEZNS1_25segmented_radix_sort_implIS3_Lb0EPKfPfPKlPlN2at6native12_GLOBAL__N_18offset_tEEE10hipError_tPvRmT1_PNSt15iterator_traitsISK_E10value_typeET2_T3_PNSL_ISQ_E10value_typeET4_jRbjT5_SW_jjP12ihipStream_tbEUlT_E_NS1_11comp_targetILNS1_3genE8ELNS1_11target_archE1030ELNS1_3gpuE2ELNS1_3repE0EEENS1_30default_config_static_selectorELNS0_4arch9wavefront6targetE0EEEvSK_
; %bb.0:
	.section	.rodata,"a",@progbits
	.p2align	6, 0x0
	.amdhsa_kernel _ZN7rocprim17ROCPRIM_400000_NS6detail17trampoline_kernelINS0_14default_configENS1_36segmented_radix_sort_config_selectorIflEEZNS1_25segmented_radix_sort_implIS3_Lb0EPKfPfPKlPlN2at6native12_GLOBAL__N_18offset_tEEE10hipError_tPvRmT1_PNSt15iterator_traitsISK_E10value_typeET2_T3_PNSL_ISQ_E10value_typeET4_jRbjT5_SW_jjP12ihipStream_tbEUlT_E_NS1_11comp_targetILNS1_3genE8ELNS1_11target_archE1030ELNS1_3gpuE2ELNS1_3repE0EEENS1_30default_config_static_selectorELNS0_4arch9wavefront6targetE0EEEvSK_
		.amdhsa_group_segment_fixed_size 0
		.amdhsa_private_segment_fixed_size 0
		.amdhsa_kernarg_size 96
		.amdhsa_user_sgpr_count 2
		.amdhsa_user_sgpr_dispatch_ptr 0
		.amdhsa_user_sgpr_queue_ptr 0
		.amdhsa_user_sgpr_kernarg_segment_ptr 1
		.amdhsa_user_sgpr_dispatch_id 0
		.amdhsa_user_sgpr_kernarg_preload_length 0
		.amdhsa_user_sgpr_kernarg_preload_offset 0
		.amdhsa_user_sgpr_private_segment_size 0
		.amdhsa_wavefront_size32 1
		.amdhsa_uses_dynamic_stack 0
		.amdhsa_enable_private_segment 0
		.amdhsa_system_sgpr_workgroup_id_x 1
		.amdhsa_system_sgpr_workgroup_id_y 0
		.amdhsa_system_sgpr_workgroup_id_z 0
		.amdhsa_system_sgpr_workgroup_info 0
		.amdhsa_system_vgpr_workitem_id 0
		.amdhsa_next_free_vgpr 1
		.amdhsa_next_free_sgpr 1
		.amdhsa_named_barrier_count 0
		.amdhsa_reserve_vcc 0
		.amdhsa_float_round_mode_32 0
		.amdhsa_float_round_mode_16_64 0
		.amdhsa_float_denorm_mode_32 3
		.amdhsa_float_denorm_mode_16_64 3
		.amdhsa_fp16_overflow 0
		.amdhsa_memory_ordered 1
		.amdhsa_forward_progress 1
		.amdhsa_inst_pref_size 0
		.amdhsa_round_robin_scheduling 0
		.amdhsa_exception_fp_ieee_invalid_op 0
		.amdhsa_exception_fp_denorm_src 0
		.amdhsa_exception_fp_ieee_div_zero 0
		.amdhsa_exception_fp_ieee_overflow 0
		.amdhsa_exception_fp_ieee_underflow 0
		.amdhsa_exception_fp_ieee_inexact 0
		.amdhsa_exception_int_div_zero 0
	.end_amdhsa_kernel
	.section	.text._ZN7rocprim17ROCPRIM_400000_NS6detail17trampoline_kernelINS0_14default_configENS1_36segmented_radix_sort_config_selectorIflEEZNS1_25segmented_radix_sort_implIS3_Lb0EPKfPfPKlPlN2at6native12_GLOBAL__N_18offset_tEEE10hipError_tPvRmT1_PNSt15iterator_traitsISK_E10value_typeET2_T3_PNSL_ISQ_E10value_typeET4_jRbjT5_SW_jjP12ihipStream_tbEUlT_E_NS1_11comp_targetILNS1_3genE8ELNS1_11target_archE1030ELNS1_3gpuE2ELNS1_3repE0EEENS1_30default_config_static_selectorELNS0_4arch9wavefront6targetE0EEEvSK_,"axG",@progbits,_ZN7rocprim17ROCPRIM_400000_NS6detail17trampoline_kernelINS0_14default_configENS1_36segmented_radix_sort_config_selectorIflEEZNS1_25segmented_radix_sort_implIS3_Lb0EPKfPfPKlPlN2at6native12_GLOBAL__N_18offset_tEEE10hipError_tPvRmT1_PNSt15iterator_traitsISK_E10value_typeET2_T3_PNSL_ISQ_E10value_typeET4_jRbjT5_SW_jjP12ihipStream_tbEUlT_E_NS1_11comp_targetILNS1_3genE8ELNS1_11target_archE1030ELNS1_3gpuE2ELNS1_3repE0EEENS1_30default_config_static_selectorELNS0_4arch9wavefront6targetE0EEEvSK_,comdat
.Lfunc_end1430:
	.size	_ZN7rocprim17ROCPRIM_400000_NS6detail17trampoline_kernelINS0_14default_configENS1_36segmented_radix_sort_config_selectorIflEEZNS1_25segmented_radix_sort_implIS3_Lb0EPKfPfPKlPlN2at6native12_GLOBAL__N_18offset_tEEE10hipError_tPvRmT1_PNSt15iterator_traitsISK_E10value_typeET2_T3_PNSL_ISQ_E10value_typeET4_jRbjT5_SW_jjP12ihipStream_tbEUlT_E_NS1_11comp_targetILNS1_3genE8ELNS1_11target_archE1030ELNS1_3gpuE2ELNS1_3repE0EEENS1_30default_config_static_selectorELNS0_4arch9wavefront6targetE0EEEvSK_, .Lfunc_end1430-_ZN7rocprim17ROCPRIM_400000_NS6detail17trampoline_kernelINS0_14default_configENS1_36segmented_radix_sort_config_selectorIflEEZNS1_25segmented_radix_sort_implIS3_Lb0EPKfPfPKlPlN2at6native12_GLOBAL__N_18offset_tEEE10hipError_tPvRmT1_PNSt15iterator_traitsISK_E10value_typeET2_T3_PNSL_ISQ_E10value_typeET4_jRbjT5_SW_jjP12ihipStream_tbEUlT_E_NS1_11comp_targetILNS1_3genE8ELNS1_11target_archE1030ELNS1_3gpuE2ELNS1_3repE0EEENS1_30default_config_static_selectorELNS0_4arch9wavefront6targetE0EEEvSK_
                                        ; -- End function
	.set _ZN7rocprim17ROCPRIM_400000_NS6detail17trampoline_kernelINS0_14default_configENS1_36segmented_radix_sort_config_selectorIflEEZNS1_25segmented_radix_sort_implIS3_Lb0EPKfPfPKlPlN2at6native12_GLOBAL__N_18offset_tEEE10hipError_tPvRmT1_PNSt15iterator_traitsISK_E10value_typeET2_T3_PNSL_ISQ_E10value_typeET4_jRbjT5_SW_jjP12ihipStream_tbEUlT_E_NS1_11comp_targetILNS1_3genE8ELNS1_11target_archE1030ELNS1_3gpuE2ELNS1_3repE0EEENS1_30default_config_static_selectorELNS0_4arch9wavefront6targetE0EEEvSK_.num_vgpr, 0
	.set _ZN7rocprim17ROCPRIM_400000_NS6detail17trampoline_kernelINS0_14default_configENS1_36segmented_radix_sort_config_selectorIflEEZNS1_25segmented_radix_sort_implIS3_Lb0EPKfPfPKlPlN2at6native12_GLOBAL__N_18offset_tEEE10hipError_tPvRmT1_PNSt15iterator_traitsISK_E10value_typeET2_T3_PNSL_ISQ_E10value_typeET4_jRbjT5_SW_jjP12ihipStream_tbEUlT_E_NS1_11comp_targetILNS1_3genE8ELNS1_11target_archE1030ELNS1_3gpuE2ELNS1_3repE0EEENS1_30default_config_static_selectorELNS0_4arch9wavefront6targetE0EEEvSK_.num_agpr, 0
	.set _ZN7rocprim17ROCPRIM_400000_NS6detail17trampoline_kernelINS0_14default_configENS1_36segmented_radix_sort_config_selectorIflEEZNS1_25segmented_radix_sort_implIS3_Lb0EPKfPfPKlPlN2at6native12_GLOBAL__N_18offset_tEEE10hipError_tPvRmT1_PNSt15iterator_traitsISK_E10value_typeET2_T3_PNSL_ISQ_E10value_typeET4_jRbjT5_SW_jjP12ihipStream_tbEUlT_E_NS1_11comp_targetILNS1_3genE8ELNS1_11target_archE1030ELNS1_3gpuE2ELNS1_3repE0EEENS1_30default_config_static_selectorELNS0_4arch9wavefront6targetE0EEEvSK_.numbered_sgpr, 0
	.set _ZN7rocprim17ROCPRIM_400000_NS6detail17trampoline_kernelINS0_14default_configENS1_36segmented_radix_sort_config_selectorIflEEZNS1_25segmented_radix_sort_implIS3_Lb0EPKfPfPKlPlN2at6native12_GLOBAL__N_18offset_tEEE10hipError_tPvRmT1_PNSt15iterator_traitsISK_E10value_typeET2_T3_PNSL_ISQ_E10value_typeET4_jRbjT5_SW_jjP12ihipStream_tbEUlT_E_NS1_11comp_targetILNS1_3genE8ELNS1_11target_archE1030ELNS1_3gpuE2ELNS1_3repE0EEENS1_30default_config_static_selectorELNS0_4arch9wavefront6targetE0EEEvSK_.num_named_barrier, 0
	.set _ZN7rocprim17ROCPRIM_400000_NS6detail17trampoline_kernelINS0_14default_configENS1_36segmented_radix_sort_config_selectorIflEEZNS1_25segmented_radix_sort_implIS3_Lb0EPKfPfPKlPlN2at6native12_GLOBAL__N_18offset_tEEE10hipError_tPvRmT1_PNSt15iterator_traitsISK_E10value_typeET2_T3_PNSL_ISQ_E10value_typeET4_jRbjT5_SW_jjP12ihipStream_tbEUlT_E_NS1_11comp_targetILNS1_3genE8ELNS1_11target_archE1030ELNS1_3gpuE2ELNS1_3repE0EEENS1_30default_config_static_selectorELNS0_4arch9wavefront6targetE0EEEvSK_.private_seg_size, 0
	.set _ZN7rocprim17ROCPRIM_400000_NS6detail17trampoline_kernelINS0_14default_configENS1_36segmented_radix_sort_config_selectorIflEEZNS1_25segmented_radix_sort_implIS3_Lb0EPKfPfPKlPlN2at6native12_GLOBAL__N_18offset_tEEE10hipError_tPvRmT1_PNSt15iterator_traitsISK_E10value_typeET2_T3_PNSL_ISQ_E10value_typeET4_jRbjT5_SW_jjP12ihipStream_tbEUlT_E_NS1_11comp_targetILNS1_3genE8ELNS1_11target_archE1030ELNS1_3gpuE2ELNS1_3repE0EEENS1_30default_config_static_selectorELNS0_4arch9wavefront6targetE0EEEvSK_.uses_vcc, 0
	.set _ZN7rocprim17ROCPRIM_400000_NS6detail17trampoline_kernelINS0_14default_configENS1_36segmented_radix_sort_config_selectorIflEEZNS1_25segmented_radix_sort_implIS3_Lb0EPKfPfPKlPlN2at6native12_GLOBAL__N_18offset_tEEE10hipError_tPvRmT1_PNSt15iterator_traitsISK_E10value_typeET2_T3_PNSL_ISQ_E10value_typeET4_jRbjT5_SW_jjP12ihipStream_tbEUlT_E_NS1_11comp_targetILNS1_3genE8ELNS1_11target_archE1030ELNS1_3gpuE2ELNS1_3repE0EEENS1_30default_config_static_selectorELNS0_4arch9wavefront6targetE0EEEvSK_.uses_flat_scratch, 0
	.set _ZN7rocprim17ROCPRIM_400000_NS6detail17trampoline_kernelINS0_14default_configENS1_36segmented_radix_sort_config_selectorIflEEZNS1_25segmented_radix_sort_implIS3_Lb0EPKfPfPKlPlN2at6native12_GLOBAL__N_18offset_tEEE10hipError_tPvRmT1_PNSt15iterator_traitsISK_E10value_typeET2_T3_PNSL_ISQ_E10value_typeET4_jRbjT5_SW_jjP12ihipStream_tbEUlT_E_NS1_11comp_targetILNS1_3genE8ELNS1_11target_archE1030ELNS1_3gpuE2ELNS1_3repE0EEENS1_30default_config_static_selectorELNS0_4arch9wavefront6targetE0EEEvSK_.has_dyn_sized_stack, 0
	.set _ZN7rocprim17ROCPRIM_400000_NS6detail17trampoline_kernelINS0_14default_configENS1_36segmented_radix_sort_config_selectorIflEEZNS1_25segmented_radix_sort_implIS3_Lb0EPKfPfPKlPlN2at6native12_GLOBAL__N_18offset_tEEE10hipError_tPvRmT1_PNSt15iterator_traitsISK_E10value_typeET2_T3_PNSL_ISQ_E10value_typeET4_jRbjT5_SW_jjP12ihipStream_tbEUlT_E_NS1_11comp_targetILNS1_3genE8ELNS1_11target_archE1030ELNS1_3gpuE2ELNS1_3repE0EEENS1_30default_config_static_selectorELNS0_4arch9wavefront6targetE0EEEvSK_.has_recursion, 0
	.set _ZN7rocprim17ROCPRIM_400000_NS6detail17trampoline_kernelINS0_14default_configENS1_36segmented_radix_sort_config_selectorIflEEZNS1_25segmented_radix_sort_implIS3_Lb0EPKfPfPKlPlN2at6native12_GLOBAL__N_18offset_tEEE10hipError_tPvRmT1_PNSt15iterator_traitsISK_E10value_typeET2_T3_PNSL_ISQ_E10value_typeET4_jRbjT5_SW_jjP12ihipStream_tbEUlT_E_NS1_11comp_targetILNS1_3genE8ELNS1_11target_archE1030ELNS1_3gpuE2ELNS1_3repE0EEENS1_30default_config_static_selectorELNS0_4arch9wavefront6targetE0EEEvSK_.has_indirect_call, 0
	.section	.AMDGPU.csdata,"",@progbits
; Kernel info:
; codeLenInByte = 0
; TotalNumSgprs: 0
; NumVgprs: 0
; ScratchSize: 0
; MemoryBound: 0
; FloatMode: 240
; IeeeMode: 1
; LDSByteSize: 0 bytes/workgroup (compile time only)
; SGPRBlocks: 0
; VGPRBlocks: 0
; NumSGPRsForWavesPerEU: 1
; NumVGPRsForWavesPerEU: 1
; NamedBarCnt: 0
; Occupancy: 16
; WaveLimiterHint : 0
; COMPUTE_PGM_RSRC2:SCRATCH_EN: 0
; COMPUTE_PGM_RSRC2:USER_SGPR: 2
; COMPUTE_PGM_RSRC2:TRAP_HANDLER: 0
; COMPUTE_PGM_RSRC2:TGID_X_EN: 1
; COMPUTE_PGM_RSRC2:TGID_Y_EN: 0
; COMPUTE_PGM_RSRC2:TGID_Z_EN: 0
; COMPUTE_PGM_RSRC2:TIDIG_COMP_CNT: 0
	.text
	.p2align	2                               ; -- Begin function _ZN7rocprim17ROCPRIM_400000_NS6detail26segmented_warp_sort_helperINS1_20WarpSortHelperConfigILj32ELj4ELj256EEEflLi256ELb0EvE4sortIPKfPfPKlPlEEvT_T0_T1_T2_jjjjRNS5_12storage_typeE
	.type	_ZN7rocprim17ROCPRIM_400000_NS6detail26segmented_warp_sort_helperINS1_20WarpSortHelperConfigILj32ELj4ELj256EEEflLi256ELb0EvE4sortIPKfPfPKlPlEEvT_T0_T1_T2_jjjjRNS5_12storage_typeE,@function
_ZN7rocprim17ROCPRIM_400000_NS6detail26segmented_warp_sort_helperINS1_20WarpSortHelperConfigILj32ELj4ELj256EEEflLi256ELb0EvE4sortIPKfPfPKlPlEEvT_T0_T1_T2_jjjjRNS5_12storage_typeE: ; @_ZN7rocprim17ROCPRIM_400000_NS6detail26segmented_warp_sort_helperINS1_20WarpSortHelperConfigILj32ELj4ELj256EEEflLi256ELb0EvE4sortIPKfPfPKlPlEEvT_T0_T1_T2_jjjjRNS5_12storage_typeE
; %bb.0:
	s_wait_loadcnt_dscnt 0x0
	s_wait_kmcnt 0x0
	v_dual_mov_b32 v12, v9 :: v_dual_mov_b32 v9, 0
	v_mbcnt_lo_u32_b32 v13, -1, 0
	v_bfrev_b32_e32 v38, -2
	v_bfrev_b32_e32 v48, -2
	s_delay_alu instid0(VALU_DEP_4) | instskip(SKIP_3) | instid1(VALU_DEP_2)
	v_sub_nc_u32_e32 v12, v12, v8
	v_lshl_add_u64 v[0:1], v[8:9], 2, v[0:1]
	v_dual_mov_b32 v15, v9 :: v_dual_lshlrev_b32 v14, 4, v13
	v_lshlrev_b32_e32 v50, 2, v13
	v_add_nc_u64_e32 v[0:1], v[0:1], v[14:15]
	s_delay_alu instid0(VALU_DEP_2)
	v_cmp_lt_u32_e32 vcc_lo, v50, v12
	s_and_saveexec_b32 s0, vcc_lo
	s_cbranch_execz .LBB1431_2
; %bb.1:
	flat_load_b32 v48, v[0:1]
.LBB1431_2:
	s_wait_xcnt 0x0
	s_or_b32 exec_lo, exec_lo, s0
	v_or_b32_e32 v13, 1, v50
	s_delay_alu instid0(VALU_DEP_1)
	v_cmp_lt_u32_e64 s0, v13, v12
	s_and_saveexec_b32 s1, s0
	s_cbranch_execz .LBB1431_4
; %bb.3:
	flat_load_b32 v38, v[0:1] offset:4
.LBB1431_4:
	s_wait_xcnt 0x0
	s_or_b32 exec_lo, exec_lo, s1
	v_or_b32_e32 v13, 2, v50
	v_bfrev_b32_e32 v37, -2
	v_bfrev_b32_e32 v39, -2
	s_delay_alu instid0(VALU_DEP_3)
	v_cmp_lt_u32_e64 s1, v13, v12
	s_and_saveexec_b32 s2, s1
	s_cbranch_execz .LBB1431_6
; %bb.5:
	flat_load_b32 v39, v[0:1] offset:8
.LBB1431_6:
	s_wait_xcnt 0x0
	s_or_b32 exec_lo, exec_lo, s2
	v_or_b32_e32 v13, 3, v50
	s_delay_alu instid0(VALU_DEP_1)
	v_cmp_lt_u32_e64 s2, v13, v12
	s_and_saveexec_b32 s3, s2
	s_cbranch_execz .LBB1431_8
; %bb.7:
	flat_load_b32 v37, v[0:1] offset:12
.LBB1431_8:
	s_wait_xcnt 0x0
	s_or_b32 exec_lo, exec_lo, s3
	v_lshl_add_u64 v[4:5], v[8:9], 3, v[4:5]
	v_dual_mov_b32 v1, 0 :: v_dual_lshlrev_b32 v0, 3, v50
	; wave barrier
	s_delay_alu instid0(VALU_DEP_1)
	v_add_nc_u64_e32 v[4:5], v[4:5], v[0:1]
	v_dual_mov_b32 v12, v1 :: v_dual_mov_b32 v13, v1
	v_dual_mov_b32 v14, v1 :: v_dual_mov_b32 v15, v1
	;; [unrolled: 1-line block ×4, first 2 shown]
	s_and_saveexec_b32 s3, vcc_lo
	s_cbranch_execnz .LBB1431_155
; %bb.9:
	s_or_b32 exec_lo, exec_lo, s3
	s_and_saveexec_b32 s3, s0
	s_cbranch_execnz .LBB1431_156
.LBB1431_10:
	s_or_b32 exec_lo, exec_lo, s3
	s_and_saveexec_b32 s3, s1
	s_cbranch_execnz .LBB1431_157
.LBB1431_11:
	s_or_b32 exec_lo, exec_lo, s3
	s_and_saveexec_b32 s3, s2
	s_cbranch_execz .LBB1431_13
.LBB1431_12:
	flat_load_b64 v[18:19], v[4:5] offset:24
.LBB1431_13:
	s_wait_xcnt 0x0
	s_or_b32 exec_lo, exec_lo, s3
	; wave barrier
	s_load_b64 s[4:5], s[8:9], 0x0
	s_bfe_u32 s6, ttmp6, 0x4000c
	s_bfe_u32 s10, ttmp6, 0x40010
	s_and_b32 s7, ttmp7, 0xffff
	s_add_co_i32 s6, s6, 1
	s_add_co_i32 s10, s10, 1
	s_and_b32 s3, ttmp6, 15
	s_bfe_u32 s11, ttmp6, 0x40004
	s_mul_i32 s6, ttmp9, s6
	s_mul_i32 s10, s7, s10
	s_getreg_b32 s12, hwreg(HW_REG_IB_STS2, 6, 4)
	s_add_co_i32 s3, s3, s6
	s_add_co_i32 s11, s11, s10
	s_cmp_eq_u32 s12, 0
	v_bfe_u32 v1, v31, 10, 10
	s_cselect_b32 s3, ttmp9, s3
	s_cselect_b32 s10, s7, s11
	s_mov_b32 s7, 0
	v_bfe_u32 v4, v31, 20, 10
	s_wait_loadcnt_dscnt 0x0
	v_mov_b64_e32 v[20:21], v[38:39]
	s_wait_kmcnt 0x0
	s_cmp_lt_u32 s3, s4
	s_cselect_b32 s6, 12, 18
	s_cmp_lt_u32 s10, s5
	s_mov_b32 s5, s7
	s_cselect_b32 s4, 14, 20
	s_delay_alu instid0(SALU_CYCLE_1)
	s_add_nc_u64 s[4:5], s[8:9], s[4:5]
	s_load_u16 s3, s[4:5], 0x0
	s_wait_xcnt 0x0
	s_add_nc_u64 s[4:5], s[8:9], s[6:7]
	s_load_u16 s4, s[4:5], 0x0
	s_wait_xcnt 0x0
	s_mov_b32 s5, exec_lo
	s_wait_kmcnt 0x0
	v_mad_u32_u24 v1, v4, s3, v1
	v_and_b32_e32 v4, 0x3ff, v31
	s_delay_alu instid0(VALU_DEP_2) | instskip(NEXT) | instid1(VALU_DEP_1)
	v_mul_lo_u32 v1, v1, s4
	v_add_lshl_u32 v1, v1, v4, 2
	s_delay_alu instid0(VALU_DEP_1)
	v_cmpx_gt_u32_e32 0x400, v1
	s_cbranch_execz .LBB1431_25
; %bb.14:
	v_dual_mov_b32 v49, v38 :: v_dual_mov_b32 v36, v39
	s_mov_b32 s6, exec_lo
	s_delay_alu instid0(VALU_DEP_1) | instskip(NEXT) | instid1(VALU_DEP_2)
	v_pk_add_f32 v[4:5], v[48:49], 0 op_sel_hi:[1,0]
	v_pk_add_f32 v[20:21], v[36:37], 0 op_sel_hi:[1,0]
	s_delay_alu instid0(VALU_DEP_2) | instskip(NEXT) | instid1(VALU_DEP_2)
	v_dual_ashrrev_i32 v22, 31, v5 :: v_dual_ashrrev_i32 v23, 31, v4
	v_dual_ashrrev_i32 v24, 31, v21 :: v_dual_ashrrev_i32 v25, 31, v20
	s_delay_alu instid0(VALU_DEP_2) | instskip(NEXT) | instid1(VALU_DEP_3)
	v_or_b32_e32 v22, 0x80000000, v22
	v_or_b32_e32 v23, 0x80000000, v23
	s_delay_alu instid0(VALU_DEP_3) | instskip(NEXT) | instid1(VALU_DEP_4)
	v_or_b32_e32 v24, 0x80000000, v24
	v_or_b32_e32 v25, 0x80000000, v25
	s_delay_alu instid0(VALU_DEP_4) | instskip(NEXT) | instid1(VALU_DEP_4)
	v_xor_b32_e32 v22, v22, v5
	v_xor_b32_e32 v4, v23, v4
	s_delay_alu instid0(VALU_DEP_1)
	v_cmp_gt_u32_e64 s3, v4, v22
	v_xor_b32_e32 v26, v24, v21
	v_xor_b32_e32 v5, v25, v20
	v_mov_b64_e32 v[24:25], v[16:17]
	v_mov_b32_e32 v4, v39
	v_dual_cndmask_b32 v23, v15, v13, s3 :: v_dual_cndmask_b32 v22, v14, v12, s3
	v_dual_cndmask_b32 v21, v13, v15, s3 :: v_dual_cndmask_b32 v20, v12, v14, s3
	v_cmpx_gt_u32_e64 v5, v26
; %bb.15:
	v_mov_b64_e32 v[24:25], v[18:19]
	v_mov_b64_e32 v[18:19], v[16:17]
	v_dual_mov_b32 v4, v37 :: v_dual_mov_b32 v37, v39
	v_mov_b32_e32 v5, v26
; %bb.16:
	s_or_b32 exec_lo, exec_lo, s6
	v_cndmask_b32_e64 v13, v38, v48, s3
                                        ; implicit-def: $vgpr36
	s_delay_alu instid0(VALU_DEP_1) | instskip(NEXT) | instid1(VALU_DEP_1)
	v_dual_mov_b32 v26, v18 :: v_dual_add_f32 v12, 0, v13
	v_mov_b64_e32 v[34:35], v[26:27]
	v_mov_b64_e32 v[28:29], v[20:21]
	;; [unrolled: 1-line block ×4, first 2 shown]
	v_ashrrev_i32_e32 v14, 31, v12
	s_delay_alu instid0(VALU_DEP_1) | instskip(NEXT) | instid1(VALU_DEP_1)
	v_bitop3_b32 v12, v14, v12, 0x80000000 bitop3:0x36
	v_cmp_le_u32_e64 s4, v12, v5
	s_and_saveexec_b32 s6, s4
	s_delay_alu instid0(SALU_CYCLE_1)
	s_xor_b32 s4, exec_lo, s6
; %bb.17:
	v_add_f32_e32 v5, 0, v4
                                        ; implicit-def: $vgpr28_vgpr29_vgpr30_vgpr31_vgpr32_vgpr33_vgpr34_vgpr35
	s_delay_alu instid0(VALU_DEP_1) | instskip(NEXT) | instid1(VALU_DEP_1)
	v_ashrrev_i32_e32 v14, 31, v5
	v_bitop3_b32 v36, v14, v5, 0x80000000 bitop3:0x36
                                        ; implicit-def: $vgpr5
; %bb.18:
	s_or_saveexec_b32 s4, s4
	v_dual_mov_b32 v27, v19 :: v_dual_mov_b32 v30, v13
	s_xor_b32 exec_lo, exec_lo, s4
	s_cbranch_execz .LBB1431_20
; %bb.19:
	v_dual_mov_b32 v30, v24 :: v_dual_mov_b32 v31, v25
	v_dual_mov_b32 v32, v22 :: v_dual_mov_b32 v33, v23
	v_dual_mov_b32 v34, v18 :: v_dual_mov_b32 v35, v19
	v_mov_b64_e32 v[20:21], v[28:29]
	s_delay_alu instid0(VALU_DEP_4) | instskip(NEXT) | instid1(VALU_DEP_4)
	v_mov_b64_e32 v[22:23], v[30:31]
	v_mov_b64_e32 v[24:25], v[32:33]
	v_mov_b32_e32 v36, v12
	v_mov_b64_e32 v[26:27], v[34:35]
	v_dual_mov_b32 v30, v4 :: v_dual_mov_b32 v4, v13
	v_mov_b32_e32 v12, v5
.LBB1431_20:
	s_or_b32 exec_lo, exec_lo, s4
	v_dual_cndmask_b32 v28, v48, v38, s3 :: v_dual_add_f32 v13, 0, v37
	s_delay_alu instid0(VALU_DEP_4) | instskip(SKIP_1) | instid1(VALU_DEP_2)
	v_dual_mov_b32 v17, v25 :: v_dual_mov_b32 v18, v26
	s_mov_b32 s6, exec_lo
	v_dual_add_f32 v5, 0, v28 :: v_dual_ashrrev_i32 v15, 31, v13
	s_delay_alu instid0(VALU_DEP_1) | instskip(NEXT) | instid1(VALU_DEP_2)
	v_dual_mov_b32 v16, v24 :: v_dual_ashrrev_i32 v14, 31, v5
	v_bitop3_b32 v29, v15, v13, 0x80000000 bitop3:0x36
	s_delay_alu instid0(VALU_DEP_2) | instskip(NEXT) | instid1(VALU_DEP_1)
	v_bitop3_b32 v5, v14, v5, 0x80000000 bitop3:0x36
	v_cmp_gt_u32_e64 s3, v5, v12
	v_dual_mov_b32 v19, v27 :: v_dual_mov_b32 v5, v4
	s_delay_alu instid0(VALU_DEP_2)
	v_dual_cndmask_b32 v15, v23, v21, s3 :: v_dual_cndmask_b32 v13, v21, v23, s3
	v_dual_cndmask_b32 v14, v22, v20, s3 :: v_dual_cndmask_b32 v12, v20, v22, s3
	v_cmpx_gt_u32_e64 v36, v29
; %bb.21:
	v_dual_mov_b32 v16, v26 :: v_dual_mov_b32 v17, v27
	v_dual_mov_b32 v18, v24 :: v_dual_mov_b32 v19, v25
	;; [unrolled: 1-line block ×3, first 2 shown]
	v_mov_b32_e32 v36, v29
; %bb.22:
	s_or_b32 exec_lo, exec_lo, s6
	s_delay_alu instid0(VALU_DEP_2) | instskip(NEXT) | instid1(VALU_DEP_1)
	v_dual_cndmask_b32 v4, v30, v28, s3 :: v_dual_mov_b32 v39, v5
	v_add_f32_e32 v20, 0, v4
	s_delay_alu instid0(VALU_DEP_1) | instskip(NEXT) | instid1(VALU_DEP_1)
	v_ashrrev_i32_e32 v21, 31, v20
	v_bitop3_b32 v20, v21, v20, 0x80000000 bitop3:0x36
	s_delay_alu instid0(VALU_DEP_1)
	v_cmp_gt_u32_e64 s4, v20, v36
	v_mov_b64_e32 v[20:21], v[4:5]
	s_and_saveexec_b32 s6, s4
	s_cbranch_execz .LBB1431_24
; %bb.23:
	v_dual_mov_b32 v64, v12 :: v_dual_mov_b32 v65, v13
	v_dual_mov_b32 v66, v16 :: v_dual_mov_b32 v67, v17
	;; [unrolled: 1-line block ×4, first 2 shown]
	s_delay_alu instid0(VALU_DEP_4) | instskip(NEXT) | instid1(VALU_DEP_4)
	v_mov_b64_e32 v[12:13], v[64:65]
	v_mov_b64_e32 v[14:15], v[66:67]
	s_delay_alu instid0(VALU_DEP_4)
	v_mov_b64_e32 v[16:17], v[68:69]
	v_dual_mov_b32 v20, v5 :: v_dual_mov_b32 v21, v4
	v_mov_b64_e32 v[18:19], v[70:71]
	v_dual_mov_b32 v39, v4 :: v_dual_mov_b32 v4, v5
.LBB1431_24:
	s_or_b32 exec_lo, exec_lo, s6
	v_cndmask_b32_e64 v48, v28, v30, s3
	s_delay_alu instid0(VALU_DEP_2)
	v_mov_b32_e32 v38, v4
.LBB1431_25:
	s_or_b32 exec_lo, exec_lo, s5
	v_and_b32_e32 v22, 0xffffff80, v1
	v_dual_mov_b32 v23, 0 :: v_dual_bitop2_b32 v24, 4, v50 bitop3:0x54
	v_and_b32_e32 v34, 0x78, v50
	s_mov_b32 s4, exec_lo
	s_delay_alu instid0(VALU_DEP_3) | instskip(NEXT) | instid1(VALU_DEP_3)
	v_sub_nc_u32_e64 v1, 0x400, v22 clamp
	v_lshlrev_b64_e32 v[4:5], 2, v[22:23]
	s_delay_alu instid0(VALU_DEP_2) | instskip(NEXT) | instid1(VALU_DEP_2)
	v_min_u32_e32 v32, v1, v24
	v_add_nc_u64_e32 v[10:11], v[10:11], v[4:5]
	s_delay_alu instid0(VALU_DEP_2) | instskip(NEXT) | instid1(VALU_DEP_1)
	v_add_min_u32_e64 v33, v32, 4, v1
	v_dual_sub_nc_u32 v24, v33, v32 :: v_dual_bitop2_b32 v22, 4, v50 bitop3:0x40
	s_delay_alu instid0(VALU_DEP_3) | instskip(NEXT) | instid1(VALU_DEP_2)
	v_add_nc_u64_e32 v[4:5], v[10:11], v[4:5]
	v_min_u32_e32 v35, v1, v22
	v_sub_nc_u32_e32 v22, v32, v34
	v_lshl_add_u32 v5, v50, 2, v10
	s_delay_alu instid0(VALU_DEP_3) | instskip(SKIP_1) | instid1(VALU_DEP_4)
	v_sub_nc_u32_e64 v36, v35, v24 clamp
	v_lshl_add_u32 v31, v50, 3, v4
	v_min_u32_e32 v26, v35, v22
	s_delay_alu instid0(VALU_DEP_2)
	v_add_nc_u32_e32 v22, 0x1000, v31
	ds_store_2addr_b32 v5, v20, v21 offset0:1 offset1:2
	ds_store_2addr_b32 v5, v48, v37 offset1:3
	ds_store_2addr_b64 v22, v[12:13], v[14:15] offset1:1
	ds_store_2addr_b64 v22, v[16:17], v[18:19] offset0:2 offset1:3
	; wave barrier
	v_cmpx_lt_u32_e64 v36, v26
	s_cbranch_execz .LBB1431_29
; %bb.26:
	v_lshlrev_b32_e32 v22, 2, v34
	s_mov_b32 s5, 0
	s_delay_alu instid0(VALU_DEP_1) | instskip(SKIP_1) | instid1(VALU_DEP_1)
	v_add_nc_u64_e32 v[24:25], v[10:11], v[22:23]
	v_lshlrev_b32_e32 v22, 2, v32
	v_add_nc_u64_e32 v[22:23], v[10:11], v[22:23]
.LBB1431_27:                            ; =>This Inner Loop Header: Depth=1
	v_add_nc_u32_e32 v23, v26, v36
	s_delay_alu instid0(VALU_DEP_1) | instskip(NEXT) | instid1(VALU_DEP_1)
	v_lshrrev_b32_e32 v23, 1, v23
	v_xad_u32 v25, v23, -1, v35
	v_lshl_add_u32 v27, v23, 2, v24
	s_delay_alu instid0(VALU_DEP_2) | instskip(SKIP_4) | instid1(VALU_DEP_1)
	v_lshl_add_u32 v25, v25, 2, v22
	ds_load_b32 v28, v27
	ds_load_b32 v29, v25
	s_wait_dscnt 0x0
	v_pk_add_f32 v[28:29], v[28:29], 0 op_sel_hi:[1,0]
	v_dual_ashrrev_i32 v25, 31, v29 :: v_dual_ashrrev_i32 v27, 31, v28
	s_delay_alu instid0(VALU_DEP_1) | instskip(NEXT) | instid1(VALU_DEP_2)
	v_or_b32_e32 v25, 0x80000000, v25
	v_or_b32_e32 v27, 0x80000000, v27
	s_delay_alu instid0(VALU_DEP_2) | instskip(NEXT) | instid1(VALU_DEP_2)
	v_xor_b32_e32 v25, v25, v29
	v_dual_add_nc_u32 v28, 1, v23 :: v_dual_bitop2_b32 v27, v27, v28 bitop3:0x14
	s_delay_alu instid0(VALU_DEP_1) | instskip(NEXT) | instid1(VALU_DEP_1)
	v_cmp_gt_u32_e64 s3, v27, v25
	v_dual_cndmask_b32 v26, v26, v23, s3 :: v_dual_cndmask_b32 v36, v28, v36, s3
	s_delay_alu instid0(VALU_DEP_1) | instskip(SKIP_1) | instid1(SALU_CYCLE_1)
	v_cmp_ge_u32_e64 s3, v36, v26
	s_or_b32 s5, s3, s5
	s_and_not1_b32 exec_lo, exec_lo, s5
	s_cbranch_execnz .LBB1431_27
; %bb.28:
	s_or_b32 exec_lo, exec_lo, s5
.LBB1431_29:
	s_delay_alu instid0(SALU_CYCLE_1) | instskip(SKIP_4) | instid1(VALU_DEP_4)
	s_or_b32 exec_lo, exec_lo, s4
	v_add_nc_u32_e32 v23, v32, v35
	v_add_nc_u32_e32 v22, v36, v34
	;; [unrolled: 1-line block ×3, first 2 shown]
	v_dual_add_nc_u32 v26, 4, v5 :: v_dual_add_nc_u32 v28, 12, v5
	v_sub_nc_u32_e32 v23, v23, v36
	s_delay_alu instid0(VALU_DEP_4)
	v_cmp_le_u32_e64 s3, v22, v32
	v_add_nc_u32_e32 v29, 0x1008, v31
	v_add_nc_u32_e32 v30, 0x1010, v31
	;; [unrolled: 1-line block ×3, first 2 shown]
	v_cmp_le_u32_e64 s4, v23, v33
	s_or_b32 s3, s3, s4
	s_delay_alu instid0(SALU_CYCLE_1)
	s_and_saveexec_b32 s5, s3
	s_cbranch_execz .LBB1431_49
; %bb.30:
	v_cmp_ge_u32_e64 s3, v22, v32
	s_mov_b32 s6, exec_lo
                                        ; implicit-def: $vgpr20
	v_cmpx_lt_u32_e64 v22, v32
; %bb.31:
	v_lshl_add_u32 v12, v22, 2, v10
	ds_load_b32 v20, v12
; %bb.32:
	s_or_b32 exec_lo, exec_lo, s6
	v_cmp_ge_u32_e64 s6, v23, v33
	s_mov_b32 s7, exec_lo
	v_cmpx_lt_u32_e64 v23, v33
; %bb.33:
	v_lshl_add_u32 v12, v23, 2, v10
	ds_load_b32 v21, v12
; %bb.34:
	s_or_b32 exec_lo, exec_lo, s7
	s_nor_b32 s3, s3, s6
	s_delay_alu instid0(SALU_CYCLE_1)
	s_and_saveexec_b32 s4, s3
	s_cbranch_execz .LBB1431_36
; %bb.35:
	s_wait_dscnt 0x0
	v_pk_add_f32 v[12:13], v[20:21], 0 op_sel_hi:[1,0]
	s_and_not1_b32 s6, s6, exec_lo
	s_delay_alu instid0(VALU_DEP_1) | instskip(NEXT) | instid1(VALU_DEP_1)
	v_dual_ashrrev_i32 v14, 31, v13 :: v_dual_ashrrev_i32 v15, 31, v12
	v_or_b32_e32 v14, 0x80000000, v14
	s_delay_alu instid0(VALU_DEP_2) | instskip(NEXT) | instid1(VALU_DEP_2)
	v_or_b32_e32 v15, 0x80000000, v15
	v_xor_b32_e32 v13, v14, v13
	s_delay_alu instid0(VALU_DEP_2) | instskip(NEXT) | instid1(VALU_DEP_1)
	v_xor_b32_e32 v12, v15, v12
	v_cmp_le_u32_e64 s3, v12, v13
	s_and_b32 s3, s3, exec_lo
	s_delay_alu instid0(SALU_CYCLE_1)
	s_or_b32 s6, s6, s3
.LBB1431_36:
	s_or_b32 exec_lo, exec_lo, s4
	v_dual_cndmask_b32 v12, v23, v22, s6 :: v_dual_cndmask_b32 v13, v33, v32, s6
	s_mov_b32 s7, -1
	s_mov_b32 s4, -1
	s_mov_b32 s8, exec_lo
	s_delay_alu instid0(VALU_DEP_1) | instskip(SKIP_1) | instid1(VALU_DEP_2)
	v_add_nc_u32_e32 v14, 1, v12
	v_lshl_add_u32 v12, v12, 3, v4
	v_add_min_u32_e64 v13, v13, -1, v14
	s_delay_alu instid0(VALU_DEP_1)
	v_lshl_add_u32 v13, v13, 2, v10
	ds_load_b32 v15, v13
	ds_load_b64 v[12:13], v12 offset:4096
	s_wait_dscnt 0x1
	v_dual_cndmask_b32 v17, v22, v14, s6 :: v_dual_cndmask_b32 v22, v15, v21, s6
	v_cndmask_b32_e64 v16, v14, v23, s6
	v_cndmask_b32_e64 v23, v20, v15, s6
	s_delay_alu instid0(VALU_DEP_2)
	v_cmpx_lt_u32_e64 v16, v33
	s_cbranch_execz .LBB1431_40
; %bb.37:
	s_mov_b32 s9, 0
	s_mov_b32 s4, exec_lo
	v_cmpx_lt_u32_e64 v17, v32
; %bb.38:
	v_dual_add_f32 v14, 0, v23 :: v_dual_add_f32 v15, 0, v22
	s_delay_alu instid0(VALU_DEP_1) | instskip(NEXT) | instid1(VALU_DEP_1)
	v_dual_ashrrev_i32 v18, 31, v14 :: v_dual_ashrrev_i32 v19, 31, v15
	v_bitop3_b32 v14, v18, v14, 0x80000000 bitop3:0x36
	s_delay_alu instid0(VALU_DEP_2) | instskip(NEXT) | instid1(VALU_DEP_1)
	v_bitop3_b32 v15, v19, v15, 0x80000000 bitop3:0x36
	v_cmp_le_u32_e64 s3, v14, v15
	s_and_b32 s9, s3, exec_lo
; %bb.39:
	s_or_b32 exec_lo, exec_lo, s4
	s_delay_alu instid0(SALU_CYCLE_1)
	s_or_not1_b32 s4, s9, exec_lo
.LBB1431_40:
	s_or_b32 exec_lo, exec_lo, s8
	v_dual_cndmask_b32 v14, v16, v17, s4 :: v_dual_cndmask_b32 v15, v33, v32, s4
	s_mov_b32 s8, exec_lo
	s_delay_alu instid0(VALU_DEP_1) | instskip(SKIP_1) | instid1(VALU_DEP_2)
	v_add_nc_u32_e32 v19, 1, v14
	v_lshl_add_u32 v14, v14, 3, v4
	v_add_min_u32_e64 v15, v15, -1, v19
	s_delay_alu instid0(VALU_DEP_1)
	v_lshl_add_u32 v15, v15, 2, v10
	ds_load_b32 v25, v15
	ds_load_b64 v[14:15], v14 offset:4096
	s_wait_dscnt 0x1
	v_dual_cndmask_b32 v24, v25, v22, s4 :: v_dual_cndmask_b32 v25, v23, v25, s4
	v_dual_cndmask_b32 v18, v19, v16, s4 :: v_dual_cndmask_b32 v19, v17, v19, s4
	s_delay_alu instid0(VALU_DEP_1)
	v_cmpx_lt_u32_e64 v18, v33
	s_cbranch_execz .LBB1431_44
; %bb.41:
	s_mov_b32 s9, 0
	s_mov_b32 s7, exec_lo
	v_cmpx_lt_u32_e64 v19, v32
; %bb.42:
	v_dual_add_f32 v16, 0, v25 :: v_dual_add_f32 v17, 0, v24
	s_delay_alu instid0(VALU_DEP_1) | instskip(NEXT) | instid1(VALU_DEP_1)
	v_dual_ashrrev_i32 v34, 31, v16 :: v_dual_ashrrev_i32 v35, 31, v17
	v_bitop3_b32 v16, v34, v16, 0x80000000 bitop3:0x36
	s_delay_alu instid0(VALU_DEP_2) | instskip(NEXT) | instid1(VALU_DEP_1)
	v_bitop3_b32 v17, v35, v17, 0x80000000 bitop3:0x36
	v_cmp_le_u32_e64 s3, v16, v17
	s_and_b32 s9, s3, exec_lo
; %bb.43:
	s_or_b32 exec_lo, exec_lo, s7
	s_delay_alu instid0(SALU_CYCLE_1)
	s_or_not1_b32 s7, s9, exec_lo
.LBB1431_44:
	s_or_b32 exec_lo, exec_lo, s8
	s_delay_alu instid0(VALU_DEP_2) | instskip(SKIP_2) | instid1(VALU_DEP_1)
	v_dual_cndmask_b32 v16, v18, v19, s7 :: v_dual_cndmask_b32 v17, v33, v32, s7
	s_mov_b32 s9, -1
	s_mov_b32 s8, exec_lo
	v_add_nc_u32_e32 v34, 1, v16
	v_lshl_add_u32 v16, v16, 3, v4
	s_delay_alu instid0(VALU_DEP_2) | instskip(SKIP_1) | instid1(VALU_DEP_2)
	v_add_min_u32_e64 v17, v17, -1, v34
	v_cndmask_b32_e64 v19, v19, v34, s7
	v_lshl_add_u32 v17, v17, 2, v10
	ds_load_b32 v35, v17
	ds_load_b64 v[16:17], v16 offset:4096
	s_wait_dscnt 0x1
	v_dual_cndmask_b32 v18, v34, v18, s7 :: v_dual_cndmask_b32 v34, v35, v24, s7
	v_cndmask_b32_e64 v35, v25, v35, s7
	s_delay_alu instid0(VALU_DEP_2)
	v_cmpx_lt_u32_e64 v18, v33
	s_cbranch_execz .LBB1431_48
; %bb.45:
	s_mov_b32 s10, 0
	s_mov_b32 s9, exec_lo
	v_cmpx_lt_u32_e64 v19, v32
; %bb.46:
	v_dual_add_f32 v32, 0, v35 :: v_dual_add_f32 v33, 0, v34
	s_delay_alu instid0(VALU_DEP_1) | instskip(NEXT) | instid1(VALU_DEP_1)
	v_dual_ashrrev_i32 v36, 31, v32 :: v_dual_ashrrev_i32 v37, 31, v33
	v_bitop3_b32 v32, v36, v32, 0x80000000 bitop3:0x36
	s_delay_alu instid0(VALU_DEP_2) | instskip(NEXT) | instid1(VALU_DEP_1)
	v_bitop3_b32 v33, v37, v33, 0x80000000 bitop3:0x36
	v_cmp_le_u32_e64 s3, v32, v33
	s_and_b32 s10, s3, exec_lo
; %bb.47:
	s_or_b32 exec_lo, exec_lo, s9
	s_delay_alu instid0(SALU_CYCLE_1)
	s_or_not1_b32 s9, s10, exec_lo
.LBB1431_48:
	s_or_b32 exec_lo, exec_lo, s8
	v_dual_cndmask_b32 v18, v18, v19, s9 :: v_dual_cndmask_b32 v39, v24, v25, s7
	v_dual_cndmask_b32 v38, v22, v23, s4 :: v_dual_cndmask_b32 v48, v21, v20, s6
	v_cndmask_b32_e64 v37, v34, v35, s9
	s_delay_alu instid0(VALU_DEP_3) | instskip(NEXT) | instid1(VALU_DEP_3)
	v_lshl_add_u32 v18, v18, 3, v4
	v_mov_b64_e32 v[20:21], v[38:39]
	ds_load_b64 v[18:19], v18 offset:4096
.LBB1431_49:
	s_or_b32 exec_lo, exec_lo, s5
	v_and_b32_e32 v34, 0x70, v50
	s_mov_b32 s4, exec_lo
	; wave barrier
	ds_store_b32 v5, v48
	v_or_b32_e32 v22, 8, v34
	ds_store_b64 v27, v[12:13]
	ds_store_b64 v29, v[14:15]
	ds_store_2addr_b32 v26, v20, v21 offset1:1
	s_wait_dscnt 0x5
	ds_store_b64 v30, v[16:17]
	ds_store_b32 v28, v37
	s_wait_dscnt 0x6
	ds_store_b64 v31, v[18:19]
	; wave barrier
	v_min_u32_e32 v32, v1, v22
	v_and_b32_e32 v22, 12, v50
	s_delay_alu instid0(VALU_DEP_2) | instskip(NEXT) | instid1(VALU_DEP_2)
	v_add_min_u32_e64 v33, v32, 8, v1
	v_min_u32_e32 v35, v1, v22
	s_delay_alu instid0(VALU_DEP_2) | instskip(NEXT) | instid1(VALU_DEP_1)
	v_dual_sub_nc_u32 v23, v32, v34 :: v_dual_sub_nc_u32 v22, v33, v32
	v_min_u32_e32 v49, v35, v23
	s_delay_alu instid0(VALU_DEP_2) | instskip(NEXT) | instid1(VALU_DEP_1)
	v_sub_nc_u32_e64 v36, v35, v22 clamp
	v_cmpx_lt_u32_e64 v36, v49
	s_cbranch_execz .LBB1431_53
; %bb.50:
	v_dual_mov_b32 v25, 0 :: v_dual_lshlrev_b32 v24, 2, v34
	s_mov_b32 s5, 0
	s_delay_alu instid0(VALU_DEP_1) | instskip(SKIP_1) | instid1(VALU_DEP_1)
	v_add_nc_u64_e32 v[22:23], v[10:11], v[24:25]
	v_lshlrev_b32_e32 v24, 2, v32
	v_add_nc_u64_e32 v[24:25], v[10:11], v[24:25]
.LBB1431_51:                            ; =>This Inner Loop Header: Depth=1
	v_add_nc_u32_e32 v23, v49, v36
	s_delay_alu instid0(VALU_DEP_1) | instskip(NEXT) | instid1(VALU_DEP_1)
	v_lshrrev_b32_e32 v23, 1, v23
	v_xad_u32 v25, v23, -1, v35
	v_lshl_add_u32 v51, v23, 2, v22
	s_delay_alu instid0(VALU_DEP_2) | instskip(SKIP_4) | instid1(VALU_DEP_1)
	v_lshl_add_u32 v25, v25, 2, v24
	ds_load_b32 v52, v51
	ds_load_b32 v53, v25
	s_wait_dscnt 0x0
	v_pk_add_f32 v[52:53], v[52:53], 0 op_sel_hi:[1,0]
	v_dual_ashrrev_i32 v25, 31, v53 :: v_dual_ashrrev_i32 v51, 31, v52
	s_delay_alu instid0(VALU_DEP_1) | instskip(NEXT) | instid1(VALU_DEP_2)
	v_or_b32_e32 v25, 0x80000000, v25
	v_or_b32_e32 v51, 0x80000000, v51
	s_delay_alu instid0(VALU_DEP_2) | instskip(NEXT) | instid1(VALU_DEP_2)
	v_xor_b32_e32 v25, v25, v53
	v_dual_add_nc_u32 v52, 1, v23 :: v_dual_bitop2_b32 v51, v51, v52 bitop3:0x14
	s_delay_alu instid0(VALU_DEP_1) | instskip(NEXT) | instid1(VALU_DEP_1)
	v_cmp_gt_u32_e64 s3, v51, v25
	v_dual_cndmask_b32 v49, v49, v23, s3 :: v_dual_cndmask_b32 v36, v52, v36, s3
	s_delay_alu instid0(VALU_DEP_1) | instskip(SKIP_1) | instid1(SALU_CYCLE_1)
	v_cmp_ge_u32_e64 s3, v36, v49
	s_or_b32 s5, s3, s5
	s_and_not1_b32 exec_lo, exec_lo, s5
	s_cbranch_execnz .LBB1431_51
; %bb.52:
	s_or_b32 exec_lo, exec_lo, s5
.LBB1431_53:
	s_delay_alu instid0(SALU_CYCLE_1) | instskip(SKIP_1) | instid1(VALU_DEP_1)
	s_or_b32 exec_lo, exec_lo, s4
	v_add_nc_u32_e32 v23, v32, v35
	v_dual_add_nc_u32 v22, v36, v34 :: v_dual_sub_nc_u32 v23, v23, v36
	s_delay_alu instid0(VALU_DEP_1) | instskip(NEXT) | instid1(VALU_DEP_2)
	v_cmp_le_u32_e64 s3, v22, v32
	v_cmp_le_u32_e64 s4, v23, v33
	s_or_b32 s3, s3, s4
	s_delay_alu instid0(SALU_CYCLE_1)
	s_and_saveexec_b32 s5, s3
	s_cbranch_execz .LBB1431_73
; %bb.54:
	v_cmp_ge_u32_e64 s3, v22, v32
	s_mov_b32 s6, exec_lo
                                        ; implicit-def: $vgpr20
	v_cmpx_lt_u32_e64 v22, v32
; %bb.55:
	v_lshl_add_u32 v12, v22, 2, v10
	ds_load_b32 v20, v12
; %bb.56:
	s_or_b32 exec_lo, exec_lo, s6
	v_cmp_ge_u32_e64 s6, v23, v33
	s_mov_b32 s7, exec_lo
	v_cmpx_lt_u32_e64 v23, v33
; %bb.57:
	v_lshl_add_u32 v12, v23, 2, v10
	ds_load_b32 v21, v12
; %bb.58:
	s_or_b32 exec_lo, exec_lo, s7
	s_nor_b32 s3, s3, s6
	s_delay_alu instid0(SALU_CYCLE_1)
	s_and_saveexec_b32 s4, s3
	s_cbranch_execz .LBB1431_60
; %bb.59:
	s_wait_dscnt 0x0
	v_pk_add_f32 v[12:13], v[20:21], 0 op_sel_hi:[1,0]
	s_and_not1_b32 s6, s6, exec_lo
	s_delay_alu instid0(VALU_DEP_1) | instskip(NEXT) | instid1(VALU_DEP_1)
	v_dual_ashrrev_i32 v14, 31, v13 :: v_dual_ashrrev_i32 v15, 31, v12
	v_or_b32_e32 v14, 0x80000000, v14
	s_delay_alu instid0(VALU_DEP_2) | instskip(NEXT) | instid1(VALU_DEP_2)
	v_or_b32_e32 v15, 0x80000000, v15
	v_xor_b32_e32 v13, v14, v13
	s_delay_alu instid0(VALU_DEP_2) | instskip(NEXT) | instid1(VALU_DEP_1)
	v_xor_b32_e32 v12, v15, v12
	v_cmp_le_u32_e64 s3, v12, v13
	s_and_b32 s3, s3, exec_lo
	s_delay_alu instid0(SALU_CYCLE_1)
	s_or_b32 s6, s6, s3
.LBB1431_60:
	s_or_b32 exec_lo, exec_lo, s4
	v_dual_cndmask_b32 v12, v23, v22, s6 :: v_dual_cndmask_b32 v13, v33, v32, s6
	s_mov_b32 s7, -1
	s_mov_b32 s4, -1
	s_mov_b32 s8, exec_lo
	s_delay_alu instid0(VALU_DEP_1) | instskip(SKIP_1) | instid1(VALU_DEP_2)
	v_add_nc_u32_e32 v14, 1, v12
	v_lshl_add_u32 v12, v12, 3, v4
	v_add_min_u32_e64 v13, v13, -1, v14
	s_delay_alu instid0(VALU_DEP_1)
	v_lshl_add_u32 v13, v13, 2, v10
	ds_load_b32 v15, v13
	ds_load_b64 v[12:13], v12 offset:4096
	s_wait_dscnt 0x1
	v_dual_cndmask_b32 v17, v22, v14, s6 :: v_dual_cndmask_b32 v22, v15, v21, s6
	v_cndmask_b32_e64 v16, v14, v23, s6
	v_cndmask_b32_e64 v23, v20, v15, s6
	s_delay_alu instid0(VALU_DEP_2)
	v_cmpx_lt_u32_e64 v16, v33
	s_cbranch_execz .LBB1431_64
; %bb.61:
	s_mov_b32 s9, 0
	s_mov_b32 s4, exec_lo
	v_cmpx_lt_u32_e64 v17, v32
; %bb.62:
	v_dual_add_f32 v14, 0, v23 :: v_dual_add_f32 v15, 0, v22
	s_delay_alu instid0(VALU_DEP_1) | instskip(NEXT) | instid1(VALU_DEP_1)
	v_dual_ashrrev_i32 v18, 31, v14 :: v_dual_ashrrev_i32 v19, 31, v15
	v_bitop3_b32 v14, v18, v14, 0x80000000 bitop3:0x36
	s_delay_alu instid0(VALU_DEP_2) | instskip(NEXT) | instid1(VALU_DEP_1)
	v_bitop3_b32 v15, v19, v15, 0x80000000 bitop3:0x36
	v_cmp_le_u32_e64 s3, v14, v15
	s_and_b32 s9, s3, exec_lo
; %bb.63:
	s_or_b32 exec_lo, exec_lo, s4
	s_delay_alu instid0(SALU_CYCLE_1)
	s_or_not1_b32 s4, s9, exec_lo
.LBB1431_64:
	s_or_b32 exec_lo, exec_lo, s8
	v_dual_cndmask_b32 v14, v16, v17, s4 :: v_dual_cndmask_b32 v15, v33, v32, s4
	s_mov_b32 s8, exec_lo
	s_delay_alu instid0(VALU_DEP_1) | instskip(SKIP_1) | instid1(VALU_DEP_2)
	v_add_nc_u32_e32 v19, 1, v14
	v_lshl_add_u32 v14, v14, 3, v4
	v_add_min_u32_e64 v15, v15, -1, v19
	s_delay_alu instid0(VALU_DEP_1)
	v_lshl_add_u32 v15, v15, 2, v10
	ds_load_b32 v25, v15
	ds_load_b64 v[14:15], v14 offset:4096
	s_wait_dscnt 0x1
	v_dual_cndmask_b32 v24, v25, v22, s4 :: v_dual_cndmask_b32 v25, v23, v25, s4
	v_dual_cndmask_b32 v18, v19, v16, s4 :: v_dual_cndmask_b32 v19, v17, v19, s4
	s_delay_alu instid0(VALU_DEP_1)
	v_cmpx_lt_u32_e64 v18, v33
	s_cbranch_execz .LBB1431_68
; %bb.65:
	s_mov_b32 s9, 0
	s_mov_b32 s7, exec_lo
	v_cmpx_lt_u32_e64 v19, v32
; %bb.66:
	v_dual_add_f32 v16, 0, v25 :: v_dual_add_f32 v17, 0, v24
	s_delay_alu instid0(VALU_DEP_1) | instskip(NEXT) | instid1(VALU_DEP_1)
	v_dual_ashrrev_i32 v34, 31, v16 :: v_dual_ashrrev_i32 v35, 31, v17
	v_bitop3_b32 v16, v34, v16, 0x80000000 bitop3:0x36
	s_delay_alu instid0(VALU_DEP_2) | instskip(NEXT) | instid1(VALU_DEP_1)
	v_bitop3_b32 v17, v35, v17, 0x80000000 bitop3:0x36
	v_cmp_le_u32_e64 s3, v16, v17
	s_and_b32 s9, s3, exec_lo
; %bb.67:
	s_or_b32 exec_lo, exec_lo, s7
	s_delay_alu instid0(SALU_CYCLE_1)
	s_or_not1_b32 s7, s9, exec_lo
.LBB1431_68:
	s_or_b32 exec_lo, exec_lo, s8
	s_delay_alu instid0(VALU_DEP_2) | instskip(SKIP_2) | instid1(VALU_DEP_1)
	v_dual_cndmask_b32 v16, v18, v19, s7 :: v_dual_cndmask_b32 v17, v33, v32, s7
	s_mov_b32 s9, -1
	s_mov_b32 s8, exec_lo
	v_add_nc_u32_e32 v34, 1, v16
	v_lshl_add_u32 v16, v16, 3, v4
	s_delay_alu instid0(VALU_DEP_2) | instskip(SKIP_1) | instid1(VALU_DEP_2)
	v_add_min_u32_e64 v17, v17, -1, v34
	v_cndmask_b32_e64 v19, v19, v34, s7
	v_lshl_add_u32 v17, v17, 2, v10
	ds_load_b32 v35, v17
	ds_load_b64 v[16:17], v16 offset:4096
	s_wait_dscnt 0x1
	v_dual_cndmask_b32 v18, v34, v18, s7 :: v_dual_cndmask_b32 v34, v35, v24, s7
	v_cndmask_b32_e64 v35, v25, v35, s7
	s_delay_alu instid0(VALU_DEP_2)
	v_cmpx_lt_u32_e64 v18, v33
	s_cbranch_execz .LBB1431_72
; %bb.69:
	s_mov_b32 s10, 0
	s_mov_b32 s9, exec_lo
	v_cmpx_lt_u32_e64 v19, v32
; %bb.70:
	v_dual_add_f32 v32, 0, v35 :: v_dual_add_f32 v33, 0, v34
	s_delay_alu instid0(VALU_DEP_1) | instskip(NEXT) | instid1(VALU_DEP_1)
	v_dual_ashrrev_i32 v36, 31, v32 :: v_dual_ashrrev_i32 v37, 31, v33
	v_bitop3_b32 v32, v36, v32, 0x80000000 bitop3:0x36
	s_delay_alu instid0(VALU_DEP_2) | instskip(NEXT) | instid1(VALU_DEP_1)
	v_bitop3_b32 v33, v37, v33, 0x80000000 bitop3:0x36
	v_cmp_le_u32_e64 s3, v32, v33
	s_and_b32 s10, s3, exec_lo
; %bb.71:
	s_or_b32 exec_lo, exec_lo, s9
	s_delay_alu instid0(SALU_CYCLE_1)
	s_or_not1_b32 s9, s10, exec_lo
.LBB1431_72:
	s_or_b32 exec_lo, exec_lo, s8
	v_dual_cndmask_b32 v18, v18, v19, s9 :: v_dual_cndmask_b32 v39, v24, v25, s7
	v_dual_cndmask_b32 v38, v22, v23, s4 :: v_dual_cndmask_b32 v48, v21, v20, s6
	v_cndmask_b32_e64 v37, v34, v35, s9
	s_delay_alu instid0(VALU_DEP_3) | instskip(NEXT) | instid1(VALU_DEP_3)
	v_lshl_add_u32 v18, v18, 3, v4
	v_mov_b64_e32 v[20:21], v[38:39]
	ds_load_b64 v[18:19], v18 offset:4096
.LBB1431_73:
	s_or_b32 exec_lo, exec_lo, s5
	v_and_b32_e32 v34, 0x60, v50
	s_mov_b32 s4, exec_lo
	; wave barrier
	ds_store_b32 v5, v48
	v_or_b32_e32 v22, 16, v34
	ds_store_b64 v27, v[12:13]
	ds_store_b64 v29, v[14:15]
	ds_store_2addr_b32 v26, v20, v21 offset1:1
	s_wait_dscnt 0x5
	ds_store_b64 v30, v[16:17]
	ds_store_b32 v28, v37
	s_wait_dscnt 0x6
	ds_store_b64 v31, v[18:19]
	; wave barrier
	v_min_u32_e32 v32, v1, v22
	v_and_b32_e32 v22, 28, v50
	s_delay_alu instid0(VALU_DEP_2) | instskip(NEXT) | instid1(VALU_DEP_2)
	v_add_min_u32_e64 v33, v32, 16, v1
	v_min_u32_e32 v35, v1, v22
	s_delay_alu instid0(VALU_DEP_2) | instskip(NEXT) | instid1(VALU_DEP_1)
	v_dual_sub_nc_u32 v23, v32, v34 :: v_dual_sub_nc_u32 v22, v33, v32
	v_min_u32_e32 v49, v35, v23
	s_delay_alu instid0(VALU_DEP_2) | instskip(NEXT) | instid1(VALU_DEP_1)
	v_sub_nc_u32_e64 v36, v35, v22 clamp
	v_cmpx_lt_u32_e64 v36, v49
	s_cbranch_execz .LBB1431_77
; %bb.74:
	v_dual_mov_b32 v25, 0 :: v_dual_lshlrev_b32 v24, 2, v34
	s_mov_b32 s5, 0
	s_delay_alu instid0(VALU_DEP_1) | instskip(SKIP_1) | instid1(VALU_DEP_1)
	v_add_nc_u64_e32 v[22:23], v[10:11], v[24:25]
	v_lshlrev_b32_e32 v24, 2, v32
	v_add_nc_u64_e32 v[24:25], v[10:11], v[24:25]
.LBB1431_75:                            ; =>This Inner Loop Header: Depth=1
	v_add_nc_u32_e32 v23, v49, v36
	s_delay_alu instid0(VALU_DEP_1) | instskip(NEXT) | instid1(VALU_DEP_1)
	v_lshrrev_b32_e32 v23, 1, v23
	v_xad_u32 v25, v23, -1, v35
	v_lshl_add_u32 v51, v23, 2, v22
	s_delay_alu instid0(VALU_DEP_2) | instskip(SKIP_4) | instid1(VALU_DEP_1)
	v_lshl_add_u32 v25, v25, 2, v24
	ds_load_b32 v52, v51
	ds_load_b32 v53, v25
	s_wait_dscnt 0x0
	v_pk_add_f32 v[52:53], v[52:53], 0 op_sel_hi:[1,0]
	v_dual_ashrrev_i32 v25, 31, v53 :: v_dual_ashrrev_i32 v51, 31, v52
	s_delay_alu instid0(VALU_DEP_1) | instskip(NEXT) | instid1(VALU_DEP_2)
	v_or_b32_e32 v25, 0x80000000, v25
	v_or_b32_e32 v51, 0x80000000, v51
	s_delay_alu instid0(VALU_DEP_2) | instskip(NEXT) | instid1(VALU_DEP_2)
	v_xor_b32_e32 v25, v25, v53
	v_dual_add_nc_u32 v52, 1, v23 :: v_dual_bitop2_b32 v51, v51, v52 bitop3:0x14
	s_delay_alu instid0(VALU_DEP_1) | instskip(NEXT) | instid1(VALU_DEP_1)
	v_cmp_gt_u32_e64 s3, v51, v25
	v_dual_cndmask_b32 v49, v49, v23, s3 :: v_dual_cndmask_b32 v36, v52, v36, s3
	s_delay_alu instid0(VALU_DEP_1) | instskip(SKIP_1) | instid1(SALU_CYCLE_1)
	v_cmp_ge_u32_e64 s3, v36, v49
	s_or_b32 s5, s3, s5
	s_and_not1_b32 exec_lo, exec_lo, s5
	s_cbranch_execnz .LBB1431_75
; %bb.76:
	s_or_b32 exec_lo, exec_lo, s5
.LBB1431_77:
	s_delay_alu instid0(SALU_CYCLE_1) | instskip(SKIP_1) | instid1(VALU_DEP_1)
	s_or_b32 exec_lo, exec_lo, s4
	v_add_nc_u32_e32 v23, v32, v35
	v_dual_add_nc_u32 v22, v36, v34 :: v_dual_sub_nc_u32 v23, v23, v36
	s_delay_alu instid0(VALU_DEP_1) | instskip(NEXT) | instid1(VALU_DEP_2)
	v_cmp_le_u32_e64 s3, v22, v32
	v_cmp_le_u32_e64 s4, v23, v33
	s_or_b32 s3, s3, s4
	s_delay_alu instid0(SALU_CYCLE_1)
	s_and_saveexec_b32 s5, s3
	s_cbranch_execz .LBB1431_97
; %bb.78:
	v_cmp_ge_u32_e64 s3, v22, v32
	s_mov_b32 s6, exec_lo
                                        ; implicit-def: $vgpr20
	v_cmpx_lt_u32_e64 v22, v32
; %bb.79:
	v_lshl_add_u32 v12, v22, 2, v10
	ds_load_b32 v20, v12
; %bb.80:
	s_or_b32 exec_lo, exec_lo, s6
	v_cmp_ge_u32_e64 s6, v23, v33
	s_mov_b32 s7, exec_lo
	v_cmpx_lt_u32_e64 v23, v33
; %bb.81:
	v_lshl_add_u32 v12, v23, 2, v10
	ds_load_b32 v21, v12
; %bb.82:
	s_or_b32 exec_lo, exec_lo, s7
	s_nor_b32 s3, s3, s6
	s_delay_alu instid0(SALU_CYCLE_1)
	s_and_saveexec_b32 s4, s3
	s_cbranch_execz .LBB1431_84
; %bb.83:
	s_wait_dscnt 0x0
	v_pk_add_f32 v[12:13], v[20:21], 0 op_sel_hi:[1,0]
	s_and_not1_b32 s6, s6, exec_lo
	s_delay_alu instid0(VALU_DEP_1) | instskip(NEXT) | instid1(VALU_DEP_1)
	v_dual_ashrrev_i32 v14, 31, v13 :: v_dual_ashrrev_i32 v15, 31, v12
	v_or_b32_e32 v14, 0x80000000, v14
	s_delay_alu instid0(VALU_DEP_2) | instskip(NEXT) | instid1(VALU_DEP_2)
	v_or_b32_e32 v15, 0x80000000, v15
	v_xor_b32_e32 v13, v14, v13
	s_delay_alu instid0(VALU_DEP_2) | instskip(NEXT) | instid1(VALU_DEP_1)
	v_xor_b32_e32 v12, v15, v12
	v_cmp_le_u32_e64 s3, v12, v13
	s_and_b32 s3, s3, exec_lo
	s_delay_alu instid0(SALU_CYCLE_1)
	s_or_b32 s6, s6, s3
.LBB1431_84:
	s_or_b32 exec_lo, exec_lo, s4
	v_dual_cndmask_b32 v12, v23, v22, s6 :: v_dual_cndmask_b32 v13, v33, v32, s6
	s_mov_b32 s7, -1
	s_mov_b32 s4, -1
	s_mov_b32 s8, exec_lo
	s_delay_alu instid0(VALU_DEP_1) | instskip(SKIP_1) | instid1(VALU_DEP_2)
	v_add_nc_u32_e32 v14, 1, v12
	v_lshl_add_u32 v12, v12, 3, v4
	v_add_min_u32_e64 v13, v13, -1, v14
	s_delay_alu instid0(VALU_DEP_1)
	v_lshl_add_u32 v13, v13, 2, v10
	ds_load_b32 v15, v13
	ds_load_b64 v[12:13], v12 offset:4096
	s_wait_dscnt 0x1
	v_dual_cndmask_b32 v17, v22, v14, s6 :: v_dual_cndmask_b32 v22, v15, v21, s6
	v_cndmask_b32_e64 v16, v14, v23, s6
	v_cndmask_b32_e64 v23, v20, v15, s6
	s_delay_alu instid0(VALU_DEP_2)
	v_cmpx_lt_u32_e64 v16, v33
	s_cbranch_execz .LBB1431_88
; %bb.85:
	s_mov_b32 s9, 0
	s_mov_b32 s4, exec_lo
	v_cmpx_lt_u32_e64 v17, v32
; %bb.86:
	v_dual_add_f32 v14, 0, v23 :: v_dual_add_f32 v15, 0, v22
	s_delay_alu instid0(VALU_DEP_1) | instskip(NEXT) | instid1(VALU_DEP_1)
	v_dual_ashrrev_i32 v18, 31, v14 :: v_dual_ashrrev_i32 v19, 31, v15
	v_bitop3_b32 v14, v18, v14, 0x80000000 bitop3:0x36
	s_delay_alu instid0(VALU_DEP_2) | instskip(NEXT) | instid1(VALU_DEP_1)
	v_bitop3_b32 v15, v19, v15, 0x80000000 bitop3:0x36
	v_cmp_le_u32_e64 s3, v14, v15
	s_and_b32 s9, s3, exec_lo
; %bb.87:
	s_or_b32 exec_lo, exec_lo, s4
	s_delay_alu instid0(SALU_CYCLE_1)
	s_or_not1_b32 s4, s9, exec_lo
.LBB1431_88:
	s_or_b32 exec_lo, exec_lo, s8
	v_dual_cndmask_b32 v14, v16, v17, s4 :: v_dual_cndmask_b32 v15, v33, v32, s4
	s_mov_b32 s8, exec_lo
	s_delay_alu instid0(VALU_DEP_1) | instskip(SKIP_1) | instid1(VALU_DEP_2)
	v_add_nc_u32_e32 v19, 1, v14
	v_lshl_add_u32 v14, v14, 3, v4
	v_add_min_u32_e64 v15, v15, -1, v19
	s_delay_alu instid0(VALU_DEP_1)
	v_lshl_add_u32 v15, v15, 2, v10
	ds_load_b32 v25, v15
	ds_load_b64 v[14:15], v14 offset:4096
	s_wait_dscnt 0x1
	v_dual_cndmask_b32 v24, v25, v22, s4 :: v_dual_cndmask_b32 v25, v23, v25, s4
	v_dual_cndmask_b32 v18, v19, v16, s4 :: v_dual_cndmask_b32 v19, v17, v19, s4
	s_delay_alu instid0(VALU_DEP_1)
	v_cmpx_lt_u32_e64 v18, v33
	s_cbranch_execz .LBB1431_92
; %bb.89:
	s_mov_b32 s9, 0
	s_mov_b32 s7, exec_lo
	v_cmpx_lt_u32_e64 v19, v32
; %bb.90:
	v_dual_add_f32 v16, 0, v25 :: v_dual_add_f32 v17, 0, v24
	s_delay_alu instid0(VALU_DEP_1) | instskip(NEXT) | instid1(VALU_DEP_1)
	v_dual_ashrrev_i32 v34, 31, v16 :: v_dual_ashrrev_i32 v35, 31, v17
	v_bitop3_b32 v16, v34, v16, 0x80000000 bitop3:0x36
	s_delay_alu instid0(VALU_DEP_2) | instskip(NEXT) | instid1(VALU_DEP_1)
	v_bitop3_b32 v17, v35, v17, 0x80000000 bitop3:0x36
	v_cmp_le_u32_e64 s3, v16, v17
	s_and_b32 s9, s3, exec_lo
; %bb.91:
	s_or_b32 exec_lo, exec_lo, s7
	s_delay_alu instid0(SALU_CYCLE_1)
	s_or_not1_b32 s7, s9, exec_lo
.LBB1431_92:
	s_or_b32 exec_lo, exec_lo, s8
	s_delay_alu instid0(VALU_DEP_2) | instskip(SKIP_2) | instid1(VALU_DEP_1)
	v_dual_cndmask_b32 v16, v18, v19, s7 :: v_dual_cndmask_b32 v17, v33, v32, s7
	s_mov_b32 s9, -1
	s_mov_b32 s8, exec_lo
	v_add_nc_u32_e32 v34, 1, v16
	v_lshl_add_u32 v16, v16, 3, v4
	s_delay_alu instid0(VALU_DEP_2) | instskip(SKIP_1) | instid1(VALU_DEP_2)
	v_add_min_u32_e64 v17, v17, -1, v34
	v_cndmask_b32_e64 v19, v19, v34, s7
	v_lshl_add_u32 v17, v17, 2, v10
	ds_load_b32 v35, v17
	ds_load_b64 v[16:17], v16 offset:4096
	s_wait_dscnt 0x1
	v_dual_cndmask_b32 v18, v34, v18, s7 :: v_dual_cndmask_b32 v34, v35, v24, s7
	v_cndmask_b32_e64 v35, v25, v35, s7
	s_delay_alu instid0(VALU_DEP_2)
	v_cmpx_lt_u32_e64 v18, v33
	s_cbranch_execz .LBB1431_96
; %bb.93:
	s_mov_b32 s10, 0
	s_mov_b32 s9, exec_lo
	v_cmpx_lt_u32_e64 v19, v32
; %bb.94:
	v_dual_add_f32 v32, 0, v35 :: v_dual_add_f32 v33, 0, v34
	s_delay_alu instid0(VALU_DEP_1) | instskip(NEXT) | instid1(VALU_DEP_1)
	v_dual_ashrrev_i32 v36, 31, v32 :: v_dual_ashrrev_i32 v37, 31, v33
	v_bitop3_b32 v32, v36, v32, 0x80000000 bitop3:0x36
	s_delay_alu instid0(VALU_DEP_2) | instskip(NEXT) | instid1(VALU_DEP_1)
	v_bitop3_b32 v33, v37, v33, 0x80000000 bitop3:0x36
	v_cmp_le_u32_e64 s3, v32, v33
	s_and_b32 s10, s3, exec_lo
; %bb.95:
	s_or_b32 exec_lo, exec_lo, s9
	s_delay_alu instid0(SALU_CYCLE_1)
	s_or_not1_b32 s9, s10, exec_lo
.LBB1431_96:
	s_or_b32 exec_lo, exec_lo, s8
	v_dual_cndmask_b32 v18, v18, v19, s9 :: v_dual_cndmask_b32 v39, v24, v25, s7
	v_dual_cndmask_b32 v38, v22, v23, s4 :: v_dual_cndmask_b32 v48, v21, v20, s6
	v_cndmask_b32_e64 v37, v34, v35, s9
	s_delay_alu instid0(VALU_DEP_3) | instskip(NEXT) | instid1(VALU_DEP_3)
	v_lshl_add_u32 v18, v18, 3, v4
	v_mov_b64_e32 v[20:21], v[38:39]
	ds_load_b64 v[18:19], v18 offset:4096
.LBB1431_97:
	s_or_b32 exec_lo, exec_lo, s5
	v_and_b32_e32 v34, 64, v50
	s_mov_b32 s4, exec_lo
	; wave barrier
	ds_store_b32 v5, v48
	v_or_b32_e32 v22, 32, v34
	ds_store_b64 v27, v[12:13]
	ds_store_b64 v29, v[14:15]
	ds_store_2addr_b32 v26, v20, v21 offset1:1
	s_wait_dscnt 0x5
	ds_store_b64 v30, v[16:17]
	ds_store_b32 v28, v37
	s_wait_dscnt 0x6
	ds_store_b64 v31, v[18:19]
	; wave barrier
	v_min_u32_e32 v32, v1, v22
	v_and_b32_e32 v22, 60, v50
	s_delay_alu instid0(VALU_DEP_2) | instskip(NEXT) | instid1(VALU_DEP_2)
	v_add_min_u32_e64 v33, v32, 32, v1
	v_min_u32_e32 v35, v1, v22
	s_delay_alu instid0(VALU_DEP_2) | instskip(NEXT) | instid1(VALU_DEP_1)
	v_dual_sub_nc_u32 v22, v33, v32 :: v_dual_sub_nc_u32 v23, v32, v34
	v_sub_nc_u32_e64 v36, v35, v22 clamp
	s_delay_alu instid0(VALU_DEP_2) | instskip(NEXT) | instid1(VALU_DEP_1)
	v_min_u32_e32 v49, v35, v23
	v_cmpx_lt_u32_e64 v36, v49
	s_cbranch_execz .LBB1431_101
; %bb.98:
	v_dual_mov_b32 v25, 0 :: v_dual_lshlrev_b32 v24, 2, v34
	s_mov_b32 s5, 0
	s_delay_alu instid0(VALU_DEP_1) | instskip(SKIP_1) | instid1(VALU_DEP_1)
	v_add_nc_u64_e32 v[22:23], v[10:11], v[24:25]
	v_lshlrev_b32_e32 v24, 2, v32
	v_add_nc_u64_e32 v[24:25], v[10:11], v[24:25]
.LBB1431_99:                            ; =>This Inner Loop Header: Depth=1
	v_add_nc_u32_e32 v23, v49, v36
	s_delay_alu instid0(VALU_DEP_1) | instskip(NEXT) | instid1(VALU_DEP_1)
	v_lshrrev_b32_e32 v23, 1, v23
	v_xad_u32 v25, v23, -1, v35
	v_lshl_add_u32 v51, v23, 2, v22
	s_delay_alu instid0(VALU_DEP_2) | instskip(SKIP_4) | instid1(VALU_DEP_1)
	v_lshl_add_u32 v25, v25, 2, v24
	ds_load_b32 v52, v51
	ds_load_b32 v53, v25
	s_wait_dscnt 0x0
	v_pk_add_f32 v[52:53], v[52:53], 0 op_sel_hi:[1,0]
	v_dual_ashrrev_i32 v25, 31, v53 :: v_dual_ashrrev_i32 v51, 31, v52
	s_delay_alu instid0(VALU_DEP_1) | instskip(NEXT) | instid1(VALU_DEP_2)
	v_or_b32_e32 v25, 0x80000000, v25
	v_or_b32_e32 v51, 0x80000000, v51
	s_delay_alu instid0(VALU_DEP_2) | instskip(NEXT) | instid1(VALU_DEP_2)
	v_xor_b32_e32 v25, v25, v53
	v_dual_add_nc_u32 v52, 1, v23 :: v_dual_bitop2_b32 v51, v51, v52 bitop3:0x14
	s_delay_alu instid0(VALU_DEP_1) | instskip(NEXT) | instid1(VALU_DEP_1)
	v_cmp_gt_u32_e64 s3, v51, v25
	v_dual_cndmask_b32 v49, v49, v23, s3 :: v_dual_cndmask_b32 v36, v52, v36, s3
	s_delay_alu instid0(VALU_DEP_1) | instskip(SKIP_1) | instid1(SALU_CYCLE_1)
	v_cmp_ge_u32_e64 s3, v36, v49
	s_or_b32 s5, s3, s5
	s_and_not1_b32 exec_lo, exec_lo, s5
	s_cbranch_execnz .LBB1431_99
; %bb.100:
	s_or_b32 exec_lo, exec_lo, s5
.LBB1431_101:
	s_delay_alu instid0(SALU_CYCLE_1) | instskip(SKIP_1) | instid1(VALU_DEP_1)
	s_or_b32 exec_lo, exec_lo, s4
	v_add_nc_u32_e32 v23, v32, v35
	v_dual_add_nc_u32 v22, v36, v34 :: v_dual_sub_nc_u32 v23, v23, v36
	s_delay_alu instid0(VALU_DEP_1) | instskip(NEXT) | instid1(VALU_DEP_2)
	v_cmp_le_u32_e64 s3, v22, v32
	v_cmp_le_u32_e64 s4, v23, v33
	s_or_b32 s3, s3, s4
	s_delay_alu instid0(SALU_CYCLE_1)
	s_and_saveexec_b32 s5, s3
	s_cbranch_execz .LBB1431_121
; %bb.102:
	v_cmp_ge_u32_e64 s3, v22, v32
	s_mov_b32 s6, exec_lo
                                        ; implicit-def: $vgpr20
	v_cmpx_lt_u32_e64 v22, v32
; %bb.103:
	v_lshl_add_u32 v12, v22, 2, v10
	ds_load_b32 v20, v12
; %bb.104:
	s_or_b32 exec_lo, exec_lo, s6
	v_cmp_ge_u32_e64 s6, v23, v33
	s_mov_b32 s7, exec_lo
	v_cmpx_lt_u32_e64 v23, v33
; %bb.105:
	v_lshl_add_u32 v12, v23, 2, v10
	ds_load_b32 v21, v12
; %bb.106:
	s_or_b32 exec_lo, exec_lo, s7
	s_nor_b32 s3, s3, s6
	s_delay_alu instid0(SALU_CYCLE_1)
	s_and_saveexec_b32 s4, s3
	s_cbranch_execz .LBB1431_108
; %bb.107:
	s_wait_dscnt 0x0
	v_pk_add_f32 v[12:13], v[20:21], 0 op_sel_hi:[1,0]
	s_and_not1_b32 s6, s6, exec_lo
	s_delay_alu instid0(VALU_DEP_1) | instskip(NEXT) | instid1(VALU_DEP_1)
	v_dual_ashrrev_i32 v14, 31, v13 :: v_dual_ashrrev_i32 v15, 31, v12
	v_or_b32_e32 v14, 0x80000000, v14
	s_delay_alu instid0(VALU_DEP_2) | instskip(NEXT) | instid1(VALU_DEP_2)
	v_or_b32_e32 v15, 0x80000000, v15
	v_xor_b32_e32 v13, v14, v13
	s_delay_alu instid0(VALU_DEP_2) | instskip(NEXT) | instid1(VALU_DEP_1)
	v_xor_b32_e32 v12, v15, v12
	v_cmp_le_u32_e64 s3, v12, v13
	s_and_b32 s3, s3, exec_lo
	s_delay_alu instid0(SALU_CYCLE_1)
	s_or_b32 s6, s6, s3
.LBB1431_108:
	s_or_b32 exec_lo, exec_lo, s4
	v_dual_cndmask_b32 v12, v23, v22, s6 :: v_dual_cndmask_b32 v13, v33, v32, s6
	s_mov_b32 s7, -1
	s_mov_b32 s4, -1
	s_mov_b32 s8, exec_lo
	s_delay_alu instid0(VALU_DEP_1) | instskip(SKIP_1) | instid1(VALU_DEP_2)
	v_add_nc_u32_e32 v14, 1, v12
	v_lshl_add_u32 v12, v12, 3, v4
	v_add_min_u32_e64 v13, v13, -1, v14
	s_delay_alu instid0(VALU_DEP_1)
	v_lshl_add_u32 v13, v13, 2, v10
	ds_load_b32 v15, v13
	ds_load_b64 v[12:13], v12 offset:4096
	s_wait_dscnt 0x1
	v_dual_cndmask_b32 v17, v22, v14, s6 :: v_dual_cndmask_b32 v22, v15, v21, s6
	v_cndmask_b32_e64 v16, v14, v23, s6
	v_cndmask_b32_e64 v23, v20, v15, s6
	s_delay_alu instid0(VALU_DEP_2)
	v_cmpx_lt_u32_e64 v16, v33
	s_cbranch_execz .LBB1431_112
; %bb.109:
	s_mov_b32 s9, 0
	s_mov_b32 s4, exec_lo
	v_cmpx_lt_u32_e64 v17, v32
; %bb.110:
	v_dual_add_f32 v14, 0, v23 :: v_dual_add_f32 v15, 0, v22
	s_delay_alu instid0(VALU_DEP_1) | instskip(NEXT) | instid1(VALU_DEP_1)
	v_dual_ashrrev_i32 v18, 31, v14 :: v_dual_ashrrev_i32 v19, 31, v15
	v_bitop3_b32 v14, v18, v14, 0x80000000 bitop3:0x36
	s_delay_alu instid0(VALU_DEP_2) | instskip(NEXT) | instid1(VALU_DEP_1)
	v_bitop3_b32 v15, v19, v15, 0x80000000 bitop3:0x36
	v_cmp_le_u32_e64 s3, v14, v15
	s_and_b32 s9, s3, exec_lo
; %bb.111:
	s_or_b32 exec_lo, exec_lo, s4
	s_delay_alu instid0(SALU_CYCLE_1)
	s_or_not1_b32 s4, s9, exec_lo
.LBB1431_112:
	s_or_b32 exec_lo, exec_lo, s8
	v_dual_cndmask_b32 v14, v16, v17, s4 :: v_dual_cndmask_b32 v15, v33, v32, s4
	s_mov_b32 s8, exec_lo
	s_delay_alu instid0(VALU_DEP_1) | instskip(SKIP_1) | instid1(VALU_DEP_2)
	v_add_nc_u32_e32 v19, 1, v14
	v_lshl_add_u32 v14, v14, 3, v4
	v_add_min_u32_e64 v15, v15, -1, v19
	s_delay_alu instid0(VALU_DEP_1)
	v_lshl_add_u32 v15, v15, 2, v10
	ds_load_b32 v25, v15
	ds_load_b64 v[14:15], v14 offset:4096
	s_wait_dscnt 0x1
	v_dual_cndmask_b32 v24, v25, v22, s4 :: v_dual_cndmask_b32 v25, v23, v25, s4
	v_dual_cndmask_b32 v18, v19, v16, s4 :: v_dual_cndmask_b32 v19, v17, v19, s4
	s_delay_alu instid0(VALU_DEP_1)
	v_cmpx_lt_u32_e64 v18, v33
	s_cbranch_execz .LBB1431_116
; %bb.113:
	s_mov_b32 s9, 0
	s_mov_b32 s7, exec_lo
	v_cmpx_lt_u32_e64 v19, v32
; %bb.114:
	v_dual_add_f32 v16, 0, v25 :: v_dual_add_f32 v17, 0, v24
	s_delay_alu instid0(VALU_DEP_1) | instskip(NEXT) | instid1(VALU_DEP_1)
	v_dual_ashrrev_i32 v34, 31, v16 :: v_dual_ashrrev_i32 v35, 31, v17
	v_bitop3_b32 v16, v34, v16, 0x80000000 bitop3:0x36
	s_delay_alu instid0(VALU_DEP_2) | instskip(NEXT) | instid1(VALU_DEP_1)
	v_bitop3_b32 v17, v35, v17, 0x80000000 bitop3:0x36
	v_cmp_le_u32_e64 s3, v16, v17
	s_and_b32 s9, s3, exec_lo
; %bb.115:
	s_or_b32 exec_lo, exec_lo, s7
	s_delay_alu instid0(SALU_CYCLE_1)
	s_or_not1_b32 s7, s9, exec_lo
.LBB1431_116:
	s_or_b32 exec_lo, exec_lo, s8
	s_delay_alu instid0(VALU_DEP_2) | instskip(SKIP_2) | instid1(VALU_DEP_1)
	v_dual_cndmask_b32 v16, v18, v19, s7 :: v_dual_cndmask_b32 v17, v33, v32, s7
	s_mov_b32 s9, -1
	s_mov_b32 s8, exec_lo
	v_add_nc_u32_e32 v34, 1, v16
	v_lshl_add_u32 v16, v16, 3, v4
	s_delay_alu instid0(VALU_DEP_2) | instskip(SKIP_1) | instid1(VALU_DEP_2)
	v_add_min_u32_e64 v17, v17, -1, v34
	v_cndmask_b32_e64 v19, v19, v34, s7
	v_lshl_add_u32 v17, v17, 2, v10
	ds_load_b32 v35, v17
	ds_load_b64 v[16:17], v16 offset:4096
	s_wait_dscnt 0x1
	v_dual_cndmask_b32 v18, v34, v18, s7 :: v_dual_cndmask_b32 v34, v35, v24, s7
	v_cndmask_b32_e64 v35, v25, v35, s7
	s_delay_alu instid0(VALU_DEP_2)
	v_cmpx_lt_u32_e64 v18, v33
	s_cbranch_execz .LBB1431_120
; %bb.117:
	s_mov_b32 s10, 0
	s_mov_b32 s9, exec_lo
	v_cmpx_lt_u32_e64 v19, v32
; %bb.118:
	v_dual_add_f32 v32, 0, v35 :: v_dual_add_f32 v33, 0, v34
	s_delay_alu instid0(VALU_DEP_1) | instskip(NEXT) | instid1(VALU_DEP_1)
	v_dual_ashrrev_i32 v36, 31, v32 :: v_dual_ashrrev_i32 v37, 31, v33
	v_bitop3_b32 v32, v36, v32, 0x80000000 bitop3:0x36
	s_delay_alu instid0(VALU_DEP_2) | instskip(NEXT) | instid1(VALU_DEP_1)
	v_bitop3_b32 v33, v37, v33, 0x80000000 bitop3:0x36
	v_cmp_le_u32_e64 s3, v32, v33
	s_and_b32 s10, s3, exec_lo
; %bb.119:
	s_or_b32 exec_lo, exec_lo, s9
	s_delay_alu instid0(SALU_CYCLE_1)
	s_or_not1_b32 s9, s10, exec_lo
.LBB1431_120:
	s_or_b32 exec_lo, exec_lo, s8
	v_dual_cndmask_b32 v18, v18, v19, s9 :: v_dual_cndmask_b32 v39, v24, v25, s7
	v_dual_cndmask_b32 v38, v22, v23, s4 :: v_dual_cndmask_b32 v48, v21, v20, s6
	v_cndmask_b32_e64 v37, v34, v35, s9
	s_delay_alu instid0(VALU_DEP_3) | instskip(NEXT) | instid1(VALU_DEP_3)
	v_lshl_add_u32 v18, v18, 3, v4
	v_mov_b64_e32 v[20:21], v[38:39]
	ds_load_b64 v[18:19], v18 offset:4096
.LBB1431_121:
	s_or_b32 exec_lo, exec_lo, s5
	v_min_u32_e32 v22, 64, v1
	v_min_u32_e32 v24, v1, v50
	; wave barrier
	ds_store_b32 v5, v48
	v_add_min_u32_e64 v23, v22, 64, v1
	v_min_u32_e32 v5, v24, v22
	s_mov_b32 s4, exec_lo
	ds_store_b64 v27, v[12:13]
	ds_store_b64 v29, v[14:15]
	ds_store_2addr_b32 v26, v20, v21 offset1:1
	s_wait_dscnt 0x5
	ds_store_b64 v30, v[16:17]
	ds_store_b32 v28, v37
	s_wait_dscnt 0x6
	ds_store_b64 v31, v[18:19]
	v_sub_nc_u32_e32 v1, v23, v22
	; wave barrier
	s_delay_alu instid0(VALU_DEP_1) | instskip(NEXT) | instid1(VALU_DEP_1)
	v_sub_nc_u32_e64 v1, v24, v1 clamp
	v_cmpx_lt_u32_e64 v1, v5
	s_cbranch_execz .LBB1431_125
; %bb.122:
	v_dual_mov_b32 v21, 0 :: v_dual_lshlrev_b32 v20, 2, v22
	s_mov_b32 s5, 0
	s_delay_alu instid0(VALU_DEP_1)
	v_add_nc_u64_e32 v[20:21], v[10:11], v[20:21]
.LBB1431_123:                           ; =>This Inner Loop Header: Depth=1
	v_add_nc_u32_e32 v11, v5, v1
	s_delay_alu instid0(VALU_DEP_1) | instskip(NEXT) | instid1(VALU_DEP_1)
	v_lshrrev_b32_e32 v11, 1, v11
	v_xad_u32 v21, v11, -1, v24
	v_lshl_add_u32 v25, v11, 2, v10
	s_delay_alu instid0(VALU_DEP_2) | instskip(SKIP_4) | instid1(VALU_DEP_1)
	v_lshl_add_u32 v21, v21, 2, v20
	ds_load_b32 v26, v25
	ds_load_b32 v27, v21
	s_wait_dscnt 0x0
	v_pk_add_f32 v[26:27], v[26:27], 0 op_sel_hi:[1,0]
	v_dual_ashrrev_i32 v21, 31, v27 :: v_dual_ashrrev_i32 v25, 31, v26
	s_delay_alu instid0(VALU_DEP_1) | instskip(NEXT) | instid1(VALU_DEP_2)
	v_or_b32_e32 v21, 0x80000000, v21
	v_or_b32_e32 v25, 0x80000000, v25
	s_delay_alu instid0(VALU_DEP_1) | instskip(NEXT) | instid1(VALU_DEP_3)
	v_dual_add_nc_u32 v26, 1, v11 :: v_dual_bitop2_b32 v25, v25, v26 bitop3:0x14
	v_xor_b32_e32 v21, v21, v27
	s_delay_alu instid0(VALU_DEP_1) | instskip(NEXT) | instid1(VALU_DEP_1)
	v_cmp_gt_u32_e64 s3, v25, v21
	v_dual_cndmask_b32 v5, v5, v11, s3 :: v_dual_cndmask_b32 v1, v26, v1, s3
	s_delay_alu instid0(VALU_DEP_1) | instskip(SKIP_1) | instid1(SALU_CYCLE_1)
	v_cmp_ge_u32_e64 s3, v1, v5
	s_or_b32 s5, s3, s5
	s_and_not1_b32 exec_lo, exec_lo, s5
	s_cbranch_execnz .LBB1431_123
; %bb.124:
	s_or_b32 exec_lo, exec_lo, s5
.LBB1431_125:
	s_delay_alu instid0(SALU_CYCLE_1) | instskip(SKIP_2) | instid1(VALU_DEP_2)
	s_or_b32 exec_lo, exec_lo, s4
	v_add_nc_u32_e32 v5, v22, v24
	v_cmp_le_u32_e64 s3, v1, v22
	v_sub_nc_u32_e32 v5, v5, v1
	s_delay_alu instid0(VALU_DEP_1) | instskip(SKIP_1) | instid1(SALU_CYCLE_1)
	v_cmp_le_u32_e64 s4, v5, v23
	s_or_b32 s3, s3, s4
	s_and_saveexec_b32 s5, s3
	s_cbranch_execz .LBB1431_145
; %bb.126:
	v_cmp_ge_u32_e64 s3, v1, v22
	s_mov_b32 s6, exec_lo
                                        ; implicit-def: $vgpr20
	v_cmpx_lt_u32_e64 v1, v22
; %bb.127:
	v_lshl_add_u32 v11, v1, 2, v10
	ds_load_b32 v20, v11
; %bb.128:
	s_or_b32 exec_lo, exec_lo, s6
	v_cmp_ge_u32_e64 s6, v5, v23
	s_mov_b32 s7, exec_lo
	v_cmpx_lt_u32_e64 v5, v23
; %bb.129:
	v_lshl_add_u32 v11, v5, 2, v10
	ds_load_b32 v21, v11
; %bb.130:
	s_or_b32 exec_lo, exec_lo, s7
	s_nor_b32 s3, s3, s6
	s_delay_alu instid0(SALU_CYCLE_1)
	s_and_saveexec_b32 s4, s3
	s_cbranch_execz .LBB1431_132
; %bb.131:
	s_wait_dscnt 0x0
	v_pk_add_f32 v[12:13], v[20:21], 0 op_sel_hi:[1,0]
	s_and_not1_b32 s6, s6, exec_lo
	s_delay_alu instid0(VALU_DEP_1) | instskip(NEXT) | instid1(VALU_DEP_1)
	v_dual_ashrrev_i32 v11, 31, v13 :: v_dual_ashrrev_i32 v14, 31, v12
	v_or_b32_e32 v11, 0x80000000, v11
	s_delay_alu instid0(VALU_DEP_2) | instskip(NEXT) | instid1(VALU_DEP_2)
	v_or_b32_e32 v14, 0x80000000, v14
	v_xor_b32_e32 v11, v11, v13
	s_delay_alu instid0(VALU_DEP_2) | instskip(NEXT) | instid1(VALU_DEP_1)
	v_xor_b32_e32 v12, v14, v12
	v_cmp_le_u32_e64 s3, v12, v11
	s_and_b32 s3, s3, exec_lo
	s_delay_alu instid0(SALU_CYCLE_1)
	s_or_b32 s6, s6, s3
.LBB1431_132:
	s_or_b32 exec_lo, exec_lo, s4
	v_dual_cndmask_b32 v11, v5, v1, s6 :: v_dual_cndmask_b32 v12, v23, v22, s6
	s_mov_b32 s7, -1
	s_mov_b32 s4, -1
	s_mov_b32 s8, exec_lo
	s_delay_alu instid0(VALU_DEP_1) | instskip(SKIP_1) | instid1(VALU_DEP_2)
	v_add_nc_u32_e32 v14, 1, v11
	v_lshl_add_u32 v11, v11, 3, v4
	v_add_min_u32_e64 v12, v12, -1, v14
	v_cndmask_b32_e64 v16, v1, v14, s6
	s_delay_alu instid0(VALU_DEP_2)
	v_lshl_add_u32 v12, v12, 2, v10
	ds_load_b32 v15, v12
	ds_load_b64 v[12:13], v11 offset:4096
	s_wait_dscnt 0x1
	v_cndmask_b32_e64 v1, v15, v21, s6
	v_dual_cndmask_b32 v11, v14, v5, s6 :: v_dual_cndmask_b32 v5, v20, v15, s6
	s_delay_alu instid0(VALU_DEP_1)
	v_cmpx_lt_u32_e64 v11, v23
	s_cbranch_execz .LBB1431_136
; %bb.133:
	s_mov_b32 s9, 0
	s_mov_b32 s4, exec_lo
	v_cmpx_lt_u32_e64 v16, v22
; %bb.134:
	v_add_f32_e32 v15, 0, v1
	s_delay_alu instid0(VALU_DEP_1) | instskip(NEXT) | instid1(VALU_DEP_1)
	v_dual_add_f32 v14, 0, v5 :: v_dual_ashrrev_i32 v18, 31, v15
	v_ashrrev_i32_e32 v17, 31, v14
	s_delay_alu instid0(VALU_DEP_2) | instskip(NEXT) | instid1(VALU_DEP_2)
	v_bitop3_b32 v15, v18, v15, 0x80000000 bitop3:0x36
	v_bitop3_b32 v14, v17, v14, 0x80000000 bitop3:0x36
	s_delay_alu instid0(VALU_DEP_1)
	v_cmp_le_u32_e64 s3, v14, v15
	s_and_b32 s9, s3, exec_lo
; %bb.135:
	s_or_b32 exec_lo, exec_lo, s4
	s_delay_alu instid0(SALU_CYCLE_1)
	s_or_not1_b32 s4, s9, exec_lo
.LBB1431_136:
	s_or_b32 exec_lo, exec_lo, s8
	v_cndmask_b32_e64 v14, v11, v16, s4
	s_mov_b32 s8, exec_lo
	s_delay_alu instid0(VALU_DEP_1) | instskip(NEXT) | instid1(VALU_DEP_1)
	v_add_nc_u32_e32 v17, 1, v14
	v_dual_cndmask_b32 v15, v23, v22, s4 :: v_dual_cndmask_b32 v19, v16, v17, s4
	s_delay_alu instid0(VALU_DEP_1) | instskip(SKIP_2) | instid1(VALU_DEP_3)
	v_add_min_u32_e64 v15, v15, -1, v17
	v_cndmask_b32_e64 v18, v17, v11, s4
	v_lshl_add_u32 v14, v14, 3, v4
	v_lshl_add_u32 v15, v15, 2, v10
	ds_load_b32 v24, v15
	ds_load_b64 v[14:15], v14 offset:4096
	s_wait_dscnt 0x1
	v_dual_cndmask_b32 v11, v24, v1, s4 :: v_dual_cndmask_b32 v24, v5, v24, s4
	v_cmpx_lt_u32_e64 v18, v23
	s_cbranch_execz .LBB1431_140
; %bb.137:
	s_mov_b32 s9, 0
	s_mov_b32 s7, exec_lo
	v_cmpx_lt_u32_e64 v19, v22
; %bb.138:
	v_dual_add_f32 v16, 0, v24 :: v_dual_add_f32 v17, 0, v11
	s_delay_alu instid0(VALU_DEP_1) | instskip(NEXT) | instid1(VALU_DEP_1)
	v_dual_ashrrev_i32 v25, 31, v16 :: v_dual_ashrrev_i32 v26, 31, v17
	v_bitop3_b32 v16, v25, v16, 0x80000000 bitop3:0x36
	s_delay_alu instid0(VALU_DEP_2) | instskip(NEXT) | instid1(VALU_DEP_1)
	v_bitop3_b32 v17, v26, v17, 0x80000000 bitop3:0x36
	v_cmp_le_u32_e64 s3, v16, v17
	s_and_b32 s9, s3, exec_lo
; %bb.139:
	s_or_b32 exec_lo, exec_lo, s7
	s_delay_alu instid0(SALU_CYCLE_1)
	s_or_not1_b32 s7, s9, exec_lo
.LBB1431_140:
	s_or_b32 exec_lo, exec_lo, s8
	v_dual_cndmask_b32 v16, v18, v19, s7 :: v_dual_cndmask_b32 v17, v23, v22, s7
	s_mov_b32 s9, -1
	s_mov_b32 s8, exec_lo
	s_delay_alu instid0(VALU_DEP_1) | instskip(NEXT) | instid1(VALU_DEP_1)
	v_add_nc_u32_e32 v25, 1, v16
	v_add_min_u32_e64 v17, v17, -1, v25
	s_delay_alu instid0(VALU_DEP_1)
	v_lshl_add_u32 v10, v17, 2, v10
	ds_load_b32 v26, v10
	v_lshl_add_u32 v10, v16, 3, v4
	ds_load_b64 v[16:17], v10 offset:4096
	s_wait_dscnt 0x1
	v_dual_cndmask_b32 v10, v26, v11, s7 :: v_dual_cndmask_b32 v18, v25, v18, s7
	v_dual_cndmask_b32 v19, v19, v25, s7 :: v_dual_cndmask_b32 v25, v24, v26, s7
	s_delay_alu instid0(VALU_DEP_2)
	v_cmpx_lt_u32_e64 v18, v23
	s_cbranch_execz .LBB1431_144
; %bb.141:
	s_mov_b32 s10, 0
	s_mov_b32 s9, exec_lo
	v_cmpx_lt_u32_e64 v19, v22
; %bb.142:
	v_dual_add_f32 v22, 0, v25 :: v_dual_add_f32 v23, 0, v10
	s_delay_alu instid0(VALU_DEP_1) | instskip(NEXT) | instid1(VALU_DEP_1)
	v_dual_ashrrev_i32 v26, 31, v22 :: v_dual_ashrrev_i32 v27, 31, v23
	v_bitop3_b32 v22, v26, v22, 0x80000000 bitop3:0x36
	s_delay_alu instid0(VALU_DEP_2) | instskip(NEXT) | instid1(VALU_DEP_1)
	v_bitop3_b32 v23, v27, v23, 0x80000000 bitop3:0x36
	v_cmp_le_u32_e64 s3, v22, v23
	s_and_b32 s10, s3, exec_lo
; %bb.143:
	s_or_b32 exec_lo, exec_lo, s9
	s_delay_alu instid0(SALU_CYCLE_1)
	s_or_not1_b32 s9, s10, exec_lo
.LBB1431_144:
	s_or_b32 exec_lo, exec_lo, s8
	s_delay_alu instid0(VALU_DEP_2) | instskip(SKIP_2) | instid1(VALU_DEP_3)
	v_dual_cndmask_b32 v18, v18, v19, s9 :: v_dual_cndmask_b32 v39, v11, v24, s7
	v_cndmask_b32_e64 v38, v1, v5, s4
	v_dual_cndmask_b32 v48, v21, v20, s6 :: v_dual_cndmask_b32 v37, v10, v25, s9
	v_lshl_add_u32 v4, v18, 3, v4
	ds_load_b64 v[18:19], v4 offset:4096
.LBB1431_145:
	s_or_b32 exec_lo, exec_lo, s5
	v_lshl_add_u64 v[2:3], v[8:9], 2, v[2:3]
	v_dual_mov_b32 v5, 0 :: v_dual_lshlrev_b32 v4, 2, v50
	; wave barrier
	s_wait_storecnt_dscnt 0x0
	s_barrier_signal -1
	s_delay_alu instid0(VALU_DEP_1)
	v_add_nc_u64_e32 v[2:3], v[2:3], v[4:5]
	s_barrier_wait -1
	; wave barrier
	s_and_saveexec_b32 s3, vcc_lo
	s_cbranch_execnz .LBB1431_158
; %bb.146:
	s_or_b32 exec_lo, exec_lo, s3
	s_and_saveexec_b32 s3, s0
	s_cbranch_execnz .LBB1431_159
.LBB1431_147:
	s_or_b32 exec_lo, exec_lo, s3
	s_and_saveexec_b32 s3, s1
	s_cbranch_execnz .LBB1431_160
.LBB1431_148:
	s_or_b32 exec_lo, exec_lo, s3
	s_and_saveexec_b32 s3, s2
	s_cbranch_execz .LBB1431_150
.LBB1431_149:
	flat_store_b32 v[2:3], v37 offset:12
.LBB1431_150:
	s_wait_xcnt 0x0
	s_or_b32 exec_lo, exec_lo, s3
	v_lshl_add_u64 v[2:3], v[8:9], 3, v[6:7]
	v_mov_b32_e32 v1, 0
	; wave barrier
	s_delay_alu instid0(VALU_DEP_1)
	v_add_nc_u64_e32 v[0:1], v[2:3], v[0:1]
	s_and_saveexec_b32 s3, vcc_lo
	s_cbranch_execnz .LBB1431_161
; %bb.151:
	s_or_b32 exec_lo, exec_lo, s3
	s_and_saveexec_b32 s3, s0
	s_cbranch_execnz .LBB1431_162
.LBB1431_152:
	s_or_b32 exec_lo, exec_lo, s3
	s_and_saveexec_b32 s0, s1
	s_cbranch_execnz .LBB1431_163
.LBB1431_153:
	s_or_b32 exec_lo, exec_lo, s0
	s_and_saveexec_b32 s0, s2
	s_cbranch_execnz .LBB1431_164
.LBB1431_154:
	s_or_b32 exec_lo, exec_lo, s0
	s_wait_dscnt 0x0
	s_set_pc_i64 s[30:31]
.LBB1431_155:
	flat_load_b64 v[12:13], v[4:5]
	v_dual_mov_b32 v14, v1 :: v_dual_mov_b32 v15, v1
	v_dual_mov_b32 v16, v1 :: v_dual_mov_b32 v17, v1
	;; [unrolled: 1-line block ×3, first 2 shown]
	s_wait_xcnt 0x0
	s_or_b32 exec_lo, exec_lo, s3
	s_and_saveexec_b32 s3, s0
	s_cbranch_execz .LBB1431_10
.LBB1431_156:
	flat_load_b64 v[14:15], v[4:5] offset:8
	s_wait_xcnt 0x0
	s_or_b32 exec_lo, exec_lo, s3
	s_and_saveexec_b32 s3, s1
	s_cbranch_execz .LBB1431_11
.LBB1431_157:
	flat_load_b64 v[16:17], v[4:5] offset:16
	s_wait_xcnt 0x0
	s_or_b32 exec_lo, exec_lo, s3
	s_and_saveexec_b32 s3, s2
	s_cbranch_execnz .LBB1431_12
	s_branch .LBB1431_13
.LBB1431_158:
	flat_store_b32 v[2:3], v48
	s_wait_xcnt 0x0
	s_or_b32 exec_lo, exec_lo, s3
	s_and_saveexec_b32 s3, s0
	s_cbranch_execz .LBB1431_147
.LBB1431_159:
	flat_store_b32 v[2:3], v38 offset:4
	s_wait_xcnt 0x0
	s_or_b32 exec_lo, exec_lo, s3
	s_and_saveexec_b32 s3, s1
	s_cbranch_execz .LBB1431_148
.LBB1431_160:
	flat_store_b32 v[2:3], v39 offset:8
	s_wait_xcnt 0x0
	s_or_b32 exec_lo, exec_lo, s3
	s_and_saveexec_b32 s3, s2
	s_cbranch_execnz .LBB1431_149
	s_branch .LBB1431_150
.LBB1431_161:
	flat_store_b64 v[0:1], v[12:13]
	s_wait_xcnt 0x0
	s_or_b32 exec_lo, exec_lo, s3
	s_and_saveexec_b32 s3, s0
	s_cbranch_execz .LBB1431_152
.LBB1431_162:
	flat_store_b64 v[0:1], v[14:15] offset:8
	s_wait_xcnt 0x0
	s_or_b32 exec_lo, exec_lo, s3
	s_and_saveexec_b32 s0, s1
	s_cbranch_execz .LBB1431_153
.LBB1431_163:
	flat_store_b64 v[0:1], v[16:17] offset:16
	s_wait_xcnt 0x0
	s_or_b32 exec_lo, exec_lo, s0
	s_and_saveexec_b32 s0, s2
	s_cbranch_execz .LBB1431_154
.LBB1431_164:
	flat_store_b64 v[0:1], v[18:19] offset:24
	s_wait_xcnt 0x0
	s_or_b32 exec_lo, exec_lo, s0
	s_wait_dscnt 0x0
	s_set_pc_i64 s[30:31]
.Lfunc_end1431:
	.size	_ZN7rocprim17ROCPRIM_400000_NS6detail26segmented_warp_sort_helperINS1_20WarpSortHelperConfigILj32ELj4ELj256EEEflLi256ELb0EvE4sortIPKfPfPKlPlEEvT_T0_T1_T2_jjjjRNS5_12storage_typeE, .Lfunc_end1431-_ZN7rocprim17ROCPRIM_400000_NS6detail26segmented_warp_sort_helperINS1_20WarpSortHelperConfigILj32ELj4ELj256EEEflLi256ELb0EvE4sortIPKfPfPKlPlEEvT_T0_T1_T2_jjjjRNS5_12storage_typeE
                                        ; -- End function
	.set .L_ZN7rocprim17ROCPRIM_400000_NS6detail26segmented_warp_sort_helperINS1_20WarpSortHelperConfigILj32ELj4ELj256EEEflLi256ELb0EvE4sortIPKfPfPKlPlEEvT_T0_T1_T2_jjjjRNS5_12storage_typeE.num_vgpr, 72
	.set .L_ZN7rocprim17ROCPRIM_400000_NS6detail26segmented_warp_sort_helperINS1_20WarpSortHelperConfigILj32ELj4ELj256EEEflLi256ELb0EvE4sortIPKfPfPKlPlEEvT_T0_T1_T2_jjjjRNS5_12storage_typeE.num_agpr, 0
	.set .L_ZN7rocprim17ROCPRIM_400000_NS6detail26segmented_warp_sort_helperINS1_20WarpSortHelperConfigILj32ELj4ELj256EEEflLi256ELb0EvE4sortIPKfPfPKlPlEEvT_T0_T1_T2_jjjjRNS5_12storage_typeE.numbered_sgpr, 32
	.set .L_ZN7rocprim17ROCPRIM_400000_NS6detail26segmented_warp_sort_helperINS1_20WarpSortHelperConfigILj32ELj4ELj256EEEflLi256ELb0EvE4sortIPKfPfPKlPlEEvT_T0_T1_T2_jjjjRNS5_12storage_typeE.num_named_barrier, 0
	.set .L_ZN7rocprim17ROCPRIM_400000_NS6detail26segmented_warp_sort_helperINS1_20WarpSortHelperConfigILj32ELj4ELj256EEEflLi256ELb0EvE4sortIPKfPfPKlPlEEvT_T0_T1_T2_jjjjRNS5_12storage_typeE.private_seg_size, 0
	.set .L_ZN7rocprim17ROCPRIM_400000_NS6detail26segmented_warp_sort_helperINS1_20WarpSortHelperConfigILj32ELj4ELj256EEEflLi256ELb0EvE4sortIPKfPfPKlPlEEvT_T0_T1_T2_jjjjRNS5_12storage_typeE.uses_vcc, 1
	.set .L_ZN7rocprim17ROCPRIM_400000_NS6detail26segmented_warp_sort_helperINS1_20WarpSortHelperConfigILj32ELj4ELj256EEEflLi256ELb0EvE4sortIPKfPfPKlPlEEvT_T0_T1_T2_jjjjRNS5_12storage_typeE.uses_flat_scratch, 0
	.set .L_ZN7rocprim17ROCPRIM_400000_NS6detail26segmented_warp_sort_helperINS1_20WarpSortHelperConfigILj32ELj4ELj256EEEflLi256ELb0EvE4sortIPKfPfPKlPlEEvT_T0_T1_T2_jjjjRNS5_12storage_typeE.has_dyn_sized_stack, 0
	.set .L_ZN7rocprim17ROCPRIM_400000_NS6detail26segmented_warp_sort_helperINS1_20WarpSortHelperConfigILj32ELj4ELj256EEEflLi256ELb0EvE4sortIPKfPfPKlPlEEvT_T0_T1_T2_jjjjRNS5_12storage_typeE.has_recursion, 0
	.set .L_ZN7rocprim17ROCPRIM_400000_NS6detail26segmented_warp_sort_helperINS1_20WarpSortHelperConfigILj32ELj4ELj256EEEflLi256ELb0EvE4sortIPKfPfPKlPlEEvT_T0_T1_T2_jjjjRNS5_12storage_typeE.has_indirect_call, 0
	.section	.AMDGPU.csdata,"",@progbits
; Function info:
; codeLenInByte = 8304
; TotalNumSgprs: 34
; NumVgprs: 72
; ScratchSize: 0
; MemoryBound: 1
	.section	.text._ZN7rocprim17ROCPRIM_400000_NS6detail17trampoline_kernelINS0_14default_configENS1_36segmented_radix_sort_config_selectorIflEEZNS1_25segmented_radix_sort_implIS3_Lb0EPKfPfPKlPlN2at6native12_GLOBAL__N_18offset_tEEE10hipError_tPvRmT1_PNSt15iterator_traitsISK_E10value_typeET2_T3_PNSL_ISQ_E10value_typeET4_jRbjT5_SW_jjP12ihipStream_tbEUlT_E0_NS1_11comp_targetILNS1_3genE0ELNS1_11target_archE4294967295ELNS1_3gpuE0ELNS1_3repE0EEENS1_60segmented_radix_sort_warp_sort_medium_config_static_selectorELNS0_4arch9wavefront6targetE0EEEvSK_,"axG",@progbits,_ZN7rocprim17ROCPRIM_400000_NS6detail17trampoline_kernelINS0_14default_configENS1_36segmented_radix_sort_config_selectorIflEEZNS1_25segmented_radix_sort_implIS3_Lb0EPKfPfPKlPlN2at6native12_GLOBAL__N_18offset_tEEE10hipError_tPvRmT1_PNSt15iterator_traitsISK_E10value_typeET2_T3_PNSL_ISQ_E10value_typeET4_jRbjT5_SW_jjP12ihipStream_tbEUlT_E0_NS1_11comp_targetILNS1_3genE0ELNS1_11target_archE4294967295ELNS1_3gpuE0ELNS1_3repE0EEENS1_60segmented_radix_sort_warp_sort_medium_config_static_selectorELNS0_4arch9wavefront6targetE0EEEvSK_,comdat
	.globl	_ZN7rocprim17ROCPRIM_400000_NS6detail17trampoline_kernelINS0_14default_configENS1_36segmented_radix_sort_config_selectorIflEEZNS1_25segmented_radix_sort_implIS3_Lb0EPKfPfPKlPlN2at6native12_GLOBAL__N_18offset_tEEE10hipError_tPvRmT1_PNSt15iterator_traitsISK_E10value_typeET2_T3_PNSL_ISQ_E10value_typeET4_jRbjT5_SW_jjP12ihipStream_tbEUlT_E0_NS1_11comp_targetILNS1_3genE0ELNS1_11target_archE4294967295ELNS1_3gpuE0ELNS1_3repE0EEENS1_60segmented_radix_sort_warp_sort_medium_config_static_selectorELNS0_4arch9wavefront6targetE0EEEvSK_ ; -- Begin function _ZN7rocprim17ROCPRIM_400000_NS6detail17trampoline_kernelINS0_14default_configENS1_36segmented_radix_sort_config_selectorIflEEZNS1_25segmented_radix_sort_implIS3_Lb0EPKfPfPKlPlN2at6native12_GLOBAL__N_18offset_tEEE10hipError_tPvRmT1_PNSt15iterator_traitsISK_E10value_typeET2_T3_PNSL_ISQ_E10value_typeET4_jRbjT5_SW_jjP12ihipStream_tbEUlT_E0_NS1_11comp_targetILNS1_3genE0ELNS1_11target_archE4294967295ELNS1_3gpuE0ELNS1_3repE0EEENS1_60segmented_radix_sort_warp_sort_medium_config_static_selectorELNS0_4arch9wavefront6targetE0EEEvSK_
	.p2align	8
	.type	_ZN7rocprim17ROCPRIM_400000_NS6detail17trampoline_kernelINS0_14default_configENS1_36segmented_radix_sort_config_selectorIflEEZNS1_25segmented_radix_sort_implIS3_Lb0EPKfPfPKlPlN2at6native12_GLOBAL__N_18offset_tEEE10hipError_tPvRmT1_PNSt15iterator_traitsISK_E10value_typeET2_T3_PNSL_ISQ_E10value_typeET4_jRbjT5_SW_jjP12ihipStream_tbEUlT_E0_NS1_11comp_targetILNS1_3genE0ELNS1_11target_archE4294967295ELNS1_3gpuE0ELNS1_3repE0EEENS1_60segmented_radix_sort_warp_sort_medium_config_static_selectorELNS0_4arch9wavefront6targetE0EEEvSK_,@function
_ZN7rocprim17ROCPRIM_400000_NS6detail17trampoline_kernelINS0_14default_configENS1_36segmented_radix_sort_config_selectorIflEEZNS1_25segmented_radix_sort_implIS3_Lb0EPKfPfPKlPlN2at6native12_GLOBAL__N_18offset_tEEE10hipError_tPvRmT1_PNSt15iterator_traitsISK_E10value_typeET2_T3_PNSL_ISQ_E10value_typeET4_jRbjT5_SW_jjP12ihipStream_tbEUlT_E0_NS1_11comp_targetILNS1_3genE0ELNS1_11target_archE4294967295ELNS1_3gpuE0ELNS1_3repE0EEENS1_60segmented_radix_sort_warp_sort_medium_config_static_selectorELNS0_4arch9wavefront6targetE0EEEvSK_: ; @_ZN7rocprim17ROCPRIM_400000_NS6detail17trampoline_kernelINS0_14default_configENS1_36segmented_radix_sort_config_selectorIflEEZNS1_25segmented_radix_sort_implIS3_Lb0EPKfPfPKlPlN2at6native12_GLOBAL__N_18offset_tEEE10hipError_tPvRmT1_PNSt15iterator_traitsISK_E10value_typeET2_T3_PNSL_ISQ_E10value_typeET4_jRbjT5_SW_jjP12ihipStream_tbEUlT_E0_NS1_11comp_targetILNS1_3genE0ELNS1_11target_archE4294967295ELNS1_3gpuE0ELNS1_3repE0EEENS1_60segmented_radix_sort_warp_sort_medium_config_static_selectorELNS0_4arch9wavefront6targetE0EEEvSK_
; %bb.0:
	s_load_b32 s4, s[2:3], 0x64
	v_bfe_u32 v1, v0, 10, 10
	v_bfe_u32 v2, v0, 20, 10
	v_and_b32_e32 v3, 0x3ff, v0
	s_and_b32 s6, ttmp6, 15
	s_getreg_b32 s7, hwreg(HW_REG_IB_STS2, 6, 4)
	s_mov_b32 s32, 0
	s_wait_kmcnt 0x0
	s_lshr_b32 s5, s4, 16
	s_and_b32 s4, s4, 0xffff
	v_mad_u32_u24 v1, v2, s5, v1
	s_bfe_u32 s5, ttmp6, 0x4000c
	s_delay_alu instid0(SALU_CYCLE_1) | instskip(NEXT) | instid1(SALU_CYCLE_1)
	s_add_co_i32 s5, s5, 1
	s_mul_i32 s5, ttmp9, s5
	s_delay_alu instid0(VALU_DEP_1) | instskip(SKIP_4) | instid1(VALU_DEP_1)
	v_mad_u32 v1, v1, s4, v3
	s_load_b32 s4, s[2:3], 0x34
	s_add_co_i32 s6, s6, s5
	s_cmp_eq_u32 s7, 0
	s_cselect_b32 s5, ttmp9, s6
	v_lshrrev_b32_e32 v1, 5, v1
	s_delay_alu instid0(VALU_DEP_1) | instskip(SKIP_1) | instid1(VALU_DEP_1)
	v_lshl_add_u32 v1, s5, 3, v1
	s_wait_kmcnt 0x0
	v_cmp_gt_u32_e32 vcc_lo, s4, v1
	s_and_saveexec_b32 s4, vcc_lo
	s_cbranch_execz .LBB1432_6
; %bb.1:
	s_clause 0x1
	s_load_b64 s[8:9], s[2:3], 0x38
	s_load_b128 s[4:7], s[2:3], 0x40
	s_wait_kmcnt 0x0
	global_load_b32 v1, v1, s[8:9] scale_offset
	s_wait_loadcnt 0x0
	v_dual_add_nc_u32 v2, s5, v1 :: v_dual_add_nc_u32 v1, s7, v1
	s_delay_alu instid0(VALU_DEP_1) | instskip(NEXT) | instid1(VALU_DEP_2)
	v_mul_lo_u32 v8, v2, s4
	v_mul_lo_u32 v40, v1, s6
	s_delay_alu instid0(VALU_DEP_1)
	v_cmp_gt_u32_e32 vcc_lo, v40, v8
	s_and_b32 exec_lo, exec_lo, vcc_lo
	s_cbranch_execz .LBB1432_6
; %bb.2:
	s_clause 0x2
	s_load_b32 s4, s[2:3], 0x30
	s_load_b128 s[24:27], s[2:3], 0x20
	s_load_b256 s[16:23], s[2:3], 0x0
	s_add_nc_u64 s[14:15], s[2:3], 0x58
	s_get_pc_i64 s[28:29]
	s_add_nc_u64 s[28:29], s[28:29], _ZN7rocprim17ROCPRIM_400000_NS6detail26segmented_warp_sort_helperINS1_20WarpSortHelperConfigILj32ELj4ELj256EEEflLi256ELb0EvE4sortIPKfPfPKlPlEEvT_T0_T1_T2_jjjjRNS5_12storage_typeE@rel64+4
	s_wait_kmcnt 0x0
	s_bitcmp0_b32 s4, 0
	s_mov_b32 s4, -1
	s_cbranch_scc0 .LBB1432_4
; %bb.3:
	s_mov_b64 s[2:3], src_shared_base
	v_dual_mov_b32 v31, v0 :: v_dual_mov_b32 v41, v0
	v_dual_mov_b32 v0, s16 :: v_dual_mov_b32 v1, s17
	;; [unrolled: 1-line block ×6, first 2 shown]
	v_mov_b32_e32 v11, s3
	s_mov_b64 s[6:7], s[0:1]
	s_mov_b64 s[8:9], s[14:15]
	;; [unrolled: 1-line block ×3, first 2 shown]
	s_swap_pc_i64 s[30:31], s[28:29]
	v_mov_b32_e32 v0, v41
	s_mov_b64 s[0:1], s[18:19]
	s_mov_b32 s4, 0
.LBB1432_4:
	s_delay_alu instid0(SALU_CYCLE_1)
	s_and_not1_b32 vcc_lo, exec_lo, s4
	s_cbranch_vccnz .LBB1432_6
; %bb.5:
	s_mov_b64 s[2:3], src_shared_base
	v_dual_mov_b32 v31, v0 :: v_dual_mov_b32 v0, s16
	v_dual_mov_b32 v1, s17 :: v_dual_mov_b32 v2, s20
	;; [unrolled: 1-line block ×6, first 2 shown]
	s_mov_b64 s[6:7], s[0:1]
	s_mov_b64 s[8:9], s[14:15]
	s_swap_pc_i64 s[30:31], s[28:29]
.LBB1432_6:
	s_endpgm
	.section	.rodata,"a",@progbits
	.p2align	6, 0x0
	.amdhsa_kernel _ZN7rocprim17ROCPRIM_400000_NS6detail17trampoline_kernelINS0_14default_configENS1_36segmented_radix_sort_config_selectorIflEEZNS1_25segmented_radix_sort_implIS3_Lb0EPKfPfPKlPlN2at6native12_GLOBAL__N_18offset_tEEE10hipError_tPvRmT1_PNSt15iterator_traitsISK_E10value_typeET2_T3_PNSL_ISQ_E10value_typeET4_jRbjT5_SW_jjP12ihipStream_tbEUlT_E0_NS1_11comp_targetILNS1_3genE0ELNS1_11target_archE4294967295ELNS1_3gpuE0ELNS1_3repE0EEENS1_60segmented_radix_sort_warp_sort_medium_config_static_selectorELNS0_4arch9wavefront6targetE0EEEvSK_
		.amdhsa_group_segment_fixed_size 12288
		.amdhsa_private_segment_fixed_size 0
		.amdhsa_kernarg_size 344
		.amdhsa_user_sgpr_count 4
		.amdhsa_user_sgpr_dispatch_ptr 0
		.amdhsa_user_sgpr_queue_ptr 1
		.amdhsa_user_sgpr_kernarg_segment_ptr 1
		.amdhsa_user_sgpr_dispatch_id 0
		.amdhsa_user_sgpr_kernarg_preload_length 0
		.amdhsa_user_sgpr_kernarg_preload_offset 0
		.amdhsa_user_sgpr_private_segment_size 0
		.amdhsa_wavefront_size32 1
		.amdhsa_uses_dynamic_stack 0
		.amdhsa_enable_private_segment 0
		.amdhsa_system_sgpr_workgroup_id_x 1
		.amdhsa_system_sgpr_workgroup_id_y 1
		.amdhsa_system_sgpr_workgroup_id_z 0
		.amdhsa_system_sgpr_workgroup_info 0
		.amdhsa_system_vgpr_workitem_id 2
		.amdhsa_next_free_vgpr 72
		.amdhsa_next_free_sgpr 33
		.amdhsa_named_barrier_count 0
		.amdhsa_reserve_vcc 1
		.amdhsa_float_round_mode_32 0
		.amdhsa_float_round_mode_16_64 0
		.amdhsa_float_denorm_mode_32 3
		.amdhsa_float_denorm_mode_16_64 3
		.amdhsa_fp16_overflow 0
		.amdhsa_memory_ordered 1
		.amdhsa_forward_progress 1
		.amdhsa_inst_pref_size 4
		.amdhsa_round_robin_scheduling 0
		.amdhsa_exception_fp_ieee_invalid_op 0
		.amdhsa_exception_fp_denorm_src 0
		.amdhsa_exception_fp_ieee_div_zero 0
		.amdhsa_exception_fp_ieee_overflow 0
		.amdhsa_exception_fp_ieee_underflow 0
		.amdhsa_exception_fp_ieee_inexact 0
		.amdhsa_exception_int_div_zero 0
	.end_amdhsa_kernel
	.section	.text._ZN7rocprim17ROCPRIM_400000_NS6detail17trampoline_kernelINS0_14default_configENS1_36segmented_radix_sort_config_selectorIflEEZNS1_25segmented_radix_sort_implIS3_Lb0EPKfPfPKlPlN2at6native12_GLOBAL__N_18offset_tEEE10hipError_tPvRmT1_PNSt15iterator_traitsISK_E10value_typeET2_T3_PNSL_ISQ_E10value_typeET4_jRbjT5_SW_jjP12ihipStream_tbEUlT_E0_NS1_11comp_targetILNS1_3genE0ELNS1_11target_archE4294967295ELNS1_3gpuE0ELNS1_3repE0EEENS1_60segmented_radix_sort_warp_sort_medium_config_static_selectorELNS0_4arch9wavefront6targetE0EEEvSK_,"axG",@progbits,_ZN7rocprim17ROCPRIM_400000_NS6detail17trampoline_kernelINS0_14default_configENS1_36segmented_radix_sort_config_selectorIflEEZNS1_25segmented_radix_sort_implIS3_Lb0EPKfPfPKlPlN2at6native12_GLOBAL__N_18offset_tEEE10hipError_tPvRmT1_PNSt15iterator_traitsISK_E10value_typeET2_T3_PNSL_ISQ_E10value_typeET4_jRbjT5_SW_jjP12ihipStream_tbEUlT_E0_NS1_11comp_targetILNS1_3genE0ELNS1_11target_archE4294967295ELNS1_3gpuE0ELNS1_3repE0EEENS1_60segmented_radix_sort_warp_sort_medium_config_static_selectorELNS0_4arch9wavefront6targetE0EEEvSK_,comdat
.Lfunc_end1432:
	.size	_ZN7rocprim17ROCPRIM_400000_NS6detail17trampoline_kernelINS0_14default_configENS1_36segmented_radix_sort_config_selectorIflEEZNS1_25segmented_radix_sort_implIS3_Lb0EPKfPfPKlPlN2at6native12_GLOBAL__N_18offset_tEEE10hipError_tPvRmT1_PNSt15iterator_traitsISK_E10value_typeET2_T3_PNSL_ISQ_E10value_typeET4_jRbjT5_SW_jjP12ihipStream_tbEUlT_E0_NS1_11comp_targetILNS1_3genE0ELNS1_11target_archE4294967295ELNS1_3gpuE0ELNS1_3repE0EEENS1_60segmented_radix_sort_warp_sort_medium_config_static_selectorELNS0_4arch9wavefront6targetE0EEEvSK_, .Lfunc_end1432-_ZN7rocprim17ROCPRIM_400000_NS6detail17trampoline_kernelINS0_14default_configENS1_36segmented_radix_sort_config_selectorIflEEZNS1_25segmented_radix_sort_implIS3_Lb0EPKfPfPKlPlN2at6native12_GLOBAL__N_18offset_tEEE10hipError_tPvRmT1_PNSt15iterator_traitsISK_E10value_typeET2_T3_PNSL_ISQ_E10value_typeET4_jRbjT5_SW_jjP12ihipStream_tbEUlT_E0_NS1_11comp_targetILNS1_3genE0ELNS1_11target_archE4294967295ELNS1_3gpuE0ELNS1_3repE0EEENS1_60segmented_radix_sort_warp_sort_medium_config_static_selectorELNS0_4arch9wavefront6targetE0EEEvSK_
                                        ; -- End function
	.set _ZN7rocprim17ROCPRIM_400000_NS6detail17trampoline_kernelINS0_14default_configENS1_36segmented_radix_sort_config_selectorIflEEZNS1_25segmented_radix_sort_implIS3_Lb0EPKfPfPKlPlN2at6native12_GLOBAL__N_18offset_tEEE10hipError_tPvRmT1_PNSt15iterator_traitsISK_E10value_typeET2_T3_PNSL_ISQ_E10value_typeET4_jRbjT5_SW_jjP12ihipStream_tbEUlT_E0_NS1_11comp_targetILNS1_3genE0ELNS1_11target_archE4294967295ELNS1_3gpuE0ELNS1_3repE0EEENS1_60segmented_radix_sort_warp_sort_medium_config_static_selectorELNS0_4arch9wavefront6targetE0EEEvSK_.num_vgpr, max(42, .L_ZN7rocprim17ROCPRIM_400000_NS6detail26segmented_warp_sort_helperINS1_20WarpSortHelperConfigILj32ELj4ELj256EEEflLi256ELb0EvE4sortIPKfPfPKlPlEEvT_T0_T1_T2_jjjjRNS5_12storage_typeE.num_vgpr)
	.set _ZN7rocprim17ROCPRIM_400000_NS6detail17trampoline_kernelINS0_14default_configENS1_36segmented_radix_sort_config_selectorIflEEZNS1_25segmented_radix_sort_implIS3_Lb0EPKfPfPKlPlN2at6native12_GLOBAL__N_18offset_tEEE10hipError_tPvRmT1_PNSt15iterator_traitsISK_E10value_typeET2_T3_PNSL_ISQ_E10value_typeET4_jRbjT5_SW_jjP12ihipStream_tbEUlT_E0_NS1_11comp_targetILNS1_3genE0ELNS1_11target_archE4294967295ELNS1_3gpuE0ELNS1_3repE0EEENS1_60segmented_radix_sort_warp_sort_medium_config_static_selectorELNS0_4arch9wavefront6targetE0EEEvSK_.num_agpr, max(0, .L_ZN7rocprim17ROCPRIM_400000_NS6detail26segmented_warp_sort_helperINS1_20WarpSortHelperConfigILj32ELj4ELj256EEEflLi256ELb0EvE4sortIPKfPfPKlPlEEvT_T0_T1_T2_jjjjRNS5_12storage_typeE.num_agpr)
	.set _ZN7rocprim17ROCPRIM_400000_NS6detail17trampoline_kernelINS0_14default_configENS1_36segmented_radix_sort_config_selectorIflEEZNS1_25segmented_radix_sort_implIS3_Lb0EPKfPfPKlPlN2at6native12_GLOBAL__N_18offset_tEEE10hipError_tPvRmT1_PNSt15iterator_traitsISK_E10value_typeET2_T3_PNSL_ISQ_E10value_typeET4_jRbjT5_SW_jjP12ihipStream_tbEUlT_E0_NS1_11comp_targetILNS1_3genE0ELNS1_11target_archE4294967295ELNS1_3gpuE0ELNS1_3repE0EEENS1_60segmented_radix_sort_warp_sort_medium_config_static_selectorELNS0_4arch9wavefront6targetE0EEEvSK_.numbered_sgpr, max(33, .L_ZN7rocprim17ROCPRIM_400000_NS6detail26segmented_warp_sort_helperINS1_20WarpSortHelperConfigILj32ELj4ELj256EEEflLi256ELb0EvE4sortIPKfPfPKlPlEEvT_T0_T1_T2_jjjjRNS5_12storage_typeE.numbered_sgpr)
	.set _ZN7rocprim17ROCPRIM_400000_NS6detail17trampoline_kernelINS0_14default_configENS1_36segmented_radix_sort_config_selectorIflEEZNS1_25segmented_radix_sort_implIS3_Lb0EPKfPfPKlPlN2at6native12_GLOBAL__N_18offset_tEEE10hipError_tPvRmT1_PNSt15iterator_traitsISK_E10value_typeET2_T3_PNSL_ISQ_E10value_typeET4_jRbjT5_SW_jjP12ihipStream_tbEUlT_E0_NS1_11comp_targetILNS1_3genE0ELNS1_11target_archE4294967295ELNS1_3gpuE0ELNS1_3repE0EEENS1_60segmented_radix_sort_warp_sort_medium_config_static_selectorELNS0_4arch9wavefront6targetE0EEEvSK_.num_named_barrier, max(0, .L_ZN7rocprim17ROCPRIM_400000_NS6detail26segmented_warp_sort_helperINS1_20WarpSortHelperConfigILj32ELj4ELj256EEEflLi256ELb0EvE4sortIPKfPfPKlPlEEvT_T0_T1_T2_jjjjRNS5_12storage_typeE.num_named_barrier)
	.set _ZN7rocprim17ROCPRIM_400000_NS6detail17trampoline_kernelINS0_14default_configENS1_36segmented_radix_sort_config_selectorIflEEZNS1_25segmented_radix_sort_implIS3_Lb0EPKfPfPKlPlN2at6native12_GLOBAL__N_18offset_tEEE10hipError_tPvRmT1_PNSt15iterator_traitsISK_E10value_typeET2_T3_PNSL_ISQ_E10value_typeET4_jRbjT5_SW_jjP12ihipStream_tbEUlT_E0_NS1_11comp_targetILNS1_3genE0ELNS1_11target_archE4294967295ELNS1_3gpuE0ELNS1_3repE0EEENS1_60segmented_radix_sort_warp_sort_medium_config_static_selectorELNS0_4arch9wavefront6targetE0EEEvSK_.private_seg_size, 0+max(.L_ZN7rocprim17ROCPRIM_400000_NS6detail26segmented_warp_sort_helperINS1_20WarpSortHelperConfigILj32ELj4ELj256EEEflLi256ELb0EvE4sortIPKfPfPKlPlEEvT_T0_T1_T2_jjjjRNS5_12storage_typeE.private_seg_size)
	.set _ZN7rocprim17ROCPRIM_400000_NS6detail17trampoline_kernelINS0_14default_configENS1_36segmented_radix_sort_config_selectorIflEEZNS1_25segmented_radix_sort_implIS3_Lb0EPKfPfPKlPlN2at6native12_GLOBAL__N_18offset_tEEE10hipError_tPvRmT1_PNSt15iterator_traitsISK_E10value_typeET2_T3_PNSL_ISQ_E10value_typeET4_jRbjT5_SW_jjP12ihipStream_tbEUlT_E0_NS1_11comp_targetILNS1_3genE0ELNS1_11target_archE4294967295ELNS1_3gpuE0ELNS1_3repE0EEENS1_60segmented_radix_sort_warp_sort_medium_config_static_selectorELNS0_4arch9wavefront6targetE0EEEvSK_.uses_vcc, or(1, .L_ZN7rocprim17ROCPRIM_400000_NS6detail26segmented_warp_sort_helperINS1_20WarpSortHelperConfigILj32ELj4ELj256EEEflLi256ELb0EvE4sortIPKfPfPKlPlEEvT_T0_T1_T2_jjjjRNS5_12storage_typeE.uses_vcc)
	.set _ZN7rocprim17ROCPRIM_400000_NS6detail17trampoline_kernelINS0_14default_configENS1_36segmented_radix_sort_config_selectorIflEEZNS1_25segmented_radix_sort_implIS3_Lb0EPKfPfPKlPlN2at6native12_GLOBAL__N_18offset_tEEE10hipError_tPvRmT1_PNSt15iterator_traitsISK_E10value_typeET2_T3_PNSL_ISQ_E10value_typeET4_jRbjT5_SW_jjP12ihipStream_tbEUlT_E0_NS1_11comp_targetILNS1_3genE0ELNS1_11target_archE4294967295ELNS1_3gpuE0ELNS1_3repE0EEENS1_60segmented_radix_sort_warp_sort_medium_config_static_selectorELNS0_4arch9wavefront6targetE0EEEvSK_.uses_flat_scratch, or(0, .L_ZN7rocprim17ROCPRIM_400000_NS6detail26segmented_warp_sort_helperINS1_20WarpSortHelperConfigILj32ELj4ELj256EEEflLi256ELb0EvE4sortIPKfPfPKlPlEEvT_T0_T1_T2_jjjjRNS5_12storage_typeE.uses_flat_scratch)
	.set _ZN7rocprim17ROCPRIM_400000_NS6detail17trampoline_kernelINS0_14default_configENS1_36segmented_radix_sort_config_selectorIflEEZNS1_25segmented_radix_sort_implIS3_Lb0EPKfPfPKlPlN2at6native12_GLOBAL__N_18offset_tEEE10hipError_tPvRmT1_PNSt15iterator_traitsISK_E10value_typeET2_T3_PNSL_ISQ_E10value_typeET4_jRbjT5_SW_jjP12ihipStream_tbEUlT_E0_NS1_11comp_targetILNS1_3genE0ELNS1_11target_archE4294967295ELNS1_3gpuE0ELNS1_3repE0EEENS1_60segmented_radix_sort_warp_sort_medium_config_static_selectorELNS0_4arch9wavefront6targetE0EEEvSK_.has_dyn_sized_stack, or(0, .L_ZN7rocprim17ROCPRIM_400000_NS6detail26segmented_warp_sort_helperINS1_20WarpSortHelperConfigILj32ELj4ELj256EEEflLi256ELb0EvE4sortIPKfPfPKlPlEEvT_T0_T1_T2_jjjjRNS5_12storage_typeE.has_dyn_sized_stack)
	.set _ZN7rocprim17ROCPRIM_400000_NS6detail17trampoline_kernelINS0_14default_configENS1_36segmented_radix_sort_config_selectorIflEEZNS1_25segmented_radix_sort_implIS3_Lb0EPKfPfPKlPlN2at6native12_GLOBAL__N_18offset_tEEE10hipError_tPvRmT1_PNSt15iterator_traitsISK_E10value_typeET2_T3_PNSL_ISQ_E10value_typeET4_jRbjT5_SW_jjP12ihipStream_tbEUlT_E0_NS1_11comp_targetILNS1_3genE0ELNS1_11target_archE4294967295ELNS1_3gpuE0ELNS1_3repE0EEENS1_60segmented_radix_sort_warp_sort_medium_config_static_selectorELNS0_4arch9wavefront6targetE0EEEvSK_.has_recursion, or(0, .L_ZN7rocprim17ROCPRIM_400000_NS6detail26segmented_warp_sort_helperINS1_20WarpSortHelperConfigILj32ELj4ELj256EEEflLi256ELb0EvE4sortIPKfPfPKlPlEEvT_T0_T1_T2_jjjjRNS5_12storage_typeE.has_recursion)
	.set _ZN7rocprim17ROCPRIM_400000_NS6detail17trampoline_kernelINS0_14default_configENS1_36segmented_radix_sort_config_selectorIflEEZNS1_25segmented_radix_sort_implIS3_Lb0EPKfPfPKlPlN2at6native12_GLOBAL__N_18offset_tEEE10hipError_tPvRmT1_PNSt15iterator_traitsISK_E10value_typeET2_T3_PNSL_ISQ_E10value_typeET4_jRbjT5_SW_jjP12ihipStream_tbEUlT_E0_NS1_11comp_targetILNS1_3genE0ELNS1_11target_archE4294967295ELNS1_3gpuE0ELNS1_3repE0EEENS1_60segmented_radix_sort_warp_sort_medium_config_static_selectorELNS0_4arch9wavefront6targetE0EEEvSK_.has_indirect_call, or(0, .L_ZN7rocprim17ROCPRIM_400000_NS6detail26segmented_warp_sort_helperINS1_20WarpSortHelperConfigILj32ELj4ELj256EEEflLi256ELb0EvE4sortIPKfPfPKlPlEEvT_T0_T1_T2_jjjjRNS5_12storage_typeE.has_indirect_call)
	.section	.AMDGPU.csdata,"",@progbits
; Kernel info:
; codeLenInByte = 480
; TotalNumSgprs: 35
; NumVgprs: 72
; ScratchSize: 0
; MemoryBound: 0
; FloatMode: 240
; IeeeMode: 1
; LDSByteSize: 12288 bytes/workgroup (compile time only)
; SGPRBlocks: 0
; VGPRBlocks: 4
; NumSGPRsForWavesPerEU: 35
; NumVGPRsForWavesPerEU: 72
; NamedBarCnt: 0
; Occupancy: 12
; WaveLimiterHint : 0
; COMPUTE_PGM_RSRC2:SCRATCH_EN: 0
; COMPUTE_PGM_RSRC2:USER_SGPR: 4
; COMPUTE_PGM_RSRC2:TRAP_HANDLER: 0
; COMPUTE_PGM_RSRC2:TGID_X_EN: 1
; COMPUTE_PGM_RSRC2:TGID_Y_EN: 1
; COMPUTE_PGM_RSRC2:TGID_Z_EN: 0
; COMPUTE_PGM_RSRC2:TIDIG_COMP_CNT: 2
	.section	.text._ZN7rocprim17ROCPRIM_400000_NS6detail17trampoline_kernelINS0_14default_configENS1_36segmented_radix_sort_config_selectorIflEEZNS1_25segmented_radix_sort_implIS3_Lb0EPKfPfPKlPlN2at6native12_GLOBAL__N_18offset_tEEE10hipError_tPvRmT1_PNSt15iterator_traitsISK_E10value_typeET2_T3_PNSL_ISQ_E10value_typeET4_jRbjT5_SW_jjP12ihipStream_tbEUlT_E0_NS1_11comp_targetILNS1_3genE5ELNS1_11target_archE942ELNS1_3gpuE9ELNS1_3repE0EEENS1_60segmented_radix_sort_warp_sort_medium_config_static_selectorELNS0_4arch9wavefront6targetE0EEEvSK_,"axG",@progbits,_ZN7rocprim17ROCPRIM_400000_NS6detail17trampoline_kernelINS0_14default_configENS1_36segmented_radix_sort_config_selectorIflEEZNS1_25segmented_radix_sort_implIS3_Lb0EPKfPfPKlPlN2at6native12_GLOBAL__N_18offset_tEEE10hipError_tPvRmT1_PNSt15iterator_traitsISK_E10value_typeET2_T3_PNSL_ISQ_E10value_typeET4_jRbjT5_SW_jjP12ihipStream_tbEUlT_E0_NS1_11comp_targetILNS1_3genE5ELNS1_11target_archE942ELNS1_3gpuE9ELNS1_3repE0EEENS1_60segmented_radix_sort_warp_sort_medium_config_static_selectorELNS0_4arch9wavefront6targetE0EEEvSK_,comdat
	.globl	_ZN7rocprim17ROCPRIM_400000_NS6detail17trampoline_kernelINS0_14default_configENS1_36segmented_radix_sort_config_selectorIflEEZNS1_25segmented_radix_sort_implIS3_Lb0EPKfPfPKlPlN2at6native12_GLOBAL__N_18offset_tEEE10hipError_tPvRmT1_PNSt15iterator_traitsISK_E10value_typeET2_T3_PNSL_ISQ_E10value_typeET4_jRbjT5_SW_jjP12ihipStream_tbEUlT_E0_NS1_11comp_targetILNS1_3genE5ELNS1_11target_archE942ELNS1_3gpuE9ELNS1_3repE0EEENS1_60segmented_radix_sort_warp_sort_medium_config_static_selectorELNS0_4arch9wavefront6targetE0EEEvSK_ ; -- Begin function _ZN7rocprim17ROCPRIM_400000_NS6detail17trampoline_kernelINS0_14default_configENS1_36segmented_radix_sort_config_selectorIflEEZNS1_25segmented_radix_sort_implIS3_Lb0EPKfPfPKlPlN2at6native12_GLOBAL__N_18offset_tEEE10hipError_tPvRmT1_PNSt15iterator_traitsISK_E10value_typeET2_T3_PNSL_ISQ_E10value_typeET4_jRbjT5_SW_jjP12ihipStream_tbEUlT_E0_NS1_11comp_targetILNS1_3genE5ELNS1_11target_archE942ELNS1_3gpuE9ELNS1_3repE0EEENS1_60segmented_radix_sort_warp_sort_medium_config_static_selectorELNS0_4arch9wavefront6targetE0EEEvSK_
	.p2align	8
	.type	_ZN7rocprim17ROCPRIM_400000_NS6detail17trampoline_kernelINS0_14default_configENS1_36segmented_radix_sort_config_selectorIflEEZNS1_25segmented_radix_sort_implIS3_Lb0EPKfPfPKlPlN2at6native12_GLOBAL__N_18offset_tEEE10hipError_tPvRmT1_PNSt15iterator_traitsISK_E10value_typeET2_T3_PNSL_ISQ_E10value_typeET4_jRbjT5_SW_jjP12ihipStream_tbEUlT_E0_NS1_11comp_targetILNS1_3genE5ELNS1_11target_archE942ELNS1_3gpuE9ELNS1_3repE0EEENS1_60segmented_radix_sort_warp_sort_medium_config_static_selectorELNS0_4arch9wavefront6targetE0EEEvSK_,@function
_ZN7rocprim17ROCPRIM_400000_NS6detail17trampoline_kernelINS0_14default_configENS1_36segmented_radix_sort_config_selectorIflEEZNS1_25segmented_radix_sort_implIS3_Lb0EPKfPfPKlPlN2at6native12_GLOBAL__N_18offset_tEEE10hipError_tPvRmT1_PNSt15iterator_traitsISK_E10value_typeET2_T3_PNSL_ISQ_E10value_typeET4_jRbjT5_SW_jjP12ihipStream_tbEUlT_E0_NS1_11comp_targetILNS1_3genE5ELNS1_11target_archE942ELNS1_3gpuE9ELNS1_3repE0EEENS1_60segmented_radix_sort_warp_sort_medium_config_static_selectorELNS0_4arch9wavefront6targetE0EEEvSK_: ; @_ZN7rocprim17ROCPRIM_400000_NS6detail17trampoline_kernelINS0_14default_configENS1_36segmented_radix_sort_config_selectorIflEEZNS1_25segmented_radix_sort_implIS3_Lb0EPKfPfPKlPlN2at6native12_GLOBAL__N_18offset_tEEE10hipError_tPvRmT1_PNSt15iterator_traitsISK_E10value_typeET2_T3_PNSL_ISQ_E10value_typeET4_jRbjT5_SW_jjP12ihipStream_tbEUlT_E0_NS1_11comp_targetILNS1_3genE5ELNS1_11target_archE942ELNS1_3gpuE9ELNS1_3repE0EEENS1_60segmented_radix_sort_warp_sort_medium_config_static_selectorELNS0_4arch9wavefront6targetE0EEEvSK_
; %bb.0:
	.section	.rodata,"a",@progbits
	.p2align	6, 0x0
	.amdhsa_kernel _ZN7rocprim17ROCPRIM_400000_NS6detail17trampoline_kernelINS0_14default_configENS1_36segmented_radix_sort_config_selectorIflEEZNS1_25segmented_radix_sort_implIS3_Lb0EPKfPfPKlPlN2at6native12_GLOBAL__N_18offset_tEEE10hipError_tPvRmT1_PNSt15iterator_traitsISK_E10value_typeET2_T3_PNSL_ISQ_E10value_typeET4_jRbjT5_SW_jjP12ihipStream_tbEUlT_E0_NS1_11comp_targetILNS1_3genE5ELNS1_11target_archE942ELNS1_3gpuE9ELNS1_3repE0EEENS1_60segmented_radix_sort_warp_sort_medium_config_static_selectorELNS0_4arch9wavefront6targetE0EEEvSK_
		.amdhsa_group_segment_fixed_size 0
		.amdhsa_private_segment_fixed_size 0
		.amdhsa_kernarg_size 88
		.amdhsa_user_sgpr_count 2
		.amdhsa_user_sgpr_dispatch_ptr 0
		.amdhsa_user_sgpr_queue_ptr 0
		.amdhsa_user_sgpr_kernarg_segment_ptr 1
		.amdhsa_user_sgpr_dispatch_id 0
		.amdhsa_user_sgpr_kernarg_preload_length 0
		.amdhsa_user_sgpr_kernarg_preload_offset 0
		.amdhsa_user_sgpr_private_segment_size 0
		.amdhsa_wavefront_size32 1
		.amdhsa_uses_dynamic_stack 0
		.amdhsa_enable_private_segment 0
		.amdhsa_system_sgpr_workgroup_id_x 1
		.amdhsa_system_sgpr_workgroup_id_y 0
		.amdhsa_system_sgpr_workgroup_id_z 0
		.amdhsa_system_sgpr_workgroup_info 0
		.amdhsa_system_vgpr_workitem_id 0
		.amdhsa_next_free_vgpr 1
		.amdhsa_next_free_sgpr 1
		.amdhsa_named_barrier_count 0
		.amdhsa_reserve_vcc 0
		.amdhsa_float_round_mode_32 0
		.amdhsa_float_round_mode_16_64 0
		.amdhsa_float_denorm_mode_32 3
		.amdhsa_float_denorm_mode_16_64 3
		.amdhsa_fp16_overflow 0
		.amdhsa_memory_ordered 1
		.amdhsa_forward_progress 1
		.amdhsa_inst_pref_size 0
		.amdhsa_round_robin_scheduling 0
		.amdhsa_exception_fp_ieee_invalid_op 0
		.amdhsa_exception_fp_denorm_src 0
		.amdhsa_exception_fp_ieee_div_zero 0
		.amdhsa_exception_fp_ieee_overflow 0
		.amdhsa_exception_fp_ieee_underflow 0
		.amdhsa_exception_fp_ieee_inexact 0
		.amdhsa_exception_int_div_zero 0
	.end_amdhsa_kernel
	.section	.text._ZN7rocprim17ROCPRIM_400000_NS6detail17trampoline_kernelINS0_14default_configENS1_36segmented_radix_sort_config_selectorIflEEZNS1_25segmented_radix_sort_implIS3_Lb0EPKfPfPKlPlN2at6native12_GLOBAL__N_18offset_tEEE10hipError_tPvRmT1_PNSt15iterator_traitsISK_E10value_typeET2_T3_PNSL_ISQ_E10value_typeET4_jRbjT5_SW_jjP12ihipStream_tbEUlT_E0_NS1_11comp_targetILNS1_3genE5ELNS1_11target_archE942ELNS1_3gpuE9ELNS1_3repE0EEENS1_60segmented_radix_sort_warp_sort_medium_config_static_selectorELNS0_4arch9wavefront6targetE0EEEvSK_,"axG",@progbits,_ZN7rocprim17ROCPRIM_400000_NS6detail17trampoline_kernelINS0_14default_configENS1_36segmented_radix_sort_config_selectorIflEEZNS1_25segmented_radix_sort_implIS3_Lb0EPKfPfPKlPlN2at6native12_GLOBAL__N_18offset_tEEE10hipError_tPvRmT1_PNSt15iterator_traitsISK_E10value_typeET2_T3_PNSL_ISQ_E10value_typeET4_jRbjT5_SW_jjP12ihipStream_tbEUlT_E0_NS1_11comp_targetILNS1_3genE5ELNS1_11target_archE942ELNS1_3gpuE9ELNS1_3repE0EEENS1_60segmented_radix_sort_warp_sort_medium_config_static_selectorELNS0_4arch9wavefront6targetE0EEEvSK_,comdat
.Lfunc_end1433:
	.size	_ZN7rocprim17ROCPRIM_400000_NS6detail17trampoline_kernelINS0_14default_configENS1_36segmented_radix_sort_config_selectorIflEEZNS1_25segmented_radix_sort_implIS3_Lb0EPKfPfPKlPlN2at6native12_GLOBAL__N_18offset_tEEE10hipError_tPvRmT1_PNSt15iterator_traitsISK_E10value_typeET2_T3_PNSL_ISQ_E10value_typeET4_jRbjT5_SW_jjP12ihipStream_tbEUlT_E0_NS1_11comp_targetILNS1_3genE5ELNS1_11target_archE942ELNS1_3gpuE9ELNS1_3repE0EEENS1_60segmented_radix_sort_warp_sort_medium_config_static_selectorELNS0_4arch9wavefront6targetE0EEEvSK_, .Lfunc_end1433-_ZN7rocprim17ROCPRIM_400000_NS6detail17trampoline_kernelINS0_14default_configENS1_36segmented_radix_sort_config_selectorIflEEZNS1_25segmented_radix_sort_implIS3_Lb0EPKfPfPKlPlN2at6native12_GLOBAL__N_18offset_tEEE10hipError_tPvRmT1_PNSt15iterator_traitsISK_E10value_typeET2_T3_PNSL_ISQ_E10value_typeET4_jRbjT5_SW_jjP12ihipStream_tbEUlT_E0_NS1_11comp_targetILNS1_3genE5ELNS1_11target_archE942ELNS1_3gpuE9ELNS1_3repE0EEENS1_60segmented_radix_sort_warp_sort_medium_config_static_selectorELNS0_4arch9wavefront6targetE0EEEvSK_
                                        ; -- End function
	.set _ZN7rocprim17ROCPRIM_400000_NS6detail17trampoline_kernelINS0_14default_configENS1_36segmented_radix_sort_config_selectorIflEEZNS1_25segmented_radix_sort_implIS3_Lb0EPKfPfPKlPlN2at6native12_GLOBAL__N_18offset_tEEE10hipError_tPvRmT1_PNSt15iterator_traitsISK_E10value_typeET2_T3_PNSL_ISQ_E10value_typeET4_jRbjT5_SW_jjP12ihipStream_tbEUlT_E0_NS1_11comp_targetILNS1_3genE5ELNS1_11target_archE942ELNS1_3gpuE9ELNS1_3repE0EEENS1_60segmented_radix_sort_warp_sort_medium_config_static_selectorELNS0_4arch9wavefront6targetE0EEEvSK_.num_vgpr, 0
	.set _ZN7rocprim17ROCPRIM_400000_NS6detail17trampoline_kernelINS0_14default_configENS1_36segmented_radix_sort_config_selectorIflEEZNS1_25segmented_radix_sort_implIS3_Lb0EPKfPfPKlPlN2at6native12_GLOBAL__N_18offset_tEEE10hipError_tPvRmT1_PNSt15iterator_traitsISK_E10value_typeET2_T3_PNSL_ISQ_E10value_typeET4_jRbjT5_SW_jjP12ihipStream_tbEUlT_E0_NS1_11comp_targetILNS1_3genE5ELNS1_11target_archE942ELNS1_3gpuE9ELNS1_3repE0EEENS1_60segmented_radix_sort_warp_sort_medium_config_static_selectorELNS0_4arch9wavefront6targetE0EEEvSK_.num_agpr, 0
	.set _ZN7rocprim17ROCPRIM_400000_NS6detail17trampoline_kernelINS0_14default_configENS1_36segmented_radix_sort_config_selectorIflEEZNS1_25segmented_radix_sort_implIS3_Lb0EPKfPfPKlPlN2at6native12_GLOBAL__N_18offset_tEEE10hipError_tPvRmT1_PNSt15iterator_traitsISK_E10value_typeET2_T3_PNSL_ISQ_E10value_typeET4_jRbjT5_SW_jjP12ihipStream_tbEUlT_E0_NS1_11comp_targetILNS1_3genE5ELNS1_11target_archE942ELNS1_3gpuE9ELNS1_3repE0EEENS1_60segmented_radix_sort_warp_sort_medium_config_static_selectorELNS0_4arch9wavefront6targetE0EEEvSK_.numbered_sgpr, 0
	.set _ZN7rocprim17ROCPRIM_400000_NS6detail17trampoline_kernelINS0_14default_configENS1_36segmented_radix_sort_config_selectorIflEEZNS1_25segmented_radix_sort_implIS3_Lb0EPKfPfPKlPlN2at6native12_GLOBAL__N_18offset_tEEE10hipError_tPvRmT1_PNSt15iterator_traitsISK_E10value_typeET2_T3_PNSL_ISQ_E10value_typeET4_jRbjT5_SW_jjP12ihipStream_tbEUlT_E0_NS1_11comp_targetILNS1_3genE5ELNS1_11target_archE942ELNS1_3gpuE9ELNS1_3repE0EEENS1_60segmented_radix_sort_warp_sort_medium_config_static_selectorELNS0_4arch9wavefront6targetE0EEEvSK_.num_named_barrier, 0
	.set _ZN7rocprim17ROCPRIM_400000_NS6detail17trampoline_kernelINS0_14default_configENS1_36segmented_radix_sort_config_selectorIflEEZNS1_25segmented_radix_sort_implIS3_Lb0EPKfPfPKlPlN2at6native12_GLOBAL__N_18offset_tEEE10hipError_tPvRmT1_PNSt15iterator_traitsISK_E10value_typeET2_T3_PNSL_ISQ_E10value_typeET4_jRbjT5_SW_jjP12ihipStream_tbEUlT_E0_NS1_11comp_targetILNS1_3genE5ELNS1_11target_archE942ELNS1_3gpuE9ELNS1_3repE0EEENS1_60segmented_radix_sort_warp_sort_medium_config_static_selectorELNS0_4arch9wavefront6targetE0EEEvSK_.private_seg_size, 0
	.set _ZN7rocprim17ROCPRIM_400000_NS6detail17trampoline_kernelINS0_14default_configENS1_36segmented_radix_sort_config_selectorIflEEZNS1_25segmented_radix_sort_implIS3_Lb0EPKfPfPKlPlN2at6native12_GLOBAL__N_18offset_tEEE10hipError_tPvRmT1_PNSt15iterator_traitsISK_E10value_typeET2_T3_PNSL_ISQ_E10value_typeET4_jRbjT5_SW_jjP12ihipStream_tbEUlT_E0_NS1_11comp_targetILNS1_3genE5ELNS1_11target_archE942ELNS1_3gpuE9ELNS1_3repE0EEENS1_60segmented_radix_sort_warp_sort_medium_config_static_selectorELNS0_4arch9wavefront6targetE0EEEvSK_.uses_vcc, 0
	.set _ZN7rocprim17ROCPRIM_400000_NS6detail17trampoline_kernelINS0_14default_configENS1_36segmented_radix_sort_config_selectorIflEEZNS1_25segmented_radix_sort_implIS3_Lb0EPKfPfPKlPlN2at6native12_GLOBAL__N_18offset_tEEE10hipError_tPvRmT1_PNSt15iterator_traitsISK_E10value_typeET2_T3_PNSL_ISQ_E10value_typeET4_jRbjT5_SW_jjP12ihipStream_tbEUlT_E0_NS1_11comp_targetILNS1_3genE5ELNS1_11target_archE942ELNS1_3gpuE9ELNS1_3repE0EEENS1_60segmented_radix_sort_warp_sort_medium_config_static_selectorELNS0_4arch9wavefront6targetE0EEEvSK_.uses_flat_scratch, 0
	.set _ZN7rocprim17ROCPRIM_400000_NS6detail17trampoline_kernelINS0_14default_configENS1_36segmented_radix_sort_config_selectorIflEEZNS1_25segmented_radix_sort_implIS3_Lb0EPKfPfPKlPlN2at6native12_GLOBAL__N_18offset_tEEE10hipError_tPvRmT1_PNSt15iterator_traitsISK_E10value_typeET2_T3_PNSL_ISQ_E10value_typeET4_jRbjT5_SW_jjP12ihipStream_tbEUlT_E0_NS1_11comp_targetILNS1_3genE5ELNS1_11target_archE942ELNS1_3gpuE9ELNS1_3repE0EEENS1_60segmented_radix_sort_warp_sort_medium_config_static_selectorELNS0_4arch9wavefront6targetE0EEEvSK_.has_dyn_sized_stack, 0
	.set _ZN7rocprim17ROCPRIM_400000_NS6detail17trampoline_kernelINS0_14default_configENS1_36segmented_radix_sort_config_selectorIflEEZNS1_25segmented_radix_sort_implIS3_Lb0EPKfPfPKlPlN2at6native12_GLOBAL__N_18offset_tEEE10hipError_tPvRmT1_PNSt15iterator_traitsISK_E10value_typeET2_T3_PNSL_ISQ_E10value_typeET4_jRbjT5_SW_jjP12ihipStream_tbEUlT_E0_NS1_11comp_targetILNS1_3genE5ELNS1_11target_archE942ELNS1_3gpuE9ELNS1_3repE0EEENS1_60segmented_radix_sort_warp_sort_medium_config_static_selectorELNS0_4arch9wavefront6targetE0EEEvSK_.has_recursion, 0
	.set _ZN7rocprim17ROCPRIM_400000_NS6detail17trampoline_kernelINS0_14default_configENS1_36segmented_radix_sort_config_selectorIflEEZNS1_25segmented_radix_sort_implIS3_Lb0EPKfPfPKlPlN2at6native12_GLOBAL__N_18offset_tEEE10hipError_tPvRmT1_PNSt15iterator_traitsISK_E10value_typeET2_T3_PNSL_ISQ_E10value_typeET4_jRbjT5_SW_jjP12ihipStream_tbEUlT_E0_NS1_11comp_targetILNS1_3genE5ELNS1_11target_archE942ELNS1_3gpuE9ELNS1_3repE0EEENS1_60segmented_radix_sort_warp_sort_medium_config_static_selectorELNS0_4arch9wavefront6targetE0EEEvSK_.has_indirect_call, 0
	.section	.AMDGPU.csdata,"",@progbits
; Kernel info:
; codeLenInByte = 0
; TotalNumSgprs: 0
; NumVgprs: 0
; ScratchSize: 0
; MemoryBound: 0
; FloatMode: 240
; IeeeMode: 1
; LDSByteSize: 0 bytes/workgroup (compile time only)
; SGPRBlocks: 0
; VGPRBlocks: 0
; NumSGPRsForWavesPerEU: 1
; NumVGPRsForWavesPerEU: 1
; NamedBarCnt: 0
; Occupancy: 16
; WaveLimiterHint : 0
; COMPUTE_PGM_RSRC2:SCRATCH_EN: 0
; COMPUTE_PGM_RSRC2:USER_SGPR: 2
; COMPUTE_PGM_RSRC2:TRAP_HANDLER: 0
; COMPUTE_PGM_RSRC2:TGID_X_EN: 1
; COMPUTE_PGM_RSRC2:TGID_Y_EN: 0
; COMPUTE_PGM_RSRC2:TGID_Z_EN: 0
; COMPUTE_PGM_RSRC2:TIDIG_COMP_CNT: 0
	.section	.text._ZN7rocprim17ROCPRIM_400000_NS6detail17trampoline_kernelINS0_14default_configENS1_36segmented_radix_sort_config_selectorIflEEZNS1_25segmented_radix_sort_implIS3_Lb0EPKfPfPKlPlN2at6native12_GLOBAL__N_18offset_tEEE10hipError_tPvRmT1_PNSt15iterator_traitsISK_E10value_typeET2_T3_PNSL_ISQ_E10value_typeET4_jRbjT5_SW_jjP12ihipStream_tbEUlT_E0_NS1_11comp_targetILNS1_3genE4ELNS1_11target_archE910ELNS1_3gpuE8ELNS1_3repE0EEENS1_60segmented_radix_sort_warp_sort_medium_config_static_selectorELNS0_4arch9wavefront6targetE0EEEvSK_,"axG",@progbits,_ZN7rocprim17ROCPRIM_400000_NS6detail17trampoline_kernelINS0_14default_configENS1_36segmented_radix_sort_config_selectorIflEEZNS1_25segmented_radix_sort_implIS3_Lb0EPKfPfPKlPlN2at6native12_GLOBAL__N_18offset_tEEE10hipError_tPvRmT1_PNSt15iterator_traitsISK_E10value_typeET2_T3_PNSL_ISQ_E10value_typeET4_jRbjT5_SW_jjP12ihipStream_tbEUlT_E0_NS1_11comp_targetILNS1_3genE4ELNS1_11target_archE910ELNS1_3gpuE8ELNS1_3repE0EEENS1_60segmented_radix_sort_warp_sort_medium_config_static_selectorELNS0_4arch9wavefront6targetE0EEEvSK_,comdat
	.globl	_ZN7rocprim17ROCPRIM_400000_NS6detail17trampoline_kernelINS0_14default_configENS1_36segmented_radix_sort_config_selectorIflEEZNS1_25segmented_radix_sort_implIS3_Lb0EPKfPfPKlPlN2at6native12_GLOBAL__N_18offset_tEEE10hipError_tPvRmT1_PNSt15iterator_traitsISK_E10value_typeET2_T3_PNSL_ISQ_E10value_typeET4_jRbjT5_SW_jjP12ihipStream_tbEUlT_E0_NS1_11comp_targetILNS1_3genE4ELNS1_11target_archE910ELNS1_3gpuE8ELNS1_3repE0EEENS1_60segmented_radix_sort_warp_sort_medium_config_static_selectorELNS0_4arch9wavefront6targetE0EEEvSK_ ; -- Begin function _ZN7rocprim17ROCPRIM_400000_NS6detail17trampoline_kernelINS0_14default_configENS1_36segmented_radix_sort_config_selectorIflEEZNS1_25segmented_radix_sort_implIS3_Lb0EPKfPfPKlPlN2at6native12_GLOBAL__N_18offset_tEEE10hipError_tPvRmT1_PNSt15iterator_traitsISK_E10value_typeET2_T3_PNSL_ISQ_E10value_typeET4_jRbjT5_SW_jjP12ihipStream_tbEUlT_E0_NS1_11comp_targetILNS1_3genE4ELNS1_11target_archE910ELNS1_3gpuE8ELNS1_3repE0EEENS1_60segmented_radix_sort_warp_sort_medium_config_static_selectorELNS0_4arch9wavefront6targetE0EEEvSK_
	.p2align	8
	.type	_ZN7rocprim17ROCPRIM_400000_NS6detail17trampoline_kernelINS0_14default_configENS1_36segmented_radix_sort_config_selectorIflEEZNS1_25segmented_radix_sort_implIS3_Lb0EPKfPfPKlPlN2at6native12_GLOBAL__N_18offset_tEEE10hipError_tPvRmT1_PNSt15iterator_traitsISK_E10value_typeET2_T3_PNSL_ISQ_E10value_typeET4_jRbjT5_SW_jjP12ihipStream_tbEUlT_E0_NS1_11comp_targetILNS1_3genE4ELNS1_11target_archE910ELNS1_3gpuE8ELNS1_3repE0EEENS1_60segmented_radix_sort_warp_sort_medium_config_static_selectorELNS0_4arch9wavefront6targetE0EEEvSK_,@function
_ZN7rocprim17ROCPRIM_400000_NS6detail17trampoline_kernelINS0_14default_configENS1_36segmented_radix_sort_config_selectorIflEEZNS1_25segmented_radix_sort_implIS3_Lb0EPKfPfPKlPlN2at6native12_GLOBAL__N_18offset_tEEE10hipError_tPvRmT1_PNSt15iterator_traitsISK_E10value_typeET2_T3_PNSL_ISQ_E10value_typeET4_jRbjT5_SW_jjP12ihipStream_tbEUlT_E0_NS1_11comp_targetILNS1_3genE4ELNS1_11target_archE910ELNS1_3gpuE8ELNS1_3repE0EEENS1_60segmented_radix_sort_warp_sort_medium_config_static_selectorELNS0_4arch9wavefront6targetE0EEEvSK_: ; @_ZN7rocprim17ROCPRIM_400000_NS6detail17trampoline_kernelINS0_14default_configENS1_36segmented_radix_sort_config_selectorIflEEZNS1_25segmented_radix_sort_implIS3_Lb0EPKfPfPKlPlN2at6native12_GLOBAL__N_18offset_tEEE10hipError_tPvRmT1_PNSt15iterator_traitsISK_E10value_typeET2_T3_PNSL_ISQ_E10value_typeET4_jRbjT5_SW_jjP12ihipStream_tbEUlT_E0_NS1_11comp_targetILNS1_3genE4ELNS1_11target_archE910ELNS1_3gpuE8ELNS1_3repE0EEENS1_60segmented_radix_sort_warp_sort_medium_config_static_selectorELNS0_4arch9wavefront6targetE0EEEvSK_
; %bb.0:
	.section	.rodata,"a",@progbits
	.p2align	6, 0x0
	.amdhsa_kernel _ZN7rocprim17ROCPRIM_400000_NS6detail17trampoline_kernelINS0_14default_configENS1_36segmented_radix_sort_config_selectorIflEEZNS1_25segmented_radix_sort_implIS3_Lb0EPKfPfPKlPlN2at6native12_GLOBAL__N_18offset_tEEE10hipError_tPvRmT1_PNSt15iterator_traitsISK_E10value_typeET2_T3_PNSL_ISQ_E10value_typeET4_jRbjT5_SW_jjP12ihipStream_tbEUlT_E0_NS1_11comp_targetILNS1_3genE4ELNS1_11target_archE910ELNS1_3gpuE8ELNS1_3repE0EEENS1_60segmented_radix_sort_warp_sort_medium_config_static_selectorELNS0_4arch9wavefront6targetE0EEEvSK_
		.amdhsa_group_segment_fixed_size 0
		.amdhsa_private_segment_fixed_size 0
		.amdhsa_kernarg_size 88
		.amdhsa_user_sgpr_count 2
		.amdhsa_user_sgpr_dispatch_ptr 0
		.amdhsa_user_sgpr_queue_ptr 0
		.amdhsa_user_sgpr_kernarg_segment_ptr 1
		.amdhsa_user_sgpr_dispatch_id 0
		.amdhsa_user_sgpr_kernarg_preload_length 0
		.amdhsa_user_sgpr_kernarg_preload_offset 0
		.amdhsa_user_sgpr_private_segment_size 0
		.amdhsa_wavefront_size32 1
		.amdhsa_uses_dynamic_stack 0
		.amdhsa_enable_private_segment 0
		.amdhsa_system_sgpr_workgroup_id_x 1
		.amdhsa_system_sgpr_workgroup_id_y 0
		.amdhsa_system_sgpr_workgroup_id_z 0
		.amdhsa_system_sgpr_workgroup_info 0
		.amdhsa_system_vgpr_workitem_id 0
		.amdhsa_next_free_vgpr 1
		.amdhsa_next_free_sgpr 1
		.amdhsa_named_barrier_count 0
		.amdhsa_reserve_vcc 0
		.amdhsa_float_round_mode_32 0
		.amdhsa_float_round_mode_16_64 0
		.amdhsa_float_denorm_mode_32 3
		.amdhsa_float_denorm_mode_16_64 3
		.amdhsa_fp16_overflow 0
		.amdhsa_memory_ordered 1
		.amdhsa_forward_progress 1
		.amdhsa_inst_pref_size 0
		.amdhsa_round_robin_scheduling 0
		.amdhsa_exception_fp_ieee_invalid_op 0
		.amdhsa_exception_fp_denorm_src 0
		.amdhsa_exception_fp_ieee_div_zero 0
		.amdhsa_exception_fp_ieee_overflow 0
		.amdhsa_exception_fp_ieee_underflow 0
		.amdhsa_exception_fp_ieee_inexact 0
		.amdhsa_exception_int_div_zero 0
	.end_amdhsa_kernel
	.section	.text._ZN7rocprim17ROCPRIM_400000_NS6detail17trampoline_kernelINS0_14default_configENS1_36segmented_radix_sort_config_selectorIflEEZNS1_25segmented_radix_sort_implIS3_Lb0EPKfPfPKlPlN2at6native12_GLOBAL__N_18offset_tEEE10hipError_tPvRmT1_PNSt15iterator_traitsISK_E10value_typeET2_T3_PNSL_ISQ_E10value_typeET4_jRbjT5_SW_jjP12ihipStream_tbEUlT_E0_NS1_11comp_targetILNS1_3genE4ELNS1_11target_archE910ELNS1_3gpuE8ELNS1_3repE0EEENS1_60segmented_radix_sort_warp_sort_medium_config_static_selectorELNS0_4arch9wavefront6targetE0EEEvSK_,"axG",@progbits,_ZN7rocprim17ROCPRIM_400000_NS6detail17trampoline_kernelINS0_14default_configENS1_36segmented_radix_sort_config_selectorIflEEZNS1_25segmented_radix_sort_implIS3_Lb0EPKfPfPKlPlN2at6native12_GLOBAL__N_18offset_tEEE10hipError_tPvRmT1_PNSt15iterator_traitsISK_E10value_typeET2_T3_PNSL_ISQ_E10value_typeET4_jRbjT5_SW_jjP12ihipStream_tbEUlT_E0_NS1_11comp_targetILNS1_3genE4ELNS1_11target_archE910ELNS1_3gpuE8ELNS1_3repE0EEENS1_60segmented_radix_sort_warp_sort_medium_config_static_selectorELNS0_4arch9wavefront6targetE0EEEvSK_,comdat
.Lfunc_end1434:
	.size	_ZN7rocprim17ROCPRIM_400000_NS6detail17trampoline_kernelINS0_14default_configENS1_36segmented_radix_sort_config_selectorIflEEZNS1_25segmented_radix_sort_implIS3_Lb0EPKfPfPKlPlN2at6native12_GLOBAL__N_18offset_tEEE10hipError_tPvRmT1_PNSt15iterator_traitsISK_E10value_typeET2_T3_PNSL_ISQ_E10value_typeET4_jRbjT5_SW_jjP12ihipStream_tbEUlT_E0_NS1_11comp_targetILNS1_3genE4ELNS1_11target_archE910ELNS1_3gpuE8ELNS1_3repE0EEENS1_60segmented_radix_sort_warp_sort_medium_config_static_selectorELNS0_4arch9wavefront6targetE0EEEvSK_, .Lfunc_end1434-_ZN7rocprim17ROCPRIM_400000_NS6detail17trampoline_kernelINS0_14default_configENS1_36segmented_radix_sort_config_selectorIflEEZNS1_25segmented_radix_sort_implIS3_Lb0EPKfPfPKlPlN2at6native12_GLOBAL__N_18offset_tEEE10hipError_tPvRmT1_PNSt15iterator_traitsISK_E10value_typeET2_T3_PNSL_ISQ_E10value_typeET4_jRbjT5_SW_jjP12ihipStream_tbEUlT_E0_NS1_11comp_targetILNS1_3genE4ELNS1_11target_archE910ELNS1_3gpuE8ELNS1_3repE0EEENS1_60segmented_radix_sort_warp_sort_medium_config_static_selectorELNS0_4arch9wavefront6targetE0EEEvSK_
                                        ; -- End function
	.set _ZN7rocprim17ROCPRIM_400000_NS6detail17trampoline_kernelINS0_14default_configENS1_36segmented_radix_sort_config_selectorIflEEZNS1_25segmented_radix_sort_implIS3_Lb0EPKfPfPKlPlN2at6native12_GLOBAL__N_18offset_tEEE10hipError_tPvRmT1_PNSt15iterator_traitsISK_E10value_typeET2_T3_PNSL_ISQ_E10value_typeET4_jRbjT5_SW_jjP12ihipStream_tbEUlT_E0_NS1_11comp_targetILNS1_3genE4ELNS1_11target_archE910ELNS1_3gpuE8ELNS1_3repE0EEENS1_60segmented_radix_sort_warp_sort_medium_config_static_selectorELNS0_4arch9wavefront6targetE0EEEvSK_.num_vgpr, 0
	.set _ZN7rocprim17ROCPRIM_400000_NS6detail17trampoline_kernelINS0_14default_configENS1_36segmented_radix_sort_config_selectorIflEEZNS1_25segmented_radix_sort_implIS3_Lb0EPKfPfPKlPlN2at6native12_GLOBAL__N_18offset_tEEE10hipError_tPvRmT1_PNSt15iterator_traitsISK_E10value_typeET2_T3_PNSL_ISQ_E10value_typeET4_jRbjT5_SW_jjP12ihipStream_tbEUlT_E0_NS1_11comp_targetILNS1_3genE4ELNS1_11target_archE910ELNS1_3gpuE8ELNS1_3repE0EEENS1_60segmented_radix_sort_warp_sort_medium_config_static_selectorELNS0_4arch9wavefront6targetE0EEEvSK_.num_agpr, 0
	.set _ZN7rocprim17ROCPRIM_400000_NS6detail17trampoline_kernelINS0_14default_configENS1_36segmented_radix_sort_config_selectorIflEEZNS1_25segmented_radix_sort_implIS3_Lb0EPKfPfPKlPlN2at6native12_GLOBAL__N_18offset_tEEE10hipError_tPvRmT1_PNSt15iterator_traitsISK_E10value_typeET2_T3_PNSL_ISQ_E10value_typeET4_jRbjT5_SW_jjP12ihipStream_tbEUlT_E0_NS1_11comp_targetILNS1_3genE4ELNS1_11target_archE910ELNS1_3gpuE8ELNS1_3repE0EEENS1_60segmented_radix_sort_warp_sort_medium_config_static_selectorELNS0_4arch9wavefront6targetE0EEEvSK_.numbered_sgpr, 0
	.set _ZN7rocprim17ROCPRIM_400000_NS6detail17trampoline_kernelINS0_14default_configENS1_36segmented_radix_sort_config_selectorIflEEZNS1_25segmented_radix_sort_implIS3_Lb0EPKfPfPKlPlN2at6native12_GLOBAL__N_18offset_tEEE10hipError_tPvRmT1_PNSt15iterator_traitsISK_E10value_typeET2_T3_PNSL_ISQ_E10value_typeET4_jRbjT5_SW_jjP12ihipStream_tbEUlT_E0_NS1_11comp_targetILNS1_3genE4ELNS1_11target_archE910ELNS1_3gpuE8ELNS1_3repE0EEENS1_60segmented_radix_sort_warp_sort_medium_config_static_selectorELNS0_4arch9wavefront6targetE0EEEvSK_.num_named_barrier, 0
	.set _ZN7rocprim17ROCPRIM_400000_NS6detail17trampoline_kernelINS0_14default_configENS1_36segmented_radix_sort_config_selectorIflEEZNS1_25segmented_radix_sort_implIS3_Lb0EPKfPfPKlPlN2at6native12_GLOBAL__N_18offset_tEEE10hipError_tPvRmT1_PNSt15iterator_traitsISK_E10value_typeET2_T3_PNSL_ISQ_E10value_typeET4_jRbjT5_SW_jjP12ihipStream_tbEUlT_E0_NS1_11comp_targetILNS1_3genE4ELNS1_11target_archE910ELNS1_3gpuE8ELNS1_3repE0EEENS1_60segmented_radix_sort_warp_sort_medium_config_static_selectorELNS0_4arch9wavefront6targetE0EEEvSK_.private_seg_size, 0
	.set _ZN7rocprim17ROCPRIM_400000_NS6detail17trampoline_kernelINS0_14default_configENS1_36segmented_radix_sort_config_selectorIflEEZNS1_25segmented_radix_sort_implIS3_Lb0EPKfPfPKlPlN2at6native12_GLOBAL__N_18offset_tEEE10hipError_tPvRmT1_PNSt15iterator_traitsISK_E10value_typeET2_T3_PNSL_ISQ_E10value_typeET4_jRbjT5_SW_jjP12ihipStream_tbEUlT_E0_NS1_11comp_targetILNS1_3genE4ELNS1_11target_archE910ELNS1_3gpuE8ELNS1_3repE0EEENS1_60segmented_radix_sort_warp_sort_medium_config_static_selectorELNS0_4arch9wavefront6targetE0EEEvSK_.uses_vcc, 0
	.set _ZN7rocprim17ROCPRIM_400000_NS6detail17trampoline_kernelINS0_14default_configENS1_36segmented_radix_sort_config_selectorIflEEZNS1_25segmented_radix_sort_implIS3_Lb0EPKfPfPKlPlN2at6native12_GLOBAL__N_18offset_tEEE10hipError_tPvRmT1_PNSt15iterator_traitsISK_E10value_typeET2_T3_PNSL_ISQ_E10value_typeET4_jRbjT5_SW_jjP12ihipStream_tbEUlT_E0_NS1_11comp_targetILNS1_3genE4ELNS1_11target_archE910ELNS1_3gpuE8ELNS1_3repE0EEENS1_60segmented_radix_sort_warp_sort_medium_config_static_selectorELNS0_4arch9wavefront6targetE0EEEvSK_.uses_flat_scratch, 0
	.set _ZN7rocprim17ROCPRIM_400000_NS6detail17trampoline_kernelINS0_14default_configENS1_36segmented_radix_sort_config_selectorIflEEZNS1_25segmented_radix_sort_implIS3_Lb0EPKfPfPKlPlN2at6native12_GLOBAL__N_18offset_tEEE10hipError_tPvRmT1_PNSt15iterator_traitsISK_E10value_typeET2_T3_PNSL_ISQ_E10value_typeET4_jRbjT5_SW_jjP12ihipStream_tbEUlT_E0_NS1_11comp_targetILNS1_3genE4ELNS1_11target_archE910ELNS1_3gpuE8ELNS1_3repE0EEENS1_60segmented_radix_sort_warp_sort_medium_config_static_selectorELNS0_4arch9wavefront6targetE0EEEvSK_.has_dyn_sized_stack, 0
	.set _ZN7rocprim17ROCPRIM_400000_NS6detail17trampoline_kernelINS0_14default_configENS1_36segmented_radix_sort_config_selectorIflEEZNS1_25segmented_radix_sort_implIS3_Lb0EPKfPfPKlPlN2at6native12_GLOBAL__N_18offset_tEEE10hipError_tPvRmT1_PNSt15iterator_traitsISK_E10value_typeET2_T3_PNSL_ISQ_E10value_typeET4_jRbjT5_SW_jjP12ihipStream_tbEUlT_E0_NS1_11comp_targetILNS1_3genE4ELNS1_11target_archE910ELNS1_3gpuE8ELNS1_3repE0EEENS1_60segmented_radix_sort_warp_sort_medium_config_static_selectorELNS0_4arch9wavefront6targetE0EEEvSK_.has_recursion, 0
	.set _ZN7rocprim17ROCPRIM_400000_NS6detail17trampoline_kernelINS0_14default_configENS1_36segmented_radix_sort_config_selectorIflEEZNS1_25segmented_radix_sort_implIS3_Lb0EPKfPfPKlPlN2at6native12_GLOBAL__N_18offset_tEEE10hipError_tPvRmT1_PNSt15iterator_traitsISK_E10value_typeET2_T3_PNSL_ISQ_E10value_typeET4_jRbjT5_SW_jjP12ihipStream_tbEUlT_E0_NS1_11comp_targetILNS1_3genE4ELNS1_11target_archE910ELNS1_3gpuE8ELNS1_3repE0EEENS1_60segmented_radix_sort_warp_sort_medium_config_static_selectorELNS0_4arch9wavefront6targetE0EEEvSK_.has_indirect_call, 0
	.section	.AMDGPU.csdata,"",@progbits
; Kernel info:
; codeLenInByte = 0
; TotalNumSgprs: 0
; NumVgprs: 0
; ScratchSize: 0
; MemoryBound: 0
; FloatMode: 240
; IeeeMode: 1
; LDSByteSize: 0 bytes/workgroup (compile time only)
; SGPRBlocks: 0
; VGPRBlocks: 0
; NumSGPRsForWavesPerEU: 1
; NumVGPRsForWavesPerEU: 1
; NamedBarCnt: 0
; Occupancy: 16
; WaveLimiterHint : 0
; COMPUTE_PGM_RSRC2:SCRATCH_EN: 0
; COMPUTE_PGM_RSRC2:USER_SGPR: 2
; COMPUTE_PGM_RSRC2:TRAP_HANDLER: 0
; COMPUTE_PGM_RSRC2:TGID_X_EN: 1
; COMPUTE_PGM_RSRC2:TGID_Y_EN: 0
; COMPUTE_PGM_RSRC2:TGID_Z_EN: 0
; COMPUTE_PGM_RSRC2:TIDIG_COMP_CNT: 0
	.section	.text._ZN7rocprim17ROCPRIM_400000_NS6detail17trampoline_kernelINS0_14default_configENS1_36segmented_radix_sort_config_selectorIflEEZNS1_25segmented_radix_sort_implIS3_Lb0EPKfPfPKlPlN2at6native12_GLOBAL__N_18offset_tEEE10hipError_tPvRmT1_PNSt15iterator_traitsISK_E10value_typeET2_T3_PNSL_ISQ_E10value_typeET4_jRbjT5_SW_jjP12ihipStream_tbEUlT_E0_NS1_11comp_targetILNS1_3genE3ELNS1_11target_archE908ELNS1_3gpuE7ELNS1_3repE0EEENS1_60segmented_radix_sort_warp_sort_medium_config_static_selectorELNS0_4arch9wavefront6targetE0EEEvSK_,"axG",@progbits,_ZN7rocprim17ROCPRIM_400000_NS6detail17trampoline_kernelINS0_14default_configENS1_36segmented_radix_sort_config_selectorIflEEZNS1_25segmented_radix_sort_implIS3_Lb0EPKfPfPKlPlN2at6native12_GLOBAL__N_18offset_tEEE10hipError_tPvRmT1_PNSt15iterator_traitsISK_E10value_typeET2_T3_PNSL_ISQ_E10value_typeET4_jRbjT5_SW_jjP12ihipStream_tbEUlT_E0_NS1_11comp_targetILNS1_3genE3ELNS1_11target_archE908ELNS1_3gpuE7ELNS1_3repE0EEENS1_60segmented_radix_sort_warp_sort_medium_config_static_selectorELNS0_4arch9wavefront6targetE0EEEvSK_,comdat
	.globl	_ZN7rocprim17ROCPRIM_400000_NS6detail17trampoline_kernelINS0_14default_configENS1_36segmented_radix_sort_config_selectorIflEEZNS1_25segmented_radix_sort_implIS3_Lb0EPKfPfPKlPlN2at6native12_GLOBAL__N_18offset_tEEE10hipError_tPvRmT1_PNSt15iterator_traitsISK_E10value_typeET2_T3_PNSL_ISQ_E10value_typeET4_jRbjT5_SW_jjP12ihipStream_tbEUlT_E0_NS1_11comp_targetILNS1_3genE3ELNS1_11target_archE908ELNS1_3gpuE7ELNS1_3repE0EEENS1_60segmented_radix_sort_warp_sort_medium_config_static_selectorELNS0_4arch9wavefront6targetE0EEEvSK_ ; -- Begin function _ZN7rocprim17ROCPRIM_400000_NS6detail17trampoline_kernelINS0_14default_configENS1_36segmented_radix_sort_config_selectorIflEEZNS1_25segmented_radix_sort_implIS3_Lb0EPKfPfPKlPlN2at6native12_GLOBAL__N_18offset_tEEE10hipError_tPvRmT1_PNSt15iterator_traitsISK_E10value_typeET2_T3_PNSL_ISQ_E10value_typeET4_jRbjT5_SW_jjP12ihipStream_tbEUlT_E0_NS1_11comp_targetILNS1_3genE3ELNS1_11target_archE908ELNS1_3gpuE7ELNS1_3repE0EEENS1_60segmented_radix_sort_warp_sort_medium_config_static_selectorELNS0_4arch9wavefront6targetE0EEEvSK_
	.p2align	8
	.type	_ZN7rocprim17ROCPRIM_400000_NS6detail17trampoline_kernelINS0_14default_configENS1_36segmented_radix_sort_config_selectorIflEEZNS1_25segmented_radix_sort_implIS3_Lb0EPKfPfPKlPlN2at6native12_GLOBAL__N_18offset_tEEE10hipError_tPvRmT1_PNSt15iterator_traitsISK_E10value_typeET2_T3_PNSL_ISQ_E10value_typeET4_jRbjT5_SW_jjP12ihipStream_tbEUlT_E0_NS1_11comp_targetILNS1_3genE3ELNS1_11target_archE908ELNS1_3gpuE7ELNS1_3repE0EEENS1_60segmented_radix_sort_warp_sort_medium_config_static_selectorELNS0_4arch9wavefront6targetE0EEEvSK_,@function
_ZN7rocprim17ROCPRIM_400000_NS6detail17trampoline_kernelINS0_14default_configENS1_36segmented_radix_sort_config_selectorIflEEZNS1_25segmented_radix_sort_implIS3_Lb0EPKfPfPKlPlN2at6native12_GLOBAL__N_18offset_tEEE10hipError_tPvRmT1_PNSt15iterator_traitsISK_E10value_typeET2_T3_PNSL_ISQ_E10value_typeET4_jRbjT5_SW_jjP12ihipStream_tbEUlT_E0_NS1_11comp_targetILNS1_3genE3ELNS1_11target_archE908ELNS1_3gpuE7ELNS1_3repE0EEENS1_60segmented_radix_sort_warp_sort_medium_config_static_selectorELNS0_4arch9wavefront6targetE0EEEvSK_: ; @_ZN7rocprim17ROCPRIM_400000_NS6detail17trampoline_kernelINS0_14default_configENS1_36segmented_radix_sort_config_selectorIflEEZNS1_25segmented_radix_sort_implIS3_Lb0EPKfPfPKlPlN2at6native12_GLOBAL__N_18offset_tEEE10hipError_tPvRmT1_PNSt15iterator_traitsISK_E10value_typeET2_T3_PNSL_ISQ_E10value_typeET4_jRbjT5_SW_jjP12ihipStream_tbEUlT_E0_NS1_11comp_targetILNS1_3genE3ELNS1_11target_archE908ELNS1_3gpuE7ELNS1_3repE0EEENS1_60segmented_radix_sort_warp_sort_medium_config_static_selectorELNS0_4arch9wavefront6targetE0EEEvSK_
; %bb.0:
	.section	.rodata,"a",@progbits
	.p2align	6, 0x0
	.amdhsa_kernel _ZN7rocprim17ROCPRIM_400000_NS6detail17trampoline_kernelINS0_14default_configENS1_36segmented_radix_sort_config_selectorIflEEZNS1_25segmented_radix_sort_implIS3_Lb0EPKfPfPKlPlN2at6native12_GLOBAL__N_18offset_tEEE10hipError_tPvRmT1_PNSt15iterator_traitsISK_E10value_typeET2_T3_PNSL_ISQ_E10value_typeET4_jRbjT5_SW_jjP12ihipStream_tbEUlT_E0_NS1_11comp_targetILNS1_3genE3ELNS1_11target_archE908ELNS1_3gpuE7ELNS1_3repE0EEENS1_60segmented_radix_sort_warp_sort_medium_config_static_selectorELNS0_4arch9wavefront6targetE0EEEvSK_
		.amdhsa_group_segment_fixed_size 0
		.amdhsa_private_segment_fixed_size 0
		.amdhsa_kernarg_size 88
		.amdhsa_user_sgpr_count 2
		.amdhsa_user_sgpr_dispatch_ptr 0
		.amdhsa_user_sgpr_queue_ptr 0
		.amdhsa_user_sgpr_kernarg_segment_ptr 1
		.amdhsa_user_sgpr_dispatch_id 0
		.amdhsa_user_sgpr_kernarg_preload_length 0
		.amdhsa_user_sgpr_kernarg_preload_offset 0
		.amdhsa_user_sgpr_private_segment_size 0
		.amdhsa_wavefront_size32 1
		.amdhsa_uses_dynamic_stack 0
		.amdhsa_enable_private_segment 0
		.amdhsa_system_sgpr_workgroup_id_x 1
		.amdhsa_system_sgpr_workgroup_id_y 0
		.amdhsa_system_sgpr_workgroup_id_z 0
		.amdhsa_system_sgpr_workgroup_info 0
		.amdhsa_system_vgpr_workitem_id 0
		.amdhsa_next_free_vgpr 1
		.amdhsa_next_free_sgpr 1
		.amdhsa_named_barrier_count 0
		.amdhsa_reserve_vcc 0
		.amdhsa_float_round_mode_32 0
		.amdhsa_float_round_mode_16_64 0
		.amdhsa_float_denorm_mode_32 3
		.amdhsa_float_denorm_mode_16_64 3
		.amdhsa_fp16_overflow 0
		.amdhsa_memory_ordered 1
		.amdhsa_forward_progress 1
		.amdhsa_inst_pref_size 0
		.amdhsa_round_robin_scheduling 0
		.amdhsa_exception_fp_ieee_invalid_op 0
		.amdhsa_exception_fp_denorm_src 0
		.amdhsa_exception_fp_ieee_div_zero 0
		.amdhsa_exception_fp_ieee_overflow 0
		.amdhsa_exception_fp_ieee_underflow 0
		.amdhsa_exception_fp_ieee_inexact 0
		.amdhsa_exception_int_div_zero 0
	.end_amdhsa_kernel
	.section	.text._ZN7rocprim17ROCPRIM_400000_NS6detail17trampoline_kernelINS0_14default_configENS1_36segmented_radix_sort_config_selectorIflEEZNS1_25segmented_radix_sort_implIS3_Lb0EPKfPfPKlPlN2at6native12_GLOBAL__N_18offset_tEEE10hipError_tPvRmT1_PNSt15iterator_traitsISK_E10value_typeET2_T3_PNSL_ISQ_E10value_typeET4_jRbjT5_SW_jjP12ihipStream_tbEUlT_E0_NS1_11comp_targetILNS1_3genE3ELNS1_11target_archE908ELNS1_3gpuE7ELNS1_3repE0EEENS1_60segmented_radix_sort_warp_sort_medium_config_static_selectorELNS0_4arch9wavefront6targetE0EEEvSK_,"axG",@progbits,_ZN7rocprim17ROCPRIM_400000_NS6detail17trampoline_kernelINS0_14default_configENS1_36segmented_radix_sort_config_selectorIflEEZNS1_25segmented_radix_sort_implIS3_Lb0EPKfPfPKlPlN2at6native12_GLOBAL__N_18offset_tEEE10hipError_tPvRmT1_PNSt15iterator_traitsISK_E10value_typeET2_T3_PNSL_ISQ_E10value_typeET4_jRbjT5_SW_jjP12ihipStream_tbEUlT_E0_NS1_11comp_targetILNS1_3genE3ELNS1_11target_archE908ELNS1_3gpuE7ELNS1_3repE0EEENS1_60segmented_radix_sort_warp_sort_medium_config_static_selectorELNS0_4arch9wavefront6targetE0EEEvSK_,comdat
.Lfunc_end1435:
	.size	_ZN7rocprim17ROCPRIM_400000_NS6detail17trampoline_kernelINS0_14default_configENS1_36segmented_radix_sort_config_selectorIflEEZNS1_25segmented_radix_sort_implIS3_Lb0EPKfPfPKlPlN2at6native12_GLOBAL__N_18offset_tEEE10hipError_tPvRmT1_PNSt15iterator_traitsISK_E10value_typeET2_T3_PNSL_ISQ_E10value_typeET4_jRbjT5_SW_jjP12ihipStream_tbEUlT_E0_NS1_11comp_targetILNS1_3genE3ELNS1_11target_archE908ELNS1_3gpuE7ELNS1_3repE0EEENS1_60segmented_radix_sort_warp_sort_medium_config_static_selectorELNS0_4arch9wavefront6targetE0EEEvSK_, .Lfunc_end1435-_ZN7rocprim17ROCPRIM_400000_NS6detail17trampoline_kernelINS0_14default_configENS1_36segmented_radix_sort_config_selectorIflEEZNS1_25segmented_radix_sort_implIS3_Lb0EPKfPfPKlPlN2at6native12_GLOBAL__N_18offset_tEEE10hipError_tPvRmT1_PNSt15iterator_traitsISK_E10value_typeET2_T3_PNSL_ISQ_E10value_typeET4_jRbjT5_SW_jjP12ihipStream_tbEUlT_E0_NS1_11comp_targetILNS1_3genE3ELNS1_11target_archE908ELNS1_3gpuE7ELNS1_3repE0EEENS1_60segmented_radix_sort_warp_sort_medium_config_static_selectorELNS0_4arch9wavefront6targetE0EEEvSK_
                                        ; -- End function
	.set _ZN7rocprim17ROCPRIM_400000_NS6detail17trampoline_kernelINS0_14default_configENS1_36segmented_radix_sort_config_selectorIflEEZNS1_25segmented_radix_sort_implIS3_Lb0EPKfPfPKlPlN2at6native12_GLOBAL__N_18offset_tEEE10hipError_tPvRmT1_PNSt15iterator_traitsISK_E10value_typeET2_T3_PNSL_ISQ_E10value_typeET4_jRbjT5_SW_jjP12ihipStream_tbEUlT_E0_NS1_11comp_targetILNS1_3genE3ELNS1_11target_archE908ELNS1_3gpuE7ELNS1_3repE0EEENS1_60segmented_radix_sort_warp_sort_medium_config_static_selectorELNS0_4arch9wavefront6targetE0EEEvSK_.num_vgpr, 0
	.set _ZN7rocprim17ROCPRIM_400000_NS6detail17trampoline_kernelINS0_14default_configENS1_36segmented_radix_sort_config_selectorIflEEZNS1_25segmented_radix_sort_implIS3_Lb0EPKfPfPKlPlN2at6native12_GLOBAL__N_18offset_tEEE10hipError_tPvRmT1_PNSt15iterator_traitsISK_E10value_typeET2_T3_PNSL_ISQ_E10value_typeET4_jRbjT5_SW_jjP12ihipStream_tbEUlT_E0_NS1_11comp_targetILNS1_3genE3ELNS1_11target_archE908ELNS1_3gpuE7ELNS1_3repE0EEENS1_60segmented_radix_sort_warp_sort_medium_config_static_selectorELNS0_4arch9wavefront6targetE0EEEvSK_.num_agpr, 0
	.set _ZN7rocprim17ROCPRIM_400000_NS6detail17trampoline_kernelINS0_14default_configENS1_36segmented_radix_sort_config_selectorIflEEZNS1_25segmented_radix_sort_implIS3_Lb0EPKfPfPKlPlN2at6native12_GLOBAL__N_18offset_tEEE10hipError_tPvRmT1_PNSt15iterator_traitsISK_E10value_typeET2_T3_PNSL_ISQ_E10value_typeET4_jRbjT5_SW_jjP12ihipStream_tbEUlT_E0_NS1_11comp_targetILNS1_3genE3ELNS1_11target_archE908ELNS1_3gpuE7ELNS1_3repE0EEENS1_60segmented_radix_sort_warp_sort_medium_config_static_selectorELNS0_4arch9wavefront6targetE0EEEvSK_.numbered_sgpr, 0
	.set _ZN7rocprim17ROCPRIM_400000_NS6detail17trampoline_kernelINS0_14default_configENS1_36segmented_radix_sort_config_selectorIflEEZNS1_25segmented_radix_sort_implIS3_Lb0EPKfPfPKlPlN2at6native12_GLOBAL__N_18offset_tEEE10hipError_tPvRmT1_PNSt15iterator_traitsISK_E10value_typeET2_T3_PNSL_ISQ_E10value_typeET4_jRbjT5_SW_jjP12ihipStream_tbEUlT_E0_NS1_11comp_targetILNS1_3genE3ELNS1_11target_archE908ELNS1_3gpuE7ELNS1_3repE0EEENS1_60segmented_radix_sort_warp_sort_medium_config_static_selectorELNS0_4arch9wavefront6targetE0EEEvSK_.num_named_barrier, 0
	.set _ZN7rocprim17ROCPRIM_400000_NS6detail17trampoline_kernelINS0_14default_configENS1_36segmented_radix_sort_config_selectorIflEEZNS1_25segmented_radix_sort_implIS3_Lb0EPKfPfPKlPlN2at6native12_GLOBAL__N_18offset_tEEE10hipError_tPvRmT1_PNSt15iterator_traitsISK_E10value_typeET2_T3_PNSL_ISQ_E10value_typeET4_jRbjT5_SW_jjP12ihipStream_tbEUlT_E0_NS1_11comp_targetILNS1_3genE3ELNS1_11target_archE908ELNS1_3gpuE7ELNS1_3repE0EEENS1_60segmented_radix_sort_warp_sort_medium_config_static_selectorELNS0_4arch9wavefront6targetE0EEEvSK_.private_seg_size, 0
	.set _ZN7rocprim17ROCPRIM_400000_NS6detail17trampoline_kernelINS0_14default_configENS1_36segmented_radix_sort_config_selectorIflEEZNS1_25segmented_radix_sort_implIS3_Lb0EPKfPfPKlPlN2at6native12_GLOBAL__N_18offset_tEEE10hipError_tPvRmT1_PNSt15iterator_traitsISK_E10value_typeET2_T3_PNSL_ISQ_E10value_typeET4_jRbjT5_SW_jjP12ihipStream_tbEUlT_E0_NS1_11comp_targetILNS1_3genE3ELNS1_11target_archE908ELNS1_3gpuE7ELNS1_3repE0EEENS1_60segmented_radix_sort_warp_sort_medium_config_static_selectorELNS0_4arch9wavefront6targetE0EEEvSK_.uses_vcc, 0
	.set _ZN7rocprim17ROCPRIM_400000_NS6detail17trampoline_kernelINS0_14default_configENS1_36segmented_radix_sort_config_selectorIflEEZNS1_25segmented_radix_sort_implIS3_Lb0EPKfPfPKlPlN2at6native12_GLOBAL__N_18offset_tEEE10hipError_tPvRmT1_PNSt15iterator_traitsISK_E10value_typeET2_T3_PNSL_ISQ_E10value_typeET4_jRbjT5_SW_jjP12ihipStream_tbEUlT_E0_NS1_11comp_targetILNS1_3genE3ELNS1_11target_archE908ELNS1_3gpuE7ELNS1_3repE0EEENS1_60segmented_radix_sort_warp_sort_medium_config_static_selectorELNS0_4arch9wavefront6targetE0EEEvSK_.uses_flat_scratch, 0
	.set _ZN7rocprim17ROCPRIM_400000_NS6detail17trampoline_kernelINS0_14default_configENS1_36segmented_radix_sort_config_selectorIflEEZNS1_25segmented_radix_sort_implIS3_Lb0EPKfPfPKlPlN2at6native12_GLOBAL__N_18offset_tEEE10hipError_tPvRmT1_PNSt15iterator_traitsISK_E10value_typeET2_T3_PNSL_ISQ_E10value_typeET4_jRbjT5_SW_jjP12ihipStream_tbEUlT_E0_NS1_11comp_targetILNS1_3genE3ELNS1_11target_archE908ELNS1_3gpuE7ELNS1_3repE0EEENS1_60segmented_radix_sort_warp_sort_medium_config_static_selectorELNS0_4arch9wavefront6targetE0EEEvSK_.has_dyn_sized_stack, 0
	.set _ZN7rocprim17ROCPRIM_400000_NS6detail17trampoline_kernelINS0_14default_configENS1_36segmented_radix_sort_config_selectorIflEEZNS1_25segmented_radix_sort_implIS3_Lb0EPKfPfPKlPlN2at6native12_GLOBAL__N_18offset_tEEE10hipError_tPvRmT1_PNSt15iterator_traitsISK_E10value_typeET2_T3_PNSL_ISQ_E10value_typeET4_jRbjT5_SW_jjP12ihipStream_tbEUlT_E0_NS1_11comp_targetILNS1_3genE3ELNS1_11target_archE908ELNS1_3gpuE7ELNS1_3repE0EEENS1_60segmented_radix_sort_warp_sort_medium_config_static_selectorELNS0_4arch9wavefront6targetE0EEEvSK_.has_recursion, 0
	.set _ZN7rocprim17ROCPRIM_400000_NS6detail17trampoline_kernelINS0_14default_configENS1_36segmented_radix_sort_config_selectorIflEEZNS1_25segmented_radix_sort_implIS3_Lb0EPKfPfPKlPlN2at6native12_GLOBAL__N_18offset_tEEE10hipError_tPvRmT1_PNSt15iterator_traitsISK_E10value_typeET2_T3_PNSL_ISQ_E10value_typeET4_jRbjT5_SW_jjP12ihipStream_tbEUlT_E0_NS1_11comp_targetILNS1_3genE3ELNS1_11target_archE908ELNS1_3gpuE7ELNS1_3repE0EEENS1_60segmented_radix_sort_warp_sort_medium_config_static_selectorELNS0_4arch9wavefront6targetE0EEEvSK_.has_indirect_call, 0
	.section	.AMDGPU.csdata,"",@progbits
; Kernel info:
; codeLenInByte = 0
; TotalNumSgprs: 0
; NumVgprs: 0
; ScratchSize: 0
; MemoryBound: 0
; FloatMode: 240
; IeeeMode: 1
; LDSByteSize: 0 bytes/workgroup (compile time only)
; SGPRBlocks: 0
; VGPRBlocks: 0
; NumSGPRsForWavesPerEU: 1
; NumVGPRsForWavesPerEU: 1
; NamedBarCnt: 0
; Occupancy: 16
; WaveLimiterHint : 0
; COMPUTE_PGM_RSRC2:SCRATCH_EN: 0
; COMPUTE_PGM_RSRC2:USER_SGPR: 2
; COMPUTE_PGM_RSRC2:TRAP_HANDLER: 0
; COMPUTE_PGM_RSRC2:TGID_X_EN: 1
; COMPUTE_PGM_RSRC2:TGID_Y_EN: 0
; COMPUTE_PGM_RSRC2:TGID_Z_EN: 0
; COMPUTE_PGM_RSRC2:TIDIG_COMP_CNT: 0
	.section	.text._ZN7rocprim17ROCPRIM_400000_NS6detail17trampoline_kernelINS0_14default_configENS1_36segmented_radix_sort_config_selectorIflEEZNS1_25segmented_radix_sort_implIS3_Lb0EPKfPfPKlPlN2at6native12_GLOBAL__N_18offset_tEEE10hipError_tPvRmT1_PNSt15iterator_traitsISK_E10value_typeET2_T3_PNSL_ISQ_E10value_typeET4_jRbjT5_SW_jjP12ihipStream_tbEUlT_E0_NS1_11comp_targetILNS1_3genE2ELNS1_11target_archE906ELNS1_3gpuE6ELNS1_3repE0EEENS1_60segmented_radix_sort_warp_sort_medium_config_static_selectorELNS0_4arch9wavefront6targetE0EEEvSK_,"axG",@progbits,_ZN7rocprim17ROCPRIM_400000_NS6detail17trampoline_kernelINS0_14default_configENS1_36segmented_radix_sort_config_selectorIflEEZNS1_25segmented_radix_sort_implIS3_Lb0EPKfPfPKlPlN2at6native12_GLOBAL__N_18offset_tEEE10hipError_tPvRmT1_PNSt15iterator_traitsISK_E10value_typeET2_T3_PNSL_ISQ_E10value_typeET4_jRbjT5_SW_jjP12ihipStream_tbEUlT_E0_NS1_11comp_targetILNS1_3genE2ELNS1_11target_archE906ELNS1_3gpuE6ELNS1_3repE0EEENS1_60segmented_radix_sort_warp_sort_medium_config_static_selectorELNS0_4arch9wavefront6targetE0EEEvSK_,comdat
	.globl	_ZN7rocprim17ROCPRIM_400000_NS6detail17trampoline_kernelINS0_14default_configENS1_36segmented_radix_sort_config_selectorIflEEZNS1_25segmented_radix_sort_implIS3_Lb0EPKfPfPKlPlN2at6native12_GLOBAL__N_18offset_tEEE10hipError_tPvRmT1_PNSt15iterator_traitsISK_E10value_typeET2_T3_PNSL_ISQ_E10value_typeET4_jRbjT5_SW_jjP12ihipStream_tbEUlT_E0_NS1_11comp_targetILNS1_3genE2ELNS1_11target_archE906ELNS1_3gpuE6ELNS1_3repE0EEENS1_60segmented_radix_sort_warp_sort_medium_config_static_selectorELNS0_4arch9wavefront6targetE0EEEvSK_ ; -- Begin function _ZN7rocprim17ROCPRIM_400000_NS6detail17trampoline_kernelINS0_14default_configENS1_36segmented_radix_sort_config_selectorIflEEZNS1_25segmented_radix_sort_implIS3_Lb0EPKfPfPKlPlN2at6native12_GLOBAL__N_18offset_tEEE10hipError_tPvRmT1_PNSt15iterator_traitsISK_E10value_typeET2_T3_PNSL_ISQ_E10value_typeET4_jRbjT5_SW_jjP12ihipStream_tbEUlT_E0_NS1_11comp_targetILNS1_3genE2ELNS1_11target_archE906ELNS1_3gpuE6ELNS1_3repE0EEENS1_60segmented_radix_sort_warp_sort_medium_config_static_selectorELNS0_4arch9wavefront6targetE0EEEvSK_
	.p2align	8
	.type	_ZN7rocprim17ROCPRIM_400000_NS6detail17trampoline_kernelINS0_14default_configENS1_36segmented_radix_sort_config_selectorIflEEZNS1_25segmented_radix_sort_implIS3_Lb0EPKfPfPKlPlN2at6native12_GLOBAL__N_18offset_tEEE10hipError_tPvRmT1_PNSt15iterator_traitsISK_E10value_typeET2_T3_PNSL_ISQ_E10value_typeET4_jRbjT5_SW_jjP12ihipStream_tbEUlT_E0_NS1_11comp_targetILNS1_3genE2ELNS1_11target_archE906ELNS1_3gpuE6ELNS1_3repE0EEENS1_60segmented_radix_sort_warp_sort_medium_config_static_selectorELNS0_4arch9wavefront6targetE0EEEvSK_,@function
_ZN7rocprim17ROCPRIM_400000_NS6detail17trampoline_kernelINS0_14default_configENS1_36segmented_radix_sort_config_selectorIflEEZNS1_25segmented_radix_sort_implIS3_Lb0EPKfPfPKlPlN2at6native12_GLOBAL__N_18offset_tEEE10hipError_tPvRmT1_PNSt15iterator_traitsISK_E10value_typeET2_T3_PNSL_ISQ_E10value_typeET4_jRbjT5_SW_jjP12ihipStream_tbEUlT_E0_NS1_11comp_targetILNS1_3genE2ELNS1_11target_archE906ELNS1_3gpuE6ELNS1_3repE0EEENS1_60segmented_radix_sort_warp_sort_medium_config_static_selectorELNS0_4arch9wavefront6targetE0EEEvSK_: ; @_ZN7rocprim17ROCPRIM_400000_NS6detail17trampoline_kernelINS0_14default_configENS1_36segmented_radix_sort_config_selectorIflEEZNS1_25segmented_radix_sort_implIS3_Lb0EPKfPfPKlPlN2at6native12_GLOBAL__N_18offset_tEEE10hipError_tPvRmT1_PNSt15iterator_traitsISK_E10value_typeET2_T3_PNSL_ISQ_E10value_typeET4_jRbjT5_SW_jjP12ihipStream_tbEUlT_E0_NS1_11comp_targetILNS1_3genE2ELNS1_11target_archE906ELNS1_3gpuE6ELNS1_3repE0EEENS1_60segmented_radix_sort_warp_sort_medium_config_static_selectorELNS0_4arch9wavefront6targetE0EEEvSK_
; %bb.0:
	.section	.rodata,"a",@progbits
	.p2align	6, 0x0
	.amdhsa_kernel _ZN7rocprim17ROCPRIM_400000_NS6detail17trampoline_kernelINS0_14default_configENS1_36segmented_radix_sort_config_selectorIflEEZNS1_25segmented_radix_sort_implIS3_Lb0EPKfPfPKlPlN2at6native12_GLOBAL__N_18offset_tEEE10hipError_tPvRmT1_PNSt15iterator_traitsISK_E10value_typeET2_T3_PNSL_ISQ_E10value_typeET4_jRbjT5_SW_jjP12ihipStream_tbEUlT_E0_NS1_11comp_targetILNS1_3genE2ELNS1_11target_archE906ELNS1_3gpuE6ELNS1_3repE0EEENS1_60segmented_radix_sort_warp_sort_medium_config_static_selectorELNS0_4arch9wavefront6targetE0EEEvSK_
		.amdhsa_group_segment_fixed_size 0
		.amdhsa_private_segment_fixed_size 0
		.amdhsa_kernarg_size 88
		.amdhsa_user_sgpr_count 2
		.amdhsa_user_sgpr_dispatch_ptr 0
		.amdhsa_user_sgpr_queue_ptr 0
		.amdhsa_user_sgpr_kernarg_segment_ptr 1
		.amdhsa_user_sgpr_dispatch_id 0
		.amdhsa_user_sgpr_kernarg_preload_length 0
		.amdhsa_user_sgpr_kernarg_preload_offset 0
		.amdhsa_user_sgpr_private_segment_size 0
		.amdhsa_wavefront_size32 1
		.amdhsa_uses_dynamic_stack 0
		.amdhsa_enable_private_segment 0
		.amdhsa_system_sgpr_workgroup_id_x 1
		.amdhsa_system_sgpr_workgroup_id_y 0
		.amdhsa_system_sgpr_workgroup_id_z 0
		.amdhsa_system_sgpr_workgroup_info 0
		.amdhsa_system_vgpr_workitem_id 0
		.amdhsa_next_free_vgpr 1
		.amdhsa_next_free_sgpr 1
		.amdhsa_named_barrier_count 0
		.amdhsa_reserve_vcc 0
		.amdhsa_float_round_mode_32 0
		.amdhsa_float_round_mode_16_64 0
		.amdhsa_float_denorm_mode_32 3
		.amdhsa_float_denorm_mode_16_64 3
		.amdhsa_fp16_overflow 0
		.amdhsa_memory_ordered 1
		.amdhsa_forward_progress 1
		.amdhsa_inst_pref_size 0
		.amdhsa_round_robin_scheduling 0
		.amdhsa_exception_fp_ieee_invalid_op 0
		.amdhsa_exception_fp_denorm_src 0
		.amdhsa_exception_fp_ieee_div_zero 0
		.amdhsa_exception_fp_ieee_overflow 0
		.amdhsa_exception_fp_ieee_underflow 0
		.amdhsa_exception_fp_ieee_inexact 0
		.amdhsa_exception_int_div_zero 0
	.end_amdhsa_kernel
	.section	.text._ZN7rocprim17ROCPRIM_400000_NS6detail17trampoline_kernelINS0_14default_configENS1_36segmented_radix_sort_config_selectorIflEEZNS1_25segmented_radix_sort_implIS3_Lb0EPKfPfPKlPlN2at6native12_GLOBAL__N_18offset_tEEE10hipError_tPvRmT1_PNSt15iterator_traitsISK_E10value_typeET2_T3_PNSL_ISQ_E10value_typeET4_jRbjT5_SW_jjP12ihipStream_tbEUlT_E0_NS1_11comp_targetILNS1_3genE2ELNS1_11target_archE906ELNS1_3gpuE6ELNS1_3repE0EEENS1_60segmented_radix_sort_warp_sort_medium_config_static_selectorELNS0_4arch9wavefront6targetE0EEEvSK_,"axG",@progbits,_ZN7rocprim17ROCPRIM_400000_NS6detail17trampoline_kernelINS0_14default_configENS1_36segmented_radix_sort_config_selectorIflEEZNS1_25segmented_radix_sort_implIS3_Lb0EPKfPfPKlPlN2at6native12_GLOBAL__N_18offset_tEEE10hipError_tPvRmT1_PNSt15iterator_traitsISK_E10value_typeET2_T3_PNSL_ISQ_E10value_typeET4_jRbjT5_SW_jjP12ihipStream_tbEUlT_E0_NS1_11comp_targetILNS1_3genE2ELNS1_11target_archE906ELNS1_3gpuE6ELNS1_3repE0EEENS1_60segmented_radix_sort_warp_sort_medium_config_static_selectorELNS0_4arch9wavefront6targetE0EEEvSK_,comdat
.Lfunc_end1436:
	.size	_ZN7rocprim17ROCPRIM_400000_NS6detail17trampoline_kernelINS0_14default_configENS1_36segmented_radix_sort_config_selectorIflEEZNS1_25segmented_radix_sort_implIS3_Lb0EPKfPfPKlPlN2at6native12_GLOBAL__N_18offset_tEEE10hipError_tPvRmT1_PNSt15iterator_traitsISK_E10value_typeET2_T3_PNSL_ISQ_E10value_typeET4_jRbjT5_SW_jjP12ihipStream_tbEUlT_E0_NS1_11comp_targetILNS1_3genE2ELNS1_11target_archE906ELNS1_3gpuE6ELNS1_3repE0EEENS1_60segmented_radix_sort_warp_sort_medium_config_static_selectorELNS0_4arch9wavefront6targetE0EEEvSK_, .Lfunc_end1436-_ZN7rocprim17ROCPRIM_400000_NS6detail17trampoline_kernelINS0_14default_configENS1_36segmented_radix_sort_config_selectorIflEEZNS1_25segmented_radix_sort_implIS3_Lb0EPKfPfPKlPlN2at6native12_GLOBAL__N_18offset_tEEE10hipError_tPvRmT1_PNSt15iterator_traitsISK_E10value_typeET2_T3_PNSL_ISQ_E10value_typeET4_jRbjT5_SW_jjP12ihipStream_tbEUlT_E0_NS1_11comp_targetILNS1_3genE2ELNS1_11target_archE906ELNS1_3gpuE6ELNS1_3repE0EEENS1_60segmented_radix_sort_warp_sort_medium_config_static_selectorELNS0_4arch9wavefront6targetE0EEEvSK_
                                        ; -- End function
	.set _ZN7rocprim17ROCPRIM_400000_NS6detail17trampoline_kernelINS0_14default_configENS1_36segmented_radix_sort_config_selectorIflEEZNS1_25segmented_radix_sort_implIS3_Lb0EPKfPfPKlPlN2at6native12_GLOBAL__N_18offset_tEEE10hipError_tPvRmT1_PNSt15iterator_traitsISK_E10value_typeET2_T3_PNSL_ISQ_E10value_typeET4_jRbjT5_SW_jjP12ihipStream_tbEUlT_E0_NS1_11comp_targetILNS1_3genE2ELNS1_11target_archE906ELNS1_3gpuE6ELNS1_3repE0EEENS1_60segmented_radix_sort_warp_sort_medium_config_static_selectorELNS0_4arch9wavefront6targetE0EEEvSK_.num_vgpr, 0
	.set _ZN7rocprim17ROCPRIM_400000_NS6detail17trampoline_kernelINS0_14default_configENS1_36segmented_radix_sort_config_selectorIflEEZNS1_25segmented_radix_sort_implIS3_Lb0EPKfPfPKlPlN2at6native12_GLOBAL__N_18offset_tEEE10hipError_tPvRmT1_PNSt15iterator_traitsISK_E10value_typeET2_T3_PNSL_ISQ_E10value_typeET4_jRbjT5_SW_jjP12ihipStream_tbEUlT_E0_NS1_11comp_targetILNS1_3genE2ELNS1_11target_archE906ELNS1_3gpuE6ELNS1_3repE0EEENS1_60segmented_radix_sort_warp_sort_medium_config_static_selectorELNS0_4arch9wavefront6targetE0EEEvSK_.num_agpr, 0
	.set _ZN7rocprim17ROCPRIM_400000_NS6detail17trampoline_kernelINS0_14default_configENS1_36segmented_radix_sort_config_selectorIflEEZNS1_25segmented_radix_sort_implIS3_Lb0EPKfPfPKlPlN2at6native12_GLOBAL__N_18offset_tEEE10hipError_tPvRmT1_PNSt15iterator_traitsISK_E10value_typeET2_T3_PNSL_ISQ_E10value_typeET4_jRbjT5_SW_jjP12ihipStream_tbEUlT_E0_NS1_11comp_targetILNS1_3genE2ELNS1_11target_archE906ELNS1_3gpuE6ELNS1_3repE0EEENS1_60segmented_radix_sort_warp_sort_medium_config_static_selectorELNS0_4arch9wavefront6targetE0EEEvSK_.numbered_sgpr, 0
	.set _ZN7rocprim17ROCPRIM_400000_NS6detail17trampoline_kernelINS0_14default_configENS1_36segmented_radix_sort_config_selectorIflEEZNS1_25segmented_radix_sort_implIS3_Lb0EPKfPfPKlPlN2at6native12_GLOBAL__N_18offset_tEEE10hipError_tPvRmT1_PNSt15iterator_traitsISK_E10value_typeET2_T3_PNSL_ISQ_E10value_typeET4_jRbjT5_SW_jjP12ihipStream_tbEUlT_E0_NS1_11comp_targetILNS1_3genE2ELNS1_11target_archE906ELNS1_3gpuE6ELNS1_3repE0EEENS1_60segmented_radix_sort_warp_sort_medium_config_static_selectorELNS0_4arch9wavefront6targetE0EEEvSK_.num_named_barrier, 0
	.set _ZN7rocprim17ROCPRIM_400000_NS6detail17trampoline_kernelINS0_14default_configENS1_36segmented_radix_sort_config_selectorIflEEZNS1_25segmented_radix_sort_implIS3_Lb0EPKfPfPKlPlN2at6native12_GLOBAL__N_18offset_tEEE10hipError_tPvRmT1_PNSt15iterator_traitsISK_E10value_typeET2_T3_PNSL_ISQ_E10value_typeET4_jRbjT5_SW_jjP12ihipStream_tbEUlT_E0_NS1_11comp_targetILNS1_3genE2ELNS1_11target_archE906ELNS1_3gpuE6ELNS1_3repE0EEENS1_60segmented_radix_sort_warp_sort_medium_config_static_selectorELNS0_4arch9wavefront6targetE0EEEvSK_.private_seg_size, 0
	.set _ZN7rocprim17ROCPRIM_400000_NS6detail17trampoline_kernelINS0_14default_configENS1_36segmented_radix_sort_config_selectorIflEEZNS1_25segmented_radix_sort_implIS3_Lb0EPKfPfPKlPlN2at6native12_GLOBAL__N_18offset_tEEE10hipError_tPvRmT1_PNSt15iterator_traitsISK_E10value_typeET2_T3_PNSL_ISQ_E10value_typeET4_jRbjT5_SW_jjP12ihipStream_tbEUlT_E0_NS1_11comp_targetILNS1_3genE2ELNS1_11target_archE906ELNS1_3gpuE6ELNS1_3repE0EEENS1_60segmented_radix_sort_warp_sort_medium_config_static_selectorELNS0_4arch9wavefront6targetE0EEEvSK_.uses_vcc, 0
	.set _ZN7rocprim17ROCPRIM_400000_NS6detail17trampoline_kernelINS0_14default_configENS1_36segmented_radix_sort_config_selectorIflEEZNS1_25segmented_radix_sort_implIS3_Lb0EPKfPfPKlPlN2at6native12_GLOBAL__N_18offset_tEEE10hipError_tPvRmT1_PNSt15iterator_traitsISK_E10value_typeET2_T3_PNSL_ISQ_E10value_typeET4_jRbjT5_SW_jjP12ihipStream_tbEUlT_E0_NS1_11comp_targetILNS1_3genE2ELNS1_11target_archE906ELNS1_3gpuE6ELNS1_3repE0EEENS1_60segmented_radix_sort_warp_sort_medium_config_static_selectorELNS0_4arch9wavefront6targetE0EEEvSK_.uses_flat_scratch, 0
	.set _ZN7rocprim17ROCPRIM_400000_NS6detail17trampoline_kernelINS0_14default_configENS1_36segmented_radix_sort_config_selectorIflEEZNS1_25segmented_radix_sort_implIS3_Lb0EPKfPfPKlPlN2at6native12_GLOBAL__N_18offset_tEEE10hipError_tPvRmT1_PNSt15iterator_traitsISK_E10value_typeET2_T3_PNSL_ISQ_E10value_typeET4_jRbjT5_SW_jjP12ihipStream_tbEUlT_E0_NS1_11comp_targetILNS1_3genE2ELNS1_11target_archE906ELNS1_3gpuE6ELNS1_3repE0EEENS1_60segmented_radix_sort_warp_sort_medium_config_static_selectorELNS0_4arch9wavefront6targetE0EEEvSK_.has_dyn_sized_stack, 0
	.set _ZN7rocprim17ROCPRIM_400000_NS6detail17trampoline_kernelINS0_14default_configENS1_36segmented_radix_sort_config_selectorIflEEZNS1_25segmented_radix_sort_implIS3_Lb0EPKfPfPKlPlN2at6native12_GLOBAL__N_18offset_tEEE10hipError_tPvRmT1_PNSt15iterator_traitsISK_E10value_typeET2_T3_PNSL_ISQ_E10value_typeET4_jRbjT5_SW_jjP12ihipStream_tbEUlT_E0_NS1_11comp_targetILNS1_3genE2ELNS1_11target_archE906ELNS1_3gpuE6ELNS1_3repE0EEENS1_60segmented_radix_sort_warp_sort_medium_config_static_selectorELNS0_4arch9wavefront6targetE0EEEvSK_.has_recursion, 0
	.set _ZN7rocprim17ROCPRIM_400000_NS6detail17trampoline_kernelINS0_14default_configENS1_36segmented_radix_sort_config_selectorIflEEZNS1_25segmented_radix_sort_implIS3_Lb0EPKfPfPKlPlN2at6native12_GLOBAL__N_18offset_tEEE10hipError_tPvRmT1_PNSt15iterator_traitsISK_E10value_typeET2_T3_PNSL_ISQ_E10value_typeET4_jRbjT5_SW_jjP12ihipStream_tbEUlT_E0_NS1_11comp_targetILNS1_3genE2ELNS1_11target_archE906ELNS1_3gpuE6ELNS1_3repE0EEENS1_60segmented_radix_sort_warp_sort_medium_config_static_selectorELNS0_4arch9wavefront6targetE0EEEvSK_.has_indirect_call, 0
	.section	.AMDGPU.csdata,"",@progbits
; Kernel info:
; codeLenInByte = 0
; TotalNumSgprs: 0
; NumVgprs: 0
; ScratchSize: 0
; MemoryBound: 0
; FloatMode: 240
; IeeeMode: 1
; LDSByteSize: 0 bytes/workgroup (compile time only)
; SGPRBlocks: 0
; VGPRBlocks: 0
; NumSGPRsForWavesPerEU: 1
; NumVGPRsForWavesPerEU: 1
; NamedBarCnt: 0
; Occupancy: 16
; WaveLimiterHint : 0
; COMPUTE_PGM_RSRC2:SCRATCH_EN: 0
; COMPUTE_PGM_RSRC2:USER_SGPR: 2
; COMPUTE_PGM_RSRC2:TRAP_HANDLER: 0
; COMPUTE_PGM_RSRC2:TGID_X_EN: 1
; COMPUTE_PGM_RSRC2:TGID_Y_EN: 0
; COMPUTE_PGM_RSRC2:TGID_Z_EN: 0
; COMPUTE_PGM_RSRC2:TIDIG_COMP_CNT: 0
	.section	.text._ZN7rocprim17ROCPRIM_400000_NS6detail17trampoline_kernelINS0_14default_configENS1_36segmented_radix_sort_config_selectorIflEEZNS1_25segmented_radix_sort_implIS3_Lb0EPKfPfPKlPlN2at6native12_GLOBAL__N_18offset_tEEE10hipError_tPvRmT1_PNSt15iterator_traitsISK_E10value_typeET2_T3_PNSL_ISQ_E10value_typeET4_jRbjT5_SW_jjP12ihipStream_tbEUlT_E0_NS1_11comp_targetILNS1_3genE10ELNS1_11target_archE1201ELNS1_3gpuE5ELNS1_3repE0EEENS1_60segmented_radix_sort_warp_sort_medium_config_static_selectorELNS0_4arch9wavefront6targetE0EEEvSK_,"axG",@progbits,_ZN7rocprim17ROCPRIM_400000_NS6detail17trampoline_kernelINS0_14default_configENS1_36segmented_radix_sort_config_selectorIflEEZNS1_25segmented_radix_sort_implIS3_Lb0EPKfPfPKlPlN2at6native12_GLOBAL__N_18offset_tEEE10hipError_tPvRmT1_PNSt15iterator_traitsISK_E10value_typeET2_T3_PNSL_ISQ_E10value_typeET4_jRbjT5_SW_jjP12ihipStream_tbEUlT_E0_NS1_11comp_targetILNS1_3genE10ELNS1_11target_archE1201ELNS1_3gpuE5ELNS1_3repE0EEENS1_60segmented_radix_sort_warp_sort_medium_config_static_selectorELNS0_4arch9wavefront6targetE0EEEvSK_,comdat
	.globl	_ZN7rocprim17ROCPRIM_400000_NS6detail17trampoline_kernelINS0_14default_configENS1_36segmented_radix_sort_config_selectorIflEEZNS1_25segmented_radix_sort_implIS3_Lb0EPKfPfPKlPlN2at6native12_GLOBAL__N_18offset_tEEE10hipError_tPvRmT1_PNSt15iterator_traitsISK_E10value_typeET2_T3_PNSL_ISQ_E10value_typeET4_jRbjT5_SW_jjP12ihipStream_tbEUlT_E0_NS1_11comp_targetILNS1_3genE10ELNS1_11target_archE1201ELNS1_3gpuE5ELNS1_3repE0EEENS1_60segmented_radix_sort_warp_sort_medium_config_static_selectorELNS0_4arch9wavefront6targetE0EEEvSK_ ; -- Begin function _ZN7rocprim17ROCPRIM_400000_NS6detail17trampoline_kernelINS0_14default_configENS1_36segmented_radix_sort_config_selectorIflEEZNS1_25segmented_radix_sort_implIS3_Lb0EPKfPfPKlPlN2at6native12_GLOBAL__N_18offset_tEEE10hipError_tPvRmT1_PNSt15iterator_traitsISK_E10value_typeET2_T3_PNSL_ISQ_E10value_typeET4_jRbjT5_SW_jjP12ihipStream_tbEUlT_E0_NS1_11comp_targetILNS1_3genE10ELNS1_11target_archE1201ELNS1_3gpuE5ELNS1_3repE0EEENS1_60segmented_radix_sort_warp_sort_medium_config_static_selectorELNS0_4arch9wavefront6targetE0EEEvSK_
	.p2align	8
	.type	_ZN7rocprim17ROCPRIM_400000_NS6detail17trampoline_kernelINS0_14default_configENS1_36segmented_radix_sort_config_selectorIflEEZNS1_25segmented_radix_sort_implIS3_Lb0EPKfPfPKlPlN2at6native12_GLOBAL__N_18offset_tEEE10hipError_tPvRmT1_PNSt15iterator_traitsISK_E10value_typeET2_T3_PNSL_ISQ_E10value_typeET4_jRbjT5_SW_jjP12ihipStream_tbEUlT_E0_NS1_11comp_targetILNS1_3genE10ELNS1_11target_archE1201ELNS1_3gpuE5ELNS1_3repE0EEENS1_60segmented_radix_sort_warp_sort_medium_config_static_selectorELNS0_4arch9wavefront6targetE0EEEvSK_,@function
_ZN7rocprim17ROCPRIM_400000_NS6detail17trampoline_kernelINS0_14default_configENS1_36segmented_radix_sort_config_selectorIflEEZNS1_25segmented_radix_sort_implIS3_Lb0EPKfPfPKlPlN2at6native12_GLOBAL__N_18offset_tEEE10hipError_tPvRmT1_PNSt15iterator_traitsISK_E10value_typeET2_T3_PNSL_ISQ_E10value_typeET4_jRbjT5_SW_jjP12ihipStream_tbEUlT_E0_NS1_11comp_targetILNS1_3genE10ELNS1_11target_archE1201ELNS1_3gpuE5ELNS1_3repE0EEENS1_60segmented_radix_sort_warp_sort_medium_config_static_selectorELNS0_4arch9wavefront6targetE0EEEvSK_: ; @_ZN7rocprim17ROCPRIM_400000_NS6detail17trampoline_kernelINS0_14default_configENS1_36segmented_radix_sort_config_selectorIflEEZNS1_25segmented_radix_sort_implIS3_Lb0EPKfPfPKlPlN2at6native12_GLOBAL__N_18offset_tEEE10hipError_tPvRmT1_PNSt15iterator_traitsISK_E10value_typeET2_T3_PNSL_ISQ_E10value_typeET4_jRbjT5_SW_jjP12ihipStream_tbEUlT_E0_NS1_11comp_targetILNS1_3genE10ELNS1_11target_archE1201ELNS1_3gpuE5ELNS1_3repE0EEENS1_60segmented_radix_sort_warp_sort_medium_config_static_selectorELNS0_4arch9wavefront6targetE0EEEvSK_
; %bb.0:
	.section	.rodata,"a",@progbits
	.p2align	6, 0x0
	.amdhsa_kernel _ZN7rocprim17ROCPRIM_400000_NS6detail17trampoline_kernelINS0_14default_configENS1_36segmented_radix_sort_config_selectorIflEEZNS1_25segmented_radix_sort_implIS3_Lb0EPKfPfPKlPlN2at6native12_GLOBAL__N_18offset_tEEE10hipError_tPvRmT1_PNSt15iterator_traitsISK_E10value_typeET2_T3_PNSL_ISQ_E10value_typeET4_jRbjT5_SW_jjP12ihipStream_tbEUlT_E0_NS1_11comp_targetILNS1_3genE10ELNS1_11target_archE1201ELNS1_3gpuE5ELNS1_3repE0EEENS1_60segmented_radix_sort_warp_sort_medium_config_static_selectorELNS0_4arch9wavefront6targetE0EEEvSK_
		.amdhsa_group_segment_fixed_size 0
		.amdhsa_private_segment_fixed_size 0
		.amdhsa_kernarg_size 88
		.amdhsa_user_sgpr_count 2
		.amdhsa_user_sgpr_dispatch_ptr 0
		.amdhsa_user_sgpr_queue_ptr 0
		.amdhsa_user_sgpr_kernarg_segment_ptr 1
		.amdhsa_user_sgpr_dispatch_id 0
		.amdhsa_user_sgpr_kernarg_preload_length 0
		.amdhsa_user_sgpr_kernarg_preload_offset 0
		.amdhsa_user_sgpr_private_segment_size 0
		.amdhsa_wavefront_size32 1
		.amdhsa_uses_dynamic_stack 0
		.amdhsa_enable_private_segment 0
		.amdhsa_system_sgpr_workgroup_id_x 1
		.amdhsa_system_sgpr_workgroup_id_y 0
		.amdhsa_system_sgpr_workgroup_id_z 0
		.amdhsa_system_sgpr_workgroup_info 0
		.amdhsa_system_vgpr_workitem_id 0
		.amdhsa_next_free_vgpr 1
		.amdhsa_next_free_sgpr 1
		.amdhsa_named_barrier_count 0
		.amdhsa_reserve_vcc 0
		.amdhsa_float_round_mode_32 0
		.amdhsa_float_round_mode_16_64 0
		.amdhsa_float_denorm_mode_32 3
		.amdhsa_float_denorm_mode_16_64 3
		.amdhsa_fp16_overflow 0
		.amdhsa_memory_ordered 1
		.amdhsa_forward_progress 1
		.amdhsa_inst_pref_size 0
		.amdhsa_round_robin_scheduling 0
		.amdhsa_exception_fp_ieee_invalid_op 0
		.amdhsa_exception_fp_denorm_src 0
		.amdhsa_exception_fp_ieee_div_zero 0
		.amdhsa_exception_fp_ieee_overflow 0
		.amdhsa_exception_fp_ieee_underflow 0
		.amdhsa_exception_fp_ieee_inexact 0
		.amdhsa_exception_int_div_zero 0
	.end_amdhsa_kernel
	.section	.text._ZN7rocprim17ROCPRIM_400000_NS6detail17trampoline_kernelINS0_14default_configENS1_36segmented_radix_sort_config_selectorIflEEZNS1_25segmented_radix_sort_implIS3_Lb0EPKfPfPKlPlN2at6native12_GLOBAL__N_18offset_tEEE10hipError_tPvRmT1_PNSt15iterator_traitsISK_E10value_typeET2_T3_PNSL_ISQ_E10value_typeET4_jRbjT5_SW_jjP12ihipStream_tbEUlT_E0_NS1_11comp_targetILNS1_3genE10ELNS1_11target_archE1201ELNS1_3gpuE5ELNS1_3repE0EEENS1_60segmented_radix_sort_warp_sort_medium_config_static_selectorELNS0_4arch9wavefront6targetE0EEEvSK_,"axG",@progbits,_ZN7rocprim17ROCPRIM_400000_NS6detail17trampoline_kernelINS0_14default_configENS1_36segmented_radix_sort_config_selectorIflEEZNS1_25segmented_radix_sort_implIS3_Lb0EPKfPfPKlPlN2at6native12_GLOBAL__N_18offset_tEEE10hipError_tPvRmT1_PNSt15iterator_traitsISK_E10value_typeET2_T3_PNSL_ISQ_E10value_typeET4_jRbjT5_SW_jjP12ihipStream_tbEUlT_E0_NS1_11comp_targetILNS1_3genE10ELNS1_11target_archE1201ELNS1_3gpuE5ELNS1_3repE0EEENS1_60segmented_radix_sort_warp_sort_medium_config_static_selectorELNS0_4arch9wavefront6targetE0EEEvSK_,comdat
.Lfunc_end1437:
	.size	_ZN7rocprim17ROCPRIM_400000_NS6detail17trampoline_kernelINS0_14default_configENS1_36segmented_radix_sort_config_selectorIflEEZNS1_25segmented_radix_sort_implIS3_Lb0EPKfPfPKlPlN2at6native12_GLOBAL__N_18offset_tEEE10hipError_tPvRmT1_PNSt15iterator_traitsISK_E10value_typeET2_T3_PNSL_ISQ_E10value_typeET4_jRbjT5_SW_jjP12ihipStream_tbEUlT_E0_NS1_11comp_targetILNS1_3genE10ELNS1_11target_archE1201ELNS1_3gpuE5ELNS1_3repE0EEENS1_60segmented_radix_sort_warp_sort_medium_config_static_selectorELNS0_4arch9wavefront6targetE0EEEvSK_, .Lfunc_end1437-_ZN7rocprim17ROCPRIM_400000_NS6detail17trampoline_kernelINS0_14default_configENS1_36segmented_radix_sort_config_selectorIflEEZNS1_25segmented_radix_sort_implIS3_Lb0EPKfPfPKlPlN2at6native12_GLOBAL__N_18offset_tEEE10hipError_tPvRmT1_PNSt15iterator_traitsISK_E10value_typeET2_T3_PNSL_ISQ_E10value_typeET4_jRbjT5_SW_jjP12ihipStream_tbEUlT_E0_NS1_11comp_targetILNS1_3genE10ELNS1_11target_archE1201ELNS1_3gpuE5ELNS1_3repE0EEENS1_60segmented_radix_sort_warp_sort_medium_config_static_selectorELNS0_4arch9wavefront6targetE0EEEvSK_
                                        ; -- End function
	.set _ZN7rocprim17ROCPRIM_400000_NS6detail17trampoline_kernelINS0_14default_configENS1_36segmented_radix_sort_config_selectorIflEEZNS1_25segmented_radix_sort_implIS3_Lb0EPKfPfPKlPlN2at6native12_GLOBAL__N_18offset_tEEE10hipError_tPvRmT1_PNSt15iterator_traitsISK_E10value_typeET2_T3_PNSL_ISQ_E10value_typeET4_jRbjT5_SW_jjP12ihipStream_tbEUlT_E0_NS1_11comp_targetILNS1_3genE10ELNS1_11target_archE1201ELNS1_3gpuE5ELNS1_3repE0EEENS1_60segmented_radix_sort_warp_sort_medium_config_static_selectorELNS0_4arch9wavefront6targetE0EEEvSK_.num_vgpr, 0
	.set _ZN7rocprim17ROCPRIM_400000_NS6detail17trampoline_kernelINS0_14default_configENS1_36segmented_radix_sort_config_selectorIflEEZNS1_25segmented_radix_sort_implIS3_Lb0EPKfPfPKlPlN2at6native12_GLOBAL__N_18offset_tEEE10hipError_tPvRmT1_PNSt15iterator_traitsISK_E10value_typeET2_T3_PNSL_ISQ_E10value_typeET4_jRbjT5_SW_jjP12ihipStream_tbEUlT_E0_NS1_11comp_targetILNS1_3genE10ELNS1_11target_archE1201ELNS1_3gpuE5ELNS1_3repE0EEENS1_60segmented_radix_sort_warp_sort_medium_config_static_selectorELNS0_4arch9wavefront6targetE0EEEvSK_.num_agpr, 0
	.set _ZN7rocprim17ROCPRIM_400000_NS6detail17trampoline_kernelINS0_14default_configENS1_36segmented_radix_sort_config_selectorIflEEZNS1_25segmented_radix_sort_implIS3_Lb0EPKfPfPKlPlN2at6native12_GLOBAL__N_18offset_tEEE10hipError_tPvRmT1_PNSt15iterator_traitsISK_E10value_typeET2_T3_PNSL_ISQ_E10value_typeET4_jRbjT5_SW_jjP12ihipStream_tbEUlT_E0_NS1_11comp_targetILNS1_3genE10ELNS1_11target_archE1201ELNS1_3gpuE5ELNS1_3repE0EEENS1_60segmented_radix_sort_warp_sort_medium_config_static_selectorELNS0_4arch9wavefront6targetE0EEEvSK_.numbered_sgpr, 0
	.set _ZN7rocprim17ROCPRIM_400000_NS6detail17trampoline_kernelINS0_14default_configENS1_36segmented_radix_sort_config_selectorIflEEZNS1_25segmented_radix_sort_implIS3_Lb0EPKfPfPKlPlN2at6native12_GLOBAL__N_18offset_tEEE10hipError_tPvRmT1_PNSt15iterator_traitsISK_E10value_typeET2_T3_PNSL_ISQ_E10value_typeET4_jRbjT5_SW_jjP12ihipStream_tbEUlT_E0_NS1_11comp_targetILNS1_3genE10ELNS1_11target_archE1201ELNS1_3gpuE5ELNS1_3repE0EEENS1_60segmented_radix_sort_warp_sort_medium_config_static_selectorELNS0_4arch9wavefront6targetE0EEEvSK_.num_named_barrier, 0
	.set _ZN7rocprim17ROCPRIM_400000_NS6detail17trampoline_kernelINS0_14default_configENS1_36segmented_radix_sort_config_selectorIflEEZNS1_25segmented_radix_sort_implIS3_Lb0EPKfPfPKlPlN2at6native12_GLOBAL__N_18offset_tEEE10hipError_tPvRmT1_PNSt15iterator_traitsISK_E10value_typeET2_T3_PNSL_ISQ_E10value_typeET4_jRbjT5_SW_jjP12ihipStream_tbEUlT_E0_NS1_11comp_targetILNS1_3genE10ELNS1_11target_archE1201ELNS1_3gpuE5ELNS1_3repE0EEENS1_60segmented_radix_sort_warp_sort_medium_config_static_selectorELNS0_4arch9wavefront6targetE0EEEvSK_.private_seg_size, 0
	.set _ZN7rocprim17ROCPRIM_400000_NS6detail17trampoline_kernelINS0_14default_configENS1_36segmented_radix_sort_config_selectorIflEEZNS1_25segmented_radix_sort_implIS3_Lb0EPKfPfPKlPlN2at6native12_GLOBAL__N_18offset_tEEE10hipError_tPvRmT1_PNSt15iterator_traitsISK_E10value_typeET2_T3_PNSL_ISQ_E10value_typeET4_jRbjT5_SW_jjP12ihipStream_tbEUlT_E0_NS1_11comp_targetILNS1_3genE10ELNS1_11target_archE1201ELNS1_3gpuE5ELNS1_3repE0EEENS1_60segmented_radix_sort_warp_sort_medium_config_static_selectorELNS0_4arch9wavefront6targetE0EEEvSK_.uses_vcc, 0
	.set _ZN7rocprim17ROCPRIM_400000_NS6detail17trampoline_kernelINS0_14default_configENS1_36segmented_radix_sort_config_selectorIflEEZNS1_25segmented_radix_sort_implIS3_Lb0EPKfPfPKlPlN2at6native12_GLOBAL__N_18offset_tEEE10hipError_tPvRmT1_PNSt15iterator_traitsISK_E10value_typeET2_T3_PNSL_ISQ_E10value_typeET4_jRbjT5_SW_jjP12ihipStream_tbEUlT_E0_NS1_11comp_targetILNS1_3genE10ELNS1_11target_archE1201ELNS1_3gpuE5ELNS1_3repE0EEENS1_60segmented_radix_sort_warp_sort_medium_config_static_selectorELNS0_4arch9wavefront6targetE0EEEvSK_.uses_flat_scratch, 0
	.set _ZN7rocprim17ROCPRIM_400000_NS6detail17trampoline_kernelINS0_14default_configENS1_36segmented_radix_sort_config_selectorIflEEZNS1_25segmented_radix_sort_implIS3_Lb0EPKfPfPKlPlN2at6native12_GLOBAL__N_18offset_tEEE10hipError_tPvRmT1_PNSt15iterator_traitsISK_E10value_typeET2_T3_PNSL_ISQ_E10value_typeET4_jRbjT5_SW_jjP12ihipStream_tbEUlT_E0_NS1_11comp_targetILNS1_3genE10ELNS1_11target_archE1201ELNS1_3gpuE5ELNS1_3repE0EEENS1_60segmented_radix_sort_warp_sort_medium_config_static_selectorELNS0_4arch9wavefront6targetE0EEEvSK_.has_dyn_sized_stack, 0
	.set _ZN7rocprim17ROCPRIM_400000_NS6detail17trampoline_kernelINS0_14default_configENS1_36segmented_radix_sort_config_selectorIflEEZNS1_25segmented_radix_sort_implIS3_Lb0EPKfPfPKlPlN2at6native12_GLOBAL__N_18offset_tEEE10hipError_tPvRmT1_PNSt15iterator_traitsISK_E10value_typeET2_T3_PNSL_ISQ_E10value_typeET4_jRbjT5_SW_jjP12ihipStream_tbEUlT_E0_NS1_11comp_targetILNS1_3genE10ELNS1_11target_archE1201ELNS1_3gpuE5ELNS1_3repE0EEENS1_60segmented_radix_sort_warp_sort_medium_config_static_selectorELNS0_4arch9wavefront6targetE0EEEvSK_.has_recursion, 0
	.set _ZN7rocprim17ROCPRIM_400000_NS6detail17trampoline_kernelINS0_14default_configENS1_36segmented_radix_sort_config_selectorIflEEZNS1_25segmented_radix_sort_implIS3_Lb0EPKfPfPKlPlN2at6native12_GLOBAL__N_18offset_tEEE10hipError_tPvRmT1_PNSt15iterator_traitsISK_E10value_typeET2_T3_PNSL_ISQ_E10value_typeET4_jRbjT5_SW_jjP12ihipStream_tbEUlT_E0_NS1_11comp_targetILNS1_3genE10ELNS1_11target_archE1201ELNS1_3gpuE5ELNS1_3repE0EEENS1_60segmented_radix_sort_warp_sort_medium_config_static_selectorELNS0_4arch9wavefront6targetE0EEEvSK_.has_indirect_call, 0
	.section	.AMDGPU.csdata,"",@progbits
; Kernel info:
; codeLenInByte = 0
; TotalNumSgprs: 0
; NumVgprs: 0
; ScratchSize: 0
; MemoryBound: 0
; FloatMode: 240
; IeeeMode: 1
; LDSByteSize: 0 bytes/workgroup (compile time only)
; SGPRBlocks: 0
; VGPRBlocks: 0
; NumSGPRsForWavesPerEU: 1
; NumVGPRsForWavesPerEU: 1
; NamedBarCnt: 0
; Occupancy: 16
; WaveLimiterHint : 0
; COMPUTE_PGM_RSRC2:SCRATCH_EN: 0
; COMPUTE_PGM_RSRC2:USER_SGPR: 2
; COMPUTE_PGM_RSRC2:TRAP_HANDLER: 0
; COMPUTE_PGM_RSRC2:TGID_X_EN: 1
; COMPUTE_PGM_RSRC2:TGID_Y_EN: 0
; COMPUTE_PGM_RSRC2:TGID_Z_EN: 0
; COMPUTE_PGM_RSRC2:TIDIG_COMP_CNT: 0
	.section	.text._ZN7rocprim17ROCPRIM_400000_NS6detail17trampoline_kernelINS0_14default_configENS1_36segmented_radix_sort_config_selectorIflEEZNS1_25segmented_radix_sort_implIS3_Lb0EPKfPfPKlPlN2at6native12_GLOBAL__N_18offset_tEEE10hipError_tPvRmT1_PNSt15iterator_traitsISK_E10value_typeET2_T3_PNSL_ISQ_E10value_typeET4_jRbjT5_SW_jjP12ihipStream_tbEUlT_E0_NS1_11comp_targetILNS1_3genE10ELNS1_11target_archE1200ELNS1_3gpuE4ELNS1_3repE0EEENS1_60segmented_radix_sort_warp_sort_medium_config_static_selectorELNS0_4arch9wavefront6targetE0EEEvSK_,"axG",@progbits,_ZN7rocprim17ROCPRIM_400000_NS6detail17trampoline_kernelINS0_14default_configENS1_36segmented_radix_sort_config_selectorIflEEZNS1_25segmented_radix_sort_implIS3_Lb0EPKfPfPKlPlN2at6native12_GLOBAL__N_18offset_tEEE10hipError_tPvRmT1_PNSt15iterator_traitsISK_E10value_typeET2_T3_PNSL_ISQ_E10value_typeET4_jRbjT5_SW_jjP12ihipStream_tbEUlT_E0_NS1_11comp_targetILNS1_3genE10ELNS1_11target_archE1200ELNS1_3gpuE4ELNS1_3repE0EEENS1_60segmented_radix_sort_warp_sort_medium_config_static_selectorELNS0_4arch9wavefront6targetE0EEEvSK_,comdat
	.globl	_ZN7rocprim17ROCPRIM_400000_NS6detail17trampoline_kernelINS0_14default_configENS1_36segmented_radix_sort_config_selectorIflEEZNS1_25segmented_radix_sort_implIS3_Lb0EPKfPfPKlPlN2at6native12_GLOBAL__N_18offset_tEEE10hipError_tPvRmT1_PNSt15iterator_traitsISK_E10value_typeET2_T3_PNSL_ISQ_E10value_typeET4_jRbjT5_SW_jjP12ihipStream_tbEUlT_E0_NS1_11comp_targetILNS1_3genE10ELNS1_11target_archE1200ELNS1_3gpuE4ELNS1_3repE0EEENS1_60segmented_radix_sort_warp_sort_medium_config_static_selectorELNS0_4arch9wavefront6targetE0EEEvSK_ ; -- Begin function _ZN7rocprim17ROCPRIM_400000_NS6detail17trampoline_kernelINS0_14default_configENS1_36segmented_radix_sort_config_selectorIflEEZNS1_25segmented_radix_sort_implIS3_Lb0EPKfPfPKlPlN2at6native12_GLOBAL__N_18offset_tEEE10hipError_tPvRmT1_PNSt15iterator_traitsISK_E10value_typeET2_T3_PNSL_ISQ_E10value_typeET4_jRbjT5_SW_jjP12ihipStream_tbEUlT_E0_NS1_11comp_targetILNS1_3genE10ELNS1_11target_archE1200ELNS1_3gpuE4ELNS1_3repE0EEENS1_60segmented_radix_sort_warp_sort_medium_config_static_selectorELNS0_4arch9wavefront6targetE0EEEvSK_
	.p2align	8
	.type	_ZN7rocprim17ROCPRIM_400000_NS6detail17trampoline_kernelINS0_14default_configENS1_36segmented_radix_sort_config_selectorIflEEZNS1_25segmented_radix_sort_implIS3_Lb0EPKfPfPKlPlN2at6native12_GLOBAL__N_18offset_tEEE10hipError_tPvRmT1_PNSt15iterator_traitsISK_E10value_typeET2_T3_PNSL_ISQ_E10value_typeET4_jRbjT5_SW_jjP12ihipStream_tbEUlT_E0_NS1_11comp_targetILNS1_3genE10ELNS1_11target_archE1200ELNS1_3gpuE4ELNS1_3repE0EEENS1_60segmented_radix_sort_warp_sort_medium_config_static_selectorELNS0_4arch9wavefront6targetE0EEEvSK_,@function
_ZN7rocprim17ROCPRIM_400000_NS6detail17trampoline_kernelINS0_14default_configENS1_36segmented_radix_sort_config_selectorIflEEZNS1_25segmented_radix_sort_implIS3_Lb0EPKfPfPKlPlN2at6native12_GLOBAL__N_18offset_tEEE10hipError_tPvRmT1_PNSt15iterator_traitsISK_E10value_typeET2_T3_PNSL_ISQ_E10value_typeET4_jRbjT5_SW_jjP12ihipStream_tbEUlT_E0_NS1_11comp_targetILNS1_3genE10ELNS1_11target_archE1200ELNS1_3gpuE4ELNS1_3repE0EEENS1_60segmented_radix_sort_warp_sort_medium_config_static_selectorELNS0_4arch9wavefront6targetE0EEEvSK_: ; @_ZN7rocprim17ROCPRIM_400000_NS6detail17trampoline_kernelINS0_14default_configENS1_36segmented_radix_sort_config_selectorIflEEZNS1_25segmented_radix_sort_implIS3_Lb0EPKfPfPKlPlN2at6native12_GLOBAL__N_18offset_tEEE10hipError_tPvRmT1_PNSt15iterator_traitsISK_E10value_typeET2_T3_PNSL_ISQ_E10value_typeET4_jRbjT5_SW_jjP12ihipStream_tbEUlT_E0_NS1_11comp_targetILNS1_3genE10ELNS1_11target_archE1200ELNS1_3gpuE4ELNS1_3repE0EEENS1_60segmented_radix_sort_warp_sort_medium_config_static_selectorELNS0_4arch9wavefront6targetE0EEEvSK_
; %bb.0:
	.section	.rodata,"a",@progbits
	.p2align	6, 0x0
	.amdhsa_kernel _ZN7rocprim17ROCPRIM_400000_NS6detail17trampoline_kernelINS0_14default_configENS1_36segmented_radix_sort_config_selectorIflEEZNS1_25segmented_radix_sort_implIS3_Lb0EPKfPfPKlPlN2at6native12_GLOBAL__N_18offset_tEEE10hipError_tPvRmT1_PNSt15iterator_traitsISK_E10value_typeET2_T3_PNSL_ISQ_E10value_typeET4_jRbjT5_SW_jjP12ihipStream_tbEUlT_E0_NS1_11comp_targetILNS1_3genE10ELNS1_11target_archE1200ELNS1_3gpuE4ELNS1_3repE0EEENS1_60segmented_radix_sort_warp_sort_medium_config_static_selectorELNS0_4arch9wavefront6targetE0EEEvSK_
		.amdhsa_group_segment_fixed_size 0
		.amdhsa_private_segment_fixed_size 0
		.amdhsa_kernarg_size 88
		.amdhsa_user_sgpr_count 2
		.amdhsa_user_sgpr_dispatch_ptr 0
		.amdhsa_user_sgpr_queue_ptr 0
		.amdhsa_user_sgpr_kernarg_segment_ptr 1
		.amdhsa_user_sgpr_dispatch_id 0
		.amdhsa_user_sgpr_kernarg_preload_length 0
		.amdhsa_user_sgpr_kernarg_preload_offset 0
		.amdhsa_user_sgpr_private_segment_size 0
		.amdhsa_wavefront_size32 1
		.amdhsa_uses_dynamic_stack 0
		.amdhsa_enable_private_segment 0
		.amdhsa_system_sgpr_workgroup_id_x 1
		.amdhsa_system_sgpr_workgroup_id_y 0
		.amdhsa_system_sgpr_workgroup_id_z 0
		.amdhsa_system_sgpr_workgroup_info 0
		.amdhsa_system_vgpr_workitem_id 0
		.amdhsa_next_free_vgpr 1
		.amdhsa_next_free_sgpr 1
		.amdhsa_named_barrier_count 0
		.amdhsa_reserve_vcc 0
		.amdhsa_float_round_mode_32 0
		.amdhsa_float_round_mode_16_64 0
		.amdhsa_float_denorm_mode_32 3
		.amdhsa_float_denorm_mode_16_64 3
		.amdhsa_fp16_overflow 0
		.amdhsa_memory_ordered 1
		.amdhsa_forward_progress 1
		.amdhsa_inst_pref_size 0
		.amdhsa_round_robin_scheduling 0
		.amdhsa_exception_fp_ieee_invalid_op 0
		.amdhsa_exception_fp_denorm_src 0
		.amdhsa_exception_fp_ieee_div_zero 0
		.amdhsa_exception_fp_ieee_overflow 0
		.amdhsa_exception_fp_ieee_underflow 0
		.amdhsa_exception_fp_ieee_inexact 0
		.amdhsa_exception_int_div_zero 0
	.end_amdhsa_kernel
	.section	.text._ZN7rocprim17ROCPRIM_400000_NS6detail17trampoline_kernelINS0_14default_configENS1_36segmented_radix_sort_config_selectorIflEEZNS1_25segmented_radix_sort_implIS3_Lb0EPKfPfPKlPlN2at6native12_GLOBAL__N_18offset_tEEE10hipError_tPvRmT1_PNSt15iterator_traitsISK_E10value_typeET2_T3_PNSL_ISQ_E10value_typeET4_jRbjT5_SW_jjP12ihipStream_tbEUlT_E0_NS1_11comp_targetILNS1_3genE10ELNS1_11target_archE1200ELNS1_3gpuE4ELNS1_3repE0EEENS1_60segmented_radix_sort_warp_sort_medium_config_static_selectorELNS0_4arch9wavefront6targetE0EEEvSK_,"axG",@progbits,_ZN7rocprim17ROCPRIM_400000_NS6detail17trampoline_kernelINS0_14default_configENS1_36segmented_radix_sort_config_selectorIflEEZNS1_25segmented_radix_sort_implIS3_Lb0EPKfPfPKlPlN2at6native12_GLOBAL__N_18offset_tEEE10hipError_tPvRmT1_PNSt15iterator_traitsISK_E10value_typeET2_T3_PNSL_ISQ_E10value_typeET4_jRbjT5_SW_jjP12ihipStream_tbEUlT_E0_NS1_11comp_targetILNS1_3genE10ELNS1_11target_archE1200ELNS1_3gpuE4ELNS1_3repE0EEENS1_60segmented_radix_sort_warp_sort_medium_config_static_selectorELNS0_4arch9wavefront6targetE0EEEvSK_,comdat
.Lfunc_end1438:
	.size	_ZN7rocprim17ROCPRIM_400000_NS6detail17trampoline_kernelINS0_14default_configENS1_36segmented_radix_sort_config_selectorIflEEZNS1_25segmented_radix_sort_implIS3_Lb0EPKfPfPKlPlN2at6native12_GLOBAL__N_18offset_tEEE10hipError_tPvRmT1_PNSt15iterator_traitsISK_E10value_typeET2_T3_PNSL_ISQ_E10value_typeET4_jRbjT5_SW_jjP12ihipStream_tbEUlT_E0_NS1_11comp_targetILNS1_3genE10ELNS1_11target_archE1200ELNS1_3gpuE4ELNS1_3repE0EEENS1_60segmented_radix_sort_warp_sort_medium_config_static_selectorELNS0_4arch9wavefront6targetE0EEEvSK_, .Lfunc_end1438-_ZN7rocprim17ROCPRIM_400000_NS6detail17trampoline_kernelINS0_14default_configENS1_36segmented_radix_sort_config_selectorIflEEZNS1_25segmented_radix_sort_implIS3_Lb0EPKfPfPKlPlN2at6native12_GLOBAL__N_18offset_tEEE10hipError_tPvRmT1_PNSt15iterator_traitsISK_E10value_typeET2_T3_PNSL_ISQ_E10value_typeET4_jRbjT5_SW_jjP12ihipStream_tbEUlT_E0_NS1_11comp_targetILNS1_3genE10ELNS1_11target_archE1200ELNS1_3gpuE4ELNS1_3repE0EEENS1_60segmented_radix_sort_warp_sort_medium_config_static_selectorELNS0_4arch9wavefront6targetE0EEEvSK_
                                        ; -- End function
	.set _ZN7rocprim17ROCPRIM_400000_NS6detail17trampoline_kernelINS0_14default_configENS1_36segmented_radix_sort_config_selectorIflEEZNS1_25segmented_radix_sort_implIS3_Lb0EPKfPfPKlPlN2at6native12_GLOBAL__N_18offset_tEEE10hipError_tPvRmT1_PNSt15iterator_traitsISK_E10value_typeET2_T3_PNSL_ISQ_E10value_typeET4_jRbjT5_SW_jjP12ihipStream_tbEUlT_E0_NS1_11comp_targetILNS1_3genE10ELNS1_11target_archE1200ELNS1_3gpuE4ELNS1_3repE0EEENS1_60segmented_radix_sort_warp_sort_medium_config_static_selectorELNS0_4arch9wavefront6targetE0EEEvSK_.num_vgpr, 0
	.set _ZN7rocprim17ROCPRIM_400000_NS6detail17trampoline_kernelINS0_14default_configENS1_36segmented_radix_sort_config_selectorIflEEZNS1_25segmented_radix_sort_implIS3_Lb0EPKfPfPKlPlN2at6native12_GLOBAL__N_18offset_tEEE10hipError_tPvRmT1_PNSt15iterator_traitsISK_E10value_typeET2_T3_PNSL_ISQ_E10value_typeET4_jRbjT5_SW_jjP12ihipStream_tbEUlT_E0_NS1_11comp_targetILNS1_3genE10ELNS1_11target_archE1200ELNS1_3gpuE4ELNS1_3repE0EEENS1_60segmented_radix_sort_warp_sort_medium_config_static_selectorELNS0_4arch9wavefront6targetE0EEEvSK_.num_agpr, 0
	.set _ZN7rocprim17ROCPRIM_400000_NS6detail17trampoline_kernelINS0_14default_configENS1_36segmented_radix_sort_config_selectorIflEEZNS1_25segmented_radix_sort_implIS3_Lb0EPKfPfPKlPlN2at6native12_GLOBAL__N_18offset_tEEE10hipError_tPvRmT1_PNSt15iterator_traitsISK_E10value_typeET2_T3_PNSL_ISQ_E10value_typeET4_jRbjT5_SW_jjP12ihipStream_tbEUlT_E0_NS1_11comp_targetILNS1_3genE10ELNS1_11target_archE1200ELNS1_3gpuE4ELNS1_3repE0EEENS1_60segmented_radix_sort_warp_sort_medium_config_static_selectorELNS0_4arch9wavefront6targetE0EEEvSK_.numbered_sgpr, 0
	.set _ZN7rocprim17ROCPRIM_400000_NS6detail17trampoline_kernelINS0_14default_configENS1_36segmented_radix_sort_config_selectorIflEEZNS1_25segmented_radix_sort_implIS3_Lb0EPKfPfPKlPlN2at6native12_GLOBAL__N_18offset_tEEE10hipError_tPvRmT1_PNSt15iterator_traitsISK_E10value_typeET2_T3_PNSL_ISQ_E10value_typeET4_jRbjT5_SW_jjP12ihipStream_tbEUlT_E0_NS1_11comp_targetILNS1_3genE10ELNS1_11target_archE1200ELNS1_3gpuE4ELNS1_3repE0EEENS1_60segmented_radix_sort_warp_sort_medium_config_static_selectorELNS0_4arch9wavefront6targetE0EEEvSK_.num_named_barrier, 0
	.set _ZN7rocprim17ROCPRIM_400000_NS6detail17trampoline_kernelINS0_14default_configENS1_36segmented_radix_sort_config_selectorIflEEZNS1_25segmented_radix_sort_implIS3_Lb0EPKfPfPKlPlN2at6native12_GLOBAL__N_18offset_tEEE10hipError_tPvRmT1_PNSt15iterator_traitsISK_E10value_typeET2_T3_PNSL_ISQ_E10value_typeET4_jRbjT5_SW_jjP12ihipStream_tbEUlT_E0_NS1_11comp_targetILNS1_3genE10ELNS1_11target_archE1200ELNS1_3gpuE4ELNS1_3repE0EEENS1_60segmented_radix_sort_warp_sort_medium_config_static_selectorELNS0_4arch9wavefront6targetE0EEEvSK_.private_seg_size, 0
	.set _ZN7rocprim17ROCPRIM_400000_NS6detail17trampoline_kernelINS0_14default_configENS1_36segmented_radix_sort_config_selectorIflEEZNS1_25segmented_radix_sort_implIS3_Lb0EPKfPfPKlPlN2at6native12_GLOBAL__N_18offset_tEEE10hipError_tPvRmT1_PNSt15iterator_traitsISK_E10value_typeET2_T3_PNSL_ISQ_E10value_typeET4_jRbjT5_SW_jjP12ihipStream_tbEUlT_E0_NS1_11comp_targetILNS1_3genE10ELNS1_11target_archE1200ELNS1_3gpuE4ELNS1_3repE0EEENS1_60segmented_radix_sort_warp_sort_medium_config_static_selectorELNS0_4arch9wavefront6targetE0EEEvSK_.uses_vcc, 0
	.set _ZN7rocprim17ROCPRIM_400000_NS6detail17trampoline_kernelINS0_14default_configENS1_36segmented_radix_sort_config_selectorIflEEZNS1_25segmented_radix_sort_implIS3_Lb0EPKfPfPKlPlN2at6native12_GLOBAL__N_18offset_tEEE10hipError_tPvRmT1_PNSt15iterator_traitsISK_E10value_typeET2_T3_PNSL_ISQ_E10value_typeET4_jRbjT5_SW_jjP12ihipStream_tbEUlT_E0_NS1_11comp_targetILNS1_3genE10ELNS1_11target_archE1200ELNS1_3gpuE4ELNS1_3repE0EEENS1_60segmented_radix_sort_warp_sort_medium_config_static_selectorELNS0_4arch9wavefront6targetE0EEEvSK_.uses_flat_scratch, 0
	.set _ZN7rocprim17ROCPRIM_400000_NS6detail17trampoline_kernelINS0_14default_configENS1_36segmented_radix_sort_config_selectorIflEEZNS1_25segmented_radix_sort_implIS3_Lb0EPKfPfPKlPlN2at6native12_GLOBAL__N_18offset_tEEE10hipError_tPvRmT1_PNSt15iterator_traitsISK_E10value_typeET2_T3_PNSL_ISQ_E10value_typeET4_jRbjT5_SW_jjP12ihipStream_tbEUlT_E0_NS1_11comp_targetILNS1_3genE10ELNS1_11target_archE1200ELNS1_3gpuE4ELNS1_3repE0EEENS1_60segmented_radix_sort_warp_sort_medium_config_static_selectorELNS0_4arch9wavefront6targetE0EEEvSK_.has_dyn_sized_stack, 0
	.set _ZN7rocprim17ROCPRIM_400000_NS6detail17trampoline_kernelINS0_14default_configENS1_36segmented_radix_sort_config_selectorIflEEZNS1_25segmented_radix_sort_implIS3_Lb0EPKfPfPKlPlN2at6native12_GLOBAL__N_18offset_tEEE10hipError_tPvRmT1_PNSt15iterator_traitsISK_E10value_typeET2_T3_PNSL_ISQ_E10value_typeET4_jRbjT5_SW_jjP12ihipStream_tbEUlT_E0_NS1_11comp_targetILNS1_3genE10ELNS1_11target_archE1200ELNS1_3gpuE4ELNS1_3repE0EEENS1_60segmented_radix_sort_warp_sort_medium_config_static_selectorELNS0_4arch9wavefront6targetE0EEEvSK_.has_recursion, 0
	.set _ZN7rocprim17ROCPRIM_400000_NS6detail17trampoline_kernelINS0_14default_configENS1_36segmented_radix_sort_config_selectorIflEEZNS1_25segmented_radix_sort_implIS3_Lb0EPKfPfPKlPlN2at6native12_GLOBAL__N_18offset_tEEE10hipError_tPvRmT1_PNSt15iterator_traitsISK_E10value_typeET2_T3_PNSL_ISQ_E10value_typeET4_jRbjT5_SW_jjP12ihipStream_tbEUlT_E0_NS1_11comp_targetILNS1_3genE10ELNS1_11target_archE1200ELNS1_3gpuE4ELNS1_3repE0EEENS1_60segmented_radix_sort_warp_sort_medium_config_static_selectorELNS0_4arch9wavefront6targetE0EEEvSK_.has_indirect_call, 0
	.section	.AMDGPU.csdata,"",@progbits
; Kernel info:
; codeLenInByte = 0
; TotalNumSgprs: 0
; NumVgprs: 0
; ScratchSize: 0
; MemoryBound: 0
; FloatMode: 240
; IeeeMode: 1
; LDSByteSize: 0 bytes/workgroup (compile time only)
; SGPRBlocks: 0
; VGPRBlocks: 0
; NumSGPRsForWavesPerEU: 1
; NumVGPRsForWavesPerEU: 1
; NamedBarCnt: 0
; Occupancy: 16
; WaveLimiterHint : 0
; COMPUTE_PGM_RSRC2:SCRATCH_EN: 0
; COMPUTE_PGM_RSRC2:USER_SGPR: 2
; COMPUTE_PGM_RSRC2:TRAP_HANDLER: 0
; COMPUTE_PGM_RSRC2:TGID_X_EN: 1
; COMPUTE_PGM_RSRC2:TGID_Y_EN: 0
; COMPUTE_PGM_RSRC2:TGID_Z_EN: 0
; COMPUTE_PGM_RSRC2:TIDIG_COMP_CNT: 0
	.section	.text._ZN7rocprim17ROCPRIM_400000_NS6detail17trampoline_kernelINS0_14default_configENS1_36segmented_radix_sort_config_selectorIflEEZNS1_25segmented_radix_sort_implIS3_Lb0EPKfPfPKlPlN2at6native12_GLOBAL__N_18offset_tEEE10hipError_tPvRmT1_PNSt15iterator_traitsISK_E10value_typeET2_T3_PNSL_ISQ_E10value_typeET4_jRbjT5_SW_jjP12ihipStream_tbEUlT_E0_NS1_11comp_targetILNS1_3genE9ELNS1_11target_archE1100ELNS1_3gpuE3ELNS1_3repE0EEENS1_60segmented_radix_sort_warp_sort_medium_config_static_selectorELNS0_4arch9wavefront6targetE0EEEvSK_,"axG",@progbits,_ZN7rocprim17ROCPRIM_400000_NS6detail17trampoline_kernelINS0_14default_configENS1_36segmented_radix_sort_config_selectorIflEEZNS1_25segmented_radix_sort_implIS3_Lb0EPKfPfPKlPlN2at6native12_GLOBAL__N_18offset_tEEE10hipError_tPvRmT1_PNSt15iterator_traitsISK_E10value_typeET2_T3_PNSL_ISQ_E10value_typeET4_jRbjT5_SW_jjP12ihipStream_tbEUlT_E0_NS1_11comp_targetILNS1_3genE9ELNS1_11target_archE1100ELNS1_3gpuE3ELNS1_3repE0EEENS1_60segmented_radix_sort_warp_sort_medium_config_static_selectorELNS0_4arch9wavefront6targetE0EEEvSK_,comdat
	.globl	_ZN7rocprim17ROCPRIM_400000_NS6detail17trampoline_kernelINS0_14default_configENS1_36segmented_radix_sort_config_selectorIflEEZNS1_25segmented_radix_sort_implIS3_Lb0EPKfPfPKlPlN2at6native12_GLOBAL__N_18offset_tEEE10hipError_tPvRmT1_PNSt15iterator_traitsISK_E10value_typeET2_T3_PNSL_ISQ_E10value_typeET4_jRbjT5_SW_jjP12ihipStream_tbEUlT_E0_NS1_11comp_targetILNS1_3genE9ELNS1_11target_archE1100ELNS1_3gpuE3ELNS1_3repE0EEENS1_60segmented_radix_sort_warp_sort_medium_config_static_selectorELNS0_4arch9wavefront6targetE0EEEvSK_ ; -- Begin function _ZN7rocprim17ROCPRIM_400000_NS6detail17trampoline_kernelINS0_14default_configENS1_36segmented_radix_sort_config_selectorIflEEZNS1_25segmented_radix_sort_implIS3_Lb0EPKfPfPKlPlN2at6native12_GLOBAL__N_18offset_tEEE10hipError_tPvRmT1_PNSt15iterator_traitsISK_E10value_typeET2_T3_PNSL_ISQ_E10value_typeET4_jRbjT5_SW_jjP12ihipStream_tbEUlT_E0_NS1_11comp_targetILNS1_3genE9ELNS1_11target_archE1100ELNS1_3gpuE3ELNS1_3repE0EEENS1_60segmented_radix_sort_warp_sort_medium_config_static_selectorELNS0_4arch9wavefront6targetE0EEEvSK_
	.p2align	8
	.type	_ZN7rocprim17ROCPRIM_400000_NS6detail17trampoline_kernelINS0_14default_configENS1_36segmented_radix_sort_config_selectorIflEEZNS1_25segmented_radix_sort_implIS3_Lb0EPKfPfPKlPlN2at6native12_GLOBAL__N_18offset_tEEE10hipError_tPvRmT1_PNSt15iterator_traitsISK_E10value_typeET2_T3_PNSL_ISQ_E10value_typeET4_jRbjT5_SW_jjP12ihipStream_tbEUlT_E0_NS1_11comp_targetILNS1_3genE9ELNS1_11target_archE1100ELNS1_3gpuE3ELNS1_3repE0EEENS1_60segmented_radix_sort_warp_sort_medium_config_static_selectorELNS0_4arch9wavefront6targetE0EEEvSK_,@function
_ZN7rocprim17ROCPRIM_400000_NS6detail17trampoline_kernelINS0_14default_configENS1_36segmented_radix_sort_config_selectorIflEEZNS1_25segmented_radix_sort_implIS3_Lb0EPKfPfPKlPlN2at6native12_GLOBAL__N_18offset_tEEE10hipError_tPvRmT1_PNSt15iterator_traitsISK_E10value_typeET2_T3_PNSL_ISQ_E10value_typeET4_jRbjT5_SW_jjP12ihipStream_tbEUlT_E0_NS1_11comp_targetILNS1_3genE9ELNS1_11target_archE1100ELNS1_3gpuE3ELNS1_3repE0EEENS1_60segmented_radix_sort_warp_sort_medium_config_static_selectorELNS0_4arch9wavefront6targetE0EEEvSK_: ; @_ZN7rocprim17ROCPRIM_400000_NS6detail17trampoline_kernelINS0_14default_configENS1_36segmented_radix_sort_config_selectorIflEEZNS1_25segmented_radix_sort_implIS3_Lb0EPKfPfPKlPlN2at6native12_GLOBAL__N_18offset_tEEE10hipError_tPvRmT1_PNSt15iterator_traitsISK_E10value_typeET2_T3_PNSL_ISQ_E10value_typeET4_jRbjT5_SW_jjP12ihipStream_tbEUlT_E0_NS1_11comp_targetILNS1_3genE9ELNS1_11target_archE1100ELNS1_3gpuE3ELNS1_3repE0EEENS1_60segmented_radix_sort_warp_sort_medium_config_static_selectorELNS0_4arch9wavefront6targetE0EEEvSK_
; %bb.0:
	.section	.rodata,"a",@progbits
	.p2align	6, 0x0
	.amdhsa_kernel _ZN7rocprim17ROCPRIM_400000_NS6detail17trampoline_kernelINS0_14default_configENS1_36segmented_radix_sort_config_selectorIflEEZNS1_25segmented_radix_sort_implIS3_Lb0EPKfPfPKlPlN2at6native12_GLOBAL__N_18offset_tEEE10hipError_tPvRmT1_PNSt15iterator_traitsISK_E10value_typeET2_T3_PNSL_ISQ_E10value_typeET4_jRbjT5_SW_jjP12ihipStream_tbEUlT_E0_NS1_11comp_targetILNS1_3genE9ELNS1_11target_archE1100ELNS1_3gpuE3ELNS1_3repE0EEENS1_60segmented_radix_sort_warp_sort_medium_config_static_selectorELNS0_4arch9wavefront6targetE0EEEvSK_
		.amdhsa_group_segment_fixed_size 0
		.amdhsa_private_segment_fixed_size 0
		.amdhsa_kernarg_size 88
		.amdhsa_user_sgpr_count 2
		.amdhsa_user_sgpr_dispatch_ptr 0
		.amdhsa_user_sgpr_queue_ptr 0
		.amdhsa_user_sgpr_kernarg_segment_ptr 1
		.amdhsa_user_sgpr_dispatch_id 0
		.amdhsa_user_sgpr_kernarg_preload_length 0
		.amdhsa_user_sgpr_kernarg_preload_offset 0
		.amdhsa_user_sgpr_private_segment_size 0
		.amdhsa_wavefront_size32 1
		.amdhsa_uses_dynamic_stack 0
		.amdhsa_enable_private_segment 0
		.amdhsa_system_sgpr_workgroup_id_x 1
		.amdhsa_system_sgpr_workgroup_id_y 0
		.amdhsa_system_sgpr_workgroup_id_z 0
		.amdhsa_system_sgpr_workgroup_info 0
		.amdhsa_system_vgpr_workitem_id 0
		.amdhsa_next_free_vgpr 1
		.amdhsa_next_free_sgpr 1
		.amdhsa_named_barrier_count 0
		.amdhsa_reserve_vcc 0
		.amdhsa_float_round_mode_32 0
		.amdhsa_float_round_mode_16_64 0
		.amdhsa_float_denorm_mode_32 3
		.amdhsa_float_denorm_mode_16_64 3
		.amdhsa_fp16_overflow 0
		.amdhsa_memory_ordered 1
		.amdhsa_forward_progress 1
		.amdhsa_inst_pref_size 0
		.amdhsa_round_robin_scheduling 0
		.amdhsa_exception_fp_ieee_invalid_op 0
		.amdhsa_exception_fp_denorm_src 0
		.amdhsa_exception_fp_ieee_div_zero 0
		.amdhsa_exception_fp_ieee_overflow 0
		.amdhsa_exception_fp_ieee_underflow 0
		.amdhsa_exception_fp_ieee_inexact 0
		.amdhsa_exception_int_div_zero 0
	.end_amdhsa_kernel
	.section	.text._ZN7rocprim17ROCPRIM_400000_NS6detail17trampoline_kernelINS0_14default_configENS1_36segmented_radix_sort_config_selectorIflEEZNS1_25segmented_radix_sort_implIS3_Lb0EPKfPfPKlPlN2at6native12_GLOBAL__N_18offset_tEEE10hipError_tPvRmT1_PNSt15iterator_traitsISK_E10value_typeET2_T3_PNSL_ISQ_E10value_typeET4_jRbjT5_SW_jjP12ihipStream_tbEUlT_E0_NS1_11comp_targetILNS1_3genE9ELNS1_11target_archE1100ELNS1_3gpuE3ELNS1_3repE0EEENS1_60segmented_radix_sort_warp_sort_medium_config_static_selectorELNS0_4arch9wavefront6targetE0EEEvSK_,"axG",@progbits,_ZN7rocprim17ROCPRIM_400000_NS6detail17trampoline_kernelINS0_14default_configENS1_36segmented_radix_sort_config_selectorIflEEZNS1_25segmented_radix_sort_implIS3_Lb0EPKfPfPKlPlN2at6native12_GLOBAL__N_18offset_tEEE10hipError_tPvRmT1_PNSt15iterator_traitsISK_E10value_typeET2_T3_PNSL_ISQ_E10value_typeET4_jRbjT5_SW_jjP12ihipStream_tbEUlT_E0_NS1_11comp_targetILNS1_3genE9ELNS1_11target_archE1100ELNS1_3gpuE3ELNS1_3repE0EEENS1_60segmented_radix_sort_warp_sort_medium_config_static_selectorELNS0_4arch9wavefront6targetE0EEEvSK_,comdat
.Lfunc_end1439:
	.size	_ZN7rocprim17ROCPRIM_400000_NS6detail17trampoline_kernelINS0_14default_configENS1_36segmented_radix_sort_config_selectorIflEEZNS1_25segmented_radix_sort_implIS3_Lb0EPKfPfPKlPlN2at6native12_GLOBAL__N_18offset_tEEE10hipError_tPvRmT1_PNSt15iterator_traitsISK_E10value_typeET2_T3_PNSL_ISQ_E10value_typeET4_jRbjT5_SW_jjP12ihipStream_tbEUlT_E0_NS1_11comp_targetILNS1_3genE9ELNS1_11target_archE1100ELNS1_3gpuE3ELNS1_3repE0EEENS1_60segmented_radix_sort_warp_sort_medium_config_static_selectorELNS0_4arch9wavefront6targetE0EEEvSK_, .Lfunc_end1439-_ZN7rocprim17ROCPRIM_400000_NS6detail17trampoline_kernelINS0_14default_configENS1_36segmented_radix_sort_config_selectorIflEEZNS1_25segmented_radix_sort_implIS3_Lb0EPKfPfPKlPlN2at6native12_GLOBAL__N_18offset_tEEE10hipError_tPvRmT1_PNSt15iterator_traitsISK_E10value_typeET2_T3_PNSL_ISQ_E10value_typeET4_jRbjT5_SW_jjP12ihipStream_tbEUlT_E0_NS1_11comp_targetILNS1_3genE9ELNS1_11target_archE1100ELNS1_3gpuE3ELNS1_3repE0EEENS1_60segmented_radix_sort_warp_sort_medium_config_static_selectorELNS0_4arch9wavefront6targetE0EEEvSK_
                                        ; -- End function
	.set _ZN7rocprim17ROCPRIM_400000_NS6detail17trampoline_kernelINS0_14default_configENS1_36segmented_radix_sort_config_selectorIflEEZNS1_25segmented_radix_sort_implIS3_Lb0EPKfPfPKlPlN2at6native12_GLOBAL__N_18offset_tEEE10hipError_tPvRmT1_PNSt15iterator_traitsISK_E10value_typeET2_T3_PNSL_ISQ_E10value_typeET4_jRbjT5_SW_jjP12ihipStream_tbEUlT_E0_NS1_11comp_targetILNS1_3genE9ELNS1_11target_archE1100ELNS1_3gpuE3ELNS1_3repE0EEENS1_60segmented_radix_sort_warp_sort_medium_config_static_selectorELNS0_4arch9wavefront6targetE0EEEvSK_.num_vgpr, 0
	.set _ZN7rocprim17ROCPRIM_400000_NS6detail17trampoline_kernelINS0_14default_configENS1_36segmented_radix_sort_config_selectorIflEEZNS1_25segmented_radix_sort_implIS3_Lb0EPKfPfPKlPlN2at6native12_GLOBAL__N_18offset_tEEE10hipError_tPvRmT1_PNSt15iterator_traitsISK_E10value_typeET2_T3_PNSL_ISQ_E10value_typeET4_jRbjT5_SW_jjP12ihipStream_tbEUlT_E0_NS1_11comp_targetILNS1_3genE9ELNS1_11target_archE1100ELNS1_3gpuE3ELNS1_3repE0EEENS1_60segmented_radix_sort_warp_sort_medium_config_static_selectorELNS0_4arch9wavefront6targetE0EEEvSK_.num_agpr, 0
	.set _ZN7rocprim17ROCPRIM_400000_NS6detail17trampoline_kernelINS0_14default_configENS1_36segmented_radix_sort_config_selectorIflEEZNS1_25segmented_radix_sort_implIS3_Lb0EPKfPfPKlPlN2at6native12_GLOBAL__N_18offset_tEEE10hipError_tPvRmT1_PNSt15iterator_traitsISK_E10value_typeET2_T3_PNSL_ISQ_E10value_typeET4_jRbjT5_SW_jjP12ihipStream_tbEUlT_E0_NS1_11comp_targetILNS1_3genE9ELNS1_11target_archE1100ELNS1_3gpuE3ELNS1_3repE0EEENS1_60segmented_radix_sort_warp_sort_medium_config_static_selectorELNS0_4arch9wavefront6targetE0EEEvSK_.numbered_sgpr, 0
	.set _ZN7rocprim17ROCPRIM_400000_NS6detail17trampoline_kernelINS0_14default_configENS1_36segmented_radix_sort_config_selectorIflEEZNS1_25segmented_radix_sort_implIS3_Lb0EPKfPfPKlPlN2at6native12_GLOBAL__N_18offset_tEEE10hipError_tPvRmT1_PNSt15iterator_traitsISK_E10value_typeET2_T3_PNSL_ISQ_E10value_typeET4_jRbjT5_SW_jjP12ihipStream_tbEUlT_E0_NS1_11comp_targetILNS1_3genE9ELNS1_11target_archE1100ELNS1_3gpuE3ELNS1_3repE0EEENS1_60segmented_radix_sort_warp_sort_medium_config_static_selectorELNS0_4arch9wavefront6targetE0EEEvSK_.num_named_barrier, 0
	.set _ZN7rocprim17ROCPRIM_400000_NS6detail17trampoline_kernelINS0_14default_configENS1_36segmented_radix_sort_config_selectorIflEEZNS1_25segmented_radix_sort_implIS3_Lb0EPKfPfPKlPlN2at6native12_GLOBAL__N_18offset_tEEE10hipError_tPvRmT1_PNSt15iterator_traitsISK_E10value_typeET2_T3_PNSL_ISQ_E10value_typeET4_jRbjT5_SW_jjP12ihipStream_tbEUlT_E0_NS1_11comp_targetILNS1_3genE9ELNS1_11target_archE1100ELNS1_3gpuE3ELNS1_3repE0EEENS1_60segmented_radix_sort_warp_sort_medium_config_static_selectorELNS0_4arch9wavefront6targetE0EEEvSK_.private_seg_size, 0
	.set _ZN7rocprim17ROCPRIM_400000_NS6detail17trampoline_kernelINS0_14default_configENS1_36segmented_radix_sort_config_selectorIflEEZNS1_25segmented_radix_sort_implIS3_Lb0EPKfPfPKlPlN2at6native12_GLOBAL__N_18offset_tEEE10hipError_tPvRmT1_PNSt15iterator_traitsISK_E10value_typeET2_T3_PNSL_ISQ_E10value_typeET4_jRbjT5_SW_jjP12ihipStream_tbEUlT_E0_NS1_11comp_targetILNS1_3genE9ELNS1_11target_archE1100ELNS1_3gpuE3ELNS1_3repE0EEENS1_60segmented_radix_sort_warp_sort_medium_config_static_selectorELNS0_4arch9wavefront6targetE0EEEvSK_.uses_vcc, 0
	.set _ZN7rocprim17ROCPRIM_400000_NS6detail17trampoline_kernelINS0_14default_configENS1_36segmented_radix_sort_config_selectorIflEEZNS1_25segmented_radix_sort_implIS3_Lb0EPKfPfPKlPlN2at6native12_GLOBAL__N_18offset_tEEE10hipError_tPvRmT1_PNSt15iterator_traitsISK_E10value_typeET2_T3_PNSL_ISQ_E10value_typeET4_jRbjT5_SW_jjP12ihipStream_tbEUlT_E0_NS1_11comp_targetILNS1_3genE9ELNS1_11target_archE1100ELNS1_3gpuE3ELNS1_3repE0EEENS1_60segmented_radix_sort_warp_sort_medium_config_static_selectorELNS0_4arch9wavefront6targetE0EEEvSK_.uses_flat_scratch, 0
	.set _ZN7rocprim17ROCPRIM_400000_NS6detail17trampoline_kernelINS0_14default_configENS1_36segmented_radix_sort_config_selectorIflEEZNS1_25segmented_radix_sort_implIS3_Lb0EPKfPfPKlPlN2at6native12_GLOBAL__N_18offset_tEEE10hipError_tPvRmT1_PNSt15iterator_traitsISK_E10value_typeET2_T3_PNSL_ISQ_E10value_typeET4_jRbjT5_SW_jjP12ihipStream_tbEUlT_E0_NS1_11comp_targetILNS1_3genE9ELNS1_11target_archE1100ELNS1_3gpuE3ELNS1_3repE0EEENS1_60segmented_radix_sort_warp_sort_medium_config_static_selectorELNS0_4arch9wavefront6targetE0EEEvSK_.has_dyn_sized_stack, 0
	.set _ZN7rocprim17ROCPRIM_400000_NS6detail17trampoline_kernelINS0_14default_configENS1_36segmented_radix_sort_config_selectorIflEEZNS1_25segmented_radix_sort_implIS3_Lb0EPKfPfPKlPlN2at6native12_GLOBAL__N_18offset_tEEE10hipError_tPvRmT1_PNSt15iterator_traitsISK_E10value_typeET2_T3_PNSL_ISQ_E10value_typeET4_jRbjT5_SW_jjP12ihipStream_tbEUlT_E0_NS1_11comp_targetILNS1_3genE9ELNS1_11target_archE1100ELNS1_3gpuE3ELNS1_3repE0EEENS1_60segmented_radix_sort_warp_sort_medium_config_static_selectorELNS0_4arch9wavefront6targetE0EEEvSK_.has_recursion, 0
	.set _ZN7rocprim17ROCPRIM_400000_NS6detail17trampoline_kernelINS0_14default_configENS1_36segmented_radix_sort_config_selectorIflEEZNS1_25segmented_radix_sort_implIS3_Lb0EPKfPfPKlPlN2at6native12_GLOBAL__N_18offset_tEEE10hipError_tPvRmT1_PNSt15iterator_traitsISK_E10value_typeET2_T3_PNSL_ISQ_E10value_typeET4_jRbjT5_SW_jjP12ihipStream_tbEUlT_E0_NS1_11comp_targetILNS1_3genE9ELNS1_11target_archE1100ELNS1_3gpuE3ELNS1_3repE0EEENS1_60segmented_radix_sort_warp_sort_medium_config_static_selectorELNS0_4arch9wavefront6targetE0EEEvSK_.has_indirect_call, 0
	.section	.AMDGPU.csdata,"",@progbits
; Kernel info:
; codeLenInByte = 0
; TotalNumSgprs: 0
; NumVgprs: 0
; ScratchSize: 0
; MemoryBound: 0
; FloatMode: 240
; IeeeMode: 1
; LDSByteSize: 0 bytes/workgroup (compile time only)
; SGPRBlocks: 0
; VGPRBlocks: 0
; NumSGPRsForWavesPerEU: 1
; NumVGPRsForWavesPerEU: 1
; NamedBarCnt: 0
; Occupancy: 16
; WaveLimiterHint : 0
; COMPUTE_PGM_RSRC2:SCRATCH_EN: 0
; COMPUTE_PGM_RSRC2:USER_SGPR: 2
; COMPUTE_PGM_RSRC2:TRAP_HANDLER: 0
; COMPUTE_PGM_RSRC2:TGID_X_EN: 1
; COMPUTE_PGM_RSRC2:TGID_Y_EN: 0
; COMPUTE_PGM_RSRC2:TGID_Z_EN: 0
; COMPUTE_PGM_RSRC2:TIDIG_COMP_CNT: 0
	.section	.text._ZN7rocprim17ROCPRIM_400000_NS6detail17trampoline_kernelINS0_14default_configENS1_36segmented_radix_sort_config_selectorIflEEZNS1_25segmented_radix_sort_implIS3_Lb0EPKfPfPKlPlN2at6native12_GLOBAL__N_18offset_tEEE10hipError_tPvRmT1_PNSt15iterator_traitsISK_E10value_typeET2_T3_PNSL_ISQ_E10value_typeET4_jRbjT5_SW_jjP12ihipStream_tbEUlT_E0_NS1_11comp_targetILNS1_3genE8ELNS1_11target_archE1030ELNS1_3gpuE2ELNS1_3repE0EEENS1_60segmented_radix_sort_warp_sort_medium_config_static_selectorELNS0_4arch9wavefront6targetE0EEEvSK_,"axG",@progbits,_ZN7rocprim17ROCPRIM_400000_NS6detail17trampoline_kernelINS0_14default_configENS1_36segmented_radix_sort_config_selectorIflEEZNS1_25segmented_radix_sort_implIS3_Lb0EPKfPfPKlPlN2at6native12_GLOBAL__N_18offset_tEEE10hipError_tPvRmT1_PNSt15iterator_traitsISK_E10value_typeET2_T3_PNSL_ISQ_E10value_typeET4_jRbjT5_SW_jjP12ihipStream_tbEUlT_E0_NS1_11comp_targetILNS1_3genE8ELNS1_11target_archE1030ELNS1_3gpuE2ELNS1_3repE0EEENS1_60segmented_radix_sort_warp_sort_medium_config_static_selectorELNS0_4arch9wavefront6targetE0EEEvSK_,comdat
	.globl	_ZN7rocprim17ROCPRIM_400000_NS6detail17trampoline_kernelINS0_14default_configENS1_36segmented_radix_sort_config_selectorIflEEZNS1_25segmented_radix_sort_implIS3_Lb0EPKfPfPKlPlN2at6native12_GLOBAL__N_18offset_tEEE10hipError_tPvRmT1_PNSt15iterator_traitsISK_E10value_typeET2_T3_PNSL_ISQ_E10value_typeET4_jRbjT5_SW_jjP12ihipStream_tbEUlT_E0_NS1_11comp_targetILNS1_3genE8ELNS1_11target_archE1030ELNS1_3gpuE2ELNS1_3repE0EEENS1_60segmented_radix_sort_warp_sort_medium_config_static_selectorELNS0_4arch9wavefront6targetE0EEEvSK_ ; -- Begin function _ZN7rocprim17ROCPRIM_400000_NS6detail17trampoline_kernelINS0_14default_configENS1_36segmented_radix_sort_config_selectorIflEEZNS1_25segmented_radix_sort_implIS3_Lb0EPKfPfPKlPlN2at6native12_GLOBAL__N_18offset_tEEE10hipError_tPvRmT1_PNSt15iterator_traitsISK_E10value_typeET2_T3_PNSL_ISQ_E10value_typeET4_jRbjT5_SW_jjP12ihipStream_tbEUlT_E0_NS1_11comp_targetILNS1_3genE8ELNS1_11target_archE1030ELNS1_3gpuE2ELNS1_3repE0EEENS1_60segmented_radix_sort_warp_sort_medium_config_static_selectorELNS0_4arch9wavefront6targetE0EEEvSK_
	.p2align	8
	.type	_ZN7rocprim17ROCPRIM_400000_NS6detail17trampoline_kernelINS0_14default_configENS1_36segmented_radix_sort_config_selectorIflEEZNS1_25segmented_radix_sort_implIS3_Lb0EPKfPfPKlPlN2at6native12_GLOBAL__N_18offset_tEEE10hipError_tPvRmT1_PNSt15iterator_traitsISK_E10value_typeET2_T3_PNSL_ISQ_E10value_typeET4_jRbjT5_SW_jjP12ihipStream_tbEUlT_E0_NS1_11comp_targetILNS1_3genE8ELNS1_11target_archE1030ELNS1_3gpuE2ELNS1_3repE0EEENS1_60segmented_radix_sort_warp_sort_medium_config_static_selectorELNS0_4arch9wavefront6targetE0EEEvSK_,@function
_ZN7rocprim17ROCPRIM_400000_NS6detail17trampoline_kernelINS0_14default_configENS1_36segmented_radix_sort_config_selectorIflEEZNS1_25segmented_radix_sort_implIS3_Lb0EPKfPfPKlPlN2at6native12_GLOBAL__N_18offset_tEEE10hipError_tPvRmT1_PNSt15iterator_traitsISK_E10value_typeET2_T3_PNSL_ISQ_E10value_typeET4_jRbjT5_SW_jjP12ihipStream_tbEUlT_E0_NS1_11comp_targetILNS1_3genE8ELNS1_11target_archE1030ELNS1_3gpuE2ELNS1_3repE0EEENS1_60segmented_radix_sort_warp_sort_medium_config_static_selectorELNS0_4arch9wavefront6targetE0EEEvSK_: ; @_ZN7rocprim17ROCPRIM_400000_NS6detail17trampoline_kernelINS0_14default_configENS1_36segmented_radix_sort_config_selectorIflEEZNS1_25segmented_radix_sort_implIS3_Lb0EPKfPfPKlPlN2at6native12_GLOBAL__N_18offset_tEEE10hipError_tPvRmT1_PNSt15iterator_traitsISK_E10value_typeET2_T3_PNSL_ISQ_E10value_typeET4_jRbjT5_SW_jjP12ihipStream_tbEUlT_E0_NS1_11comp_targetILNS1_3genE8ELNS1_11target_archE1030ELNS1_3gpuE2ELNS1_3repE0EEENS1_60segmented_radix_sort_warp_sort_medium_config_static_selectorELNS0_4arch9wavefront6targetE0EEEvSK_
; %bb.0:
	.section	.rodata,"a",@progbits
	.p2align	6, 0x0
	.amdhsa_kernel _ZN7rocprim17ROCPRIM_400000_NS6detail17trampoline_kernelINS0_14default_configENS1_36segmented_radix_sort_config_selectorIflEEZNS1_25segmented_radix_sort_implIS3_Lb0EPKfPfPKlPlN2at6native12_GLOBAL__N_18offset_tEEE10hipError_tPvRmT1_PNSt15iterator_traitsISK_E10value_typeET2_T3_PNSL_ISQ_E10value_typeET4_jRbjT5_SW_jjP12ihipStream_tbEUlT_E0_NS1_11comp_targetILNS1_3genE8ELNS1_11target_archE1030ELNS1_3gpuE2ELNS1_3repE0EEENS1_60segmented_radix_sort_warp_sort_medium_config_static_selectorELNS0_4arch9wavefront6targetE0EEEvSK_
		.amdhsa_group_segment_fixed_size 0
		.amdhsa_private_segment_fixed_size 0
		.amdhsa_kernarg_size 88
		.amdhsa_user_sgpr_count 2
		.amdhsa_user_sgpr_dispatch_ptr 0
		.amdhsa_user_sgpr_queue_ptr 0
		.amdhsa_user_sgpr_kernarg_segment_ptr 1
		.amdhsa_user_sgpr_dispatch_id 0
		.amdhsa_user_sgpr_kernarg_preload_length 0
		.amdhsa_user_sgpr_kernarg_preload_offset 0
		.amdhsa_user_sgpr_private_segment_size 0
		.amdhsa_wavefront_size32 1
		.amdhsa_uses_dynamic_stack 0
		.amdhsa_enable_private_segment 0
		.amdhsa_system_sgpr_workgroup_id_x 1
		.amdhsa_system_sgpr_workgroup_id_y 0
		.amdhsa_system_sgpr_workgroup_id_z 0
		.amdhsa_system_sgpr_workgroup_info 0
		.amdhsa_system_vgpr_workitem_id 0
		.amdhsa_next_free_vgpr 1
		.amdhsa_next_free_sgpr 1
		.amdhsa_named_barrier_count 0
		.amdhsa_reserve_vcc 0
		.amdhsa_float_round_mode_32 0
		.amdhsa_float_round_mode_16_64 0
		.amdhsa_float_denorm_mode_32 3
		.amdhsa_float_denorm_mode_16_64 3
		.amdhsa_fp16_overflow 0
		.amdhsa_memory_ordered 1
		.amdhsa_forward_progress 1
		.amdhsa_inst_pref_size 0
		.amdhsa_round_robin_scheduling 0
		.amdhsa_exception_fp_ieee_invalid_op 0
		.amdhsa_exception_fp_denorm_src 0
		.amdhsa_exception_fp_ieee_div_zero 0
		.amdhsa_exception_fp_ieee_overflow 0
		.amdhsa_exception_fp_ieee_underflow 0
		.amdhsa_exception_fp_ieee_inexact 0
		.amdhsa_exception_int_div_zero 0
	.end_amdhsa_kernel
	.section	.text._ZN7rocprim17ROCPRIM_400000_NS6detail17trampoline_kernelINS0_14default_configENS1_36segmented_radix_sort_config_selectorIflEEZNS1_25segmented_radix_sort_implIS3_Lb0EPKfPfPKlPlN2at6native12_GLOBAL__N_18offset_tEEE10hipError_tPvRmT1_PNSt15iterator_traitsISK_E10value_typeET2_T3_PNSL_ISQ_E10value_typeET4_jRbjT5_SW_jjP12ihipStream_tbEUlT_E0_NS1_11comp_targetILNS1_3genE8ELNS1_11target_archE1030ELNS1_3gpuE2ELNS1_3repE0EEENS1_60segmented_radix_sort_warp_sort_medium_config_static_selectorELNS0_4arch9wavefront6targetE0EEEvSK_,"axG",@progbits,_ZN7rocprim17ROCPRIM_400000_NS6detail17trampoline_kernelINS0_14default_configENS1_36segmented_radix_sort_config_selectorIflEEZNS1_25segmented_radix_sort_implIS3_Lb0EPKfPfPKlPlN2at6native12_GLOBAL__N_18offset_tEEE10hipError_tPvRmT1_PNSt15iterator_traitsISK_E10value_typeET2_T3_PNSL_ISQ_E10value_typeET4_jRbjT5_SW_jjP12ihipStream_tbEUlT_E0_NS1_11comp_targetILNS1_3genE8ELNS1_11target_archE1030ELNS1_3gpuE2ELNS1_3repE0EEENS1_60segmented_radix_sort_warp_sort_medium_config_static_selectorELNS0_4arch9wavefront6targetE0EEEvSK_,comdat
.Lfunc_end1440:
	.size	_ZN7rocprim17ROCPRIM_400000_NS6detail17trampoline_kernelINS0_14default_configENS1_36segmented_radix_sort_config_selectorIflEEZNS1_25segmented_radix_sort_implIS3_Lb0EPKfPfPKlPlN2at6native12_GLOBAL__N_18offset_tEEE10hipError_tPvRmT1_PNSt15iterator_traitsISK_E10value_typeET2_T3_PNSL_ISQ_E10value_typeET4_jRbjT5_SW_jjP12ihipStream_tbEUlT_E0_NS1_11comp_targetILNS1_3genE8ELNS1_11target_archE1030ELNS1_3gpuE2ELNS1_3repE0EEENS1_60segmented_radix_sort_warp_sort_medium_config_static_selectorELNS0_4arch9wavefront6targetE0EEEvSK_, .Lfunc_end1440-_ZN7rocprim17ROCPRIM_400000_NS6detail17trampoline_kernelINS0_14default_configENS1_36segmented_radix_sort_config_selectorIflEEZNS1_25segmented_radix_sort_implIS3_Lb0EPKfPfPKlPlN2at6native12_GLOBAL__N_18offset_tEEE10hipError_tPvRmT1_PNSt15iterator_traitsISK_E10value_typeET2_T3_PNSL_ISQ_E10value_typeET4_jRbjT5_SW_jjP12ihipStream_tbEUlT_E0_NS1_11comp_targetILNS1_3genE8ELNS1_11target_archE1030ELNS1_3gpuE2ELNS1_3repE0EEENS1_60segmented_radix_sort_warp_sort_medium_config_static_selectorELNS0_4arch9wavefront6targetE0EEEvSK_
                                        ; -- End function
	.set _ZN7rocprim17ROCPRIM_400000_NS6detail17trampoline_kernelINS0_14default_configENS1_36segmented_radix_sort_config_selectorIflEEZNS1_25segmented_radix_sort_implIS3_Lb0EPKfPfPKlPlN2at6native12_GLOBAL__N_18offset_tEEE10hipError_tPvRmT1_PNSt15iterator_traitsISK_E10value_typeET2_T3_PNSL_ISQ_E10value_typeET4_jRbjT5_SW_jjP12ihipStream_tbEUlT_E0_NS1_11comp_targetILNS1_3genE8ELNS1_11target_archE1030ELNS1_3gpuE2ELNS1_3repE0EEENS1_60segmented_radix_sort_warp_sort_medium_config_static_selectorELNS0_4arch9wavefront6targetE0EEEvSK_.num_vgpr, 0
	.set _ZN7rocprim17ROCPRIM_400000_NS6detail17trampoline_kernelINS0_14default_configENS1_36segmented_radix_sort_config_selectorIflEEZNS1_25segmented_radix_sort_implIS3_Lb0EPKfPfPKlPlN2at6native12_GLOBAL__N_18offset_tEEE10hipError_tPvRmT1_PNSt15iterator_traitsISK_E10value_typeET2_T3_PNSL_ISQ_E10value_typeET4_jRbjT5_SW_jjP12ihipStream_tbEUlT_E0_NS1_11comp_targetILNS1_3genE8ELNS1_11target_archE1030ELNS1_3gpuE2ELNS1_3repE0EEENS1_60segmented_radix_sort_warp_sort_medium_config_static_selectorELNS0_4arch9wavefront6targetE0EEEvSK_.num_agpr, 0
	.set _ZN7rocprim17ROCPRIM_400000_NS6detail17trampoline_kernelINS0_14default_configENS1_36segmented_radix_sort_config_selectorIflEEZNS1_25segmented_radix_sort_implIS3_Lb0EPKfPfPKlPlN2at6native12_GLOBAL__N_18offset_tEEE10hipError_tPvRmT1_PNSt15iterator_traitsISK_E10value_typeET2_T3_PNSL_ISQ_E10value_typeET4_jRbjT5_SW_jjP12ihipStream_tbEUlT_E0_NS1_11comp_targetILNS1_3genE8ELNS1_11target_archE1030ELNS1_3gpuE2ELNS1_3repE0EEENS1_60segmented_radix_sort_warp_sort_medium_config_static_selectorELNS0_4arch9wavefront6targetE0EEEvSK_.numbered_sgpr, 0
	.set _ZN7rocprim17ROCPRIM_400000_NS6detail17trampoline_kernelINS0_14default_configENS1_36segmented_radix_sort_config_selectorIflEEZNS1_25segmented_radix_sort_implIS3_Lb0EPKfPfPKlPlN2at6native12_GLOBAL__N_18offset_tEEE10hipError_tPvRmT1_PNSt15iterator_traitsISK_E10value_typeET2_T3_PNSL_ISQ_E10value_typeET4_jRbjT5_SW_jjP12ihipStream_tbEUlT_E0_NS1_11comp_targetILNS1_3genE8ELNS1_11target_archE1030ELNS1_3gpuE2ELNS1_3repE0EEENS1_60segmented_radix_sort_warp_sort_medium_config_static_selectorELNS0_4arch9wavefront6targetE0EEEvSK_.num_named_barrier, 0
	.set _ZN7rocprim17ROCPRIM_400000_NS6detail17trampoline_kernelINS0_14default_configENS1_36segmented_radix_sort_config_selectorIflEEZNS1_25segmented_radix_sort_implIS3_Lb0EPKfPfPKlPlN2at6native12_GLOBAL__N_18offset_tEEE10hipError_tPvRmT1_PNSt15iterator_traitsISK_E10value_typeET2_T3_PNSL_ISQ_E10value_typeET4_jRbjT5_SW_jjP12ihipStream_tbEUlT_E0_NS1_11comp_targetILNS1_3genE8ELNS1_11target_archE1030ELNS1_3gpuE2ELNS1_3repE0EEENS1_60segmented_radix_sort_warp_sort_medium_config_static_selectorELNS0_4arch9wavefront6targetE0EEEvSK_.private_seg_size, 0
	.set _ZN7rocprim17ROCPRIM_400000_NS6detail17trampoline_kernelINS0_14default_configENS1_36segmented_radix_sort_config_selectorIflEEZNS1_25segmented_radix_sort_implIS3_Lb0EPKfPfPKlPlN2at6native12_GLOBAL__N_18offset_tEEE10hipError_tPvRmT1_PNSt15iterator_traitsISK_E10value_typeET2_T3_PNSL_ISQ_E10value_typeET4_jRbjT5_SW_jjP12ihipStream_tbEUlT_E0_NS1_11comp_targetILNS1_3genE8ELNS1_11target_archE1030ELNS1_3gpuE2ELNS1_3repE0EEENS1_60segmented_radix_sort_warp_sort_medium_config_static_selectorELNS0_4arch9wavefront6targetE0EEEvSK_.uses_vcc, 0
	.set _ZN7rocprim17ROCPRIM_400000_NS6detail17trampoline_kernelINS0_14default_configENS1_36segmented_radix_sort_config_selectorIflEEZNS1_25segmented_radix_sort_implIS3_Lb0EPKfPfPKlPlN2at6native12_GLOBAL__N_18offset_tEEE10hipError_tPvRmT1_PNSt15iterator_traitsISK_E10value_typeET2_T3_PNSL_ISQ_E10value_typeET4_jRbjT5_SW_jjP12ihipStream_tbEUlT_E0_NS1_11comp_targetILNS1_3genE8ELNS1_11target_archE1030ELNS1_3gpuE2ELNS1_3repE0EEENS1_60segmented_radix_sort_warp_sort_medium_config_static_selectorELNS0_4arch9wavefront6targetE0EEEvSK_.uses_flat_scratch, 0
	.set _ZN7rocprim17ROCPRIM_400000_NS6detail17trampoline_kernelINS0_14default_configENS1_36segmented_radix_sort_config_selectorIflEEZNS1_25segmented_radix_sort_implIS3_Lb0EPKfPfPKlPlN2at6native12_GLOBAL__N_18offset_tEEE10hipError_tPvRmT1_PNSt15iterator_traitsISK_E10value_typeET2_T3_PNSL_ISQ_E10value_typeET4_jRbjT5_SW_jjP12ihipStream_tbEUlT_E0_NS1_11comp_targetILNS1_3genE8ELNS1_11target_archE1030ELNS1_3gpuE2ELNS1_3repE0EEENS1_60segmented_radix_sort_warp_sort_medium_config_static_selectorELNS0_4arch9wavefront6targetE0EEEvSK_.has_dyn_sized_stack, 0
	.set _ZN7rocprim17ROCPRIM_400000_NS6detail17trampoline_kernelINS0_14default_configENS1_36segmented_radix_sort_config_selectorIflEEZNS1_25segmented_radix_sort_implIS3_Lb0EPKfPfPKlPlN2at6native12_GLOBAL__N_18offset_tEEE10hipError_tPvRmT1_PNSt15iterator_traitsISK_E10value_typeET2_T3_PNSL_ISQ_E10value_typeET4_jRbjT5_SW_jjP12ihipStream_tbEUlT_E0_NS1_11comp_targetILNS1_3genE8ELNS1_11target_archE1030ELNS1_3gpuE2ELNS1_3repE0EEENS1_60segmented_radix_sort_warp_sort_medium_config_static_selectorELNS0_4arch9wavefront6targetE0EEEvSK_.has_recursion, 0
	.set _ZN7rocprim17ROCPRIM_400000_NS6detail17trampoline_kernelINS0_14default_configENS1_36segmented_radix_sort_config_selectorIflEEZNS1_25segmented_radix_sort_implIS3_Lb0EPKfPfPKlPlN2at6native12_GLOBAL__N_18offset_tEEE10hipError_tPvRmT1_PNSt15iterator_traitsISK_E10value_typeET2_T3_PNSL_ISQ_E10value_typeET4_jRbjT5_SW_jjP12ihipStream_tbEUlT_E0_NS1_11comp_targetILNS1_3genE8ELNS1_11target_archE1030ELNS1_3gpuE2ELNS1_3repE0EEENS1_60segmented_radix_sort_warp_sort_medium_config_static_selectorELNS0_4arch9wavefront6targetE0EEEvSK_.has_indirect_call, 0
	.section	.AMDGPU.csdata,"",@progbits
; Kernel info:
; codeLenInByte = 0
; TotalNumSgprs: 0
; NumVgprs: 0
; ScratchSize: 0
; MemoryBound: 0
; FloatMode: 240
; IeeeMode: 1
; LDSByteSize: 0 bytes/workgroup (compile time only)
; SGPRBlocks: 0
; VGPRBlocks: 0
; NumSGPRsForWavesPerEU: 1
; NumVGPRsForWavesPerEU: 1
; NamedBarCnt: 0
; Occupancy: 16
; WaveLimiterHint : 0
; COMPUTE_PGM_RSRC2:SCRATCH_EN: 0
; COMPUTE_PGM_RSRC2:USER_SGPR: 2
; COMPUTE_PGM_RSRC2:TRAP_HANDLER: 0
; COMPUTE_PGM_RSRC2:TGID_X_EN: 1
; COMPUTE_PGM_RSRC2:TGID_Y_EN: 0
; COMPUTE_PGM_RSRC2:TGID_Z_EN: 0
; COMPUTE_PGM_RSRC2:TIDIG_COMP_CNT: 0
	.section	.text._ZN7rocprim17ROCPRIM_400000_NS6detail17trampoline_kernelINS0_14default_configENS1_36segmented_radix_sort_config_selectorIflEEZNS1_25segmented_radix_sort_implIS3_Lb0EPKfPfPKlPlN2at6native12_GLOBAL__N_18offset_tEEE10hipError_tPvRmT1_PNSt15iterator_traitsISK_E10value_typeET2_T3_PNSL_ISQ_E10value_typeET4_jRbjT5_SW_jjP12ihipStream_tbEUlT_E1_NS1_11comp_targetILNS1_3genE0ELNS1_11target_archE4294967295ELNS1_3gpuE0ELNS1_3repE0EEENS1_59segmented_radix_sort_warp_sort_small_config_static_selectorELNS0_4arch9wavefront6targetE0EEEvSK_,"axG",@progbits,_ZN7rocprim17ROCPRIM_400000_NS6detail17trampoline_kernelINS0_14default_configENS1_36segmented_radix_sort_config_selectorIflEEZNS1_25segmented_radix_sort_implIS3_Lb0EPKfPfPKlPlN2at6native12_GLOBAL__N_18offset_tEEE10hipError_tPvRmT1_PNSt15iterator_traitsISK_E10value_typeET2_T3_PNSL_ISQ_E10value_typeET4_jRbjT5_SW_jjP12ihipStream_tbEUlT_E1_NS1_11comp_targetILNS1_3genE0ELNS1_11target_archE4294967295ELNS1_3gpuE0ELNS1_3repE0EEENS1_59segmented_radix_sort_warp_sort_small_config_static_selectorELNS0_4arch9wavefront6targetE0EEEvSK_,comdat
	.globl	_ZN7rocprim17ROCPRIM_400000_NS6detail17trampoline_kernelINS0_14default_configENS1_36segmented_radix_sort_config_selectorIflEEZNS1_25segmented_radix_sort_implIS3_Lb0EPKfPfPKlPlN2at6native12_GLOBAL__N_18offset_tEEE10hipError_tPvRmT1_PNSt15iterator_traitsISK_E10value_typeET2_T3_PNSL_ISQ_E10value_typeET4_jRbjT5_SW_jjP12ihipStream_tbEUlT_E1_NS1_11comp_targetILNS1_3genE0ELNS1_11target_archE4294967295ELNS1_3gpuE0ELNS1_3repE0EEENS1_59segmented_radix_sort_warp_sort_small_config_static_selectorELNS0_4arch9wavefront6targetE0EEEvSK_ ; -- Begin function _ZN7rocprim17ROCPRIM_400000_NS6detail17trampoline_kernelINS0_14default_configENS1_36segmented_radix_sort_config_selectorIflEEZNS1_25segmented_radix_sort_implIS3_Lb0EPKfPfPKlPlN2at6native12_GLOBAL__N_18offset_tEEE10hipError_tPvRmT1_PNSt15iterator_traitsISK_E10value_typeET2_T3_PNSL_ISQ_E10value_typeET4_jRbjT5_SW_jjP12ihipStream_tbEUlT_E1_NS1_11comp_targetILNS1_3genE0ELNS1_11target_archE4294967295ELNS1_3gpuE0ELNS1_3repE0EEENS1_59segmented_radix_sort_warp_sort_small_config_static_selectorELNS0_4arch9wavefront6targetE0EEEvSK_
	.p2align	8
	.type	_ZN7rocprim17ROCPRIM_400000_NS6detail17trampoline_kernelINS0_14default_configENS1_36segmented_radix_sort_config_selectorIflEEZNS1_25segmented_radix_sort_implIS3_Lb0EPKfPfPKlPlN2at6native12_GLOBAL__N_18offset_tEEE10hipError_tPvRmT1_PNSt15iterator_traitsISK_E10value_typeET2_T3_PNSL_ISQ_E10value_typeET4_jRbjT5_SW_jjP12ihipStream_tbEUlT_E1_NS1_11comp_targetILNS1_3genE0ELNS1_11target_archE4294967295ELNS1_3gpuE0ELNS1_3repE0EEENS1_59segmented_radix_sort_warp_sort_small_config_static_selectorELNS0_4arch9wavefront6targetE0EEEvSK_,@function
_ZN7rocprim17ROCPRIM_400000_NS6detail17trampoline_kernelINS0_14default_configENS1_36segmented_radix_sort_config_selectorIflEEZNS1_25segmented_radix_sort_implIS3_Lb0EPKfPfPKlPlN2at6native12_GLOBAL__N_18offset_tEEE10hipError_tPvRmT1_PNSt15iterator_traitsISK_E10value_typeET2_T3_PNSL_ISQ_E10value_typeET4_jRbjT5_SW_jjP12ihipStream_tbEUlT_E1_NS1_11comp_targetILNS1_3genE0ELNS1_11target_archE4294967295ELNS1_3gpuE0ELNS1_3repE0EEENS1_59segmented_radix_sort_warp_sort_small_config_static_selectorELNS0_4arch9wavefront6targetE0EEEvSK_: ; @_ZN7rocprim17ROCPRIM_400000_NS6detail17trampoline_kernelINS0_14default_configENS1_36segmented_radix_sort_config_selectorIflEEZNS1_25segmented_radix_sort_implIS3_Lb0EPKfPfPKlPlN2at6native12_GLOBAL__N_18offset_tEEE10hipError_tPvRmT1_PNSt15iterator_traitsISK_E10value_typeET2_T3_PNSL_ISQ_E10value_typeET4_jRbjT5_SW_jjP12ihipStream_tbEUlT_E1_NS1_11comp_targetILNS1_3genE0ELNS1_11target_archE4294967295ELNS1_3gpuE0ELNS1_3repE0EEENS1_59segmented_radix_sort_warp_sort_small_config_static_selectorELNS0_4arch9wavefront6targetE0EEEvSK_
; %bb.0:
	s_load_b32 s4, s[2:3], 0x64
	v_bfe_u32 v1, v0, 10, 10
	v_bfe_u32 v2, v0, 20, 10
	v_and_b32_e32 v3, 0x3ff, v0
	s_and_b32 s6, ttmp6, 15
	s_getreg_b32 s7, hwreg(HW_REG_IB_STS2, 6, 4)
	s_mov_b32 s32, 0
	s_wait_kmcnt 0x0
	s_lshr_b32 s5, s4, 16
	s_and_b32 s4, s4, 0xffff
	v_mad_u32_u24 v1, v2, s5, v1
	s_bfe_u32 s5, ttmp6, 0x4000c
	s_delay_alu instid0(SALU_CYCLE_1) | instskip(NEXT) | instid1(SALU_CYCLE_1)
	s_add_co_i32 s5, s5, 1
	s_mul_i32 s5, ttmp9, s5
	s_delay_alu instid0(VALU_DEP_1) | instskip(SKIP_4) | instid1(VALU_DEP_1)
	v_mad_u32 v1, v1, s4, v3
	s_load_b32 s4, s[2:3], 0x34
	s_add_co_i32 s6, s6, s5
	s_cmp_eq_u32 s7, 0
	s_cselect_b32 s5, ttmp9, s6
	v_lshrrev_b32_e32 v1, 5, v1
	s_delay_alu instid0(VALU_DEP_1) | instskip(SKIP_1) | instid1(VALU_DEP_1)
	v_lshl_add_u32 v2, s5, 3, v1
	s_wait_kmcnt 0x0
	v_cmp_gt_u32_e32 vcc_lo, s4, v2
	s_and_saveexec_b32 s4, vcc_lo
	s_cbranch_execz .LBB1441_6
; %bb.1:
	s_clause 0x1
	s_load_b64 s[8:9], s[2:3], 0x38
	s_load_b128 s[4:7], s[2:3], 0x40
	v_mov_b32_e32 v3, 0
	s_delay_alu instid0(VALU_DEP_1) | instskip(SKIP_1) | instid1(VALU_DEP_1)
	v_lshlrev_b64_e32 v[2:3], 2, v[2:3]
	s_wait_kmcnt 0x0
	v_sub_nc_u64_e32 v[2:3], s[8:9], v[2:3]
	global_load_b32 v1, v[2:3], off offset:-4
	s_wait_loadcnt 0x0
	v_dual_add_nc_u32 v2, s5, v1 :: v_dual_add_nc_u32 v1, s7, v1
	s_delay_alu instid0(VALU_DEP_1) | instskip(NEXT) | instid1(VALU_DEP_2)
	v_mul_lo_u32 v8, v2, s4
	v_mul_lo_u32 v40, v1, s6
	s_delay_alu instid0(VALU_DEP_1)
	v_cmp_gt_u32_e32 vcc_lo, v40, v8
	s_and_b32 exec_lo, exec_lo, vcc_lo
	s_cbranch_execz .LBB1441_6
; %bb.2:
	s_clause 0x2
	s_load_b32 s4, s[2:3], 0x30
	s_load_b128 s[24:27], s[2:3], 0x20
	s_load_b256 s[16:23], s[2:3], 0x0
	s_add_nc_u64 s[14:15], s[2:3], 0x58
	s_get_pc_i64 s[28:29]
	s_add_nc_u64 s[28:29], s[28:29], _ZN7rocprim17ROCPRIM_400000_NS6detail26segmented_warp_sort_helperINS1_20WarpSortHelperConfigILj32ELj4ELj256EEEflLi256ELb0EvE4sortIPKfPfPKlPlEEvT_T0_T1_T2_jjjjRNS5_12storage_typeE@rel64+4
	s_wait_kmcnt 0x0
	s_bitcmp0_b32 s4, 0
	s_mov_b32 s4, -1
	s_cbranch_scc0 .LBB1441_4
; %bb.3:
	s_mov_b64 s[2:3], src_shared_base
	v_dual_mov_b32 v31, v0 :: v_dual_mov_b32 v41, v0
	v_dual_mov_b32 v0, s16 :: v_dual_mov_b32 v1, s17
	;; [unrolled: 1-line block ×6, first 2 shown]
	v_mov_b32_e32 v11, s3
	s_mov_b64 s[6:7], s[0:1]
	s_mov_b64 s[8:9], s[14:15]
	;; [unrolled: 1-line block ×3, first 2 shown]
	s_swap_pc_i64 s[30:31], s[28:29]
	v_mov_b32_e32 v0, v41
	s_mov_b64 s[0:1], s[18:19]
	s_mov_b32 s4, 0
.LBB1441_4:
	s_delay_alu instid0(SALU_CYCLE_1)
	s_and_not1_b32 vcc_lo, exec_lo, s4
	s_cbranch_vccnz .LBB1441_6
; %bb.5:
	s_mov_b64 s[2:3], src_shared_base
	v_dual_mov_b32 v31, v0 :: v_dual_mov_b32 v0, s16
	v_dual_mov_b32 v1, s17 :: v_dual_mov_b32 v2, s20
	;; [unrolled: 1-line block ×6, first 2 shown]
	s_mov_b64 s[6:7], s[0:1]
	s_mov_b64 s[8:9], s[14:15]
	s_swap_pc_i64 s[30:31], s[28:29]
.LBB1441_6:
	s_endpgm
	.section	.rodata,"a",@progbits
	.p2align	6, 0x0
	.amdhsa_kernel _ZN7rocprim17ROCPRIM_400000_NS6detail17trampoline_kernelINS0_14default_configENS1_36segmented_radix_sort_config_selectorIflEEZNS1_25segmented_radix_sort_implIS3_Lb0EPKfPfPKlPlN2at6native12_GLOBAL__N_18offset_tEEE10hipError_tPvRmT1_PNSt15iterator_traitsISK_E10value_typeET2_T3_PNSL_ISQ_E10value_typeET4_jRbjT5_SW_jjP12ihipStream_tbEUlT_E1_NS1_11comp_targetILNS1_3genE0ELNS1_11target_archE4294967295ELNS1_3gpuE0ELNS1_3repE0EEENS1_59segmented_radix_sort_warp_sort_small_config_static_selectorELNS0_4arch9wavefront6targetE0EEEvSK_
		.amdhsa_group_segment_fixed_size 12288
		.amdhsa_private_segment_fixed_size 0
		.amdhsa_kernarg_size 344
		.amdhsa_user_sgpr_count 4
		.amdhsa_user_sgpr_dispatch_ptr 0
		.amdhsa_user_sgpr_queue_ptr 1
		.amdhsa_user_sgpr_kernarg_segment_ptr 1
		.amdhsa_user_sgpr_dispatch_id 0
		.amdhsa_user_sgpr_kernarg_preload_length 0
		.amdhsa_user_sgpr_kernarg_preload_offset 0
		.amdhsa_user_sgpr_private_segment_size 0
		.amdhsa_wavefront_size32 1
		.amdhsa_uses_dynamic_stack 0
		.amdhsa_enable_private_segment 0
		.amdhsa_system_sgpr_workgroup_id_x 1
		.amdhsa_system_sgpr_workgroup_id_y 1
		.amdhsa_system_sgpr_workgroup_id_z 0
		.amdhsa_system_sgpr_workgroup_info 0
		.amdhsa_system_vgpr_workitem_id 2
		.amdhsa_next_free_vgpr 72
		.amdhsa_next_free_sgpr 33
		.amdhsa_named_barrier_count 0
		.amdhsa_reserve_vcc 1
		.amdhsa_float_round_mode_32 0
		.amdhsa_float_round_mode_16_64 0
		.amdhsa_float_denorm_mode_32 3
		.amdhsa_float_denorm_mode_16_64 3
		.amdhsa_fp16_overflow 0
		.amdhsa_memory_ordered 1
		.amdhsa_forward_progress 1
		.amdhsa_inst_pref_size 4
		.amdhsa_round_robin_scheduling 0
		.amdhsa_exception_fp_ieee_invalid_op 0
		.amdhsa_exception_fp_denorm_src 0
		.amdhsa_exception_fp_ieee_div_zero 0
		.amdhsa_exception_fp_ieee_overflow 0
		.amdhsa_exception_fp_ieee_underflow 0
		.amdhsa_exception_fp_ieee_inexact 0
		.amdhsa_exception_int_div_zero 0
	.end_amdhsa_kernel
	.section	.text._ZN7rocprim17ROCPRIM_400000_NS6detail17trampoline_kernelINS0_14default_configENS1_36segmented_radix_sort_config_selectorIflEEZNS1_25segmented_radix_sort_implIS3_Lb0EPKfPfPKlPlN2at6native12_GLOBAL__N_18offset_tEEE10hipError_tPvRmT1_PNSt15iterator_traitsISK_E10value_typeET2_T3_PNSL_ISQ_E10value_typeET4_jRbjT5_SW_jjP12ihipStream_tbEUlT_E1_NS1_11comp_targetILNS1_3genE0ELNS1_11target_archE4294967295ELNS1_3gpuE0ELNS1_3repE0EEENS1_59segmented_radix_sort_warp_sort_small_config_static_selectorELNS0_4arch9wavefront6targetE0EEEvSK_,"axG",@progbits,_ZN7rocprim17ROCPRIM_400000_NS6detail17trampoline_kernelINS0_14default_configENS1_36segmented_radix_sort_config_selectorIflEEZNS1_25segmented_radix_sort_implIS3_Lb0EPKfPfPKlPlN2at6native12_GLOBAL__N_18offset_tEEE10hipError_tPvRmT1_PNSt15iterator_traitsISK_E10value_typeET2_T3_PNSL_ISQ_E10value_typeET4_jRbjT5_SW_jjP12ihipStream_tbEUlT_E1_NS1_11comp_targetILNS1_3genE0ELNS1_11target_archE4294967295ELNS1_3gpuE0ELNS1_3repE0EEENS1_59segmented_radix_sort_warp_sort_small_config_static_selectorELNS0_4arch9wavefront6targetE0EEEvSK_,comdat
.Lfunc_end1441:
	.size	_ZN7rocprim17ROCPRIM_400000_NS6detail17trampoline_kernelINS0_14default_configENS1_36segmented_radix_sort_config_selectorIflEEZNS1_25segmented_radix_sort_implIS3_Lb0EPKfPfPKlPlN2at6native12_GLOBAL__N_18offset_tEEE10hipError_tPvRmT1_PNSt15iterator_traitsISK_E10value_typeET2_T3_PNSL_ISQ_E10value_typeET4_jRbjT5_SW_jjP12ihipStream_tbEUlT_E1_NS1_11comp_targetILNS1_3genE0ELNS1_11target_archE4294967295ELNS1_3gpuE0ELNS1_3repE0EEENS1_59segmented_radix_sort_warp_sort_small_config_static_selectorELNS0_4arch9wavefront6targetE0EEEvSK_, .Lfunc_end1441-_ZN7rocprim17ROCPRIM_400000_NS6detail17trampoline_kernelINS0_14default_configENS1_36segmented_radix_sort_config_selectorIflEEZNS1_25segmented_radix_sort_implIS3_Lb0EPKfPfPKlPlN2at6native12_GLOBAL__N_18offset_tEEE10hipError_tPvRmT1_PNSt15iterator_traitsISK_E10value_typeET2_T3_PNSL_ISQ_E10value_typeET4_jRbjT5_SW_jjP12ihipStream_tbEUlT_E1_NS1_11comp_targetILNS1_3genE0ELNS1_11target_archE4294967295ELNS1_3gpuE0ELNS1_3repE0EEENS1_59segmented_radix_sort_warp_sort_small_config_static_selectorELNS0_4arch9wavefront6targetE0EEEvSK_
                                        ; -- End function
	.set _ZN7rocprim17ROCPRIM_400000_NS6detail17trampoline_kernelINS0_14default_configENS1_36segmented_radix_sort_config_selectorIflEEZNS1_25segmented_radix_sort_implIS3_Lb0EPKfPfPKlPlN2at6native12_GLOBAL__N_18offset_tEEE10hipError_tPvRmT1_PNSt15iterator_traitsISK_E10value_typeET2_T3_PNSL_ISQ_E10value_typeET4_jRbjT5_SW_jjP12ihipStream_tbEUlT_E1_NS1_11comp_targetILNS1_3genE0ELNS1_11target_archE4294967295ELNS1_3gpuE0ELNS1_3repE0EEENS1_59segmented_radix_sort_warp_sort_small_config_static_selectorELNS0_4arch9wavefront6targetE0EEEvSK_.num_vgpr, max(42, .L_ZN7rocprim17ROCPRIM_400000_NS6detail26segmented_warp_sort_helperINS1_20WarpSortHelperConfigILj32ELj4ELj256EEEflLi256ELb0EvE4sortIPKfPfPKlPlEEvT_T0_T1_T2_jjjjRNS5_12storage_typeE.num_vgpr)
	.set _ZN7rocprim17ROCPRIM_400000_NS6detail17trampoline_kernelINS0_14default_configENS1_36segmented_radix_sort_config_selectorIflEEZNS1_25segmented_radix_sort_implIS3_Lb0EPKfPfPKlPlN2at6native12_GLOBAL__N_18offset_tEEE10hipError_tPvRmT1_PNSt15iterator_traitsISK_E10value_typeET2_T3_PNSL_ISQ_E10value_typeET4_jRbjT5_SW_jjP12ihipStream_tbEUlT_E1_NS1_11comp_targetILNS1_3genE0ELNS1_11target_archE4294967295ELNS1_3gpuE0ELNS1_3repE0EEENS1_59segmented_radix_sort_warp_sort_small_config_static_selectorELNS0_4arch9wavefront6targetE0EEEvSK_.num_agpr, max(0, .L_ZN7rocprim17ROCPRIM_400000_NS6detail26segmented_warp_sort_helperINS1_20WarpSortHelperConfigILj32ELj4ELj256EEEflLi256ELb0EvE4sortIPKfPfPKlPlEEvT_T0_T1_T2_jjjjRNS5_12storage_typeE.num_agpr)
	.set _ZN7rocprim17ROCPRIM_400000_NS6detail17trampoline_kernelINS0_14default_configENS1_36segmented_radix_sort_config_selectorIflEEZNS1_25segmented_radix_sort_implIS3_Lb0EPKfPfPKlPlN2at6native12_GLOBAL__N_18offset_tEEE10hipError_tPvRmT1_PNSt15iterator_traitsISK_E10value_typeET2_T3_PNSL_ISQ_E10value_typeET4_jRbjT5_SW_jjP12ihipStream_tbEUlT_E1_NS1_11comp_targetILNS1_3genE0ELNS1_11target_archE4294967295ELNS1_3gpuE0ELNS1_3repE0EEENS1_59segmented_radix_sort_warp_sort_small_config_static_selectorELNS0_4arch9wavefront6targetE0EEEvSK_.numbered_sgpr, max(33, .L_ZN7rocprim17ROCPRIM_400000_NS6detail26segmented_warp_sort_helperINS1_20WarpSortHelperConfigILj32ELj4ELj256EEEflLi256ELb0EvE4sortIPKfPfPKlPlEEvT_T0_T1_T2_jjjjRNS5_12storage_typeE.numbered_sgpr)
	.set _ZN7rocprim17ROCPRIM_400000_NS6detail17trampoline_kernelINS0_14default_configENS1_36segmented_radix_sort_config_selectorIflEEZNS1_25segmented_radix_sort_implIS3_Lb0EPKfPfPKlPlN2at6native12_GLOBAL__N_18offset_tEEE10hipError_tPvRmT1_PNSt15iterator_traitsISK_E10value_typeET2_T3_PNSL_ISQ_E10value_typeET4_jRbjT5_SW_jjP12ihipStream_tbEUlT_E1_NS1_11comp_targetILNS1_3genE0ELNS1_11target_archE4294967295ELNS1_3gpuE0ELNS1_3repE0EEENS1_59segmented_radix_sort_warp_sort_small_config_static_selectorELNS0_4arch9wavefront6targetE0EEEvSK_.num_named_barrier, max(0, .L_ZN7rocprim17ROCPRIM_400000_NS6detail26segmented_warp_sort_helperINS1_20WarpSortHelperConfigILj32ELj4ELj256EEEflLi256ELb0EvE4sortIPKfPfPKlPlEEvT_T0_T1_T2_jjjjRNS5_12storage_typeE.num_named_barrier)
	.set _ZN7rocprim17ROCPRIM_400000_NS6detail17trampoline_kernelINS0_14default_configENS1_36segmented_radix_sort_config_selectorIflEEZNS1_25segmented_radix_sort_implIS3_Lb0EPKfPfPKlPlN2at6native12_GLOBAL__N_18offset_tEEE10hipError_tPvRmT1_PNSt15iterator_traitsISK_E10value_typeET2_T3_PNSL_ISQ_E10value_typeET4_jRbjT5_SW_jjP12ihipStream_tbEUlT_E1_NS1_11comp_targetILNS1_3genE0ELNS1_11target_archE4294967295ELNS1_3gpuE0ELNS1_3repE0EEENS1_59segmented_radix_sort_warp_sort_small_config_static_selectorELNS0_4arch9wavefront6targetE0EEEvSK_.private_seg_size, 0+max(.L_ZN7rocprim17ROCPRIM_400000_NS6detail26segmented_warp_sort_helperINS1_20WarpSortHelperConfigILj32ELj4ELj256EEEflLi256ELb0EvE4sortIPKfPfPKlPlEEvT_T0_T1_T2_jjjjRNS5_12storage_typeE.private_seg_size)
	.set _ZN7rocprim17ROCPRIM_400000_NS6detail17trampoline_kernelINS0_14default_configENS1_36segmented_radix_sort_config_selectorIflEEZNS1_25segmented_radix_sort_implIS3_Lb0EPKfPfPKlPlN2at6native12_GLOBAL__N_18offset_tEEE10hipError_tPvRmT1_PNSt15iterator_traitsISK_E10value_typeET2_T3_PNSL_ISQ_E10value_typeET4_jRbjT5_SW_jjP12ihipStream_tbEUlT_E1_NS1_11comp_targetILNS1_3genE0ELNS1_11target_archE4294967295ELNS1_3gpuE0ELNS1_3repE0EEENS1_59segmented_radix_sort_warp_sort_small_config_static_selectorELNS0_4arch9wavefront6targetE0EEEvSK_.uses_vcc, or(1, .L_ZN7rocprim17ROCPRIM_400000_NS6detail26segmented_warp_sort_helperINS1_20WarpSortHelperConfigILj32ELj4ELj256EEEflLi256ELb0EvE4sortIPKfPfPKlPlEEvT_T0_T1_T2_jjjjRNS5_12storage_typeE.uses_vcc)
	.set _ZN7rocprim17ROCPRIM_400000_NS6detail17trampoline_kernelINS0_14default_configENS1_36segmented_radix_sort_config_selectorIflEEZNS1_25segmented_radix_sort_implIS3_Lb0EPKfPfPKlPlN2at6native12_GLOBAL__N_18offset_tEEE10hipError_tPvRmT1_PNSt15iterator_traitsISK_E10value_typeET2_T3_PNSL_ISQ_E10value_typeET4_jRbjT5_SW_jjP12ihipStream_tbEUlT_E1_NS1_11comp_targetILNS1_3genE0ELNS1_11target_archE4294967295ELNS1_3gpuE0ELNS1_3repE0EEENS1_59segmented_radix_sort_warp_sort_small_config_static_selectorELNS0_4arch9wavefront6targetE0EEEvSK_.uses_flat_scratch, or(0, .L_ZN7rocprim17ROCPRIM_400000_NS6detail26segmented_warp_sort_helperINS1_20WarpSortHelperConfigILj32ELj4ELj256EEEflLi256ELb0EvE4sortIPKfPfPKlPlEEvT_T0_T1_T2_jjjjRNS5_12storage_typeE.uses_flat_scratch)
	.set _ZN7rocprim17ROCPRIM_400000_NS6detail17trampoline_kernelINS0_14default_configENS1_36segmented_radix_sort_config_selectorIflEEZNS1_25segmented_radix_sort_implIS3_Lb0EPKfPfPKlPlN2at6native12_GLOBAL__N_18offset_tEEE10hipError_tPvRmT1_PNSt15iterator_traitsISK_E10value_typeET2_T3_PNSL_ISQ_E10value_typeET4_jRbjT5_SW_jjP12ihipStream_tbEUlT_E1_NS1_11comp_targetILNS1_3genE0ELNS1_11target_archE4294967295ELNS1_3gpuE0ELNS1_3repE0EEENS1_59segmented_radix_sort_warp_sort_small_config_static_selectorELNS0_4arch9wavefront6targetE0EEEvSK_.has_dyn_sized_stack, or(0, .L_ZN7rocprim17ROCPRIM_400000_NS6detail26segmented_warp_sort_helperINS1_20WarpSortHelperConfigILj32ELj4ELj256EEEflLi256ELb0EvE4sortIPKfPfPKlPlEEvT_T0_T1_T2_jjjjRNS5_12storage_typeE.has_dyn_sized_stack)
	.set _ZN7rocprim17ROCPRIM_400000_NS6detail17trampoline_kernelINS0_14default_configENS1_36segmented_radix_sort_config_selectorIflEEZNS1_25segmented_radix_sort_implIS3_Lb0EPKfPfPKlPlN2at6native12_GLOBAL__N_18offset_tEEE10hipError_tPvRmT1_PNSt15iterator_traitsISK_E10value_typeET2_T3_PNSL_ISQ_E10value_typeET4_jRbjT5_SW_jjP12ihipStream_tbEUlT_E1_NS1_11comp_targetILNS1_3genE0ELNS1_11target_archE4294967295ELNS1_3gpuE0ELNS1_3repE0EEENS1_59segmented_radix_sort_warp_sort_small_config_static_selectorELNS0_4arch9wavefront6targetE0EEEvSK_.has_recursion, or(0, .L_ZN7rocprim17ROCPRIM_400000_NS6detail26segmented_warp_sort_helperINS1_20WarpSortHelperConfigILj32ELj4ELj256EEEflLi256ELb0EvE4sortIPKfPfPKlPlEEvT_T0_T1_T2_jjjjRNS5_12storage_typeE.has_recursion)
	.set _ZN7rocprim17ROCPRIM_400000_NS6detail17trampoline_kernelINS0_14default_configENS1_36segmented_radix_sort_config_selectorIflEEZNS1_25segmented_radix_sort_implIS3_Lb0EPKfPfPKlPlN2at6native12_GLOBAL__N_18offset_tEEE10hipError_tPvRmT1_PNSt15iterator_traitsISK_E10value_typeET2_T3_PNSL_ISQ_E10value_typeET4_jRbjT5_SW_jjP12ihipStream_tbEUlT_E1_NS1_11comp_targetILNS1_3genE0ELNS1_11target_archE4294967295ELNS1_3gpuE0ELNS1_3repE0EEENS1_59segmented_radix_sort_warp_sort_small_config_static_selectorELNS0_4arch9wavefront6targetE0EEEvSK_.has_indirect_call, or(0, .L_ZN7rocprim17ROCPRIM_400000_NS6detail26segmented_warp_sort_helperINS1_20WarpSortHelperConfigILj32ELj4ELj256EEEflLi256ELb0EvE4sortIPKfPfPKlPlEEvT_T0_T1_T2_jjjjRNS5_12storage_typeE.has_indirect_call)
	.section	.AMDGPU.csdata,"",@progbits
; Kernel info:
; codeLenInByte = 496
; TotalNumSgprs: 35
; NumVgprs: 72
; ScratchSize: 0
; MemoryBound: 0
; FloatMode: 240
; IeeeMode: 1
; LDSByteSize: 12288 bytes/workgroup (compile time only)
; SGPRBlocks: 0
; VGPRBlocks: 4
; NumSGPRsForWavesPerEU: 35
; NumVGPRsForWavesPerEU: 72
; NamedBarCnt: 0
; Occupancy: 12
; WaveLimiterHint : 0
; COMPUTE_PGM_RSRC2:SCRATCH_EN: 0
; COMPUTE_PGM_RSRC2:USER_SGPR: 4
; COMPUTE_PGM_RSRC2:TRAP_HANDLER: 0
; COMPUTE_PGM_RSRC2:TGID_X_EN: 1
; COMPUTE_PGM_RSRC2:TGID_Y_EN: 1
; COMPUTE_PGM_RSRC2:TGID_Z_EN: 0
; COMPUTE_PGM_RSRC2:TIDIG_COMP_CNT: 2
	.section	.text._ZN7rocprim17ROCPRIM_400000_NS6detail17trampoline_kernelINS0_14default_configENS1_36segmented_radix_sort_config_selectorIflEEZNS1_25segmented_radix_sort_implIS3_Lb0EPKfPfPKlPlN2at6native12_GLOBAL__N_18offset_tEEE10hipError_tPvRmT1_PNSt15iterator_traitsISK_E10value_typeET2_T3_PNSL_ISQ_E10value_typeET4_jRbjT5_SW_jjP12ihipStream_tbEUlT_E1_NS1_11comp_targetILNS1_3genE5ELNS1_11target_archE942ELNS1_3gpuE9ELNS1_3repE0EEENS1_59segmented_radix_sort_warp_sort_small_config_static_selectorELNS0_4arch9wavefront6targetE0EEEvSK_,"axG",@progbits,_ZN7rocprim17ROCPRIM_400000_NS6detail17trampoline_kernelINS0_14default_configENS1_36segmented_radix_sort_config_selectorIflEEZNS1_25segmented_radix_sort_implIS3_Lb0EPKfPfPKlPlN2at6native12_GLOBAL__N_18offset_tEEE10hipError_tPvRmT1_PNSt15iterator_traitsISK_E10value_typeET2_T3_PNSL_ISQ_E10value_typeET4_jRbjT5_SW_jjP12ihipStream_tbEUlT_E1_NS1_11comp_targetILNS1_3genE5ELNS1_11target_archE942ELNS1_3gpuE9ELNS1_3repE0EEENS1_59segmented_radix_sort_warp_sort_small_config_static_selectorELNS0_4arch9wavefront6targetE0EEEvSK_,comdat
	.globl	_ZN7rocprim17ROCPRIM_400000_NS6detail17trampoline_kernelINS0_14default_configENS1_36segmented_radix_sort_config_selectorIflEEZNS1_25segmented_radix_sort_implIS3_Lb0EPKfPfPKlPlN2at6native12_GLOBAL__N_18offset_tEEE10hipError_tPvRmT1_PNSt15iterator_traitsISK_E10value_typeET2_T3_PNSL_ISQ_E10value_typeET4_jRbjT5_SW_jjP12ihipStream_tbEUlT_E1_NS1_11comp_targetILNS1_3genE5ELNS1_11target_archE942ELNS1_3gpuE9ELNS1_3repE0EEENS1_59segmented_radix_sort_warp_sort_small_config_static_selectorELNS0_4arch9wavefront6targetE0EEEvSK_ ; -- Begin function _ZN7rocprim17ROCPRIM_400000_NS6detail17trampoline_kernelINS0_14default_configENS1_36segmented_radix_sort_config_selectorIflEEZNS1_25segmented_radix_sort_implIS3_Lb0EPKfPfPKlPlN2at6native12_GLOBAL__N_18offset_tEEE10hipError_tPvRmT1_PNSt15iterator_traitsISK_E10value_typeET2_T3_PNSL_ISQ_E10value_typeET4_jRbjT5_SW_jjP12ihipStream_tbEUlT_E1_NS1_11comp_targetILNS1_3genE5ELNS1_11target_archE942ELNS1_3gpuE9ELNS1_3repE0EEENS1_59segmented_radix_sort_warp_sort_small_config_static_selectorELNS0_4arch9wavefront6targetE0EEEvSK_
	.p2align	8
	.type	_ZN7rocprim17ROCPRIM_400000_NS6detail17trampoline_kernelINS0_14default_configENS1_36segmented_radix_sort_config_selectorIflEEZNS1_25segmented_radix_sort_implIS3_Lb0EPKfPfPKlPlN2at6native12_GLOBAL__N_18offset_tEEE10hipError_tPvRmT1_PNSt15iterator_traitsISK_E10value_typeET2_T3_PNSL_ISQ_E10value_typeET4_jRbjT5_SW_jjP12ihipStream_tbEUlT_E1_NS1_11comp_targetILNS1_3genE5ELNS1_11target_archE942ELNS1_3gpuE9ELNS1_3repE0EEENS1_59segmented_radix_sort_warp_sort_small_config_static_selectorELNS0_4arch9wavefront6targetE0EEEvSK_,@function
_ZN7rocprim17ROCPRIM_400000_NS6detail17trampoline_kernelINS0_14default_configENS1_36segmented_radix_sort_config_selectorIflEEZNS1_25segmented_radix_sort_implIS3_Lb0EPKfPfPKlPlN2at6native12_GLOBAL__N_18offset_tEEE10hipError_tPvRmT1_PNSt15iterator_traitsISK_E10value_typeET2_T3_PNSL_ISQ_E10value_typeET4_jRbjT5_SW_jjP12ihipStream_tbEUlT_E1_NS1_11comp_targetILNS1_3genE5ELNS1_11target_archE942ELNS1_3gpuE9ELNS1_3repE0EEENS1_59segmented_radix_sort_warp_sort_small_config_static_selectorELNS0_4arch9wavefront6targetE0EEEvSK_: ; @_ZN7rocprim17ROCPRIM_400000_NS6detail17trampoline_kernelINS0_14default_configENS1_36segmented_radix_sort_config_selectorIflEEZNS1_25segmented_radix_sort_implIS3_Lb0EPKfPfPKlPlN2at6native12_GLOBAL__N_18offset_tEEE10hipError_tPvRmT1_PNSt15iterator_traitsISK_E10value_typeET2_T3_PNSL_ISQ_E10value_typeET4_jRbjT5_SW_jjP12ihipStream_tbEUlT_E1_NS1_11comp_targetILNS1_3genE5ELNS1_11target_archE942ELNS1_3gpuE9ELNS1_3repE0EEENS1_59segmented_radix_sort_warp_sort_small_config_static_selectorELNS0_4arch9wavefront6targetE0EEEvSK_
; %bb.0:
	.section	.rodata,"a",@progbits
	.p2align	6, 0x0
	.amdhsa_kernel _ZN7rocprim17ROCPRIM_400000_NS6detail17trampoline_kernelINS0_14default_configENS1_36segmented_radix_sort_config_selectorIflEEZNS1_25segmented_radix_sort_implIS3_Lb0EPKfPfPKlPlN2at6native12_GLOBAL__N_18offset_tEEE10hipError_tPvRmT1_PNSt15iterator_traitsISK_E10value_typeET2_T3_PNSL_ISQ_E10value_typeET4_jRbjT5_SW_jjP12ihipStream_tbEUlT_E1_NS1_11comp_targetILNS1_3genE5ELNS1_11target_archE942ELNS1_3gpuE9ELNS1_3repE0EEENS1_59segmented_radix_sort_warp_sort_small_config_static_selectorELNS0_4arch9wavefront6targetE0EEEvSK_
		.amdhsa_group_segment_fixed_size 0
		.amdhsa_private_segment_fixed_size 0
		.amdhsa_kernarg_size 88
		.amdhsa_user_sgpr_count 2
		.amdhsa_user_sgpr_dispatch_ptr 0
		.amdhsa_user_sgpr_queue_ptr 0
		.amdhsa_user_sgpr_kernarg_segment_ptr 1
		.amdhsa_user_sgpr_dispatch_id 0
		.amdhsa_user_sgpr_kernarg_preload_length 0
		.amdhsa_user_sgpr_kernarg_preload_offset 0
		.amdhsa_user_sgpr_private_segment_size 0
		.amdhsa_wavefront_size32 1
		.amdhsa_uses_dynamic_stack 0
		.amdhsa_enable_private_segment 0
		.amdhsa_system_sgpr_workgroup_id_x 1
		.amdhsa_system_sgpr_workgroup_id_y 0
		.amdhsa_system_sgpr_workgroup_id_z 0
		.amdhsa_system_sgpr_workgroup_info 0
		.amdhsa_system_vgpr_workitem_id 0
		.amdhsa_next_free_vgpr 1
		.amdhsa_next_free_sgpr 1
		.amdhsa_named_barrier_count 0
		.amdhsa_reserve_vcc 0
		.amdhsa_float_round_mode_32 0
		.amdhsa_float_round_mode_16_64 0
		.amdhsa_float_denorm_mode_32 3
		.amdhsa_float_denorm_mode_16_64 3
		.amdhsa_fp16_overflow 0
		.amdhsa_memory_ordered 1
		.amdhsa_forward_progress 1
		.amdhsa_inst_pref_size 0
		.amdhsa_round_robin_scheduling 0
		.amdhsa_exception_fp_ieee_invalid_op 0
		.amdhsa_exception_fp_denorm_src 0
		.amdhsa_exception_fp_ieee_div_zero 0
		.amdhsa_exception_fp_ieee_overflow 0
		.amdhsa_exception_fp_ieee_underflow 0
		.amdhsa_exception_fp_ieee_inexact 0
		.amdhsa_exception_int_div_zero 0
	.end_amdhsa_kernel
	.section	.text._ZN7rocprim17ROCPRIM_400000_NS6detail17trampoline_kernelINS0_14default_configENS1_36segmented_radix_sort_config_selectorIflEEZNS1_25segmented_radix_sort_implIS3_Lb0EPKfPfPKlPlN2at6native12_GLOBAL__N_18offset_tEEE10hipError_tPvRmT1_PNSt15iterator_traitsISK_E10value_typeET2_T3_PNSL_ISQ_E10value_typeET4_jRbjT5_SW_jjP12ihipStream_tbEUlT_E1_NS1_11comp_targetILNS1_3genE5ELNS1_11target_archE942ELNS1_3gpuE9ELNS1_3repE0EEENS1_59segmented_radix_sort_warp_sort_small_config_static_selectorELNS0_4arch9wavefront6targetE0EEEvSK_,"axG",@progbits,_ZN7rocprim17ROCPRIM_400000_NS6detail17trampoline_kernelINS0_14default_configENS1_36segmented_radix_sort_config_selectorIflEEZNS1_25segmented_radix_sort_implIS3_Lb0EPKfPfPKlPlN2at6native12_GLOBAL__N_18offset_tEEE10hipError_tPvRmT1_PNSt15iterator_traitsISK_E10value_typeET2_T3_PNSL_ISQ_E10value_typeET4_jRbjT5_SW_jjP12ihipStream_tbEUlT_E1_NS1_11comp_targetILNS1_3genE5ELNS1_11target_archE942ELNS1_3gpuE9ELNS1_3repE0EEENS1_59segmented_radix_sort_warp_sort_small_config_static_selectorELNS0_4arch9wavefront6targetE0EEEvSK_,comdat
.Lfunc_end1442:
	.size	_ZN7rocprim17ROCPRIM_400000_NS6detail17trampoline_kernelINS0_14default_configENS1_36segmented_radix_sort_config_selectorIflEEZNS1_25segmented_radix_sort_implIS3_Lb0EPKfPfPKlPlN2at6native12_GLOBAL__N_18offset_tEEE10hipError_tPvRmT1_PNSt15iterator_traitsISK_E10value_typeET2_T3_PNSL_ISQ_E10value_typeET4_jRbjT5_SW_jjP12ihipStream_tbEUlT_E1_NS1_11comp_targetILNS1_3genE5ELNS1_11target_archE942ELNS1_3gpuE9ELNS1_3repE0EEENS1_59segmented_radix_sort_warp_sort_small_config_static_selectorELNS0_4arch9wavefront6targetE0EEEvSK_, .Lfunc_end1442-_ZN7rocprim17ROCPRIM_400000_NS6detail17trampoline_kernelINS0_14default_configENS1_36segmented_radix_sort_config_selectorIflEEZNS1_25segmented_radix_sort_implIS3_Lb0EPKfPfPKlPlN2at6native12_GLOBAL__N_18offset_tEEE10hipError_tPvRmT1_PNSt15iterator_traitsISK_E10value_typeET2_T3_PNSL_ISQ_E10value_typeET4_jRbjT5_SW_jjP12ihipStream_tbEUlT_E1_NS1_11comp_targetILNS1_3genE5ELNS1_11target_archE942ELNS1_3gpuE9ELNS1_3repE0EEENS1_59segmented_radix_sort_warp_sort_small_config_static_selectorELNS0_4arch9wavefront6targetE0EEEvSK_
                                        ; -- End function
	.set _ZN7rocprim17ROCPRIM_400000_NS6detail17trampoline_kernelINS0_14default_configENS1_36segmented_radix_sort_config_selectorIflEEZNS1_25segmented_radix_sort_implIS3_Lb0EPKfPfPKlPlN2at6native12_GLOBAL__N_18offset_tEEE10hipError_tPvRmT1_PNSt15iterator_traitsISK_E10value_typeET2_T3_PNSL_ISQ_E10value_typeET4_jRbjT5_SW_jjP12ihipStream_tbEUlT_E1_NS1_11comp_targetILNS1_3genE5ELNS1_11target_archE942ELNS1_3gpuE9ELNS1_3repE0EEENS1_59segmented_radix_sort_warp_sort_small_config_static_selectorELNS0_4arch9wavefront6targetE0EEEvSK_.num_vgpr, 0
	.set _ZN7rocprim17ROCPRIM_400000_NS6detail17trampoline_kernelINS0_14default_configENS1_36segmented_radix_sort_config_selectorIflEEZNS1_25segmented_radix_sort_implIS3_Lb0EPKfPfPKlPlN2at6native12_GLOBAL__N_18offset_tEEE10hipError_tPvRmT1_PNSt15iterator_traitsISK_E10value_typeET2_T3_PNSL_ISQ_E10value_typeET4_jRbjT5_SW_jjP12ihipStream_tbEUlT_E1_NS1_11comp_targetILNS1_3genE5ELNS1_11target_archE942ELNS1_3gpuE9ELNS1_3repE0EEENS1_59segmented_radix_sort_warp_sort_small_config_static_selectorELNS0_4arch9wavefront6targetE0EEEvSK_.num_agpr, 0
	.set _ZN7rocprim17ROCPRIM_400000_NS6detail17trampoline_kernelINS0_14default_configENS1_36segmented_radix_sort_config_selectorIflEEZNS1_25segmented_radix_sort_implIS3_Lb0EPKfPfPKlPlN2at6native12_GLOBAL__N_18offset_tEEE10hipError_tPvRmT1_PNSt15iterator_traitsISK_E10value_typeET2_T3_PNSL_ISQ_E10value_typeET4_jRbjT5_SW_jjP12ihipStream_tbEUlT_E1_NS1_11comp_targetILNS1_3genE5ELNS1_11target_archE942ELNS1_3gpuE9ELNS1_3repE0EEENS1_59segmented_radix_sort_warp_sort_small_config_static_selectorELNS0_4arch9wavefront6targetE0EEEvSK_.numbered_sgpr, 0
	.set _ZN7rocprim17ROCPRIM_400000_NS6detail17trampoline_kernelINS0_14default_configENS1_36segmented_radix_sort_config_selectorIflEEZNS1_25segmented_radix_sort_implIS3_Lb0EPKfPfPKlPlN2at6native12_GLOBAL__N_18offset_tEEE10hipError_tPvRmT1_PNSt15iterator_traitsISK_E10value_typeET2_T3_PNSL_ISQ_E10value_typeET4_jRbjT5_SW_jjP12ihipStream_tbEUlT_E1_NS1_11comp_targetILNS1_3genE5ELNS1_11target_archE942ELNS1_3gpuE9ELNS1_3repE0EEENS1_59segmented_radix_sort_warp_sort_small_config_static_selectorELNS0_4arch9wavefront6targetE0EEEvSK_.num_named_barrier, 0
	.set _ZN7rocprim17ROCPRIM_400000_NS6detail17trampoline_kernelINS0_14default_configENS1_36segmented_radix_sort_config_selectorIflEEZNS1_25segmented_radix_sort_implIS3_Lb0EPKfPfPKlPlN2at6native12_GLOBAL__N_18offset_tEEE10hipError_tPvRmT1_PNSt15iterator_traitsISK_E10value_typeET2_T3_PNSL_ISQ_E10value_typeET4_jRbjT5_SW_jjP12ihipStream_tbEUlT_E1_NS1_11comp_targetILNS1_3genE5ELNS1_11target_archE942ELNS1_3gpuE9ELNS1_3repE0EEENS1_59segmented_radix_sort_warp_sort_small_config_static_selectorELNS0_4arch9wavefront6targetE0EEEvSK_.private_seg_size, 0
	.set _ZN7rocprim17ROCPRIM_400000_NS6detail17trampoline_kernelINS0_14default_configENS1_36segmented_radix_sort_config_selectorIflEEZNS1_25segmented_radix_sort_implIS3_Lb0EPKfPfPKlPlN2at6native12_GLOBAL__N_18offset_tEEE10hipError_tPvRmT1_PNSt15iterator_traitsISK_E10value_typeET2_T3_PNSL_ISQ_E10value_typeET4_jRbjT5_SW_jjP12ihipStream_tbEUlT_E1_NS1_11comp_targetILNS1_3genE5ELNS1_11target_archE942ELNS1_3gpuE9ELNS1_3repE0EEENS1_59segmented_radix_sort_warp_sort_small_config_static_selectorELNS0_4arch9wavefront6targetE0EEEvSK_.uses_vcc, 0
	.set _ZN7rocprim17ROCPRIM_400000_NS6detail17trampoline_kernelINS0_14default_configENS1_36segmented_radix_sort_config_selectorIflEEZNS1_25segmented_radix_sort_implIS3_Lb0EPKfPfPKlPlN2at6native12_GLOBAL__N_18offset_tEEE10hipError_tPvRmT1_PNSt15iterator_traitsISK_E10value_typeET2_T3_PNSL_ISQ_E10value_typeET4_jRbjT5_SW_jjP12ihipStream_tbEUlT_E1_NS1_11comp_targetILNS1_3genE5ELNS1_11target_archE942ELNS1_3gpuE9ELNS1_3repE0EEENS1_59segmented_radix_sort_warp_sort_small_config_static_selectorELNS0_4arch9wavefront6targetE0EEEvSK_.uses_flat_scratch, 0
	.set _ZN7rocprim17ROCPRIM_400000_NS6detail17trampoline_kernelINS0_14default_configENS1_36segmented_radix_sort_config_selectorIflEEZNS1_25segmented_radix_sort_implIS3_Lb0EPKfPfPKlPlN2at6native12_GLOBAL__N_18offset_tEEE10hipError_tPvRmT1_PNSt15iterator_traitsISK_E10value_typeET2_T3_PNSL_ISQ_E10value_typeET4_jRbjT5_SW_jjP12ihipStream_tbEUlT_E1_NS1_11comp_targetILNS1_3genE5ELNS1_11target_archE942ELNS1_3gpuE9ELNS1_3repE0EEENS1_59segmented_radix_sort_warp_sort_small_config_static_selectorELNS0_4arch9wavefront6targetE0EEEvSK_.has_dyn_sized_stack, 0
	.set _ZN7rocprim17ROCPRIM_400000_NS6detail17trampoline_kernelINS0_14default_configENS1_36segmented_radix_sort_config_selectorIflEEZNS1_25segmented_radix_sort_implIS3_Lb0EPKfPfPKlPlN2at6native12_GLOBAL__N_18offset_tEEE10hipError_tPvRmT1_PNSt15iterator_traitsISK_E10value_typeET2_T3_PNSL_ISQ_E10value_typeET4_jRbjT5_SW_jjP12ihipStream_tbEUlT_E1_NS1_11comp_targetILNS1_3genE5ELNS1_11target_archE942ELNS1_3gpuE9ELNS1_3repE0EEENS1_59segmented_radix_sort_warp_sort_small_config_static_selectorELNS0_4arch9wavefront6targetE0EEEvSK_.has_recursion, 0
	.set _ZN7rocprim17ROCPRIM_400000_NS6detail17trampoline_kernelINS0_14default_configENS1_36segmented_radix_sort_config_selectorIflEEZNS1_25segmented_radix_sort_implIS3_Lb0EPKfPfPKlPlN2at6native12_GLOBAL__N_18offset_tEEE10hipError_tPvRmT1_PNSt15iterator_traitsISK_E10value_typeET2_T3_PNSL_ISQ_E10value_typeET4_jRbjT5_SW_jjP12ihipStream_tbEUlT_E1_NS1_11comp_targetILNS1_3genE5ELNS1_11target_archE942ELNS1_3gpuE9ELNS1_3repE0EEENS1_59segmented_radix_sort_warp_sort_small_config_static_selectorELNS0_4arch9wavefront6targetE0EEEvSK_.has_indirect_call, 0
	.section	.AMDGPU.csdata,"",@progbits
; Kernel info:
; codeLenInByte = 0
; TotalNumSgprs: 0
; NumVgprs: 0
; ScratchSize: 0
; MemoryBound: 0
; FloatMode: 240
; IeeeMode: 1
; LDSByteSize: 0 bytes/workgroup (compile time only)
; SGPRBlocks: 0
; VGPRBlocks: 0
; NumSGPRsForWavesPerEU: 1
; NumVGPRsForWavesPerEU: 1
; NamedBarCnt: 0
; Occupancy: 16
; WaveLimiterHint : 0
; COMPUTE_PGM_RSRC2:SCRATCH_EN: 0
; COMPUTE_PGM_RSRC2:USER_SGPR: 2
; COMPUTE_PGM_RSRC2:TRAP_HANDLER: 0
; COMPUTE_PGM_RSRC2:TGID_X_EN: 1
; COMPUTE_PGM_RSRC2:TGID_Y_EN: 0
; COMPUTE_PGM_RSRC2:TGID_Z_EN: 0
; COMPUTE_PGM_RSRC2:TIDIG_COMP_CNT: 0
	.section	.text._ZN7rocprim17ROCPRIM_400000_NS6detail17trampoline_kernelINS0_14default_configENS1_36segmented_radix_sort_config_selectorIflEEZNS1_25segmented_radix_sort_implIS3_Lb0EPKfPfPKlPlN2at6native12_GLOBAL__N_18offset_tEEE10hipError_tPvRmT1_PNSt15iterator_traitsISK_E10value_typeET2_T3_PNSL_ISQ_E10value_typeET4_jRbjT5_SW_jjP12ihipStream_tbEUlT_E1_NS1_11comp_targetILNS1_3genE4ELNS1_11target_archE910ELNS1_3gpuE8ELNS1_3repE0EEENS1_59segmented_radix_sort_warp_sort_small_config_static_selectorELNS0_4arch9wavefront6targetE0EEEvSK_,"axG",@progbits,_ZN7rocprim17ROCPRIM_400000_NS6detail17trampoline_kernelINS0_14default_configENS1_36segmented_radix_sort_config_selectorIflEEZNS1_25segmented_radix_sort_implIS3_Lb0EPKfPfPKlPlN2at6native12_GLOBAL__N_18offset_tEEE10hipError_tPvRmT1_PNSt15iterator_traitsISK_E10value_typeET2_T3_PNSL_ISQ_E10value_typeET4_jRbjT5_SW_jjP12ihipStream_tbEUlT_E1_NS1_11comp_targetILNS1_3genE4ELNS1_11target_archE910ELNS1_3gpuE8ELNS1_3repE0EEENS1_59segmented_radix_sort_warp_sort_small_config_static_selectorELNS0_4arch9wavefront6targetE0EEEvSK_,comdat
	.globl	_ZN7rocprim17ROCPRIM_400000_NS6detail17trampoline_kernelINS0_14default_configENS1_36segmented_radix_sort_config_selectorIflEEZNS1_25segmented_radix_sort_implIS3_Lb0EPKfPfPKlPlN2at6native12_GLOBAL__N_18offset_tEEE10hipError_tPvRmT1_PNSt15iterator_traitsISK_E10value_typeET2_T3_PNSL_ISQ_E10value_typeET4_jRbjT5_SW_jjP12ihipStream_tbEUlT_E1_NS1_11comp_targetILNS1_3genE4ELNS1_11target_archE910ELNS1_3gpuE8ELNS1_3repE0EEENS1_59segmented_radix_sort_warp_sort_small_config_static_selectorELNS0_4arch9wavefront6targetE0EEEvSK_ ; -- Begin function _ZN7rocprim17ROCPRIM_400000_NS6detail17trampoline_kernelINS0_14default_configENS1_36segmented_radix_sort_config_selectorIflEEZNS1_25segmented_radix_sort_implIS3_Lb0EPKfPfPKlPlN2at6native12_GLOBAL__N_18offset_tEEE10hipError_tPvRmT1_PNSt15iterator_traitsISK_E10value_typeET2_T3_PNSL_ISQ_E10value_typeET4_jRbjT5_SW_jjP12ihipStream_tbEUlT_E1_NS1_11comp_targetILNS1_3genE4ELNS1_11target_archE910ELNS1_3gpuE8ELNS1_3repE0EEENS1_59segmented_radix_sort_warp_sort_small_config_static_selectorELNS0_4arch9wavefront6targetE0EEEvSK_
	.p2align	8
	.type	_ZN7rocprim17ROCPRIM_400000_NS6detail17trampoline_kernelINS0_14default_configENS1_36segmented_radix_sort_config_selectorIflEEZNS1_25segmented_radix_sort_implIS3_Lb0EPKfPfPKlPlN2at6native12_GLOBAL__N_18offset_tEEE10hipError_tPvRmT1_PNSt15iterator_traitsISK_E10value_typeET2_T3_PNSL_ISQ_E10value_typeET4_jRbjT5_SW_jjP12ihipStream_tbEUlT_E1_NS1_11comp_targetILNS1_3genE4ELNS1_11target_archE910ELNS1_3gpuE8ELNS1_3repE0EEENS1_59segmented_radix_sort_warp_sort_small_config_static_selectorELNS0_4arch9wavefront6targetE0EEEvSK_,@function
_ZN7rocprim17ROCPRIM_400000_NS6detail17trampoline_kernelINS0_14default_configENS1_36segmented_radix_sort_config_selectorIflEEZNS1_25segmented_radix_sort_implIS3_Lb0EPKfPfPKlPlN2at6native12_GLOBAL__N_18offset_tEEE10hipError_tPvRmT1_PNSt15iterator_traitsISK_E10value_typeET2_T3_PNSL_ISQ_E10value_typeET4_jRbjT5_SW_jjP12ihipStream_tbEUlT_E1_NS1_11comp_targetILNS1_3genE4ELNS1_11target_archE910ELNS1_3gpuE8ELNS1_3repE0EEENS1_59segmented_radix_sort_warp_sort_small_config_static_selectorELNS0_4arch9wavefront6targetE0EEEvSK_: ; @_ZN7rocprim17ROCPRIM_400000_NS6detail17trampoline_kernelINS0_14default_configENS1_36segmented_radix_sort_config_selectorIflEEZNS1_25segmented_radix_sort_implIS3_Lb0EPKfPfPKlPlN2at6native12_GLOBAL__N_18offset_tEEE10hipError_tPvRmT1_PNSt15iterator_traitsISK_E10value_typeET2_T3_PNSL_ISQ_E10value_typeET4_jRbjT5_SW_jjP12ihipStream_tbEUlT_E1_NS1_11comp_targetILNS1_3genE4ELNS1_11target_archE910ELNS1_3gpuE8ELNS1_3repE0EEENS1_59segmented_radix_sort_warp_sort_small_config_static_selectorELNS0_4arch9wavefront6targetE0EEEvSK_
; %bb.0:
	.section	.rodata,"a",@progbits
	.p2align	6, 0x0
	.amdhsa_kernel _ZN7rocprim17ROCPRIM_400000_NS6detail17trampoline_kernelINS0_14default_configENS1_36segmented_radix_sort_config_selectorIflEEZNS1_25segmented_radix_sort_implIS3_Lb0EPKfPfPKlPlN2at6native12_GLOBAL__N_18offset_tEEE10hipError_tPvRmT1_PNSt15iterator_traitsISK_E10value_typeET2_T3_PNSL_ISQ_E10value_typeET4_jRbjT5_SW_jjP12ihipStream_tbEUlT_E1_NS1_11comp_targetILNS1_3genE4ELNS1_11target_archE910ELNS1_3gpuE8ELNS1_3repE0EEENS1_59segmented_radix_sort_warp_sort_small_config_static_selectorELNS0_4arch9wavefront6targetE0EEEvSK_
		.amdhsa_group_segment_fixed_size 0
		.amdhsa_private_segment_fixed_size 0
		.amdhsa_kernarg_size 88
		.amdhsa_user_sgpr_count 2
		.amdhsa_user_sgpr_dispatch_ptr 0
		.amdhsa_user_sgpr_queue_ptr 0
		.amdhsa_user_sgpr_kernarg_segment_ptr 1
		.amdhsa_user_sgpr_dispatch_id 0
		.amdhsa_user_sgpr_kernarg_preload_length 0
		.amdhsa_user_sgpr_kernarg_preload_offset 0
		.amdhsa_user_sgpr_private_segment_size 0
		.amdhsa_wavefront_size32 1
		.amdhsa_uses_dynamic_stack 0
		.amdhsa_enable_private_segment 0
		.amdhsa_system_sgpr_workgroup_id_x 1
		.amdhsa_system_sgpr_workgroup_id_y 0
		.amdhsa_system_sgpr_workgroup_id_z 0
		.amdhsa_system_sgpr_workgroup_info 0
		.amdhsa_system_vgpr_workitem_id 0
		.amdhsa_next_free_vgpr 1
		.amdhsa_next_free_sgpr 1
		.amdhsa_named_barrier_count 0
		.amdhsa_reserve_vcc 0
		.amdhsa_float_round_mode_32 0
		.amdhsa_float_round_mode_16_64 0
		.amdhsa_float_denorm_mode_32 3
		.amdhsa_float_denorm_mode_16_64 3
		.amdhsa_fp16_overflow 0
		.amdhsa_memory_ordered 1
		.amdhsa_forward_progress 1
		.amdhsa_inst_pref_size 0
		.amdhsa_round_robin_scheduling 0
		.amdhsa_exception_fp_ieee_invalid_op 0
		.amdhsa_exception_fp_denorm_src 0
		.amdhsa_exception_fp_ieee_div_zero 0
		.amdhsa_exception_fp_ieee_overflow 0
		.amdhsa_exception_fp_ieee_underflow 0
		.amdhsa_exception_fp_ieee_inexact 0
		.amdhsa_exception_int_div_zero 0
	.end_amdhsa_kernel
	.section	.text._ZN7rocprim17ROCPRIM_400000_NS6detail17trampoline_kernelINS0_14default_configENS1_36segmented_radix_sort_config_selectorIflEEZNS1_25segmented_radix_sort_implIS3_Lb0EPKfPfPKlPlN2at6native12_GLOBAL__N_18offset_tEEE10hipError_tPvRmT1_PNSt15iterator_traitsISK_E10value_typeET2_T3_PNSL_ISQ_E10value_typeET4_jRbjT5_SW_jjP12ihipStream_tbEUlT_E1_NS1_11comp_targetILNS1_3genE4ELNS1_11target_archE910ELNS1_3gpuE8ELNS1_3repE0EEENS1_59segmented_radix_sort_warp_sort_small_config_static_selectorELNS0_4arch9wavefront6targetE0EEEvSK_,"axG",@progbits,_ZN7rocprim17ROCPRIM_400000_NS6detail17trampoline_kernelINS0_14default_configENS1_36segmented_radix_sort_config_selectorIflEEZNS1_25segmented_radix_sort_implIS3_Lb0EPKfPfPKlPlN2at6native12_GLOBAL__N_18offset_tEEE10hipError_tPvRmT1_PNSt15iterator_traitsISK_E10value_typeET2_T3_PNSL_ISQ_E10value_typeET4_jRbjT5_SW_jjP12ihipStream_tbEUlT_E1_NS1_11comp_targetILNS1_3genE4ELNS1_11target_archE910ELNS1_3gpuE8ELNS1_3repE0EEENS1_59segmented_radix_sort_warp_sort_small_config_static_selectorELNS0_4arch9wavefront6targetE0EEEvSK_,comdat
.Lfunc_end1443:
	.size	_ZN7rocprim17ROCPRIM_400000_NS6detail17trampoline_kernelINS0_14default_configENS1_36segmented_radix_sort_config_selectorIflEEZNS1_25segmented_radix_sort_implIS3_Lb0EPKfPfPKlPlN2at6native12_GLOBAL__N_18offset_tEEE10hipError_tPvRmT1_PNSt15iterator_traitsISK_E10value_typeET2_T3_PNSL_ISQ_E10value_typeET4_jRbjT5_SW_jjP12ihipStream_tbEUlT_E1_NS1_11comp_targetILNS1_3genE4ELNS1_11target_archE910ELNS1_3gpuE8ELNS1_3repE0EEENS1_59segmented_radix_sort_warp_sort_small_config_static_selectorELNS0_4arch9wavefront6targetE0EEEvSK_, .Lfunc_end1443-_ZN7rocprim17ROCPRIM_400000_NS6detail17trampoline_kernelINS0_14default_configENS1_36segmented_radix_sort_config_selectorIflEEZNS1_25segmented_radix_sort_implIS3_Lb0EPKfPfPKlPlN2at6native12_GLOBAL__N_18offset_tEEE10hipError_tPvRmT1_PNSt15iterator_traitsISK_E10value_typeET2_T3_PNSL_ISQ_E10value_typeET4_jRbjT5_SW_jjP12ihipStream_tbEUlT_E1_NS1_11comp_targetILNS1_3genE4ELNS1_11target_archE910ELNS1_3gpuE8ELNS1_3repE0EEENS1_59segmented_radix_sort_warp_sort_small_config_static_selectorELNS0_4arch9wavefront6targetE0EEEvSK_
                                        ; -- End function
	.set _ZN7rocprim17ROCPRIM_400000_NS6detail17trampoline_kernelINS0_14default_configENS1_36segmented_radix_sort_config_selectorIflEEZNS1_25segmented_radix_sort_implIS3_Lb0EPKfPfPKlPlN2at6native12_GLOBAL__N_18offset_tEEE10hipError_tPvRmT1_PNSt15iterator_traitsISK_E10value_typeET2_T3_PNSL_ISQ_E10value_typeET4_jRbjT5_SW_jjP12ihipStream_tbEUlT_E1_NS1_11comp_targetILNS1_3genE4ELNS1_11target_archE910ELNS1_3gpuE8ELNS1_3repE0EEENS1_59segmented_radix_sort_warp_sort_small_config_static_selectorELNS0_4arch9wavefront6targetE0EEEvSK_.num_vgpr, 0
	.set _ZN7rocprim17ROCPRIM_400000_NS6detail17trampoline_kernelINS0_14default_configENS1_36segmented_radix_sort_config_selectorIflEEZNS1_25segmented_radix_sort_implIS3_Lb0EPKfPfPKlPlN2at6native12_GLOBAL__N_18offset_tEEE10hipError_tPvRmT1_PNSt15iterator_traitsISK_E10value_typeET2_T3_PNSL_ISQ_E10value_typeET4_jRbjT5_SW_jjP12ihipStream_tbEUlT_E1_NS1_11comp_targetILNS1_3genE4ELNS1_11target_archE910ELNS1_3gpuE8ELNS1_3repE0EEENS1_59segmented_radix_sort_warp_sort_small_config_static_selectorELNS0_4arch9wavefront6targetE0EEEvSK_.num_agpr, 0
	.set _ZN7rocprim17ROCPRIM_400000_NS6detail17trampoline_kernelINS0_14default_configENS1_36segmented_radix_sort_config_selectorIflEEZNS1_25segmented_radix_sort_implIS3_Lb0EPKfPfPKlPlN2at6native12_GLOBAL__N_18offset_tEEE10hipError_tPvRmT1_PNSt15iterator_traitsISK_E10value_typeET2_T3_PNSL_ISQ_E10value_typeET4_jRbjT5_SW_jjP12ihipStream_tbEUlT_E1_NS1_11comp_targetILNS1_3genE4ELNS1_11target_archE910ELNS1_3gpuE8ELNS1_3repE0EEENS1_59segmented_radix_sort_warp_sort_small_config_static_selectorELNS0_4arch9wavefront6targetE0EEEvSK_.numbered_sgpr, 0
	.set _ZN7rocprim17ROCPRIM_400000_NS6detail17trampoline_kernelINS0_14default_configENS1_36segmented_radix_sort_config_selectorIflEEZNS1_25segmented_radix_sort_implIS3_Lb0EPKfPfPKlPlN2at6native12_GLOBAL__N_18offset_tEEE10hipError_tPvRmT1_PNSt15iterator_traitsISK_E10value_typeET2_T3_PNSL_ISQ_E10value_typeET4_jRbjT5_SW_jjP12ihipStream_tbEUlT_E1_NS1_11comp_targetILNS1_3genE4ELNS1_11target_archE910ELNS1_3gpuE8ELNS1_3repE0EEENS1_59segmented_radix_sort_warp_sort_small_config_static_selectorELNS0_4arch9wavefront6targetE0EEEvSK_.num_named_barrier, 0
	.set _ZN7rocprim17ROCPRIM_400000_NS6detail17trampoline_kernelINS0_14default_configENS1_36segmented_radix_sort_config_selectorIflEEZNS1_25segmented_radix_sort_implIS3_Lb0EPKfPfPKlPlN2at6native12_GLOBAL__N_18offset_tEEE10hipError_tPvRmT1_PNSt15iterator_traitsISK_E10value_typeET2_T3_PNSL_ISQ_E10value_typeET4_jRbjT5_SW_jjP12ihipStream_tbEUlT_E1_NS1_11comp_targetILNS1_3genE4ELNS1_11target_archE910ELNS1_3gpuE8ELNS1_3repE0EEENS1_59segmented_radix_sort_warp_sort_small_config_static_selectorELNS0_4arch9wavefront6targetE0EEEvSK_.private_seg_size, 0
	.set _ZN7rocprim17ROCPRIM_400000_NS6detail17trampoline_kernelINS0_14default_configENS1_36segmented_radix_sort_config_selectorIflEEZNS1_25segmented_radix_sort_implIS3_Lb0EPKfPfPKlPlN2at6native12_GLOBAL__N_18offset_tEEE10hipError_tPvRmT1_PNSt15iterator_traitsISK_E10value_typeET2_T3_PNSL_ISQ_E10value_typeET4_jRbjT5_SW_jjP12ihipStream_tbEUlT_E1_NS1_11comp_targetILNS1_3genE4ELNS1_11target_archE910ELNS1_3gpuE8ELNS1_3repE0EEENS1_59segmented_radix_sort_warp_sort_small_config_static_selectorELNS0_4arch9wavefront6targetE0EEEvSK_.uses_vcc, 0
	.set _ZN7rocprim17ROCPRIM_400000_NS6detail17trampoline_kernelINS0_14default_configENS1_36segmented_radix_sort_config_selectorIflEEZNS1_25segmented_radix_sort_implIS3_Lb0EPKfPfPKlPlN2at6native12_GLOBAL__N_18offset_tEEE10hipError_tPvRmT1_PNSt15iterator_traitsISK_E10value_typeET2_T3_PNSL_ISQ_E10value_typeET4_jRbjT5_SW_jjP12ihipStream_tbEUlT_E1_NS1_11comp_targetILNS1_3genE4ELNS1_11target_archE910ELNS1_3gpuE8ELNS1_3repE0EEENS1_59segmented_radix_sort_warp_sort_small_config_static_selectorELNS0_4arch9wavefront6targetE0EEEvSK_.uses_flat_scratch, 0
	.set _ZN7rocprim17ROCPRIM_400000_NS6detail17trampoline_kernelINS0_14default_configENS1_36segmented_radix_sort_config_selectorIflEEZNS1_25segmented_radix_sort_implIS3_Lb0EPKfPfPKlPlN2at6native12_GLOBAL__N_18offset_tEEE10hipError_tPvRmT1_PNSt15iterator_traitsISK_E10value_typeET2_T3_PNSL_ISQ_E10value_typeET4_jRbjT5_SW_jjP12ihipStream_tbEUlT_E1_NS1_11comp_targetILNS1_3genE4ELNS1_11target_archE910ELNS1_3gpuE8ELNS1_3repE0EEENS1_59segmented_radix_sort_warp_sort_small_config_static_selectorELNS0_4arch9wavefront6targetE0EEEvSK_.has_dyn_sized_stack, 0
	.set _ZN7rocprim17ROCPRIM_400000_NS6detail17trampoline_kernelINS0_14default_configENS1_36segmented_radix_sort_config_selectorIflEEZNS1_25segmented_radix_sort_implIS3_Lb0EPKfPfPKlPlN2at6native12_GLOBAL__N_18offset_tEEE10hipError_tPvRmT1_PNSt15iterator_traitsISK_E10value_typeET2_T3_PNSL_ISQ_E10value_typeET4_jRbjT5_SW_jjP12ihipStream_tbEUlT_E1_NS1_11comp_targetILNS1_3genE4ELNS1_11target_archE910ELNS1_3gpuE8ELNS1_3repE0EEENS1_59segmented_radix_sort_warp_sort_small_config_static_selectorELNS0_4arch9wavefront6targetE0EEEvSK_.has_recursion, 0
	.set _ZN7rocprim17ROCPRIM_400000_NS6detail17trampoline_kernelINS0_14default_configENS1_36segmented_radix_sort_config_selectorIflEEZNS1_25segmented_radix_sort_implIS3_Lb0EPKfPfPKlPlN2at6native12_GLOBAL__N_18offset_tEEE10hipError_tPvRmT1_PNSt15iterator_traitsISK_E10value_typeET2_T3_PNSL_ISQ_E10value_typeET4_jRbjT5_SW_jjP12ihipStream_tbEUlT_E1_NS1_11comp_targetILNS1_3genE4ELNS1_11target_archE910ELNS1_3gpuE8ELNS1_3repE0EEENS1_59segmented_radix_sort_warp_sort_small_config_static_selectorELNS0_4arch9wavefront6targetE0EEEvSK_.has_indirect_call, 0
	.section	.AMDGPU.csdata,"",@progbits
; Kernel info:
; codeLenInByte = 0
; TotalNumSgprs: 0
; NumVgprs: 0
; ScratchSize: 0
; MemoryBound: 0
; FloatMode: 240
; IeeeMode: 1
; LDSByteSize: 0 bytes/workgroup (compile time only)
; SGPRBlocks: 0
; VGPRBlocks: 0
; NumSGPRsForWavesPerEU: 1
; NumVGPRsForWavesPerEU: 1
; NamedBarCnt: 0
; Occupancy: 16
; WaveLimiterHint : 0
; COMPUTE_PGM_RSRC2:SCRATCH_EN: 0
; COMPUTE_PGM_RSRC2:USER_SGPR: 2
; COMPUTE_PGM_RSRC2:TRAP_HANDLER: 0
; COMPUTE_PGM_RSRC2:TGID_X_EN: 1
; COMPUTE_PGM_RSRC2:TGID_Y_EN: 0
; COMPUTE_PGM_RSRC2:TGID_Z_EN: 0
; COMPUTE_PGM_RSRC2:TIDIG_COMP_CNT: 0
	.section	.text._ZN7rocprim17ROCPRIM_400000_NS6detail17trampoline_kernelINS0_14default_configENS1_36segmented_radix_sort_config_selectorIflEEZNS1_25segmented_radix_sort_implIS3_Lb0EPKfPfPKlPlN2at6native12_GLOBAL__N_18offset_tEEE10hipError_tPvRmT1_PNSt15iterator_traitsISK_E10value_typeET2_T3_PNSL_ISQ_E10value_typeET4_jRbjT5_SW_jjP12ihipStream_tbEUlT_E1_NS1_11comp_targetILNS1_3genE3ELNS1_11target_archE908ELNS1_3gpuE7ELNS1_3repE0EEENS1_59segmented_radix_sort_warp_sort_small_config_static_selectorELNS0_4arch9wavefront6targetE0EEEvSK_,"axG",@progbits,_ZN7rocprim17ROCPRIM_400000_NS6detail17trampoline_kernelINS0_14default_configENS1_36segmented_radix_sort_config_selectorIflEEZNS1_25segmented_radix_sort_implIS3_Lb0EPKfPfPKlPlN2at6native12_GLOBAL__N_18offset_tEEE10hipError_tPvRmT1_PNSt15iterator_traitsISK_E10value_typeET2_T3_PNSL_ISQ_E10value_typeET4_jRbjT5_SW_jjP12ihipStream_tbEUlT_E1_NS1_11comp_targetILNS1_3genE3ELNS1_11target_archE908ELNS1_3gpuE7ELNS1_3repE0EEENS1_59segmented_radix_sort_warp_sort_small_config_static_selectorELNS0_4arch9wavefront6targetE0EEEvSK_,comdat
	.globl	_ZN7rocprim17ROCPRIM_400000_NS6detail17trampoline_kernelINS0_14default_configENS1_36segmented_radix_sort_config_selectorIflEEZNS1_25segmented_radix_sort_implIS3_Lb0EPKfPfPKlPlN2at6native12_GLOBAL__N_18offset_tEEE10hipError_tPvRmT1_PNSt15iterator_traitsISK_E10value_typeET2_T3_PNSL_ISQ_E10value_typeET4_jRbjT5_SW_jjP12ihipStream_tbEUlT_E1_NS1_11comp_targetILNS1_3genE3ELNS1_11target_archE908ELNS1_3gpuE7ELNS1_3repE0EEENS1_59segmented_radix_sort_warp_sort_small_config_static_selectorELNS0_4arch9wavefront6targetE0EEEvSK_ ; -- Begin function _ZN7rocprim17ROCPRIM_400000_NS6detail17trampoline_kernelINS0_14default_configENS1_36segmented_radix_sort_config_selectorIflEEZNS1_25segmented_radix_sort_implIS3_Lb0EPKfPfPKlPlN2at6native12_GLOBAL__N_18offset_tEEE10hipError_tPvRmT1_PNSt15iterator_traitsISK_E10value_typeET2_T3_PNSL_ISQ_E10value_typeET4_jRbjT5_SW_jjP12ihipStream_tbEUlT_E1_NS1_11comp_targetILNS1_3genE3ELNS1_11target_archE908ELNS1_3gpuE7ELNS1_3repE0EEENS1_59segmented_radix_sort_warp_sort_small_config_static_selectorELNS0_4arch9wavefront6targetE0EEEvSK_
	.p2align	8
	.type	_ZN7rocprim17ROCPRIM_400000_NS6detail17trampoline_kernelINS0_14default_configENS1_36segmented_radix_sort_config_selectorIflEEZNS1_25segmented_radix_sort_implIS3_Lb0EPKfPfPKlPlN2at6native12_GLOBAL__N_18offset_tEEE10hipError_tPvRmT1_PNSt15iterator_traitsISK_E10value_typeET2_T3_PNSL_ISQ_E10value_typeET4_jRbjT5_SW_jjP12ihipStream_tbEUlT_E1_NS1_11comp_targetILNS1_3genE3ELNS1_11target_archE908ELNS1_3gpuE7ELNS1_3repE0EEENS1_59segmented_radix_sort_warp_sort_small_config_static_selectorELNS0_4arch9wavefront6targetE0EEEvSK_,@function
_ZN7rocprim17ROCPRIM_400000_NS6detail17trampoline_kernelINS0_14default_configENS1_36segmented_radix_sort_config_selectorIflEEZNS1_25segmented_radix_sort_implIS3_Lb0EPKfPfPKlPlN2at6native12_GLOBAL__N_18offset_tEEE10hipError_tPvRmT1_PNSt15iterator_traitsISK_E10value_typeET2_T3_PNSL_ISQ_E10value_typeET4_jRbjT5_SW_jjP12ihipStream_tbEUlT_E1_NS1_11comp_targetILNS1_3genE3ELNS1_11target_archE908ELNS1_3gpuE7ELNS1_3repE0EEENS1_59segmented_radix_sort_warp_sort_small_config_static_selectorELNS0_4arch9wavefront6targetE0EEEvSK_: ; @_ZN7rocprim17ROCPRIM_400000_NS6detail17trampoline_kernelINS0_14default_configENS1_36segmented_radix_sort_config_selectorIflEEZNS1_25segmented_radix_sort_implIS3_Lb0EPKfPfPKlPlN2at6native12_GLOBAL__N_18offset_tEEE10hipError_tPvRmT1_PNSt15iterator_traitsISK_E10value_typeET2_T3_PNSL_ISQ_E10value_typeET4_jRbjT5_SW_jjP12ihipStream_tbEUlT_E1_NS1_11comp_targetILNS1_3genE3ELNS1_11target_archE908ELNS1_3gpuE7ELNS1_3repE0EEENS1_59segmented_radix_sort_warp_sort_small_config_static_selectorELNS0_4arch9wavefront6targetE0EEEvSK_
; %bb.0:
	.section	.rodata,"a",@progbits
	.p2align	6, 0x0
	.amdhsa_kernel _ZN7rocprim17ROCPRIM_400000_NS6detail17trampoline_kernelINS0_14default_configENS1_36segmented_radix_sort_config_selectorIflEEZNS1_25segmented_radix_sort_implIS3_Lb0EPKfPfPKlPlN2at6native12_GLOBAL__N_18offset_tEEE10hipError_tPvRmT1_PNSt15iterator_traitsISK_E10value_typeET2_T3_PNSL_ISQ_E10value_typeET4_jRbjT5_SW_jjP12ihipStream_tbEUlT_E1_NS1_11comp_targetILNS1_3genE3ELNS1_11target_archE908ELNS1_3gpuE7ELNS1_3repE0EEENS1_59segmented_radix_sort_warp_sort_small_config_static_selectorELNS0_4arch9wavefront6targetE0EEEvSK_
		.amdhsa_group_segment_fixed_size 0
		.amdhsa_private_segment_fixed_size 0
		.amdhsa_kernarg_size 88
		.amdhsa_user_sgpr_count 2
		.amdhsa_user_sgpr_dispatch_ptr 0
		.amdhsa_user_sgpr_queue_ptr 0
		.amdhsa_user_sgpr_kernarg_segment_ptr 1
		.amdhsa_user_sgpr_dispatch_id 0
		.amdhsa_user_sgpr_kernarg_preload_length 0
		.amdhsa_user_sgpr_kernarg_preload_offset 0
		.amdhsa_user_sgpr_private_segment_size 0
		.amdhsa_wavefront_size32 1
		.amdhsa_uses_dynamic_stack 0
		.amdhsa_enable_private_segment 0
		.amdhsa_system_sgpr_workgroup_id_x 1
		.amdhsa_system_sgpr_workgroup_id_y 0
		.amdhsa_system_sgpr_workgroup_id_z 0
		.amdhsa_system_sgpr_workgroup_info 0
		.amdhsa_system_vgpr_workitem_id 0
		.amdhsa_next_free_vgpr 1
		.amdhsa_next_free_sgpr 1
		.amdhsa_named_barrier_count 0
		.amdhsa_reserve_vcc 0
		.amdhsa_float_round_mode_32 0
		.amdhsa_float_round_mode_16_64 0
		.amdhsa_float_denorm_mode_32 3
		.amdhsa_float_denorm_mode_16_64 3
		.amdhsa_fp16_overflow 0
		.amdhsa_memory_ordered 1
		.amdhsa_forward_progress 1
		.amdhsa_inst_pref_size 0
		.amdhsa_round_robin_scheduling 0
		.amdhsa_exception_fp_ieee_invalid_op 0
		.amdhsa_exception_fp_denorm_src 0
		.amdhsa_exception_fp_ieee_div_zero 0
		.amdhsa_exception_fp_ieee_overflow 0
		.amdhsa_exception_fp_ieee_underflow 0
		.amdhsa_exception_fp_ieee_inexact 0
		.amdhsa_exception_int_div_zero 0
	.end_amdhsa_kernel
	.section	.text._ZN7rocprim17ROCPRIM_400000_NS6detail17trampoline_kernelINS0_14default_configENS1_36segmented_radix_sort_config_selectorIflEEZNS1_25segmented_radix_sort_implIS3_Lb0EPKfPfPKlPlN2at6native12_GLOBAL__N_18offset_tEEE10hipError_tPvRmT1_PNSt15iterator_traitsISK_E10value_typeET2_T3_PNSL_ISQ_E10value_typeET4_jRbjT5_SW_jjP12ihipStream_tbEUlT_E1_NS1_11comp_targetILNS1_3genE3ELNS1_11target_archE908ELNS1_3gpuE7ELNS1_3repE0EEENS1_59segmented_radix_sort_warp_sort_small_config_static_selectorELNS0_4arch9wavefront6targetE0EEEvSK_,"axG",@progbits,_ZN7rocprim17ROCPRIM_400000_NS6detail17trampoline_kernelINS0_14default_configENS1_36segmented_radix_sort_config_selectorIflEEZNS1_25segmented_radix_sort_implIS3_Lb0EPKfPfPKlPlN2at6native12_GLOBAL__N_18offset_tEEE10hipError_tPvRmT1_PNSt15iterator_traitsISK_E10value_typeET2_T3_PNSL_ISQ_E10value_typeET4_jRbjT5_SW_jjP12ihipStream_tbEUlT_E1_NS1_11comp_targetILNS1_3genE3ELNS1_11target_archE908ELNS1_3gpuE7ELNS1_3repE0EEENS1_59segmented_radix_sort_warp_sort_small_config_static_selectorELNS0_4arch9wavefront6targetE0EEEvSK_,comdat
.Lfunc_end1444:
	.size	_ZN7rocprim17ROCPRIM_400000_NS6detail17trampoline_kernelINS0_14default_configENS1_36segmented_radix_sort_config_selectorIflEEZNS1_25segmented_radix_sort_implIS3_Lb0EPKfPfPKlPlN2at6native12_GLOBAL__N_18offset_tEEE10hipError_tPvRmT1_PNSt15iterator_traitsISK_E10value_typeET2_T3_PNSL_ISQ_E10value_typeET4_jRbjT5_SW_jjP12ihipStream_tbEUlT_E1_NS1_11comp_targetILNS1_3genE3ELNS1_11target_archE908ELNS1_3gpuE7ELNS1_3repE0EEENS1_59segmented_radix_sort_warp_sort_small_config_static_selectorELNS0_4arch9wavefront6targetE0EEEvSK_, .Lfunc_end1444-_ZN7rocprim17ROCPRIM_400000_NS6detail17trampoline_kernelINS0_14default_configENS1_36segmented_radix_sort_config_selectorIflEEZNS1_25segmented_radix_sort_implIS3_Lb0EPKfPfPKlPlN2at6native12_GLOBAL__N_18offset_tEEE10hipError_tPvRmT1_PNSt15iterator_traitsISK_E10value_typeET2_T3_PNSL_ISQ_E10value_typeET4_jRbjT5_SW_jjP12ihipStream_tbEUlT_E1_NS1_11comp_targetILNS1_3genE3ELNS1_11target_archE908ELNS1_3gpuE7ELNS1_3repE0EEENS1_59segmented_radix_sort_warp_sort_small_config_static_selectorELNS0_4arch9wavefront6targetE0EEEvSK_
                                        ; -- End function
	.set _ZN7rocprim17ROCPRIM_400000_NS6detail17trampoline_kernelINS0_14default_configENS1_36segmented_radix_sort_config_selectorIflEEZNS1_25segmented_radix_sort_implIS3_Lb0EPKfPfPKlPlN2at6native12_GLOBAL__N_18offset_tEEE10hipError_tPvRmT1_PNSt15iterator_traitsISK_E10value_typeET2_T3_PNSL_ISQ_E10value_typeET4_jRbjT5_SW_jjP12ihipStream_tbEUlT_E1_NS1_11comp_targetILNS1_3genE3ELNS1_11target_archE908ELNS1_3gpuE7ELNS1_3repE0EEENS1_59segmented_radix_sort_warp_sort_small_config_static_selectorELNS0_4arch9wavefront6targetE0EEEvSK_.num_vgpr, 0
	.set _ZN7rocprim17ROCPRIM_400000_NS6detail17trampoline_kernelINS0_14default_configENS1_36segmented_radix_sort_config_selectorIflEEZNS1_25segmented_radix_sort_implIS3_Lb0EPKfPfPKlPlN2at6native12_GLOBAL__N_18offset_tEEE10hipError_tPvRmT1_PNSt15iterator_traitsISK_E10value_typeET2_T3_PNSL_ISQ_E10value_typeET4_jRbjT5_SW_jjP12ihipStream_tbEUlT_E1_NS1_11comp_targetILNS1_3genE3ELNS1_11target_archE908ELNS1_3gpuE7ELNS1_3repE0EEENS1_59segmented_radix_sort_warp_sort_small_config_static_selectorELNS0_4arch9wavefront6targetE0EEEvSK_.num_agpr, 0
	.set _ZN7rocprim17ROCPRIM_400000_NS6detail17trampoline_kernelINS0_14default_configENS1_36segmented_radix_sort_config_selectorIflEEZNS1_25segmented_radix_sort_implIS3_Lb0EPKfPfPKlPlN2at6native12_GLOBAL__N_18offset_tEEE10hipError_tPvRmT1_PNSt15iterator_traitsISK_E10value_typeET2_T3_PNSL_ISQ_E10value_typeET4_jRbjT5_SW_jjP12ihipStream_tbEUlT_E1_NS1_11comp_targetILNS1_3genE3ELNS1_11target_archE908ELNS1_3gpuE7ELNS1_3repE0EEENS1_59segmented_radix_sort_warp_sort_small_config_static_selectorELNS0_4arch9wavefront6targetE0EEEvSK_.numbered_sgpr, 0
	.set _ZN7rocprim17ROCPRIM_400000_NS6detail17trampoline_kernelINS0_14default_configENS1_36segmented_radix_sort_config_selectorIflEEZNS1_25segmented_radix_sort_implIS3_Lb0EPKfPfPKlPlN2at6native12_GLOBAL__N_18offset_tEEE10hipError_tPvRmT1_PNSt15iterator_traitsISK_E10value_typeET2_T3_PNSL_ISQ_E10value_typeET4_jRbjT5_SW_jjP12ihipStream_tbEUlT_E1_NS1_11comp_targetILNS1_3genE3ELNS1_11target_archE908ELNS1_3gpuE7ELNS1_3repE0EEENS1_59segmented_radix_sort_warp_sort_small_config_static_selectorELNS0_4arch9wavefront6targetE0EEEvSK_.num_named_barrier, 0
	.set _ZN7rocprim17ROCPRIM_400000_NS6detail17trampoline_kernelINS0_14default_configENS1_36segmented_radix_sort_config_selectorIflEEZNS1_25segmented_radix_sort_implIS3_Lb0EPKfPfPKlPlN2at6native12_GLOBAL__N_18offset_tEEE10hipError_tPvRmT1_PNSt15iterator_traitsISK_E10value_typeET2_T3_PNSL_ISQ_E10value_typeET4_jRbjT5_SW_jjP12ihipStream_tbEUlT_E1_NS1_11comp_targetILNS1_3genE3ELNS1_11target_archE908ELNS1_3gpuE7ELNS1_3repE0EEENS1_59segmented_radix_sort_warp_sort_small_config_static_selectorELNS0_4arch9wavefront6targetE0EEEvSK_.private_seg_size, 0
	.set _ZN7rocprim17ROCPRIM_400000_NS6detail17trampoline_kernelINS0_14default_configENS1_36segmented_radix_sort_config_selectorIflEEZNS1_25segmented_radix_sort_implIS3_Lb0EPKfPfPKlPlN2at6native12_GLOBAL__N_18offset_tEEE10hipError_tPvRmT1_PNSt15iterator_traitsISK_E10value_typeET2_T3_PNSL_ISQ_E10value_typeET4_jRbjT5_SW_jjP12ihipStream_tbEUlT_E1_NS1_11comp_targetILNS1_3genE3ELNS1_11target_archE908ELNS1_3gpuE7ELNS1_3repE0EEENS1_59segmented_radix_sort_warp_sort_small_config_static_selectorELNS0_4arch9wavefront6targetE0EEEvSK_.uses_vcc, 0
	.set _ZN7rocprim17ROCPRIM_400000_NS6detail17trampoline_kernelINS0_14default_configENS1_36segmented_radix_sort_config_selectorIflEEZNS1_25segmented_radix_sort_implIS3_Lb0EPKfPfPKlPlN2at6native12_GLOBAL__N_18offset_tEEE10hipError_tPvRmT1_PNSt15iterator_traitsISK_E10value_typeET2_T3_PNSL_ISQ_E10value_typeET4_jRbjT5_SW_jjP12ihipStream_tbEUlT_E1_NS1_11comp_targetILNS1_3genE3ELNS1_11target_archE908ELNS1_3gpuE7ELNS1_3repE0EEENS1_59segmented_radix_sort_warp_sort_small_config_static_selectorELNS0_4arch9wavefront6targetE0EEEvSK_.uses_flat_scratch, 0
	.set _ZN7rocprim17ROCPRIM_400000_NS6detail17trampoline_kernelINS0_14default_configENS1_36segmented_radix_sort_config_selectorIflEEZNS1_25segmented_radix_sort_implIS3_Lb0EPKfPfPKlPlN2at6native12_GLOBAL__N_18offset_tEEE10hipError_tPvRmT1_PNSt15iterator_traitsISK_E10value_typeET2_T3_PNSL_ISQ_E10value_typeET4_jRbjT5_SW_jjP12ihipStream_tbEUlT_E1_NS1_11comp_targetILNS1_3genE3ELNS1_11target_archE908ELNS1_3gpuE7ELNS1_3repE0EEENS1_59segmented_radix_sort_warp_sort_small_config_static_selectorELNS0_4arch9wavefront6targetE0EEEvSK_.has_dyn_sized_stack, 0
	.set _ZN7rocprim17ROCPRIM_400000_NS6detail17trampoline_kernelINS0_14default_configENS1_36segmented_radix_sort_config_selectorIflEEZNS1_25segmented_radix_sort_implIS3_Lb0EPKfPfPKlPlN2at6native12_GLOBAL__N_18offset_tEEE10hipError_tPvRmT1_PNSt15iterator_traitsISK_E10value_typeET2_T3_PNSL_ISQ_E10value_typeET4_jRbjT5_SW_jjP12ihipStream_tbEUlT_E1_NS1_11comp_targetILNS1_3genE3ELNS1_11target_archE908ELNS1_3gpuE7ELNS1_3repE0EEENS1_59segmented_radix_sort_warp_sort_small_config_static_selectorELNS0_4arch9wavefront6targetE0EEEvSK_.has_recursion, 0
	.set _ZN7rocprim17ROCPRIM_400000_NS6detail17trampoline_kernelINS0_14default_configENS1_36segmented_radix_sort_config_selectorIflEEZNS1_25segmented_radix_sort_implIS3_Lb0EPKfPfPKlPlN2at6native12_GLOBAL__N_18offset_tEEE10hipError_tPvRmT1_PNSt15iterator_traitsISK_E10value_typeET2_T3_PNSL_ISQ_E10value_typeET4_jRbjT5_SW_jjP12ihipStream_tbEUlT_E1_NS1_11comp_targetILNS1_3genE3ELNS1_11target_archE908ELNS1_3gpuE7ELNS1_3repE0EEENS1_59segmented_radix_sort_warp_sort_small_config_static_selectorELNS0_4arch9wavefront6targetE0EEEvSK_.has_indirect_call, 0
	.section	.AMDGPU.csdata,"",@progbits
; Kernel info:
; codeLenInByte = 0
; TotalNumSgprs: 0
; NumVgprs: 0
; ScratchSize: 0
; MemoryBound: 0
; FloatMode: 240
; IeeeMode: 1
; LDSByteSize: 0 bytes/workgroup (compile time only)
; SGPRBlocks: 0
; VGPRBlocks: 0
; NumSGPRsForWavesPerEU: 1
; NumVGPRsForWavesPerEU: 1
; NamedBarCnt: 0
; Occupancy: 16
; WaveLimiterHint : 0
; COMPUTE_PGM_RSRC2:SCRATCH_EN: 0
; COMPUTE_PGM_RSRC2:USER_SGPR: 2
; COMPUTE_PGM_RSRC2:TRAP_HANDLER: 0
; COMPUTE_PGM_RSRC2:TGID_X_EN: 1
; COMPUTE_PGM_RSRC2:TGID_Y_EN: 0
; COMPUTE_PGM_RSRC2:TGID_Z_EN: 0
; COMPUTE_PGM_RSRC2:TIDIG_COMP_CNT: 0
	.section	.text._ZN7rocprim17ROCPRIM_400000_NS6detail17trampoline_kernelINS0_14default_configENS1_36segmented_radix_sort_config_selectorIflEEZNS1_25segmented_radix_sort_implIS3_Lb0EPKfPfPKlPlN2at6native12_GLOBAL__N_18offset_tEEE10hipError_tPvRmT1_PNSt15iterator_traitsISK_E10value_typeET2_T3_PNSL_ISQ_E10value_typeET4_jRbjT5_SW_jjP12ihipStream_tbEUlT_E1_NS1_11comp_targetILNS1_3genE2ELNS1_11target_archE906ELNS1_3gpuE6ELNS1_3repE0EEENS1_59segmented_radix_sort_warp_sort_small_config_static_selectorELNS0_4arch9wavefront6targetE0EEEvSK_,"axG",@progbits,_ZN7rocprim17ROCPRIM_400000_NS6detail17trampoline_kernelINS0_14default_configENS1_36segmented_radix_sort_config_selectorIflEEZNS1_25segmented_radix_sort_implIS3_Lb0EPKfPfPKlPlN2at6native12_GLOBAL__N_18offset_tEEE10hipError_tPvRmT1_PNSt15iterator_traitsISK_E10value_typeET2_T3_PNSL_ISQ_E10value_typeET4_jRbjT5_SW_jjP12ihipStream_tbEUlT_E1_NS1_11comp_targetILNS1_3genE2ELNS1_11target_archE906ELNS1_3gpuE6ELNS1_3repE0EEENS1_59segmented_radix_sort_warp_sort_small_config_static_selectorELNS0_4arch9wavefront6targetE0EEEvSK_,comdat
	.globl	_ZN7rocprim17ROCPRIM_400000_NS6detail17trampoline_kernelINS0_14default_configENS1_36segmented_radix_sort_config_selectorIflEEZNS1_25segmented_radix_sort_implIS3_Lb0EPKfPfPKlPlN2at6native12_GLOBAL__N_18offset_tEEE10hipError_tPvRmT1_PNSt15iterator_traitsISK_E10value_typeET2_T3_PNSL_ISQ_E10value_typeET4_jRbjT5_SW_jjP12ihipStream_tbEUlT_E1_NS1_11comp_targetILNS1_3genE2ELNS1_11target_archE906ELNS1_3gpuE6ELNS1_3repE0EEENS1_59segmented_radix_sort_warp_sort_small_config_static_selectorELNS0_4arch9wavefront6targetE0EEEvSK_ ; -- Begin function _ZN7rocprim17ROCPRIM_400000_NS6detail17trampoline_kernelINS0_14default_configENS1_36segmented_radix_sort_config_selectorIflEEZNS1_25segmented_radix_sort_implIS3_Lb0EPKfPfPKlPlN2at6native12_GLOBAL__N_18offset_tEEE10hipError_tPvRmT1_PNSt15iterator_traitsISK_E10value_typeET2_T3_PNSL_ISQ_E10value_typeET4_jRbjT5_SW_jjP12ihipStream_tbEUlT_E1_NS1_11comp_targetILNS1_3genE2ELNS1_11target_archE906ELNS1_3gpuE6ELNS1_3repE0EEENS1_59segmented_radix_sort_warp_sort_small_config_static_selectorELNS0_4arch9wavefront6targetE0EEEvSK_
	.p2align	8
	.type	_ZN7rocprim17ROCPRIM_400000_NS6detail17trampoline_kernelINS0_14default_configENS1_36segmented_radix_sort_config_selectorIflEEZNS1_25segmented_radix_sort_implIS3_Lb0EPKfPfPKlPlN2at6native12_GLOBAL__N_18offset_tEEE10hipError_tPvRmT1_PNSt15iterator_traitsISK_E10value_typeET2_T3_PNSL_ISQ_E10value_typeET4_jRbjT5_SW_jjP12ihipStream_tbEUlT_E1_NS1_11comp_targetILNS1_3genE2ELNS1_11target_archE906ELNS1_3gpuE6ELNS1_3repE0EEENS1_59segmented_radix_sort_warp_sort_small_config_static_selectorELNS0_4arch9wavefront6targetE0EEEvSK_,@function
_ZN7rocprim17ROCPRIM_400000_NS6detail17trampoline_kernelINS0_14default_configENS1_36segmented_radix_sort_config_selectorIflEEZNS1_25segmented_radix_sort_implIS3_Lb0EPKfPfPKlPlN2at6native12_GLOBAL__N_18offset_tEEE10hipError_tPvRmT1_PNSt15iterator_traitsISK_E10value_typeET2_T3_PNSL_ISQ_E10value_typeET4_jRbjT5_SW_jjP12ihipStream_tbEUlT_E1_NS1_11comp_targetILNS1_3genE2ELNS1_11target_archE906ELNS1_3gpuE6ELNS1_3repE0EEENS1_59segmented_radix_sort_warp_sort_small_config_static_selectorELNS0_4arch9wavefront6targetE0EEEvSK_: ; @_ZN7rocprim17ROCPRIM_400000_NS6detail17trampoline_kernelINS0_14default_configENS1_36segmented_radix_sort_config_selectorIflEEZNS1_25segmented_radix_sort_implIS3_Lb0EPKfPfPKlPlN2at6native12_GLOBAL__N_18offset_tEEE10hipError_tPvRmT1_PNSt15iterator_traitsISK_E10value_typeET2_T3_PNSL_ISQ_E10value_typeET4_jRbjT5_SW_jjP12ihipStream_tbEUlT_E1_NS1_11comp_targetILNS1_3genE2ELNS1_11target_archE906ELNS1_3gpuE6ELNS1_3repE0EEENS1_59segmented_radix_sort_warp_sort_small_config_static_selectorELNS0_4arch9wavefront6targetE0EEEvSK_
; %bb.0:
	.section	.rodata,"a",@progbits
	.p2align	6, 0x0
	.amdhsa_kernel _ZN7rocprim17ROCPRIM_400000_NS6detail17trampoline_kernelINS0_14default_configENS1_36segmented_radix_sort_config_selectorIflEEZNS1_25segmented_radix_sort_implIS3_Lb0EPKfPfPKlPlN2at6native12_GLOBAL__N_18offset_tEEE10hipError_tPvRmT1_PNSt15iterator_traitsISK_E10value_typeET2_T3_PNSL_ISQ_E10value_typeET4_jRbjT5_SW_jjP12ihipStream_tbEUlT_E1_NS1_11comp_targetILNS1_3genE2ELNS1_11target_archE906ELNS1_3gpuE6ELNS1_3repE0EEENS1_59segmented_radix_sort_warp_sort_small_config_static_selectorELNS0_4arch9wavefront6targetE0EEEvSK_
		.amdhsa_group_segment_fixed_size 0
		.amdhsa_private_segment_fixed_size 0
		.amdhsa_kernarg_size 88
		.amdhsa_user_sgpr_count 2
		.amdhsa_user_sgpr_dispatch_ptr 0
		.amdhsa_user_sgpr_queue_ptr 0
		.amdhsa_user_sgpr_kernarg_segment_ptr 1
		.amdhsa_user_sgpr_dispatch_id 0
		.amdhsa_user_sgpr_kernarg_preload_length 0
		.amdhsa_user_sgpr_kernarg_preload_offset 0
		.amdhsa_user_sgpr_private_segment_size 0
		.amdhsa_wavefront_size32 1
		.amdhsa_uses_dynamic_stack 0
		.amdhsa_enable_private_segment 0
		.amdhsa_system_sgpr_workgroup_id_x 1
		.amdhsa_system_sgpr_workgroup_id_y 0
		.amdhsa_system_sgpr_workgroup_id_z 0
		.amdhsa_system_sgpr_workgroup_info 0
		.amdhsa_system_vgpr_workitem_id 0
		.amdhsa_next_free_vgpr 1
		.amdhsa_next_free_sgpr 1
		.amdhsa_named_barrier_count 0
		.amdhsa_reserve_vcc 0
		.amdhsa_float_round_mode_32 0
		.amdhsa_float_round_mode_16_64 0
		.amdhsa_float_denorm_mode_32 3
		.amdhsa_float_denorm_mode_16_64 3
		.amdhsa_fp16_overflow 0
		.amdhsa_memory_ordered 1
		.amdhsa_forward_progress 1
		.amdhsa_inst_pref_size 0
		.amdhsa_round_robin_scheduling 0
		.amdhsa_exception_fp_ieee_invalid_op 0
		.amdhsa_exception_fp_denorm_src 0
		.amdhsa_exception_fp_ieee_div_zero 0
		.amdhsa_exception_fp_ieee_overflow 0
		.amdhsa_exception_fp_ieee_underflow 0
		.amdhsa_exception_fp_ieee_inexact 0
		.amdhsa_exception_int_div_zero 0
	.end_amdhsa_kernel
	.section	.text._ZN7rocprim17ROCPRIM_400000_NS6detail17trampoline_kernelINS0_14default_configENS1_36segmented_radix_sort_config_selectorIflEEZNS1_25segmented_radix_sort_implIS3_Lb0EPKfPfPKlPlN2at6native12_GLOBAL__N_18offset_tEEE10hipError_tPvRmT1_PNSt15iterator_traitsISK_E10value_typeET2_T3_PNSL_ISQ_E10value_typeET4_jRbjT5_SW_jjP12ihipStream_tbEUlT_E1_NS1_11comp_targetILNS1_3genE2ELNS1_11target_archE906ELNS1_3gpuE6ELNS1_3repE0EEENS1_59segmented_radix_sort_warp_sort_small_config_static_selectorELNS0_4arch9wavefront6targetE0EEEvSK_,"axG",@progbits,_ZN7rocprim17ROCPRIM_400000_NS6detail17trampoline_kernelINS0_14default_configENS1_36segmented_radix_sort_config_selectorIflEEZNS1_25segmented_radix_sort_implIS3_Lb0EPKfPfPKlPlN2at6native12_GLOBAL__N_18offset_tEEE10hipError_tPvRmT1_PNSt15iterator_traitsISK_E10value_typeET2_T3_PNSL_ISQ_E10value_typeET4_jRbjT5_SW_jjP12ihipStream_tbEUlT_E1_NS1_11comp_targetILNS1_3genE2ELNS1_11target_archE906ELNS1_3gpuE6ELNS1_3repE0EEENS1_59segmented_radix_sort_warp_sort_small_config_static_selectorELNS0_4arch9wavefront6targetE0EEEvSK_,comdat
.Lfunc_end1445:
	.size	_ZN7rocprim17ROCPRIM_400000_NS6detail17trampoline_kernelINS0_14default_configENS1_36segmented_radix_sort_config_selectorIflEEZNS1_25segmented_radix_sort_implIS3_Lb0EPKfPfPKlPlN2at6native12_GLOBAL__N_18offset_tEEE10hipError_tPvRmT1_PNSt15iterator_traitsISK_E10value_typeET2_T3_PNSL_ISQ_E10value_typeET4_jRbjT5_SW_jjP12ihipStream_tbEUlT_E1_NS1_11comp_targetILNS1_3genE2ELNS1_11target_archE906ELNS1_3gpuE6ELNS1_3repE0EEENS1_59segmented_radix_sort_warp_sort_small_config_static_selectorELNS0_4arch9wavefront6targetE0EEEvSK_, .Lfunc_end1445-_ZN7rocprim17ROCPRIM_400000_NS6detail17trampoline_kernelINS0_14default_configENS1_36segmented_radix_sort_config_selectorIflEEZNS1_25segmented_radix_sort_implIS3_Lb0EPKfPfPKlPlN2at6native12_GLOBAL__N_18offset_tEEE10hipError_tPvRmT1_PNSt15iterator_traitsISK_E10value_typeET2_T3_PNSL_ISQ_E10value_typeET4_jRbjT5_SW_jjP12ihipStream_tbEUlT_E1_NS1_11comp_targetILNS1_3genE2ELNS1_11target_archE906ELNS1_3gpuE6ELNS1_3repE0EEENS1_59segmented_radix_sort_warp_sort_small_config_static_selectorELNS0_4arch9wavefront6targetE0EEEvSK_
                                        ; -- End function
	.set _ZN7rocprim17ROCPRIM_400000_NS6detail17trampoline_kernelINS0_14default_configENS1_36segmented_radix_sort_config_selectorIflEEZNS1_25segmented_radix_sort_implIS3_Lb0EPKfPfPKlPlN2at6native12_GLOBAL__N_18offset_tEEE10hipError_tPvRmT1_PNSt15iterator_traitsISK_E10value_typeET2_T3_PNSL_ISQ_E10value_typeET4_jRbjT5_SW_jjP12ihipStream_tbEUlT_E1_NS1_11comp_targetILNS1_3genE2ELNS1_11target_archE906ELNS1_3gpuE6ELNS1_3repE0EEENS1_59segmented_radix_sort_warp_sort_small_config_static_selectorELNS0_4arch9wavefront6targetE0EEEvSK_.num_vgpr, 0
	.set _ZN7rocprim17ROCPRIM_400000_NS6detail17trampoline_kernelINS0_14default_configENS1_36segmented_radix_sort_config_selectorIflEEZNS1_25segmented_radix_sort_implIS3_Lb0EPKfPfPKlPlN2at6native12_GLOBAL__N_18offset_tEEE10hipError_tPvRmT1_PNSt15iterator_traitsISK_E10value_typeET2_T3_PNSL_ISQ_E10value_typeET4_jRbjT5_SW_jjP12ihipStream_tbEUlT_E1_NS1_11comp_targetILNS1_3genE2ELNS1_11target_archE906ELNS1_3gpuE6ELNS1_3repE0EEENS1_59segmented_radix_sort_warp_sort_small_config_static_selectorELNS0_4arch9wavefront6targetE0EEEvSK_.num_agpr, 0
	.set _ZN7rocprim17ROCPRIM_400000_NS6detail17trampoline_kernelINS0_14default_configENS1_36segmented_radix_sort_config_selectorIflEEZNS1_25segmented_radix_sort_implIS3_Lb0EPKfPfPKlPlN2at6native12_GLOBAL__N_18offset_tEEE10hipError_tPvRmT1_PNSt15iterator_traitsISK_E10value_typeET2_T3_PNSL_ISQ_E10value_typeET4_jRbjT5_SW_jjP12ihipStream_tbEUlT_E1_NS1_11comp_targetILNS1_3genE2ELNS1_11target_archE906ELNS1_3gpuE6ELNS1_3repE0EEENS1_59segmented_radix_sort_warp_sort_small_config_static_selectorELNS0_4arch9wavefront6targetE0EEEvSK_.numbered_sgpr, 0
	.set _ZN7rocprim17ROCPRIM_400000_NS6detail17trampoline_kernelINS0_14default_configENS1_36segmented_radix_sort_config_selectorIflEEZNS1_25segmented_radix_sort_implIS3_Lb0EPKfPfPKlPlN2at6native12_GLOBAL__N_18offset_tEEE10hipError_tPvRmT1_PNSt15iterator_traitsISK_E10value_typeET2_T3_PNSL_ISQ_E10value_typeET4_jRbjT5_SW_jjP12ihipStream_tbEUlT_E1_NS1_11comp_targetILNS1_3genE2ELNS1_11target_archE906ELNS1_3gpuE6ELNS1_3repE0EEENS1_59segmented_radix_sort_warp_sort_small_config_static_selectorELNS0_4arch9wavefront6targetE0EEEvSK_.num_named_barrier, 0
	.set _ZN7rocprim17ROCPRIM_400000_NS6detail17trampoline_kernelINS0_14default_configENS1_36segmented_radix_sort_config_selectorIflEEZNS1_25segmented_radix_sort_implIS3_Lb0EPKfPfPKlPlN2at6native12_GLOBAL__N_18offset_tEEE10hipError_tPvRmT1_PNSt15iterator_traitsISK_E10value_typeET2_T3_PNSL_ISQ_E10value_typeET4_jRbjT5_SW_jjP12ihipStream_tbEUlT_E1_NS1_11comp_targetILNS1_3genE2ELNS1_11target_archE906ELNS1_3gpuE6ELNS1_3repE0EEENS1_59segmented_radix_sort_warp_sort_small_config_static_selectorELNS0_4arch9wavefront6targetE0EEEvSK_.private_seg_size, 0
	.set _ZN7rocprim17ROCPRIM_400000_NS6detail17trampoline_kernelINS0_14default_configENS1_36segmented_radix_sort_config_selectorIflEEZNS1_25segmented_radix_sort_implIS3_Lb0EPKfPfPKlPlN2at6native12_GLOBAL__N_18offset_tEEE10hipError_tPvRmT1_PNSt15iterator_traitsISK_E10value_typeET2_T3_PNSL_ISQ_E10value_typeET4_jRbjT5_SW_jjP12ihipStream_tbEUlT_E1_NS1_11comp_targetILNS1_3genE2ELNS1_11target_archE906ELNS1_3gpuE6ELNS1_3repE0EEENS1_59segmented_radix_sort_warp_sort_small_config_static_selectorELNS0_4arch9wavefront6targetE0EEEvSK_.uses_vcc, 0
	.set _ZN7rocprim17ROCPRIM_400000_NS6detail17trampoline_kernelINS0_14default_configENS1_36segmented_radix_sort_config_selectorIflEEZNS1_25segmented_radix_sort_implIS3_Lb0EPKfPfPKlPlN2at6native12_GLOBAL__N_18offset_tEEE10hipError_tPvRmT1_PNSt15iterator_traitsISK_E10value_typeET2_T3_PNSL_ISQ_E10value_typeET4_jRbjT5_SW_jjP12ihipStream_tbEUlT_E1_NS1_11comp_targetILNS1_3genE2ELNS1_11target_archE906ELNS1_3gpuE6ELNS1_3repE0EEENS1_59segmented_radix_sort_warp_sort_small_config_static_selectorELNS0_4arch9wavefront6targetE0EEEvSK_.uses_flat_scratch, 0
	.set _ZN7rocprim17ROCPRIM_400000_NS6detail17trampoline_kernelINS0_14default_configENS1_36segmented_radix_sort_config_selectorIflEEZNS1_25segmented_radix_sort_implIS3_Lb0EPKfPfPKlPlN2at6native12_GLOBAL__N_18offset_tEEE10hipError_tPvRmT1_PNSt15iterator_traitsISK_E10value_typeET2_T3_PNSL_ISQ_E10value_typeET4_jRbjT5_SW_jjP12ihipStream_tbEUlT_E1_NS1_11comp_targetILNS1_3genE2ELNS1_11target_archE906ELNS1_3gpuE6ELNS1_3repE0EEENS1_59segmented_radix_sort_warp_sort_small_config_static_selectorELNS0_4arch9wavefront6targetE0EEEvSK_.has_dyn_sized_stack, 0
	.set _ZN7rocprim17ROCPRIM_400000_NS6detail17trampoline_kernelINS0_14default_configENS1_36segmented_radix_sort_config_selectorIflEEZNS1_25segmented_radix_sort_implIS3_Lb0EPKfPfPKlPlN2at6native12_GLOBAL__N_18offset_tEEE10hipError_tPvRmT1_PNSt15iterator_traitsISK_E10value_typeET2_T3_PNSL_ISQ_E10value_typeET4_jRbjT5_SW_jjP12ihipStream_tbEUlT_E1_NS1_11comp_targetILNS1_3genE2ELNS1_11target_archE906ELNS1_3gpuE6ELNS1_3repE0EEENS1_59segmented_radix_sort_warp_sort_small_config_static_selectorELNS0_4arch9wavefront6targetE0EEEvSK_.has_recursion, 0
	.set _ZN7rocprim17ROCPRIM_400000_NS6detail17trampoline_kernelINS0_14default_configENS1_36segmented_radix_sort_config_selectorIflEEZNS1_25segmented_radix_sort_implIS3_Lb0EPKfPfPKlPlN2at6native12_GLOBAL__N_18offset_tEEE10hipError_tPvRmT1_PNSt15iterator_traitsISK_E10value_typeET2_T3_PNSL_ISQ_E10value_typeET4_jRbjT5_SW_jjP12ihipStream_tbEUlT_E1_NS1_11comp_targetILNS1_3genE2ELNS1_11target_archE906ELNS1_3gpuE6ELNS1_3repE0EEENS1_59segmented_radix_sort_warp_sort_small_config_static_selectorELNS0_4arch9wavefront6targetE0EEEvSK_.has_indirect_call, 0
	.section	.AMDGPU.csdata,"",@progbits
; Kernel info:
; codeLenInByte = 0
; TotalNumSgprs: 0
; NumVgprs: 0
; ScratchSize: 0
; MemoryBound: 0
; FloatMode: 240
; IeeeMode: 1
; LDSByteSize: 0 bytes/workgroup (compile time only)
; SGPRBlocks: 0
; VGPRBlocks: 0
; NumSGPRsForWavesPerEU: 1
; NumVGPRsForWavesPerEU: 1
; NamedBarCnt: 0
; Occupancy: 16
; WaveLimiterHint : 0
; COMPUTE_PGM_RSRC2:SCRATCH_EN: 0
; COMPUTE_PGM_RSRC2:USER_SGPR: 2
; COMPUTE_PGM_RSRC2:TRAP_HANDLER: 0
; COMPUTE_PGM_RSRC2:TGID_X_EN: 1
; COMPUTE_PGM_RSRC2:TGID_Y_EN: 0
; COMPUTE_PGM_RSRC2:TGID_Z_EN: 0
; COMPUTE_PGM_RSRC2:TIDIG_COMP_CNT: 0
	.section	.text._ZN7rocprim17ROCPRIM_400000_NS6detail17trampoline_kernelINS0_14default_configENS1_36segmented_radix_sort_config_selectorIflEEZNS1_25segmented_radix_sort_implIS3_Lb0EPKfPfPKlPlN2at6native12_GLOBAL__N_18offset_tEEE10hipError_tPvRmT1_PNSt15iterator_traitsISK_E10value_typeET2_T3_PNSL_ISQ_E10value_typeET4_jRbjT5_SW_jjP12ihipStream_tbEUlT_E1_NS1_11comp_targetILNS1_3genE10ELNS1_11target_archE1201ELNS1_3gpuE5ELNS1_3repE0EEENS1_59segmented_radix_sort_warp_sort_small_config_static_selectorELNS0_4arch9wavefront6targetE0EEEvSK_,"axG",@progbits,_ZN7rocprim17ROCPRIM_400000_NS6detail17trampoline_kernelINS0_14default_configENS1_36segmented_radix_sort_config_selectorIflEEZNS1_25segmented_radix_sort_implIS3_Lb0EPKfPfPKlPlN2at6native12_GLOBAL__N_18offset_tEEE10hipError_tPvRmT1_PNSt15iterator_traitsISK_E10value_typeET2_T3_PNSL_ISQ_E10value_typeET4_jRbjT5_SW_jjP12ihipStream_tbEUlT_E1_NS1_11comp_targetILNS1_3genE10ELNS1_11target_archE1201ELNS1_3gpuE5ELNS1_3repE0EEENS1_59segmented_radix_sort_warp_sort_small_config_static_selectorELNS0_4arch9wavefront6targetE0EEEvSK_,comdat
	.globl	_ZN7rocprim17ROCPRIM_400000_NS6detail17trampoline_kernelINS0_14default_configENS1_36segmented_radix_sort_config_selectorIflEEZNS1_25segmented_radix_sort_implIS3_Lb0EPKfPfPKlPlN2at6native12_GLOBAL__N_18offset_tEEE10hipError_tPvRmT1_PNSt15iterator_traitsISK_E10value_typeET2_T3_PNSL_ISQ_E10value_typeET4_jRbjT5_SW_jjP12ihipStream_tbEUlT_E1_NS1_11comp_targetILNS1_3genE10ELNS1_11target_archE1201ELNS1_3gpuE5ELNS1_3repE0EEENS1_59segmented_radix_sort_warp_sort_small_config_static_selectorELNS0_4arch9wavefront6targetE0EEEvSK_ ; -- Begin function _ZN7rocprim17ROCPRIM_400000_NS6detail17trampoline_kernelINS0_14default_configENS1_36segmented_radix_sort_config_selectorIflEEZNS1_25segmented_radix_sort_implIS3_Lb0EPKfPfPKlPlN2at6native12_GLOBAL__N_18offset_tEEE10hipError_tPvRmT1_PNSt15iterator_traitsISK_E10value_typeET2_T3_PNSL_ISQ_E10value_typeET4_jRbjT5_SW_jjP12ihipStream_tbEUlT_E1_NS1_11comp_targetILNS1_3genE10ELNS1_11target_archE1201ELNS1_3gpuE5ELNS1_3repE0EEENS1_59segmented_radix_sort_warp_sort_small_config_static_selectorELNS0_4arch9wavefront6targetE0EEEvSK_
	.p2align	8
	.type	_ZN7rocprim17ROCPRIM_400000_NS6detail17trampoline_kernelINS0_14default_configENS1_36segmented_radix_sort_config_selectorIflEEZNS1_25segmented_radix_sort_implIS3_Lb0EPKfPfPKlPlN2at6native12_GLOBAL__N_18offset_tEEE10hipError_tPvRmT1_PNSt15iterator_traitsISK_E10value_typeET2_T3_PNSL_ISQ_E10value_typeET4_jRbjT5_SW_jjP12ihipStream_tbEUlT_E1_NS1_11comp_targetILNS1_3genE10ELNS1_11target_archE1201ELNS1_3gpuE5ELNS1_3repE0EEENS1_59segmented_radix_sort_warp_sort_small_config_static_selectorELNS0_4arch9wavefront6targetE0EEEvSK_,@function
_ZN7rocprim17ROCPRIM_400000_NS6detail17trampoline_kernelINS0_14default_configENS1_36segmented_radix_sort_config_selectorIflEEZNS1_25segmented_radix_sort_implIS3_Lb0EPKfPfPKlPlN2at6native12_GLOBAL__N_18offset_tEEE10hipError_tPvRmT1_PNSt15iterator_traitsISK_E10value_typeET2_T3_PNSL_ISQ_E10value_typeET4_jRbjT5_SW_jjP12ihipStream_tbEUlT_E1_NS1_11comp_targetILNS1_3genE10ELNS1_11target_archE1201ELNS1_3gpuE5ELNS1_3repE0EEENS1_59segmented_radix_sort_warp_sort_small_config_static_selectorELNS0_4arch9wavefront6targetE0EEEvSK_: ; @_ZN7rocprim17ROCPRIM_400000_NS6detail17trampoline_kernelINS0_14default_configENS1_36segmented_radix_sort_config_selectorIflEEZNS1_25segmented_radix_sort_implIS3_Lb0EPKfPfPKlPlN2at6native12_GLOBAL__N_18offset_tEEE10hipError_tPvRmT1_PNSt15iterator_traitsISK_E10value_typeET2_T3_PNSL_ISQ_E10value_typeET4_jRbjT5_SW_jjP12ihipStream_tbEUlT_E1_NS1_11comp_targetILNS1_3genE10ELNS1_11target_archE1201ELNS1_3gpuE5ELNS1_3repE0EEENS1_59segmented_radix_sort_warp_sort_small_config_static_selectorELNS0_4arch9wavefront6targetE0EEEvSK_
; %bb.0:
	.section	.rodata,"a",@progbits
	.p2align	6, 0x0
	.amdhsa_kernel _ZN7rocprim17ROCPRIM_400000_NS6detail17trampoline_kernelINS0_14default_configENS1_36segmented_radix_sort_config_selectorIflEEZNS1_25segmented_radix_sort_implIS3_Lb0EPKfPfPKlPlN2at6native12_GLOBAL__N_18offset_tEEE10hipError_tPvRmT1_PNSt15iterator_traitsISK_E10value_typeET2_T3_PNSL_ISQ_E10value_typeET4_jRbjT5_SW_jjP12ihipStream_tbEUlT_E1_NS1_11comp_targetILNS1_3genE10ELNS1_11target_archE1201ELNS1_3gpuE5ELNS1_3repE0EEENS1_59segmented_radix_sort_warp_sort_small_config_static_selectorELNS0_4arch9wavefront6targetE0EEEvSK_
		.amdhsa_group_segment_fixed_size 0
		.amdhsa_private_segment_fixed_size 0
		.amdhsa_kernarg_size 88
		.amdhsa_user_sgpr_count 2
		.amdhsa_user_sgpr_dispatch_ptr 0
		.amdhsa_user_sgpr_queue_ptr 0
		.amdhsa_user_sgpr_kernarg_segment_ptr 1
		.amdhsa_user_sgpr_dispatch_id 0
		.amdhsa_user_sgpr_kernarg_preload_length 0
		.amdhsa_user_sgpr_kernarg_preload_offset 0
		.amdhsa_user_sgpr_private_segment_size 0
		.amdhsa_wavefront_size32 1
		.amdhsa_uses_dynamic_stack 0
		.amdhsa_enable_private_segment 0
		.amdhsa_system_sgpr_workgroup_id_x 1
		.amdhsa_system_sgpr_workgroup_id_y 0
		.amdhsa_system_sgpr_workgroup_id_z 0
		.amdhsa_system_sgpr_workgroup_info 0
		.amdhsa_system_vgpr_workitem_id 0
		.amdhsa_next_free_vgpr 1
		.amdhsa_next_free_sgpr 1
		.amdhsa_named_barrier_count 0
		.amdhsa_reserve_vcc 0
		.amdhsa_float_round_mode_32 0
		.amdhsa_float_round_mode_16_64 0
		.amdhsa_float_denorm_mode_32 3
		.amdhsa_float_denorm_mode_16_64 3
		.amdhsa_fp16_overflow 0
		.amdhsa_memory_ordered 1
		.amdhsa_forward_progress 1
		.amdhsa_inst_pref_size 0
		.amdhsa_round_robin_scheduling 0
		.amdhsa_exception_fp_ieee_invalid_op 0
		.amdhsa_exception_fp_denorm_src 0
		.amdhsa_exception_fp_ieee_div_zero 0
		.amdhsa_exception_fp_ieee_overflow 0
		.amdhsa_exception_fp_ieee_underflow 0
		.amdhsa_exception_fp_ieee_inexact 0
		.amdhsa_exception_int_div_zero 0
	.end_amdhsa_kernel
	.section	.text._ZN7rocprim17ROCPRIM_400000_NS6detail17trampoline_kernelINS0_14default_configENS1_36segmented_radix_sort_config_selectorIflEEZNS1_25segmented_radix_sort_implIS3_Lb0EPKfPfPKlPlN2at6native12_GLOBAL__N_18offset_tEEE10hipError_tPvRmT1_PNSt15iterator_traitsISK_E10value_typeET2_T3_PNSL_ISQ_E10value_typeET4_jRbjT5_SW_jjP12ihipStream_tbEUlT_E1_NS1_11comp_targetILNS1_3genE10ELNS1_11target_archE1201ELNS1_3gpuE5ELNS1_3repE0EEENS1_59segmented_radix_sort_warp_sort_small_config_static_selectorELNS0_4arch9wavefront6targetE0EEEvSK_,"axG",@progbits,_ZN7rocprim17ROCPRIM_400000_NS6detail17trampoline_kernelINS0_14default_configENS1_36segmented_radix_sort_config_selectorIflEEZNS1_25segmented_radix_sort_implIS3_Lb0EPKfPfPKlPlN2at6native12_GLOBAL__N_18offset_tEEE10hipError_tPvRmT1_PNSt15iterator_traitsISK_E10value_typeET2_T3_PNSL_ISQ_E10value_typeET4_jRbjT5_SW_jjP12ihipStream_tbEUlT_E1_NS1_11comp_targetILNS1_3genE10ELNS1_11target_archE1201ELNS1_3gpuE5ELNS1_3repE0EEENS1_59segmented_radix_sort_warp_sort_small_config_static_selectorELNS0_4arch9wavefront6targetE0EEEvSK_,comdat
.Lfunc_end1446:
	.size	_ZN7rocprim17ROCPRIM_400000_NS6detail17trampoline_kernelINS0_14default_configENS1_36segmented_radix_sort_config_selectorIflEEZNS1_25segmented_radix_sort_implIS3_Lb0EPKfPfPKlPlN2at6native12_GLOBAL__N_18offset_tEEE10hipError_tPvRmT1_PNSt15iterator_traitsISK_E10value_typeET2_T3_PNSL_ISQ_E10value_typeET4_jRbjT5_SW_jjP12ihipStream_tbEUlT_E1_NS1_11comp_targetILNS1_3genE10ELNS1_11target_archE1201ELNS1_3gpuE5ELNS1_3repE0EEENS1_59segmented_radix_sort_warp_sort_small_config_static_selectorELNS0_4arch9wavefront6targetE0EEEvSK_, .Lfunc_end1446-_ZN7rocprim17ROCPRIM_400000_NS6detail17trampoline_kernelINS0_14default_configENS1_36segmented_radix_sort_config_selectorIflEEZNS1_25segmented_radix_sort_implIS3_Lb0EPKfPfPKlPlN2at6native12_GLOBAL__N_18offset_tEEE10hipError_tPvRmT1_PNSt15iterator_traitsISK_E10value_typeET2_T3_PNSL_ISQ_E10value_typeET4_jRbjT5_SW_jjP12ihipStream_tbEUlT_E1_NS1_11comp_targetILNS1_3genE10ELNS1_11target_archE1201ELNS1_3gpuE5ELNS1_3repE0EEENS1_59segmented_radix_sort_warp_sort_small_config_static_selectorELNS0_4arch9wavefront6targetE0EEEvSK_
                                        ; -- End function
	.set _ZN7rocprim17ROCPRIM_400000_NS6detail17trampoline_kernelINS0_14default_configENS1_36segmented_radix_sort_config_selectorIflEEZNS1_25segmented_radix_sort_implIS3_Lb0EPKfPfPKlPlN2at6native12_GLOBAL__N_18offset_tEEE10hipError_tPvRmT1_PNSt15iterator_traitsISK_E10value_typeET2_T3_PNSL_ISQ_E10value_typeET4_jRbjT5_SW_jjP12ihipStream_tbEUlT_E1_NS1_11comp_targetILNS1_3genE10ELNS1_11target_archE1201ELNS1_3gpuE5ELNS1_3repE0EEENS1_59segmented_radix_sort_warp_sort_small_config_static_selectorELNS0_4arch9wavefront6targetE0EEEvSK_.num_vgpr, 0
	.set _ZN7rocprim17ROCPRIM_400000_NS6detail17trampoline_kernelINS0_14default_configENS1_36segmented_radix_sort_config_selectorIflEEZNS1_25segmented_radix_sort_implIS3_Lb0EPKfPfPKlPlN2at6native12_GLOBAL__N_18offset_tEEE10hipError_tPvRmT1_PNSt15iterator_traitsISK_E10value_typeET2_T3_PNSL_ISQ_E10value_typeET4_jRbjT5_SW_jjP12ihipStream_tbEUlT_E1_NS1_11comp_targetILNS1_3genE10ELNS1_11target_archE1201ELNS1_3gpuE5ELNS1_3repE0EEENS1_59segmented_radix_sort_warp_sort_small_config_static_selectorELNS0_4arch9wavefront6targetE0EEEvSK_.num_agpr, 0
	.set _ZN7rocprim17ROCPRIM_400000_NS6detail17trampoline_kernelINS0_14default_configENS1_36segmented_radix_sort_config_selectorIflEEZNS1_25segmented_radix_sort_implIS3_Lb0EPKfPfPKlPlN2at6native12_GLOBAL__N_18offset_tEEE10hipError_tPvRmT1_PNSt15iterator_traitsISK_E10value_typeET2_T3_PNSL_ISQ_E10value_typeET4_jRbjT5_SW_jjP12ihipStream_tbEUlT_E1_NS1_11comp_targetILNS1_3genE10ELNS1_11target_archE1201ELNS1_3gpuE5ELNS1_3repE0EEENS1_59segmented_radix_sort_warp_sort_small_config_static_selectorELNS0_4arch9wavefront6targetE0EEEvSK_.numbered_sgpr, 0
	.set _ZN7rocprim17ROCPRIM_400000_NS6detail17trampoline_kernelINS0_14default_configENS1_36segmented_radix_sort_config_selectorIflEEZNS1_25segmented_radix_sort_implIS3_Lb0EPKfPfPKlPlN2at6native12_GLOBAL__N_18offset_tEEE10hipError_tPvRmT1_PNSt15iterator_traitsISK_E10value_typeET2_T3_PNSL_ISQ_E10value_typeET4_jRbjT5_SW_jjP12ihipStream_tbEUlT_E1_NS1_11comp_targetILNS1_3genE10ELNS1_11target_archE1201ELNS1_3gpuE5ELNS1_3repE0EEENS1_59segmented_radix_sort_warp_sort_small_config_static_selectorELNS0_4arch9wavefront6targetE0EEEvSK_.num_named_barrier, 0
	.set _ZN7rocprim17ROCPRIM_400000_NS6detail17trampoline_kernelINS0_14default_configENS1_36segmented_radix_sort_config_selectorIflEEZNS1_25segmented_radix_sort_implIS3_Lb0EPKfPfPKlPlN2at6native12_GLOBAL__N_18offset_tEEE10hipError_tPvRmT1_PNSt15iterator_traitsISK_E10value_typeET2_T3_PNSL_ISQ_E10value_typeET4_jRbjT5_SW_jjP12ihipStream_tbEUlT_E1_NS1_11comp_targetILNS1_3genE10ELNS1_11target_archE1201ELNS1_3gpuE5ELNS1_3repE0EEENS1_59segmented_radix_sort_warp_sort_small_config_static_selectorELNS0_4arch9wavefront6targetE0EEEvSK_.private_seg_size, 0
	.set _ZN7rocprim17ROCPRIM_400000_NS6detail17trampoline_kernelINS0_14default_configENS1_36segmented_radix_sort_config_selectorIflEEZNS1_25segmented_radix_sort_implIS3_Lb0EPKfPfPKlPlN2at6native12_GLOBAL__N_18offset_tEEE10hipError_tPvRmT1_PNSt15iterator_traitsISK_E10value_typeET2_T3_PNSL_ISQ_E10value_typeET4_jRbjT5_SW_jjP12ihipStream_tbEUlT_E1_NS1_11comp_targetILNS1_3genE10ELNS1_11target_archE1201ELNS1_3gpuE5ELNS1_3repE0EEENS1_59segmented_radix_sort_warp_sort_small_config_static_selectorELNS0_4arch9wavefront6targetE0EEEvSK_.uses_vcc, 0
	.set _ZN7rocprim17ROCPRIM_400000_NS6detail17trampoline_kernelINS0_14default_configENS1_36segmented_radix_sort_config_selectorIflEEZNS1_25segmented_radix_sort_implIS3_Lb0EPKfPfPKlPlN2at6native12_GLOBAL__N_18offset_tEEE10hipError_tPvRmT1_PNSt15iterator_traitsISK_E10value_typeET2_T3_PNSL_ISQ_E10value_typeET4_jRbjT5_SW_jjP12ihipStream_tbEUlT_E1_NS1_11comp_targetILNS1_3genE10ELNS1_11target_archE1201ELNS1_3gpuE5ELNS1_3repE0EEENS1_59segmented_radix_sort_warp_sort_small_config_static_selectorELNS0_4arch9wavefront6targetE0EEEvSK_.uses_flat_scratch, 0
	.set _ZN7rocprim17ROCPRIM_400000_NS6detail17trampoline_kernelINS0_14default_configENS1_36segmented_radix_sort_config_selectorIflEEZNS1_25segmented_radix_sort_implIS3_Lb0EPKfPfPKlPlN2at6native12_GLOBAL__N_18offset_tEEE10hipError_tPvRmT1_PNSt15iterator_traitsISK_E10value_typeET2_T3_PNSL_ISQ_E10value_typeET4_jRbjT5_SW_jjP12ihipStream_tbEUlT_E1_NS1_11comp_targetILNS1_3genE10ELNS1_11target_archE1201ELNS1_3gpuE5ELNS1_3repE0EEENS1_59segmented_radix_sort_warp_sort_small_config_static_selectorELNS0_4arch9wavefront6targetE0EEEvSK_.has_dyn_sized_stack, 0
	.set _ZN7rocprim17ROCPRIM_400000_NS6detail17trampoline_kernelINS0_14default_configENS1_36segmented_radix_sort_config_selectorIflEEZNS1_25segmented_radix_sort_implIS3_Lb0EPKfPfPKlPlN2at6native12_GLOBAL__N_18offset_tEEE10hipError_tPvRmT1_PNSt15iterator_traitsISK_E10value_typeET2_T3_PNSL_ISQ_E10value_typeET4_jRbjT5_SW_jjP12ihipStream_tbEUlT_E1_NS1_11comp_targetILNS1_3genE10ELNS1_11target_archE1201ELNS1_3gpuE5ELNS1_3repE0EEENS1_59segmented_radix_sort_warp_sort_small_config_static_selectorELNS0_4arch9wavefront6targetE0EEEvSK_.has_recursion, 0
	.set _ZN7rocprim17ROCPRIM_400000_NS6detail17trampoline_kernelINS0_14default_configENS1_36segmented_radix_sort_config_selectorIflEEZNS1_25segmented_radix_sort_implIS3_Lb0EPKfPfPKlPlN2at6native12_GLOBAL__N_18offset_tEEE10hipError_tPvRmT1_PNSt15iterator_traitsISK_E10value_typeET2_T3_PNSL_ISQ_E10value_typeET4_jRbjT5_SW_jjP12ihipStream_tbEUlT_E1_NS1_11comp_targetILNS1_3genE10ELNS1_11target_archE1201ELNS1_3gpuE5ELNS1_3repE0EEENS1_59segmented_radix_sort_warp_sort_small_config_static_selectorELNS0_4arch9wavefront6targetE0EEEvSK_.has_indirect_call, 0
	.section	.AMDGPU.csdata,"",@progbits
; Kernel info:
; codeLenInByte = 0
; TotalNumSgprs: 0
; NumVgprs: 0
; ScratchSize: 0
; MemoryBound: 0
; FloatMode: 240
; IeeeMode: 1
; LDSByteSize: 0 bytes/workgroup (compile time only)
; SGPRBlocks: 0
; VGPRBlocks: 0
; NumSGPRsForWavesPerEU: 1
; NumVGPRsForWavesPerEU: 1
; NamedBarCnt: 0
; Occupancy: 16
; WaveLimiterHint : 0
; COMPUTE_PGM_RSRC2:SCRATCH_EN: 0
; COMPUTE_PGM_RSRC2:USER_SGPR: 2
; COMPUTE_PGM_RSRC2:TRAP_HANDLER: 0
; COMPUTE_PGM_RSRC2:TGID_X_EN: 1
; COMPUTE_PGM_RSRC2:TGID_Y_EN: 0
; COMPUTE_PGM_RSRC2:TGID_Z_EN: 0
; COMPUTE_PGM_RSRC2:TIDIG_COMP_CNT: 0
	.section	.text._ZN7rocprim17ROCPRIM_400000_NS6detail17trampoline_kernelINS0_14default_configENS1_36segmented_radix_sort_config_selectorIflEEZNS1_25segmented_radix_sort_implIS3_Lb0EPKfPfPKlPlN2at6native12_GLOBAL__N_18offset_tEEE10hipError_tPvRmT1_PNSt15iterator_traitsISK_E10value_typeET2_T3_PNSL_ISQ_E10value_typeET4_jRbjT5_SW_jjP12ihipStream_tbEUlT_E1_NS1_11comp_targetILNS1_3genE10ELNS1_11target_archE1200ELNS1_3gpuE4ELNS1_3repE0EEENS1_59segmented_radix_sort_warp_sort_small_config_static_selectorELNS0_4arch9wavefront6targetE0EEEvSK_,"axG",@progbits,_ZN7rocprim17ROCPRIM_400000_NS6detail17trampoline_kernelINS0_14default_configENS1_36segmented_radix_sort_config_selectorIflEEZNS1_25segmented_radix_sort_implIS3_Lb0EPKfPfPKlPlN2at6native12_GLOBAL__N_18offset_tEEE10hipError_tPvRmT1_PNSt15iterator_traitsISK_E10value_typeET2_T3_PNSL_ISQ_E10value_typeET4_jRbjT5_SW_jjP12ihipStream_tbEUlT_E1_NS1_11comp_targetILNS1_3genE10ELNS1_11target_archE1200ELNS1_3gpuE4ELNS1_3repE0EEENS1_59segmented_radix_sort_warp_sort_small_config_static_selectorELNS0_4arch9wavefront6targetE0EEEvSK_,comdat
	.globl	_ZN7rocprim17ROCPRIM_400000_NS6detail17trampoline_kernelINS0_14default_configENS1_36segmented_radix_sort_config_selectorIflEEZNS1_25segmented_radix_sort_implIS3_Lb0EPKfPfPKlPlN2at6native12_GLOBAL__N_18offset_tEEE10hipError_tPvRmT1_PNSt15iterator_traitsISK_E10value_typeET2_T3_PNSL_ISQ_E10value_typeET4_jRbjT5_SW_jjP12ihipStream_tbEUlT_E1_NS1_11comp_targetILNS1_3genE10ELNS1_11target_archE1200ELNS1_3gpuE4ELNS1_3repE0EEENS1_59segmented_radix_sort_warp_sort_small_config_static_selectorELNS0_4arch9wavefront6targetE0EEEvSK_ ; -- Begin function _ZN7rocprim17ROCPRIM_400000_NS6detail17trampoline_kernelINS0_14default_configENS1_36segmented_radix_sort_config_selectorIflEEZNS1_25segmented_radix_sort_implIS3_Lb0EPKfPfPKlPlN2at6native12_GLOBAL__N_18offset_tEEE10hipError_tPvRmT1_PNSt15iterator_traitsISK_E10value_typeET2_T3_PNSL_ISQ_E10value_typeET4_jRbjT5_SW_jjP12ihipStream_tbEUlT_E1_NS1_11comp_targetILNS1_3genE10ELNS1_11target_archE1200ELNS1_3gpuE4ELNS1_3repE0EEENS1_59segmented_radix_sort_warp_sort_small_config_static_selectorELNS0_4arch9wavefront6targetE0EEEvSK_
	.p2align	8
	.type	_ZN7rocprim17ROCPRIM_400000_NS6detail17trampoline_kernelINS0_14default_configENS1_36segmented_radix_sort_config_selectorIflEEZNS1_25segmented_radix_sort_implIS3_Lb0EPKfPfPKlPlN2at6native12_GLOBAL__N_18offset_tEEE10hipError_tPvRmT1_PNSt15iterator_traitsISK_E10value_typeET2_T3_PNSL_ISQ_E10value_typeET4_jRbjT5_SW_jjP12ihipStream_tbEUlT_E1_NS1_11comp_targetILNS1_3genE10ELNS1_11target_archE1200ELNS1_3gpuE4ELNS1_3repE0EEENS1_59segmented_radix_sort_warp_sort_small_config_static_selectorELNS0_4arch9wavefront6targetE0EEEvSK_,@function
_ZN7rocprim17ROCPRIM_400000_NS6detail17trampoline_kernelINS0_14default_configENS1_36segmented_radix_sort_config_selectorIflEEZNS1_25segmented_radix_sort_implIS3_Lb0EPKfPfPKlPlN2at6native12_GLOBAL__N_18offset_tEEE10hipError_tPvRmT1_PNSt15iterator_traitsISK_E10value_typeET2_T3_PNSL_ISQ_E10value_typeET4_jRbjT5_SW_jjP12ihipStream_tbEUlT_E1_NS1_11comp_targetILNS1_3genE10ELNS1_11target_archE1200ELNS1_3gpuE4ELNS1_3repE0EEENS1_59segmented_radix_sort_warp_sort_small_config_static_selectorELNS0_4arch9wavefront6targetE0EEEvSK_: ; @_ZN7rocprim17ROCPRIM_400000_NS6detail17trampoline_kernelINS0_14default_configENS1_36segmented_radix_sort_config_selectorIflEEZNS1_25segmented_radix_sort_implIS3_Lb0EPKfPfPKlPlN2at6native12_GLOBAL__N_18offset_tEEE10hipError_tPvRmT1_PNSt15iterator_traitsISK_E10value_typeET2_T3_PNSL_ISQ_E10value_typeET4_jRbjT5_SW_jjP12ihipStream_tbEUlT_E1_NS1_11comp_targetILNS1_3genE10ELNS1_11target_archE1200ELNS1_3gpuE4ELNS1_3repE0EEENS1_59segmented_radix_sort_warp_sort_small_config_static_selectorELNS0_4arch9wavefront6targetE0EEEvSK_
; %bb.0:
	.section	.rodata,"a",@progbits
	.p2align	6, 0x0
	.amdhsa_kernel _ZN7rocprim17ROCPRIM_400000_NS6detail17trampoline_kernelINS0_14default_configENS1_36segmented_radix_sort_config_selectorIflEEZNS1_25segmented_radix_sort_implIS3_Lb0EPKfPfPKlPlN2at6native12_GLOBAL__N_18offset_tEEE10hipError_tPvRmT1_PNSt15iterator_traitsISK_E10value_typeET2_T3_PNSL_ISQ_E10value_typeET4_jRbjT5_SW_jjP12ihipStream_tbEUlT_E1_NS1_11comp_targetILNS1_3genE10ELNS1_11target_archE1200ELNS1_3gpuE4ELNS1_3repE0EEENS1_59segmented_radix_sort_warp_sort_small_config_static_selectorELNS0_4arch9wavefront6targetE0EEEvSK_
		.amdhsa_group_segment_fixed_size 0
		.amdhsa_private_segment_fixed_size 0
		.amdhsa_kernarg_size 88
		.amdhsa_user_sgpr_count 2
		.amdhsa_user_sgpr_dispatch_ptr 0
		.amdhsa_user_sgpr_queue_ptr 0
		.amdhsa_user_sgpr_kernarg_segment_ptr 1
		.amdhsa_user_sgpr_dispatch_id 0
		.amdhsa_user_sgpr_kernarg_preload_length 0
		.amdhsa_user_sgpr_kernarg_preload_offset 0
		.amdhsa_user_sgpr_private_segment_size 0
		.amdhsa_wavefront_size32 1
		.amdhsa_uses_dynamic_stack 0
		.amdhsa_enable_private_segment 0
		.amdhsa_system_sgpr_workgroup_id_x 1
		.amdhsa_system_sgpr_workgroup_id_y 0
		.amdhsa_system_sgpr_workgroup_id_z 0
		.amdhsa_system_sgpr_workgroup_info 0
		.amdhsa_system_vgpr_workitem_id 0
		.amdhsa_next_free_vgpr 1
		.amdhsa_next_free_sgpr 1
		.amdhsa_named_barrier_count 0
		.amdhsa_reserve_vcc 0
		.amdhsa_float_round_mode_32 0
		.amdhsa_float_round_mode_16_64 0
		.amdhsa_float_denorm_mode_32 3
		.amdhsa_float_denorm_mode_16_64 3
		.amdhsa_fp16_overflow 0
		.amdhsa_memory_ordered 1
		.amdhsa_forward_progress 1
		.amdhsa_inst_pref_size 0
		.amdhsa_round_robin_scheduling 0
		.amdhsa_exception_fp_ieee_invalid_op 0
		.amdhsa_exception_fp_denorm_src 0
		.amdhsa_exception_fp_ieee_div_zero 0
		.amdhsa_exception_fp_ieee_overflow 0
		.amdhsa_exception_fp_ieee_underflow 0
		.amdhsa_exception_fp_ieee_inexact 0
		.amdhsa_exception_int_div_zero 0
	.end_amdhsa_kernel
	.section	.text._ZN7rocprim17ROCPRIM_400000_NS6detail17trampoline_kernelINS0_14default_configENS1_36segmented_radix_sort_config_selectorIflEEZNS1_25segmented_radix_sort_implIS3_Lb0EPKfPfPKlPlN2at6native12_GLOBAL__N_18offset_tEEE10hipError_tPvRmT1_PNSt15iterator_traitsISK_E10value_typeET2_T3_PNSL_ISQ_E10value_typeET4_jRbjT5_SW_jjP12ihipStream_tbEUlT_E1_NS1_11comp_targetILNS1_3genE10ELNS1_11target_archE1200ELNS1_3gpuE4ELNS1_3repE0EEENS1_59segmented_radix_sort_warp_sort_small_config_static_selectorELNS0_4arch9wavefront6targetE0EEEvSK_,"axG",@progbits,_ZN7rocprim17ROCPRIM_400000_NS6detail17trampoline_kernelINS0_14default_configENS1_36segmented_radix_sort_config_selectorIflEEZNS1_25segmented_radix_sort_implIS3_Lb0EPKfPfPKlPlN2at6native12_GLOBAL__N_18offset_tEEE10hipError_tPvRmT1_PNSt15iterator_traitsISK_E10value_typeET2_T3_PNSL_ISQ_E10value_typeET4_jRbjT5_SW_jjP12ihipStream_tbEUlT_E1_NS1_11comp_targetILNS1_3genE10ELNS1_11target_archE1200ELNS1_3gpuE4ELNS1_3repE0EEENS1_59segmented_radix_sort_warp_sort_small_config_static_selectorELNS0_4arch9wavefront6targetE0EEEvSK_,comdat
.Lfunc_end1447:
	.size	_ZN7rocprim17ROCPRIM_400000_NS6detail17trampoline_kernelINS0_14default_configENS1_36segmented_radix_sort_config_selectorIflEEZNS1_25segmented_radix_sort_implIS3_Lb0EPKfPfPKlPlN2at6native12_GLOBAL__N_18offset_tEEE10hipError_tPvRmT1_PNSt15iterator_traitsISK_E10value_typeET2_T3_PNSL_ISQ_E10value_typeET4_jRbjT5_SW_jjP12ihipStream_tbEUlT_E1_NS1_11comp_targetILNS1_3genE10ELNS1_11target_archE1200ELNS1_3gpuE4ELNS1_3repE0EEENS1_59segmented_radix_sort_warp_sort_small_config_static_selectorELNS0_4arch9wavefront6targetE0EEEvSK_, .Lfunc_end1447-_ZN7rocprim17ROCPRIM_400000_NS6detail17trampoline_kernelINS0_14default_configENS1_36segmented_radix_sort_config_selectorIflEEZNS1_25segmented_radix_sort_implIS3_Lb0EPKfPfPKlPlN2at6native12_GLOBAL__N_18offset_tEEE10hipError_tPvRmT1_PNSt15iterator_traitsISK_E10value_typeET2_T3_PNSL_ISQ_E10value_typeET4_jRbjT5_SW_jjP12ihipStream_tbEUlT_E1_NS1_11comp_targetILNS1_3genE10ELNS1_11target_archE1200ELNS1_3gpuE4ELNS1_3repE0EEENS1_59segmented_radix_sort_warp_sort_small_config_static_selectorELNS0_4arch9wavefront6targetE0EEEvSK_
                                        ; -- End function
	.set _ZN7rocprim17ROCPRIM_400000_NS6detail17trampoline_kernelINS0_14default_configENS1_36segmented_radix_sort_config_selectorIflEEZNS1_25segmented_radix_sort_implIS3_Lb0EPKfPfPKlPlN2at6native12_GLOBAL__N_18offset_tEEE10hipError_tPvRmT1_PNSt15iterator_traitsISK_E10value_typeET2_T3_PNSL_ISQ_E10value_typeET4_jRbjT5_SW_jjP12ihipStream_tbEUlT_E1_NS1_11comp_targetILNS1_3genE10ELNS1_11target_archE1200ELNS1_3gpuE4ELNS1_3repE0EEENS1_59segmented_radix_sort_warp_sort_small_config_static_selectorELNS0_4arch9wavefront6targetE0EEEvSK_.num_vgpr, 0
	.set _ZN7rocprim17ROCPRIM_400000_NS6detail17trampoline_kernelINS0_14default_configENS1_36segmented_radix_sort_config_selectorIflEEZNS1_25segmented_radix_sort_implIS3_Lb0EPKfPfPKlPlN2at6native12_GLOBAL__N_18offset_tEEE10hipError_tPvRmT1_PNSt15iterator_traitsISK_E10value_typeET2_T3_PNSL_ISQ_E10value_typeET4_jRbjT5_SW_jjP12ihipStream_tbEUlT_E1_NS1_11comp_targetILNS1_3genE10ELNS1_11target_archE1200ELNS1_3gpuE4ELNS1_3repE0EEENS1_59segmented_radix_sort_warp_sort_small_config_static_selectorELNS0_4arch9wavefront6targetE0EEEvSK_.num_agpr, 0
	.set _ZN7rocprim17ROCPRIM_400000_NS6detail17trampoline_kernelINS0_14default_configENS1_36segmented_radix_sort_config_selectorIflEEZNS1_25segmented_radix_sort_implIS3_Lb0EPKfPfPKlPlN2at6native12_GLOBAL__N_18offset_tEEE10hipError_tPvRmT1_PNSt15iterator_traitsISK_E10value_typeET2_T3_PNSL_ISQ_E10value_typeET4_jRbjT5_SW_jjP12ihipStream_tbEUlT_E1_NS1_11comp_targetILNS1_3genE10ELNS1_11target_archE1200ELNS1_3gpuE4ELNS1_3repE0EEENS1_59segmented_radix_sort_warp_sort_small_config_static_selectorELNS0_4arch9wavefront6targetE0EEEvSK_.numbered_sgpr, 0
	.set _ZN7rocprim17ROCPRIM_400000_NS6detail17trampoline_kernelINS0_14default_configENS1_36segmented_radix_sort_config_selectorIflEEZNS1_25segmented_radix_sort_implIS3_Lb0EPKfPfPKlPlN2at6native12_GLOBAL__N_18offset_tEEE10hipError_tPvRmT1_PNSt15iterator_traitsISK_E10value_typeET2_T3_PNSL_ISQ_E10value_typeET4_jRbjT5_SW_jjP12ihipStream_tbEUlT_E1_NS1_11comp_targetILNS1_3genE10ELNS1_11target_archE1200ELNS1_3gpuE4ELNS1_3repE0EEENS1_59segmented_radix_sort_warp_sort_small_config_static_selectorELNS0_4arch9wavefront6targetE0EEEvSK_.num_named_barrier, 0
	.set _ZN7rocprim17ROCPRIM_400000_NS6detail17trampoline_kernelINS0_14default_configENS1_36segmented_radix_sort_config_selectorIflEEZNS1_25segmented_radix_sort_implIS3_Lb0EPKfPfPKlPlN2at6native12_GLOBAL__N_18offset_tEEE10hipError_tPvRmT1_PNSt15iterator_traitsISK_E10value_typeET2_T3_PNSL_ISQ_E10value_typeET4_jRbjT5_SW_jjP12ihipStream_tbEUlT_E1_NS1_11comp_targetILNS1_3genE10ELNS1_11target_archE1200ELNS1_3gpuE4ELNS1_3repE0EEENS1_59segmented_radix_sort_warp_sort_small_config_static_selectorELNS0_4arch9wavefront6targetE0EEEvSK_.private_seg_size, 0
	.set _ZN7rocprim17ROCPRIM_400000_NS6detail17trampoline_kernelINS0_14default_configENS1_36segmented_radix_sort_config_selectorIflEEZNS1_25segmented_radix_sort_implIS3_Lb0EPKfPfPKlPlN2at6native12_GLOBAL__N_18offset_tEEE10hipError_tPvRmT1_PNSt15iterator_traitsISK_E10value_typeET2_T3_PNSL_ISQ_E10value_typeET4_jRbjT5_SW_jjP12ihipStream_tbEUlT_E1_NS1_11comp_targetILNS1_3genE10ELNS1_11target_archE1200ELNS1_3gpuE4ELNS1_3repE0EEENS1_59segmented_radix_sort_warp_sort_small_config_static_selectorELNS0_4arch9wavefront6targetE0EEEvSK_.uses_vcc, 0
	.set _ZN7rocprim17ROCPRIM_400000_NS6detail17trampoline_kernelINS0_14default_configENS1_36segmented_radix_sort_config_selectorIflEEZNS1_25segmented_radix_sort_implIS3_Lb0EPKfPfPKlPlN2at6native12_GLOBAL__N_18offset_tEEE10hipError_tPvRmT1_PNSt15iterator_traitsISK_E10value_typeET2_T3_PNSL_ISQ_E10value_typeET4_jRbjT5_SW_jjP12ihipStream_tbEUlT_E1_NS1_11comp_targetILNS1_3genE10ELNS1_11target_archE1200ELNS1_3gpuE4ELNS1_3repE0EEENS1_59segmented_radix_sort_warp_sort_small_config_static_selectorELNS0_4arch9wavefront6targetE0EEEvSK_.uses_flat_scratch, 0
	.set _ZN7rocprim17ROCPRIM_400000_NS6detail17trampoline_kernelINS0_14default_configENS1_36segmented_radix_sort_config_selectorIflEEZNS1_25segmented_radix_sort_implIS3_Lb0EPKfPfPKlPlN2at6native12_GLOBAL__N_18offset_tEEE10hipError_tPvRmT1_PNSt15iterator_traitsISK_E10value_typeET2_T3_PNSL_ISQ_E10value_typeET4_jRbjT5_SW_jjP12ihipStream_tbEUlT_E1_NS1_11comp_targetILNS1_3genE10ELNS1_11target_archE1200ELNS1_3gpuE4ELNS1_3repE0EEENS1_59segmented_radix_sort_warp_sort_small_config_static_selectorELNS0_4arch9wavefront6targetE0EEEvSK_.has_dyn_sized_stack, 0
	.set _ZN7rocprim17ROCPRIM_400000_NS6detail17trampoline_kernelINS0_14default_configENS1_36segmented_radix_sort_config_selectorIflEEZNS1_25segmented_radix_sort_implIS3_Lb0EPKfPfPKlPlN2at6native12_GLOBAL__N_18offset_tEEE10hipError_tPvRmT1_PNSt15iterator_traitsISK_E10value_typeET2_T3_PNSL_ISQ_E10value_typeET4_jRbjT5_SW_jjP12ihipStream_tbEUlT_E1_NS1_11comp_targetILNS1_3genE10ELNS1_11target_archE1200ELNS1_3gpuE4ELNS1_3repE0EEENS1_59segmented_radix_sort_warp_sort_small_config_static_selectorELNS0_4arch9wavefront6targetE0EEEvSK_.has_recursion, 0
	.set _ZN7rocprim17ROCPRIM_400000_NS6detail17trampoline_kernelINS0_14default_configENS1_36segmented_radix_sort_config_selectorIflEEZNS1_25segmented_radix_sort_implIS3_Lb0EPKfPfPKlPlN2at6native12_GLOBAL__N_18offset_tEEE10hipError_tPvRmT1_PNSt15iterator_traitsISK_E10value_typeET2_T3_PNSL_ISQ_E10value_typeET4_jRbjT5_SW_jjP12ihipStream_tbEUlT_E1_NS1_11comp_targetILNS1_3genE10ELNS1_11target_archE1200ELNS1_3gpuE4ELNS1_3repE0EEENS1_59segmented_radix_sort_warp_sort_small_config_static_selectorELNS0_4arch9wavefront6targetE0EEEvSK_.has_indirect_call, 0
	.section	.AMDGPU.csdata,"",@progbits
; Kernel info:
; codeLenInByte = 0
; TotalNumSgprs: 0
; NumVgprs: 0
; ScratchSize: 0
; MemoryBound: 0
; FloatMode: 240
; IeeeMode: 1
; LDSByteSize: 0 bytes/workgroup (compile time only)
; SGPRBlocks: 0
; VGPRBlocks: 0
; NumSGPRsForWavesPerEU: 1
; NumVGPRsForWavesPerEU: 1
; NamedBarCnt: 0
; Occupancy: 16
; WaveLimiterHint : 0
; COMPUTE_PGM_RSRC2:SCRATCH_EN: 0
; COMPUTE_PGM_RSRC2:USER_SGPR: 2
; COMPUTE_PGM_RSRC2:TRAP_HANDLER: 0
; COMPUTE_PGM_RSRC2:TGID_X_EN: 1
; COMPUTE_PGM_RSRC2:TGID_Y_EN: 0
; COMPUTE_PGM_RSRC2:TGID_Z_EN: 0
; COMPUTE_PGM_RSRC2:TIDIG_COMP_CNT: 0
	.section	.text._ZN7rocprim17ROCPRIM_400000_NS6detail17trampoline_kernelINS0_14default_configENS1_36segmented_radix_sort_config_selectorIflEEZNS1_25segmented_radix_sort_implIS3_Lb0EPKfPfPKlPlN2at6native12_GLOBAL__N_18offset_tEEE10hipError_tPvRmT1_PNSt15iterator_traitsISK_E10value_typeET2_T3_PNSL_ISQ_E10value_typeET4_jRbjT5_SW_jjP12ihipStream_tbEUlT_E1_NS1_11comp_targetILNS1_3genE9ELNS1_11target_archE1100ELNS1_3gpuE3ELNS1_3repE0EEENS1_59segmented_radix_sort_warp_sort_small_config_static_selectorELNS0_4arch9wavefront6targetE0EEEvSK_,"axG",@progbits,_ZN7rocprim17ROCPRIM_400000_NS6detail17trampoline_kernelINS0_14default_configENS1_36segmented_radix_sort_config_selectorIflEEZNS1_25segmented_radix_sort_implIS3_Lb0EPKfPfPKlPlN2at6native12_GLOBAL__N_18offset_tEEE10hipError_tPvRmT1_PNSt15iterator_traitsISK_E10value_typeET2_T3_PNSL_ISQ_E10value_typeET4_jRbjT5_SW_jjP12ihipStream_tbEUlT_E1_NS1_11comp_targetILNS1_3genE9ELNS1_11target_archE1100ELNS1_3gpuE3ELNS1_3repE0EEENS1_59segmented_radix_sort_warp_sort_small_config_static_selectorELNS0_4arch9wavefront6targetE0EEEvSK_,comdat
	.globl	_ZN7rocprim17ROCPRIM_400000_NS6detail17trampoline_kernelINS0_14default_configENS1_36segmented_radix_sort_config_selectorIflEEZNS1_25segmented_radix_sort_implIS3_Lb0EPKfPfPKlPlN2at6native12_GLOBAL__N_18offset_tEEE10hipError_tPvRmT1_PNSt15iterator_traitsISK_E10value_typeET2_T3_PNSL_ISQ_E10value_typeET4_jRbjT5_SW_jjP12ihipStream_tbEUlT_E1_NS1_11comp_targetILNS1_3genE9ELNS1_11target_archE1100ELNS1_3gpuE3ELNS1_3repE0EEENS1_59segmented_radix_sort_warp_sort_small_config_static_selectorELNS0_4arch9wavefront6targetE0EEEvSK_ ; -- Begin function _ZN7rocprim17ROCPRIM_400000_NS6detail17trampoline_kernelINS0_14default_configENS1_36segmented_radix_sort_config_selectorIflEEZNS1_25segmented_radix_sort_implIS3_Lb0EPKfPfPKlPlN2at6native12_GLOBAL__N_18offset_tEEE10hipError_tPvRmT1_PNSt15iterator_traitsISK_E10value_typeET2_T3_PNSL_ISQ_E10value_typeET4_jRbjT5_SW_jjP12ihipStream_tbEUlT_E1_NS1_11comp_targetILNS1_3genE9ELNS1_11target_archE1100ELNS1_3gpuE3ELNS1_3repE0EEENS1_59segmented_radix_sort_warp_sort_small_config_static_selectorELNS0_4arch9wavefront6targetE0EEEvSK_
	.p2align	8
	.type	_ZN7rocprim17ROCPRIM_400000_NS6detail17trampoline_kernelINS0_14default_configENS1_36segmented_radix_sort_config_selectorIflEEZNS1_25segmented_radix_sort_implIS3_Lb0EPKfPfPKlPlN2at6native12_GLOBAL__N_18offset_tEEE10hipError_tPvRmT1_PNSt15iterator_traitsISK_E10value_typeET2_T3_PNSL_ISQ_E10value_typeET4_jRbjT5_SW_jjP12ihipStream_tbEUlT_E1_NS1_11comp_targetILNS1_3genE9ELNS1_11target_archE1100ELNS1_3gpuE3ELNS1_3repE0EEENS1_59segmented_radix_sort_warp_sort_small_config_static_selectorELNS0_4arch9wavefront6targetE0EEEvSK_,@function
_ZN7rocprim17ROCPRIM_400000_NS6detail17trampoline_kernelINS0_14default_configENS1_36segmented_radix_sort_config_selectorIflEEZNS1_25segmented_radix_sort_implIS3_Lb0EPKfPfPKlPlN2at6native12_GLOBAL__N_18offset_tEEE10hipError_tPvRmT1_PNSt15iterator_traitsISK_E10value_typeET2_T3_PNSL_ISQ_E10value_typeET4_jRbjT5_SW_jjP12ihipStream_tbEUlT_E1_NS1_11comp_targetILNS1_3genE9ELNS1_11target_archE1100ELNS1_3gpuE3ELNS1_3repE0EEENS1_59segmented_radix_sort_warp_sort_small_config_static_selectorELNS0_4arch9wavefront6targetE0EEEvSK_: ; @_ZN7rocprim17ROCPRIM_400000_NS6detail17trampoline_kernelINS0_14default_configENS1_36segmented_radix_sort_config_selectorIflEEZNS1_25segmented_radix_sort_implIS3_Lb0EPKfPfPKlPlN2at6native12_GLOBAL__N_18offset_tEEE10hipError_tPvRmT1_PNSt15iterator_traitsISK_E10value_typeET2_T3_PNSL_ISQ_E10value_typeET4_jRbjT5_SW_jjP12ihipStream_tbEUlT_E1_NS1_11comp_targetILNS1_3genE9ELNS1_11target_archE1100ELNS1_3gpuE3ELNS1_3repE0EEENS1_59segmented_radix_sort_warp_sort_small_config_static_selectorELNS0_4arch9wavefront6targetE0EEEvSK_
; %bb.0:
	.section	.rodata,"a",@progbits
	.p2align	6, 0x0
	.amdhsa_kernel _ZN7rocprim17ROCPRIM_400000_NS6detail17trampoline_kernelINS0_14default_configENS1_36segmented_radix_sort_config_selectorIflEEZNS1_25segmented_radix_sort_implIS3_Lb0EPKfPfPKlPlN2at6native12_GLOBAL__N_18offset_tEEE10hipError_tPvRmT1_PNSt15iterator_traitsISK_E10value_typeET2_T3_PNSL_ISQ_E10value_typeET4_jRbjT5_SW_jjP12ihipStream_tbEUlT_E1_NS1_11comp_targetILNS1_3genE9ELNS1_11target_archE1100ELNS1_3gpuE3ELNS1_3repE0EEENS1_59segmented_radix_sort_warp_sort_small_config_static_selectorELNS0_4arch9wavefront6targetE0EEEvSK_
		.amdhsa_group_segment_fixed_size 0
		.amdhsa_private_segment_fixed_size 0
		.amdhsa_kernarg_size 88
		.amdhsa_user_sgpr_count 2
		.amdhsa_user_sgpr_dispatch_ptr 0
		.amdhsa_user_sgpr_queue_ptr 0
		.amdhsa_user_sgpr_kernarg_segment_ptr 1
		.amdhsa_user_sgpr_dispatch_id 0
		.amdhsa_user_sgpr_kernarg_preload_length 0
		.amdhsa_user_sgpr_kernarg_preload_offset 0
		.amdhsa_user_sgpr_private_segment_size 0
		.amdhsa_wavefront_size32 1
		.amdhsa_uses_dynamic_stack 0
		.amdhsa_enable_private_segment 0
		.amdhsa_system_sgpr_workgroup_id_x 1
		.amdhsa_system_sgpr_workgroup_id_y 0
		.amdhsa_system_sgpr_workgroup_id_z 0
		.amdhsa_system_sgpr_workgroup_info 0
		.amdhsa_system_vgpr_workitem_id 0
		.amdhsa_next_free_vgpr 1
		.amdhsa_next_free_sgpr 1
		.amdhsa_named_barrier_count 0
		.amdhsa_reserve_vcc 0
		.amdhsa_float_round_mode_32 0
		.amdhsa_float_round_mode_16_64 0
		.amdhsa_float_denorm_mode_32 3
		.amdhsa_float_denorm_mode_16_64 3
		.amdhsa_fp16_overflow 0
		.amdhsa_memory_ordered 1
		.amdhsa_forward_progress 1
		.amdhsa_inst_pref_size 0
		.amdhsa_round_robin_scheduling 0
		.amdhsa_exception_fp_ieee_invalid_op 0
		.amdhsa_exception_fp_denorm_src 0
		.amdhsa_exception_fp_ieee_div_zero 0
		.amdhsa_exception_fp_ieee_overflow 0
		.amdhsa_exception_fp_ieee_underflow 0
		.amdhsa_exception_fp_ieee_inexact 0
		.amdhsa_exception_int_div_zero 0
	.end_amdhsa_kernel
	.section	.text._ZN7rocprim17ROCPRIM_400000_NS6detail17trampoline_kernelINS0_14default_configENS1_36segmented_radix_sort_config_selectorIflEEZNS1_25segmented_radix_sort_implIS3_Lb0EPKfPfPKlPlN2at6native12_GLOBAL__N_18offset_tEEE10hipError_tPvRmT1_PNSt15iterator_traitsISK_E10value_typeET2_T3_PNSL_ISQ_E10value_typeET4_jRbjT5_SW_jjP12ihipStream_tbEUlT_E1_NS1_11comp_targetILNS1_3genE9ELNS1_11target_archE1100ELNS1_3gpuE3ELNS1_3repE0EEENS1_59segmented_radix_sort_warp_sort_small_config_static_selectorELNS0_4arch9wavefront6targetE0EEEvSK_,"axG",@progbits,_ZN7rocprim17ROCPRIM_400000_NS6detail17trampoline_kernelINS0_14default_configENS1_36segmented_radix_sort_config_selectorIflEEZNS1_25segmented_radix_sort_implIS3_Lb0EPKfPfPKlPlN2at6native12_GLOBAL__N_18offset_tEEE10hipError_tPvRmT1_PNSt15iterator_traitsISK_E10value_typeET2_T3_PNSL_ISQ_E10value_typeET4_jRbjT5_SW_jjP12ihipStream_tbEUlT_E1_NS1_11comp_targetILNS1_3genE9ELNS1_11target_archE1100ELNS1_3gpuE3ELNS1_3repE0EEENS1_59segmented_radix_sort_warp_sort_small_config_static_selectorELNS0_4arch9wavefront6targetE0EEEvSK_,comdat
.Lfunc_end1448:
	.size	_ZN7rocprim17ROCPRIM_400000_NS6detail17trampoline_kernelINS0_14default_configENS1_36segmented_radix_sort_config_selectorIflEEZNS1_25segmented_radix_sort_implIS3_Lb0EPKfPfPKlPlN2at6native12_GLOBAL__N_18offset_tEEE10hipError_tPvRmT1_PNSt15iterator_traitsISK_E10value_typeET2_T3_PNSL_ISQ_E10value_typeET4_jRbjT5_SW_jjP12ihipStream_tbEUlT_E1_NS1_11comp_targetILNS1_3genE9ELNS1_11target_archE1100ELNS1_3gpuE3ELNS1_3repE0EEENS1_59segmented_radix_sort_warp_sort_small_config_static_selectorELNS0_4arch9wavefront6targetE0EEEvSK_, .Lfunc_end1448-_ZN7rocprim17ROCPRIM_400000_NS6detail17trampoline_kernelINS0_14default_configENS1_36segmented_radix_sort_config_selectorIflEEZNS1_25segmented_radix_sort_implIS3_Lb0EPKfPfPKlPlN2at6native12_GLOBAL__N_18offset_tEEE10hipError_tPvRmT1_PNSt15iterator_traitsISK_E10value_typeET2_T3_PNSL_ISQ_E10value_typeET4_jRbjT5_SW_jjP12ihipStream_tbEUlT_E1_NS1_11comp_targetILNS1_3genE9ELNS1_11target_archE1100ELNS1_3gpuE3ELNS1_3repE0EEENS1_59segmented_radix_sort_warp_sort_small_config_static_selectorELNS0_4arch9wavefront6targetE0EEEvSK_
                                        ; -- End function
	.set _ZN7rocprim17ROCPRIM_400000_NS6detail17trampoline_kernelINS0_14default_configENS1_36segmented_radix_sort_config_selectorIflEEZNS1_25segmented_radix_sort_implIS3_Lb0EPKfPfPKlPlN2at6native12_GLOBAL__N_18offset_tEEE10hipError_tPvRmT1_PNSt15iterator_traitsISK_E10value_typeET2_T3_PNSL_ISQ_E10value_typeET4_jRbjT5_SW_jjP12ihipStream_tbEUlT_E1_NS1_11comp_targetILNS1_3genE9ELNS1_11target_archE1100ELNS1_3gpuE3ELNS1_3repE0EEENS1_59segmented_radix_sort_warp_sort_small_config_static_selectorELNS0_4arch9wavefront6targetE0EEEvSK_.num_vgpr, 0
	.set _ZN7rocprim17ROCPRIM_400000_NS6detail17trampoline_kernelINS0_14default_configENS1_36segmented_radix_sort_config_selectorIflEEZNS1_25segmented_radix_sort_implIS3_Lb0EPKfPfPKlPlN2at6native12_GLOBAL__N_18offset_tEEE10hipError_tPvRmT1_PNSt15iterator_traitsISK_E10value_typeET2_T3_PNSL_ISQ_E10value_typeET4_jRbjT5_SW_jjP12ihipStream_tbEUlT_E1_NS1_11comp_targetILNS1_3genE9ELNS1_11target_archE1100ELNS1_3gpuE3ELNS1_3repE0EEENS1_59segmented_radix_sort_warp_sort_small_config_static_selectorELNS0_4arch9wavefront6targetE0EEEvSK_.num_agpr, 0
	.set _ZN7rocprim17ROCPRIM_400000_NS6detail17trampoline_kernelINS0_14default_configENS1_36segmented_radix_sort_config_selectorIflEEZNS1_25segmented_radix_sort_implIS3_Lb0EPKfPfPKlPlN2at6native12_GLOBAL__N_18offset_tEEE10hipError_tPvRmT1_PNSt15iterator_traitsISK_E10value_typeET2_T3_PNSL_ISQ_E10value_typeET4_jRbjT5_SW_jjP12ihipStream_tbEUlT_E1_NS1_11comp_targetILNS1_3genE9ELNS1_11target_archE1100ELNS1_3gpuE3ELNS1_3repE0EEENS1_59segmented_radix_sort_warp_sort_small_config_static_selectorELNS0_4arch9wavefront6targetE0EEEvSK_.numbered_sgpr, 0
	.set _ZN7rocprim17ROCPRIM_400000_NS6detail17trampoline_kernelINS0_14default_configENS1_36segmented_radix_sort_config_selectorIflEEZNS1_25segmented_radix_sort_implIS3_Lb0EPKfPfPKlPlN2at6native12_GLOBAL__N_18offset_tEEE10hipError_tPvRmT1_PNSt15iterator_traitsISK_E10value_typeET2_T3_PNSL_ISQ_E10value_typeET4_jRbjT5_SW_jjP12ihipStream_tbEUlT_E1_NS1_11comp_targetILNS1_3genE9ELNS1_11target_archE1100ELNS1_3gpuE3ELNS1_3repE0EEENS1_59segmented_radix_sort_warp_sort_small_config_static_selectorELNS0_4arch9wavefront6targetE0EEEvSK_.num_named_barrier, 0
	.set _ZN7rocprim17ROCPRIM_400000_NS6detail17trampoline_kernelINS0_14default_configENS1_36segmented_radix_sort_config_selectorIflEEZNS1_25segmented_radix_sort_implIS3_Lb0EPKfPfPKlPlN2at6native12_GLOBAL__N_18offset_tEEE10hipError_tPvRmT1_PNSt15iterator_traitsISK_E10value_typeET2_T3_PNSL_ISQ_E10value_typeET4_jRbjT5_SW_jjP12ihipStream_tbEUlT_E1_NS1_11comp_targetILNS1_3genE9ELNS1_11target_archE1100ELNS1_3gpuE3ELNS1_3repE0EEENS1_59segmented_radix_sort_warp_sort_small_config_static_selectorELNS0_4arch9wavefront6targetE0EEEvSK_.private_seg_size, 0
	.set _ZN7rocprim17ROCPRIM_400000_NS6detail17trampoline_kernelINS0_14default_configENS1_36segmented_radix_sort_config_selectorIflEEZNS1_25segmented_radix_sort_implIS3_Lb0EPKfPfPKlPlN2at6native12_GLOBAL__N_18offset_tEEE10hipError_tPvRmT1_PNSt15iterator_traitsISK_E10value_typeET2_T3_PNSL_ISQ_E10value_typeET4_jRbjT5_SW_jjP12ihipStream_tbEUlT_E1_NS1_11comp_targetILNS1_3genE9ELNS1_11target_archE1100ELNS1_3gpuE3ELNS1_3repE0EEENS1_59segmented_radix_sort_warp_sort_small_config_static_selectorELNS0_4arch9wavefront6targetE0EEEvSK_.uses_vcc, 0
	.set _ZN7rocprim17ROCPRIM_400000_NS6detail17trampoline_kernelINS0_14default_configENS1_36segmented_radix_sort_config_selectorIflEEZNS1_25segmented_radix_sort_implIS3_Lb0EPKfPfPKlPlN2at6native12_GLOBAL__N_18offset_tEEE10hipError_tPvRmT1_PNSt15iterator_traitsISK_E10value_typeET2_T3_PNSL_ISQ_E10value_typeET4_jRbjT5_SW_jjP12ihipStream_tbEUlT_E1_NS1_11comp_targetILNS1_3genE9ELNS1_11target_archE1100ELNS1_3gpuE3ELNS1_3repE0EEENS1_59segmented_radix_sort_warp_sort_small_config_static_selectorELNS0_4arch9wavefront6targetE0EEEvSK_.uses_flat_scratch, 0
	.set _ZN7rocprim17ROCPRIM_400000_NS6detail17trampoline_kernelINS0_14default_configENS1_36segmented_radix_sort_config_selectorIflEEZNS1_25segmented_radix_sort_implIS3_Lb0EPKfPfPKlPlN2at6native12_GLOBAL__N_18offset_tEEE10hipError_tPvRmT1_PNSt15iterator_traitsISK_E10value_typeET2_T3_PNSL_ISQ_E10value_typeET4_jRbjT5_SW_jjP12ihipStream_tbEUlT_E1_NS1_11comp_targetILNS1_3genE9ELNS1_11target_archE1100ELNS1_3gpuE3ELNS1_3repE0EEENS1_59segmented_radix_sort_warp_sort_small_config_static_selectorELNS0_4arch9wavefront6targetE0EEEvSK_.has_dyn_sized_stack, 0
	.set _ZN7rocprim17ROCPRIM_400000_NS6detail17trampoline_kernelINS0_14default_configENS1_36segmented_radix_sort_config_selectorIflEEZNS1_25segmented_radix_sort_implIS3_Lb0EPKfPfPKlPlN2at6native12_GLOBAL__N_18offset_tEEE10hipError_tPvRmT1_PNSt15iterator_traitsISK_E10value_typeET2_T3_PNSL_ISQ_E10value_typeET4_jRbjT5_SW_jjP12ihipStream_tbEUlT_E1_NS1_11comp_targetILNS1_3genE9ELNS1_11target_archE1100ELNS1_3gpuE3ELNS1_3repE0EEENS1_59segmented_radix_sort_warp_sort_small_config_static_selectorELNS0_4arch9wavefront6targetE0EEEvSK_.has_recursion, 0
	.set _ZN7rocprim17ROCPRIM_400000_NS6detail17trampoline_kernelINS0_14default_configENS1_36segmented_radix_sort_config_selectorIflEEZNS1_25segmented_radix_sort_implIS3_Lb0EPKfPfPKlPlN2at6native12_GLOBAL__N_18offset_tEEE10hipError_tPvRmT1_PNSt15iterator_traitsISK_E10value_typeET2_T3_PNSL_ISQ_E10value_typeET4_jRbjT5_SW_jjP12ihipStream_tbEUlT_E1_NS1_11comp_targetILNS1_3genE9ELNS1_11target_archE1100ELNS1_3gpuE3ELNS1_3repE0EEENS1_59segmented_radix_sort_warp_sort_small_config_static_selectorELNS0_4arch9wavefront6targetE0EEEvSK_.has_indirect_call, 0
	.section	.AMDGPU.csdata,"",@progbits
; Kernel info:
; codeLenInByte = 0
; TotalNumSgprs: 0
; NumVgprs: 0
; ScratchSize: 0
; MemoryBound: 0
; FloatMode: 240
; IeeeMode: 1
; LDSByteSize: 0 bytes/workgroup (compile time only)
; SGPRBlocks: 0
; VGPRBlocks: 0
; NumSGPRsForWavesPerEU: 1
; NumVGPRsForWavesPerEU: 1
; NamedBarCnt: 0
; Occupancy: 16
; WaveLimiterHint : 0
; COMPUTE_PGM_RSRC2:SCRATCH_EN: 0
; COMPUTE_PGM_RSRC2:USER_SGPR: 2
; COMPUTE_PGM_RSRC2:TRAP_HANDLER: 0
; COMPUTE_PGM_RSRC2:TGID_X_EN: 1
; COMPUTE_PGM_RSRC2:TGID_Y_EN: 0
; COMPUTE_PGM_RSRC2:TGID_Z_EN: 0
; COMPUTE_PGM_RSRC2:TIDIG_COMP_CNT: 0
	.section	.text._ZN7rocprim17ROCPRIM_400000_NS6detail17trampoline_kernelINS0_14default_configENS1_36segmented_radix_sort_config_selectorIflEEZNS1_25segmented_radix_sort_implIS3_Lb0EPKfPfPKlPlN2at6native12_GLOBAL__N_18offset_tEEE10hipError_tPvRmT1_PNSt15iterator_traitsISK_E10value_typeET2_T3_PNSL_ISQ_E10value_typeET4_jRbjT5_SW_jjP12ihipStream_tbEUlT_E1_NS1_11comp_targetILNS1_3genE8ELNS1_11target_archE1030ELNS1_3gpuE2ELNS1_3repE0EEENS1_59segmented_radix_sort_warp_sort_small_config_static_selectorELNS0_4arch9wavefront6targetE0EEEvSK_,"axG",@progbits,_ZN7rocprim17ROCPRIM_400000_NS6detail17trampoline_kernelINS0_14default_configENS1_36segmented_radix_sort_config_selectorIflEEZNS1_25segmented_radix_sort_implIS3_Lb0EPKfPfPKlPlN2at6native12_GLOBAL__N_18offset_tEEE10hipError_tPvRmT1_PNSt15iterator_traitsISK_E10value_typeET2_T3_PNSL_ISQ_E10value_typeET4_jRbjT5_SW_jjP12ihipStream_tbEUlT_E1_NS1_11comp_targetILNS1_3genE8ELNS1_11target_archE1030ELNS1_3gpuE2ELNS1_3repE0EEENS1_59segmented_radix_sort_warp_sort_small_config_static_selectorELNS0_4arch9wavefront6targetE0EEEvSK_,comdat
	.globl	_ZN7rocprim17ROCPRIM_400000_NS6detail17trampoline_kernelINS0_14default_configENS1_36segmented_radix_sort_config_selectorIflEEZNS1_25segmented_radix_sort_implIS3_Lb0EPKfPfPKlPlN2at6native12_GLOBAL__N_18offset_tEEE10hipError_tPvRmT1_PNSt15iterator_traitsISK_E10value_typeET2_T3_PNSL_ISQ_E10value_typeET4_jRbjT5_SW_jjP12ihipStream_tbEUlT_E1_NS1_11comp_targetILNS1_3genE8ELNS1_11target_archE1030ELNS1_3gpuE2ELNS1_3repE0EEENS1_59segmented_radix_sort_warp_sort_small_config_static_selectorELNS0_4arch9wavefront6targetE0EEEvSK_ ; -- Begin function _ZN7rocprim17ROCPRIM_400000_NS6detail17trampoline_kernelINS0_14default_configENS1_36segmented_radix_sort_config_selectorIflEEZNS1_25segmented_radix_sort_implIS3_Lb0EPKfPfPKlPlN2at6native12_GLOBAL__N_18offset_tEEE10hipError_tPvRmT1_PNSt15iterator_traitsISK_E10value_typeET2_T3_PNSL_ISQ_E10value_typeET4_jRbjT5_SW_jjP12ihipStream_tbEUlT_E1_NS1_11comp_targetILNS1_3genE8ELNS1_11target_archE1030ELNS1_3gpuE2ELNS1_3repE0EEENS1_59segmented_radix_sort_warp_sort_small_config_static_selectorELNS0_4arch9wavefront6targetE0EEEvSK_
	.p2align	8
	.type	_ZN7rocprim17ROCPRIM_400000_NS6detail17trampoline_kernelINS0_14default_configENS1_36segmented_radix_sort_config_selectorIflEEZNS1_25segmented_radix_sort_implIS3_Lb0EPKfPfPKlPlN2at6native12_GLOBAL__N_18offset_tEEE10hipError_tPvRmT1_PNSt15iterator_traitsISK_E10value_typeET2_T3_PNSL_ISQ_E10value_typeET4_jRbjT5_SW_jjP12ihipStream_tbEUlT_E1_NS1_11comp_targetILNS1_3genE8ELNS1_11target_archE1030ELNS1_3gpuE2ELNS1_3repE0EEENS1_59segmented_radix_sort_warp_sort_small_config_static_selectorELNS0_4arch9wavefront6targetE0EEEvSK_,@function
_ZN7rocprim17ROCPRIM_400000_NS6detail17trampoline_kernelINS0_14default_configENS1_36segmented_radix_sort_config_selectorIflEEZNS1_25segmented_radix_sort_implIS3_Lb0EPKfPfPKlPlN2at6native12_GLOBAL__N_18offset_tEEE10hipError_tPvRmT1_PNSt15iterator_traitsISK_E10value_typeET2_T3_PNSL_ISQ_E10value_typeET4_jRbjT5_SW_jjP12ihipStream_tbEUlT_E1_NS1_11comp_targetILNS1_3genE8ELNS1_11target_archE1030ELNS1_3gpuE2ELNS1_3repE0EEENS1_59segmented_radix_sort_warp_sort_small_config_static_selectorELNS0_4arch9wavefront6targetE0EEEvSK_: ; @_ZN7rocprim17ROCPRIM_400000_NS6detail17trampoline_kernelINS0_14default_configENS1_36segmented_radix_sort_config_selectorIflEEZNS1_25segmented_radix_sort_implIS3_Lb0EPKfPfPKlPlN2at6native12_GLOBAL__N_18offset_tEEE10hipError_tPvRmT1_PNSt15iterator_traitsISK_E10value_typeET2_T3_PNSL_ISQ_E10value_typeET4_jRbjT5_SW_jjP12ihipStream_tbEUlT_E1_NS1_11comp_targetILNS1_3genE8ELNS1_11target_archE1030ELNS1_3gpuE2ELNS1_3repE0EEENS1_59segmented_radix_sort_warp_sort_small_config_static_selectorELNS0_4arch9wavefront6targetE0EEEvSK_
; %bb.0:
	.section	.rodata,"a",@progbits
	.p2align	6, 0x0
	.amdhsa_kernel _ZN7rocprim17ROCPRIM_400000_NS6detail17trampoline_kernelINS0_14default_configENS1_36segmented_radix_sort_config_selectorIflEEZNS1_25segmented_radix_sort_implIS3_Lb0EPKfPfPKlPlN2at6native12_GLOBAL__N_18offset_tEEE10hipError_tPvRmT1_PNSt15iterator_traitsISK_E10value_typeET2_T3_PNSL_ISQ_E10value_typeET4_jRbjT5_SW_jjP12ihipStream_tbEUlT_E1_NS1_11comp_targetILNS1_3genE8ELNS1_11target_archE1030ELNS1_3gpuE2ELNS1_3repE0EEENS1_59segmented_radix_sort_warp_sort_small_config_static_selectorELNS0_4arch9wavefront6targetE0EEEvSK_
		.amdhsa_group_segment_fixed_size 0
		.amdhsa_private_segment_fixed_size 0
		.amdhsa_kernarg_size 88
		.amdhsa_user_sgpr_count 2
		.amdhsa_user_sgpr_dispatch_ptr 0
		.amdhsa_user_sgpr_queue_ptr 0
		.amdhsa_user_sgpr_kernarg_segment_ptr 1
		.amdhsa_user_sgpr_dispatch_id 0
		.amdhsa_user_sgpr_kernarg_preload_length 0
		.amdhsa_user_sgpr_kernarg_preload_offset 0
		.amdhsa_user_sgpr_private_segment_size 0
		.amdhsa_wavefront_size32 1
		.amdhsa_uses_dynamic_stack 0
		.amdhsa_enable_private_segment 0
		.amdhsa_system_sgpr_workgroup_id_x 1
		.amdhsa_system_sgpr_workgroup_id_y 0
		.amdhsa_system_sgpr_workgroup_id_z 0
		.amdhsa_system_sgpr_workgroup_info 0
		.amdhsa_system_vgpr_workitem_id 0
		.amdhsa_next_free_vgpr 1
		.amdhsa_next_free_sgpr 1
		.amdhsa_named_barrier_count 0
		.amdhsa_reserve_vcc 0
		.amdhsa_float_round_mode_32 0
		.amdhsa_float_round_mode_16_64 0
		.amdhsa_float_denorm_mode_32 3
		.amdhsa_float_denorm_mode_16_64 3
		.amdhsa_fp16_overflow 0
		.amdhsa_memory_ordered 1
		.amdhsa_forward_progress 1
		.amdhsa_inst_pref_size 0
		.amdhsa_round_robin_scheduling 0
		.amdhsa_exception_fp_ieee_invalid_op 0
		.amdhsa_exception_fp_denorm_src 0
		.amdhsa_exception_fp_ieee_div_zero 0
		.amdhsa_exception_fp_ieee_overflow 0
		.amdhsa_exception_fp_ieee_underflow 0
		.amdhsa_exception_fp_ieee_inexact 0
		.amdhsa_exception_int_div_zero 0
	.end_amdhsa_kernel
	.section	.text._ZN7rocprim17ROCPRIM_400000_NS6detail17trampoline_kernelINS0_14default_configENS1_36segmented_radix_sort_config_selectorIflEEZNS1_25segmented_radix_sort_implIS3_Lb0EPKfPfPKlPlN2at6native12_GLOBAL__N_18offset_tEEE10hipError_tPvRmT1_PNSt15iterator_traitsISK_E10value_typeET2_T3_PNSL_ISQ_E10value_typeET4_jRbjT5_SW_jjP12ihipStream_tbEUlT_E1_NS1_11comp_targetILNS1_3genE8ELNS1_11target_archE1030ELNS1_3gpuE2ELNS1_3repE0EEENS1_59segmented_radix_sort_warp_sort_small_config_static_selectorELNS0_4arch9wavefront6targetE0EEEvSK_,"axG",@progbits,_ZN7rocprim17ROCPRIM_400000_NS6detail17trampoline_kernelINS0_14default_configENS1_36segmented_radix_sort_config_selectorIflEEZNS1_25segmented_radix_sort_implIS3_Lb0EPKfPfPKlPlN2at6native12_GLOBAL__N_18offset_tEEE10hipError_tPvRmT1_PNSt15iterator_traitsISK_E10value_typeET2_T3_PNSL_ISQ_E10value_typeET4_jRbjT5_SW_jjP12ihipStream_tbEUlT_E1_NS1_11comp_targetILNS1_3genE8ELNS1_11target_archE1030ELNS1_3gpuE2ELNS1_3repE0EEENS1_59segmented_radix_sort_warp_sort_small_config_static_selectorELNS0_4arch9wavefront6targetE0EEEvSK_,comdat
.Lfunc_end1449:
	.size	_ZN7rocprim17ROCPRIM_400000_NS6detail17trampoline_kernelINS0_14default_configENS1_36segmented_radix_sort_config_selectorIflEEZNS1_25segmented_radix_sort_implIS3_Lb0EPKfPfPKlPlN2at6native12_GLOBAL__N_18offset_tEEE10hipError_tPvRmT1_PNSt15iterator_traitsISK_E10value_typeET2_T3_PNSL_ISQ_E10value_typeET4_jRbjT5_SW_jjP12ihipStream_tbEUlT_E1_NS1_11comp_targetILNS1_3genE8ELNS1_11target_archE1030ELNS1_3gpuE2ELNS1_3repE0EEENS1_59segmented_radix_sort_warp_sort_small_config_static_selectorELNS0_4arch9wavefront6targetE0EEEvSK_, .Lfunc_end1449-_ZN7rocprim17ROCPRIM_400000_NS6detail17trampoline_kernelINS0_14default_configENS1_36segmented_radix_sort_config_selectorIflEEZNS1_25segmented_radix_sort_implIS3_Lb0EPKfPfPKlPlN2at6native12_GLOBAL__N_18offset_tEEE10hipError_tPvRmT1_PNSt15iterator_traitsISK_E10value_typeET2_T3_PNSL_ISQ_E10value_typeET4_jRbjT5_SW_jjP12ihipStream_tbEUlT_E1_NS1_11comp_targetILNS1_3genE8ELNS1_11target_archE1030ELNS1_3gpuE2ELNS1_3repE0EEENS1_59segmented_radix_sort_warp_sort_small_config_static_selectorELNS0_4arch9wavefront6targetE0EEEvSK_
                                        ; -- End function
	.set _ZN7rocprim17ROCPRIM_400000_NS6detail17trampoline_kernelINS0_14default_configENS1_36segmented_radix_sort_config_selectorIflEEZNS1_25segmented_radix_sort_implIS3_Lb0EPKfPfPKlPlN2at6native12_GLOBAL__N_18offset_tEEE10hipError_tPvRmT1_PNSt15iterator_traitsISK_E10value_typeET2_T3_PNSL_ISQ_E10value_typeET4_jRbjT5_SW_jjP12ihipStream_tbEUlT_E1_NS1_11comp_targetILNS1_3genE8ELNS1_11target_archE1030ELNS1_3gpuE2ELNS1_3repE0EEENS1_59segmented_radix_sort_warp_sort_small_config_static_selectorELNS0_4arch9wavefront6targetE0EEEvSK_.num_vgpr, 0
	.set _ZN7rocprim17ROCPRIM_400000_NS6detail17trampoline_kernelINS0_14default_configENS1_36segmented_radix_sort_config_selectorIflEEZNS1_25segmented_radix_sort_implIS3_Lb0EPKfPfPKlPlN2at6native12_GLOBAL__N_18offset_tEEE10hipError_tPvRmT1_PNSt15iterator_traitsISK_E10value_typeET2_T3_PNSL_ISQ_E10value_typeET4_jRbjT5_SW_jjP12ihipStream_tbEUlT_E1_NS1_11comp_targetILNS1_3genE8ELNS1_11target_archE1030ELNS1_3gpuE2ELNS1_3repE0EEENS1_59segmented_radix_sort_warp_sort_small_config_static_selectorELNS0_4arch9wavefront6targetE0EEEvSK_.num_agpr, 0
	.set _ZN7rocprim17ROCPRIM_400000_NS6detail17trampoline_kernelINS0_14default_configENS1_36segmented_radix_sort_config_selectorIflEEZNS1_25segmented_radix_sort_implIS3_Lb0EPKfPfPKlPlN2at6native12_GLOBAL__N_18offset_tEEE10hipError_tPvRmT1_PNSt15iterator_traitsISK_E10value_typeET2_T3_PNSL_ISQ_E10value_typeET4_jRbjT5_SW_jjP12ihipStream_tbEUlT_E1_NS1_11comp_targetILNS1_3genE8ELNS1_11target_archE1030ELNS1_3gpuE2ELNS1_3repE0EEENS1_59segmented_radix_sort_warp_sort_small_config_static_selectorELNS0_4arch9wavefront6targetE0EEEvSK_.numbered_sgpr, 0
	.set _ZN7rocprim17ROCPRIM_400000_NS6detail17trampoline_kernelINS0_14default_configENS1_36segmented_radix_sort_config_selectorIflEEZNS1_25segmented_radix_sort_implIS3_Lb0EPKfPfPKlPlN2at6native12_GLOBAL__N_18offset_tEEE10hipError_tPvRmT1_PNSt15iterator_traitsISK_E10value_typeET2_T3_PNSL_ISQ_E10value_typeET4_jRbjT5_SW_jjP12ihipStream_tbEUlT_E1_NS1_11comp_targetILNS1_3genE8ELNS1_11target_archE1030ELNS1_3gpuE2ELNS1_3repE0EEENS1_59segmented_radix_sort_warp_sort_small_config_static_selectorELNS0_4arch9wavefront6targetE0EEEvSK_.num_named_barrier, 0
	.set _ZN7rocprim17ROCPRIM_400000_NS6detail17trampoline_kernelINS0_14default_configENS1_36segmented_radix_sort_config_selectorIflEEZNS1_25segmented_radix_sort_implIS3_Lb0EPKfPfPKlPlN2at6native12_GLOBAL__N_18offset_tEEE10hipError_tPvRmT1_PNSt15iterator_traitsISK_E10value_typeET2_T3_PNSL_ISQ_E10value_typeET4_jRbjT5_SW_jjP12ihipStream_tbEUlT_E1_NS1_11comp_targetILNS1_3genE8ELNS1_11target_archE1030ELNS1_3gpuE2ELNS1_3repE0EEENS1_59segmented_radix_sort_warp_sort_small_config_static_selectorELNS0_4arch9wavefront6targetE0EEEvSK_.private_seg_size, 0
	.set _ZN7rocprim17ROCPRIM_400000_NS6detail17trampoline_kernelINS0_14default_configENS1_36segmented_radix_sort_config_selectorIflEEZNS1_25segmented_radix_sort_implIS3_Lb0EPKfPfPKlPlN2at6native12_GLOBAL__N_18offset_tEEE10hipError_tPvRmT1_PNSt15iterator_traitsISK_E10value_typeET2_T3_PNSL_ISQ_E10value_typeET4_jRbjT5_SW_jjP12ihipStream_tbEUlT_E1_NS1_11comp_targetILNS1_3genE8ELNS1_11target_archE1030ELNS1_3gpuE2ELNS1_3repE0EEENS1_59segmented_radix_sort_warp_sort_small_config_static_selectorELNS0_4arch9wavefront6targetE0EEEvSK_.uses_vcc, 0
	.set _ZN7rocprim17ROCPRIM_400000_NS6detail17trampoline_kernelINS0_14default_configENS1_36segmented_radix_sort_config_selectorIflEEZNS1_25segmented_radix_sort_implIS3_Lb0EPKfPfPKlPlN2at6native12_GLOBAL__N_18offset_tEEE10hipError_tPvRmT1_PNSt15iterator_traitsISK_E10value_typeET2_T3_PNSL_ISQ_E10value_typeET4_jRbjT5_SW_jjP12ihipStream_tbEUlT_E1_NS1_11comp_targetILNS1_3genE8ELNS1_11target_archE1030ELNS1_3gpuE2ELNS1_3repE0EEENS1_59segmented_radix_sort_warp_sort_small_config_static_selectorELNS0_4arch9wavefront6targetE0EEEvSK_.uses_flat_scratch, 0
	.set _ZN7rocprim17ROCPRIM_400000_NS6detail17trampoline_kernelINS0_14default_configENS1_36segmented_radix_sort_config_selectorIflEEZNS1_25segmented_radix_sort_implIS3_Lb0EPKfPfPKlPlN2at6native12_GLOBAL__N_18offset_tEEE10hipError_tPvRmT1_PNSt15iterator_traitsISK_E10value_typeET2_T3_PNSL_ISQ_E10value_typeET4_jRbjT5_SW_jjP12ihipStream_tbEUlT_E1_NS1_11comp_targetILNS1_3genE8ELNS1_11target_archE1030ELNS1_3gpuE2ELNS1_3repE0EEENS1_59segmented_radix_sort_warp_sort_small_config_static_selectorELNS0_4arch9wavefront6targetE0EEEvSK_.has_dyn_sized_stack, 0
	.set _ZN7rocprim17ROCPRIM_400000_NS6detail17trampoline_kernelINS0_14default_configENS1_36segmented_radix_sort_config_selectorIflEEZNS1_25segmented_radix_sort_implIS3_Lb0EPKfPfPKlPlN2at6native12_GLOBAL__N_18offset_tEEE10hipError_tPvRmT1_PNSt15iterator_traitsISK_E10value_typeET2_T3_PNSL_ISQ_E10value_typeET4_jRbjT5_SW_jjP12ihipStream_tbEUlT_E1_NS1_11comp_targetILNS1_3genE8ELNS1_11target_archE1030ELNS1_3gpuE2ELNS1_3repE0EEENS1_59segmented_radix_sort_warp_sort_small_config_static_selectorELNS0_4arch9wavefront6targetE0EEEvSK_.has_recursion, 0
	.set _ZN7rocprim17ROCPRIM_400000_NS6detail17trampoline_kernelINS0_14default_configENS1_36segmented_radix_sort_config_selectorIflEEZNS1_25segmented_radix_sort_implIS3_Lb0EPKfPfPKlPlN2at6native12_GLOBAL__N_18offset_tEEE10hipError_tPvRmT1_PNSt15iterator_traitsISK_E10value_typeET2_T3_PNSL_ISQ_E10value_typeET4_jRbjT5_SW_jjP12ihipStream_tbEUlT_E1_NS1_11comp_targetILNS1_3genE8ELNS1_11target_archE1030ELNS1_3gpuE2ELNS1_3repE0EEENS1_59segmented_radix_sort_warp_sort_small_config_static_selectorELNS0_4arch9wavefront6targetE0EEEvSK_.has_indirect_call, 0
	.section	.AMDGPU.csdata,"",@progbits
; Kernel info:
; codeLenInByte = 0
; TotalNumSgprs: 0
; NumVgprs: 0
; ScratchSize: 0
; MemoryBound: 0
; FloatMode: 240
; IeeeMode: 1
; LDSByteSize: 0 bytes/workgroup (compile time only)
; SGPRBlocks: 0
; VGPRBlocks: 0
; NumSGPRsForWavesPerEU: 1
; NumVGPRsForWavesPerEU: 1
; NamedBarCnt: 0
; Occupancy: 16
; WaveLimiterHint : 0
; COMPUTE_PGM_RSRC2:SCRATCH_EN: 0
; COMPUTE_PGM_RSRC2:USER_SGPR: 2
; COMPUTE_PGM_RSRC2:TRAP_HANDLER: 0
; COMPUTE_PGM_RSRC2:TGID_X_EN: 1
; COMPUTE_PGM_RSRC2:TGID_Y_EN: 0
; COMPUTE_PGM_RSRC2:TGID_Z_EN: 0
; COMPUTE_PGM_RSRC2:TIDIG_COMP_CNT: 0
	.section	.text._ZN7rocprim17ROCPRIM_400000_NS6detail17trampoline_kernelINS0_14default_configENS1_36segmented_radix_sort_config_selectorIflEEZNS1_25segmented_radix_sort_implIS3_Lb0EPKfPfPKlPlN2at6native12_GLOBAL__N_18offset_tEEE10hipError_tPvRmT1_PNSt15iterator_traitsISK_E10value_typeET2_T3_PNSL_ISQ_E10value_typeET4_jRbjT5_SW_jjP12ihipStream_tbEUlT_E2_NS1_11comp_targetILNS1_3genE0ELNS1_11target_archE4294967295ELNS1_3gpuE0ELNS1_3repE0EEENS1_30default_config_static_selectorELNS0_4arch9wavefront6targetE0EEEvSK_,"axG",@progbits,_ZN7rocprim17ROCPRIM_400000_NS6detail17trampoline_kernelINS0_14default_configENS1_36segmented_radix_sort_config_selectorIflEEZNS1_25segmented_radix_sort_implIS3_Lb0EPKfPfPKlPlN2at6native12_GLOBAL__N_18offset_tEEE10hipError_tPvRmT1_PNSt15iterator_traitsISK_E10value_typeET2_T3_PNSL_ISQ_E10value_typeET4_jRbjT5_SW_jjP12ihipStream_tbEUlT_E2_NS1_11comp_targetILNS1_3genE0ELNS1_11target_archE4294967295ELNS1_3gpuE0ELNS1_3repE0EEENS1_30default_config_static_selectorELNS0_4arch9wavefront6targetE0EEEvSK_,comdat
	.globl	_ZN7rocprim17ROCPRIM_400000_NS6detail17trampoline_kernelINS0_14default_configENS1_36segmented_radix_sort_config_selectorIflEEZNS1_25segmented_radix_sort_implIS3_Lb0EPKfPfPKlPlN2at6native12_GLOBAL__N_18offset_tEEE10hipError_tPvRmT1_PNSt15iterator_traitsISK_E10value_typeET2_T3_PNSL_ISQ_E10value_typeET4_jRbjT5_SW_jjP12ihipStream_tbEUlT_E2_NS1_11comp_targetILNS1_3genE0ELNS1_11target_archE4294967295ELNS1_3gpuE0ELNS1_3repE0EEENS1_30default_config_static_selectorELNS0_4arch9wavefront6targetE0EEEvSK_ ; -- Begin function _ZN7rocprim17ROCPRIM_400000_NS6detail17trampoline_kernelINS0_14default_configENS1_36segmented_radix_sort_config_selectorIflEEZNS1_25segmented_radix_sort_implIS3_Lb0EPKfPfPKlPlN2at6native12_GLOBAL__N_18offset_tEEE10hipError_tPvRmT1_PNSt15iterator_traitsISK_E10value_typeET2_T3_PNSL_ISQ_E10value_typeET4_jRbjT5_SW_jjP12ihipStream_tbEUlT_E2_NS1_11comp_targetILNS1_3genE0ELNS1_11target_archE4294967295ELNS1_3gpuE0ELNS1_3repE0EEENS1_30default_config_static_selectorELNS0_4arch9wavefront6targetE0EEEvSK_
	.p2align	8
	.type	_ZN7rocprim17ROCPRIM_400000_NS6detail17trampoline_kernelINS0_14default_configENS1_36segmented_radix_sort_config_selectorIflEEZNS1_25segmented_radix_sort_implIS3_Lb0EPKfPfPKlPlN2at6native12_GLOBAL__N_18offset_tEEE10hipError_tPvRmT1_PNSt15iterator_traitsISK_E10value_typeET2_T3_PNSL_ISQ_E10value_typeET4_jRbjT5_SW_jjP12ihipStream_tbEUlT_E2_NS1_11comp_targetILNS1_3genE0ELNS1_11target_archE4294967295ELNS1_3gpuE0ELNS1_3repE0EEENS1_30default_config_static_selectorELNS0_4arch9wavefront6targetE0EEEvSK_,@function
_ZN7rocprim17ROCPRIM_400000_NS6detail17trampoline_kernelINS0_14default_configENS1_36segmented_radix_sort_config_selectorIflEEZNS1_25segmented_radix_sort_implIS3_Lb0EPKfPfPKlPlN2at6native12_GLOBAL__N_18offset_tEEE10hipError_tPvRmT1_PNSt15iterator_traitsISK_E10value_typeET2_T3_PNSL_ISQ_E10value_typeET4_jRbjT5_SW_jjP12ihipStream_tbEUlT_E2_NS1_11comp_targetILNS1_3genE0ELNS1_11target_archE4294967295ELNS1_3gpuE0ELNS1_3repE0EEENS1_30default_config_static_selectorELNS0_4arch9wavefront6targetE0EEEvSK_: ; @_ZN7rocprim17ROCPRIM_400000_NS6detail17trampoline_kernelINS0_14default_configENS1_36segmented_radix_sort_config_selectorIflEEZNS1_25segmented_radix_sort_implIS3_Lb0EPKfPfPKlPlN2at6native12_GLOBAL__N_18offset_tEEE10hipError_tPvRmT1_PNSt15iterator_traitsISK_E10value_typeET2_T3_PNSL_ISQ_E10value_typeET4_jRbjT5_SW_jjP12ihipStream_tbEUlT_E2_NS1_11comp_targetILNS1_3genE0ELNS1_11target_archE4294967295ELNS1_3gpuE0ELNS1_3repE0EEENS1_30default_config_static_selectorELNS0_4arch9wavefront6targetE0EEEvSK_
; %bb.0:
	s_load_b128 s[4:7], s[2:3], 0x34
	s_bfe_u32 s8, ttmp6, 0x4000c
	s_and_b32 s9, ttmp6, 15
	s_add_co_i32 s8, s8, 1
	s_getreg_b32 s33, hwreg(HW_REG_IB_STS2, 6, 4)
	s_mul_i32 s8, ttmp9, s8
	s_mov_b32 s32, 0
	s_add_co_i32 s9, s9, s8
	s_cmp_eq_u32 s33, 0
	s_cselect_b32 s51, ttmp9, s9
	s_wait_kmcnt 0x0
	s_add_co_i32 s54, s7, s51
	s_add_co_i32 s55, s5, s51
	s_mul_i32 s54, s54, s6
	s_mul_i32 s55, s55, s4
	s_delay_alu instid0(SALU_CYCLE_1)
	s_cmp_le_u32 s54, s55
	s_cbranch_scc1 .LBB1450_1262
; %bb.1:
	s_clause 0x3
	s_load_b32 s4, s[2:3], 0x30
	s_load_b128 s[44:47], s[2:3], 0x20
	s_load_b96 s[48:50], s[2:3], 0x44
	s_load_b256 s[36:43], s[2:3], 0x0
	s_wait_kmcnt 0x0
	s_bitcmp1_b32 s4, 0
	s_mov_b32 s4, -1
	s_cselect_b32 s56, -1, 0
	s_sub_co_i32 s57, s54, s55
	s_delay_alu instid0(SALU_CYCLE_1)
	s_cmp_lt_u32 s57, 0x1101
	s_cbranch_scc0 .LBB1450_15
; %bb.2:
	s_cmp_lt_u32 s57, 0x81
	s_cbranch_scc0 .LBB1450_9
; %bb.3:
	s_load_b32 s4, s[2:3], 0x5c
	v_bfe_u32 v1, v0, 10, 10
	v_bfe_u32 v2, v0, 20, 10
	s_mov_b32 s13, exec_lo
	s_wait_kmcnt 0x0
	s_lshr_b32 s5, s4, 16
	s_and_b32 s4, s4, 0xffff
	v_mad_u32_u24 v1, v2, s5, v1
	v_and_b32_e32 v2, 0x3ff, v0
	s_delay_alu instid0(VALU_DEP_1) | instskip(NEXT) | instid1(VALU_DEP_1)
	v_mad_u32 v1, v1, s4, v2
	v_cmpx_gt_u32_e32 32, v1
	s_cbranch_execz .LBB1450_8
; %bb.4:
	v_cndmask_b32_e64 v1, 0, 1, s56
	s_and_b32 s4, s48, 1
	s_get_pc_i64 s[14:15]
	s_add_nc_u64 s[14:15], s[14:15], _ZN7rocprim17ROCPRIM_400000_NS6detail26segmented_warp_sort_helperINS1_20WarpSortHelperConfigILj32ELj4ELj256EEEflLi256ELb0EvE4sortIPKfPfPKlPlEEvT_T0_T1_T2_jjjjRNS5_12storage_typeE@rel64+4
	s_delay_alu instid0(VALU_DEP_1)
	v_cmp_ne_u32_e32 vcc_lo, s4, v1
	s_mov_b32 s4, -1
	s_cbranch_vccnz .LBB1450_6
; %bb.5:
	s_mov_b64 s[4:5], src_shared_base
	v_dual_mov_b32 v31, v0 :: v_dual_mov_b32 v40, v0
	v_dual_mov_b32 v0, s36 :: v_dual_mov_b32 v1, s37
	;; [unrolled: 1-line block ×7, first 2 shown]
	s_add_nc_u64 s[8:9], s[2:3], 0x50
	s_mov_b64 s[6:7], s[0:1]
	s_mov_b64 s[16:17], s[2:3]
	;; [unrolled: 1-line block ×3, first 2 shown]
	s_swap_pc_i64 s[30:31], s[14:15]
	v_mov_b32_e32 v0, v40
	s_mov_b64 s[0:1], s[18:19]
	s_mov_b64 s[2:3], s[16:17]
	s_mov_b32 s4, 0
.LBB1450_6:
	s_delay_alu instid0(SALU_CYCLE_1)
	s_and_not1_b32 vcc_lo, exec_lo, s4
	s_cbranch_vccnz .LBB1450_8
; %bb.7:
	s_mov_b64 s[4:5], src_shared_base
	v_dual_mov_b32 v31, v0 :: v_dual_mov_b32 v40, v0
	v_dual_mov_b32 v0, s36 :: v_dual_mov_b32 v1, s37
	;; [unrolled: 1-line block ×7, first 2 shown]
	s_add_nc_u64 s[8:9], s[2:3], 0x50
	s_mov_b64 s[6:7], s[0:1]
	s_mov_b64 s[16:17], s[2:3]
	;; [unrolled: 1-line block ×3, first 2 shown]
	s_swap_pc_i64 s[30:31], s[14:15]
	v_mov_b32_e32 v0, v40
	s_mov_b64 s[0:1], s[18:19]
	s_mov_b64 s[2:3], s[16:17]
.LBB1450_8:
	s_or_b32 exec_lo, exec_lo, s13
	s_mov_b32 s4, 0
.LBB1450_9:
	s_delay_alu instid0(SALU_CYCLE_1)
	s_and_not1_b32 vcc_lo, exec_lo, s4
	s_cbranch_vccnz .LBB1450_14
; %bb.10:
	v_cndmask_b32_e64 v1, 0, 1, s56
	s_and_b32 s4, s48, 1
	s_get_pc_i64 s[26:27]
	s_add_nc_u64 s[26:27], s[26:27], _ZN7rocprim17ROCPRIM_400000_NS6detail40segmented_radix_sort_single_block_helperIflLj256ELj17ELb0EE4sortIPKfPfPKlPlEEbT_T0_T1_T2_jjjjRNS3_12storage_typeE@rel64+4
	s_delay_alu instid0(VALU_DEP_1)
	v_cmp_ne_u32_e32 vcc_lo, s4, v1
	s_mov_b32 s4, -1
	s_cbranch_vccnz .LBB1450_12
; %bb.11:
	s_mov_b64 s[4:5], src_shared_base
	v_dual_mov_b32 v31, v0 :: v_dual_mov_b32 v40, v0
	v_dual_mov_b32 v0, s36 :: v_dual_mov_b32 v1, s37
	;; [unrolled: 1-line block ×8, first 2 shown]
	s_add_nc_u64 s[8:9], s[2:3], 0x50
	s_mov_b64 s[6:7], s[0:1]
	s_mov_b64 s[28:29], s[2:3]
	;; [unrolled: 1-line block ×3, first 2 shown]
	s_swap_pc_i64 s[30:31], s[26:27]
	v_mov_b32_e32 v0, v40
	s_mov_b64 s[0:1], s[34:35]
	s_mov_b64 s[2:3], s[28:29]
	s_mov_b32 s4, 0
.LBB1450_12:
	s_delay_alu instid0(SALU_CYCLE_1)
	s_and_not1_b32 vcc_lo, exec_lo, s4
	s_cbranch_vccnz .LBB1450_14
; %bb.13:
	s_mov_b64 s[4:5], src_shared_base
	v_dual_mov_b32 v31, v0 :: v_dual_mov_b32 v40, v0
	v_dual_mov_b32 v0, s36 :: v_dual_mov_b32 v1, s37
	;; [unrolled: 1-line block ×8, first 2 shown]
	s_add_nc_u64 s[8:9], s[2:3], 0x50
	s_mov_b64 s[6:7], s[0:1]
	s_mov_b64 s[28:29], s[2:3]
	s_swap_pc_i64 s[30:31], s[26:27]
	v_mov_b32_e32 v0, v40
	s_mov_b64 s[2:3], s[28:29]
.LBB1450_14:
	s_mov_b32 s4, 0
.LBB1450_15:
	s_delay_alu instid0(SALU_CYCLE_1)
	s_and_not1_b32 vcc_lo, exec_lo, s4
	s_cbranch_vccnz .LBB1450_1262
; %bb.16:
	s_cmp_ge_u32 s49, s50
	s_cbranch_scc1 .LBB1450_1262
; %bb.17:
	v_and_b32_e32 v2, 0x3ff, v0
	v_dual_mov_b32 v1, 0 :: v_dual_bitop2_b32 v6, 3, v0 bitop3:0x40
	v_and_b32_e32 v7, 0xe0, v0
	s_delay_alu instid0(VALU_DEP_3) | instskip(NEXT) | instid1(VALU_DEP_3)
	v_dual_lshrrev_b32 v9, 3, v0 :: v_dual_lshlrev_b32 v4, 2, v2
	v_dual_mov_b32 v5, v1 :: v_dual_lshlrev_b32 v84, 2, v6
	s_delay_alu instid0(VALU_DEP_3) | instskip(SKIP_1) | instid1(VALU_DEP_4)
	v_min_u32_e32 v8, 0x60, v7
	v_mul_u32_u24_e32 v18, 17, v7
	v_mad_u32_u24 v85, v2, 12, v4
	v_and_b32_e32 v83, 28, v9
	v_mbcnt_lo_u32_b32 v95, -1, 0
	v_or_b32_e32 v8, 31, v8
	s_bfe_u32 s6, ttmp6, 0x40010
	v_dual_add_nc_u32 v90, v85, v4 :: v_dual_bitop2_b32 v6, 31, v7 bitop3:0x54
	v_lshlrev_b32_e32 v7, 4, v2
	v_dual_mov_b32 v17, v1 :: v_dual_add_nc_u32 v88, 0x89fc, v83
	v_bfe_u32 v89, v0, 20, 10
	s_add_nc_u64 s[52:53], s[2:3], 0x50
	v_bfe_u32 v91, v0, 10, 10
	v_sub_nc_u32_e32 v92, v90, v7
	v_cmp_eq_u32_e64 s2, v2, v6
	v_dual_add_nc_u32 v6, 1, v2 :: v_dual_bitop2_b32 v97, 15, v95 bitop3:0x40
	v_dual_lshlrev_b32 v0, 3, v18 :: v_dual_lshlrev_b32 v16, 2, v18
	s_add_co_i32 s6, s6, 1
	v_dual_lshlrev_b32 v24, 2, v95 :: v_dual_bitop2_b32 v101, v95, v18 bitop3:0x54
	s_mul_i32 s6, ttmp7, s6
	s_bfe_u32 s7, ttmp6, 0x40004
	v_cmp_eq_u32_e64 s1, v2, v8
	s_add_co_i32 s9, s7, s6
	v_mul_u32_u24_e32 v93, 36, v6
	v_cmp_ne_u32_e64 s7, 0x80, v6
	v_add_nc_u64_e32 v[6:7], s[46:47], v[0:1]
	v_add_nc_u64_e32 v[8:9], s[40:41], v[16:17]
	;; [unrolled: 1-line block ×9, first 2 shown]
	v_or_b32_e32 v3, 0x100, v2
	v_or_b32_e32 v68, 0x200, v2
	;; [unrolled: 1-line block ×16, first 2 shown]
	v_cmp_gt_u32_e64 s0, 0x80, v2
	v_or_b32_e32 v86, 0x8a00, v83
	v_cmp_gt_u32_e64 s4, 4, v2
	v_dual_mov_b32 v96, 1 :: v_dual_add_nc_u32 v87, 0x8a00, v4
	v_cmp_lt_u32_e64 s5, 31, v2
	v_cmp_gt_u32_e64 s3, 8, v2
	v_cmp_eq_u32_e64 s6, 0, v2
	v_lshl_add_u32 v94, v2, 5, v92
	v_bfe_i32 v98, v95, 4, 1
	v_dual_lshlrev_b32 v0, 3, v95 :: v_dual_bitop2_b32 v99, 16, v95 bitop3:0x40
	v_dual_add_nc_u32 v104, 32, v101 :: v_dual_bitop2_b32 v100, 3, v95 bitop3:0x40
	v_sub_co_u32 v102, s8, v95, 1
	v_dual_add_nc_u32 v105, 64, v101 :: v_dual_bitop2_b32 v103, 7, v95 bitop3:0x40
	v_add_nc_u32_e32 v106, 0x60, v101
	v_add_nc_u32_e32 v107, 0x80, v101
	;; [unrolled: 1-line block ×14, first 2 shown]
	s_cmp_eq_u32 s33, 0
	s_mov_b32 s43, 0
	s_cselect_b32 s35, ttmp7, s9
	s_mov_b32 s48, s49
	s_branch .LBB1450_20
.LBB1450_18:                            ;   in Loop: Header=BB1450_20 Depth=1
	s_wait_dscnt 0x0
	s_barrier_signal -1
	s_barrier_wait -1
.LBB1450_19:                            ;   in Loop: Header=BB1450_20 Depth=1
	s_add_co_i32 s48, s48, 7
	s_delay_alu instid0(SALU_CYCLE_1)
	s_cmp_ge_u32 s48, s50
	s_cbranch_scc1 .LBB1450_1262
.LBB1450_20:                            ; =>This Loop Header: Depth=1
                                        ;     Child Loop BB1450_24 Depth 2
                                        ;     Child Loop BB1450_108 Depth 2
	;; [unrolled: 1-line block ×8, first 2 shown]
	s_sub_co_i32 s9, s50, s48
	s_xor_b32 s56, s56, -1
	s_min_u32 s9, s9, 7
	ds_store_2addr_stride64_b32 v4, v1, v1 offset1:4
	s_lshl_b32 s9, -1, s9
	s_wait_storecnt_dscnt 0x0
	s_not_b32 s58, s9
	s_cmp_lg_u32 s48, s49
	s_mov_b32 s9, -1
	s_cbranch_scc0 .LBB1450_642
; %bb.21:                               ;   in Loop: Header=BB1450_20 Depth=1
	s_and_b32 vcc_lo, exec_lo, s56
	s_cbranch_vccz .LBB1450_331
; %bb.22:                               ;   in Loop: Header=BB1450_20 Depth=1
	s_mov_b32 s9, s57
	s_mov_b32 s42, s55
	s_barrier_signal -1
	s_barrier_wait -1
                                        ; implicit-def: $vgpr25
                                        ; implicit-def: $vgpr26
                                        ; implicit-def: $vgpr27
                                        ; implicit-def: $vgpr28
                                        ; implicit-def: $vgpr29
                                        ; implicit-def: $vgpr30
                                        ; implicit-def: $vgpr31
                                        ; implicit-def: $vgpr32
                                        ; implicit-def: $vgpr33
                                        ; implicit-def: $vgpr34
                                        ; implicit-def: $vgpr35
                                        ; implicit-def: $vgpr36
                                        ; implicit-def: $vgpr37
                                        ; implicit-def: $vgpr38
                                        ; implicit-def: $vgpr39
                                        ; implicit-def: $vgpr40
                                        ; implicit-def: $vgpr41
	s_branch .LBB1450_24
.LBB1450_23:                            ;   in Loop: Header=BB1450_24 Depth=2
	s_or_b32 exec_lo, exec_lo, s10
	s_addk_co_i32 s9, 0xef00
	s_cmp_ge_u32 s12, s54
	s_mov_b32 s42, s12
	s_cbranch_scc1 .LBB1450_96
.LBB1450_24:                            ;   Parent Loop BB1450_20 Depth=1
                                        ; =>  This Inner Loop Header: Depth=2
	s_add_co_i32 s12, s42, 0x1100
	s_mov_b32 s10, -1
	s_cmp_gt_u32 s12, s54
                                        ; implicit-def: $vgpr42
                                        ; implicit-def: $vgpr43
                                        ; implicit-def: $vgpr44
                                        ; implicit-def: $vgpr45
                                        ; implicit-def: $vgpr46
                                        ; implicit-def: $vgpr47
                                        ; implicit-def: $vgpr48
                                        ; implicit-def: $vgpr49
                                        ; implicit-def: $vgpr50
                                        ; implicit-def: $vgpr51
                                        ; implicit-def: $vgpr52
                                        ; implicit-def: $vgpr53
                                        ; implicit-def: $vgpr54
                                        ; implicit-def: $vgpr55
                                        ; implicit-def: $vgpr56
                                        ; implicit-def: $vgpr57
                                        ; implicit-def: $vgpr58
	s_cbranch_scc1 .LBB1450_26
; %bb.25:                               ;   in Loop: Header=BB1450_24 Depth=2
	v_lshl_add_u64 v[60:61], s[42:43], 2, v[18:19]
	s_mov_b32 s10, 0
	s_clause 0x10
	global_load_b32 v42, v[60:61], off
	global_load_b32 v43, v[60:61], off offset:1024
	global_load_b32 v44, v[60:61], off offset:2048
	;; [unrolled: 1-line block ×16, first 2 shown]
.LBB1450_26:                            ;   in Loop: Header=BB1450_24 Depth=2
	s_and_not1_b32 vcc_lo, exec_lo, s10
	s_movk_i32 s10, 0x1100
	s_cbranch_vccnz .LBB1450_46
; %bb.27:                               ;   in Loop: Header=BB1450_24 Depth=2
	s_lshl_b64 s[10:11], s[42:43], 2
	s_mov_b32 s13, exec_lo
	s_add_nc_u64 s[10:11], s[40:41], s[10:11]
	s_wait_xcnt 0x0
	v_cmpx_gt_u32_e64 s9, v2
	s_cbranch_execnz .LBB1450_80
; %bb.28:                               ;   in Loop: Header=BB1450_24 Depth=2
	s_or_b32 exec_lo, exec_lo, s13
	s_delay_alu instid0(SALU_CYCLE_1)
	s_mov_b32 s13, exec_lo
	v_cmpx_gt_u32_e64 s9, v3
	s_cbranch_execnz .LBB1450_81
.LBB1450_29:                            ;   in Loop: Header=BB1450_24 Depth=2
	s_or_b32 exec_lo, exec_lo, s13
	s_delay_alu instid0(SALU_CYCLE_1)
	s_mov_b32 s13, exec_lo
	v_cmpx_gt_u32_e64 s9, v68
	s_cbranch_execnz .LBB1450_82
.LBB1450_30:                            ;   in Loop: Header=BB1450_24 Depth=2
	s_or_b32 exec_lo, exec_lo, s13
	s_delay_alu instid0(SALU_CYCLE_1)
	s_mov_b32 s13, exec_lo
	v_cmpx_gt_u32_e64 s9, v69
	s_cbranch_execnz .LBB1450_83
.LBB1450_31:                            ;   in Loop: Header=BB1450_24 Depth=2
	s_or_b32 exec_lo, exec_lo, s13
	s_delay_alu instid0(SALU_CYCLE_1)
	s_mov_b32 s13, exec_lo
	v_cmpx_gt_u32_e64 s9, v70
	s_cbranch_execnz .LBB1450_84
.LBB1450_32:                            ;   in Loop: Header=BB1450_24 Depth=2
	s_or_b32 exec_lo, exec_lo, s13
	s_delay_alu instid0(SALU_CYCLE_1)
	s_mov_b32 s13, exec_lo
	v_cmpx_gt_u32_e64 s9, v71
	s_cbranch_execnz .LBB1450_85
.LBB1450_33:                            ;   in Loop: Header=BB1450_24 Depth=2
	s_or_b32 exec_lo, exec_lo, s13
	s_delay_alu instid0(SALU_CYCLE_1)
	s_mov_b32 s13, exec_lo
	v_cmpx_gt_u32_e64 s9, v72
	s_cbranch_execnz .LBB1450_86
.LBB1450_34:                            ;   in Loop: Header=BB1450_24 Depth=2
	s_or_b32 exec_lo, exec_lo, s13
	s_delay_alu instid0(SALU_CYCLE_1)
	s_mov_b32 s13, exec_lo
	v_cmpx_gt_u32_e64 s9, v73
	s_cbranch_execnz .LBB1450_87
.LBB1450_35:                            ;   in Loop: Header=BB1450_24 Depth=2
	s_or_b32 exec_lo, exec_lo, s13
	s_delay_alu instid0(SALU_CYCLE_1)
	s_mov_b32 s13, exec_lo
	v_cmpx_gt_u32_e64 s9, v74
	s_cbranch_execnz .LBB1450_88
.LBB1450_36:                            ;   in Loop: Header=BB1450_24 Depth=2
	s_or_b32 exec_lo, exec_lo, s13
	s_delay_alu instid0(SALU_CYCLE_1)
	s_mov_b32 s13, exec_lo
	v_cmpx_gt_u32_e64 s9, v75
	s_cbranch_execnz .LBB1450_89
.LBB1450_37:                            ;   in Loop: Header=BB1450_24 Depth=2
	s_or_b32 exec_lo, exec_lo, s13
	s_delay_alu instid0(SALU_CYCLE_1)
	s_mov_b32 s13, exec_lo
	v_cmpx_gt_u32_e64 s9, v76
	s_cbranch_execnz .LBB1450_90
.LBB1450_38:                            ;   in Loop: Header=BB1450_24 Depth=2
	s_or_b32 exec_lo, exec_lo, s13
	s_delay_alu instid0(SALU_CYCLE_1)
	s_mov_b32 s13, exec_lo
	v_cmpx_gt_u32_e64 s9, v77
	s_cbranch_execnz .LBB1450_91
.LBB1450_39:                            ;   in Loop: Header=BB1450_24 Depth=2
	s_or_b32 exec_lo, exec_lo, s13
	s_delay_alu instid0(SALU_CYCLE_1)
	s_mov_b32 s13, exec_lo
	v_cmpx_gt_u32_e64 s9, v78
	s_cbranch_execnz .LBB1450_92
.LBB1450_40:                            ;   in Loop: Header=BB1450_24 Depth=2
	s_or_b32 exec_lo, exec_lo, s13
	s_delay_alu instid0(SALU_CYCLE_1)
	s_mov_b32 s13, exec_lo
	v_cmpx_gt_u32_e64 s9, v79
	s_cbranch_execnz .LBB1450_93
.LBB1450_41:                            ;   in Loop: Header=BB1450_24 Depth=2
	s_or_b32 exec_lo, exec_lo, s13
	s_delay_alu instid0(SALU_CYCLE_1)
	s_mov_b32 s13, exec_lo
	v_cmpx_gt_u32_e64 s9, v80
	s_cbranch_execnz .LBB1450_94
.LBB1450_42:                            ;   in Loop: Header=BB1450_24 Depth=2
	s_or_b32 exec_lo, exec_lo, s13
	s_delay_alu instid0(SALU_CYCLE_1)
	s_mov_b32 s13, exec_lo
	v_cmpx_gt_u32_e64 s9, v81
	s_cbranch_execnz .LBB1450_95
.LBB1450_43:                            ;   in Loop: Header=BB1450_24 Depth=2
	s_or_b32 exec_lo, exec_lo, s13
	s_delay_alu instid0(SALU_CYCLE_1)
	s_mov_b32 s13, exec_lo
	v_cmpx_gt_u32_e64 s9, v82
	s_cbranch_execz .LBB1450_45
.LBB1450_44:                            ;   in Loop: Header=BB1450_24 Depth=2
	global_load_b32 v25, v2, s[10:11] offset:16384 scale_offset
.LBB1450_45:                            ;   in Loop: Header=BB1450_24 Depth=2
	s_wait_xcnt 0x0
	s_or_b32 exec_lo, exec_lo, s13
	s_wait_loadcnt 0x0
	v_dual_mov_b32 v42, v41 :: v_dual_mov_b32 v43, v40
	v_dual_mov_b32 v44, v39 :: v_dual_mov_b32 v45, v38
	;; [unrolled: 1-line block ×8, first 2 shown]
	v_mov_b32_e32 v58, v25
	s_mov_b32 s10, s9
.LBB1450_46:                            ;   in Loop: Header=BB1450_24 Depth=2
	s_wait_loadcnt 0x0
	s_delay_alu instid0(VALU_DEP_1)
	v_dual_mov_b32 v25, v58 :: v_dual_mov_b32 v26, v57
	v_dual_mov_b32 v27, v56 :: v_dual_mov_b32 v28, v55
	;; [unrolled: 1-line block ×8, first 2 shown]
	v_mov_b32_e32 v41, v42
	s_mov_b32 s11, exec_lo
	s_wait_xcnt 0x0
	v_cmpx_gt_u32_e64 s10, v2
	s_cbranch_execnz .LBB1450_63
; %bb.47:                               ;   in Loop: Header=BB1450_24 Depth=2
	s_or_b32 exec_lo, exec_lo, s11
	s_delay_alu instid0(SALU_CYCLE_1)
	s_mov_b32 s11, exec_lo
	v_cmpx_gt_u32_e64 s10, v3
	s_cbranch_execnz .LBB1450_64
.LBB1450_48:                            ;   in Loop: Header=BB1450_24 Depth=2
	s_or_b32 exec_lo, exec_lo, s11
	s_delay_alu instid0(SALU_CYCLE_1)
	s_mov_b32 s11, exec_lo
	v_cmpx_gt_u32_e64 s10, v68
	s_cbranch_execnz .LBB1450_65
.LBB1450_49:                            ;   in Loop: Header=BB1450_24 Depth=2
	s_or_b32 exec_lo, exec_lo, s11
	s_delay_alu instid0(SALU_CYCLE_1)
	s_mov_b32 s11, exec_lo
	v_cmpx_gt_u32_e64 s10, v69
	s_cbranch_execnz .LBB1450_66
.LBB1450_50:                            ;   in Loop: Header=BB1450_24 Depth=2
	s_or_b32 exec_lo, exec_lo, s11
	s_delay_alu instid0(SALU_CYCLE_1)
	s_mov_b32 s11, exec_lo
	v_cmpx_gt_u32_e64 s10, v70
	s_cbranch_execnz .LBB1450_67
.LBB1450_51:                            ;   in Loop: Header=BB1450_24 Depth=2
	s_or_b32 exec_lo, exec_lo, s11
	s_delay_alu instid0(SALU_CYCLE_1)
	s_mov_b32 s11, exec_lo
	v_cmpx_gt_u32_e64 s10, v71
	s_cbranch_execnz .LBB1450_68
.LBB1450_52:                            ;   in Loop: Header=BB1450_24 Depth=2
	s_or_b32 exec_lo, exec_lo, s11
	s_delay_alu instid0(SALU_CYCLE_1)
	s_mov_b32 s11, exec_lo
	v_cmpx_gt_u32_e64 s10, v72
	s_cbranch_execnz .LBB1450_69
.LBB1450_53:                            ;   in Loop: Header=BB1450_24 Depth=2
	s_or_b32 exec_lo, exec_lo, s11
	s_delay_alu instid0(SALU_CYCLE_1)
	s_mov_b32 s11, exec_lo
	v_cmpx_gt_u32_e64 s10, v73
	s_cbranch_execnz .LBB1450_70
.LBB1450_54:                            ;   in Loop: Header=BB1450_24 Depth=2
	s_or_b32 exec_lo, exec_lo, s11
	s_delay_alu instid0(SALU_CYCLE_1)
	s_mov_b32 s11, exec_lo
	v_cmpx_gt_u32_e64 s10, v74
	s_cbranch_execnz .LBB1450_71
.LBB1450_55:                            ;   in Loop: Header=BB1450_24 Depth=2
	s_or_b32 exec_lo, exec_lo, s11
	s_delay_alu instid0(SALU_CYCLE_1)
	s_mov_b32 s11, exec_lo
	v_cmpx_gt_u32_e64 s10, v75
	s_cbranch_execnz .LBB1450_72
.LBB1450_56:                            ;   in Loop: Header=BB1450_24 Depth=2
	s_or_b32 exec_lo, exec_lo, s11
	s_delay_alu instid0(SALU_CYCLE_1)
	s_mov_b32 s11, exec_lo
	v_cmpx_gt_u32_e64 s10, v76
	s_cbranch_execnz .LBB1450_73
.LBB1450_57:                            ;   in Loop: Header=BB1450_24 Depth=2
	s_or_b32 exec_lo, exec_lo, s11
	s_delay_alu instid0(SALU_CYCLE_1)
	s_mov_b32 s11, exec_lo
	v_cmpx_gt_u32_e64 s10, v77
	s_cbranch_execnz .LBB1450_74
.LBB1450_58:                            ;   in Loop: Header=BB1450_24 Depth=2
	s_or_b32 exec_lo, exec_lo, s11
	s_delay_alu instid0(SALU_CYCLE_1)
	s_mov_b32 s11, exec_lo
	v_cmpx_gt_u32_e64 s10, v78
	s_cbranch_execnz .LBB1450_75
.LBB1450_59:                            ;   in Loop: Header=BB1450_24 Depth=2
	s_or_b32 exec_lo, exec_lo, s11
	s_delay_alu instid0(SALU_CYCLE_1)
	s_mov_b32 s11, exec_lo
	v_cmpx_gt_u32_e64 s10, v79
	s_cbranch_execnz .LBB1450_76
.LBB1450_60:                            ;   in Loop: Header=BB1450_24 Depth=2
	s_or_b32 exec_lo, exec_lo, s11
	s_delay_alu instid0(SALU_CYCLE_1)
	s_mov_b32 s11, exec_lo
	v_cmpx_gt_u32_e64 s10, v80
	s_cbranch_execnz .LBB1450_77
.LBB1450_61:                            ;   in Loop: Header=BB1450_24 Depth=2
	s_or_b32 exec_lo, exec_lo, s11
	s_delay_alu instid0(SALU_CYCLE_1)
	s_mov_b32 s11, exec_lo
	v_cmpx_gt_u32_e64 s10, v81
	s_cbranch_execnz .LBB1450_78
.LBB1450_62:                            ;   in Loop: Header=BB1450_24 Depth=2
	s_or_b32 exec_lo, exec_lo, s11
	v_cmp_gt_u32_e32 vcc_lo, s10, v82
	s_and_saveexec_b32 s10, vcc_lo
	s_cbranch_execz .LBB1450_23
	s_branch .LBB1450_79
.LBB1450_63:                            ;   in Loop: Header=BB1450_24 Depth=2
	v_cmp_lt_i32_e32 vcc_lo, -1, v41
	v_cndmask_b32_e64 v42, -1, 0x80000000, vcc_lo
	s_delay_alu instid0(VALU_DEP_1) | instskip(NEXT) | instid1(VALU_DEP_1)
	v_xor_b32_e32 v42, v42, v41
	v_cmp_ne_u32_e32 vcc_lo, 0x7fffffff, v42
	v_cndmask_b32_e32 v42, 0x80000000, v42, vcc_lo
	s_delay_alu instid0(VALU_DEP_1) | instskip(NEXT) | instid1(VALU_DEP_1)
	v_lshrrev_b32_e32 v42, s48, v42
	v_and_b32_e32 v42, s58, v42
	s_delay_alu instid0(VALU_DEP_1) | instskip(SKIP_2) | instid1(SALU_CYCLE_1)
	v_lshl_or_b32 v42, v42, 4, v84
	ds_add_u32 v42, v96
	s_or_b32 exec_lo, exec_lo, s11
	s_mov_b32 s11, exec_lo
	v_cmpx_gt_u32_e64 s10, v3
	s_cbranch_execz .LBB1450_48
.LBB1450_64:                            ;   in Loop: Header=BB1450_24 Depth=2
	v_cmp_lt_i32_e32 vcc_lo, -1, v40
	v_cndmask_b32_e64 v42, -1, 0x80000000, vcc_lo
	s_delay_alu instid0(VALU_DEP_1) | instskip(NEXT) | instid1(VALU_DEP_1)
	v_xor_b32_e32 v42, v42, v40
	v_cmp_ne_u32_e32 vcc_lo, 0x7fffffff, v42
	v_cndmask_b32_e32 v42, 0x80000000, v42, vcc_lo
	s_delay_alu instid0(VALU_DEP_1) | instskip(NEXT) | instid1(VALU_DEP_1)
	v_lshrrev_b32_e32 v42, s48, v42
	v_and_b32_e32 v42, s58, v42
	s_delay_alu instid0(VALU_DEP_1) | instskip(SKIP_2) | instid1(SALU_CYCLE_1)
	v_lshl_or_b32 v42, v42, 4, v84
	ds_add_u32 v42, v96
	s_or_b32 exec_lo, exec_lo, s11
	s_mov_b32 s11, exec_lo
	v_cmpx_gt_u32_e64 s10, v68
	s_cbranch_execz .LBB1450_49
.LBB1450_65:                            ;   in Loop: Header=BB1450_24 Depth=2
	v_cmp_lt_i32_e32 vcc_lo, -1, v39
	v_cndmask_b32_e64 v42, -1, 0x80000000, vcc_lo
	s_delay_alu instid0(VALU_DEP_1) | instskip(NEXT) | instid1(VALU_DEP_1)
	v_xor_b32_e32 v42, v42, v39
	v_cmp_ne_u32_e32 vcc_lo, 0x7fffffff, v42
	v_cndmask_b32_e32 v42, 0x80000000, v42, vcc_lo
	s_delay_alu instid0(VALU_DEP_1) | instskip(NEXT) | instid1(VALU_DEP_1)
	v_lshrrev_b32_e32 v42, s48, v42
	v_and_b32_e32 v42, s58, v42
	s_delay_alu instid0(VALU_DEP_1) | instskip(SKIP_2) | instid1(SALU_CYCLE_1)
	v_lshl_or_b32 v42, v42, 4, v84
	ds_add_u32 v42, v96
	s_or_b32 exec_lo, exec_lo, s11
	s_mov_b32 s11, exec_lo
	v_cmpx_gt_u32_e64 s10, v69
	s_cbranch_execz .LBB1450_50
.LBB1450_66:                            ;   in Loop: Header=BB1450_24 Depth=2
	v_cmp_lt_i32_e32 vcc_lo, -1, v38
	v_cndmask_b32_e64 v42, -1, 0x80000000, vcc_lo
	s_delay_alu instid0(VALU_DEP_1) | instskip(NEXT) | instid1(VALU_DEP_1)
	v_xor_b32_e32 v42, v42, v38
	v_cmp_ne_u32_e32 vcc_lo, 0x7fffffff, v42
	v_cndmask_b32_e32 v42, 0x80000000, v42, vcc_lo
	s_delay_alu instid0(VALU_DEP_1) | instskip(NEXT) | instid1(VALU_DEP_1)
	v_lshrrev_b32_e32 v42, s48, v42
	v_and_b32_e32 v42, s58, v42
	s_delay_alu instid0(VALU_DEP_1) | instskip(SKIP_2) | instid1(SALU_CYCLE_1)
	v_lshl_or_b32 v42, v42, 4, v84
	ds_add_u32 v42, v96
	s_or_b32 exec_lo, exec_lo, s11
	s_mov_b32 s11, exec_lo
	v_cmpx_gt_u32_e64 s10, v70
	s_cbranch_execz .LBB1450_51
.LBB1450_67:                            ;   in Loop: Header=BB1450_24 Depth=2
	v_cmp_lt_i32_e32 vcc_lo, -1, v37
	v_cndmask_b32_e64 v42, -1, 0x80000000, vcc_lo
	s_delay_alu instid0(VALU_DEP_1) | instskip(NEXT) | instid1(VALU_DEP_1)
	v_xor_b32_e32 v42, v42, v37
	v_cmp_ne_u32_e32 vcc_lo, 0x7fffffff, v42
	v_cndmask_b32_e32 v42, 0x80000000, v42, vcc_lo
	s_delay_alu instid0(VALU_DEP_1) | instskip(NEXT) | instid1(VALU_DEP_1)
	v_lshrrev_b32_e32 v42, s48, v42
	v_and_b32_e32 v42, s58, v42
	s_delay_alu instid0(VALU_DEP_1) | instskip(SKIP_2) | instid1(SALU_CYCLE_1)
	v_lshl_or_b32 v42, v42, 4, v84
	ds_add_u32 v42, v96
	s_or_b32 exec_lo, exec_lo, s11
	s_mov_b32 s11, exec_lo
	v_cmpx_gt_u32_e64 s10, v71
	s_cbranch_execz .LBB1450_52
.LBB1450_68:                            ;   in Loop: Header=BB1450_24 Depth=2
	v_cmp_lt_i32_e32 vcc_lo, -1, v36
	v_cndmask_b32_e64 v42, -1, 0x80000000, vcc_lo
	s_delay_alu instid0(VALU_DEP_1) | instskip(NEXT) | instid1(VALU_DEP_1)
	v_xor_b32_e32 v42, v42, v36
	v_cmp_ne_u32_e32 vcc_lo, 0x7fffffff, v42
	v_cndmask_b32_e32 v42, 0x80000000, v42, vcc_lo
	s_delay_alu instid0(VALU_DEP_1) | instskip(NEXT) | instid1(VALU_DEP_1)
	v_lshrrev_b32_e32 v42, s48, v42
	v_and_b32_e32 v42, s58, v42
	s_delay_alu instid0(VALU_DEP_1) | instskip(SKIP_2) | instid1(SALU_CYCLE_1)
	v_lshl_or_b32 v42, v42, 4, v84
	ds_add_u32 v42, v96
	s_or_b32 exec_lo, exec_lo, s11
	s_mov_b32 s11, exec_lo
	v_cmpx_gt_u32_e64 s10, v72
	s_cbranch_execz .LBB1450_53
.LBB1450_69:                            ;   in Loop: Header=BB1450_24 Depth=2
	v_cmp_lt_i32_e32 vcc_lo, -1, v35
	v_cndmask_b32_e64 v42, -1, 0x80000000, vcc_lo
	s_delay_alu instid0(VALU_DEP_1) | instskip(NEXT) | instid1(VALU_DEP_1)
	v_xor_b32_e32 v42, v42, v35
	v_cmp_ne_u32_e32 vcc_lo, 0x7fffffff, v42
	v_cndmask_b32_e32 v42, 0x80000000, v42, vcc_lo
	s_delay_alu instid0(VALU_DEP_1) | instskip(NEXT) | instid1(VALU_DEP_1)
	v_lshrrev_b32_e32 v42, s48, v42
	v_and_b32_e32 v42, s58, v42
	s_delay_alu instid0(VALU_DEP_1) | instskip(SKIP_2) | instid1(SALU_CYCLE_1)
	v_lshl_or_b32 v42, v42, 4, v84
	ds_add_u32 v42, v96
	s_or_b32 exec_lo, exec_lo, s11
	s_mov_b32 s11, exec_lo
	v_cmpx_gt_u32_e64 s10, v73
	s_cbranch_execz .LBB1450_54
.LBB1450_70:                            ;   in Loop: Header=BB1450_24 Depth=2
	v_cmp_lt_i32_e32 vcc_lo, -1, v34
	v_cndmask_b32_e64 v42, -1, 0x80000000, vcc_lo
	s_delay_alu instid0(VALU_DEP_1) | instskip(NEXT) | instid1(VALU_DEP_1)
	v_xor_b32_e32 v42, v42, v34
	v_cmp_ne_u32_e32 vcc_lo, 0x7fffffff, v42
	v_cndmask_b32_e32 v42, 0x80000000, v42, vcc_lo
	s_delay_alu instid0(VALU_DEP_1) | instskip(NEXT) | instid1(VALU_DEP_1)
	v_lshrrev_b32_e32 v42, s48, v42
	v_and_b32_e32 v42, s58, v42
	s_delay_alu instid0(VALU_DEP_1) | instskip(SKIP_2) | instid1(SALU_CYCLE_1)
	v_lshl_or_b32 v42, v42, 4, v84
	ds_add_u32 v42, v96
	s_or_b32 exec_lo, exec_lo, s11
	s_mov_b32 s11, exec_lo
	v_cmpx_gt_u32_e64 s10, v74
	s_cbranch_execz .LBB1450_55
.LBB1450_71:                            ;   in Loop: Header=BB1450_24 Depth=2
	v_cmp_lt_i32_e32 vcc_lo, -1, v33
	v_cndmask_b32_e64 v42, -1, 0x80000000, vcc_lo
	s_delay_alu instid0(VALU_DEP_1) | instskip(NEXT) | instid1(VALU_DEP_1)
	v_xor_b32_e32 v42, v42, v33
	v_cmp_ne_u32_e32 vcc_lo, 0x7fffffff, v42
	v_cndmask_b32_e32 v42, 0x80000000, v42, vcc_lo
	s_delay_alu instid0(VALU_DEP_1) | instskip(NEXT) | instid1(VALU_DEP_1)
	v_lshrrev_b32_e32 v42, s48, v42
	v_and_b32_e32 v42, s58, v42
	s_delay_alu instid0(VALU_DEP_1) | instskip(SKIP_2) | instid1(SALU_CYCLE_1)
	v_lshl_or_b32 v42, v42, 4, v84
	ds_add_u32 v42, v96
	s_or_b32 exec_lo, exec_lo, s11
	s_mov_b32 s11, exec_lo
	v_cmpx_gt_u32_e64 s10, v75
	s_cbranch_execz .LBB1450_56
.LBB1450_72:                            ;   in Loop: Header=BB1450_24 Depth=2
	v_cmp_lt_i32_e32 vcc_lo, -1, v32
	v_cndmask_b32_e64 v42, -1, 0x80000000, vcc_lo
	s_delay_alu instid0(VALU_DEP_1) | instskip(NEXT) | instid1(VALU_DEP_1)
	v_xor_b32_e32 v42, v42, v32
	v_cmp_ne_u32_e32 vcc_lo, 0x7fffffff, v42
	v_cndmask_b32_e32 v42, 0x80000000, v42, vcc_lo
	s_delay_alu instid0(VALU_DEP_1) | instskip(NEXT) | instid1(VALU_DEP_1)
	v_lshrrev_b32_e32 v42, s48, v42
	v_and_b32_e32 v42, s58, v42
	s_delay_alu instid0(VALU_DEP_1) | instskip(SKIP_2) | instid1(SALU_CYCLE_1)
	v_lshl_or_b32 v42, v42, 4, v84
	ds_add_u32 v42, v96
	s_or_b32 exec_lo, exec_lo, s11
	s_mov_b32 s11, exec_lo
	v_cmpx_gt_u32_e64 s10, v76
	s_cbranch_execz .LBB1450_57
.LBB1450_73:                            ;   in Loop: Header=BB1450_24 Depth=2
	v_cmp_lt_i32_e32 vcc_lo, -1, v31
	v_cndmask_b32_e64 v42, -1, 0x80000000, vcc_lo
	s_delay_alu instid0(VALU_DEP_1) | instskip(NEXT) | instid1(VALU_DEP_1)
	v_xor_b32_e32 v42, v42, v31
	v_cmp_ne_u32_e32 vcc_lo, 0x7fffffff, v42
	v_cndmask_b32_e32 v42, 0x80000000, v42, vcc_lo
	s_delay_alu instid0(VALU_DEP_1) | instskip(NEXT) | instid1(VALU_DEP_1)
	v_lshrrev_b32_e32 v42, s48, v42
	v_and_b32_e32 v42, s58, v42
	s_delay_alu instid0(VALU_DEP_1) | instskip(SKIP_2) | instid1(SALU_CYCLE_1)
	v_lshl_or_b32 v42, v42, 4, v84
	ds_add_u32 v42, v96
	s_or_b32 exec_lo, exec_lo, s11
	s_mov_b32 s11, exec_lo
	v_cmpx_gt_u32_e64 s10, v77
	s_cbranch_execz .LBB1450_58
.LBB1450_74:                            ;   in Loop: Header=BB1450_24 Depth=2
	v_cmp_lt_i32_e32 vcc_lo, -1, v30
	v_cndmask_b32_e64 v42, -1, 0x80000000, vcc_lo
	s_delay_alu instid0(VALU_DEP_1) | instskip(NEXT) | instid1(VALU_DEP_1)
	v_xor_b32_e32 v42, v42, v30
	v_cmp_ne_u32_e32 vcc_lo, 0x7fffffff, v42
	v_cndmask_b32_e32 v42, 0x80000000, v42, vcc_lo
	s_delay_alu instid0(VALU_DEP_1) | instskip(NEXT) | instid1(VALU_DEP_1)
	v_lshrrev_b32_e32 v42, s48, v42
	v_and_b32_e32 v42, s58, v42
	s_delay_alu instid0(VALU_DEP_1) | instskip(SKIP_2) | instid1(SALU_CYCLE_1)
	v_lshl_or_b32 v42, v42, 4, v84
	ds_add_u32 v42, v96
	s_or_b32 exec_lo, exec_lo, s11
	s_mov_b32 s11, exec_lo
	v_cmpx_gt_u32_e64 s10, v78
	s_cbranch_execz .LBB1450_59
.LBB1450_75:                            ;   in Loop: Header=BB1450_24 Depth=2
	v_cmp_lt_i32_e32 vcc_lo, -1, v29
	v_cndmask_b32_e64 v42, -1, 0x80000000, vcc_lo
	s_delay_alu instid0(VALU_DEP_1) | instskip(NEXT) | instid1(VALU_DEP_1)
	v_xor_b32_e32 v42, v42, v29
	v_cmp_ne_u32_e32 vcc_lo, 0x7fffffff, v42
	v_cndmask_b32_e32 v42, 0x80000000, v42, vcc_lo
	s_delay_alu instid0(VALU_DEP_1) | instskip(NEXT) | instid1(VALU_DEP_1)
	v_lshrrev_b32_e32 v42, s48, v42
	v_and_b32_e32 v42, s58, v42
	s_delay_alu instid0(VALU_DEP_1) | instskip(SKIP_2) | instid1(SALU_CYCLE_1)
	v_lshl_or_b32 v42, v42, 4, v84
	ds_add_u32 v42, v96
	s_or_b32 exec_lo, exec_lo, s11
	s_mov_b32 s11, exec_lo
	v_cmpx_gt_u32_e64 s10, v79
	s_cbranch_execz .LBB1450_60
.LBB1450_76:                            ;   in Loop: Header=BB1450_24 Depth=2
	v_cmp_lt_i32_e32 vcc_lo, -1, v28
	v_cndmask_b32_e64 v42, -1, 0x80000000, vcc_lo
	s_delay_alu instid0(VALU_DEP_1) | instskip(NEXT) | instid1(VALU_DEP_1)
	v_xor_b32_e32 v42, v42, v28
	v_cmp_ne_u32_e32 vcc_lo, 0x7fffffff, v42
	v_cndmask_b32_e32 v42, 0x80000000, v42, vcc_lo
	s_delay_alu instid0(VALU_DEP_1) | instskip(NEXT) | instid1(VALU_DEP_1)
	v_lshrrev_b32_e32 v42, s48, v42
	v_and_b32_e32 v42, s58, v42
	s_delay_alu instid0(VALU_DEP_1) | instskip(SKIP_2) | instid1(SALU_CYCLE_1)
	v_lshl_or_b32 v42, v42, 4, v84
	ds_add_u32 v42, v96
	s_or_b32 exec_lo, exec_lo, s11
	s_mov_b32 s11, exec_lo
	v_cmpx_gt_u32_e64 s10, v80
	s_cbranch_execz .LBB1450_61
.LBB1450_77:                            ;   in Loop: Header=BB1450_24 Depth=2
	v_cmp_lt_i32_e32 vcc_lo, -1, v27
	v_cndmask_b32_e64 v42, -1, 0x80000000, vcc_lo
	s_delay_alu instid0(VALU_DEP_1) | instskip(NEXT) | instid1(VALU_DEP_1)
	v_xor_b32_e32 v42, v42, v27
	v_cmp_ne_u32_e32 vcc_lo, 0x7fffffff, v42
	v_cndmask_b32_e32 v42, 0x80000000, v42, vcc_lo
	s_delay_alu instid0(VALU_DEP_1) | instskip(NEXT) | instid1(VALU_DEP_1)
	v_lshrrev_b32_e32 v42, s48, v42
	v_and_b32_e32 v42, s58, v42
	s_delay_alu instid0(VALU_DEP_1) | instskip(SKIP_2) | instid1(SALU_CYCLE_1)
	v_lshl_or_b32 v42, v42, 4, v84
	ds_add_u32 v42, v96
	s_or_b32 exec_lo, exec_lo, s11
	s_mov_b32 s11, exec_lo
	v_cmpx_gt_u32_e64 s10, v81
	s_cbranch_execz .LBB1450_62
.LBB1450_78:                            ;   in Loop: Header=BB1450_24 Depth=2
	v_cmp_lt_i32_e32 vcc_lo, -1, v26
	v_cndmask_b32_e64 v42, -1, 0x80000000, vcc_lo
	s_delay_alu instid0(VALU_DEP_1) | instskip(NEXT) | instid1(VALU_DEP_1)
	v_xor_b32_e32 v42, v42, v26
	v_cmp_ne_u32_e32 vcc_lo, 0x7fffffff, v42
	v_cndmask_b32_e32 v42, 0x80000000, v42, vcc_lo
	s_delay_alu instid0(VALU_DEP_1) | instskip(NEXT) | instid1(VALU_DEP_1)
	v_lshrrev_b32_e32 v42, s48, v42
	v_and_b32_e32 v42, s58, v42
	s_delay_alu instid0(VALU_DEP_1)
	v_lshl_or_b32 v42, v42, 4, v84
	ds_add_u32 v42, v96
	s_or_b32 exec_lo, exec_lo, s11
	v_cmp_gt_u32_e32 vcc_lo, s10, v82
	s_and_saveexec_b32 s10, vcc_lo
	s_cbranch_execz .LBB1450_23
.LBB1450_79:                            ;   in Loop: Header=BB1450_24 Depth=2
	v_cmp_lt_i32_e32 vcc_lo, -1, v25
	v_cndmask_b32_e64 v42, -1, 0x80000000, vcc_lo
	s_delay_alu instid0(VALU_DEP_1) | instskip(NEXT) | instid1(VALU_DEP_1)
	v_xor_b32_e32 v42, v42, v25
	v_cmp_ne_u32_e32 vcc_lo, 0x7fffffff, v42
	v_cndmask_b32_e32 v42, 0x80000000, v42, vcc_lo
	s_delay_alu instid0(VALU_DEP_1) | instskip(NEXT) | instid1(VALU_DEP_1)
	v_lshrrev_b32_e32 v42, s48, v42
	v_and_b32_e32 v42, s58, v42
	s_delay_alu instid0(VALU_DEP_1)
	v_lshl_or_b32 v42, v42, 4, v84
	ds_add_u32 v42, v96
	s_branch .LBB1450_23
.LBB1450_80:                            ;   in Loop: Header=BB1450_24 Depth=2
	global_load_b32 v41, v2, s[10:11] scale_offset
	s_wait_xcnt 0x0
	s_or_b32 exec_lo, exec_lo, s13
	s_delay_alu instid0(SALU_CYCLE_1)
	s_mov_b32 s13, exec_lo
	v_cmpx_gt_u32_e64 s9, v3
	s_cbranch_execz .LBB1450_29
.LBB1450_81:                            ;   in Loop: Header=BB1450_24 Depth=2
	global_load_b32 v40, v2, s[10:11] offset:1024 scale_offset
	s_wait_xcnt 0x0
	s_or_b32 exec_lo, exec_lo, s13
	s_delay_alu instid0(SALU_CYCLE_1)
	s_mov_b32 s13, exec_lo
	v_cmpx_gt_u32_e64 s9, v68
	s_cbranch_execz .LBB1450_30
.LBB1450_82:                            ;   in Loop: Header=BB1450_24 Depth=2
	global_load_b32 v39, v2, s[10:11] offset:2048 scale_offset
	s_wait_xcnt 0x0
	s_or_b32 exec_lo, exec_lo, s13
	s_delay_alu instid0(SALU_CYCLE_1)
	s_mov_b32 s13, exec_lo
	v_cmpx_gt_u32_e64 s9, v69
	s_cbranch_execz .LBB1450_31
.LBB1450_83:                            ;   in Loop: Header=BB1450_24 Depth=2
	global_load_b32 v38, v2, s[10:11] offset:3072 scale_offset
	s_wait_xcnt 0x0
	s_or_b32 exec_lo, exec_lo, s13
	s_delay_alu instid0(SALU_CYCLE_1)
	s_mov_b32 s13, exec_lo
	v_cmpx_gt_u32_e64 s9, v70
	s_cbranch_execz .LBB1450_32
.LBB1450_84:                            ;   in Loop: Header=BB1450_24 Depth=2
	global_load_b32 v37, v2, s[10:11] offset:4096 scale_offset
	s_wait_xcnt 0x0
	s_or_b32 exec_lo, exec_lo, s13
	s_delay_alu instid0(SALU_CYCLE_1)
	s_mov_b32 s13, exec_lo
	v_cmpx_gt_u32_e64 s9, v71
	s_cbranch_execz .LBB1450_33
.LBB1450_85:                            ;   in Loop: Header=BB1450_24 Depth=2
	global_load_b32 v36, v2, s[10:11] offset:5120 scale_offset
	s_wait_xcnt 0x0
	s_or_b32 exec_lo, exec_lo, s13
	s_delay_alu instid0(SALU_CYCLE_1)
	s_mov_b32 s13, exec_lo
	v_cmpx_gt_u32_e64 s9, v72
	s_cbranch_execz .LBB1450_34
.LBB1450_86:                            ;   in Loop: Header=BB1450_24 Depth=2
	global_load_b32 v35, v2, s[10:11] offset:6144 scale_offset
	s_wait_xcnt 0x0
	s_or_b32 exec_lo, exec_lo, s13
	s_delay_alu instid0(SALU_CYCLE_1)
	s_mov_b32 s13, exec_lo
	v_cmpx_gt_u32_e64 s9, v73
	s_cbranch_execz .LBB1450_35
.LBB1450_87:                            ;   in Loop: Header=BB1450_24 Depth=2
	global_load_b32 v34, v2, s[10:11] offset:7168 scale_offset
	s_wait_xcnt 0x0
	s_or_b32 exec_lo, exec_lo, s13
	s_delay_alu instid0(SALU_CYCLE_1)
	s_mov_b32 s13, exec_lo
	v_cmpx_gt_u32_e64 s9, v74
	s_cbranch_execz .LBB1450_36
.LBB1450_88:                            ;   in Loop: Header=BB1450_24 Depth=2
	global_load_b32 v33, v2, s[10:11] offset:8192 scale_offset
	s_wait_xcnt 0x0
	s_or_b32 exec_lo, exec_lo, s13
	s_delay_alu instid0(SALU_CYCLE_1)
	s_mov_b32 s13, exec_lo
	v_cmpx_gt_u32_e64 s9, v75
	s_cbranch_execz .LBB1450_37
.LBB1450_89:                            ;   in Loop: Header=BB1450_24 Depth=2
	global_load_b32 v32, v2, s[10:11] offset:9216 scale_offset
	s_wait_xcnt 0x0
	s_or_b32 exec_lo, exec_lo, s13
	s_delay_alu instid0(SALU_CYCLE_1)
	s_mov_b32 s13, exec_lo
	v_cmpx_gt_u32_e64 s9, v76
	s_cbranch_execz .LBB1450_38
.LBB1450_90:                            ;   in Loop: Header=BB1450_24 Depth=2
	global_load_b32 v31, v2, s[10:11] offset:10240 scale_offset
	s_wait_xcnt 0x0
	s_or_b32 exec_lo, exec_lo, s13
	s_delay_alu instid0(SALU_CYCLE_1)
	s_mov_b32 s13, exec_lo
	v_cmpx_gt_u32_e64 s9, v77
	s_cbranch_execz .LBB1450_39
.LBB1450_91:                            ;   in Loop: Header=BB1450_24 Depth=2
	global_load_b32 v30, v2, s[10:11] offset:11264 scale_offset
	s_wait_xcnt 0x0
	s_or_b32 exec_lo, exec_lo, s13
	s_delay_alu instid0(SALU_CYCLE_1)
	s_mov_b32 s13, exec_lo
	v_cmpx_gt_u32_e64 s9, v78
	s_cbranch_execz .LBB1450_40
.LBB1450_92:                            ;   in Loop: Header=BB1450_24 Depth=2
	global_load_b32 v29, v2, s[10:11] offset:12288 scale_offset
	s_wait_xcnt 0x0
	s_or_b32 exec_lo, exec_lo, s13
	s_delay_alu instid0(SALU_CYCLE_1)
	s_mov_b32 s13, exec_lo
	v_cmpx_gt_u32_e64 s9, v79
	s_cbranch_execz .LBB1450_41
.LBB1450_93:                            ;   in Loop: Header=BB1450_24 Depth=2
	global_load_b32 v28, v2, s[10:11] offset:13312 scale_offset
	s_wait_xcnt 0x0
	s_or_b32 exec_lo, exec_lo, s13
	s_delay_alu instid0(SALU_CYCLE_1)
	s_mov_b32 s13, exec_lo
	v_cmpx_gt_u32_e64 s9, v80
	s_cbranch_execz .LBB1450_42
.LBB1450_94:                            ;   in Loop: Header=BB1450_24 Depth=2
	global_load_b32 v27, v2, s[10:11] offset:14336 scale_offset
	s_wait_xcnt 0x0
	s_or_b32 exec_lo, exec_lo, s13
	s_delay_alu instid0(SALU_CYCLE_1)
	s_mov_b32 s13, exec_lo
	v_cmpx_gt_u32_e64 s9, v81
	s_cbranch_execz .LBB1450_43
.LBB1450_95:                            ;   in Loop: Header=BB1450_24 Depth=2
	global_load_b32 v26, v2, s[10:11] offset:15360 scale_offset
	s_wait_xcnt 0x0
	s_or_b32 exec_lo, exec_lo, s13
	s_delay_alu instid0(SALU_CYCLE_1)
	s_mov_b32 s13, exec_lo
	v_cmpx_gt_u32_e64 s9, v82
	s_cbranch_execnz .LBB1450_44
	s_branch .LBB1450_45
.LBB1450_96:                            ;   in Loop: Header=BB1450_20 Depth=1
	v_mov_b32_e32 v25, 0
	s_wait_dscnt 0x0
	s_barrier_signal -1
	s_barrier_wait -1
	s_and_saveexec_b32 s9, s0
	s_cbranch_execz .LBB1450_98
; %bb.97:                               ;   in Loop: Header=BB1450_20 Depth=1
	ds_load_2addr_b64 v[26:29], v85 offset1:1
	s_wait_dscnt 0x0
	v_add_nc_u32_e32 v25, v27, v26
	s_delay_alu instid0(VALU_DEP_1)
	v_add3_u32 v25, v25, v28, v29
.LBB1450_98:                            ;   in Loop: Header=BB1450_20 Depth=1
	s_or_b32 exec_lo, exec_lo, s9
	s_delay_alu instid0(VALU_DEP_1)
	v_mov_b32_dpp v26, v25 row_shr:1 row_mask:0xf bank_mask:0xf
	v_cmp_eq_u32_e64 s9, 0, v97
	v_cmp_lt_u32_e64 s10, 1, v97
	v_cmp_lt_u32_e64 s11, 3, v97
	;; [unrolled: 1-line block ×3, first 2 shown]
	v_cmp_eq_u32_e64 s13, 0, v99
	v_cndmask_b32_e64 v26, v26, 0, s9
	s_delay_alu instid0(VALU_DEP_1) | instskip(NEXT) | instid1(VALU_DEP_1)
	v_add_nc_u32_e32 v25, v26, v25
	v_mov_b32_dpp v26, v25 row_shr:2 row_mask:0xf bank_mask:0xf
	s_delay_alu instid0(VALU_DEP_1) | instskip(NEXT) | instid1(VALU_DEP_1)
	v_cndmask_b32_e64 v26, 0, v26, s10
	v_add_nc_u32_e32 v25, v25, v26
	s_delay_alu instid0(VALU_DEP_1) | instskip(NEXT) | instid1(VALU_DEP_1)
	v_mov_b32_dpp v26, v25 row_shr:4 row_mask:0xf bank_mask:0xf
	v_cndmask_b32_e64 v26, 0, v26, s11
	s_delay_alu instid0(VALU_DEP_1) | instskip(NEXT) | instid1(VALU_DEP_1)
	v_add_nc_u32_e32 v25, v25, v26
	v_mov_b32_dpp v26, v25 row_shr:8 row_mask:0xf bank_mask:0xf
	s_delay_alu instid0(VALU_DEP_1) | instskip(NEXT) | instid1(VALU_DEP_1)
	v_cndmask_b32_e64 v26, 0, v26, s12
	v_add_nc_u32_e32 v25, v25, v26
	ds_swizzle_b32 v26, v25 offset:swizzle(BROADCAST,32,15)
	s_wait_dscnt 0x0
	v_and_b32_e32 v26, v98, v26
	s_delay_alu instid0(VALU_DEP_1)
	v_add_nc_u32_e32 v25, v25, v26
	s_and_saveexec_b32 s14, s1
; %bb.99:                               ;   in Loop: Header=BB1450_20 Depth=1
	ds_store_b32 v86, v25
; %bb.100:                              ;   in Loop: Header=BB1450_20 Depth=1
	s_or_b32 exec_lo, exec_lo, s14
	s_wait_dscnt 0x0
	s_barrier_signal -1
	s_barrier_wait -1
	s_and_saveexec_b32 s14, s4
	s_cbranch_execz .LBB1450_102
; %bb.101:                              ;   in Loop: Header=BB1450_20 Depth=1
	ds_load_b32 v26, v87
	v_cmp_ne_u32_e32 vcc_lo, 0, v100
	s_wait_dscnt 0x0
	v_mov_b32_dpp v27, v26 row_shr:1 row_mask:0xf bank_mask:0xf
	s_delay_alu instid0(VALU_DEP_1) | instskip(SKIP_1) | instid1(VALU_DEP_2)
	v_cndmask_b32_e32 v27, 0, v27, vcc_lo
	v_cmp_lt_u32_e32 vcc_lo, 1, v100
	v_add_nc_u32_e32 v26, v27, v26
	s_delay_alu instid0(VALU_DEP_1) | instskip(NEXT) | instid1(VALU_DEP_1)
	v_mov_b32_dpp v27, v26 row_shr:2 row_mask:0xf bank_mask:0xf
	v_cndmask_b32_e32 v27, 0, v27, vcc_lo
	s_delay_alu instid0(VALU_DEP_1)
	v_add_nc_u32_e32 v26, v26, v27
	ds_store_b32 v87, v26
.LBB1450_102:                           ;   in Loop: Header=BB1450_20 Depth=1
	s_or_b32 exec_lo, exec_lo, s14
	v_mov_b32_e32 v26, 0
	s_wait_dscnt 0x0
	s_barrier_signal -1
	s_barrier_wait -1
	s_and_saveexec_b32 s14, s5
; %bb.103:                              ;   in Loop: Header=BB1450_20 Depth=1
	ds_load_b32 v26, v88
; %bb.104:                              ;   in Loop: Header=BB1450_20 Depth=1
	s_or_b32 exec_lo, exec_lo, s14
	v_cmp_gt_i32_e32 vcc_lo, 0, v102
	s_wait_dscnt 0x0
	s_barrier_signal -1
	s_barrier_wait -1
	v_cndmask_b32_e32 v27, v102, v95, vcc_lo
	s_delay_alu instid0(VALU_DEP_1)
	v_dual_add_nc_u32 v25, v26, v25 :: v_dual_lshlrev_b32 v119, 2, v27
	ds_bpermute_b32 v25, v119, v25
	s_and_saveexec_b32 s14, s0
	s_cbranch_execz .LBB1450_106
; %bb.105:                              ;   in Loop: Header=BB1450_20 Depth=1
	s_wait_dscnt 0x0
	v_cndmask_b32_e64 v25, v25, v26, s8
	s_delay_alu instid0(VALU_DEP_1)
	v_add_nc_u32_e32 v25, s55, v25
	ds_store_b32 v4, v25
.LBB1450_106:                           ;   in Loop: Header=BB1450_20 Depth=1
	s_or_b32 exec_lo, exec_lo, s14
	s_clause 0x1
	s_load_b32 s14, s[52:53], 0x4
	s_load_b32 s16, s[52:53], 0xc
	s_mov_b32 s59, s57
                                        ; implicit-def: $vgpr32_vgpr33
                                        ; implicit-def: $vgpr34_vgpr35
                                        ; implicit-def: $vgpr36_vgpr37
                                        ; implicit-def: $vgpr38_vgpr39
                                        ; implicit-def: $vgpr40_vgpr41
                                        ; implicit-def: $vgpr42_vgpr43
                                        ; implicit-def: $vgpr44_vgpr45
                                        ; implicit-def: $vgpr46_vgpr47
                                        ; implicit-def: $vgpr48_vgpr49
                                        ; implicit-def: $vgpr50_vgpr51
                                        ; implicit-def: $vgpr52_vgpr53
                                        ; implicit-def: $vgpr54_vgpr55
                                        ; implicit-def: $vgpr56_vgpr57
                                        ; implicit-def: $vgpr58_vgpr59
                                        ; implicit-def: $vgpr60_vgpr61
                                        ; implicit-def: $vgpr62_vgpr63
                                        ; implicit-def: $vgpr120
                                        ; implicit-def: $vgpr121
                                        ; implicit-def: $vgpr122
                                        ; implicit-def: $vgpr123
                                        ; implicit-def: $vgpr124
                                        ; implicit-def: $vgpr125
                                        ; implicit-def: $vgpr126
                                        ; implicit-def: $vgpr127
                                        ; implicit-def: $vgpr128
                                        ; implicit-def: $vgpr129
                                        ; implicit-def: $vgpr130
                                        ; implicit-def: $vgpr131
                                        ; implicit-def: $vgpr132
                                        ; implicit-def: $vgpr134
                                        ; implicit-def: $vgpr135
                                        ; implicit-def: $vgpr136
                                        ; implicit-def: $vgpr137
                                        ; implicit-def: $vgpr133
                                        ; implicit-def: $vgpr138
	s_wait_kmcnt 0x0
	s_cmp_lt_u32 s35, s14
	s_cselect_b32 s42, 14, 20
	s_delay_alu instid0(SALU_CYCLE_1)
	s_add_nc_u64 s[14:15], s[52:53], s[42:43]
	s_mov_b32 s42, s55
	s_load_u16 s14, s[14:15], 0x0
	s_wait_xcnt 0x0
	v_cmp_lt_u32_e64 s15, 1, v103
	s_wait_dscnt 0x0
	s_wait_kmcnt 0x0
	v_mad_u32_u24 v25, v89, s14, v91
	s_and_b32 s14, s16, 0xffff
	v_cmp_lt_u32_e64 s16, 3, v103
	s_delay_alu instid0(VALU_DEP_2) | instskip(SKIP_2) | instid1(VALU_DEP_3)
	v_mad_u32 v26, v25, s14, v2
	v_mov_b32_e32 v25, v1
	v_cmp_eq_u32_e64 s14, 0, v103
	v_lshrrev_b32_e32 v30, 3, v26
	v_add_nc_u64_e32 v[26:27], v[6:7], v[0:1]
	s_delay_alu instid0(VALU_DEP_4) | instskip(NEXT) | instid1(VALU_DEP_3)
	v_add_nc_u64_e32 v[28:29], v[8:9], v[24:25]
	v_and_b32_e32 v25, 0x1ffffffc, v30
                                        ; implicit-def: $vgpr30_vgpr31
	s_branch .LBB1450_108
.LBB1450_107:                           ;   in Loop: Header=BB1450_108 Depth=2
	s_or_b32 exec_lo, exec_lo, s17
	s_addk_co_i32 s59, 0xef00
	s_cmp_lt_u32 s60, s54
	s_mov_b32 s42, s60
	s_cbranch_scc0 .LBB1450_330
.LBB1450_108:                           ;   Parent Loop BB1450_20 Depth=1
                                        ; =>  This Inner Loop Header: Depth=2
	s_add_co_i32 s60, s42, 0x1100
	s_delay_alu instid0(SALU_CYCLE_1)
	s_cmp_gt_u32 s60, s54
	s_cbranch_scc1 .LBB1450_110
; %bb.109:                              ;   in Loop: Header=BB1450_108 Depth=2
	s_delay_alu instid0(VALU_DEP_2)
	v_lshl_add_u64 v[64:65], s[42:43], 2, v[28:29]
	s_mov_b32 s17, -1
	s_clause 0xf
	global_load_b32 v140, v[64:65], off
	global_load_b32 v142, v[64:65], off offset:128
	global_load_b32 v144, v[64:65], off offset:256
	;; [unrolled: 1-line block ×15, first 2 shown]
	s_movk_i32 s18, 0x1100
	s_cbranch_execz .LBB1450_111
	s_branch .LBB1450_144
.LBB1450_110:                           ;   in Loop: Header=BB1450_108 Depth=2
	s_mov_b32 s17, 0
                                        ; implicit-def: $vgpr140
                                        ; implicit-def: $vgpr142
                                        ; implicit-def: $vgpr144
                                        ; implicit-def: $vgpr148
                                        ; implicit-def: $vgpr153
                                        ; implicit-def: $vgpr158
                                        ; implicit-def: $vgpr163
                                        ; implicit-def: $vgpr168
                                        ; implicit-def: $vgpr173
                                        ; implicit-def: $vgpr171
                                        ; implicit-def: $vgpr166
                                        ; implicit-def: $vgpr161
                                        ; implicit-def: $vgpr157
                                        ; implicit-def: $vgpr152
                                        ; implicit-def: $vgpr67
                                        ; implicit-def: $vgpr66
	s_movk_i32 s18, 0x1100
.LBB1450_111:                           ;   in Loop: Header=BB1450_108 Depth=2
	s_wait_xcnt 0x0
	v_lshl_add_u64 v[64:65], s[42:43], 2, v[28:29]
	s_wait_loadcnt 0xe
	v_bfrev_b32_e32 v142, -2
	v_bfrev_b32_e32 v140, -2
	s_mov_b32 s17, exec_lo
	v_cmpx_gt_u32_e64 s59, v101
	s_cbranch_execz .LBB1450_113
; %bb.112:                              ;   in Loop: Header=BB1450_108 Depth=2
	global_load_b32 v140, v[64:65], off
.LBB1450_113:                           ;   in Loop: Header=BB1450_108 Depth=2
	s_wait_xcnt 0x0
	s_or_b32 exec_lo, exec_lo, s17
	s_delay_alu instid0(SALU_CYCLE_1)
	s_mov_b32 s17, exec_lo
	v_cmpx_gt_u32_e64 s59, v104
	s_cbranch_execz .LBB1450_115
; %bb.114:                              ;   in Loop: Header=BB1450_108 Depth=2
	global_load_b32 v142, v[64:65], off offset:128
.LBB1450_115:                           ;   in Loop: Header=BB1450_108 Depth=2
	s_wait_xcnt 0x0
	s_or_b32 exec_lo, exec_lo, s17
	s_wait_loadcnt 0xc
	v_bfrev_b32_e32 v148, -2
	v_bfrev_b32_e32 v144, -2
	s_mov_b32 s17, exec_lo
	v_cmpx_gt_u32_e64 s59, v105
	s_cbranch_execz .LBB1450_117
; %bb.116:                              ;   in Loop: Header=BB1450_108 Depth=2
	global_load_b32 v144, v[64:65], off offset:256
.LBB1450_117:                           ;   in Loop: Header=BB1450_108 Depth=2
	s_wait_xcnt 0x0
	s_or_b32 exec_lo, exec_lo, s17
	s_delay_alu instid0(SALU_CYCLE_1)
	s_mov_b32 s17, exec_lo
	v_cmpx_gt_u32_e64 s59, v106
	s_cbranch_execz .LBB1450_119
; %bb.118:                              ;   in Loop: Header=BB1450_108 Depth=2
	global_load_b32 v148, v[64:65], off offset:384
.LBB1450_119:                           ;   in Loop: Header=BB1450_108 Depth=2
	s_wait_xcnt 0x0
	s_or_b32 exec_lo, exec_lo, s17
	s_wait_loadcnt 0xa
	v_bfrev_b32_e32 v158, -2
	v_bfrev_b32_e32 v153, -2
	s_mov_b32 s17, exec_lo
	v_cmpx_gt_u32_e64 s59, v107
	s_cbranch_execz .LBB1450_121
; %bb.120:                              ;   in Loop: Header=BB1450_108 Depth=2
	global_load_b32 v153, v[64:65], off offset:512
.LBB1450_121:                           ;   in Loop: Header=BB1450_108 Depth=2
	;; [unrolled: 20-line block ×7, first 2 shown]
	s_wait_xcnt 0x0
	s_or_b32 exec_lo, exec_lo, s17
	s_delay_alu instid0(SALU_CYCLE_1)
	s_mov_b32 s17, exec_lo
	v_cmpx_gt_u32_e64 s59, v118
	s_cbranch_execz .LBB1450_143
; %bb.142:                              ;   in Loop: Header=BB1450_108 Depth=2
	global_load_b32 v66, v[64:65], off offset:1920
.LBB1450_143:                           ;   in Loop: Header=BB1450_108 Depth=2
	s_wait_xcnt 0x0
	s_or_b32 exec_lo, exec_lo, s17
	v_cmp_gt_u32_e64 s17, s59, v5
	s_sub_co_i32 s18, s54, s42
.LBB1450_144:                           ;   in Loop: Header=BB1450_108 Depth=2
	s_wait_xcnt 0x0
	v_bfrev_b32_e32 v64, -2
	v_mov_b32_e32 v139, s59
	s_and_saveexec_b32 s19, s17
	s_cbranch_execz .LBB1450_146
; %bb.145:                              ;   in Loop: Header=BB1450_108 Depth=2
	v_lshl_add_u64 v[64:65], s[42:43], 2, v[28:29]
	v_mov_b32_e32 v139, s18
	global_load_b32 v64, v[64:65], off offset:2048
.LBB1450_146:                           ;   in Loop: Header=BB1450_108 Depth=2
	s_wait_xcnt 0x0
	s_or_b32 exec_lo, exec_lo, s19
	s_wait_loadcnt 0xf
	v_cmp_lt_i32_e32 vcc_lo, -1, v140
	ds_store_2addr_b32 v90, v1, v1 offset0:136 offset1:137
	ds_store_2addr_b32 v90, v1, v1 offset0:138 offset1:139
	ds_store_b32 v90, v1 offset:560
	s_wait_loadcnt_dscnt 0x0
	s_barrier_signal -1
	s_barrier_wait -1
	v_cndmask_b32_e64 v65, -1, 0x80000000, vcc_lo
	; wave barrier
	s_delay_alu instid0(VALU_DEP_1) | instskip(NEXT) | instid1(VALU_DEP_1)
	v_xor_b32_e32 v140, v65, v140
	v_cmp_ne_u32_e32 vcc_lo, 0x7fffffff, v140
	v_cndmask_b32_e32 v65, 0x80000000, v140, vcc_lo
	s_delay_alu instid0(VALU_DEP_1) | instskip(NEXT) | instid1(VALU_DEP_1)
	v_lshrrev_b32_e32 v65, s48, v65
	v_bitop3_b32 v141, v65, 1, s58 bitop3:0x80
	v_and_b32_e32 v143, s58, v65
	s_delay_alu instid0(VALU_DEP_2) | instskip(NEXT) | instid1(VALU_DEP_1)
	v_add_co_u32 v65, s17, v141, -1
	v_cndmask_b32_e64 v141, 0, 1, s17
	s_delay_alu instid0(VALU_DEP_3) | instskip(SKIP_1) | instid1(VALU_DEP_3)
	v_dual_lshlrev_b32 v145, 30, v143 :: v_dual_lshlrev_b32 v147, 28, v143
	v_lshlrev_b32_e32 v146, 29, v143
	v_cmp_ne_u32_e32 vcc_lo, 0, v141
	s_delay_alu instid0(VALU_DEP_3) | instskip(SKIP_1) | instid1(VALU_DEP_4)
	v_cmp_gt_i32_e64 s17, 0, v145
	v_not_b32_e32 v141, v145
	v_cmp_gt_i32_e64 s18, 0, v146
	v_not_b32_e32 v145, v146
	v_not_b32_e32 v146, v147
	v_cmp_gt_i32_e64 s19, 0, v147
	v_ashrrev_i32_e32 v141, 31, v141
	v_bitop3_b32 v65, vcc_lo, exec_lo, v65 bitop3:0x48
	s_delay_alu instid0(VALU_DEP_4) | instskip(SKIP_2) | instid1(VALU_DEP_3)
	v_dual_ashrrev_i32 v146, 31, v146 :: v_dual_lshlrev_b32 v149, 27, v143
	v_dual_lshlrev_b32 v150, 26, v143 :: v_dual_lshlrev_b32 v151, 25, v143
	v_mul_u32_u24_e32 v143, 36, v143
	v_xor_b32_e32 v146, s19, v146
	s_delay_alu instid0(VALU_DEP_4)
	v_not_b32_e32 v147, v149
	v_ashrrev_i32_e32 v145, 31, v145
	v_cmp_gt_i32_e64 s20, 0, v149
	v_cmp_gt_i32_e64 s21, 0, v150
	v_not_b32_e32 v149, v150
	v_not_b32_e32 v150, v151
	v_dual_ashrrev_i32 v147, 31, v147 :: v_dual_bitop2_b32 v141, s17, v141 bitop3:0x14
	v_dual_add_nc_u32 v143, v25, v143 :: v_dual_bitop2_b32 v145, s18, v145 bitop3:0x14
	v_cmp_gt_i32_e64 s22, 0, v151
	s_delay_alu instid0(VALU_DEP_4) | instskip(NEXT) | instid1(VALU_DEP_4)
	v_dual_ashrrev_i32 v149, 31, v149 :: v_dual_ashrrev_i32 v150, 31, v150
	v_xor_b32_e32 v147, s20, v147
	s_delay_alu instid0(VALU_DEP_4) | instskip(NEXT) | instid1(VALU_DEP_3)
	v_bitop3_b32 v65, v65, v145, v141 bitop3:0x80
	v_xor_b32_e32 v141, s21, v149
	s_delay_alu instid0(VALU_DEP_4) | instskip(NEXT) | instid1(VALU_DEP_3)
	v_xor_b32_e32 v145, s22, v150
	v_bitop3_b32 v65, v65, v147, v146 bitop3:0x80
	s_delay_alu instid0(VALU_DEP_1) | instskip(NEXT) | instid1(VALU_DEP_1)
	v_bitop3_b32 v65, v65, v145, v141 bitop3:0x80
	v_mbcnt_lo_u32_b32 v141, v65, 0
	v_cmp_ne_u32_e64 s17, 0, v65
	s_delay_alu instid0(VALU_DEP_2) | instskip(SKIP_1) | instid1(SALU_CYCLE_1)
	v_cmp_eq_u32_e32 vcc_lo, 0, v141
	s_and_b32 s18, s17, vcc_lo
	s_and_saveexec_b32 s17, s18
; %bb.147:                              ;   in Loop: Header=BB1450_108 Depth=2
	v_bcnt_u32_b32 v65, v65, 0
	ds_store_b32 v143, v65 offset:544
; %bb.148:                              ;   in Loop: Header=BB1450_108 Depth=2
	s_or_b32 exec_lo, exec_lo, s17
	v_cmp_lt_i32_e32 vcc_lo, -1, v142
	; wave barrier
	v_cndmask_b32_e64 v65, -1, 0x80000000, vcc_lo
	s_delay_alu instid0(VALU_DEP_1) | instskip(NEXT) | instid1(VALU_DEP_1)
	v_xor_b32_e32 v142, v65, v142
	v_cmp_ne_u32_e32 vcc_lo, 0x7fffffff, v142
	v_cndmask_b32_e32 v65, 0x80000000, v142, vcc_lo
	s_delay_alu instid0(VALU_DEP_1) | instskip(NEXT) | instid1(VALU_DEP_1)
	v_lshrrev_b32_e32 v65, s48, v65
	v_bitop3_b32 v145, v65, 1, s58 bitop3:0x80
	v_and_b32_e32 v147, s58, v65
	s_delay_alu instid0(VALU_DEP_2) | instskip(NEXT) | instid1(VALU_DEP_1)
	v_add_co_u32 v65, s17, v145, -1
	v_cndmask_b32_e64 v145, 0, 1, s17
	s_delay_alu instid0(VALU_DEP_3) | instskip(NEXT) | instid1(VALU_DEP_2)
	v_dual_lshlrev_b32 v146, 30, v147 :: v_dual_lshlrev_b32 v149, 29, v147
	v_cmp_ne_u32_e32 vcc_lo, 0, v145
	s_delay_alu instid0(VALU_DEP_2) | instskip(SKIP_1) | instid1(VALU_DEP_4)
	v_cmp_gt_i32_e64 s17, 0, v146
	v_not_b32_e32 v145, v146
	v_not_b32_e32 v146, v149
	v_bitop3_b32 v65, vcc_lo, exec_lo, v65 bitop3:0x48
	s_delay_alu instid0(VALU_DEP_2) | instskip(SKIP_3) | instid1(VALU_DEP_3)
	v_dual_ashrrev_i32 v145, 31, v145 :: v_dual_ashrrev_i32 v146, 31, v146
	v_dual_lshlrev_b32 v150, 28, v147 :: v_dual_lshlrev_b32 v151, 27, v147
	v_dual_lshlrev_b32 v154, 26, v147 :: v_dual_lshlrev_b32 v155, 25, v147
	v_cmp_gt_i32_e64 s18, 0, v149
	v_cmp_gt_i32_e64 s19, 0, v150
	v_not_b32_e32 v149, v150
	v_not_b32_e32 v150, v151
	v_cmp_gt_i32_e64 s20, 0, v151
	v_cmp_gt_i32_e64 s21, 0, v154
	v_not_b32_e32 v151, v154
	v_not_b32_e32 v154, v155
	v_dual_ashrrev_i32 v149, 31, v149 :: v_dual_ashrrev_i32 v150, 31, v150
	s_delay_alu instid0(VALU_DEP_3) | instskip(SKIP_2) | instid1(VALU_DEP_4)
	v_dual_ashrrev_i32 v151, 31, v151 :: v_dual_bitop2_b32 v145, s17, v145 bitop3:0x14
	v_xor_b32_e32 v146, s18, v146
	v_cmp_gt_i32_e64 s22, 0, v155
	v_dual_ashrrev_i32 v154, 31, v154 :: v_dual_bitop2_b32 v149, s19, v149 bitop3:0x14
	v_xor_b32_e32 v150, s20, v150
	s_delay_alu instid0(VALU_DEP_4)
	v_bitop3_b32 v65, v65, v146, v145 bitop3:0x80
	v_mad_u32_u24 v145, v147, 36, v25
	v_xor_b32_e32 v146, s21, v151
	v_xor_b32_e32 v151, s22, v154
	v_mul_u32_u24_e32 v147, 36, v147
	v_bitop3_b32 v65, v65, v150, v149 bitop3:0x80
	ds_load_b32 v145, v145 offset:544
	; wave barrier
	v_add_nc_u32_e32 v147, v25, v147
	v_bitop3_b32 v65, v65, v151, v146 bitop3:0x80
	s_delay_alu instid0(VALU_DEP_1) | instskip(SKIP_1) | instid1(VALU_DEP_2)
	v_mbcnt_lo_u32_b32 v146, v65, 0
	v_cmp_ne_u32_e64 s17, 0, v65
	v_cmp_eq_u32_e32 vcc_lo, 0, v146
	s_and_b32 s18, s17, vcc_lo
	s_delay_alu instid0(SALU_CYCLE_1)
	s_and_saveexec_b32 s17, s18
	s_cbranch_execz .LBB1450_150
; %bb.149:                              ;   in Loop: Header=BB1450_108 Depth=2
	s_wait_dscnt 0x0
	v_bcnt_u32_b32 v65, v65, v145
	ds_store_b32 v147, v65 offset:544
.LBB1450_150:                           ;   in Loop: Header=BB1450_108 Depth=2
	s_or_b32 exec_lo, exec_lo, s17
	v_cmp_lt_i32_e32 vcc_lo, -1, v144
	; wave barrier
	v_cndmask_b32_e64 v65, -1, 0x80000000, vcc_lo
	s_delay_alu instid0(VALU_DEP_1) | instskip(NEXT) | instid1(VALU_DEP_1)
	v_xor_b32_e32 v144, v65, v144
	v_cmp_ne_u32_e32 vcc_lo, 0x7fffffff, v144
	v_cndmask_b32_e32 v65, 0x80000000, v144, vcc_lo
	s_delay_alu instid0(VALU_DEP_1) | instskip(NEXT) | instid1(VALU_DEP_1)
	v_lshrrev_b32_e32 v65, s48, v65
	v_bitop3_b32 v149, v65, 1, s58 bitop3:0x80
	v_and_b32_e32 v151, s58, v65
	s_delay_alu instid0(VALU_DEP_2) | instskip(NEXT) | instid1(VALU_DEP_1)
	v_add_co_u32 v65, s17, v149, -1
	v_cndmask_b32_e64 v149, 0, 1, s17
	s_delay_alu instid0(VALU_DEP_3) | instskip(NEXT) | instid1(VALU_DEP_2)
	v_dual_lshlrev_b32 v150, 30, v151 :: v_dual_lshlrev_b32 v154, 29, v151
	v_cmp_ne_u32_e32 vcc_lo, 0, v149
	s_delay_alu instid0(VALU_DEP_2) | instskip(SKIP_1) | instid1(VALU_DEP_4)
	v_cmp_gt_i32_e64 s17, 0, v150
	v_not_b32_e32 v149, v150
	v_not_b32_e32 v150, v154
	v_bitop3_b32 v65, vcc_lo, exec_lo, v65 bitop3:0x48
	s_delay_alu instid0(VALU_DEP_2) | instskip(SKIP_3) | instid1(VALU_DEP_3)
	v_dual_ashrrev_i32 v149, 31, v149 :: v_dual_ashrrev_i32 v150, 31, v150
	v_dual_lshlrev_b32 v155, 28, v151 :: v_dual_lshlrev_b32 v156, 27, v151
	v_dual_lshlrev_b32 v159, 26, v151 :: v_dual_lshlrev_b32 v160, 25, v151
	v_cmp_gt_i32_e64 s18, 0, v154
	v_cmp_gt_i32_e64 s19, 0, v155
	v_not_b32_e32 v154, v155
	v_not_b32_e32 v155, v156
	v_cmp_gt_i32_e64 s20, 0, v156
	v_cmp_gt_i32_e64 s21, 0, v159
	v_not_b32_e32 v156, v159
	v_not_b32_e32 v159, v160
	v_dual_ashrrev_i32 v154, 31, v154 :: v_dual_ashrrev_i32 v155, 31, v155
	s_delay_alu instid0(VALU_DEP_3) | instskip(NEXT) | instid1(VALU_DEP_3)
	v_dual_ashrrev_i32 v156, 31, v156 :: v_dual_bitop2_b32 v149, s17, v149 bitop3:0x14
	v_dual_ashrrev_i32 v159, 31, v159 :: v_dual_bitop2_b32 v150, s18, v150 bitop3:0x14
	v_cmp_gt_i32_e64 s22, 0, v160
	s_delay_alu instid0(VALU_DEP_4) | instskip(NEXT) | instid1(VALU_DEP_3)
	v_xor_b32_e32 v155, s20, v155
	v_bitop3_b32 v65, v65, v150, v149 bitop3:0x80
	v_mad_u32_u24 v149, v151, 36, v25
	v_mul_u32_u24_e32 v151, 36, v151
	v_xor_b32_e32 v154, s19, v154
	v_xor_b32_e32 v150, s21, v156
	;; [unrolled: 1-line block ×3, first 2 shown]
	ds_load_b32 v149, v149 offset:544
	v_add_nc_u32_e32 v151, v25, v151
	v_bitop3_b32 v65, v65, v155, v154 bitop3:0x80
	; wave barrier
	s_delay_alu instid0(VALU_DEP_1) | instskip(NEXT) | instid1(VALU_DEP_1)
	v_bitop3_b32 v65, v65, v156, v150 bitop3:0x80
	v_mbcnt_lo_u32_b32 v150, v65, 0
	v_cmp_ne_u32_e64 s17, 0, v65
	s_delay_alu instid0(VALU_DEP_2) | instskip(SKIP_1) | instid1(SALU_CYCLE_1)
	v_cmp_eq_u32_e32 vcc_lo, 0, v150
	s_and_b32 s18, s17, vcc_lo
	s_and_saveexec_b32 s17, s18
	s_cbranch_execz .LBB1450_152
; %bb.151:                              ;   in Loop: Header=BB1450_108 Depth=2
	s_wait_dscnt 0x0
	v_bcnt_u32_b32 v65, v65, v149
	ds_store_b32 v151, v65 offset:544
.LBB1450_152:                           ;   in Loop: Header=BB1450_108 Depth=2
	s_or_b32 exec_lo, exec_lo, s17
	v_cmp_lt_i32_e32 vcc_lo, -1, v148
	; wave barrier
	v_cndmask_b32_e64 v65, -1, 0x80000000, vcc_lo
	s_delay_alu instid0(VALU_DEP_1) | instskip(NEXT) | instid1(VALU_DEP_1)
	v_xor_b32_e32 v148, v65, v148
	v_cmp_ne_u32_e32 vcc_lo, 0x7fffffff, v148
	v_cndmask_b32_e32 v65, 0x80000000, v148, vcc_lo
	s_delay_alu instid0(VALU_DEP_1) | instskip(NEXT) | instid1(VALU_DEP_1)
	v_lshrrev_b32_e32 v65, s48, v65
	v_bitop3_b32 v154, v65, 1, s58 bitop3:0x80
	v_and_b32_e32 v156, s58, v65
	s_delay_alu instid0(VALU_DEP_2) | instskip(NEXT) | instid1(VALU_DEP_1)
	v_add_co_u32 v65, s17, v154, -1
	v_cndmask_b32_e64 v154, 0, 1, s17
	s_delay_alu instid0(VALU_DEP_3) | instskip(NEXT) | instid1(VALU_DEP_2)
	v_dual_lshlrev_b32 v155, 30, v156 :: v_dual_lshlrev_b32 v159, 29, v156
	v_cmp_ne_u32_e32 vcc_lo, 0, v154
	s_delay_alu instid0(VALU_DEP_2) | instskip(SKIP_1) | instid1(VALU_DEP_4)
	v_cmp_gt_i32_e64 s17, 0, v155
	v_not_b32_e32 v154, v155
	v_not_b32_e32 v155, v159
	v_cmp_gt_i32_e64 s18, 0, v159
	v_bitop3_b32 v65, vcc_lo, exec_lo, v65 bitop3:0x48
	s_delay_alu instid0(VALU_DEP_3) | instskip(SKIP_2) | instid1(VALU_DEP_2)
	v_dual_ashrrev_i32 v154, 31, v154 :: v_dual_ashrrev_i32 v155, 31, v155
	v_dual_lshlrev_b32 v160, 28, v156 :: v_dual_lshlrev_b32 v162, 27, v156
	v_dual_lshlrev_b32 v164, 26, v156 :: v_dual_lshlrev_b32 v165, 25, v156
	v_cmp_gt_i32_e64 s19, 0, v160
	v_not_b32_e32 v159, v160
	s_delay_alu instid0(VALU_DEP_4)
	v_not_b32_e32 v160, v162
	v_cmp_gt_i32_e64 s20, 0, v162
	v_cmp_gt_i32_e64 s21, 0, v164
	v_not_b32_e32 v162, v164
	v_not_b32_e32 v164, v165
	v_dual_ashrrev_i32 v159, 31, v159 :: v_dual_ashrrev_i32 v160, 31, v160
	v_xor_b32_e32 v154, s17, v154
	s_delay_alu instid0(VALU_DEP_4) | instskip(SKIP_3) | instid1(VALU_DEP_4)
	v_dual_ashrrev_i32 v162, 31, v162 :: v_dual_bitop2_b32 v155, s18, v155 bitop3:0x14
	v_cmp_gt_i32_e64 s22, 0, v165
	v_ashrrev_i32_e32 v164, 31, v164
	v_xor_b32_e32 v160, s20, v160
	v_bitop3_b32 v65, v65, v155, v154 bitop3:0x80
	v_mad_u32_u24 v154, v156, 36, v25
	v_mul_u32_u24_e32 v156, 36, v156
	v_xor_b32_e32 v159, s19, v159
	v_xor_b32_e32 v155, s21, v162
	;; [unrolled: 1-line block ×3, first 2 shown]
	ds_load_b32 v154, v154 offset:544
	v_add_nc_u32_e32 v156, v25, v156
	v_bitop3_b32 v65, v65, v160, v159 bitop3:0x80
	; wave barrier
	s_delay_alu instid0(VALU_DEP_1) | instskip(NEXT) | instid1(VALU_DEP_1)
	v_bitop3_b32 v65, v65, v162, v155 bitop3:0x80
	v_mbcnt_lo_u32_b32 v155, v65, 0
	v_cmp_ne_u32_e64 s17, 0, v65
	s_delay_alu instid0(VALU_DEP_2) | instskip(SKIP_1) | instid1(SALU_CYCLE_1)
	v_cmp_eq_u32_e32 vcc_lo, 0, v155
	s_and_b32 s18, s17, vcc_lo
	s_and_saveexec_b32 s17, s18
	s_cbranch_execz .LBB1450_154
; %bb.153:                              ;   in Loop: Header=BB1450_108 Depth=2
	s_wait_dscnt 0x0
	v_bcnt_u32_b32 v65, v65, v154
	ds_store_b32 v156, v65 offset:544
.LBB1450_154:                           ;   in Loop: Header=BB1450_108 Depth=2
	s_or_b32 exec_lo, exec_lo, s17
	v_cmp_lt_i32_e32 vcc_lo, -1, v153
	; wave barrier
	v_cndmask_b32_e64 v65, -1, 0x80000000, vcc_lo
	s_delay_alu instid0(VALU_DEP_1) | instskip(NEXT) | instid1(VALU_DEP_1)
	v_xor_b32_e32 v153, v65, v153
	v_cmp_ne_u32_e32 vcc_lo, 0x7fffffff, v153
	v_cndmask_b32_e32 v65, 0x80000000, v153, vcc_lo
	s_delay_alu instid0(VALU_DEP_1) | instskip(NEXT) | instid1(VALU_DEP_1)
	v_lshrrev_b32_e32 v65, s48, v65
	v_and_b32_e32 v162, s58, v65
	s_delay_alu instid0(VALU_DEP_1) | instskip(SKIP_2) | instid1(VALU_DEP_3)
	v_lshlrev_b32_e32 v165, 28, v162
	v_bitop3_b32 v159, v65, 1, s58 bitop3:0x80
	v_lshlrev_b32_e32 v160, 30, v162
	v_cmp_gt_i32_e64 s19, 0, v165
	s_delay_alu instid0(VALU_DEP_3) | instskip(NEXT) | instid1(VALU_DEP_1)
	v_add_co_u32 v65, s17, v159, -1
	v_cndmask_b32_e64 v159, 0, 1, s17
	s_delay_alu instid0(VALU_DEP_4) | instskip(NEXT) | instid1(VALU_DEP_2)
	v_cmp_gt_i32_e64 s17, 0, v160
	v_cmp_ne_u32_e32 vcc_lo, 0, v159
	v_not_b32_e32 v159, v160
	v_bitop3_b32 v65, vcc_lo, exec_lo, v65 bitop3:0x48
	s_delay_alu instid0(VALU_DEP_2) | instskip(SKIP_1) | instid1(VALU_DEP_2)
	v_dual_ashrrev_i32 v159, 31, v159 :: v_dual_lshlrev_b32 v164, 29, v162
	v_dual_lshlrev_b32 v167, 27, v162 :: v_dual_lshlrev_b32 v169, 26, v162
	v_not_b32_e32 v160, v164
	v_lshlrev_b32_e32 v170, 25, v162
	v_cmp_gt_i32_e64 s18, 0, v164
	v_not_b32_e32 v164, v165
	v_not_b32_e32 v165, v167
	v_ashrrev_i32_e32 v160, 31, v160
	v_cmp_gt_i32_e64 s20, 0, v167
	v_cmp_gt_i32_e64 s21, 0, v169
	v_not_b32_e32 v167, v169
	v_not_b32_e32 v169, v170
	v_dual_ashrrev_i32 v164, 31, v164 :: v_dual_ashrrev_i32 v165, 31, v165
	v_xor_b32_e32 v159, s17, v159
	s_delay_alu instid0(VALU_DEP_4) | instskip(SKIP_3) | instid1(VALU_DEP_4)
	v_dual_ashrrev_i32 v167, 31, v167 :: v_dual_bitop2_b32 v160, s18, v160 bitop3:0x14
	v_cmp_gt_i32_e64 s22, 0, v170
	v_ashrrev_i32_e32 v169, 31, v169
	v_xor_b32_e32 v165, s20, v165
	v_bitop3_b32 v65, v65, v160, v159 bitop3:0x80
	v_mad_u32_u24 v159, v162, 36, v25
	v_mul_u32_u24_e32 v162, 36, v162
	v_xor_b32_e32 v164, s19, v164
	v_xor_b32_e32 v160, s21, v167
	;; [unrolled: 1-line block ×3, first 2 shown]
	ds_load_b32 v159, v159 offset:544
	v_add_nc_u32_e32 v162, v25, v162
	v_bitop3_b32 v65, v65, v165, v164 bitop3:0x80
	; wave barrier
	s_delay_alu instid0(VALU_DEP_1) | instskip(NEXT) | instid1(VALU_DEP_1)
	v_bitop3_b32 v65, v65, v167, v160 bitop3:0x80
	v_mbcnt_lo_u32_b32 v160, v65, 0
	v_cmp_ne_u32_e64 s17, 0, v65
	s_delay_alu instid0(VALU_DEP_2) | instskip(SKIP_1) | instid1(SALU_CYCLE_1)
	v_cmp_eq_u32_e32 vcc_lo, 0, v160
	s_and_b32 s18, s17, vcc_lo
	s_and_saveexec_b32 s17, s18
	s_cbranch_execz .LBB1450_156
; %bb.155:                              ;   in Loop: Header=BB1450_108 Depth=2
	s_wait_dscnt 0x0
	v_bcnt_u32_b32 v65, v65, v159
	ds_store_b32 v162, v65 offset:544
.LBB1450_156:                           ;   in Loop: Header=BB1450_108 Depth=2
	s_or_b32 exec_lo, exec_lo, s17
	v_cmp_lt_i32_e32 vcc_lo, -1, v158
	; wave barrier
	v_cndmask_b32_e64 v65, -1, 0x80000000, vcc_lo
	s_delay_alu instid0(VALU_DEP_1) | instskip(NEXT) | instid1(VALU_DEP_1)
	v_xor_b32_e32 v158, v65, v158
	v_cmp_ne_u32_e32 vcc_lo, 0x7fffffff, v158
	v_cndmask_b32_e32 v65, 0x80000000, v158, vcc_lo
	s_delay_alu instid0(VALU_DEP_1) | instskip(NEXT) | instid1(VALU_DEP_1)
	v_lshrrev_b32_e32 v65, s48, v65
	v_bitop3_b32 v164, v65, 1, s58 bitop3:0x80
	v_and_b32_e32 v167, s58, v65
	s_delay_alu instid0(VALU_DEP_2) | instskip(NEXT) | instid1(VALU_DEP_1)
	v_add_co_u32 v65, s17, v164, -1
	v_cndmask_b32_e64 v164, 0, 1, s17
	s_delay_alu instid0(VALU_DEP_3) | instskip(NEXT) | instid1(VALU_DEP_2)
	v_lshlrev_b32_e32 v165, 30, v167
	v_cmp_ne_u32_e32 vcc_lo, 0, v164
	s_delay_alu instid0(VALU_DEP_2) | instskip(SKIP_1) | instid1(VALU_DEP_2)
	v_not_b32_e32 v164, v165
	v_bitop3_b32 v65, vcc_lo, exec_lo, v65 bitop3:0x48
	v_dual_ashrrev_i32 v164, 31, v164 :: v_dual_lshlrev_b32 v169, 29, v167
	v_dual_lshlrev_b32 v170, 28, v167 :: v_dual_lshlrev_b32 v172, 27, v167
	v_lshlrev_b32_e32 v174, 26, v167
	v_cmp_gt_i32_e64 s17, 0, v165
	s_delay_alu instid0(VALU_DEP_4)
	v_not_b32_e32 v165, v169
	v_lshlrev_b32_e32 v175, 25, v167
	v_cmp_gt_i32_e64 s18, 0, v169
	v_cmp_gt_i32_e64 s19, 0, v170
	v_not_b32_e32 v169, v170
	v_not_b32_e32 v170, v172
	v_ashrrev_i32_e32 v165, 31, v165
	v_cmp_gt_i32_e64 s20, 0, v172
	v_cmp_gt_i32_e64 s21, 0, v174
	v_not_b32_e32 v172, v174
	v_not_b32_e32 v174, v175
	v_dual_ashrrev_i32 v169, 31, v169 :: v_dual_ashrrev_i32 v170, 31, v170
	v_xor_b32_e32 v164, s17, v164
	s_delay_alu instid0(VALU_DEP_4) | instskip(SKIP_3) | instid1(VALU_DEP_4)
	v_dual_ashrrev_i32 v172, 31, v172 :: v_dual_bitop2_b32 v165, s18, v165 bitop3:0x14
	v_cmp_gt_i32_e64 s22, 0, v175
	v_ashrrev_i32_e32 v174, 31, v174
	v_xor_b32_e32 v170, s20, v170
	v_bitop3_b32 v65, v65, v165, v164 bitop3:0x80
	v_mad_u32_u24 v164, v167, 36, v25
	v_mul_u32_u24_e32 v167, 36, v167
	v_xor_b32_e32 v169, s19, v169
	v_xor_b32_e32 v165, s21, v172
	;; [unrolled: 1-line block ×3, first 2 shown]
	ds_load_b32 v164, v164 offset:544
	v_add_nc_u32_e32 v167, v25, v167
	v_bitop3_b32 v65, v65, v170, v169 bitop3:0x80
	; wave barrier
	s_delay_alu instid0(VALU_DEP_1) | instskip(NEXT) | instid1(VALU_DEP_1)
	v_bitop3_b32 v65, v65, v172, v165 bitop3:0x80
	v_mbcnt_lo_u32_b32 v165, v65, 0
	v_cmp_ne_u32_e64 s17, 0, v65
	s_delay_alu instid0(VALU_DEP_2) | instskip(SKIP_1) | instid1(SALU_CYCLE_1)
	v_cmp_eq_u32_e32 vcc_lo, 0, v165
	s_and_b32 s18, s17, vcc_lo
	s_and_saveexec_b32 s17, s18
	s_cbranch_execz .LBB1450_158
; %bb.157:                              ;   in Loop: Header=BB1450_108 Depth=2
	s_wait_dscnt 0x0
	v_bcnt_u32_b32 v65, v65, v164
	ds_store_b32 v167, v65 offset:544
.LBB1450_158:                           ;   in Loop: Header=BB1450_108 Depth=2
	s_or_b32 exec_lo, exec_lo, s17
	v_cmp_lt_i32_e32 vcc_lo, -1, v163
	; wave barrier
	v_cndmask_b32_e64 v65, -1, 0x80000000, vcc_lo
	s_delay_alu instid0(VALU_DEP_1) | instskip(NEXT) | instid1(VALU_DEP_1)
	v_xor_b32_e32 v163, v65, v163
	v_cmp_ne_u32_e32 vcc_lo, 0x7fffffff, v163
	v_cndmask_b32_e32 v65, 0x80000000, v163, vcc_lo
	s_delay_alu instid0(VALU_DEP_1) | instskip(NEXT) | instid1(VALU_DEP_1)
	v_lshrrev_b32_e32 v65, s48, v65
	v_bitop3_b32 v169, v65, 1, s58 bitop3:0x80
	v_and_b32_e32 v172, s58, v65
	s_delay_alu instid0(VALU_DEP_2) | instskip(NEXT) | instid1(VALU_DEP_1)
	v_add_co_u32 v65, s17, v169, -1
	v_cndmask_b32_e64 v169, 0, 1, s17
	s_delay_alu instid0(VALU_DEP_3) | instskip(NEXT) | instid1(VALU_DEP_2)
	v_dual_lshlrev_b32 v170, 30, v172 :: v_dual_lshlrev_b32 v174, 29, v172
	v_cmp_ne_u32_e32 vcc_lo, 0, v169
	s_delay_alu instid0(VALU_DEP_2) | instskip(SKIP_1) | instid1(VALU_DEP_4)
	v_cmp_gt_i32_e64 s17, 0, v170
	v_not_b32_e32 v169, v170
	v_not_b32_e32 v170, v174
	v_bitop3_b32 v65, vcc_lo, exec_lo, v65 bitop3:0x48
	s_delay_alu instid0(VALU_DEP_2) | instskip(SKIP_3) | instid1(VALU_DEP_3)
	v_dual_ashrrev_i32 v169, 31, v169 :: v_dual_ashrrev_i32 v170, 31, v170
	v_dual_lshlrev_b32 v175, 28, v172 :: v_dual_lshlrev_b32 v176, 27, v172
	v_dual_lshlrev_b32 v177, 26, v172 :: v_dual_lshlrev_b32 v178, 25, v172
	v_cmp_gt_i32_e64 s18, 0, v174
	v_cmp_gt_i32_e64 s19, 0, v175
	v_not_b32_e32 v174, v175
	v_not_b32_e32 v175, v176
	v_cmp_gt_i32_e64 s20, 0, v176
	v_cmp_gt_i32_e64 s21, 0, v177
	v_not_b32_e32 v176, v177
	v_not_b32_e32 v177, v178
	v_dual_ashrrev_i32 v174, 31, v174 :: v_dual_ashrrev_i32 v175, 31, v175
	s_delay_alu instid0(VALU_DEP_3) | instskip(NEXT) | instid1(VALU_DEP_3)
	v_dual_ashrrev_i32 v176, 31, v176 :: v_dual_bitop2_b32 v169, s17, v169 bitop3:0x14
	v_dual_ashrrev_i32 v177, 31, v177 :: v_dual_bitop2_b32 v170, s18, v170 bitop3:0x14
	v_cmp_gt_i32_e64 s22, 0, v178
	s_delay_alu instid0(VALU_DEP_4) | instskip(NEXT) | instid1(VALU_DEP_3)
	v_xor_b32_e32 v175, s20, v175
	v_bitop3_b32 v65, v65, v170, v169 bitop3:0x80
	v_mad_u32_u24 v169, v172, 36, v25
	v_mul_u32_u24_e32 v172, 36, v172
	v_xor_b32_e32 v174, s19, v174
	v_xor_b32_e32 v170, s21, v176
	;; [unrolled: 1-line block ×3, first 2 shown]
	ds_load_b32 v169, v169 offset:544
	v_add_nc_u32_e32 v172, v25, v172
	v_bitop3_b32 v65, v65, v175, v174 bitop3:0x80
	; wave barrier
	s_delay_alu instid0(VALU_DEP_1) | instskip(NEXT) | instid1(VALU_DEP_1)
	v_bitop3_b32 v65, v65, v176, v170 bitop3:0x80
	v_mbcnt_lo_u32_b32 v170, v65, 0
	v_cmp_ne_u32_e64 s17, 0, v65
	s_delay_alu instid0(VALU_DEP_2) | instskip(SKIP_1) | instid1(SALU_CYCLE_1)
	v_cmp_eq_u32_e32 vcc_lo, 0, v170
	s_and_b32 s18, s17, vcc_lo
	s_and_saveexec_b32 s17, s18
	s_cbranch_execz .LBB1450_160
; %bb.159:                              ;   in Loop: Header=BB1450_108 Depth=2
	s_wait_dscnt 0x0
	v_bcnt_u32_b32 v65, v65, v169
	ds_store_b32 v172, v65 offset:544
.LBB1450_160:                           ;   in Loop: Header=BB1450_108 Depth=2
	s_or_b32 exec_lo, exec_lo, s17
	v_cmp_lt_i32_e32 vcc_lo, -1, v168
	; wave barrier
	v_cndmask_b32_e64 v65, -1, 0x80000000, vcc_lo
	s_delay_alu instid0(VALU_DEP_1) | instskip(NEXT) | instid1(VALU_DEP_1)
	v_xor_b32_e32 v168, v65, v168
	v_cmp_ne_u32_e32 vcc_lo, 0x7fffffff, v168
	v_cndmask_b32_e32 v65, 0x80000000, v168, vcc_lo
	s_delay_alu instid0(VALU_DEP_1) | instskip(NEXT) | instid1(VALU_DEP_1)
	v_lshrrev_b32_e32 v65, s48, v65
	v_bitop3_b32 v174, v65, 1, s58 bitop3:0x80
	v_and_b32_e32 v176, s58, v65
	s_delay_alu instid0(VALU_DEP_2) | instskip(NEXT) | instid1(VALU_DEP_1)
	v_add_co_u32 v65, s17, v174, -1
	v_cndmask_b32_e64 v174, 0, 1, s17
	s_delay_alu instid0(VALU_DEP_3) | instskip(NEXT) | instid1(VALU_DEP_2)
	v_dual_lshlrev_b32 v175, 30, v176 :: v_dual_lshlrev_b32 v177, 29, v176
	v_cmp_ne_u32_e32 vcc_lo, 0, v174
	s_delay_alu instid0(VALU_DEP_2) | instskip(SKIP_1) | instid1(VALU_DEP_4)
	v_cmp_gt_i32_e64 s17, 0, v175
	v_not_b32_e32 v174, v175
	v_not_b32_e32 v175, v177
	v_cmp_gt_i32_e64 s18, 0, v177
	v_bitop3_b32 v65, vcc_lo, exec_lo, v65 bitop3:0x48
	s_delay_alu instid0(VALU_DEP_3) | instskip(SKIP_2) | instid1(VALU_DEP_2)
	v_dual_ashrrev_i32 v174, 31, v174 :: v_dual_ashrrev_i32 v175, 31, v175
	v_dual_lshlrev_b32 v178, 28, v176 :: v_dual_lshlrev_b32 v179, 27, v176
	v_dual_lshlrev_b32 v180, 26, v176 :: v_dual_lshlrev_b32 v181, 25, v176
	v_cmp_gt_i32_e64 s19, 0, v178
	v_not_b32_e32 v177, v178
	s_delay_alu instid0(VALU_DEP_4)
	v_not_b32_e32 v178, v179
	v_cmp_gt_i32_e64 s20, 0, v179
	v_cmp_gt_i32_e64 s21, 0, v180
	v_not_b32_e32 v179, v180
	v_not_b32_e32 v180, v181
	v_dual_ashrrev_i32 v177, 31, v177 :: v_dual_ashrrev_i32 v178, 31, v178
	s_delay_alu instid0(VALU_DEP_3) | instskip(NEXT) | instid1(VALU_DEP_3)
	v_dual_ashrrev_i32 v179, 31, v179 :: v_dual_bitop2_b32 v174, s17, v174 bitop3:0x14
	v_dual_ashrrev_i32 v180, 31, v180 :: v_dual_bitop2_b32 v175, s18, v175 bitop3:0x14
	v_cmp_gt_i32_e64 s22, 0, v181
	s_delay_alu instid0(VALU_DEP_4) | instskip(NEXT) | instid1(VALU_DEP_3)
	v_xor_b32_e32 v178, s20, v178
	v_bitop3_b32 v65, v65, v175, v174 bitop3:0x80
	v_mad_u32_u24 v174, v176, 36, v25
	v_mul_u32_u24_e32 v176, 36, v176
	v_xor_b32_e32 v177, s19, v177
	v_xor_b32_e32 v175, s21, v179
	;; [unrolled: 1-line block ×3, first 2 shown]
	ds_load_b32 v174, v174 offset:544
	v_add_nc_u32_e32 v176, v25, v176
	v_bitop3_b32 v65, v65, v178, v177 bitop3:0x80
	; wave barrier
	s_delay_alu instid0(VALU_DEP_1) | instskip(NEXT) | instid1(VALU_DEP_1)
	v_bitop3_b32 v65, v65, v179, v175 bitop3:0x80
	v_mbcnt_lo_u32_b32 v175, v65, 0
	v_cmp_ne_u32_e64 s17, 0, v65
	s_delay_alu instid0(VALU_DEP_2) | instskip(SKIP_1) | instid1(SALU_CYCLE_1)
	v_cmp_eq_u32_e32 vcc_lo, 0, v175
	s_and_b32 s18, s17, vcc_lo
	s_and_saveexec_b32 s17, s18
	s_cbranch_execz .LBB1450_162
; %bb.161:                              ;   in Loop: Header=BB1450_108 Depth=2
	s_wait_dscnt 0x0
	v_bcnt_u32_b32 v65, v65, v174
	ds_store_b32 v176, v65 offset:544
.LBB1450_162:                           ;   in Loop: Header=BB1450_108 Depth=2
	s_or_b32 exec_lo, exec_lo, s17
	v_cmp_lt_i32_e32 vcc_lo, -1, v173
	; wave barrier
	v_cndmask_b32_e64 v65, -1, 0x80000000, vcc_lo
	s_delay_alu instid0(VALU_DEP_1) | instskip(NEXT) | instid1(VALU_DEP_1)
	v_xor_b32_e32 v173, v65, v173
	v_cmp_ne_u32_e32 vcc_lo, 0x7fffffff, v173
	v_cndmask_b32_e32 v65, 0x80000000, v173, vcc_lo
	s_delay_alu instid0(VALU_DEP_1) | instskip(NEXT) | instid1(VALU_DEP_1)
	v_lshrrev_b32_e32 v65, s48, v65
	v_and_b32_e32 v179, s58, v65
	s_delay_alu instid0(VALU_DEP_1) | instskip(SKIP_2) | instid1(VALU_DEP_3)
	v_lshlrev_b32_e32 v181, 28, v179
	v_bitop3_b32 v177, v65, 1, s58 bitop3:0x80
	v_dual_lshlrev_b32 v178, 30, v179 :: v_dual_lshlrev_b32 v180, 29, v179
	v_cmp_gt_i32_e64 s19, 0, v181
	s_delay_alu instid0(VALU_DEP_3) | instskip(NEXT) | instid1(VALU_DEP_1)
	v_add_co_u32 v65, s17, v177, -1
	v_cndmask_b32_e64 v177, 0, 1, s17
	s_delay_alu instid0(VALU_DEP_4) | instskip(SKIP_1) | instid1(VALU_DEP_3)
	v_cmp_gt_i32_e64 s17, 0, v178
	v_cmp_gt_i32_e64 s18, 0, v180
	v_cmp_ne_u32_e32 vcc_lo, 0, v177
	v_not_b32_e32 v177, v178
	v_not_b32_e32 v178, v180
	;; [unrolled: 1-line block ×3, first 2 shown]
	v_bitop3_b32 v65, vcc_lo, exec_lo, v65 bitop3:0x48
	s_delay_alu instid0(VALU_DEP_3) | instskip(SKIP_2) | instid1(VALU_DEP_2)
	v_dual_ashrrev_i32 v177, 31, v177 :: v_dual_ashrrev_i32 v178, 31, v178
	v_dual_lshlrev_b32 v182, 27, v179 :: v_dual_lshlrev_b32 v183, 26, v179
	v_lshlrev_b32_e32 v184, 25, v179
	v_not_b32_e32 v181, v182
	v_cmp_gt_i32_e64 s20, 0, v182
	s_delay_alu instid0(VALU_DEP_4) | instskip(SKIP_3) | instid1(VALU_DEP_3)
	v_cmp_gt_i32_e64 s21, 0, v183
	v_not_b32_e32 v182, v183
	v_not_b32_e32 v183, v184
	v_dual_ashrrev_i32 v180, 31, v180 :: v_dual_ashrrev_i32 v181, 31, v181
	v_dual_ashrrev_i32 v182, 31, v182 :: v_dual_bitop2_b32 v177, s17, v177 bitop3:0x14
	s_delay_alu instid0(VALU_DEP_3) | instskip(SKIP_1) | instid1(VALU_DEP_4)
	v_dual_ashrrev_i32 v183, 31, v183 :: v_dual_bitop2_b32 v178, s18, v178 bitop3:0x14
	v_cmp_gt_i32_e64 s22, 0, v184
	v_xor_b32_e32 v181, s20, v181
	s_delay_alu instid0(VALU_DEP_3)
	v_bitop3_b32 v65, v65, v178, v177 bitop3:0x80
	v_mad_u32_u24 v177, v179, 36, v25
	v_mul_u32_u24_e32 v179, 36, v179
	v_xor_b32_e32 v180, s19, v180
	v_xor_b32_e32 v178, s21, v182
	v_xor_b32_e32 v182, s22, v183
	ds_load_b32 v177, v177 offset:544
	v_add_nc_u32_e32 v179, v25, v179
	v_bitop3_b32 v65, v65, v181, v180 bitop3:0x80
	; wave barrier
	s_delay_alu instid0(VALU_DEP_1) | instskip(NEXT) | instid1(VALU_DEP_1)
	v_bitop3_b32 v65, v65, v182, v178 bitop3:0x80
	v_mbcnt_lo_u32_b32 v178, v65, 0
	v_cmp_ne_u32_e64 s17, 0, v65
	s_delay_alu instid0(VALU_DEP_2) | instskip(SKIP_1) | instid1(SALU_CYCLE_1)
	v_cmp_eq_u32_e32 vcc_lo, 0, v178
	s_and_b32 s18, s17, vcc_lo
	s_and_saveexec_b32 s17, s18
	s_cbranch_execz .LBB1450_164
; %bb.163:                              ;   in Loop: Header=BB1450_108 Depth=2
	s_wait_dscnt 0x0
	v_bcnt_u32_b32 v65, v65, v177
	ds_store_b32 v179, v65 offset:544
.LBB1450_164:                           ;   in Loop: Header=BB1450_108 Depth=2
	s_or_b32 exec_lo, exec_lo, s17
	v_cmp_lt_i32_e32 vcc_lo, -1, v171
	; wave barrier
	v_cndmask_b32_e64 v65, -1, 0x80000000, vcc_lo
	s_delay_alu instid0(VALU_DEP_1) | instskip(NEXT) | instid1(VALU_DEP_1)
	v_xor_b32_e32 v171, v65, v171
	v_cmp_ne_u32_e32 vcc_lo, 0x7fffffff, v171
	v_cndmask_b32_e32 v65, 0x80000000, v171, vcc_lo
	s_delay_alu instid0(VALU_DEP_1) | instskip(NEXT) | instid1(VALU_DEP_1)
	v_lshrrev_b32_e32 v65, s48, v65
	v_bitop3_b32 v180, v65, 1, s58 bitop3:0x80
	v_and_b32_e32 v182, s58, v65
	s_delay_alu instid0(VALU_DEP_2) | instskip(NEXT) | instid1(VALU_DEP_1)
	v_add_co_u32 v65, s17, v180, -1
	v_cndmask_b32_e64 v180, 0, 1, s17
	s_delay_alu instid0(VALU_DEP_3) | instskip(NEXT) | instid1(VALU_DEP_2)
	v_lshlrev_b32_e32 v181, 30, v182
	v_cmp_ne_u32_e32 vcc_lo, 0, v180
	s_delay_alu instid0(VALU_DEP_2) | instskip(SKIP_1) | instid1(VALU_DEP_2)
	v_not_b32_e32 v180, v181
	v_bitop3_b32 v65, vcc_lo, exec_lo, v65 bitop3:0x48
	v_dual_ashrrev_i32 v180, 31, v180 :: v_dual_lshlrev_b32 v183, 29, v182
	v_dual_lshlrev_b32 v184, 28, v182 :: v_dual_lshlrev_b32 v185, 27, v182
	v_lshlrev_b32_e32 v186, 26, v182
	v_cmp_gt_i32_e64 s17, 0, v181
	s_delay_alu instid0(VALU_DEP_4)
	v_not_b32_e32 v181, v183
	v_lshlrev_b32_e32 v187, 25, v182
	v_cmp_gt_i32_e64 s18, 0, v183
	v_cmp_gt_i32_e64 s19, 0, v184
	v_not_b32_e32 v183, v184
	v_not_b32_e32 v184, v185
	v_ashrrev_i32_e32 v181, 31, v181
	v_cmp_gt_i32_e64 s20, 0, v185
	v_cmp_gt_i32_e64 s21, 0, v186
	v_not_b32_e32 v185, v186
	v_not_b32_e32 v186, v187
	v_dual_ashrrev_i32 v183, 31, v183 :: v_dual_ashrrev_i32 v184, 31, v184
	s_delay_alu instid0(VALU_DEP_3) | instskip(NEXT) | instid1(VALU_DEP_3)
	v_dual_ashrrev_i32 v185, 31, v185 :: v_dual_bitop2_b32 v180, s17, v180 bitop3:0x14
	v_dual_ashrrev_i32 v186, 31, v186 :: v_dual_bitop2_b32 v181, s18, v181 bitop3:0x14
	v_cmp_gt_i32_e64 s22, 0, v187
	s_delay_alu instid0(VALU_DEP_4) | instskip(NEXT) | instid1(VALU_DEP_3)
	v_xor_b32_e32 v184, s20, v184
	v_bitop3_b32 v65, v65, v181, v180 bitop3:0x80
	v_mad_u32_u24 v180, v182, 36, v25
	v_mul_u32_u24_e32 v182, 36, v182
	v_xor_b32_e32 v183, s19, v183
	v_xor_b32_e32 v181, s21, v185
	;; [unrolled: 1-line block ×3, first 2 shown]
	ds_load_b32 v180, v180 offset:544
	v_add_nc_u32_e32 v182, v25, v182
	v_bitop3_b32 v65, v65, v184, v183 bitop3:0x80
	; wave barrier
	s_delay_alu instid0(VALU_DEP_1) | instskip(NEXT) | instid1(VALU_DEP_1)
	v_bitop3_b32 v65, v65, v185, v181 bitop3:0x80
	v_mbcnt_lo_u32_b32 v181, v65, 0
	v_cmp_ne_u32_e64 s17, 0, v65
	s_delay_alu instid0(VALU_DEP_2) | instskip(SKIP_1) | instid1(SALU_CYCLE_1)
	v_cmp_eq_u32_e32 vcc_lo, 0, v181
	s_and_b32 s18, s17, vcc_lo
	s_and_saveexec_b32 s17, s18
	s_cbranch_execz .LBB1450_166
; %bb.165:                              ;   in Loop: Header=BB1450_108 Depth=2
	s_wait_dscnt 0x0
	v_bcnt_u32_b32 v65, v65, v180
	ds_store_b32 v182, v65 offset:544
.LBB1450_166:                           ;   in Loop: Header=BB1450_108 Depth=2
	s_or_b32 exec_lo, exec_lo, s17
	v_cmp_lt_i32_e32 vcc_lo, -1, v166
	; wave barrier
	v_cndmask_b32_e64 v65, -1, 0x80000000, vcc_lo
	s_delay_alu instid0(VALU_DEP_1) | instskip(NEXT) | instid1(VALU_DEP_1)
	v_xor_b32_e32 v166, v65, v166
	v_cmp_ne_u32_e32 vcc_lo, 0x7fffffff, v166
	v_cndmask_b32_e32 v65, 0x80000000, v166, vcc_lo
	s_delay_alu instid0(VALU_DEP_1) | instskip(NEXT) | instid1(VALU_DEP_1)
	v_lshrrev_b32_e32 v65, s48, v65
	v_bitop3_b32 v183, v65, 1, s58 bitop3:0x80
	v_and_b32_e32 v186, s58, v65
	s_delay_alu instid0(VALU_DEP_2) | instskip(NEXT) | instid1(VALU_DEP_1)
	v_add_co_u32 v65, s17, v183, -1
	v_cndmask_b32_e64 v183, 0, 1, s17
	s_delay_alu instid0(VALU_DEP_3) | instskip(NEXT) | instid1(VALU_DEP_2)
	v_lshlrev_b32_e32 v184, 30, v186
	v_cmp_ne_u32_e32 vcc_lo, 0, v183
	s_delay_alu instid0(VALU_DEP_2) | instskip(SKIP_1) | instid1(VALU_DEP_2)
	v_not_b32_e32 v183, v184
	v_bitop3_b32 v65, vcc_lo, exec_lo, v65 bitop3:0x48
	v_dual_ashrrev_i32 v183, 31, v183 :: v_dual_lshlrev_b32 v185, 29, v186
	v_cmp_gt_i32_e64 s17, 0, v184
	v_dual_lshlrev_b32 v187, 28, v186 :: v_dual_lshlrev_b32 v188, 27, v186
	v_dual_lshlrev_b32 v189, 26, v186 :: v_dual_lshlrev_b32 v190, 25, v186
	s_delay_alu instid0(VALU_DEP_4) | instskip(SKIP_1) | instid1(VALU_DEP_4)
	v_not_b32_e32 v184, v185
	v_cmp_gt_i32_e64 s18, 0, v185
	v_cmp_gt_i32_e64 s19, 0, v187
	v_not_b32_e32 v185, v187
	v_cmp_gt_i32_e64 s20, 0, v188
	v_ashrrev_i32_e32 v184, 31, v184
	v_not_b32_e32 v187, v188
	v_cmp_gt_i32_e64 s21, 0, v189
	v_not_b32_e32 v188, v189
	v_not_b32_e32 v189, v190
	v_xor_b32_e32 v183, s17, v183
	v_dual_ashrrev_i32 v185, 31, v185 :: v_dual_bitop2_b32 v184, s18, v184 bitop3:0x14
	s_delay_alu instid0(VALU_DEP_4) | instskip(NEXT) | instid1(VALU_DEP_4)
	v_dual_ashrrev_i32 v187, 31, v187 :: v_dual_ashrrev_i32 v188, 31, v188
	v_ashrrev_i32_e32 v189, 31, v189
	s_delay_alu instid0(VALU_DEP_3)
	v_bitop3_b32 v65, v65, v184, v183 bitop3:0x80
	v_mad_u32_u24 v183, v186, 36, v25
	v_cmp_gt_i32_e64 s22, 0, v190
	v_xor_b32_e32 v187, s20, v187
	v_xor_b32_e32 v188, s21, v188
	ds_load_b32 v184, v183 offset:544
	v_mul_u32_u24_e32 v183, 36, v186
	v_xor_b32_e32 v185, s19, v185
	v_xor_b32_e32 v189, s22, v189
	; wave barrier
	s_delay_alu instid0(VALU_DEP_3) | instskip(NEXT) | instid1(VALU_DEP_3)
	v_add_nc_u32_e32 v186, v25, v183
	v_bitop3_b32 v65, v65, v187, v185 bitop3:0x80
	s_delay_alu instid0(VALU_DEP_1) | instskip(NEXT) | instid1(VALU_DEP_1)
	v_bitop3_b32 v65, v65, v189, v188 bitop3:0x80
	v_mbcnt_lo_u32_b32 v185, v65, 0
	v_cmp_ne_u32_e64 s17, 0, v65
	s_delay_alu instid0(VALU_DEP_2) | instskip(SKIP_1) | instid1(SALU_CYCLE_1)
	v_cmp_eq_u32_e32 vcc_lo, 0, v185
	s_and_b32 s18, s17, vcc_lo
	s_and_saveexec_b32 s17, s18
	s_cbranch_execz .LBB1450_168
; %bb.167:                              ;   in Loop: Header=BB1450_108 Depth=2
	s_wait_dscnt 0x0
	v_bcnt_u32_b32 v65, v65, v184
	ds_store_b32 v186, v65 offset:544
.LBB1450_168:                           ;   in Loop: Header=BB1450_108 Depth=2
	s_or_b32 exec_lo, exec_lo, s17
	v_cmp_lt_i32_e32 vcc_lo, -1, v161
	; wave barrier
	v_cndmask_b32_e64 v65, -1, 0x80000000, vcc_lo
	s_delay_alu instid0(VALU_DEP_1) | instskip(NEXT) | instid1(VALU_DEP_1)
	v_xor_b32_e32 v183, v65, v161
	v_cmp_ne_u32_e32 vcc_lo, 0x7fffffff, v183
	v_cndmask_b32_e32 v65, 0x80000000, v183, vcc_lo
	s_delay_alu instid0(VALU_DEP_1) | instskip(NEXT) | instid1(VALU_DEP_1)
	v_lshrrev_b32_e32 v65, s48, v65
	v_and_b32_e32 v187, s58, v65
	s_delay_alu instid0(VALU_DEP_1) | instskip(SKIP_3) | instid1(VALU_DEP_4)
	v_lshlrev_b32_e32 v189, 29, v187
	v_bitop3_b32 v161, v65, 1, s58 bitop3:0x80
	v_dual_lshlrev_b32 v188, 30, v187 :: v_dual_lshlrev_b32 v190, 28, v187
	v_lshlrev_b32_e32 v191, 27, v187
	v_cmp_gt_i32_e64 s18, 0, v189
	s_delay_alu instid0(VALU_DEP_4) | instskip(NEXT) | instid1(VALU_DEP_1)
	v_add_co_u32 v65, s17, v161, -1
	v_cndmask_b32_e64 v161, 0, 1, s17
	v_cmp_gt_i32_e64 s17, 0, v188
	v_cmp_gt_i32_e64 s19, 0, v190
	;; [unrolled: 1-line block ×3, first 2 shown]
	s_delay_alu instid0(VALU_DEP_4)
	v_cmp_ne_u32_e32 vcc_lo, 0, v161
	v_not_b32_e32 v161, v188
	v_not_b32_e32 v188, v189
	;; [unrolled: 1-line block ×4, first 2 shown]
	v_bitop3_b32 v65, vcc_lo, exec_lo, v65 bitop3:0x48
	s_delay_alu instid0(VALU_DEP_4) | instskip(NEXT) | instid1(VALU_DEP_3)
	v_dual_ashrrev_i32 v188, 31, v188 :: v_dual_ashrrev_i32 v161, 31, v161
	v_dual_ashrrev_i32 v190, 31, v190 :: v_dual_lshlrev_b32 v192, 26, v187
	s_delay_alu instid0(VALU_DEP_2) | instskip(NEXT) | instid1(VALU_DEP_2)
	v_dual_lshlrev_b32 v193, 25, v187 :: v_dual_bitop2_b32 v188, s18, v188 bitop3:0x14
	v_cmp_gt_i32_e64 s21, 0, v192
	v_not_b32_e32 v191, v192
	s_delay_alu instid0(VALU_DEP_3) | instskip(SKIP_3) | instid1(VALU_DEP_4)
	v_not_b32_e32 v192, v193
	v_xor_b32_e32 v161, s17, v161
	v_ashrrev_i32_e32 v189, 31, v189
	v_cmp_gt_i32_e64 s22, 0, v193
	v_dual_ashrrev_i32 v191, 31, v191 :: v_dual_ashrrev_i32 v192, 31, v192
	s_delay_alu instid0(VALU_DEP_4) | instskip(SKIP_2) | instid1(VALU_DEP_4)
	v_bitop3_b32 v65, v65, v188, v161 bitop3:0x80
	v_mad_u32_u24 v161, v187, 36, v25
	v_xor_b32_e32 v189, s19, v189
	v_xor_b32_e32 v191, s21, v191
	;; [unrolled: 1-line block ×3, first 2 shown]
	ds_load_b32 v188, v161 offset:544
	v_mul_u32_u24_e32 v161, 36, v187
	v_xor_b32_e32 v190, s20, v190
	; wave barrier
	s_delay_alu instid0(VALU_DEP_2) | instskip(NEXT) | instid1(VALU_DEP_2)
	v_add_nc_u32_e32 v161, v25, v161
	v_bitop3_b32 v65, v65, v190, v189 bitop3:0x80
	s_delay_alu instid0(VALU_DEP_1) | instskip(NEXT) | instid1(VALU_DEP_1)
	v_bitop3_b32 v65, v65, v192, v191 bitop3:0x80
	v_mbcnt_lo_u32_b32 v189, v65, 0
	v_cmp_ne_u32_e64 s17, 0, v65
	s_delay_alu instid0(VALU_DEP_2) | instskip(SKIP_1) | instid1(SALU_CYCLE_1)
	v_cmp_eq_u32_e32 vcc_lo, 0, v189
	s_and_b32 s18, s17, vcc_lo
	s_and_saveexec_b32 s17, s18
	s_cbranch_execz .LBB1450_170
; %bb.169:                              ;   in Loop: Header=BB1450_108 Depth=2
	s_wait_dscnt 0x0
	v_bcnt_u32_b32 v65, v65, v188
	ds_store_b32 v161, v65 offset:544
.LBB1450_170:                           ;   in Loop: Header=BB1450_108 Depth=2
	s_or_b32 exec_lo, exec_lo, s17
	v_cmp_lt_i32_e32 vcc_lo, -1, v157
	; wave barrier
	v_cndmask_b32_e64 v65, -1, 0x80000000, vcc_lo
	s_delay_alu instid0(VALU_DEP_1) | instskip(NEXT) | instid1(VALU_DEP_1)
	v_xor_b32_e32 v187, v65, v157
	v_cmp_ne_u32_e32 vcc_lo, 0x7fffffff, v187
	v_cndmask_b32_e32 v65, 0x80000000, v187, vcc_lo
	s_delay_alu instid0(VALU_DEP_1) | instskip(NEXT) | instid1(VALU_DEP_1)
	v_lshrrev_b32_e32 v65, s48, v65
	v_and_b32_e32 v190, s58, v65
	s_delay_alu instid0(VALU_DEP_1) | instskip(SKIP_2) | instid1(VALU_DEP_3)
	v_lshlrev_b32_e32 v193, 28, v190
	v_bitop3_b32 v157, v65, 1, s58 bitop3:0x80
	v_dual_lshlrev_b32 v191, 30, v190 :: v_dual_lshlrev_b32 v192, 29, v190
	v_cmp_gt_i32_e64 s19, 0, v193
	s_delay_alu instid0(VALU_DEP_3) | instskip(NEXT) | instid1(VALU_DEP_1)
	v_add_co_u32 v65, s17, v157, -1
	v_cndmask_b32_e64 v157, 0, 1, s17
	s_delay_alu instid0(VALU_DEP_4) | instskip(SKIP_1) | instid1(VALU_DEP_3)
	v_cmp_gt_i32_e64 s17, 0, v191
	v_cmp_gt_i32_e64 s18, 0, v192
	v_cmp_ne_u32_e32 vcc_lo, 0, v157
	v_not_b32_e32 v157, v191
	v_not_b32_e32 v191, v192
	;; [unrolled: 1-line block ×3, first 2 shown]
	v_bitop3_b32 v65, vcc_lo, exec_lo, v65 bitop3:0x48
	s_delay_alu instid0(VALU_DEP_3) | instskip(SKIP_1) | instid1(VALU_DEP_2)
	v_dual_ashrrev_i32 v157, 31, v157 :: v_dual_ashrrev_i32 v191, 31, v191
	v_dual_lshlrev_b32 v194, 27, v190 :: v_dual_lshlrev_b32 v195, 26, v190
	v_dual_lshlrev_b32 v196, 25, v190 :: v_dual_bitop2_b32 v191, s18, v191 bitop3:0x14
	s_delay_alu instid0(VALU_DEP_2) | instskip(SKIP_1) | instid1(VALU_DEP_4)
	v_not_b32_e32 v193, v194
	v_cmp_gt_i32_e64 s20, 0, v194
	v_cmp_gt_i32_e64 s21, 0, v195
	v_not_b32_e32 v194, v195
	v_not_b32_e32 v195, v196
	v_dual_ashrrev_i32 v192, 31, v192 :: v_dual_ashrrev_i32 v193, 31, v193
	s_delay_alu instid0(VALU_DEP_3) | instskip(SKIP_1) | instid1(VALU_DEP_3)
	v_dual_ashrrev_i32 v194, 31, v194 :: v_dual_bitop2_b32 v157, s17, v157 bitop3:0x14
	v_cmp_gt_i32_e64 s22, 0, v196
	v_dual_ashrrev_i32 v195, 31, v195 :: v_dual_bitop2_b32 v192, s19, v192 bitop3:0x14
	s_delay_alu instid0(VALU_DEP_4) | instskip(NEXT) | instid1(VALU_DEP_4)
	v_xor_b32_e32 v193, s20, v193
	v_bitop3_b32 v65, v65, v191, v157 bitop3:0x80
	v_mad_u32_u24 v157, v190, 36, v25
	v_xor_b32_e32 v194, s21, v194
	v_xor_b32_e32 v195, s22, v195
	s_delay_alu instid0(VALU_DEP_4) | instskip(SKIP_3) | instid1(VALU_DEP_2)
	v_bitop3_b32 v65, v65, v193, v192 bitop3:0x80
	ds_load_b32 v191, v157 offset:544
	v_mul_u32_u24_e32 v157, 36, v190
	; wave barrier
	v_bitop3_b32 v65, v65, v195, v194 bitop3:0x80
	v_add_nc_u32_e32 v157, v25, v157
	s_delay_alu instid0(VALU_DEP_2) | instskip(SKIP_1) | instid1(VALU_DEP_2)
	v_mbcnt_lo_u32_b32 v192, v65, 0
	v_cmp_ne_u32_e64 s17, 0, v65
	v_cmp_eq_u32_e32 vcc_lo, 0, v192
	s_and_b32 s18, s17, vcc_lo
	s_delay_alu instid0(SALU_CYCLE_1)
	s_and_saveexec_b32 s17, s18
	s_cbranch_execz .LBB1450_172
; %bb.171:                              ;   in Loop: Header=BB1450_108 Depth=2
	s_wait_dscnt 0x0
	v_bcnt_u32_b32 v65, v65, v191
	ds_store_b32 v157, v65 offset:544
.LBB1450_172:                           ;   in Loop: Header=BB1450_108 Depth=2
	s_or_b32 exec_lo, exec_lo, s17
	v_cmp_lt_i32_e32 vcc_lo, -1, v152
	; wave barrier
	v_cndmask_b32_e64 v65, -1, 0x80000000, vcc_lo
	s_delay_alu instid0(VALU_DEP_1) | instskip(NEXT) | instid1(VALU_DEP_1)
	v_xor_b32_e32 v190, v65, v152
	v_cmp_ne_u32_e32 vcc_lo, 0x7fffffff, v190
	v_cndmask_b32_e32 v65, 0x80000000, v190, vcc_lo
	s_delay_alu instid0(VALU_DEP_1) | instskip(NEXT) | instid1(VALU_DEP_1)
	v_lshrrev_b32_e32 v65, s48, v65
	v_bitop3_b32 v152, v65, 1, s58 bitop3:0x80
	v_and_b32_e32 v193, s58, v65
	s_delay_alu instid0(VALU_DEP_2) | instskip(NEXT) | instid1(VALU_DEP_1)
	v_add_co_u32 v65, s17, v152, -1
	v_cndmask_b32_e64 v152, 0, 1, s17
	s_delay_alu instid0(VALU_DEP_3) | instskip(NEXT) | instid1(VALU_DEP_2)
	v_lshlrev_b32_e32 v194, 30, v193
	v_cmp_ne_u32_e32 vcc_lo, 0, v152
	s_delay_alu instid0(VALU_DEP_2) | instskip(SKIP_2) | instid1(VALU_DEP_3)
	v_not_b32_e32 v152, v194
	v_cmp_gt_i32_e64 s17, 0, v194
	v_bitop3_b32 v65, vcc_lo, exec_lo, v65 bitop3:0x48
	v_dual_ashrrev_i32 v152, 31, v152 :: v_dual_lshlrev_b32 v195, 29, v193
	v_dual_lshlrev_b32 v196, 28, v193 :: v_dual_lshlrev_b32 v197, 27, v193
	v_lshlrev_b32_e32 v198, 26, v193
	s_delay_alu instid0(VALU_DEP_3)
	v_not_b32_e32 v194, v195
	v_lshlrev_b32_e32 v199, 25, v193
	v_cmp_gt_i32_e64 s18, 0, v195
	v_cmp_gt_i32_e64 s19, 0, v196
	v_not_b32_e32 v195, v196
	v_not_b32_e32 v196, v197
	v_ashrrev_i32_e32 v194, 31, v194
	v_cmp_gt_i32_e64 s20, 0, v197
	v_cmp_gt_i32_e64 s21, 0, v198
	v_not_b32_e32 v197, v198
	v_not_b32_e32 v198, v199
	v_dual_ashrrev_i32 v195, 31, v195 :: v_dual_ashrrev_i32 v196, 31, v196
	s_delay_alu instid0(VALU_DEP_3) | instskip(SKIP_2) | instid1(VALU_DEP_4)
	v_dual_ashrrev_i32 v197, 31, v197 :: v_dual_bitop2_b32 v152, s17, v152 bitop3:0x14
	v_xor_b32_e32 v194, s18, v194
	v_cmp_gt_i32_e64 s22, 0, v199
	v_dual_ashrrev_i32 v198, 31, v198 :: v_dual_bitop2_b32 v195, s19, v195 bitop3:0x14
	v_xor_b32_e32 v196, s20, v196
	s_delay_alu instid0(VALU_DEP_4) | instskip(SKIP_3) | instid1(VALU_DEP_4)
	v_bitop3_b32 v65, v65, v194, v152 bitop3:0x80
	v_mad_u32_u24 v152, v193, 36, v25
	v_xor_b32_e32 v197, s21, v197
	v_xor_b32_e32 v198, s22, v198
	v_bitop3_b32 v65, v65, v196, v195 bitop3:0x80
	ds_load_b32 v194, v152 offset:544
	v_mul_u32_u24_e32 v152, 36, v193
	; wave barrier
	v_bitop3_b32 v65, v65, v198, v197 bitop3:0x80
	s_delay_alu instid0(VALU_DEP_2) | instskip(NEXT) | instid1(VALU_DEP_2)
	v_add_nc_u32_e32 v152, v25, v152
	v_mbcnt_lo_u32_b32 v195, v65, 0
	v_cmp_ne_u32_e64 s17, 0, v65
	s_delay_alu instid0(VALU_DEP_2) | instskip(SKIP_1) | instid1(SALU_CYCLE_1)
	v_cmp_eq_u32_e32 vcc_lo, 0, v195
	s_and_b32 s18, s17, vcc_lo
	s_and_saveexec_b32 s17, s18
	s_cbranch_execz .LBB1450_174
; %bb.173:                              ;   in Loop: Header=BB1450_108 Depth=2
	s_wait_dscnt 0x0
	v_bcnt_u32_b32 v65, v65, v194
	ds_store_b32 v152, v65 offset:544
.LBB1450_174:                           ;   in Loop: Header=BB1450_108 Depth=2
	s_or_b32 exec_lo, exec_lo, s17
	v_cmp_lt_i32_e32 vcc_lo, -1, v67
	; wave barrier
	v_cndmask_b32_e64 v65, -1, 0x80000000, vcc_lo
	s_delay_alu instid0(VALU_DEP_1) | instskip(NEXT) | instid1(VALU_DEP_1)
	v_xor_b32_e32 v193, v65, v67
	v_cmp_ne_u32_e32 vcc_lo, 0x7fffffff, v193
	v_cndmask_b32_e32 v65, 0x80000000, v193, vcc_lo
	s_delay_alu instid0(VALU_DEP_1) | instskip(NEXT) | instid1(VALU_DEP_1)
	v_lshrrev_b32_e32 v65, s48, v65
	v_bitop3_b32 v67, v65, 1, s58 bitop3:0x80
	v_and_b32_e32 v196, s58, v65
	s_delay_alu instid0(VALU_DEP_2) | instskip(NEXT) | instid1(VALU_DEP_1)
	v_add_co_u32 v65, s17, v67, -1
	v_cndmask_b32_e64 v67, 0, 1, s17
	s_delay_alu instid0(VALU_DEP_3) | instskip(NEXT) | instid1(VALU_DEP_2)
	v_lshlrev_b32_e32 v197, 30, v196
	v_cmp_ne_u32_e32 vcc_lo, 0, v67
	s_delay_alu instid0(VALU_DEP_2) | instskip(SKIP_1) | instid1(VALU_DEP_2)
	v_not_b32_e32 v67, v197
	v_bitop3_b32 v65, vcc_lo, exec_lo, v65 bitop3:0x48
	v_dual_ashrrev_i32 v67, 31, v67 :: v_dual_lshlrev_b32 v198, 29, v196
	v_dual_lshlrev_b32 v199, 28, v196 :: v_dual_lshlrev_b32 v200, 27, v196
	v_lshlrev_b32_e32 v201, 26, v196
	v_cmp_gt_i32_e64 s17, 0, v197
	s_delay_alu instid0(VALU_DEP_4)
	v_not_b32_e32 v197, v198
	v_lshlrev_b32_e32 v202, 25, v196
	v_cmp_gt_i32_e64 s18, 0, v198
	v_cmp_gt_i32_e64 s19, 0, v199
	v_not_b32_e32 v198, v199
	v_not_b32_e32 v199, v200
	v_ashrrev_i32_e32 v197, 31, v197
	v_cmp_gt_i32_e64 s20, 0, v200
	v_cmp_gt_i32_e64 s21, 0, v201
	v_not_b32_e32 v200, v201
	v_not_b32_e32 v201, v202
	v_dual_ashrrev_i32 v198, 31, v198 :: v_dual_ashrrev_i32 v199, 31, v199
	s_delay_alu instid0(VALU_DEP_3) | instskip(SKIP_2) | instid1(VALU_DEP_4)
	v_dual_ashrrev_i32 v200, 31, v200 :: v_dual_bitop2_b32 v67, s17, v67 bitop3:0x14
	v_xor_b32_e32 v197, s18, v197
	v_cmp_gt_i32_e64 s22, 0, v202
	v_dual_ashrrev_i32 v201, 31, v201 :: v_dual_bitop2_b32 v198, s19, v198 bitop3:0x14
	v_xor_b32_e32 v199, s20, v199
	s_delay_alu instid0(VALU_DEP_4) | instskip(SKIP_3) | instid1(VALU_DEP_4)
	v_bitop3_b32 v65, v65, v197, v67 bitop3:0x80
	v_mad_u32_u24 v67, v196, 36, v25
	v_xor_b32_e32 v200, s21, v200
	v_xor_b32_e32 v201, s22, v201
	v_bitop3_b32 v65, v65, v199, v198 bitop3:0x80
	ds_load_b32 v197, v67 offset:544
	v_mul_u32_u24_e32 v67, 36, v196
	; wave barrier
	v_bitop3_b32 v65, v65, v201, v200 bitop3:0x80
	s_delay_alu instid0(VALU_DEP_2) | instskip(NEXT) | instid1(VALU_DEP_2)
	v_add_nc_u32_e32 v199, v25, v67
	v_mbcnt_lo_u32_b32 v198, v65, 0
	v_cmp_ne_u32_e64 s17, 0, v65
	s_delay_alu instid0(VALU_DEP_2) | instskip(SKIP_1) | instid1(SALU_CYCLE_1)
	v_cmp_eq_u32_e32 vcc_lo, 0, v198
	s_and_b32 s18, s17, vcc_lo
	s_and_saveexec_b32 s17, s18
	s_cbranch_execz .LBB1450_176
; %bb.175:                              ;   in Loop: Header=BB1450_108 Depth=2
	s_wait_dscnt 0x0
	v_bcnt_u32_b32 v65, v65, v197
	ds_store_b32 v199, v65 offset:544
.LBB1450_176:                           ;   in Loop: Header=BB1450_108 Depth=2
	s_or_b32 exec_lo, exec_lo, s17
	v_cmp_lt_i32_e32 vcc_lo, -1, v66
	; wave barrier
	v_cndmask_b32_e64 v65, -1, 0x80000000, vcc_lo
	s_delay_alu instid0(VALU_DEP_1) | instskip(NEXT) | instid1(VALU_DEP_1)
	v_xor_b32_e32 v196, v65, v66
	v_cmp_ne_u32_e32 vcc_lo, 0x7fffffff, v196
	v_cndmask_b32_e32 v65, 0x80000000, v196, vcc_lo
	s_delay_alu instid0(VALU_DEP_1) | instskip(NEXT) | instid1(VALU_DEP_1)
	v_lshrrev_b32_e32 v65, s48, v65
	v_bitop3_b32 v66, v65, 1, s58 bitop3:0x80
	v_and_b32_e32 v67, s58, v65
	s_delay_alu instid0(VALU_DEP_2) | instskip(NEXT) | instid1(VALU_DEP_1)
	v_add_co_u32 v65, s17, v66, -1
	v_cndmask_b32_e64 v66, 0, 1, s17
	s_delay_alu instid0(VALU_DEP_3) | instskip(NEXT) | instid1(VALU_DEP_2)
	v_lshlrev_b32_e32 v200, 30, v67
	v_cmp_ne_u32_e32 vcc_lo, 0, v66
	s_delay_alu instid0(VALU_DEP_2) | instskip(SKIP_2) | instid1(VALU_DEP_3)
	v_not_b32_e32 v66, v200
	v_cmp_gt_i32_e64 s17, 0, v200
	v_bitop3_b32 v65, vcc_lo, exec_lo, v65 bitop3:0x48
	v_dual_ashrrev_i32 v66, 31, v66 :: v_dual_lshlrev_b32 v201, 29, v67
	v_dual_lshlrev_b32 v202, 28, v67 :: v_dual_lshlrev_b32 v203, 27, v67
	v_lshlrev_b32_e32 v204, 26, v67
	s_delay_alu instid0(VALU_DEP_3)
	v_not_b32_e32 v200, v201
	v_lshlrev_b32_e32 v205, 25, v67
	v_cmp_gt_i32_e64 s18, 0, v201
	v_cmp_gt_i32_e64 s19, 0, v202
	v_not_b32_e32 v201, v202
	v_not_b32_e32 v202, v203
	v_ashrrev_i32_e32 v200, 31, v200
	v_cmp_gt_i32_e64 s20, 0, v203
	v_cmp_gt_i32_e64 s21, 0, v204
	v_not_b32_e32 v203, v204
	v_not_b32_e32 v204, v205
	v_dual_ashrrev_i32 v201, 31, v201 :: v_dual_ashrrev_i32 v202, 31, v202
	s_delay_alu instid0(VALU_DEP_3) | instskip(SKIP_2) | instid1(VALU_DEP_4)
	v_dual_ashrrev_i32 v203, 31, v203 :: v_dual_bitop2_b32 v66, s17, v66 bitop3:0x14
	v_xor_b32_e32 v200, s18, v200
	v_cmp_gt_i32_e64 s22, 0, v205
	v_dual_ashrrev_i32 v204, 31, v204 :: v_dual_bitop2_b32 v201, s19, v201 bitop3:0x14
	v_xor_b32_e32 v202, s20, v202
	s_delay_alu instid0(VALU_DEP_4) | instskip(SKIP_3) | instid1(VALU_DEP_4)
	v_bitop3_b32 v65, v65, v200, v66 bitop3:0x80
	v_mad_u32_u24 v66, v67, 36, v25
	v_xor_b32_e32 v200, s21, v203
	v_xor_b32_e32 v203, s22, v204
	v_bitop3_b32 v65, v65, v202, v201 bitop3:0x80
	ds_load_b32 v201, v66 offset:544
	v_mul_u32_u24_e32 v66, 36, v67
	; wave barrier
	v_bitop3_b32 v65, v65, v203, v200 bitop3:0x80
	s_delay_alu instid0(VALU_DEP_2) | instskip(NEXT) | instid1(VALU_DEP_2)
	v_add_nc_u32_e32 v203, v25, v66
	v_mbcnt_lo_u32_b32 v202, v65, 0
	v_cmp_ne_u32_e64 s17, 0, v65
	s_delay_alu instid0(VALU_DEP_2) | instskip(SKIP_1) | instid1(SALU_CYCLE_1)
	v_cmp_eq_u32_e32 vcc_lo, 0, v202
	s_and_b32 s18, s17, vcc_lo
	s_and_saveexec_b32 s17, s18
	s_cbranch_execz .LBB1450_178
; %bb.177:                              ;   in Loop: Header=BB1450_108 Depth=2
	s_wait_dscnt 0x0
	v_bcnt_u32_b32 v65, v65, v201
	ds_store_b32 v203, v65 offset:544
.LBB1450_178:                           ;   in Loop: Header=BB1450_108 Depth=2
	s_or_b32 exec_lo, exec_lo, s17
	v_cmp_lt_i32_e32 vcc_lo, -1, v64
	; wave barrier
	v_cndmask_b32_e64 v65, -1, 0x80000000, vcc_lo
	s_delay_alu instid0(VALU_DEP_1) | instskip(NEXT) | instid1(VALU_DEP_1)
	v_xor_b32_e32 v200, v65, v64
	v_cmp_ne_u32_e32 vcc_lo, 0x7fffffff, v200
	v_cndmask_b32_e32 v64, 0x80000000, v200, vcc_lo
	s_delay_alu instid0(VALU_DEP_1) | instskip(NEXT) | instid1(VALU_DEP_1)
	v_lshrrev_b32_e32 v64, s48, v64
	v_bitop3_b32 v65, v64, 1, s58 bitop3:0x80
	v_and_b32_e32 v66, s58, v64
	s_delay_alu instid0(VALU_DEP_2) | instskip(NEXT) | instid1(VALU_DEP_1)
	v_add_co_u32 v64, s17, v65, -1
	v_cndmask_b32_e64 v65, 0, 1, s17
	s_delay_alu instid0(VALU_DEP_3) | instskip(NEXT) | instid1(VALU_DEP_2)
	v_lshlrev_b32_e32 v67, 30, v66
	v_cmp_ne_u32_e32 vcc_lo, 0, v65
	s_delay_alu instid0(VALU_DEP_2) | instskip(SKIP_2) | instid1(VALU_DEP_3)
	v_not_b32_e32 v65, v67
	v_cmp_gt_i32_e64 s17, 0, v67
	v_bitop3_b32 v64, vcc_lo, exec_lo, v64 bitop3:0x48
	v_dual_ashrrev_i32 v65, 31, v65 :: v_dual_lshlrev_b32 v204, 29, v66
	v_dual_lshlrev_b32 v205, 28, v66 :: v_dual_lshlrev_b32 v206, 27, v66
	v_lshlrev_b32_e32 v207, 26, v66
	s_delay_alu instid0(VALU_DEP_3)
	v_not_b32_e32 v67, v204
	v_lshlrev_b32_e32 v208, 25, v66
	v_cmp_gt_i32_e64 s18, 0, v204
	v_cmp_gt_i32_e64 s19, 0, v205
	v_not_b32_e32 v204, v205
	v_not_b32_e32 v205, v206
	v_ashrrev_i32_e32 v67, 31, v67
	v_cmp_gt_i32_e64 s20, 0, v206
	v_cmp_gt_i32_e64 s21, 0, v207
	v_not_b32_e32 v206, v207
	v_not_b32_e32 v207, v208
	v_dual_ashrrev_i32 v204, 31, v204 :: v_dual_ashrrev_i32 v205, 31, v205
	s_delay_alu instid0(VALU_DEP_3) | instskip(SKIP_2) | instid1(VALU_DEP_4)
	v_dual_ashrrev_i32 v206, 31, v206 :: v_dual_bitop2_b32 v65, s17, v65 bitop3:0x14
	v_xor_b32_e32 v67, s18, v67
	v_cmp_gt_i32_e64 s22, 0, v208
	v_dual_ashrrev_i32 v207, 31, v207 :: v_dual_bitop2_b32 v204, s19, v204 bitop3:0x14
	v_xor_b32_e32 v205, s20, v205
	s_delay_alu instid0(VALU_DEP_4) | instskip(SKIP_3) | instid1(VALU_DEP_4)
	v_bitop3_b32 v64, v64, v67, v65 bitop3:0x80
	v_mad_u32_u24 v65, v66, 36, v25
	v_xor_b32_e32 v67, s21, v206
	v_xor_b32_e32 v206, s22, v207
	v_bitop3_b32 v64, v64, v205, v204 bitop3:0x80
	ds_load_b32 v204, v65 offset:544
	v_mul_u32_u24_e32 v65, 36, v66
	; wave barrier
	v_bitop3_b32 v64, v64, v206, v67 bitop3:0x80
	s_delay_alu instid0(VALU_DEP_2) | instskip(NEXT) | instid1(VALU_DEP_2)
	v_add_nc_u32_e32 v206, v25, v65
	v_mbcnt_lo_u32_b32 v205, v64, 0
	v_cmp_ne_u32_e64 s17, 0, v64
	s_delay_alu instid0(VALU_DEP_2) | instskip(SKIP_1) | instid1(SALU_CYCLE_1)
	v_cmp_eq_u32_e32 vcc_lo, 0, v205
	s_and_b32 s18, s17, vcc_lo
	s_and_saveexec_b32 s17, s18
	s_cbranch_execz .LBB1450_180
; %bb.179:                              ;   in Loop: Header=BB1450_108 Depth=2
	s_wait_dscnt 0x0
	v_bcnt_u32_b32 v64, v64, v204
	ds_store_b32 v206, v64 offset:544
.LBB1450_180:                           ;   in Loop: Header=BB1450_108 Depth=2
	s_or_b32 exec_lo, exec_lo, s17
	; wave barrier
	s_wait_dscnt 0x0
	s_barrier_signal -1
	s_barrier_wait -1
	ds_load_2addr_b32 v[66:67], v90 offset0:136 offset1:137
	ds_load_2addr_b32 v[64:65], v90 offset0:138 offset1:139
	ds_load_b32 v207, v90 offset:560
	s_wait_dscnt 0x1
	v_add3_u32 v208, v67, v66, v64
	s_wait_dscnt 0x0
	s_delay_alu instid0(VALU_DEP_1) | instskip(NEXT) | instid1(VALU_DEP_1)
	v_add3_u32 v207, v208, v65, v207
	v_mov_b32_dpp v208, v207 row_shr:1 row_mask:0xf bank_mask:0xf
	s_delay_alu instid0(VALU_DEP_1) | instskip(NEXT) | instid1(VALU_DEP_1)
	v_cndmask_b32_e64 v208, v208, 0, s9
	v_add_nc_u32_e32 v207, v208, v207
	s_delay_alu instid0(VALU_DEP_1) | instskip(NEXT) | instid1(VALU_DEP_1)
	v_mov_b32_dpp v208, v207 row_shr:2 row_mask:0xf bank_mask:0xf
	v_cndmask_b32_e64 v208, 0, v208, s10
	s_delay_alu instid0(VALU_DEP_1) | instskip(NEXT) | instid1(VALU_DEP_1)
	v_add_nc_u32_e32 v207, v207, v208
	v_mov_b32_dpp v208, v207 row_shr:4 row_mask:0xf bank_mask:0xf
	s_delay_alu instid0(VALU_DEP_1) | instskip(NEXT) | instid1(VALU_DEP_1)
	v_cndmask_b32_e64 v208, 0, v208, s11
	v_add_nc_u32_e32 v207, v207, v208
	s_delay_alu instid0(VALU_DEP_1) | instskip(NEXT) | instid1(VALU_DEP_1)
	v_mov_b32_dpp v208, v207 row_shr:8 row_mask:0xf bank_mask:0xf
	v_cndmask_b32_e64 v208, 0, v208, s12
	s_delay_alu instid0(VALU_DEP_1) | instskip(SKIP_3) | instid1(VALU_DEP_1)
	v_add_nc_u32_e32 v207, v207, v208
	ds_swizzle_b32 v208, v207 offset:swizzle(BROADCAST,32,15)
	s_wait_dscnt 0x0
	v_cndmask_b32_e64 v208, v208, 0, s13
	v_add_nc_u32_e32 v207, v207, v208
	s_and_saveexec_b32 s17, s2
; %bb.181:                              ;   in Loop: Header=BB1450_108 Depth=2
	ds_store_b32 v83, v207 offset:512
; %bb.182:                              ;   in Loop: Header=BB1450_108 Depth=2
	s_or_b32 exec_lo, exec_lo, s17
	s_wait_dscnt 0x0
	s_barrier_signal -1
	s_barrier_wait -1
	s_and_saveexec_b32 s17, s3
	s_cbranch_execz .LBB1450_184
; %bb.183:                              ;   in Loop: Header=BB1450_108 Depth=2
	ds_load_b32 v208, v92 offset:512
	s_wait_dscnt 0x0
	v_mov_b32_dpp v209, v208 row_shr:1 row_mask:0xf bank_mask:0xf
	s_delay_alu instid0(VALU_DEP_1) | instskip(NEXT) | instid1(VALU_DEP_1)
	v_cndmask_b32_e64 v209, v209, 0, s14
	v_add_nc_u32_e32 v208, v209, v208
	s_delay_alu instid0(VALU_DEP_1) | instskip(NEXT) | instid1(VALU_DEP_1)
	v_mov_b32_dpp v209, v208 row_shr:2 row_mask:0xf bank_mask:0xf
	v_cndmask_b32_e64 v209, 0, v209, s15
	s_delay_alu instid0(VALU_DEP_1) | instskip(NEXT) | instid1(VALU_DEP_1)
	v_add_nc_u32_e32 v208, v208, v209
	v_mov_b32_dpp v209, v208 row_shr:4 row_mask:0xf bank_mask:0xf
	s_delay_alu instid0(VALU_DEP_1) | instskip(NEXT) | instid1(VALU_DEP_1)
	v_cndmask_b32_e64 v209, 0, v209, s16
	v_add_nc_u32_e32 v208, v208, v209
	ds_store_b32 v92, v208 offset:512
.LBB1450_184:                           ;   in Loop: Header=BB1450_108 Depth=2
	s_or_b32 exec_lo, exec_lo, s17
	v_mov_b32_e32 v208, 0
	s_wait_dscnt 0x0
	s_barrier_signal -1
	s_barrier_wait -1
	s_and_saveexec_b32 s17, s5
; %bb.185:                              ;   in Loop: Header=BB1450_108 Depth=2
	ds_load_b32 v208, v83 offset:508
; %bb.186:                              ;   in Loop: Header=BB1450_108 Depth=2
	s_or_b32 exec_lo, exec_lo, s17
	s_wait_dscnt 0x0
	v_add_nc_u32_e32 v207, v208, v207
	ds_bpermute_b32 v207, v119, v207
	s_wait_dscnt 0x0
	v_cndmask_b32_e64 v207, v207, v208, s8
	s_delay_alu instid0(VALU_DEP_1) | instskip(NEXT) | instid1(VALU_DEP_1)
	v_cndmask_b32_e64 v207, v207, 0, s6
	v_add_nc_u32_e32 v66, v207, v66
	s_delay_alu instid0(VALU_DEP_1) | instskip(NEXT) | instid1(VALU_DEP_1)
	v_add_nc_u32_e32 v67, v66, v67
	v_add_nc_u32_e32 v64, v67, v64
	s_delay_alu instid0(VALU_DEP_1)
	v_add_nc_u32_e32 v65, v64, v65
	ds_store_2addr_b32 v90, v207, v66 offset0:136 offset1:137
	ds_store_2addr_b32 v90, v67, v64 offset0:138 offset1:139
	ds_store_b32 v90, v65 offset:560
	s_wait_dscnt 0x0
	s_barrier_signal -1
	s_barrier_wait -1
	ds_load_b32 v66, v143 offset:544
	ds_load_b32 v67, v147 offset:544
	ds_load_b32 v143, v151 offset:544
	ds_load_b32 v147, v156 offset:544
	ds_load_b32 v151, v162 offset:544
	ds_load_b32 v207, v167 offset:544
	ds_load_b32 v172, v172 offset:544
	ds_load_b32 v176, v176 offset:544
	ds_load_b32 v179, v179 offset:544
	ds_load_b32 v182, v182 offset:544
	ds_load_b32 v186, v186 offset:544
	ds_load_b32 v208, v161 offset:544
	ds_load_b32 v209, v157 offset:544
	ds_load_b32 v210, v152 offset:544
	ds_load_b32 v64, v199 offset:544
	ds_load_b32 v65, v203 offset:544
	ds_load_b32 v167, v206 offset:544
	s_and_saveexec_b32 s17, s0
	s_cbranch_execz .LBB1450_190
; %bb.187:                              ;   in Loop: Header=BB1450_108 Depth=2
	ds_load_b32 v133, v94 offset:544
	v_mov_b32_e32 v138, 0x1100
	s_and_saveexec_b32 s18, s7
; %bb.188:                              ;   in Loop: Header=BB1450_108 Depth=2
	ds_load_b32 v138, v93 offset:544
; %bb.189:                              ;   in Loop: Header=BB1450_108 Depth=2
	s_or_b32 exec_lo, exec_lo, s18
	s_wait_dscnt 0x0
	v_sub_nc_u32_e32 v138, v138, v133
.LBB1450_190:                           ;   in Loop: Header=BB1450_108 Depth=2
	s_or_b32 exec_lo, exec_lo, s17
	s_wait_dscnt 0x0
	s_barrier_signal -1
	s_barrier_wait -1
	s_and_saveexec_b32 s17, s0
	s_cbranch_execz .LBB1450_192
; %bb.191:                              ;   in Loop: Header=BB1450_108 Depth=2
	ds_load_b32 v152, v4
	s_wait_dscnt 0x0
	v_sub_nc_u32_e32 v152, v152, v133
	ds_store_b32 v4, v152
.LBB1450_192:                           ;   in Loop: Header=BB1450_108 Depth=2
	s_or_b32 exec_lo, exec_lo, s17
	v_add3_u32 v156, v155, v154, v147
	v_add_nc_u32_e32 v162, v66, v141
	v_add3_u32 v161, v146, v145, v67
	v_add3_u32 v157, v150, v149, v143
	;; [unrolled: 1-line block ×4, first 2 shown]
	v_dual_lshlrev_b32 v65, 2, v156 :: v_dual_lshlrev_b32 v159, 2, v162
	v_lshlrev_b32_e32 v160, 2, v161
	v_add3_u32 v154, v165, v164, v207
	v_add3_u32 v152, v170, v169, v172
	;; [unrolled: 1-line block ×4, first 2 shown]
	v_lshlrev_b32_e32 v64, 2, v157
	v_add3_u32 v150, v178, v177, v179
	v_add3_u32 v149, v181, v180, v182
	ds_store_b32 v159, v140 offset:512
	ds_store_b32 v160, v142 offset:512
	v_lshlrev_b32_e32 v140, 2, v155
	v_add3_u32 v147, v185, v184, v186
	v_dual_lshlrev_b32 v142, 2, v154 :: v_dual_lshlrev_b32 v159, 2, v152
	v_add3_u32 v146, v189, v188, v208
	v_add3_u32 v67, v192, v191, v209
	ds_store_b32 v64, v144 offset:512
	ds_store_b32 v65, v148 offset:512
	;; [unrolled: 1-line block ×5, first 2 shown]
	v_dual_lshlrev_b32 v64, 2, v151 :: v_dual_lshlrev_b32 v65, 2, v150
	v_add3_u32 v66, v195, v194, v210
	v_dual_lshlrev_b32 v140, 2, v149 :: v_dual_lshlrev_b32 v142, 2, v147
	v_add3_u32 v141, v205, v204, v167
	v_lshlrev_b32_e32 v144, 2, v146
	ds_store_b32 v64, v168 offset:512
	ds_store_b32 v65, v173 offset:512
	;; [unrolled: 1-line block ×5, first 2 shown]
	v_lshlrev_b32_e32 v64, 2, v67
	v_cmp_lt_u32_e32 vcc_lo, v2, v139
	v_dual_lshlrev_b32 v65, 2, v66 :: v_dual_lshlrev_b32 v140, 2, v145
	v_dual_lshlrev_b32 v142, 2, v143 :: v_dual_lshlrev_b32 v144, 2, v141
	ds_store_b32 v64, v187 offset:512
	ds_store_b32 v65, v190 offset:512
	;; [unrolled: 1-line block ×5, first 2 shown]
	s_wait_dscnt 0x0
	s_barrier_signal -1
	s_barrier_wait -1
	s_and_saveexec_b32 s18, vcc_lo
	s_cbranch_execnz .LBB1450_265
; %bb.193:                              ;   in Loop: Header=BB1450_108 Depth=2
	s_or_b32 exec_lo, exec_lo, s18
	v_cmp_lt_u32_e64 s17, v3, v139
	s_and_saveexec_b32 s19, s17
	s_cbranch_execnz .LBB1450_266
.LBB1450_194:                           ;   in Loop: Header=BB1450_108 Depth=2
	s_or_b32 exec_lo, exec_lo, s19
	v_cmp_lt_u32_e64 s18, v68, v139
	s_and_saveexec_b32 s20, s18
	s_cbranch_execnz .LBB1450_267
.LBB1450_195:                           ;   in Loop: Header=BB1450_108 Depth=2
	s_or_b32 exec_lo, exec_lo, s20
	v_cmp_lt_u32_e64 s19, v69, v139
	s_and_saveexec_b32 s21, s19
	s_cbranch_execnz .LBB1450_268
.LBB1450_196:                           ;   in Loop: Header=BB1450_108 Depth=2
	s_or_b32 exec_lo, exec_lo, s21
	v_cmp_lt_u32_e64 s20, v70, v139
	s_and_saveexec_b32 s22, s20
	s_cbranch_execnz .LBB1450_269
.LBB1450_197:                           ;   in Loop: Header=BB1450_108 Depth=2
	s_or_b32 exec_lo, exec_lo, s22
	v_cmp_lt_u32_e64 s21, v71, v139
	s_and_saveexec_b32 s23, s21
	s_cbranch_execnz .LBB1450_270
.LBB1450_198:                           ;   in Loop: Header=BB1450_108 Depth=2
	s_or_b32 exec_lo, exec_lo, s23
	v_cmp_lt_u32_e64 s22, v72, v139
	s_and_saveexec_b32 s24, s22
	s_cbranch_execnz .LBB1450_271
.LBB1450_199:                           ;   in Loop: Header=BB1450_108 Depth=2
	s_or_b32 exec_lo, exec_lo, s24
	v_cmp_lt_u32_e64 s23, v73, v139
	s_and_saveexec_b32 s25, s23
	s_cbranch_execnz .LBB1450_272
.LBB1450_200:                           ;   in Loop: Header=BB1450_108 Depth=2
	s_or_b32 exec_lo, exec_lo, s25
	v_cmp_lt_u32_e64 s24, v74, v139
	s_and_saveexec_b32 s26, s24
	s_cbranch_execnz .LBB1450_273
.LBB1450_201:                           ;   in Loop: Header=BB1450_108 Depth=2
	s_or_b32 exec_lo, exec_lo, s26
	v_cmp_lt_u32_e64 s25, v75, v139
	s_and_saveexec_b32 s27, s25
	s_cbranch_execnz .LBB1450_274
.LBB1450_202:                           ;   in Loop: Header=BB1450_108 Depth=2
	s_or_b32 exec_lo, exec_lo, s27
	v_cmp_lt_u32_e64 s26, v76, v139
	s_and_saveexec_b32 s28, s26
	s_cbranch_execnz .LBB1450_275
.LBB1450_203:                           ;   in Loop: Header=BB1450_108 Depth=2
	s_or_b32 exec_lo, exec_lo, s28
	v_cmp_lt_u32_e64 s27, v77, v139
	s_and_saveexec_b32 s29, s27
	s_cbranch_execnz .LBB1450_276
.LBB1450_204:                           ;   in Loop: Header=BB1450_108 Depth=2
	s_or_b32 exec_lo, exec_lo, s29
	v_cmp_lt_u32_e64 s28, v78, v139
	s_and_saveexec_b32 s30, s28
	s_cbranch_execnz .LBB1450_277
.LBB1450_205:                           ;   in Loop: Header=BB1450_108 Depth=2
	s_or_b32 exec_lo, exec_lo, s30
	v_cmp_lt_u32_e64 s29, v79, v139
	s_and_saveexec_b32 s31, s29
	s_cbranch_execnz .LBB1450_278
.LBB1450_206:                           ;   in Loop: Header=BB1450_108 Depth=2
	s_or_b32 exec_lo, exec_lo, s31
	v_cmp_lt_u32_e64 s30, v80, v139
	s_and_saveexec_b32 s33, s30
	s_cbranch_execnz .LBB1450_279
.LBB1450_207:                           ;   in Loop: Header=BB1450_108 Depth=2
	s_or_b32 exec_lo, exec_lo, s33
	v_cmp_lt_u32_e64 s31, v81, v139
	s_and_saveexec_b32 s34, s31
	s_cbranch_execnz .LBB1450_280
.LBB1450_208:                           ;   in Loop: Header=BB1450_108 Depth=2
	s_or_b32 exec_lo, exec_lo, s34
	v_cmp_lt_u32_e64 s33, v82, v139
	s_and_saveexec_b32 s61, s33
	s_cbranch_execz .LBB1450_210
.LBB1450_209:                           ;   in Loop: Header=BB1450_108 Depth=2
	ds_load_b32 v64, v92 offset:16896
	s_wait_dscnt 0x0
	v_cmp_ne_u32_e64 s34, 0x7fffffff, v64
	s_delay_alu instid0(VALU_DEP_1) | instskip(SKIP_1) | instid1(VALU_DEP_1)
	v_cndmask_b32_e64 v65, 0x80000000, v64, s34
	v_cmp_lt_i32_e64 s34, -1, v64
	v_cndmask_b32_e64 v140, 0x80000000, -1, s34
	s_delay_alu instid0(VALU_DEP_1) | instskip(NEXT) | instid1(VALU_DEP_1)
	v_dual_lshrrev_b32 v65, s48, v65 :: v_dual_bitop2_b32 v64, v140, v64 bitop3:0x14
	v_and_b32_e32 v65, s58, v65
	s_delay_alu instid0(VALU_DEP_1)
	v_lshlrev_b32_e32 v65, 2, v65
	ds_load_b32 v65, v65
	s_wait_dscnt 0x0
	v_add_nc_u32_e32 v65, v65, v82
	global_store_b32 v65, v64, s[38:39] scale_offset
.LBB1450_210:                           ;   in Loop: Header=BB1450_108 Depth=2
	s_wait_xcnt 0x0
	s_or_b32 exec_lo, exec_lo, s61
	v_lshl_add_u64 v[64:65], s[42:43], 3, v[26:27]
	v_cmp_lt_u32_e64 s34, v101, v139
	s_and_saveexec_b32 s42, s34
	s_delay_alu instid0(SALU_CYCLE_1)
	s_xor_b32 s34, exec_lo, s42
	s_cbranch_execnz .LBB1450_281
; %bb.211:                              ;   in Loop: Header=BB1450_108 Depth=2
	s_or_b32 exec_lo, exec_lo, s34
	s_delay_alu instid0(SALU_CYCLE_1)
	s_mov_b32 s42, exec_lo
	v_cmpx_lt_u32_e64 v104, v139
	s_cbranch_execnz .LBB1450_282
.LBB1450_212:                           ;   in Loop: Header=BB1450_108 Depth=2
	s_or_b32 exec_lo, exec_lo, s42
	s_delay_alu instid0(SALU_CYCLE_1)
	s_mov_b32 s42, exec_lo
	v_cmpx_lt_u32_e64 v105, v139
	s_cbranch_execnz .LBB1450_283
.LBB1450_213:                           ;   in Loop: Header=BB1450_108 Depth=2
	s_or_b32 exec_lo, exec_lo, s42
	s_delay_alu instid0(SALU_CYCLE_1)
	s_mov_b32 s42, exec_lo
	v_cmpx_lt_u32_e64 v106, v139
	s_cbranch_execnz .LBB1450_284
.LBB1450_214:                           ;   in Loop: Header=BB1450_108 Depth=2
	s_or_b32 exec_lo, exec_lo, s42
	s_delay_alu instid0(SALU_CYCLE_1)
	s_mov_b32 s42, exec_lo
	v_cmpx_lt_u32_e64 v107, v139
	s_cbranch_execnz .LBB1450_285
.LBB1450_215:                           ;   in Loop: Header=BB1450_108 Depth=2
	s_or_b32 exec_lo, exec_lo, s42
	s_delay_alu instid0(SALU_CYCLE_1)
	s_mov_b32 s42, exec_lo
	v_cmpx_lt_u32_e64 v108, v139
	s_cbranch_execnz .LBB1450_286
.LBB1450_216:                           ;   in Loop: Header=BB1450_108 Depth=2
	s_or_b32 exec_lo, exec_lo, s42
	s_delay_alu instid0(SALU_CYCLE_1)
	s_mov_b32 s42, exec_lo
	v_cmpx_lt_u32_e64 v109, v139
	s_cbranch_execnz .LBB1450_287
.LBB1450_217:                           ;   in Loop: Header=BB1450_108 Depth=2
	s_or_b32 exec_lo, exec_lo, s42
	s_delay_alu instid0(SALU_CYCLE_1)
	s_mov_b32 s42, exec_lo
	v_cmpx_lt_u32_e64 v110, v139
	s_cbranch_execnz .LBB1450_288
.LBB1450_218:                           ;   in Loop: Header=BB1450_108 Depth=2
	s_or_b32 exec_lo, exec_lo, s42
	s_delay_alu instid0(SALU_CYCLE_1)
	s_mov_b32 s42, exec_lo
	v_cmpx_lt_u32_e64 v111, v139
	s_cbranch_execnz .LBB1450_289
.LBB1450_219:                           ;   in Loop: Header=BB1450_108 Depth=2
	s_or_b32 exec_lo, exec_lo, s42
	s_delay_alu instid0(SALU_CYCLE_1)
	s_mov_b32 s42, exec_lo
	v_cmpx_lt_u32_e64 v112, v139
	s_cbranch_execnz .LBB1450_290
.LBB1450_220:                           ;   in Loop: Header=BB1450_108 Depth=2
	s_or_b32 exec_lo, exec_lo, s42
	s_delay_alu instid0(SALU_CYCLE_1)
	s_mov_b32 s42, exec_lo
	v_cmpx_lt_u32_e64 v113, v139
	s_cbranch_execnz .LBB1450_291
.LBB1450_221:                           ;   in Loop: Header=BB1450_108 Depth=2
	s_or_b32 exec_lo, exec_lo, s42
	s_delay_alu instid0(SALU_CYCLE_1)
	s_mov_b32 s42, exec_lo
	v_cmpx_lt_u32_e64 v114, v139
	s_cbranch_execnz .LBB1450_292
.LBB1450_222:                           ;   in Loop: Header=BB1450_108 Depth=2
	s_or_b32 exec_lo, exec_lo, s42
	s_delay_alu instid0(SALU_CYCLE_1)
	s_mov_b32 s42, exec_lo
	v_cmpx_lt_u32_e64 v115, v139
	s_cbranch_execnz .LBB1450_293
.LBB1450_223:                           ;   in Loop: Header=BB1450_108 Depth=2
	s_or_b32 exec_lo, exec_lo, s42
	s_delay_alu instid0(SALU_CYCLE_1)
	s_mov_b32 s42, exec_lo
	v_cmpx_lt_u32_e64 v116, v139
	s_cbranch_execnz .LBB1450_294
.LBB1450_224:                           ;   in Loop: Header=BB1450_108 Depth=2
	s_or_b32 exec_lo, exec_lo, s42
	s_delay_alu instid0(SALU_CYCLE_1)
	s_mov_b32 s42, exec_lo
	v_cmpx_lt_u32_e64 v117, v139
	s_cbranch_execnz .LBB1450_295
.LBB1450_225:                           ;   in Loop: Header=BB1450_108 Depth=2
	s_or_b32 exec_lo, exec_lo, s42
	s_delay_alu instid0(SALU_CYCLE_1)
	s_mov_b32 s42, exec_lo
	v_cmpx_lt_u32_e64 v118, v139
	s_cbranch_execnz .LBB1450_296
.LBB1450_226:                           ;   in Loop: Header=BB1450_108 Depth=2
	s_or_b32 exec_lo, exec_lo, s42
	s_delay_alu instid0(SALU_CYCLE_1)
	s_mov_b32 s42, exec_lo
	v_cmpx_lt_u32_e64 v5, v139
	s_cbranch_execnz .LBB1450_297
.LBB1450_227:                           ;   in Loop: Header=BB1450_108 Depth=2
	s_or_b32 exec_lo, exec_lo, s42
	s_and_saveexec_b32 s42, vcc_lo
	s_cbranch_execnz .LBB1450_298
.LBB1450_228:                           ;   in Loop: Header=BB1450_108 Depth=2
	s_or_b32 exec_lo, exec_lo, s42
	s_and_saveexec_b32 s42, s17
	s_cbranch_execnz .LBB1450_299
.LBB1450_229:                           ;   in Loop: Header=BB1450_108 Depth=2
	s_or_b32 exec_lo, exec_lo, s42
	s_and_saveexec_b32 s42, s18
	s_cbranch_execnz .LBB1450_300
.LBB1450_230:                           ;   in Loop: Header=BB1450_108 Depth=2
	s_or_b32 exec_lo, exec_lo, s42
	s_and_saveexec_b32 s42, s19
	s_cbranch_execnz .LBB1450_301
.LBB1450_231:                           ;   in Loop: Header=BB1450_108 Depth=2
	s_or_b32 exec_lo, exec_lo, s42
	s_and_saveexec_b32 s42, s20
	s_cbranch_execnz .LBB1450_302
.LBB1450_232:                           ;   in Loop: Header=BB1450_108 Depth=2
	s_or_b32 exec_lo, exec_lo, s42
	s_and_saveexec_b32 s42, s21
	s_cbranch_execnz .LBB1450_303
.LBB1450_233:                           ;   in Loop: Header=BB1450_108 Depth=2
	s_or_b32 exec_lo, exec_lo, s42
	s_and_saveexec_b32 s42, s22
	s_cbranch_execnz .LBB1450_304
.LBB1450_234:                           ;   in Loop: Header=BB1450_108 Depth=2
	s_or_b32 exec_lo, exec_lo, s42
	s_and_saveexec_b32 s42, s23
	s_cbranch_execnz .LBB1450_305
.LBB1450_235:                           ;   in Loop: Header=BB1450_108 Depth=2
	s_or_b32 exec_lo, exec_lo, s42
	s_and_saveexec_b32 s42, s24
	s_cbranch_execnz .LBB1450_306
.LBB1450_236:                           ;   in Loop: Header=BB1450_108 Depth=2
	s_or_b32 exec_lo, exec_lo, s42
	s_and_saveexec_b32 s42, s25
	s_cbranch_execnz .LBB1450_307
.LBB1450_237:                           ;   in Loop: Header=BB1450_108 Depth=2
	s_or_b32 exec_lo, exec_lo, s42
	s_and_saveexec_b32 s42, s26
	s_cbranch_execnz .LBB1450_308
.LBB1450_238:                           ;   in Loop: Header=BB1450_108 Depth=2
	s_or_b32 exec_lo, exec_lo, s42
	s_and_saveexec_b32 s42, s27
	s_cbranch_execnz .LBB1450_309
.LBB1450_239:                           ;   in Loop: Header=BB1450_108 Depth=2
	s_or_b32 exec_lo, exec_lo, s42
	s_and_saveexec_b32 s42, s28
	s_cbranch_execnz .LBB1450_310
.LBB1450_240:                           ;   in Loop: Header=BB1450_108 Depth=2
	s_or_b32 exec_lo, exec_lo, s42
	s_and_saveexec_b32 s42, s29
	s_cbranch_execnz .LBB1450_311
.LBB1450_241:                           ;   in Loop: Header=BB1450_108 Depth=2
	s_or_b32 exec_lo, exec_lo, s42
	s_and_saveexec_b32 s42, s30
	s_cbranch_execnz .LBB1450_312
.LBB1450_242:                           ;   in Loop: Header=BB1450_108 Depth=2
	s_or_b32 exec_lo, exec_lo, s42
	s_and_saveexec_b32 s42, s31
	s_cbranch_execnz .LBB1450_313
.LBB1450_243:                           ;   in Loop: Header=BB1450_108 Depth=2
	s_or_b32 exec_lo, exec_lo, s42
	s_and_saveexec_b32 s42, s33
	s_cbranch_execz .LBB1450_245
.LBB1450_244:                           ;   in Loop: Header=BB1450_108 Depth=2
	ds_load_b32 v64, v92 offset:16896
	s_wait_dscnt 0x0
	v_cmp_ne_u32_e64 s34, 0x7fffffff, v64
	s_delay_alu instid0(VALU_DEP_1) | instskip(NEXT) | instid1(VALU_DEP_1)
	v_cndmask_b32_e64 v64, 0x80000000, v64, s34
	v_lshrrev_b32_e32 v64, s48, v64
	s_delay_alu instid0(VALU_DEP_1)
	v_and_b32_e32 v120, s58, v64
.LBB1450_245:                           ;   in Loop: Header=BB1450_108 Depth=2
	s_or_b32 exec_lo, exec_lo, s42
	v_dual_lshlrev_b32 v64, 3, v162 :: v_dual_lshlrev_b32 v65, 3, v161
	s_wait_loadcnt 0x0
	s_wait_storecnt 0x0
	s_barrier_signal -1
	s_barrier_wait -1
	ds_store_b64 v64, v[62:63] offset:512
	ds_store_b64 v65, v[60:61] offset:512
	v_dual_lshlrev_b32 v64, 3, v157 :: v_dual_lshlrev_b32 v65, 3, v156
	v_dual_lshlrev_b32 v139, 3, v155 :: v_dual_lshlrev_b32 v140, 3, v154
	v_lshlrev_b32_e32 v142, 3, v152
	ds_store_b64 v64, v[58:59] offset:512
	ds_store_b64 v65, v[56:57] offset:512
	ds_store_b64 v139, v[54:55] offset:512
	ds_store_b64 v140, v[52:53] offset:512
	ds_store_b64 v142, v[50:51] offset:512
	v_dual_lshlrev_b32 v64, 3, v151 :: v_dual_lshlrev_b32 v65, 3, v150
	v_dual_lshlrev_b32 v139, 3, v149 :: v_dual_lshlrev_b32 v140, 3, v147
	v_lshlrev_b32_e32 v142, 3, v146
	ds_store_b64 v64, v[48:49] offset:512
	ds_store_b64 v65, v[46:47] offset:512
	ds_store_b64 v139, v[44:45] offset:512
	;; [unrolled: 8-line block ×3, first 2 shown]
	ds_store_b64 v67, v[32:33] offset:512
	ds_store_b64 v139, v[30:31] offset:512
	s_wait_dscnt 0x0
	s_barrier_signal -1
	s_barrier_wait -1
	s_and_saveexec_b32 s34, vcc_lo
	s_cbranch_execnz .LBB1450_314
; %bb.246:                              ;   in Loop: Header=BB1450_108 Depth=2
	s_or_b32 exec_lo, exec_lo, s34
	s_and_saveexec_b32 s34, s17
	s_cbranch_execnz .LBB1450_315
.LBB1450_247:                           ;   in Loop: Header=BB1450_108 Depth=2
	s_or_b32 exec_lo, exec_lo, s34
	s_and_saveexec_b32 s17, s18
	s_cbranch_execnz .LBB1450_316
.LBB1450_248:                           ;   in Loop: Header=BB1450_108 Depth=2
	s_or_b32 exec_lo, exec_lo, s17
	s_and_saveexec_b32 s17, s19
	s_cbranch_execnz .LBB1450_317
.LBB1450_249:                           ;   in Loop: Header=BB1450_108 Depth=2
	s_or_b32 exec_lo, exec_lo, s17
	s_and_saveexec_b32 s17, s20
	s_cbranch_execnz .LBB1450_318
.LBB1450_250:                           ;   in Loop: Header=BB1450_108 Depth=2
	s_or_b32 exec_lo, exec_lo, s17
	s_and_saveexec_b32 s17, s21
	s_cbranch_execnz .LBB1450_319
.LBB1450_251:                           ;   in Loop: Header=BB1450_108 Depth=2
	s_or_b32 exec_lo, exec_lo, s17
	s_and_saveexec_b32 s17, s22
	s_cbranch_execnz .LBB1450_320
.LBB1450_252:                           ;   in Loop: Header=BB1450_108 Depth=2
	s_or_b32 exec_lo, exec_lo, s17
	s_and_saveexec_b32 s17, s23
	s_cbranch_execnz .LBB1450_321
.LBB1450_253:                           ;   in Loop: Header=BB1450_108 Depth=2
	s_or_b32 exec_lo, exec_lo, s17
	s_and_saveexec_b32 s17, s24
	s_cbranch_execnz .LBB1450_322
.LBB1450_254:                           ;   in Loop: Header=BB1450_108 Depth=2
	s_or_b32 exec_lo, exec_lo, s17
	s_and_saveexec_b32 s17, s25
	s_cbranch_execnz .LBB1450_323
.LBB1450_255:                           ;   in Loop: Header=BB1450_108 Depth=2
	s_or_b32 exec_lo, exec_lo, s17
	s_and_saveexec_b32 s17, s26
	s_cbranch_execnz .LBB1450_324
.LBB1450_256:                           ;   in Loop: Header=BB1450_108 Depth=2
	s_or_b32 exec_lo, exec_lo, s17
	s_and_saveexec_b32 s17, s27
	s_cbranch_execnz .LBB1450_325
.LBB1450_257:                           ;   in Loop: Header=BB1450_108 Depth=2
	s_or_b32 exec_lo, exec_lo, s17
	s_and_saveexec_b32 s17, s28
	s_cbranch_execnz .LBB1450_326
.LBB1450_258:                           ;   in Loop: Header=BB1450_108 Depth=2
	s_or_b32 exec_lo, exec_lo, s17
	s_and_saveexec_b32 s17, s29
	s_cbranch_execnz .LBB1450_327
.LBB1450_259:                           ;   in Loop: Header=BB1450_108 Depth=2
	s_or_b32 exec_lo, exec_lo, s17
	s_and_saveexec_b32 s17, s30
	s_cbranch_execnz .LBB1450_328
.LBB1450_260:                           ;   in Loop: Header=BB1450_108 Depth=2
	s_or_b32 exec_lo, exec_lo, s17
	s_and_saveexec_b32 s17, s31
	s_cbranch_execnz .LBB1450_329
.LBB1450_261:                           ;   in Loop: Header=BB1450_108 Depth=2
	s_or_b32 exec_lo, exec_lo, s17
	s_and_saveexec_b32 s17, s33
	s_cbranch_execz .LBB1450_263
.LBB1450_262:                           ;   in Loop: Header=BB1450_108 Depth=2
	v_lshlrev_b32_e32 v64, 2, v120
	v_add_nc_u32_e32 v65, v92, v4
	ds_load_b32 v66, v64
	ds_load_b64 v[64:65], v65 offset:33280
	s_wait_dscnt 0x1
	v_add_nc_u32_e32 v66, v66, v82
	s_wait_dscnt 0x0
	global_store_b64 v66, v[64:65], s[44:45] scale_offset
.LBB1450_263:                           ;   in Loop: Header=BB1450_108 Depth=2
	s_wait_xcnt 0x0
	s_or_b32 exec_lo, exec_lo, s17
	s_wait_storecnt 0x0
	s_barrier_signal -1
	s_barrier_wait -1
	s_and_saveexec_b32 s17, s0
	s_cbranch_execz .LBB1450_107
; %bb.264:                              ;   in Loop: Header=BB1450_108 Depth=2
	ds_load_b32 v64, v4
	s_wait_dscnt 0x0
	v_add3_u32 v64, v133, v138, v64
	ds_store_b32 v4, v64
	s_branch .LBB1450_107
.LBB1450_265:                           ;   in Loop: Header=BB1450_108 Depth=2
	ds_load_b32 v64, v92 offset:512
	s_wait_dscnt 0x0
	v_cmp_ne_u32_e64 s17, 0x7fffffff, v64
	s_delay_alu instid0(VALU_DEP_1) | instskip(SKIP_1) | instid1(VALU_DEP_1)
	v_cndmask_b32_e64 v65, 0x80000000, v64, s17
	v_cmp_lt_i32_e64 s17, -1, v64
	v_cndmask_b32_e64 v140, 0x80000000, -1, s17
	s_delay_alu instid0(VALU_DEP_1) | instskip(NEXT) | instid1(VALU_DEP_1)
	v_dual_lshrrev_b32 v65, s48, v65 :: v_dual_bitop2_b32 v64, v140, v64 bitop3:0x14
	v_and_b32_e32 v65, s58, v65
	s_delay_alu instid0(VALU_DEP_1)
	v_lshlrev_b32_e32 v65, 2, v65
	ds_load_b32 v65, v65
	s_wait_dscnt 0x0
	v_add_nc_u32_e32 v65, v65, v2
	global_store_b32 v65, v64, s[38:39] scale_offset
	s_wait_xcnt 0x0
	s_or_b32 exec_lo, exec_lo, s18
	v_cmp_lt_u32_e64 s17, v3, v139
	s_and_saveexec_b32 s19, s17
	s_cbranch_execz .LBB1450_194
.LBB1450_266:                           ;   in Loop: Header=BB1450_108 Depth=2
	ds_load_b32 v64, v92 offset:1536
	s_wait_dscnt 0x0
	v_cmp_ne_u32_e64 s18, 0x7fffffff, v64
	s_delay_alu instid0(VALU_DEP_1) | instskip(SKIP_1) | instid1(VALU_DEP_1)
	v_cndmask_b32_e64 v65, 0x80000000, v64, s18
	v_cmp_lt_i32_e64 s18, -1, v64
	v_cndmask_b32_e64 v140, 0x80000000, -1, s18
	s_delay_alu instid0(VALU_DEP_1) | instskip(NEXT) | instid1(VALU_DEP_1)
	v_dual_lshrrev_b32 v65, s48, v65 :: v_dual_bitop2_b32 v64, v140, v64 bitop3:0x14
	v_and_b32_e32 v65, s58, v65
	s_delay_alu instid0(VALU_DEP_1)
	v_lshlrev_b32_e32 v65, 2, v65
	ds_load_b32 v65, v65
	s_wait_dscnt 0x0
	v_add_nc_u32_e32 v65, v65, v3
	global_store_b32 v65, v64, s[38:39] scale_offset
	s_wait_xcnt 0x0
	s_or_b32 exec_lo, exec_lo, s19
	v_cmp_lt_u32_e64 s18, v68, v139
	s_and_saveexec_b32 s20, s18
	s_cbranch_execz .LBB1450_195
.LBB1450_267:                           ;   in Loop: Header=BB1450_108 Depth=2
	ds_load_b32 v64, v92 offset:2560
	s_wait_dscnt 0x0
	v_cmp_ne_u32_e64 s19, 0x7fffffff, v64
	s_delay_alu instid0(VALU_DEP_1) | instskip(SKIP_1) | instid1(VALU_DEP_1)
	v_cndmask_b32_e64 v65, 0x80000000, v64, s19
	v_cmp_lt_i32_e64 s19, -1, v64
	v_cndmask_b32_e64 v140, 0x80000000, -1, s19
	s_delay_alu instid0(VALU_DEP_1) | instskip(NEXT) | instid1(VALU_DEP_1)
	v_dual_lshrrev_b32 v65, s48, v65 :: v_dual_bitop2_b32 v64, v140, v64 bitop3:0x14
	v_and_b32_e32 v65, s58, v65
	s_delay_alu instid0(VALU_DEP_1)
	v_lshlrev_b32_e32 v65, 2, v65
	ds_load_b32 v65, v65
	s_wait_dscnt 0x0
	v_add_nc_u32_e32 v65, v65, v68
	global_store_b32 v65, v64, s[38:39] scale_offset
	s_wait_xcnt 0x0
	s_or_b32 exec_lo, exec_lo, s20
	v_cmp_lt_u32_e64 s19, v69, v139
	s_and_saveexec_b32 s21, s19
	s_cbranch_execz .LBB1450_196
.LBB1450_268:                           ;   in Loop: Header=BB1450_108 Depth=2
	ds_load_b32 v64, v92 offset:3584
	s_wait_dscnt 0x0
	v_cmp_ne_u32_e64 s20, 0x7fffffff, v64
	s_delay_alu instid0(VALU_DEP_1) | instskip(SKIP_1) | instid1(VALU_DEP_1)
	v_cndmask_b32_e64 v65, 0x80000000, v64, s20
	v_cmp_lt_i32_e64 s20, -1, v64
	v_cndmask_b32_e64 v140, 0x80000000, -1, s20
	s_delay_alu instid0(VALU_DEP_1) | instskip(NEXT) | instid1(VALU_DEP_1)
	v_dual_lshrrev_b32 v65, s48, v65 :: v_dual_bitop2_b32 v64, v140, v64 bitop3:0x14
	v_and_b32_e32 v65, s58, v65
	s_delay_alu instid0(VALU_DEP_1)
	v_lshlrev_b32_e32 v65, 2, v65
	ds_load_b32 v65, v65
	s_wait_dscnt 0x0
	v_add_nc_u32_e32 v65, v65, v69
	global_store_b32 v65, v64, s[38:39] scale_offset
	s_wait_xcnt 0x0
	s_or_b32 exec_lo, exec_lo, s21
	v_cmp_lt_u32_e64 s20, v70, v139
	s_and_saveexec_b32 s22, s20
	s_cbranch_execz .LBB1450_197
.LBB1450_269:                           ;   in Loop: Header=BB1450_108 Depth=2
	ds_load_b32 v64, v92 offset:4608
	s_wait_dscnt 0x0
	v_cmp_ne_u32_e64 s21, 0x7fffffff, v64
	s_delay_alu instid0(VALU_DEP_1) | instskip(SKIP_1) | instid1(VALU_DEP_1)
	v_cndmask_b32_e64 v65, 0x80000000, v64, s21
	v_cmp_lt_i32_e64 s21, -1, v64
	v_cndmask_b32_e64 v140, 0x80000000, -1, s21
	s_delay_alu instid0(VALU_DEP_1) | instskip(NEXT) | instid1(VALU_DEP_1)
	v_dual_lshrrev_b32 v65, s48, v65 :: v_dual_bitop2_b32 v64, v140, v64 bitop3:0x14
	v_and_b32_e32 v65, s58, v65
	s_delay_alu instid0(VALU_DEP_1)
	v_lshlrev_b32_e32 v65, 2, v65
	ds_load_b32 v65, v65
	s_wait_dscnt 0x0
	v_add_nc_u32_e32 v65, v65, v70
	global_store_b32 v65, v64, s[38:39] scale_offset
	s_wait_xcnt 0x0
	s_or_b32 exec_lo, exec_lo, s22
	v_cmp_lt_u32_e64 s21, v71, v139
	s_and_saveexec_b32 s23, s21
	s_cbranch_execz .LBB1450_198
.LBB1450_270:                           ;   in Loop: Header=BB1450_108 Depth=2
	ds_load_b32 v64, v92 offset:5632
	s_wait_dscnt 0x0
	v_cmp_ne_u32_e64 s22, 0x7fffffff, v64
	s_delay_alu instid0(VALU_DEP_1) | instskip(SKIP_1) | instid1(VALU_DEP_1)
	v_cndmask_b32_e64 v65, 0x80000000, v64, s22
	v_cmp_lt_i32_e64 s22, -1, v64
	v_cndmask_b32_e64 v140, 0x80000000, -1, s22
	s_delay_alu instid0(VALU_DEP_1) | instskip(NEXT) | instid1(VALU_DEP_1)
	v_dual_lshrrev_b32 v65, s48, v65 :: v_dual_bitop2_b32 v64, v140, v64 bitop3:0x14
	v_and_b32_e32 v65, s58, v65
	s_delay_alu instid0(VALU_DEP_1)
	v_lshlrev_b32_e32 v65, 2, v65
	ds_load_b32 v65, v65
	s_wait_dscnt 0x0
	v_add_nc_u32_e32 v65, v65, v71
	global_store_b32 v65, v64, s[38:39] scale_offset
	s_wait_xcnt 0x0
	s_or_b32 exec_lo, exec_lo, s23
	v_cmp_lt_u32_e64 s22, v72, v139
	s_and_saveexec_b32 s24, s22
	s_cbranch_execz .LBB1450_199
.LBB1450_271:                           ;   in Loop: Header=BB1450_108 Depth=2
	ds_load_b32 v64, v92 offset:6656
	s_wait_dscnt 0x0
	v_cmp_ne_u32_e64 s23, 0x7fffffff, v64
	s_delay_alu instid0(VALU_DEP_1) | instskip(SKIP_1) | instid1(VALU_DEP_1)
	v_cndmask_b32_e64 v65, 0x80000000, v64, s23
	v_cmp_lt_i32_e64 s23, -1, v64
	v_cndmask_b32_e64 v140, 0x80000000, -1, s23
	s_delay_alu instid0(VALU_DEP_1) | instskip(NEXT) | instid1(VALU_DEP_1)
	v_dual_lshrrev_b32 v65, s48, v65 :: v_dual_bitop2_b32 v64, v140, v64 bitop3:0x14
	v_and_b32_e32 v65, s58, v65
	s_delay_alu instid0(VALU_DEP_1)
	v_lshlrev_b32_e32 v65, 2, v65
	ds_load_b32 v65, v65
	s_wait_dscnt 0x0
	v_add_nc_u32_e32 v65, v65, v72
	global_store_b32 v65, v64, s[38:39] scale_offset
	s_wait_xcnt 0x0
	s_or_b32 exec_lo, exec_lo, s24
	v_cmp_lt_u32_e64 s23, v73, v139
	s_and_saveexec_b32 s25, s23
	s_cbranch_execz .LBB1450_200
.LBB1450_272:                           ;   in Loop: Header=BB1450_108 Depth=2
	ds_load_b32 v64, v92 offset:7680
	s_wait_dscnt 0x0
	v_cmp_ne_u32_e64 s24, 0x7fffffff, v64
	s_delay_alu instid0(VALU_DEP_1) | instskip(SKIP_1) | instid1(VALU_DEP_1)
	v_cndmask_b32_e64 v65, 0x80000000, v64, s24
	v_cmp_lt_i32_e64 s24, -1, v64
	v_cndmask_b32_e64 v140, 0x80000000, -1, s24
	s_delay_alu instid0(VALU_DEP_1) | instskip(NEXT) | instid1(VALU_DEP_1)
	v_dual_lshrrev_b32 v65, s48, v65 :: v_dual_bitop2_b32 v64, v140, v64 bitop3:0x14
	v_and_b32_e32 v65, s58, v65
	s_delay_alu instid0(VALU_DEP_1)
	v_lshlrev_b32_e32 v65, 2, v65
	ds_load_b32 v65, v65
	s_wait_dscnt 0x0
	v_add_nc_u32_e32 v65, v65, v73
	global_store_b32 v65, v64, s[38:39] scale_offset
	s_wait_xcnt 0x0
	s_or_b32 exec_lo, exec_lo, s25
	v_cmp_lt_u32_e64 s24, v74, v139
	s_and_saveexec_b32 s26, s24
	s_cbranch_execz .LBB1450_201
.LBB1450_273:                           ;   in Loop: Header=BB1450_108 Depth=2
	ds_load_b32 v64, v92 offset:8704
	s_wait_dscnt 0x0
	v_cmp_ne_u32_e64 s25, 0x7fffffff, v64
	s_delay_alu instid0(VALU_DEP_1) | instskip(SKIP_1) | instid1(VALU_DEP_1)
	v_cndmask_b32_e64 v65, 0x80000000, v64, s25
	v_cmp_lt_i32_e64 s25, -1, v64
	v_cndmask_b32_e64 v140, 0x80000000, -1, s25
	s_delay_alu instid0(VALU_DEP_1) | instskip(NEXT) | instid1(VALU_DEP_1)
	v_dual_lshrrev_b32 v65, s48, v65 :: v_dual_bitop2_b32 v64, v140, v64 bitop3:0x14
	v_and_b32_e32 v65, s58, v65
	s_delay_alu instid0(VALU_DEP_1)
	v_lshlrev_b32_e32 v65, 2, v65
	ds_load_b32 v65, v65
	s_wait_dscnt 0x0
	v_add_nc_u32_e32 v65, v65, v74
	global_store_b32 v65, v64, s[38:39] scale_offset
	s_wait_xcnt 0x0
	s_or_b32 exec_lo, exec_lo, s26
	v_cmp_lt_u32_e64 s25, v75, v139
	s_and_saveexec_b32 s27, s25
	s_cbranch_execz .LBB1450_202
.LBB1450_274:                           ;   in Loop: Header=BB1450_108 Depth=2
	ds_load_b32 v64, v92 offset:9728
	s_wait_dscnt 0x0
	v_cmp_ne_u32_e64 s26, 0x7fffffff, v64
	s_delay_alu instid0(VALU_DEP_1) | instskip(SKIP_1) | instid1(VALU_DEP_1)
	v_cndmask_b32_e64 v65, 0x80000000, v64, s26
	v_cmp_lt_i32_e64 s26, -1, v64
	v_cndmask_b32_e64 v140, 0x80000000, -1, s26
	s_delay_alu instid0(VALU_DEP_1) | instskip(NEXT) | instid1(VALU_DEP_1)
	v_dual_lshrrev_b32 v65, s48, v65 :: v_dual_bitop2_b32 v64, v140, v64 bitop3:0x14
	v_and_b32_e32 v65, s58, v65
	s_delay_alu instid0(VALU_DEP_1)
	v_lshlrev_b32_e32 v65, 2, v65
	ds_load_b32 v65, v65
	s_wait_dscnt 0x0
	v_add_nc_u32_e32 v65, v65, v75
	global_store_b32 v65, v64, s[38:39] scale_offset
	s_wait_xcnt 0x0
	s_or_b32 exec_lo, exec_lo, s27
	v_cmp_lt_u32_e64 s26, v76, v139
	s_and_saveexec_b32 s28, s26
	s_cbranch_execz .LBB1450_203
.LBB1450_275:                           ;   in Loop: Header=BB1450_108 Depth=2
	ds_load_b32 v64, v92 offset:10752
	s_wait_dscnt 0x0
	v_cmp_ne_u32_e64 s27, 0x7fffffff, v64
	s_delay_alu instid0(VALU_DEP_1) | instskip(SKIP_1) | instid1(VALU_DEP_1)
	v_cndmask_b32_e64 v65, 0x80000000, v64, s27
	v_cmp_lt_i32_e64 s27, -1, v64
	v_cndmask_b32_e64 v140, 0x80000000, -1, s27
	s_delay_alu instid0(VALU_DEP_1) | instskip(NEXT) | instid1(VALU_DEP_1)
	v_dual_lshrrev_b32 v65, s48, v65 :: v_dual_bitop2_b32 v64, v140, v64 bitop3:0x14
	v_and_b32_e32 v65, s58, v65
	s_delay_alu instid0(VALU_DEP_1)
	v_lshlrev_b32_e32 v65, 2, v65
	ds_load_b32 v65, v65
	s_wait_dscnt 0x0
	v_add_nc_u32_e32 v65, v65, v76
	global_store_b32 v65, v64, s[38:39] scale_offset
	s_wait_xcnt 0x0
	s_or_b32 exec_lo, exec_lo, s28
	v_cmp_lt_u32_e64 s27, v77, v139
	s_and_saveexec_b32 s29, s27
	s_cbranch_execz .LBB1450_204
.LBB1450_276:                           ;   in Loop: Header=BB1450_108 Depth=2
	ds_load_b32 v64, v92 offset:11776
	s_wait_dscnt 0x0
	v_cmp_ne_u32_e64 s28, 0x7fffffff, v64
	s_delay_alu instid0(VALU_DEP_1) | instskip(SKIP_1) | instid1(VALU_DEP_1)
	v_cndmask_b32_e64 v65, 0x80000000, v64, s28
	v_cmp_lt_i32_e64 s28, -1, v64
	v_cndmask_b32_e64 v140, 0x80000000, -1, s28
	s_delay_alu instid0(VALU_DEP_1) | instskip(NEXT) | instid1(VALU_DEP_1)
	v_dual_lshrrev_b32 v65, s48, v65 :: v_dual_bitop2_b32 v64, v140, v64 bitop3:0x14
	v_and_b32_e32 v65, s58, v65
	s_delay_alu instid0(VALU_DEP_1)
	v_lshlrev_b32_e32 v65, 2, v65
	ds_load_b32 v65, v65
	s_wait_dscnt 0x0
	v_add_nc_u32_e32 v65, v65, v77
	global_store_b32 v65, v64, s[38:39] scale_offset
	s_wait_xcnt 0x0
	s_or_b32 exec_lo, exec_lo, s29
	v_cmp_lt_u32_e64 s28, v78, v139
	s_and_saveexec_b32 s30, s28
	s_cbranch_execz .LBB1450_205
.LBB1450_277:                           ;   in Loop: Header=BB1450_108 Depth=2
	ds_load_b32 v64, v92 offset:12800
	s_wait_dscnt 0x0
	v_cmp_ne_u32_e64 s29, 0x7fffffff, v64
	s_delay_alu instid0(VALU_DEP_1) | instskip(SKIP_1) | instid1(VALU_DEP_1)
	v_cndmask_b32_e64 v65, 0x80000000, v64, s29
	v_cmp_lt_i32_e64 s29, -1, v64
	v_cndmask_b32_e64 v140, 0x80000000, -1, s29
	s_delay_alu instid0(VALU_DEP_1) | instskip(NEXT) | instid1(VALU_DEP_1)
	v_dual_lshrrev_b32 v65, s48, v65 :: v_dual_bitop2_b32 v64, v140, v64 bitop3:0x14
	v_and_b32_e32 v65, s58, v65
	s_delay_alu instid0(VALU_DEP_1)
	v_lshlrev_b32_e32 v65, 2, v65
	ds_load_b32 v65, v65
	s_wait_dscnt 0x0
	v_add_nc_u32_e32 v65, v65, v78
	global_store_b32 v65, v64, s[38:39] scale_offset
	s_wait_xcnt 0x0
	s_or_b32 exec_lo, exec_lo, s30
	v_cmp_lt_u32_e64 s29, v79, v139
	s_and_saveexec_b32 s31, s29
	s_cbranch_execz .LBB1450_206
.LBB1450_278:                           ;   in Loop: Header=BB1450_108 Depth=2
	ds_load_b32 v64, v92 offset:13824
	s_wait_dscnt 0x0
	v_cmp_ne_u32_e64 s30, 0x7fffffff, v64
	s_delay_alu instid0(VALU_DEP_1) | instskip(SKIP_1) | instid1(VALU_DEP_1)
	v_cndmask_b32_e64 v65, 0x80000000, v64, s30
	v_cmp_lt_i32_e64 s30, -1, v64
	v_cndmask_b32_e64 v140, 0x80000000, -1, s30
	s_delay_alu instid0(VALU_DEP_1) | instskip(NEXT) | instid1(VALU_DEP_1)
	v_dual_lshrrev_b32 v65, s48, v65 :: v_dual_bitop2_b32 v64, v140, v64 bitop3:0x14
	v_and_b32_e32 v65, s58, v65
	s_delay_alu instid0(VALU_DEP_1)
	v_lshlrev_b32_e32 v65, 2, v65
	ds_load_b32 v65, v65
	s_wait_dscnt 0x0
	v_add_nc_u32_e32 v65, v65, v79
	global_store_b32 v65, v64, s[38:39] scale_offset
	s_wait_xcnt 0x0
	s_or_b32 exec_lo, exec_lo, s31
	v_cmp_lt_u32_e64 s30, v80, v139
	s_and_saveexec_b32 s33, s30
	s_cbranch_execz .LBB1450_207
.LBB1450_279:                           ;   in Loop: Header=BB1450_108 Depth=2
	ds_load_b32 v64, v92 offset:14848
	s_wait_dscnt 0x0
	v_cmp_ne_u32_e64 s31, 0x7fffffff, v64
	s_delay_alu instid0(VALU_DEP_1) | instskip(SKIP_1) | instid1(VALU_DEP_1)
	v_cndmask_b32_e64 v65, 0x80000000, v64, s31
	v_cmp_lt_i32_e64 s31, -1, v64
	v_cndmask_b32_e64 v140, 0x80000000, -1, s31
	s_delay_alu instid0(VALU_DEP_1) | instskip(NEXT) | instid1(VALU_DEP_1)
	v_dual_lshrrev_b32 v65, s48, v65 :: v_dual_bitop2_b32 v64, v140, v64 bitop3:0x14
	v_and_b32_e32 v65, s58, v65
	s_delay_alu instid0(VALU_DEP_1)
	v_lshlrev_b32_e32 v65, 2, v65
	ds_load_b32 v65, v65
	s_wait_dscnt 0x0
	v_add_nc_u32_e32 v65, v65, v80
	global_store_b32 v65, v64, s[38:39] scale_offset
	s_wait_xcnt 0x0
	s_or_b32 exec_lo, exec_lo, s33
	v_cmp_lt_u32_e64 s31, v81, v139
	s_and_saveexec_b32 s34, s31
	s_cbranch_execz .LBB1450_208
.LBB1450_280:                           ;   in Loop: Header=BB1450_108 Depth=2
	ds_load_b32 v64, v92 offset:15872
	s_wait_dscnt 0x0
	v_cmp_ne_u32_e64 s33, 0x7fffffff, v64
	s_delay_alu instid0(VALU_DEP_1) | instskip(SKIP_1) | instid1(VALU_DEP_1)
	v_cndmask_b32_e64 v65, 0x80000000, v64, s33
	v_cmp_lt_i32_e64 s33, -1, v64
	v_cndmask_b32_e64 v140, 0x80000000, -1, s33
	s_delay_alu instid0(VALU_DEP_1) | instskip(NEXT) | instid1(VALU_DEP_1)
	v_dual_lshrrev_b32 v65, s48, v65 :: v_dual_bitop2_b32 v64, v140, v64 bitop3:0x14
	v_and_b32_e32 v65, s58, v65
	s_delay_alu instid0(VALU_DEP_1)
	v_lshlrev_b32_e32 v65, 2, v65
	ds_load_b32 v65, v65
	s_wait_dscnt 0x0
	v_add_nc_u32_e32 v65, v65, v81
	global_store_b32 v65, v64, s[38:39] scale_offset
	s_wait_xcnt 0x0
	s_or_b32 exec_lo, exec_lo, s34
	v_cmp_lt_u32_e64 s33, v82, v139
	s_and_saveexec_b32 s61, s33
	s_cbranch_execnz .LBB1450_209
	s_branch .LBB1450_210
.LBB1450_281:                           ;   in Loop: Header=BB1450_108 Depth=2
	global_load_b64 v[62:63], v[64:65], off
	s_wait_xcnt 0x0
	s_or_b32 exec_lo, exec_lo, s34
	s_delay_alu instid0(SALU_CYCLE_1)
	s_mov_b32 s42, exec_lo
	v_cmpx_lt_u32_e64 v104, v139
	s_cbranch_execz .LBB1450_212
.LBB1450_282:                           ;   in Loop: Header=BB1450_108 Depth=2
	global_load_b64 v[60:61], v[64:65], off offset:256
	s_wait_xcnt 0x0
	s_or_b32 exec_lo, exec_lo, s42
	s_delay_alu instid0(SALU_CYCLE_1)
	s_mov_b32 s42, exec_lo
	v_cmpx_lt_u32_e64 v105, v139
	s_cbranch_execz .LBB1450_213
.LBB1450_283:                           ;   in Loop: Header=BB1450_108 Depth=2
	global_load_b64 v[58:59], v[64:65], off offset:512
	s_wait_xcnt 0x0
	s_or_b32 exec_lo, exec_lo, s42
	s_delay_alu instid0(SALU_CYCLE_1)
	s_mov_b32 s42, exec_lo
	v_cmpx_lt_u32_e64 v106, v139
	s_cbranch_execz .LBB1450_214
.LBB1450_284:                           ;   in Loop: Header=BB1450_108 Depth=2
	global_load_b64 v[56:57], v[64:65], off offset:768
	s_wait_xcnt 0x0
	s_or_b32 exec_lo, exec_lo, s42
	s_delay_alu instid0(SALU_CYCLE_1)
	s_mov_b32 s42, exec_lo
	v_cmpx_lt_u32_e64 v107, v139
	s_cbranch_execz .LBB1450_215
.LBB1450_285:                           ;   in Loop: Header=BB1450_108 Depth=2
	global_load_b64 v[54:55], v[64:65], off offset:1024
	s_wait_xcnt 0x0
	s_or_b32 exec_lo, exec_lo, s42
	s_delay_alu instid0(SALU_CYCLE_1)
	s_mov_b32 s42, exec_lo
	v_cmpx_lt_u32_e64 v108, v139
	s_cbranch_execz .LBB1450_216
.LBB1450_286:                           ;   in Loop: Header=BB1450_108 Depth=2
	global_load_b64 v[52:53], v[64:65], off offset:1280
	s_wait_xcnt 0x0
	s_or_b32 exec_lo, exec_lo, s42
	s_delay_alu instid0(SALU_CYCLE_1)
	s_mov_b32 s42, exec_lo
	v_cmpx_lt_u32_e64 v109, v139
	s_cbranch_execz .LBB1450_217
.LBB1450_287:                           ;   in Loop: Header=BB1450_108 Depth=2
	global_load_b64 v[50:51], v[64:65], off offset:1536
	s_wait_xcnt 0x0
	s_or_b32 exec_lo, exec_lo, s42
	s_delay_alu instid0(SALU_CYCLE_1)
	s_mov_b32 s42, exec_lo
	v_cmpx_lt_u32_e64 v110, v139
	s_cbranch_execz .LBB1450_218
.LBB1450_288:                           ;   in Loop: Header=BB1450_108 Depth=2
	global_load_b64 v[48:49], v[64:65], off offset:1792
	s_wait_xcnt 0x0
	s_or_b32 exec_lo, exec_lo, s42
	s_delay_alu instid0(SALU_CYCLE_1)
	s_mov_b32 s42, exec_lo
	v_cmpx_lt_u32_e64 v111, v139
	s_cbranch_execz .LBB1450_219
.LBB1450_289:                           ;   in Loop: Header=BB1450_108 Depth=2
	global_load_b64 v[46:47], v[64:65], off offset:2048
	s_wait_xcnt 0x0
	s_or_b32 exec_lo, exec_lo, s42
	s_delay_alu instid0(SALU_CYCLE_1)
	s_mov_b32 s42, exec_lo
	v_cmpx_lt_u32_e64 v112, v139
	s_cbranch_execz .LBB1450_220
.LBB1450_290:                           ;   in Loop: Header=BB1450_108 Depth=2
	global_load_b64 v[44:45], v[64:65], off offset:2304
	s_wait_xcnt 0x0
	s_or_b32 exec_lo, exec_lo, s42
	s_delay_alu instid0(SALU_CYCLE_1)
	s_mov_b32 s42, exec_lo
	v_cmpx_lt_u32_e64 v113, v139
	s_cbranch_execz .LBB1450_221
.LBB1450_291:                           ;   in Loop: Header=BB1450_108 Depth=2
	global_load_b64 v[42:43], v[64:65], off offset:2560
	s_wait_xcnt 0x0
	s_or_b32 exec_lo, exec_lo, s42
	s_delay_alu instid0(SALU_CYCLE_1)
	s_mov_b32 s42, exec_lo
	v_cmpx_lt_u32_e64 v114, v139
	s_cbranch_execz .LBB1450_222
.LBB1450_292:                           ;   in Loop: Header=BB1450_108 Depth=2
	global_load_b64 v[40:41], v[64:65], off offset:2816
	s_wait_xcnt 0x0
	s_or_b32 exec_lo, exec_lo, s42
	s_delay_alu instid0(SALU_CYCLE_1)
	s_mov_b32 s42, exec_lo
	v_cmpx_lt_u32_e64 v115, v139
	s_cbranch_execz .LBB1450_223
.LBB1450_293:                           ;   in Loop: Header=BB1450_108 Depth=2
	global_load_b64 v[38:39], v[64:65], off offset:3072
	s_wait_xcnt 0x0
	s_or_b32 exec_lo, exec_lo, s42
	s_delay_alu instid0(SALU_CYCLE_1)
	s_mov_b32 s42, exec_lo
	v_cmpx_lt_u32_e64 v116, v139
	s_cbranch_execz .LBB1450_224
.LBB1450_294:                           ;   in Loop: Header=BB1450_108 Depth=2
	global_load_b64 v[36:37], v[64:65], off offset:3328
	s_wait_xcnt 0x0
	s_or_b32 exec_lo, exec_lo, s42
	s_delay_alu instid0(SALU_CYCLE_1)
	s_mov_b32 s42, exec_lo
	v_cmpx_lt_u32_e64 v117, v139
	s_cbranch_execz .LBB1450_225
.LBB1450_295:                           ;   in Loop: Header=BB1450_108 Depth=2
	global_load_b64 v[34:35], v[64:65], off offset:3584
	s_wait_xcnt 0x0
	s_or_b32 exec_lo, exec_lo, s42
	s_delay_alu instid0(SALU_CYCLE_1)
	s_mov_b32 s42, exec_lo
	v_cmpx_lt_u32_e64 v118, v139
	s_cbranch_execz .LBB1450_226
.LBB1450_296:                           ;   in Loop: Header=BB1450_108 Depth=2
	global_load_b64 v[32:33], v[64:65], off offset:3840
	s_wait_xcnt 0x0
	s_or_b32 exec_lo, exec_lo, s42
	s_delay_alu instid0(SALU_CYCLE_1)
	s_mov_b32 s42, exec_lo
	v_cmpx_lt_u32_e64 v5, v139
	s_cbranch_execz .LBB1450_227
.LBB1450_297:                           ;   in Loop: Header=BB1450_108 Depth=2
	global_load_b64 v[30:31], v[64:65], off offset:4096
	s_wait_xcnt 0x0
	s_or_b32 exec_lo, exec_lo, s42
	s_and_saveexec_b32 s42, vcc_lo
	s_cbranch_execz .LBB1450_228
.LBB1450_298:                           ;   in Loop: Header=BB1450_108 Depth=2
	ds_load_b32 v64, v92 offset:512
	s_wait_dscnt 0x0
	v_cmp_ne_u32_e64 s34, 0x7fffffff, v64
	s_delay_alu instid0(VALU_DEP_1) | instskip(NEXT) | instid1(VALU_DEP_1)
	v_cndmask_b32_e64 v64, 0x80000000, v64, s34
	v_lshrrev_b32_e32 v64, s48, v64
	s_delay_alu instid0(VALU_DEP_1)
	v_and_b32_e32 v137, s58, v64
	s_or_b32 exec_lo, exec_lo, s42
	s_and_saveexec_b32 s42, s17
	s_cbranch_execz .LBB1450_229
.LBB1450_299:                           ;   in Loop: Header=BB1450_108 Depth=2
	ds_load_b32 v64, v92 offset:1536
	s_wait_dscnt 0x0
	v_cmp_ne_u32_e64 s34, 0x7fffffff, v64
	s_delay_alu instid0(VALU_DEP_1) | instskip(NEXT) | instid1(VALU_DEP_1)
	v_cndmask_b32_e64 v64, 0x80000000, v64, s34
	v_lshrrev_b32_e32 v64, s48, v64
	s_delay_alu instid0(VALU_DEP_1)
	v_and_b32_e32 v136, s58, v64
	s_or_b32 exec_lo, exec_lo, s42
	s_and_saveexec_b32 s42, s18
	s_cbranch_execz .LBB1450_230
.LBB1450_300:                           ;   in Loop: Header=BB1450_108 Depth=2
	ds_load_b32 v64, v92 offset:2560
	s_wait_dscnt 0x0
	v_cmp_ne_u32_e64 s34, 0x7fffffff, v64
	s_delay_alu instid0(VALU_DEP_1) | instskip(NEXT) | instid1(VALU_DEP_1)
	v_cndmask_b32_e64 v64, 0x80000000, v64, s34
	v_lshrrev_b32_e32 v64, s48, v64
	s_delay_alu instid0(VALU_DEP_1)
	v_and_b32_e32 v135, s58, v64
	s_or_b32 exec_lo, exec_lo, s42
	s_and_saveexec_b32 s42, s19
	s_cbranch_execz .LBB1450_231
.LBB1450_301:                           ;   in Loop: Header=BB1450_108 Depth=2
	ds_load_b32 v64, v92 offset:3584
	s_wait_dscnt 0x0
	v_cmp_ne_u32_e64 s34, 0x7fffffff, v64
	s_delay_alu instid0(VALU_DEP_1) | instskip(NEXT) | instid1(VALU_DEP_1)
	v_cndmask_b32_e64 v64, 0x80000000, v64, s34
	v_lshrrev_b32_e32 v64, s48, v64
	s_delay_alu instid0(VALU_DEP_1)
	v_and_b32_e32 v134, s58, v64
	s_or_b32 exec_lo, exec_lo, s42
	s_and_saveexec_b32 s42, s20
	s_cbranch_execz .LBB1450_232
.LBB1450_302:                           ;   in Loop: Header=BB1450_108 Depth=2
	ds_load_b32 v64, v92 offset:4608
	s_wait_dscnt 0x0
	v_cmp_ne_u32_e64 s34, 0x7fffffff, v64
	s_delay_alu instid0(VALU_DEP_1) | instskip(NEXT) | instid1(VALU_DEP_1)
	v_cndmask_b32_e64 v64, 0x80000000, v64, s34
	v_lshrrev_b32_e32 v64, s48, v64
	s_delay_alu instid0(VALU_DEP_1)
	v_and_b32_e32 v132, s58, v64
	s_or_b32 exec_lo, exec_lo, s42
	s_and_saveexec_b32 s42, s21
	s_cbranch_execz .LBB1450_233
.LBB1450_303:                           ;   in Loop: Header=BB1450_108 Depth=2
	ds_load_b32 v64, v92 offset:5632
	s_wait_dscnt 0x0
	v_cmp_ne_u32_e64 s34, 0x7fffffff, v64
	s_delay_alu instid0(VALU_DEP_1) | instskip(NEXT) | instid1(VALU_DEP_1)
	v_cndmask_b32_e64 v64, 0x80000000, v64, s34
	v_lshrrev_b32_e32 v64, s48, v64
	s_delay_alu instid0(VALU_DEP_1)
	v_and_b32_e32 v131, s58, v64
	s_or_b32 exec_lo, exec_lo, s42
	s_and_saveexec_b32 s42, s22
	s_cbranch_execz .LBB1450_234
.LBB1450_304:                           ;   in Loop: Header=BB1450_108 Depth=2
	ds_load_b32 v64, v92 offset:6656
	s_wait_dscnt 0x0
	v_cmp_ne_u32_e64 s34, 0x7fffffff, v64
	s_delay_alu instid0(VALU_DEP_1) | instskip(NEXT) | instid1(VALU_DEP_1)
	v_cndmask_b32_e64 v64, 0x80000000, v64, s34
	v_lshrrev_b32_e32 v64, s48, v64
	s_delay_alu instid0(VALU_DEP_1)
	v_and_b32_e32 v130, s58, v64
	s_or_b32 exec_lo, exec_lo, s42
	s_and_saveexec_b32 s42, s23
	s_cbranch_execz .LBB1450_235
.LBB1450_305:                           ;   in Loop: Header=BB1450_108 Depth=2
	ds_load_b32 v64, v92 offset:7680
	s_wait_dscnt 0x0
	v_cmp_ne_u32_e64 s34, 0x7fffffff, v64
	s_delay_alu instid0(VALU_DEP_1) | instskip(NEXT) | instid1(VALU_DEP_1)
	v_cndmask_b32_e64 v64, 0x80000000, v64, s34
	v_lshrrev_b32_e32 v64, s48, v64
	s_delay_alu instid0(VALU_DEP_1)
	v_and_b32_e32 v129, s58, v64
	s_or_b32 exec_lo, exec_lo, s42
	s_and_saveexec_b32 s42, s24
	s_cbranch_execz .LBB1450_236
.LBB1450_306:                           ;   in Loop: Header=BB1450_108 Depth=2
	ds_load_b32 v64, v92 offset:8704
	s_wait_dscnt 0x0
	v_cmp_ne_u32_e64 s34, 0x7fffffff, v64
	s_delay_alu instid0(VALU_DEP_1) | instskip(NEXT) | instid1(VALU_DEP_1)
	v_cndmask_b32_e64 v64, 0x80000000, v64, s34
	v_lshrrev_b32_e32 v64, s48, v64
	s_delay_alu instid0(VALU_DEP_1)
	v_and_b32_e32 v128, s58, v64
	s_or_b32 exec_lo, exec_lo, s42
	s_and_saveexec_b32 s42, s25
	s_cbranch_execz .LBB1450_237
.LBB1450_307:                           ;   in Loop: Header=BB1450_108 Depth=2
	ds_load_b32 v64, v92 offset:9728
	s_wait_dscnt 0x0
	v_cmp_ne_u32_e64 s34, 0x7fffffff, v64
	s_delay_alu instid0(VALU_DEP_1) | instskip(NEXT) | instid1(VALU_DEP_1)
	v_cndmask_b32_e64 v64, 0x80000000, v64, s34
	v_lshrrev_b32_e32 v64, s48, v64
	s_delay_alu instid0(VALU_DEP_1)
	v_and_b32_e32 v127, s58, v64
	s_or_b32 exec_lo, exec_lo, s42
	s_and_saveexec_b32 s42, s26
	s_cbranch_execz .LBB1450_238
.LBB1450_308:                           ;   in Loop: Header=BB1450_108 Depth=2
	ds_load_b32 v64, v92 offset:10752
	s_wait_dscnt 0x0
	v_cmp_ne_u32_e64 s34, 0x7fffffff, v64
	s_delay_alu instid0(VALU_DEP_1) | instskip(NEXT) | instid1(VALU_DEP_1)
	v_cndmask_b32_e64 v64, 0x80000000, v64, s34
	v_lshrrev_b32_e32 v64, s48, v64
	s_delay_alu instid0(VALU_DEP_1)
	v_and_b32_e32 v126, s58, v64
	s_or_b32 exec_lo, exec_lo, s42
	s_and_saveexec_b32 s42, s27
	s_cbranch_execz .LBB1450_239
.LBB1450_309:                           ;   in Loop: Header=BB1450_108 Depth=2
	ds_load_b32 v64, v92 offset:11776
	s_wait_dscnt 0x0
	v_cmp_ne_u32_e64 s34, 0x7fffffff, v64
	s_delay_alu instid0(VALU_DEP_1) | instskip(NEXT) | instid1(VALU_DEP_1)
	v_cndmask_b32_e64 v64, 0x80000000, v64, s34
	v_lshrrev_b32_e32 v64, s48, v64
	s_delay_alu instid0(VALU_DEP_1)
	v_and_b32_e32 v125, s58, v64
	s_or_b32 exec_lo, exec_lo, s42
	s_and_saveexec_b32 s42, s28
	s_cbranch_execz .LBB1450_240
.LBB1450_310:                           ;   in Loop: Header=BB1450_108 Depth=2
	ds_load_b32 v64, v92 offset:12800
	s_wait_dscnt 0x0
	v_cmp_ne_u32_e64 s34, 0x7fffffff, v64
	s_delay_alu instid0(VALU_DEP_1) | instskip(NEXT) | instid1(VALU_DEP_1)
	v_cndmask_b32_e64 v64, 0x80000000, v64, s34
	v_lshrrev_b32_e32 v64, s48, v64
	s_delay_alu instid0(VALU_DEP_1)
	v_and_b32_e32 v124, s58, v64
	s_or_b32 exec_lo, exec_lo, s42
	s_and_saveexec_b32 s42, s29
	s_cbranch_execz .LBB1450_241
.LBB1450_311:                           ;   in Loop: Header=BB1450_108 Depth=2
	ds_load_b32 v64, v92 offset:13824
	s_wait_dscnt 0x0
	v_cmp_ne_u32_e64 s34, 0x7fffffff, v64
	s_delay_alu instid0(VALU_DEP_1) | instskip(NEXT) | instid1(VALU_DEP_1)
	v_cndmask_b32_e64 v64, 0x80000000, v64, s34
	v_lshrrev_b32_e32 v64, s48, v64
	s_delay_alu instid0(VALU_DEP_1)
	v_and_b32_e32 v123, s58, v64
	s_or_b32 exec_lo, exec_lo, s42
	s_and_saveexec_b32 s42, s30
	s_cbranch_execz .LBB1450_242
.LBB1450_312:                           ;   in Loop: Header=BB1450_108 Depth=2
	ds_load_b32 v64, v92 offset:14848
	s_wait_dscnt 0x0
	v_cmp_ne_u32_e64 s34, 0x7fffffff, v64
	s_delay_alu instid0(VALU_DEP_1) | instskip(NEXT) | instid1(VALU_DEP_1)
	v_cndmask_b32_e64 v64, 0x80000000, v64, s34
	v_lshrrev_b32_e32 v64, s48, v64
	s_delay_alu instid0(VALU_DEP_1)
	v_and_b32_e32 v122, s58, v64
	s_or_b32 exec_lo, exec_lo, s42
	s_and_saveexec_b32 s42, s31
	s_cbranch_execz .LBB1450_243
.LBB1450_313:                           ;   in Loop: Header=BB1450_108 Depth=2
	ds_load_b32 v64, v92 offset:15872
	s_wait_dscnt 0x0
	v_cmp_ne_u32_e64 s34, 0x7fffffff, v64
	s_delay_alu instid0(VALU_DEP_1) | instskip(NEXT) | instid1(VALU_DEP_1)
	v_cndmask_b32_e64 v64, 0x80000000, v64, s34
	v_lshrrev_b32_e32 v64, s48, v64
	s_delay_alu instid0(VALU_DEP_1)
	v_and_b32_e32 v121, s58, v64
	s_or_b32 exec_lo, exec_lo, s42
	s_and_saveexec_b32 s42, s33
	s_cbranch_execnz .LBB1450_244
	s_branch .LBB1450_245
.LBB1450_314:                           ;   in Loop: Header=BB1450_108 Depth=2
	v_dual_lshlrev_b32 v64, 2, v137 :: v_dual_add_nc_u32 v65, v92, v4
	ds_load_b32 v66, v64
	ds_load_b64 v[64:65], v65 offset:512
	s_wait_dscnt 0x1
	v_add_nc_u32_e32 v66, v66, v2
	s_wait_dscnt 0x0
	global_store_b64 v66, v[64:65], s[44:45] scale_offset
	s_wait_xcnt 0x0
	s_or_b32 exec_lo, exec_lo, s34
	s_and_saveexec_b32 s34, s17
	s_cbranch_execz .LBB1450_247
.LBB1450_315:                           ;   in Loop: Header=BB1450_108 Depth=2
	v_lshlrev_b32_e32 v64, 2, v136
	v_add_nc_u32_e32 v65, v92, v4
	ds_load_b32 v66, v64
	ds_load_b64 v[64:65], v65 offset:2560
	s_wait_dscnt 0x1
	v_add_nc_u32_e32 v66, v66, v3
	s_wait_dscnt 0x0
	global_store_b64 v66, v[64:65], s[44:45] scale_offset
	s_wait_xcnt 0x0
	s_or_b32 exec_lo, exec_lo, s34
	s_and_saveexec_b32 s17, s18
	s_cbranch_execz .LBB1450_248
.LBB1450_316:                           ;   in Loop: Header=BB1450_108 Depth=2
	v_dual_lshlrev_b32 v64, 2, v135 :: v_dual_add_nc_u32 v65, v92, v4
	ds_load_b32 v66, v64
	ds_load_b64 v[64:65], v65 offset:4608
	s_wait_dscnt 0x1
	v_add_nc_u32_e32 v66, v66, v68
	s_wait_dscnt 0x0
	global_store_b64 v66, v[64:65], s[44:45] scale_offset
	s_wait_xcnt 0x0
	s_or_b32 exec_lo, exec_lo, s17
	s_and_saveexec_b32 s17, s19
	s_cbranch_execz .LBB1450_249
.LBB1450_317:                           ;   in Loop: Header=BB1450_108 Depth=2
	v_dual_lshlrev_b32 v64, 2, v134 :: v_dual_add_nc_u32 v65, v92, v4
	ds_load_b32 v66, v64
	ds_load_b64 v[64:65], v65 offset:6656
	s_wait_dscnt 0x1
	v_add_nc_u32_e32 v66, v66, v69
	s_wait_dscnt 0x0
	global_store_b64 v66, v[64:65], s[44:45] scale_offset
	s_wait_xcnt 0x0
	s_or_b32 exec_lo, exec_lo, s17
	s_and_saveexec_b32 s17, s20
	s_cbranch_execz .LBB1450_250
.LBB1450_318:                           ;   in Loop: Header=BB1450_108 Depth=2
	v_lshlrev_b32_e32 v64, 2, v132
	v_add_nc_u32_e32 v65, v92, v4
	ds_load_b32 v66, v64
	ds_load_b64 v[64:65], v65 offset:8704
	s_wait_dscnt 0x1
	v_add_nc_u32_e32 v66, v66, v70
	s_wait_dscnt 0x0
	global_store_b64 v66, v[64:65], s[44:45] scale_offset
	s_wait_xcnt 0x0
	s_or_b32 exec_lo, exec_lo, s17
	s_and_saveexec_b32 s17, s21
	s_cbranch_execz .LBB1450_251
.LBB1450_319:                           ;   in Loop: Header=BB1450_108 Depth=2
	v_dual_lshlrev_b32 v64, 2, v131 :: v_dual_add_nc_u32 v65, v92, v4
	ds_load_b32 v66, v64
	ds_load_b64 v[64:65], v65 offset:10752
	s_wait_dscnt 0x1
	v_add_nc_u32_e32 v66, v66, v71
	s_wait_dscnt 0x0
	global_store_b64 v66, v[64:65], s[44:45] scale_offset
	s_wait_xcnt 0x0
	s_or_b32 exec_lo, exec_lo, s17
	s_and_saveexec_b32 s17, s22
	s_cbranch_execz .LBB1450_252
.LBB1450_320:                           ;   in Loop: Header=BB1450_108 Depth=2
	v_dual_lshlrev_b32 v64, 2, v130 :: v_dual_add_nc_u32 v65, v92, v4
	ds_load_b32 v66, v64
	ds_load_b64 v[64:65], v65 offset:12800
	s_wait_dscnt 0x1
	v_add_nc_u32_e32 v66, v66, v72
	s_wait_dscnt 0x0
	global_store_b64 v66, v[64:65], s[44:45] scale_offset
	s_wait_xcnt 0x0
	s_or_b32 exec_lo, exec_lo, s17
	s_and_saveexec_b32 s17, s23
	s_cbranch_execz .LBB1450_253
.LBB1450_321:                           ;   in Loop: Header=BB1450_108 Depth=2
	v_dual_lshlrev_b32 v64, 2, v129 :: v_dual_add_nc_u32 v65, v92, v4
	ds_load_b32 v66, v64
	ds_load_b64 v[64:65], v65 offset:14848
	s_wait_dscnt 0x1
	v_add_nc_u32_e32 v66, v66, v73
	s_wait_dscnt 0x0
	global_store_b64 v66, v[64:65], s[44:45] scale_offset
	s_wait_xcnt 0x0
	s_or_b32 exec_lo, exec_lo, s17
	s_and_saveexec_b32 s17, s24
	s_cbranch_execz .LBB1450_254
.LBB1450_322:                           ;   in Loop: Header=BB1450_108 Depth=2
	v_lshlrev_b32_e32 v64, 2, v128
	v_add_nc_u32_e32 v65, v92, v4
	ds_load_b32 v66, v64
	ds_load_b64 v[64:65], v65 offset:16896
	s_wait_dscnt 0x1
	v_add_nc_u32_e32 v66, v66, v74
	s_wait_dscnt 0x0
	global_store_b64 v66, v[64:65], s[44:45] scale_offset
	s_wait_xcnt 0x0
	s_or_b32 exec_lo, exec_lo, s17
	s_and_saveexec_b32 s17, s25
	s_cbranch_execz .LBB1450_255
.LBB1450_323:                           ;   in Loop: Header=BB1450_108 Depth=2
	v_dual_lshlrev_b32 v64, 2, v127 :: v_dual_add_nc_u32 v65, v92, v4
	ds_load_b32 v66, v64
	ds_load_b64 v[64:65], v65 offset:18944
	s_wait_dscnt 0x1
	v_add_nc_u32_e32 v66, v66, v75
	s_wait_dscnt 0x0
	global_store_b64 v66, v[64:65], s[44:45] scale_offset
	s_wait_xcnt 0x0
	s_or_b32 exec_lo, exec_lo, s17
	s_and_saveexec_b32 s17, s26
	s_cbranch_execz .LBB1450_256
.LBB1450_324:                           ;   in Loop: Header=BB1450_108 Depth=2
	v_dual_lshlrev_b32 v64, 2, v126 :: v_dual_add_nc_u32 v65, v92, v4
	ds_load_b32 v66, v64
	ds_load_b64 v[64:65], v65 offset:20992
	s_wait_dscnt 0x1
	v_add_nc_u32_e32 v66, v66, v76
	s_wait_dscnt 0x0
	global_store_b64 v66, v[64:65], s[44:45] scale_offset
	s_wait_xcnt 0x0
	s_or_b32 exec_lo, exec_lo, s17
	s_and_saveexec_b32 s17, s27
	s_cbranch_execz .LBB1450_257
.LBB1450_325:                           ;   in Loop: Header=BB1450_108 Depth=2
	v_dual_lshlrev_b32 v64, 2, v125 :: v_dual_add_nc_u32 v65, v92, v4
	ds_load_b32 v66, v64
	ds_load_b64 v[64:65], v65 offset:23040
	s_wait_dscnt 0x1
	v_add_nc_u32_e32 v66, v66, v77
	s_wait_dscnt 0x0
	global_store_b64 v66, v[64:65], s[44:45] scale_offset
	s_wait_xcnt 0x0
	s_or_b32 exec_lo, exec_lo, s17
	s_and_saveexec_b32 s17, s28
	s_cbranch_execz .LBB1450_258
.LBB1450_326:                           ;   in Loop: Header=BB1450_108 Depth=2
	v_lshlrev_b32_e32 v64, 2, v124
	v_add_nc_u32_e32 v65, v92, v4
	ds_load_b32 v66, v64
	ds_load_b64 v[64:65], v65 offset:25088
	s_wait_dscnt 0x1
	v_add_nc_u32_e32 v66, v66, v78
	s_wait_dscnt 0x0
	global_store_b64 v66, v[64:65], s[44:45] scale_offset
	s_wait_xcnt 0x0
	s_or_b32 exec_lo, exec_lo, s17
	s_and_saveexec_b32 s17, s29
	s_cbranch_execz .LBB1450_259
.LBB1450_327:                           ;   in Loop: Header=BB1450_108 Depth=2
	v_dual_lshlrev_b32 v64, 2, v123 :: v_dual_add_nc_u32 v65, v92, v4
	ds_load_b32 v66, v64
	ds_load_b64 v[64:65], v65 offset:27136
	s_wait_dscnt 0x1
	v_add_nc_u32_e32 v66, v66, v79
	s_wait_dscnt 0x0
	global_store_b64 v66, v[64:65], s[44:45] scale_offset
	s_wait_xcnt 0x0
	s_or_b32 exec_lo, exec_lo, s17
	s_and_saveexec_b32 s17, s30
	s_cbranch_execz .LBB1450_260
.LBB1450_328:                           ;   in Loop: Header=BB1450_108 Depth=2
	v_dual_lshlrev_b32 v64, 2, v122 :: v_dual_add_nc_u32 v65, v92, v4
	ds_load_b32 v66, v64
	ds_load_b64 v[64:65], v65 offset:29184
	s_wait_dscnt 0x1
	v_add_nc_u32_e32 v66, v66, v80
	s_wait_dscnt 0x0
	global_store_b64 v66, v[64:65], s[44:45] scale_offset
	s_wait_xcnt 0x0
	s_or_b32 exec_lo, exec_lo, s17
	s_and_saveexec_b32 s17, s31
	s_cbranch_execz .LBB1450_261
.LBB1450_329:                           ;   in Loop: Header=BB1450_108 Depth=2
	v_dual_lshlrev_b32 v64, 2, v121 :: v_dual_add_nc_u32 v65, v92, v4
	ds_load_b32 v66, v64
	ds_load_b64 v[64:65], v65 offset:31232
	s_wait_dscnt 0x1
	v_add_nc_u32_e32 v66, v66, v81
	s_wait_dscnt 0x0
	global_store_b64 v66, v[64:65], s[44:45] scale_offset
	s_wait_xcnt 0x0
	s_or_b32 exec_lo, exec_lo, s17
	s_and_saveexec_b32 s17, s33
	s_cbranch_execnz .LBB1450_262
	s_branch .LBB1450_263
.LBB1450_330:                           ;   in Loop: Header=BB1450_20 Depth=1
	s_wait_dscnt 0x0
	s_barrier_signal -1
	s_mov_b32 s9, 0
	s_barrier_wait -1
.LBB1450_331:                           ;   in Loop: Header=BB1450_20 Depth=1
	s_and_b32 vcc_lo, exec_lo, s9
	s_cbranch_vccz .LBB1450_641
; %bb.332:                              ;   in Loop: Header=BB1450_20 Depth=1
	s_mov_b32 s9, s57
	s_mov_b32 s42, s55
	s_barrier_signal -1
	s_barrier_wait -1
                                        ; implicit-def: $vgpr25
                                        ; implicit-def: $vgpr26
                                        ; implicit-def: $vgpr27
                                        ; implicit-def: $vgpr28
                                        ; implicit-def: $vgpr29
                                        ; implicit-def: $vgpr30
                                        ; implicit-def: $vgpr31
                                        ; implicit-def: $vgpr32
                                        ; implicit-def: $vgpr33
                                        ; implicit-def: $vgpr34
                                        ; implicit-def: $vgpr35
                                        ; implicit-def: $vgpr36
                                        ; implicit-def: $vgpr37
                                        ; implicit-def: $vgpr38
                                        ; implicit-def: $vgpr39
                                        ; implicit-def: $vgpr40
                                        ; implicit-def: $vgpr41
	s_branch .LBB1450_334
.LBB1450_333:                           ;   in Loop: Header=BB1450_334 Depth=2
	s_or_b32 exec_lo, exec_lo, s10
	s_addk_co_i32 s9, 0xef00
	s_cmp_ge_u32 s12, s54
	s_mov_b32 s42, s12
	s_cbranch_scc1 .LBB1450_406
.LBB1450_334:                           ;   Parent Loop BB1450_20 Depth=1
                                        ; =>  This Inner Loop Header: Depth=2
	s_add_co_i32 s12, s42, 0x1100
	s_mov_b32 s10, -1
	s_cmp_gt_u32 s12, s54
                                        ; implicit-def: $vgpr42
                                        ; implicit-def: $vgpr43
                                        ; implicit-def: $vgpr44
                                        ; implicit-def: $vgpr45
                                        ; implicit-def: $vgpr46
                                        ; implicit-def: $vgpr47
                                        ; implicit-def: $vgpr48
                                        ; implicit-def: $vgpr49
                                        ; implicit-def: $vgpr50
                                        ; implicit-def: $vgpr51
                                        ; implicit-def: $vgpr52
                                        ; implicit-def: $vgpr53
                                        ; implicit-def: $vgpr54
                                        ; implicit-def: $vgpr55
                                        ; implicit-def: $vgpr56
                                        ; implicit-def: $vgpr57
                                        ; implicit-def: $vgpr58
	s_cbranch_scc1 .LBB1450_336
; %bb.335:                              ;   in Loop: Header=BB1450_334 Depth=2
	v_lshl_add_u64 v[60:61], s[42:43], 2, v[20:21]
	s_mov_b32 s10, 0
	s_clause 0x10
	global_load_b32 v42, v[60:61], off
	global_load_b32 v43, v[60:61], off offset:1024
	global_load_b32 v44, v[60:61], off offset:2048
	;; [unrolled: 1-line block ×16, first 2 shown]
.LBB1450_336:                           ;   in Loop: Header=BB1450_334 Depth=2
	s_and_not1_b32 vcc_lo, exec_lo, s10
	s_movk_i32 s10, 0x1100
	s_cbranch_vccnz .LBB1450_356
; %bb.337:                              ;   in Loop: Header=BB1450_334 Depth=2
	s_lshl_b64 s[10:11], s[42:43], 2
	s_mov_b32 s13, exec_lo
	s_add_nc_u64 s[10:11], s[38:39], s[10:11]
	s_wait_xcnt 0x0
	v_cmpx_gt_u32_e64 s9, v2
	s_cbranch_execnz .LBB1450_390
; %bb.338:                              ;   in Loop: Header=BB1450_334 Depth=2
	s_or_b32 exec_lo, exec_lo, s13
	s_delay_alu instid0(SALU_CYCLE_1)
	s_mov_b32 s13, exec_lo
	v_cmpx_gt_u32_e64 s9, v3
	s_cbranch_execnz .LBB1450_391
.LBB1450_339:                           ;   in Loop: Header=BB1450_334 Depth=2
	s_or_b32 exec_lo, exec_lo, s13
	s_delay_alu instid0(SALU_CYCLE_1)
	s_mov_b32 s13, exec_lo
	v_cmpx_gt_u32_e64 s9, v68
	s_cbranch_execnz .LBB1450_392
.LBB1450_340:                           ;   in Loop: Header=BB1450_334 Depth=2
	s_or_b32 exec_lo, exec_lo, s13
	s_delay_alu instid0(SALU_CYCLE_1)
	s_mov_b32 s13, exec_lo
	v_cmpx_gt_u32_e64 s9, v69
	s_cbranch_execnz .LBB1450_393
.LBB1450_341:                           ;   in Loop: Header=BB1450_334 Depth=2
	s_or_b32 exec_lo, exec_lo, s13
	s_delay_alu instid0(SALU_CYCLE_1)
	s_mov_b32 s13, exec_lo
	v_cmpx_gt_u32_e64 s9, v70
	s_cbranch_execnz .LBB1450_394
.LBB1450_342:                           ;   in Loop: Header=BB1450_334 Depth=2
	s_or_b32 exec_lo, exec_lo, s13
	s_delay_alu instid0(SALU_CYCLE_1)
	s_mov_b32 s13, exec_lo
	v_cmpx_gt_u32_e64 s9, v71
	s_cbranch_execnz .LBB1450_395
.LBB1450_343:                           ;   in Loop: Header=BB1450_334 Depth=2
	s_or_b32 exec_lo, exec_lo, s13
	s_delay_alu instid0(SALU_CYCLE_1)
	s_mov_b32 s13, exec_lo
	v_cmpx_gt_u32_e64 s9, v72
	s_cbranch_execnz .LBB1450_396
.LBB1450_344:                           ;   in Loop: Header=BB1450_334 Depth=2
	s_or_b32 exec_lo, exec_lo, s13
	s_delay_alu instid0(SALU_CYCLE_1)
	s_mov_b32 s13, exec_lo
	v_cmpx_gt_u32_e64 s9, v73
	s_cbranch_execnz .LBB1450_397
.LBB1450_345:                           ;   in Loop: Header=BB1450_334 Depth=2
	s_or_b32 exec_lo, exec_lo, s13
	s_delay_alu instid0(SALU_CYCLE_1)
	s_mov_b32 s13, exec_lo
	v_cmpx_gt_u32_e64 s9, v74
	s_cbranch_execnz .LBB1450_398
.LBB1450_346:                           ;   in Loop: Header=BB1450_334 Depth=2
	s_or_b32 exec_lo, exec_lo, s13
	s_delay_alu instid0(SALU_CYCLE_1)
	s_mov_b32 s13, exec_lo
	v_cmpx_gt_u32_e64 s9, v75
	s_cbranch_execnz .LBB1450_399
.LBB1450_347:                           ;   in Loop: Header=BB1450_334 Depth=2
	s_or_b32 exec_lo, exec_lo, s13
	s_delay_alu instid0(SALU_CYCLE_1)
	s_mov_b32 s13, exec_lo
	v_cmpx_gt_u32_e64 s9, v76
	s_cbranch_execnz .LBB1450_400
.LBB1450_348:                           ;   in Loop: Header=BB1450_334 Depth=2
	s_or_b32 exec_lo, exec_lo, s13
	s_delay_alu instid0(SALU_CYCLE_1)
	s_mov_b32 s13, exec_lo
	v_cmpx_gt_u32_e64 s9, v77
	s_cbranch_execnz .LBB1450_401
.LBB1450_349:                           ;   in Loop: Header=BB1450_334 Depth=2
	s_or_b32 exec_lo, exec_lo, s13
	s_delay_alu instid0(SALU_CYCLE_1)
	s_mov_b32 s13, exec_lo
	v_cmpx_gt_u32_e64 s9, v78
	s_cbranch_execnz .LBB1450_402
.LBB1450_350:                           ;   in Loop: Header=BB1450_334 Depth=2
	s_or_b32 exec_lo, exec_lo, s13
	s_delay_alu instid0(SALU_CYCLE_1)
	s_mov_b32 s13, exec_lo
	v_cmpx_gt_u32_e64 s9, v79
	s_cbranch_execnz .LBB1450_403
.LBB1450_351:                           ;   in Loop: Header=BB1450_334 Depth=2
	s_or_b32 exec_lo, exec_lo, s13
	s_delay_alu instid0(SALU_CYCLE_1)
	s_mov_b32 s13, exec_lo
	v_cmpx_gt_u32_e64 s9, v80
	s_cbranch_execnz .LBB1450_404
.LBB1450_352:                           ;   in Loop: Header=BB1450_334 Depth=2
	s_or_b32 exec_lo, exec_lo, s13
	s_delay_alu instid0(SALU_CYCLE_1)
	s_mov_b32 s13, exec_lo
	v_cmpx_gt_u32_e64 s9, v81
	s_cbranch_execnz .LBB1450_405
.LBB1450_353:                           ;   in Loop: Header=BB1450_334 Depth=2
	s_or_b32 exec_lo, exec_lo, s13
	s_delay_alu instid0(SALU_CYCLE_1)
	s_mov_b32 s13, exec_lo
	v_cmpx_gt_u32_e64 s9, v82
	s_cbranch_execz .LBB1450_355
.LBB1450_354:                           ;   in Loop: Header=BB1450_334 Depth=2
	global_load_b32 v25, v2, s[10:11] offset:16384 scale_offset
.LBB1450_355:                           ;   in Loop: Header=BB1450_334 Depth=2
	s_wait_xcnt 0x0
	s_or_b32 exec_lo, exec_lo, s13
	s_wait_loadcnt 0x0
	v_dual_mov_b32 v42, v41 :: v_dual_mov_b32 v43, v40
	v_dual_mov_b32 v44, v39 :: v_dual_mov_b32 v45, v38
	;; [unrolled: 1-line block ×8, first 2 shown]
	v_mov_b32_e32 v58, v25
	s_mov_b32 s10, s9
.LBB1450_356:                           ;   in Loop: Header=BB1450_334 Depth=2
	s_wait_loadcnt 0x0
	s_delay_alu instid0(VALU_DEP_1)
	v_dual_mov_b32 v25, v58 :: v_dual_mov_b32 v26, v57
	v_dual_mov_b32 v27, v56 :: v_dual_mov_b32 v28, v55
	;; [unrolled: 1-line block ×8, first 2 shown]
	v_mov_b32_e32 v41, v42
	s_mov_b32 s11, exec_lo
	s_wait_xcnt 0x0
	v_cmpx_gt_u32_e64 s10, v2
	s_cbranch_execnz .LBB1450_373
; %bb.357:                              ;   in Loop: Header=BB1450_334 Depth=2
	s_or_b32 exec_lo, exec_lo, s11
	s_delay_alu instid0(SALU_CYCLE_1)
	s_mov_b32 s11, exec_lo
	v_cmpx_gt_u32_e64 s10, v3
	s_cbranch_execnz .LBB1450_374
.LBB1450_358:                           ;   in Loop: Header=BB1450_334 Depth=2
	s_or_b32 exec_lo, exec_lo, s11
	s_delay_alu instid0(SALU_CYCLE_1)
	s_mov_b32 s11, exec_lo
	v_cmpx_gt_u32_e64 s10, v68
	s_cbranch_execnz .LBB1450_375
.LBB1450_359:                           ;   in Loop: Header=BB1450_334 Depth=2
	s_or_b32 exec_lo, exec_lo, s11
	s_delay_alu instid0(SALU_CYCLE_1)
	s_mov_b32 s11, exec_lo
	v_cmpx_gt_u32_e64 s10, v69
	s_cbranch_execnz .LBB1450_376
.LBB1450_360:                           ;   in Loop: Header=BB1450_334 Depth=2
	s_or_b32 exec_lo, exec_lo, s11
	s_delay_alu instid0(SALU_CYCLE_1)
	s_mov_b32 s11, exec_lo
	v_cmpx_gt_u32_e64 s10, v70
	s_cbranch_execnz .LBB1450_377
.LBB1450_361:                           ;   in Loop: Header=BB1450_334 Depth=2
	s_or_b32 exec_lo, exec_lo, s11
	s_delay_alu instid0(SALU_CYCLE_1)
	s_mov_b32 s11, exec_lo
	v_cmpx_gt_u32_e64 s10, v71
	s_cbranch_execnz .LBB1450_378
.LBB1450_362:                           ;   in Loop: Header=BB1450_334 Depth=2
	s_or_b32 exec_lo, exec_lo, s11
	s_delay_alu instid0(SALU_CYCLE_1)
	s_mov_b32 s11, exec_lo
	v_cmpx_gt_u32_e64 s10, v72
	s_cbranch_execnz .LBB1450_379
.LBB1450_363:                           ;   in Loop: Header=BB1450_334 Depth=2
	s_or_b32 exec_lo, exec_lo, s11
	s_delay_alu instid0(SALU_CYCLE_1)
	s_mov_b32 s11, exec_lo
	v_cmpx_gt_u32_e64 s10, v73
	s_cbranch_execnz .LBB1450_380
.LBB1450_364:                           ;   in Loop: Header=BB1450_334 Depth=2
	s_or_b32 exec_lo, exec_lo, s11
	s_delay_alu instid0(SALU_CYCLE_1)
	s_mov_b32 s11, exec_lo
	v_cmpx_gt_u32_e64 s10, v74
	s_cbranch_execnz .LBB1450_381
.LBB1450_365:                           ;   in Loop: Header=BB1450_334 Depth=2
	s_or_b32 exec_lo, exec_lo, s11
	s_delay_alu instid0(SALU_CYCLE_1)
	s_mov_b32 s11, exec_lo
	v_cmpx_gt_u32_e64 s10, v75
	s_cbranch_execnz .LBB1450_382
.LBB1450_366:                           ;   in Loop: Header=BB1450_334 Depth=2
	s_or_b32 exec_lo, exec_lo, s11
	s_delay_alu instid0(SALU_CYCLE_1)
	s_mov_b32 s11, exec_lo
	v_cmpx_gt_u32_e64 s10, v76
	s_cbranch_execnz .LBB1450_383
.LBB1450_367:                           ;   in Loop: Header=BB1450_334 Depth=2
	s_or_b32 exec_lo, exec_lo, s11
	s_delay_alu instid0(SALU_CYCLE_1)
	s_mov_b32 s11, exec_lo
	v_cmpx_gt_u32_e64 s10, v77
	s_cbranch_execnz .LBB1450_384
.LBB1450_368:                           ;   in Loop: Header=BB1450_334 Depth=2
	s_or_b32 exec_lo, exec_lo, s11
	s_delay_alu instid0(SALU_CYCLE_1)
	s_mov_b32 s11, exec_lo
	v_cmpx_gt_u32_e64 s10, v78
	s_cbranch_execnz .LBB1450_385
.LBB1450_369:                           ;   in Loop: Header=BB1450_334 Depth=2
	s_or_b32 exec_lo, exec_lo, s11
	s_delay_alu instid0(SALU_CYCLE_1)
	s_mov_b32 s11, exec_lo
	v_cmpx_gt_u32_e64 s10, v79
	s_cbranch_execnz .LBB1450_386
.LBB1450_370:                           ;   in Loop: Header=BB1450_334 Depth=2
	s_or_b32 exec_lo, exec_lo, s11
	s_delay_alu instid0(SALU_CYCLE_1)
	s_mov_b32 s11, exec_lo
	v_cmpx_gt_u32_e64 s10, v80
	s_cbranch_execnz .LBB1450_387
.LBB1450_371:                           ;   in Loop: Header=BB1450_334 Depth=2
	s_or_b32 exec_lo, exec_lo, s11
	s_delay_alu instid0(SALU_CYCLE_1)
	s_mov_b32 s11, exec_lo
	v_cmpx_gt_u32_e64 s10, v81
	s_cbranch_execnz .LBB1450_388
.LBB1450_372:                           ;   in Loop: Header=BB1450_334 Depth=2
	s_or_b32 exec_lo, exec_lo, s11
	v_cmp_gt_u32_e32 vcc_lo, s10, v82
	s_and_saveexec_b32 s10, vcc_lo
	s_cbranch_execz .LBB1450_333
	s_branch .LBB1450_389
.LBB1450_373:                           ;   in Loop: Header=BB1450_334 Depth=2
	v_cmp_lt_i32_e32 vcc_lo, -1, v41
	v_cndmask_b32_e64 v42, -1, 0x80000000, vcc_lo
	s_delay_alu instid0(VALU_DEP_1) | instskip(NEXT) | instid1(VALU_DEP_1)
	v_xor_b32_e32 v42, v42, v41
	v_cmp_ne_u32_e32 vcc_lo, 0x7fffffff, v42
	v_cndmask_b32_e32 v42, 0x80000000, v42, vcc_lo
	s_delay_alu instid0(VALU_DEP_1) | instskip(NEXT) | instid1(VALU_DEP_1)
	v_lshrrev_b32_e32 v42, s48, v42
	v_and_b32_e32 v42, s58, v42
	s_delay_alu instid0(VALU_DEP_1) | instskip(SKIP_2) | instid1(SALU_CYCLE_1)
	v_lshl_or_b32 v42, v42, 4, v84
	ds_add_u32 v42, v96
	s_or_b32 exec_lo, exec_lo, s11
	s_mov_b32 s11, exec_lo
	v_cmpx_gt_u32_e64 s10, v3
	s_cbranch_execz .LBB1450_358
.LBB1450_374:                           ;   in Loop: Header=BB1450_334 Depth=2
	v_cmp_lt_i32_e32 vcc_lo, -1, v40
	v_cndmask_b32_e64 v42, -1, 0x80000000, vcc_lo
	s_delay_alu instid0(VALU_DEP_1) | instskip(NEXT) | instid1(VALU_DEP_1)
	v_xor_b32_e32 v42, v42, v40
	v_cmp_ne_u32_e32 vcc_lo, 0x7fffffff, v42
	v_cndmask_b32_e32 v42, 0x80000000, v42, vcc_lo
	s_delay_alu instid0(VALU_DEP_1) | instskip(NEXT) | instid1(VALU_DEP_1)
	v_lshrrev_b32_e32 v42, s48, v42
	v_and_b32_e32 v42, s58, v42
	s_delay_alu instid0(VALU_DEP_1) | instskip(SKIP_2) | instid1(SALU_CYCLE_1)
	v_lshl_or_b32 v42, v42, 4, v84
	ds_add_u32 v42, v96
	s_or_b32 exec_lo, exec_lo, s11
	s_mov_b32 s11, exec_lo
	v_cmpx_gt_u32_e64 s10, v68
	s_cbranch_execz .LBB1450_359
.LBB1450_375:                           ;   in Loop: Header=BB1450_334 Depth=2
	v_cmp_lt_i32_e32 vcc_lo, -1, v39
	v_cndmask_b32_e64 v42, -1, 0x80000000, vcc_lo
	s_delay_alu instid0(VALU_DEP_1) | instskip(NEXT) | instid1(VALU_DEP_1)
	v_xor_b32_e32 v42, v42, v39
	v_cmp_ne_u32_e32 vcc_lo, 0x7fffffff, v42
	v_cndmask_b32_e32 v42, 0x80000000, v42, vcc_lo
	s_delay_alu instid0(VALU_DEP_1) | instskip(NEXT) | instid1(VALU_DEP_1)
	v_lshrrev_b32_e32 v42, s48, v42
	v_and_b32_e32 v42, s58, v42
	s_delay_alu instid0(VALU_DEP_1) | instskip(SKIP_2) | instid1(SALU_CYCLE_1)
	v_lshl_or_b32 v42, v42, 4, v84
	ds_add_u32 v42, v96
	s_or_b32 exec_lo, exec_lo, s11
	s_mov_b32 s11, exec_lo
	v_cmpx_gt_u32_e64 s10, v69
	s_cbranch_execz .LBB1450_360
.LBB1450_376:                           ;   in Loop: Header=BB1450_334 Depth=2
	v_cmp_lt_i32_e32 vcc_lo, -1, v38
	v_cndmask_b32_e64 v42, -1, 0x80000000, vcc_lo
	s_delay_alu instid0(VALU_DEP_1) | instskip(NEXT) | instid1(VALU_DEP_1)
	v_xor_b32_e32 v42, v42, v38
	v_cmp_ne_u32_e32 vcc_lo, 0x7fffffff, v42
	v_cndmask_b32_e32 v42, 0x80000000, v42, vcc_lo
	s_delay_alu instid0(VALU_DEP_1) | instskip(NEXT) | instid1(VALU_DEP_1)
	v_lshrrev_b32_e32 v42, s48, v42
	v_and_b32_e32 v42, s58, v42
	s_delay_alu instid0(VALU_DEP_1) | instskip(SKIP_2) | instid1(SALU_CYCLE_1)
	v_lshl_or_b32 v42, v42, 4, v84
	ds_add_u32 v42, v96
	s_or_b32 exec_lo, exec_lo, s11
	s_mov_b32 s11, exec_lo
	v_cmpx_gt_u32_e64 s10, v70
	s_cbranch_execz .LBB1450_361
.LBB1450_377:                           ;   in Loop: Header=BB1450_334 Depth=2
	v_cmp_lt_i32_e32 vcc_lo, -1, v37
	v_cndmask_b32_e64 v42, -1, 0x80000000, vcc_lo
	s_delay_alu instid0(VALU_DEP_1) | instskip(NEXT) | instid1(VALU_DEP_1)
	v_xor_b32_e32 v42, v42, v37
	v_cmp_ne_u32_e32 vcc_lo, 0x7fffffff, v42
	v_cndmask_b32_e32 v42, 0x80000000, v42, vcc_lo
	s_delay_alu instid0(VALU_DEP_1) | instskip(NEXT) | instid1(VALU_DEP_1)
	v_lshrrev_b32_e32 v42, s48, v42
	v_and_b32_e32 v42, s58, v42
	s_delay_alu instid0(VALU_DEP_1) | instskip(SKIP_2) | instid1(SALU_CYCLE_1)
	v_lshl_or_b32 v42, v42, 4, v84
	ds_add_u32 v42, v96
	s_or_b32 exec_lo, exec_lo, s11
	s_mov_b32 s11, exec_lo
	v_cmpx_gt_u32_e64 s10, v71
	s_cbranch_execz .LBB1450_362
.LBB1450_378:                           ;   in Loop: Header=BB1450_334 Depth=2
	v_cmp_lt_i32_e32 vcc_lo, -1, v36
	v_cndmask_b32_e64 v42, -1, 0x80000000, vcc_lo
	s_delay_alu instid0(VALU_DEP_1) | instskip(NEXT) | instid1(VALU_DEP_1)
	v_xor_b32_e32 v42, v42, v36
	v_cmp_ne_u32_e32 vcc_lo, 0x7fffffff, v42
	v_cndmask_b32_e32 v42, 0x80000000, v42, vcc_lo
	s_delay_alu instid0(VALU_DEP_1) | instskip(NEXT) | instid1(VALU_DEP_1)
	v_lshrrev_b32_e32 v42, s48, v42
	v_and_b32_e32 v42, s58, v42
	s_delay_alu instid0(VALU_DEP_1) | instskip(SKIP_2) | instid1(SALU_CYCLE_1)
	v_lshl_or_b32 v42, v42, 4, v84
	ds_add_u32 v42, v96
	s_or_b32 exec_lo, exec_lo, s11
	s_mov_b32 s11, exec_lo
	v_cmpx_gt_u32_e64 s10, v72
	s_cbranch_execz .LBB1450_363
.LBB1450_379:                           ;   in Loop: Header=BB1450_334 Depth=2
	v_cmp_lt_i32_e32 vcc_lo, -1, v35
	v_cndmask_b32_e64 v42, -1, 0x80000000, vcc_lo
	s_delay_alu instid0(VALU_DEP_1) | instskip(NEXT) | instid1(VALU_DEP_1)
	v_xor_b32_e32 v42, v42, v35
	v_cmp_ne_u32_e32 vcc_lo, 0x7fffffff, v42
	v_cndmask_b32_e32 v42, 0x80000000, v42, vcc_lo
	s_delay_alu instid0(VALU_DEP_1) | instskip(NEXT) | instid1(VALU_DEP_1)
	v_lshrrev_b32_e32 v42, s48, v42
	v_and_b32_e32 v42, s58, v42
	s_delay_alu instid0(VALU_DEP_1) | instskip(SKIP_2) | instid1(SALU_CYCLE_1)
	v_lshl_or_b32 v42, v42, 4, v84
	ds_add_u32 v42, v96
	s_or_b32 exec_lo, exec_lo, s11
	s_mov_b32 s11, exec_lo
	v_cmpx_gt_u32_e64 s10, v73
	s_cbranch_execz .LBB1450_364
.LBB1450_380:                           ;   in Loop: Header=BB1450_334 Depth=2
	v_cmp_lt_i32_e32 vcc_lo, -1, v34
	v_cndmask_b32_e64 v42, -1, 0x80000000, vcc_lo
	s_delay_alu instid0(VALU_DEP_1) | instskip(NEXT) | instid1(VALU_DEP_1)
	v_xor_b32_e32 v42, v42, v34
	v_cmp_ne_u32_e32 vcc_lo, 0x7fffffff, v42
	v_cndmask_b32_e32 v42, 0x80000000, v42, vcc_lo
	s_delay_alu instid0(VALU_DEP_1) | instskip(NEXT) | instid1(VALU_DEP_1)
	v_lshrrev_b32_e32 v42, s48, v42
	v_and_b32_e32 v42, s58, v42
	s_delay_alu instid0(VALU_DEP_1) | instskip(SKIP_2) | instid1(SALU_CYCLE_1)
	v_lshl_or_b32 v42, v42, 4, v84
	ds_add_u32 v42, v96
	s_or_b32 exec_lo, exec_lo, s11
	s_mov_b32 s11, exec_lo
	v_cmpx_gt_u32_e64 s10, v74
	s_cbranch_execz .LBB1450_365
.LBB1450_381:                           ;   in Loop: Header=BB1450_334 Depth=2
	v_cmp_lt_i32_e32 vcc_lo, -1, v33
	v_cndmask_b32_e64 v42, -1, 0x80000000, vcc_lo
	s_delay_alu instid0(VALU_DEP_1) | instskip(NEXT) | instid1(VALU_DEP_1)
	v_xor_b32_e32 v42, v42, v33
	v_cmp_ne_u32_e32 vcc_lo, 0x7fffffff, v42
	v_cndmask_b32_e32 v42, 0x80000000, v42, vcc_lo
	s_delay_alu instid0(VALU_DEP_1) | instskip(NEXT) | instid1(VALU_DEP_1)
	v_lshrrev_b32_e32 v42, s48, v42
	v_and_b32_e32 v42, s58, v42
	s_delay_alu instid0(VALU_DEP_1) | instskip(SKIP_2) | instid1(SALU_CYCLE_1)
	v_lshl_or_b32 v42, v42, 4, v84
	ds_add_u32 v42, v96
	s_or_b32 exec_lo, exec_lo, s11
	s_mov_b32 s11, exec_lo
	v_cmpx_gt_u32_e64 s10, v75
	s_cbranch_execz .LBB1450_366
.LBB1450_382:                           ;   in Loop: Header=BB1450_334 Depth=2
	v_cmp_lt_i32_e32 vcc_lo, -1, v32
	v_cndmask_b32_e64 v42, -1, 0x80000000, vcc_lo
	s_delay_alu instid0(VALU_DEP_1) | instskip(NEXT) | instid1(VALU_DEP_1)
	v_xor_b32_e32 v42, v42, v32
	v_cmp_ne_u32_e32 vcc_lo, 0x7fffffff, v42
	v_cndmask_b32_e32 v42, 0x80000000, v42, vcc_lo
	s_delay_alu instid0(VALU_DEP_1) | instskip(NEXT) | instid1(VALU_DEP_1)
	v_lshrrev_b32_e32 v42, s48, v42
	v_and_b32_e32 v42, s58, v42
	s_delay_alu instid0(VALU_DEP_1) | instskip(SKIP_2) | instid1(SALU_CYCLE_1)
	v_lshl_or_b32 v42, v42, 4, v84
	ds_add_u32 v42, v96
	s_or_b32 exec_lo, exec_lo, s11
	s_mov_b32 s11, exec_lo
	v_cmpx_gt_u32_e64 s10, v76
	s_cbranch_execz .LBB1450_367
.LBB1450_383:                           ;   in Loop: Header=BB1450_334 Depth=2
	v_cmp_lt_i32_e32 vcc_lo, -1, v31
	v_cndmask_b32_e64 v42, -1, 0x80000000, vcc_lo
	s_delay_alu instid0(VALU_DEP_1) | instskip(NEXT) | instid1(VALU_DEP_1)
	v_xor_b32_e32 v42, v42, v31
	v_cmp_ne_u32_e32 vcc_lo, 0x7fffffff, v42
	v_cndmask_b32_e32 v42, 0x80000000, v42, vcc_lo
	s_delay_alu instid0(VALU_DEP_1) | instskip(NEXT) | instid1(VALU_DEP_1)
	v_lshrrev_b32_e32 v42, s48, v42
	v_and_b32_e32 v42, s58, v42
	s_delay_alu instid0(VALU_DEP_1) | instskip(SKIP_2) | instid1(SALU_CYCLE_1)
	v_lshl_or_b32 v42, v42, 4, v84
	ds_add_u32 v42, v96
	s_or_b32 exec_lo, exec_lo, s11
	s_mov_b32 s11, exec_lo
	v_cmpx_gt_u32_e64 s10, v77
	s_cbranch_execz .LBB1450_368
.LBB1450_384:                           ;   in Loop: Header=BB1450_334 Depth=2
	v_cmp_lt_i32_e32 vcc_lo, -1, v30
	v_cndmask_b32_e64 v42, -1, 0x80000000, vcc_lo
	s_delay_alu instid0(VALU_DEP_1) | instskip(NEXT) | instid1(VALU_DEP_1)
	v_xor_b32_e32 v42, v42, v30
	v_cmp_ne_u32_e32 vcc_lo, 0x7fffffff, v42
	v_cndmask_b32_e32 v42, 0x80000000, v42, vcc_lo
	s_delay_alu instid0(VALU_DEP_1) | instskip(NEXT) | instid1(VALU_DEP_1)
	v_lshrrev_b32_e32 v42, s48, v42
	v_and_b32_e32 v42, s58, v42
	s_delay_alu instid0(VALU_DEP_1) | instskip(SKIP_2) | instid1(SALU_CYCLE_1)
	v_lshl_or_b32 v42, v42, 4, v84
	ds_add_u32 v42, v96
	s_or_b32 exec_lo, exec_lo, s11
	s_mov_b32 s11, exec_lo
	v_cmpx_gt_u32_e64 s10, v78
	s_cbranch_execz .LBB1450_369
.LBB1450_385:                           ;   in Loop: Header=BB1450_334 Depth=2
	v_cmp_lt_i32_e32 vcc_lo, -1, v29
	v_cndmask_b32_e64 v42, -1, 0x80000000, vcc_lo
	s_delay_alu instid0(VALU_DEP_1) | instskip(NEXT) | instid1(VALU_DEP_1)
	v_xor_b32_e32 v42, v42, v29
	v_cmp_ne_u32_e32 vcc_lo, 0x7fffffff, v42
	v_cndmask_b32_e32 v42, 0x80000000, v42, vcc_lo
	s_delay_alu instid0(VALU_DEP_1) | instskip(NEXT) | instid1(VALU_DEP_1)
	v_lshrrev_b32_e32 v42, s48, v42
	v_and_b32_e32 v42, s58, v42
	s_delay_alu instid0(VALU_DEP_1) | instskip(SKIP_2) | instid1(SALU_CYCLE_1)
	v_lshl_or_b32 v42, v42, 4, v84
	ds_add_u32 v42, v96
	s_or_b32 exec_lo, exec_lo, s11
	s_mov_b32 s11, exec_lo
	v_cmpx_gt_u32_e64 s10, v79
	s_cbranch_execz .LBB1450_370
.LBB1450_386:                           ;   in Loop: Header=BB1450_334 Depth=2
	v_cmp_lt_i32_e32 vcc_lo, -1, v28
	v_cndmask_b32_e64 v42, -1, 0x80000000, vcc_lo
	s_delay_alu instid0(VALU_DEP_1) | instskip(NEXT) | instid1(VALU_DEP_1)
	v_xor_b32_e32 v42, v42, v28
	v_cmp_ne_u32_e32 vcc_lo, 0x7fffffff, v42
	v_cndmask_b32_e32 v42, 0x80000000, v42, vcc_lo
	s_delay_alu instid0(VALU_DEP_1) | instskip(NEXT) | instid1(VALU_DEP_1)
	v_lshrrev_b32_e32 v42, s48, v42
	v_and_b32_e32 v42, s58, v42
	s_delay_alu instid0(VALU_DEP_1) | instskip(SKIP_2) | instid1(SALU_CYCLE_1)
	v_lshl_or_b32 v42, v42, 4, v84
	ds_add_u32 v42, v96
	s_or_b32 exec_lo, exec_lo, s11
	s_mov_b32 s11, exec_lo
	v_cmpx_gt_u32_e64 s10, v80
	s_cbranch_execz .LBB1450_371
.LBB1450_387:                           ;   in Loop: Header=BB1450_334 Depth=2
	v_cmp_lt_i32_e32 vcc_lo, -1, v27
	v_cndmask_b32_e64 v42, -1, 0x80000000, vcc_lo
	s_delay_alu instid0(VALU_DEP_1) | instskip(NEXT) | instid1(VALU_DEP_1)
	v_xor_b32_e32 v42, v42, v27
	v_cmp_ne_u32_e32 vcc_lo, 0x7fffffff, v42
	v_cndmask_b32_e32 v42, 0x80000000, v42, vcc_lo
	s_delay_alu instid0(VALU_DEP_1) | instskip(NEXT) | instid1(VALU_DEP_1)
	v_lshrrev_b32_e32 v42, s48, v42
	v_and_b32_e32 v42, s58, v42
	s_delay_alu instid0(VALU_DEP_1) | instskip(SKIP_2) | instid1(SALU_CYCLE_1)
	v_lshl_or_b32 v42, v42, 4, v84
	ds_add_u32 v42, v96
	s_or_b32 exec_lo, exec_lo, s11
	s_mov_b32 s11, exec_lo
	v_cmpx_gt_u32_e64 s10, v81
	s_cbranch_execz .LBB1450_372
.LBB1450_388:                           ;   in Loop: Header=BB1450_334 Depth=2
	v_cmp_lt_i32_e32 vcc_lo, -1, v26
	v_cndmask_b32_e64 v42, -1, 0x80000000, vcc_lo
	s_delay_alu instid0(VALU_DEP_1) | instskip(NEXT) | instid1(VALU_DEP_1)
	v_xor_b32_e32 v42, v42, v26
	v_cmp_ne_u32_e32 vcc_lo, 0x7fffffff, v42
	v_cndmask_b32_e32 v42, 0x80000000, v42, vcc_lo
	s_delay_alu instid0(VALU_DEP_1) | instskip(NEXT) | instid1(VALU_DEP_1)
	v_lshrrev_b32_e32 v42, s48, v42
	v_and_b32_e32 v42, s58, v42
	s_delay_alu instid0(VALU_DEP_1)
	v_lshl_or_b32 v42, v42, 4, v84
	ds_add_u32 v42, v96
	s_or_b32 exec_lo, exec_lo, s11
	v_cmp_gt_u32_e32 vcc_lo, s10, v82
	s_and_saveexec_b32 s10, vcc_lo
	s_cbranch_execz .LBB1450_333
.LBB1450_389:                           ;   in Loop: Header=BB1450_334 Depth=2
	v_cmp_lt_i32_e32 vcc_lo, -1, v25
	v_cndmask_b32_e64 v42, -1, 0x80000000, vcc_lo
	s_delay_alu instid0(VALU_DEP_1) | instskip(NEXT) | instid1(VALU_DEP_1)
	v_xor_b32_e32 v42, v42, v25
	v_cmp_ne_u32_e32 vcc_lo, 0x7fffffff, v42
	v_cndmask_b32_e32 v42, 0x80000000, v42, vcc_lo
	s_delay_alu instid0(VALU_DEP_1) | instskip(NEXT) | instid1(VALU_DEP_1)
	v_lshrrev_b32_e32 v42, s48, v42
	v_and_b32_e32 v42, s58, v42
	s_delay_alu instid0(VALU_DEP_1)
	v_lshl_or_b32 v42, v42, 4, v84
	ds_add_u32 v42, v96
	s_branch .LBB1450_333
.LBB1450_390:                           ;   in Loop: Header=BB1450_334 Depth=2
	global_load_b32 v41, v2, s[10:11] scale_offset
	s_wait_xcnt 0x0
	s_or_b32 exec_lo, exec_lo, s13
	s_delay_alu instid0(SALU_CYCLE_1)
	s_mov_b32 s13, exec_lo
	v_cmpx_gt_u32_e64 s9, v3
	s_cbranch_execz .LBB1450_339
.LBB1450_391:                           ;   in Loop: Header=BB1450_334 Depth=2
	global_load_b32 v40, v2, s[10:11] offset:1024 scale_offset
	s_wait_xcnt 0x0
	s_or_b32 exec_lo, exec_lo, s13
	s_delay_alu instid0(SALU_CYCLE_1)
	s_mov_b32 s13, exec_lo
	v_cmpx_gt_u32_e64 s9, v68
	s_cbranch_execz .LBB1450_340
.LBB1450_392:                           ;   in Loop: Header=BB1450_334 Depth=2
	global_load_b32 v39, v2, s[10:11] offset:2048 scale_offset
	s_wait_xcnt 0x0
	s_or_b32 exec_lo, exec_lo, s13
	s_delay_alu instid0(SALU_CYCLE_1)
	s_mov_b32 s13, exec_lo
	v_cmpx_gt_u32_e64 s9, v69
	s_cbranch_execz .LBB1450_341
.LBB1450_393:                           ;   in Loop: Header=BB1450_334 Depth=2
	global_load_b32 v38, v2, s[10:11] offset:3072 scale_offset
	s_wait_xcnt 0x0
	s_or_b32 exec_lo, exec_lo, s13
	s_delay_alu instid0(SALU_CYCLE_1)
	s_mov_b32 s13, exec_lo
	v_cmpx_gt_u32_e64 s9, v70
	s_cbranch_execz .LBB1450_342
.LBB1450_394:                           ;   in Loop: Header=BB1450_334 Depth=2
	global_load_b32 v37, v2, s[10:11] offset:4096 scale_offset
	s_wait_xcnt 0x0
	s_or_b32 exec_lo, exec_lo, s13
	s_delay_alu instid0(SALU_CYCLE_1)
	s_mov_b32 s13, exec_lo
	v_cmpx_gt_u32_e64 s9, v71
	s_cbranch_execz .LBB1450_343
.LBB1450_395:                           ;   in Loop: Header=BB1450_334 Depth=2
	global_load_b32 v36, v2, s[10:11] offset:5120 scale_offset
	s_wait_xcnt 0x0
	s_or_b32 exec_lo, exec_lo, s13
	s_delay_alu instid0(SALU_CYCLE_1)
	s_mov_b32 s13, exec_lo
	v_cmpx_gt_u32_e64 s9, v72
	s_cbranch_execz .LBB1450_344
.LBB1450_396:                           ;   in Loop: Header=BB1450_334 Depth=2
	global_load_b32 v35, v2, s[10:11] offset:6144 scale_offset
	s_wait_xcnt 0x0
	s_or_b32 exec_lo, exec_lo, s13
	s_delay_alu instid0(SALU_CYCLE_1)
	s_mov_b32 s13, exec_lo
	v_cmpx_gt_u32_e64 s9, v73
	s_cbranch_execz .LBB1450_345
.LBB1450_397:                           ;   in Loop: Header=BB1450_334 Depth=2
	global_load_b32 v34, v2, s[10:11] offset:7168 scale_offset
	s_wait_xcnt 0x0
	s_or_b32 exec_lo, exec_lo, s13
	s_delay_alu instid0(SALU_CYCLE_1)
	s_mov_b32 s13, exec_lo
	v_cmpx_gt_u32_e64 s9, v74
	s_cbranch_execz .LBB1450_346
.LBB1450_398:                           ;   in Loop: Header=BB1450_334 Depth=2
	global_load_b32 v33, v2, s[10:11] offset:8192 scale_offset
	s_wait_xcnt 0x0
	s_or_b32 exec_lo, exec_lo, s13
	s_delay_alu instid0(SALU_CYCLE_1)
	s_mov_b32 s13, exec_lo
	v_cmpx_gt_u32_e64 s9, v75
	s_cbranch_execz .LBB1450_347
.LBB1450_399:                           ;   in Loop: Header=BB1450_334 Depth=2
	global_load_b32 v32, v2, s[10:11] offset:9216 scale_offset
	s_wait_xcnt 0x0
	s_or_b32 exec_lo, exec_lo, s13
	s_delay_alu instid0(SALU_CYCLE_1)
	s_mov_b32 s13, exec_lo
	v_cmpx_gt_u32_e64 s9, v76
	s_cbranch_execz .LBB1450_348
.LBB1450_400:                           ;   in Loop: Header=BB1450_334 Depth=2
	global_load_b32 v31, v2, s[10:11] offset:10240 scale_offset
	s_wait_xcnt 0x0
	s_or_b32 exec_lo, exec_lo, s13
	s_delay_alu instid0(SALU_CYCLE_1)
	s_mov_b32 s13, exec_lo
	v_cmpx_gt_u32_e64 s9, v77
	s_cbranch_execz .LBB1450_349
.LBB1450_401:                           ;   in Loop: Header=BB1450_334 Depth=2
	global_load_b32 v30, v2, s[10:11] offset:11264 scale_offset
	s_wait_xcnt 0x0
	s_or_b32 exec_lo, exec_lo, s13
	s_delay_alu instid0(SALU_CYCLE_1)
	s_mov_b32 s13, exec_lo
	v_cmpx_gt_u32_e64 s9, v78
	s_cbranch_execz .LBB1450_350
.LBB1450_402:                           ;   in Loop: Header=BB1450_334 Depth=2
	global_load_b32 v29, v2, s[10:11] offset:12288 scale_offset
	s_wait_xcnt 0x0
	s_or_b32 exec_lo, exec_lo, s13
	s_delay_alu instid0(SALU_CYCLE_1)
	s_mov_b32 s13, exec_lo
	v_cmpx_gt_u32_e64 s9, v79
	s_cbranch_execz .LBB1450_351
.LBB1450_403:                           ;   in Loop: Header=BB1450_334 Depth=2
	global_load_b32 v28, v2, s[10:11] offset:13312 scale_offset
	s_wait_xcnt 0x0
	s_or_b32 exec_lo, exec_lo, s13
	s_delay_alu instid0(SALU_CYCLE_1)
	s_mov_b32 s13, exec_lo
	v_cmpx_gt_u32_e64 s9, v80
	s_cbranch_execz .LBB1450_352
.LBB1450_404:                           ;   in Loop: Header=BB1450_334 Depth=2
	global_load_b32 v27, v2, s[10:11] offset:14336 scale_offset
	s_wait_xcnt 0x0
	s_or_b32 exec_lo, exec_lo, s13
	s_delay_alu instid0(SALU_CYCLE_1)
	s_mov_b32 s13, exec_lo
	v_cmpx_gt_u32_e64 s9, v81
	s_cbranch_execz .LBB1450_353
.LBB1450_405:                           ;   in Loop: Header=BB1450_334 Depth=2
	global_load_b32 v26, v2, s[10:11] offset:15360 scale_offset
	s_wait_xcnt 0x0
	s_or_b32 exec_lo, exec_lo, s13
	s_delay_alu instid0(SALU_CYCLE_1)
	s_mov_b32 s13, exec_lo
	v_cmpx_gt_u32_e64 s9, v82
	s_cbranch_execnz .LBB1450_354
	s_branch .LBB1450_355
.LBB1450_406:                           ;   in Loop: Header=BB1450_20 Depth=1
	v_mov_b32_e32 v25, 0
	s_wait_dscnt 0x0
	s_barrier_signal -1
	s_barrier_wait -1
	s_and_saveexec_b32 s9, s0
	s_cbranch_execz .LBB1450_408
; %bb.407:                              ;   in Loop: Header=BB1450_20 Depth=1
	ds_load_2addr_b64 v[26:29], v85 offset1:1
	s_wait_dscnt 0x0
	v_add_nc_u32_e32 v25, v27, v26
	s_delay_alu instid0(VALU_DEP_1)
	v_add3_u32 v25, v25, v28, v29
.LBB1450_408:                           ;   in Loop: Header=BB1450_20 Depth=1
	s_or_b32 exec_lo, exec_lo, s9
	s_delay_alu instid0(VALU_DEP_1)
	v_mov_b32_dpp v26, v25 row_shr:1 row_mask:0xf bank_mask:0xf
	v_cmp_eq_u32_e64 s9, 0, v97
	v_cmp_lt_u32_e64 s10, 1, v97
	v_cmp_lt_u32_e64 s11, 3, v97
	;; [unrolled: 1-line block ×3, first 2 shown]
	v_cmp_eq_u32_e64 s13, 0, v99
	v_cndmask_b32_e64 v26, v26, 0, s9
	s_delay_alu instid0(VALU_DEP_1) | instskip(NEXT) | instid1(VALU_DEP_1)
	v_add_nc_u32_e32 v25, v26, v25
	v_mov_b32_dpp v26, v25 row_shr:2 row_mask:0xf bank_mask:0xf
	s_delay_alu instid0(VALU_DEP_1) | instskip(NEXT) | instid1(VALU_DEP_1)
	v_cndmask_b32_e64 v26, 0, v26, s10
	v_add_nc_u32_e32 v25, v25, v26
	s_delay_alu instid0(VALU_DEP_1) | instskip(NEXT) | instid1(VALU_DEP_1)
	v_mov_b32_dpp v26, v25 row_shr:4 row_mask:0xf bank_mask:0xf
	v_cndmask_b32_e64 v26, 0, v26, s11
	s_delay_alu instid0(VALU_DEP_1) | instskip(NEXT) | instid1(VALU_DEP_1)
	v_add_nc_u32_e32 v25, v25, v26
	v_mov_b32_dpp v26, v25 row_shr:8 row_mask:0xf bank_mask:0xf
	s_delay_alu instid0(VALU_DEP_1) | instskip(NEXT) | instid1(VALU_DEP_1)
	v_cndmask_b32_e64 v26, 0, v26, s12
	v_add_nc_u32_e32 v25, v25, v26
	ds_swizzle_b32 v26, v25 offset:swizzle(BROADCAST,32,15)
	s_wait_dscnt 0x0
	v_and_b32_e32 v26, v98, v26
	s_delay_alu instid0(VALU_DEP_1)
	v_add_nc_u32_e32 v25, v25, v26
	s_and_saveexec_b32 s14, s1
; %bb.409:                              ;   in Loop: Header=BB1450_20 Depth=1
	ds_store_b32 v86, v25
; %bb.410:                              ;   in Loop: Header=BB1450_20 Depth=1
	s_or_b32 exec_lo, exec_lo, s14
	s_wait_dscnt 0x0
	s_barrier_signal -1
	s_barrier_wait -1
	s_and_saveexec_b32 s14, s4
	s_cbranch_execz .LBB1450_412
; %bb.411:                              ;   in Loop: Header=BB1450_20 Depth=1
	ds_load_b32 v26, v87
	v_cmp_ne_u32_e32 vcc_lo, 0, v100
	s_wait_dscnt 0x0
	v_mov_b32_dpp v27, v26 row_shr:1 row_mask:0xf bank_mask:0xf
	s_delay_alu instid0(VALU_DEP_1) | instskip(SKIP_1) | instid1(VALU_DEP_2)
	v_cndmask_b32_e32 v27, 0, v27, vcc_lo
	v_cmp_lt_u32_e32 vcc_lo, 1, v100
	v_add_nc_u32_e32 v26, v27, v26
	s_delay_alu instid0(VALU_DEP_1) | instskip(NEXT) | instid1(VALU_DEP_1)
	v_mov_b32_dpp v27, v26 row_shr:2 row_mask:0xf bank_mask:0xf
	v_cndmask_b32_e32 v27, 0, v27, vcc_lo
	s_delay_alu instid0(VALU_DEP_1)
	v_add_nc_u32_e32 v26, v26, v27
	ds_store_b32 v87, v26
.LBB1450_412:                           ;   in Loop: Header=BB1450_20 Depth=1
	s_or_b32 exec_lo, exec_lo, s14
	v_mov_b32_e32 v26, 0
	s_wait_dscnt 0x0
	s_barrier_signal -1
	s_barrier_wait -1
	s_and_saveexec_b32 s14, s5
; %bb.413:                              ;   in Loop: Header=BB1450_20 Depth=1
	ds_load_b32 v26, v88
; %bb.414:                              ;   in Loop: Header=BB1450_20 Depth=1
	s_or_b32 exec_lo, exec_lo, s14
	v_cmp_gt_i32_e32 vcc_lo, 0, v102
	s_wait_dscnt 0x0
	s_barrier_signal -1
	s_barrier_wait -1
	v_cndmask_b32_e32 v27, v102, v95, vcc_lo
	s_delay_alu instid0(VALU_DEP_1)
	v_dual_add_nc_u32 v25, v26, v25 :: v_dual_lshlrev_b32 v119, 2, v27
	ds_bpermute_b32 v25, v119, v25
	s_and_saveexec_b32 s14, s0
	s_cbranch_execz .LBB1450_416
; %bb.415:                              ;   in Loop: Header=BB1450_20 Depth=1
	s_wait_dscnt 0x0
	v_cndmask_b32_e64 v25, v25, v26, s8
	s_delay_alu instid0(VALU_DEP_1)
	v_add_nc_u32_e32 v25, s55, v25
	ds_store_b32 v4, v25
.LBB1450_416:                           ;   in Loop: Header=BB1450_20 Depth=1
	s_or_b32 exec_lo, exec_lo, s14
	s_load_b64 s[14:15], s[52:53], 0x0
	s_mov_b32 s59, s57
                                        ; implicit-def: $vgpr32_vgpr33
                                        ; implicit-def: $vgpr34_vgpr35
                                        ; implicit-def: $vgpr36_vgpr37
                                        ; implicit-def: $vgpr38_vgpr39
                                        ; implicit-def: $vgpr40_vgpr41
                                        ; implicit-def: $vgpr42_vgpr43
                                        ; implicit-def: $vgpr44_vgpr45
                                        ; implicit-def: $vgpr46_vgpr47
                                        ; implicit-def: $vgpr48_vgpr49
                                        ; implicit-def: $vgpr50_vgpr51
                                        ; implicit-def: $vgpr52_vgpr53
                                        ; implicit-def: $vgpr54_vgpr55
                                        ; implicit-def: $vgpr56_vgpr57
                                        ; implicit-def: $vgpr58_vgpr59
                                        ; implicit-def: $vgpr60_vgpr61
                                        ; implicit-def: $vgpr62_vgpr63
                                        ; implicit-def: $vgpr120
                                        ; implicit-def: $vgpr121
                                        ; implicit-def: $vgpr122
                                        ; implicit-def: $vgpr123
                                        ; implicit-def: $vgpr124
                                        ; implicit-def: $vgpr125
                                        ; implicit-def: $vgpr126
                                        ; implicit-def: $vgpr127
                                        ; implicit-def: $vgpr128
                                        ; implicit-def: $vgpr129
                                        ; implicit-def: $vgpr130
                                        ; implicit-def: $vgpr131
                                        ; implicit-def: $vgpr132
                                        ; implicit-def: $vgpr134
                                        ; implicit-def: $vgpr135
                                        ; implicit-def: $vgpr136
                                        ; implicit-def: $vgpr137
                                        ; implicit-def: $vgpr133
                                        ; implicit-def: $vgpr138
	s_wait_kmcnt 0x0
	s_cmp_lt_u32 s51, s14
	s_cselect_b32 s42, 12, 18
	s_cmp_lt_u32 s35, s15
	s_mov_b32 s15, s43
	s_cselect_b32 s14, 14, 20
	s_delay_alu instid0(SALU_CYCLE_1)
	s_add_nc_u64 s[14:15], s[52:53], s[14:15]
	s_load_u16 s16, s[14:15], 0x0
	s_wait_xcnt 0x0
	s_add_nc_u64 s[14:15], s[52:53], s[42:43]
	s_mov_b32 s42, s55
	s_load_u16 s14, s[14:15], 0x0
	s_wait_xcnt 0x0
	v_cmp_lt_u32_e64 s15, 1, v103
	s_wait_dscnt 0x0
	s_wait_kmcnt 0x0
	v_mad_u32_u24 v25, v89, s16, v91
	v_cmp_lt_u32_e64 s16, 3, v103
	s_delay_alu instid0(VALU_DEP_2) | instskip(SKIP_2) | instid1(VALU_DEP_3)
	v_mad_u32 v26, v25, s14, v2
	v_mov_b32_e32 v25, v1
	v_cmp_eq_u32_e64 s14, 0, v103
	v_lshrrev_b32_e32 v30, 3, v26
	v_add_nc_u64_e32 v[26:27], v[10:11], v[0:1]
	s_delay_alu instid0(VALU_DEP_4) | instskip(NEXT) | instid1(VALU_DEP_3)
	v_add_nc_u64_e32 v[28:29], v[12:13], v[24:25]
	v_and_b32_e32 v25, 0x1ffffffc, v30
                                        ; implicit-def: $vgpr30_vgpr31
	s_branch .LBB1450_418
.LBB1450_417:                           ;   in Loop: Header=BB1450_418 Depth=2
	s_or_b32 exec_lo, exec_lo, s17
	s_addk_co_i32 s59, 0xef00
	s_cmp_lt_u32 s60, s54
	s_mov_b32 s42, s60
	s_cbranch_scc0 .LBB1450_640
.LBB1450_418:                           ;   Parent Loop BB1450_20 Depth=1
                                        ; =>  This Inner Loop Header: Depth=2
	s_add_co_i32 s60, s42, 0x1100
	s_delay_alu instid0(SALU_CYCLE_1)
	s_cmp_gt_u32 s60, s54
	s_cbranch_scc1 .LBB1450_420
; %bb.419:                              ;   in Loop: Header=BB1450_418 Depth=2
	s_delay_alu instid0(VALU_DEP_2)
	v_lshl_add_u64 v[64:65], s[42:43], 2, v[28:29]
	s_mov_b32 s17, -1
	s_clause 0xf
	global_load_b32 v140, v[64:65], off
	global_load_b32 v142, v[64:65], off offset:128
	global_load_b32 v144, v[64:65], off offset:256
	;; [unrolled: 1-line block ×15, first 2 shown]
	s_movk_i32 s18, 0x1100
	s_cbranch_execz .LBB1450_421
	s_branch .LBB1450_454
.LBB1450_420:                           ;   in Loop: Header=BB1450_418 Depth=2
	s_mov_b32 s17, 0
                                        ; implicit-def: $vgpr140
                                        ; implicit-def: $vgpr142
                                        ; implicit-def: $vgpr144
                                        ; implicit-def: $vgpr148
                                        ; implicit-def: $vgpr153
                                        ; implicit-def: $vgpr158
                                        ; implicit-def: $vgpr163
                                        ; implicit-def: $vgpr168
                                        ; implicit-def: $vgpr173
                                        ; implicit-def: $vgpr171
                                        ; implicit-def: $vgpr166
                                        ; implicit-def: $vgpr161
                                        ; implicit-def: $vgpr157
                                        ; implicit-def: $vgpr152
                                        ; implicit-def: $vgpr67
                                        ; implicit-def: $vgpr66
	s_movk_i32 s18, 0x1100
.LBB1450_421:                           ;   in Loop: Header=BB1450_418 Depth=2
	s_wait_xcnt 0x0
	v_lshl_add_u64 v[64:65], s[42:43], 2, v[28:29]
	s_wait_loadcnt 0xe
	v_bfrev_b32_e32 v142, -2
	v_bfrev_b32_e32 v140, -2
	s_mov_b32 s17, exec_lo
	v_cmpx_gt_u32_e64 s59, v101
	s_cbranch_execz .LBB1450_423
; %bb.422:                              ;   in Loop: Header=BB1450_418 Depth=2
	global_load_b32 v140, v[64:65], off
.LBB1450_423:                           ;   in Loop: Header=BB1450_418 Depth=2
	s_wait_xcnt 0x0
	s_or_b32 exec_lo, exec_lo, s17
	s_delay_alu instid0(SALU_CYCLE_1)
	s_mov_b32 s17, exec_lo
	v_cmpx_gt_u32_e64 s59, v104
	s_cbranch_execz .LBB1450_425
; %bb.424:                              ;   in Loop: Header=BB1450_418 Depth=2
	global_load_b32 v142, v[64:65], off offset:128
.LBB1450_425:                           ;   in Loop: Header=BB1450_418 Depth=2
	s_wait_xcnt 0x0
	s_or_b32 exec_lo, exec_lo, s17
	s_wait_loadcnt 0xc
	v_bfrev_b32_e32 v148, -2
	v_bfrev_b32_e32 v144, -2
	s_mov_b32 s17, exec_lo
	v_cmpx_gt_u32_e64 s59, v105
	s_cbranch_execz .LBB1450_427
; %bb.426:                              ;   in Loop: Header=BB1450_418 Depth=2
	global_load_b32 v144, v[64:65], off offset:256
.LBB1450_427:                           ;   in Loop: Header=BB1450_418 Depth=2
	s_wait_xcnt 0x0
	s_or_b32 exec_lo, exec_lo, s17
	s_delay_alu instid0(SALU_CYCLE_1)
	s_mov_b32 s17, exec_lo
	v_cmpx_gt_u32_e64 s59, v106
	s_cbranch_execz .LBB1450_429
; %bb.428:                              ;   in Loop: Header=BB1450_418 Depth=2
	global_load_b32 v148, v[64:65], off offset:384
.LBB1450_429:                           ;   in Loop: Header=BB1450_418 Depth=2
	s_wait_xcnt 0x0
	s_or_b32 exec_lo, exec_lo, s17
	s_wait_loadcnt 0xa
	v_bfrev_b32_e32 v158, -2
	v_bfrev_b32_e32 v153, -2
	s_mov_b32 s17, exec_lo
	v_cmpx_gt_u32_e64 s59, v107
	s_cbranch_execz .LBB1450_431
; %bb.430:                              ;   in Loop: Header=BB1450_418 Depth=2
	global_load_b32 v153, v[64:65], off offset:512
.LBB1450_431:                           ;   in Loop: Header=BB1450_418 Depth=2
	;; [unrolled: 20-line block ×7, first 2 shown]
	s_wait_xcnt 0x0
	s_or_b32 exec_lo, exec_lo, s17
	s_delay_alu instid0(SALU_CYCLE_1)
	s_mov_b32 s17, exec_lo
	v_cmpx_gt_u32_e64 s59, v118
	s_cbranch_execz .LBB1450_453
; %bb.452:                              ;   in Loop: Header=BB1450_418 Depth=2
	global_load_b32 v66, v[64:65], off offset:1920
.LBB1450_453:                           ;   in Loop: Header=BB1450_418 Depth=2
	s_wait_xcnt 0x0
	s_or_b32 exec_lo, exec_lo, s17
	v_cmp_gt_u32_e64 s17, s59, v5
	s_sub_co_i32 s18, s54, s42
.LBB1450_454:                           ;   in Loop: Header=BB1450_418 Depth=2
	s_wait_xcnt 0x0
	v_bfrev_b32_e32 v64, -2
	v_mov_b32_e32 v139, s59
	s_and_saveexec_b32 s19, s17
	s_cbranch_execz .LBB1450_456
; %bb.455:                              ;   in Loop: Header=BB1450_418 Depth=2
	v_lshl_add_u64 v[64:65], s[42:43], 2, v[28:29]
	v_mov_b32_e32 v139, s18
	global_load_b32 v64, v[64:65], off offset:2048
.LBB1450_456:                           ;   in Loop: Header=BB1450_418 Depth=2
	s_wait_xcnt 0x0
	s_or_b32 exec_lo, exec_lo, s19
	s_wait_loadcnt 0xf
	v_cmp_lt_i32_e32 vcc_lo, -1, v140
	ds_store_2addr_b32 v90, v1, v1 offset0:136 offset1:137
	ds_store_2addr_b32 v90, v1, v1 offset0:138 offset1:139
	ds_store_b32 v90, v1 offset:560
	s_wait_loadcnt_dscnt 0x0
	s_barrier_signal -1
	s_barrier_wait -1
	v_cndmask_b32_e64 v65, -1, 0x80000000, vcc_lo
	; wave barrier
	s_delay_alu instid0(VALU_DEP_1) | instskip(NEXT) | instid1(VALU_DEP_1)
	v_xor_b32_e32 v140, v65, v140
	v_cmp_ne_u32_e32 vcc_lo, 0x7fffffff, v140
	v_cndmask_b32_e32 v65, 0x80000000, v140, vcc_lo
	s_delay_alu instid0(VALU_DEP_1) | instskip(NEXT) | instid1(VALU_DEP_1)
	v_lshrrev_b32_e32 v65, s48, v65
	v_bitop3_b32 v141, v65, 1, s58 bitop3:0x80
	v_and_b32_e32 v143, s58, v65
	s_delay_alu instid0(VALU_DEP_2) | instskip(NEXT) | instid1(VALU_DEP_1)
	v_add_co_u32 v65, s17, v141, -1
	v_cndmask_b32_e64 v141, 0, 1, s17
	s_delay_alu instid0(VALU_DEP_3) | instskip(SKIP_1) | instid1(VALU_DEP_3)
	v_dual_lshlrev_b32 v145, 30, v143 :: v_dual_lshlrev_b32 v147, 28, v143
	v_lshlrev_b32_e32 v146, 29, v143
	v_cmp_ne_u32_e32 vcc_lo, 0, v141
	s_delay_alu instid0(VALU_DEP_3) | instskip(SKIP_1) | instid1(VALU_DEP_4)
	v_cmp_gt_i32_e64 s17, 0, v145
	v_not_b32_e32 v141, v145
	v_cmp_gt_i32_e64 s18, 0, v146
	v_not_b32_e32 v145, v146
	v_not_b32_e32 v146, v147
	v_cmp_gt_i32_e64 s19, 0, v147
	v_ashrrev_i32_e32 v141, 31, v141
	v_bitop3_b32 v65, vcc_lo, exec_lo, v65 bitop3:0x48
	s_delay_alu instid0(VALU_DEP_4) | instskip(SKIP_2) | instid1(VALU_DEP_3)
	v_dual_ashrrev_i32 v146, 31, v146 :: v_dual_lshlrev_b32 v149, 27, v143
	v_dual_lshlrev_b32 v150, 26, v143 :: v_dual_lshlrev_b32 v151, 25, v143
	v_mul_u32_u24_e32 v143, 36, v143
	v_xor_b32_e32 v146, s19, v146
	s_delay_alu instid0(VALU_DEP_4)
	v_not_b32_e32 v147, v149
	v_ashrrev_i32_e32 v145, 31, v145
	v_cmp_gt_i32_e64 s20, 0, v149
	v_cmp_gt_i32_e64 s21, 0, v150
	v_not_b32_e32 v149, v150
	v_not_b32_e32 v150, v151
	v_dual_ashrrev_i32 v147, 31, v147 :: v_dual_bitop2_b32 v141, s17, v141 bitop3:0x14
	v_dual_add_nc_u32 v143, v25, v143 :: v_dual_bitop2_b32 v145, s18, v145 bitop3:0x14
	v_cmp_gt_i32_e64 s22, 0, v151
	s_delay_alu instid0(VALU_DEP_4) | instskip(NEXT) | instid1(VALU_DEP_4)
	v_dual_ashrrev_i32 v149, 31, v149 :: v_dual_ashrrev_i32 v150, 31, v150
	v_xor_b32_e32 v147, s20, v147
	s_delay_alu instid0(VALU_DEP_4) | instskip(NEXT) | instid1(VALU_DEP_3)
	v_bitop3_b32 v65, v65, v145, v141 bitop3:0x80
	v_xor_b32_e32 v141, s21, v149
	s_delay_alu instid0(VALU_DEP_4) | instskip(NEXT) | instid1(VALU_DEP_3)
	v_xor_b32_e32 v145, s22, v150
	v_bitop3_b32 v65, v65, v147, v146 bitop3:0x80
	s_delay_alu instid0(VALU_DEP_1) | instskip(NEXT) | instid1(VALU_DEP_1)
	v_bitop3_b32 v65, v65, v145, v141 bitop3:0x80
	v_mbcnt_lo_u32_b32 v141, v65, 0
	v_cmp_ne_u32_e64 s17, 0, v65
	s_delay_alu instid0(VALU_DEP_2) | instskip(SKIP_1) | instid1(SALU_CYCLE_1)
	v_cmp_eq_u32_e32 vcc_lo, 0, v141
	s_and_b32 s18, s17, vcc_lo
	s_and_saveexec_b32 s17, s18
; %bb.457:                              ;   in Loop: Header=BB1450_418 Depth=2
	v_bcnt_u32_b32 v65, v65, 0
	ds_store_b32 v143, v65 offset:544
; %bb.458:                              ;   in Loop: Header=BB1450_418 Depth=2
	s_or_b32 exec_lo, exec_lo, s17
	v_cmp_lt_i32_e32 vcc_lo, -1, v142
	; wave barrier
	v_cndmask_b32_e64 v65, -1, 0x80000000, vcc_lo
	s_delay_alu instid0(VALU_DEP_1) | instskip(NEXT) | instid1(VALU_DEP_1)
	v_xor_b32_e32 v142, v65, v142
	v_cmp_ne_u32_e32 vcc_lo, 0x7fffffff, v142
	v_cndmask_b32_e32 v65, 0x80000000, v142, vcc_lo
	s_delay_alu instid0(VALU_DEP_1) | instskip(NEXT) | instid1(VALU_DEP_1)
	v_lshrrev_b32_e32 v65, s48, v65
	v_bitop3_b32 v145, v65, 1, s58 bitop3:0x80
	v_and_b32_e32 v147, s58, v65
	s_delay_alu instid0(VALU_DEP_2) | instskip(NEXT) | instid1(VALU_DEP_1)
	v_add_co_u32 v65, s17, v145, -1
	v_cndmask_b32_e64 v145, 0, 1, s17
	s_delay_alu instid0(VALU_DEP_3) | instskip(NEXT) | instid1(VALU_DEP_2)
	v_dual_lshlrev_b32 v146, 30, v147 :: v_dual_lshlrev_b32 v149, 29, v147
	v_cmp_ne_u32_e32 vcc_lo, 0, v145
	s_delay_alu instid0(VALU_DEP_2) | instskip(SKIP_1) | instid1(VALU_DEP_4)
	v_cmp_gt_i32_e64 s17, 0, v146
	v_not_b32_e32 v145, v146
	v_not_b32_e32 v146, v149
	v_bitop3_b32 v65, vcc_lo, exec_lo, v65 bitop3:0x48
	s_delay_alu instid0(VALU_DEP_2) | instskip(SKIP_3) | instid1(VALU_DEP_3)
	v_dual_ashrrev_i32 v145, 31, v145 :: v_dual_ashrrev_i32 v146, 31, v146
	v_dual_lshlrev_b32 v150, 28, v147 :: v_dual_lshlrev_b32 v151, 27, v147
	v_dual_lshlrev_b32 v154, 26, v147 :: v_dual_lshlrev_b32 v155, 25, v147
	v_cmp_gt_i32_e64 s18, 0, v149
	v_cmp_gt_i32_e64 s19, 0, v150
	v_not_b32_e32 v149, v150
	v_not_b32_e32 v150, v151
	v_cmp_gt_i32_e64 s20, 0, v151
	v_cmp_gt_i32_e64 s21, 0, v154
	v_not_b32_e32 v151, v154
	v_not_b32_e32 v154, v155
	v_dual_ashrrev_i32 v149, 31, v149 :: v_dual_ashrrev_i32 v150, 31, v150
	s_delay_alu instid0(VALU_DEP_3) | instskip(SKIP_2) | instid1(VALU_DEP_4)
	v_dual_ashrrev_i32 v151, 31, v151 :: v_dual_bitop2_b32 v145, s17, v145 bitop3:0x14
	v_xor_b32_e32 v146, s18, v146
	v_cmp_gt_i32_e64 s22, 0, v155
	v_dual_ashrrev_i32 v154, 31, v154 :: v_dual_bitop2_b32 v149, s19, v149 bitop3:0x14
	v_xor_b32_e32 v150, s20, v150
	s_delay_alu instid0(VALU_DEP_4)
	v_bitop3_b32 v65, v65, v146, v145 bitop3:0x80
	v_mad_u32_u24 v145, v147, 36, v25
	v_xor_b32_e32 v146, s21, v151
	v_xor_b32_e32 v151, s22, v154
	v_mul_u32_u24_e32 v147, 36, v147
	v_bitop3_b32 v65, v65, v150, v149 bitop3:0x80
	ds_load_b32 v145, v145 offset:544
	; wave barrier
	v_add_nc_u32_e32 v147, v25, v147
	v_bitop3_b32 v65, v65, v151, v146 bitop3:0x80
	s_delay_alu instid0(VALU_DEP_1) | instskip(SKIP_1) | instid1(VALU_DEP_2)
	v_mbcnt_lo_u32_b32 v146, v65, 0
	v_cmp_ne_u32_e64 s17, 0, v65
	v_cmp_eq_u32_e32 vcc_lo, 0, v146
	s_and_b32 s18, s17, vcc_lo
	s_delay_alu instid0(SALU_CYCLE_1)
	s_and_saveexec_b32 s17, s18
	s_cbranch_execz .LBB1450_460
; %bb.459:                              ;   in Loop: Header=BB1450_418 Depth=2
	s_wait_dscnt 0x0
	v_bcnt_u32_b32 v65, v65, v145
	ds_store_b32 v147, v65 offset:544
.LBB1450_460:                           ;   in Loop: Header=BB1450_418 Depth=2
	s_or_b32 exec_lo, exec_lo, s17
	v_cmp_lt_i32_e32 vcc_lo, -1, v144
	; wave barrier
	v_cndmask_b32_e64 v65, -1, 0x80000000, vcc_lo
	s_delay_alu instid0(VALU_DEP_1) | instskip(NEXT) | instid1(VALU_DEP_1)
	v_xor_b32_e32 v144, v65, v144
	v_cmp_ne_u32_e32 vcc_lo, 0x7fffffff, v144
	v_cndmask_b32_e32 v65, 0x80000000, v144, vcc_lo
	s_delay_alu instid0(VALU_DEP_1) | instskip(NEXT) | instid1(VALU_DEP_1)
	v_lshrrev_b32_e32 v65, s48, v65
	v_bitop3_b32 v149, v65, 1, s58 bitop3:0x80
	v_and_b32_e32 v151, s58, v65
	s_delay_alu instid0(VALU_DEP_2) | instskip(NEXT) | instid1(VALU_DEP_1)
	v_add_co_u32 v65, s17, v149, -1
	v_cndmask_b32_e64 v149, 0, 1, s17
	s_delay_alu instid0(VALU_DEP_3) | instskip(NEXT) | instid1(VALU_DEP_2)
	v_dual_lshlrev_b32 v150, 30, v151 :: v_dual_lshlrev_b32 v154, 29, v151
	v_cmp_ne_u32_e32 vcc_lo, 0, v149
	s_delay_alu instid0(VALU_DEP_2) | instskip(SKIP_1) | instid1(VALU_DEP_4)
	v_cmp_gt_i32_e64 s17, 0, v150
	v_not_b32_e32 v149, v150
	v_not_b32_e32 v150, v154
	v_bitop3_b32 v65, vcc_lo, exec_lo, v65 bitop3:0x48
	s_delay_alu instid0(VALU_DEP_2) | instskip(SKIP_3) | instid1(VALU_DEP_3)
	v_dual_ashrrev_i32 v149, 31, v149 :: v_dual_ashrrev_i32 v150, 31, v150
	v_dual_lshlrev_b32 v155, 28, v151 :: v_dual_lshlrev_b32 v156, 27, v151
	v_dual_lshlrev_b32 v159, 26, v151 :: v_dual_lshlrev_b32 v160, 25, v151
	v_cmp_gt_i32_e64 s18, 0, v154
	v_cmp_gt_i32_e64 s19, 0, v155
	v_not_b32_e32 v154, v155
	v_not_b32_e32 v155, v156
	v_cmp_gt_i32_e64 s20, 0, v156
	v_cmp_gt_i32_e64 s21, 0, v159
	v_not_b32_e32 v156, v159
	v_not_b32_e32 v159, v160
	v_dual_ashrrev_i32 v154, 31, v154 :: v_dual_ashrrev_i32 v155, 31, v155
	s_delay_alu instid0(VALU_DEP_3) | instskip(NEXT) | instid1(VALU_DEP_3)
	v_dual_ashrrev_i32 v156, 31, v156 :: v_dual_bitop2_b32 v149, s17, v149 bitop3:0x14
	v_dual_ashrrev_i32 v159, 31, v159 :: v_dual_bitop2_b32 v150, s18, v150 bitop3:0x14
	v_cmp_gt_i32_e64 s22, 0, v160
	s_delay_alu instid0(VALU_DEP_4) | instskip(NEXT) | instid1(VALU_DEP_3)
	v_xor_b32_e32 v155, s20, v155
	v_bitop3_b32 v65, v65, v150, v149 bitop3:0x80
	v_mad_u32_u24 v149, v151, 36, v25
	v_mul_u32_u24_e32 v151, 36, v151
	v_xor_b32_e32 v154, s19, v154
	v_xor_b32_e32 v150, s21, v156
	;; [unrolled: 1-line block ×3, first 2 shown]
	ds_load_b32 v149, v149 offset:544
	v_add_nc_u32_e32 v151, v25, v151
	v_bitop3_b32 v65, v65, v155, v154 bitop3:0x80
	; wave barrier
	s_delay_alu instid0(VALU_DEP_1) | instskip(NEXT) | instid1(VALU_DEP_1)
	v_bitop3_b32 v65, v65, v156, v150 bitop3:0x80
	v_mbcnt_lo_u32_b32 v150, v65, 0
	v_cmp_ne_u32_e64 s17, 0, v65
	s_delay_alu instid0(VALU_DEP_2) | instskip(SKIP_1) | instid1(SALU_CYCLE_1)
	v_cmp_eq_u32_e32 vcc_lo, 0, v150
	s_and_b32 s18, s17, vcc_lo
	s_and_saveexec_b32 s17, s18
	s_cbranch_execz .LBB1450_462
; %bb.461:                              ;   in Loop: Header=BB1450_418 Depth=2
	s_wait_dscnt 0x0
	v_bcnt_u32_b32 v65, v65, v149
	ds_store_b32 v151, v65 offset:544
.LBB1450_462:                           ;   in Loop: Header=BB1450_418 Depth=2
	s_or_b32 exec_lo, exec_lo, s17
	v_cmp_lt_i32_e32 vcc_lo, -1, v148
	; wave barrier
	v_cndmask_b32_e64 v65, -1, 0x80000000, vcc_lo
	s_delay_alu instid0(VALU_DEP_1) | instskip(NEXT) | instid1(VALU_DEP_1)
	v_xor_b32_e32 v148, v65, v148
	v_cmp_ne_u32_e32 vcc_lo, 0x7fffffff, v148
	v_cndmask_b32_e32 v65, 0x80000000, v148, vcc_lo
	s_delay_alu instid0(VALU_DEP_1) | instskip(NEXT) | instid1(VALU_DEP_1)
	v_lshrrev_b32_e32 v65, s48, v65
	v_bitop3_b32 v154, v65, 1, s58 bitop3:0x80
	v_and_b32_e32 v156, s58, v65
	s_delay_alu instid0(VALU_DEP_2) | instskip(NEXT) | instid1(VALU_DEP_1)
	v_add_co_u32 v65, s17, v154, -1
	v_cndmask_b32_e64 v154, 0, 1, s17
	s_delay_alu instid0(VALU_DEP_3) | instskip(NEXT) | instid1(VALU_DEP_2)
	v_dual_lshlrev_b32 v155, 30, v156 :: v_dual_lshlrev_b32 v159, 29, v156
	v_cmp_ne_u32_e32 vcc_lo, 0, v154
	s_delay_alu instid0(VALU_DEP_2) | instskip(SKIP_1) | instid1(VALU_DEP_4)
	v_cmp_gt_i32_e64 s17, 0, v155
	v_not_b32_e32 v154, v155
	v_not_b32_e32 v155, v159
	v_cmp_gt_i32_e64 s18, 0, v159
	v_bitop3_b32 v65, vcc_lo, exec_lo, v65 bitop3:0x48
	s_delay_alu instid0(VALU_DEP_3) | instskip(SKIP_2) | instid1(VALU_DEP_2)
	v_dual_ashrrev_i32 v154, 31, v154 :: v_dual_ashrrev_i32 v155, 31, v155
	v_dual_lshlrev_b32 v160, 28, v156 :: v_dual_lshlrev_b32 v162, 27, v156
	v_dual_lshlrev_b32 v164, 26, v156 :: v_dual_lshlrev_b32 v165, 25, v156
	v_cmp_gt_i32_e64 s19, 0, v160
	v_not_b32_e32 v159, v160
	s_delay_alu instid0(VALU_DEP_4)
	v_not_b32_e32 v160, v162
	v_cmp_gt_i32_e64 s20, 0, v162
	v_cmp_gt_i32_e64 s21, 0, v164
	v_not_b32_e32 v162, v164
	v_not_b32_e32 v164, v165
	v_dual_ashrrev_i32 v159, 31, v159 :: v_dual_ashrrev_i32 v160, 31, v160
	v_xor_b32_e32 v154, s17, v154
	s_delay_alu instid0(VALU_DEP_4) | instskip(SKIP_3) | instid1(VALU_DEP_4)
	v_dual_ashrrev_i32 v162, 31, v162 :: v_dual_bitop2_b32 v155, s18, v155 bitop3:0x14
	v_cmp_gt_i32_e64 s22, 0, v165
	v_ashrrev_i32_e32 v164, 31, v164
	v_xor_b32_e32 v160, s20, v160
	v_bitop3_b32 v65, v65, v155, v154 bitop3:0x80
	v_mad_u32_u24 v154, v156, 36, v25
	v_mul_u32_u24_e32 v156, 36, v156
	v_xor_b32_e32 v159, s19, v159
	v_xor_b32_e32 v155, s21, v162
	;; [unrolled: 1-line block ×3, first 2 shown]
	ds_load_b32 v154, v154 offset:544
	v_add_nc_u32_e32 v156, v25, v156
	v_bitop3_b32 v65, v65, v160, v159 bitop3:0x80
	; wave barrier
	s_delay_alu instid0(VALU_DEP_1) | instskip(NEXT) | instid1(VALU_DEP_1)
	v_bitop3_b32 v65, v65, v162, v155 bitop3:0x80
	v_mbcnt_lo_u32_b32 v155, v65, 0
	v_cmp_ne_u32_e64 s17, 0, v65
	s_delay_alu instid0(VALU_DEP_2) | instskip(SKIP_1) | instid1(SALU_CYCLE_1)
	v_cmp_eq_u32_e32 vcc_lo, 0, v155
	s_and_b32 s18, s17, vcc_lo
	s_and_saveexec_b32 s17, s18
	s_cbranch_execz .LBB1450_464
; %bb.463:                              ;   in Loop: Header=BB1450_418 Depth=2
	s_wait_dscnt 0x0
	v_bcnt_u32_b32 v65, v65, v154
	ds_store_b32 v156, v65 offset:544
.LBB1450_464:                           ;   in Loop: Header=BB1450_418 Depth=2
	s_or_b32 exec_lo, exec_lo, s17
	v_cmp_lt_i32_e32 vcc_lo, -1, v153
	; wave barrier
	v_cndmask_b32_e64 v65, -1, 0x80000000, vcc_lo
	s_delay_alu instid0(VALU_DEP_1) | instskip(NEXT) | instid1(VALU_DEP_1)
	v_xor_b32_e32 v153, v65, v153
	v_cmp_ne_u32_e32 vcc_lo, 0x7fffffff, v153
	v_cndmask_b32_e32 v65, 0x80000000, v153, vcc_lo
	s_delay_alu instid0(VALU_DEP_1) | instskip(NEXT) | instid1(VALU_DEP_1)
	v_lshrrev_b32_e32 v65, s48, v65
	v_and_b32_e32 v162, s58, v65
	s_delay_alu instid0(VALU_DEP_1) | instskip(SKIP_2) | instid1(VALU_DEP_3)
	v_lshlrev_b32_e32 v165, 28, v162
	v_bitop3_b32 v159, v65, 1, s58 bitop3:0x80
	v_lshlrev_b32_e32 v160, 30, v162
	v_cmp_gt_i32_e64 s19, 0, v165
	s_delay_alu instid0(VALU_DEP_3) | instskip(NEXT) | instid1(VALU_DEP_1)
	v_add_co_u32 v65, s17, v159, -1
	v_cndmask_b32_e64 v159, 0, 1, s17
	s_delay_alu instid0(VALU_DEP_4) | instskip(NEXT) | instid1(VALU_DEP_2)
	v_cmp_gt_i32_e64 s17, 0, v160
	v_cmp_ne_u32_e32 vcc_lo, 0, v159
	v_not_b32_e32 v159, v160
	v_bitop3_b32 v65, vcc_lo, exec_lo, v65 bitop3:0x48
	s_delay_alu instid0(VALU_DEP_2) | instskip(SKIP_1) | instid1(VALU_DEP_2)
	v_dual_ashrrev_i32 v159, 31, v159 :: v_dual_lshlrev_b32 v164, 29, v162
	v_dual_lshlrev_b32 v167, 27, v162 :: v_dual_lshlrev_b32 v169, 26, v162
	v_not_b32_e32 v160, v164
	v_lshlrev_b32_e32 v170, 25, v162
	v_cmp_gt_i32_e64 s18, 0, v164
	v_not_b32_e32 v164, v165
	v_not_b32_e32 v165, v167
	v_ashrrev_i32_e32 v160, 31, v160
	v_cmp_gt_i32_e64 s20, 0, v167
	v_cmp_gt_i32_e64 s21, 0, v169
	v_not_b32_e32 v167, v169
	v_not_b32_e32 v169, v170
	v_dual_ashrrev_i32 v164, 31, v164 :: v_dual_ashrrev_i32 v165, 31, v165
	v_xor_b32_e32 v159, s17, v159
	s_delay_alu instid0(VALU_DEP_4) | instskip(SKIP_3) | instid1(VALU_DEP_4)
	v_dual_ashrrev_i32 v167, 31, v167 :: v_dual_bitop2_b32 v160, s18, v160 bitop3:0x14
	v_cmp_gt_i32_e64 s22, 0, v170
	v_ashrrev_i32_e32 v169, 31, v169
	v_xor_b32_e32 v165, s20, v165
	v_bitop3_b32 v65, v65, v160, v159 bitop3:0x80
	v_mad_u32_u24 v159, v162, 36, v25
	v_mul_u32_u24_e32 v162, 36, v162
	v_xor_b32_e32 v164, s19, v164
	v_xor_b32_e32 v160, s21, v167
	;; [unrolled: 1-line block ×3, first 2 shown]
	ds_load_b32 v159, v159 offset:544
	v_add_nc_u32_e32 v162, v25, v162
	v_bitop3_b32 v65, v65, v165, v164 bitop3:0x80
	; wave barrier
	s_delay_alu instid0(VALU_DEP_1) | instskip(NEXT) | instid1(VALU_DEP_1)
	v_bitop3_b32 v65, v65, v167, v160 bitop3:0x80
	v_mbcnt_lo_u32_b32 v160, v65, 0
	v_cmp_ne_u32_e64 s17, 0, v65
	s_delay_alu instid0(VALU_DEP_2) | instskip(SKIP_1) | instid1(SALU_CYCLE_1)
	v_cmp_eq_u32_e32 vcc_lo, 0, v160
	s_and_b32 s18, s17, vcc_lo
	s_and_saveexec_b32 s17, s18
	s_cbranch_execz .LBB1450_466
; %bb.465:                              ;   in Loop: Header=BB1450_418 Depth=2
	s_wait_dscnt 0x0
	v_bcnt_u32_b32 v65, v65, v159
	ds_store_b32 v162, v65 offset:544
.LBB1450_466:                           ;   in Loop: Header=BB1450_418 Depth=2
	s_or_b32 exec_lo, exec_lo, s17
	v_cmp_lt_i32_e32 vcc_lo, -1, v158
	; wave barrier
	v_cndmask_b32_e64 v65, -1, 0x80000000, vcc_lo
	s_delay_alu instid0(VALU_DEP_1) | instskip(NEXT) | instid1(VALU_DEP_1)
	v_xor_b32_e32 v158, v65, v158
	v_cmp_ne_u32_e32 vcc_lo, 0x7fffffff, v158
	v_cndmask_b32_e32 v65, 0x80000000, v158, vcc_lo
	s_delay_alu instid0(VALU_DEP_1) | instskip(NEXT) | instid1(VALU_DEP_1)
	v_lshrrev_b32_e32 v65, s48, v65
	v_bitop3_b32 v164, v65, 1, s58 bitop3:0x80
	v_and_b32_e32 v167, s58, v65
	s_delay_alu instid0(VALU_DEP_2) | instskip(NEXT) | instid1(VALU_DEP_1)
	v_add_co_u32 v65, s17, v164, -1
	v_cndmask_b32_e64 v164, 0, 1, s17
	s_delay_alu instid0(VALU_DEP_3) | instskip(NEXT) | instid1(VALU_DEP_2)
	v_lshlrev_b32_e32 v165, 30, v167
	v_cmp_ne_u32_e32 vcc_lo, 0, v164
	s_delay_alu instid0(VALU_DEP_2) | instskip(SKIP_1) | instid1(VALU_DEP_2)
	v_not_b32_e32 v164, v165
	v_bitop3_b32 v65, vcc_lo, exec_lo, v65 bitop3:0x48
	v_dual_ashrrev_i32 v164, 31, v164 :: v_dual_lshlrev_b32 v169, 29, v167
	v_dual_lshlrev_b32 v170, 28, v167 :: v_dual_lshlrev_b32 v172, 27, v167
	v_lshlrev_b32_e32 v174, 26, v167
	v_cmp_gt_i32_e64 s17, 0, v165
	s_delay_alu instid0(VALU_DEP_4)
	v_not_b32_e32 v165, v169
	v_lshlrev_b32_e32 v175, 25, v167
	v_cmp_gt_i32_e64 s18, 0, v169
	v_cmp_gt_i32_e64 s19, 0, v170
	v_not_b32_e32 v169, v170
	v_not_b32_e32 v170, v172
	v_ashrrev_i32_e32 v165, 31, v165
	v_cmp_gt_i32_e64 s20, 0, v172
	v_cmp_gt_i32_e64 s21, 0, v174
	v_not_b32_e32 v172, v174
	v_not_b32_e32 v174, v175
	v_dual_ashrrev_i32 v169, 31, v169 :: v_dual_ashrrev_i32 v170, 31, v170
	v_xor_b32_e32 v164, s17, v164
	s_delay_alu instid0(VALU_DEP_4) | instskip(SKIP_3) | instid1(VALU_DEP_4)
	v_dual_ashrrev_i32 v172, 31, v172 :: v_dual_bitop2_b32 v165, s18, v165 bitop3:0x14
	v_cmp_gt_i32_e64 s22, 0, v175
	v_ashrrev_i32_e32 v174, 31, v174
	v_xor_b32_e32 v170, s20, v170
	v_bitop3_b32 v65, v65, v165, v164 bitop3:0x80
	v_mad_u32_u24 v164, v167, 36, v25
	v_mul_u32_u24_e32 v167, 36, v167
	v_xor_b32_e32 v169, s19, v169
	v_xor_b32_e32 v165, s21, v172
	;; [unrolled: 1-line block ×3, first 2 shown]
	ds_load_b32 v164, v164 offset:544
	v_add_nc_u32_e32 v167, v25, v167
	v_bitop3_b32 v65, v65, v170, v169 bitop3:0x80
	; wave barrier
	s_delay_alu instid0(VALU_DEP_1) | instskip(NEXT) | instid1(VALU_DEP_1)
	v_bitop3_b32 v65, v65, v172, v165 bitop3:0x80
	v_mbcnt_lo_u32_b32 v165, v65, 0
	v_cmp_ne_u32_e64 s17, 0, v65
	s_delay_alu instid0(VALU_DEP_2) | instskip(SKIP_1) | instid1(SALU_CYCLE_1)
	v_cmp_eq_u32_e32 vcc_lo, 0, v165
	s_and_b32 s18, s17, vcc_lo
	s_and_saveexec_b32 s17, s18
	s_cbranch_execz .LBB1450_468
; %bb.467:                              ;   in Loop: Header=BB1450_418 Depth=2
	s_wait_dscnt 0x0
	v_bcnt_u32_b32 v65, v65, v164
	ds_store_b32 v167, v65 offset:544
.LBB1450_468:                           ;   in Loop: Header=BB1450_418 Depth=2
	s_or_b32 exec_lo, exec_lo, s17
	v_cmp_lt_i32_e32 vcc_lo, -1, v163
	; wave barrier
	v_cndmask_b32_e64 v65, -1, 0x80000000, vcc_lo
	s_delay_alu instid0(VALU_DEP_1) | instskip(NEXT) | instid1(VALU_DEP_1)
	v_xor_b32_e32 v163, v65, v163
	v_cmp_ne_u32_e32 vcc_lo, 0x7fffffff, v163
	v_cndmask_b32_e32 v65, 0x80000000, v163, vcc_lo
	s_delay_alu instid0(VALU_DEP_1) | instskip(NEXT) | instid1(VALU_DEP_1)
	v_lshrrev_b32_e32 v65, s48, v65
	v_bitop3_b32 v169, v65, 1, s58 bitop3:0x80
	v_and_b32_e32 v172, s58, v65
	s_delay_alu instid0(VALU_DEP_2) | instskip(NEXT) | instid1(VALU_DEP_1)
	v_add_co_u32 v65, s17, v169, -1
	v_cndmask_b32_e64 v169, 0, 1, s17
	s_delay_alu instid0(VALU_DEP_3) | instskip(NEXT) | instid1(VALU_DEP_2)
	v_dual_lshlrev_b32 v170, 30, v172 :: v_dual_lshlrev_b32 v174, 29, v172
	v_cmp_ne_u32_e32 vcc_lo, 0, v169
	s_delay_alu instid0(VALU_DEP_2) | instskip(SKIP_1) | instid1(VALU_DEP_4)
	v_cmp_gt_i32_e64 s17, 0, v170
	v_not_b32_e32 v169, v170
	v_not_b32_e32 v170, v174
	v_bitop3_b32 v65, vcc_lo, exec_lo, v65 bitop3:0x48
	s_delay_alu instid0(VALU_DEP_2) | instskip(SKIP_3) | instid1(VALU_DEP_3)
	v_dual_ashrrev_i32 v169, 31, v169 :: v_dual_ashrrev_i32 v170, 31, v170
	v_dual_lshlrev_b32 v175, 28, v172 :: v_dual_lshlrev_b32 v176, 27, v172
	v_dual_lshlrev_b32 v177, 26, v172 :: v_dual_lshlrev_b32 v178, 25, v172
	v_cmp_gt_i32_e64 s18, 0, v174
	v_cmp_gt_i32_e64 s19, 0, v175
	v_not_b32_e32 v174, v175
	v_not_b32_e32 v175, v176
	v_cmp_gt_i32_e64 s20, 0, v176
	v_cmp_gt_i32_e64 s21, 0, v177
	v_not_b32_e32 v176, v177
	v_not_b32_e32 v177, v178
	v_dual_ashrrev_i32 v174, 31, v174 :: v_dual_ashrrev_i32 v175, 31, v175
	s_delay_alu instid0(VALU_DEP_3) | instskip(NEXT) | instid1(VALU_DEP_3)
	v_dual_ashrrev_i32 v176, 31, v176 :: v_dual_bitop2_b32 v169, s17, v169 bitop3:0x14
	v_dual_ashrrev_i32 v177, 31, v177 :: v_dual_bitop2_b32 v170, s18, v170 bitop3:0x14
	v_cmp_gt_i32_e64 s22, 0, v178
	s_delay_alu instid0(VALU_DEP_4) | instskip(NEXT) | instid1(VALU_DEP_3)
	v_xor_b32_e32 v175, s20, v175
	v_bitop3_b32 v65, v65, v170, v169 bitop3:0x80
	v_mad_u32_u24 v169, v172, 36, v25
	v_mul_u32_u24_e32 v172, 36, v172
	v_xor_b32_e32 v174, s19, v174
	v_xor_b32_e32 v170, s21, v176
	;; [unrolled: 1-line block ×3, first 2 shown]
	ds_load_b32 v169, v169 offset:544
	v_add_nc_u32_e32 v172, v25, v172
	v_bitop3_b32 v65, v65, v175, v174 bitop3:0x80
	; wave barrier
	s_delay_alu instid0(VALU_DEP_1) | instskip(NEXT) | instid1(VALU_DEP_1)
	v_bitop3_b32 v65, v65, v176, v170 bitop3:0x80
	v_mbcnt_lo_u32_b32 v170, v65, 0
	v_cmp_ne_u32_e64 s17, 0, v65
	s_delay_alu instid0(VALU_DEP_2) | instskip(SKIP_1) | instid1(SALU_CYCLE_1)
	v_cmp_eq_u32_e32 vcc_lo, 0, v170
	s_and_b32 s18, s17, vcc_lo
	s_and_saveexec_b32 s17, s18
	s_cbranch_execz .LBB1450_470
; %bb.469:                              ;   in Loop: Header=BB1450_418 Depth=2
	s_wait_dscnt 0x0
	v_bcnt_u32_b32 v65, v65, v169
	ds_store_b32 v172, v65 offset:544
.LBB1450_470:                           ;   in Loop: Header=BB1450_418 Depth=2
	s_or_b32 exec_lo, exec_lo, s17
	v_cmp_lt_i32_e32 vcc_lo, -1, v168
	; wave barrier
	v_cndmask_b32_e64 v65, -1, 0x80000000, vcc_lo
	s_delay_alu instid0(VALU_DEP_1) | instskip(NEXT) | instid1(VALU_DEP_1)
	v_xor_b32_e32 v168, v65, v168
	v_cmp_ne_u32_e32 vcc_lo, 0x7fffffff, v168
	v_cndmask_b32_e32 v65, 0x80000000, v168, vcc_lo
	s_delay_alu instid0(VALU_DEP_1) | instskip(NEXT) | instid1(VALU_DEP_1)
	v_lshrrev_b32_e32 v65, s48, v65
	v_bitop3_b32 v174, v65, 1, s58 bitop3:0x80
	v_and_b32_e32 v176, s58, v65
	s_delay_alu instid0(VALU_DEP_2) | instskip(NEXT) | instid1(VALU_DEP_1)
	v_add_co_u32 v65, s17, v174, -1
	v_cndmask_b32_e64 v174, 0, 1, s17
	s_delay_alu instid0(VALU_DEP_3) | instskip(NEXT) | instid1(VALU_DEP_2)
	v_dual_lshlrev_b32 v175, 30, v176 :: v_dual_lshlrev_b32 v177, 29, v176
	v_cmp_ne_u32_e32 vcc_lo, 0, v174
	s_delay_alu instid0(VALU_DEP_2) | instskip(SKIP_1) | instid1(VALU_DEP_4)
	v_cmp_gt_i32_e64 s17, 0, v175
	v_not_b32_e32 v174, v175
	v_not_b32_e32 v175, v177
	v_cmp_gt_i32_e64 s18, 0, v177
	v_bitop3_b32 v65, vcc_lo, exec_lo, v65 bitop3:0x48
	s_delay_alu instid0(VALU_DEP_3) | instskip(SKIP_2) | instid1(VALU_DEP_2)
	v_dual_ashrrev_i32 v174, 31, v174 :: v_dual_ashrrev_i32 v175, 31, v175
	v_dual_lshlrev_b32 v178, 28, v176 :: v_dual_lshlrev_b32 v179, 27, v176
	v_dual_lshlrev_b32 v180, 26, v176 :: v_dual_lshlrev_b32 v181, 25, v176
	v_cmp_gt_i32_e64 s19, 0, v178
	v_not_b32_e32 v177, v178
	s_delay_alu instid0(VALU_DEP_4)
	v_not_b32_e32 v178, v179
	v_cmp_gt_i32_e64 s20, 0, v179
	v_cmp_gt_i32_e64 s21, 0, v180
	v_not_b32_e32 v179, v180
	v_not_b32_e32 v180, v181
	v_dual_ashrrev_i32 v177, 31, v177 :: v_dual_ashrrev_i32 v178, 31, v178
	s_delay_alu instid0(VALU_DEP_3) | instskip(NEXT) | instid1(VALU_DEP_3)
	v_dual_ashrrev_i32 v179, 31, v179 :: v_dual_bitop2_b32 v174, s17, v174 bitop3:0x14
	v_dual_ashrrev_i32 v180, 31, v180 :: v_dual_bitop2_b32 v175, s18, v175 bitop3:0x14
	v_cmp_gt_i32_e64 s22, 0, v181
	s_delay_alu instid0(VALU_DEP_4) | instskip(NEXT) | instid1(VALU_DEP_3)
	v_xor_b32_e32 v178, s20, v178
	v_bitop3_b32 v65, v65, v175, v174 bitop3:0x80
	v_mad_u32_u24 v174, v176, 36, v25
	v_mul_u32_u24_e32 v176, 36, v176
	v_xor_b32_e32 v177, s19, v177
	v_xor_b32_e32 v175, s21, v179
	;; [unrolled: 1-line block ×3, first 2 shown]
	ds_load_b32 v174, v174 offset:544
	v_add_nc_u32_e32 v176, v25, v176
	v_bitop3_b32 v65, v65, v178, v177 bitop3:0x80
	; wave barrier
	s_delay_alu instid0(VALU_DEP_1) | instskip(NEXT) | instid1(VALU_DEP_1)
	v_bitop3_b32 v65, v65, v179, v175 bitop3:0x80
	v_mbcnt_lo_u32_b32 v175, v65, 0
	v_cmp_ne_u32_e64 s17, 0, v65
	s_delay_alu instid0(VALU_DEP_2) | instskip(SKIP_1) | instid1(SALU_CYCLE_1)
	v_cmp_eq_u32_e32 vcc_lo, 0, v175
	s_and_b32 s18, s17, vcc_lo
	s_and_saveexec_b32 s17, s18
	s_cbranch_execz .LBB1450_472
; %bb.471:                              ;   in Loop: Header=BB1450_418 Depth=2
	s_wait_dscnt 0x0
	v_bcnt_u32_b32 v65, v65, v174
	ds_store_b32 v176, v65 offset:544
.LBB1450_472:                           ;   in Loop: Header=BB1450_418 Depth=2
	s_or_b32 exec_lo, exec_lo, s17
	v_cmp_lt_i32_e32 vcc_lo, -1, v173
	; wave barrier
	v_cndmask_b32_e64 v65, -1, 0x80000000, vcc_lo
	s_delay_alu instid0(VALU_DEP_1) | instskip(NEXT) | instid1(VALU_DEP_1)
	v_xor_b32_e32 v173, v65, v173
	v_cmp_ne_u32_e32 vcc_lo, 0x7fffffff, v173
	v_cndmask_b32_e32 v65, 0x80000000, v173, vcc_lo
	s_delay_alu instid0(VALU_DEP_1) | instskip(NEXT) | instid1(VALU_DEP_1)
	v_lshrrev_b32_e32 v65, s48, v65
	v_and_b32_e32 v179, s58, v65
	s_delay_alu instid0(VALU_DEP_1) | instskip(SKIP_2) | instid1(VALU_DEP_3)
	v_lshlrev_b32_e32 v181, 28, v179
	v_bitop3_b32 v177, v65, 1, s58 bitop3:0x80
	v_dual_lshlrev_b32 v178, 30, v179 :: v_dual_lshlrev_b32 v180, 29, v179
	v_cmp_gt_i32_e64 s19, 0, v181
	s_delay_alu instid0(VALU_DEP_3) | instskip(NEXT) | instid1(VALU_DEP_1)
	v_add_co_u32 v65, s17, v177, -1
	v_cndmask_b32_e64 v177, 0, 1, s17
	s_delay_alu instid0(VALU_DEP_4) | instskip(SKIP_1) | instid1(VALU_DEP_3)
	v_cmp_gt_i32_e64 s17, 0, v178
	v_cmp_gt_i32_e64 s18, 0, v180
	v_cmp_ne_u32_e32 vcc_lo, 0, v177
	v_not_b32_e32 v177, v178
	v_not_b32_e32 v178, v180
	;; [unrolled: 1-line block ×3, first 2 shown]
	v_bitop3_b32 v65, vcc_lo, exec_lo, v65 bitop3:0x48
	s_delay_alu instid0(VALU_DEP_3) | instskip(SKIP_2) | instid1(VALU_DEP_2)
	v_dual_ashrrev_i32 v177, 31, v177 :: v_dual_ashrrev_i32 v178, 31, v178
	v_dual_lshlrev_b32 v182, 27, v179 :: v_dual_lshlrev_b32 v183, 26, v179
	v_lshlrev_b32_e32 v184, 25, v179
	v_not_b32_e32 v181, v182
	v_cmp_gt_i32_e64 s20, 0, v182
	s_delay_alu instid0(VALU_DEP_4) | instskip(SKIP_3) | instid1(VALU_DEP_3)
	v_cmp_gt_i32_e64 s21, 0, v183
	v_not_b32_e32 v182, v183
	v_not_b32_e32 v183, v184
	v_dual_ashrrev_i32 v180, 31, v180 :: v_dual_ashrrev_i32 v181, 31, v181
	v_dual_ashrrev_i32 v182, 31, v182 :: v_dual_bitop2_b32 v177, s17, v177 bitop3:0x14
	s_delay_alu instid0(VALU_DEP_3) | instskip(SKIP_1) | instid1(VALU_DEP_4)
	v_dual_ashrrev_i32 v183, 31, v183 :: v_dual_bitop2_b32 v178, s18, v178 bitop3:0x14
	v_cmp_gt_i32_e64 s22, 0, v184
	v_xor_b32_e32 v181, s20, v181
	s_delay_alu instid0(VALU_DEP_3)
	v_bitop3_b32 v65, v65, v178, v177 bitop3:0x80
	v_mad_u32_u24 v177, v179, 36, v25
	v_mul_u32_u24_e32 v179, 36, v179
	v_xor_b32_e32 v180, s19, v180
	v_xor_b32_e32 v178, s21, v182
	v_xor_b32_e32 v182, s22, v183
	ds_load_b32 v177, v177 offset:544
	v_add_nc_u32_e32 v179, v25, v179
	v_bitop3_b32 v65, v65, v181, v180 bitop3:0x80
	; wave barrier
	s_delay_alu instid0(VALU_DEP_1) | instskip(NEXT) | instid1(VALU_DEP_1)
	v_bitop3_b32 v65, v65, v182, v178 bitop3:0x80
	v_mbcnt_lo_u32_b32 v178, v65, 0
	v_cmp_ne_u32_e64 s17, 0, v65
	s_delay_alu instid0(VALU_DEP_2) | instskip(SKIP_1) | instid1(SALU_CYCLE_1)
	v_cmp_eq_u32_e32 vcc_lo, 0, v178
	s_and_b32 s18, s17, vcc_lo
	s_and_saveexec_b32 s17, s18
	s_cbranch_execz .LBB1450_474
; %bb.473:                              ;   in Loop: Header=BB1450_418 Depth=2
	s_wait_dscnt 0x0
	v_bcnt_u32_b32 v65, v65, v177
	ds_store_b32 v179, v65 offset:544
.LBB1450_474:                           ;   in Loop: Header=BB1450_418 Depth=2
	s_or_b32 exec_lo, exec_lo, s17
	v_cmp_lt_i32_e32 vcc_lo, -1, v171
	; wave barrier
	v_cndmask_b32_e64 v65, -1, 0x80000000, vcc_lo
	s_delay_alu instid0(VALU_DEP_1) | instskip(NEXT) | instid1(VALU_DEP_1)
	v_xor_b32_e32 v171, v65, v171
	v_cmp_ne_u32_e32 vcc_lo, 0x7fffffff, v171
	v_cndmask_b32_e32 v65, 0x80000000, v171, vcc_lo
	s_delay_alu instid0(VALU_DEP_1) | instskip(NEXT) | instid1(VALU_DEP_1)
	v_lshrrev_b32_e32 v65, s48, v65
	v_bitop3_b32 v180, v65, 1, s58 bitop3:0x80
	v_and_b32_e32 v182, s58, v65
	s_delay_alu instid0(VALU_DEP_2) | instskip(NEXT) | instid1(VALU_DEP_1)
	v_add_co_u32 v65, s17, v180, -1
	v_cndmask_b32_e64 v180, 0, 1, s17
	s_delay_alu instid0(VALU_DEP_3) | instskip(NEXT) | instid1(VALU_DEP_2)
	v_lshlrev_b32_e32 v181, 30, v182
	v_cmp_ne_u32_e32 vcc_lo, 0, v180
	s_delay_alu instid0(VALU_DEP_2) | instskip(SKIP_1) | instid1(VALU_DEP_2)
	v_not_b32_e32 v180, v181
	v_bitop3_b32 v65, vcc_lo, exec_lo, v65 bitop3:0x48
	v_dual_ashrrev_i32 v180, 31, v180 :: v_dual_lshlrev_b32 v183, 29, v182
	v_dual_lshlrev_b32 v184, 28, v182 :: v_dual_lshlrev_b32 v185, 27, v182
	v_lshlrev_b32_e32 v186, 26, v182
	v_cmp_gt_i32_e64 s17, 0, v181
	s_delay_alu instid0(VALU_DEP_4)
	v_not_b32_e32 v181, v183
	v_lshlrev_b32_e32 v187, 25, v182
	v_cmp_gt_i32_e64 s18, 0, v183
	v_cmp_gt_i32_e64 s19, 0, v184
	v_not_b32_e32 v183, v184
	v_not_b32_e32 v184, v185
	v_ashrrev_i32_e32 v181, 31, v181
	v_cmp_gt_i32_e64 s20, 0, v185
	v_cmp_gt_i32_e64 s21, 0, v186
	v_not_b32_e32 v185, v186
	v_not_b32_e32 v186, v187
	v_dual_ashrrev_i32 v183, 31, v183 :: v_dual_ashrrev_i32 v184, 31, v184
	s_delay_alu instid0(VALU_DEP_3) | instskip(NEXT) | instid1(VALU_DEP_3)
	v_dual_ashrrev_i32 v185, 31, v185 :: v_dual_bitop2_b32 v180, s17, v180 bitop3:0x14
	v_dual_ashrrev_i32 v186, 31, v186 :: v_dual_bitop2_b32 v181, s18, v181 bitop3:0x14
	v_cmp_gt_i32_e64 s22, 0, v187
	s_delay_alu instid0(VALU_DEP_4) | instskip(NEXT) | instid1(VALU_DEP_3)
	v_xor_b32_e32 v184, s20, v184
	v_bitop3_b32 v65, v65, v181, v180 bitop3:0x80
	v_mad_u32_u24 v180, v182, 36, v25
	v_mul_u32_u24_e32 v182, 36, v182
	v_xor_b32_e32 v183, s19, v183
	v_xor_b32_e32 v181, s21, v185
	;; [unrolled: 1-line block ×3, first 2 shown]
	ds_load_b32 v180, v180 offset:544
	v_add_nc_u32_e32 v182, v25, v182
	v_bitop3_b32 v65, v65, v184, v183 bitop3:0x80
	; wave barrier
	s_delay_alu instid0(VALU_DEP_1) | instskip(NEXT) | instid1(VALU_DEP_1)
	v_bitop3_b32 v65, v65, v185, v181 bitop3:0x80
	v_mbcnt_lo_u32_b32 v181, v65, 0
	v_cmp_ne_u32_e64 s17, 0, v65
	s_delay_alu instid0(VALU_DEP_2) | instskip(SKIP_1) | instid1(SALU_CYCLE_1)
	v_cmp_eq_u32_e32 vcc_lo, 0, v181
	s_and_b32 s18, s17, vcc_lo
	s_and_saveexec_b32 s17, s18
	s_cbranch_execz .LBB1450_476
; %bb.475:                              ;   in Loop: Header=BB1450_418 Depth=2
	s_wait_dscnt 0x0
	v_bcnt_u32_b32 v65, v65, v180
	ds_store_b32 v182, v65 offset:544
.LBB1450_476:                           ;   in Loop: Header=BB1450_418 Depth=2
	s_or_b32 exec_lo, exec_lo, s17
	v_cmp_lt_i32_e32 vcc_lo, -1, v166
	; wave barrier
	v_cndmask_b32_e64 v65, -1, 0x80000000, vcc_lo
	s_delay_alu instid0(VALU_DEP_1) | instskip(NEXT) | instid1(VALU_DEP_1)
	v_xor_b32_e32 v166, v65, v166
	v_cmp_ne_u32_e32 vcc_lo, 0x7fffffff, v166
	v_cndmask_b32_e32 v65, 0x80000000, v166, vcc_lo
	s_delay_alu instid0(VALU_DEP_1) | instskip(NEXT) | instid1(VALU_DEP_1)
	v_lshrrev_b32_e32 v65, s48, v65
	v_bitop3_b32 v183, v65, 1, s58 bitop3:0x80
	v_and_b32_e32 v186, s58, v65
	s_delay_alu instid0(VALU_DEP_2) | instskip(NEXT) | instid1(VALU_DEP_1)
	v_add_co_u32 v65, s17, v183, -1
	v_cndmask_b32_e64 v183, 0, 1, s17
	s_delay_alu instid0(VALU_DEP_3) | instskip(NEXT) | instid1(VALU_DEP_2)
	v_lshlrev_b32_e32 v184, 30, v186
	v_cmp_ne_u32_e32 vcc_lo, 0, v183
	s_delay_alu instid0(VALU_DEP_2) | instskip(SKIP_1) | instid1(VALU_DEP_2)
	v_not_b32_e32 v183, v184
	v_bitop3_b32 v65, vcc_lo, exec_lo, v65 bitop3:0x48
	v_dual_ashrrev_i32 v183, 31, v183 :: v_dual_lshlrev_b32 v185, 29, v186
	v_cmp_gt_i32_e64 s17, 0, v184
	v_dual_lshlrev_b32 v187, 28, v186 :: v_dual_lshlrev_b32 v188, 27, v186
	v_dual_lshlrev_b32 v189, 26, v186 :: v_dual_lshlrev_b32 v190, 25, v186
	s_delay_alu instid0(VALU_DEP_4) | instskip(SKIP_1) | instid1(VALU_DEP_4)
	v_not_b32_e32 v184, v185
	v_cmp_gt_i32_e64 s18, 0, v185
	v_cmp_gt_i32_e64 s19, 0, v187
	v_not_b32_e32 v185, v187
	v_cmp_gt_i32_e64 s20, 0, v188
	v_ashrrev_i32_e32 v184, 31, v184
	v_not_b32_e32 v187, v188
	v_cmp_gt_i32_e64 s21, 0, v189
	v_not_b32_e32 v188, v189
	v_not_b32_e32 v189, v190
	v_xor_b32_e32 v183, s17, v183
	v_dual_ashrrev_i32 v185, 31, v185 :: v_dual_bitop2_b32 v184, s18, v184 bitop3:0x14
	s_delay_alu instid0(VALU_DEP_4) | instskip(NEXT) | instid1(VALU_DEP_4)
	v_dual_ashrrev_i32 v187, 31, v187 :: v_dual_ashrrev_i32 v188, 31, v188
	v_ashrrev_i32_e32 v189, 31, v189
	s_delay_alu instid0(VALU_DEP_3)
	v_bitop3_b32 v65, v65, v184, v183 bitop3:0x80
	v_mad_u32_u24 v183, v186, 36, v25
	v_cmp_gt_i32_e64 s22, 0, v190
	v_xor_b32_e32 v187, s20, v187
	v_xor_b32_e32 v188, s21, v188
	ds_load_b32 v184, v183 offset:544
	v_mul_u32_u24_e32 v183, 36, v186
	v_xor_b32_e32 v185, s19, v185
	v_xor_b32_e32 v189, s22, v189
	; wave barrier
	s_delay_alu instid0(VALU_DEP_3) | instskip(NEXT) | instid1(VALU_DEP_3)
	v_add_nc_u32_e32 v186, v25, v183
	v_bitop3_b32 v65, v65, v187, v185 bitop3:0x80
	s_delay_alu instid0(VALU_DEP_1) | instskip(NEXT) | instid1(VALU_DEP_1)
	v_bitop3_b32 v65, v65, v189, v188 bitop3:0x80
	v_mbcnt_lo_u32_b32 v185, v65, 0
	v_cmp_ne_u32_e64 s17, 0, v65
	s_delay_alu instid0(VALU_DEP_2) | instskip(SKIP_1) | instid1(SALU_CYCLE_1)
	v_cmp_eq_u32_e32 vcc_lo, 0, v185
	s_and_b32 s18, s17, vcc_lo
	s_and_saveexec_b32 s17, s18
	s_cbranch_execz .LBB1450_478
; %bb.477:                              ;   in Loop: Header=BB1450_418 Depth=2
	s_wait_dscnt 0x0
	v_bcnt_u32_b32 v65, v65, v184
	ds_store_b32 v186, v65 offset:544
.LBB1450_478:                           ;   in Loop: Header=BB1450_418 Depth=2
	s_or_b32 exec_lo, exec_lo, s17
	v_cmp_lt_i32_e32 vcc_lo, -1, v161
	; wave barrier
	v_cndmask_b32_e64 v65, -1, 0x80000000, vcc_lo
	s_delay_alu instid0(VALU_DEP_1) | instskip(NEXT) | instid1(VALU_DEP_1)
	v_xor_b32_e32 v183, v65, v161
	v_cmp_ne_u32_e32 vcc_lo, 0x7fffffff, v183
	v_cndmask_b32_e32 v65, 0x80000000, v183, vcc_lo
	s_delay_alu instid0(VALU_DEP_1) | instskip(NEXT) | instid1(VALU_DEP_1)
	v_lshrrev_b32_e32 v65, s48, v65
	v_and_b32_e32 v187, s58, v65
	s_delay_alu instid0(VALU_DEP_1) | instskip(SKIP_3) | instid1(VALU_DEP_4)
	v_lshlrev_b32_e32 v189, 29, v187
	v_bitop3_b32 v161, v65, 1, s58 bitop3:0x80
	v_dual_lshlrev_b32 v188, 30, v187 :: v_dual_lshlrev_b32 v190, 28, v187
	v_lshlrev_b32_e32 v191, 27, v187
	v_cmp_gt_i32_e64 s18, 0, v189
	s_delay_alu instid0(VALU_DEP_4) | instskip(NEXT) | instid1(VALU_DEP_1)
	v_add_co_u32 v65, s17, v161, -1
	v_cndmask_b32_e64 v161, 0, 1, s17
	v_cmp_gt_i32_e64 s17, 0, v188
	v_cmp_gt_i32_e64 s19, 0, v190
	;; [unrolled: 1-line block ×3, first 2 shown]
	s_delay_alu instid0(VALU_DEP_4)
	v_cmp_ne_u32_e32 vcc_lo, 0, v161
	v_not_b32_e32 v161, v188
	v_not_b32_e32 v188, v189
	;; [unrolled: 1-line block ×4, first 2 shown]
	v_bitop3_b32 v65, vcc_lo, exec_lo, v65 bitop3:0x48
	s_delay_alu instid0(VALU_DEP_4) | instskip(NEXT) | instid1(VALU_DEP_3)
	v_dual_ashrrev_i32 v188, 31, v188 :: v_dual_ashrrev_i32 v161, 31, v161
	v_dual_ashrrev_i32 v190, 31, v190 :: v_dual_lshlrev_b32 v192, 26, v187
	s_delay_alu instid0(VALU_DEP_2) | instskip(NEXT) | instid1(VALU_DEP_2)
	v_dual_lshlrev_b32 v193, 25, v187 :: v_dual_bitop2_b32 v188, s18, v188 bitop3:0x14
	v_cmp_gt_i32_e64 s21, 0, v192
	v_not_b32_e32 v191, v192
	s_delay_alu instid0(VALU_DEP_3) | instskip(SKIP_3) | instid1(VALU_DEP_4)
	v_not_b32_e32 v192, v193
	v_xor_b32_e32 v161, s17, v161
	v_ashrrev_i32_e32 v189, 31, v189
	v_cmp_gt_i32_e64 s22, 0, v193
	v_dual_ashrrev_i32 v191, 31, v191 :: v_dual_ashrrev_i32 v192, 31, v192
	s_delay_alu instid0(VALU_DEP_4) | instskip(SKIP_2) | instid1(VALU_DEP_4)
	v_bitop3_b32 v65, v65, v188, v161 bitop3:0x80
	v_mad_u32_u24 v161, v187, 36, v25
	v_xor_b32_e32 v189, s19, v189
	v_xor_b32_e32 v191, s21, v191
	v_xor_b32_e32 v192, s22, v192
	ds_load_b32 v188, v161 offset:544
	v_mul_u32_u24_e32 v161, 36, v187
	v_xor_b32_e32 v190, s20, v190
	; wave barrier
	s_delay_alu instid0(VALU_DEP_2) | instskip(NEXT) | instid1(VALU_DEP_2)
	v_add_nc_u32_e32 v161, v25, v161
	v_bitop3_b32 v65, v65, v190, v189 bitop3:0x80
	s_delay_alu instid0(VALU_DEP_1) | instskip(NEXT) | instid1(VALU_DEP_1)
	v_bitop3_b32 v65, v65, v192, v191 bitop3:0x80
	v_mbcnt_lo_u32_b32 v189, v65, 0
	v_cmp_ne_u32_e64 s17, 0, v65
	s_delay_alu instid0(VALU_DEP_2) | instskip(SKIP_1) | instid1(SALU_CYCLE_1)
	v_cmp_eq_u32_e32 vcc_lo, 0, v189
	s_and_b32 s18, s17, vcc_lo
	s_and_saveexec_b32 s17, s18
	s_cbranch_execz .LBB1450_480
; %bb.479:                              ;   in Loop: Header=BB1450_418 Depth=2
	s_wait_dscnt 0x0
	v_bcnt_u32_b32 v65, v65, v188
	ds_store_b32 v161, v65 offset:544
.LBB1450_480:                           ;   in Loop: Header=BB1450_418 Depth=2
	s_or_b32 exec_lo, exec_lo, s17
	v_cmp_lt_i32_e32 vcc_lo, -1, v157
	; wave barrier
	v_cndmask_b32_e64 v65, -1, 0x80000000, vcc_lo
	s_delay_alu instid0(VALU_DEP_1) | instskip(NEXT) | instid1(VALU_DEP_1)
	v_xor_b32_e32 v187, v65, v157
	v_cmp_ne_u32_e32 vcc_lo, 0x7fffffff, v187
	v_cndmask_b32_e32 v65, 0x80000000, v187, vcc_lo
	s_delay_alu instid0(VALU_DEP_1) | instskip(NEXT) | instid1(VALU_DEP_1)
	v_lshrrev_b32_e32 v65, s48, v65
	v_and_b32_e32 v190, s58, v65
	s_delay_alu instid0(VALU_DEP_1) | instskip(SKIP_2) | instid1(VALU_DEP_3)
	v_lshlrev_b32_e32 v193, 28, v190
	v_bitop3_b32 v157, v65, 1, s58 bitop3:0x80
	v_dual_lshlrev_b32 v191, 30, v190 :: v_dual_lshlrev_b32 v192, 29, v190
	v_cmp_gt_i32_e64 s19, 0, v193
	s_delay_alu instid0(VALU_DEP_3) | instskip(NEXT) | instid1(VALU_DEP_1)
	v_add_co_u32 v65, s17, v157, -1
	v_cndmask_b32_e64 v157, 0, 1, s17
	s_delay_alu instid0(VALU_DEP_4) | instskip(SKIP_1) | instid1(VALU_DEP_3)
	v_cmp_gt_i32_e64 s17, 0, v191
	v_cmp_gt_i32_e64 s18, 0, v192
	v_cmp_ne_u32_e32 vcc_lo, 0, v157
	v_not_b32_e32 v157, v191
	v_not_b32_e32 v191, v192
	;; [unrolled: 1-line block ×3, first 2 shown]
	v_bitop3_b32 v65, vcc_lo, exec_lo, v65 bitop3:0x48
	s_delay_alu instid0(VALU_DEP_3) | instskip(SKIP_1) | instid1(VALU_DEP_2)
	v_dual_ashrrev_i32 v157, 31, v157 :: v_dual_ashrrev_i32 v191, 31, v191
	v_dual_lshlrev_b32 v194, 27, v190 :: v_dual_lshlrev_b32 v195, 26, v190
	v_dual_lshlrev_b32 v196, 25, v190 :: v_dual_bitop2_b32 v191, s18, v191 bitop3:0x14
	s_delay_alu instid0(VALU_DEP_2) | instskip(SKIP_1) | instid1(VALU_DEP_4)
	v_not_b32_e32 v193, v194
	v_cmp_gt_i32_e64 s20, 0, v194
	v_cmp_gt_i32_e64 s21, 0, v195
	v_not_b32_e32 v194, v195
	v_not_b32_e32 v195, v196
	v_dual_ashrrev_i32 v192, 31, v192 :: v_dual_ashrrev_i32 v193, 31, v193
	s_delay_alu instid0(VALU_DEP_3) | instskip(SKIP_1) | instid1(VALU_DEP_3)
	v_dual_ashrrev_i32 v194, 31, v194 :: v_dual_bitop2_b32 v157, s17, v157 bitop3:0x14
	v_cmp_gt_i32_e64 s22, 0, v196
	v_dual_ashrrev_i32 v195, 31, v195 :: v_dual_bitop2_b32 v192, s19, v192 bitop3:0x14
	s_delay_alu instid0(VALU_DEP_4) | instskip(NEXT) | instid1(VALU_DEP_4)
	v_xor_b32_e32 v193, s20, v193
	v_bitop3_b32 v65, v65, v191, v157 bitop3:0x80
	v_mad_u32_u24 v157, v190, 36, v25
	v_xor_b32_e32 v194, s21, v194
	v_xor_b32_e32 v195, s22, v195
	s_delay_alu instid0(VALU_DEP_4) | instskip(SKIP_3) | instid1(VALU_DEP_2)
	v_bitop3_b32 v65, v65, v193, v192 bitop3:0x80
	ds_load_b32 v191, v157 offset:544
	v_mul_u32_u24_e32 v157, 36, v190
	; wave barrier
	v_bitop3_b32 v65, v65, v195, v194 bitop3:0x80
	v_add_nc_u32_e32 v157, v25, v157
	s_delay_alu instid0(VALU_DEP_2) | instskip(SKIP_1) | instid1(VALU_DEP_2)
	v_mbcnt_lo_u32_b32 v192, v65, 0
	v_cmp_ne_u32_e64 s17, 0, v65
	v_cmp_eq_u32_e32 vcc_lo, 0, v192
	s_and_b32 s18, s17, vcc_lo
	s_delay_alu instid0(SALU_CYCLE_1)
	s_and_saveexec_b32 s17, s18
	s_cbranch_execz .LBB1450_482
; %bb.481:                              ;   in Loop: Header=BB1450_418 Depth=2
	s_wait_dscnt 0x0
	v_bcnt_u32_b32 v65, v65, v191
	ds_store_b32 v157, v65 offset:544
.LBB1450_482:                           ;   in Loop: Header=BB1450_418 Depth=2
	s_or_b32 exec_lo, exec_lo, s17
	v_cmp_lt_i32_e32 vcc_lo, -1, v152
	; wave barrier
	v_cndmask_b32_e64 v65, -1, 0x80000000, vcc_lo
	s_delay_alu instid0(VALU_DEP_1) | instskip(NEXT) | instid1(VALU_DEP_1)
	v_xor_b32_e32 v190, v65, v152
	v_cmp_ne_u32_e32 vcc_lo, 0x7fffffff, v190
	v_cndmask_b32_e32 v65, 0x80000000, v190, vcc_lo
	s_delay_alu instid0(VALU_DEP_1) | instskip(NEXT) | instid1(VALU_DEP_1)
	v_lshrrev_b32_e32 v65, s48, v65
	v_bitop3_b32 v152, v65, 1, s58 bitop3:0x80
	v_and_b32_e32 v193, s58, v65
	s_delay_alu instid0(VALU_DEP_2) | instskip(NEXT) | instid1(VALU_DEP_1)
	v_add_co_u32 v65, s17, v152, -1
	v_cndmask_b32_e64 v152, 0, 1, s17
	s_delay_alu instid0(VALU_DEP_3) | instskip(NEXT) | instid1(VALU_DEP_2)
	v_lshlrev_b32_e32 v194, 30, v193
	v_cmp_ne_u32_e32 vcc_lo, 0, v152
	s_delay_alu instid0(VALU_DEP_2) | instskip(SKIP_2) | instid1(VALU_DEP_3)
	v_not_b32_e32 v152, v194
	v_cmp_gt_i32_e64 s17, 0, v194
	v_bitop3_b32 v65, vcc_lo, exec_lo, v65 bitop3:0x48
	v_dual_ashrrev_i32 v152, 31, v152 :: v_dual_lshlrev_b32 v195, 29, v193
	v_dual_lshlrev_b32 v196, 28, v193 :: v_dual_lshlrev_b32 v197, 27, v193
	v_lshlrev_b32_e32 v198, 26, v193
	s_delay_alu instid0(VALU_DEP_3)
	v_not_b32_e32 v194, v195
	v_lshlrev_b32_e32 v199, 25, v193
	v_cmp_gt_i32_e64 s18, 0, v195
	v_cmp_gt_i32_e64 s19, 0, v196
	v_not_b32_e32 v195, v196
	v_not_b32_e32 v196, v197
	v_ashrrev_i32_e32 v194, 31, v194
	v_cmp_gt_i32_e64 s20, 0, v197
	v_cmp_gt_i32_e64 s21, 0, v198
	v_not_b32_e32 v197, v198
	v_not_b32_e32 v198, v199
	v_dual_ashrrev_i32 v195, 31, v195 :: v_dual_ashrrev_i32 v196, 31, v196
	s_delay_alu instid0(VALU_DEP_3) | instskip(SKIP_2) | instid1(VALU_DEP_4)
	v_dual_ashrrev_i32 v197, 31, v197 :: v_dual_bitop2_b32 v152, s17, v152 bitop3:0x14
	v_xor_b32_e32 v194, s18, v194
	v_cmp_gt_i32_e64 s22, 0, v199
	v_dual_ashrrev_i32 v198, 31, v198 :: v_dual_bitop2_b32 v195, s19, v195 bitop3:0x14
	v_xor_b32_e32 v196, s20, v196
	s_delay_alu instid0(VALU_DEP_4) | instskip(SKIP_3) | instid1(VALU_DEP_4)
	v_bitop3_b32 v65, v65, v194, v152 bitop3:0x80
	v_mad_u32_u24 v152, v193, 36, v25
	v_xor_b32_e32 v197, s21, v197
	v_xor_b32_e32 v198, s22, v198
	v_bitop3_b32 v65, v65, v196, v195 bitop3:0x80
	ds_load_b32 v194, v152 offset:544
	v_mul_u32_u24_e32 v152, 36, v193
	; wave barrier
	v_bitop3_b32 v65, v65, v198, v197 bitop3:0x80
	s_delay_alu instid0(VALU_DEP_2) | instskip(NEXT) | instid1(VALU_DEP_2)
	v_add_nc_u32_e32 v152, v25, v152
	v_mbcnt_lo_u32_b32 v195, v65, 0
	v_cmp_ne_u32_e64 s17, 0, v65
	s_delay_alu instid0(VALU_DEP_2) | instskip(SKIP_1) | instid1(SALU_CYCLE_1)
	v_cmp_eq_u32_e32 vcc_lo, 0, v195
	s_and_b32 s18, s17, vcc_lo
	s_and_saveexec_b32 s17, s18
	s_cbranch_execz .LBB1450_484
; %bb.483:                              ;   in Loop: Header=BB1450_418 Depth=2
	s_wait_dscnt 0x0
	v_bcnt_u32_b32 v65, v65, v194
	ds_store_b32 v152, v65 offset:544
.LBB1450_484:                           ;   in Loop: Header=BB1450_418 Depth=2
	s_or_b32 exec_lo, exec_lo, s17
	v_cmp_lt_i32_e32 vcc_lo, -1, v67
	; wave barrier
	v_cndmask_b32_e64 v65, -1, 0x80000000, vcc_lo
	s_delay_alu instid0(VALU_DEP_1) | instskip(NEXT) | instid1(VALU_DEP_1)
	v_xor_b32_e32 v193, v65, v67
	v_cmp_ne_u32_e32 vcc_lo, 0x7fffffff, v193
	v_cndmask_b32_e32 v65, 0x80000000, v193, vcc_lo
	s_delay_alu instid0(VALU_DEP_1) | instskip(NEXT) | instid1(VALU_DEP_1)
	v_lshrrev_b32_e32 v65, s48, v65
	v_bitop3_b32 v67, v65, 1, s58 bitop3:0x80
	v_and_b32_e32 v196, s58, v65
	s_delay_alu instid0(VALU_DEP_2) | instskip(NEXT) | instid1(VALU_DEP_1)
	v_add_co_u32 v65, s17, v67, -1
	v_cndmask_b32_e64 v67, 0, 1, s17
	s_delay_alu instid0(VALU_DEP_3) | instskip(NEXT) | instid1(VALU_DEP_2)
	v_lshlrev_b32_e32 v197, 30, v196
	v_cmp_ne_u32_e32 vcc_lo, 0, v67
	s_delay_alu instid0(VALU_DEP_2) | instskip(SKIP_1) | instid1(VALU_DEP_2)
	v_not_b32_e32 v67, v197
	v_bitop3_b32 v65, vcc_lo, exec_lo, v65 bitop3:0x48
	v_dual_ashrrev_i32 v67, 31, v67 :: v_dual_lshlrev_b32 v198, 29, v196
	v_dual_lshlrev_b32 v199, 28, v196 :: v_dual_lshlrev_b32 v200, 27, v196
	v_lshlrev_b32_e32 v201, 26, v196
	v_cmp_gt_i32_e64 s17, 0, v197
	s_delay_alu instid0(VALU_DEP_4)
	v_not_b32_e32 v197, v198
	v_lshlrev_b32_e32 v202, 25, v196
	v_cmp_gt_i32_e64 s18, 0, v198
	v_cmp_gt_i32_e64 s19, 0, v199
	v_not_b32_e32 v198, v199
	v_not_b32_e32 v199, v200
	v_ashrrev_i32_e32 v197, 31, v197
	v_cmp_gt_i32_e64 s20, 0, v200
	v_cmp_gt_i32_e64 s21, 0, v201
	v_not_b32_e32 v200, v201
	v_not_b32_e32 v201, v202
	v_dual_ashrrev_i32 v198, 31, v198 :: v_dual_ashrrev_i32 v199, 31, v199
	s_delay_alu instid0(VALU_DEP_3) | instskip(SKIP_2) | instid1(VALU_DEP_4)
	v_dual_ashrrev_i32 v200, 31, v200 :: v_dual_bitop2_b32 v67, s17, v67 bitop3:0x14
	v_xor_b32_e32 v197, s18, v197
	v_cmp_gt_i32_e64 s22, 0, v202
	v_dual_ashrrev_i32 v201, 31, v201 :: v_dual_bitop2_b32 v198, s19, v198 bitop3:0x14
	v_xor_b32_e32 v199, s20, v199
	s_delay_alu instid0(VALU_DEP_4) | instskip(SKIP_3) | instid1(VALU_DEP_4)
	v_bitop3_b32 v65, v65, v197, v67 bitop3:0x80
	v_mad_u32_u24 v67, v196, 36, v25
	v_xor_b32_e32 v200, s21, v200
	v_xor_b32_e32 v201, s22, v201
	v_bitop3_b32 v65, v65, v199, v198 bitop3:0x80
	ds_load_b32 v197, v67 offset:544
	v_mul_u32_u24_e32 v67, 36, v196
	; wave barrier
	v_bitop3_b32 v65, v65, v201, v200 bitop3:0x80
	s_delay_alu instid0(VALU_DEP_2) | instskip(NEXT) | instid1(VALU_DEP_2)
	v_add_nc_u32_e32 v199, v25, v67
	v_mbcnt_lo_u32_b32 v198, v65, 0
	v_cmp_ne_u32_e64 s17, 0, v65
	s_delay_alu instid0(VALU_DEP_2) | instskip(SKIP_1) | instid1(SALU_CYCLE_1)
	v_cmp_eq_u32_e32 vcc_lo, 0, v198
	s_and_b32 s18, s17, vcc_lo
	s_and_saveexec_b32 s17, s18
	s_cbranch_execz .LBB1450_486
; %bb.485:                              ;   in Loop: Header=BB1450_418 Depth=2
	s_wait_dscnt 0x0
	v_bcnt_u32_b32 v65, v65, v197
	ds_store_b32 v199, v65 offset:544
.LBB1450_486:                           ;   in Loop: Header=BB1450_418 Depth=2
	s_or_b32 exec_lo, exec_lo, s17
	v_cmp_lt_i32_e32 vcc_lo, -1, v66
	; wave barrier
	v_cndmask_b32_e64 v65, -1, 0x80000000, vcc_lo
	s_delay_alu instid0(VALU_DEP_1) | instskip(NEXT) | instid1(VALU_DEP_1)
	v_xor_b32_e32 v196, v65, v66
	v_cmp_ne_u32_e32 vcc_lo, 0x7fffffff, v196
	v_cndmask_b32_e32 v65, 0x80000000, v196, vcc_lo
	s_delay_alu instid0(VALU_DEP_1) | instskip(NEXT) | instid1(VALU_DEP_1)
	v_lshrrev_b32_e32 v65, s48, v65
	v_bitop3_b32 v66, v65, 1, s58 bitop3:0x80
	v_and_b32_e32 v67, s58, v65
	s_delay_alu instid0(VALU_DEP_2) | instskip(NEXT) | instid1(VALU_DEP_1)
	v_add_co_u32 v65, s17, v66, -1
	v_cndmask_b32_e64 v66, 0, 1, s17
	s_delay_alu instid0(VALU_DEP_3) | instskip(NEXT) | instid1(VALU_DEP_2)
	v_lshlrev_b32_e32 v200, 30, v67
	v_cmp_ne_u32_e32 vcc_lo, 0, v66
	s_delay_alu instid0(VALU_DEP_2) | instskip(SKIP_2) | instid1(VALU_DEP_3)
	v_not_b32_e32 v66, v200
	v_cmp_gt_i32_e64 s17, 0, v200
	v_bitop3_b32 v65, vcc_lo, exec_lo, v65 bitop3:0x48
	v_dual_ashrrev_i32 v66, 31, v66 :: v_dual_lshlrev_b32 v201, 29, v67
	v_dual_lshlrev_b32 v202, 28, v67 :: v_dual_lshlrev_b32 v203, 27, v67
	v_lshlrev_b32_e32 v204, 26, v67
	s_delay_alu instid0(VALU_DEP_3)
	v_not_b32_e32 v200, v201
	v_lshlrev_b32_e32 v205, 25, v67
	v_cmp_gt_i32_e64 s18, 0, v201
	v_cmp_gt_i32_e64 s19, 0, v202
	v_not_b32_e32 v201, v202
	v_not_b32_e32 v202, v203
	v_ashrrev_i32_e32 v200, 31, v200
	v_cmp_gt_i32_e64 s20, 0, v203
	v_cmp_gt_i32_e64 s21, 0, v204
	v_not_b32_e32 v203, v204
	v_not_b32_e32 v204, v205
	v_dual_ashrrev_i32 v201, 31, v201 :: v_dual_ashrrev_i32 v202, 31, v202
	s_delay_alu instid0(VALU_DEP_3) | instskip(SKIP_2) | instid1(VALU_DEP_4)
	v_dual_ashrrev_i32 v203, 31, v203 :: v_dual_bitop2_b32 v66, s17, v66 bitop3:0x14
	v_xor_b32_e32 v200, s18, v200
	v_cmp_gt_i32_e64 s22, 0, v205
	v_dual_ashrrev_i32 v204, 31, v204 :: v_dual_bitop2_b32 v201, s19, v201 bitop3:0x14
	v_xor_b32_e32 v202, s20, v202
	s_delay_alu instid0(VALU_DEP_4) | instskip(SKIP_3) | instid1(VALU_DEP_4)
	v_bitop3_b32 v65, v65, v200, v66 bitop3:0x80
	v_mad_u32_u24 v66, v67, 36, v25
	v_xor_b32_e32 v200, s21, v203
	v_xor_b32_e32 v203, s22, v204
	v_bitop3_b32 v65, v65, v202, v201 bitop3:0x80
	ds_load_b32 v201, v66 offset:544
	v_mul_u32_u24_e32 v66, 36, v67
	; wave barrier
	v_bitop3_b32 v65, v65, v203, v200 bitop3:0x80
	s_delay_alu instid0(VALU_DEP_2) | instskip(NEXT) | instid1(VALU_DEP_2)
	v_add_nc_u32_e32 v203, v25, v66
	v_mbcnt_lo_u32_b32 v202, v65, 0
	v_cmp_ne_u32_e64 s17, 0, v65
	s_delay_alu instid0(VALU_DEP_2) | instskip(SKIP_1) | instid1(SALU_CYCLE_1)
	v_cmp_eq_u32_e32 vcc_lo, 0, v202
	s_and_b32 s18, s17, vcc_lo
	s_and_saveexec_b32 s17, s18
	s_cbranch_execz .LBB1450_488
; %bb.487:                              ;   in Loop: Header=BB1450_418 Depth=2
	s_wait_dscnt 0x0
	v_bcnt_u32_b32 v65, v65, v201
	ds_store_b32 v203, v65 offset:544
.LBB1450_488:                           ;   in Loop: Header=BB1450_418 Depth=2
	s_or_b32 exec_lo, exec_lo, s17
	v_cmp_lt_i32_e32 vcc_lo, -1, v64
	; wave barrier
	v_cndmask_b32_e64 v65, -1, 0x80000000, vcc_lo
	s_delay_alu instid0(VALU_DEP_1) | instskip(NEXT) | instid1(VALU_DEP_1)
	v_xor_b32_e32 v200, v65, v64
	v_cmp_ne_u32_e32 vcc_lo, 0x7fffffff, v200
	v_cndmask_b32_e32 v64, 0x80000000, v200, vcc_lo
	s_delay_alu instid0(VALU_DEP_1) | instskip(NEXT) | instid1(VALU_DEP_1)
	v_lshrrev_b32_e32 v64, s48, v64
	v_bitop3_b32 v65, v64, 1, s58 bitop3:0x80
	v_and_b32_e32 v66, s58, v64
	s_delay_alu instid0(VALU_DEP_2) | instskip(NEXT) | instid1(VALU_DEP_1)
	v_add_co_u32 v64, s17, v65, -1
	v_cndmask_b32_e64 v65, 0, 1, s17
	s_delay_alu instid0(VALU_DEP_3) | instskip(NEXT) | instid1(VALU_DEP_2)
	v_lshlrev_b32_e32 v67, 30, v66
	v_cmp_ne_u32_e32 vcc_lo, 0, v65
	s_delay_alu instid0(VALU_DEP_2) | instskip(SKIP_2) | instid1(VALU_DEP_3)
	v_not_b32_e32 v65, v67
	v_cmp_gt_i32_e64 s17, 0, v67
	v_bitop3_b32 v64, vcc_lo, exec_lo, v64 bitop3:0x48
	v_dual_ashrrev_i32 v65, 31, v65 :: v_dual_lshlrev_b32 v204, 29, v66
	v_dual_lshlrev_b32 v205, 28, v66 :: v_dual_lshlrev_b32 v206, 27, v66
	v_lshlrev_b32_e32 v207, 26, v66
	s_delay_alu instid0(VALU_DEP_3)
	v_not_b32_e32 v67, v204
	v_lshlrev_b32_e32 v208, 25, v66
	v_cmp_gt_i32_e64 s18, 0, v204
	v_cmp_gt_i32_e64 s19, 0, v205
	v_not_b32_e32 v204, v205
	v_not_b32_e32 v205, v206
	v_ashrrev_i32_e32 v67, 31, v67
	v_cmp_gt_i32_e64 s20, 0, v206
	v_cmp_gt_i32_e64 s21, 0, v207
	v_not_b32_e32 v206, v207
	v_not_b32_e32 v207, v208
	v_dual_ashrrev_i32 v204, 31, v204 :: v_dual_ashrrev_i32 v205, 31, v205
	s_delay_alu instid0(VALU_DEP_3) | instskip(SKIP_2) | instid1(VALU_DEP_4)
	v_dual_ashrrev_i32 v206, 31, v206 :: v_dual_bitop2_b32 v65, s17, v65 bitop3:0x14
	v_xor_b32_e32 v67, s18, v67
	v_cmp_gt_i32_e64 s22, 0, v208
	v_dual_ashrrev_i32 v207, 31, v207 :: v_dual_bitop2_b32 v204, s19, v204 bitop3:0x14
	v_xor_b32_e32 v205, s20, v205
	s_delay_alu instid0(VALU_DEP_4) | instskip(SKIP_3) | instid1(VALU_DEP_4)
	v_bitop3_b32 v64, v64, v67, v65 bitop3:0x80
	v_mad_u32_u24 v65, v66, 36, v25
	v_xor_b32_e32 v67, s21, v206
	v_xor_b32_e32 v206, s22, v207
	v_bitop3_b32 v64, v64, v205, v204 bitop3:0x80
	ds_load_b32 v204, v65 offset:544
	v_mul_u32_u24_e32 v65, 36, v66
	; wave barrier
	v_bitop3_b32 v64, v64, v206, v67 bitop3:0x80
	s_delay_alu instid0(VALU_DEP_2) | instskip(NEXT) | instid1(VALU_DEP_2)
	v_add_nc_u32_e32 v206, v25, v65
	v_mbcnt_lo_u32_b32 v205, v64, 0
	v_cmp_ne_u32_e64 s17, 0, v64
	s_delay_alu instid0(VALU_DEP_2) | instskip(SKIP_1) | instid1(SALU_CYCLE_1)
	v_cmp_eq_u32_e32 vcc_lo, 0, v205
	s_and_b32 s18, s17, vcc_lo
	s_and_saveexec_b32 s17, s18
	s_cbranch_execz .LBB1450_490
; %bb.489:                              ;   in Loop: Header=BB1450_418 Depth=2
	s_wait_dscnt 0x0
	v_bcnt_u32_b32 v64, v64, v204
	ds_store_b32 v206, v64 offset:544
.LBB1450_490:                           ;   in Loop: Header=BB1450_418 Depth=2
	s_or_b32 exec_lo, exec_lo, s17
	; wave barrier
	s_wait_dscnt 0x0
	s_barrier_signal -1
	s_barrier_wait -1
	ds_load_2addr_b32 v[66:67], v90 offset0:136 offset1:137
	ds_load_2addr_b32 v[64:65], v90 offset0:138 offset1:139
	ds_load_b32 v207, v90 offset:560
	s_wait_dscnt 0x1
	v_add3_u32 v208, v67, v66, v64
	s_wait_dscnt 0x0
	s_delay_alu instid0(VALU_DEP_1) | instskip(NEXT) | instid1(VALU_DEP_1)
	v_add3_u32 v207, v208, v65, v207
	v_mov_b32_dpp v208, v207 row_shr:1 row_mask:0xf bank_mask:0xf
	s_delay_alu instid0(VALU_DEP_1) | instskip(NEXT) | instid1(VALU_DEP_1)
	v_cndmask_b32_e64 v208, v208, 0, s9
	v_add_nc_u32_e32 v207, v208, v207
	s_delay_alu instid0(VALU_DEP_1) | instskip(NEXT) | instid1(VALU_DEP_1)
	v_mov_b32_dpp v208, v207 row_shr:2 row_mask:0xf bank_mask:0xf
	v_cndmask_b32_e64 v208, 0, v208, s10
	s_delay_alu instid0(VALU_DEP_1) | instskip(NEXT) | instid1(VALU_DEP_1)
	v_add_nc_u32_e32 v207, v207, v208
	v_mov_b32_dpp v208, v207 row_shr:4 row_mask:0xf bank_mask:0xf
	s_delay_alu instid0(VALU_DEP_1) | instskip(NEXT) | instid1(VALU_DEP_1)
	v_cndmask_b32_e64 v208, 0, v208, s11
	v_add_nc_u32_e32 v207, v207, v208
	s_delay_alu instid0(VALU_DEP_1) | instskip(NEXT) | instid1(VALU_DEP_1)
	v_mov_b32_dpp v208, v207 row_shr:8 row_mask:0xf bank_mask:0xf
	v_cndmask_b32_e64 v208, 0, v208, s12
	s_delay_alu instid0(VALU_DEP_1) | instskip(SKIP_3) | instid1(VALU_DEP_1)
	v_add_nc_u32_e32 v207, v207, v208
	ds_swizzle_b32 v208, v207 offset:swizzle(BROADCAST,32,15)
	s_wait_dscnt 0x0
	v_cndmask_b32_e64 v208, v208, 0, s13
	v_add_nc_u32_e32 v207, v207, v208
	s_and_saveexec_b32 s17, s2
; %bb.491:                              ;   in Loop: Header=BB1450_418 Depth=2
	ds_store_b32 v83, v207 offset:512
; %bb.492:                              ;   in Loop: Header=BB1450_418 Depth=2
	s_or_b32 exec_lo, exec_lo, s17
	s_wait_dscnt 0x0
	s_barrier_signal -1
	s_barrier_wait -1
	s_and_saveexec_b32 s17, s3
	s_cbranch_execz .LBB1450_494
; %bb.493:                              ;   in Loop: Header=BB1450_418 Depth=2
	ds_load_b32 v208, v92 offset:512
	s_wait_dscnt 0x0
	v_mov_b32_dpp v209, v208 row_shr:1 row_mask:0xf bank_mask:0xf
	s_delay_alu instid0(VALU_DEP_1) | instskip(NEXT) | instid1(VALU_DEP_1)
	v_cndmask_b32_e64 v209, v209, 0, s14
	v_add_nc_u32_e32 v208, v209, v208
	s_delay_alu instid0(VALU_DEP_1) | instskip(NEXT) | instid1(VALU_DEP_1)
	v_mov_b32_dpp v209, v208 row_shr:2 row_mask:0xf bank_mask:0xf
	v_cndmask_b32_e64 v209, 0, v209, s15
	s_delay_alu instid0(VALU_DEP_1) | instskip(NEXT) | instid1(VALU_DEP_1)
	v_add_nc_u32_e32 v208, v208, v209
	v_mov_b32_dpp v209, v208 row_shr:4 row_mask:0xf bank_mask:0xf
	s_delay_alu instid0(VALU_DEP_1) | instskip(NEXT) | instid1(VALU_DEP_1)
	v_cndmask_b32_e64 v209, 0, v209, s16
	v_add_nc_u32_e32 v208, v208, v209
	ds_store_b32 v92, v208 offset:512
.LBB1450_494:                           ;   in Loop: Header=BB1450_418 Depth=2
	s_or_b32 exec_lo, exec_lo, s17
	v_mov_b32_e32 v208, 0
	s_wait_dscnt 0x0
	s_barrier_signal -1
	s_barrier_wait -1
	s_and_saveexec_b32 s17, s5
; %bb.495:                              ;   in Loop: Header=BB1450_418 Depth=2
	ds_load_b32 v208, v83 offset:508
; %bb.496:                              ;   in Loop: Header=BB1450_418 Depth=2
	s_or_b32 exec_lo, exec_lo, s17
	s_wait_dscnt 0x0
	v_add_nc_u32_e32 v207, v208, v207
	ds_bpermute_b32 v207, v119, v207
	s_wait_dscnt 0x0
	v_cndmask_b32_e64 v207, v207, v208, s8
	s_delay_alu instid0(VALU_DEP_1) | instskip(NEXT) | instid1(VALU_DEP_1)
	v_cndmask_b32_e64 v207, v207, 0, s6
	v_add_nc_u32_e32 v66, v207, v66
	s_delay_alu instid0(VALU_DEP_1) | instskip(NEXT) | instid1(VALU_DEP_1)
	v_add_nc_u32_e32 v67, v66, v67
	v_add_nc_u32_e32 v64, v67, v64
	s_delay_alu instid0(VALU_DEP_1)
	v_add_nc_u32_e32 v65, v64, v65
	ds_store_2addr_b32 v90, v207, v66 offset0:136 offset1:137
	ds_store_2addr_b32 v90, v67, v64 offset0:138 offset1:139
	ds_store_b32 v90, v65 offset:560
	s_wait_dscnt 0x0
	s_barrier_signal -1
	s_barrier_wait -1
	ds_load_b32 v66, v143 offset:544
	ds_load_b32 v67, v147 offset:544
	;; [unrolled: 1-line block ×17, first 2 shown]
	s_and_saveexec_b32 s17, s0
	s_cbranch_execz .LBB1450_500
; %bb.497:                              ;   in Loop: Header=BB1450_418 Depth=2
	ds_load_b32 v133, v94 offset:544
	v_mov_b32_e32 v138, 0x1100
	s_and_saveexec_b32 s18, s7
; %bb.498:                              ;   in Loop: Header=BB1450_418 Depth=2
	ds_load_b32 v138, v93 offset:544
; %bb.499:                              ;   in Loop: Header=BB1450_418 Depth=2
	s_or_b32 exec_lo, exec_lo, s18
	s_wait_dscnt 0x0
	v_sub_nc_u32_e32 v138, v138, v133
.LBB1450_500:                           ;   in Loop: Header=BB1450_418 Depth=2
	s_or_b32 exec_lo, exec_lo, s17
	s_wait_dscnt 0x0
	s_barrier_signal -1
	s_barrier_wait -1
	s_and_saveexec_b32 s17, s0
	s_cbranch_execz .LBB1450_502
; %bb.501:                              ;   in Loop: Header=BB1450_418 Depth=2
	ds_load_b32 v152, v4
	s_wait_dscnt 0x0
	v_sub_nc_u32_e32 v152, v152, v133
	ds_store_b32 v4, v152
.LBB1450_502:                           ;   in Loop: Header=BB1450_418 Depth=2
	s_or_b32 exec_lo, exec_lo, s17
	v_add3_u32 v156, v155, v154, v147
	v_add_nc_u32_e32 v162, v66, v141
	v_add3_u32 v161, v146, v145, v67
	v_add3_u32 v157, v150, v149, v143
	;; [unrolled: 1-line block ×4, first 2 shown]
	v_dual_lshlrev_b32 v65, 2, v156 :: v_dual_lshlrev_b32 v159, 2, v162
	v_lshlrev_b32_e32 v160, 2, v161
	v_add3_u32 v154, v165, v164, v207
	v_add3_u32 v152, v170, v169, v172
	v_add3_u32 v151, v175, v174, v176
	v_add3_u32 v145, v198, v197, v64
	v_lshlrev_b32_e32 v64, 2, v157
	v_add3_u32 v150, v178, v177, v179
	v_add3_u32 v149, v181, v180, v182
	ds_store_b32 v159, v140 offset:512
	ds_store_b32 v160, v142 offset:512
	v_lshlrev_b32_e32 v140, 2, v155
	v_add3_u32 v147, v185, v184, v186
	v_dual_lshlrev_b32 v142, 2, v154 :: v_dual_lshlrev_b32 v159, 2, v152
	v_add3_u32 v146, v189, v188, v208
	v_add3_u32 v67, v192, v191, v209
	ds_store_b32 v64, v144 offset:512
	ds_store_b32 v65, v148 offset:512
	;; [unrolled: 1-line block ×5, first 2 shown]
	v_dual_lshlrev_b32 v64, 2, v151 :: v_dual_lshlrev_b32 v65, 2, v150
	v_add3_u32 v66, v195, v194, v210
	v_dual_lshlrev_b32 v140, 2, v149 :: v_dual_lshlrev_b32 v142, 2, v147
	v_add3_u32 v141, v205, v204, v167
	v_lshlrev_b32_e32 v144, 2, v146
	ds_store_b32 v64, v168 offset:512
	ds_store_b32 v65, v173 offset:512
	;; [unrolled: 1-line block ×5, first 2 shown]
	v_lshlrev_b32_e32 v64, 2, v67
	v_cmp_lt_u32_e32 vcc_lo, v2, v139
	v_dual_lshlrev_b32 v65, 2, v66 :: v_dual_lshlrev_b32 v140, 2, v145
	v_dual_lshlrev_b32 v142, 2, v143 :: v_dual_lshlrev_b32 v144, 2, v141
	ds_store_b32 v64, v187 offset:512
	ds_store_b32 v65, v190 offset:512
	ds_store_b32 v140, v193 offset:512
	ds_store_b32 v142, v196 offset:512
	ds_store_b32 v144, v200 offset:512
	s_wait_dscnt 0x0
	s_barrier_signal -1
	s_barrier_wait -1
	s_and_saveexec_b32 s18, vcc_lo
	s_cbranch_execnz .LBB1450_575
; %bb.503:                              ;   in Loop: Header=BB1450_418 Depth=2
	s_or_b32 exec_lo, exec_lo, s18
	v_cmp_lt_u32_e64 s17, v3, v139
	s_and_saveexec_b32 s19, s17
	s_cbranch_execnz .LBB1450_576
.LBB1450_504:                           ;   in Loop: Header=BB1450_418 Depth=2
	s_or_b32 exec_lo, exec_lo, s19
	v_cmp_lt_u32_e64 s18, v68, v139
	s_and_saveexec_b32 s20, s18
	s_cbranch_execnz .LBB1450_577
.LBB1450_505:                           ;   in Loop: Header=BB1450_418 Depth=2
	s_or_b32 exec_lo, exec_lo, s20
	v_cmp_lt_u32_e64 s19, v69, v139
	s_and_saveexec_b32 s21, s19
	s_cbranch_execnz .LBB1450_578
.LBB1450_506:                           ;   in Loop: Header=BB1450_418 Depth=2
	s_or_b32 exec_lo, exec_lo, s21
	v_cmp_lt_u32_e64 s20, v70, v139
	s_and_saveexec_b32 s22, s20
	s_cbranch_execnz .LBB1450_579
.LBB1450_507:                           ;   in Loop: Header=BB1450_418 Depth=2
	s_or_b32 exec_lo, exec_lo, s22
	v_cmp_lt_u32_e64 s21, v71, v139
	s_and_saveexec_b32 s23, s21
	s_cbranch_execnz .LBB1450_580
.LBB1450_508:                           ;   in Loop: Header=BB1450_418 Depth=2
	s_or_b32 exec_lo, exec_lo, s23
	v_cmp_lt_u32_e64 s22, v72, v139
	s_and_saveexec_b32 s24, s22
	s_cbranch_execnz .LBB1450_581
.LBB1450_509:                           ;   in Loop: Header=BB1450_418 Depth=2
	s_or_b32 exec_lo, exec_lo, s24
	v_cmp_lt_u32_e64 s23, v73, v139
	s_and_saveexec_b32 s25, s23
	s_cbranch_execnz .LBB1450_582
.LBB1450_510:                           ;   in Loop: Header=BB1450_418 Depth=2
	s_or_b32 exec_lo, exec_lo, s25
	v_cmp_lt_u32_e64 s24, v74, v139
	s_and_saveexec_b32 s26, s24
	s_cbranch_execnz .LBB1450_583
.LBB1450_511:                           ;   in Loop: Header=BB1450_418 Depth=2
	s_or_b32 exec_lo, exec_lo, s26
	v_cmp_lt_u32_e64 s25, v75, v139
	s_and_saveexec_b32 s27, s25
	s_cbranch_execnz .LBB1450_584
.LBB1450_512:                           ;   in Loop: Header=BB1450_418 Depth=2
	s_or_b32 exec_lo, exec_lo, s27
	v_cmp_lt_u32_e64 s26, v76, v139
	s_and_saveexec_b32 s28, s26
	s_cbranch_execnz .LBB1450_585
.LBB1450_513:                           ;   in Loop: Header=BB1450_418 Depth=2
	s_or_b32 exec_lo, exec_lo, s28
	v_cmp_lt_u32_e64 s27, v77, v139
	s_and_saveexec_b32 s29, s27
	s_cbranch_execnz .LBB1450_586
.LBB1450_514:                           ;   in Loop: Header=BB1450_418 Depth=2
	s_or_b32 exec_lo, exec_lo, s29
	v_cmp_lt_u32_e64 s28, v78, v139
	s_and_saveexec_b32 s30, s28
	s_cbranch_execnz .LBB1450_587
.LBB1450_515:                           ;   in Loop: Header=BB1450_418 Depth=2
	s_or_b32 exec_lo, exec_lo, s30
	v_cmp_lt_u32_e64 s29, v79, v139
	s_and_saveexec_b32 s31, s29
	s_cbranch_execnz .LBB1450_588
.LBB1450_516:                           ;   in Loop: Header=BB1450_418 Depth=2
	s_or_b32 exec_lo, exec_lo, s31
	v_cmp_lt_u32_e64 s30, v80, v139
	s_and_saveexec_b32 s33, s30
	s_cbranch_execnz .LBB1450_589
.LBB1450_517:                           ;   in Loop: Header=BB1450_418 Depth=2
	s_or_b32 exec_lo, exec_lo, s33
	v_cmp_lt_u32_e64 s31, v81, v139
	s_and_saveexec_b32 s34, s31
	s_cbranch_execnz .LBB1450_590
.LBB1450_518:                           ;   in Loop: Header=BB1450_418 Depth=2
	s_or_b32 exec_lo, exec_lo, s34
	v_cmp_lt_u32_e64 s33, v82, v139
	s_and_saveexec_b32 s61, s33
	s_cbranch_execz .LBB1450_520
.LBB1450_519:                           ;   in Loop: Header=BB1450_418 Depth=2
	ds_load_b32 v64, v92 offset:16896
	s_wait_dscnt 0x0
	v_cmp_ne_u32_e64 s34, 0x7fffffff, v64
	s_delay_alu instid0(VALU_DEP_1) | instskip(SKIP_1) | instid1(VALU_DEP_1)
	v_cndmask_b32_e64 v65, 0x80000000, v64, s34
	v_cmp_lt_i32_e64 s34, -1, v64
	v_cndmask_b32_e64 v140, 0x80000000, -1, s34
	s_delay_alu instid0(VALU_DEP_1) | instskip(NEXT) | instid1(VALU_DEP_1)
	v_dual_lshrrev_b32 v65, s48, v65 :: v_dual_bitop2_b32 v64, v140, v64 bitop3:0x14
	v_and_b32_e32 v65, s58, v65
	s_delay_alu instid0(VALU_DEP_1)
	v_lshlrev_b32_e32 v65, 2, v65
	ds_load_b32 v65, v65
	s_wait_dscnt 0x0
	v_add_nc_u32_e32 v65, v65, v82
	global_store_b32 v65, v64, s[40:41] scale_offset
.LBB1450_520:                           ;   in Loop: Header=BB1450_418 Depth=2
	s_wait_xcnt 0x0
	s_or_b32 exec_lo, exec_lo, s61
	v_lshl_add_u64 v[64:65], s[42:43], 3, v[26:27]
	v_cmp_lt_u32_e64 s34, v101, v139
	s_and_saveexec_b32 s42, s34
	s_delay_alu instid0(SALU_CYCLE_1)
	s_xor_b32 s34, exec_lo, s42
	s_cbranch_execnz .LBB1450_591
; %bb.521:                              ;   in Loop: Header=BB1450_418 Depth=2
	s_or_b32 exec_lo, exec_lo, s34
	s_delay_alu instid0(SALU_CYCLE_1)
	s_mov_b32 s42, exec_lo
	v_cmpx_lt_u32_e64 v104, v139
	s_cbranch_execnz .LBB1450_592
.LBB1450_522:                           ;   in Loop: Header=BB1450_418 Depth=2
	s_or_b32 exec_lo, exec_lo, s42
	s_delay_alu instid0(SALU_CYCLE_1)
	s_mov_b32 s42, exec_lo
	v_cmpx_lt_u32_e64 v105, v139
	s_cbranch_execnz .LBB1450_593
.LBB1450_523:                           ;   in Loop: Header=BB1450_418 Depth=2
	s_or_b32 exec_lo, exec_lo, s42
	s_delay_alu instid0(SALU_CYCLE_1)
	s_mov_b32 s42, exec_lo
	v_cmpx_lt_u32_e64 v106, v139
	s_cbranch_execnz .LBB1450_594
.LBB1450_524:                           ;   in Loop: Header=BB1450_418 Depth=2
	s_or_b32 exec_lo, exec_lo, s42
	s_delay_alu instid0(SALU_CYCLE_1)
	s_mov_b32 s42, exec_lo
	v_cmpx_lt_u32_e64 v107, v139
	s_cbranch_execnz .LBB1450_595
.LBB1450_525:                           ;   in Loop: Header=BB1450_418 Depth=2
	s_or_b32 exec_lo, exec_lo, s42
	s_delay_alu instid0(SALU_CYCLE_1)
	s_mov_b32 s42, exec_lo
	v_cmpx_lt_u32_e64 v108, v139
	s_cbranch_execnz .LBB1450_596
.LBB1450_526:                           ;   in Loop: Header=BB1450_418 Depth=2
	s_or_b32 exec_lo, exec_lo, s42
	s_delay_alu instid0(SALU_CYCLE_1)
	s_mov_b32 s42, exec_lo
	v_cmpx_lt_u32_e64 v109, v139
	s_cbranch_execnz .LBB1450_597
.LBB1450_527:                           ;   in Loop: Header=BB1450_418 Depth=2
	s_or_b32 exec_lo, exec_lo, s42
	s_delay_alu instid0(SALU_CYCLE_1)
	s_mov_b32 s42, exec_lo
	v_cmpx_lt_u32_e64 v110, v139
	s_cbranch_execnz .LBB1450_598
.LBB1450_528:                           ;   in Loop: Header=BB1450_418 Depth=2
	s_or_b32 exec_lo, exec_lo, s42
	s_delay_alu instid0(SALU_CYCLE_1)
	s_mov_b32 s42, exec_lo
	v_cmpx_lt_u32_e64 v111, v139
	s_cbranch_execnz .LBB1450_599
.LBB1450_529:                           ;   in Loop: Header=BB1450_418 Depth=2
	s_or_b32 exec_lo, exec_lo, s42
	s_delay_alu instid0(SALU_CYCLE_1)
	s_mov_b32 s42, exec_lo
	v_cmpx_lt_u32_e64 v112, v139
	s_cbranch_execnz .LBB1450_600
.LBB1450_530:                           ;   in Loop: Header=BB1450_418 Depth=2
	s_or_b32 exec_lo, exec_lo, s42
	s_delay_alu instid0(SALU_CYCLE_1)
	s_mov_b32 s42, exec_lo
	v_cmpx_lt_u32_e64 v113, v139
	s_cbranch_execnz .LBB1450_601
.LBB1450_531:                           ;   in Loop: Header=BB1450_418 Depth=2
	s_or_b32 exec_lo, exec_lo, s42
	s_delay_alu instid0(SALU_CYCLE_1)
	s_mov_b32 s42, exec_lo
	v_cmpx_lt_u32_e64 v114, v139
	s_cbranch_execnz .LBB1450_602
.LBB1450_532:                           ;   in Loop: Header=BB1450_418 Depth=2
	s_or_b32 exec_lo, exec_lo, s42
	s_delay_alu instid0(SALU_CYCLE_1)
	s_mov_b32 s42, exec_lo
	v_cmpx_lt_u32_e64 v115, v139
	s_cbranch_execnz .LBB1450_603
.LBB1450_533:                           ;   in Loop: Header=BB1450_418 Depth=2
	s_or_b32 exec_lo, exec_lo, s42
	s_delay_alu instid0(SALU_CYCLE_1)
	s_mov_b32 s42, exec_lo
	v_cmpx_lt_u32_e64 v116, v139
	s_cbranch_execnz .LBB1450_604
.LBB1450_534:                           ;   in Loop: Header=BB1450_418 Depth=2
	s_or_b32 exec_lo, exec_lo, s42
	s_delay_alu instid0(SALU_CYCLE_1)
	s_mov_b32 s42, exec_lo
	v_cmpx_lt_u32_e64 v117, v139
	s_cbranch_execnz .LBB1450_605
.LBB1450_535:                           ;   in Loop: Header=BB1450_418 Depth=2
	s_or_b32 exec_lo, exec_lo, s42
	s_delay_alu instid0(SALU_CYCLE_1)
	s_mov_b32 s42, exec_lo
	v_cmpx_lt_u32_e64 v118, v139
	s_cbranch_execnz .LBB1450_606
.LBB1450_536:                           ;   in Loop: Header=BB1450_418 Depth=2
	s_or_b32 exec_lo, exec_lo, s42
	s_delay_alu instid0(SALU_CYCLE_1)
	s_mov_b32 s42, exec_lo
	v_cmpx_lt_u32_e64 v5, v139
	s_cbranch_execnz .LBB1450_607
.LBB1450_537:                           ;   in Loop: Header=BB1450_418 Depth=2
	s_or_b32 exec_lo, exec_lo, s42
	s_and_saveexec_b32 s42, vcc_lo
	s_cbranch_execnz .LBB1450_608
.LBB1450_538:                           ;   in Loop: Header=BB1450_418 Depth=2
	s_or_b32 exec_lo, exec_lo, s42
	s_and_saveexec_b32 s42, s17
	s_cbranch_execnz .LBB1450_609
.LBB1450_539:                           ;   in Loop: Header=BB1450_418 Depth=2
	s_or_b32 exec_lo, exec_lo, s42
	s_and_saveexec_b32 s42, s18
	s_cbranch_execnz .LBB1450_610
.LBB1450_540:                           ;   in Loop: Header=BB1450_418 Depth=2
	s_or_b32 exec_lo, exec_lo, s42
	s_and_saveexec_b32 s42, s19
	s_cbranch_execnz .LBB1450_611
.LBB1450_541:                           ;   in Loop: Header=BB1450_418 Depth=2
	s_or_b32 exec_lo, exec_lo, s42
	s_and_saveexec_b32 s42, s20
	s_cbranch_execnz .LBB1450_612
.LBB1450_542:                           ;   in Loop: Header=BB1450_418 Depth=2
	s_or_b32 exec_lo, exec_lo, s42
	s_and_saveexec_b32 s42, s21
	s_cbranch_execnz .LBB1450_613
.LBB1450_543:                           ;   in Loop: Header=BB1450_418 Depth=2
	s_or_b32 exec_lo, exec_lo, s42
	s_and_saveexec_b32 s42, s22
	s_cbranch_execnz .LBB1450_614
.LBB1450_544:                           ;   in Loop: Header=BB1450_418 Depth=2
	s_or_b32 exec_lo, exec_lo, s42
	s_and_saveexec_b32 s42, s23
	s_cbranch_execnz .LBB1450_615
.LBB1450_545:                           ;   in Loop: Header=BB1450_418 Depth=2
	s_or_b32 exec_lo, exec_lo, s42
	s_and_saveexec_b32 s42, s24
	s_cbranch_execnz .LBB1450_616
.LBB1450_546:                           ;   in Loop: Header=BB1450_418 Depth=2
	s_or_b32 exec_lo, exec_lo, s42
	s_and_saveexec_b32 s42, s25
	s_cbranch_execnz .LBB1450_617
.LBB1450_547:                           ;   in Loop: Header=BB1450_418 Depth=2
	s_or_b32 exec_lo, exec_lo, s42
	s_and_saveexec_b32 s42, s26
	s_cbranch_execnz .LBB1450_618
.LBB1450_548:                           ;   in Loop: Header=BB1450_418 Depth=2
	s_or_b32 exec_lo, exec_lo, s42
	s_and_saveexec_b32 s42, s27
	s_cbranch_execnz .LBB1450_619
.LBB1450_549:                           ;   in Loop: Header=BB1450_418 Depth=2
	s_or_b32 exec_lo, exec_lo, s42
	s_and_saveexec_b32 s42, s28
	s_cbranch_execnz .LBB1450_620
.LBB1450_550:                           ;   in Loop: Header=BB1450_418 Depth=2
	s_or_b32 exec_lo, exec_lo, s42
	s_and_saveexec_b32 s42, s29
	s_cbranch_execnz .LBB1450_621
.LBB1450_551:                           ;   in Loop: Header=BB1450_418 Depth=2
	s_or_b32 exec_lo, exec_lo, s42
	s_and_saveexec_b32 s42, s30
	s_cbranch_execnz .LBB1450_622
.LBB1450_552:                           ;   in Loop: Header=BB1450_418 Depth=2
	s_or_b32 exec_lo, exec_lo, s42
	s_and_saveexec_b32 s42, s31
	s_cbranch_execnz .LBB1450_623
.LBB1450_553:                           ;   in Loop: Header=BB1450_418 Depth=2
	s_or_b32 exec_lo, exec_lo, s42
	s_and_saveexec_b32 s42, s33
	s_cbranch_execz .LBB1450_555
.LBB1450_554:                           ;   in Loop: Header=BB1450_418 Depth=2
	ds_load_b32 v64, v92 offset:16896
	s_wait_dscnt 0x0
	v_cmp_ne_u32_e64 s34, 0x7fffffff, v64
	s_delay_alu instid0(VALU_DEP_1) | instskip(NEXT) | instid1(VALU_DEP_1)
	v_cndmask_b32_e64 v64, 0x80000000, v64, s34
	v_lshrrev_b32_e32 v64, s48, v64
	s_delay_alu instid0(VALU_DEP_1)
	v_and_b32_e32 v120, s58, v64
.LBB1450_555:                           ;   in Loop: Header=BB1450_418 Depth=2
	s_or_b32 exec_lo, exec_lo, s42
	v_dual_lshlrev_b32 v64, 3, v162 :: v_dual_lshlrev_b32 v65, 3, v161
	s_wait_loadcnt 0x0
	s_wait_storecnt 0x0
	s_barrier_signal -1
	s_barrier_wait -1
	ds_store_b64 v64, v[62:63] offset:512
	ds_store_b64 v65, v[60:61] offset:512
	v_dual_lshlrev_b32 v64, 3, v157 :: v_dual_lshlrev_b32 v65, 3, v156
	v_dual_lshlrev_b32 v139, 3, v155 :: v_dual_lshlrev_b32 v140, 3, v154
	v_lshlrev_b32_e32 v142, 3, v152
	ds_store_b64 v64, v[58:59] offset:512
	ds_store_b64 v65, v[56:57] offset:512
	ds_store_b64 v139, v[54:55] offset:512
	ds_store_b64 v140, v[52:53] offset:512
	ds_store_b64 v142, v[50:51] offset:512
	v_dual_lshlrev_b32 v64, 3, v151 :: v_dual_lshlrev_b32 v65, 3, v150
	v_dual_lshlrev_b32 v139, 3, v149 :: v_dual_lshlrev_b32 v140, 3, v147
	v_lshlrev_b32_e32 v142, 3, v146
	ds_store_b64 v64, v[48:49] offset:512
	ds_store_b64 v65, v[46:47] offset:512
	ds_store_b64 v139, v[44:45] offset:512
	;; [unrolled: 8-line block ×3, first 2 shown]
	ds_store_b64 v67, v[32:33] offset:512
	ds_store_b64 v139, v[30:31] offset:512
	s_wait_dscnt 0x0
	s_barrier_signal -1
	s_barrier_wait -1
	s_and_saveexec_b32 s34, vcc_lo
	s_cbranch_execnz .LBB1450_624
; %bb.556:                              ;   in Loop: Header=BB1450_418 Depth=2
	s_or_b32 exec_lo, exec_lo, s34
	s_and_saveexec_b32 s34, s17
	s_cbranch_execnz .LBB1450_625
.LBB1450_557:                           ;   in Loop: Header=BB1450_418 Depth=2
	s_or_b32 exec_lo, exec_lo, s34
	s_and_saveexec_b32 s17, s18
	s_cbranch_execnz .LBB1450_626
.LBB1450_558:                           ;   in Loop: Header=BB1450_418 Depth=2
	s_or_b32 exec_lo, exec_lo, s17
	s_and_saveexec_b32 s17, s19
	s_cbranch_execnz .LBB1450_627
.LBB1450_559:                           ;   in Loop: Header=BB1450_418 Depth=2
	s_or_b32 exec_lo, exec_lo, s17
	s_and_saveexec_b32 s17, s20
	s_cbranch_execnz .LBB1450_628
.LBB1450_560:                           ;   in Loop: Header=BB1450_418 Depth=2
	s_or_b32 exec_lo, exec_lo, s17
	s_and_saveexec_b32 s17, s21
	s_cbranch_execnz .LBB1450_629
.LBB1450_561:                           ;   in Loop: Header=BB1450_418 Depth=2
	s_or_b32 exec_lo, exec_lo, s17
	s_and_saveexec_b32 s17, s22
	s_cbranch_execnz .LBB1450_630
.LBB1450_562:                           ;   in Loop: Header=BB1450_418 Depth=2
	s_or_b32 exec_lo, exec_lo, s17
	s_and_saveexec_b32 s17, s23
	s_cbranch_execnz .LBB1450_631
.LBB1450_563:                           ;   in Loop: Header=BB1450_418 Depth=2
	s_or_b32 exec_lo, exec_lo, s17
	s_and_saveexec_b32 s17, s24
	s_cbranch_execnz .LBB1450_632
.LBB1450_564:                           ;   in Loop: Header=BB1450_418 Depth=2
	s_or_b32 exec_lo, exec_lo, s17
	s_and_saveexec_b32 s17, s25
	s_cbranch_execnz .LBB1450_633
.LBB1450_565:                           ;   in Loop: Header=BB1450_418 Depth=2
	s_or_b32 exec_lo, exec_lo, s17
	s_and_saveexec_b32 s17, s26
	s_cbranch_execnz .LBB1450_634
.LBB1450_566:                           ;   in Loop: Header=BB1450_418 Depth=2
	s_or_b32 exec_lo, exec_lo, s17
	s_and_saveexec_b32 s17, s27
	s_cbranch_execnz .LBB1450_635
.LBB1450_567:                           ;   in Loop: Header=BB1450_418 Depth=2
	s_or_b32 exec_lo, exec_lo, s17
	s_and_saveexec_b32 s17, s28
	s_cbranch_execnz .LBB1450_636
.LBB1450_568:                           ;   in Loop: Header=BB1450_418 Depth=2
	s_or_b32 exec_lo, exec_lo, s17
	s_and_saveexec_b32 s17, s29
	s_cbranch_execnz .LBB1450_637
.LBB1450_569:                           ;   in Loop: Header=BB1450_418 Depth=2
	s_or_b32 exec_lo, exec_lo, s17
	s_and_saveexec_b32 s17, s30
	s_cbranch_execnz .LBB1450_638
.LBB1450_570:                           ;   in Loop: Header=BB1450_418 Depth=2
	s_or_b32 exec_lo, exec_lo, s17
	s_and_saveexec_b32 s17, s31
	s_cbranch_execnz .LBB1450_639
.LBB1450_571:                           ;   in Loop: Header=BB1450_418 Depth=2
	s_or_b32 exec_lo, exec_lo, s17
	s_and_saveexec_b32 s17, s33
	s_cbranch_execz .LBB1450_573
.LBB1450_572:                           ;   in Loop: Header=BB1450_418 Depth=2
	v_lshlrev_b32_e32 v64, 2, v120
	v_add_nc_u32_e32 v65, v92, v4
	ds_load_b32 v66, v64
	ds_load_b64 v[64:65], v65 offset:33280
	s_wait_dscnt 0x1
	v_add_nc_u32_e32 v66, v66, v82
	s_wait_dscnt 0x0
	global_store_b64 v66, v[64:65], s[46:47] scale_offset
.LBB1450_573:                           ;   in Loop: Header=BB1450_418 Depth=2
	s_wait_xcnt 0x0
	s_or_b32 exec_lo, exec_lo, s17
	s_wait_storecnt 0x0
	s_barrier_signal -1
	s_barrier_wait -1
	s_and_saveexec_b32 s17, s0
	s_cbranch_execz .LBB1450_417
; %bb.574:                              ;   in Loop: Header=BB1450_418 Depth=2
	ds_load_b32 v64, v4
	s_wait_dscnt 0x0
	v_add3_u32 v64, v133, v138, v64
	ds_store_b32 v4, v64
	s_branch .LBB1450_417
.LBB1450_575:                           ;   in Loop: Header=BB1450_418 Depth=2
	ds_load_b32 v64, v92 offset:512
	s_wait_dscnt 0x0
	v_cmp_ne_u32_e64 s17, 0x7fffffff, v64
	s_delay_alu instid0(VALU_DEP_1) | instskip(SKIP_1) | instid1(VALU_DEP_1)
	v_cndmask_b32_e64 v65, 0x80000000, v64, s17
	v_cmp_lt_i32_e64 s17, -1, v64
	v_cndmask_b32_e64 v140, 0x80000000, -1, s17
	s_delay_alu instid0(VALU_DEP_1) | instskip(NEXT) | instid1(VALU_DEP_1)
	v_dual_lshrrev_b32 v65, s48, v65 :: v_dual_bitop2_b32 v64, v140, v64 bitop3:0x14
	v_and_b32_e32 v65, s58, v65
	s_delay_alu instid0(VALU_DEP_1)
	v_lshlrev_b32_e32 v65, 2, v65
	ds_load_b32 v65, v65
	s_wait_dscnt 0x0
	v_add_nc_u32_e32 v65, v65, v2
	global_store_b32 v65, v64, s[40:41] scale_offset
	s_wait_xcnt 0x0
	s_or_b32 exec_lo, exec_lo, s18
	v_cmp_lt_u32_e64 s17, v3, v139
	s_and_saveexec_b32 s19, s17
	s_cbranch_execz .LBB1450_504
.LBB1450_576:                           ;   in Loop: Header=BB1450_418 Depth=2
	ds_load_b32 v64, v92 offset:1536
	s_wait_dscnt 0x0
	v_cmp_ne_u32_e64 s18, 0x7fffffff, v64
	s_delay_alu instid0(VALU_DEP_1) | instskip(SKIP_1) | instid1(VALU_DEP_1)
	v_cndmask_b32_e64 v65, 0x80000000, v64, s18
	v_cmp_lt_i32_e64 s18, -1, v64
	v_cndmask_b32_e64 v140, 0x80000000, -1, s18
	s_delay_alu instid0(VALU_DEP_1) | instskip(NEXT) | instid1(VALU_DEP_1)
	v_dual_lshrrev_b32 v65, s48, v65 :: v_dual_bitop2_b32 v64, v140, v64 bitop3:0x14
	v_and_b32_e32 v65, s58, v65
	s_delay_alu instid0(VALU_DEP_1)
	v_lshlrev_b32_e32 v65, 2, v65
	ds_load_b32 v65, v65
	s_wait_dscnt 0x0
	v_add_nc_u32_e32 v65, v65, v3
	global_store_b32 v65, v64, s[40:41] scale_offset
	s_wait_xcnt 0x0
	s_or_b32 exec_lo, exec_lo, s19
	v_cmp_lt_u32_e64 s18, v68, v139
	s_and_saveexec_b32 s20, s18
	s_cbranch_execz .LBB1450_505
.LBB1450_577:                           ;   in Loop: Header=BB1450_418 Depth=2
	ds_load_b32 v64, v92 offset:2560
	s_wait_dscnt 0x0
	v_cmp_ne_u32_e64 s19, 0x7fffffff, v64
	s_delay_alu instid0(VALU_DEP_1) | instskip(SKIP_1) | instid1(VALU_DEP_1)
	v_cndmask_b32_e64 v65, 0x80000000, v64, s19
	v_cmp_lt_i32_e64 s19, -1, v64
	v_cndmask_b32_e64 v140, 0x80000000, -1, s19
	s_delay_alu instid0(VALU_DEP_1) | instskip(NEXT) | instid1(VALU_DEP_1)
	v_dual_lshrrev_b32 v65, s48, v65 :: v_dual_bitop2_b32 v64, v140, v64 bitop3:0x14
	v_and_b32_e32 v65, s58, v65
	s_delay_alu instid0(VALU_DEP_1)
	v_lshlrev_b32_e32 v65, 2, v65
	ds_load_b32 v65, v65
	s_wait_dscnt 0x0
	v_add_nc_u32_e32 v65, v65, v68
	global_store_b32 v65, v64, s[40:41] scale_offset
	s_wait_xcnt 0x0
	s_or_b32 exec_lo, exec_lo, s20
	v_cmp_lt_u32_e64 s19, v69, v139
	s_and_saveexec_b32 s21, s19
	s_cbranch_execz .LBB1450_506
.LBB1450_578:                           ;   in Loop: Header=BB1450_418 Depth=2
	ds_load_b32 v64, v92 offset:3584
	s_wait_dscnt 0x0
	v_cmp_ne_u32_e64 s20, 0x7fffffff, v64
	s_delay_alu instid0(VALU_DEP_1) | instskip(SKIP_1) | instid1(VALU_DEP_1)
	v_cndmask_b32_e64 v65, 0x80000000, v64, s20
	v_cmp_lt_i32_e64 s20, -1, v64
	v_cndmask_b32_e64 v140, 0x80000000, -1, s20
	s_delay_alu instid0(VALU_DEP_1) | instskip(NEXT) | instid1(VALU_DEP_1)
	v_dual_lshrrev_b32 v65, s48, v65 :: v_dual_bitop2_b32 v64, v140, v64 bitop3:0x14
	v_and_b32_e32 v65, s58, v65
	s_delay_alu instid0(VALU_DEP_1)
	v_lshlrev_b32_e32 v65, 2, v65
	ds_load_b32 v65, v65
	s_wait_dscnt 0x0
	v_add_nc_u32_e32 v65, v65, v69
	global_store_b32 v65, v64, s[40:41] scale_offset
	s_wait_xcnt 0x0
	s_or_b32 exec_lo, exec_lo, s21
	v_cmp_lt_u32_e64 s20, v70, v139
	s_and_saveexec_b32 s22, s20
	s_cbranch_execz .LBB1450_507
.LBB1450_579:                           ;   in Loop: Header=BB1450_418 Depth=2
	ds_load_b32 v64, v92 offset:4608
	s_wait_dscnt 0x0
	v_cmp_ne_u32_e64 s21, 0x7fffffff, v64
	s_delay_alu instid0(VALU_DEP_1) | instskip(SKIP_1) | instid1(VALU_DEP_1)
	v_cndmask_b32_e64 v65, 0x80000000, v64, s21
	v_cmp_lt_i32_e64 s21, -1, v64
	v_cndmask_b32_e64 v140, 0x80000000, -1, s21
	s_delay_alu instid0(VALU_DEP_1) | instskip(NEXT) | instid1(VALU_DEP_1)
	v_dual_lshrrev_b32 v65, s48, v65 :: v_dual_bitop2_b32 v64, v140, v64 bitop3:0x14
	v_and_b32_e32 v65, s58, v65
	s_delay_alu instid0(VALU_DEP_1)
	v_lshlrev_b32_e32 v65, 2, v65
	ds_load_b32 v65, v65
	s_wait_dscnt 0x0
	v_add_nc_u32_e32 v65, v65, v70
	global_store_b32 v65, v64, s[40:41] scale_offset
	s_wait_xcnt 0x0
	s_or_b32 exec_lo, exec_lo, s22
	v_cmp_lt_u32_e64 s21, v71, v139
	s_and_saveexec_b32 s23, s21
	s_cbranch_execz .LBB1450_508
.LBB1450_580:                           ;   in Loop: Header=BB1450_418 Depth=2
	ds_load_b32 v64, v92 offset:5632
	s_wait_dscnt 0x0
	v_cmp_ne_u32_e64 s22, 0x7fffffff, v64
	s_delay_alu instid0(VALU_DEP_1) | instskip(SKIP_1) | instid1(VALU_DEP_1)
	v_cndmask_b32_e64 v65, 0x80000000, v64, s22
	v_cmp_lt_i32_e64 s22, -1, v64
	v_cndmask_b32_e64 v140, 0x80000000, -1, s22
	s_delay_alu instid0(VALU_DEP_1) | instskip(NEXT) | instid1(VALU_DEP_1)
	v_dual_lshrrev_b32 v65, s48, v65 :: v_dual_bitop2_b32 v64, v140, v64 bitop3:0x14
	v_and_b32_e32 v65, s58, v65
	s_delay_alu instid0(VALU_DEP_1)
	v_lshlrev_b32_e32 v65, 2, v65
	ds_load_b32 v65, v65
	s_wait_dscnt 0x0
	v_add_nc_u32_e32 v65, v65, v71
	global_store_b32 v65, v64, s[40:41] scale_offset
	s_wait_xcnt 0x0
	s_or_b32 exec_lo, exec_lo, s23
	v_cmp_lt_u32_e64 s22, v72, v139
	s_and_saveexec_b32 s24, s22
	s_cbranch_execz .LBB1450_509
.LBB1450_581:                           ;   in Loop: Header=BB1450_418 Depth=2
	ds_load_b32 v64, v92 offset:6656
	s_wait_dscnt 0x0
	v_cmp_ne_u32_e64 s23, 0x7fffffff, v64
	s_delay_alu instid0(VALU_DEP_1) | instskip(SKIP_1) | instid1(VALU_DEP_1)
	v_cndmask_b32_e64 v65, 0x80000000, v64, s23
	v_cmp_lt_i32_e64 s23, -1, v64
	v_cndmask_b32_e64 v140, 0x80000000, -1, s23
	s_delay_alu instid0(VALU_DEP_1) | instskip(NEXT) | instid1(VALU_DEP_1)
	v_dual_lshrrev_b32 v65, s48, v65 :: v_dual_bitop2_b32 v64, v140, v64 bitop3:0x14
	v_and_b32_e32 v65, s58, v65
	s_delay_alu instid0(VALU_DEP_1)
	v_lshlrev_b32_e32 v65, 2, v65
	ds_load_b32 v65, v65
	s_wait_dscnt 0x0
	v_add_nc_u32_e32 v65, v65, v72
	global_store_b32 v65, v64, s[40:41] scale_offset
	s_wait_xcnt 0x0
	s_or_b32 exec_lo, exec_lo, s24
	v_cmp_lt_u32_e64 s23, v73, v139
	s_and_saveexec_b32 s25, s23
	s_cbranch_execz .LBB1450_510
.LBB1450_582:                           ;   in Loop: Header=BB1450_418 Depth=2
	ds_load_b32 v64, v92 offset:7680
	s_wait_dscnt 0x0
	v_cmp_ne_u32_e64 s24, 0x7fffffff, v64
	s_delay_alu instid0(VALU_DEP_1) | instskip(SKIP_1) | instid1(VALU_DEP_1)
	v_cndmask_b32_e64 v65, 0x80000000, v64, s24
	v_cmp_lt_i32_e64 s24, -1, v64
	v_cndmask_b32_e64 v140, 0x80000000, -1, s24
	s_delay_alu instid0(VALU_DEP_1) | instskip(NEXT) | instid1(VALU_DEP_1)
	v_dual_lshrrev_b32 v65, s48, v65 :: v_dual_bitop2_b32 v64, v140, v64 bitop3:0x14
	v_and_b32_e32 v65, s58, v65
	s_delay_alu instid0(VALU_DEP_1)
	v_lshlrev_b32_e32 v65, 2, v65
	ds_load_b32 v65, v65
	s_wait_dscnt 0x0
	v_add_nc_u32_e32 v65, v65, v73
	global_store_b32 v65, v64, s[40:41] scale_offset
	s_wait_xcnt 0x0
	s_or_b32 exec_lo, exec_lo, s25
	v_cmp_lt_u32_e64 s24, v74, v139
	s_and_saveexec_b32 s26, s24
	s_cbranch_execz .LBB1450_511
.LBB1450_583:                           ;   in Loop: Header=BB1450_418 Depth=2
	ds_load_b32 v64, v92 offset:8704
	s_wait_dscnt 0x0
	v_cmp_ne_u32_e64 s25, 0x7fffffff, v64
	s_delay_alu instid0(VALU_DEP_1) | instskip(SKIP_1) | instid1(VALU_DEP_1)
	v_cndmask_b32_e64 v65, 0x80000000, v64, s25
	v_cmp_lt_i32_e64 s25, -1, v64
	v_cndmask_b32_e64 v140, 0x80000000, -1, s25
	s_delay_alu instid0(VALU_DEP_1) | instskip(NEXT) | instid1(VALU_DEP_1)
	v_dual_lshrrev_b32 v65, s48, v65 :: v_dual_bitop2_b32 v64, v140, v64 bitop3:0x14
	v_and_b32_e32 v65, s58, v65
	s_delay_alu instid0(VALU_DEP_1)
	v_lshlrev_b32_e32 v65, 2, v65
	ds_load_b32 v65, v65
	s_wait_dscnt 0x0
	v_add_nc_u32_e32 v65, v65, v74
	global_store_b32 v65, v64, s[40:41] scale_offset
	s_wait_xcnt 0x0
	s_or_b32 exec_lo, exec_lo, s26
	v_cmp_lt_u32_e64 s25, v75, v139
	s_and_saveexec_b32 s27, s25
	s_cbranch_execz .LBB1450_512
.LBB1450_584:                           ;   in Loop: Header=BB1450_418 Depth=2
	ds_load_b32 v64, v92 offset:9728
	s_wait_dscnt 0x0
	v_cmp_ne_u32_e64 s26, 0x7fffffff, v64
	s_delay_alu instid0(VALU_DEP_1) | instskip(SKIP_1) | instid1(VALU_DEP_1)
	v_cndmask_b32_e64 v65, 0x80000000, v64, s26
	v_cmp_lt_i32_e64 s26, -1, v64
	v_cndmask_b32_e64 v140, 0x80000000, -1, s26
	s_delay_alu instid0(VALU_DEP_1) | instskip(NEXT) | instid1(VALU_DEP_1)
	v_dual_lshrrev_b32 v65, s48, v65 :: v_dual_bitop2_b32 v64, v140, v64 bitop3:0x14
	v_and_b32_e32 v65, s58, v65
	s_delay_alu instid0(VALU_DEP_1)
	v_lshlrev_b32_e32 v65, 2, v65
	ds_load_b32 v65, v65
	s_wait_dscnt 0x0
	v_add_nc_u32_e32 v65, v65, v75
	global_store_b32 v65, v64, s[40:41] scale_offset
	s_wait_xcnt 0x0
	s_or_b32 exec_lo, exec_lo, s27
	v_cmp_lt_u32_e64 s26, v76, v139
	s_and_saveexec_b32 s28, s26
	s_cbranch_execz .LBB1450_513
.LBB1450_585:                           ;   in Loop: Header=BB1450_418 Depth=2
	ds_load_b32 v64, v92 offset:10752
	s_wait_dscnt 0x0
	v_cmp_ne_u32_e64 s27, 0x7fffffff, v64
	s_delay_alu instid0(VALU_DEP_1) | instskip(SKIP_1) | instid1(VALU_DEP_1)
	v_cndmask_b32_e64 v65, 0x80000000, v64, s27
	v_cmp_lt_i32_e64 s27, -1, v64
	v_cndmask_b32_e64 v140, 0x80000000, -1, s27
	s_delay_alu instid0(VALU_DEP_1) | instskip(NEXT) | instid1(VALU_DEP_1)
	v_dual_lshrrev_b32 v65, s48, v65 :: v_dual_bitop2_b32 v64, v140, v64 bitop3:0x14
	v_and_b32_e32 v65, s58, v65
	s_delay_alu instid0(VALU_DEP_1)
	v_lshlrev_b32_e32 v65, 2, v65
	ds_load_b32 v65, v65
	s_wait_dscnt 0x0
	v_add_nc_u32_e32 v65, v65, v76
	global_store_b32 v65, v64, s[40:41] scale_offset
	s_wait_xcnt 0x0
	s_or_b32 exec_lo, exec_lo, s28
	v_cmp_lt_u32_e64 s27, v77, v139
	s_and_saveexec_b32 s29, s27
	s_cbranch_execz .LBB1450_514
.LBB1450_586:                           ;   in Loop: Header=BB1450_418 Depth=2
	ds_load_b32 v64, v92 offset:11776
	s_wait_dscnt 0x0
	v_cmp_ne_u32_e64 s28, 0x7fffffff, v64
	s_delay_alu instid0(VALU_DEP_1) | instskip(SKIP_1) | instid1(VALU_DEP_1)
	v_cndmask_b32_e64 v65, 0x80000000, v64, s28
	v_cmp_lt_i32_e64 s28, -1, v64
	v_cndmask_b32_e64 v140, 0x80000000, -1, s28
	s_delay_alu instid0(VALU_DEP_1) | instskip(NEXT) | instid1(VALU_DEP_1)
	v_dual_lshrrev_b32 v65, s48, v65 :: v_dual_bitop2_b32 v64, v140, v64 bitop3:0x14
	v_and_b32_e32 v65, s58, v65
	s_delay_alu instid0(VALU_DEP_1)
	v_lshlrev_b32_e32 v65, 2, v65
	ds_load_b32 v65, v65
	s_wait_dscnt 0x0
	v_add_nc_u32_e32 v65, v65, v77
	global_store_b32 v65, v64, s[40:41] scale_offset
	s_wait_xcnt 0x0
	s_or_b32 exec_lo, exec_lo, s29
	v_cmp_lt_u32_e64 s28, v78, v139
	s_and_saveexec_b32 s30, s28
	s_cbranch_execz .LBB1450_515
.LBB1450_587:                           ;   in Loop: Header=BB1450_418 Depth=2
	ds_load_b32 v64, v92 offset:12800
	s_wait_dscnt 0x0
	v_cmp_ne_u32_e64 s29, 0x7fffffff, v64
	s_delay_alu instid0(VALU_DEP_1) | instskip(SKIP_1) | instid1(VALU_DEP_1)
	v_cndmask_b32_e64 v65, 0x80000000, v64, s29
	v_cmp_lt_i32_e64 s29, -1, v64
	v_cndmask_b32_e64 v140, 0x80000000, -1, s29
	s_delay_alu instid0(VALU_DEP_1) | instskip(NEXT) | instid1(VALU_DEP_1)
	v_dual_lshrrev_b32 v65, s48, v65 :: v_dual_bitop2_b32 v64, v140, v64 bitop3:0x14
	v_and_b32_e32 v65, s58, v65
	s_delay_alu instid0(VALU_DEP_1)
	v_lshlrev_b32_e32 v65, 2, v65
	ds_load_b32 v65, v65
	s_wait_dscnt 0x0
	v_add_nc_u32_e32 v65, v65, v78
	global_store_b32 v65, v64, s[40:41] scale_offset
	s_wait_xcnt 0x0
	s_or_b32 exec_lo, exec_lo, s30
	v_cmp_lt_u32_e64 s29, v79, v139
	s_and_saveexec_b32 s31, s29
	s_cbranch_execz .LBB1450_516
.LBB1450_588:                           ;   in Loop: Header=BB1450_418 Depth=2
	ds_load_b32 v64, v92 offset:13824
	s_wait_dscnt 0x0
	v_cmp_ne_u32_e64 s30, 0x7fffffff, v64
	s_delay_alu instid0(VALU_DEP_1) | instskip(SKIP_1) | instid1(VALU_DEP_1)
	v_cndmask_b32_e64 v65, 0x80000000, v64, s30
	v_cmp_lt_i32_e64 s30, -1, v64
	v_cndmask_b32_e64 v140, 0x80000000, -1, s30
	s_delay_alu instid0(VALU_DEP_1) | instskip(NEXT) | instid1(VALU_DEP_1)
	v_dual_lshrrev_b32 v65, s48, v65 :: v_dual_bitop2_b32 v64, v140, v64 bitop3:0x14
	v_and_b32_e32 v65, s58, v65
	s_delay_alu instid0(VALU_DEP_1)
	v_lshlrev_b32_e32 v65, 2, v65
	ds_load_b32 v65, v65
	s_wait_dscnt 0x0
	v_add_nc_u32_e32 v65, v65, v79
	global_store_b32 v65, v64, s[40:41] scale_offset
	s_wait_xcnt 0x0
	s_or_b32 exec_lo, exec_lo, s31
	v_cmp_lt_u32_e64 s30, v80, v139
	s_and_saveexec_b32 s33, s30
	s_cbranch_execz .LBB1450_517
.LBB1450_589:                           ;   in Loop: Header=BB1450_418 Depth=2
	ds_load_b32 v64, v92 offset:14848
	s_wait_dscnt 0x0
	v_cmp_ne_u32_e64 s31, 0x7fffffff, v64
	s_delay_alu instid0(VALU_DEP_1) | instskip(SKIP_1) | instid1(VALU_DEP_1)
	v_cndmask_b32_e64 v65, 0x80000000, v64, s31
	v_cmp_lt_i32_e64 s31, -1, v64
	v_cndmask_b32_e64 v140, 0x80000000, -1, s31
	s_delay_alu instid0(VALU_DEP_1) | instskip(NEXT) | instid1(VALU_DEP_1)
	v_dual_lshrrev_b32 v65, s48, v65 :: v_dual_bitop2_b32 v64, v140, v64 bitop3:0x14
	v_and_b32_e32 v65, s58, v65
	s_delay_alu instid0(VALU_DEP_1)
	v_lshlrev_b32_e32 v65, 2, v65
	ds_load_b32 v65, v65
	s_wait_dscnt 0x0
	v_add_nc_u32_e32 v65, v65, v80
	global_store_b32 v65, v64, s[40:41] scale_offset
	s_wait_xcnt 0x0
	s_or_b32 exec_lo, exec_lo, s33
	v_cmp_lt_u32_e64 s31, v81, v139
	s_and_saveexec_b32 s34, s31
	s_cbranch_execz .LBB1450_518
.LBB1450_590:                           ;   in Loop: Header=BB1450_418 Depth=2
	ds_load_b32 v64, v92 offset:15872
	s_wait_dscnt 0x0
	v_cmp_ne_u32_e64 s33, 0x7fffffff, v64
	s_delay_alu instid0(VALU_DEP_1) | instskip(SKIP_1) | instid1(VALU_DEP_1)
	v_cndmask_b32_e64 v65, 0x80000000, v64, s33
	v_cmp_lt_i32_e64 s33, -1, v64
	v_cndmask_b32_e64 v140, 0x80000000, -1, s33
	s_delay_alu instid0(VALU_DEP_1) | instskip(NEXT) | instid1(VALU_DEP_1)
	v_dual_lshrrev_b32 v65, s48, v65 :: v_dual_bitop2_b32 v64, v140, v64 bitop3:0x14
	v_and_b32_e32 v65, s58, v65
	s_delay_alu instid0(VALU_DEP_1)
	v_lshlrev_b32_e32 v65, 2, v65
	ds_load_b32 v65, v65
	s_wait_dscnt 0x0
	v_add_nc_u32_e32 v65, v65, v81
	global_store_b32 v65, v64, s[40:41] scale_offset
	s_wait_xcnt 0x0
	s_or_b32 exec_lo, exec_lo, s34
	v_cmp_lt_u32_e64 s33, v82, v139
	s_and_saveexec_b32 s61, s33
	s_cbranch_execnz .LBB1450_519
	s_branch .LBB1450_520
.LBB1450_591:                           ;   in Loop: Header=BB1450_418 Depth=2
	global_load_b64 v[62:63], v[64:65], off
	s_wait_xcnt 0x0
	s_or_b32 exec_lo, exec_lo, s34
	s_delay_alu instid0(SALU_CYCLE_1)
	s_mov_b32 s42, exec_lo
	v_cmpx_lt_u32_e64 v104, v139
	s_cbranch_execz .LBB1450_522
.LBB1450_592:                           ;   in Loop: Header=BB1450_418 Depth=2
	global_load_b64 v[60:61], v[64:65], off offset:256
	s_wait_xcnt 0x0
	s_or_b32 exec_lo, exec_lo, s42
	s_delay_alu instid0(SALU_CYCLE_1)
	s_mov_b32 s42, exec_lo
	v_cmpx_lt_u32_e64 v105, v139
	s_cbranch_execz .LBB1450_523
.LBB1450_593:                           ;   in Loop: Header=BB1450_418 Depth=2
	global_load_b64 v[58:59], v[64:65], off offset:512
	s_wait_xcnt 0x0
	s_or_b32 exec_lo, exec_lo, s42
	s_delay_alu instid0(SALU_CYCLE_1)
	s_mov_b32 s42, exec_lo
	v_cmpx_lt_u32_e64 v106, v139
	s_cbranch_execz .LBB1450_524
.LBB1450_594:                           ;   in Loop: Header=BB1450_418 Depth=2
	global_load_b64 v[56:57], v[64:65], off offset:768
	s_wait_xcnt 0x0
	s_or_b32 exec_lo, exec_lo, s42
	s_delay_alu instid0(SALU_CYCLE_1)
	s_mov_b32 s42, exec_lo
	v_cmpx_lt_u32_e64 v107, v139
	s_cbranch_execz .LBB1450_525
.LBB1450_595:                           ;   in Loop: Header=BB1450_418 Depth=2
	global_load_b64 v[54:55], v[64:65], off offset:1024
	s_wait_xcnt 0x0
	s_or_b32 exec_lo, exec_lo, s42
	s_delay_alu instid0(SALU_CYCLE_1)
	s_mov_b32 s42, exec_lo
	v_cmpx_lt_u32_e64 v108, v139
	s_cbranch_execz .LBB1450_526
.LBB1450_596:                           ;   in Loop: Header=BB1450_418 Depth=2
	global_load_b64 v[52:53], v[64:65], off offset:1280
	s_wait_xcnt 0x0
	s_or_b32 exec_lo, exec_lo, s42
	s_delay_alu instid0(SALU_CYCLE_1)
	s_mov_b32 s42, exec_lo
	v_cmpx_lt_u32_e64 v109, v139
	s_cbranch_execz .LBB1450_527
.LBB1450_597:                           ;   in Loop: Header=BB1450_418 Depth=2
	global_load_b64 v[50:51], v[64:65], off offset:1536
	s_wait_xcnt 0x0
	s_or_b32 exec_lo, exec_lo, s42
	s_delay_alu instid0(SALU_CYCLE_1)
	s_mov_b32 s42, exec_lo
	v_cmpx_lt_u32_e64 v110, v139
	s_cbranch_execz .LBB1450_528
.LBB1450_598:                           ;   in Loop: Header=BB1450_418 Depth=2
	global_load_b64 v[48:49], v[64:65], off offset:1792
	s_wait_xcnt 0x0
	s_or_b32 exec_lo, exec_lo, s42
	s_delay_alu instid0(SALU_CYCLE_1)
	s_mov_b32 s42, exec_lo
	v_cmpx_lt_u32_e64 v111, v139
	s_cbranch_execz .LBB1450_529
.LBB1450_599:                           ;   in Loop: Header=BB1450_418 Depth=2
	global_load_b64 v[46:47], v[64:65], off offset:2048
	s_wait_xcnt 0x0
	s_or_b32 exec_lo, exec_lo, s42
	s_delay_alu instid0(SALU_CYCLE_1)
	s_mov_b32 s42, exec_lo
	v_cmpx_lt_u32_e64 v112, v139
	s_cbranch_execz .LBB1450_530
.LBB1450_600:                           ;   in Loop: Header=BB1450_418 Depth=2
	global_load_b64 v[44:45], v[64:65], off offset:2304
	s_wait_xcnt 0x0
	s_or_b32 exec_lo, exec_lo, s42
	s_delay_alu instid0(SALU_CYCLE_1)
	s_mov_b32 s42, exec_lo
	v_cmpx_lt_u32_e64 v113, v139
	s_cbranch_execz .LBB1450_531
.LBB1450_601:                           ;   in Loop: Header=BB1450_418 Depth=2
	global_load_b64 v[42:43], v[64:65], off offset:2560
	s_wait_xcnt 0x0
	s_or_b32 exec_lo, exec_lo, s42
	s_delay_alu instid0(SALU_CYCLE_1)
	s_mov_b32 s42, exec_lo
	v_cmpx_lt_u32_e64 v114, v139
	s_cbranch_execz .LBB1450_532
.LBB1450_602:                           ;   in Loop: Header=BB1450_418 Depth=2
	global_load_b64 v[40:41], v[64:65], off offset:2816
	s_wait_xcnt 0x0
	s_or_b32 exec_lo, exec_lo, s42
	s_delay_alu instid0(SALU_CYCLE_1)
	s_mov_b32 s42, exec_lo
	v_cmpx_lt_u32_e64 v115, v139
	s_cbranch_execz .LBB1450_533
.LBB1450_603:                           ;   in Loop: Header=BB1450_418 Depth=2
	global_load_b64 v[38:39], v[64:65], off offset:3072
	s_wait_xcnt 0x0
	s_or_b32 exec_lo, exec_lo, s42
	s_delay_alu instid0(SALU_CYCLE_1)
	s_mov_b32 s42, exec_lo
	v_cmpx_lt_u32_e64 v116, v139
	s_cbranch_execz .LBB1450_534
.LBB1450_604:                           ;   in Loop: Header=BB1450_418 Depth=2
	global_load_b64 v[36:37], v[64:65], off offset:3328
	s_wait_xcnt 0x0
	s_or_b32 exec_lo, exec_lo, s42
	s_delay_alu instid0(SALU_CYCLE_1)
	s_mov_b32 s42, exec_lo
	v_cmpx_lt_u32_e64 v117, v139
	s_cbranch_execz .LBB1450_535
.LBB1450_605:                           ;   in Loop: Header=BB1450_418 Depth=2
	global_load_b64 v[34:35], v[64:65], off offset:3584
	s_wait_xcnt 0x0
	s_or_b32 exec_lo, exec_lo, s42
	s_delay_alu instid0(SALU_CYCLE_1)
	s_mov_b32 s42, exec_lo
	v_cmpx_lt_u32_e64 v118, v139
	s_cbranch_execz .LBB1450_536
.LBB1450_606:                           ;   in Loop: Header=BB1450_418 Depth=2
	global_load_b64 v[32:33], v[64:65], off offset:3840
	s_wait_xcnt 0x0
	s_or_b32 exec_lo, exec_lo, s42
	s_delay_alu instid0(SALU_CYCLE_1)
	s_mov_b32 s42, exec_lo
	v_cmpx_lt_u32_e64 v5, v139
	s_cbranch_execz .LBB1450_537
.LBB1450_607:                           ;   in Loop: Header=BB1450_418 Depth=2
	global_load_b64 v[30:31], v[64:65], off offset:4096
	s_wait_xcnt 0x0
	s_or_b32 exec_lo, exec_lo, s42
	s_and_saveexec_b32 s42, vcc_lo
	s_cbranch_execz .LBB1450_538
.LBB1450_608:                           ;   in Loop: Header=BB1450_418 Depth=2
	ds_load_b32 v64, v92 offset:512
	s_wait_dscnt 0x0
	v_cmp_ne_u32_e64 s34, 0x7fffffff, v64
	s_delay_alu instid0(VALU_DEP_1) | instskip(NEXT) | instid1(VALU_DEP_1)
	v_cndmask_b32_e64 v64, 0x80000000, v64, s34
	v_lshrrev_b32_e32 v64, s48, v64
	s_delay_alu instid0(VALU_DEP_1)
	v_and_b32_e32 v137, s58, v64
	s_or_b32 exec_lo, exec_lo, s42
	s_and_saveexec_b32 s42, s17
	s_cbranch_execz .LBB1450_539
.LBB1450_609:                           ;   in Loop: Header=BB1450_418 Depth=2
	ds_load_b32 v64, v92 offset:1536
	s_wait_dscnt 0x0
	v_cmp_ne_u32_e64 s34, 0x7fffffff, v64
	s_delay_alu instid0(VALU_DEP_1) | instskip(NEXT) | instid1(VALU_DEP_1)
	v_cndmask_b32_e64 v64, 0x80000000, v64, s34
	v_lshrrev_b32_e32 v64, s48, v64
	s_delay_alu instid0(VALU_DEP_1)
	v_and_b32_e32 v136, s58, v64
	s_or_b32 exec_lo, exec_lo, s42
	s_and_saveexec_b32 s42, s18
	s_cbranch_execz .LBB1450_540
.LBB1450_610:                           ;   in Loop: Header=BB1450_418 Depth=2
	ds_load_b32 v64, v92 offset:2560
	s_wait_dscnt 0x0
	v_cmp_ne_u32_e64 s34, 0x7fffffff, v64
	s_delay_alu instid0(VALU_DEP_1) | instskip(NEXT) | instid1(VALU_DEP_1)
	v_cndmask_b32_e64 v64, 0x80000000, v64, s34
	v_lshrrev_b32_e32 v64, s48, v64
	s_delay_alu instid0(VALU_DEP_1)
	v_and_b32_e32 v135, s58, v64
	s_or_b32 exec_lo, exec_lo, s42
	s_and_saveexec_b32 s42, s19
	s_cbranch_execz .LBB1450_541
.LBB1450_611:                           ;   in Loop: Header=BB1450_418 Depth=2
	ds_load_b32 v64, v92 offset:3584
	s_wait_dscnt 0x0
	v_cmp_ne_u32_e64 s34, 0x7fffffff, v64
	s_delay_alu instid0(VALU_DEP_1) | instskip(NEXT) | instid1(VALU_DEP_1)
	v_cndmask_b32_e64 v64, 0x80000000, v64, s34
	v_lshrrev_b32_e32 v64, s48, v64
	s_delay_alu instid0(VALU_DEP_1)
	v_and_b32_e32 v134, s58, v64
	s_or_b32 exec_lo, exec_lo, s42
	s_and_saveexec_b32 s42, s20
	s_cbranch_execz .LBB1450_542
.LBB1450_612:                           ;   in Loop: Header=BB1450_418 Depth=2
	ds_load_b32 v64, v92 offset:4608
	s_wait_dscnt 0x0
	v_cmp_ne_u32_e64 s34, 0x7fffffff, v64
	s_delay_alu instid0(VALU_DEP_1) | instskip(NEXT) | instid1(VALU_DEP_1)
	v_cndmask_b32_e64 v64, 0x80000000, v64, s34
	v_lshrrev_b32_e32 v64, s48, v64
	s_delay_alu instid0(VALU_DEP_1)
	v_and_b32_e32 v132, s58, v64
	s_or_b32 exec_lo, exec_lo, s42
	s_and_saveexec_b32 s42, s21
	s_cbranch_execz .LBB1450_543
.LBB1450_613:                           ;   in Loop: Header=BB1450_418 Depth=2
	ds_load_b32 v64, v92 offset:5632
	s_wait_dscnt 0x0
	v_cmp_ne_u32_e64 s34, 0x7fffffff, v64
	s_delay_alu instid0(VALU_DEP_1) | instskip(NEXT) | instid1(VALU_DEP_1)
	v_cndmask_b32_e64 v64, 0x80000000, v64, s34
	v_lshrrev_b32_e32 v64, s48, v64
	s_delay_alu instid0(VALU_DEP_1)
	v_and_b32_e32 v131, s58, v64
	s_or_b32 exec_lo, exec_lo, s42
	s_and_saveexec_b32 s42, s22
	s_cbranch_execz .LBB1450_544
.LBB1450_614:                           ;   in Loop: Header=BB1450_418 Depth=2
	ds_load_b32 v64, v92 offset:6656
	s_wait_dscnt 0x0
	v_cmp_ne_u32_e64 s34, 0x7fffffff, v64
	s_delay_alu instid0(VALU_DEP_1) | instskip(NEXT) | instid1(VALU_DEP_1)
	v_cndmask_b32_e64 v64, 0x80000000, v64, s34
	v_lshrrev_b32_e32 v64, s48, v64
	s_delay_alu instid0(VALU_DEP_1)
	v_and_b32_e32 v130, s58, v64
	s_or_b32 exec_lo, exec_lo, s42
	s_and_saveexec_b32 s42, s23
	s_cbranch_execz .LBB1450_545
.LBB1450_615:                           ;   in Loop: Header=BB1450_418 Depth=2
	ds_load_b32 v64, v92 offset:7680
	s_wait_dscnt 0x0
	v_cmp_ne_u32_e64 s34, 0x7fffffff, v64
	s_delay_alu instid0(VALU_DEP_1) | instskip(NEXT) | instid1(VALU_DEP_1)
	v_cndmask_b32_e64 v64, 0x80000000, v64, s34
	v_lshrrev_b32_e32 v64, s48, v64
	s_delay_alu instid0(VALU_DEP_1)
	v_and_b32_e32 v129, s58, v64
	s_or_b32 exec_lo, exec_lo, s42
	s_and_saveexec_b32 s42, s24
	s_cbranch_execz .LBB1450_546
.LBB1450_616:                           ;   in Loop: Header=BB1450_418 Depth=2
	ds_load_b32 v64, v92 offset:8704
	s_wait_dscnt 0x0
	v_cmp_ne_u32_e64 s34, 0x7fffffff, v64
	s_delay_alu instid0(VALU_DEP_1) | instskip(NEXT) | instid1(VALU_DEP_1)
	v_cndmask_b32_e64 v64, 0x80000000, v64, s34
	v_lshrrev_b32_e32 v64, s48, v64
	s_delay_alu instid0(VALU_DEP_1)
	v_and_b32_e32 v128, s58, v64
	s_or_b32 exec_lo, exec_lo, s42
	s_and_saveexec_b32 s42, s25
	s_cbranch_execz .LBB1450_547
.LBB1450_617:                           ;   in Loop: Header=BB1450_418 Depth=2
	ds_load_b32 v64, v92 offset:9728
	s_wait_dscnt 0x0
	v_cmp_ne_u32_e64 s34, 0x7fffffff, v64
	s_delay_alu instid0(VALU_DEP_1) | instskip(NEXT) | instid1(VALU_DEP_1)
	v_cndmask_b32_e64 v64, 0x80000000, v64, s34
	v_lshrrev_b32_e32 v64, s48, v64
	s_delay_alu instid0(VALU_DEP_1)
	v_and_b32_e32 v127, s58, v64
	s_or_b32 exec_lo, exec_lo, s42
	s_and_saveexec_b32 s42, s26
	s_cbranch_execz .LBB1450_548
.LBB1450_618:                           ;   in Loop: Header=BB1450_418 Depth=2
	ds_load_b32 v64, v92 offset:10752
	s_wait_dscnt 0x0
	v_cmp_ne_u32_e64 s34, 0x7fffffff, v64
	s_delay_alu instid0(VALU_DEP_1) | instskip(NEXT) | instid1(VALU_DEP_1)
	v_cndmask_b32_e64 v64, 0x80000000, v64, s34
	v_lshrrev_b32_e32 v64, s48, v64
	s_delay_alu instid0(VALU_DEP_1)
	v_and_b32_e32 v126, s58, v64
	s_or_b32 exec_lo, exec_lo, s42
	s_and_saveexec_b32 s42, s27
	s_cbranch_execz .LBB1450_549
.LBB1450_619:                           ;   in Loop: Header=BB1450_418 Depth=2
	ds_load_b32 v64, v92 offset:11776
	s_wait_dscnt 0x0
	v_cmp_ne_u32_e64 s34, 0x7fffffff, v64
	s_delay_alu instid0(VALU_DEP_1) | instskip(NEXT) | instid1(VALU_DEP_1)
	v_cndmask_b32_e64 v64, 0x80000000, v64, s34
	v_lshrrev_b32_e32 v64, s48, v64
	s_delay_alu instid0(VALU_DEP_1)
	v_and_b32_e32 v125, s58, v64
	s_or_b32 exec_lo, exec_lo, s42
	s_and_saveexec_b32 s42, s28
	s_cbranch_execz .LBB1450_550
.LBB1450_620:                           ;   in Loop: Header=BB1450_418 Depth=2
	ds_load_b32 v64, v92 offset:12800
	s_wait_dscnt 0x0
	v_cmp_ne_u32_e64 s34, 0x7fffffff, v64
	s_delay_alu instid0(VALU_DEP_1) | instskip(NEXT) | instid1(VALU_DEP_1)
	v_cndmask_b32_e64 v64, 0x80000000, v64, s34
	v_lshrrev_b32_e32 v64, s48, v64
	s_delay_alu instid0(VALU_DEP_1)
	v_and_b32_e32 v124, s58, v64
	s_or_b32 exec_lo, exec_lo, s42
	s_and_saveexec_b32 s42, s29
	s_cbranch_execz .LBB1450_551
.LBB1450_621:                           ;   in Loop: Header=BB1450_418 Depth=2
	ds_load_b32 v64, v92 offset:13824
	s_wait_dscnt 0x0
	v_cmp_ne_u32_e64 s34, 0x7fffffff, v64
	s_delay_alu instid0(VALU_DEP_1) | instskip(NEXT) | instid1(VALU_DEP_1)
	v_cndmask_b32_e64 v64, 0x80000000, v64, s34
	v_lshrrev_b32_e32 v64, s48, v64
	s_delay_alu instid0(VALU_DEP_1)
	v_and_b32_e32 v123, s58, v64
	s_or_b32 exec_lo, exec_lo, s42
	s_and_saveexec_b32 s42, s30
	s_cbranch_execz .LBB1450_552
.LBB1450_622:                           ;   in Loop: Header=BB1450_418 Depth=2
	ds_load_b32 v64, v92 offset:14848
	s_wait_dscnt 0x0
	v_cmp_ne_u32_e64 s34, 0x7fffffff, v64
	s_delay_alu instid0(VALU_DEP_1) | instskip(NEXT) | instid1(VALU_DEP_1)
	v_cndmask_b32_e64 v64, 0x80000000, v64, s34
	v_lshrrev_b32_e32 v64, s48, v64
	s_delay_alu instid0(VALU_DEP_1)
	v_and_b32_e32 v122, s58, v64
	s_or_b32 exec_lo, exec_lo, s42
	s_and_saveexec_b32 s42, s31
	s_cbranch_execz .LBB1450_553
.LBB1450_623:                           ;   in Loop: Header=BB1450_418 Depth=2
	ds_load_b32 v64, v92 offset:15872
	s_wait_dscnt 0x0
	v_cmp_ne_u32_e64 s34, 0x7fffffff, v64
	s_delay_alu instid0(VALU_DEP_1) | instskip(NEXT) | instid1(VALU_DEP_1)
	v_cndmask_b32_e64 v64, 0x80000000, v64, s34
	v_lshrrev_b32_e32 v64, s48, v64
	s_delay_alu instid0(VALU_DEP_1)
	v_and_b32_e32 v121, s58, v64
	s_or_b32 exec_lo, exec_lo, s42
	s_and_saveexec_b32 s42, s33
	s_cbranch_execnz .LBB1450_554
	s_branch .LBB1450_555
.LBB1450_624:                           ;   in Loop: Header=BB1450_418 Depth=2
	v_dual_lshlrev_b32 v64, 2, v137 :: v_dual_add_nc_u32 v65, v92, v4
	ds_load_b32 v66, v64
	ds_load_b64 v[64:65], v65 offset:512
	s_wait_dscnt 0x1
	v_add_nc_u32_e32 v66, v66, v2
	s_wait_dscnt 0x0
	global_store_b64 v66, v[64:65], s[46:47] scale_offset
	s_wait_xcnt 0x0
	s_or_b32 exec_lo, exec_lo, s34
	s_and_saveexec_b32 s34, s17
	s_cbranch_execz .LBB1450_557
.LBB1450_625:                           ;   in Loop: Header=BB1450_418 Depth=2
	v_lshlrev_b32_e32 v64, 2, v136
	v_add_nc_u32_e32 v65, v92, v4
	ds_load_b32 v66, v64
	ds_load_b64 v[64:65], v65 offset:2560
	s_wait_dscnt 0x1
	v_add_nc_u32_e32 v66, v66, v3
	s_wait_dscnt 0x0
	global_store_b64 v66, v[64:65], s[46:47] scale_offset
	s_wait_xcnt 0x0
	s_or_b32 exec_lo, exec_lo, s34
	s_and_saveexec_b32 s17, s18
	s_cbranch_execz .LBB1450_558
.LBB1450_626:                           ;   in Loop: Header=BB1450_418 Depth=2
	v_dual_lshlrev_b32 v64, 2, v135 :: v_dual_add_nc_u32 v65, v92, v4
	ds_load_b32 v66, v64
	ds_load_b64 v[64:65], v65 offset:4608
	s_wait_dscnt 0x1
	v_add_nc_u32_e32 v66, v66, v68
	s_wait_dscnt 0x0
	global_store_b64 v66, v[64:65], s[46:47] scale_offset
	s_wait_xcnt 0x0
	s_or_b32 exec_lo, exec_lo, s17
	s_and_saveexec_b32 s17, s19
	s_cbranch_execz .LBB1450_559
.LBB1450_627:                           ;   in Loop: Header=BB1450_418 Depth=2
	v_dual_lshlrev_b32 v64, 2, v134 :: v_dual_add_nc_u32 v65, v92, v4
	ds_load_b32 v66, v64
	ds_load_b64 v[64:65], v65 offset:6656
	s_wait_dscnt 0x1
	v_add_nc_u32_e32 v66, v66, v69
	s_wait_dscnt 0x0
	global_store_b64 v66, v[64:65], s[46:47] scale_offset
	s_wait_xcnt 0x0
	s_or_b32 exec_lo, exec_lo, s17
	s_and_saveexec_b32 s17, s20
	s_cbranch_execz .LBB1450_560
.LBB1450_628:                           ;   in Loop: Header=BB1450_418 Depth=2
	v_lshlrev_b32_e32 v64, 2, v132
	v_add_nc_u32_e32 v65, v92, v4
	ds_load_b32 v66, v64
	ds_load_b64 v[64:65], v65 offset:8704
	s_wait_dscnt 0x1
	v_add_nc_u32_e32 v66, v66, v70
	s_wait_dscnt 0x0
	global_store_b64 v66, v[64:65], s[46:47] scale_offset
	s_wait_xcnt 0x0
	s_or_b32 exec_lo, exec_lo, s17
	s_and_saveexec_b32 s17, s21
	s_cbranch_execz .LBB1450_561
.LBB1450_629:                           ;   in Loop: Header=BB1450_418 Depth=2
	v_dual_lshlrev_b32 v64, 2, v131 :: v_dual_add_nc_u32 v65, v92, v4
	ds_load_b32 v66, v64
	ds_load_b64 v[64:65], v65 offset:10752
	s_wait_dscnt 0x1
	v_add_nc_u32_e32 v66, v66, v71
	s_wait_dscnt 0x0
	global_store_b64 v66, v[64:65], s[46:47] scale_offset
	s_wait_xcnt 0x0
	s_or_b32 exec_lo, exec_lo, s17
	s_and_saveexec_b32 s17, s22
	s_cbranch_execz .LBB1450_562
.LBB1450_630:                           ;   in Loop: Header=BB1450_418 Depth=2
	v_dual_lshlrev_b32 v64, 2, v130 :: v_dual_add_nc_u32 v65, v92, v4
	ds_load_b32 v66, v64
	ds_load_b64 v[64:65], v65 offset:12800
	s_wait_dscnt 0x1
	v_add_nc_u32_e32 v66, v66, v72
	s_wait_dscnt 0x0
	global_store_b64 v66, v[64:65], s[46:47] scale_offset
	s_wait_xcnt 0x0
	s_or_b32 exec_lo, exec_lo, s17
	s_and_saveexec_b32 s17, s23
	s_cbranch_execz .LBB1450_563
.LBB1450_631:                           ;   in Loop: Header=BB1450_418 Depth=2
	v_dual_lshlrev_b32 v64, 2, v129 :: v_dual_add_nc_u32 v65, v92, v4
	ds_load_b32 v66, v64
	ds_load_b64 v[64:65], v65 offset:14848
	s_wait_dscnt 0x1
	v_add_nc_u32_e32 v66, v66, v73
	s_wait_dscnt 0x0
	global_store_b64 v66, v[64:65], s[46:47] scale_offset
	s_wait_xcnt 0x0
	s_or_b32 exec_lo, exec_lo, s17
	s_and_saveexec_b32 s17, s24
	s_cbranch_execz .LBB1450_564
.LBB1450_632:                           ;   in Loop: Header=BB1450_418 Depth=2
	v_lshlrev_b32_e32 v64, 2, v128
	v_add_nc_u32_e32 v65, v92, v4
	ds_load_b32 v66, v64
	ds_load_b64 v[64:65], v65 offset:16896
	s_wait_dscnt 0x1
	v_add_nc_u32_e32 v66, v66, v74
	s_wait_dscnt 0x0
	global_store_b64 v66, v[64:65], s[46:47] scale_offset
	s_wait_xcnt 0x0
	s_or_b32 exec_lo, exec_lo, s17
	s_and_saveexec_b32 s17, s25
	s_cbranch_execz .LBB1450_565
.LBB1450_633:                           ;   in Loop: Header=BB1450_418 Depth=2
	v_dual_lshlrev_b32 v64, 2, v127 :: v_dual_add_nc_u32 v65, v92, v4
	ds_load_b32 v66, v64
	ds_load_b64 v[64:65], v65 offset:18944
	s_wait_dscnt 0x1
	v_add_nc_u32_e32 v66, v66, v75
	s_wait_dscnt 0x0
	global_store_b64 v66, v[64:65], s[46:47] scale_offset
	s_wait_xcnt 0x0
	s_or_b32 exec_lo, exec_lo, s17
	s_and_saveexec_b32 s17, s26
	s_cbranch_execz .LBB1450_566
.LBB1450_634:                           ;   in Loop: Header=BB1450_418 Depth=2
	v_dual_lshlrev_b32 v64, 2, v126 :: v_dual_add_nc_u32 v65, v92, v4
	ds_load_b32 v66, v64
	ds_load_b64 v[64:65], v65 offset:20992
	s_wait_dscnt 0x1
	v_add_nc_u32_e32 v66, v66, v76
	s_wait_dscnt 0x0
	global_store_b64 v66, v[64:65], s[46:47] scale_offset
	s_wait_xcnt 0x0
	s_or_b32 exec_lo, exec_lo, s17
	s_and_saveexec_b32 s17, s27
	s_cbranch_execz .LBB1450_567
.LBB1450_635:                           ;   in Loop: Header=BB1450_418 Depth=2
	v_dual_lshlrev_b32 v64, 2, v125 :: v_dual_add_nc_u32 v65, v92, v4
	ds_load_b32 v66, v64
	ds_load_b64 v[64:65], v65 offset:23040
	s_wait_dscnt 0x1
	v_add_nc_u32_e32 v66, v66, v77
	s_wait_dscnt 0x0
	global_store_b64 v66, v[64:65], s[46:47] scale_offset
	s_wait_xcnt 0x0
	s_or_b32 exec_lo, exec_lo, s17
	s_and_saveexec_b32 s17, s28
	s_cbranch_execz .LBB1450_568
.LBB1450_636:                           ;   in Loop: Header=BB1450_418 Depth=2
	v_lshlrev_b32_e32 v64, 2, v124
	v_add_nc_u32_e32 v65, v92, v4
	ds_load_b32 v66, v64
	ds_load_b64 v[64:65], v65 offset:25088
	s_wait_dscnt 0x1
	v_add_nc_u32_e32 v66, v66, v78
	s_wait_dscnt 0x0
	global_store_b64 v66, v[64:65], s[46:47] scale_offset
	s_wait_xcnt 0x0
	s_or_b32 exec_lo, exec_lo, s17
	s_and_saveexec_b32 s17, s29
	s_cbranch_execz .LBB1450_569
.LBB1450_637:                           ;   in Loop: Header=BB1450_418 Depth=2
	v_dual_lshlrev_b32 v64, 2, v123 :: v_dual_add_nc_u32 v65, v92, v4
	ds_load_b32 v66, v64
	ds_load_b64 v[64:65], v65 offset:27136
	s_wait_dscnt 0x1
	v_add_nc_u32_e32 v66, v66, v79
	s_wait_dscnt 0x0
	global_store_b64 v66, v[64:65], s[46:47] scale_offset
	s_wait_xcnt 0x0
	s_or_b32 exec_lo, exec_lo, s17
	s_and_saveexec_b32 s17, s30
	s_cbranch_execz .LBB1450_570
.LBB1450_638:                           ;   in Loop: Header=BB1450_418 Depth=2
	v_dual_lshlrev_b32 v64, 2, v122 :: v_dual_add_nc_u32 v65, v92, v4
	ds_load_b32 v66, v64
	ds_load_b64 v[64:65], v65 offset:29184
	s_wait_dscnt 0x1
	v_add_nc_u32_e32 v66, v66, v80
	s_wait_dscnt 0x0
	global_store_b64 v66, v[64:65], s[46:47] scale_offset
	s_wait_xcnt 0x0
	s_or_b32 exec_lo, exec_lo, s17
	s_and_saveexec_b32 s17, s31
	s_cbranch_execz .LBB1450_571
.LBB1450_639:                           ;   in Loop: Header=BB1450_418 Depth=2
	v_dual_lshlrev_b32 v64, 2, v121 :: v_dual_add_nc_u32 v65, v92, v4
	ds_load_b32 v66, v64
	ds_load_b64 v[64:65], v65 offset:31232
	s_wait_dscnt 0x1
	v_add_nc_u32_e32 v66, v66, v81
	s_wait_dscnt 0x0
	global_store_b64 v66, v[64:65], s[46:47] scale_offset
	s_wait_xcnt 0x0
	s_or_b32 exec_lo, exec_lo, s17
	s_and_saveexec_b32 s17, s33
	s_cbranch_execnz .LBB1450_572
	s_branch .LBB1450_573
.LBB1450_640:                           ;   in Loop: Header=BB1450_20 Depth=1
	s_wait_dscnt 0x0
	s_barrier_signal -1
	s_barrier_wait -1
.LBB1450_641:                           ;   in Loop: Header=BB1450_20 Depth=1
	s_mov_b32 s9, 0
.LBB1450_642:                           ;   in Loop: Header=BB1450_20 Depth=1
	s_delay_alu instid0(SALU_CYCLE_1)
	s_and_not1_b32 vcc_lo, exec_lo, s9
	s_cbranch_vccnz .LBB1450_19
; %bb.643:                              ;   in Loop: Header=BB1450_20 Depth=1
	s_and_b32 vcc_lo, exec_lo, s56
	s_mov_b32 s9, -1
	s_cbranch_vccz .LBB1450_953
; %bb.644:                              ;   in Loop: Header=BB1450_20 Depth=1
	s_mov_b32 s9, s57
	s_mov_b32 s42, s55
	s_barrier_signal -1
	s_barrier_wait -1
                                        ; implicit-def: $vgpr25
                                        ; implicit-def: $vgpr26
                                        ; implicit-def: $vgpr27
                                        ; implicit-def: $vgpr28
                                        ; implicit-def: $vgpr29
                                        ; implicit-def: $vgpr30
                                        ; implicit-def: $vgpr31
                                        ; implicit-def: $vgpr32
                                        ; implicit-def: $vgpr33
                                        ; implicit-def: $vgpr34
                                        ; implicit-def: $vgpr35
                                        ; implicit-def: $vgpr36
                                        ; implicit-def: $vgpr37
                                        ; implicit-def: $vgpr38
                                        ; implicit-def: $vgpr39
                                        ; implicit-def: $vgpr40
                                        ; implicit-def: $vgpr41
	s_branch .LBB1450_646
.LBB1450_645:                           ;   in Loop: Header=BB1450_646 Depth=2
	s_or_b32 exec_lo, exec_lo, s10
	s_addk_co_i32 s9, 0xef00
	s_cmp_ge_u32 s12, s54
	s_mov_b32 s42, s12
	s_cbranch_scc1 .LBB1450_718
.LBB1450_646:                           ;   Parent Loop BB1450_20 Depth=1
                                        ; =>  This Inner Loop Header: Depth=2
	s_add_co_i32 s12, s42, 0x1100
	s_mov_b32 s10, -1
	s_cmp_gt_u32 s12, s54
                                        ; implicit-def: $vgpr42
                                        ; implicit-def: $vgpr43
                                        ; implicit-def: $vgpr44
                                        ; implicit-def: $vgpr45
                                        ; implicit-def: $vgpr46
                                        ; implicit-def: $vgpr47
                                        ; implicit-def: $vgpr48
                                        ; implicit-def: $vgpr49
                                        ; implicit-def: $vgpr50
                                        ; implicit-def: $vgpr51
                                        ; implicit-def: $vgpr52
                                        ; implicit-def: $vgpr53
                                        ; implicit-def: $vgpr54
                                        ; implicit-def: $vgpr55
                                        ; implicit-def: $vgpr56
                                        ; implicit-def: $vgpr57
                                        ; implicit-def: $vgpr58
	s_cbranch_scc1 .LBB1450_648
; %bb.647:                              ;   in Loop: Header=BB1450_646 Depth=2
	v_lshl_add_u64 v[60:61], s[42:43], 2, v[22:23]
	s_mov_b32 s10, 0
	s_clause 0x10
	global_load_b32 v42, v[60:61], off
	global_load_b32 v43, v[60:61], off offset:1024
	global_load_b32 v44, v[60:61], off offset:2048
	;; [unrolled: 1-line block ×16, first 2 shown]
.LBB1450_648:                           ;   in Loop: Header=BB1450_646 Depth=2
	s_and_not1_b32 vcc_lo, exec_lo, s10
	s_movk_i32 s10, 0x1100
	s_cbranch_vccnz .LBB1450_668
; %bb.649:                              ;   in Loop: Header=BB1450_646 Depth=2
	s_lshl_b64 s[10:11], s[42:43], 2
	s_mov_b32 s13, exec_lo
	s_add_nc_u64 s[10:11], s[36:37], s[10:11]
	s_wait_xcnt 0x0
	v_cmpx_gt_u32_e64 s9, v2
	s_cbranch_execnz .LBB1450_702
; %bb.650:                              ;   in Loop: Header=BB1450_646 Depth=2
	s_or_b32 exec_lo, exec_lo, s13
	s_delay_alu instid0(SALU_CYCLE_1)
	s_mov_b32 s13, exec_lo
	v_cmpx_gt_u32_e64 s9, v3
	s_cbranch_execnz .LBB1450_703
.LBB1450_651:                           ;   in Loop: Header=BB1450_646 Depth=2
	s_or_b32 exec_lo, exec_lo, s13
	s_delay_alu instid0(SALU_CYCLE_1)
	s_mov_b32 s13, exec_lo
	v_cmpx_gt_u32_e64 s9, v68
	s_cbranch_execnz .LBB1450_704
.LBB1450_652:                           ;   in Loop: Header=BB1450_646 Depth=2
	s_or_b32 exec_lo, exec_lo, s13
	s_delay_alu instid0(SALU_CYCLE_1)
	s_mov_b32 s13, exec_lo
	v_cmpx_gt_u32_e64 s9, v69
	s_cbranch_execnz .LBB1450_705
.LBB1450_653:                           ;   in Loop: Header=BB1450_646 Depth=2
	s_or_b32 exec_lo, exec_lo, s13
	s_delay_alu instid0(SALU_CYCLE_1)
	s_mov_b32 s13, exec_lo
	v_cmpx_gt_u32_e64 s9, v70
	s_cbranch_execnz .LBB1450_706
.LBB1450_654:                           ;   in Loop: Header=BB1450_646 Depth=2
	s_or_b32 exec_lo, exec_lo, s13
	s_delay_alu instid0(SALU_CYCLE_1)
	s_mov_b32 s13, exec_lo
	v_cmpx_gt_u32_e64 s9, v71
	s_cbranch_execnz .LBB1450_707
.LBB1450_655:                           ;   in Loop: Header=BB1450_646 Depth=2
	s_or_b32 exec_lo, exec_lo, s13
	s_delay_alu instid0(SALU_CYCLE_1)
	s_mov_b32 s13, exec_lo
	v_cmpx_gt_u32_e64 s9, v72
	s_cbranch_execnz .LBB1450_708
.LBB1450_656:                           ;   in Loop: Header=BB1450_646 Depth=2
	s_or_b32 exec_lo, exec_lo, s13
	s_delay_alu instid0(SALU_CYCLE_1)
	s_mov_b32 s13, exec_lo
	v_cmpx_gt_u32_e64 s9, v73
	s_cbranch_execnz .LBB1450_709
.LBB1450_657:                           ;   in Loop: Header=BB1450_646 Depth=2
	s_or_b32 exec_lo, exec_lo, s13
	s_delay_alu instid0(SALU_CYCLE_1)
	s_mov_b32 s13, exec_lo
	v_cmpx_gt_u32_e64 s9, v74
	s_cbranch_execnz .LBB1450_710
.LBB1450_658:                           ;   in Loop: Header=BB1450_646 Depth=2
	s_or_b32 exec_lo, exec_lo, s13
	s_delay_alu instid0(SALU_CYCLE_1)
	s_mov_b32 s13, exec_lo
	v_cmpx_gt_u32_e64 s9, v75
	s_cbranch_execnz .LBB1450_711
.LBB1450_659:                           ;   in Loop: Header=BB1450_646 Depth=2
	s_or_b32 exec_lo, exec_lo, s13
	s_delay_alu instid0(SALU_CYCLE_1)
	s_mov_b32 s13, exec_lo
	v_cmpx_gt_u32_e64 s9, v76
	s_cbranch_execnz .LBB1450_712
.LBB1450_660:                           ;   in Loop: Header=BB1450_646 Depth=2
	s_or_b32 exec_lo, exec_lo, s13
	s_delay_alu instid0(SALU_CYCLE_1)
	s_mov_b32 s13, exec_lo
	v_cmpx_gt_u32_e64 s9, v77
	s_cbranch_execnz .LBB1450_713
.LBB1450_661:                           ;   in Loop: Header=BB1450_646 Depth=2
	s_or_b32 exec_lo, exec_lo, s13
	s_delay_alu instid0(SALU_CYCLE_1)
	s_mov_b32 s13, exec_lo
	v_cmpx_gt_u32_e64 s9, v78
	s_cbranch_execnz .LBB1450_714
.LBB1450_662:                           ;   in Loop: Header=BB1450_646 Depth=2
	s_or_b32 exec_lo, exec_lo, s13
	s_delay_alu instid0(SALU_CYCLE_1)
	s_mov_b32 s13, exec_lo
	v_cmpx_gt_u32_e64 s9, v79
	s_cbranch_execnz .LBB1450_715
.LBB1450_663:                           ;   in Loop: Header=BB1450_646 Depth=2
	s_or_b32 exec_lo, exec_lo, s13
	s_delay_alu instid0(SALU_CYCLE_1)
	s_mov_b32 s13, exec_lo
	v_cmpx_gt_u32_e64 s9, v80
	s_cbranch_execnz .LBB1450_716
.LBB1450_664:                           ;   in Loop: Header=BB1450_646 Depth=2
	s_or_b32 exec_lo, exec_lo, s13
	s_delay_alu instid0(SALU_CYCLE_1)
	s_mov_b32 s13, exec_lo
	v_cmpx_gt_u32_e64 s9, v81
	s_cbranch_execnz .LBB1450_717
.LBB1450_665:                           ;   in Loop: Header=BB1450_646 Depth=2
	s_or_b32 exec_lo, exec_lo, s13
	s_delay_alu instid0(SALU_CYCLE_1)
	s_mov_b32 s13, exec_lo
	v_cmpx_gt_u32_e64 s9, v82
	s_cbranch_execz .LBB1450_667
.LBB1450_666:                           ;   in Loop: Header=BB1450_646 Depth=2
	global_load_b32 v25, v2, s[10:11] offset:16384 scale_offset
.LBB1450_667:                           ;   in Loop: Header=BB1450_646 Depth=2
	s_wait_xcnt 0x0
	s_or_b32 exec_lo, exec_lo, s13
	s_wait_loadcnt 0x0
	v_dual_mov_b32 v42, v41 :: v_dual_mov_b32 v43, v40
	v_dual_mov_b32 v44, v39 :: v_dual_mov_b32 v45, v38
	v_dual_mov_b32 v46, v37 :: v_dual_mov_b32 v47, v36
	v_dual_mov_b32 v48, v35 :: v_dual_mov_b32 v49, v34
	v_dual_mov_b32 v50, v33 :: v_dual_mov_b32 v51, v32
	v_dual_mov_b32 v52, v31 :: v_dual_mov_b32 v53, v30
	v_dual_mov_b32 v54, v29 :: v_dual_mov_b32 v55, v28
	v_dual_mov_b32 v56, v27 :: v_dual_mov_b32 v57, v26
	v_mov_b32_e32 v58, v25
	s_mov_b32 s10, s9
.LBB1450_668:                           ;   in Loop: Header=BB1450_646 Depth=2
	s_wait_loadcnt 0x0
	s_delay_alu instid0(VALU_DEP_1)
	v_dual_mov_b32 v25, v58 :: v_dual_mov_b32 v26, v57
	v_dual_mov_b32 v27, v56 :: v_dual_mov_b32 v28, v55
	;; [unrolled: 1-line block ×8, first 2 shown]
	v_mov_b32_e32 v41, v42
	s_mov_b32 s11, exec_lo
	s_wait_xcnt 0x0
	v_cmpx_gt_u32_e64 s10, v2
	s_cbranch_execnz .LBB1450_685
; %bb.669:                              ;   in Loop: Header=BB1450_646 Depth=2
	s_or_b32 exec_lo, exec_lo, s11
	s_delay_alu instid0(SALU_CYCLE_1)
	s_mov_b32 s11, exec_lo
	v_cmpx_gt_u32_e64 s10, v3
	s_cbranch_execnz .LBB1450_686
.LBB1450_670:                           ;   in Loop: Header=BB1450_646 Depth=2
	s_or_b32 exec_lo, exec_lo, s11
	s_delay_alu instid0(SALU_CYCLE_1)
	s_mov_b32 s11, exec_lo
	v_cmpx_gt_u32_e64 s10, v68
	s_cbranch_execnz .LBB1450_687
.LBB1450_671:                           ;   in Loop: Header=BB1450_646 Depth=2
	s_or_b32 exec_lo, exec_lo, s11
	s_delay_alu instid0(SALU_CYCLE_1)
	s_mov_b32 s11, exec_lo
	v_cmpx_gt_u32_e64 s10, v69
	s_cbranch_execnz .LBB1450_688
.LBB1450_672:                           ;   in Loop: Header=BB1450_646 Depth=2
	s_or_b32 exec_lo, exec_lo, s11
	s_delay_alu instid0(SALU_CYCLE_1)
	s_mov_b32 s11, exec_lo
	v_cmpx_gt_u32_e64 s10, v70
	s_cbranch_execnz .LBB1450_689
.LBB1450_673:                           ;   in Loop: Header=BB1450_646 Depth=2
	s_or_b32 exec_lo, exec_lo, s11
	s_delay_alu instid0(SALU_CYCLE_1)
	s_mov_b32 s11, exec_lo
	v_cmpx_gt_u32_e64 s10, v71
	s_cbranch_execnz .LBB1450_690
.LBB1450_674:                           ;   in Loop: Header=BB1450_646 Depth=2
	s_or_b32 exec_lo, exec_lo, s11
	s_delay_alu instid0(SALU_CYCLE_1)
	s_mov_b32 s11, exec_lo
	v_cmpx_gt_u32_e64 s10, v72
	s_cbranch_execnz .LBB1450_691
.LBB1450_675:                           ;   in Loop: Header=BB1450_646 Depth=2
	s_or_b32 exec_lo, exec_lo, s11
	s_delay_alu instid0(SALU_CYCLE_1)
	s_mov_b32 s11, exec_lo
	v_cmpx_gt_u32_e64 s10, v73
	s_cbranch_execnz .LBB1450_692
.LBB1450_676:                           ;   in Loop: Header=BB1450_646 Depth=2
	s_or_b32 exec_lo, exec_lo, s11
	s_delay_alu instid0(SALU_CYCLE_1)
	s_mov_b32 s11, exec_lo
	v_cmpx_gt_u32_e64 s10, v74
	s_cbranch_execnz .LBB1450_693
.LBB1450_677:                           ;   in Loop: Header=BB1450_646 Depth=2
	s_or_b32 exec_lo, exec_lo, s11
	s_delay_alu instid0(SALU_CYCLE_1)
	s_mov_b32 s11, exec_lo
	v_cmpx_gt_u32_e64 s10, v75
	s_cbranch_execnz .LBB1450_694
.LBB1450_678:                           ;   in Loop: Header=BB1450_646 Depth=2
	s_or_b32 exec_lo, exec_lo, s11
	s_delay_alu instid0(SALU_CYCLE_1)
	s_mov_b32 s11, exec_lo
	v_cmpx_gt_u32_e64 s10, v76
	s_cbranch_execnz .LBB1450_695
.LBB1450_679:                           ;   in Loop: Header=BB1450_646 Depth=2
	s_or_b32 exec_lo, exec_lo, s11
	s_delay_alu instid0(SALU_CYCLE_1)
	s_mov_b32 s11, exec_lo
	v_cmpx_gt_u32_e64 s10, v77
	s_cbranch_execnz .LBB1450_696
.LBB1450_680:                           ;   in Loop: Header=BB1450_646 Depth=2
	s_or_b32 exec_lo, exec_lo, s11
	s_delay_alu instid0(SALU_CYCLE_1)
	s_mov_b32 s11, exec_lo
	v_cmpx_gt_u32_e64 s10, v78
	s_cbranch_execnz .LBB1450_697
.LBB1450_681:                           ;   in Loop: Header=BB1450_646 Depth=2
	s_or_b32 exec_lo, exec_lo, s11
	s_delay_alu instid0(SALU_CYCLE_1)
	s_mov_b32 s11, exec_lo
	v_cmpx_gt_u32_e64 s10, v79
	s_cbranch_execnz .LBB1450_698
.LBB1450_682:                           ;   in Loop: Header=BB1450_646 Depth=2
	s_or_b32 exec_lo, exec_lo, s11
	s_delay_alu instid0(SALU_CYCLE_1)
	s_mov_b32 s11, exec_lo
	v_cmpx_gt_u32_e64 s10, v80
	s_cbranch_execnz .LBB1450_699
.LBB1450_683:                           ;   in Loop: Header=BB1450_646 Depth=2
	s_or_b32 exec_lo, exec_lo, s11
	s_delay_alu instid0(SALU_CYCLE_1)
	s_mov_b32 s11, exec_lo
	v_cmpx_gt_u32_e64 s10, v81
	s_cbranch_execnz .LBB1450_700
.LBB1450_684:                           ;   in Loop: Header=BB1450_646 Depth=2
	s_or_b32 exec_lo, exec_lo, s11
	v_cmp_gt_u32_e32 vcc_lo, s10, v82
	s_and_saveexec_b32 s10, vcc_lo
	s_cbranch_execz .LBB1450_645
	s_branch .LBB1450_701
.LBB1450_685:                           ;   in Loop: Header=BB1450_646 Depth=2
	v_cmp_lt_i32_e32 vcc_lo, -1, v41
	v_cndmask_b32_e64 v42, -1, 0x80000000, vcc_lo
	s_delay_alu instid0(VALU_DEP_1) | instskip(NEXT) | instid1(VALU_DEP_1)
	v_xor_b32_e32 v42, v42, v41
	v_cmp_ne_u32_e32 vcc_lo, 0x7fffffff, v42
	v_cndmask_b32_e32 v42, 0x80000000, v42, vcc_lo
	s_delay_alu instid0(VALU_DEP_1) | instskip(NEXT) | instid1(VALU_DEP_1)
	v_lshrrev_b32_e32 v42, s49, v42
	v_and_b32_e32 v42, s58, v42
	s_delay_alu instid0(VALU_DEP_1) | instskip(SKIP_2) | instid1(SALU_CYCLE_1)
	v_lshl_or_b32 v42, v42, 4, v84
	ds_add_u32 v42, v96
	s_or_b32 exec_lo, exec_lo, s11
	s_mov_b32 s11, exec_lo
	v_cmpx_gt_u32_e64 s10, v3
	s_cbranch_execz .LBB1450_670
.LBB1450_686:                           ;   in Loop: Header=BB1450_646 Depth=2
	v_cmp_lt_i32_e32 vcc_lo, -1, v40
	v_cndmask_b32_e64 v42, -1, 0x80000000, vcc_lo
	s_delay_alu instid0(VALU_DEP_1) | instskip(NEXT) | instid1(VALU_DEP_1)
	v_xor_b32_e32 v42, v42, v40
	v_cmp_ne_u32_e32 vcc_lo, 0x7fffffff, v42
	v_cndmask_b32_e32 v42, 0x80000000, v42, vcc_lo
	s_delay_alu instid0(VALU_DEP_1) | instskip(NEXT) | instid1(VALU_DEP_1)
	v_lshrrev_b32_e32 v42, s49, v42
	v_and_b32_e32 v42, s58, v42
	s_delay_alu instid0(VALU_DEP_1) | instskip(SKIP_2) | instid1(SALU_CYCLE_1)
	v_lshl_or_b32 v42, v42, 4, v84
	ds_add_u32 v42, v96
	s_or_b32 exec_lo, exec_lo, s11
	s_mov_b32 s11, exec_lo
	v_cmpx_gt_u32_e64 s10, v68
	s_cbranch_execz .LBB1450_671
.LBB1450_687:                           ;   in Loop: Header=BB1450_646 Depth=2
	v_cmp_lt_i32_e32 vcc_lo, -1, v39
	v_cndmask_b32_e64 v42, -1, 0x80000000, vcc_lo
	s_delay_alu instid0(VALU_DEP_1) | instskip(NEXT) | instid1(VALU_DEP_1)
	v_xor_b32_e32 v42, v42, v39
	v_cmp_ne_u32_e32 vcc_lo, 0x7fffffff, v42
	v_cndmask_b32_e32 v42, 0x80000000, v42, vcc_lo
	s_delay_alu instid0(VALU_DEP_1) | instskip(NEXT) | instid1(VALU_DEP_1)
	v_lshrrev_b32_e32 v42, s49, v42
	v_and_b32_e32 v42, s58, v42
	s_delay_alu instid0(VALU_DEP_1) | instskip(SKIP_2) | instid1(SALU_CYCLE_1)
	v_lshl_or_b32 v42, v42, 4, v84
	ds_add_u32 v42, v96
	s_or_b32 exec_lo, exec_lo, s11
	s_mov_b32 s11, exec_lo
	v_cmpx_gt_u32_e64 s10, v69
	s_cbranch_execz .LBB1450_672
.LBB1450_688:                           ;   in Loop: Header=BB1450_646 Depth=2
	v_cmp_lt_i32_e32 vcc_lo, -1, v38
	v_cndmask_b32_e64 v42, -1, 0x80000000, vcc_lo
	s_delay_alu instid0(VALU_DEP_1) | instskip(NEXT) | instid1(VALU_DEP_1)
	v_xor_b32_e32 v42, v42, v38
	v_cmp_ne_u32_e32 vcc_lo, 0x7fffffff, v42
	v_cndmask_b32_e32 v42, 0x80000000, v42, vcc_lo
	s_delay_alu instid0(VALU_DEP_1) | instskip(NEXT) | instid1(VALU_DEP_1)
	v_lshrrev_b32_e32 v42, s49, v42
	v_and_b32_e32 v42, s58, v42
	s_delay_alu instid0(VALU_DEP_1) | instskip(SKIP_2) | instid1(SALU_CYCLE_1)
	v_lshl_or_b32 v42, v42, 4, v84
	ds_add_u32 v42, v96
	s_or_b32 exec_lo, exec_lo, s11
	s_mov_b32 s11, exec_lo
	v_cmpx_gt_u32_e64 s10, v70
	s_cbranch_execz .LBB1450_673
.LBB1450_689:                           ;   in Loop: Header=BB1450_646 Depth=2
	v_cmp_lt_i32_e32 vcc_lo, -1, v37
	v_cndmask_b32_e64 v42, -1, 0x80000000, vcc_lo
	s_delay_alu instid0(VALU_DEP_1) | instskip(NEXT) | instid1(VALU_DEP_1)
	v_xor_b32_e32 v42, v42, v37
	v_cmp_ne_u32_e32 vcc_lo, 0x7fffffff, v42
	v_cndmask_b32_e32 v42, 0x80000000, v42, vcc_lo
	s_delay_alu instid0(VALU_DEP_1) | instskip(NEXT) | instid1(VALU_DEP_1)
	v_lshrrev_b32_e32 v42, s49, v42
	v_and_b32_e32 v42, s58, v42
	s_delay_alu instid0(VALU_DEP_1) | instskip(SKIP_2) | instid1(SALU_CYCLE_1)
	v_lshl_or_b32 v42, v42, 4, v84
	ds_add_u32 v42, v96
	s_or_b32 exec_lo, exec_lo, s11
	s_mov_b32 s11, exec_lo
	v_cmpx_gt_u32_e64 s10, v71
	s_cbranch_execz .LBB1450_674
.LBB1450_690:                           ;   in Loop: Header=BB1450_646 Depth=2
	v_cmp_lt_i32_e32 vcc_lo, -1, v36
	v_cndmask_b32_e64 v42, -1, 0x80000000, vcc_lo
	s_delay_alu instid0(VALU_DEP_1) | instskip(NEXT) | instid1(VALU_DEP_1)
	v_xor_b32_e32 v42, v42, v36
	v_cmp_ne_u32_e32 vcc_lo, 0x7fffffff, v42
	v_cndmask_b32_e32 v42, 0x80000000, v42, vcc_lo
	s_delay_alu instid0(VALU_DEP_1) | instskip(NEXT) | instid1(VALU_DEP_1)
	v_lshrrev_b32_e32 v42, s49, v42
	v_and_b32_e32 v42, s58, v42
	s_delay_alu instid0(VALU_DEP_1) | instskip(SKIP_2) | instid1(SALU_CYCLE_1)
	v_lshl_or_b32 v42, v42, 4, v84
	ds_add_u32 v42, v96
	s_or_b32 exec_lo, exec_lo, s11
	s_mov_b32 s11, exec_lo
	v_cmpx_gt_u32_e64 s10, v72
	s_cbranch_execz .LBB1450_675
.LBB1450_691:                           ;   in Loop: Header=BB1450_646 Depth=2
	v_cmp_lt_i32_e32 vcc_lo, -1, v35
	v_cndmask_b32_e64 v42, -1, 0x80000000, vcc_lo
	s_delay_alu instid0(VALU_DEP_1) | instskip(NEXT) | instid1(VALU_DEP_1)
	v_xor_b32_e32 v42, v42, v35
	v_cmp_ne_u32_e32 vcc_lo, 0x7fffffff, v42
	v_cndmask_b32_e32 v42, 0x80000000, v42, vcc_lo
	s_delay_alu instid0(VALU_DEP_1) | instskip(NEXT) | instid1(VALU_DEP_1)
	v_lshrrev_b32_e32 v42, s49, v42
	v_and_b32_e32 v42, s58, v42
	s_delay_alu instid0(VALU_DEP_1) | instskip(SKIP_2) | instid1(SALU_CYCLE_1)
	v_lshl_or_b32 v42, v42, 4, v84
	ds_add_u32 v42, v96
	s_or_b32 exec_lo, exec_lo, s11
	s_mov_b32 s11, exec_lo
	v_cmpx_gt_u32_e64 s10, v73
	s_cbranch_execz .LBB1450_676
.LBB1450_692:                           ;   in Loop: Header=BB1450_646 Depth=2
	v_cmp_lt_i32_e32 vcc_lo, -1, v34
	v_cndmask_b32_e64 v42, -1, 0x80000000, vcc_lo
	s_delay_alu instid0(VALU_DEP_1) | instskip(NEXT) | instid1(VALU_DEP_1)
	v_xor_b32_e32 v42, v42, v34
	v_cmp_ne_u32_e32 vcc_lo, 0x7fffffff, v42
	v_cndmask_b32_e32 v42, 0x80000000, v42, vcc_lo
	s_delay_alu instid0(VALU_DEP_1) | instskip(NEXT) | instid1(VALU_DEP_1)
	v_lshrrev_b32_e32 v42, s49, v42
	v_and_b32_e32 v42, s58, v42
	s_delay_alu instid0(VALU_DEP_1) | instskip(SKIP_2) | instid1(SALU_CYCLE_1)
	v_lshl_or_b32 v42, v42, 4, v84
	ds_add_u32 v42, v96
	s_or_b32 exec_lo, exec_lo, s11
	s_mov_b32 s11, exec_lo
	v_cmpx_gt_u32_e64 s10, v74
	s_cbranch_execz .LBB1450_677
.LBB1450_693:                           ;   in Loop: Header=BB1450_646 Depth=2
	v_cmp_lt_i32_e32 vcc_lo, -1, v33
	v_cndmask_b32_e64 v42, -1, 0x80000000, vcc_lo
	s_delay_alu instid0(VALU_DEP_1) | instskip(NEXT) | instid1(VALU_DEP_1)
	v_xor_b32_e32 v42, v42, v33
	v_cmp_ne_u32_e32 vcc_lo, 0x7fffffff, v42
	v_cndmask_b32_e32 v42, 0x80000000, v42, vcc_lo
	s_delay_alu instid0(VALU_DEP_1) | instskip(NEXT) | instid1(VALU_DEP_1)
	v_lshrrev_b32_e32 v42, s49, v42
	v_and_b32_e32 v42, s58, v42
	s_delay_alu instid0(VALU_DEP_1) | instskip(SKIP_2) | instid1(SALU_CYCLE_1)
	v_lshl_or_b32 v42, v42, 4, v84
	ds_add_u32 v42, v96
	s_or_b32 exec_lo, exec_lo, s11
	s_mov_b32 s11, exec_lo
	v_cmpx_gt_u32_e64 s10, v75
	s_cbranch_execz .LBB1450_678
.LBB1450_694:                           ;   in Loop: Header=BB1450_646 Depth=2
	v_cmp_lt_i32_e32 vcc_lo, -1, v32
	v_cndmask_b32_e64 v42, -1, 0x80000000, vcc_lo
	s_delay_alu instid0(VALU_DEP_1) | instskip(NEXT) | instid1(VALU_DEP_1)
	v_xor_b32_e32 v42, v42, v32
	v_cmp_ne_u32_e32 vcc_lo, 0x7fffffff, v42
	v_cndmask_b32_e32 v42, 0x80000000, v42, vcc_lo
	s_delay_alu instid0(VALU_DEP_1) | instskip(NEXT) | instid1(VALU_DEP_1)
	v_lshrrev_b32_e32 v42, s49, v42
	v_and_b32_e32 v42, s58, v42
	s_delay_alu instid0(VALU_DEP_1) | instskip(SKIP_2) | instid1(SALU_CYCLE_1)
	v_lshl_or_b32 v42, v42, 4, v84
	ds_add_u32 v42, v96
	s_or_b32 exec_lo, exec_lo, s11
	s_mov_b32 s11, exec_lo
	v_cmpx_gt_u32_e64 s10, v76
	s_cbranch_execz .LBB1450_679
.LBB1450_695:                           ;   in Loop: Header=BB1450_646 Depth=2
	v_cmp_lt_i32_e32 vcc_lo, -1, v31
	v_cndmask_b32_e64 v42, -1, 0x80000000, vcc_lo
	s_delay_alu instid0(VALU_DEP_1) | instskip(NEXT) | instid1(VALU_DEP_1)
	v_xor_b32_e32 v42, v42, v31
	v_cmp_ne_u32_e32 vcc_lo, 0x7fffffff, v42
	v_cndmask_b32_e32 v42, 0x80000000, v42, vcc_lo
	s_delay_alu instid0(VALU_DEP_1) | instskip(NEXT) | instid1(VALU_DEP_1)
	v_lshrrev_b32_e32 v42, s49, v42
	v_and_b32_e32 v42, s58, v42
	s_delay_alu instid0(VALU_DEP_1) | instskip(SKIP_2) | instid1(SALU_CYCLE_1)
	v_lshl_or_b32 v42, v42, 4, v84
	ds_add_u32 v42, v96
	s_or_b32 exec_lo, exec_lo, s11
	s_mov_b32 s11, exec_lo
	v_cmpx_gt_u32_e64 s10, v77
	s_cbranch_execz .LBB1450_680
.LBB1450_696:                           ;   in Loop: Header=BB1450_646 Depth=2
	v_cmp_lt_i32_e32 vcc_lo, -1, v30
	v_cndmask_b32_e64 v42, -1, 0x80000000, vcc_lo
	s_delay_alu instid0(VALU_DEP_1) | instskip(NEXT) | instid1(VALU_DEP_1)
	v_xor_b32_e32 v42, v42, v30
	v_cmp_ne_u32_e32 vcc_lo, 0x7fffffff, v42
	v_cndmask_b32_e32 v42, 0x80000000, v42, vcc_lo
	s_delay_alu instid0(VALU_DEP_1) | instskip(NEXT) | instid1(VALU_DEP_1)
	v_lshrrev_b32_e32 v42, s49, v42
	v_and_b32_e32 v42, s58, v42
	s_delay_alu instid0(VALU_DEP_1) | instskip(SKIP_2) | instid1(SALU_CYCLE_1)
	v_lshl_or_b32 v42, v42, 4, v84
	ds_add_u32 v42, v96
	s_or_b32 exec_lo, exec_lo, s11
	s_mov_b32 s11, exec_lo
	v_cmpx_gt_u32_e64 s10, v78
	s_cbranch_execz .LBB1450_681
.LBB1450_697:                           ;   in Loop: Header=BB1450_646 Depth=2
	v_cmp_lt_i32_e32 vcc_lo, -1, v29
	v_cndmask_b32_e64 v42, -1, 0x80000000, vcc_lo
	s_delay_alu instid0(VALU_DEP_1) | instskip(NEXT) | instid1(VALU_DEP_1)
	v_xor_b32_e32 v42, v42, v29
	v_cmp_ne_u32_e32 vcc_lo, 0x7fffffff, v42
	v_cndmask_b32_e32 v42, 0x80000000, v42, vcc_lo
	s_delay_alu instid0(VALU_DEP_1) | instskip(NEXT) | instid1(VALU_DEP_1)
	v_lshrrev_b32_e32 v42, s49, v42
	v_and_b32_e32 v42, s58, v42
	s_delay_alu instid0(VALU_DEP_1) | instskip(SKIP_2) | instid1(SALU_CYCLE_1)
	v_lshl_or_b32 v42, v42, 4, v84
	ds_add_u32 v42, v96
	s_or_b32 exec_lo, exec_lo, s11
	s_mov_b32 s11, exec_lo
	v_cmpx_gt_u32_e64 s10, v79
	s_cbranch_execz .LBB1450_682
.LBB1450_698:                           ;   in Loop: Header=BB1450_646 Depth=2
	v_cmp_lt_i32_e32 vcc_lo, -1, v28
	v_cndmask_b32_e64 v42, -1, 0x80000000, vcc_lo
	s_delay_alu instid0(VALU_DEP_1) | instskip(NEXT) | instid1(VALU_DEP_1)
	v_xor_b32_e32 v42, v42, v28
	v_cmp_ne_u32_e32 vcc_lo, 0x7fffffff, v42
	v_cndmask_b32_e32 v42, 0x80000000, v42, vcc_lo
	s_delay_alu instid0(VALU_DEP_1) | instskip(NEXT) | instid1(VALU_DEP_1)
	v_lshrrev_b32_e32 v42, s49, v42
	v_and_b32_e32 v42, s58, v42
	s_delay_alu instid0(VALU_DEP_1) | instskip(SKIP_2) | instid1(SALU_CYCLE_1)
	v_lshl_or_b32 v42, v42, 4, v84
	ds_add_u32 v42, v96
	s_or_b32 exec_lo, exec_lo, s11
	s_mov_b32 s11, exec_lo
	v_cmpx_gt_u32_e64 s10, v80
	s_cbranch_execz .LBB1450_683
.LBB1450_699:                           ;   in Loop: Header=BB1450_646 Depth=2
	v_cmp_lt_i32_e32 vcc_lo, -1, v27
	v_cndmask_b32_e64 v42, -1, 0x80000000, vcc_lo
	s_delay_alu instid0(VALU_DEP_1) | instskip(NEXT) | instid1(VALU_DEP_1)
	v_xor_b32_e32 v42, v42, v27
	v_cmp_ne_u32_e32 vcc_lo, 0x7fffffff, v42
	v_cndmask_b32_e32 v42, 0x80000000, v42, vcc_lo
	s_delay_alu instid0(VALU_DEP_1) | instskip(NEXT) | instid1(VALU_DEP_1)
	v_lshrrev_b32_e32 v42, s49, v42
	v_and_b32_e32 v42, s58, v42
	s_delay_alu instid0(VALU_DEP_1) | instskip(SKIP_2) | instid1(SALU_CYCLE_1)
	v_lshl_or_b32 v42, v42, 4, v84
	ds_add_u32 v42, v96
	s_or_b32 exec_lo, exec_lo, s11
	s_mov_b32 s11, exec_lo
	v_cmpx_gt_u32_e64 s10, v81
	s_cbranch_execz .LBB1450_684
.LBB1450_700:                           ;   in Loop: Header=BB1450_646 Depth=2
	v_cmp_lt_i32_e32 vcc_lo, -1, v26
	v_cndmask_b32_e64 v42, -1, 0x80000000, vcc_lo
	s_delay_alu instid0(VALU_DEP_1) | instskip(NEXT) | instid1(VALU_DEP_1)
	v_xor_b32_e32 v42, v42, v26
	v_cmp_ne_u32_e32 vcc_lo, 0x7fffffff, v42
	v_cndmask_b32_e32 v42, 0x80000000, v42, vcc_lo
	s_delay_alu instid0(VALU_DEP_1) | instskip(NEXT) | instid1(VALU_DEP_1)
	v_lshrrev_b32_e32 v42, s49, v42
	v_and_b32_e32 v42, s58, v42
	s_delay_alu instid0(VALU_DEP_1)
	v_lshl_or_b32 v42, v42, 4, v84
	ds_add_u32 v42, v96
	s_or_b32 exec_lo, exec_lo, s11
	v_cmp_gt_u32_e32 vcc_lo, s10, v82
	s_and_saveexec_b32 s10, vcc_lo
	s_cbranch_execz .LBB1450_645
.LBB1450_701:                           ;   in Loop: Header=BB1450_646 Depth=2
	v_cmp_lt_i32_e32 vcc_lo, -1, v25
	v_cndmask_b32_e64 v42, -1, 0x80000000, vcc_lo
	s_delay_alu instid0(VALU_DEP_1) | instskip(NEXT) | instid1(VALU_DEP_1)
	v_xor_b32_e32 v42, v42, v25
	v_cmp_ne_u32_e32 vcc_lo, 0x7fffffff, v42
	v_cndmask_b32_e32 v42, 0x80000000, v42, vcc_lo
	s_delay_alu instid0(VALU_DEP_1) | instskip(NEXT) | instid1(VALU_DEP_1)
	v_lshrrev_b32_e32 v42, s49, v42
	v_and_b32_e32 v42, s58, v42
	s_delay_alu instid0(VALU_DEP_1)
	v_lshl_or_b32 v42, v42, 4, v84
	ds_add_u32 v42, v96
	s_branch .LBB1450_645
.LBB1450_702:                           ;   in Loop: Header=BB1450_646 Depth=2
	global_load_b32 v41, v2, s[10:11] scale_offset
	s_wait_xcnt 0x0
	s_or_b32 exec_lo, exec_lo, s13
	s_delay_alu instid0(SALU_CYCLE_1)
	s_mov_b32 s13, exec_lo
	v_cmpx_gt_u32_e64 s9, v3
	s_cbranch_execz .LBB1450_651
.LBB1450_703:                           ;   in Loop: Header=BB1450_646 Depth=2
	global_load_b32 v40, v2, s[10:11] offset:1024 scale_offset
	s_wait_xcnt 0x0
	s_or_b32 exec_lo, exec_lo, s13
	s_delay_alu instid0(SALU_CYCLE_1)
	s_mov_b32 s13, exec_lo
	v_cmpx_gt_u32_e64 s9, v68
	s_cbranch_execz .LBB1450_652
.LBB1450_704:                           ;   in Loop: Header=BB1450_646 Depth=2
	global_load_b32 v39, v2, s[10:11] offset:2048 scale_offset
	s_wait_xcnt 0x0
	s_or_b32 exec_lo, exec_lo, s13
	s_delay_alu instid0(SALU_CYCLE_1)
	s_mov_b32 s13, exec_lo
	v_cmpx_gt_u32_e64 s9, v69
	s_cbranch_execz .LBB1450_653
.LBB1450_705:                           ;   in Loop: Header=BB1450_646 Depth=2
	global_load_b32 v38, v2, s[10:11] offset:3072 scale_offset
	s_wait_xcnt 0x0
	s_or_b32 exec_lo, exec_lo, s13
	s_delay_alu instid0(SALU_CYCLE_1)
	s_mov_b32 s13, exec_lo
	v_cmpx_gt_u32_e64 s9, v70
	s_cbranch_execz .LBB1450_654
.LBB1450_706:                           ;   in Loop: Header=BB1450_646 Depth=2
	global_load_b32 v37, v2, s[10:11] offset:4096 scale_offset
	s_wait_xcnt 0x0
	s_or_b32 exec_lo, exec_lo, s13
	s_delay_alu instid0(SALU_CYCLE_1)
	s_mov_b32 s13, exec_lo
	v_cmpx_gt_u32_e64 s9, v71
	s_cbranch_execz .LBB1450_655
.LBB1450_707:                           ;   in Loop: Header=BB1450_646 Depth=2
	global_load_b32 v36, v2, s[10:11] offset:5120 scale_offset
	s_wait_xcnt 0x0
	s_or_b32 exec_lo, exec_lo, s13
	s_delay_alu instid0(SALU_CYCLE_1)
	s_mov_b32 s13, exec_lo
	v_cmpx_gt_u32_e64 s9, v72
	s_cbranch_execz .LBB1450_656
.LBB1450_708:                           ;   in Loop: Header=BB1450_646 Depth=2
	global_load_b32 v35, v2, s[10:11] offset:6144 scale_offset
	s_wait_xcnt 0x0
	s_or_b32 exec_lo, exec_lo, s13
	s_delay_alu instid0(SALU_CYCLE_1)
	s_mov_b32 s13, exec_lo
	v_cmpx_gt_u32_e64 s9, v73
	s_cbranch_execz .LBB1450_657
.LBB1450_709:                           ;   in Loop: Header=BB1450_646 Depth=2
	global_load_b32 v34, v2, s[10:11] offset:7168 scale_offset
	s_wait_xcnt 0x0
	s_or_b32 exec_lo, exec_lo, s13
	s_delay_alu instid0(SALU_CYCLE_1)
	s_mov_b32 s13, exec_lo
	v_cmpx_gt_u32_e64 s9, v74
	s_cbranch_execz .LBB1450_658
.LBB1450_710:                           ;   in Loop: Header=BB1450_646 Depth=2
	global_load_b32 v33, v2, s[10:11] offset:8192 scale_offset
	s_wait_xcnt 0x0
	s_or_b32 exec_lo, exec_lo, s13
	s_delay_alu instid0(SALU_CYCLE_1)
	s_mov_b32 s13, exec_lo
	v_cmpx_gt_u32_e64 s9, v75
	s_cbranch_execz .LBB1450_659
.LBB1450_711:                           ;   in Loop: Header=BB1450_646 Depth=2
	global_load_b32 v32, v2, s[10:11] offset:9216 scale_offset
	s_wait_xcnt 0x0
	s_or_b32 exec_lo, exec_lo, s13
	s_delay_alu instid0(SALU_CYCLE_1)
	s_mov_b32 s13, exec_lo
	v_cmpx_gt_u32_e64 s9, v76
	s_cbranch_execz .LBB1450_660
.LBB1450_712:                           ;   in Loop: Header=BB1450_646 Depth=2
	global_load_b32 v31, v2, s[10:11] offset:10240 scale_offset
	s_wait_xcnt 0x0
	s_or_b32 exec_lo, exec_lo, s13
	s_delay_alu instid0(SALU_CYCLE_1)
	s_mov_b32 s13, exec_lo
	v_cmpx_gt_u32_e64 s9, v77
	s_cbranch_execz .LBB1450_661
.LBB1450_713:                           ;   in Loop: Header=BB1450_646 Depth=2
	global_load_b32 v30, v2, s[10:11] offset:11264 scale_offset
	s_wait_xcnt 0x0
	s_or_b32 exec_lo, exec_lo, s13
	s_delay_alu instid0(SALU_CYCLE_1)
	s_mov_b32 s13, exec_lo
	v_cmpx_gt_u32_e64 s9, v78
	s_cbranch_execz .LBB1450_662
.LBB1450_714:                           ;   in Loop: Header=BB1450_646 Depth=2
	global_load_b32 v29, v2, s[10:11] offset:12288 scale_offset
	s_wait_xcnt 0x0
	s_or_b32 exec_lo, exec_lo, s13
	s_delay_alu instid0(SALU_CYCLE_1)
	s_mov_b32 s13, exec_lo
	v_cmpx_gt_u32_e64 s9, v79
	s_cbranch_execz .LBB1450_663
.LBB1450_715:                           ;   in Loop: Header=BB1450_646 Depth=2
	global_load_b32 v28, v2, s[10:11] offset:13312 scale_offset
	s_wait_xcnt 0x0
	s_or_b32 exec_lo, exec_lo, s13
	s_delay_alu instid0(SALU_CYCLE_1)
	s_mov_b32 s13, exec_lo
	v_cmpx_gt_u32_e64 s9, v80
	s_cbranch_execz .LBB1450_664
.LBB1450_716:                           ;   in Loop: Header=BB1450_646 Depth=2
	global_load_b32 v27, v2, s[10:11] offset:14336 scale_offset
	s_wait_xcnt 0x0
	s_or_b32 exec_lo, exec_lo, s13
	s_delay_alu instid0(SALU_CYCLE_1)
	s_mov_b32 s13, exec_lo
	v_cmpx_gt_u32_e64 s9, v81
	s_cbranch_execz .LBB1450_665
.LBB1450_717:                           ;   in Loop: Header=BB1450_646 Depth=2
	global_load_b32 v26, v2, s[10:11] offset:15360 scale_offset
	s_wait_xcnt 0x0
	s_or_b32 exec_lo, exec_lo, s13
	s_delay_alu instid0(SALU_CYCLE_1)
	s_mov_b32 s13, exec_lo
	v_cmpx_gt_u32_e64 s9, v82
	s_cbranch_execnz .LBB1450_666
	s_branch .LBB1450_667
.LBB1450_718:                           ;   in Loop: Header=BB1450_20 Depth=1
	v_mov_b32_e32 v25, 0
	s_wait_dscnt 0x0
	s_barrier_signal -1
	s_barrier_wait -1
	s_and_saveexec_b32 s9, s0
	s_cbranch_execz .LBB1450_720
; %bb.719:                              ;   in Loop: Header=BB1450_20 Depth=1
	ds_load_2addr_b64 v[26:29], v85 offset1:1
	s_wait_dscnt 0x0
	v_add_nc_u32_e32 v25, v27, v26
	s_delay_alu instid0(VALU_DEP_1)
	v_add3_u32 v25, v25, v28, v29
.LBB1450_720:                           ;   in Loop: Header=BB1450_20 Depth=1
	s_or_b32 exec_lo, exec_lo, s9
	s_delay_alu instid0(VALU_DEP_1)
	v_mov_b32_dpp v26, v25 row_shr:1 row_mask:0xf bank_mask:0xf
	v_cmp_eq_u32_e64 s9, 0, v97
	v_cmp_lt_u32_e64 s10, 1, v97
	v_cmp_lt_u32_e64 s11, 3, v97
	;; [unrolled: 1-line block ×3, first 2 shown]
	v_cmp_eq_u32_e64 s13, 0, v99
	v_cndmask_b32_e64 v26, v26, 0, s9
	s_delay_alu instid0(VALU_DEP_1) | instskip(NEXT) | instid1(VALU_DEP_1)
	v_add_nc_u32_e32 v25, v26, v25
	v_mov_b32_dpp v26, v25 row_shr:2 row_mask:0xf bank_mask:0xf
	s_delay_alu instid0(VALU_DEP_1) | instskip(NEXT) | instid1(VALU_DEP_1)
	v_cndmask_b32_e64 v26, 0, v26, s10
	v_add_nc_u32_e32 v25, v25, v26
	s_delay_alu instid0(VALU_DEP_1) | instskip(NEXT) | instid1(VALU_DEP_1)
	v_mov_b32_dpp v26, v25 row_shr:4 row_mask:0xf bank_mask:0xf
	v_cndmask_b32_e64 v26, 0, v26, s11
	s_delay_alu instid0(VALU_DEP_1) | instskip(NEXT) | instid1(VALU_DEP_1)
	v_add_nc_u32_e32 v25, v25, v26
	v_mov_b32_dpp v26, v25 row_shr:8 row_mask:0xf bank_mask:0xf
	s_delay_alu instid0(VALU_DEP_1) | instskip(NEXT) | instid1(VALU_DEP_1)
	v_cndmask_b32_e64 v26, 0, v26, s12
	v_add_nc_u32_e32 v25, v25, v26
	ds_swizzle_b32 v26, v25 offset:swizzle(BROADCAST,32,15)
	s_wait_dscnt 0x0
	v_and_b32_e32 v26, v98, v26
	s_delay_alu instid0(VALU_DEP_1)
	v_add_nc_u32_e32 v25, v25, v26
	s_and_saveexec_b32 s14, s1
; %bb.721:                              ;   in Loop: Header=BB1450_20 Depth=1
	ds_store_b32 v86, v25
; %bb.722:                              ;   in Loop: Header=BB1450_20 Depth=1
	s_or_b32 exec_lo, exec_lo, s14
	s_wait_dscnt 0x0
	s_barrier_signal -1
	s_barrier_wait -1
	s_and_saveexec_b32 s14, s4
	s_cbranch_execz .LBB1450_724
; %bb.723:                              ;   in Loop: Header=BB1450_20 Depth=1
	ds_load_b32 v26, v87
	v_cmp_ne_u32_e32 vcc_lo, 0, v100
	s_wait_dscnt 0x0
	v_mov_b32_dpp v27, v26 row_shr:1 row_mask:0xf bank_mask:0xf
	s_delay_alu instid0(VALU_DEP_1) | instskip(SKIP_1) | instid1(VALU_DEP_2)
	v_cndmask_b32_e32 v27, 0, v27, vcc_lo
	v_cmp_lt_u32_e32 vcc_lo, 1, v100
	v_add_nc_u32_e32 v26, v27, v26
	s_delay_alu instid0(VALU_DEP_1) | instskip(NEXT) | instid1(VALU_DEP_1)
	v_mov_b32_dpp v27, v26 row_shr:2 row_mask:0xf bank_mask:0xf
	v_cndmask_b32_e32 v27, 0, v27, vcc_lo
	s_delay_alu instid0(VALU_DEP_1)
	v_add_nc_u32_e32 v26, v26, v27
	ds_store_b32 v87, v26
.LBB1450_724:                           ;   in Loop: Header=BB1450_20 Depth=1
	s_or_b32 exec_lo, exec_lo, s14
	v_mov_b32_e32 v26, 0
	s_wait_dscnt 0x0
	s_barrier_signal -1
	s_barrier_wait -1
	s_and_saveexec_b32 s14, s5
; %bb.725:                              ;   in Loop: Header=BB1450_20 Depth=1
	ds_load_b32 v26, v88
; %bb.726:                              ;   in Loop: Header=BB1450_20 Depth=1
	s_or_b32 exec_lo, exec_lo, s14
	v_cmp_gt_i32_e32 vcc_lo, 0, v102
	s_wait_dscnt 0x0
	s_barrier_signal -1
	s_barrier_wait -1
	v_cndmask_b32_e32 v27, v102, v95, vcc_lo
	s_delay_alu instid0(VALU_DEP_1)
	v_dual_add_nc_u32 v25, v26, v25 :: v_dual_lshlrev_b32 v119, 2, v27
	ds_bpermute_b32 v25, v119, v25
	s_and_saveexec_b32 s14, s0
	s_cbranch_execz .LBB1450_728
; %bb.727:                              ;   in Loop: Header=BB1450_20 Depth=1
	s_wait_dscnt 0x0
	v_cndmask_b32_e64 v25, v25, v26, s8
	s_delay_alu instid0(VALU_DEP_1)
	v_add_nc_u32_e32 v25, s55, v25
	ds_store_b32 v4, v25
.LBB1450_728:                           ;   in Loop: Header=BB1450_20 Depth=1
	s_or_b32 exec_lo, exec_lo, s14
	s_load_b64 s[14:15], s[52:53], 0x0
	s_mov_b32 s59, s57
                                        ; implicit-def: $vgpr32_vgpr33
                                        ; implicit-def: $vgpr34_vgpr35
                                        ; implicit-def: $vgpr36_vgpr37
                                        ; implicit-def: $vgpr38_vgpr39
                                        ; implicit-def: $vgpr40_vgpr41
                                        ; implicit-def: $vgpr42_vgpr43
                                        ; implicit-def: $vgpr44_vgpr45
                                        ; implicit-def: $vgpr46_vgpr47
                                        ; implicit-def: $vgpr48_vgpr49
                                        ; implicit-def: $vgpr50_vgpr51
                                        ; implicit-def: $vgpr52_vgpr53
                                        ; implicit-def: $vgpr54_vgpr55
                                        ; implicit-def: $vgpr56_vgpr57
                                        ; implicit-def: $vgpr58_vgpr59
                                        ; implicit-def: $vgpr60_vgpr61
                                        ; implicit-def: $vgpr62_vgpr63
                                        ; implicit-def: $vgpr120
                                        ; implicit-def: $vgpr121
                                        ; implicit-def: $vgpr122
                                        ; implicit-def: $vgpr123
                                        ; implicit-def: $vgpr124
                                        ; implicit-def: $vgpr125
                                        ; implicit-def: $vgpr126
                                        ; implicit-def: $vgpr127
                                        ; implicit-def: $vgpr128
                                        ; implicit-def: $vgpr129
                                        ; implicit-def: $vgpr130
                                        ; implicit-def: $vgpr131
                                        ; implicit-def: $vgpr132
                                        ; implicit-def: $vgpr134
                                        ; implicit-def: $vgpr135
                                        ; implicit-def: $vgpr136
                                        ; implicit-def: $vgpr137
                                        ; implicit-def: $vgpr133
                                        ; implicit-def: $vgpr138
	s_wait_kmcnt 0x0
	s_cmp_lt_u32 s51, s14
	s_cselect_b32 s42, 12, 18
	s_cmp_lt_u32 s35, s15
	s_mov_b32 s15, s43
	s_cselect_b32 s14, 14, 20
	s_delay_alu instid0(SALU_CYCLE_1)
	s_add_nc_u64 s[14:15], s[52:53], s[14:15]
	s_load_u16 s16, s[14:15], 0x0
	s_wait_xcnt 0x0
	s_add_nc_u64 s[14:15], s[52:53], s[42:43]
	s_mov_b32 s42, s55
	s_load_u16 s14, s[14:15], 0x0
	s_wait_xcnt 0x0
	v_cmp_lt_u32_e64 s15, 1, v103
	s_wait_dscnt 0x0
	s_wait_kmcnt 0x0
	v_mad_u32_u24 v25, v89, s16, v91
	v_cmp_lt_u32_e64 s16, 3, v103
	s_delay_alu instid0(VALU_DEP_2) | instskip(SKIP_2) | instid1(VALU_DEP_3)
	v_mad_u32 v26, v25, s14, v2
	v_mov_b32_e32 v25, v1
	v_cmp_eq_u32_e64 s14, 0, v103
	v_lshrrev_b32_e32 v30, 3, v26
	v_add_nc_u64_e32 v[26:27], v[14:15], v[0:1]
	s_delay_alu instid0(VALU_DEP_4) | instskip(NEXT) | instid1(VALU_DEP_3)
	v_add_nc_u64_e32 v[28:29], v[16:17], v[24:25]
	v_and_b32_e32 v25, 0x1ffffffc, v30
                                        ; implicit-def: $vgpr30_vgpr31
	s_branch .LBB1450_730
.LBB1450_729:                           ;   in Loop: Header=BB1450_730 Depth=2
	s_or_b32 exec_lo, exec_lo, s17
	s_addk_co_i32 s59, 0xef00
	s_cmp_lt_u32 s60, s54
	s_mov_b32 s42, s60
	s_cbranch_scc0 .LBB1450_952
.LBB1450_730:                           ;   Parent Loop BB1450_20 Depth=1
                                        ; =>  This Inner Loop Header: Depth=2
	s_add_co_i32 s60, s42, 0x1100
	s_delay_alu instid0(SALU_CYCLE_1)
	s_cmp_gt_u32 s60, s54
	s_cbranch_scc1 .LBB1450_732
; %bb.731:                              ;   in Loop: Header=BB1450_730 Depth=2
	s_delay_alu instid0(VALU_DEP_2)
	v_lshl_add_u64 v[64:65], s[42:43], 2, v[28:29]
	s_mov_b32 s17, -1
	s_clause 0xf
	global_load_b32 v140, v[64:65], off
	global_load_b32 v142, v[64:65], off offset:128
	global_load_b32 v144, v[64:65], off offset:256
	global_load_b32 v148, v[64:65], off offset:384
	global_load_b32 v153, v[64:65], off offset:512
	global_load_b32 v158, v[64:65], off offset:640
	global_load_b32 v163, v[64:65], off offset:768
	global_load_b32 v168, v[64:65], off offset:896
	global_load_b32 v173, v[64:65], off offset:1024
	global_load_b32 v171, v[64:65], off offset:1152
	global_load_b32 v166, v[64:65], off offset:1280
	global_load_b32 v161, v[64:65], off offset:1408
	global_load_b32 v157, v[64:65], off offset:1536
	global_load_b32 v152, v[64:65], off offset:1664
	global_load_b32 v67, v[64:65], off offset:1792
	global_load_b32 v66, v[64:65], off offset:1920
	s_movk_i32 s18, 0x1100
	s_cbranch_execz .LBB1450_733
	s_branch .LBB1450_766
.LBB1450_732:                           ;   in Loop: Header=BB1450_730 Depth=2
	s_mov_b32 s17, 0
                                        ; implicit-def: $vgpr140
                                        ; implicit-def: $vgpr142
                                        ; implicit-def: $vgpr144
                                        ; implicit-def: $vgpr148
                                        ; implicit-def: $vgpr153
                                        ; implicit-def: $vgpr158
                                        ; implicit-def: $vgpr163
                                        ; implicit-def: $vgpr168
                                        ; implicit-def: $vgpr173
                                        ; implicit-def: $vgpr171
                                        ; implicit-def: $vgpr166
                                        ; implicit-def: $vgpr161
                                        ; implicit-def: $vgpr157
                                        ; implicit-def: $vgpr152
                                        ; implicit-def: $vgpr67
                                        ; implicit-def: $vgpr66
	s_movk_i32 s18, 0x1100
.LBB1450_733:                           ;   in Loop: Header=BB1450_730 Depth=2
	s_wait_xcnt 0x0
	v_lshl_add_u64 v[64:65], s[42:43], 2, v[28:29]
	s_wait_loadcnt 0xe
	v_bfrev_b32_e32 v142, -2
	v_bfrev_b32_e32 v140, -2
	s_mov_b32 s17, exec_lo
	v_cmpx_gt_u32_e64 s59, v101
	s_cbranch_execz .LBB1450_735
; %bb.734:                              ;   in Loop: Header=BB1450_730 Depth=2
	global_load_b32 v140, v[64:65], off
.LBB1450_735:                           ;   in Loop: Header=BB1450_730 Depth=2
	s_wait_xcnt 0x0
	s_or_b32 exec_lo, exec_lo, s17
	s_delay_alu instid0(SALU_CYCLE_1)
	s_mov_b32 s17, exec_lo
	v_cmpx_gt_u32_e64 s59, v104
	s_cbranch_execz .LBB1450_737
; %bb.736:                              ;   in Loop: Header=BB1450_730 Depth=2
	global_load_b32 v142, v[64:65], off offset:128
.LBB1450_737:                           ;   in Loop: Header=BB1450_730 Depth=2
	s_wait_xcnt 0x0
	s_or_b32 exec_lo, exec_lo, s17
	s_wait_loadcnt 0xc
	v_bfrev_b32_e32 v148, -2
	v_bfrev_b32_e32 v144, -2
	s_mov_b32 s17, exec_lo
	v_cmpx_gt_u32_e64 s59, v105
	s_cbranch_execz .LBB1450_739
; %bb.738:                              ;   in Loop: Header=BB1450_730 Depth=2
	global_load_b32 v144, v[64:65], off offset:256
.LBB1450_739:                           ;   in Loop: Header=BB1450_730 Depth=2
	s_wait_xcnt 0x0
	s_or_b32 exec_lo, exec_lo, s17
	s_delay_alu instid0(SALU_CYCLE_1)
	s_mov_b32 s17, exec_lo
	v_cmpx_gt_u32_e64 s59, v106
	s_cbranch_execz .LBB1450_741
; %bb.740:                              ;   in Loop: Header=BB1450_730 Depth=2
	global_load_b32 v148, v[64:65], off offset:384
.LBB1450_741:                           ;   in Loop: Header=BB1450_730 Depth=2
	s_wait_xcnt 0x0
	s_or_b32 exec_lo, exec_lo, s17
	s_wait_loadcnt 0xa
	v_bfrev_b32_e32 v158, -2
	v_bfrev_b32_e32 v153, -2
	s_mov_b32 s17, exec_lo
	v_cmpx_gt_u32_e64 s59, v107
	s_cbranch_execz .LBB1450_743
; %bb.742:                              ;   in Loop: Header=BB1450_730 Depth=2
	global_load_b32 v153, v[64:65], off offset:512
.LBB1450_743:                           ;   in Loop: Header=BB1450_730 Depth=2
	;; [unrolled: 20-line block ×7, first 2 shown]
	s_wait_xcnt 0x0
	s_or_b32 exec_lo, exec_lo, s17
	s_delay_alu instid0(SALU_CYCLE_1)
	s_mov_b32 s17, exec_lo
	v_cmpx_gt_u32_e64 s59, v118
	s_cbranch_execz .LBB1450_765
; %bb.764:                              ;   in Loop: Header=BB1450_730 Depth=2
	global_load_b32 v66, v[64:65], off offset:1920
.LBB1450_765:                           ;   in Loop: Header=BB1450_730 Depth=2
	s_wait_xcnt 0x0
	s_or_b32 exec_lo, exec_lo, s17
	v_cmp_gt_u32_e64 s17, s59, v5
	s_sub_co_i32 s18, s54, s42
.LBB1450_766:                           ;   in Loop: Header=BB1450_730 Depth=2
	s_wait_xcnt 0x0
	v_bfrev_b32_e32 v64, -2
	v_mov_b32_e32 v139, s59
	s_and_saveexec_b32 s19, s17
	s_cbranch_execz .LBB1450_768
; %bb.767:                              ;   in Loop: Header=BB1450_730 Depth=2
	v_lshl_add_u64 v[64:65], s[42:43], 2, v[28:29]
	v_mov_b32_e32 v139, s18
	global_load_b32 v64, v[64:65], off offset:2048
.LBB1450_768:                           ;   in Loop: Header=BB1450_730 Depth=2
	s_wait_xcnt 0x0
	s_or_b32 exec_lo, exec_lo, s19
	s_wait_loadcnt 0xf
	v_cmp_lt_i32_e32 vcc_lo, -1, v140
	ds_store_2addr_b32 v90, v1, v1 offset0:136 offset1:137
	ds_store_2addr_b32 v90, v1, v1 offset0:138 offset1:139
	ds_store_b32 v90, v1 offset:560
	s_wait_loadcnt_dscnt 0x0
	s_barrier_signal -1
	s_barrier_wait -1
	v_cndmask_b32_e64 v65, -1, 0x80000000, vcc_lo
	; wave barrier
	s_delay_alu instid0(VALU_DEP_1) | instskip(NEXT) | instid1(VALU_DEP_1)
	v_xor_b32_e32 v140, v65, v140
	v_cmp_ne_u32_e32 vcc_lo, 0x7fffffff, v140
	v_cndmask_b32_e32 v65, 0x80000000, v140, vcc_lo
	s_delay_alu instid0(VALU_DEP_1) | instskip(NEXT) | instid1(VALU_DEP_1)
	v_lshrrev_b32_e32 v65, s49, v65
	v_bitop3_b32 v141, v65, 1, s58 bitop3:0x80
	v_and_b32_e32 v143, s58, v65
	s_delay_alu instid0(VALU_DEP_2) | instskip(NEXT) | instid1(VALU_DEP_1)
	v_add_co_u32 v65, s17, v141, -1
	v_cndmask_b32_e64 v141, 0, 1, s17
	s_delay_alu instid0(VALU_DEP_3) | instskip(SKIP_1) | instid1(VALU_DEP_3)
	v_dual_lshlrev_b32 v145, 30, v143 :: v_dual_lshlrev_b32 v147, 28, v143
	v_lshlrev_b32_e32 v146, 29, v143
	v_cmp_ne_u32_e32 vcc_lo, 0, v141
	s_delay_alu instid0(VALU_DEP_3) | instskip(SKIP_1) | instid1(VALU_DEP_4)
	v_cmp_gt_i32_e64 s17, 0, v145
	v_not_b32_e32 v141, v145
	v_cmp_gt_i32_e64 s18, 0, v146
	v_not_b32_e32 v145, v146
	v_not_b32_e32 v146, v147
	v_cmp_gt_i32_e64 s19, 0, v147
	v_ashrrev_i32_e32 v141, 31, v141
	v_bitop3_b32 v65, vcc_lo, exec_lo, v65 bitop3:0x48
	s_delay_alu instid0(VALU_DEP_4) | instskip(SKIP_2) | instid1(VALU_DEP_3)
	v_dual_ashrrev_i32 v146, 31, v146 :: v_dual_lshlrev_b32 v149, 27, v143
	v_dual_lshlrev_b32 v150, 26, v143 :: v_dual_lshlrev_b32 v151, 25, v143
	v_mul_u32_u24_e32 v143, 36, v143
	v_xor_b32_e32 v146, s19, v146
	s_delay_alu instid0(VALU_DEP_4)
	v_not_b32_e32 v147, v149
	v_ashrrev_i32_e32 v145, 31, v145
	v_cmp_gt_i32_e64 s20, 0, v149
	v_cmp_gt_i32_e64 s21, 0, v150
	v_not_b32_e32 v149, v150
	v_not_b32_e32 v150, v151
	v_dual_ashrrev_i32 v147, 31, v147 :: v_dual_bitop2_b32 v141, s17, v141 bitop3:0x14
	v_dual_add_nc_u32 v143, v25, v143 :: v_dual_bitop2_b32 v145, s18, v145 bitop3:0x14
	v_cmp_gt_i32_e64 s22, 0, v151
	s_delay_alu instid0(VALU_DEP_4) | instskip(NEXT) | instid1(VALU_DEP_4)
	v_dual_ashrrev_i32 v149, 31, v149 :: v_dual_ashrrev_i32 v150, 31, v150
	v_xor_b32_e32 v147, s20, v147
	s_delay_alu instid0(VALU_DEP_4) | instskip(NEXT) | instid1(VALU_DEP_3)
	v_bitop3_b32 v65, v65, v145, v141 bitop3:0x80
	v_xor_b32_e32 v141, s21, v149
	s_delay_alu instid0(VALU_DEP_4) | instskip(NEXT) | instid1(VALU_DEP_3)
	v_xor_b32_e32 v145, s22, v150
	v_bitop3_b32 v65, v65, v147, v146 bitop3:0x80
	s_delay_alu instid0(VALU_DEP_1) | instskip(NEXT) | instid1(VALU_DEP_1)
	v_bitop3_b32 v65, v65, v145, v141 bitop3:0x80
	v_mbcnt_lo_u32_b32 v141, v65, 0
	v_cmp_ne_u32_e64 s17, 0, v65
	s_delay_alu instid0(VALU_DEP_2) | instskip(SKIP_1) | instid1(SALU_CYCLE_1)
	v_cmp_eq_u32_e32 vcc_lo, 0, v141
	s_and_b32 s18, s17, vcc_lo
	s_and_saveexec_b32 s17, s18
; %bb.769:                              ;   in Loop: Header=BB1450_730 Depth=2
	v_bcnt_u32_b32 v65, v65, 0
	ds_store_b32 v143, v65 offset:544
; %bb.770:                              ;   in Loop: Header=BB1450_730 Depth=2
	s_or_b32 exec_lo, exec_lo, s17
	v_cmp_lt_i32_e32 vcc_lo, -1, v142
	; wave barrier
	v_cndmask_b32_e64 v65, -1, 0x80000000, vcc_lo
	s_delay_alu instid0(VALU_DEP_1) | instskip(NEXT) | instid1(VALU_DEP_1)
	v_xor_b32_e32 v142, v65, v142
	v_cmp_ne_u32_e32 vcc_lo, 0x7fffffff, v142
	v_cndmask_b32_e32 v65, 0x80000000, v142, vcc_lo
	s_delay_alu instid0(VALU_DEP_1) | instskip(NEXT) | instid1(VALU_DEP_1)
	v_lshrrev_b32_e32 v65, s49, v65
	v_bitop3_b32 v145, v65, 1, s58 bitop3:0x80
	v_and_b32_e32 v147, s58, v65
	s_delay_alu instid0(VALU_DEP_2) | instskip(NEXT) | instid1(VALU_DEP_1)
	v_add_co_u32 v65, s17, v145, -1
	v_cndmask_b32_e64 v145, 0, 1, s17
	s_delay_alu instid0(VALU_DEP_3) | instskip(NEXT) | instid1(VALU_DEP_2)
	v_dual_lshlrev_b32 v146, 30, v147 :: v_dual_lshlrev_b32 v149, 29, v147
	v_cmp_ne_u32_e32 vcc_lo, 0, v145
	s_delay_alu instid0(VALU_DEP_2) | instskip(SKIP_1) | instid1(VALU_DEP_4)
	v_cmp_gt_i32_e64 s17, 0, v146
	v_not_b32_e32 v145, v146
	v_not_b32_e32 v146, v149
	v_bitop3_b32 v65, vcc_lo, exec_lo, v65 bitop3:0x48
	s_delay_alu instid0(VALU_DEP_2) | instskip(SKIP_3) | instid1(VALU_DEP_3)
	v_dual_ashrrev_i32 v145, 31, v145 :: v_dual_ashrrev_i32 v146, 31, v146
	v_dual_lshlrev_b32 v150, 28, v147 :: v_dual_lshlrev_b32 v151, 27, v147
	v_dual_lshlrev_b32 v154, 26, v147 :: v_dual_lshlrev_b32 v155, 25, v147
	v_cmp_gt_i32_e64 s18, 0, v149
	v_cmp_gt_i32_e64 s19, 0, v150
	v_not_b32_e32 v149, v150
	v_not_b32_e32 v150, v151
	v_cmp_gt_i32_e64 s20, 0, v151
	v_cmp_gt_i32_e64 s21, 0, v154
	v_not_b32_e32 v151, v154
	v_not_b32_e32 v154, v155
	v_dual_ashrrev_i32 v149, 31, v149 :: v_dual_ashrrev_i32 v150, 31, v150
	s_delay_alu instid0(VALU_DEP_3) | instskip(SKIP_2) | instid1(VALU_DEP_4)
	v_dual_ashrrev_i32 v151, 31, v151 :: v_dual_bitop2_b32 v145, s17, v145 bitop3:0x14
	v_xor_b32_e32 v146, s18, v146
	v_cmp_gt_i32_e64 s22, 0, v155
	v_dual_ashrrev_i32 v154, 31, v154 :: v_dual_bitop2_b32 v149, s19, v149 bitop3:0x14
	v_xor_b32_e32 v150, s20, v150
	s_delay_alu instid0(VALU_DEP_4)
	v_bitop3_b32 v65, v65, v146, v145 bitop3:0x80
	v_mad_u32_u24 v145, v147, 36, v25
	v_xor_b32_e32 v146, s21, v151
	v_xor_b32_e32 v151, s22, v154
	v_mul_u32_u24_e32 v147, 36, v147
	v_bitop3_b32 v65, v65, v150, v149 bitop3:0x80
	ds_load_b32 v145, v145 offset:544
	; wave barrier
	v_add_nc_u32_e32 v147, v25, v147
	v_bitop3_b32 v65, v65, v151, v146 bitop3:0x80
	s_delay_alu instid0(VALU_DEP_1) | instskip(SKIP_1) | instid1(VALU_DEP_2)
	v_mbcnt_lo_u32_b32 v146, v65, 0
	v_cmp_ne_u32_e64 s17, 0, v65
	v_cmp_eq_u32_e32 vcc_lo, 0, v146
	s_and_b32 s18, s17, vcc_lo
	s_delay_alu instid0(SALU_CYCLE_1)
	s_and_saveexec_b32 s17, s18
	s_cbranch_execz .LBB1450_772
; %bb.771:                              ;   in Loop: Header=BB1450_730 Depth=2
	s_wait_dscnt 0x0
	v_bcnt_u32_b32 v65, v65, v145
	ds_store_b32 v147, v65 offset:544
.LBB1450_772:                           ;   in Loop: Header=BB1450_730 Depth=2
	s_or_b32 exec_lo, exec_lo, s17
	v_cmp_lt_i32_e32 vcc_lo, -1, v144
	; wave barrier
	v_cndmask_b32_e64 v65, -1, 0x80000000, vcc_lo
	s_delay_alu instid0(VALU_DEP_1) | instskip(NEXT) | instid1(VALU_DEP_1)
	v_xor_b32_e32 v144, v65, v144
	v_cmp_ne_u32_e32 vcc_lo, 0x7fffffff, v144
	v_cndmask_b32_e32 v65, 0x80000000, v144, vcc_lo
	s_delay_alu instid0(VALU_DEP_1) | instskip(NEXT) | instid1(VALU_DEP_1)
	v_lshrrev_b32_e32 v65, s49, v65
	v_bitop3_b32 v149, v65, 1, s58 bitop3:0x80
	v_and_b32_e32 v151, s58, v65
	s_delay_alu instid0(VALU_DEP_2) | instskip(NEXT) | instid1(VALU_DEP_1)
	v_add_co_u32 v65, s17, v149, -1
	v_cndmask_b32_e64 v149, 0, 1, s17
	s_delay_alu instid0(VALU_DEP_3) | instskip(NEXT) | instid1(VALU_DEP_2)
	v_dual_lshlrev_b32 v150, 30, v151 :: v_dual_lshlrev_b32 v154, 29, v151
	v_cmp_ne_u32_e32 vcc_lo, 0, v149
	s_delay_alu instid0(VALU_DEP_2) | instskip(SKIP_1) | instid1(VALU_DEP_4)
	v_cmp_gt_i32_e64 s17, 0, v150
	v_not_b32_e32 v149, v150
	v_not_b32_e32 v150, v154
	v_bitop3_b32 v65, vcc_lo, exec_lo, v65 bitop3:0x48
	s_delay_alu instid0(VALU_DEP_2) | instskip(SKIP_3) | instid1(VALU_DEP_3)
	v_dual_ashrrev_i32 v149, 31, v149 :: v_dual_ashrrev_i32 v150, 31, v150
	v_dual_lshlrev_b32 v155, 28, v151 :: v_dual_lshlrev_b32 v156, 27, v151
	v_dual_lshlrev_b32 v159, 26, v151 :: v_dual_lshlrev_b32 v160, 25, v151
	v_cmp_gt_i32_e64 s18, 0, v154
	v_cmp_gt_i32_e64 s19, 0, v155
	v_not_b32_e32 v154, v155
	v_not_b32_e32 v155, v156
	v_cmp_gt_i32_e64 s20, 0, v156
	v_cmp_gt_i32_e64 s21, 0, v159
	v_not_b32_e32 v156, v159
	v_not_b32_e32 v159, v160
	v_dual_ashrrev_i32 v154, 31, v154 :: v_dual_ashrrev_i32 v155, 31, v155
	s_delay_alu instid0(VALU_DEP_3) | instskip(NEXT) | instid1(VALU_DEP_3)
	v_dual_ashrrev_i32 v156, 31, v156 :: v_dual_bitop2_b32 v149, s17, v149 bitop3:0x14
	v_dual_ashrrev_i32 v159, 31, v159 :: v_dual_bitop2_b32 v150, s18, v150 bitop3:0x14
	v_cmp_gt_i32_e64 s22, 0, v160
	s_delay_alu instid0(VALU_DEP_4) | instskip(NEXT) | instid1(VALU_DEP_3)
	v_xor_b32_e32 v155, s20, v155
	v_bitop3_b32 v65, v65, v150, v149 bitop3:0x80
	v_mad_u32_u24 v149, v151, 36, v25
	v_mul_u32_u24_e32 v151, 36, v151
	v_xor_b32_e32 v154, s19, v154
	v_xor_b32_e32 v150, s21, v156
	;; [unrolled: 1-line block ×3, first 2 shown]
	ds_load_b32 v149, v149 offset:544
	v_add_nc_u32_e32 v151, v25, v151
	v_bitop3_b32 v65, v65, v155, v154 bitop3:0x80
	; wave barrier
	s_delay_alu instid0(VALU_DEP_1) | instskip(NEXT) | instid1(VALU_DEP_1)
	v_bitop3_b32 v65, v65, v156, v150 bitop3:0x80
	v_mbcnt_lo_u32_b32 v150, v65, 0
	v_cmp_ne_u32_e64 s17, 0, v65
	s_delay_alu instid0(VALU_DEP_2) | instskip(SKIP_1) | instid1(SALU_CYCLE_1)
	v_cmp_eq_u32_e32 vcc_lo, 0, v150
	s_and_b32 s18, s17, vcc_lo
	s_and_saveexec_b32 s17, s18
	s_cbranch_execz .LBB1450_774
; %bb.773:                              ;   in Loop: Header=BB1450_730 Depth=2
	s_wait_dscnt 0x0
	v_bcnt_u32_b32 v65, v65, v149
	ds_store_b32 v151, v65 offset:544
.LBB1450_774:                           ;   in Loop: Header=BB1450_730 Depth=2
	s_or_b32 exec_lo, exec_lo, s17
	v_cmp_lt_i32_e32 vcc_lo, -1, v148
	; wave barrier
	v_cndmask_b32_e64 v65, -1, 0x80000000, vcc_lo
	s_delay_alu instid0(VALU_DEP_1) | instskip(NEXT) | instid1(VALU_DEP_1)
	v_xor_b32_e32 v148, v65, v148
	v_cmp_ne_u32_e32 vcc_lo, 0x7fffffff, v148
	v_cndmask_b32_e32 v65, 0x80000000, v148, vcc_lo
	s_delay_alu instid0(VALU_DEP_1) | instskip(NEXT) | instid1(VALU_DEP_1)
	v_lshrrev_b32_e32 v65, s49, v65
	v_bitop3_b32 v154, v65, 1, s58 bitop3:0x80
	v_and_b32_e32 v156, s58, v65
	s_delay_alu instid0(VALU_DEP_2) | instskip(NEXT) | instid1(VALU_DEP_1)
	v_add_co_u32 v65, s17, v154, -1
	v_cndmask_b32_e64 v154, 0, 1, s17
	s_delay_alu instid0(VALU_DEP_3) | instskip(NEXT) | instid1(VALU_DEP_2)
	v_dual_lshlrev_b32 v155, 30, v156 :: v_dual_lshlrev_b32 v159, 29, v156
	v_cmp_ne_u32_e32 vcc_lo, 0, v154
	s_delay_alu instid0(VALU_DEP_2) | instskip(SKIP_1) | instid1(VALU_DEP_4)
	v_cmp_gt_i32_e64 s17, 0, v155
	v_not_b32_e32 v154, v155
	v_not_b32_e32 v155, v159
	v_cmp_gt_i32_e64 s18, 0, v159
	v_bitop3_b32 v65, vcc_lo, exec_lo, v65 bitop3:0x48
	s_delay_alu instid0(VALU_DEP_3) | instskip(SKIP_2) | instid1(VALU_DEP_2)
	v_dual_ashrrev_i32 v154, 31, v154 :: v_dual_ashrrev_i32 v155, 31, v155
	v_dual_lshlrev_b32 v160, 28, v156 :: v_dual_lshlrev_b32 v162, 27, v156
	v_dual_lshlrev_b32 v164, 26, v156 :: v_dual_lshlrev_b32 v165, 25, v156
	v_cmp_gt_i32_e64 s19, 0, v160
	v_not_b32_e32 v159, v160
	s_delay_alu instid0(VALU_DEP_4)
	v_not_b32_e32 v160, v162
	v_cmp_gt_i32_e64 s20, 0, v162
	v_cmp_gt_i32_e64 s21, 0, v164
	v_not_b32_e32 v162, v164
	v_not_b32_e32 v164, v165
	v_dual_ashrrev_i32 v159, 31, v159 :: v_dual_ashrrev_i32 v160, 31, v160
	v_xor_b32_e32 v154, s17, v154
	s_delay_alu instid0(VALU_DEP_4) | instskip(SKIP_3) | instid1(VALU_DEP_4)
	v_dual_ashrrev_i32 v162, 31, v162 :: v_dual_bitop2_b32 v155, s18, v155 bitop3:0x14
	v_cmp_gt_i32_e64 s22, 0, v165
	v_ashrrev_i32_e32 v164, 31, v164
	v_xor_b32_e32 v160, s20, v160
	v_bitop3_b32 v65, v65, v155, v154 bitop3:0x80
	v_mad_u32_u24 v154, v156, 36, v25
	v_mul_u32_u24_e32 v156, 36, v156
	v_xor_b32_e32 v159, s19, v159
	v_xor_b32_e32 v155, s21, v162
	;; [unrolled: 1-line block ×3, first 2 shown]
	ds_load_b32 v154, v154 offset:544
	v_add_nc_u32_e32 v156, v25, v156
	v_bitop3_b32 v65, v65, v160, v159 bitop3:0x80
	; wave barrier
	s_delay_alu instid0(VALU_DEP_1) | instskip(NEXT) | instid1(VALU_DEP_1)
	v_bitop3_b32 v65, v65, v162, v155 bitop3:0x80
	v_mbcnt_lo_u32_b32 v155, v65, 0
	v_cmp_ne_u32_e64 s17, 0, v65
	s_delay_alu instid0(VALU_DEP_2) | instskip(SKIP_1) | instid1(SALU_CYCLE_1)
	v_cmp_eq_u32_e32 vcc_lo, 0, v155
	s_and_b32 s18, s17, vcc_lo
	s_and_saveexec_b32 s17, s18
	s_cbranch_execz .LBB1450_776
; %bb.775:                              ;   in Loop: Header=BB1450_730 Depth=2
	s_wait_dscnt 0x0
	v_bcnt_u32_b32 v65, v65, v154
	ds_store_b32 v156, v65 offset:544
.LBB1450_776:                           ;   in Loop: Header=BB1450_730 Depth=2
	s_or_b32 exec_lo, exec_lo, s17
	v_cmp_lt_i32_e32 vcc_lo, -1, v153
	; wave barrier
	v_cndmask_b32_e64 v65, -1, 0x80000000, vcc_lo
	s_delay_alu instid0(VALU_DEP_1) | instskip(NEXT) | instid1(VALU_DEP_1)
	v_xor_b32_e32 v153, v65, v153
	v_cmp_ne_u32_e32 vcc_lo, 0x7fffffff, v153
	v_cndmask_b32_e32 v65, 0x80000000, v153, vcc_lo
	s_delay_alu instid0(VALU_DEP_1) | instskip(NEXT) | instid1(VALU_DEP_1)
	v_lshrrev_b32_e32 v65, s49, v65
	v_and_b32_e32 v162, s58, v65
	s_delay_alu instid0(VALU_DEP_1) | instskip(SKIP_2) | instid1(VALU_DEP_3)
	v_lshlrev_b32_e32 v165, 28, v162
	v_bitop3_b32 v159, v65, 1, s58 bitop3:0x80
	v_lshlrev_b32_e32 v160, 30, v162
	v_cmp_gt_i32_e64 s19, 0, v165
	s_delay_alu instid0(VALU_DEP_3) | instskip(NEXT) | instid1(VALU_DEP_1)
	v_add_co_u32 v65, s17, v159, -1
	v_cndmask_b32_e64 v159, 0, 1, s17
	s_delay_alu instid0(VALU_DEP_4) | instskip(NEXT) | instid1(VALU_DEP_2)
	v_cmp_gt_i32_e64 s17, 0, v160
	v_cmp_ne_u32_e32 vcc_lo, 0, v159
	v_not_b32_e32 v159, v160
	v_bitop3_b32 v65, vcc_lo, exec_lo, v65 bitop3:0x48
	s_delay_alu instid0(VALU_DEP_2) | instskip(SKIP_1) | instid1(VALU_DEP_2)
	v_dual_ashrrev_i32 v159, 31, v159 :: v_dual_lshlrev_b32 v164, 29, v162
	v_dual_lshlrev_b32 v167, 27, v162 :: v_dual_lshlrev_b32 v169, 26, v162
	v_not_b32_e32 v160, v164
	v_lshlrev_b32_e32 v170, 25, v162
	v_cmp_gt_i32_e64 s18, 0, v164
	v_not_b32_e32 v164, v165
	v_not_b32_e32 v165, v167
	v_ashrrev_i32_e32 v160, 31, v160
	v_cmp_gt_i32_e64 s20, 0, v167
	v_cmp_gt_i32_e64 s21, 0, v169
	v_not_b32_e32 v167, v169
	v_not_b32_e32 v169, v170
	v_dual_ashrrev_i32 v164, 31, v164 :: v_dual_ashrrev_i32 v165, 31, v165
	v_xor_b32_e32 v159, s17, v159
	s_delay_alu instid0(VALU_DEP_4) | instskip(SKIP_3) | instid1(VALU_DEP_4)
	v_dual_ashrrev_i32 v167, 31, v167 :: v_dual_bitop2_b32 v160, s18, v160 bitop3:0x14
	v_cmp_gt_i32_e64 s22, 0, v170
	v_ashrrev_i32_e32 v169, 31, v169
	v_xor_b32_e32 v165, s20, v165
	v_bitop3_b32 v65, v65, v160, v159 bitop3:0x80
	v_mad_u32_u24 v159, v162, 36, v25
	v_mul_u32_u24_e32 v162, 36, v162
	v_xor_b32_e32 v164, s19, v164
	v_xor_b32_e32 v160, s21, v167
	;; [unrolled: 1-line block ×3, first 2 shown]
	ds_load_b32 v159, v159 offset:544
	v_add_nc_u32_e32 v162, v25, v162
	v_bitop3_b32 v65, v65, v165, v164 bitop3:0x80
	; wave barrier
	s_delay_alu instid0(VALU_DEP_1) | instskip(NEXT) | instid1(VALU_DEP_1)
	v_bitop3_b32 v65, v65, v167, v160 bitop3:0x80
	v_mbcnt_lo_u32_b32 v160, v65, 0
	v_cmp_ne_u32_e64 s17, 0, v65
	s_delay_alu instid0(VALU_DEP_2) | instskip(SKIP_1) | instid1(SALU_CYCLE_1)
	v_cmp_eq_u32_e32 vcc_lo, 0, v160
	s_and_b32 s18, s17, vcc_lo
	s_and_saveexec_b32 s17, s18
	s_cbranch_execz .LBB1450_778
; %bb.777:                              ;   in Loop: Header=BB1450_730 Depth=2
	s_wait_dscnt 0x0
	v_bcnt_u32_b32 v65, v65, v159
	ds_store_b32 v162, v65 offset:544
.LBB1450_778:                           ;   in Loop: Header=BB1450_730 Depth=2
	s_or_b32 exec_lo, exec_lo, s17
	v_cmp_lt_i32_e32 vcc_lo, -1, v158
	; wave barrier
	v_cndmask_b32_e64 v65, -1, 0x80000000, vcc_lo
	s_delay_alu instid0(VALU_DEP_1) | instskip(NEXT) | instid1(VALU_DEP_1)
	v_xor_b32_e32 v158, v65, v158
	v_cmp_ne_u32_e32 vcc_lo, 0x7fffffff, v158
	v_cndmask_b32_e32 v65, 0x80000000, v158, vcc_lo
	s_delay_alu instid0(VALU_DEP_1) | instskip(NEXT) | instid1(VALU_DEP_1)
	v_lshrrev_b32_e32 v65, s49, v65
	v_bitop3_b32 v164, v65, 1, s58 bitop3:0x80
	v_and_b32_e32 v167, s58, v65
	s_delay_alu instid0(VALU_DEP_2) | instskip(NEXT) | instid1(VALU_DEP_1)
	v_add_co_u32 v65, s17, v164, -1
	v_cndmask_b32_e64 v164, 0, 1, s17
	s_delay_alu instid0(VALU_DEP_3) | instskip(NEXT) | instid1(VALU_DEP_2)
	v_lshlrev_b32_e32 v165, 30, v167
	v_cmp_ne_u32_e32 vcc_lo, 0, v164
	s_delay_alu instid0(VALU_DEP_2) | instskip(SKIP_1) | instid1(VALU_DEP_2)
	v_not_b32_e32 v164, v165
	v_bitop3_b32 v65, vcc_lo, exec_lo, v65 bitop3:0x48
	v_dual_ashrrev_i32 v164, 31, v164 :: v_dual_lshlrev_b32 v169, 29, v167
	v_dual_lshlrev_b32 v170, 28, v167 :: v_dual_lshlrev_b32 v172, 27, v167
	v_lshlrev_b32_e32 v174, 26, v167
	v_cmp_gt_i32_e64 s17, 0, v165
	s_delay_alu instid0(VALU_DEP_4)
	v_not_b32_e32 v165, v169
	v_lshlrev_b32_e32 v175, 25, v167
	v_cmp_gt_i32_e64 s18, 0, v169
	v_cmp_gt_i32_e64 s19, 0, v170
	v_not_b32_e32 v169, v170
	v_not_b32_e32 v170, v172
	v_ashrrev_i32_e32 v165, 31, v165
	v_cmp_gt_i32_e64 s20, 0, v172
	v_cmp_gt_i32_e64 s21, 0, v174
	v_not_b32_e32 v172, v174
	v_not_b32_e32 v174, v175
	v_dual_ashrrev_i32 v169, 31, v169 :: v_dual_ashrrev_i32 v170, 31, v170
	v_xor_b32_e32 v164, s17, v164
	s_delay_alu instid0(VALU_DEP_4) | instskip(SKIP_3) | instid1(VALU_DEP_4)
	v_dual_ashrrev_i32 v172, 31, v172 :: v_dual_bitop2_b32 v165, s18, v165 bitop3:0x14
	v_cmp_gt_i32_e64 s22, 0, v175
	v_ashrrev_i32_e32 v174, 31, v174
	v_xor_b32_e32 v170, s20, v170
	v_bitop3_b32 v65, v65, v165, v164 bitop3:0x80
	v_mad_u32_u24 v164, v167, 36, v25
	v_mul_u32_u24_e32 v167, 36, v167
	v_xor_b32_e32 v169, s19, v169
	v_xor_b32_e32 v165, s21, v172
	;; [unrolled: 1-line block ×3, first 2 shown]
	ds_load_b32 v164, v164 offset:544
	v_add_nc_u32_e32 v167, v25, v167
	v_bitop3_b32 v65, v65, v170, v169 bitop3:0x80
	; wave barrier
	s_delay_alu instid0(VALU_DEP_1) | instskip(NEXT) | instid1(VALU_DEP_1)
	v_bitop3_b32 v65, v65, v172, v165 bitop3:0x80
	v_mbcnt_lo_u32_b32 v165, v65, 0
	v_cmp_ne_u32_e64 s17, 0, v65
	s_delay_alu instid0(VALU_DEP_2) | instskip(SKIP_1) | instid1(SALU_CYCLE_1)
	v_cmp_eq_u32_e32 vcc_lo, 0, v165
	s_and_b32 s18, s17, vcc_lo
	s_and_saveexec_b32 s17, s18
	s_cbranch_execz .LBB1450_780
; %bb.779:                              ;   in Loop: Header=BB1450_730 Depth=2
	s_wait_dscnt 0x0
	v_bcnt_u32_b32 v65, v65, v164
	ds_store_b32 v167, v65 offset:544
.LBB1450_780:                           ;   in Loop: Header=BB1450_730 Depth=2
	s_or_b32 exec_lo, exec_lo, s17
	v_cmp_lt_i32_e32 vcc_lo, -1, v163
	; wave barrier
	v_cndmask_b32_e64 v65, -1, 0x80000000, vcc_lo
	s_delay_alu instid0(VALU_DEP_1) | instskip(NEXT) | instid1(VALU_DEP_1)
	v_xor_b32_e32 v163, v65, v163
	v_cmp_ne_u32_e32 vcc_lo, 0x7fffffff, v163
	v_cndmask_b32_e32 v65, 0x80000000, v163, vcc_lo
	s_delay_alu instid0(VALU_DEP_1) | instskip(NEXT) | instid1(VALU_DEP_1)
	v_lshrrev_b32_e32 v65, s49, v65
	v_bitop3_b32 v169, v65, 1, s58 bitop3:0x80
	v_and_b32_e32 v172, s58, v65
	s_delay_alu instid0(VALU_DEP_2) | instskip(NEXT) | instid1(VALU_DEP_1)
	v_add_co_u32 v65, s17, v169, -1
	v_cndmask_b32_e64 v169, 0, 1, s17
	s_delay_alu instid0(VALU_DEP_3) | instskip(NEXT) | instid1(VALU_DEP_2)
	v_dual_lshlrev_b32 v170, 30, v172 :: v_dual_lshlrev_b32 v174, 29, v172
	v_cmp_ne_u32_e32 vcc_lo, 0, v169
	s_delay_alu instid0(VALU_DEP_2) | instskip(SKIP_1) | instid1(VALU_DEP_4)
	v_cmp_gt_i32_e64 s17, 0, v170
	v_not_b32_e32 v169, v170
	v_not_b32_e32 v170, v174
	v_bitop3_b32 v65, vcc_lo, exec_lo, v65 bitop3:0x48
	s_delay_alu instid0(VALU_DEP_2) | instskip(SKIP_3) | instid1(VALU_DEP_3)
	v_dual_ashrrev_i32 v169, 31, v169 :: v_dual_ashrrev_i32 v170, 31, v170
	v_dual_lshlrev_b32 v175, 28, v172 :: v_dual_lshlrev_b32 v176, 27, v172
	v_dual_lshlrev_b32 v177, 26, v172 :: v_dual_lshlrev_b32 v178, 25, v172
	v_cmp_gt_i32_e64 s18, 0, v174
	v_cmp_gt_i32_e64 s19, 0, v175
	v_not_b32_e32 v174, v175
	v_not_b32_e32 v175, v176
	v_cmp_gt_i32_e64 s20, 0, v176
	v_cmp_gt_i32_e64 s21, 0, v177
	v_not_b32_e32 v176, v177
	v_not_b32_e32 v177, v178
	v_dual_ashrrev_i32 v174, 31, v174 :: v_dual_ashrrev_i32 v175, 31, v175
	s_delay_alu instid0(VALU_DEP_3) | instskip(NEXT) | instid1(VALU_DEP_3)
	v_dual_ashrrev_i32 v176, 31, v176 :: v_dual_bitop2_b32 v169, s17, v169 bitop3:0x14
	v_dual_ashrrev_i32 v177, 31, v177 :: v_dual_bitop2_b32 v170, s18, v170 bitop3:0x14
	v_cmp_gt_i32_e64 s22, 0, v178
	s_delay_alu instid0(VALU_DEP_4) | instskip(NEXT) | instid1(VALU_DEP_3)
	v_xor_b32_e32 v175, s20, v175
	v_bitop3_b32 v65, v65, v170, v169 bitop3:0x80
	v_mad_u32_u24 v169, v172, 36, v25
	v_mul_u32_u24_e32 v172, 36, v172
	v_xor_b32_e32 v174, s19, v174
	v_xor_b32_e32 v170, s21, v176
	;; [unrolled: 1-line block ×3, first 2 shown]
	ds_load_b32 v169, v169 offset:544
	v_add_nc_u32_e32 v172, v25, v172
	v_bitop3_b32 v65, v65, v175, v174 bitop3:0x80
	; wave barrier
	s_delay_alu instid0(VALU_DEP_1) | instskip(NEXT) | instid1(VALU_DEP_1)
	v_bitop3_b32 v65, v65, v176, v170 bitop3:0x80
	v_mbcnt_lo_u32_b32 v170, v65, 0
	v_cmp_ne_u32_e64 s17, 0, v65
	s_delay_alu instid0(VALU_DEP_2) | instskip(SKIP_1) | instid1(SALU_CYCLE_1)
	v_cmp_eq_u32_e32 vcc_lo, 0, v170
	s_and_b32 s18, s17, vcc_lo
	s_and_saveexec_b32 s17, s18
	s_cbranch_execz .LBB1450_782
; %bb.781:                              ;   in Loop: Header=BB1450_730 Depth=2
	s_wait_dscnt 0x0
	v_bcnt_u32_b32 v65, v65, v169
	ds_store_b32 v172, v65 offset:544
.LBB1450_782:                           ;   in Loop: Header=BB1450_730 Depth=2
	s_or_b32 exec_lo, exec_lo, s17
	v_cmp_lt_i32_e32 vcc_lo, -1, v168
	; wave barrier
	v_cndmask_b32_e64 v65, -1, 0x80000000, vcc_lo
	s_delay_alu instid0(VALU_DEP_1) | instskip(NEXT) | instid1(VALU_DEP_1)
	v_xor_b32_e32 v168, v65, v168
	v_cmp_ne_u32_e32 vcc_lo, 0x7fffffff, v168
	v_cndmask_b32_e32 v65, 0x80000000, v168, vcc_lo
	s_delay_alu instid0(VALU_DEP_1) | instskip(NEXT) | instid1(VALU_DEP_1)
	v_lshrrev_b32_e32 v65, s49, v65
	v_bitop3_b32 v174, v65, 1, s58 bitop3:0x80
	v_and_b32_e32 v176, s58, v65
	s_delay_alu instid0(VALU_DEP_2) | instskip(NEXT) | instid1(VALU_DEP_1)
	v_add_co_u32 v65, s17, v174, -1
	v_cndmask_b32_e64 v174, 0, 1, s17
	s_delay_alu instid0(VALU_DEP_3) | instskip(NEXT) | instid1(VALU_DEP_2)
	v_dual_lshlrev_b32 v175, 30, v176 :: v_dual_lshlrev_b32 v177, 29, v176
	v_cmp_ne_u32_e32 vcc_lo, 0, v174
	s_delay_alu instid0(VALU_DEP_2) | instskip(SKIP_1) | instid1(VALU_DEP_4)
	v_cmp_gt_i32_e64 s17, 0, v175
	v_not_b32_e32 v174, v175
	v_not_b32_e32 v175, v177
	v_cmp_gt_i32_e64 s18, 0, v177
	v_bitop3_b32 v65, vcc_lo, exec_lo, v65 bitop3:0x48
	s_delay_alu instid0(VALU_DEP_3) | instskip(SKIP_2) | instid1(VALU_DEP_2)
	v_dual_ashrrev_i32 v174, 31, v174 :: v_dual_ashrrev_i32 v175, 31, v175
	v_dual_lshlrev_b32 v178, 28, v176 :: v_dual_lshlrev_b32 v179, 27, v176
	v_dual_lshlrev_b32 v180, 26, v176 :: v_dual_lshlrev_b32 v181, 25, v176
	v_cmp_gt_i32_e64 s19, 0, v178
	v_not_b32_e32 v177, v178
	s_delay_alu instid0(VALU_DEP_4)
	v_not_b32_e32 v178, v179
	v_cmp_gt_i32_e64 s20, 0, v179
	v_cmp_gt_i32_e64 s21, 0, v180
	v_not_b32_e32 v179, v180
	v_not_b32_e32 v180, v181
	v_dual_ashrrev_i32 v177, 31, v177 :: v_dual_ashrrev_i32 v178, 31, v178
	s_delay_alu instid0(VALU_DEP_3) | instskip(NEXT) | instid1(VALU_DEP_3)
	v_dual_ashrrev_i32 v179, 31, v179 :: v_dual_bitop2_b32 v174, s17, v174 bitop3:0x14
	v_dual_ashrrev_i32 v180, 31, v180 :: v_dual_bitop2_b32 v175, s18, v175 bitop3:0x14
	v_cmp_gt_i32_e64 s22, 0, v181
	s_delay_alu instid0(VALU_DEP_4) | instskip(NEXT) | instid1(VALU_DEP_3)
	v_xor_b32_e32 v178, s20, v178
	v_bitop3_b32 v65, v65, v175, v174 bitop3:0x80
	v_mad_u32_u24 v174, v176, 36, v25
	v_mul_u32_u24_e32 v176, 36, v176
	v_xor_b32_e32 v177, s19, v177
	v_xor_b32_e32 v175, s21, v179
	;; [unrolled: 1-line block ×3, first 2 shown]
	ds_load_b32 v174, v174 offset:544
	v_add_nc_u32_e32 v176, v25, v176
	v_bitop3_b32 v65, v65, v178, v177 bitop3:0x80
	; wave barrier
	s_delay_alu instid0(VALU_DEP_1) | instskip(NEXT) | instid1(VALU_DEP_1)
	v_bitop3_b32 v65, v65, v179, v175 bitop3:0x80
	v_mbcnt_lo_u32_b32 v175, v65, 0
	v_cmp_ne_u32_e64 s17, 0, v65
	s_delay_alu instid0(VALU_DEP_2) | instskip(SKIP_1) | instid1(SALU_CYCLE_1)
	v_cmp_eq_u32_e32 vcc_lo, 0, v175
	s_and_b32 s18, s17, vcc_lo
	s_and_saveexec_b32 s17, s18
	s_cbranch_execz .LBB1450_784
; %bb.783:                              ;   in Loop: Header=BB1450_730 Depth=2
	s_wait_dscnt 0x0
	v_bcnt_u32_b32 v65, v65, v174
	ds_store_b32 v176, v65 offset:544
.LBB1450_784:                           ;   in Loop: Header=BB1450_730 Depth=2
	s_or_b32 exec_lo, exec_lo, s17
	v_cmp_lt_i32_e32 vcc_lo, -1, v173
	; wave barrier
	v_cndmask_b32_e64 v65, -1, 0x80000000, vcc_lo
	s_delay_alu instid0(VALU_DEP_1) | instskip(NEXT) | instid1(VALU_DEP_1)
	v_xor_b32_e32 v173, v65, v173
	v_cmp_ne_u32_e32 vcc_lo, 0x7fffffff, v173
	v_cndmask_b32_e32 v65, 0x80000000, v173, vcc_lo
	s_delay_alu instid0(VALU_DEP_1) | instskip(NEXT) | instid1(VALU_DEP_1)
	v_lshrrev_b32_e32 v65, s49, v65
	v_and_b32_e32 v179, s58, v65
	s_delay_alu instid0(VALU_DEP_1) | instskip(SKIP_2) | instid1(VALU_DEP_3)
	v_lshlrev_b32_e32 v181, 28, v179
	v_bitop3_b32 v177, v65, 1, s58 bitop3:0x80
	v_dual_lshlrev_b32 v178, 30, v179 :: v_dual_lshlrev_b32 v180, 29, v179
	v_cmp_gt_i32_e64 s19, 0, v181
	s_delay_alu instid0(VALU_DEP_3) | instskip(NEXT) | instid1(VALU_DEP_1)
	v_add_co_u32 v65, s17, v177, -1
	v_cndmask_b32_e64 v177, 0, 1, s17
	s_delay_alu instid0(VALU_DEP_4) | instskip(SKIP_1) | instid1(VALU_DEP_3)
	v_cmp_gt_i32_e64 s17, 0, v178
	v_cmp_gt_i32_e64 s18, 0, v180
	v_cmp_ne_u32_e32 vcc_lo, 0, v177
	v_not_b32_e32 v177, v178
	v_not_b32_e32 v178, v180
	;; [unrolled: 1-line block ×3, first 2 shown]
	v_bitop3_b32 v65, vcc_lo, exec_lo, v65 bitop3:0x48
	s_delay_alu instid0(VALU_DEP_3) | instskip(SKIP_2) | instid1(VALU_DEP_2)
	v_dual_ashrrev_i32 v177, 31, v177 :: v_dual_ashrrev_i32 v178, 31, v178
	v_dual_lshlrev_b32 v182, 27, v179 :: v_dual_lshlrev_b32 v183, 26, v179
	v_lshlrev_b32_e32 v184, 25, v179
	v_not_b32_e32 v181, v182
	v_cmp_gt_i32_e64 s20, 0, v182
	s_delay_alu instid0(VALU_DEP_4) | instskip(SKIP_3) | instid1(VALU_DEP_3)
	v_cmp_gt_i32_e64 s21, 0, v183
	v_not_b32_e32 v182, v183
	v_not_b32_e32 v183, v184
	v_dual_ashrrev_i32 v180, 31, v180 :: v_dual_ashrrev_i32 v181, 31, v181
	v_dual_ashrrev_i32 v182, 31, v182 :: v_dual_bitop2_b32 v177, s17, v177 bitop3:0x14
	s_delay_alu instid0(VALU_DEP_3) | instskip(SKIP_1) | instid1(VALU_DEP_4)
	v_dual_ashrrev_i32 v183, 31, v183 :: v_dual_bitop2_b32 v178, s18, v178 bitop3:0x14
	v_cmp_gt_i32_e64 s22, 0, v184
	v_xor_b32_e32 v181, s20, v181
	s_delay_alu instid0(VALU_DEP_3)
	v_bitop3_b32 v65, v65, v178, v177 bitop3:0x80
	v_mad_u32_u24 v177, v179, 36, v25
	v_mul_u32_u24_e32 v179, 36, v179
	v_xor_b32_e32 v180, s19, v180
	v_xor_b32_e32 v178, s21, v182
	;; [unrolled: 1-line block ×3, first 2 shown]
	ds_load_b32 v177, v177 offset:544
	v_add_nc_u32_e32 v179, v25, v179
	v_bitop3_b32 v65, v65, v181, v180 bitop3:0x80
	; wave barrier
	s_delay_alu instid0(VALU_DEP_1) | instskip(NEXT) | instid1(VALU_DEP_1)
	v_bitop3_b32 v65, v65, v182, v178 bitop3:0x80
	v_mbcnt_lo_u32_b32 v178, v65, 0
	v_cmp_ne_u32_e64 s17, 0, v65
	s_delay_alu instid0(VALU_DEP_2) | instskip(SKIP_1) | instid1(SALU_CYCLE_1)
	v_cmp_eq_u32_e32 vcc_lo, 0, v178
	s_and_b32 s18, s17, vcc_lo
	s_and_saveexec_b32 s17, s18
	s_cbranch_execz .LBB1450_786
; %bb.785:                              ;   in Loop: Header=BB1450_730 Depth=2
	s_wait_dscnt 0x0
	v_bcnt_u32_b32 v65, v65, v177
	ds_store_b32 v179, v65 offset:544
.LBB1450_786:                           ;   in Loop: Header=BB1450_730 Depth=2
	s_or_b32 exec_lo, exec_lo, s17
	v_cmp_lt_i32_e32 vcc_lo, -1, v171
	; wave barrier
	v_cndmask_b32_e64 v65, -1, 0x80000000, vcc_lo
	s_delay_alu instid0(VALU_DEP_1) | instskip(NEXT) | instid1(VALU_DEP_1)
	v_xor_b32_e32 v171, v65, v171
	v_cmp_ne_u32_e32 vcc_lo, 0x7fffffff, v171
	v_cndmask_b32_e32 v65, 0x80000000, v171, vcc_lo
	s_delay_alu instid0(VALU_DEP_1) | instskip(NEXT) | instid1(VALU_DEP_1)
	v_lshrrev_b32_e32 v65, s49, v65
	v_bitop3_b32 v180, v65, 1, s58 bitop3:0x80
	v_and_b32_e32 v182, s58, v65
	s_delay_alu instid0(VALU_DEP_2) | instskip(NEXT) | instid1(VALU_DEP_1)
	v_add_co_u32 v65, s17, v180, -1
	v_cndmask_b32_e64 v180, 0, 1, s17
	s_delay_alu instid0(VALU_DEP_3) | instskip(NEXT) | instid1(VALU_DEP_2)
	v_lshlrev_b32_e32 v181, 30, v182
	v_cmp_ne_u32_e32 vcc_lo, 0, v180
	s_delay_alu instid0(VALU_DEP_2) | instskip(SKIP_1) | instid1(VALU_DEP_2)
	v_not_b32_e32 v180, v181
	v_bitop3_b32 v65, vcc_lo, exec_lo, v65 bitop3:0x48
	v_dual_ashrrev_i32 v180, 31, v180 :: v_dual_lshlrev_b32 v183, 29, v182
	v_dual_lshlrev_b32 v184, 28, v182 :: v_dual_lshlrev_b32 v185, 27, v182
	v_lshlrev_b32_e32 v186, 26, v182
	v_cmp_gt_i32_e64 s17, 0, v181
	s_delay_alu instid0(VALU_DEP_4)
	v_not_b32_e32 v181, v183
	v_lshlrev_b32_e32 v187, 25, v182
	v_cmp_gt_i32_e64 s18, 0, v183
	v_cmp_gt_i32_e64 s19, 0, v184
	v_not_b32_e32 v183, v184
	v_not_b32_e32 v184, v185
	v_ashrrev_i32_e32 v181, 31, v181
	v_cmp_gt_i32_e64 s20, 0, v185
	v_cmp_gt_i32_e64 s21, 0, v186
	v_not_b32_e32 v185, v186
	v_not_b32_e32 v186, v187
	v_dual_ashrrev_i32 v183, 31, v183 :: v_dual_ashrrev_i32 v184, 31, v184
	s_delay_alu instid0(VALU_DEP_3) | instskip(NEXT) | instid1(VALU_DEP_3)
	v_dual_ashrrev_i32 v185, 31, v185 :: v_dual_bitop2_b32 v180, s17, v180 bitop3:0x14
	v_dual_ashrrev_i32 v186, 31, v186 :: v_dual_bitop2_b32 v181, s18, v181 bitop3:0x14
	v_cmp_gt_i32_e64 s22, 0, v187
	s_delay_alu instid0(VALU_DEP_4) | instskip(NEXT) | instid1(VALU_DEP_3)
	v_xor_b32_e32 v184, s20, v184
	v_bitop3_b32 v65, v65, v181, v180 bitop3:0x80
	v_mad_u32_u24 v180, v182, 36, v25
	v_mul_u32_u24_e32 v182, 36, v182
	v_xor_b32_e32 v183, s19, v183
	v_xor_b32_e32 v181, s21, v185
	;; [unrolled: 1-line block ×3, first 2 shown]
	ds_load_b32 v180, v180 offset:544
	v_add_nc_u32_e32 v182, v25, v182
	v_bitop3_b32 v65, v65, v184, v183 bitop3:0x80
	; wave barrier
	s_delay_alu instid0(VALU_DEP_1) | instskip(NEXT) | instid1(VALU_DEP_1)
	v_bitop3_b32 v65, v65, v185, v181 bitop3:0x80
	v_mbcnt_lo_u32_b32 v181, v65, 0
	v_cmp_ne_u32_e64 s17, 0, v65
	s_delay_alu instid0(VALU_DEP_2) | instskip(SKIP_1) | instid1(SALU_CYCLE_1)
	v_cmp_eq_u32_e32 vcc_lo, 0, v181
	s_and_b32 s18, s17, vcc_lo
	s_and_saveexec_b32 s17, s18
	s_cbranch_execz .LBB1450_788
; %bb.787:                              ;   in Loop: Header=BB1450_730 Depth=2
	s_wait_dscnt 0x0
	v_bcnt_u32_b32 v65, v65, v180
	ds_store_b32 v182, v65 offset:544
.LBB1450_788:                           ;   in Loop: Header=BB1450_730 Depth=2
	s_or_b32 exec_lo, exec_lo, s17
	v_cmp_lt_i32_e32 vcc_lo, -1, v166
	; wave barrier
	v_cndmask_b32_e64 v65, -1, 0x80000000, vcc_lo
	s_delay_alu instid0(VALU_DEP_1) | instskip(NEXT) | instid1(VALU_DEP_1)
	v_xor_b32_e32 v166, v65, v166
	v_cmp_ne_u32_e32 vcc_lo, 0x7fffffff, v166
	v_cndmask_b32_e32 v65, 0x80000000, v166, vcc_lo
	s_delay_alu instid0(VALU_DEP_1) | instskip(NEXT) | instid1(VALU_DEP_1)
	v_lshrrev_b32_e32 v65, s49, v65
	v_bitop3_b32 v183, v65, 1, s58 bitop3:0x80
	v_and_b32_e32 v186, s58, v65
	s_delay_alu instid0(VALU_DEP_2) | instskip(NEXT) | instid1(VALU_DEP_1)
	v_add_co_u32 v65, s17, v183, -1
	v_cndmask_b32_e64 v183, 0, 1, s17
	s_delay_alu instid0(VALU_DEP_3) | instskip(NEXT) | instid1(VALU_DEP_2)
	v_lshlrev_b32_e32 v184, 30, v186
	v_cmp_ne_u32_e32 vcc_lo, 0, v183
	s_delay_alu instid0(VALU_DEP_2) | instskip(SKIP_1) | instid1(VALU_DEP_2)
	v_not_b32_e32 v183, v184
	v_bitop3_b32 v65, vcc_lo, exec_lo, v65 bitop3:0x48
	v_dual_ashrrev_i32 v183, 31, v183 :: v_dual_lshlrev_b32 v185, 29, v186
	v_cmp_gt_i32_e64 s17, 0, v184
	v_dual_lshlrev_b32 v187, 28, v186 :: v_dual_lshlrev_b32 v188, 27, v186
	v_dual_lshlrev_b32 v189, 26, v186 :: v_dual_lshlrev_b32 v190, 25, v186
	s_delay_alu instid0(VALU_DEP_4) | instskip(SKIP_1) | instid1(VALU_DEP_4)
	v_not_b32_e32 v184, v185
	v_cmp_gt_i32_e64 s18, 0, v185
	v_cmp_gt_i32_e64 s19, 0, v187
	v_not_b32_e32 v185, v187
	v_cmp_gt_i32_e64 s20, 0, v188
	v_ashrrev_i32_e32 v184, 31, v184
	v_not_b32_e32 v187, v188
	v_cmp_gt_i32_e64 s21, 0, v189
	v_not_b32_e32 v188, v189
	v_not_b32_e32 v189, v190
	v_xor_b32_e32 v183, s17, v183
	v_dual_ashrrev_i32 v185, 31, v185 :: v_dual_bitop2_b32 v184, s18, v184 bitop3:0x14
	s_delay_alu instid0(VALU_DEP_4) | instskip(NEXT) | instid1(VALU_DEP_4)
	v_dual_ashrrev_i32 v187, 31, v187 :: v_dual_ashrrev_i32 v188, 31, v188
	v_ashrrev_i32_e32 v189, 31, v189
	s_delay_alu instid0(VALU_DEP_3)
	v_bitop3_b32 v65, v65, v184, v183 bitop3:0x80
	v_mad_u32_u24 v183, v186, 36, v25
	v_cmp_gt_i32_e64 s22, 0, v190
	v_xor_b32_e32 v187, s20, v187
	v_xor_b32_e32 v188, s21, v188
	ds_load_b32 v184, v183 offset:544
	v_mul_u32_u24_e32 v183, 36, v186
	v_xor_b32_e32 v185, s19, v185
	v_xor_b32_e32 v189, s22, v189
	; wave barrier
	s_delay_alu instid0(VALU_DEP_3) | instskip(NEXT) | instid1(VALU_DEP_3)
	v_add_nc_u32_e32 v186, v25, v183
	v_bitop3_b32 v65, v65, v187, v185 bitop3:0x80
	s_delay_alu instid0(VALU_DEP_1) | instskip(NEXT) | instid1(VALU_DEP_1)
	v_bitop3_b32 v65, v65, v189, v188 bitop3:0x80
	v_mbcnt_lo_u32_b32 v185, v65, 0
	v_cmp_ne_u32_e64 s17, 0, v65
	s_delay_alu instid0(VALU_DEP_2) | instskip(SKIP_1) | instid1(SALU_CYCLE_1)
	v_cmp_eq_u32_e32 vcc_lo, 0, v185
	s_and_b32 s18, s17, vcc_lo
	s_and_saveexec_b32 s17, s18
	s_cbranch_execz .LBB1450_790
; %bb.789:                              ;   in Loop: Header=BB1450_730 Depth=2
	s_wait_dscnt 0x0
	v_bcnt_u32_b32 v65, v65, v184
	ds_store_b32 v186, v65 offset:544
.LBB1450_790:                           ;   in Loop: Header=BB1450_730 Depth=2
	s_or_b32 exec_lo, exec_lo, s17
	v_cmp_lt_i32_e32 vcc_lo, -1, v161
	; wave barrier
	v_cndmask_b32_e64 v65, -1, 0x80000000, vcc_lo
	s_delay_alu instid0(VALU_DEP_1) | instskip(NEXT) | instid1(VALU_DEP_1)
	v_xor_b32_e32 v183, v65, v161
	v_cmp_ne_u32_e32 vcc_lo, 0x7fffffff, v183
	v_cndmask_b32_e32 v65, 0x80000000, v183, vcc_lo
	s_delay_alu instid0(VALU_DEP_1) | instskip(NEXT) | instid1(VALU_DEP_1)
	v_lshrrev_b32_e32 v65, s49, v65
	v_and_b32_e32 v187, s58, v65
	s_delay_alu instid0(VALU_DEP_1) | instskip(SKIP_3) | instid1(VALU_DEP_4)
	v_lshlrev_b32_e32 v189, 29, v187
	v_bitop3_b32 v161, v65, 1, s58 bitop3:0x80
	v_dual_lshlrev_b32 v188, 30, v187 :: v_dual_lshlrev_b32 v190, 28, v187
	v_lshlrev_b32_e32 v191, 27, v187
	v_cmp_gt_i32_e64 s18, 0, v189
	s_delay_alu instid0(VALU_DEP_4) | instskip(NEXT) | instid1(VALU_DEP_1)
	v_add_co_u32 v65, s17, v161, -1
	v_cndmask_b32_e64 v161, 0, 1, s17
	v_cmp_gt_i32_e64 s17, 0, v188
	v_cmp_gt_i32_e64 s19, 0, v190
	;; [unrolled: 1-line block ×3, first 2 shown]
	s_delay_alu instid0(VALU_DEP_4)
	v_cmp_ne_u32_e32 vcc_lo, 0, v161
	v_not_b32_e32 v161, v188
	v_not_b32_e32 v188, v189
	;; [unrolled: 1-line block ×4, first 2 shown]
	v_bitop3_b32 v65, vcc_lo, exec_lo, v65 bitop3:0x48
	s_delay_alu instid0(VALU_DEP_4) | instskip(NEXT) | instid1(VALU_DEP_3)
	v_dual_ashrrev_i32 v188, 31, v188 :: v_dual_ashrrev_i32 v161, 31, v161
	v_dual_ashrrev_i32 v190, 31, v190 :: v_dual_lshlrev_b32 v192, 26, v187
	s_delay_alu instid0(VALU_DEP_2) | instskip(NEXT) | instid1(VALU_DEP_2)
	v_dual_lshlrev_b32 v193, 25, v187 :: v_dual_bitop2_b32 v188, s18, v188 bitop3:0x14
	v_cmp_gt_i32_e64 s21, 0, v192
	v_not_b32_e32 v191, v192
	s_delay_alu instid0(VALU_DEP_3) | instskip(SKIP_3) | instid1(VALU_DEP_4)
	v_not_b32_e32 v192, v193
	v_xor_b32_e32 v161, s17, v161
	v_ashrrev_i32_e32 v189, 31, v189
	v_cmp_gt_i32_e64 s22, 0, v193
	v_dual_ashrrev_i32 v191, 31, v191 :: v_dual_ashrrev_i32 v192, 31, v192
	s_delay_alu instid0(VALU_DEP_4) | instskip(SKIP_2) | instid1(VALU_DEP_4)
	v_bitop3_b32 v65, v65, v188, v161 bitop3:0x80
	v_mad_u32_u24 v161, v187, 36, v25
	v_xor_b32_e32 v189, s19, v189
	v_xor_b32_e32 v191, s21, v191
	v_xor_b32_e32 v192, s22, v192
	ds_load_b32 v188, v161 offset:544
	v_mul_u32_u24_e32 v161, 36, v187
	v_xor_b32_e32 v190, s20, v190
	; wave barrier
	s_delay_alu instid0(VALU_DEP_2) | instskip(NEXT) | instid1(VALU_DEP_2)
	v_add_nc_u32_e32 v161, v25, v161
	v_bitop3_b32 v65, v65, v190, v189 bitop3:0x80
	s_delay_alu instid0(VALU_DEP_1) | instskip(NEXT) | instid1(VALU_DEP_1)
	v_bitop3_b32 v65, v65, v192, v191 bitop3:0x80
	v_mbcnt_lo_u32_b32 v189, v65, 0
	v_cmp_ne_u32_e64 s17, 0, v65
	s_delay_alu instid0(VALU_DEP_2) | instskip(SKIP_1) | instid1(SALU_CYCLE_1)
	v_cmp_eq_u32_e32 vcc_lo, 0, v189
	s_and_b32 s18, s17, vcc_lo
	s_and_saveexec_b32 s17, s18
	s_cbranch_execz .LBB1450_792
; %bb.791:                              ;   in Loop: Header=BB1450_730 Depth=2
	s_wait_dscnt 0x0
	v_bcnt_u32_b32 v65, v65, v188
	ds_store_b32 v161, v65 offset:544
.LBB1450_792:                           ;   in Loop: Header=BB1450_730 Depth=2
	s_or_b32 exec_lo, exec_lo, s17
	v_cmp_lt_i32_e32 vcc_lo, -1, v157
	; wave barrier
	v_cndmask_b32_e64 v65, -1, 0x80000000, vcc_lo
	s_delay_alu instid0(VALU_DEP_1) | instskip(NEXT) | instid1(VALU_DEP_1)
	v_xor_b32_e32 v187, v65, v157
	v_cmp_ne_u32_e32 vcc_lo, 0x7fffffff, v187
	v_cndmask_b32_e32 v65, 0x80000000, v187, vcc_lo
	s_delay_alu instid0(VALU_DEP_1) | instskip(NEXT) | instid1(VALU_DEP_1)
	v_lshrrev_b32_e32 v65, s49, v65
	v_and_b32_e32 v190, s58, v65
	s_delay_alu instid0(VALU_DEP_1) | instskip(SKIP_2) | instid1(VALU_DEP_3)
	v_lshlrev_b32_e32 v193, 28, v190
	v_bitop3_b32 v157, v65, 1, s58 bitop3:0x80
	v_dual_lshlrev_b32 v191, 30, v190 :: v_dual_lshlrev_b32 v192, 29, v190
	v_cmp_gt_i32_e64 s19, 0, v193
	s_delay_alu instid0(VALU_DEP_3) | instskip(NEXT) | instid1(VALU_DEP_1)
	v_add_co_u32 v65, s17, v157, -1
	v_cndmask_b32_e64 v157, 0, 1, s17
	s_delay_alu instid0(VALU_DEP_4) | instskip(SKIP_1) | instid1(VALU_DEP_3)
	v_cmp_gt_i32_e64 s17, 0, v191
	v_cmp_gt_i32_e64 s18, 0, v192
	v_cmp_ne_u32_e32 vcc_lo, 0, v157
	v_not_b32_e32 v157, v191
	v_not_b32_e32 v191, v192
	;; [unrolled: 1-line block ×3, first 2 shown]
	v_bitop3_b32 v65, vcc_lo, exec_lo, v65 bitop3:0x48
	s_delay_alu instid0(VALU_DEP_3) | instskip(SKIP_1) | instid1(VALU_DEP_2)
	v_dual_ashrrev_i32 v157, 31, v157 :: v_dual_ashrrev_i32 v191, 31, v191
	v_dual_lshlrev_b32 v194, 27, v190 :: v_dual_lshlrev_b32 v195, 26, v190
	v_dual_lshlrev_b32 v196, 25, v190 :: v_dual_bitop2_b32 v191, s18, v191 bitop3:0x14
	s_delay_alu instid0(VALU_DEP_2) | instskip(SKIP_1) | instid1(VALU_DEP_4)
	v_not_b32_e32 v193, v194
	v_cmp_gt_i32_e64 s20, 0, v194
	v_cmp_gt_i32_e64 s21, 0, v195
	v_not_b32_e32 v194, v195
	v_not_b32_e32 v195, v196
	v_dual_ashrrev_i32 v192, 31, v192 :: v_dual_ashrrev_i32 v193, 31, v193
	s_delay_alu instid0(VALU_DEP_3) | instskip(SKIP_1) | instid1(VALU_DEP_3)
	v_dual_ashrrev_i32 v194, 31, v194 :: v_dual_bitop2_b32 v157, s17, v157 bitop3:0x14
	v_cmp_gt_i32_e64 s22, 0, v196
	v_dual_ashrrev_i32 v195, 31, v195 :: v_dual_bitop2_b32 v192, s19, v192 bitop3:0x14
	s_delay_alu instid0(VALU_DEP_4) | instskip(NEXT) | instid1(VALU_DEP_4)
	v_xor_b32_e32 v193, s20, v193
	v_bitop3_b32 v65, v65, v191, v157 bitop3:0x80
	v_mad_u32_u24 v157, v190, 36, v25
	v_xor_b32_e32 v194, s21, v194
	v_xor_b32_e32 v195, s22, v195
	s_delay_alu instid0(VALU_DEP_4) | instskip(SKIP_3) | instid1(VALU_DEP_2)
	v_bitop3_b32 v65, v65, v193, v192 bitop3:0x80
	ds_load_b32 v191, v157 offset:544
	v_mul_u32_u24_e32 v157, 36, v190
	; wave barrier
	v_bitop3_b32 v65, v65, v195, v194 bitop3:0x80
	v_add_nc_u32_e32 v157, v25, v157
	s_delay_alu instid0(VALU_DEP_2) | instskip(SKIP_1) | instid1(VALU_DEP_2)
	v_mbcnt_lo_u32_b32 v192, v65, 0
	v_cmp_ne_u32_e64 s17, 0, v65
	v_cmp_eq_u32_e32 vcc_lo, 0, v192
	s_and_b32 s18, s17, vcc_lo
	s_delay_alu instid0(SALU_CYCLE_1)
	s_and_saveexec_b32 s17, s18
	s_cbranch_execz .LBB1450_794
; %bb.793:                              ;   in Loop: Header=BB1450_730 Depth=2
	s_wait_dscnt 0x0
	v_bcnt_u32_b32 v65, v65, v191
	ds_store_b32 v157, v65 offset:544
.LBB1450_794:                           ;   in Loop: Header=BB1450_730 Depth=2
	s_or_b32 exec_lo, exec_lo, s17
	v_cmp_lt_i32_e32 vcc_lo, -1, v152
	; wave barrier
	v_cndmask_b32_e64 v65, -1, 0x80000000, vcc_lo
	s_delay_alu instid0(VALU_DEP_1) | instskip(NEXT) | instid1(VALU_DEP_1)
	v_xor_b32_e32 v190, v65, v152
	v_cmp_ne_u32_e32 vcc_lo, 0x7fffffff, v190
	v_cndmask_b32_e32 v65, 0x80000000, v190, vcc_lo
	s_delay_alu instid0(VALU_DEP_1) | instskip(NEXT) | instid1(VALU_DEP_1)
	v_lshrrev_b32_e32 v65, s49, v65
	v_bitop3_b32 v152, v65, 1, s58 bitop3:0x80
	v_and_b32_e32 v193, s58, v65
	s_delay_alu instid0(VALU_DEP_2) | instskip(NEXT) | instid1(VALU_DEP_1)
	v_add_co_u32 v65, s17, v152, -1
	v_cndmask_b32_e64 v152, 0, 1, s17
	s_delay_alu instid0(VALU_DEP_3) | instskip(NEXT) | instid1(VALU_DEP_2)
	v_lshlrev_b32_e32 v194, 30, v193
	v_cmp_ne_u32_e32 vcc_lo, 0, v152
	s_delay_alu instid0(VALU_DEP_2) | instskip(SKIP_2) | instid1(VALU_DEP_3)
	v_not_b32_e32 v152, v194
	v_cmp_gt_i32_e64 s17, 0, v194
	v_bitop3_b32 v65, vcc_lo, exec_lo, v65 bitop3:0x48
	v_dual_ashrrev_i32 v152, 31, v152 :: v_dual_lshlrev_b32 v195, 29, v193
	v_dual_lshlrev_b32 v196, 28, v193 :: v_dual_lshlrev_b32 v197, 27, v193
	v_lshlrev_b32_e32 v198, 26, v193
	s_delay_alu instid0(VALU_DEP_3)
	v_not_b32_e32 v194, v195
	v_lshlrev_b32_e32 v199, 25, v193
	v_cmp_gt_i32_e64 s18, 0, v195
	v_cmp_gt_i32_e64 s19, 0, v196
	v_not_b32_e32 v195, v196
	v_not_b32_e32 v196, v197
	v_ashrrev_i32_e32 v194, 31, v194
	v_cmp_gt_i32_e64 s20, 0, v197
	v_cmp_gt_i32_e64 s21, 0, v198
	v_not_b32_e32 v197, v198
	v_not_b32_e32 v198, v199
	v_dual_ashrrev_i32 v195, 31, v195 :: v_dual_ashrrev_i32 v196, 31, v196
	s_delay_alu instid0(VALU_DEP_3) | instskip(SKIP_2) | instid1(VALU_DEP_4)
	v_dual_ashrrev_i32 v197, 31, v197 :: v_dual_bitop2_b32 v152, s17, v152 bitop3:0x14
	v_xor_b32_e32 v194, s18, v194
	v_cmp_gt_i32_e64 s22, 0, v199
	v_dual_ashrrev_i32 v198, 31, v198 :: v_dual_bitop2_b32 v195, s19, v195 bitop3:0x14
	v_xor_b32_e32 v196, s20, v196
	s_delay_alu instid0(VALU_DEP_4) | instskip(SKIP_3) | instid1(VALU_DEP_4)
	v_bitop3_b32 v65, v65, v194, v152 bitop3:0x80
	v_mad_u32_u24 v152, v193, 36, v25
	v_xor_b32_e32 v197, s21, v197
	v_xor_b32_e32 v198, s22, v198
	v_bitop3_b32 v65, v65, v196, v195 bitop3:0x80
	ds_load_b32 v194, v152 offset:544
	v_mul_u32_u24_e32 v152, 36, v193
	; wave barrier
	v_bitop3_b32 v65, v65, v198, v197 bitop3:0x80
	s_delay_alu instid0(VALU_DEP_2) | instskip(NEXT) | instid1(VALU_DEP_2)
	v_add_nc_u32_e32 v152, v25, v152
	v_mbcnt_lo_u32_b32 v195, v65, 0
	v_cmp_ne_u32_e64 s17, 0, v65
	s_delay_alu instid0(VALU_DEP_2) | instskip(SKIP_1) | instid1(SALU_CYCLE_1)
	v_cmp_eq_u32_e32 vcc_lo, 0, v195
	s_and_b32 s18, s17, vcc_lo
	s_and_saveexec_b32 s17, s18
	s_cbranch_execz .LBB1450_796
; %bb.795:                              ;   in Loop: Header=BB1450_730 Depth=2
	s_wait_dscnt 0x0
	v_bcnt_u32_b32 v65, v65, v194
	ds_store_b32 v152, v65 offset:544
.LBB1450_796:                           ;   in Loop: Header=BB1450_730 Depth=2
	s_or_b32 exec_lo, exec_lo, s17
	v_cmp_lt_i32_e32 vcc_lo, -1, v67
	; wave barrier
	v_cndmask_b32_e64 v65, -1, 0x80000000, vcc_lo
	s_delay_alu instid0(VALU_DEP_1) | instskip(NEXT) | instid1(VALU_DEP_1)
	v_xor_b32_e32 v193, v65, v67
	v_cmp_ne_u32_e32 vcc_lo, 0x7fffffff, v193
	v_cndmask_b32_e32 v65, 0x80000000, v193, vcc_lo
	s_delay_alu instid0(VALU_DEP_1) | instskip(NEXT) | instid1(VALU_DEP_1)
	v_lshrrev_b32_e32 v65, s49, v65
	v_bitop3_b32 v67, v65, 1, s58 bitop3:0x80
	v_and_b32_e32 v196, s58, v65
	s_delay_alu instid0(VALU_DEP_2) | instskip(NEXT) | instid1(VALU_DEP_1)
	v_add_co_u32 v65, s17, v67, -1
	v_cndmask_b32_e64 v67, 0, 1, s17
	s_delay_alu instid0(VALU_DEP_3) | instskip(NEXT) | instid1(VALU_DEP_2)
	v_lshlrev_b32_e32 v197, 30, v196
	v_cmp_ne_u32_e32 vcc_lo, 0, v67
	s_delay_alu instid0(VALU_DEP_2) | instskip(SKIP_1) | instid1(VALU_DEP_2)
	v_not_b32_e32 v67, v197
	v_bitop3_b32 v65, vcc_lo, exec_lo, v65 bitop3:0x48
	v_dual_ashrrev_i32 v67, 31, v67 :: v_dual_lshlrev_b32 v198, 29, v196
	v_dual_lshlrev_b32 v199, 28, v196 :: v_dual_lshlrev_b32 v200, 27, v196
	v_lshlrev_b32_e32 v201, 26, v196
	v_cmp_gt_i32_e64 s17, 0, v197
	s_delay_alu instid0(VALU_DEP_4)
	v_not_b32_e32 v197, v198
	v_lshlrev_b32_e32 v202, 25, v196
	v_cmp_gt_i32_e64 s18, 0, v198
	v_cmp_gt_i32_e64 s19, 0, v199
	v_not_b32_e32 v198, v199
	v_not_b32_e32 v199, v200
	v_ashrrev_i32_e32 v197, 31, v197
	v_cmp_gt_i32_e64 s20, 0, v200
	v_cmp_gt_i32_e64 s21, 0, v201
	v_not_b32_e32 v200, v201
	v_not_b32_e32 v201, v202
	v_dual_ashrrev_i32 v198, 31, v198 :: v_dual_ashrrev_i32 v199, 31, v199
	s_delay_alu instid0(VALU_DEP_3) | instskip(SKIP_2) | instid1(VALU_DEP_4)
	v_dual_ashrrev_i32 v200, 31, v200 :: v_dual_bitop2_b32 v67, s17, v67 bitop3:0x14
	v_xor_b32_e32 v197, s18, v197
	v_cmp_gt_i32_e64 s22, 0, v202
	v_dual_ashrrev_i32 v201, 31, v201 :: v_dual_bitop2_b32 v198, s19, v198 bitop3:0x14
	v_xor_b32_e32 v199, s20, v199
	s_delay_alu instid0(VALU_DEP_4) | instskip(SKIP_3) | instid1(VALU_DEP_4)
	v_bitop3_b32 v65, v65, v197, v67 bitop3:0x80
	v_mad_u32_u24 v67, v196, 36, v25
	v_xor_b32_e32 v200, s21, v200
	v_xor_b32_e32 v201, s22, v201
	v_bitop3_b32 v65, v65, v199, v198 bitop3:0x80
	ds_load_b32 v197, v67 offset:544
	v_mul_u32_u24_e32 v67, 36, v196
	; wave barrier
	v_bitop3_b32 v65, v65, v201, v200 bitop3:0x80
	s_delay_alu instid0(VALU_DEP_2) | instskip(NEXT) | instid1(VALU_DEP_2)
	v_add_nc_u32_e32 v199, v25, v67
	v_mbcnt_lo_u32_b32 v198, v65, 0
	v_cmp_ne_u32_e64 s17, 0, v65
	s_delay_alu instid0(VALU_DEP_2) | instskip(SKIP_1) | instid1(SALU_CYCLE_1)
	v_cmp_eq_u32_e32 vcc_lo, 0, v198
	s_and_b32 s18, s17, vcc_lo
	s_and_saveexec_b32 s17, s18
	s_cbranch_execz .LBB1450_798
; %bb.797:                              ;   in Loop: Header=BB1450_730 Depth=2
	s_wait_dscnt 0x0
	v_bcnt_u32_b32 v65, v65, v197
	ds_store_b32 v199, v65 offset:544
.LBB1450_798:                           ;   in Loop: Header=BB1450_730 Depth=2
	s_or_b32 exec_lo, exec_lo, s17
	v_cmp_lt_i32_e32 vcc_lo, -1, v66
	; wave barrier
	v_cndmask_b32_e64 v65, -1, 0x80000000, vcc_lo
	s_delay_alu instid0(VALU_DEP_1) | instskip(NEXT) | instid1(VALU_DEP_1)
	v_xor_b32_e32 v196, v65, v66
	v_cmp_ne_u32_e32 vcc_lo, 0x7fffffff, v196
	v_cndmask_b32_e32 v65, 0x80000000, v196, vcc_lo
	s_delay_alu instid0(VALU_DEP_1) | instskip(NEXT) | instid1(VALU_DEP_1)
	v_lshrrev_b32_e32 v65, s49, v65
	v_bitop3_b32 v66, v65, 1, s58 bitop3:0x80
	v_and_b32_e32 v67, s58, v65
	s_delay_alu instid0(VALU_DEP_2) | instskip(NEXT) | instid1(VALU_DEP_1)
	v_add_co_u32 v65, s17, v66, -1
	v_cndmask_b32_e64 v66, 0, 1, s17
	s_delay_alu instid0(VALU_DEP_3) | instskip(NEXT) | instid1(VALU_DEP_2)
	v_lshlrev_b32_e32 v200, 30, v67
	v_cmp_ne_u32_e32 vcc_lo, 0, v66
	s_delay_alu instid0(VALU_DEP_2) | instskip(SKIP_2) | instid1(VALU_DEP_3)
	v_not_b32_e32 v66, v200
	v_cmp_gt_i32_e64 s17, 0, v200
	v_bitop3_b32 v65, vcc_lo, exec_lo, v65 bitop3:0x48
	v_dual_ashrrev_i32 v66, 31, v66 :: v_dual_lshlrev_b32 v201, 29, v67
	v_dual_lshlrev_b32 v202, 28, v67 :: v_dual_lshlrev_b32 v203, 27, v67
	v_lshlrev_b32_e32 v204, 26, v67
	s_delay_alu instid0(VALU_DEP_3)
	v_not_b32_e32 v200, v201
	v_lshlrev_b32_e32 v205, 25, v67
	v_cmp_gt_i32_e64 s18, 0, v201
	v_cmp_gt_i32_e64 s19, 0, v202
	v_not_b32_e32 v201, v202
	v_not_b32_e32 v202, v203
	v_ashrrev_i32_e32 v200, 31, v200
	v_cmp_gt_i32_e64 s20, 0, v203
	v_cmp_gt_i32_e64 s21, 0, v204
	v_not_b32_e32 v203, v204
	v_not_b32_e32 v204, v205
	v_dual_ashrrev_i32 v201, 31, v201 :: v_dual_ashrrev_i32 v202, 31, v202
	s_delay_alu instid0(VALU_DEP_3) | instskip(SKIP_2) | instid1(VALU_DEP_4)
	v_dual_ashrrev_i32 v203, 31, v203 :: v_dual_bitop2_b32 v66, s17, v66 bitop3:0x14
	v_xor_b32_e32 v200, s18, v200
	v_cmp_gt_i32_e64 s22, 0, v205
	v_dual_ashrrev_i32 v204, 31, v204 :: v_dual_bitop2_b32 v201, s19, v201 bitop3:0x14
	v_xor_b32_e32 v202, s20, v202
	s_delay_alu instid0(VALU_DEP_4) | instskip(SKIP_3) | instid1(VALU_DEP_4)
	v_bitop3_b32 v65, v65, v200, v66 bitop3:0x80
	v_mad_u32_u24 v66, v67, 36, v25
	v_xor_b32_e32 v200, s21, v203
	v_xor_b32_e32 v203, s22, v204
	v_bitop3_b32 v65, v65, v202, v201 bitop3:0x80
	ds_load_b32 v201, v66 offset:544
	v_mul_u32_u24_e32 v66, 36, v67
	; wave barrier
	v_bitop3_b32 v65, v65, v203, v200 bitop3:0x80
	s_delay_alu instid0(VALU_DEP_2) | instskip(NEXT) | instid1(VALU_DEP_2)
	v_add_nc_u32_e32 v203, v25, v66
	v_mbcnt_lo_u32_b32 v202, v65, 0
	v_cmp_ne_u32_e64 s17, 0, v65
	s_delay_alu instid0(VALU_DEP_2) | instskip(SKIP_1) | instid1(SALU_CYCLE_1)
	v_cmp_eq_u32_e32 vcc_lo, 0, v202
	s_and_b32 s18, s17, vcc_lo
	s_and_saveexec_b32 s17, s18
	s_cbranch_execz .LBB1450_800
; %bb.799:                              ;   in Loop: Header=BB1450_730 Depth=2
	s_wait_dscnt 0x0
	v_bcnt_u32_b32 v65, v65, v201
	ds_store_b32 v203, v65 offset:544
.LBB1450_800:                           ;   in Loop: Header=BB1450_730 Depth=2
	s_or_b32 exec_lo, exec_lo, s17
	v_cmp_lt_i32_e32 vcc_lo, -1, v64
	; wave barrier
	v_cndmask_b32_e64 v65, -1, 0x80000000, vcc_lo
	s_delay_alu instid0(VALU_DEP_1) | instskip(NEXT) | instid1(VALU_DEP_1)
	v_xor_b32_e32 v200, v65, v64
	v_cmp_ne_u32_e32 vcc_lo, 0x7fffffff, v200
	v_cndmask_b32_e32 v64, 0x80000000, v200, vcc_lo
	s_delay_alu instid0(VALU_DEP_1) | instskip(NEXT) | instid1(VALU_DEP_1)
	v_lshrrev_b32_e32 v64, s49, v64
	v_bitop3_b32 v65, v64, 1, s58 bitop3:0x80
	v_and_b32_e32 v66, s58, v64
	s_delay_alu instid0(VALU_DEP_2) | instskip(NEXT) | instid1(VALU_DEP_1)
	v_add_co_u32 v64, s17, v65, -1
	v_cndmask_b32_e64 v65, 0, 1, s17
	s_delay_alu instid0(VALU_DEP_3) | instskip(NEXT) | instid1(VALU_DEP_2)
	v_lshlrev_b32_e32 v67, 30, v66
	v_cmp_ne_u32_e32 vcc_lo, 0, v65
	s_delay_alu instid0(VALU_DEP_2) | instskip(SKIP_2) | instid1(VALU_DEP_3)
	v_not_b32_e32 v65, v67
	v_cmp_gt_i32_e64 s17, 0, v67
	v_bitop3_b32 v64, vcc_lo, exec_lo, v64 bitop3:0x48
	v_dual_ashrrev_i32 v65, 31, v65 :: v_dual_lshlrev_b32 v204, 29, v66
	v_dual_lshlrev_b32 v205, 28, v66 :: v_dual_lshlrev_b32 v206, 27, v66
	v_lshlrev_b32_e32 v207, 26, v66
	s_delay_alu instid0(VALU_DEP_3)
	v_not_b32_e32 v67, v204
	v_lshlrev_b32_e32 v208, 25, v66
	v_cmp_gt_i32_e64 s18, 0, v204
	v_cmp_gt_i32_e64 s19, 0, v205
	v_not_b32_e32 v204, v205
	v_not_b32_e32 v205, v206
	v_ashrrev_i32_e32 v67, 31, v67
	v_cmp_gt_i32_e64 s20, 0, v206
	v_cmp_gt_i32_e64 s21, 0, v207
	v_not_b32_e32 v206, v207
	v_not_b32_e32 v207, v208
	v_dual_ashrrev_i32 v204, 31, v204 :: v_dual_ashrrev_i32 v205, 31, v205
	s_delay_alu instid0(VALU_DEP_3) | instskip(SKIP_2) | instid1(VALU_DEP_4)
	v_dual_ashrrev_i32 v206, 31, v206 :: v_dual_bitop2_b32 v65, s17, v65 bitop3:0x14
	v_xor_b32_e32 v67, s18, v67
	v_cmp_gt_i32_e64 s22, 0, v208
	v_dual_ashrrev_i32 v207, 31, v207 :: v_dual_bitop2_b32 v204, s19, v204 bitop3:0x14
	v_xor_b32_e32 v205, s20, v205
	s_delay_alu instid0(VALU_DEP_4) | instskip(SKIP_3) | instid1(VALU_DEP_4)
	v_bitop3_b32 v64, v64, v67, v65 bitop3:0x80
	v_mad_u32_u24 v65, v66, 36, v25
	v_xor_b32_e32 v67, s21, v206
	v_xor_b32_e32 v206, s22, v207
	v_bitop3_b32 v64, v64, v205, v204 bitop3:0x80
	ds_load_b32 v204, v65 offset:544
	v_mul_u32_u24_e32 v65, 36, v66
	; wave barrier
	v_bitop3_b32 v64, v64, v206, v67 bitop3:0x80
	s_delay_alu instid0(VALU_DEP_2) | instskip(NEXT) | instid1(VALU_DEP_2)
	v_add_nc_u32_e32 v206, v25, v65
	v_mbcnt_lo_u32_b32 v205, v64, 0
	v_cmp_ne_u32_e64 s17, 0, v64
	s_delay_alu instid0(VALU_DEP_2) | instskip(SKIP_1) | instid1(SALU_CYCLE_1)
	v_cmp_eq_u32_e32 vcc_lo, 0, v205
	s_and_b32 s18, s17, vcc_lo
	s_and_saveexec_b32 s17, s18
	s_cbranch_execz .LBB1450_802
; %bb.801:                              ;   in Loop: Header=BB1450_730 Depth=2
	s_wait_dscnt 0x0
	v_bcnt_u32_b32 v64, v64, v204
	ds_store_b32 v206, v64 offset:544
.LBB1450_802:                           ;   in Loop: Header=BB1450_730 Depth=2
	s_or_b32 exec_lo, exec_lo, s17
	; wave barrier
	s_wait_dscnt 0x0
	s_barrier_signal -1
	s_barrier_wait -1
	ds_load_2addr_b32 v[66:67], v90 offset0:136 offset1:137
	ds_load_2addr_b32 v[64:65], v90 offset0:138 offset1:139
	ds_load_b32 v207, v90 offset:560
	s_wait_dscnt 0x1
	v_add3_u32 v208, v67, v66, v64
	s_wait_dscnt 0x0
	s_delay_alu instid0(VALU_DEP_1) | instskip(NEXT) | instid1(VALU_DEP_1)
	v_add3_u32 v207, v208, v65, v207
	v_mov_b32_dpp v208, v207 row_shr:1 row_mask:0xf bank_mask:0xf
	s_delay_alu instid0(VALU_DEP_1) | instskip(NEXT) | instid1(VALU_DEP_1)
	v_cndmask_b32_e64 v208, v208, 0, s9
	v_add_nc_u32_e32 v207, v208, v207
	s_delay_alu instid0(VALU_DEP_1) | instskip(NEXT) | instid1(VALU_DEP_1)
	v_mov_b32_dpp v208, v207 row_shr:2 row_mask:0xf bank_mask:0xf
	v_cndmask_b32_e64 v208, 0, v208, s10
	s_delay_alu instid0(VALU_DEP_1) | instskip(NEXT) | instid1(VALU_DEP_1)
	v_add_nc_u32_e32 v207, v207, v208
	v_mov_b32_dpp v208, v207 row_shr:4 row_mask:0xf bank_mask:0xf
	s_delay_alu instid0(VALU_DEP_1) | instskip(NEXT) | instid1(VALU_DEP_1)
	v_cndmask_b32_e64 v208, 0, v208, s11
	v_add_nc_u32_e32 v207, v207, v208
	s_delay_alu instid0(VALU_DEP_1) | instskip(NEXT) | instid1(VALU_DEP_1)
	v_mov_b32_dpp v208, v207 row_shr:8 row_mask:0xf bank_mask:0xf
	v_cndmask_b32_e64 v208, 0, v208, s12
	s_delay_alu instid0(VALU_DEP_1) | instskip(SKIP_3) | instid1(VALU_DEP_1)
	v_add_nc_u32_e32 v207, v207, v208
	ds_swizzle_b32 v208, v207 offset:swizzle(BROADCAST,32,15)
	s_wait_dscnt 0x0
	v_cndmask_b32_e64 v208, v208, 0, s13
	v_add_nc_u32_e32 v207, v207, v208
	s_and_saveexec_b32 s17, s2
; %bb.803:                              ;   in Loop: Header=BB1450_730 Depth=2
	ds_store_b32 v83, v207 offset:512
; %bb.804:                              ;   in Loop: Header=BB1450_730 Depth=2
	s_or_b32 exec_lo, exec_lo, s17
	s_wait_dscnt 0x0
	s_barrier_signal -1
	s_barrier_wait -1
	s_and_saveexec_b32 s17, s3
	s_cbranch_execz .LBB1450_806
; %bb.805:                              ;   in Loop: Header=BB1450_730 Depth=2
	ds_load_b32 v208, v92 offset:512
	s_wait_dscnt 0x0
	v_mov_b32_dpp v209, v208 row_shr:1 row_mask:0xf bank_mask:0xf
	s_delay_alu instid0(VALU_DEP_1) | instskip(NEXT) | instid1(VALU_DEP_1)
	v_cndmask_b32_e64 v209, v209, 0, s14
	v_add_nc_u32_e32 v208, v209, v208
	s_delay_alu instid0(VALU_DEP_1) | instskip(NEXT) | instid1(VALU_DEP_1)
	v_mov_b32_dpp v209, v208 row_shr:2 row_mask:0xf bank_mask:0xf
	v_cndmask_b32_e64 v209, 0, v209, s15
	s_delay_alu instid0(VALU_DEP_1) | instskip(NEXT) | instid1(VALU_DEP_1)
	v_add_nc_u32_e32 v208, v208, v209
	v_mov_b32_dpp v209, v208 row_shr:4 row_mask:0xf bank_mask:0xf
	s_delay_alu instid0(VALU_DEP_1) | instskip(NEXT) | instid1(VALU_DEP_1)
	v_cndmask_b32_e64 v209, 0, v209, s16
	v_add_nc_u32_e32 v208, v208, v209
	ds_store_b32 v92, v208 offset:512
.LBB1450_806:                           ;   in Loop: Header=BB1450_730 Depth=2
	s_or_b32 exec_lo, exec_lo, s17
	v_mov_b32_e32 v208, 0
	s_wait_dscnt 0x0
	s_barrier_signal -1
	s_barrier_wait -1
	s_and_saveexec_b32 s17, s5
; %bb.807:                              ;   in Loop: Header=BB1450_730 Depth=2
	ds_load_b32 v208, v83 offset:508
; %bb.808:                              ;   in Loop: Header=BB1450_730 Depth=2
	s_or_b32 exec_lo, exec_lo, s17
	s_wait_dscnt 0x0
	v_add_nc_u32_e32 v207, v208, v207
	ds_bpermute_b32 v207, v119, v207
	s_wait_dscnt 0x0
	v_cndmask_b32_e64 v207, v207, v208, s8
	s_delay_alu instid0(VALU_DEP_1) | instskip(NEXT) | instid1(VALU_DEP_1)
	v_cndmask_b32_e64 v207, v207, 0, s6
	v_add_nc_u32_e32 v66, v207, v66
	s_delay_alu instid0(VALU_DEP_1) | instskip(NEXT) | instid1(VALU_DEP_1)
	v_add_nc_u32_e32 v67, v66, v67
	v_add_nc_u32_e32 v64, v67, v64
	s_delay_alu instid0(VALU_DEP_1)
	v_add_nc_u32_e32 v65, v64, v65
	ds_store_2addr_b32 v90, v207, v66 offset0:136 offset1:137
	ds_store_2addr_b32 v90, v67, v64 offset0:138 offset1:139
	ds_store_b32 v90, v65 offset:560
	s_wait_dscnt 0x0
	s_barrier_signal -1
	s_barrier_wait -1
	ds_load_b32 v66, v143 offset:544
	ds_load_b32 v67, v147 offset:544
	;; [unrolled: 1-line block ×17, first 2 shown]
	s_and_saveexec_b32 s17, s0
	s_cbranch_execz .LBB1450_812
; %bb.809:                              ;   in Loop: Header=BB1450_730 Depth=2
	ds_load_b32 v133, v94 offset:544
	v_mov_b32_e32 v138, 0x1100
	s_and_saveexec_b32 s18, s7
; %bb.810:                              ;   in Loop: Header=BB1450_730 Depth=2
	ds_load_b32 v138, v93 offset:544
; %bb.811:                              ;   in Loop: Header=BB1450_730 Depth=2
	s_or_b32 exec_lo, exec_lo, s18
	s_wait_dscnt 0x0
	v_sub_nc_u32_e32 v138, v138, v133
.LBB1450_812:                           ;   in Loop: Header=BB1450_730 Depth=2
	s_or_b32 exec_lo, exec_lo, s17
	s_wait_dscnt 0x0
	s_barrier_signal -1
	s_barrier_wait -1
	s_and_saveexec_b32 s17, s0
	s_cbranch_execz .LBB1450_814
; %bb.813:                              ;   in Loop: Header=BB1450_730 Depth=2
	ds_load_b32 v152, v4
	s_wait_dscnt 0x0
	v_sub_nc_u32_e32 v152, v152, v133
	ds_store_b32 v4, v152
.LBB1450_814:                           ;   in Loop: Header=BB1450_730 Depth=2
	s_or_b32 exec_lo, exec_lo, s17
	v_add3_u32 v156, v155, v154, v147
	v_add_nc_u32_e32 v162, v66, v141
	v_add3_u32 v161, v146, v145, v67
	v_add3_u32 v157, v150, v149, v143
	;; [unrolled: 1-line block ×4, first 2 shown]
	v_dual_lshlrev_b32 v65, 2, v156 :: v_dual_lshlrev_b32 v159, 2, v162
	v_lshlrev_b32_e32 v160, 2, v161
	v_add3_u32 v154, v165, v164, v207
	v_add3_u32 v152, v170, v169, v172
	;; [unrolled: 1-line block ×4, first 2 shown]
	v_lshlrev_b32_e32 v64, 2, v157
	v_add3_u32 v150, v178, v177, v179
	v_add3_u32 v149, v181, v180, v182
	ds_store_b32 v159, v140 offset:512
	ds_store_b32 v160, v142 offset:512
	v_lshlrev_b32_e32 v140, 2, v155
	v_add3_u32 v147, v185, v184, v186
	v_dual_lshlrev_b32 v142, 2, v154 :: v_dual_lshlrev_b32 v159, 2, v152
	v_add3_u32 v146, v189, v188, v208
	v_add3_u32 v67, v192, v191, v209
	ds_store_b32 v64, v144 offset:512
	ds_store_b32 v65, v148 offset:512
	;; [unrolled: 1-line block ×5, first 2 shown]
	v_dual_lshlrev_b32 v64, 2, v151 :: v_dual_lshlrev_b32 v65, 2, v150
	v_add3_u32 v66, v195, v194, v210
	v_dual_lshlrev_b32 v140, 2, v149 :: v_dual_lshlrev_b32 v142, 2, v147
	v_add3_u32 v141, v205, v204, v167
	v_lshlrev_b32_e32 v144, 2, v146
	ds_store_b32 v64, v168 offset:512
	ds_store_b32 v65, v173 offset:512
	;; [unrolled: 1-line block ×5, first 2 shown]
	v_lshlrev_b32_e32 v64, 2, v67
	v_cmp_lt_u32_e32 vcc_lo, v2, v139
	v_dual_lshlrev_b32 v65, 2, v66 :: v_dual_lshlrev_b32 v140, 2, v145
	v_dual_lshlrev_b32 v142, 2, v143 :: v_dual_lshlrev_b32 v144, 2, v141
	ds_store_b32 v64, v187 offset:512
	ds_store_b32 v65, v190 offset:512
	ds_store_b32 v140, v193 offset:512
	ds_store_b32 v142, v196 offset:512
	ds_store_b32 v144, v200 offset:512
	s_wait_dscnt 0x0
	s_barrier_signal -1
	s_barrier_wait -1
	s_and_saveexec_b32 s18, vcc_lo
	s_cbranch_execnz .LBB1450_887
; %bb.815:                              ;   in Loop: Header=BB1450_730 Depth=2
	s_or_b32 exec_lo, exec_lo, s18
	v_cmp_lt_u32_e64 s17, v3, v139
	s_and_saveexec_b32 s19, s17
	s_cbranch_execnz .LBB1450_888
.LBB1450_816:                           ;   in Loop: Header=BB1450_730 Depth=2
	s_or_b32 exec_lo, exec_lo, s19
	v_cmp_lt_u32_e64 s18, v68, v139
	s_and_saveexec_b32 s20, s18
	s_cbranch_execnz .LBB1450_889
.LBB1450_817:                           ;   in Loop: Header=BB1450_730 Depth=2
	s_or_b32 exec_lo, exec_lo, s20
	v_cmp_lt_u32_e64 s19, v69, v139
	s_and_saveexec_b32 s21, s19
	s_cbranch_execnz .LBB1450_890
.LBB1450_818:                           ;   in Loop: Header=BB1450_730 Depth=2
	s_or_b32 exec_lo, exec_lo, s21
	v_cmp_lt_u32_e64 s20, v70, v139
	s_and_saveexec_b32 s22, s20
	s_cbranch_execnz .LBB1450_891
.LBB1450_819:                           ;   in Loop: Header=BB1450_730 Depth=2
	s_or_b32 exec_lo, exec_lo, s22
	v_cmp_lt_u32_e64 s21, v71, v139
	s_and_saveexec_b32 s23, s21
	s_cbranch_execnz .LBB1450_892
.LBB1450_820:                           ;   in Loop: Header=BB1450_730 Depth=2
	s_or_b32 exec_lo, exec_lo, s23
	v_cmp_lt_u32_e64 s22, v72, v139
	s_and_saveexec_b32 s24, s22
	s_cbranch_execnz .LBB1450_893
.LBB1450_821:                           ;   in Loop: Header=BB1450_730 Depth=2
	s_or_b32 exec_lo, exec_lo, s24
	v_cmp_lt_u32_e64 s23, v73, v139
	s_and_saveexec_b32 s25, s23
	s_cbranch_execnz .LBB1450_894
.LBB1450_822:                           ;   in Loop: Header=BB1450_730 Depth=2
	s_or_b32 exec_lo, exec_lo, s25
	v_cmp_lt_u32_e64 s24, v74, v139
	s_and_saveexec_b32 s26, s24
	s_cbranch_execnz .LBB1450_895
.LBB1450_823:                           ;   in Loop: Header=BB1450_730 Depth=2
	s_or_b32 exec_lo, exec_lo, s26
	v_cmp_lt_u32_e64 s25, v75, v139
	s_and_saveexec_b32 s27, s25
	s_cbranch_execnz .LBB1450_896
.LBB1450_824:                           ;   in Loop: Header=BB1450_730 Depth=2
	s_or_b32 exec_lo, exec_lo, s27
	v_cmp_lt_u32_e64 s26, v76, v139
	s_and_saveexec_b32 s28, s26
	s_cbranch_execnz .LBB1450_897
.LBB1450_825:                           ;   in Loop: Header=BB1450_730 Depth=2
	s_or_b32 exec_lo, exec_lo, s28
	v_cmp_lt_u32_e64 s27, v77, v139
	s_and_saveexec_b32 s29, s27
	s_cbranch_execnz .LBB1450_898
.LBB1450_826:                           ;   in Loop: Header=BB1450_730 Depth=2
	s_or_b32 exec_lo, exec_lo, s29
	v_cmp_lt_u32_e64 s28, v78, v139
	s_and_saveexec_b32 s30, s28
	s_cbranch_execnz .LBB1450_899
.LBB1450_827:                           ;   in Loop: Header=BB1450_730 Depth=2
	s_or_b32 exec_lo, exec_lo, s30
	v_cmp_lt_u32_e64 s29, v79, v139
	s_and_saveexec_b32 s31, s29
	s_cbranch_execnz .LBB1450_900
.LBB1450_828:                           ;   in Loop: Header=BB1450_730 Depth=2
	s_or_b32 exec_lo, exec_lo, s31
	v_cmp_lt_u32_e64 s30, v80, v139
	s_and_saveexec_b32 s33, s30
	s_cbranch_execnz .LBB1450_901
.LBB1450_829:                           ;   in Loop: Header=BB1450_730 Depth=2
	s_or_b32 exec_lo, exec_lo, s33
	v_cmp_lt_u32_e64 s31, v81, v139
	s_and_saveexec_b32 s34, s31
	s_cbranch_execnz .LBB1450_902
.LBB1450_830:                           ;   in Loop: Header=BB1450_730 Depth=2
	s_or_b32 exec_lo, exec_lo, s34
	v_cmp_lt_u32_e64 s33, v82, v139
	s_and_saveexec_b32 s61, s33
	s_cbranch_execz .LBB1450_832
.LBB1450_831:                           ;   in Loop: Header=BB1450_730 Depth=2
	ds_load_b32 v64, v92 offset:16896
	s_wait_dscnt 0x0
	v_cmp_ne_u32_e64 s34, 0x7fffffff, v64
	s_delay_alu instid0(VALU_DEP_1) | instskip(SKIP_1) | instid1(VALU_DEP_1)
	v_cndmask_b32_e64 v65, 0x80000000, v64, s34
	v_cmp_lt_i32_e64 s34, -1, v64
	v_cndmask_b32_e64 v140, 0x80000000, -1, s34
	s_delay_alu instid0(VALU_DEP_1) | instskip(NEXT) | instid1(VALU_DEP_1)
	v_dual_lshrrev_b32 v65, s49, v65 :: v_dual_bitop2_b32 v64, v140, v64 bitop3:0x14
	v_and_b32_e32 v65, s58, v65
	s_delay_alu instid0(VALU_DEP_1)
	v_lshlrev_b32_e32 v65, 2, v65
	ds_load_b32 v65, v65
	s_wait_dscnt 0x0
	v_add_nc_u32_e32 v65, v65, v82
	global_store_b32 v65, v64, s[38:39] scale_offset
.LBB1450_832:                           ;   in Loop: Header=BB1450_730 Depth=2
	s_wait_xcnt 0x0
	s_or_b32 exec_lo, exec_lo, s61
	v_lshl_add_u64 v[64:65], s[42:43], 3, v[26:27]
	v_cmp_lt_u32_e64 s34, v101, v139
	s_and_saveexec_b32 s42, s34
	s_delay_alu instid0(SALU_CYCLE_1)
	s_xor_b32 s34, exec_lo, s42
	s_cbranch_execnz .LBB1450_903
; %bb.833:                              ;   in Loop: Header=BB1450_730 Depth=2
	s_or_b32 exec_lo, exec_lo, s34
	s_delay_alu instid0(SALU_CYCLE_1)
	s_mov_b32 s42, exec_lo
	v_cmpx_lt_u32_e64 v104, v139
	s_cbranch_execnz .LBB1450_904
.LBB1450_834:                           ;   in Loop: Header=BB1450_730 Depth=2
	s_or_b32 exec_lo, exec_lo, s42
	s_delay_alu instid0(SALU_CYCLE_1)
	s_mov_b32 s42, exec_lo
	v_cmpx_lt_u32_e64 v105, v139
	s_cbranch_execnz .LBB1450_905
.LBB1450_835:                           ;   in Loop: Header=BB1450_730 Depth=2
	s_or_b32 exec_lo, exec_lo, s42
	s_delay_alu instid0(SALU_CYCLE_1)
	s_mov_b32 s42, exec_lo
	v_cmpx_lt_u32_e64 v106, v139
	s_cbranch_execnz .LBB1450_906
.LBB1450_836:                           ;   in Loop: Header=BB1450_730 Depth=2
	s_or_b32 exec_lo, exec_lo, s42
	s_delay_alu instid0(SALU_CYCLE_1)
	s_mov_b32 s42, exec_lo
	v_cmpx_lt_u32_e64 v107, v139
	s_cbranch_execnz .LBB1450_907
.LBB1450_837:                           ;   in Loop: Header=BB1450_730 Depth=2
	s_or_b32 exec_lo, exec_lo, s42
	s_delay_alu instid0(SALU_CYCLE_1)
	s_mov_b32 s42, exec_lo
	v_cmpx_lt_u32_e64 v108, v139
	s_cbranch_execnz .LBB1450_908
.LBB1450_838:                           ;   in Loop: Header=BB1450_730 Depth=2
	s_or_b32 exec_lo, exec_lo, s42
	s_delay_alu instid0(SALU_CYCLE_1)
	s_mov_b32 s42, exec_lo
	v_cmpx_lt_u32_e64 v109, v139
	s_cbranch_execnz .LBB1450_909
.LBB1450_839:                           ;   in Loop: Header=BB1450_730 Depth=2
	s_or_b32 exec_lo, exec_lo, s42
	s_delay_alu instid0(SALU_CYCLE_1)
	s_mov_b32 s42, exec_lo
	v_cmpx_lt_u32_e64 v110, v139
	s_cbranch_execnz .LBB1450_910
.LBB1450_840:                           ;   in Loop: Header=BB1450_730 Depth=2
	s_or_b32 exec_lo, exec_lo, s42
	s_delay_alu instid0(SALU_CYCLE_1)
	s_mov_b32 s42, exec_lo
	v_cmpx_lt_u32_e64 v111, v139
	s_cbranch_execnz .LBB1450_911
.LBB1450_841:                           ;   in Loop: Header=BB1450_730 Depth=2
	s_or_b32 exec_lo, exec_lo, s42
	s_delay_alu instid0(SALU_CYCLE_1)
	s_mov_b32 s42, exec_lo
	v_cmpx_lt_u32_e64 v112, v139
	s_cbranch_execnz .LBB1450_912
.LBB1450_842:                           ;   in Loop: Header=BB1450_730 Depth=2
	s_or_b32 exec_lo, exec_lo, s42
	s_delay_alu instid0(SALU_CYCLE_1)
	s_mov_b32 s42, exec_lo
	v_cmpx_lt_u32_e64 v113, v139
	s_cbranch_execnz .LBB1450_913
.LBB1450_843:                           ;   in Loop: Header=BB1450_730 Depth=2
	s_or_b32 exec_lo, exec_lo, s42
	s_delay_alu instid0(SALU_CYCLE_1)
	s_mov_b32 s42, exec_lo
	v_cmpx_lt_u32_e64 v114, v139
	s_cbranch_execnz .LBB1450_914
.LBB1450_844:                           ;   in Loop: Header=BB1450_730 Depth=2
	s_or_b32 exec_lo, exec_lo, s42
	s_delay_alu instid0(SALU_CYCLE_1)
	s_mov_b32 s42, exec_lo
	v_cmpx_lt_u32_e64 v115, v139
	s_cbranch_execnz .LBB1450_915
.LBB1450_845:                           ;   in Loop: Header=BB1450_730 Depth=2
	s_or_b32 exec_lo, exec_lo, s42
	s_delay_alu instid0(SALU_CYCLE_1)
	s_mov_b32 s42, exec_lo
	v_cmpx_lt_u32_e64 v116, v139
	s_cbranch_execnz .LBB1450_916
.LBB1450_846:                           ;   in Loop: Header=BB1450_730 Depth=2
	s_or_b32 exec_lo, exec_lo, s42
	s_delay_alu instid0(SALU_CYCLE_1)
	s_mov_b32 s42, exec_lo
	v_cmpx_lt_u32_e64 v117, v139
	s_cbranch_execnz .LBB1450_917
.LBB1450_847:                           ;   in Loop: Header=BB1450_730 Depth=2
	s_or_b32 exec_lo, exec_lo, s42
	s_delay_alu instid0(SALU_CYCLE_1)
	s_mov_b32 s42, exec_lo
	v_cmpx_lt_u32_e64 v118, v139
	s_cbranch_execnz .LBB1450_918
.LBB1450_848:                           ;   in Loop: Header=BB1450_730 Depth=2
	s_or_b32 exec_lo, exec_lo, s42
	s_delay_alu instid0(SALU_CYCLE_1)
	s_mov_b32 s42, exec_lo
	v_cmpx_lt_u32_e64 v5, v139
	s_cbranch_execnz .LBB1450_919
.LBB1450_849:                           ;   in Loop: Header=BB1450_730 Depth=2
	s_or_b32 exec_lo, exec_lo, s42
	s_and_saveexec_b32 s42, vcc_lo
	s_cbranch_execnz .LBB1450_920
.LBB1450_850:                           ;   in Loop: Header=BB1450_730 Depth=2
	s_or_b32 exec_lo, exec_lo, s42
	s_and_saveexec_b32 s42, s17
	s_cbranch_execnz .LBB1450_921
.LBB1450_851:                           ;   in Loop: Header=BB1450_730 Depth=2
	s_or_b32 exec_lo, exec_lo, s42
	s_and_saveexec_b32 s42, s18
	s_cbranch_execnz .LBB1450_922
.LBB1450_852:                           ;   in Loop: Header=BB1450_730 Depth=2
	s_or_b32 exec_lo, exec_lo, s42
	s_and_saveexec_b32 s42, s19
	s_cbranch_execnz .LBB1450_923
.LBB1450_853:                           ;   in Loop: Header=BB1450_730 Depth=2
	s_or_b32 exec_lo, exec_lo, s42
	s_and_saveexec_b32 s42, s20
	s_cbranch_execnz .LBB1450_924
.LBB1450_854:                           ;   in Loop: Header=BB1450_730 Depth=2
	s_or_b32 exec_lo, exec_lo, s42
	s_and_saveexec_b32 s42, s21
	s_cbranch_execnz .LBB1450_925
.LBB1450_855:                           ;   in Loop: Header=BB1450_730 Depth=2
	s_or_b32 exec_lo, exec_lo, s42
	s_and_saveexec_b32 s42, s22
	s_cbranch_execnz .LBB1450_926
.LBB1450_856:                           ;   in Loop: Header=BB1450_730 Depth=2
	s_or_b32 exec_lo, exec_lo, s42
	s_and_saveexec_b32 s42, s23
	s_cbranch_execnz .LBB1450_927
.LBB1450_857:                           ;   in Loop: Header=BB1450_730 Depth=2
	s_or_b32 exec_lo, exec_lo, s42
	s_and_saveexec_b32 s42, s24
	s_cbranch_execnz .LBB1450_928
.LBB1450_858:                           ;   in Loop: Header=BB1450_730 Depth=2
	s_or_b32 exec_lo, exec_lo, s42
	s_and_saveexec_b32 s42, s25
	s_cbranch_execnz .LBB1450_929
.LBB1450_859:                           ;   in Loop: Header=BB1450_730 Depth=2
	s_or_b32 exec_lo, exec_lo, s42
	s_and_saveexec_b32 s42, s26
	s_cbranch_execnz .LBB1450_930
.LBB1450_860:                           ;   in Loop: Header=BB1450_730 Depth=2
	s_or_b32 exec_lo, exec_lo, s42
	s_and_saveexec_b32 s42, s27
	s_cbranch_execnz .LBB1450_931
.LBB1450_861:                           ;   in Loop: Header=BB1450_730 Depth=2
	s_or_b32 exec_lo, exec_lo, s42
	s_and_saveexec_b32 s42, s28
	s_cbranch_execnz .LBB1450_932
.LBB1450_862:                           ;   in Loop: Header=BB1450_730 Depth=2
	s_or_b32 exec_lo, exec_lo, s42
	s_and_saveexec_b32 s42, s29
	s_cbranch_execnz .LBB1450_933
.LBB1450_863:                           ;   in Loop: Header=BB1450_730 Depth=2
	s_or_b32 exec_lo, exec_lo, s42
	s_and_saveexec_b32 s42, s30
	s_cbranch_execnz .LBB1450_934
.LBB1450_864:                           ;   in Loop: Header=BB1450_730 Depth=2
	s_or_b32 exec_lo, exec_lo, s42
	s_and_saveexec_b32 s42, s31
	s_cbranch_execnz .LBB1450_935
.LBB1450_865:                           ;   in Loop: Header=BB1450_730 Depth=2
	s_or_b32 exec_lo, exec_lo, s42
	s_and_saveexec_b32 s42, s33
	s_cbranch_execz .LBB1450_867
.LBB1450_866:                           ;   in Loop: Header=BB1450_730 Depth=2
	ds_load_b32 v64, v92 offset:16896
	s_wait_dscnt 0x0
	v_cmp_ne_u32_e64 s34, 0x7fffffff, v64
	s_delay_alu instid0(VALU_DEP_1) | instskip(NEXT) | instid1(VALU_DEP_1)
	v_cndmask_b32_e64 v64, 0x80000000, v64, s34
	v_lshrrev_b32_e32 v64, s49, v64
	s_delay_alu instid0(VALU_DEP_1)
	v_and_b32_e32 v120, s58, v64
.LBB1450_867:                           ;   in Loop: Header=BB1450_730 Depth=2
	s_or_b32 exec_lo, exec_lo, s42
	v_dual_lshlrev_b32 v64, 3, v162 :: v_dual_lshlrev_b32 v65, 3, v161
	s_wait_loadcnt 0x0
	s_wait_storecnt 0x0
	s_barrier_signal -1
	s_barrier_wait -1
	ds_store_b64 v64, v[62:63] offset:512
	ds_store_b64 v65, v[60:61] offset:512
	v_dual_lshlrev_b32 v64, 3, v157 :: v_dual_lshlrev_b32 v65, 3, v156
	v_dual_lshlrev_b32 v139, 3, v155 :: v_dual_lshlrev_b32 v140, 3, v154
	v_lshlrev_b32_e32 v142, 3, v152
	ds_store_b64 v64, v[58:59] offset:512
	ds_store_b64 v65, v[56:57] offset:512
	ds_store_b64 v139, v[54:55] offset:512
	ds_store_b64 v140, v[52:53] offset:512
	ds_store_b64 v142, v[50:51] offset:512
	v_dual_lshlrev_b32 v64, 3, v151 :: v_dual_lshlrev_b32 v65, 3, v150
	v_dual_lshlrev_b32 v139, 3, v149 :: v_dual_lshlrev_b32 v140, 3, v147
	v_lshlrev_b32_e32 v142, 3, v146
	ds_store_b64 v64, v[48:49] offset:512
	ds_store_b64 v65, v[46:47] offset:512
	ds_store_b64 v139, v[44:45] offset:512
	;; [unrolled: 8-line block ×3, first 2 shown]
	ds_store_b64 v67, v[32:33] offset:512
	ds_store_b64 v139, v[30:31] offset:512
	s_wait_dscnt 0x0
	s_barrier_signal -1
	s_barrier_wait -1
	s_and_saveexec_b32 s34, vcc_lo
	s_cbranch_execnz .LBB1450_936
; %bb.868:                              ;   in Loop: Header=BB1450_730 Depth=2
	s_or_b32 exec_lo, exec_lo, s34
	s_and_saveexec_b32 s34, s17
	s_cbranch_execnz .LBB1450_937
.LBB1450_869:                           ;   in Loop: Header=BB1450_730 Depth=2
	s_or_b32 exec_lo, exec_lo, s34
	s_and_saveexec_b32 s17, s18
	s_cbranch_execnz .LBB1450_938
.LBB1450_870:                           ;   in Loop: Header=BB1450_730 Depth=2
	s_or_b32 exec_lo, exec_lo, s17
	s_and_saveexec_b32 s17, s19
	s_cbranch_execnz .LBB1450_939
.LBB1450_871:                           ;   in Loop: Header=BB1450_730 Depth=2
	s_or_b32 exec_lo, exec_lo, s17
	s_and_saveexec_b32 s17, s20
	s_cbranch_execnz .LBB1450_940
.LBB1450_872:                           ;   in Loop: Header=BB1450_730 Depth=2
	s_or_b32 exec_lo, exec_lo, s17
	s_and_saveexec_b32 s17, s21
	s_cbranch_execnz .LBB1450_941
.LBB1450_873:                           ;   in Loop: Header=BB1450_730 Depth=2
	s_or_b32 exec_lo, exec_lo, s17
	s_and_saveexec_b32 s17, s22
	s_cbranch_execnz .LBB1450_942
.LBB1450_874:                           ;   in Loop: Header=BB1450_730 Depth=2
	s_or_b32 exec_lo, exec_lo, s17
	s_and_saveexec_b32 s17, s23
	s_cbranch_execnz .LBB1450_943
.LBB1450_875:                           ;   in Loop: Header=BB1450_730 Depth=2
	s_or_b32 exec_lo, exec_lo, s17
	s_and_saveexec_b32 s17, s24
	s_cbranch_execnz .LBB1450_944
.LBB1450_876:                           ;   in Loop: Header=BB1450_730 Depth=2
	s_or_b32 exec_lo, exec_lo, s17
	s_and_saveexec_b32 s17, s25
	s_cbranch_execnz .LBB1450_945
.LBB1450_877:                           ;   in Loop: Header=BB1450_730 Depth=2
	s_or_b32 exec_lo, exec_lo, s17
	s_and_saveexec_b32 s17, s26
	s_cbranch_execnz .LBB1450_946
.LBB1450_878:                           ;   in Loop: Header=BB1450_730 Depth=2
	s_or_b32 exec_lo, exec_lo, s17
	s_and_saveexec_b32 s17, s27
	s_cbranch_execnz .LBB1450_947
.LBB1450_879:                           ;   in Loop: Header=BB1450_730 Depth=2
	s_or_b32 exec_lo, exec_lo, s17
	s_and_saveexec_b32 s17, s28
	s_cbranch_execnz .LBB1450_948
.LBB1450_880:                           ;   in Loop: Header=BB1450_730 Depth=2
	s_or_b32 exec_lo, exec_lo, s17
	s_and_saveexec_b32 s17, s29
	s_cbranch_execnz .LBB1450_949
.LBB1450_881:                           ;   in Loop: Header=BB1450_730 Depth=2
	s_or_b32 exec_lo, exec_lo, s17
	s_and_saveexec_b32 s17, s30
	s_cbranch_execnz .LBB1450_950
.LBB1450_882:                           ;   in Loop: Header=BB1450_730 Depth=2
	s_or_b32 exec_lo, exec_lo, s17
	s_and_saveexec_b32 s17, s31
	s_cbranch_execnz .LBB1450_951
.LBB1450_883:                           ;   in Loop: Header=BB1450_730 Depth=2
	s_or_b32 exec_lo, exec_lo, s17
	s_and_saveexec_b32 s17, s33
	s_cbranch_execz .LBB1450_885
.LBB1450_884:                           ;   in Loop: Header=BB1450_730 Depth=2
	v_lshlrev_b32_e32 v64, 2, v120
	v_add_nc_u32_e32 v65, v92, v4
	ds_load_b32 v66, v64
	ds_load_b64 v[64:65], v65 offset:33280
	s_wait_dscnt 0x1
	v_add_nc_u32_e32 v66, v66, v82
	s_wait_dscnt 0x0
	global_store_b64 v66, v[64:65], s[44:45] scale_offset
.LBB1450_885:                           ;   in Loop: Header=BB1450_730 Depth=2
	s_wait_xcnt 0x0
	s_or_b32 exec_lo, exec_lo, s17
	s_wait_storecnt 0x0
	s_barrier_signal -1
	s_barrier_wait -1
	s_and_saveexec_b32 s17, s0
	s_cbranch_execz .LBB1450_729
; %bb.886:                              ;   in Loop: Header=BB1450_730 Depth=2
	ds_load_b32 v64, v4
	s_wait_dscnt 0x0
	v_add3_u32 v64, v133, v138, v64
	ds_store_b32 v4, v64
	s_branch .LBB1450_729
.LBB1450_887:                           ;   in Loop: Header=BB1450_730 Depth=2
	ds_load_b32 v64, v92 offset:512
	s_wait_dscnt 0x0
	v_cmp_ne_u32_e64 s17, 0x7fffffff, v64
	s_delay_alu instid0(VALU_DEP_1) | instskip(SKIP_1) | instid1(VALU_DEP_1)
	v_cndmask_b32_e64 v65, 0x80000000, v64, s17
	v_cmp_lt_i32_e64 s17, -1, v64
	v_cndmask_b32_e64 v140, 0x80000000, -1, s17
	s_delay_alu instid0(VALU_DEP_1) | instskip(NEXT) | instid1(VALU_DEP_1)
	v_dual_lshrrev_b32 v65, s49, v65 :: v_dual_bitop2_b32 v64, v140, v64 bitop3:0x14
	v_and_b32_e32 v65, s58, v65
	s_delay_alu instid0(VALU_DEP_1)
	v_lshlrev_b32_e32 v65, 2, v65
	ds_load_b32 v65, v65
	s_wait_dscnt 0x0
	v_add_nc_u32_e32 v65, v65, v2
	global_store_b32 v65, v64, s[38:39] scale_offset
	s_wait_xcnt 0x0
	s_or_b32 exec_lo, exec_lo, s18
	v_cmp_lt_u32_e64 s17, v3, v139
	s_and_saveexec_b32 s19, s17
	s_cbranch_execz .LBB1450_816
.LBB1450_888:                           ;   in Loop: Header=BB1450_730 Depth=2
	ds_load_b32 v64, v92 offset:1536
	s_wait_dscnt 0x0
	v_cmp_ne_u32_e64 s18, 0x7fffffff, v64
	s_delay_alu instid0(VALU_DEP_1) | instskip(SKIP_1) | instid1(VALU_DEP_1)
	v_cndmask_b32_e64 v65, 0x80000000, v64, s18
	v_cmp_lt_i32_e64 s18, -1, v64
	v_cndmask_b32_e64 v140, 0x80000000, -1, s18
	s_delay_alu instid0(VALU_DEP_1) | instskip(NEXT) | instid1(VALU_DEP_1)
	v_dual_lshrrev_b32 v65, s49, v65 :: v_dual_bitop2_b32 v64, v140, v64 bitop3:0x14
	v_and_b32_e32 v65, s58, v65
	s_delay_alu instid0(VALU_DEP_1)
	v_lshlrev_b32_e32 v65, 2, v65
	ds_load_b32 v65, v65
	s_wait_dscnt 0x0
	v_add_nc_u32_e32 v65, v65, v3
	global_store_b32 v65, v64, s[38:39] scale_offset
	s_wait_xcnt 0x0
	s_or_b32 exec_lo, exec_lo, s19
	v_cmp_lt_u32_e64 s18, v68, v139
	s_and_saveexec_b32 s20, s18
	s_cbranch_execz .LBB1450_817
.LBB1450_889:                           ;   in Loop: Header=BB1450_730 Depth=2
	ds_load_b32 v64, v92 offset:2560
	s_wait_dscnt 0x0
	v_cmp_ne_u32_e64 s19, 0x7fffffff, v64
	s_delay_alu instid0(VALU_DEP_1) | instskip(SKIP_1) | instid1(VALU_DEP_1)
	v_cndmask_b32_e64 v65, 0x80000000, v64, s19
	v_cmp_lt_i32_e64 s19, -1, v64
	v_cndmask_b32_e64 v140, 0x80000000, -1, s19
	s_delay_alu instid0(VALU_DEP_1) | instskip(NEXT) | instid1(VALU_DEP_1)
	v_dual_lshrrev_b32 v65, s49, v65 :: v_dual_bitop2_b32 v64, v140, v64 bitop3:0x14
	v_and_b32_e32 v65, s58, v65
	s_delay_alu instid0(VALU_DEP_1)
	v_lshlrev_b32_e32 v65, 2, v65
	ds_load_b32 v65, v65
	s_wait_dscnt 0x0
	v_add_nc_u32_e32 v65, v65, v68
	global_store_b32 v65, v64, s[38:39] scale_offset
	s_wait_xcnt 0x0
	s_or_b32 exec_lo, exec_lo, s20
	v_cmp_lt_u32_e64 s19, v69, v139
	s_and_saveexec_b32 s21, s19
	s_cbranch_execz .LBB1450_818
.LBB1450_890:                           ;   in Loop: Header=BB1450_730 Depth=2
	ds_load_b32 v64, v92 offset:3584
	s_wait_dscnt 0x0
	v_cmp_ne_u32_e64 s20, 0x7fffffff, v64
	s_delay_alu instid0(VALU_DEP_1) | instskip(SKIP_1) | instid1(VALU_DEP_1)
	v_cndmask_b32_e64 v65, 0x80000000, v64, s20
	v_cmp_lt_i32_e64 s20, -1, v64
	v_cndmask_b32_e64 v140, 0x80000000, -1, s20
	s_delay_alu instid0(VALU_DEP_1) | instskip(NEXT) | instid1(VALU_DEP_1)
	v_dual_lshrrev_b32 v65, s49, v65 :: v_dual_bitop2_b32 v64, v140, v64 bitop3:0x14
	v_and_b32_e32 v65, s58, v65
	s_delay_alu instid0(VALU_DEP_1)
	v_lshlrev_b32_e32 v65, 2, v65
	ds_load_b32 v65, v65
	s_wait_dscnt 0x0
	v_add_nc_u32_e32 v65, v65, v69
	global_store_b32 v65, v64, s[38:39] scale_offset
	s_wait_xcnt 0x0
	s_or_b32 exec_lo, exec_lo, s21
	v_cmp_lt_u32_e64 s20, v70, v139
	s_and_saveexec_b32 s22, s20
	s_cbranch_execz .LBB1450_819
.LBB1450_891:                           ;   in Loop: Header=BB1450_730 Depth=2
	ds_load_b32 v64, v92 offset:4608
	s_wait_dscnt 0x0
	v_cmp_ne_u32_e64 s21, 0x7fffffff, v64
	s_delay_alu instid0(VALU_DEP_1) | instskip(SKIP_1) | instid1(VALU_DEP_1)
	v_cndmask_b32_e64 v65, 0x80000000, v64, s21
	v_cmp_lt_i32_e64 s21, -1, v64
	v_cndmask_b32_e64 v140, 0x80000000, -1, s21
	s_delay_alu instid0(VALU_DEP_1) | instskip(NEXT) | instid1(VALU_DEP_1)
	v_dual_lshrrev_b32 v65, s49, v65 :: v_dual_bitop2_b32 v64, v140, v64 bitop3:0x14
	v_and_b32_e32 v65, s58, v65
	s_delay_alu instid0(VALU_DEP_1)
	v_lshlrev_b32_e32 v65, 2, v65
	ds_load_b32 v65, v65
	s_wait_dscnt 0x0
	v_add_nc_u32_e32 v65, v65, v70
	global_store_b32 v65, v64, s[38:39] scale_offset
	s_wait_xcnt 0x0
	s_or_b32 exec_lo, exec_lo, s22
	v_cmp_lt_u32_e64 s21, v71, v139
	s_and_saveexec_b32 s23, s21
	s_cbranch_execz .LBB1450_820
.LBB1450_892:                           ;   in Loop: Header=BB1450_730 Depth=2
	ds_load_b32 v64, v92 offset:5632
	s_wait_dscnt 0x0
	v_cmp_ne_u32_e64 s22, 0x7fffffff, v64
	s_delay_alu instid0(VALU_DEP_1) | instskip(SKIP_1) | instid1(VALU_DEP_1)
	v_cndmask_b32_e64 v65, 0x80000000, v64, s22
	v_cmp_lt_i32_e64 s22, -1, v64
	v_cndmask_b32_e64 v140, 0x80000000, -1, s22
	s_delay_alu instid0(VALU_DEP_1) | instskip(NEXT) | instid1(VALU_DEP_1)
	v_dual_lshrrev_b32 v65, s49, v65 :: v_dual_bitop2_b32 v64, v140, v64 bitop3:0x14
	v_and_b32_e32 v65, s58, v65
	s_delay_alu instid0(VALU_DEP_1)
	v_lshlrev_b32_e32 v65, 2, v65
	ds_load_b32 v65, v65
	s_wait_dscnt 0x0
	v_add_nc_u32_e32 v65, v65, v71
	global_store_b32 v65, v64, s[38:39] scale_offset
	s_wait_xcnt 0x0
	s_or_b32 exec_lo, exec_lo, s23
	v_cmp_lt_u32_e64 s22, v72, v139
	s_and_saveexec_b32 s24, s22
	s_cbranch_execz .LBB1450_821
.LBB1450_893:                           ;   in Loop: Header=BB1450_730 Depth=2
	ds_load_b32 v64, v92 offset:6656
	s_wait_dscnt 0x0
	v_cmp_ne_u32_e64 s23, 0x7fffffff, v64
	s_delay_alu instid0(VALU_DEP_1) | instskip(SKIP_1) | instid1(VALU_DEP_1)
	v_cndmask_b32_e64 v65, 0x80000000, v64, s23
	v_cmp_lt_i32_e64 s23, -1, v64
	v_cndmask_b32_e64 v140, 0x80000000, -1, s23
	s_delay_alu instid0(VALU_DEP_1) | instskip(NEXT) | instid1(VALU_DEP_1)
	v_dual_lshrrev_b32 v65, s49, v65 :: v_dual_bitop2_b32 v64, v140, v64 bitop3:0x14
	v_and_b32_e32 v65, s58, v65
	s_delay_alu instid0(VALU_DEP_1)
	v_lshlrev_b32_e32 v65, 2, v65
	ds_load_b32 v65, v65
	s_wait_dscnt 0x0
	v_add_nc_u32_e32 v65, v65, v72
	global_store_b32 v65, v64, s[38:39] scale_offset
	s_wait_xcnt 0x0
	s_or_b32 exec_lo, exec_lo, s24
	v_cmp_lt_u32_e64 s23, v73, v139
	s_and_saveexec_b32 s25, s23
	s_cbranch_execz .LBB1450_822
.LBB1450_894:                           ;   in Loop: Header=BB1450_730 Depth=2
	ds_load_b32 v64, v92 offset:7680
	s_wait_dscnt 0x0
	v_cmp_ne_u32_e64 s24, 0x7fffffff, v64
	s_delay_alu instid0(VALU_DEP_1) | instskip(SKIP_1) | instid1(VALU_DEP_1)
	v_cndmask_b32_e64 v65, 0x80000000, v64, s24
	v_cmp_lt_i32_e64 s24, -1, v64
	v_cndmask_b32_e64 v140, 0x80000000, -1, s24
	s_delay_alu instid0(VALU_DEP_1) | instskip(NEXT) | instid1(VALU_DEP_1)
	v_dual_lshrrev_b32 v65, s49, v65 :: v_dual_bitop2_b32 v64, v140, v64 bitop3:0x14
	v_and_b32_e32 v65, s58, v65
	s_delay_alu instid0(VALU_DEP_1)
	v_lshlrev_b32_e32 v65, 2, v65
	ds_load_b32 v65, v65
	s_wait_dscnt 0x0
	v_add_nc_u32_e32 v65, v65, v73
	global_store_b32 v65, v64, s[38:39] scale_offset
	s_wait_xcnt 0x0
	s_or_b32 exec_lo, exec_lo, s25
	v_cmp_lt_u32_e64 s24, v74, v139
	s_and_saveexec_b32 s26, s24
	s_cbranch_execz .LBB1450_823
.LBB1450_895:                           ;   in Loop: Header=BB1450_730 Depth=2
	ds_load_b32 v64, v92 offset:8704
	s_wait_dscnt 0x0
	v_cmp_ne_u32_e64 s25, 0x7fffffff, v64
	s_delay_alu instid0(VALU_DEP_1) | instskip(SKIP_1) | instid1(VALU_DEP_1)
	v_cndmask_b32_e64 v65, 0x80000000, v64, s25
	v_cmp_lt_i32_e64 s25, -1, v64
	v_cndmask_b32_e64 v140, 0x80000000, -1, s25
	s_delay_alu instid0(VALU_DEP_1) | instskip(NEXT) | instid1(VALU_DEP_1)
	v_dual_lshrrev_b32 v65, s49, v65 :: v_dual_bitop2_b32 v64, v140, v64 bitop3:0x14
	v_and_b32_e32 v65, s58, v65
	s_delay_alu instid0(VALU_DEP_1)
	v_lshlrev_b32_e32 v65, 2, v65
	ds_load_b32 v65, v65
	s_wait_dscnt 0x0
	v_add_nc_u32_e32 v65, v65, v74
	global_store_b32 v65, v64, s[38:39] scale_offset
	s_wait_xcnt 0x0
	s_or_b32 exec_lo, exec_lo, s26
	v_cmp_lt_u32_e64 s25, v75, v139
	s_and_saveexec_b32 s27, s25
	s_cbranch_execz .LBB1450_824
.LBB1450_896:                           ;   in Loop: Header=BB1450_730 Depth=2
	ds_load_b32 v64, v92 offset:9728
	s_wait_dscnt 0x0
	v_cmp_ne_u32_e64 s26, 0x7fffffff, v64
	s_delay_alu instid0(VALU_DEP_1) | instskip(SKIP_1) | instid1(VALU_DEP_1)
	v_cndmask_b32_e64 v65, 0x80000000, v64, s26
	v_cmp_lt_i32_e64 s26, -1, v64
	v_cndmask_b32_e64 v140, 0x80000000, -1, s26
	s_delay_alu instid0(VALU_DEP_1) | instskip(NEXT) | instid1(VALU_DEP_1)
	v_dual_lshrrev_b32 v65, s49, v65 :: v_dual_bitop2_b32 v64, v140, v64 bitop3:0x14
	v_and_b32_e32 v65, s58, v65
	s_delay_alu instid0(VALU_DEP_1)
	v_lshlrev_b32_e32 v65, 2, v65
	ds_load_b32 v65, v65
	s_wait_dscnt 0x0
	v_add_nc_u32_e32 v65, v65, v75
	global_store_b32 v65, v64, s[38:39] scale_offset
	s_wait_xcnt 0x0
	s_or_b32 exec_lo, exec_lo, s27
	v_cmp_lt_u32_e64 s26, v76, v139
	s_and_saveexec_b32 s28, s26
	s_cbranch_execz .LBB1450_825
.LBB1450_897:                           ;   in Loop: Header=BB1450_730 Depth=2
	ds_load_b32 v64, v92 offset:10752
	s_wait_dscnt 0x0
	v_cmp_ne_u32_e64 s27, 0x7fffffff, v64
	s_delay_alu instid0(VALU_DEP_1) | instskip(SKIP_1) | instid1(VALU_DEP_1)
	v_cndmask_b32_e64 v65, 0x80000000, v64, s27
	v_cmp_lt_i32_e64 s27, -1, v64
	v_cndmask_b32_e64 v140, 0x80000000, -1, s27
	s_delay_alu instid0(VALU_DEP_1) | instskip(NEXT) | instid1(VALU_DEP_1)
	v_dual_lshrrev_b32 v65, s49, v65 :: v_dual_bitop2_b32 v64, v140, v64 bitop3:0x14
	v_and_b32_e32 v65, s58, v65
	s_delay_alu instid0(VALU_DEP_1)
	v_lshlrev_b32_e32 v65, 2, v65
	ds_load_b32 v65, v65
	s_wait_dscnt 0x0
	v_add_nc_u32_e32 v65, v65, v76
	global_store_b32 v65, v64, s[38:39] scale_offset
	s_wait_xcnt 0x0
	s_or_b32 exec_lo, exec_lo, s28
	v_cmp_lt_u32_e64 s27, v77, v139
	s_and_saveexec_b32 s29, s27
	s_cbranch_execz .LBB1450_826
.LBB1450_898:                           ;   in Loop: Header=BB1450_730 Depth=2
	ds_load_b32 v64, v92 offset:11776
	s_wait_dscnt 0x0
	v_cmp_ne_u32_e64 s28, 0x7fffffff, v64
	s_delay_alu instid0(VALU_DEP_1) | instskip(SKIP_1) | instid1(VALU_DEP_1)
	v_cndmask_b32_e64 v65, 0x80000000, v64, s28
	v_cmp_lt_i32_e64 s28, -1, v64
	v_cndmask_b32_e64 v140, 0x80000000, -1, s28
	s_delay_alu instid0(VALU_DEP_1) | instskip(NEXT) | instid1(VALU_DEP_1)
	v_dual_lshrrev_b32 v65, s49, v65 :: v_dual_bitop2_b32 v64, v140, v64 bitop3:0x14
	v_and_b32_e32 v65, s58, v65
	s_delay_alu instid0(VALU_DEP_1)
	v_lshlrev_b32_e32 v65, 2, v65
	ds_load_b32 v65, v65
	s_wait_dscnt 0x0
	v_add_nc_u32_e32 v65, v65, v77
	global_store_b32 v65, v64, s[38:39] scale_offset
	s_wait_xcnt 0x0
	s_or_b32 exec_lo, exec_lo, s29
	v_cmp_lt_u32_e64 s28, v78, v139
	s_and_saveexec_b32 s30, s28
	s_cbranch_execz .LBB1450_827
.LBB1450_899:                           ;   in Loop: Header=BB1450_730 Depth=2
	ds_load_b32 v64, v92 offset:12800
	s_wait_dscnt 0x0
	v_cmp_ne_u32_e64 s29, 0x7fffffff, v64
	s_delay_alu instid0(VALU_DEP_1) | instskip(SKIP_1) | instid1(VALU_DEP_1)
	v_cndmask_b32_e64 v65, 0x80000000, v64, s29
	v_cmp_lt_i32_e64 s29, -1, v64
	v_cndmask_b32_e64 v140, 0x80000000, -1, s29
	s_delay_alu instid0(VALU_DEP_1) | instskip(NEXT) | instid1(VALU_DEP_1)
	v_dual_lshrrev_b32 v65, s49, v65 :: v_dual_bitop2_b32 v64, v140, v64 bitop3:0x14
	v_and_b32_e32 v65, s58, v65
	s_delay_alu instid0(VALU_DEP_1)
	v_lshlrev_b32_e32 v65, 2, v65
	ds_load_b32 v65, v65
	s_wait_dscnt 0x0
	v_add_nc_u32_e32 v65, v65, v78
	global_store_b32 v65, v64, s[38:39] scale_offset
	s_wait_xcnt 0x0
	s_or_b32 exec_lo, exec_lo, s30
	v_cmp_lt_u32_e64 s29, v79, v139
	s_and_saveexec_b32 s31, s29
	s_cbranch_execz .LBB1450_828
.LBB1450_900:                           ;   in Loop: Header=BB1450_730 Depth=2
	ds_load_b32 v64, v92 offset:13824
	s_wait_dscnt 0x0
	v_cmp_ne_u32_e64 s30, 0x7fffffff, v64
	s_delay_alu instid0(VALU_DEP_1) | instskip(SKIP_1) | instid1(VALU_DEP_1)
	v_cndmask_b32_e64 v65, 0x80000000, v64, s30
	v_cmp_lt_i32_e64 s30, -1, v64
	v_cndmask_b32_e64 v140, 0x80000000, -1, s30
	s_delay_alu instid0(VALU_DEP_1) | instskip(NEXT) | instid1(VALU_DEP_1)
	v_dual_lshrrev_b32 v65, s49, v65 :: v_dual_bitop2_b32 v64, v140, v64 bitop3:0x14
	v_and_b32_e32 v65, s58, v65
	s_delay_alu instid0(VALU_DEP_1)
	v_lshlrev_b32_e32 v65, 2, v65
	ds_load_b32 v65, v65
	s_wait_dscnt 0x0
	v_add_nc_u32_e32 v65, v65, v79
	global_store_b32 v65, v64, s[38:39] scale_offset
	s_wait_xcnt 0x0
	s_or_b32 exec_lo, exec_lo, s31
	v_cmp_lt_u32_e64 s30, v80, v139
	s_and_saveexec_b32 s33, s30
	s_cbranch_execz .LBB1450_829
.LBB1450_901:                           ;   in Loop: Header=BB1450_730 Depth=2
	ds_load_b32 v64, v92 offset:14848
	s_wait_dscnt 0x0
	v_cmp_ne_u32_e64 s31, 0x7fffffff, v64
	s_delay_alu instid0(VALU_DEP_1) | instskip(SKIP_1) | instid1(VALU_DEP_1)
	v_cndmask_b32_e64 v65, 0x80000000, v64, s31
	v_cmp_lt_i32_e64 s31, -1, v64
	v_cndmask_b32_e64 v140, 0x80000000, -1, s31
	s_delay_alu instid0(VALU_DEP_1) | instskip(NEXT) | instid1(VALU_DEP_1)
	v_dual_lshrrev_b32 v65, s49, v65 :: v_dual_bitop2_b32 v64, v140, v64 bitop3:0x14
	v_and_b32_e32 v65, s58, v65
	s_delay_alu instid0(VALU_DEP_1)
	v_lshlrev_b32_e32 v65, 2, v65
	ds_load_b32 v65, v65
	s_wait_dscnt 0x0
	v_add_nc_u32_e32 v65, v65, v80
	global_store_b32 v65, v64, s[38:39] scale_offset
	s_wait_xcnt 0x0
	s_or_b32 exec_lo, exec_lo, s33
	v_cmp_lt_u32_e64 s31, v81, v139
	s_and_saveexec_b32 s34, s31
	s_cbranch_execz .LBB1450_830
.LBB1450_902:                           ;   in Loop: Header=BB1450_730 Depth=2
	ds_load_b32 v64, v92 offset:15872
	s_wait_dscnt 0x0
	v_cmp_ne_u32_e64 s33, 0x7fffffff, v64
	s_delay_alu instid0(VALU_DEP_1) | instskip(SKIP_1) | instid1(VALU_DEP_1)
	v_cndmask_b32_e64 v65, 0x80000000, v64, s33
	v_cmp_lt_i32_e64 s33, -1, v64
	v_cndmask_b32_e64 v140, 0x80000000, -1, s33
	s_delay_alu instid0(VALU_DEP_1) | instskip(NEXT) | instid1(VALU_DEP_1)
	v_dual_lshrrev_b32 v65, s49, v65 :: v_dual_bitop2_b32 v64, v140, v64 bitop3:0x14
	v_and_b32_e32 v65, s58, v65
	s_delay_alu instid0(VALU_DEP_1)
	v_lshlrev_b32_e32 v65, 2, v65
	ds_load_b32 v65, v65
	s_wait_dscnt 0x0
	v_add_nc_u32_e32 v65, v65, v81
	global_store_b32 v65, v64, s[38:39] scale_offset
	s_wait_xcnt 0x0
	s_or_b32 exec_lo, exec_lo, s34
	v_cmp_lt_u32_e64 s33, v82, v139
	s_and_saveexec_b32 s61, s33
	s_cbranch_execnz .LBB1450_831
	s_branch .LBB1450_832
.LBB1450_903:                           ;   in Loop: Header=BB1450_730 Depth=2
	global_load_b64 v[62:63], v[64:65], off
	s_wait_xcnt 0x0
	s_or_b32 exec_lo, exec_lo, s34
	s_delay_alu instid0(SALU_CYCLE_1)
	s_mov_b32 s42, exec_lo
	v_cmpx_lt_u32_e64 v104, v139
	s_cbranch_execz .LBB1450_834
.LBB1450_904:                           ;   in Loop: Header=BB1450_730 Depth=2
	global_load_b64 v[60:61], v[64:65], off offset:256
	s_wait_xcnt 0x0
	s_or_b32 exec_lo, exec_lo, s42
	s_delay_alu instid0(SALU_CYCLE_1)
	s_mov_b32 s42, exec_lo
	v_cmpx_lt_u32_e64 v105, v139
	s_cbranch_execz .LBB1450_835
.LBB1450_905:                           ;   in Loop: Header=BB1450_730 Depth=2
	global_load_b64 v[58:59], v[64:65], off offset:512
	s_wait_xcnt 0x0
	s_or_b32 exec_lo, exec_lo, s42
	s_delay_alu instid0(SALU_CYCLE_1)
	s_mov_b32 s42, exec_lo
	v_cmpx_lt_u32_e64 v106, v139
	s_cbranch_execz .LBB1450_836
.LBB1450_906:                           ;   in Loop: Header=BB1450_730 Depth=2
	global_load_b64 v[56:57], v[64:65], off offset:768
	s_wait_xcnt 0x0
	s_or_b32 exec_lo, exec_lo, s42
	s_delay_alu instid0(SALU_CYCLE_1)
	s_mov_b32 s42, exec_lo
	v_cmpx_lt_u32_e64 v107, v139
	s_cbranch_execz .LBB1450_837
.LBB1450_907:                           ;   in Loop: Header=BB1450_730 Depth=2
	global_load_b64 v[54:55], v[64:65], off offset:1024
	s_wait_xcnt 0x0
	s_or_b32 exec_lo, exec_lo, s42
	s_delay_alu instid0(SALU_CYCLE_1)
	s_mov_b32 s42, exec_lo
	v_cmpx_lt_u32_e64 v108, v139
	s_cbranch_execz .LBB1450_838
.LBB1450_908:                           ;   in Loop: Header=BB1450_730 Depth=2
	global_load_b64 v[52:53], v[64:65], off offset:1280
	s_wait_xcnt 0x0
	s_or_b32 exec_lo, exec_lo, s42
	s_delay_alu instid0(SALU_CYCLE_1)
	s_mov_b32 s42, exec_lo
	v_cmpx_lt_u32_e64 v109, v139
	s_cbranch_execz .LBB1450_839
.LBB1450_909:                           ;   in Loop: Header=BB1450_730 Depth=2
	global_load_b64 v[50:51], v[64:65], off offset:1536
	s_wait_xcnt 0x0
	s_or_b32 exec_lo, exec_lo, s42
	s_delay_alu instid0(SALU_CYCLE_1)
	s_mov_b32 s42, exec_lo
	v_cmpx_lt_u32_e64 v110, v139
	s_cbranch_execz .LBB1450_840
.LBB1450_910:                           ;   in Loop: Header=BB1450_730 Depth=2
	global_load_b64 v[48:49], v[64:65], off offset:1792
	s_wait_xcnt 0x0
	s_or_b32 exec_lo, exec_lo, s42
	s_delay_alu instid0(SALU_CYCLE_1)
	s_mov_b32 s42, exec_lo
	v_cmpx_lt_u32_e64 v111, v139
	s_cbranch_execz .LBB1450_841
.LBB1450_911:                           ;   in Loop: Header=BB1450_730 Depth=2
	global_load_b64 v[46:47], v[64:65], off offset:2048
	s_wait_xcnt 0x0
	s_or_b32 exec_lo, exec_lo, s42
	s_delay_alu instid0(SALU_CYCLE_1)
	s_mov_b32 s42, exec_lo
	v_cmpx_lt_u32_e64 v112, v139
	s_cbranch_execz .LBB1450_842
.LBB1450_912:                           ;   in Loop: Header=BB1450_730 Depth=2
	global_load_b64 v[44:45], v[64:65], off offset:2304
	s_wait_xcnt 0x0
	s_or_b32 exec_lo, exec_lo, s42
	s_delay_alu instid0(SALU_CYCLE_1)
	s_mov_b32 s42, exec_lo
	v_cmpx_lt_u32_e64 v113, v139
	s_cbranch_execz .LBB1450_843
.LBB1450_913:                           ;   in Loop: Header=BB1450_730 Depth=2
	global_load_b64 v[42:43], v[64:65], off offset:2560
	s_wait_xcnt 0x0
	s_or_b32 exec_lo, exec_lo, s42
	s_delay_alu instid0(SALU_CYCLE_1)
	s_mov_b32 s42, exec_lo
	v_cmpx_lt_u32_e64 v114, v139
	s_cbranch_execz .LBB1450_844
.LBB1450_914:                           ;   in Loop: Header=BB1450_730 Depth=2
	global_load_b64 v[40:41], v[64:65], off offset:2816
	s_wait_xcnt 0x0
	s_or_b32 exec_lo, exec_lo, s42
	s_delay_alu instid0(SALU_CYCLE_1)
	s_mov_b32 s42, exec_lo
	v_cmpx_lt_u32_e64 v115, v139
	s_cbranch_execz .LBB1450_845
.LBB1450_915:                           ;   in Loop: Header=BB1450_730 Depth=2
	global_load_b64 v[38:39], v[64:65], off offset:3072
	s_wait_xcnt 0x0
	s_or_b32 exec_lo, exec_lo, s42
	s_delay_alu instid0(SALU_CYCLE_1)
	s_mov_b32 s42, exec_lo
	v_cmpx_lt_u32_e64 v116, v139
	s_cbranch_execz .LBB1450_846
.LBB1450_916:                           ;   in Loop: Header=BB1450_730 Depth=2
	global_load_b64 v[36:37], v[64:65], off offset:3328
	s_wait_xcnt 0x0
	s_or_b32 exec_lo, exec_lo, s42
	s_delay_alu instid0(SALU_CYCLE_1)
	s_mov_b32 s42, exec_lo
	v_cmpx_lt_u32_e64 v117, v139
	s_cbranch_execz .LBB1450_847
.LBB1450_917:                           ;   in Loop: Header=BB1450_730 Depth=2
	global_load_b64 v[34:35], v[64:65], off offset:3584
	s_wait_xcnt 0x0
	s_or_b32 exec_lo, exec_lo, s42
	s_delay_alu instid0(SALU_CYCLE_1)
	s_mov_b32 s42, exec_lo
	v_cmpx_lt_u32_e64 v118, v139
	s_cbranch_execz .LBB1450_848
.LBB1450_918:                           ;   in Loop: Header=BB1450_730 Depth=2
	global_load_b64 v[32:33], v[64:65], off offset:3840
	s_wait_xcnt 0x0
	s_or_b32 exec_lo, exec_lo, s42
	s_delay_alu instid0(SALU_CYCLE_1)
	s_mov_b32 s42, exec_lo
	v_cmpx_lt_u32_e64 v5, v139
	s_cbranch_execz .LBB1450_849
.LBB1450_919:                           ;   in Loop: Header=BB1450_730 Depth=2
	global_load_b64 v[30:31], v[64:65], off offset:4096
	s_wait_xcnt 0x0
	s_or_b32 exec_lo, exec_lo, s42
	s_and_saveexec_b32 s42, vcc_lo
	s_cbranch_execz .LBB1450_850
.LBB1450_920:                           ;   in Loop: Header=BB1450_730 Depth=2
	ds_load_b32 v64, v92 offset:512
	s_wait_dscnt 0x0
	v_cmp_ne_u32_e64 s34, 0x7fffffff, v64
	s_delay_alu instid0(VALU_DEP_1) | instskip(NEXT) | instid1(VALU_DEP_1)
	v_cndmask_b32_e64 v64, 0x80000000, v64, s34
	v_lshrrev_b32_e32 v64, s49, v64
	s_delay_alu instid0(VALU_DEP_1)
	v_and_b32_e32 v137, s58, v64
	s_or_b32 exec_lo, exec_lo, s42
	s_and_saveexec_b32 s42, s17
	s_cbranch_execz .LBB1450_851
.LBB1450_921:                           ;   in Loop: Header=BB1450_730 Depth=2
	ds_load_b32 v64, v92 offset:1536
	s_wait_dscnt 0x0
	v_cmp_ne_u32_e64 s34, 0x7fffffff, v64
	s_delay_alu instid0(VALU_DEP_1) | instskip(NEXT) | instid1(VALU_DEP_1)
	v_cndmask_b32_e64 v64, 0x80000000, v64, s34
	v_lshrrev_b32_e32 v64, s49, v64
	s_delay_alu instid0(VALU_DEP_1)
	v_and_b32_e32 v136, s58, v64
	s_or_b32 exec_lo, exec_lo, s42
	s_and_saveexec_b32 s42, s18
	s_cbranch_execz .LBB1450_852
.LBB1450_922:                           ;   in Loop: Header=BB1450_730 Depth=2
	ds_load_b32 v64, v92 offset:2560
	s_wait_dscnt 0x0
	v_cmp_ne_u32_e64 s34, 0x7fffffff, v64
	s_delay_alu instid0(VALU_DEP_1) | instskip(NEXT) | instid1(VALU_DEP_1)
	v_cndmask_b32_e64 v64, 0x80000000, v64, s34
	v_lshrrev_b32_e32 v64, s49, v64
	s_delay_alu instid0(VALU_DEP_1)
	v_and_b32_e32 v135, s58, v64
	s_or_b32 exec_lo, exec_lo, s42
	s_and_saveexec_b32 s42, s19
	s_cbranch_execz .LBB1450_853
.LBB1450_923:                           ;   in Loop: Header=BB1450_730 Depth=2
	ds_load_b32 v64, v92 offset:3584
	s_wait_dscnt 0x0
	v_cmp_ne_u32_e64 s34, 0x7fffffff, v64
	s_delay_alu instid0(VALU_DEP_1) | instskip(NEXT) | instid1(VALU_DEP_1)
	v_cndmask_b32_e64 v64, 0x80000000, v64, s34
	v_lshrrev_b32_e32 v64, s49, v64
	s_delay_alu instid0(VALU_DEP_1)
	v_and_b32_e32 v134, s58, v64
	s_or_b32 exec_lo, exec_lo, s42
	s_and_saveexec_b32 s42, s20
	s_cbranch_execz .LBB1450_854
.LBB1450_924:                           ;   in Loop: Header=BB1450_730 Depth=2
	ds_load_b32 v64, v92 offset:4608
	s_wait_dscnt 0x0
	v_cmp_ne_u32_e64 s34, 0x7fffffff, v64
	s_delay_alu instid0(VALU_DEP_1) | instskip(NEXT) | instid1(VALU_DEP_1)
	v_cndmask_b32_e64 v64, 0x80000000, v64, s34
	v_lshrrev_b32_e32 v64, s49, v64
	s_delay_alu instid0(VALU_DEP_1)
	v_and_b32_e32 v132, s58, v64
	s_or_b32 exec_lo, exec_lo, s42
	s_and_saveexec_b32 s42, s21
	s_cbranch_execz .LBB1450_855
.LBB1450_925:                           ;   in Loop: Header=BB1450_730 Depth=2
	ds_load_b32 v64, v92 offset:5632
	s_wait_dscnt 0x0
	v_cmp_ne_u32_e64 s34, 0x7fffffff, v64
	s_delay_alu instid0(VALU_DEP_1) | instskip(NEXT) | instid1(VALU_DEP_1)
	v_cndmask_b32_e64 v64, 0x80000000, v64, s34
	v_lshrrev_b32_e32 v64, s49, v64
	s_delay_alu instid0(VALU_DEP_1)
	v_and_b32_e32 v131, s58, v64
	s_or_b32 exec_lo, exec_lo, s42
	s_and_saveexec_b32 s42, s22
	s_cbranch_execz .LBB1450_856
.LBB1450_926:                           ;   in Loop: Header=BB1450_730 Depth=2
	ds_load_b32 v64, v92 offset:6656
	s_wait_dscnt 0x0
	v_cmp_ne_u32_e64 s34, 0x7fffffff, v64
	s_delay_alu instid0(VALU_DEP_1) | instskip(NEXT) | instid1(VALU_DEP_1)
	v_cndmask_b32_e64 v64, 0x80000000, v64, s34
	v_lshrrev_b32_e32 v64, s49, v64
	s_delay_alu instid0(VALU_DEP_1)
	v_and_b32_e32 v130, s58, v64
	s_or_b32 exec_lo, exec_lo, s42
	s_and_saveexec_b32 s42, s23
	s_cbranch_execz .LBB1450_857
.LBB1450_927:                           ;   in Loop: Header=BB1450_730 Depth=2
	ds_load_b32 v64, v92 offset:7680
	s_wait_dscnt 0x0
	v_cmp_ne_u32_e64 s34, 0x7fffffff, v64
	s_delay_alu instid0(VALU_DEP_1) | instskip(NEXT) | instid1(VALU_DEP_1)
	v_cndmask_b32_e64 v64, 0x80000000, v64, s34
	v_lshrrev_b32_e32 v64, s49, v64
	s_delay_alu instid0(VALU_DEP_1)
	v_and_b32_e32 v129, s58, v64
	s_or_b32 exec_lo, exec_lo, s42
	s_and_saveexec_b32 s42, s24
	s_cbranch_execz .LBB1450_858
.LBB1450_928:                           ;   in Loop: Header=BB1450_730 Depth=2
	ds_load_b32 v64, v92 offset:8704
	s_wait_dscnt 0x0
	v_cmp_ne_u32_e64 s34, 0x7fffffff, v64
	s_delay_alu instid0(VALU_DEP_1) | instskip(NEXT) | instid1(VALU_DEP_1)
	v_cndmask_b32_e64 v64, 0x80000000, v64, s34
	v_lshrrev_b32_e32 v64, s49, v64
	s_delay_alu instid0(VALU_DEP_1)
	v_and_b32_e32 v128, s58, v64
	s_or_b32 exec_lo, exec_lo, s42
	s_and_saveexec_b32 s42, s25
	s_cbranch_execz .LBB1450_859
.LBB1450_929:                           ;   in Loop: Header=BB1450_730 Depth=2
	ds_load_b32 v64, v92 offset:9728
	s_wait_dscnt 0x0
	v_cmp_ne_u32_e64 s34, 0x7fffffff, v64
	s_delay_alu instid0(VALU_DEP_1) | instskip(NEXT) | instid1(VALU_DEP_1)
	v_cndmask_b32_e64 v64, 0x80000000, v64, s34
	v_lshrrev_b32_e32 v64, s49, v64
	s_delay_alu instid0(VALU_DEP_1)
	v_and_b32_e32 v127, s58, v64
	s_or_b32 exec_lo, exec_lo, s42
	s_and_saveexec_b32 s42, s26
	s_cbranch_execz .LBB1450_860
.LBB1450_930:                           ;   in Loop: Header=BB1450_730 Depth=2
	ds_load_b32 v64, v92 offset:10752
	s_wait_dscnt 0x0
	v_cmp_ne_u32_e64 s34, 0x7fffffff, v64
	s_delay_alu instid0(VALU_DEP_1) | instskip(NEXT) | instid1(VALU_DEP_1)
	v_cndmask_b32_e64 v64, 0x80000000, v64, s34
	v_lshrrev_b32_e32 v64, s49, v64
	s_delay_alu instid0(VALU_DEP_1)
	v_and_b32_e32 v126, s58, v64
	s_or_b32 exec_lo, exec_lo, s42
	s_and_saveexec_b32 s42, s27
	s_cbranch_execz .LBB1450_861
.LBB1450_931:                           ;   in Loop: Header=BB1450_730 Depth=2
	ds_load_b32 v64, v92 offset:11776
	s_wait_dscnt 0x0
	v_cmp_ne_u32_e64 s34, 0x7fffffff, v64
	s_delay_alu instid0(VALU_DEP_1) | instskip(NEXT) | instid1(VALU_DEP_1)
	v_cndmask_b32_e64 v64, 0x80000000, v64, s34
	v_lshrrev_b32_e32 v64, s49, v64
	s_delay_alu instid0(VALU_DEP_1)
	v_and_b32_e32 v125, s58, v64
	s_or_b32 exec_lo, exec_lo, s42
	s_and_saveexec_b32 s42, s28
	s_cbranch_execz .LBB1450_862
.LBB1450_932:                           ;   in Loop: Header=BB1450_730 Depth=2
	ds_load_b32 v64, v92 offset:12800
	s_wait_dscnt 0x0
	v_cmp_ne_u32_e64 s34, 0x7fffffff, v64
	s_delay_alu instid0(VALU_DEP_1) | instskip(NEXT) | instid1(VALU_DEP_1)
	v_cndmask_b32_e64 v64, 0x80000000, v64, s34
	v_lshrrev_b32_e32 v64, s49, v64
	s_delay_alu instid0(VALU_DEP_1)
	v_and_b32_e32 v124, s58, v64
	s_or_b32 exec_lo, exec_lo, s42
	s_and_saveexec_b32 s42, s29
	s_cbranch_execz .LBB1450_863
.LBB1450_933:                           ;   in Loop: Header=BB1450_730 Depth=2
	ds_load_b32 v64, v92 offset:13824
	s_wait_dscnt 0x0
	v_cmp_ne_u32_e64 s34, 0x7fffffff, v64
	s_delay_alu instid0(VALU_DEP_1) | instskip(NEXT) | instid1(VALU_DEP_1)
	v_cndmask_b32_e64 v64, 0x80000000, v64, s34
	v_lshrrev_b32_e32 v64, s49, v64
	s_delay_alu instid0(VALU_DEP_1)
	v_and_b32_e32 v123, s58, v64
	s_or_b32 exec_lo, exec_lo, s42
	s_and_saveexec_b32 s42, s30
	s_cbranch_execz .LBB1450_864
.LBB1450_934:                           ;   in Loop: Header=BB1450_730 Depth=2
	ds_load_b32 v64, v92 offset:14848
	s_wait_dscnt 0x0
	v_cmp_ne_u32_e64 s34, 0x7fffffff, v64
	s_delay_alu instid0(VALU_DEP_1) | instskip(NEXT) | instid1(VALU_DEP_1)
	v_cndmask_b32_e64 v64, 0x80000000, v64, s34
	v_lshrrev_b32_e32 v64, s49, v64
	s_delay_alu instid0(VALU_DEP_1)
	v_and_b32_e32 v122, s58, v64
	s_or_b32 exec_lo, exec_lo, s42
	s_and_saveexec_b32 s42, s31
	s_cbranch_execz .LBB1450_865
.LBB1450_935:                           ;   in Loop: Header=BB1450_730 Depth=2
	ds_load_b32 v64, v92 offset:15872
	s_wait_dscnt 0x0
	v_cmp_ne_u32_e64 s34, 0x7fffffff, v64
	s_delay_alu instid0(VALU_DEP_1) | instskip(NEXT) | instid1(VALU_DEP_1)
	v_cndmask_b32_e64 v64, 0x80000000, v64, s34
	v_lshrrev_b32_e32 v64, s49, v64
	s_delay_alu instid0(VALU_DEP_1)
	v_and_b32_e32 v121, s58, v64
	s_or_b32 exec_lo, exec_lo, s42
	s_and_saveexec_b32 s42, s33
	s_cbranch_execnz .LBB1450_866
	s_branch .LBB1450_867
.LBB1450_936:                           ;   in Loop: Header=BB1450_730 Depth=2
	v_dual_lshlrev_b32 v64, 2, v137 :: v_dual_add_nc_u32 v65, v92, v4
	ds_load_b32 v66, v64
	ds_load_b64 v[64:65], v65 offset:512
	s_wait_dscnt 0x1
	v_add_nc_u32_e32 v66, v66, v2
	s_wait_dscnt 0x0
	global_store_b64 v66, v[64:65], s[44:45] scale_offset
	s_wait_xcnt 0x0
	s_or_b32 exec_lo, exec_lo, s34
	s_and_saveexec_b32 s34, s17
	s_cbranch_execz .LBB1450_869
.LBB1450_937:                           ;   in Loop: Header=BB1450_730 Depth=2
	v_lshlrev_b32_e32 v64, 2, v136
	v_add_nc_u32_e32 v65, v92, v4
	ds_load_b32 v66, v64
	ds_load_b64 v[64:65], v65 offset:2560
	s_wait_dscnt 0x1
	v_add_nc_u32_e32 v66, v66, v3
	s_wait_dscnt 0x0
	global_store_b64 v66, v[64:65], s[44:45] scale_offset
	s_wait_xcnt 0x0
	s_or_b32 exec_lo, exec_lo, s34
	s_and_saveexec_b32 s17, s18
	s_cbranch_execz .LBB1450_870
.LBB1450_938:                           ;   in Loop: Header=BB1450_730 Depth=2
	v_dual_lshlrev_b32 v64, 2, v135 :: v_dual_add_nc_u32 v65, v92, v4
	ds_load_b32 v66, v64
	ds_load_b64 v[64:65], v65 offset:4608
	s_wait_dscnt 0x1
	v_add_nc_u32_e32 v66, v66, v68
	s_wait_dscnt 0x0
	global_store_b64 v66, v[64:65], s[44:45] scale_offset
	s_wait_xcnt 0x0
	s_or_b32 exec_lo, exec_lo, s17
	s_and_saveexec_b32 s17, s19
	s_cbranch_execz .LBB1450_871
.LBB1450_939:                           ;   in Loop: Header=BB1450_730 Depth=2
	v_dual_lshlrev_b32 v64, 2, v134 :: v_dual_add_nc_u32 v65, v92, v4
	ds_load_b32 v66, v64
	ds_load_b64 v[64:65], v65 offset:6656
	s_wait_dscnt 0x1
	v_add_nc_u32_e32 v66, v66, v69
	s_wait_dscnt 0x0
	global_store_b64 v66, v[64:65], s[44:45] scale_offset
	s_wait_xcnt 0x0
	s_or_b32 exec_lo, exec_lo, s17
	s_and_saveexec_b32 s17, s20
	s_cbranch_execz .LBB1450_872
.LBB1450_940:                           ;   in Loop: Header=BB1450_730 Depth=2
	v_lshlrev_b32_e32 v64, 2, v132
	v_add_nc_u32_e32 v65, v92, v4
	ds_load_b32 v66, v64
	ds_load_b64 v[64:65], v65 offset:8704
	s_wait_dscnt 0x1
	v_add_nc_u32_e32 v66, v66, v70
	s_wait_dscnt 0x0
	global_store_b64 v66, v[64:65], s[44:45] scale_offset
	s_wait_xcnt 0x0
	s_or_b32 exec_lo, exec_lo, s17
	s_and_saveexec_b32 s17, s21
	s_cbranch_execz .LBB1450_873
.LBB1450_941:                           ;   in Loop: Header=BB1450_730 Depth=2
	v_dual_lshlrev_b32 v64, 2, v131 :: v_dual_add_nc_u32 v65, v92, v4
	ds_load_b32 v66, v64
	ds_load_b64 v[64:65], v65 offset:10752
	s_wait_dscnt 0x1
	v_add_nc_u32_e32 v66, v66, v71
	s_wait_dscnt 0x0
	global_store_b64 v66, v[64:65], s[44:45] scale_offset
	s_wait_xcnt 0x0
	s_or_b32 exec_lo, exec_lo, s17
	s_and_saveexec_b32 s17, s22
	s_cbranch_execz .LBB1450_874
.LBB1450_942:                           ;   in Loop: Header=BB1450_730 Depth=2
	v_dual_lshlrev_b32 v64, 2, v130 :: v_dual_add_nc_u32 v65, v92, v4
	ds_load_b32 v66, v64
	ds_load_b64 v[64:65], v65 offset:12800
	s_wait_dscnt 0x1
	v_add_nc_u32_e32 v66, v66, v72
	s_wait_dscnt 0x0
	global_store_b64 v66, v[64:65], s[44:45] scale_offset
	s_wait_xcnt 0x0
	s_or_b32 exec_lo, exec_lo, s17
	s_and_saveexec_b32 s17, s23
	s_cbranch_execz .LBB1450_875
.LBB1450_943:                           ;   in Loop: Header=BB1450_730 Depth=2
	v_dual_lshlrev_b32 v64, 2, v129 :: v_dual_add_nc_u32 v65, v92, v4
	ds_load_b32 v66, v64
	ds_load_b64 v[64:65], v65 offset:14848
	s_wait_dscnt 0x1
	v_add_nc_u32_e32 v66, v66, v73
	s_wait_dscnt 0x0
	global_store_b64 v66, v[64:65], s[44:45] scale_offset
	s_wait_xcnt 0x0
	s_or_b32 exec_lo, exec_lo, s17
	s_and_saveexec_b32 s17, s24
	s_cbranch_execz .LBB1450_876
.LBB1450_944:                           ;   in Loop: Header=BB1450_730 Depth=2
	v_lshlrev_b32_e32 v64, 2, v128
	v_add_nc_u32_e32 v65, v92, v4
	ds_load_b32 v66, v64
	ds_load_b64 v[64:65], v65 offset:16896
	s_wait_dscnt 0x1
	v_add_nc_u32_e32 v66, v66, v74
	s_wait_dscnt 0x0
	global_store_b64 v66, v[64:65], s[44:45] scale_offset
	s_wait_xcnt 0x0
	s_or_b32 exec_lo, exec_lo, s17
	s_and_saveexec_b32 s17, s25
	s_cbranch_execz .LBB1450_877
.LBB1450_945:                           ;   in Loop: Header=BB1450_730 Depth=2
	v_dual_lshlrev_b32 v64, 2, v127 :: v_dual_add_nc_u32 v65, v92, v4
	ds_load_b32 v66, v64
	ds_load_b64 v[64:65], v65 offset:18944
	s_wait_dscnt 0x1
	v_add_nc_u32_e32 v66, v66, v75
	s_wait_dscnt 0x0
	global_store_b64 v66, v[64:65], s[44:45] scale_offset
	s_wait_xcnt 0x0
	s_or_b32 exec_lo, exec_lo, s17
	s_and_saveexec_b32 s17, s26
	s_cbranch_execz .LBB1450_878
.LBB1450_946:                           ;   in Loop: Header=BB1450_730 Depth=2
	v_dual_lshlrev_b32 v64, 2, v126 :: v_dual_add_nc_u32 v65, v92, v4
	ds_load_b32 v66, v64
	ds_load_b64 v[64:65], v65 offset:20992
	s_wait_dscnt 0x1
	v_add_nc_u32_e32 v66, v66, v76
	s_wait_dscnt 0x0
	global_store_b64 v66, v[64:65], s[44:45] scale_offset
	s_wait_xcnt 0x0
	s_or_b32 exec_lo, exec_lo, s17
	s_and_saveexec_b32 s17, s27
	s_cbranch_execz .LBB1450_879
.LBB1450_947:                           ;   in Loop: Header=BB1450_730 Depth=2
	v_dual_lshlrev_b32 v64, 2, v125 :: v_dual_add_nc_u32 v65, v92, v4
	ds_load_b32 v66, v64
	ds_load_b64 v[64:65], v65 offset:23040
	s_wait_dscnt 0x1
	v_add_nc_u32_e32 v66, v66, v77
	s_wait_dscnt 0x0
	global_store_b64 v66, v[64:65], s[44:45] scale_offset
	s_wait_xcnt 0x0
	s_or_b32 exec_lo, exec_lo, s17
	s_and_saveexec_b32 s17, s28
	s_cbranch_execz .LBB1450_880
.LBB1450_948:                           ;   in Loop: Header=BB1450_730 Depth=2
	v_lshlrev_b32_e32 v64, 2, v124
	v_add_nc_u32_e32 v65, v92, v4
	ds_load_b32 v66, v64
	ds_load_b64 v[64:65], v65 offset:25088
	s_wait_dscnt 0x1
	v_add_nc_u32_e32 v66, v66, v78
	s_wait_dscnt 0x0
	global_store_b64 v66, v[64:65], s[44:45] scale_offset
	s_wait_xcnt 0x0
	s_or_b32 exec_lo, exec_lo, s17
	s_and_saveexec_b32 s17, s29
	s_cbranch_execz .LBB1450_881
.LBB1450_949:                           ;   in Loop: Header=BB1450_730 Depth=2
	v_dual_lshlrev_b32 v64, 2, v123 :: v_dual_add_nc_u32 v65, v92, v4
	ds_load_b32 v66, v64
	ds_load_b64 v[64:65], v65 offset:27136
	s_wait_dscnt 0x1
	v_add_nc_u32_e32 v66, v66, v79
	s_wait_dscnt 0x0
	global_store_b64 v66, v[64:65], s[44:45] scale_offset
	s_wait_xcnt 0x0
	s_or_b32 exec_lo, exec_lo, s17
	s_and_saveexec_b32 s17, s30
	s_cbranch_execz .LBB1450_882
.LBB1450_950:                           ;   in Loop: Header=BB1450_730 Depth=2
	v_dual_lshlrev_b32 v64, 2, v122 :: v_dual_add_nc_u32 v65, v92, v4
	ds_load_b32 v66, v64
	ds_load_b64 v[64:65], v65 offset:29184
	s_wait_dscnt 0x1
	v_add_nc_u32_e32 v66, v66, v80
	s_wait_dscnt 0x0
	global_store_b64 v66, v[64:65], s[44:45] scale_offset
	s_wait_xcnt 0x0
	s_or_b32 exec_lo, exec_lo, s17
	s_and_saveexec_b32 s17, s31
	s_cbranch_execz .LBB1450_883
.LBB1450_951:                           ;   in Loop: Header=BB1450_730 Depth=2
	v_dual_lshlrev_b32 v64, 2, v121 :: v_dual_add_nc_u32 v65, v92, v4
	ds_load_b32 v66, v64
	ds_load_b64 v[64:65], v65 offset:31232
	s_wait_dscnt 0x1
	v_add_nc_u32_e32 v66, v66, v81
	s_wait_dscnt 0x0
	global_store_b64 v66, v[64:65], s[44:45] scale_offset
	s_wait_xcnt 0x0
	s_or_b32 exec_lo, exec_lo, s17
	s_and_saveexec_b32 s17, s33
	s_cbranch_execnz .LBB1450_884
	s_branch .LBB1450_885
.LBB1450_952:                           ;   in Loop: Header=BB1450_20 Depth=1
	s_wait_dscnt 0x0
	s_barrier_signal -1
	s_mov_b32 s9, 0
	s_barrier_wait -1
.LBB1450_953:                           ;   in Loop: Header=BB1450_20 Depth=1
	s_and_b32 vcc_lo, exec_lo, s9
	s_cbranch_vccz .LBB1450_19
; %bb.954:                              ;   in Loop: Header=BB1450_20 Depth=1
	s_mov_b32 s9, s57
	s_mov_b32 s42, s55
	s_barrier_signal -1
	s_barrier_wait -1
                                        ; implicit-def: $vgpr25
                                        ; implicit-def: $vgpr26
                                        ; implicit-def: $vgpr27
                                        ; implicit-def: $vgpr28
                                        ; implicit-def: $vgpr29
                                        ; implicit-def: $vgpr30
                                        ; implicit-def: $vgpr31
                                        ; implicit-def: $vgpr32
                                        ; implicit-def: $vgpr33
                                        ; implicit-def: $vgpr34
                                        ; implicit-def: $vgpr35
                                        ; implicit-def: $vgpr36
                                        ; implicit-def: $vgpr37
                                        ; implicit-def: $vgpr38
                                        ; implicit-def: $vgpr39
                                        ; implicit-def: $vgpr40
                                        ; implicit-def: $vgpr41
	s_branch .LBB1450_956
.LBB1450_955:                           ;   in Loop: Header=BB1450_956 Depth=2
	s_or_b32 exec_lo, exec_lo, s10
	s_addk_co_i32 s9, 0xef00
	s_cmp_ge_u32 s12, s54
	s_mov_b32 s42, s12
	s_cbranch_scc1 .LBB1450_1028
.LBB1450_956:                           ;   Parent Loop BB1450_20 Depth=1
                                        ; =>  This Inner Loop Header: Depth=2
	s_add_co_i32 s12, s42, 0x1100
	s_mov_b32 s10, -1
	s_cmp_gt_u32 s12, s54
                                        ; implicit-def: $vgpr42
                                        ; implicit-def: $vgpr43
                                        ; implicit-def: $vgpr44
                                        ; implicit-def: $vgpr45
                                        ; implicit-def: $vgpr46
                                        ; implicit-def: $vgpr47
                                        ; implicit-def: $vgpr48
                                        ; implicit-def: $vgpr49
                                        ; implicit-def: $vgpr50
                                        ; implicit-def: $vgpr51
                                        ; implicit-def: $vgpr52
                                        ; implicit-def: $vgpr53
                                        ; implicit-def: $vgpr54
                                        ; implicit-def: $vgpr55
                                        ; implicit-def: $vgpr56
                                        ; implicit-def: $vgpr57
                                        ; implicit-def: $vgpr58
	s_cbranch_scc1 .LBB1450_958
; %bb.957:                              ;   in Loop: Header=BB1450_956 Depth=2
	v_lshl_add_u64 v[60:61], s[42:43], 2, v[22:23]
	s_mov_b32 s10, 0
	s_clause 0x10
	global_load_b32 v42, v[60:61], off
	global_load_b32 v43, v[60:61], off offset:1024
	global_load_b32 v44, v[60:61], off offset:2048
	;; [unrolled: 1-line block ×16, first 2 shown]
.LBB1450_958:                           ;   in Loop: Header=BB1450_956 Depth=2
	s_and_not1_b32 vcc_lo, exec_lo, s10
	s_movk_i32 s10, 0x1100
	s_cbranch_vccnz .LBB1450_978
; %bb.959:                              ;   in Loop: Header=BB1450_956 Depth=2
	s_lshl_b64 s[10:11], s[42:43], 2
	s_mov_b32 s13, exec_lo
	s_add_nc_u64 s[10:11], s[36:37], s[10:11]
	s_wait_xcnt 0x0
	v_cmpx_gt_u32_e64 s9, v2
	s_cbranch_execnz .LBB1450_1012
; %bb.960:                              ;   in Loop: Header=BB1450_956 Depth=2
	s_or_b32 exec_lo, exec_lo, s13
	s_delay_alu instid0(SALU_CYCLE_1)
	s_mov_b32 s13, exec_lo
	v_cmpx_gt_u32_e64 s9, v3
	s_cbranch_execnz .LBB1450_1013
.LBB1450_961:                           ;   in Loop: Header=BB1450_956 Depth=2
	s_or_b32 exec_lo, exec_lo, s13
	s_delay_alu instid0(SALU_CYCLE_1)
	s_mov_b32 s13, exec_lo
	v_cmpx_gt_u32_e64 s9, v68
	s_cbranch_execnz .LBB1450_1014
.LBB1450_962:                           ;   in Loop: Header=BB1450_956 Depth=2
	s_or_b32 exec_lo, exec_lo, s13
	s_delay_alu instid0(SALU_CYCLE_1)
	s_mov_b32 s13, exec_lo
	v_cmpx_gt_u32_e64 s9, v69
	s_cbranch_execnz .LBB1450_1015
.LBB1450_963:                           ;   in Loop: Header=BB1450_956 Depth=2
	s_or_b32 exec_lo, exec_lo, s13
	s_delay_alu instid0(SALU_CYCLE_1)
	s_mov_b32 s13, exec_lo
	v_cmpx_gt_u32_e64 s9, v70
	s_cbranch_execnz .LBB1450_1016
.LBB1450_964:                           ;   in Loop: Header=BB1450_956 Depth=2
	s_or_b32 exec_lo, exec_lo, s13
	s_delay_alu instid0(SALU_CYCLE_1)
	s_mov_b32 s13, exec_lo
	v_cmpx_gt_u32_e64 s9, v71
	s_cbranch_execnz .LBB1450_1017
.LBB1450_965:                           ;   in Loop: Header=BB1450_956 Depth=2
	s_or_b32 exec_lo, exec_lo, s13
	s_delay_alu instid0(SALU_CYCLE_1)
	s_mov_b32 s13, exec_lo
	v_cmpx_gt_u32_e64 s9, v72
	s_cbranch_execnz .LBB1450_1018
.LBB1450_966:                           ;   in Loop: Header=BB1450_956 Depth=2
	s_or_b32 exec_lo, exec_lo, s13
	s_delay_alu instid0(SALU_CYCLE_1)
	s_mov_b32 s13, exec_lo
	v_cmpx_gt_u32_e64 s9, v73
	s_cbranch_execnz .LBB1450_1019
.LBB1450_967:                           ;   in Loop: Header=BB1450_956 Depth=2
	s_or_b32 exec_lo, exec_lo, s13
	s_delay_alu instid0(SALU_CYCLE_1)
	s_mov_b32 s13, exec_lo
	v_cmpx_gt_u32_e64 s9, v74
	s_cbranch_execnz .LBB1450_1020
.LBB1450_968:                           ;   in Loop: Header=BB1450_956 Depth=2
	s_or_b32 exec_lo, exec_lo, s13
	s_delay_alu instid0(SALU_CYCLE_1)
	s_mov_b32 s13, exec_lo
	v_cmpx_gt_u32_e64 s9, v75
	s_cbranch_execnz .LBB1450_1021
.LBB1450_969:                           ;   in Loop: Header=BB1450_956 Depth=2
	s_or_b32 exec_lo, exec_lo, s13
	s_delay_alu instid0(SALU_CYCLE_1)
	s_mov_b32 s13, exec_lo
	v_cmpx_gt_u32_e64 s9, v76
	s_cbranch_execnz .LBB1450_1022
.LBB1450_970:                           ;   in Loop: Header=BB1450_956 Depth=2
	s_or_b32 exec_lo, exec_lo, s13
	s_delay_alu instid0(SALU_CYCLE_1)
	s_mov_b32 s13, exec_lo
	v_cmpx_gt_u32_e64 s9, v77
	s_cbranch_execnz .LBB1450_1023
.LBB1450_971:                           ;   in Loop: Header=BB1450_956 Depth=2
	s_or_b32 exec_lo, exec_lo, s13
	s_delay_alu instid0(SALU_CYCLE_1)
	s_mov_b32 s13, exec_lo
	v_cmpx_gt_u32_e64 s9, v78
	s_cbranch_execnz .LBB1450_1024
.LBB1450_972:                           ;   in Loop: Header=BB1450_956 Depth=2
	s_or_b32 exec_lo, exec_lo, s13
	s_delay_alu instid0(SALU_CYCLE_1)
	s_mov_b32 s13, exec_lo
	v_cmpx_gt_u32_e64 s9, v79
	s_cbranch_execnz .LBB1450_1025
.LBB1450_973:                           ;   in Loop: Header=BB1450_956 Depth=2
	s_or_b32 exec_lo, exec_lo, s13
	s_delay_alu instid0(SALU_CYCLE_1)
	s_mov_b32 s13, exec_lo
	v_cmpx_gt_u32_e64 s9, v80
	s_cbranch_execnz .LBB1450_1026
.LBB1450_974:                           ;   in Loop: Header=BB1450_956 Depth=2
	s_or_b32 exec_lo, exec_lo, s13
	s_delay_alu instid0(SALU_CYCLE_1)
	s_mov_b32 s13, exec_lo
	v_cmpx_gt_u32_e64 s9, v81
	s_cbranch_execnz .LBB1450_1027
.LBB1450_975:                           ;   in Loop: Header=BB1450_956 Depth=2
	s_or_b32 exec_lo, exec_lo, s13
	s_delay_alu instid0(SALU_CYCLE_1)
	s_mov_b32 s13, exec_lo
	v_cmpx_gt_u32_e64 s9, v82
	s_cbranch_execz .LBB1450_977
.LBB1450_976:                           ;   in Loop: Header=BB1450_956 Depth=2
	global_load_b32 v25, v2, s[10:11] offset:16384 scale_offset
.LBB1450_977:                           ;   in Loop: Header=BB1450_956 Depth=2
	s_wait_xcnt 0x0
	s_or_b32 exec_lo, exec_lo, s13
	s_wait_loadcnt 0x0
	v_dual_mov_b32 v42, v41 :: v_dual_mov_b32 v43, v40
	v_dual_mov_b32 v44, v39 :: v_dual_mov_b32 v45, v38
	;; [unrolled: 1-line block ×8, first 2 shown]
	v_mov_b32_e32 v58, v25
	s_mov_b32 s10, s9
.LBB1450_978:                           ;   in Loop: Header=BB1450_956 Depth=2
	s_wait_loadcnt 0x0
	s_delay_alu instid0(VALU_DEP_1)
	v_dual_mov_b32 v25, v58 :: v_dual_mov_b32 v26, v57
	v_dual_mov_b32 v27, v56 :: v_dual_mov_b32 v28, v55
	;; [unrolled: 1-line block ×8, first 2 shown]
	v_mov_b32_e32 v41, v42
	s_mov_b32 s11, exec_lo
	s_wait_xcnt 0x0
	v_cmpx_gt_u32_e64 s10, v2
	s_cbranch_execnz .LBB1450_995
; %bb.979:                              ;   in Loop: Header=BB1450_956 Depth=2
	s_or_b32 exec_lo, exec_lo, s11
	s_delay_alu instid0(SALU_CYCLE_1)
	s_mov_b32 s11, exec_lo
	v_cmpx_gt_u32_e64 s10, v3
	s_cbranch_execnz .LBB1450_996
.LBB1450_980:                           ;   in Loop: Header=BB1450_956 Depth=2
	s_or_b32 exec_lo, exec_lo, s11
	s_delay_alu instid0(SALU_CYCLE_1)
	s_mov_b32 s11, exec_lo
	v_cmpx_gt_u32_e64 s10, v68
	s_cbranch_execnz .LBB1450_997
.LBB1450_981:                           ;   in Loop: Header=BB1450_956 Depth=2
	s_or_b32 exec_lo, exec_lo, s11
	s_delay_alu instid0(SALU_CYCLE_1)
	s_mov_b32 s11, exec_lo
	v_cmpx_gt_u32_e64 s10, v69
	s_cbranch_execnz .LBB1450_998
.LBB1450_982:                           ;   in Loop: Header=BB1450_956 Depth=2
	s_or_b32 exec_lo, exec_lo, s11
	s_delay_alu instid0(SALU_CYCLE_1)
	s_mov_b32 s11, exec_lo
	v_cmpx_gt_u32_e64 s10, v70
	s_cbranch_execnz .LBB1450_999
.LBB1450_983:                           ;   in Loop: Header=BB1450_956 Depth=2
	s_or_b32 exec_lo, exec_lo, s11
	s_delay_alu instid0(SALU_CYCLE_1)
	s_mov_b32 s11, exec_lo
	v_cmpx_gt_u32_e64 s10, v71
	s_cbranch_execnz .LBB1450_1000
.LBB1450_984:                           ;   in Loop: Header=BB1450_956 Depth=2
	s_or_b32 exec_lo, exec_lo, s11
	s_delay_alu instid0(SALU_CYCLE_1)
	s_mov_b32 s11, exec_lo
	v_cmpx_gt_u32_e64 s10, v72
	s_cbranch_execnz .LBB1450_1001
.LBB1450_985:                           ;   in Loop: Header=BB1450_956 Depth=2
	s_or_b32 exec_lo, exec_lo, s11
	s_delay_alu instid0(SALU_CYCLE_1)
	s_mov_b32 s11, exec_lo
	v_cmpx_gt_u32_e64 s10, v73
	s_cbranch_execnz .LBB1450_1002
.LBB1450_986:                           ;   in Loop: Header=BB1450_956 Depth=2
	s_or_b32 exec_lo, exec_lo, s11
	s_delay_alu instid0(SALU_CYCLE_1)
	s_mov_b32 s11, exec_lo
	v_cmpx_gt_u32_e64 s10, v74
	s_cbranch_execnz .LBB1450_1003
.LBB1450_987:                           ;   in Loop: Header=BB1450_956 Depth=2
	s_or_b32 exec_lo, exec_lo, s11
	s_delay_alu instid0(SALU_CYCLE_1)
	s_mov_b32 s11, exec_lo
	v_cmpx_gt_u32_e64 s10, v75
	s_cbranch_execnz .LBB1450_1004
.LBB1450_988:                           ;   in Loop: Header=BB1450_956 Depth=2
	s_or_b32 exec_lo, exec_lo, s11
	s_delay_alu instid0(SALU_CYCLE_1)
	s_mov_b32 s11, exec_lo
	v_cmpx_gt_u32_e64 s10, v76
	s_cbranch_execnz .LBB1450_1005
.LBB1450_989:                           ;   in Loop: Header=BB1450_956 Depth=2
	s_or_b32 exec_lo, exec_lo, s11
	s_delay_alu instid0(SALU_CYCLE_1)
	s_mov_b32 s11, exec_lo
	v_cmpx_gt_u32_e64 s10, v77
	s_cbranch_execnz .LBB1450_1006
.LBB1450_990:                           ;   in Loop: Header=BB1450_956 Depth=2
	s_or_b32 exec_lo, exec_lo, s11
	s_delay_alu instid0(SALU_CYCLE_1)
	s_mov_b32 s11, exec_lo
	v_cmpx_gt_u32_e64 s10, v78
	s_cbranch_execnz .LBB1450_1007
.LBB1450_991:                           ;   in Loop: Header=BB1450_956 Depth=2
	s_or_b32 exec_lo, exec_lo, s11
	s_delay_alu instid0(SALU_CYCLE_1)
	s_mov_b32 s11, exec_lo
	v_cmpx_gt_u32_e64 s10, v79
	s_cbranch_execnz .LBB1450_1008
.LBB1450_992:                           ;   in Loop: Header=BB1450_956 Depth=2
	s_or_b32 exec_lo, exec_lo, s11
	s_delay_alu instid0(SALU_CYCLE_1)
	s_mov_b32 s11, exec_lo
	v_cmpx_gt_u32_e64 s10, v80
	s_cbranch_execnz .LBB1450_1009
.LBB1450_993:                           ;   in Loop: Header=BB1450_956 Depth=2
	s_or_b32 exec_lo, exec_lo, s11
	s_delay_alu instid0(SALU_CYCLE_1)
	s_mov_b32 s11, exec_lo
	v_cmpx_gt_u32_e64 s10, v81
	s_cbranch_execnz .LBB1450_1010
.LBB1450_994:                           ;   in Loop: Header=BB1450_956 Depth=2
	s_or_b32 exec_lo, exec_lo, s11
	v_cmp_gt_u32_e32 vcc_lo, s10, v82
	s_and_saveexec_b32 s10, vcc_lo
	s_cbranch_execz .LBB1450_955
	s_branch .LBB1450_1011
.LBB1450_995:                           ;   in Loop: Header=BB1450_956 Depth=2
	v_cmp_lt_i32_e32 vcc_lo, -1, v41
	v_cndmask_b32_e64 v42, -1, 0x80000000, vcc_lo
	s_delay_alu instid0(VALU_DEP_1) | instskip(NEXT) | instid1(VALU_DEP_1)
	v_xor_b32_e32 v42, v42, v41
	v_cmp_ne_u32_e32 vcc_lo, 0x7fffffff, v42
	v_cndmask_b32_e32 v42, 0x80000000, v42, vcc_lo
	s_delay_alu instid0(VALU_DEP_1) | instskip(NEXT) | instid1(VALU_DEP_1)
	v_lshrrev_b32_e32 v42, s49, v42
	v_and_b32_e32 v42, s58, v42
	s_delay_alu instid0(VALU_DEP_1) | instskip(SKIP_2) | instid1(SALU_CYCLE_1)
	v_lshl_or_b32 v42, v42, 4, v84
	ds_add_u32 v42, v96
	s_or_b32 exec_lo, exec_lo, s11
	s_mov_b32 s11, exec_lo
	v_cmpx_gt_u32_e64 s10, v3
	s_cbranch_execz .LBB1450_980
.LBB1450_996:                           ;   in Loop: Header=BB1450_956 Depth=2
	v_cmp_lt_i32_e32 vcc_lo, -1, v40
	v_cndmask_b32_e64 v42, -1, 0x80000000, vcc_lo
	s_delay_alu instid0(VALU_DEP_1) | instskip(NEXT) | instid1(VALU_DEP_1)
	v_xor_b32_e32 v42, v42, v40
	v_cmp_ne_u32_e32 vcc_lo, 0x7fffffff, v42
	v_cndmask_b32_e32 v42, 0x80000000, v42, vcc_lo
	s_delay_alu instid0(VALU_DEP_1) | instskip(NEXT) | instid1(VALU_DEP_1)
	v_lshrrev_b32_e32 v42, s49, v42
	v_and_b32_e32 v42, s58, v42
	s_delay_alu instid0(VALU_DEP_1) | instskip(SKIP_2) | instid1(SALU_CYCLE_1)
	v_lshl_or_b32 v42, v42, 4, v84
	ds_add_u32 v42, v96
	s_or_b32 exec_lo, exec_lo, s11
	s_mov_b32 s11, exec_lo
	v_cmpx_gt_u32_e64 s10, v68
	s_cbranch_execz .LBB1450_981
.LBB1450_997:                           ;   in Loop: Header=BB1450_956 Depth=2
	v_cmp_lt_i32_e32 vcc_lo, -1, v39
	v_cndmask_b32_e64 v42, -1, 0x80000000, vcc_lo
	s_delay_alu instid0(VALU_DEP_1) | instskip(NEXT) | instid1(VALU_DEP_1)
	v_xor_b32_e32 v42, v42, v39
	v_cmp_ne_u32_e32 vcc_lo, 0x7fffffff, v42
	v_cndmask_b32_e32 v42, 0x80000000, v42, vcc_lo
	s_delay_alu instid0(VALU_DEP_1) | instskip(NEXT) | instid1(VALU_DEP_1)
	v_lshrrev_b32_e32 v42, s49, v42
	v_and_b32_e32 v42, s58, v42
	s_delay_alu instid0(VALU_DEP_1) | instskip(SKIP_2) | instid1(SALU_CYCLE_1)
	v_lshl_or_b32 v42, v42, 4, v84
	ds_add_u32 v42, v96
	s_or_b32 exec_lo, exec_lo, s11
	s_mov_b32 s11, exec_lo
	v_cmpx_gt_u32_e64 s10, v69
	s_cbranch_execz .LBB1450_982
.LBB1450_998:                           ;   in Loop: Header=BB1450_956 Depth=2
	v_cmp_lt_i32_e32 vcc_lo, -1, v38
	v_cndmask_b32_e64 v42, -1, 0x80000000, vcc_lo
	s_delay_alu instid0(VALU_DEP_1) | instskip(NEXT) | instid1(VALU_DEP_1)
	v_xor_b32_e32 v42, v42, v38
	v_cmp_ne_u32_e32 vcc_lo, 0x7fffffff, v42
	v_cndmask_b32_e32 v42, 0x80000000, v42, vcc_lo
	s_delay_alu instid0(VALU_DEP_1) | instskip(NEXT) | instid1(VALU_DEP_1)
	v_lshrrev_b32_e32 v42, s49, v42
	v_and_b32_e32 v42, s58, v42
	s_delay_alu instid0(VALU_DEP_1) | instskip(SKIP_2) | instid1(SALU_CYCLE_1)
	v_lshl_or_b32 v42, v42, 4, v84
	ds_add_u32 v42, v96
	s_or_b32 exec_lo, exec_lo, s11
	s_mov_b32 s11, exec_lo
	v_cmpx_gt_u32_e64 s10, v70
	s_cbranch_execz .LBB1450_983
.LBB1450_999:                           ;   in Loop: Header=BB1450_956 Depth=2
	v_cmp_lt_i32_e32 vcc_lo, -1, v37
	v_cndmask_b32_e64 v42, -1, 0x80000000, vcc_lo
	s_delay_alu instid0(VALU_DEP_1) | instskip(NEXT) | instid1(VALU_DEP_1)
	v_xor_b32_e32 v42, v42, v37
	v_cmp_ne_u32_e32 vcc_lo, 0x7fffffff, v42
	v_cndmask_b32_e32 v42, 0x80000000, v42, vcc_lo
	s_delay_alu instid0(VALU_DEP_1) | instskip(NEXT) | instid1(VALU_DEP_1)
	v_lshrrev_b32_e32 v42, s49, v42
	v_and_b32_e32 v42, s58, v42
	s_delay_alu instid0(VALU_DEP_1) | instskip(SKIP_2) | instid1(SALU_CYCLE_1)
	v_lshl_or_b32 v42, v42, 4, v84
	ds_add_u32 v42, v96
	s_or_b32 exec_lo, exec_lo, s11
	s_mov_b32 s11, exec_lo
	v_cmpx_gt_u32_e64 s10, v71
	s_cbranch_execz .LBB1450_984
.LBB1450_1000:                          ;   in Loop: Header=BB1450_956 Depth=2
	v_cmp_lt_i32_e32 vcc_lo, -1, v36
	v_cndmask_b32_e64 v42, -1, 0x80000000, vcc_lo
	s_delay_alu instid0(VALU_DEP_1) | instskip(NEXT) | instid1(VALU_DEP_1)
	v_xor_b32_e32 v42, v42, v36
	v_cmp_ne_u32_e32 vcc_lo, 0x7fffffff, v42
	v_cndmask_b32_e32 v42, 0x80000000, v42, vcc_lo
	s_delay_alu instid0(VALU_DEP_1) | instskip(NEXT) | instid1(VALU_DEP_1)
	v_lshrrev_b32_e32 v42, s49, v42
	v_and_b32_e32 v42, s58, v42
	s_delay_alu instid0(VALU_DEP_1) | instskip(SKIP_2) | instid1(SALU_CYCLE_1)
	v_lshl_or_b32 v42, v42, 4, v84
	ds_add_u32 v42, v96
	s_or_b32 exec_lo, exec_lo, s11
	s_mov_b32 s11, exec_lo
	v_cmpx_gt_u32_e64 s10, v72
	s_cbranch_execz .LBB1450_985
.LBB1450_1001:                          ;   in Loop: Header=BB1450_956 Depth=2
	v_cmp_lt_i32_e32 vcc_lo, -1, v35
	v_cndmask_b32_e64 v42, -1, 0x80000000, vcc_lo
	s_delay_alu instid0(VALU_DEP_1) | instskip(NEXT) | instid1(VALU_DEP_1)
	v_xor_b32_e32 v42, v42, v35
	v_cmp_ne_u32_e32 vcc_lo, 0x7fffffff, v42
	v_cndmask_b32_e32 v42, 0x80000000, v42, vcc_lo
	s_delay_alu instid0(VALU_DEP_1) | instskip(NEXT) | instid1(VALU_DEP_1)
	v_lshrrev_b32_e32 v42, s49, v42
	v_and_b32_e32 v42, s58, v42
	s_delay_alu instid0(VALU_DEP_1) | instskip(SKIP_2) | instid1(SALU_CYCLE_1)
	v_lshl_or_b32 v42, v42, 4, v84
	ds_add_u32 v42, v96
	s_or_b32 exec_lo, exec_lo, s11
	s_mov_b32 s11, exec_lo
	v_cmpx_gt_u32_e64 s10, v73
	s_cbranch_execz .LBB1450_986
.LBB1450_1002:                          ;   in Loop: Header=BB1450_956 Depth=2
	v_cmp_lt_i32_e32 vcc_lo, -1, v34
	v_cndmask_b32_e64 v42, -1, 0x80000000, vcc_lo
	s_delay_alu instid0(VALU_DEP_1) | instskip(NEXT) | instid1(VALU_DEP_1)
	v_xor_b32_e32 v42, v42, v34
	v_cmp_ne_u32_e32 vcc_lo, 0x7fffffff, v42
	v_cndmask_b32_e32 v42, 0x80000000, v42, vcc_lo
	s_delay_alu instid0(VALU_DEP_1) | instskip(NEXT) | instid1(VALU_DEP_1)
	v_lshrrev_b32_e32 v42, s49, v42
	v_and_b32_e32 v42, s58, v42
	s_delay_alu instid0(VALU_DEP_1) | instskip(SKIP_2) | instid1(SALU_CYCLE_1)
	v_lshl_or_b32 v42, v42, 4, v84
	ds_add_u32 v42, v96
	s_or_b32 exec_lo, exec_lo, s11
	s_mov_b32 s11, exec_lo
	v_cmpx_gt_u32_e64 s10, v74
	s_cbranch_execz .LBB1450_987
.LBB1450_1003:                          ;   in Loop: Header=BB1450_956 Depth=2
	v_cmp_lt_i32_e32 vcc_lo, -1, v33
	v_cndmask_b32_e64 v42, -1, 0x80000000, vcc_lo
	s_delay_alu instid0(VALU_DEP_1) | instskip(NEXT) | instid1(VALU_DEP_1)
	v_xor_b32_e32 v42, v42, v33
	v_cmp_ne_u32_e32 vcc_lo, 0x7fffffff, v42
	v_cndmask_b32_e32 v42, 0x80000000, v42, vcc_lo
	s_delay_alu instid0(VALU_DEP_1) | instskip(NEXT) | instid1(VALU_DEP_1)
	v_lshrrev_b32_e32 v42, s49, v42
	v_and_b32_e32 v42, s58, v42
	s_delay_alu instid0(VALU_DEP_1) | instskip(SKIP_2) | instid1(SALU_CYCLE_1)
	v_lshl_or_b32 v42, v42, 4, v84
	ds_add_u32 v42, v96
	s_or_b32 exec_lo, exec_lo, s11
	s_mov_b32 s11, exec_lo
	v_cmpx_gt_u32_e64 s10, v75
	s_cbranch_execz .LBB1450_988
.LBB1450_1004:                          ;   in Loop: Header=BB1450_956 Depth=2
	v_cmp_lt_i32_e32 vcc_lo, -1, v32
	v_cndmask_b32_e64 v42, -1, 0x80000000, vcc_lo
	s_delay_alu instid0(VALU_DEP_1) | instskip(NEXT) | instid1(VALU_DEP_1)
	v_xor_b32_e32 v42, v42, v32
	v_cmp_ne_u32_e32 vcc_lo, 0x7fffffff, v42
	v_cndmask_b32_e32 v42, 0x80000000, v42, vcc_lo
	s_delay_alu instid0(VALU_DEP_1) | instskip(NEXT) | instid1(VALU_DEP_1)
	v_lshrrev_b32_e32 v42, s49, v42
	v_and_b32_e32 v42, s58, v42
	s_delay_alu instid0(VALU_DEP_1) | instskip(SKIP_2) | instid1(SALU_CYCLE_1)
	v_lshl_or_b32 v42, v42, 4, v84
	ds_add_u32 v42, v96
	s_or_b32 exec_lo, exec_lo, s11
	s_mov_b32 s11, exec_lo
	v_cmpx_gt_u32_e64 s10, v76
	s_cbranch_execz .LBB1450_989
.LBB1450_1005:                          ;   in Loop: Header=BB1450_956 Depth=2
	v_cmp_lt_i32_e32 vcc_lo, -1, v31
	v_cndmask_b32_e64 v42, -1, 0x80000000, vcc_lo
	s_delay_alu instid0(VALU_DEP_1) | instskip(NEXT) | instid1(VALU_DEP_1)
	v_xor_b32_e32 v42, v42, v31
	v_cmp_ne_u32_e32 vcc_lo, 0x7fffffff, v42
	v_cndmask_b32_e32 v42, 0x80000000, v42, vcc_lo
	s_delay_alu instid0(VALU_DEP_1) | instskip(NEXT) | instid1(VALU_DEP_1)
	v_lshrrev_b32_e32 v42, s49, v42
	v_and_b32_e32 v42, s58, v42
	s_delay_alu instid0(VALU_DEP_1) | instskip(SKIP_2) | instid1(SALU_CYCLE_1)
	v_lshl_or_b32 v42, v42, 4, v84
	ds_add_u32 v42, v96
	s_or_b32 exec_lo, exec_lo, s11
	s_mov_b32 s11, exec_lo
	v_cmpx_gt_u32_e64 s10, v77
	s_cbranch_execz .LBB1450_990
.LBB1450_1006:                          ;   in Loop: Header=BB1450_956 Depth=2
	v_cmp_lt_i32_e32 vcc_lo, -1, v30
	v_cndmask_b32_e64 v42, -1, 0x80000000, vcc_lo
	s_delay_alu instid0(VALU_DEP_1) | instskip(NEXT) | instid1(VALU_DEP_1)
	v_xor_b32_e32 v42, v42, v30
	v_cmp_ne_u32_e32 vcc_lo, 0x7fffffff, v42
	v_cndmask_b32_e32 v42, 0x80000000, v42, vcc_lo
	s_delay_alu instid0(VALU_DEP_1) | instskip(NEXT) | instid1(VALU_DEP_1)
	v_lshrrev_b32_e32 v42, s49, v42
	v_and_b32_e32 v42, s58, v42
	s_delay_alu instid0(VALU_DEP_1) | instskip(SKIP_2) | instid1(SALU_CYCLE_1)
	v_lshl_or_b32 v42, v42, 4, v84
	ds_add_u32 v42, v96
	s_or_b32 exec_lo, exec_lo, s11
	s_mov_b32 s11, exec_lo
	v_cmpx_gt_u32_e64 s10, v78
	s_cbranch_execz .LBB1450_991
.LBB1450_1007:                          ;   in Loop: Header=BB1450_956 Depth=2
	v_cmp_lt_i32_e32 vcc_lo, -1, v29
	v_cndmask_b32_e64 v42, -1, 0x80000000, vcc_lo
	s_delay_alu instid0(VALU_DEP_1) | instskip(NEXT) | instid1(VALU_DEP_1)
	v_xor_b32_e32 v42, v42, v29
	v_cmp_ne_u32_e32 vcc_lo, 0x7fffffff, v42
	v_cndmask_b32_e32 v42, 0x80000000, v42, vcc_lo
	s_delay_alu instid0(VALU_DEP_1) | instskip(NEXT) | instid1(VALU_DEP_1)
	v_lshrrev_b32_e32 v42, s49, v42
	v_and_b32_e32 v42, s58, v42
	s_delay_alu instid0(VALU_DEP_1) | instskip(SKIP_2) | instid1(SALU_CYCLE_1)
	v_lshl_or_b32 v42, v42, 4, v84
	ds_add_u32 v42, v96
	s_or_b32 exec_lo, exec_lo, s11
	s_mov_b32 s11, exec_lo
	v_cmpx_gt_u32_e64 s10, v79
	s_cbranch_execz .LBB1450_992
.LBB1450_1008:                          ;   in Loop: Header=BB1450_956 Depth=2
	v_cmp_lt_i32_e32 vcc_lo, -1, v28
	v_cndmask_b32_e64 v42, -1, 0x80000000, vcc_lo
	s_delay_alu instid0(VALU_DEP_1) | instskip(NEXT) | instid1(VALU_DEP_1)
	v_xor_b32_e32 v42, v42, v28
	v_cmp_ne_u32_e32 vcc_lo, 0x7fffffff, v42
	v_cndmask_b32_e32 v42, 0x80000000, v42, vcc_lo
	s_delay_alu instid0(VALU_DEP_1) | instskip(NEXT) | instid1(VALU_DEP_1)
	v_lshrrev_b32_e32 v42, s49, v42
	v_and_b32_e32 v42, s58, v42
	s_delay_alu instid0(VALU_DEP_1) | instskip(SKIP_2) | instid1(SALU_CYCLE_1)
	v_lshl_or_b32 v42, v42, 4, v84
	ds_add_u32 v42, v96
	s_or_b32 exec_lo, exec_lo, s11
	s_mov_b32 s11, exec_lo
	v_cmpx_gt_u32_e64 s10, v80
	s_cbranch_execz .LBB1450_993
.LBB1450_1009:                          ;   in Loop: Header=BB1450_956 Depth=2
	v_cmp_lt_i32_e32 vcc_lo, -1, v27
	v_cndmask_b32_e64 v42, -1, 0x80000000, vcc_lo
	s_delay_alu instid0(VALU_DEP_1) | instskip(NEXT) | instid1(VALU_DEP_1)
	v_xor_b32_e32 v42, v42, v27
	v_cmp_ne_u32_e32 vcc_lo, 0x7fffffff, v42
	v_cndmask_b32_e32 v42, 0x80000000, v42, vcc_lo
	s_delay_alu instid0(VALU_DEP_1) | instskip(NEXT) | instid1(VALU_DEP_1)
	v_lshrrev_b32_e32 v42, s49, v42
	v_and_b32_e32 v42, s58, v42
	s_delay_alu instid0(VALU_DEP_1) | instskip(SKIP_2) | instid1(SALU_CYCLE_1)
	v_lshl_or_b32 v42, v42, 4, v84
	ds_add_u32 v42, v96
	s_or_b32 exec_lo, exec_lo, s11
	s_mov_b32 s11, exec_lo
	v_cmpx_gt_u32_e64 s10, v81
	s_cbranch_execz .LBB1450_994
.LBB1450_1010:                          ;   in Loop: Header=BB1450_956 Depth=2
	v_cmp_lt_i32_e32 vcc_lo, -1, v26
	v_cndmask_b32_e64 v42, -1, 0x80000000, vcc_lo
	s_delay_alu instid0(VALU_DEP_1) | instskip(NEXT) | instid1(VALU_DEP_1)
	v_xor_b32_e32 v42, v42, v26
	v_cmp_ne_u32_e32 vcc_lo, 0x7fffffff, v42
	v_cndmask_b32_e32 v42, 0x80000000, v42, vcc_lo
	s_delay_alu instid0(VALU_DEP_1) | instskip(NEXT) | instid1(VALU_DEP_1)
	v_lshrrev_b32_e32 v42, s49, v42
	v_and_b32_e32 v42, s58, v42
	s_delay_alu instid0(VALU_DEP_1)
	v_lshl_or_b32 v42, v42, 4, v84
	ds_add_u32 v42, v96
	s_or_b32 exec_lo, exec_lo, s11
	v_cmp_gt_u32_e32 vcc_lo, s10, v82
	s_and_saveexec_b32 s10, vcc_lo
	s_cbranch_execz .LBB1450_955
.LBB1450_1011:                          ;   in Loop: Header=BB1450_956 Depth=2
	v_cmp_lt_i32_e32 vcc_lo, -1, v25
	v_cndmask_b32_e64 v42, -1, 0x80000000, vcc_lo
	s_delay_alu instid0(VALU_DEP_1) | instskip(NEXT) | instid1(VALU_DEP_1)
	v_xor_b32_e32 v42, v42, v25
	v_cmp_ne_u32_e32 vcc_lo, 0x7fffffff, v42
	v_cndmask_b32_e32 v42, 0x80000000, v42, vcc_lo
	s_delay_alu instid0(VALU_DEP_1) | instskip(NEXT) | instid1(VALU_DEP_1)
	v_lshrrev_b32_e32 v42, s49, v42
	v_and_b32_e32 v42, s58, v42
	s_delay_alu instid0(VALU_DEP_1)
	v_lshl_or_b32 v42, v42, 4, v84
	ds_add_u32 v42, v96
	s_branch .LBB1450_955
.LBB1450_1012:                          ;   in Loop: Header=BB1450_956 Depth=2
	global_load_b32 v41, v2, s[10:11] scale_offset
	s_wait_xcnt 0x0
	s_or_b32 exec_lo, exec_lo, s13
	s_delay_alu instid0(SALU_CYCLE_1)
	s_mov_b32 s13, exec_lo
	v_cmpx_gt_u32_e64 s9, v3
	s_cbranch_execz .LBB1450_961
.LBB1450_1013:                          ;   in Loop: Header=BB1450_956 Depth=2
	global_load_b32 v40, v2, s[10:11] offset:1024 scale_offset
	s_wait_xcnt 0x0
	s_or_b32 exec_lo, exec_lo, s13
	s_delay_alu instid0(SALU_CYCLE_1)
	s_mov_b32 s13, exec_lo
	v_cmpx_gt_u32_e64 s9, v68
	s_cbranch_execz .LBB1450_962
.LBB1450_1014:                          ;   in Loop: Header=BB1450_956 Depth=2
	global_load_b32 v39, v2, s[10:11] offset:2048 scale_offset
	s_wait_xcnt 0x0
	s_or_b32 exec_lo, exec_lo, s13
	s_delay_alu instid0(SALU_CYCLE_1)
	s_mov_b32 s13, exec_lo
	v_cmpx_gt_u32_e64 s9, v69
	s_cbranch_execz .LBB1450_963
.LBB1450_1015:                          ;   in Loop: Header=BB1450_956 Depth=2
	global_load_b32 v38, v2, s[10:11] offset:3072 scale_offset
	s_wait_xcnt 0x0
	s_or_b32 exec_lo, exec_lo, s13
	s_delay_alu instid0(SALU_CYCLE_1)
	s_mov_b32 s13, exec_lo
	v_cmpx_gt_u32_e64 s9, v70
	s_cbranch_execz .LBB1450_964
.LBB1450_1016:                          ;   in Loop: Header=BB1450_956 Depth=2
	global_load_b32 v37, v2, s[10:11] offset:4096 scale_offset
	s_wait_xcnt 0x0
	s_or_b32 exec_lo, exec_lo, s13
	s_delay_alu instid0(SALU_CYCLE_1)
	s_mov_b32 s13, exec_lo
	v_cmpx_gt_u32_e64 s9, v71
	s_cbranch_execz .LBB1450_965
.LBB1450_1017:                          ;   in Loop: Header=BB1450_956 Depth=2
	global_load_b32 v36, v2, s[10:11] offset:5120 scale_offset
	s_wait_xcnt 0x0
	s_or_b32 exec_lo, exec_lo, s13
	s_delay_alu instid0(SALU_CYCLE_1)
	s_mov_b32 s13, exec_lo
	v_cmpx_gt_u32_e64 s9, v72
	s_cbranch_execz .LBB1450_966
.LBB1450_1018:                          ;   in Loop: Header=BB1450_956 Depth=2
	global_load_b32 v35, v2, s[10:11] offset:6144 scale_offset
	s_wait_xcnt 0x0
	s_or_b32 exec_lo, exec_lo, s13
	s_delay_alu instid0(SALU_CYCLE_1)
	s_mov_b32 s13, exec_lo
	v_cmpx_gt_u32_e64 s9, v73
	s_cbranch_execz .LBB1450_967
.LBB1450_1019:                          ;   in Loop: Header=BB1450_956 Depth=2
	global_load_b32 v34, v2, s[10:11] offset:7168 scale_offset
	s_wait_xcnt 0x0
	s_or_b32 exec_lo, exec_lo, s13
	s_delay_alu instid0(SALU_CYCLE_1)
	s_mov_b32 s13, exec_lo
	v_cmpx_gt_u32_e64 s9, v74
	s_cbranch_execz .LBB1450_968
.LBB1450_1020:                          ;   in Loop: Header=BB1450_956 Depth=2
	global_load_b32 v33, v2, s[10:11] offset:8192 scale_offset
	s_wait_xcnt 0x0
	s_or_b32 exec_lo, exec_lo, s13
	s_delay_alu instid0(SALU_CYCLE_1)
	s_mov_b32 s13, exec_lo
	v_cmpx_gt_u32_e64 s9, v75
	s_cbranch_execz .LBB1450_969
.LBB1450_1021:                          ;   in Loop: Header=BB1450_956 Depth=2
	global_load_b32 v32, v2, s[10:11] offset:9216 scale_offset
	s_wait_xcnt 0x0
	s_or_b32 exec_lo, exec_lo, s13
	s_delay_alu instid0(SALU_CYCLE_1)
	s_mov_b32 s13, exec_lo
	v_cmpx_gt_u32_e64 s9, v76
	s_cbranch_execz .LBB1450_970
.LBB1450_1022:                          ;   in Loop: Header=BB1450_956 Depth=2
	global_load_b32 v31, v2, s[10:11] offset:10240 scale_offset
	s_wait_xcnt 0x0
	s_or_b32 exec_lo, exec_lo, s13
	s_delay_alu instid0(SALU_CYCLE_1)
	s_mov_b32 s13, exec_lo
	v_cmpx_gt_u32_e64 s9, v77
	s_cbranch_execz .LBB1450_971
.LBB1450_1023:                          ;   in Loop: Header=BB1450_956 Depth=2
	global_load_b32 v30, v2, s[10:11] offset:11264 scale_offset
	s_wait_xcnt 0x0
	s_or_b32 exec_lo, exec_lo, s13
	s_delay_alu instid0(SALU_CYCLE_1)
	s_mov_b32 s13, exec_lo
	v_cmpx_gt_u32_e64 s9, v78
	s_cbranch_execz .LBB1450_972
.LBB1450_1024:                          ;   in Loop: Header=BB1450_956 Depth=2
	global_load_b32 v29, v2, s[10:11] offset:12288 scale_offset
	s_wait_xcnt 0x0
	s_or_b32 exec_lo, exec_lo, s13
	s_delay_alu instid0(SALU_CYCLE_1)
	s_mov_b32 s13, exec_lo
	v_cmpx_gt_u32_e64 s9, v79
	s_cbranch_execz .LBB1450_973
.LBB1450_1025:                          ;   in Loop: Header=BB1450_956 Depth=2
	global_load_b32 v28, v2, s[10:11] offset:13312 scale_offset
	s_wait_xcnt 0x0
	s_or_b32 exec_lo, exec_lo, s13
	s_delay_alu instid0(SALU_CYCLE_1)
	s_mov_b32 s13, exec_lo
	v_cmpx_gt_u32_e64 s9, v80
	s_cbranch_execz .LBB1450_974
.LBB1450_1026:                          ;   in Loop: Header=BB1450_956 Depth=2
	global_load_b32 v27, v2, s[10:11] offset:14336 scale_offset
	s_wait_xcnt 0x0
	s_or_b32 exec_lo, exec_lo, s13
	s_delay_alu instid0(SALU_CYCLE_1)
	s_mov_b32 s13, exec_lo
	v_cmpx_gt_u32_e64 s9, v81
	s_cbranch_execz .LBB1450_975
.LBB1450_1027:                          ;   in Loop: Header=BB1450_956 Depth=2
	global_load_b32 v26, v2, s[10:11] offset:15360 scale_offset
	s_wait_xcnt 0x0
	s_or_b32 exec_lo, exec_lo, s13
	s_delay_alu instid0(SALU_CYCLE_1)
	s_mov_b32 s13, exec_lo
	v_cmpx_gt_u32_e64 s9, v82
	s_cbranch_execnz .LBB1450_976
	s_branch .LBB1450_977
.LBB1450_1028:                          ;   in Loop: Header=BB1450_20 Depth=1
	v_mov_b32_e32 v25, 0
	s_wait_dscnt 0x0
	s_barrier_signal -1
	s_barrier_wait -1
	s_and_saveexec_b32 s9, s0
	s_cbranch_execz .LBB1450_1030
; %bb.1029:                             ;   in Loop: Header=BB1450_20 Depth=1
	ds_load_2addr_b64 v[26:29], v85 offset1:1
	s_wait_dscnt 0x0
	v_add_nc_u32_e32 v25, v27, v26
	s_delay_alu instid0(VALU_DEP_1)
	v_add3_u32 v25, v25, v28, v29
.LBB1450_1030:                          ;   in Loop: Header=BB1450_20 Depth=1
	s_or_b32 exec_lo, exec_lo, s9
	s_delay_alu instid0(VALU_DEP_1)
	v_mov_b32_dpp v26, v25 row_shr:1 row_mask:0xf bank_mask:0xf
	v_cmp_eq_u32_e64 s9, 0, v97
	v_cmp_lt_u32_e64 s10, 1, v97
	v_cmp_lt_u32_e64 s11, 3, v97
	v_cmp_lt_u32_e64 s12, 7, v97
	v_cmp_eq_u32_e64 s13, 0, v99
	v_cndmask_b32_e64 v26, v26, 0, s9
	s_delay_alu instid0(VALU_DEP_1) | instskip(NEXT) | instid1(VALU_DEP_1)
	v_add_nc_u32_e32 v25, v26, v25
	v_mov_b32_dpp v26, v25 row_shr:2 row_mask:0xf bank_mask:0xf
	s_delay_alu instid0(VALU_DEP_1) | instskip(NEXT) | instid1(VALU_DEP_1)
	v_cndmask_b32_e64 v26, 0, v26, s10
	v_add_nc_u32_e32 v25, v25, v26
	s_delay_alu instid0(VALU_DEP_1) | instskip(NEXT) | instid1(VALU_DEP_1)
	v_mov_b32_dpp v26, v25 row_shr:4 row_mask:0xf bank_mask:0xf
	v_cndmask_b32_e64 v26, 0, v26, s11
	s_delay_alu instid0(VALU_DEP_1) | instskip(NEXT) | instid1(VALU_DEP_1)
	v_add_nc_u32_e32 v25, v25, v26
	v_mov_b32_dpp v26, v25 row_shr:8 row_mask:0xf bank_mask:0xf
	s_delay_alu instid0(VALU_DEP_1) | instskip(NEXT) | instid1(VALU_DEP_1)
	v_cndmask_b32_e64 v26, 0, v26, s12
	v_add_nc_u32_e32 v25, v25, v26
	ds_swizzle_b32 v26, v25 offset:swizzle(BROADCAST,32,15)
	s_wait_dscnt 0x0
	v_and_b32_e32 v26, v98, v26
	s_delay_alu instid0(VALU_DEP_1)
	v_add_nc_u32_e32 v25, v25, v26
	s_and_saveexec_b32 s14, s1
; %bb.1031:                             ;   in Loop: Header=BB1450_20 Depth=1
	ds_store_b32 v86, v25
; %bb.1032:                             ;   in Loop: Header=BB1450_20 Depth=1
	s_or_b32 exec_lo, exec_lo, s14
	s_wait_dscnt 0x0
	s_barrier_signal -1
	s_barrier_wait -1
	s_and_saveexec_b32 s14, s4
	s_cbranch_execz .LBB1450_1034
; %bb.1033:                             ;   in Loop: Header=BB1450_20 Depth=1
	ds_load_b32 v26, v87
	v_cmp_ne_u32_e32 vcc_lo, 0, v100
	s_wait_dscnt 0x0
	v_mov_b32_dpp v27, v26 row_shr:1 row_mask:0xf bank_mask:0xf
	s_delay_alu instid0(VALU_DEP_1) | instskip(SKIP_1) | instid1(VALU_DEP_2)
	v_cndmask_b32_e32 v27, 0, v27, vcc_lo
	v_cmp_lt_u32_e32 vcc_lo, 1, v100
	v_add_nc_u32_e32 v26, v27, v26
	s_delay_alu instid0(VALU_DEP_1) | instskip(NEXT) | instid1(VALU_DEP_1)
	v_mov_b32_dpp v27, v26 row_shr:2 row_mask:0xf bank_mask:0xf
	v_cndmask_b32_e32 v27, 0, v27, vcc_lo
	s_delay_alu instid0(VALU_DEP_1)
	v_add_nc_u32_e32 v26, v26, v27
	ds_store_b32 v87, v26
.LBB1450_1034:                          ;   in Loop: Header=BB1450_20 Depth=1
	s_or_b32 exec_lo, exec_lo, s14
	v_mov_b32_e32 v26, 0
	s_wait_dscnt 0x0
	s_barrier_signal -1
	s_barrier_wait -1
	s_and_saveexec_b32 s14, s5
; %bb.1035:                             ;   in Loop: Header=BB1450_20 Depth=1
	ds_load_b32 v26, v88
; %bb.1036:                             ;   in Loop: Header=BB1450_20 Depth=1
	s_or_b32 exec_lo, exec_lo, s14
	v_cmp_gt_i32_e32 vcc_lo, 0, v102
	s_wait_dscnt 0x0
	s_barrier_signal -1
	s_barrier_wait -1
	v_cndmask_b32_e32 v27, v102, v95, vcc_lo
	s_delay_alu instid0(VALU_DEP_1)
	v_dual_add_nc_u32 v25, v26, v25 :: v_dual_lshlrev_b32 v119, 2, v27
	ds_bpermute_b32 v25, v119, v25
	s_and_saveexec_b32 s14, s0
	s_cbranch_execz .LBB1450_1038
; %bb.1037:                             ;   in Loop: Header=BB1450_20 Depth=1
	s_wait_dscnt 0x0
	v_cndmask_b32_e64 v25, v25, v26, s8
	s_delay_alu instid0(VALU_DEP_1)
	v_add_nc_u32_e32 v25, s55, v25
	ds_store_b32 v4, v25
.LBB1450_1038:                          ;   in Loop: Header=BB1450_20 Depth=1
	s_or_b32 exec_lo, exec_lo, s14
	s_load_b64 s[14:15], s[52:53], 0x0
	s_mov_b32 s59, s57
                                        ; implicit-def: $vgpr32_vgpr33
                                        ; implicit-def: $vgpr34_vgpr35
                                        ; implicit-def: $vgpr36_vgpr37
                                        ; implicit-def: $vgpr38_vgpr39
                                        ; implicit-def: $vgpr40_vgpr41
                                        ; implicit-def: $vgpr42_vgpr43
                                        ; implicit-def: $vgpr44_vgpr45
                                        ; implicit-def: $vgpr46_vgpr47
                                        ; implicit-def: $vgpr48_vgpr49
                                        ; implicit-def: $vgpr50_vgpr51
                                        ; implicit-def: $vgpr52_vgpr53
                                        ; implicit-def: $vgpr54_vgpr55
                                        ; implicit-def: $vgpr56_vgpr57
                                        ; implicit-def: $vgpr58_vgpr59
                                        ; implicit-def: $vgpr60_vgpr61
                                        ; implicit-def: $vgpr62_vgpr63
                                        ; implicit-def: $vgpr120
                                        ; implicit-def: $vgpr121
                                        ; implicit-def: $vgpr122
                                        ; implicit-def: $vgpr123
                                        ; implicit-def: $vgpr124
                                        ; implicit-def: $vgpr125
                                        ; implicit-def: $vgpr126
                                        ; implicit-def: $vgpr127
                                        ; implicit-def: $vgpr128
                                        ; implicit-def: $vgpr129
                                        ; implicit-def: $vgpr130
                                        ; implicit-def: $vgpr131
                                        ; implicit-def: $vgpr132
                                        ; implicit-def: $vgpr134
                                        ; implicit-def: $vgpr135
                                        ; implicit-def: $vgpr136
                                        ; implicit-def: $vgpr137
                                        ; implicit-def: $vgpr133
                                        ; implicit-def: $vgpr138
	s_wait_kmcnt 0x0
	s_cmp_lt_u32 s51, s14
	s_cselect_b32 s42, 12, 18
	s_cmp_lt_u32 s35, s15
	s_mov_b32 s15, s43
	s_cselect_b32 s14, 14, 20
	s_delay_alu instid0(SALU_CYCLE_1)
	s_add_nc_u64 s[14:15], s[52:53], s[14:15]
	s_load_u16 s16, s[14:15], 0x0
	s_wait_xcnt 0x0
	s_add_nc_u64 s[14:15], s[52:53], s[42:43]
	s_mov_b32 s42, s55
	s_load_u16 s14, s[14:15], 0x0
	s_wait_xcnt 0x0
	v_cmp_lt_u32_e64 s15, 1, v103
	s_wait_dscnt 0x0
	s_wait_kmcnt 0x0
	v_mad_u32_u24 v25, v89, s16, v91
	v_cmp_lt_u32_e64 s16, 3, v103
	s_delay_alu instid0(VALU_DEP_2) | instskip(SKIP_2) | instid1(VALU_DEP_3)
	v_mad_u32 v26, v25, s14, v2
	v_mov_b32_e32 v25, v1
	v_cmp_eq_u32_e64 s14, 0, v103
	v_lshrrev_b32_e32 v30, 3, v26
	v_add_nc_u64_e32 v[26:27], v[14:15], v[0:1]
	s_delay_alu instid0(VALU_DEP_4) | instskip(NEXT) | instid1(VALU_DEP_3)
	v_add_nc_u64_e32 v[28:29], v[16:17], v[24:25]
	v_and_b32_e32 v25, 0x1ffffffc, v30
                                        ; implicit-def: $vgpr30_vgpr31
	s_branch .LBB1450_1040
.LBB1450_1039:                          ;   in Loop: Header=BB1450_1040 Depth=2
	s_or_b32 exec_lo, exec_lo, s17
	s_addk_co_i32 s59, 0xef00
	s_cmp_lt_u32 s60, s54
	s_mov_b32 s42, s60
	s_cbranch_scc0 .LBB1450_18
.LBB1450_1040:                          ;   Parent Loop BB1450_20 Depth=1
                                        ; =>  This Inner Loop Header: Depth=2
	s_add_co_i32 s60, s42, 0x1100
	s_delay_alu instid0(SALU_CYCLE_1)
	s_cmp_gt_u32 s60, s54
	s_cbranch_scc1 .LBB1450_1042
; %bb.1041:                             ;   in Loop: Header=BB1450_1040 Depth=2
	s_delay_alu instid0(VALU_DEP_2)
	v_lshl_add_u64 v[64:65], s[42:43], 2, v[28:29]
	s_mov_b32 s17, -1
	s_clause 0xf
	global_load_b32 v140, v[64:65], off
	global_load_b32 v142, v[64:65], off offset:128
	global_load_b32 v144, v[64:65], off offset:256
	;; [unrolled: 1-line block ×15, first 2 shown]
	s_movk_i32 s18, 0x1100
	s_cbranch_execz .LBB1450_1043
	s_branch .LBB1450_1076
.LBB1450_1042:                          ;   in Loop: Header=BB1450_1040 Depth=2
	s_mov_b32 s17, 0
                                        ; implicit-def: $vgpr140
                                        ; implicit-def: $vgpr142
                                        ; implicit-def: $vgpr144
                                        ; implicit-def: $vgpr148
                                        ; implicit-def: $vgpr153
                                        ; implicit-def: $vgpr158
                                        ; implicit-def: $vgpr163
                                        ; implicit-def: $vgpr168
                                        ; implicit-def: $vgpr173
                                        ; implicit-def: $vgpr171
                                        ; implicit-def: $vgpr166
                                        ; implicit-def: $vgpr161
                                        ; implicit-def: $vgpr157
                                        ; implicit-def: $vgpr152
                                        ; implicit-def: $vgpr67
                                        ; implicit-def: $vgpr66
	s_movk_i32 s18, 0x1100
.LBB1450_1043:                          ;   in Loop: Header=BB1450_1040 Depth=2
	s_wait_xcnt 0x0
	v_lshl_add_u64 v[64:65], s[42:43], 2, v[28:29]
	s_wait_loadcnt 0xe
	v_bfrev_b32_e32 v142, -2
	v_bfrev_b32_e32 v140, -2
	s_mov_b32 s17, exec_lo
	v_cmpx_gt_u32_e64 s59, v101
	s_cbranch_execz .LBB1450_1045
; %bb.1044:                             ;   in Loop: Header=BB1450_1040 Depth=2
	global_load_b32 v140, v[64:65], off
.LBB1450_1045:                          ;   in Loop: Header=BB1450_1040 Depth=2
	s_wait_xcnt 0x0
	s_or_b32 exec_lo, exec_lo, s17
	s_delay_alu instid0(SALU_CYCLE_1)
	s_mov_b32 s17, exec_lo
	v_cmpx_gt_u32_e64 s59, v104
	s_cbranch_execz .LBB1450_1047
; %bb.1046:                             ;   in Loop: Header=BB1450_1040 Depth=2
	global_load_b32 v142, v[64:65], off offset:128
.LBB1450_1047:                          ;   in Loop: Header=BB1450_1040 Depth=2
	s_wait_xcnt 0x0
	s_or_b32 exec_lo, exec_lo, s17
	s_wait_loadcnt 0xc
	v_bfrev_b32_e32 v148, -2
	v_bfrev_b32_e32 v144, -2
	s_mov_b32 s17, exec_lo
	v_cmpx_gt_u32_e64 s59, v105
	s_cbranch_execz .LBB1450_1049
; %bb.1048:                             ;   in Loop: Header=BB1450_1040 Depth=2
	global_load_b32 v144, v[64:65], off offset:256
.LBB1450_1049:                          ;   in Loop: Header=BB1450_1040 Depth=2
	s_wait_xcnt 0x0
	s_or_b32 exec_lo, exec_lo, s17
	s_delay_alu instid0(SALU_CYCLE_1)
	s_mov_b32 s17, exec_lo
	v_cmpx_gt_u32_e64 s59, v106
	s_cbranch_execz .LBB1450_1051
; %bb.1050:                             ;   in Loop: Header=BB1450_1040 Depth=2
	global_load_b32 v148, v[64:65], off offset:384
.LBB1450_1051:                          ;   in Loop: Header=BB1450_1040 Depth=2
	s_wait_xcnt 0x0
	s_or_b32 exec_lo, exec_lo, s17
	s_wait_loadcnt 0xa
	v_bfrev_b32_e32 v158, -2
	v_bfrev_b32_e32 v153, -2
	s_mov_b32 s17, exec_lo
	v_cmpx_gt_u32_e64 s59, v107
	s_cbranch_execz .LBB1450_1053
; %bb.1052:                             ;   in Loop: Header=BB1450_1040 Depth=2
	global_load_b32 v153, v[64:65], off offset:512
.LBB1450_1053:                          ;   in Loop: Header=BB1450_1040 Depth=2
	;; [unrolled: 20-line block ×7, first 2 shown]
	s_wait_xcnt 0x0
	s_or_b32 exec_lo, exec_lo, s17
	s_delay_alu instid0(SALU_CYCLE_1)
	s_mov_b32 s17, exec_lo
	v_cmpx_gt_u32_e64 s59, v118
	s_cbranch_execz .LBB1450_1075
; %bb.1074:                             ;   in Loop: Header=BB1450_1040 Depth=2
	global_load_b32 v66, v[64:65], off offset:1920
.LBB1450_1075:                          ;   in Loop: Header=BB1450_1040 Depth=2
	s_wait_xcnt 0x0
	s_or_b32 exec_lo, exec_lo, s17
	v_cmp_gt_u32_e64 s17, s59, v5
	s_sub_co_i32 s18, s54, s42
.LBB1450_1076:                          ;   in Loop: Header=BB1450_1040 Depth=2
	s_wait_xcnt 0x0
	v_bfrev_b32_e32 v64, -2
	v_mov_b32_e32 v139, s59
	s_and_saveexec_b32 s19, s17
	s_cbranch_execz .LBB1450_1078
; %bb.1077:                             ;   in Loop: Header=BB1450_1040 Depth=2
	v_lshl_add_u64 v[64:65], s[42:43], 2, v[28:29]
	v_mov_b32_e32 v139, s18
	global_load_b32 v64, v[64:65], off offset:2048
.LBB1450_1078:                          ;   in Loop: Header=BB1450_1040 Depth=2
	s_wait_xcnt 0x0
	s_or_b32 exec_lo, exec_lo, s19
	s_wait_loadcnt 0xf
	v_cmp_lt_i32_e32 vcc_lo, -1, v140
	ds_store_2addr_b32 v90, v1, v1 offset0:136 offset1:137
	ds_store_2addr_b32 v90, v1, v1 offset0:138 offset1:139
	ds_store_b32 v90, v1 offset:560
	s_wait_loadcnt_dscnt 0x0
	s_barrier_signal -1
	s_barrier_wait -1
	v_cndmask_b32_e64 v65, -1, 0x80000000, vcc_lo
	; wave barrier
	s_delay_alu instid0(VALU_DEP_1) | instskip(NEXT) | instid1(VALU_DEP_1)
	v_xor_b32_e32 v140, v65, v140
	v_cmp_ne_u32_e32 vcc_lo, 0x7fffffff, v140
	v_cndmask_b32_e32 v65, 0x80000000, v140, vcc_lo
	s_delay_alu instid0(VALU_DEP_1) | instskip(NEXT) | instid1(VALU_DEP_1)
	v_lshrrev_b32_e32 v65, s49, v65
	v_bitop3_b32 v141, v65, 1, s58 bitop3:0x80
	v_and_b32_e32 v143, s58, v65
	s_delay_alu instid0(VALU_DEP_2) | instskip(NEXT) | instid1(VALU_DEP_1)
	v_add_co_u32 v65, s17, v141, -1
	v_cndmask_b32_e64 v141, 0, 1, s17
	s_delay_alu instid0(VALU_DEP_3) | instskip(SKIP_1) | instid1(VALU_DEP_3)
	v_dual_lshlrev_b32 v145, 30, v143 :: v_dual_lshlrev_b32 v147, 28, v143
	v_lshlrev_b32_e32 v146, 29, v143
	v_cmp_ne_u32_e32 vcc_lo, 0, v141
	s_delay_alu instid0(VALU_DEP_3) | instskip(SKIP_1) | instid1(VALU_DEP_4)
	v_cmp_gt_i32_e64 s17, 0, v145
	v_not_b32_e32 v141, v145
	v_cmp_gt_i32_e64 s18, 0, v146
	v_not_b32_e32 v145, v146
	v_not_b32_e32 v146, v147
	v_cmp_gt_i32_e64 s19, 0, v147
	v_ashrrev_i32_e32 v141, 31, v141
	v_bitop3_b32 v65, vcc_lo, exec_lo, v65 bitop3:0x48
	s_delay_alu instid0(VALU_DEP_4) | instskip(SKIP_2) | instid1(VALU_DEP_3)
	v_dual_ashrrev_i32 v146, 31, v146 :: v_dual_lshlrev_b32 v149, 27, v143
	v_dual_lshlrev_b32 v150, 26, v143 :: v_dual_lshlrev_b32 v151, 25, v143
	v_mul_u32_u24_e32 v143, 36, v143
	v_xor_b32_e32 v146, s19, v146
	s_delay_alu instid0(VALU_DEP_4)
	v_not_b32_e32 v147, v149
	v_ashrrev_i32_e32 v145, 31, v145
	v_cmp_gt_i32_e64 s20, 0, v149
	v_cmp_gt_i32_e64 s21, 0, v150
	v_not_b32_e32 v149, v150
	v_not_b32_e32 v150, v151
	v_dual_ashrrev_i32 v147, 31, v147 :: v_dual_bitop2_b32 v141, s17, v141 bitop3:0x14
	v_dual_add_nc_u32 v143, v25, v143 :: v_dual_bitop2_b32 v145, s18, v145 bitop3:0x14
	v_cmp_gt_i32_e64 s22, 0, v151
	s_delay_alu instid0(VALU_DEP_4) | instskip(NEXT) | instid1(VALU_DEP_4)
	v_dual_ashrrev_i32 v149, 31, v149 :: v_dual_ashrrev_i32 v150, 31, v150
	v_xor_b32_e32 v147, s20, v147
	s_delay_alu instid0(VALU_DEP_4) | instskip(NEXT) | instid1(VALU_DEP_3)
	v_bitop3_b32 v65, v65, v145, v141 bitop3:0x80
	v_xor_b32_e32 v141, s21, v149
	s_delay_alu instid0(VALU_DEP_4) | instskip(NEXT) | instid1(VALU_DEP_3)
	v_xor_b32_e32 v145, s22, v150
	v_bitop3_b32 v65, v65, v147, v146 bitop3:0x80
	s_delay_alu instid0(VALU_DEP_1) | instskip(NEXT) | instid1(VALU_DEP_1)
	v_bitop3_b32 v65, v65, v145, v141 bitop3:0x80
	v_mbcnt_lo_u32_b32 v141, v65, 0
	v_cmp_ne_u32_e64 s17, 0, v65
	s_delay_alu instid0(VALU_DEP_2) | instskip(SKIP_1) | instid1(SALU_CYCLE_1)
	v_cmp_eq_u32_e32 vcc_lo, 0, v141
	s_and_b32 s18, s17, vcc_lo
	s_and_saveexec_b32 s17, s18
; %bb.1079:                             ;   in Loop: Header=BB1450_1040 Depth=2
	v_bcnt_u32_b32 v65, v65, 0
	ds_store_b32 v143, v65 offset:544
; %bb.1080:                             ;   in Loop: Header=BB1450_1040 Depth=2
	s_or_b32 exec_lo, exec_lo, s17
	v_cmp_lt_i32_e32 vcc_lo, -1, v142
	; wave barrier
	v_cndmask_b32_e64 v65, -1, 0x80000000, vcc_lo
	s_delay_alu instid0(VALU_DEP_1) | instskip(NEXT) | instid1(VALU_DEP_1)
	v_xor_b32_e32 v142, v65, v142
	v_cmp_ne_u32_e32 vcc_lo, 0x7fffffff, v142
	v_cndmask_b32_e32 v65, 0x80000000, v142, vcc_lo
	s_delay_alu instid0(VALU_DEP_1) | instskip(NEXT) | instid1(VALU_DEP_1)
	v_lshrrev_b32_e32 v65, s49, v65
	v_bitop3_b32 v145, v65, 1, s58 bitop3:0x80
	v_and_b32_e32 v147, s58, v65
	s_delay_alu instid0(VALU_DEP_2) | instskip(NEXT) | instid1(VALU_DEP_1)
	v_add_co_u32 v65, s17, v145, -1
	v_cndmask_b32_e64 v145, 0, 1, s17
	s_delay_alu instid0(VALU_DEP_3) | instskip(NEXT) | instid1(VALU_DEP_2)
	v_dual_lshlrev_b32 v146, 30, v147 :: v_dual_lshlrev_b32 v149, 29, v147
	v_cmp_ne_u32_e32 vcc_lo, 0, v145
	s_delay_alu instid0(VALU_DEP_2) | instskip(SKIP_1) | instid1(VALU_DEP_4)
	v_cmp_gt_i32_e64 s17, 0, v146
	v_not_b32_e32 v145, v146
	v_not_b32_e32 v146, v149
	v_bitop3_b32 v65, vcc_lo, exec_lo, v65 bitop3:0x48
	s_delay_alu instid0(VALU_DEP_2) | instskip(SKIP_3) | instid1(VALU_DEP_3)
	v_dual_ashrrev_i32 v145, 31, v145 :: v_dual_ashrrev_i32 v146, 31, v146
	v_dual_lshlrev_b32 v150, 28, v147 :: v_dual_lshlrev_b32 v151, 27, v147
	v_dual_lshlrev_b32 v154, 26, v147 :: v_dual_lshlrev_b32 v155, 25, v147
	v_cmp_gt_i32_e64 s18, 0, v149
	v_cmp_gt_i32_e64 s19, 0, v150
	v_not_b32_e32 v149, v150
	v_not_b32_e32 v150, v151
	v_cmp_gt_i32_e64 s20, 0, v151
	v_cmp_gt_i32_e64 s21, 0, v154
	v_not_b32_e32 v151, v154
	v_not_b32_e32 v154, v155
	v_dual_ashrrev_i32 v149, 31, v149 :: v_dual_ashrrev_i32 v150, 31, v150
	s_delay_alu instid0(VALU_DEP_3) | instskip(SKIP_2) | instid1(VALU_DEP_4)
	v_dual_ashrrev_i32 v151, 31, v151 :: v_dual_bitop2_b32 v145, s17, v145 bitop3:0x14
	v_xor_b32_e32 v146, s18, v146
	v_cmp_gt_i32_e64 s22, 0, v155
	v_dual_ashrrev_i32 v154, 31, v154 :: v_dual_bitop2_b32 v149, s19, v149 bitop3:0x14
	v_xor_b32_e32 v150, s20, v150
	s_delay_alu instid0(VALU_DEP_4)
	v_bitop3_b32 v65, v65, v146, v145 bitop3:0x80
	v_mad_u32_u24 v145, v147, 36, v25
	v_xor_b32_e32 v146, s21, v151
	v_xor_b32_e32 v151, s22, v154
	v_mul_u32_u24_e32 v147, 36, v147
	v_bitop3_b32 v65, v65, v150, v149 bitop3:0x80
	ds_load_b32 v145, v145 offset:544
	; wave barrier
	v_add_nc_u32_e32 v147, v25, v147
	v_bitop3_b32 v65, v65, v151, v146 bitop3:0x80
	s_delay_alu instid0(VALU_DEP_1) | instskip(SKIP_1) | instid1(VALU_DEP_2)
	v_mbcnt_lo_u32_b32 v146, v65, 0
	v_cmp_ne_u32_e64 s17, 0, v65
	v_cmp_eq_u32_e32 vcc_lo, 0, v146
	s_and_b32 s18, s17, vcc_lo
	s_delay_alu instid0(SALU_CYCLE_1)
	s_and_saveexec_b32 s17, s18
	s_cbranch_execz .LBB1450_1082
; %bb.1081:                             ;   in Loop: Header=BB1450_1040 Depth=2
	s_wait_dscnt 0x0
	v_bcnt_u32_b32 v65, v65, v145
	ds_store_b32 v147, v65 offset:544
.LBB1450_1082:                          ;   in Loop: Header=BB1450_1040 Depth=2
	s_or_b32 exec_lo, exec_lo, s17
	v_cmp_lt_i32_e32 vcc_lo, -1, v144
	; wave barrier
	v_cndmask_b32_e64 v65, -1, 0x80000000, vcc_lo
	s_delay_alu instid0(VALU_DEP_1) | instskip(NEXT) | instid1(VALU_DEP_1)
	v_xor_b32_e32 v144, v65, v144
	v_cmp_ne_u32_e32 vcc_lo, 0x7fffffff, v144
	v_cndmask_b32_e32 v65, 0x80000000, v144, vcc_lo
	s_delay_alu instid0(VALU_DEP_1) | instskip(NEXT) | instid1(VALU_DEP_1)
	v_lshrrev_b32_e32 v65, s49, v65
	v_bitop3_b32 v149, v65, 1, s58 bitop3:0x80
	v_and_b32_e32 v151, s58, v65
	s_delay_alu instid0(VALU_DEP_2) | instskip(NEXT) | instid1(VALU_DEP_1)
	v_add_co_u32 v65, s17, v149, -1
	v_cndmask_b32_e64 v149, 0, 1, s17
	s_delay_alu instid0(VALU_DEP_3) | instskip(NEXT) | instid1(VALU_DEP_2)
	v_dual_lshlrev_b32 v150, 30, v151 :: v_dual_lshlrev_b32 v154, 29, v151
	v_cmp_ne_u32_e32 vcc_lo, 0, v149
	s_delay_alu instid0(VALU_DEP_2) | instskip(SKIP_1) | instid1(VALU_DEP_4)
	v_cmp_gt_i32_e64 s17, 0, v150
	v_not_b32_e32 v149, v150
	v_not_b32_e32 v150, v154
	v_bitop3_b32 v65, vcc_lo, exec_lo, v65 bitop3:0x48
	s_delay_alu instid0(VALU_DEP_2) | instskip(SKIP_3) | instid1(VALU_DEP_3)
	v_dual_ashrrev_i32 v149, 31, v149 :: v_dual_ashrrev_i32 v150, 31, v150
	v_dual_lshlrev_b32 v155, 28, v151 :: v_dual_lshlrev_b32 v156, 27, v151
	v_dual_lshlrev_b32 v159, 26, v151 :: v_dual_lshlrev_b32 v160, 25, v151
	v_cmp_gt_i32_e64 s18, 0, v154
	v_cmp_gt_i32_e64 s19, 0, v155
	v_not_b32_e32 v154, v155
	v_not_b32_e32 v155, v156
	v_cmp_gt_i32_e64 s20, 0, v156
	v_cmp_gt_i32_e64 s21, 0, v159
	v_not_b32_e32 v156, v159
	v_not_b32_e32 v159, v160
	v_dual_ashrrev_i32 v154, 31, v154 :: v_dual_ashrrev_i32 v155, 31, v155
	s_delay_alu instid0(VALU_DEP_3) | instskip(NEXT) | instid1(VALU_DEP_3)
	v_dual_ashrrev_i32 v156, 31, v156 :: v_dual_bitop2_b32 v149, s17, v149 bitop3:0x14
	v_dual_ashrrev_i32 v159, 31, v159 :: v_dual_bitop2_b32 v150, s18, v150 bitop3:0x14
	v_cmp_gt_i32_e64 s22, 0, v160
	s_delay_alu instid0(VALU_DEP_4) | instskip(NEXT) | instid1(VALU_DEP_3)
	v_xor_b32_e32 v155, s20, v155
	v_bitop3_b32 v65, v65, v150, v149 bitop3:0x80
	v_mad_u32_u24 v149, v151, 36, v25
	v_mul_u32_u24_e32 v151, 36, v151
	v_xor_b32_e32 v154, s19, v154
	v_xor_b32_e32 v150, s21, v156
	;; [unrolled: 1-line block ×3, first 2 shown]
	ds_load_b32 v149, v149 offset:544
	v_add_nc_u32_e32 v151, v25, v151
	v_bitop3_b32 v65, v65, v155, v154 bitop3:0x80
	; wave barrier
	s_delay_alu instid0(VALU_DEP_1) | instskip(NEXT) | instid1(VALU_DEP_1)
	v_bitop3_b32 v65, v65, v156, v150 bitop3:0x80
	v_mbcnt_lo_u32_b32 v150, v65, 0
	v_cmp_ne_u32_e64 s17, 0, v65
	s_delay_alu instid0(VALU_DEP_2) | instskip(SKIP_1) | instid1(SALU_CYCLE_1)
	v_cmp_eq_u32_e32 vcc_lo, 0, v150
	s_and_b32 s18, s17, vcc_lo
	s_and_saveexec_b32 s17, s18
	s_cbranch_execz .LBB1450_1084
; %bb.1083:                             ;   in Loop: Header=BB1450_1040 Depth=2
	s_wait_dscnt 0x0
	v_bcnt_u32_b32 v65, v65, v149
	ds_store_b32 v151, v65 offset:544
.LBB1450_1084:                          ;   in Loop: Header=BB1450_1040 Depth=2
	s_or_b32 exec_lo, exec_lo, s17
	v_cmp_lt_i32_e32 vcc_lo, -1, v148
	; wave barrier
	v_cndmask_b32_e64 v65, -1, 0x80000000, vcc_lo
	s_delay_alu instid0(VALU_DEP_1) | instskip(NEXT) | instid1(VALU_DEP_1)
	v_xor_b32_e32 v148, v65, v148
	v_cmp_ne_u32_e32 vcc_lo, 0x7fffffff, v148
	v_cndmask_b32_e32 v65, 0x80000000, v148, vcc_lo
	s_delay_alu instid0(VALU_DEP_1) | instskip(NEXT) | instid1(VALU_DEP_1)
	v_lshrrev_b32_e32 v65, s49, v65
	v_bitop3_b32 v154, v65, 1, s58 bitop3:0x80
	v_and_b32_e32 v156, s58, v65
	s_delay_alu instid0(VALU_DEP_2) | instskip(NEXT) | instid1(VALU_DEP_1)
	v_add_co_u32 v65, s17, v154, -1
	v_cndmask_b32_e64 v154, 0, 1, s17
	s_delay_alu instid0(VALU_DEP_3) | instskip(NEXT) | instid1(VALU_DEP_2)
	v_dual_lshlrev_b32 v155, 30, v156 :: v_dual_lshlrev_b32 v159, 29, v156
	v_cmp_ne_u32_e32 vcc_lo, 0, v154
	s_delay_alu instid0(VALU_DEP_2) | instskip(SKIP_1) | instid1(VALU_DEP_4)
	v_cmp_gt_i32_e64 s17, 0, v155
	v_not_b32_e32 v154, v155
	v_not_b32_e32 v155, v159
	v_cmp_gt_i32_e64 s18, 0, v159
	v_bitop3_b32 v65, vcc_lo, exec_lo, v65 bitop3:0x48
	s_delay_alu instid0(VALU_DEP_3) | instskip(SKIP_2) | instid1(VALU_DEP_2)
	v_dual_ashrrev_i32 v154, 31, v154 :: v_dual_ashrrev_i32 v155, 31, v155
	v_dual_lshlrev_b32 v160, 28, v156 :: v_dual_lshlrev_b32 v162, 27, v156
	v_dual_lshlrev_b32 v164, 26, v156 :: v_dual_lshlrev_b32 v165, 25, v156
	v_cmp_gt_i32_e64 s19, 0, v160
	v_not_b32_e32 v159, v160
	s_delay_alu instid0(VALU_DEP_4)
	v_not_b32_e32 v160, v162
	v_cmp_gt_i32_e64 s20, 0, v162
	v_cmp_gt_i32_e64 s21, 0, v164
	v_not_b32_e32 v162, v164
	v_not_b32_e32 v164, v165
	v_dual_ashrrev_i32 v159, 31, v159 :: v_dual_ashrrev_i32 v160, 31, v160
	v_xor_b32_e32 v154, s17, v154
	s_delay_alu instid0(VALU_DEP_4) | instskip(SKIP_3) | instid1(VALU_DEP_4)
	v_dual_ashrrev_i32 v162, 31, v162 :: v_dual_bitop2_b32 v155, s18, v155 bitop3:0x14
	v_cmp_gt_i32_e64 s22, 0, v165
	v_ashrrev_i32_e32 v164, 31, v164
	v_xor_b32_e32 v160, s20, v160
	v_bitop3_b32 v65, v65, v155, v154 bitop3:0x80
	v_mad_u32_u24 v154, v156, 36, v25
	v_mul_u32_u24_e32 v156, 36, v156
	v_xor_b32_e32 v159, s19, v159
	v_xor_b32_e32 v155, s21, v162
	;; [unrolled: 1-line block ×3, first 2 shown]
	ds_load_b32 v154, v154 offset:544
	v_add_nc_u32_e32 v156, v25, v156
	v_bitop3_b32 v65, v65, v160, v159 bitop3:0x80
	; wave barrier
	s_delay_alu instid0(VALU_DEP_1) | instskip(NEXT) | instid1(VALU_DEP_1)
	v_bitop3_b32 v65, v65, v162, v155 bitop3:0x80
	v_mbcnt_lo_u32_b32 v155, v65, 0
	v_cmp_ne_u32_e64 s17, 0, v65
	s_delay_alu instid0(VALU_DEP_2) | instskip(SKIP_1) | instid1(SALU_CYCLE_1)
	v_cmp_eq_u32_e32 vcc_lo, 0, v155
	s_and_b32 s18, s17, vcc_lo
	s_and_saveexec_b32 s17, s18
	s_cbranch_execz .LBB1450_1086
; %bb.1085:                             ;   in Loop: Header=BB1450_1040 Depth=2
	s_wait_dscnt 0x0
	v_bcnt_u32_b32 v65, v65, v154
	ds_store_b32 v156, v65 offset:544
.LBB1450_1086:                          ;   in Loop: Header=BB1450_1040 Depth=2
	s_or_b32 exec_lo, exec_lo, s17
	v_cmp_lt_i32_e32 vcc_lo, -1, v153
	; wave barrier
	v_cndmask_b32_e64 v65, -1, 0x80000000, vcc_lo
	s_delay_alu instid0(VALU_DEP_1) | instskip(NEXT) | instid1(VALU_DEP_1)
	v_xor_b32_e32 v153, v65, v153
	v_cmp_ne_u32_e32 vcc_lo, 0x7fffffff, v153
	v_cndmask_b32_e32 v65, 0x80000000, v153, vcc_lo
	s_delay_alu instid0(VALU_DEP_1) | instskip(NEXT) | instid1(VALU_DEP_1)
	v_lshrrev_b32_e32 v65, s49, v65
	v_and_b32_e32 v162, s58, v65
	s_delay_alu instid0(VALU_DEP_1) | instskip(SKIP_2) | instid1(VALU_DEP_3)
	v_lshlrev_b32_e32 v165, 28, v162
	v_bitop3_b32 v159, v65, 1, s58 bitop3:0x80
	v_lshlrev_b32_e32 v160, 30, v162
	v_cmp_gt_i32_e64 s19, 0, v165
	s_delay_alu instid0(VALU_DEP_3) | instskip(NEXT) | instid1(VALU_DEP_1)
	v_add_co_u32 v65, s17, v159, -1
	v_cndmask_b32_e64 v159, 0, 1, s17
	s_delay_alu instid0(VALU_DEP_4) | instskip(NEXT) | instid1(VALU_DEP_2)
	v_cmp_gt_i32_e64 s17, 0, v160
	v_cmp_ne_u32_e32 vcc_lo, 0, v159
	v_not_b32_e32 v159, v160
	v_bitop3_b32 v65, vcc_lo, exec_lo, v65 bitop3:0x48
	s_delay_alu instid0(VALU_DEP_2) | instskip(SKIP_1) | instid1(VALU_DEP_2)
	v_dual_ashrrev_i32 v159, 31, v159 :: v_dual_lshlrev_b32 v164, 29, v162
	v_dual_lshlrev_b32 v167, 27, v162 :: v_dual_lshlrev_b32 v169, 26, v162
	v_not_b32_e32 v160, v164
	v_lshlrev_b32_e32 v170, 25, v162
	v_cmp_gt_i32_e64 s18, 0, v164
	v_not_b32_e32 v164, v165
	v_not_b32_e32 v165, v167
	v_ashrrev_i32_e32 v160, 31, v160
	v_cmp_gt_i32_e64 s20, 0, v167
	v_cmp_gt_i32_e64 s21, 0, v169
	v_not_b32_e32 v167, v169
	v_not_b32_e32 v169, v170
	v_dual_ashrrev_i32 v164, 31, v164 :: v_dual_ashrrev_i32 v165, 31, v165
	v_xor_b32_e32 v159, s17, v159
	s_delay_alu instid0(VALU_DEP_4) | instskip(SKIP_3) | instid1(VALU_DEP_4)
	v_dual_ashrrev_i32 v167, 31, v167 :: v_dual_bitop2_b32 v160, s18, v160 bitop3:0x14
	v_cmp_gt_i32_e64 s22, 0, v170
	v_ashrrev_i32_e32 v169, 31, v169
	v_xor_b32_e32 v165, s20, v165
	v_bitop3_b32 v65, v65, v160, v159 bitop3:0x80
	v_mad_u32_u24 v159, v162, 36, v25
	v_mul_u32_u24_e32 v162, 36, v162
	v_xor_b32_e32 v164, s19, v164
	v_xor_b32_e32 v160, s21, v167
	;; [unrolled: 1-line block ×3, first 2 shown]
	ds_load_b32 v159, v159 offset:544
	v_add_nc_u32_e32 v162, v25, v162
	v_bitop3_b32 v65, v65, v165, v164 bitop3:0x80
	; wave barrier
	s_delay_alu instid0(VALU_DEP_1) | instskip(NEXT) | instid1(VALU_DEP_1)
	v_bitop3_b32 v65, v65, v167, v160 bitop3:0x80
	v_mbcnt_lo_u32_b32 v160, v65, 0
	v_cmp_ne_u32_e64 s17, 0, v65
	s_delay_alu instid0(VALU_DEP_2) | instskip(SKIP_1) | instid1(SALU_CYCLE_1)
	v_cmp_eq_u32_e32 vcc_lo, 0, v160
	s_and_b32 s18, s17, vcc_lo
	s_and_saveexec_b32 s17, s18
	s_cbranch_execz .LBB1450_1088
; %bb.1087:                             ;   in Loop: Header=BB1450_1040 Depth=2
	s_wait_dscnt 0x0
	v_bcnt_u32_b32 v65, v65, v159
	ds_store_b32 v162, v65 offset:544
.LBB1450_1088:                          ;   in Loop: Header=BB1450_1040 Depth=2
	s_or_b32 exec_lo, exec_lo, s17
	v_cmp_lt_i32_e32 vcc_lo, -1, v158
	; wave barrier
	v_cndmask_b32_e64 v65, -1, 0x80000000, vcc_lo
	s_delay_alu instid0(VALU_DEP_1) | instskip(NEXT) | instid1(VALU_DEP_1)
	v_xor_b32_e32 v158, v65, v158
	v_cmp_ne_u32_e32 vcc_lo, 0x7fffffff, v158
	v_cndmask_b32_e32 v65, 0x80000000, v158, vcc_lo
	s_delay_alu instid0(VALU_DEP_1) | instskip(NEXT) | instid1(VALU_DEP_1)
	v_lshrrev_b32_e32 v65, s49, v65
	v_bitop3_b32 v164, v65, 1, s58 bitop3:0x80
	v_and_b32_e32 v167, s58, v65
	s_delay_alu instid0(VALU_DEP_2) | instskip(NEXT) | instid1(VALU_DEP_1)
	v_add_co_u32 v65, s17, v164, -1
	v_cndmask_b32_e64 v164, 0, 1, s17
	s_delay_alu instid0(VALU_DEP_3) | instskip(NEXT) | instid1(VALU_DEP_2)
	v_lshlrev_b32_e32 v165, 30, v167
	v_cmp_ne_u32_e32 vcc_lo, 0, v164
	s_delay_alu instid0(VALU_DEP_2) | instskip(SKIP_1) | instid1(VALU_DEP_2)
	v_not_b32_e32 v164, v165
	v_bitop3_b32 v65, vcc_lo, exec_lo, v65 bitop3:0x48
	v_dual_ashrrev_i32 v164, 31, v164 :: v_dual_lshlrev_b32 v169, 29, v167
	v_dual_lshlrev_b32 v170, 28, v167 :: v_dual_lshlrev_b32 v172, 27, v167
	v_lshlrev_b32_e32 v174, 26, v167
	v_cmp_gt_i32_e64 s17, 0, v165
	s_delay_alu instid0(VALU_DEP_4)
	v_not_b32_e32 v165, v169
	v_lshlrev_b32_e32 v175, 25, v167
	v_cmp_gt_i32_e64 s18, 0, v169
	v_cmp_gt_i32_e64 s19, 0, v170
	v_not_b32_e32 v169, v170
	v_not_b32_e32 v170, v172
	v_ashrrev_i32_e32 v165, 31, v165
	v_cmp_gt_i32_e64 s20, 0, v172
	v_cmp_gt_i32_e64 s21, 0, v174
	v_not_b32_e32 v172, v174
	v_not_b32_e32 v174, v175
	v_dual_ashrrev_i32 v169, 31, v169 :: v_dual_ashrrev_i32 v170, 31, v170
	v_xor_b32_e32 v164, s17, v164
	s_delay_alu instid0(VALU_DEP_4) | instskip(SKIP_3) | instid1(VALU_DEP_4)
	v_dual_ashrrev_i32 v172, 31, v172 :: v_dual_bitop2_b32 v165, s18, v165 bitop3:0x14
	v_cmp_gt_i32_e64 s22, 0, v175
	v_ashrrev_i32_e32 v174, 31, v174
	v_xor_b32_e32 v170, s20, v170
	v_bitop3_b32 v65, v65, v165, v164 bitop3:0x80
	v_mad_u32_u24 v164, v167, 36, v25
	v_mul_u32_u24_e32 v167, 36, v167
	v_xor_b32_e32 v169, s19, v169
	v_xor_b32_e32 v165, s21, v172
	;; [unrolled: 1-line block ×3, first 2 shown]
	ds_load_b32 v164, v164 offset:544
	v_add_nc_u32_e32 v167, v25, v167
	v_bitop3_b32 v65, v65, v170, v169 bitop3:0x80
	; wave barrier
	s_delay_alu instid0(VALU_DEP_1) | instskip(NEXT) | instid1(VALU_DEP_1)
	v_bitop3_b32 v65, v65, v172, v165 bitop3:0x80
	v_mbcnt_lo_u32_b32 v165, v65, 0
	v_cmp_ne_u32_e64 s17, 0, v65
	s_delay_alu instid0(VALU_DEP_2) | instskip(SKIP_1) | instid1(SALU_CYCLE_1)
	v_cmp_eq_u32_e32 vcc_lo, 0, v165
	s_and_b32 s18, s17, vcc_lo
	s_and_saveexec_b32 s17, s18
	s_cbranch_execz .LBB1450_1090
; %bb.1089:                             ;   in Loop: Header=BB1450_1040 Depth=2
	s_wait_dscnt 0x0
	v_bcnt_u32_b32 v65, v65, v164
	ds_store_b32 v167, v65 offset:544
.LBB1450_1090:                          ;   in Loop: Header=BB1450_1040 Depth=2
	s_or_b32 exec_lo, exec_lo, s17
	v_cmp_lt_i32_e32 vcc_lo, -1, v163
	; wave barrier
	v_cndmask_b32_e64 v65, -1, 0x80000000, vcc_lo
	s_delay_alu instid0(VALU_DEP_1) | instskip(NEXT) | instid1(VALU_DEP_1)
	v_xor_b32_e32 v163, v65, v163
	v_cmp_ne_u32_e32 vcc_lo, 0x7fffffff, v163
	v_cndmask_b32_e32 v65, 0x80000000, v163, vcc_lo
	s_delay_alu instid0(VALU_DEP_1) | instskip(NEXT) | instid1(VALU_DEP_1)
	v_lshrrev_b32_e32 v65, s49, v65
	v_bitop3_b32 v169, v65, 1, s58 bitop3:0x80
	v_and_b32_e32 v172, s58, v65
	s_delay_alu instid0(VALU_DEP_2) | instskip(NEXT) | instid1(VALU_DEP_1)
	v_add_co_u32 v65, s17, v169, -1
	v_cndmask_b32_e64 v169, 0, 1, s17
	s_delay_alu instid0(VALU_DEP_3) | instskip(NEXT) | instid1(VALU_DEP_2)
	v_dual_lshlrev_b32 v170, 30, v172 :: v_dual_lshlrev_b32 v174, 29, v172
	v_cmp_ne_u32_e32 vcc_lo, 0, v169
	s_delay_alu instid0(VALU_DEP_2) | instskip(SKIP_1) | instid1(VALU_DEP_4)
	v_cmp_gt_i32_e64 s17, 0, v170
	v_not_b32_e32 v169, v170
	v_not_b32_e32 v170, v174
	v_bitop3_b32 v65, vcc_lo, exec_lo, v65 bitop3:0x48
	s_delay_alu instid0(VALU_DEP_2) | instskip(SKIP_3) | instid1(VALU_DEP_3)
	v_dual_ashrrev_i32 v169, 31, v169 :: v_dual_ashrrev_i32 v170, 31, v170
	v_dual_lshlrev_b32 v175, 28, v172 :: v_dual_lshlrev_b32 v176, 27, v172
	v_dual_lshlrev_b32 v177, 26, v172 :: v_dual_lshlrev_b32 v178, 25, v172
	v_cmp_gt_i32_e64 s18, 0, v174
	v_cmp_gt_i32_e64 s19, 0, v175
	v_not_b32_e32 v174, v175
	v_not_b32_e32 v175, v176
	v_cmp_gt_i32_e64 s20, 0, v176
	v_cmp_gt_i32_e64 s21, 0, v177
	v_not_b32_e32 v176, v177
	v_not_b32_e32 v177, v178
	v_dual_ashrrev_i32 v174, 31, v174 :: v_dual_ashrrev_i32 v175, 31, v175
	s_delay_alu instid0(VALU_DEP_3) | instskip(NEXT) | instid1(VALU_DEP_3)
	v_dual_ashrrev_i32 v176, 31, v176 :: v_dual_bitop2_b32 v169, s17, v169 bitop3:0x14
	v_dual_ashrrev_i32 v177, 31, v177 :: v_dual_bitop2_b32 v170, s18, v170 bitop3:0x14
	v_cmp_gt_i32_e64 s22, 0, v178
	s_delay_alu instid0(VALU_DEP_4) | instskip(NEXT) | instid1(VALU_DEP_3)
	v_xor_b32_e32 v175, s20, v175
	v_bitop3_b32 v65, v65, v170, v169 bitop3:0x80
	v_mad_u32_u24 v169, v172, 36, v25
	v_mul_u32_u24_e32 v172, 36, v172
	v_xor_b32_e32 v174, s19, v174
	v_xor_b32_e32 v170, s21, v176
	;; [unrolled: 1-line block ×3, first 2 shown]
	ds_load_b32 v169, v169 offset:544
	v_add_nc_u32_e32 v172, v25, v172
	v_bitop3_b32 v65, v65, v175, v174 bitop3:0x80
	; wave barrier
	s_delay_alu instid0(VALU_DEP_1) | instskip(NEXT) | instid1(VALU_DEP_1)
	v_bitop3_b32 v65, v65, v176, v170 bitop3:0x80
	v_mbcnt_lo_u32_b32 v170, v65, 0
	v_cmp_ne_u32_e64 s17, 0, v65
	s_delay_alu instid0(VALU_DEP_2) | instskip(SKIP_1) | instid1(SALU_CYCLE_1)
	v_cmp_eq_u32_e32 vcc_lo, 0, v170
	s_and_b32 s18, s17, vcc_lo
	s_and_saveexec_b32 s17, s18
	s_cbranch_execz .LBB1450_1092
; %bb.1091:                             ;   in Loop: Header=BB1450_1040 Depth=2
	s_wait_dscnt 0x0
	v_bcnt_u32_b32 v65, v65, v169
	ds_store_b32 v172, v65 offset:544
.LBB1450_1092:                          ;   in Loop: Header=BB1450_1040 Depth=2
	s_or_b32 exec_lo, exec_lo, s17
	v_cmp_lt_i32_e32 vcc_lo, -1, v168
	; wave barrier
	v_cndmask_b32_e64 v65, -1, 0x80000000, vcc_lo
	s_delay_alu instid0(VALU_DEP_1) | instskip(NEXT) | instid1(VALU_DEP_1)
	v_xor_b32_e32 v168, v65, v168
	v_cmp_ne_u32_e32 vcc_lo, 0x7fffffff, v168
	v_cndmask_b32_e32 v65, 0x80000000, v168, vcc_lo
	s_delay_alu instid0(VALU_DEP_1) | instskip(NEXT) | instid1(VALU_DEP_1)
	v_lshrrev_b32_e32 v65, s49, v65
	v_bitop3_b32 v174, v65, 1, s58 bitop3:0x80
	v_and_b32_e32 v176, s58, v65
	s_delay_alu instid0(VALU_DEP_2) | instskip(NEXT) | instid1(VALU_DEP_1)
	v_add_co_u32 v65, s17, v174, -1
	v_cndmask_b32_e64 v174, 0, 1, s17
	s_delay_alu instid0(VALU_DEP_3) | instskip(NEXT) | instid1(VALU_DEP_2)
	v_dual_lshlrev_b32 v175, 30, v176 :: v_dual_lshlrev_b32 v177, 29, v176
	v_cmp_ne_u32_e32 vcc_lo, 0, v174
	s_delay_alu instid0(VALU_DEP_2) | instskip(SKIP_1) | instid1(VALU_DEP_4)
	v_cmp_gt_i32_e64 s17, 0, v175
	v_not_b32_e32 v174, v175
	v_not_b32_e32 v175, v177
	v_cmp_gt_i32_e64 s18, 0, v177
	v_bitop3_b32 v65, vcc_lo, exec_lo, v65 bitop3:0x48
	s_delay_alu instid0(VALU_DEP_3) | instskip(SKIP_2) | instid1(VALU_DEP_2)
	v_dual_ashrrev_i32 v174, 31, v174 :: v_dual_ashrrev_i32 v175, 31, v175
	v_dual_lshlrev_b32 v178, 28, v176 :: v_dual_lshlrev_b32 v179, 27, v176
	v_dual_lshlrev_b32 v180, 26, v176 :: v_dual_lshlrev_b32 v181, 25, v176
	v_cmp_gt_i32_e64 s19, 0, v178
	v_not_b32_e32 v177, v178
	s_delay_alu instid0(VALU_DEP_4)
	v_not_b32_e32 v178, v179
	v_cmp_gt_i32_e64 s20, 0, v179
	v_cmp_gt_i32_e64 s21, 0, v180
	v_not_b32_e32 v179, v180
	v_not_b32_e32 v180, v181
	v_dual_ashrrev_i32 v177, 31, v177 :: v_dual_ashrrev_i32 v178, 31, v178
	s_delay_alu instid0(VALU_DEP_3) | instskip(NEXT) | instid1(VALU_DEP_3)
	v_dual_ashrrev_i32 v179, 31, v179 :: v_dual_bitop2_b32 v174, s17, v174 bitop3:0x14
	v_dual_ashrrev_i32 v180, 31, v180 :: v_dual_bitop2_b32 v175, s18, v175 bitop3:0x14
	v_cmp_gt_i32_e64 s22, 0, v181
	s_delay_alu instid0(VALU_DEP_4) | instskip(NEXT) | instid1(VALU_DEP_3)
	v_xor_b32_e32 v178, s20, v178
	v_bitop3_b32 v65, v65, v175, v174 bitop3:0x80
	v_mad_u32_u24 v174, v176, 36, v25
	v_mul_u32_u24_e32 v176, 36, v176
	v_xor_b32_e32 v177, s19, v177
	v_xor_b32_e32 v175, s21, v179
	;; [unrolled: 1-line block ×3, first 2 shown]
	ds_load_b32 v174, v174 offset:544
	v_add_nc_u32_e32 v176, v25, v176
	v_bitop3_b32 v65, v65, v178, v177 bitop3:0x80
	; wave barrier
	s_delay_alu instid0(VALU_DEP_1) | instskip(NEXT) | instid1(VALU_DEP_1)
	v_bitop3_b32 v65, v65, v179, v175 bitop3:0x80
	v_mbcnt_lo_u32_b32 v175, v65, 0
	v_cmp_ne_u32_e64 s17, 0, v65
	s_delay_alu instid0(VALU_DEP_2) | instskip(SKIP_1) | instid1(SALU_CYCLE_1)
	v_cmp_eq_u32_e32 vcc_lo, 0, v175
	s_and_b32 s18, s17, vcc_lo
	s_and_saveexec_b32 s17, s18
	s_cbranch_execz .LBB1450_1094
; %bb.1093:                             ;   in Loop: Header=BB1450_1040 Depth=2
	s_wait_dscnt 0x0
	v_bcnt_u32_b32 v65, v65, v174
	ds_store_b32 v176, v65 offset:544
.LBB1450_1094:                          ;   in Loop: Header=BB1450_1040 Depth=2
	s_or_b32 exec_lo, exec_lo, s17
	v_cmp_lt_i32_e32 vcc_lo, -1, v173
	; wave barrier
	v_cndmask_b32_e64 v65, -1, 0x80000000, vcc_lo
	s_delay_alu instid0(VALU_DEP_1) | instskip(NEXT) | instid1(VALU_DEP_1)
	v_xor_b32_e32 v173, v65, v173
	v_cmp_ne_u32_e32 vcc_lo, 0x7fffffff, v173
	v_cndmask_b32_e32 v65, 0x80000000, v173, vcc_lo
	s_delay_alu instid0(VALU_DEP_1) | instskip(NEXT) | instid1(VALU_DEP_1)
	v_lshrrev_b32_e32 v65, s49, v65
	v_and_b32_e32 v179, s58, v65
	s_delay_alu instid0(VALU_DEP_1) | instskip(SKIP_2) | instid1(VALU_DEP_3)
	v_lshlrev_b32_e32 v181, 28, v179
	v_bitop3_b32 v177, v65, 1, s58 bitop3:0x80
	v_dual_lshlrev_b32 v178, 30, v179 :: v_dual_lshlrev_b32 v180, 29, v179
	v_cmp_gt_i32_e64 s19, 0, v181
	s_delay_alu instid0(VALU_DEP_3) | instskip(NEXT) | instid1(VALU_DEP_1)
	v_add_co_u32 v65, s17, v177, -1
	v_cndmask_b32_e64 v177, 0, 1, s17
	s_delay_alu instid0(VALU_DEP_4) | instskip(SKIP_1) | instid1(VALU_DEP_3)
	v_cmp_gt_i32_e64 s17, 0, v178
	v_cmp_gt_i32_e64 s18, 0, v180
	v_cmp_ne_u32_e32 vcc_lo, 0, v177
	v_not_b32_e32 v177, v178
	v_not_b32_e32 v178, v180
	;; [unrolled: 1-line block ×3, first 2 shown]
	v_bitop3_b32 v65, vcc_lo, exec_lo, v65 bitop3:0x48
	s_delay_alu instid0(VALU_DEP_3) | instskip(SKIP_2) | instid1(VALU_DEP_2)
	v_dual_ashrrev_i32 v177, 31, v177 :: v_dual_ashrrev_i32 v178, 31, v178
	v_dual_lshlrev_b32 v182, 27, v179 :: v_dual_lshlrev_b32 v183, 26, v179
	v_lshlrev_b32_e32 v184, 25, v179
	v_not_b32_e32 v181, v182
	v_cmp_gt_i32_e64 s20, 0, v182
	s_delay_alu instid0(VALU_DEP_4) | instskip(SKIP_3) | instid1(VALU_DEP_3)
	v_cmp_gt_i32_e64 s21, 0, v183
	v_not_b32_e32 v182, v183
	v_not_b32_e32 v183, v184
	v_dual_ashrrev_i32 v180, 31, v180 :: v_dual_ashrrev_i32 v181, 31, v181
	v_dual_ashrrev_i32 v182, 31, v182 :: v_dual_bitop2_b32 v177, s17, v177 bitop3:0x14
	s_delay_alu instid0(VALU_DEP_3) | instskip(SKIP_1) | instid1(VALU_DEP_4)
	v_dual_ashrrev_i32 v183, 31, v183 :: v_dual_bitop2_b32 v178, s18, v178 bitop3:0x14
	v_cmp_gt_i32_e64 s22, 0, v184
	v_xor_b32_e32 v181, s20, v181
	s_delay_alu instid0(VALU_DEP_3)
	v_bitop3_b32 v65, v65, v178, v177 bitop3:0x80
	v_mad_u32_u24 v177, v179, 36, v25
	v_mul_u32_u24_e32 v179, 36, v179
	v_xor_b32_e32 v180, s19, v180
	v_xor_b32_e32 v178, s21, v182
	;; [unrolled: 1-line block ×3, first 2 shown]
	ds_load_b32 v177, v177 offset:544
	v_add_nc_u32_e32 v179, v25, v179
	v_bitop3_b32 v65, v65, v181, v180 bitop3:0x80
	; wave barrier
	s_delay_alu instid0(VALU_DEP_1) | instskip(NEXT) | instid1(VALU_DEP_1)
	v_bitop3_b32 v65, v65, v182, v178 bitop3:0x80
	v_mbcnt_lo_u32_b32 v178, v65, 0
	v_cmp_ne_u32_e64 s17, 0, v65
	s_delay_alu instid0(VALU_DEP_2) | instskip(SKIP_1) | instid1(SALU_CYCLE_1)
	v_cmp_eq_u32_e32 vcc_lo, 0, v178
	s_and_b32 s18, s17, vcc_lo
	s_and_saveexec_b32 s17, s18
	s_cbranch_execz .LBB1450_1096
; %bb.1095:                             ;   in Loop: Header=BB1450_1040 Depth=2
	s_wait_dscnt 0x0
	v_bcnt_u32_b32 v65, v65, v177
	ds_store_b32 v179, v65 offset:544
.LBB1450_1096:                          ;   in Loop: Header=BB1450_1040 Depth=2
	s_or_b32 exec_lo, exec_lo, s17
	v_cmp_lt_i32_e32 vcc_lo, -1, v171
	; wave barrier
	v_cndmask_b32_e64 v65, -1, 0x80000000, vcc_lo
	s_delay_alu instid0(VALU_DEP_1) | instskip(NEXT) | instid1(VALU_DEP_1)
	v_xor_b32_e32 v171, v65, v171
	v_cmp_ne_u32_e32 vcc_lo, 0x7fffffff, v171
	v_cndmask_b32_e32 v65, 0x80000000, v171, vcc_lo
	s_delay_alu instid0(VALU_DEP_1) | instskip(NEXT) | instid1(VALU_DEP_1)
	v_lshrrev_b32_e32 v65, s49, v65
	v_bitop3_b32 v180, v65, 1, s58 bitop3:0x80
	v_and_b32_e32 v182, s58, v65
	s_delay_alu instid0(VALU_DEP_2) | instskip(NEXT) | instid1(VALU_DEP_1)
	v_add_co_u32 v65, s17, v180, -1
	v_cndmask_b32_e64 v180, 0, 1, s17
	s_delay_alu instid0(VALU_DEP_3) | instskip(NEXT) | instid1(VALU_DEP_2)
	v_lshlrev_b32_e32 v181, 30, v182
	v_cmp_ne_u32_e32 vcc_lo, 0, v180
	s_delay_alu instid0(VALU_DEP_2) | instskip(SKIP_1) | instid1(VALU_DEP_2)
	v_not_b32_e32 v180, v181
	v_bitop3_b32 v65, vcc_lo, exec_lo, v65 bitop3:0x48
	v_dual_ashrrev_i32 v180, 31, v180 :: v_dual_lshlrev_b32 v183, 29, v182
	v_dual_lshlrev_b32 v184, 28, v182 :: v_dual_lshlrev_b32 v185, 27, v182
	v_lshlrev_b32_e32 v186, 26, v182
	v_cmp_gt_i32_e64 s17, 0, v181
	s_delay_alu instid0(VALU_DEP_4)
	v_not_b32_e32 v181, v183
	v_lshlrev_b32_e32 v187, 25, v182
	v_cmp_gt_i32_e64 s18, 0, v183
	v_cmp_gt_i32_e64 s19, 0, v184
	v_not_b32_e32 v183, v184
	v_not_b32_e32 v184, v185
	v_ashrrev_i32_e32 v181, 31, v181
	v_cmp_gt_i32_e64 s20, 0, v185
	v_cmp_gt_i32_e64 s21, 0, v186
	v_not_b32_e32 v185, v186
	v_not_b32_e32 v186, v187
	v_dual_ashrrev_i32 v183, 31, v183 :: v_dual_ashrrev_i32 v184, 31, v184
	s_delay_alu instid0(VALU_DEP_3) | instskip(NEXT) | instid1(VALU_DEP_3)
	v_dual_ashrrev_i32 v185, 31, v185 :: v_dual_bitop2_b32 v180, s17, v180 bitop3:0x14
	v_dual_ashrrev_i32 v186, 31, v186 :: v_dual_bitop2_b32 v181, s18, v181 bitop3:0x14
	v_cmp_gt_i32_e64 s22, 0, v187
	s_delay_alu instid0(VALU_DEP_4) | instskip(NEXT) | instid1(VALU_DEP_3)
	v_xor_b32_e32 v184, s20, v184
	v_bitop3_b32 v65, v65, v181, v180 bitop3:0x80
	v_mad_u32_u24 v180, v182, 36, v25
	v_mul_u32_u24_e32 v182, 36, v182
	v_xor_b32_e32 v183, s19, v183
	v_xor_b32_e32 v181, s21, v185
	v_xor_b32_e32 v185, s22, v186
	ds_load_b32 v180, v180 offset:544
	v_add_nc_u32_e32 v182, v25, v182
	v_bitop3_b32 v65, v65, v184, v183 bitop3:0x80
	; wave barrier
	s_delay_alu instid0(VALU_DEP_1) | instskip(NEXT) | instid1(VALU_DEP_1)
	v_bitop3_b32 v65, v65, v185, v181 bitop3:0x80
	v_mbcnt_lo_u32_b32 v181, v65, 0
	v_cmp_ne_u32_e64 s17, 0, v65
	s_delay_alu instid0(VALU_DEP_2) | instskip(SKIP_1) | instid1(SALU_CYCLE_1)
	v_cmp_eq_u32_e32 vcc_lo, 0, v181
	s_and_b32 s18, s17, vcc_lo
	s_and_saveexec_b32 s17, s18
	s_cbranch_execz .LBB1450_1098
; %bb.1097:                             ;   in Loop: Header=BB1450_1040 Depth=2
	s_wait_dscnt 0x0
	v_bcnt_u32_b32 v65, v65, v180
	ds_store_b32 v182, v65 offset:544
.LBB1450_1098:                          ;   in Loop: Header=BB1450_1040 Depth=2
	s_or_b32 exec_lo, exec_lo, s17
	v_cmp_lt_i32_e32 vcc_lo, -1, v166
	; wave barrier
	v_cndmask_b32_e64 v65, -1, 0x80000000, vcc_lo
	s_delay_alu instid0(VALU_DEP_1) | instskip(NEXT) | instid1(VALU_DEP_1)
	v_xor_b32_e32 v166, v65, v166
	v_cmp_ne_u32_e32 vcc_lo, 0x7fffffff, v166
	v_cndmask_b32_e32 v65, 0x80000000, v166, vcc_lo
	s_delay_alu instid0(VALU_DEP_1) | instskip(NEXT) | instid1(VALU_DEP_1)
	v_lshrrev_b32_e32 v65, s49, v65
	v_bitop3_b32 v183, v65, 1, s58 bitop3:0x80
	v_and_b32_e32 v186, s58, v65
	s_delay_alu instid0(VALU_DEP_2) | instskip(NEXT) | instid1(VALU_DEP_1)
	v_add_co_u32 v65, s17, v183, -1
	v_cndmask_b32_e64 v183, 0, 1, s17
	s_delay_alu instid0(VALU_DEP_3) | instskip(NEXT) | instid1(VALU_DEP_2)
	v_lshlrev_b32_e32 v184, 30, v186
	v_cmp_ne_u32_e32 vcc_lo, 0, v183
	s_delay_alu instid0(VALU_DEP_2) | instskip(SKIP_1) | instid1(VALU_DEP_2)
	v_not_b32_e32 v183, v184
	v_bitop3_b32 v65, vcc_lo, exec_lo, v65 bitop3:0x48
	v_dual_ashrrev_i32 v183, 31, v183 :: v_dual_lshlrev_b32 v185, 29, v186
	v_cmp_gt_i32_e64 s17, 0, v184
	v_dual_lshlrev_b32 v187, 28, v186 :: v_dual_lshlrev_b32 v188, 27, v186
	v_dual_lshlrev_b32 v189, 26, v186 :: v_dual_lshlrev_b32 v190, 25, v186
	s_delay_alu instid0(VALU_DEP_4) | instskip(SKIP_1) | instid1(VALU_DEP_4)
	v_not_b32_e32 v184, v185
	v_cmp_gt_i32_e64 s18, 0, v185
	v_cmp_gt_i32_e64 s19, 0, v187
	v_not_b32_e32 v185, v187
	v_cmp_gt_i32_e64 s20, 0, v188
	v_ashrrev_i32_e32 v184, 31, v184
	v_not_b32_e32 v187, v188
	v_cmp_gt_i32_e64 s21, 0, v189
	v_not_b32_e32 v188, v189
	v_not_b32_e32 v189, v190
	v_xor_b32_e32 v183, s17, v183
	v_dual_ashrrev_i32 v185, 31, v185 :: v_dual_bitop2_b32 v184, s18, v184 bitop3:0x14
	s_delay_alu instid0(VALU_DEP_4) | instskip(NEXT) | instid1(VALU_DEP_4)
	v_dual_ashrrev_i32 v187, 31, v187 :: v_dual_ashrrev_i32 v188, 31, v188
	v_ashrrev_i32_e32 v189, 31, v189
	s_delay_alu instid0(VALU_DEP_3)
	v_bitop3_b32 v65, v65, v184, v183 bitop3:0x80
	v_mad_u32_u24 v183, v186, 36, v25
	v_cmp_gt_i32_e64 s22, 0, v190
	v_xor_b32_e32 v187, s20, v187
	v_xor_b32_e32 v188, s21, v188
	ds_load_b32 v184, v183 offset:544
	v_mul_u32_u24_e32 v183, 36, v186
	v_xor_b32_e32 v185, s19, v185
	v_xor_b32_e32 v189, s22, v189
	; wave barrier
	s_delay_alu instid0(VALU_DEP_3) | instskip(NEXT) | instid1(VALU_DEP_3)
	v_add_nc_u32_e32 v186, v25, v183
	v_bitop3_b32 v65, v65, v187, v185 bitop3:0x80
	s_delay_alu instid0(VALU_DEP_1) | instskip(NEXT) | instid1(VALU_DEP_1)
	v_bitop3_b32 v65, v65, v189, v188 bitop3:0x80
	v_mbcnt_lo_u32_b32 v185, v65, 0
	v_cmp_ne_u32_e64 s17, 0, v65
	s_delay_alu instid0(VALU_DEP_2) | instskip(SKIP_1) | instid1(SALU_CYCLE_1)
	v_cmp_eq_u32_e32 vcc_lo, 0, v185
	s_and_b32 s18, s17, vcc_lo
	s_and_saveexec_b32 s17, s18
	s_cbranch_execz .LBB1450_1100
; %bb.1099:                             ;   in Loop: Header=BB1450_1040 Depth=2
	s_wait_dscnt 0x0
	v_bcnt_u32_b32 v65, v65, v184
	ds_store_b32 v186, v65 offset:544
.LBB1450_1100:                          ;   in Loop: Header=BB1450_1040 Depth=2
	s_or_b32 exec_lo, exec_lo, s17
	v_cmp_lt_i32_e32 vcc_lo, -1, v161
	; wave barrier
	v_cndmask_b32_e64 v65, -1, 0x80000000, vcc_lo
	s_delay_alu instid0(VALU_DEP_1) | instskip(NEXT) | instid1(VALU_DEP_1)
	v_xor_b32_e32 v183, v65, v161
	v_cmp_ne_u32_e32 vcc_lo, 0x7fffffff, v183
	v_cndmask_b32_e32 v65, 0x80000000, v183, vcc_lo
	s_delay_alu instid0(VALU_DEP_1) | instskip(NEXT) | instid1(VALU_DEP_1)
	v_lshrrev_b32_e32 v65, s49, v65
	v_and_b32_e32 v187, s58, v65
	s_delay_alu instid0(VALU_DEP_1) | instskip(NEXT) | instid1(VALU_DEP_1)
	v_lshlrev_b32_e32 v190, 27, v187
	v_cmp_gt_i32_e64 s19, 0, v190
	v_not_b32_e32 v190, v190
	s_delay_alu instid0(VALU_DEP_1) | instskip(SKIP_3) | instid1(VALU_DEP_3)
	v_dual_ashrrev_i32 v190, 31, v190 :: v_dual_lshlrev_b32 v188, 29, v187
	v_bitop3_b32 v161, v65, 1, s58 bitop3:0x80
	v_dual_lshlrev_b32 v189, 28, v187 :: v_dual_lshlrev_b32 v191, 26, v187
	v_lshlrev_b32_e32 v192, 25, v187
	v_add_co_u32 v65, s17, v161, -1
	v_lshlrev_b32_e32 v161, 30, v187
	v_cndmask_b32_e64 v193, 0, 1, s17
	v_cmp_gt_i32_e64 s17, 0, v188
	v_not_b32_e32 v188, v188
	v_cmp_gt_i32_e64 s18, 0, v189
	v_cmp_gt_i32_e32 vcc_lo, 0, v161
	v_not_b32_e32 v161, v161
	v_cmp_ne_u32_e64 s22, 0, v193
	v_ashrrev_i32_e32 v188, 31, v188
	v_not_b32_e32 v189, v189
	v_cmp_gt_i32_e64 s21, 0, v192
	v_ashrrev_i32_e32 v161, 31, v161
	v_not_b32_e32 v192, v192
	v_bitop3_b32 v65, s22, exec_lo, v65 bitop3:0x48
	v_xor_b32_e32 v188, s17, v188
	v_cmp_gt_i32_e64 s20, 0, v191
	s_delay_alu instid0(VALU_DEP_4) | instskip(SKIP_2) | instid1(VALU_DEP_3)
	v_dual_ashrrev_i32 v192, 31, v192 :: v_dual_bitop2_b32 v161, vcc_lo, v161 bitop3:0x14
	v_not_b32_e32 v191, v191
	v_ashrrev_i32_e32 v189, 31, v189
	v_bitop3_b32 v65, v65, v188, v161 bitop3:0x80
	v_mad_u32_u24 v161, v187, 36, v25
	s_delay_alu instid0(VALU_DEP_3)
	v_dual_ashrrev_i32 v191, 31, v191 :: v_dual_bitop2_b32 v189, s18, v189 bitop3:0x14
	v_xor_b32_e32 v192, s21, v192
	ds_load_b32 v188, v161 offset:544
	v_mul_u32_u24_e32 v161, 36, v187
	v_xor_b32_e32 v190, s19, v190
	v_xor_b32_e32 v191, s20, v191
	; wave barrier
	s_delay_alu instid0(VALU_DEP_3) | instskip(NEXT) | instid1(VALU_DEP_3)
	v_add_nc_u32_e32 v161, v25, v161
	v_bitop3_b32 v65, v65, v190, v189 bitop3:0x80
	s_delay_alu instid0(VALU_DEP_1) | instskip(NEXT) | instid1(VALU_DEP_1)
	v_bitop3_b32 v65, v65, v192, v191 bitop3:0x80
	v_mbcnt_lo_u32_b32 v189, v65, 0
	v_cmp_ne_u32_e64 s17, 0, v65
	s_delay_alu instid0(VALU_DEP_2) | instskip(SKIP_1) | instid1(SALU_CYCLE_1)
	v_cmp_eq_u32_e32 vcc_lo, 0, v189
	s_and_b32 s18, s17, vcc_lo
	s_and_saveexec_b32 s17, s18
	s_cbranch_execz .LBB1450_1102
; %bb.1101:                             ;   in Loop: Header=BB1450_1040 Depth=2
	s_wait_dscnt 0x0
	v_bcnt_u32_b32 v65, v65, v188
	ds_store_b32 v161, v65 offset:544
.LBB1450_1102:                          ;   in Loop: Header=BB1450_1040 Depth=2
	s_or_b32 exec_lo, exec_lo, s17
	v_cmp_lt_i32_e32 vcc_lo, -1, v157
	; wave barrier
	v_cndmask_b32_e64 v65, -1, 0x80000000, vcc_lo
	s_delay_alu instid0(VALU_DEP_1) | instskip(NEXT) | instid1(VALU_DEP_1)
	v_xor_b32_e32 v187, v65, v157
	v_cmp_ne_u32_e32 vcc_lo, 0x7fffffff, v187
	v_cndmask_b32_e32 v65, 0x80000000, v187, vcc_lo
	s_delay_alu instid0(VALU_DEP_1) | instskip(NEXT) | instid1(VALU_DEP_1)
	v_lshrrev_b32_e32 v65, s49, v65
	v_and_b32_e32 v190, s58, v65
	s_delay_alu instid0(VALU_DEP_1) | instskip(SKIP_2) | instid1(VALU_DEP_3)
	v_lshlrev_b32_e32 v193, 28, v190
	v_bitop3_b32 v157, v65, 1, s58 bitop3:0x80
	v_dual_lshlrev_b32 v191, 30, v190 :: v_dual_lshlrev_b32 v192, 29, v190
	v_cmp_gt_i32_e64 s19, 0, v193
	s_delay_alu instid0(VALU_DEP_3) | instskip(NEXT) | instid1(VALU_DEP_1)
	v_add_co_u32 v65, s17, v157, -1
	v_cndmask_b32_e64 v157, 0, 1, s17
	s_delay_alu instid0(VALU_DEP_4) | instskip(SKIP_1) | instid1(VALU_DEP_3)
	v_cmp_gt_i32_e64 s17, 0, v191
	v_cmp_gt_i32_e64 s18, 0, v192
	v_cmp_ne_u32_e32 vcc_lo, 0, v157
	v_not_b32_e32 v157, v191
	v_not_b32_e32 v191, v192
	;; [unrolled: 1-line block ×3, first 2 shown]
	v_bitop3_b32 v65, vcc_lo, exec_lo, v65 bitop3:0x48
	s_delay_alu instid0(VALU_DEP_3) | instskip(SKIP_1) | instid1(VALU_DEP_2)
	v_dual_ashrrev_i32 v157, 31, v157 :: v_dual_ashrrev_i32 v191, 31, v191
	v_dual_lshlrev_b32 v194, 27, v190 :: v_dual_lshlrev_b32 v195, 26, v190
	v_dual_lshlrev_b32 v196, 25, v190 :: v_dual_bitop2_b32 v191, s18, v191 bitop3:0x14
	s_delay_alu instid0(VALU_DEP_2) | instskip(SKIP_1) | instid1(VALU_DEP_4)
	v_not_b32_e32 v193, v194
	v_cmp_gt_i32_e64 s20, 0, v194
	v_cmp_gt_i32_e64 s21, 0, v195
	v_not_b32_e32 v194, v195
	v_not_b32_e32 v195, v196
	v_dual_ashrrev_i32 v192, 31, v192 :: v_dual_ashrrev_i32 v193, 31, v193
	s_delay_alu instid0(VALU_DEP_3) | instskip(SKIP_1) | instid1(VALU_DEP_3)
	v_dual_ashrrev_i32 v194, 31, v194 :: v_dual_bitop2_b32 v157, s17, v157 bitop3:0x14
	v_cmp_gt_i32_e64 s22, 0, v196
	v_dual_ashrrev_i32 v195, 31, v195 :: v_dual_bitop2_b32 v192, s19, v192 bitop3:0x14
	s_delay_alu instid0(VALU_DEP_4) | instskip(NEXT) | instid1(VALU_DEP_4)
	v_xor_b32_e32 v193, s20, v193
	v_bitop3_b32 v65, v65, v191, v157 bitop3:0x80
	v_mad_u32_u24 v157, v190, 36, v25
	v_xor_b32_e32 v194, s21, v194
	v_xor_b32_e32 v195, s22, v195
	s_delay_alu instid0(VALU_DEP_4) | instskip(SKIP_3) | instid1(VALU_DEP_2)
	v_bitop3_b32 v65, v65, v193, v192 bitop3:0x80
	ds_load_b32 v191, v157 offset:544
	v_mul_u32_u24_e32 v157, 36, v190
	; wave barrier
	v_bitop3_b32 v65, v65, v195, v194 bitop3:0x80
	v_add_nc_u32_e32 v157, v25, v157
	s_delay_alu instid0(VALU_DEP_2) | instskip(SKIP_1) | instid1(VALU_DEP_2)
	v_mbcnt_lo_u32_b32 v192, v65, 0
	v_cmp_ne_u32_e64 s17, 0, v65
	v_cmp_eq_u32_e32 vcc_lo, 0, v192
	s_and_b32 s18, s17, vcc_lo
	s_delay_alu instid0(SALU_CYCLE_1)
	s_and_saveexec_b32 s17, s18
	s_cbranch_execz .LBB1450_1104
; %bb.1103:                             ;   in Loop: Header=BB1450_1040 Depth=2
	s_wait_dscnt 0x0
	v_bcnt_u32_b32 v65, v65, v191
	ds_store_b32 v157, v65 offset:544
.LBB1450_1104:                          ;   in Loop: Header=BB1450_1040 Depth=2
	s_or_b32 exec_lo, exec_lo, s17
	v_cmp_lt_i32_e32 vcc_lo, -1, v152
	; wave barrier
	v_cndmask_b32_e64 v65, -1, 0x80000000, vcc_lo
	s_delay_alu instid0(VALU_DEP_1) | instskip(NEXT) | instid1(VALU_DEP_1)
	v_xor_b32_e32 v190, v65, v152
	v_cmp_ne_u32_e32 vcc_lo, 0x7fffffff, v190
	v_cndmask_b32_e32 v65, 0x80000000, v190, vcc_lo
	s_delay_alu instid0(VALU_DEP_1) | instskip(NEXT) | instid1(VALU_DEP_1)
	v_lshrrev_b32_e32 v65, s49, v65
	v_bitop3_b32 v152, v65, 1, s58 bitop3:0x80
	v_and_b32_e32 v193, s58, v65
	s_delay_alu instid0(VALU_DEP_2) | instskip(NEXT) | instid1(VALU_DEP_1)
	v_add_co_u32 v65, s17, v152, -1
	v_cndmask_b32_e64 v152, 0, 1, s17
	s_delay_alu instid0(VALU_DEP_3) | instskip(NEXT) | instid1(VALU_DEP_2)
	v_lshlrev_b32_e32 v194, 30, v193
	v_cmp_ne_u32_e32 vcc_lo, 0, v152
	s_delay_alu instid0(VALU_DEP_2) | instskip(SKIP_2) | instid1(VALU_DEP_3)
	v_not_b32_e32 v152, v194
	v_cmp_gt_i32_e64 s17, 0, v194
	v_bitop3_b32 v65, vcc_lo, exec_lo, v65 bitop3:0x48
	v_dual_ashrrev_i32 v152, 31, v152 :: v_dual_lshlrev_b32 v195, 29, v193
	v_dual_lshlrev_b32 v196, 28, v193 :: v_dual_lshlrev_b32 v197, 27, v193
	v_lshlrev_b32_e32 v198, 26, v193
	s_delay_alu instid0(VALU_DEP_3)
	v_not_b32_e32 v194, v195
	v_lshlrev_b32_e32 v199, 25, v193
	v_cmp_gt_i32_e64 s18, 0, v195
	v_cmp_gt_i32_e64 s19, 0, v196
	v_not_b32_e32 v195, v196
	v_not_b32_e32 v196, v197
	v_ashrrev_i32_e32 v194, 31, v194
	v_cmp_gt_i32_e64 s20, 0, v197
	v_cmp_gt_i32_e64 s21, 0, v198
	v_not_b32_e32 v197, v198
	v_not_b32_e32 v198, v199
	v_dual_ashrrev_i32 v195, 31, v195 :: v_dual_ashrrev_i32 v196, 31, v196
	s_delay_alu instid0(VALU_DEP_3) | instskip(SKIP_2) | instid1(VALU_DEP_4)
	v_dual_ashrrev_i32 v197, 31, v197 :: v_dual_bitop2_b32 v152, s17, v152 bitop3:0x14
	v_xor_b32_e32 v194, s18, v194
	v_cmp_gt_i32_e64 s22, 0, v199
	v_dual_ashrrev_i32 v198, 31, v198 :: v_dual_bitop2_b32 v195, s19, v195 bitop3:0x14
	v_xor_b32_e32 v196, s20, v196
	s_delay_alu instid0(VALU_DEP_4) | instskip(SKIP_3) | instid1(VALU_DEP_4)
	v_bitop3_b32 v65, v65, v194, v152 bitop3:0x80
	v_mad_u32_u24 v152, v193, 36, v25
	v_xor_b32_e32 v197, s21, v197
	v_xor_b32_e32 v198, s22, v198
	v_bitop3_b32 v65, v65, v196, v195 bitop3:0x80
	ds_load_b32 v194, v152 offset:544
	v_mul_u32_u24_e32 v152, 36, v193
	; wave barrier
	v_bitop3_b32 v65, v65, v198, v197 bitop3:0x80
	s_delay_alu instid0(VALU_DEP_2) | instskip(NEXT) | instid1(VALU_DEP_2)
	v_add_nc_u32_e32 v152, v25, v152
	v_mbcnt_lo_u32_b32 v195, v65, 0
	v_cmp_ne_u32_e64 s17, 0, v65
	s_delay_alu instid0(VALU_DEP_2) | instskip(SKIP_1) | instid1(SALU_CYCLE_1)
	v_cmp_eq_u32_e32 vcc_lo, 0, v195
	s_and_b32 s18, s17, vcc_lo
	s_and_saveexec_b32 s17, s18
	s_cbranch_execz .LBB1450_1106
; %bb.1105:                             ;   in Loop: Header=BB1450_1040 Depth=2
	s_wait_dscnt 0x0
	v_bcnt_u32_b32 v65, v65, v194
	ds_store_b32 v152, v65 offset:544
.LBB1450_1106:                          ;   in Loop: Header=BB1450_1040 Depth=2
	s_or_b32 exec_lo, exec_lo, s17
	v_cmp_lt_i32_e32 vcc_lo, -1, v67
	; wave barrier
	v_cndmask_b32_e64 v65, -1, 0x80000000, vcc_lo
	s_delay_alu instid0(VALU_DEP_1) | instskip(NEXT) | instid1(VALU_DEP_1)
	v_xor_b32_e32 v193, v65, v67
	v_cmp_ne_u32_e32 vcc_lo, 0x7fffffff, v193
	v_cndmask_b32_e32 v65, 0x80000000, v193, vcc_lo
	s_delay_alu instid0(VALU_DEP_1) | instskip(NEXT) | instid1(VALU_DEP_1)
	v_lshrrev_b32_e32 v65, s49, v65
	v_bitop3_b32 v67, v65, 1, s58 bitop3:0x80
	v_and_b32_e32 v196, s58, v65
	s_delay_alu instid0(VALU_DEP_2) | instskip(NEXT) | instid1(VALU_DEP_1)
	v_add_co_u32 v65, s17, v67, -1
	v_cndmask_b32_e64 v67, 0, 1, s17
	s_delay_alu instid0(VALU_DEP_3) | instskip(NEXT) | instid1(VALU_DEP_2)
	v_lshlrev_b32_e32 v197, 30, v196
	v_cmp_ne_u32_e32 vcc_lo, 0, v67
	s_delay_alu instid0(VALU_DEP_2) | instskip(SKIP_1) | instid1(VALU_DEP_2)
	v_not_b32_e32 v67, v197
	v_bitop3_b32 v65, vcc_lo, exec_lo, v65 bitop3:0x48
	v_dual_ashrrev_i32 v67, 31, v67 :: v_dual_lshlrev_b32 v198, 29, v196
	v_dual_lshlrev_b32 v199, 28, v196 :: v_dual_lshlrev_b32 v200, 27, v196
	v_lshlrev_b32_e32 v201, 26, v196
	v_cmp_gt_i32_e64 s17, 0, v197
	s_delay_alu instid0(VALU_DEP_4)
	v_not_b32_e32 v197, v198
	v_lshlrev_b32_e32 v202, 25, v196
	v_cmp_gt_i32_e64 s18, 0, v198
	v_cmp_gt_i32_e64 s19, 0, v199
	v_not_b32_e32 v198, v199
	v_not_b32_e32 v199, v200
	v_ashrrev_i32_e32 v197, 31, v197
	v_cmp_gt_i32_e64 s20, 0, v200
	v_cmp_gt_i32_e64 s21, 0, v201
	v_not_b32_e32 v200, v201
	v_not_b32_e32 v201, v202
	v_dual_ashrrev_i32 v198, 31, v198 :: v_dual_ashrrev_i32 v199, 31, v199
	s_delay_alu instid0(VALU_DEP_3) | instskip(SKIP_2) | instid1(VALU_DEP_4)
	v_dual_ashrrev_i32 v200, 31, v200 :: v_dual_bitop2_b32 v67, s17, v67 bitop3:0x14
	v_xor_b32_e32 v197, s18, v197
	v_cmp_gt_i32_e64 s22, 0, v202
	v_dual_ashrrev_i32 v201, 31, v201 :: v_dual_bitop2_b32 v198, s19, v198 bitop3:0x14
	v_xor_b32_e32 v199, s20, v199
	s_delay_alu instid0(VALU_DEP_4) | instskip(SKIP_3) | instid1(VALU_DEP_4)
	v_bitop3_b32 v65, v65, v197, v67 bitop3:0x80
	v_mad_u32_u24 v67, v196, 36, v25
	v_xor_b32_e32 v200, s21, v200
	v_xor_b32_e32 v201, s22, v201
	v_bitop3_b32 v65, v65, v199, v198 bitop3:0x80
	ds_load_b32 v197, v67 offset:544
	v_mul_u32_u24_e32 v67, 36, v196
	; wave barrier
	v_bitop3_b32 v65, v65, v201, v200 bitop3:0x80
	s_delay_alu instid0(VALU_DEP_2) | instskip(NEXT) | instid1(VALU_DEP_2)
	v_add_nc_u32_e32 v199, v25, v67
	v_mbcnt_lo_u32_b32 v198, v65, 0
	v_cmp_ne_u32_e64 s17, 0, v65
	s_delay_alu instid0(VALU_DEP_2) | instskip(SKIP_1) | instid1(SALU_CYCLE_1)
	v_cmp_eq_u32_e32 vcc_lo, 0, v198
	s_and_b32 s18, s17, vcc_lo
	s_and_saveexec_b32 s17, s18
	s_cbranch_execz .LBB1450_1108
; %bb.1107:                             ;   in Loop: Header=BB1450_1040 Depth=2
	s_wait_dscnt 0x0
	v_bcnt_u32_b32 v65, v65, v197
	ds_store_b32 v199, v65 offset:544
.LBB1450_1108:                          ;   in Loop: Header=BB1450_1040 Depth=2
	s_or_b32 exec_lo, exec_lo, s17
	v_cmp_lt_i32_e32 vcc_lo, -1, v66
	; wave barrier
	v_cndmask_b32_e64 v65, -1, 0x80000000, vcc_lo
	s_delay_alu instid0(VALU_DEP_1) | instskip(NEXT) | instid1(VALU_DEP_1)
	v_xor_b32_e32 v196, v65, v66
	v_cmp_ne_u32_e32 vcc_lo, 0x7fffffff, v196
	v_cndmask_b32_e32 v65, 0x80000000, v196, vcc_lo
	s_delay_alu instid0(VALU_DEP_1) | instskip(NEXT) | instid1(VALU_DEP_1)
	v_lshrrev_b32_e32 v65, s49, v65
	v_bitop3_b32 v66, v65, 1, s58 bitop3:0x80
	v_and_b32_e32 v67, s58, v65
	s_delay_alu instid0(VALU_DEP_2) | instskip(NEXT) | instid1(VALU_DEP_1)
	v_add_co_u32 v65, s17, v66, -1
	v_cndmask_b32_e64 v66, 0, 1, s17
	s_delay_alu instid0(VALU_DEP_3) | instskip(NEXT) | instid1(VALU_DEP_2)
	v_lshlrev_b32_e32 v200, 30, v67
	v_cmp_ne_u32_e32 vcc_lo, 0, v66
	s_delay_alu instid0(VALU_DEP_2) | instskip(SKIP_2) | instid1(VALU_DEP_3)
	v_not_b32_e32 v66, v200
	v_cmp_gt_i32_e64 s17, 0, v200
	v_bitop3_b32 v65, vcc_lo, exec_lo, v65 bitop3:0x48
	v_dual_ashrrev_i32 v66, 31, v66 :: v_dual_lshlrev_b32 v201, 29, v67
	v_dual_lshlrev_b32 v202, 28, v67 :: v_dual_lshlrev_b32 v203, 27, v67
	v_lshlrev_b32_e32 v204, 26, v67
	s_delay_alu instid0(VALU_DEP_3)
	v_not_b32_e32 v200, v201
	v_lshlrev_b32_e32 v205, 25, v67
	v_cmp_gt_i32_e64 s18, 0, v201
	v_cmp_gt_i32_e64 s19, 0, v202
	v_not_b32_e32 v201, v202
	v_not_b32_e32 v202, v203
	v_ashrrev_i32_e32 v200, 31, v200
	v_cmp_gt_i32_e64 s20, 0, v203
	v_cmp_gt_i32_e64 s21, 0, v204
	v_not_b32_e32 v203, v204
	v_not_b32_e32 v204, v205
	v_dual_ashrrev_i32 v201, 31, v201 :: v_dual_ashrrev_i32 v202, 31, v202
	s_delay_alu instid0(VALU_DEP_3) | instskip(SKIP_2) | instid1(VALU_DEP_4)
	v_dual_ashrrev_i32 v203, 31, v203 :: v_dual_bitop2_b32 v66, s17, v66 bitop3:0x14
	v_xor_b32_e32 v200, s18, v200
	v_cmp_gt_i32_e64 s22, 0, v205
	v_dual_ashrrev_i32 v204, 31, v204 :: v_dual_bitop2_b32 v201, s19, v201 bitop3:0x14
	v_xor_b32_e32 v202, s20, v202
	s_delay_alu instid0(VALU_DEP_4) | instskip(SKIP_3) | instid1(VALU_DEP_4)
	v_bitop3_b32 v65, v65, v200, v66 bitop3:0x80
	v_mad_u32_u24 v66, v67, 36, v25
	v_xor_b32_e32 v200, s21, v203
	v_xor_b32_e32 v203, s22, v204
	v_bitop3_b32 v65, v65, v202, v201 bitop3:0x80
	ds_load_b32 v201, v66 offset:544
	v_mul_u32_u24_e32 v66, 36, v67
	; wave barrier
	v_bitop3_b32 v65, v65, v203, v200 bitop3:0x80
	s_delay_alu instid0(VALU_DEP_2) | instskip(NEXT) | instid1(VALU_DEP_2)
	v_add_nc_u32_e32 v203, v25, v66
	v_mbcnt_lo_u32_b32 v202, v65, 0
	v_cmp_ne_u32_e64 s17, 0, v65
	s_delay_alu instid0(VALU_DEP_2) | instskip(SKIP_1) | instid1(SALU_CYCLE_1)
	v_cmp_eq_u32_e32 vcc_lo, 0, v202
	s_and_b32 s18, s17, vcc_lo
	s_and_saveexec_b32 s17, s18
	s_cbranch_execz .LBB1450_1110
; %bb.1109:                             ;   in Loop: Header=BB1450_1040 Depth=2
	s_wait_dscnt 0x0
	v_bcnt_u32_b32 v65, v65, v201
	ds_store_b32 v203, v65 offset:544
.LBB1450_1110:                          ;   in Loop: Header=BB1450_1040 Depth=2
	s_or_b32 exec_lo, exec_lo, s17
	v_cmp_lt_i32_e32 vcc_lo, -1, v64
	; wave barrier
	v_cndmask_b32_e64 v65, -1, 0x80000000, vcc_lo
	s_delay_alu instid0(VALU_DEP_1) | instskip(NEXT) | instid1(VALU_DEP_1)
	v_xor_b32_e32 v200, v65, v64
	v_cmp_ne_u32_e32 vcc_lo, 0x7fffffff, v200
	v_cndmask_b32_e32 v64, 0x80000000, v200, vcc_lo
	s_delay_alu instid0(VALU_DEP_1) | instskip(NEXT) | instid1(VALU_DEP_1)
	v_lshrrev_b32_e32 v64, s49, v64
	v_bitop3_b32 v65, v64, 1, s58 bitop3:0x80
	v_and_b32_e32 v66, s58, v64
	s_delay_alu instid0(VALU_DEP_2) | instskip(NEXT) | instid1(VALU_DEP_1)
	v_add_co_u32 v64, s17, v65, -1
	v_cndmask_b32_e64 v65, 0, 1, s17
	s_delay_alu instid0(VALU_DEP_3) | instskip(NEXT) | instid1(VALU_DEP_2)
	v_lshlrev_b32_e32 v67, 30, v66
	v_cmp_ne_u32_e32 vcc_lo, 0, v65
	s_delay_alu instid0(VALU_DEP_2) | instskip(SKIP_2) | instid1(VALU_DEP_3)
	v_not_b32_e32 v65, v67
	v_cmp_gt_i32_e64 s17, 0, v67
	v_bitop3_b32 v64, vcc_lo, exec_lo, v64 bitop3:0x48
	v_dual_ashrrev_i32 v65, 31, v65 :: v_dual_lshlrev_b32 v204, 29, v66
	v_dual_lshlrev_b32 v205, 28, v66 :: v_dual_lshlrev_b32 v206, 27, v66
	v_lshlrev_b32_e32 v207, 26, v66
	s_delay_alu instid0(VALU_DEP_3)
	v_not_b32_e32 v67, v204
	v_lshlrev_b32_e32 v208, 25, v66
	v_cmp_gt_i32_e64 s18, 0, v204
	v_cmp_gt_i32_e64 s19, 0, v205
	v_not_b32_e32 v204, v205
	v_not_b32_e32 v205, v206
	v_ashrrev_i32_e32 v67, 31, v67
	v_cmp_gt_i32_e64 s20, 0, v206
	v_cmp_gt_i32_e64 s21, 0, v207
	v_not_b32_e32 v206, v207
	v_not_b32_e32 v207, v208
	v_dual_ashrrev_i32 v204, 31, v204 :: v_dual_ashrrev_i32 v205, 31, v205
	s_delay_alu instid0(VALU_DEP_3) | instskip(SKIP_2) | instid1(VALU_DEP_4)
	v_dual_ashrrev_i32 v206, 31, v206 :: v_dual_bitop2_b32 v65, s17, v65 bitop3:0x14
	v_xor_b32_e32 v67, s18, v67
	v_cmp_gt_i32_e64 s22, 0, v208
	v_dual_ashrrev_i32 v207, 31, v207 :: v_dual_bitop2_b32 v204, s19, v204 bitop3:0x14
	v_xor_b32_e32 v205, s20, v205
	s_delay_alu instid0(VALU_DEP_4) | instskip(SKIP_3) | instid1(VALU_DEP_4)
	v_bitop3_b32 v64, v64, v67, v65 bitop3:0x80
	v_mad_u32_u24 v65, v66, 36, v25
	v_xor_b32_e32 v67, s21, v206
	v_xor_b32_e32 v206, s22, v207
	v_bitop3_b32 v64, v64, v205, v204 bitop3:0x80
	ds_load_b32 v204, v65 offset:544
	v_mul_u32_u24_e32 v65, 36, v66
	; wave barrier
	v_bitop3_b32 v64, v64, v206, v67 bitop3:0x80
	s_delay_alu instid0(VALU_DEP_2) | instskip(NEXT) | instid1(VALU_DEP_2)
	v_add_nc_u32_e32 v206, v25, v65
	v_mbcnt_lo_u32_b32 v205, v64, 0
	v_cmp_ne_u32_e64 s17, 0, v64
	s_delay_alu instid0(VALU_DEP_2) | instskip(SKIP_1) | instid1(SALU_CYCLE_1)
	v_cmp_eq_u32_e32 vcc_lo, 0, v205
	s_and_b32 s18, s17, vcc_lo
	s_and_saveexec_b32 s17, s18
	s_cbranch_execz .LBB1450_1112
; %bb.1111:                             ;   in Loop: Header=BB1450_1040 Depth=2
	s_wait_dscnt 0x0
	v_bcnt_u32_b32 v64, v64, v204
	ds_store_b32 v206, v64 offset:544
.LBB1450_1112:                          ;   in Loop: Header=BB1450_1040 Depth=2
	s_or_b32 exec_lo, exec_lo, s17
	; wave barrier
	s_wait_dscnt 0x0
	s_barrier_signal -1
	s_barrier_wait -1
	ds_load_2addr_b32 v[66:67], v90 offset0:136 offset1:137
	ds_load_2addr_b32 v[64:65], v90 offset0:138 offset1:139
	ds_load_b32 v207, v90 offset:560
	s_wait_dscnt 0x1
	v_add3_u32 v208, v67, v66, v64
	s_wait_dscnt 0x0
	s_delay_alu instid0(VALU_DEP_1) | instskip(NEXT) | instid1(VALU_DEP_1)
	v_add3_u32 v207, v208, v65, v207
	v_mov_b32_dpp v208, v207 row_shr:1 row_mask:0xf bank_mask:0xf
	s_delay_alu instid0(VALU_DEP_1) | instskip(NEXT) | instid1(VALU_DEP_1)
	v_cndmask_b32_e64 v208, v208, 0, s9
	v_add_nc_u32_e32 v207, v208, v207
	s_delay_alu instid0(VALU_DEP_1) | instskip(NEXT) | instid1(VALU_DEP_1)
	v_mov_b32_dpp v208, v207 row_shr:2 row_mask:0xf bank_mask:0xf
	v_cndmask_b32_e64 v208, 0, v208, s10
	s_delay_alu instid0(VALU_DEP_1) | instskip(NEXT) | instid1(VALU_DEP_1)
	v_add_nc_u32_e32 v207, v207, v208
	v_mov_b32_dpp v208, v207 row_shr:4 row_mask:0xf bank_mask:0xf
	s_delay_alu instid0(VALU_DEP_1) | instskip(NEXT) | instid1(VALU_DEP_1)
	v_cndmask_b32_e64 v208, 0, v208, s11
	v_add_nc_u32_e32 v207, v207, v208
	s_delay_alu instid0(VALU_DEP_1) | instskip(NEXT) | instid1(VALU_DEP_1)
	v_mov_b32_dpp v208, v207 row_shr:8 row_mask:0xf bank_mask:0xf
	v_cndmask_b32_e64 v208, 0, v208, s12
	s_delay_alu instid0(VALU_DEP_1) | instskip(SKIP_3) | instid1(VALU_DEP_1)
	v_add_nc_u32_e32 v207, v207, v208
	ds_swizzle_b32 v208, v207 offset:swizzle(BROADCAST,32,15)
	s_wait_dscnt 0x0
	v_cndmask_b32_e64 v208, v208, 0, s13
	v_add_nc_u32_e32 v207, v207, v208
	s_and_saveexec_b32 s17, s2
; %bb.1113:                             ;   in Loop: Header=BB1450_1040 Depth=2
	ds_store_b32 v83, v207 offset:512
; %bb.1114:                             ;   in Loop: Header=BB1450_1040 Depth=2
	s_or_b32 exec_lo, exec_lo, s17
	s_wait_dscnt 0x0
	s_barrier_signal -1
	s_barrier_wait -1
	s_and_saveexec_b32 s17, s3
	s_cbranch_execz .LBB1450_1116
; %bb.1115:                             ;   in Loop: Header=BB1450_1040 Depth=2
	ds_load_b32 v208, v92 offset:512
	s_wait_dscnt 0x0
	v_mov_b32_dpp v209, v208 row_shr:1 row_mask:0xf bank_mask:0xf
	s_delay_alu instid0(VALU_DEP_1) | instskip(NEXT) | instid1(VALU_DEP_1)
	v_cndmask_b32_e64 v209, v209, 0, s14
	v_add_nc_u32_e32 v208, v209, v208
	s_delay_alu instid0(VALU_DEP_1) | instskip(NEXT) | instid1(VALU_DEP_1)
	v_mov_b32_dpp v209, v208 row_shr:2 row_mask:0xf bank_mask:0xf
	v_cndmask_b32_e64 v209, 0, v209, s15
	s_delay_alu instid0(VALU_DEP_1) | instskip(NEXT) | instid1(VALU_DEP_1)
	v_add_nc_u32_e32 v208, v208, v209
	v_mov_b32_dpp v209, v208 row_shr:4 row_mask:0xf bank_mask:0xf
	s_delay_alu instid0(VALU_DEP_1) | instskip(NEXT) | instid1(VALU_DEP_1)
	v_cndmask_b32_e64 v209, 0, v209, s16
	v_add_nc_u32_e32 v208, v208, v209
	ds_store_b32 v92, v208 offset:512
.LBB1450_1116:                          ;   in Loop: Header=BB1450_1040 Depth=2
	s_or_b32 exec_lo, exec_lo, s17
	v_mov_b32_e32 v208, 0
	s_wait_dscnt 0x0
	s_barrier_signal -1
	s_barrier_wait -1
	s_and_saveexec_b32 s17, s5
; %bb.1117:                             ;   in Loop: Header=BB1450_1040 Depth=2
	ds_load_b32 v208, v83 offset:508
; %bb.1118:                             ;   in Loop: Header=BB1450_1040 Depth=2
	s_or_b32 exec_lo, exec_lo, s17
	s_wait_dscnt 0x0
	v_add_nc_u32_e32 v207, v208, v207
	ds_bpermute_b32 v207, v119, v207
	s_wait_dscnt 0x0
	v_cndmask_b32_e64 v207, v207, v208, s8
	s_delay_alu instid0(VALU_DEP_1) | instskip(NEXT) | instid1(VALU_DEP_1)
	v_cndmask_b32_e64 v207, v207, 0, s6
	v_add_nc_u32_e32 v66, v207, v66
	s_delay_alu instid0(VALU_DEP_1) | instskip(NEXT) | instid1(VALU_DEP_1)
	v_add_nc_u32_e32 v67, v66, v67
	v_add_nc_u32_e32 v64, v67, v64
	s_delay_alu instid0(VALU_DEP_1)
	v_add_nc_u32_e32 v65, v64, v65
	ds_store_2addr_b32 v90, v207, v66 offset0:136 offset1:137
	ds_store_2addr_b32 v90, v67, v64 offset0:138 offset1:139
	ds_store_b32 v90, v65 offset:560
	s_wait_dscnt 0x0
	s_barrier_signal -1
	s_barrier_wait -1
	ds_load_b32 v66, v143 offset:544
	ds_load_b32 v67, v147 offset:544
	;; [unrolled: 1-line block ×17, first 2 shown]
	s_and_saveexec_b32 s17, s0
	s_cbranch_execz .LBB1450_1122
; %bb.1119:                             ;   in Loop: Header=BB1450_1040 Depth=2
	ds_load_b32 v133, v94 offset:544
	v_mov_b32_e32 v138, 0x1100
	s_and_saveexec_b32 s18, s7
; %bb.1120:                             ;   in Loop: Header=BB1450_1040 Depth=2
	ds_load_b32 v138, v93 offset:544
; %bb.1121:                             ;   in Loop: Header=BB1450_1040 Depth=2
	s_or_b32 exec_lo, exec_lo, s18
	s_wait_dscnt 0x0
	v_sub_nc_u32_e32 v138, v138, v133
.LBB1450_1122:                          ;   in Loop: Header=BB1450_1040 Depth=2
	s_or_b32 exec_lo, exec_lo, s17
	s_wait_dscnt 0x0
	s_barrier_signal -1
	s_barrier_wait -1
	s_and_saveexec_b32 s17, s0
	s_cbranch_execz .LBB1450_1124
; %bb.1123:                             ;   in Loop: Header=BB1450_1040 Depth=2
	ds_load_b32 v152, v4
	s_wait_dscnt 0x0
	v_sub_nc_u32_e32 v152, v152, v133
	ds_store_b32 v4, v152
.LBB1450_1124:                          ;   in Loop: Header=BB1450_1040 Depth=2
	s_or_b32 exec_lo, exec_lo, s17
	v_add3_u32 v156, v155, v154, v147
	v_add_nc_u32_e32 v162, v66, v141
	v_add3_u32 v161, v146, v145, v67
	v_add3_u32 v157, v150, v149, v143
	;; [unrolled: 1-line block ×4, first 2 shown]
	v_dual_lshlrev_b32 v65, 2, v156 :: v_dual_lshlrev_b32 v159, 2, v162
	v_lshlrev_b32_e32 v160, 2, v161
	v_add3_u32 v154, v165, v164, v207
	v_add3_u32 v152, v170, v169, v172
	;; [unrolled: 1-line block ×4, first 2 shown]
	v_lshlrev_b32_e32 v64, 2, v157
	v_add3_u32 v150, v178, v177, v179
	v_add3_u32 v149, v181, v180, v182
	ds_store_b32 v159, v140 offset:512
	ds_store_b32 v160, v142 offset:512
	v_lshlrev_b32_e32 v140, 2, v155
	v_add3_u32 v147, v185, v184, v186
	v_dual_lshlrev_b32 v142, 2, v154 :: v_dual_lshlrev_b32 v159, 2, v152
	v_add3_u32 v146, v189, v188, v208
	v_add3_u32 v67, v192, v191, v209
	ds_store_b32 v64, v144 offset:512
	ds_store_b32 v65, v148 offset:512
	;; [unrolled: 1-line block ×5, first 2 shown]
	v_dual_lshlrev_b32 v64, 2, v151 :: v_dual_lshlrev_b32 v65, 2, v150
	v_add3_u32 v66, v195, v194, v210
	v_dual_lshlrev_b32 v140, 2, v149 :: v_dual_lshlrev_b32 v142, 2, v147
	v_add3_u32 v141, v205, v204, v167
	v_lshlrev_b32_e32 v144, 2, v146
	ds_store_b32 v64, v168 offset:512
	ds_store_b32 v65, v173 offset:512
	;; [unrolled: 1-line block ×5, first 2 shown]
	v_lshlrev_b32_e32 v64, 2, v67
	v_cmp_lt_u32_e32 vcc_lo, v2, v139
	v_dual_lshlrev_b32 v65, 2, v66 :: v_dual_lshlrev_b32 v140, 2, v145
	v_dual_lshlrev_b32 v142, 2, v143 :: v_dual_lshlrev_b32 v144, 2, v141
	ds_store_b32 v64, v187 offset:512
	ds_store_b32 v65, v190 offset:512
	;; [unrolled: 1-line block ×5, first 2 shown]
	s_wait_dscnt 0x0
	s_barrier_signal -1
	s_barrier_wait -1
	s_and_saveexec_b32 s18, vcc_lo
	s_cbranch_execnz .LBB1450_1197
; %bb.1125:                             ;   in Loop: Header=BB1450_1040 Depth=2
	s_or_b32 exec_lo, exec_lo, s18
	v_cmp_lt_u32_e64 s17, v3, v139
	s_and_saveexec_b32 s19, s17
	s_cbranch_execnz .LBB1450_1198
.LBB1450_1126:                          ;   in Loop: Header=BB1450_1040 Depth=2
	s_or_b32 exec_lo, exec_lo, s19
	v_cmp_lt_u32_e64 s18, v68, v139
	s_and_saveexec_b32 s20, s18
	s_cbranch_execnz .LBB1450_1199
.LBB1450_1127:                          ;   in Loop: Header=BB1450_1040 Depth=2
	s_or_b32 exec_lo, exec_lo, s20
	v_cmp_lt_u32_e64 s19, v69, v139
	s_and_saveexec_b32 s21, s19
	s_cbranch_execnz .LBB1450_1200
.LBB1450_1128:                          ;   in Loop: Header=BB1450_1040 Depth=2
	s_or_b32 exec_lo, exec_lo, s21
	v_cmp_lt_u32_e64 s20, v70, v139
	s_and_saveexec_b32 s22, s20
	s_cbranch_execnz .LBB1450_1201
.LBB1450_1129:                          ;   in Loop: Header=BB1450_1040 Depth=2
	s_or_b32 exec_lo, exec_lo, s22
	v_cmp_lt_u32_e64 s21, v71, v139
	s_and_saveexec_b32 s23, s21
	s_cbranch_execnz .LBB1450_1202
.LBB1450_1130:                          ;   in Loop: Header=BB1450_1040 Depth=2
	s_or_b32 exec_lo, exec_lo, s23
	v_cmp_lt_u32_e64 s22, v72, v139
	s_and_saveexec_b32 s24, s22
	s_cbranch_execnz .LBB1450_1203
.LBB1450_1131:                          ;   in Loop: Header=BB1450_1040 Depth=2
	s_or_b32 exec_lo, exec_lo, s24
	v_cmp_lt_u32_e64 s23, v73, v139
	s_and_saveexec_b32 s25, s23
	s_cbranch_execnz .LBB1450_1204
.LBB1450_1132:                          ;   in Loop: Header=BB1450_1040 Depth=2
	s_or_b32 exec_lo, exec_lo, s25
	v_cmp_lt_u32_e64 s24, v74, v139
	s_and_saveexec_b32 s26, s24
	s_cbranch_execnz .LBB1450_1205
.LBB1450_1133:                          ;   in Loop: Header=BB1450_1040 Depth=2
	s_or_b32 exec_lo, exec_lo, s26
	v_cmp_lt_u32_e64 s25, v75, v139
	s_and_saveexec_b32 s27, s25
	s_cbranch_execnz .LBB1450_1206
.LBB1450_1134:                          ;   in Loop: Header=BB1450_1040 Depth=2
	s_or_b32 exec_lo, exec_lo, s27
	v_cmp_lt_u32_e64 s26, v76, v139
	s_and_saveexec_b32 s28, s26
	s_cbranch_execnz .LBB1450_1207
.LBB1450_1135:                          ;   in Loop: Header=BB1450_1040 Depth=2
	s_or_b32 exec_lo, exec_lo, s28
	v_cmp_lt_u32_e64 s27, v77, v139
	s_and_saveexec_b32 s29, s27
	s_cbranch_execnz .LBB1450_1208
.LBB1450_1136:                          ;   in Loop: Header=BB1450_1040 Depth=2
	s_or_b32 exec_lo, exec_lo, s29
	v_cmp_lt_u32_e64 s28, v78, v139
	s_and_saveexec_b32 s30, s28
	s_cbranch_execnz .LBB1450_1209
.LBB1450_1137:                          ;   in Loop: Header=BB1450_1040 Depth=2
	s_or_b32 exec_lo, exec_lo, s30
	v_cmp_lt_u32_e64 s29, v79, v139
	s_and_saveexec_b32 s31, s29
	s_cbranch_execnz .LBB1450_1210
.LBB1450_1138:                          ;   in Loop: Header=BB1450_1040 Depth=2
	s_or_b32 exec_lo, exec_lo, s31
	v_cmp_lt_u32_e64 s30, v80, v139
	s_and_saveexec_b32 s33, s30
	s_cbranch_execnz .LBB1450_1211
.LBB1450_1139:                          ;   in Loop: Header=BB1450_1040 Depth=2
	s_or_b32 exec_lo, exec_lo, s33
	v_cmp_lt_u32_e64 s31, v81, v139
	s_and_saveexec_b32 s34, s31
	s_cbranch_execnz .LBB1450_1212
.LBB1450_1140:                          ;   in Loop: Header=BB1450_1040 Depth=2
	s_or_b32 exec_lo, exec_lo, s34
	v_cmp_lt_u32_e64 s33, v82, v139
	s_and_saveexec_b32 s61, s33
	s_cbranch_execz .LBB1450_1142
.LBB1450_1141:                          ;   in Loop: Header=BB1450_1040 Depth=2
	ds_load_b32 v64, v92 offset:16896
	s_wait_dscnt 0x0
	v_cmp_ne_u32_e64 s34, 0x7fffffff, v64
	s_delay_alu instid0(VALU_DEP_1) | instskip(SKIP_1) | instid1(VALU_DEP_1)
	v_cndmask_b32_e64 v65, 0x80000000, v64, s34
	v_cmp_lt_i32_e64 s34, -1, v64
	v_cndmask_b32_e64 v140, 0x80000000, -1, s34
	s_delay_alu instid0(VALU_DEP_1) | instskip(NEXT) | instid1(VALU_DEP_1)
	v_dual_lshrrev_b32 v65, s49, v65 :: v_dual_bitop2_b32 v64, v140, v64 bitop3:0x14
	v_and_b32_e32 v65, s58, v65
	s_delay_alu instid0(VALU_DEP_1)
	v_lshlrev_b32_e32 v65, 2, v65
	ds_load_b32 v65, v65
	s_wait_dscnt 0x0
	v_add_nc_u32_e32 v65, v65, v82
	global_store_b32 v65, v64, s[40:41] scale_offset
.LBB1450_1142:                          ;   in Loop: Header=BB1450_1040 Depth=2
	s_wait_xcnt 0x0
	s_or_b32 exec_lo, exec_lo, s61
	v_lshl_add_u64 v[64:65], s[42:43], 3, v[26:27]
	v_cmp_lt_u32_e64 s34, v101, v139
	s_and_saveexec_b32 s42, s34
	s_delay_alu instid0(SALU_CYCLE_1)
	s_xor_b32 s34, exec_lo, s42
	s_cbranch_execnz .LBB1450_1213
; %bb.1143:                             ;   in Loop: Header=BB1450_1040 Depth=2
	s_or_b32 exec_lo, exec_lo, s34
	s_delay_alu instid0(SALU_CYCLE_1)
	s_mov_b32 s42, exec_lo
	v_cmpx_lt_u32_e64 v104, v139
	s_cbranch_execnz .LBB1450_1214
.LBB1450_1144:                          ;   in Loop: Header=BB1450_1040 Depth=2
	s_or_b32 exec_lo, exec_lo, s42
	s_delay_alu instid0(SALU_CYCLE_1)
	s_mov_b32 s42, exec_lo
	v_cmpx_lt_u32_e64 v105, v139
	s_cbranch_execnz .LBB1450_1215
.LBB1450_1145:                          ;   in Loop: Header=BB1450_1040 Depth=2
	s_or_b32 exec_lo, exec_lo, s42
	s_delay_alu instid0(SALU_CYCLE_1)
	s_mov_b32 s42, exec_lo
	v_cmpx_lt_u32_e64 v106, v139
	s_cbranch_execnz .LBB1450_1216
.LBB1450_1146:                          ;   in Loop: Header=BB1450_1040 Depth=2
	s_or_b32 exec_lo, exec_lo, s42
	s_delay_alu instid0(SALU_CYCLE_1)
	s_mov_b32 s42, exec_lo
	v_cmpx_lt_u32_e64 v107, v139
	s_cbranch_execnz .LBB1450_1217
.LBB1450_1147:                          ;   in Loop: Header=BB1450_1040 Depth=2
	s_or_b32 exec_lo, exec_lo, s42
	s_delay_alu instid0(SALU_CYCLE_1)
	s_mov_b32 s42, exec_lo
	v_cmpx_lt_u32_e64 v108, v139
	s_cbranch_execnz .LBB1450_1218
.LBB1450_1148:                          ;   in Loop: Header=BB1450_1040 Depth=2
	s_or_b32 exec_lo, exec_lo, s42
	s_delay_alu instid0(SALU_CYCLE_1)
	s_mov_b32 s42, exec_lo
	v_cmpx_lt_u32_e64 v109, v139
	s_cbranch_execnz .LBB1450_1219
.LBB1450_1149:                          ;   in Loop: Header=BB1450_1040 Depth=2
	s_or_b32 exec_lo, exec_lo, s42
	s_delay_alu instid0(SALU_CYCLE_1)
	s_mov_b32 s42, exec_lo
	v_cmpx_lt_u32_e64 v110, v139
	s_cbranch_execnz .LBB1450_1220
.LBB1450_1150:                          ;   in Loop: Header=BB1450_1040 Depth=2
	s_or_b32 exec_lo, exec_lo, s42
	s_delay_alu instid0(SALU_CYCLE_1)
	s_mov_b32 s42, exec_lo
	v_cmpx_lt_u32_e64 v111, v139
	s_cbranch_execnz .LBB1450_1221
.LBB1450_1151:                          ;   in Loop: Header=BB1450_1040 Depth=2
	s_or_b32 exec_lo, exec_lo, s42
	s_delay_alu instid0(SALU_CYCLE_1)
	s_mov_b32 s42, exec_lo
	v_cmpx_lt_u32_e64 v112, v139
	s_cbranch_execnz .LBB1450_1222
.LBB1450_1152:                          ;   in Loop: Header=BB1450_1040 Depth=2
	s_or_b32 exec_lo, exec_lo, s42
	s_delay_alu instid0(SALU_CYCLE_1)
	s_mov_b32 s42, exec_lo
	v_cmpx_lt_u32_e64 v113, v139
	s_cbranch_execnz .LBB1450_1223
.LBB1450_1153:                          ;   in Loop: Header=BB1450_1040 Depth=2
	s_or_b32 exec_lo, exec_lo, s42
	s_delay_alu instid0(SALU_CYCLE_1)
	s_mov_b32 s42, exec_lo
	v_cmpx_lt_u32_e64 v114, v139
	s_cbranch_execnz .LBB1450_1224
.LBB1450_1154:                          ;   in Loop: Header=BB1450_1040 Depth=2
	s_or_b32 exec_lo, exec_lo, s42
	s_delay_alu instid0(SALU_CYCLE_1)
	s_mov_b32 s42, exec_lo
	v_cmpx_lt_u32_e64 v115, v139
	s_cbranch_execnz .LBB1450_1225
.LBB1450_1155:                          ;   in Loop: Header=BB1450_1040 Depth=2
	s_or_b32 exec_lo, exec_lo, s42
	s_delay_alu instid0(SALU_CYCLE_1)
	s_mov_b32 s42, exec_lo
	v_cmpx_lt_u32_e64 v116, v139
	s_cbranch_execnz .LBB1450_1226
.LBB1450_1156:                          ;   in Loop: Header=BB1450_1040 Depth=2
	s_or_b32 exec_lo, exec_lo, s42
	s_delay_alu instid0(SALU_CYCLE_1)
	s_mov_b32 s42, exec_lo
	v_cmpx_lt_u32_e64 v117, v139
	s_cbranch_execnz .LBB1450_1227
.LBB1450_1157:                          ;   in Loop: Header=BB1450_1040 Depth=2
	s_or_b32 exec_lo, exec_lo, s42
	s_delay_alu instid0(SALU_CYCLE_1)
	s_mov_b32 s42, exec_lo
	v_cmpx_lt_u32_e64 v118, v139
	s_cbranch_execnz .LBB1450_1228
.LBB1450_1158:                          ;   in Loop: Header=BB1450_1040 Depth=2
	s_or_b32 exec_lo, exec_lo, s42
	s_delay_alu instid0(SALU_CYCLE_1)
	s_mov_b32 s42, exec_lo
	v_cmpx_lt_u32_e64 v5, v139
	s_cbranch_execnz .LBB1450_1229
.LBB1450_1159:                          ;   in Loop: Header=BB1450_1040 Depth=2
	s_or_b32 exec_lo, exec_lo, s42
	s_and_saveexec_b32 s42, vcc_lo
	s_cbranch_execnz .LBB1450_1230
.LBB1450_1160:                          ;   in Loop: Header=BB1450_1040 Depth=2
	s_or_b32 exec_lo, exec_lo, s42
	s_and_saveexec_b32 s42, s17
	s_cbranch_execnz .LBB1450_1231
.LBB1450_1161:                          ;   in Loop: Header=BB1450_1040 Depth=2
	s_or_b32 exec_lo, exec_lo, s42
	s_and_saveexec_b32 s42, s18
	s_cbranch_execnz .LBB1450_1232
.LBB1450_1162:                          ;   in Loop: Header=BB1450_1040 Depth=2
	s_or_b32 exec_lo, exec_lo, s42
	s_and_saveexec_b32 s42, s19
	s_cbranch_execnz .LBB1450_1233
.LBB1450_1163:                          ;   in Loop: Header=BB1450_1040 Depth=2
	s_or_b32 exec_lo, exec_lo, s42
	s_and_saveexec_b32 s42, s20
	s_cbranch_execnz .LBB1450_1234
.LBB1450_1164:                          ;   in Loop: Header=BB1450_1040 Depth=2
	s_or_b32 exec_lo, exec_lo, s42
	s_and_saveexec_b32 s42, s21
	s_cbranch_execnz .LBB1450_1235
.LBB1450_1165:                          ;   in Loop: Header=BB1450_1040 Depth=2
	s_or_b32 exec_lo, exec_lo, s42
	s_and_saveexec_b32 s42, s22
	s_cbranch_execnz .LBB1450_1236
.LBB1450_1166:                          ;   in Loop: Header=BB1450_1040 Depth=2
	s_or_b32 exec_lo, exec_lo, s42
	s_and_saveexec_b32 s42, s23
	s_cbranch_execnz .LBB1450_1237
.LBB1450_1167:                          ;   in Loop: Header=BB1450_1040 Depth=2
	s_or_b32 exec_lo, exec_lo, s42
	s_and_saveexec_b32 s42, s24
	s_cbranch_execnz .LBB1450_1238
.LBB1450_1168:                          ;   in Loop: Header=BB1450_1040 Depth=2
	s_or_b32 exec_lo, exec_lo, s42
	s_and_saveexec_b32 s42, s25
	s_cbranch_execnz .LBB1450_1239
.LBB1450_1169:                          ;   in Loop: Header=BB1450_1040 Depth=2
	s_or_b32 exec_lo, exec_lo, s42
	s_and_saveexec_b32 s42, s26
	s_cbranch_execnz .LBB1450_1240
.LBB1450_1170:                          ;   in Loop: Header=BB1450_1040 Depth=2
	s_or_b32 exec_lo, exec_lo, s42
	s_and_saveexec_b32 s42, s27
	s_cbranch_execnz .LBB1450_1241
.LBB1450_1171:                          ;   in Loop: Header=BB1450_1040 Depth=2
	s_or_b32 exec_lo, exec_lo, s42
	s_and_saveexec_b32 s42, s28
	s_cbranch_execnz .LBB1450_1242
.LBB1450_1172:                          ;   in Loop: Header=BB1450_1040 Depth=2
	s_or_b32 exec_lo, exec_lo, s42
	s_and_saveexec_b32 s42, s29
	s_cbranch_execnz .LBB1450_1243
.LBB1450_1173:                          ;   in Loop: Header=BB1450_1040 Depth=2
	s_or_b32 exec_lo, exec_lo, s42
	s_and_saveexec_b32 s42, s30
	s_cbranch_execnz .LBB1450_1244
.LBB1450_1174:                          ;   in Loop: Header=BB1450_1040 Depth=2
	s_or_b32 exec_lo, exec_lo, s42
	s_and_saveexec_b32 s42, s31
	s_cbranch_execnz .LBB1450_1245
.LBB1450_1175:                          ;   in Loop: Header=BB1450_1040 Depth=2
	s_or_b32 exec_lo, exec_lo, s42
	s_and_saveexec_b32 s42, s33
	s_cbranch_execz .LBB1450_1177
.LBB1450_1176:                          ;   in Loop: Header=BB1450_1040 Depth=2
	ds_load_b32 v64, v92 offset:16896
	s_wait_dscnt 0x0
	v_cmp_ne_u32_e64 s34, 0x7fffffff, v64
	s_delay_alu instid0(VALU_DEP_1) | instskip(NEXT) | instid1(VALU_DEP_1)
	v_cndmask_b32_e64 v64, 0x80000000, v64, s34
	v_lshrrev_b32_e32 v64, s49, v64
	s_delay_alu instid0(VALU_DEP_1)
	v_and_b32_e32 v120, s58, v64
.LBB1450_1177:                          ;   in Loop: Header=BB1450_1040 Depth=2
	s_or_b32 exec_lo, exec_lo, s42
	v_dual_lshlrev_b32 v64, 3, v162 :: v_dual_lshlrev_b32 v65, 3, v161
	s_wait_loadcnt 0x0
	s_wait_storecnt 0x0
	s_barrier_signal -1
	s_barrier_wait -1
	ds_store_b64 v64, v[62:63] offset:512
	ds_store_b64 v65, v[60:61] offset:512
	v_dual_lshlrev_b32 v64, 3, v157 :: v_dual_lshlrev_b32 v65, 3, v156
	v_dual_lshlrev_b32 v139, 3, v155 :: v_dual_lshlrev_b32 v140, 3, v154
	v_lshlrev_b32_e32 v142, 3, v152
	ds_store_b64 v64, v[58:59] offset:512
	ds_store_b64 v65, v[56:57] offset:512
	ds_store_b64 v139, v[54:55] offset:512
	ds_store_b64 v140, v[52:53] offset:512
	ds_store_b64 v142, v[50:51] offset:512
	v_dual_lshlrev_b32 v64, 3, v151 :: v_dual_lshlrev_b32 v65, 3, v150
	v_dual_lshlrev_b32 v139, 3, v149 :: v_dual_lshlrev_b32 v140, 3, v147
	v_lshlrev_b32_e32 v142, 3, v146
	ds_store_b64 v64, v[48:49] offset:512
	ds_store_b64 v65, v[46:47] offset:512
	ds_store_b64 v139, v[44:45] offset:512
	;; [unrolled: 8-line block ×3, first 2 shown]
	ds_store_b64 v67, v[32:33] offset:512
	ds_store_b64 v139, v[30:31] offset:512
	v_add_nc_u32_e32 v64, v92, v4
	s_wait_dscnt 0x0
	s_barrier_signal -1
	s_barrier_wait -1
	s_and_saveexec_b32 s34, vcc_lo
	s_cbranch_execnz .LBB1450_1246
; %bb.1178:                             ;   in Loop: Header=BB1450_1040 Depth=2
	s_or_b32 exec_lo, exec_lo, s34
	s_and_saveexec_b32 s34, s17
	s_cbranch_execnz .LBB1450_1247
.LBB1450_1179:                          ;   in Loop: Header=BB1450_1040 Depth=2
	s_or_b32 exec_lo, exec_lo, s34
	s_and_saveexec_b32 s17, s18
	s_cbranch_execnz .LBB1450_1248
.LBB1450_1180:                          ;   in Loop: Header=BB1450_1040 Depth=2
	s_or_b32 exec_lo, exec_lo, s17
	s_and_saveexec_b32 s17, s19
	s_cbranch_execnz .LBB1450_1249
.LBB1450_1181:                          ;   in Loop: Header=BB1450_1040 Depth=2
	s_or_b32 exec_lo, exec_lo, s17
	s_and_saveexec_b32 s17, s20
	s_cbranch_execnz .LBB1450_1250
.LBB1450_1182:                          ;   in Loop: Header=BB1450_1040 Depth=2
	s_or_b32 exec_lo, exec_lo, s17
	s_and_saveexec_b32 s17, s21
	s_cbranch_execnz .LBB1450_1251
.LBB1450_1183:                          ;   in Loop: Header=BB1450_1040 Depth=2
	s_or_b32 exec_lo, exec_lo, s17
	s_and_saveexec_b32 s17, s22
	s_cbranch_execnz .LBB1450_1252
.LBB1450_1184:                          ;   in Loop: Header=BB1450_1040 Depth=2
	s_or_b32 exec_lo, exec_lo, s17
	s_and_saveexec_b32 s17, s23
	s_cbranch_execnz .LBB1450_1253
.LBB1450_1185:                          ;   in Loop: Header=BB1450_1040 Depth=2
	s_or_b32 exec_lo, exec_lo, s17
	s_and_saveexec_b32 s17, s24
	s_cbranch_execnz .LBB1450_1254
.LBB1450_1186:                          ;   in Loop: Header=BB1450_1040 Depth=2
	s_or_b32 exec_lo, exec_lo, s17
	s_and_saveexec_b32 s17, s25
	s_cbranch_execnz .LBB1450_1255
.LBB1450_1187:                          ;   in Loop: Header=BB1450_1040 Depth=2
	s_or_b32 exec_lo, exec_lo, s17
	s_and_saveexec_b32 s17, s26
	s_cbranch_execnz .LBB1450_1256
.LBB1450_1188:                          ;   in Loop: Header=BB1450_1040 Depth=2
	s_or_b32 exec_lo, exec_lo, s17
	s_and_saveexec_b32 s17, s27
	s_cbranch_execnz .LBB1450_1257
.LBB1450_1189:                          ;   in Loop: Header=BB1450_1040 Depth=2
	s_or_b32 exec_lo, exec_lo, s17
	s_and_saveexec_b32 s17, s28
	s_cbranch_execnz .LBB1450_1258
.LBB1450_1190:                          ;   in Loop: Header=BB1450_1040 Depth=2
	s_or_b32 exec_lo, exec_lo, s17
	s_and_saveexec_b32 s17, s29
	s_cbranch_execnz .LBB1450_1259
.LBB1450_1191:                          ;   in Loop: Header=BB1450_1040 Depth=2
	s_or_b32 exec_lo, exec_lo, s17
	s_and_saveexec_b32 s17, s30
	s_cbranch_execnz .LBB1450_1260
.LBB1450_1192:                          ;   in Loop: Header=BB1450_1040 Depth=2
	s_or_b32 exec_lo, exec_lo, s17
	s_and_saveexec_b32 s17, s31
	s_cbranch_execnz .LBB1450_1261
.LBB1450_1193:                          ;   in Loop: Header=BB1450_1040 Depth=2
	s_or_b32 exec_lo, exec_lo, s17
	s_and_saveexec_b32 s17, s33
	s_cbranch_execz .LBB1450_1195
.LBB1450_1194:                          ;   in Loop: Header=BB1450_1040 Depth=2
	v_lshlrev_b32_e32 v65, 2, v120
	ds_load_b32 v66, v65
	ds_load_b64 v[64:65], v64 offset:33280
	s_wait_dscnt 0x1
	v_add_nc_u32_e32 v66, v66, v82
	s_wait_dscnt 0x0
	global_store_b64 v66, v[64:65], s[46:47] scale_offset
.LBB1450_1195:                          ;   in Loop: Header=BB1450_1040 Depth=2
	s_wait_xcnt 0x0
	s_or_b32 exec_lo, exec_lo, s17
	s_wait_storecnt 0x0
	s_barrier_signal -1
	s_barrier_wait -1
	s_and_saveexec_b32 s17, s0
	s_cbranch_execz .LBB1450_1039
; %bb.1196:                             ;   in Loop: Header=BB1450_1040 Depth=2
	ds_load_b32 v64, v4
	s_wait_dscnt 0x0
	v_add3_u32 v64, v133, v138, v64
	ds_store_b32 v4, v64
	s_branch .LBB1450_1039
.LBB1450_1197:                          ;   in Loop: Header=BB1450_1040 Depth=2
	ds_load_b32 v64, v92 offset:512
	s_wait_dscnt 0x0
	v_cmp_ne_u32_e64 s17, 0x7fffffff, v64
	s_delay_alu instid0(VALU_DEP_1) | instskip(SKIP_1) | instid1(VALU_DEP_1)
	v_cndmask_b32_e64 v65, 0x80000000, v64, s17
	v_cmp_lt_i32_e64 s17, -1, v64
	v_cndmask_b32_e64 v140, 0x80000000, -1, s17
	s_delay_alu instid0(VALU_DEP_1) | instskip(NEXT) | instid1(VALU_DEP_1)
	v_dual_lshrrev_b32 v65, s49, v65 :: v_dual_bitop2_b32 v64, v140, v64 bitop3:0x14
	v_and_b32_e32 v65, s58, v65
	s_delay_alu instid0(VALU_DEP_1)
	v_lshlrev_b32_e32 v65, 2, v65
	ds_load_b32 v65, v65
	s_wait_dscnt 0x0
	v_add_nc_u32_e32 v65, v65, v2
	global_store_b32 v65, v64, s[40:41] scale_offset
	s_wait_xcnt 0x0
	s_or_b32 exec_lo, exec_lo, s18
	v_cmp_lt_u32_e64 s17, v3, v139
	s_and_saveexec_b32 s19, s17
	s_cbranch_execz .LBB1450_1126
.LBB1450_1198:                          ;   in Loop: Header=BB1450_1040 Depth=2
	ds_load_b32 v64, v92 offset:1536
	s_wait_dscnt 0x0
	v_cmp_ne_u32_e64 s18, 0x7fffffff, v64
	s_delay_alu instid0(VALU_DEP_1) | instskip(SKIP_1) | instid1(VALU_DEP_1)
	v_cndmask_b32_e64 v65, 0x80000000, v64, s18
	v_cmp_lt_i32_e64 s18, -1, v64
	v_cndmask_b32_e64 v140, 0x80000000, -1, s18
	s_delay_alu instid0(VALU_DEP_1) | instskip(NEXT) | instid1(VALU_DEP_1)
	v_dual_lshrrev_b32 v65, s49, v65 :: v_dual_bitop2_b32 v64, v140, v64 bitop3:0x14
	v_and_b32_e32 v65, s58, v65
	s_delay_alu instid0(VALU_DEP_1)
	v_lshlrev_b32_e32 v65, 2, v65
	ds_load_b32 v65, v65
	s_wait_dscnt 0x0
	v_add_nc_u32_e32 v65, v65, v3
	global_store_b32 v65, v64, s[40:41] scale_offset
	s_wait_xcnt 0x0
	s_or_b32 exec_lo, exec_lo, s19
	v_cmp_lt_u32_e64 s18, v68, v139
	s_and_saveexec_b32 s20, s18
	s_cbranch_execz .LBB1450_1127
.LBB1450_1199:                          ;   in Loop: Header=BB1450_1040 Depth=2
	ds_load_b32 v64, v92 offset:2560
	s_wait_dscnt 0x0
	v_cmp_ne_u32_e64 s19, 0x7fffffff, v64
	s_delay_alu instid0(VALU_DEP_1) | instskip(SKIP_1) | instid1(VALU_DEP_1)
	v_cndmask_b32_e64 v65, 0x80000000, v64, s19
	v_cmp_lt_i32_e64 s19, -1, v64
	v_cndmask_b32_e64 v140, 0x80000000, -1, s19
	s_delay_alu instid0(VALU_DEP_1) | instskip(NEXT) | instid1(VALU_DEP_1)
	v_dual_lshrrev_b32 v65, s49, v65 :: v_dual_bitop2_b32 v64, v140, v64 bitop3:0x14
	v_and_b32_e32 v65, s58, v65
	s_delay_alu instid0(VALU_DEP_1)
	v_lshlrev_b32_e32 v65, 2, v65
	ds_load_b32 v65, v65
	s_wait_dscnt 0x0
	v_add_nc_u32_e32 v65, v65, v68
	global_store_b32 v65, v64, s[40:41] scale_offset
	s_wait_xcnt 0x0
	s_or_b32 exec_lo, exec_lo, s20
	v_cmp_lt_u32_e64 s19, v69, v139
	s_and_saveexec_b32 s21, s19
	s_cbranch_execz .LBB1450_1128
.LBB1450_1200:                          ;   in Loop: Header=BB1450_1040 Depth=2
	ds_load_b32 v64, v92 offset:3584
	s_wait_dscnt 0x0
	v_cmp_ne_u32_e64 s20, 0x7fffffff, v64
	s_delay_alu instid0(VALU_DEP_1) | instskip(SKIP_1) | instid1(VALU_DEP_1)
	v_cndmask_b32_e64 v65, 0x80000000, v64, s20
	v_cmp_lt_i32_e64 s20, -1, v64
	v_cndmask_b32_e64 v140, 0x80000000, -1, s20
	s_delay_alu instid0(VALU_DEP_1) | instskip(NEXT) | instid1(VALU_DEP_1)
	v_dual_lshrrev_b32 v65, s49, v65 :: v_dual_bitop2_b32 v64, v140, v64 bitop3:0x14
	v_and_b32_e32 v65, s58, v65
	s_delay_alu instid0(VALU_DEP_1)
	v_lshlrev_b32_e32 v65, 2, v65
	ds_load_b32 v65, v65
	s_wait_dscnt 0x0
	v_add_nc_u32_e32 v65, v65, v69
	global_store_b32 v65, v64, s[40:41] scale_offset
	s_wait_xcnt 0x0
	s_or_b32 exec_lo, exec_lo, s21
	v_cmp_lt_u32_e64 s20, v70, v139
	s_and_saveexec_b32 s22, s20
	s_cbranch_execz .LBB1450_1129
.LBB1450_1201:                          ;   in Loop: Header=BB1450_1040 Depth=2
	ds_load_b32 v64, v92 offset:4608
	s_wait_dscnt 0x0
	v_cmp_ne_u32_e64 s21, 0x7fffffff, v64
	s_delay_alu instid0(VALU_DEP_1) | instskip(SKIP_1) | instid1(VALU_DEP_1)
	v_cndmask_b32_e64 v65, 0x80000000, v64, s21
	v_cmp_lt_i32_e64 s21, -1, v64
	v_cndmask_b32_e64 v140, 0x80000000, -1, s21
	s_delay_alu instid0(VALU_DEP_1) | instskip(NEXT) | instid1(VALU_DEP_1)
	v_dual_lshrrev_b32 v65, s49, v65 :: v_dual_bitop2_b32 v64, v140, v64 bitop3:0x14
	v_and_b32_e32 v65, s58, v65
	s_delay_alu instid0(VALU_DEP_1)
	v_lshlrev_b32_e32 v65, 2, v65
	ds_load_b32 v65, v65
	s_wait_dscnt 0x0
	v_add_nc_u32_e32 v65, v65, v70
	global_store_b32 v65, v64, s[40:41] scale_offset
	s_wait_xcnt 0x0
	s_or_b32 exec_lo, exec_lo, s22
	v_cmp_lt_u32_e64 s21, v71, v139
	s_and_saveexec_b32 s23, s21
	s_cbranch_execz .LBB1450_1130
.LBB1450_1202:                          ;   in Loop: Header=BB1450_1040 Depth=2
	ds_load_b32 v64, v92 offset:5632
	s_wait_dscnt 0x0
	v_cmp_ne_u32_e64 s22, 0x7fffffff, v64
	s_delay_alu instid0(VALU_DEP_1) | instskip(SKIP_1) | instid1(VALU_DEP_1)
	v_cndmask_b32_e64 v65, 0x80000000, v64, s22
	v_cmp_lt_i32_e64 s22, -1, v64
	v_cndmask_b32_e64 v140, 0x80000000, -1, s22
	s_delay_alu instid0(VALU_DEP_1) | instskip(NEXT) | instid1(VALU_DEP_1)
	v_dual_lshrrev_b32 v65, s49, v65 :: v_dual_bitop2_b32 v64, v140, v64 bitop3:0x14
	v_and_b32_e32 v65, s58, v65
	s_delay_alu instid0(VALU_DEP_1)
	v_lshlrev_b32_e32 v65, 2, v65
	ds_load_b32 v65, v65
	s_wait_dscnt 0x0
	v_add_nc_u32_e32 v65, v65, v71
	global_store_b32 v65, v64, s[40:41] scale_offset
	s_wait_xcnt 0x0
	s_or_b32 exec_lo, exec_lo, s23
	v_cmp_lt_u32_e64 s22, v72, v139
	s_and_saveexec_b32 s24, s22
	s_cbranch_execz .LBB1450_1131
.LBB1450_1203:                          ;   in Loop: Header=BB1450_1040 Depth=2
	ds_load_b32 v64, v92 offset:6656
	s_wait_dscnt 0x0
	v_cmp_ne_u32_e64 s23, 0x7fffffff, v64
	s_delay_alu instid0(VALU_DEP_1) | instskip(SKIP_1) | instid1(VALU_DEP_1)
	v_cndmask_b32_e64 v65, 0x80000000, v64, s23
	v_cmp_lt_i32_e64 s23, -1, v64
	v_cndmask_b32_e64 v140, 0x80000000, -1, s23
	s_delay_alu instid0(VALU_DEP_1) | instskip(NEXT) | instid1(VALU_DEP_1)
	v_dual_lshrrev_b32 v65, s49, v65 :: v_dual_bitop2_b32 v64, v140, v64 bitop3:0x14
	v_and_b32_e32 v65, s58, v65
	s_delay_alu instid0(VALU_DEP_1)
	v_lshlrev_b32_e32 v65, 2, v65
	ds_load_b32 v65, v65
	s_wait_dscnt 0x0
	v_add_nc_u32_e32 v65, v65, v72
	global_store_b32 v65, v64, s[40:41] scale_offset
	s_wait_xcnt 0x0
	s_or_b32 exec_lo, exec_lo, s24
	v_cmp_lt_u32_e64 s23, v73, v139
	s_and_saveexec_b32 s25, s23
	s_cbranch_execz .LBB1450_1132
.LBB1450_1204:                          ;   in Loop: Header=BB1450_1040 Depth=2
	ds_load_b32 v64, v92 offset:7680
	s_wait_dscnt 0x0
	v_cmp_ne_u32_e64 s24, 0x7fffffff, v64
	s_delay_alu instid0(VALU_DEP_1) | instskip(SKIP_1) | instid1(VALU_DEP_1)
	v_cndmask_b32_e64 v65, 0x80000000, v64, s24
	v_cmp_lt_i32_e64 s24, -1, v64
	v_cndmask_b32_e64 v140, 0x80000000, -1, s24
	s_delay_alu instid0(VALU_DEP_1) | instskip(NEXT) | instid1(VALU_DEP_1)
	v_dual_lshrrev_b32 v65, s49, v65 :: v_dual_bitop2_b32 v64, v140, v64 bitop3:0x14
	v_and_b32_e32 v65, s58, v65
	s_delay_alu instid0(VALU_DEP_1)
	v_lshlrev_b32_e32 v65, 2, v65
	ds_load_b32 v65, v65
	s_wait_dscnt 0x0
	v_add_nc_u32_e32 v65, v65, v73
	global_store_b32 v65, v64, s[40:41] scale_offset
	s_wait_xcnt 0x0
	s_or_b32 exec_lo, exec_lo, s25
	v_cmp_lt_u32_e64 s24, v74, v139
	s_and_saveexec_b32 s26, s24
	s_cbranch_execz .LBB1450_1133
.LBB1450_1205:                          ;   in Loop: Header=BB1450_1040 Depth=2
	ds_load_b32 v64, v92 offset:8704
	s_wait_dscnt 0x0
	v_cmp_ne_u32_e64 s25, 0x7fffffff, v64
	s_delay_alu instid0(VALU_DEP_1) | instskip(SKIP_1) | instid1(VALU_DEP_1)
	v_cndmask_b32_e64 v65, 0x80000000, v64, s25
	v_cmp_lt_i32_e64 s25, -1, v64
	v_cndmask_b32_e64 v140, 0x80000000, -1, s25
	s_delay_alu instid0(VALU_DEP_1) | instskip(NEXT) | instid1(VALU_DEP_1)
	v_dual_lshrrev_b32 v65, s49, v65 :: v_dual_bitop2_b32 v64, v140, v64 bitop3:0x14
	v_and_b32_e32 v65, s58, v65
	s_delay_alu instid0(VALU_DEP_1)
	v_lshlrev_b32_e32 v65, 2, v65
	ds_load_b32 v65, v65
	s_wait_dscnt 0x0
	v_add_nc_u32_e32 v65, v65, v74
	global_store_b32 v65, v64, s[40:41] scale_offset
	s_wait_xcnt 0x0
	s_or_b32 exec_lo, exec_lo, s26
	v_cmp_lt_u32_e64 s25, v75, v139
	s_and_saveexec_b32 s27, s25
	s_cbranch_execz .LBB1450_1134
.LBB1450_1206:                          ;   in Loop: Header=BB1450_1040 Depth=2
	ds_load_b32 v64, v92 offset:9728
	s_wait_dscnt 0x0
	v_cmp_ne_u32_e64 s26, 0x7fffffff, v64
	s_delay_alu instid0(VALU_DEP_1) | instskip(SKIP_1) | instid1(VALU_DEP_1)
	v_cndmask_b32_e64 v65, 0x80000000, v64, s26
	v_cmp_lt_i32_e64 s26, -1, v64
	v_cndmask_b32_e64 v140, 0x80000000, -1, s26
	s_delay_alu instid0(VALU_DEP_1) | instskip(NEXT) | instid1(VALU_DEP_1)
	v_dual_lshrrev_b32 v65, s49, v65 :: v_dual_bitop2_b32 v64, v140, v64 bitop3:0x14
	v_and_b32_e32 v65, s58, v65
	s_delay_alu instid0(VALU_DEP_1)
	v_lshlrev_b32_e32 v65, 2, v65
	ds_load_b32 v65, v65
	s_wait_dscnt 0x0
	v_add_nc_u32_e32 v65, v65, v75
	global_store_b32 v65, v64, s[40:41] scale_offset
	s_wait_xcnt 0x0
	s_or_b32 exec_lo, exec_lo, s27
	v_cmp_lt_u32_e64 s26, v76, v139
	s_and_saveexec_b32 s28, s26
	s_cbranch_execz .LBB1450_1135
.LBB1450_1207:                          ;   in Loop: Header=BB1450_1040 Depth=2
	ds_load_b32 v64, v92 offset:10752
	s_wait_dscnt 0x0
	v_cmp_ne_u32_e64 s27, 0x7fffffff, v64
	s_delay_alu instid0(VALU_DEP_1) | instskip(SKIP_1) | instid1(VALU_DEP_1)
	v_cndmask_b32_e64 v65, 0x80000000, v64, s27
	v_cmp_lt_i32_e64 s27, -1, v64
	v_cndmask_b32_e64 v140, 0x80000000, -1, s27
	s_delay_alu instid0(VALU_DEP_1) | instskip(NEXT) | instid1(VALU_DEP_1)
	v_dual_lshrrev_b32 v65, s49, v65 :: v_dual_bitop2_b32 v64, v140, v64 bitop3:0x14
	v_and_b32_e32 v65, s58, v65
	s_delay_alu instid0(VALU_DEP_1)
	v_lshlrev_b32_e32 v65, 2, v65
	ds_load_b32 v65, v65
	s_wait_dscnt 0x0
	v_add_nc_u32_e32 v65, v65, v76
	global_store_b32 v65, v64, s[40:41] scale_offset
	s_wait_xcnt 0x0
	s_or_b32 exec_lo, exec_lo, s28
	v_cmp_lt_u32_e64 s27, v77, v139
	s_and_saveexec_b32 s29, s27
	s_cbranch_execz .LBB1450_1136
.LBB1450_1208:                          ;   in Loop: Header=BB1450_1040 Depth=2
	ds_load_b32 v64, v92 offset:11776
	s_wait_dscnt 0x0
	v_cmp_ne_u32_e64 s28, 0x7fffffff, v64
	s_delay_alu instid0(VALU_DEP_1) | instskip(SKIP_1) | instid1(VALU_DEP_1)
	v_cndmask_b32_e64 v65, 0x80000000, v64, s28
	v_cmp_lt_i32_e64 s28, -1, v64
	v_cndmask_b32_e64 v140, 0x80000000, -1, s28
	s_delay_alu instid0(VALU_DEP_1) | instskip(NEXT) | instid1(VALU_DEP_1)
	v_dual_lshrrev_b32 v65, s49, v65 :: v_dual_bitop2_b32 v64, v140, v64 bitop3:0x14
	v_and_b32_e32 v65, s58, v65
	s_delay_alu instid0(VALU_DEP_1)
	v_lshlrev_b32_e32 v65, 2, v65
	ds_load_b32 v65, v65
	s_wait_dscnt 0x0
	v_add_nc_u32_e32 v65, v65, v77
	global_store_b32 v65, v64, s[40:41] scale_offset
	s_wait_xcnt 0x0
	s_or_b32 exec_lo, exec_lo, s29
	v_cmp_lt_u32_e64 s28, v78, v139
	s_and_saveexec_b32 s30, s28
	s_cbranch_execz .LBB1450_1137
.LBB1450_1209:                          ;   in Loop: Header=BB1450_1040 Depth=2
	ds_load_b32 v64, v92 offset:12800
	s_wait_dscnt 0x0
	v_cmp_ne_u32_e64 s29, 0x7fffffff, v64
	s_delay_alu instid0(VALU_DEP_1) | instskip(SKIP_1) | instid1(VALU_DEP_1)
	v_cndmask_b32_e64 v65, 0x80000000, v64, s29
	v_cmp_lt_i32_e64 s29, -1, v64
	v_cndmask_b32_e64 v140, 0x80000000, -1, s29
	s_delay_alu instid0(VALU_DEP_1) | instskip(NEXT) | instid1(VALU_DEP_1)
	v_dual_lshrrev_b32 v65, s49, v65 :: v_dual_bitop2_b32 v64, v140, v64 bitop3:0x14
	v_and_b32_e32 v65, s58, v65
	s_delay_alu instid0(VALU_DEP_1)
	v_lshlrev_b32_e32 v65, 2, v65
	ds_load_b32 v65, v65
	s_wait_dscnt 0x0
	v_add_nc_u32_e32 v65, v65, v78
	global_store_b32 v65, v64, s[40:41] scale_offset
	s_wait_xcnt 0x0
	s_or_b32 exec_lo, exec_lo, s30
	v_cmp_lt_u32_e64 s29, v79, v139
	s_and_saveexec_b32 s31, s29
	s_cbranch_execz .LBB1450_1138
.LBB1450_1210:                          ;   in Loop: Header=BB1450_1040 Depth=2
	ds_load_b32 v64, v92 offset:13824
	s_wait_dscnt 0x0
	v_cmp_ne_u32_e64 s30, 0x7fffffff, v64
	s_delay_alu instid0(VALU_DEP_1) | instskip(SKIP_1) | instid1(VALU_DEP_1)
	v_cndmask_b32_e64 v65, 0x80000000, v64, s30
	v_cmp_lt_i32_e64 s30, -1, v64
	v_cndmask_b32_e64 v140, 0x80000000, -1, s30
	s_delay_alu instid0(VALU_DEP_1) | instskip(NEXT) | instid1(VALU_DEP_1)
	v_dual_lshrrev_b32 v65, s49, v65 :: v_dual_bitop2_b32 v64, v140, v64 bitop3:0x14
	v_and_b32_e32 v65, s58, v65
	s_delay_alu instid0(VALU_DEP_1)
	v_lshlrev_b32_e32 v65, 2, v65
	ds_load_b32 v65, v65
	s_wait_dscnt 0x0
	v_add_nc_u32_e32 v65, v65, v79
	global_store_b32 v65, v64, s[40:41] scale_offset
	s_wait_xcnt 0x0
	s_or_b32 exec_lo, exec_lo, s31
	v_cmp_lt_u32_e64 s30, v80, v139
	s_and_saveexec_b32 s33, s30
	s_cbranch_execz .LBB1450_1139
.LBB1450_1211:                          ;   in Loop: Header=BB1450_1040 Depth=2
	ds_load_b32 v64, v92 offset:14848
	s_wait_dscnt 0x0
	v_cmp_ne_u32_e64 s31, 0x7fffffff, v64
	s_delay_alu instid0(VALU_DEP_1) | instskip(SKIP_1) | instid1(VALU_DEP_1)
	v_cndmask_b32_e64 v65, 0x80000000, v64, s31
	v_cmp_lt_i32_e64 s31, -1, v64
	v_cndmask_b32_e64 v140, 0x80000000, -1, s31
	s_delay_alu instid0(VALU_DEP_1) | instskip(NEXT) | instid1(VALU_DEP_1)
	v_dual_lshrrev_b32 v65, s49, v65 :: v_dual_bitop2_b32 v64, v140, v64 bitop3:0x14
	v_and_b32_e32 v65, s58, v65
	s_delay_alu instid0(VALU_DEP_1)
	v_lshlrev_b32_e32 v65, 2, v65
	ds_load_b32 v65, v65
	s_wait_dscnt 0x0
	v_add_nc_u32_e32 v65, v65, v80
	global_store_b32 v65, v64, s[40:41] scale_offset
	s_wait_xcnt 0x0
	s_or_b32 exec_lo, exec_lo, s33
	v_cmp_lt_u32_e64 s31, v81, v139
	s_and_saveexec_b32 s34, s31
	s_cbranch_execz .LBB1450_1140
.LBB1450_1212:                          ;   in Loop: Header=BB1450_1040 Depth=2
	ds_load_b32 v64, v92 offset:15872
	s_wait_dscnt 0x0
	v_cmp_ne_u32_e64 s33, 0x7fffffff, v64
	s_delay_alu instid0(VALU_DEP_1) | instskip(SKIP_1) | instid1(VALU_DEP_1)
	v_cndmask_b32_e64 v65, 0x80000000, v64, s33
	v_cmp_lt_i32_e64 s33, -1, v64
	v_cndmask_b32_e64 v140, 0x80000000, -1, s33
	s_delay_alu instid0(VALU_DEP_1) | instskip(NEXT) | instid1(VALU_DEP_1)
	v_dual_lshrrev_b32 v65, s49, v65 :: v_dual_bitop2_b32 v64, v140, v64 bitop3:0x14
	v_and_b32_e32 v65, s58, v65
	s_delay_alu instid0(VALU_DEP_1)
	v_lshlrev_b32_e32 v65, 2, v65
	ds_load_b32 v65, v65
	s_wait_dscnt 0x0
	v_add_nc_u32_e32 v65, v65, v81
	global_store_b32 v65, v64, s[40:41] scale_offset
	s_wait_xcnt 0x0
	s_or_b32 exec_lo, exec_lo, s34
	v_cmp_lt_u32_e64 s33, v82, v139
	s_and_saveexec_b32 s61, s33
	s_cbranch_execnz .LBB1450_1141
	s_branch .LBB1450_1142
.LBB1450_1213:                          ;   in Loop: Header=BB1450_1040 Depth=2
	global_load_b64 v[62:63], v[64:65], off
	s_wait_xcnt 0x0
	s_or_b32 exec_lo, exec_lo, s34
	s_delay_alu instid0(SALU_CYCLE_1)
	s_mov_b32 s42, exec_lo
	v_cmpx_lt_u32_e64 v104, v139
	s_cbranch_execz .LBB1450_1144
.LBB1450_1214:                          ;   in Loop: Header=BB1450_1040 Depth=2
	global_load_b64 v[60:61], v[64:65], off offset:256
	s_wait_xcnt 0x0
	s_or_b32 exec_lo, exec_lo, s42
	s_delay_alu instid0(SALU_CYCLE_1)
	s_mov_b32 s42, exec_lo
	v_cmpx_lt_u32_e64 v105, v139
	s_cbranch_execz .LBB1450_1145
.LBB1450_1215:                          ;   in Loop: Header=BB1450_1040 Depth=2
	global_load_b64 v[58:59], v[64:65], off offset:512
	s_wait_xcnt 0x0
	s_or_b32 exec_lo, exec_lo, s42
	s_delay_alu instid0(SALU_CYCLE_1)
	s_mov_b32 s42, exec_lo
	v_cmpx_lt_u32_e64 v106, v139
	s_cbranch_execz .LBB1450_1146
.LBB1450_1216:                          ;   in Loop: Header=BB1450_1040 Depth=2
	global_load_b64 v[56:57], v[64:65], off offset:768
	s_wait_xcnt 0x0
	s_or_b32 exec_lo, exec_lo, s42
	s_delay_alu instid0(SALU_CYCLE_1)
	s_mov_b32 s42, exec_lo
	v_cmpx_lt_u32_e64 v107, v139
	s_cbranch_execz .LBB1450_1147
.LBB1450_1217:                          ;   in Loop: Header=BB1450_1040 Depth=2
	global_load_b64 v[54:55], v[64:65], off offset:1024
	s_wait_xcnt 0x0
	s_or_b32 exec_lo, exec_lo, s42
	s_delay_alu instid0(SALU_CYCLE_1)
	s_mov_b32 s42, exec_lo
	v_cmpx_lt_u32_e64 v108, v139
	s_cbranch_execz .LBB1450_1148
.LBB1450_1218:                          ;   in Loop: Header=BB1450_1040 Depth=2
	global_load_b64 v[52:53], v[64:65], off offset:1280
	s_wait_xcnt 0x0
	s_or_b32 exec_lo, exec_lo, s42
	s_delay_alu instid0(SALU_CYCLE_1)
	s_mov_b32 s42, exec_lo
	v_cmpx_lt_u32_e64 v109, v139
	s_cbranch_execz .LBB1450_1149
.LBB1450_1219:                          ;   in Loop: Header=BB1450_1040 Depth=2
	global_load_b64 v[50:51], v[64:65], off offset:1536
	s_wait_xcnt 0x0
	s_or_b32 exec_lo, exec_lo, s42
	s_delay_alu instid0(SALU_CYCLE_1)
	s_mov_b32 s42, exec_lo
	v_cmpx_lt_u32_e64 v110, v139
	s_cbranch_execz .LBB1450_1150
.LBB1450_1220:                          ;   in Loop: Header=BB1450_1040 Depth=2
	global_load_b64 v[48:49], v[64:65], off offset:1792
	s_wait_xcnt 0x0
	s_or_b32 exec_lo, exec_lo, s42
	s_delay_alu instid0(SALU_CYCLE_1)
	s_mov_b32 s42, exec_lo
	v_cmpx_lt_u32_e64 v111, v139
	s_cbranch_execz .LBB1450_1151
.LBB1450_1221:                          ;   in Loop: Header=BB1450_1040 Depth=2
	global_load_b64 v[46:47], v[64:65], off offset:2048
	s_wait_xcnt 0x0
	s_or_b32 exec_lo, exec_lo, s42
	s_delay_alu instid0(SALU_CYCLE_1)
	s_mov_b32 s42, exec_lo
	v_cmpx_lt_u32_e64 v112, v139
	s_cbranch_execz .LBB1450_1152
.LBB1450_1222:                          ;   in Loop: Header=BB1450_1040 Depth=2
	global_load_b64 v[44:45], v[64:65], off offset:2304
	s_wait_xcnt 0x0
	s_or_b32 exec_lo, exec_lo, s42
	s_delay_alu instid0(SALU_CYCLE_1)
	s_mov_b32 s42, exec_lo
	v_cmpx_lt_u32_e64 v113, v139
	s_cbranch_execz .LBB1450_1153
.LBB1450_1223:                          ;   in Loop: Header=BB1450_1040 Depth=2
	global_load_b64 v[42:43], v[64:65], off offset:2560
	s_wait_xcnt 0x0
	s_or_b32 exec_lo, exec_lo, s42
	s_delay_alu instid0(SALU_CYCLE_1)
	s_mov_b32 s42, exec_lo
	v_cmpx_lt_u32_e64 v114, v139
	s_cbranch_execz .LBB1450_1154
.LBB1450_1224:                          ;   in Loop: Header=BB1450_1040 Depth=2
	global_load_b64 v[40:41], v[64:65], off offset:2816
	s_wait_xcnt 0x0
	s_or_b32 exec_lo, exec_lo, s42
	s_delay_alu instid0(SALU_CYCLE_1)
	s_mov_b32 s42, exec_lo
	v_cmpx_lt_u32_e64 v115, v139
	s_cbranch_execz .LBB1450_1155
.LBB1450_1225:                          ;   in Loop: Header=BB1450_1040 Depth=2
	global_load_b64 v[38:39], v[64:65], off offset:3072
	s_wait_xcnt 0x0
	s_or_b32 exec_lo, exec_lo, s42
	s_delay_alu instid0(SALU_CYCLE_1)
	s_mov_b32 s42, exec_lo
	v_cmpx_lt_u32_e64 v116, v139
	s_cbranch_execz .LBB1450_1156
.LBB1450_1226:                          ;   in Loop: Header=BB1450_1040 Depth=2
	global_load_b64 v[36:37], v[64:65], off offset:3328
	s_wait_xcnt 0x0
	s_or_b32 exec_lo, exec_lo, s42
	s_delay_alu instid0(SALU_CYCLE_1)
	s_mov_b32 s42, exec_lo
	v_cmpx_lt_u32_e64 v117, v139
	s_cbranch_execz .LBB1450_1157
.LBB1450_1227:                          ;   in Loop: Header=BB1450_1040 Depth=2
	global_load_b64 v[34:35], v[64:65], off offset:3584
	s_wait_xcnt 0x0
	s_or_b32 exec_lo, exec_lo, s42
	s_delay_alu instid0(SALU_CYCLE_1)
	s_mov_b32 s42, exec_lo
	v_cmpx_lt_u32_e64 v118, v139
	s_cbranch_execz .LBB1450_1158
.LBB1450_1228:                          ;   in Loop: Header=BB1450_1040 Depth=2
	global_load_b64 v[32:33], v[64:65], off offset:3840
	s_wait_xcnt 0x0
	s_or_b32 exec_lo, exec_lo, s42
	s_delay_alu instid0(SALU_CYCLE_1)
	s_mov_b32 s42, exec_lo
	v_cmpx_lt_u32_e64 v5, v139
	s_cbranch_execz .LBB1450_1159
.LBB1450_1229:                          ;   in Loop: Header=BB1450_1040 Depth=2
	global_load_b64 v[30:31], v[64:65], off offset:4096
	s_wait_xcnt 0x0
	s_or_b32 exec_lo, exec_lo, s42
	s_and_saveexec_b32 s42, vcc_lo
	s_cbranch_execz .LBB1450_1160
.LBB1450_1230:                          ;   in Loop: Header=BB1450_1040 Depth=2
	ds_load_b32 v64, v92 offset:512
	s_wait_dscnt 0x0
	v_cmp_ne_u32_e64 s34, 0x7fffffff, v64
	s_delay_alu instid0(VALU_DEP_1) | instskip(NEXT) | instid1(VALU_DEP_1)
	v_cndmask_b32_e64 v64, 0x80000000, v64, s34
	v_lshrrev_b32_e32 v64, s49, v64
	s_delay_alu instid0(VALU_DEP_1)
	v_and_b32_e32 v137, s58, v64
	s_or_b32 exec_lo, exec_lo, s42
	s_and_saveexec_b32 s42, s17
	s_cbranch_execz .LBB1450_1161
.LBB1450_1231:                          ;   in Loop: Header=BB1450_1040 Depth=2
	ds_load_b32 v64, v92 offset:1536
	s_wait_dscnt 0x0
	v_cmp_ne_u32_e64 s34, 0x7fffffff, v64
	s_delay_alu instid0(VALU_DEP_1) | instskip(NEXT) | instid1(VALU_DEP_1)
	v_cndmask_b32_e64 v64, 0x80000000, v64, s34
	v_lshrrev_b32_e32 v64, s49, v64
	s_delay_alu instid0(VALU_DEP_1)
	v_and_b32_e32 v136, s58, v64
	s_or_b32 exec_lo, exec_lo, s42
	s_and_saveexec_b32 s42, s18
	s_cbranch_execz .LBB1450_1162
.LBB1450_1232:                          ;   in Loop: Header=BB1450_1040 Depth=2
	ds_load_b32 v64, v92 offset:2560
	s_wait_dscnt 0x0
	v_cmp_ne_u32_e64 s34, 0x7fffffff, v64
	s_delay_alu instid0(VALU_DEP_1) | instskip(NEXT) | instid1(VALU_DEP_1)
	v_cndmask_b32_e64 v64, 0x80000000, v64, s34
	v_lshrrev_b32_e32 v64, s49, v64
	s_delay_alu instid0(VALU_DEP_1)
	v_and_b32_e32 v135, s58, v64
	s_or_b32 exec_lo, exec_lo, s42
	s_and_saveexec_b32 s42, s19
	s_cbranch_execz .LBB1450_1163
.LBB1450_1233:                          ;   in Loop: Header=BB1450_1040 Depth=2
	ds_load_b32 v64, v92 offset:3584
	s_wait_dscnt 0x0
	v_cmp_ne_u32_e64 s34, 0x7fffffff, v64
	s_delay_alu instid0(VALU_DEP_1) | instskip(NEXT) | instid1(VALU_DEP_1)
	v_cndmask_b32_e64 v64, 0x80000000, v64, s34
	v_lshrrev_b32_e32 v64, s49, v64
	s_delay_alu instid0(VALU_DEP_1)
	v_and_b32_e32 v134, s58, v64
	s_or_b32 exec_lo, exec_lo, s42
	s_and_saveexec_b32 s42, s20
	s_cbranch_execz .LBB1450_1164
.LBB1450_1234:                          ;   in Loop: Header=BB1450_1040 Depth=2
	ds_load_b32 v64, v92 offset:4608
	s_wait_dscnt 0x0
	v_cmp_ne_u32_e64 s34, 0x7fffffff, v64
	s_delay_alu instid0(VALU_DEP_1) | instskip(NEXT) | instid1(VALU_DEP_1)
	v_cndmask_b32_e64 v64, 0x80000000, v64, s34
	v_lshrrev_b32_e32 v64, s49, v64
	s_delay_alu instid0(VALU_DEP_1)
	v_and_b32_e32 v132, s58, v64
	s_or_b32 exec_lo, exec_lo, s42
	s_and_saveexec_b32 s42, s21
	s_cbranch_execz .LBB1450_1165
.LBB1450_1235:                          ;   in Loop: Header=BB1450_1040 Depth=2
	ds_load_b32 v64, v92 offset:5632
	s_wait_dscnt 0x0
	v_cmp_ne_u32_e64 s34, 0x7fffffff, v64
	s_delay_alu instid0(VALU_DEP_1) | instskip(NEXT) | instid1(VALU_DEP_1)
	v_cndmask_b32_e64 v64, 0x80000000, v64, s34
	v_lshrrev_b32_e32 v64, s49, v64
	s_delay_alu instid0(VALU_DEP_1)
	v_and_b32_e32 v131, s58, v64
	s_or_b32 exec_lo, exec_lo, s42
	s_and_saveexec_b32 s42, s22
	s_cbranch_execz .LBB1450_1166
.LBB1450_1236:                          ;   in Loop: Header=BB1450_1040 Depth=2
	ds_load_b32 v64, v92 offset:6656
	s_wait_dscnt 0x0
	v_cmp_ne_u32_e64 s34, 0x7fffffff, v64
	s_delay_alu instid0(VALU_DEP_1) | instskip(NEXT) | instid1(VALU_DEP_1)
	v_cndmask_b32_e64 v64, 0x80000000, v64, s34
	v_lshrrev_b32_e32 v64, s49, v64
	s_delay_alu instid0(VALU_DEP_1)
	v_and_b32_e32 v130, s58, v64
	s_or_b32 exec_lo, exec_lo, s42
	s_and_saveexec_b32 s42, s23
	s_cbranch_execz .LBB1450_1167
.LBB1450_1237:                          ;   in Loop: Header=BB1450_1040 Depth=2
	ds_load_b32 v64, v92 offset:7680
	s_wait_dscnt 0x0
	v_cmp_ne_u32_e64 s34, 0x7fffffff, v64
	s_delay_alu instid0(VALU_DEP_1) | instskip(NEXT) | instid1(VALU_DEP_1)
	v_cndmask_b32_e64 v64, 0x80000000, v64, s34
	v_lshrrev_b32_e32 v64, s49, v64
	s_delay_alu instid0(VALU_DEP_1)
	v_and_b32_e32 v129, s58, v64
	s_or_b32 exec_lo, exec_lo, s42
	s_and_saveexec_b32 s42, s24
	s_cbranch_execz .LBB1450_1168
.LBB1450_1238:                          ;   in Loop: Header=BB1450_1040 Depth=2
	ds_load_b32 v64, v92 offset:8704
	s_wait_dscnt 0x0
	v_cmp_ne_u32_e64 s34, 0x7fffffff, v64
	s_delay_alu instid0(VALU_DEP_1) | instskip(NEXT) | instid1(VALU_DEP_1)
	v_cndmask_b32_e64 v64, 0x80000000, v64, s34
	v_lshrrev_b32_e32 v64, s49, v64
	s_delay_alu instid0(VALU_DEP_1)
	v_and_b32_e32 v128, s58, v64
	s_or_b32 exec_lo, exec_lo, s42
	s_and_saveexec_b32 s42, s25
	s_cbranch_execz .LBB1450_1169
.LBB1450_1239:                          ;   in Loop: Header=BB1450_1040 Depth=2
	ds_load_b32 v64, v92 offset:9728
	s_wait_dscnt 0x0
	v_cmp_ne_u32_e64 s34, 0x7fffffff, v64
	s_delay_alu instid0(VALU_DEP_1) | instskip(NEXT) | instid1(VALU_DEP_1)
	v_cndmask_b32_e64 v64, 0x80000000, v64, s34
	v_lshrrev_b32_e32 v64, s49, v64
	s_delay_alu instid0(VALU_DEP_1)
	v_and_b32_e32 v127, s58, v64
	s_or_b32 exec_lo, exec_lo, s42
	s_and_saveexec_b32 s42, s26
	s_cbranch_execz .LBB1450_1170
.LBB1450_1240:                          ;   in Loop: Header=BB1450_1040 Depth=2
	ds_load_b32 v64, v92 offset:10752
	s_wait_dscnt 0x0
	v_cmp_ne_u32_e64 s34, 0x7fffffff, v64
	s_delay_alu instid0(VALU_DEP_1) | instskip(NEXT) | instid1(VALU_DEP_1)
	v_cndmask_b32_e64 v64, 0x80000000, v64, s34
	v_lshrrev_b32_e32 v64, s49, v64
	s_delay_alu instid0(VALU_DEP_1)
	v_and_b32_e32 v126, s58, v64
	s_or_b32 exec_lo, exec_lo, s42
	s_and_saveexec_b32 s42, s27
	s_cbranch_execz .LBB1450_1171
.LBB1450_1241:                          ;   in Loop: Header=BB1450_1040 Depth=2
	ds_load_b32 v64, v92 offset:11776
	s_wait_dscnt 0x0
	v_cmp_ne_u32_e64 s34, 0x7fffffff, v64
	s_delay_alu instid0(VALU_DEP_1) | instskip(NEXT) | instid1(VALU_DEP_1)
	v_cndmask_b32_e64 v64, 0x80000000, v64, s34
	v_lshrrev_b32_e32 v64, s49, v64
	s_delay_alu instid0(VALU_DEP_1)
	v_and_b32_e32 v125, s58, v64
	s_or_b32 exec_lo, exec_lo, s42
	s_and_saveexec_b32 s42, s28
	s_cbranch_execz .LBB1450_1172
.LBB1450_1242:                          ;   in Loop: Header=BB1450_1040 Depth=2
	ds_load_b32 v64, v92 offset:12800
	s_wait_dscnt 0x0
	v_cmp_ne_u32_e64 s34, 0x7fffffff, v64
	s_delay_alu instid0(VALU_DEP_1) | instskip(NEXT) | instid1(VALU_DEP_1)
	v_cndmask_b32_e64 v64, 0x80000000, v64, s34
	v_lshrrev_b32_e32 v64, s49, v64
	s_delay_alu instid0(VALU_DEP_1)
	v_and_b32_e32 v124, s58, v64
	s_or_b32 exec_lo, exec_lo, s42
	s_and_saveexec_b32 s42, s29
	s_cbranch_execz .LBB1450_1173
.LBB1450_1243:                          ;   in Loop: Header=BB1450_1040 Depth=2
	ds_load_b32 v64, v92 offset:13824
	s_wait_dscnt 0x0
	v_cmp_ne_u32_e64 s34, 0x7fffffff, v64
	s_delay_alu instid0(VALU_DEP_1) | instskip(NEXT) | instid1(VALU_DEP_1)
	v_cndmask_b32_e64 v64, 0x80000000, v64, s34
	v_lshrrev_b32_e32 v64, s49, v64
	s_delay_alu instid0(VALU_DEP_1)
	v_and_b32_e32 v123, s58, v64
	s_or_b32 exec_lo, exec_lo, s42
	s_and_saveexec_b32 s42, s30
	s_cbranch_execz .LBB1450_1174
.LBB1450_1244:                          ;   in Loop: Header=BB1450_1040 Depth=2
	ds_load_b32 v64, v92 offset:14848
	s_wait_dscnt 0x0
	v_cmp_ne_u32_e64 s34, 0x7fffffff, v64
	s_delay_alu instid0(VALU_DEP_1) | instskip(NEXT) | instid1(VALU_DEP_1)
	v_cndmask_b32_e64 v64, 0x80000000, v64, s34
	v_lshrrev_b32_e32 v64, s49, v64
	s_delay_alu instid0(VALU_DEP_1)
	v_and_b32_e32 v122, s58, v64
	s_or_b32 exec_lo, exec_lo, s42
	s_and_saveexec_b32 s42, s31
	s_cbranch_execz .LBB1450_1175
.LBB1450_1245:                          ;   in Loop: Header=BB1450_1040 Depth=2
	ds_load_b32 v64, v92 offset:15872
	s_wait_dscnt 0x0
	v_cmp_ne_u32_e64 s34, 0x7fffffff, v64
	s_delay_alu instid0(VALU_DEP_1) | instskip(NEXT) | instid1(VALU_DEP_1)
	v_cndmask_b32_e64 v64, 0x80000000, v64, s34
	v_lshrrev_b32_e32 v64, s49, v64
	s_delay_alu instid0(VALU_DEP_1)
	v_and_b32_e32 v121, s58, v64
	s_or_b32 exec_lo, exec_lo, s42
	s_and_saveexec_b32 s42, s33
	s_cbranch_execnz .LBB1450_1176
	s_branch .LBB1450_1177
.LBB1450_1246:                          ;   in Loop: Header=BB1450_1040 Depth=2
	v_lshlrev_b32_e32 v65, 2, v137
	ds_load_b32 v65, v65
	ds_load_b64 v[66:67], v64 offset:512
	s_wait_dscnt 0x1
	v_add_nc_u32_e32 v65, v65, v2
	s_wait_dscnt 0x0
	global_store_b64 v65, v[66:67], s[46:47] scale_offset
	s_wait_xcnt 0x0
	s_or_b32 exec_lo, exec_lo, s34
	s_and_saveexec_b32 s34, s17
	s_cbranch_execz .LBB1450_1179
.LBB1450_1247:                          ;   in Loop: Header=BB1450_1040 Depth=2
	v_lshlrev_b32_e32 v65, 2, v136
	ds_load_b32 v65, v65
	ds_load_b64 v[66:67], v64 offset:2560
	s_wait_dscnt 0x1
	v_add_nc_u32_e32 v65, v65, v3
	s_wait_dscnt 0x0
	global_store_b64 v65, v[66:67], s[46:47] scale_offset
	s_wait_xcnt 0x0
	s_or_b32 exec_lo, exec_lo, s34
	s_and_saveexec_b32 s17, s18
	s_cbranch_execz .LBB1450_1180
.LBB1450_1248:                          ;   in Loop: Header=BB1450_1040 Depth=2
	v_lshlrev_b32_e32 v65, 2, v135
	ds_load_b32 v65, v65
	ds_load_b64 v[66:67], v64 offset:4608
	s_wait_dscnt 0x1
	v_add_nc_u32_e32 v65, v65, v68
	s_wait_dscnt 0x0
	global_store_b64 v65, v[66:67], s[46:47] scale_offset
	s_wait_xcnt 0x0
	s_or_b32 exec_lo, exec_lo, s17
	s_and_saveexec_b32 s17, s19
	s_cbranch_execz .LBB1450_1181
.LBB1450_1249:                          ;   in Loop: Header=BB1450_1040 Depth=2
	v_lshlrev_b32_e32 v65, 2, v134
	ds_load_b32 v65, v65
	ds_load_b64 v[66:67], v64 offset:6656
	s_wait_dscnt 0x1
	v_add_nc_u32_e32 v65, v65, v69
	s_wait_dscnt 0x0
	global_store_b64 v65, v[66:67], s[46:47] scale_offset
	s_wait_xcnt 0x0
	s_or_b32 exec_lo, exec_lo, s17
	s_and_saveexec_b32 s17, s20
	s_cbranch_execz .LBB1450_1182
.LBB1450_1250:                          ;   in Loop: Header=BB1450_1040 Depth=2
	v_lshlrev_b32_e32 v65, 2, v132
	ds_load_b32 v65, v65
	ds_load_b64 v[66:67], v64 offset:8704
	s_wait_dscnt 0x1
	v_add_nc_u32_e32 v65, v65, v70
	s_wait_dscnt 0x0
	global_store_b64 v65, v[66:67], s[46:47] scale_offset
	s_wait_xcnt 0x0
	s_or_b32 exec_lo, exec_lo, s17
	s_and_saveexec_b32 s17, s21
	s_cbranch_execz .LBB1450_1183
.LBB1450_1251:                          ;   in Loop: Header=BB1450_1040 Depth=2
	v_lshlrev_b32_e32 v65, 2, v131
	ds_load_b32 v65, v65
	ds_load_b64 v[66:67], v64 offset:10752
	s_wait_dscnt 0x1
	v_add_nc_u32_e32 v65, v65, v71
	s_wait_dscnt 0x0
	global_store_b64 v65, v[66:67], s[46:47] scale_offset
	s_wait_xcnt 0x0
	s_or_b32 exec_lo, exec_lo, s17
	s_and_saveexec_b32 s17, s22
	s_cbranch_execz .LBB1450_1184
.LBB1450_1252:                          ;   in Loop: Header=BB1450_1040 Depth=2
	v_lshlrev_b32_e32 v65, 2, v130
	ds_load_b32 v65, v65
	ds_load_b64 v[66:67], v64 offset:12800
	s_wait_dscnt 0x1
	v_add_nc_u32_e32 v65, v65, v72
	s_wait_dscnt 0x0
	global_store_b64 v65, v[66:67], s[46:47] scale_offset
	s_wait_xcnt 0x0
	s_or_b32 exec_lo, exec_lo, s17
	s_and_saveexec_b32 s17, s23
	s_cbranch_execz .LBB1450_1185
.LBB1450_1253:                          ;   in Loop: Header=BB1450_1040 Depth=2
	v_lshlrev_b32_e32 v65, 2, v129
	ds_load_b32 v65, v65
	ds_load_b64 v[66:67], v64 offset:14848
	s_wait_dscnt 0x1
	v_add_nc_u32_e32 v65, v65, v73
	s_wait_dscnt 0x0
	global_store_b64 v65, v[66:67], s[46:47] scale_offset
	s_wait_xcnt 0x0
	s_or_b32 exec_lo, exec_lo, s17
	s_and_saveexec_b32 s17, s24
	s_cbranch_execz .LBB1450_1186
.LBB1450_1254:                          ;   in Loop: Header=BB1450_1040 Depth=2
	v_lshlrev_b32_e32 v65, 2, v128
	ds_load_b32 v65, v65
	ds_load_b64 v[66:67], v64 offset:16896
	s_wait_dscnt 0x1
	v_add_nc_u32_e32 v65, v65, v74
	s_wait_dscnt 0x0
	global_store_b64 v65, v[66:67], s[46:47] scale_offset
	s_wait_xcnt 0x0
	s_or_b32 exec_lo, exec_lo, s17
	s_and_saveexec_b32 s17, s25
	s_cbranch_execz .LBB1450_1187
.LBB1450_1255:                          ;   in Loop: Header=BB1450_1040 Depth=2
	v_lshlrev_b32_e32 v65, 2, v127
	ds_load_b32 v65, v65
	ds_load_b64 v[66:67], v64 offset:18944
	s_wait_dscnt 0x1
	v_add_nc_u32_e32 v65, v65, v75
	s_wait_dscnt 0x0
	global_store_b64 v65, v[66:67], s[46:47] scale_offset
	s_wait_xcnt 0x0
	s_or_b32 exec_lo, exec_lo, s17
	s_and_saveexec_b32 s17, s26
	s_cbranch_execz .LBB1450_1188
.LBB1450_1256:                          ;   in Loop: Header=BB1450_1040 Depth=2
	v_lshlrev_b32_e32 v65, 2, v126
	ds_load_b32 v65, v65
	ds_load_b64 v[66:67], v64 offset:20992
	s_wait_dscnt 0x1
	v_add_nc_u32_e32 v65, v65, v76
	s_wait_dscnt 0x0
	global_store_b64 v65, v[66:67], s[46:47] scale_offset
	s_wait_xcnt 0x0
	s_or_b32 exec_lo, exec_lo, s17
	s_and_saveexec_b32 s17, s27
	s_cbranch_execz .LBB1450_1189
.LBB1450_1257:                          ;   in Loop: Header=BB1450_1040 Depth=2
	v_lshlrev_b32_e32 v65, 2, v125
	ds_load_b32 v65, v65
	ds_load_b64 v[66:67], v64 offset:23040
	s_wait_dscnt 0x1
	v_add_nc_u32_e32 v65, v65, v77
	s_wait_dscnt 0x0
	global_store_b64 v65, v[66:67], s[46:47] scale_offset
	s_wait_xcnt 0x0
	s_or_b32 exec_lo, exec_lo, s17
	s_and_saveexec_b32 s17, s28
	s_cbranch_execz .LBB1450_1190
.LBB1450_1258:                          ;   in Loop: Header=BB1450_1040 Depth=2
	v_lshlrev_b32_e32 v65, 2, v124
	ds_load_b32 v65, v65
	ds_load_b64 v[66:67], v64 offset:25088
	s_wait_dscnt 0x1
	v_add_nc_u32_e32 v65, v65, v78
	s_wait_dscnt 0x0
	global_store_b64 v65, v[66:67], s[46:47] scale_offset
	s_wait_xcnt 0x0
	s_or_b32 exec_lo, exec_lo, s17
	s_and_saveexec_b32 s17, s29
	s_cbranch_execz .LBB1450_1191
.LBB1450_1259:                          ;   in Loop: Header=BB1450_1040 Depth=2
	v_lshlrev_b32_e32 v65, 2, v123
	ds_load_b32 v65, v65
	ds_load_b64 v[66:67], v64 offset:27136
	s_wait_dscnt 0x1
	v_add_nc_u32_e32 v65, v65, v79
	s_wait_dscnt 0x0
	global_store_b64 v65, v[66:67], s[46:47] scale_offset
	s_wait_xcnt 0x0
	s_or_b32 exec_lo, exec_lo, s17
	s_and_saveexec_b32 s17, s30
	s_cbranch_execz .LBB1450_1192
.LBB1450_1260:                          ;   in Loop: Header=BB1450_1040 Depth=2
	v_lshlrev_b32_e32 v65, 2, v122
	ds_load_b32 v65, v65
	ds_load_b64 v[66:67], v64 offset:29184
	s_wait_dscnt 0x1
	v_add_nc_u32_e32 v65, v65, v80
	s_wait_dscnt 0x0
	global_store_b64 v65, v[66:67], s[46:47] scale_offset
	s_wait_xcnt 0x0
	s_or_b32 exec_lo, exec_lo, s17
	s_and_saveexec_b32 s17, s31
	s_cbranch_execz .LBB1450_1193
.LBB1450_1261:                          ;   in Loop: Header=BB1450_1040 Depth=2
	v_lshlrev_b32_e32 v65, 2, v121
	ds_load_b32 v65, v65
	ds_load_b64 v[66:67], v64 offset:31232
	s_wait_dscnt 0x1
	v_add_nc_u32_e32 v65, v65, v81
	s_wait_dscnt 0x0
	global_store_b64 v65, v[66:67], s[46:47] scale_offset
	s_wait_xcnt 0x0
	s_or_b32 exec_lo, exec_lo, s17
	s_and_saveexec_b32 s17, s33
	s_cbranch_execnz .LBB1450_1194
	s_branch .LBB1450_1195
.LBB1450_1262:
	s_endpgm
	.section	.rodata,"a",@progbits
	.p2align	6, 0x0
	.amdhsa_kernel _ZN7rocprim17ROCPRIM_400000_NS6detail17trampoline_kernelINS0_14default_configENS1_36segmented_radix_sort_config_selectorIflEEZNS1_25segmented_radix_sort_implIS3_Lb0EPKfPfPKlPlN2at6native12_GLOBAL__N_18offset_tEEE10hipError_tPvRmT1_PNSt15iterator_traitsISK_E10value_typeET2_T3_PNSL_ISQ_E10value_typeET4_jRbjT5_SW_jjP12ihipStream_tbEUlT_E2_NS1_11comp_targetILNS1_3genE0ELNS1_11target_archE4294967295ELNS1_3gpuE0ELNS1_3repE0EEENS1_30default_config_static_selectorELNS0_4arch9wavefront6targetE0EEEvSK_
		.amdhsa_group_segment_fixed_size 35344
		.amdhsa_private_segment_fixed_size 0
		.amdhsa_kernarg_size 336
		.amdhsa_user_sgpr_count 4
		.amdhsa_user_sgpr_dispatch_ptr 0
		.amdhsa_user_sgpr_queue_ptr 1
		.amdhsa_user_sgpr_kernarg_segment_ptr 1
		.amdhsa_user_sgpr_dispatch_id 0
		.amdhsa_user_sgpr_kernarg_preload_length 0
		.amdhsa_user_sgpr_kernarg_preload_offset 0
		.amdhsa_user_sgpr_private_segment_size 0
		.amdhsa_wavefront_size32 1
		.amdhsa_uses_dynamic_stack 0
		.amdhsa_enable_private_segment 0
		.amdhsa_system_sgpr_workgroup_id_x 1
		.amdhsa_system_sgpr_workgroup_id_y 1
		.amdhsa_system_sgpr_workgroup_id_z 0
		.amdhsa_system_sgpr_workgroup_info 0
		.amdhsa_system_vgpr_workitem_id 2
		.amdhsa_next_free_vgpr 320
		.amdhsa_next_free_sgpr 62
		.amdhsa_named_barrier_count 0
		.amdhsa_reserve_vcc 1
		.amdhsa_float_round_mode_32 0
		.amdhsa_float_round_mode_16_64 0
		.amdhsa_float_denorm_mode_32 3
		.amdhsa_float_denorm_mode_16_64 3
		.amdhsa_fp16_overflow 0
		.amdhsa_memory_ordered 1
		.amdhsa_forward_progress 1
		.amdhsa_inst_pref_size 255
		.amdhsa_round_robin_scheduling 0
		.amdhsa_exception_fp_ieee_invalid_op 0
		.amdhsa_exception_fp_denorm_src 0
		.amdhsa_exception_fp_ieee_div_zero 0
		.amdhsa_exception_fp_ieee_overflow 0
		.amdhsa_exception_fp_ieee_underflow 0
		.amdhsa_exception_fp_ieee_inexact 0
		.amdhsa_exception_int_div_zero 0
	.end_amdhsa_kernel
	.section	.text._ZN7rocprim17ROCPRIM_400000_NS6detail17trampoline_kernelINS0_14default_configENS1_36segmented_radix_sort_config_selectorIflEEZNS1_25segmented_radix_sort_implIS3_Lb0EPKfPfPKlPlN2at6native12_GLOBAL__N_18offset_tEEE10hipError_tPvRmT1_PNSt15iterator_traitsISK_E10value_typeET2_T3_PNSL_ISQ_E10value_typeET4_jRbjT5_SW_jjP12ihipStream_tbEUlT_E2_NS1_11comp_targetILNS1_3genE0ELNS1_11target_archE4294967295ELNS1_3gpuE0ELNS1_3repE0EEENS1_30default_config_static_selectorELNS0_4arch9wavefront6targetE0EEEvSK_,"axG",@progbits,_ZN7rocprim17ROCPRIM_400000_NS6detail17trampoline_kernelINS0_14default_configENS1_36segmented_radix_sort_config_selectorIflEEZNS1_25segmented_radix_sort_implIS3_Lb0EPKfPfPKlPlN2at6native12_GLOBAL__N_18offset_tEEE10hipError_tPvRmT1_PNSt15iterator_traitsISK_E10value_typeET2_T3_PNSL_ISQ_E10value_typeET4_jRbjT5_SW_jjP12ihipStream_tbEUlT_E2_NS1_11comp_targetILNS1_3genE0ELNS1_11target_archE4294967295ELNS1_3gpuE0ELNS1_3repE0EEENS1_30default_config_static_selectorELNS0_4arch9wavefront6targetE0EEEvSK_,comdat
.Lfunc_end1450:
	.size	_ZN7rocprim17ROCPRIM_400000_NS6detail17trampoline_kernelINS0_14default_configENS1_36segmented_radix_sort_config_selectorIflEEZNS1_25segmented_radix_sort_implIS3_Lb0EPKfPfPKlPlN2at6native12_GLOBAL__N_18offset_tEEE10hipError_tPvRmT1_PNSt15iterator_traitsISK_E10value_typeET2_T3_PNSL_ISQ_E10value_typeET4_jRbjT5_SW_jjP12ihipStream_tbEUlT_E2_NS1_11comp_targetILNS1_3genE0ELNS1_11target_archE4294967295ELNS1_3gpuE0ELNS1_3repE0EEENS1_30default_config_static_selectorELNS0_4arch9wavefront6targetE0EEEvSK_, .Lfunc_end1450-_ZN7rocprim17ROCPRIM_400000_NS6detail17trampoline_kernelINS0_14default_configENS1_36segmented_radix_sort_config_selectorIflEEZNS1_25segmented_radix_sort_implIS3_Lb0EPKfPfPKlPlN2at6native12_GLOBAL__N_18offset_tEEE10hipError_tPvRmT1_PNSt15iterator_traitsISK_E10value_typeET2_T3_PNSL_ISQ_E10value_typeET4_jRbjT5_SW_jjP12ihipStream_tbEUlT_E2_NS1_11comp_targetILNS1_3genE0ELNS1_11target_archE4294967295ELNS1_3gpuE0ELNS1_3repE0EEENS1_30default_config_static_selectorELNS0_4arch9wavefront6targetE0EEEvSK_
                                        ; -- End function
	.set _ZN7rocprim17ROCPRIM_400000_NS6detail17trampoline_kernelINS0_14default_configENS1_36segmented_radix_sort_config_selectorIflEEZNS1_25segmented_radix_sort_implIS3_Lb0EPKfPfPKlPlN2at6native12_GLOBAL__N_18offset_tEEE10hipError_tPvRmT1_PNSt15iterator_traitsISK_E10value_typeET2_T3_PNSL_ISQ_E10value_typeET4_jRbjT5_SW_jjP12ihipStream_tbEUlT_E2_NS1_11comp_targetILNS1_3genE0ELNS1_11target_archE4294967295ELNS1_3gpuE0ELNS1_3repE0EEENS1_30default_config_static_selectorELNS0_4arch9wavefront6targetE0EEEvSK_.num_vgpr, max(211, .L_ZN7rocprim17ROCPRIM_400000_NS6detail26segmented_warp_sort_helperINS1_20WarpSortHelperConfigILj32ELj4ELj256EEEflLi256ELb0EvE4sortIPKfPfPKlPlEEvT_T0_T1_T2_jjjjRNS5_12storage_typeE.num_vgpr, .L_ZN7rocprim17ROCPRIM_400000_NS6detail40segmented_radix_sort_single_block_helperIflLj256ELj17ELb0EE4sortIPKfPfPKlPlEEbT_T0_T1_T2_jjjjRNS3_12storage_typeE.num_vgpr)
	.set _ZN7rocprim17ROCPRIM_400000_NS6detail17trampoline_kernelINS0_14default_configENS1_36segmented_radix_sort_config_selectorIflEEZNS1_25segmented_radix_sort_implIS3_Lb0EPKfPfPKlPlN2at6native12_GLOBAL__N_18offset_tEEE10hipError_tPvRmT1_PNSt15iterator_traitsISK_E10value_typeET2_T3_PNSL_ISQ_E10value_typeET4_jRbjT5_SW_jjP12ihipStream_tbEUlT_E2_NS1_11comp_targetILNS1_3genE0ELNS1_11target_archE4294967295ELNS1_3gpuE0ELNS1_3repE0EEENS1_30default_config_static_selectorELNS0_4arch9wavefront6targetE0EEEvSK_.num_agpr, max(0, .L_ZN7rocprim17ROCPRIM_400000_NS6detail26segmented_warp_sort_helperINS1_20WarpSortHelperConfigILj32ELj4ELj256EEEflLi256ELb0EvE4sortIPKfPfPKlPlEEvT_T0_T1_T2_jjjjRNS5_12storage_typeE.num_agpr, .L_ZN7rocprim17ROCPRIM_400000_NS6detail40segmented_radix_sort_single_block_helperIflLj256ELj17ELb0EE4sortIPKfPfPKlPlEEbT_T0_T1_T2_jjjjRNS3_12storage_typeE.num_agpr)
	.set _ZN7rocprim17ROCPRIM_400000_NS6detail17trampoline_kernelINS0_14default_configENS1_36segmented_radix_sort_config_selectorIflEEZNS1_25segmented_radix_sort_implIS3_Lb0EPKfPfPKlPlN2at6native12_GLOBAL__N_18offset_tEEE10hipError_tPvRmT1_PNSt15iterator_traitsISK_E10value_typeET2_T3_PNSL_ISQ_E10value_typeET4_jRbjT5_SW_jjP12ihipStream_tbEUlT_E2_NS1_11comp_targetILNS1_3genE0ELNS1_11target_archE4294967295ELNS1_3gpuE0ELNS1_3repE0EEENS1_30default_config_static_selectorELNS0_4arch9wavefront6targetE0EEEvSK_.numbered_sgpr, max(62, .L_ZN7rocprim17ROCPRIM_400000_NS6detail26segmented_warp_sort_helperINS1_20WarpSortHelperConfigILj32ELj4ELj256EEEflLi256ELb0EvE4sortIPKfPfPKlPlEEvT_T0_T1_T2_jjjjRNS5_12storage_typeE.numbered_sgpr, .L_ZN7rocprim17ROCPRIM_400000_NS6detail40segmented_radix_sort_single_block_helperIflLj256ELj17ELb0EE4sortIPKfPfPKlPlEEbT_T0_T1_T2_jjjjRNS3_12storage_typeE.numbered_sgpr)
	.set _ZN7rocprim17ROCPRIM_400000_NS6detail17trampoline_kernelINS0_14default_configENS1_36segmented_radix_sort_config_selectorIflEEZNS1_25segmented_radix_sort_implIS3_Lb0EPKfPfPKlPlN2at6native12_GLOBAL__N_18offset_tEEE10hipError_tPvRmT1_PNSt15iterator_traitsISK_E10value_typeET2_T3_PNSL_ISQ_E10value_typeET4_jRbjT5_SW_jjP12ihipStream_tbEUlT_E2_NS1_11comp_targetILNS1_3genE0ELNS1_11target_archE4294967295ELNS1_3gpuE0ELNS1_3repE0EEENS1_30default_config_static_selectorELNS0_4arch9wavefront6targetE0EEEvSK_.num_named_barrier, max(0, .L_ZN7rocprim17ROCPRIM_400000_NS6detail26segmented_warp_sort_helperINS1_20WarpSortHelperConfigILj32ELj4ELj256EEEflLi256ELb0EvE4sortIPKfPfPKlPlEEvT_T0_T1_T2_jjjjRNS5_12storage_typeE.num_named_barrier, .L_ZN7rocprim17ROCPRIM_400000_NS6detail40segmented_radix_sort_single_block_helperIflLj256ELj17ELb0EE4sortIPKfPfPKlPlEEbT_T0_T1_T2_jjjjRNS3_12storage_typeE.num_named_barrier)
	.set _ZN7rocprim17ROCPRIM_400000_NS6detail17trampoline_kernelINS0_14default_configENS1_36segmented_radix_sort_config_selectorIflEEZNS1_25segmented_radix_sort_implIS3_Lb0EPKfPfPKlPlN2at6native12_GLOBAL__N_18offset_tEEE10hipError_tPvRmT1_PNSt15iterator_traitsISK_E10value_typeET2_T3_PNSL_ISQ_E10value_typeET4_jRbjT5_SW_jjP12ihipStream_tbEUlT_E2_NS1_11comp_targetILNS1_3genE0ELNS1_11target_archE4294967295ELNS1_3gpuE0ELNS1_3repE0EEENS1_30default_config_static_selectorELNS0_4arch9wavefront6targetE0EEEvSK_.private_seg_size, 0+max(.L_ZN7rocprim17ROCPRIM_400000_NS6detail26segmented_warp_sort_helperINS1_20WarpSortHelperConfigILj32ELj4ELj256EEEflLi256ELb0EvE4sortIPKfPfPKlPlEEvT_T0_T1_T2_jjjjRNS5_12storage_typeE.private_seg_size, .L_ZN7rocprim17ROCPRIM_400000_NS6detail40segmented_radix_sort_single_block_helperIflLj256ELj17ELb0EE4sortIPKfPfPKlPlEEbT_T0_T1_T2_jjjjRNS3_12storage_typeE.private_seg_size)
	.set _ZN7rocprim17ROCPRIM_400000_NS6detail17trampoline_kernelINS0_14default_configENS1_36segmented_radix_sort_config_selectorIflEEZNS1_25segmented_radix_sort_implIS3_Lb0EPKfPfPKlPlN2at6native12_GLOBAL__N_18offset_tEEE10hipError_tPvRmT1_PNSt15iterator_traitsISK_E10value_typeET2_T3_PNSL_ISQ_E10value_typeET4_jRbjT5_SW_jjP12ihipStream_tbEUlT_E2_NS1_11comp_targetILNS1_3genE0ELNS1_11target_archE4294967295ELNS1_3gpuE0ELNS1_3repE0EEENS1_30default_config_static_selectorELNS0_4arch9wavefront6targetE0EEEvSK_.uses_vcc, or(1, .L_ZN7rocprim17ROCPRIM_400000_NS6detail26segmented_warp_sort_helperINS1_20WarpSortHelperConfigILj32ELj4ELj256EEEflLi256ELb0EvE4sortIPKfPfPKlPlEEvT_T0_T1_T2_jjjjRNS5_12storage_typeE.uses_vcc, .L_ZN7rocprim17ROCPRIM_400000_NS6detail40segmented_radix_sort_single_block_helperIflLj256ELj17ELb0EE4sortIPKfPfPKlPlEEbT_T0_T1_T2_jjjjRNS3_12storage_typeE.uses_vcc)
	.set _ZN7rocprim17ROCPRIM_400000_NS6detail17trampoline_kernelINS0_14default_configENS1_36segmented_radix_sort_config_selectorIflEEZNS1_25segmented_radix_sort_implIS3_Lb0EPKfPfPKlPlN2at6native12_GLOBAL__N_18offset_tEEE10hipError_tPvRmT1_PNSt15iterator_traitsISK_E10value_typeET2_T3_PNSL_ISQ_E10value_typeET4_jRbjT5_SW_jjP12ihipStream_tbEUlT_E2_NS1_11comp_targetILNS1_3genE0ELNS1_11target_archE4294967295ELNS1_3gpuE0ELNS1_3repE0EEENS1_30default_config_static_selectorELNS0_4arch9wavefront6targetE0EEEvSK_.uses_flat_scratch, or(0, .L_ZN7rocprim17ROCPRIM_400000_NS6detail26segmented_warp_sort_helperINS1_20WarpSortHelperConfigILj32ELj4ELj256EEEflLi256ELb0EvE4sortIPKfPfPKlPlEEvT_T0_T1_T2_jjjjRNS5_12storage_typeE.uses_flat_scratch, .L_ZN7rocprim17ROCPRIM_400000_NS6detail40segmented_radix_sort_single_block_helperIflLj256ELj17ELb0EE4sortIPKfPfPKlPlEEbT_T0_T1_T2_jjjjRNS3_12storage_typeE.uses_flat_scratch)
	.set _ZN7rocprim17ROCPRIM_400000_NS6detail17trampoline_kernelINS0_14default_configENS1_36segmented_radix_sort_config_selectorIflEEZNS1_25segmented_radix_sort_implIS3_Lb0EPKfPfPKlPlN2at6native12_GLOBAL__N_18offset_tEEE10hipError_tPvRmT1_PNSt15iterator_traitsISK_E10value_typeET2_T3_PNSL_ISQ_E10value_typeET4_jRbjT5_SW_jjP12ihipStream_tbEUlT_E2_NS1_11comp_targetILNS1_3genE0ELNS1_11target_archE4294967295ELNS1_3gpuE0ELNS1_3repE0EEENS1_30default_config_static_selectorELNS0_4arch9wavefront6targetE0EEEvSK_.has_dyn_sized_stack, or(0, .L_ZN7rocprim17ROCPRIM_400000_NS6detail26segmented_warp_sort_helperINS1_20WarpSortHelperConfigILj32ELj4ELj256EEEflLi256ELb0EvE4sortIPKfPfPKlPlEEvT_T0_T1_T2_jjjjRNS5_12storage_typeE.has_dyn_sized_stack, .L_ZN7rocprim17ROCPRIM_400000_NS6detail40segmented_radix_sort_single_block_helperIflLj256ELj17ELb0EE4sortIPKfPfPKlPlEEbT_T0_T1_T2_jjjjRNS3_12storage_typeE.has_dyn_sized_stack)
	.set _ZN7rocprim17ROCPRIM_400000_NS6detail17trampoline_kernelINS0_14default_configENS1_36segmented_radix_sort_config_selectorIflEEZNS1_25segmented_radix_sort_implIS3_Lb0EPKfPfPKlPlN2at6native12_GLOBAL__N_18offset_tEEE10hipError_tPvRmT1_PNSt15iterator_traitsISK_E10value_typeET2_T3_PNSL_ISQ_E10value_typeET4_jRbjT5_SW_jjP12ihipStream_tbEUlT_E2_NS1_11comp_targetILNS1_3genE0ELNS1_11target_archE4294967295ELNS1_3gpuE0ELNS1_3repE0EEENS1_30default_config_static_selectorELNS0_4arch9wavefront6targetE0EEEvSK_.has_recursion, or(0, .L_ZN7rocprim17ROCPRIM_400000_NS6detail26segmented_warp_sort_helperINS1_20WarpSortHelperConfigILj32ELj4ELj256EEEflLi256ELb0EvE4sortIPKfPfPKlPlEEvT_T0_T1_T2_jjjjRNS5_12storage_typeE.has_recursion, .L_ZN7rocprim17ROCPRIM_400000_NS6detail40segmented_radix_sort_single_block_helperIflLj256ELj17ELb0EE4sortIPKfPfPKlPlEEbT_T0_T1_T2_jjjjRNS3_12storage_typeE.has_recursion)
	.set _ZN7rocprim17ROCPRIM_400000_NS6detail17trampoline_kernelINS0_14default_configENS1_36segmented_radix_sort_config_selectorIflEEZNS1_25segmented_radix_sort_implIS3_Lb0EPKfPfPKlPlN2at6native12_GLOBAL__N_18offset_tEEE10hipError_tPvRmT1_PNSt15iterator_traitsISK_E10value_typeET2_T3_PNSL_ISQ_E10value_typeET4_jRbjT5_SW_jjP12ihipStream_tbEUlT_E2_NS1_11comp_targetILNS1_3genE0ELNS1_11target_archE4294967295ELNS1_3gpuE0ELNS1_3repE0EEENS1_30default_config_static_selectorELNS0_4arch9wavefront6targetE0EEEvSK_.has_indirect_call, or(0, .L_ZN7rocprim17ROCPRIM_400000_NS6detail26segmented_warp_sort_helperINS1_20WarpSortHelperConfigILj32ELj4ELj256EEEflLi256ELb0EvE4sortIPKfPfPKlPlEEvT_T0_T1_T2_jjjjRNS5_12storage_typeE.has_indirect_call, .L_ZN7rocprim17ROCPRIM_400000_NS6detail40segmented_radix_sort_single_block_helperIflLj256ELj17ELb0EE4sortIPKfPfPKlPlEEbT_T0_T1_T2_jjjjRNS3_12storage_typeE.has_indirect_call)
	.section	.AMDGPU.csdata,"",@progbits
; Kernel info:
; codeLenInByte = 79884
; TotalNumSgprs: 64
; NumVgprs: 320
; ScratchSize: 0
; MemoryBound: 0
; FloatMode: 240
; IeeeMode: 1
; LDSByteSize: 35344 bytes/workgroup (compile time only)
; SGPRBlocks: 0
; VGPRBlocks: 19
; NumSGPRsForWavesPerEU: 64
; NumVGPRsForWavesPerEU: 320
; NamedBarCnt: 0
; Occupancy: 3
; WaveLimiterHint : 1
; COMPUTE_PGM_RSRC2:SCRATCH_EN: 0
; COMPUTE_PGM_RSRC2:USER_SGPR: 4
; COMPUTE_PGM_RSRC2:TRAP_HANDLER: 0
; COMPUTE_PGM_RSRC2:TGID_X_EN: 1
; COMPUTE_PGM_RSRC2:TGID_Y_EN: 1
; COMPUTE_PGM_RSRC2:TGID_Z_EN: 0
; COMPUTE_PGM_RSRC2:TIDIG_COMP_CNT: 2
	.section	.text._ZN7rocprim17ROCPRIM_400000_NS6detail17trampoline_kernelINS0_14default_configENS1_36segmented_radix_sort_config_selectorIflEEZNS1_25segmented_radix_sort_implIS3_Lb0EPKfPfPKlPlN2at6native12_GLOBAL__N_18offset_tEEE10hipError_tPvRmT1_PNSt15iterator_traitsISK_E10value_typeET2_T3_PNSL_ISQ_E10value_typeET4_jRbjT5_SW_jjP12ihipStream_tbEUlT_E2_NS1_11comp_targetILNS1_3genE5ELNS1_11target_archE942ELNS1_3gpuE9ELNS1_3repE0EEENS1_30default_config_static_selectorELNS0_4arch9wavefront6targetE0EEEvSK_,"axG",@progbits,_ZN7rocprim17ROCPRIM_400000_NS6detail17trampoline_kernelINS0_14default_configENS1_36segmented_radix_sort_config_selectorIflEEZNS1_25segmented_radix_sort_implIS3_Lb0EPKfPfPKlPlN2at6native12_GLOBAL__N_18offset_tEEE10hipError_tPvRmT1_PNSt15iterator_traitsISK_E10value_typeET2_T3_PNSL_ISQ_E10value_typeET4_jRbjT5_SW_jjP12ihipStream_tbEUlT_E2_NS1_11comp_targetILNS1_3genE5ELNS1_11target_archE942ELNS1_3gpuE9ELNS1_3repE0EEENS1_30default_config_static_selectorELNS0_4arch9wavefront6targetE0EEEvSK_,comdat
	.globl	_ZN7rocprim17ROCPRIM_400000_NS6detail17trampoline_kernelINS0_14default_configENS1_36segmented_radix_sort_config_selectorIflEEZNS1_25segmented_radix_sort_implIS3_Lb0EPKfPfPKlPlN2at6native12_GLOBAL__N_18offset_tEEE10hipError_tPvRmT1_PNSt15iterator_traitsISK_E10value_typeET2_T3_PNSL_ISQ_E10value_typeET4_jRbjT5_SW_jjP12ihipStream_tbEUlT_E2_NS1_11comp_targetILNS1_3genE5ELNS1_11target_archE942ELNS1_3gpuE9ELNS1_3repE0EEENS1_30default_config_static_selectorELNS0_4arch9wavefront6targetE0EEEvSK_ ; -- Begin function _ZN7rocprim17ROCPRIM_400000_NS6detail17trampoline_kernelINS0_14default_configENS1_36segmented_radix_sort_config_selectorIflEEZNS1_25segmented_radix_sort_implIS3_Lb0EPKfPfPKlPlN2at6native12_GLOBAL__N_18offset_tEEE10hipError_tPvRmT1_PNSt15iterator_traitsISK_E10value_typeET2_T3_PNSL_ISQ_E10value_typeET4_jRbjT5_SW_jjP12ihipStream_tbEUlT_E2_NS1_11comp_targetILNS1_3genE5ELNS1_11target_archE942ELNS1_3gpuE9ELNS1_3repE0EEENS1_30default_config_static_selectorELNS0_4arch9wavefront6targetE0EEEvSK_
	.p2align	8
	.type	_ZN7rocprim17ROCPRIM_400000_NS6detail17trampoline_kernelINS0_14default_configENS1_36segmented_radix_sort_config_selectorIflEEZNS1_25segmented_radix_sort_implIS3_Lb0EPKfPfPKlPlN2at6native12_GLOBAL__N_18offset_tEEE10hipError_tPvRmT1_PNSt15iterator_traitsISK_E10value_typeET2_T3_PNSL_ISQ_E10value_typeET4_jRbjT5_SW_jjP12ihipStream_tbEUlT_E2_NS1_11comp_targetILNS1_3genE5ELNS1_11target_archE942ELNS1_3gpuE9ELNS1_3repE0EEENS1_30default_config_static_selectorELNS0_4arch9wavefront6targetE0EEEvSK_,@function
_ZN7rocprim17ROCPRIM_400000_NS6detail17trampoline_kernelINS0_14default_configENS1_36segmented_radix_sort_config_selectorIflEEZNS1_25segmented_radix_sort_implIS3_Lb0EPKfPfPKlPlN2at6native12_GLOBAL__N_18offset_tEEE10hipError_tPvRmT1_PNSt15iterator_traitsISK_E10value_typeET2_T3_PNSL_ISQ_E10value_typeET4_jRbjT5_SW_jjP12ihipStream_tbEUlT_E2_NS1_11comp_targetILNS1_3genE5ELNS1_11target_archE942ELNS1_3gpuE9ELNS1_3repE0EEENS1_30default_config_static_selectorELNS0_4arch9wavefront6targetE0EEEvSK_: ; @_ZN7rocprim17ROCPRIM_400000_NS6detail17trampoline_kernelINS0_14default_configENS1_36segmented_radix_sort_config_selectorIflEEZNS1_25segmented_radix_sort_implIS3_Lb0EPKfPfPKlPlN2at6native12_GLOBAL__N_18offset_tEEE10hipError_tPvRmT1_PNSt15iterator_traitsISK_E10value_typeET2_T3_PNSL_ISQ_E10value_typeET4_jRbjT5_SW_jjP12ihipStream_tbEUlT_E2_NS1_11comp_targetILNS1_3genE5ELNS1_11target_archE942ELNS1_3gpuE9ELNS1_3repE0EEENS1_30default_config_static_selectorELNS0_4arch9wavefront6targetE0EEEvSK_
; %bb.0:
	.section	.rodata,"a",@progbits
	.p2align	6, 0x0
	.amdhsa_kernel _ZN7rocprim17ROCPRIM_400000_NS6detail17trampoline_kernelINS0_14default_configENS1_36segmented_radix_sort_config_selectorIflEEZNS1_25segmented_radix_sort_implIS3_Lb0EPKfPfPKlPlN2at6native12_GLOBAL__N_18offset_tEEE10hipError_tPvRmT1_PNSt15iterator_traitsISK_E10value_typeET2_T3_PNSL_ISQ_E10value_typeET4_jRbjT5_SW_jjP12ihipStream_tbEUlT_E2_NS1_11comp_targetILNS1_3genE5ELNS1_11target_archE942ELNS1_3gpuE9ELNS1_3repE0EEENS1_30default_config_static_selectorELNS0_4arch9wavefront6targetE0EEEvSK_
		.amdhsa_group_segment_fixed_size 0
		.amdhsa_private_segment_fixed_size 0
		.amdhsa_kernarg_size 80
		.amdhsa_user_sgpr_count 2
		.amdhsa_user_sgpr_dispatch_ptr 0
		.amdhsa_user_sgpr_queue_ptr 0
		.amdhsa_user_sgpr_kernarg_segment_ptr 1
		.amdhsa_user_sgpr_dispatch_id 0
		.amdhsa_user_sgpr_kernarg_preload_length 0
		.amdhsa_user_sgpr_kernarg_preload_offset 0
		.amdhsa_user_sgpr_private_segment_size 0
		.amdhsa_wavefront_size32 1
		.amdhsa_uses_dynamic_stack 0
		.amdhsa_enable_private_segment 0
		.amdhsa_system_sgpr_workgroup_id_x 1
		.amdhsa_system_sgpr_workgroup_id_y 0
		.amdhsa_system_sgpr_workgroup_id_z 0
		.amdhsa_system_sgpr_workgroup_info 0
		.amdhsa_system_vgpr_workitem_id 0
		.amdhsa_next_free_vgpr 1
		.amdhsa_next_free_sgpr 1
		.amdhsa_named_barrier_count 0
		.amdhsa_reserve_vcc 0
		.amdhsa_float_round_mode_32 0
		.amdhsa_float_round_mode_16_64 0
		.amdhsa_float_denorm_mode_32 3
		.amdhsa_float_denorm_mode_16_64 3
		.amdhsa_fp16_overflow 0
		.amdhsa_memory_ordered 1
		.amdhsa_forward_progress 1
		.amdhsa_inst_pref_size 0
		.amdhsa_round_robin_scheduling 0
		.amdhsa_exception_fp_ieee_invalid_op 0
		.amdhsa_exception_fp_denorm_src 0
		.amdhsa_exception_fp_ieee_div_zero 0
		.amdhsa_exception_fp_ieee_overflow 0
		.amdhsa_exception_fp_ieee_underflow 0
		.amdhsa_exception_fp_ieee_inexact 0
		.amdhsa_exception_int_div_zero 0
	.end_amdhsa_kernel
	.section	.text._ZN7rocprim17ROCPRIM_400000_NS6detail17trampoline_kernelINS0_14default_configENS1_36segmented_radix_sort_config_selectorIflEEZNS1_25segmented_radix_sort_implIS3_Lb0EPKfPfPKlPlN2at6native12_GLOBAL__N_18offset_tEEE10hipError_tPvRmT1_PNSt15iterator_traitsISK_E10value_typeET2_T3_PNSL_ISQ_E10value_typeET4_jRbjT5_SW_jjP12ihipStream_tbEUlT_E2_NS1_11comp_targetILNS1_3genE5ELNS1_11target_archE942ELNS1_3gpuE9ELNS1_3repE0EEENS1_30default_config_static_selectorELNS0_4arch9wavefront6targetE0EEEvSK_,"axG",@progbits,_ZN7rocprim17ROCPRIM_400000_NS6detail17trampoline_kernelINS0_14default_configENS1_36segmented_radix_sort_config_selectorIflEEZNS1_25segmented_radix_sort_implIS3_Lb0EPKfPfPKlPlN2at6native12_GLOBAL__N_18offset_tEEE10hipError_tPvRmT1_PNSt15iterator_traitsISK_E10value_typeET2_T3_PNSL_ISQ_E10value_typeET4_jRbjT5_SW_jjP12ihipStream_tbEUlT_E2_NS1_11comp_targetILNS1_3genE5ELNS1_11target_archE942ELNS1_3gpuE9ELNS1_3repE0EEENS1_30default_config_static_selectorELNS0_4arch9wavefront6targetE0EEEvSK_,comdat
.Lfunc_end1451:
	.size	_ZN7rocprim17ROCPRIM_400000_NS6detail17trampoline_kernelINS0_14default_configENS1_36segmented_radix_sort_config_selectorIflEEZNS1_25segmented_radix_sort_implIS3_Lb0EPKfPfPKlPlN2at6native12_GLOBAL__N_18offset_tEEE10hipError_tPvRmT1_PNSt15iterator_traitsISK_E10value_typeET2_T3_PNSL_ISQ_E10value_typeET4_jRbjT5_SW_jjP12ihipStream_tbEUlT_E2_NS1_11comp_targetILNS1_3genE5ELNS1_11target_archE942ELNS1_3gpuE9ELNS1_3repE0EEENS1_30default_config_static_selectorELNS0_4arch9wavefront6targetE0EEEvSK_, .Lfunc_end1451-_ZN7rocprim17ROCPRIM_400000_NS6detail17trampoline_kernelINS0_14default_configENS1_36segmented_radix_sort_config_selectorIflEEZNS1_25segmented_radix_sort_implIS3_Lb0EPKfPfPKlPlN2at6native12_GLOBAL__N_18offset_tEEE10hipError_tPvRmT1_PNSt15iterator_traitsISK_E10value_typeET2_T3_PNSL_ISQ_E10value_typeET4_jRbjT5_SW_jjP12ihipStream_tbEUlT_E2_NS1_11comp_targetILNS1_3genE5ELNS1_11target_archE942ELNS1_3gpuE9ELNS1_3repE0EEENS1_30default_config_static_selectorELNS0_4arch9wavefront6targetE0EEEvSK_
                                        ; -- End function
	.set _ZN7rocprim17ROCPRIM_400000_NS6detail17trampoline_kernelINS0_14default_configENS1_36segmented_radix_sort_config_selectorIflEEZNS1_25segmented_radix_sort_implIS3_Lb0EPKfPfPKlPlN2at6native12_GLOBAL__N_18offset_tEEE10hipError_tPvRmT1_PNSt15iterator_traitsISK_E10value_typeET2_T3_PNSL_ISQ_E10value_typeET4_jRbjT5_SW_jjP12ihipStream_tbEUlT_E2_NS1_11comp_targetILNS1_3genE5ELNS1_11target_archE942ELNS1_3gpuE9ELNS1_3repE0EEENS1_30default_config_static_selectorELNS0_4arch9wavefront6targetE0EEEvSK_.num_vgpr, 0
	.set _ZN7rocprim17ROCPRIM_400000_NS6detail17trampoline_kernelINS0_14default_configENS1_36segmented_radix_sort_config_selectorIflEEZNS1_25segmented_radix_sort_implIS3_Lb0EPKfPfPKlPlN2at6native12_GLOBAL__N_18offset_tEEE10hipError_tPvRmT1_PNSt15iterator_traitsISK_E10value_typeET2_T3_PNSL_ISQ_E10value_typeET4_jRbjT5_SW_jjP12ihipStream_tbEUlT_E2_NS1_11comp_targetILNS1_3genE5ELNS1_11target_archE942ELNS1_3gpuE9ELNS1_3repE0EEENS1_30default_config_static_selectorELNS0_4arch9wavefront6targetE0EEEvSK_.num_agpr, 0
	.set _ZN7rocprim17ROCPRIM_400000_NS6detail17trampoline_kernelINS0_14default_configENS1_36segmented_radix_sort_config_selectorIflEEZNS1_25segmented_radix_sort_implIS3_Lb0EPKfPfPKlPlN2at6native12_GLOBAL__N_18offset_tEEE10hipError_tPvRmT1_PNSt15iterator_traitsISK_E10value_typeET2_T3_PNSL_ISQ_E10value_typeET4_jRbjT5_SW_jjP12ihipStream_tbEUlT_E2_NS1_11comp_targetILNS1_3genE5ELNS1_11target_archE942ELNS1_3gpuE9ELNS1_3repE0EEENS1_30default_config_static_selectorELNS0_4arch9wavefront6targetE0EEEvSK_.numbered_sgpr, 0
	.set _ZN7rocprim17ROCPRIM_400000_NS6detail17trampoline_kernelINS0_14default_configENS1_36segmented_radix_sort_config_selectorIflEEZNS1_25segmented_radix_sort_implIS3_Lb0EPKfPfPKlPlN2at6native12_GLOBAL__N_18offset_tEEE10hipError_tPvRmT1_PNSt15iterator_traitsISK_E10value_typeET2_T3_PNSL_ISQ_E10value_typeET4_jRbjT5_SW_jjP12ihipStream_tbEUlT_E2_NS1_11comp_targetILNS1_3genE5ELNS1_11target_archE942ELNS1_3gpuE9ELNS1_3repE0EEENS1_30default_config_static_selectorELNS0_4arch9wavefront6targetE0EEEvSK_.num_named_barrier, 0
	.set _ZN7rocprim17ROCPRIM_400000_NS6detail17trampoline_kernelINS0_14default_configENS1_36segmented_radix_sort_config_selectorIflEEZNS1_25segmented_radix_sort_implIS3_Lb0EPKfPfPKlPlN2at6native12_GLOBAL__N_18offset_tEEE10hipError_tPvRmT1_PNSt15iterator_traitsISK_E10value_typeET2_T3_PNSL_ISQ_E10value_typeET4_jRbjT5_SW_jjP12ihipStream_tbEUlT_E2_NS1_11comp_targetILNS1_3genE5ELNS1_11target_archE942ELNS1_3gpuE9ELNS1_3repE0EEENS1_30default_config_static_selectorELNS0_4arch9wavefront6targetE0EEEvSK_.private_seg_size, 0
	.set _ZN7rocprim17ROCPRIM_400000_NS6detail17trampoline_kernelINS0_14default_configENS1_36segmented_radix_sort_config_selectorIflEEZNS1_25segmented_radix_sort_implIS3_Lb0EPKfPfPKlPlN2at6native12_GLOBAL__N_18offset_tEEE10hipError_tPvRmT1_PNSt15iterator_traitsISK_E10value_typeET2_T3_PNSL_ISQ_E10value_typeET4_jRbjT5_SW_jjP12ihipStream_tbEUlT_E2_NS1_11comp_targetILNS1_3genE5ELNS1_11target_archE942ELNS1_3gpuE9ELNS1_3repE0EEENS1_30default_config_static_selectorELNS0_4arch9wavefront6targetE0EEEvSK_.uses_vcc, 0
	.set _ZN7rocprim17ROCPRIM_400000_NS6detail17trampoline_kernelINS0_14default_configENS1_36segmented_radix_sort_config_selectorIflEEZNS1_25segmented_radix_sort_implIS3_Lb0EPKfPfPKlPlN2at6native12_GLOBAL__N_18offset_tEEE10hipError_tPvRmT1_PNSt15iterator_traitsISK_E10value_typeET2_T3_PNSL_ISQ_E10value_typeET4_jRbjT5_SW_jjP12ihipStream_tbEUlT_E2_NS1_11comp_targetILNS1_3genE5ELNS1_11target_archE942ELNS1_3gpuE9ELNS1_3repE0EEENS1_30default_config_static_selectorELNS0_4arch9wavefront6targetE0EEEvSK_.uses_flat_scratch, 0
	.set _ZN7rocprim17ROCPRIM_400000_NS6detail17trampoline_kernelINS0_14default_configENS1_36segmented_radix_sort_config_selectorIflEEZNS1_25segmented_radix_sort_implIS3_Lb0EPKfPfPKlPlN2at6native12_GLOBAL__N_18offset_tEEE10hipError_tPvRmT1_PNSt15iterator_traitsISK_E10value_typeET2_T3_PNSL_ISQ_E10value_typeET4_jRbjT5_SW_jjP12ihipStream_tbEUlT_E2_NS1_11comp_targetILNS1_3genE5ELNS1_11target_archE942ELNS1_3gpuE9ELNS1_3repE0EEENS1_30default_config_static_selectorELNS0_4arch9wavefront6targetE0EEEvSK_.has_dyn_sized_stack, 0
	.set _ZN7rocprim17ROCPRIM_400000_NS6detail17trampoline_kernelINS0_14default_configENS1_36segmented_radix_sort_config_selectorIflEEZNS1_25segmented_radix_sort_implIS3_Lb0EPKfPfPKlPlN2at6native12_GLOBAL__N_18offset_tEEE10hipError_tPvRmT1_PNSt15iterator_traitsISK_E10value_typeET2_T3_PNSL_ISQ_E10value_typeET4_jRbjT5_SW_jjP12ihipStream_tbEUlT_E2_NS1_11comp_targetILNS1_3genE5ELNS1_11target_archE942ELNS1_3gpuE9ELNS1_3repE0EEENS1_30default_config_static_selectorELNS0_4arch9wavefront6targetE0EEEvSK_.has_recursion, 0
	.set _ZN7rocprim17ROCPRIM_400000_NS6detail17trampoline_kernelINS0_14default_configENS1_36segmented_radix_sort_config_selectorIflEEZNS1_25segmented_radix_sort_implIS3_Lb0EPKfPfPKlPlN2at6native12_GLOBAL__N_18offset_tEEE10hipError_tPvRmT1_PNSt15iterator_traitsISK_E10value_typeET2_T3_PNSL_ISQ_E10value_typeET4_jRbjT5_SW_jjP12ihipStream_tbEUlT_E2_NS1_11comp_targetILNS1_3genE5ELNS1_11target_archE942ELNS1_3gpuE9ELNS1_3repE0EEENS1_30default_config_static_selectorELNS0_4arch9wavefront6targetE0EEEvSK_.has_indirect_call, 0
	.section	.AMDGPU.csdata,"",@progbits
; Kernel info:
; codeLenInByte = 0
; TotalNumSgprs: 0
; NumVgprs: 0
; ScratchSize: 0
; MemoryBound: 0
; FloatMode: 240
; IeeeMode: 1
; LDSByteSize: 0 bytes/workgroup (compile time only)
; SGPRBlocks: 0
; VGPRBlocks: 0
; NumSGPRsForWavesPerEU: 1
; NumVGPRsForWavesPerEU: 1
; NamedBarCnt: 0
; Occupancy: 16
; WaveLimiterHint : 0
; COMPUTE_PGM_RSRC2:SCRATCH_EN: 0
; COMPUTE_PGM_RSRC2:USER_SGPR: 2
; COMPUTE_PGM_RSRC2:TRAP_HANDLER: 0
; COMPUTE_PGM_RSRC2:TGID_X_EN: 1
; COMPUTE_PGM_RSRC2:TGID_Y_EN: 0
; COMPUTE_PGM_RSRC2:TGID_Z_EN: 0
; COMPUTE_PGM_RSRC2:TIDIG_COMP_CNT: 0
	.section	.text._ZN7rocprim17ROCPRIM_400000_NS6detail17trampoline_kernelINS0_14default_configENS1_36segmented_radix_sort_config_selectorIflEEZNS1_25segmented_radix_sort_implIS3_Lb0EPKfPfPKlPlN2at6native12_GLOBAL__N_18offset_tEEE10hipError_tPvRmT1_PNSt15iterator_traitsISK_E10value_typeET2_T3_PNSL_ISQ_E10value_typeET4_jRbjT5_SW_jjP12ihipStream_tbEUlT_E2_NS1_11comp_targetILNS1_3genE4ELNS1_11target_archE910ELNS1_3gpuE8ELNS1_3repE0EEENS1_30default_config_static_selectorELNS0_4arch9wavefront6targetE0EEEvSK_,"axG",@progbits,_ZN7rocprim17ROCPRIM_400000_NS6detail17trampoline_kernelINS0_14default_configENS1_36segmented_radix_sort_config_selectorIflEEZNS1_25segmented_radix_sort_implIS3_Lb0EPKfPfPKlPlN2at6native12_GLOBAL__N_18offset_tEEE10hipError_tPvRmT1_PNSt15iterator_traitsISK_E10value_typeET2_T3_PNSL_ISQ_E10value_typeET4_jRbjT5_SW_jjP12ihipStream_tbEUlT_E2_NS1_11comp_targetILNS1_3genE4ELNS1_11target_archE910ELNS1_3gpuE8ELNS1_3repE0EEENS1_30default_config_static_selectorELNS0_4arch9wavefront6targetE0EEEvSK_,comdat
	.globl	_ZN7rocprim17ROCPRIM_400000_NS6detail17trampoline_kernelINS0_14default_configENS1_36segmented_radix_sort_config_selectorIflEEZNS1_25segmented_radix_sort_implIS3_Lb0EPKfPfPKlPlN2at6native12_GLOBAL__N_18offset_tEEE10hipError_tPvRmT1_PNSt15iterator_traitsISK_E10value_typeET2_T3_PNSL_ISQ_E10value_typeET4_jRbjT5_SW_jjP12ihipStream_tbEUlT_E2_NS1_11comp_targetILNS1_3genE4ELNS1_11target_archE910ELNS1_3gpuE8ELNS1_3repE0EEENS1_30default_config_static_selectorELNS0_4arch9wavefront6targetE0EEEvSK_ ; -- Begin function _ZN7rocprim17ROCPRIM_400000_NS6detail17trampoline_kernelINS0_14default_configENS1_36segmented_radix_sort_config_selectorIflEEZNS1_25segmented_radix_sort_implIS3_Lb0EPKfPfPKlPlN2at6native12_GLOBAL__N_18offset_tEEE10hipError_tPvRmT1_PNSt15iterator_traitsISK_E10value_typeET2_T3_PNSL_ISQ_E10value_typeET4_jRbjT5_SW_jjP12ihipStream_tbEUlT_E2_NS1_11comp_targetILNS1_3genE4ELNS1_11target_archE910ELNS1_3gpuE8ELNS1_3repE0EEENS1_30default_config_static_selectorELNS0_4arch9wavefront6targetE0EEEvSK_
	.p2align	8
	.type	_ZN7rocprim17ROCPRIM_400000_NS6detail17trampoline_kernelINS0_14default_configENS1_36segmented_radix_sort_config_selectorIflEEZNS1_25segmented_radix_sort_implIS3_Lb0EPKfPfPKlPlN2at6native12_GLOBAL__N_18offset_tEEE10hipError_tPvRmT1_PNSt15iterator_traitsISK_E10value_typeET2_T3_PNSL_ISQ_E10value_typeET4_jRbjT5_SW_jjP12ihipStream_tbEUlT_E2_NS1_11comp_targetILNS1_3genE4ELNS1_11target_archE910ELNS1_3gpuE8ELNS1_3repE0EEENS1_30default_config_static_selectorELNS0_4arch9wavefront6targetE0EEEvSK_,@function
_ZN7rocprim17ROCPRIM_400000_NS6detail17trampoline_kernelINS0_14default_configENS1_36segmented_radix_sort_config_selectorIflEEZNS1_25segmented_radix_sort_implIS3_Lb0EPKfPfPKlPlN2at6native12_GLOBAL__N_18offset_tEEE10hipError_tPvRmT1_PNSt15iterator_traitsISK_E10value_typeET2_T3_PNSL_ISQ_E10value_typeET4_jRbjT5_SW_jjP12ihipStream_tbEUlT_E2_NS1_11comp_targetILNS1_3genE4ELNS1_11target_archE910ELNS1_3gpuE8ELNS1_3repE0EEENS1_30default_config_static_selectorELNS0_4arch9wavefront6targetE0EEEvSK_: ; @_ZN7rocprim17ROCPRIM_400000_NS6detail17trampoline_kernelINS0_14default_configENS1_36segmented_radix_sort_config_selectorIflEEZNS1_25segmented_radix_sort_implIS3_Lb0EPKfPfPKlPlN2at6native12_GLOBAL__N_18offset_tEEE10hipError_tPvRmT1_PNSt15iterator_traitsISK_E10value_typeET2_T3_PNSL_ISQ_E10value_typeET4_jRbjT5_SW_jjP12ihipStream_tbEUlT_E2_NS1_11comp_targetILNS1_3genE4ELNS1_11target_archE910ELNS1_3gpuE8ELNS1_3repE0EEENS1_30default_config_static_selectorELNS0_4arch9wavefront6targetE0EEEvSK_
; %bb.0:
	.section	.rodata,"a",@progbits
	.p2align	6, 0x0
	.amdhsa_kernel _ZN7rocprim17ROCPRIM_400000_NS6detail17trampoline_kernelINS0_14default_configENS1_36segmented_radix_sort_config_selectorIflEEZNS1_25segmented_radix_sort_implIS3_Lb0EPKfPfPKlPlN2at6native12_GLOBAL__N_18offset_tEEE10hipError_tPvRmT1_PNSt15iterator_traitsISK_E10value_typeET2_T3_PNSL_ISQ_E10value_typeET4_jRbjT5_SW_jjP12ihipStream_tbEUlT_E2_NS1_11comp_targetILNS1_3genE4ELNS1_11target_archE910ELNS1_3gpuE8ELNS1_3repE0EEENS1_30default_config_static_selectorELNS0_4arch9wavefront6targetE0EEEvSK_
		.amdhsa_group_segment_fixed_size 0
		.amdhsa_private_segment_fixed_size 0
		.amdhsa_kernarg_size 80
		.amdhsa_user_sgpr_count 2
		.amdhsa_user_sgpr_dispatch_ptr 0
		.amdhsa_user_sgpr_queue_ptr 0
		.amdhsa_user_sgpr_kernarg_segment_ptr 1
		.amdhsa_user_sgpr_dispatch_id 0
		.amdhsa_user_sgpr_kernarg_preload_length 0
		.amdhsa_user_sgpr_kernarg_preload_offset 0
		.amdhsa_user_sgpr_private_segment_size 0
		.amdhsa_wavefront_size32 1
		.amdhsa_uses_dynamic_stack 0
		.amdhsa_enable_private_segment 0
		.amdhsa_system_sgpr_workgroup_id_x 1
		.amdhsa_system_sgpr_workgroup_id_y 0
		.amdhsa_system_sgpr_workgroup_id_z 0
		.amdhsa_system_sgpr_workgroup_info 0
		.amdhsa_system_vgpr_workitem_id 0
		.amdhsa_next_free_vgpr 1
		.amdhsa_next_free_sgpr 1
		.amdhsa_named_barrier_count 0
		.amdhsa_reserve_vcc 0
		.amdhsa_float_round_mode_32 0
		.amdhsa_float_round_mode_16_64 0
		.amdhsa_float_denorm_mode_32 3
		.amdhsa_float_denorm_mode_16_64 3
		.amdhsa_fp16_overflow 0
		.amdhsa_memory_ordered 1
		.amdhsa_forward_progress 1
		.amdhsa_inst_pref_size 0
		.amdhsa_round_robin_scheduling 0
		.amdhsa_exception_fp_ieee_invalid_op 0
		.amdhsa_exception_fp_denorm_src 0
		.amdhsa_exception_fp_ieee_div_zero 0
		.amdhsa_exception_fp_ieee_overflow 0
		.amdhsa_exception_fp_ieee_underflow 0
		.amdhsa_exception_fp_ieee_inexact 0
		.amdhsa_exception_int_div_zero 0
	.end_amdhsa_kernel
	.section	.text._ZN7rocprim17ROCPRIM_400000_NS6detail17trampoline_kernelINS0_14default_configENS1_36segmented_radix_sort_config_selectorIflEEZNS1_25segmented_radix_sort_implIS3_Lb0EPKfPfPKlPlN2at6native12_GLOBAL__N_18offset_tEEE10hipError_tPvRmT1_PNSt15iterator_traitsISK_E10value_typeET2_T3_PNSL_ISQ_E10value_typeET4_jRbjT5_SW_jjP12ihipStream_tbEUlT_E2_NS1_11comp_targetILNS1_3genE4ELNS1_11target_archE910ELNS1_3gpuE8ELNS1_3repE0EEENS1_30default_config_static_selectorELNS0_4arch9wavefront6targetE0EEEvSK_,"axG",@progbits,_ZN7rocprim17ROCPRIM_400000_NS6detail17trampoline_kernelINS0_14default_configENS1_36segmented_radix_sort_config_selectorIflEEZNS1_25segmented_radix_sort_implIS3_Lb0EPKfPfPKlPlN2at6native12_GLOBAL__N_18offset_tEEE10hipError_tPvRmT1_PNSt15iterator_traitsISK_E10value_typeET2_T3_PNSL_ISQ_E10value_typeET4_jRbjT5_SW_jjP12ihipStream_tbEUlT_E2_NS1_11comp_targetILNS1_3genE4ELNS1_11target_archE910ELNS1_3gpuE8ELNS1_3repE0EEENS1_30default_config_static_selectorELNS0_4arch9wavefront6targetE0EEEvSK_,comdat
.Lfunc_end1452:
	.size	_ZN7rocprim17ROCPRIM_400000_NS6detail17trampoline_kernelINS0_14default_configENS1_36segmented_radix_sort_config_selectorIflEEZNS1_25segmented_radix_sort_implIS3_Lb0EPKfPfPKlPlN2at6native12_GLOBAL__N_18offset_tEEE10hipError_tPvRmT1_PNSt15iterator_traitsISK_E10value_typeET2_T3_PNSL_ISQ_E10value_typeET4_jRbjT5_SW_jjP12ihipStream_tbEUlT_E2_NS1_11comp_targetILNS1_3genE4ELNS1_11target_archE910ELNS1_3gpuE8ELNS1_3repE0EEENS1_30default_config_static_selectorELNS0_4arch9wavefront6targetE0EEEvSK_, .Lfunc_end1452-_ZN7rocprim17ROCPRIM_400000_NS6detail17trampoline_kernelINS0_14default_configENS1_36segmented_radix_sort_config_selectorIflEEZNS1_25segmented_radix_sort_implIS3_Lb0EPKfPfPKlPlN2at6native12_GLOBAL__N_18offset_tEEE10hipError_tPvRmT1_PNSt15iterator_traitsISK_E10value_typeET2_T3_PNSL_ISQ_E10value_typeET4_jRbjT5_SW_jjP12ihipStream_tbEUlT_E2_NS1_11comp_targetILNS1_3genE4ELNS1_11target_archE910ELNS1_3gpuE8ELNS1_3repE0EEENS1_30default_config_static_selectorELNS0_4arch9wavefront6targetE0EEEvSK_
                                        ; -- End function
	.set _ZN7rocprim17ROCPRIM_400000_NS6detail17trampoline_kernelINS0_14default_configENS1_36segmented_radix_sort_config_selectorIflEEZNS1_25segmented_radix_sort_implIS3_Lb0EPKfPfPKlPlN2at6native12_GLOBAL__N_18offset_tEEE10hipError_tPvRmT1_PNSt15iterator_traitsISK_E10value_typeET2_T3_PNSL_ISQ_E10value_typeET4_jRbjT5_SW_jjP12ihipStream_tbEUlT_E2_NS1_11comp_targetILNS1_3genE4ELNS1_11target_archE910ELNS1_3gpuE8ELNS1_3repE0EEENS1_30default_config_static_selectorELNS0_4arch9wavefront6targetE0EEEvSK_.num_vgpr, 0
	.set _ZN7rocprim17ROCPRIM_400000_NS6detail17trampoline_kernelINS0_14default_configENS1_36segmented_radix_sort_config_selectorIflEEZNS1_25segmented_radix_sort_implIS3_Lb0EPKfPfPKlPlN2at6native12_GLOBAL__N_18offset_tEEE10hipError_tPvRmT1_PNSt15iterator_traitsISK_E10value_typeET2_T3_PNSL_ISQ_E10value_typeET4_jRbjT5_SW_jjP12ihipStream_tbEUlT_E2_NS1_11comp_targetILNS1_3genE4ELNS1_11target_archE910ELNS1_3gpuE8ELNS1_3repE0EEENS1_30default_config_static_selectorELNS0_4arch9wavefront6targetE0EEEvSK_.num_agpr, 0
	.set _ZN7rocprim17ROCPRIM_400000_NS6detail17trampoline_kernelINS0_14default_configENS1_36segmented_radix_sort_config_selectorIflEEZNS1_25segmented_radix_sort_implIS3_Lb0EPKfPfPKlPlN2at6native12_GLOBAL__N_18offset_tEEE10hipError_tPvRmT1_PNSt15iterator_traitsISK_E10value_typeET2_T3_PNSL_ISQ_E10value_typeET4_jRbjT5_SW_jjP12ihipStream_tbEUlT_E2_NS1_11comp_targetILNS1_3genE4ELNS1_11target_archE910ELNS1_3gpuE8ELNS1_3repE0EEENS1_30default_config_static_selectorELNS0_4arch9wavefront6targetE0EEEvSK_.numbered_sgpr, 0
	.set _ZN7rocprim17ROCPRIM_400000_NS6detail17trampoline_kernelINS0_14default_configENS1_36segmented_radix_sort_config_selectorIflEEZNS1_25segmented_radix_sort_implIS3_Lb0EPKfPfPKlPlN2at6native12_GLOBAL__N_18offset_tEEE10hipError_tPvRmT1_PNSt15iterator_traitsISK_E10value_typeET2_T3_PNSL_ISQ_E10value_typeET4_jRbjT5_SW_jjP12ihipStream_tbEUlT_E2_NS1_11comp_targetILNS1_3genE4ELNS1_11target_archE910ELNS1_3gpuE8ELNS1_3repE0EEENS1_30default_config_static_selectorELNS0_4arch9wavefront6targetE0EEEvSK_.num_named_barrier, 0
	.set _ZN7rocprim17ROCPRIM_400000_NS6detail17trampoline_kernelINS0_14default_configENS1_36segmented_radix_sort_config_selectorIflEEZNS1_25segmented_radix_sort_implIS3_Lb0EPKfPfPKlPlN2at6native12_GLOBAL__N_18offset_tEEE10hipError_tPvRmT1_PNSt15iterator_traitsISK_E10value_typeET2_T3_PNSL_ISQ_E10value_typeET4_jRbjT5_SW_jjP12ihipStream_tbEUlT_E2_NS1_11comp_targetILNS1_3genE4ELNS1_11target_archE910ELNS1_3gpuE8ELNS1_3repE0EEENS1_30default_config_static_selectorELNS0_4arch9wavefront6targetE0EEEvSK_.private_seg_size, 0
	.set _ZN7rocprim17ROCPRIM_400000_NS6detail17trampoline_kernelINS0_14default_configENS1_36segmented_radix_sort_config_selectorIflEEZNS1_25segmented_radix_sort_implIS3_Lb0EPKfPfPKlPlN2at6native12_GLOBAL__N_18offset_tEEE10hipError_tPvRmT1_PNSt15iterator_traitsISK_E10value_typeET2_T3_PNSL_ISQ_E10value_typeET4_jRbjT5_SW_jjP12ihipStream_tbEUlT_E2_NS1_11comp_targetILNS1_3genE4ELNS1_11target_archE910ELNS1_3gpuE8ELNS1_3repE0EEENS1_30default_config_static_selectorELNS0_4arch9wavefront6targetE0EEEvSK_.uses_vcc, 0
	.set _ZN7rocprim17ROCPRIM_400000_NS6detail17trampoline_kernelINS0_14default_configENS1_36segmented_radix_sort_config_selectorIflEEZNS1_25segmented_radix_sort_implIS3_Lb0EPKfPfPKlPlN2at6native12_GLOBAL__N_18offset_tEEE10hipError_tPvRmT1_PNSt15iterator_traitsISK_E10value_typeET2_T3_PNSL_ISQ_E10value_typeET4_jRbjT5_SW_jjP12ihipStream_tbEUlT_E2_NS1_11comp_targetILNS1_3genE4ELNS1_11target_archE910ELNS1_3gpuE8ELNS1_3repE0EEENS1_30default_config_static_selectorELNS0_4arch9wavefront6targetE0EEEvSK_.uses_flat_scratch, 0
	.set _ZN7rocprim17ROCPRIM_400000_NS6detail17trampoline_kernelINS0_14default_configENS1_36segmented_radix_sort_config_selectorIflEEZNS1_25segmented_radix_sort_implIS3_Lb0EPKfPfPKlPlN2at6native12_GLOBAL__N_18offset_tEEE10hipError_tPvRmT1_PNSt15iterator_traitsISK_E10value_typeET2_T3_PNSL_ISQ_E10value_typeET4_jRbjT5_SW_jjP12ihipStream_tbEUlT_E2_NS1_11comp_targetILNS1_3genE4ELNS1_11target_archE910ELNS1_3gpuE8ELNS1_3repE0EEENS1_30default_config_static_selectorELNS0_4arch9wavefront6targetE0EEEvSK_.has_dyn_sized_stack, 0
	.set _ZN7rocprim17ROCPRIM_400000_NS6detail17trampoline_kernelINS0_14default_configENS1_36segmented_radix_sort_config_selectorIflEEZNS1_25segmented_radix_sort_implIS3_Lb0EPKfPfPKlPlN2at6native12_GLOBAL__N_18offset_tEEE10hipError_tPvRmT1_PNSt15iterator_traitsISK_E10value_typeET2_T3_PNSL_ISQ_E10value_typeET4_jRbjT5_SW_jjP12ihipStream_tbEUlT_E2_NS1_11comp_targetILNS1_3genE4ELNS1_11target_archE910ELNS1_3gpuE8ELNS1_3repE0EEENS1_30default_config_static_selectorELNS0_4arch9wavefront6targetE0EEEvSK_.has_recursion, 0
	.set _ZN7rocprim17ROCPRIM_400000_NS6detail17trampoline_kernelINS0_14default_configENS1_36segmented_radix_sort_config_selectorIflEEZNS1_25segmented_radix_sort_implIS3_Lb0EPKfPfPKlPlN2at6native12_GLOBAL__N_18offset_tEEE10hipError_tPvRmT1_PNSt15iterator_traitsISK_E10value_typeET2_T3_PNSL_ISQ_E10value_typeET4_jRbjT5_SW_jjP12ihipStream_tbEUlT_E2_NS1_11comp_targetILNS1_3genE4ELNS1_11target_archE910ELNS1_3gpuE8ELNS1_3repE0EEENS1_30default_config_static_selectorELNS0_4arch9wavefront6targetE0EEEvSK_.has_indirect_call, 0
	.section	.AMDGPU.csdata,"",@progbits
; Kernel info:
; codeLenInByte = 0
; TotalNumSgprs: 0
; NumVgprs: 0
; ScratchSize: 0
; MemoryBound: 0
; FloatMode: 240
; IeeeMode: 1
; LDSByteSize: 0 bytes/workgroup (compile time only)
; SGPRBlocks: 0
; VGPRBlocks: 0
; NumSGPRsForWavesPerEU: 1
; NumVGPRsForWavesPerEU: 1
; NamedBarCnt: 0
; Occupancy: 16
; WaveLimiterHint : 0
; COMPUTE_PGM_RSRC2:SCRATCH_EN: 0
; COMPUTE_PGM_RSRC2:USER_SGPR: 2
; COMPUTE_PGM_RSRC2:TRAP_HANDLER: 0
; COMPUTE_PGM_RSRC2:TGID_X_EN: 1
; COMPUTE_PGM_RSRC2:TGID_Y_EN: 0
; COMPUTE_PGM_RSRC2:TGID_Z_EN: 0
; COMPUTE_PGM_RSRC2:TIDIG_COMP_CNT: 0
	.section	.text._ZN7rocprim17ROCPRIM_400000_NS6detail17trampoline_kernelINS0_14default_configENS1_36segmented_radix_sort_config_selectorIflEEZNS1_25segmented_radix_sort_implIS3_Lb0EPKfPfPKlPlN2at6native12_GLOBAL__N_18offset_tEEE10hipError_tPvRmT1_PNSt15iterator_traitsISK_E10value_typeET2_T3_PNSL_ISQ_E10value_typeET4_jRbjT5_SW_jjP12ihipStream_tbEUlT_E2_NS1_11comp_targetILNS1_3genE3ELNS1_11target_archE908ELNS1_3gpuE7ELNS1_3repE0EEENS1_30default_config_static_selectorELNS0_4arch9wavefront6targetE0EEEvSK_,"axG",@progbits,_ZN7rocprim17ROCPRIM_400000_NS6detail17trampoline_kernelINS0_14default_configENS1_36segmented_radix_sort_config_selectorIflEEZNS1_25segmented_radix_sort_implIS3_Lb0EPKfPfPKlPlN2at6native12_GLOBAL__N_18offset_tEEE10hipError_tPvRmT1_PNSt15iterator_traitsISK_E10value_typeET2_T3_PNSL_ISQ_E10value_typeET4_jRbjT5_SW_jjP12ihipStream_tbEUlT_E2_NS1_11comp_targetILNS1_3genE3ELNS1_11target_archE908ELNS1_3gpuE7ELNS1_3repE0EEENS1_30default_config_static_selectorELNS0_4arch9wavefront6targetE0EEEvSK_,comdat
	.globl	_ZN7rocprim17ROCPRIM_400000_NS6detail17trampoline_kernelINS0_14default_configENS1_36segmented_radix_sort_config_selectorIflEEZNS1_25segmented_radix_sort_implIS3_Lb0EPKfPfPKlPlN2at6native12_GLOBAL__N_18offset_tEEE10hipError_tPvRmT1_PNSt15iterator_traitsISK_E10value_typeET2_T3_PNSL_ISQ_E10value_typeET4_jRbjT5_SW_jjP12ihipStream_tbEUlT_E2_NS1_11comp_targetILNS1_3genE3ELNS1_11target_archE908ELNS1_3gpuE7ELNS1_3repE0EEENS1_30default_config_static_selectorELNS0_4arch9wavefront6targetE0EEEvSK_ ; -- Begin function _ZN7rocprim17ROCPRIM_400000_NS6detail17trampoline_kernelINS0_14default_configENS1_36segmented_radix_sort_config_selectorIflEEZNS1_25segmented_radix_sort_implIS3_Lb0EPKfPfPKlPlN2at6native12_GLOBAL__N_18offset_tEEE10hipError_tPvRmT1_PNSt15iterator_traitsISK_E10value_typeET2_T3_PNSL_ISQ_E10value_typeET4_jRbjT5_SW_jjP12ihipStream_tbEUlT_E2_NS1_11comp_targetILNS1_3genE3ELNS1_11target_archE908ELNS1_3gpuE7ELNS1_3repE0EEENS1_30default_config_static_selectorELNS0_4arch9wavefront6targetE0EEEvSK_
	.p2align	8
	.type	_ZN7rocprim17ROCPRIM_400000_NS6detail17trampoline_kernelINS0_14default_configENS1_36segmented_radix_sort_config_selectorIflEEZNS1_25segmented_radix_sort_implIS3_Lb0EPKfPfPKlPlN2at6native12_GLOBAL__N_18offset_tEEE10hipError_tPvRmT1_PNSt15iterator_traitsISK_E10value_typeET2_T3_PNSL_ISQ_E10value_typeET4_jRbjT5_SW_jjP12ihipStream_tbEUlT_E2_NS1_11comp_targetILNS1_3genE3ELNS1_11target_archE908ELNS1_3gpuE7ELNS1_3repE0EEENS1_30default_config_static_selectorELNS0_4arch9wavefront6targetE0EEEvSK_,@function
_ZN7rocprim17ROCPRIM_400000_NS6detail17trampoline_kernelINS0_14default_configENS1_36segmented_radix_sort_config_selectorIflEEZNS1_25segmented_radix_sort_implIS3_Lb0EPKfPfPKlPlN2at6native12_GLOBAL__N_18offset_tEEE10hipError_tPvRmT1_PNSt15iterator_traitsISK_E10value_typeET2_T3_PNSL_ISQ_E10value_typeET4_jRbjT5_SW_jjP12ihipStream_tbEUlT_E2_NS1_11comp_targetILNS1_3genE3ELNS1_11target_archE908ELNS1_3gpuE7ELNS1_3repE0EEENS1_30default_config_static_selectorELNS0_4arch9wavefront6targetE0EEEvSK_: ; @_ZN7rocprim17ROCPRIM_400000_NS6detail17trampoline_kernelINS0_14default_configENS1_36segmented_radix_sort_config_selectorIflEEZNS1_25segmented_radix_sort_implIS3_Lb0EPKfPfPKlPlN2at6native12_GLOBAL__N_18offset_tEEE10hipError_tPvRmT1_PNSt15iterator_traitsISK_E10value_typeET2_T3_PNSL_ISQ_E10value_typeET4_jRbjT5_SW_jjP12ihipStream_tbEUlT_E2_NS1_11comp_targetILNS1_3genE3ELNS1_11target_archE908ELNS1_3gpuE7ELNS1_3repE0EEENS1_30default_config_static_selectorELNS0_4arch9wavefront6targetE0EEEvSK_
; %bb.0:
	.section	.rodata,"a",@progbits
	.p2align	6, 0x0
	.amdhsa_kernel _ZN7rocprim17ROCPRIM_400000_NS6detail17trampoline_kernelINS0_14default_configENS1_36segmented_radix_sort_config_selectorIflEEZNS1_25segmented_radix_sort_implIS3_Lb0EPKfPfPKlPlN2at6native12_GLOBAL__N_18offset_tEEE10hipError_tPvRmT1_PNSt15iterator_traitsISK_E10value_typeET2_T3_PNSL_ISQ_E10value_typeET4_jRbjT5_SW_jjP12ihipStream_tbEUlT_E2_NS1_11comp_targetILNS1_3genE3ELNS1_11target_archE908ELNS1_3gpuE7ELNS1_3repE0EEENS1_30default_config_static_selectorELNS0_4arch9wavefront6targetE0EEEvSK_
		.amdhsa_group_segment_fixed_size 0
		.amdhsa_private_segment_fixed_size 0
		.amdhsa_kernarg_size 80
		.amdhsa_user_sgpr_count 2
		.amdhsa_user_sgpr_dispatch_ptr 0
		.amdhsa_user_sgpr_queue_ptr 0
		.amdhsa_user_sgpr_kernarg_segment_ptr 1
		.amdhsa_user_sgpr_dispatch_id 0
		.amdhsa_user_sgpr_kernarg_preload_length 0
		.amdhsa_user_sgpr_kernarg_preload_offset 0
		.amdhsa_user_sgpr_private_segment_size 0
		.amdhsa_wavefront_size32 1
		.amdhsa_uses_dynamic_stack 0
		.amdhsa_enable_private_segment 0
		.amdhsa_system_sgpr_workgroup_id_x 1
		.amdhsa_system_sgpr_workgroup_id_y 0
		.amdhsa_system_sgpr_workgroup_id_z 0
		.amdhsa_system_sgpr_workgroup_info 0
		.amdhsa_system_vgpr_workitem_id 0
		.amdhsa_next_free_vgpr 1
		.amdhsa_next_free_sgpr 1
		.amdhsa_named_barrier_count 0
		.amdhsa_reserve_vcc 0
		.amdhsa_float_round_mode_32 0
		.amdhsa_float_round_mode_16_64 0
		.amdhsa_float_denorm_mode_32 3
		.amdhsa_float_denorm_mode_16_64 3
		.amdhsa_fp16_overflow 0
		.amdhsa_memory_ordered 1
		.amdhsa_forward_progress 1
		.amdhsa_inst_pref_size 0
		.amdhsa_round_robin_scheduling 0
		.amdhsa_exception_fp_ieee_invalid_op 0
		.amdhsa_exception_fp_denorm_src 0
		.amdhsa_exception_fp_ieee_div_zero 0
		.amdhsa_exception_fp_ieee_overflow 0
		.amdhsa_exception_fp_ieee_underflow 0
		.amdhsa_exception_fp_ieee_inexact 0
		.amdhsa_exception_int_div_zero 0
	.end_amdhsa_kernel
	.section	.text._ZN7rocprim17ROCPRIM_400000_NS6detail17trampoline_kernelINS0_14default_configENS1_36segmented_radix_sort_config_selectorIflEEZNS1_25segmented_radix_sort_implIS3_Lb0EPKfPfPKlPlN2at6native12_GLOBAL__N_18offset_tEEE10hipError_tPvRmT1_PNSt15iterator_traitsISK_E10value_typeET2_T3_PNSL_ISQ_E10value_typeET4_jRbjT5_SW_jjP12ihipStream_tbEUlT_E2_NS1_11comp_targetILNS1_3genE3ELNS1_11target_archE908ELNS1_3gpuE7ELNS1_3repE0EEENS1_30default_config_static_selectorELNS0_4arch9wavefront6targetE0EEEvSK_,"axG",@progbits,_ZN7rocprim17ROCPRIM_400000_NS6detail17trampoline_kernelINS0_14default_configENS1_36segmented_radix_sort_config_selectorIflEEZNS1_25segmented_radix_sort_implIS3_Lb0EPKfPfPKlPlN2at6native12_GLOBAL__N_18offset_tEEE10hipError_tPvRmT1_PNSt15iterator_traitsISK_E10value_typeET2_T3_PNSL_ISQ_E10value_typeET4_jRbjT5_SW_jjP12ihipStream_tbEUlT_E2_NS1_11comp_targetILNS1_3genE3ELNS1_11target_archE908ELNS1_3gpuE7ELNS1_3repE0EEENS1_30default_config_static_selectorELNS0_4arch9wavefront6targetE0EEEvSK_,comdat
.Lfunc_end1453:
	.size	_ZN7rocprim17ROCPRIM_400000_NS6detail17trampoline_kernelINS0_14default_configENS1_36segmented_radix_sort_config_selectorIflEEZNS1_25segmented_radix_sort_implIS3_Lb0EPKfPfPKlPlN2at6native12_GLOBAL__N_18offset_tEEE10hipError_tPvRmT1_PNSt15iterator_traitsISK_E10value_typeET2_T3_PNSL_ISQ_E10value_typeET4_jRbjT5_SW_jjP12ihipStream_tbEUlT_E2_NS1_11comp_targetILNS1_3genE3ELNS1_11target_archE908ELNS1_3gpuE7ELNS1_3repE0EEENS1_30default_config_static_selectorELNS0_4arch9wavefront6targetE0EEEvSK_, .Lfunc_end1453-_ZN7rocprim17ROCPRIM_400000_NS6detail17trampoline_kernelINS0_14default_configENS1_36segmented_radix_sort_config_selectorIflEEZNS1_25segmented_radix_sort_implIS3_Lb0EPKfPfPKlPlN2at6native12_GLOBAL__N_18offset_tEEE10hipError_tPvRmT1_PNSt15iterator_traitsISK_E10value_typeET2_T3_PNSL_ISQ_E10value_typeET4_jRbjT5_SW_jjP12ihipStream_tbEUlT_E2_NS1_11comp_targetILNS1_3genE3ELNS1_11target_archE908ELNS1_3gpuE7ELNS1_3repE0EEENS1_30default_config_static_selectorELNS0_4arch9wavefront6targetE0EEEvSK_
                                        ; -- End function
	.set _ZN7rocprim17ROCPRIM_400000_NS6detail17trampoline_kernelINS0_14default_configENS1_36segmented_radix_sort_config_selectorIflEEZNS1_25segmented_radix_sort_implIS3_Lb0EPKfPfPKlPlN2at6native12_GLOBAL__N_18offset_tEEE10hipError_tPvRmT1_PNSt15iterator_traitsISK_E10value_typeET2_T3_PNSL_ISQ_E10value_typeET4_jRbjT5_SW_jjP12ihipStream_tbEUlT_E2_NS1_11comp_targetILNS1_3genE3ELNS1_11target_archE908ELNS1_3gpuE7ELNS1_3repE0EEENS1_30default_config_static_selectorELNS0_4arch9wavefront6targetE0EEEvSK_.num_vgpr, 0
	.set _ZN7rocprim17ROCPRIM_400000_NS6detail17trampoline_kernelINS0_14default_configENS1_36segmented_radix_sort_config_selectorIflEEZNS1_25segmented_radix_sort_implIS3_Lb0EPKfPfPKlPlN2at6native12_GLOBAL__N_18offset_tEEE10hipError_tPvRmT1_PNSt15iterator_traitsISK_E10value_typeET2_T3_PNSL_ISQ_E10value_typeET4_jRbjT5_SW_jjP12ihipStream_tbEUlT_E2_NS1_11comp_targetILNS1_3genE3ELNS1_11target_archE908ELNS1_3gpuE7ELNS1_3repE0EEENS1_30default_config_static_selectorELNS0_4arch9wavefront6targetE0EEEvSK_.num_agpr, 0
	.set _ZN7rocprim17ROCPRIM_400000_NS6detail17trampoline_kernelINS0_14default_configENS1_36segmented_radix_sort_config_selectorIflEEZNS1_25segmented_radix_sort_implIS3_Lb0EPKfPfPKlPlN2at6native12_GLOBAL__N_18offset_tEEE10hipError_tPvRmT1_PNSt15iterator_traitsISK_E10value_typeET2_T3_PNSL_ISQ_E10value_typeET4_jRbjT5_SW_jjP12ihipStream_tbEUlT_E2_NS1_11comp_targetILNS1_3genE3ELNS1_11target_archE908ELNS1_3gpuE7ELNS1_3repE0EEENS1_30default_config_static_selectorELNS0_4arch9wavefront6targetE0EEEvSK_.numbered_sgpr, 0
	.set _ZN7rocprim17ROCPRIM_400000_NS6detail17trampoline_kernelINS0_14default_configENS1_36segmented_radix_sort_config_selectorIflEEZNS1_25segmented_radix_sort_implIS3_Lb0EPKfPfPKlPlN2at6native12_GLOBAL__N_18offset_tEEE10hipError_tPvRmT1_PNSt15iterator_traitsISK_E10value_typeET2_T3_PNSL_ISQ_E10value_typeET4_jRbjT5_SW_jjP12ihipStream_tbEUlT_E2_NS1_11comp_targetILNS1_3genE3ELNS1_11target_archE908ELNS1_3gpuE7ELNS1_3repE0EEENS1_30default_config_static_selectorELNS0_4arch9wavefront6targetE0EEEvSK_.num_named_barrier, 0
	.set _ZN7rocprim17ROCPRIM_400000_NS6detail17trampoline_kernelINS0_14default_configENS1_36segmented_radix_sort_config_selectorIflEEZNS1_25segmented_radix_sort_implIS3_Lb0EPKfPfPKlPlN2at6native12_GLOBAL__N_18offset_tEEE10hipError_tPvRmT1_PNSt15iterator_traitsISK_E10value_typeET2_T3_PNSL_ISQ_E10value_typeET4_jRbjT5_SW_jjP12ihipStream_tbEUlT_E2_NS1_11comp_targetILNS1_3genE3ELNS1_11target_archE908ELNS1_3gpuE7ELNS1_3repE0EEENS1_30default_config_static_selectorELNS0_4arch9wavefront6targetE0EEEvSK_.private_seg_size, 0
	.set _ZN7rocprim17ROCPRIM_400000_NS6detail17trampoline_kernelINS0_14default_configENS1_36segmented_radix_sort_config_selectorIflEEZNS1_25segmented_radix_sort_implIS3_Lb0EPKfPfPKlPlN2at6native12_GLOBAL__N_18offset_tEEE10hipError_tPvRmT1_PNSt15iterator_traitsISK_E10value_typeET2_T3_PNSL_ISQ_E10value_typeET4_jRbjT5_SW_jjP12ihipStream_tbEUlT_E2_NS1_11comp_targetILNS1_3genE3ELNS1_11target_archE908ELNS1_3gpuE7ELNS1_3repE0EEENS1_30default_config_static_selectorELNS0_4arch9wavefront6targetE0EEEvSK_.uses_vcc, 0
	.set _ZN7rocprim17ROCPRIM_400000_NS6detail17trampoline_kernelINS0_14default_configENS1_36segmented_radix_sort_config_selectorIflEEZNS1_25segmented_radix_sort_implIS3_Lb0EPKfPfPKlPlN2at6native12_GLOBAL__N_18offset_tEEE10hipError_tPvRmT1_PNSt15iterator_traitsISK_E10value_typeET2_T3_PNSL_ISQ_E10value_typeET4_jRbjT5_SW_jjP12ihipStream_tbEUlT_E2_NS1_11comp_targetILNS1_3genE3ELNS1_11target_archE908ELNS1_3gpuE7ELNS1_3repE0EEENS1_30default_config_static_selectorELNS0_4arch9wavefront6targetE0EEEvSK_.uses_flat_scratch, 0
	.set _ZN7rocprim17ROCPRIM_400000_NS6detail17trampoline_kernelINS0_14default_configENS1_36segmented_radix_sort_config_selectorIflEEZNS1_25segmented_radix_sort_implIS3_Lb0EPKfPfPKlPlN2at6native12_GLOBAL__N_18offset_tEEE10hipError_tPvRmT1_PNSt15iterator_traitsISK_E10value_typeET2_T3_PNSL_ISQ_E10value_typeET4_jRbjT5_SW_jjP12ihipStream_tbEUlT_E2_NS1_11comp_targetILNS1_3genE3ELNS1_11target_archE908ELNS1_3gpuE7ELNS1_3repE0EEENS1_30default_config_static_selectorELNS0_4arch9wavefront6targetE0EEEvSK_.has_dyn_sized_stack, 0
	.set _ZN7rocprim17ROCPRIM_400000_NS6detail17trampoline_kernelINS0_14default_configENS1_36segmented_radix_sort_config_selectorIflEEZNS1_25segmented_radix_sort_implIS3_Lb0EPKfPfPKlPlN2at6native12_GLOBAL__N_18offset_tEEE10hipError_tPvRmT1_PNSt15iterator_traitsISK_E10value_typeET2_T3_PNSL_ISQ_E10value_typeET4_jRbjT5_SW_jjP12ihipStream_tbEUlT_E2_NS1_11comp_targetILNS1_3genE3ELNS1_11target_archE908ELNS1_3gpuE7ELNS1_3repE0EEENS1_30default_config_static_selectorELNS0_4arch9wavefront6targetE0EEEvSK_.has_recursion, 0
	.set _ZN7rocprim17ROCPRIM_400000_NS6detail17trampoline_kernelINS0_14default_configENS1_36segmented_radix_sort_config_selectorIflEEZNS1_25segmented_radix_sort_implIS3_Lb0EPKfPfPKlPlN2at6native12_GLOBAL__N_18offset_tEEE10hipError_tPvRmT1_PNSt15iterator_traitsISK_E10value_typeET2_T3_PNSL_ISQ_E10value_typeET4_jRbjT5_SW_jjP12ihipStream_tbEUlT_E2_NS1_11comp_targetILNS1_3genE3ELNS1_11target_archE908ELNS1_3gpuE7ELNS1_3repE0EEENS1_30default_config_static_selectorELNS0_4arch9wavefront6targetE0EEEvSK_.has_indirect_call, 0
	.section	.AMDGPU.csdata,"",@progbits
; Kernel info:
; codeLenInByte = 0
; TotalNumSgprs: 0
; NumVgprs: 0
; ScratchSize: 0
; MemoryBound: 0
; FloatMode: 240
; IeeeMode: 1
; LDSByteSize: 0 bytes/workgroup (compile time only)
; SGPRBlocks: 0
; VGPRBlocks: 0
; NumSGPRsForWavesPerEU: 1
; NumVGPRsForWavesPerEU: 1
; NamedBarCnt: 0
; Occupancy: 16
; WaveLimiterHint : 0
; COMPUTE_PGM_RSRC2:SCRATCH_EN: 0
; COMPUTE_PGM_RSRC2:USER_SGPR: 2
; COMPUTE_PGM_RSRC2:TRAP_HANDLER: 0
; COMPUTE_PGM_RSRC2:TGID_X_EN: 1
; COMPUTE_PGM_RSRC2:TGID_Y_EN: 0
; COMPUTE_PGM_RSRC2:TGID_Z_EN: 0
; COMPUTE_PGM_RSRC2:TIDIG_COMP_CNT: 0
	.section	.text._ZN7rocprim17ROCPRIM_400000_NS6detail17trampoline_kernelINS0_14default_configENS1_36segmented_radix_sort_config_selectorIflEEZNS1_25segmented_radix_sort_implIS3_Lb0EPKfPfPKlPlN2at6native12_GLOBAL__N_18offset_tEEE10hipError_tPvRmT1_PNSt15iterator_traitsISK_E10value_typeET2_T3_PNSL_ISQ_E10value_typeET4_jRbjT5_SW_jjP12ihipStream_tbEUlT_E2_NS1_11comp_targetILNS1_3genE2ELNS1_11target_archE906ELNS1_3gpuE6ELNS1_3repE0EEENS1_30default_config_static_selectorELNS0_4arch9wavefront6targetE0EEEvSK_,"axG",@progbits,_ZN7rocprim17ROCPRIM_400000_NS6detail17trampoline_kernelINS0_14default_configENS1_36segmented_radix_sort_config_selectorIflEEZNS1_25segmented_radix_sort_implIS3_Lb0EPKfPfPKlPlN2at6native12_GLOBAL__N_18offset_tEEE10hipError_tPvRmT1_PNSt15iterator_traitsISK_E10value_typeET2_T3_PNSL_ISQ_E10value_typeET4_jRbjT5_SW_jjP12ihipStream_tbEUlT_E2_NS1_11comp_targetILNS1_3genE2ELNS1_11target_archE906ELNS1_3gpuE6ELNS1_3repE0EEENS1_30default_config_static_selectorELNS0_4arch9wavefront6targetE0EEEvSK_,comdat
	.globl	_ZN7rocprim17ROCPRIM_400000_NS6detail17trampoline_kernelINS0_14default_configENS1_36segmented_radix_sort_config_selectorIflEEZNS1_25segmented_radix_sort_implIS3_Lb0EPKfPfPKlPlN2at6native12_GLOBAL__N_18offset_tEEE10hipError_tPvRmT1_PNSt15iterator_traitsISK_E10value_typeET2_T3_PNSL_ISQ_E10value_typeET4_jRbjT5_SW_jjP12ihipStream_tbEUlT_E2_NS1_11comp_targetILNS1_3genE2ELNS1_11target_archE906ELNS1_3gpuE6ELNS1_3repE0EEENS1_30default_config_static_selectorELNS0_4arch9wavefront6targetE0EEEvSK_ ; -- Begin function _ZN7rocprim17ROCPRIM_400000_NS6detail17trampoline_kernelINS0_14default_configENS1_36segmented_radix_sort_config_selectorIflEEZNS1_25segmented_radix_sort_implIS3_Lb0EPKfPfPKlPlN2at6native12_GLOBAL__N_18offset_tEEE10hipError_tPvRmT1_PNSt15iterator_traitsISK_E10value_typeET2_T3_PNSL_ISQ_E10value_typeET4_jRbjT5_SW_jjP12ihipStream_tbEUlT_E2_NS1_11comp_targetILNS1_3genE2ELNS1_11target_archE906ELNS1_3gpuE6ELNS1_3repE0EEENS1_30default_config_static_selectorELNS0_4arch9wavefront6targetE0EEEvSK_
	.p2align	8
	.type	_ZN7rocprim17ROCPRIM_400000_NS6detail17trampoline_kernelINS0_14default_configENS1_36segmented_radix_sort_config_selectorIflEEZNS1_25segmented_radix_sort_implIS3_Lb0EPKfPfPKlPlN2at6native12_GLOBAL__N_18offset_tEEE10hipError_tPvRmT1_PNSt15iterator_traitsISK_E10value_typeET2_T3_PNSL_ISQ_E10value_typeET4_jRbjT5_SW_jjP12ihipStream_tbEUlT_E2_NS1_11comp_targetILNS1_3genE2ELNS1_11target_archE906ELNS1_3gpuE6ELNS1_3repE0EEENS1_30default_config_static_selectorELNS0_4arch9wavefront6targetE0EEEvSK_,@function
_ZN7rocprim17ROCPRIM_400000_NS6detail17trampoline_kernelINS0_14default_configENS1_36segmented_radix_sort_config_selectorIflEEZNS1_25segmented_radix_sort_implIS3_Lb0EPKfPfPKlPlN2at6native12_GLOBAL__N_18offset_tEEE10hipError_tPvRmT1_PNSt15iterator_traitsISK_E10value_typeET2_T3_PNSL_ISQ_E10value_typeET4_jRbjT5_SW_jjP12ihipStream_tbEUlT_E2_NS1_11comp_targetILNS1_3genE2ELNS1_11target_archE906ELNS1_3gpuE6ELNS1_3repE0EEENS1_30default_config_static_selectorELNS0_4arch9wavefront6targetE0EEEvSK_: ; @_ZN7rocprim17ROCPRIM_400000_NS6detail17trampoline_kernelINS0_14default_configENS1_36segmented_radix_sort_config_selectorIflEEZNS1_25segmented_radix_sort_implIS3_Lb0EPKfPfPKlPlN2at6native12_GLOBAL__N_18offset_tEEE10hipError_tPvRmT1_PNSt15iterator_traitsISK_E10value_typeET2_T3_PNSL_ISQ_E10value_typeET4_jRbjT5_SW_jjP12ihipStream_tbEUlT_E2_NS1_11comp_targetILNS1_3genE2ELNS1_11target_archE906ELNS1_3gpuE6ELNS1_3repE0EEENS1_30default_config_static_selectorELNS0_4arch9wavefront6targetE0EEEvSK_
; %bb.0:
	.section	.rodata,"a",@progbits
	.p2align	6, 0x0
	.amdhsa_kernel _ZN7rocprim17ROCPRIM_400000_NS6detail17trampoline_kernelINS0_14default_configENS1_36segmented_radix_sort_config_selectorIflEEZNS1_25segmented_radix_sort_implIS3_Lb0EPKfPfPKlPlN2at6native12_GLOBAL__N_18offset_tEEE10hipError_tPvRmT1_PNSt15iterator_traitsISK_E10value_typeET2_T3_PNSL_ISQ_E10value_typeET4_jRbjT5_SW_jjP12ihipStream_tbEUlT_E2_NS1_11comp_targetILNS1_3genE2ELNS1_11target_archE906ELNS1_3gpuE6ELNS1_3repE0EEENS1_30default_config_static_selectorELNS0_4arch9wavefront6targetE0EEEvSK_
		.amdhsa_group_segment_fixed_size 0
		.amdhsa_private_segment_fixed_size 0
		.amdhsa_kernarg_size 80
		.amdhsa_user_sgpr_count 2
		.amdhsa_user_sgpr_dispatch_ptr 0
		.amdhsa_user_sgpr_queue_ptr 0
		.amdhsa_user_sgpr_kernarg_segment_ptr 1
		.amdhsa_user_sgpr_dispatch_id 0
		.amdhsa_user_sgpr_kernarg_preload_length 0
		.amdhsa_user_sgpr_kernarg_preload_offset 0
		.amdhsa_user_sgpr_private_segment_size 0
		.amdhsa_wavefront_size32 1
		.amdhsa_uses_dynamic_stack 0
		.amdhsa_enable_private_segment 0
		.amdhsa_system_sgpr_workgroup_id_x 1
		.amdhsa_system_sgpr_workgroup_id_y 0
		.amdhsa_system_sgpr_workgroup_id_z 0
		.amdhsa_system_sgpr_workgroup_info 0
		.amdhsa_system_vgpr_workitem_id 0
		.amdhsa_next_free_vgpr 1
		.amdhsa_next_free_sgpr 1
		.amdhsa_named_barrier_count 0
		.amdhsa_reserve_vcc 0
		.amdhsa_float_round_mode_32 0
		.amdhsa_float_round_mode_16_64 0
		.amdhsa_float_denorm_mode_32 3
		.amdhsa_float_denorm_mode_16_64 3
		.amdhsa_fp16_overflow 0
		.amdhsa_memory_ordered 1
		.amdhsa_forward_progress 1
		.amdhsa_inst_pref_size 0
		.amdhsa_round_robin_scheduling 0
		.amdhsa_exception_fp_ieee_invalid_op 0
		.amdhsa_exception_fp_denorm_src 0
		.amdhsa_exception_fp_ieee_div_zero 0
		.amdhsa_exception_fp_ieee_overflow 0
		.amdhsa_exception_fp_ieee_underflow 0
		.amdhsa_exception_fp_ieee_inexact 0
		.amdhsa_exception_int_div_zero 0
	.end_amdhsa_kernel
	.section	.text._ZN7rocprim17ROCPRIM_400000_NS6detail17trampoline_kernelINS0_14default_configENS1_36segmented_radix_sort_config_selectorIflEEZNS1_25segmented_radix_sort_implIS3_Lb0EPKfPfPKlPlN2at6native12_GLOBAL__N_18offset_tEEE10hipError_tPvRmT1_PNSt15iterator_traitsISK_E10value_typeET2_T3_PNSL_ISQ_E10value_typeET4_jRbjT5_SW_jjP12ihipStream_tbEUlT_E2_NS1_11comp_targetILNS1_3genE2ELNS1_11target_archE906ELNS1_3gpuE6ELNS1_3repE0EEENS1_30default_config_static_selectorELNS0_4arch9wavefront6targetE0EEEvSK_,"axG",@progbits,_ZN7rocprim17ROCPRIM_400000_NS6detail17trampoline_kernelINS0_14default_configENS1_36segmented_radix_sort_config_selectorIflEEZNS1_25segmented_radix_sort_implIS3_Lb0EPKfPfPKlPlN2at6native12_GLOBAL__N_18offset_tEEE10hipError_tPvRmT1_PNSt15iterator_traitsISK_E10value_typeET2_T3_PNSL_ISQ_E10value_typeET4_jRbjT5_SW_jjP12ihipStream_tbEUlT_E2_NS1_11comp_targetILNS1_3genE2ELNS1_11target_archE906ELNS1_3gpuE6ELNS1_3repE0EEENS1_30default_config_static_selectorELNS0_4arch9wavefront6targetE0EEEvSK_,comdat
.Lfunc_end1454:
	.size	_ZN7rocprim17ROCPRIM_400000_NS6detail17trampoline_kernelINS0_14default_configENS1_36segmented_radix_sort_config_selectorIflEEZNS1_25segmented_radix_sort_implIS3_Lb0EPKfPfPKlPlN2at6native12_GLOBAL__N_18offset_tEEE10hipError_tPvRmT1_PNSt15iterator_traitsISK_E10value_typeET2_T3_PNSL_ISQ_E10value_typeET4_jRbjT5_SW_jjP12ihipStream_tbEUlT_E2_NS1_11comp_targetILNS1_3genE2ELNS1_11target_archE906ELNS1_3gpuE6ELNS1_3repE0EEENS1_30default_config_static_selectorELNS0_4arch9wavefront6targetE0EEEvSK_, .Lfunc_end1454-_ZN7rocprim17ROCPRIM_400000_NS6detail17trampoline_kernelINS0_14default_configENS1_36segmented_radix_sort_config_selectorIflEEZNS1_25segmented_radix_sort_implIS3_Lb0EPKfPfPKlPlN2at6native12_GLOBAL__N_18offset_tEEE10hipError_tPvRmT1_PNSt15iterator_traitsISK_E10value_typeET2_T3_PNSL_ISQ_E10value_typeET4_jRbjT5_SW_jjP12ihipStream_tbEUlT_E2_NS1_11comp_targetILNS1_3genE2ELNS1_11target_archE906ELNS1_3gpuE6ELNS1_3repE0EEENS1_30default_config_static_selectorELNS0_4arch9wavefront6targetE0EEEvSK_
                                        ; -- End function
	.set _ZN7rocprim17ROCPRIM_400000_NS6detail17trampoline_kernelINS0_14default_configENS1_36segmented_radix_sort_config_selectorIflEEZNS1_25segmented_radix_sort_implIS3_Lb0EPKfPfPKlPlN2at6native12_GLOBAL__N_18offset_tEEE10hipError_tPvRmT1_PNSt15iterator_traitsISK_E10value_typeET2_T3_PNSL_ISQ_E10value_typeET4_jRbjT5_SW_jjP12ihipStream_tbEUlT_E2_NS1_11comp_targetILNS1_3genE2ELNS1_11target_archE906ELNS1_3gpuE6ELNS1_3repE0EEENS1_30default_config_static_selectorELNS0_4arch9wavefront6targetE0EEEvSK_.num_vgpr, 0
	.set _ZN7rocprim17ROCPRIM_400000_NS6detail17trampoline_kernelINS0_14default_configENS1_36segmented_radix_sort_config_selectorIflEEZNS1_25segmented_radix_sort_implIS3_Lb0EPKfPfPKlPlN2at6native12_GLOBAL__N_18offset_tEEE10hipError_tPvRmT1_PNSt15iterator_traitsISK_E10value_typeET2_T3_PNSL_ISQ_E10value_typeET4_jRbjT5_SW_jjP12ihipStream_tbEUlT_E2_NS1_11comp_targetILNS1_3genE2ELNS1_11target_archE906ELNS1_3gpuE6ELNS1_3repE0EEENS1_30default_config_static_selectorELNS0_4arch9wavefront6targetE0EEEvSK_.num_agpr, 0
	.set _ZN7rocprim17ROCPRIM_400000_NS6detail17trampoline_kernelINS0_14default_configENS1_36segmented_radix_sort_config_selectorIflEEZNS1_25segmented_radix_sort_implIS3_Lb0EPKfPfPKlPlN2at6native12_GLOBAL__N_18offset_tEEE10hipError_tPvRmT1_PNSt15iterator_traitsISK_E10value_typeET2_T3_PNSL_ISQ_E10value_typeET4_jRbjT5_SW_jjP12ihipStream_tbEUlT_E2_NS1_11comp_targetILNS1_3genE2ELNS1_11target_archE906ELNS1_3gpuE6ELNS1_3repE0EEENS1_30default_config_static_selectorELNS0_4arch9wavefront6targetE0EEEvSK_.numbered_sgpr, 0
	.set _ZN7rocprim17ROCPRIM_400000_NS6detail17trampoline_kernelINS0_14default_configENS1_36segmented_radix_sort_config_selectorIflEEZNS1_25segmented_radix_sort_implIS3_Lb0EPKfPfPKlPlN2at6native12_GLOBAL__N_18offset_tEEE10hipError_tPvRmT1_PNSt15iterator_traitsISK_E10value_typeET2_T3_PNSL_ISQ_E10value_typeET4_jRbjT5_SW_jjP12ihipStream_tbEUlT_E2_NS1_11comp_targetILNS1_3genE2ELNS1_11target_archE906ELNS1_3gpuE6ELNS1_3repE0EEENS1_30default_config_static_selectorELNS0_4arch9wavefront6targetE0EEEvSK_.num_named_barrier, 0
	.set _ZN7rocprim17ROCPRIM_400000_NS6detail17trampoline_kernelINS0_14default_configENS1_36segmented_radix_sort_config_selectorIflEEZNS1_25segmented_radix_sort_implIS3_Lb0EPKfPfPKlPlN2at6native12_GLOBAL__N_18offset_tEEE10hipError_tPvRmT1_PNSt15iterator_traitsISK_E10value_typeET2_T3_PNSL_ISQ_E10value_typeET4_jRbjT5_SW_jjP12ihipStream_tbEUlT_E2_NS1_11comp_targetILNS1_3genE2ELNS1_11target_archE906ELNS1_3gpuE6ELNS1_3repE0EEENS1_30default_config_static_selectorELNS0_4arch9wavefront6targetE0EEEvSK_.private_seg_size, 0
	.set _ZN7rocprim17ROCPRIM_400000_NS6detail17trampoline_kernelINS0_14default_configENS1_36segmented_radix_sort_config_selectorIflEEZNS1_25segmented_radix_sort_implIS3_Lb0EPKfPfPKlPlN2at6native12_GLOBAL__N_18offset_tEEE10hipError_tPvRmT1_PNSt15iterator_traitsISK_E10value_typeET2_T3_PNSL_ISQ_E10value_typeET4_jRbjT5_SW_jjP12ihipStream_tbEUlT_E2_NS1_11comp_targetILNS1_3genE2ELNS1_11target_archE906ELNS1_3gpuE6ELNS1_3repE0EEENS1_30default_config_static_selectorELNS0_4arch9wavefront6targetE0EEEvSK_.uses_vcc, 0
	.set _ZN7rocprim17ROCPRIM_400000_NS6detail17trampoline_kernelINS0_14default_configENS1_36segmented_radix_sort_config_selectorIflEEZNS1_25segmented_radix_sort_implIS3_Lb0EPKfPfPKlPlN2at6native12_GLOBAL__N_18offset_tEEE10hipError_tPvRmT1_PNSt15iterator_traitsISK_E10value_typeET2_T3_PNSL_ISQ_E10value_typeET4_jRbjT5_SW_jjP12ihipStream_tbEUlT_E2_NS1_11comp_targetILNS1_3genE2ELNS1_11target_archE906ELNS1_3gpuE6ELNS1_3repE0EEENS1_30default_config_static_selectorELNS0_4arch9wavefront6targetE0EEEvSK_.uses_flat_scratch, 0
	.set _ZN7rocprim17ROCPRIM_400000_NS6detail17trampoline_kernelINS0_14default_configENS1_36segmented_radix_sort_config_selectorIflEEZNS1_25segmented_radix_sort_implIS3_Lb0EPKfPfPKlPlN2at6native12_GLOBAL__N_18offset_tEEE10hipError_tPvRmT1_PNSt15iterator_traitsISK_E10value_typeET2_T3_PNSL_ISQ_E10value_typeET4_jRbjT5_SW_jjP12ihipStream_tbEUlT_E2_NS1_11comp_targetILNS1_3genE2ELNS1_11target_archE906ELNS1_3gpuE6ELNS1_3repE0EEENS1_30default_config_static_selectorELNS0_4arch9wavefront6targetE0EEEvSK_.has_dyn_sized_stack, 0
	.set _ZN7rocprim17ROCPRIM_400000_NS6detail17trampoline_kernelINS0_14default_configENS1_36segmented_radix_sort_config_selectorIflEEZNS1_25segmented_radix_sort_implIS3_Lb0EPKfPfPKlPlN2at6native12_GLOBAL__N_18offset_tEEE10hipError_tPvRmT1_PNSt15iterator_traitsISK_E10value_typeET2_T3_PNSL_ISQ_E10value_typeET4_jRbjT5_SW_jjP12ihipStream_tbEUlT_E2_NS1_11comp_targetILNS1_3genE2ELNS1_11target_archE906ELNS1_3gpuE6ELNS1_3repE0EEENS1_30default_config_static_selectorELNS0_4arch9wavefront6targetE0EEEvSK_.has_recursion, 0
	.set _ZN7rocprim17ROCPRIM_400000_NS6detail17trampoline_kernelINS0_14default_configENS1_36segmented_radix_sort_config_selectorIflEEZNS1_25segmented_radix_sort_implIS3_Lb0EPKfPfPKlPlN2at6native12_GLOBAL__N_18offset_tEEE10hipError_tPvRmT1_PNSt15iterator_traitsISK_E10value_typeET2_T3_PNSL_ISQ_E10value_typeET4_jRbjT5_SW_jjP12ihipStream_tbEUlT_E2_NS1_11comp_targetILNS1_3genE2ELNS1_11target_archE906ELNS1_3gpuE6ELNS1_3repE0EEENS1_30default_config_static_selectorELNS0_4arch9wavefront6targetE0EEEvSK_.has_indirect_call, 0
	.section	.AMDGPU.csdata,"",@progbits
; Kernel info:
; codeLenInByte = 0
; TotalNumSgprs: 0
; NumVgprs: 0
; ScratchSize: 0
; MemoryBound: 0
; FloatMode: 240
; IeeeMode: 1
; LDSByteSize: 0 bytes/workgroup (compile time only)
; SGPRBlocks: 0
; VGPRBlocks: 0
; NumSGPRsForWavesPerEU: 1
; NumVGPRsForWavesPerEU: 1
; NamedBarCnt: 0
; Occupancy: 16
; WaveLimiterHint : 0
; COMPUTE_PGM_RSRC2:SCRATCH_EN: 0
; COMPUTE_PGM_RSRC2:USER_SGPR: 2
; COMPUTE_PGM_RSRC2:TRAP_HANDLER: 0
; COMPUTE_PGM_RSRC2:TGID_X_EN: 1
; COMPUTE_PGM_RSRC2:TGID_Y_EN: 0
; COMPUTE_PGM_RSRC2:TGID_Z_EN: 0
; COMPUTE_PGM_RSRC2:TIDIG_COMP_CNT: 0
	.section	.text._ZN7rocprim17ROCPRIM_400000_NS6detail17trampoline_kernelINS0_14default_configENS1_36segmented_radix_sort_config_selectorIflEEZNS1_25segmented_radix_sort_implIS3_Lb0EPKfPfPKlPlN2at6native12_GLOBAL__N_18offset_tEEE10hipError_tPvRmT1_PNSt15iterator_traitsISK_E10value_typeET2_T3_PNSL_ISQ_E10value_typeET4_jRbjT5_SW_jjP12ihipStream_tbEUlT_E2_NS1_11comp_targetILNS1_3genE10ELNS1_11target_archE1201ELNS1_3gpuE5ELNS1_3repE0EEENS1_30default_config_static_selectorELNS0_4arch9wavefront6targetE0EEEvSK_,"axG",@progbits,_ZN7rocprim17ROCPRIM_400000_NS6detail17trampoline_kernelINS0_14default_configENS1_36segmented_radix_sort_config_selectorIflEEZNS1_25segmented_radix_sort_implIS3_Lb0EPKfPfPKlPlN2at6native12_GLOBAL__N_18offset_tEEE10hipError_tPvRmT1_PNSt15iterator_traitsISK_E10value_typeET2_T3_PNSL_ISQ_E10value_typeET4_jRbjT5_SW_jjP12ihipStream_tbEUlT_E2_NS1_11comp_targetILNS1_3genE10ELNS1_11target_archE1201ELNS1_3gpuE5ELNS1_3repE0EEENS1_30default_config_static_selectorELNS0_4arch9wavefront6targetE0EEEvSK_,comdat
	.globl	_ZN7rocprim17ROCPRIM_400000_NS6detail17trampoline_kernelINS0_14default_configENS1_36segmented_radix_sort_config_selectorIflEEZNS1_25segmented_radix_sort_implIS3_Lb0EPKfPfPKlPlN2at6native12_GLOBAL__N_18offset_tEEE10hipError_tPvRmT1_PNSt15iterator_traitsISK_E10value_typeET2_T3_PNSL_ISQ_E10value_typeET4_jRbjT5_SW_jjP12ihipStream_tbEUlT_E2_NS1_11comp_targetILNS1_3genE10ELNS1_11target_archE1201ELNS1_3gpuE5ELNS1_3repE0EEENS1_30default_config_static_selectorELNS0_4arch9wavefront6targetE0EEEvSK_ ; -- Begin function _ZN7rocprim17ROCPRIM_400000_NS6detail17trampoline_kernelINS0_14default_configENS1_36segmented_radix_sort_config_selectorIflEEZNS1_25segmented_radix_sort_implIS3_Lb0EPKfPfPKlPlN2at6native12_GLOBAL__N_18offset_tEEE10hipError_tPvRmT1_PNSt15iterator_traitsISK_E10value_typeET2_T3_PNSL_ISQ_E10value_typeET4_jRbjT5_SW_jjP12ihipStream_tbEUlT_E2_NS1_11comp_targetILNS1_3genE10ELNS1_11target_archE1201ELNS1_3gpuE5ELNS1_3repE0EEENS1_30default_config_static_selectorELNS0_4arch9wavefront6targetE0EEEvSK_
	.p2align	8
	.type	_ZN7rocprim17ROCPRIM_400000_NS6detail17trampoline_kernelINS0_14default_configENS1_36segmented_radix_sort_config_selectorIflEEZNS1_25segmented_radix_sort_implIS3_Lb0EPKfPfPKlPlN2at6native12_GLOBAL__N_18offset_tEEE10hipError_tPvRmT1_PNSt15iterator_traitsISK_E10value_typeET2_T3_PNSL_ISQ_E10value_typeET4_jRbjT5_SW_jjP12ihipStream_tbEUlT_E2_NS1_11comp_targetILNS1_3genE10ELNS1_11target_archE1201ELNS1_3gpuE5ELNS1_3repE0EEENS1_30default_config_static_selectorELNS0_4arch9wavefront6targetE0EEEvSK_,@function
_ZN7rocprim17ROCPRIM_400000_NS6detail17trampoline_kernelINS0_14default_configENS1_36segmented_radix_sort_config_selectorIflEEZNS1_25segmented_radix_sort_implIS3_Lb0EPKfPfPKlPlN2at6native12_GLOBAL__N_18offset_tEEE10hipError_tPvRmT1_PNSt15iterator_traitsISK_E10value_typeET2_T3_PNSL_ISQ_E10value_typeET4_jRbjT5_SW_jjP12ihipStream_tbEUlT_E2_NS1_11comp_targetILNS1_3genE10ELNS1_11target_archE1201ELNS1_3gpuE5ELNS1_3repE0EEENS1_30default_config_static_selectorELNS0_4arch9wavefront6targetE0EEEvSK_: ; @_ZN7rocprim17ROCPRIM_400000_NS6detail17trampoline_kernelINS0_14default_configENS1_36segmented_radix_sort_config_selectorIflEEZNS1_25segmented_radix_sort_implIS3_Lb0EPKfPfPKlPlN2at6native12_GLOBAL__N_18offset_tEEE10hipError_tPvRmT1_PNSt15iterator_traitsISK_E10value_typeET2_T3_PNSL_ISQ_E10value_typeET4_jRbjT5_SW_jjP12ihipStream_tbEUlT_E2_NS1_11comp_targetILNS1_3genE10ELNS1_11target_archE1201ELNS1_3gpuE5ELNS1_3repE0EEENS1_30default_config_static_selectorELNS0_4arch9wavefront6targetE0EEEvSK_
; %bb.0:
	.section	.rodata,"a",@progbits
	.p2align	6, 0x0
	.amdhsa_kernel _ZN7rocprim17ROCPRIM_400000_NS6detail17trampoline_kernelINS0_14default_configENS1_36segmented_radix_sort_config_selectorIflEEZNS1_25segmented_radix_sort_implIS3_Lb0EPKfPfPKlPlN2at6native12_GLOBAL__N_18offset_tEEE10hipError_tPvRmT1_PNSt15iterator_traitsISK_E10value_typeET2_T3_PNSL_ISQ_E10value_typeET4_jRbjT5_SW_jjP12ihipStream_tbEUlT_E2_NS1_11comp_targetILNS1_3genE10ELNS1_11target_archE1201ELNS1_3gpuE5ELNS1_3repE0EEENS1_30default_config_static_selectorELNS0_4arch9wavefront6targetE0EEEvSK_
		.amdhsa_group_segment_fixed_size 0
		.amdhsa_private_segment_fixed_size 0
		.amdhsa_kernarg_size 80
		.amdhsa_user_sgpr_count 2
		.amdhsa_user_sgpr_dispatch_ptr 0
		.amdhsa_user_sgpr_queue_ptr 0
		.amdhsa_user_sgpr_kernarg_segment_ptr 1
		.amdhsa_user_sgpr_dispatch_id 0
		.amdhsa_user_sgpr_kernarg_preload_length 0
		.amdhsa_user_sgpr_kernarg_preload_offset 0
		.amdhsa_user_sgpr_private_segment_size 0
		.amdhsa_wavefront_size32 1
		.amdhsa_uses_dynamic_stack 0
		.amdhsa_enable_private_segment 0
		.amdhsa_system_sgpr_workgroup_id_x 1
		.amdhsa_system_sgpr_workgroup_id_y 0
		.amdhsa_system_sgpr_workgroup_id_z 0
		.amdhsa_system_sgpr_workgroup_info 0
		.amdhsa_system_vgpr_workitem_id 0
		.amdhsa_next_free_vgpr 1
		.amdhsa_next_free_sgpr 1
		.amdhsa_named_barrier_count 0
		.amdhsa_reserve_vcc 0
		.amdhsa_float_round_mode_32 0
		.amdhsa_float_round_mode_16_64 0
		.amdhsa_float_denorm_mode_32 3
		.amdhsa_float_denorm_mode_16_64 3
		.amdhsa_fp16_overflow 0
		.amdhsa_memory_ordered 1
		.amdhsa_forward_progress 1
		.amdhsa_inst_pref_size 0
		.amdhsa_round_robin_scheduling 0
		.amdhsa_exception_fp_ieee_invalid_op 0
		.amdhsa_exception_fp_denorm_src 0
		.amdhsa_exception_fp_ieee_div_zero 0
		.amdhsa_exception_fp_ieee_overflow 0
		.amdhsa_exception_fp_ieee_underflow 0
		.amdhsa_exception_fp_ieee_inexact 0
		.amdhsa_exception_int_div_zero 0
	.end_amdhsa_kernel
	.section	.text._ZN7rocprim17ROCPRIM_400000_NS6detail17trampoline_kernelINS0_14default_configENS1_36segmented_radix_sort_config_selectorIflEEZNS1_25segmented_radix_sort_implIS3_Lb0EPKfPfPKlPlN2at6native12_GLOBAL__N_18offset_tEEE10hipError_tPvRmT1_PNSt15iterator_traitsISK_E10value_typeET2_T3_PNSL_ISQ_E10value_typeET4_jRbjT5_SW_jjP12ihipStream_tbEUlT_E2_NS1_11comp_targetILNS1_3genE10ELNS1_11target_archE1201ELNS1_3gpuE5ELNS1_3repE0EEENS1_30default_config_static_selectorELNS0_4arch9wavefront6targetE0EEEvSK_,"axG",@progbits,_ZN7rocprim17ROCPRIM_400000_NS6detail17trampoline_kernelINS0_14default_configENS1_36segmented_radix_sort_config_selectorIflEEZNS1_25segmented_radix_sort_implIS3_Lb0EPKfPfPKlPlN2at6native12_GLOBAL__N_18offset_tEEE10hipError_tPvRmT1_PNSt15iterator_traitsISK_E10value_typeET2_T3_PNSL_ISQ_E10value_typeET4_jRbjT5_SW_jjP12ihipStream_tbEUlT_E2_NS1_11comp_targetILNS1_3genE10ELNS1_11target_archE1201ELNS1_3gpuE5ELNS1_3repE0EEENS1_30default_config_static_selectorELNS0_4arch9wavefront6targetE0EEEvSK_,comdat
.Lfunc_end1455:
	.size	_ZN7rocprim17ROCPRIM_400000_NS6detail17trampoline_kernelINS0_14default_configENS1_36segmented_radix_sort_config_selectorIflEEZNS1_25segmented_radix_sort_implIS3_Lb0EPKfPfPKlPlN2at6native12_GLOBAL__N_18offset_tEEE10hipError_tPvRmT1_PNSt15iterator_traitsISK_E10value_typeET2_T3_PNSL_ISQ_E10value_typeET4_jRbjT5_SW_jjP12ihipStream_tbEUlT_E2_NS1_11comp_targetILNS1_3genE10ELNS1_11target_archE1201ELNS1_3gpuE5ELNS1_3repE0EEENS1_30default_config_static_selectorELNS0_4arch9wavefront6targetE0EEEvSK_, .Lfunc_end1455-_ZN7rocprim17ROCPRIM_400000_NS6detail17trampoline_kernelINS0_14default_configENS1_36segmented_radix_sort_config_selectorIflEEZNS1_25segmented_radix_sort_implIS3_Lb0EPKfPfPKlPlN2at6native12_GLOBAL__N_18offset_tEEE10hipError_tPvRmT1_PNSt15iterator_traitsISK_E10value_typeET2_T3_PNSL_ISQ_E10value_typeET4_jRbjT5_SW_jjP12ihipStream_tbEUlT_E2_NS1_11comp_targetILNS1_3genE10ELNS1_11target_archE1201ELNS1_3gpuE5ELNS1_3repE0EEENS1_30default_config_static_selectorELNS0_4arch9wavefront6targetE0EEEvSK_
                                        ; -- End function
	.set _ZN7rocprim17ROCPRIM_400000_NS6detail17trampoline_kernelINS0_14default_configENS1_36segmented_radix_sort_config_selectorIflEEZNS1_25segmented_radix_sort_implIS3_Lb0EPKfPfPKlPlN2at6native12_GLOBAL__N_18offset_tEEE10hipError_tPvRmT1_PNSt15iterator_traitsISK_E10value_typeET2_T3_PNSL_ISQ_E10value_typeET4_jRbjT5_SW_jjP12ihipStream_tbEUlT_E2_NS1_11comp_targetILNS1_3genE10ELNS1_11target_archE1201ELNS1_3gpuE5ELNS1_3repE0EEENS1_30default_config_static_selectorELNS0_4arch9wavefront6targetE0EEEvSK_.num_vgpr, 0
	.set _ZN7rocprim17ROCPRIM_400000_NS6detail17trampoline_kernelINS0_14default_configENS1_36segmented_radix_sort_config_selectorIflEEZNS1_25segmented_radix_sort_implIS3_Lb0EPKfPfPKlPlN2at6native12_GLOBAL__N_18offset_tEEE10hipError_tPvRmT1_PNSt15iterator_traitsISK_E10value_typeET2_T3_PNSL_ISQ_E10value_typeET4_jRbjT5_SW_jjP12ihipStream_tbEUlT_E2_NS1_11comp_targetILNS1_3genE10ELNS1_11target_archE1201ELNS1_3gpuE5ELNS1_3repE0EEENS1_30default_config_static_selectorELNS0_4arch9wavefront6targetE0EEEvSK_.num_agpr, 0
	.set _ZN7rocprim17ROCPRIM_400000_NS6detail17trampoline_kernelINS0_14default_configENS1_36segmented_radix_sort_config_selectorIflEEZNS1_25segmented_radix_sort_implIS3_Lb0EPKfPfPKlPlN2at6native12_GLOBAL__N_18offset_tEEE10hipError_tPvRmT1_PNSt15iterator_traitsISK_E10value_typeET2_T3_PNSL_ISQ_E10value_typeET4_jRbjT5_SW_jjP12ihipStream_tbEUlT_E2_NS1_11comp_targetILNS1_3genE10ELNS1_11target_archE1201ELNS1_3gpuE5ELNS1_3repE0EEENS1_30default_config_static_selectorELNS0_4arch9wavefront6targetE0EEEvSK_.numbered_sgpr, 0
	.set _ZN7rocprim17ROCPRIM_400000_NS6detail17trampoline_kernelINS0_14default_configENS1_36segmented_radix_sort_config_selectorIflEEZNS1_25segmented_radix_sort_implIS3_Lb0EPKfPfPKlPlN2at6native12_GLOBAL__N_18offset_tEEE10hipError_tPvRmT1_PNSt15iterator_traitsISK_E10value_typeET2_T3_PNSL_ISQ_E10value_typeET4_jRbjT5_SW_jjP12ihipStream_tbEUlT_E2_NS1_11comp_targetILNS1_3genE10ELNS1_11target_archE1201ELNS1_3gpuE5ELNS1_3repE0EEENS1_30default_config_static_selectorELNS0_4arch9wavefront6targetE0EEEvSK_.num_named_barrier, 0
	.set _ZN7rocprim17ROCPRIM_400000_NS6detail17trampoline_kernelINS0_14default_configENS1_36segmented_radix_sort_config_selectorIflEEZNS1_25segmented_radix_sort_implIS3_Lb0EPKfPfPKlPlN2at6native12_GLOBAL__N_18offset_tEEE10hipError_tPvRmT1_PNSt15iterator_traitsISK_E10value_typeET2_T3_PNSL_ISQ_E10value_typeET4_jRbjT5_SW_jjP12ihipStream_tbEUlT_E2_NS1_11comp_targetILNS1_3genE10ELNS1_11target_archE1201ELNS1_3gpuE5ELNS1_3repE0EEENS1_30default_config_static_selectorELNS0_4arch9wavefront6targetE0EEEvSK_.private_seg_size, 0
	.set _ZN7rocprim17ROCPRIM_400000_NS6detail17trampoline_kernelINS0_14default_configENS1_36segmented_radix_sort_config_selectorIflEEZNS1_25segmented_radix_sort_implIS3_Lb0EPKfPfPKlPlN2at6native12_GLOBAL__N_18offset_tEEE10hipError_tPvRmT1_PNSt15iterator_traitsISK_E10value_typeET2_T3_PNSL_ISQ_E10value_typeET4_jRbjT5_SW_jjP12ihipStream_tbEUlT_E2_NS1_11comp_targetILNS1_3genE10ELNS1_11target_archE1201ELNS1_3gpuE5ELNS1_3repE0EEENS1_30default_config_static_selectorELNS0_4arch9wavefront6targetE0EEEvSK_.uses_vcc, 0
	.set _ZN7rocprim17ROCPRIM_400000_NS6detail17trampoline_kernelINS0_14default_configENS1_36segmented_radix_sort_config_selectorIflEEZNS1_25segmented_radix_sort_implIS3_Lb0EPKfPfPKlPlN2at6native12_GLOBAL__N_18offset_tEEE10hipError_tPvRmT1_PNSt15iterator_traitsISK_E10value_typeET2_T3_PNSL_ISQ_E10value_typeET4_jRbjT5_SW_jjP12ihipStream_tbEUlT_E2_NS1_11comp_targetILNS1_3genE10ELNS1_11target_archE1201ELNS1_3gpuE5ELNS1_3repE0EEENS1_30default_config_static_selectorELNS0_4arch9wavefront6targetE0EEEvSK_.uses_flat_scratch, 0
	.set _ZN7rocprim17ROCPRIM_400000_NS6detail17trampoline_kernelINS0_14default_configENS1_36segmented_radix_sort_config_selectorIflEEZNS1_25segmented_radix_sort_implIS3_Lb0EPKfPfPKlPlN2at6native12_GLOBAL__N_18offset_tEEE10hipError_tPvRmT1_PNSt15iterator_traitsISK_E10value_typeET2_T3_PNSL_ISQ_E10value_typeET4_jRbjT5_SW_jjP12ihipStream_tbEUlT_E2_NS1_11comp_targetILNS1_3genE10ELNS1_11target_archE1201ELNS1_3gpuE5ELNS1_3repE0EEENS1_30default_config_static_selectorELNS0_4arch9wavefront6targetE0EEEvSK_.has_dyn_sized_stack, 0
	.set _ZN7rocprim17ROCPRIM_400000_NS6detail17trampoline_kernelINS0_14default_configENS1_36segmented_radix_sort_config_selectorIflEEZNS1_25segmented_radix_sort_implIS3_Lb0EPKfPfPKlPlN2at6native12_GLOBAL__N_18offset_tEEE10hipError_tPvRmT1_PNSt15iterator_traitsISK_E10value_typeET2_T3_PNSL_ISQ_E10value_typeET4_jRbjT5_SW_jjP12ihipStream_tbEUlT_E2_NS1_11comp_targetILNS1_3genE10ELNS1_11target_archE1201ELNS1_3gpuE5ELNS1_3repE0EEENS1_30default_config_static_selectorELNS0_4arch9wavefront6targetE0EEEvSK_.has_recursion, 0
	.set _ZN7rocprim17ROCPRIM_400000_NS6detail17trampoline_kernelINS0_14default_configENS1_36segmented_radix_sort_config_selectorIflEEZNS1_25segmented_radix_sort_implIS3_Lb0EPKfPfPKlPlN2at6native12_GLOBAL__N_18offset_tEEE10hipError_tPvRmT1_PNSt15iterator_traitsISK_E10value_typeET2_T3_PNSL_ISQ_E10value_typeET4_jRbjT5_SW_jjP12ihipStream_tbEUlT_E2_NS1_11comp_targetILNS1_3genE10ELNS1_11target_archE1201ELNS1_3gpuE5ELNS1_3repE0EEENS1_30default_config_static_selectorELNS0_4arch9wavefront6targetE0EEEvSK_.has_indirect_call, 0
	.section	.AMDGPU.csdata,"",@progbits
; Kernel info:
; codeLenInByte = 0
; TotalNumSgprs: 0
; NumVgprs: 0
; ScratchSize: 0
; MemoryBound: 0
; FloatMode: 240
; IeeeMode: 1
; LDSByteSize: 0 bytes/workgroup (compile time only)
; SGPRBlocks: 0
; VGPRBlocks: 0
; NumSGPRsForWavesPerEU: 1
; NumVGPRsForWavesPerEU: 1
; NamedBarCnt: 0
; Occupancy: 16
; WaveLimiterHint : 0
; COMPUTE_PGM_RSRC2:SCRATCH_EN: 0
; COMPUTE_PGM_RSRC2:USER_SGPR: 2
; COMPUTE_PGM_RSRC2:TRAP_HANDLER: 0
; COMPUTE_PGM_RSRC2:TGID_X_EN: 1
; COMPUTE_PGM_RSRC2:TGID_Y_EN: 0
; COMPUTE_PGM_RSRC2:TGID_Z_EN: 0
; COMPUTE_PGM_RSRC2:TIDIG_COMP_CNT: 0
	.section	.text._ZN7rocprim17ROCPRIM_400000_NS6detail17trampoline_kernelINS0_14default_configENS1_36segmented_radix_sort_config_selectorIflEEZNS1_25segmented_radix_sort_implIS3_Lb0EPKfPfPKlPlN2at6native12_GLOBAL__N_18offset_tEEE10hipError_tPvRmT1_PNSt15iterator_traitsISK_E10value_typeET2_T3_PNSL_ISQ_E10value_typeET4_jRbjT5_SW_jjP12ihipStream_tbEUlT_E2_NS1_11comp_targetILNS1_3genE10ELNS1_11target_archE1200ELNS1_3gpuE4ELNS1_3repE0EEENS1_30default_config_static_selectorELNS0_4arch9wavefront6targetE0EEEvSK_,"axG",@progbits,_ZN7rocprim17ROCPRIM_400000_NS6detail17trampoline_kernelINS0_14default_configENS1_36segmented_radix_sort_config_selectorIflEEZNS1_25segmented_radix_sort_implIS3_Lb0EPKfPfPKlPlN2at6native12_GLOBAL__N_18offset_tEEE10hipError_tPvRmT1_PNSt15iterator_traitsISK_E10value_typeET2_T3_PNSL_ISQ_E10value_typeET4_jRbjT5_SW_jjP12ihipStream_tbEUlT_E2_NS1_11comp_targetILNS1_3genE10ELNS1_11target_archE1200ELNS1_3gpuE4ELNS1_3repE0EEENS1_30default_config_static_selectorELNS0_4arch9wavefront6targetE0EEEvSK_,comdat
	.globl	_ZN7rocprim17ROCPRIM_400000_NS6detail17trampoline_kernelINS0_14default_configENS1_36segmented_radix_sort_config_selectorIflEEZNS1_25segmented_radix_sort_implIS3_Lb0EPKfPfPKlPlN2at6native12_GLOBAL__N_18offset_tEEE10hipError_tPvRmT1_PNSt15iterator_traitsISK_E10value_typeET2_T3_PNSL_ISQ_E10value_typeET4_jRbjT5_SW_jjP12ihipStream_tbEUlT_E2_NS1_11comp_targetILNS1_3genE10ELNS1_11target_archE1200ELNS1_3gpuE4ELNS1_3repE0EEENS1_30default_config_static_selectorELNS0_4arch9wavefront6targetE0EEEvSK_ ; -- Begin function _ZN7rocprim17ROCPRIM_400000_NS6detail17trampoline_kernelINS0_14default_configENS1_36segmented_radix_sort_config_selectorIflEEZNS1_25segmented_radix_sort_implIS3_Lb0EPKfPfPKlPlN2at6native12_GLOBAL__N_18offset_tEEE10hipError_tPvRmT1_PNSt15iterator_traitsISK_E10value_typeET2_T3_PNSL_ISQ_E10value_typeET4_jRbjT5_SW_jjP12ihipStream_tbEUlT_E2_NS1_11comp_targetILNS1_3genE10ELNS1_11target_archE1200ELNS1_3gpuE4ELNS1_3repE0EEENS1_30default_config_static_selectorELNS0_4arch9wavefront6targetE0EEEvSK_
	.p2align	8
	.type	_ZN7rocprim17ROCPRIM_400000_NS6detail17trampoline_kernelINS0_14default_configENS1_36segmented_radix_sort_config_selectorIflEEZNS1_25segmented_radix_sort_implIS3_Lb0EPKfPfPKlPlN2at6native12_GLOBAL__N_18offset_tEEE10hipError_tPvRmT1_PNSt15iterator_traitsISK_E10value_typeET2_T3_PNSL_ISQ_E10value_typeET4_jRbjT5_SW_jjP12ihipStream_tbEUlT_E2_NS1_11comp_targetILNS1_3genE10ELNS1_11target_archE1200ELNS1_3gpuE4ELNS1_3repE0EEENS1_30default_config_static_selectorELNS0_4arch9wavefront6targetE0EEEvSK_,@function
_ZN7rocprim17ROCPRIM_400000_NS6detail17trampoline_kernelINS0_14default_configENS1_36segmented_radix_sort_config_selectorIflEEZNS1_25segmented_radix_sort_implIS3_Lb0EPKfPfPKlPlN2at6native12_GLOBAL__N_18offset_tEEE10hipError_tPvRmT1_PNSt15iterator_traitsISK_E10value_typeET2_T3_PNSL_ISQ_E10value_typeET4_jRbjT5_SW_jjP12ihipStream_tbEUlT_E2_NS1_11comp_targetILNS1_3genE10ELNS1_11target_archE1200ELNS1_3gpuE4ELNS1_3repE0EEENS1_30default_config_static_selectorELNS0_4arch9wavefront6targetE0EEEvSK_: ; @_ZN7rocprim17ROCPRIM_400000_NS6detail17trampoline_kernelINS0_14default_configENS1_36segmented_radix_sort_config_selectorIflEEZNS1_25segmented_radix_sort_implIS3_Lb0EPKfPfPKlPlN2at6native12_GLOBAL__N_18offset_tEEE10hipError_tPvRmT1_PNSt15iterator_traitsISK_E10value_typeET2_T3_PNSL_ISQ_E10value_typeET4_jRbjT5_SW_jjP12ihipStream_tbEUlT_E2_NS1_11comp_targetILNS1_3genE10ELNS1_11target_archE1200ELNS1_3gpuE4ELNS1_3repE0EEENS1_30default_config_static_selectorELNS0_4arch9wavefront6targetE0EEEvSK_
; %bb.0:
	.section	.rodata,"a",@progbits
	.p2align	6, 0x0
	.amdhsa_kernel _ZN7rocprim17ROCPRIM_400000_NS6detail17trampoline_kernelINS0_14default_configENS1_36segmented_radix_sort_config_selectorIflEEZNS1_25segmented_radix_sort_implIS3_Lb0EPKfPfPKlPlN2at6native12_GLOBAL__N_18offset_tEEE10hipError_tPvRmT1_PNSt15iterator_traitsISK_E10value_typeET2_T3_PNSL_ISQ_E10value_typeET4_jRbjT5_SW_jjP12ihipStream_tbEUlT_E2_NS1_11comp_targetILNS1_3genE10ELNS1_11target_archE1200ELNS1_3gpuE4ELNS1_3repE0EEENS1_30default_config_static_selectorELNS0_4arch9wavefront6targetE0EEEvSK_
		.amdhsa_group_segment_fixed_size 0
		.amdhsa_private_segment_fixed_size 0
		.amdhsa_kernarg_size 80
		.amdhsa_user_sgpr_count 2
		.amdhsa_user_sgpr_dispatch_ptr 0
		.amdhsa_user_sgpr_queue_ptr 0
		.amdhsa_user_sgpr_kernarg_segment_ptr 1
		.amdhsa_user_sgpr_dispatch_id 0
		.amdhsa_user_sgpr_kernarg_preload_length 0
		.amdhsa_user_sgpr_kernarg_preload_offset 0
		.amdhsa_user_sgpr_private_segment_size 0
		.amdhsa_wavefront_size32 1
		.amdhsa_uses_dynamic_stack 0
		.amdhsa_enable_private_segment 0
		.amdhsa_system_sgpr_workgroup_id_x 1
		.amdhsa_system_sgpr_workgroup_id_y 0
		.amdhsa_system_sgpr_workgroup_id_z 0
		.amdhsa_system_sgpr_workgroup_info 0
		.amdhsa_system_vgpr_workitem_id 0
		.amdhsa_next_free_vgpr 1
		.amdhsa_next_free_sgpr 1
		.amdhsa_named_barrier_count 0
		.amdhsa_reserve_vcc 0
		.amdhsa_float_round_mode_32 0
		.amdhsa_float_round_mode_16_64 0
		.amdhsa_float_denorm_mode_32 3
		.amdhsa_float_denorm_mode_16_64 3
		.amdhsa_fp16_overflow 0
		.amdhsa_memory_ordered 1
		.amdhsa_forward_progress 1
		.amdhsa_inst_pref_size 0
		.amdhsa_round_robin_scheduling 0
		.amdhsa_exception_fp_ieee_invalid_op 0
		.amdhsa_exception_fp_denorm_src 0
		.amdhsa_exception_fp_ieee_div_zero 0
		.amdhsa_exception_fp_ieee_overflow 0
		.amdhsa_exception_fp_ieee_underflow 0
		.amdhsa_exception_fp_ieee_inexact 0
		.amdhsa_exception_int_div_zero 0
	.end_amdhsa_kernel
	.section	.text._ZN7rocprim17ROCPRIM_400000_NS6detail17trampoline_kernelINS0_14default_configENS1_36segmented_radix_sort_config_selectorIflEEZNS1_25segmented_radix_sort_implIS3_Lb0EPKfPfPKlPlN2at6native12_GLOBAL__N_18offset_tEEE10hipError_tPvRmT1_PNSt15iterator_traitsISK_E10value_typeET2_T3_PNSL_ISQ_E10value_typeET4_jRbjT5_SW_jjP12ihipStream_tbEUlT_E2_NS1_11comp_targetILNS1_3genE10ELNS1_11target_archE1200ELNS1_3gpuE4ELNS1_3repE0EEENS1_30default_config_static_selectorELNS0_4arch9wavefront6targetE0EEEvSK_,"axG",@progbits,_ZN7rocprim17ROCPRIM_400000_NS6detail17trampoline_kernelINS0_14default_configENS1_36segmented_radix_sort_config_selectorIflEEZNS1_25segmented_radix_sort_implIS3_Lb0EPKfPfPKlPlN2at6native12_GLOBAL__N_18offset_tEEE10hipError_tPvRmT1_PNSt15iterator_traitsISK_E10value_typeET2_T3_PNSL_ISQ_E10value_typeET4_jRbjT5_SW_jjP12ihipStream_tbEUlT_E2_NS1_11comp_targetILNS1_3genE10ELNS1_11target_archE1200ELNS1_3gpuE4ELNS1_3repE0EEENS1_30default_config_static_selectorELNS0_4arch9wavefront6targetE0EEEvSK_,comdat
.Lfunc_end1456:
	.size	_ZN7rocprim17ROCPRIM_400000_NS6detail17trampoline_kernelINS0_14default_configENS1_36segmented_radix_sort_config_selectorIflEEZNS1_25segmented_radix_sort_implIS3_Lb0EPKfPfPKlPlN2at6native12_GLOBAL__N_18offset_tEEE10hipError_tPvRmT1_PNSt15iterator_traitsISK_E10value_typeET2_T3_PNSL_ISQ_E10value_typeET4_jRbjT5_SW_jjP12ihipStream_tbEUlT_E2_NS1_11comp_targetILNS1_3genE10ELNS1_11target_archE1200ELNS1_3gpuE4ELNS1_3repE0EEENS1_30default_config_static_selectorELNS0_4arch9wavefront6targetE0EEEvSK_, .Lfunc_end1456-_ZN7rocprim17ROCPRIM_400000_NS6detail17trampoline_kernelINS0_14default_configENS1_36segmented_radix_sort_config_selectorIflEEZNS1_25segmented_radix_sort_implIS3_Lb0EPKfPfPKlPlN2at6native12_GLOBAL__N_18offset_tEEE10hipError_tPvRmT1_PNSt15iterator_traitsISK_E10value_typeET2_T3_PNSL_ISQ_E10value_typeET4_jRbjT5_SW_jjP12ihipStream_tbEUlT_E2_NS1_11comp_targetILNS1_3genE10ELNS1_11target_archE1200ELNS1_3gpuE4ELNS1_3repE0EEENS1_30default_config_static_selectorELNS0_4arch9wavefront6targetE0EEEvSK_
                                        ; -- End function
	.set _ZN7rocprim17ROCPRIM_400000_NS6detail17trampoline_kernelINS0_14default_configENS1_36segmented_radix_sort_config_selectorIflEEZNS1_25segmented_radix_sort_implIS3_Lb0EPKfPfPKlPlN2at6native12_GLOBAL__N_18offset_tEEE10hipError_tPvRmT1_PNSt15iterator_traitsISK_E10value_typeET2_T3_PNSL_ISQ_E10value_typeET4_jRbjT5_SW_jjP12ihipStream_tbEUlT_E2_NS1_11comp_targetILNS1_3genE10ELNS1_11target_archE1200ELNS1_3gpuE4ELNS1_3repE0EEENS1_30default_config_static_selectorELNS0_4arch9wavefront6targetE0EEEvSK_.num_vgpr, 0
	.set _ZN7rocprim17ROCPRIM_400000_NS6detail17trampoline_kernelINS0_14default_configENS1_36segmented_radix_sort_config_selectorIflEEZNS1_25segmented_radix_sort_implIS3_Lb0EPKfPfPKlPlN2at6native12_GLOBAL__N_18offset_tEEE10hipError_tPvRmT1_PNSt15iterator_traitsISK_E10value_typeET2_T3_PNSL_ISQ_E10value_typeET4_jRbjT5_SW_jjP12ihipStream_tbEUlT_E2_NS1_11comp_targetILNS1_3genE10ELNS1_11target_archE1200ELNS1_3gpuE4ELNS1_3repE0EEENS1_30default_config_static_selectorELNS0_4arch9wavefront6targetE0EEEvSK_.num_agpr, 0
	.set _ZN7rocprim17ROCPRIM_400000_NS6detail17trampoline_kernelINS0_14default_configENS1_36segmented_radix_sort_config_selectorIflEEZNS1_25segmented_radix_sort_implIS3_Lb0EPKfPfPKlPlN2at6native12_GLOBAL__N_18offset_tEEE10hipError_tPvRmT1_PNSt15iterator_traitsISK_E10value_typeET2_T3_PNSL_ISQ_E10value_typeET4_jRbjT5_SW_jjP12ihipStream_tbEUlT_E2_NS1_11comp_targetILNS1_3genE10ELNS1_11target_archE1200ELNS1_3gpuE4ELNS1_3repE0EEENS1_30default_config_static_selectorELNS0_4arch9wavefront6targetE0EEEvSK_.numbered_sgpr, 0
	.set _ZN7rocprim17ROCPRIM_400000_NS6detail17trampoline_kernelINS0_14default_configENS1_36segmented_radix_sort_config_selectorIflEEZNS1_25segmented_radix_sort_implIS3_Lb0EPKfPfPKlPlN2at6native12_GLOBAL__N_18offset_tEEE10hipError_tPvRmT1_PNSt15iterator_traitsISK_E10value_typeET2_T3_PNSL_ISQ_E10value_typeET4_jRbjT5_SW_jjP12ihipStream_tbEUlT_E2_NS1_11comp_targetILNS1_3genE10ELNS1_11target_archE1200ELNS1_3gpuE4ELNS1_3repE0EEENS1_30default_config_static_selectorELNS0_4arch9wavefront6targetE0EEEvSK_.num_named_barrier, 0
	.set _ZN7rocprim17ROCPRIM_400000_NS6detail17trampoline_kernelINS0_14default_configENS1_36segmented_radix_sort_config_selectorIflEEZNS1_25segmented_radix_sort_implIS3_Lb0EPKfPfPKlPlN2at6native12_GLOBAL__N_18offset_tEEE10hipError_tPvRmT1_PNSt15iterator_traitsISK_E10value_typeET2_T3_PNSL_ISQ_E10value_typeET4_jRbjT5_SW_jjP12ihipStream_tbEUlT_E2_NS1_11comp_targetILNS1_3genE10ELNS1_11target_archE1200ELNS1_3gpuE4ELNS1_3repE0EEENS1_30default_config_static_selectorELNS0_4arch9wavefront6targetE0EEEvSK_.private_seg_size, 0
	.set _ZN7rocprim17ROCPRIM_400000_NS6detail17trampoline_kernelINS0_14default_configENS1_36segmented_radix_sort_config_selectorIflEEZNS1_25segmented_radix_sort_implIS3_Lb0EPKfPfPKlPlN2at6native12_GLOBAL__N_18offset_tEEE10hipError_tPvRmT1_PNSt15iterator_traitsISK_E10value_typeET2_T3_PNSL_ISQ_E10value_typeET4_jRbjT5_SW_jjP12ihipStream_tbEUlT_E2_NS1_11comp_targetILNS1_3genE10ELNS1_11target_archE1200ELNS1_3gpuE4ELNS1_3repE0EEENS1_30default_config_static_selectorELNS0_4arch9wavefront6targetE0EEEvSK_.uses_vcc, 0
	.set _ZN7rocprim17ROCPRIM_400000_NS6detail17trampoline_kernelINS0_14default_configENS1_36segmented_radix_sort_config_selectorIflEEZNS1_25segmented_radix_sort_implIS3_Lb0EPKfPfPKlPlN2at6native12_GLOBAL__N_18offset_tEEE10hipError_tPvRmT1_PNSt15iterator_traitsISK_E10value_typeET2_T3_PNSL_ISQ_E10value_typeET4_jRbjT5_SW_jjP12ihipStream_tbEUlT_E2_NS1_11comp_targetILNS1_3genE10ELNS1_11target_archE1200ELNS1_3gpuE4ELNS1_3repE0EEENS1_30default_config_static_selectorELNS0_4arch9wavefront6targetE0EEEvSK_.uses_flat_scratch, 0
	.set _ZN7rocprim17ROCPRIM_400000_NS6detail17trampoline_kernelINS0_14default_configENS1_36segmented_radix_sort_config_selectorIflEEZNS1_25segmented_radix_sort_implIS3_Lb0EPKfPfPKlPlN2at6native12_GLOBAL__N_18offset_tEEE10hipError_tPvRmT1_PNSt15iterator_traitsISK_E10value_typeET2_T3_PNSL_ISQ_E10value_typeET4_jRbjT5_SW_jjP12ihipStream_tbEUlT_E2_NS1_11comp_targetILNS1_3genE10ELNS1_11target_archE1200ELNS1_3gpuE4ELNS1_3repE0EEENS1_30default_config_static_selectorELNS0_4arch9wavefront6targetE0EEEvSK_.has_dyn_sized_stack, 0
	.set _ZN7rocprim17ROCPRIM_400000_NS6detail17trampoline_kernelINS0_14default_configENS1_36segmented_radix_sort_config_selectorIflEEZNS1_25segmented_radix_sort_implIS3_Lb0EPKfPfPKlPlN2at6native12_GLOBAL__N_18offset_tEEE10hipError_tPvRmT1_PNSt15iterator_traitsISK_E10value_typeET2_T3_PNSL_ISQ_E10value_typeET4_jRbjT5_SW_jjP12ihipStream_tbEUlT_E2_NS1_11comp_targetILNS1_3genE10ELNS1_11target_archE1200ELNS1_3gpuE4ELNS1_3repE0EEENS1_30default_config_static_selectorELNS0_4arch9wavefront6targetE0EEEvSK_.has_recursion, 0
	.set _ZN7rocprim17ROCPRIM_400000_NS6detail17trampoline_kernelINS0_14default_configENS1_36segmented_radix_sort_config_selectorIflEEZNS1_25segmented_radix_sort_implIS3_Lb0EPKfPfPKlPlN2at6native12_GLOBAL__N_18offset_tEEE10hipError_tPvRmT1_PNSt15iterator_traitsISK_E10value_typeET2_T3_PNSL_ISQ_E10value_typeET4_jRbjT5_SW_jjP12ihipStream_tbEUlT_E2_NS1_11comp_targetILNS1_3genE10ELNS1_11target_archE1200ELNS1_3gpuE4ELNS1_3repE0EEENS1_30default_config_static_selectorELNS0_4arch9wavefront6targetE0EEEvSK_.has_indirect_call, 0
	.section	.AMDGPU.csdata,"",@progbits
; Kernel info:
; codeLenInByte = 0
; TotalNumSgprs: 0
; NumVgprs: 0
; ScratchSize: 0
; MemoryBound: 0
; FloatMode: 240
; IeeeMode: 1
; LDSByteSize: 0 bytes/workgroup (compile time only)
; SGPRBlocks: 0
; VGPRBlocks: 0
; NumSGPRsForWavesPerEU: 1
; NumVGPRsForWavesPerEU: 1
; NamedBarCnt: 0
; Occupancy: 16
; WaveLimiterHint : 0
; COMPUTE_PGM_RSRC2:SCRATCH_EN: 0
; COMPUTE_PGM_RSRC2:USER_SGPR: 2
; COMPUTE_PGM_RSRC2:TRAP_HANDLER: 0
; COMPUTE_PGM_RSRC2:TGID_X_EN: 1
; COMPUTE_PGM_RSRC2:TGID_Y_EN: 0
; COMPUTE_PGM_RSRC2:TGID_Z_EN: 0
; COMPUTE_PGM_RSRC2:TIDIG_COMP_CNT: 0
	.section	.text._ZN7rocprim17ROCPRIM_400000_NS6detail17trampoline_kernelINS0_14default_configENS1_36segmented_radix_sort_config_selectorIflEEZNS1_25segmented_radix_sort_implIS3_Lb0EPKfPfPKlPlN2at6native12_GLOBAL__N_18offset_tEEE10hipError_tPvRmT1_PNSt15iterator_traitsISK_E10value_typeET2_T3_PNSL_ISQ_E10value_typeET4_jRbjT5_SW_jjP12ihipStream_tbEUlT_E2_NS1_11comp_targetILNS1_3genE9ELNS1_11target_archE1100ELNS1_3gpuE3ELNS1_3repE0EEENS1_30default_config_static_selectorELNS0_4arch9wavefront6targetE0EEEvSK_,"axG",@progbits,_ZN7rocprim17ROCPRIM_400000_NS6detail17trampoline_kernelINS0_14default_configENS1_36segmented_radix_sort_config_selectorIflEEZNS1_25segmented_radix_sort_implIS3_Lb0EPKfPfPKlPlN2at6native12_GLOBAL__N_18offset_tEEE10hipError_tPvRmT1_PNSt15iterator_traitsISK_E10value_typeET2_T3_PNSL_ISQ_E10value_typeET4_jRbjT5_SW_jjP12ihipStream_tbEUlT_E2_NS1_11comp_targetILNS1_3genE9ELNS1_11target_archE1100ELNS1_3gpuE3ELNS1_3repE0EEENS1_30default_config_static_selectorELNS0_4arch9wavefront6targetE0EEEvSK_,comdat
	.globl	_ZN7rocprim17ROCPRIM_400000_NS6detail17trampoline_kernelINS0_14default_configENS1_36segmented_radix_sort_config_selectorIflEEZNS1_25segmented_radix_sort_implIS3_Lb0EPKfPfPKlPlN2at6native12_GLOBAL__N_18offset_tEEE10hipError_tPvRmT1_PNSt15iterator_traitsISK_E10value_typeET2_T3_PNSL_ISQ_E10value_typeET4_jRbjT5_SW_jjP12ihipStream_tbEUlT_E2_NS1_11comp_targetILNS1_3genE9ELNS1_11target_archE1100ELNS1_3gpuE3ELNS1_3repE0EEENS1_30default_config_static_selectorELNS0_4arch9wavefront6targetE0EEEvSK_ ; -- Begin function _ZN7rocprim17ROCPRIM_400000_NS6detail17trampoline_kernelINS0_14default_configENS1_36segmented_radix_sort_config_selectorIflEEZNS1_25segmented_radix_sort_implIS3_Lb0EPKfPfPKlPlN2at6native12_GLOBAL__N_18offset_tEEE10hipError_tPvRmT1_PNSt15iterator_traitsISK_E10value_typeET2_T3_PNSL_ISQ_E10value_typeET4_jRbjT5_SW_jjP12ihipStream_tbEUlT_E2_NS1_11comp_targetILNS1_3genE9ELNS1_11target_archE1100ELNS1_3gpuE3ELNS1_3repE0EEENS1_30default_config_static_selectorELNS0_4arch9wavefront6targetE0EEEvSK_
	.p2align	8
	.type	_ZN7rocprim17ROCPRIM_400000_NS6detail17trampoline_kernelINS0_14default_configENS1_36segmented_radix_sort_config_selectorIflEEZNS1_25segmented_radix_sort_implIS3_Lb0EPKfPfPKlPlN2at6native12_GLOBAL__N_18offset_tEEE10hipError_tPvRmT1_PNSt15iterator_traitsISK_E10value_typeET2_T3_PNSL_ISQ_E10value_typeET4_jRbjT5_SW_jjP12ihipStream_tbEUlT_E2_NS1_11comp_targetILNS1_3genE9ELNS1_11target_archE1100ELNS1_3gpuE3ELNS1_3repE0EEENS1_30default_config_static_selectorELNS0_4arch9wavefront6targetE0EEEvSK_,@function
_ZN7rocprim17ROCPRIM_400000_NS6detail17trampoline_kernelINS0_14default_configENS1_36segmented_radix_sort_config_selectorIflEEZNS1_25segmented_radix_sort_implIS3_Lb0EPKfPfPKlPlN2at6native12_GLOBAL__N_18offset_tEEE10hipError_tPvRmT1_PNSt15iterator_traitsISK_E10value_typeET2_T3_PNSL_ISQ_E10value_typeET4_jRbjT5_SW_jjP12ihipStream_tbEUlT_E2_NS1_11comp_targetILNS1_3genE9ELNS1_11target_archE1100ELNS1_3gpuE3ELNS1_3repE0EEENS1_30default_config_static_selectorELNS0_4arch9wavefront6targetE0EEEvSK_: ; @_ZN7rocprim17ROCPRIM_400000_NS6detail17trampoline_kernelINS0_14default_configENS1_36segmented_radix_sort_config_selectorIflEEZNS1_25segmented_radix_sort_implIS3_Lb0EPKfPfPKlPlN2at6native12_GLOBAL__N_18offset_tEEE10hipError_tPvRmT1_PNSt15iterator_traitsISK_E10value_typeET2_T3_PNSL_ISQ_E10value_typeET4_jRbjT5_SW_jjP12ihipStream_tbEUlT_E2_NS1_11comp_targetILNS1_3genE9ELNS1_11target_archE1100ELNS1_3gpuE3ELNS1_3repE0EEENS1_30default_config_static_selectorELNS0_4arch9wavefront6targetE0EEEvSK_
; %bb.0:
	.section	.rodata,"a",@progbits
	.p2align	6, 0x0
	.amdhsa_kernel _ZN7rocprim17ROCPRIM_400000_NS6detail17trampoline_kernelINS0_14default_configENS1_36segmented_radix_sort_config_selectorIflEEZNS1_25segmented_radix_sort_implIS3_Lb0EPKfPfPKlPlN2at6native12_GLOBAL__N_18offset_tEEE10hipError_tPvRmT1_PNSt15iterator_traitsISK_E10value_typeET2_T3_PNSL_ISQ_E10value_typeET4_jRbjT5_SW_jjP12ihipStream_tbEUlT_E2_NS1_11comp_targetILNS1_3genE9ELNS1_11target_archE1100ELNS1_3gpuE3ELNS1_3repE0EEENS1_30default_config_static_selectorELNS0_4arch9wavefront6targetE0EEEvSK_
		.amdhsa_group_segment_fixed_size 0
		.amdhsa_private_segment_fixed_size 0
		.amdhsa_kernarg_size 80
		.amdhsa_user_sgpr_count 2
		.amdhsa_user_sgpr_dispatch_ptr 0
		.amdhsa_user_sgpr_queue_ptr 0
		.amdhsa_user_sgpr_kernarg_segment_ptr 1
		.amdhsa_user_sgpr_dispatch_id 0
		.amdhsa_user_sgpr_kernarg_preload_length 0
		.amdhsa_user_sgpr_kernarg_preload_offset 0
		.amdhsa_user_sgpr_private_segment_size 0
		.amdhsa_wavefront_size32 1
		.amdhsa_uses_dynamic_stack 0
		.amdhsa_enable_private_segment 0
		.amdhsa_system_sgpr_workgroup_id_x 1
		.amdhsa_system_sgpr_workgroup_id_y 0
		.amdhsa_system_sgpr_workgroup_id_z 0
		.amdhsa_system_sgpr_workgroup_info 0
		.amdhsa_system_vgpr_workitem_id 0
		.amdhsa_next_free_vgpr 1
		.amdhsa_next_free_sgpr 1
		.amdhsa_named_barrier_count 0
		.amdhsa_reserve_vcc 0
		.amdhsa_float_round_mode_32 0
		.amdhsa_float_round_mode_16_64 0
		.amdhsa_float_denorm_mode_32 3
		.amdhsa_float_denorm_mode_16_64 3
		.amdhsa_fp16_overflow 0
		.amdhsa_memory_ordered 1
		.amdhsa_forward_progress 1
		.amdhsa_inst_pref_size 0
		.amdhsa_round_robin_scheduling 0
		.amdhsa_exception_fp_ieee_invalid_op 0
		.amdhsa_exception_fp_denorm_src 0
		.amdhsa_exception_fp_ieee_div_zero 0
		.amdhsa_exception_fp_ieee_overflow 0
		.amdhsa_exception_fp_ieee_underflow 0
		.amdhsa_exception_fp_ieee_inexact 0
		.amdhsa_exception_int_div_zero 0
	.end_amdhsa_kernel
	.section	.text._ZN7rocprim17ROCPRIM_400000_NS6detail17trampoline_kernelINS0_14default_configENS1_36segmented_radix_sort_config_selectorIflEEZNS1_25segmented_radix_sort_implIS3_Lb0EPKfPfPKlPlN2at6native12_GLOBAL__N_18offset_tEEE10hipError_tPvRmT1_PNSt15iterator_traitsISK_E10value_typeET2_T3_PNSL_ISQ_E10value_typeET4_jRbjT5_SW_jjP12ihipStream_tbEUlT_E2_NS1_11comp_targetILNS1_3genE9ELNS1_11target_archE1100ELNS1_3gpuE3ELNS1_3repE0EEENS1_30default_config_static_selectorELNS0_4arch9wavefront6targetE0EEEvSK_,"axG",@progbits,_ZN7rocprim17ROCPRIM_400000_NS6detail17trampoline_kernelINS0_14default_configENS1_36segmented_radix_sort_config_selectorIflEEZNS1_25segmented_radix_sort_implIS3_Lb0EPKfPfPKlPlN2at6native12_GLOBAL__N_18offset_tEEE10hipError_tPvRmT1_PNSt15iterator_traitsISK_E10value_typeET2_T3_PNSL_ISQ_E10value_typeET4_jRbjT5_SW_jjP12ihipStream_tbEUlT_E2_NS1_11comp_targetILNS1_3genE9ELNS1_11target_archE1100ELNS1_3gpuE3ELNS1_3repE0EEENS1_30default_config_static_selectorELNS0_4arch9wavefront6targetE0EEEvSK_,comdat
.Lfunc_end1457:
	.size	_ZN7rocprim17ROCPRIM_400000_NS6detail17trampoline_kernelINS0_14default_configENS1_36segmented_radix_sort_config_selectorIflEEZNS1_25segmented_radix_sort_implIS3_Lb0EPKfPfPKlPlN2at6native12_GLOBAL__N_18offset_tEEE10hipError_tPvRmT1_PNSt15iterator_traitsISK_E10value_typeET2_T3_PNSL_ISQ_E10value_typeET4_jRbjT5_SW_jjP12ihipStream_tbEUlT_E2_NS1_11comp_targetILNS1_3genE9ELNS1_11target_archE1100ELNS1_3gpuE3ELNS1_3repE0EEENS1_30default_config_static_selectorELNS0_4arch9wavefront6targetE0EEEvSK_, .Lfunc_end1457-_ZN7rocprim17ROCPRIM_400000_NS6detail17trampoline_kernelINS0_14default_configENS1_36segmented_radix_sort_config_selectorIflEEZNS1_25segmented_radix_sort_implIS3_Lb0EPKfPfPKlPlN2at6native12_GLOBAL__N_18offset_tEEE10hipError_tPvRmT1_PNSt15iterator_traitsISK_E10value_typeET2_T3_PNSL_ISQ_E10value_typeET4_jRbjT5_SW_jjP12ihipStream_tbEUlT_E2_NS1_11comp_targetILNS1_3genE9ELNS1_11target_archE1100ELNS1_3gpuE3ELNS1_3repE0EEENS1_30default_config_static_selectorELNS0_4arch9wavefront6targetE0EEEvSK_
                                        ; -- End function
	.set _ZN7rocprim17ROCPRIM_400000_NS6detail17trampoline_kernelINS0_14default_configENS1_36segmented_radix_sort_config_selectorIflEEZNS1_25segmented_radix_sort_implIS3_Lb0EPKfPfPKlPlN2at6native12_GLOBAL__N_18offset_tEEE10hipError_tPvRmT1_PNSt15iterator_traitsISK_E10value_typeET2_T3_PNSL_ISQ_E10value_typeET4_jRbjT5_SW_jjP12ihipStream_tbEUlT_E2_NS1_11comp_targetILNS1_3genE9ELNS1_11target_archE1100ELNS1_3gpuE3ELNS1_3repE0EEENS1_30default_config_static_selectorELNS0_4arch9wavefront6targetE0EEEvSK_.num_vgpr, 0
	.set _ZN7rocprim17ROCPRIM_400000_NS6detail17trampoline_kernelINS0_14default_configENS1_36segmented_radix_sort_config_selectorIflEEZNS1_25segmented_radix_sort_implIS3_Lb0EPKfPfPKlPlN2at6native12_GLOBAL__N_18offset_tEEE10hipError_tPvRmT1_PNSt15iterator_traitsISK_E10value_typeET2_T3_PNSL_ISQ_E10value_typeET4_jRbjT5_SW_jjP12ihipStream_tbEUlT_E2_NS1_11comp_targetILNS1_3genE9ELNS1_11target_archE1100ELNS1_3gpuE3ELNS1_3repE0EEENS1_30default_config_static_selectorELNS0_4arch9wavefront6targetE0EEEvSK_.num_agpr, 0
	.set _ZN7rocprim17ROCPRIM_400000_NS6detail17trampoline_kernelINS0_14default_configENS1_36segmented_radix_sort_config_selectorIflEEZNS1_25segmented_radix_sort_implIS3_Lb0EPKfPfPKlPlN2at6native12_GLOBAL__N_18offset_tEEE10hipError_tPvRmT1_PNSt15iterator_traitsISK_E10value_typeET2_T3_PNSL_ISQ_E10value_typeET4_jRbjT5_SW_jjP12ihipStream_tbEUlT_E2_NS1_11comp_targetILNS1_3genE9ELNS1_11target_archE1100ELNS1_3gpuE3ELNS1_3repE0EEENS1_30default_config_static_selectorELNS0_4arch9wavefront6targetE0EEEvSK_.numbered_sgpr, 0
	.set _ZN7rocprim17ROCPRIM_400000_NS6detail17trampoline_kernelINS0_14default_configENS1_36segmented_radix_sort_config_selectorIflEEZNS1_25segmented_radix_sort_implIS3_Lb0EPKfPfPKlPlN2at6native12_GLOBAL__N_18offset_tEEE10hipError_tPvRmT1_PNSt15iterator_traitsISK_E10value_typeET2_T3_PNSL_ISQ_E10value_typeET4_jRbjT5_SW_jjP12ihipStream_tbEUlT_E2_NS1_11comp_targetILNS1_3genE9ELNS1_11target_archE1100ELNS1_3gpuE3ELNS1_3repE0EEENS1_30default_config_static_selectorELNS0_4arch9wavefront6targetE0EEEvSK_.num_named_barrier, 0
	.set _ZN7rocprim17ROCPRIM_400000_NS6detail17trampoline_kernelINS0_14default_configENS1_36segmented_radix_sort_config_selectorIflEEZNS1_25segmented_radix_sort_implIS3_Lb0EPKfPfPKlPlN2at6native12_GLOBAL__N_18offset_tEEE10hipError_tPvRmT1_PNSt15iterator_traitsISK_E10value_typeET2_T3_PNSL_ISQ_E10value_typeET4_jRbjT5_SW_jjP12ihipStream_tbEUlT_E2_NS1_11comp_targetILNS1_3genE9ELNS1_11target_archE1100ELNS1_3gpuE3ELNS1_3repE0EEENS1_30default_config_static_selectorELNS0_4arch9wavefront6targetE0EEEvSK_.private_seg_size, 0
	.set _ZN7rocprim17ROCPRIM_400000_NS6detail17trampoline_kernelINS0_14default_configENS1_36segmented_radix_sort_config_selectorIflEEZNS1_25segmented_radix_sort_implIS3_Lb0EPKfPfPKlPlN2at6native12_GLOBAL__N_18offset_tEEE10hipError_tPvRmT1_PNSt15iterator_traitsISK_E10value_typeET2_T3_PNSL_ISQ_E10value_typeET4_jRbjT5_SW_jjP12ihipStream_tbEUlT_E2_NS1_11comp_targetILNS1_3genE9ELNS1_11target_archE1100ELNS1_3gpuE3ELNS1_3repE0EEENS1_30default_config_static_selectorELNS0_4arch9wavefront6targetE0EEEvSK_.uses_vcc, 0
	.set _ZN7rocprim17ROCPRIM_400000_NS6detail17trampoline_kernelINS0_14default_configENS1_36segmented_radix_sort_config_selectorIflEEZNS1_25segmented_radix_sort_implIS3_Lb0EPKfPfPKlPlN2at6native12_GLOBAL__N_18offset_tEEE10hipError_tPvRmT1_PNSt15iterator_traitsISK_E10value_typeET2_T3_PNSL_ISQ_E10value_typeET4_jRbjT5_SW_jjP12ihipStream_tbEUlT_E2_NS1_11comp_targetILNS1_3genE9ELNS1_11target_archE1100ELNS1_3gpuE3ELNS1_3repE0EEENS1_30default_config_static_selectorELNS0_4arch9wavefront6targetE0EEEvSK_.uses_flat_scratch, 0
	.set _ZN7rocprim17ROCPRIM_400000_NS6detail17trampoline_kernelINS0_14default_configENS1_36segmented_radix_sort_config_selectorIflEEZNS1_25segmented_radix_sort_implIS3_Lb0EPKfPfPKlPlN2at6native12_GLOBAL__N_18offset_tEEE10hipError_tPvRmT1_PNSt15iterator_traitsISK_E10value_typeET2_T3_PNSL_ISQ_E10value_typeET4_jRbjT5_SW_jjP12ihipStream_tbEUlT_E2_NS1_11comp_targetILNS1_3genE9ELNS1_11target_archE1100ELNS1_3gpuE3ELNS1_3repE0EEENS1_30default_config_static_selectorELNS0_4arch9wavefront6targetE0EEEvSK_.has_dyn_sized_stack, 0
	.set _ZN7rocprim17ROCPRIM_400000_NS6detail17trampoline_kernelINS0_14default_configENS1_36segmented_radix_sort_config_selectorIflEEZNS1_25segmented_radix_sort_implIS3_Lb0EPKfPfPKlPlN2at6native12_GLOBAL__N_18offset_tEEE10hipError_tPvRmT1_PNSt15iterator_traitsISK_E10value_typeET2_T3_PNSL_ISQ_E10value_typeET4_jRbjT5_SW_jjP12ihipStream_tbEUlT_E2_NS1_11comp_targetILNS1_3genE9ELNS1_11target_archE1100ELNS1_3gpuE3ELNS1_3repE0EEENS1_30default_config_static_selectorELNS0_4arch9wavefront6targetE0EEEvSK_.has_recursion, 0
	.set _ZN7rocprim17ROCPRIM_400000_NS6detail17trampoline_kernelINS0_14default_configENS1_36segmented_radix_sort_config_selectorIflEEZNS1_25segmented_radix_sort_implIS3_Lb0EPKfPfPKlPlN2at6native12_GLOBAL__N_18offset_tEEE10hipError_tPvRmT1_PNSt15iterator_traitsISK_E10value_typeET2_T3_PNSL_ISQ_E10value_typeET4_jRbjT5_SW_jjP12ihipStream_tbEUlT_E2_NS1_11comp_targetILNS1_3genE9ELNS1_11target_archE1100ELNS1_3gpuE3ELNS1_3repE0EEENS1_30default_config_static_selectorELNS0_4arch9wavefront6targetE0EEEvSK_.has_indirect_call, 0
	.section	.AMDGPU.csdata,"",@progbits
; Kernel info:
; codeLenInByte = 0
; TotalNumSgprs: 0
; NumVgprs: 0
; ScratchSize: 0
; MemoryBound: 0
; FloatMode: 240
; IeeeMode: 1
; LDSByteSize: 0 bytes/workgroup (compile time only)
; SGPRBlocks: 0
; VGPRBlocks: 0
; NumSGPRsForWavesPerEU: 1
; NumVGPRsForWavesPerEU: 1
; NamedBarCnt: 0
; Occupancy: 16
; WaveLimiterHint : 0
; COMPUTE_PGM_RSRC2:SCRATCH_EN: 0
; COMPUTE_PGM_RSRC2:USER_SGPR: 2
; COMPUTE_PGM_RSRC2:TRAP_HANDLER: 0
; COMPUTE_PGM_RSRC2:TGID_X_EN: 1
; COMPUTE_PGM_RSRC2:TGID_Y_EN: 0
; COMPUTE_PGM_RSRC2:TGID_Z_EN: 0
; COMPUTE_PGM_RSRC2:TIDIG_COMP_CNT: 0
	.section	.text._ZN7rocprim17ROCPRIM_400000_NS6detail17trampoline_kernelINS0_14default_configENS1_36segmented_radix_sort_config_selectorIflEEZNS1_25segmented_radix_sort_implIS3_Lb0EPKfPfPKlPlN2at6native12_GLOBAL__N_18offset_tEEE10hipError_tPvRmT1_PNSt15iterator_traitsISK_E10value_typeET2_T3_PNSL_ISQ_E10value_typeET4_jRbjT5_SW_jjP12ihipStream_tbEUlT_E2_NS1_11comp_targetILNS1_3genE8ELNS1_11target_archE1030ELNS1_3gpuE2ELNS1_3repE0EEENS1_30default_config_static_selectorELNS0_4arch9wavefront6targetE0EEEvSK_,"axG",@progbits,_ZN7rocprim17ROCPRIM_400000_NS6detail17trampoline_kernelINS0_14default_configENS1_36segmented_radix_sort_config_selectorIflEEZNS1_25segmented_radix_sort_implIS3_Lb0EPKfPfPKlPlN2at6native12_GLOBAL__N_18offset_tEEE10hipError_tPvRmT1_PNSt15iterator_traitsISK_E10value_typeET2_T3_PNSL_ISQ_E10value_typeET4_jRbjT5_SW_jjP12ihipStream_tbEUlT_E2_NS1_11comp_targetILNS1_3genE8ELNS1_11target_archE1030ELNS1_3gpuE2ELNS1_3repE0EEENS1_30default_config_static_selectorELNS0_4arch9wavefront6targetE0EEEvSK_,comdat
	.globl	_ZN7rocprim17ROCPRIM_400000_NS6detail17trampoline_kernelINS0_14default_configENS1_36segmented_radix_sort_config_selectorIflEEZNS1_25segmented_radix_sort_implIS3_Lb0EPKfPfPKlPlN2at6native12_GLOBAL__N_18offset_tEEE10hipError_tPvRmT1_PNSt15iterator_traitsISK_E10value_typeET2_T3_PNSL_ISQ_E10value_typeET4_jRbjT5_SW_jjP12ihipStream_tbEUlT_E2_NS1_11comp_targetILNS1_3genE8ELNS1_11target_archE1030ELNS1_3gpuE2ELNS1_3repE0EEENS1_30default_config_static_selectorELNS0_4arch9wavefront6targetE0EEEvSK_ ; -- Begin function _ZN7rocprim17ROCPRIM_400000_NS6detail17trampoline_kernelINS0_14default_configENS1_36segmented_radix_sort_config_selectorIflEEZNS1_25segmented_radix_sort_implIS3_Lb0EPKfPfPKlPlN2at6native12_GLOBAL__N_18offset_tEEE10hipError_tPvRmT1_PNSt15iterator_traitsISK_E10value_typeET2_T3_PNSL_ISQ_E10value_typeET4_jRbjT5_SW_jjP12ihipStream_tbEUlT_E2_NS1_11comp_targetILNS1_3genE8ELNS1_11target_archE1030ELNS1_3gpuE2ELNS1_3repE0EEENS1_30default_config_static_selectorELNS0_4arch9wavefront6targetE0EEEvSK_
	.p2align	8
	.type	_ZN7rocprim17ROCPRIM_400000_NS6detail17trampoline_kernelINS0_14default_configENS1_36segmented_radix_sort_config_selectorIflEEZNS1_25segmented_radix_sort_implIS3_Lb0EPKfPfPKlPlN2at6native12_GLOBAL__N_18offset_tEEE10hipError_tPvRmT1_PNSt15iterator_traitsISK_E10value_typeET2_T3_PNSL_ISQ_E10value_typeET4_jRbjT5_SW_jjP12ihipStream_tbEUlT_E2_NS1_11comp_targetILNS1_3genE8ELNS1_11target_archE1030ELNS1_3gpuE2ELNS1_3repE0EEENS1_30default_config_static_selectorELNS0_4arch9wavefront6targetE0EEEvSK_,@function
_ZN7rocprim17ROCPRIM_400000_NS6detail17trampoline_kernelINS0_14default_configENS1_36segmented_radix_sort_config_selectorIflEEZNS1_25segmented_radix_sort_implIS3_Lb0EPKfPfPKlPlN2at6native12_GLOBAL__N_18offset_tEEE10hipError_tPvRmT1_PNSt15iterator_traitsISK_E10value_typeET2_T3_PNSL_ISQ_E10value_typeET4_jRbjT5_SW_jjP12ihipStream_tbEUlT_E2_NS1_11comp_targetILNS1_3genE8ELNS1_11target_archE1030ELNS1_3gpuE2ELNS1_3repE0EEENS1_30default_config_static_selectorELNS0_4arch9wavefront6targetE0EEEvSK_: ; @_ZN7rocprim17ROCPRIM_400000_NS6detail17trampoline_kernelINS0_14default_configENS1_36segmented_radix_sort_config_selectorIflEEZNS1_25segmented_radix_sort_implIS3_Lb0EPKfPfPKlPlN2at6native12_GLOBAL__N_18offset_tEEE10hipError_tPvRmT1_PNSt15iterator_traitsISK_E10value_typeET2_T3_PNSL_ISQ_E10value_typeET4_jRbjT5_SW_jjP12ihipStream_tbEUlT_E2_NS1_11comp_targetILNS1_3genE8ELNS1_11target_archE1030ELNS1_3gpuE2ELNS1_3repE0EEENS1_30default_config_static_selectorELNS0_4arch9wavefront6targetE0EEEvSK_
; %bb.0:
	.section	.rodata,"a",@progbits
	.p2align	6, 0x0
	.amdhsa_kernel _ZN7rocprim17ROCPRIM_400000_NS6detail17trampoline_kernelINS0_14default_configENS1_36segmented_radix_sort_config_selectorIflEEZNS1_25segmented_radix_sort_implIS3_Lb0EPKfPfPKlPlN2at6native12_GLOBAL__N_18offset_tEEE10hipError_tPvRmT1_PNSt15iterator_traitsISK_E10value_typeET2_T3_PNSL_ISQ_E10value_typeET4_jRbjT5_SW_jjP12ihipStream_tbEUlT_E2_NS1_11comp_targetILNS1_3genE8ELNS1_11target_archE1030ELNS1_3gpuE2ELNS1_3repE0EEENS1_30default_config_static_selectorELNS0_4arch9wavefront6targetE0EEEvSK_
		.amdhsa_group_segment_fixed_size 0
		.amdhsa_private_segment_fixed_size 0
		.amdhsa_kernarg_size 80
		.amdhsa_user_sgpr_count 2
		.amdhsa_user_sgpr_dispatch_ptr 0
		.amdhsa_user_sgpr_queue_ptr 0
		.amdhsa_user_sgpr_kernarg_segment_ptr 1
		.amdhsa_user_sgpr_dispatch_id 0
		.amdhsa_user_sgpr_kernarg_preload_length 0
		.amdhsa_user_sgpr_kernarg_preload_offset 0
		.amdhsa_user_sgpr_private_segment_size 0
		.amdhsa_wavefront_size32 1
		.amdhsa_uses_dynamic_stack 0
		.amdhsa_enable_private_segment 0
		.amdhsa_system_sgpr_workgroup_id_x 1
		.amdhsa_system_sgpr_workgroup_id_y 0
		.amdhsa_system_sgpr_workgroup_id_z 0
		.amdhsa_system_sgpr_workgroup_info 0
		.amdhsa_system_vgpr_workitem_id 0
		.amdhsa_next_free_vgpr 1
		.amdhsa_next_free_sgpr 1
		.amdhsa_named_barrier_count 0
		.amdhsa_reserve_vcc 0
		.amdhsa_float_round_mode_32 0
		.amdhsa_float_round_mode_16_64 0
		.amdhsa_float_denorm_mode_32 3
		.amdhsa_float_denorm_mode_16_64 3
		.amdhsa_fp16_overflow 0
		.amdhsa_memory_ordered 1
		.amdhsa_forward_progress 1
		.amdhsa_inst_pref_size 0
		.amdhsa_round_robin_scheduling 0
		.amdhsa_exception_fp_ieee_invalid_op 0
		.amdhsa_exception_fp_denorm_src 0
		.amdhsa_exception_fp_ieee_div_zero 0
		.amdhsa_exception_fp_ieee_overflow 0
		.amdhsa_exception_fp_ieee_underflow 0
		.amdhsa_exception_fp_ieee_inexact 0
		.amdhsa_exception_int_div_zero 0
	.end_amdhsa_kernel
	.section	.text._ZN7rocprim17ROCPRIM_400000_NS6detail17trampoline_kernelINS0_14default_configENS1_36segmented_radix_sort_config_selectorIflEEZNS1_25segmented_radix_sort_implIS3_Lb0EPKfPfPKlPlN2at6native12_GLOBAL__N_18offset_tEEE10hipError_tPvRmT1_PNSt15iterator_traitsISK_E10value_typeET2_T3_PNSL_ISQ_E10value_typeET4_jRbjT5_SW_jjP12ihipStream_tbEUlT_E2_NS1_11comp_targetILNS1_3genE8ELNS1_11target_archE1030ELNS1_3gpuE2ELNS1_3repE0EEENS1_30default_config_static_selectorELNS0_4arch9wavefront6targetE0EEEvSK_,"axG",@progbits,_ZN7rocprim17ROCPRIM_400000_NS6detail17trampoline_kernelINS0_14default_configENS1_36segmented_radix_sort_config_selectorIflEEZNS1_25segmented_radix_sort_implIS3_Lb0EPKfPfPKlPlN2at6native12_GLOBAL__N_18offset_tEEE10hipError_tPvRmT1_PNSt15iterator_traitsISK_E10value_typeET2_T3_PNSL_ISQ_E10value_typeET4_jRbjT5_SW_jjP12ihipStream_tbEUlT_E2_NS1_11comp_targetILNS1_3genE8ELNS1_11target_archE1030ELNS1_3gpuE2ELNS1_3repE0EEENS1_30default_config_static_selectorELNS0_4arch9wavefront6targetE0EEEvSK_,comdat
.Lfunc_end1458:
	.size	_ZN7rocprim17ROCPRIM_400000_NS6detail17trampoline_kernelINS0_14default_configENS1_36segmented_radix_sort_config_selectorIflEEZNS1_25segmented_radix_sort_implIS3_Lb0EPKfPfPKlPlN2at6native12_GLOBAL__N_18offset_tEEE10hipError_tPvRmT1_PNSt15iterator_traitsISK_E10value_typeET2_T3_PNSL_ISQ_E10value_typeET4_jRbjT5_SW_jjP12ihipStream_tbEUlT_E2_NS1_11comp_targetILNS1_3genE8ELNS1_11target_archE1030ELNS1_3gpuE2ELNS1_3repE0EEENS1_30default_config_static_selectorELNS0_4arch9wavefront6targetE0EEEvSK_, .Lfunc_end1458-_ZN7rocprim17ROCPRIM_400000_NS6detail17trampoline_kernelINS0_14default_configENS1_36segmented_radix_sort_config_selectorIflEEZNS1_25segmented_radix_sort_implIS3_Lb0EPKfPfPKlPlN2at6native12_GLOBAL__N_18offset_tEEE10hipError_tPvRmT1_PNSt15iterator_traitsISK_E10value_typeET2_T3_PNSL_ISQ_E10value_typeET4_jRbjT5_SW_jjP12ihipStream_tbEUlT_E2_NS1_11comp_targetILNS1_3genE8ELNS1_11target_archE1030ELNS1_3gpuE2ELNS1_3repE0EEENS1_30default_config_static_selectorELNS0_4arch9wavefront6targetE0EEEvSK_
                                        ; -- End function
	.set _ZN7rocprim17ROCPRIM_400000_NS6detail17trampoline_kernelINS0_14default_configENS1_36segmented_radix_sort_config_selectorIflEEZNS1_25segmented_radix_sort_implIS3_Lb0EPKfPfPKlPlN2at6native12_GLOBAL__N_18offset_tEEE10hipError_tPvRmT1_PNSt15iterator_traitsISK_E10value_typeET2_T3_PNSL_ISQ_E10value_typeET4_jRbjT5_SW_jjP12ihipStream_tbEUlT_E2_NS1_11comp_targetILNS1_3genE8ELNS1_11target_archE1030ELNS1_3gpuE2ELNS1_3repE0EEENS1_30default_config_static_selectorELNS0_4arch9wavefront6targetE0EEEvSK_.num_vgpr, 0
	.set _ZN7rocprim17ROCPRIM_400000_NS6detail17trampoline_kernelINS0_14default_configENS1_36segmented_radix_sort_config_selectorIflEEZNS1_25segmented_radix_sort_implIS3_Lb0EPKfPfPKlPlN2at6native12_GLOBAL__N_18offset_tEEE10hipError_tPvRmT1_PNSt15iterator_traitsISK_E10value_typeET2_T3_PNSL_ISQ_E10value_typeET4_jRbjT5_SW_jjP12ihipStream_tbEUlT_E2_NS1_11comp_targetILNS1_3genE8ELNS1_11target_archE1030ELNS1_3gpuE2ELNS1_3repE0EEENS1_30default_config_static_selectorELNS0_4arch9wavefront6targetE0EEEvSK_.num_agpr, 0
	.set _ZN7rocprim17ROCPRIM_400000_NS6detail17trampoline_kernelINS0_14default_configENS1_36segmented_radix_sort_config_selectorIflEEZNS1_25segmented_radix_sort_implIS3_Lb0EPKfPfPKlPlN2at6native12_GLOBAL__N_18offset_tEEE10hipError_tPvRmT1_PNSt15iterator_traitsISK_E10value_typeET2_T3_PNSL_ISQ_E10value_typeET4_jRbjT5_SW_jjP12ihipStream_tbEUlT_E2_NS1_11comp_targetILNS1_3genE8ELNS1_11target_archE1030ELNS1_3gpuE2ELNS1_3repE0EEENS1_30default_config_static_selectorELNS0_4arch9wavefront6targetE0EEEvSK_.numbered_sgpr, 0
	.set _ZN7rocprim17ROCPRIM_400000_NS6detail17trampoline_kernelINS0_14default_configENS1_36segmented_radix_sort_config_selectorIflEEZNS1_25segmented_radix_sort_implIS3_Lb0EPKfPfPKlPlN2at6native12_GLOBAL__N_18offset_tEEE10hipError_tPvRmT1_PNSt15iterator_traitsISK_E10value_typeET2_T3_PNSL_ISQ_E10value_typeET4_jRbjT5_SW_jjP12ihipStream_tbEUlT_E2_NS1_11comp_targetILNS1_3genE8ELNS1_11target_archE1030ELNS1_3gpuE2ELNS1_3repE0EEENS1_30default_config_static_selectorELNS0_4arch9wavefront6targetE0EEEvSK_.num_named_barrier, 0
	.set _ZN7rocprim17ROCPRIM_400000_NS6detail17trampoline_kernelINS0_14default_configENS1_36segmented_radix_sort_config_selectorIflEEZNS1_25segmented_radix_sort_implIS3_Lb0EPKfPfPKlPlN2at6native12_GLOBAL__N_18offset_tEEE10hipError_tPvRmT1_PNSt15iterator_traitsISK_E10value_typeET2_T3_PNSL_ISQ_E10value_typeET4_jRbjT5_SW_jjP12ihipStream_tbEUlT_E2_NS1_11comp_targetILNS1_3genE8ELNS1_11target_archE1030ELNS1_3gpuE2ELNS1_3repE0EEENS1_30default_config_static_selectorELNS0_4arch9wavefront6targetE0EEEvSK_.private_seg_size, 0
	.set _ZN7rocprim17ROCPRIM_400000_NS6detail17trampoline_kernelINS0_14default_configENS1_36segmented_radix_sort_config_selectorIflEEZNS1_25segmented_radix_sort_implIS3_Lb0EPKfPfPKlPlN2at6native12_GLOBAL__N_18offset_tEEE10hipError_tPvRmT1_PNSt15iterator_traitsISK_E10value_typeET2_T3_PNSL_ISQ_E10value_typeET4_jRbjT5_SW_jjP12ihipStream_tbEUlT_E2_NS1_11comp_targetILNS1_3genE8ELNS1_11target_archE1030ELNS1_3gpuE2ELNS1_3repE0EEENS1_30default_config_static_selectorELNS0_4arch9wavefront6targetE0EEEvSK_.uses_vcc, 0
	.set _ZN7rocprim17ROCPRIM_400000_NS6detail17trampoline_kernelINS0_14default_configENS1_36segmented_radix_sort_config_selectorIflEEZNS1_25segmented_radix_sort_implIS3_Lb0EPKfPfPKlPlN2at6native12_GLOBAL__N_18offset_tEEE10hipError_tPvRmT1_PNSt15iterator_traitsISK_E10value_typeET2_T3_PNSL_ISQ_E10value_typeET4_jRbjT5_SW_jjP12ihipStream_tbEUlT_E2_NS1_11comp_targetILNS1_3genE8ELNS1_11target_archE1030ELNS1_3gpuE2ELNS1_3repE0EEENS1_30default_config_static_selectorELNS0_4arch9wavefront6targetE0EEEvSK_.uses_flat_scratch, 0
	.set _ZN7rocprim17ROCPRIM_400000_NS6detail17trampoline_kernelINS0_14default_configENS1_36segmented_radix_sort_config_selectorIflEEZNS1_25segmented_radix_sort_implIS3_Lb0EPKfPfPKlPlN2at6native12_GLOBAL__N_18offset_tEEE10hipError_tPvRmT1_PNSt15iterator_traitsISK_E10value_typeET2_T3_PNSL_ISQ_E10value_typeET4_jRbjT5_SW_jjP12ihipStream_tbEUlT_E2_NS1_11comp_targetILNS1_3genE8ELNS1_11target_archE1030ELNS1_3gpuE2ELNS1_3repE0EEENS1_30default_config_static_selectorELNS0_4arch9wavefront6targetE0EEEvSK_.has_dyn_sized_stack, 0
	.set _ZN7rocprim17ROCPRIM_400000_NS6detail17trampoline_kernelINS0_14default_configENS1_36segmented_radix_sort_config_selectorIflEEZNS1_25segmented_radix_sort_implIS3_Lb0EPKfPfPKlPlN2at6native12_GLOBAL__N_18offset_tEEE10hipError_tPvRmT1_PNSt15iterator_traitsISK_E10value_typeET2_T3_PNSL_ISQ_E10value_typeET4_jRbjT5_SW_jjP12ihipStream_tbEUlT_E2_NS1_11comp_targetILNS1_3genE8ELNS1_11target_archE1030ELNS1_3gpuE2ELNS1_3repE0EEENS1_30default_config_static_selectorELNS0_4arch9wavefront6targetE0EEEvSK_.has_recursion, 0
	.set _ZN7rocprim17ROCPRIM_400000_NS6detail17trampoline_kernelINS0_14default_configENS1_36segmented_radix_sort_config_selectorIflEEZNS1_25segmented_radix_sort_implIS3_Lb0EPKfPfPKlPlN2at6native12_GLOBAL__N_18offset_tEEE10hipError_tPvRmT1_PNSt15iterator_traitsISK_E10value_typeET2_T3_PNSL_ISQ_E10value_typeET4_jRbjT5_SW_jjP12ihipStream_tbEUlT_E2_NS1_11comp_targetILNS1_3genE8ELNS1_11target_archE1030ELNS1_3gpuE2ELNS1_3repE0EEENS1_30default_config_static_selectorELNS0_4arch9wavefront6targetE0EEEvSK_.has_indirect_call, 0
	.section	.AMDGPU.csdata,"",@progbits
; Kernel info:
; codeLenInByte = 0
; TotalNumSgprs: 0
; NumVgprs: 0
; ScratchSize: 0
; MemoryBound: 0
; FloatMode: 240
; IeeeMode: 1
; LDSByteSize: 0 bytes/workgroup (compile time only)
; SGPRBlocks: 0
; VGPRBlocks: 0
; NumSGPRsForWavesPerEU: 1
; NumVGPRsForWavesPerEU: 1
; NamedBarCnt: 0
; Occupancy: 16
; WaveLimiterHint : 0
; COMPUTE_PGM_RSRC2:SCRATCH_EN: 0
; COMPUTE_PGM_RSRC2:USER_SGPR: 2
; COMPUTE_PGM_RSRC2:TRAP_HANDLER: 0
; COMPUTE_PGM_RSRC2:TGID_X_EN: 1
; COMPUTE_PGM_RSRC2:TGID_Y_EN: 0
; COMPUTE_PGM_RSRC2:TGID_Z_EN: 0
; COMPUTE_PGM_RSRC2:TIDIG_COMP_CNT: 0
	.section	.text._ZN2at6native12_GLOBAL__N_123sort_postprocess_kernelIbEEvPKT_PS3_PlPK15HIP_vector_typeIiLj2EEii,"axG",@progbits,_ZN2at6native12_GLOBAL__N_123sort_postprocess_kernelIbEEvPKT_PS3_PlPK15HIP_vector_typeIiLj2EEii,comdat
	.globl	_ZN2at6native12_GLOBAL__N_123sort_postprocess_kernelIbEEvPKT_PS3_PlPK15HIP_vector_typeIiLj2EEii ; -- Begin function _ZN2at6native12_GLOBAL__N_123sort_postprocess_kernelIbEEvPKT_PS3_PlPK15HIP_vector_typeIiLj2EEii
	.p2align	8
	.type	_ZN2at6native12_GLOBAL__N_123sort_postprocess_kernelIbEEvPKT_PS3_PlPK15HIP_vector_typeIiLj2EEii,@function
_ZN2at6native12_GLOBAL__N_123sort_postprocess_kernelIbEEvPKT_PS3_PlPK15HIP_vector_typeIiLj2EEii: ; @_ZN2at6native12_GLOBAL__N_123sort_postprocess_kernelIbEEvPKT_PS3_PlPK15HIP_vector_typeIiLj2EEii
; %bb.0:
	s_clause 0x1
	s_load_b32 s2, s[0:1], 0x34
	s_load_b64 s[4:5], s[0:1], 0x20
	s_bfe_u32 s7, ttmp6, 0x4000c
	s_and_b32 s6, ttmp6, 15
	s_add_co_i32 s7, s7, 1
	s_getreg_b32 s8, hwreg(HW_REG_IB_STS2, 6, 4)
	s_mul_i32 s7, ttmp9, s7
	s_mov_b32 s3, 0
	s_add_co_i32 s6, s6, s7
	s_cmp_eq_u32 s8, 0
	v_mov_b32_e32 v1, 0
	s_mov_b32 s19, s3
	s_cselect_b32 s18, ttmp9, s6
	s_mov_b32 s17, s3
	s_wait_kmcnt 0x0
	s_and_b32 s16, s2, 0xffff
	s_mul_i32 s14, s5, s4
	s_mul_u64 s[12:13], s[16:17], s[18:19]
	s_ashr_i32 s15, s14, 31
	v_add_nc_u64_e32 v[2:3], s[12:13], v[0:1]
	s_mov_b32 s2, exec_lo
	s_delay_alu instid0(VALU_DEP_1)
	v_cmpx_gt_i64_e64 s[14:15], v[2:3]
	s_cbranch_execz .LBB1459_3
; %bb.1:
	s_abs_i32 s17, s5
	s_add_nc_u64 s[20:21], s[0:1], 40
	s_cvt_f32_u32 s2, s17
	s_sub_co_i32 s19, 0, s17
	s_mul_i32 s18, s18, s16
	s_delay_alu instid0(SALU_CYCLE_1)
	v_rcp_iflag_f32_e32 v2, s2
	s_load_b32 s2, s[20:21], 0x0
	s_load_b256 s[4:11], s[0:1], 0x0
	s_wait_xcnt 0x0
	s_mov_b32 s1, s3
	v_nop
	s_delay_alu instid0(TRANS32_DEP_1) | instskip(SKIP_2) | instid1(SALU_CYCLE_3)
	v_readfirstlane_b32 s0, v2
	v_mov_b64_e32 v[2:3], v[0:1]
	s_mul_f32 s0, s0, 0x4f7ffffe
	s_cvt_u32_f32 s0, s0
	s_wait_kmcnt 0x0
	s_mul_i32 s2, s2, s16
	s_delay_alu instid0(SALU_CYCLE_1) | instskip(SKIP_2) | instid1(SALU_CYCLE_1)
	s_mul_i32 s19, s19, s0
	s_mov_b32 s16, s3
	s_mul_hi_u32 s19, s0, s19
	s_add_co_i32 s0, s0, s19
.LBB1459_2:                             ; =>This Inner Loop Header: Depth=1
	v_add_nc_u32_e32 v6, s18, v2
	v_add_nc_u64_e32 v[2:3], s[2:3], v[2:3]
	s_delay_alu instid0(VALU_DEP_2) | instskip(NEXT) | instid1(VALU_DEP_1)
	v_sub_nc_u32_e32 v0, 0, v6
	v_max_i32_e32 v0, v6, v0
	s_delay_alu instid0(VALU_DEP_1) | instskip(NEXT) | instid1(VALU_DEP_1)
	v_mul_u64_e32 v[4:5], s[0:1], v[0:1]
	v_mul_lo_u32 v4, v5, s17
	s_delay_alu instid0(VALU_DEP_1) | instskip(NEXT) | instid1(VALU_DEP_1)
	v_dual_sub_nc_u32 v0, v0, v4 :: v_dual_ashrrev_i32 v7, 31, v6
	v_subrev_nc_u32_e32 v4, s17, v0
	v_cmp_le_u32_e32 vcc_lo, s17, v0
	s_delay_alu instid0(VALU_DEP_2) | instskip(NEXT) | instid1(VALU_DEP_1)
	v_cndmask_b32_e32 v0, v0, v4, vcc_lo
	v_subrev_nc_u32_e32 v4, s17, v0
	v_cmp_le_u32_e32 vcc_lo, s17, v0
	s_delay_alu instid0(VALU_DEP_2) | instskip(NEXT) | instid1(VALU_DEP_1)
	v_dual_cndmask_b32 v0, v0, v4, vcc_lo :: v_dual_add_nc_u32 v4, v6, v7
	v_xor_b32_e32 v0, v0, v7
	s_delay_alu instid0(VALU_DEP_1) | instskip(NEXT) | instid1(VALU_DEP_1)
	v_sub_nc_u32_e32 v4, v4, v0
	v_dual_sub_nc_u32 v6, v0, v7 :: v_dual_ashrrev_i32 v5, 31, v4
	s_delay_alu instid0(VALU_DEP_1) | instskip(NEXT) | instid1(VALU_DEP_2)
	v_ashrrev_i32_e32 v7, 31, v6
	v_lshlrev_b64_e32 v[8:9], 3, v[4:5]
	s_delay_alu instid0(VALU_DEP_2) | instskip(SKIP_2) | instid1(VALU_DEP_4)
	v_lshlrev_b64_e32 v[10:11], 3, v[6:7]
	v_add_nc_u64_e32 v[14:15], s[4:5], v[4:5]
	v_add_nc_u64_e32 v[4:5], s[6:7], v[4:5]
	;; [unrolled: 1-line block ×4, first 2 shown]
	s_delay_alu instid0(VALU_DEP_3) | instskip(NEXT) | instid1(VALU_DEP_3)
	v_add_nc_u64_e32 v[4:5], v[4:5], v[6:7]
	v_add_nc_u64_e32 v[12:13], v[12:13], v[10:11]
	s_delay_alu instid0(VALU_DEP_3) | instskip(SKIP_4) | instid1(VALU_DEP_1)
	v_add_nc_u64_e32 v[6:7], v[8:9], v[10:11]
	global_load_b32 v12, v[12:13], off offset:4
	s_wait_loadcnt 0x0
	s_wait_xcnt 0x0
	v_ashrrev_i32_e32 v13, 31, v12
	v_add_nc_u64_e32 v[14:15], v[14:15], v[12:13]
	global_load_u8 v0, v[14:15], off
	s_wait_xcnt 0x0
	v_add_nc_u64_e32 v[14:15], s[12:13], v[2:3]
	global_store_b64 v[6:7], v[12:13], off
	s_wait_loadcnt 0x0
	global_store_b8 v[4:5], v0, off
	v_cmp_le_i64_e32 vcc_lo, s[14:15], v[14:15]
	s_or_b32 s16, vcc_lo, s16
	s_wait_xcnt 0x0
	s_and_not1_b32 exec_lo, exec_lo, s16
	s_cbranch_execnz .LBB1459_2
.LBB1459_3:
	s_endpgm
	.section	.rodata,"a",@progbits
	.p2align	6, 0x0
	.amdhsa_kernel _ZN2at6native12_GLOBAL__N_123sort_postprocess_kernelIbEEvPKT_PS3_PlPK15HIP_vector_typeIiLj2EEii
		.amdhsa_group_segment_fixed_size 0
		.amdhsa_private_segment_fixed_size 0
		.amdhsa_kernarg_size 296
		.amdhsa_user_sgpr_count 2
		.amdhsa_user_sgpr_dispatch_ptr 0
		.amdhsa_user_sgpr_queue_ptr 0
		.amdhsa_user_sgpr_kernarg_segment_ptr 1
		.amdhsa_user_sgpr_dispatch_id 0
		.amdhsa_user_sgpr_kernarg_preload_length 0
		.amdhsa_user_sgpr_kernarg_preload_offset 0
		.amdhsa_user_sgpr_private_segment_size 0
		.amdhsa_wavefront_size32 1
		.amdhsa_uses_dynamic_stack 0
		.amdhsa_enable_private_segment 0
		.amdhsa_system_sgpr_workgroup_id_x 1
		.amdhsa_system_sgpr_workgroup_id_y 0
		.amdhsa_system_sgpr_workgroup_id_z 0
		.amdhsa_system_sgpr_workgroup_info 0
		.amdhsa_system_vgpr_workitem_id 0
		.amdhsa_next_free_vgpr 16
		.amdhsa_next_free_sgpr 22
		.amdhsa_named_barrier_count 0
		.amdhsa_reserve_vcc 1
		.amdhsa_float_round_mode_32 0
		.amdhsa_float_round_mode_16_64 0
		.amdhsa_float_denorm_mode_32 3
		.amdhsa_float_denorm_mode_16_64 3
		.amdhsa_fp16_overflow 0
		.amdhsa_memory_ordered 1
		.amdhsa_forward_progress 1
		.amdhsa_inst_pref_size 4
		.amdhsa_round_robin_scheduling 0
		.amdhsa_exception_fp_ieee_invalid_op 0
		.amdhsa_exception_fp_denorm_src 0
		.amdhsa_exception_fp_ieee_div_zero 0
		.amdhsa_exception_fp_ieee_overflow 0
		.amdhsa_exception_fp_ieee_underflow 0
		.amdhsa_exception_fp_ieee_inexact 0
		.amdhsa_exception_int_div_zero 0
	.end_amdhsa_kernel
	.section	.text._ZN2at6native12_GLOBAL__N_123sort_postprocess_kernelIbEEvPKT_PS3_PlPK15HIP_vector_typeIiLj2EEii,"axG",@progbits,_ZN2at6native12_GLOBAL__N_123sort_postprocess_kernelIbEEvPKT_PS3_PlPK15HIP_vector_typeIiLj2EEii,comdat
.Lfunc_end1459:
	.size	_ZN2at6native12_GLOBAL__N_123sort_postprocess_kernelIbEEvPKT_PS3_PlPK15HIP_vector_typeIiLj2EEii, .Lfunc_end1459-_ZN2at6native12_GLOBAL__N_123sort_postprocess_kernelIbEEvPKT_PS3_PlPK15HIP_vector_typeIiLj2EEii
                                        ; -- End function
	.set _ZN2at6native12_GLOBAL__N_123sort_postprocess_kernelIbEEvPKT_PS3_PlPK15HIP_vector_typeIiLj2EEii.num_vgpr, 16
	.set _ZN2at6native12_GLOBAL__N_123sort_postprocess_kernelIbEEvPKT_PS3_PlPK15HIP_vector_typeIiLj2EEii.num_agpr, 0
	.set _ZN2at6native12_GLOBAL__N_123sort_postprocess_kernelIbEEvPKT_PS3_PlPK15HIP_vector_typeIiLj2EEii.numbered_sgpr, 22
	.set _ZN2at6native12_GLOBAL__N_123sort_postprocess_kernelIbEEvPKT_PS3_PlPK15HIP_vector_typeIiLj2EEii.num_named_barrier, 0
	.set _ZN2at6native12_GLOBAL__N_123sort_postprocess_kernelIbEEvPKT_PS3_PlPK15HIP_vector_typeIiLj2EEii.private_seg_size, 0
	.set _ZN2at6native12_GLOBAL__N_123sort_postprocess_kernelIbEEvPKT_PS3_PlPK15HIP_vector_typeIiLj2EEii.uses_vcc, 1
	.set _ZN2at6native12_GLOBAL__N_123sort_postprocess_kernelIbEEvPKT_PS3_PlPK15HIP_vector_typeIiLj2EEii.uses_flat_scratch, 0
	.set _ZN2at6native12_GLOBAL__N_123sort_postprocess_kernelIbEEvPKT_PS3_PlPK15HIP_vector_typeIiLj2EEii.has_dyn_sized_stack, 0
	.set _ZN2at6native12_GLOBAL__N_123sort_postprocess_kernelIbEEvPKT_PS3_PlPK15HIP_vector_typeIiLj2EEii.has_recursion, 0
	.set _ZN2at6native12_GLOBAL__N_123sort_postprocess_kernelIbEEvPKT_PS3_PlPK15HIP_vector_typeIiLj2EEii.has_indirect_call, 0
	.section	.AMDGPU.csdata,"",@progbits
; Kernel info:
; codeLenInByte = 500
; TotalNumSgprs: 24
; NumVgprs: 16
; ScratchSize: 0
; MemoryBound: 0
; FloatMode: 240
; IeeeMode: 1
; LDSByteSize: 0 bytes/workgroup (compile time only)
; SGPRBlocks: 0
; VGPRBlocks: 0
; NumSGPRsForWavesPerEU: 24
; NumVGPRsForWavesPerEU: 16
; NamedBarCnt: 0
; Occupancy: 16
; WaveLimiterHint : 1
; COMPUTE_PGM_RSRC2:SCRATCH_EN: 0
; COMPUTE_PGM_RSRC2:USER_SGPR: 2
; COMPUTE_PGM_RSRC2:TRAP_HANDLER: 0
; COMPUTE_PGM_RSRC2:TGID_X_EN: 1
; COMPUTE_PGM_RSRC2:TGID_Y_EN: 0
; COMPUTE_PGM_RSRC2:TGID_Z_EN: 0
; COMPUTE_PGM_RSRC2:TIDIG_COMP_CNT: 0
	.section	.text._ZN7rocprim17ROCPRIM_400000_NS6detail17trampoline_kernelINS0_13select_configILj256ELj13ELNS0_17block_load_methodE3ELS4_3ELS4_3ELNS0_20block_scan_algorithmE0ELj4294967295EEENS1_25partition_config_selectorILNS1_17partition_subalgoE4EjNS0_10empty_typeEbEEZZNS1_14partition_implILS8_4ELb0ES6_15HIP_vector_typeIjLj2EENS0_17counting_iteratorIjlEEPS9_SG_NS0_5tupleIJPjSI_NS0_16reverse_iteratorISI_EEEEENSH_IJSG_SG_SG_EEES9_SI_JZNS1_25segmented_radix_sort_implINS0_14default_configELb1EPKbPbPKlPlN2at6native12_GLOBAL__N_18offset_tEEE10hipError_tPvRmT1_PNSt15iterator_traitsIS12_E10value_typeET2_T3_PNS13_IS18_E10value_typeET4_jRbjT5_S1E_jjP12ihipStream_tbEUljE_ZNSN_ISO_Lb1ESQ_SR_ST_SU_SY_EESZ_S10_S11_S12_S16_S17_S18_S1B_S1C_jS1D_jS1E_S1E_jjS1G_bEUljE0_EEESZ_S10_S11_S18_S1C_S1E_T6_T7_T9_mT8_S1G_bDpT10_ENKUlT_T0_E_clISt17integral_constantIbLb0EES1U_EEDaS1P_S1Q_EUlS1P_E_NS1_11comp_targetILNS1_3genE0ELNS1_11target_archE4294967295ELNS1_3gpuE0ELNS1_3repE0EEENS1_30default_config_static_selectorELNS0_4arch9wavefront6targetE0EEEvS12_,"axG",@progbits,_ZN7rocprim17ROCPRIM_400000_NS6detail17trampoline_kernelINS0_13select_configILj256ELj13ELNS0_17block_load_methodE3ELS4_3ELS4_3ELNS0_20block_scan_algorithmE0ELj4294967295EEENS1_25partition_config_selectorILNS1_17partition_subalgoE4EjNS0_10empty_typeEbEEZZNS1_14partition_implILS8_4ELb0ES6_15HIP_vector_typeIjLj2EENS0_17counting_iteratorIjlEEPS9_SG_NS0_5tupleIJPjSI_NS0_16reverse_iteratorISI_EEEEENSH_IJSG_SG_SG_EEES9_SI_JZNS1_25segmented_radix_sort_implINS0_14default_configELb1EPKbPbPKlPlN2at6native12_GLOBAL__N_18offset_tEEE10hipError_tPvRmT1_PNSt15iterator_traitsIS12_E10value_typeET2_T3_PNS13_IS18_E10value_typeET4_jRbjT5_S1E_jjP12ihipStream_tbEUljE_ZNSN_ISO_Lb1ESQ_SR_ST_SU_SY_EESZ_S10_S11_S12_S16_S17_S18_S1B_S1C_jS1D_jS1E_S1E_jjS1G_bEUljE0_EEESZ_S10_S11_S18_S1C_S1E_T6_T7_T9_mT8_S1G_bDpT10_ENKUlT_T0_E_clISt17integral_constantIbLb0EES1U_EEDaS1P_S1Q_EUlS1P_E_NS1_11comp_targetILNS1_3genE0ELNS1_11target_archE4294967295ELNS1_3gpuE0ELNS1_3repE0EEENS1_30default_config_static_selectorELNS0_4arch9wavefront6targetE0EEEvS12_,comdat
	.globl	_ZN7rocprim17ROCPRIM_400000_NS6detail17trampoline_kernelINS0_13select_configILj256ELj13ELNS0_17block_load_methodE3ELS4_3ELS4_3ELNS0_20block_scan_algorithmE0ELj4294967295EEENS1_25partition_config_selectorILNS1_17partition_subalgoE4EjNS0_10empty_typeEbEEZZNS1_14partition_implILS8_4ELb0ES6_15HIP_vector_typeIjLj2EENS0_17counting_iteratorIjlEEPS9_SG_NS0_5tupleIJPjSI_NS0_16reverse_iteratorISI_EEEEENSH_IJSG_SG_SG_EEES9_SI_JZNS1_25segmented_radix_sort_implINS0_14default_configELb1EPKbPbPKlPlN2at6native12_GLOBAL__N_18offset_tEEE10hipError_tPvRmT1_PNSt15iterator_traitsIS12_E10value_typeET2_T3_PNS13_IS18_E10value_typeET4_jRbjT5_S1E_jjP12ihipStream_tbEUljE_ZNSN_ISO_Lb1ESQ_SR_ST_SU_SY_EESZ_S10_S11_S12_S16_S17_S18_S1B_S1C_jS1D_jS1E_S1E_jjS1G_bEUljE0_EEESZ_S10_S11_S18_S1C_S1E_T6_T7_T9_mT8_S1G_bDpT10_ENKUlT_T0_E_clISt17integral_constantIbLb0EES1U_EEDaS1P_S1Q_EUlS1P_E_NS1_11comp_targetILNS1_3genE0ELNS1_11target_archE4294967295ELNS1_3gpuE0ELNS1_3repE0EEENS1_30default_config_static_selectorELNS0_4arch9wavefront6targetE0EEEvS12_ ; -- Begin function _ZN7rocprim17ROCPRIM_400000_NS6detail17trampoline_kernelINS0_13select_configILj256ELj13ELNS0_17block_load_methodE3ELS4_3ELS4_3ELNS0_20block_scan_algorithmE0ELj4294967295EEENS1_25partition_config_selectorILNS1_17partition_subalgoE4EjNS0_10empty_typeEbEEZZNS1_14partition_implILS8_4ELb0ES6_15HIP_vector_typeIjLj2EENS0_17counting_iteratorIjlEEPS9_SG_NS0_5tupleIJPjSI_NS0_16reverse_iteratorISI_EEEEENSH_IJSG_SG_SG_EEES9_SI_JZNS1_25segmented_radix_sort_implINS0_14default_configELb1EPKbPbPKlPlN2at6native12_GLOBAL__N_18offset_tEEE10hipError_tPvRmT1_PNSt15iterator_traitsIS12_E10value_typeET2_T3_PNS13_IS18_E10value_typeET4_jRbjT5_S1E_jjP12ihipStream_tbEUljE_ZNSN_ISO_Lb1ESQ_SR_ST_SU_SY_EESZ_S10_S11_S12_S16_S17_S18_S1B_S1C_jS1D_jS1E_S1E_jjS1G_bEUljE0_EEESZ_S10_S11_S18_S1C_S1E_T6_T7_T9_mT8_S1G_bDpT10_ENKUlT_T0_E_clISt17integral_constantIbLb0EES1U_EEDaS1P_S1Q_EUlS1P_E_NS1_11comp_targetILNS1_3genE0ELNS1_11target_archE4294967295ELNS1_3gpuE0ELNS1_3repE0EEENS1_30default_config_static_selectorELNS0_4arch9wavefront6targetE0EEEvS12_
	.p2align	8
	.type	_ZN7rocprim17ROCPRIM_400000_NS6detail17trampoline_kernelINS0_13select_configILj256ELj13ELNS0_17block_load_methodE3ELS4_3ELS4_3ELNS0_20block_scan_algorithmE0ELj4294967295EEENS1_25partition_config_selectorILNS1_17partition_subalgoE4EjNS0_10empty_typeEbEEZZNS1_14partition_implILS8_4ELb0ES6_15HIP_vector_typeIjLj2EENS0_17counting_iteratorIjlEEPS9_SG_NS0_5tupleIJPjSI_NS0_16reverse_iteratorISI_EEEEENSH_IJSG_SG_SG_EEES9_SI_JZNS1_25segmented_radix_sort_implINS0_14default_configELb1EPKbPbPKlPlN2at6native12_GLOBAL__N_18offset_tEEE10hipError_tPvRmT1_PNSt15iterator_traitsIS12_E10value_typeET2_T3_PNS13_IS18_E10value_typeET4_jRbjT5_S1E_jjP12ihipStream_tbEUljE_ZNSN_ISO_Lb1ESQ_SR_ST_SU_SY_EESZ_S10_S11_S12_S16_S17_S18_S1B_S1C_jS1D_jS1E_S1E_jjS1G_bEUljE0_EEESZ_S10_S11_S18_S1C_S1E_T6_T7_T9_mT8_S1G_bDpT10_ENKUlT_T0_E_clISt17integral_constantIbLb0EES1U_EEDaS1P_S1Q_EUlS1P_E_NS1_11comp_targetILNS1_3genE0ELNS1_11target_archE4294967295ELNS1_3gpuE0ELNS1_3repE0EEENS1_30default_config_static_selectorELNS0_4arch9wavefront6targetE0EEEvS12_,@function
_ZN7rocprim17ROCPRIM_400000_NS6detail17trampoline_kernelINS0_13select_configILj256ELj13ELNS0_17block_load_methodE3ELS4_3ELS4_3ELNS0_20block_scan_algorithmE0ELj4294967295EEENS1_25partition_config_selectorILNS1_17partition_subalgoE4EjNS0_10empty_typeEbEEZZNS1_14partition_implILS8_4ELb0ES6_15HIP_vector_typeIjLj2EENS0_17counting_iteratorIjlEEPS9_SG_NS0_5tupleIJPjSI_NS0_16reverse_iteratorISI_EEEEENSH_IJSG_SG_SG_EEES9_SI_JZNS1_25segmented_radix_sort_implINS0_14default_configELb1EPKbPbPKlPlN2at6native12_GLOBAL__N_18offset_tEEE10hipError_tPvRmT1_PNSt15iterator_traitsIS12_E10value_typeET2_T3_PNS13_IS18_E10value_typeET4_jRbjT5_S1E_jjP12ihipStream_tbEUljE_ZNSN_ISO_Lb1ESQ_SR_ST_SU_SY_EESZ_S10_S11_S12_S16_S17_S18_S1B_S1C_jS1D_jS1E_S1E_jjS1G_bEUljE0_EEESZ_S10_S11_S18_S1C_S1E_T6_T7_T9_mT8_S1G_bDpT10_ENKUlT_T0_E_clISt17integral_constantIbLb0EES1U_EEDaS1P_S1Q_EUlS1P_E_NS1_11comp_targetILNS1_3genE0ELNS1_11target_archE4294967295ELNS1_3gpuE0ELNS1_3repE0EEENS1_30default_config_static_selectorELNS0_4arch9wavefront6targetE0EEEvS12_: ; @_ZN7rocprim17ROCPRIM_400000_NS6detail17trampoline_kernelINS0_13select_configILj256ELj13ELNS0_17block_load_methodE3ELS4_3ELS4_3ELNS0_20block_scan_algorithmE0ELj4294967295EEENS1_25partition_config_selectorILNS1_17partition_subalgoE4EjNS0_10empty_typeEbEEZZNS1_14partition_implILS8_4ELb0ES6_15HIP_vector_typeIjLj2EENS0_17counting_iteratorIjlEEPS9_SG_NS0_5tupleIJPjSI_NS0_16reverse_iteratorISI_EEEEENSH_IJSG_SG_SG_EEES9_SI_JZNS1_25segmented_radix_sort_implINS0_14default_configELb1EPKbPbPKlPlN2at6native12_GLOBAL__N_18offset_tEEE10hipError_tPvRmT1_PNSt15iterator_traitsIS12_E10value_typeET2_T3_PNS13_IS18_E10value_typeET4_jRbjT5_S1E_jjP12ihipStream_tbEUljE_ZNSN_ISO_Lb1ESQ_SR_ST_SU_SY_EESZ_S10_S11_S12_S16_S17_S18_S1B_S1C_jS1D_jS1E_S1E_jjS1G_bEUljE0_EEESZ_S10_S11_S18_S1C_S1E_T6_T7_T9_mT8_S1G_bDpT10_ENKUlT_T0_E_clISt17integral_constantIbLb0EES1U_EEDaS1P_S1Q_EUlS1P_E_NS1_11comp_targetILNS1_3genE0ELNS1_11target_archE4294967295ELNS1_3gpuE0ELNS1_3repE0EEENS1_30default_config_static_selectorELNS0_4arch9wavefront6targetE0EEEvS12_
; %bb.0:
	s_clause 0x4
	s_load_b128 s[24:27], s[0:1], 0x58
	s_load_b32 s4, s[0:1], 0x80
	s_load_b64 s[34:35], s[0:1], 0x10
	s_load_b64 s[2:3], s[0:1], 0x68
	s_load_b32 s8, s[0:1], 0x8
	s_bfe_u32 s5, ttmp6, 0x4000c
	s_and_b32 s6, ttmp6, 15
	s_add_co_i32 s5, s5, 1
	s_getreg_b32 s7, hwreg(HW_REG_IB_STS2, 6, 4)
	s_mul_i32 s5, ttmp9, s5
	s_load_b64 s[42:43], s[0:1], 0xa8
	s_add_co_i32 s6, s6, s5
	s_cmp_eq_u32 s7, 0
	s_load_b256 s[16:23], s[0:1], 0x88
	s_cselect_b32 s33, ttmp9, s6
	s_mov_b32 s5, 0
	s_mul_i32 s40, s33, 0xd00
	s_wait_kmcnt 0x0
	s_add_co_i32 s9, s4, -1
	s_mulk_i32 s4, 0xd00
	s_load_b128 s[28:31], s[26:27], 0x0
	s_cmp_eq_u32 s33, s9
	s_add_nc_u64 s[6:7], s[34:35], s[4:5]
	s_cselect_b32 s15, -1, 0
	s_cmp_lg_u32 s33, s9
	v_cmp_gt_u64_e64 s3, s[2:3], s[6:7]
	s_cselect_b32 s5, -1, 0
	s_add_co_i32 s6, s8, s40
	s_delay_alu instid0(SALU_CYCLE_1) | instskip(NEXT) | instid1(SALU_CYCLE_1)
	s_add_co_i32 s6, s6, s34
	v_add_nc_u32_e32 v1, s6, v0
	s_or_b32 s3, s5, s3
	s_mov_b32 s5, -1
	s_and_b32 vcc_lo, exec_lo, s3
	s_delay_alu instid0(VALU_DEP_1)
	v_add_nc_u32_e32 v2, 0x100, v1
	v_add_nc_u32_e32 v3, 0x200, v1
	;; [unrolled: 1-line block ×12, first 2 shown]
	s_cbranch_vccz .LBB1460_2
; %bb.1:
	v_lshlrev_b32_e32 v14, 2, v0
	s_mov_b32 s5, 0
	ds_store_2addr_stride64_b32 v14, v1, v2 offset1:4
	ds_store_2addr_stride64_b32 v14, v3, v4 offset0:8 offset1:12
	ds_store_2addr_stride64_b32 v14, v5, v6 offset0:16 offset1:20
	;; [unrolled: 1-line block ×5, first 2 shown]
	ds_store_b32 v14, v13 offset:12288
	s_wait_dscnt 0x0
	s_barrier_signal -1
	s_barrier_wait -1
.LBB1460_2:
	s_and_not1_b32 vcc_lo, exec_lo, s5
	s_add_co_i32 s4, s4, s34
	s_cbranch_vccnz .LBB1460_4
; %bb.3:
	v_lshlrev_b32_e32 v14, 2, v0
	ds_store_2addr_stride64_b32 v14, v1, v2 offset1:4
	ds_store_2addr_stride64_b32 v14, v3, v4 offset0:8 offset1:12
	ds_store_2addr_stride64_b32 v14, v5, v6 offset0:16 offset1:20
	;; [unrolled: 1-line block ×5, first 2 shown]
	ds_store_b32 v14, v13 offset:12288
	s_wait_dscnt 0x0
	s_barrier_signal -1
	s_barrier_wait -1
.LBB1460_4:
	v_mul_u32_u24_e32 v30, 13, v0
	s_load_b128 s[36:39], s[0:1], 0x28
	s_wait_xcnt 0x0
	s_load_b64 s[26:27], s[0:1], 0x38
	v_cndmask_b32_e64 v29, 0, 1, s3
	s_sub_co_i32 s41, s2, s4
	v_lshlrev_b32_e32 v1, 2, v30
	s_and_not1_b32 vcc_lo, exec_lo, s3
	ds_load_b32 v28, v1 offset:48
	ds_load_2addr_b32 v[10:11], v1 offset0:10 offset1:11
	ds_load_2addr_b32 v[12:13], v1 offset0:8 offset1:9
	;; [unrolled: 1-line block ×4, first 2 shown]
	ds_load_2addr_b32 v[20:21], v1 offset1:1
	ds_load_2addr_b32 v[18:19], v1 offset0:2 offset1:3
	s_wait_dscnt 0x0
	s_barrier_signal -1
	s_barrier_wait -1
	s_cbranch_vccnz .LBB1460_32
; %bb.5:
	v_dual_add_nc_u32 v1, s17, v20 :: v_dual_add_nc_u32 v2, s19, v20
	s_mov_b32 s45, 0
	s_mov_b32 s44, 0
	s_mov_b32 s3, exec_lo
	s_delay_alu instid0(VALU_DEP_1) | instskip(SKIP_1) | instid1(VALU_DEP_1)
	v_mul_lo_u32 v1, v1, s16
	v_mul_lo_u32 v2, v2, s18
	v_sub_nc_u32_e32 v1, v1, v2
	s_delay_alu instid0(VALU_DEP_1)
	v_cmp_lt_u32_e32 vcc_lo, s20, v1
	v_cmpx_ge_u32_e64 s20, v1
	s_cbranch_execz .LBB1460_7
; %bb.6:
	v_dual_add_nc_u32 v1, s22, v20 :: v_dual_add_nc_u32 v2, s42, v20
	s_delay_alu instid0(VALU_DEP_1) | instskip(NEXT) | instid1(VALU_DEP_2)
	v_mul_lo_u32 v1, v1, s21
	v_mul_lo_u32 v2, v2, s23
	s_delay_alu instid0(VALU_DEP_1) | instskip(NEXT) | instid1(VALU_DEP_1)
	v_sub_nc_u32_e32 v1, v1, v2
	v_cmp_lt_u32_e64 s2, s43, v1
	s_and_b32 s44, s2, exec_lo
.LBB1460_7:
	s_or_b32 exec_lo, exec_lo, s3
	v_dual_add_nc_u32 v1, s17, v21 :: v_dual_add_nc_u32 v2, s19, v21
	s_mov_b32 s4, exec_lo
	s_delay_alu instid0(VALU_DEP_1) | instskip(NEXT) | instid1(VALU_DEP_2)
	v_mul_lo_u32 v1, v1, s16
	v_mul_lo_u32 v2, v2, s18
	s_delay_alu instid0(VALU_DEP_1) | instskip(NEXT) | instid1(VALU_DEP_1)
	v_sub_nc_u32_e32 v1, v1, v2
	v_cmp_lt_u32_e64 s2, s20, v1
	v_cmpx_ge_u32_e64 s20, v1
	s_cbranch_execz .LBB1460_9
; %bb.8:
	v_dual_add_nc_u32 v1, s22, v21 :: v_dual_add_nc_u32 v2, s42, v21
	s_delay_alu instid0(VALU_DEP_1) | instskip(NEXT) | instid1(VALU_DEP_2)
	v_mul_lo_u32 v1, v1, s21
	v_mul_lo_u32 v2, v2, s23
	s_delay_alu instid0(VALU_DEP_1) | instskip(NEXT) | instid1(VALU_DEP_1)
	v_sub_nc_u32_e32 v1, v1, v2
	v_cmp_lt_u32_e64 s3, s43, v1
	s_and_b32 s45, s3, exec_lo
.LBB1460_9:
	s_or_b32 exec_lo, exec_lo, s4
	v_dual_add_nc_u32 v1, s17, v18 :: v_dual_add_nc_u32 v2, s19, v18
	s_mov_b32 s47, 0
	s_mov_b32 s46, 0
	s_mov_b32 s5, exec_lo
	s_delay_alu instid0(VALU_DEP_1) | instskip(SKIP_1) | instid1(VALU_DEP_1)
	v_mul_lo_u32 v1, v1, s16
	v_mul_lo_u32 v2, v2, s18
	v_sub_nc_u32_e32 v1, v1, v2
	s_delay_alu instid0(VALU_DEP_1)
	v_cmp_lt_u32_e64 s3, s20, v1
	v_cmpx_ge_u32_e64 s20, v1
	s_cbranch_execz .LBB1460_11
; %bb.10:
	v_dual_add_nc_u32 v1, s22, v18 :: v_dual_add_nc_u32 v2, s42, v18
	s_delay_alu instid0(VALU_DEP_1) | instskip(NEXT) | instid1(VALU_DEP_2)
	v_mul_lo_u32 v1, v1, s21
	v_mul_lo_u32 v2, v2, s23
	s_delay_alu instid0(VALU_DEP_1) | instskip(NEXT) | instid1(VALU_DEP_1)
	v_sub_nc_u32_e32 v1, v1, v2
	v_cmp_lt_u32_e64 s4, s43, v1
	s_and_b32 s46, s4, exec_lo
.LBB1460_11:
	s_or_b32 exec_lo, exec_lo, s5
	v_dual_add_nc_u32 v1, s17, v19 :: v_dual_add_nc_u32 v2, s19, v19
	s_mov_b32 s6, exec_lo
	s_delay_alu instid0(VALU_DEP_1) | instskip(NEXT) | instid1(VALU_DEP_2)
	v_mul_lo_u32 v1, v1, s16
	v_mul_lo_u32 v2, v2, s18
	s_delay_alu instid0(VALU_DEP_1) | instskip(NEXT) | instid1(VALU_DEP_1)
	v_sub_nc_u32_e32 v1, v1, v2
	v_cmp_lt_u32_e64 s4, s20, v1
	v_cmpx_ge_u32_e64 s20, v1
	s_cbranch_execz .LBB1460_13
; %bb.12:
	v_dual_add_nc_u32 v1, s22, v19 :: v_dual_add_nc_u32 v2, s42, v19
	s_delay_alu instid0(VALU_DEP_1) | instskip(NEXT) | instid1(VALU_DEP_2)
	v_mul_lo_u32 v1, v1, s21
	v_mul_lo_u32 v2, v2, s23
	s_delay_alu instid0(VALU_DEP_1) | instskip(NEXT) | instid1(VALU_DEP_1)
	v_sub_nc_u32_e32 v1, v1, v2
	v_cmp_lt_u32_e64 s5, s43, v1
	s_and_b32 s47, s5, exec_lo
.LBB1460_13:
	s_or_b32 exec_lo, exec_lo, s6
	v_dual_add_nc_u32 v1, s17, v16 :: v_dual_add_nc_u32 v2, s19, v16
	s_mov_b32 s49, 0
	s_mov_b32 s48, 0
	s_mov_b32 s7, exec_lo
	s_delay_alu instid0(VALU_DEP_1) | instskip(SKIP_1) | instid1(VALU_DEP_1)
	v_mul_lo_u32 v1, v1, s16
	v_mul_lo_u32 v2, v2, s18
	v_sub_nc_u32_e32 v1, v1, v2
	s_delay_alu instid0(VALU_DEP_1)
	v_cmp_lt_u32_e64 s5, s20, v1
	;; [unrolled: 44-line block ×6, first 2 shown]
	v_cmpx_ge_u32_e64 s20, v1
	s_cbranch_execz .LBB1460_31
; %bb.30:
	v_dual_add_nc_u32 v1, s22, v28 :: v_dual_add_nc_u32 v2, s42, v28
	s_delay_alu instid0(VALU_DEP_1) | instskip(NEXT) | instid1(VALU_DEP_2)
	v_mul_lo_u32 v1, v1, s21
	v_mul_lo_u32 v2, v2, s23
	s_delay_alu instid0(VALU_DEP_1) | instskip(NEXT) | instid1(VALU_DEP_1)
	v_sub_nc_u32_e32 v1, v1, v2
	v_cmp_lt_u32_e64 s14, s43, v1
	s_and_b32 s57, s14, exec_lo
.LBB1460_31:
	s_or_b32 exec_lo, exec_lo, s58
	v_cndmask_b32_e64 v2, 0, 1, s2
	v_cndmask_b32_e64 v4, 0, 1, s4
	v_cndmask_b32_e64 v1, 0, 1, vcc_lo
	v_cndmask_b32_e64 v3, 0, 1, s3
	v_cndmask_b32_e64 v6, 0, 1, s6
	v_lshlrev_b16 v2, 8, v2
	v_lshlrev_b16 v4, 8, v4
	v_cndmask_b32_e64 v8, 0, 1, s8
	v_cndmask_b32_e64 v22, 0, 1, s10
	;; [unrolled: 1-line block ×3, first 2 shown]
	v_or_b32_e32 v1, v1, v2
	v_or_b32_e32 v2, v3, v4
	v_cndmask_b32_e64 v4, 0, 1, s46
	v_cndmask_b32_e64 v5, 0, 1, s5
	;; [unrolled: 1-line block ×4, first 2 shown]
	v_lshlrev_b32_e32 v2, 16, v2
	v_and_b32_e32 v1, 0xffff, v1
	v_cndmask_b32_e64 v33, 0, 1, s50
	v_cndmask_b32_e64 v36, 0, 1, s48
	;; [unrolled: 1-line block ×4, first 2 shown]
	v_or_b32_e32 v31, v1, v2
	v_lshlrev_b16 v1, 8, v6
	v_lshlrev_b16 v2, 8, v8
	;; [unrolled: 1-line block ×5, first 2 shown]
	v_cndmask_b32_e64 v7, 0, 1, s7
	v_cndmask_b32_e64 v24, 0, 1, s56
	;; [unrolled: 1-line block ×6, first 2 shown]
	v_lshlrev_b16 v22, 8, v39
	v_or_b32_e32 v4, v37, v4
	v_or_b32_e32 v1, v5, v1
	;; [unrolled: 1-line block ×4, first 2 shown]
	v_lshlrev_b16 v8, 8, v36
	v_lshlrev_b16 v9, 8, v33
	v_cndmask_b32_e64 v26, 0, 1, s54
	v_cndmask_b32_e64 v32, 0, 1, s51
	v_lshlrev_b16 v23, 8, v24
	v_or_b32_e32 v3, v3, v8
	v_or_b32_e32 v8, v35, v9
	;; [unrolled: 1-line block ×4, first 2 shown]
	v_lshlrev_b16 v22, 8, v27
	v_and_b32_e32 v5, 0xffff, v5
	v_lshlrev_b32_e32 v4, 16, v4
	v_and_b32_e32 v1, 0xffff, v1
	v_and_b32_e32 v7, 0xffff, v7
	v_or_b32_e32 v9, v32, v22
	v_or_b32_e32 v22, v26, v23
	v_and_b32_e32 v3, 0xffff, v3
	v_dual_lshlrev_b32 v8, 16, v8 :: v_dual_lshlrev_b32 v2, 16, v2
	s_delay_alu instid0(VALU_DEP_4) | instskip(NEXT) | instid1(VALU_DEP_4)
	v_and_b32_e32 v9, 0xffff, v9
	v_lshlrev_b32_e32 v22, 16, v22
	v_lshlrev_b32_e32 v6, 16, v6
	v_cndmask_b32_e64 v34, 0, 1, s55
	v_cndmask_b32_e64 v38, 0, 1, s57
	v_or_b32_e32 v33, v1, v2
	v_or_b32_e32 v37, v7, v4
	v_or_b32_e32 v36, v5, v6
	v_or_b32_e32 v32, v3, v8
	v_or_b32_e32 v35, v9, v22
	s_load_b64 s[4:5], s[0:1], 0x78
	s_and_b32 vcc_lo, exec_lo, s52
	s_add_co_i32 s6, s41, 0xd00
	s_cbranch_vccnz .LBB1460_33
	s_branch .LBB1460_110
.LBB1460_32:
                                        ; implicit-def: $vgpr38
                                        ; implicit-def: $vgpr34
                                        ; implicit-def: $vgpr35
                                        ; implicit-def: $vgpr32
                                        ; implicit-def: $vgpr37
                                        ; implicit-def: $vgpr36
                                        ; implicit-def: $vgpr33
                                        ; implicit-def: $vgpr31
	s_load_b64 s[4:5], s[0:1], 0x78
	s_add_co_i32 s6, s41, 0xd00
	s_cbranch_execz .LBB1460_110
.LBB1460_33:
	v_dual_mov_b32 v2, 0 :: v_dual_mov_b32 v1, 0
	s_wait_xcnt 0x0
	s_mov_b32 s1, exec_lo
	v_cmpx_gt_u32_e64 s6, v30
	s_cbranch_execz .LBB1460_37
; %bb.34:
	v_dual_add_nc_u32 v1, s17, v20 :: v_dual_add_nc_u32 v2, s19, v20
	s_mov_b32 s3, 0
	s_mov_b32 s2, exec_lo
	s_delay_alu instid0(VALU_DEP_1) | instskip(NEXT) | instid1(VALU_DEP_2)
	v_mul_lo_u32 v1, v1, s16
	v_mul_lo_u32 v2, v2, s18
	s_delay_alu instid0(VALU_DEP_1) | instskip(NEXT) | instid1(VALU_DEP_1)
	v_sub_nc_u32_e32 v1, v1, v2
	v_cmp_lt_u32_e32 vcc_lo, s20, v1
	v_cmpx_ge_u32_e64 s20, v1
	s_cbranch_execz .LBB1460_36
; %bb.35:
	v_dual_add_nc_u32 v1, s22, v20 :: v_dual_add_nc_u32 v2, s42, v20
	s_delay_alu instid0(VALU_DEP_1) | instskip(NEXT) | instid1(VALU_DEP_2)
	v_mul_lo_u32 v1, v1, s21
	v_mul_lo_u32 v2, v2, s23
	s_delay_alu instid0(VALU_DEP_1) | instskip(NEXT) | instid1(VALU_DEP_1)
	v_sub_nc_u32_e32 v1, v1, v2
	v_cmp_lt_u32_e64 s0, s43, v1
	s_and_b32 s3, s0, exec_lo
.LBB1460_36:
	s_or_b32 exec_lo, exec_lo, s2
	v_cndmask_b32_e64 v2, 0, 1, s3
	v_cndmask_b32_e64 v1, 0, 1, vcc_lo
.LBB1460_37:
	s_or_b32 exec_lo, exec_lo, s1
	s_delay_alu instid0(VALU_DEP_2) | instskip(SKIP_2) | instid1(VALU_DEP_3)
	v_lshlrev_b16 v2, 8, v2
	v_add_nc_u32_e32 v3, 1, v30
	v_lshlrev_b16 v9, 8, 0
                                        ; implicit-def: $vgpr5
                                        ; implicit-def: $vgpr7
                                        ; implicit-def: $vgpr4
                                        ; implicit-def: $vgpr8
	v_and_b32_e32 v6, 0xffff, v2
	s_delay_alu instid0(VALU_DEP_3) | instskip(NEXT) | instid1(VALU_DEP_2)
	v_cmp_le_u32_e32 vcc_lo, s6, v3
                                        ; implicit-def: $vgpr3
                                        ; implicit-def: $vgpr2
	v_lshrrev_b32_e32 v22, 8, v6
	s_and_saveexec_b32 s0, vcc_lo
	s_delay_alu instid0(SALU_CYCLE_1)
	s_xor_b32 s0, exec_lo, s0
	s_cbranch_execz .LBB1460_39
; %bb.38:
	s_delay_alu instid0(VALU_DEP_1) | instskip(SKIP_3) | instid1(VALU_DEP_4)
	v_lshlrev_b16 v2, 8, v22
	v_bitop3_b16 v3, 0, v9, 0xff bitop3:0xec
	v_and_b32_e32 v8, 0xff, v1
                                        ; implicit-def: $vgpr1
                                        ; implicit-def: $vgpr9
                                        ; implicit-def: $vgpr22
	v_mov_b32_e32 v5, 0
	v_bitop3_b16 v6, v6, v2, 0xff bitop3:0xec
	v_mov_b32_e32 v2, 0
	v_and_b32_e32 v4, 0xffff, v3
	v_and_b32_e32 v3, 0xffff, v3
	s_delay_alu instid0(VALU_DEP_4)
	v_and_b32_e32 v7, 0xffff, v6
                                        ; implicit-def: $vgpr6
.LBB1460_39:
	s_and_not1_saveexec_b32 s1, s0
	s_cbranch_execz .LBB1460_43
; %bb.40:
	v_dual_add_nc_u32 v2, s17, v21 :: v_dual_add_nc_u32 v3, s19, v21
	s_mov_b32 s2, 0
	s_mov_b32 s3, exec_lo
	s_delay_alu instid0(VALU_DEP_1) | instskip(NEXT) | instid1(VALU_DEP_2)
	v_mul_lo_u32 v2, v2, s16
	v_mul_lo_u32 v3, v3, s18
	s_delay_alu instid0(VALU_DEP_1) | instskip(NEXT) | instid1(VALU_DEP_1)
	v_sub_nc_u32_e32 v2, v2, v3
	v_cmp_lt_u32_e32 vcc_lo, s20, v2
	v_cmpx_ge_u32_e64 s20, v2
	s_cbranch_execz .LBB1460_42
; %bb.41:
	v_dual_add_nc_u32 v2, s22, v21 :: v_dual_add_nc_u32 v3, s42, v21
	s_delay_alu instid0(VALU_DEP_1) | instskip(NEXT) | instid1(VALU_DEP_2)
	v_mul_lo_u32 v2, v2, s21
	v_mul_lo_u32 v3, v3, s23
	s_delay_alu instid0(VALU_DEP_1) | instskip(NEXT) | instid1(VALU_DEP_1)
	v_sub_nc_u32_e32 v2, v2, v3
	v_cmp_lt_u32_e64 s0, s43, v2
	s_and_b32 s2, s0, exec_lo
.LBB1460_42:
	s_or_b32 exec_lo, exec_lo, s3
	v_cndmask_b32_e64 v2, 0, 1, vcc_lo
	v_lshlrev_b16 v3, 8, v22
	v_cndmask_b32_e64 v7, 0, 1, s2
	v_mov_b32_e32 v5, 0
	s_delay_alu instid0(VALU_DEP_4) | instskip(NEXT) | instid1(VALU_DEP_4)
	v_lshlrev_b16 v2, 8, v2
	v_bitop3_b16 v3, v6, v3, 0xff bitop3:0xec
	v_bitop3_b16 v6, 0, v9, 0xff bitop3:0xec
	s_delay_alu instid0(VALU_DEP_3) | instskip(NEXT) | instid1(VALU_DEP_3)
	v_bitop3_b16 v1, v1, v2, 0xff bitop3:0xec
	v_and_b32_e32 v3, 0xffff, v3
	v_mov_b32_e32 v2, 0
	s_delay_alu instid0(VALU_DEP_4) | instskip(NEXT) | instid1(VALU_DEP_4)
	v_and_b32_e32 v4, 0xffff, v6
	v_and_b32_e32 v8, 0xffff, v1
	s_delay_alu instid0(VALU_DEP_4)
	v_lshl_or_b32 v7, v7, 16, v3
	v_and_b32_e32 v3, 0xffff, v6
.LBB1460_43:
	s_or_b32 exec_lo, exec_lo, s1
	s_delay_alu instid0(VALU_DEP_3) | instskip(NEXT) | instid1(VALU_DEP_1)
	v_dual_add_nc_u32 v1, 2, v30 :: v_dual_lshrrev_b32 v9, 8, v8
                                        ; implicit-def: $vgpr6
	v_cmp_le_u32_e32 vcc_lo, s6, v1
                                        ; implicit-def: $vgpr1
	s_and_saveexec_b32 s0, vcc_lo
	s_delay_alu instid0(SALU_CYCLE_1)
	s_xor_b32 s0, exec_lo, s0
	s_cbranch_execz .LBB1460_45
; %bb.44:
	v_lshlrev_b16 v1, 8, v9
	v_and_b32_e32 v9, 0xff0000, v7
	v_perm_b32 v4, v4, v4, 0x3060504
	s_delay_alu instid0(VALU_DEP_3) | instskip(NEXT) | instid1(VALU_DEP_1)
	v_bitop3_b16 v1, v8, v1, 0xff bitop3:0xec
	v_and_b32_e32 v1, 0xffff, v1
	s_delay_alu instid0(VALU_DEP_1)
	v_and_or_b32 v6, 0xff000000, v8, v1
	v_perm_b32 v1, v7, v9, 0x3020504
                                        ; implicit-def: $vgpr9
                                        ; implicit-def: $vgpr8
                                        ; implicit-def: $vgpr7
.LBB1460_45:
	s_and_not1_saveexec_b32 s1, s0
	s_cbranch_execz .LBB1460_49
; %bb.46:
	v_dual_add_nc_u32 v1, s17, v18 :: v_dual_add_nc_u32 v6, s19, v18
	s_mov_b32 s2, 0
	s_mov_b32 s3, exec_lo
	s_delay_alu instid0(VALU_DEP_1) | instskip(NEXT) | instid1(VALU_DEP_2)
	v_mul_lo_u32 v1, v1, s16
	v_mul_lo_u32 v6, v6, s18
	s_delay_alu instid0(VALU_DEP_1) | instskip(NEXT) | instid1(VALU_DEP_1)
	v_sub_nc_u32_e32 v1, v1, v6
	v_cmp_lt_u32_e32 vcc_lo, s20, v1
	v_cmpx_ge_u32_e64 s20, v1
	s_cbranch_execz .LBB1460_48
; %bb.47:
	v_dual_add_nc_u32 v1, s22, v18 :: v_dual_add_nc_u32 v6, s42, v18
	s_delay_alu instid0(VALU_DEP_1) | instskip(NEXT) | instid1(VALU_DEP_2)
	v_mul_lo_u32 v1, v1, s21
	v_mul_lo_u32 v6, v6, s23
	s_delay_alu instid0(VALU_DEP_1) | instskip(NEXT) | instid1(VALU_DEP_1)
	v_sub_nc_u32_e32 v1, v1, v6
	v_cmp_lt_u32_e64 s0, s43, v1
	s_and_b32 s2, s0, exec_lo
.LBB1460_48:
	s_or_b32 exec_lo, exec_lo, s3
	v_dual_lshrrev_b32 v1, 24, v8 :: v_dual_lshrrev_b32 v23, 8, v7
	v_cndmask_b32_e64 v6, 0, 1, s2
	v_cndmask_b32_e64 v22, 0, 1, vcc_lo
	v_lshlrev_b16 v9, 8, v9
	s_delay_alu instid0(VALU_DEP_4)
	v_lshlrev_b16 v1, 8, v1
	v_lshrrev_b32_e32 v24, 16, v7
	v_lshlrev_b16 v6, 8, v6
	v_lshlrev_b16 v23, 8, v23
	v_bitop3_b16 v8, v8, v9, 0xff bitop3:0xec
	v_or_b32_e32 v1, v22, v1
	s_delay_alu instid0(VALU_DEP_4) | instskip(NEXT) | instid1(VALU_DEP_4)
	v_bitop3_b16 v6, v24, v6, 0xff bitop3:0xec
	v_bitop3_b16 v7, v7, v23, 0xff bitop3:0xec
	s_delay_alu instid0(VALU_DEP_4) | instskip(NEXT) | instid1(VALU_DEP_3)
	v_and_b32_e32 v8, 0xffff, v8
	v_dual_lshlrev_b32 v1, 16, v1 :: v_dual_lshlrev_b32 v9, 16, v6
	s_delay_alu instid0(VALU_DEP_3) | instskip(NEXT) | instid1(VALU_DEP_2)
	v_and_b32_e32 v7, 0xffff, v7
	v_or_b32_e32 v6, v8, v1
	s_delay_alu instid0(VALU_DEP_2)
	v_or_b32_e32 v1, v7, v9
.LBB1460_49:
	s_or_b32 exec_lo, exec_lo, s1
	v_dual_add_nc_u32 v8, 3, v30 :: v_dual_lshrrev_b32 v9, 24, v5
	v_lshrrev_b32_e32 v7, 16, v5
                                        ; implicit-def: $vgpr31
	s_delay_alu instid0(VALU_DEP_2) | instskip(SKIP_2) | instid1(SALU_CYCLE_1)
	v_cmp_le_u32_e32 vcc_lo, s6, v8
	v_lshrrev_b32_e32 v8, 8, v5
                                        ; implicit-def: $vgpr5
	s_and_saveexec_b32 s0, vcc_lo
	s_xor_b32 s0, exec_lo, s0
	s_cbranch_execz .LBB1460_51
; %bb.50:
	v_lshlrev_b16 v5, 8, v9
	v_lshlrev_b16 v8, 8, v8
	v_perm_b32 v4, v4, v4, 0x3060504
	v_perm_b32 v3, v3, v3, 0x3060504
                                        ; implicit-def: $vgpr9
	s_delay_alu instid0(VALU_DEP_4) | instskip(SKIP_2) | instid1(VALU_DEP_3)
	v_bitop3_b16 v5, v7, v5, 0xff bitop3:0xec
	v_and_b32_e32 v7, 0xff0000, v6
	v_and_b32_e32 v8, 0xffff, v8
	v_lshlrev_b32_e32 v5, 16, v5
	s_delay_alu instid0(VALU_DEP_3) | instskip(NEXT) | instid1(VALU_DEP_2)
	v_perm_b32 v31, v6, v7, 0x3020504
                                        ; implicit-def: $vgpr6
                                        ; implicit-def: $vgpr7
	v_or_b32_e32 v5, v8, v5
                                        ; implicit-def: $vgpr8
.LBB1460_51:
	s_and_not1_saveexec_b32 s1, s0
	s_cbranch_execz .LBB1460_55
; %bb.52:
	v_dual_add_nc_u32 v5, s17, v19 :: v_dual_add_nc_u32 v22, s19, v19
	s_mov_b32 s2, 0
	s_mov_b32 s3, exec_lo
	s_delay_alu instid0(VALU_DEP_1) | instskip(NEXT) | instid1(VALU_DEP_2)
	v_mul_lo_u32 v5, v5, s16
	v_mul_lo_u32 v22, v22, s18
	s_delay_alu instid0(VALU_DEP_1) | instskip(NEXT) | instid1(VALU_DEP_1)
	v_sub_nc_u32_e32 v5, v5, v22
	v_cmp_lt_u32_e32 vcc_lo, s20, v5
	v_cmpx_ge_u32_e64 s20, v5
	s_cbranch_execz .LBB1460_54
; %bb.53:
	v_dual_add_nc_u32 v5, s22, v19 :: v_dual_add_nc_u32 v22, s42, v19
	s_delay_alu instid0(VALU_DEP_1) | instskip(NEXT) | instid1(VALU_DEP_2)
	v_mul_lo_u32 v5, v5, s21
	v_mul_lo_u32 v22, v22, s23
	s_delay_alu instid0(VALU_DEP_1) | instskip(NEXT) | instid1(VALU_DEP_1)
	v_sub_nc_u32_e32 v5, v5, v22
	v_cmp_lt_u32_e64 s0, s43, v5
	s_and_b32 s2, s0, exec_lo
.LBB1460_54:
	s_or_b32 exec_lo, exec_lo, s3
	v_cndmask_b32_e64 v5, 0, 1, vcc_lo
	v_dual_lshrrev_b32 v22, 8, v6 :: v_dual_lshrrev_b32 v24, 16, v6
	v_cndmask_b32_e64 v23, 0, 1, s2
	v_lshlrev_b16 v9, 8, v9
	s_delay_alu instid0(VALU_DEP_4) | instskip(NEXT) | instid1(VALU_DEP_4)
	v_lshlrev_b16 v5, 8, v5
	v_lshlrev_b16 v22, 8, v22
	;; [unrolled: 1-line block ×3, first 2 shown]
	s_delay_alu instid0(VALU_DEP_4) | instskip(NEXT) | instid1(VALU_DEP_4)
	v_bitop3_b16 v7, v7, v9, 0xff bitop3:0xec
	v_bitop3_b16 v5, v24, v5, 0xff bitop3:0xec
	s_delay_alu instid0(VALU_DEP_4) | instskip(NEXT) | instid1(VALU_DEP_3)
	v_bitop3_b16 v6, v6, v22, 0xff bitop3:0xec
	v_dual_lshlrev_b32 v7, 16, v7 :: v_dual_bitop2_b32 v8, v23, v8 bitop3:0x54
	s_delay_alu instid0(VALU_DEP_3) | instskip(NEXT) | instid1(VALU_DEP_3)
	v_lshlrev_b32_e32 v5, 16, v5
	v_and_b32_e32 v6, 0xffff, v6
	s_delay_alu instid0(VALU_DEP_3) | instskip(NEXT) | instid1(VALU_DEP_2)
	v_and_b32_e32 v8, 0xffff, v8
	v_or_b32_e32 v31, v6, v5
	s_delay_alu instid0(VALU_DEP_2)
	v_or_b32_e32 v5, v8, v7
.LBB1460_55:
	s_or_b32 exec_lo, exec_lo, s1
	v_dual_add_nc_u32 v6, 4, v30 :: v_dual_lshrrev_b32 v22, 8, v4
	v_dual_lshrrev_b32 v7, 16, v4 :: v_dual_lshrrev_b32 v23, 24, v4
	s_delay_alu instid0(VALU_DEP_3) | instskip(NEXT) | instid1(VALU_DEP_3)
	v_dual_lshrrev_b32 v9, 24, v5 :: v_dual_lshrrev_b32 v8, 16, v5
	v_cmp_le_u32_e32 vcc_lo, s6, v6
                                        ; implicit-def: $vgpr4
                                        ; implicit-def: $vgpr6
	s_and_saveexec_b32 s0, vcc_lo
	s_delay_alu instid0(SALU_CYCLE_1)
	s_xor_b32 s0, exec_lo, s0
	s_cbranch_execz .LBB1460_57
; %bb.56:
	v_lshlrev_b16 v4, 8, v23
	v_lshlrev_b16 v6, 8, v22
	;; [unrolled: 1-line block ×3, first 2 shown]
	v_perm_b32 v3, v3, v3, 0x3060504
                                        ; implicit-def: $vgpr22
                                        ; implicit-def: $vgpr23
	s_delay_alu instid0(VALU_DEP_4) | instskip(NEXT) | instid1(VALU_DEP_4)
	v_bitop3_b16 v4, v7, v4, 0xff bitop3:0xec
	v_and_b32_e32 v6, 0xffff, v6
	s_delay_alu instid0(VALU_DEP_4) | instskip(NEXT) | instid1(VALU_DEP_3)
	v_bitop3_b16 v7, v8, v9, 0xff bitop3:0xec
                                        ; implicit-def: $vgpr9
	v_lshlrev_b32_e32 v8, 16, v4
	s_delay_alu instid0(VALU_DEP_2) | instskip(NEXT) | instid1(VALU_DEP_2)
	v_perm_b32 v4, v7, v5, 0x5040c00
                                        ; implicit-def: $vgpr5
                                        ; implicit-def: $vgpr7
	v_or_b32_e32 v6, v6, v8
                                        ; implicit-def: $vgpr8
.LBB1460_57:
	s_and_not1_saveexec_b32 s1, s0
	s_cbranch_execz .LBB1460_61
; %bb.58:
	v_dual_add_nc_u32 v4, s17, v16 :: v_dual_add_nc_u32 v6, s19, v16
	s_mov_b32 s2, 0
	s_mov_b32 s3, exec_lo
	s_delay_alu instid0(VALU_DEP_1) | instskip(NEXT) | instid1(VALU_DEP_2)
	v_mul_lo_u32 v4, v4, s16
	v_mul_lo_u32 v6, v6, s18
	s_delay_alu instid0(VALU_DEP_1) | instskip(NEXT) | instid1(VALU_DEP_1)
	v_sub_nc_u32_e32 v4, v4, v6
	v_cmp_lt_u32_e32 vcc_lo, s20, v4
	v_cmpx_ge_u32_e64 s20, v4
	s_cbranch_execz .LBB1460_60
; %bb.59:
	v_dual_add_nc_u32 v4, s22, v16 :: v_dual_add_nc_u32 v6, s42, v16
	s_delay_alu instid0(VALU_DEP_1) | instskip(NEXT) | instid1(VALU_DEP_2)
	v_mul_lo_u32 v4, v4, s21
	v_mul_lo_u32 v6, v6, s23
	s_delay_alu instid0(VALU_DEP_1) | instskip(NEXT) | instid1(VALU_DEP_1)
	v_sub_nc_u32_e32 v4, v4, v6
	v_cmp_lt_u32_e64 s0, s43, v4
	s_and_b32 s2, s0, exec_lo
.LBB1460_60:
	s_or_b32 exec_lo, exec_lo, s3
	v_cndmask_b32_e64 v4, 0, 1, s2
	v_cndmask_b32_e64 v6, 0, 1, vcc_lo
	v_lshlrev_b16 v23, 8, v23
	v_lshlrev_b16 v22, 8, v22
	;; [unrolled: 1-line block ×4, first 2 shown]
	s_delay_alu instid0(VALU_DEP_4) | instskip(NEXT) | instid1(VALU_DEP_4)
	v_bitop3_b16 v7, v7, v23, 0xff bitop3:0xec
	v_or_b32_e32 v6, v6, v22
	s_delay_alu instid0(VALU_DEP_4) | instskip(NEXT) | instid1(VALU_DEP_4)
	v_bitop3_b16 v8, v8, v9, 0xff bitop3:0xec
	v_bitop3_b16 v4, v5, v4, 0xff bitop3:0xec
	s_delay_alu instid0(VALU_DEP_4) | instskip(NEXT) | instid1(VALU_DEP_4)
	v_lshlrev_b32_e32 v5, 16, v7
	v_and_b32_e32 v6, 0xffff, v6
	s_delay_alu instid0(VALU_DEP_4) | instskip(NEXT) | instid1(VALU_DEP_4)
	v_lshlrev_b32_e32 v7, 16, v8
	v_and_b32_e32 v4, 0xffff, v4
	s_delay_alu instid0(VALU_DEP_3) | instskip(NEXT) | instid1(VALU_DEP_2)
	v_or_b32_e32 v6, v6, v5
	v_or_b32_e32 v4, v4, v7
.LBB1460_61:
	s_or_b32 exec_lo, exec_lo, s1
	s_delay_alu instid0(VALU_DEP_1) | instskip(NEXT) | instid1(VALU_DEP_2)
	v_dual_add_nc_u32 v5, 5, v30 :: v_dual_lshrrev_b32 v22, 8, v4
	v_dual_lshrrev_b32 v8, 16, v6 :: v_dual_lshrrev_b32 v9, 24, v6
                                        ; implicit-def: $vgpr7
	s_delay_alu instid0(VALU_DEP_2) | instskip(SKIP_1) | instid1(SALU_CYCLE_1)
	v_cmp_le_u32_e32 vcc_lo, s6, v5
                                        ; implicit-def: $vgpr5
	s_and_saveexec_b32 s0, vcc_lo
	s_xor_b32 s0, exec_lo, s0
	s_cbranch_execz .LBB1460_63
; %bb.62:
	v_lshlrev_b16 v5, 8, v22
	v_lshlrev_b16 v7, 8, v9
	v_perm_b32 v3, v3, v3, 0x3060504
                                        ; implicit-def: $vgpr9
                                        ; implicit-def: $vgpr22
	s_delay_alu instid0(VALU_DEP_3) | instskip(NEXT) | instid1(VALU_DEP_3)
	v_bitop3_b16 v5, v4, v5, 0xff bitop3:0xec
	v_bitop3_b16 v7, v8, v7, 0xff bitop3:0xec
                                        ; implicit-def: $vgpr8
	s_delay_alu instid0(VALU_DEP_2) | instskip(NEXT) | instid1(VALU_DEP_2)
	v_and_b32_e32 v5, 0xffff, v5
	v_perm_b32 v7, v7, v6, 0x5040c00
                                        ; implicit-def: $vgpr6
	s_delay_alu instid0(VALU_DEP_2)
	v_and_or_b32 v5, 0xff000000, v4, v5
                                        ; implicit-def: $vgpr4
.LBB1460_63:
	s_and_not1_saveexec_b32 s1, s0
	s_cbranch_execz .LBB1460_67
; %bb.64:
	v_dual_add_nc_u32 v5, s17, v17 :: v_dual_add_nc_u32 v7, s19, v17
	s_mov_b32 s2, 0
	s_mov_b32 s3, exec_lo
	s_delay_alu instid0(VALU_DEP_1) | instskip(NEXT) | instid1(VALU_DEP_2)
	v_mul_lo_u32 v5, v5, s16
	v_mul_lo_u32 v7, v7, s18
	s_delay_alu instid0(VALU_DEP_1) | instskip(NEXT) | instid1(VALU_DEP_1)
	v_sub_nc_u32_e32 v5, v5, v7
	v_cmp_lt_u32_e32 vcc_lo, s20, v5
	v_cmpx_ge_u32_e64 s20, v5
	s_cbranch_execz .LBB1460_66
; %bb.65:
	v_dual_add_nc_u32 v5, s22, v17 :: v_dual_add_nc_u32 v7, s42, v17
	s_delay_alu instid0(VALU_DEP_1) | instskip(NEXT) | instid1(VALU_DEP_2)
	v_mul_lo_u32 v5, v5, s21
	v_mul_lo_u32 v7, v7, s23
	s_delay_alu instid0(VALU_DEP_1) | instskip(NEXT) | instid1(VALU_DEP_1)
	v_sub_nc_u32_e32 v5, v5, v7
	v_cmp_lt_u32_e64 s0, s43, v5
	s_and_b32 s2, s0, exec_lo
.LBB1460_66:
	s_or_b32 exec_lo, exec_lo, s3
	v_cndmask_b32_e64 v5, 0, 1, vcc_lo
	v_lshrrev_b32_e32 v7, 24, v4
	v_cndmask_b32_e64 v23, 0, 1, s2
	v_lshlrev_b16 v9, 8, v9
	v_lshlrev_b16 v22, 8, v22
	;; [unrolled: 1-line block ×4, first 2 shown]
	s_delay_alu instid0(VALU_DEP_4) | instskip(NEXT) | instid1(VALU_DEP_4)
	v_bitop3_b16 v8, v8, v9, 0xff bitop3:0xec
	v_bitop3_b16 v4, v4, v22, 0xff bitop3:0xec
	s_delay_alu instid0(VALU_DEP_4) | instskip(NEXT) | instid1(VALU_DEP_3)
	v_bitop3_b16 v5, v6, v5, 0xff bitop3:0xec
	v_dual_lshlrev_b32 v7, 16, v8 :: v_dual_bitop2_b32 v6, v23, v7 bitop3:0x54
	s_delay_alu instid0(VALU_DEP_3) | instskip(NEXT) | instid1(VALU_DEP_3)
	v_and_b32_e32 v4, 0xffff, v4
	v_and_b32_e32 v5, 0xffff, v5
	s_delay_alu instid0(VALU_DEP_1) | instskip(NEXT) | instid1(VALU_DEP_1)
	v_dual_lshlrev_b32 v6, 16, v6 :: v_dual_bitop2_b32 v7, v5, v7 bitop3:0x54
	v_or_b32_e32 v5, v4, v6
.LBB1460_67:
	s_or_b32 exec_lo, exec_lo, s1
	s_delay_alu instid0(VALU_DEP_2) | instskip(NEXT) | instid1(VALU_DEP_1)
	v_dual_add_nc_u32 v4, 6, v30 :: v_dual_lshrrev_b32 v6, 8, v7
                                        ; implicit-def: $vgpr32
	v_cmp_le_u32_e32 vcc_lo, s6, v4
                                        ; implicit-def: $vgpr4
	s_and_saveexec_b32 s0, vcc_lo
	s_delay_alu instid0(SALU_CYCLE_1)
	s_xor_b32 s0, exec_lo, s0
	s_cbranch_execz .LBB1460_69
; %bb.68:
	v_lshlrev_b16 v4, 8, v6
	v_and_b32_e32 v6, 0xff0000, v5
	v_perm_b32 v3, v3, v3, 0x3060504
	s_delay_alu instid0(VALU_DEP_3) | instskip(NEXT) | instid1(VALU_DEP_3)
	v_bitop3_b16 v4, v7, v4, 0xff bitop3:0xec
	v_perm_b32 v32, v5, v6, 0x3020504
                                        ; implicit-def: $vgpr6
                                        ; implicit-def: $vgpr5
	s_delay_alu instid0(VALU_DEP_2) | instskip(NEXT) | instid1(VALU_DEP_1)
	v_and_b32_e32 v4, 0xffff, v4
	v_and_or_b32 v4, 0xff000000, v7, v4
                                        ; implicit-def: $vgpr7
.LBB1460_69:
	s_and_not1_saveexec_b32 s1, s0
	s_cbranch_execz .LBB1460_73
; %bb.70:
	v_dual_add_nc_u32 v4, s17, v14 :: v_dual_add_nc_u32 v8, s19, v14
	s_mov_b32 s2, 0
	s_mov_b32 s3, exec_lo
	s_delay_alu instid0(VALU_DEP_1) | instskip(NEXT) | instid1(VALU_DEP_2)
	v_mul_lo_u32 v4, v4, s16
	v_mul_lo_u32 v8, v8, s18
	s_delay_alu instid0(VALU_DEP_1) | instskip(NEXT) | instid1(VALU_DEP_1)
	v_sub_nc_u32_e32 v4, v4, v8
	v_cmp_lt_u32_e32 vcc_lo, s20, v4
	v_cmpx_ge_u32_e64 s20, v4
	s_cbranch_execz .LBB1460_72
; %bb.71:
	v_dual_add_nc_u32 v4, s22, v14 :: v_dual_add_nc_u32 v8, s42, v14
	s_delay_alu instid0(VALU_DEP_1) | instskip(NEXT) | instid1(VALU_DEP_2)
	v_mul_lo_u32 v4, v4, s21
	v_mul_lo_u32 v8, v8, s23
	s_delay_alu instid0(VALU_DEP_1) | instskip(NEXT) | instid1(VALU_DEP_1)
	v_sub_nc_u32_e32 v4, v4, v8
	v_cmp_lt_u32_e64 s0, s43, v4
	s_and_b32 s2, s0, exec_lo
.LBB1460_72:
	s_or_b32 exec_lo, exec_lo, s3
	v_dual_lshrrev_b32 v4, 24, v7 :: v_dual_lshrrev_b32 v22, 8, v5
	v_cndmask_b32_e64 v8, 0, 1, s2
	v_cndmask_b32_e64 v9, 0, 1, vcc_lo
	v_lshlrev_b16 v6, 8, v6
	s_delay_alu instid0(VALU_DEP_4)
	v_lshlrev_b16 v4, 8, v4
	v_lshrrev_b32_e32 v23, 16, v5
	v_lshlrev_b16 v8, 8, v8
	v_lshlrev_b16 v22, 8, v22
	v_bitop3_b16 v6, v7, v6, 0xff bitop3:0xec
	v_or_b32_e32 v4, v9, v4
	s_delay_alu instid0(VALU_DEP_4) | instskip(NEXT) | instid1(VALU_DEP_4)
	v_bitop3_b16 v7, v23, v8, 0xff bitop3:0xec
	v_bitop3_b16 v5, v5, v22, 0xff bitop3:0xec
	s_delay_alu instid0(VALU_DEP_4) | instskip(NEXT) | instid1(VALU_DEP_3)
	v_and_b32_e32 v6, 0xffff, v6
	v_dual_lshlrev_b32 v4, 16, v4 :: v_dual_lshlrev_b32 v7, 16, v7
	s_delay_alu instid0(VALU_DEP_3) | instskip(NEXT) | instid1(VALU_DEP_2)
	v_and_b32_e32 v5, 0xffff, v5
	v_or_b32_e32 v4, v6, v4
	s_delay_alu instid0(VALU_DEP_2)
	v_or_b32_e32 v32, v5, v7
.LBB1460_73:
	s_or_b32 exec_lo, exec_lo, s1
	v_dual_add_nc_u32 v7, 7, v30 :: v_dual_lshrrev_b32 v5, 8, v3
	v_lshrrev_b32_e32 v6, 16, v3
                                        ; implicit-def: $vgpr33
	s_delay_alu instid0(VALU_DEP_2) | instskip(SKIP_2) | instid1(SALU_CYCLE_1)
	v_cmp_le_u32_e32 vcc_lo, s6, v7
	v_lshrrev_b32_e32 v7, 24, v3
                                        ; implicit-def: $vgpr3
	s_and_saveexec_b32 s0, vcc_lo
	s_xor_b32 s0, exec_lo, s0
	s_cbranch_execz .LBB1460_75
; %bb.74:
	s_delay_alu instid0(VALU_DEP_1) | instskip(SKIP_1) | instid1(VALU_DEP_2)
	v_lshlrev_b16 v3, 8, v7
	v_lshlrev_b16 v5, 8, v5
                                        ; implicit-def: $vgpr7
	v_bitop3_b16 v3, v6, v3, 0xff bitop3:0xec
	v_and_b32_e32 v6, 0xff0000, v4
	s_delay_alu instid0(VALU_DEP_3) | instskip(NEXT) | instid1(VALU_DEP_3)
	v_and_b32_e32 v5, 0xffff, v5
	v_lshlrev_b32_e32 v3, 16, v3
	s_delay_alu instid0(VALU_DEP_3) | instskip(NEXT) | instid1(VALU_DEP_2)
	v_perm_b32 v33, v4, v6, 0x3020504
                                        ; implicit-def: $vgpr4
                                        ; implicit-def: $vgpr6
	v_or_b32_e32 v3, v5, v3
                                        ; implicit-def: $vgpr5
.LBB1460_75:
	s_and_not1_saveexec_b32 s1, s0
	s_cbranch_execz .LBB1460_79
; %bb.76:
	v_dual_add_nc_u32 v3, s17, v15 :: v_dual_add_nc_u32 v8, s19, v15
	s_mov_b32 s2, 0
	s_mov_b32 s3, exec_lo
	s_delay_alu instid0(VALU_DEP_1) | instskip(NEXT) | instid1(VALU_DEP_2)
	v_mul_lo_u32 v3, v3, s16
	v_mul_lo_u32 v8, v8, s18
	s_delay_alu instid0(VALU_DEP_1) | instskip(NEXT) | instid1(VALU_DEP_1)
	v_sub_nc_u32_e32 v3, v3, v8
	v_cmp_lt_u32_e32 vcc_lo, s20, v3
	v_cmpx_ge_u32_e64 s20, v3
	s_cbranch_execz .LBB1460_78
; %bb.77:
	v_dual_add_nc_u32 v3, s22, v15 :: v_dual_add_nc_u32 v8, s42, v15
	s_delay_alu instid0(VALU_DEP_1) | instskip(NEXT) | instid1(VALU_DEP_2)
	v_mul_lo_u32 v3, v3, s21
	v_mul_lo_u32 v8, v8, s23
	s_delay_alu instid0(VALU_DEP_1) | instskip(NEXT) | instid1(VALU_DEP_1)
	v_sub_nc_u32_e32 v3, v3, v8
	v_cmp_lt_u32_e64 s0, s43, v3
	s_and_b32 s2, s0, exec_lo
.LBB1460_78:
	s_or_b32 exec_lo, exec_lo, s3
	v_cndmask_b32_e64 v3, 0, 1, vcc_lo
	v_dual_lshrrev_b32 v8, 8, v4 :: v_dual_lshrrev_b32 v22, 16, v4
	v_cndmask_b32_e64 v9, 0, 1, s2
	v_lshlrev_b16 v7, 8, v7
	s_delay_alu instid0(VALU_DEP_4) | instskip(NEXT) | instid1(VALU_DEP_4)
	v_lshlrev_b16 v3, 8, v3
	v_lshlrev_b16 v8, 8, v8
	v_lshlrev_b16 v5, 8, v5
	s_delay_alu instid0(VALU_DEP_4) | instskip(NEXT) | instid1(VALU_DEP_4)
	v_bitop3_b16 v6, v6, v7, 0xff bitop3:0xec
	v_bitop3_b16 v3, v22, v3, 0xff bitop3:0xec
	s_delay_alu instid0(VALU_DEP_4) | instskip(NEXT) | instid1(VALU_DEP_3)
	v_bitop3_b16 v4, v4, v8, 0xff bitop3:0xec
	v_dual_lshlrev_b32 v6, 16, v6 :: v_dual_bitop2_b32 v5, v9, v5 bitop3:0x54
	s_delay_alu instid0(VALU_DEP_3) | instskip(NEXT) | instid1(VALU_DEP_3)
	v_lshlrev_b32_e32 v3, 16, v3
	v_and_b32_e32 v4, 0xffff, v4
	s_delay_alu instid0(VALU_DEP_3) | instskip(NEXT) | instid1(VALU_DEP_2)
	v_and_b32_e32 v5, 0xffff, v5
	v_or_b32_e32 v33, v4, v3
	s_delay_alu instid0(VALU_DEP_2)
	v_or_b32_e32 v3, v5, v6
.LBB1460_79:
	s_or_b32 exec_lo, exec_lo, s1
	s_delay_alu instid0(VALU_DEP_1) | instskip(SKIP_2) | instid1(VALU_DEP_3)
	v_dual_add_nc_u32 v4, 8, v30 :: v_dual_lshrrev_b32 v5, 16, v3
	v_dual_lshrrev_b32 v6, 24, v3 :: v_dual_lshrrev_b32 v9, 24, v2
	v_dual_lshrrev_b32 v7, 16, v2 :: v_dual_lshrrev_b32 v8, 8, v2
	v_cmp_le_u32_e32 vcc_lo, s6, v4
                                        ; implicit-def: $vgpr2
                                        ; implicit-def: $vgpr4
	s_and_saveexec_b32 s0, vcc_lo
	s_delay_alu instid0(SALU_CYCLE_1)
	s_xor_b32 s0, exec_lo, s0
	s_cbranch_execz .LBB1460_81
; %bb.80:
	v_lshlrev_b16 v2, 8, v9
	v_lshlrev_b16 v4, 8, v8
	;; [unrolled: 1-line block ×3, first 2 shown]
	v_perm_b32 v1, v1, v1, 0x3060504
                                        ; implicit-def: $vgpr9
                                        ; implicit-def: $vgpr8
	s_delay_alu instid0(VALU_DEP_4) | instskip(NEXT) | instid1(VALU_DEP_4)
	v_bitop3_b16 v2, v7, v2, 0xff bitop3:0xec
	v_and_b32_e32 v4, 0xffff, v4
	s_delay_alu instid0(VALU_DEP_4) | instskip(NEXT) | instid1(VALU_DEP_3)
	v_bitop3_b16 v5, v5, v6, 0xff bitop3:0xec
                                        ; implicit-def: $vgpr6
                                        ; implicit-def: $vgpr7
	v_lshlrev_b32_e32 v2, 16, v2
	s_delay_alu instid0(VALU_DEP_1) | instskip(NEXT) | instid1(VALU_DEP_3)
	v_or_b32_e32 v4, v4, v2
	v_perm_b32 v2, v5, v3, 0x5040c00
                                        ; implicit-def: $vgpr3
                                        ; implicit-def: $vgpr5
.LBB1460_81:
	s_and_not1_saveexec_b32 s1, s0
	s_cbranch_execz .LBB1460_85
; %bb.82:
	v_dual_add_nc_u32 v2, s17, v12 :: v_dual_add_nc_u32 v4, s19, v12
	s_mov_b32 s2, 0
	s_mov_b32 s3, exec_lo
	s_delay_alu instid0(VALU_DEP_1) | instskip(NEXT) | instid1(VALU_DEP_2)
	v_mul_lo_u32 v2, v2, s16
	v_mul_lo_u32 v4, v4, s18
	s_delay_alu instid0(VALU_DEP_1) | instskip(NEXT) | instid1(VALU_DEP_1)
	v_sub_nc_u32_e32 v2, v2, v4
	v_cmp_lt_u32_e32 vcc_lo, s20, v2
	v_cmpx_ge_u32_e64 s20, v2
	s_cbranch_execz .LBB1460_84
; %bb.83:
	v_dual_add_nc_u32 v2, s22, v12 :: v_dual_add_nc_u32 v4, s42, v12
	s_delay_alu instid0(VALU_DEP_1) | instskip(NEXT) | instid1(VALU_DEP_2)
	v_mul_lo_u32 v2, v2, s21
	v_mul_lo_u32 v4, v4, s23
	s_delay_alu instid0(VALU_DEP_1) | instskip(NEXT) | instid1(VALU_DEP_1)
	v_sub_nc_u32_e32 v2, v2, v4
	v_cmp_lt_u32_e64 s0, s43, v2
	s_and_b32 s2, s0, exec_lo
.LBB1460_84:
	s_or_b32 exec_lo, exec_lo, s3
	v_cndmask_b32_e64 v2, 0, 1, s2
	v_cndmask_b32_e64 v4, 0, 1, vcc_lo
	v_lshlrev_b16 v9, 8, v9
	v_lshlrev_b16 v8, 8, v8
	;; [unrolled: 1-line block ×4, first 2 shown]
	s_delay_alu instid0(VALU_DEP_4) | instskip(NEXT) | instid1(VALU_DEP_4)
	v_bitop3_b16 v7, v7, v9, 0xff bitop3:0xec
	v_or_b32_e32 v4, v4, v8
	s_delay_alu instid0(VALU_DEP_4) | instskip(NEXT) | instid1(VALU_DEP_4)
	v_bitop3_b16 v5, v5, v6, 0xff bitop3:0xec
	v_bitop3_b16 v2, v3, v2, 0xff bitop3:0xec
	s_delay_alu instid0(VALU_DEP_4) | instskip(NEXT) | instid1(VALU_DEP_4)
	v_lshlrev_b32_e32 v3, 16, v7
	v_and_b32_e32 v4, 0xffff, v4
	s_delay_alu instid0(VALU_DEP_4) | instskip(NEXT) | instid1(VALU_DEP_4)
	v_lshlrev_b32_e32 v5, 16, v5
	v_and_b32_e32 v2, 0xffff, v2
	s_delay_alu instid0(VALU_DEP_3) | instskip(NEXT) | instid1(VALU_DEP_2)
	v_or_b32_e32 v4, v4, v3
	v_or_b32_e32 v2, v2, v5
.LBB1460_85:
	s_or_b32 exec_lo, exec_lo, s1
	s_delay_alu instid0(VALU_DEP_2) | instskip(NEXT) | instid1(VALU_DEP_2)
	v_dual_add_nc_u32 v3, 9, v30 :: v_dual_lshrrev_b32 v8, 24, v4
	v_dual_lshrrev_b32 v7, 8, v2 :: v_dual_lshrrev_b32 v6, 16, v4
                                        ; implicit-def: $vgpr5
	s_delay_alu instid0(VALU_DEP_2) | instskip(SKIP_1) | instid1(SALU_CYCLE_1)
	v_cmp_le_u32_e32 vcc_lo, s6, v3
                                        ; implicit-def: $vgpr3
	s_and_saveexec_b32 s0, vcc_lo
	s_xor_b32 s0, exec_lo, s0
	s_cbranch_execz .LBB1460_87
; %bb.86:
	v_lshlrev_b16 v3, 8, v7
	v_lshlrev_b16 v5, 8, v8
	v_perm_b32 v1, v1, v1, 0x3060504
                                        ; implicit-def: $vgpr7
                                        ; implicit-def: $vgpr8
	s_delay_alu instid0(VALU_DEP_3) | instskip(NEXT) | instid1(VALU_DEP_3)
	v_bitop3_b16 v3, v2, v3, 0xff bitop3:0xec
	v_bitop3_b16 v5, v6, v5, 0xff bitop3:0xec
                                        ; implicit-def: $vgpr6
	s_delay_alu instid0(VALU_DEP_2) | instskip(NEXT) | instid1(VALU_DEP_2)
	v_and_b32_e32 v3, 0xffff, v3
	v_perm_b32 v5, v5, v4, 0x5040c00
                                        ; implicit-def: $vgpr4
	s_delay_alu instid0(VALU_DEP_2)
	v_and_or_b32 v3, 0xff000000, v2, v3
                                        ; implicit-def: $vgpr2
.LBB1460_87:
	s_and_not1_saveexec_b32 s1, s0
	s_cbranch_execz .LBB1460_91
; %bb.88:
	v_dual_add_nc_u32 v3, s17, v13 :: v_dual_add_nc_u32 v5, s19, v13
	s_mov_b32 s2, 0
	s_mov_b32 s3, exec_lo
	s_delay_alu instid0(VALU_DEP_1) | instskip(NEXT) | instid1(VALU_DEP_2)
	v_mul_lo_u32 v3, v3, s16
	v_mul_lo_u32 v5, v5, s18
	s_delay_alu instid0(VALU_DEP_1) | instskip(NEXT) | instid1(VALU_DEP_1)
	v_sub_nc_u32_e32 v3, v3, v5
	v_cmp_lt_u32_e32 vcc_lo, s20, v3
	v_cmpx_ge_u32_e64 s20, v3
	s_cbranch_execz .LBB1460_90
; %bb.89:
	v_dual_add_nc_u32 v3, s22, v13 :: v_dual_add_nc_u32 v5, s42, v13
	s_delay_alu instid0(VALU_DEP_1) | instskip(NEXT) | instid1(VALU_DEP_2)
	v_mul_lo_u32 v3, v3, s21
	v_mul_lo_u32 v5, v5, s23
	s_delay_alu instid0(VALU_DEP_1) | instskip(NEXT) | instid1(VALU_DEP_1)
	v_sub_nc_u32_e32 v3, v3, v5
	v_cmp_lt_u32_e64 s0, s43, v3
	s_and_b32 s2, s0, exec_lo
.LBB1460_90:
	s_or_b32 exec_lo, exec_lo, s3
	v_cndmask_b32_e64 v3, 0, 1, vcc_lo
	v_lshrrev_b32_e32 v5, 24, v2
	v_cndmask_b32_e64 v9, 0, 1, s2
	v_lshlrev_b16 v8, 8, v8
	v_lshlrev_b16 v7, 8, v7
	;; [unrolled: 1-line block ×4, first 2 shown]
	s_delay_alu instid0(VALU_DEP_4) | instskip(NEXT) | instid1(VALU_DEP_4)
	v_bitop3_b16 v6, v6, v8, 0xff bitop3:0xec
	v_bitop3_b16 v2, v2, v7, 0xff bitop3:0xec
	s_delay_alu instid0(VALU_DEP_4) | instskip(NEXT) | instid1(VALU_DEP_3)
	v_bitop3_b16 v3, v4, v3, 0xff bitop3:0xec
	v_dual_lshlrev_b32 v5, 16, v6 :: v_dual_bitop2_b32 v4, v9, v5 bitop3:0x54
	s_delay_alu instid0(VALU_DEP_3) | instskip(NEXT) | instid1(VALU_DEP_3)
	v_and_b32_e32 v2, 0xffff, v2
	v_and_b32_e32 v3, 0xffff, v3
	s_delay_alu instid0(VALU_DEP_1) | instskip(NEXT) | instid1(VALU_DEP_1)
	v_dual_lshlrev_b32 v4, 16, v4 :: v_dual_bitop2_b32 v5, v3, v5 bitop3:0x54
	v_or_b32_e32 v3, v2, v4
.LBB1460_91:
	s_or_b32 exec_lo, exec_lo, s1
	s_delay_alu instid0(VALU_DEP_2) | instskip(NEXT) | instid1(VALU_DEP_1)
	v_dual_add_nc_u32 v2, 10, v30 :: v_dual_lshrrev_b32 v4, 8, v5
                                        ; implicit-def: $vgpr35
	v_cmp_le_u32_e32 vcc_lo, s6, v2
                                        ; implicit-def: $vgpr2
	s_and_saveexec_b32 s0, vcc_lo
	s_delay_alu instid0(SALU_CYCLE_1)
	s_xor_b32 s0, exec_lo, s0
	s_cbranch_execz .LBB1460_93
; %bb.92:
	v_lshlrev_b16 v2, 8, v4
	v_and_b32_e32 v4, 0xff0000, v3
	v_perm_b32 v1, v1, v1, 0x3060504
	s_delay_alu instid0(VALU_DEP_3) | instskip(NEXT) | instid1(VALU_DEP_3)
	v_bitop3_b16 v2, v5, v2, 0xff bitop3:0xec
	v_perm_b32 v35, v3, v4, 0x3020504
                                        ; implicit-def: $vgpr4
                                        ; implicit-def: $vgpr3
	s_delay_alu instid0(VALU_DEP_2) | instskip(NEXT) | instid1(VALU_DEP_1)
	v_and_b32_e32 v2, 0xffff, v2
	v_and_or_b32 v2, 0xff000000, v5, v2
                                        ; implicit-def: $vgpr5
.LBB1460_93:
	s_and_not1_saveexec_b32 s1, s0
	s_cbranch_execz .LBB1460_97
; %bb.94:
	v_dual_add_nc_u32 v2, s17, v10 :: v_dual_add_nc_u32 v6, s19, v10
	s_mov_b32 s2, 0
	s_mov_b32 s3, exec_lo
	s_delay_alu instid0(VALU_DEP_1) | instskip(NEXT) | instid1(VALU_DEP_2)
	v_mul_lo_u32 v2, v2, s16
	v_mul_lo_u32 v6, v6, s18
	s_delay_alu instid0(VALU_DEP_1) | instskip(NEXT) | instid1(VALU_DEP_1)
	v_sub_nc_u32_e32 v2, v2, v6
	v_cmp_lt_u32_e32 vcc_lo, s20, v2
	v_cmpx_ge_u32_e64 s20, v2
	s_cbranch_execz .LBB1460_96
; %bb.95:
	v_dual_add_nc_u32 v2, s22, v10 :: v_dual_add_nc_u32 v6, s42, v10
	s_delay_alu instid0(VALU_DEP_1) | instskip(NEXT) | instid1(VALU_DEP_2)
	v_mul_lo_u32 v2, v2, s21
	v_mul_lo_u32 v6, v6, s23
	s_delay_alu instid0(VALU_DEP_1) | instskip(NEXT) | instid1(VALU_DEP_1)
	v_sub_nc_u32_e32 v2, v2, v6
	v_cmp_lt_u32_e64 s0, s43, v2
	s_and_b32 s2, s0, exec_lo
.LBB1460_96:
	s_or_b32 exec_lo, exec_lo, s3
	v_dual_lshrrev_b32 v2, 24, v5 :: v_dual_lshrrev_b32 v8, 8, v3
	v_cndmask_b32_e64 v6, 0, 1, s2
	v_cndmask_b32_e64 v7, 0, 1, vcc_lo
	v_lshlrev_b16 v4, 8, v4
	s_delay_alu instid0(VALU_DEP_4)
	v_lshlrev_b16 v2, 8, v2
	v_lshrrev_b32_e32 v9, 16, v3
	v_lshlrev_b16 v6, 8, v6
	v_lshlrev_b16 v8, 8, v8
	v_bitop3_b16 v4, v5, v4, 0xff bitop3:0xec
	v_or_b32_e32 v2, v7, v2
	s_delay_alu instid0(VALU_DEP_4) | instskip(NEXT) | instid1(VALU_DEP_4)
	v_bitop3_b16 v5, v9, v6, 0xff bitop3:0xec
	v_bitop3_b16 v3, v3, v8, 0xff bitop3:0xec
	s_delay_alu instid0(VALU_DEP_4) | instskip(NEXT) | instid1(VALU_DEP_3)
	v_and_b32_e32 v4, 0xffff, v4
	v_dual_lshlrev_b32 v2, 16, v2 :: v_dual_lshlrev_b32 v5, 16, v5
	s_delay_alu instid0(VALU_DEP_3) | instskip(NEXT) | instid1(VALU_DEP_2)
	v_and_b32_e32 v3, 0xffff, v3
	v_or_b32_e32 v2, v4, v2
	s_delay_alu instid0(VALU_DEP_2)
	v_or_b32_e32 v35, v3, v5
.LBB1460_97:
	s_or_b32 exec_lo, exec_lo, s1
	v_dual_mov_b32 v34, 0 :: v_dual_add_nc_u32 v3, 11, v30
	s_mov_b32 s0, exec_lo
                                        ; implicit-def: $vgpr36
	s_delay_alu instid0(VALU_DEP_1)
	v_cmpx_le_u32_e64 s6, v3
	s_xor_b32 s0, exec_lo, s0
; %bb.98:
	v_and_b32_e32 v3, 0xff0000, v2
	v_perm_b32 v1, v1, v1, 0x3060504
	s_delay_alu instid0(VALU_DEP_2)
	v_perm_b32 v36, v2, v3, 0x3020504
                                        ; implicit-def: $vgpr2
; %bb.99:
	s_and_not1_saveexec_b32 s1, s0
	s_cbranch_execz .LBB1460_103
; %bb.100:
	v_dual_add_nc_u32 v3, s17, v11 :: v_dual_add_nc_u32 v4, s19, v11
	s_mov_b32 s2, 0
	s_mov_b32 s3, exec_lo
	s_delay_alu instid0(VALU_DEP_1) | instskip(NEXT) | instid1(VALU_DEP_2)
	v_mul_lo_u32 v3, v3, s16
	v_mul_lo_u32 v4, v4, s18
	s_delay_alu instid0(VALU_DEP_1) | instskip(NEXT) | instid1(VALU_DEP_1)
	v_sub_nc_u32_e32 v3, v3, v4
	v_cmp_lt_u32_e32 vcc_lo, s20, v3
	v_cmpx_ge_u32_e64 s20, v3
	s_cbranch_execz .LBB1460_102
; %bb.101:
	v_dual_add_nc_u32 v3, s22, v11 :: v_dual_add_nc_u32 v4, s42, v11
	s_delay_alu instid0(VALU_DEP_1) | instskip(NEXT) | instid1(VALU_DEP_2)
	v_mul_lo_u32 v3, v3, s21
	v_mul_lo_u32 v4, v4, s23
	s_delay_alu instid0(VALU_DEP_1) | instskip(NEXT) | instid1(VALU_DEP_1)
	v_sub_nc_u32_e32 v3, v3, v4
	v_cmp_lt_u32_e64 s0, s43, v3
	s_and_b32 s2, s0, exec_lo
.LBB1460_102:
	s_or_b32 exec_lo, exec_lo, s3
	v_cndmask_b32_e64 v3, 0, 1, vcc_lo
	v_dual_lshrrev_b32 v4, 8, v2 :: v_dual_lshrrev_b32 v5, 16, v2
	v_cndmask_b32_e64 v34, 0, 1, s2
	s_delay_alu instid0(VALU_DEP_3) | instskip(NEXT) | instid1(VALU_DEP_3)
	v_lshlrev_b16 v3, 8, v3
	v_lshlrev_b16 v4, 8, v4
	s_delay_alu instid0(VALU_DEP_2) | instskip(NEXT) | instid1(VALU_DEP_2)
	v_bitop3_b16 v3, v5, v3, 0xff bitop3:0xec
	v_bitop3_b16 v2, v2, v4, 0xff bitop3:0xec
	s_delay_alu instid0(VALU_DEP_2) | instskip(NEXT) | instid1(VALU_DEP_2)
	v_lshlrev_b32_e32 v3, 16, v3
	v_and_b32_e32 v2, 0xffff, v2
	s_delay_alu instid0(VALU_DEP_1)
	v_or_b32_e32 v36, v2, v3
.LBB1460_103:
	s_or_b32 exec_lo, exec_lo, s1
	v_dual_add_nc_u32 v4, 12, v30 :: v_dual_lshrrev_b32 v2, 8, v1
	v_dual_lshrrev_b32 v3, 16, v1 :: v_dual_lshrrev_b32 v1, 24, v1
	s_mov_b32 s0, exec_lo
                                        ; implicit-def: $vgpr37
	s_delay_alu instid0(VALU_DEP_2)
	v_cmpx_le_u32_e64 s6, v4
	s_xor_b32 s0, exec_lo, s0
; %bb.104:
	s_delay_alu instid0(VALU_DEP_2) | instskip(SKIP_1) | instid1(VALU_DEP_2)
	v_lshlrev_b16 v1, 8, v1
	v_lshlrev_b16 v2, 8, v2
	v_bitop3_b16 v1, v3, v1, 0xff bitop3:0xec
	s_delay_alu instid0(VALU_DEP_2) | instskip(NEXT) | instid1(VALU_DEP_2)
	v_and_b32_e32 v2, 0xffff, v2
                                        ; implicit-def: $vgpr3
	v_lshlrev_b32_e32 v1, 16, v1
	s_delay_alu instid0(VALU_DEP_1)
	v_or_b32_e32 v37, v2, v1
                                        ; implicit-def: $vgpr1
                                        ; implicit-def: $vgpr2
; %bb.105:
	s_or_saveexec_b32 s1, s0
	v_mov_b32_e32 v38, 0
	s_xor_b32 exec_lo, exec_lo, s1
	s_cbranch_execz .LBB1460_109
; %bb.106:
	v_dual_add_nc_u32 v4, s19, v28 :: v_dual_add_nc_u32 v5, s17, v28
	s_mov_b32 s2, 0
	s_mov_b32 s3, exec_lo
	s_delay_alu instid0(VALU_DEP_1) | instskip(NEXT) | instid1(VALU_DEP_2)
	v_mul_lo_u32 v4, v4, s18
	v_mul_lo_u32 v5, v5, s16
	s_delay_alu instid0(VALU_DEP_1) | instskip(NEXT) | instid1(VALU_DEP_1)
	v_sub_nc_u32_e32 v4, v5, v4
	v_cmp_lt_u32_e32 vcc_lo, s20, v4
	v_cmpx_ge_u32_e64 s20, v4
	s_cbranch_execz .LBB1460_108
; %bb.107:
	v_dual_add_nc_u32 v4, s42, v28 :: v_dual_add_nc_u32 v5, s22, v28
	s_delay_alu instid0(VALU_DEP_1) | instskip(NEXT) | instid1(VALU_DEP_2)
	v_mul_lo_u32 v4, v4, s23
	v_mul_lo_u32 v5, v5, s21
	s_delay_alu instid0(VALU_DEP_1) | instskip(NEXT) | instid1(VALU_DEP_1)
	v_sub_nc_u32_e32 v4, v5, v4
	v_cmp_lt_u32_e64 s0, s43, v4
	s_and_b32 s2, s0, exec_lo
.LBB1460_108:
	s_or_b32 exec_lo, exec_lo, s3
	v_cndmask_b32_e64 v4, 0, 1, vcc_lo
	v_lshlrev_b16 v1, 8, v1
	v_lshlrev_b16 v2, 8, v2
	v_cndmask_b32_e64 v38, 0, 1, s2
	s_delay_alu instid0(VALU_DEP_3) | instskip(NEXT) | instid1(VALU_DEP_1)
	v_bitop3_b16 v1, v3, v1, 0xff bitop3:0xec
	v_dual_lshlrev_b32 v1, 16, v1 :: v_dual_bitop2_b32 v2, v4, v2 bitop3:0x54
	s_delay_alu instid0(VALU_DEP_1) | instskip(NEXT) | instid1(VALU_DEP_1)
	v_and_b32_e32 v2, 0xffff, v2
	v_or_b32_e32 v37, v2, v1
.LBB1460_109:
	s_or_b32 exec_lo, exec_lo, s1
.LBB1460_110:
	v_and_b32_e32 v61, 0xff, v31
	s_delay_alu instid0(VALU_DEP_2)
	v_bfe_u32 v62, v37, 8, 8
	v_bfe_u32 v59, v31, 8, 8
	;; [unrolled: 1-line block ×4, first 2 shown]
	v_dual_lshrrev_b32 v44, 24, v37 :: v_dual_lshrrev_b32 v43, 24, v31
	v_and_b32_e32 v57, 0xff, v32
	v_and_b32_e32 v55, 0xff, v33
	v_bfe_u32 v56, v32, 8, 8
	v_add3_u32 v1, v59, v61, v58
	v_add3_u32 v2, v60, v62, v44
	v_bfe_u32 v53, v33, 8, 8
	v_bfe_u32 v54, v32, 16, 8
	;; [unrolled: 1-line block ×3, first 2 shown]
	v_dual_lshrrev_b32 v42, 24, v32 :: v_dual_lshrrev_b32 v41, 24, v33
	v_add3_u32 v1, v1, v43, v55
	v_add3_u32 v2, v2, v57, v56
	v_and_b32_e32 v52, 0xff, v35
	v_and_b32_e32 v48, 0xff, v36
	v_bfe_u32 v50, v35, 8, 8
	v_add3_u32 v1, v1, v53, v51
	v_add3_u32 v2, v2, v54, v42
	v_bfe_u32 v47, v36, 8, 8
	v_bfe_u32 v49, v35, 16, 8
	;; [unrolled: 1-line block ×3, first 2 shown]
	v_dual_lshrrev_b32 v40, 24, v35 :: v_dual_lshrrev_b32 v39, 24, v36
	v_add3_u32 v1, v1, v41, v48
	v_add3_u32 v2, v2, v52, v50
	v_mbcnt_lo_u32_b32 v63, -1, 0
	v_and_b32_e32 v45, 0xff, v34
	v_and_b32_e32 v3, 0xff, v37
	v_and_b32_e32 v4, 0xff, v38
	v_add3_u32 v1, v1, v47, v46
	v_add3_u32 v2, v2, v49, v40
	v_dual_lshrrev_b32 v64, 5, v0 :: v_dual_bitop2_b32 v65, 15, v63 bitop3:0x40
	v_and_b32_e32 v67, 16, v63
	s_delay_alu instid0(VALU_DEP_4) | instskip(NEXT) | instid1(VALU_DEP_4)
	v_add3_u32 v68, v1, v39, v3
	v_add3_u32 v69, v2, v45, v4
	s_wait_xcnt 0x0
	v_cmp_eq_u32_e64 s1, 0, v65
	v_cmp_lt_u32_e64 s0, 1, v65
	v_cmp_lt_u32_e64 s2, 3, v65
	v_or_b32_e32 v66, 31, v0
	s_cmp_lg_u32 s33, 0
	s_mov_b32 s3, -1
	v_cmp_lt_u32_e32 vcc_lo, 7, v65
	s_cbranch_scc0 .LBB1460_131
; %bb.111:
	v_mov_b32_dpp v1, v69 row_shr:1 row_mask:0xf bank_mask:0xf
	v_mov_b32_dpp v2, v68 row_shr:1 row_mask:0xf bank_mask:0xf
	s_mov_b32 s3, exec_lo
	s_delay_alu instid0(VALU_DEP_1) | instskip(NEXT) | instid1(VALU_DEP_1)
	v_dual_add_nc_u32 v1, v1, v69 :: v_dual_add_nc_u32 v2, v2, v68
	v_dual_cndmask_b32 v1, v1, v69, s1 :: v_dual_cndmask_b32 v2, v2, v68, s1
	s_delay_alu instid0(VALU_DEP_1) | instskip(NEXT) | instid1(VALU_DEP_2)
	v_mov_b32_dpp v3, v1 row_shr:2 row_mask:0xf bank_mask:0xf
	v_mov_b32_dpp v4, v2 row_shr:2 row_mask:0xf bank_mask:0xf
	s_delay_alu instid0(VALU_DEP_1) | instskip(NEXT) | instid1(VALU_DEP_1)
	v_dual_add_nc_u32 v3, v1, v3 :: v_dual_add_nc_u32 v4, v2, v4
	v_dual_cndmask_b32 v1, v1, v3, s0 :: v_dual_cndmask_b32 v2, v2, v4, s0
	s_delay_alu instid0(VALU_DEP_1) | instskip(NEXT) | instid1(VALU_DEP_2)
	v_mov_b32_dpp v3, v1 row_shr:4 row_mask:0xf bank_mask:0xf
	v_mov_b32_dpp v4, v2 row_shr:4 row_mask:0xf bank_mask:0xf
	;; [unrolled: 6-line block ×3, first 2 shown]
	s_delay_alu instid0(VALU_DEP_1) | instskip(NEXT) | instid1(VALU_DEP_1)
	v_dual_add_nc_u32 v3, v1, v3 :: v_dual_add_nc_u32 v4, v2, v4
	v_dual_cndmask_b32 v1, v1, v3 :: v_dual_cndmask_b32 v2, v2, v4
	v_cmp_eq_u32_e32 vcc_lo, 0, v67
	ds_swizzle_b32 v3, v1 offset:swizzle(BROADCAST,32,15)
	ds_swizzle_b32 v4, v2 offset:swizzle(BROADCAST,32,15)
	s_wait_dscnt 0x0
	v_dual_add_nc_u32 v3, v1, v3 :: v_dual_add_nc_u32 v4, v2, v4
	v_cmpx_eq_u32_e64 v0, v66
; %bb.112:
	s_delay_alu instid0(VALU_DEP_2) | instskip(NEXT) | instid1(VALU_DEP_3)
	v_dual_lshlrev_b32 v5, 3, v64 :: v_dual_cndmask_b32 v7, v3, v1, vcc_lo
	v_cndmask_b32_e32 v6, v4, v2, vcc_lo
	ds_store_b64 v5, v[6:7]
; %bb.113:
	s_or_b32 exec_lo, exec_lo, s3
	s_delay_alu instid0(SALU_CYCLE_1)
	s_mov_b32 s3, exec_lo
	s_wait_dscnt 0x0
	s_barrier_signal -1
	s_barrier_wait -1
	v_cmpx_gt_u32_e32 8, v0
	s_cbranch_execz .LBB1460_115
; %bb.114:
	v_dual_lshlrev_b32 v5, 3, v0 :: v_dual_bitop2_b32 v22, 7, v63 bitop3:0x40
	ds_load_b64 v[6:7], v5
	v_cmp_eq_u32_e64 s2, 0, v22
	s_wait_dscnt 0x0
	v_mov_b32_dpp v8, v6 row_shr:1 row_mask:0xf bank_mask:0xf
	v_mov_b32_dpp v9, v7 row_shr:1 row_mask:0xf bank_mask:0xf
	s_delay_alu instid0(VALU_DEP_1) | instskip(NEXT) | instid1(VALU_DEP_1)
	v_dual_add_nc_u32 v8, v8, v6 :: v_dual_add_nc_u32 v9, v9, v7
	v_dual_cndmask_b32 v6, v8, v6, s2 :: v_dual_cndmask_b32 v7, v9, v7, s2
	v_cmp_lt_u32_e64 s2, 1, v22
	s_delay_alu instid0(VALU_DEP_2) | instskip(NEXT) | instid1(VALU_DEP_3)
	v_mov_b32_dpp v8, v6 row_shr:2 row_mask:0xf bank_mask:0xf
	v_mov_b32_dpp v9, v7 row_shr:2 row_mask:0xf bank_mask:0xf
	s_delay_alu instid0(VALU_DEP_1) | instskip(NEXT) | instid1(VALU_DEP_1)
	v_dual_add_nc_u32 v8, v6, v8 :: v_dual_add_nc_u32 v9, v7, v9
	v_dual_cndmask_b32 v6, v6, v8, s2 :: v_dual_cndmask_b32 v7, v7, v9, s2
	v_cmp_lt_u32_e64 s2, 3, v22
	s_delay_alu instid0(VALU_DEP_2) | instskip(NEXT) | instid1(VALU_DEP_3)
	v_mov_b32_dpp v8, v6 row_shr:4 row_mask:0xf bank_mask:0xf
	v_mov_b32_dpp v9, v7 row_shr:4 row_mask:0xf bank_mask:0xf
	s_delay_alu instid0(VALU_DEP_1) | instskip(NEXT) | instid1(VALU_DEP_1)
	v_dual_cndmask_b32 v8, 0, v8, s2 :: v_dual_cndmask_b32 v9, 0, v9, s2
	v_dual_add_nc_u32 v6, v8, v6 :: v_dual_add_nc_u32 v7, v9, v7
	ds_store_b64 v5, v[6:7]
.LBB1460_115:
	s_or_b32 exec_lo, exec_lo, s3
	v_dual_cndmask_b32 v1, v3, v1 :: v_dual_cndmask_b32 v2, v4, v2
	s_mov_b32 s3, exec_lo
	v_cmp_gt_u32_e32 vcc_lo, 32, v0
	s_wait_dscnt 0x0
	s_barrier_signal -1
	s_barrier_wait -1
                                        ; implicit-def: $vgpr22
	v_cmpx_lt_u32_e32 31, v0
	s_cbranch_execz .LBB1460_117
; %bb.116:
	v_lshl_add_u32 v3, v64, 3, -8
	ds_load_b64 v[22:23], v3
	s_wait_dscnt 0x0
	v_dual_add_nc_u32 v1, v23, v1 :: v_dual_add_nc_u32 v2, v22, v2
.LBB1460_117:
	s_or_b32 exec_lo, exec_lo, s3
	v_sub_co_u32 v3, s2, v63, 1
	s_delay_alu instid0(VALU_DEP_1) | instskip(NEXT) | instid1(VALU_DEP_1)
	v_cmp_gt_i32_e64 s3, 0, v3
	v_cndmask_b32_e64 v3, v3, v63, s3
	s_delay_alu instid0(VALU_DEP_1)
	v_lshlrev_b32_e32 v3, 2, v3
	ds_bpermute_b32 v70, v3, v2
	ds_bpermute_b32 v1, v3, v1
	s_and_saveexec_b32 s3, vcc_lo
	s_cbranch_execz .LBB1460_136
; %bb.118:
	v_mov_b32_e32 v5, 0
	ds_load_b64 v[2:3], v5 offset:56
	s_and_saveexec_b32 s7, s2
	s_cbranch_execz .LBB1460_120
; %bb.119:
	s_add_co_i32 s8, s33, 32
	s_mov_b32 s9, 0
	v_mov_b32_e32 v4, 1
	s_lshl_b64 s[8:9], s[8:9], 4
	s_wait_kmcnt 0x0
	s_add_nc_u64 s[8:9], s[4:5], s[8:9]
	s_delay_alu instid0(SALU_CYCLE_1)
	v_mov_b64_e32 v[6:7], s[8:9]
	s_wait_dscnt 0x0
	;;#ASMSTART
	global_store_b128 v[6:7], v[2:5] off scope:SCOPE_DEV	
s_wait_storecnt 0x0
	;;#ASMEND
.LBB1460_120:
	s_or_b32 exec_lo, exec_lo, s7
	v_xad_u32 v24, v63, -1, s33
	s_mov_b32 s8, 0
	s_mov_b32 s7, exec_lo
	s_delay_alu instid0(VALU_DEP_1) | instskip(SKIP_1) | instid1(VALU_DEP_1)
	v_add_nc_u32_e32 v4, 32, v24
	s_wait_kmcnt 0x0
	v_lshl_add_u64 v[4:5], v[4:5], 4, s[4:5]
	;;#ASMSTART
	global_load_b128 v[6:9], v[4:5] off scope:SCOPE_DEV	
s_wait_loadcnt 0x0
	;;#ASMEND
	v_and_b32_e32 v9, 0xff, v8
	s_delay_alu instid0(VALU_DEP_1)
	v_cmpx_eq_u16_e32 0, v9
	s_cbranch_execz .LBB1460_123
.LBB1460_121:                           ; =>This Inner Loop Header: Depth=1
	;;#ASMSTART
	global_load_b128 v[6:9], v[4:5] off scope:SCOPE_DEV	
s_wait_loadcnt 0x0
	;;#ASMEND
	v_and_b32_e32 v9, 0xff, v8
	s_delay_alu instid0(VALU_DEP_1) | instskip(SKIP_1) | instid1(SALU_CYCLE_1)
	v_cmp_ne_u16_e32 vcc_lo, 0, v9
	s_or_b32 s8, vcc_lo, s8
	s_and_not1_b32 exec_lo, exec_lo, s8
	s_cbranch_execnz .LBB1460_121
; %bb.122:
	s_or_b32 exec_lo, exec_lo, s8
.LBB1460_123:
	s_delay_alu instid0(SALU_CYCLE_1)
	s_or_b32 exec_lo, exec_lo, s7
	v_cmp_ne_u32_e32 vcc_lo, 31, v63
	v_lshlrev_b32_e64 v72, v63, -1
	v_lshl_or_b32 v79, v63, 2, 64
	v_dual_add_nc_u32 v76, 4, v63 :: v_dual_add_nc_u32 v80, 16, v63
	v_add_co_ci_u32_e64 v4, null, 0, v63, vcc_lo
	s_delay_alu instid0(VALU_DEP_1)
	v_lshlrev_b32_e32 v71, 2, v4
	v_and_b32_e32 v4, 0xff, v8
	ds_bpermute_b32 v5, v71, v7
	v_cmp_eq_u16_e32 vcc_lo, 2, v4
	s_wait_dscnt 0x0
	v_add_nc_u32_e32 v5, v5, v7
	ds_bpermute_b32 v4, v71, v6
	v_and_b32_e32 v9, vcc_lo, v72
	v_cmp_gt_u32_e32 vcc_lo, 30, v63
	v_cndmask_b32_e64 v25, 0, 2, vcc_lo
	s_delay_alu instid0(VALU_DEP_1) | instskip(SKIP_3) | instid1(VALU_DEP_1)
	v_add_lshl_u32 v73, v25, v63, 2
	s_wait_dscnt 0x0
	v_add_nc_u32_e32 v4, v4, v6
	v_or_b32_e32 v9, 0x80000000, v9
	v_ctz_i32_b32_e32 v9, v9
	s_delay_alu instid0(VALU_DEP_1) | instskip(NEXT) | instid1(VALU_DEP_4)
	v_cmp_lt_u32_e32 vcc_lo, v63, v9
	v_dual_cndmask_b32 v5, v7, v5 :: v_dual_cndmask_b32 v4, v6, v4
	v_cmp_gt_u32_e32 vcc_lo, 28, v63
	ds_bpermute_b32 v6, v73, v5
	ds_bpermute_b32 v7, v73, v4
	v_add_nc_u32_e32 v74, 2, v63
	v_cndmask_b32_e64 v25, 0, 4, vcc_lo
	s_delay_alu instid0(VALU_DEP_1) | instskip(SKIP_4) | instid1(VALU_DEP_2)
	v_add_lshl_u32 v75, v25, v63, 2
	s_wait_dscnt 0x1
	v_add_nc_u32_e32 v6, v5, v6
	v_cmp_gt_u32_e32 vcc_lo, v74, v9
	s_wait_dscnt 0x0
	v_dual_add_nc_u32 v7, v4, v7 :: v_dual_cndmask_b32 v5, v6, v5, vcc_lo
	s_delay_alu instid0(VALU_DEP_1)
	v_cndmask_b32_e32 v4, v7, v4, vcc_lo
	v_cmp_gt_u32_e32 vcc_lo, 24, v63
	ds_bpermute_b32 v6, v75, v5
	ds_bpermute_b32 v7, v75, v4
	v_cndmask_b32_e64 v25, 0, 8, vcc_lo
	v_cmp_gt_u32_e32 vcc_lo, v76, v9
	s_delay_alu instid0(VALU_DEP_2) | instskip(SKIP_3) | instid1(VALU_DEP_1)
	v_add_lshl_u32 v77, v25, v63, 2
	s_wait_dscnt 0x1
	v_dual_mov_b32 v25, 0 :: v_dual_add_nc_u32 v6, v5, v6
	s_wait_dscnt 0x0
	v_dual_add_nc_u32 v7, v4, v7 :: v_dual_cndmask_b32 v5, v6, v5, vcc_lo
	s_delay_alu instid0(VALU_DEP_1) | instskip(SKIP_4) | instid1(VALU_DEP_1)
	v_cndmask_b32_e32 v4, v7, v4, vcc_lo
	ds_bpermute_b32 v6, v77, v5
	ds_bpermute_b32 v7, v77, v4
	s_wait_dscnt 0x1
	v_dual_add_nc_u32 v78, 8, v63 :: v_dual_add_nc_u32 v6, v5, v6
	v_cmp_gt_u32_e32 vcc_lo, v78, v9
	s_wait_dscnt 0x0
	s_delay_alu instid0(VALU_DEP_2) | instskip(NEXT) | instid1(VALU_DEP_1)
	v_dual_add_nc_u32 v7, v4, v7 :: v_dual_cndmask_b32 v5, v6, v5, vcc_lo
	v_cndmask_b32_e32 v4, v7, v4, vcc_lo
	v_cmp_le_u32_e32 vcc_lo, v80, v9
	ds_bpermute_b32 v7, v79, v5
	ds_bpermute_b32 v6, v79, v4
	s_wait_dscnt 0x0
	v_dual_cndmask_b32 v7, 0, v7 :: v_dual_cndmask_b32 v6, 0, v6
	s_delay_alu instid0(VALU_DEP_1)
	v_dual_add_nc_u32 v7, v7, v5 :: v_dual_add_nc_u32 v6, v6, v4
	s_branch .LBB1460_127
.LBB1460_124:                           ;   in Loop: Header=BB1460_127 Depth=1
	s_or_b32 exec_lo, exec_lo, s8
.LBB1460_125:                           ;   in Loop: Header=BB1460_127 Depth=1
	s_delay_alu instid0(SALU_CYCLE_1)
	s_or_b32 exec_lo, exec_lo, s7
	ds_bpermute_b32 v9, v71, v6
	ds_bpermute_b32 v26, v71, v7
	v_and_b32_e32 v27, 0xff, v8
	v_subrev_nc_u32_e32 v24, 32, v24
	s_mov_b32 s7, 0
	s_delay_alu instid0(VALU_DEP_2) | instskip(SKIP_1) | instid1(VALU_DEP_1)
	v_cmp_eq_u16_e32 vcc_lo, 2, v27
	v_and_or_b32 v27, vcc_lo, v72, 0x80000000
	v_ctz_i32_b32_e32 v27, v27
	s_wait_dscnt 0x0
	v_dual_add_nc_u32 v9, v9, v6 :: v_dual_add_nc_u32 v26, v26, v7
	s_delay_alu instid0(VALU_DEP_2) | instskip(NEXT) | instid1(VALU_DEP_2)
	v_cmp_lt_u32_e32 vcc_lo, v63, v27
	v_dual_cndmask_b32 v7, v7, v26 :: v_dual_cndmask_b32 v6, v6, v9
	v_cmp_gt_u32_e32 vcc_lo, v74, v27
	ds_bpermute_b32 v26, v73, v7
	ds_bpermute_b32 v9, v73, v6
	s_wait_dscnt 0x0
	v_dual_add_nc_u32 v26, v7, v26 :: v_dual_add_nc_u32 v9, v6, v9
	s_delay_alu instid0(VALU_DEP_1)
	v_dual_cndmask_b32 v7, v26, v7 :: v_dual_cndmask_b32 v6, v9, v6
	v_cmp_gt_u32_e32 vcc_lo, v76, v27
	ds_bpermute_b32 v26, v75, v7
	ds_bpermute_b32 v9, v75, v6
	s_wait_dscnt 0x0
	v_dual_add_nc_u32 v26, v7, v26 :: v_dual_add_nc_u32 v9, v6, v9
	s_delay_alu instid0(VALU_DEP_1)
	;; [unrolled: 7-line block ×3, first 2 shown]
	v_dual_cndmask_b32 v7, v26, v7 :: v_dual_cndmask_b32 v6, v9, v6
	v_cmp_le_u32_e32 vcc_lo, v80, v27
	ds_bpermute_b32 v26, v79, v7
	ds_bpermute_b32 v9, v79, v6
	s_wait_dscnt 0x0
	v_dual_cndmask_b32 v26, 0, v26 :: v_dual_cndmask_b32 v9, 0, v9
	s_delay_alu instid0(VALU_DEP_1) | instskip(NEXT) | instid1(VALU_DEP_2)
	v_add3_u32 v7, v7, v5, v26
	v_add3_u32 v6, v6, v4, v9
.LBB1460_126:                           ;   in Loop: Header=BB1460_127 Depth=1
	s_and_b32 vcc_lo, exec_lo, s7
	s_cbranch_vccnz .LBB1460_132
.LBB1460_127:                           ; =>This Loop Header: Depth=1
                                        ;     Child Loop BB1460_130 Depth 2
	v_and_b32_e32 v4, 0xff, v8
	s_mov_b32 s7, -1
                                        ; implicit-def: $vgpr8
	s_delay_alu instid0(VALU_DEP_1)
	v_cmp_ne_u16_e32 vcc_lo, 2, v4
	v_mov_b64_e32 v[4:5], v[6:7]
                                        ; implicit-def: $vgpr6_vgpr7
	s_cmp_lg_u32 vcc_lo, exec_lo
	s_cbranch_scc1 .LBB1460_126
; %bb.128:                              ;   in Loop: Header=BB1460_127 Depth=1
	v_lshl_add_u64 v[26:27], v[24:25], 4, s[4:5]
	;;#ASMSTART
	global_load_b128 v[6:9], v[26:27] off scope:SCOPE_DEV	
s_wait_loadcnt 0x0
	;;#ASMEND
	v_and_b32_e32 v9, 0xff, v8
	s_mov_b32 s7, exec_lo
	s_delay_alu instid0(VALU_DEP_1)
	v_cmpx_eq_u16_e32 0, v9
	s_cbranch_execz .LBB1460_125
; %bb.129:                              ;   in Loop: Header=BB1460_127 Depth=1
	s_mov_b32 s8, 0
.LBB1460_130:                           ;   Parent Loop BB1460_127 Depth=1
                                        ; =>  This Inner Loop Header: Depth=2
	;;#ASMSTART
	global_load_b128 v[6:9], v[26:27] off scope:SCOPE_DEV	
s_wait_loadcnt 0x0
	;;#ASMEND
	v_and_b32_e32 v9, 0xff, v8
	s_delay_alu instid0(VALU_DEP_1) | instskip(SKIP_1) | instid1(SALU_CYCLE_1)
	v_cmp_ne_u16_e32 vcc_lo, 0, v9
	s_or_b32 s8, vcc_lo, s8
	s_and_not1_b32 exec_lo, exec_lo, s8
	s_cbranch_execnz .LBB1460_130
	s_branch .LBB1460_124
.LBB1460_131:
                                        ; implicit-def: $vgpr1
                                        ; implicit-def: $vgpr4
                                        ; implicit-def: $vgpr6
                                        ; implicit-def: $vgpr8
                                        ; implicit-def: $vgpr22
	s_and_b32 vcc_lo, exec_lo, s3
	s_cbranch_vccnz .LBB1460_137
	s_branch .LBB1460_146
.LBB1460_132:
	s_and_saveexec_b32 s7, s2
	s_cbranch_execz .LBB1460_134
; %bb.133:
	s_add_co_i32 s8, s33, 32
	s_mov_b32 s9, 0
	v_dual_mov_b32 v8, 2 :: v_dual_mov_b32 v9, 0
	s_lshl_b64 s[8:9], s[8:9], 4
	v_dual_add_nc_u32 v7, v5, v3 :: v_dual_add_nc_u32 v6, v4, v2
	s_add_nc_u64 s[8:9], s[4:5], s[8:9]
	s_delay_alu instid0(SALU_CYCLE_1)
	v_mov_b64_e32 v[24:25], s[8:9]
	;;#ASMSTART
	global_store_b128 v[24:25], v[6:9] off scope:SCOPE_DEV	
s_wait_storecnt 0x0
	;;#ASMEND
	ds_store_b128 v9, v[2:5] offset:13312
.LBB1460_134:
	s_or_b32 exec_lo, exec_lo, s7
	v_cmp_eq_u32_e32 vcc_lo, 0, v0
	s_and_b32 exec_lo, exec_lo, vcc_lo
; %bb.135:
	v_mov_b32_e32 v2, 0
	ds_store_b64 v2, v[4:5] offset:56
.LBB1460_136:
	s_or_b32 exec_lo, exec_lo, s3
	s_wait_dscnt 0x0
	v_dual_mov_b32 v2, 0 :: v_dual_cndmask_b32 v1, v1, v23, s2
	s_barrier_signal -1
	s_barrier_wait -1
	ds_load_b64 v[8:9], v2 offset:56
	s_wait_dscnt 0x0
	s_barrier_signal -1
	s_barrier_wait -1
	ds_load_b128 v[2:5], v2 offset:13312
	v_cndmask_b32_e64 v6, v70, v22, s2
	v_cmp_eq_u32_e32 vcc_lo, 0, v0
	s_delay_alu instid0(VALU_DEP_2) | instskip(SKIP_2) | instid1(VALU_DEP_2)
	v_dual_add_nc_u32 v1, v9, v1 :: v_dual_add_nc_u32 v7, v8, v6
	s_wait_dscnt 0x0
	v_mov_b32_e32 v6, v5
	v_dual_cndmask_b32 v1, v1, v9 :: v_dual_cndmask_b32 v22, v7, v8
	v_mov_b32_e32 v8, v3
	s_branch .LBB1460_146
.LBB1460_137:
	v_mov_b32_dpp v1, v68 row_shr:1 row_mask:0xf bank_mask:0xf
	v_mov_b32_dpp v2, v69 row_shr:1 row_mask:0xf bank_mask:0xf
	v_cmp_lt_u32_e32 vcc_lo, 3, v65
	s_delay_alu instid0(VALU_DEP_2) | instskip(NEXT) | instid1(VALU_DEP_1)
	v_dual_add_nc_u32 v1, v1, v68 :: v_dual_add_nc_u32 v2, v2, v69
	v_dual_cndmask_b32 v1, v1, v68, s1 :: v_dual_cndmask_b32 v2, v2, v69, s1
	s_mov_b32 s1, exec_lo
	s_delay_alu instid0(VALU_DEP_1) | instskip(NEXT) | instid1(VALU_DEP_2)
	v_mov_b32_dpp v3, v1 row_shr:2 row_mask:0xf bank_mask:0xf
	v_mov_b32_dpp v4, v2 row_shr:2 row_mask:0xf bank_mask:0xf
	s_delay_alu instid0(VALU_DEP_1) | instskip(NEXT) | instid1(VALU_DEP_1)
	v_dual_add_nc_u32 v3, v1, v3 :: v_dual_add_nc_u32 v4, v2, v4
	v_dual_cndmask_b32 v1, v1, v3, s0 :: v_dual_cndmask_b32 v2, v2, v4, s0
	s_delay_alu instid0(VALU_DEP_1) | instskip(NEXT) | instid1(VALU_DEP_2)
	v_mov_b32_dpp v3, v1 row_shr:4 row_mask:0xf bank_mask:0xf
	v_mov_b32_dpp v4, v2 row_shr:4 row_mask:0xf bank_mask:0xf
	s_delay_alu instid0(VALU_DEP_1) | instskip(NEXT) | instid1(VALU_DEP_1)
	v_dual_add_nc_u32 v3, v1, v3 :: v_dual_add_nc_u32 v4, v2, v4
	v_dual_cndmask_b32 v3, v1, v3 :: v_dual_cndmask_b32 v2, v2, v4
	v_cmp_lt_u32_e32 vcc_lo, 7, v65
	s_delay_alu instid0(VALU_DEP_2) | instskip(NEXT) | instid1(VALU_DEP_3)
	v_mov_b32_dpp v1, v3 row_shr:8 row_mask:0xf bank_mask:0xf
	v_mov_b32_dpp v4, v2 row_shr:8 row_mask:0xf bank_mask:0xf
	s_delay_alu instid0(VALU_DEP_1) | instskip(NEXT) | instid1(VALU_DEP_1)
	v_dual_add_nc_u32 v5, v3, v1 :: v_dual_add_nc_u32 v1, v2, v4
	v_cndmask_b32_e32 v1, v2, v1, vcc_lo
	s_delay_alu instid0(VALU_DEP_2)
	v_cndmask_b32_e32 v2, v3, v5, vcc_lo
	v_cmp_eq_u32_e32 vcc_lo, 0, v67
	ds_swizzle_b32 v4, v2 offset:swizzle(BROADCAST,32,15)
	s_wait_dscnt 0x0
	v_add_nc_u32_e32 v4, v2, v4
	ds_swizzle_b32 v3, v1 offset:swizzle(BROADCAST,32,15)
	s_wait_dscnt 0x0
	v_add_nc_u32_e32 v3, v1, v3
	v_cmpx_eq_u32_e64 v0, v66
; %bb.138:
	s_delay_alu instid0(VALU_DEP_2)
	v_dual_cndmask_b32 v6, v4, v2 :: v_dual_cndmask_b32 v7, v3, v1
	v_lshlrev_b32_e32 v5, 3, v64
	ds_store_b64 v5, v[6:7]
; %bb.139:
	s_or_b32 exec_lo, exec_lo, s1
	s_delay_alu instid0(SALU_CYCLE_1)
	s_mov_b32 s1, exec_lo
	s_wait_dscnt 0x0
	s_barrier_signal -1
	s_barrier_wait -1
	v_cmpx_gt_u32_e32 8, v0
	s_cbranch_execz .LBB1460_141
; %bb.140:
	v_dual_lshlrev_b32 v5, 3, v0 :: v_dual_bitop2_b32 v22, 7, v63 bitop3:0x40
	ds_load_b64 v[6:7], v5
	v_cmp_eq_u32_e64 s0, 0, v22
	s_wait_dscnt 0x0
	v_mov_b32_dpp v8, v6 row_shr:1 row_mask:0xf bank_mask:0xf
	v_mov_b32_dpp v9, v7 row_shr:1 row_mask:0xf bank_mask:0xf
	s_delay_alu instid0(VALU_DEP_1) | instskip(NEXT) | instid1(VALU_DEP_1)
	v_dual_add_nc_u32 v8, v8, v6 :: v_dual_add_nc_u32 v9, v9, v7
	v_dual_cndmask_b32 v6, v8, v6, s0 :: v_dual_cndmask_b32 v7, v9, v7, s0
	v_cmp_lt_u32_e64 s0, 1, v22
	s_delay_alu instid0(VALU_DEP_2) | instskip(NEXT) | instid1(VALU_DEP_3)
	v_mov_b32_dpp v8, v6 row_shr:2 row_mask:0xf bank_mask:0xf
	v_mov_b32_dpp v9, v7 row_shr:2 row_mask:0xf bank_mask:0xf
	s_delay_alu instid0(VALU_DEP_1) | instskip(NEXT) | instid1(VALU_DEP_1)
	v_dual_add_nc_u32 v8, v6, v8 :: v_dual_add_nc_u32 v9, v7, v9
	v_dual_cndmask_b32 v6, v6, v8, s0 :: v_dual_cndmask_b32 v7, v7, v9, s0
	v_cmp_lt_u32_e64 s0, 3, v22
	s_delay_alu instid0(VALU_DEP_2) | instskip(NEXT) | instid1(VALU_DEP_3)
	v_mov_b32_dpp v8, v6 row_shr:4 row_mask:0xf bank_mask:0xf
	v_mov_b32_dpp v9, v7 row_shr:4 row_mask:0xf bank_mask:0xf
	s_delay_alu instid0(VALU_DEP_1) | instskip(NEXT) | instid1(VALU_DEP_1)
	v_dual_cndmask_b32 v8, 0, v8, s0 :: v_dual_cndmask_b32 v9, 0, v9, s0
	v_dual_add_nc_u32 v6, v8, v6 :: v_dual_add_nc_u32 v7, v9, v7
	ds_store_b64 v5, v[6:7]
.LBB1460_141:
	s_or_b32 exec_lo, exec_lo, s1
	v_dual_mov_b32 v5, 0 :: v_dual_mov_b32 v6, 0
	v_mov_b32_e32 v7, 0
	s_mov_b32 s1, exec_lo
	s_wait_dscnt 0x0
	s_barrier_signal -1
	s_barrier_wait -1
	v_cmpx_lt_u32_e32 31, v0
; %bb.142:
	v_lshl_add_u32 v6, v64, 3, -8
	ds_load_b64 v[6:7], v6
; %bb.143:
	s_or_b32 exec_lo, exec_lo, s1
	v_sub_co_u32 v8, s0, v63, 1
	v_dual_cndmask_b32 v2, v4, v2 :: v_dual_cndmask_b32 v1, v3, v1
	v_cmp_eq_u32_e32 vcc_lo, 0, v0
	s_delay_alu instid0(VALU_DEP_3) | instskip(SKIP_1) | instid1(VALU_DEP_1)
	v_cmp_gt_i32_e64 s1, 0, v8
	s_wait_dscnt 0x0
	v_dual_add_nc_u32 v2, v6, v2 :: v_dual_cndmask_b32 v4, v8, v63, s1
	s_delay_alu instid0(VALU_DEP_1)
	v_dual_lshlrev_b32 v3, 2, v4 :: v_dual_add_nc_u32 v4, v7, v1
	ds_bpermute_b32 v1, v3, v2
	ds_bpermute_b32 v8, v3, v4
	ds_load_b64 v[2:3], v5 offset:56
	s_and_saveexec_b32 s1, vcc_lo
	s_cbranch_execz .LBB1460_145
; %bb.144:
	s_wait_kmcnt 0x0
	s_add_nc_u64 s[2:3], s[4:5], 0x200
	v_dual_mov_b32 v4, 2 :: v_dual_mov_b32 v5, 0
	v_mov_b64_e32 v[22:23], s[2:3]
	s_wait_dscnt 0x0
	;;#ASMSTART
	global_store_b128 v[22:23], v[2:5] off scope:SCOPE_DEV	
s_wait_storecnt 0x0
	;;#ASMEND
.LBB1460_145:
	s_or_b32 exec_lo, exec_lo, s1
	s_wait_dscnt 0x1
	v_dual_cndmask_b32 v5, v8, v7, s0 :: v_dual_cndmask_b32 v7, v1, v6, s0
	v_dual_mov_b32 v6, 0 :: v_dual_mov_b32 v4, 0
	s_wait_dscnt 0x0
	v_mov_b32_e32 v8, v3
	s_delay_alu instid0(VALU_DEP_3)
	v_cndmask_b32_e64 v1, v5, 0, vcc_lo
	v_cndmask_b32_e64 v22, v7, 0, vcc_lo
	s_barrier_signal -1
	s_barrier_wait -1
.LBB1460_146:
	s_delay_alu instid0(VALU_DEP_1) | instskip(SKIP_1) | instid1(VALU_DEP_2)
	v_dual_add_nc_u32 v62, v1, v62 :: v_dual_add_nc_u32 v70, v22, v61
	v_dual_mov_b32 v5, 0 :: v_dual_lshrrev_b32 v68, 16, v37
	v_dual_lshrrev_b32 v3, 8, v37 :: v_dual_add_nc_u32 v71, v62, v60
	s_delay_alu instid0(VALU_DEP_3) | instskip(SKIP_1) | instid1(VALU_DEP_3)
	v_dual_add_nc_u32 v59, v70, v59 :: v_dual_lshlrev_b32 v60, 1, v2
	v_dual_sub_nc_u32 v72, v22, v4 :: v_dual_sub_nc_u32 v1, v1, v6
	v_dual_add_nc_u32 v73, v71, v44 :: v_dual_bitop2_b32 v74, 1, v31 bitop3:0x40
	s_delay_alu instid0(VALU_DEP_3) | instskip(NEXT) | instid1(VALU_DEP_3)
	v_dual_add_nc_u32 v58, v59, v58 :: v_dual_bitop2_b32 v75, 1, v3 bitop3:0x40
	v_dual_add_nc_u32 v1, v1, v2 :: v_dual_sub_nc_u32 v70, v70, v4
	s_delay_alu instid0(VALU_DEP_2)
	v_dual_add_nc_u32 v57, v73, v57 :: v_dual_add_nc_u32 v76, v58, v43
	v_mov_b32_e32 v61, v5
	s_wait_kmcnt 0x0
	v_add_nc_u64_e32 v[22:23], s[28:29], v[4:5]
	v_dual_mov_b32 v3, v5 :: v_dual_mov_b32 v7, v5
	v_dual_add_nc_u32 v55, v76, v55 :: v_dual_add_nc_u32 v56, v57, v56
	v_cmp_eq_u32_e32 vcc_lo, 1, v75
	v_dual_lshrrev_b32 v69, 8, v31 :: v_dual_lshrrev_b32 v67, 16, v31
	s_delay_alu instid0(VALU_DEP_3) | instskip(NEXT) | instid1(VALU_DEP_4)
	v_dual_add_nc_u32 v53, v55, v53 :: v_dual_mov_b32 v9, v5
	v_add_nc_u32_e32 v54, v56, v54
	v_add3_u32 v5, v60, v8, v30
	s_delay_alu instid0(VALU_DEP_3) | instskip(NEXT) | instid1(VALU_DEP_3)
	v_dual_sub_nc_u32 v62, v62, v6 :: v_dual_add_nc_u32 v51, v53, v51
	v_dual_add_nc_u32 v78, v72, v1 :: v_dual_add_nc_u32 v77, v54, v42
	s_delay_alu instid0(VALU_DEP_2) | instskip(NEXT) | instid1(VALU_DEP_2)
	v_dual_sub_nc_u32 v59, v59, v4 :: v_dual_add_nc_u32 v62, v62, v2
	v_dual_add_nc_u32 v79, v51, v41 :: v_dual_sub_nc_u32 v78, v5, v78
	s_delay_alu instid0(VALU_DEP_3) | instskip(SKIP_1) | instid1(VALU_DEP_3)
	v_add_nc_u32_e32 v52, v77, v52
	v_dual_sub_nc_u32 v73, v73, v6 :: v_dual_sub_nc_u32 v58, v58, v4
	v_add_nc_u32_e32 v48, v79, v48
	s_delay_alu instid0(VALU_DEP_4) | instskip(SKIP_2) | instid1(VALU_DEP_4)
	v_dual_sub_nc_u32 v71, v71, v6 :: v_dual_cndmask_b32 v1, v78, v1, vcc_lo
	v_cmp_eq_u32_e32 vcc_lo, 1, v74
	v_add_nc_u32_e32 v50, v52, v50
	v_dual_add_nc_u32 v80, v62, v70 :: v_dual_add_nc_u32 v47, v48, v47
	v_dual_lshrrev_b32 v66, 8, v32 :: v_dual_lshrrev_b32 v65, 16, v32
	v_dual_cndmask_b32 v1, v1, v72, vcc_lo :: v_dual_add_nc_u32 v71, v71, v2
	s_delay_alu instid0(VALU_DEP_3) | instskip(NEXT) | instid1(VALU_DEP_4)
	v_dual_add_nc_u32 v49, v50, v49 :: v_dual_add_nc_u32 v46, v47, v46
	v_sub_nc_u32_e32 v74, v5, v80
	s_delay_alu instid0(VALU_DEP_3) | instskip(NEXT) | instid1(VALU_DEP_3)
	v_dual_add_nc_u32 v75, v71, v59 :: v_dual_bitop2_b32 v68, 1, v68 bitop3:0x40
	v_dual_add_nc_u32 v72, v49, v40 :: v_dual_bitop2_b32 v69, 1, v69 bitop3:0x40
	s_delay_alu instid0(VALU_DEP_3) | instskip(NEXT) | instid1(VALU_DEP_3)
	v_add_nc_u32_e32 v74, 1, v74
	v_cmp_eq_u32_e32 vcc_lo, 1, v68
	s_delay_alu instid0(VALU_DEP_3) | instskip(SKIP_1) | instid1(VALU_DEP_4)
	v_dual_sub_nc_u32 v75, v5, v75 :: v_dual_add_nc_u32 v45, v72, v45
	v_dual_add_nc_u32 v68, v73, v2 :: v_dual_bitop2_b32 v44, 1, v44 bitop3:0x40
	v_cndmask_b32_e32 v62, v74, v62, vcc_lo
	v_cmp_eq_u32_e32 vcc_lo, 1, v69
	s_delay_alu instid0(VALU_DEP_3)
	v_dual_add_nc_u32 v73, 2, v75 :: v_dual_add_nc_u32 v69, v58, v68
	v_dual_lshlrev_b32 v1, 2, v1 :: v_dual_bitop2_b32 v67, 1, v67 bitop3:0x40
	v_add_nc_u32_e32 v78, v46, v39
	v_cndmask_b32_e32 v62, v62, v70, vcc_lo
	v_cmp_eq_u32_e32 vcc_lo, 1, v44
	v_dual_sub_nc_u32 v57, v57, v6 :: v_dual_bitop2_b32 v43, 1, v43 bitop3:0x40
	ds_store_b32 v1, v20
	v_dual_lshlrev_b32 v20, 2, v62 :: v_dual_cndmask_b32 v44, v73, v71, vcc_lo
	v_cmp_eq_u32_e32 vcc_lo, 1, v67
	v_sub_nc_u32_e32 v1, v5, v69
	v_dual_lshrrev_b32 v63, 16, v33 :: v_dual_lshrrev_b32 v64, 8, v33
	ds_store_b32 v20, v21
	v_dual_cndmask_b32 v44, v44, v59, vcc_lo :: v_dual_bitop2_b32 v32, 1, v32 bitop3:0x40
	v_dual_add_nc_u32 v1, 3, v1 :: v_dual_add_nc_u32 v57, v57, v2
	v_dual_sub_nc_u32 v54, v54, v6 :: v_dual_lshrrev_b32 v25, 16, v35
	v_lshrrev_b32_e32 v27, 8, v35
	s_delay_alu instid0(VALU_DEP_4)
	v_cmp_eq_u32_e32 vcc_lo, 1, v32
	v_sub_nc_u32_e32 v56, v56, v6
	v_sub_nc_u32_e32 v32, v76, v4
	v_dual_lshrrev_b32 v26, 8, v36 :: v_dual_lshrrev_b32 v24, 16, v36
	v_cndmask_b32_e32 v1, v1, v68, vcc_lo
	v_cmp_eq_u32_e32 vcc_lo, 1, v43
	v_dual_sub_nc_u32 v55, v55, v4 :: v_dual_add_nc_u32 v56, v56, v2
	v_dual_add_nc_u32 v43, v32, v57 :: v_dual_lshlrev_b32 v21, 2, v44
	s_delay_alu instid0(VALU_DEP_4) | instskip(NEXT) | instid1(VALU_DEP_2)
	v_dual_cndmask_b32 v1, v1, v58, vcc_lo :: v_dual_bitop2_b32 v58, 1, v65 bitop3:0x40
	v_dual_add_nc_u32 v20, v55, v56 :: v_dual_sub_nc_u32 v43, v5, v43
	s_delay_alu instid0(VALU_DEP_2) | instskip(NEXT) | instid1(VALU_DEP_2)
	v_dual_lshlrev_b32 v1, 2, v1 :: v_dual_bitop2_b32 v44, 1, v66 bitop3:0x40
	v_dual_sub_nc_u32 v20, v5, v20 :: v_dual_bitop2_b32 v33, 1, v33 bitop3:0x40
	s_delay_alu instid0(VALU_DEP_3) | instskip(NEXT) | instid1(VALU_DEP_3)
	v_add_nc_u32_e32 v43, 4, v43
	v_cmp_eq_u32_e32 vcc_lo, 1, v44
	v_dual_sub_nc_u32 v53, v53, v4 :: v_dual_add_nc_u32 v54, v54, v2
	s_delay_alu instid0(VALU_DEP_4)
	v_add_nc_u32_e32 v20, 5, v20
	ds_store_b32 v21, v18
	v_cndmask_b32_e32 v43, v43, v57, vcc_lo
	v_cmp_eq_u32_e32 vcc_lo, 1, v58
	v_and_b32_e32 v44, 1, v64
	ds_store_b32 v1, v19
	v_and_b32_e32 v21, 1, v63
	v_sub_nc_u64_e32 v[30:31], s[30:31], v[2:3]
	v_dual_cndmask_b32 v20, v20, v56, vcc_lo :: v_dual_add_nc_u32 v56, v53, v54
	v_cmp_eq_u32_e32 vcc_lo, 1, v33
	v_sub_nc_u32_e32 v33, v52, v6
	s_mov_b32 s41, 0
	s_delay_alu instid0(VALU_DEP_3)
	v_dual_sub_nc_u32 v18, v5, v56 :: v_dual_bitop2_b32 v27, 1, v27 bitop3:0x40
	v_cndmask_b32_e32 v32, v43, v32, vcc_lo
	v_cmp_eq_u32_e32 vcc_lo, 1, v44
	v_add_nc_u64_e32 v[30:31], v[30:31], v[6:7]
	s_add_nc_u64 s[0:1], s[34:35], s[40:41]
	v_dual_add_nc_u32 v18, 6, v18 :: v_dual_cndmask_b32 v20, v20, v55, vcc_lo
	v_dual_lshlrev_b32 v1, 2, v32 :: v_dual_sub_nc_u32 v32, v77, v6
	s_delay_alu instid0(VALU_DEP_2)
	v_dual_lshlrev_b32 v19, 2, v20 :: v_dual_bitop2_b32 v20, 1, v42 bitop3:0x40
	v_sub_nc_u32_e32 v42, v79, v4
	ds_store_b32 v1, v16
	ds_store_b32 v19, v17
	v_cmp_eq_u32_e32 vcc_lo, 1, v20
	v_dual_sub_nc_u32 v20, v51, v4 :: v_dual_add_nc_u32 v32, v32, v2
	v_dual_add_nc_u32 v33, v33, v2 :: v_dual_bitop2_b32 v19, 1, v35 bitop3:0x40
	v_cndmask_b32_e32 v18, v18, v54, vcc_lo
	v_cmp_eq_u32_e32 vcc_lo, 1, v21
	s_delay_alu instid0(VALU_DEP_4) | instskip(NEXT) | instid1(VALU_DEP_3)
	v_add_nc_u32_e32 v21, v20, v32
	v_dual_cndmask_b32 v18, v18, v53 :: v_dual_sub_nc_u32 v35, v48, v4
	v_add_nc_u32_e32 v1, v42, v33
	s_delay_alu instid0(VALU_DEP_3) | instskip(SKIP_1) | instid1(VALU_DEP_4)
	v_dual_sub_nc_u32 v17, v5, v21 :: v_dual_sub_nc_u32 v21, v50, v6
	v_cmp_eq_u32_e32 vcc_lo, 1, v19
	v_dual_lshlrev_b32 v16, 2, v18 :: v_dual_bitop2_b32 v18, 1, v41 bitop3:0x40
	s_delay_alu instid0(VALU_DEP_4) | instskip(NEXT) | instid1(VALU_DEP_4)
	v_sub_nc_u32_e32 v1, v5, v1
	v_dual_add_nc_u32 v17, 7, v17 :: v_dual_add_nc_u32 v21, v21, v2
	ds_store_b32 v16, v14
	v_dual_add_nc_u32 v1, 8, v1 :: v_dual_cndmask_b32 v17, v17, v32, vcc_lo
	v_cmp_eq_u32_e32 vcc_lo, 1, v27
	v_dual_add_nc_u32 v27, v35, v21 :: v_dual_bitop2_b32 v19, 1, v36 bitop3:0x40
	s_delay_alu instid0(VALU_DEP_3) | instskip(SKIP_1) | instid1(VALU_DEP_3)
	v_cndmask_b32_e32 v1, v1, v33, vcc_lo
	v_cmp_eq_u32_e32 vcc_lo, 1, v18
	v_dual_sub_nc_u32 v14, v5, v27 :: v_dual_bitop2_b32 v18, 1, v25 bitop3:0x40
	v_cndmask_b32_e32 v17, v17, v20, vcc_lo
	v_cmp_eq_u32_e32 vcc_lo, 1, v19
	v_dual_sub_nc_u32 v19, v47, v4 :: v_dual_cndmask_b32 v1, v1, v42, vcc_lo
	s_delay_alu instid0(VALU_DEP_4) | instskip(NEXT) | instid1(VALU_DEP_2)
	v_cmp_eq_u32_e32 vcc_lo, 1, v18
	v_lshlrev_b32_e32 v1, 2, v1
	v_dual_lshlrev_b32 v16, 2, v17 :: v_dual_sub_nc_u32 v17, v49, v6
	ds_store_b32 v16, v15
	v_add_nc_u32_e32 v17, v17, v2
	v_add_nc_u32_e32 v14, 9, v14
	ds_store_b32 v1, v12
	v_dual_sub_nc_u32 v16, v45, v6 :: v_dual_add_nc_u32 v15, v19, v17
	v_dual_cndmask_b32 v14, v14, v21, vcc_lo :: v_dual_bitop2_b32 v20, 1, v26 bitop3:0x40
	v_sub_nc_u32_e32 v12, v72, v6
	s_delay_alu instid0(VALU_DEP_3) | instskip(NEXT) | instid1(VALU_DEP_3)
	v_add_nc_u32_e32 v16, v16, v2
	v_cmp_eq_u32_e32 vcc_lo, 1, v20
	v_sub_nc_u32_e32 v20, v78, v4
	v_cndmask_b32_e32 v1, v14, v35, vcc_lo
	v_dual_sub_nc_u32 v14, v5, v15 :: v_dual_bitop2_b32 v15, 1, v40 bitop3:0x40
	v_dual_sub_nc_u32 v18, v46, v4 :: v_dual_add_nc_u32 v12, v12, v2
	s_delay_alu instid0(VALU_DEP_2) | instskip(NEXT) | instid1(VALU_DEP_3)
	v_dual_add_nc_u32 v14, 10, v14 :: v_dual_bitop2_b32 v4, 1, v24 bitop3:0x40
	v_cmp_eq_u32_e32 vcc_lo, 1, v15
	v_add_nc_u32_e32 v15, v20, v16
	s_delay_alu instid0(VALU_DEP_4) | instskip(NEXT) | instid1(VALU_DEP_4)
	v_dual_add_nc_u32 v21, v18, v12 :: v_dual_lshlrev_b32 v1, 2, v1
	v_cndmask_b32_e32 v14, v14, v17, vcc_lo
	v_cmp_eq_u32_e32 vcc_lo, 1, v4
	s_delay_alu instid0(VALU_DEP_3) | instskip(SKIP_4) | instid1(VALU_DEP_3)
	v_dual_sub_nc_u32 v17, v5, v21 :: v_dual_sub_nc_u32 v4, v5, v15
	ds_store_b32 v1, v13
	v_dual_cndmask_b32 v14, v14, v19, vcc_lo :: v_dual_bitop2_b32 v19, 1, v34 bitop3:0x40
	v_dual_add_nc_u32 v17, 11, v17 :: v_dual_bitop2_b32 v15, 1, v39 bitop3:0x40
	v_dual_add_nc_u32 v24, 12, v4 :: v_dual_bitop2_b32 v21, 1, v38 bitop3:0x40
	v_cmp_eq_u32_e32 vcc_lo, 1, v19
	v_add_nc_u64_e32 v[4:5], v[8:9], v[60:61]
	s_delay_alu instid0(VALU_DEP_4) | instskip(SKIP_2) | instid1(VALU_DEP_4)
	v_dual_lshlrev_b32 v14, 2, v14 :: v_dual_cndmask_b32 v12, v17, v12, vcc_lo
	v_and_b32_e32 v17, 1, v37
	v_cmp_eq_u32_e32 vcc_lo, 1, v21
	v_add_nc_u64_e32 v[4:5], v[4:5], v[30:31]
	ds_store_b32 v14, v10
	v_cndmask_b32_e32 v16, v24, v16, vcc_lo
	v_cmp_eq_u32_e32 vcc_lo, 1, v15
	v_add_nc_u64_e32 v[4:5], v[4:5], v[22:23]
	v_cndmask_b32_e32 v12, v12, v18, vcc_lo
	v_cmp_eq_u32_e32 vcc_lo, 1, v17
	v_cndmask_b32_e32 v15, v16, v20, vcc_lo
	v_cmp_ne_u32_e32 vcc_lo, 1, v29
	s_delay_alu instid0(VALU_DEP_2)
	v_dual_lshlrev_b32 v10, 2, v15 :: v_dual_lshlrev_b32 v1, 2, v12
	v_lshlrev_b64_e32 v[12:13], 2, v[30:31]
	v_lshlrev_b64_e32 v[14:15], 2, v[22:23]
	s_and_b32 vcc_lo, exec_lo, vcc_lo
	ds_store_b32 v1, v11
	ds_store_b32 v10, v28
	v_sub_nc_u64_e32 v[10:11], s[0:1], v[4:5]
	v_add_nc_u64_e32 v[4:5], s[38:39], v[12:13]
	v_add_nc_u64_e32 v[12:13], s[36:37], v[14:15]
	v_add_nc_u32_e32 v14, v2, v8
	s_mov_b32 s0, -1
	s_wait_dscnt 0x0
	s_barrier_signal -1
	s_barrier_wait -1
	s_cbranch_vccz .LBB1460_150
; %bb.147:
	s_and_b32 vcc_lo, exec_lo, s0
	s_cbranch_vccnz .LBB1460_255
.LBB1460_148:
	v_cmp_eq_u32_e32 vcc_lo, 0, v0
	s_and_b32 s0, vcc_lo, s15
	s_delay_alu instid0(SALU_CYCLE_1)
	s_and_saveexec_b32 s1, s0
	s_cbranch_execnz .LBB1460_373
.LBB1460_149:
	s_sendmsg sendmsg(MSG_DEALLOC_VGPRS)
	s_endpgm
.LBB1460_150:
	s_mov_b32 s0, exec_lo
	v_cmpx_ge_u32_e64 v0, v2
	s_xor_b32 s0, exec_lo, s0
	s_cbranch_execz .LBB1460_156
; %bb.151:
	v_mov_b32_e32 v1, 0
	s_mov_b32 s1, exec_lo
	v_cmpx_ge_u32_e64 v0, v14
	s_xor_b32 s1, exec_lo, s1
	s_cbranch_execz .LBB1460_153
; %bb.152:
	v_lshlrev_b32_e32 v15, 2, v0
	v_add_nc_u64_e32 v[16:17], v[10:11], v[0:1]
	ds_load_b32 v1, v15
	v_lshlrev_b64_e32 v[16:17], 2, v[16:17]
	s_delay_alu instid0(VALU_DEP_1)
	v_sub_nc_u64_e32 v[16:17], s[26:27], v[16:17]
	s_wait_dscnt 0x0
	global_store_b32 v[16:17], v1, off offset:-4
.LBB1460_153:
	s_wait_xcnt 0x0
	s_and_not1_saveexec_b32 s1, s1
	s_cbranch_execz .LBB1460_155
; %bb.154:
	v_lshlrev_b32_e32 v1, 2, v0
	v_readfirstlane_b32 s2, v4
	v_readfirstlane_b32 s3, v5
	ds_load_b32 v1, v1
	s_wait_dscnt 0x0
	global_store_b32 v0, v1, s[2:3] scale_offset
.LBB1460_155:
	s_wait_xcnt 0x0
	s_or_b32 exec_lo, exec_lo, s1
.LBB1460_156:
	s_and_not1_saveexec_b32 s0, s0
	s_cbranch_execz .LBB1460_158
; %bb.157:
	v_lshlrev_b32_e32 v1, 2, v0
	v_readfirstlane_b32 s2, v12
	v_readfirstlane_b32 s3, v13
	ds_load_b32 v1, v1
	s_wait_dscnt 0x0
	global_store_b32 v0, v1, s[2:3] scale_offset
.LBB1460_158:
	s_wait_xcnt 0x0
	s_or_b32 exec_lo, exec_lo, s0
	v_or_b32_e32 v1, 0x100, v0
	s_mov_b32 s0, exec_lo
	s_delay_alu instid0(VALU_DEP_1)
	v_cmpx_ge_u32_e64 v1, v2
	s_xor_b32 s0, exec_lo, s0
	s_cbranch_execz .LBB1460_164
; %bb.159:
	s_mov_b32 s1, exec_lo
	v_cmpx_ge_u32_e64 v1, v14
	s_xor_b32 s1, exec_lo, s1
	s_cbranch_execz .LBB1460_161
; %bb.160:
	v_dual_mov_b32 v1, 0 :: v_dual_lshlrev_b32 v15, 2, v0
	s_delay_alu instid0(VALU_DEP_1) | instskip(SKIP_2) | instid1(VALU_DEP_1)
	v_add_nc_u64_e32 v[16:17], v[10:11], v[0:1]
	ds_load_b32 v1, v15 offset:1024
	v_lshlrev_b64_e32 v[16:17], 2, v[16:17]
	v_sub_nc_u64_e32 v[16:17], s[26:27], v[16:17]
	s_wait_dscnt 0x0
	global_store_b32 v[16:17], v1, off offset:-1028
.LBB1460_161:
	s_wait_xcnt 0x0
	s_and_not1_saveexec_b32 s1, s1
	s_cbranch_execz .LBB1460_163
; %bb.162:
	v_lshlrev_b32_e32 v1, 2, v0
	v_readfirstlane_b32 s2, v4
	v_readfirstlane_b32 s3, v5
	ds_load_b32 v1, v1 offset:1024
	s_wait_dscnt 0x0
	global_store_b32 v0, v1, s[2:3] offset:1024 scale_offset
.LBB1460_163:
	s_wait_xcnt 0x0
	s_or_b32 exec_lo, exec_lo, s1
.LBB1460_164:
	s_and_not1_saveexec_b32 s0, s0
	s_cbranch_execz .LBB1460_166
; %bb.165:
	v_lshlrev_b32_e32 v1, 2, v0
	v_readfirstlane_b32 s2, v12
	v_readfirstlane_b32 s3, v13
	ds_load_b32 v1, v1 offset:1024
	s_wait_dscnt 0x0
	global_store_b32 v0, v1, s[2:3] offset:1024 scale_offset
.LBB1460_166:
	s_wait_xcnt 0x0
	s_or_b32 exec_lo, exec_lo, s0
	v_or_b32_e32 v1, 0x200, v0
	s_mov_b32 s0, exec_lo
	s_delay_alu instid0(VALU_DEP_1)
	v_cmpx_ge_u32_e64 v1, v2
	s_xor_b32 s0, exec_lo, s0
	s_cbranch_execz .LBB1460_172
; %bb.167:
	s_mov_b32 s1, exec_lo
	v_cmpx_ge_u32_e64 v1, v14
	s_xor_b32 s1, exec_lo, s1
	s_cbranch_execz .LBB1460_169
; %bb.168:
	v_dual_mov_b32 v1, 0 :: v_dual_lshlrev_b32 v15, 2, v0
	s_delay_alu instid0(VALU_DEP_1) | instskip(SKIP_2) | instid1(VALU_DEP_1)
	v_add_nc_u64_e32 v[16:17], v[10:11], v[0:1]
	ds_load_b32 v1, v15 offset:2048
	v_lshlrev_b64_e32 v[16:17], 2, v[16:17]
	v_sub_nc_u64_e32 v[16:17], s[26:27], v[16:17]
	s_wait_dscnt 0x0
	global_store_b32 v[16:17], v1, off offset:-2052
.LBB1460_169:
	s_wait_xcnt 0x0
	s_and_not1_saveexec_b32 s1, s1
	s_cbranch_execz .LBB1460_171
; %bb.170:
	v_lshlrev_b32_e32 v1, 2, v0
	v_readfirstlane_b32 s2, v4
	v_readfirstlane_b32 s3, v5
	ds_load_b32 v1, v1 offset:2048
	s_wait_dscnt 0x0
	global_store_b32 v0, v1, s[2:3] offset:2048 scale_offset
.LBB1460_171:
	s_wait_xcnt 0x0
	s_or_b32 exec_lo, exec_lo, s1
.LBB1460_172:
	s_and_not1_saveexec_b32 s0, s0
	s_cbranch_execz .LBB1460_174
; %bb.173:
	v_lshlrev_b32_e32 v1, 2, v0
	v_readfirstlane_b32 s2, v12
	v_readfirstlane_b32 s3, v13
	ds_load_b32 v1, v1 offset:2048
	s_wait_dscnt 0x0
	global_store_b32 v0, v1, s[2:3] offset:2048 scale_offset
.LBB1460_174:
	;; [unrolled: 47-line block ×12, first 2 shown]
	s_wait_xcnt 0x0
	s_or_b32 exec_lo, exec_lo, s0
	s_branch .LBB1460_148
.LBB1460_255:
	s_mov_b32 s0, exec_lo
	v_cmpx_gt_u32_e64 s6, v0
	s_cbranch_execz .LBB1460_264
; %bb.256:
	s_mov_b32 s1, exec_lo
	v_cmpx_ge_u32_e64 v0, v2
	s_xor_b32 s1, exec_lo, s1
	s_cbranch_execz .LBB1460_262
; %bb.257:
	v_mov_b32_e32 v1, 0
	s_mov_b32 s2, exec_lo
	v_cmpx_ge_u32_e64 v0, v14
	s_xor_b32 s2, exec_lo, s2
	s_cbranch_execz .LBB1460_259
; %bb.258:
	v_lshlrev_b32_e32 v15, 2, v0
	v_add_nc_u64_e32 v[16:17], v[10:11], v[0:1]
	ds_load_b32 v1, v15
	v_lshlrev_b64_e32 v[16:17], 2, v[16:17]
	s_delay_alu instid0(VALU_DEP_1)
	v_sub_nc_u64_e32 v[16:17], s[26:27], v[16:17]
	s_wait_dscnt 0x0
	global_store_b32 v[16:17], v1, off offset:-4
.LBB1460_259:
	s_wait_xcnt 0x0
	s_and_not1_saveexec_b32 s2, s2
	s_cbranch_execz .LBB1460_261
; %bb.260:
	v_lshlrev_b32_e32 v1, 2, v0
	v_readfirstlane_b32 s4, v4
	v_readfirstlane_b32 s5, v5
	ds_load_b32 v1, v1
	s_wait_dscnt 0x0
	global_store_b32 v0, v1, s[4:5] scale_offset
.LBB1460_261:
	s_wait_xcnt 0x0
	s_or_b32 exec_lo, exec_lo, s2
.LBB1460_262:
	s_and_not1_saveexec_b32 s1, s1
	s_cbranch_execz .LBB1460_264
; %bb.263:
	v_lshlrev_b32_e32 v1, 2, v0
	v_readfirstlane_b32 s2, v12
	v_readfirstlane_b32 s3, v13
	ds_load_b32 v1, v1
	s_wait_dscnt 0x0
	global_store_b32 v0, v1, s[2:3] scale_offset
.LBB1460_264:
	s_wait_xcnt 0x0
	s_or_b32 exec_lo, exec_lo, s0
	v_or_b32_e32 v1, 0x100, v0
	s_mov_b32 s0, exec_lo
	s_delay_alu instid0(VALU_DEP_1)
	v_cmpx_gt_u32_e64 s6, v1
	s_cbranch_execz .LBB1460_273
; %bb.265:
	s_mov_b32 s1, exec_lo
	v_cmpx_ge_u32_e64 v1, v2
	s_xor_b32 s1, exec_lo, s1
	s_cbranch_execz .LBB1460_271
; %bb.266:
	s_mov_b32 s2, exec_lo
	v_cmpx_ge_u32_e64 v1, v14
	s_xor_b32 s2, exec_lo, s2
	s_cbranch_execz .LBB1460_268
; %bb.267:
	v_dual_mov_b32 v1, 0 :: v_dual_lshlrev_b32 v15, 2, v0
	s_delay_alu instid0(VALU_DEP_1) | instskip(SKIP_2) | instid1(VALU_DEP_1)
	v_add_nc_u64_e32 v[16:17], v[10:11], v[0:1]
	ds_load_b32 v1, v15 offset:1024
	v_lshlrev_b64_e32 v[16:17], 2, v[16:17]
	v_sub_nc_u64_e32 v[16:17], s[26:27], v[16:17]
	s_wait_dscnt 0x0
	global_store_b32 v[16:17], v1, off offset:-1028
.LBB1460_268:
	s_wait_xcnt 0x0
	s_and_not1_saveexec_b32 s2, s2
	s_cbranch_execz .LBB1460_270
; %bb.269:
	v_lshlrev_b32_e32 v1, 2, v0
	v_readfirstlane_b32 s4, v4
	v_readfirstlane_b32 s5, v5
	ds_load_b32 v1, v1 offset:1024
	s_wait_dscnt 0x0
	global_store_b32 v0, v1, s[4:5] offset:1024 scale_offset
.LBB1460_270:
	s_wait_xcnt 0x0
	s_or_b32 exec_lo, exec_lo, s2
.LBB1460_271:
	s_and_not1_saveexec_b32 s1, s1
	s_cbranch_execz .LBB1460_273
; %bb.272:
	v_lshlrev_b32_e32 v1, 2, v0
	v_readfirstlane_b32 s2, v12
	v_readfirstlane_b32 s3, v13
	ds_load_b32 v1, v1 offset:1024
	s_wait_dscnt 0x0
	global_store_b32 v0, v1, s[2:3] offset:1024 scale_offset
.LBB1460_273:
	s_wait_xcnt 0x0
	s_or_b32 exec_lo, exec_lo, s0
	v_or_b32_e32 v1, 0x200, v0
	s_mov_b32 s0, exec_lo
	s_delay_alu instid0(VALU_DEP_1)
	v_cmpx_gt_u32_e64 s6, v1
	s_cbranch_execz .LBB1460_282
; %bb.274:
	s_mov_b32 s1, exec_lo
	v_cmpx_ge_u32_e64 v1, v2
	s_xor_b32 s1, exec_lo, s1
	s_cbranch_execz .LBB1460_280
; %bb.275:
	s_mov_b32 s2, exec_lo
	v_cmpx_ge_u32_e64 v1, v14
	s_xor_b32 s2, exec_lo, s2
	s_cbranch_execz .LBB1460_277
; %bb.276:
	v_dual_mov_b32 v1, 0 :: v_dual_lshlrev_b32 v15, 2, v0
	s_delay_alu instid0(VALU_DEP_1) | instskip(SKIP_2) | instid1(VALU_DEP_1)
	v_add_nc_u64_e32 v[16:17], v[10:11], v[0:1]
	ds_load_b32 v1, v15 offset:2048
	v_lshlrev_b64_e32 v[16:17], 2, v[16:17]
	v_sub_nc_u64_e32 v[16:17], s[26:27], v[16:17]
	s_wait_dscnt 0x0
	global_store_b32 v[16:17], v1, off offset:-2052
.LBB1460_277:
	s_wait_xcnt 0x0
	s_and_not1_saveexec_b32 s2, s2
	s_cbranch_execz .LBB1460_279
; %bb.278:
	v_lshlrev_b32_e32 v1, 2, v0
	v_readfirstlane_b32 s4, v4
	v_readfirstlane_b32 s5, v5
	ds_load_b32 v1, v1 offset:2048
	s_wait_dscnt 0x0
	global_store_b32 v0, v1, s[4:5] offset:2048 scale_offset
.LBB1460_279:
	s_wait_xcnt 0x0
	s_or_b32 exec_lo, exec_lo, s2
.LBB1460_280:
	s_and_not1_saveexec_b32 s1, s1
	s_cbranch_execz .LBB1460_282
; %bb.281:
	v_lshlrev_b32_e32 v1, 2, v0
	v_readfirstlane_b32 s2, v12
	v_readfirstlane_b32 s3, v13
	ds_load_b32 v1, v1 offset:2048
	s_wait_dscnt 0x0
	global_store_b32 v0, v1, s[2:3] offset:2048 scale_offset
.LBB1460_282:
	;; [unrolled: 51-line block ×11, first 2 shown]
	s_wait_xcnt 0x0
	s_or_b32 exec_lo, exec_lo, s0
	v_or_b32_e32 v1, 0xc00, v0
	s_mov_b32 s0, exec_lo
	s_delay_alu instid0(VALU_DEP_1)
	v_cmpx_gt_u32_e64 s6, v1
	s_cbranch_execz .LBB1460_372
; %bb.364:
	s_mov_b32 s1, exec_lo
	v_cmpx_ge_u32_e64 v1, v2
	s_xor_b32 s1, exec_lo, s1
	s_cbranch_execz .LBB1460_370
; %bb.365:
	s_mov_b32 s2, exec_lo
	v_cmpx_ge_u32_e64 v1, v14
	s_xor_b32 s2, exec_lo, s2
	s_cbranch_execz .LBB1460_367
; %bb.366:
	v_dual_mov_b32 v1, 0 :: v_dual_lshlrev_b32 v12, 2, v0
	s_delay_alu instid0(VALU_DEP_1) | instskip(SKIP_2) | instid1(VALU_DEP_1)
	v_add_nc_u64_e32 v[4:5], v[10:11], v[0:1]
	ds_load_b32 v1, v12 offset:12288
	v_lshlrev_b64_e32 v[4:5], 2, v[4:5]
	v_sub_nc_u64_e32 v[4:5], s[26:27], v[4:5]
	s_wait_dscnt 0x0
	global_store_b32 v[4:5], v1, off offset:-12292
                                        ; implicit-def: $vgpr4_vgpr5
.LBB1460_367:
	s_wait_xcnt 0x0
	s_and_not1_saveexec_b32 s2, s2
	s_cbranch_execz .LBB1460_369
; %bb.368:
	v_lshlrev_b32_e32 v1, 2, v0
	v_readfirstlane_b32 s4, v4
	v_readfirstlane_b32 s5, v5
	ds_load_b32 v1, v1 offset:12288
	s_wait_dscnt 0x0
	global_store_b32 v0, v1, s[4:5] offset:12288 scale_offset
.LBB1460_369:
	s_wait_xcnt 0x0
	s_or_b32 exec_lo, exec_lo, s2
                                        ; implicit-def: $vgpr12_vgpr13
.LBB1460_370:
	s_and_not1_saveexec_b32 s1, s1
	s_cbranch_execz .LBB1460_372
; %bb.371:
	v_lshlrev_b32_e32 v1, 2, v0
	v_readfirstlane_b32 s2, v12
	v_readfirstlane_b32 s3, v13
	ds_load_b32 v1, v1 offset:12288
	s_wait_dscnt 0x0
	global_store_b32 v0, v1, s[2:3] offset:12288 scale_offset
.LBB1460_372:
	s_wait_xcnt 0x0
	s_or_b32 exec_lo, exec_lo, s0
	v_cmp_eq_u32_e32 vcc_lo, 0, v0
	s_and_b32 s0, vcc_lo, s15
	s_delay_alu instid0(SALU_CYCLE_1)
	s_and_saveexec_b32 s1, s0
	s_cbranch_execz .LBB1460_149
.LBB1460_373:
	v_add_nc_u64_e32 v[0:1], s[30:31], v[8:9]
	v_add_nc_u64_e32 v[2:3], v[22:23], v[2:3]
	s_delay_alu instid0(VALU_DEP_2)
	v_add_nc_u64_e32 v[4:5], v[0:1], v[6:7]
	v_mov_b32_e32 v0, 0
	global_store_b128 v0, v[2:5], s[24:25]
	s_sendmsg sendmsg(MSG_DEALLOC_VGPRS)
	s_endpgm
	.section	.rodata,"a",@progbits
	.p2align	6, 0x0
	.amdhsa_kernel _ZN7rocprim17ROCPRIM_400000_NS6detail17trampoline_kernelINS0_13select_configILj256ELj13ELNS0_17block_load_methodE3ELS4_3ELS4_3ELNS0_20block_scan_algorithmE0ELj4294967295EEENS1_25partition_config_selectorILNS1_17partition_subalgoE4EjNS0_10empty_typeEbEEZZNS1_14partition_implILS8_4ELb0ES6_15HIP_vector_typeIjLj2EENS0_17counting_iteratorIjlEEPS9_SG_NS0_5tupleIJPjSI_NS0_16reverse_iteratorISI_EEEEENSH_IJSG_SG_SG_EEES9_SI_JZNS1_25segmented_radix_sort_implINS0_14default_configELb1EPKbPbPKlPlN2at6native12_GLOBAL__N_18offset_tEEE10hipError_tPvRmT1_PNSt15iterator_traitsIS12_E10value_typeET2_T3_PNS13_IS18_E10value_typeET4_jRbjT5_S1E_jjP12ihipStream_tbEUljE_ZNSN_ISO_Lb1ESQ_SR_ST_SU_SY_EESZ_S10_S11_S12_S16_S17_S18_S1B_S1C_jS1D_jS1E_S1E_jjS1G_bEUljE0_EEESZ_S10_S11_S18_S1C_S1E_T6_T7_T9_mT8_S1G_bDpT10_ENKUlT_T0_E_clISt17integral_constantIbLb0EES1U_EEDaS1P_S1Q_EUlS1P_E_NS1_11comp_targetILNS1_3genE0ELNS1_11target_archE4294967295ELNS1_3gpuE0ELNS1_3repE0EEENS1_30default_config_static_selectorELNS0_4arch9wavefront6targetE0EEEvS12_
		.amdhsa_group_segment_fixed_size 13328
		.amdhsa_private_segment_fixed_size 0
		.amdhsa_kernarg_size 176
		.amdhsa_user_sgpr_count 2
		.amdhsa_user_sgpr_dispatch_ptr 0
		.amdhsa_user_sgpr_queue_ptr 0
		.amdhsa_user_sgpr_kernarg_segment_ptr 1
		.amdhsa_user_sgpr_dispatch_id 0
		.amdhsa_user_sgpr_kernarg_preload_length 0
		.amdhsa_user_sgpr_kernarg_preload_offset 0
		.amdhsa_user_sgpr_private_segment_size 0
		.amdhsa_wavefront_size32 1
		.amdhsa_uses_dynamic_stack 0
		.amdhsa_enable_private_segment 0
		.amdhsa_system_sgpr_workgroup_id_x 1
		.amdhsa_system_sgpr_workgroup_id_y 0
		.amdhsa_system_sgpr_workgroup_id_z 0
		.amdhsa_system_sgpr_workgroup_info 0
		.amdhsa_system_vgpr_workitem_id 0
		.amdhsa_next_free_vgpr 81
		.amdhsa_next_free_sgpr 59
		.amdhsa_named_barrier_count 0
		.amdhsa_reserve_vcc 1
		.amdhsa_float_round_mode_32 0
		.amdhsa_float_round_mode_16_64 0
		.amdhsa_float_denorm_mode_32 3
		.amdhsa_float_denorm_mode_16_64 3
		.amdhsa_fp16_overflow 0
		.amdhsa_memory_ordered 1
		.amdhsa_forward_progress 1
		.amdhsa_inst_pref_size 139
		.amdhsa_round_robin_scheduling 0
		.amdhsa_exception_fp_ieee_invalid_op 0
		.amdhsa_exception_fp_denorm_src 0
		.amdhsa_exception_fp_ieee_div_zero 0
		.amdhsa_exception_fp_ieee_overflow 0
		.amdhsa_exception_fp_ieee_underflow 0
		.amdhsa_exception_fp_ieee_inexact 0
		.amdhsa_exception_int_div_zero 0
	.end_amdhsa_kernel
	.section	.text._ZN7rocprim17ROCPRIM_400000_NS6detail17trampoline_kernelINS0_13select_configILj256ELj13ELNS0_17block_load_methodE3ELS4_3ELS4_3ELNS0_20block_scan_algorithmE0ELj4294967295EEENS1_25partition_config_selectorILNS1_17partition_subalgoE4EjNS0_10empty_typeEbEEZZNS1_14partition_implILS8_4ELb0ES6_15HIP_vector_typeIjLj2EENS0_17counting_iteratorIjlEEPS9_SG_NS0_5tupleIJPjSI_NS0_16reverse_iteratorISI_EEEEENSH_IJSG_SG_SG_EEES9_SI_JZNS1_25segmented_radix_sort_implINS0_14default_configELb1EPKbPbPKlPlN2at6native12_GLOBAL__N_18offset_tEEE10hipError_tPvRmT1_PNSt15iterator_traitsIS12_E10value_typeET2_T3_PNS13_IS18_E10value_typeET4_jRbjT5_S1E_jjP12ihipStream_tbEUljE_ZNSN_ISO_Lb1ESQ_SR_ST_SU_SY_EESZ_S10_S11_S12_S16_S17_S18_S1B_S1C_jS1D_jS1E_S1E_jjS1G_bEUljE0_EEESZ_S10_S11_S18_S1C_S1E_T6_T7_T9_mT8_S1G_bDpT10_ENKUlT_T0_E_clISt17integral_constantIbLb0EES1U_EEDaS1P_S1Q_EUlS1P_E_NS1_11comp_targetILNS1_3genE0ELNS1_11target_archE4294967295ELNS1_3gpuE0ELNS1_3repE0EEENS1_30default_config_static_selectorELNS0_4arch9wavefront6targetE0EEEvS12_,"axG",@progbits,_ZN7rocprim17ROCPRIM_400000_NS6detail17trampoline_kernelINS0_13select_configILj256ELj13ELNS0_17block_load_methodE3ELS4_3ELS4_3ELNS0_20block_scan_algorithmE0ELj4294967295EEENS1_25partition_config_selectorILNS1_17partition_subalgoE4EjNS0_10empty_typeEbEEZZNS1_14partition_implILS8_4ELb0ES6_15HIP_vector_typeIjLj2EENS0_17counting_iteratorIjlEEPS9_SG_NS0_5tupleIJPjSI_NS0_16reverse_iteratorISI_EEEEENSH_IJSG_SG_SG_EEES9_SI_JZNS1_25segmented_radix_sort_implINS0_14default_configELb1EPKbPbPKlPlN2at6native12_GLOBAL__N_18offset_tEEE10hipError_tPvRmT1_PNSt15iterator_traitsIS12_E10value_typeET2_T3_PNS13_IS18_E10value_typeET4_jRbjT5_S1E_jjP12ihipStream_tbEUljE_ZNSN_ISO_Lb1ESQ_SR_ST_SU_SY_EESZ_S10_S11_S12_S16_S17_S18_S1B_S1C_jS1D_jS1E_S1E_jjS1G_bEUljE0_EEESZ_S10_S11_S18_S1C_S1E_T6_T7_T9_mT8_S1G_bDpT10_ENKUlT_T0_E_clISt17integral_constantIbLb0EES1U_EEDaS1P_S1Q_EUlS1P_E_NS1_11comp_targetILNS1_3genE0ELNS1_11target_archE4294967295ELNS1_3gpuE0ELNS1_3repE0EEENS1_30default_config_static_selectorELNS0_4arch9wavefront6targetE0EEEvS12_,comdat
.Lfunc_end1460:
	.size	_ZN7rocprim17ROCPRIM_400000_NS6detail17trampoline_kernelINS0_13select_configILj256ELj13ELNS0_17block_load_methodE3ELS4_3ELS4_3ELNS0_20block_scan_algorithmE0ELj4294967295EEENS1_25partition_config_selectorILNS1_17partition_subalgoE4EjNS0_10empty_typeEbEEZZNS1_14partition_implILS8_4ELb0ES6_15HIP_vector_typeIjLj2EENS0_17counting_iteratorIjlEEPS9_SG_NS0_5tupleIJPjSI_NS0_16reverse_iteratorISI_EEEEENSH_IJSG_SG_SG_EEES9_SI_JZNS1_25segmented_radix_sort_implINS0_14default_configELb1EPKbPbPKlPlN2at6native12_GLOBAL__N_18offset_tEEE10hipError_tPvRmT1_PNSt15iterator_traitsIS12_E10value_typeET2_T3_PNS13_IS18_E10value_typeET4_jRbjT5_S1E_jjP12ihipStream_tbEUljE_ZNSN_ISO_Lb1ESQ_SR_ST_SU_SY_EESZ_S10_S11_S12_S16_S17_S18_S1B_S1C_jS1D_jS1E_S1E_jjS1G_bEUljE0_EEESZ_S10_S11_S18_S1C_S1E_T6_T7_T9_mT8_S1G_bDpT10_ENKUlT_T0_E_clISt17integral_constantIbLb0EES1U_EEDaS1P_S1Q_EUlS1P_E_NS1_11comp_targetILNS1_3genE0ELNS1_11target_archE4294967295ELNS1_3gpuE0ELNS1_3repE0EEENS1_30default_config_static_selectorELNS0_4arch9wavefront6targetE0EEEvS12_, .Lfunc_end1460-_ZN7rocprim17ROCPRIM_400000_NS6detail17trampoline_kernelINS0_13select_configILj256ELj13ELNS0_17block_load_methodE3ELS4_3ELS4_3ELNS0_20block_scan_algorithmE0ELj4294967295EEENS1_25partition_config_selectorILNS1_17partition_subalgoE4EjNS0_10empty_typeEbEEZZNS1_14partition_implILS8_4ELb0ES6_15HIP_vector_typeIjLj2EENS0_17counting_iteratorIjlEEPS9_SG_NS0_5tupleIJPjSI_NS0_16reverse_iteratorISI_EEEEENSH_IJSG_SG_SG_EEES9_SI_JZNS1_25segmented_radix_sort_implINS0_14default_configELb1EPKbPbPKlPlN2at6native12_GLOBAL__N_18offset_tEEE10hipError_tPvRmT1_PNSt15iterator_traitsIS12_E10value_typeET2_T3_PNS13_IS18_E10value_typeET4_jRbjT5_S1E_jjP12ihipStream_tbEUljE_ZNSN_ISO_Lb1ESQ_SR_ST_SU_SY_EESZ_S10_S11_S12_S16_S17_S18_S1B_S1C_jS1D_jS1E_S1E_jjS1G_bEUljE0_EEESZ_S10_S11_S18_S1C_S1E_T6_T7_T9_mT8_S1G_bDpT10_ENKUlT_T0_E_clISt17integral_constantIbLb0EES1U_EEDaS1P_S1Q_EUlS1P_E_NS1_11comp_targetILNS1_3genE0ELNS1_11target_archE4294967295ELNS1_3gpuE0ELNS1_3repE0EEENS1_30default_config_static_selectorELNS0_4arch9wavefront6targetE0EEEvS12_
                                        ; -- End function
	.set _ZN7rocprim17ROCPRIM_400000_NS6detail17trampoline_kernelINS0_13select_configILj256ELj13ELNS0_17block_load_methodE3ELS4_3ELS4_3ELNS0_20block_scan_algorithmE0ELj4294967295EEENS1_25partition_config_selectorILNS1_17partition_subalgoE4EjNS0_10empty_typeEbEEZZNS1_14partition_implILS8_4ELb0ES6_15HIP_vector_typeIjLj2EENS0_17counting_iteratorIjlEEPS9_SG_NS0_5tupleIJPjSI_NS0_16reverse_iteratorISI_EEEEENSH_IJSG_SG_SG_EEES9_SI_JZNS1_25segmented_radix_sort_implINS0_14default_configELb1EPKbPbPKlPlN2at6native12_GLOBAL__N_18offset_tEEE10hipError_tPvRmT1_PNSt15iterator_traitsIS12_E10value_typeET2_T3_PNS13_IS18_E10value_typeET4_jRbjT5_S1E_jjP12ihipStream_tbEUljE_ZNSN_ISO_Lb1ESQ_SR_ST_SU_SY_EESZ_S10_S11_S12_S16_S17_S18_S1B_S1C_jS1D_jS1E_S1E_jjS1G_bEUljE0_EEESZ_S10_S11_S18_S1C_S1E_T6_T7_T9_mT8_S1G_bDpT10_ENKUlT_T0_E_clISt17integral_constantIbLb0EES1U_EEDaS1P_S1Q_EUlS1P_E_NS1_11comp_targetILNS1_3genE0ELNS1_11target_archE4294967295ELNS1_3gpuE0ELNS1_3repE0EEENS1_30default_config_static_selectorELNS0_4arch9wavefront6targetE0EEEvS12_.num_vgpr, 81
	.set _ZN7rocprim17ROCPRIM_400000_NS6detail17trampoline_kernelINS0_13select_configILj256ELj13ELNS0_17block_load_methodE3ELS4_3ELS4_3ELNS0_20block_scan_algorithmE0ELj4294967295EEENS1_25partition_config_selectorILNS1_17partition_subalgoE4EjNS0_10empty_typeEbEEZZNS1_14partition_implILS8_4ELb0ES6_15HIP_vector_typeIjLj2EENS0_17counting_iteratorIjlEEPS9_SG_NS0_5tupleIJPjSI_NS0_16reverse_iteratorISI_EEEEENSH_IJSG_SG_SG_EEES9_SI_JZNS1_25segmented_radix_sort_implINS0_14default_configELb1EPKbPbPKlPlN2at6native12_GLOBAL__N_18offset_tEEE10hipError_tPvRmT1_PNSt15iterator_traitsIS12_E10value_typeET2_T3_PNS13_IS18_E10value_typeET4_jRbjT5_S1E_jjP12ihipStream_tbEUljE_ZNSN_ISO_Lb1ESQ_SR_ST_SU_SY_EESZ_S10_S11_S12_S16_S17_S18_S1B_S1C_jS1D_jS1E_S1E_jjS1G_bEUljE0_EEESZ_S10_S11_S18_S1C_S1E_T6_T7_T9_mT8_S1G_bDpT10_ENKUlT_T0_E_clISt17integral_constantIbLb0EES1U_EEDaS1P_S1Q_EUlS1P_E_NS1_11comp_targetILNS1_3genE0ELNS1_11target_archE4294967295ELNS1_3gpuE0ELNS1_3repE0EEENS1_30default_config_static_selectorELNS0_4arch9wavefront6targetE0EEEvS12_.num_agpr, 0
	.set _ZN7rocprim17ROCPRIM_400000_NS6detail17trampoline_kernelINS0_13select_configILj256ELj13ELNS0_17block_load_methodE3ELS4_3ELS4_3ELNS0_20block_scan_algorithmE0ELj4294967295EEENS1_25partition_config_selectorILNS1_17partition_subalgoE4EjNS0_10empty_typeEbEEZZNS1_14partition_implILS8_4ELb0ES6_15HIP_vector_typeIjLj2EENS0_17counting_iteratorIjlEEPS9_SG_NS0_5tupleIJPjSI_NS0_16reverse_iteratorISI_EEEEENSH_IJSG_SG_SG_EEES9_SI_JZNS1_25segmented_radix_sort_implINS0_14default_configELb1EPKbPbPKlPlN2at6native12_GLOBAL__N_18offset_tEEE10hipError_tPvRmT1_PNSt15iterator_traitsIS12_E10value_typeET2_T3_PNS13_IS18_E10value_typeET4_jRbjT5_S1E_jjP12ihipStream_tbEUljE_ZNSN_ISO_Lb1ESQ_SR_ST_SU_SY_EESZ_S10_S11_S12_S16_S17_S18_S1B_S1C_jS1D_jS1E_S1E_jjS1G_bEUljE0_EEESZ_S10_S11_S18_S1C_S1E_T6_T7_T9_mT8_S1G_bDpT10_ENKUlT_T0_E_clISt17integral_constantIbLb0EES1U_EEDaS1P_S1Q_EUlS1P_E_NS1_11comp_targetILNS1_3genE0ELNS1_11target_archE4294967295ELNS1_3gpuE0ELNS1_3repE0EEENS1_30default_config_static_selectorELNS0_4arch9wavefront6targetE0EEEvS12_.numbered_sgpr, 59
	.set _ZN7rocprim17ROCPRIM_400000_NS6detail17trampoline_kernelINS0_13select_configILj256ELj13ELNS0_17block_load_methodE3ELS4_3ELS4_3ELNS0_20block_scan_algorithmE0ELj4294967295EEENS1_25partition_config_selectorILNS1_17partition_subalgoE4EjNS0_10empty_typeEbEEZZNS1_14partition_implILS8_4ELb0ES6_15HIP_vector_typeIjLj2EENS0_17counting_iteratorIjlEEPS9_SG_NS0_5tupleIJPjSI_NS0_16reverse_iteratorISI_EEEEENSH_IJSG_SG_SG_EEES9_SI_JZNS1_25segmented_radix_sort_implINS0_14default_configELb1EPKbPbPKlPlN2at6native12_GLOBAL__N_18offset_tEEE10hipError_tPvRmT1_PNSt15iterator_traitsIS12_E10value_typeET2_T3_PNS13_IS18_E10value_typeET4_jRbjT5_S1E_jjP12ihipStream_tbEUljE_ZNSN_ISO_Lb1ESQ_SR_ST_SU_SY_EESZ_S10_S11_S12_S16_S17_S18_S1B_S1C_jS1D_jS1E_S1E_jjS1G_bEUljE0_EEESZ_S10_S11_S18_S1C_S1E_T6_T7_T9_mT8_S1G_bDpT10_ENKUlT_T0_E_clISt17integral_constantIbLb0EES1U_EEDaS1P_S1Q_EUlS1P_E_NS1_11comp_targetILNS1_3genE0ELNS1_11target_archE4294967295ELNS1_3gpuE0ELNS1_3repE0EEENS1_30default_config_static_selectorELNS0_4arch9wavefront6targetE0EEEvS12_.num_named_barrier, 0
	.set _ZN7rocprim17ROCPRIM_400000_NS6detail17trampoline_kernelINS0_13select_configILj256ELj13ELNS0_17block_load_methodE3ELS4_3ELS4_3ELNS0_20block_scan_algorithmE0ELj4294967295EEENS1_25partition_config_selectorILNS1_17partition_subalgoE4EjNS0_10empty_typeEbEEZZNS1_14partition_implILS8_4ELb0ES6_15HIP_vector_typeIjLj2EENS0_17counting_iteratorIjlEEPS9_SG_NS0_5tupleIJPjSI_NS0_16reverse_iteratorISI_EEEEENSH_IJSG_SG_SG_EEES9_SI_JZNS1_25segmented_radix_sort_implINS0_14default_configELb1EPKbPbPKlPlN2at6native12_GLOBAL__N_18offset_tEEE10hipError_tPvRmT1_PNSt15iterator_traitsIS12_E10value_typeET2_T3_PNS13_IS18_E10value_typeET4_jRbjT5_S1E_jjP12ihipStream_tbEUljE_ZNSN_ISO_Lb1ESQ_SR_ST_SU_SY_EESZ_S10_S11_S12_S16_S17_S18_S1B_S1C_jS1D_jS1E_S1E_jjS1G_bEUljE0_EEESZ_S10_S11_S18_S1C_S1E_T6_T7_T9_mT8_S1G_bDpT10_ENKUlT_T0_E_clISt17integral_constantIbLb0EES1U_EEDaS1P_S1Q_EUlS1P_E_NS1_11comp_targetILNS1_3genE0ELNS1_11target_archE4294967295ELNS1_3gpuE0ELNS1_3repE0EEENS1_30default_config_static_selectorELNS0_4arch9wavefront6targetE0EEEvS12_.private_seg_size, 0
	.set _ZN7rocprim17ROCPRIM_400000_NS6detail17trampoline_kernelINS0_13select_configILj256ELj13ELNS0_17block_load_methodE3ELS4_3ELS4_3ELNS0_20block_scan_algorithmE0ELj4294967295EEENS1_25partition_config_selectorILNS1_17partition_subalgoE4EjNS0_10empty_typeEbEEZZNS1_14partition_implILS8_4ELb0ES6_15HIP_vector_typeIjLj2EENS0_17counting_iteratorIjlEEPS9_SG_NS0_5tupleIJPjSI_NS0_16reverse_iteratorISI_EEEEENSH_IJSG_SG_SG_EEES9_SI_JZNS1_25segmented_radix_sort_implINS0_14default_configELb1EPKbPbPKlPlN2at6native12_GLOBAL__N_18offset_tEEE10hipError_tPvRmT1_PNSt15iterator_traitsIS12_E10value_typeET2_T3_PNS13_IS18_E10value_typeET4_jRbjT5_S1E_jjP12ihipStream_tbEUljE_ZNSN_ISO_Lb1ESQ_SR_ST_SU_SY_EESZ_S10_S11_S12_S16_S17_S18_S1B_S1C_jS1D_jS1E_S1E_jjS1G_bEUljE0_EEESZ_S10_S11_S18_S1C_S1E_T6_T7_T9_mT8_S1G_bDpT10_ENKUlT_T0_E_clISt17integral_constantIbLb0EES1U_EEDaS1P_S1Q_EUlS1P_E_NS1_11comp_targetILNS1_3genE0ELNS1_11target_archE4294967295ELNS1_3gpuE0ELNS1_3repE0EEENS1_30default_config_static_selectorELNS0_4arch9wavefront6targetE0EEEvS12_.uses_vcc, 1
	.set _ZN7rocprim17ROCPRIM_400000_NS6detail17trampoline_kernelINS0_13select_configILj256ELj13ELNS0_17block_load_methodE3ELS4_3ELS4_3ELNS0_20block_scan_algorithmE0ELj4294967295EEENS1_25partition_config_selectorILNS1_17partition_subalgoE4EjNS0_10empty_typeEbEEZZNS1_14partition_implILS8_4ELb0ES6_15HIP_vector_typeIjLj2EENS0_17counting_iteratorIjlEEPS9_SG_NS0_5tupleIJPjSI_NS0_16reverse_iteratorISI_EEEEENSH_IJSG_SG_SG_EEES9_SI_JZNS1_25segmented_radix_sort_implINS0_14default_configELb1EPKbPbPKlPlN2at6native12_GLOBAL__N_18offset_tEEE10hipError_tPvRmT1_PNSt15iterator_traitsIS12_E10value_typeET2_T3_PNS13_IS18_E10value_typeET4_jRbjT5_S1E_jjP12ihipStream_tbEUljE_ZNSN_ISO_Lb1ESQ_SR_ST_SU_SY_EESZ_S10_S11_S12_S16_S17_S18_S1B_S1C_jS1D_jS1E_S1E_jjS1G_bEUljE0_EEESZ_S10_S11_S18_S1C_S1E_T6_T7_T9_mT8_S1G_bDpT10_ENKUlT_T0_E_clISt17integral_constantIbLb0EES1U_EEDaS1P_S1Q_EUlS1P_E_NS1_11comp_targetILNS1_3genE0ELNS1_11target_archE4294967295ELNS1_3gpuE0ELNS1_3repE0EEENS1_30default_config_static_selectorELNS0_4arch9wavefront6targetE0EEEvS12_.uses_flat_scratch, 0
	.set _ZN7rocprim17ROCPRIM_400000_NS6detail17trampoline_kernelINS0_13select_configILj256ELj13ELNS0_17block_load_methodE3ELS4_3ELS4_3ELNS0_20block_scan_algorithmE0ELj4294967295EEENS1_25partition_config_selectorILNS1_17partition_subalgoE4EjNS0_10empty_typeEbEEZZNS1_14partition_implILS8_4ELb0ES6_15HIP_vector_typeIjLj2EENS0_17counting_iteratorIjlEEPS9_SG_NS0_5tupleIJPjSI_NS0_16reverse_iteratorISI_EEEEENSH_IJSG_SG_SG_EEES9_SI_JZNS1_25segmented_radix_sort_implINS0_14default_configELb1EPKbPbPKlPlN2at6native12_GLOBAL__N_18offset_tEEE10hipError_tPvRmT1_PNSt15iterator_traitsIS12_E10value_typeET2_T3_PNS13_IS18_E10value_typeET4_jRbjT5_S1E_jjP12ihipStream_tbEUljE_ZNSN_ISO_Lb1ESQ_SR_ST_SU_SY_EESZ_S10_S11_S12_S16_S17_S18_S1B_S1C_jS1D_jS1E_S1E_jjS1G_bEUljE0_EEESZ_S10_S11_S18_S1C_S1E_T6_T7_T9_mT8_S1G_bDpT10_ENKUlT_T0_E_clISt17integral_constantIbLb0EES1U_EEDaS1P_S1Q_EUlS1P_E_NS1_11comp_targetILNS1_3genE0ELNS1_11target_archE4294967295ELNS1_3gpuE0ELNS1_3repE0EEENS1_30default_config_static_selectorELNS0_4arch9wavefront6targetE0EEEvS12_.has_dyn_sized_stack, 0
	.set _ZN7rocprim17ROCPRIM_400000_NS6detail17trampoline_kernelINS0_13select_configILj256ELj13ELNS0_17block_load_methodE3ELS4_3ELS4_3ELNS0_20block_scan_algorithmE0ELj4294967295EEENS1_25partition_config_selectorILNS1_17partition_subalgoE4EjNS0_10empty_typeEbEEZZNS1_14partition_implILS8_4ELb0ES6_15HIP_vector_typeIjLj2EENS0_17counting_iteratorIjlEEPS9_SG_NS0_5tupleIJPjSI_NS0_16reverse_iteratorISI_EEEEENSH_IJSG_SG_SG_EEES9_SI_JZNS1_25segmented_radix_sort_implINS0_14default_configELb1EPKbPbPKlPlN2at6native12_GLOBAL__N_18offset_tEEE10hipError_tPvRmT1_PNSt15iterator_traitsIS12_E10value_typeET2_T3_PNS13_IS18_E10value_typeET4_jRbjT5_S1E_jjP12ihipStream_tbEUljE_ZNSN_ISO_Lb1ESQ_SR_ST_SU_SY_EESZ_S10_S11_S12_S16_S17_S18_S1B_S1C_jS1D_jS1E_S1E_jjS1G_bEUljE0_EEESZ_S10_S11_S18_S1C_S1E_T6_T7_T9_mT8_S1G_bDpT10_ENKUlT_T0_E_clISt17integral_constantIbLb0EES1U_EEDaS1P_S1Q_EUlS1P_E_NS1_11comp_targetILNS1_3genE0ELNS1_11target_archE4294967295ELNS1_3gpuE0ELNS1_3repE0EEENS1_30default_config_static_selectorELNS0_4arch9wavefront6targetE0EEEvS12_.has_recursion, 0
	.set _ZN7rocprim17ROCPRIM_400000_NS6detail17trampoline_kernelINS0_13select_configILj256ELj13ELNS0_17block_load_methodE3ELS4_3ELS4_3ELNS0_20block_scan_algorithmE0ELj4294967295EEENS1_25partition_config_selectorILNS1_17partition_subalgoE4EjNS0_10empty_typeEbEEZZNS1_14partition_implILS8_4ELb0ES6_15HIP_vector_typeIjLj2EENS0_17counting_iteratorIjlEEPS9_SG_NS0_5tupleIJPjSI_NS0_16reverse_iteratorISI_EEEEENSH_IJSG_SG_SG_EEES9_SI_JZNS1_25segmented_radix_sort_implINS0_14default_configELb1EPKbPbPKlPlN2at6native12_GLOBAL__N_18offset_tEEE10hipError_tPvRmT1_PNSt15iterator_traitsIS12_E10value_typeET2_T3_PNS13_IS18_E10value_typeET4_jRbjT5_S1E_jjP12ihipStream_tbEUljE_ZNSN_ISO_Lb1ESQ_SR_ST_SU_SY_EESZ_S10_S11_S12_S16_S17_S18_S1B_S1C_jS1D_jS1E_S1E_jjS1G_bEUljE0_EEESZ_S10_S11_S18_S1C_S1E_T6_T7_T9_mT8_S1G_bDpT10_ENKUlT_T0_E_clISt17integral_constantIbLb0EES1U_EEDaS1P_S1Q_EUlS1P_E_NS1_11comp_targetILNS1_3genE0ELNS1_11target_archE4294967295ELNS1_3gpuE0ELNS1_3repE0EEENS1_30default_config_static_selectorELNS0_4arch9wavefront6targetE0EEEvS12_.has_indirect_call, 0
	.section	.AMDGPU.csdata,"",@progbits
; Kernel info:
; codeLenInByte = 17784
; TotalNumSgprs: 61
; NumVgprs: 81
; ScratchSize: 0
; MemoryBound: 0
; FloatMode: 240
; IeeeMode: 1
; LDSByteSize: 13328 bytes/workgroup (compile time only)
; SGPRBlocks: 0
; VGPRBlocks: 5
; NumSGPRsForWavesPerEU: 61
; NumVGPRsForWavesPerEU: 81
; NamedBarCnt: 0
; Occupancy: 10
; WaveLimiterHint : 1
; COMPUTE_PGM_RSRC2:SCRATCH_EN: 0
; COMPUTE_PGM_RSRC2:USER_SGPR: 2
; COMPUTE_PGM_RSRC2:TRAP_HANDLER: 0
; COMPUTE_PGM_RSRC2:TGID_X_EN: 1
; COMPUTE_PGM_RSRC2:TGID_Y_EN: 0
; COMPUTE_PGM_RSRC2:TGID_Z_EN: 0
; COMPUTE_PGM_RSRC2:TIDIG_COMP_CNT: 0
	.section	.text._ZN7rocprim17ROCPRIM_400000_NS6detail17trampoline_kernelINS0_13select_configILj256ELj13ELNS0_17block_load_methodE3ELS4_3ELS4_3ELNS0_20block_scan_algorithmE0ELj4294967295EEENS1_25partition_config_selectorILNS1_17partition_subalgoE4EjNS0_10empty_typeEbEEZZNS1_14partition_implILS8_4ELb0ES6_15HIP_vector_typeIjLj2EENS0_17counting_iteratorIjlEEPS9_SG_NS0_5tupleIJPjSI_NS0_16reverse_iteratorISI_EEEEENSH_IJSG_SG_SG_EEES9_SI_JZNS1_25segmented_radix_sort_implINS0_14default_configELb1EPKbPbPKlPlN2at6native12_GLOBAL__N_18offset_tEEE10hipError_tPvRmT1_PNSt15iterator_traitsIS12_E10value_typeET2_T3_PNS13_IS18_E10value_typeET4_jRbjT5_S1E_jjP12ihipStream_tbEUljE_ZNSN_ISO_Lb1ESQ_SR_ST_SU_SY_EESZ_S10_S11_S12_S16_S17_S18_S1B_S1C_jS1D_jS1E_S1E_jjS1G_bEUljE0_EEESZ_S10_S11_S18_S1C_S1E_T6_T7_T9_mT8_S1G_bDpT10_ENKUlT_T0_E_clISt17integral_constantIbLb0EES1U_EEDaS1P_S1Q_EUlS1P_E_NS1_11comp_targetILNS1_3genE5ELNS1_11target_archE942ELNS1_3gpuE9ELNS1_3repE0EEENS1_30default_config_static_selectorELNS0_4arch9wavefront6targetE0EEEvS12_,"axG",@progbits,_ZN7rocprim17ROCPRIM_400000_NS6detail17trampoline_kernelINS0_13select_configILj256ELj13ELNS0_17block_load_methodE3ELS4_3ELS4_3ELNS0_20block_scan_algorithmE0ELj4294967295EEENS1_25partition_config_selectorILNS1_17partition_subalgoE4EjNS0_10empty_typeEbEEZZNS1_14partition_implILS8_4ELb0ES6_15HIP_vector_typeIjLj2EENS0_17counting_iteratorIjlEEPS9_SG_NS0_5tupleIJPjSI_NS0_16reverse_iteratorISI_EEEEENSH_IJSG_SG_SG_EEES9_SI_JZNS1_25segmented_radix_sort_implINS0_14default_configELb1EPKbPbPKlPlN2at6native12_GLOBAL__N_18offset_tEEE10hipError_tPvRmT1_PNSt15iterator_traitsIS12_E10value_typeET2_T3_PNS13_IS18_E10value_typeET4_jRbjT5_S1E_jjP12ihipStream_tbEUljE_ZNSN_ISO_Lb1ESQ_SR_ST_SU_SY_EESZ_S10_S11_S12_S16_S17_S18_S1B_S1C_jS1D_jS1E_S1E_jjS1G_bEUljE0_EEESZ_S10_S11_S18_S1C_S1E_T6_T7_T9_mT8_S1G_bDpT10_ENKUlT_T0_E_clISt17integral_constantIbLb0EES1U_EEDaS1P_S1Q_EUlS1P_E_NS1_11comp_targetILNS1_3genE5ELNS1_11target_archE942ELNS1_3gpuE9ELNS1_3repE0EEENS1_30default_config_static_selectorELNS0_4arch9wavefront6targetE0EEEvS12_,comdat
	.globl	_ZN7rocprim17ROCPRIM_400000_NS6detail17trampoline_kernelINS0_13select_configILj256ELj13ELNS0_17block_load_methodE3ELS4_3ELS4_3ELNS0_20block_scan_algorithmE0ELj4294967295EEENS1_25partition_config_selectorILNS1_17partition_subalgoE4EjNS0_10empty_typeEbEEZZNS1_14partition_implILS8_4ELb0ES6_15HIP_vector_typeIjLj2EENS0_17counting_iteratorIjlEEPS9_SG_NS0_5tupleIJPjSI_NS0_16reverse_iteratorISI_EEEEENSH_IJSG_SG_SG_EEES9_SI_JZNS1_25segmented_radix_sort_implINS0_14default_configELb1EPKbPbPKlPlN2at6native12_GLOBAL__N_18offset_tEEE10hipError_tPvRmT1_PNSt15iterator_traitsIS12_E10value_typeET2_T3_PNS13_IS18_E10value_typeET4_jRbjT5_S1E_jjP12ihipStream_tbEUljE_ZNSN_ISO_Lb1ESQ_SR_ST_SU_SY_EESZ_S10_S11_S12_S16_S17_S18_S1B_S1C_jS1D_jS1E_S1E_jjS1G_bEUljE0_EEESZ_S10_S11_S18_S1C_S1E_T6_T7_T9_mT8_S1G_bDpT10_ENKUlT_T0_E_clISt17integral_constantIbLb0EES1U_EEDaS1P_S1Q_EUlS1P_E_NS1_11comp_targetILNS1_3genE5ELNS1_11target_archE942ELNS1_3gpuE9ELNS1_3repE0EEENS1_30default_config_static_selectorELNS0_4arch9wavefront6targetE0EEEvS12_ ; -- Begin function _ZN7rocprim17ROCPRIM_400000_NS6detail17trampoline_kernelINS0_13select_configILj256ELj13ELNS0_17block_load_methodE3ELS4_3ELS4_3ELNS0_20block_scan_algorithmE0ELj4294967295EEENS1_25partition_config_selectorILNS1_17partition_subalgoE4EjNS0_10empty_typeEbEEZZNS1_14partition_implILS8_4ELb0ES6_15HIP_vector_typeIjLj2EENS0_17counting_iteratorIjlEEPS9_SG_NS0_5tupleIJPjSI_NS0_16reverse_iteratorISI_EEEEENSH_IJSG_SG_SG_EEES9_SI_JZNS1_25segmented_radix_sort_implINS0_14default_configELb1EPKbPbPKlPlN2at6native12_GLOBAL__N_18offset_tEEE10hipError_tPvRmT1_PNSt15iterator_traitsIS12_E10value_typeET2_T3_PNS13_IS18_E10value_typeET4_jRbjT5_S1E_jjP12ihipStream_tbEUljE_ZNSN_ISO_Lb1ESQ_SR_ST_SU_SY_EESZ_S10_S11_S12_S16_S17_S18_S1B_S1C_jS1D_jS1E_S1E_jjS1G_bEUljE0_EEESZ_S10_S11_S18_S1C_S1E_T6_T7_T9_mT8_S1G_bDpT10_ENKUlT_T0_E_clISt17integral_constantIbLb0EES1U_EEDaS1P_S1Q_EUlS1P_E_NS1_11comp_targetILNS1_3genE5ELNS1_11target_archE942ELNS1_3gpuE9ELNS1_3repE0EEENS1_30default_config_static_selectorELNS0_4arch9wavefront6targetE0EEEvS12_
	.p2align	8
	.type	_ZN7rocprim17ROCPRIM_400000_NS6detail17trampoline_kernelINS0_13select_configILj256ELj13ELNS0_17block_load_methodE3ELS4_3ELS4_3ELNS0_20block_scan_algorithmE0ELj4294967295EEENS1_25partition_config_selectorILNS1_17partition_subalgoE4EjNS0_10empty_typeEbEEZZNS1_14partition_implILS8_4ELb0ES6_15HIP_vector_typeIjLj2EENS0_17counting_iteratorIjlEEPS9_SG_NS0_5tupleIJPjSI_NS0_16reverse_iteratorISI_EEEEENSH_IJSG_SG_SG_EEES9_SI_JZNS1_25segmented_radix_sort_implINS0_14default_configELb1EPKbPbPKlPlN2at6native12_GLOBAL__N_18offset_tEEE10hipError_tPvRmT1_PNSt15iterator_traitsIS12_E10value_typeET2_T3_PNS13_IS18_E10value_typeET4_jRbjT5_S1E_jjP12ihipStream_tbEUljE_ZNSN_ISO_Lb1ESQ_SR_ST_SU_SY_EESZ_S10_S11_S12_S16_S17_S18_S1B_S1C_jS1D_jS1E_S1E_jjS1G_bEUljE0_EEESZ_S10_S11_S18_S1C_S1E_T6_T7_T9_mT8_S1G_bDpT10_ENKUlT_T0_E_clISt17integral_constantIbLb0EES1U_EEDaS1P_S1Q_EUlS1P_E_NS1_11comp_targetILNS1_3genE5ELNS1_11target_archE942ELNS1_3gpuE9ELNS1_3repE0EEENS1_30default_config_static_selectorELNS0_4arch9wavefront6targetE0EEEvS12_,@function
_ZN7rocprim17ROCPRIM_400000_NS6detail17trampoline_kernelINS0_13select_configILj256ELj13ELNS0_17block_load_methodE3ELS4_3ELS4_3ELNS0_20block_scan_algorithmE0ELj4294967295EEENS1_25partition_config_selectorILNS1_17partition_subalgoE4EjNS0_10empty_typeEbEEZZNS1_14partition_implILS8_4ELb0ES6_15HIP_vector_typeIjLj2EENS0_17counting_iteratorIjlEEPS9_SG_NS0_5tupleIJPjSI_NS0_16reverse_iteratorISI_EEEEENSH_IJSG_SG_SG_EEES9_SI_JZNS1_25segmented_radix_sort_implINS0_14default_configELb1EPKbPbPKlPlN2at6native12_GLOBAL__N_18offset_tEEE10hipError_tPvRmT1_PNSt15iterator_traitsIS12_E10value_typeET2_T3_PNS13_IS18_E10value_typeET4_jRbjT5_S1E_jjP12ihipStream_tbEUljE_ZNSN_ISO_Lb1ESQ_SR_ST_SU_SY_EESZ_S10_S11_S12_S16_S17_S18_S1B_S1C_jS1D_jS1E_S1E_jjS1G_bEUljE0_EEESZ_S10_S11_S18_S1C_S1E_T6_T7_T9_mT8_S1G_bDpT10_ENKUlT_T0_E_clISt17integral_constantIbLb0EES1U_EEDaS1P_S1Q_EUlS1P_E_NS1_11comp_targetILNS1_3genE5ELNS1_11target_archE942ELNS1_3gpuE9ELNS1_3repE0EEENS1_30default_config_static_selectorELNS0_4arch9wavefront6targetE0EEEvS12_: ; @_ZN7rocprim17ROCPRIM_400000_NS6detail17trampoline_kernelINS0_13select_configILj256ELj13ELNS0_17block_load_methodE3ELS4_3ELS4_3ELNS0_20block_scan_algorithmE0ELj4294967295EEENS1_25partition_config_selectorILNS1_17partition_subalgoE4EjNS0_10empty_typeEbEEZZNS1_14partition_implILS8_4ELb0ES6_15HIP_vector_typeIjLj2EENS0_17counting_iteratorIjlEEPS9_SG_NS0_5tupleIJPjSI_NS0_16reverse_iteratorISI_EEEEENSH_IJSG_SG_SG_EEES9_SI_JZNS1_25segmented_radix_sort_implINS0_14default_configELb1EPKbPbPKlPlN2at6native12_GLOBAL__N_18offset_tEEE10hipError_tPvRmT1_PNSt15iterator_traitsIS12_E10value_typeET2_T3_PNS13_IS18_E10value_typeET4_jRbjT5_S1E_jjP12ihipStream_tbEUljE_ZNSN_ISO_Lb1ESQ_SR_ST_SU_SY_EESZ_S10_S11_S12_S16_S17_S18_S1B_S1C_jS1D_jS1E_S1E_jjS1G_bEUljE0_EEESZ_S10_S11_S18_S1C_S1E_T6_T7_T9_mT8_S1G_bDpT10_ENKUlT_T0_E_clISt17integral_constantIbLb0EES1U_EEDaS1P_S1Q_EUlS1P_E_NS1_11comp_targetILNS1_3genE5ELNS1_11target_archE942ELNS1_3gpuE9ELNS1_3repE0EEENS1_30default_config_static_selectorELNS0_4arch9wavefront6targetE0EEEvS12_
; %bb.0:
	.section	.rodata,"a",@progbits
	.p2align	6, 0x0
	.amdhsa_kernel _ZN7rocprim17ROCPRIM_400000_NS6detail17trampoline_kernelINS0_13select_configILj256ELj13ELNS0_17block_load_methodE3ELS4_3ELS4_3ELNS0_20block_scan_algorithmE0ELj4294967295EEENS1_25partition_config_selectorILNS1_17partition_subalgoE4EjNS0_10empty_typeEbEEZZNS1_14partition_implILS8_4ELb0ES6_15HIP_vector_typeIjLj2EENS0_17counting_iteratorIjlEEPS9_SG_NS0_5tupleIJPjSI_NS0_16reverse_iteratorISI_EEEEENSH_IJSG_SG_SG_EEES9_SI_JZNS1_25segmented_radix_sort_implINS0_14default_configELb1EPKbPbPKlPlN2at6native12_GLOBAL__N_18offset_tEEE10hipError_tPvRmT1_PNSt15iterator_traitsIS12_E10value_typeET2_T3_PNS13_IS18_E10value_typeET4_jRbjT5_S1E_jjP12ihipStream_tbEUljE_ZNSN_ISO_Lb1ESQ_SR_ST_SU_SY_EESZ_S10_S11_S12_S16_S17_S18_S1B_S1C_jS1D_jS1E_S1E_jjS1G_bEUljE0_EEESZ_S10_S11_S18_S1C_S1E_T6_T7_T9_mT8_S1G_bDpT10_ENKUlT_T0_E_clISt17integral_constantIbLb0EES1U_EEDaS1P_S1Q_EUlS1P_E_NS1_11comp_targetILNS1_3genE5ELNS1_11target_archE942ELNS1_3gpuE9ELNS1_3repE0EEENS1_30default_config_static_selectorELNS0_4arch9wavefront6targetE0EEEvS12_
		.amdhsa_group_segment_fixed_size 0
		.amdhsa_private_segment_fixed_size 0
		.amdhsa_kernarg_size 176
		.amdhsa_user_sgpr_count 2
		.amdhsa_user_sgpr_dispatch_ptr 0
		.amdhsa_user_sgpr_queue_ptr 0
		.amdhsa_user_sgpr_kernarg_segment_ptr 1
		.amdhsa_user_sgpr_dispatch_id 0
		.amdhsa_user_sgpr_kernarg_preload_length 0
		.amdhsa_user_sgpr_kernarg_preload_offset 0
		.amdhsa_user_sgpr_private_segment_size 0
		.amdhsa_wavefront_size32 1
		.amdhsa_uses_dynamic_stack 0
		.amdhsa_enable_private_segment 0
		.amdhsa_system_sgpr_workgroup_id_x 1
		.amdhsa_system_sgpr_workgroup_id_y 0
		.amdhsa_system_sgpr_workgroup_id_z 0
		.amdhsa_system_sgpr_workgroup_info 0
		.amdhsa_system_vgpr_workitem_id 0
		.amdhsa_next_free_vgpr 1
		.amdhsa_next_free_sgpr 1
		.amdhsa_named_barrier_count 0
		.amdhsa_reserve_vcc 0
		.amdhsa_float_round_mode_32 0
		.amdhsa_float_round_mode_16_64 0
		.amdhsa_float_denorm_mode_32 3
		.amdhsa_float_denorm_mode_16_64 3
		.amdhsa_fp16_overflow 0
		.amdhsa_memory_ordered 1
		.amdhsa_forward_progress 1
		.amdhsa_inst_pref_size 0
		.amdhsa_round_robin_scheduling 0
		.amdhsa_exception_fp_ieee_invalid_op 0
		.amdhsa_exception_fp_denorm_src 0
		.amdhsa_exception_fp_ieee_div_zero 0
		.amdhsa_exception_fp_ieee_overflow 0
		.amdhsa_exception_fp_ieee_underflow 0
		.amdhsa_exception_fp_ieee_inexact 0
		.amdhsa_exception_int_div_zero 0
	.end_amdhsa_kernel
	.section	.text._ZN7rocprim17ROCPRIM_400000_NS6detail17trampoline_kernelINS0_13select_configILj256ELj13ELNS0_17block_load_methodE3ELS4_3ELS4_3ELNS0_20block_scan_algorithmE0ELj4294967295EEENS1_25partition_config_selectorILNS1_17partition_subalgoE4EjNS0_10empty_typeEbEEZZNS1_14partition_implILS8_4ELb0ES6_15HIP_vector_typeIjLj2EENS0_17counting_iteratorIjlEEPS9_SG_NS0_5tupleIJPjSI_NS0_16reverse_iteratorISI_EEEEENSH_IJSG_SG_SG_EEES9_SI_JZNS1_25segmented_radix_sort_implINS0_14default_configELb1EPKbPbPKlPlN2at6native12_GLOBAL__N_18offset_tEEE10hipError_tPvRmT1_PNSt15iterator_traitsIS12_E10value_typeET2_T3_PNS13_IS18_E10value_typeET4_jRbjT5_S1E_jjP12ihipStream_tbEUljE_ZNSN_ISO_Lb1ESQ_SR_ST_SU_SY_EESZ_S10_S11_S12_S16_S17_S18_S1B_S1C_jS1D_jS1E_S1E_jjS1G_bEUljE0_EEESZ_S10_S11_S18_S1C_S1E_T6_T7_T9_mT8_S1G_bDpT10_ENKUlT_T0_E_clISt17integral_constantIbLb0EES1U_EEDaS1P_S1Q_EUlS1P_E_NS1_11comp_targetILNS1_3genE5ELNS1_11target_archE942ELNS1_3gpuE9ELNS1_3repE0EEENS1_30default_config_static_selectorELNS0_4arch9wavefront6targetE0EEEvS12_,"axG",@progbits,_ZN7rocprim17ROCPRIM_400000_NS6detail17trampoline_kernelINS0_13select_configILj256ELj13ELNS0_17block_load_methodE3ELS4_3ELS4_3ELNS0_20block_scan_algorithmE0ELj4294967295EEENS1_25partition_config_selectorILNS1_17partition_subalgoE4EjNS0_10empty_typeEbEEZZNS1_14partition_implILS8_4ELb0ES6_15HIP_vector_typeIjLj2EENS0_17counting_iteratorIjlEEPS9_SG_NS0_5tupleIJPjSI_NS0_16reverse_iteratorISI_EEEEENSH_IJSG_SG_SG_EEES9_SI_JZNS1_25segmented_radix_sort_implINS0_14default_configELb1EPKbPbPKlPlN2at6native12_GLOBAL__N_18offset_tEEE10hipError_tPvRmT1_PNSt15iterator_traitsIS12_E10value_typeET2_T3_PNS13_IS18_E10value_typeET4_jRbjT5_S1E_jjP12ihipStream_tbEUljE_ZNSN_ISO_Lb1ESQ_SR_ST_SU_SY_EESZ_S10_S11_S12_S16_S17_S18_S1B_S1C_jS1D_jS1E_S1E_jjS1G_bEUljE0_EEESZ_S10_S11_S18_S1C_S1E_T6_T7_T9_mT8_S1G_bDpT10_ENKUlT_T0_E_clISt17integral_constantIbLb0EES1U_EEDaS1P_S1Q_EUlS1P_E_NS1_11comp_targetILNS1_3genE5ELNS1_11target_archE942ELNS1_3gpuE9ELNS1_3repE0EEENS1_30default_config_static_selectorELNS0_4arch9wavefront6targetE0EEEvS12_,comdat
.Lfunc_end1461:
	.size	_ZN7rocprim17ROCPRIM_400000_NS6detail17trampoline_kernelINS0_13select_configILj256ELj13ELNS0_17block_load_methodE3ELS4_3ELS4_3ELNS0_20block_scan_algorithmE0ELj4294967295EEENS1_25partition_config_selectorILNS1_17partition_subalgoE4EjNS0_10empty_typeEbEEZZNS1_14partition_implILS8_4ELb0ES6_15HIP_vector_typeIjLj2EENS0_17counting_iteratorIjlEEPS9_SG_NS0_5tupleIJPjSI_NS0_16reverse_iteratorISI_EEEEENSH_IJSG_SG_SG_EEES9_SI_JZNS1_25segmented_radix_sort_implINS0_14default_configELb1EPKbPbPKlPlN2at6native12_GLOBAL__N_18offset_tEEE10hipError_tPvRmT1_PNSt15iterator_traitsIS12_E10value_typeET2_T3_PNS13_IS18_E10value_typeET4_jRbjT5_S1E_jjP12ihipStream_tbEUljE_ZNSN_ISO_Lb1ESQ_SR_ST_SU_SY_EESZ_S10_S11_S12_S16_S17_S18_S1B_S1C_jS1D_jS1E_S1E_jjS1G_bEUljE0_EEESZ_S10_S11_S18_S1C_S1E_T6_T7_T9_mT8_S1G_bDpT10_ENKUlT_T0_E_clISt17integral_constantIbLb0EES1U_EEDaS1P_S1Q_EUlS1P_E_NS1_11comp_targetILNS1_3genE5ELNS1_11target_archE942ELNS1_3gpuE9ELNS1_3repE0EEENS1_30default_config_static_selectorELNS0_4arch9wavefront6targetE0EEEvS12_, .Lfunc_end1461-_ZN7rocprim17ROCPRIM_400000_NS6detail17trampoline_kernelINS0_13select_configILj256ELj13ELNS0_17block_load_methodE3ELS4_3ELS4_3ELNS0_20block_scan_algorithmE0ELj4294967295EEENS1_25partition_config_selectorILNS1_17partition_subalgoE4EjNS0_10empty_typeEbEEZZNS1_14partition_implILS8_4ELb0ES6_15HIP_vector_typeIjLj2EENS0_17counting_iteratorIjlEEPS9_SG_NS0_5tupleIJPjSI_NS0_16reverse_iteratorISI_EEEEENSH_IJSG_SG_SG_EEES9_SI_JZNS1_25segmented_radix_sort_implINS0_14default_configELb1EPKbPbPKlPlN2at6native12_GLOBAL__N_18offset_tEEE10hipError_tPvRmT1_PNSt15iterator_traitsIS12_E10value_typeET2_T3_PNS13_IS18_E10value_typeET4_jRbjT5_S1E_jjP12ihipStream_tbEUljE_ZNSN_ISO_Lb1ESQ_SR_ST_SU_SY_EESZ_S10_S11_S12_S16_S17_S18_S1B_S1C_jS1D_jS1E_S1E_jjS1G_bEUljE0_EEESZ_S10_S11_S18_S1C_S1E_T6_T7_T9_mT8_S1G_bDpT10_ENKUlT_T0_E_clISt17integral_constantIbLb0EES1U_EEDaS1P_S1Q_EUlS1P_E_NS1_11comp_targetILNS1_3genE5ELNS1_11target_archE942ELNS1_3gpuE9ELNS1_3repE0EEENS1_30default_config_static_selectorELNS0_4arch9wavefront6targetE0EEEvS12_
                                        ; -- End function
	.set _ZN7rocprim17ROCPRIM_400000_NS6detail17trampoline_kernelINS0_13select_configILj256ELj13ELNS0_17block_load_methodE3ELS4_3ELS4_3ELNS0_20block_scan_algorithmE0ELj4294967295EEENS1_25partition_config_selectorILNS1_17partition_subalgoE4EjNS0_10empty_typeEbEEZZNS1_14partition_implILS8_4ELb0ES6_15HIP_vector_typeIjLj2EENS0_17counting_iteratorIjlEEPS9_SG_NS0_5tupleIJPjSI_NS0_16reverse_iteratorISI_EEEEENSH_IJSG_SG_SG_EEES9_SI_JZNS1_25segmented_radix_sort_implINS0_14default_configELb1EPKbPbPKlPlN2at6native12_GLOBAL__N_18offset_tEEE10hipError_tPvRmT1_PNSt15iterator_traitsIS12_E10value_typeET2_T3_PNS13_IS18_E10value_typeET4_jRbjT5_S1E_jjP12ihipStream_tbEUljE_ZNSN_ISO_Lb1ESQ_SR_ST_SU_SY_EESZ_S10_S11_S12_S16_S17_S18_S1B_S1C_jS1D_jS1E_S1E_jjS1G_bEUljE0_EEESZ_S10_S11_S18_S1C_S1E_T6_T7_T9_mT8_S1G_bDpT10_ENKUlT_T0_E_clISt17integral_constantIbLb0EES1U_EEDaS1P_S1Q_EUlS1P_E_NS1_11comp_targetILNS1_3genE5ELNS1_11target_archE942ELNS1_3gpuE9ELNS1_3repE0EEENS1_30default_config_static_selectorELNS0_4arch9wavefront6targetE0EEEvS12_.num_vgpr, 0
	.set _ZN7rocprim17ROCPRIM_400000_NS6detail17trampoline_kernelINS0_13select_configILj256ELj13ELNS0_17block_load_methodE3ELS4_3ELS4_3ELNS0_20block_scan_algorithmE0ELj4294967295EEENS1_25partition_config_selectorILNS1_17partition_subalgoE4EjNS0_10empty_typeEbEEZZNS1_14partition_implILS8_4ELb0ES6_15HIP_vector_typeIjLj2EENS0_17counting_iteratorIjlEEPS9_SG_NS0_5tupleIJPjSI_NS0_16reverse_iteratorISI_EEEEENSH_IJSG_SG_SG_EEES9_SI_JZNS1_25segmented_radix_sort_implINS0_14default_configELb1EPKbPbPKlPlN2at6native12_GLOBAL__N_18offset_tEEE10hipError_tPvRmT1_PNSt15iterator_traitsIS12_E10value_typeET2_T3_PNS13_IS18_E10value_typeET4_jRbjT5_S1E_jjP12ihipStream_tbEUljE_ZNSN_ISO_Lb1ESQ_SR_ST_SU_SY_EESZ_S10_S11_S12_S16_S17_S18_S1B_S1C_jS1D_jS1E_S1E_jjS1G_bEUljE0_EEESZ_S10_S11_S18_S1C_S1E_T6_T7_T9_mT8_S1G_bDpT10_ENKUlT_T0_E_clISt17integral_constantIbLb0EES1U_EEDaS1P_S1Q_EUlS1P_E_NS1_11comp_targetILNS1_3genE5ELNS1_11target_archE942ELNS1_3gpuE9ELNS1_3repE0EEENS1_30default_config_static_selectorELNS0_4arch9wavefront6targetE0EEEvS12_.num_agpr, 0
	.set _ZN7rocprim17ROCPRIM_400000_NS6detail17trampoline_kernelINS0_13select_configILj256ELj13ELNS0_17block_load_methodE3ELS4_3ELS4_3ELNS0_20block_scan_algorithmE0ELj4294967295EEENS1_25partition_config_selectorILNS1_17partition_subalgoE4EjNS0_10empty_typeEbEEZZNS1_14partition_implILS8_4ELb0ES6_15HIP_vector_typeIjLj2EENS0_17counting_iteratorIjlEEPS9_SG_NS0_5tupleIJPjSI_NS0_16reverse_iteratorISI_EEEEENSH_IJSG_SG_SG_EEES9_SI_JZNS1_25segmented_radix_sort_implINS0_14default_configELb1EPKbPbPKlPlN2at6native12_GLOBAL__N_18offset_tEEE10hipError_tPvRmT1_PNSt15iterator_traitsIS12_E10value_typeET2_T3_PNS13_IS18_E10value_typeET4_jRbjT5_S1E_jjP12ihipStream_tbEUljE_ZNSN_ISO_Lb1ESQ_SR_ST_SU_SY_EESZ_S10_S11_S12_S16_S17_S18_S1B_S1C_jS1D_jS1E_S1E_jjS1G_bEUljE0_EEESZ_S10_S11_S18_S1C_S1E_T6_T7_T9_mT8_S1G_bDpT10_ENKUlT_T0_E_clISt17integral_constantIbLb0EES1U_EEDaS1P_S1Q_EUlS1P_E_NS1_11comp_targetILNS1_3genE5ELNS1_11target_archE942ELNS1_3gpuE9ELNS1_3repE0EEENS1_30default_config_static_selectorELNS0_4arch9wavefront6targetE0EEEvS12_.numbered_sgpr, 0
	.set _ZN7rocprim17ROCPRIM_400000_NS6detail17trampoline_kernelINS0_13select_configILj256ELj13ELNS0_17block_load_methodE3ELS4_3ELS4_3ELNS0_20block_scan_algorithmE0ELj4294967295EEENS1_25partition_config_selectorILNS1_17partition_subalgoE4EjNS0_10empty_typeEbEEZZNS1_14partition_implILS8_4ELb0ES6_15HIP_vector_typeIjLj2EENS0_17counting_iteratorIjlEEPS9_SG_NS0_5tupleIJPjSI_NS0_16reverse_iteratorISI_EEEEENSH_IJSG_SG_SG_EEES9_SI_JZNS1_25segmented_radix_sort_implINS0_14default_configELb1EPKbPbPKlPlN2at6native12_GLOBAL__N_18offset_tEEE10hipError_tPvRmT1_PNSt15iterator_traitsIS12_E10value_typeET2_T3_PNS13_IS18_E10value_typeET4_jRbjT5_S1E_jjP12ihipStream_tbEUljE_ZNSN_ISO_Lb1ESQ_SR_ST_SU_SY_EESZ_S10_S11_S12_S16_S17_S18_S1B_S1C_jS1D_jS1E_S1E_jjS1G_bEUljE0_EEESZ_S10_S11_S18_S1C_S1E_T6_T7_T9_mT8_S1G_bDpT10_ENKUlT_T0_E_clISt17integral_constantIbLb0EES1U_EEDaS1P_S1Q_EUlS1P_E_NS1_11comp_targetILNS1_3genE5ELNS1_11target_archE942ELNS1_3gpuE9ELNS1_3repE0EEENS1_30default_config_static_selectorELNS0_4arch9wavefront6targetE0EEEvS12_.num_named_barrier, 0
	.set _ZN7rocprim17ROCPRIM_400000_NS6detail17trampoline_kernelINS0_13select_configILj256ELj13ELNS0_17block_load_methodE3ELS4_3ELS4_3ELNS0_20block_scan_algorithmE0ELj4294967295EEENS1_25partition_config_selectorILNS1_17partition_subalgoE4EjNS0_10empty_typeEbEEZZNS1_14partition_implILS8_4ELb0ES6_15HIP_vector_typeIjLj2EENS0_17counting_iteratorIjlEEPS9_SG_NS0_5tupleIJPjSI_NS0_16reverse_iteratorISI_EEEEENSH_IJSG_SG_SG_EEES9_SI_JZNS1_25segmented_radix_sort_implINS0_14default_configELb1EPKbPbPKlPlN2at6native12_GLOBAL__N_18offset_tEEE10hipError_tPvRmT1_PNSt15iterator_traitsIS12_E10value_typeET2_T3_PNS13_IS18_E10value_typeET4_jRbjT5_S1E_jjP12ihipStream_tbEUljE_ZNSN_ISO_Lb1ESQ_SR_ST_SU_SY_EESZ_S10_S11_S12_S16_S17_S18_S1B_S1C_jS1D_jS1E_S1E_jjS1G_bEUljE0_EEESZ_S10_S11_S18_S1C_S1E_T6_T7_T9_mT8_S1G_bDpT10_ENKUlT_T0_E_clISt17integral_constantIbLb0EES1U_EEDaS1P_S1Q_EUlS1P_E_NS1_11comp_targetILNS1_3genE5ELNS1_11target_archE942ELNS1_3gpuE9ELNS1_3repE0EEENS1_30default_config_static_selectorELNS0_4arch9wavefront6targetE0EEEvS12_.private_seg_size, 0
	.set _ZN7rocprim17ROCPRIM_400000_NS6detail17trampoline_kernelINS0_13select_configILj256ELj13ELNS0_17block_load_methodE3ELS4_3ELS4_3ELNS0_20block_scan_algorithmE0ELj4294967295EEENS1_25partition_config_selectorILNS1_17partition_subalgoE4EjNS0_10empty_typeEbEEZZNS1_14partition_implILS8_4ELb0ES6_15HIP_vector_typeIjLj2EENS0_17counting_iteratorIjlEEPS9_SG_NS0_5tupleIJPjSI_NS0_16reverse_iteratorISI_EEEEENSH_IJSG_SG_SG_EEES9_SI_JZNS1_25segmented_radix_sort_implINS0_14default_configELb1EPKbPbPKlPlN2at6native12_GLOBAL__N_18offset_tEEE10hipError_tPvRmT1_PNSt15iterator_traitsIS12_E10value_typeET2_T3_PNS13_IS18_E10value_typeET4_jRbjT5_S1E_jjP12ihipStream_tbEUljE_ZNSN_ISO_Lb1ESQ_SR_ST_SU_SY_EESZ_S10_S11_S12_S16_S17_S18_S1B_S1C_jS1D_jS1E_S1E_jjS1G_bEUljE0_EEESZ_S10_S11_S18_S1C_S1E_T6_T7_T9_mT8_S1G_bDpT10_ENKUlT_T0_E_clISt17integral_constantIbLb0EES1U_EEDaS1P_S1Q_EUlS1P_E_NS1_11comp_targetILNS1_3genE5ELNS1_11target_archE942ELNS1_3gpuE9ELNS1_3repE0EEENS1_30default_config_static_selectorELNS0_4arch9wavefront6targetE0EEEvS12_.uses_vcc, 0
	.set _ZN7rocprim17ROCPRIM_400000_NS6detail17trampoline_kernelINS0_13select_configILj256ELj13ELNS0_17block_load_methodE3ELS4_3ELS4_3ELNS0_20block_scan_algorithmE0ELj4294967295EEENS1_25partition_config_selectorILNS1_17partition_subalgoE4EjNS0_10empty_typeEbEEZZNS1_14partition_implILS8_4ELb0ES6_15HIP_vector_typeIjLj2EENS0_17counting_iteratorIjlEEPS9_SG_NS0_5tupleIJPjSI_NS0_16reverse_iteratorISI_EEEEENSH_IJSG_SG_SG_EEES9_SI_JZNS1_25segmented_radix_sort_implINS0_14default_configELb1EPKbPbPKlPlN2at6native12_GLOBAL__N_18offset_tEEE10hipError_tPvRmT1_PNSt15iterator_traitsIS12_E10value_typeET2_T3_PNS13_IS18_E10value_typeET4_jRbjT5_S1E_jjP12ihipStream_tbEUljE_ZNSN_ISO_Lb1ESQ_SR_ST_SU_SY_EESZ_S10_S11_S12_S16_S17_S18_S1B_S1C_jS1D_jS1E_S1E_jjS1G_bEUljE0_EEESZ_S10_S11_S18_S1C_S1E_T6_T7_T9_mT8_S1G_bDpT10_ENKUlT_T0_E_clISt17integral_constantIbLb0EES1U_EEDaS1P_S1Q_EUlS1P_E_NS1_11comp_targetILNS1_3genE5ELNS1_11target_archE942ELNS1_3gpuE9ELNS1_3repE0EEENS1_30default_config_static_selectorELNS0_4arch9wavefront6targetE0EEEvS12_.uses_flat_scratch, 0
	.set _ZN7rocprim17ROCPRIM_400000_NS6detail17trampoline_kernelINS0_13select_configILj256ELj13ELNS0_17block_load_methodE3ELS4_3ELS4_3ELNS0_20block_scan_algorithmE0ELj4294967295EEENS1_25partition_config_selectorILNS1_17partition_subalgoE4EjNS0_10empty_typeEbEEZZNS1_14partition_implILS8_4ELb0ES6_15HIP_vector_typeIjLj2EENS0_17counting_iteratorIjlEEPS9_SG_NS0_5tupleIJPjSI_NS0_16reverse_iteratorISI_EEEEENSH_IJSG_SG_SG_EEES9_SI_JZNS1_25segmented_radix_sort_implINS0_14default_configELb1EPKbPbPKlPlN2at6native12_GLOBAL__N_18offset_tEEE10hipError_tPvRmT1_PNSt15iterator_traitsIS12_E10value_typeET2_T3_PNS13_IS18_E10value_typeET4_jRbjT5_S1E_jjP12ihipStream_tbEUljE_ZNSN_ISO_Lb1ESQ_SR_ST_SU_SY_EESZ_S10_S11_S12_S16_S17_S18_S1B_S1C_jS1D_jS1E_S1E_jjS1G_bEUljE0_EEESZ_S10_S11_S18_S1C_S1E_T6_T7_T9_mT8_S1G_bDpT10_ENKUlT_T0_E_clISt17integral_constantIbLb0EES1U_EEDaS1P_S1Q_EUlS1P_E_NS1_11comp_targetILNS1_3genE5ELNS1_11target_archE942ELNS1_3gpuE9ELNS1_3repE0EEENS1_30default_config_static_selectorELNS0_4arch9wavefront6targetE0EEEvS12_.has_dyn_sized_stack, 0
	.set _ZN7rocprim17ROCPRIM_400000_NS6detail17trampoline_kernelINS0_13select_configILj256ELj13ELNS0_17block_load_methodE3ELS4_3ELS4_3ELNS0_20block_scan_algorithmE0ELj4294967295EEENS1_25partition_config_selectorILNS1_17partition_subalgoE4EjNS0_10empty_typeEbEEZZNS1_14partition_implILS8_4ELb0ES6_15HIP_vector_typeIjLj2EENS0_17counting_iteratorIjlEEPS9_SG_NS0_5tupleIJPjSI_NS0_16reverse_iteratorISI_EEEEENSH_IJSG_SG_SG_EEES9_SI_JZNS1_25segmented_radix_sort_implINS0_14default_configELb1EPKbPbPKlPlN2at6native12_GLOBAL__N_18offset_tEEE10hipError_tPvRmT1_PNSt15iterator_traitsIS12_E10value_typeET2_T3_PNS13_IS18_E10value_typeET4_jRbjT5_S1E_jjP12ihipStream_tbEUljE_ZNSN_ISO_Lb1ESQ_SR_ST_SU_SY_EESZ_S10_S11_S12_S16_S17_S18_S1B_S1C_jS1D_jS1E_S1E_jjS1G_bEUljE0_EEESZ_S10_S11_S18_S1C_S1E_T6_T7_T9_mT8_S1G_bDpT10_ENKUlT_T0_E_clISt17integral_constantIbLb0EES1U_EEDaS1P_S1Q_EUlS1P_E_NS1_11comp_targetILNS1_3genE5ELNS1_11target_archE942ELNS1_3gpuE9ELNS1_3repE0EEENS1_30default_config_static_selectorELNS0_4arch9wavefront6targetE0EEEvS12_.has_recursion, 0
	.set _ZN7rocprim17ROCPRIM_400000_NS6detail17trampoline_kernelINS0_13select_configILj256ELj13ELNS0_17block_load_methodE3ELS4_3ELS4_3ELNS0_20block_scan_algorithmE0ELj4294967295EEENS1_25partition_config_selectorILNS1_17partition_subalgoE4EjNS0_10empty_typeEbEEZZNS1_14partition_implILS8_4ELb0ES6_15HIP_vector_typeIjLj2EENS0_17counting_iteratorIjlEEPS9_SG_NS0_5tupleIJPjSI_NS0_16reverse_iteratorISI_EEEEENSH_IJSG_SG_SG_EEES9_SI_JZNS1_25segmented_radix_sort_implINS0_14default_configELb1EPKbPbPKlPlN2at6native12_GLOBAL__N_18offset_tEEE10hipError_tPvRmT1_PNSt15iterator_traitsIS12_E10value_typeET2_T3_PNS13_IS18_E10value_typeET4_jRbjT5_S1E_jjP12ihipStream_tbEUljE_ZNSN_ISO_Lb1ESQ_SR_ST_SU_SY_EESZ_S10_S11_S12_S16_S17_S18_S1B_S1C_jS1D_jS1E_S1E_jjS1G_bEUljE0_EEESZ_S10_S11_S18_S1C_S1E_T6_T7_T9_mT8_S1G_bDpT10_ENKUlT_T0_E_clISt17integral_constantIbLb0EES1U_EEDaS1P_S1Q_EUlS1P_E_NS1_11comp_targetILNS1_3genE5ELNS1_11target_archE942ELNS1_3gpuE9ELNS1_3repE0EEENS1_30default_config_static_selectorELNS0_4arch9wavefront6targetE0EEEvS12_.has_indirect_call, 0
	.section	.AMDGPU.csdata,"",@progbits
; Kernel info:
; codeLenInByte = 0
; TotalNumSgprs: 0
; NumVgprs: 0
; ScratchSize: 0
; MemoryBound: 0
; FloatMode: 240
; IeeeMode: 1
; LDSByteSize: 0 bytes/workgroup (compile time only)
; SGPRBlocks: 0
; VGPRBlocks: 0
; NumSGPRsForWavesPerEU: 1
; NumVGPRsForWavesPerEU: 1
; NamedBarCnt: 0
; Occupancy: 16
; WaveLimiterHint : 0
; COMPUTE_PGM_RSRC2:SCRATCH_EN: 0
; COMPUTE_PGM_RSRC2:USER_SGPR: 2
; COMPUTE_PGM_RSRC2:TRAP_HANDLER: 0
; COMPUTE_PGM_RSRC2:TGID_X_EN: 1
; COMPUTE_PGM_RSRC2:TGID_Y_EN: 0
; COMPUTE_PGM_RSRC2:TGID_Z_EN: 0
; COMPUTE_PGM_RSRC2:TIDIG_COMP_CNT: 0
	.section	.text._ZN7rocprim17ROCPRIM_400000_NS6detail17trampoline_kernelINS0_13select_configILj256ELj13ELNS0_17block_load_methodE3ELS4_3ELS4_3ELNS0_20block_scan_algorithmE0ELj4294967295EEENS1_25partition_config_selectorILNS1_17partition_subalgoE4EjNS0_10empty_typeEbEEZZNS1_14partition_implILS8_4ELb0ES6_15HIP_vector_typeIjLj2EENS0_17counting_iteratorIjlEEPS9_SG_NS0_5tupleIJPjSI_NS0_16reverse_iteratorISI_EEEEENSH_IJSG_SG_SG_EEES9_SI_JZNS1_25segmented_radix_sort_implINS0_14default_configELb1EPKbPbPKlPlN2at6native12_GLOBAL__N_18offset_tEEE10hipError_tPvRmT1_PNSt15iterator_traitsIS12_E10value_typeET2_T3_PNS13_IS18_E10value_typeET4_jRbjT5_S1E_jjP12ihipStream_tbEUljE_ZNSN_ISO_Lb1ESQ_SR_ST_SU_SY_EESZ_S10_S11_S12_S16_S17_S18_S1B_S1C_jS1D_jS1E_S1E_jjS1G_bEUljE0_EEESZ_S10_S11_S18_S1C_S1E_T6_T7_T9_mT8_S1G_bDpT10_ENKUlT_T0_E_clISt17integral_constantIbLb0EES1U_EEDaS1P_S1Q_EUlS1P_E_NS1_11comp_targetILNS1_3genE4ELNS1_11target_archE910ELNS1_3gpuE8ELNS1_3repE0EEENS1_30default_config_static_selectorELNS0_4arch9wavefront6targetE0EEEvS12_,"axG",@progbits,_ZN7rocprim17ROCPRIM_400000_NS6detail17trampoline_kernelINS0_13select_configILj256ELj13ELNS0_17block_load_methodE3ELS4_3ELS4_3ELNS0_20block_scan_algorithmE0ELj4294967295EEENS1_25partition_config_selectorILNS1_17partition_subalgoE4EjNS0_10empty_typeEbEEZZNS1_14partition_implILS8_4ELb0ES6_15HIP_vector_typeIjLj2EENS0_17counting_iteratorIjlEEPS9_SG_NS0_5tupleIJPjSI_NS0_16reverse_iteratorISI_EEEEENSH_IJSG_SG_SG_EEES9_SI_JZNS1_25segmented_radix_sort_implINS0_14default_configELb1EPKbPbPKlPlN2at6native12_GLOBAL__N_18offset_tEEE10hipError_tPvRmT1_PNSt15iterator_traitsIS12_E10value_typeET2_T3_PNS13_IS18_E10value_typeET4_jRbjT5_S1E_jjP12ihipStream_tbEUljE_ZNSN_ISO_Lb1ESQ_SR_ST_SU_SY_EESZ_S10_S11_S12_S16_S17_S18_S1B_S1C_jS1D_jS1E_S1E_jjS1G_bEUljE0_EEESZ_S10_S11_S18_S1C_S1E_T6_T7_T9_mT8_S1G_bDpT10_ENKUlT_T0_E_clISt17integral_constantIbLb0EES1U_EEDaS1P_S1Q_EUlS1P_E_NS1_11comp_targetILNS1_3genE4ELNS1_11target_archE910ELNS1_3gpuE8ELNS1_3repE0EEENS1_30default_config_static_selectorELNS0_4arch9wavefront6targetE0EEEvS12_,comdat
	.globl	_ZN7rocprim17ROCPRIM_400000_NS6detail17trampoline_kernelINS0_13select_configILj256ELj13ELNS0_17block_load_methodE3ELS4_3ELS4_3ELNS0_20block_scan_algorithmE0ELj4294967295EEENS1_25partition_config_selectorILNS1_17partition_subalgoE4EjNS0_10empty_typeEbEEZZNS1_14partition_implILS8_4ELb0ES6_15HIP_vector_typeIjLj2EENS0_17counting_iteratorIjlEEPS9_SG_NS0_5tupleIJPjSI_NS0_16reverse_iteratorISI_EEEEENSH_IJSG_SG_SG_EEES9_SI_JZNS1_25segmented_radix_sort_implINS0_14default_configELb1EPKbPbPKlPlN2at6native12_GLOBAL__N_18offset_tEEE10hipError_tPvRmT1_PNSt15iterator_traitsIS12_E10value_typeET2_T3_PNS13_IS18_E10value_typeET4_jRbjT5_S1E_jjP12ihipStream_tbEUljE_ZNSN_ISO_Lb1ESQ_SR_ST_SU_SY_EESZ_S10_S11_S12_S16_S17_S18_S1B_S1C_jS1D_jS1E_S1E_jjS1G_bEUljE0_EEESZ_S10_S11_S18_S1C_S1E_T6_T7_T9_mT8_S1G_bDpT10_ENKUlT_T0_E_clISt17integral_constantIbLb0EES1U_EEDaS1P_S1Q_EUlS1P_E_NS1_11comp_targetILNS1_3genE4ELNS1_11target_archE910ELNS1_3gpuE8ELNS1_3repE0EEENS1_30default_config_static_selectorELNS0_4arch9wavefront6targetE0EEEvS12_ ; -- Begin function _ZN7rocprim17ROCPRIM_400000_NS6detail17trampoline_kernelINS0_13select_configILj256ELj13ELNS0_17block_load_methodE3ELS4_3ELS4_3ELNS0_20block_scan_algorithmE0ELj4294967295EEENS1_25partition_config_selectorILNS1_17partition_subalgoE4EjNS0_10empty_typeEbEEZZNS1_14partition_implILS8_4ELb0ES6_15HIP_vector_typeIjLj2EENS0_17counting_iteratorIjlEEPS9_SG_NS0_5tupleIJPjSI_NS0_16reverse_iteratorISI_EEEEENSH_IJSG_SG_SG_EEES9_SI_JZNS1_25segmented_radix_sort_implINS0_14default_configELb1EPKbPbPKlPlN2at6native12_GLOBAL__N_18offset_tEEE10hipError_tPvRmT1_PNSt15iterator_traitsIS12_E10value_typeET2_T3_PNS13_IS18_E10value_typeET4_jRbjT5_S1E_jjP12ihipStream_tbEUljE_ZNSN_ISO_Lb1ESQ_SR_ST_SU_SY_EESZ_S10_S11_S12_S16_S17_S18_S1B_S1C_jS1D_jS1E_S1E_jjS1G_bEUljE0_EEESZ_S10_S11_S18_S1C_S1E_T6_T7_T9_mT8_S1G_bDpT10_ENKUlT_T0_E_clISt17integral_constantIbLb0EES1U_EEDaS1P_S1Q_EUlS1P_E_NS1_11comp_targetILNS1_3genE4ELNS1_11target_archE910ELNS1_3gpuE8ELNS1_3repE0EEENS1_30default_config_static_selectorELNS0_4arch9wavefront6targetE0EEEvS12_
	.p2align	8
	.type	_ZN7rocprim17ROCPRIM_400000_NS6detail17trampoline_kernelINS0_13select_configILj256ELj13ELNS0_17block_load_methodE3ELS4_3ELS4_3ELNS0_20block_scan_algorithmE0ELj4294967295EEENS1_25partition_config_selectorILNS1_17partition_subalgoE4EjNS0_10empty_typeEbEEZZNS1_14partition_implILS8_4ELb0ES6_15HIP_vector_typeIjLj2EENS0_17counting_iteratorIjlEEPS9_SG_NS0_5tupleIJPjSI_NS0_16reverse_iteratorISI_EEEEENSH_IJSG_SG_SG_EEES9_SI_JZNS1_25segmented_radix_sort_implINS0_14default_configELb1EPKbPbPKlPlN2at6native12_GLOBAL__N_18offset_tEEE10hipError_tPvRmT1_PNSt15iterator_traitsIS12_E10value_typeET2_T3_PNS13_IS18_E10value_typeET4_jRbjT5_S1E_jjP12ihipStream_tbEUljE_ZNSN_ISO_Lb1ESQ_SR_ST_SU_SY_EESZ_S10_S11_S12_S16_S17_S18_S1B_S1C_jS1D_jS1E_S1E_jjS1G_bEUljE0_EEESZ_S10_S11_S18_S1C_S1E_T6_T7_T9_mT8_S1G_bDpT10_ENKUlT_T0_E_clISt17integral_constantIbLb0EES1U_EEDaS1P_S1Q_EUlS1P_E_NS1_11comp_targetILNS1_3genE4ELNS1_11target_archE910ELNS1_3gpuE8ELNS1_3repE0EEENS1_30default_config_static_selectorELNS0_4arch9wavefront6targetE0EEEvS12_,@function
_ZN7rocprim17ROCPRIM_400000_NS6detail17trampoline_kernelINS0_13select_configILj256ELj13ELNS0_17block_load_methodE3ELS4_3ELS4_3ELNS0_20block_scan_algorithmE0ELj4294967295EEENS1_25partition_config_selectorILNS1_17partition_subalgoE4EjNS0_10empty_typeEbEEZZNS1_14partition_implILS8_4ELb0ES6_15HIP_vector_typeIjLj2EENS0_17counting_iteratorIjlEEPS9_SG_NS0_5tupleIJPjSI_NS0_16reverse_iteratorISI_EEEEENSH_IJSG_SG_SG_EEES9_SI_JZNS1_25segmented_radix_sort_implINS0_14default_configELb1EPKbPbPKlPlN2at6native12_GLOBAL__N_18offset_tEEE10hipError_tPvRmT1_PNSt15iterator_traitsIS12_E10value_typeET2_T3_PNS13_IS18_E10value_typeET4_jRbjT5_S1E_jjP12ihipStream_tbEUljE_ZNSN_ISO_Lb1ESQ_SR_ST_SU_SY_EESZ_S10_S11_S12_S16_S17_S18_S1B_S1C_jS1D_jS1E_S1E_jjS1G_bEUljE0_EEESZ_S10_S11_S18_S1C_S1E_T6_T7_T9_mT8_S1G_bDpT10_ENKUlT_T0_E_clISt17integral_constantIbLb0EES1U_EEDaS1P_S1Q_EUlS1P_E_NS1_11comp_targetILNS1_3genE4ELNS1_11target_archE910ELNS1_3gpuE8ELNS1_3repE0EEENS1_30default_config_static_selectorELNS0_4arch9wavefront6targetE0EEEvS12_: ; @_ZN7rocprim17ROCPRIM_400000_NS6detail17trampoline_kernelINS0_13select_configILj256ELj13ELNS0_17block_load_methodE3ELS4_3ELS4_3ELNS0_20block_scan_algorithmE0ELj4294967295EEENS1_25partition_config_selectorILNS1_17partition_subalgoE4EjNS0_10empty_typeEbEEZZNS1_14partition_implILS8_4ELb0ES6_15HIP_vector_typeIjLj2EENS0_17counting_iteratorIjlEEPS9_SG_NS0_5tupleIJPjSI_NS0_16reverse_iteratorISI_EEEEENSH_IJSG_SG_SG_EEES9_SI_JZNS1_25segmented_radix_sort_implINS0_14default_configELb1EPKbPbPKlPlN2at6native12_GLOBAL__N_18offset_tEEE10hipError_tPvRmT1_PNSt15iterator_traitsIS12_E10value_typeET2_T3_PNS13_IS18_E10value_typeET4_jRbjT5_S1E_jjP12ihipStream_tbEUljE_ZNSN_ISO_Lb1ESQ_SR_ST_SU_SY_EESZ_S10_S11_S12_S16_S17_S18_S1B_S1C_jS1D_jS1E_S1E_jjS1G_bEUljE0_EEESZ_S10_S11_S18_S1C_S1E_T6_T7_T9_mT8_S1G_bDpT10_ENKUlT_T0_E_clISt17integral_constantIbLb0EES1U_EEDaS1P_S1Q_EUlS1P_E_NS1_11comp_targetILNS1_3genE4ELNS1_11target_archE910ELNS1_3gpuE8ELNS1_3repE0EEENS1_30default_config_static_selectorELNS0_4arch9wavefront6targetE0EEEvS12_
; %bb.0:
	.section	.rodata,"a",@progbits
	.p2align	6, 0x0
	.amdhsa_kernel _ZN7rocprim17ROCPRIM_400000_NS6detail17trampoline_kernelINS0_13select_configILj256ELj13ELNS0_17block_load_methodE3ELS4_3ELS4_3ELNS0_20block_scan_algorithmE0ELj4294967295EEENS1_25partition_config_selectorILNS1_17partition_subalgoE4EjNS0_10empty_typeEbEEZZNS1_14partition_implILS8_4ELb0ES6_15HIP_vector_typeIjLj2EENS0_17counting_iteratorIjlEEPS9_SG_NS0_5tupleIJPjSI_NS0_16reverse_iteratorISI_EEEEENSH_IJSG_SG_SG_EEES9_SI_JZNS1_25segmented_radix_sort_implINS0_14default_configELb1EPKbPbPKlPlN2at6native12_GLOBAL__N_18offset_tEEE10hipError_tPvRmT1_PNSt15iterator_traitsIS12_E10value_typeET2_T3_PNS13_IS18_E10value_typeET4_jRbjT5_S1E_jjP12ihipStream_tbEUljE_ZNSN_ISO_Lb1ESQ_SR_ST_SU_SY_EESZ_S10_S11_S12_S16_S17_S18_S1B_S1C_jS1D_jS1E_S1E_jjS1G_bEUljE0_EEESZ_S10_S11_S18_S1C_S1E_T6_T7_T9_mT8_S1G_bDpT10_ENKUlT_T0_E_clISt17integral_constantIbLb0EES1U_EEDaS1P_S1Q_EUlS1P_E_NS1_11comp_targetILNS1_3genE4ELNS1_11target_archE910ELNS1_3gpuE8ELNS1_3repE0EEENS1_30default_config_static_selectorELNS0_4arch9wavefront6targetE0EEEvS12_
		.amdhsa_group_segment_fixed_size 0
		.amdhsa_private_segment_fixed_size 0
		.amdhsa_kernarg_size 176
		.amdhsa_user_sgpr_count 2
		.amdhsa_user_sgpr_dispatch_ptr 0
		.amdhsa_user_sgpr_queue_ptr 0
		.amdhsa_user_sgpr_kernarg_segment_ptr 1
		.amdhsa_user_sgpr_dispatch_id 0
		.amdhsa_user_sgpr_kernarg_preload_length 0
		.amdhsa_user_sgpr_kernarg_preload_offset 0
		.amdhsa_user_sgpr_private_segment_size 0
		.amdhsa_wavefront_size32 1
		.amdhsa_uses_dynamic_stack 0
		.amdhsa_enable_private_segment 0
		.amdhsa_system_sgpr_workgroup_id_x 1
		.amdhsa_system_sgpr_workgroup_id_y 0
		.amdhsa_system_sgpr_workgroup_id_z 0
		.amdhsa_system_sgpr_workgroup_info 0
		.amdhsa_system_vgpr_workitem_id 0
		.amdhsa_next_free_vgpr 1
		.amdhsa_next_free_sgpr 1
		.amdhsa_named_barrier_count 0
		.amdhsa_reserve_vcc 0
		.amdhsa_float_round_mode_32 0
		.amdhsa_float_round_mode_16_64 0
		.amdhsa_float_denorm_mode_32 3
		.amdhsa_float_denorm_mode_16_64 3
		.amdhsa_fp16_overflow 0
		.amdhsa_memory_ordered 1
		.amdhsa_forward_progress 1
		.amdhsa_inst_pref_size 0
		.amdhsa_round_robin_scheduling 0
		.amdhsa_exception_fp_ieee_invalid_op 0
		.amdhsa_exception_fp_denorm_src 0
		.amdhsa_exception_fp_ieee_div_zero 0
		.amdhsa_exception_fp_ieee_overflow 0
		.amdhsa_exception_fp_ieee_underflow 0
		.amdhsa_exception_fp_ieee_inexact 0
		.amdhsa_exception_int_div_zero 0
	.end_amdhsa_kernel
	.section	.text._ZN7rocprim17ROCPRIM_400000_NS6detail17trampoline_kernelINS0_13select_configILj256ELj13ELNS0_17block_load_methodE3ELS4_3ELS4_3ELNS0_20block_scan_algorithmE0ELj4294967295EEENS1_25partition_config_selectorILNS1_17partition_subalgoE4EjNS0_10empty_typeEbEEZZNS1_14partition_implILS8_4ELb0ES6_15HIP_vector_typeIjLj2EENS0_17counting_iteratorIjlEEPS9_SG_NS0_5tupleIJPjSI_NS0_16reverse_iteratorISI_EEEEENSH_IJSG_SG_SG_EEES9_SI_JZNS1_25segmented_radix_sort_implINS0_14default_configELb1EPKbPbPKlPlN2at6native12_GLOBAL__N_18offset_tEEE10hipError_tPvRmT1_PNSt15iterator_traitsIS12_E10value_typeET2_T3_PNS13_IS18_E10value_typeET4_jRbjT5_S1E_jjP12ihipStream_tbEUljE_ZNSN_ISO_Lb1ESQ_SR_ST_SU_SY_EESZ_S10_S11_S12_S16_S17_S18_S1B_S1C_jS1D_jS1E_S1E_jjS1G_bEUljE0_EEESZ_S10_S11_S18_S1C_S1E_T6_T7_T9_mT8_S1G_bDpT10_ENKUlT_T0_E_clISt17integral_constantIbLb0EES1U_EEDaS1P_S1Q_EUlS1P_E_NS1_11comp_targetILNS1_3genE4ELNS1_11target_archE910ELNS1_3gpuE8ELNS1_3repE0EEENS1_30default_config_static_selectorELNS0_4arch9wavefront6targetE0EEEvS12_,"axG",@progbits,_ZN7rocprim17ROCPRIM_400000_NS6detail17trampoline_kernelINS0_13select_configILj256ELj13ELNS0_17block_load_methodE3ELS4_3ELS4_3ELNS0_20block_scan_algorithmE0ELj4294967295EEENS1_25partition_config_selectorILNS1_17partition_subalgoE4EjNS0_10empty_typeEbEEZZNS1_14partition_implILS8_4ELb0ES6_15HIP_vector_typeIjLj2EENS0_17counting_iteratorIjlEEPS9_SG_NS0_5tupleIJPjSI_NS0_16reverse_iteratorISI_EEEEENSH_IJSG_SG_SG_EEES9_SI_JZNS1_25segmented_radix_sort_implINS0_14default_configELb1EPKbPbPKlPlN2at6native12_GLOBAL__N_18offset_tEEE10hipError_tPvRmT1_PNSt15iterator_traitsIS12_E10value_typeET2_T3_PNS13_IS18_E10value_typeET4_jRbjT5_S1E_jjP12ihipStream_tbEUljE_ZNSN_ISO_Lb1ESQ_SR_ST_SU_SY_EESZ_S10_S11_S12_S16_S17_S18_S1B_S1C_jS1D_jS1E_S1E_jjS1G_bEUljE0_EEESZ_S10_S11_S18_S1C_S1E_T6_T7_T9_mT8_S1G_bDpT10_ENKUlT_T0_E_clISt17integral_constantIbLb0EES1U_EEDaS1P_S1Q_EUlS1P_E_NS1_11comp_targetILNS1_3genE4ELNS1_11target_archE910ELNS1_3gpuE8ELNS1_3repE0EEENS1_30default_config_static_selectorELNS0_4arch9wavefront6targetE0EEEvS12_,comdat
.Lfunc_end1462:
	.size	_ZN7rocprim17ROCPRIM_400000_NS6detail17trampoline_kernelINS0_13select_configILj256ELj13ELNS0_17block_load_methodE3ELS4_3ELS4_3ELNS0_20block_scan_algorithmE0ELj4294967295EEENS1_25partition_config_selectorILNS1_17partition_subalgoE4EjNS0_10empty_typeEbEEZZNS1_14partition_implILS8_4ELb0ES6_15HIP_vector_typeIjLj2EENS0_17counting_iteratorIjlEEPS9_SG_NS0_5tupleIJPjSI_NS0_16reverse_iteratorISI_EEEEENSH_IJSG_SG_SG_EEES9_SI_JZNS1_25segmented_radix_sort_implINS0_14default_configELb1EPKbPbPKlPlN2at6native12_GLOBAL__N_18offset_tEEE10hipError_tPvRmT1_PNSt15iterator_traitsIS12_E10value_typeET2_T3_PNS13_IS18_E10value_typeET4_jRbjT5_S1E_jjP12ihipStream_tbEUljE_ZNSN_ISO_Lb1ESQ_SR_ST_SU_SY_EESZ_S10_S11_S12_S16_S17_S18_S1B_S1C_jS1D_jS1E_S1E_jjS1G_bEUljE0_EEESZ_S10_S11_S18_S1C_S1E_T6_T7_T9_mT8_S1G_bDpT10_ENKUlT_T0_E_clISt17integral_constantIbLb0EES1U_EEDaS1P_S1Q_EUlS1P_E_NS1_11comp_targetILNS1_3genE4ELNS1_11target_archE910ELNS1_3gpuE8ELNS1_3repE0EEENS1_30default_config_static_selectorELNS0_4arch9wavefront6targetE0EEEvS12_, .Lfunc_end1462-_ZN7rocprim17ROCPRIM_400000_NS6detail17trampoline_kernelINS0_13select_configILj256ELj13ELNS0_17block_load_methodE3ELS4_3ELS4_3ELNS0_20block_scan_algorithmE0ELj4294967295EEENS1_25partition_config_selectorILNS1_17partition_subalgoE4EjNS0_10empty_typeEbEEZZNS1_14partition_implILS8_4ELb0ES6_15HIP_vector_typeIjLj2EENS0_17counting_iteratorIjlEEPS9_SG_NS0_5tupleIJPjSI_NS0_16reverse_iteratorISI_EEEEENSH_IJSG_SG_SG_EEES9_SI_JZNS1_25segmented_radix_sort_implINS0_14default_configELb1EPKbPbPKlPlN2at6native12_GLOBAL__N_18offset_tEEE10hipError_tPvRmT1_PNSt15iterator_traitsIS12_E10value_typeET2_T3_PNS13_IS18_E10value_typeET4_jRbjT5_S1E_jjP12ihipStream_tbEUljE_ZNSN_ISO_Lb1ESQ_SR_ST_SU_SY_EESZ_S10_S11_S12_S16_S17_S18_S1B_S1C_jS1D_jS1E_S1E_jjS1G_bEUljE0_EEESZ_S10_S11_S18_S1C_S1E_T6_T7_T9_mT8_S1G_bDpT10_ENKUlT_T0_E_clISt17integral_constantIbLb0EES1U_EEDaS1P_S1Q_EUlS1P_E_NS1_11comp_targetILNS1_3genE4ELNS1_11target_archE910ELNS1_3gpuE8ELNS1_3repE0EEENS1_30default_config_static_selectorELNS0_4arch9wavefront6targetE0EEEvS12_
                                        ; -- End function
	.set _ZN7rocprim17ROCPRIM_400000_NS6detail17trampoline_kernelINS0_13select_configILj256ELj13ELNS0_17block_load_methodE3ELS4_3ELS4_3ELNS0_20block_scan_algorithmE0ELj4294967295EEENS1_25partition_config_selectorILNS1_17partition_subalgoE4EjNS0_10empty_typeEbEEZZNS1_14partition_implILS8_4ELb0ES6_15HIP_vector_typeIjLj2EENS0_17counting_iteratorIjlEEPS9_SG_NS0_5tupleIJPjSI_NS0_16reverse_iteratorISI_EEEEENSH_IJSG_SG_SG_EEES9_SI_JZNS1_25segmented_radix_sort_implINS0_14default_configELb1EPKbPbPKlPlN2at6native12_GLOBAL__N_18offset_tEEE10hipError_tPvRmT1_PNSt15iterator_traitsIS12_E10value_typeET2_T3_PNS13_IS18_E10value_typeET4_jRbjT5_S1E_jjP12ihipStream_tbEUljE_ZNSN_ISO_Lb1ESQ_SR_ST_SU_SY_EESZ_S10_S11_S12_S16_S17_S18_S1B_S1C_jS1D_jS1E_S1E_jjS1G_bEUljE0_EEESZ_S10_S11_S18_S1C_S1E_T6_T7_T9_mT8_S1G_bDpT10_ENKUlT_T0_E_clISt17integral_constantIbLb0EES1U_EEDaS1P_S1Q_EUlS1P_E_NS1_11comp_targetILNS1_3genE4ELNS1_11target_archE910ELNS1_3gpuE8ELNS1_3repE0EEENS1_30default_config_static_selectorELNS0_4arch9wavefront6targetE0EEEvS12_.num_vgpr, 0
	.set _ZN7rocprim17ROCPRIM_400000_NS6detail17trampoline_kernelINS0_13select_configILj256ELj13ELNS0_17block_load_methodE3ELS4_3ELS4_3ELNS0_20block_scan_algorithmE0ELj4294967295EEENS1_25partition_config_selectorILNS1_17partition_subalgoE4EjNS0_10empty_typeEbEEZZNS1_14partition_implILS8_4ELb0ES6_15HIP_vector_typeIjLj2EENS0_17counting_iteratorIjlEEPS9_SG_NS0_5tupleIJPjSI_NS0_16reverse_iteratorISI_EEEEENSH_IJSG_SG_SG_EEES9_SI_JZNS1_25segmented_radix_sort_implINS0_14default_configELb1EPKbPbPKlPlN2at6native12_GLOBAL__N_18offset_tEEE10hipError_tPvRmT1_PNSt15iterator_traitsIS12_E10value_typeET2_T3_PNS13_IS18_E10value_typeET4_jRbjT5_S1E_jjP12ihipStream_tbEUljE_ZNSN_ISO_Lb1ESQ_SR_ST_SU_SY_EESZ_S10_S11_S12_S16_S17_S18_S1B_S1C_jS1D_jS1E_S1E_jjS1G_bEUljE0_EEESZ_S10_S11_S18_S1C_S1E_T6_T7_T9_mT8_S1G_bDpT10_ENKUlT_T0_E_clISt17integral_constantIbLb0EES1U_EEDaS1P_S1Q_EUlS1P_E_NS1_11comp_targetILNS1_3genE4ELNS1_11target_archE910ELNS1_3gpuE8ELNS1_3repE0EEENS1_30default_config_static_selectorELNS0_4arch9wavefront6targetE0EEEvS12_.num_agpr, 0
	.set _ZN7rocprim17ROCPRIM_400000_NS6detail17trampoline_kernelINS0_13select_configILj256ELj13ELNS0_17block_load_methodE3ELS4_3ELS4_3ELNS0_20block_scan_algorithmE0ELj4294967295EEENS1_25partition_config_selectorILNS1_17partition_subalgoE4EjNS0_10empty_typeEbEEZZNS1_14partition_implILS8_4ELb0ES6_15HIP_vector_typeIjLj2EENS0_17counting_iteratorIjlEEPS9_SG_NS0_5tupleIJPjSI_NS0_16reverse_iteratorISI_EEEEENSH_IJSG_SG_SG_EEES9_SI_JZNS1_25segmented_radix_sort_implINS0_14default_configELb1EPKbPbPKlPlN2at6native12_GLOBAL__N_18offset_tEEE10hipError_tPvRmT1_PNSt15iterator_traitsIS12_E10value_typeET2_T3_PNS13_IS18_E10value_typeET4_jRbjT5_S1E_jjP12ihipStream_tbEUljE_ZNSN_ISO_Lb1ESQ_SR_ST_SU_SY_EESZ_S10_S11_S12_S16_S17_S18_S1B_S1C_jS1D_jS1E_S1E_jjS1G_bEUljE0_EEESZ_S10_S11_S18_S1C_S1E_T6_T7_T9_mT8_S1G_bDpT10_ENKUlT_T0_E_clISt17integral_constantIbLb0EES1U_EEDaS1P_S1Q_EUlS1P_E_NS1_11comp_targetILNS1_3genE4ELNS1_11target_archE910ELNS1_3gpuE8ELNS1_3repE0EEENS1_30default_config_static_selectorELNS0_4arch9wavefront6targetE0EEEvS12_.numbered_sgpr, 0
	.set _ZN7rocprim17ROCPRIM_400000_NS6detail17trampoline_kernelINS0_13select_configILj256ELj13ELNS0_17block_load_methodE3ELS4_3ELS4_3ELNS0_20block_scan_algorithmE0ELj4294967295EEENS1_25partition_config_selectorILNS1_17partition_subalgoE4EjNS0_10empty_typeEbEEZZNS1_14partition_implILS8_4ELb0ES6_15HIP_vector_typeIjLj2EENS0_17counting_iteratorIjlEEPS9_SG_NS0_5tupleIJPjSI_NS0_16reverse_iteratorISI_EEEEENSH_IJSG_SG_SG_EEES9_SI_JZNS1_25segmented_radix_sort_implINS0_14default_configELb1EPKbPbPKlPlN2at6native12_GLOBAL__N_18offset_tEEE10hipError_tPvRmT1_PNSt15iterator_traitsIS12_E10value_typeET2_T3_PNS13_IS18_E10value_typeET4_jRbjT5_S1E_jjP12ihipStream_tbEUljE_ZNSN_ISO_Lb1ESQ_SR_ST_SU_SY_EESZ_S10_S11_S12_S16_S17_S18_S1B_S1C_jS1D_jS1E_S1E_jjS1G_bEUljE0_EEESZ_S10_S11_S18_S1C_S1E_T6_T7_T9_mT8_S1G_bDpT10_ENKUlT_T0_E_clISt17integral_constantIbLb0EES1U_EEDaS1P_S1Q_EUlS1P_E_NS1_11comp_targetILNS1_3genE4ELNS1_11target_archE910ELNS1_3gpuE8ELNS1_3repE0EEENS1_30default_config_static_selectorELNS0_4arch9wavefront6targetE0EEEvS12_.num_named_barrier, 0
	.set _ZN7rocprim17ROCPRIM_400000_NS6detail17trampoline_kernelINS0_13select_configILj256ELj13ELNS0_17block_load_methodE3ELS4_3ELS4_3ELNS0_20block_scan_algorithmE0ELj4294967295EEENS1_25partition_config_selectorILNS1_17partition_subalgoE4EjNS0_10empty_typeEbEEZZNS1_14partition_implILS8_4ELb0ES6_15HIP_vector_typeIjLj2EENS0_17counting_iteratorIjlEEPS9_SG_NS0_5tupleIJPjSI_NS0_16reverse_iteratorISI_EEEEENSH_IJSG_SG_SG_EEES9_SI_JZNS1_25segmented_radix_sort_implINS0_14default_configELb1EPKbPbPKlPlN2at6native12_GLOBAL__N_18offset_tEEE10hipError_tPvRmT1_PNSt15iterator_traitsIS12_E10value_typeET2_T3_PNS13_IS18_E10value_typeET4_jRbjT5_S1E_jjP12ihipStream_tbEUljE_ZNSN_ISO_Lb1ESQ_SR_ST_SU_SY_EESZ_S10_S11_S12_S16_S17_S18_S1B_S1C_jS1D_jS1E_S1E_jjS1G_bEUljE0_EEESZ_S10_S11_S18_S1C_S1E_T6_T7_T9_mT8_S1G_bDpT10_ENKUlT_T0_E_clISt17integral_constantIbLb0EES1U_EEDaS1P_S1Q_EUlS1P_E_NS1_11comp_targetILNS1_3genE4ELNS1_11target_archE910ELNS1_3gpuE8ELNS1_3repE0EEENS1_30default_config_static_selectorELNS0_4arch9wavefront6targetE0EEEvS12_.private_seg_size, 0
	.set _ZN7rocprim17ROCPRIM_400000_NS6detail17trampoline_kernelINS0_13select_configILj256ELj13ELNS0_17block_load_methodE3ELS4_3ELS4_3ELNS0_20block_scan_algorithmE0ELj4294967295EEENS1_25partition_config_selectorILNS1_17partition_subalgoE4EjNS0_10empty_typeEbEEZZNS1_14partition_implILS8_4ELb0ES6_15HIP_vector_typeIjLj2EENS0_17counting_iteratorIjlEEPS9_SG_NS0_5tupleIJPjSI_NS0_16reverse_iteratorISI_EEEEENSH_IJSG_SG_SG_EEES9_SI_JZNS1_25segmented_radix_sort_implINS0_14default_configELb1EPKbPbPKlPlN2at6native12_GLOBAL__N_18offset_tEEE10hipError_tPvRmT1_PNSt15iterator_traitsIS12_E10value_typeET2_T3_PNS13_IS18_E10value_typeET4_jRbjT5_S1E_jjP12ihipStream_tbEUljE_ZNSN_ISO_Lb1ESQ_SR_ST_SU_SY_EESZ_S10_S11_S12_S16_S17_S18_S1B_S1C_jS1D_jS1E_S1E_jjS1G_bEUljE0_EEESZ_S10_S11_S18_S1C_S1E_T6_T7_T9_mT8_S1G_bDpT10_ENKUlT_T0_E_clISt17integral_constantIbLb0EES1U_EEDaS1P_S1Q_EUlS1P_E_NS1_11comp_targetILNS1_3genE4ELNS1_11target_archE910ELNS1_3gpuE8ELNS1_3repE0EEENS1_30default_config_static_selectorELNS0_4arch9wavefront6targetE0EEEvS12_.uses_vcc, 0
	.set _ZN7rocprim17ROCPRIM_400000_NS6detail17trampoline_kernelINS0_13select_configILj256ELj13ELNS0_17block_load_methodE3ELS4_3ELS4_3ELNS0_20block_scan_algorithmE0ELj4294967295EEENS1_25partition_config_selectorILNS1_17partition_subalgoE4EjNS0_10empty_typeEbEEZZNS1_14partition_implILS8_4ELb0ES6_15HIP_vector_typeIjLj2EENS0_17counting_iteratorIjlEEPS9_SG_NS0_5tupleIJPjSI_NS0_16reverse_iteratorISI_EEEEENSH_IJSG_SG_SG_EEES9_SI_JZNS1_25segmented_radix_sort_implINS0_14default_configELb1EPKbPbPKlPlN2at6native12_GLOBAL__N_18offset_tEEE10hipError_tPvRmT1_PNSt15iterator_traitsIS12_E10value_typeET2_T3_PNS13_IS18_E10value_typeET4_jRbjT5_S1E_jjP12ihipStream_tbEUljE_ZNSN_ISO_Lb1ESQ_SR_ST_SU_SY_EESZ_S10_S11_S12_S16_S17_S18_S1B_S1C_jS1D_jS1E_S1E_jjS1G_bEUljE0_EEESZ_S10_S11_S18_S1C_S1E_T6_T7_T9_mT8_S1G_bDpT10_ENKUlT_T0_E_clISt17integral_constantIbLb0EES1U_EEDaS1P_S1Q_EUlS1P_E_NS1_11comp_targetILNS1_3genE4ELNS1_11target_archE910ELNS1_3gpuE8ELNS1_3repE0EEENS1_30default_config_static_selectorELNS0_4arch9wavefront6targetE0EEEvS12_.uses_flat_scratch, 0
	.set _ZN7rocprim17ROCPRIM_400000_NS6detail17trampoline_kernelINS0_13select_configILj256ELj13ELNS0_17block_load_methodE3ELS4_3ELS4_3ELNS0_20block_scan_algorithmE0ELj4294967295EEENS1_25partition_config_selectorILNS1_17partition_subalgoE4EjNS0_10empty_typeEbEEZZNS1_14partition_implILS8_4ELb0ES6_15HIP_vector_typeIjLj2EENS0_17counting_iteratorIjlEEPS9_SG_NS0_5tupleIJPjSI_NS0_16reverse_iteratorISI_EEEEENSH_IJSG_SG_SG_EEES9_SI_JZNS1_25segmented_radix_sort_implINS0_14default_configELb1EPKbPbPKlPlN2at6native12_GLOBAL__N_18offset_tEEE10hipError_tPvRmT1_PNSt15iterator_traitsIS12_E10value_typeET2_T3_PNS13_IS18_E10value_typeET4_jRbjT5_S1E_jjP12ihipStream_tbEUljE_ZNSN_ISO_Lb1ESQ_SR_ST_SU_SY_EESZ_S10_S11_S12_S16_S17_S18_S1B_S1C_jS1D_jS1E_S1E_jjS1G_bEUljE0_EEESZ_S10_S11_S18_S1C_S1E_T6_T7_T9_mT8_S1G_bDpT10_ENKUlT_T0_E_clISt17integral_constantIbLb0EES1U_EEDaS1P_S1Q_EUlS1P_E_NS1_11comp_targetILNS1_3genE4ELNS1_11target_archE910ELNS1_3gpuE8ELNS1_3repE0EEENS1_30default_config_static_selectorELNS0_4arch9wavefront6targetE0EEEvS12_.has_dyn_sized_stack, 0
	.set _ZN7rocprim17ROCPRIM_400000_NS6detail17trampoline_kernelINS0_13select_configILj256ELj13ELNS0_17block_load_methodE3ELS4_3ELS4_3ELNS0_20block_scan_algorithmE0ELj4294967295EEENS1_25partition_config_selectorILNS1_17partition_subalgoE4EjNS0_10empty_typeEbEEZZNS1_14partition_implILS8_4ELb0ES6_15HIP_vector_typeIjLj2EENS0_17counting_iteratorIjlEEPS9_SG_NS0_5tupleIJPjSI_NS0_16reverse_iteratorISI_EEEEENSH_IJSG_SG_SG_EEES9_SI_JZNS1_25segmented_radix_sort_implINS0_14default_configELb1EPKbPbPKlPlN2at6native12_GLOBAL__N_18offset_tEEE10hipError_tPvRmT1_PNSt15iterator_traitsIS12_E10value_typeET2_T3_PNS13_IS18_E10value_typeET4_jRbjT5_S1E_jjP12ihipStream_tbEUljE_ZNSN_ISO_Lb1ESQ_SR_ST_SU_SY_EESZ_S10_S11_S12_S16_S17_S18_S1B_S1C_jS1D_jS1E_S1E_jjS1G_bEUljE0_EEESZ_S10_S11_S18_S1C_S1E_T6_T7_T9_mT8_S1G_bDpT10_ENKUlT_T0_E_clISt17integral_constantIbLb0EES1U_EEDaS1P_S1Q_EUlS1P_E_NS1_11comp_targetILNS1_3genE4ELNS1_11target_archE910ELNS1_3gpuE8ELNS1_3repE0EEENS1_30default_config_static_selectorELNS0_4arch9wavefront6targetE0EEEvS12_.has_recursion, 0
	.set _ZN7rocprim17ROCPRIM_400000_NS6detail17trampoline_kernelINS0_13select_configILj256ELj13ELNS0_17block_load_methodE3ELS4_3ELS4_3ELNS0_20block_scan_algorithmE0ELj4294967295EEENS1_25partition_config_selectorILNS1_17partition_subalgoE4EjNS0_10empty_typeEbEEZZNS1_14partition_implILS8_4ELb0ES6_15HIP_vector_typeIjLj2EENS0_17counting_iteratorIjlEEPS9_SG_NS0_5tupleIJPjSI_NS0_16reverse_iteratorISI_EEEEENSH_IJSG_SG_SG_EEES9_SI_JZNS1_25segmented_radix_sort_implINS0_14default_configELb1EPKbPbPKlPlN2at6native12_GLOBAL__N_18offset_tEEE10hipError_tPvRmT1_PNSt15iterator_traitsIS12_E10value_typeET2_T3_PNS13_IS18_E10value_typeET4_jRbjT5_S1E_jjP12ihipStream_tbEUljE_ZNSN_ISO_Lb1ESQ_SR_ST_SU_SY_EESZ_S10_S11_S12_S16_S17_S18_S1B_S1C_jS1D_jS1E_S1E_jjS1G_bEUljE0_EEESZ_S10_S11_S18_S1C_S1E_T6_T7_T9_mT8_S1G_bDpT10_ENKUlT_T0_E_clISt17integral_constantIbLb0EES1U_EEDaS1P_S1Q_EUlS1P_E_NS1_11comp_targetILNS1_3genE4ELNS1_11target_archE910ELNS1_3gpuE8ELNS1_3repE0EEENS1_30default_config_static_selectorELNS0_4arch9wavefront6targetE0EEEvS12_.has_indirect_call, 0
	.section	.AMDGPU.csdata,"",@progbits
; Kernel info:
; codeLenInByte = 0
; TotalNumSgprs: 0
; NumVgprs: 0
; ScratchSize: 0
; MemoryBound: 0
; FloatMode: 240
; IeeeMode: 1
; LDSByteSize: 0 bytes/workgroup (compile time only)
; SGPRBlocks: 0
; VGPRBlocks: 0
; NumSGPRsForWavesPerEU: 1
; NumVGPRsForWavesPerEU: 1
; NamedBarCnt: 0
; Occupancy: 16
; WaveLimiterHint : 0
; COMPUTE_PGM_RSRC2:SCRATCH_EN: 0
; COMPUTE_PGM_RSRC2:USER_SGPR: 2
; COMPUTE_PGM_RSRC2:TRAP_HANDLER: 0
; COMPUTE_PGM_RSRC2:TGID_X_EN: 1
; COMPUTE_PGM_RSRC2:TGID_Y_EN: 0
; COMPUTE_PGM_RSRC2:TGID_Z_EN: 0
; COMPUTE_PGM_RSRC2:TIDIG_COMP_CNT: 0
	.section	.text._ZN7rocprim17ROCPRIM_400000_NS6detail17trampoline_kernelINS0_13select_configILj256ELj13ELNS0_17block_load_methodE3ELS4_3ELS4_3ELNS0_20block_scan_algorithmE0ELj4294967295EEENS1_25partition_config_selectorILNS1_17partition_subalgoE4EjNS0_10empty_typeEbEEZZNS1_14partition_implILS8_4ELb0ES6_15HIP_vector_typeIjLj2EENS0_17counting_iteratorIjlEEPS9_SG_NS0_5tupleIJPjSI_NS0_16reverse_iteratorISI_EEEEENSH_IJSG_SG_SG_EEES9_SI_JZNS1_25segmented_radix_sort_implINS0_14default_configELb1EPKbPbPKlPlN2at6native12_GLOBAL__N_18offset_tEEE10hipError_tPvRmT1_PNSt15iterator_traitsIS12_E10value_typeET2_T3_PNS13_IS18_E10value_typeET4_jRbjT5_S1E_jjP12ihipStream_tbEUljE_ZNSN_ISO_Lb1ESQ_SR_ST_SU_SY_EESZ_S10_S11_S12_S16_S17_S18_S1B_S1C_jS1D_jS1E_S1E_jjS1G_bEUljE0_EEESZ_S10_S11_S18_S1C_S1E_T6_T7_T9_mT8_S1G_bDpT10_ENKUlT_T0_E_clISt17integral_constantIbLb0EES1U_EEDaS1P_S1Q_EUlS1P_E_NS1_11comp_targetILNS1_3genE3ELNS1_11target_archE908ELNS1_3gpuE7ELNS1_3repE0EEENS1_30default_config_static_selectorELNS0_4arch9wavefront6targetE0EEEvS12_,"axG",@progbits,_ZN7rocprim17ROCPRIM_400000_NS6detail17trampoline_kernelINS0_13select_configILj256ELj13ELNS0_17block_load_methodE3ELS4_3ELS4_3ELNS0_20block_scan_algorithmE0ELj4294967295EEENS1_25partition_config_selectorILNS1_17partition_subalgoE4EjNS0_10empty_typeEbEEZZNS1_14partition_implILS8_4ELb0ES6_15HIP_vector_typeIjLj2EENS0_17counting_iteratorIjlEEPS9_SG_NS0_5tupleIJPjSI_NS0_16reverse_iteratorISI_EEEEENSH_IJSG_SG_SG_EEES9_SI_JZNS1_25segmented_radix_sort_implINS0_14default_configELb1EPKbPbPKlPlN2at6native12_GLOBAL__N_18offset_tEEE10hipError_tPvRmT1_PNSt15iterator_traitsIS12_E10value_typeET2_T3_PNS13_IS18_E10value_typeET4_jRbjT5_S1E_jjP12ihipStream_tbEUljE_ZNSN_ISO_Lb1ESQ_SR_ST_SU_SY_EESZ_S10_S11_S12_S16_S17_S18_S1B_S1C_jS1D_jS1E_S1E_jjS1G_bEUljE0_EEESZ_S10_S11_S18_S1C_S1E_T6_T7_T9_mT8_S1G_bDpT10_ENKUlT_T0_E_clISt17integral_constantIbLb0EES1U_EEDaS1P_S1Q_EUlS1P_E_NS1_11comp_targetILNS1_3genE3ELNS1_11target_archE908ELNS1_3gpuE7ELNS1_3repE0EEENS1_30default_config_static_selectorELNS0_4arch9wavefront6targetE0EEEvS12_,comdat
	.globl	_ZN7rocprim17ROCPRIM_400000_NS6detail17trampoline_kernelINS0_13select_configILj256ELj13ELNS0_17block_load_methodE3ELS4_3ELS4_3ELNS0_20block_scan_algorithmE0ELj4294967295EEENS1_25partition_config_selectorILNS1_17partition_subalgoE4EjNS0_10empty_typeEbEEZZNS1_14partition_implILS8_4ELb0ES6_15HIP_vector_typeIjLj2EENS0_17counting_iteratorIjlEEPS9_SG_NS0_5tupleIJPjSI_NS0_16reverse_iteratorISI_EEEEENSH_IJSG_SG_SG_EEES9_SI_JZNS1_25segmented_radix_sort_implINS0_14default_configELb1EPKbPbPKlPlN2at6native12_GLOBAL__N_18offset_tEEE10hipError_tPvRmT1_PNSt15iterator_traitsIS12_E10value_typeET2_T3_PNS13_IS18_E10value_typeET4_jRbjT5_S1E_jjP12ihipStream_tbEUljE_ZNSN_ISO_Lb1ESQ_SR_ST_SU_SY_EESZ_S10_S11_S12_S16_S17_S18_S1B_S1C_jS1D_jS1E_S1E_jjS1G_bEUljE0_EEESZ_S10_S11_S18_S1C_S1E_T6_T7_T9_mT8_S1G_bDpT10_ENKUlT_T0_E_clISt17integral_constantIbLb0EES1U_EEDaS1P_S1Q_EUlS1P_E_NS1_11comp_targetILNS1_3genE3ELNS1_11target_archE908ELNS1_3gpuE7ELNS1_3repE0EEENS1_30default_config_static_selectorELNS0_4arch9wavefront6targetE0EEEvS12_ ; -- Begin function _ZN7rocprim17ROCPRIM_400000_NS6detail17trampoline_kernelINS0_13select_configILj256ELj13ELNS0_17block_load_methodE3ELS4_3ELS4_3ELNS0_20block_scan_algorithmE0ELj4294967295EEENS1_25partition_config_selectorILNS1_17partition_subalgoE4EjNS0_10empty_typeEbEEZZNS1_14partition_implILS8_4ELb0ES6_15HIP_vector_typeIjLj2EENS0_17counting_iteratorIjlEEPS9_SG_NS0_5tupleIJPjSI_NS0_16reverse_iteratorISI_EEEEENSH_IJSG_SG_SG_EEES9_SI_JZNS1_25segmented_radix_sort_implINS0_14default_configELb1EPKbPbPKlPlN2at6native12_GLOBAL__N_18offset_tEEE10hipError_tPvRmT1_PNSt15iterator_traitsIS12_E10value_typeET2_T3_PNS13_IS18_E10value_typeET4_jRbjT5_S1E_jjP12ihipStream_tbEUljE_ZNSN_ISO_Lb1ESQ_SR_ST_SU_SY_EESZ_S10_S11_S12_S16_S17_S18_S1B_S1C_jS1D_jS1E_S1E_jjS1G_bEUljE0_EEESZ_S10_S11_S18_S1C_S1E_T6_T7_T9_mT8_S1G_bDpT10_ENKUlT_T0_E_clISt17integral_constantIbLb0EES1U_EEDaS1P_S1Q_EUlS1P_E_NS1_11comp_targetILNS1_3genE3ELNS1_11target_archE908ELNS1_3gpuE7ELNS1_3repE0EEENS1_30default_config_static_selectorELNS0_4arch9wavefront6targetE0EEEvS12_
	.p2align	8
	.type	_ZN7rocprim17ROCPRIM_400000_NS6detail17trampoline_kernelINS0_13select_configILj256ELj13ELNS0_17block_load_methodE3ELS4_3ELS4_3ELNS0_20block_scan_algorithmE0ELj4294967295EEENS1_25partition_config_selectorILNS1_17partition_subalgoE4EjNS0_10empty_typeEbEEZZNS1_14partition_implILS8_4ELb0ES6_15HIP_vector_typeIjLj2EENS0_17counting_iteratorIjlEEPS9_SG_NS0_5tupleIJPjSI_NS0_16reverse_iteratorISI_EEEEENSH_IJSG_SG_SG_EEES9_SI_JZNS1_25segmented_radix_sort_implINS0_14default_configELb1EPKbPbPKlPlN2at6native12_GLOBAL__N_18offset_tEEE10hipError_tPvRmT1_PNSt15iterator_traitsIS12_E10value_typeET2_T3_PNS13_IS18_E10value_typeET4_jRbjT5_S1E_jjP12ihipStream_tbEUljE_ZNSN_ISO_Lb1ESQ_SR_ST_SU_SY_EESZ_S10_S11_S12_S16_S17_S18_S1B_S1C_jS1D_jS1E_S1E_jjS1G_bEUljE0_EEESZ_S10_S11_S18_S1C_S1E_T6_T7_T9_mT8_S1G_bDpT10_ENKUlT_T0_E_clISt17integral_constantIbLb0EES1U_EEDaS1P_S1Q_EUlS1P_E_NS1_11comp_targetILNS1_3genE3ELNS1_11target_archE908ELNS1_3gpuE7ELNS1_3repE0EEENS1_30default_config_static_selectorELNS0_4arch9wavefront6targetE0EEEvS12_,@function
_ZN7rocprim17ROCPRIM_400000_NS6detail17trampoline_kernelINS0_13select_configILj256ELj13ELNS0_17block_load_methodE3ELS4_3ELS4_3ELNS0_20block_scan_algorithmE0ELj4294967295EEENS1_25partition_config_selectorILNS1_17partition_subalgoE4EjNS0_10empty_typeEbEEZZNS1_14partition_implILS8_4ELb0ES6_15HIP_vector_typeIjLj2EENS0_17counting_iteratorIjlEEPS9_SG_NS0_5tupleIJPjSI_NS0_16reverse_iteratorISI_EEEEENSH_IJSG_SG_SG_EEES9_SI_JZNS1_25segmented_radix_sort_implINS0_14default_configELb1EPKbPbPKlPlN2at6native12_GLOBAL__N_18offset_tEEE10hipError_tPvRmT1_PNSt15iterator_traitsIS12_E10value_typeET2_T3_PNS13_IS18_E10value_typeET4_jRbjT5_S1E_jjP12ihipStream_tbEUljE_ZNSN_ISO_Lb1ESQ_SR_ST_SU_SY_EESZ_S10_S11_S12_S16_S17_S18_S1B_S1C_jS1D_jS1E_S1E_jjS1G_bEUljE0_EEESZ_S10_S11_S18_S1C_S1E_T6_T7_T9_mT8_S1G_bDpT10_ENKUlT_T0_E_clISt17integral_constantIbLb0EES1U_EEDaS1P_S1Q_EUlS1P_E_NS1_11comp_targetILNS1_3genE3ELNS1_11target_archE908ELNS1_3gpuE7ELNS1_3repE0EEENS1_30default_config_static_selectorELNS0_4arch9wavefront6targetE0EEEvS12_: ; @_ZN7rocprim17ROCPRIM_400000_NS6detail17trampoline_kernelINS0_13select_configILj256ELj13ELNS0_17block_load_methodE3ELS4_3ELS4_3ELNS0_20block_scan_algorithmE0ELj4294967295EEENS1_25partition_config_selectorILNS1_17partition_subalgoE4EjNS0_10empty_typeEbEEZZNS1_14partition_implILS8_4ELb0ES6_15HIP_vector_typeIjLj2EENS0_17counting_iteratorIjlEEPS9_SG_NS0_5tupleIJPjSI_NS0_16reverse_iteratorISI_EEEEENSH_IJSG_SG_SG_EEES9_SI_JZNS1_25segmented_radix_sort_implINS0_14default_configELb1EPKbPbPKlPlN2at6native12_GLOBAL__N_18offset_tEEE10hipError_tPvRmT1_PNSt15iterator_traitsIS12_E10value_typeET2_T3_PNS13_IS18_E10value_typeET4_jRbjT5_S1E_jjP12ihipStream_tbEUljE_ZNSN_ISO_Lb1ESQ_SR_ST_SU_SY_EESZ_S10_S11_S12_S16_S17_S18_S1B_S1C_jS1D_jS1E_S1E_jjS1G_bEUljE0_EEESZ_S10_S11_S18_S1C_S1E_T6_T7_T9_mT8_S1G_bDpT10_ENKUlT_T0_E_clISt17integral_constantIbLb0EES1U_EEDaS1P_S1Q_EUlS1P_E_NS1_11comp_targetILNS1_3genE3ELNS1_11target_archE908ELNS1_3gpuE7ELNS1_3repE0EEENS1_30default_config_static_selectorELNS0_4arch9wavefront6targetE0EEEvS12_
; %bb.0:
	.section	.rodata,"a",@progbits
	.p2align	6, 0x0
	.amdhsa_kernel _ZN7rocprim17ROCPRIM_400000_NS6detail17trampoline_kernelINS0_13select_configILj256ELj13ELNS0_17block_load_methodE3ELS4_3ELS4_3ELNS0_20block_scan_algorithmE0ELj4294967295EEENS1_25partition_config_selectorILNS1_17partition_subalgoE4EjNS0_10empty_typeEbEEZZNS1_14partition_implILS8_4ELb0ES6_15HIP_vector_typeIjLj2EENS0_17counting_iteratorIjlEEPS9_SG_NS0_5tupleIJPjSI_NS0_16reverse_iteratorISI_EEEEENSH_IJSG_SG_SG_EEES9_SI_JZNS1_25segmented_radix_sort_implINS0_14default_configELb1EPKbPbPKlPlN2at6native12_GLOBAL__N_18offset_tEEE10hipError_tPvRmT1_PNSt15iterator_traitsIS12_E10value_typeET2_T3_PNS13_IS18_E10value_typeET4_jRbjT5_S1E_jjP12ihipStream_tbEUljE_ZNSN_ISO_Lb1ESQ_SR_ST_SU_SY_EESZ_S10_S11_S12_S16_S17_S18_S1B_S1C_jS1D_jS1E_S1E_jjS1G_bEUljE0_EEESZ_S10_S11_S18_S1C_S1E_T6_T7_T9_mT8_S1G_bDpT10_ENKUlT_T0_E_clISt17integral_constantIbLb0EES1U_EEDaS1P_S1Q_EUlS1P_E_NS1_11comp_targetILNS1_3genE3ELNS1_11target_archE908ELNS1_3gpuE7ELNS1_3repE0EEENS1_30default_config_static_selectorELNS0_4arch9wavefront6targetE0EEEvS12_
		.amdhsa_group_segment_fixed_size 0
		.amdhsa_private_segment_fixed_size 0
		.amdhsa_kernarg_size 176
		.amdhsa_user_sgpr_count 2
		.amdhsa_user_sgpr_dispatch_ptr 0
		.amdhsa_user_sgpr_queue_ptr 0
		.amdhsa_user_sgpr_kernarg_segment_ptr 1
		.amdhsa_user_sgpr_dispatch_id 0
		.amdhsa_user_sgpr_kernarg_preload_length 0
		.amdhsa_user_sgpr_kernarg_preload_offset 0
		.amdhsa_user_sgpr_private_segment_size 0
		.amdhsa_wavefront_size32 1
		.amdhsa_uses_dynamic_stack 0
		.amdhsa_enable_private_segment 0
		.amdhsa_system_sgpr_workgroup_id_x 1
		.amdhsa_system_sgpr_workgroup_id_y 0
		.amdhsa_system_sgpr_workgroup_id_z 0
		.amdhsa_system_sgpr_workgroup_info 0
		.amdhsa_system_vgpr_workitem_id 0
		.amdhsa_next_free_vgpr 1
		.amdhsa_next_free_sgpr 1
		.amdhsa_named_barrier_count 0
		.amdhsa_reserve_vcc 0
		.amdhsa_float_round_mode_32 0
		.amdhsa_float_round_mode_16_64 0
		.amdhsa_float_denorm_mode_32 3
		.amdhsa_float_denorm_mode_16_64 3
		.amdhsa_fp16_overflow 0
		.amdhsa_memory_ordered 1
		.amdhsa_forward_progress 1
		.amdhsa_inst_pref_size 0
		.amdhsa_round_robin_scheduling 0
		.amdhsa_exception_fp_ieee_invalid_op 0
		.amdhsa_exception_fp_denorm_src 0
		.amdhsa_exception_fp_ieee_div_zero 0
		.amdhsa_exception_fp_ieee_overflow 0
		.amdhsa_exception_fp_ieee_underflow 0
		.amdhsa_exception_fp_ieee_inexact 0
		.amdhsa_exception_int_div_zero 0
	.end_amdhsa_kernel
	.section	.text._ZN7rocprim17ROCPRIM_400000_NS6detail17trampoline_kernelINS0_13select_configILj256ELj13ELNS0_17block_load_methodE3ELS4_3ELS4_3ELNS0_20block_scan_algorithmE0ELj4294967295EEENS1_25partition_config_selectorILNS1_17partition_subalgoE4EjNS0_10empty_typeEbEEZZNS1_14partition_implILS8_4ELb0ES6_15HIP_vector_typeIjLj2EENS0_17counting_iteratorIjlEEPS9_SG_NS0_5tupleIJPjSI_NS0_16reverse_iteratorISI_EEEEENSH_IJSG_SG_SG_EEES9_SI_JZNS1_25segmented_radix_sort_implINS0_14default_configELb1EPKbPbPKlPlN2at6native12_GLOBAL__N_18offset_tEEE10hipError_tPvRmT1_PNSt15iterator_traitsIS12_E10value_typeET2_T3_PNS13_IS18_E10value_typeET4_jRbjT5_S1E_jjP12ihipStream_tbEUljE_ZNSN_ISO_Lb1ESQ_SR_ST_SU_SY_EESZ_S10_S11_S12_S16_S17_S18_S1B_S1C_jS1D_jS1E_S1E_jjS1G_bEUljE0_EEESZ_S10_S11_S18_S1C_S1E_T6_T7_T9_mT8_S1G_bDpT10_ENKUlT_T0_E_clISt17integral_constantIbLb0EES1U_EEDaS1P_S1Q_EUlS1P_E_NS1_11comp_targetILNS1_3genE3ELNS1_11target_archE908ELNS1_3gpuE7ELNS1_3repE0EEENS1_30default_config_static_selectorELNS0_4arch9wavefront6targetE0EEEvS12_,"axG",@progbits,_ZN7rocprim17ROCPRIM_400000_NS6detail17trampoline_kernelINS0_13select_configILj256ELj13ELNS0_17block_load_methodE3ELS4_3ELS4_3ELNS0_20block_scan_algorithmE0ELj4294967295EEENS1_25partition_config_selectorILNS1_17partition_subalgoE4EjNS0_10empty_typeEbEEZZNS1_14partition_implILS8_4ELb0ES6_15HIP_vector_typeIjLj2EENS0_17counting_iteratorIjlEEPS9_SG_NS0_5tupleIJPjSI_NS0_16reverse_iteratorISI_EEEEENSH_IJSG_SG_SG_EEES9_SI_JZNS1_25segmented_radix_sort_implINS0_14default_configELb1EPKbPbPKlPlN2at6native12_GLOBAL__N_18offset_tEEE10hipError_tPvRmT1_PNSt15iterator_traitsIS12_E10value_typeET2_T3_PNS13_IS18_E10value_typeET4_jRbjT5_S1E_jjP12ihipStream_tbEUljE_ZNSN_ISO_Lb1ESQ_SR_ST_SU_SY_EESZ_S10_S11_S12_S16_S17_S18_S1B_S1C_jS1D_jS1E_S1E_jjS1G_bEUljE0_EEESZ_S10_S11_S18_S1C_S1E_T6_T7_T9_mT8_S1G_bDpT10_ENKUlT_T0_E_clISt17integral_constantIbLb0EES1U_EEDaS1P_S1Q_EUlS1P_E_NS1_11comp_targetILNS1_3genE3ELNS1_11target_archE908ELNS1_3gpuE7ELNS1_3repE0EEENS1_30default_config_static_selectorELNS0_4arch9wavefront6targetE0EEEvS12_,comdat
.Lfunc_end1463:
	.size	_ZN7rocprim17ROCPRIM_400000_NS6detail17trampoline_kernelINS0_13select_configILj256ELj13ELNS0_17block_load_methodE3ELS4_3ELS4_3ELNS0_20block_scan_algorithmE0ELj4294967295EEENS1_25partition_config_selectorILNS1_17partition_subalgoE4EjNS0_10empty_typeEbEEZZNS1_14partition_implILS8_4ELb0ES6_15HIP_vector_typeIjLj2EENS0_17counting_iteratorIjlEEPS9_SG_NS0_5tupleIJPjSI_NS0_16reverse_iteratorISI_EEEEENSH_IJSG_SG_SG_EEES9_SI_JZNS1_25segmented_radix_sort_implINS0_14default_configELb1EPKbPbPKlPlN2at6native12_GLOBAL__N_18offset_tEEE10hipError_tPvRmT1_PNSt15iterator_traitsIS12_E10value_typeET2_T3_PNS13_IS18_E10value_typeET4_jRbjT5_S1E_jjP12ihipStream_tbEUljE_ZNSN_ISO_Lb1ESQ_SR_ST_SU_SY_EESZ_S10_S11_S12_S16_S17_S18_S1B_S1C_jS1D_jS1E_S1E_jjS1G_bEUljE0_EEESZ_S10_S11_S18_S1C_S1E_T6_T7_T9_mT8_S1G_bDpT10_ENKUlT_T0_E_clISt17integral_constantIbLb0EES1U_EEDaS1P_S1Q_EUlS1P_E_NS1_11comp_targetILNS1_3genE3ELNS1_11target_archE908ELNS1_3gpuE7ELNS1_3repE0EEENS1_30default_config_static_selectorELNS0_4arch9wavefront6targetE0EEEvS12_, .Lfunc_end1463-_ZN7rocprim17ROCPRIM_400000_NS6detail17trampoline_kernelINS0_13select_configILj256ELj13ELNS0_17block_load_methodE3ELS4_3ELS4_3ELNS0_20block_scan_algorithmE0ELj4294967295EEENS1_25partition_config_selectorILNS1_17partition_subalgoE4EjNS0_10empty_typeEbEEZZNS1_14partition_implILS8_4ELb0ES6_15HIP_vector_typeIjLj2EENS0_17counting_iteratorIjlEEPS9_SG_NS0_5tupleIJPjSI_NS0_16reverse_iteratorISI_EEEEENSH_IJSG_SG_SG_EEES9_SI_JZNS1_25segmented_radix_sort_implINS0_14default_configELb1EPKbPbPKlPlN2at6native12_GLOBAL__N_18offset_tEEE10hipError_tPvRmT1_PNSt15iterator_traitsIS12_E10value_typeET2_T3_PNS13_IS18_E10value_typeET4_jRbjT5_S1E_jjP12ihipStream_tbEUljE_ZNSN_ISO_Lb1ESQ_SR_ST_SU_SY_EESZ_S10_S11_S12_S16_S17_S18_S1B_S1C_jS1D_jS1E_S1E_jjS1G_bEUljE0_EEESZ_S10_S11_S18_S1C_S1E_T6_T7_T9_mT8_S1G_bDpT10_ENKUlT_T0_E_clISt17integral_constantIbLb0EES1U_EEDaS1P_S1Q_EUlS1P_E_NS1_11comp_targetILNS1_3genE3ELNS1_11target_archE908ELNS1_3gpuE7ELNS1_3repE0EEENS1_30default_config_static_selectorELNS0_4arch9wavefront6targetE0EEEvS12_
                                        ; -- End function
	.set _ZN7rocprim17ROCPRIM_400000_NS6detail17trampoline_kernelINS0_13select_configILj256ELj13ELNS0_17block_load_methodE3ELS4_3ELS4_3ELNS0_20block_scan_algorithmE0ELj4294967295EEENS1_25partition_config_selectorILNS1_17partition_subalgoE4EjNS0_10empty_typeEbEEZZNS1_14partition_implILS8_4ELb0ES6_15HIP_vector_typeIjLj2EENS0_17counting_iteratorIjlEEPS9_SG_NS0_5tupleIJPjSI_NS0_16reverse_iteratorISI_EEEEENSH_IJSG_SG_SG_EEES9_SI_JZNS1_25segmented_radix_sort_implINS0_14default_configELb1EPKbPbPKlPlN2at6native12_GLOBAL__N_18offset_tEEE10hipError_tPvRmT1_PNSt15iterator_traitsIS12_E10value_typeET2_T3_PNS13_IS18_E10value_typeET4_jRbjT5_S1E_jjP12ihipStream_tbEUljE_ZNSN_ISO_Lb1ESQ_SR_ST_SU_SY_EESZ_S10_S11_S12_S16_S17_S18_S1B_S1C_jS1D_jS1E_S1E_jjS1G_bEUljE0_EEESZ_S10_S11_S18_S1C_S1E_T6_T7_T9_mT8_S1G_bDpT10_ENKUlT_T0_E_clISt17integral_constantIbLb0EES1U_EEDaS1P_S1Q_EUlS1P_E_NS1_11comp_targetILNS1_3genE3ELNS1_11target_archE908ELNS1_3gpuE7ELNS1_3repE0EEENS1_30default_config_static_selectorELNS0_4arch9wavefront6targetE0EEEvS12_.num_vgpr, 0
	.set _ZN7rocprim17ROCPRIM_400000_NS6detail17trampoline_kernelINS0_13select_configILj256ELj13ELNS0_17block_load_methodE3ELS4_3ELS4_3ELNS0_20block_scan_algorithmE0ELj4294967295EEENS1_25partition_config_selectorILNS1_17partition_subalgoE4EjNS0_10empty_typeEbEEZZNS1_14partition_implILS8_4ELb0ES6_15HIP_vector_typeIjLj2EENS0_17counting_iteratorIjlEEPS9_SG_NS0_5tupleIJPjSI_NS0_16reverse_iteratorISI_EEEEENSH_IJSG_SG_SG_EEES9_SI_JZNS1_25segmented_radix_sort_implINS0_14default_configELb1EPKbPbPKlPlN2at6native12_GLOBAL__N_18offset_tEEE10hipError_tPvRmT1_PNSt15iterator_traitsIS12_E10value_typeET2_T3_PNS13_IS18_E10value_typeET4_jRbjT5_S1E_jjP12ihipStream_tbEUljE_ZNSN_ISO_Lb1ESQ_SR_ST_SU_SY_EESZ_S10_S11_S12_S16_S17_S18_S1B_S1C_jS1D_jS1E_S1E_jjS1G_bEUljE0_EEESZ_S10_S11_S18_S1C_S1E_T6_T7_T9_mT8_S1G_bDpT10_ENKUlT_T0_E_clISt17integral_constantIbLb0EES1U_EEDaS1P_S1Q_EUlS1P_E_NS1_11comp_targetILNS1_3genE3ELNS1_11target_archE908ELNS1_3gpuE7ELNS1_3repE0EEENS1_30default_config_static_selectorELNS0_4arch9wavefront6targetE0EEEvS12_.num_agpr, 0
	.set _ZN7rocprim17ROCPRIM_400000_NS6detail17trampoline_kernelINS0_13select_configILj256ELj13ELNS0_17block_load_methodE3ELS4_3ELS4_3ELNS0_20block_scan_algorithmE0ELj4294967295EEENS1_25partition_config_selectorILNS1_17partition_subalgoE4EjNS0_10empty_typeEbEEZZNS1_14partition_implILS8_4ELb0ES6_15HIP_vector_typeIjLj2EENS0_17counting_iteratorIjlEEPS9_SG_NS0_5tupleIJPjSI_NS0_16reverse_iteratorISI_EEEEENSH_IJSG_SG_SG_EEES9_SI_JZNS1_25segmented_radix_sort_implINS0_14default_configELb1EPKbPbPKlPlN2at6native12_GLOBAL__N_18offset_tEEE10hipError_tPvRmT1_PNSt15iterator_traitsIS12_E10value_typeET2_T3_PNS13_IS18_E10value_typeET4_jRbjT5_S1E_jjP12ihipStream_tbEUljE_ZNSN_ISO_Lb1ESQ_SR_ST_SU_SY_EESZ_S10_S11_S12_S16_S17_S18_S1B_S1C_jS1D_jS1E_S1E_jjS1G_bEUljE0_EEESZ_S10_S11_S18_S1C_S1E_T6_T7_T9_mT8_S1G_bDpT10_ENKUlT_T0_E_clISt17integral_constantIbLb0EES1U_EEDaS1P_S1Q_EUlS1P_E_NS1_11comp_targetILNS1_3genE3ELNS1_11target_archE908ELNS1_3gpuE7ELNS1_3repE0EEENS1_30default_config_static_selectorELNS0_4arch9wavefront6targetE0EEEvS12_.numbered_sgpr, 0
	.set _ZN7rocprim17ROCPRIM_400000_NS6detail17trampoline_kernelINS0_13select_configILj256ELj13ELNS0_17block_load_methodE3ELS4_3ELS4_3ELNS0_20block_scan_algorithmE0ELj4294967295EEENS1_25partition_config_selectorILNS1_17partition_subalgoE4EjNS0_10empty_typeEbEEZZNS1_14partition_implILS8_4ELb0ES6_15HIP_vector_typeIjLj2EENS0_17counting_iteratorIjlEEPS9_SG_NS0_5tupleIJPjSI_NS0_16reverse_iteratorISI_EEEEENSH_IJSG_SG_SG_EEES9_SI_JZNS1_25segmented_radix_sort_implINS0_14default_configELb1EPKbPbPKlPlN2at6native12_GLOBAL__N_18offset_tEEE10hipError_tPvRmT1_PNSt15iterator_traitsIS12_E10value_typeET2_T3_PNS13_IS18_E10value_typeET4_jRbjT5_S1E_jjP12ihipStream_tbEUljE_ZNSN_ISO_Lb1ESQ_SR_ST_SU_SY_EESZ_S10_S11_S12_S16_S17_S18_S1B_S1C_jS1D_jS1E_S1E_jjS1G_bEUljE0_EEESZ_S10_S11_S18_S1C_S1E_T6_T7_T9_mT8_S1G_bDpT10_ENKUlT_T0_E_clISt17integral_constantIbLb0EES1U_EEDaS1P_S1Q_EUlS1P_E_NS1_11comp_targetILNS1_3genE3ELNS1_11target_archE908ELNS1_3gpuE7ELNS1_3repE0EEENS1_30default_config_static_selectorELNS0_4arch9wavefront6targetE0EEEvS12_.num_named_barrier, 0
	.set _ZN7rocprim17ROCPRIM_400000_NS6detail17trampoline_kernelINS0_13select_configILj256ELj13ELNS0_17block_load_methodE3ELS4_3ELS4_3ELNS0_20block_scan_algorithmE0ELj4294967295EEENS1_25partition_config_selectorILNS1_17partition_subalgoE4EjNS0_10empty_typeEbEEZZNS1_14partition_implILS8_4ELb0ES6_15HIP_vector_typeIjLj2EENS0_17counting_iteratorIjlEEPS9_SG_NS0_5tupleIJPjSI_NS0_16reverse_iteratorISI_EEEEENSH_IJSG_SG_SG_EEES9_SI_JZNS1_25segmented_radix_sort_implINS0_14default_configELb1EPKbPbPKlPlN2at6native12_GLOBAL__N_18offset_tEEE10hipError_tPvRmT1_PNSt15iterator_traitsIS12_E10value_typeET2_T3_PNS13_IS18_E10value_typeET4_jRbjT5_S1E_jjP12ihipStream_tbEUljE_ZNSN_ISO_Lb1ESQ_SR_ST_SU_SY_EESZ_S10_S11_S12_S16_S17_S18_S1B_S1C_jS1D_jS1E_S1E_jjS1G_bEUljE0_EEESZ_S10_S11_S18_S1C_S1E_T6_T7_T9_mT8_S1G_bDpT10_ENKUlT_T0_E_clISt17integral_constantIbLb0EES1U_EEDaS1P_S1Q_EUlS1P_E_NS1_11comp_targetILNS1_3genE3ELNS1_11target_archE908ELNS1_3gpuE7ELNS1_3repE0EEENS1_30default_config_static_selectorELNS0_4arch9wavefront6targetE0EEEvS12_.private_seg_size, 0
	.set _ZN7rocprim17ROCPRIM_400000_NS6detail17trampoline_kernelINS0_13select_configILj256ELj13ELNS0_17block_load_methodE3ELS4_3ELS4_3ELNS0_20block_scan_algorithmE0ELj4294967295EEENS1_25partition_config_selectorILNS1_17partition_subalgoE4EjNS0_10empty_typeEbEEZZNS1_14partition_implILS8_4ELb0ES6_15HIP_vector_typeIjLj2EENS0_17counting_iteratorIjlEEPS9_SG_NS0_5tupleIJPjSI_NS0_16reverse_iteratorISI_EEEEENSH_IJSG_SG_SG_EEES9_SI_JZNS1_25segmented_radix_sort_implINS0_14default_configELb1EPKbPbPKlPlN2at6native12_GLOBAL__N_18offset_tEEE10hipError_tPvRmT1_PNSt15iterator_traitsIS12_E10value_typeET2_T3_PNS13_IS18_E10value_typeET4_jRbjT5_S1E_jjP12ihipStream_tbEUljE_ZNSN_ISO_Lb1ESQ_SR_ST_SU_SY_EESZ_S10_S11_S12_S16_S17_S18_S1B_S1C_jS1D_jS1E_S1E_jjS1G_bEUljE0_EEESZ_S10_S11_S18_S1C_S1E_T6_T7_T9_mT8_S1G_bDpT10_ENKUlT_T0_E_clISt17integral_constantIbLb0EES1U_EEDaS1P_S1Q_EUlS1P_E_NS1_11comp_targetILNS1_3genE3ELNS1_11target_archE908ELNS1_3gpuE7ELNS1_3repE0EEENS1_30default_config_static_selectorELNS0_4arch9wavefront6targetE0EEEvS12_.uses_vcc, 0
	.set _ZN7rocprim17ROCPRIM_400000_NS6detail17trampoline_kernelINS0_13select_configILj256ELj13ELNS0_17block_load_methodE3ELS4_3ELS4_3ELNS0_20block_scan_algorithmE0ELj4294967295EEENS1_25partition_config_selectorILNS1_17partition_subalgoE4EjNS0_10empty_typeEbEEZZNS1_14partition_implILS8_4ELb0ES6_15HIP_vector_typeIjLj2EENS0_17counting_iteratorIjlEEPS9_SG_NS0_5tupleIJPjSI_NS0_16reverse_iteratorISI_EEEEENSH_IJSG_SG_SG_EEES9_SI_JZNS1_25segmented_radix_sort_implINS0_14default_configELb1EPKbPbPKlPlN2at6native12_GLOBAL__N_18offset_tEEE10hipError_tPvRmT1_PNSt15iterator_traitsIS12_E10value_typeET2_T3_PNS13_IS18_E10value_typeET4_jRbjT5_S1E_jjP12ihipStream_tbEUljE_ZNSN_ISO_Lb1ESQ_SR_ST_SU_SY_EESZ_S10_S11_S12_S16_S17_S18_S1B_S1C_jS1D_jS1E_S1E_jjS1G_bEUljE0_EEESZ_S10_S11_S18_S1C_S1E_T6_T7_T9_mT8_S1G_bDpT10_ENKUlT_T0_E_clISt17integral_constantIbLb0EES1U_EEDaS1P_S1Q_EUlS1P_E_NS1_11comp_targetILNS1_3genE3ELNS1_11target_archE908ELNS1_3gpuE7ELNS1_3repE0EEENS1_30default_config_static_selectorELNS0_4arch9wavefront6targetE0EEEvS12_.uses_flat_scratch, 0
	.set _ZN7rocprim17ROCPRIM_400000_NS6detail17trampoline_kernelINS0_13select_configILj256ELj13ELNS0_17block_load_methodE3ELS4_3ELS4_3ELNS0_20block_scan_algorithmE0ELj4294967295EEENS1_25partition_config_selectorILNS1_17partition_subalgoE4EjNS0_10empty_typeEbEEZZNS1_14partition_implILS8_4ELb0ES6_15HIP_vector_typeIjLj2EENS0_17counting_iteratorIjlEEPS9_SG_NS0_5tupleIJPjSI_NS0_16reverse_iteratorISI_EEEEENSH_IJSG_SG_SG_EEES9_SI_JZNS1_25segmented_radix_sort_implINS0_14default_configELb1EPKbPbPKlPlN2at6native12_GLOBAL__N_18offset_tEEE10hipError_tPvRmT1_PNSt15iterator_traitsIS12_E10value_typeET2_T3_PNS13_IS18_E10value_typeET4_jRbjT5_S1E_jjP12ihipStream_tbEUljE_ZNSN_ISO_Lb1ESQ_SR_ST_SU_SY_EESZ_S10_S11_S12_S16_S17_S18_S1B_S1C_jS1D_jS1E_S1E_jjS1G_bEUljE0_EEESZ_S10_S11_S18_S1C_S1E_T6_T7_T9_mT8_S1G_bDpT10_ENKUlT_T0_E_clISt17integral_constantIbLb0EES1U_EEDaS1P_S1Q_EUlS1P_E_NS1_11comp_targetILNS1_3genE3ELNS1_11target_archE908ELNS1_3gpuE7ELNS1_3repE0EEENS1_30default_config_static_selectorELNS0_4arch9wavefront6targetE0EEEvS12_.has_dyn_sized_stack, 0
	.set _ZN7rocprim17ROCPRIM_400000_NS6detail17trampoline_kernelINS0_13select_configILj256ELj13ELNS0_17block_load_methodE3ELS4_3ELS4_3ELNS0_20block_scan_algorithmE0ELj4294967295EEENS1_25partition_config_selectorILNS1_17partition_subalgoE4EjNS0_10empty_typeEbEEZZNS1_14partition_implILS8_4ELb0ES6_15HIP_vector_typeIjLj2EENS0_17counting_iteratorIjlEEPS9_SG_NS0_5tupleIJPjSI_NS0_16reverse_iteratorISI_EEEEENSH_IJSG_SG_SG_EEES9_SI_JZNS1_25segmented_radix_sort_implINS0_14default_configELb1EPKbPbPKlPlN2at6native12_GLOBAL__N_18offset_tEEE10hipError_tPvRmT1_PNSt15iterator_traitsIS12_E10value_typeET2_T3_PNS13_IS18_E10value_typeET4_jRbjT5_S1E_jjP12ihipStream_tbEUljE_ZNSN_ISO_Lb1ESQ_SR_ST_SU_SY_EESZ_S10_S11_S12_S16_S17_S18_S1B_S1C_jS1D_jS1E_S1E_jjS1G_bEUljE0_EEESZ_S10_S11_S18_S1C_S1E_T6_T7_T9_mT8_S1G_bDpT10_ENKUlT_T0_E_clISt17integral_constantIbLb0EES1U_EEDaS1P_S1Q_EUlS1P_E_NS1_11comp_targetILNS1_3genE3ELNS1_11target_archE908ELNS1_3gpuE7ELNS1_3repE0EEENS1_30default_config_static_selectorELNS0_4arch9wavefront6targetE0EEEvS12_.has_recursion, 0
	.set _ZN7rocprim17ROCPRIM_400000_NS6detail17trampoline_kernelINS0_13select_configILj256ELj13ELNS0_17block_load_methodE3ELS4_3ELS4_3ELNS0_20block_scan_algorithmE0ELj4294967295EEENS1_25partition_config_selectorILNS1_17partition_subalgoE4EjNS0_10empty_typeEbEEZZNS1_14partition_implILS8_4ELb0ES6_15HIP_vector_typeIjLj2EENS0_17counting_iteratorIjlEEPS9_SG_NS0_5tupleIJPjSI_NS0_16reverse_iteratorISI_EEEEENSH_IJSG_SG_SG_EEES9_SI_JZNS1_25segmented_radix_sort_implINS0_14default_configELb1EPKbPbPKlPlN2at6native12_GLOBAL__N_18offset_tEEE10hipError_tPvRmT1_PNSt15iterator_traitsIS12_E10value_typeET2_T3_PNS13_IS18_E10value_typeET4_jRbjT5_S1E_jjP12ihipStream_tbEUljE_ZNSN_ISO_Lb1ESQ_SR_ST_SU_SY_EESZ_S10_S11_S12_S16_S17_S18_S1B_S1C_jS1D_jS1E_S1E_jjS1G_bEUljE0_EEESZ_S10_S11_S18_S1C_S1E_T6_T7_T9_mT8_S1G_bDpT10_ENKUlT_T0_E_clISt17integral_constantIbLb0EES1U_EEDaS1P_S1Q_EUlS1P_E_NS1_11comp_targetILNS1_3genE3ELNS1_11target_archE908ELNS1_3gpuE7ELNS1_3repE0EEENS1_30default_config_static_selectorELNS0_4arch9wavefront6targetE0EEEvS12_.has_indirect_call, 0
	.section	.AMDGPU.csdata,"",@progbits
; Kernel info:
; codeLenInByte = 0
; TotalNumSgprs: 0
; NumVgprs: 0
; ScratchSize: 0
; MemoryBound: 0
; FloatMode: 240
; IeeeMode: 1
; LDSByteSize: 0 bytes/workgroup (compile time only)
; SGPRBlocks: 0
; VGPRBlocks: 0
; NumSGPRsForWavesPerEU: 1
; NumVGPRsForWavesPerEU: 1
; NamedBarCnt: 0
; Occupancy: 16
; WaveLimiterHint : 0
; COMPUTE_PGM_RSRC2:SCRATCH_EN: 0
; COMPUTE_PGM_RSRC2:USER_SGPR: 2
; COMPUTE_PGM_RSRC2:TRAP_HANDLER: 0
; COMPUTE_PGM_RSRC2:TGID_X_EN: 1
; COMPUTE_PGM_RSRC2:TGID_Y_EN: 0
; COMPUTE_PGM_RSRC2:TGID_Z_EN: 0
; COMPUTE_PGM_RSRC2:TIDIG_COMP_CNT: 0
	.section	.text._ZN7rocprim17ROCPRIM_400000_NS6detail17trampoline_kernelINS0_13select_configILj256ELj13ELNS0_17block_load_methodE3ELS4_3ELS4_3ELNS0_20block_scan_algorithmE0ELj4294967295EEENS1_25partition_config_selectorILNS1_17partition_subalgoE4EjNS0_10empty_typeEbEEZZNS1_14partition_implILS8_4ELb0ES6_15HIP_vector_typeIjLj2EENS0_17counting_iteratorIjlEEPS9_SG_NS0_5tupleIJPjSI_NS0_16reverse_iteratorISI_EEEEENSH_IJSG_SG_SG_EEES9_SI_JZNS1_25segmented_radix_sort_implINS0_14default_configELb1EPKbPbPKlPlN2at6native12_GLOBAL__N_18offset_tEEE10hipError_tPvRmT1_PNSt15iterator_traitsIS12_E10value_typeET2_T3_PNS13_IS18_E10value_typeET4_jRbjT5_S1E_jjP12ihipStream_tbEUljE_ZNSN_ISO_Lb1ESQ_SR_ST_SU_SY_EESZ_S10_S11_S12_S16_S17_S18_S1B_S1C_jS1D_jS1E_S1E_jjS1G_bEUljE0_EEESZ_S10_S11_S18_S1C_S1E_T6_T7_T9_mT8_S1G_bDpT10_ENKUlT_T0_E_clISt17integral_constantIbLb0EES1U_EEDaS1P_S1Q_EUlS1P_E_NS1_11comp_targetILNS1_3genE2ELNS1_11target_archE906ELNS1_3gpuE6ELNS1_3repE0EEENS1_30default_config_static_selectorELNS0_4arch9wavefront6targetE0EEEvS12_,"axG",@progbits,_ZN7rocprim17ROCPRIM_400000_NS6detail17trampoline_kernelINS0_13select_configILj256ELj13ELNS0_17block_load_methodE3ELS4_3ELS4_3ELNS0_20block_scan_algorithmE0ELj4294967295EEENS1_25partition_config_selectorILNS1_17partition_subalgoE4EjNS0_10empty_typeEbEEZZNS1_14partition_implILS8_4ELb0ES6_15HIP_vector_typeIjLj2EENS0_17counting_iteratorIjlEEPS9_SG_NS0_5tupleIJPjSI_NS0_16reverse_iteratorISI_EEEEENSH_IJSG_SG_SG_EEES9_SI_JZNS1_25segmented_radix_sort_implINS0_14default_configELb1EPKbPbPKlPlN2at6native12_GLOBAL__N_18offset_tEEE10hipError_tPvRmT1_PNSt15iterator_traitsIS12_E10value_typeET2_T3_PNS13_IS18_E10value_typeET4_jRbjT5_S1E_jjP12ihipStream_tbEUljE_ZNSN_ISO_Lb1ESQ_SR_ST_SU_SY_EESZ_S10_S11_S12_S16_S17_S18_S1B_S1C_jS1D_jS1E_S1E_jjS1G_bEUljE0_EEESZ_S10_S11_S18_S1C_S1E_T6_T7_T9_mT8_S1G_bDpT10_ENKUlT_T0_E_clISt17integral_constantIbLb0EES1U_EEDaS1P_S1Q_EUlS1P_E_NS1_11comp_targetILNS1_3genE2ELNS1_11target_archE906ELNS1_3gpuE6ELNS1_3repE0EEENS1_30default_config_static_selectorELNS0_4arch9wavefront6targetE0EEEvS12_,comdat
	.globl	_ZN7rocprim17ROCPRIM_400000_NS6detail17trampoline_kernelINS0_13select_configILj256ELj13ELNS0_17block_load_methodE3ELS4_3ELS4_3ELNS0_20block_scan_algorithmE0ELj4294967295EEENS1_25partition_config_selectorILNS1_17partition_subalgoE4EjNS0_10empty_typeEbEEZZNS1_14partition_implILS8_4ELb0ES6_15HIP_vector_typeIjLj2EENS0_17counting_iteratorIjlEEPS9_SG_NS0_5tupleIJPjSI_NS0_16reverse_iteratorISI_EEEEENSH_IJSG_SG_SG_EEES9_SI_JZNS1_25segmented_radix_sort_implINS0_14default_configELb1EPKbPbPKlPlN2at6native12_GLOBAL__N_18offset_tEEE10hipError_tPvRmT1_PNSt15iterator_traitsIS12_E10value_typeET2_T3_PNS13_IS18_E10value_typeET4_jRbjT5_S1E_jjP12ihipStream_tbEUljE_ZNSN_ISO_Lb1ESQ_SR_ST_SU_SY_EESZ_S10_S11_S12_S16_S17_S18_S1B_S1C_jS1D_jS1E_S1E_jjS1G_bEUljE0_EEESZ_S10_S11_S18_S1C_S1E_T6_T7_T9_mT8_S1G_bDpT10_ENKUlT_T0_E_clISt17integral_constantIbLb0EES1U_EEDaS1P_S1Q_EUlS1P_E_NS1_11comp_targetILNS1_3genE2ELNS1_11target_archE906ELNS1_3gpuE6ELNS1_3repE0EEENS1_30default_config_static_selectorELNS0_4arch9wavefront6targetE0EEEvS12_ ; -- Begin function _ZN7rocprim17ROCPRIM_400000_NS6detail17trampoline_kernelINS0_13select_configILj256ELj13ELNS0_17block_load_methodE3ELS4_3ELS4_3ELNS0_20block_scan_algorithmE0ELj4294967295EEENS1_25partition_config_selectorILNS1_17partition_subalgoE4EjNS0_10empty_typeEbEEZZNS1_14partition_implILS8_4ELb0ES6_15HIP_vector_typeIjLj2EENS0_17counting_iteratorIjlEEPS9_SG_NS0_5tupleIJPjSI_NS0_16reverse_iteratorISI_EEEEENSH_IJSG_SG_SG_EEES9_SI_JZNS1_25segmented_radix_sort_implINS0_14default_configELb1EPKbPbPKlPlN2at6native12_GLOBAL__N_18offset_tEEE10hipError_tPvRmT1_PNSt15iterator_traitsIS12_E10value_typeET2_T3_PNS13_IS18_E10value_typeET4_jRbjT5_S1E_jjP12ihipStream_tbEUljE_ZNSN_ISO_Lb1ESQ_SR_ST_SU_SY_EESZ_S10_S11_S12_S16_S17_S18_S1B_S1C_jS1D_jS1E_S1E_jjS1G_bEUljE0_EEESZ_S10_S11_S18_S1C_S1E_T6_T7_T9_mT8_S1G_bDpT10_ENKUlT_T0_E_clISt17integral_constantIbLb0EES1U_EEDaS1P_S1Q_EUlS1P_E_NS1_11comp_targetILNS1_3genE2ELNS1_11target_archE906ELNS1_3gpuE6ELNS1_3repE0EEENS1_30default_config_static_selectorELNS0_4arch9wavefront6targetE0EEEvS12_
	.p2align	8
	.type	_ZN7rocprim17ROCPRIM_400000_NS6detail17trampoline_kernelINS0_13select_configILj256ELj13ELNS0_17block_load_methodE3ELS4_3ELS4_3ELNS0_20block_scan_algorithmE0ELj4294967295EEENS1_25partition_config_selectorILNS1_17partition_subalgoE4EjNS0_10empty_typeEbEEZZNS1_14partition_implILS8_4ELb0ES6_15HIP_vector_typeIjLj2EENS0_17counting_iteratorIjlEEPS9_SG_NS0_5tupleIJPjSI_NS0_16reverse_iteratorISI_EEEEENSH_IJSG_SG_SG_EEES9_SI_JZNS1_25segmented_radix_sort_implINS0_14default_configELb1EPKbPbPKlPlN2at6native12_GLOBAL__N_18offset_tEEE10hipError_tPvRmT1_PNSt15iterator_traitsIS12_E10value_typeET2_T3_PNS13_IS18_E10value_typeET4_jRbjT5_S1E_jjP12ihipStream_tbEUljE_ZNSN_ISO_Lb1ESQ_SR_ST_SU_SY_EESZ_S10_S11_S12_S16_S17_S18_S1B_S1C_jS1D_jS1E_S1E_jjS1G_bEUljE0_EEESZ_S10_S11_S18_S1C_S1E_T6_T7_T9_mT8_S1G_bDpT10_ENKUlT_T0_E_clISt17integral_constantIbLb0EES1U_EEDaS1P_S1Q_EUlS1P_E_NS1_11comp_targetILNS1_3genE2ELNS1_11target_archE906ELNS1_3gpuE6ELNS1_3repE0EEENS1_30default_config_static_selectorELNS0_4arch9wavefront6targetE0EEEvS12_,@function
_ZN7rocprim17ROCPRIM_400000_NS6detail17trampoline_kernelINS0_13select_configILj256ELj13ELNS0_17block_load_methodE3ELS4_3ELS4_3ELNS0_20block_scan_algorithmE0ELj4294967295EEENS1_25partition_config_selectorILNS1_17partition_subalgoE4EjNS0_10empty_typeEbEEZZNS1_14partition_implILS8_4ELb0ES6_15HIP_vector_typeIjLj2EENS0_17counting_iteratorIjlEEPS9_SG_NS0_5tupleIJPjSI_NS0_16reverse_iteratorISI_EEEEENSH_IJSG_SG_SG_EEES9_SI_JZNS1_25segmented_radix_sort_implINS0_14default_configELb1EPKbPbPKlPlN2at6native12_GLOBAL__N_18offset_tEEE10hipError_tPvRmT1_PNSt15iterator_traitsIS12_E10value_typeET2_T3_PNS13_IS18_E10value_typeET4_jRbjT5_S1E_jjP12ihipStream_tbEUljE_ZNSN_ISO_Lb1ESQ_SR_ST_SU_SY_EESZ_S10_S11_S12_S16_S17_S18_S1B_S1C_jS1D_jS1E_S1E_jjS1G_bEUljE0_EEESZ_S10_S11_S18_S1C_S1E_T6_T7_T9_mT8_S1G_bDpT10_ENKUlT_T0_E_clISt17integral_constantIbLb0EES1U_EEDaS1P_S1Q_EUlS1P_E_NS1_11comp_targetILNS1_3genE2ELNS1_11target_archE906ELNS1_3gpuE6ELNS1_3repE0EEENS1_30default_config_static_selectorELNS0_4arch9wavefront6targetE0EEEvS12_: ; @_ZN7rocprim17ROCPRIM_400000_NS6detail17trampoline_kernelINS0_13select_configILj256ELj13ELNS0_17block_load_methodE3ELS4_3ELS4_3ELNS0_20block_scan_algorithmE0ELj4294967295EEENS1_25partition_config_selectorILNS1_17partition_subalgoE4EjNS0_10empty_typeEbEEZZNS1_14partition_implILS8_4ELb0ES6_15HIP_vector_typeIjLj2EENS0_17counting_iteratorIjlEEPS9_SG_NS0_5tupleIJPjSI_NS0_16reverse_iteratorISI_EEEEENSH_IJSG_SG_SG_EEES9_SI_JZNS1_25segmented_radix_sort_implINS0_14default_configELb1EPKbPbPKlPlN2at6native12_GLOBAL__N_18offset_tEEE10hipError_tPvRmT1_PNSt15iterator_traitsIS12_E10value_typeET2_T3_PNS13_IS18_E10value_typeET4_jRbjT5_S1E_jjP12ihipStream_tbEUljE_ZNSN_ISO_Lb1ESQ_SR_ST_SU_SY_EESZ_S10_S11_S12_S16_S17_S18_S1B_S1C_jS1D_jS1E_S1E_jjS1G_bEUljE0_EEESZ_S10_S11_S18_S1C_S1E_T6_T7_T9_mT8_S1G_bDpT10_ENKUlT_T0_E_clISt17integral_constantIbLb0EES1U_EEDaS1P_S1Q_EUlS1P_E_NS1_11comp_targetILNS1_3genE2ELNS1_11target_archE906ELNS1_3gpuE6ELNS1_3repE0EEENS1_30default_config_static_selectorELNS0_4arch9wavefront6targetE0EEEvS12_
; %bb.0:
	.section	.rodata,"a",@progbits
	.p2align	6, 0x0
	.amdhsa_kernel _ZN7rocprim17ROCPRIM_400000_NS6detail17trampoline_kernelINS0_13select_configILj256ELj13ELNS0_17block_load_methodE3ELS4_3ELS4_3ELNS0_20block_scan_algorithmE0ELj4294967295EEENS1_25partition_config_selectorILNS1_17partition_subalgoE4EjNS0_10empty_typeEbEEZZNS1_14partition_implILS8_4ELb0ES6_15HIP_vector_typeIjLj2EENS0_17counting_iteratorIjlEEPS9_SG_NS0_5tupleIJPjSI_NS0_16reverse_iteratorISI_EEEEENSH_IJSG_SG_SG_EEES9_SI_JZNS1_25segmented_radix_sort_implINS0_14default_configELb1EPKbPbPKlPlN2at6native12_GLOBAL__N_18offset_tEEE10hipError_tPvRmT1_PNSt15iterator_traitsIS12_E10value_typeET2_T3_PNS13_IS18_E10value_typeET4_jRbjT5_S1E_jjP12ihipStream_tbEUljE_ZNSN_ISO_Lb1ESQ_SR_ST_SU_SY_EESZ_S10_S11_S12_S16_S17_S18_S1B_S1C_jS1D_jS1E_S1E_jjS1G_bEUljE0_EEESZ_S10_S11_S18_S1C_S1E_T6_T7_T9_mT8_S1G_bDpT10_ENKUlT_T0_E_clISt17integral_constantIbLb0EES1U_EEDaS1P_S1Q_EUlS1P_E_NS1_11comp_targetILNS1_3genE2ELNS1_11target_archE906ELNS1_3gpuE6ELNS1_3repE0EEENS1_30default_config_static_selectorELNS0_4arch9wavefront6targetE0EEEvS12_
		.amdhsa_group_segment_fixed_size 0
		.amdhsa_private_segment_fixed_size 0
		.amdhsa_kernarg_size 176
		.amdhsa_user_sgpr_count 2
		.amdhsa_user_sgpr_dispatch_ptr 0
		.amdhsa_user_sgpr_queue_ptr 0
		.amdhsa_user_sgpr_kernarg_segment_ptr 1
		.amdhsa_user_sgpr_dispatch_id 0
		.amdhsa_user_sgpr_kernarg_preload_length 0
		.amdhsa_user_sgpr_kernarg_preload_offset 0
		.amdhsa_user_sgpr_private_segment_size 0
		.amdhsa_wavefront_size32 1
		.amdhsa_uses_dynamic_stack 0
		.amdhsa_enable_private_segment 0
		.amdhsa_system_sgpr_workgroup_id_x 1
		.amdhsa_system_sgpr_workgroup_id_y 0
		.amdhsa_system_sgpr_workgroup_id_z 0
		.amdhsa_system_sgpr_workgroup_info 0
		.amdhsa_system_vgpr_workitem_id 0
		.amdhsa_next_free_vgpr 1
		.amdhsa_next_free_sgpr 1
		.amdhsa_named_barrier_count 0
		.amdhsa_reserve_vcc 0
		.amdhsa_float_round_mode_32 0
		.amdhsa_float_round_mode_16_64 0
		.amdhsa_float_denorm_mode_32 3
		.amdhsa_float_denorm_mode_16_64 3
		.amdhsa_fp16_overflow 0
		.amdhsa_memory_ordered 1
		.amdhsa_forward_progress 1
		.amdhsa_inst_pref_size 0
		.amdhsa_round_robin_scheduling 0
		.amdhsa_exception_fp_ieee_invalid_op 0
		.amdhsa_exception_fp_denorm_src 0
		.amdhsa_exception_fp_ieee_div_zero 0
		.amdhsa_exception_fp_ieee_overflow 0
		.amdhsa_exception_fp_ieee_underflow 0
		.amdhsa_exception_fp_ieee_inexact 0
		.amdhsa_exception_int_div_zero 0
	.end_amdhsa_kernel
	.section	.text._ZN7rocprim17ROCPRIM_400000_NS6detail17trampoline_kernelINS0_13select_configILj256ELj13ELNS0_17block_load_methodE3ELS4_3ELS4_3ELNS0_20block_scan_algorithmE0ELj4294967295EEENS1_25partition_config_selectorILNS1_17partition_subalgoE4EjNS0_10empty_typeEbEEZZNS1_14partition_implILS8_4ELb0ES6_15HIP_vector_typeIjLj2EENS0_17counting_iteratorIjlEEPS9_SG_NS0_5tupleIJPjSI_NS0_16reverse_iteratorISI_EEEEENSH_IJSG_SG_SG_EEES9_SI_JZNS1_25segmented_radix_sort_implINS0_14default_configELb1EPKbPbPKlPlN2at6native12_GLOBAL__N_18offset_tEEE10hipError_tPvRmT1_PNSt15iterator_traitsIS12_E10value_typeET2_T3_PNS13_IS18_E10value_typeET4_jRbjT5_S1E_jjP12ihipStream_tbEUljE_ZNSN_ISO_Lb1ESQ_SR_ST_SU_SY_EESZ_S10_S11_S12_S16_S17_S18_S1B_S1C_jS1D_jS1E_S1E_jjS1G_bEUljE0_EEESZ_S10_S11_S18_S1C_S1E_T6_T7_T9_mT8_S1G_bDpT10_ENKUlT_T0_E_clISt17integral_constantIbLb0EES1U_EEDaS1P_S1Q_EUlS1P_E_NS1_11comp_targetILNS1_3genE2ELNS1_11target_archE906ELNS1_3gpuE6ELNS1_3repE0EEENS1_30default_config_static_selectorELNS0_4arch9wavefront6targetE0EEEvS12_,"axG",@progbits,_ZN7rocprim17ROCPRIM_400000_NS6detail17trampoline_kernelINS0_13select_configILj256ELj13ELNS0_17block_load_methodE3ELS4_3ELS4_3ELNS0_20block_scan_algorithmE0ELj4294967295EEENS1_25partition_config_selectorILNS1_17partition_subalgoE4EjNS0_10empty_typeEbEEZZNS1_14partition_implILS8_4ELb0ES6_15HIP_vector_typeIjLj2EENS0_17counting_iteratorIjlEEPS9_SG_NS0_5tupleIJPjSI_NS0_16reverse_iteratorISI_EEEEENSH_IJSG_SG_SG_EEES9_SI_JZNS1_25segmented_radix_sort_implINS0_14default_configELb1EPKbPbPKlPlN2at6native12_GLOBAL__N_18offset_tEEE10hipError_tPvRmT1_PNSt15iterator_traitsIS12_E10value_typeET2_T3_PNS13_IS18_E10value_typeET4_jRbjT5_S1E_jjP12ihipStream_tbEUljE_ZNSN_ISO_Lb1ESQ_SR_ST_SU_SY_EESZ_S10_S11_S12_S16_S17_S18_S1B_S1C_jS1D_jS1E_S1E_jjS1G_bEUljE0_EEESZ_S10_S11_S18_S1C_S1E_T6_T7_T9_mT8_S1G_bDpT10_ENKUlT_T0_E_clISt17integral_constantIbLb0EES1U_EEDaS1P_S1Q_EUlS1P_E_NS1_11comp_targetILNS1_3genE2ELNS1_11target_archE906ELNS1_3gpuE6ELNS1_3repE0EEENS1_30default_config_static_selectorELNS0_4arch9wavefront6targetE0EEEvS12_,comdat
.Lfunc_end1464:
	.size	_ZN7rocprim17ROCPRIM_400000_NS6detail17trampoline_kernelINS0_13select_configILj256ELj13ELNS0_17block_load_methodE3ELS4_3ELS4_3ELNS0_20block_scan_algorithmE0ELj4294967295EEENS1_25partition_config_selectorILNS1_17partition_subalgoE4EjNS0_10empty_typeEbEEZZNS1_14partition_implILS8_4ELb0ES6_15HIP_vector_typeIjLj2EENS0_17counting_iteratorIjlEEPS9_SG_NS0_5tupleIJPjSI_NS0_16reverse_iteratorISI_EEEEENSH_IJSG_SG_SG_EEES9_SI_JZNS1_25segmented_radix_sort_implINS0_14default_configELb1EPKbPbPKlPlN2at6native12_GLOBAL__N_18offset_tEEE10hipError_tPvRmT1_PNSt15iterator_traitsIS12_E10value_typeET2_T3_PNS13_IS18_E10value_typeET4_jRbjT5_S1E_jjP12ihipStream_tbEUljE_ZNSN_ISO_Lb1ESQ_SR_ST_SU_SY_EESZ_S10_S11_S12_S16_S17_S18_S1B_S1C_jS1D_jS1E_S1E_jjS1G_bEUljE0_EEESZ_S10_S11_S18_S1C_S1E_T6_T7_T9_mT8_S1G_bDpT10_ENKUlT_T0_E_clISt17integral_constantIbLb0EES1U_EEDaS1P_S1Q_EUlS1P_E_NS1_11comp_targetILNS1_3genE2ELNS1_11target_archE906ELNS1_3gpuE6ELNS1_3repE0EEENS1_30default_config_static_selectorELNS0_4arch9wavefront6targetE0EEEvS12_, .Lfunc_end1464-_ZN7rocprim17ROCPRIM_400000_NS6detail17trampoline_kernelINS0_13select_configILj256ELj13ELNS0_17block_load_methodE3ELS4_3ELS4_3ELNS0_20block_scan_algorithmE0ELj4294967295EEENS1_25partition_config_selectorILNS1_17partition_subalgoE4EjNS0_10empty_typeEbEEZZNS1_14partition_implILS8_4ELb0ES6_15HIP_vector_typeIjLj2EENS0_17counting_iteratorIjlEEPS9_SG_NS0_5tupleIJPjSI_NS0_16reverse_iteratorISI_EEEEENSH_IJSG_SG_SG_EEES9_SI_JZNS1_25segmented_radix_sort_implINS0_14default_configELb1EPKbPbPKlPlN2at6native12_GLOBAL__N_18offset_tEEE10hipError_tPvRmT1_PNSt15iterator_traitsIS12_E10value_typeET2_T3_PNS13_IS18_E10value_typeET4_jRbjT5_S1E_jjP12ihipStream_tbEUljE_ZNSN_ISO_Lb1ESQ_SR_ST_SU_SY_EESZ_S10_S11_S12_S16_S17_S18_S1B_S1C_jS1D_jS1E_S1E_jjS1G_bEUljE0_EEESZ_S10_S11_S18_S1C_S1E_T6_T7_T9_mT8_S1G_bDpT10_ENKUlT_T0_E_clISt17integral_constantIbLb0EES1U_EEDaS1P_S1Q_EUlS1P_E_NS1_11comp_targetILNS1_3genE2ELNS1_11target_archE906ELNS1_3gpuE6ELNS1_3repE0EEENS1_30default_config_static_selectorELNS0_4arch9wavefront6targetE0EEEvS12_
                                        ; -- End function
	.set _ZN7rocprim17ROCPRIM_400000_NS6detail17trampoline_kernelINS0_13select_configILj256ELj13ELNS0_17block_load_methodE3ELS4_3ELS4_3ELNS0_20block_scan_algorithmE0ELj4294967295EEENS1_25partition_config_selectorILNS1_17partition_subalgoE4EjNS0_10empty_typeEbEEZZNS1_14partition_implILS8_4ELb0ES6_15HIP_vector_typeIjLj2EENS0_17counting_iteratorIjlEEPS9_SG_NS0_5tupleIJPjSI_NS0_16reverse_iteratorISI_EEEEENSH_IJSG_SG_SG_EEES9_SI_JZNS1_25segmented_radix_sort_implINS0_14default_configELb1EPKbPbPKlPlN2at6native12_GLOBAL__N_18offset_tEEE10hipError_tPvRmT1_PNSt15iterator_traitsIS12_E10value_typeET2_T3_PNS13_IS18_E10value_typeET4_jRbjT5_S1E_jjP12ihipStream_tbEUljE_ZNSN_ISO_Lb1ESQ_SR_ST_SU_SY_EESZ_S10_S11_S12_S16_S17_S18_S1B_S1C_jS1D_jS1E_S1E_jjS1G_bEUljE0_EEESZ_S10_S11_S18_S1C_S1E_T6_T7_T9_mT8_S1G_bDpT10_ENKUlT_T0_E_clISt17integral_constantIbLb0EES1U_EEDaS1P_S1Q_EUlS1P_E_NS1_11comp_targetILNS1_3genE2ELNS1_11target_archE906ELNS1_3gpuE6ELNS1_3repE0EEENS1_30default_config_static_selectorELNS0_4arch9wavefront6targetE0EEEvS12_.num_vgpr, 0
	.set _ZN7rocprim17ROCPRIM_400000_NS6detail17trampoline_kernelINS0_13select_configILj256ELj13ELNS0_17block_load_methodE3ELS4_3ELS4_3ELNS0_20block_scan_algorithmE0ELj4294967295EEENS1_25partition_config_selectorILNS1_17partition_subalgoE4EjNS0_10empty_typeEbEEZZNS1_14partition_implILS8_4ELb0ES6_15HIP_vector_typeIjLj2EENS0_17counting_iteratorIjlEEPS9_SG_NS0_5tupleIJPjSI_NS0_16reverse_iteratorISI_EEEEENSH_IJSG_SG_SG_EEES9_SI_JZNS1_25segmented_radix_sort_implINS0_14default_configELb1EPKbPbPKlPlN2at6native12_GLOBAL__N_18offset_tEEE10hipError_tPvRmT1_PNSt15iterator_traitsIS12_E10value_typeET2_T3_PNS13_IS18_E10value_typeET4_jRbjT5_S1E_jjP12ihipStream_tbEUljE_ZNSN_ISO_Lb1ESQ_SR_ST_SU_SY_EESZ_S10_S11_S12_S16_S17_S18_S1B_S1C_jS1D_jS1E_S1E_jjS1G_bEUljE0_EEESZ_S10_S11_S18_S1C_S1E_T6_T7_T9_mT8_S1G_bDpT10_ENKUlT_T0_E_clISt17integral_constantIbLb0EES1U_EEDaS1P_S1Q_EUlS1P_E_NS1_11comp_targetILNS1_3genE2ELNS1_11target_archE906ELNS1_3gpuE6ELNS1_3repE0EEENS1_30default_config_static_selectorELNS0_4arch9wavefront6targetE0EEEvS12_.num_agpr, 0
	.set _ZN7rocprim17ROCPRIM_400000_NS6detail17trampoline_kernelINS0_13select_configILj256ELj13ELNS0_17block_load_methodE3ELS4_3ELS4_3ELNS0_20block_scan_algorithmE0ELj4294967295EEENS1_25partition_config_selectorILNS1_17partition_subalgoE4EjNS0_10empty_typeEbEEZZNS1_14partition_implILS8_4ELb0ES6_15HIP_vector_typeIjLj2EENS0_17counting_iteratorIjlEEPS9_SG_NS0_5tupleIJPjSI_NS0_16reverse_iteratorISI_EEEEENSH_IJSG_SG_SG_EEES9_SI_JZNS1_25segmented_radix_sort_implINS0_14default_configELb1EPKbPbPKlPlN2at6native12_GLOBAL__N_18offset_tEEE10hipError_tPvRmT1_PNSt15iterator_traitsIS12_E10value_typeET2_T3_PNS13_IS18_E10value_typeET4_jRbjT5_S1E_jjP12ihipStream_tbEUljE_ZNSN_ISO_Lb1ESQ_SR_ST_SU_SY_EESZ_S10_S11_S12_S16_S17_S18_S1B_S1C_jS1D_jS1E_S1E_jjS1G_bEUljE0_EEESZ_S10_S11_S18_S1C_S1E_T6_T7_T9_mT8_S1G_bDpT10_ENKUlT_T0_E_clISt17integral_constantIbLb0EES1U_EEDaS1P_S1Q_EUlS1P_E_NS1_11comp_targetILNS1_3genE2ELNS1_11target_archE906ELNS1_3gpuE6ELNS1_3repE0EEENS1_30default_config_static_selectorELNS0_4arch9wavefront6targetE0EEEvS12_.numbered_sgpr, 0
	.set _ZN7rocprim17ROCPRIM_400000_NS6detail17trampoline_kernelINS0_13select_configILj256ELj13ELNS0_17block_load_methodE3ELS4_3ELS4_3ELNS0_20block_scan_algorithmE0ELj4294967295EEENS1_25partition_config_selectorILNS1_17partition_subalgoE4EjNS0_10empty_typeEbEEZZNS1_14partition_implILS8_4ELb0ES6_15HIP_vector_typeIjLj2EENS0_17counting_iteratorIjlEEPS9_SG_NS0_5tupleIJPjSI_NS0_16reverse_iteratorISI_EEEEENSH_IJSG_SG_SG_EEES9_SI_JZNS1_25segmented_radix_sort_implINS0_14default_configELb1EPKbPbPKlPlN2at6native12_GLOBAL__N_18offset_tEEE10hipError_tPvRmT1_PNSt15iterator_traitsIS12_E10value_typeET2_T3_PNS13_IS18_E10value_typeET4_jRbjT5_S1E_jjP12ihipStream_tbEUljE_ZNSN_ISO_Lb1ESQ_SR_ST_SU_SY_EESZ_S10_S11_S12_S16_S17_S18_S1B_S1C_jS1D_jS1E_S1E_jjS1G_bEUljE0_EEESZ_S10_S11_S18_S1C_S1E_T6_T7_T9_mT8_S1G_bDpT10_ENKUlT_T0_E_clISt17integral_constantIbLb0EES1U_EEDaS1P_S1Q_EUlS1P_E_NS1_11comp_targetILNS1_3genE2ELNS1_11target_archE906ELNS1_3gpuE6ELNS1_3repE0EEENS1_30default_config_static_selectorELNS0_4arch9wavefront6targetE0EEEvS12_.num_named_barrier, 0
	.set _ZN7rocprim17ROCPRIM_400000_NS6detail17trampoline_kernelINS0_13select_configILj256ELj13ELNS0_17block_load_methodE3ELS4_3ELS4_3ELNS0_20block_scan_algorithmE0ELj4294967295EEENS1_25partition_config_selectorILNS1_17partition_subalgoE4EjNS0_10empty_typeEbEEZZNS1_14partition_implILS8_4ELb0ES6_15HIP_vector_typeIjLj2EENS0_17counting_iteratorIjlEEPS9_SG_NS0_5tupleIJPjSI_NS0_16reverse_iteratorISI_EEEEENSH_IJSG_SG_SG_EEES9_SI_JZNS1_25segmented_radix_sort_implINS0_14default_configELb1EPKbPbPKlPlN2at6native12_GLOBAL__N_18offset_tEEE10hipError_tPvRmT1_PNSt15iterator_traitsIS12_E10value_typeET2_T3_PNS13_IS18_E10value_typeET4_jRbjT5_S1E_jjP12ihipStream_tbEUljE_ZNSN_ISO_Lb1ESQ_SR_ST_SU_SY_EESZ_S10_S11_S12_S16_S17_S18_S1B_S1C_jS1D_jS1E_S1E_jjS1G_bEUljE0_EEESZ_S10_S11_S18_S1C_S1E_T6_T7_T9_mT8_S1G_bDpT10_ENKUlT_T0_E_clISt17integral_constantIbLb0EES1U_EEDaS1P_S1Q_EUlS1P_E_NS1_11comp_targetILNS1_3genE2ELNS1_11target_archE906ELNS1_3gpuE6ELNS1_3repE0EEENS1_30default_config_static_selectorELNS0_4arch9wavefront6targetE0EEEvS12_.private_seg_size, 0
	.set _ZN7rocprim17ROCPRIM_400000_NS6detail17trampoline_kernelINS0_13select_configILj256ELj13ELNS0_17block_load_methodE3ELS4_3ELS4_3ELNS0_20block_scan_algorithmE0ELj4294967295EEENS1_25partition_config_selectorILNS1_17partition_subalgoE4EjNS0_10empty_typeEbEEZZNS1_14partition_implILS8_4ELb0ES6_15HIP_vector_typeIjLj2EENS0_17counting_iteratorIjlEEPS9_SG_NS0_5tupleIJPjSI_NS0_16reverse_iteratorISI_EEEEENSH_IJSG_SG_SG_EEES9_SI_JZNS1_25segmented_radix_sort_implINS0_14default_configELb1EPKbPbPKlPlN2at6native12_GLOBAL__N_18offset_tEEE10hipError_tPvRmT1_PNSt15iterator_traitsIS12_E10value_typeET2_T3_PNS13_IS18_E10value_typeET4_jRbjT5_S1E_jjP12ihipStream_tbEUljE_ZNSN_ISO_Lb1ESQ_SR_ST_SU_SY_EESZ_S10_S11_S12_S16_S17_S18_S1B_S1C_jS1D_jS1E_S1E_jjS1G_bEUljE0_EEESZ_S10_S11_S18_S1C_S1E_T6_T7_T9_mT8_S1G_bDpT10_ENKUlT_T0_E_clISt17integral_constantIbLb0EES1U_EEDaS1P_S1Q_EUlS1P_E_NS1_11comp_targetILNS1_3genE2ELNS1_11target_archE906ELNS1_3gpuE6ELNS1_3repE0EEENS1_30default_config_static_selectorELNS0_4arch9wavefront6targetE0EEEvS12_.uses_vcc, 0
	.set _ZN7rocprim17ROCPRIM_400000_NS6detail17trampoline_kernelINS0_13select_configILj256ELj13ELNS0_17block_load_methodE3ELS4_3ELS4_3ELNS0_20block_scan_algorithmE0ELj4294967295EEENS1_25partition_config_selectorILNS1_17partition_subalgoE4EjNS0_10empty_typeEbEEZZNS1_14partition_implILS8_4ELb0ES6_15HIP_vector_typeIjLj2EENS0_17counting_iteratorIjlEEPS9_SG_NS0_5tupleIJPjSI_NS0_16reverse_iteratorISI_EEEEENSH_IJSG_SG_SG_EEES9_SI_JZNS1_25segmented_radix_sort_implINS0_14default_configELb1EPKbPbPKlPlN2at6native12_GLOBAL__N_18offset_tEEE10hipError_tPvRmT1_PNSt15iterator_traitsIS12_E10value_typeET2_T3_PNS13_IS18_E10value_typeET4_jRbjT5_S1E_jjP12ihipStream_tbEUljE_ZNSN_ISO_Lb1ESQ_SR_ST_SU_SY_EESZ_S10_S11_S12_S16_S17_S18_S1B_S1C_jS1D_jS1E_S1E_jjS1G_bEUljE0_EEESZ_S10_S11_S18_S1C_S1E_T6_T7_T9_mT8_S1G_bDpT10_ENKUlT_T0_E_clISt17integral_constantIbLb0EES1U_EEDaS1P_S1Q_EUlS1P_E_NS1_11comp_targetILNS1_3genE2ELNS1_11target_archE906ELNS1_3gpuE6ELNS1_3repE0EEENS1_30default_config_static_selectorELNS0_4arch9wavefront6targetE0EEEvS12_.uses_flat_scratch, 0
	.set _ZN7rocprim17ROCPRIM_400000_NS6detail17trampoline_kernelINS0_13select_configILj256ELj13ELNS0_17block_load_methodE3ELS4_3ELS4_3ELNS0_20block_scan_algorithmE0ELj4294967295EEENS1_25partition_config_selectorILNS1_17partition_subalgoE4EjNS0_10empty_typeEbEEZZNS1_14partition_implILS8_4ELb0ES6_15HIP_vector_typeIjLj2EENS0_17counting_iteratorIjlEEPS9_SG_NS0_5tupleIJPjSI_NS0_16reverse_iteratorISI_EEEEENSH_IJSG_SG_SG_EEES9_SI_JZNS1_25segmented_radix_sort_implINS0_14default_configELb1EPKbPbPKlPlN2at6native12_GLOBAL__N_18offset_tEEE10hipError_tPvRmT1_PNSt15iterator_traitsIS12_E10value_typeET2_T3_PNS13_IS18_E10value_typeET4_jRbjT5_S1E_jjP12ihipStream_tbEUljE_ZNSN_ISO_Lb1ESQ_SR_ST_SU_SY_EESZ_S10_S11_S12_S16_S17_S18_S1B_S1C_jS1D_jS1E_S1E_jjS1G_bEUljE0_EEESZ_S10_S11_S18_S1C_S1E_T6_T7_T9_mT8_S1G_bDpT10_ENKUlT_T0_E_clISt17integral_constantIbLb0EES1U_EEDaS1P_S1Q_EUlS1P_E_NS1_11comp_targetILNS1_3genE2ELNS1_11target_archE906ELNS1_3gpuE6ELNS1_3repE0EEENS1_30default_config_static_selectorELNS0_4arch9wavefront6targetE0EEEvS12_.has_dyn_sized_stack, 0
	.set _ZN7rocprim17ROCPRIM_400000_NS6detail17trampoline_kernelINS0_13select_configILj256ELj13ELNS0_17block_load_methodE3ELS4_3ELS4_3ELNS0_20block_scan_algorithmE0ELj4294967295EEENS1_25partition_config_selectorILNS1_17partition_subalgoE4EjNS0_10empty_typeEbEEZZNS1_14partition_implILS8_4ELb0ES6_15HIP_vector_typeIjLj2EENS0_17counting_iteratorIjlEEPS9_SG_NS0_5tupleIJPjSI_NS0_16reverse_iteratorISI_EEEEENSH_IJSG_SG_SG_EEES9_SI_JZNS1_25segmented_radix_sort_implINS0_14default_configELb1EPKbPbPKlPlN2at6native12_GLOBAL__N_18offset_tEEE10hipError_tPvRmT1_PNSt15iterator_traitsIS12_E10value_typeET2_T3_PNS13_IS18_E10value_typeET4_jRbjT5_S1E_jjP12ihipStream_tbEUljE_ZNSN_ISO_Lb1ESQ_SR_ST_SU_SY_EESZ_S10_S11_S12_S16_S17_S18_S1B_S1C_jS1D_jS1E_S1E_jjS1G_bEUljE0_EEESZ_S10_S11_S18_S1C_S1E_T6_T7_T9_mT8_S1G_bDpT10_ENKUlT_T0_E_clISt17integral_constantIbLb0EES1U_EEDaS1P_S1Q_EUlS1P_E_NS1_11comp_targetILNS1_3genE2ELNS1_11target_archE906ELNS1_3gpuE6ELNS1_3repE0EEENS1_30default_config_static_selectorELNS0_4arch9wavefront6targetE0EEEvS12_.has_recursion, 0
	.set _ZN7rocprim17ROCPRIM_400000_NS6detail17trampoline_kernelINS0_13select_configILj256ELj13ELNS0_17block_load_methodE3ELS4_3ELS4_3ELNS0_20block_scan_algorithmE0ELj4294967295EEENS1_25partition_config_selectorILNS1_17partition_subalgoE4EjNS0_10empty_typeEbEEZZNS1_14partition_implILS8_4ELb0ES6_15HIP_vector_typeIjLj2EENS0_17counting_iteratorIjlEEPS9_SG_NS0_5tupleIJPjSI_NS0_16reverse_iteratorISI_EEEEENSH_IJSG_SG_SG_EEES9_SI_JZNS1_25segmented_radix_sort_implINS0_14default_configELb1EPKbPbPKlPlN2at6native12_GLOBAL__N_18offset_tEEE10hipError_tPvRmT1_PNSt15iterator_traitsIS12_E10value_typeET2_T3_PNS13_IS18_E10value_typeET4_jRbjT5_S1E_jjP12ihipStream_tbEUljE_ZNSN_ISO_Lb1ESQ_SR_ST_SU_SY_EESZ_S10_S11_S12_S16_S17_S18_S1B_S1C_jS1D_jS1E_S1E_jjS1G_bEUljE0_EEESZ_S10_S11_S18_S1C_S1E_T6_T7_T9_mT8_S1G_bDpT10_ENKUlT_T0_E_clISt17integral_constantIbLb0EES1U_EEDaS1P_S1Q_EUlS1P_E_NS1_11comp_targetILNS1_3genE2ELNS1_11target_archE906ELNS1_3gpuE6ELNS1_3repE0EEENS1_30default_config_static_selectorELNS0_4arch9wavefront6targetE0EEEvS12_.has_indirect_call, 0
	.section	.AMDGPU.csdata,"",@progbits
; Kernel info:
; codeLenInByte = 0
; TotalNumSgprs: 0
; NumVgprs: 0
; ScratchSize: 0
; MemoryBound: 0
; FloatMode: 240
; IeeeMode: 1
; LDSByteSize: 0 bytes/workgroup (compile time only)
; SGPRBlocks: 0
; VGPRBlocks: 0
; NumSGPRsForWavesPerEU: 1
; NumVGPRsForWavesPerEU: 1
; NamedBarCnt: 0
; Occupancy: 16
; WaveLimiterHint : 0
; COMPUTE_PGM_RSRC2:SCRATCH_EN: 0
; COMPUTE_PGM_RSRC2:USER_SGPR: 2
; COMPUTE_PGM_RSRC2:TRAP_HANDLER: 0
; COMPUTE_PGM_RSRC2:TGID_X_EN: 1
; COMPUTE_PGM_RSRC2:TGID_Y_EN: 0
; COMPUTE_PGM_RSRC2:TGID_Z_EN: 0
; COMPUTE_PGM_RSRC2:TIDIG_COMP_CNT: 0
	.section	.text._ZN7rocprim17ROCPRIM_400000_NS6detail17trampoline_kernelINS0_13select_configILj256ELj13ELNS0_17block_load_methodE3ELS4_3ELS4_3ELNS0_20block_scan_algorithmE0ELj4294967295EEENS1_25partition_config_selectorILNS1_17partition_subalgoE4EjNS0_10empty_typeEbEEZZNS1_14partition_implILS8_4ELb0ES6_15HIP_vector_typeIjLj2EENS0_17counting_iteratorIjlEEPS9_SG_NS0_5tupleIJPjSI_NS0_16reverse_iteratorISI_EEEEENSH_IJSG_SG_SG_EEES9_SI_JZNS1_25segmented_radix_sort_implINS0_14default_configELb1EPKbPbPKlPlN2at6native12_GLOBAL__N_18offset_tEEE10hipError_tPvRmT1_PNSt15iterator_traitsIS12_E10value_typeET2_T3_PNS13_IS18_E10value_typeET4_jRbjT5_S1E_jjP12ihipStream_tbEUljE_ZNSN_ISO_Lb1ESQ_SR_ST_SU_SY_EESZ_S10_S11_S12_S16_S17_S18_S1B_S1C_jS1D_jS1E_S1E_jjS1G_bEUljE0_EEESZ_S10_S11_S18_S1C_S1E_T6_T7_T9_mT8_S1G_bDpT10_ENKUlT_T0_E_clISt17integral_constantIbLb0EES1U_EEDaS1P_S1Q_EUlS1P_E_NS1_11comp_targetILNS1_3genE10ELNS1_11target_archE1200ELNS1_3gpuE4ELNS1_3repE0EEENS1_30default_config_static_selectorELNS0_4arch9wavefront6targetE0EEEvS12_,"axG",@progbits,_ZN7rocprim17ROCPRIM_400000_NS6detail17trampoline_kernelINS0_13select_configILj256ELj13ELNS0_17block_load_methodE3ELS4_3ELS4_3ELNS0_20block_scan_algorithmE0ELj4294967295EEENS1_25partition_config_selectorILNS1_17partition_subalgoE4EjNS0_10empty_typeEbEEZZNS1_14partition_implILS8_4ELb0ES6_15HIP_vector_typeIjLj2EENS0_17counting_iteratorIjlEEPS9_SG_NS0_5tupleIJPjSI_NS0_16reverse_iteratorISI_EEEEENSH_IJSG_SG_SG_EEES9_SI_JZNS1_25segmented_radix_sort_implINS0_14default_configELb1EPKbPbPKlPlN2at6native12_GLOBAL__N_18offset_tEEE10hipError_tPvRmT1_PNSt15iterator_traitsIS12_E10value_typeET2_T3_PNS13_IS18_E10value_typeET4_jRbjT5_S1E_jjP12ihipStream_tbEUljE_ZNSN_ISO_Lb1ESQ_SR_ST_SU_SY_EESZ_S10_S11_S12_S16_S17_S18_S1B_S1C_jS1D_jS1E_S1E_jjS1G_bEUljE0_EEESZ_S10_S11_S18_S1C_S1E_T6_T7_T9_mT8_S1G_bDpT10_ENKUlT_T0_E_clISt17integral_constantIbLb0EES1U_EEDaS1P_S1Q_EUlS1P_E_NS1_11comp_targetILNS1_3genE10ELNS1_11target_archE1200ELNS1_3gpuE4ELNS1_3repE0EEENS1_30default_config_static_selectorELNS0_4arch9wavefront6targetE0EEEvS12_,comdat
	.globl	_ZN7rocprim17ROCPRIM_400000_NS6detail17trampoline_kernelINS0_13select_configILj256ELj13ELNS0_17block_load_methodE3ELS4_3ELS4_3ELNS0_20block_scan_algorithmE0ELj4294967295EEENS1_25partition_config_selectorILNS1_17partition_subalgoE4EjNS0_10empty_typeEbEEZZNS1_14partition_implILS8_4ELb0ES6_15HIP_vector_typeIjLj2EENS0_17counting_iteratorIjlEEPS9_SG_NS0_5tupleIJPjSI_NS0_16reverse_iteratorISI_EEEEENSH_IJSG_SG_SG_EEES9_SI_JZNS1_25segmented_radix_sort_implINS0_14default_configELb1EPKbPbPKlPlN2at6native12_GLOBAL__N_18offset_tEEE10hipError_tPvRmT1_PNSt15iterator_traitsIS12_E10value_typeET2_T3_PNS13_IS18_E10value_typeET4_jRbjT5_S1E_jjP12ihipStream_tbEUljE_ZNSN_ISO_Lb1ESQ_SR_ST_SU_SY_EESZ_S10_S11_S12_S16_S17_S18_S1B_S1C_jS1D_jS1E_S1E_jjS1G_bEUljE0_EEESZ_S10_S11_S18_S1C_S1E_T6_T7_T9_mT8_S1G_bDpT10_ENKUlT_T0_E_clISt17integral_constantIbLb0EES1U_EEDaS1P_S1Q_EUlS1P_E_NS1_11comp_targetILNS1_3genE10ELNS1_11target_archE1200ELNS1_3gpuE4ELNS1_3repE0EEENS1_30default_config_static_selectorELNS0_4arch9wavefront6targetE0EEEvS12_ ; -- Begin function _ZN7rocprim17ROCPRIM_400000_NS6detail17trampoline_kernelINS0_13select_configILj256ELj13ELNS0_17block_load_methodE3ELS4_3ELS4_3ELNS0_20block_scan_algorithmE0ELj4294967295EEENS1_25partition_config_selectorILNS1_17partition_subalgoE4EjNS0_10empty_typeEbEEZZNS1_14partition_implILS8_4ELb0ES6_15HIP_vector_typeIjLj2EENS0_17counting_iteratorIjlEEPS9_SG_NS0_5tupleIJPjSI_NS0_16reverse_iteratorISI_EEEEENSH_IJSG_SG_SG_EEES9_SI_JZNS1_25segmented_radix_sort_implINS0_14default_configELb1EPKbPbPKlPlN2at6native12_GLOBAL__N_18offset_tEEE10hipError_tPvRmT1_PNSt15iterator_traitsIS12_E10value_typeET2_T3_PNS13_IS18_E10value_typeET4_jRbjT5_S1E_jjP12ihipStream_tbEUljE_ZNSN_ISO_Lb1ESQ_SR_ST_SU_SY_EESZ_S10_S11_S12_S16_S17_S18_S1B_S1C_jS1D_jS1E_S1E_jjS1G_bEUljE0_EEESZ_S10_S11_S18_S1C_S1E_T6_T7_T9_mT8_S1G_bDpT10_ENKUlT_T0_E_clISt17integral_constantIbLb0EES1U_EEDaS1P_S1Q_EUlS1P_E_NS1_11comp_targetILNS1_3genE10ELNS1_11target_archE1200ELNS1_3gpuE4ELNS1_3repE0EEENS1_30default_config_static_selectorELNS0_4arch9wavefront6targetE0EEEvS12_
	.p2align	8
	.type	_ZN7rocprim17ROCPRIM_400000_NS6detail17trampoline_kernelINS0_13select_configILj256ELj13ELNS0_17block_load_methodE3ELS4_3ELS4_3ELNS0_20block_scan_algorithmE0ELj4294967295EEENS1_25partition_config_selectorILNS1_17partition_subalgoE4EjNS0_10empty_typeEbEEZZNS1_14partition_implILS8_4ELb0ES6_15HIP_vector_typeIjLj2EENS0_17counting_iteratorIjlEEPS9_SG_NS0_5tupleIJPjSI_NS0_16reverse_iteratorISI_EEEEENSH_IJSG_SG_SG_EEES9_SI_JZNS1_25segmented_radix_sort_implINS0_14default_configELb1EPKbPbPKlPlN2at6native12_GLOBAL__N_18offset_tEEE10hipError_tPvRmT1_PNSt15iterator_traitsIS12_E10value_typeET2_T3_PNS13_IS18_E10value_typeET4_jRbjT5_S1E_jjP12ihipStream_tbEUljE_ZNSN_ISO_Lb1ESQ_SR_ST_SU_SY_EESZ_S10_S11_S12_S16_S17_S18_S1B_S1C_jS1D_jS1E_S1E_jjS1G_bEUljE0_EEESZ_S10_S11_S18_S1C_S1E_T6_T7_T9_mT8_S1G_bDpT10_ENKUlT_T0_E_clISt17integral_constantIbLb0EES1U_EEDaS1P_S1Q_EUlS1P_E_NS1_11comp_targetILNS1_3genE10ELNS1_11target_archE1200ELNS1_3gpuE4ELNS1_3repE0EEENS1_30default_config_static_selectorELNS0_4arch9wavefront6targetE0EEEvS12_,@function
_ZN7rocprim17ROCPRIM_400000_NS6detail17trampoline_kernelINS0_13select_configILj256ELj13ELNS0_17block_load_methodE3ELS4_3ELS4_3ELNS0_20block_scan_algorithmE0ELj4294967295EEENS1_25partition_config_selectorILNS1_17partition_subalgoE4EjNS0_10empty_typeEbEEZZNS1_14partition_implILS8_4ELb0ES6_15HIP_vector_typeIjLj2EENS0_17counting_iteratorIjlEEPS9_SG_NS0_5tupleIJPjSI_NS0_16reverse_iteratorISI_EEEEENSH_IJSG_SG_SG_EEES9_SI_JZNS1_25segmented_radix_sort_implINS0_14default_configELb1EPKbPbPKlPlN2at6native12_GLOBAL__N_18offset_tEEE10hipError_tPvRmT1_PNSt15iterator_traitsIS12_E10value_typeET2_T3_PNS13_IS18_E10value_typeET4_jRbjT5_S1E_jjP12ihipStream_tbEUljE_ZNSN_ISO_Lb1ESQ_SR_ST_SU_SY_EESZ_S10_S11_S12_S16_S17_S18_S1B_S1C_jS1D_jS1E_S1E_jjS1G_bEUljE0_EEESZ_S10_S11_S18_S1C_S1E_T6_T7_T9_mT8_S1G_bDpT10_ENKUlT_T0_E_clISt17integral_constantIbLb0EES1U_EEDaS1P_S1Q_EUlS1P_E_NS1_11comp_targetILNS1_3genE10ELNS1_11target_archE1200ELNS1_3gpuE4ELNS1_3repE0EEENS1_30default_config_static_selectorELNS0_4arch9wavefront6targetE0EEEvS12_: ; @_ZN7rocprim17ROCPRIM_400000_NS6detail17trampoline_kernelINS0_13select_configILj256ELj13ELNS0_17block_load_methodE3ELS4_3ELS4_3ELNS0_20block_scan_algorithmE0ELj4294967295EEENS1_25partition_config_selectorILNS1_17partition_subalgoE4EjNS0_10empty_typeEbEEZZNS1_14partition_implILS8_4ELb0ES6_15HIP_vector_typeIjLj2EENS0_17counting_iteratorIjlEEPS9_SG_NS0_5tupleIJPjSI_NS0_16reverse_iteratorISI_EEEEENSH_IJSG_SG_SG_EEES9_SI_JZNS1_25segmented_radix_sort_implINS0_14default_configELb1EPKbPbPKlPlN2at6native12_GLOBAL__N_18offset_tEEE10hipError_tPvRmT1_PNSt15iterator_traitsIS12_E10value_typeET2_T3_PNS13_IS18_E10value_typeET4_jRbjT5_S1E_jjP12ihipStream_tbEUljE_ZNSN_ISO_Lb1ESQ_SR_ST_SU_SY_EESZ_S10_S11_S12_S16_S17_S18_S1B_S1C_jS1D_jS1E_S1E_jjS1G_bEUljE0_EEESZ_S10_S11_S18_S1C_S1E_T6_T7_T9_mT8_S1G_bDpT10_ENKUlT_T0_E_clISt17integral_constantIbLb0EES1U_EEDaS1P_S1Q_EUlS1P_E_NS1_11comp_targetILNS1_3genE10ELNS1_11target_archE1200ELNS1_3gpuE4ELNS1_3repE0EEENS1_30default_config_static_selectorELNS0_4arch9wavefront6targetE0EEEvS12_
; %bb.0:
	.section	.rodata,"a",@progbits
	.p2align	6, 0x0
	.amdhsa_kernel _ZN7rocprim17ROCPRIM_400000_NS6detail17trampoline_kernelINS0_13select_configILj256ELj13ELNS0_17block_load_methodE3ELS4_3ELS4_3ELNS0_20block_scan_algorithmE0ELj4294967295EEENS1_25partition_config_selectorILNS1_17partition_subalgoE4EjNS0_10empty_typeEbEEZZNS1_14partition_implILS8_4ELb0ES6_15HIP_vector_typeIjLj2EENS0_17counting_iteratorIjlEEPS9_SG_NS0_5tupleIJPjSI_NS0_16reverse_iteratorISI_EEEEENSH_IJSG_SG_SG_EEES9_SI_JZNS1_25segmented_radix_sort_implINS0_14default_configELb1EPKbPbPKlPlN2at6native12_GLOBAL__N_18offset_tEEE10hipError_tPvRmT1_PNSt15iterator_traitsIS12_E10value_typeET2_T3_PNS13_IS18_E10value_typeET4_jRbjT5_S1E_jjP12ihipStream_tbEUljE_ZNSN_ISO_Lb1ESQ_SR_ST_SU_SY_EESZ_S10_S11_S12_S16_S17_S18_S1B_S1C_jS1D_jS1E_S1E_jjS1G_bEUljE0_EEESZ_S10_S11_S18_S1C_S1E_T6_T7_T9_mT8_S1G_bDpT10_ENKUlT_T0_E_clISt17integral_constantIbLb0EES1U_EEDaS1P_S1Q_EUlS1P_E_NS1_11comp_targetILNS1_3genE10ELNS1_11target_archE1200ELNS1_3gpuE4ELNS1_3repE0EEENS1_30default_config_static_selectorELNS0_4arch9wavefront6targetE0EEEvS12_
		.amdhsa_group_segment_fixed_size 0
		.amdhsa_private_segment_fixed_size 0
		.amdhsa_kernarg_size 176
		.amdhsa_user_sgpr_count 2
		.amdhsa_user_sgpr_dispatch_ptr 0
		.amdhsa_user_sgpr_queue_ptr 0
		.amdhsa_user_sgpr_kernarg_segment_ptr 1
		.amdhsa_user_sgpr_dispatch_id 0
		.amdhsa_user_sgpr_kernarg_preload_length 0
		.amdhsa_user_sgpr_kernarg_preload_offset 0
		.amdhsa_user_sgpr_private_segment_size 0
		.amdhsa_wavefront_size32 1
		.amdhsa_uses_dynamic_stack 0
		.amdhsa_enable_private_segment 0
		.amdhsa_system_sgpr_workgroup_id_x 1
		.amdhsa_system_sgpr_workgroup_id_y 0
		.amdhsa_system_sgpr_workgroup_id_z 0
		.amdhsa_system_sgpr_workgroup_info 0
		.amdhsa_system_vgpr_workitem_id 0
		.amdhsa_next_free_vgpr 1
		.amdhsa_next_free_sgpr 1
		.amdhsa_named_barrier_count 0
		.amdhsa_reserve_vcc 0
		.amdhsa_float_round_mode_32 0
		.amdhsa_float_round_mode_16_64 0
		.amdhsa_float_denorm_mode_32 3
		.amdhsa_float_denorm_mode_16_64 3
		.amdhsa_fp16_overflow 0
		.amdhsa_memory_ordered 1
		.amdhsa_forward_progress 1
		.amdhsa_inst_pref_size 0
		.amdhsa_round_robin_scheduling 0
		.amdhsa_exception_fp_ieee_invalid_op 0
		.amdhsa_exception_fp_denorm_src 0
		.amdhsa_exception_fp_ieee_div_zero 0
		.amdhsa_exception_fp_ieee_overflow 0
		.amdhsa_exception_fp_ieee_underflow 0
		.amdhsa_exception_fp_ieee_inexact 0
		.amdhsa_exception_int_div_zero 0
	.end_amdhsa_kernel
	.section	.text._ZN7rocprim17ROCPRIM_400000_NS6detail17trampoline_kernelINS0_13select_configILj256ELj13ELNS0_17block_load_methodE3ELS4_3ELS4_3ELNS0_20block_scan_algorithmE0ELj4294967295EEENS1_25partition_config_selectorILNS1_17partition_subalgoE4EjNS0_10empty_typeEbEEZZNS1_14partition_implILS8_4ELb0ES6_15HIP_vector_typeIjLj2EENS0_17counting_iteratorIjlEEPS9_SG_NS0_5tupleIJPjSI_NS0_16reverse_iteratorISI_EEEEENSH_IJSG_SG_SG_EEES9_SI_JZNS1_25segmented_radix_sort_implINS0_14default_configELb1EPKbPbPKlPlN2at6native12_GLOBAL__N_18offset_tEEE10hipError_tPvRmT1_PNSt15iterator_traitsIS12_E10value_typeET2_T3_PNS13_IS18_E10value_typeET4_jRbjT5_S1E_jjP12ihipStream_tbEUljE_ZNSN_ISO_Lb1ESQ_SR_ST_SU_SY_EESZ_S10_S11_S12_S16_S17_S18_S1B_S1C_jS1D_jS1E_S1E_jjS1G_bEUljE0_EEESZ_S10_S11_S18_S1C_S1E_T6_T7_T9_mT8_S1G_bDpT10_ENKUlT_T0_E_clISt17integral_constantIbLb0EES1U_EEDaS1P_S1Q_EUlS1P_E_NS1_11comp_targetILNS1_3genE10ELNS1_11target_archE1200ELNS1_3gpuE4ELNS1_3repE0EEENS1_30default_config_static_selectorELNS0_4arch9wavefront6targetE0EEEvS12_,"axG",@progbits,_ZN7rocprim17ROCPRIM_400000_NS6detail17trampoline_kernelINS0_13select_configILj256ELj13ELNS0_17block_load_methodE3ELS4_3ELS4_3ELNS0_20block_scan_algorithmE0ELj4294967295EEENS1_25partition_config_selectorILNS1_17partition_subalgoE4EjNS0_10empty_typeEbEEZZNS1_14partition_implILS8_4ELb0ES6_15HIP_vector_typeIjLj2EENS0_17counting_iteratorIjlEEPS9_SG_NS0_5tupleIJPjSI_NS0_16reverse_iteratorISI_EEEEENSH_IJSG_SG_SG_EEES9_SI_JZNS1_25segmented_radix_sort_implINS0_14default_configELb1EPKbPbPKlPlN2at6native12_GLOBAL__N_18offset_tEEE10hipError_tPvRmT1_PNSt15iterator_traitsIS12_E10value_typeET2_T3_PNS13_IS18_E10value_typeET4_jRbjT5_S1E_jjP12ihipStream_tbEUljE_ZNSN_ISO_Lb1ESQ_SR_ST_SU_SY_EESZ_S10_S11_S12_S16_S17_S18_S1B_S1C_jS1D_jS1E_S1E_jjS1G_bEUljE0_EEESZ_S10_S11_S18_S1C_S1E_T6_T7_T9_mT8_S1G_bDpT10_ENKUlT_T0_E_clISt17integral_constantIbLb0EES1U_EEDaS1P_S1Q_EUlS1P_E_NS1_11comp_targetILNS1_3genE10ELNS1_11target_archE1200ELNS1_3gpuE4ELNS1_3repE0EEENS1_30default_config_static_selectorELNS0_4arch9wavefront6targetE0EEEvS12_,comdat
.Lfunc_end1465:
	.size	_ZN7rocprim17ROCPRIM_400000_NS6detail17trampoline_kernelINS0_13select_configILj256ELj13ELNS0_17block_load_methodE3ELS4_3ELS4_3ELNS0_20block_scan_algorithmE0ELj4294967295EEENS1_25partition_config_selectorILNS1_17partition_subalgoE4EjNS0_10empty_typeEbEEZZNS1_14partition_implILS8_4ELb0ES6_15HIP_vector_typeIjLj2EENS0_17counting_iteratorIjlEEPS9_SG_NS0_5tupleIJPjSI_NS0_16reverse_iteratorISI_EEEEENSH_IJSG_SG_SG_EEES9_SI_JZNS1_25segmented_radix_sort_implINS0_14default_configELb1EPKbPbPKlPlN2at6native12_GLOBAL__N_18offset_tEEE10hipError_tPvRmT1_PNSt15iterator_traitsIS12_E10value_typeET2_T3_PNS13_IS18_E10value_typeET4_jRbjT5_S1E_jjP12ihipStream_tbEUljE_ZNSN_ISO_Lb1ESQ_SR_ST_SU_SY_EESZ_S10_S11_S12_S16_S17_S18_S1B_S1C_jS1D_jS1E_S1E_jjS1G_bEUljE0_EEESZ_S10_S11_S18_S1C_S1E_T6_T7_T9_mT8_S1G_bDpT10_ENKUlT_T0_E_clISt17integral_constantIbLb0EES1U_EEDaS1P_S1Q_EUlS1P_E_NS1_11comp_targetILNS1_3genE10ELNS1_11target_archE1200ELNS1_3gpuE4ELNS1_3repE0EEENS1_30default_config_static_selectorELNS0_4arch9wavefront6targetE0EEEvS12_, .Lfunc_end1465-_ZN7rocprim17ROCPRIM_400000_NS6detail17trampoline_kernelINS0_13select_configILj256ELj13ELNS0_17block_load_methodE3ELS4_3ELS4_3ELNS0_20block_scan_algorithmE0ELj4294967295EEENS1_25partition_config_selectorILNS1_17partition_subalgoE4EjNS0_10empty_typeEbEEZZNS1_14partition_implILS8_4ELb0ES6_15HIP_vector_typeIjLj2EENS0_17counting_iteratorIjlEEPS9_SG_NS0_5tupleIJPjSI_NS0_16reverse_iteratorISI_EEEEENSH_IJSG_SG_SG_EEES9_SI_JZNS1_25segmented_radix_sort_implINS0_14default_configELb1EPKbPbPKlPlN2at6native12_GLOBAL__N_18offset_tEEE10hipError_tPvRmT1_PNSt15iterator_traitsIS12_E10value_typeET2_T3_PNS13_IS18_E10value_typeET4_jRbjT5_S1E_jjP12ihipStream_tbEUljE_ZNSN_ISO_Lb1ESQ_SR_ST_SU_SY_EESZ_S10_S11_S12_S16_S17_S18_S1B_S1C_jS1D_jS1E_S1E_jjS1G_bEUljE0_EEESZ_S10_S11_S18_S1C_S1E_T6_T7_T9_mT8_S1G_bDpT10_ENKUlT_T0_E_clISt17integral_constantIbLb0EES1U_EEDaS1P_S1Q_EUlS1P_E_NS1_11comp_targetILNS1_3genE10ELNS1_11target_archE1200ELNS1_3gpuE4ELNS1_3repE0EEENS1_30default_config_static_selectorELNS0_4arch9wavefront6targetE0EEEvS12_
                                        ; -- End function
	.set _ZN7rocprim17ROCPRIM_400000_NS6detail17trampoline_kernelINS0_13select_configILj256ELj13ELNS0_17block_load_methodE3ELS4_3ELS4_3ELNS0_20block_scan_algorithmE0ELj4294967295EEENS1_25partition_config_selectorILNS1_17partition_subalgoE4EjNS0_10empty_typeEbEEZZNS1_14partition_implILS8_4ELb0ES6_15HIP_vector_typeIjLj2EENS0_17counting_iteratorIjlEEPS9_SG_NS0_5tupleIJPjSI_NS0_16reverse_iteratorISI_EEEEENSH_IJSG_SG_SG_EEES9_SI_JZNS1_25segmented_radix_sort_implINS0_14default_configELb1EPKbPbPKlPlN2at6native12_GLOBAL__N_18offset_tEEE10hipError_tPvRmT1_PNSt15iterator_traitsIS12_E10value_typeET2_T3_PNS13_IS18_E10value_typeET4_jRbjT5_S1E_jjP12ihipStream_tbEUljE_ZNSN_ISO_Lb1ESQ_SR_ST_SU_SY_EESZ_S10_S11_S12_S16_S17_S18_S1B_S1C_jS1D_jS1E_S1E_jjS1G_bEUljE0_EEESZ_S10_S11_S18_S1C_S1E_T6_T7_T9_mT8_S1G_bDpT10_ENKUlT_T0_E_clISt17integral_constantIbLb0EES1U_EEDaS1P_S1Q_EUlS1P_E_NS1_11comp_targetILNS1_3genE10ELNS1_11target_archE1200ELNS1_3gpuE4ELNS1_3repE0EEENS1_30default_config_static_selectorELNS0_4arch9wavefront6targetE0EEEvS12_.num_vgpr, 0
	.set _ZN7rocprim17ROCPRIM_400000_NS6detail17trampoline_kernelINS0_13select_configILj256ELj13ELNS0_17block_load_methodE3ELS4_3ELS4_3ELNS0_20block_scan_algorithmE0ELj4294967295EEENS1_25partition_config_selectorILNS1_17partition_subalgoE4EjNS0_10empty_typeEbEEZZNS1_14partition_implILS8_4ELb0ES6_15HIP_vector_typeIjLj2EENS0_17counting_iteratorIjlEEPS9_SG_NS0_5tupleIJPjSI_NS0_16reverse_iteratorISI_EEEEENSH_IJSG_SG_SG_EEES9_SI_JZNS1_25segmented_radix_sort_implINS0_14default_configELb1EPKbPbPKlPlN2at6native12_GLOBAL__N_18offset_tEEE10hipError_tPvRmT1_PNSt15iterator_traitsIS12_E10value_typeET2_T3_PNS13_IS18_E10value_typeET4_jRbjT5_S1E_jjP12ihipStream_tbEUljE_ZNSN_ISO_Lb1ESQ_SR_ST_SU_SY_EESZ_S10_S11_S12_S16_S17_S18_S1B_S1C_jS1D_jS1E_S1E_jjS1G_bEUljE0_EEESZ_S10_S11_S18_S1C_S1E_T6_T7_T9_mT8_S1G_bDpT10_ENKUlT_T0_E_clISt17integral_constantIbLb0EES1U_EEDaS1P_S1Q_EUlS1P_E_NS1_11comp_targetILNS1_3genE10ELNS1_11target_archE1200ELNS1_3gpuE4ELNS1_3repE0EEENS1_30default_config_static_selectorELNS0_4arch9wavefront6targetE0EEEvS12_.num_agpr, 0
	.set _ZN7rocprim17ROCPRIM_400000_NS6detail17trampoline_kernelINS0_13select_configILj256ELj13ELNS0_17block_load_methodE3ELS4_3ELS4_3ELNS0_20block_scan_algorithmE0ELj4294967295EEENS1_25partition_config_selectorILNS1_17partition_subalgoE4EjNS0_10empty_typeEbEEZZNS1_14partition_implILS8_4ELb0ES6_15HIP_vector_typeIjLj2EENS0_17counting_iteratorIjlEEPS9_SG_NS0_5tupleIJPjSI_NS0_16reverse_iteratorISI_EEEEENSH_IJSG_SG_SG_EEES9_SI_JZNS1_25segmented_radix_sort_implINS0_14default_configELb1EPKbPbPKlPlN2at6native12_GLOBAL__N_18offset_tEEE10hipError_tPvRmT1_PNSt15iterator_traitsIS12_E10value_typeET2_T3_PNS13_IS18_E10value_typeET4_jRbjT5_S1E_jjP12ihipStream_tbEUljE_ZNSN_ISO_Lb1ESQ_SR_ST_SU_SY_EESZ_S10_S11_S12_S16_S17_S18_S1B_S1C_jS1D_jS1E_S1E_jjS1G_bEUljE0_EEESZ_S10_S11_S18_S1C_S1E_T6_T7_T9_mT8_S1G_bDpT10_ENKUlT_T0_E_clISt17integral_constantIbLb0EES1U_EEDaS1P_S1Q_EUlS1P_E_NS1_11comp_targetILNS1_3genE10ELNS1_11target_archE1200ELNS1_3gpuE4ELNS1_3repE0EEENS1_30default_config_static_selectorELNS0_4arch9wavefront6targetE0EEEvS12_.numbered_sgpr, 0
	.set _ZN7rocprim17ROCPRIM_400000_NS6detail17trampoline_kernelINS0_13select_configILj256ELj13ELNS0_17block_load_methodE3ELS4_3ELS4_3ELNS0_20block_scan_algorithmE0ELj4294967295EEENS1_25partition_config_selectorILNS1_17partition_subalgoE4EjNS0_10empty_typeEbEEZZNS1_14partition_implILS8_4ELb0ES6_15HIP_vector_typeIjLj2EENS0_17counting_iteratorIjlEEPS9_SG_NS0_5tupleIJPjSI_NS0_16reverse_iteratorISI_EEEEENSH_IJSG_SG_SG_EEES9_SI_JZNS1_25segmented_radix_sort_implINS0_14default_configELb1EPKbPbPKlPlN2at6native12_GLOBAL__N_18offset_tEEE10hipError_tPvRmT1_PNSt15iterator_traitsIS12_E10value_typeET2_T3_PNS13_IS18_E10value_typeET4_jRbjT5_S1E_jjP12ihipStream_tbEUljE_ZNSN_ISO_Lb1ESQ_SR_ST_SU_SY_EESZ_S10_S11_S12_S16_S17_S18_S1B_S1C_jS1D_jS1E_S1E_jjS1G_bEUljE0_EEESZ_S10_S11_S18_S1C_S1E_T6_T7_T9_mT8_S1G_bDpT10_ENKUlT_T0_E_clISt17integral_constantIbLb0EES1U_EEDaS1P_S1Q_EUlS1P_E_NS1_11comp_targetILNS1_3genE10ELNS1_11target_archE1200ELNS1_3gpuE4ELNS1_3repE0EEENS1_30default_config_static_selectorELNS0_4arch9wavefront6targetE0EEEvS12_.num_named_barrier, 0
	.set _ZN7rocprim17ROCPRIM_400000_NS6detail17trampoline_kernelINS0_13select_configILj256ELj13ELNS0_17block_load_methodE3ELS4_3ELS4_3ELNS0_20block_scan_algorithmE0ELj4294967295EEENS1_25partition_config_selectorILNS1_17partition_subalgoE4EjNS0_10empty_typeEbEEZZNS1_14partition_implILS8_4ELb0ES6_15HIP_vector_typeIjLj2EENS0_17counting_iteratorIjlEEPS9_SG_NS0_5tupleIJPjSI_NS0_16reverse_iteratorISI_EEEEENSH_IJSG_SG_SG_EEES9_SI_JZNS1_25segmented_radix_sort_implINS0_14default_configELb1EPKbPbPKlPlN2at6native12_GLOBAL__N_18offset_tEEE10hipError_tPvRmT1_PNSt15iterator_traitsIS12_E10value_typeET2_T3_PNS13_IS18_E10value_typeET4_jRbjT5_S1E_jjP12ihipStream_tbEUljE_ZNSN_ISO_Lb1ESQ_SR_ST_SU_SY_EESZ_S10_S11_S12_S16_S17_S18_S1B_S1C_jS1D_jS1E_S1E_jjS1G_bEUljE0_EEESZ_S10_S11_S18_S1C_S1E_T6_T7_T9_mT8_S1G_bDpT10_ENKUlT_T0_E_clISt17integral_constantIbLb0EES1U_EEDaS1P_S1Q_EUlS1P_E_NS1_11comp_targetILNS1_3genE10ELNS1_11target_archE1200ELNS1_3gpuE4ELNS1_3repE0EEENS1_30default_config_static_selectorELNS0_4arch9wavefront6targetE0EEEvS12_.private_seg_size, 0
	.set _ZN7rocprim17ROCPRIM_400000_NS6detail17trampoline_kernelINS0_13select_configILj256ELj13ELNS0_17block_load_methodE3ELS4_3ELS4_3ELNS0_20block_scan_algorithmE0ELj4294967295EEENS1_25partition_config_selectorILNS1_17partition_subalgoE4EjNS0_10empty_typeEbEEZZNS1_14partition_implILS8_4ELb0ES6_15HIP_vector_typeIjLj2EENS0_17counting_iteratorIjlEEPS9_SG_NS0_5tupleIJPjSI_NS0_16reverse_iteratorISI_EEEEENSH_IJSG_SG_SG_EEES9_SI_JZNS1_25segmented_radix_sort_implINS0_14default_configELb1EPKbPbPKlPlN2at6native12_GLOBAL__N_18offset_tEEE10hipError_tPvRmT1_PNSt15iterator_traitsIS12_E10value_typeET2_T3_PNS13_IS18_E10value_typeET4_jRbjT5_S1E_jjP12ihipStream_tbEUljE_ZNSN_ISO_Lb1ESQ_SR_ST_SU_SY_EESZ_S10_S11_S12_S16_S17_S18_S1B_S1C_jS1D_jS1E_S1E_jjS1G_bEUljE0_EEESZ_S10_S11_S18_S1C_S1E_T6_T7_T9_mT8_S1G_bDpT10_ENKUlT_T0_E_clISt17integral_constantIbLb0EES1U_EEDaS1P_S1Q_EUlS1P_E_NS1_11comp_targetILNS1_3genE10ELNS1_11target_archE1200ELNS1_3gpuE4ELNS1_3repE0EEENS1_30default_config_static_selectorELNS0_4arch9wavefront6targetE0EEEvS12_.uses_vcc, 0
	.set _ZN7rocprim17ROCPRIM_400000_NS6detail17trampoline_kernelINS0_13select_configILj256ELj13ELNS0_17block_load_methodE3ELS4_3ELS4_3ELNS0_20block_scan_algorithmE0ELj4294967295EEENS1_25partition_config_selectorILNS1_17partition_subalgoE4EjNS0_10empty_typeEbEEZZNS1_14partition_implILS8_4ELb0ES6_15HIP_vector_typeIjLj2EENS0_17counting_iteratorIjlEEPS9_SG_NS0_5tupleIJPjSI_NS0_16reverse_iteratorISI_EEEEENSH_IJSG_SG_SG_EEES9_SI_JZNS1_25segmented_radix_sort_implINS0_14default_configELb1EPKbPbPKlPlN2at6native12_GLOBAL__N_18offset_tEEE10hipError_tPvRmT1_PNSt15iterator_traitsIS12_E10value_typeET2_T3_PNS13_IS18_E10value_typeET4_jRbjT5_S1E_jjP12ihipStream_tbEUljE_ZNSN_ISO_Lb1ESQ_SR_ST_SU_SY_EESZ_S10_S11_S12_S16_S17_S18_S1B_S1C_jS1D_jS1E_S1E_jjS1G_bEUljE0_EEESZ_S10_S11_S18_S1C_S1E_T6_T7_T9_mT8_S1G_bDpT10_ENKUlT_T0_E_clISt17integral_constantIbLb0EES1U_EEDaS1P_S1Q_EUlS1P_E_NS1_11comp_targetILNS1_3genE10ELNS1_11target_archE1200ELNS1_3gpuE4ELNS1_3repE0EEENS1_30default_config_static_selectorELNS0_4arch9wavefront6targetE0EEEvS12_.uses_flat_scratch, 0
	.set _ZN7rocprim17ROCPRIM_400000_NS6detail17trampoline_kernelINS0_13select_configILj256ELj13ELNS0_17block_load_methodE3ELS4_3ELS4_3ELNS0_20block_scan_algorithmE0ELj4294967295EEENS1_25partition_config_selectorILNS1_17partition_subalgoE4EjNS0_10empty_typeEbEEZZNS1_14partition_implILS8_4ELb0ES6_15HIP_vector_typeIjLj2EENS0_17counting_iteratorIjlEEPS9_SG_NS0_5tupleIJPjSI_NS0_16reverse_iteratorISI_EEEEENSH_IJSG_SG_SG_EEES9_SI_JZNS1_25segmented_radix_sort_implINS0_14default_configELb1EPKbPbPKlPlN2at6native12_GLOBAL__N_18offset_tEEE10hipError_tPvRmT1_PNSt15iterator_traitsIS12_E10value_typeET2_T3_PNS13_IS18_E10value_typeET4_jRbjT5_S1E_jjP12ihipStream_tbEUljE_ZNSN_ISO_Lb1ESQ_SR_ST_SU_SY_EESZ_S10_S11_S12_S16_S17_S18_S1B_S1C_jS1D_jS1E_S1E_jjS1G_bEUljE0_EEESZ_S10_S11_S18_S1C_S1E_T6_T7_T9_mT8_S1G_bDpT10_ENKUlT_T0_E_clISt17integral_constantIbLb0EES1U_EEDaS1P_S1Q_EUlS1P_E_NS1_11comp_targetILNS1_3genE10ELNS1_11target_archE1200ELNS1_3gpuE4ELNS1_3repE0EEENS1_30default_config_static_selectorELNS0_4arch9wavefront6targetE0EEEvS12_.has_dyn_sized_stack, 0
	.set _ZN7rocprim17ROCPRIM_400000_NS6detail17trampoline_kernelINS0_13select_configILj256ELj13ELNS0_17block_load_methodE3ELS4_3ELS4_3ELNS0_20block_scan_algorithmE0ELj4294967295EEENS1_25partition_config_selectorILNS1_17partition_subalgoE4EjNS0_10empty_typeEbEEZZNS1_14partition_implILS8_4ELb0ES6_15HIP_vector_typeIjLj2EENS0_17counting_iteratorIjlEEPS9_SG_NS0_5tupleIJPjSI_NS0_16reverse_iteratorISI_EEEEENSH_IJSG_SG_SG_EEES9_SI_JZNS1_25segmented_radix_sort_implINS0_14default_configELb1EPKbPbPKlPlN2at6native12_GLOBAL__N_18offset_tEEE10hipError_tPvRmT1_PNSt15iterator_traitsIS12_E10value_typeET2_T3_PNS13_IS18_E10value_typeET4_jRbjT5_S1E_jjP12ihipStream_tbEUljE_ZNSN_ISO_Lb1ESQ_SR_ST_SU_SY_EESZ_S10_S11_S12_S16_S17_S18_S1B_S1C_jS1D_jS1E_S1E_jjS1G_bEUljE0_EEESZ_S10_S11_S18_S1C_S1E_T6_T7_T9_mT8_S1G_bDpT10_ENKUlT_T0_E_clISt17integral_constantIbLb0EES1U_EEDaS1P_S1Q_EUlS1P_E_NS1_11comp_targetILNS1_3genE10ELNS1_11target_archE1200ELNS1_3gpuE4ELNS1_3repE0EEENS1_30default_config_static_selectorELNS0_4arch9wavefront6targetE0EEEvS12_.has_recursion, 0
	.set _ZN7rocprim17ROCPRIM_400000_NS6detail17trampoline_kernelINS0_13select_configILj256ELj13ELNS0_17block_load_methodE3ELS4_3ELS4_3ELNS0_20block_scan_algorithmE0ELj4294967295EEENS1_25partition_config_selectorILNS1_17partition_subalgoE4EjNS0_10empty_typeEbEEZZNS1_14partition_implILS8_4ELb0ES6_15HIP_vector_typeIjLj2EENS0_17counting_iteratorIjlEEPS9_SG_NS0_5tupleIJPjSI_NS0_16reverse_iteratorISI_EEEEENSH_IJSG_SG_SG_EEES9_SI_JZNS1_25segmented_radix_sort_implINS0_14default_configELb1EPKbPbPKlPlN2at6native12_GLOBAL__N_18offset_tEEE10hipError_tPvRmT1_PNSt15iterator_traitsIS12_E10value_typeET2_T3_PNS13_IS18_E10value_typeET4_jRbjT5_S1E_jjP12ihipStream_tbEUljE_ZNSN_ISO_Lb1ESQ_SR_ST_SU_SY_EESZ_S10_S11_S12_S16_S17_S18_S1B_S1C_jS1D_jS1E_S1E_jjS1G_bEUljE0_EEESZ_S10_S11_S18_S1C_S1E_T6_T7_T9_mT8_S1G_bDpT10_ENKUlT_T0_E_clISt17integral_constantIbLb0EES1U_EEDaS1P_S1Q_EUlS1P_E_NS1_11comp_targetILNS1_3genE10ELNS1_11target_archE1200ELNS1_3gpuE4ELNS1_3repE0EEENS1_30default_config_static_selectorELNS0_4arch9wavefront6targetE0EEEvS12_.has_indirect_call, 0
	.section	.AMDGPU.csdata,"",@progbits
; Kernel info:
; codeLenInByte = 0
; TotalNumSgprs: 0
; NumVgprs: 0
; ScratchSize: 0
; MemoryBound: 0
; FloatMode: 240
; IeeeMode: 1
; LDSByteSize: 0 bytes/workgroup (compile time only)
; SGPRBlocks: 0
; VGPRBlocks: 0
; NumSGPRsForWavesPerEU: 1
; NumVGPRsForWavesPerEU: 1
; NamedBarCnt: 0
; Occupancy: 16
; WaveLimiterHint : 0
; COMPUTE_PGM_RSRC2:SCRATCH_EN: 0
; COMPUTE_PGM_RSRC2:USER_SGPR: 2
; COMPUTE_PGM_RSRC2:TRAP_HANDLER: 0
; COMPUTE_PGM_RSRC2:TGID_X_EN: 1
; COMPUTE_PGM_RSRC2:TGID_Y_EN: 0
; COMPUTE_PGM_RSRC2:TGID_Z_EN: 0
; COMPUTE_PGM_RSRC2:TIDIG_COMP_CNT: 0
	.section	.text._ZN7rocprim17ROCPRIM_400000_NS6detail17trampoline_kernelINS0_13select_configILj256ELj13ELNS0_17block_load_methodE3ELS4_3ELS4_3ELNS0_20block_scan_algorithmE0ELj4294967295EEENS1_25partition_config_selectorILNS1_17partition_subalgoE4EjNS0_10empty_typeEbEEZZNS1_14partition_implILS8_4ELb0ES6_15HIP_vector_typeIjLj2EENS0_17counting_iteratorIjlEEPS9_SG_NS0_5tupleIJPjSI_NS0_16reverse_iteratorISI_EEEEENSH_IJSG_SG_SG_EEES9_SI_JZNS1_25segmented_radix_sort_implINS0_14default_configELb1EPKbPbPKlPlN2at6native12_GLOBAL__N_18offset_tEEE10hipError_tPvRmT1_PNSt15iterator_traitsIS12_E10value_typeET2_T3_PNS13_IS18_E10value_typeET4_jRbjT5_S1E_jjP12ihipStream_tbEUljE_ZNSN_ISO_Lb1ESQ_SR_ST_SU_SY_EESZ_S10_S11_S12_S16_S17_S18_S1B_S1C_jS1D_jS1E_S1E_jjS1G_bEUljE0_EEESZ_S10_S11_S18_S1C_S1E_T6_T7_T9_mT8_S1G_bDpT10_ENKUlT_T0_E_clISt17integral_constantIbLb0EES1U_EEDaS1P_S1Q_EUlS1P_E_NS1_11comp_targetILNS1_3genE9ELNS1_11target_archE1100ELNS1_3gpuE3ELNS1_3repE0EEENS1_30default_config_static_selectorELNS0_4arch9wavefront6targetE0EEEvS12_,"axG",@progbits,_ZN7rocprim17ROCPRIM_400000_NS6detail17trampoline_kernelINS0_13select_configILj256ELj13ELNS0_17block_load_methodE3ELS4_3ELS4_3ELNS0_20block_scan_algorithmE0ELj4294967295EEENS1_25partition_config_selectorILNS1_17partition_subalgoE4EjNS0_10empty_typeEbEEZZNS1_14partition_implILS8_4ELb0ES6_15HIP_vector_typeIjLj2EENS0_17counting_iteratorIjlEEPS9_SG_NS0_5tupleIJPjSI_NS0_16reverse_iteratorISI_EEEEENSH_IJSG_SG_SG_EEES9_SI_JZNS1_25segmented_radix_sort_implINS0_14default_configELb1EPKbPbPKlPlN2at6native12_GLOBAL__N_18offset_tEEE10hipError_tPvRmT1_PNSt15iterator_traitsIS12_E10value_typeET2_T3_PNS13_IS18_E10value_typeET4_jRbjT5_S1E_jjP12ihipStream_tbEUljE_ZNSN_ISO_Lb1ESQ_SR_ST_SU_SY_EESZ_S10_S11_S12_S16_S17_S18_S1B_S1C_jS1D_jS1E_S1E_jjS1G_bEUljE0_EEESZ_S10_S11_S18_S1C_S1E_T6_T7_T9_mT8_S1G_bDpT10_ENKUlT_T0_E_clISt17integral_constantIbLb0EES1U_EEDaS1P_S1Q_EUlS1P_E_NS1_11comp_targetILNS1_3genE9ELNS1_11target_archE1100ELNS1_3gpuE3ELNS1_3repE0EEENS1_30default_config_static_selectorELNS0_4arch9wavefront6targetE0EEEvS12_,comdat
	.globl	_ZN7rocprim17ROCPRIM_400000_NS6detail17trampoline_kernelINS0_13select_configILj256ELj13ELNS0_17block_load_methodE3ELS4_3ELS4_3ELNS0_20block_scan_algorithmE0ELj4294967295EEENS1_25partition_config_selectorILNS1_17partition_subalgoE4EjNS0_10empty_typeEbEEZZNS1_14partition_implILS8_4ELb0ES6_15HIP_vector_typeIjLj2EENS0_17counting_iteratorIjlEEPS9_SG_NS0_5tupleIJPjSI_NS0_16reverse_iteratorISI_EEEEENSH_IJSG_SG_SG_EEES9_SI_JZNS1_25segmented_radix_sort_implINS0_14default_configELb1EPKbPbPKlPlN2at6native12_GLOBAL__N_18offset_tEEE10hipError_tPvRmT1_PNSt15iterator_traitsIS12_E10value_typeET2_T3_PNS13_IS18_E10value_typeET4_jRbjT5_S1E_jjP12ihipStream_tbEUljE_ZNSN_ISO_Lb1ESQ_SR_ST_SU_SY_EESZ_S10_S11_S12_S16_S17_S18_S1B_S1C_jS1D_jS1E_S1E_jjS1G_bEUljE0_EEESZ_S10_S11_S18_S1C_S1E_T6_T7_T9_mT8_S1G_bDpT10_ENKUlT_T0_E_clISt17integral_constantIbLb0EES1U_EEDaS1P_S1Q_EUlS1P_E_NS1_11comp_targetILNS1_3genE9ELNS1_11target_archE1100ELNS1_3gpuE3ELNS1_3repE0EEENS1_30default_config_static_selectorELNS0_4arch9wavefront6targetE0EEEvS12_ ; -- Begin function _ZN7rocprim17ROCPRIM_400000_NS6detail17trampoline_kernelINS0_13select_configILj256ELj13ELNS0_17block_load_methodE3ELS4_3ELS4_3ELNS0_20block_scan_algorithmE0ELj4294967295EEENS1_25partition_config_selectorILNS1_17partition_subalgoE4EjNS0_10empty_typeEbEEZZNS1_14partition_implILS8_4ELb0ES6_15HIP_vector_typeIjLj2EENS0_17counting_iteratorIjlEEPS9_SG_NS0_5tupleIJPjSI_NS0_16reverse_iteratorISI_EEEEENSH_IJSG_SG_SG_EEES9_SI_JZNS1_25segmented_radix_sort_implINS0_14default_configELb1EPKbPbPKlPlN2at6native12_GLOBAL__N_18offset_tEEE10hipError_tPvRmT1_PNSt15iterator_traitsIS12_E10value_typeET2_T3_PNS13_IS18_E10value_typeET4_jRbjT5_S1E_jjP12ihipStream_tbEUljE_ZNSN_ISO_Lb1ESQ_SR_ST_SU_SY_EESZ_S10_S11_S12_S16_S17_S18_S1B_S1C_jS1D_jS1E_S1E_jjS1G_bEUljE0_EEESZ_S10_S11_S18_S1C_S1E_T6_T7_T9_mT8_S1G_bDpT10_ENKUlT_T0_E_clISt17integral_constantIbLb0EES1U_EEDaS1P_S1Q_EUlS1P_E_NS1_11comp_targetILNS1_3genE9ELNS1_11target_archE1100ELNS1_3gpuE3ELNS1_3repE0EEENS1_30default_config_static_selectorELNS0_4arch9wavefront6targetE0EEEvS12_
	.p2align	8
	.type	_ZN7rocprim17ROCPRIM_400000_NS6detail17trampoline_kernelINS0_13select_configILj256ELj13ELNS0_17block_load_methodE3ELS4_3ELS4_3ELNS0_20block_scan_algorithmE0ELj4294967295EEENS1_25partition_config_selectorILNS1_17partition_subalgoE4EjNS0_10empty_typeEbEEZZNS1_14partition_implILS8_4ELb0ES6_15HIP_vector_typeIjLj2EENS0_17counting_iteratorIjlEEPS9_SG_NS0_5tupleIJPjSI_NS0_16reverse_iteratorISI_EEEEENSH_IJSG_SG_SG_EEES9_SI_JZNS1_25segmented_radix_sort_implINS0_14default_configELb1EPKbPbPKlPlN2at6native12_GLOBAL__N_18offset_tEEE10hipError_tPvRmT1_PNSt15iterator_traitsIS12_E10value_typeET2_T3_PNS13_IS18_E10value_typeET4_jRbjT5_S1E_jjP12ihipStream_tbEUljE_ZNSN_ISO_Lb1ESQ_SR_ST_SU_SY_EESZ_S10_S11_S12_S16_S17_S18_S1B_S1C_jS1D_jS1E_S1E_jjS1G_bEUljE0_EEESZ_S10_S11_S18_S1C_S1E_T6_T7_T9_mT8_S1G_bDpT10_ENKUlT_T0_E_clISt17integral_constantIbLb0EES1U_EEDaS1P_S1Q_EUlS1P_E_NS1_11comp_targetILNS1_3genE9ELNS1_11target_archE1100ELNS1_3gpuE3ELNS1_3repE0EEENS1_30default_config_static_selectorELNS0_4arch9wavefront6targetE0EEEvS12_,@function
_ZN7rocprim17ROCPRIM_400000_NS6detail17trampoline_kernelINS0_13select_configILj256ELj13ELNS0_17block_load_methodE3ELS4_3ELS4_3ELNS0_20block_scan_algorithmE0ELj4294967295EEENS1_25partition_config_selectorILNS1_17partition_subalgoE4EjNS0_10empty_typeEbEEZZNS1_14partition_implILS8_4ELb0ES6_15HIP_vector_typeIjLj2EENS0_17counting_iteratorIjlEEPS9_SG_NS0_5tupleIJPjSI_NS0_16reverse_iteratorISI_EEEEENSH_IJSG_SG_SG_EEES9_SI_JZNS1_25segmented_radix_sort_implINS0_14default_configELb1EPKbPbPKlPlN2at6native12_GLOBAL__N_18offset_tEEE10hipError_tPvRmT1_PNSt15iterator_traitsIS12_E10value_typeET2_T3_PNS13_IS18_E10value_typeET4_jRbjT5_S1E_jjP12ihipStream_tbEUljE_ZNSN_ISO_Lb1ESQ_SR_ST_SU_SY_EESZ_S10_S11_S12_S16_S17_S18_S1B_S1C_jS1D_jS1E_S1E_jjS1G_bEUljE0_EEESZ_S10_S11_S18_S1C_S1E_T6_T7_T9_mT8_S1G_bDpT10_ENKUlT_T0_E_clISt17integral_constantIbLb0EES1U_EEDaS1P_S1Q_EUlS1P_E_NS1_11comp_targetILNS1_3genE9ELNS1_11target_archE1100ELNS1_3gpuE3ELNS1_3repE0EEENS1_30default_config_static_selectorELNS0_4arch9wavefront6targetE0EEEvS12_: ; @_ZN7rocprim17ROCPRIM_400000_NS6detail17trampoline_kernelINS0_13select_configILj256ELj13ELNS0_17block_load_methodE3ELS4_3ELS4_3ELNS0_20block_scan_algorithmE0ELj4294967295EEENS1_25partition_config_selectorILNS1_17partition_subalgoE4EjNS0_10empty_typeEbEEZZNS1_14partition_implILS8_4ELb0ES6_15HIP_vector_typeIjLj2EENS0_17counting_iteratorIjlEEPS9_SG_NS0_5tupleIJPjSI_NS0_16reverse_iteratorISI_EEEEENSH_IJSG_SG_SG_EEES9_SI_JZNS1_25segmented_radix_sort_implINS0_14default_configELb1EPKbPbPKlPlN2at6native12_GLOBAL__N_18offset_tEEE10hipError_tPvRmT1_PNSt15iterator_traitsIS12_E10value_typeET2_T3_PNS13_IS18_E10value_typeET4_jRbjT5_S1E_jjP12ihipStream_tbEUljE_ZNSN_ISO_Lb1ESQ_SR_ST_SU_SY_EESZ_S10_S11_S12_S16_S17_S18_S1B_S1C_jS1D_jS1E_S1E_jjS1G_bEUljE0_EEESZ_S10_S11_S18_S1C_S1E_T6_T7_T9_mT8_S1G_bDpT10_ENKUlT_T0_E_clISt17integral_constantIbLb0EES1U_EEDaS1P_S1Q_EUlS1P_E_NS1_11comp_targetILNS1_3genE9ELNS1_11target_archE1100ELNS1_3gpuE3ELNS1_3repE0EEENS1_30default_config_static_selectorELNS0_4arch9wavefront6targetE0EEEvS12_
; %bb.0:
	.section	.rodata,"a",@progbits
	.p2align	6, 0x0
	.amdhsa_kernel _ZN7rocprim17ROCPRIM_400000_NS6detail17trampoline_kernelINS0_13select_configILj256ELj13ELNS0_17block_load_methodE3ELS4_3ELS4_3ELNS0_20block_scan_algorithmE0ELj4294967295EEENS1_25partition_config_selectorILNS1_17partition_subalgoE4EjNS0_10empty_typeEbEEZZNS1_14partition_implILS8_4ELb0ES6_15HIP_vector_typeIjLj2EENS0_17counting_iteratorIjlEEPS9_SG_NS0_5tupleIJPjSI_NS0_16reverse_iteratorISI_EEEEENSH_IJSG_SG_SG_EEES9_SI_JZNS1_25segmented_radix_sort_implINS0_14default_configELb1EPKbPbPKlPlN2at6native12_GLOBAL__N_18offset_tEEE10hipError_tPvRmT1_PNSt15iterator_traitsIS12_E10value_typeET2_T3_PNS13_IS18_E10value_typeET4_jRbjT5_S1E_jjP12ihipStream_tbEUljE_ZNSN_ISO_Lb1ESQ_SR_ST_SU_SY_EESZ_S10_S11_S12_S16_S17_S18_S1B_S1C_jS1D_jS1E_S1E_jjS1G_bEUljE0_EEESZ_S10_S11_S18_S1C_S1E_T6_T7_T9_mT8_S1G_bDpT10_ENKUlT_T0_E_clISt17integral_constantIbLb0EES1U_EEDaS1P_S1Q_EUlS1P_E_NS1_11comp_targetILNS1_3genE9ELNS1_11target_archE1100ELNS1_3gpuE3ELNS1_3repE0EEENS1_30default_config_static_selectorELNS0_4arch9wavefront6targetE0EEEvS12_
		.amdhsa_group_segment_fixed_size 0
		.amdhsa_private_segment_fixed_size 0
		.amdhsa_kernarg_size 176
		.amdhsa_user_sgpr_count 2
		.amdhsa_user_sgpr_dispatch_ptr 0
		.amdhsa_user_sgpr_queue_ptr 0
		.amdhsa_user_sgpr_kernarg_segment_ptr 1
		.amdhsa_user_sgpr_dispatch_id 0
		.amdhsa_user_sgpr_kernarg_preload_length 0
		.amdhsa_user_sgpr_kernarg_preload_offset 0
		.amdhsa_user_sgpr_private_segment_size 0
		.amdhsa_wavefront_size32 1
		.amdhsa_uses_dynamic_stack 0
		.amdhsa_enable_private_segment 0
		.amdhsa_system_sgpr_workgroup_id_x 1
		.amdhsa_system_sgpr_workgroup_id_y 0
		.amdhsa_system_sgpr_workgroup_id_z 0
		.amdhsa_system_sgpr_workgroup_info 0
		.amdhsa_system_vgpr_workitem_id 0
		.amdhsa_next_free_vgpr 1
		.amdhsa_next_free_sgpr 1
		.amdhsa_named_barrier_count 0
		.amdhsa_reserve_vcc 0
		.amdhsa_float_round_mode_32 0
		.amdhsa_float_round_mode_16_64 0
		.amdhsa_float_denorm_mode_32 3
		.amdhsa_float_denorm_mode_16_64 3
		.amdhsa_fp16_overflow 0
		.amdhsa_memory_ordered 1
		.amdhsa_forward_progress 1
		.amdhsa_inst_pref_size 0
		.amdhsa_round_robin_scheduling 0
		.amdhsa_exception_fp_ieee_invalid_op 0
		.amdhsa_exception_fp_denorm_src 0
		.amdhsa_exception_fp_ieee_div_zero 0
		.amdhsa_exception_fp_ieee_overflow 0
		.amdhsa_exception_fp_ieee_underflow 0
		.amdhsa_exception_fp_ieee_inexact 0
		.amdhsa_exception_int_div_zero 0
	.end_amdhsa_kernel
	.section	.text._ZN7rocprim17ROCPRIM_400000_NS6detail17trampoline_kernelINS0_13select_configILj256ELj13ELNS0_17block_load_methodE3ELS4_3ELS4_3ELNS0_20block_scan_algorithmE0ELj4294967295EEENS1_25partition_config_selectorILNS1_17partition_subalgoE4EjNS0_10empty_typeEbEEZZNS1_14partition_implILS8_4ELb0ES6_15HIP_vector_typeIjLj2EENS0_17counting_iteratorIjlEEPS9_SG_NS0_5tupleIJPjSI_NS0_16reverse_iteratorISI_EEEEENSH_IJSG_SG_SG_EEES9_SI_JZNS1_25segmented_radix_sort_implINS0_14default_configELb1EPKbPbPKlPlN2at6native12_GLOBAL__N_18offset_tEEE10hipError_tPvRmT1_PNSt15iterator_traitsIS12_E10value_typeET2_T3_PNS13_IS18_E10value_typeET4_jRbjT5_S1E_jjP12ihipStream_tbEUljE_ZNSN_ISO_Lb1ESQ_SR_ST_SU_SY_EESZ_S10_S11_S12_S16_S17_S18_S1B_S1C_jS1D_jS1E_S1E_jjS1G_bEUljE0_EEESZ_S10_S11_S18_S1C_S1E_T6_T7_T9_mT8_S1G_bDpT10_ENKUlT_T0_E_clISt17integral_constantIbLb0EES1U_EEDaS1P_S1Q_EUlS1P_E_NS1_11comp_targetILNS1_3genE9ELNS1_11target_archE1100ELNS1_3gpuE3ELNS1_3repE0EEENS1_30default_config_static_selectorELNS0_4arch9wavefront6targetE0EEEvS12_,"axG",@progbits,_ZN7rocprim17ROCPRIM_400000_NS6detail17trampoline_kernelINS0_13select_configILj256ELj13ELNS0_17block_load_methodE3ELS4_3ELS4_3ELNS0_20block_scan_algorithmE0ELj4294967295EEENS1_25partition_config_selectorILNS1_17partition_subalgoE4EjNS0_10empty_typeEbEEZZNS1_14partition_implILS8_4ELb0ES6_15HIP_vector_typeIjLj2EENS0_17counting_iteratorIjlEEPS9_SG_NS0_5tupleIJPjSI_NS0_16reverse_iteratorISI_EEEEENSH_IJSG_SG_SG_EEES9_SI_JZNS1_25segmented_radix_sort_implINS0_14default_configELb1EPKbPbPKlPlN2at6native12_GLOBAL__N_18offset_tEEE10hipError_tPvRmT1_PNSt15iterator_traitsIS12_E10value_typeET2_T3_PNS13_IS18_E10value_typeET4_jRbjT5_S1E_jjP12ihipStream_tbEUljE_ZNSN_ISO_Lb1ESQ_SR_ST_SU_SY_EESZ_S10_S11_S12_S16_S17_S18_S1B_S1C_jS1D_jS1E_S1E_jjS1G_bEUljE0_EEESZ_S10_S11_S18_S1C_S1E_T6_T7_T9_mT8_S1G_bDpT10_ENKUlT_T0_E_clISt17integral_constantIbLb0EES1U_EEDaS1P_S1Q_EUlS1P_E_NS1_11comp_targetILNS1_3genE9ELNS1_11target_archE1100ELNS1_3gpuE3ELNS1_3repE0EEENS1_30default_config_static_selectorELNS0_4arch9wavefront6targetE0EEEvS12_,comdat
.Lfunc_end1466:
	.size	_ZN7rocprim17ROCPRIM_400000_NS6detail17trampoline_kernelINS0_13select_configILj256ELj13ELNS0_17block_load_methodE3ELS4_3ELS4_3ELNS0_20block_scan_algorithmE0ELj4294967295EEENS1_25partition_config_selectorILNS1_17partition_subalgoE4EjNS0_10empty_typeEbEEZZNS1_14partition_implILS8_4ELb0ES6_15HIP_vector_typeIjLj2EENS0_17counting_iteratorIjlEEPS9_SG_NS0_5tupleIJPjSI_NS0_16reverse_iteratorISI_EEEEENSH_IJSG_SG_SG_EEES9_SI_JZNS1_25segmented_radix_sort_implINS0_14default_configELb1EPKbPbPKlPlN2at6native12_GLOBAL__N_18offset_tEEE10hipError_tPvRmT1_PNSt15iterator_traitsIS12_E10value_typeET2_T3_PNS13_IS18_E10value_typeET4_jRbjT5_S1E_jjP12ihipStream_tbEUljE_ZNSN_ISO_Lb1ESQ_SR_ST_SU_SY_EESZ_S10_S11_S12_S16_S17_S18_S1B_S1C_jS1D_jS1E_S1E_jjS1G_bEUljE0_EEESZ_S10_S11_S18_S1C_S1E_T6_T7_T9_mT8_S1G_bDpT10_ENKUlT_T0_E_clISt17integral_constantIbLb0EES1U_EEDaS1P_S1Q_EUlS1P_E_NS1_11comp_targetILNS1_3genE9ELNS1_11target_archE1100ELNS1_3gpuE3ELNS1_3repE0EEENS1_30default_config_static_selectorELNS0_4arch9wavefront6targetE0EEEvS12_, .Lfunc_end1466-_ZN7rocprim17ROCPRIM_400000_NS6detail17trampoline_kernelINS0_13select_configILj256ELj13ELNS0_17block_load_methodE3ELS4_3ELS4_3ELNS0_20block_scan_algorithmE0ELj4294967295EEENS1_25partition_config_selectorILNS1_17partition_subalgoE4EjNS0_10empty_typeEbEEZZNS1_14partition_implILS8_4ELb0ES6_15HIP_vector_typeIjLj2EENS0_17counting_iteratorIjlEEPS9_SG_NS0_5tupleIJPjSI_NS0_16reverse_iteratorISI_EEEEENSH_IJSG_SG_SG_EEES9_SI_JZNS1_25segmented_radix_sort_implINS0_14default_configELb1EPKbPbPKlPlN2at6native12_GLOBAL__N_18offset_tEEE10hipError_tPvRmT1_PNSt15iterator_traitsIS12_E10value_typeET2_T3_PNS13_IS18_E10value_typeET4_jRbjT5_S1E_jjP12ihipStream_tbEUljE_ZNSN_ISO_Lb1ESQ_SR_ST_SU_SY_EESZ_S10_S11_S12_S16_S17_S18_S1B_S1C_jS1D_jS1E_S1E_jjS1G_bEUljE0_EEESZ_S10_S11_S18_S1C_S1E_T6_T7_T9_mT8_S1G_bDpT10_ENKUlT_T0_E_clISt17integral_constantIbLb0EES1U_EEDaS1P_S1Q_EUlS1P_E_NS1_11comp_targetILNS1_3genE9ELNS1_11target_archE1100ELNS1_3gpuE3ELNS1_3repE0EEENS1_30default_config_static_selectorELNS0_4arch9wavefront6targetE0EEEvS12_
                                        ; -- End function
	.set _ZN7rocprim17ROCPRIM_400000_NS6detail17trampoline_kernelINS0_13select_configILj256ELj13ELNS0_17block_load_methodE3ELS4_3ELS4_3ELNS0_20block_scan_algorithmE0ELj4294967295EEENS1_25partition_config_selectorILNS1_17partition_subalgoE4EjNS0_10empty_typeEbEEZZNS1_14partition_implILS8_4ELb0ES6_15HIP_vector_typeIjLj2EENS0_17counting_iteratorIjlEEPS9_SG_NS0_5tupleIJPjSI_NS0_16reverse_iteratorISI_EEEEENSH_IJSG_SG_SG_EEES9_SI_JZNS1_25segmented_radix_sort_implINS0_14default_configELb1EPKbPbPKlPlN2at6native12_GLOBAL__N_18offset_tEEE10hipError_tPvRmT1_PNSt15iterator_traitsIS12_E10value_typeET2_T3_PNS13_IS18_E10value_typeET4_jRbjT5_S1E_jjP12ihipStream_tbEUljE_ZNSN_ISO_Lb1ESQ_SR_ST_SU_SY_EESZ_S10_S11_S12_S16_S17_S18_S1B_S1C_jS1D_jS1E_S1E_jjS1G_bEUljE0_EEESZ_S10_S11_S18_S1C_S1E_T6_T7_T9_mT8_S1G_bDpT10_ENKUlT_T0_E_clISt17integral_constantIbLb0EES1U_EEDaS1P_S1Q_EUlS1P_E_NS1_11comp_targetILNS1_3genE9ELNS1_11target_archE1100ELNS1_3gpuE3ELNS1_3repE0EEENS1_30default_config_static_selectorELNS0_4arch9wavefront6targetE0EEEvS12_.num_vgpr, 0
	.set _ZN7rocprim17ROCPRIM_400000_NS6detail17trampoline_kernelINS0_13select_configILj256ELj13ELNS0_17block_load_methodE3ELS4_3ELS4_3ELNS0_20block_scan_algorithmE0ELj4294967295EEENS1_25partition_config_selectorILNS1_17partition_subalgoE4EjNS0_10empty_typeEbEEZZNS1_14partition_implILS8_4ELb0ES6_15HIP_vector_typeIjLj2EENS0_17counting_iteratorIjlEEPS9_SG_NS0_5tupleIJPjSI_NS0_16reverse_iteratorISI_EEEEENSH_IJSG_SG_SG_EEES9_SI_JZNS1_25segmented_radix_sort_implINS0_14default_configELb1EPKbPbPKlPlN2at6native12_GLOBAL__N_18offset_tEEE10hipError_tPvRmT1_PNSt15iterator_traitsIS12_E10value_typeET2_T3_PNS13_IS18_E10value_typeET4_jRbjT5_S1E_jjP12ihipStream_tbEUljE_ZNSN_ISO_Lb1ESQ_SR_ST_SU_SY_EESZ_S10_S11_S12_S16_S17_S18_S1B_S1C_jS1D_jS1E_S1E_jjS1G_bEUljE0_EEESZ_S10_S11_S18_S1C_S1E_T6_T7_T9_mT8_S1G_bDpT10_ENKUlT_T0_E_clISt17integral_constantIbLb0EES1U_EEDaS1P_S1Q_EUlS1P_E_NS1_11comp_targetILNS1_3genE9ELNS1_11target_archE1100ELNS1_3gpuE3ELNS1_3repE0EEENS1_30default_config_static_selectorELNS0_4arch9wavefront6targetE0EEEvS12_.num_agpr, 0
	.set _ZN7rocprim17ROCPRIM_400000_NS6detail17trampoline_kernelINS0_13select_configILj256ELj13ELNS0_17block_load_methodE3ELS4_3ELS4_3ELNS0_20block_scan_algorithmE0ELj4294967295EEENS1_25partition_config_selectorILNS1_17partition_subalgoE4EjNS0_10empty_typeEbEEZZNS1_14partition_implILS8_4ELb0ES6_15HIP_vector_typeIjLj2EENS0_17counting_iteratorIjlEEPS9_SG_NS0_5tupleIJPjSI_NS0_16reverse_iteratorISI_EEEEENSH_IJSG_SG_SG_EEES9_SI_JZNS1_25segmented_radix_sort_implINS0_14default_configELb1EPKbPbPKlPlN2at6native12_GLOBAL__N_18offset_tEEE10hipError_tPvRmT1_PNSt15iterator_traitsIS12_E10value_typeET2_T3_PNS13_IS18_E10value_typeET4_jRbjT5_S1E_jjP12ihipStream_tbEUljE_ZNSN_ISO_Lb1ESQ_SR_ST_SU_SY_EESZ_S10_S11_S12_S16_S17_S18_S1B_S1C_jS1D_jS1E_S1E_jjS1G_bEUljE0_EEESZ_S10_S11_S18_S1C_S1E_T6_T7_T9_mT8_S1G_bDpT10_ENKUlT_T0_E_clISt17integral_constantIbLb0EES1U_EEDaS1P_S1Q_EUlS1P_E_NS1_11comp_targetILNS1_3genE9ELNS1_11target_archE1100ELNS1_3gpuE3ELNS1_3repE0EEENS1_30default_config_static_selectorELNS0_4arch9wavefront6targetE0EEEvS12_.numbered_sgpr, 0
	.set _ZN7rocprim17ROCPRIM_400000_NS6detail17trampoline_kernelINS0_13select_configILj256ELj13ELNS0_17block_load_methodE3ELS4_3ELS4_3ELNS0_20block_scan_algorithmE0ELj4294967295EEENS1_25partition_config_selectorILNS1_17partition_subalgoE4EjNS0_10empty_typeEbEEZZNS1_14partition_implILS8_4ELb0ES6_15HIP_vector_typeIjLj2EENS0_17counting_iteratorIjlEEPS9_SG_NS0_5tupleIJPjSI_NS0_16reverse_iteratorISI_EEEEENSH_IJSG_SG_SG_EEES9_SI_JZNS1_25segmented_radix_sort_implINS0_14default_configELb1EPKbPbPKlPlN2at6native12_GLOBAL__N_18offset_tEEE10hipError_tPvRmT1_PNSt15iterator_traitsIS12_E10value_typeET2_T3_PNS13_IS18_E10value_typeET4_jRbjT5_S1E_jjP12ihipStream_tbEUljE_ZNSN_ISO_Lb1ESQ_SR_ST_SU_SY_EESZ_S10_S11_S12_S16_S17_S18_S1B_S1C_jS1D_jS1E_S1E_jjS1G_bEUljE0_EEESZ_S10_S11_S18_S1C_S1E_T6_T7_T9_mT8_S1G_bDpT10_ENKUlT_T0_E_clISt17integral_constantIbLb0EES1U_EEDaS1P_S1Q_EUlS1P_E_NS1_11comp_targetILNS1_3genE9ELNS1_11target_archE1100ELNS1_3gpuE3ELNS1_3repE0EEENS1_30default_config_static_selectorELNS0_4arch9wavefront6targetE0EEEvS12_.num_named_barrier, 0
	.set _ZN7rocprim17ROCPRIM_400000_NS6detail17trampoline_kernelINS0_13select_configILj256ELj13ELNS0_17block_load_methodE3ELS4_3ELS4_3ELNS0_20block_scan_algorithmE0ELj4294967295EEENS1_25partition_config_selectorILNS1_17partition_subalgoE4EjNS0_10empty_typeEbEEZZNS1_14partition_implILS8_4ELb0ES6_15HIP_vector_typeIjLj2EENS0_17counting_iteratorIjlEEPS9_SG_NS0_5tupleIJPjSI_NS0_16reverse_iteratorISI_EEEEENSH_IJSG_SG_SG_EEES9_SI_JZNS1_25segmented_radix_sort_implINS0_14default_configELb1EPKbPbPKlPlN2at6native12_GLOBAL__N_18offset_tEEE10hipError_tPvRmT1_PNSt15iterator_traitsIS12_E10value_typeET2_T3_PNS13_IS18_E10value_typeET4_jRbjT5_S1E_jjP12ihipStream_tbEUljE_ZNSN_ISO_Lb1ESQ_SR_ST_SU_SY_EESZ_S10_S11_S12_S16_S17_S18_S1B_S1C_jS1D_jS1E_S1E_jjS1G_bEUljE0_EEESZ_S10_S11_S18_S1C_S1E_T6_T7_T9_mT8_S1G_bDpT10_ENKUlT_T0_E_clISt17integral_constantIbLb0EES1U_EEDaS1P_S1Q_EUlS1P_E_NS1_11comp_targetILNS1_3genE9ELNS1_11target_archE1100ELNS1_3gpuE3ELNS1_3repE0EEENS1_30default_config_static_selectorELNS0_4arch9wavefront6targetE0EEEvS12_.private_seg_size, 0
	.set _ZN7rocprim17ROCPRIM_400000_NS6detail17trampoline_kernelINS0_13select_configILj256ELj13ELNS0_17block_load_methodE3ELS4_3ELS4_3ELNS0_20block_scan_algorithmE0ELj4294967295EEENS1_25partition_config_selectorILNS1_17partition_subalgoE4EjNS0_10empty_typeEbEEZZNS1_14partition_implILS8_4ELb0ES6_15HIP_vector_typeIjLj2EENS0_17counting_iteratorIjlEEPS9_SG_NS0_5tupleIJPjSI_NS0_16reverse_iteratorISI_EEEEENSH_IJSG_SG_SG_EEES9_SI_JZNS1_25segmented_radix_sort_implINS0_14default_configELb1EPKbPbPKlPlN2at6native12_GLOBAL__N_18offset_tEEE10hipError_tPvRmT1_PNSt15iterator_traitsIS12_E10value_typeET2_T3_PNS13_IS18_E10value_typeET4_jRbjT5_S1E_jjP12ihipStream_tbEUljE_ZNSN_ISO_Lb1ESQ_SR_ST_SU_SY_EESZ_S10_S11_S12_S16_S17_S18_S1B_S1C_jS1D_jS1E_S1E_jjS1G_bEUljE0_EEESZ_S10_S11_S18_S1C_S1E_T6_T7_T9_mT8_S1G_bDpT10_ENKUlT_T0_E_clISt17integral_constantIbLb0EES1U_EEDaS1P_S1Q_EUlS1P_E_NS1_11comp_targetILNS1_3genE9ELNS1_11target_archE1100ELNS1_3gpuE3ELNS1_3repE0EEENS1_30default_config_static_selectorELNS0_4arch9wavefront6targetE0EEEvS12_.uses_vcc, 0
	.set _ZN7rocprim17ROCPRIM_400000_NS6detail17trampoline_kernelINS0_13select_configILj256ELj13ELNS0_17block_load_methodE3ELS4_3ELS4_3ELNS0_20block_scan_algorithmE0ELj4294967295EEENS1_25partition_config_selectorILNS1_17partition_subalgoE4EjNS0_10empty_typeEbEEZZNS1_14partition_implILS8_4ELb0ES6_15HIP_vector_typeIjLj2EENS0_17counting_iteratorIjlEEPS9_SG_NS0_5tupleIJPjSI_NS0_16reverse_iteratorISI_EEEEENSH_IJSG_SG_SG_EEES9_SI_JZNS1_25segmented_radix_sort_implINS0_14default_configELb1EPKbPbPKlPlN2at6native12_GLOBAL__N_18offset_tEEE10hipError_tPvRmT1_PNSt15iterator_traitsIS12_E10value_typeET2_T3_PNS13_IS18_E10value_typeET4_jRbjT5_S1E_jjP12ihipStream_tbEUljE_ZNSN_ISO_Lb1ESQ_SR_ST_SU_SY_EESZ_S10_S11_S12_S16_S17_S18_S1B_S1C_jS1D_jS1E_S1E_jjS1G_bEUljE0_EEESZ_S10_S11_S18_S1C_S1E_T6_T7_T9_mT8_S1G_bDpT10_ENKUlT_T0_E_clISt17integral_constantIbLb0EES1U_EEDaS1P_S1Q_EUlS1P_E_NS1_11comp_targetILNS1_3genE9ELNS1_11target_archE1100ELNS1_3gpuE3ELNS1_3repE0EEENS1_30default_config_static_selectorELNS0_4arch9wavefront6targetE0EEEvS12_.uses_flat_scratch, 0
	.set _ZN7rocprim17ROCPRIM_400000_NS6detail17trampoline_kernelINS0_13select_configILj256ELj13ELNS0_17block_load_methodE3ELS4_3ELS4_3ELNS0_20block_scan_algorithmE0ELj4294967295EEENS1_25partition_config_selectorILNS1_17partition_subalgoE4EjNS0_10empty_typeEbEEZZNS1_14partition_implILS8_4ELb0ES6_15HIP_vector_typeIjLj2EENS0_17counting_iteratorIjlEEPS9_SG_NS0_5tupleIJPjSI_NS0_16reverse_iteratorISI_EEEEENSH_IJSG_SG_SG_EEES9_SI_JZNS1_25segmented_radix_sort_implINS0_14default_configELb1EPKbPbPKlPlN2at6native12_GLOBAL__N_18offset_tEEE10hipError_tPvRmT1_PNSt15iterator_traitsIS12_E10value_typeET2_T3_PNS13_IS18_E10value_typeET4_jRbjT5_S1E_jjP12ihipStream_tbEUljE_ZNSN_ISO_Lb1ESQ_SR_ST_SU_SY_EESZ_S10_S11_S12_S16_S17_S18_S1B_S1C_jS1D_jS1E_S1E_jjS1G_bEUljE0_EEESZ_S10_S11_S18_S1C_S1E_T6_T7_T9_mT8_S1G_bDpT10_ENKUlT_T0_E_clISt17integral_constantIbLb0EES1U_EEDaS1P_S1Q_EUlS1P_E_NS1_11comp_targetILNS1_3genE9ELNS1_11target_archE1100ELNS1_3gpuE3ELNS1_3repE0EEENS1_30default_config_static_selectorELNS0_4arch9wavefront6targetE0EEEvS12_.has_dyn_sized_stack, 0
	.set _ZN7rocprim17ROCPRIM_400000_NS6detail17trampoline_kernelINS0_13select_configILj256ELj13ELNS0_17block_load_methodE3ELS4_3ELS4_3ELNS0_20block_scan_algorithmE0ELj4294967295EEENS1_25partition_config_selectorILNS1_17partition_subalgoE4EjNS0_10empty_typeEbEEZZNS1_14partition_implILS8_4ELb0ES6_15HIP_vector_typeIjLj2EENS0_17counting_iteratorIjlEEPS9_SG_NS0_5tupleIJPjSI_NS0_16reverse_iteratorISI_EEEEENSH_IJSG_SG_SG_EEES9_SI_JZNS1_25segmented_radix_sort_implINS0_14default_configELb1EPKbPbPKlPlN2at6native12_GLOBAL__N_18offset_tEEE10hipError_tPvRmT1_PNSt15iterator_traitsIS12_E10value_typeET2_T3_PNS13_IS18_E10value_typeET4_jRbjT5_S1E_jjP12ihipStream_tbEUljE_ZNSN_ISO_Lb1ESQ_SR_ST_SU_SY_EESZ_S10_S11_S12_S16_S17_S18_S1B_S1C_jS1D_jS1E_S1E_jjS1G_bEUljE0_EEESZ_S10_S11_S18_S1C_S1E_T6_T7_T9_mT8_S1G_bDpT10_ENKUlT_T0_E_clISt17integral_constantIbLb0EES1U_EEDaS1P_S1Q_EUlS1P_E_NS1_11comp_targetILNS1_3genE9ELNS1_11target_archE1100ELNS1_3gpuE3ELNS1_3repE0EEENS1_30default_config_static_selectorELNS0_4arch9wavefront6targetE0EEEvS12_.has_recursion, 0
	.set _ZN7rocprim17ROCPRIM_400000_NS6detail17trampoline_kernelINS0_13select_configILj256ELj13ELNS0_17block_load_methodE3ELS4_3ELS4_3ELNS0_20block_scan_algorithmE0ELj4294967295EEENS1_25partition_config_selectorILNS1_17partition_subalgoE4EjNS0_10empty_typeEbEEZZNS1_14partition_implILS8_4ELb0ES6_15HIP_vector_typeIjLj2EENS0_17counting_iteratorIjlEEPS9_SG_NS0_5tupleIJPjSI_NS0_16reverse_iteratorISI_EEEEENSH_IJSG_SG_SG_EEES9_SI_JZNS1_25segmented_radix_sort_implINS0_14default_configELb1EPKbPbPKlPlN2at6native12_GLOBAL__N_18offset_tEEE10hipError_tPvRmT1_PNSt15iterator_traitsIS12_E10value_typeET2_T3_PNS13_IS18_E10value_typeET4_jRbjT5_S1E_jjP12ihipStream_tbEUljE_ZNSN_ISO_Lb1ESQ_SR_ST_SU_SY_EESZ_S10_S11_S12_S16_S17_S18_S1B_S1C_jS1D_jS1E_S1E_jjS1G_bEUljE0_EEESZ_S10_S11_S18_S1C_S1E_T6_T7_T9_mT8_S1G_bDpT10_ENKUlT_T0_E_clISt17integral_constantIbLb0EES1U_EEDaS1P_S1Q_EUlS1P_E_NS1_11comp_targetILNS1_3genE9ELNS1_11target_archE1100ELNS1_3gpuE3ELNS1_3repE0EEENS1_30default_config_static_selectorELNS0_4arch9wavefront6targetE0EEEvS12_.has_indirect_call, 0
	.section	.AMDGPU.csdata,"",@progbits
; Kernel info:
; codeLenInByte = 0
; TotalNumSgprs: 0
; NumVgprs: 0
; ScratchSize: 0
; MemoryBound: 0
; FloatMode: 240
; IeeeMode: 1
; LDSByteSize: 0 bytes/workgroup (compile time only)
; SGPRBlocks: 0
; VGPRBlocks: 0
; NumSGPRsForWavesPerEU: 1
; NumVGPRsForWavesPerEU: 1
; NamedBarCnt: 0
; Occupancy: 16
; WaveLimiterHint : 0
; COMPUTE_PGM_RSRC2:SCRATCH_EN: 0
; COMPUTE_PGM_RSRC2:USER_SGPR: 2
; COMPUTE_PGM_RSRC2:TRAP_HANDLER: 0
; COMPUTE_PGM_RSRC2:TGID_X_EN: 1
; COMPUTE_PGM_RSRC2:TGID_Y_EN: 0
; COMPUTE_PGM_RSRC2:TGID_Z_EN: 0
; COMPUTE_PGM_RSRC2:TIDIG_COMP_CNT: 0
	.section	.text._ZN7rocprim17ROCPRIM_400000_NS6detail17trampoline_kernelINS0_13select_configILj256ELj13ELNS0_17block_load_methodE3ELS4_3ELS4_3ELNS0_20block_scan_algorithmE0ELj4294967295EEENS1_25partition_config_selectorILNS1_17partition_subalgoE4EjNS0_10empty_typeEbEEZZNS1_14partition_implILS8_4ELb0ES6_15HIP_vector_typeIjLj2EENS0_17counting_iteratorIjlEEPS9_SG_NS0_5tupleIJPjSI_NS0_16reverse_iteratorISI_EEEEENSH_IJSG_SG_SG_EEES9_SI_JZNS1_25segmented_radix_sort_implINS0_14default_configELb1EPKbPbPKlPlN2at6native12_GLOBAL__N_18offset_tEEE10hipError_tPvRmT1_PNSt15iterator_traitsIS12_E10value_typeET2_T3_PNS13_IS18_E10value_typeET4_jRbjT5_S1E_jjP12ihipStream_tbEUljE_ZNSN_ISO_Lb1ESQ_SR_ST_SU_SY_EESZ_S10_S11_S12_S16_S17_S18_S1B_S1C_jS1D_jS1E_S1E_jjS1G_bEUljE0_EEESZ_S10_S11_S18_S1C_S1E_T6_T7_T9_mT8_S1G_bDpT10_ENKUlT_T0_E_clISt17integral_constantIbLb0EES1U_EEDaS1P_S1Q_EUlS1P_E_NS1_11comp_targetILNS1_3genE8ELNS1_11target_archE1030ELNS1_3gpuE2ELNS1_3repE0EEENS1_30default_config_static_selectorELNS0_4arch9wavefront6targetE0EEEvS12_,"axG",@progbits,_ZN7rocprim17ROCPRIM_400000_NS6detail17trampoline_kernelINS0_13select_configILj256ELj13ELNS0_17block_load_methodE3ELS4_3ELS4_3ELNS0_20block_scan_algorithmE0ELj4294967295EEENS1_25partition_config_selectorILNS1_17partition_subalgoE4EjNS0_10empty_typeEbEEZZNS1_14partition_implILS8_4ELb0ES6_15HIP_vector_typeIjLj2EENS0_17counting_iteratorIjlEEPS9_SG_NS0_5tupleIJPjSI_NS0_16reverse_iteratorISI_EEEEENSH_IJSG_SG_SG_EEES9_SI_JZNS1_25segmented_radix_sort_implINS0_14default_configELb1EPKbPbPKlPlN2at6native12_GLOBAL__N_18offset_tEEE10hipError_tPvRmT1_PNSt15iterator_traitsIS12_E10value_typeET2_T3_PNS13_IS18_E10value_typeET4_jRbjT5_S1E_jjP12ihipStream_tbEUljE_ZNSN_ISO_Lb1ESQ_SR_ST_SU_SY_EESZ_S10_S11_S12_S16_S17_S18_S1B_S1C_jS1D_jS1E_S1E_jjS1G_bEUljE0_EEESZ_S10_S11_S18_S1C_S1E_T6_T7_T9_mT8_S1G_bDpT10_ENKUlT_T0_E_clISt17integral_constantIbLb0EES1U_EEDaS1P_S1Q_EUlS1P_E_NS1_11comp_targetILNS1_3genE8ELNS1_11target_archE1030ELNS1_3gpuE2ELNS1_3repE0EEENS1_30default_config_static_selectorELNS0_4arch9wavefront6targetE0EEEvS12_,comdat
	.globl	_ZN7rocprim17ROCPRIM_400000_NS6detail17trampoline_kernelINS0_13select_configILj256ELj13ELNS0_17block_load_methodE3ELS4_3ELS4_3ELNS0_20block_scan_algorithmE0ELj4294967295EEENS1_25partition_config_selectorILNS1_17partition_subalgoE4EjNS0_10empty_typeEbEEZZNS1_14partition_implILS8_4ELb0ES6_15HIP_vector_typeIjLj2EENS0_17counting_iteratorIjlEEPS9_SG_NS0_5tupleIJPjSI_NS0_16reverse_iteratorISI_EEEEENSH_IJSG_SG_SG_EEES9_SI_JZNS1_25segmented_radix_sort_implINS0_14default_configELb1EPKbPbPKlPlN2at6native12_GLOBAL__N_18offset_tEEE10hipError_tPvRmT1_PNSt15iterator_traitsIS12_E10value_typeET2_T3_PNS13_IS18_E10value_typeET4_jRbjT5_S1E_jjP12ihipStream_tbEUljE_ZNSN_ISO_Lb1ESQ_SR_ST_SU_SY_EESZ_S10_S11_S12_S16_S17_S18_S1B_S1C_jS1D_jS1E_S1E_jjS1G_bEUljE0_EEESZ_S10_S11_S18_S1C_S1E_T6_T7_T9_mT8_S1G_bDpT10_ENKUlT_T0_E_clISt17integral_constantIbLb0EES1U_EEDaS1P_S1Q_EUlS1P_E_NS1_11comp_targetILNS1_3genE8ELNS1_11target_archE1030ELNS1_3gpuE2ELNS1_3repE0EEENS1_30default_config_static_selectorELNS0_4arch9wavefront6targetE0EEEvS12_ ; -- Begin function _ZN7rocprim17ROCPRIM_400000_NS6detail17trampoline_kernelINS0_13select_configILj256ELj13ELNS0_17block_load_methodE3ELS4_3ELS4_3ELNS0_20block_scan_algorithmE0ELj4294967295EEENS1_25partition_config_selectorILNS1_17partition_subalgoE4EjNS0_10empty_typeEbEEZZNS1_14partition_implILS8_4ELb0ES6_15HIP_vector_typeIjLj2EENS0_17counting_iteratorIjlEEPS9_SG_NS0_5tupleIJPjSI_NS0_16reverse_iteratorISI_EEEEENSH_IJSG_SG_SG_EEES9_SI_JZNS1_25segmented_radix_sort_implINS0_14default_configELb1EPKbPbPKlPlN2at6native12_GLOBAL__N_18offset_tEEE10hipError_tPvRmT1_PNSt15iterator_traitsIS12_E10value_typeET2_T3_PNS13_IS18_E10value_typeET4_jRbjT5_S1E_jjP12ihipStream_tbEUljE_ZNSN_ISO_Lb1ESQ_SR_ST_SU_SY_EESZ_S10_S11_S12_S16_S17_S18_S1B_S1C_jS1D_jS1E_S1E_jjS1G_bEUljE0_EEESZ_S10_S11_S18_S1C_S1E_T6_T7_T9_mT8_S1G_bDpT10_ENKUlT_T0_E_clISt17integral_constantIbLb0EES1U_EEDaS1P_S1Q_EUlS1P_E_NS1_11comp_targetILNS1_3genE8ELNS1_11target_archE1030ELNS1_3gpuE2ELNS1_3repE0EEENS1_30default_config_static_selectorELNS0_4arch9wavefront6targetE0EEEvS12_
	.p2align	8
	.type	_ZN7rocprim17ROCPRIM_400000_NS6detail17trampoline_kernelINS0_13select_configILj256ELj13ELNS0_17block_load_methodE3ELS4_3ELS4_3ELNS0_20block_scan_algorithmE0ELj4294967295EEENS1_25partition_config_selectorILNS1_17partition_subalgoE4EjNS0_10empty_typeEbEEZZNS1_14partition_implILS8_4ELb0ES6_15HIP_vector_typeIjLj2EENS0_17counting_iteratorIjlEEPS9_SG_NS0_5tupleIJPjSI_NS0_16reverse_iteratorISI_EEEEENSH_IJSG_SG_SG_EEES9_SI_JZNS1_25segmented_radix_sort_implINS0_14default_configELb1EPKbPbPKlPlN2at6native12_GLOBAL__N_18offset_tEEE10hipError_tPvRmT1_PNSt15iterator_traitsIS12_E10value_typeET2_T3_PNS13_IS18_E10value_typeET4_jRbjT5_S1E_jjP12ihipStream_tbEUljE_ZNSN_ISO_Lb1ESQ_SR_ST_SU_SY_EESZ_S10_S11_S12_S16_S17_S18_S1B_S1C_jS1D_jS1E_S1E_jjS1G_bEUljE0_EEESZ_S10_S11_S18_S1C_S1E_T6_T7_T9_mT8_S1G_bDpT10_ENKUlT_T0_E_clISt17integral_constantIbLb0EES1U_EEDaS1P_S1Q_EUlS1P_E_NS1_11comp_targetILNS1_3genE8ELNS1_11target_archE1030ELNS1_3gpuE2ELNS1_3repE0EEENS1_30default_config_static_selectorELNS0_4arch9wavefront6targetE0EEEvS12_,@function
_ZN7rocprim17ROCPRIM_400000_NS6detail17trampoline_kernelINS0_13select_configILj256ELj13ELNS0_17block_load_methodE3ELS4_3ELS4_3ELNS0_20block_scan_algorithmE0ELj4294967295EEENS1_25partition_config_selectorILNS1_17partition_subalgoE4EjNS0_10empty_typeEbEEZZNS1_14partition_implILS8_4ELb0ES6_15HIP_vector_typeIjLj2EENS0_17counting_iteratorIjlEEPS9_SG_NS0_5tupleIJPjSI_NS0_16reverse_iteratorISI_EEEEENSH_IJSG_SG_SG_EEES9_SI_JZNS1_25segmented_radix_sort_implINS0_14default_configELb1EPKbPbPKlPlN2at6native12_GLOBAL__N_18offset_tEEE10hipError_tPvRmT1_PNSt15iterator_traitsIS12_E10value_typeET2_T3_PNS13_IS18_E10value_typeET4_jRbjT5_S1E_jjP12ihipStream_tbEUljE_ZNSN_ISO_Lb1ESQ_SR_ST_SU_SY_EESZ_S10_S11_S12_S16_S17_S18_S1B_S1C_jS1D_jS1E_S1E_jjS1G_bEUljE0_EEESZ_S10_S11_S18_S1C_S1E_T6_T7_T9_mT8_S1G_bDpT10_ENKUlT_T0_E_clISt17integral_constantIbLb0EES1U_EEDaS1P_S1Q_EUlS1P_E_NS1_11comp_targetILNS1_3genE8ELNS1_11target_archE1030ELNS1_3gpuE2ELNS1_3repE0EEENS1_30default_config_static_selectorELNS0_4arch9wavefront6targetE0EEEvS12_: ; @_ZN7rocprim17ROCPRIM_400000_NS6detail17trampoline_kernelINS0_13select_configILj256ELj13ELNS0_17block_load_methodE3ELS4_3ELS4_3ELNS0_20block_scan_algorithmE0ELj4294967295EEENS1_25partition_config_selectorILNS1_17partition_subalgoE4EjNS0_10empty_typeEbEEZZNS1_14partition_implILS8_4ELb0ES6_15HIP_vector_typeIjLj2EENS0_17counting_iteratorIjlEEPS9_SG_NS0_5tupleIJPjSI_NS0_16reverse_iteratorISI_EEEEENSH_IJSG_SG_SG_EEES9_SI_JZNS1_25segmented_radix_sort_implINS0_14default_configELb1EPKbPbPKlPlN2at6native12_GLOBAL__N_18offset_tEEE10hipError_tPvRmT1_PNSt15iterator_traitsIS12_E10value_typeET2_T3_PNS13_IS18_E10value_typeET4_jRbjT5_S1E_jjP12ihipStream_tbEUljE_ZNSN_ISO_Lb1ESQ_SR_ST_SU_SY_EESZ_S10_S11_S12_S16_S17_S18_S1B_S1C_jS1D_jS1E_S1E_jjS1G_bEUljE0_EEESZ_S10_S11_S18_S1C_S1E_T6_T7_T9_mT8_S1G_bDpT10_ENKUlT_T0_E_clISt17integral_constantIbLb0EES1U_EEDaS1P_S1Q_EUlS1P_E_NS1_11comp_targetILNS1_3genE8ELNS1_11target_archE1030ELNS1_3gpuE2ELNS1_3repE0EEENS1_30default_config_static_selectorELNS0_4arch9wavefront6targetE0EEEvS12_
; %bb.0:
	.section	.rodata,"a",@progbits
	.p2align	6, 0x0
	.amdhsa_kernel _ZN7rocprim17ROCPRIM_400000_NS6detail17trampoline_kernelINS0_13select_configILj256ELj13ELNS0_17block_load_methodE3ELS4_3ELS4_3ELNS0_20block_scan_algorithmE0ELj4294967295EEENS1_25partition_config_selectorILNS1_17partition_subalgoE4EjNS0_10empty_typeEbEEZZNS1_14partition_implILS8_4ELb0ES6_15HIP_vector_typeIjLj2EENS0_17counting_iteratorIjlEEPS9_SG_NS0_5tupleIJPjSI_NS0_16reverse_iteratorISI_EEEEENSH_IJSG_SG_SG_EEES9_SI_JZNS1_25segmented_radix_sort_implINS0_14default_configELb1EPKbPbPKlPlN2at6native12_GLOBAL__N_18offset_tEEE10hipError_tPvRmT1_PNSt15iterator_traitsIS12_E10value_typeET2_T3_PNS13_IS18_E10value_typeET4_jRbjT5_S1E_jjP12ihipStream_tbEUljE_ZNSN_ISO_Lb1ESQ_SR_ST_SU_SY_EESZ_S10_S11_S12_S16_S17_S18_S1B_S1C_jS1D_jS1E_S1E_jjS1G_bEUljE0_EEESZ_S10_S11_S18_S1C_S1E_T6_T7_T9_mT8_S1G_bDpT10_ENKUlT_T0_E_clISt17integral_constantIbLb0EES1U_EEDaS1P_S1Q_EUlS1P_E_NS1_11comp_targetILNS1_3genE8ELNS1_11target_archE1030ELNS1_3gpuE2ELNS1_3repE0EEENS1_30default_config_static_selectorELNS0_4arch9wavefront6targetE0EEEvS12_
		.amdhsa_group_segment_fixed_size 0
		.amdhsa_private_segment_fixed_size 0
		.amdhsa_kernarg_size 176
		.amdhsa_user_sgpr_count 2
		.amdhsa_user_sgpr_dispatch_ptr 0
		.amdhsa_user_sgpr_queue_ptr 0
		.amdhsa_user_sgpr_kernarg_segment_ptr 1
		.amdhsa_user_sgpr_dispatch_id 0
		.amdhsa_user_sgpr_kernarg_preload_length 0
		.amdhsa_user_sgpr_kernarg_preload_offset 0
		.amdhsa_user_sgpr_private_segment_size 0
		.amdhsa_wavefront_size32 1
		.amdhsa_uses_dynamic_stack 0
		.amdhsa_enable_private_segment 0
		.amdhsa_system_sgpr_workgroup_id_x 1
		.amdhsa_system_sgpr_workgroup_id_y 0
		.amdhsa_system_sgpr_workgroup_id_z 0
		.amdhsa_system_sgpr_workgroup_info 0
		.amdhsa_system_vgpr_workitem_id 0
		.amdhsa_next_free_vgpr 1
		.amdhsa_next_free_sgpr 1
		.amdhsa_named_barrier_count 0
		.amdhsa_reserve_vcc 0
		.amdhsa_float_round_mode_32 0
		.amdhsa_float_round_mode_16_64 0
		.amdhsa_float_denorm_mode_32 3
		.amdhsa_float_denorm_mode_16_64 3
		.amdhsa_fp16_overflow 0
		.amdhsa_memory_ordered 1
		.amdhsa_forward_progress 1
		.amdhsa_inst_pref_size 0
		.amdhsa_round_robin_scheduling 0
		.amdhsa_exception_fp_ieee_invalid_op 0
		.amdhsa_exception_fp_denorm_src 0
		.amdhsa_exception_fp_ieee_div_zero 0
		.amdhsa_exception_fp_ieee_overflow 0
		.amdhsa_exception_fp_ieee_underflow 0
		.amdhsa_exception_fp_ieee_inexact 0
		.amdhsa_exception_int_div_zero 0
	.end_amdhsa_kernel
	.section	.text._ZN7rocprim17ROCPRIM_400000_NS6detail17trampoline_kernelINS0_13select_configILj256ELj13ELNS0_17block_load_methodE3ELS4_3ELS4_3ELNS0_20block_scan_algorithmE0ELj4294967295EEENS1_25partition_config_selectorILNS1_17partition_subalgoE4EjNS0_10empty_typeEbEEZZNS1_14partition_implILS8_4ELb0ES6_15HIP_vector_typeIjLj2EENS0_17counting_iteratorIjlEEPS9_SG_NS0_5tupleIJPjSI_NS0_16reverse_iteratorISI_EEEEENSH_IJSG_SG_SG_EEES9_SI_JZNS1_25segmented_radix_sort_implINS0_14default_configELb1EPKbPbPKlPlN2at6native12_GLOBAL__N_18offset_tEEE10hipError_tPvRmT1_PNSt15iterator_traitsIS12_E10value_typeET2_T3_PNS13_IS18_E10value_typeET4_jRbjT5_S1E_jjP12ihipStream_tbEUljE_ZNSN_ISO_Lb1ESQ_SR_ST_SU_SY_EESZ_S10_S11_S12_S16_S17_S18_S1B_S1C_jS1D_jS1E_S1E_jjS1G_bEUljE0_EEESZ_S10_S11_S18_S1C_S1E_T6_T7_T9_mT8_S1G_bDpT10_ENKUlT_T0_E_clISt17integral_constantIbLb0EES1U_EEDaS1P_S1Q_EUlS1P_E_NS1_11comp_targetILNS1_3genE8ELNS1_11target_archE1030ELNS1_3gpuE2ELNS1_3repE0EEENS1_30default_config_static_selectorELNS0_4arch9wavefront6targetE0EEEvS12_,"axG",@progbits,_ZN7rocprim17ROCPRIM_400000_NS6detail17trampoline_kernelINS0_13select_configILj256ELj13ELNS0_17block_load_methodE3ELS4_3ELS4_3ELNS0_20block_scan_algorithmE0ELj4294967295EEENS1_25partition_config_selectorILNS1_17partition_subalgoE4EjNS0_10empty_typeEbEEZZNS1_14partition_implILS8_4ELb0ES6_15HIP_vector_typeIjLj2EENS0_17counting_iteratorIjlEEPS9_SG_NS0_5tupleIJPjSI_NS0_16reverse_iteratorISI_EEEEENSH_IJSG_SG_SG_EEES9_SI_JZNS1_25segmented_radix_sort_implINS0_14default_configELb1EPKbPbPKlPlN2at6native12_GLOBAL__N_18offset_tEEE10hipError_tPvRmT1_PNSt15iterator_traitsIS12_E10value_typeET2_T3_PNS13_IS18_E10value_typeET4_jRbjT5_S1E_jjP12ihipStream_tbEUljE_ZNSN_ISO_Lb1ESQ_SR_ST_SU_SY_EESZ_S10_S11_S12_S16_S17_S18_S1B_S1C_jS1D_jS1E_S1E_jjS1G_bEUljE0_EEESZ_S10_S11_S18_S1C_S1E_T6_T7_T9_mT8_S1G_bDpT10_ENKUlT_T0_E_clISt17integral_constantIbLb0EES1U_EEDaS1P_S1Q_EUlS1P_E_NS1_11comp_targetILNS1_3genE8ELNS1_11target_archE1030ELNS1_3gpuE2ELNS1_3repE0EEENS1_30default_config_static_selectorELNS0_4arch9wavefront6targetE0EEEvS12_,comdat
.Lfunc_end1467:
	.size	_ZN7rocprim17ROCPRIM_400000_NS6detail17trampoline_kernelINS0_13select_configILj256ELj13ELNS0_17block_load_methodE3ELS4_3ELS4_3ELNS0_20block_scan_algorithmE0ELj4294967295EEENS1_25partition_config_selectorILNS1_17partition_subalgoE4EjNS0_10empty_typeEbEEZZNS1_14partition_implILS8_4ELb0ES6_15HIP_vector_typeIjLj2EENS0_17counting_iteratorIjlEEPS9_SG_NS0_5tupleIJPjSI_NS0_16reverse_iteratorISI_EEEEENSH_IJSG_SG_SG_EEES9_SI_JZNS1_25segmented_radix_sort_implINS0_14default_configELb1EPKbPbPKlPlN2at6native12_GLOBAL__N_18offset_tEEE10hipError_tPvRmT1_PNSt15iterator_traitsIS12_E10value_typeET2_T3_PNS13_IS18_E10value_typeET4_jRbjT5_S1E_jjP12ihipStream_tbEUljE_ZNSN_ISO_Lb1ESQ_SR_ST_SU_SY_EESZ_S10_S11_S12_S16_S17_S18_S1B_S1C_jS1D_jS1E_S1E_jjS1G_bEUljE0_EEESZ_S10_S11_S18_S1C_S1E_T6_T7_T9_mT8_S1G_bDpT10_ENKUlT_T0_E_clISt17integral_constantIbLb0EES1U_EEDaS1P_S1Q_EUlS1P_E_NS1_11comp_targetILNS1_3genE8ELNS1_11target_archE1030ELNS1_3gpuE2ELNS1_3repE0EEENS1_30default_config_static_selectorELNS0_4arch9wavefront6targetE0EEEvS12_, .Lfunc_end1467-_ZN7rocprim17ROCPRIM_400000_NS6detail17trampoline_kernelINS0_13select_configILj256ELj13ELNS0_17block_load_methodE3ELS4_3ELS4_3ELNS0_20block_scan_algorithmE0ELj4294967295EEENS1_25partition_config_selectorILNS1_17partition_subalgoE4EjNS0_10empty_typeEbEEZZNS1_14partition_implILS8_4ELb0ES6_15HIP_vector_typeIjLj2EENS0_17counting_iteratorIjlEEPS9_SG_NS0_5tupleIJPjSI_NS0_16reverse_iteratorISI_EEEEENSH_IJSG_SG_SG_EEES9_SI_JZNS1_25segmented_radix_sort_implINS0_14default_configELb1EPKbPbPKlPlN2at6native12_GLOBAL__N_18offset_tEEE10hipError_tPvRmT1_PNSt15iterator_traitsIS12_E10value_typeET2_T3_PNS13_IS18_E10value_typeET4_jRbjT5_S1E_jjP12ihipStream_tbEUljE_ZNSN_ISO_Lb1ESQ_SR_ST_SU_SY_EESZ_S10_S11_S12_S16_S17_S18_S1B_S1C_jS1D_jS1E_S1E_jjS1G_bEUljE0_EEESZ_S10_S11_S18_S1C_S1E_T6_T7_T9_mT8_S1G_bDpT10_ENKUlT_T0_E_clISt17integral_constantIbLb0EES1U_EEDaS1P_S1Q_EUlS1P_E_NS1_11comp_targetILNS1_3genE8ELNS1_11target_archE1030ELNS1_3gpuE2ELNS1_3repE0EEENS1_30default_config_static_selectorELNS0_4arch9wavefront6targetE0EEEvS12_
                                        ; -- End function
	.set _ZN7rocprim17ROCPRIM_400000_NS6detail17trampoline_kernelINS0_13select_configILj256ELj13ELNS0_17block_load_methodE3ELS4_3ELS4_3ELNS0_20block_scan_algorithmE0ELj4294967295EEENS1_25partition_config_selectorILNS1_17partition_subalgoE4EjNS0_10empty_typeEbEEZZNS1_14partition_implILS8_4ELb0ES6_15HIP_vector_typeIjLj2EENS0_17counting_iteratorIjlEEPS9_SG_NS0_5tupleIJPjSI_NS0_16reverse_iteratorISI_EEEEENSH_IJSG_SG_SG_EEES9_SI_JZNS1_25segmented_radix_sort_implINS0_14default_configELb1EPKbPbPKlPlN2at6native12_GLOBAL__N_18offset_tEEE10hipError_tPvRmT1_PNSt15iterator_traitsIS12_E10value_typeET2_T3_PNS13_IS18_E10value_typeET4_jRbjT5_S1E_jjP12ihipStream_tbEUljE_ZNSN_ISO_Lb1ESQ_SR_ST_SU_SY_EESZ_S10_S11_S12_S16_S17_S18_S1B_S1C_jS1D_jS1E_S1E_jjS1G_bEUljE0_EEESZ_S10_S11_S18_S1C_S1E_T6_T7_T9_mT8_S1G_bDpT10_ENKUlT_T0_E_clISt17integral_constantIbLb0EES1U_EEDaS1P_S1Q_EUlS1P_E_NS1_11comp_targetILNS1_3genE8ELNS1_11target_archE1030ELNS1_3gpuE2ELNS1_3repE0EEENS1_30default_config_static_selectorELNS0_4arch9wavefront6targetE0EEEvS12_.num_vgpr, 0
	.set _ZN7rocprim17ROCPRIM_400000_NS6detail17trampoline_kernelINS0_13select_configILj256ELj13ELNS0_17block_load_methodE3ELS4_3ELS4_3ELNS0_20block_scan_algorithmE0ELj4294967295EEENS1_25partition_config_selectorILNS1_17partition_subalgoE4EjNS0_10empty_typeEbEEZZNS1_14partition_implILS8_4ELb0ES6_15HIP_vector_typeIjLj2EENS0_17counting_iteratorIjlEEPS9_SG_NS0_5tupleIJPjSI_NS0_16reverse_iteratorISI_EEEEENSH_IJSG_SG_SG_EEES9_SI_JZNS1_25segmented_radix_sort_implINS0_14default_configELb1EPKbPbPKlPlN2at6native12_GLOBAL__N_18offset_tEEE10hipError_tPvRmT1_PNSt15iterator_traitsIS12_E10value_typeET2_T3_PNS13_IS18_E10value_typeET4_jRbjT5_S1E_jjP12ihipStream_tbEUljE_ZNSN_ISO_Lb1ESQ_SR_ST_SU_SY_EESZ_S10_S11_S12_S16_S17_S18_S1B_S1C_jS1D_jS1E_S1E_jjS1G_bEUljE0_EEESZ_S10_S11_S18_S1C_S1E_T6_T7_T9_mT8_S1G_bDpT10_ENKUlT_T0_E_clISt17integral_constantIbLb0EES1U_EEDaS1P_S1Q_EUlS1P_E_NS1_11comp_targetILNS1_3genE8ELNS1_11target_archE1030ELNS1_3gpuE2ELNS1_3repE0EEENS1_30default_config_static_selectorELNS0_4arch9wavefront6targetE0EEEvS12_.num_agpr, 0
	.set _ZN7rocprim17ROCPRIM_400000_NS6detail17trampoline_kernelINS0_13select_configILj256ELj13ELNS0_17block_load_methodE3ELS4_3ELS4_3ELNS0_20block_scan_algorithmE0ELj4294967295EEENS1_25partition_config_selectorILNS1_17partition_subalgoE4EjNS0_10empty_typeEbEEZZNS1_14partition_implILS8_4ELb0ES6_15HIP_vector_typeIjLj2EENS0_17counting_iteratorIjlEEPS9_SG_NS0_5tupleIJPjSI_NS0_16reverse_iteratorISI_EEEEENSH_IJSG_SG_SG_EEES9_SI_JZNS1_25segmented_radix_sort_implINS0_14default_configELb1EPKbPbPKlPlN2at6native12_GLOBAL__N_18offset_tEEE10hipError_tPvRmT1_PNSt15iterator_traitsIS12_E10value_typeET2_T3_PNS13_IS18_E10value_typeET4_jRbjT5_S1E_jjP12ihipStream_tbEUljE_ZNSN_ISO_Lb1ESQ_SR_ST_SU_SY_EESZ_S10_S11_S12_S16_S17_S18_S1B_S1C_jS1D_jS1E_S1E_jjS1G_bEUljE0_EEESZ_S10_S11_S18_S1C_S1E_T6_T7_T9_mT8_S1G_bDpT10_ENKUlT_T0_E_clISt17integral_constantIbLb0EES1U_EEDaS1P_S1Q_EUlS1P_E_NS1_11comp_targetILNS1_3genE8ELNS1_11target_archE1030ELNS1_3gpuE2ELNS1_3repE0EEENS1_30default_config_static_selectorELNS0_4arch9wavefront6targetE0EEEvS12_.numbered_sgpr, 0
	.set _ZN7rocprim17ROCPRIM_400000_NS6detail17trampoline_kernelINS0_13select_configILj256ELj13ELNS0_17block_load_methodE3ELS4_3ELS4_3ELNS0_20block_scan_algorithmE0ELj4294967295EEENS1_25partition_config_selectorILNS1_17partition_subalgoE4EjNS0_10empty_typeEbEEZZNS1_14partition_implILS8_4ELb0ES6_15HIP_vector_typeIjLj2EENS0_17counting_iteratorIjlEEPS9_SG_NS0_5tupleIJPjSI_NS0_16reverse_iteratorISI_EEEEENSH_IJSG_SG_SG_EEES9_SI_JZNS1_25segmented_radix_sort_implINS0_14default_configELb1EPKbPbPKlPlN2at6native12_GLOBAL__N_18offset_tEEE10hipError_tPvRmT1_PNSt15iterator_traitsIS12_E10value_typeET2_T3_PNS13_IS18_E10value_typeET4_jRbjT5_S1E_jjP12ihipStream_tbEUljE_ZNSN_ISO_Lb1ESQ_SR_ST_SU_SY_EESZ_S10_S11_S12_S16_S17_S18_S1B_S1C_jS1D_jS1E_S1E_jjS1G_bEUljE0_EEESZ_S10_S11_S18_S1C_S1E_T6_T7_T9_mT8_S1G_bDpT10_ENKUlT_T0_E_clISt17integral_constantIbLb0EES1U_EEDaS1P_S1Q_EUlS1P_E_NS1_11comp_targetILNS1_3genE8ELNS1_11target_archE1030ELNS1_3gpuE2ELNS1_3repE0EEENS1_30default_config_static_selectorELNS0_4arch9wavefront6targetE0EEEvS12_.num_named_barrier, 0
	.set _ZN7rocprim17ROCPRIM_400000_NS6detail17trampoline_kernelINS0_13select_configILj256ELj13ELNS0_17block_load_methodE3ELS4_3ELS4_3ELNS0_20block_scan_algorithmE0ELj4294967295EEENS1_25partition_config_selectorILNS1_17partition_subalgoE4EjNS0_10empty_typeEbEEZZNS1_14partition_implILS8_4ELb0ES6_15HIP_vector_typeIjLj2EENS0_17counting_iteratorIjlEEPS9_SG_NS0_5tupleIJPjSI_NS0_16reverse_iteratorISI_EEEEENSH_IJSG_SG_SG_EEES9_SI_JZNS1_25segmented_radix_sort_implINS0_14default_configELb1EPKbPbPKlPlN2at6native12_GLOBAL__N_18offset_tEEE10hipError_tPvRmT1_PNSt15iterator_traitsIS12_E10value_typeET2_T3_PNS13_IS18_E10value_typeET4_jRbjT5_S1E_jjP12ihipStream_tbEUljE_ZNSN_ISO_Lb1ESQ_SR_ST_SU_SY_EESZ_S10_S11_S12_S16_S17_S18_S1B_S1C_jS1D_jS1E_S1E_jjS1G_bEUljE0_EEESZ_S10_S11_S18_S1C_S1E_T6_T7_T9_mT8_S1G_bDpT10_ENKUlT_T0_E_clISt17integral_constantIbLb0EES1U_EEDaS1P_S1Q_EUlS1P_E_NS1_11comp_targetILNS1_3genE8ELNS1_11target_archE1030ELNS1_3gpuE2ELNS1_3repE0EEENS1_30default_config_static_selectorELNS0_4arch9wavefront6targetE0EEEvS12_.private_seg_size, 0
	.set _ZN7rocprim17ROCPRIM_400000_NS6detail17trampoline_kernelINS0_13select_configILj256ELj13ELNS0_17block_load_methodE3ELS4_3ELS4_3ELNS0_20block_scan_algorithmE0ELj4294967295EEENS1_25partition_config_selectorILNS1_17partition_subalgoE4EjNS0_10empty_typeEbEEZZNS1_14partition_implILS8_4ELb0ES6_15HIP_vector_typeIjLj2EENS0_17counting_iteratorIjlEEPS9_SG_NS0_5tupleIJPjSI_NS0_16reverse_iteratorISI_EEEEENSH_IJSG_SG_SG_EEES9_SI_JZNS1_25segmented_radix_sort_implINS0_14default_configELb1EPKbPbPKlPlN2at6native12_GLOBAL__N_18offset_tEEE10hipError_tPvRmT1_PNSt15iterator_traitsIS12_E10value_typeET2_T3_PNS13_IS18_E10value_typeET4_jRbjT5_S1E_jjP12ihipStream_tbEUljE_ZNSN_ISO_Lb1ESQ_SR_ST_SU_SY_EESZ_S10_S11_S12_S16_S17_S18_S1B_S1C_jS1D_jS1E_S1E_jjS1G_bEUljE0_EEESZ_S10_S11_S18_S1C_S1E_T6_T7_T9_mT8_S1G_bDpT10_ENKUlT_T0_E_clISt17integral_constantIbLb0EES1U_EEDaS1P_S1Q_EUlS1P_E_NS1_11comp_targetILNS1_3genE8ELNS1_11target_archE1030ELNS1_3gpuE2ELNS1_3repE0EEENS1_30default_config_static_selectorELNS0_4arch9wavefront6targetE0EEEvS12_.uses_vcc, 0
	.set _ZN7rocprim17ROCPRIM_400000_NS6detail17trampoline_kernelINS0_13select_configILj256ELj13ELNS0_17block_load_methodE3ELS4_3ELS4_3ELNS0_20block_scan_algorithmE0ELj4294967295EEENS1_25partition_config_selectorILNS1_17partition_subalgoE4EjNS0_10empty_typeEbEEZZNS1_14partition_implILS8_4ELb0ES6_15HIP_vector_typeIjLj2EENS0_17counting_iteratorIjlEEPS9_SG_NS0_5tupleIJPjSI_NS0_16reverse_iteratorISI_EEEEENSH_IJSG_SG_SG_EEES9_SI_JZNS1_25segmented_radix_sort_implINS0_14default_configELb1EPKbPbPKlPlN2at6native12_GLOBAL__N_18offset_tEEE10hipError_tPvRmT1_PNSt15iterator_traitsIS12_E10value_typeET2_T3_PNS13_IS18_E10value_typeET4_jRbjT5_S1E_jjP12ihipStream_tbEUljE_ZNSN_ISO_Lb1ESQ_SR_ST_SU_SY_EESZ_S10_S11_S12_S16_S17_S18_S1B_S1C_jS1D_jS1E_S1E_jjS1G_bEUljE0_EEESZ_S10_S11_S18_S1C_S1E_T6_T7_T9_mT8_S1G_bDpT10_ENKUlT_T0_E_clISt17integral_constantIbLb0EES1U_EEDaS1P_S1Q_EUlS1P_E_NS1_11comp_targetILNS1_3genE8ELNS1_11target_archE1030ELNS1_3gpuE2ELNS1_3repE0EEENS1_30default_config_static_selectorELNS0_4arch9wavefront6targetE0EEEvS12_.uses_flat_scratch, 0
	.set _ZN7rocprim17ROCPRIM_400000_NS6detail17trampoline_kernelINS0_13select_configILj256ELj13ELNS0_17block_load_methodE3ELS4_3ELS4_3ELNS0_20block_scan_algorithmE0ELj4294967295EEENS1_25partition_config_selectorILNS1_17partition_subalgoE4EjNS0_10empty_typeEbEEZZNS1_14partition_implILS8_4ELb0ES6_15HIP_vector_typeIjLj2EENS0_17counting_iteratorIjlEEPS9_SG_NS0_5tupleIJPjSI_NS0_16reverse_iteratorISI_EEEEENSH_IJSG_SG_SG_EEES9_SI_JZNS1_25segmented_radix_sort_implINS0_14default_configELb1EPKbPbPKlPlN2at6native12_GLOBAL__N_18offset_tEEE10hipError_tPvRmT1_PNSt15iterator_traitsIS12_E10value_typeET2_T3_PNS13_IS18_E10value_typeET4_jRbjT5_S1E_jjP12ihipStream_tbEUljE_ZNSN_ISO_Lb1ESQ_SR_ST_SU_SY_EESZ_S10_S11_S12_S16_S17_S18_S1B_S1C_jS1D_jS1E_S1E_jjS1G_bEUljE0_EEESZ_S10_S11_S18_S1C_S1E_T6_T7_T9_mT8_S1G_bDpT10_ENKUlT_T0_E_clISt17integral_constantIbLb0EES1U_EEDaS1P_S1Q_EUlS1P_E_NS1_11comp_targetILNS1_3genE8ELNS1_11target_archE1030ELNS1_3gpuE2ELNS1_3repE0EEENS1_30default_config_static_selectorELNS0_4arch9wavefront6targetE0EEEvS12_.has_dyn_sized_stack, 0
	.set _ZN7rocprim17ROCPRIM_400000_NS6detail17trampoline_kernelINS0_13select_configILj256ELj13ELNS0_17block_load_methodE3ELS4_3ELS4_3ELNS0_20block_scan_algorithmE0ELj4294967295EEENS1_25partition_config_selectorILNS1_17partition_subalgoE4EjNS0_10empty_typeEbEEZZNS1_14partition_implILS8_4ELb0ES6_15HIP_vector_typeIjLj2EENS0_17counting_iteratorIjlEEPS9_SG_NS0_5tupleIJPjSI_NS0_16reverse_iteratorISI_EEEEENSH_IJSG_SG_SG_EEES9_SI_JZNS1_25segmented_radix_sort_implINS0_14default_configELb1EPKbPbPKlPlN2at6native12_GLOBAL__N_18offset_tEEE10hipError_tPvRmT1_PNSt15iterator_traitsIS12_E10value_typeET2_T3_PNS13_IS18_E10value_typeET4_jRbjT5_S1E_jjP12ihipStream_tbEUljE_ZNSN_ISO_Lb1ESQ_SR_ST_SU_SY_EESZ_S10_S11_S12_S16_S17_S18_S1B_S1C_jS1D_jS1E_S1E_jjS1G_bEUljE0_EEESZ_S10_S11_S18_S1C_S1E_T6_T7_T9_mT8_S1G_bDpT10_ENKUlT_T0_E_clISt17integral_constantIbLb0EES1U_EEDaS1P_S1Q_EUlS1P_E_NS1_11comp_targetILNS1_3genE8ELNS1_11target_archE1030ELNS1_3gpuE2ELNS1_3repE0EEENS1_30default_config_static_selectorELNS0_4arch9wavefront6targetE0EEEvS12_.has_recursion, 0
	.set _ZN7rocprim17ROCPRIM_400000_NS6detail17trampoline_kernelINS0_13select_configILj256ELj13ELNS0_17block_load_methodE3ELS4_3ELS4_3ELNS0_20block_scan_algorithmE0ELj4294967295EEENS1_25partition_config_selectorILNS1_17partition_subalgoE4EjNS0_10empty_typeEbEEZZNS1_14partition_implILS8_4ELb0ES6_15HIP_vector_typeIjLj2EENS0_17counting_iteratorIjlEEPS9_SG_NS0_5tupleIJPjSI_NS0_16reverse_iteratorISI_EEEEENSH_IJSG_SG_SG_EEES9_SI_JZNS1_25segmented_radix_sort_implINS0_14default_configELb1EPKbPbPKlPlN2at6native12_GLOBAL__N_18offset_tEEE10hipError_tPvRmT1_PNSt15iterator_traitsIS12_E10value_typeET2_T3_PNS13_IS18_E10value_typeET4_jRbjT5_S1E_jjP12ihipStream_tbEUljE_ZNSN_ISO_Lb1ESQ_SR_ST_SU_SY_EESZ_S10_S11_S12_S16_S17_S18_S1B_S1C_jS1D_jS1E_S1E_jjS1G_bEUljE0_EEESZ_S10_S11_S18_S1C_S1E_T6_T7_T9_mT8_S1G_bDpT10_ENKUlT_T0_E_clISt17integral_constantIbLb0EES1U_EEDaS1P_S1Q_EUlS1P_E_NS1_11comp_targetILNS1_3genE8ELNS1_11target_archE1030ELNS1_3gpuE2ELNS1_3repE0EEENS1_30default_config_static_selectorELNS0_4arch9wavefront6targetE0EEEvS12_.has_indirect_call, 0
	.section	.AMDGPU.csdata,"",@progbits
; Kernel info:
; codeLenInByte = 0
; TotalNumSgprs: 0
; NumVgprs: 0
; ScratchSize: 0
; MemoryBound: 0
; FloatMode: 240
; IeeeMode: 1
; LDSByteSize: 0 bytes/workgroup (compile time only)
; SGPRBlocks: 0
; VGPRBlocks: 0
; NumSGPRsForWavesPerEU: 1
; NumVGPRsForWavesPerEU: 1
; NamedBarCnt: 0
; Occupancy: 16
; WaveLimiterHint : 0
; COMPUTE_PGM_RSRC2:SCRATCH_EN: 0
; COMPUTE_PGM_RSRC2:USER_SGPR: 2
; COMPUTE_PGM_RSRC2:TRAP_HANDLER: 0
; COMPUTE_PGM_RSRC2:TGID_X_EN: 1
; COMPUTE_PGM_RSRC2:TGID_Y_EN: 0
; COMPUTE_PGM_RSRC2:TGID_Z_EN: 0
; COMPUTE_PGM_RSRC2:TIDIG_COMP_CNT: 0
	.section	.text._ZN7rocprim17ROCPRIM_400000_NS6detail17trampoline_kernelINS0_13select_configILj256ELj13ELNS0_17block_load_methodE3ELS4_3ELS4_3ELNS0_20block_scan_algorithmE0ELj4294967295EEENS1_25partition_config_selectorILNS1_17partition_subalgoE4EjNS0_10empty_typeEbEEZZNS1_14partition_implILS8_4ELb0ES6_15HIP_vector_typeIjLj2EENS0_17counting_iteratorIjlEEPS9_SG_NS0_5tupleIJPjSI_NS0_16reverse_iteratorISI_EEEEENSH_IJSG_SG_SG_EEES9_SI_JZNS1_25segmented_radix_sort_implINS0_14default_configELb1EPKbPbPKlPlN2at6native12_GLOBAL__N_18offset_tEEE10hipError_tPvRmT1_PNSt15iterator_traitsIS12_E10value_typeET2_T3_PNS13_IS18_E10value_typeET4_jRbjT5_S1E_jjP12ihipStream_tbEUljE_ZNSN_ISO_Lb1ESQ_SR_ST_SU_SY_EESZ_S10_S11_S12_S16_S17_S18_S1B_S1C_jS1D_jS1E_S1E_jjS1G_bEUljE0_EEESZ_S10_S11_S18_S1C_S1E_T6_T7_T9_mT8_S1G_bDpT10_ENKUlT_T0_E_clISt17integral_constantIbLb1EES1U_EEDaS1P_S1Q_EUlS1P_E_NS1_11comp_targetILNS1_3genE0ELNS1_11target_archE4294967295ELNS1_3gpuE0ELNS1_3repE0EEENS1_30default_config_static_selectorELNS0_4arch9wavefront6targetE0EEEvS12_,"axG",@progbits,_ZN7rocprim17ROCPRIM_400000_NS6detail17trampoline_kernelINS0_13select_configILj256ELj13ELNS0_17block_load_methodE3ELS4_3ELS4_3ELNS0_20block_scan_algorithmE0ELj4294967295EEENS1_25partition_config_selectorILNS1_17partition_subalgoE4EjNS0_10empty_typeEbEEZZNS1_14partition_implILS8_4ELb0ES6_15HIP_vector_typeIjLj2EENS0_17counting_iteratorIjlEEPS9_SG_NS0_5tupleIJPjSI_NS0_16reverse_iteratorISI_EEEEENSH_IJSG_SG_SG_EEES9_SI_JZNS1_25segmented_radix_sort_implINS0_14default_configELb1EPKbPbPKlPlN2at6native12_GLOBAL__N_18offset_tEEE10hipError_tPvRmT1_PNSt15iterator_traitsIS12_E10value_typeET2_T3_PNS13_IS18_E10value_typeET4_jRbjT5_S1E_jjP12ihipStream_tbEUljE_ZNSN_ISO_Lb1ESQ_SR_ST_SU_SY_EESZ_S10_S11_S12_S16_S17_S18_S1B_S1C_jS1D_jS1E_S1E_jjS1G_bEUljE0_EEESZ_S10_S11_S18_S1C_S1E_T6_T7_T9_mT8_S1G_bDpT10_ENKUlT_T0_E_clISt17integral_constantIbLb1EES1U_EEDaS1P_S1Q_EUlS1P_E_NS1_11comp_targetILNS1_3genE0ELNS1_11target_archE4294967295ELNS1_3gpuE0ELNS1_3repE0EEENS1_30default_config_static_selectorELNS0_4arch9wavefront6targetE0EEEvS12_,comdat
	.globl	_ZN7rocprim17ROCPRIM_400000_NS6detail17trampoline_kernelINS0_13select_configILj256ELj13ELNS0_17block_load_methodE3ELS4_3ELS4_3ELNS0_20block_scan_algorithmE0ELj4294967295EEENS1_25partition_config_selectorILNS1_17partition_subalgoE4EjNS0_10empty_typeEbEEZZNS1_14partition_implILS8_4ELb0ES6_15HIP_vector_typeIjLj2EENS0_17counting_iteratorIjlEEPS9_SG_NS0_5tupleIJPjSI_NS0_16reverse_iteratorISI_EEEEENSH_IJSG_SG_SG_EEES9_SI_JZNS1_25segmented_radix_sort_implINS0_14default_configELb1EPKbPbPKlPlN2at6native12_GLOBAL__N_18offset_tEEE10hipError_tPvRmT1_PNSt15iterator_traitsIS12_E10value_typeET2_T3_PNS13_IS18_E10value_typeET4_jRbjT5_S1E_jjP12ihipStream_tbEUljE_ZNSN_ISO_Lb1ESQ_SR_ST_SU_SY_EESZ_S10_S11_S12_S16_S17_S18_S1B_S1C_jS1D_jS1E_S1E_jjS1G_bEUljE0_EEESZ_S10_S11_S18_S1C_S1E_T6_T7_T9_mT8_S1G_bDpT10_ENKUlT_T0_E_clISt17integral_constantIbLb1EES1U_EEDaS1P_S1Q_EUlS1P_E_NS1_11comp_targetILNS1_3genE0ELNS1_11target_archE4294967295ELNS1_3gpuE0ELNS1_3repE0EEENS1_30default_config_static_selectorELNS0_4arch9wavefront6targetE0EEEvS12_ ; -- Begin function _ZN7rocprim17ROCPRIM_400000_NS6detail17trampoline_kernelINS0_13select_configILj256ELj13ELNS0_17block_load_methodE3ELS4_3ELS4_3ELNS0_20block_scan_algorithmE0ELj4294967295EEENS1_25partition_config_selectorILNS1_17partition_subalgoE4EjNS0_10empty_typeEbEEZZNS1_14partition_implILS8_4ELb0ES6_15HIP_vector_typeIjLj2EENS0_17counting_iteratorIjlEEPS9_SG_NS0_5tupleIJPjSI_NS0_16reverse_iteratorISI_EEEEENSH_IJSG_SG_SG_EEES9_SI_JZNS1_25segmented_radix_sort_implINS0_14default_configELb1EPKbPbPKlPlN2at6native12_GLOBAL__N_18offset_tEEE10hipError_tPvRmT1_PNSt15iterator_traitsIS12_E10value_typeET2_T3_PNS13_IS18_E10value_typeET4_jRbjT5_S1E_jjP12ihipStream_tbEUljE_ZNSN_ISO_Lb1ESQ_SR_ST_SU_SY_EESZ_S10_S11_S12_S16_S17_S18_S1B_S1C_jS1D_jS1E_S1E_jjS1G_bEUljE0_EEESZ_S10_S11_S18_S1C_S1E_T6_T7_T9_mT8_S1G_bDpT10_ENKUlT_T0_E_clISt17integral_constantIbLb1EES1U_EEDaS1P_S1Q_EUlS1P_E_NS1_11comp_targetILNS1_3genE0ELNS1_11target_archE4294967295ELNS1_3gpuE0ELNS1_3repE0EEENS1_30default_config_static_selectorELNS0_4arch9wavefront6targetE0EEEvS12_
	.p2align	8
	.type	_ZN7rocprim17ROCPRIM_400000_NS6detail17trampoline_kernelINS0_13select_configILj256ELj13ELNS0_17block_load_methodE3ELS4_3ELS4_3ELNS0_20block_scan_algorithmE0ELj4294967295EEENS1_25partition_config_selectorILNS1_17partition_subalgoE4EjNS0_10empty_typeEbEEZZNS1_14partition_implILS8_4ELb0ES6_15HIP_vector_typeIjLj2EENS0_17counting_iteratorIjlEEPS9_SG_NS0_5tupleIJPjSI_NS0_16reverse_iteratorISI_EEEEENSH_IJSG_SG_SG_EEES9_SI_JZNS1_25segmented_radix_sort_implINS0_14default_configELb1EPKbPbPKlPlN2at6native12_GLOBAL__N_18offset_tEEE10hipError_tPvRmT1_PNSt15iterator_traitsIS12_E10value_typeET2_T3_PNS13_IS18_E10value_typeET4_jRbjT5_S1E_jjP12ihipStream_tbEUljE_ZNSN_ISO_Lb1ESQ_SR_ST_SU_SY_EESZ_S10_S11_S12_S16_S17_S18_S1B_S1C_jS1D_jS1E_S1E_jjS1G_bEUljE0_EEESZ_S10_S11_S18_S1C_S1E_T6_T7_T9_mT8_S1G_bDpT10_ENKUlT_T0_E_clISt17integral_constantIbLb1EES1U_EEDaS1P_S1Q_EUlS1P_E_NS1_11comp_targetILNS1_3genE0ELNS1_11target_archE4294967295ELNS1_3gpuE0ELNS1_3repE0EEENS1_30default_config_static_selectorELNS0_4arch9wavefront6targetE0EEEvS12_,@function
_ZN7rocprim17ROCPRIM_400000_NS6detail17trampoline_kernelINS0_13select_configILj256ELj13ELNS0_17block_load_methodE3ELS4_3ELS4_3ELNS0_20block_scan_algorithmE0ELj4294967295EEENS1_25partition_config_selectorILNS1_17partition_subalgoE4EjNS0_10empty_typeEbEEZZNS1_14partition_implILS8_4ELb0ES6_15HIP_vector_typeIjLj2EENS0_17counting_iteratorIjlEEPS9_SG_NS0_5tupleIJPjSI_NS0_16reverse_iteratorISI_EEEEENSH_IJSG_SG_SG_EEES9_SI_JZNS1_25segmented_radix_sort_implINS0_14default_configELb1EPKbPbPKlPlN2at6native12_GLOBAL__N_18offset_tEEE10hipError_tPvRmT1_PNSt15iterator_traitsIS12_E10value_typeET2_T3_PNS13_IS18_E10value_typeET4_jRbjT5_S1E_jjP12ihipStream_tbEUljE_ZNSN_ISO_Lb1ESQ_SR_ST_SU_SY_EESZ_S10_S11_S12_S16_S17_S18_S1B_S1C_jS1D_jS1E_S1E_jjS1G_bEUljE0_EEESZ_S10_S11_S18_S1C_S1E_T6_T7_T9_mT8_S1G_bDpT10_ENKUlT_T0_E_clISt17integral_constantIbLb1EES1U_EEDaS1P_S1Q_EUlS1P_E_NS1_11comp_targetILNS1_3genE0ELNS1_11target_archE4294967295ELNS1_3gpuE0ELNS1_3repE0EEENS1_30default_config_static_selectorELNS0_4arch9wavefront6targetE0EEEvS12_: ; @_ZN7rocprim17ROCPRIM_400000_NS6detail17trampoline_kernelINS0_13select_configILj256ELj13ELNS0_17block_load_methodE3ELS4_3ELS4_3ELNS0_20block_scan_algorithmE0ELj4294967295EEENS1_25partition_config_selectorILNS1_17partition_subalgoE4EjNS0_10empty_typeEbEEZZNS1_14partition_implILS8_4ELb0ES6_15HIP_vector_typeIjLj2EENS0_17counting_iteratorIjlEEPS9_SG_NS0_5tupleIJPjSI_NS0_16reverse_iteratorISI_EEEEENSH_IJSG_SG_SG_EEES9_SI_JZNS1_25segmented_radix_sort_implINS0_14default_configELb1EPKbPbPKlPlN2at6native12_GLOBAL__N_18offset_tEEE10hipError_tPvRmT1_PNSt15iterator_traitsIS12_E10value_typeET2_T3_PNS13_IS18_E10value_typeET4_jRbjT5_S1E_jjP12ihipStream_tbEUljE_ZNSN_ISO_Lb1ESQ_SR_ST_SU_SY_EESZ_S10_S11_S12_S16_S17_S18_S1B_S1C_jS1D_jS1E_S1E_jjS1G_bEUljE0_EEESZ_S10_S11_S18_S1C_S1E_T6_T7_T9_mT8_S1G_bDpT10_ENKUlT_T0_E_clISt17integral_constantIbLb1EES1U_EEDaS1P_S1Q_EUlS1P_E_NS1_11comp_targetILNS1_3genE0ELNS1_11target_archE4294967295ELNS1_3gpuE0ELNS1_3repE0EEENS1_30default_config_static_selectorELNS0_4arch9wavefront6targetE0EEEvS12_
; %bb.0:
	s_endpgm
	.section	.rodata,"a",@progbits
	.p2align	6, 0x0
	.amdhsa_kernel _ZN7rocprim17ROCPRIM_400000_NS6detail17trampoline_kernelINS0_13select_configILj256ELj13ELNS0_17block_load_methodE3ELS4_3ELS4_3ELNS0_20block_scan_algorithmE0ELj4294967295EEENS1_25partition_config_selectorILNS1_17partition_subalgoE4EjNS0_10empty_typeEbEEZZNS1_14partition_implILS8_4ELb0ES6_15HIP_vector_typeIjLj2EENS0_17counting_iteratorIjlEEPS9_SG_NS0_5tupleIJPjSI_NS0_16reverse_iteratorISI_EEEEENSH_IJSG_SG_SG_EEES9_SI_JZNS1_25segmented_radix_sort_implINS0_14default_configELb1EPKbPbPKlPlN2at6native12_GLOBAL__N_18offset_tEEE10hipError_tPvRmT1_PNSt15iterator_traitsIS12_E10value_typeET2_T3_PNS13_IS18_E10value_typeET4_jRbjT5_S1E_jjP12ihipStream_tbEUljE_ZNSN_ISO_Lb1ESQ_SR_ST_SU_SY_EESZ_S10_S11_S12_S16_S17_S18_S1B_S1C_jS1D_jS1E_S1E_jjS1G_bEUljE0_EEESZ_S10_S11_S18_S1C_S1E_T6_T7_T9_mT8_S1G_bDpT10_ENKUlT_T0_E_clISt17integral_constantIbLb1EES1U_EEDaS1P_S1Q_EUlS1P_E_NS1_11comp_targetILNS1_3genE0ELNS1_11target_archE4294967295ELNS1_3gpuE0ELNS1_3repE0EEENS1_30default_config_static_selectorELNS0_4arch9wavefront6targetE0EEEvS12_
		.amdhsa_group_segment_fixed_size 0
		.amdhsa_private_segment_fixed_size 0
		.amdhsa_kernarg_size 184
		.amdhsa_user_sgpr_count 2
		.amdhsa_user_sgpr_dispatch_ptr 0
		.amdhsa_user_sgpr_queue_ptr 0
		.amdhsa_user_sgpr_kernarg_segment_ptr 1
		.amdhsa_user_sgpr_dispatch_id 0
		.amdhsa_user_sgpr_kernarg_preload_length 0
		.amdhsa_user_sgpr_kernarg_preload_offset 0
		.amdhsa_user_sgpr_private_segment_size 0
		.amdhsa_wavefront_size32 1
		.amdhsa_uses_dynamic_stack 0
		.amdhsa_enable_private_segment 0
		.amdhsa_system_sgpr_workgroup_id_x 1
		.amdhsa_system_sgpr_workgroup_id_y 0
		.amdhsa_system_sgpr_workgroup_id_z 0
		.amdhsa_system_sgpr_workgroup_info 0
		.amdhsa_system_vgpr_workitem_id 0
		.amdhsa_next_free_vgpr 1
		.amdhsa_next_free_sgpr 1
		.amdhsa_named_barrier_count 0
		.amdhsa_reserve_vcc 0
		.amdhsa_float_round_mode_32 0
		.amdhsa_float_round_mode_16_64 0
		.amdhsa_float_denorm_mode_32 3
		.amdhsa_float_denorm_mode_16_64 3
		.amdhsa_fp16_overflow 0
		.amdhsa_memory_ordered 1
		.amdhsa_forward_progress 1
		.amdhsa_inst_pref_size 1
		.amdhsa_round_robin_scheduling 0
		.amdhsa_exception_fp_ieee_invalid_op 0
		.amdhsa_exception_fp_denorm_src 0
		.amdhsa_exception_fp_ieee_div_zero 0
		.amdhsa_exception_fp_ieee_overflow 0
		.amdhsa_exception_fp_ieee_underflow 0
		.amdhsa_exception_fp_ieee_inexact 0
		.amdhsa_exception_int_div_zero 0
	.end_amdhsa_kernel
	.section	.text._ZN7rocprim17ROCPRIM_400000_NS6detail17trampoline_kernelINS0_13select_configILj256ELj13ELNS0_17block_load_methodE3ELS4_3ELS4_3ELNS0_20block_scan_algorithmE0ELj4294967295EEENS1_25partition_config_selectorILNS1_17partition_subalgoE4EjNS0_10empty_typeEbEEZZNS1_14partition_implILS8_4ELb0ES6_15HIP_vector_typeIjLj2EENS0_17counting_iteratorIjlEEPS9_SG_NS0_5tupleIJPjSI_NS0_16reverse_iteratorISI_EEEEENSH_IJSG_SG_SG_EEES9_SI_JZNS1_25segmented_radix_sort_implINS0_14default_configELb1EPKbPbPKlPlN2at6native12_GLOBAL__N_18offset_tEEE10hipError_tPvRmT1_PNSt15iterator_traitsIS12_E10value_typeET2_T3_PNS13_IS18_E10value_typeET4_jRbjT5_S1E_jjP12ihipStream_tbEUljE_ZNSN_ISO_Lb1ESQ_SR_ST_SU_SY_EESZ_S10_S11_S12_S16_S17_S18_S1B_S1C_jS1D_jS1E_S1E_jjS1G_bEUljE0_EEESZ_S10_S11_S18_S1C_S1E_T6_T7_T9_mT8_S1G_bDpT10_ENKUlT_T0_E_clISt17integral_constantIbLb1EES1U_EEDaS1P_S1Q_EUlS1P_E_NS1_11comp_targetILNS1_3genE0ELNS1_11target_archE4294967295ELNS1_3gpuE0ELNS1_3repE0EEENS1_30default_config_static_selectorELNS0_4arch9wavefront6targetE0EEEvS12_,"axG",@progbits,_ZN7rocprim17ROCPRIM_400000_NS6detail17trampoline_kernelINS0_13select_configILj256ELj13ELNS0_17block_load_methodE3ELS4_3ELS4_3ELNS0_20block_scan_algorithmE0ELj4294967295EEENS1_25partition_config_selectorILNS1_17partition_subalgoE4EjNS0_10empty_typeEbEEZZNS1_14partition_implILS8_4ELb0ES6_15HIP_vector_typeIjLj2EENS0_17counting_iteratorIjlEEPS9_SG_NS0_5tupleIJPjSI_NS0_16reverse_iteratorISI_EEEEENSH_IJSG_SG_SG_EEES9_SI_JZNS1_25segmented_radix_sort_implINS0_14default_configELb1EPKbPbPKlPlN2at6native12_GLOBAL__N_18offset_tEEE10hipError_tPvRmT1_PNSt15iterator_traitsIS12_E10value_typeET2_T3_PNS13_IS18_E10value_typeET4_jRbjT5_S1E_jjP12ihipStream_tbEUljE_ZNSN_ISO_Lb1ESQ_SR_ST_SU_SY_EESZ_S10_S11_S12_S16_S17_S18_S1B_S1C_jS1D_jS1E_S1E_jjS1G_bEUljE0_EEESZ_S10_S11_S18_S1C_S1E_T6_T7_T9_mT8_S1G_bDpT10_ENKUlT_T0_E_clISt17integral_constantIbLb1EES1U_EEDaS1P_S1Q_EUlS1P_E_NS1_11comp_targetILNS1_3genE0ELNS1_11target_archE4294967295ELNS1_3gpuE0ELNS1_3repE0EEENS1_30default_config_static_selectorELNS0_4arch9wavefront6targetE0EEEvS12_,comdat
.Lfunc_end1468:
	.size	_ZN7rocprim17ROCPRIM_400000_NS6detail17trampoline_kernelINS0_13select_configILj256ELj13ELNS0_17block_load_methodE3ELS4_3ELS4_3ELNS0_20block_scan_algorithmE0ELj4294967295EEENS1_25partition_config_selectorILNS1_17partition_subalgoE4EjNS0_10empty_typeEbEEZZNS1_14partition_implILS8_4ELb0ES6_15HIP_vector_typeIjLj2EENS0_17counting_iteratorIjlEEPS9_SG_NS0_5tupleIJPjSI_NS0_16reverse_iteratorISI_EEEEENSH_IJSG_SG_SG_EEES9_SI_JZNS1_25segmented_radix_sort_implINS0_14default_configELb1EPKbPbPKlPlN2at6native12_GLOBAL__N_18offset_tEEE10hipError_tPvRmT1_PNSt15iterator_traitsIS12_E10value_typeET2_T3_PNS13_IS18_E10value_typeET4_jRbjT5_S1E_jjP12ihipStream_tbEUljE_ZNSN_ISO_Lb1ESQ_SR_ST_SU_SY_EESZ_S10_S11_S12_S16_S17_S18_S1B_S1C_jS1D_jS1E_S1E_jjS1G_bEUljE0_EEESZ_S10_S11_S18_S1C_S1E_T6_T7_T9_mT8_S1G_bDpT10_ENKUlT_T0_E_clISt17integral_constantIbLb1EES1U_EEDaS1P_S1Q_EUlS1P_E_NS1_11comp_targetILNS1_3genE0ELNS1_11target_archE4294967295ELNS1_3gpuE0ELNS1_3repE0EEENS1_30default_config_static_selectorELNS0_4arch9wavefront6targetE0EEEvS12_, .Lfunc_end1468-_ZN7rocprim17ROCPRIM_400000_NS6detail17trampoline_kernelINS0_13select_configILj256ELj13ELNS0_17block_load_methodE3ELS4_3ELS4_3ELNS0_20block_scan_algorithmE0ELj4294967295EEENS1_25partition_config_selectorILNS1_17partition_subalgoE4EjNS0_10empty_typeEbEEZZNS1_14partition_implILS8_4ELb0ES6_15HIP_vector_typeIjLj2EENS0_17counting_iteratorIjlEEPS9_SG_NS0_5tupleIJPjSI_NS0_16reverse_iteratorISI_EEEEENSH_IJSG_SG_SG_EEES9_SI_JZNS1_25segmented_radix_sort_implINS0_14default_configELb1EPKbPbPKlPlN2at6native12_GLOBAL__N_18offset_tEEE10hipError_tPvRmT1_PNSt15iterator_traitsIS12_E10value_typeET2_T3_PNS13_IS18_E10value_typeET4_jRbjT5_S1E_jjP12ihipStream_tbEUljE_ZNSN_ISO_Lb1ESQ_SR_ST_SU_SY_EESZ_S10_S11_S12_S16_S17_S18_S1B_S1C_jS1D_jS1E_S1E_jjS1G_bEUljE0_EEESZ_S10_S11_S18_S1C_S1E_T6_T7_T9_mT8_S1G_bDpT10_ENKUlT_T0_E_clISt17integral_constantIbLb1EES1U_EEDaS1P_S1Q_EUlS1P_E_NS1_11comp_targetILNS1_3genE0ELNS1_11target_archE4294967295ELNS1_3gpuE0ELNS1_3repE0EEENS1_30default_config_static_selectorELNS0_4arch9wavefront6targetE0EEEvS12_
                                        ; -- End function
	.set _ZN7rocprim17ROCPRIM_400000_NS6detail17trampoline_kernelINS0_13select_configILj256ELj13ELNS0_17block_load_methodE3ELS4_3ELS4_3ELNS0_20block_scan_algorithmE0ELj4294967295EEENS1_25partition_config_selectorILNS1_17partition_subalgoE4EjNS0_10empty_typeEbEEZZNS1_14partition_implILS8_4ELb0ES6_15HIP_vector_typeIjLj2EENS0_17counting_iteratorIjlEEPS9_SG_NS0_5tupleIJPjSI_NS0_16reverse_iteratorISI_EEEEENSH_IJSG_SG_SG_EEES9_SI_JZNS1_25segmented_radix_sort_implINS0_14default_configELb1EPKbPbPKlPlN2at6native12_GLOBAL__N_18offset_tEEE10hipError_tPvRmT1_PNSt15iterator_traitsIS12_E10value_typeET2_T3_PNS13_IS18_E10value_typeET4_jRbjT5_S1E_jjP12ihipStream_tbEUljE_ZNSN_ISO_Lb1ESQ_SR_ST_SU_SY_EESZ_S10_S11_S12_S16_S17_S18_S1B_S1C_jS1D_jS1E_S1E_jjS1G_bEUljE0_EEESZ_S10_S11_S18_S1C_S1E_T6_T7_T9_mT8_S1G_bDpT10_ENKUlT_T0_E_clISt17integral_constantIbLb1EES1U_EEDaS1P_S1Q_EUlS1P_E_NS1_11comp_targetILNS1_3genE0ELNS1_11target_archE4294967295ELNS1_3gpuE0ELNS1_3repE0EEENS1_30default_config_static_selectorELNS0_4arch9wavefront6targetE0EEEvS12_.num_vgpr, 0
	.set _ZN7rocprim17ROCPRIM_400000_NS6detail17trampoline_kernelINS0_13select_configILj256ELj13ELNS0_17block_load_methodE3ELS4_3ELS4_3ELNS0_20block_scan_algorithmE0ELj4294967295EEENS1_25partition_config_selectorILNS1_17partition_subalgoE4EjNS0_10empty_typeEbEEZZNS1_14partition_implILS8_4ELb0ES6_15HIP_vector_typeIjLj2EENS0_17counting_iteratorIjlEEPS9_SG_NS0_5tupleIJPjSI_NS0_16reverse_iteratorISI_EEEEENSH_IJSG_SG_SG_EEES9_SI_JZNS1_25segmented_radix_sort_implINS0_14default_configELb1EPKbPbPKlPlN2at6native12_GLOBAL__N_18offset_tEEE10hipError_tPvRmT1_PNSt15iterator_traitsIS12_E10value_typeET2_T3_PNS13_IS18_E10value_typeET4_jRbjT5_S1E_jjP12ihipStream_tbEUljE_ZNSN_ISO_Lb1ESQ_SR_ST_SU_SY_EESZ_S10_S11_S12_S16_S17_S18_S1B_S1C_jS1D_jS1E_S1E_jjS1G_bEUljE0_EEESZ_S10_S11_S18_S1C_S1E_T6_T7_T9_mT8_S1G_bDpT10_ENKUlT_T0_E_clISt17integral_constantIbLb1EES1U_EEDaS1P_S1Q_EUlS1P_E_NS1_11comp_targetILNS1_3genE0ELNS1_11target_archE4294967295ELNS1_3gpuE0ELNS1_3repE0EEENS1_30default_config_static_selectorELNS0_4arch9wavefront6targetE0EEEvS12_.num_agpr, 0
	.set _ZN7rocprim17ROCPRIM_400000_NS6detail17trampoline_kernelINS0_13select_configILj256ELj13ELNS0_17block_load_methodE3ELS4_3ELS4_3ELNS0_20block_scan_algorithmE0ELj4294967295EEENS1_25partition_config_selectorILNS1_17partition_subalgoE4EjNS0_10empty_typeEbEEZZNS1_14partition_implILS8_4ELb0ES6_15HIP_vector_typeIjLj2EENS0_17counting_iteratorIjlEEPS9_SG_NS0_5tupleIJPjSI_NS0_16reverse_iteratorISI_EEEEENSH_IJSG_SG_SG_EEES9_SI_JZNS1_25segmented_radix_sort_implINS0_14default_configELb1EPKbPbPKlPlN2at6native12_GLOBAL__N_18offset_tEEE10hipError_tPvRmT1_PNSt15iterator_traitsIS12_E10value_typeET2_T3_PNS13_IS18_E10value_typeET4_jRbjT5_S1E_jjP12ihipStream_tbEUljE_ZNSN_ISO_Lb1ESQ_SR_ST_SU_SY_EESZ_S10_S11_S12_S16_S17_S18_S1B_S1C_jS1D_jS1E_S1E_jjS1G_bEUljE0_EEESZ_S10_S11_S18_S1C_S1E_T6_T7_T9_mT8_S1G_bDpT10_ENKUlT_T0_E_clISt17integral_constantIbLb1EES1U_EEDaS1P_S1Q_EUlS1P_E_NS1_11comp_targetILNS1_3genE0ELNS1_11target_archE4294967295ELNS1_3gpuE0ELNS1_3repE0EEENS1_30default_config_static_selectorELNS0_4arch9wavefront6targetE0EEEvS12_.numbered_sgpr, 0
	.set _ZN7rocprim17ROCPRIM_400000_NS6detail17trampoline_kernelINS0_13select_configILj256ELj13ELNS0_17block_load_methodE3ELS4_3ELS4_3ELNS0_20block_scan_algorithmE0ELj4294967295EEENS1_25partition_config_selectorILNS1_17partition_subalgoE4EjNS0_10empty_typeEbEEZZNS1_14partition_implILS8_4ELb0ES6_15HIP_vector_typeIjLj2EENS0_17counting_iteratorIjlEEPS9_SG_NS0_5tupleIJPjSI_NS0_16reverse_iteratorISI_EEEEENSH_IJSG_SG_SG_EEES9_SI_JZNS1_25segmented_radix_sort_implINS0_14default_configELb1EPKbPbPKlPlN2at6native12_GLOBAL__N_18offset_tEEE10hipError_tPvRmT1_PNSt15iterator_traitsIS12_E10value_typeET2_T3_PNS13_IS18_E10value_typeET4_jRbjT5_S1E_jjP12ihipStream_tbEUljE_ZNSN_ISO_Lb1ESQ_SR_ST_SU_SY_EESZ_S10_S11_S12_S16_S17_S18_S1B_S1C_jS1D_jS1E_S1E_jjS1G_bEUljE0_EEESZ_S10_S11_S18_S1C_S1E_T6_T7_T9_mT8_S1G_bDpT10_ENKUlT_T0_E_clISt17integral_constantIbLb1EES1U_EEDaS1P_S1Q_EUlS1P_E_NS1_11comp_targetILNS1_3genE0ELNS1_11target_archE4294967295ELNS1_3gpuE0ELNS1_3repE0EEENS1_30default_config_static_selectorELNS0_4arch9wavefront6targetE0EEEvS12_.num_named_barrier, 0
	.set _ZN7rocprim17ROCPRIM_400000_NS6detail17trampoline_kernelINS0_13select_configILj256ELj13ELNS0_17block_load_methodE3ELS4_3ELS4_3ELNS0_20block_scan_algorithmE0ELj4294967295EEENS1_25partition_config_selectorILNS1_17partition_subalgoE4EjNS0_10empty_typeEbEEZZNS1_14partition_implILS8_4ELb0ES6_15HIP_vector_typeIjLj2EENS0_17counting_iteratorIjlEEPS9_SG_NS0_5tupleIJPjSI_NS0_16reverse_iteratorISI_EEEEENSH_IJSG_SG_SG_EEES9_SI_JZNS1_25segmented_radix_sort_implINS0_14default_configELb1EPKbPbPKlPlN2at6native12_GLOBAL__N_18offset_tEEE10hipError_tPvRmT1_PNSt15iterator_traitsIS12_E10value_typeET2_T3_PNS13_IS18_E10value_typeET4_jRbjT5_S1E_jjP12ihipStream_tbEUljE_ZNSN_ISO_Lb1ESQ_SR_ST_SU_SY_EESZ_S10_S11_S12_S16_S17_S18_S1B_S1C_jS1D_jS1E_S1E_jjS1G_bEUljE0_EEESZ_S10_S11_S18_S1C_S1E_T6_T7_T9_mT8_S1G_bDpT10_ENKUlT_T0_E_clISt17integral_constantIbLb1EES1U_EEDaS1P_S1Q_EUlS1P_E_NS1_11comp_targetILNS1_3genE0ELNS1_11target_archE4294967295ELNS1_3gpuE0ELNS1_3repE0EEENS1_30default_config_static_selectorELNS0_4arch9wavefront6targetE0EEEvS12_.private_seg_size, 0
	.set _ZN7rocprim17ROCPRIM_400000_NS6detail17trampoline_kernelINS0_13select_configILj256ELj13ELNS0_17block_load_methodE3ELS4_3ELS4_3ELNS0_20block_scan_algorithmE0ELj4294967295EEENS1_25partition_config_selectorILNS1_17partition_subalgoE4EjNS0_10empty_typeEbEEZZNS1_14partition_implILS8_4ELb0ES6_15HIP_vector_typeIjLj2EENS0_17counting_iteratorIjlEEPS9_SG_NS0_5tupleIJPjSI_NS0_16reverse_iteratorISI_EEEEENSH_IJSG_SG_SG_EEES9_SI_JZNS1_25segmented_radix_sort_implINS0_14default_configELb1EPKbPbPKlPlN2at6native12_GLOBAL__N_18offset_tEEE10hipError_tPvRmT1_PNSt15iterator_traitsIS12_E10value_typeET2_T3_PNS13_IS18_E10value_typeET4_jRbjT5_S1E_jjP12ihipStream_tbEUljE_ZNSN_ISO_Lb1ESQ_SR_ST_SU_SY_EESZ_S10_S11_S12_S16_S17_S18_S1B_S1C_jS1D_jS1E_S1E_jjS1G_bEUljE0_EEESZ_S10_S11_S18_S1C_S1E_T6_T7_T9_mT8_S1G_bDpT10_ENKUlT_T0_E_clISt17integral_constantIbLb1EES1U_EEDaS1P_S1Q_EUlS1P_E_NS1_11comp_targetILNS1_3genE0ELNS1_11target_archE4294967295ELNS1_3gpuE0ELNS1_3repE0EEENS1_30default_config_static_selectorELNS0_4arch9wavefront6targetE0EEEvS12_.uses_vcc, 0
	.set _ZN7rocprim17ROCPRIM_400000_NS6detail17trampoline_kernelINS0_13select_configILj256ELj13ELNS0_17block_load_methodE3ELS4_3ELS4_3ELNS0_20block_scan_algorithmE0ELj4294967295EEENS1_25partition_config_selectorILNS1_17partition_subalgoE4EjNS0_10empty_typeEbEEZZNS1_14partition_implILS8_4ELb0ES6_15HIP_vector_typeIjLj2EENS0_17counting_iteratorIjlEEPS9_SG_NS0_5tupleIJPjSI_NS0_16reverse_iteratorISI_EEEEENSH_IJSG_SG_SG_EEES9_SI_JZNS1_25segmented_radix_sort_implINS0_14default_configELb1EPKbPbPKlPlN2at6native12_GLOBAL__N_18offset_tEEE10hipError_tPvRmT1_PNSt15iterator_traitsIS12_E10value_typeET2_T3_PNS13_IS18_E10value_typeET4_jRbjT5_S1E_jjP12ihipStream_tbEUljE_ZNSN_ISO_Lb1ESQ_SR_ST_SU_SY_EESZ_S10_S11_S12_S16_S17_S18_S1B_S1C_jS1D_jS1E_S1E_jjS1G_bEUljE0_EEESZ_S10_S11_S18_S1C_S1E_T6_T7_T9_mT8_S1G_bDpT10_ENKUlT_T0_E_clISt17integral_constantIbLb1EES1U_EEDaS1P_S1Q_EUlS1P_E_NS1_11comp_targetILNS1_3genE0ELNS1_11target_archE4294967295ELNS1_3gpuE0ELNS1_3repE0EEENS1_30default_config_static_selectorELNS0_4arch9wavefront6targetE0EEEvS12_.uses_flat_scratch, 0
	.set _ZN7rocprim17ROCPRIM_400000_NS6detail17trampoline_kernelINS0_13select_configILj256ELj13ELNS0_17block_load_methodE3ELS4_3ELS4_3ELNS0_20block_scan_algorithmE0ELj4294967295EEENS1_25partition_config_selectorILNS1_17partition_subalgoE4EjNS0_10empty_typeEbEEZZNS1_14partition_implILS8_4ELb0ES6_15HIP_vector_typeIjLj2EENS0_17counting_iteratorIjlEEPS9_SG_NS0_5tupleIJPjSI_NS0_16reverse_iteratorISI_EEEEENSH_IJSG_SG_SG_EEES9_SI_JZNS1_25segmented_radix_sort_implINS0_14default_configELb1EPKbPbPKlPlN2at6native12_GLOBAL__N_18offset_tEEE10hipError_tPvRmT1_PNSt15iterator_traitsIS12_E10value_typeET2_T3_PNS13_IS18_E10value_typeET4_jRbjT5_S1E_jjP12ihipStream_tbEUljE_ZNSN_ISO_Lb1ESQ_SR_ST_SU_SY_EESZ_S10_S11_S12_S16_S17_S18_S1B_S1C_jS1D_jS1E_S1E_jjS1G_bEUljE0_EEESZ_S10_S11_S18_S1C_S1E_T6_T7_T9_mT8_S1G_bDpT10_ENKUlT_T0_E_clISt17integral_constantIbLb1EES1U_EEDaS1P_S1Q_EUlS1P_E_NS1_11comp_targetILNS1_3genE0ELNS1_11target_archE4294967295ELNS1_3gpuE0ELNS1_3repE0EEENS1_30default_config_static_selectorELNS0_4arch9wavefront6targetE0EEEvS12_.has_dyn_sized_stack, 0
	.set _ZN7rocprim17ROCPRIM_400000_NS6detail17trampoline_kernelINS0_13select_configILj256ELj13ELNS0_17block_load_methodE3ELS4_3ELS4_3ELNS0_20block_scan_algorithmE0ELj4294967295EEENS1_25partition_config_selectorILNS1_17partition_subalgoE4EjNS0_10empty_typeEbEEZZNS1_14partition_implILS8_4ELb0ES6_15HIP_vector_typeIjLj2EENS0_17counting_iteratorIjlEEPS9_SG_NS0_5tupleIJPjSI_NS0_16reverse_iteratorISI_EEEEENSH_IJSG_SG_SG_EEES9_SI_JZNS1_25segmented_radix_sort_implINS0_14default_configELb1EPKbPbPKlPlN2at6native12_GLOBAL__N_18offset_tEEE10hipError_tPvRmT1_PNSt15iterator_traitsIS12_E10value_typeET2_T3_PNS13_IS18_E10value_typeET4_jRbjT5_S1E_jjP12ihipStream_tbEUljE_ZNSN_ISO_Lb1ESQ_SR_ST_SU_SY_EESZ_S10_S11_S12_S16_S17_S18_S1B_S1C_jS1D_jS1E_S1E_jjS1G_bEUljE0_EEESZ_S10_S11_S18_S1C_S1E_T6_T7_T9_mT8_S1G_bDpT10_ENKUlT_T0_E_clISt17integral_constantIbLb1EES1U_EEDaS1P_S1Q_EUlS1P_E_NS1_11comp_targetILNS1_3genE0ELNS1_11target_archE4294967295ELNS1_3gpuE0ELNS1_3repE0EEENS1_30default_config_static_selectorELNS0_4arch9wavefront6targetE0EEEvS12_.has_recursion, 0
	.set _ZN7rocprim17ROCPRIM_400000_NS6detail17trampoline_kernelINS0_13select_configILj256ELj13ELNS0_17block_load_methodE3ELS4_3ELS4_3ELNS0_20block_scan_algorithmE0ELj4294967295EEENS1_25partition_config_selectorILNS1_17partition_subalgoE4EjNS0_10empty_typeEbEEZZNS1_14partition_implILS8_4ELb0ES6_15HIP_vector_typeIjLj2EENS0_17counting_iteratorIjlEEPS9_SG_NS0_5tupleIJPjSI_NS0_16reverse_iteratorISI_EEEEENSH_IJSG_SG_SG_EEES9_SI_JZNS1_25segmented_radix_sort_implINS0_14default_configELb1EPKbPbPKlPlN2at6native12_GLOBAL__N_18offset_tEEE10hipError_tPvRmT1_PNSt15iterator_traitsIS12_E10value_typeET2_T3_PNS13_IS18_E10value_typeET4_jRbjT5_S1E_jjP12ihipStream_tbEUljE_ZNSN_ISO_Lb1ESQ_SR_ST_SU_SY_EESZ_S10_S11_S12_S16_S17_S18_S1B_S1C_jS1D_jS1E_S1E_jjS1G_bEUljE0_EEESZ_S10_S11_S18_S1C_S1E_T6_T7_T9_mT8_S1G_bDpT10_ENKUlT_T0_E_clISt17integral_constantIbLb1EES1U_EEDaS1P_S1Q_EUlS1P_E_NS1_11comp_targetILNS1_3genE0ELNS1_11target_archE4294967295ELNS1_3gpuE0ELNS1_3repE0EEENS1_30default_config_static_selectorELNS0_4arch9wavefront6targetE0EEEvS12_.has_indirect_call, 0
	.section	.AMDGPU.csdata,"",@progbits
; Kernel info:
; codeLenInByte = 4
; TotalNumSgprs: 0
; NumVgprs: 0
; ScratchSize: 0
; MemoryBound: 0
; FloatMode: 240
; IeeeMode: 1
; LDSByteSize: 0 bytes/workgroup (compile time only)
; SGPRBlocks: 0
; VGPRBlocks: 0
; NumSGPRsForWavesPerEU: 1
; NumVGPRsForWavesPerEU: 1
; NamedBarCnt: 0
; Occupancy: 16
; WaveLimiterHint : 0
; COMPUTE_PGM_RSRC2:SCRATCH_EN: 0
; COMPUTE_PGM_RSRC2:USER_SGPR: 2
; COMPUTE_PGM_RSRC2:TRAP_HANDLER: 0
; COMPUTE_PGM_RSRC2:TGID_X_EN: 1
; COMPUTE_PGM_RSRC2:TGID_Y_EN: 0
; COMPUTE_PGM_RSRC2:TGID_Z_EN: 0
; COMPUTE_PGM_RSRC2:TIDIG_COMP_CNT: 0
	.section	.text._ZN7rocprim17ROCPRIM_400000_NS6detail17trampoline_kernelINS0_13select_configILj256ELj13ELNS0_17block_load_methodE3ELS4_3ELS4_3ELNS0_20block_scan_algorithmE0ELj4294967295EEENS1_25partition_config_selectorILNS1_17partition_subalgoE4EjNS0_10empty_typeEbEEZZNS1_14partition_implILS8_4ELb0ES6_15HIP_vector_typeIjLj2EENS0_17counting_iteratorIjlEEPS9_SG_NS0_5tupleIJPjSI_NS0_16reverse_iteratorISI_EEEEENSH_IJSG_SG_SG_EEES9_SI_JZNS1_25segmented_radix_sort_implINS0_14default_configELb1EPKbPbPKlPlN2at6native12_GLOBAL__N_18offset_tEEE10hipError_tPvRmT1_PNSt15iterator_traitsIS12_E10value_typeET2_T3_PNS13_IS18_E10value_typeET4_jRbjT5_S1E_jjP12ihipStream_tbEUljE_ZNSN_ISO_Lb1ESQ_SR_ST_SU_SY_EESZ_S10_S11_S12_S16_S17_S18_S1B_S1C_jS1D_jS1E_S1E_jjS1G_bEUljE0_EEESZ_S10_S11_S18_S1C_S1E_T6_T7_T9_mT8_S1G_bDpT10_ENKUlT_T0_E_clISt17integral_constantIbLb1EES1U_EEDaS1P_S1Q_EUlS1P_E_NS1_11comp_targetILNS1_3genE5ELNS1_11target_archE942ELNS1_3gpuE9ELNS1_3repE0EEENS1_30default_config_static_selectorELNS0_4arch9wavefront6targetE0EEEvS12_,"axG",@progbits,_ZN7rocprim17ROCPRIM_400000_NS6detail17trampoline_kernelINS0_13select_configILj256ELj13ELNS0_17block_load_methodE3ELS4_3ELS4_3ELNS0_20block_scan_algorithmE0ELj4294967295EEENS1_25partition_config_selectorILNS1_17partition_subalgoE4EjNS0_10empty_typeEbEEZZNS1_14partition_implILS8_4ELb0ES6_15HIP_vector_typeIjLj2EENS0_17counting_iteratorIjlEEPS9_SG_NS0_5tupleIJPjSI_NS0_16reverse_iteratorISI_EEEEENSH_IJSG_SG_SG_EEES9_SI_JZNS1_25segmented_radix_sort_implINS0_14default_configELb1EPKbPbPKlPlN2at6native12_GLOBAL__N_18offset_tEEE10hipError_tPvRmT1_PNSt15iterator_traitsIS12_E10value_typeET2_T3_PNS13_IS18_E10value_typeET4_jRbjT5_S1E_jjP12ihipStream_tbEUljE_ZNSN_ISO_Lb1ESQ_SR_ST_SU_SY_EESZ_S10_S11_S12_S16_S17_S18_S1B_S1C_jS1D_jS1E_S1E_jjS1G_bEUljE0_EEESZ_S10_S11_S18_S1C_S1E_T6_T7_T9_mT8_S1G_bDpT10_ENKUlT_T0_E_clISt17integral_constantIbLb1EES1U_EEDaS1P_S1Q_EUlS1P_E_NS1_11comp_targetILNS1_3genE5ELNS1_11target_archE942ELNS1_3gpuE9ELNS1_3repE0EEENS1_30default_config_static_selectorELNS0_4arch9wavefront6targetE0EEEvS12_,comdat
	.globl	_ZN7rocprim17ROCPRIM_400000_NS6detail17trampoline_kernelINS0_13select_configILj256ELj13ELNS0_17block_load_methodE3ELS4_3ELS4_3ELNS0_20block_scan_algorithmE0ELj4294967295EEENS1_25partition_config_selectorILNS1_17partition_subalgoE4EjNS0_10empty_typeEbEEZZNS1_14partition_implILS8_4ELb0ES6_15HIP_vector_typeIjLj2EENS0_17counting_iteratorIjlEEPS9_SG_NS0_5tupleIJPjSI_NS0_16reverse_iteratorISI_EEEEENSH_IJSG_SG_SG_EEES9_SI_JZNS1_25segmented_radix_sort_implINS0_14default_configELb1EPKbPbPKlPlN2at6native12_GLOBAL__N_18offset_tEEE10hipError_tPvRmT1_PNSt15iterator_traitsIS12_E10value_typeET2_T3_PNS13_IS18_E10value_typeET4_jRbjT5_S1E_jjP12ihipStream_tbEUljE_ZNSN_ISO_Lb1ESQ_SR_ST_SU_SY_EESZ_S10_S11_S12_S16_S17_S18_S1B_S1C_jS1D_jS1E_S1E_jjS1G_bEUljE0_EEESZ_S10_S11_S18_S1C_S1E_T6_T7_T9_mT8_S1G_bDpT10_ENKUlT_T0_E_clISt17integral_constantIbLb1EES1U_EEDaS1P_S1Q_EUlS1P_E_NS1_11comp_targetILNS1_3genE5ELNS1_11target_archE942ELNS1_3gpuE9ELNS1_3repE0EEENS1_30default_config_static_selectorELNS0_4arch9wavefront6targetE0EEEvS12_ ; -- Begin function _ZN7rocprim17ROCPRIM_400000_NS6detail17trampoline_kernelINS0_13select_configILj256ELj13ELNS0_17block_load_methodE3ELS4_3ELS4_3ELNS0_20block_scan_algorithmE0ELj4294967295EEENS1_25partition_config_selectorILNS1_17partition_subalgoE4EjNS0_10empty_typeEbEEZZNS1_14partition_implILS8_4ELb0ES6_15HIP_vector_typeIjLj2EENS0_17counting_iteratorIjlEEPS9_SG_NS0_5tupleIJPjSI_NS0_16reverse_iteratorISI_EEEEENSH_IJSG_SG_SG_EEES9_SI_JZNS1_25segmented_radix_sort_implINS0_14default_configELb1EPKbPbPKlPlN2at6native12_GLOBAL__N_18offset_tEEE10hipError_tPvRmT1_PNSt15iterator_traitsIS12_E10value_typeET2_T3_PNS13_IS18_E10value_typeET4_jRbjT5_S1E_jjP12ihipStream_tbEUljE_ZNSN_ISO_Lb1ESQ_SR_ST_SU_SY_EESZ_S10_S11_S12_S16_S17_S18_S1B_S1C_jS1D_jS1E_S1E_jjS1G_bEUljE0_EEESZ_S10_S11_S18_S1C_S1E_T6_T7_T9_mT8_S1G_bDpT10_ENKUlT_T0_E_clISt17integral_constantIbLb1EES1U_EEDaS1P_S1Q_EUlS1P_E_NS1_11comp_targetILNS1_3genE5ELNS1_11target_archE942ELNS1_3gpuE9ELNS1_3repE0EEENS1_30default_config_static_selectorELNS0_4arch9wavefront6targetE0EEEvS12_
	.p2align	8
	.type	_ZN7rocprim17ROCPRIM_400000_NS6detail17trampoline_kernelINS0_13select_configILj256ELj13ELNS0_17block_load_methodE3ELS4_3ELS4_3ELNS0_20block_scan_algorithmE0ELj4294967295EEENS1_25partition_config_selectorILNS1_17partition_subalgoE4EjNS0_10empty_typeEbEEZZNS1_14partition_implILS8_4ELb0ES6_15HIP_vector_typeIjLj2EENS0_17counting_iteratorIjlEEPS9_SG_NS0_5tupleIJPjSI_NS0_16reverse_iteratorISI_EEEEENSH_IJSG_SG_SG_EEES9_SI_JZNS1_25segmented_radix_sort_implINS0_14default_configELb1EPKbPbPKlPlN2at6native12_GLOBAL__N_18offset_tEEE10hipError_tPvRmT1_PNSt15iterator_traitsIS12_E10value_typeET2_T3_PNS13_IS18_E10value_typeET4_jRbjT5_S1E_jjP12ihipStream_tbEUljE_ZNSN_ISO_Lb1ESQ_SR_ST_SU_SY_EESZ_S10_S11_S12_S16_S17_S18_S1B_S1C_jS1D_jS1E_S1E_jjS1G_bEUljE0_EEESZ_S10_S11_S18_S1C_S1E_T6_T7_T9_mT8_S1G_bDpT10_ENKUlT_T0_E_clISt17integral_constantIbLb1EES1U_EEDaS1P_S1Q_EUlS1P_E_NS1_11comp_targetILNS1_3genE5ELNS1_11target_archE942ELNS1_3gpuE9ELNS1_3repE0EEENS1_30default_config_static_selectorELNS0_4arch9wavefront6targetE0EEEvS12_,@function
_ZN7rocprim17ROCPRIM_400000_NS6detail17trampoline_kernelINS0_13select_configILj256ELj13ELNS0_17block_load_methodE3ELS4_3ELS4_3ELNS0_20block_scan_algorithmE0ELj4294967295EEENS1_25partition_config_selectorILNS1_17partition_subalgoE4EjNS0_10empty_typeEbEEZZNS1_14partition_implILS8_4ELb0ES6_15HIP_vector_typeIjLj2EENS0_17counting_iteratorIjlEEPS9_SG_NS0_5tupleIJPjSI_NS0_16reverse_iteratorISI_EEEEENSH_IJSG_SG_SG_EEES9_SI_JZNS1_25segmented_radix_sort_implINS0_14default_configELb1EPKbPbPKlPlN2at6native12_GLOBAL__N_18offset_tEEE10hipError_tPvRmT1_PNSt15iterator_traitsIS12_E10value_typeET2_T3_PNS13_IS18_E10value_typeET4_jRbjT5_S1E_jjP12ihipStream_tbEUljE_ZNSN_ISO_Lb1ESQ_SR_ST_SU_SY_EESZ_S10_S11_S12_S16_S17_S18_S1B_S1C_jS1D_jS1E_S1E_jjS1G_bEUljE0_EEESZ_S10_S11_S18_S1C_S1E_T6_T7_T9_mT8_S1G_bDpT10_ENKUlT_T0_E_clISt17integral_constantIbLb1EES1U_EEDaS1P_S1Q_EUlS1P_E_NS1_11comp_targetILNS1_3genE5ELNS1_11target_archE942ELNS1_3gpuE9ELNS1_3repE0EEENS1_30default_config_static_selectorELNS0_4arch9wavefront6targetE0EEEvS12_: ; @_ZN7rocprim17ROCPRIM_400000_NS6detail17trampoline_kernelINS0_13select_configILj256ELj13ELNS0_17block_load_methodE3ELS4_3ELS4_3ELNS0_20block_scan_algorithmE0ELj4294967295EEENS1_25partition_config_selectorILNS1_17partition_subalgoE4EjNS0_10empty_typeEbEEZZNS1_14partition_implILS8_4ELb0ES6_15HIP_vector_typeIjLj2EENS0_17counting_iteratorIjlEEPS9_SG_NS0_5tupleIJPjSI_NS0_16reverse_iteratorISI_EEEEENSH_IJSG_SG_SG_EEES9_SI_JZNS1_25segmented_radix_sort_implINS0_14default_configELb1EPKbPbPKlPlN2at6native12_GLOBAL__N_18offset_tEEE10hipError_tPvRmT1_PNSt15iterator_traitsIS12_E10value_typeET2_T3_PNS13_IS18_E10value_typeET4_jRbjT5_S1E_jjP12ihipStream_tbEUljE_ZNSN_ISO_Lb1ESQ_SR_ST_SU_SY_EESZ_S10_S11_S12_S16_S17_S18_S1B_S1C_jS1D_jS1E_S1E_jjS1G_bEUljE0_EEESZ_S10_S11_S18_S1C_S1E_T6_T7_T9_mT8_S1G_bDpT10_ENKUlT_T0_E_clISt17integral_constantIbLb1EES1U_EEDaS1P_S1Q_EUlS1P_E_NS1_11comp_targetILNS1_3genE5ELNS1_11target_archE942ELNS1_3gpuE9ELNS1_3repE0EEENS1_30default_config_static_selectorELNS0_4arch9wavefront6targetE0EEEvS12_
; %bb.0:
	.section	.rodata,"a",@progbits
	.p2align	6, 0x0
	.amdhsa_kernel _ZN7rocprim17ROCPRIM_400000_NS6detail17trampoline_kernelINS0_13select_configILj256ELj13ELNS0_17block_load_methodE3ELS4_3ELS4_3ELNS0_20block_scan_algorithmE0ELj4294967295EEENS1_25partition_config_selectorILNS1_17partition_subalgoE4EjNS0_10empty_typeEbEEZZNS1_14partition_implILS8_4ELb0ES6_15HIP_vector_typeIjLj2EENS0_17counting_iteratorIjlEEPS9_SG_NS0_5tupleIJPjSI_NS0_16reverse_iteratorISI_EEEEENSH_IJSG_SG_SG_EEES9_SI_JZNS1_25segmented_radix_sort_implINS0_14default_configELb1EPKbPbPKlPlN2at6native12_GLOBAL__N_18offset_tEEE10hipError_tPvRmT1_PNSt15iterator_traitsIS12_E10value_typeET2_T3_PNS13_IS18_E10value_typeET4_jRbjT5_S1E_jjP12ihipStream_tbEUljE_ZNSN_ISO_Lb1ESQ_SR_ST_SU_SY_EESZ_S10_S11_S12_S16_S17_S18_S1B_S1C_jS1D_jS1E_S1E_jjS1G_bEUljE0_EEESZ_S10_S11_S18_S1C_S1E_T6_T7_T9_mT8_S1G_bDpT10_ENKUlT_T0_E_clISt17integral_constantIbLb1EES1U_EEDaS1P_S1Q_EUlS1P_E_NS1_11comp_targetILNS1_3genE5ELNS1_11target_archE942ELNS1_3gpuE9ELNS1_3repE0EEENS1_30default_config_static_selectorELNS0_4arch9wavefront6targetE0EEEvS12_
		.amdhsa_group_segment_fixed_size 0
		.amdhsa_private_segment_fixed_size 0
		.amdhsa_kernarg_size 184
		.amdhsa_user_sgpr_count 2
		.amdhsa_user_sgpr_dispatch_ptr 0
		.amdhsa_user_sgpr_queue_ptr 0
		.amdhsa_user_sgpr_kernarg_segment_ptr 1
		.amdhsa_user_sgpr_dispatch_id 0
		.amdhsa_user_sgpr_kernarg_preload_length 0
		.amdhsa_user_sgpr_kernarg_preload_offset 0
		.amdhsa_user_sgpr_private_segment_size 0
		.amdhsa_wavefront_size32 1
		.amdhsa_uses_dynamic_stack 0
		.amdhsa_enable_private_segment 0
		.amdhsa_system_sgpr_workgroup_id_x 1
		.amdhsa_system_sgpr_workgroup_id_y 0
		.amdhsa_system_sgpr_workgroup_id_z 0
		.amdhsa_system_sgpr_workgroup_info 0
		.amdhsa_system_vgpr_workitem_id 0
		.amdhsa_next_free_vgpr 1
		.amdhsa_next_free_sgpr 1
		.amdhsa_named_barrier_count 0
		.amdhsa_reserve_vcc 0
		.amdhsa_float_round_mode_32 0
		.amdhsa_float_round_mode_16_64 0
		.amdhsa_float_denorm_mode_32 3
		.amdhsa_float_denorm_mode_16_64 3
		.amdhsa_fp16_overflow 0
		.amdhsa_memory_ordered 1
		.amdhsa_forward_progress 1
		.amdhsa_inst_pref_size 0
		.amdhsa_round_robin_scheduling 0
		.amdhsa_exception_fp_ieee_invalid_op 0
		.amdhsa_exception_fp_denorm_src 0
		.amdhsa_exception_fp_ieee_div_zero 0
		.amdhsa_exception_fp_ieee_overflow 0
		.amdhsa_exception_fp_ieee_underflow 0
		.amdhsa_exception_fp_ieee_inexact 0
		.amdhsa_exception_int_div_zero 0
	.end_amdhsa_kernel
	.section	.text._ZN7rocprim17ROCPRIM_400000_NS6detail17trampoline_kernelINS0_13select_configILj256ELj13ELNS0_17block_load_methodE3ELS4_3ELS4_3ELNS0_20block_scan_algorithmE0ELj4294967295EEENS1_25partition_config_selectorILNS1_17partition_subalgoE4EjNS0_10empty_typeEbEEZZNS1_14partition_implILS8_4ELb0ES6_15HIP_vector_typeIjLj2EENS0_17counting_iteratorIjlEEPS9_SG_NS0_5tupleIJPjSI_NS0_16reverse_iteratorISI_EEEEENSH_IJSG_SG_SG_EEES9_SI_JZNS1_25segmented_radix_sort_implINS0_14default_configELb1EPKbPbPKlPlN2at6native12_GLOBAL__N_18offset_tEEE10hipError_tPvRmT1_PNSt15iterator_traitsIS12_E10value_typeET2_T3_PNS13_IS18_E10value_typeET4_jRbjT5_S1E_jjP12ihipStream_tbEUljE_ZNSN_ISO_Lb1ESQ_SR_ST_SU_SY_EESZ_S10_S11_S12_S16_S17_S18_S1B_S1C_jS1D_jS1E_S1E_jjS1G_bEUljE0_EEESZ_S10_S11_S18_S1C_S1E_T6_T7_T9_mT8_S1G_bDpT10_ENKUlT_T0_E_clISt17integral_constantIbLb1EES1U_EEDaS1P_S1Q_EUlS1P_E_NS1_11comp_targetILNS1_3genE5ELNS1_11target_archE942ELNS1_3gpuE9ELNS1_3repE0EEENS1_30default_config_static_selectorELNS0_4arch9wavefront6targetE0EEEvS12_,"axG",@progbits,_ZN7rocprim17ROCPRIM_400000_NS6detail17trampoline_kernelINS0_13select_configILj256ELj13ELNS0_17block_load_methodE3ELS4_3ELS4_3ELNS0_20block_scan_algorithmE0ELj4294967295EEENS1_25partition_config_selectorILNS1_17partition_subalgoE4EjNS0_10empty_typeEbEEZZNS1_14partition_implILS8_4ELb0ES6_15HIP_vector_typeIjLj2EENS0_17counting_iteratorIjlEEPS9_SG_NS0_5tupleIJPjSI_NS0_16reverse_iteratorISI_EEEEENSH_IJSG_SG_SG_EEES9_SI_JZNS1_25segmented_radix_sort_implINS0_14default_configELb1EPKbPbPKlPlN2at6native12_GLOBAL__N_18offset_tEEE10hipError_tPvRmT1_PNSt15iterator_traitsIS12_E10value_typeET2_T3_PNS13_IS18_E10value_typeET4_jRbjT5_S1E_jjP12ihipStream_tbEUljE_ZNSN_ISO_Lb1ESQ_SR_ST_SU_SY_EESZ_S10_S11_S12_S16_S17_S18_S1B_S1C_jS1D_jS1E_S1E_jjS1G_bEUljE0_EEESZ_S10_S11_S18_S1C_S1E_T6_T7_T9_mT8_S1G_bDpT10_ENKUlT_T0_E_clISt17integral_constantIbLb1EES1U_EEDaS1P_S1Q_EUlS1P_E_NS1_11comp_targetILNS1_3genE5ELNS1_11target_archE942ELNS1_3gpuE9ELNS1_3repE0EEENS1_30default_config_static_selectorELNS0_4arch9wavefront6targetE0EEEvS12_,comdat
.Lfunc_end1469:
	.size	_ZN7rocprim17ROCPRIM_400000_NS6detail17trampoline_kernelINS0_13select_configILj256ELj13ELNS0_17block_load_methodE3ELS4_3ELS4_3ELNS0_20block_scan_algorithmE0ELj4294967295EEENS1_25partition_config_selectorILNS1_17partition_subalgoE4EjNS0_10empty_typeEbEEZZNS1_14partition_implILS8_4ELb0ES6_15HIP_vector_typeIjLj2EENS0_17counting_iteratorIjlEEPS9_SG_NS0_5tupleIJPjSI_NS0_16reverse_iteratorISI_EEEEENSH_IJSG_SG_SG_EEES9_SI_JZNS1_25segmented_radix_sort_implINS0_14default_configELb1EPKbPbPKlPlN2at6native12_GLOBAL__N_18offset_tEEE10hipError_tPvRmT1_PNSt15iterator_traitsIS12_E10value_typeET2_T3_PNS13_IS18_E10value_typeET4_jRbjT5_S1E_jjP12ihipStream_tbEUljE_ZNSN_ISO_Lb1ESQ_SR_ST_SU_SY_EESZ_S10_S11_S12_S16_S17_S18_S1B_S1C_jS1D_jS1E_S1E_jjS1G_bEUljE0_EEESZ_S10_S11_S18_S1C_S1E_T6_T7_T9_mT8_S1G_bDpT10_ENKUlT_T0_E_clISt17integral_constantIbLb1EES1U_EEDaS1P_S1Q_EUlS1P_E_NS1_11comp_targetILNS1_3genE5ELNS1_11target_archE942ELNS1_3gpuE9ELNS1_3repE0EEENS1_30default_config_static_selectorELNS0_4arch9wavefront6targetE0EEEvS12_, .Lfunc_end1469-_ZN7rocprim17ROCPRIM_400000_NS6detail17trampoline_kernelINS0_13select_configILj256ELj13ELNS0_17block_load_methodE3ELS4_3ELS4_3ELNS0_20block_scan_algorithmE0ELj4294967295EEENS1_25partition_config_selectorILNS1_17partition_subalgoE4EjNS0_10empty_typeEbEEZZNS1_14partition_implILS8_4ELb0ES6_15HIP_vector_typeIjLj2EENS0_17counting_iteratorIjlEEPS9_SG_NS0_5tupleIJPjSI_NS0_16reverse_iteratorISI_EEEEENSH_IJSG_SG_SG_EEES9_SI_JZNS1_25segmented_radix_sort_implINS0_14default_configELb1EPKbPbPKlPlN2at6native12_GLOBAL__N_18offset_tEEE10hipError_tPvRmT1_PNSt15iterator_traitsIS12_E10value_typeET2_T3_PNS13_IS18_E10value_typeET4_jRbjT5_S1E_jjP12ihipStream_tbEUljE_ZNSN_ISO_Lb1ESQ_SR_ST_SU_SY_EESZ_S10_S11_S12_S16_S17_S18_S1B_S1C_jS1D_jS1E_S1E_jjS1G_bEUljE0_EEESZ_S10_S11_S18_S1C_S1E_T6_T7_T9_mT8_S1G_bDpT10_ENKUlT_T0_E_clISt17integral_constantIbLb1EES1U_EEDaS1P_S1Q_EUlS1P_E_NS1_11comp_targetILNS1_3genE5ELNS1_11target_archE942ELNS1_3gpuE9ELNS1_3repE0EEENS1_30default_config_static_selectorELNS0_4arch9wavefront6targetE0EEEvS12_
                                        ; -- End function
	.set _ZN7rocprim17ROCPRIM_400000_NS6detail17trampoline_kernelINS0_13select_configILj256ELj13ELNS0_17block_load_methodE3ELS4_3ELS4_3ELNS0_20block_scan_algorithmE0ELj4294967295EEENS1_25partition_config_selectorILNS1_17partition_subalgoE4EjNS0_10empty_typeEbEEZZNS1_14partition_implILS8_4ELb0ES6_15HIP_vector_typeIjLj2EENS0_17counting_iteratorIjlEEPS9_SG_NS0_5tupleIJPjSI_NS0_16reverse_iteratorISI_EEEEENSH_IJSG_SG_SG_EEES9_SI_JZNS1_25segmented_radix_sort_implINS0_14default_configELb1EPKbPbPKlPlN2at6native12_GLOBAL__N_18offset_tEEE10hipError_tPvRmT1_PNSt15iterator_traitsIS12_E10value_typeET2_T3_PNS13_IS18_E10value_typeET4_jRbjT5_S1E_jjP12ihipStream_tbEUljE_ZNSN_ISO_Lb1ESQ_SR_ST_SU_SY_EESZ_S10_S11_S12_S16_S17_S18_S1B_S1C_jS1D_jS1E_S1E_jjS1G_bEUljE0_EEESZ_S10_S11_S18_S1C_S1E_T6_T7_T9_mT8_S1G_bDpT10_ENKUlT_T0_E_clISt17integral_constantIbLb1EES1U_EEDaS1P_S1Q_EUlS1P_E_NS1_11comp_targetILNS1_3genE5ELNS1_11target_archE942ELNS1_3gpuE9ELNS1_3repE0EEENS1_30default_config_static_selectorELNS0_4arch9wavefront6targetE0EEEvS12_.num_vgpr, 0
	.set _ZN7rocprim17ROCPRIM_400000_NS6detail17trampoline_kernelINS0_13select_configILj256ELj13ELNS0_17block_load_methodE3ELS4_3ELS4_3ELNS0_20block_scan_algorithmE0ELj4294967295EEENS1_25partition_config_selectorILNS1_17partition_subalgoE4EjNS0_10empty_typeEbEEZZNS1_14partition_implILS8_4ELb0ES6_15HIP_vector_typeIjLj2EENS0_17counting_iteratorIjlEEPS9_SG_NS0_5tupleIJPjSI_NS0_16reverse_iteratorISI_EEEEENSH_IJSG_SG_SG_EEES9_SI_JZNS1_25segmented_radix_sort_implINS0_14default_configELb1EPKbPbPKlPlN2at6native12_GLOBAL__N_18offset_tEEE10hipError_tPvRmT1_PNSt15iterator_traitsIS12_E10value_typeET2_T3_PNS13_IS18_E10value_typeET4_jRbjT5_S1E_jjP12ihipStream_tbEUljE_ZNSN_ISO_Lb1ESQ_SR_ST_SU_SY_EESZ_S10_S11_S12_S16_S17_S18_S1B_S1C_jS1D_jS1E_S1E_jjS1G_bEUljE0_EEESZ_S10_S11_S18_S1C_S1E_T6_T7_T9_mT8_S1G_bDpT10_ENKUlT_T0_E_clISt17integral_constantIbLb1EES1U_EEDaS1P_S1Q_EUlS1P_E_NS1_11comp_targetILNS1_3genE5ELNS1_11target_archE942ELNS1_3gpuE9ELNS1_3repE0EEENS1_30default_config_static_selectorELNS0_4arch9wavefront6targetE0EEEvS12_.num_agpr, 0
	.set _ZN7rocprim17ROCPRIM_400000_NS6detail17trampoline_kernelINS0_13select_configILj256ELj13ELNS0_17block_load_methodE3ELS4_3ELS4_3ELNS0_20block_scan_algorithmE0ELj4294967295EEENS1_25partition_config_selectorILNS1_17partition_subalgoE4EjNS0_10empty_typeEbEEZZNS1_14partition_implILS8_4ELb0ES6_15HIP_vector_typeIjLj2EENS0_17counting_iteratorIjlEEPS9_SG_NS0_5tupleIJPjSI_NS0_16reverse_iteratorISI_EEEEENSH_IJSG_SG_SG_EEES9_SI_JZNS1_25segmented_radix_sort_implINS0_14default_configELb1EPKbPbPKlPlN2at6native12_GLOBAL__N_18offset_tEEE10hipError_tPvRmT1_PNSt15iterator_traitsIS12_E10value_typeET2_T3_PNS13_IS18_E10value_typeET4_jRbjT5_S1E_jjP12ihipStream_tbEUljE_ZNSN_ISO_Lb1ESQ_SR_ST_SU_SY_EESZ_S10_S11_S12_S16_S17_S18_S1B_S1C_jS1D_jS1E_S1E_jjS1G_bEUljE0_EEESZ_S10_S11_S18_S1C_S1E_T6_T7_T9_mT8_S1G_bDpT10_ENKUlT_T0_E_clISt17integral_constantIbLb1EES1U_EEDaS1P_S1Q_EUlS1P_E_NS1_11comp_targetILNS1_3genE5ELNS1_11target_archE942ELNS1_3gpuE9ELNS1_3repE0EEENS1_30default_config_static_selectorELNS0_4arch9wavefront6targetE0EEEvS12_.numbered_sgpr, 0
	.set _ZN7rocprim17ROCPRIM_400000_NS6detail17trampoline_kernelINS0_13select_configILj256ELj13ELNS0_17block_load_methodE3ELS4_3ELS4_3ELNS0_20block_scan_algorithmE0ELj4294967295EEENS1_25partition_config_selectorILNS1_17partition_subalgoE4EjNS0_10empty_typeEbEEZZNS1_14partition_implILS8_4ELb0ES6_15HIP_vector_typeIjLj2EENS0_17counting_iteratorIjlEEPS9_SG_NS0_5tupleIJPjSI_NS0_16reverse_iteratorISI_EEEEENSH_IJSG_SG_SG_EEES9_SI_JZNS1_25segmented_radix_sort_implINS0_14default_configELb1EPKbPbPKlPlN2at6native12_GLOBAL__N_18offset_tEEE10hipError_tPvRmT1_PNSt15iterator_traitsIS12_E10value_typeET2_T3_PNS13_IS18_E10value_typeET4_jRbjT5_S1E_jjP12ihipStream_tbEUljE_ZNSN_ISO_Lb1ESQ_SR_ST_SU_SY_EESZ_S10_S11_S12_S16_S17_S18_S1B_S1C_jS1D_jS1E_S1E_jjS1G_bEUljE0_EEESZ_S10_S11_S18_S1C_S1E_T6_T7_T9_mT8_S1G_bDpT10_ENKUlT_T0_E_clISt17integral_constantIbLb1EES1U_EEDaS1P_S1Q_EUlS1P_E_NS1_11comp_targetILNS1_3genE5ELNS1_11target_archE942ELNS1_3gpuE9ELNS1_3repE0EEENS1_30default_config_static_selectorELNS0_4arch9wavefront6targetE0EEEvS12_.num_named_barrier, 0
	.set _ZN7rocprim17ROCPRIM_400000_NS6detail17trampoline_kernelINS0_13select_configILj256ELj13ELNS0_17block_load_methodE3ELS4_3ELS4_3ELNS0_20block_scan_algorithmE0ELj4294967295EEENS1_25partition_config_selectorILNS1_17partition_subalgoE4EjNS0_10empty_typeEbEEZZNS1_14partition_implILS8_4ELb0ES6_15HIP_vector_typeIjLj2EENS0_17counting_iteratorIjlEEPS9_SG_NS0_5tupleIJPjSI_NS0_16reverse_iteratorISI_EEEEENSH_IJSG_SG_SG_EEES9_SI_JZNS1_25segmented_radix_sort_implINS0_14default_configELb1EPKbPbPKlPlN2at6native12_GLOBAL__N_18offset_tEEE10hipError_tPvRmT1_PNSt15iterator_traitsIS12_E10value_typeET2_T3_PNS13_IS18_E10value_typeET4_jRbjT5_S1E_jjP12ihipStream_tbEUljE_ZNSN_ISO_Lb1ESQ_SR_ST_SU_SY_EESZ_S10_S11_S12_S16_S17_S18_S1B_S1C_jS1D_jS1E_S1E_jjS1G_bEUljE0_EEESZ_S10_S11_S18_S1C_S1E_T6_T7_T9_mT8_S1G_bDpT10_ENKUlT_T0_E_clISt17integral_constantIbLb1EES1U_EEDaS1P_S1Q_EUlS1P_E_NS1_11comp_targetILNS1_3genE5ELNS1_11target_archE942ELNS1_3gpuE9ELNS1_3repE0EEENS1_30default_config_static_selectorELNS0_4arch9wavefront6targetE0EEEvS12_.private_seg_size, 0
	.set _ZN7rocprim17ROCPRIM_400000_NS6detail17trampoline_kernelINS0_13select_configILj256ELj13ELNS0_17block_load_methodE3ELS4_3ELS4_3ELNS0_20block_scan_algorithmE0ELj4294967295EEENS1_25partition_config_selectorILNS1_17partition_subalgoE4EjNS0_10empty_typeEbEEZZNS1_14partition_implILS8_4ELb0ES6_15HIP_vector_typeIjLj2EENS0_17counting_iteratorIjlEEPS9_SG_NS0_5tupleIJPjSI_NS0_16reverse_iteratorISI_EEEEENSH_IJSG_SG_SG_EEES9_SI_JZNS1_25segmented_radix_sort_implINS0_14default_configELb1EPKbPbPKlPlN2at6native12_GLOBAL__N_18offset_tEEE10hipError_tPvRmT1_PNSt15iterator_traitsIS12_E10value_typeET2_T3_PNS13_IS18_E10value_typeET4_jRbjT5_S1E_jjP12ihipStream_tbEUljE_ZNSN_ISO_Lb1ESQ_SR_ST_SU_SY_EESZ_S10_S11_S12_S16_S17_S18_S1B_S1C_jS1D_jS1E_S1E_jjS1G_bEUljE0_EEESZ_S10_S11_S18_S1C_S1E_T6_T7_T9_mT8_S1G_bDpT10_ENKUlT_T0_E_clISt17integral_constantIbLb1EES1U_EEDaS1P_S1Q_EUlS1P_E_NS1_11comp_targetILNS1_3genE5ELNS1_11target_archE942ELNS1_3gpuE9ELNS1_3repE0EEENS1_30default_config_static_selectorELNS0_4arch9wavefront6targetE0EEEvS12_.uses_vcc, 0
	.set _ZN7rocprim17ROCPRIM_400000_NS6detail17trampoline_kernelINS0_13select_configILj256ELj13ELNS0_17block_load_methodE3ELS4_3ELS4_3ELNS0_20block_scan_algorithmE0ELj4294967295EEENS1_25partition_config_selectorILNS1_17partition_subalgoE4EjNS0_10empty_typeEbEEZZNS1_14partition_implILS8_4ELb0ES6_15HIP_vector_typeIjLj2EENS0_17counting_iteratorIjlEEPS9_SG_NS0_5tupleIJPjSI_NS0_16reverse_iteratorISI_EEEEENSH_IJSG_SG_SG_EEES9_SI_JZNS1_25segmented_radix_sort_implINS0_14default_configELb1EPKbPbPKlPlN2at6native12_GLOBAL__N_18offset_tEEE10hipError_tPvRmT1_PNSt15iterator_traitsIS12_E10value_typeET2_T3_PNS13_IS18_E10value_typeET4_jRbjT5_S1E_jjP12ihipStream_tbEUljE_ZNSN_ISO_Lb1ESQ_SR_ST_SU_SY_EESZ_S10_S11_S12_S16_S17_S18_S1B_S1C_jS1D_jS1E_S1E_jjS1G_bEUljE0_EEESZ_S10_S11_S18_S1C_S1E_T6_T7_T9_mT8_S1G_bDpT10_ENKUlT_T0_E_clISt17integral_constantIbLb1EES1U_EEDaS1P_S1Q_EUlS1P_E_NS1_11comp_targetILNS1_3genE5ELNS1_11target_archE942ELNS1_3gpuE9ELNS1_3repE0EEENS1_30default_config_static_selectorELNS0_4arch9wavefront6targetE0EEEvS12_.uses_flat_scratch, 0
	.set _ZN7rocprim17ROCPRIM_400000_NS6detail17trampoline_kernelINS0_13select_configILj256ELj13ELNS0_17block_load_methodE3ELS4_3ELS4_3ELNS0_20block_scan_algorithmE0ELj4294967295EEENS1_25partition_config_selectorILNS1_17partition_subalgoE4EjNS0_10empty_typeEbEEZZNS1_14partition_implILS8_4ELb0ES6_15HIP_vector_typeIjLj2EENS0_17counting_iteratorIjlEEPS9_SG_NS0_5tupleIJPjSI_NS0_16reverse_iteratorISI_EEEEENSH_IJSG_SG_SG_EEES9_SI_JZNS1_25segmented_radix_sort_implINS0_14default_configELb1EPKbPbPKlPlN2at6native12_GLOBAL__N_18offset_tEEE10hipError_tPvRmT1_PNSt15iterator_traitsIS12_E10value_typeET2_T3_PNS13_IS18_E10value_typeET4_jRbjT5_S1E_jjP12ihipStream_tbEUljE_ZNSN_ISO_Lb1ESQ_SR_ST_SU_SY_EESZ_S10_S11_S12_S16_S17_S18_S1B_S1C_jS1D_jS1E_S1E_jjS1G_bEUljE0_EEESZ_S10_S11_S18_S1C_S1E_T6_T7_T9_mT8_S1G_bDpT10_ENKUlT_T0_E_clISt17integral_constantIbLb1EES1U_EEDaS1P_S1Q_EUlS1P_E_NS1_11comp_targetILNS1_3genE5ELNS1_11target_archE942ELNS1_3gpuE9ELNS1_3repE0EEENS1_30default_config_static_selectorELNS0_4arch9wavefront6targetE0EEEvS12_.has_dyn_sized_stack, 0
	.set _ZN7rocprim17ROCPRIM_400000_NS6detail17trampoline_kernelINS0_13select_configILj256ELj13ELNS0_17block_load_methodE3ELS4_3ELS4_3ELNS0_20block_scan_algorithmE0ELj4294967295EEENS1_25partition_config_selectorILNS1_17partition_subalgoE4EjNS0_10empty_typeEbEEZZNS1_14partition_implILS8_4ELb0ES6_15HIP_vector_typeIjLj2EENS0_17counting_iteratorIjlEEPS9_SG_NS0_5tupleIJPjSI_NS0_16reverse_iteratorISI_EEEEENSH_IJSG_SG_SG_EEES9_SI_JZNS1_25segmented_radix_sort_implINS0_14default_configELb1EPKbPbPKlPlN2at6native12_GLOBAL__N_18offset_tEEE10hipError_tPvRmT1_PNSt15iterator_traitsIS12_E10value_typeET2_T3_PNS13_IS18_E10value_typeET4_jRbjT5_S1E_jjP12ihipStream_tbEUljE_ZNSN_ISO_Lb1ESQ_SR_ST_SU_SY_EESZ_S10_S11_S12_S16_S17_S18_S1B_S1C_jS1D_jS1E_S1E_jjS1G_bEUljE0_EEESZ_S10_S11_S18_S1C_S1E_T6_T7_T9_mT8_S1G_bDpT10_ENKUlT_T0_E_clISt17integral_constantIbLb1EES1U_EEDaS1P_S1Q_EUlS1P_E_NS1_11comp_targetILNS1_3genE5ELNS1_11target_archE942ELNS1_3gpuE9ELNS1_3repE0EEENS1_30default_config_static_selectorELNS0_4arch9wavefront6targetE0EEEvS12_.has_recursion, 0
	.set _ZN7rocprim17ROCPRIM_400000_NS6detail17trampoline_kernelINS0_13select_configILj256ELj13ELNS0_17block_load_methodE3ELS4_3ELS4_3ELNS0_20block_scan_algorithmE0ELj4294967295EEENS1_25partition_config_selectorILNS1_17partition_subalgoE4EjNS0_10empty_typeEbEEZZNS1_14partition_implILS8_4ELb0ES6_15HIP_vector_typeIjLj2EENS0_17counting_iteratorIjlEEPS9_SG_NS0_5tupleIJPjSI_NS0_16reverse_iteratorISI_EEEEENSH_IJSG_SG_SG_EEES9_SI_JZNS1_25segmented_radix_sort_implINS0_14default_configELb1EPKbPbPKlPlN2at6native12_GLOBAL__N_18offset_tEEE10hipError_tPvRmT1_PNSt15iterator_traitsIS12_E10value_typeET2_T3_PNS13_IS18_E10value_typeET4_jRbjT5_S1E_jjP12ihipStream_tbEUljE_ZNSN_ISO_Lb1ESQ_SR_ST_SU_SY_EESZ_S10_S11_S12_S16_S17_S18_S1B_S1C_jS1D_jS1E_S1E_jjS1G_bEUljE0_EEESZ_S10_S11_S18_S1C_S1E_T6_T7_T9_mT8_S1G_bDpT10_ENKUlT_T0_E_clISt17integral_constantIbLb1EES1U_EEDaS1P_S1Q_EUlS1P_E_NS1_11comp_targetILNS1_3genE5ELNS1_11target_archE942ELNS1_3gpuE9ELNS1_3repE0EEENS1_30default_config_static_selectorELNS0_4arch9wavefront6targetE0EEEvS12_.has_indirect_call, 0
	.section	.AMDGPU.csdata,"",@progbits
; Kernel info:
; codeLenInByte = 0
; TotalNumSgprs: 0
; NumVgprs: 0
; ScratchSize: 0
; MemoryBound: 0
; FloatMode: 240
; IeeeMode: 1
; LDSByteSize: 0 bytes/workgroup (compile time only)
; SGPRBlocks: 0
; VGPRBlocks: 0
; NumSGPRsForWavesPerEU: 1
; NumVGPRsForWavesPerEU: 1
; NamedBarCnt: 0
; Occupancy: 16
; WaveLimiterHint : 0
; COMPUTE_PGM_RSRC2:SCRATCH_EN: 0
; COMPUTE_PGM_RSRC2:USER_SGPR: 2
; COMPUTE_PGM_RSRC2:TRAP_HANDLER: 0
; COMPUTE_PGM_RSRC2:TGID_X_EN: 1
; COMPUTE_PGM_RSRC2:TGID_Y_EN: 0
; COMPUTE_PGM_RSRC2:TGID_Z_EN: 0
; COMPUTE_PGM_RSRC2:TIDIG_COMP_CNT: 0
	.section	.text._ZN7rocprim17ROCPRIM_400000_NS6detail17trampoline_kernelINS0_13select_configILj256ELj13ELNS0_17block_load_methodE3ELS4_3ELS4_3ELNS0_20block_scan_algorithmE0ELj4294967295EEENS1_25partition_config_selectorILNS1_17partition_subalgoE4EjNS0_10empty_typeEbEEZZNS1_14partition_implILS8_4ELb0ES6_15HIP_vector_typeIjLj2EENS0_17counting_iteratorIjlEEPS9_SG_NS0_5tupleIJPjSI_NS0_16reverse_iteratorISI_EEEEENSH_IJSG_SG_SG_EEES9_SI_JZNS1_25segmented_radix_sort_implINS0_14default_configELb1EPKbPbPKlPlN2at6native12_GLOBAL__N_18offset_tEEE10hipError_tPvRmT1_PNSt15iterator_traitsIS12_E10value_typeET2_T3_PNS13_IS18_E10value_typeET4_jRbjT5_S1E_jjP12ihipStream_tbEUljE_ZNSN_ISO_Lb1ESQ_SR_ST_SU_SY_EESZ_S10_S11_S12_S16_S17_S18_S1B_S1C_jS1D_jS1E_S1E_jjS1G_bEUljE0_EEESZ_S10_S11_S18_S1C_S1E_T6_T7_T9_mT8_S1G_bDpT10_ENKUlT_T0_E_clISt17integral_constantIbLb1EES1U_EEDaS1P_S1Q_EUlS1P_E_NS1_11comp_targetILNS1_3genE4ELNS1_11target_archE910ELNS1_3gpuE8ELNS1_3repE0EEENS1_30default_config_static_selectorELNS0_4arch9wavefront6targetE0EEEvS12_,"axG",@progbits,_ZN7rocprim17ROCPRIM_400000_NS6detail17trampoline_kernelINS0_13select_configILj256ELj13ELNS0_17block_load_methodE3ELS4_3ELS4_3ELNS0_20block_scan_algorithmE0ELj4294967295EEENS1_25partition_config_selectorILNS1_17partition_subalgoE4EjNS0_10empty_typeEbEEZZNS1_14partition_implILS8_4ELb0ES6_15HIP_vector_typeIjLj2EENS0_17counting_iteratorIjlEEPS9_SG_NS0_5tupleIJPjSI_NS0_16reverse_iteratorISI_EEEEENSH_IJSG_SG_SG_EEES9_SI_JZNS1_25segmented_radix_sort_implINS0_14default_configELb1EPKbPbPKlPlN2at6native12_GLOBAL__N_18offset_tEEE10hipError_tPvRmT1_PNSt15iterator_traitsIS12_E10value_typeET2_T3_PNS13_IS18_E10value_typeET4_jRbjT5_S1E_jjP12ihipStream_tbEUljE_ZNSN_ISO_Lb1ESQ_SR_ST_SU_SY_EESZ_S10_S11_S12_S16_S17_S18_S1B_S1C_jS1D_jS1E_S1E_jjS1G_bEUljE0_EEESZ_S10_S11_S18_S1C_S1E_T6_T7_T9_mT8_S1G_bDpT10_ENKUlT_T0_E_clISt17integral_constantIbLb1EES1U_EEDaS1P_S1Q_EUlS1P_E_NS1_11comp_targetILNS1_3genE4ELNS1_11target_archE910ELNS1_3gpuE8ELNS1_3repE0EEENS1_30default_config_static_selectorELNS0_4arch9wavefront6targetE0EEEvS12_,comdat
	.globl	_ZN7rocprim17ROCPRIM_400000_NS6detail17trampoline_kernelINS0_13select_configILj256ELj13ELNS0_17block_load_methodE3ELS4_3ELS4_3ELNS0_20block_scan_algorithmE0ELj4294967295EEENS1_25partition_config_selectorILNS1_17partition_subalgoE4EjNS0_10empty_typeEbEEZZNS1_14partition_implILS8_4ELb0ES6_15HIP_vector_typeIjLj2EENS0_17counting_iteratorIjlEEPS9_SG_NS0_5tupleIJPjSI_NS0_16reverse_iteratorISI_EEEEENSH_IJSG_SG_SG_EEES9_SI_JZNS1_25segmented_radix_sort_implINS0_14default_configELb1EPKbPbPKlPlN2at6native12_GLOBAL__N_18offset_tEEE10hipError_tPvRmT1_PNSt15iterator_traitsIS12_E10value_typeET2_T3_PNS13_IS18_E10value_typeET4_jRbjT5_S1E_jjP12ihipStream_tbEUljE_ZNSN_ISO_Lb1ESQ_SR_ST_SU_SY_EESZ_S10_S11_S12_S16_S17_S18_S1B_S1C_jS1D_jS1E_S1E_jjS1G_bEUljE0_EEESZ_S10_S11_S18_S1C_S1E_T6_T7_T9_mT8_S1G_bDpT10_ENKUlT_T0_E_clISt17integral_constantIbLb1EES1U_EEDaS1P_S1Q_EUlS1P_E_NS1_11comp_targetILNS1_3genE4ELNS1_11target_archE910ELNS1_3gpuE8ELNS1_3repE0EEENS1_30default_config_static_selectorELNS0_4arch9wavefront6targetE0EEEvS12_ ; -- Begin function _ZN7rocprim17ROCPRIM_400000_NS6detail17trampoline_kernelINS0_13select_configILj256ELj13ELNS0_17block_load_methodE3ELS4_3ELS4_3ELNS0_20block_scan_algorithmE0ELj4294967295EEENS1_25partition_config_selectorILNS1_17partition_subalgoE4EjNS0_10empty_typeEbEEZZNS1_14partition_implILS8_4ELb0ES6_15HIP_vector_typeIjLj2EENS0_17counting_iteratorIjlEEPS9_SG_NS0_5tupleIJPjSI_NS0_16reverse_iteratorISI_EEEEENSH_IJSG_SG_SG_EEES9_SI_JZNS1_25segmented_radix_sort_implINS0_14default_configELb1EPKbPbPKlPlN2at6native12_GLOBAL__N_18offset_tEEE10hipError_tPvRmT1_PNSt15iterator_traitsIS12_E10value_typeET2_T3_PNS13_IS18_E10value_typeET4_jRbjT5_S1E_jjP12ihipStream_tbEUljE_ZNSN_ISO_Lb1ESQ_SR_ST_SU_SY_EESZ_S10_S11_S12_S16_S17_S18_S1B_S1C_jS1D_jS1E_S1E_jjS1G_bEUljE0_EEESZ_S10_S11_S18_S1C_S1E_T6_T7_T9_mT8_S1G_bDpT10_ENKUlT_T0_E_clISt17integral_constantIbLb1EES1U_EEDaS1P_S1Q_EUlS1P_E_NS1_11comp_targetILNS1_3genE4ELNS1_11target_archE910ELNS1_3gpuE8ELNS1_3repE0EEENS1_30default_config_static_selectorELNS0_4arch9wavefront6targetE0EEEvS12_
	.p2align	8
	.type	_ZN7rocprim17ROCPRIM_400000_NS6detail17trampoline_kernelINS0_13select_configILj256ELj13ELNS0_17block_load_methodE3ELS4_3ELS4_3ELNS0_20block_scan_algorithmE0ELj4294967295EEENS1_25partition_config_selectorILNS1_17partition_subalgoE4EjNS0_10empty_typeEbEEZZNS1_14partition_implILS8_4ELb0ES6_15HIP_vector_typeIjLj2EENS0_17counting_iteratorIjlEEPS9_SG_NS0_5tupleIJPjSI_NS0_16reverse_iteratorISI_EEEEENSH_IJSG_SG_SG_EEES9_SI_JZNS1_25segmented_radix_sort_implINS0_14default_configELb1EPKbPbPKlPlN2at6native12_GLOBAL__N_18offset_tEEE10hipError_tPvRmT1_PNSt15iterator_traitsIS12_E10value_typeET2_T3_PNS13_IS18_E10value_typeET4_jRbjT5_S1E_jjP12ihipStream_tbEUljE_ZNSN_ISO_Lb1ESQ_SR_ST_SU_SY_EESZ_S10_S11_S12_S16_S17_S18_S1B_S1C_jS1D_jS1E_S1E_jjS1G_bEUljE0_EEESZ_S10_S11_S18_S1C_S1E_T6_T7_T9_mT8_S1G_bDpT10_ENKUlT_T0_E_clISt17integral_constantIbLb1EES1U_EEDaS1P_S1Q_EUlS1P_E_NS1_11comp_targetILNS1_3genE4ELNS1_11target_archE910ELNS1_3gpuE8ELNS1_3repE0EEENS1_30default_config_static_selectorELNS0_4arch9wavefront6targetE0EEEvS12_,@function
_ZN7rocprim17ROCPRIM_400000_NS6detail17trampoline_kernelINS0_13select_configILj256ELj13ELNS0_17block_load_methodE3ELS4_3ELS4_3ELNS0_20block_scan_algorithmE0ELj4294967295EEENS1_25partition_config_selectorILNS1_17partition_subalgoE4EjNS0_10empty_typeEbEEZZNS1_14partition_implILS8_4ELb0ES6_15HIP_vector_typeIjLj2EENS0_17counting_iteratorIjlEEPS9_SG_NS0_5tupleIJPjSI_NS0_16reverse_iteratorISI_EEEEENSH_IJSG_SG_SG_EEES9_SI_JZNS1_25segmented_radix_sort_implINS0_14default_configELb1EPKbPbPKlPlN2at6native12_GLOBAL__N_18offset_tEEE10hipError_tPvRmT1_PNSt15iterator_traitsIS12_E10value_typeET2_T3_PNS13_IS18_E10value_typeET4_jRbjT5_S1E_jjP12ihipStream_tbEUljE_ZNSN_ISO_Lb1ESQ_SR_ST_SU_SY_EESZ_S10_S11_S12_S16_S17_S18_S1B_S1C_jS1D_jS1E_S1E_jjS1G_bEUljE0_EEESZ_S10_S11_S18_S1C_S1E_T6_T7_T9_mT8_S1G_bDpT10_ENKUlT_T0_E_clISt17integral_constantIbLb1EES1U_EEDaS1P_S1Q_EUlS1P_E_NS1_11comp_targetILNS1_3genE4ELNS1_11target_archE910ELNS1_3gpuE8ELNS1_3repE0EEENS1_30default_config_static_selectorELNS0_4arch9wavefront6targetE0EEEvS12_: ; @_ZN7rocprim17ROCPRIM_400000_NS6detail17trampoline_kernelINS0_13select_configILj256ELj13ELNS0_17block_load_methodE3ELS4_3ELS4_3ELNS0_20block_scan_algorithmE0ELj4294967295EEENS1_25partition_config_selectorILNS1_17partition_subalgoE4EjNS0_10empty_typeEbEEZZNS1_14partition_implILS8_4ELb0ES6_15HIP_vector_typeIjLj2EENS0_17counting_iteratorIjlEEPS9_SG_NS0_5tupleIJPjSI_NS0_16reverse_iteratorISI_EEEEENSH_IJSG_SG_SG_EEES9_SI_JZNS1_25segmented_radix_sort_implINS0_14default_configELb1EPKbPbPKlPlN2at6native12_GLOBAL__N_18offset_tEEE10hipError_tPvRmT1_PNSt15iterator_traitsIS12_E10value_typeET2_T3_PNS13_IS18_E10value_typeET4_jRbjT5_S1E_jjP12ihipStream_tbEUljE_ZNSN_ISO_Lb1ESQ_SR_ST_SU_SY_EESZ_S10_S11_S12_S16_S17_S18_S1B_S1C_jS1D_jS1E_S1E_jjS1G_bEUljE0_EEESZ_S10_S11_S18_S1C_S1E_T6_T7_T9_mT8_S1G_bDpT10_ENKUlT_T0_E_clISt17integral_constantIbLb1EES1U_EEDaS1P_S1Q_EUlS1P_E_NS1_11comp_targetILNS1_3genE4ELNS1_11target_archE910ELNS1_3gpuE8ELNS1_3repE0EEENS1_30default_config_static_selectorELNS0_4arch9wavefront6targetE0EEEvS12_
; %bb.0:
	.section	.rodata,"a",@progbits
	.p2align	6, 0x0
	.amdhsa_kernel _ZN7rocprim17ROCPRIM_400000_NS6detail17trampoline_kernelINS0_13select_configILj256ELj13ELNS0_17block_load_methodE3ELS4_3ELS4_3ELNS0_20block_scan_algorithmE0ELj4294967295EEENS1_25partition_config_selectorILNS1_17partition_subalgoE4EjNS0_10empty_typeEbEEZZNS1_14partition_implILS8_4ELb0ES6_15HIP_vector_typeIjLj2EENS0_17counting_iteratorIjlEEPS9_SG_NS0_5tupleIJPjSI_NS0_16reverse_iteratorISI_EEEEENSH_IJSG_SG_SG_EEES9_SI_JZNS1_25segmented_radix_sort_implINS0_14default_configELb1EPKbPbPKlPlN2at6native12_GLOBAL__N_18offset_tEEE10hipError_tPvRmT1_PNSt15iterator_traitsIS12_E10value_typeET2_T3_PNS13_IS18_E10value_typeET4_jRbjT5_S1E_jjP12ihipStream_tbEUljE_ZNSN_ISO_Lb1ESQ_SR_ST_SU_SY_EESZ_S10_S11_S12_S16_S17_S18_S1B_S1C_jS1D_jS1E_S1E_jjS1G_bEUljE0_EEESZ_S10_S11_S18_S1C_S1E_T6_T7_T9_mT8_S1G_bDpT10_ENKUlT_T0_E_clISt17integral_constantIbLb1EES1U_EEDaS1P_S1Q_EUlS1P_E_NS1_11comp_targetILNS1_3genE4ELNS1_11target_archE910ELNS1_3gpuE8ELNS1_3repE0EEENS1_30default_config_static_selectorELNS0_4arch9wavefront6targetE0EEEvS12_
		.amdhsa_group_segment_fixed_size 0
		.amdhsa_private_segment_fixed_size 0
		.amdhsa_kernarg_size 184
		.amdhsa_user_sgpr_count 2
		.amdhsa_user_sgpr_dispatch_ptr 0
		.amdhsa_user_sgpr_queue_ptr 0
		.amdhsa_user_sgpr_kernarg_segment_ptr 1
		.amdhsa_user_sgpr_dispatch_id 0
		.amdhsa_user_sgpr_kernarg_preload_length 0
		.amdhsa_user_sgpr_kernarg_preload_offset 0
		.amdhsa_user_sgpr_private_segment_size 0
		.amdhsa_wavefront_size32 1
		.amdhsa_uses_dynamic_stack 0
		.amdhsa_enable_private_segment 0
		.amdhsa_system_sgpr_workgroup_id_x 1
		.amdhsa_system_sgpr_workgroup_id_y 0
		.amdhsa_system_sgpr_workgroup_id_z 0
		.amdhsa_system_sgpr_workgroup_info 0
		.amdhsa_system_vgpr_workitem_id 0
		.amdhsa_next_free_vgpr 1
		.amdhsa_next_free_sgpr 1
		.amdhsa_named_barrier_count 0
		.amdhsa_reserve_vcc 0
		.amdhsa_float_round_mode_32 0
		.amdhsa_float_round_mode_16_64 0
		.amdhsa_float_denorm_mode_32 3
		.amdhsa_float_denorm_mode_16_64 3
		.amdhsa_fp16_overflow 0
		.amdhsa_memory_ordered 1
		.amdhsa_forward_progress 1
		.amdhsa_inst_pref_size 0
		.amdhsa_round_robin_scheduling 0
		.amdhsa_exception_fp_ieee_invalid_op 0
		.amdhsa_exception_fp_denorm_src 0
		.amdhsa_exception_fp_ieee_div_zero 0
		.amdhsa_exception_fp_ieee_overflow 0
		.amdhsa_exception_fp_ieee_underflow 0
		.amdhsa_exception_fp_ieee_inexact 0
		.amdhsa_exception_int_div_zero 0
	.end_amdhsa_kernel
	.section	.text._ZN7rocprim17ROCPRIM_400000_NS6detail17trampoline_kernelINS0_13select_configILj256ELj13ELNS0_17block_load_methodE3ELS4_3ELS4_3ELNS0_20block_scan_algorithmE0ELj4294967295EEENS1_25partition_config_selectorILNS1_17partition_subalgoE4EjNS0_10empty_typeEbEEZZNS1_14partition_implILS8_4ELb0ES6_15HIP_vector_typeIjLj2EENS0_17counting_iteratorIjlEEPS9_SG_NS0_5tupleIJPjSI_NS0_16reverse_iteratorISI_EEEEENSH_IJSG_SG_SG_EEES9_SI_JZNS1_25segmented_radix_sort_implINS0_14default_configELb1EPKbPbPKlPlN2at6native12_GLOBAL__N_18offset_tEEE10hipError_tPvRmT1_PNSt15iterator_traitsIS12_E10value_typeET2_T3_PNS13_IS18_E10value_typeET4_jRbjT5_S1E_jjP12ihipStream_tbEUljE_ZNSN_ISO_Lb1ESQ_SR_ST_SU_SY_EESZ_S10_S11_S12_S16_S17_S18_S1B_S1C_jS1D_jS1E_S1E_jjS1G_bEUljE0_EEESZ_S10_S11_S18_S1C_S1E_T6_T7_T9_mT8_S1G_bDpT10_ENKUlT_T0_E_clISt17integral_constantIbLb1EES1U_EEDaS1P_S1Q_EUlS1P_E_NS1_11comp_targetILNS1_3genE4ELNS1_11target_archE910ELNS1_3gpuE8ELNS1_3repE0EEENS1_30default_config_static_selectorELNS0_4arch9wavefront6targetE0EEEvS12_,"axG",@progbits,_ZN7rocprim17ROCPRIM_400000_NS6detail17trampoline_kernelINS0_13select_configILj256ELj13ELNS0_17block_load_methodE3ELS4_3ELS4_3ELNS0_20block_scan_algorithmE0ELj4294967295EEENS1_25partition_config_selectorILNS1_17partition_subalgoE4EjNS0_10empty_typeEbEEZZNS1_14partition_implILS8_4ELb0ES6_15HIP_vector_typeIjLj2EENS0_17counting_iteratorIjlEEPS9_SG_NS0_5tupleIJPjSI_NS0_16reverse_iteratorISI_EEEEENSH_IJSG_SG_SG_EEES9_SI_JZNS1_25segmented_radix_sort_implINS0_14default_configELb1EPKbPbPKlPlN2at6native12_GLOBAL__N_18offset_tEEE10hipError_tPvRmT1_PNSt15iterator_traitsIS12_E10value_typeET2_T3_PNS13_IS18_E10value_typeET4_jRbjT5_S1E_jjP12ihipStream_tbEUljE_ZNSN_ISO_Lb1ESQ_SR_ST_SU_SY_EESZ_S10_S11_S12_S16_S17_S18_S1B_S1C_jS1D_jS1E_S1E_jjS1G_bEUljE0_EEESZ_S10_S11_S18_S1C_S1E_T6_T7_T9_mT8_S1G_bDpT10_ENKUlT_T0_E_clISt17integral_constantIbLb1EES1U_EEDaS1P_S1Q_EUlS1P_E_NS1_11comp_targetILNS1_3genE4ELNS1_11target_archE910ELNS1_3gpuE8ELNS1_3repE0EEENS1_30default_config_static_selectorELNS0_4arch9wavefront6targetE0EEEvS12_,comdat
.Lfunc_end1470:
	.size	_ZN7rocprim17ROCPRIM_400000_NS6detail17trampoline_kernelINS0_13select_configILj256ELj13ELNS0_17block_load_methodE3ELS4_3ELS4_3ELNS0_20block_scan_algorithmE0ELj4294967295EEENS1_25partition_config_selectorILNS1_17partition_subalgoE4EjNS0_10empty_typeEbEEZZNS1_14partition_implILS8_4ELb0ES6_15HIP_vector_typeIjLj2EENS0_17counting_iteratorIjlEEPS9_SG_NS0_5tupleIJPjSI_NS0_16reverse_iteratorISI_EEEEENSH_IJSG_SG_SG_EEES9_SI_JZNS1_25segmented_radix_sort_implINS0_14default_configELb1EPKbPbPKlPlN2at6native12_GLOBAL__N_18offset_tEEE10hipError_tPvRmT1_PNSt15iterator_traitsIS12_E10value_typeET2_T3_PNS13_IS18_E10value_typeET4_jRbjT5_S1E_jjP12ihipStream_tbEUljE_ZNSN_ISO_Lb1ESQ_SR_ST_SU_SY_EESZ_S10_S11_S12_S16_S17_S18_S1B_S1C_jS1D_jS1E_S1E_jjS1G_bEUljE0_EEESZ_S10_S11_S18_S1C_S1E_T6_T7_T9_mT8_S1G_bDpT10_ENKUlT_T0_E_clISt17integral_constantIbLb1EES1U_EEDaS1P_S1Q_EUlS1P_E_NS1_11comp_targetILNS1_3genE4ELNS1_11target_archE910ELNS1_3gpuE8ELNS1_3repE0EEENS1_30default_config_static_selectorELNS0_4arch9wavefront6targetE0EEEvS12_, .Lfunc_end1470-_ZN7rocprim17ROCPRIM_400000_NS6detail17trampoline_kernelINS0_13select_configILj256ELj13ELNS0_17block_load_methodE3ELS4_3ELS4_3ELNS0_20block_scan_algorithmE0ELj4294967295EEENS1_25partition_config_selectorILNS1_17partition_subalgoE4EjNS0_10empty_typeEbEEZZNS1_14partition_implILS8_4ELb0ES6_15HIP_vector_typeIjLj2EENS0_17counting_iteratorIjlEEPS9_SG_NS0_5tupleIJPjSI_NS0_16reverse_iteratorISI_EEEEENSH_IJSG_SG_SG_EEES9_SI_JZNS1_25segmented_radix_sort_implINS0_14default_configELb1EPKbPbPKlPlN2at6native12_GLOBAL__N_18offset_tEEE10hipError_tPvRmT1_PNSt15iterator_traitsIS12_E10value_typeET2_T3_PNS13_IS18_E10value_typeET4_jRbjT5_S1E_jjP12ihipStream_tbEUljE_ZNSN_ISO_Lb1ESQ_SR_ST_SU_SY_EESZ_S10_S11_S12_S16_S17_S18_S1B_S1C_jS1D_jS1E_S1E_jjS1G_bEUljE0_EEESZ_S10_S11_S18_S1C_S1E_T6_T7_T9_mT8_S1G_bDpT10_ENKUlT_T0_E_clISt17integral_constantIbLb1EES1U_EEDaS1P_S1Q_EUlS1P_E_NS1_11comp_targetILNS1_3genE4ELNS1_11target_archE910ELNS1_3gpuE8ELNS1_3repE0EEENS1_30default_config_static_selectorELNS0_4arch9wavefront6targetE0EEEvS12_
                                        ; -- End function
	.set _ZN7rocprim17ROCPRIM_400000_NS6detail17trampoline_kernelINS0_13select_configILj256ELj13ELNS0_17block_load_methodE3ELS4_3ELS4_3ELNS0_20block_scan_algorithmE0ELj4294967295EEENS1_25partition_config_selectorILNS1_17partition_subalgoE4EjNS0_10empty_typeEbEEZZNS1_14partition_implILS8_4ELb0ES6_15HIP_vector_typeIjLj2EENS0_17counting_iteratorIjlEEPS9_SG_NS0_5tupleIJPjSI_NS0_16reverse_iteratorISI_EEEEENSH_IJSG_SG_SG_EEES9_SI_JZNS1_25segmented_radix_sort_implINS0_14default_configELb1EPKbPbPKlPlN2at6native12_GLOBAL__N_18offset_tEEE10hipError_tPvRmT1_PNSt15iterator_traitsIS12_E10value_typeET2_T3_PNS13_IS18_E10value_typeET4_jRbjT5_S1E_jjP12ihipStream_tbEUljE_ZNSN_ISO_Lb1ESQ_SR_ST_SU_SY_EESZ_S10_S11_S12_S16_S17_S18_S1B_S1C_jS1D_jS1E_S1E_jjS1G_bEUljE0_EEESZ_S10_S11_S18_S1C_S1E_T6_T7_T9_mT8_S1G_bDpT10_ENKUlT_T0_E_clISt17integral_constantIbLb1EES1U_EEDaS1P_S1Q_EUlS1P_E_NS1_11comp_targetILNS1_3genE4ELNS1_11target_archE910ELNS1_3gpuE8ELNS1_3repE0EEENS1_30default_config_static_selectorELNS0_4arch9wavefront6targetE0EEEvS12_.num_vgpr, 0
	.set _ZN7rocprim17ROCPRIM_400000_NS6detail17trampoline_kernelINS0_13select_configILj256ELj13ELNS0_17block_load_methodE3ELS4_3ELS4_3ELNS0_20block_scan_algorithmE0ELj4294967295EEENS1_25partition_config_selectorILNS1_17partition_subalgoE4EjNS0_10empty_typeEbEEZZNS1_14partition_implILS8_4ELb0ES6_15HIP_vector_typeIjLj2EENS0_17counting_iteratorIjlEEPS9_SG_NS0_5tupleIJPjSI_NS0_16reverse_iteratorISI_EEEEENSH_IJSG_SG_SG_EEES9_SI_JZNS1_25segmented_radix_sort_implINS0_14default_configELb1EPKbPbPKlPlN2at6native12_GLOBAL__N_18offset_tEEE10hipError_tPvRmT1_PNSt15iterator_traitsIS12_E10value_typeET2_T3_PNS13_IS18_E10value_typeET4_jRbjT5_S1E_jjP12ihipStream_tbEUljE_ZNSN_ISO_Lb1ESQ_SR_ST_SU_SY_EESZ_S10_S11_S12_S16_S17_S18_S1B_S1C_jS1D_jS1E_S1E_jjS1G_bEUljE0_EEESZ_S10_S11_S18_S1C_S1E_T6_T7_T9_mT8_S1G_bDpT10_ENKUlT_T0_E_clISt17integral_constantIbLb1EES1U_EEDaS1P_S1Q_EUlS1P_E_NS1_11comp_targetILNS1_3genE4ELNS1_11target_archE910ELNS1_3gpuE8ELNS1_3repE0EEENS1_30default_config_static_selectorELNS0_4arch9wavefront6targetE0EEEvS12_.num_agpr, 0
	.set _ZN7rocprim17ROCPRIM_400000_NS6detail17trampoline_kernelINS0_13select_configILj256ELj13ELNS0_17block_load_methodE3ELS4_3ELS4_3ELNS0_20block_scan_algorithmE0ELj4294967295EEENS1_25partition_config_selectorILNS1_17partition_subalgoE4EjNS0_10empty_typeEbEEZZNS1_14partition_implILS8_4ELb0ES6_15HIP_vector_typeIjLj2EENS0_17counting_iteratorIjlEEPS9_SG_NS0_5tupleIJPjSI_NS0_16reverse_iteratorISI_EEEEENSH_IJSG_SG_SG_EEES9_SI_JZNS1_25segmented_radix_sort_implINS0_14default_configELb1EPKbPbPKlPlN2at6native12_GLOBAL__N_18offset_tEEE10hipError_tPvRmT1_PNSt15iterator_traitsIS12_E10value_typeET2_T3_PNS13_IS18_E10value_typeET4_jRbjT5_S1E_jjP12ihipStream_tbEUljE_ZNSN_ISO_Lb1ESQ_SR_ST_SU_SY_EESZ_S10_S11_S12_S16_S17_S18_S1B_S1C_jS1D_jS1E_S1E_jjS1G_bEUljE0_EEESZ_S10_S11_S18_S1C_S1E_T6_T7_T9_mT8_S1G_bDpT10_ENKUlT_T0_E_clISt17integral_constantIbLb1EES1U_EEDaS1P_S1Q_EUlS1P_E_NS1_11comp_targetILNS1_3genE4ELNS1_11target_archE910ELNS1_3gpuE8ELNS1_3repE0EEENS1_30default_config_static_selectorELNS0_4arch9wavefront6targetE0EEEvS12_.numbered_sgpr, 0
	.set _ZN7rocprim17ROCPRIM_400000_NS6detail17trampoline_kernelINS0_13select_configILj256ELj13ELNS0_17block_load_methodE3ELS4_3ELS4_3ELNS0_20block_scan_algorithmE0ELj4294967295EEENS1_25partition_config_selectorILNS1_17partition_subalgoE4EjNS0_10empty_typeEbEEZZNS1_14partition_implILS8_4ELb0ES6_15HIP_vector_typeIjLj2EENS0_17counting_iteratorIjlEEPS9_SG_NS0_5tupleIJPjSI_NS0_16reverse_iteratorISI_EEEEENSH_IJSG_SG_SG_EEES9_SI_JZNS1_25segmented_radix_sort_implINS0_14default_configELb1EPKbPbPKlPlN2at6native12_GLOBAL__N_18offset_tEEE10hipError_tPvRmT1_PNSt15iterator_traitsIS12_E10value_typeET2_T3_PNS13_IS18_E10value_typeET4_jRbjT5_S1E_jjP12ihipStream_tbEUljE_ZNSN_ISO_Lb1ESQ_SR_ST_SU_SY_EESZ_S10_S11_S12_S16_S17_S18_S1B_S1C_jS1D_jS1E_S1E_jjS1G_bEUljE0_EEESZ_S10_S11_S18_S1C_S1E_T6_T7_T9_mT8_S1G_bDpT10_ENKUlT_T0_E_clISt17integral_constantIbLb1EES1U_EEDaS1P_S1Q_EUlS1P_E_NS1_11comp_targetILNS1_3genE4ELNS1_11target_archE910ELNS1_3gpuE8ELNS1_3repE0EEENS1_30default_config_static_selectorELNS0_4arch9wavefront6targetE0EEEvS12_.num_named_barrier, 0
	.set _ZN7rocprim17ROCPRIM_400000_NS6detail17trampoline_kernelINS0_13select_configILj256ELj13ELNS0_17block_load_methodE3ELS4_3ELS4_3ELNS0_20block_scan_algorithmE0ELj4294967295EEENS1_25partition_config_selectorILNS1_17partition_subalgoE4EjNS0_10empty_typeEbEEZZNS1_14partition_implILS8_4ELb0ES6_15HIP_vector_typeIjLj2EENS0_17counting_iteratorIjlEEPS9_SG_NS0_5tupleIJPjSI_NS0_16reverse_iteratorISI_EEEEENSH_IJSG_SG_SG_EEES9_SI_JZNS1_25segmented_radix_sort_implINS0_14default_configELb1EPKbPbPKlPlN2at6native12_GLOBAL__N_18offset_tEEE10hipError_tPvRmT1_PNSt15iterator_traitsIS12_E10value_typeET2_T3_PNS13_IS18_E10value_typeET4_jRbjT5_S1E_jjP12ihipStream_tbEUljE_ZNSN_ISO_Lb1ESQ_SR_ST_SU_SY_EESZ_S10_S11_S12_S16_S17_S18_S1B_S1C_jS1D_jS1E_S1E_jjS1G_bEUljE0_EEESZ_S10_S11_S18_S1C_S1E_T6_T7_T9_mT8_S1G_bDpT10_ENKUlT_T0_E_clISt17integral_constantIbLb1EES1U_EEDaS1P_S1Q_EUlS1P_E_NS1_11comp_targetILNS1_3genE4ELNS1_11target_archE910ELNS1_3gpuE8ELNS1_3repE0EEENS1_30default_config_static_selectorELNS0_4arch9wavefront6targetE0EEEvS12_.private_seg_size, 0
	.set _ZN7rocprim17ROCPRIM_400000_NS6detail17trampoline_kernelINS0_13select_configILj256ELj13ELNS0_17block_load_methodE3ELS4_3ELS4_3ELNS0_20block_scan_algorithmE0ELj4294967295EEENS1_25partition_config_selectorILNS1_17partition_subalgoE4EjNS0_10empty_typeEbEEZZNS1_14partition_implILS8_4ELb0ES6_15HIP_vector_typeIjLj2EENS0_17counting_iteratorIjlEEPS9_SG_NS0_5tupleIJPjSI_NS0_16reverse_iteratorISI_EEEEENSH_IJSG_SG_SG_EEES9_SI_JZNS1_25segmented_radix_sort_implINS0_14default_configELb1EPKbPbPKlPlN2at6native12_GLOBAL__N_18offset_tEEE10hipError_tPvRmT1_PNSt15iterator_traitsIS12_E10value_typeET2_T3_PNS13_IS18_E10value_typeET4_jRbjT5_S1E_jjP12ihipStream_tbEUljE_ZNSN_ISO_Lb1ESQ_SR_ST_SU_SY_EESZ_S10_S11_S12_S16_S17_S18_S1B_S1C_jS1D_jS1E_S1E_jjS1G_bEUljE0_EEESZ_S10_S11_S18_S1C_S1E_T6_T7_T9_mT8_S1G_bDpT10_ENKUlT_T0_E_clISt17integral_constantIbLb1EES1U_EEDaS1P_S1Q_EUlS1P_E_NS1_11comp_targetILNS1_3genE4ELNS1_11target_archE910ELNS1_3gpuE8ELNS1_3repE0EEENS1_30default_config_static_selectorELNS0_4arch9wavefront6targetE0EEEvS12_.uses_vcc, 0
	.set _ZN7rocprim17ROCPRIM_400000_NS6detail17trampoline_kernelINS0_13select_configILj256ELj13ELNS0_17block_load_methodE3ELS4_3ELS4_3ELNS0_20block_scan_algorithmE0ELj4294967295EEENS1_25partition_config_selectorILNS1_17partition_subalgoE4EjNS0_10empty_typeEbEEZZNS1_14partition_implILS8_4ELb0ES6_15HIP_vector_typeIjLj2EENS0_17counting_iteratorIjlEEPS9_SG_NS0_5tupleIJPjSI_NS0_16reverse_iteratorISI_EEEEENSH_IJSG_SG_SG_EEES9_SI_JZNS1_25segmented_radix_sort_implINS0_14default_configELb1EPKbPbPKlPlN2at6native12_GLOBAL__N_18offset_tEEE10hipError_tPvRmT1_PNSt15iterator_traitsIS12_E10value_typeET2_T3_PNS13_IS18_E10value_typeET4_jRbjT5_S1E_jjP12ihipStream_tbEUljE_ZNSN_ISO_Lb1ESQ_SR_ST_SU_SY_EESZ_S10_S11_S12_S16_S17_S18_S1B_S1C_jS1D_jS1E_S1E_jjS1G_bEUljE0_EEESZ_S10_S11_S18_S1C_S1E_T6_T7_T9_mT8_S1G_bDpT10_ENKUlT_T0_E_clISt17integral_constantIbLb1EES1U_EEDaS1P_S1Q_EUlS1P_E_NS1_11comp_targetILNS1_3genE4ELNS1_11target_archE910ELNS1_3gpuE8ELNS1_3repE0EEENS1_30default_config_static_selectorELNS0_4arch9wavefront6targetE0EEEvS12_.uses_flat_scratch, 0
	.set _ZN7rocprim17ROCPRIM_400000_NS6detail17trampoline_kernelINS0_13select_configILj256ELj13ELNS0_17block_load_methodE3ELS4_3ELS4_3ELNS0_20block_scan_algorithmE0ELj4294967295EEENS1_25partition_config_selectorILNS1_17partition_subalgoE4EjNS0_10empty_typeEbEEZZNS1_14partition_implILS8_4ELb0ES6_15HIP_vector_typeIjLj2EENS0_17counting_iteratorIjlEEPS9_SG_NS0_5tupleIJPjSI_NS0_16reverse_iteratorISI_EEEEENSH_IJSG_SG_SG_EEES9_SI_JZNS1_25segmented_radix_sort_implINS0_14default_configELb1EPKbPbPKlPlN2at6native12_GLOBAL__N_18offset_tEEE10hipError_tPvRmT1_PNSt15iterator_traitsIS12_E10value_typeET2_T3_PNS13_IS18_E10value_typeET4_jRbjT5_S1E_jjP12ihipStream_tbEUljE_ZNSN_ISO_Lb1ESQ_SR_ST_SU_SY_EESZ_S10_S11_S12_S16_S17_S18_S1B_S1C_jS1D_jS1E_S1E_jjS1G_bEUljE0_EEESZ_S10_S11_S18_S1C_S1E_T6_T7_T9_mT8_S1G_bDpT10_ENKUlT_T0_E_clISt17integral_constantIbLb1EES1U_EEDaS1P_S1Q_EUlS1P_E_NS1_11comp_targetILNS1_3genE4ELNS1_11target_archE910ELNS1_3gpuE8ELNS1_3repE0EEENS1_30default_config_static_selectorELNS0_4arch9wavefront6targetE0EEEvS12_.has_dyn_sized_stack, 0
	.set _ZN7rocprim17ROCPRIM_400000_NS6detail17trampoline_kernelINS0_13select_configILj256ELj13ELNS0_17block_load_methodE3ELS4_3ELS4_3ELNS0_20block_scan_algorithmE0ELj4294967295EEENS1_25partition_config_selectorILNS1_17partition_subalgoE4EjNS0_10empty_typeEbEEZZNS1_14partition_implILS8_4ELb0ES6_15HIP_vector_typeIjLj2EENS0_17counting_iteratorIjlEEPS9_SG_NS0_5tupleIJPjSI_NS0_16reverse_iteratorISI_EEEEENSH_IJSG_SG_SG_EEES9_SI_JZNS1_25segmented_radix_sort_implINS0_14default_configELb1EPKbPbPKlPlN2at6native12_GLOBAL__N_18offset_tEEE10hipError_tPvRmT1_PNSt15iterator_traitsIS12_E10value_typeET2_T3_PNS13_IS18_E10value_typeET4_jRbjT5_S1E_jjP12ihipStream_tbEUljE_ZNSN_ISO_Lb1ESQ_SR_ST_SU_SY_EESZ_S10_S11_S12_S16_S17_S18_S1B_S1C_jS1D_jS1E_S1E_jjS1G_bEUljE0_EEESZ_S10_S11_S18_S1C_S1E_T6_T7_T9_mT8_S1G_bDpT10_ENKUlT_T0_E_clISt17integral_constantIbLb1EES1U_EEDaS1P_S1Q_EUlS1P_E_NS1_11comp_targetILNS1_3genE4ELNS1_11target_archE910ELNS1_3gpuE8ELNS1_3repE0EEENS1_30default_config_static_selectorELNS0_4arch9wavefront6targetE0EEEvS12_.has_recursion, 0
	.set _ZN7rocprim17ROCPRIM_400000_NS6detail17trampoline_kernelINS0_13select_configILj256ELj13ELNS0_17block_load_methodE3ELS4_3ELS4_3ELNS0_20block_scan_algorithmE0ELj4294967295EEENS1_25partition_config_selectorILNS1_17partition_subalgoE4EjNS0_10empty_typeEbEEZZNS1_14partition_implILS8_4ELb0ES6_15HIP_vector_typeIjLj2EENS0_17counting_iteratorIjlEEPS9_SG_NS0_5tupleIJPjSI_NS0_16reverse_iteratorISI_EEEEENSH_IJSG_SG_SG_EEES9_SI_JZNS1_25segmented_radix_sort_implINS0_14default_configELb1EPKbPbPKlPlN2at6native12_GLOBAL__N_18offset_tEEE10hipError_tPvRmT1_PNSt15iterator_traitsIS12_E10value_typeET2_T3_PNS13_IS18_E10value_typeET4_jRbjT5_S1E_jjP12ihipStream_tbEUljE_ZNSN_ISO_Lb1ESQ_SR_ST_SU_SY_EESZ_S10_S11_S12_S16_S17_S18_S1B_S1C_jS1D_jS1E_S1E_jjS1G_bEUljE0_EEESZ_S10_S11_S18_S1C_S1E_T6_T7_T9_mT8_S1G_bDpT10_ENKUlT_T0_E_clISt17integral_constantIbLb1EES1U_EEDaS1P_S1Q_EUlS1P_E_NS1_11comp_targetILNS1_3genE4ELNS1_11target_archE910ELNS1_3gpuE8ELNS1_3repE0EEENS1_30default_config_static_selectorELNS0_4arch9wavefront6targetE0EEEvS12_.has_indirect_call, 0
	.section	.AMDGPU.csdata,"",@progbits
; Kernel info:
; codeLenInByte = 0
; TotalNumSgprs: 0
; NumVgprs: 0
; ScratchSize: 0
; MemoryBound: 0
; FloatMode: 240
; IeeeMode: 1
; LDSByteSize: 0 bytes/workgroup (compile time only)
; SGPRBlocks: 0
; VGPRBlocks: 0
; NumSGPRsForWavesPerEU: 1
; NumVGPRsForWavesPerEU: 1
; NamedBarCnt: 0
; Occupancy: 16
; WaveLimiterHint : 0
; COMPUTE_PGM_RSRC2:SCRATCH_EN: 0
; COMPUTE_PGM_RSRC2:USER_SGPR: 2
; COMPUTE_PGM_RSRC2:TRAP_HANDLER: 0
; COMPUTE_PGM_RSRC2:TGID_X_EN: 1
; COMPUTE_PGM_RSRC2:TGID_Y_EN: 0
; COMPUTE_PGM_RSRC2:TGID_Z_EN: 0
; COMPUTE_PGM_RSRC2:TIDIG_COMP_CNT: 0
	.section	.text._ZN7rocprim17ROCPRIM_400000_NS6detail17trampoline_kernelINS0_13select_configILj256ELj13ELNS0_17block_load_methodE3ELS4_3ELS4_3ELNS0_20block_scan_algorithmE0ELj4294967295EEENS1_25partition_config_selectorILNS1_17partition_subalgoE4EjNS0_10empty_typeEbEEZZNS1_14partition_implILS8_4ELb0ES6_15HIP_vector_typeIjLj2EENS0_17counting_iteratorIjlEEPS9_SG_NS0_5tupleIJPjSI_NS0_16reverse_iteratorISI_EEEEENSH_IJSG_SG_SG_EEES9_SI_JZNS1_25segmented_radix_sort_implINS0_14default_configELb1EPKbPbPKlPlN2at6native12_GLOBAL__N_18offset_tEEE10hipError_tPvRmT1_PNSt15iterator_traitsIS12_E10value_typeET2_T3_PNS13_IS18_E10value_typeET4_jRbjT5_S1E_jjP12ihipStream_tbEUljE_ZNSN_ISO_Lb1ESQ_SR_ST_SU_SY_EESZ_S10_S11_S12_S16_S17_S18_S1B_S1C_jS1D_jS1E_S1E_jjS1G_bEUljE0_EEESZ_S10_S11_S18_S1C_S1E_T6_T7_T9_mT8_S1G_bDpT10_ENKUlT_T0_E_clISt17integral_constantIbLb1EES1U_EEDaS1P_S1Q_EUlS1P_E_NS1_11comp_targetILNS1_3genE3ELNS1_11target_archE908ELNS1_3gpuE7ELNS1_3repE0EEENS1_30default_config_static_selectorELNS0_4arch9wavefront6targetE0EEEvS12_,"axG",@progbits,_ZN7rocprim17ROCPRIM_400000_NS6detail17trampoline_kernelINS0_13select_configILj256ELj13ELNS0_17block_load_methodE3ELS4_3ELS4_3ELNS0_20block_scan_algorithmE0ELj4294967295EEENS1_25partition_config_selectorILNS1_17partition_subalgoE4EjNS0_10empty_typeEbEEZZNS1_14partition_implILS8_4ELb0ES6_15HIP_vector_typeIjLj2EENS0_17counting_iteratorIjlEEPS9_SG_NS0_5tupleIJPjSI_NS0_16reverse_iteratorISI_EEEEENSH_IJSG_SG_SG_EEES9_SI_JZNS1_25segmented_radix_sort_implINS0_14default_configELb1EPKbPbPKlPlN2at6native12_GLOBAL__N_18offset_tEEE10hipError_tPvRmT1_PNSt15iterator_traitsIS12_E10value_typeET2_T3_PNS13_IS18_E10value_typeET4_jRbjT5_S1E_jjP12ihipStream_tbEUljE_ZNSN_ISO_Lb1ESQ_SR_ST_SU_SY_EESZ_S10_S11_S12_S16_S17_S18_S1B_S1C_jS1D_jS1E_S1E_jjS1G_bEUljE0_EEESZ_S10_S11_S18_S1C_S1E_T6_T7_T9_mT8_S1G_bDpT10_ENKUlT_T0_E_clISt17integral_constantIbLb1EES1U_EEDaS1P_S1Q_EUlS1P_E_NS1_11comp_targetILNS1_3genE3ELNS1_11target_archE908ELNS1_3gpuE7ELNS1_3repE0EEENS1_30default_config_static_selectorELNS0_4arch9wavefront6targetE0EEEvS12_,comdat
	.globl	_ZN7rocprim17ROCPRIM_400000_NS6detail17trampoline_kernelINS0_13select_configILj256ELj13ELNS0_17block_load_methodE3ELS4_3ELS4_3ELNS0_20block_scan_algorithmE0ELj4294967295EEENS1_25partition_config_selectorILNS1_17partition_subalgoE4EjNS0_10empty_typeEbEEZZNS1_14partition_implILS8_4ELb0ES6_15HIP_vector_typeIjLj2EENS0_17counting_iteratorIjlEEPS9_SG_NS0_5tupleIJPjSI_NS0_16reverse_iteratorISI_EEEEENSH_IJSG_SG_SG_EEES9_SI_JZNS1_25segmented_radix_sort_implINS0_14default_configELb1EPKbPbPKlPlN2at6native12_GLOBAL__N_18offset_tEEE10hipError_tPvRmT1_PNSt15iterator_traitsIS12_E10value_typeET2_T3_PNS13_IS18_E10value_typeET4_jRbjT5_S1E_jjP12ihipStream_tbEUljE_ZNSN_ISO_Lb1ESQ_SR_ST_SU_SY_EESZ_S10_S11_S12_S16_S17_S18_S1B_S1C_jS1D_jS1E_S1E_jjS1G_bEUljE0_EEESZ_S10_S11_S18_S1C_S1E_T6_T7_T9_mT8_S1G_bDpT10_ENKUlT_T0_E_clISt17integral_constantIbLb1EES1U_EEDaS1P_S1Q_EUlS1P_E_NS1_11comp_targetILNS1_3genE3ELNS1_11target_archE908ELNS1_3gpuE7ELNS1_3repE0EEENS1_30default_config_static_selectorELNS0_4arch9wavefront6targetE0EEEvS12_ ; -- Begin function _ZN7rocprim17ROCPRIM_400000_NS6detail17trampoline_kernelINS0_13select_configILj256ELj13ELNS0_17block_load_methodE3ELS4_3ELS4_3ELNS0_20block_scan_algorithmE0ELj4294967295EEENS1_25partition_config_selectorILNS1_17partition_subalgoE4EjNS0_10empty_typeEbEEZZNS1_14partition_implILS8_4ELb0ES6_15HIP_vector_typeIjLj2EENS0_17counting_iteratorIjlEEPS9_SG_NS0_5tupleIJPjSI_NS0_16reverse_iteratorISI_EEEEENSH_IJSG_SG_SG_EEES9_SI_JZNS1_25segmented_radix_sort_implINS0_14default_configELb1EPKbPbPKlPlN2at6native12_GLOBAL__N_18offset_tEEE10hipError_tPvRmT1_PNSt15iterator_traitsIS12_E10value_typeET2_T3_PNS13_IS18_E10value_typeET4_jRbjT5_S1E_jjP12ihipStream_tbEUljE_ZNSN_ISO_Lb1ESQ_SR_ST_SU_SY_EESZ_S10_S11_S12_S16_S17_S18_S1B_S1C_jS1D_jS1E_S1E_jjS1G_bEUljE0_EEESZ_S10_S11_S18_S1C_S1E_T6_T7_T9_mT8_S1G_bDpT10_ENKUlT_T0_E_clISt17integral_constantIbLb1EES1U_EEDaS1P_S1Q_EUlS1P_E_NS1_11comp_targetILNS1_3genE3ELNS1_11target_archE908ELNS1_3gpuE7ELNS1_3repE0EEENS1_30default_config_static_selectorELNS0_4arch9wavefront6targetE0EEEvS12_
	.p2align	8
	.type	_ZN7rocprim17ROCPRIM_400000_NS6detail17trampoline_kernelINS0_13select_configILj256ELj13ELNS0_17block_load_methodE3ELS4_3ELS4_3ELNS0_20block_scan_algorithmE0ELj4294967295EEENS1_25partition_config_selectorILNS1_17partition_subalgoE4EjNS0_10empty_typeEbEEZZNS1_14partition_implILS8_4ELb0ES6_15HIP_vector_typeIjLj2EENS0_17counting_iteratorIjlEEPS9_SG_NS0_5tupleIJPjSI_NS0_16reverse_iteratorISI_EEEEENSH_IJSG_SG_SG_EEES9_SI_JZNS1_25segmented_radix_sort_implINS0_14default_configELb1EPKbPbPKlPlN2at6native12_GLOBAL__N_18offset_tEEE10hipError_tPvRmT1_PNSt15iterator_traitsIS12_E10value_typeET2_T3_PNS13_IS18_E10value_typeET4_jRbjT5_S1E_jjP12ihipStream_tbEUljE_ZNSN_ISO_Lb1ESQ_SR_ST_SU_SY_EESZ_S10_S11_S12_S16_S17_S18_S1B_S1C_jS1D_jS1E_S1E_jjS1G_bEUljE0_EEESZ_S10_S11_S18_S1C_S1E_T6_T7_T9_mT8_S1G_bDpT10_ENKUlT_T0_E_clISt17integral_constantIbLb1EES1U_EEDaS1P_S1Q_EUlS1P_E_NS1_11comp_targetILNS1_3genE3ELNS1_11target_archE908ELNS1_3gpuE7ELNS1_3repE0EEENS1_30default_config_static_selectorELNS0_4arch9wavefront6targetE0EEEvS12_,@function
_ZN7rocprim17ROCPRIM_400000_NS6detail17trampoline_kernelINS0_13select_configILj256ELj13ELNS0_17block_load_methodE3ELS4_3ELS4_3ELNS0_20block_scan_algorithmE0ELj4294967295EEENS1_25partition_config_selectorILNS1_17partition_subalgoE4EjNS0_10empty_typeEbEEZZNS1_14partition_implILS8_4ELb0ES6_15HIP_vector_typeIjLj2EENS0_17counting_iteratorIjlEEPS9_SG_NS0_5tupleIJPjSI_NS0_16reverse_iteratorISI_EEEEENSH_IJSG_SG_SG_EEES9_SI_JZNS1_25segmented_radix_sort_implINS0_14default_configELb1EPKbPbPKlPlN2at6native12_GLOBAL__N_18offset_tEEE10hipError_tPvRmT1_PNSt15iterator_traitsIS12_E10value_typeET2_T3_PNS13_IS18_E10value_typeET4_jRbjT5_S1E_jjP12ihipStream_tbEUljE_ZNSN_ISO_Lb1ESQ_SR_ST_SU_SY_EESZ_S10_S11_S12_S16_S17_S18_S1B_S1C_jS1D_jS1E_S1E_jjS1G_bEUljE0_EEESZ_S10_S11_S18_S1C_S1E_T6_T7_T9_mT8_S1G_bDpT10_ENKUlT_T0_E_clISt17integral_constantIbLb1EES1U_EEDaS1P_S1Q_EUlS1P_E_NS1_11comp_targetILNS1_3genE3ELNS1_11target_archE908ELNS1_3gpuE7ELNS1_3repE0EEENS1_30default_config_static_selectorELNS0_4arch9wavefront6targetE0EEEvS12_: ; @_ZN7rocprim17ROCPRIM_400000_NS6detail17trampoline_kernelINS0_13select_configILj256ELj13ELNS0_17block_load_methodE3ELS4_3ELS4_3ELNS0_20block_scan_algorithmE0ELj4294967295EEENS1_25partition_config_selectorILNS1_17partition_subalgoE4EjNS0_10empty_typeEbEEZZNS1_14partition_implILS8_4ELb0ES6_15HIP_vector_typeIjLj2EENS0_17counting_iteratorIjlEEPS9_SG_NS0_5tupleIJPjSI_NS0_16reverse_iteratorISI_EEEEENSH_IJSG_SG_SG_EEES9_SI_JZNS1_25segmented_radix_sort_implINS0_14default_configELb1EPKbPbPKlPlN2at6native12_GLOBAL__N_18offset_tEEE10hipError_tPvRmT1_PNSt15iterator_traitsIS12_E10value_typeET2_T3_PNS13_IS18_E10value_typeET4_jRbjT5_S1E_jjP12ihipStream_tbEUljE_ZNSN_ISO_Lb1ESQ_SR_ST_SU_SY_EESZ_S10_S11_S12_S16_S17_S18_S1B_S1C_jS1D_jS1E_S1E_jjS1G_bEUljE0_EEESZ_S10_S11_S18_S1C_S1E_T6_T7_T9_mT8_S1G_bDpT10_ENKUlT_T0_E_clISt17integral_constantIbLb1EES1U_EEDaS1P_S1Q_EUlS1P_E_NS1_11comp_targetILNS1_3genE3ELNS1_11target_archE908ELNS1_3gpuE7ELNS1_3repE0EEENS1_30default_config_static_selectorELNS0_4arch9wavefront6targetE0EEEvS12_
; %bb.0:
	.section	.rodata,"a",@progbits
	.p2align	6, 0x0
	.amdhsa_kernel _ZN7rocprim17ROCPRIM_400000_NS6detail17trampoline_kernelINS0_13select_configILj256ELj13ELNS0_17block_load_methodE3ELS4_3ELS4_3ELNS0_20block_scan_algorithmE0ELj4294967295EEENS1_25partition_config_selectorILNS1_17partition_subalgoE4EjNS0_10empty_typeEbEEZZNS1_14partition_implILS8_4ELb0ES6_15HIP_vector_typeIjLj2EENS0_17counting_iteratorIjlEEPS9_SG_NS0_5tupleIJPjSI_NS0_16reverse_iteratorISI_EEEEENSH_IJSG_SG_SG_EEES9_SI_JZNS1_25segmented_radix_sort_implINS0_14default_configELb1EPKbPbPKlPlN2at6native12_GLOBAL__N_18offset_tEEE10hipError_tPvRmT1_PNSt15iterator_traitsIS12_E10value_typeET2_T3_PNS13_IS18_E10value_typeET4_jRbjT5_S1E_jjP12ihipStream_tbEUljE_ZNSN_ISO_Lb1ESQ_SR_ST_SU_SY_EESZ_S10_S11_S12_S16_S17_S18_S1B_S1C_jS1D_jS1E_S1E_jjS1G_bEUljE0_EEESZ_S10_S11_S18_S1C_S1E_T6_T7_T9_mT8_S1G_bDpT10_ENKUlT_T0_E_clISt17integral_constantIbLb1EES1U_EEDaS1P_S1Q_EUlS1P_E_NS1_11comp_targetILNS1_3genE3ELNS1_11target_archE908ELNS1_3gpuE7ELNS1_3repE0EEENS1_30default_config_static_selectorELNS0_4arch9wavefront6targetE0EEEvS12_
		.amdhsa_group_segment_fixed_size 0
		.amdhsa_private_segment_fixed_size 0
		.amdhsa_kernarg_size 184
		.amdhsa_user_sgpr_count 2
		.amdhsa_user_sgpr_dispatch_ptr 0
		.amdhsa_user_sgpr_queue_ptr 0
		.amdhsa_user_sgpr_kernarg_segment_ptr 1
		.amdhsa_user_sgpr_dispatch_id 0
		.amdhsa_user_sgpr_kernarg_preload_length 0
		.amdhsa_user_sgpr_kernarg_preload_offset 0
		.amdhsa_user_sgpr_private_segment_size 0
		.amdhsa_wavefront_size32 1
		.amdhsa_uses_dynamic_stack 0
		.amdhsa_enable_private_segment 0
		.amdhsa_system_sgpr_workgroup_id_x 1
		.amdhsa_system_sgpr_workgroup_id_y 0
		.amdhsa_system_sgpr_workgroup_id_z 0
		.amdhsa_system_sgpr_workgroup_info 0
		.amdhsa_system_vgpr_workitem_id 0
		.amdhsa_next_free_vgpr 1
		.amdhsa_next_free_sgpr 1
		.amdhsa_named_barrier_count 0
		.amdhsa_reserve_vcc 0
		.amdhsa_float_round_mode_32 0
		.amdhsa_float_round_mode_16_64 0
		.amdhsa_float_denorm_mode_32 3
		.amdhsa_float_denorm_mode_16_64 3
		.amdhsa_fp16_overflow 0
		.amdhsa_memory_ordered 1
		.amdhsa_forward_progress 1
		.amdhsa_inst_pref_size 0
		.amdhsa_round_robin_scheduling 0
		.amdhsa_exception_fp_ieee_invalid_op 0
		.amdhsa_exception_fp_denorm_src 0
		.amdhsa_exception_fp_ieee_div_zero 0
		.amdhsa_exception_fp_ieee_overflow 0
		.amdhsa_exception_fp_ieee_underflow 0
		.amdhsa_exception_fp_ieee_inexact 0
		.amdhsa_exception_int_div_zero 0
	.end_amdhsa_kernel
	.section	.text._ZN7rocprim17ROCPRIM_400000_NS6detail17trampoline_kernelINS0_13select_configILj256ELj13ELNS0_17block_load_methodE3ELS4_3ELS4_3ELNS0_20block_scan_algorithmE0ELj4294967295EEENS1_25partition_config_selectorILNS1_17partition_subalgoE4EjNS0_10empty_typeEbEEZZNS1_14partition_implILS8_4ELb0ES6_15HIP_vector_typeIjLj2EENS0_17counting_iteratorIjlEEPS9_SG_NS0_5tupleIJPjSI_NS0_16reverse_iteratorISI_EEEEENSH_IJSG_SG_SG_EEES9_SI_JZNS1_25segmented_radix_sort_implINS0_14default_configELb1EPKbPbPKlPlN2at6native12_GLOBAL__N_18offset_tEEE10hipError_tPvRmT1_PNSt15iterator_traitsIS12_E10value_typeET2_T3_PNS13_IS18_E10value_typeET4_jRbjT5_S1E_jjP12ihipStream_tbEUljE_ZNSN_ISO_Lb1ESQ_SR_ST_SU_SY_EESZ_S10_S11_S12_S16_S17_S18_S1B_S1C_jS1D_jS1E_S1E_jjS1G_bEUljE0_EEESZ_S10_S11_S18_S1C_S1E_T6_T7_T9_mT8_S1G_bDpT10_ENKUlT_T0_E_clISt17integral_constantIbLb1EES1U_EEDaS1P_S1Q_EUlS1P_E_NS1_11comp_targetILNS1_3genE3ELNS1_11target_archE908ELNS1_3gpuE7ELNS1_3repE0EEENS1_30default_config_static_selectorELNS0_4arch9wavefront6targetE0EEEvS12_,"axG",@progbits,_ZN7rocprim17ROCPRIM_400000_NS6detail17trampoline_kernelINS0_13select_configILj256ELj13ELNS0_17block_load_methodE3ELS4_3ELS4_3ELNS0_20block_scan_algorithmE0ELj4294967295EEENS1_25partition_config_selectorILNS1_17partition_subalgoE4EjNS0_10empty_typeEbEEZZNS1_14partition_implILS8_4ELb0ES6_15HIP_vector_typeIjLj2EENS0_17counting_iteratorIjlEEPS9_SG_NS0_5tupleIJPjSI_NS0_16reverse_iteratorISI_EEEEENSH_IJSG_SG_SG_EEES9_SI_JZNS1_25segmented_radix_sort_implINS0_14default_configELb1EPKbPbPKlPlN2at6native12_GLOBAL__N_18offset_tEEE10hipError_tPvRmT1_PNSt15iterator_traitsIS12_E10value_typeET2_T3_PNS13_IS18_E10value_typeET4_jRbjT5_S1E_jjP12ihipStream_tbEUljE_ZNSN_ISO_Lb1ESQ_SR_ST_SU_SY_EESZ_S10_S11_S12_S16_S17_S18_S1B_S1C_jS1D_jS1E_S1E_jjS1G_bEUljE0_EEESZ_S10_S11_S18_S1C_S1E_T6_T7_T9_mT8_S1G_bDpT10_ENKUlT_T0_E_clISt17integral_constantIbLb1EES1U_EEDaS1P_S1Q_EUlS1P_E_NS1_11comp_targetILNS1_3genE3ELNS1_11target_archE908ELNS1_3gpuE7ELNS1_3repE0EEENS1_30default_config_static_selectorELNS0_4arch9wavefront6targetE0EEEvS12_,comdat
.Lfunc_end1471:
	.size	_ZN7rocprim17ROCPRIM_400000_NS6detail17trampoline_kernelINS0_13select_configILj256ELj13ELNS0_17block_load_methodE3ELS4_3ELS4_3ELNS0_20block_scan_algorithmE0ELj4294967295EEENS1_25partition_config_selectorILNS1_17partition_subalgoE4EjNS0_10empty_typeEbEEZZNS1_14partition_implILS8_4ELb0ES6_15HIP_vector_typeIjLj2EENS0_17counting_iteratorIjlEEPS9_SG_NS0_5tupleIJPjSI_NS0_16reverse_iteratorISI_EEEEENSH_IJSG_SG_SG_EEES9_SI_JZNS1_25segmented_radix_sort_implINS0_14default_configELb1EPKbPbPKlPlN2at6native12_GLOBAL__N_18offset_tEEE10hipError_tPvRmT1_PNSt15iterator_traitsIS12_E10value_typeET2_T3_PNS13_IS18_E10value_typeET4_jRbjT5_S1E_jjP12ihipStream_tbEUljE_ZNSN_ISO_Lb1ESQ_SR_ST_SU_SY_EESZ_S10_S11_S12_S16_S17_S18_S1B_S1C_jS1D_jS1E_S1E_jjS1G_bEUljE0_EEESZ_S10_S11_S18_S1C_S1E_T6_T7_T9_mT8_S1G_bDpT10_ENKUlT_T0_E_clISt17integral_constantIbLb1EES1U_EEDaS1P_S1Q_EUlS1P_E_NS1_11comp_targetILNS1_3genE3ELNS1_11target_archE908ELNS1_3gpuE7ELNS1_3repE0EEENS1_30default_config_static_selectorELNS0_4arch9wavefront6targetE0EEEvS12_, .Lfunc_end1471-_ZN7rocprim17ROCPRIM_400000_NS6detail17trampoline_kernelINS0_13select_configILj256ELj13ELNS0_17block_load_methodE3ELS4_3ELS4_3ELNS0_20block_scan_algorithmE0ELj4294967295EEENS1_25partition_config_selectorILNS1_17partition_subalgoE4EjNS0_10empty_typeEbEEZZNS1_14partition_implILS8_4ELb0ES6_15HIP_vector_typeIjLj2EENS0_17counting_iteratorIjlEEPS9_SG_NS0_5tupleIJPjSI_NS0_16reverse_iteratorISI_EEEEENSH_IJSG_SG_SG_EEES9_SI_JZNS1_25segmented_radix_sort_implINS0_14default_configELb1EPKbPbPKlPlN2at6native12_GLOBAL__N_18offset_tEEE10hipError_tPvRmT1_PNSt15iterator_traitsIS12_E10value_typeET2_T3_PNS13_IS18_E10value_typeET4_jRbjT5_S1E_jjP12ihipStream_tbEUljE_ZNSN_ISO_Lb1ESQ_SR_ST_SU_SY_EESZ_S10_S11_S12_S16_S17_S18_S1B_S1C_jS1D_jS1E_S1E_jjS1G_bEUljE0_EEESZ_S10_S11_S18_S1C_S1E_T6_T7_T9_mT8_S1G_bDpT10_ENKUlT_T0_E_clISt17integral_constantIbLb1EES1U_EEDaS1P_S1Q_EUlS1P_E_NS1_11comp_targetILNS1_3genE3ELNS1_11target_archE908ELNS1_3gpuE7ELNS1_3repE0EEENS1_30default_config_static_selectorELNS0_4arch9wavefront6targetE0EEEvS12_
                                        ; -- End function
	.set _ZN7rocprim17ROCPRIM_400000_NS6detail17trampoline_kernelINS0_13select_configILj256ELj13ELNS0_17block_load_methodE3ELS4_3ELS4_3ELNS0_20block_scan_algorithmE0ELj4294967295EEENS1_25partition_config_selectorILNS1_17partition_subalgoE4EjNS0_10empty_typeEbEEZZNS1_14partition_implILS8_4ELb0ES6_15HIP_vector_typeIjLj2EENS0_17counting_iteratorIjlEEPS9_SG_NS0_5tupleIJPjSI_NS0_16reverse_iteratorISI_EEEEENSH_IJSG_SG_SG_EEES9_SI_JZNS1_25segmented_radix_sort_implINS0_14default_configELb1EPKbPbPKlPlN2at6native12_GLOBAL__N_18offset_tEEE10hipError_tPvRmT1_PNSt15iterator_traitsIS12_E10value_typeET2_T3_PNS13_IS18_E10value_typeET4_jRbjT5_S1E_jjP12ihipStream_tbEUljE_ZNSN_ISO_Lb1ESQ_SR_ST_SU_SY_EESZ_S10_S11_S12_S16_S17_S18_S1B_S1C_jS1D_jS1E_S1E_jjS1G_bEUljE0_EEESZ_S10_S11_S18_S1C_S1E_T6_T7_T9_mT8_S1G_bDpT10_ENKUlT_T0_E_clISt17integral_constantIbLb1EES1U_EEDaS1P_S1Q_EUlS1P_E_NS1_11comp_targetILNS1_3genE3ELNS1_11target_archE908ELNS1_3gpuE7ELNS1_3repE0EEENS1_30default_config_static_selectorELNS0_4arch9wavefront6targetE0EEEvS12_.num_vgpr, 0
	.set _ZN7rocprim17ROCPRIM_400000_NS6detail17trampoline_kernelINS0_13select_configILj256ELj13ELNS0_17block_load_methodE3ELS4_3ELS4_3ELNS0_20block_scan_algorithmE0ELj4294967295EEENS1_25partition_config_selectorILNS1_17partition_subalgoE4EjNS0_10empty_typeEbEEZZNS1_14partition_implILS8_4ELb0ES6_15HIP_vector_typeIjLj2EENS0_17counting_iteratorIjlEEPS9_SG_NS0_5tupleIJPjSI_NS0_16reverse_iteratorISI_EEEEENSH_IJSG_SG_SG_EEES9_SI_JZNS1_25segmented_radix_sort_implINS0_14default_configELb1EPKbPbPKlPlN2at6native12_GLOBAL__N_18offset_tEEE10hipError_tPvRmT1_PNSt15iterator_traitsIS12_E10value_typeET2_T3_PNS13_IS18_E10value_typeET4_jRbjT5_S1E_jjP12ihipStream_tbEUljE_ZNSN_ISO_Lb1ESQ_SR_ST_SU_SY_EESZ_S10_S11_S12_S16_S17_S18_S1B_S1C_jS1D_jS1E_S1E_jjS1G_bEUljE0_EEESZ_S10_S11_S18_S1C_S1E_T6_T7_T9_mT8_S1G_bDpT10_ENKUlT_T0_E_clISt17integral_constantIbLb1EES1U_EEDaS1P_S1Q_EUlS1P_E_NS1_11comp_targetILNS1_3genE3ELNS1_11target_archE908ELNS1_3gpuE7ELNS1_3repE0EEENS1_30default_config_static_selectorELNS0_4arch9wavefront6targetE0EEEvS12_.num_agpr, 0
	.set _ZN7rocprim17ROCPRIM_400000_NS6detail17trampoline_kernelINS0_13select_configILj256ELj13ELNS0_17block_load_methodE3ELS4_3ELS4_3ELNS0_20block_scan_algorithmE0ELj4294967295EEENS1_25partition_config_selectorILNS1_17partition_subalgoE4EjNS0_10empty_typeEbEEZZNS1_14partition_implILS8_4ELb0ES6_15HIP_vector_typeIjLj2EENS0_17counting_iteratorIjlEEPS9_SG_NS0_5tupleIJPjSI_NS0_16reverse_iteratorISI_EEEEENSH_IJSG_SG_SG_EEES9_SI_JZNS1_25segmented_radix_sort_implINS0_14default_configELb1EPKbPbPKlPlN2at6native12_GLOBAL__N_18offset_tEEE10hipError_tPvRmT1_PNSt15iterator_traitsIS12_E10value_typeET2_T3_PNS13_IS18_E10value_typeET4_jRbjT5_S1E_jjP12ihipStream_tbEUljE_ZNSN_ISO_Lb1ESQ_SR_ST_SU_SY_EESZ_S10_S11_S12_S16_S17_S18_S1B_S1C_jS1D_jS1E_S1E_jjS1G_bEUljE0_EEESZ_S10_S11_S18_S1C_S1E_T6_T7_T9_mT8_S1G_bDpT10_ENKUlT_T0_E_clISt17integral_constantIbLb1EES1U_EEDaS1P_S1Q_EUlS1P_E_NS1_11comp_targetILNS1_3genE3ELNS1_11target_archE908ELNS1_3gpuE7ELNS1_3repE0EEENS1_30default_config_static_selectorELNS0_4arch9wavefront6targetE0EEEvS12_.numbered_sgpr, 0
	.set _ZN7rocprim17ROCPRIM_400000_NS6detail17trampoline_kernelINS0_13select_configILj256ELj13ELNS0_17block_load_methodE3ELS4_3ELS4_3ELNS0_20block_scan_algorithmE0ELj4294967295EEENS1_25partition_config_selectorILNS1_17partition_subalgoE4EjNS0_10empty_typeEbEEZZNS1_14partition_implILS8_4ELb0ES6_15HIP_vector_typeIjLj2EENS0_17counting_iteratorIjlEEPS9_SG_NS0_5tupleIJPjSI_NS0_16reverse_iteratorISI_EEEEENSH_IJSG_SG_SG_EEES9_SI_JZNS1_25segmented_radix_sort_implINS0_14default_configELb1EPKbPbPKlPlN2at6native12_GLOBAL__N_18offset_tEEE10hipError_tPvRmT1_PNSt15iterator_traitsIS12_E10value_typeET2_T3_PNS13_IS18_E10value_typeET4_jRbjT5_S1E_jjP12ihipStream_tbEUljE_ZNSN_ISO_Lb1ESQ_SR_ST_SU_SY_EESZ_S10_S11_S12_S16_S17_S18_S1B_S1C_jS1D_jS1E_S1E_jjS1G_bEUljE0_EEESZ_S10_S11_S18_S1C_S1E_T6_T7_T9_mT8_S1G_bDpT10_ENKUlT_T0_E_clISt17integral_constantIbLb1EES1U_EEDaS1P_S1Q_EUlS1P_E_NS1_11comp_targetILNS1_3genE3ELNS1_11target_archE908ELNS1_3gpuE7ELNS1_3repE0EEENS1_30default_config_static_selectorELNS0_4arch9wavefront6targetE0EEEvS12_.num_named_barrier, 0
	.set _ZN7rocprim17ROCPRIM_400000_NS6detail17trampoline_kernelINS0_13select_configILj256ELj13ELNS0_17block_load_methodE3ELS4_3ELS4_3ELNS0_20block_scan_algorithmE0ELj4294967295EEENS1_25partition_config_selectorILNS1_17partition_subalgoE4EjNS0_10empty_typeEbEEZZNS1_14partition_implILS8_4ELb0ES6_15HIP_vector_typeIjLj2EENS0_17counting_iteratorIjlEEPS9_SG_NS0_5tupleIJPjSI_NS0_16reverse_iteratorISI_EEEEENSH_IJSG_SG_SG_EEES9_SI_JZNS1_25segmented_radix_sort_implINS0_14default_configELb1EPKbPbPKlPlN2at6native12_GLOBAL__N_18offset_tEEE10hipError_tPvRmT1_PNSt15iterator_traitsIS12_E10value_typeET2_T3_PNS13_IS18_E10value_typeET4_jRbjT5_S1E_jjP12ihipStream_tbEUljE_ZNSN_ISO_Lb1ESQ_SR_ST_SU_SY_EESZ_S10_S11_S12_S16_S17_S18_S1B_S1C_jS1D_jS1E_S1E_jjS1G_bEUljE0_EEESZ_S10_S11_S18_S1C_S1E_T6_T7_T9_mT8_S1G_bDpT10_ENKUlT_T0_E_clISt17integral_constantIbLb1EES1U_EEDaS1P_S1Q_EUlS1P_E_NS1_11comp_targetILNS1_3genE3ELNS1_11target_archE908ELNS1_3gpuE7ELNS1_3repE0EEENS1_30default_config_static_selectorELNS0_4arch9wavefront6targetE0EEEvS12_.private_seg_size, 0
	.set _ZN7rocprim17ROCPRIM_400000_NS6detail17trampoline_kernelINS0_13select_configILj256ELj13ELNS0_17block_load_methodE3ELS4_3ELS4_3ELNS0_20block_scan_algorithmE0ELj4294967295EEENS1_25partition_config_selectorILNS1_17partition_subalgoE4EjNS0_10empty_typeEbEEZZNS1_14partition_implILS8_4ELb0ES6_15HIP_vector_typeIjLj2EENS0_17counting_iteratorIjlEEPS9_SG_NS0_5tupleIJPjSI_NS0_16reverse_iteratorISI_EEEEENSH_IJSG_SG_SG_EEES9_SI_JZNS1_25segmented_radix_sort_implINS0_14default_configELb1EPKbPbPKlPlN2at6native12_GLOBAL__N_18offset_tEEE10hipError_tPvRmT1_PNSt15iterator_traitsIS12_E10value_typeET2_T3_PNS13_IS18_E10value_typeET4_jRbjT5_S1E_jjP12ihipStream_tbEUljE_ZNSN_ISO_Lb1ESQ_SR_ST_SU_SY_EESZ_S10_S11_S12_S16_S17_S18_S1B_S1C_jS1D_jS1E_S1E_jjS1G_bEUljE0_EEESZ_S10_S11_S18_S1C_S1E_T6_T7_T9_mT8_S1G_bDpT10_ENKUlT_T0_E_clISt17integral_constantIbLb1EES1U_EEDaS1P_S1Q_EUlS1P_E_NS1_11comp_targetILNS1_3genE3ELNS1_11target_archE908ELNS1_3gpuE7ELNS1_3repE0EEENS1_30default_config_static_selectorELNS0_4arch9wavefront6targetE0EEEvS12_.uses_vcc, 0
	.set _ZN7rocprim17ROCPRIM_400000_NS6detail17trampoline_kernelINS0_13select_configILj256ELj13ELNS0_17block_load_methodE3ELS4_3ELS4_3ELNS0_20block_scan_algorithmE0ELj4294967295EEENS1_25partition_config_selectorILNS1_17partition_subalgoE4EjNS0_10empty_typeEbEEZZNS1_14partition_implILS8_4ELb0ES6_15HIP_vector_typeIjLj2EENS0_17counting_iteratorIjlEEPS9_SG_NS0_5tupleIJPjSI_NS0_16reverse_iteratorISI_EEEEENSH_IJSG_SG_SG_EEES9_SI_JZNS1_25segmented_radix_sort_implINS0_14default_configELb1EPKbPbPKlPlN2at6native12_GLOBAL__N_18offset_tEEE10hipError_tPvRmT1_PNSt15iterator_traitsIS12_E10value_typeET2_T3_PNS13_IS18_E10value_typeET4_jRbjT5_S1E_jjP12ihipStream_tbEUljE_ZNSN_ISO_Lb1ESQ_SR_ST_SU_SY_EESZ_S10_S11_S12_S16_S17_S18_S1B_S1C_jS1D_jS1E_S1E_jjS1G_bEUljE0_EEESZ_S10_S11_S18_S1C_S1E_T6_T7_T9_mT8_S1G_bDpT10_ENKUlT_T0_E_clISt17integral_constantIbLb1EES1U_EEDaS1P_S1Q_EUlS1P_E_NS1_11comp_targetILNS1_3genE3ELNS1_11target_archE908ELNS1_3gpuE7ELNS1_3repE0EEENS1_30default_config_static_selectorELNS0_4arch9wavefront6targetE0EEEvS12_.uses_flat_scratch, 0
	.set _ZN7rocprim17ROCPRIM_400000_NS6detail17trampoline_kernelINS0_13select_configILj256ELj13ELNS0_17block_load_methodE3ELS4_3ELS4_3ELNS0_20block_scan_algorithmE0ELj4294967295EEENS1_25partition_config_selectorILNS1_17partition_subalgoE4EjNS0_10empty_typeEbEEZZNS1_14partition_implILS8_4ELb0ES6_15HIP_vector_typeIjLj2EENS0_17counting_iteratorIjlEEPS9_SG_NS0_5tupleIJPjSI_NS0_16reverse_iteratorISI_EEEEENSH_IJSG_SG_SG_EEES9_SI_JZNS1_25segmented_radix_sort_implINS0_14default_configELb1EPKbPbPKlPlN2at6native12_GLOBAL__N_18offset_tEEE10hipError_tPvRmT1_PNSt15iterator_traitsIS12_E10value_typeET2_T3_PNS13_IS18_E10value_typeET4_jRbjT5_S1E_jjP12ihipStream_tbEUljE_ZNSN_ISO_Lb1ESQ_SR_ST_SU_SY_EESZ_S10_S11_S12_S16_S17_S18_S1B_S1C_jS1D_jS1E_S1E_jjS1G_bEUljE0_EEESZ_S10_S11_S18_S1C_S1E_T6_T7_T9_mT8_S1G_bDpT10_ENKUlT_T0_E_clISt17integral_constantIbLb1EES1U_EEDaS1P_S1Q_EUlS1P_E_NS1_11comp_targetILNS1_3genE3ELNS1_11target_archE908ELNS1_3gpuE7ELNS1_3repE0EEENS1_30default_config_static_selectorELNS0_4arch9wavefront6targetE0EEEvS12_.has_dyn_sized_stack, 0
	.set _ZN7rocprim17ROCPRIM_400000_NS6detail17trampoline_kernelINS0_13select_configILj256ELj13ELNS0_17block_load_methodE3ELS4_3ELS4_3ELNS0_20block_scan_algorithmE0ELj4294967295EEENS1_25partition_config_selectorILNS1_17partition_subalgoE4EjNS0_10empty_typeEbEEZZNS1_14partition_implILS8_4ELb0ES6_15HIP_vector_typeIjLj2EENS0_17counting_iteratorIjlEEPS9_SG_NS0_5tupleIJPjSI_NS0_16reverse_iteratorISI_EEEEENSH_IJSG_SG_SG_EEES9_SI_JZNS1_25segmented_radix_sort_implINS0_14default_configELb1EPKbPbPKlPlN2at6native12_GLOBAL__N_18offset_tEEE10hipError_tPvRmT1_PNSt15iterator_traitsIS12_E10value_typeET2_T3_PNS13_IS18_E10value_typeET4_jRbjT5_S1E_jjP12ihipStream_tbEUljE_ZNSN_ISO_Lb1ESQ_SR_ST_SU_SY_EESZ_S10_S11_S12_S16_S17_S18_S1B_S1C_jS1D_jS1E_S1E_jjS1G_bEUljE0_EEESZ_S10_S11_S18_S1C_S1E_T6_T7_T9_mT8_S1G_bDpT10_ENKUlT_T0_E_clISt17integral_constantIbLb1EES1U_EEDaS1P_S1Q_EUlS1P_E_NS1_11comp_targetILNS1_3genE3ELNS1_11target_archE908ELNS1_3gpuE7ELNS1_3repE0EEENS1_30default_config_static_selectorELNS0_4arch9wavefront6targetE0EEEvS12_.has_recursion, 0
	.set _ZN7rocprim17ROCPRIM_400000_NS6detail17trampoline_kernelINS0_13select_configILj256ELj13ELNS0_17block_load_methodE3ELS4_3ELS4_3ELNS0_20block_scan_algorithmE0ELj4294967295EEENS1_25partition_config_selectorILNS1_17partition_subalgoE4EjNS0_10empty_typeEbEEZZNS1_14partition_implILS8_4ELb0ES6_15HIP_vector_typeIjLj2EENS0_17counting_iteratorIjlEEPS9_SG_NS0_5tupleIJPjSI_NS0_16reverse_iteratorISI_EEEEENSH_IJSG_SG_SG_EEES9_SI_JZNS1_25segmented_radix_sort_implINS0_14default_configELb1EPKbPbPKlPlN2at6native12_GLOBAL__N_18offset_tEEE10hipError_tPvRmT1_PNSt15iterator_traitsIS12_E10value_typeET2_T3_PNS13_IS18_E10value_typeET4_jRbjT5_S1E_jjP12ihipStream_tbEUljE_ZNSN_ISO_Lb1ESQ_SR_ST_SU_SY_EESZ_S10_S11_S12_S16_S17_S18_S1B_S1C_jS1D_jS1E_S1E_jjS1G_bEUljE0_EEESZ_S10_S11_S18_S1C_S1E_T6_T7_T9_mT8_S1G_bDpT10_ENKUlT_T0_E_clISt17integral_constantIbLb1EES1U_EEDaS1P_S1Q_EUlS1P_E_NS1_11comp_targetILNS1_3genE3ELNS1_11target_archE908ELNS1_3gpuE7ELNS1_3repE0EEENS1_30default_config_static_selectorELNS0_4arch9wavefront6targetE0EEEvS12_.has_indirect_call, 0
	.section	.AMDGPU.csdata,"",@progbits
; Kernel info:
; codeLenInByte = 0
; TotalNumSgprs: 0
; NumVgprs: 0
; ScratchSize: 0
; MemoryBound: 0
; FloatMode: 240
; IeeeMode: 1
; LDSByteSize: 0 bytes/workgroup (compile time only)
; SGPRBlocks: 0
; VGPRBlocks: 0
; NumSGPRsForWavesPerEU: 1
; NumVGPRsForWavesPerEU: 1
; NamedBarCnt: 0
; Occupancy: 16
; WaveLimiterHint : 0
; COMPUTE_PGM_RSRC2:SCRATCH_EN: 0
; COMPUTE_PGM_RSRC2:USER_SGPR: 2
; COMPUTE_PGM_RSRC2:TRAP_HANDLER: 0
; COMPUTE_PGM_RSRC2:TGID_X_EN: 1
; COMPUTE_PGM_RSRC2:TGID_Y_EN: 0
; COMPUTE_PGM_RSRC2:TGID_Z_EN: 0
; COMPUTE_PGM_RSRC2:TIDIG_COMP_CNT: 0
	.section	.text._ZN7rocprim17ROCPRIM_400000_NS6detail17trampoline_kernelINS0_13select_configILj256ELj13ELNS0_17block_load_methodE3ELS4_3ELS4_3ELNS0_20block_scan_algorithmE0ELj4294967295EEENS1_25partition_config_selectorILNS1_17partition_subalgoE4EjNS0_10empty_typeEbEEZZNS1_14partition_implILS8_4ELb0ES6_15HIP_vector_typeIjLj2EENS0_17counting_iteratorIjlEEPS9_SG_NS0_5tupleIJPjSI_NS0_16reverse_iteratorISI_EEEEENSH_IJSG_SG_SG_EEES9_SI_JZNS1_25segmented_radix_sort_implINS0_14default_configELb1EPKbPbPKlPlN2at6native12_GLOBAL__N_18offset_tEEE10hipError_tPvRmT1_PNSt15iterator_traitsIS12_E10value_typeET2_T3_PNS13_IS18_E10value_typeET4_jRbjT5_S1E_jjP12ihipStream_tbEUljE_ZNSN_ISO_Lb1ESQ_SR_ST_SU_SY_EESZ_S10_S11_S12_S16_S17_S18_S1B_S1C_jS1D_jS1E_S1E_jjS1G_bEUljE0_EEESZ_S10_S11_S18_S1C_S1E_T6_T7_T9_mT8_S1G_bDpT10_ENKUlT_T0_E_clISt17integral_constantIbLb1EES1U_EEDaS1P_S1Q_EUlS1P_E_NS1_11comp_targetILNS1_3genE2ELNS1_11target_archE906ELNS1_3gpuE6ELNS1_3repE0EEENS1_30default_config_static_selectorELNS0_4arch9wavefront6targetE0EEEvS12_,"axG",@progbits,_ZN7rocprim17ROCPRIM_400000_NS6detail17trampoline_kernelINS0_13select_configILj256ELj13ELNS0_17block_load_methodE3ELS4_3ELS4_3ELNS0_20block_scan_algorithmE0ELj4294967295EEENS1_25partition_config_selectorILNS1_17partition_subalgoE4EjNS0_10empty_typeEbEEZZNS1_14partition_implILS8_4ELb0ES6_15HIP_vector_typeIjLj2EENS0_17counting_iteratorIjlEEPS9_SG_NS0_5tupleIJPjSI_NS0_16reverse_iteratorISI_EEEEENSH_IJSG_SG_SG_EEES9_SI_JZNS1_25segmented_radix_sort_implINS0_14default_configELb1EPKbPbPKlPlN2at6native12_GLOBAL__N_18offset_tEEE10hipError_tPvRmT1_PNSt15iterator_traitsIS12_E10value_typeET2_T3_PNS13_IS18_E10value_typeET4_jRbjT5_S1E_jjP12ihipStream_tbEUljE_ZNSN_ISO_Lb1ESQ_SR_ST_SU_SY_EESZ_S10_S11_S12_S16_S17_S18_S1B_S1C_jS1D_jS1E_S1E_jjS1G_bEUljE0_EEESZ_S10_S11_S18_S1C_S1E_T6_T7_T9_mT8_S1G_bDpT10_ENKUlT_T0_E_clISt17integral_constantIbLb1EES1U_EEDaS1P_S1Q_EUlS1P_E_NS1_11comp_targetILNS1_3genE2ELNS1_11target_archE906ELNS1_3gpuE6ELNS1_3repE0EEENS1_30default_config_static_selectorELNS0_4arch9wavefront6targetE0EEEvS12_,comdat
	.globl	_ZN7rocprim17ROCPRIM_400000_NS6detail17trampoline_kernelINS0_13select_configILj256ELj13ELNS0_17block_load_methodE3ELS4_3ELS4_3ELNS0_20block_scan_algorithmE0ELj4294967295EEENS1_25partition_config_selectorILNS1_17partition_subalgoE4EjNS0_10empty_typeEbEEZZNS1_14partition_implILS8_4ELb0ES6_15HIP_vector_typeIjLj2EENS0_17counting_iteratorIjlEEPS9_SG_NS0_5tupleIJPjSI_NS0_16reverse_iteratorISI_EEEEENSH_IJSG_SG_SG_EEES9_SI_JZNS1_25segmented_radix_sort_implINS0_14default_configELb1EPKbPbPKlPlN2at6native12_GLOBAL__N_18offset_tEEE10hipError_tPvRmT1_PNSt15iterator_traitsIS12_E10value_typeET2_T3_PNS13_IS18_E10value_typeET4_jRbjT5_S1E_jjP12ihipStream_tbEUljE_ZNSN_ISO_Lb1ESQ_SR_ST_SU_SY_EESZ_S10_S11_S12_S16_S17_S18_S1B_S1C_jS1D_jS1E_S1E_jjS1G_bEUljE0_EEESZ_S10_S11_S18_S1C_S1E_T6_T7_T9_mT8_S1G_bDpT10_ENKUlT_T0_E_clISt17integral_constantIbLb1EES1U_EEDaS1P_S1Q_EUlS1P_E_NS1_11comp_targetILNS1_3genE2ELNS1_11target_archE906ELNS1_3gpuE6ELNS1_3repE0EEENS1_30default_config_static_selectorELNS0_4arch9wavefront6targetE0EEEvS12_ ; -- Begin function _ZN7rocprim17ROCPRIM_400000_NS6detail17trampoline_kernelINS0_13select_configILj256ELj13ELNS0_17block_load_methodE3ELS4_3ELS4_3ELNS0_20block_scan_algorithmE0ELj4294967295EEENS1_25partition_config_selectorILNS1_17partition_subalgoE4EjNS0_10empty_typeEbEEZZNS1_14partition_implILS8_4ELb0ES6_15HIP_vector_typeIjLj2EENS0_17counting_iteratorIjlEEPS9_SG_NS0_5tupleIJPjSI_NS0_16reverse_iteratorISI_EEEEENSH_IJSG_SG_SG_EEES9_SI_JZNS1_25segmented_radix_sort_implINS0_14default_configELb1EPKbPbPKlPlN2at6native12_GLOBAL__N_18offset_tEEE10hipError_tPvRmT1_PNSt15iterator_traitsIS12_E10value_typeET2_T3_PNS13_IS18_E10value_typeET4_jRbjT5_S1E_jjP12ihipStream_tbEUljE_ZNSN_ISO_Lb1ESQ_SR_ST_SU_SY_EESZ_S10_S11_S12_S16_S17_S18_S1B_S1C_jS1D_jS1E_S1E_jjS1G_bEUljE0_EEESZ_S10_S11_S18_S1C_S1E_T6_T7_T9_mT8_S1G_bDpT10_ENKUlT_T0_E_clISt17integral_constantIbLb1EES1U_EEDaS1P_S1Q_EUlS1P_E_NS1_11comp_targetILNS1_3genE2ELNS1_11target_archE906ELNS1_3gpuE6ELNS1_3repE0EEENS1_30default_config_static_selectorELNS0_4arch9wavefront6targetE0EEEvS12_
	.p2align	8
	.type	_ZN7rocprim17ROCPRIM_400000_NS6detail17trampoline_kernelINS0_13select_configILj256ELj13ELNS0_17block_load_methodE3ELS4_3ELS4_3ELNS0_20block_scan_algorithmE0ELj4294967295EEENS1_25partition_config_selectorILNS1_17partition_subalgoE4EjNS0_10empty_typeEbEEZZNS1_14partition_implILS8_4ELb0ES6_15HIP_vector_typeIjLj2EENS0_17counting_iteratorIjlEEPS9_SG_NS0_5tupleIJPjSI_NS0_16reverse_iteratorISI_EEEEENSH_IJSG_SG_SG_EEES9_SI_JZNS1_25segmented_radix_sort_implINS0_14default_configELb1EPKbPbPKlPlN2at6native12_GLOBAL__N_18offset_tEEE10hipError_tPvRmT1_PNSt15iterator_traitsIS12_E10value_typeET2_T3_PNS13_IS18_E10value_typeET4_jRbjT5_S1E_jjP12ihipStream_tbEUljE_ZNSN_ISO_Lb1ESQ_SR_ST_SU_SY_EESZ_S10_S11_S12_S16_S17_S18_S1B_S1C_jS1D_jS1E_S1E_jjS1G_bEUljE0_EEESZ_S10_S11_S18_S1C_S1E_T6_T7_T9_mT8_S1G_bDpT10_ENKUlT_T0_E_clISt17integral_constantIbLb1EES1U_EEDaS1P_S1Q_EUlS1P_E_NS1_11comp_targetILNS1_3genE2ELNS1_11target_archE906ELNS1_3gpuE6ELNS1_3repE0EEENS1_30default_config_static_selectorELNS0_4arch9wavefront6targetE0EEEvS12_,@function
_ZN7rocprim17ROCPRIM_400000_NS6detail17trampoline_kernelINS0_13select_configILj256ELj13ELNS0_17block_load_methodE3ELS4_3ELS4_3ELNS0_20block_scan_algorithmE0ELj4294967295EEENS1_25partition_config_selectorILNS1_17partition_subalgoE4EjNS0_10empty_typeEbEEZZNS1_14partition_implILS8_4ELb0ES6_15HIP_vector_typeIjLj2EENS0_17counting_iteratorIjlEEPS9_SG_NS0_5tupleIJPjSI_NS0_16reverse_iteratorISI_EEEEENSH_IJSG_SG_SG_EEES9_SI_JZNS1_25segmented_radix_sort_implINS0_14default_configELb1EPKbPbPKlPlN2at6native12_GLOBAL__N_18offset_tEEE10hipError_tPvRmT1_PNSt15iterator_traitsIS12_E10value_typeET2_T3_PNS13_IS18_E10value_typeET4_jRbjT5_S1E_jjP12ihipStream_tbEUljE_ZNSN_ISO_Lb1ESQ_SR_ST_SU_SY_EESZ_S10_S11_S12_S16_S17_S18_S1B_S1C_jS1D_jS1E_S1E_jjS1G_bEUljE0_EEESZ_S10_S11_S18_S1C_S1E_T6_T7_T9_mT8_S1G_bDpT10_ENKUlT_T0_E_clISt17integral_constantIbLb1EES1U_EEDaS1P_S1Q_EUlS1P_E_NS1_11comp_targetILNS1_3genE2ELNS1_11target_archE906ELNS1_3gpuE6ELNS1_3repE0EEENS1_30default_config_static_selectorELNS0_4arch9wavefront6targetE0EEEvS12_: ; @_ZN7rocprim17ROCPRIM_400000_NS6detail17trampoline_kernelINS0_13select_configILj256ELj13ELNS0_17block_load_methodE3ELS4_3ELS4_3ELNS0_20block_scan_algorithmE0ELj4294967295EEENS1_25partition_config_selectorILNS1_17partition_subalgoE4EjNS0_10empty_typeEbEEZZNS1_14partition_implILS8_4ELb0ES6_15HIP_vector_typeIjLj2EENS0_17counting_iteratorIjlEEPS9_SG_NS0_5tupleIJPjSI_NS0_16reverse_iteratorISI_EEEEENSH_IJSG_SG_SG_EEES9_SI_JZNS1_25segmented_radix_sort_implINS0_14default_configELb1EPKbPbPKlPlN2at6native12_GLOBAL__N_18offset_tEEE10hipError_tPvRmT1_PNSt15iterator_traitsIS12_E10value_typeET2_T3_PNS13_IS18_E10value_typeET4_jRbjT5_S1E_jjP12ihipStream_tbEUljE_ZNSN_ISO_Lb1ESQ_SR_ST_SU_SY_EESZ_S10_S11_S12_S16_S17_S18_S1B_S1C_jS1D_jS1E_S1E_jjS1G_bEUljE0_EEESZ_S10_S11_S18_S1C_S1E_T6_T7_T9_mT8_S1G_bDpT10_ENKUlT_T0_E_clISt17integral_constantIbLb1EES1U_EEDaS1P_S1Q_EUlS1P_E_NS1_11comp_targetILNS1_3genE2ELNS1_11target_archE906ELNS1_3gpuE6ELNS1_3repE0EEENS1_30default_config_static_selectorELNS0_4arch9wavefront6targetE0EEEvS12_
; %bb.0:
	.section	.rodata,"a",@progbits
	.p2align	6, 0x0
	.amdhsa_kernel _ZN7rocprim17ROCPRIM_400000_NS6detail17trampoline_kernelINS0_13select_configILj256ELj13ELNS0_17block_load_methodE3ELS4_3ELS4_3ELNS0_20block_scan_algorithmE0ELj4294967295EEENS1_25partition_config_selectorILNS1_17partition_subalgoE4EjNS0_10empty_typeEbEEZZNS1_14partition_implILS8_4ELb0ES6_15HIP_vector_typeIjLj2EENS0_17counting_iteratorIjlEEPS9_SG_NS0_5tupleIJPjSI_NS0_16reverse_iteratorISI_EEEEENSH_IJSG_SG_SG_EEES9_SI_JZNS1_25segmented_radix_sort_implINS0_14default_configELb1EPKbPbPKlPlN2at6native12_GLOBAL__N_18offset_tEEE10hipError_tPvRmT1_PNSt15iterator_traitsIS12_E10value_typeET2_T3_PNS13_IS18_E10value_typeET4_jRbjT5_S1E_jjP12ihipStream_tbEUljE_ZNSN_ISO_Lb1ESQ_SR_ST_SU_SY_EESZ_S10_S11_S12_S16_S17_S18_S1B_S1C_jS1D_jS1E_S1E_jjS1G_bEUljE0_EEESZ_S10_S11_S18_S1C_S1E_T6_T7_T9_mT8_S1G_bDpT10_ENKUlT_T0_E_clISt17integral_constantIbLb1EES1U_EEDaS1P_S1Q_EUlS1P_E_NS1_11comp_targetILNS1_3genE2ELNS1_11target_archE906ELNS1_3gpuE6ELNS1_3repE0EEENS1_30default_config_static_selectorELNS0_4arch9wavefront6targetE0EEEvS12_
		.amdhsa_group_segment_fixed_size 0
		.amdhsa_private_segment_fixed_size 0
		.amdhsa_kernarg_size 184
		.amdhsa_user_sgpr_count 2
		.amdhsa_user_sgpr_dispatch_ptr 0
		.amdhsa_user_sgpr_queue_ptr 0
		.amdhsa_user_sgpr_kernarg_segment_ptr 1
		.amdhsa_user_sgpr_dispatch_id 0
		.amdhsa_user_sgpr_kernarg_preload_length 0
		.amdhsa_user_sgpr_kernarg_preload_offset 0
		.amdhsa_user_sgpr_private_segment_size 0
		.amdhsa_wavefront_size32 1
		.amdhsa_uses_dynamic_stack 0
		.amdhsa_enable_private_segment 0
		.amdhsa_system_sgpr_workgroup_id_x 1
		.amdhsa_system_sgpr_workgroup_id_y 0
		.amdhsa_system_sgpr_workgroup_id_z 0
		.amdhsa_system_sgpr_workgroup_info 0
		.amdhsa_system_vgpr_workitem_id 0
		.amdhsa_next_free_vgpr 1
		.amdhsa_next_free_sgpr 1
		.amdhsa_named_barrier_count 0
		.amdhsa_reserve_vcc 0
		.amdhsa_float_round_mode_32 0
		.amdhsa_float_round_mode_16_64 0
		.amdhsa_float_denorm_mode_32 3
		.amdhsa_float_denorm_mode_16_64 3
		.amdhsa_fp16_overflow 0
		.amdhsa_memory_ordered 1
		.amdhsa_forward_progress 1
		.amdhsa_inst_pref_size 0
		.amdhsa_round_robin_scheduling 0
		.amdhsa_exception_fp_ieee_invalid_op 0
		.amdhsa_exception_fp_denorm_src 0
		.amdhsa_exception_fp_ieee_div_zero 0
		.amdhsa_exception_fp_ieee_overflow 0
		.amdhsa_exception_fp_ieee_underflow 0
		.amdhsa_exception_fp_ieee_inexact 0
		.amdhsa_exception_int_div_zero 0
	.end_amdhsa_kernel
	.section	.text._ZN7rocprim17ROCPRIM_400000_NS6detail17trampoline_kernelINS0_13select_configILj256ELj13ELNS0_17block_load_methodE3ELS4_3ELS4_3ELNS0_20block_scan_algorithmE0ELj4294967295EEENS1_25partition_config_selectorILNS1_17partition_subalgoE4EjNS0_10empty_typeEbEEZZNS1_14partition_implILS8_4ELb0ES6_15HIP_vector_typeIjLj2EENS0_17counting_iteratorIjlEEPS9_SG_NS0_5tupleIJPjSI_NS0_16reverse_iteratorISI_EEEEENSH_IJSG_SG_SG_EEES9_SI_JZNS1_25segmented_radix_sort_implINS0_14default_configELb1EPKbPbPKlPlN2at6native12_GLOBAL__N_18offset_tEEE10hipError_tPvRmT1_PNSt15iterator_traitsIS12_E10value_typeET2_T3_PNS13_IS18_E10value_typeET4_jRbjT5_S1E_jjP12ihipStream_tbEUljE_ZNSN_ISO_Lb1ESQ_SR_ST_SU_SY_EESZ_S10_S11_S12_S16_S17_S18_S1B_S1C_jS1D_jS1E_S1E_jjS1G_bEUljE0_EEESZ_S10_S11_S18_S1C_S1E_T6_T7_T9_mT8_S1G_bDpT10_ENKUlT_T0_E_clISt17integral_constantIbLb1EES1U_EEDaS1P_S1Q_EUlS1P_E_NS1_11comp_targetILNS1_3genE2ELNS1_11target_archE906ELNS1_3gpuE6ELNS1_3repE0EEENS1_30default_config_static_selectorELNS0_4arch9wavefront6targetE0EEEvS12_,"axG",@progbits,_ZN7rocprim17ROCPRIM_400000_NS6detail17trampoline_kernelINS0_13select_configILj256ELj13ELNS0_17block_load_methodE3ELS4_3ELS4_3ELNS0_20block_scan_algorithmE0ELj4294967295EEENS1_25partition_config_selectorILNS1_17partition_subalgoE4EjNS0_10empty_typeEbEEZZNS1_14partition_implILS8_4ELb0ES6_15HIP_vector_typeIjLj2EENS0_17counting_iteratorIjlEEPS9_SG_NS0_5tupleIJPjSI_NS0_16reverse_iteratorISI_EEEEENSH_IJSG_SG_SG_EEES9_SI_JZNS1_25segmented_radix_sort_implINS0_14default_configELb1EPKbPbPKlPlN2at6native12_GLOBAL__N_18offset_tEEE10hipError_tPvRmT1_PNSt15iterator_traitsIS12_E10value_typeET2_T3_PNS13_IS18_E10value_typeET4_jRbjT5_S1E_jjP12ihipStream_tbEUljE_ZNSN_ISO_Lb1ESQ_SR_ST_SU_SY_EESZ_S10_S11_S12_S16_S17_S18_S1B_S1C_jS1D_jS1E_S1E_jjS1G_bEUljE0_EEESZ_S10_S11_S18_S1C_S1E_T6_T7_T9_mT8_S1G_bDpT10_ENKUlT_T0_E_clISt17integral_constantIbLb1EES1U_EEDaS1P_S1Q_EUlS1P_E_NS1_11comp_targetILNS1_3genE2ELNS1_11target_archE906ELNS1_3gpuE6ELNS1_3repE0EEENS1_30default_config_static_selectorELNS0_4arch9wavefront6targetE0EEEvS12_,comdat
.Lfunc_end1472:
	.size	_ZN7rocprim17ROCPRIM_400000_NS6detail17trampoline_kernelINS0_13select_configILj256ELj13ELNS0_17block_load_methodE3ELS4_3ELS4_3ELNS0_20block_scan_algorithmE0ELj4294967295EEENS1_25partition_config_selectorILNS1_17partition_subalgoE4EjNS0_10empty_typeEbEEZZNS1_14partition_implILS8_4ELb0ES6_15HIP_vector_typeIjLj2EENS0_17counting_iteratorIjlEEPS9_SG_NS0_5tupleIJPjSI_NS0_16reverse_iteratorISI_EEEEENSH_IJSG_SG_SG_EEES9_SI_JZNS1_25segmented_radix_sort_implINS0_14default_configELb1EPKbPbPKlPlN2at6native12_GLOBAL__N_18offset_tEEE10hipError_tPvRmT1_PNSt15iterator_traitsIS12_E10value_typeET2_T3_PNS13_IS18_E10value_typeET4_jRbjT5_S1E_jjP12ihipStream_tbEUljE_ZNSN_ISO_Lb1ESQ_SR_ST_SU_SY_EESZ_S10_S11_S12_S16_S17_S18_S1B_S1C_jS1D_jS1E_S1E_jjS1G_bEUljE0_EEESZ_S10_S11_S18_S1C_S1E_T6_T7_T9_mT8_S1G_bDpT10_ENKUlT_T0_E_clISt17integral_constantIbLb1EES1U_EEDaS1P_S1Q_EUlS1P_E_NS1_11comp_targetILNS1_3genE2ELNS1_11target_archE906ELNS1_3gpuE6ELNS1_3repE0EEENS1_30default_config_static_selectorELNS0_4arch9wavefront6targetE0EEEvS12_, .Lfunc_end1472-_ZN7rocprim17ROCPRIM_400000_NS6detail17trampoline_kernelINS0_13select_configILj256ELj13ELNS0_17block_load_methodE3ELS4_3ELS4_3ELNS0_20block_scan_algorithmE0ELj4294967295EEENS1_25partition_config_selectorILNS1_17partition_subalgoE4EjNS0_10empty_typeEbEEZZNS1_14partition_implILS8_4ELb0ES6_15HIP_vector_typeIjLj2EENS0_17counting_iteratorIjlEEPS9_SG_NS0_5tupleIJPjSI_NS0_16reverse_iteratorISI_EEEEENSH_IJSG_SG_SG_EEES9_SI_JZNS1_25segmented_radix_sort_implINS0_14default_configELb1EPKbPbPKlPlN2at6native12_GLOBAL__N_18offset_tEEE10hipError_tPvRmT1_PNSt15iterator_traitsIS12_E10value_typeET2_T3_PNS13_IS18_E10value_typeET4_jRbjT5_S1E_jjP12ihipStream_tbEUljE_ZNSN_ISO_Lb1ESQ_SR_ST_SU_SY_EESZ_S10_S11_S12_S16_S17_S18_S1B_S1C_jS1D_jS1E_S1E_jjS1G_bEUljE0_EEESZ_S10_S11_S18_S1C_S1E_T6_T7_T9_mT8_S1G_bDpT10_ENKUlT_T0_E_clISt17integral_constantIbLb1EES1U_EEDaS1P_S1Q_EUlS1P_E_NS1_11comp_targetILNS1_3genE2ELNS1_11target_archE906ELNS1_3gpuE6ELNS1_3repE0EEENS1_30default_config_static_selectorELNS0_4arch9wavefront6targetE0EEEvS12_
                                        ; -- End function
	.set _ZN7rocprim17ROCPRIM_400000_NS6detail17trampoline_kernelINS0_13select_configILj256ELj13ELNS0_17block_load_methodE3ELS4_3ELS4_3ELNS0_20block_scan_algorithmE0ELj4294967295EEENS1_25partition_config_selectorILNS1_17partition_subalgoE4EjNS0_10empty_typeEbEEZZNS1_14partition_implILS8_4ELb0ES6_15HIP_vector_typeIjLj2EENS0_17counting_iteratorIjlEEPS9_SG_NS0_5tupleIJPjSI_NS0_16reverse_iteratorISI_EEEEENSH_IJSG_SG_SG_EEES9_SI_JZNS1_25segmented_radix_sort_implINS0_14default_configELb1EPKbPbPKlPlN2at6native12_GLOBAL__N_18offset_tEEE10hipError_tPvRmT1_PNSt15iterator_traitsIS12_E10value_typeET2_T3_PNS13_IS18_E10value_typeET4_jRbjT5_S1E_jjP12ihipStream_tbEUljE_ZNSN_ISO_Lb1ESQ_SR_ST_SU_SY_EESZ_S10_S11_S12_S16_S17_S18_S1B_S1C_jS1D_jS1E_S1E_jjS1G_bEUljE0_EEESZ_S10_S11_S18_S1C_S1E_T6_T7_T9_mT8_S1G_bDpT10_ENKUlT_T0_E_clISt17integral_constantIbLb1EES1U_EEDaS1P_S1Q_EUlS1P_E_NS1_11comp_targetILNS1_3genE2ELNS1_11target_archE906ELNS1_3gpuE6ELNS1_3repE0EEENS1_30default_config_static_selectorELNS0_4arch9wavefront6targetE0EEEvS12_.num_vgpr, 0
	.set _ZN7rocprim17ROCPRIM_400000_NS6detail17trampoline_kernelINS0_13select_configILj256ELj13ELNS0_17block_load_methodE3ELS4_3ELS4_3ELNS0_20block_scan_algorithmE0ELj4294967295EEENS1_25partition_config_selectorILNS1_17partition_subalgoE4EjNS0_10empty_typeEbEEZZNS1_14partition_implILS8_4ELb0ES6_15HIP_vector_typeIjLj2EENS0_17counting_iteratorIjlEEPS9_SG_NS0_5tupleIJPjSI_NS0_16reverse_iteratorISI_EEEEENSH_IJSG_SG_SG_EEES9_SI_JZNS1_25segmented_radix_sort_implINS0_14default_configELb1EPKbPbPKlPlN2at6native12_GLOBAL__N_18offset_tEEE10hipError_tPvRmT1_PNSt15iterator_traitsIS12_E10value_typeET2_T3_PNS13_IS18_E10value_typeET4_jRbjT5_S1E_jjP12ihipStream_tbEUljE_ZNSN_ISO_Lb1ESQ_SR_ST_SU_SY_EESZ_S10_S11_S12_S16_S17_S18_S1B_S1C_jS1D_jS1E_S1E_jjS1G_bEUljE0_EEESZ_S10_S11_S18_S1C_S1E_T6_T7_T9_mT8_S1G_bDpT10_ENKUlT_T0_E_clISt17integral_constantIbLb1EES1U_EEDaS1P_S1Q_EUlS1P_E_NS1_11comp_targetILNS1_3genE2ELNS1_11target_archE906ELNS1_3gpuE6ELNS1_3repE0EEENS1_30default_config_static_selectorELNS0_4arch9wavefront6targetE0EEEvS12_.num_agpr, 0
	.set _ZN7rocprim17ROCPRIM_400000_NS6detail17trampoline_kernelINS0_13select_configILj256ELj13ELNS0_17block_load_methodE3ELS4_3ELS4_3ELNS0_20block_scan_algorithmE0ELj4294967295EEENS1_25partition_config_selectorILNS1_17partition_subalgoE4EjNS0_10empty_typeEbEEZZNS1_14partition_implILS8_4ELb0ES6_15HIP_vector_typeIjLj2EENS0_17counting_iteratorIjlEEPS9_SG_NS0_5tupleIJPjSI_NS0_16reverse_iteratorISI_EEEEENSH_IJSG_SG_SG_EEES9_SI_JZNS1_25segmented_radix_sort_implINS0_14default_configELb1EPKbPbPKlPlN2at6native12_GLOBAL__N_18offset_tEEE10hipError_tPvRmT1_PNSt15iterator_traitsIS12_E10value_typeET2_T3_PNS13_IS18_E10value_typeET4_jRbjT5_S1E_jjP12ihipStream_tbEUljE_ZNSN_ISO_Lb1ESQ_SR_ST_SU_SY_EESZ_S10_S11_S12_S16_S17_S18_S1B_S1C_jS1D_jS1E_S1E_jjS1G_bEUljE0_EEESZ_S10_S11_S18_S1C_S1E_T6_T7_T9_mT8_S1G_bDpT10_ENKUlT_T0_E_clISt17integral_constantIbLb1EES1U_EEDaS1P_S1Q_EUlS1P_E_NS1_11comp_targetILNS1_3genE2ELNS1_11target_archE906ELNS1_3gpuE6ELNS1_3repE0EEENS1_30default_config_static_selectorELNS0_4arch9wavefront6targetE0EEEvS12_.numbered_sgpr, 0
	.set _ZN7rocprim17ROCPRIM_400000_NS6detail17trampoline_kernelINS0_13select_configILj256ELj13ELNS0_17block_load_methodE3ELS4_3ELS4_3ELNS0_20block_scan_algorithmE0ELj4294967295EEENS1_25partition_config_selectorILNS1_17partition_subalgoE4EjNS0_10empty_typeEbEEZZNS1_14partition_implILS8_4ELb0ES6_15HIP_vector_typeIjLj2EENS0_17counting_iteratorIjlEEPS9_SG_NS0_5tupleIJPjSI_NS0_16reverse_iteratorISI_EEEEENSH_IJSG_SG_SG_EEES9_SI_JZNS1_25segmented_radix_sort_implINS0_14default_configELb1EPKbPbPKlPlN2at6native12_GLOBAL__N_18offset_tEEE10hipError_tPvRmT1_PNSt15iterator_traitsIS12_E10value_typeET2_T3_PNS13_IS18_E10value_typeET4_jRbjT5_S1E_jjP12ihipStream_tbEUljE_ZNSN_ISO_Lb1ESQ_SR_ST_SU_SY_EESZ_S10_S11_S12_S16_S17_S18_S1B_S1C_jS1D_jS1E_S1E_jjS1G_bEUljE0_EEESZ_S10_S11_S18_S1C_S1E_T6_T7_T9_mT8_S1G_bDpT10_ENKUlT_T0_E_clISt17integral_constantIbLb1EES1U_EEDaS1P_S1Q_EUlS1P_E_NS1_11comp_targetILNS1_3genE2ELNS1_11target_archE906ELNS1_3gpuE6ELNS1_3repE0EEENS1_30default_config_static_selectorELNS0_4arch9wavefront6targetE0EEEvS12_.num_named_barrier, 0
	.set _ZN7rocprim17ROCPRIM_400000_NS6detail17trampoline_kernelINS0_13select_configILj256ELj13ELNS0_17block_load_methodE3ELS4_3ELS4_3ELNS0_20block_scan_algorithmE0ELj4294967295EEENS1_25partition_config_selectorILNS1_17partition_subalgoE4EjNS0_10empty_typeEbEEZZNS1_14partition_implILS8_4ELb0ES6_15HIP_vector_typeIjLj2EENS0_17counting_iteratorIjlEEPS9_SG_NS0_5tupleIJPjSI_NS0_16reverse_iteratorISI_EEEEENSH_IJSG_SG_SG_EEES9_SI_JZNS1_25segmented_radix_sort_implINS0_14default_configELb1EPKbPbPKlPlN2at6native12_GLOBAL__N_18offset_tEEE10hipError_tPvRmT1_PNSt15iterator_traitsIS12_E10value_typeET2_T3_PNS13_IS18_E10value_typeET4_jRbjT5_S1E_jjP12ihipStream_tbEUljE_ZNSN_ISO_Lb1ESQ_SR_ST_SU_SY_EESZ_S10_S11_S12_S16_S17_S18_S1B_S1C_jS1D_jS1E_S1E_jjS1G_bEUljE0_EEESZ_S10_S11_S18_S1C_S1E_T6_T7_T9_mT8_S1G_bDpT10_ENKUlT_T0_E_clISt17integral_constantIbLb1EES1U_EEDaS1P_S1Q_EUlS1P_E_NS1_11comp_targetILNS1_3genE2ELNS1_11target_archE906ELNS1_3gpuE6ELNS1_3repE0EEENS1_30default_config_static_selectorELNS0_4arch9wavefront6targetE0EEEvS12_.private_seg_size, 0
	.set _ZN7rocprim17ROCPRIM_400000_NS6detail17trampoline_kernelINS0_13select_configILj256ELj13ELNS0_17block_load_methodE3ELS4_3ELS4_3ELNS0_20block_scan_algorithmE0ELj4294967295EEENS1_25partition_config_selectorILNS1_17partition_subalgoE4EjNS0_10empty_typeEbEEZZNS1_14partition_implILS8_4ELb0ES6_15HIP_vector_typeIjLj2EENS0_17counting_iteratorIjlEEPS9_SG_NS0_5tupleIJPjSI_NS0_16reverse_iteratorISI_EEEEENSH_IJSG_SG_SG_EEES9_SI_JZNS1_25segmented_radix_sort_implINS0_14default_configELb1EPKbPbPKlPlN2at6native12_GLOBAL__N_18offset_tEEE10hipError_tPvRmT1_PNSt15iterator_traitsIS12_E10value_typeET2_T3_PNS13_IS18_E10value_typeET4_jRbjT5_S1E_jjP12ihipStream_tbEUljE_ZNSN_ISO_Lb1ESQ_SR_ST_SU_SY_EESZ_S10_S11_S12_S16_S17_S18_S1B_S1C_jS1D_jS1E_S1E_jjS1G_bEUljE0_EEESZ_S10_S11_S18_S1C_S1E_T6_T7_T9_mT8_S1G_bDpT10_ENKUlT_T0_E_clISt17integral_constantIbLb1EES1U_EEDaS1P_S1Q_EUlS1P_E_NS1_11comp_targetILNS1_3genE2ELNS1_11target_archE906ELNS1_3gpuE6ELNS1_3repE0EEENS1_30default_config_static_selectorELNS0_4arch9wavefront6targetE0EEEvS12_.uses_vcc, 0
	.set _ZN7rocprim17ROCPRIM_400000_NS6detail17trampoline_kernelINS0_13select_configILj256ELj13ELNS0_17block_load_methodE3ELS4_3ELS4_3ELNS0_20block_scan_algorithmE0ELj4294967295EEENS1_25partition_config_selectorILNS1_17partition_subalgoE4EjNS0_10empty_typeEbEEZZNS1_14partition_implILS8_4ELb0ES6_15HIP_vector_typeIjLj2EENS0_17counting_iteratorIjlEEPS9_SG_NS0_5tupleIJPjSI_NS0_16reverse_iteratorISI_EEEEENSH_IJSG_SG_SG_EEES9_SI_JZNS1_25segmented_radix_sort_implINS0_14default_configELb1EPKbPbPKlPlN2at6native12_GLOBAL__N_18offset_tEEE10hipError_tPvRmT1_PNSt15iterator_traitsIS12_E10value_typeET2_T3_PNS13_IS18_E10value_typeET4_jRbjT5_S1E_jjP12ihipStream_tbEUljE_ZNSN_ISO_Lb1ESQ_SR_ST_SU_SY_EESZ_S10_S11_S12_S16_S17_S18_S1B_S1C_jS1D_jS1E_S1E_jjS1G_bEUljE0_EEESZ_S10_S11_S18_S1C_S1E_T6_T7_T9_mT8_S1G_bDpT10_ENKUlT_T0_E_clISt17integral_constantIbLb1EES1U_EEDaS1P_S1Q_EUlS1P_E_NS1_11comp_targetILNS1_3genE2ELNS1_11target_archE906ELNS1_3gpuE6ELNS1_3repE0EEENS1_30default_config_static_selectorELNS0_4arch9wavefront6targetE0EEEvS12_.uses_flat_scratch, 0
	.set _ZN7rocprim17ROCPRIM_400000_NS6detail17trampoline_kernelINS0_13select_configILj256ELj13ELNS0_17block_load_methodE3ELS4_3ELS4_3ELNS0_20block_scan_algorithmE0ELj4294967295EEENS1_25partition_config_selectorILNS1_17partition_subalgoE4EjNS0_10empty_typeEbEEZZNS1_14partition_implILS8_4ELb0ES6_15HIP_vector_typeIjLj2EENS0_17counting_iteratorIjlEEPS9_SG_NS0_5tupleIJPjSI_NS0_16reverse_iteratorISI_EEEEENSH_IJSG_SG_SG_EEES9_SI_JZNS1_25segmented_radix_sort_implINS0_14default_configELb1EPKbPbPKlPlN2at6native12_GLOBAL__N_18offset_tEEE10hipError_tPvRmT1_PNSt15iterator_traitsIS12_E10value_typeET2_T3_PNS13_IS18_E10value_typeET4_jRbjT5_S1E_jjP12ihipStream_tbEUljE_ZNSN_ISO_Lb1ESQ_SR_ST_SU_SY_EESZ_S10_S11_S12_S16_S17_S18_S1B_S1C_jS1D_jS1E_S1E_jjS1G_bEUljE0_EEESZ_S10_S11_S18_S1C_S1E_T6_T7_T9_mT8_S1G_bDpT10_ENKUlT_T0_E_clISt17integral_constantIbLb1EES1U_EEDaS1P_S1Q_EUlS1P_E_NS1_11comp_targetILNS1_3genE2ELNS1_11target_archE906ELNS1_3gpuE6ELNS1_3repE0EEENS1_30default_config_static_selectorELNS0_4arch9wavefront6targetE0EEEvS12_.has_dyn_sized_stack, 0
	.set _ZN7rocprim17ROCPRIM_400000_NS6detail17trampoline_kernelINS0_13select_configILj256ELj13ELNS0_17block_load_methodE3ELS4_3ELS4_3ELNS0_20block_scan_algorithmE0ELj4294967295EEENS1_25partition_config_selectorILNS1_17partition_subalgoE4EjNS0_10empty_typeEbEEZZNS1_14partition_implILS8_4ELb0ES6_15HIP_vector_typeIjLj2EENS0_17counting_iteratorIjlEEPS9_SG_NS0_5tupleIJPjSI_NS0_16reverse_iteratorISI_EEEEENSH_IJSG_SG_SG_EEES9_SI_JZNS1_25segmented_radix_sort_implINS0_14default_configELb1EPKbPbPKlPlN2at6native12_GLOBAL__N_18offset_tEEE10hipError_tPvRmT1_PNSt15iterator_traitsIS12_E10value_typeET2_T3_PNS13_IS18_E10value_typeET4_jRbjT5_S1E_jjP12ihipStream_tbEUljE_ZNSN_ISO_Lb1ESQ_SR_ST_SU_SY_EESZ_S10_S11_S12_S16_S17_S18_S1B_S1C_jS1D_jS1E_S1E_jjS1G_bEUljE0_EEESZ_S10_S11_S18_S1C_S1E_T6_T7_T9_mT8_S1G_bDpT10_ENKUlT_T0_E_clISt17integral_constantIbLb1EES1U_EEDaS1P_S1Q_EUlS1P_E_NS1_11comp_targetILNS1_3genE2ELNS1_11target_archE906ELNS1_3gpuE6ELNS1_3repE0EEENS1_30default_config_static_selectorELNS0_4arch9wavefront6targetE0EEEvS12_.has_recursion, 0
	.set _ZN7rocprim17ROCPRIM_400000_NS6detail17trampoline_kernelINS0_13select_configILj256ELj13ELNS0_17block_load_methodE3ELS4_3ELS4_3ELNS0_20block_scan_algorithmE0ELj4294967295EEENS1_25partition_config_selectorILNS1_17partition_subalgoE4EjNS0_10empty_typeEbEEZZNS1_14partition_implILS8_4ELb0ES6_15HIP_vector_typeIjLj2EENS0_17counting_iteratorIjlEEPS9_SG_NS0_5tupleIJPjSI_NS0_16reverse_iteratorISI_EEEEENSH_IJSG_SG_SG_EEES9_SI_JZNS1_25segmented_radix_sort_implINS0_14default_configELb1EPKbPbPKlPlN2at6native12_GLOBAL__N_18offset_tEEE10hipError_tPvRmT1_PNSt15iterator_traitsIS12_E10value_typeET2_T3_PNS13_IS18_E10value_typeET4_jRbjT5_S1E_jjP12ihipStream_tbEUljE_ZNSN_ISO_Lb1ESQ_SR_ST_SU_SY_EESZ_S10_S11_S12_S16_S17_S18_S1B_S1C_jS1D_jS1E_S1E_jjS1G_bEUljE0_EEESZ_S10_S11_S18_S1C_S1E_T6_T7_T9_mT8_S1G_bDpT10_ENKUlT_T0_E_clISt17integral_constantIbLb1EES1U_EEDaS1P_S1Q_EUlS1P_E_NS1_11comp_targetILNS1_3genE2ELNS1_11target_archE906ELNS1_3gpuE6ELNS1_3repE0EEENS1_30default_config_static_selectorELNS0_4arch9wavefront6targetE0EEEvS12_.has_indirect_call, 0
	.section	.AMDGPU.csdata,"",@progbits
; Kernel info:
; codeLenInByte = 0
; TotalNumSgprs: 0
; NumVgprs: 0
; ScratchSize: 0
; MemoryBound: 0
; FloatMode: 240
; IeeeMode: 1
; LDSByteSize: 0 bytes/workgroup (compile time only)
; SGPRBlocks: 0
; VGPRBlocks: 0
; NumSGPRsForWavesPerEU: 1
; NumVGPRsForWavesPerEU: 1
; NamedBarCnt: 0
; Occupancy: 16
; WaveLimiterHint : 0
; COMPUTE_PGM_RSRC2:SCRATCH_EN: 0
; COMPUTE_PGM_RSRC2:USER_SGPR: 2
; COMPUTE_PGM_RSRC2:TRAP_HANDLER: 0
; COMPUTE_PGM_RSRC2:TGID_X_EN: 1
; COMPUTE_PGM_RSRC2:TGID_Y_EN: 0
; COMPUTE_PGM_RSRC2:TGID_Z_EN: 0
; COMPUTE_PGM_RSRC2:TIDIG_COMP_CNT: 0
	.section	.text._ZN7rocprim17ROCPRIM_400000_NS6detail17trampoline_kernelINS0_13select_configILj256ELj13ELNS0_17block_load_methodE3ELS4_3ELS4_3ELNS0_20block_scan_algorithmE0ELj4294967295EEENS1_25partition_config_selectorILNS1_17partition_subalgoE4EjNS0_10empty_typeEbEEZZNS1_14partition_implILS8_4ELb0ES6_15HIP_vector_typeIjLj2EENS0_17counting_iteratorIjlEEPS9_SG_NS0_5tupleIJPjSI_NS0_16reverse_iteratorISI_EEEEENSH_IJSG_SG_SG_EEES9_SI_JZNS1_25segmented_radix_sort_implINS0_14default_configELb1EPKbPbPKlPlN2at6native12_GLOBAL__N_18offset_tEEE10hipError_tPvRmT1_PNSt15iterator_traitsIS12_E10value_typeET2_T3_PNS13_IS18_E10value_typeET4_jRbjT5_S1E_jjP12ihipStream_tbEUljE_ZNSN_ISO_Lb1ESQ_SR_ST_SU_SY_EESZ_S10_S11_S12_S16_S17_S18_S1B_S1C_jS1D_jS1E_S1E_jjS1G_bEUljE0_EEESZ_S10_S11_S18_S1C_S1E_T6_T7_T9_mT8_S1G_bDpT10_ENKUlT_T0_E_clISt17integral_constantIbLb1EES1U_EEDaS1P_S1Q_EUlS1P_E_NS1_11comp_targetILNS1_3genE10ELNS1_11target_archE1200ELNS1_3gpuE4ELNS1_3repE0EEENS1_30default_config_static_selectorELNS0_4arch9wavefront6targetE0EEEvS12_,"axG",@progbits,_ZN7rocprim17ROCPRIM_400000_NS6detail17trampoline_kernelINS0_13select_configILj256ELj13ELNS0_17block_load_methodE3ELS4_3ELS4_3ELNS0_20block_scan_algorithmE0ELj4294967295EEENS1_25partition_config_selectorILNS1_17partition_subalgoE4EjNS0_10empty_typeEbEEZZNS1_14partition_implILS8_4ELb0ES6_15HIP_vector_typeIjLj2EENS0_17counting_iteratorIjlEEPS9_SG_NS0_5tupleIJPjSI_NS0_16reverse_iteratorISI_EEEEENSH_IJSG_SG_SG_EEES9_SI_JZNS1_25segmented_radix_sort_implINS0_14default_configELb1EPKbPbPKlPlN2at6native12_GLOBAL__N_18offset_tEEE10hipError_tPvRmT1_PNSt15iterator_traitsIS12_E10value_typeET2_T3_PNS13_IS18_E10value_typeET4_jRbjT5_S1E_jjP12ihipStream_tbEUljE_ZNSN_ISO_Lb1ESQ_SR_ST_SU_SY_EESZ_S10_S11_S12_S16_S17_S18_S1B_S1C_jS1D_jS1E_S1E_jjS1G_bEUljE0_EEESZ_S10_S11_S18_S1C_S1E_T6_T7_T9_mT8_S1G_bDpT10_ENKUlT_T0_E_clISt17integral_constantIbLb1EES1U_EEDaS1P_S1Q_EUlS1P_E_NS1_11comp_targetILNS1_3genE10ELNS1_11target_archE1200ELNS1_3gpuE4ELNS1_3repE0EEENS1_30default_config_static_selectorELNS0_4arch9wavefront6targetE0EEEvS12_,comdat
	.globl	_ZN7rocprim17ROCPRIM_400000_NS6detail17trampoline_kernelINS0_13select_configILj256ELj13ELNS0_17block_load_methodE3ELS4_3ELS4_3ELNS0_20block_scan_algorithmE0ELj4294967295EEENS1_25partition_config_selectorILNS1_17partition_subalgoE4EjNS0_10empty_typeEbEEZZNS1_14partition_implILS8_4ELb0ES6_15HIP_vector_typeIjLj2EENS0_17counting_iteratorIjlEEPS9_SG_NS0_5tupleIJPjSI_NS0_16reverse_iteratorISI_EEEEENSH_IJSG_SG_SG_EEES9_SI_JZNS1_25segmented_radix_sort_implINS0_14default_configELb1EPKbPbPKlPlN2at6native12_GLOBAL__N_18offset_tEEE10hipError_tPvRmT1_PNSt15iterator_traitsIS12_E10value_typeET2_T3_PNS13_IS18_E10value_typeET4_jRbjT5_S1E_jjP12ihipStream_tbEUljE_ZNSN_ISO_Lb1ESQ_SR_ST_SU_SY_EESZ_S10_S11_S12_S16_S17_S18_S1B_S1C_jS1D_jS1E_S1E_jjS1G_bEUljE0_EEESZ_S10_S11_S18_S1C_S1E_T6_T7_T9_mT8_S1G_bDpT10_ENKUlT_T0_E_clISt17integral_constantIbLb1EES1U_EEDaS1P_S1Q_EUlS1P_E_NS1_11comp_targetILNS1_3genE10ELNS1_11target_archE1200ELNS1_3gpuE4ELNS1_3repE0EEENS1_30default_config_static_selectorELNS0_4arch9wavefront6targetE0EEEvS12_ ; -- Begin function _ZN7rocprim17ROCPRIM_400000_NS6detail17trampoline_kernelINS0_13select_configILj256ELj13ELNS0_17block_load_methodE3ELS4_3ELS4_3ELNS0_20block_scan_algorithmE0ELj4294967295EEENS1_25partition_config_selectorILNS1_17partition_subalgoE4EjNS0_10empty_typeEbEEZZNS1_14partition_implILS8_4ELb0ES6_15HIP_vector_typeIjLj2EENS0_17counting_iteratorIjlEEPS9_SG_NS0_5tupleIJPjSI_NS0_16reverse_iteratorISI_EEEEENSH_IJSG_SG_SG_EEES9_SI_JZNS1_25segmented_radix_sort_implINS0_14default_configELb1EPKbPbPKlPlN2at6native12_GLOBAL__N_18offset_tEEE10hipError_tPvRmT1_PNSt15iterator_traitsIS12_E10value_typeET2_T3_PNS13_IS18_E10value_typeET4_jRbjT5_S1E_jjP12ihipStream_tbEUljE_ZNSN_ISO_Lb1ESQ_SR_ST_SU_SY_EESZ_S10_S11_S12_S16_S17_S18_S1B_S1C_jS1D_jS1E_S1E_jjS1G_bEUljE0_EEESZ_S10_S11_S18_S1C_S1E_T6_T7_T9_mT8_S1G_bDpT10_ENKUlT_T0_E_clISt17integral_constantIbLb1EES1U_EEDaS1P_S1Q_EUlS1P_E_NS1_11comp_targetILNS1_3genE10ELNS1_11target_archE1200ELNS1_3gpuE4ELNS1_3repE0EEENS1_30default_config_static_selectorELNS0_4arch9wavefront6targetE0EEEvS12_
	.p2align	8
	.type	_ZN7rocprim17ROCPRIM_400000_NS6detail17trampoline_kernelINS0_13select_configILj256ELj13ELNS0_17block_load_methodE3ELS4_3ELS4_3ELNS0_20block_scan_algorithmE0ELj4294967295EEENS1_25partition_config_selectorILNS1_17partition_subalgoE4EjNS0_10empty_typeEbEEZZNS1_14partition_implILS8_4ELb0ES6_15HIP_vector_typeIjLj2EENS0_17counting_iteratorIjlEEPS9_SG_NS0_5tupleIJPjSI_NS0_16reverse_iteratorISI_EEEEENSH_IJSG_SG_SG_EEES9_SI_JZNS1_25segmented_radix_sort_implINS0_14default_configELb1EPKbPbPKlPlN2at6native12_GLOBAL__N_18offset_tEEE10hipError_tPvRmT1_PNSt15iterator_traitsIS12_E10value_typeET2_T3_PNS13_IS18_E10value_typeET4_jRbjT5_S1E_jjP12ihipStream_tbEUljE_ZNSN_ISO_Lb1ESQ_SR_ST_SU_SY_EESZ_S10_S11_S12_S16_S17_S18_S1B_S1C_jS1D_jS1E_S1E_jjS1G_bEUljE0_EEESZ_S10_S11_S18_S1C_S1E_T6_T7_T9_mT8_S1G_bDpT10_ENKUlT_T0_E_clISt17integral_constantIbLb1EES1U_EEDaS1P_S1Q_EUlS1P_E_NS1_11comp_targetILNS1_3genE10ELNS1_11target_archE1200ELNS1_3gpuE4ELNS1_3repE0EEENS1_30default_config_static_selectorELNS0_4arch9wavefront6targetE0EEEvS12_,@function
_ZN7rocprim17ROCPRIM_400000_NS6detail17trampoline_kernelINS0_13select_configILj256ELj13ELNS0_17block_load_methodE3ELS4_3ELS4_3ELNS0_20block_scan_algorithmE0ELj4294967295EEENS1_25partition_config_selectorILNS1_17partition_subalgoE4EjNS0_10empty_typeEbEEZZNS1_14partition_implILS8_4ELb0ES6_15HIP_vector_typeIjLj2EENS0_17counting_iteratorIjlEEPS9_SG_NS0_5tupleIJPjSI_NS0_16reverse_iteratorISI_EEEEENSH_IJSG_SG_SG_EEES9_SI_JZNS1_25segmented_radix_sort_implINS0_14default_configELb1EPKbPbPKlPlN2at6native12_GLOBAL__N_18offset_tEEE10hipError_tPvRmT1_PNSt15iterator_traitsIS12_E10value_typeET2_T3_PNS13_IS18_E10value_typeET4_jRbjT5_S1E_jjP12ihipStream_tbEUljE_ZNSN_ISO_Lb1ESQ_SR_ST_SU_SY_EESZ_S10_S11_S12_S16_S17_S18_S1B_S1C_jS1D_jS1E_S1E_jjS1G_bEUljE0_EEESZ_S10_S11_S18_S1C_S1E_T6_T7_T9_mT8_S1G_bDpT10_ENKUlT_T0_E_clISt17integral_constantIbLb1EES1U_EEDaS1P_S1Q_EUlS1P_E_NS1_11comp_targetILNS1_3genE10ELNS1_11target_archE1200ELNS1_3gpuE4ELNS1_3repE0EEENS1_30default_config_static_selectorELNS0_4arch9wavefront6targetE0EEEvS12_: ; @_ZN7rocprim17ROCPRIM_400000_NS6detail17trampoline_kernelINS0_13select_configILj256ELj13ELNS0_17block_load_methodE3ELS4_3ELS4_3ELNS0_20block_scan_algorithmE0ELj4294967295EEENS1_25partition_config_selectorILNS1_17partition_subalgoE4EjNS0_10empty_typeEbEEZZNS1_14partition_implILS8_4ELb0ES6_15HIP_vector_typeIjLj2EENS0_17counting_iteratorIjlEEPS9_SG_NS0_5tupleIJPjSI_NS0_16reverse_iteratorISI_EEEEENSH_IJSG_SG_SG_EEES9_SI_JZNS1_25segmented_radix_sort_implINS0_14default_configELb1EPKbPbPKlPlN2at6native12_GLOBAL__N_18offset_tEEE10hipError_tPvRmT1_PNSt15iterator_traitsIS12_E10value_typeET2_T3_PNS13_IS18_E10value_typeET4_jRbjT5_S1E_jjP12ihipStream_tbEUljE_ZNSN_ISO_Lb1ESQ_SR_ST_SU_SY_EESZ_S10_S11_S12_S16_S17_S18_S1B_S1C_jS1D_jS1E_S1E_jjS1G_bEUljE0_EEESZ_S10_S11_S18_S1C_S1E_T6_T7_T9_mT8_S1G_bDpT10_ENKUlT_T0_E_clISt17integral_constantIbLb1EES1U_EEDaS1P_S1Q_EUlS1P_E_NS1_11comp_targetILNS1_3genE10ELNS1_11target_archE1200ELNS1_3gpuE4ELNS1_3repE0EEENS1_30default_config_static_selectorELNS0_4arch9wavefront6targetE0EEEvS12_
; %bb.0:
	.section	.rodata,"a",@progbits
	.p2align	6, 0x0
	.amdhsa_kernel _ZN7rocprim17ROCPRIM_400000_NS6detail17trampoline_kernelINS0_13select_configILj256ELj13ELNS0_17block_load_methodE3ELS4_3ELS4_3ELNS0_20block_scan_algorithmE0ELj4294967295EEENS1_25partition_config_selectorILNS1_17partition_subalgoE4EjNS0_10empty_typeEbEEZZNS1_14partition_implILS8_4ELb0ES6_15HIP_vector_typeIjLj2EENS0_17counting_iteratorIjlEEPS9_SG_NS0_5tupleIJPjSI_NS0_16reverse_iteratorISI_EEEEENSH_IJSG_SG_SG_EEES9_SI_JZNS1_25segmented_radix_sort_implINS0_14default_configELb1EPKbPbPKlPlN2at6native12_GLOBAL__N_18offset_tEEE10hipError_tPvRmT1_PNSt15iterator_traitsIS12_E10value_typeET2_T3_PNS13_IS18_E10value_typeET4_jRbjT5_S1E_jjP12ihipStream_tbEUljE_ZNSN_ISO_Lb1ESQ_SR_ST_SU_SY_EESZ_S10_S11_S12_S16_S17_S18_S1B_S1C_jS1D_jS1E_S1E_jjS1G_bEUljE0_EEESZ_S10_S11_S18_S1C_S1E_T6_T7_T9_mT8_S1G_bDpT10_ENKUlT_T0_E_clISt17integral_constantIbLb1EES1U_EEDaS1P_S1Q_EUlS1P_E_NS1_11comp_targetILNS1_3genE10ELNS1_11target_archE1200ELNS1_3gpuE4ELNS1_3repE0EEENS1_30default_config_static_selectorELNS0_4arch9wavefront6targetE0EEEvS12_
		.amdhsa_group_segment_fixed_size 0
		.amdhsa_private_segment_fixed_size 0
		.amdhsa_kernarg_size 184
		.amdhsa_user_sgpr_count 2
		.amdhsa_user_sgpr_dispatch_ptr 0
		.amdhsa_user_sgpr_queue_ptr 0
		.amdhsa_user_sgpr_kernarg_segment_ptr 1
		.amdhsa_user_sgpr_dispatch_id 0
		.amdhsa_user_sgpr_kernarg_preload_length 0
		.amdhsa_user_sgpr_kernarg_preload_offset 0
		.amdhsa_user_sgpr_private_segment_size 0
		.amdhsa_wavefront_size32 1
		.amdhsa_uses_dynamic_stack 0
		.amdhsa_enable_private_segment 0
		.amdhsa_system_sgpr_workgroup_id_x 1
		.amdhsa_system_sgpr_workgroup_id_y 0
		.amdhsa_system_sgpr_workgroup_id_z 0
		.amdhsa_system_sgpr_workgroup_info 0
		.amdhsa_system_vgpr_workitem_id 0
		.amdhsa_next_free_vgpr 1
		.amdhsa_next_free_sgpr 1
		.amdhsa_named_barrier_count 0
		.amdhsa_reserve_vcc 0
		.amdhsa_float_round_mode_32 0
		.amdhsa_float_round_mode_16_64 0
		.amdhsa_float_denorm_mode_32 3
		.amdhsa_float_denorm_mode_16_64 3
		.amdhsa_fp16_overflow 0
		.amdhsa_memory_ordered 1
		.amdhsa_forward_progress 1
		.amdhsa_inst_pref_size 0
		.amdhsa_round_robin_scheduling 0
		.amdhsa_exception_fp_ieee_invalid_op 0
		.amdhsa_exception_fp_denorm_src 0
		.amdhsa_exception_fp_ieee_div_zero 0
		.amdhsa_exception_fp_ieee_overflow 0
		.amdhsa_exception_fp_ieee_underflow 0
		.amdhsa_exception_fp_ieee_inexact 0
		.amdhsa_exception_int_div_zero 0
	.end_amdhsa_kernel
	.section	.text._ZN7rocprim17ROCPRIM_400000_NS6detail17trampoline_kernelINS0_13select_configILj256ELj13ELNS0_17block_load_methodE3ELS4_3ELS4_3ELNS0_20block_scan_algorithmE0ELj4294967295EEENS1_25partition_config_selectorILNS1_17partition_subalgoE4EjNS0_10empty_typeEbEEZZNS1_14partition_implILS8_4ELb0ES6_15HIP_vector_typeIjLj2EENS0_17counting_iteratorIjlEEPS9_SG_NS0_5tupleIJPjSI_NS0_16reverse_iteratorISI_EEEEENSH_IJSG_SG_SG_EEES9_SI_JZNS1_25segmented_radix_sort_implINS0_14default_configELb1EPKbPbPKlPlN2at6native12_GLOBAL__N_18offset_tEEE10hipError_tPvRmT1_PNSt15iterator_traitsIS12_E10value_typeET2_T3_PNS13_IS18_E10value_typeET4_jRbjT5_S1E_jjP12ihipStream_tbEUljE_ZNSN_ISO_Lb1ESQ_SR_ST_SU_SY_EESZ_S10_S11_S12_S16_S17_S18_S1B_S1C_jS1D_jS1E_S1E_jjS1G_bEUljE0_EEESZ_S10_S11_S18_S1C_S1E_T6_T7_T9_mT8_S1G_bDpT10_ENKUlT_T0_E_clISt17integral_constantIbLb1EES1U_EEDaS1P_S1Q_EUlS1P_E_NS1_11comp_targetILNS1_3genE10ELNS1_11target_archE1200ELNS1_3gpuE4ELNS1_3repE0EEENS1_30default_config_static_selectorELNS0_4arch9wavefront6targetE0EEEvS12_,"axG",@progbits,_ZN7rocprim17ROCPRIM_400000_NS6detail17trampoline_kernelINS0_13select_configILj256ELj13ELNS0_17block_load_methodE3ELS4_3ELS4_3ELNS0_20block_scan_algorithmE0ELj4294967295EEENS1_25partition_config_selectorILNS1_17partition_subalgoE4EjNS0_10empty_typeEbEEZZNS1_14partition_implILS8_4ELb0ES6_15HIP_vector_typeIjLj2EENS0_17counting_iteratorIjlEEPS9_SG_NS0_5tupleIJPjSI_NS0_16reverse_iteratorISI_EEEEENSH_IJSG_SG_SG_EEES9_SI_JZNS1_25segmented_radix_sort_implINS0_14default_configELb1EPKbPbPKlPlN2at6native12_GLOBAL__N_18offset_tEEE10hipError_tPvRmT1_PNSt15iterator_traitsIS12_E10value_typeET2_T3_PNS13_IS18_E10value_typeET4_jRbjT5_S1E_jjP12ihipStream_tbEUljE_ZNSN_ISO_Lb1ESQ_SR_ST_SU_SY_EESZ_S10_S11_S12_S16_S17_S18_S1B_S1C_jS1D_jS1E_S1E_jjS1G_bEUljE0_EEESZ_S10_S11_S18_S1C_S1E_T6_T7_T9_mT8_S1G_bDpT10_ENKUlT_T0_E_clISt17integral_constantIbLb1EES1U_EEDaS1P_S1Q_EUlS1P_E_NS1_11comp_targetILNS1_3genE10ELNS1_11target_archE1200ELNS1_3gpuE4ELNS1_3repE0EEENS1_30default_config_static_selectorELNS0_4arch9wavefront6targetE0EEEvS12_,comdat
.Lfunc_end1473:
	.size	_ZN7rocprim17ROCPRIM_400000_NS6detail17trampoline_kernelINS0_13select_configILj256ELj13ELNS0_17block_load_methodE3ELS4_3ELS4_3ELNS0_20block_scan_algorithmE0ELj4294967295EEENS1_25partition_config_selectorILNS1_17partition_subalgoE4EjNS0_10empty_typeEbEEZZNS1_14partition_implILS8_4ELb0ES6_15HIP_vector_typeIjLj2EENS0_17counting_iteratorIjlEEPS9_SG_NS0_5tupleIJPjSI_NS0_16reverse_iteratorISI_EEEEENSH_IJSG_SG_SG_EEES9_SI_JZNS1_25segmented_radix_sort_implINS0_14default_configELb1EPKbPbPKlPlN2at6native12_GLOBAL__N_18offset_tEEE10hipError_tPvRmT1_PNSt15iterator_traitsIS12_E10value_typeET2_T3_PNS13_IS18_E10value_typeET4_jRbjT5_S1E_jjP12ihipStream_tbEUljE_ZNSN_ISO_Lb1ESQ_SR_ST_SU_SY_EESZ_S10_S11_S12_S16_S17_S18_S1B_S1C_jS1D_jS1E_S1E_jjS1G_bEUljE0_EEESZ_S10_S11_S18_S1C_S1E_T6_T7_T9_mT8_S1G_bDpT10_ENKUlT_T0_E_clISt17integral_constantIbLb1EES1U_EEDaS1P_S1Q_EUlS1P_E_NS1_11comp_targetILNS1_3genE10ELNS1_11target_archE1200ELNS1_3gpuE4ELNS1_3repE0EEENS1_30default_config_static_selectorELNS0_4arch9wavefront6targetE0EEEvS12_, .Lfunc_end1473-_ZN7rocprim17ROCPRIM_400000_NS6detail17trampoline_kernelINS0_13select_configILj256ELj13ELNS0_17block_load_methodE3ELS4_3ELS4_3ELNS0_20block_scan_algorithmE0ELj4294967295EEENS1_25partition_config_selectorILNS1_17partition_subalgoE4EjNS0_10empty_typeEbEEZZNS1_14partition_implILS8_4ELb0ES6_15HIP_vector_typeIjLj2EENS0_17counting_iteratorIjlEEPS9_SG_NS0_5tupleIJPjSI_NS0_16reverse_iteratorISI_EEEEENSH_IJSG_SG_SG_EEES9_SI_JZNS1_25segmented_radix_sort_implINS0_14default_configELb1EPKbPbPKlPlN2at6native12_GLOBAL__N_18offset_tEEE10hipError_tPvRmT1_PNSt15iterator_traitsIS12_E10value_typeET2_T3_PNS13_IS18_E10value_typeET4_jRbjT5_S1E_jjP12ihipStream_tbEUljE_ZNSN_ISO_Lb1ESQ_SR_ST_SU_SY_EESZ_S10_S11_S12_S16_S17_S18_S1B_S1C_jS1D_jS1E_S1E_jjS1G_bEUljE0_EEESZ_S10_S11_S18_S1C_S1E_T6_T7_T9_mT8_S1G_bDpT10_ENKUlT_T0_E_clISt17integral_constantIbLb1EES1U_EEDaS1P_S1Q_EUlS1P_E_NS1_11comp_targetILNS1_3genE10ELNS1_11target_archE1200ELNS1_3gpuE4ELNS1_3repE0EEENS1_30default_config_static_selectorELNS0_4arch9wavefront6targetE0EEEvS12_
                                        ; -- End function
	.set _ZN7rocprim17ROCPRIM_400000_NS6detail17trampoline_kernelINS0_13select_configILj256ELj13ELNS0_17block_load_methodE3ELS4_3ELS4_3ELNS0_20block_scan_algorithmE0ELj4294967295EEENS1_25partition_config_selectorILNS1_17partition_subalgoE4EjNS0_10empty_typeEbEEZZNS1_14partition_implILS8_4ELb0ES6_15HIP_vector_typeIjLj2EENS0_17counting_iteratorIjlEEPS9_SG_NS0_5tupleIJPjSI_NS0_16reverse_iteratorISI_EEEEENSH_IJSG_SG_SG_EEES9_SI_JZNS1_25segmented_radix_sort_implINS0_14default_configELb1EPKbPbPKlPlN2at6native12_GLOBAL__N_18offset_tEEE10hipError_tPvRmT1_PNSt15iterator_traitsIS12_E10value_typeET2_T3_PNS13_IS18_E10value_typeET4_jRbjT5_S1E_jjP12ihipStream_tbEUljE_ZNSN_ISO_Lb1ESQ_SR_ST_SU_SY_EESZ_S10_S11_S12_S16_S17_S18_S1B_S1C_jS1D_jS1E_S1E_jjS1G_bEUljE0_EEESZ_S10_S11_S18_S1C_S1E_T6_T7_T9_mT8_S1G_bDpT10_ENKUlT_T0_E_clISt17integral_constantIbLb1EES1U_EEDaS1P_S1Q_EUlS1P_E_NS1_11comp_targetILNS1_3genE10ELNS1_11target_archE1200ELNS1_3gpuE4ELNS1_3repE0EEENS1_30default_config_static_selectorELNS0_4arch9wavefront6targetE0EEEvS12_.num_vgpr, 0
	.set _ZN7rocprim17ROCPRIM_400000_NS6detail17trampoline_kernelINS0_13select_configILj256ELj13ELNS0_17block_load_methodE3ELS4_3ELS4_3ELNS0_20block_scan_algorithmE0ELj4294967295EEENS1_25partition_config_selectorILNS1_17partition_subalgoE4EjNS0_10empty_typeEbEEZZNS1_14partition_implILS8_4ELb0ES6_15HIP_vector_typeIjLj2EENS0_17counting_iteratorIjlEEPS9_SG_NS0_5tupleIJPjSI_NS0_16reverse_iteratorISI_EEEEENSH_IJSG_SG_SG_EEES9_SI_JZNS1_25segmented_radix_sort_implINS0_14default_configELb1EPKbPbPKlPlN2at6native12_GLOBAL__N_18offset_tEEE10hipError_tPvRmT1_PNSt15iterator_traitsIS12_E10value_typeET2_T3_PNS13_IS18_E10value_typeET4_jRbjT5_S1E_jjP12ihipStream_tbEUljE_ZNSN_ISO_Lb1ESQ_SR_ST_SU_SY_EESZ_S10_S11_S12_S16_S17_S18_S1B_S1C_jS1D_jS1E_S1E_jjS1G_bEUljE0_EEESZ_S10_S11_S18_S1C_S1E_T6_T7_T9_mT8_S1G_bDpT10_ENKUlT_T0_E_clISt17integral_constantIbLb1EES1U_EEDaS1P_S1Q_EUlS1P_E_NS1_11comp_targetILNS1_3genE10ELNS1_11target_archE1200ELNS1_3gpuE4ELNS1_3repE0EEENS1_30default_config_static_selectorELNS0_4arch9wavefront6targetE0EEEvS12_.num_agpr, 0
	.set _ZN7rocprim17ROCPRIM_400000_NS6detail17trampoline_kernelINS0_13select_configILj256ELj13ELNS0_17block_load_methodE3ELS4_3ELS4_3ELNS0_20block_scan_algorithmE0ELj4294967295EEENS1_25partition_config_selectorILNS1_17partition_subalgoE4EjNS0_10empty_typeEbEEZZNS1_14partition_implILS8_4ELb0ES6_15HIP_vector_typeIjLj2EENS0_17counting_iteratorIjlEEPS9_SG_NS0_5tupleIJPjSI_NS0_16reverse_iteratorISI_EEEEENSH_IJSG_SG_SG_EEES9_SI_JZNS1_25segmented_radix_sort_implINS0_14default_configELb1EPKbPbPKlPlN2at6native12_GLOBAL__N_18offset_tEEE10hipError_tPvRmT1_PNSt15iterator_traitsIS12_E10value_typeET2_T3_PNS13_IS18_E10value_typeET4_jRbjT5_S1E_jjP12ihipStream_tbEUljE_ZNSN_ISO_Lb1ESQ_SR_ST_SU_SY_EESZ_S10_S11_S12_S16_S17_S18_S1B_S1C_jS1D_jS1E_S1E_jjS1G_bEUljE0_EEESZ_S10_S11_S18_S1C_S1E_T6_T7_T9_mT8_S1G_bDpT10_ENKUlT_T0_E_clISt17integral_constantIbLb1EES1U_EEDaS1P_S1Q_EUlS1P_E_NS1_11comp_targetILNS1_3genE10ELNS1_11target_archE1200ELNS1_3gpuE4ELNS1_3repE0EEENS1_30default_config_static_selectorELNS0_4arch9wavefront6targetE0EEEvS12_.numbered_sgpr, 0
	.set _ZN7rocprim17ROCPRIM_400000_NS6detail17trampoline_kernelINS0_13select_configILj256ELj13ELNS0_17block_load_methodE3ELS4_3ELS4_3ELNS0_20block_scan_algorithmE0ELj4294967295EEENS1_25partition_config_selectorILNS1_17partition_subalgoE4EjNS0_10empty_typeEbEEZZNS1_14partition_implILS8_4ELb0ES6_15HIP_vector_typeIjLj2EENS0_17counting_iteratorIjlEEPS9_SG_NS0_5tupleIJPjSI_NS0_16reverse_iteratorISI_EEEEENSH_IJSG_SG_SG_EEES9_SI_JZNS1_25segmented_radix_sort_implINS0_14default_configELb1EPKbPbPKlPlN2at6native12_GLOBAL__N_18offset_tEEE10hipError_tPvRmT1_PNSt15iterator_traitsIS12_E10value_typeET2_T3_PNS13_IS18_E10value_typeET4_jRbjT5_S1E_jjP12ihipStream_tbEUljE_ZNSN_ISO_Lb1ESQ_SR_ST_SU_SY_EESZ_S10_S11_S12_S16_S17_S18_S1B_S1C_jS1D_jS1E_S1E_jjS1G_bEUljE0_EEESZ_S10_S11_S18_S1C_S1E_T6_T7_T9_mT8_S1G_bDpT10_ENKUlT_T0_E_clISt17integral_constantIbLb1EES1U_EEDaS1P_S1Q_EUlS1P_E_NS1_11comp_targetILNS1_3genE10ELNS1_11target_archE1200ELNS1_3gpuE4ELNS1_3repE0EEENS1_30default_config_static_selectorELNS0_4arch9wavefront6targetE0EEEvS12_.num_named_barrier, 0
	.set _ZN7rocprim17ROCPRIM_400000_NS6detail17trampoline_kernelINS0_13select_configILj256ELj13ELNS0_17block_load_methodE3ELS4_3ELS4_3ELNS0_20block_scan_algorithmE0ELj4294967295EEENS1_25partition_config_selectorILNS1_17partition_subalgoE4EjNS0_10empty_typeEbEEZZNS1_14partition_implILS8_4ELb0ES6_15HIP_vector_typeIjLj2EENS0_17counting_iteratorIjlEEPS9_SG_NS0_5tupleIJPjSI_NS0_16reverse_iteratorISI_EEEEENSH_IJSG_SG_SG_EEES9_SI_JZNS1_25segmented_radix_sort_implINS0_14default_configELb1EPKbPbPKlPlN2at6native12_GLOBAL__N_18offset_tEEE10hipError_tPvRmT1_PNSt15iterator_traitsIS12_E10value_typeET2_T3_PNS13_IS18_E10value_typeET4_jRbjT5_S1E_jjP12ihipStream_tbEUljE_ZNSN_ISO_Lb1ESQ_SR_ST_SU_SY_EESZ_S10_S11_S12_S16_S17_S18_S1B_S1C_jS1D_jS1E_S1E_jjS1G_bEUljE0_EEESZ_S10_S11_S18_S1C_S1E_T6_T7_T9_mT8_S1G_bDpT10_ENKUlT_T0_E_clISt17integral_constantIbLb1EES1U_EEDaS1P_S1Q_EUlS1P_E_NS1_11comp_targetILNS1_3genE10ELNS1_11target_archE1200ELNS1_3gpuE4ELNS1_3repE0EEENS1_30default_config_static_selectorELNS0_4arch9wavefront6targetE0EEEvS12_.private_seg_size, 0
	.set _ZN7rocprim17ROCPRIM_400000_NS6detail17trampoline_kernelINS0_13select_configILj256ELj13ELNS0_17block_load_methodE3ELS4_3ELS4_3ELNS0_20block_scan_algorithmE0ELj4294967295EEENS1_25partition_config_selectorILNS1_17partition_subalgoE4EjNS0_10empty_typeEbEEZZNS1_14partition_implILS8_4ELb0ES6_15HIP_vector_typeIjLj2EENS0_17counting_iteratorIjlEEPS9_SG_NS0_5tupleIJPjSI_NS0_16reverse_iteratorISI_EEEEENSH_IJSG_SG_SG_EEES9_SI_JZNS1_25segmented_radix_sort_implINS0_14default_configELb1EPKbPbPKlPlN2at6native12_GLOBAL__N_18offset_tEEE10hipError_tPvRmT1_PNSt15iterator_traitsIS12_E10value_typeET2_T3_PNS13_IS18_E10value_typeET4_jRbjT5_S1E_jjP12ihipStream_tbEUljE_ZNSN_ISO_Lb1ESQ_SR_ST_SU_SY_EESZ_S10_S11_S12_S16_S17_S18_S1B_S1C_jS1D_jS1E_S1E_jjS1G_bEUljE0_EEESZ_S10_S11_S18_S1C_S1E_T6_T7_T9_mT8_S1G_bDpT10_ENKUlT_T0_E_clISt17integral_constantIbLb1EES1U_EEDaS1P_S1Q_EUlS1P_E_NS1_11comp_targetILNS1_3genE10ELNS1_11target_archE1200ELNS1_3gpuE4ELNS1_3repE0EEENS1_30default_config_static_selectorELNS0_4arch9wavefront6targetE0EEEvS12_.uses_vcc, 0
	.set _ZN7rocprim17ROCPRIM_400000_NS6detail17trampoline_kernelINS0_13select_configILj256ELj13ELNS0_17block_load_methodE3ELS4_3ELS4_3ELNS0_20block_scan_algorithmE0ELj4294967295EEENS1_25partition_config_selectorILNS1_17partition_subalgoE4EjNS0_10empty_typeEbEEZZNS1_14partition_implILS8_4ELb0ES6_15HIP_vector_typeIjLj2EENS0_17counting_iteratorIjlEEPS9_SG_NS0_5tupleIJPjSI_NS0_16reverse_iteratorISI_EEEEENSH_IJSG_SG_SG_EEES9_SI_JZNS1_25segmented_radix_sort_implINS0_14default_configELb1EPKbPbPKlPlN2at6native12_GLOBAL__N_18offset_tEEE10hipError_tPvRmT1_PNSt15iterator_traitsIS12_E10value_typeET2_T3_PNS13_IS18_E10value_typeET4_jRbjT5_S1E_jjP12ihipStream_tbEUljE_ZNSN_ISO_Lb1ESQ_SR_ST_SU_SY_EESZ_S10_S11_S12_S16_S17_S18_S1B_S1C_jS1D_jS1E_S1E_jjS1G_bEUljE0_EEESZ_S10_S11_S18_S1C_S1E_T6_T7_T9_mT8_S1G_bDpT10_ENKUlT_T0_E_clISt17integral_constantIbLb1EES1U_EEDaS1P_S1Q_EUlS1P_E_NS1_11comp_targetILNS1_3genE10ELNS1_11target_archE1200ELNS1_3gpuE4ELNS1_3repE0EEENS1_30default_config_static_selectorELNS0_4arch9wavefront6targetE0EEEvS12_.uses_flat_scratch, 0
	.set _ZN7rocprim17ROCPRIM_400000_NS6detail17trampoline_kernelINS0_13select_configILj256ELj13ELNS0_17block_load_methodE3ELS4_3ELS4_3ELNS0_20block_scan_algorithmE0ELj4294967295EEENS1_25partition_config_selectorILNS1_17partition_subalgoE4EjNS0_10empty_typeEbEEZZNS1_14partition_implILS8_4ELb0ES6_15HIP_vector_typeIjLj2EENS0_17counting_iteratorIjlEEPS9_SG_NS0_5tupleIJPjSI_NS0_16reverse_iteratorISI_EEEEENSH_IJSG_SG_SG_EEES9_SI_JZNS1_25segmented_radix_sort_implINS0_14default_configELb1EPKbPbPKlPlN2at6native12_GLOBAL__N_18offset_tEEE10hipError_tPvRmT1_PNSt15iterator_traitsIS12_E10value_typeET2_T3_PNS13_IS18_E10value_typeET4_jRbjT5_S1E_jjP12ihipStream_tbEUljE_ZNSN_ISO_Lb1ESQ_SR_ST_SU_SY_EESZ_S10_S11_S12_S16_S17_S18_S1B_S1C_jS1D_jS1E_S1E_jjS1G_bEUljE0_EEESZ_S10_S11_S18_S1C_S1E_T6_T7_T9_mT8_S1G_bDpT10_ENKUlT_T0_E_clISt17integral_constantIbLb1EES1U_EEDaS1P_S1Q_EUlS1P_E_NS1_11comp_targetILNS1_3genE10ELNS1_11target_archE1200ELNS1_3gpuE4ELNS1_3repE0EEENS1_30default_config_static_selectorELNS0_4arch9wavefront6targetE0EEEvS12_.has_dyn_sized_stack, 0
	.set _ZN7rocprim17ROCPRIM_400000_NS6detail17trampoline_kernelINS0_13select_configILj256ELj13ELNS0_17block_load_methodE3ELS4_3ELS4_3ELNS0_20block_scan_algorithmE0ELj4294967295EEENS1_25partition_config_selectorILNS1_17partition_subalgoE4EjNS0_10empty_typeEbEEZZNS1_14partition_implILS8_4ELb0ES6_15HIP_vector_typeIjLj2EENS0_17counting_iteratorIjlEEPS9_SG_NS0_5tupleIJPjSI_NS0_16reverse_iteratorISI_EEEEENSH_IJSG_SG_SG_EEES9_SI_JZNS1_25segmented_radix_sort_implINS0_14default_configELb1EPKbPbPKlPlN2at6native12_GLOBAL__N_18offset_tEEE10hipError_tPvRmT1_PNSt15iterator_traitsIS12_E10value_typeET2_T3_PNS13_IS18_E10value_typeET4_jRbjT5_S1E_jjP12ihipStream_tbEUljE_ZNSN_ISO_Lb1ESQ_SR_ST_SU_SY_EESZ_S10_S11_S12_S16_S17_S18_S1B_S1C_jS1D_jS1E_S1E_jjS1G_bEUljE0_EEESZ_S10_S11_S18_S1C_S1E_T6_T7_T9_mT8_S1G_bDpT10_ENKUlT_T0_E_clISt17integral_constantIbLb1EES1U_EEDaS1P_S1Q_EUlS1P_E_NS1_11comp_targetILNS1_3genE10ELNS1_11target_archE1200ELNS1_3gpuE4ELNS1_3repE0EEENS1_30default_config_static_selectorELNS0_4arch9wavefront6targetE0EEEvS12_.has_recursion, 0
	.set _ZN7rocprim17ROCPRIM_400000_NS6detail17trampoline_kernelINS0_13select_configILj256ELj13ELNS0_17block_load_methodE3ELS4_3ELS4_3ELNS0_20block_scan_algorithmE0ELj4294967295EEENS1_25partition_config_selectorILNS1_17partition_subalgoE4EjNS0_10empty_typeEbEEZZNS1_14partition_implILS8_4ELb0ES6_15HIP_vector_typeIjLj2EENS0_17counting_iteratorIjlEEPS9_SG_NS0_5tupleIJPjSI_NS0_16reverse_iteratorISI_EEEEENSH_IJSG_SG_SG_EEES9_SI_JZNS1_25segmented_radix_sort_implINS0_14default_configELb1EPKbPbPKlPlN2at6native12_GLOBAL__N_18offset_tEEE10hipError_tPvRmT1_PNSt15iterator_traitsIS12_E10value_typeET2_T3_PNS13_IS18_E10value_typeET4_jRbjT5_S1E_jjP12ihipStream_tbEUljE_ZNSN_ISO_Lb1ESQ_SR_ST_SU_SY_EESZ_S10_S11_S12_S16_S17_S18_S1B_S1C_jS1D_jS1E_S1E_jjS1G_bEUljE0_EEESZ_S10_S11_S18_S1C_S1E_T6_T7_T9_mT8_S1G_bDpT10_ENKUlT_T0_E_clISt17integral_constantIbLb1EES1U_EEDaS1P_S1Q_EUlS1P_E_NS1_11comp_targetILNS1_3genE10ELNS1_11target_archE1200ELNS1_3gpuE4ELNS1_3repE0EEENS1_30default_config_static_selectorELNS0_4arch9wavefront6targetE0EEEvS12_.has_indirect_call, 0
	.section	.AMDGPU.csdata,"",@progbits
; Kernel info:
; codeLenInByte = 0
; TotalNumSgprs: 0
; NumVgprs: 0
; ScratchSize: 0
; MemoryBound: 0
; FloatMode: 240
; IeeeMode: 1
; LDSByteSize: 0 bytes/workgroup (compile time only)
; SGPRBlocks: 0
; VGPRBlocks: 0
; NumSGPRsForWavesPerEU: 1
; NumVGPRsForWavesPerEU: 1
; NamedBarCnt: 0
; Occupancy: 16
; WaveLimiterHint : 0
; COMPUTE_PGM_RSRC2:SCRATCH_EN: 0
; COMPUTE_PGM_RSRC2:USER_SGPR: 2
; COMPUTE_PGM_RSRC2:TRAP_HANDLER: 0
; COMPUTE_PGM_RSRC2:TGID_X_EN: 1
; COMPUTE_PGM_RSRC2:TGID_Y_EN: 0
; COMPUTE_PGM_RSRC2:TGID_Z_EN: 0
; COMPUTE_PGM_RSRC2:TIDIG_COMP_CNT: 0
	.section	.text._ZN7rocprim17ROCPRIM_400000_NS6detail17trampoline_kernelINS0_13select_configILj256ELj13ELNS0_17block_load_methodE3ELS4_3ELS4_3ELNS0_20block_scan_algorithmE0ELj4294967295EEENS1_25partition_config_selectorILNS1_17partition_subalgoE4EjNS0_10empty_typeEbEEZZNS1_14partition_implILS8_4ELb0ES6_15HIP_vector_typeIjLj2EENS0_17counting_iteratorIjlEEPS9_SG_NS0_5tupleIJPjSI_NS0_16reverse_iteratorISI_EEEEENSH_IJSG_SG_SG_EEES9_SI_JZNS1_25segmented_radix_sort_implINS0_14default_configELb1EPKbPbPKlPlN2at6native12_GLOBAL__N_18offset_tEEE10hipError_tPvRmT1_PNSt15iterator_traitsIS12_E10value_typeET2_T3_PNS13_IS18_E10value_typeET4_jRbjT5_S1E_jjP12ihipStream_tbEUljE_ZNSN_ISO_Lb1ESQ_SR_ST_SU_SY_EESZ_S10_S11_S12_S16_S17_S18_S1B_S1C_jS1D_jS1E_S1E_jjS1G_bEUljE0_EEESZ_S10_S11_S18_S1C_S1E_T6_T7_T9_mT8_S1G_bDpT10_ENKUlT_T0_E_clISt17integral_constantIbLb1EES1U_EEDaS1P_S1Q_EUlS1P_E_NS1_11comp_targetILNS1_3genE9ELNS1_11target_archE1100ELNS1_3gpuE3ELNS1_3repE0EEENS1_30default_config_static_selectorELNS0_4arch9wavefront6targetE0EEEvS12_,"axG",@progbits,_ZN7rocprim17ROCPRIM_400000_NS6detail17trampoline_kernelINS0_13select_configILj256ELj13ELNS0_17block_load_methodE3ELS4_3ELS4_3ELNS0_20block_scan_algorithmE0ELj4294967295EEENS1_25partition_config_selectorILNS1_17partition_subalgoE4EjNS0_10empty_typeEbEEZZNS1_14partition_implILS8_4ELb0ES6_15HIP_vector_typeIjLj2EENS0_17counting_iteratorIjlEEPS9_SG_NS0_5tupleIJPjSI_NS0_16reverse_iteratorISI_EEEEENSH_IJSG_SG_SG_EEES9_SI_JZNS1_25segmented_radix_sort_implINS0_14default_configELb1EPKbPbPKlPlN2at6native12_GLOBAL__N_18offset_tEEE10hipError_tPvRmT1_PNSt15iterator_traitsIS12_E10value_typeET2_T3_PNS13_IS18_E10value_typeET4_jRbjT5_S1E_jjP12ihipStream_tbEUljE_ZNSN_ISO_Lb1ESQ_SR_ST_SU_SY_EESZ_S10_S11_S12_S16_S17_S18_S1B_S1C_jS1D_jS1E_S1E_jjS1G_bEUljE0_EEESZ_S10_S11_S18_S1C_S1E_T6_T7_T9_mT8_S1G_bDpT10_ENKUlT_T0_E_clISt17integral_constantIbLb1EES1U_EEDaS1P_S1Q_EUlS1P_E_NS1_11comp_targetILNS1_3genE9ELNS1_11target_archE1100ELNS1_3gpuE3ELNS1_3repE0EEENS1_30default_config_static_selectorELNS0_4arch9wavefront6targetE0EEEvS12_,comdat
	.globl	_ZN7rocprim17ROCPRIM_400000_NS6detail17trampoline_kernelINS0_13select_configILj256ELj13ELNS0_17block_load_methodE3ELS4_3ELS4_3ELNS0_20block_scan_algorithmE0ELj4294967295EEENS1_25partition_config_selectorILNS1_17partition_subalgoE4EjNS0_10empty_typeEbEEZZNS1_14partition_implILS8_4ELb0ES6_15HIP_vector_typeIjLj2EENS0_17counting_iteratorIjlEEPS9_SG_NS0_5tupleIJPjSI_NS0_16reverse_iteratorISI_EEEEENSH_IJSG_SG_SG_EEES9_SI_JZNS1_25segmented_radix_sort_implINS0_14default_configELb1EPKbPbPKlPlN2at6native12_GLOBAL__N_18offset_tEEE10hipError_tPvRmT1_PNSt15iterator_traitsIS12_E10value_typeET2_T3_PNS13_IS18_E10value_typeET4_jRbjT5_S1E_jjP12ihipStream_tbEUljE_ZNSN_ISO_Lb1ESQ_SR_ST_SU_SY_EESZ_S10_S11_S12_S16_S17_S18_S1B_S1C_jS1D_jS1E_S1E_jjS1G_bEUljE0_EEESZ_S10_S11_S18_S1C_S1E_T6_T7_T9_mT8_S1G_bDpT10_ENKUlT_T0_E_clISt17integral_constantIbLb1EES1U_EEDaS1P_S1Q_EUlS1P_E_NS1_11comp_targetILNS1_3genE9ELNS1_11target_archE1100ELNS1_3gpuE3ELNS1_3repE0EEENS1_30default_config_static_selectorELNS0_4arch9wavefront6targetE0EEEvS12_ ; -- Begin function _ZN7rocprim17ROCPRIM_400000_NS6detail17trampoline_kernelINS0_13select_configILj256ELj13ELNS0_17block_load_methodE3ELS4_3ELS4_3ELNS0_20block_scan_algorithmE0ELj4294967295EEENS1_25partition_config_selectorILNS1_17partition_subalgoE4EjNS0_10empty_typeEbEEZZNS1_14partition_implILS8_4ELb0ES6_15HIP_vector_typeIjLj2EENS0_17counting_iteratorIjlEEPS9_SG_NS0_5tupleIJPjSI_NS0_16reverse_iteratorISI_EEEEENSH_IJSG_SG_SG_EEES9_SI_JZNS1_25segmented_radix_sort_implINS0_14default_configELb1EPKbPbPKlPlN2at6native12_GLOBAL__N_18offset_tEEE10hipError_tPvRmT1_PNSt15iterator_traitsIS12_E10value_typeET2_T3_PNS13_IS18_E10value_typeET4_jRbjT5_S1E_jjP12ihipStream_tbEUljE_ZNSN_ISO_Lb1ESQ_SR_ST_SU_SY_EESZ_S10_S11_S12_S16_S17_S18_S1B_S1C_jS1D_jS1E_S1E_jjS1G_bEUljE0_EEESZ_S10_S11_S18_S1C_S1E_T6_T7_T9_mT8_S1G_bDpT10_ENKUlT_T0_E_clISt17integral_constantIbLb1EES1U_EEDaS1P_S1Q_EUlS1P_E_NS1_11comp_targetILNS1_3genE9ELNS1_11target_archE1100ELNS1_3gpuE3ELNS1_3repE0EEENS1_30default_config_static_selectorELNS0_4arch9wavefront6targetE0EEEvS12_
	.p2align	8
	.type	_ZN7rocprim17ROCPRIM_400000_NS6detail17trampoline_kernelINS0_13select_configILj256ELj13ELNS0_17block_load_methodE3ELS4_3ELS4_3ELNS0_20block_scan_algorithmE0ELj4294967295EEENS1_25partition_config_selectorILNS1_17partition_subalgoE4EjNS0_10empty_typeEbEEZZNS1_14partition_implILS8_4ELb0ES6_15HIP_vector_typeIjLj2EENS0_17counting_iteratorIjlEEPS9_SG_NS0_5tupleIJPjSI_NS0_16reverse_iteratorISI_EEEEENSH_IJSG_SG_SG_EEES9_SI_JZNS1_25segmented_radix_sort_implINS0_14default_configELb1EPKbPbPKlPlN2at6native12_GLOBAL__N_18offset_tEEE10hipError_tPvRmT1_PNSt15iterator_traitsIS12_E10value_typeET2_T3_PNS13_IS18_E10value_typeET4_jRbjT5_S1E_jjP12ihipStream_tbEUljE_ZNSN_ISO_Lb1ESQ_SR_ST_SU_SY_EESZ_S10_S11_S12_S16_S17_S18_S1B_S1C_jS1D_jS1E_S1E_jjS1G_bEUljE0_EEESZ_S10_S11_S18_S1C_S1E_T6_T7_T9_mT8_S1G_bDpT10_ENKUlT_T0_E_clISt17integral_constantIbLb1EES1U_EEDaS1P_S1Q_EUlS1P_E_NS1_11comp_targetILNS1_3genE9ELNS1_11target_archE1100ELNS1_3gpuE3ELNS1_3repE0EEENS1_30default_config_static_selectorELNS0_4arch9wavefront6targetE0EEEvS12_,@function
_ZN7rocprim17ROCPRIM_400000_NS6detail17trampoline_kernelINS0_13select_configILj256ELj13ELNS0_17block_load_methodE3ELS4_3ELS4_3ELNS0_20block_scan_algorithmE0ELj4294967295EEENS1_25partition_config_selectorILNS1_17partition_subalgoE4EjNS0_10empty_typeEbEEZZNS1_14partition_implILS8_4ELb0ES6_15HIP_vector_typeIjLj2EENS0_17counting_iteratorIjlEEPS9_SG_NS0_5tupleIJPjSI_NS0_16reverse_iteratorISI_EEEEENSH_IJSG_SG_SG_EEES9_SI_JZNS1_25segmented_radix_sort_implINS0_14default_configELb1EPKbPbPKlPlN2at6native12_GLOBAL__N_18offset_tEEE10hipError_tPvRmT1_PNSt15iterator_traitsIS12_E10value_typeET2_T3_PNS13_IS18_E10value_typeET4_jRbjT5_S1E_jjP12ihipStream_tbEUljE_ZNSN_ISO_Lb1ESQ_SR_ST_SU_SY_EESZ_S10_S11_S12_S16_S17_S18_S1B_S1C_jS1D_jS1E_S1E_jjS1G_bEUljE0_EEESZ_S10_S11_S18_S1C_S1E_T6_T7_T9_mT8_S1G_bDpT10_ENKUlT_T0_E_clISt17integral_constantIbLb1EES1U_EEDaS1P_S1Q_EUlS1P_E_NS1_11comp_targetILNS1_3genE9ELNS1_11target_archE1100ELNS1_3gpuE3ELNS1_3repE0EEENS1_30default_config_static_selectorELNS0_4arch9wavefront6targetE0EEEvS12_: ; @_ZN7rocprim17ROCPRIM_400000_NS6detail17trampoline_kernelINS0_13select_configILj256ELj13ELNS0_17block_load_methodE3ELS4_3ELS4_3ELNS0_20block_scan_algorithmE0ELj4294967295EEENS1_25partition_config_selectorILNS1_17partition_subalgoE4EjNS0_10empty_typeEbEEZZNS1_14partition_implILS8_4ELb0ES6_15HIP_vector_typeIjLj2EENS0_17counting_iteratorIjlEEPS9_SG_NS0_5tupleIJPjSI_NS0_16reverse_iteratorISI_EEEEENSH_IJSG_SG_SG_EEES9_SI_JZNS1_25segmented_radix_sort_implINS0_14default_configELb1EPKbPbPKlPlN2at6native12_GLOBAL__N_18offset_tEEE10hipError_tPvRmT1_PNSt15iterator_traitsIS12_E10value_typeET2_T3_PNS13_IS18_E10value_typeET4_jRbjT5_S1E_jjP12ihipStream_tbEUljE_ZNSN_ISO_Lb1ESQ_SR_ST_SU_SY_EESZ_S10_S11_S12_S16_S17_S18_S1B_S1C_jS1D_jS1E_S1E_jjS1G_bEUljE0_EEESZ_S10_S11_S18_S1C_S1E_T6_T7_T9_mT8_S1G_bDpT10_ENKUlT_T0_E_clISt17integral_constantIbLb1EES1U_EEDaS1P_S1Q_EUlS1P_E_NS1_11comp_targetILNS1_3genE9ELNS1_11target_archE1100ELNS1_3gpuE3ELNS1_3repE0EEENS1_30default_config_static_selectorELNS0_4arch9wavefront6targetE0EEEvS12_
; %bb.0:
	.section	.rodata,"a",@progbits
	.p2align	6, 0x0
	.amdhsa_kernel _ZN7rocprim17ROCPRIM_400000_NS6detail17trampoline_kernelINS0_13select_configILj256ELj13ELNS0_17block_load_methodE3ELS4_3ELS4_3ELNS0_20block_scan_algorithmE0ELj4294967295EEENS1_25partition_config_selectorILNS1_17partition_subalgoE4EjNS0_10empty_typeEbEEZZNS1_14partition_implILS8_4ELb0ES6_15HIP_vector_typeIjLj2EENS0_17counting_iteratorIjlEEPS9_SG_NS0_5tupleIJPjSI_NS0_16reverse_iteratorISI_EEEEENSH_IJSG_SG_SG_EEES9_SI_JZNS1_25segmented_radix_sort_implINS0_14default_configELb1EPKbPbPKlPlN2at6native12_GLOBAL__N_18offset_tEEE10hipError_tPvRmT1_PNSt15iterator_traitsIS12_E10value_typeET2_T3_PNS13_IS18_E10value_typeET4_jRbjT5_S1E_jjP12ihipStream_tbEUljE_ZNSN_ISO_Lb1ESQ_SR_ST_SU_SY_EESZ_S10_S11_S12_S16_S17_S18_S1B_S1C_jS1D_jS1E_S1E_jjS1G_bEUljE0_EEESZ_S10_S11_S18_S1C_S1E_T6_T7_T9_mT8_S1G_bDpT10_ENKUlT_T0_E_clISt17integral_constantIbLb1EES1U_EEDaS1P_S1Q_EUlS1P_E_NS1_11comp_targetILNS1_3genE9ELNS1_11target_archE1100ELNS1_3gpuE3ELNS1_3repE0EEENS1_30default_config_static_selectorELNS0_4arch9wavefront6targetE0EEEvS12_
		.amdhsa_group_segment_fixed_size 0
		.amdhsa_private_segment_fixed_size 0
		.amdhsa_kernarg_size 184
		.amdhsa_user_sgpr_count 2
		.amdhsa_user_sgpr_dispatch_ptr 0
		.amdhsa_user_sgpr_queue_ptr 0
		.amdhsa_user_sgpr_kernarg_segment_ptr 1
		.amdhsa_user_sgpr_dispatch_id 0
		.amdhsa_user_sgpr_kernarg_preload_length 0
		.amdhsa_user_sgpr_kernarg_preload_offset 0
		.amdhsa_user_sgpr_private_segment_size 0
		.amdhsa_wavefront_size32 1
		.amdhsa_uses_dynamic_stack 0
		.amdhsa_enable_private_segment 0
		.amdhsa_system_sgpr_workgroup_id_x 1
		.amdhsa_system_sgpr_workgroup_id_y 0
		.amdhsa_system_sgpr_workgroup_id_z 0
		.amdhsa_system_sgpr_workgroup_info 0
		.amdhsa_system_vgpr_workitem_id 0
		.amdhsa_next_free_vgpr 1
		.amdhsa_next_free_sgpr 1
		.amdhsa_named_barrier_count 0
		.amdhsa_reserve_vcc 0
		.amdhsa_float_round_mode_32 0
		.amdhsa_float_round_mode_16_64 0
		.amdhsa_float_denorm_mode_32 3
		.amdhsa_float_denorm_mode_16_64 3
		.amdhsa_fp16_overflow 0
		.amdhsa_memory_ordered 1
		.amdhsa_forward_progress 1
		.amdhsa_inst_pref_size 0
		.amdhsa_round_robin_scheduling 0
		.amdhsa_exception_fp_ieee_invalid_op 0
		.amdhsa_exception_fp_denorm_src 0
		.amdhsa_exception_fp_ieee_div_zero 0
		.amdhsa_exception_fp_ieee_overflow 0
		.amdhsa_exception_fp_ieee_underflow 0
		.amdhsa_exception_fp_ieee_inexact 0
		.amdhsa_exception_int_div_zero 0
	.end_amdhsa_kernel
	.section	.text._ZN7rocprim17ROCPRIM_400000_NS6detail17trampoline_kernelINS0_13select_configILj256ELj13ELNS0_17block_load_methodE3ELS4_3ELS4_3ELNS0_20block_scan_algorithmE0ELj4294967295EEENS1_25partition_config_selectorILNS1_17partition_subalgoE4EjNS0_10empty_typeEbEEZZNS1_14partition_implILS8_4ELb0ES6_15HIP_vector_typeIjLj2EENS0_17counting_iteratorIjlEEPS9_SG_NS0_5tupleIJPjSI_NS0_16reverse_iteratorISI_EEEEENSH_IJSG_SG_SG_EEES9_SI_JZNS1_25segmented_radix_sort_implINS0_14default_configELb1EPKbPbPKlPlN2at6native12_GLOBAL__N_18offset_tEEE10hipError_tPvRmT1_PNSt15iterator_traitsIS12_E10value_typeET2_T3_PNS13_IS18_E10value_typeET4_jRbjT5_S1E_jjP12ihipStream_tbEUljE_ZNSN_ISO_Lb1ESQ_SR_ST_SU_SY_EESZ_S10_S11_S12_S16_S17_S18_S1B_S1C_jS1D_jS1E_S1E_jjS1G_bEUljE0_EEESZ_S10_S11_S18_S1C_S1E_T6_T7_T9_mT8_S1G_bDpT10_ENKUlT_T0_E_clISt17integral_constantIbLb1EES1U_EEDaS1P_S1Q_EUlS1P_E_NS1_11comp_targetILNS1_3genE9ELNS1_11target_archE1100ELNS1_3gpuE3ELNS1_3repE0EEENS1_30default_config_static_selectorELNS0_4arch9wavefront6targetE0EEEvS12_,"axG",@progbits,_ZN7rocprim17ROCPRIM_400000_NS6detail17trampoline_kernelINS0_13select_configILj256ELj13ELNS0_17block_load_methodE3ELS4_3ELS4_3ELNS0_20block_scan_algorithmE0ELj4294967295EEENS1_25partition_config_selectorILNS1_17partition_subalgoE4EjNS0_10empty_typeEbEEZZNS1_14partition_implILS8_4ELb0ES6_15HIP_vector_typeIjLj2EENS0_17counting_iteratorIjlEEPS9_SG_NS0_5tupleIJPjSI_NS0_16reverse_iteratorISI_EEEEENSH_IJSG_SG_SG_EEES9_SI_JZNS1_25segmented_radix_sort_implINS0_14default_configELb1EPKbPbPKlPlN2at6native12_GLOBAL__N_18offset_tEEE10hipError_tPvRmT1_PNSt15iterator_traitsIS12_E10value_typeET2_T3_PNS13_IS18_E10value_typeET4_jRbjT5_S1E_jjP12ihipStream_tbEUljE_ZNSN_ISO_Lb1ESQ_SR_ST_SU_SY_EESZ_S10_S11_S12_S16_S17_S18_S1B_S1C_jS1D_jS1E_S1E_jjS1G_bEUljE0_EEESZ_S10_S11_S18_S1C_S1E_T6_T7_T9_mT8_S1G_bDpT10_ENKUlT_T0_E_clISt17integral_constantIbLb1EES1U_EEDaS1P_S1Q_EUlS1P_E_NS1_11comp_targetILNS1_3genE9ELNS1_11target_archE1100ELNS1_3gpuE3ELNS1_3repE0EEENS1_30default_config_static_selectorELNS0_4arch9wavefront6targetE0EEEvS12_,comdat
.Lfunc_end1474:
	.size	_ZN7rocprim17ROCPRIM_400000_NS6detail17trampoline_kernelINS0_13select_configILj256ELj13ELNS0_17block_load_methodE3ELS4_3ELS4_3ELNS0_20block_scan_algorithmE0ELj4294967295EEENS1_25partition_config_selectorILNS1_17partition_subalgoE4EjNS0_10empty_typeEbEEZZNS1_14partition_implILS8_4ELb0ES6_15HIP_vector_typeIjLj2EENS0_17counting_iteratorIjlEEPS9_SG_NS0_5tupleIJPjSI_NS0_16reverse_iteratorISI_EEEEENSH_IJSG_SG_SG_EEES9_SI_JZNS1_25segmented_radix_sort_implINS0_14default_configELb1EPKbPbPKlPlN2at6native12_GLOBAL__N_18offset_tEEE10hipError_tPvRmT1_PNSt15iterator_traitsIS12_E10value_typeET2_T3_PNS13_IS18_E10value_typeET4_jRbjT5_S1E_jjP12ihipStream_tbEUljE_ZNSN_ISO_Lb1ESQ_SR_ST_SU_SY_EESZ_S10_S11_S12_S16_S17_S18_S1B_S1C_jS1D_jS1E_S1E_jjS1G_bEUljE0_EEESZ_S10_S11_S18_S1C_S1E_T6_T7_T9_mT8_S1G_bDpT10_ENKUlT_T0_E_clISt17integral_constantIbLb1EES1U_EEDaS1P_S1Q_EUlS1P_E_NS1_11comp_targetILNS1_3genE9ELNS1_11target_archE1100ELNS1_3gpuE3ELNS1_3repE0EEENS1_30default_config_static_selectorELNS0_4arch9wavefront6targetE0EEEvS12_, .Lfunc_end1474-_ZN7rocprim17ROCPRIM_400000_NS6detail17trampoline_kernelINS0_13select_configILj256ELj13ELNS0_17block_load_methodE3ELS4_3ELS4_3ELNS0_20block_scan_algorithmE0ELj4294967295EEENS1_25partition_config_selectorILNS1_17partition_subalgoE4EjNS0_10empty_typeEbEEZZNS1_14partition_implILS8_4ELb0ES6_15HIP_vector_typeIjLj2EENS0_17counting_iteratorIjlEEPS9_SG_NS0_5tupleIJPjSI_NS0_16reverse_iteratorISI_EEEEENSH_IJSG_SG_SG_EEES9_SI_JZNS1_25segmented_radix_sort_implINS0_14default_configELb1EPKbPbPKlPlN2at6native12_GLOBAL__N_18offset_tEEE10hipError_tPvRmT1_PNSt15iterator_traitsIS12_E10value_typeET2_T3_PNS13_IS18_E10value_typeET4_jRbjT5_S1E_jjP12ihipStream_tbEUljE_ZNSN_ISO_Lb1ESQ_SR_ST_SU_SY_EESZ_S10_S11_S12_S16_S17_S18_S1B_S1C_jS1D_jS1E_S1E_jjS1G_bEUljE0_EEESZ_S10_S11_S18_S1C_S1E_T6_T7_T9_mT8_S1G_bDpT10_ENKUlT_T0_E_clISt17integral_constantIbLb1EES1U_EEDaS1P_S1Q_EUlS1P_E_NS1_11comp_targetILNS1_3genE9ELNS1_11target_archE1100ELNS1_3gpuE3ELNS1_3repE0EEENS1_30default_config_static_selectorELNS0_4arch9wavefront6targetE0EEEvS12_
                                        ; -- End function
	.set _ZN7rocprim17ROCPRIM_400000_NS6detail17trampoline_kernelINS0_13select_configILj256ELj13ELNS0_17block_load_methodE3ELS4_3ELS4_3ELNS0_20block_scan_algorithmE0ELj4294967295EEENS1_25partition_config_selectorILNS1_17partition_subalgoE4EjNS0_10empty_typeEbEEZZNS1_14partition_implILS8_4ELb0ES6_15HIP_vector_typeIjLj2EENS0_17counting_iteratorIjlEEPS9_SG_NS0_5tupleIJPjSI_NS0_16reverse_iteratorISI_EEEEENSH_IJSG_SG_SG_EEES9_SI_JZNS1_25segmented_radix_sort_implINS0_14default_configELb1EPKbPbPKlPlN2at6native12_GLOBAL__N_18offset_tEEE10hipError_tPvRmT1_PNSt15iterator_traitsIS12_E10value_typeET2_T3_PNS13_IS18_E10value_typeET4_jRbjT5_S1E_jjP12ihipStream_tbEUljE_ZNSN_ISO_Lb1ESQ_SR_ST_SU_SY_EESZ_S10_S11_S12_S16_S17_S18_S1B_S1C_jS1D_jS1E_S1E_jjS1G_bEUljE0_EEESZ_S10_S11_S18_S1C_S1E_T6_T7_T9_mT8_S1G_bDpT10_ENKUlT_T0_E_clISt17integral_constantIbLb1EES1U_EEDaS1P_S1Q_EUlS1P_E_NS1_11comp_targetILNS1_3genE9ELNS1_11target_archE1100ELNS1_3gpuE3ELNS1_3repE0EEENS1_30default_config_static_selectorELNS0_4arch9wavefront6targetE0EEEvS12_.num_vgpr, 0
	.set _ZN7rocprim17ROCPRIM_400000_NS6detail17trampoline_kernelINS0_13select_configILj256ELj13ELNS0_17block_load_methodE3ELS4_3ELS4_3ELNS0_20block_scan_algorithmE0ELj4294967295EEENS1_25partition_config_selectorILNS1_17partition_subalgoE4EjNS0_10empty_typeEbEEZZNS1_14partition_implILS8_4ELb0ES6_15HIP_vector_typeIjLj2EENS0_17counting_iteratorIjlEEPS9_SG_NS0_5tupleIJPjSI_NS0_16reverse_iteratorISI_EEEEENSH_IJSG_SG_SG_EEES9_SI_JZNS1_25segmented_radix_sort_implINS0_14default_configELb1EPKbPbPKlPlN2at6native12_GLOBAL__N_18offset_tEEE10hipError_tPvRmT1_PNSt15iterator_traitsIS12_E10value_typeET2_T3_PNS13_IS18_E10value_typeET4_jRbjT5_S1E_jjP12ihipStream_tbEUljE_ZNSN_ISO_Lb1ESQ_SR_ST_SU_SY_EESZ_S10_S11_S12_S16_S17_S18_S1B_S1C_jS1D_jS1E_S1E_jjS1G_bEUljE0_EEESZ_S10_S11_S18_S1C_S1E_T6_T7_T9_mT8_S1G_bDpT10_ENKUlT_T0_E_clISt17integral_constantIbLb1EES1U_EEDaS1P_S1Q_EUlS1P_E_NS1_11comp_targetILNS1_3genE9ELNS1_11target_archE1100ELNS1_3gpuE3ELNS1_3repE0EEENS1_30default_config_static_selectorELNS0_4arch9wavefront6targetE0EEEvS12_.num_agpr, 0
	.set _ZN7rocprim17ROCPRIM_400000_NS6detail17trampoline_kernelINS0_13select_configILj256ELj13ELNS0_17block_load_methodE3ELS4_3ELS4_3ELNS0_20block_scan_algorithmE0ELj4294967295EEENS1_25partition_config_selectorILNS1_17partition_subalgoE4EjNS0_10empty_typeEbEEZZNS1_14partition_implILS8_4ELb0ES6_15HIP_vector_typeIjLj2EENS0_17counting_iteratorIjlEEPS9_SG_NS0_5tupleIJPjSI_NS0_16reverse_iteratorISI_EEEEENSH_IJSG_SG_SG_EEES9_SI_JZNS1_25segmented_radix_sort_implINS0_14default_configELb1EPKbPbPKlPlN2at6native12_GLOBAL__N_18offset_tEEE10hipError_tPvRmT1_PNSt15iterator_traitsIS12_E10value_typeET2_T3_PNS13_IS18_E10value_typeET4_jRbjT5_S1E_jjP12ihipStream_tbEUljE_ZNSN_ISO_Lb1ESQ_SR_ST_SU_SY_EESZ_S10_S11_S12_S16_S17_S18_S1B_S1C_jS1D_jS1E_S1E_jjS1G_bEUljE0_EEESZ_S10_S11_S18_S1C_S1E_T6_T7_T9_mT8_S1G_bDpT10_ENKUlT_T0_E_clISt17integral_constantIbLb1EES1U_EEDaS1P_S1Q_EUlS1P_E_NS1_11comp_targetILNS1_3genE9ELNS1_11target_archE1100ELNS1_3gpuE3ELNS1_3repE0EEENS1_30default_config_static_selectorELNS0_4arch9wavefront6targetE0EEEvS12_.numbered_sgpr, 0
	.set _ZN7rocprim17ROCPRIM_400000_NS6detail17trampoline_kernelINS0_13select_configILj256ELj13ELNS0_17block_load_methodE3ELS4_3ELS4_3ELNS0_20block_scan_algorithmE0ELj4294967295EEENS1_25partition_config_selectorILNS1_17partition_subalgoE4EjNS0_10empty_typeEbEEZZNS1_14partition_implILS8_4ELb0ES6_15HIP_vector_typeIjLj2EENS0_17counting_iteratorIjlEEPS9_SG_NS0_5tupleIJPjSI_NS0_16reverse_iteratorISI_EEEEENSH_IJSG_SG_SG_EEES9_SI_JZNS1_25segmented_radix_sort_implINS0_14default_configELb1EPKbPbPKlPlN2at6native12_GLOBAL__N_18offset_tEEE10hipError_tPvRmT1_PNSt15iterator_traitsIS12_E10value_typeET2_T3_PNS13_IS18_E10value_typeET4_jRbjT5_S1E_jjP12ihipStream_tbEUljE_ZNSN_ISO_Lb1ESQ_SR_ST_SU_SY_EESZ_S10_S11_S12_S16_S17_S18_S1B_S1C_jS1D_jS1E_S1E_jjS1G_bEUljE0_EEESZ_S10_S11_S18_S1C_S1E_T6_T7_T9_mT8_S1G_bDpT10_ENKUlT_T0_E_clISt17integral_constantIbLb1EES1U_EEDaS1P_S1Q_EUlS1P_E_NS1_11comp_targetILNS1_3genE9ELNS1_11target_archE1100ELNS1_3gpuE3ELNS1_3repE0EEENS1_30default_config_static_selectorELNS0_4arch9wavefront6targetE0EEEvS12_.num_named_barrier, 0
	.set _ZN7rocprim17ROCPRIM_400000_NS6detail17trampoline_kernelINS0_13select_configILj256ELj13ELNS0_17block_load_methodE3ELS4_3ELS4_3ELNS0_20block_scan_algorithmE0ELj4294967295EEENS1_25partition_config_selectorILNS1_17partition_subalgoE4EjNS0_10empty_typeEbEEZZNS1_14partition_implILS8_4ELb0ES6_15HIP_vector_typeIjLj2EENS0_17counting_iteratorIjlEEPS9_SG_NS0_5tupleIJPjSI_NS0_16reverse_iteratorISI_EEEEENSH_IJSG_SG_SG_EEES9_SI_JZNS1_25segmented_radix_sort_implINS0_14default_configELb1EPKbPbPKlPlN2at6native12_GLOBAL__N_18offset_tEEE10hipError_tPvRmT1_PNSt15iterator_traitsIS12_E10value_typeET2_T3_PNS13_IS18_E10value_typeET4_jRbjT5_S1E_jjP12ihipStream_tbEUljE_ZNSN_ISO_Lb1ESQ_SR_ST_SU_SY_EESZ_S10_S11_S12_S16_S17_S18_S1B_S1C_jS1D_jS1E_S1E_jjS1G_bEUljE0_EEESZ_S10_S11_S18_S1C_S1E_T6_T7_T9_mT8_S1G_bDpT10_ENKUlT_T0_E_clISt17integral_constantIbLb1EES1U_EEDaS1P_S1Q_EUlS1P_E_NS1_11comp_targetILNS1_3genE9ELNS1_11target_archE1100ELNS1_3gpuE3ELNS1_3repE0EEENS1_30default_config_static_selectorELNS0_4arch9wavefront6targetE0EEEvS12_.private_seg_size, 0
	.set _ZN7rocprim17ROCPRIM_400000_NS6detail17trampoline_kernelINS0_13select_configILj256ELj13ELNS0_17block_load_methodE3ELS4_3ELS4_3ELNS0_20block_scan_algorithmE0ELj4294967295EEENS1_25partition_config_selectorILNS1_17partition_subalgoE4EjNS0_10empty_typeEbEEZZNS1_14partition_implILS8_4ELb0ES6_15HIP_vector_typeIjLj2EENS0_17counting_iteratorIjlEEPS9_SG_NS0_5tupleIJPjSI_NS0_16reverse_iteratorISI_EEEEENSH_IJSG_SG_SG_EEES9_SI_JZNS1_25segmented_radix_sort_implINS0_14default_configELb1EPKbPbPKlPlN2at6native12_GLOBAL__N_18offset_tEEE10hipError_tPvRmT1_PNSt15iterator_traitsIS12_E10value_typeET2_T3_PNS13_IS18_E10value_typeET4_jRbjT5_S1E_jjP12ihipStream_tbEUljE_ZNSN_ISO_Lb1ESQ_SR_ST_SU_SY_EESZ_S10_S11_S12_S16_S17_S18_S1B_S1C_jS1D_jS1E_S1E_jjS1G_bEUljE0_EEESZ_S10_S11_S18_S1C_S1E_T6_T7_T9_mT8_S1G_bDpT10_ENKUlT_T0_E_clISt17integral_constantIbLb1EES1U_EEDaS1P_S1Q_EUlS1P_E_NS1_11comp_targetILNS1_3genE9ELNS1_11target_archE1100ELNS1_3gpuE3ELNS1_3repE0EEENS1_30default_config_static_selectorELNS0_4arch9wavefront6targetE0EEEvS12_.uses_vcc, 0
	.set _ZN7rocprim17ROCPRIM_400000_NS6detail17trampoline_kernelINS0_13select_configILj256ELj13ELNS0_17block_load_methodE3ELS4_3ELS4_3ELNS0_20block_scan_algorithmE0ELj4294967295EEENS1_25partition_config_selectorILNS1_17partition_subalgoE4EjNS0_10empty_typeEbEEZZNS1_14partition_implILS8_4ELb0ES6_15HIP_vector_typeIjLj2EENS0_17counting_iteratorIjlEEPS9_SG_NS0_5tupleIJPjSI_NS0_16reverse_iteratorISI_EEEEENSH_IJSG_SG_SG_EEES9_SI_JZNS1_25segmented_radix_sort_implINS0_14default_configELb1EPKbPbPKlPlN2at6native12_GLOBAL__N_18offset_tEEE10hipError_tPvRmT1_PNSt15iterator_traitsIS12_E10value_typeET2_T3_PNS13_IS18_E10value_typeET4_jRbjT5_S1E_jjP12ihipStream_tbEUljE_ZNSN_ISO_Lb1ESQ_SR_ST_SU_SY_EESZ_S10_S11_S12_S16_S17_S18_S1B_S1C_jS1D_jS1E_S1E_jjS1G_bEUljE0_EEESZ_S10_S11_S18_S1C_S1E_T6_T7_T9_mT8_S1G_bDpT10_ENKUlT_T0_E_clISt17integral_constantIbLb1EES1U_EEDaS1P_S1Q_EUlS1P_E_NS1_11comp_targetILNS1_3genE9ELNS1_11target_archE1100ELNS1_3gpuE3ELNS1_3repE0EEENS1_30default_config_static_selectorELNS0_4arch9wavefront6targetE0EEEvS12_.uses_flat_scratch, 0
	.set _ZN7rocprim17ROCPRIM_400000_NS6detail17trampoline_kernelINS0_13select_configILj256ELj13ELNS0_17block_load_methodE3ELS4_3ELS4_3ELNS0_20block_scan_algorithmE0ELj4294967295EEENS1_25partition_config_selectorILNS1_17partition_subalgoE4EjNS0_10empty_typeEbEEZZNS1_14partition_implILS8_4ELb0ES6_15HIP_vector_typeIjLj2EENS0_17counting_iteratorIjlEEPS9_SG_NS0_5tupleIJPjSI_NS0_16reverse_iteratorISI_EEEEENSH_IJSG_SG_SG_EEES9_SI_JZNS1_25segmented_radix_sort_implINS0_14default_configELb1EPKbPbPKlPlN2at6native12_GLOBAL__N_18offset_tEEE10hipError_tPvRmT1_PNSt15iterator_traitsIS12_E10value_typeET2_T3_PNS13_IS18_E10value_typeET4_jRbjT5_S1E_jjP12ihipStream_tbEUljE_ZNSN_ISO_Lb1ESQ_SR_ST_SU_SY_EESZ_S10_S11_S12_S16_S17_S18_S1B_S1C_jS1D_jS1E_S1E_jjS1G_bEUljE0_EEESZ_S10_S11_S18_S1C_S1E_T6_T7_T9_mT8_S1G_bDpT10_ENKUlT_T0_E_clISt17integral_constantIbLb1EES1U_EEDaS1P_S1Q_EUlS1P_E_NS1_11comp_targetILNS1_3genE9ELNS1_11target_archE1100ELNS1_3gpuE3ELNS1_3repE0EEENS1_30default_config_static_selectorELNS0_4arch9wavefront6targetE0EEEvS12_.has_dyn_sized_stack, 0
	.set _ZN7rocprim17ROCPRIM_400000_NS6detail17trampoline_kernelINS0_13select_configILj256ELj13ELNS0_17block_load_methodE3ELS4_3ELS4_3ELNS0_20block_scan_algorithmE0ELj4294967295EEENS1_25partition_config_selectorILNS1_17partition_subalgoE4EjNS0_10empty_typeEbEEZZNS1_14partition_implILS8_4ELb0ES6_15HIP_vector_typeIjLj2EENS0_17counting_iteratorIjlEEPS9_SG_NS0_5tupleIJPjSI_NS0_16reverse_iteratorISI_EEEEENSH_IJSG_SG_SG_EEES9_SI_JZNS1_25segmented_radix_sort_implINS0_14default_configELb1EPKbPbPKlPlN2at6native12_GLOBAL__N_18offset_tEEE10hipError_tPvRmT1_PNSt15iterator_traitsIS12_E10value_typeET2_T3_PNS13_IS18_E10value_typeET4_jRbjT5_S1E_jjP12ihipStream_tbEUljE_ZNSN_ISO_Lb1ESQ_SR_ST_SU_SY_EESZ_S10_S11_S12_S16_S17_S18_S1B_S1C_jS1D_jS1E_S1E_jjS1G_bEUljE0_EEESZ_S10_S11_S18_S1C_S1E_T6_T7_T9_mT8_S1G_bDpT10_ENKUlT_T0_E_clISt17integral_constantIbLb1EES1U_EEDaS1P_S1Q_EUlS1P_E_NS1_11comp_targetILNS1_3genE9ELNS1_11target_archE1100ELNS1_3gpuE3ELNS1_3repE0EEENS1_30default_config_static_selectorELNS0_4arch9wavefront6targetE0EEEvS12_.has_recursion, 0
	.set _ZN7rocprim17ROCPRIM_400000_NS6detail17trampoline_kernelINS0_13select_configILj256ELj13ELNS0_17block_load_methodE3ELS4_3ELS4_3ELNS0_20block_scan_algorithmE0ELj4294967295EEENS1_25partition_config_selectorILNS1_17partition_subalgoE4EjNS0_10empty_typeEbEEZZNS1_14partition_implILS8_4ELb0ES6_15HIP_vector_typeIjLj2EENS0_17counting_iteratorIjlEEPS9_SG_NS0_5tupleIJPjSI_NS0_16reverse_iteratorISI_EEEEENSH_IJSG_SG_SG_EEES9_SI_JZNS1_25segmented_radix_sort_implINS0_14default_configELb1EPKbPbPKlPlN2at6native12_GLOBAL__N_18offset_tEEE10hipError_tPvRmT1_PNSt15iterator_traitsIS12_E10value_typeET2_T3_PNS13_IS18_E10value_typeET4_jRbjT5_S1E_jjP12ihipStream_tbEUljE_ZNSN_ISO_Lb1ESQ_SR_ST_SU_SY_EESZ_S10_S11_S12_S16_S17_S18_S1B_S1C_jS1D_jS1E_S1E_jjS1G_bEUljE0_EEESZ_S10_S11_S18_S1C_S1E_T6_T7_T9_mT8_S1G_bDpT10_ENKUlT_T0_E_clISt17integral_constantIbLb1EES1U_EEDaS1P_S1Q_EUlS1P_E_NS1_11comp_targetILNS1_3genE9ELNS1_11target_archE1100ELNS1_3gpuE3ELNS1_3repE0EEENS1_30default_config_static_selectorELNS0_4arch9wavefront6targetE0EEEvS12_.has_indirect_call, 0
	.section	.AMDGPU.csdata,"",@progbits
; Kernel info:
; codeLenInByte = 0
; TotalNumSgprs: 0
; NumVgprs: 0
; ScratchSize: 0
; MemoryBound: 0
; FloatMode: 240
; IeeeMode: 1
; LDSByteSize: 0 bytes/workgroup (compile time only)
; SGPRBlocks: 0
; VGPRBlocks: 0
; NumSGPRsForWavesPerEU: 1
; NumVGPRsForWavesPerEU: 1
; NamedBarCnt: 0
; Occupancy: 16
; WaveLimiterHint : 0
; COMPUTE_PGM_RSRC2:SCRATCH_EN: 0
; COMPUTE_PGM_RSRC2:USER_SGPR: 2
; COMPUTE_PGM_RSRC2:TRAP_HANDLER: 0
; COMPUTE_PGM_RSRC2:TGID_X_EN: 1
; COMPUTE_PGM_RSRC2:TGID_Y_EN: 0
; COMPUTE_PGM_RSRC2:TGID_Z_EN: 0
; COMPUTE_PGM_RSRC2:TIDIG_COMP_CNT: 0
	.section	.text._ZN7rocprim17ROCPRIM_400000_NS6detail17trampoline_kernelINS0_13select_configILj256ELj13ELNS0_17block_load_methodE3ELS4_3ELS4_3ELNS0_20block_scan_algorithmE0ELj4294967295EEENS1_25partition_config_selectorILNS1_17partition_subalgoE4EjNS0_10empty_typeEbEEZZNS1_14partition_implILS8_4ELb0ES6_15HIP_vector_typeIjLj2EENS0_17counting_iteratorIjlEEPS9_SG_NS0_5tupleIJPjSI_NS0_16reverse_iteratorISI_EEEEENSH_IJSG_SG_SG_EEES9_SI_JZNS1_25segmented_radix_sort_implINS0_14default_configELb1EPKbPbPKlPlN2at6native12_GLOBAL__N_18offset_tEEE10hipError_tPvRmT1_PNSt15iterator_traitsIS12_E10value_typeET2_T3_PNS13_IS18_E10value_typeET4_jRbjT5_S1E_jjP12ihipStream_tbEUljE_ZNSN_ISO_Lb1ESQ_SR_ST_SU_SY_EESZ_S10_S11_S12_S16_S17_S18_S1B_S1C_jS1D_jS1E_S1E_jjS1G_bEUljE0_EEESZ_S10_S11_S18_S1C_S1E_T6_T7_T9_mT8_S1G_bDpT10_ENKUlT_T0_E_clISt17integral_constantIbLb1EES1U_EEDaS1P_S1Q_EUlS1P_E_NS1_11comp_targetILNS1_3genE8ELNS1_11target_archE1030ELNS1_3gpuE2ELNS1_3repE0EEENS1_30default_config_static_selectorELNS0_4arch9wavefront6targetE0EEEvS12_,"axG",@progbits,_ZN7rocprim17ROCPRIM_400000_NS6detail17trampoline_kernelINS0_13select_configILj256ELj13ELNS0_17block_load_methodE3ELS4_3ELS4_3ELNS0_20block_scan_algorithmE0ELj4294967295EEENS1_25partition_config_selectorILNS1_17partition_subalgoE4EjNS0_10empty_typeEbEEZZNS1_14partition_implILS8_4ELb0ES6_15HIP_vector_typeIjLj2EENS0_17counting_iteratorIjlEEPS9_SG_NS0_5tupleIJPjSI_NS0_16reverse_iteratorISI_EEEEENSH_IJSG_SG_SG_EEES9_SI_JZNS1_25segmented_radix_sort_implINS0_14default_configELb1EPKbPbPKlPlN2at6native12_GLOBAL__N_18offset_tEEE10hipError_tPvRmT1_PNSt15iterator_traitsIS12_E10value_typeET2_T3_PNS13_IS18_E10value_typeET4_jRbjT5_S1E_jjP12ihipStream_tbEUljE_ZNSN_ISO_Lb1ESQ_SR_ST_SU_SY_EESZ_S10_S11_S12_S16_S17_S18_S1B_S1C_jS1D_jS1E_S1E_jjS1G_bEUljE0_EEESZ_S10_S11_S18_S1C_S1E_T6_T7_T9_mT8_S1G_bDpT10_ENKUlT_T0_E_clISt17integral_constantIbLb1EES1U_EEDaS1P_S1Q_EUlS1P_E_NS1_11comp_targetILNS1_3genE8ELNS1_11target_archE1030ELNS1_3gpuE2ELNS1_3repE0EEENS1_30default_config_static_selectorELNS0_4arch9wavefront6targetE0EEEvS12_,comdat
	.globl	_ZN7rocprim17ROCPRIM_400000_NS6detail17trampoline_kernelINS0_13select_configILj256ELj13ELNS0_17block_load_methodE3ELS4_3ELS4_3ELNS0_20block_scan_algorithmE0ELj4294967295EEENS1_25partition_config_selectorILNS1_17partition_subalgoE4EjNS0_10empty_typeEbEEZZNS1_14partition_implILS8_4ELb0ES6_15HIP_vector_typeIjLj2EENS0_17counting_iteratorIjlEEPS9_SG_NS0_5tupleIJPjSI_NS0_16reverse_iteratorISI_EEEEENSH_IJSG_SG_SG_EEES9_SI_JZNS1_25segmented_radix_sort_implINS0_14default_configELb1EPKbPbPKlPlN2at6native12_GLOBAL__N_18offset_tEEE10hipError_tPvRmT1_PNSt15iterator_traitsIS12_E10value_typeET2_T3_PNS13_IS18_E10value_typeET4_jRbjT5_S1E_jjP12ihipStream_tbEUljE_ZNSN_ISO_Lb1ESQ_SR_ST_SU_SY_EESZ_S10_S11_S12_S16_S17_S18_S1B_S1C_jS1D_jS1E_S1E_jjS1G_bEUljE0_EEESZ_S10_S11_S18_S1C_S1E_T6_T7_T9_mT8_S1G_bDpT10_ENKUlT_T0_E_clISt17integral_constantIbLb1EES1U_EEDaS1P_S1Q_EUlS1P_E_NS1_11comp_targetILNS1_3genE8ELNS1_11target_archE1030ELNS1_3gpuE2ELNS1_3repE0EEENS1_30default_config_static_selectorELNS0_4arch9wavefront6targetE0EEEvS12_ ; -- Begin function _ZN7rocprim17ROCPRIM_400000_NS6detail17trampoline_kernelINS0_13select_configILj256ELj13ELNS0_17block_load_methodE3ELS4_3ELS4_3ELNS0_20block_scan_algorithmE0ELj4294967295EEENS1_25partition_config_selectorILNS1_17partition_subalgoE4EjNS0_10empty_typeEbEEZZNS1_14partition_implILS8_4ELb0ES6_15HIP_vector_typeIjLj2EENS0_17counting_iteratorIjlEEPS9_SG_NS0_5tupleIJPjSI_NS0_16reverse_iteratorISI_EEEEENSH_IJSG_SG_SG_EEES9_SI_JZNS1_25segmented_radix_sort_implINS0_14default_configELb1EPKbPbPKlPlN2at6native12_GLOBAL__N_18offset_tEEE10hipError_tPvRmT1_PNSt15iterator_traitsIS12_E10value_typeET2_T3_PNS13_IS18_E10value_typeET4_jRbjT5_S1E_jjP12ihipStream_tbEUljE_ZNSN_ISO_Lb1ESQ_SR_ST_SU_SY_EESZ_S10_S11_S12_S16_S17_S18_S1B_S1C_jS1D_jS1E_S1E_jjS1G_bEUljE0_EEESZ_S10_S11_S18_S1C_S1E_T6_T7_T9_mT8_S1G_bDpT10_ENKUlT_T0_E_clISt17integral_constantIbLb1EES1U_EEDaS1P_S1Q_EUlS1P_E_NS1_11comp_targetILNS1_3genE8ELNS1_11target_archE1030ELNS1_3gpuE2ELNS1_3repE0EEENS1_30default_config_static_selectorELNS0_4arch9wavefront6targetE0EEEvS12_
	.p2align	8
	.type	_ZN7rocprim17ROCPRIM_400000_NS6detail17trampoline_kernelINS0_13select_configILj256ELj13ELNS0_17block_load_methodE3ELS4_3ELS4_3ELNS0_20block_scan_algorithmE0ELj4294967295EEENS1_25partition_config_selectorILNS1_17partition_subalgoE4EjNS0_10empty_typeEbEEZZNS1_14partition_implILS8_4ELb0ES6_15HIP_vector_typeIjLj2EENS0_17counting_iteratorIjlEEPS9_SG_NS0_5tupleIJPjSI_NS0_16reverse_iteratorISI_EEEEENSH_IJSG_SG_SG_EEES9_SI_JZNS1_25segmented_radix_sort_implINS0_14default_configELb1EPKbPbPKlPlN2at6native12_GLOBAL__N_18offset_tEEE10hipError_tPvRmT1_PNSt15iterator_traitsIS12_E10value_typeET2_T3_PNS13_IS18_E10value_typeET4_jRbjT5_S1E_jjP12ihipStream_tbEUljE_ZNSN_ISO_Lb1ESQ_SR_ST_SU_SY_EESZ_S10_S11_S12_S16_S17_S18_S1B_S1C_jS1D_jS1E_S1E_jjS1G_bEUljE0_EEESZ_S10_S11_S18_S1C_S1E_T6_T7_T9_mT8_S1G_bDpT10_ENKUlT_T0_E_clISt17integral_constantIbLb1EES1U_EEDaS1P_S1Q_EUlS1P_E_NS1_11comp_targetILNS1_3genE8ELNS1_11target_archE1030ELNS1_3gpuE2ELNS1_3repE0EEENS1_30default_config_static_selectorELNS0_4arch9wavefront6targetE0EEEvS12_,@function
_ZN7rocprim17ROCPRIM_400000_NS6detail17trampoline_kernelINS0_13select_configILj256ELj13ELNS0_17block_load_methodE3ELS4_3ELS4_3ELNS0_20block_scan_algorithmE0ELj4294967295EEENS1_25partition_config_selectorILNS1_17partition_subalgoE4EjNS0_10empty_typeEbEEZZNS1_14partition_implILS8_4ELb0ES6_15HIP_vector_typeIjLj2EENS0_17counting_iteratorIjlEEPS9_SG_NS0_5tupleIJPjSI_NS0_16reverse_iteratorISI_EEEEENSH_IJSG_SG_SG_EEES9_SI_JZNS1_25segmented_radix_sort_implINS0_14default_configELb1EPKbPbPKlPlN2at6native12_GLOBAL__N_18offset_tEEE10hipError_tPvRmT1_PNSt15iterator_traitsIS12_E10value_typeET2_T3_PNS13_IS18_E10value_typeET4_jRbjT5_S1E_jjP12ihipStream_tbEUljE_ZNSN_ISO_Lb1ESQ_SR_ST_SU_SY_EESZ_S10_S11_S12_S16_S17_S18_S1B_S1C_jS1D_jS1E_S1E_jjS1G_bEUljE0_EEESZ_S10_S11_S18_S1C_S1E_T6_T7_T9_mT8_S1G_bDpT10_ENKUlT_T0_E_clISt17integral_constantIbLb1EES1U_EEDaS1P_S1Q_EUlS1P_E_NS1_11comp_targetILNS1_3genE8ELNS1_11target_archE1030ELNS1_3gpuE2ELNS1_3repE0EEENS1_30default_config_static_selectorELNS0_4arch9wavefront6targetE0EEEvS12_: ; @_ZN7rocprim17ROCPRIM_400000_NS6detail17trampoline_kernelINS0_13select_configILj256ELj13ELNS0_17block_load_methodE3ELS4_3ELS4_3ELNS0_20block_scan_algorithmE0ELj4294967295EEENS1_25partition_config_selectorILNS1_17partition_subalgoE4EjNS0_10empty_typeEbEEZZNS1_14partition_implILS8_4ELb0ES6_15HIP_vector_typeIjLj2EENS0_17counting_iteratorIjlEEPS9_SG_NS0_5tupleIJPjSI_NS0_16reverse_iteratorISI_EEEEENSH_IJSG_SG_SG_EEES9_SI_JZNS1_25segmented_radix_sort_implINS0_14default_configELb1EPKbPbPKlPlN2at6native12_GLOBAL__N_18offset_tEEE10hipError_tPvRmT1_PNSt15iterator_traitsIS12_E10value_typeET2_T3_PNS13_IS18_E10value_typeET4_jRbjT5_S1E_jjP12ihipStream_tbEUljE_ZNSN_ISO_Lb1ESQ_SR_ST_SU_SY_EESZ_S10_S11_S12_S16_S17_S18_S1B_S1C_jS1D_jS1E_S1E_jjS1G_bEUljE0_EEESZ_S10_S11_S18_S1C_S1E_T6_T7_T9_mT8_S1G_bDpT10_ENKUlT_T0_E_clISt17integral_constantIbLb1EES1U_EEDaS1P_S1Q_EUlS1P_E_NS1_11comp_targetILNS1_3genE8ELNS1_11target_archE1030ELNS1_3gpuE2ELNS1_3repE0EEENS1_30default_config_static_selectorELNS0_4arch9wavefront6targetE0EEEvS12_
; %bb.0:
	.section	.rodata,"a",@progbits
	.p2align	6, 0x0
	.amdhsa_kernel _ZN7rocprim17ROCPRIM_400000_NS6detail17trampoline_kernelINS0_13select_configILj256ELj13ELNS0_17block_load_methodE3ELS4_3ELS4_3ELNS0_20block_scan_algorithmE0ELj4294967295EEENS1_25partition_config_selectorILNS1_17partition_subalgoE4EjNS0_10empty_typeEbEEZZNS1_14partition_implILS8_4ELb0ES6_15HIP_vector_typeIjLj2EENS0_17counting_iteratorIjlEEPS9_SG_NS0_5tupleIJPjSI_NS0_16reverse_iteratorISI_EEEEENSH_IJSG_SG_SG_EEES9_SI_JZNS1_25segmented_radix_sort_implINS0_14default_configELb1EPKbPbPKlPlN2at6native12_GLOBAL__N_18offset_tEEE10hipError_tPvRmT1_PNSt15iterator_traitsIS12_E10value_typeET2_T3_PNS13_IS18_E10value_typeET4_jRbjT5_S1E_jjP12ihipStream_tbEUljE_ZNSN_ISO_Lb1ESQ_SR_ST_SU_SY_EESZ_S10_S11_S12_S16_S17_S18_S1B_S1C_jS1D_jS1E_S1E_jjS1G_bEUljE0_EEESZ_S10_S11_S18_S1C_S1E_T6_T7_T9_mT8_S1G_bDpT10_ENKUlT_T0_E_clISt17integral_constantIbLb1EES1U_EEDaS1P_S1Q_EUlS1P_E_NS1_11comp_targetILNS1_3genE8ELNS1_11target_archE1030ELNS1_3gpuE2ELNS1_3repE0EEENS1_30default_config_static_selectorELNS0_4arch9wavefront6targetE0EEEvS12_
		.amdhsa_group_segment_fixed_size 0
		.amdhsa_private_segment_fixed_size 0
		.amdhsa_kernarg_size 184
		.amdhsa_user_sgpr_count 2
		.amdhsa_user_sgpr_dispatch_ptr 0
		.amdhsa_user_sgpr_queue_ptr 0
		.amdhsa_user_sgpr_kernarg_segment_ptr 1
		.amdhsa_user_sgpr_dispatch_id 0
		.amdhsa_user_sgpr_kernarg_preload_length 0
		.amdhsa_user_sgpr_kernarg_preload_offset 0
		.amdhsa_user_sgpr_private_segment_size 0
		.amdhsa_wavefront_size32 1
		.amdhsa_uses_dynamic_stack 0
		.amdhsa_enable_private_segment 0
		.amdhsa_system_sgpr_workgroup_id_x 1
		.amdhsa_system_sgpr_workgroup_id_y 0
		.amdhsa_system_sgpr_workgroup_id_z 0
		.amdhsa_system_sgpr_workgroup_info 0
		.amdhsa_system_vgpr_workitem_id 0
		.amdhsa_next_free_vgpr 1
		.amdhsa_next_free_sgpr 1
		.amdhsa_named_barrier_count 0
		.amdhsa_reserve_vcc 0
		.amdhsa_float_round_mode_32 0
		.amdhsa_float_round_mode_16_64 0
		.amdhsa_float_denorm_mode_32 3
		.amdhsa_float_denorm_mode_16_64 3
		.amdhsa_fp16_overflow 0
		.amdhsa_memory_ordered 1
		.amdhsa_forward_progress 1
		.amdhsa_inst_pref_size 0
		.amdhsa_round_robin_scheduling 0
		.amdhsa_exception_fp_ieee_invalid_op 0
		.amdhsa_exception_fp_denorm_src 0
		.amdhsa_exception_fp_ieee_div_zero 0
		.amdhsa_exception_fp_ieee_overflow 0
		.amdhsa_exception_fp_ieee_underflow 0
		.amdhsa_exception_fp_ieee_inexact 0
		.amdhsa_exception_int_div_zero 0
	.end_amdhsa_kernel
	.section	.text._ZN7rocprim17ROCPRIM_400000_NS6detail17trampoline_kernelINS0_13select_configILj256ELj13ELNS0_17block_load_methodE3ELS4_3ELS4_3ELNS0_20block_scan_algorithmE0ELj4294967295EEENS1_25partition_config_selectorILNS1_17partition_subalgoE4EjNS0_10empty_typeEbEEZZNS1_14partition_implILS8_4ELb0ES6_15HIP_vector_typeIjLj2EENS0_17counting_iteratorIjlEEPS9_SG_NS0_5tupleIJPjSI_NS0_16reverse_iteratorISI_EEEEENSH_IJSG_SG_SG_EEES9_SI_JZNS1_25segmented_radix_sort_implINS0_14default_configELb1EPKbPbPKlPlN2at6native12_GLOBAL__N_18offset_tEEE10hipError_tPvRmT1_PNSt15iterator_traitsIS12_E10value_typeET2_T3_PNS13_IS18_E10value_typeET4_jRbjT5_S1E_jjP12ihipStream_tbEUljE_ZNSN_ISO_Lb1ESQ_SR_ST_SU_SY_EESZ_S10_S11_S12_S16_S17_S18_S1B_S1C_jS1D_jS1E_S1E_jjS1G_bEUljE0_EEESZ_S10_S11_S18_S1C_S1E_T6_T7_T9_mT8_S1G_bDpT10_ENKUlT_T0_E_clISt17integral_constantIbLb1EES1U_EEDaS1P_S1Q_EUlS1P_E_NS1_11comp_targetILNS1_3genE8ELNS1_11target_archE1030ELNS1_3gpuE2ELNS1_3repE0EEENS1_30default_config_static_selectorELNS0_4arch9wavefront6targetE0EEEvS12_,"axG",@progbits,_ZN7rocprim17ROCPRIM_400000_NS6detail17trampoline_kernelINS0_13select_configILj256ELj13ELNS0_17block_load_methodE3ELS4_3ELS4_3ELNS0_20block_scan_algorithmE0ELj4294967295EEENS1_25partition_config_selectorILNS1_17partition_subalgoE4EjNS0_10empty_typeEbEEZZNS1_14partition_implILS8_4ELb0ES6_15HIP_vector_typeIjLj2EENS0_17counting_iteratorIjlEEPS9_SG_NS0_5tupleIJPjSI_NS0_16reverse_iteratorISI_EEEEENSH_IJSG_SG_SG_EEES9_SI_JZNS1_25segmented_radix_sort_implINS0_14default_configELb1EPKbPbPKlPlN2at6native12_GLOBAL__N_18offset_tEEE10hipError_tPvRmT1_PNSt15iterator_traitsIS12_E10value_typeET2_T3_PNS13_IS18_E10value_typeET4_jRbjT5_S1E_jjP12ihipStream_tbEUljE_ZNSN_ISO_Lb1ESQ_SR_ST_SU_SY_EESZ_S10_S11_S12_S16_S17_S18_S1B_S1C_jS1D_jS1E_S1E_jjS1G_bEUljE0_EEESZ_S10_S11_S18_S1C_S1E_T6_T7_T9_mT8_S1G_bDpT10_ENKUlT_T0_E_clISt17integral_constantIbLb1EES1U_EEDaS1P_S1Q_EUlS1P_E_NS1_11comp_targetILNS1_3genE8ELNS1_11target_archE1030ELNS1_3gpuE2ELNS1_3repE0EEENS1_30default_config_static_selectorELNS0_4arch9wavefront6targetE0EEEvS12_,comdat
.Lfunc_end1475:
	.size	_ZN7rocprim17ROCPRIM_400000_NS6detail17trampoline_kernelINS0_13select_configILj256ELj13ELNS0_17block_load_methodE3ELS4_3ELS4_3ELNS0_20block_scan_algorithmE0ELj4294967295EEENS1_25partition_config_selectorILNS1_17partition_subalgoE4EjNS0_10empty_typeEbEEZZNS1_14partition_implILS8_4ELb0ES6_15HIP_vector_typeIjLj2EENS0_17counting_iteratorIjlEEPS9_SG_NS0_5tupleIJPjSI_NS0_16reverse_iteratorISI_EEEEENSH_IJSG_SG_SG_EEES9_SI_JZNS1_25segmented_radix_sort_implINS0_14default_configELb1EPKbPbPKlPlN2at6native12_GLOBAL__N_18offset_tEEE10hipError_tPvRmT1_PNSt15iterator_traitsIS12_E10value_typeET2_T3_PNS13_IS18_E10value_typeET4_jRbjT5_S1E_jjP12ihipStream_tbEUljE_ZNSN_ISO_Lb1ESQ_SR_ST_SU_SY_EESZ_S10_S11_S12_S16_S17_S18_S1B_S1C_jS1D_jS1E_S1E_jjS1G_bEUljE0_EEESZ_S10_S11_S18_S1C_S1E_T6_T7_T9_mT8_S1G_bDpT10_ENKUlT_T0_E_clISt17integral_constantIbLb1EES1U_EEDaS1P_S1Q_EUlS1P_E_NS1_11comp_targetILNS1_3genE8ELNS1_11target_archE1030ELNS1_3gpuE2ELNS1_3repE0EEENS1_30default_config_static_selectorELNS0_4arch9wavefront6targetE0EEEvS12_, .Lfunc_end1475-_ZN7rocprim17ROCPRIM_400000_NS6detail17trampoline_kernelINS0_13select_configILj256ELj13ELNS0_17block_load_methodE3ELS4_3ELS4_3ELNS0_20block_scan_algorithmE0ELj4294967295EEENS1_25partition_config_selectorILNS1_17partition_subalgoE4EjNS0_10empty_typeEbEEZZNS1_14partition_implILS8_4ELb0ES6_15HIP_vector_typeIjLj2EENS0_17counting_iteratorIjlEEPS9_SG_NS0_5tupleIJPjSI_NS0_16reverse_iteratorISI_EEEEENSH_IJSG_SG_SG_EEES9_SI_JZNS1_25segmented_radix_sort_implINS0_14default_configELb1EPKbPbPKlPlN2at6native12_GLOBAL__N_18offset_tEEE10hipError_tPvRmT1_PNSt15iterator_traitsIS12_E10value_typeET2_T3_PNS13_IS18_E10value_typeET4_jRbjT5_S1E_jjP12ihipStream_tbEUljE_ZNSN_ISO_Lb1ESQ_SR_ST_SU_SY_EESZ_S10_S11_S12_S16_S17_S18_S1B_S1C_jS1D_jS1E_S1E_jjS1G_bEUljE0_EEESZ_S10_S11_S18_S1C_S1E_T6_T7_T9_mT8_S1G_bDpT10_ENKUlT_T0_E_clISt17integral_constantIbLb1EES1U_EEDaS1P_S1Q_EUlS1P_E_NS1_11comp_targetILNS1_3genE8ELNS1_11target_archE1030ELNS1_3gpuE2ELNS1_3repE0EEENS1_30default_config_static_selectorELNS0_4arch9wavefront6targetE0EEEvS12_
                                        ; -- End function
	.set _ZN7rocprim17ROCPRIM_400000_NS6detail17trampoline_kernelINS0_13select_configILj256ELj13ELNS0_17block_load_methodE3ELS4_3ELS4_3ELNS0_20block_scan_algorithmE0ELj4294967295EEENS1_25partition_config_selectorILNS1_17partition_subalgoE4EjNS0_10empty_typeEbEEZZNS1_14partition_implILS8_4ELb0ES6_15HIP_vector_typeIjLj2EENS0_17counting_iteratorIjlEEPS9_SG_NS0_5tupleIJPjSI_NS0_16reverse_iteratorISI_EEEEENSH_IJSG_SG_SG_EEES9_SI_JZNS1_25segmented_radix_sort_implINS0_14default_configELb1EPKbPbPKlPlN2at6native12_GLOBAL__N_18offset_tEEE10hipError_tPvRmT1_PNSt15iterator_traitsIS12_E10value_typeET2_T3_PNS13_IS18_E10value_typeET4_jRbjT5_S1E_jjP12ihipStream_tbEUljE_ZNSN_ISO_Lb1ESQ_SR_ST_SU_SY_EESZ_S10_S11_S12_S16_S17_S18_S1B_S1C_jS1D_jS1E_S1E_jjS1G_bEUljE0_EEESZ_S10_S11_S18_S1C_S1E_T6_T7_T9_mT8_S1G_bDpT10_ENKUlT_T0_E_clISt17integral_constantIbLb1EES1U_EEDaS1P_S1Q_EUlS1P_E_NS1_11comp_targetILNS1_3genE8ELNS1_11target_archE1030ELNS1_3gpuE2ELNS1_3repE0EEENS1_30default_config_static_selectorELNS0_4arch9wavefront6targetE0EEEvS12_.num_vgpr, 0
	.set _ZN7rocprim17ROCPRIM_400000_NS6detail17trampoline_kernelINS0_13select_configILj256ELj13ELNS0_17block_load_methodE3ELS4_3ELS4_3ELNS0_20block_scan_algorithmE0ELj4294967295EEENS1_25partition_config_selectorILNS1_17partition_subalgoE4EjNS0_10empty_typeEbEEZZNS1_14partition_implILS8_4ELb0ES6_15HIP_vector_typeIjLj2EENS0_17counting_iteratorIjlEEPS9_SG_NS0_5tupleIJPjSI_NS0_16reverse_iteratorISI_EEEEENSH_IJSG_SG_SG_EEES9_SI_JZNS1_25segmented_radix_sort_implINS0_14default_configELb1EPKbPbPKlPlN2at6native12_GLOBAL__N_18offset_tEEE10hipError_tPvRmT1_PNSt15iterator_traitsIS12_E10value_typeET2_T3_PNS13_IS18_E10value_typeET4_jRbjT5_S1E_jjP12ihipStream_tbEUljE_ZNSN_ISO_Lb1ESQ_SR_ST_SU_SY_EESZ_S10_S11_S12_S16_S17_S18_S1B_S1C_jS1D_jS1E_S1E_jjS1G_bEUljE0_EEESZ_S10_S11_S18_S1C_S1E_T6_T7_T9_mT8_S1G_bDpT10_ENKUlT_T0_E_clISt17integral_constantIbLb1EES1U_EEDaS1P_S1Q_EUlS1P_E_NS1_11comp_targetILNS1_3genE8ELNS1_11target_archE1030ELNS1_3gpuE2ELNS1_3repE0EEENS1_30default_config_static_selectorELNS0_4arch9wavefront6targetE0EEEvS12_.num_agpr, 0
	.set _ZN7rocprim17ROCPRIM_400000_NS6detail17trampoline_kernelINS0_13select_configILj256ELj13ELNS0_17block_load_methodE3ELS4_3ELS4_3ELNS0_20block_scan_algorithmE0ELj4294967295EEENS1_25partition_config_selectorILNS1_17partition_subalgoE4EjNS0_10empty_typeEbEEZZNS1_14partition_implILS8_4ELb0ES6_15HIP_vector_typeIjLj2EENS0_17counting_iteratorIjlEEPS9_SG_NS0_5tupleIJPjSI_NS0_16reverse_iteratorISI_EEEEENSH_IJSG_SG_SG_EEES9_SI_JZNS1_25segmented_radix_sort_implINS0_14default_configELb1EPKbPbPKlPlN2at6native12_GLOBAL__N_18offset_tEEE10hipError_tPvRmT1_PNSt15iterator_traitsIS12_E10value_typeET2_T3_PNS13_IS18_E10value_typeET4_jRbjT5_S1E_jjP12ihipStream_tbEUljE_ZNSN_ISO_Lb1ESQ_SR_ST_SU_SY_EESZ_S10_S11_S12_S16_S17_S18_S1B_S1C_jS1D_jS1E_S1E_jjS1G_bEUljE0_EEESZ_S10_S11_S18_S1C_S1E_T6_T7_T9_mT8_S1G_bDpT10_ENKUlT_T0_E_clISt17integral_constantIbLb1EES1U_EEDaS1P_S1Q_EUlS1P_E_NS1_11comp_targetILNS1_3genE8ELNS1_11target_archE1030ELNS1_3gpuE2ELNS1_3repE0EEENS1_30default_config_static_selectorELNS0_4arch9wavefront6targetE0EEEvS12_.numbered_sgpr, 0
	.set _ZN7rocprim17ROCPRIM_400000_NS6detail17trampoline_kernelINS0_13select_configILj256ELj13ELNS0_17block_load_methodE3ELS4_3ELS4_3ELNS0_20block_scan_algorithmE0ELj4294967295EEENS1_25partition_config_selectorILNS1_17partition_subalgoE4EjNS0_10empty_typeEbEEZZNS1_14partition_implILS8_4ELb0ES6_15HIP_vector_typeIjLj2EENS0_17counting_iteratorIjlEEPS9_SG_NS0_5tupleIJPjSI_NS0_16reverse_iteratorISI_EEEEENSH_IJSG_SG_SG_EEES9_SI_JZNS1_25segmented_radix_sort_implINS0_14default_configELb1EPKbPbPKlPlN2at6native12_GLOBAL__N_18offset_tEEE10hipError_tPvRmT1_PNSt15iterator_traitsIS12_E10value_typeET2_T3_PNS13_IS18_E10value_typeET4_jRbjT5_S1E_jjP12ihipStream_tbEUljE_ZNSN_ISO_Lb1ESQ_SR_ST_SU_SY_EESZ_S10_S11_S12_S16_S17_S18_S1B_S1C_jS1D_jS1E_S1E_jjS1G_bEUljE0_EEESZ_S10_S11_S18_S1C_S1E_T6_T7_T9_mT8_S1G_bDpT10_ENKUlT_T0_E_clISt17integral_constantIbLb1EES1U_EEDaS1P_S1Q_EUlS1P_E_NS1_11comp_targetILNS1_3genE8ELNS1_11target_archE1030ELNS1_3gpuE2ELNS1_3repE0EEENS1_30default_config_static_selectorELNS0_4arch9wavefront6targetE0EEEvS12_.num_named_barrier, 0
	.set _ZN7rocprim17ROCPRIM_400000_NS6detail17trampoline_kernelINS0_13select_configILj256ELj13ELNS0_17block_load_methodE3ELS4_3ELS4_3ELNS0_20block_scan_algorithmE0ELj4294967295EEENS1_25partition_config_selectorILNS1_17partition_subalgoE4EjNS0_10empty_typeEbEEZZNS1_14partition_implILS8_4ELb0ES6_15HIP_vector_typeIjLj2EENS0_17counting_iteratorIjlEEPS9_SG_NS0_5tupleIJPjSI_NS0_16reverse_iteratorISI_EEEEENSH_IJSG_SG_SG_EEES9_SI_JZNS1_25segmented_radix_sort_implINS0_14default_configELb1EPKbPbPKlPlN2at6native12_GLOBAL__N_18offset_tEEE10hipError_tPvRmT1_PNSt15iterator_traitsIS12_E10value_typeET2_T3_PNS13_IS18_E10value_typeET4_jRbjT5_S1E_jjP12ihipStream_tbEUljE_ZNSN_ISO_Lb1ESQ_SR_ST_SU_SY_EESZ_S10_S11_S12_S16_S17_S18_S1B_S1C_jS1D_jS1E_S1E_jjS1G_bEUljE0_EEESZ_S10_S11_S18_S1C_S1E_T6_T7_T9_mT8_S1G_bDpT10_ENKUlT_T0_E_clISt17integral_constantIbLb1EES1U_EEDaS1P_S1Q_EUlS1P_E_NS1_11comp_targetILNS1_3genE8ELNS1_11target_archE1030ELNS1_3gpuE2ELNS1_3repE0EEENS1_30default_config_static_selectorELNS0_4arch9wavefront6targetE0EEEvS12_.private_seg_size, 0
	.set _ZN7rocprim17ROCPRIM_400000_NS6detail17trampoline_kernelINS0_13select_configILj256ELj13ELNS0_17block_load_methodE3ELS4_3ELS4_3ELNS0_20block_scan_algorithmE0ELj4294967295EEENS1_25partition_config_selectorILNS1_17partition_subalgoE4EjNS0_10empty_typeEbEEZZNS1_14partition_implILS8_4ELb0ES6_15HIP_vector_typeIjLj2EENS0_17counting_iteratorIjlEEPS9_SG_NS0_5tupleIJPjSI_NS0_16reverse_iteratorISI_EEEEENSH_IJSG_SG_SG_EEES9_SI_JZNS1_25segmented_radix_sort_implINS0_14default_configELb1EPKbPbPKlPlN2at6native12_GLOBAL__N_18offset_tEEE10hipError_tPvRmT1_PNSt15iterator_traitsIS12_E10value_typeET2_T3_PNS13_IS18_E10value_typeET4_jRbjT5_S1E_jjP12ihipStream_tbEUljE_ZNSN_ISO_Lb1ESQ_SR_ST_SU_SY_EESZ_S10_S11_S12_S16_S17_S18_S1B_S1C_jS1D_jS1E_S1E_jjS1G_bEUljE0_EEESZ_S10_S11_S18_S1C_S1E_T6_T7_T9_mT8_S1G_bDpT10_ENKUlT_T0_E_clISt17integral_constantIbLb1EES1U_EEDaS1P_S1Q_EUlS1P_E_NS1_11comp_targetILNS1_3genE8ELNS1_11target_archE1030ELNS1_3gpuE2ELNS1_3repE0EEENS1_30default_config_static_selectorELNS0_4arch9wavefront6targetE0EEEvS12_.uses_vcc, 0
	.set _ZN7rocprim17ROCPRIM_400000_NS6detail17trampoline_kernelINS0_13select_configILj256ELj13ELNS0_17block_load_methodE3ELS4_3ELS4_3ELNS0_20block_scan_algorithmE0ELj4294967295EEENS1_25partition_config_selectorILNS1_17partition_subalgoE4EjNS0_10empty_typeEbEEZZNS1_14partition_implILS8_4ELb0ES6_15HIP_vector_typeIjLj2EENS0_17counting_iteratorIjlEEPS9_SG_NS0_5tupleIJPjSI_NS0_16reverse_iteratorISI_EEEEENSH_IJSG_SG_SG_EEES9_SI_JZNS1_25segmented_radix_sort_implINS0_14default_configELb1EPKbPbPKlPlN2at6native12_GLOBAL__N_18offset_tEEE10hipError_tPvRmT1_PNSt15iterator_traitsIS12_E10value_typeET2_T3_PNS13_IS18_E10value_typeET4_jRbjT5_S1E_jjP12ihipStream_tbEUljE_ZNSN_ISO_Lb1ESQ_SR_ST_SU_SY_EESZ_S10_S11_S12_S16_S17_S18_S1B_S1C_jS1D_jS1E_S1E_jjS1G_bEUljE0_EEESZ_S10_S11_S18_S1C_S1E_T6_T7_T9_mT8_S1G_bDpT10_ENKUlT_T0_E_clISt17integral_constantIbLb1EES1U_EEDaS1P_S1Q_EUlS1P_E_NS1_11comp_targetILNS1_3genE8ELNS1_11target_archE1030ELNS1_3gpuE2ELNS1_3repE0EEENS1_30default_config_static_selectorELNS0_4arch9wavefront6targetE0EEEvS12_.uses_flat_scratch, 0
	.set _ZN7rocprim17ROCPRIM_400000_NS6detail17trampoline_kernelINS0_13select_configILj256ELj13ELNS0_17block_load_methodE3ELS4_3ELS4_3ELNS0_20block_scan_algorithmE0ELj4294967295EEENS1_25partition_config_selectorILNS1_17partition_subalgoE4EjNS0_10empty_typeEbEEZZNS1_14partition_implILS8_4ELb0ES6_15HIP_vector_typeIjLj2EENS0_17counting_iteratorIjlEEPS9_SG_NS0_5tupleIJPjSI_NS0_16reverse_iteratorISI_EEEEENSH_IJSG_SG_SG_EEES9_SI_JZNS1_25segmented_radix_sort_implINS0_14default_configELb1EPKbPbPKlPlN2at6native12_GLOBAL__N_18offset_tEEE10hipError_tPvRmT1_PNSt15iterator_traitsIS12_E10value_typeET2_T3_PNS13_IS18_E10value_typeET4_jRbjT5_S1E_jjP12ihipStream_tbEUljE_ZNSN_ISO_Lb1ESQ_SR_ST_SU_SY_EESZ_S10_S11_S12_S16_S17_S18_S1B_S1C_jS1D_jS1E_S1E_jjS1G_bEUljE0_EEESZ_S10_S11_S18_S1C_S1E_T6_T7_T9_mT8_S1G_bDpT10_ENKUlT_T0_E_clISt17integral_constantIbLb1EES1U_EEDaS1P_S1Q_EUlS1P_E_NS1_11comp_targetILNS1_3genE8ELNS1_11target_archE1030ELNS1_3gpuE2ELNS1_3repE0EEENS1_30default_config_static_selectorELNS0_4arch9wavefront6targetE0EEEvS12_.has_dyn_sized_stack, 0
	.set _ZN7rocprim17ROCPRIM_400000_NS6detail17trampoline_kernelINS0_13select_configILj256ELj13ELNS0_17block_load_methodE3ELS4_3ELS4_3ELNS0_20block_scan_algorithmE0ELj4294967295EEENS1_25partition_config_selectorILNS1_17partition_subalgoE4EjNS0_10empty_typeEbEEZZNS1_14partition_implILS8_4ELb0ES6_15HIP_vector_typeIjLj2EENS0_17counting_iteratorIjlEEPS9_SG_NS0_5tupleIJPjSI_NS0_16reverse_iteratorISI_EEEEENSH_IJSG_SG_SG_EEES9_SI_JZNS1_25segmented_radix_sort_implINS0_14default_configELb1EPKbPbPKlPlN2at6native12_GLOBAL__N_18offset_tEEE10hipError_tPvRmT1_PNSt15iterator_traitsIS12_E10value_typeET2_T3_PNS13_IS18_E10value_typeET4_jRbjT5_S1E_jjP12ihipStream_tbEUljE_ZNSN_ISO_Lb1ESQ_SR_ST_SU_SY_EESZ_S10_S11_S12_S16_S17_S18_S1B_S1C_jS1D_jS1E_S1E_jjS1G_bEUljE0_EEESZ_S10_S11_S18_S1C_S1E_T6_T7_T9_mT8_S1G_bDpT10_ENKUlT_T0_E_clISt17integral_constantIbLb1EES1U_EEDaS1P_S1Q_EUlS1P_E_NS1_11comp_targetILNS1_3genE8ELNS1_11target_archE1030ELNS1_3gpuE2ELNS1_3repE0EEENS1_30default_config_static_selectorELNS0_4arch9wavefront6targetE0EEEvS12_.has_recursion, 0
	.set _ZN7rocprim17ROCPRIM_400000_NS6detail17trampoline_kernelINS0_13select_configILj256ELj13ELNS0_17block_load_methodE3ELS4_3ELS4_3ELNS0_20block_scan_algorithmE0ELj4294967295EEENS1_25partition_config_selectorILNS1_17partition_subalgoE4EjNS0_10empty_typeEbEEZZNS1_14partition_implILS8_4ELb0ES6_15HIP_vector_typeIjLj2EENS0_17counting_iteratorIjlEEPS9_SG_NS0_5tupleIJPjSI_NS0_16reverse_iteratorISI_EEEEENSH_IJSG_SG_SG_EEES9_SI_JZNS1_25segmented_radix_sort_implINS0_14default_configELb1EPKbPbPKlPlN2at6native12_GLOBAL__N_18offset_tEEE10hipError_tPvRmT1_PNSt15iterator_traitsIS12_E10value_typeET2_T3_PNS13_IS18_E10value_typeET4_jRbjT5_S1E_jjP12ihipStream_tbEUljE_ZNSN_ISO_Lb1ESQ_SR_ST_SU_SY_EESZ_S10_S11_S12_S16_S17_S18_S1B_S1C_jS1D_jS1E_S1E_jjS1G_bEUljE0_EEESZ_S10_S11_S18_S1C_S1E_T6_T7_T9_mT8_S1G_bDpT10_ENKUlT_T0_E_clISt17integral_constantIbLb1EES1U_EEDaS1P_S1Q_EUlS1P_E_NS1_11comp_targetILNS1_3genE8ELNS1_11target_archE1030ELNS1_3gpuE2ELNS1_3repE0EEENS1_30default_config_static_selectorELNS0_4arch9wavefront6targetE0EEEvS12_.has_indirect_call, 0
	.section	.AMDGPU.csdata,"",@progbits
; Kernel info:
; codeLenInByte = 0
; TotalNumSgprs: 0
; NumVgprs: 0
; ScratchSize: 0
; MemoryBound: 0
; FloatMode: 240
; IeeeMode: 1
; LDSByteSize: 0 bytes/workgroup (compile time only)
; SGPRBlocks: 0
; VGPRBlocks: 0
; NumSGPRsForWavesPerEU: 1
; NumVGPRsForWavesPerEU: 1
; NamedBarCnt: 0
; Occupancy: 16
; WaveLimiterHint : 0
; COMPUTE_PGM_RSRC2:SCRATCH_EN: 0
; COMPUTE_PGM_RSRC2:USER_SGPR: 2
; COMPUTE_PGM_RSRC2:TRAP_HANDLER: 0
; COMPUTE_PGM_RSRC2:TGID_X_EN: 1
; COMPUTE_PGM_RSRC2:TGID_Y_EN: 0
; COMPUTE_PGM_RSRC2:TGID_Z_EN: 0
; COMPUTE_PGM_RSRC2:TIDIG_COMP_CNT: 0
	.section	.text._ZN7rocprim17ROCPRIM_400000_NS6detail17trampoline_kernelINS0_13select_configILj256ELj13ELNS0_17block_load_methodE3ELS4_3ELS4_3ELNS0_20block_scan_algorithmE0ELj4294967295EEENS1_25partition_config_selectorILNS1_17partition_subalgoE4EjNS0_10empty_typeEbEEZZNS1_14partition_implILS8_4ELb0ES6_15HIP_vector_typeIjLj2EENS0_17counting_iteratorIjlEEPS9_SG_NS0_5tupleIJPjSI_NS0_16reverse_iteratorISI_EEEEENSH_IJSG_SG_SG_EEES9_SI_JZNS1_25segmented_radix_sort_implINS0_14default_configELb1EPKbPbPKlPlN2at6native12_GLOBAL__N_18offset_tEEE10hipError_tPvRmT1_PNSt15iterator_traitsIS12_E10value_typeET2_T3_PNS13_IS18_E10value_typeET4_jRbjT5_S1E_jjP12ihipStream_tbEUljE_ZNSN_ISO_Lb1ESQ_SR_ST_SU_SY_EESZ_S10_S11_S12_S16_S17_S18_S1B_S1C_jS1D_jS1E_S1E_jjS1G_bEUljE0_EEESZ_S10_S11_S18_S1C_S1E_T6_T7_T9_mT8_S1G_bDpT10_ENKUlT_T0_E_clISt17integral_constantIbLb1EES1T_IbLb0EEEEDaS1P_S1Q_EUlS1P_E_NS1_11comp_targetILNS1_3genE0ELNS1_11target_archE4294967295ELNS1_3gpuE0ELNS1_3repE0EEENS1_30default_config_static_selectorELNS0_4arch9wavefront6targetE0EEEvS12_,"axG",@progbits,_ZN7rocprim17ROCPRIM_400000_NS6detail17trampoline_kernelINS0_13select_configILj256ELj13ELNS0_17block_load_methodE3ELS4_3ELS4_3ELNS0_20block_scan_algorithmE0ELj4294967295EEENS1_25partition_config_selectorILNS1_17partition_subalgoE4EjNS0_10empty_typeEbEEZZNS1_14partition_implILS8_4ELb0ES6_15HIP_vector_typeIjLj2EENS0_17counting_iteratorIjlEEPS9_SG_NS0_5tupleIJPjSI_NS0_16reverse_iteratorISI_EEEEENSH_IJSG_SG_SG_EEES9_SI_JZNS1_25segmented_radix_sort_implINS0_14default_configELb1EPKbPbPKlPlN2at6native12_GLOBAL__N_18offset_tEEE10hipError_tPvRmT1_PNSt15iterator_traitsIS12_E10value_typeET2_T3_PNS13_IS18_E10value_typeET4_jRbjT5_S1E_jjP12ihipStream_tbEUljE_ZNSN_ISO_Lb1ESQ_SR_ST_SU_SY_EESZ_S10_S11_S12_S16_S17_S18_S1B_S1C_jS1D_jS1E_S1E_jjS1G_bEUljE0_EEESZ_S10_S11_S18_S1C_S1E_T6_T7_T9_mT8_S1G_bDpT10_ENKUlT_T0_E_clISt17integral_constantIbLb1EES1T_IbLb0EEEEDaS1P_S1Q_EUlS1P_E_NS1_11comp_targetILNS1_3genE0ELNS1_11target_archE4294967295ELNS1_3gpuE0ELNS1_3repE0EEENS1_30default_config_static_selectorELNS0_4arch9wavefront6targetE0EEEvS12_,comdat
	.globl	_ZN7rocprim17ROCPRIM_400000_NS6detail17trampoline_kernelINS0_13select_configILj256ELj13ELNS0_17block_load_methodE3ELS4_3ELS4_3ELNS0_20block_scan_algorithmE0ELj4294967295EEENS1_25partition_config_selectorILNS1_17partition_subalgoE4EjNS0_10empty_typeEbEEZZNS1_14partition_implILS8_4ELb0ES6_15HIP_vector_typeIjLj2EENS0_17counting_iteratorIjlEEPS9_SG_NS0_5tupleIJPjSI_NS0_16reverse_iteratorISI_EEEEENSH_IJSG_SG_SG_EEES9_SI_JZNS1_25segmented_radix_sort_implINS0_14default_configELb1EPKbPbPKlPlN2at6native12_GLOBAL__N_18offset_tEEE10hipError_tPvRmT1_PNSt15iterator_traitsIS12_E10value_typeET2_T3_PNS13_IS18_E10value_typeET4_jRbjT5_S1E_jjP12ihipStream_tbEUljE_ZNSN_ISO_Lb1ESQ_SR_ST_SU_SY_EESZ_S10_S11_S12_S16_S17_S18_S1B_S1C_jS1D_jS1E_S1E_jjS1G_bEUljE0_EEESZ_S10_S11_S18_S1C_S1E_T6_T7_T9_mT8_S1G_bDpT10_ENKUlT_T0_E_clISt17integral_constantIbLb1EES1T_IbLb0EEEEDaS1P_S1Q_EUlS1P_E_NS1_11comp_targetILNS1_3genE0ELNS1_11target_archE4294967295ELNS1_3gpuE0ELNS1_3repE0EEENS1_30default_config_static_selectorELNS0_4arch9wavefront6targetE0EEEvS12_ ; -- Begin function _ZN7rocprim17ROCPRIM_400000_NS6detail17trampoline_kernelINS0_13select_configILj256ELj13ELNS0_17block_load_methodE3ELS4_3ELS4_3ELNS0_20block_scan_algorithmE0ELj4294967295EEENS1_25partition_config_selectorILNS1_17partition_subalgoE4EjNS0_10empty_typeEbEEZZNS1_14partition_implILS8_4ELb0ES6_15HIP_vector_typeIjLj2EENS0_17counting_iteratorIjlEEPS9_SG_NS0_5tupleIJPjSI_NS0_16reverse_iteratorISI_EEEEENSH_IJSG_SG_SG_EEES9_SI_JZNS1_25segmented_radix_sort_implINS0_14default_configELb1EPKbPbPKlPlN2at6native12_GLOBAL__N_18offset_tEEE10hipError_tPvRmT1_PNSt15iterator_traitsIS12_E10value_typeET2_T3_PNS13_IS18_E10value_typeET4_jRbjT5_S1E_jjP12ihipStream_tbEUljE_ZNSN_ISO_Lb1ESQ_SR_ST_SU_SY_EESZ_S10_S11_S12_S16_S17_S18_S1B_S1C_jS1D_jS1E_S1E_jjS1G_bEUljE0_EEESZ_S10_S11_S18_S1C_S1E_T6_T7_T9_mT8_S1G_bDpT10_ENKUlT_T0_E_clISt17integral_constantIbLb1EES1T_IbLb0EEEEDaS1P_S1Q_EUlS1P_E_NS1_11comp_targetILNS1_3genE0ELNS1_11target_archE4294967295ELNS1_3gpuE0ELNS1_3repE0EEENS1_30default_config_static_selectorELNS0_4arch9wavefront6targetE0EEEvS12_
	.p2align	8
	.type	_ZN7rocprim17ROCPRIM_400000_NS6detail17trampoline_kernelINS0_13select_configILj256ELj13ELNS0_17block_load_methodE3ELS4_3ELS4_3ELNS0_20block_scan_algorithmE0ELj4294967295EEENS1_25partition_config_selectorILNS1_17partition_subalgoE4EjNS0_10empty_typeEbEEZZNS1_14partition_implILS8_4ELb0ES6_15HIP_vector_typeIjLj2EENS0_17counting_iteratorIjlEEPS9_SG_NS0_5tupleIJPjSI_NS0_16reverse_iteratorISI_EEEEENSH_IJSG_SG_SG_EEES9_SI_JZNS1_25segmented_radix_sort_implINS0_14default_configELb1EPKbPbPKlPlN2at6native12_GLOBAL__N_18offset_tEEE10hipError_tPvRmT1_PNSt15iterator_traitsIS12_E10value_typeET2_T3_PNS13_IS18_E10value_typeET4_jRbjT5_S1E_jjP12ihipStream_tbEUljE_ZNSN_ISO_Lb1ESQ_SR_ST_SU_SY_EESZ_S10_S11_S12_S16_S17_S18_S1B_S1C_jS1D_jS1E_S1E_jjS1G_bEUljE0_EEESZ_S10_S11_S18_S1C_S1E_T6_T7_T9_mT8_S1G_bDpT10_ENKUlT_T0_E_clISt17integral_constantIbLb1EES1T_IbLb0EEEEDaS1P_S1Q_EUlS1P_E_NS1_11comp_targetILNS1_3genE0ELNS1_11target_archE4294967295ELNS1_3gpuE0ELNS1_3repE0EEENS1_30default_config_static_selectorELNS0_4arch9wavefront6targetE0EEEvS12_,@function
_ZN7rocprim17ROCPRIM_400000_NS6detail17trampoline_kernelINS0_13select_configILj256ELj13ELNS0_17block_load_methodE3ELS4_3ELS4_3ELNS0_20block_scan_algorithmE0ELj4294967295EEENS1_25partition_config_selectorILNS1_17partition_subalgoE4EjNS0_10empty_typeEbEEZZNS1_14partition_implILS8_4ELb0ES6_15HIP_vector_typeIjLj2EENS0_17counting_iteratorIjlEEPS9_SG_NS0_5tupleIJPjSI_NS0_16reverse_iteratorISI_EEEEENSH_IJSG_SG_SG_EEES9_SI_JZNS1_25segmented_radix_sort_implINS0_14default_configELb1EPKbPbPKlPlN2at6native12_GLOBAL__N_18offset_tEEE10hipError_tPvRmT1_PNSt15iterator_traitsIS12_E10value_typeET2_T3_PNS13_IS18_E10value_typeET4_jRbjT5_S1E_jjP12ihipStream_tbEUljE_ZNSN_ISO_Lb1ESQ_SR_ST_SU_SY_EESZ_S10_S11_S12_S16_S17_S18_S1B_S1C_jS1D_jS1E_S1E_jjS1G_bEUljE0_EEESZ_S10_S11_S18_S1C_S1E_T6_T7_T9_mT8_S1G_bDpT10_ENKUlT_T0_E_clISt17integral_constantIbLb1EES1T_IbLb0EEEEDaS1P_S1Q_EUlS1P_E_NS1_11comp_targetILNS1_3genE0ELNS1_11target_archE4294967295ELNS1_3gpuE0ELNS1_3repE0EEENS1_30default_config_static_selectorELNS0_4arch9wavefront6targetE0EEEvS12_: ; @_ZN7rocprim17ROCPRIM_400000_NS6detail17trampoline_kernelINS0_13select_configILj256ELj13ELNS0_17block_load_methodE3ELS4_3ELS4_3ELNS0_20block_scan_algorithmE0ELj4294967295EEENS1_25partition_config_selectorILNS1_17partition_subalgoE4EjNS0_10empty_typeEbEEZZNS1_14partition_implILS8_4ELb0ES6_15HIP_vector_typeIjLj2EENS0_17counting_iteratorIjlEEPS9_SG_NS0_5tupleIJPjSI_NS0_16reverse_iteratorISI_EEEEENSH_IJSG_SG_SG_EEES9_SI_JZNS1_25segmented_radix_sort_implINS0_14default_configELb1EPKbPbPKlPlN2at6native12_GLOBAL__N_18offset_tEEE10hipError_tPvRmT1_PNSt15iterator_traitsIS12_E10value_typeET2_T3_PNS13_IS18_E10value_typeET4_jRbjT5_S1E_jjP12ihipStream_tbEUljE_ZNSN_ISO_Lb1ESQ_SR_ST_SU_SY_EESZ_S10_S11_S12_S16_S17_S18_S1B_S1C_jS1D_jS1E_S1E_jjS1G_bEUljE0_EEESZ_S10_S11_S18_S1C_S1E_T6_T7_T9_mT8_S1G_bDpT10_ENKUlT_T0_E_clISt17integral_constantIbLb1EES1T_IbLb0EEEEDaS1P_S1Q_EUlS1P_E_NS1_11comp_targetILNS1_3genE0ELNS1_11target_archE4294967295ELNS1_3gpuE0ELNS1_3repE0EEENS1_30default_config_static_selectorELNS0_4arch9wavefront6targetE0EEEvS12_
; %bb.0:
	s_endpgm
	.section	.rodata,"a",@progbits
	.p2align	6, 0x0
	.amdhsa_kernel _ZN7rocprim17ROCPRIM_400000_NS6detail17trampoline_kernelINS0_13select_configILj256ELj13ELNS0_17block_load_methodE3ELS4_3ELS4_3ELNS0_20block_scan_algorithmE0ELj4294967295EEENS1_25partition_config_selectorILNS1_17partition_subalgoE4EjNS0_10empty_typeEbEEZZNS1_14partition_implILS8_4ELb0ES6_15HIP_vector_typeIjLj2EENS0_17counting_iteratorIjlEEPS9_SG_NS0_5tupleIJPjSI_NS0_16reverse_iteratorISI_EEEEENSH_IJSG_SG_SG_EEES9_SI_JZNS1_25segmented_radix_sort_implINS0_14default_configELb1EPKbPbPKlPlN2at6native12_GLOBAL__N_18offset_tEEE10hipError_tPvRmT1_PNSt15iterator_traitsIS12_E10value_typeET2_T3_PNS13_IS18_E10value_typeET4_jRbjT5_S1E_jjP12ihipStream_tbEUljE_ZNSN_ISO_Lb1ESQ_SR_ST_SU_SY_EESZ_S10_S11_S12_S16_S17_S18_S1B_S1C_jS1D_jS1E_S1E_jjS1G_bEUljE0_EEESZ_S10_S11_S18_S1C_S1E_T6_T7_T9_mT8_S1G_bDpT10_ENKUlT_T0_E_clISt17integral_constantIbLb1EES1T_IbLb0EEEEDaS1P_S1Q_EUlS1P_E_NS1_11comp_targetILNS1_3genE0ELNS1_11target_archE4294967295ELNS1_3gpuE0ELNS1_3repE0EEENS1_30default_config_static_selectorELNS0_4arch9wavefront6targetE0EEEvS12_
		.amdhsa_group_segment_fixed_size 0
		.amdhsa_private_segment_fixed_size 0
		.amdhsa_kernarg_size 176
		.amdhsa_user_sgpr_count 2
		.amdhsa_user_sgpr_dispatch_ptr 0
		.amdhsa_user_sgpr_queue_ptr 0
		.amdhsa_user_sgpr_kernarg_segment_ptr 1
		.amdhsa_user_sgpr_dispatch_id 0
		.amdhsa_user_sgpr_kernarg_preload_length 0
		.amdhsa_user_sgpr_kernarg_preload_offset 0
		.amdhsa_user_sgpr_private_segment_size 0
		.amdhsa_wavefront_size32 1
		.amdhsa_uses_dynamic_stack 0
		.amdhsa_enable_private_segment 0
		.amdhsa_system_sgpr_workgroup_id_x 1
		.amdhsa_system_sgpr_workgroup_id_y 0
		.amdhsa_system_sgpr_workgroup_id_z 0
		.amdhsa_system_sgpr_workgroup_info 0
		.amdhsa_system_vgpr_workitem_id 0
		.amdhsa_next_free_vgpr 1
		.amdhsa_next_free_sgpr 1
		.amdhsa_named_barrier_count 0
		.amdhsa_reserve_vcc 0
		.amdhsa_float_round_mode_32 0
		.amdhsa_float_round_mode_16_64 0
		.amdhsa_float_denorm_mode_32 3
		.amdhsa_float_denorm_mode_16_64 3
		.amdhsa_fp16_overflow 0
		.amdhsa_memory_ordered 1
		.amdhsa_forward_progress 1
		.amdhsa_inst_pref_size 1
		.amdhsa_round_robin_scheduling 0
		.amdhsa_exception_fp_ieee_invalid_op 0
		.amdhsa_exception_fp_denorm_src 0
		.amdhsa_exception_fp_ieee_div_zero 0
		.amdhsa_exception_fp_ieee_overflow 0
		.amdhsa_exception_fp_ieee_underflow 0
		.amdhsa_exception_fp_ieee_inexact 0
		.amdhsa_exception_int_div_zero 0
	.end_amdhsa_kernel
	.section	.text._ZN7rocprim17ROCPRIM_400000_NS6detail17trampoline_kernelINS0_13select_configILj256ELj13ELNS0_17block_load_methodE3ELS4_3ELS4_3ELNS0_20block_scan_algorithmE0ELj4294967295EEENS1_25partition_config_selectorILNS1_17partition_subalgoE4EjNS0_10empty_typeEbEEZZNS1_14partition_implILS8_4ELb0ES6_15HIP_vector_typeIjLj2EENS0_17counting_iteratorIjlEEPS9_SG_NS0_5tupleIJPjSI_NS0_16reverse_iteratorISI_EEEEENSH_IJSG_SG_SG_EEES9_SI_JZNS1_25segmented_radix_sort_implINS0_14default_configELb1EPKbPbPKlPlN2at6native12_GLOBAL__N_18offset_tEEE10hipError_tPvRmT1_PNSt15iterator_traitsIS12_E10value_typeET2_T3_PNS13_IS18_E10value_typeET4_jRbjT5_S1E_jjP12ihipStream_tbEUljE_ZNSN_ISO_Lb1ESQ_SR_ST_SU_SY_EESZ_S10_S11_S12_S16_S17_S18_S1B_S1C_jS1D_jS1E_S1E_jjS1G_bEUljE0_EEESZ_S10_S11_S18_S1C_S1E_T6_T7_T9_mT8_S1G_bDpT10_ENKUlT_T0_E_clISt17integral_constantIbLb1EES1T_IbLb0EEEEDaS1P_S1Q_EUlS1P_E_NS1_11comp_targetILNS1_3genE0ELNS1_11target_archE4294967295ELNS1_3gpuE0ELNS1_3repE0EEENS1_30default_config_static_selectorELNS0_4arch9wavefront6targetE0EEEvS12_,"axG",@progbits,_ZN7rocprim17ROCPRIM_400000_NS6detail17trampoline_kernelINS0_13select_configILj256ELj13ELNS0_17block_load_methodE3ELS4_3ELS4_3ELNS0_20block_scan_algorithmE0ELj4294967295EEENS1_25partition_config_selectorILNS1_17partition_subalgoE4EjNS0_10empty_typeEbEEZZNS1_14partition_implILS8_4ELb0ES6_15HIP_vector_typeIjLj2EENS0_17counting_iteratorIjlEEPS9_SG_NS0_5tupleIJPjSI_NS0_16reverse_iteratorISI_EEEEENSH_IJSG_SG_SG_EEES9_SI_JZNS1_25segmented_radix_sort_implINS0_14default_configELb1EPKbPbPKlPlN2at6native12_GLOBAL__N_18offset_tEEE10hipError_tPvRmT1_PNSt15iterator_traitsIS12_E10value_typeET2_T3_PNS13_IS18_E10value_typeET4_jRbjT5_S1E_jjP12ihipStream_tbEUljE_ZNSN_ISO_Lb1ESQ_SR_ST_SU_SY_EESZ_S10_S11_S12_S16_S17_S18_S1B_S1C_jS1D_jS1E_S1E_jjS1G_bEUljE0_EEESZ_S10_S11_S18_S1C_S1E_T6_T7_T9_mT8_S1G_bDpT10_ENKUlT_T0_E_clISt17integral_constantIbLb1EES1T_IbLb0EEEEDaS1P_S1Q_EUlS1P_E_NS1_11comp_targetILNS1_3genE0ELNS1_11target_archE4294967295ELNS1_3gpuE0ELNS1_3repE0EEENS1_30default_config_static_selectorELNS0_4arch9wavefront6targetE0EEEvS12_,comdat
.Lfunc_end1476:
	.size	_ZN7rocprim17ROCPRIM_400000_NS6detail17trampoline_kernelINS0_13select_configILj256ELj13ELNS0_17block_load_methodE3ELS4_3ELS4_3ELNS0_20block_scan_algorithmE0ELj4294967295EEENS1_25partition_config_selectorILNS1_17partition_subalgoE4EjNS0_10empty_typeEbEEZZNS1_14partition_implILS8_4ELb0ES6_15HIP_vector_typeIjLj2EENS0_17counting_iteratorIjlEEPS9_SG_NS0_5tupleIJPjSI_NS0_16reverse_iteratorISI_EEEEENSH_IJSG_SG_SG_EEES9_SI_JZNS1_25segmented_radix_sort_implINS0_14default_configELb1EPKbPbPKlPlN2at6native12_GLOBAL__N_18offset_tEEE10hipError_tPvRmT1_PNSt15iterator_traitsIS12_E10value_typeET2_T3_PNS13_IS18_E10value_typeET4_jRbjT5_S1E_jjP12ihipStream_tbEUljE_ZNSN_ISO_Lb1ESQ_SR_ST_SU_SY_EESZ_S10_S11_S12_S16_S17_S18_S1B_S1C_jS1D_jS1E_S1E_jjS1G_bEUljE0_EEESZ_S10_S11_S18_S1C_S1E_T6_T7_T9_mT8_S1G_bDpT10_ENKUlT_T0_E_clISt17integral_constantIbLb1EES1T_IbLb0EEEEDaS1P_S1Q_EUlS1P_E_NS1_11comp_targetILNS1_3genE0ELNS1_11target_archE4294967295ELNS1_3gpuE0ELNS1_3repE0EEENS1_30default_config_static_selectorELNS0_4arch9wavefront6targetE0EEEvS12_, .Lfunc_end1476-_ZN7rocprim17ROCPRIM_400000_NS6detail17trampoline_kernelINS0_13select_configILj256ELj13ELNS0_17block_load_methodE3ELS4_3ELS4_3ELNS0_20block_scan_algorithmE0ELj4294967295EEENS1_25partition_config_selectorILNS1_17partition_subalgoE4EjNS0_10empty_typeEbEEZZNS1_14partition_implILS8_4ELb0ES6_15HIP_vector_typeIjLj2EENS0_17counting_iteratorIjlEEPS9_SG_NS0_5tupleIJPjSI_NS0_16reverse_iteratorISI_EEEEENSH_IJSG_SG_SG_EEES9_SI_JZNS1_25segmented_radix_sort_implINS0_14default_configELb1EPKbPbPKlPlN2at6native12_GLOBAL__N_18offset_tEEE10hipError_tPvRmT1_PNSt15iterator_traitsIS12_E10value_typeET2_T3_PNS13_IS18_E10value_typeET4_jRbjT5_S1E_jjP12ihipStream_tbEUljE_ZNSN_ISO_Lb1ESQ_SR_ST_SU_SY_EESZ_S10_S11_S12_S16_S17_S18_S1B_S1C_jS1D_jS1E_S1E_jjS1G_bEUljE0_EEESZ_S10_S11_S18_S1C_S1E_T6_T7_T9_mT8_S1G_bDpT10_ENKUlT_T0_E_clISt17integral_constantIbLb1EES1T_IbLb0EEEEDaS1P_S1Q_EUlS1P_E_NS1_11comp_targetILNS1_3genE0ELNS1_11target_archE4294967295ELNS1_3gpuE0ELNS1_3repE0EEENS1_30default_config_static_selectorELNS0_4arch9wavefront6targetE0EEEvS12_
                                        ; -- End function
	.set _ZN7rocprim17ROCPRIM_400000_NS6detail17trampoline_kernelINS0_13select_configILj256ELj13ELNS0_17block_load_methodE3ELS4_3ELS4_3ELNS0_20block_scan_algorithmE0ELj4294967295EEENS1_25partition_config_selectorILNS1_17partition_subalgoE4EjNS0_10empty_typeEbEEZZNS1_14partition_implILS8_4ELb0ES6_15HIP_vector_typeIjLj2EENS0_17counting_iteratorIjlEEPS9_SG_NS0_5tupleIJPjSI_NS0_16reverse_iteratorISI_EEEEENSH_IJSG_SG_SG_EEES9_SI_JZNS1_25segmented_radix_sort_implINS0_14default_configELb1EPKbPbPKlPlN2at6native12_GLOBAL__N_18offset_tEEE10hipError_tPvRmT1_PNSt15iterator_traitsIS12_E10value_typeET2_T3_PNS13_IS18_E10value_typeET4_jRbjT5_S1E_jjP12ihipStream_tbEUljE_ZNSN_ISO_Lb1ESQ_SR_ST_SU_SY_EESZ_S10_S11_S12_S16_S17_S18_S1B_S1C_jS1D_jS1E_S1E_jjS1G_bEUljE0_EEESZ_S10_S11_S18_S1C_S1E_T6_T7_T9_mT8_S1G_bDpT10_ENKUlT_T0_E_clISt17integral_constantIbLb1EES1T_IbLb0EEEEDaS1P_S1Q_EUlS1P_E_NS1_11comp_targetILNS1_3genE0ELNS1_11target_archE4294967295ELNS1_3gpuE0ELNS1_3repE0EEENS1_30default_config_static_selectorELNS0_4arch9wavefront6targetE0EEEvS12_.num_vgpr, 0
	.set _ZN7rocprim17ROCPRIM_400000_NS6detail17trampoline_kernelINS0_13select_configILj256ELj13ELNS0_17block_load_methodE3ELS4_3ELS4_3ELNS0_20block_scan_algorithmE0ELj4294967295EEENS1_25partition_config_selectorILNS1_17partition_subalgoE4EjNS0_10empty_typeEbEEZZNS1_14partition_implILS8_4ELb0ES6_15HIP_vector_typeIjLj2EENS0_17counting_iteratorIjlEEPS9_SG_NS0_5tupleIJPjSI_NS0_16reverse_iteratorISI_EEEEENSH_IJSG_SG_SG_EEES9_SI_JZNS1_25segmented_radix_sort_implINS0_14default_configELb1EPKbPbPKlPlN2at6native12_GLOBAL__N_18offset_tEEE10hipError_tPvRmT1_PNSt15iterator_traitsIS12_E10value_typeET2_T3_PNS13_IS18_E10value_typeET4_jRbjT5_S1E_jjP12ihipStream_tbEUljE_ZNSN_ISO_Lb1ESQ_SR_ST_SU_SY_EESZ_S10_S11_S12_S16_S17_S18_S1B_S1C_jS1D_jS1E_S1E_jjS1G_bEUljE0_EEESZ_S10_S11_S18_S1C_S1E_T6_T7_T9_mT8_S1G_bDpT10_ENKUlT_T0_E_clISt17integral_constantIbLb1EES1T_IbLb0EEEEDaS1P_S1Q_EUlS1P_E_NS1_11comp_targetILNS1_3genE0ELNS1_11target_archE4294967295ELNS1_3gpuE0ELNS1_3repE0EEENS1_30default_config_static_selectorELNS0_4arch9wavefront6targetE0EEEvS12_.num_agpr, 0
	.set _ZN7rocprim17ROCPRIM_400000_NS6detail17trampoline_kernelINS0_13select_configILj256ELj13ELNS0_17block_load_methodE3ELS4_3ELS4_3ELNS0_20block_scan_algorithmE0ELj4294967295EEENS1_25partition_config_selectorILNS1_17partition_subalgoE4EjNS0_10empty_typeEbEEZZNS1_14partition_implILS8_4ELb0ES6_15HIP_vector_typeIjLj2EENS0_17counting_iteratorIjlEEPS9_SG_NS0_5tupleIJPjSI_NS0_16reverse_iteratorISI_EEEEENSH_IJSG_SG_SG_EEES9_SI_JZNS1_25segmented_radix_sort_implINS0_14default_configELb1EPKbPbPKlPlN2at6native12_GLOBAL__N_18offset_tEEE10hipError_tPvRmT1_PNSt15iterator_traitsIS12_E10value_typeET2_T3_PNS13_IS18_E10value_typeET4_jRbjT5_S1E_jjP12ihipStream_tbEUljE_ZNSN_ISO_Lb1ESQ_SR_ST_SU_SY_EESZ_S10_S11_S12_S16_S17_S18_S1B_S1C_jS1D_jS1E_S1E_jjS1G_bEUljE0_EEESZ_S10_S11_S18_S1C_S1E_T6_T7_T9_mT8_S1G_bDpT10_ENKUlT_T0_E_clISt17integral_constantIbLb1EES1T_IbLb0EEEEDaS1P_S1Q_EUlS1P_E_NS1_11comp_targetILNS1_3genE0ELNS1_11target_archE4294967295ELNS1_3gpuE0ELNS1_3repE0EEENS1_30default_config_static_selectorELNS0_4arch9wavefront6targetE0EEEvS12_.numbered_sgpr, 0
	.set _ZN7rocprim17ROCPRIM_400000_NS6detail17trampoline_kernelINS0_13select_configILj256ELj13ELNS0_17block_load_methodE3ELS4_3ELS4_3ELNS0_20block_scan_algorithmE0ELj4294967295EEENS1_25partition_config_selectorILNS1_17partition_subalgoE4EjNS0_10empty_typeEbEEZZNS1_14partition_implILS8_4ELb0ES6_15HIP_vector_typeIjLj2EENS0_17counting_iteratorIjlEEPS9_SG_NS0_5tupleIJPjSI_NS0_16reverse_iteratorISI_EEEEENSH_IJSG_SG_SG_EEES9_SI_JZNS1_25segmented_radix_sort_implINS0_14default_configELb1EPKbPbPKlPlN2at6native12_GLOBAL__N_18offset_tEEE10hipError_tPvRmT1_PNSt15iterator_traitsIS12_E10value_typeET2_T3_PNS13_IS18_E10value_typeET4_jRbjT5_S1E_jjP12ihipStream_tbEUljE_ZNSN_ISO_Lb1ESQ_SR_ST_SU_SY_EESZ_S10_S11_S12_S16_S17_S18_S1B_S1C_jS1D_jS1E_S1E_jjS1G_bEUljE0_EEESZ_S10_S11_S18_S1C_S1E_T6_T7_T9_mT8_S1G_bDpT10_ENKUlT_T0_E_clISt17integral_constantIbLb1EES1T_IbLb0EEEEDaS1P_S1Q_EUlS1P_E_NS1_11comp_targetILNS1_3genE0ELNS1_11target_archE4294967295ELNS1_3gpuE0ELNS1_3repE0EEENS1_30default_config_static_selectorELNS0_4arch9wavefront6targetE0EEEvS12_.num_named_barrier, 0
	.set _ZN7rocprim17ROCPRIM_400000_NS6detail17trampoline_kernelINS0_13select_configILj256ELj13ELNS0_17block_load_methodE3ELS4_3ELS4_3ELNS0_20block_scan_algorithmE0ELj4294967295EEENS1_25partition_config_selectorILNS1_17partition_subalgoE4EjNS0_10empty_typeEbEEZZNS1_14partition_implILS8_4ELb0ES6_15HIP_vector_typeIjLj2EENS0_17counting_iteratorIjlEEPS9_SG_NS0_5tupleIJPjSI_NS0_16reverse_iteratorISI_EEEEENSH_IJSG_SG_SG_EEES9_SI_JZNS1_25segmented_radix_sort_implINS0_14default_configELb1EPKbPbPKlPlN2at6native12_GLOBAL__N_18offset_tEEE10hipError_tPvRmT1_PNSt15iterator_traitsIS12_E10value_typeET2_T3_PNS13_IS18_E10value_typeET4_jRbjT5_S1E_jjP12ihipStream_tbEUljE_ZNSN_ISO_Lb1ESQ_SR_ST_SU_SY_EESZ_S10_S11_S12_S16_S17_S18_S1B_S1C_jS1D_jS1E_S1E_jjS1G_bEUljE0_EEESZ_S10_S11_S18_S1C_S1E_T6_T7_T9_mT8_S1G_bDpT10_ENKUlT_T0_E_clISt17integral_constantIbLb1EES1T_IbLb0EEEEDaS1P_S1Q_EUlS1P_E_NS1_11comp_targetILNS1_3genE0ELNS1_11target_archE4294967295ELNS1_3gpuE0ELNS1_3repE0EEENS1_30default_config_static_selectorELNS0_4arch9wavefront6targetE0EEEvS12_.private_seg_size, 0
	.set _ZN7rocprim17ROCPRIM_400000_NS6detail17trampoline_kernelINS0_13select_configILj256ELj13ELNS0_17block_load_methodE3ELS4_3ELS4_3ELNS0_20block_scan_algorithmE0ELj4294967295EEENS1_25partition_config_selectorILNS1_17partition_subalgoE4EjNS0_10empty_typeEbEEZZNS1_14partition_implILS8_4ELb0ES6_15HIP_vector_typeIjLj2EENS0_17counting_iteratorIjlEEPS9_SG_NS0_5tupleIJPjSI_NS0_16reverse_iteratorISI_EEEEENSH_IJSG_SG_SG_EEES9_SI_JZNS1_25segmented_radix_sort_implINS0_14default_configELb1EPKbPbPKlPlN2at6native12_GLOBAL__N_18offset_tEEE10hipError_tPvRmT1_PNSt15iterator_traitsIS12_E10value_typeET2_T3_PNS13_IS18_E10value_typeET4_jRbjT5_S1E_jjP12ihipStream_tbEUljE_ZNSN_ISO_Lb1ESQ_SR_ST_SU_SY_EESZ_S10_S11_S12_S16_S17_S18_S1B_S1C_jS1D_jS1E_S1E_jjS1G_bEUljE0_EEESZ_S10_S11_S18_S1C_S1E_T6_T7_T9_mT8_S1G_bDpT10_ENKUlT_T0_E_clISt17integral_constantIbLb1EES1T_IbLb0EEEEDaS1P_S1Q_EUlS1P_E_NS1_11comp_targetILNS1_3genE0ELNS1_11target_archE4294967295ELNS1_3gpuE0ELNS1_3repE0EEENS1_30default_config_static_selectorELNS0_4arch9wavefront6targetE0EEEvS12_.uses_vcc, 0
	.set _ZN7rocprim17ROCPRIM_400000_NS6detail17trampoline_kernelINS0_13select_configILj256ELj13ELNS0_17block_load_methodE3ELS4_3ELS4_3ELNS0_20block_scan_algorithmE0ELj4294967295EEENS1_25partition_config_selectorILNS1_17partition_subalgoE4EjNS0_10empty_typeEbEEZZNS1_14partition_implILS8_4ELb0ES6_15HIP_vector_typeIjLj2EENS0_17counting_iteratorIjlEEPS9_SG_NS0_5tupleIJPjSI_NS0_16reverse_iteratorISI_EEEEENSH_IJSG_SG_SG_EEES9_SI_JZNS1_25segmented_radix_sort_implINS0_14default_configELb1EPKbPbPKlPlN2at6native12_GLOBAL__N_18offset_tEEE10hipError_tPvRmT1_PNSt15iterator_traitsIS12_E10value_typeET2_T3_PNS13_IS18_E10value_typeET4_jRbjT5_S1E_jjP12ihipStream_tbEUljE_ZNSN_ISO_Lb1ESQ_SR_ST_SU_SY_EESZ_S10_S11_S12_S16_S17_S18_S1B_S1C_jS1D_jS1E_S1E_jjS1G_bEUljE0_EEESZ_S10_S11_S18_S1C_S1E_T6_T7_T9_mT8_S1G_bDpT10_ENKUlT_T0_E_clISt17integral_constantIbLb1EES1T_IbLb0EEEEDaS1P_S1Q_EUlS1P_E_NS1_11comp_targetILNS1_3genE0ELNS1_11target_archE4294967295ELNS1_3gpuE0ELNS1_3repE0EEENS1_30default_config_static_selectorELNS0_4arch9wavefront6targetE0EEEvS12_.uses_flat_scratch, 0
	.set _ZN7rocprim17ROCPRIM_400000_NS6detail17trampoline_kernelINS0_13select_configILj256ELj13ELNS0_17block_load_methodE3ELS4_3ELS4_3ELNS0_20block_scan_algorithmE0ELj4294967295EEENS1_25partition_config_selectorILNS1_17partition_subalgoE4EjNS0_10empty_typeEbEEZZNS1_14partition_implILS8_4ELb0ES6_15HIP_vector_typeIjLj2EENS0_17counting_iteratorIjlEEPS9_SG_NS0_5tupleIJPjSI_NS0_16reverse_iteratorISI_EEEEENSH_IJSG_SG_SG_EEES9_SI_JZNS1_25segmented_radix_sort_implINS0_14default_configELb1EPKbPbPKlPlN2at6native12_GLOBAL__N_18offset_tEEE10hipError_tPvRmT1_PNSt15iterator_traitsIS12_E10value_typeET2_T3_PNS13_IS18_E10value_typeET4_jRbjT5_S1E_jjP12ihipStream_tbEUljE_ZNSN_ISO_Lb1ESQ_SR_ST_SU_SY_EESZ_S10_S11_S12_S16_S17_S18_S1B_S1C_jS1D_jS1E_S1E_jjS1G_bEUljE0_EEESZ_S10_S11_S18_S1C_S1E_T6_T7_T9_mT8_S1G_bDpT10_ENKUlT_T0_E_clISt17integral_constantIbLb1EES1T_IbLb0EEEEDaS1P_S1Q_EUlS1P_E_NS1_11comp_targetILNS1_3genE0ELNS1_11target_archE4294967295ELNS1_3gpuE0ELNS1_3repE0EEENS1_30default_config_static_selectorELNS0_4arch9wavefront6targetE0EEEvS12_.has_dyn_sized_stack, 0
	.set _ZN7rocprim17ROCPRIM_400000_NS6detail17trampoline_kernelINS0_13select_configILj256ELj13ELNS0_17block_load_methodE3ELS4_3ELS4_3ELNS0_20block_scan_algorithmE0ELj4294967295EEENS1_25partition_config_selectorILNS1_17partition_subalgoE4EjNS0_10empty_typeEbEEZZNS1_14partition_implILS8_4ELb0ES6_15HIP_vector_typeIjLj2EENS0_17counting_iteratorIjlEEPS9_SG_NS0_5tupleIJPjSI_NS0_16reverse_iteratorISI_EEEEENSH_IJSG_SG_SG_EEES9_SI_JZNS1_25segmented_radix_sort_implINS0_14default_configELb1EPKbPbPKlPlN2at6native12_GLOBAL__N_18offset_tEEE10hipError_tPvRmT1_PNSt15iterator_traitsIS12_E10value_typeET2_T3_PNS13_IS18_E10value_typeET4_jRbjT5_S1E_jjP12ihipStream_tbEUljE_ZNSN_ISO_Lb1ESQ_SR_ST_SU_SY_EESZ_S10_S11_S12_S16_S17_S18_S1B_S1C_jS1D_jS1E_S1E_jjS1G_bEUljE0_EEESZ_S10_S11_S18_S1C_S1E_T6_T7_T9_mT8_S1G_bDpT10_ENKUlT_T0_E_clISt17integral_constantIbLb1EES1T_IbLb0EEEEDaS1P_S1Q_EUlS1P_E_NS1_11comp_targetILNS1_3genE0ELNS1_11target_archE4294967295ELNS1_3gpuE0ELNS1_3repE0EEENS1_30default_config_static_selectorELNS0_4arch9wavefront6targetE0EEEvS12_.has_recursion, 0
	.set _ZN7rocprim17ROCPRIM_400000_NS6detail17trampoline_kernelINS0_13select_configILj256ELj13ELNS0_17block_load_methodE3ELS4_3ELS4_3ELNS0_20block_scan_algorithmE0ELj4294967295EEENS1_25partition_config_selectorILNS1_17partition_subalgoE4EjNS0_10empty_typeEbEEZZNS1_14partition_implILS8_4ELb0ES6_15HIP_vector_typeIjLj2EENS0_17counting_iteratorIjlEEPS9_SG_NS0_5tupleIJPjSI_NS0_16reverse_iteratorISI_EEEEENSH_IJSG_SG_SG_EEES9_SI_JZNS1_25segmented_radix_sort_implINS0_14default_configELb1EPKbPbPKlPlN2at6native12_GLOBAL__N_18offset_tEEE10hipError_tPvRmT1_PNSt15iterator_traitsIS12_E10value_typeET2_T3_PNS13_IS18_E10value_typeET4_jRbjT5_S1E_jjP12ihipStream_tbEUljE_ZNSN_ISO_Lb1ESQ_SR_ST_SU_SY_EESZ_S10_S11_S12_S16_S17_S18_S1B_S1C_jS1D_jS1E_S1E_jjS1G_bEUljE0_EEESZ_S10_S11_S18_S1C_S1E_T6_T7_T9_mT8_S1G_bDpT10_ENKUlT_T0_E_clISt17integral_constantIbLb1EES1T_IbLb0EEEEDaS1P_S1Q_EUlS1P_E_NS1_11comp_targetILNS1_3genE0ELNS1_11target_archE4294967295ELNS1_3gpuE0ELNS1_3repE0EEENS1_30default_config_static_selectorELNS0_4arch9wavefront6targetE0EEEvS12_.has_indirect_call, 0
	.section	.AMDGPU.csdata,"",@progbits
; Kernel info:
; codeLenInByte = 4
; TotalNumSgprs: 0
; NumVgprs: 0
; ScratchSize: 0
; MemoryBound: 0
; FloatMode: 240
; IeeeMode: 1
; LDSByteSize: 0 bytes/workgroup (compile time only)
; SGPRBlocks: 0
; VGPRBlocks: 0
; NumSGPRsForWavesPerEU: 1
; NumVGPRsForWavesPerEU: 1
; NamedBarCnt: 0
; Occupancy: 16
; WaveLimiterHint : 0
; COMPUTE_PGM_RSRC2:SCRATCH_EN: 0
; COMPUTE_PGM_RSRC2:USER_SGPR: 2
; COMPUTE_PGM_RSRC2:TRAP_HANDLER: 0
; COMPUTE_PGM_RSRC2:TGID_X_EN: 1
; COMPUTE_PGM_RSRC2:TGID_Y_EN: 0
; COMPUTE_PGM_RSRC2:TGID_Z_EN: 0
; COMPUTE_PGM_RSRC2:TIDIG_COMP_CNT: 0
	.section	.text._ZN7rocprim17ROCPRIM_400000_NS6detail17trampoline_kernelINS0_13select_configILj256ELj13ELNS0_17block_load_methodE3ELS4_3ELS4_3ELNS0_20block_scan_algorithmE0ELj4294967295EEENS1_25partition_config_selectorILNS1_17partition_subalgoE4EjNS0_10empty_typeEbEEZZNS1_14partition_implILS8_4ELb0ES6_15HIP_vector_typeIjLj2EENS0_17counting_iteratorIjlEEPS9_SG_NS0_5tupleIJPjSI_NS0_16reverse_iteratorISI_EEEEENSH_IJSG_SG_SG_EEES9_SI_JZNS1_25segmented_radix_sort_implINS0_14default_configELb1EPKbPbPKlPlN2at6native12_GLOBAL__N_18offset_tEEE10hipError_tPvRmT1_PNSt15iterator_traitsIS12_E10value_typeET2_T3_PNS13_IS18_E10value_typeET4_jRbjT5_S1E_jjP12ihipStream_tbEUljE_ZNSN_ISO_Lb1ESQ_SR_ST_SU_SY_EESZ_S10_S11_S12_S16_S17_S18_S1B_S1C_jS1D_jS1E_S1E_jjS1G_bEUljE0_EEESZ_S10_S11_S18_S1C_S1E_T6_T7_T9_mT8_S1G_bDpT10_ENKUlT_T0_E_clISt17integral_constantIbLb1EES1T_IbLb0EEEEDaS1P_S1Q_EUlS1P_E_NS1_11comp_targetILNS1_3genE5ELNS1_11target_archE942ELNS1_3gpuE9ELNS1_3repE0EEENS1_30default_config_static_selectorELNS0_4arch9wavefront6targetE0EEEvS12_,"axG",@progbits,_ZN7rocprim17ROCPRIM_400000_NS6detail17trampoline_kernelINS0_13select_configILj256ELj13ELNS0_17block_load_methodE3ELS4_3ELS4_3ELNS0_20block_scan_algorithmE0ELj4294967295EEENS1_25partition_config_selectorILNS1_17partition_subalgoE4EjNS0_10empty_typeEbEEZZNS1_14partition_implILS8_4ELb0ES6_15HIP_vector_typeIjLj2EENS0_17counting_iteratorIjlEEPS9_SG_NS0_5tupleIJPjSI_NS0_16reverse_iteratorISI_EEEEENSH_IJSG_SG_SG_EEES9_SI_JZNS1_25segmented_radix_sort_implINS0_14default_configELb1EPKbPbPKlPlN2at6native12_GLOBAL__N_18offset_tEEE10hipError_tPvRmT1_PNSt15iterator_traitsIS12_E10value_typeET2_T3_PNS13_IS18_E10value_typeET4_jRbjT5_S1E_jjP12ihipStream_tbEUljE_ZNSN_ISO_Lb1ESQ_SR_ST_SU_SY_EESZ_S10_S11_S12_S16_S17_S18_S1B_S1C_jS1D_jS1E_S1E_jjS1G_bEUljE0_EEESZ_S10_S11_S18_S1C_S1E_T6_T7_T9_mT8_S1G_bDpT10_ENKUlT_T0_E_clISt17integral_constantIbLb1EES1T_IbLb0EEEEDaS1P_S1Q_EUlS1P_E_NS1_11comp_targetILNS1_3genE5ELNS1_11target_archE942ELNS1_3gpuE9ELNS1_3repE0EEENS1_30default_config_static_selectorELNS0_4arch9wavefront6targetE0EEEvS12_,comdat
	.globl	_ZN7rocprim17ROCPRIM_400000_NS6detail17trampoline_kernelINS0_13select_configILj256ELj13ELNS0_17block_load_methodE3ELS4_3ELS4_3ELNS0_20block_scan_algorithmE0ELj4294967295EEENS1_25partition_config_selectorILNS1_17partition_subalgoE4EjNS0_10empty_typeEbEEZZNS1_14partition_implILS8_4ELb0ES6_15HIP_vector_typeIjLj2EENS0_17counting_iteratorIjlEEPS9_SG_NS0_5tupleIJPjSI_NS0_16reverse_iteratorISI_EEEEENSH_IJSG_SG_SG_EEES9_SI_JZNS1_25segmented_radix_sort_implINS0_14default_configELb1EPKbPbPKlPlN2at6native12_GLOBAL__N_18offset_tEEE10hipError_tPvRmT1_PNSt15iterator_traitsIS12_E10value_typeET2_T3_PNS13_IS18_E10value_typeET4_jRbjT5_S1E_jjP12ihipStream_tbEUljE_ZNSN_ISO_Lb1ESQ_SR_ST_SU_SY_EESZ_S10_S11_S12_S16_S17_S18_S1B_S1C_jS1D_jS1E_S1E_jjS1G_bEUljE0_EEESZ_S10_S11_S18_S1C_S1E_T6_T7_T9_mT8_S1G_bDpT10_ENKUlT_T0_E_clISt17integral_constantIbLb1EES1T_IbLb0EEEEDaS1P_S1Q_EUlS1P_E_NS1_11comp_targetILNS1_3genE5ELNS1_11target_archE942ELNS1_3gpuE9ELNS1_3repE0EEENS1_30default_config_static_selectorELNS0_4arch9wavefront6targetE0EEEvS12_ ; -- Begin function _ZN7rocprim17ROCPRIM_400000_NS6detail17trampoline_kernelINS0_13select_configILj256ELj13ELNS0_17block_load_methodE3ELS4_3ELS4_3ELNS0_20block_scan_algorithmE0ELj4294967295EEENS1_25partition_config_selectorILNS1_17partition_subalgoE4EjNS0_10empty_typeEbEEZZNS1_14partition_implILS8_4ELb0ES6_15HIP_vector_typeIjLj2EENS0_17counting_iteratorIjlEEPS9_SG_NS0_5tupleIJPjSI_NS0_16reverse_iteratorISI_EEEEENSH_IJSG_SG_SG_EEES9_SI_JZNS1_25segmented_radix_sort_implINS0_14default_configELb1EPKbPbPKlPlN2at6native12_GLOBAL__N_18offset_tEEE10hipError_tPvRmT1_PNSt15iterator_traitsIS12_E10value_typeET2_T3_PNS13_IS18_E10value_typeET4_jRbjT5_S1E_jjP12ihipStream_tbEUljE_ZNSN_ISO_Lb1ESQ_SR_ST_SU_SY_EESZ_S10_S11_S12_S16_S17_S18_S1B_S1C_jS1D_jS1E_S1E_jjS1G_bEUljE0_EEESZ_S10_S11_S18_S1C_S1E_T6_T7_T9_mT8_S1G_bDpT10_ENKUlT_T0_E_clISt17integral_constantIbLb1EES1T_IbLb0EEEEDaS1P_S1Q_EUlS1P_E_NS1_11comp_targetILNS1_3genE5ELNS1_11target_archE942ELNS1_3gpuE9ELNS1_3repE0EEENS1_30default_config_static_selectorELNS0_4arch9wavefront6targetE0EEEvS12_
	.p2align	8
	.type	_ZN7rocprim17ROCPRIM_400000_NS6detail17trampoline_kernelINS0_13select_configILj256ELj13ELNS0_17block_load_methodE3ELS4_3ELS4_3ELNS0_20block_scan_algorithmE0ELj4294967295EEENS1_25partition_config_selectorILNS1_17partition_subalgoE4EjNS0_10empty_typeEbEEZZNS1_14partition_implILS8_4ELb0ES6_15HIP_vector_typeIjLj2EENS0_17counting_iteratorIjlEEPS9_SG_NS0_5tupleIJPjSI_NS0_16reverse_iteratorISI_EEEEENSH_IJSG_SG_SG_EEES9_SI_JZNS1_25segmented_radix_sort_implINS0_14default_configELb1EPKbPbPKlPlN2at6native12_GLOBAL__N_18offset_tEEE10hipError_tPvRmT1_PNSt15iterator_traitsIS12_E10value_typeET2_T3_PNS13_IS18_E10value_typeET4_jRbjT5_S1E_jjP12ihipStream_tbEUljE_ZNSN_ISO_Lb1ESQ_SR_ST_SU_SY_EESZ_S10_S11_S12_S16_S17_S18_S1B_S1C_jS1D_jS1E_S1E_jjS1G_bEUljE0_EEESZ_S10_S11_S18_S1C_S1E_T6_T7_T9_mT8_S1G_bDpT10_ENKUlT_T0_E_clISt17integral_constantIbLb1EES1T_IbLb0EEEEDaS1P_S1Q_EUlS1P_E_NS1_11comp_targetILNS1_3genE5ELNS1_11target_archE942ELNS1_3gpuE9ELNS1_3repE0EEENS1_30default_config_static_selectorELNS0_4arch9wavefront6targetE0EEEvS12_,@function
_ZN7rocprim17ROCPRIM_400000_NS6detail17trampoline_kernelINS0_13select_configILj256ELj13ELNS0_17block_load_methodE3ELS4_3ELS4_3ELNS0_20block_scan_algorithmE0ELj4294967295EEENS1_25partition_config_selectorILNS1_17partition_subalgoE4EjNS0_10empty_typeEbEEZZNS1_14partition_implILS8_4ELb0ES6_15HIP_vector_typeIjLj2EENS0_17counting_iteratorIjlEEPS9_SG_NS0_5tupleIJPjSI_NS0_16reverse_iteratorISI_EEEEENSH_IJSG_SG_SG_EEES9_SI_JZNS1_25segmented_radix_sort_implINS0_14default_configELb1EPKbPbPKlPlN2at6native12_GLOBAL__N_18offset_tEEE10hipError_tPvRmT1_PNSt15iterator_traitsIS12_E10value_typeET2_T3_PNS13_IS18_E10value_typeET4_jRbjT5_S1E_jjP12ihipStream_tbEUljE_ZNSN_ISO_Lb1ESQ_SR_ST_SU_SY_EESZ_S10_S11_S12_S16_S17_S18_S1B_S1C_jS1D_jS1E_S1E_jjS1G_bEUljE0_EEESZ_S10_S11_S18_S1C_S1E_T6_T7_T9_mT8_S1G_bDpT10_ENKUlT_T0_E_clISt17integral_constantIbLb1EES1T_IbLb0EEEEDaS1P_S1Q_EUlS1P_E_NS1_11comp_targetILNS1_3genE5ELNS1_11target_archE942ELNS1_3gpuE9ELNS1_3repE0EEENS1_30default_config_static_selectorELNS0_4arch9wavefront6targetE0EEEvS12_: ; @_ZN7rocprim17ROCPRIM_400000_NS6detail17trampoline_kernelINS0_13select_configILj256ELj13ELNS0_17block_load_methodE3ELS4_3ELS4_3ELNS0_20block_scan_algorithmE0ELj4294967295EEENS1_25partition_config_selectorILNS1_17partition_subalgoE4EjNS0_10empty_typeEbEEZZNS1_14partition_implILS8_4ELb0ES6_15HIP_vector_typeIjLj2EENS0_17counting_iteratorIjlEEPS9_SG_NS0_5tupleIJPjSI_NS0_16reverse_iteratorISI_EEEEENSH_IJSG_SG_SG_EEES9_SI_JZNS1_25segmented_radix_sort_implINS0_14default_configELb1EPKbPbPKlPlN2at6native12_GLOBAL__N_18offset_tEEE10hipError_tPvRmT1_PNSt15iterator_traitsIS12_E10value_typeET2_T3_PNS13_IS18_E10value_typeET4_jRbjT5_S1E_jjP12ihipStream_tbEUljE_ZNSN_ISO_Lb1ESQ_SR_ST_SU_SY_EESZ_S10_S11_S12_S16_S17_S18_S1B_S1C_jS1D_jS1E_S1E_jjS1G_bEUljE0_EEESZ_S10_S11_S18_S1C_S1E_T6_T7_T9_mT8_S1G_bDpT10_ENKUlT_T0_E_clISt17integral_constantIbLb1EES1T_IbLb0EEEEDaS1P_S1Q_EUlS1P_E_NS1_11comp_targetILNS1_3genE5ELNS1_11target_archE942ELNS1_3gpuE9ELNS1_3repE0EEENS1_30default_config_static_selectorELNS0_4arch9wavefront6targetE0EEEvS12_
; %bb.0:
	.section	.rodata,"a",@progbits
	.p2align	6, 0x0
	.amdhsa_kernel _ZN7rocprim17ROCPRIM_400000_NS6detail17trampoline_kernelINS0_13select_configILj256ELj13ELNS0_17block_load_methodE3ELS4_3ELS4_3ELNS0_20block_scan_algorithmE0ELj4294967295EEENS1_25partition_config_selectorILNS1_17partition_subalgoE4EjNS0_10empty_typeEbEEZZNS1_14partition_implILS8_4ELb0ES6_15HIP_vector_typeIjLj2EENS0_17counting_iteratorIjlEEPS9_SG_NS0_5tupleIJPjSI_NS0_16reverse_iteratorISI_EEEEENSH_IJSG_SG_SG_EEES9_SI_JZNS1_25segmented_radix_sort_implINS0_14default_configELb1EPKbPbPKlPlN2at6native12_GLOBAL__N_18offset_tEEE10hipError_tPvRmT1_PNSt15iterator_traitsIS12_E10value_typeET2_T3_PNS13_IS18_E10value_typeET4_jRbjT5_S1E_jjP12ihipStream_tbEUljE_ZNSN_ISO_Lb1ESQ_SR_ST_SU_SY_EESZ_S10_S11_S12_S16_S17_S18_S1B_S1C_jS1D_jS1E_S1E_jjS1G_bEUljE0_EEESZ_S10_S11_S18_S1C_S1E_T6_T7_T9_mT8_S1G_bDpT10_ENKUlT_T0_E_clISt17integral_constantIbLb1EES1T_IbLb0EEEEDaS1P_S1Q_EUlS1P_E_NS1_11comp_targetILNS1_3genE5ELNS1_11target_archE942ELNS1_3gpuE9ELNS1_3repE0EEENS1_30default_config_static_selectorELNS0_4arch9wavefront6targetE0EEEvS12_
		.amdhsa_group_segment_fixed_size 0
		.amdhsa_private_segment_fixed_size 0
		.amdhsa_kernarg_size 176
		.amdhsa_user_sgpr_count 2
		.amdhsa_user_sgpr_dispatch_ptr 0
		.amdhsa_user_sgpr_queue_ptr 0
		.amdhsa_user_sgpr_kernarg_segment_ptr 1
		.amdhsa_user_sgpr_dispatch_id 0
		.amdhsa_user_sgpr_kernarg_preload_length 0
		.amdhsa_user_sgpr_kernarg_preload_offset 0
		.amdhsa_user_sgpr_private_segment_size 0
		.amdhsa_wavefront_size32 1
		.amdhsa_uses_dynamic_stack 0
		.amdhsa_enable_private_segment 0
		.amdhsa_system_sgpr_workgroup_id_x 1
		.amdhsa_system_sgpr_workgroup_id_y 0
		.amdhsa_system_sgpr_workgroup_id_z 0
		.amdhsa_system_sgpr_workgroup_info 0
		.amdhsa_system_vgpr_workitem_id 0
		.amdhsa_next_free_vgpr 1
		.amdhsa_next_free_sgpr 1
		.amdhsa_named_barrier_count 0
		.amdhsa_reserve_vcc 0
		.amdhsa_float_round_mode_32 0
		.amdhsa_float_round_mode_16_64 0
		.amdhsa_float_denorm_mode_32 3
		.amdhsa_float_denorm_mode_16_64 3
		.amdhsa_fp16_overflow 0
		.amdhsa_memory_ordered 1
		.amdhsa_forward_progress 1
		.amdhsa_inst_pref_size 0
		.amdhsa_round_robin_scheduling 0
		.amdhsa_exception_fp_ieee_invalid_op 0
		.amdhsa_exception_fp_denorm_src 0
		.amdhsa_exception_fp_ieee_div_zero 0
		.amdhsa_exception_fp_ieee_overflow 0
		.amdhsa_exception_fp_ieee_underflow 0
		.amdhsa_exception_fp_ieee_inexact 0
		.amdhsa_exception_int_div_zero 0
	.end_amdhsa_kernel
	.section	.text._ZN7rocprim17ROCPRIM_400000_NS6detail17trampoline_kernelINS0_13select_configILj256ELj13ELNS0_17block_load_methodE3ELS4_3ELS4_3ELNS0_20block_scan_algorithmE0ELj4294967295EEENS1_25partition_config_selectorILNS1_17partition_subalgoE4EjNS0_10empty_typeEbEEZZNS1_14partition_implILS8_4ELb0ES6_15HIP_vector_typeIjLj2EENS0_17counting_iteratorIjlEEPS9_SG_NS0_5tupleIJPjSI_NS0_16reverse_iteratorISI_EEEEENSH_IJSG_SG_SG_EEES9_SI_JZNS1_25segmented_radix_sort_implINS0_14default_configELb1EPKbPbPKlPlN2at6native12_GLOBAL__N_18offset_tEEE10hipError_tPvRmT1_PNSt15iterator_traitsIS12_E10value_typeET2_T3_PNS13_IS18_E10value_typeET4_jRbjT5_S1E_jjP12ihipStream_tbEUljE_ZNSN_ISO_Lb1ESQ_SR_ST_SU_SY_EESZ_S10_S11_S12_S16_S17_S18_S1B_S1C_jS1D_jS1E_S1E_jjS1G_bEUljE0_EEESZ_S10_S11_S18_S1C_S1E_T6_T7_T9_mT8_S1G_bDpT10_ENKUlT_T0_E_clISt17integral_constantIbLb1EES1T_IbLb0EEEEDaS1P_S1Q_EUlS1P_E_NS1_11comp_targetILNS1_3genE5ELNS1_11target_archE942ELNS1_3gpuE9ELNS1_3repE0EEENS1_30default_config_static_selectorELNS0_4arch9wavefront6targetE0EEEvS12_,"axG",@progbits,_ZN7rocprim17ROCPRIM_400000_NS6detail17trampoline_kernelINS0_13select_configILj256ELj13ELNS0_17block_load_methodE3ELS4_3ELS4_3ELNS0_20block_scan_algorithmE0ELj4294967295EEENS1_25partition_config_selectorILNS1_17partition_subalgoE4EjNS0_10empty_typeEbEEZZNS1_14partition_implILS8_4ELb0ES6_15HIP_vector_typeIjLj2EENS0_17counting_iteratorIjlEEPS9_SG_NS0_5tupleIJPjSI_NS0_16reverse_iteratorISI_EEEEENSH_IJSG_SG_SG_EEES9_SI_JZNS1_25segmented_radix_sort_implINS0_14default_configELb1EPKbPbPKlPlN2at6native12_GLOBAL__N_18offset_tEEE10hipError_tPvRmT1_PNSt15iterator_traitsIS12_E10value_typeET2_T3_PNS13_IS18_E10value_typeET4_jRbjT5_S1E_jjP12ihipStream_tbEUljE_ZNSN_ISO_Lb1ESQ_SR_ST_SU_SY_EESZ_S10_S11_S12_S16_S17_S18_S1B_S1C_jS1D_jS1E_S1E_jjS1G_bEUljE0_EEESZ_S10_S11_S18_S1C_S1E_T6_T7_T9_mT8_S1G_bDpT10_ENKUlT_T0_E_clISt17integral_constantIbLb1EES1T_IbLb0EEEEDaS1P_S1Q_EUlS1P_E_NS1_11comp_targetILNS1_3genE5ELNS1_11target_archE942ELNS1_3gpuE9ELNS1_3repE0EEENS1_30default_config_static_selectorELNS0_4arch9wavefront6targetE0EEEvS12_,comdat
.Lfunc_end1477:
	.size	_ZN7rocprim17ROCPRIM_400000_NS6detail17trampoline_kernelINS0_13select_configILj256ELj13ELNS0_17block_load_methodE3ELS4_3ELS4_3ELNS0_20block_scan_algorithmE0ELj4294967295EEENS1_25partition_config_selectorILNS1_17partition_subalgoE4EjNS0_10empty_typeEbEEZZNS1_14partition_implILS8_4ELb0ES6_15HIP_vector_typeIjLj2EENS0_17counting_iteratorIjlEEPS9_SG_NS0_5tupleIJPjSI_NS0_16reverse_iteratorISI_EEEEENSH_IJSG_SG_SG_EEES9_SI_JZNS1_25segmented_radix_sort_implINS0_14default_configELb1EPKbPbPKlPlN2at6native12_GLOBAL__N_18offset_tEEE10hipError_tPvRmT1_PNSt15iterator_traitsIS12_E10value_typeET2_T3_PNS13_IS18_E10value_typeET4_jRbjT5_S1E_jjP12ihipStream_tbEUljE_ZNSN_ISO_Lb1ESQ_SR_ST_SU_SY_EESZ_S10_S11_S12_S16_S17_S18_S1B_S1C_jS1D_jS1E_S1E_jjS1G_bEUljE0_EEESZ_S10_S11_S18_S1C_S1E_T6_T7_T9_mT8_S1G_bDpT10_ENKUlT_T0_E_clISt17integral_constantIbLb1EES1T_IbLb0EEEEDaS1P_S1Q_EUlS1P_E_NS1_11comp_targetILNS1_3genE5ELNS1_11target_archE942ELNS1_3gpuE9ELNS1_3repE0EEENS1_30default_config_static_selectorELNS0_4arch9wavefront6targetE0EEEvS12_, .Lfunc_end1477-_ZN7rocprim17ROCPRIM_400000_NS6detail17trampoline_kernelINS0_13select_configILj256ELj13ELNS0_17block_load_methodE3ELS4_3ELS4_3ELNS0_20block_scan_algorithmE0ELj4294967295EEENS1_25partition_config_selectorILNS1_17partition_subalgoE4EjNS0_10empty_typeEbEEZZNS1_14partition_implILS8_4ELb0ES6_15HIP_vector_typeIjLj2EENS0_17counting_iteratorIjlEEPS9_SG_NS0_5tupleIJPjSI_NS0_16reverse_iteratorISI_EEEEENSH_IJSG_SG_SG_EEES9_SI_JZNS1_25segmented_radix_sort_implINS0_14default_configELb1EPKbPbPKlPlN2at6native12_GLOBAL__N_18offset_tEEE10hipError_tPvRmT1_PNSt15iterator_traitsIS12_E10value_typeET2_T3_PNS13_IS18_E10value_typeET4_jRbjT5_S1E_jjP12ihipStream_tbEUljE_ZNSN_ISO_Lb1ESQ_SR_ST_SU_SY_EESZ_S10_S11_S12_S16_S17_S18_S1B_S1C_jS1D_jS1E_S1E_jjS1G_bEUljE0_EEESZ_S10_S11_S18_S1C_S1E_T6_T7_T9_mT8_S1G_bDpT10_ENKUlT_T0_E_clISt17integral_constantIbLb1EES1T_IbLb0EEEEDaS1P_S1Q_EUlS1P_E_NS1_11comp_targetILNS1_3genE5ELNS1_11target_archE942ELNS1_3gpuE9ELNS1_3repE0EEENS1_30default_config_static_selectorELNS0_4arch9wavefront6targetE0EEEvS12_
                                        ; -- End function
	.set _ZN7rocprim17ROCPRIM_400000_NS6detail17trampoline_kernelINS0_13select_configILj256ELj13ELNS0_17block_load_methodE3ELS4_3ELS4_3ELNS0_20block_scan_algorithmE0ELj4294967295EEENS1_25partition_config_selectorILNS1_17partition_subalgoE4EjNS0_10empty_typeEbEEZZNS1_14partition_implILS8_4ELb0ES6_15HIP_vector_typeIjLj2EENS0_17counting_iteratorIjlEEPS9_SG_NS0_5tupleIJPjSI_NS0_16reverse_iteratorISI_EEEEENSH_IJSG_SG_SG_EEES9_SI_JZNS1_25segmented_radix_sort_implINS0_14default_configELb1EPKbPbPKlPlN2at6native12_GLOBAL__N_18offset_tEEE10hipError_tPvRmT1_PNSt15iterator_traitsIS12_E10value_typeET2_T3_PNS13_IS18_E10value_typeET4_jRbjT5_S1E_jjP12ihipStream_tbEUljE_ZNSN_ISO_Lb1ESQ_SR_ST_SU_SY_EESZ_S10_S11_S12_S16_S17_S18_S1B_S1C_jS1D_jS1E_S1E_jjS1G_bEUljE0_EEESZ_S10_S11_S18_S1C_S1E_T6_T7_T9_mT8_S1G_bDpT10_ENKUlT_T0_E_clISt17integral_constantIbLb1EES1T_IbLb0EEEEDaS1P_S1Q_EUlS1P_E_NS1_11comp_targetILNS1_3genE5ELNS1_11target_archE942ELNS1_3gpuE9ELNS1_3repE0EEENS1_30default_config_static_selectorELNS0_4arch9wavefront6targetE0EEEvS12_.num_vgpr, 0
	.set _ZN7rocprim17ROCPRIM_400000_NS6detail17trampoline_kernelINS0_13select_configILj256ELj13ELNS0_17block_load_methodE3ELS4_3ELS4_3ELNS0_20block_scan_algorithmE0ELj4294967295EEENS1_25partition_config_selectorILNS1_17partition_subalgoE4EjNS0_10empty_typeEbEEZZNS1_14partition_implILS8_4ELb0ES6_15HIP_vector_typeIjLj2EENS0_17counting_iteratorIjlEEPS9_SG_NS0_5tupleIJPjSI_NS0_16reverse_iteratorISI_EEEEENSH_IJSG_SG_SG_EEES9_SI_JZNS1_25segmented_radix_sort_implINS0_14default_configELb1EPKbPbPKlPlN2at6native12_GLOBAL__N_18offset_tEEE10hipError_tPvRmT1_PNSt15iterator_traitsIS12_E10value_typeET2_T3_PNS13_IS18_E10value_typeET4_jRbjT5_S1E_jjP12ihipStream_tbEUljE_ZNSN_ISO_Lb1ESQ_SR_ST_SU_SY_EESZ_S10_S11_S12_S16_S17_S18_S1B_S1C_jS1D_jS1E_S1E_jjS1G_bEUljE0_EEESZ_S10_S11_S18_S1C_S1E_T6_T7_T9_mT8_S1G_bDpT10_ENKUlT_T0_E_clISt17integral_constantIbLb1EES1T_IbLb0EEEEDaS1P_S1Q_EUlS1P_E_NS1_11comp_targetILNS1_3genE5ELNS1_11target_archE942ELNS1_3gpuE9ELNS1_3repE0EEENS1_30default_config_static_selectorELNS0_4arch9wavefront6targetE0EEEvS12_.num_agpr, 0
	.set _ZN7rocprim17ROCPRIM_400000_NS6detail17trampoline_kernelINS0_13select_configILj256ELj13ELNS0_17block_load_methodE3ELS4_3ELS4_3ELNS0_20block_scan_algorithmE0ELj4294967295EEENS1_25partition_config_selectorILNS1_17partition_subalgoE4EjNS0_10empty_typeEbEEZZNS1_14partition_implILS8_4ELb0ES6_15HIP_vector_typeIjLj2EENS0_17counting_iteratorIjlEEPS9_SG_NS0_5tupleIJPjSI_NS0_16reverse_iteratorISI_EEEEENSH_IJSG_SG_SG_EEES9_SI_JZNS1_25segmented_radix_sort_implINS0_14default_configELb1EPKbPbPKlPlN2at6native12_GLOBAL__N_18offset_tEEE10hipError_tPvRmT1_PNSt15iterator_traitsIS12_E10value_typeET2_T3_PNS13_IS18_E10value_typeET4_jRbjT5_S1E_jjP12ihipStream_tbEUljE_ZNSN_ISO_Lb1ESQ_SR_ST_SU_SY_EESZ_S10_S11_S12_S16_S17_S18_S1B_S1C_jS1D_jS1E_S1E_jjS1G_bEUljE0_EEESZ_S10_S11_S18_S1C_S1E_T6_T7_T9_mT8_S1G_bDpT10_ENKUlT_T0_E_clISt17integral_constantIbLb1EES1T_IbLb0EEEEDaS1P_S1Q_EUlS1P_E_NS1_11comp_targetILNS1_3genE5ELNS1_11target_archE942ELNS1_3gpuE9ELNS1_3repE0EEENS1_30default_config_static_selectorELNS0_4arch9wavefront6targetE0EEEvS12_.numbered_sgpr, 0
	.set _ZN7rocprim17ROCPRIM_400000_NS6detail17trampoline_kernelINS0_13select_configILj256ELj13ELNS0_17block_load_methodE3ELS4_3ELS4_3ELNS0_20block_scan_algorithmE0ELj4294967295EEENS1_25partition_config_selectorILNS1_17partition_subalgoE4EjNS0_10empty_typeEbEEZZNS1_14partition_implILS8_4ELb0ES6_15HIP_vector_typeIjLj2EENS0_17counting_iteratorIjlEEPS9_SG_NS0_5tupleIJPjSI_NS0_16reverse_iteratorISI_EEEEENSH_IJSG_SG_SG_EEES9_SI_JZNS1_25segmented_radix_sort_implINS0_14default_configELb1EPKbPbPKlPlN2at6native12_GLOBAL__N_18offset_tEEE10hipError_tPvRmT1_PNSt15iterator_traitsIS12_E10value_typeET2_T3_PNS13_IS18_E10value_typeET4_jRbjT5_S1E_jjP12ihipStream_tbEUljE_ZNSN_ISO_Lb1ESQ_SR_ST_SU_SY_EESZ_S10_S11_S12_S16_S17_S18_S1B_S1C_jS1D_jS1E_S1E_jjS1G_bEUljE0_EEESZ_S10_S11_S18_S1C_S1E_T6_T7_T9_mT8_S1G_bDpT10_ENKUlT_T0_E_clISt17integral_constantIbLb1EES1T_IbLb0EEEEDaS1P_S1Q_EUlS1P_E_NS1_11comp_targetILNS1_3genE5ELNS1_11target_archE942ELNS1_3gpuE9ELNS1_3repE0EEENS1_30default_config_static_selectorELNS0_4arch9wavefront6targetE0EEEvS12_.num_named_barrier, 0
	.set _ZN7rocprim17ROCPRIM_400000_NS6detail17trampoline_kernelINS0_13select_configILj256ELj13ELNS0_17block_load_methodE3ELS4_3ELS4_3ELNS0_20block_scan_algorithmE0ELj4294967295EEENS1_25partition_config_selectorILNS1_17partition_subalgoE4EjNS0_10empty_typeEbEEZZNS1_14partition_implILS8_4ELb0ES6_15HIP_vector_typeIjLj2EENS0_17counting_iteratorIjlEEPS9_SG_NS0_5tupleIJPjSI_NS0_16reverse_iteratorISI_EEEEENSH_IJSG_SG_SG_EEES9_SI_JZNS1_25segmented_radix_sort_implINS0_14default_configELb1EPKbPbPKlPlN2at6native12_GLOBAL__N_18offset_tEEE10hipError_tPvRmT1_PNSt15iterator_traitsIS12_E10value_typeET2_T3_PNS13_IS18_E10value_typeET4_jRbjT5_S1E_jjP12ihipStream_tbEUljE_ZNSN_ISO_Lb1ESQ_SR_ST_SU_SY_EESZ_S10_S11_S12_S16_S17_S18_S1B_S1C_jS1D_jS1E_S1E_jjS1G_bEUljE0_EEESZ_S10_S11_S18_S1C_S1E_T6_T7_T9_mT8_S1G_bDpT10_ENKUlT_T0_E_clISt17integral_constantIbLb1EES1T_IbLb0EEEEDaS1P_S1Q_EUlS1P_E_NS1_11comp_targetILNS1_3genE5ELNS1_11target_archE942ELNS1_3gpuE9ELNS1_3repE0EEENS1_30default_config_static_selectorELNS0_4arch9wavefront6targetE0EEEvS12_.private_seg_size, 0
	.set _ZN7rocprim17ROCPRIM_400000_NS6detail17trampoline_kernelINS0_13select_configILj256ELj13ELNS0_17block_load_methodE3ELS4_3ELS4_3ELNS0_20block_scan_algorithmE0ELj4294967295EEENS1_25partition_config_selectorILNS1_17partition_subalgoE4EjNS0_10empty_typeEbEEZZNS1_14partition_implILS8_4ELb0ES6_15HIP_vector_typeIjLj2EENS0_17counting_iteratorIjlEEPS9_SG_NS0_5tupleIJPjSI_NS0_16reverse_iteratorISI_EEEEENSH_IJSG_SG_SG_EEES9_SI_JZNS1_25segmented_radix_sort_implINS0_14default_configELb1EPKbPbPKlPlN2at6native12_GLOBAL__N_18offset_tEEE10hipError_tPvRmT1_PNSt15iterator_traitsIS12_E10value_typeET2_T3_PNS13_IS18_E10value_typeET4_jRbjT5_S1E_jjP12ihipStream_tbEUljE_ZNSN_ISO_Lb1ESQ_SR_ST_SU_SY_EESZ_S10_S11_S12_S16_S17_S18_S1B_S1C_jS1D_jS1E_S1E_jjS1G_bEUljE0_EEESZ_S10_S11_S18_S1C_S1E_T6_T7_T9_mT8_S1G_bDpT10_ENKUlT_T0_E_clISt17integral_constantIbLb1EES1T_IbLb0EEEEDaS1P_S1Q_EUlS1P_E_NS1_11comp_targetILNS1_3genE5ELNS1_11target_archE942ELNS1_3gpuE9ELNS1_3repE0EEENS1_30default_config_static_selectorELNS0_4arch9wavefront6targetE0EEEvS12_.uses_vcc, 0
	.set _ZN7rocprim17ROCPRIM_400000_NS6detail17trampoline_kernelINS0_13select_configILj256ELj13ELNS0_17block_load_methodE3ELS4_3ELS4_3ELNS0_20block_scan_algorithmE0ELj4294967295EEENS1_25partition_config_selectorILNS1_17partition_subalgoE4EjNS0_10empty_typeEbEEZZNS1_14partition_implILS8_4ELb0ES6_15HIP_vector_typeIjLj2EENS0_17counting_iteratorIjlEEPS9_SG_NS0_5tupleIJPjSI_NS0_16reverse_iteratorISI_EEEEENSH_IJSG_SG_SG_EEES9_SI_JZNS1_25segmented_radix_sort_implINS0_14default_configELb1EPKbPbPKlPlN2at6native12_GLOBAL__N_18offset_tEEE10hipError_tPvRmT1_PNSt15iterator_traitsIS12_E10value_typeET2_T3_PNS13_IS18_E10value_typeET4_jRbjT5_S1E_jjP12ihipStream_tbEUljE_ZNSN_ISO_Lb1ESQ_SR_ST_SU_SY_EESZ_S10_S11_S12_S16_S17_S18_S1B_S1C_jS1D_jS1E_S1E_jjS1G_bEUljE0_EEESZ_S10_S11_S18_S1C_S1E_T6_T7_T9_mT8_S1G_bDpT10_ENKUlT_T0_E_clISt17integral_constantIbLb1EES1T_IbLb0EEEEDaS1P_S1Q_EUlS1P_E_NS1_11comp_targetILNS1_3genE5ELNS1_11target_archE942ELNS1_3gpuE9ELNS1_3repE0EEENS1_30default_config_static_selectorELNS0_4arch9wavefront6targetE0EEEvS12_.uses_flat_scratch, 0
	.set _ZN7rocprim17ROCPRIM_400000_NS6detail17trampoline_kernelINS0_13select_configILj256ELj13ELNS0_17block_load_methodE3ELS4_3ELS4_3ELNS0_20block_scan_algorithmE0ELj4294967295EEENS1_25partition_config_selectorILNS1_17partition_subalgoE4EjNS0_10empty_typeEbEEZZNS1_14partition_implILS8_4ELb0ES6_15HIP_vector_typeIjLj2EENS0_17counting_iteratorIjlEEPS9_SG_NS0_5tupleIJPjSI_NS0_16reverse_iteratorISI_EEEEENSH_IJSG_SG_SG_EEES9_SI_JZNS1_25segmented_radix_sort_implINS0_14default_configELb1EPKbPbPKlPlN2at6native12_GLOBAL__N_18offset_tEEE10hipError_tPvRmT1_PNSt15iterator_traitsIS12_E10value_typeET2_T3_PNS13_IS18_E10value_typeET4_jRbjT5_S1E_jjP12ihipStream_tbEUljE_ZNSN_ISO_Lb1ESQ_SR_ST_SU_SY_EESZ_S10_S11_S12_S16_S17_S18_S1B_S1C_jS1D_jS1E_S1E_jjS1G_bEUljE0_EEESZ_S10_S11_S18_S1C_S1E_T6_T7_T9_mT8_S1G_bDpT10_ENKUlT_T0_E_clISt17integral_constantIbLb1EES1T_IbLb0EEEEDaS1P_S1Q_EUlS1P_E_NS1_11comp_targetILNS1_3genE5ELNS1_11target_archE942ELNS1_3gpuE9ELNS1_3repE0EEENS1_30default_config_static_selectorELNS0_4arch9wavefront6targetE0EEEvS12_.has_dyn_sized_stack, 0
	.set _ZN7rocprim17ROCPRIM_400000_NS6detail17trampoline_kernelINS0_13select_configILj256ELj13ELNS0_17block_load_methodE3ELS4_3ELS4_3ELNS0_20block_scan_algorithmE0ELj4294967295EEENS1_25partition_config_selectorILNS1_17partition_subalgoE4EjNS0_10empty_typeEbEEZZNS1_14partition_implILS8_4ELb0ES6_15HIP_vector_typeIjLj2EENS0_17counting_iteratorIjlEEPS9_SG_NS0_5tupleIJPjSI_NS0_16reverse_iteratorISI_EEEEENSH_IJSG_SG_SG_EEES9_SI_JZNS1_25segmented_radix_sort_implINS0_14default_configELb1EPKbPbPKlPlN2at6native12_GLOBAL__N_18offset_tEEE10hipError_tPvRmT1_PNSt15iterator_traitsIS12_E10value_typeET2_T3_PNS13_IS18_E10value_typeET4_jRbjT5_S1E_jjP12ihipStream_tbEUljE_ZNSN_ISO_Lb1ESQ_SR_ST_SU_SY_EESZ_S10_S11_S12_S16_S17_S18_S1B_S1C_jS1D_jS1E_S1E_jjS1G_bEUljE0_EEESZ_S10_S11_S18_S1C_S1E_T6_T7_T9_mT8_S1G_bDpT10_ENKUlT_T0_E_clISt17integral_constantIbLb1EES1T_IbLb0EEEEDaS1P_S1Q_EUlS1P_E_NS1_11comp_targetILNS1_3genE5ELNS1_11target_archE942ELNS1_3gpuE9ELNS1_3repE0EEENS1_30default_config_static_selectorELNS0_4arch9wavefront6targetE0EEEvS12_.has_recursion, 0
	.set _ZN7rocprim17ROCPRIM_400000_NS6detail17trampoline_kernelINS0_13select_configILj256ELj13ELNS0_17block_load_methodE3ELS4_3ELS4_3ELNS0_20block_scan_algorithmE0ELj4294967295EEENS1_25partition_config_selectorILNS1_17partition_subalgoE4EjNS0_10empty_typeEbEEZZNS1_14partition_implILS8_4ELb0ES6_15HIP_vector_typeIjLj2EENS0_17counting_iteratorIjlEEPS9_SG_NS0_5tupleIJPjSI_NS0_16reverse_iteratorISI_EEEEENSH_IJSG_SG_SG_EEES9_SI_JZNS1_25segmented_radix_sort_implINS0_14default_configELb1EPKbPbPKlPlN2at6native12_GLOBAL__N_18offset_tEEE10hipError_tPvRmT1_PNSt15iterator_traitsIS12_E10value_typeET2_T3_PNS13_IS18_E10value_typeET4_jRbjT5_S1E_jjP12ihipStream_tbEUljE_ZNSN_ISO_Lb1ESQ_SR_ST_SU_SY_EESZ_S10_S11_S12_S16_S17_S18_S1B_S1C_jS1D_jS1E_S1E_jjS1G_bEUljE0_EEESZ_S10_S11_S18_S1C_S1E_T6_T7_T9_mT8_S1G_bDpT10_ENKUlT_T0_E_clISt17integral_constantIbLb1EES1T_IbLb0EEEEDaS1P_S1Q_EUlS1P_E_NS1_11comp_targetILNS1_3genE5ELNS1_11target_archE942ELNS1_3gpuE9ELNS1_3repE0EEENS1_30default_config_static_selectorELNS0_4arch9wavefront6targetE0EEEvS12_.has_indirect_call, 0
	.section	.AMDGPU.csdata,"",@progbits
; Kernel info:
; codeLenInByte = 0
; TotalNumSgprs: 0
; NumVgprs: 0
; ScratchSize: 0
; MemoryBound: 0
; FloatMode: 240
; IeeeMode: 1
; LDSByteSize: 0 bytes/workgroup (compile time only)
; SGPRBlocks: 0
; VGPRBlocks: 0
; NumSGPRsForWavesPerEU: 1
; NumVGPRsForWavesPerEU: 1
; NamedBarCnt: 0
; Occupancy: 16
; WaveLimiterHint : 0
; COMPUTE_PGM_RSRC2:SCRATCH_EN: 0
; COMPUTE_PGM_RSRC2:USER_SGPR: 2
; COMPUTE_PGM_RSRC2:TRAP_HANDLER: 0
; COMPUTE_PGM_RSRC2:TGID_X_EN: 1
; COMPUTE_PGM_RSRC2:TGID_Y_EN: 0
; COMPUTE_PGM_RSRC2:TGID_Z_EN: 0
; COMPUTE_PGM_RSRC2:TIDIG_COMP_CNT: 0
	.section	.text._ZN7rocprim17ROCPRIM_400000_NS6detail17trampoline_kernelINS0_13select_configILj256ELj13ELNS0_17block_load_methodE3ELS4_3ELS4_3ELNS0_20block_scan_algorithmE0ELj4294967295EEENS1_25partition_config_selectorILNS1_17partition_subalgoE4EjNS0_10empty_typeEbEEZZNS1_14partition_implILS8_4ELb0ES6_15HIP_vector_typeIjLj2EENS0_17counting_iteratorIjlEEPS9_SG_NS0_5tupleIJPjSI_NS0_16reverse_iteratorISI_EEEEENSH_IJSG_SG_SG_EEES9_SI_JZNS1_25segmented_radix_sort_implINS0_14default_configELb1EPKbPbPKlPlN2at6native12_GLOBAL__N_18offset_tEEE10hipError_tPvRmT1_PNSt15iterator_traitsIS12_E10value_typeET2_T3_PNS13_IS18_E10value_typeET4_jRbjT5_S1E_jjP12ihipStream_tbEUljE_ZNSN_ISO_Lb1ESQ_SR_ST_SU_SY_EESZ_S10_S11_S12_S16_S17_S18_S1B_S1C_jS1D_jS1E_S1E_jjS1G_bEUljE0_EEESZ_S10_S11_S18_S1C_S1E_T6_T7_T9_mT8_S1G_bDpT10_ENKUlT_T0_E_clISt17integral_constantIbLb1EES1T_IbLb0EEEEDaS1P_S1Q_EUlS1P_E_NS1_11comp_targetILNS1_3genE4ELNS1_11target_archE910ELNS1_3gpuE8ELNS1_3repE0EEENS1_30default_config_static_selectorELNS0_4arch9wavefront6targetE0EEEvS12_,"axG",@progbits,_ZN7rocprim17ROCPRIM_400000_NS6detail17trampoline_kernelINS0_13select_configILj256ELj13ELNS0_17block_load_methodE3ELS4_3ELS4_3ELNS0_20block_scan_algorithmE0ELj4294967295EEENS1_25partition_config_selectorILNS1_17partition_subalgoE4EjNS0_10empty_typeEbEEZZNS1_14partition_implILS8_4ELb0ES6_15HIP_vector_typeIjLj2EENS0_17counting_iteratorIjlEEPS9_SG_NS0_5tupleIJPjSI_NS0_16reverse_iteratorISI_EEEEENSH_IJSG_SG_SG_EEES9_SI_JZNS1_25segmented_radix_sort_implINS0_14default_configELb1EPKbPbPKlPlN2at6native12_GLOBAL__N_18offset_tEEE10hipError_tPvRmT1_PNSt15iterator_traitsIS12_E10value_typeET2_T3_PNS13_IS18_E10value_typeET4_jRbjT5_S1E_jjP12ihipStream_tbEUljE_ZNSN_ISO_Lb1ESQ_SR_ST_SU_SY_EESZ_S10_S11_S12_S16_S17_S18_S1B_S1C_jS1D_jS1E_S1E_jjS1G_bEUljE0_EEESZ_S10_S11_S18_S1C_S1E_T6_T7_T9_mT8_S1G_bDpT10_ENKUlT_T0_E_clISt17integral_constantIbLb1EES1T_IbLb0EEEEDaS1P_S1Q_EUlS1P_E_NS1_11comp_targetILNS1_3genE4ELNS1_11target_archE910ELNS1_3gpuE8ELNS1_3repE0EEENS1_30default_config_static_selectorELNS0_4arch9wavefront6targetE0EEEvS12_,comdat
	.globl	_ZN7rocprim17ROCPRIM_400000_NS6detail17trampoline_kernelINS0_13select_configILj256ELj13ELNS0_17block_load_methodE3ELS4_3ELS4_3ELNS0_20block_scan_algorithmE0ELj4294967295EEENS1_25partition_config_selectorILNS1_17partition_subalgoE4EjNS0_10empty_typeEbEEZZNS1_14partition_implILS8_4ELb0ES6_15HIP_vector_typeIjLj2EENS0_17counting_iteratorIjlEEPS9_SG_NS0_5tupleIJPjSI_NS0_16reverse_iteratorISI_EEEEENSH_IJSG_SG_SG_EEES9_SI_JZNS1_25segmented_radix_sort_implINS0_14default_configELb1EPKbPbPKlPlN2at6native12_GLOBAL__N_18offset_tEEE10hipError_tPvRmT1_PNSt15iterator_traitsIS12_E10value_typeET2_T3_PNS13_IS18_E10value_typeET4_jRbjT5_S1E_jjP12ihipStream_tbEUljE_ZNSN_ISO_Lb1ESQ_SR_ST_SU_SY_EESZ_S10_S11_S12_S16_S17_S18_S1B_S1C_jS1D_jS1E_S1E_jjS1G_bEUljE0_EEESZ_S10_S11_S18_S1C_S1E_T6_T7_T9_mT8_S1G_bDpT10_ENKUlT_T0_E_clISt17integral_constantIbLb1EES1T_IbLb0EEEEDaS1P_S1Q_EUlS1P_E_NS1_11comp_targetILNS1_3genE4ELNS1_11target_archE910ELNS1_3gpuE8ELNS1_3repE0EEENS1_30default_config_static_selectorELNS0_4arch9wavefront6targetE0EEEvS12_ ; -- Begin function _ZN7rocprim17ROCPRIM_400000_NS6detail17trampoline_kernelINS0_13select_configILj256ELj13ELNS0_17block_load_methodE3ELS4_3ELS4_3ELNS0_20block_scan_algorithmE0ELj4294967295EEENS1_25partition_config_selectorILNS1_17partition_subalgoE4EjNS0_10empty_typeEbEEZZNS1_14partition_implILS8_4ELb0ES6_15HIP_vector_typeIjLj2EENS0_17counting_iteratorIjlEEPS9_SG_NS0_5tupleIJPjSI_NS0_16reverse_iteratorISI_EEEEENSH_IJSG_SG_SG_EEES9_SI_JZNS1_25segmented_radix_sort_implINS0_14default_configELb1EPKbPbPKlPlN2at6native12_GLOBAL__N_18offset_tEEE10hipError_tPvRmT1_PNSt15iterator_traitsIS12_E10value_typeET2_T3_PNS13_IS18_E10value_typeET4_jRbjT5_S1E_jjP12ihipStream_tbEUljE_ZNSN_ISO_Lb1ESQ_SR_ST_SU_SY_EESZ_S10_S11_S12_S16_S17_S18_S1B_S1C_jS1D_jS1E_S1E_jjS1G_bEUljE0_EEESZ_S10_S11_S18_S1C_S1E_T6_T7_T9_mT8_S1G_bDpT10_ENKUlT_T0_E_clISt17integral_constantIbLb1EES1T_IbLb0EEEEDaS1P_S1Q_EUlS1P_E_NS1_11comp_targetILNS1_3genE4ELNS1_11target_archE910ELNS1_3gpuE8ELNS1_3repE0EEENS1_30default_config_static_selectorELNS0_4arch9wavefront6targetE0EEEvS12_
	.p2align	8
	.type	_ZN7rocprim17ROCPRIM_400000_NS6detail17trampoline_kernelINS0_13select_configILj256ELj13ELNS0_17block_load_methodE3ELS4_3ELS4_3ELNS0_20block_scan_algorithmE0ELj4294967295EEENS1_25partition_config_selectorILNS1_17partition_subalgoE4EjNS0_10empty_typeEbEEZZNS1_14partition_implILS8_4ELb0ES6_15HIP_vector_typeIjLj2EENS0_17counting_iteratorIjlEEPS9_SG_NS0_5tupleIJPjSI_NS0_16reverse_iteratorISI_EEEEENSH_IJSG_SG_SG_EEES9_SI_JZNS1_25segmented_radix_sort_implINS0_14default_configELb1EPKbPbPKlPlN2at6native12_GLOBAL__N_18offset_tEEE10hipError_tPvRmT1_PNSt15iterator_traitsIS12_E10value_typeET2_T3_PNS13_IS18_E10value_typeET4_jRbjT5_S1E_jjP12ihipStream_tbEUljE_ZNSN_ISO_Lb1ESQ_SR_ST_SU_SY_EESZ_S10_S11_S12_S16_S17_S18_S1B_S1C_jS1D_jS1E_S1E_jjS1G_bEUljE0_EEESZ_S10_S11_S18_S1C_S1E_T6_T7_T9_mT8_S1G_bDpT10_ENKUlT_T0_E_clISt17integral_constantIbLb1EES1T_IbLb0EEEEDaS1P_S1Q_EUlS1P_E_NS1_11comp_targetILNS1_3genE4ELNS1_11target_archE910ELNS1_3gpuE8ELNS1_3repE0EEENS1_30default_config_static_selectorELNS0_4arch9wavefront6targetE0EEEvS12_,@function
_ZN7rocprim17ROCPRIM_400000_NS6detail17trampoline_kernelINS0_13select_configILj256ELj13ELNS0_17block_load_methodE3ELS4_3ELS4_3ELNS0_20block_scan_algorithmE0ELj4294967295EEENS1_25partition_config_selectorILNS1_17partition_subalgoE4EjNS0_10empty_typeEbEEZZNS1_14partition_implILS8_4ELb0ES6_15HIP_vector_typeIjLj2EENS0_17counting_iteratorIjlEEPS9_SG_NS0_5tupleIJPjSI_NS0_16reverse_iteratorISI_EEEEENSH_IJSG_SG_SG_EEES9_SI_JZNS1_25segmented_radix_sort_implINS0_14default_configELb1EPKbPbPKlPlN2at6native12_GLOBAL__N_18offset_tEEE10hipError_tPvRmT1_PNSt15iterator_traitsIS12_E10value_typeET2_T3_PNS13_IS18_E10value_typeET4_jRbjT5_S1E_jjP12ihipStream_tbEUljE_ZNSN_ISO_Lb1ESQ_SR_ST_SU_SY_EESZ_S10_S11_S12_S16_S17_S18_S1B_S1C_jS1D_jS1E_S1E_jjS1G_bEUljE0_EEESZ_S10_S11_S18_S1C_S1E_T6_T7_T9_mT8_S1G_bDpT10_ENKUlT_T0_E_clISt17integral_constantIbLb1EES1T_IbLb0EEEEDaS1P_S1Q_EUlS1P_E_NS1_11comp_targetILNS1_3genE4ELNS1_11target_archE910ELNS1_3gpuE8ELNS1_3repE0EEENS1_30default_config_static_selectorELNS0_4arch9wavefront6targetE0EEEvS12_: ; @_ZN7rocprim17ROCPRIM_400000_NS6detail17trampoline_kernelINS0_13select_configILj256ELj13ELNS0_17block_load_methodE3ELS4_3ELS4_3ELNS0_20block_scan_algorithmE0ELj4294967295EEENS1_25partition_config_selectorILNS1_17partition_subalgoE4EjNS0_10empty_typeEbEEZZNS1_14partition_implILS8_4ELb0ES6_15HIP_vector_typeIjLj2EENS0_17counting_iteratorIjlEEPS9_SG_NS0_5tupleIJPjSI_NS0_16reverse_iteratorISI_EEEEENSH_IJSG_SG_SG_EEES9_SI_JZNS1_25segmented_radix_sort_implINS0_14default_configELb1EPKbPbPKlPlN2at6native12_GLOBAL__N_18offset_tEEE10hipError_tPvRmT1_PNSt15iterator_traitsIS12_E10value_typeET2_T3_PNS13_IS18_E10value_typeET4_jRbjT5_S1E_jjP12ihipStream_tbEUljE_ZNSN_ISO_Lb1ESQ_SR_ST_SU_SY_EESZ_S10_S11_S12_S16_S17_S18_S1B_S1C_jS1D_jS1E_S1E_jjS1G_bEUljE0_EEESZ_S10_S11_S18_S1C_S1E_T6_T7_T9_mT8_S1G_bDpT10_ENKUlT_T0_E_clISt17integral_constantIbLb1EES1T_IbLb0EEEEDaS1P_S1Q_EUlS1P_E_NS1_11comp_targetILNS1_3genE4ELNS1_11target_archE910ELNS1_3gpuE8ELNS1_3repE0EEENS1_30default_config_static_selectorELNS0_4arch9wavefront6targetE0EEEvS12_
; %bb.0:
	.section	.rodata,"a",@progbits
	.p2align	6, 0x0
	.amdhsa_kernel _ZN7rocprim17ROCPRIM_400000_NS6detail17trampoline_kernelINS0_13select_configILj256ELj13ELNS0_17block_load_methodE3ELS4_3ELS4_3ELNS0_20block_scan_algorithmE0ELj4294967295EEENS1_25partition_config_selectorILNS1_17partition_subalgoE4EjNS0_10empty_typeEbEEZZNS1_14partition_implILS8_4ELb0ES6_15HIP_vector_typeIjLj2EENS0_17counting_iteratorIjlEEPS9_SG_NS0_5tupleIJPjSI_NS0_16reverse_iteratorISI_EEEEENSH_IJSG_SG_SG_EEES9_SI_JZNS1_25segmented_radix_sort_implINS0_14default_configELb1EPKbPbPKlPlN2at6native12_GLOBAL__N_18offset_tEEE10hipError_tPvRmT1_PNSt15iterator_traitsIS12_E10value_typeET2_T3_PNS13_IS18_E10value_typeET4_jRbjT5_S1E_jjP12ihipStream_tbEUljE_ZNSN_ISO_Lb1ESQ_SR_ST_SU_SY_EESZ_S10_S11_S12_S16_S17_S18_S1B_S1C_jS1D_jS1E_S1E_jjS1G_bEUljE0_EEESZ_S10_S11_S18_S1C_S1E_T6_T7_T9_mT8_S1G_bDpT10_ENKUlT_T0_E_clISt17integral_constantIbLb1EES1T_IbLb0EEEEDaS1P_S1Q_EUlS1P_E_NS1_11comp_targetILNS1_3genE4ELNS1_11target_archE910ELNS1_3gpuE8ELNS1_3repE0EEENS1_30default_config_static_selectorELNS0_4arch9wavefront6targetE0EEEvS12_
		.amdhsa_group_segment_fixed_size 0
		.amdhsa_private_segment_fixed_size 0
		.amdhsa_kernarg_size 176
		.amdhsa_user_sgpr_count 2
		.amdhsa_user_sgpr_dispatch_ptr 0
		.amdhsa_user_sgpr_queue_ptr 0
		.amdhsa_user_sgpr_kernarg_segment_ptr 1
		.amdhsa_user_sgpr_dispatch_id 0
		.amdhsa_user_sgpr_kernarg_preload_length 0
		.amdhsa_user_sgpr_kernarg_preload_offset 0
		.amdhsa_user_sgpr_private_segment_size 0
		.amdhsa_wavefront_size32 1
		.amdhsa_uses_dynamic_stack 0
		.amdhsa_enable_private_segment 0
		.amdhsa_system_sgpr_workgroup_id_x 1
		.amdhsa_system_sgpr_workgroup_id_y 0
		.amdhsa_system_sgpr_workgroup_id_z 0
		.amdhsa_system_sgpr_workgroup_info 0
		.amdhsa_system_vgpr_workitem_id 0
		.amdhsa_next_free_vgpr 1
		.amdhsa_next_free_sgpr 1
		.amdhsa_named_barrier_count 0
		.amdhsa_reserve_vcc 0
		.amdhsa_float_round_mode_32 0
		.amdhsa_float_round_mode_16_64 0
		.amdhsa_float_denorm_mode_32 3
		.amdhsa_float_denorm_mode_16_64 3
		.amdhsa_fp16_overflow 0
		.amdhsa_memory_ordered 1
		.amdhsa_forward_progress 1
		.amdhsa_inst_pref_size 0
		.amdhsa_round_robin_scheduling 0
		.amdhsa_exception_fp_ieee_invalid_op 0
		.amdhsa_exception_fp_denorm_src 0
		.amdhsa_exception_fp_ieee_div_zero 0
		.amdhsa_exception_fp_ieee_overflow 0
		.amdhsa_exception_fp_ieee_underflow 0
		.amdhsa_exception_fp_ieee_inexact 0
		.amdhsa_exception_int_div_zero 0
	.end_amdhsa_kernel
	.section	.text._ZN7rocprim17ROCPRIM_400000_NS6detail17trampoline_kernelINS0_13select_configILj256ELj13ELNS0_17block_load_methodE3ELS4_3ELS4_3ELNS0_20block_scan_algorithmE0ELj4294967295EEENS1_25partition_config_selectorILNS1_17partition_subalgoE4EjNS0_10empty_typeEbEEZZNS1_14partition_implILS8_4ELb0ES6_15HIP_vector_typeIjLj2EENS0_17counting_iteratorIjlEEPS9_SG_NS0_5tupleIJPjSI_NS0_16reverse_iteratorISI_EEEEENSH_IJSG_SG_SG_EEES9_SI_JZNS1_25segmented_radix_sort_implINS0_14default_configELb1EPKbPbPKlPlN2at6native12_GLOBAL__N_18offset_tEEE10hipError_tPvRmT1_PNSt15iterator_traitsIS12_E10value_typeET2_T3_PNS13_IS18_E10value_typeET4_jRbjT5_S1E_jjP12ihipStream_tbEUljE_ZNSN_ISO_Lb1ESQ_SR_ST_SU_SY_EESZ_S10_S11_S12_S16_S17_S18_S1B_S1C_jS1D_jS1E_S1E_jjS1G_bEUljE0_EEESZ_S10_S11_S18_S1C_S1E_T6_T7_T9_mT8_S1G_bDpT10_ENKUlT_T0_E_clISt17integral_constantIbLb1EES1T_IbLb0EEEEDaS1P_S1Q_EUlS1P_E_NS1_11comp_targetILNS1_3genE4ELNS1_11target_archE910ELNS1_3gpuE8ELNS1_3repE0EEENS1_30default_config_static_selectorELNS0_4arch9wavefront6targetE0EEEvS12_,"axG",@progbits,_ZN7rocprim17ROCPRIM_400000_NS6detail17trampoline_kernelINS0_13select_configILj256ELj13ELNS0_17block_load_methodE3ELS4_3ELS4_3ELNS0_20block_scan_algorithmE0ELj4294967295EEENS1_25partition_config_selectorILNS1_17partition_subalgoE4EjNS0_10empty_typeEbEEZZNS1_14partition_implILS8_4ELb0ES6_15HIP_vector_typeIjLj2EENS0_17counting_iteratorIjlEEPS9_SG_NS0_5tupleIJPjSI_NS0_16reverse_iteratorISI_EEEEENSH_IJSG_SG_SG_EEES9_SI_JZNS1_25segmented_radix_sort_implINS0_14default_configELb1EPKbPbPKlPlN2at6native12_GLOBAL__N_18offset_tEEE10hipError_tPvRmT1_PNSt15iterator_traitsIS12_E10value_typeET2_T3_PNS13_IS18_E10value_typeET4_jRbjT5_S1E_jjP12ihipStream_tbEUljE_ZNSN_ISO_Lb1ESQ_SR_ST_SU_SY_EESZ_S10_S11_S12_S16_S17_S18_S1B_S1C_jS1D_jS1E_S1E_jjS1G_bEUljE0_EEESZ_S10_S11_S18_S1C_S1E_T6_T7_T9_mT8_S1G_bDpT10_ENKUlT_T0_E_clISt17integral_constantIbLb1EES1T_IbLb0EEEEDaS1P_S1Q_EUlS1P_E_NS1_11comp_targetILNS1_3genE4ELNS1_11target_archE910ELNS1_3gpuE8ELNS1_3repE0EEENS1_30default_config_static_selectorELNS0_4arch9wavefront6targetE0EEEvS12_,comdat
.Lfunc_end1478:
	.size	_ZN7rocprim17ROCPRIM_400000_NS6detail17trampoline_kernelINS0_13select_configILj256ELj13ELNS0_17block_load_methodE3ELS4_3ELS4_3ELNS0_20block_scan_algorithmE0ELj4294967295EEENS1_25partition_config_selectorILNS1_17partition_subalgoE4EjNS0_10empty_typeEbEEZZNS1_14partition_implILS8_4ELb0ES6_15HIP_vector_typeIjLj2EENS0_17counting_iteratorIjlEEPS9_SG_NS0_5tupleIJPjSI_NS0_16reverse_iteratorISI_EEEEENSH_IJSG_SG_SG_EEES9_SI_JZNS1_25segmented_radix_sort_implINS0_14default_configELb1EPKbPbPKlPlN2at6native12_GLOBAL__N_18offset_tEEE10hipError_tPvRmT1_PNSt15iterator_traitsIS12_E10value_typeET2_T3_PNS13_IS18_E10value_typeET4_jRbjT5_S1E_jjP12ihipStream_tbEUljE_ZNSN_ISO_Lb1ESQ_SR_ST_SU_SY_EESZ_S10_S11_S12_S16_S17_S18_S1B_S1C_jS1D_jS1E_S1E_jjS1G_bEUljE0_EEESZ_S10_S11_S18_S1C_S1E_T6_T7_T9_mT8_S1G_bDpT10_ENKUlT_T0_E_clISt17integral_constantIbLb1EES1T_IbLb0EEEEDaS1P_S1Q_EUlS1P_E_NS1_11comp_targetILNS1_3genE4ELNS1_11target_archE910ELNS1_3gpuE8ELNS1_3repE0EEENS1_30default_config_static_selectorELNS0_4arch9wavefront6targetE0EEEvS12_, .Lfunc_end1478-_ZN7rocprim17ROCPRIM_400000_NS6detail17trampoline_kernelINS0_13select_configILj256ELj13ELNS0_17block_load_methodE3ELS4_3ELS4_3ELNS0_20block_scan_algorithmE0ELj4294967295EEENS1_25partition_config_selectorILNS1_17partition_subalgoE4EjNS0_10empty_typeEbEEZZNS1_14partition_implILS8_4ELb0ES6_15HIP_vector_typeIjLj2EENS0_17counting_iteratorIjlEEPS9_SG_NS0_5tupleIJPjSI_NS0_16reverse_iteratorISI_EEEEENSH_IJSG_SG_SG_EEES9_SI_JZNS1_25segmented_radix_sort_implINS0_14default_configELb1EPKbPbPKlPlN2at6native12_GLOBAL__N_18offset_tEEE10hipError_tPvRmT1_PNSt15iterator_traitsIS12_E10value_typeET2_T3_PNS13_IS18_E10value_typeET4_jRbjT5_S1E_jjP12ihipStream_tbEUljE_ZNSN_ISO_Lb1ESQ_SR_ST_SU_SY_EESZ_S10_S11_S12_S16_S17_S18_S1B_S1C_jS1D_jS1E_S1E_jjS1G_bEUljE0_EEESZ_S10_S11_S18_S1C_S1E_T6_T7_T9_mT8_S1G_bDpT10_ENKUlT_T0_E_clISt17integral_constantIbLb1EES1T_IbLb0EEEEDaS1P_S1Q_EUlS1P_E_NS1_11comp_targetILNS1_3genE4ELNS1_11target_archE910ELNS1_3gpuE8ELNS1_3repE0EEENS1_30default_config_static_selectorELNS0_4arch9wavefront6targetE0EEEvS12_
                                        ; -- End function
	.set _ZN7rocprim17ROCPRIM_400000_NS6detail17trampoline_kernelINS0_13select_configILj256ELj13ELNS0_17block_load_methodE3ELS4_3ELS4_3ELNS0_20block_scan_algorithmE0ELj4294967295EEENS1_25partition_config_selectorILNS1_17partition_subalgoE4EjNS0_10empty_typeEbEEZZNS1_14partition_implILS8_4ELb0ES6_15HIP_vector_typeIjLj2EENS0_17counting_iteratorIjlEEPS9_SG_NS0_5tupleIJPjSI_NS0_16reverse_iteratorISI_EEEEENSH_IJSG_SG_SG_EEES9_SI_JZNS1_25segmented_radix_sort_implINS0_14default_configELb1EPKbPbPKlPlN2at6native12_GLOBAL__N_18offset_tEEE10hipError_tPvRmT1_PNSt15iterator_traitsIS12_E10value_typeET2_T3_PNS13_IS18_E10value_typeET4_jRbjT5_S1E_jjP12ihipStream_tbEUljE_ZNSN_ISO_Lb1ESQ_SR_ST_SU_SY_EESZ_S10_S11_S12_S16_S17_S18_S1B_S1C_jS1D_jS1E_S1E_jjS1G_bEUljE0_EEESZ_S10_S11_S18_S1C_S1E_T6_T7_T9_mT8_S1G_bDpT10_ENKUlT_T0_E_clISt17integral_constantIbLb1EES1T_IbLb0EEEEDaS1P_S1Q_EUlS1P_E_NS1_11comp_targetILNS1_3genE4ELNS1_11target_archE910ELNS1_3gpuE8ELNS1_3repE0EEENS1_30default_config_static_selectorELNS0_4arch9wavefront6targetE0EEEvS12_.num_vgpr, 0
	.set _ZN7rocprim17ROCPRIM_400000_NS6detail17trampoline_kernelINS0_13select_configILj256ELj13ELNS0_17block_load_methodE3ELS4_3ELS4_3ELNS0_20block_scan_algorithmE0ELj4294967295EEENS1_25partition_config_selectorILNS1_17partition_subalgoE4EjNS0_10empty_typeEbEEZZNS1_14partition_implILS8_4ELb0ES6_15HIP_vector_typeIjLj2EENS0_17counting_iteratorIjlEEPS9_SG_NS0_5tupleIJPjSI_NS0_16reverse_iteratorISI_EEEEENSH_IJSG_SG_SG_EEES9_SI_JZNS1_25segmented_radix_sort_implINS0_14default_configELb1EPKbPbPKlPlN2at6native12_GLOBAL__N_18offset_tEEE10hipError_tPvRmT1_PNSt15iterator_traitsIS12_E10value_typeET2_T3_PNS13_IS18_E10value_typeET4_jRbjT5_S1E_jjP12ihipStream_tbEUljE_ZNSN_ISO_Lb1ESQ_SR_ST_SU_SY_EESZ_S10_S11_S12_S16_S17_S18_S1B_S1C_jS1D_jS1E_S1E_jjS1G_bEUljE0_EEESZ_S10_S11_S18_S1C_S1E_T6_T7_T9_mT8_S1G_bDpT10_ENKUlT_T0_E_clISt17integral_constantIbLb1EES1T_IbLb0EEEEDaS1P_S1Q_EUlS1P_E_NS1_11comp_targetILNS1_3genE4ELNS1_11target_archE910ELNS1_3gpuE8ELNS1_3repE0EEENS1_30default_config_static_selectorELNS0_4arch9wavefront6targetE0EEEvS12_.num_agpr, 0
	.set _ZN7rocprim17ROCPRIM_400000_NS6detail17trampoline_kernelINS0_13select_configILj256ELj13ELNS0_17block_load_methodE3ELS4_3ELS4_3ELNS0_20block_scan_algorithmE0ELj4294967295EEENS1_25partition_config_selectorILNS1_17partition_subalgoE4EjNS0_10empty_typeEbEEZZNS1_14partition_implILS8_4ELb0ES6_15HIP_vector_typeIjLj2EENS0_17counting_iteratorIjlEEPS9_SG_NS0_5tupleIJPjSI_NS0_16reverse_iteratorISI_EEEEENSH_IJSG_SG_SG_EEES9_SI_JZNS1_25segmented_radix_sort_implINS0_14default_configELb1EPKbPbPKlPlN2at6native12_GLOBAL__N_18offset_tEEE10hipError_tPvRmT1_PNSt15iterator_traitsIS12_E10value_typeET2_T3_PNS13_IS18_E10value_typeET4_jRbjT5_S1E_jjP12ihipStream_tbEUljE_ZNSN_ISO_Lb1ESQ_SR_ST_SU_SY_EESZ_S10_S11_S12_S16_S17_S18_S1B_S1C_jS1D_jS1E_S1E_jjS1G_bEUljE0_EEESZ_S10_S11_S18_S1C_S1E_T6_T7_T9_mT8_S1G_bDpT10_ENKUlT_T0_E_clISt17integral_constantIbLb1EES1T_IbLb0EEEEDaS1P_S1Q_EUlS1P_E_NS1_11comp_targetILNS1_3genE4ELNS1_11target_archE910ELNS1_3gpuE8ELNS1_3repE0EEENS1_30default_config_static_selectorELNS0_4arch9wavefront6targetE0EEEvS12_.numbered_sgpr, 0
	.set _ZN7rocprim17ROCPRIM_400000_NS6detail17trampoline_kernelINS0_13select_configILj256ELj13ELNS0_17block_load_methodE3ELS4_3ELS4_3ELNS0_20block_scan_algorithmE0ELj4294967295EEENS1_25partition_config_selectorILNS1_17partition_subalgoE4EjNS0_10empty_typeEbEEZZNS1_14partition_implILS8_4ELb0ES6_15HIP_vector_typeIjLj2EENS0_17counting_iteratorIjlEEPS9_SG_NS0_5tupleIJPjSI_NS0_16reverse_iteratorISI_EEEEENSH_IJSG_SG_SG_EEES9_SI_JZNS1_25segmented_radix_sort_implINS0_14default_configELb1EPKbPbPKlPlN2at6native12_GLOBAL__N_18offset_tEEE10hipError_tPvRmT1_PNSt15iterator_traitsIS12_E10value_typeET2_T3_PNS13_IS18_E10value_typeET4_jRbjT5_S1E_jjP12ihipStream_tbEUljE_ZNSN_ISO_Lb1ESQ_SR_ST_SU_SY_EESZ_S10_S11_S12_S16_S17_S18_S1B_S1C_jS1D_jS1E_S1E_jjS1G_bEUljE0_EEESZ_S10_S11_S18_S1C_S1E_T6_T7_T9_mT8_S1G_bDpT10_ENKUlT_T0_E_clISt17integral_constantIbLb1EES1T_IbLb0EEEEDaS1P_S1Q_EUlS1P_E_NS1_11comp_targetILNS1_3genE4ELNS1_11target_archE910ELNS1_3gpuE8ELNS1_3repE0EEENS1_30default_config_static_selectorELNS0_4arch9wavefront6targetE0EEEvS12_.num_named_barrier, 0
	.set _ZN7rocprim17ROCPRIM_400000_NS6detail17trampoline_kernelINS0_13select_configILj256ELj13ELNS0_17block_load_methodE3ELS4_3ELS4_3ELNS0_20block_scan_algorithmE0ELj4294967295EEENS1_25partition_config_selectorILNS1_17partition_subalgoE4EjNS0_10empty_typeEbEEZZNS1_14partition_implILS8_4ELb0ES6_15HIP_vector_typeIjLj2EENS0_17counting_iteratorIjlEEPS9_SG_NS0_5tupleIJPjSI_NS0_16reverse_iteratorISI_EEEEENSH_IJSG_SG_SG_EEES9_SI_JZNS1_25segmented_radix_sort_implINS0_14default_configELb1EPKbPbPKlPlN2at6native12_GLOBAL__N_18offset_tEEE10hipError_tPvRmT1_PNSt15iterator_traitsIS12_E10value_typeET2_T3_PNS13_IS18_E10value_typeET4_jRbjT5_S1E_jjP12ihipStream_tbEUljE_ZNSN_ISO_Lb1ESQ_SR_ST_SU_SY_EESZ_S10_S11_S12_S16_S17_S18_S1B_S1C_jS1D_jS1E_S1E_jjS1G_bEUljE0_EEESZ_S10_S11_S18_S1C_S1E_T6_T7_T9_mT8_S1G_bDpT10_ENKUlT_T0_E_clISt17integral_constantIbLb1EES1T_IbLb0EEEEDaS1P_S1Q_EUlS1P_E_NS1_11comp_targetILNS1_3genE4ELNS1_11target_archE910ELNS1_3gpuE8ELNS1_3repE0EEENS1_30default_config_static_selectorELNS0_4arch9wavefront6targetE0EEEvS12_.private_seg_size, 0
	.set _ZN7rocprim17ROCPRIM_400000_NS6detail17trampoline_kernelINS0_13select_configILj256ELj13ELNS0_17block_load_methodE3ELS4_3ELS4_3ELNS0_20block_scan_algorithmE0ELj4294967295EEENS1_25partition_config_selectorILNS1_17partition_subalgoE4EjNS0_10empty_typeEbEEZZNS1_14partition_implILS8_4ELb0ES6_15HIP_vector_typeIjLj2EENS0_17counting_iteratorIjlEEPS9_SG_NS0_5tupleIJPjSI_NS0_16reverse_iteratorISI_EEEEENSH_IJSG_SG_SG_EEES9_SI_JZNS1_25segmented_radix_sort_implINS0_14default_configELb1EPKbPbPKlPlN2at6native12_GLOBAL__N_18offset_tEEE10hipError_tPvRmT1_PNSt15iterator_traitsIS12_E10value_typeET2_T3_PNS13_IS18_E10value_typeET4_jRbjT5_S1E_jjP12ihipStream_tbEUljE_ZNSN_ISO_Lb1ESQ_SR_ST_SU_SY_EESZ_S10_S11_S12_S16_S17_S18_S1B_S1C_jS1D_jS1E_S1E_jjS1G_bEUljE0_EEESZ_S10_S11_S18_S1C_S1E_T6_T7_T9_mT8_S1G_bDpT10_ENKUlT_T0_E_clISt17integral_constantIbLb1EES1T_IbLb0EEEEDaS1P_S1Q_EUlS1P_E_NS1_11comp_targetILNS1_3genE4ELNS1_11target_archE910ELNS1_3gpuE8ELNS1_3repE0EEENS1_30default_config_static_selectorELNS0_4arch9wavefront6targetE0EEEvS12_.uses_vcc, 0
	.set _ZN7rocprim17ROCPRIM_400000_NS6detail17trampoline_kernelINS0_13select_configILj256ELj13ELNS0_17block_load_methodE3ELS4_3ELS4_3ELNS0_20block_scan_algorithmE0ELj4294967295EEENS1_25partition_config_selectorILNS1_17partition_subalgoE4EjNS0_10empty_typeEbEEZZNS1_14partition_implILS8_4ELb0ES6_15HIP_vector_typeIjLj2EENS0_17counting_iteratorIjlEEPS9_SG_NS0_5tupleIJPjSI_NS0_16reverse_iteratorISI_EEEEENSH_IJSG_SG_SG_EEES9_SI_JZNS1_25segmented_radix_sort_implINS0_14default_configELb1EPKbPbPKlPlN2at6native12_GLOBAL__N_18offset_tEEE10hipError_tPvRmT1_PNSt15iterator_traitsIS12_E10value_typeET2_T3_PNS13_IS18_E10value_typeET4_jRbjT5_S1E_jjP12ihipStream_tbEUljE_ZNSN_ISO_Lb1ESQ_SR_ST_SU_SY_EESZ_S10_S11_S12_S16_S17_S18_S1B_S1C_jS1D_jS1E_S1E_jjS1G_bEUljE0_EEESZ_S10_S11_S18_S1C_S1E_T6_T7_T9_mT8_S1G_bDpT10_ENKUlT_T0_E_clISt17integral_constantIbLb1EES1T_IbLb0EEEEDaS1P_S1Q_EUlS1P_E_NS1_11comp_targetILNS1_3genE4ELNS1_11target_archE910ELNS1_3gpuE8ELNS1_3repE0EEENS1_30default_config_static_selectorELNS0_4arch9wavefront6targetE0EEEvS12_.uses_flat_scratch, 0
	.set _ZN7rocprim17ROCPRIM_400000_NS6detail17trampoline_kernelINS0_13select_configILj256ELj13ELNS0_17block_load_methodE3ELS4_3ELS4_3ELNS0_20block_scan_algorithmE0ELj4294967295EEENS1_25partition_config_selectorILNS1_17partition_subalgoE4EjNS0_10empty_typeEbEEZZNS1_14partition_implILS8_4ELb0ES6_15HIP_vector_typeIjLj2EENS0_17counting_iteratorIjlEEPS9_SG_NS0_5tupleIJPjSI_NS0_16reverse_iteratorISI_EEEEENSH_IJSG_SG_SG_EEES9_SI_JZNS1_25segmented_radix_sort_implINS0_14default_configELb1EPKbPbPKlPlN2at6native12_GLOBAL__N_18offset_tEEE10hipError_tPvRmT1_PNSt15iterator_traitsIS12_E10value_typeET2_T3_PNS13_IS18_E10value_typeET4_jRbjT5_S1E_jjP12ihipStream_tbEUljE_ZNSN_ISO_Lb1ESQ_SR_ST_SU_SY_EESZ_S10_S11_S12_S16_S17_S18_S1B_S1C_jS1D_jS1E_S1E_jjS1G_bEUljE0_EEESZ_S10_S11_S18_S1C_S1E_T6_T7_T9_mT8_S1G_bDpT10_ENKUlT_T0_E_clISt17integral_constantIbLb1EES1T_IbLb0EEEEDaS1P_S1Q_EUlS1P_E_NS1_11comp_targetILNS1_3genE4ELNS1_11target_archE910ELNS1_3gpuE8ELNS1_3repE0EEENS1_30default_config_static_selectorELNS0_4arch9wavefront6targetE0EEEvS12_.has_dyn_sized_stack, 0
	.set _ZN7rocprim17ROCPRIM_400000_NS6detail17trampoline_kernelINS0_13select_configILj256ELj13ELNS0_17block_load_methodE3ELS4_3ELS4_3ELNS0_20block_scan_algorithmE0ELj4294967295EEENS1_25partition_config_selectorILNS1_17partition_subalgoE4EjNS0_10empty_typeEbEEZZNS1_14partition_implILS8_4ELb0ES6_15HIP_vector_typeIjLj2EENS0_17counting_iteratorIjlEEPS9_SG_NS0_5tupleIJPjSI_NS0_16reverse_iteratorISI_EEEEENSH_IJSG_SG_SG_EEES9_SI_JZNS1_25segmented_radix_sort_implINS0_14default_configELb1EPKbPbPKlPlN2at6native12_GLOBAL__N_18offset_tEEE10hipError_tPvRmT1_PNSt15iterator_traitsIS12_E10value_typeET2_T3_PNS13_IS18_E10value_typeET4_jRbjT5_S1E_jjP12ihipStream_tbEUljE_ZNSN_ISO_Lb1ESQ_SR_ST_SU_SY_EESZ_S10_S11_S12_S16_S17_S18_S1B_S1C_jS1D_jS1E_S1E_jjS1G_bEUljE0_EEESZ_S10_S11_S18_S1C_S1E_T6_T7_T9_mT8_S1G_bDpT10_ENKUlT_T0_E_clISt17integral_constantIbLb1EES1T_IbLb0EEEEDaS1P_S1Q_EUlS1P_E_NS1_11comp_targetILNS1_3genE4ELNS1_11target_archE910ELNS1_3gpuE8ELNS1_3repE0EEENS1_30default_config_static_selectorELNS0_4arch9wavefront6targetE0EEEvS12_.has_recursion, 0
	.set _ZN7rocprim17ROCPRIM_400000_NS6detail17trampoline_kernelINS0_13select_configILj256ELj13ELNS0_17block_load_methodE3ELS4_3ELS4_3ELNS0_20block_scan_algorithmE0ELj4294967295EEENS1_25partition_config_selectorILNS1_17partition_subalgoE4EjNS0_10empty_typeEbEEZZNS1_14partition_implILS8_4ELb0ES6_15HIP_vector_typeIjLj2EENS0_17counting_iteratorIjlEEPS9_SG_NS0_5tupleIJPjSI_NS0_16reverse_iteratorISI_EEEEENSH_IJSG_SG_SG_EEES9_SI_JZNS1_25segmented_radix_sort_implINS0_14default_configELb1EPKbPbPKlPlN2at6native12_GLOBAL__N_18offset_tEEE10hipError_tPvRmT1_PNSt15iterator_traitsIS12_E10value_typeET2_T3_PNS13_IS18_E10value_typeET4_jRbjT5_S1E_jjP12ihipStream_tbEUljE_ZNSN_ISO_Lb1ESQ_SR_ST_SU_SY_EESZ_S10_S11_S12_S16_S17_S18_S1B_S1C_jS1D_jS1E_S1E_jjS1G_bEUljE0_EEESZ_S10_S11_S18_S1C_S1E_T6_T7_T9_mT8_S1G_bDpT10_ENKUlT_T0_E_clISt17integral_constantIbLb1EES1T_IbLb0EEEEDaS1P_S1Q_EUlS1P_E_NS1_11comp_targetILNS1_3genE4ELNS1_11target_archE910ELNS1_3gpuE8ELNS1_3repE0EEENS1_30default_config_static_selectorELNS0_4arch9wavefront6targetE0EEEvS12_.has_indirect_call, 0
	.section	.AMDGPU.csdata,"",@progbits
; Kernel info:
; codeLenInByte = 0
; TotalNumSgprs: 0
; NumVgprs: 0
; ScratchSize: 0
; MemoryBound: 0
; FloatMode: 240
; IeeeMode: 1
; LDSByteSize: 0 bytes/workgroup (compile time only)
; SGPRBlocks: 0
; VGPRBlocks: 0
; NumSGPRsForWavesPerEU: 1
; NumVGPRsForWavesPerEU: 1
; NamedBarCnt: 0
; Occupancy: 16
; WaveLimiterHint : 0
; COMPUTE_PGM_RSRC2:SCRATCH_EN: 0
; COMPUTE_PGM_RSRC2:USER_SGPR: 2
; COMPUTE_PGM_RSRC2:TRAP_HANDLER: 0
; COMPUTE_PGM_RSRC2:TGID_X_EN: 1
; COMPUTE_PGM_RSRC2:TGID_Y_EN: 0
; COMPUTE_PGM_RSRC2:TGID_Z_EN: 0
; COMPUTE_PGM_RSRC2:TIDIG_COMP_CNT: 0
	.section	.text._ZN7rocprim17ROCPRIM_400000_NS6detail17trampoline_kernelINS0_13select_configILj256ELj13ELNS0_17block_load_methodE3ELS4_3ELS4_3ELNS0_20block_scan_algorithmE0ELj4294967295EEENS1_25partition_config_selectorILNS1_17partition_subalgoE4EjNS0_10empty_typeEbEEZZNS1_14partition_implILS8_4ELb0ES6_15HIP_vector_typeIjLj2EENS0_17counting_iteratorIjlEEPS9_SG_NS0_5tupleIJPjSI_NS0_16reverse_iteratorISI_EEEEENSH_IJSG_SG_SG_EEES9_SI_JZNS1_25segmented_radix_sort_implINS0_14default_configELb1EPKbPbPKlPlN2at6native12_GLOBAL__N_18offset_tEEE10hipError_tPvRmT1_PNSt15iterator_traitsIS12_E10value_typeET2_T3_PNS13_IS18_E10value_typeET4_jRbjT5_S1E_jjP12ihipStream_tbEUljE_ZNSN_ISO_Lb1ESQ_SR_ST_SU_SY_EESZ_S10_S11_S12_S16_S17_S18_S1B_S1C_jS1D_jS1E_S1E_jjS1G_bEUljE0_EEESZ_S10_S11_S18_S1C_S1E_T6_T7_T9_mT8_S1G_bDpT10_ENKUlT_T0_E_clISt17integral_constantIbLb1EES1T_IbLb0EEEEDaS1P_S1Q_EUlS1P_E_NS1_11comp_targetILNS1_3genE3ELNS1_11target_archE908ELNS1_3gpuE7ELNS1_3repE0EEENS1_30default_config_static_selectorELNS0_4arch9wavefront6targetE0EEEvS12_,"axG",@progbits,_ZN7rocprim17ROCPRIM_400000_NS6detail17trampoline_kernelINS0_13select_configILj256ELj13ELNS0_17block_load_methodE3ELS4_3ELS4_3ELNS0_20block_scan_algorithmE0ELj4294967295EEENS1_25partition_config_selectorILNS1_17partition_subalgoE4EjNS0_10empty_typeEbEEZZNS1_14partition_implILS8_4ELb0ES6_15HIP_vector_typeIjLj2EENS0_17counting_iteratorIjlEEPS9_SG_NS0_5tupleIJPjSI_NS0_16reverse_iteratorISI_EEEEENSH_IJSG_SG_SG_EEES9_SI_JZNS1_25segmented_radix_sort_implINS0_14default_configELb1EPKbPbPKlPlN2at6native12_GLOBAL__N_18offset_tEEE10hipError_tPvRmT1_PNSt15iterator_traitsIS12_E10value_typeET2_T3_PNS13_IS18_E10value_typeET4_jRbjT5_S1E_jjP12ihipStream_tbEUljE_ZNSN_ISO_Lb1ESQ_SR_ST_SU_SY_EESZ_S10_S11_S12_S16_S17_S18_S1B_S1C_jS1D_jS1E_S1E_jjS1G_bEUljE0_EEESZ_S10_S11_S18_S1C_S1E_T6_T7_T9_mT8_S1G_bDpT10_ENKUlT_T0_E_clISt17integral_constantIbLb1EES1T_IbLb0EEEEDaS1P_S1Q_EUlS1P_E_NS1_11comp_targetILNS1_3genE3ELNS1_11target_archE908ELNS1_3gpuE7ELNS1_3repE0EEENS1_30default_config_static_selectorELNS0_4arch9wavefront6targetE0EEEvS12_,comdat
	.globl	_ZN7rocprim17ROCPRIM_400000_NS6detail17trampoline_kernelINS0_13select_configILj256ELj13ELNS0_17block_load_methodE3ELS4_3ELS4_3ELNS0_20block_scan_algorithmE0ELj4294967295EEENS1_25partition_config_selectorILNS1_17partition_subalgoE4EjNS0_10empty_typeEbEEZZNS1_14partition_implILS8_4ELb0ES6_15HIP_vector_typeIjLj2EENS0_17counting_iteratorIjlEEPS9_SG_NS0_5tupleIJPjSI_NS0_16reverse_iteratorISI_EEEEENSH_IJSG_SG_SG_EEES9_SI_JZNS1_25segmented_radix_sort_implINS0_14default_configELb1EPKbPbPKlPlN2at6native12_GLOBAL__N_18offset_tEEE10hipError_tPvRmT1_PNSt15iterator_traitsIS12_E10value_typeET2_T3_PNS13_IS18_E10value_typeET4_jRbjT5_S1E_jjP12ihipStream_tbEUljE_ZNSN_ISO_Lb1ESQ_SR_ST_SU_SY_EESZ_S10_S11_S12_S16_S17_S18_S1B_S1C_jS1D_jS1E_S1E_jjS1G_bEUljE0_EEESZ_S10_S11_S18_S1C_S1E_T6_T7_T9_mT8_S1G_bDpT10_ENKUlT_T0_E_clISt17integral_constantIbLb1EES1T_IbLb0EEEEDaS1P_S1Q_EUlS1P_E_NS1_11comp_targetILNS1_3genE3ELNS1_11target_archE908ELNS1_3gpuE7ELNS1_3repE0EEENS1_30default_config_static_selectorELNS0_4arch9wavefront6targetE0EEEvS12_ ; -- Begin function _ZN7rocprim17ROCPRIM_400000_NS6detail17trampoline_kernelINS0_13select_configILj256ELj13ELNS0_17block_load_methodE3ELS4_3ELS4_3ELNS0_20block_scan_algorithmE0ELj4294967295EEENS1_25partition_config_selectorILNS1_17partition_subalgoE4EjNS0_10empty_typeEbEEZZNS1_14partition_implILS8_4ELb0ES6_15HIP_vector_typeIjLj2EENS0_17counting_iteratorIjlEEPS9_SG_NS0_5tupleIJPjSI_NS0_16reverse_iteratorISI_EEEEENSH_IJSG_SG_SG_EEES9_SI_JZNS1_25segmented_radix_sort_implINS0_14default_configELb1EPKbPbPKlPlN2at6native12_GLOBAL__N_18offset_tEEE10hipError_tPvRmT1_PNSt15iterator_traitsIS12_E10value_typeET2_T3_PNS13_IS18_E10value_typeET4_jRbjT5_S1E_jjP12ihipStream_tbEUljE_ZNSN_ISO_Lb1ESQ_SR_ST_SU_SY_EESZ_S10_S11_S12_S16_S17_S18_S1B_S1C_jS1D_jS1E_S1E_jjS1G_bEUljE0_EEESZ_S10_S11_S18_S1C_S1E_T6_T7_T9_mT8_S1G_bDpT10_ENKUlT_T0_E_clISt17integral_constantIbLb1EES1T_IbLb0EEEEDaS1P_S1Q_EUlS1P_E_NS1_11comp_targetILNS1_3genE3ELNS1_11target_archE908ELNS1_3gpuE7ELNS1_3repE0EEENS1_30default_config_static_selectorELNS0_4arch9wavefront6targetE0EEEvS12_
	.p2align	8
	.type	_ZN7rocprim17ROCPRIM_400000_NS6detail17trampoline_kernelINS0_13select_configILj256ELj13ELNS0_17block_load_methodE3ELS4_3ELS4_3ELNS0_20block_scan_algorithmE0ELj4294967295EEENS1_25partition_config_selectorILNS1_17partition_subalgoE4EjNS0_10empty_typeEbEEZZNS1_14partition_implILS8_4ELb0ES6_15HIP_vector_typeIjLj2EENS0_17counting_iteratorIjlEEPS9_SG_NS0_5tupleIJPjSI_NS0_16reverse_iteratorISI_EEEEENSH_IJSG_SG_SG_EEES9_SI_JZNS1_25segmented_radix_sort_implINS0_14default_configELb1EPKbPbPKlPlN2at6native12_GLOBAL__N_18offset_tEEE10hipError_tPvRmT1_PNSt15iterator_traitsIS12_E10value_typeET2_T3_PNS13_IS18_E10value_typeET4_jRbjT5_S1E_jjP12ihipStream_tbEUljE_ZNSN_ISO_Lb1ESQ_SR_ST_SU_SY_EESZ_S10_S11_S12_S16_S17_S18_S1B_S1C_jS1D_jS1E_S1E_jjS1G_bEUljE0_EEESZ_S10_S11_S18_S1C_S1E_T6_T7_T9_mT8_S1G_bDpT10_ENKUlT_T0_E_clISt17integral_constantIbLb1EES1T_IbLb0EEEEDaS1P_S1Q_EUlS1P_E_NS1_11comp_targetILNS1_3genE3ELNS1_11target_archE908ELNS1_3gpuE7ELNS1_3repE0EEENS1_30default_config_static_selectorELNS0_4arch9wavefront6targetE0EEEvS12_,@function
_ZN7rocprim17ROCPRIM_400000_NS6detail17trampoline_kernelINS0_13select_configILj256ELj13ELNS0_17block_load_methodE3ELS4_3ELS4_3ELNS0_20block_scan_algorithmE0ELj4294967295EEENS1_25partition_config_selectorILNS1_17partition_subalgoE4EjNS0_10empty_typeEbEEZZNS1_14partition_implILS8_4ELb0ES6_15HIP_vector_typeIjLj2EENS0_17counting_iteratorIjlEEPS9_SG_NS0_5tupleIJPjSI_NS0_16reverse_iteratorISI_EEEEENSH_IJSG_SG_SG_EEES9_SI_JZNS1_25segmented_radix_sort_implINS0_14default_configELb1EPKbPbPKlPlN2at6native12_GLOBAL__N_18offset_tEEE10hipError_tPvRmT1_PNSt15iterator_traitsIS12_E10value_typeET2_T3_PNS13_IS18_E10value_typeET4_jRbjT5_S1E_jjP12ihipStream_tbEUljE_ZNSN_ISO_Lb1ESQ_SR_ST_SU_SY_EESZ_S10_S11_S12_S16_S17_S18_S1B_S1C_jS1D_jS1E_S1E_jjS1G_bEUljE0_EEESZ_S10_S11_S18_S1C_S1E_T6_T7_T9_mT8_S1G_bDpT10_ENKUlT_T0_E_clISt17integral_constantIbLb1EES1T_IbLb0EEEEDaS1P_S1Q_EUlS1P_E_NS1_11comp_targetILNS1_3genE3ELNS1_11target_archE908ELNS1_3gpuE7ELNS1_3repE0EEENS1_30default_config_static_selectorELNS0_4arch9wavefront6targetE0EEEvS12_: ; @_ZN7rocprim17ROCPRIM_400000_NS6detail17trampoline_kernelINS0_13select_configILj256ELj13ELNS0_17block_load_methodE3ELS4_3ELS4_3ELNS0_20block_scan_algorithmE0ELj4294967295EEENS1_25partition_config_selectorILNS1_17partition_subalgoE4EjNS0_10empty_typeEbEEZZNS1_14partition_implILS8_4ELb0ES6_15HIP_vector_typeIjLj2EENS0_17counting_iteratorIjlEEPS9_SG_NS0_5tupleIJPjSI_NS0_16reverse_iteratorISI_EEEEENSH_IJSG_SG_SG_EEES9_SI_JZNS1_25segmented_radix_sort_implINS0_14default_configELb1EPKbPbPKlPlN2at6native12_GLOBAL__N_18offset_tEEE10hipError_tPvRmT1_PNSt15iterator_traitsIS12_E10value_typeET2_T3_PNS13_IS18_E10value_typeET4_jRbjT5_S1E_jjP12ihipStream_tbEUljE_ZNSN_ISO_Lb1ESQ_SR_ST_SU_SY_EESZ_S10_S11_S12_S16_S17_S18_S1B_S1C_jS1D_jS1E_S1E_jjS1G_bEUljE0_EEESZ_S10_S11_S18_S1C_S1E_T6_T7_T9_mT8_S1G_bDpT10_ENKUlT_T0_E_clISt17integral_constantIbLb1EES1T_IbLb0EEEEDaS1P_S1Q_EUlS1P_E_NS1_11comp_targetILNS1_3genE3ELNS1_11target_archE908ELNS1_3gpuE7ELNS1_3repE0EEENS1_30default_config_static_selectorELNS0_4arch9wavefront6targetE0EEEvS12_
; %bb.0:
	.section	.rodata,"a",@progbits
	.p2align	6, 0x0
	.amdhsa_kernel _ZN7rocprim17ROCPRIM_400000_NS6detail17trampoline_kernelINS0_13select_configILj256ELj13ELNS0_17block_load_methodE3ELS4_3ELS4_3ELNS0_20block_scan_algorithmE0ELj4294967295EEENS1_25partition_config_selectorILNS1_17partition_subalgoE4EjNS0_10empty_typeEbEEZZNS1_14partition_implILS8_4ELb0ES6_15HIP_vector_typeIjLj2EENS0_17counting_iteratorIjlEEPS9_SG_NS0_5tupleIJPjSI_NS0_16reverse_iteratorISI_EEEEENSH_IJSG_SG_SG_EEES9_SI_JZNS1_25segmented_radix_sort_implINS0_14default_configELb1EPKbPbPKlPlN2at6native12_GLOBAL__N_18offset_tEEE10hipError_tPvRmT1_PNSt15iterator_traitsIS12_E10value_typeET2_T3_PNS13_IS18_E10value_typeET4_jRbjT5_S1E_jjP12ihipStream_tbEUljE_ZNSN_ISO_Lb1ESQ_SR_ST_SU_SY_EESZ_S10_S11_S12_S16_S17_S18_S1B_S1C_jS1D_jS1E_S1E_jjS1G_bEUljE0_EEESZ_S10_S11_S18_S1C_S1E_T6_T7_T9_mT8_S1G_bDpT10_ENKUlT_T0_E_clISt17integral_constantIbLb1EES1T_IbLb0EEEEDaS1P_S1Q_EUlS1P_E_NS1_11comp_targetILNS1_3genE3ELNS1_11target_archE908ELNS1_3gpuE7ELNS1_3repE0EEENS1_30default_config_static_selectorELNS0_4arch9wavefront6targetE0EEEvS12_
		.amdhsa_group_segment_fixed_size 0
		.amdhsa_private_segment_fixed_size 0
		.amdhsa_kernarg_size 176
		.amdhsa_user_sgpr_count 2
		.amdhsa_user_sgpr_dispatch_ptr 0
		.amdhsa_user_sgpr_queue_ptr 0
		.amdhsa_user_sgpr_kernarg_segment_ptr 1
		.amdhsa_user_sgpr_dispatch_id 0
		.amdhsa_user_sgpr_kernarg_preload_length 0
		.amdhsa_user_sgpr_kernarg_preload_offset 0
		.amdhsa_user_sgpr_private_segment_size 0
		.amdhsa_wavefront_size32 1
		.amdhsa_uses_dynamic_stack 0
		.amdhsa_enable_private_segment 0
		.amdhsa_system_sgpr_workgroup_id_x 1
		.amdhsa_system_sgpr_workgroup_id_y 0
		.amdhsa_system_sgpr_workgroup_id_z 0
		.amdhsa_system_sgpr_workgroup_info 0
		.amdhsa_system_vgpr_workitem_id 0
		.amdhsa_next_free_vgpr 1
		.amdhsa_next_free_sgpr 1
		.amdhsa_named_barrier_count 0
		.amdhsa_reserve_vcc 0
		.amdhsa_float_round_mode_32 0
		.amdhsa_float_round_mode_16_64 0
		.amdhsa_float_denorm_mode_32 3
		.amdhsa_float_denorm_mode_16_64 3
		.amdhsa_fp16_overflow 0
		.amdhsa_memory_ordered 1
		.amdhsa_forward_progress 1
		.amdhsa_inst_pref_size 0
		.amdhsa_round_robin_scheduling 0
		.amdhsa_exception_fp_ieee_invalid_op 0
		.amdhsa_exception_fp_denorm_src 0
		.amdhsa_exception_fp_ieee_div_zero 0
		.amdhsa_exception_fp_ieee_overflow 0
		.amdhsa_exception_fp_ieee_underflow 0
		.amdhsa_exception_fp_ieee_inexact 0
		.amdhsa_exception_int_div_zero 0
	.end_amdhsa_kernel
	.section	.text._ZN7rocprim17ROCPRIM_400000_NS6detail17trampoline_kernelINS0_13select_configILj256ELj13ELNS0_17block_load_methodE3ELS4_3ELS4_3ELNS0_20block_scan_algorithmE0ELj4294967295EEENS1_25partition_config_selectorILNS1_17partition_subalgoE4EjNS0_10empty_typeEbEEZZNS1_14partition_implILS8_4ELb0ES6_15HIP_vector_typeIjLj2EENS0_17counting_iteratorIjlEEPS9_SG_NS0_5tupleIJPjSI_NS0_16reverse_iteratorISI_EEEEENSH_IJSG_SG_SG_EEES9_SI_JZNS1_25segmented_radix_sort_implINS0_14default_configELb1EPKbPbPKlPlN2at6native12_GLOBAL__N_18offset_tEEE10hipError_tPvRmT1_PNSt15iterator_traitsIS12_E10value_typeET2_T3_PNS13_IS18_E10value_typeET4_jRbjT5_S1E_jjP12ihipStream_tbEUljE_ZNSN_ISO_Lb1ESQ_SR_ST_SU_SY_EESZ_S10_S11_S12_S16_S17_S18_S1B_S1C_jS1D_jS1E_S1E_jjS1G_bEUljE0_EEESZ_S10_S11_S18_S1C_S1E_T6_T7_T9_mT8_S1G_bDpT10_ENKUlT_T0_E_clISt17integral_constantIbLb1EES1T_IbLb0EEEEDaS1P_S1Q_EUlS1P_E_NS1_11comp_targetILNS1_3genE3ELNS1_11target_archE908ELNS1_3gpuE7ELNS1_3repE0EEENS1_30default_config_static_selectorELNS0_4arch9wavefront6targetE0EEEvS12_,"axG",@progbits,_ZN7rocprim17ROCPRIM_400000_NS6detail17trampoline_kernelINS0_13select_configILj256ELj13ELNS0_17block_load_methodE3ELS4_3ELS4_3ELNS0_20block_scan_algorithmE0ELj4294967295EEENS1_25partition_config_selectorILNS1_17partition_subalgoE4EjNS0_10empty_typeEbEEZZNS1_14partition_implILS8_4ELb0ES6_15HIP_vector_typeIjLj2EENS0_17counting_iteratorIjlEEPS9_SG_NS0_5tupleIJPjSI_NS0_16reverse_iteratorISI_EEEEENSH_IJSG_SG_SG_EEES9_SI_JZNS1_25segmented_radix_sort_implINS0_14default_configELb1EPKbPbPKlPlN2at6native12_GLOBAL__N_18offset_tEEE10hipError_tPvRmT1_PNSt15iterator_traitsIS12_E10value_typeET2_T3_PNS13_IS18_E10value_typeET4_jRbjT5_S1E_jjP12ihipStream_tbEUljE_ZNSN_ISO_Lb1ESQ_SR_ST_SU_SY_EESZ_S10_S11_S12_S16_S17_S18_S1B_S1C_jS1D_jS1E_S1E_jjS1G_bEUljE0_EEESZ_S10_S11_S18_S1C_S1E_T6_T7_T9_mT8_S1G_bDpT10_ENKUlT_T0_E_clISt17integral_constantIbLb1EES1T_IbLb0EEEEDaS1P_S1Q_EUlS1P_E_NS1_11comp_targetILNS1_3genE3ELNS1_11target_archE908ELNS1_3gpuE7ELNS1_3repE0EEENS1_30default_config_static_selectorELNS0_4arch9wavefront6targetE0EEEvS12_,comdat
.Lfunc_end1479:
	.size	_ZN7rocprim17ROCPRIM_400000_NS6detail17trampoline_kernelINS0_13select_configILj256ELj13ELNS0_17block_load_methodE3ELS4_3ELS4_3ELNS0_20block_scan_algorithmE0ELj4294967295EEENS1_25partition_config_selectorILNS1_17partition_subalgoE4EjNS0_10empty_typeEbEEZZNS1_14partition_implILS8_4ELb0ES6_15HIP_vector_typeIjLj2EENS0_17counting_iteratorIjlEEPS9_SG_NS0_5tupleIJPjSI_NS0_16reverse_iteratorISI_EEEEENSH_IJSG_SG_SG_EEES9_SI_JZNS1_25segmented_radix_sort_implINS0_14default_configELb1EPKbPbPKlPlN2at6native12_GLOBAL__N_18offset_tEEE10hipError_tPvRmT1_PNSt15iterator_traitsIS12_E10value_typeET2_T3_PNS13_IS18_E10value_typeET4_jRbjT5_S1E_jjP12ihipStream_tbEUljE_ZNSN_ISO_Lb1ESQ_SR_ST_SU_SY_EESZ_S10_S11_S12_S16_S17_S18_S1B_S1C_jS1D_jS1E_S1E_jjS1G_bEUljE0_EEESZ_S10_S11_S18_S1C_S1E_T6_T7_T9_mT8_S1G_bDpT10_ENKUlT_T0_E_clISt17integral_constantIbLb1EES1T_IbLb0EEEEDaS1P_S1Q_EUlS1P_E_NS1_11comp_targetILNS1_3genE3ELNS1_11target_archE908ELNS1_3gpuE7ELNS1_3repE0EEENS1_30default_config_static_selectorELNS0_4arch9wavefront6targetE0EEEvS12_, .Lfunc_end1479-_ZN7rocprim17ROCPRIM_400000_NS6detail17trampoline_kernelINS0_13select_configILj256ELj13ELNS0_17block_load_methodE3ELS4_3ELS4_3ELNS0_20block_scan_algorithmE0ELj4294967295EEENS1_25partition_config_selectorILNS1_17partition_subalgoE4EjNS0_10empty_typeEbEEZZNS1_14partition_implILS8_4ELb0ES6_15HIP_vector_typeIjLj2EENS0_17counting_iteratorIjlEEPS9_SG_NS0_5tupleIJPjSI_NS0_16reverse_iteratorISI_EEEEENSH_IJSG_SG_SG_EEES9_SI_JZNS1_25segmented_radix_sort_implINS0_14default_configELb1EPKbPbPKlPlN2at6native12_GLOBAL__N_18offset_tEEE10hipError_tPvRmT1_PNSt15iterator_traitsIS12_E10value_typeET2_T3_PNS13_IS18_E10value_typeET4_jRbjT5_S1E_jjP12ihipStream_tbEUljE_ZNSN_ISO_Lb1ESQ_SR_ST_SU_SY_EESZ_S10_S11_S12_S16_S17_S18_S1B_S1C_jS1D_jS1E_S1E_jjS1G_bEUljE0_EEESZ_S10_S11_S18_S1C_S1E_T6_T7_T9_mT8_S1G_bDpT10_ENKUlT_T0_E_clISt17integral_constantIbLb1EES1T_IbLb0EEEEDaS1P_S1Q_EUlS1P_E_NS1_11comp_targetILNS1_3genE3ELNS1_11target_archE908ELNS1_3gpuE7ELNS1_3repE0EEENS1_30default_config_static_selectorELNS0_4arch9wavefront6targetE0EEEvS12_
                                        ; -- End function
	.set _ZN7rocprim17ROCPRIM_400000_NS6detail17trampoline_kernelINS0_13select_configILj256ELj13ELNS0_17block_load_methodE3ELS4_3ELS4_3ELNS0_20block_scan_algorithmE0ELj4294967295EEENS1_25partition_config_selectorILNS1_17partition_subalgoE4EjNS0_10empty_typeEbEEZZNS1_14partition_implILS8_4ELb0ES6_15HIP_vector_typeIjLj2EENS0_17counting_iteratorIjlEEPS9_SG_NS0_5tupleIJPjSI_NS0_16reverse_iteratorISI_EEEEENSH_IJSG_SG_SG_EEES9_SI_JZNS1_25segmented_radix_sort_implINS0_14default_configELb1EPKbPbPKlPlN2at6native12_GLOBAL__N_18offset_tEEE10hipError_tPvRmT1_PNSt15iterator_traitsIS12_E10value_typeET2_T3_PNS13_IS18_E10value_typeET4_jRbjT5_S1E_jjP12ihipStream_tbEUljE_ZNSN_ISO_Lb1ESQ_SR_ST_SU_SY_EESZ_S10_S11_S12_S16_S17_S18_S1B_S1C_jS1D_jS1E_S1E_jjS1G_bEUljE0_EEESZ_S10_S11_S18_S1C_S1E_T6_T7_T9_mT8_S1G_bDpT10_ENKUlT_T0_E_clISt17integral_constantIbLb1EES1T_IbLb0EEEEDaS1P_S1Q_EUlS1P_E_NS1_11comp_targetILNS1_3genE3ELNS1_11target_archE908ELNS1_3gpuE7ELNS1_3repE0EEENS1_30default_config_static_selectorELNS0_4arch9wavefront6targetE0EEEvS12_.num_vgpr, 0
	.set _ZN7rocprim17ROCPRIM_400000_NS6detail17trampoline_kernelINS0_13select_configILj256ELj13ELNS0_17block_load_methodE3ELS4_3ELS4_3ELNS0_20block_scan_algorithmE0ELj4294967295EEENS1_25partition_config_selectorILNS1_17partition_subalgoE4EjNS0_10empty_typeEbEEZZNS1_14partition_implILS8_4ELb0ES6_15HIP_vector_typeIjLj2EENS0_17counting_iteratorIjlEEPS9_SG_NS0_5tupleIJPjSI_NS0_16reverse_iteratorISI_EEEEENSH_IJSG_SG_SG_EEES9_SI_JZNS1_25segmented_radix_sort_implINS0_14default_configELb1EPKbPbPKlPlN2at6native12_GLOBAL__N_18offset_tEEE10hipError_tPvRmT1_PNSt15iterator_traitsIS12_E10value_typeET2_T3_PNS13_IS18_E10value_typeET4_jRbjT5_S1E_jjP12ihipStream_tbEUljE_ZNSN_ISO_Lb1ESQ_SR_ST_SU_SY_EESZ_S10_S11_S12_S16_S17_S18_S1B_S1C_jS1D_jS1E_S1E_jjS1G_bEUljE0_EEESZ_S10_S11_S18_S1C_S1E_T6_T7_T9_mT8_S1G_bDpT10_ENKUlT_T0_E_clISt17integral_constantIbLb1EES1T_IbLb0EEEEDaS1P_S1Q_EUlS1P_E_NS1_11comp_targetILNS1_3genE3ELNS1_11target_archE908ELNS1_3gpuE7ELNS1_3repE0EEENS1_30default_config_static_selectorELNS0_4arch9wavefront6targetE0EEEvS12_.num_agpr, 0
	.set _ZN7rocprim17ROCPRIM_400000_NS6detail17trampoline_kernelINS0_13select_configILj256ELj13ELNS0_17block_load_methodE3ELS4_3ELS4_3ELNS0_20block_scan_algorithmE0ELj4294967295EEENS1_25partition_config_selectorILNS1_17partition_subalgoE4EjNS0_10empty_typeEbEEZZNS1_14partition_implILS8_4ELb0ES6_15HIP_vector_typeIjLj2EENS0_17counting_iteratorIjlEEPS9_SG_NS0_5tupleIJPjSI_NS0_16reverse_iteratorISI_EEEEENSH_IJSG_SG_SG_EEES9_SI_JZNS1_25segmented_radix_sort_implINS0_14default_configELb1EPKbPbPKlPlN2at6native12_GLOBAL__N_18offset_tEEE10hipError_tPvRmT1_PNSt15iterator_traitsIS12_E10value_typeET2_T3_PNS13_IS18_E10value_typeET4_jRbjT5_S1E_jjP12ihipStream_tbEUljE_ZNSN_ISO_Lb1ESQ_SR_ST_SU_SY_EESZ_S10_S11_S12_S16_S17_S18_S1B_S1C_jS1D_jS1E_S1E_jjS1G_bEUljE0_EEESZ_S10_S11_S18_S1C_S1E_T6_T7_T9_mT8_S1G_bDpT10_ENKUlT_T0_E_clISt17integral_constantIbLb1EES1T_IbLb0EEEEDaS1P_S1Q_EUlS1P_E_NS1_11comp_targetILNS1_3genE3ELNS1_11target_archE908ELNS1_3gpuE7ELNS1_3repE0EEENS1_30default_config_static_selectorELNS0_4arch9wavefront6targetE0EEEvS12_.numbered_sgpr, 0
	.set _ZN7rocprim17ROCPRIM_400000_NS6detail17trampoline_kernelINS0_13select_configILj256ELj13ELNS0_17block_load_methodE3ELS4_3ELS4_3ELNS0_20block_scan_algorithmE0ELj4294967295EEENS1_25partition_config_selectorILNS1_17partition_subalgoE4EjNS0_10empty_typeEbEEZZNS1_14partition_implILS8_4ELb0ES6_15HIP_vector_typeIjLj2EENS0_17counting_iteratorIjlEEPS9_SG_NS0_5tupleIJPjSI_NS0_16reverse_iteratorISI_EEEEENSH_IJSG_SG_SG_EEES9_SI_JZNS1_25segmented_radix_sort_implINS0_14default_configELb1EPKbPbPKlPlN2at6native12_GLOBAL__N_18offset_tEEE10hipError_tPvRmT1_PNSt15iterator_traitsIS12_E10value_typeET2_T3_PNS13_IS18_E10value_typeET4_jRbjT5_S1E_jjP12ihipStream_tbEUljE_ZNSN_ISO_Lb1ESQ_SR_ST_SU_SY_EESZ_S10_S11_S12_S16_S17_S18_S1B_S1C_jS1D_jS1E_S1E_jjS1G_bEUljE0_EEESZ_S10_S11_S18_S1C_S1E_T6_T7_T9_mT8_S1G_bDpT10_ENKUlT_T0_E_clISt17integral_constantIbLb1EES1T_IbLb0EEEEDaS1P_S1Q_EUlS1P_E_NS1_11comp_targetILNS1_3genE3ELNS1_11target_archE908ELNS1_3gpuE7ELNS1_3repE0EEENS1_30default_config_static_selectorELNS0_4arch9wavefront6targetE0EEEvS12_.num_named_barrier, 0
	.set _ZN7rocprim17ROCPRIM_400000_NS6detail17trampoline_kernelINS0_13select_configILj256ELj13ELNS0_17block_load_methodE3ELS4_3ELS4_3ELNS0_20block_scan_algorithmE0ELj4294967295EEENS1_25partition_config_selectorILNS1_17partition_subalgoE4EjNS0_10empty_typeEbEEZZNS1_14partition_implILS8_4ELb0ES6_15HIP_vector_typeIjLj2EENS0_17counting_iteratorIjlEEPS9_SG_NS0_5tupleIJPjSI_NS0_16reverse_iteratorISI_EEEEENSH_IJSG_SG_SG_EEES9_SI_JZNS1_25segmented_radix_sort_implINS0_14default_configELb1EPKbPbPKlPlN2at6native12_GLOBAL__N_18offset_tEEE10hipError_tPvRmT1_PNSt15iterator_traitsIS12_E10value_typeET2_T3_PNS13_IS18_E10value_typeET4_jRbjT5_S1E_jjP12ihipStream_tbEUljE_ZNSN_ISO_Lb1ESQ_SR_ST_SU_SY_EESZ_S10_S11_S12_S16_S17_S18_S1B_S1C_jS1D_jS1E_S1E_jjS1G_bEUljE0_EEESZ_S10_S11_S18_S1C_S1E_T6_T7_T9_mT8_S1G_bDpT10_ENKUlT_T0_E_clISt17integral_constantIbLb1EES1T_IbLb0EEEEDaS1P_S1Q_EUlS1P_E_NS1_11comp_targetILNS1_3genE3ELNS1_11target_archE908ELNS1_3gpuE7ELNS1_3repE0EEENS1_30default_config_static_selectorELNS0_4arch9wavefront6targetE0EEEvS12_.private_seg_size, 0
	.set _ZN7rocprim17ROCPRIM_400000_NS6detail17trampoline_kernelINS0_13select_configILj256ELj13ELNS0_17block_load_methodE3ELS4_3ELS4_3ELNS0_20block_scan_algorithmE0ELj4294967295EEENS1_25partition_config_selectorILNS1_17partition_subalgoE4EjNS0_10empty_typeEbEEZZNS1_14partition_implILS8_4ELb0ES6_15HIP_vector_typeIjLj2EENS0_17counting_iteratorIjlEEPS9_SG_NS0_5tupleIJPjSI_NS0_16reverse_iteratorISI_EEEEENSH_IJSG_SG_SG_EEES9_SI_JZNS1_25segmented_radix_sort_implINS0_14default_configELb1EPKbPbPKlPlN2at6native12_GLOBAL__N_18offset_tEEE10hipError_tPvRmT1_PNSt15iterator_traitsIS12_E10value_typeET2_T3_PNS13_IS18_E10value_typeET4_jRbjT5_S1E_jjP12ihipStream_tbEUljE_ZNSN_ISO_Lb1ESQ_SR_ST_SU_SY_EESZ_S10_S11_S12_S16_S17_S18_S1B_S1C_jS1D_jS1E_S1E_jjS1G_bEUljE0_EEESZ_S10_S11_S18_S1C_S1E_T6_T7_T9_mT8_S1G_bDpT10_ENKUlT_T0_E_clISt17integral_constantIbLb1EES1T_IbLb0EEEEDaS1P_S1Q_EUlS1P_E_NS1_11comp_targetILNS1_3genE3ELNS1_11target_archE908ELNS1_3gpuE7ELNS1_3repE0EEENS1_30default_config_static_selectorELNS0_4arch9wavefront6targetE0EEEvS12_.uses_vcc, 0
	.set _ZN7rocprim17ROCPRIM_400000_NS6detail17trampoline_kernelINS0_13select_configILj256ELj13ELNS0_17block_load_methodE3ELS4_3ELS4_3ELNS0_20block_scan_algorithmE0ELj4294967295EEENS1_25partition_config_selectorILNS1_17partition_subalgoE4EjNS0_10empty_typeEbEEZZNS1_14partition_implILS8_4ELb0ES6_15HIP_vector_typeIjLj2EENS0_17counting_iteratorIjlEEPS9_SG_NS0_5tupleIJPjSI_NS0_16reverse_iteratorISI_EEEEENSH_IJSG_SG_SG_EEES9_SI_JZNS1_25segmented_radix_sort_implINS0_14default_configELb1EPKbPbPKlPlN2at6native12_GLOBAL__N_18offset_tEEE10hipError_tPvRmT1_PNSt15iterator_traitsIS12_E10value_typeET2_T3_PNS13_IS18_E10value_typeET4_jRbjT5_S1E_jjP12ihipStream_tbEUljE_ZNSN_ISO_Lb1ESQ_SR_ST_SU_SY_EESZ_S10_S11_S12_S16_S17_S18_S1B_S1C_jS1D_jS1E_S1E_jjS1G_bEUljE0_EEESZ_S10_S11_S18_S1C_S1E_T6_T7_T9_mT8_S1G_bDpT10_ENKUlT_T0_E_clISt17integral_constantIbLb1EES1T_IbLb0EEEEDaS1P_S1Q_EUlS1P_E_NS1_11comp_targetILNS1_3genE3ELNS1_11target_archE908ELNS1_3gpuE7ELNS1_3repE0EEENS1_30default_config_static_selectorELNS0_4arch9wavefront6targetE0EEEvS12_.uses_flat_scratch, 0
	.set _ZN7rocprim17ROCPRIM_400000_NS6detail17trampoline_kernelINS0_13select_configILj256ELj13ELNS0_17block_load_methodE3ELS4_3ELS4_3ELNS0_20block_scan_algorithmE0ELj4294967295EEENS1_25partition_config_selectorILNS1_17partition_subalgoE4EjNS0_10empty_typeEbEEZZNS1_14partition_implILS8_4ELb0ES6_15HIP_vector_typeIjLj2EENS0_17counting_iteratorIjlEEPS9_SG_NS0_5tupleIJPjSI_NS0_16reverse_iteratorISI_EEEEENSH_IJSG_SG_SG_EEES9_SI_JZNS1_25segmented_radix_sort_implINS0_14default_configELb1EPKbPbPKlPlN2at6native12_GLOBAL__N_18offset_tEEE10hipError_tPvRmT1_PNSt15iterator_traitsIS12_E10value_typeET2_T3_PNS13_IS18_E10value_typeET4_jRbjT5_S1E_jjP12ihipStream_tbEUljE_ZNSN_ISO_Lb1ESQ_SR_ST_SU_SY_EESZ_S10_S11_S12_S16_S17_S18_S1B_S1C_jS1D_jS1E_S1E_jjS1G_bEUljE0_EEESZ_S10_S11_S18_S1C_S1E_T6_T7_T9_mT8_S1G_bDpT10_ENKUlT_T0_E_clISt17integral_constantIbLb1EES1T_IbLb0EEEEDaS1P_S1Q_EUlS1P_E_NS1_11comp_targetILNS1_3genE3ELNS1_11target_archE908ELNS1_3gpuE7ELNS1_3repE0EEENS1_30default_config_static_selectorELNS0_4arch9wavefront6targetE0EEEvS12_.has_dyn_sized_stack, 0
	.set _ZN7rocprim17ROCPRIM_400000_NS6detail17trampoline_kernelINS0_13select_configILj256ELj13ELNS0_17block_load_methodE3ELS4_3ELS4_3ELNS0_20block_scan_algorithmE0ELj4294967295EEENS1_25partition_config_selectorILNS1_17partition_subalgoE4EjNS0_10empty_typeEbEEZZNS1_14partition_implILS8_4ELb0ES6_15HIP_vector_typeIjLj2EENS0_17counting_iteratorIjlEEPS9_SG_NS0_5tupleIJPjSI_NS0_16reverse_iteratorISI_EEEEENSH_IJSG_SG_SG_EEES9_SI_JZNS1_25segmented_radix_sort_implINS0_14default_configELb1EPKbPbPKlPlN2at6native12_GLOBAL__N_18offset_tEEE10hipError_tPvRmT1_PNSt15iterator_traitsIS12_E10value_typeET2_T3_PNS13_IS18_E10value_typeET4_jRbjT5_S1E_jjP12ihipStream_tbEUljE_ZNSN_ISO_Lb1ESQ_SR_ST_SU_SY_EESZ_S10_S11_S12_S16_S17_S18_S1B_S1C_jS1D_jS1E_S1E_jjS1G_bEUljE0_EEESZ_S10_S11_S18_S1C_S1E_T6_T7_T9_mT8_S1G_bDpT10_ENKUlT_T0_E_clISt17integral_constantIbLb1EES1T_IbLb0EEEEDaS1P_S1Q_EUlS1P_E_NS1_11comp_targetILNS1_3genE3ELNS1_11target_archE908ELNS1_3gpuE7ELNS1_3repE0EEENS1_30default_config_static_selectorELNS0_4arch9wavefront6targetE0EEEvS12_.has_recursion, 0
	.set _ZN7rocprim17ROCPRIM_400000_NS6detail17trampoline_kernelINS0_13select_configILj256ELj13ELNS0_17block_load_methodE3ELS4_3ELS4_3ELNS0_20block_scan_algorithmE0ELj4294967295EEENS1_25partition_config_selectorILNS1_17partition_subalgoE4EjNS0_10empty_typeEbEEZZNS1_14partition_implILS8_4ELb0ES6_15HIP_vector_typeIjLj2EENS0_17counting_iteratorIjlEEPS9_SG_NS0_5tupleIJPjSI_NS0_16reverse_iteratorISI_EEEEENSH_IJSG_SG_SG_EEES9_SI_JZNS1_25segmented_radix_sort_implINS0_14default_configELb1EPKbPbPKlPlN2at6native12_GLOBAL__N_18offset_tEEE10hipError_tPvRmT1_PNSt15iterator_traitsIS12_E10value_typeET2_T3_PNS13_IS18_E10value_typeET4_jRbjT5_S1E_jjP12ihipStream_tbEUljE_ZNSN_ISO_Lb1ESQ_SR_ST_SU_SY_EESZ_S10_S11_S12_S16_S17_S18_S1B_S1C_jS1D_jS1E_S1E_jjS1G_bEUljE0_EEESZ_S10_S11_S18_S1C_S1E_T6_T7_T9_mT8_S1G_bDpT10_ENKUlT_T0_E_clISt17integral_constantIbLb1EES1T_IbLb0EEEEDaS1P_S1Q_EUlS1P_E_NS1_11comp_targetILNS1_3genE3ELNS1_11target_archE908ELNS1_3gpuE7ELNS1_3repE0EEENS1_30default_config_static_selectorELNS0_4arch9wavefront6targetE0EEEvS12_.has_indirect_call, 0
	.section	.AMDGPU.csdata,"",@progbits
; Kernel info:
; codeLenInByte = 0
; TotalNumSgprs: 0
; NumVgprs: 0
; ScratchSize: 0
; MemoryBound: 0
; FloatMode: 240
; IeeeMode: 1
; LDSByteSize: 0 bytes/workgroup (compile time only)
; SGPRBlocks: 0
; VGPRBlocks: 0
; NumSGPRsForWavesPerEU: 1
; NumVGPRsForWavesPerEU: 1
; NamedBarCnt: 0
; Occupancy: 16
; WaveLimiterHint : 0
; COMPUTE_PGM_RSRC2:SCRATCH_EN: 0
; COMPUTE_PGM_RSRC2:USER_SGPR: 2
; COMPUTE_PGM_RSRC2:TRAP_HANDLER: 0
; COMPUTE_PGM_RSRC2:TGID_X_EN: 1
; COMPUTE_PGM_RSRC2:TGID_Y_EN: 0
; COMPUTE_PGM_RSRC2:TGID_Z_EN: 0
; COMPUTE_PGM_RSRC2:TIDIG_COMP_CNT: 0
	.section	.text._ZN7rocprim17ROCPRIM_400000_NS6detail17trampoline_kernelINS0_13select_configILj256ELj13ELNS0_17block_load_methodE3ELS4_3ELS4_3ELNS0_20block_scan_algorithmE0ELj4294967295EEENS1_25partition_config_selectorILNS1_17partition_subalgoE4EjNS0_10empty_typeEbEEZZNS1_14partition_implILS8_4ELb0ES6_15HIP_vector_typeIjLj2EENS0_17counting_iteratorIjlEEPS9_SG_NS0_5tupleIJPjSI_NS0_16reverse_iteratorISI_EEEEENSH_IJSG_SG_SG_EEES9_SI_JZNS1_25segmented_radix_sort_implINS0_14default_configELb1EPKbPbPKlPlN2at6native12_GLOBAL__N_18offset_tEEE10hipError_tPvRmT1_PNSt15iterator_traitsIS12_E10value_typeET2_T3_PNS13_IS18_E10value_typeET4_jRbjT5_S1E_jjP12ihipStream_tbEUljE_ZNSN_ISO_Lb1ESQ_SR_ST_SU_SY_EESZ_S10_S11_S12_S16_S17_S18_S1B_S1C_jS1D_jS1E_S1E_jjS1G_bEUljE0_EEESZ_S10_S11_S18_S1C_S1E_T6_T7_T9_mT8_S1G_bDpT10_ENKUlT_T0_E_clISt17integral_constantIbLb1EES1T_IbLb0EEEEDaS1P_S1Q_EUlS1P_E_NS1_11comp_targetILNS1_3genE2ELNS1_11target_archE906ELNS1_3gpuE6ELNS1_3repE0EEENS1_30default_config_static_selectorELNS0_4arch9wavefront6targetE0EEEvS12_,"axG",@progbits,_ZN7rocprim17ROCPRIM_400000_NS6detail17trampoline_kernelINS0_13select_configILj256ELj13ELNS0_17block_load_methodE3ELS4_3ELS4_3ELNS0_20block_scan_algorithmE0ELj4294967295EEENS1_25partition_config_selectorILNS1_17partition_subalgoE4EjNS0_10empty_typeEbEEZZNS1_14partition_implILS8_4ELb0ES6_15HIP_vector_typeIjLj2EENS0_17counting_iteratorIjlEEPS9_SG_NS0_5tupleIJPjSI_NS0_16reverse_iteratorISI_EEEEENSH_IJSG_SG_SG_EEES9_SI_JZNS1_25segmented_radix_sort_implINS0_14default_configELb1EPKbPbPKlPlN2at6native12_GLOBAL__N_18offset_tEEE10hipError_tPvRmT1_PNSt15iterator_traitsIS12_E10value_typeET2_T3_PNS13_IS18_E10value_typeET4_jRbjT5_S1E_jjP12ihipStream_tbEUljE_ZNSN_ISO_Lb1ESQ_SR_ST_SU_SY_EESZ_S10_S11_S12_S16_S17_S18_S1B_S1C_jS1D_jS1E_S1E_jjS1G_bEUljE0_EEESZ_S10_S11_S18_S1C_S1E_T6_T7_T9_mT8_S1G_bDpT10_ENKUlT_T0_E_clISt17integral_constantIbLb1EES1T_IbLb0EEEEDaS1P_S1Q_EUlS1P_E_NS1_11comp_targetILNS1_3genE2ELNS1_11target_archE906ELNS1_3gpuE6ELNS1_3repE0EEENS1_30default_config_static_selectorELNS0_4arch9wavefront6targetE0EEEvS12_,comdat
	.globl	_ZN7rocprim17ROCPRIM_400000_NS6detail17trampoline_kernelINS0_13select_configILj256ELj13ELNS0_17block_load_methodE3ELS4_3ELS4_3ELNS0_20block_scan_algorithmE0ELj4294967295EEENS1_25partition_config_selectorILNS1_17partition_subalgoE4EjNS0_10empty_typeEbEEZZNS1_14partition_implILS8_4ELb0ES6_15HIP_vector_typeIjLj2EENS0_17counting_iteratorIjlEEPS9_SG_NS0_5tupleIJPjSI_NS0_16reverse_iteratorISI_EEEEENSH_IJSG_SG_SG_EEES9_SI_JZNS1_25segmented_radix_sort_implINS0_14default_configELb1EPKbPbPKlPlN2at6native12_GLOBAL__N_18offset_tEEE10hipError_tPvRmT1_PNSt15iterator_traitsIS12_E10value_typeET2_T3_PNS13_IS18_E10value_typeET4_jRbjT5_S1E_jjP12ihipStream_tbEUljE_ZNSN_ISO_Lb1ESQ_SR_ST_SU_SY_EESZ_S10_S11_S12_S16_S17_S18_S1B_S1C_jS1D_jS1E_S1E_jjS1G_bEUljE0_EEESZ_S10_S11_S18_S1C_S1E_T6_T7_T9_mT8_S1G_bDpT10_ENKUlT_T0_E_clISt17integral_constantIbLb1EES1T_IbLb0EEEEDaS1P_S1Q_EUlS1P_E_NS1_11comp_targetILNS1_3genE2ELNS1_11target_archE906ELNS1_3gpuE6ELNS1_3repE0EEENS1_30default_config_static_selectorELNS0_4arch9wavefront6targetE0EEEvS12_ ; -- Begin function _ZN7rocprim17ROCPRIM_400000_NS6detail17trampoline_kernelINS0_13select_configILj256ELj13ELNS0_17block_load_methodE3ELS4_3ELS4_3ELNS0_20block_scan_algorithmE0ELj4294967295EEENS1_25partition_config_selectorILNS1_17partition_subalgoE4EjNS0_10empty_typeEbEEZZNS1_14partition_implILS8_4ELb0ES6_15HIP_vector_typeIjLj2EENS0_17counting_iteratorIjlEEPS9_SG_NS0_5tupleIJPjSI_NS0_16reverse_iteratorISI_EEEEENSH_IJSG_SG_SG_EEES9_SI_JZNS1_25segmented_radix_sort_implINS0_14default_configELb1EPKbPbPKlPlN2at6native12_GLOBAL__N_18offset_tEEE10hipError_tPvRmT1_PNSt15iterator_traitsIS12_E10value_typeET2_T3_PNS13_IS18_E10value_typeET4_jRbjT5_S1E_jjP12ihipStream_tbEUljE_ZNSN_ISO_Lb1ESQ_SR_ST_SU_SY_EESZ_S10_S11_S12_S16_S17_S18_S1B_S1C_jS1D_jS1E_S1E_jjS1G_bEUljE0_EEESZ_S10_S11_S18_S1C_S1E_T6_T7_T9_mT8_S1G_bDpT10_ENKUlT_T0_E_clISt17integral_constantIbLb1EES1T_IbLb0EEEEDaS1P_S1Q_EUlS1P_E_NS1_11comp_targetILNS1_3genE2ELNS1_11target_archE906ELNS1_3gpuE6ELNS1_3repE0EEENS1_30default_config_static_selectorELNS0_4arch9wavefront6targetE0EEEvS12_
	.p2align	8
	.type	_ZN7rocprim17ROCPRIM_400000_NS6detail17trampoline_kernelINS0_13select_configILj256ELj13ELNS0_17block_load_methodE3ELS4_3ELS4_3ELNS0_20block_scan_algorithmE0ELj4294967295EEENS1_25partition_config_selectorILNS1_17partition_subalgoE4EjNS0_10empty_typeEbEEZZNS1_14partition_implILS8_4ELb0ES6_15HIP_vector_typeIjLj2EENS0_17counting_iteratorIjlEEPS9_SG_NS0_5tupleIJPjSI_NS0_16reverse_iteratorISI_EEEEENSH_IJSG_SG_SG_EEES9_SI_JZNS1_25segmented_radix_sort_implINS0_14default_configELb1EPKbPbPKlPlN2at6native12_GLOBAL__N_18offset_tEEE10hipError_tPvRmT1_PNSt15iterator_traitsIS12_E10value_typeET2_T3_PNS13_IS18_E10value_typeET4_jRbjT5_S1E_jjP12ihipStream_tbEUljE_ZNSN_ISO_Lb1ESQ_SR_ST_SU_SY_EESZ_S10_S11_S12_S16_S17_S18_S1B_S1C_jS1D_jS1E_S1E_jjS1G_bEUljE0_EEESZ_S10_S11_S18_S1C_S1E_T6_T7_T9_mT8_S1G_bDpT10_ENKUlT_T0_E_clISt17integral_constantIbLb1EES1T_IbLb0EEEEDaS1P_S1Q_EUlS1P_E_NS1_11comp_targetILNS1_3genE2ELNS1_11target_archE906ELNS1_3gpuE6ELNS1_3repE0EEENS1_30default_config_static_selectorELNS0_4arch9wavefront6targetE0EEEvS12_,@function
_ZN7rocprim17ROCPRIM_400000_NS6detail17trampoline_kernelINS0_13select_configILj256ELj13ELNS0_17block_load_methodE3ELS4_3ELS4_3ELNS0_20block_scan_algorithmE0ELj4294967295EEENS1_25partition_config_selectorILNS1_17partition_subalgoE4EjNS0_10empty_typeEbEEZZNS1_14partition_implILS8_4ELb0ES6_15HIP_vector_typeIjLj2EENS0_17counting_iteratorIjlEEPS9_SG_NS0_5tupleIJPjSI_NS0_16reverse_iteratorISI_EEEEENSH_IJSG_SG_SG_EEES9_SI_JZNS1_25segmented_radix_sort_implINS0_14default_configELb1EPKbPbPKlPlN2at6native12_GLOBAL__N_18offset_tEEE10hipError_tPvRmT1_PNSt15iterator_traitsIS12_E10value_typeET2_T3_PNS13_IS18_E10value_typeET4_jRbjT5_S1E_jjP12ihipStream_tbEUljE_ZNSN_ISO_Lb1ESQ_SR_ST_SU_SY_EESZ_S10_S11_S12_S16_S17_S18_S1B_S1C_jS1D_jS1E_S1E_jjS1G_bEUljE0_EEESZ_S10_S11_S18_S1C_S1E_T6_T7_T9_mT8_S1G_bDpT10_ENKUlT_T0_E_clISt17integral_constantIbLb1EES1T_IbLb0EEEEDaS1P_S1Q_EUlS1P_E_NS1_11comp_targetILNS1_3genE2ELNS1_11target_archE906ELNS1_3gpuE6ELNS1_3repE0EEENS1_30default_config_static_selectorELNS0_4arch9wavefront6targetE0EEEvS12_: ; @_ZN7rocprim17ROCPRIM_400000_NS6detail17trampoline_kernelINS0_13select_configILj256ELj13ELNS0_17block_load_methodE3ELS4_3ELS4_3ELNS0_20block_scan_algorithmE0ELj4294967295EEENS1_25partition_config_selectorILNS1_17partition_subalgoE4EjNS0_10empty_typeEbEEZZNS1_14partition_implILS8_4ELb0ES6_15HIP_vector_typeIjLj2EENS0_17counting_iteratorIjlEEPS9_SG_NS0_5tupleIJPjSI_NS0_16reverse_iteratorISI_EEEEENSH_IJSG_SG_SG_EEES9_SI_JZNS1_25segmented_radix_sort_implINS0_14default_configELb1EPKbPbPKlPlN2at6native12_GLOBAL__N_18offset_tEEE10hipError_tPvRmT1_PNSt15iterator_traitsIS12_E10value_typeET2_T3_PNS13_IS18_E10value_typeET4_jRbjT5_S1E_jjP12ihipStream_tbEUljE_ZNSN_ISO_Lb1ESQ_SR_ST_SU_SY_EESZ_S10_S11_S12_S16_S17_S18_S1B_S1C_jS1D_jS1E_S1E_jjS1G_bEUljE0_EEESZ_S10_S11_S18_S1C_S1E_T6_T7_T9_mT8_S1G_bDpT10_ENKUlT_T0_E_clISt17integral_constantIbLb1EES1T_IbLb0EEEEDaS1P_S1Q_EUlS1P_E_NS1_11comp_targetILNS1_3genE2ELNS1_11target_archE906ELNS1_3gpuE6ELNS1_3repE0EEENS1_30default_config_static_selectorELNS0_4arch9wavefront6targetE0EEEvS12_
; %bb.0:
	.section	.rodata,"a",@progbits
	.p2align	6, 0x0
	.amdhsa_kernel _ZN7rocprim17ROCPRIM_400000_NS6detail17trampoline_kernelINS0_13select_configILj256ELj13ELNS0_17block_load_methodE3ELS4_3ELS4_3ELNS0_20block_scan_algorithmE0ELj4294967295EEENS1_25partition_config_selectorILNS1_17partition_subalgoE4EjNS0_10empty_typeEbEEZZNS1_14partition_implILS8_4ELb0ES6_15HIP_vector_typeIjLj2EENS0_17counting_iteratorIjlEEPS9_SG_NS0_5tupleIJPjSI_NS0_16reverse_iteratorISI_EEEEENSH_IJSG_SG_SG_EEES9_SI_JZNS1_25segmented_radix_sort_implINS0_14default_configELb1EPKbPbPKlPlN2at6native12_GLOBAL__N_18offset_tEEE10hipError_tPvRmT1_PNSt15iterator_traitsIS12_E10value_typeET2_T3_PNS13_IS18_E10value_typeET4_jRbjT5_S1E_jjP12ihipStream_tbEUljE_ZNSN_ISO_Lb1ESQ_SR_ST_SU_SY_EESZ_S10_S11_S12_S16_S17_S18_S1B_S1C_jS1D_jS1E_S1E_jjS1G_bEUljE0_EEESZ_S10_S11_S18_S1C_S1E_T6_T7_T9_mT8_S1G_bDpT10_ENKUlT_T0_E_clISt17integral_constantIbLb1EES1T_IbLb0EEEEDaS1P_S1Q_EUlS1P_E_NS1_11comp_targetILNS1_3genE2ELNS1_11target_archE906ELNS1_3gpuE6ELNS1_3repE0EEENS1_30default_config_static_selectorELNS0_4arch9wavefront6targetE0EEEvS12_
		.amdhsa_group_segment_fixed_size 0
		.amdhsa_private_segment_fixed_size 0
		.amdhsa_kernarg_size 176
		.amdhsa_user_sgpr_count 2
		.amdhsa_user_sgpr_dispatch_ptr 0
		.amdhsa_user_sgpr_queue_ptr 0
		.amdhsa_user_sgpr_kernarg_segment_ptr 1
		.amdhsa_user_sgpr_dispatch_id 0
		.amdhsa_user_sgpr_kernarg_preload_length 0
		.amdhsa_user_sgpr_kernarg_preload_offset 0
		.amdhsa_user_sgpr_private_segment_size 0
		.amdhsa_wavefront_size32 1
		.amdhsa_uses_dynamic_stack 0
		.amdhsa_enable_private_segment 0
		.amdhsa_system_sgpr_workgroup_id_x 1
		.amdhsa_system_sgpr_workgroup_id_y 0
		.amdhsa_system_sgpr_workgroup_id_z 0
		.amdhsa_system_sgpr_workgroup_info 0
		.amdhsa_system_vgpr_workitem_id 0
		.amdhsa_next_free_vgpr 1
		.amdhsa_next_free_sgpr 1
		.amdhsa_named_barrier_count 0
		.amdhsa_reserve_vcc 0
		.amdhsa_float_round_mode_32 0
		.amdhsa_float_round_mode_16_64 0
		.amdhsa_float_denorm_mode_32 3
		.amdhsa_float_denorm_mode_16_64 3
		.amdhsa_fp16_overflow 0
		.amdhsa_memory_ordered 1
		.amdhsa_forward_progress 1
		.amdhsa_inst_pref_size 0
		.amdhsa_round_robin_scheduling 0
		.amdhsa_exception_fp_ieee_invalid_op 0
		.amdhsa_exception_fp_denorm_src 0
		.amdhsa_exception_fp_ieee_div_zero 0
		.amdhsa_exception_fp_ieee_overflow 0
		.amdhsa_exception_fp_ieee_underflow 0
		.amdhsa_exception_fp_ieee_inexact 0
		.amdhsa_exception_int_div_zero 0
	.end_amdhsa_kernel
	.section	.text._ZN7rocprim17ROCPRIM_400000_NS6detail17trampoline_kernelINS0_13select_configILj256ELj13ELNS0_17block_load_methodE3ELS4_3ELS4_3ELNS0_20block_scan_algorithmE0ELj4294967295EEENS1_25partition_config_selectorILNS1_17partition_subalgoE4EjNS0_10empty_typeEbEEZZNS1_14partition_implILS8_4ELb0ES6_15HIP_vector_typeIjLj2EENS0_17counting_iteratorIjlEEPS9_SG_NS0_5tupleIJPjSI_NS0_16reverse_iteratorISI_EEEEENSH_IJSG_SG_SG_EEES9_SI_JZNS1_25segmented_radix_sort_implINS0_14default_configELb1EPKbPbPKlPlN2at6native12_GLOBAL__N_18offset_tEEE10hipError_tPvRmT1_PNSt15iterator_traitsIS12_E10value_typeET2_T3_PNS13_IS18_E10value_typeET4_jRbjT5_S1E_jjP12ihipStream_tbEUljE_ZNSN_ISO_Lb1ESQ_SR_ST_SU_SY_EESZ_S10_S11_S12_S16_S17_S18_S1B_S1C_jS1D_jS1E_S1E_jjS1G_bEUljE0_EEESZ_S10_S11_S18_S1C_S1E_T6_T7_T9_mT8_S1G_bDpT10_ENKUlT_T0_E_clISt17integral_constantIbLb1EES1T_IbLb0EEEEDaS1P_S1Q_EUlS1P_E_NS1_11comp_targetILNS1_3genE2ELNS1_11target_archE906ELNS1_3gpuE6ELNS1_3repE0EEENS1_30default_config_static_selectorELNS0_4arch9wavefront6targetE0EEEvS12_,"axG",@progbits,_ZN7rocprim17ROCPRIM_400000_NS6detail17trampoline_kernelINS0_13select_configILj256ELj13ELNS0_17block_load_methodE3ELS4_3ELS4_3ELNS0_20block_scan_algorithmE0ELj4294967295EEENS1_25partition_config_selectorILNS1_17partition_subalgoE4EjNS0_10empty_typeEbEEZZNS1_14partition_implILS8_4ELb0ES6_15HIP_vector_typeIjLj2EENS0_17counting_iteratorIjlEEPS9_SG_NS0_5tupleIJPjSI_NS0_16reverse_iteratorISI_EEEEENSH_IJSG_SG_SG_EEES9_SI_JZNS1_25segmented_radix_sort_implINS0_14default_configELb1EPKbPbPKlPlN2at6native12_GLOBAL__N_18offset_tEEE10hipError_tPvRmT1_PNSt15iterator_traitsIS12_E10value_typeET2_T3_PNS13_IS18_E10value_typeET4_jRbjT5_S1E_jjP12ihipStream_tbEUljE_ZNSN_ISO_Lb1ESQ_SR_ST_SU_SY_EESZ_S10_S11_S12_S16_S17_S18_S1B_S1C_jS1D_jS1E_S1E_jjS1G_bEUljE0_EEESZ_S10_S11_S18_S1C_S1E_T6_T7_T9_mT8_S1G_bDpT10_ENKUlT_T0_E_clISt17integral_constantIbLb1EES1T_IbLb0EEEEDaS1P_S1Q_EUlS1P_E_NS1_11comp_targetILNS1_3genE2ELNS1_11target_archE906ELNS1_3gpuE6ELNS1_3repE0EEENS1_30default_config_static_selectorELNS0_4arch9wavefront6targetE0EEEvS12_,comdat
.Lfunc_end1480:
	.size	_ZN7rocprim17ROCPRIM_400000_NS6detail17trampoline_kernelINS0_13select_configILj256ELj13ELNS0_17block_load_methodE3ELS4_3ELS4_3ELNS0_20block_scan_algorithmE0ELj4294967295EEENS1_25partition_config_selectorILNS1_17partition_subalgoE4EjNS0_10empty_typeEbEEZZNS1_14partition_implILS8_4ELb0ES6_15HIP_vector_typeIjLj2EENS0_17counting_iteratorIjlEEPS9_SG_NS0_5tupleIJPjSI_NS0_16reverse_iteratorISI_EEEEENSH_IJSG_SG_SG_EEES9_SI_JZNS1_25segmented_radix_sort_implINS0_14default_configELb1EPKbPbPKlPlN2at6native12_GLOBAL__N_18offset_tEEE10hipError_tPvRmT1_PNSt15iterator_traitsIS12_E10value_typeET2_T3_PNS13_IS18_E10value_typeET4_jRbjT5_S1E_jjP12ihipStream_tbEUljE_ZNSN_ISO_Lb1ESQ_SR_ST_SU_SY_EESZ_S10_S11_S12_S16_S17_S18_S1B_S1C_jS1D_jS1E_S1E_jjS1G_bEUljE0_EEESZ_S10_S11_S18_S1C_S1E_T6_T7_T9_mT8_S1G_bDpT10_ENKUlT_T0_E_clISt17integral_constantIbLb1EES1T_IbLb0EEEEDaS1P_S1Q_EUlS1P_E_NS1_11comp_targetILNS1_3genE2ELNS1_11target_archE906ELNS1_3gpuE6ELNS1_3repE0EEENS1_30default_config_static_selectorELNS0_4arch9wavefront6targetE0EEEvS12_, .Lfunc_end1480-_ZN7rocprim17ROCPRIM_400000_NS6detail17trampoline_kernelINS0_13select_configILj256ELj13ELNS0_17block_load_methodE3ELS4_3ELS4_3ELNS0_20block_scan_algorithmE0ELj4294967295EEENS1_25partition_config_selectorILNS1_17partition_subalgoE4EjNS0_10empty_typeEbEEZZNS1_14partition_implILS8_4ELb0ES6_15HIP_vector_typeIjLj2EENS0_17counting_iteratorIjlEEPS9_SG_NS0_5tupleIJPjSI_NS0_16reverse_iteratorISI_EEEEENSH_IJSG_SG_SG_EEES9_SI_JZNS1_25segmented_radix_sort_implINS0_14default_configELb1EPKbPbPKlPlN2at6native12_GLOBAL__N_18offset_tEEE10hipError_tPvRmT1_PNSt15iterator_traitsIS12_E10value_typeET2_T3_PNS13_IS18_E10value_typeET4_jRbjT5_S1E_jjP12ihipStream_tbEUljE_ZNSN_ISO_Lb1ESQ_SR_ST_SU_SY_EESZ_S10_S11_S12_S16_S17_S18_S1B_S1C_jS1D_jS1E_S1E_jjS1G_bEUljE0_EEESZ_S10_S11_S18_S1C_S1E_T6_T7_T9_mT8_S1G_bDpT10_ENKUlT_T0_E_clISt17integral_constantIbLb1EES1T_IbLb0EEEEDaS1P_S1Q_EUlS1P_E_NS1_11comp_targetILNS1_3genE2ELNS1_11target_archE906ELNS1_3gpuE6ELNS1_3repE0EEENS1_30default_config_static_selectorELNS0_4arch9wavefront6targetE0EEEvS12_
                                        ; -- End function
	.set _ZN7rocprim17ROCPRIM_400000_NS6detail17trampoline_kernelINS0_13select_configILj256ELj13ELNS0_17block_load_methodE3ELS4_3ELS4_3ELNS0_20block_scan_algorithmE0ELj4294967295EEENS1_25partition_config_selectorILNS1_17partition_subalgoE4EjNS0_10empty_typeEbEEZZNS1_14partition_implILS8_4ELb0ES6_15HIP_vector_typeIjLj2EENS0_17counting_iteratorIjlEEPS9_SG_NS0_5tupleIJPjSI_NS0_16reverse_iteratorISI_EEEEENSH_IJSG_SG_SG_EEES9_SI_JZNS1_25segmented_radix_sort_implINS0_14default_configELb1EPKbPbPKlPlN2at6native12_GLOBAL__N_18offset_tEEE10hipError_tPvRmT1_PNSt15iterator_traitsIS12_E10value_typeET2_T3_PNS13_IS18_E10value_typeET4_jRbjT5_S1E_jjP12ihipStream_tbEUljE_ZNSN_ISO_Lb1ESQ_SR_ST_SU_SY_EESZ_S10_S11_S12_S16_S17_S18_S1B_S1C_jS1D_jS1E_S1E_jjS1G_bEUljE0_EEESZ_S10_S11_S18_S1C_S1E_T6_T7_T9_mT8_S1G_bDpT10_ENKUlT_T0_E_clISt17integral_constantIbLb1EES1T_IbLb0EEEEDaS1P_S1Q_EUlS1P_E_NS1_11comp_targetILNS1_3genE2ELNS1_11target_archE906ELNS1_3gpuE6ELNS1_3repE0EEENS1_30default_config_static_selectorELNS0_4arch9wavefront6targetE0EEEvS12_.num_vgpr, 0
	.set _ZN7rocprim17ROCPRIM_400000_NS6detail17trampoline_kernelINS0_13select_configILj256ELj13ELNS0_17block_load_methodE3ELS4_3ELS4_3ELNS0_20block_scan_algorithmE0ELj4294967295EEENS1_25partition_config_selectorILNS1_17partition_subalgoE4EjNS0_10empty_typeEbEEZZNS1_14partition_implILS8_4ELb0ES6_15HIP_vector_typeIjLj2EENS0_17counting_iteratorIjlEEPS9_SG_NS0_5tupleIJPjSI_NS0_16reverse_iteratorISI_EEEEENSH_IJSG_SG_SG_EEES9_SI_JZNS1_25segmented_radix_sort_implINS0_14default_configELb1EPKbPbPKlPlN2at6native12_GLOBAL__N_18offset_tEEE10hipError_tPvRmT1_PNSt15iterator_traitsIS12_E10value_typeET2_T3_PNS13_IS18_E10value_typeET4_jRbjT5_S1E_jjP12ihipStream_tbEUljE_ZNSN_ISO_Lb1ESQ_SR_ST_SU_SY_EESZ_S10_S11_S12_S16_S17_S18_S1B_S1C_jS1D_jS1E_S1E_jjS1G_bEUljE0_EEESZ_S10_S11_S18_S1C_S1E_T6_T7_T9_mT8_S1G_bDpT10_ENKUlT_T0_E_clISt17integral_constantIbLb1EES1T_IbLb0EEEEDaS1P_S1Q_EUlS1P_E_NS1_11comp_targetILNS1_3genE2ELNS1_11target_archE906ELNS1_3gpuE6ELNS1_3repE0EEENS1_30default_config_static_selectorELNS0_4arch9wavefront6targetE0EEEvS12_.num_agpr, 0
	.set _ZN7rocprim17ROCPRIM_400000_NS6detail17trampoline_kernelINS0_13select_configILj256ELj13ELNS0_17block_load_methodE3ELS4_3ELS4_3ELNS0_20block_scan_algorithmE0ELj4294967295EEENS1_25partition_config_selectorILNS1_17partition_subalgoE4EjNS0_10empty_typeEbEEZZNS1_14partition_implILS8_4ELb0ES6_15HIP_vector_typeIjLj2EENS0_17counting_iteratorIjlEEPS9_SG_NS0_5tupleIJPjSI_NS0_16reverse_iteratorISI_EEEEENSH_IJSG_SG_SG_EEES9_SI_JZNS1_25segmented_radix_sort_implINS0_14default_configELb1EPKbPbPKlPlN2at6native12_GLOBAL__N_18offset_tEEE10hipError_tPvRmT1_PNSt15iterator_traitsIS12_E10value_typeET2_T3_PNS13_IS18_E10value_typeET4_jRbjT5_S1E_jjP12ihipStream_tbEUljE_ZNSN_ISO_Lb1ESQ_SR_ST_SU_SY_EESZ_S10_S11_S12_S16_S17_S18_S1B_S1C_jS1D_jS1E_S1E_jjS1G_bEUljE0_EEESZ_S10_S11_S18_S1C_S1E_T6_T7_T9_mT8_S1G_bDpT10_ENKUlT_T0_E_clISt17integral_constantIbLb1EES1T_IbLb0EEEEDaS1P_S1Q_EUlS1P_E_NS1_11comp_targetILNS1_3genE2ELNS1_11target_archE906ELNS1_3gpuE6ELNS1_3repE0EEENS1_30default_config_static_selectorELNS0_4arch9wavefront6targetE0EEEvS12_.numbered_sgpr, 0
	.set _ZN7rocprim17ROCPRIM_400000_NS6detail17trampoline_kernelINS0_13select_configILj256ELj13ELNS0_17block_load_methodE3ELS4_3ELS4_3ELNS0_20block_scan_algorithmE0ELj4294967295EEENS1_25partition_config_selectorILNS1_17partition_subalgoE4EjNS0_10empty_typeEbEEZZNS1_14partition_implILS8_4ELb0ES6_15HIP_vector_typeIjLj2EENS0_17counting_iteratorIjlEEPS9_SG_NS0_5tupleIJPjSI_NS0_16reverse_iteratorISI_EEEEENSH_IJSG_SG_SG_EEES9_SI_JZNS1_25segmented_radix_sort_implINS0_14default_configELb1EPKbPbPKlPlN2at6native12_GLOBAL__N_18offset_tEEE10hipError_tPvRmT1_PNSt15iterator_traitsIS12_E10value_typeET2_T3_PNS13_IS18_E10value_typeET4_jRbjT5_S1E_jjP12ihipStream_tbEUljE_ZNSN_ISO_Lb1ESQ_SR_ST_SU_SY_EESZ_S10_S11_S12_S16_S17_S18_S1B_S1C_jS1D_jS1E_S1E_jjS1G_bEUljE0_EEESZ_S10_S11_S18_S1C_S1E_T6_T7_T9_mT8_S1G_bDpT10_ENKUlT_T0_E_clISt17integral_constantIbLb1EES1T_IbLb0EEEEDaS1P_S1Q_EUlS1P_E_NS1_11comp_targetILNS1_3genE2ELNS1_11target_archE906ELNS1_3gpuE6ELNS1_3repE0EEENS1_30default_config_static_selectorELNS0_4arch9wavefront6targetE0EEEvS12_.num_named_barrier, 0
	.set _ZN7rocprim17ROCPRIM_400000_NS6detail17trampoline_kernelINS0_13select_configILj256ELj13ELNS0_17block_load_methodE3ELS4_3ELS4_3ELNS0_20block_scan_algorithmE0ELj4294967295EEENS1_25partition_config_selectorILNS1_17partition_subalgoE4EjNS0_10empty_typeEbEEZZNS1_14partition_implILS8_4ELb0ES6_15HIP_vector_typeIjLj2EENS0_17counting_iteratorIjlEEPS9_SG_NS0_5tupleIJPjSI_NS0_16reverse_iteratorISI_EEEEENSH_IJSG_SG_SG_EEES9_SI_JZNS1_25segmented_radix_sort_implINS0_14default_configELb1EPKbPbPKlPlN2at6native12_GLOBAL__N_18offset_tEEE10hipError_tPvRmT1_PNSt15iterator_traitsIS12_E10value_typeET2_T3_PNS13_IS18_E10value_typeET4_jRbjT5_S1E_jjP12ihipStream_tbEUljE_ZNSN_ISO_Lb1ESQ_SR_ST_SU_SY_EESZ_S10_S11_S12_S16_S17_S18_S1B_S1C_jS1D_jS1E_S1E_jjS1G_bEUljE0_EEESZ_S10_S11_S18_S1C_S1E_T6_T7_T9_mT8_S1G_bDpT10_ENKUlT_T0_E_clISt17integral_constantIbLb1EES1T_IbLb0EEEEDaS1P_S1Q_EUlS1P_E_NS1_11comp_targetILNS1_3genE2ELNS1_11target_archE906ELNS1_3gpuE6ELNS1_3repE0EEENS1_30default_config_static_selectorELNS0_4arch9wavefront6targetE0EEEvS12_.private_seg_size, 0
	.set _ZN7rocprim17ROCPRIM_400000_NS6detail17trampoline_kernelINS0_13select_configILj256ELj13ELNS0_17block_load_methodE3ELS4_3ELS4_3ELNS0_20block_scan_algorithmE0ELj4294967295EEENS1_25partition_config_selectorILNS1_17partition_subalgoE4EjNS0_10empty_typeEbEEZZNS1_14partition_implILS8_4ELb0ES6_15HIP_vector_typeIjLj2EENS0_17counting_iteratorIjlEEPS9_SG_NS0_5tupleIJPjSI_NS0_16reverse_iteratorISI_EEEEENSH_IJSG_SG_SG_EEES9_SI_JZNS1_25segmented_radix_sort_implINS0_14default_configELb1EPKbPbPKlPlN2at6native12_GLOBAL__N_18offset_tEEE10hipError_tPvRmT1_PNSt15iterator_traitsIS12_E10value_typeET2_T3_PNS13_IS18_E10value_typeET4_jRbjT5_S1E_jjP12ihipStream_tbEUljE_ZNSN_ISO_Lb1ESQ_SR_ST_SU_SY_EESZ_S10_S11_S12_S16_S17_S18_S1B_S1C_jS1D_jS1E_S1E_jjS1G_bEUljE0_EEESZ_S10_S11_S18_S1C_S1E_T6_T7_T9_mT8_S1G_bDpT10_ENKUlT_T0_E_clISt17integral_constantIbLb1EES1T_IbLb0EEEEDaS1P_S1Q_EUlS1P_E_NS1_11comp_targetILNS1_3genE2ELNS1_11target_archE906ELNS1_3gpuE6ELNS1_3repE0EEENS1_30default_config_static_selectorELNS0_4arch9wavefront6targetE0EEEvS12_.uses_vcc, 0
	.set _ZN7rocprim17ROCPRIM_400000_NS6detail17trampoline_kernelINS0_13select_configILj256ELj13ELNS0_17block_load_methodE3ELS4_3ELS4_3ELNS0_20block_scan_algorithmE0ELj4294967295EEENS1_25partition_config_selectorILNS1_17partition_subalgoE4EjNS0_10empty_typeEbEEZZNS1_14partition_implILS8_4ELb0ES6_15HIP_vector_typeIjLj2EENS0_17counting_iteratorIjlEEPS9_SG_NS0_5tupleIJPjSI_NS0_16reverse_iteratorISI_EEEEENSH_IJSG_SG_SG_EEES9_SI_JZNS1_25segmented_radix_sort_implINS0_14default_configELb1EPKbPbPKlPlN2at6native12_GLOBAL__N_18offset_tEEE10hipError_tPvRmT1_PNSt15iterator_traitsIS12_E10value_typeET2_T3_PNS13_IS18_E10value_typeET4_jRbjT5_S1E_jjP12ihipStream_tbEUljE_ZNSN_ISO_Lb1ESQ_SR_ST_SU_SY_EESZ_S10_S11_S12_S16_S17_S18_S1B_S1C_jS1D_jS1E_S1E_jjS1G_bEUljE0_EEESZ_S10_S11_S18_S1C_S1E_T6_T7_T9_mT8_S1G_bDpT10_ENKUlT_T0_E_clISt17integral_constantIbLb1EES1T_IbLb0EEEEDaS1P_S1Q_EUlS1P_E_NS1_11comp_targetILNS1_3genE2ELNS1_11target_archE906ELNS1_3gpuE6ELNS1_3repE0EEENS1_30default_config_static_selectorELNS0_4arch9wavefront6targetE0EEEvS12_.uses_flat_scratch, 0
	.set _ZN7rocprim17ROCPRIM_400000_NS6detail17trampoline_kernelINS0_13select_configILj256ELj13ELNS0_17block_load_methodE3ELS4_3ELS4_3ELNS0_20block_scan_algorithmE0ELj4294967295EEENS1_25partition_config_selectorILNS1_17partition_subalgoE4EjNS0_10empty_typeEbEEZZNS1_14partition_implILS8_4ELb0ES6_15HIP_vector_typeIjLj2EENS0_17counting_iteratorIjlEEPS9_SG_NS0_5tupleIJPjSI_NS0_16reverse_iteratorISI_EEEEENSH_IJSG_SG_SG_EEES9_SI_JZNS1_25segmented_radix_sort_implINS0_14default_configELb1EPKbPbPKlPlN2at6native12_GLOBAL__N_18offset_tEEE10hipError_tPvRmT1_PNSt15iterator_traitsIS12_E10value_typeET2_T3_PNS13_IS18_E10value_typeET4_jRbjT5_S1E_jjP12ihipStream_tbEUljE_ZNSN_ISO_Lb1ESQ_SR_ST_SU_SY_EESZ_S10_S11_S12_S16_S17_S18_S1B_S1C_jS1D_jS1E_S1E_jjS1G_bEUljE0_EEESZ_S10_S11_S18_S1C_S1E_T6_T7_T9_mT8_S1G_bDpT10_ENKUlT_T0_E_clISt17integral_constantIbLb1EES1T_IbLb0EEEEDaS1P_S1Q_EUlS1P_E_NS1_11comp_targetILNS1_3genE2ELNS1_11target_archE906ELNS1_3gpuE6ELNS1_3repE0EEENS1_30default_config_static_selectorELNS0_4arch9wavefront6targetE0EEEvS12_.has_dyn_sized_stack, 0
	.set _ZN7rocprim17ROCPRIM_400000_NS6detail17trampoline_kernelINS0_13select_configILj256ELj13ELNS0_17block_load_methodE3ELS4_3ELS4_3ELNS0_20block_scan_algorithmE0ELj4294967295EEENS1_25partition_config_selectorILNS1_17partition_subalgoE4EjNS0_10empty_typeEbEEZZNS1_14partition_implILS8_4ELb0ES6_15HIP_vector_typeIjLj2EENS0_17counting_iteratorIjlEEPS9_SG_NS0_5tupleIJPjSI_NS0_16reverse_iteratorISI_EEEEENSH_IJSG_SG_SG_EEES9_SI_JZNS1_25segmented_radix_sort_implINS0_14default_configELb1EPKbPbPKlPlN2at6native12_GLOBAL__N_18offset_tEEE10hipError_tPvRmT1_PNSt15iterator_traitsIS12_E10value_typeET2_T3_PNS13_IS18_E10value_typeET4_jRbjT5_S1E_jjP12ihipStream_tbEUljE_ZNSN_ISO_Lb1ESQ_SR_ST_SU_SY_EESZ_S10_S11_S12_S16_S17_S18_S1B_S1C_jS1D_jS1E_S1E_jjS1G_bEUljE0_EEESZ_S10_S11_S18_S1C_S1E_T6_T7_T9_mT8_S1G_bDpT10_ENKUlT_T0_E_clISt17integral_constantIbLb1EES1T_IbLb0EEEEDaS1P_S1Q_EUlS1P_E_NS1_11comp_targetILNS1_3genE2ELNS1_11target_archE906ELNS1_3gpuE6ELNS1_3repE0EEENS1_30default_config_static_selectorELNS0_4arch9wavefront6targetE0EEEvS12_.has_recursion, 0
	.set _ZN7rocprim17ROCPRIM_400000_NS6detail17trampoline_kernelINS0_13select_configILj256ELj13ELNS0_17block_load_methodE3ELS4_3ELS4_3ELNS0_20block_scan_algorithmE0ELj4294967295EEENS1_25partition_config_selectorILNS1_17partition_subalgoE4EjNS0_10empty_typeEbEEZZNS1_14partition_implILS8_4ELb0ES6_15HIP_vector_typeIjLj2EENS0_17counting_iteratorIjlEEPS9_SG_NS0_5tupleIJPjSI_NS0_16reverse_iteratorISI_EEEEENSH_IJSG_SG_SG_EEES9_SI_JZNS1_25segmented_radix_sort_implINS0_14default_configELb1EPKbPbPKlPlN2at6native12_GLOBAL__N_18offset_tEEE10hipError_tPvRmT1_PNSt15iterator_traitsIS12_E10value_typeET2_T3_PNS13_IS18_E10value_typeET4_jRbjT5_S1E_jjP12ihipStream_tbEUljE_ZNSN_ISO_Lb1ESQ_SR_ST_SU_SY_EESZ_S10_S11_S12_S16_S17_S18_S1B_S1C_jS1D_jS1E_S1E_jjS1G_bEUljE0_EEESZ_S10_S11_S18_S1C_S1E_T6_T7_T9_mT8_S1G_bDpT10_ENKUlT_T0_E_clISt17integral_constantIbLb1EES1T_IbLb0EEEEDaS1P_S1Q_EUlS1P_E_NS1_11comp_targetILNS1_3genE2ELNS1_11target_archE906ELNS1_3gpuE6ELNS1_3repE0EEENS1_30default_config_static_selectorELNS0_4arch9wavefront6targetE0EEEvS12_.has_indirect_call, 0
	.section	.AMDGPU.csdata,"",@progbits
; Kernel info:
; codeLenInByte = 0
; TotalNumSgprs: 0
; NumVgprs: 0
; ScratchSize: 0
; MemoryBound: 0
; FloatMode: 240
; IeeeMode: 1
; LDSByteSize: 0 bytes/workgroup (compile time only)
; SGPRBlocks: 0
; VGPRBlocks: 0
; NumSGPRsForWavesPerEU: 1
; NumVGPRsForWavesPerEU: 1
; NamedBarCnt: 0
; Occupancy: 16
; WaveLimiterHint : 0
; COMPUTE_PGM_RSRC2:SCRATCH_EN: 0
; COMPUTE_PGM_RSRC2:USER_SGPR: 2
; COMPUTE_PGM_RSRC2:TRAP_HANDLER: 0
; COMPUTE_PGM_RSRC2:TGID_X_EN: 1
; COMPUTE_PGM_RSRC2:TGID_Y_EN: 0
; COMPUTE_PGM_RSRC2:TGID_Z_EN: 0
; COMPUTE_PGM_RSRC2:TIDIG_COMP_CNT: 0
	.section	.text._ZN7rocprim17ROCPRIM_400000_NS6detail17trampoline_kernelINS0_13select_configILj256ELj13ELNS0_17block_load_methodE3ELS4_3ELS4_3ELNS0_20block_scan_algorithmE0ELj4294967295EEENS1_25partition_config_selectorILNS1_17partition_subalgoE4EjNS0_10empty_typeEbEEZZNS1_14partition_implILS8_4ELb0ES6_15HIP_vector_typeIjLj2EENS0_17counting_iteratorIjlEEPS9_SG_NS0_5tupleIJPjSI_NS0_16reverse_iteratorISI_EEEEENSH_IJSG_SG_SG_EEES9_SI_JZNS1_25segmented_radix_sort_implINS0_14default_configELb1EPKbPbPKlPlN2at6native12_GLOBAL__N_18offset_tEEE10hipError_tPvRmT1_PNSt15iterator_traitsIS12_E10value_typeET2_T3_PNS13_IS18_E10value_typeET4_jRbjT5_S1E_jjP12ihipStream_tbEUljE_ZNSN_ISO_Lb1ESQ_SR_ST_SU_SY_EESZ_S10_S11_S12_S16_S17_S18_S1B_S1C_jS1D_jS1E_S1E_jjS1G_bEUljE0_EEESZ_S10_S11_S18_S1C_S1E_T6_T7_T9_mT8_S1G_bDpT10_ENKUlT_T0_E_clISt17integral_constantIbLb1EES1T_IbLb0EEEEDaS1P_S1Q_EUlS1P_E_NS1_11comp_targetILNS1_3genE10ELNS1_11target_archE1200ELNS1_3gpuE4ELNS1_3repE0EEENS1_30default_config_static_selectorELNS0_4arch9wavefront6targetE0EEEvS12_,"axG",@progbits,_ZN7rocprim17ROCPRIM_400000_NS6detail17trampoline_kernelINS0_13select_configILj256ELj13ELNS0_17block_load_methodE3ELS4_3ELS4_3ELNS0_20block_scan_algorithmE0ELj4294967295EEENS1_25partition_config_selectorILNS1_17partition_subalgoE4EjNS0_10empty_typeEbEEZZNS1_14partition_implILS8_4ELb0ES6_15HIP_vector_typeIjLj2EENS0_17counting_iteratorIjlEEPS9_SG_NS0_5tupleIJPjSI_NS0_16reverse_iteratorISI_EEEEENSH_IJSG_SG_SG_EEES9_SI_JZNS1_25segmented_radix_sort_implINS0_14default_configELb1EPKbPbPKlPlN2at6native12_GLOBAL__N_18offset_tEEE10hipError_tPvRmT1_PNSt15iterator_traitsIS12_E10value_typeET2_T3_PNS13_IS18_E10value_typeET4_jRbjT5_S1E_jjP12ihipStream_tbEUljE_ZNSN_ISO_Lb1ESQ_SR_ST_SU_SY_EESZ_S10_S11_S12_S16_S17_S18_S1B_S1C_jS1D_jS1E_S1E_jjS1G_bEUljE0_EEESZ_S10_S11_S18_S1C_S1E_T6_T7_T9_mT8_S1G_bDpT10_ENKUlT_T0_E_clISt17integral_constantIbLb1EES1T_IbLb0EEEEDaS1P_S1Q_EUlS1P_E_NS1_11comp_targetILNS1_3genE10ELNS1_11target_archE1200ELNS1_3gpuE4ELNS1_3repE0EEENS1_30default_config_static_selectorELNS0_4arch9wavefront6targetE0EEEvS12_,comdat
	.globl	_ZN7rocprim17ROCPRIM_400000_NS6detail17trampoline_kernelINS0_13select_configILj256ELj13ELNS0_17block_load_methodE3ELS4_3ELS4_3ELNS0_20block_scan_algorithmE0ELj4294967295EEENS1_25partition_config_selectorILNS1_17partition_subalgoE4EjNS0_10empty_typeEbEEZZNS1_14partition_implILS8_4ELb0ES6_15HIP_vector_typeIjLj2EENS0_17counting_iteratorIjlEEPS9_SG_NS0_5tupleIJPjSI_NS0_16reverse_iteratorISI_EEEEENSH_IJSG_SG_SG_EEES9_SI_JZNS1_25segmented_radix_sort_implINS0_14default_configELb1EPKbPbPKlPlN2at6native12_GLOBAL__N_18offset_tEEE10hipError_tPvRmT1_PNSt15iterator_traitsIS12_E10value_typeET2_T3_PNS13_IS18_E10value_typeET4_jRbjT5_S1E_jjP12ihipStream_tbEUljE_ZNSN_ISO_Lb1ESQ_SR_ST_SU_SY_EESZ_S10_S11_S12_S16_S17_S18_S1B_S1C_jS1D_jS1E_S1E_jjS1G_bEUljE0_EEESZ_S10_S11_S18_S1C_S1E_T6_T7_T9_mT8_S1G_bDpT10_ENKUlT_T0_E_clISt17integral_constantIbLb1EES1T_IbLb0EEEEDaS1P_S1Q_EUlS1P_E_NS1_11comp_targetILNS1_3genE10ELNS1_11target_archE1200ELNS1_3gpuE4ELNS1_3repE0EEENS1_30default_config_static_selectorELNS0_4arch9wavefront6targetE0EEEvS12_ ; -- Begin function _ZN7rocprim17ROCPRIM_400000_NS6detail17trampoline_kernelINS0_13select_configILj256ELj13ELNS0_17block_load_methodE3ELS4_3ELS4_3ELNS0_20block_scan_algorithmE0ELj4294967295EEENS1_25partition_config_selectorILNS1_17partition_subalgoE4EjNS0_10empty_typeEbEEZZNS1_14partition_implILS8_4ELb0ES6_15HIP_vector_typeIjLj2EENS0_17counting_iteratorIjlEEPS9_SG_NS0_5tupleIJPjSI_NS0_16reverse_iteratorISI_EEEEENSH_IJSG_SG_SG_EEES9_SI_JZNS1_25segmented_radix_sort_implINS0_14default_configELb1EPKbPbPKlPlN2at6native12_GLOBAL__N_18offset_tEEE10hipError_tPvRmT1_PNSt15iterator_traitsIS12_E10value_typeET2_T3_PNS13_IS18_E10value_typeET4_jRbjT5_S1E_jjP12ihipStream_tbEUljE_ZNSN_ISO_Lb1ESQ_SR_ST_SU_SY_EESZ_S10_S11_S12_S16_S17_S18_S1B_S1C_jS1D_jS1E_S1E_jjS1G_bEUljE0_EEESZ_S10_S11_S18_S1C_S1E_T6_T7_T9_mT8_S1G_bDpT10_ENKUlT_T0_E_clISt17integral_constantIbLb1EES1T_IbLb0EEEEDaS1P_S1Q_EUlS1P_E_NS1_11comp_targetILNS1_3genE10ELNS1_11target_archE1200ELNS1_3gpuE4ELNS1_3repE0EEENS1_30default_config_static_selectorELNS0_4arch9wavefront6targetE0EEEvS12_
	.p2align	8
	.type	_ZN7rocprim17ROCPRIM_400000_NS6detail17trampoline_kernelINS0_13select_configILj256ELj13ELNS0_17block_load_methodE3ELS4_3ELS4_3ELNS0_20block_scan_algorithmE0ELj4294967295EEENS1_25partition_config_selectorILNS1_17partition_subalgoE4EjNS0_10empty_typeEbEEZZNS1_14partition_implILS8_4ELb0ES6_15HIP_vector_typeIjLj2EENS0_17counting_iteratorIjlEEPS9_SG_NS0_5tupleIJPjSI_NS0_16reverse_iteratorISI_EEEEENSH_IJSG_SG_SG_EEES9_SI_JZNS1_25segmented_radix_sort_implINS0_14default_configELb1EPKbPbPKlPlN2at6native12_GLOBAL__N_18offset_tEEE10hipError_tPvRmT1_PNSt15iterator_traitsIS12_E10value_typeET2_T3_PNS13_IS18_E10value_typeET4_jRbjT5_S1E_jjP12ihipStream_tbEUljE_ZNSN_ISO_Lb1ESQ_SR_ST_SU_SY_EESZ_S10_S11_S12_S16_S17_S18_S1B_S1C_jS1D_jS1E_S1E_jjS1G_bEUljE0_EEESZ_S10_S11_S18_S1C_S1E_T6_T7_T9_mT8_S1G_bDpT10_ENKUlT_T0_E_clISt17integral_constantIbLb1EES1T_IbLb0EEEEDaS1P_S1Q_EUlS1P_E_NS1_11comp_targetILNS1_3genE10ELNS1_11target_archE1200ELNS1_3gpuE4ELNS1_3repE0EEENS1_30default_config_static_selectorELNS0_4arch9wavefront6targetE0EEEvS12_,@function
_ZN7rocprim17ROCPRIM_400000_NS6detail17trampoline_kernelINS0_13select_configILj256ELj13ELNS0_17block_load_methodE3ELS4_3ELS4_3ELNS0_20block_scan_algorithmE0ELj4294967295EEENS1_25partition_config_selectorILNS1_17partition_subalgoE4EjNS0_10empty_typeEbEEZZNS1_14partition_implILS8_4ELb0ES6_15HIP_vector_typeIjLj2EENS0_17counting_iteratorIjlEEPS9_SG_NS0_5tupleIJPjSI_NS0_16reverse_iteratorISI_EEEEENSH_IJSG_SG_SG_EEES9_SI_JZNS1_25segmented_radix_sort_implINS0_14default_configELb1EPKbPbPKlPlN2at6native12_GLOBAL__N_18offset_tEEE10hipError_tPvRmT1_PNSt15iterator_traitsIS12_E10value_typeET2_T3_PNS13_IS18_E10value_typeET4_jRbjT5_S1E_jjP12ihipStream_tbEUljE_ZNSN_ISO_Lb1ESQ_SR_ST_SU_SY_EESZ_S10_S11_S12_S16_S17_S18_S1B_S1C_jS1D_jS1E_S1E_jjS1G_bEUljE0_EEESZ_S10_S11_S18_S1C_S1E_T6_T7_T9_mT8_S1G_bDpT10_ENKUlT_T0_E_clISt17integral_constantIbLb1EES1T_IbLb0EEEEDaS1P_S1Q_EUlS1P_E_NS1_11comp_targetILNS1_3genE10ELNS1_11target_archE1200ELNS1_3gpuE4ELNS1_3repE0EEENS1_30default_config_static_selectorELNS0_4arch9wavefront6targetE0EEEvS12_: ; @_ZN7rocprim17ROCPRIM_400000_NS6detail17trampoline_kernelINS0_13select_configILj256ELj13ELNS0_17block_load_methodE3ELS4_3ELS4_3ELNS0_20block_scan_algorithmE0ELj4294967295EEENS1_25partition_config_selectorILNS1_17partition_subalgoE4EjNS0_10empty_typeEbEEZZNS1_14partition_implILS8_4ELb0ES6_15HIP_vector_typeIjLj2EENS0_17counting_iteratorIjlEEPS9_SG_NS0_5tupleIJPjSI_NS0_16reverse_iteratorISI_EEEEENSH_IJSG_SG_SG_EEES9_SI_JZNS1_25segmented_radix_sort_implINS0_14default_configELb1EPKbPbPKlPlN2at6native12_GLOBAL__N_18offset_tEEE10hipError_tPvRmT1_PNSt15iterator_traitsIS12_E10value_typeET2_T3_PNS13_IS18_E10value_typeET4_jRbjT5_S1E_jjP12ihipStream_tbEUljE_ZNSN_ISO_Lb1ESQ_SR_ST_SU_SY_EESZ_S10_S11_S12_S16_S17_S18_S1B_S1C_jS1D_jS1E_S1E_jjS1G_bEUljE0_EEESZ_S10_S11_S18_S1C_S1E_T6_T7_T9_mT8_S1G_bDpT10_ENKUlT_T0_E_clISt17integral_constantIbLb1EES1T_IbLb0EEEEDaS1P_S1Q_EUlS1P_E_NS1_11comp_targetILNS1_3genE10ELNS1_11target_archE1200ELNS1_3gpuE4ELNS1_3repE0EEENS1_30default_config_static_selectorELNS0_4arch9wavefront6targetE0EEEvS12_
; %bb.0:
	.section	.rodata,"a",@progbits
	.p2align	6, 0x0
	.amdhsa_kernel _ZN7rocprim17ROCPRIM_400000_NS6detail17trampoline_kernelINS0_13select_configILj256ELj13ELNS0_17block_load_methodE3ELS4_3ELS4_3ELNS0_20block_scan_algorithmE0ELj4294967295EEENS1_25partition_config_selectorILNS1_17partition_subalgoE4EjNS0_10empty_typeEbEEZZNS1_14partition_implILS8_4ELb0ES6_15HIP_vector_typeIjLj2EENS0_17counting_iteratorIjlEEPS9_SG_NS0_5tupleIJPjSI_NS0_16reverse_iteratorISI_EEEEENSH_IJSG_SG_SG_EEES9_SI_JZNS1_25segmented_radix_sort_implINS0_14default_configELb1EPKbPbPKlPlN2at6native12_GLOBAL__N_18offset_tEEE10hipError_tPvRmT1_PNSt15iterator_traitsIS12_E10value_typeET2_T3_PNS13_IS18_E10value_typeET4_jRbjT5_S1E_jjP12ihipStream_tbEUljE_ZNSN_ISO_Lb1ESQ_SR_ST_SU_SY_EESZ_S10_S11_S12_S16_S17_S18_S1B_S1C_jS1D_jS1E_S1E_jjS1G_bEUljE0_EEESZ_S10_S11_S18_S1C_S1E_T6_T7_T9_mT8_S1G_bDpT10_ENKUlT_T0_E_clISt17integral_constantIbLb1EES1T_IbLb0EEEEDaS1P_S1Q_EUlS1P_E_NS1_11comp_targetILNS1_3genE10ELNS1_11target_archE1200ELNS1_3gpuE4ELNS1_3repE0EEENS1_30default_config_static_selectorELNS0_4arch9wavefront6targetE0EEEvS12_
		.amdhsa_group_segment_fixed_size 0
		.amdhsa_private_segment_fixed_size 0
		.amdhsa_kernarg_size 176
		.amdhsa_user_sgpr_count 2
		.amdhsa_user_sgpr_dispatch_ptr 0
		.amdhsa_user_sgpr_queue_ptr 0
		.amdhsa_user_sgpr_kernarg_segment_ptr 1
		.amdhsa_user_sgpr_dispatch_id 0
		.amdhsa_user_sgpr_kernarg_preload_length 0
		.amdhsa_user_sgpr_kernarg_preload_offset 0
		.amdhsa_user_sgpr_private_segment_size 0
		.amdhsa_wavefront_size32 1
		.amdhsa_uses_dynamic_stack 0
		.amdhsa_enable_private_segment 0
		.amdhsa_system_sgpr_workgroup_id_x 1
		.amdhsa_system_sgpr_workgroup_id_y 0
		.amdhsa_system_sgpr_workgroup_id_z 0
		.amdhsa_system_sgpr_workgroup_info 0
		.amdhsa_system_vgpr_workitem_id 0
		.amdhsa_next_free_vgpr 1
		.amdhsa_next_free_sgpr 1
		.amdhsa_named_barrier_count 0
		.amdhsa_reserve_vcc 0
		.amdhsa_float_round_mode_32 0
		.amdhsa_float_round_mode_16_64 0
		.amdhsa_float_denorm_mode_32 3
		.amdhsa_float_denorm_mode_16_64 3
		.amdhsa_fp16_overflow 0
		.amdhsa_memory_ordered 1
		.amdhsa_forward_progress 1
		.amdhsa_inst_pref_size 0
		.amdhsa_round_robin_scheduling 0
		.amdhsa_exception_fp_ieee_invalid_op 0
		.amdhsa_exception_fp_denorm_src 0
		.amdhsa_exception_fp_ieee_div_zero 0
		.amdhsa_exception_fp_ieee_overflow 0
		.amdhsa_exception_fp_ieee_underflow 0
		.amdhsa_exception_fp_ieee_inexact 0
		.amdhsa_exception_int_div_zero 0
	.end_amdhsa_kernel
	.section	.text._ZN7rocprim17ROCPRIM_400000_NS6detail17trampoline_kernelINS0_13select_configILj256ELj13ELNS0_17block_load_methodE3ELS4_3ELS4_3ELNS0_20block_scan_algorithmE0ELj4294967295EEENS1_25partition_config_selectorILNS1_17partition_subalgoE4EjNS0_10empty_typeEbEEZZNS1_14partition_implILS8_4ELb0ES6_15HIP_vector_typeIjLj2EENS0_17counting_iteratorIjlEEPS9_SG_NS0_5tupleIJPjSI_NS0_16reverse_iteratorISI_EEEEENSH_IJSG_SG_SG_EEES9_SI_JZNS1_25segmented_radix_sort_implINS0_14default_configELb1EPKbPbPKlPlN2at6native12_GLOBAL__N_18offset_tEEE10hipError_tPvRmT1_PNSt15iterator_traitsIS12_E10value_typeET2_T3_PNS13_IS18_E10value_typeET4_jRbjT5_S1E_jjP12ihipStream_tbEUljE_ZNSN_ISO_Lb1ESQ_SR_ST_SU_SY_EESZ_S10_S11_S12_S16_S17_S18_S1B_S1C_jS1D_jS1E_S1E_jjS1G_bEUljE0_EEESZ_S10_S11_S18_S1C_S1E_T6_T7_T9_mT8_S1G_bDpT10_ENKUlT_T0_E_clISt17integral_constantIbLb1EES1T_IbLb0EEEEDaS1P_S1Q_EUlS1P_E_NS1_11comp_targetILNS1_3genE10ELNS1_11target_archE1200ELNS1_3gpuE4ELNS1_3repE0EEENS1_30default_config_static_selectorELNS0_4arch9wavefront6targetE0EEEvS12_,"axG",@progbits,_ZN7rocprim17ROCPRIM_400000_NS6detail17trampoline_kernelINS0_13select_configILj256ELj13ELNS0_17block_load_methodE3ELS4_3ELS4_3ELNS0_20block_scan_algorithmE0ELj4294967295EEENS1_25partition_config_selectorILNS1_17partition_subalgoE4EjNS0_10empty_typeEbEEZZNS1_14partition_implILS8_4ELb0ES6_15HIP_vector_typeIjLj2EENS0_17counting_iteratorIjlEEPS9_SG_NS0_5tupleIJPjSI_NS0_16reverse_iteratorISI_EEEEENSH_IJSG_SG_SG_EEES9_SI_JZNS1_25segmented_radix_sort_implINS0_14default_configELb1EPKbPbPKlPlN2at6native12_GLOBAL__N_18offset_tEEE10hipError_tPvRmT1_PNSt15iterator_traitsIS12_E10value_typeET2_T3_PNS13_IS18_E10value_typeET4_jRbjT5_S1E_jjP12ihipStream_tbEUljE_ZNSN_ISO_Lb1ESQ_SR_ST_SU_SY_EESZ_S10_S11_S12_S16_S17_S18_S1B_S1C_jS1D_jS1E_S1E_jjS1G_bEUljE0_EEESZ_S10_S11_S18_S1C_S1E_T6_T7_T9_mT8_S1G_bDpT10_ENKUlT_T0_E_clISt17integral_constantIbLb1EES1T_IbLb0EEEEDaS1P_S1Q_EUlS1P_E_NS1_11comp_targetILNS1_3genE10ELNS1_11target_archE1200ELNS1_3gpuE4ELNS1_3repE0EEENS1_30default_config_static_selectorELNS0_4arch9wavefront6targetE0EEEvS12_,comdat
.Lfunc_end1481:
	.size	_ZN7rocprim17ROCPRIM_400000_NS6detail17trampoline_kernelINS0_13select_configILj256ELj13ELNS0_17block_load_methodE3ELS4_3ELS4_3ELNS0_20block_scan_algorithmE0ELj4294967295EEENS1_25partition_config_selectorILNS1_17partition_subalgoE4EjNS0_10empty_typeEbEEZZNS1_14partition_implILS8_4ELb0ES6_15HIP_vector_typeIjLj2EENS0_17counting_iteratorIjlEEPS9_SG_NS0_5tupleIJPjSI_NS0_16reverse_iteratorISI_EEEEENSH_IJSG_SG_SG_EEES9_SI_JZNS1_25segmented_radix_sort_implINS0_14default_configELb1EPKbPbPKlPlN2at6native12_GLOBAL__N_18offset_tEEE10hipError_tPvRmT1_PNSt15iterator_traitsIS12_E10value_typeET2_T3_PNS13_IS18_E10value_typeET4_jRbjT5_S1E_jjP12ihipStream_tbEUljE_ZNSN_ISO_Lb1ESQ_SR_ST_SU_SY_EESZ_S10_S11_S12_S16_S17_S18_S1B_S1C_jS1D_jS1E_S1E_jjS1G_bEUljE0_EEESZ_S10_S11_S18_S1C_S1E_T6_T7_T9_mT8_S1G_bDpT10_ENKUlT_T0_E_clISt17integral_constantIbLb1EES1T_IbLb0EEEEDaS1P_S1Q_EUlS1P_E_NS1_11comp_targetILNS1_3genE10ELNS1_11target_archE1200ELNS1_3gpuE4ELNS1_3repE0EEENS1_30default_config_static_selectorELNS0_4arch9wavefront6targetE0EEEvS12_, .Lfunc_end1481-_ZN7rocprim17ROCPRIM_400000_NS6detail17trampoline_kernelINS0_13select_configILj256ELj13ELNS0_17block_load_methodE3ELS4_3ELS4_3ELNS0_20block_scan_algorithmE0ELj4294967295EEENS1_25partition_config_selectorILNS1_17partition_subalgoE4EjNS0_10empty_typeEbEEZZNS1_14partition_implILS8_4ELb0ES6_15HIP_vector_typeIjLj2EENS0_17counting_iteratorIjlEEPS9_SG_NS0_5tupleIJPjSI_NS0_16reverse_iteratorISI_EEEEENSH_IJSG_SG_SG_EEES9_SI_JZNS1_25segmented_radix_sort_implINS0_14default_configELb1EPKbPbPKlPlN2at6native12_GLOBAL__N_18offset_tEEE10hipError_tPvRmT1_PNSt15iterator_traitsIS12_E10value_typeET2_T3_PNS13_IS18_E10value_typeET4_jRbjT5_S1E_jjP12ihipStream_tbEUljE_ZNSN_ISO_Lb1ESQ_SR_ST_SU_SY_EESZ_S10_S11_S12_S16_S17_S18_S1B_S1C_jS1D_jS1E_S1E_jjS1G_bEUljE0_EEESZ_S10_S11_S18_S1C_S1E_T6_T7_T9_mT8_S1G_bDpT10_ENKUlT_T0_E_clISt17integral_constantIbLb1EES1T_IbLb0EEEEDaS1P_S1Q_EUlS1P_E_NS1_11comp_targetILNS1_3genE10ELNS1_11target_archE1200ELNS1_3gpuE4ELNS1_3repE0EEENS1_30default_config_static_selectorELNS0_4arch9wavefront6targetE0EEEvS12_
                                        ; -- End function
	.set _ZN7rocprim17ROCPRIM_400000_NS6detail17trampoline_kernelINS0_13select_configILj256ELj13ELNS0_17block_load_methodE3ELS4_3ELS4_3ELNS0_20block_scan_algorithmE0ELj4294967295EEENS1_25partition_config_selectorILNS1_17partition_subalgoE4EjNS0_10empty_typeEbEEZZNS1_14partition_implILS8_4ELb0ES6_15HIP_vector_typeIjLj2EENS0_17counting_iteratorIjlEEPS9_SG_NS0_5tupleIJPjSI_NS0_16reverse_iteratorISI_EEEEENSH_IJSG_SG_SG_EEES9_SI_JZNS1_25segmented_radix_sort_implINS0_14default_configELb1EPKbPbPKlPlN2at6native12_GLOBAL__N_18offset_tEEE10hipError_tPvRmT1_PNSt15iterator_traitsIS12_E10value_typeET2_T3_PNS13_IS18_E10value_typeET4_jRbjT5_S1E_jjP12ihipStream_tbEUljE_ZNSN_ISO_Lb1ESQ_SR_ST_SU_SY_EESZ_S10_S11_S12_S16_S17_S18_S1B_S1C_jS1D_jS1E_S1E_jjS1G_bEUljE0_EEESZ_S10_S11_S18_S1C_S1E_T6_T7_T9_mT8_S1G_bDpT10_ENKUlT_T0_E_clISt17integral_constantIbLb1EES1T_IbLb0EEEEDaS1P_S1Q_EUlS1P_E_NS1_11comp_targetILNS1_3genE10ELNS1_11target_archE1200ELNS1_3gpuE4ELNS1_3repE0EEENS1_30default_config_static_selectorELNS0_4arch9wavefront6targetE0EEEvS12_.num_vgpr, 0
	.set _ZN7rocprim17ROCPRIM_400000_NS6detail17trampoline_kernelINS0_13select_configILj256ELj13ELNS0_17block_load_methodE3ELS4_3ELS4_3ELNS0_20block_scan_algorithmE0ELj4294967295EEENS1_25partition_config_selectorILNS1_17partition_subalgoE4EjNS0_10empty_typeEbEEZZNS1_14partition_implILS8_4ELb0ES6_15HIP_vector_typeIjLj2EENS0_17counting_iteratorIjlEEPS9_SG_NS0_5tupleIJPjSI_NS0_16reverse_iteratorISI_EEEEENSH_IJSG_SG_SG_EEES9_SI_JZNS1_25segmented_radix_sort_implINS0_14default_configELb1EPKbPbPKlPlN2at6native12_GLOBAL__N_18offset_tEEE10hipError_tPvRmT1_PNSt15iterator_traitsIS12_E10value_typeET2_T3_PNS13_IS18_E10value_typeET4_jRbjT5_S1E_jjP12ihipStream_tbEUljE_ZNSN_ISO_Lb1ESQ_SR_ST_SU_SY_EESZ_S10_S11_S12_S16_S17_S18_S1B_S1C_jS1D_jS1E_S1E_jjS1G_bEUljE0_EEESZ_S10_S11_S18_S1C_S1E_T6_T7_T9_mT8_S1G_bDpT10_ENKUlT_T0_E_clISt17integral_constantIbLb1EES1T_IbLb0EEEEDaS1P_S1Q_EUlS1P_E_NS1_11comp_targetILNS1_3genE10ELNS1_11target_archE1200ELNS1_3gpuE4ELNS1_3repE0EEENS1_30default_config_static_selectorELNS0_4arch9wavefront6targetE0EEEvS12_.num_agpr, 0
	.set _ZN7rocprim17ROCPRIM_400000_NS6detail17trampoline_kernelINS0_13select_configILj256ELj13ELNS0_17block_load_methodE3ELS4_3ELS4_3ELNS0_20block_scan_algorithmE0ELj4294967295EEENS1_25partition_config_selectorILNS1_17partition_subalgoE4EjNS0_10empty_typeEbEEZZNS1_14partition_implILS8_4ELb0ES6_15HIP_vector_typeIjLj2EENS0_17counting_iteratorIjlEEPS9_SG_NS0_5tupleIJPjSI_NS0_16reverse_iteratorISI_EEEEENSH_IJSG_SG_SG_EEES9_SI_JZNS1_25segmented_radix_sort_implINS0_14default_configELb1EPKbPbPKlPlN2at6native12_GLOBAL__N_18offset_tEEE10hipError_tPvRmT1_PNSt15iterator_traitsIS12_E10value_typeET2_T3_PNS13_IS18_E10value_typeET4_jRbjT5_S1E_jjP12ihipStream_tbEUljE_ZNSN_ISO_Lb1ESQ_SR_ST_SU_SY_EESZ_S10_S11_S12_S16_S17_S18_S1B_S1C_jS1D_jS1E_S1E_jjS1G_bEUljE0_EEESZ_S10_S11_S18_S1C_S1E_T6_T7_T9_mT8_S1G_bDpT10_ENKUlT_T0_E_clISt17integral_constantIbLb1EES1T_IbLb0EEEEDaS1P_S1Q_EUlS1P_E_NS1_11comp_targetILNS1_3genE10ELNS1_11target_archE1200ELNS1_3gpuE4ELNS1_3repE0EEENS1_30default_config_static_selectorELNS0_4arch9wavefront6targetE0EEEvS12_.numbered_sgpr, 0
	.set _ZN7rocprim17ROCPRIM_400000_NS6detail17trampoline_kernelINS0_13select_configILj256ELj13ELNS0_17block_load_methodE3ELS4_3ELS4_3ELNS0_20block_scan_algorithmE0ELj4294967295EEENS1_25partition_config_selectorILNS1_17partition_subalgoE4EjNS0_10empty_typeEbEEZZNS1_14partition_implILS8_4ELb0ES6_15HIP_vector_typeIjLj2EENS0_17counting_iteratorIjlEEPS9_SG_NS0_5tupleIJPjSI_NS0_16reverse_iteratorISI_EEEEENSH_IJSG_SG_SG_EEES9_SI_JZNS1_25segmented_radix_sort_implINS0_14default_configELb1EPKbPbPKlPlN2at6native12_GLOBAL__N_18offset_tEEE10hipError_tPvRmT1_PNSt15iterator_traitsIS12_E10value_typeET2_T3_PNS13_IS18_E10value_typeET4_jRbjT5_S1E_jjP12ihipStream_tbEUljE_ZNSN_ISO_Lb1ESQ_SR_ST_SU_SY_EESZ_S10_S11_S12_S16_S17_S18_S1B_S1C_jS1D_jS1E_S1E_jjS1G_bEUljE0_EEESZ_S10_S11_S18_S1C_S1E_T6_T7_T9_mT8_S1G_bDpT10_ENKUlT_T0_E_clISt17integral_constantIbLb1EES1T_IbLb0EEEEDaS1P_S1Q_EUlS1P_E_NS1_11comp_targetILNS1_3genE10ELNS1_11target_archE1200ELNS1_3gpuE4ELNS1_3repE0EEENS1_30default_config_static_selectorELNS0_4arch9wavefront6targetE0EEEvS12_.num_named_barrier, 0
	.set _ZN7rocprim17ROCPRIM_400000_NS6detail17trampoline_kernelINS0_13select_configILj256ELj13ELNS0_17block_load_methodE3ELS4_3ELS4_3ELNS0_20block_scan_algorithmE0ELj4294967295EEENS1_25partition_config_selectorILNS1_17partition_subalgoE4EjNS0_10empty_typeEbEEZZNS1_14partition_implILS8_4ELb0ES6_15HIP_vector_typeIjLj2EENS0_17counting_iteratorIjlEEPS9_SG_NS0_5tupleIJPjSI_NS0_16reverse_iteratorISI_EEEEENSH_IJSG_SG_SG_EEES9_SI_JZNS1_25segmented_radix_sort_implINS0_14default_configELb1EPKbPbPKlPlN2at6native12_GLOBAL__N_18offset_tEEE10hipError_tPvRmT1_PNSt15iterator_traitsIS12_E10value_typeET2_T3_PNS13_IS18_E10value_typeET4_jRbjT5_S1E_jjP12ihipStream_tbEUljE_ZNSN_ISO_Lb1ESQ_SR_ST_SU_SY_EESZ_S10_S11_S12_S16_S17_S18_S1B_S1C_jS1D_jS1E_S1E_jjS1G_bEUljE0_EEESZ_S10_S11_S18_S1C_S1E_T6_T7_T9_mT8_S1G_bDpT10_ENKUlT_T0_E_clISt17integral_constantIbLb1EES1T_IbLb0EEEEDaS1P_S1Q_EUlS1P_E_NS1_11comp_targetILNS1_3genE10ELNS1_11target_archE1200ELNS1_3gpuE4ELNS1_3repE0EEENS1_30default_config_static_selectorELNS0_4arch9wavefront6targetE0EEEvS12_.private_seg_size, 0
	.set _ZN7rocprim17ROCPRIM_400000_NS6detail17trampoline_kernelINS0_13select_configILj256ELj13ELNS0_17block_load_methodE3ELS4_3ELS4_3ELNS0_20block_scan_algorithmE0ELj4294967295EEENS1_25partition_config_selectorILNS1_17partition_subalgoE4EjNS0_10empty_typeEbEEZZNS1_14partition_implILS8_4ELb0ES6_15HIP_vector_typeIjLj2EENS0_17counting_iteratorIjlEEPS9_SG_NS0_5tupleIJPjSI_NS0_16reverse_iteratorISI_EEEEENSH_IJSG_SG_SG_EEES9_SI_JZNS1_25segmented_radix_sort_implINS0_14default_configELb1EPKbPbPKlPlN2at6native12_GLOBAL__N_18offset_tEEE10hipError_tPvRmT1_PNSt15iterator_traitsIS12_E10value_typeET2_T3_PNS13_IS18_E10value_typeET4_jRbjT5_S1E_jjP12ihipStream_tbEUljE_ZNSN_ISO_Lb1ESQ_SR_ST_SU_SY_EESZ_S10_S11_S12_S16_S17_S18_S1B_S1C_jS1D_jS1E_S1E_jjS1G_bEUljE0_EEESZ_S10_S11_S18_S1C_S1E_T6_T7_T9_mT8_S1G_bDpT10_ENKUlT_T0_E_clISt17integral_constantIbLb1EES1T_IbLb0EEEEDaS1P_S1Q_EUlS1P_E_NS1_11comp_targetILNS1_3genE10ELNS1_11target_archE1200ELNS1_3gpuE4ELNS1_3repE0EEENS1_30default_config_static_selectorELNS0_4arch9wavefront6targetE0EEEvS12_.uses_vcc, 0
	.set _ZN7rocprim17ROCPRIM_400000_NS6detail17trampoline_kernelINS0_13select_configILj256ELj13ELNS0_17block_load_methodE3ELS4_3ELS4_3ELNS0_20block_scan_algorithmE0ELj4294967295EEENS1_25partition_config_selectorILNS1_17partition_subalgoE4EjNS0_10empty_typeEbEEZZNS1_14partition_implILS8_4ELb0ES6_15HIP_vector_typeIjLj2EENS0_17counting_iteratorIjlEEPS9_SG_NS0_5tupleIJPjSI_NS0_16reverse_iteratorISI_EEEEENSH_IJSG_SG_SG_EEES9_SI_JZNS1_25segmented_radix_sort_implINS0_14default_configELb1EPKbPbPKlPlN2at6native12_GLOBAL__N_18offset_tEEE10hipError_tPvRmT1_PNSt15iterator_traitsIS12_E10value_typeET2_T3_PNS13_IS18_E10value_typeET4_jRbjT5_S1E_jjP12ihipStream_tbEUljE_ZNSN_ISO_Lb1ESQ_SR_ST_SU_SY_EESZ_S10_S11_S12_S16_S17_S18_S1B_S1C_jS1D_jS1E_S1E_jjS1G_bEUljE0_EEESZ_S10_S11_S18_S1C_S1E_T6_T7_T9_mT8_S1G_bDpT10_ENKUlT_T0_E_clISt17integral_constantIbLb1EES1T_IbLb0EEEEDaS1P_S1Q_EUlS1P_E_NS1_11comp_targetILNS1_3genE10ELNS1_11target_archE1200ELNS1_3gpuE4ELNS1_3repE0EEENS1_30default_config_static_selectorELNS0_4arch9wavefront6targetE0EEEvS12_.uses_flat_scratch, 0
	.set _ZN7rocprim17ROCPRIM_400000_NS6detail17trampoline_kernelINS0_13select_configILj256ELj13ELNS0_17block_load_methodE3ELS4_3ELS4_3ELNS0_20block_scan_algorithmE0ELj4294967295EEENS1_25partition_config_selectorILNS1_17partition_subalgoE4EjNS0_10empty_typeEbEEZZNS1_14partition_implILS8_4ELb0ES6_15HIP_vector_typeIjLj2EENS0_17counting_iteratorIjlEEPS9_SG_NS0_5tupleIJPjSI_NS0_16reverse_iteratorISI_EEEEENSH_IJSG_SG_SG_EEES9_SI_JZNS1_25segmented_radix_sort_implINS0_14default_configELb1EPKbPbPKlPlN2at6native12_GLOBAL__N_18offset_tEEE10hipError_tPvRmT1_PNSt15iterator_traitsIS12_E10value_typeET2_T3_PNS13_IS18_E10value_typeET4_jRbjT5_S1E_jjP12ihipStream_tbEUljE_ZNSN_ISO_Lb1ESQ_SR_ST_SU_SY_EESZ_S10_S11_S12_S16_S17_S18_S1B_S1C_jS1D_jS1E_S1E_jjS1G_bEUljE0_EEESZ_S10_S11_S18_S1C_S1E_T6_T7_T9_mT8_S1G_bDpT10_ENKUlT_T0_E_clISt17integral_constantIbLb1EES1T_IbLb0EEEEDaS1P_S1Q_EUlS1P_E_NS1_11comp_targetILNS1_3genE10ELNS1_11target_archE1200ELNS1_3gpuE4ELNS1_3repE0EEENS1_30default_config_static_selectorELNS0_4arch9wavefront6targetE0EEEvS12_.has_dyn_sized_stack, 0
	.set _ZN7rocprim17ROCPRIM_400000_NS6detail17trampoline_kernelINS0_13select_configILj256ELj13ELNS0_17block_load_methodE3ELS4_3ELS4_3ELNS0_20block_scan_algorithmE0ELj4294967295EEENS1_25partition_config_selectorILNS1_17partition_subalgoE4EjNS0_10empty_typeEbEEZZNS1_14partition_implILS8_4ELb0ES6_15HIP_vector_typeIjLj2EENS0_17counting_iteratorIjlEEPS9_SG_NS0_5tupleIJPjSI_NS0_16reverse_iteratorISI_EEEEENSH_IJSG_SG_SG_EEES9_SI_JZNS1_25segmented_radix_sort_implINS0_14default_configELb1EPKbPbPKlPlN2at6native12_GLOBAL__N_18offset_tEEE10hipError_tPvRmT1_PNSt15iterator_traitsIS12_E10value_typeET2_T3_PNS13_IS18_E10value_typeET4_jRbjT5_S1E_jjP12ihipStream_tbEUljE_ZNSN_ISO_Lb1ESQ_SR_ST_SU_SY_EESZ_S10_S11_S12_S16_S17_S18_S1B_S1C_jS1D_jS1E_S1E_jjS1G_bEUljE0_EEESZ_S10_S11_S18_S1C_S1E_T6_T7_T9_mT8_S1G_bDpT10_ENKUlT_T0_E_clISt17integral_constantIbLb1EES1T_IbLb0EEEEDaS1P_S1Q_EUlS1P_E_NS1_11comp_targetILNS1_3genE10ELNS1_11target_archE1200ELNS1_3gpuE4ELNS1_3repE0EEENS1_30default_config_static_selectorELNS0_4arch9wavefront6targetE0EEEvS12_.has_recursion, 0
	.set _ZN7rocprim17ROCPRIM_400000_NS6detail17trampoline_kernelINS0_13select_configILj256ELj13ELNS0_17block_load_methodE3ELS4_3ELS4_3ELNS0_20block_scan_algorithmE0ELj4294967295EEENS1_25partition_config_selectorILNS1_17partition_subalgoE4EjNS0_10empty_typeEbEEZZNS1_14partition_implILS8_4ELb0ES6_15HIP_vector_typeIjLj2EENS0_17counting_iteratorIjlEEPS9_SG_NS0_5tupleIJPjSI_NS0_16reverse_iteratorISI_EEEEENSH_IJSG_SG_SG_EEES9_SI_JZNS1_25segmented_radix_sort_implINS0_14default_configELb1EPKbPbPKlPlN2at6native12_GLOBAL__N_18offset_tEEE10hipError_tPvRmT1_PNSt15iterator_traitsIS12_E10value_typeET2_T3_PNS13_IS18_E10value_typeET4_jRbjT5_S1E_jjP12ihipStream_tbEUljE_ZNSN_ISO_Lb1ESQ_SR_ST_SU_SY_EESZ_S10_S11_S12_S16_S17_S18_S1B_S1C_jS1D_jS1E_S1E_jjS1G_bEUljE0_EEESZ_S10_S11_S18_S1C_S1E_T6_T7_T9_mT8_S1G_bDpT10_ENKUlT_T0_E_clISt17integral_constantIbLb1EES1T_IbLb0EEEEDaS1P_S1Q_EUlS1P_E_NS1_11comp_targetILNS1_3genE10ELNS1_11target_archE1200ELNS1_3gpuE4ELNS1_3repE0EEENS1_30default_config_static_selectorELNS0_4arch9wavefront6targetE0EEEvS12_.has_indirect_call, 0
	.section	.AMDGPU.csdata,"",@progbits
; Kernel info:
; codeLenInByte = 0
; TotalNumSgprs: 0
; NumVgprs: 0
; ScratchSize: 0
; MemoryBound: 0
; FloatMode: 240
; IeeeMode: 1
; LDSByteSize: 0 bytes/workgroup (compile time only)
; SGPRBlocks: 0
; VGPRBlocks: 0
; NumSGPRsForWavesPerEU: 1
; NumVGPRsForWavesPerEU: 1
; NamedBarCnt: 0
; Occupancy: 16
; WaveLimiterHint : 0
; COMPUTE_PGM_RSRC2:SCRATCH_EN: 0
; COMPUTE_PGM_RSRC2:USER_SGPR: 2
; COMPUTE_PGM_RSRC2:TRAP_HANDLER: 0
; COMPUTE_PGM_RSRC2:TGID_X_EN: 1
; COMPUTE_PGM_RSRC2:TGID_Y_EN: 0
; COMPUTE_PGM_RSRC2:TGID_Z_EN: 0
; COMPUTE_PGM_RSRC2:TIDIG_COMP_CNT: 0
	.section	.text._ZN7rocprim17ROCPRIM_400000_NS6detail17trampoline_kernelINS0_13select_configILj256ELj13ELNS0_17block_load_methodE3ELS4_3ELS4_3ELNS0_20block_scan_algorithmE0ELj4294967295EEENS1_25partition_config_selectorILNS1_17partition_subalgoE4EjNS0_10empty_typeEbEEZZNS1_14partition_implILS8_4ELb0ES6_15HIP_vector_typeIjLj2EENS0_17counting_iteratorIjlEEPS9_SG_NS0_5tupleIJPjSI_NS0_16reverse_iteratorISI_EEEEENSH_IJSG_SG_SG_EEES9_SI_JZNS1_25segmented_radix_sort_implINS0_14default_configELb1EPKbPbPKlPlN2at6native12_GLOBAL__N_18offset_tEEE10hipError_tPvRmT1_PNSt15iterator_traitsIS12_E10value_typeET2_T3_PNS13_IS18_E10value_typeET4_jRbjT5_S1E_jjP12ihipStream_tbEUljE_ZNSN_ISO_Lb1ESQ_SR_ST_SU_SY_EESZ_S10_S11_S12_S16_S17_S18_S1B_S1C_jS1D_jS1E_S1E_jjS1G_bEUljE0_EEESZ_S10_S11_S18_S1C_S1E_T6_T7_T9_mT8_S1G_bDpT10_ENKUlT_T0_E_clISt17integral_constantIbLb1EES1T_IbLb0EEEEDaS1P_S1Q_EUlS1P_E_NS1_11comp_targetILNS1_3genE9ELNS1_11target_archE1100ELNS1_3gpuE3ELNS1_3repE0EEENS1_30default_config_static_selectorELNS0_4arch9wavefront6targetE0EEEvS12_,"axG",@progbits,_ZN7rocprim17ROCPRIM_400000_NS6detail17trampoline_kernelINS0_13select_configILj256ELj13ELNS0_17block_load_methodE3ELS4_3ELS4_3ELNS0_20block_scan_algorithmE0ELj4294967295EEENS1_25partition_config_selectorILNS1_17partition_subalgoE4EjNS0_10empty_typeEbEEZZNS1_14partition_implILS8_4ELb0ES6_15HIP_vector_typeIjLj2EENS0_17counting_iteratorIjlEEPS9_SG_NS0_5tupleIJPjSI_NS0_16reverse_iteratorISI_EEEEENSH_IJSG_SG_SG_EEES9_SI_JZNS1_25segmented_radix_sort_implINS0_14default_configELb1EPKbPbPKlPlN2at6native12_GLOBAL__N_18offset_tEEE10hipError_tPvRmT1_PNSt15iterator_traitsIS12_E10value_typeET2_T3_PNS13_IS18_E10value_typeET4_jRbjT5_S1E_jjP12ihipStream_tbEUljE_ZNSN_ISO_Lb1ESQ_SR_ST_SU_SY_EESZ_S10_S11_S12_S16_S17_S18_S1B_S1C_jS1D_jS1E_S1E_jjS1G_bEUljE0_EEESZ_S10_S11_S18_S1C_S1E_T6_T7_T9_mT8_S1G_bDpT10_ENKUlT_T0_E_clISt17integral_constantIbLb1EES1T_IbLb0EEEEDaS1P_S1Q_EUlS1P_E_NS1_11comp_targetILNS1_3genE9ELNS1_11target_archE1100ELNS1_3gpuE3ELNS1_3repE0EEENS1_30default_config_static_selectorELNS0_4arch9wavefront6targetE0EEEvS12_,comdat
	.globl	_ZN7rocprim17ROCPRIM_400000_NS6detail17trampoline_kernelINS0_13select_configILj256ELj13ELNS0_17block_load_methodE3ELS4_3ELS4_3ELNS0_20block_scan_algorithmE0ELj4294967295EEENS1_25partition_config_selectorILNS1_17partition_subalgoE4EjNS0_10empty_typeEbEEZZNS1_14partition_implILS8_4ELb0ES6_15HIP_vector_typeIjLj2EENS0_17counting_iteratorIjlEEPS9_SG_NS0_5tupleIJPjSI_NS0_16reverse_iteratorISI_EEEEENSH_IJSG_SG_SG_EEES9_SI_JZNS1_25segmented_radix_sort_implINS0_14default_configELb1EPKbPbPKlPlN2at6native12_GLOBAL__N_18offset_tEEE10hipError_tPvRmT1_PNSt15iterator_traitsIS12_E10value_typeET2_T3_PNS13_IS18_E10value_typeET4_jRbjT5_S1E_jjP12ihipStream_tbEUljE_ZNSN_ISO_Lb1ESQ_SR_ST_SU_SY_EESZ_S10_S11_S12_S16_S17_S18_S1B_S1C_jS1D_jS1E_S1E_jjS1G_bEUljE0_EEESZ_S10_S11_S18_S1C_S1E_T6_T7_T9_mT8_S1G_bDpT10_ENKUlT_T0_E_clISt17integral_constantIbLb1EES1T_IbLb0EEEEDaS1P_S1Q_EUlS1P_E_NS1_11comp_targetILNS1_3genE9ELNS1_11target_archE1100ELNS1_3gpuE3ELNS1_3repE0EEENS1_30default_config_static_selectorELNS0_4arch9wavefront6targetE0EEEvS12_ ; -- Begin function _ZN7rocprim17ROCPRIM_400000_NS6detail17trampoline_kernelINS0_13select_configILj256ELj13ELNS0_17block_load_methodE3ELS4_3ELS4_3ELNS0_20block_scan_algorithmE0ELj4294967295EEENS1_25partition_config_selectorILNS1_17partition_subalgoE4EjNS0_10empty_typeEbEEZZNS1_14partition_implILS8_4ELb0ES6_15HIP_vector_typeIjLj2EENS0_17counting_iteratorIjlEEPS9_SG_NS0_5tupleIJPjSI_NS0_16reverse_iteratorISI_EEEEENSH_IJSG_SG_SG_EEES9_SI_JZNS1_25segmented_radix_sort_implINS0_14default_configELb1EPKbPbPKlPlN2at6native12_GLOBAL__N_18offset_tEEE10hipError_tPvRmT1_PNSt15iterator_traitsIS12_E10value_typeET2_T3_PNS13_IS18_E10value_typeET4_jRbjT5_S1E_jjP12ihipStream_tbEUljE_ZNSN_ISO_Lb1ESQ_SR_ST_SU_SY_EESZ_S10_S11_S12_S16_S17_S18_S1B_S1C_jS1D_jS1E_S1E_jjS1G_bEUljE0_EEESZ_S10_S11_S18_S1C_S1E_T6_T7_T9_mT8_S1G_bDpT10_ENKUlT_T0_E_clISt17integral_constantIbLb1EES1T_IbLb0EEEEDaS1P_S1Q_EUlS1P_E_NS1_11comp_targetILNS1_3genE9ELNS1_11target_archE1100ELNS1_3gpuE3ELNS1_3repE0EEENS1_30default_config_static_selectorELNS0_4arch9wavefront6targetE0EEEvS12_
	.p2align	8
	.type	_ZN7rocprim17ROCPRIM_400000_NS6detail17trampoline_kernelINS0_13select_configILj256ELj13ELNS0_17block_load_methodE3ELS4_3ELS4_3ELNS0_20block_scan_algorithmE0ELj4294967295EEENS1_25partition_config_selectorILNS1_17partition_subalgoE4EjNS0_10empty_typeEbEEZZNS1_14partition_implILS8_4ELb0ES6_15HIP_vector_typeIjLj2EENS0_17counting_iteratorIjlEEPS9_SG_NS0_5tupleIJPjSI_NS0_16reverse_iteratorISI_EEEEENSH_IJSG_SG_SG_EEES9_SI_JZNS1_25segmented_radix_sort_implINS0_14default_configELb1EPKbPbPKlPlN2at6native12_GLOBAL__N_18offset_tEEE10hipError_tPvRmT1_PNSt15iterator_traitsIS12_E10value_typeET2_T3_PNS13_IS18_E10value_typeET4_jRbjT5_S1E_jjP12ihipStream_tbEUljE_ZNSN_ISO_Lb1ESQ_SR_ST_SU_SY_EESZ_S10_S11_S12_S16_S17_S18_S1B_S1C_jS1D_jS1E_S1E_jjS1G_bEUljE0_EEESZ_S10_S11_S18_S1C_S1E_T6_T7_T9_mT8_S1G_bDpT10_ENKUlT_T0_E_clISt17integral_constantIbLb1EES1T_IbLb0EEEEDaS1P_S1Q_EUlS1P_E_NS1_11comp_targetILNS1_3genE9ELNS1_11target_archE1100ELNS1_3gpuE3ELNS1_3repE0EEENS1_30default_config_static_selectorELNS0_4arch9wavefront6targetE0EEEvS12_,@function
_ZN7rocprim17ROCPRIM_400000_NS6detail17trampoline_kernelINS0_13select_configILj256ELj13ELNS0_17block_load_methodE3ELS4_3ELS4_3ELNS0_20block_scan_algorithmE0ELj4294967295EEENS1_25partition_config_selectorILNS1_17partition_subalgoE4EjNS0_10empty_typeEbEEZZNS1_14partition_implILS8_4ELb0ES6_15HIP_vector_typeIjLj2EENS0_17counting_iteratorIjlEEPS9_SG_NS0_5tupleIJPjSI_NS0_16reverse_iteratorISI_EEEEENSH_IJSG_SG_SG_EEES9_SI_JZNS1_25segmented_radix_sort_implINS0_14default_configELb1EPKbPbPKlPlN2at6native12_GLOBAL__N_18offset_tEEE10hipError_tPvRmT1_PNSt15iterator_traitsIS12_E10value_typeET2_T3_PNS13_IS18_E10value_typeET4_jRbjT5_S1E_jjP12ihipStream_tbEUljE_ZNSN_ISO_Lb1ESQ_SR_ST_SU_SY_EESZ_S10_S11_S12_S16_S17_S18_S1B_S1C_jS1D_jS1E_S1E_jjS1G_bEUljE0_EEESZ_S10_S11_S18_S1C_S1E_T6_T7_T9_mT8_S1G_bDpT10_ENKUlT_T0_E_clISt17integral_constantIbLb1EES1T_IbLb0EEEEDaS1P_S1Q_EUlS1P_E_NS1_11comp_targetILNS1_3genE9ELNS1_11target_archE1100ELNS1_3gpuE3ELNS1_3repE0EEENS1_30default_config_static_selectorELNS0_4arch9wavefront6targetE0EEEvS12_: ; @_ZN7rocprim17ROCPRIM_400000_NS6detail17trampoline_kernelINS0_13select_configILj256ELj13ELNS0_17block_load_methodE3ELS4_3ELS4_3ELNS0_20block_scan_algorithmE0ELj4294967295EEENS1_25partition_config_selectorILNS1_17partition_subalgoE4EjNS0_10empty_typeEbEEZZNS1_14partition_implILS8_4ELb0ES6_15HIP_vector_typeIjLj2EENS0_17counting_iteratorIjlEEPS9_SG_NS0_5tupleIJPjSI_NS0_16reverse_iteratorISI_EEEEENSH_IJSG_SG_SG_EEES9_SI_JZNS1_25segmented_radix_sort_implINS0_14default_configELb1EPKbPbPKlPlN2at6native12_GLOBAL__N_18offset_tEEE10hipError_tPvRmT1_PNSt15iterator_traitsIS12_E10value_typeET2_T3_PNS13_IS18_E10value_typeET4_jRbjT5_S1E_jjP12ihipStream_tbEUljE_ZNSN_ISO_Lb1ESQ_SR_ST_SU_SY_EESZ_S10_S11_S12_S16_S17_S18_S1B_S1C_jS1D_jS1E_S1E_jjS1G_bEUljE0_EEESZ_S10_S11_S18_S1C_S1E_T6_T7_T9_mT8_S1G_bDpT10_ENKUlT_T0_E_clISt17integral_constantIbLb1EES1T_IbLb0EEEEDaS1P_S1Q_EUlS1P_E_NS1_11comp_targetILNS1_3genE9ELNS1_11target_archE1100ELNS1_3gpuE3ELNS1_3repE0EEENS1_30default_config_static_selectorELNS0_4arch9wavefront6targetE0EEEvS12_
; %bb.0:
	.section	.rodata,"a",@progbits
	.p2align	6, 0x0
	.amdhsa_kernel _ZN7rocprim17ROCPRIM_400000_NS6detail17trampoline_kernelINS0_13select_configILj256ELj13ELNS0_17block_load_methodE3ELS4_3ELS4_3ELNS0_20block_scan_algorithmE0ELj4294967295EEENS1_25partition_config_selectorILNS1_17partition_subalgoE4EjNS0_10empty_typeEbEEZZNS1_14partition_implILS8_4ELb0ES6_15HIP_vector_typeIjLj2EENS0_17counting_iteratorIjlEEPS9_SG_NS0_5tupleIJPjSI_NS0_16reverse_iteratorISI_EEEEENSH_IJSG_SG_SG_EEES9_SI_JZNS1_25segmented_radix_sort_implINS0_14default_configELb1EPKbPbPKlPlN2at6native12_GLOBAL__N_18offset_tEEE10hipError_tPvRmT1_PNSt15iterator_traitsIS12_E10value_typeET2_T3_PNS13_IS18_E10value_typeET4_jRbjT5_S1E_jjP12ihipStream_tbEUljE_ZNSN_ISO_Lb1ESQ_SR_ST_SU_SY_EESZ_S10_S11_S12_S16_S17_S18_S1B_S1C_jS1D_jS1E_S1E_jjS1G_bEUljE0_EEESZ_S10_S11_S18_S1C_S1E_T6_T7_T9_mT8_S1G_bDpT10_ENKUlT_T0_E_clISt17integral_constantIbLb1EES1T_IbLb0EEEEDaS1P_S1Q_EUlS1P_E_NS1_11comp_targetILNS1_3genE9ELNS1_11target_archE1100ELNS1_3gpuE3ELNS1_3repE0EEENS1_30default_config_static_selectorELNS0_4arch9wavefront6targetE0EEEvS12_
		.amdhsa_group_segment_fixed_size 0
		.amdhsa_private_segment_fixed_size 0
		.amdhsa_kernarg_size 176
		.amdhsa_user_sgpr_count 2
		.amdhsa_user_sgpr_dispatch_ptr 0
		.amdhsa_user_sgpr_queue_ptr 0
		.amdhsa_user_sgpr_kernarg_segment_ptr 1
		.amdhsa_user_sgpr_dispatch_id 0
		.amdhsa_user_sgpr_kernarg_preload_length 0
		.amdhsa_user_sgpr_kernarg_preload_offset 0
		.amdhsa_user_sgpr_private_segment_size 0
		.amdhsa_wavefront_size32 1
		.amdhsa_uses_dynamic_stack 0
		.amdhsa_enable_private_segment 0
		.amdhsa_system_sgpr_workgroup_id_x 1
		.amdhsa_system_sgpr_workgroup_id_y 0
		.amdhsa_system_sgpr_workgroup_id_z 0
		.amdhsa_system_sgpr_workgroup_info 0
		.amdhsa_system_vgpr_workitem_id 0
		.amdhsa_next_free_vgpr 1
		.amdhsa_next_free_sgpr 1
		.amdhsa_named_barrier_count 0
		.amdhsa_reserve_vcc 0
		.amdhsa_float_round_mode_32 0
		.amdhsa_float_round_mode_16_64 0
		.amdhsa_float_denorm_mode_32 3
		.amdhsa_float_denorm_mode_16_64 3
		.amdhsa_fp16_overflow 0
		.amdhsa_memory_ordered 1
		.amdhsa_forward_progress 1
		.amdhsa_inst_pref_size 0
		.amdhsa_round_robin_scheduling 0
		.amdhsa_exception_fp_ieee_invalid_op 0
		.amdhsa_exception_fp_denorm_src 0
		.amdhsa_exception_fp_ieee_div_zero 0
		.amdhsa_exception_fp_ieee_overflow 0
		.amdhsa_exception_fp_ieee_underflow 0
		.amdhsa_exception_fp_ieee_inexact 0
		.amdhsa_exception_int_div_zero 0
	.end_amdhsa_kernel
	.section	.text._ZN7rocprim17ROCPRIM_400000_NS6detail17trampoline_kernelINS0_13select_configILj256ELj13ELNS0_17block_load_methodE3ELS4_3ELS4_3ELNS0_20block_scan_algorithmE0ELj4294967295EEENS1_25partition_config_selectorILNS1_17partition_subalgoE4EjNS0_10empty_typeEbEEZZNS1_14partition_implILS8_4ELb0ES6_15HIP_vector_typeIjLj2EENS0_17counting_iteratorIjlEEPS9_SG_NS0_5tupleIJPjSI_NS0_16reverse_iteratorISI_EEEEENSH_IJSG_SG_SG_EEES9_SI_JZNS1_25segmented_radix_sort_implINS0_14default_configELb1EPKbPbPKlPlN2at6native12_GLOBAL__N_18offset_tEEE10hipError_tPvRmT1_PNSt15iterator_traitsIS12_E10value_typeET2_T3_PNS13_IS18_E10value_typeET4_jRbjT5_S1E_jjP12ihipStream_tbEUljE_ZNSN_ISO_Lb1ESQ_SR_ST_SU_SY_EESZ_S10_S11_S12_S16_S17_S18_S1B_S1C_jS1D_jS1E_S1E_jjS1G_bEUljE0_EEESZ_S10_S11_S18_S1C_S1E_T6_T7_T9_mT8_S1G_bDpT10_ENKUlT_T0_E_clISt17integral_constantIbLb1EES1T_IbLb0EEEEDaS1P_S1Q_EUlS1P_E_NS1_11comp_targetILNS1_3genE9ELNS1_11target_archE1100ELNS1_3gpuE3ELNS1_3repE0EEENS1_30default_config_static_selectorELNS0_4arch9wavefront6targetE0EEEvS12_,"axG",@progbits,_ZN7rocprim17ROCPRIM_400000_NS6detail17trampoline_kernelINS0_13select_configILj256ELj13ELNS0_17block_load_methodE3ELS4_3ELS4_3ELNS0_20block_scan_algorithmE0ELj4294967295EEENS1_25partition_config_selectorILNS1_17partition_subalgoE4EjNS0_10empty_typeEbEEZZNS1_14partition_implILS8_4ELb0ES6_15HIP_vector_typeIjLj2EENS0_17counting_iteratorIjlEEPS9_SG_NS0_5tupleIJPjSI_NS0_16reverse_iteratorISI_EEEEENSH_IJSG_SG_SG_EEES9_SI_JZNS1_25segmented_radix_sort_implINS0_14default_configELb1EPKbPbPKlPlN2at6native12_GLOBAL__N_18offset_tEEE10hipError_tPvRmT1_PNSt15iterator_traitsIS12_E10value_typeET2_T3_PNS13_IS18_E10value_typeET4_jRbjT5_S1E_jjP12ihipStream_tbEUljE_ZNSN_ISO_Lb1ESQ_SR_ST_SU_SY_EESZ_S10_S11_S12_S16_S17_S18_S1B_S1C_jS1D_jS1E_S1E_jjS1G_bEUljE0_EEESZ_S10_S11_S18_S1C_S1E_T6_T7_T9_mT8_S1G_bDpT10_ENKUlT_T0_E_clISt17integral_constantIbLb1EES1T_IbLb0EEEEDaS1P_S1Q_EUlS1P_E_NS1_11comp_targetILNS1_3genE9ELNS1_11target_archE1100ELNS1_3gpuE3ELNS1_3repE0EEENS1_30default_config_static_selectorELNS0_4arch9wavefront6targetE0EEEvS12_,comdat
.Lfunc_end1482:
	.size	_ZN7rocprim17ROCPRIM_400000_NS6detail17trampoline_kernelINS0_13select_configILj256ELj13ELNS0_17block_load_methodE3ELS4_3ELS4_3ELNS0_20block_scan_algorithmE0ELj4294967295EEENS1_25partition_config_selectorILNS1_17partition_subalgoE4EjNS0_10empty_typeEbEEZZNS1_14partition_implILS8_4ELb0ES6_15HIP_vector_typeIjLj2EENS0_17counting_iteratorIjlEEPS9_SG_NS0_5tupleIJPjSI_NS0_16reverse_iteratorISI_EEEEENSH_IJSG_SG_SG_EEES9_SI_JZNS1_25segmented_radix_sort_implINS0_14default_configELb1EPKbPbPKlPlN2at6native12_GLOBAL__N_18offset_tEEE10hipError_tPvRmT1_PNSt15iterator_traitsIS12_E10value_typeET2_T3_PNS13_IS18_E10value_typeET4_jRbjT5_S1E_jjP12ihipStream_tbEUljE_ZNSN_ISO_Lb1ESQ_SR_ST_SU_SY_EESZ_S10_S11_S12_S16_S17_S18_S1B_S1C_jS1D_jS1E_S1E_jjS1G_bEUljE0_EEESZ_S10_S11_S18_S1C_S1E_T6_T7_T9_mT8_S1G_bDpT10_ENKUlT_T0_E_clISt17integral_constantIbLb1EES1T_IbLb0EEEEDaS1P_S1Q_EUlS1P_E_NS1_11comp_targetILNS1_3genE9ELNS1_11target_archE1100ELNS1_3gpuE3ELNS1_3repE0EEENS1_30default_config_static_selectorELNS0_4arch9wavefront6targetE0EEEvS12_, .Lfunc_end1482-_ZN7rocprim17ROCPRIM_400000_NS6detail17trampoline_kernelINS0_13select_configILj256ELj13ELNS0_17block_load_methodE3ELS4_3ELS4_3ELNS0_20block_scan_algorithmE0ELj4294967295EEENS1_25partition_config_selectorILNS1_17partition_subalgoE4EjNS0_10empty_typeEbEEZZNS1_14partition_implILS8_4ELb0ES6_15HIP_vector_typeIjLj2EENS0_17counting_iteratorIjlEEPS9_SG_NS0_5tupleIJPjSI_NS0_16reverse_iteratorISI_EEEEENSH_IJSG_SG_SG_EEES9_SI_JZNS1_25segmented_radix_sort_implINS0_14default_configELb1EPKbPbPKlPlN2at6native12_GLOBAL__N_18offset_tEEE10hipError_tPvRmT1_PNSt15iterator_traitsIS12_E10value_typeET2_T3_PNS13_IS18_E10value_typeET4_jRbjT5_S1E_jjP12ihipStream_tbEUljE_ZNSN_ISO_Lb1ESQ_SR_ST_SU_SY_EESZ_S10_S11_S12_S16_S17_S18_S1B_S1C_jS1D_jS1E_S1E_jjS1G_bEUljE0_EEESZ_S10_S11_S18_S1C_S1E_T6_T7_T9_mT8_S1G_bDpT10_ENKUlT_T0_E_clISt17integral_constantIbLb1EES1T_IbLb0EEEEDaS1P_S1Q_EUlS1P_E_NS1_11comp_targetILNS1_3genE9ELNS1_11target_archE1100ELNS1_3gpuE3ELNS1_3repE0EEENS1_30default_config_static_selectorELNS0_4arch9wavefront6targetE0EEEvS12_
                                        ; -- End function
	.set _ZN7rocprim17ROCPRIM_400000_NS6detail17trampoline_kernelINS0_13select_configILj256ELj13ELNS0_17block_load_methodE3ELS4_3ELS4_3ELNS0_20block_scan_algorithmE0ELj4294967295EEENS1_25partition_config_selectorILNS1_17partition_subalgoE4EjNS0_10empty_typeEbEEZZNS1_14partition_implILS8_4ELb0ES6_15HIP_vector_typeIjLj2EENS0_17counting_iteratorIjlEEPS9_SG_NS0_5tupleIJPjSI_NS0_16reverse_iteratorISI_EEEEENSH_IJSG_SG_SG_EEES9_SI_JZNS1_25segmented_radix_sort_implINS0_14default_configELb1EPKbPbPKlPlN2at6native12_GLOBAL__N_18offset_tEEE10hipError_tPvRmT1_PNSt15iterator_traitsIS12_E10value_typeET2_T3_PNS13_IS18_E10value_typeET4_jRbjT5_S1E_jjP12ihipStream_tbEUljE_ZNSN_ISO_Lb1ESQ_SR_ST_SU_SY_EESZ_S10_S11_S12_S16_S17_S18_S1B_S1C_jS1D_jS1E_S1E_jjS1G_bEUljE0_EEESZ_S10_S11_S18_S1C_S1E_T6_T7_T9_mT8_S1G_bDpT10_ENKUlT_T0_E_clISt17integral_constantIbLb1EES1T_IbLb0EEEEDaS1P_S1Q_EUlS1P_E_NS1_11comp_targetILNS1_3genE9ELNS1_11target_archE1100ELNS1_3gpuE3ELNS1_3repE0EEENS1_30default_config_static_selectorELNS0_4arch9wavefront6targetE0EEEvS12_.num_vgpr, 0
	.set _ZN7rocprim17ROCPRIM_400000_NS6detail17trampoline_kernelINS0_13select_configILj256ELj13ELNS0_17block_load_methodE3ELS4_3ELS4_3ELNS0_20block_scan_algorithmE0ELj4294967295EEENS1_25partition_config_selectorILNS1_17partition_subalgoE4EjNS0_10empty_typeEbEEZZNS1_14partition_implILS8_4ELb0ES6_15HIP_vector_typeIjLj2EENS0_17counting_iteratorIjlEEPS9_SG_NS0_5tupleIJPjSI_NS0_16reverse_iteratorISI_EEEEENSH_IJSG_SG_SG_EEES9_SI_JZNS1_25segmented_radix_sort_implINS0_14default_configELb1EPKbPbPKlPlN2at6native12_GLOBAL__N_18offset_tEEE10hipError_tPvRmT1_PNSt15iterator_traitsIS12_E10value_typeET2_T3_PNS13_IS18_E10value_typeET4_jRbjT5_S1E_jjP12ihipStream_tbEUljE_ZNSN_ISO_Lb1ESQ_SR_ST_SU_SY_EESZ_S10_S11_S12_S16_S17_S18_S1B_S1C_jS1D_jS1E_S1E_jjS1G_bEUljE0_EEESZ_S10_S11_S18_S1C_S1E_T6_T7_T9_mT8_S1G_bDpT10_ENKUlT_T0_E_clISt17integral_constantIbLb1EES1T_IbLb0EEEEDaS1P_S1Q_EUlS1P_E_NS1_11comp_targetILNS1_3genE9ELNS1_11target_archE1100ELNS1_3gpuE3ELNS1_3repE0EEENS1_30default_config_static_selectorELNS0_4arch9wavefront6targetE0EEEvS12_.num_agpr, 0
	.set _ZN7rocprim17ROCPRIM_400000_NS6detail17trampoline_kernelINS0_13select_configILj256ELj13ELNS0_17block_load_methodE3ELS4_3ELS4_3ELNS0_20block_scan_algorithmE0ELj4294967295EEENS1_25partition_config_selectorILNS1_17partition_subalgoE4EjNS0_10empty_typeEbEEZZNS1_14partition_implILS8_4ELb0ES6_15HIP_vector_typeIjLj2EENS0_17counting_iteratorIjlEEPS9_SG_NS0_5tupleIJPjSI_NS0_16reverse_iteratorISI_EEEEENSH_IJSG_SG_SG_EEES9_SI_JZNS1_25segmented_radix_sort_implINS0_14default_configELb1EPKbPbPKlPlN2at6native12_GLOBAL__N_18offset_tEEE10hipError_tPvRmT1_PNSt15iterator_traitsIS12_E10value_typeET2_T3_PNS13_IS18_E10value_typeET4_jRbjT5_S1E_jjP12ihipStream_tbEUljE_ZNSN_ISO_Lb1ESQ_SR_ST_SU_SY_EESZ_S10_S11_S12_S16_S17_S18_S1B_S1C_jS1D_jS1E_S1E_jjS1G_bEUljE0_EEESZ_S10_S11_S18_S1C_S1E_T6_T7_T9_mT8_S1G_bDpT10_ENKUlT_T0_E_clISt17integral_constantIbLb1EES1T_IbLb0EEEEDaS1P_S1Q_EUlS1P_E_NS1_11comp_targetILNS1_3genE9ELNS1_11target_archE1100ELNS1_3gpuE3ELNS1_3repE0EEENS1_30default_config_static_selectorELNS0_4arch9wavefront6targetE0EEEvS12_.numbered_sgpr, 0
	.set _ZN7rocprim17ROCPRIM_400000_NS6detail17trampoline_kernelINS0_13select_configILj256ELj13ELNS0_17block_load_methodE3ELS4_3ELS4_3ELNS0_20block_scan_algorithmE0ELj4294967295EEENS1_25partition_config_selectorILNS1_17partition_subalgoE4EjNS0_10empty_typeEbEEZZNS1_14partition_implILS8_4ELb0ES6_15HIP_vector_typeIjLj2EENS0_17counting_iteratorIjlEEPS9_SG_NS0_5tupleIJPjSI_NS0_16reverse_iteratorISI_EEEEENSH_IJSG_SG_SG_EEES9_SI_JZNS1_25segmented_radix_sort_implINS0_14default_configELb1EPKbPbPKlPlN2at6native12_GLOBAL__N_18offset_tEEE10hipError_tPvRmT1_PNSt15iterator_traitsIS12_E10value_typeET2_T3_PNS13_IS18_E10value_typeET4_jRbjT5_S1E_jjP12ihipStream_tbEUljE_ZNSN_ISO_Lb1ESQ_SR_ST_SU_SY_EESZ_S10_S11_S12_S16_S17_S18_S1B_S1C_jS1D_jS1E_S1E_jjS1G_bEUljE0_EEESZ_S10_S11_S18_S1C_S1E_T6_T7_T9_mT8_S1G_bDpT10_ENKUlT_T0_E_clISt17integral_constantIbLb1EES1T_IbLb0EEEEDaS1P_S1Q_EUlS1P_E_NS1_11comp_targetILNS1_3genE9ELNS1_11target_archE1100ELNS1_3gpuE3ELNS1_3repE0EEENS1_30default_config_static_selectorELNS0_4arch9wavefront6targetE0EEEvS12_.num_named_barrier, 0
	.set _ZN7rocprim17ROCPRIM_400000_NS6detail17trampoline_kernelINS0_13select_configILj256ELj13ELNS0_17block_load_methodE3ELS4_3ELS4_3ELNS0_20block_scan_algorithmE0ELj4294967295EEENS1_25partition_config_selectorILNS1_17partition_subalgoE4EjNS0_10empty_typeEbEEZZNS1_14partition_implILS8_4ELb0ES6_15HIP_vector_typeIjLj2EENS0_17counting_iteratorIjlEEPS9_SG_NS0_5tupleIJPjSI_NS0_16reverse_iteratorISI_EEEEENSH_IJSG_SG_SG_EEES9_SI_JZNS1_25segmented_radix_sort_implINS0_14default_configELb1EPKbPbPKlPlN2at6native12_GLOBAL__N_18offset_tEEE10hipError_tPvRmT1_PNSt15iterator_traitsIS12_E10value_typeET2_T3_PNS13_IS18_E10value_typeET4_jRbjT5_S1E_jjP12ihipStream_tbEUljE_ZNSN_ISO_Lb1ESQ_SR_ST_SU_SY_EESZ_S10_S11_S12_S16_S17_S18_S1B_S1C_jS1D_jS1E_S1E_jjS1G_bEUljE0_EEESZ_S10_S11_S18_S1C_S1E_T6_T7_T9_mT8_S1G_bDpT10_ENKUlT_T0_E_clISt17integral_constantIbLb1EES1T_IbLb0EEEEDaS1P_S1Q_EUlS1P_E_NS1_11comp_targetILNS1_3genE9ELNS1_11target_archE1100ELNS1_3gpuE3ELNS1_3repE0EEENS1_30default_config_static_selectorELNS0_4arch9wavefront6targetE0EEEvS12_.private_seg_size, 0
	.set _ZN7rocprim17ROCPRIM_400000_NS6detail17trampoline_kernelINS0_13select_configILj256ELj13ELNS0_17block_load_methodE3ELS4_3ELS4_3ELNS0_20block_scan_algorithmE0ELj4294967295EEENS1_25partition_config_selectorILNS1_17partition_subalgoE4EjNS0_10empty_typeEbEEZZNS1_14partition_implILS8_4ELb0ES6_15HIP_vector_typeIjLj2EENS0_17counting_iteratorIjlEEPS9_SG_NS0_5tupleIJPjSI_NS0_16reverse_iteratorISI_EEEEENSH_IJSG_SG_SG_EEES9_SI_JZNS1_25segmented_radix_sort_implINS0_14default_configELb1EPKbPbPKlPlN2at6native12_GLOBAL__N_18offset_tEEE10hipError_tPvRmT1_PNSt15iterator_traitsIS12_E10value_typeET2_T3_PNS13_IS18_E10value_typeET4_jRbjT5_S1E_jjP12ihipStream_tbEUljE_ZNSN_ISO_Lb1ESQ_SR_ST_SU_SY_EESZ_S10_S11_S12_S16_S17_S18_S1B_S1C_jS1D_jS1E_S1E_jjS1G_bEUljE0_EEESZ_S10_S11_S18_S1C_S1E_T6_T7_T9_mT8_S1G_bDpT10_ENKUlT_T0_E_clISt17integral_constantIbLb1EES1T_IbLb0EEEEDaS1P_S1Q_EUlS1P_E_NS1_11comp_targetILNS1_3genE9ELNS1_11target_archE1100ELNS1_3gpuE3ELNS1_3repE0EEENS1_30default_config_static_selectorELNS0_4arch9wavefront6targetE0EEEvS12_.uses_vcc, 0
	.set _ZN7rocprim17ROCPRIM_400000_NS6detail17trampoline_kernelINS0_13select_configILj256ELj13ELNS0_17block_load_methodE3ELS4_3ELS4_3ELNS0_20block_scan_algorithmE0ELj4294967295EEENS1_25partition_config_selectorILNS1_17partition_subalgoE4EjNS0_10empty_typeEbEEZZNS1_14partition_implILS8_4ELb0ES6_15HIP_vector_typeIjLj2EENS0_17counting_iteratorIjlEEPS9_SG_NS0_5tupleIJPjSI_NS0_16reverse_iteratorISI_EEEEENSH_IJSG_SG_SG_EEES9_SI_JZNS1_25segmented_radix_sort_implINS0_14default_configELb1EPKbPbPKlPlN2at6native12_GLOBAL__N_18offset_tEEE10hipError_tPvRmT1_PNSt15iterator_traitsIS12_E10value_typeET2_T3_PNS13_IS18_E10value_typeET4_jRbjT5_S1E_jjP12ihipStream_tbEUljE_ZNSN_ISO_Lb1ESQ_SR_ST_SU_SY_EESZ_S10_S11_S12_S16_S17_S18_S1B_S1C_jS1D_jS1E_S1E_jjS1G_bEUljE0_EEESZ_S10_S11_S18_S1C_S1E_T6_T7_T9_mT8_S1G_bDpT10_ENKUlT_T0_E_clISt17integral_constantIbLb1EES1T_IbLb0EEEEDaS1P_S1Q_EUlS1P_E_NS1_11comp_targetILNS1_3genE9ELNS1_11target_archE1100ELNS1_3gpuE3ELNS1_3repE0EEENS1_30default_config_static_selectorELNS0_4arch9wavefront6targetE0EEEvS12_.uses_flat_scratch, 0
	.set _ZN7rocprim17ROCPRIM_400000_NS6detail17trampoline_kernelINS0_13select_configILj256ELj13ELNS0_17block_load_methodE3ELS4_3ELS4_3ELNS0_20block_scan_algorithmE0ELj4294967295EEENS1_25partition_config_selectorILNS1_17partition_subalgoE4EjNS0_10empty_typeEbEEZZNS1_14partition_implILS8_4ELb0ES6_15HIP_vector_typeIjLj2EENS0_17counting_iteratorIjlEEPS9_SG_NS0_5tupleIJPjSI_NS0_16reverse_iteratorISI_EEEEENSH_IJSG_SG_SG_EEES9_SI_JZNS1_25segmented_radix_sort_implINS0_14default_configELb1EPKbPbPKlPlN2at6native12_GLOBAL__N_18offset_tEEE10hipError_tPvRmT1_PNSt15iterator_traitsIS12_E10value_typeET2_T3_PNS13_IS18_E10value_typeET4_jRbjT5_S1E_jjP12ihipStream_tbEUljE_ZNSN_ISO_Lb1ESQ_SR_ST_SU_SY_EESZ_S10_S11_S12_S16_S17_S18_S1B_S1C_jS1D_jS1E_S1E_jjS1G_bEUljE0_EEESZ_S10_S11_S18_S1C_S1E_T6_T7_T9_mT8_S1G_bDpT10_ENKUlT_T0_E_clISt17integral_constantIbLb1EES1T_IbLb0EEEEDaS1P_S1Q_EUlS1P_E_NS1_11comp_targetILNS1_3genE9ELNS1_11target_archE1100ELNS1_3gpuE3ELNS1_3repE0EEENS1_30default_config_static_selectorELNS0_4arch9wavefront6targetE0EEEvS12_.has_dyn_sized_stack, 0
	.set _ZN7rocprim17ROCPRIM_400000_NS6detail17trampoline_kernelINS0_13select_configILj256ELj13ELNS0_17block_load_methodE3ELS4_3ELS4_3ELNS0_20block_scan_algorithmE0ELj4294967295EEENS1_25partition_config_selectorILNS1_17partition_subalgoE4EjNS0_10empty_typeEbEEZZNS1_14partition_implILS8_4ELb0ES6_15HIP_vector_typeIjLj2EENS0_17counting_iteratorIjlEEPS9_SG_NS0_5tupleIJPjSI_NS0_16reverse_iteratorISI_EEEEENSH_IJSG_SG_SG_EEES9_SI_JZNS1_25segmented_radix_sort_implINS0_14default_configELb1EPKbPbPKlPlN2at6native12_GLOBAL__N_18offset_tEEE10hipError_tPvRmT1_PNSt15iterator_traitsIS12_E10value_typeET2_T3_PNS13_IS18_E10value_typeET4_jRbjT5_S1E_jjP12ihipStream_tbEUljE_ZNSN_ISO_Lb1ESQ_SR_ST_SU_SY_EESZ_S10_S11_S12_S16_S17_S18_S1B_S1C_jS1D_jS1E_S1E_jjS1G_bEUljE0_EEESZ_S10_S11_S18_S1C_S1E_T6_T7_T9_mT8_S1G_bDpT10_ENKUlT_T0_E_clISt17integral_constantIbLb1EES1T_IbLb0EEEEDaS1P_S1Q_EUlS1P_E_NS1_11comp_targetILNS1_3genE9ELNS1_11target_archE1100ELNS1_3gpuE3ELNS1_3repE0EEENS1_30default_config_static_selectorELNS0_4arch9wavefront6targetE0EEEvS12_.has_recursion, 0
	.set _ZN7rocprim17ROCPRIM_400000_NS6detail17trampoline_kernelINS0_13select_configILj256ELj13ELNS0_17block_load_methodE3ELS4_3ELS4_3ELNS0_20block_scan_algorithmE0ELj4294967295EEENS1_25partition_config_selectorILNS1_17partition_subalgoE4EjNS0_10empty_typeEbEEZZNS1_14partition_implILS8_4ELb0ES6_15HIP_vector_typeIjLj2EENS0_17counting_iteratorIjlEEPS9_SG_NS0_5tupleIJPjSI_NS0_16reverse_iteratorISI_EEEEENSH_IJSG_SG_SG_EEES9_SI_JZNS1_25segmented_radix_sort_implINS0_14default_configELb1EPKbPbPKlPlN2at6native12_GLOBAL__N_18offset_tEEE10hipError_tPvRmT1_PNSt15iterator_traitsIS12_E10value_typeET2_T3_PNS13_IS18_E10value_typeET4_jRbjT5_S1E_jjP12ihipStream_tbEUljE_ZNSN_ISO_Lb1ESQ_SR_ST_SU_SY_EESZ_S10_S11_S12_S16_S17_S18_S1B_S1C_jS1D_jS1E_S1E_jjS1G_bEUljE0_EEESZ_S10_S11_S18_S1C_S1E_T6_T7_T9_mT8_S1G_bDpT10_ENKUlT_T0_E_clISt17integral_constantIbLb1EES1T_IbLb0EEEEDaS1P_S1Q_EUlS1P_E_NS1_11comp_targetILNS1_3genE9ELNS1_11target_archE1100ELNS1_3gpuE3ELNS1_3repE0EEENS1_30default_config_static_selectorELNS0_4arch9wavefront6targetE0EEEvS12_.has_indirect_call, 0
	.section	.AMDGPU.csdata,"",@progbits
; Kernel info:
; codeLenInByte = 0
; TotalNumSgprs: 0
; NumVgprs: 0
; ScratchSize: 0
; MemoryBound: 0
; FloatMode: 240
; IeeeMode: 1
; LDSByteSize: 0 bytes/workgroup (compile time only)
; SGPRBlocks: 0
; VGPRBlocks: 0
; NumSGPRsForWavesPerEU: 1
; NumVGPRsForWavesPerEU: 1
; NamedBarCnt: 0
; Occupancy: 16
; WaveLimiterHint : 0
; COMPUTE_PGM_RSRC2:SCRATCH_EN: 0
; COMPUTE_PGM_RSRC2:USER_SGPR: 2
; COMPUTE_PGM_RSRC2:TRAP_HANDLER: 0
; COMPUTE_PGM_RSRC2:TGID_X_EN: 1
; COMPUTE_PGM_RSRC2:TGID_Y_EN: 0
; COMPUTE_PGM_RSRC2:TGID_Z_EN: 0
; COMPUTE_PGM_RSRC2:TIDIG_COMP_CNT: 0
	.section	.text._ZN7rocprim17ROCPRIM_400000_NS6detail17trampoline_kernelINS0_13select_configILj256ELj13ELNS0_17block_load_methodE3ELS4_3ELS4_3ELNS0_20block_scan_algorithmE0ELj4294967295EEENS1_25partition_config_selectorILNS1_17partition_subalgoE4EjNS0_10empty_typeEbEEZZNS1_14partition_implILS8_4ELb0ES6_15HIP_vector_typeIjLj2EENS0_17counting_iteratorIjlEEPS9_SG_NS0_5tupleIJPjSI_NS0_16reverse_iteratorISI_EEEEENSH_IJSG_SG_SG_EEES9_SI_JZNS1_25segmented_radix_sort_implINS0_14default_configELb1EPKbPbPKlPlN2at6native12_GLOBAL__N_18offset_tEEE10hipError_tPvRmT1_PNSt15iterator_traitsIS12_E10value_typeET2_T3_PNS13_IS18_E10value_typeET4_jRbjT5_S1E_jjP12ihipStream_tbEUljE_ZNSN_ISO_Lb1ESQ_SR_ST_SU_SY_EESZ_S10_S11_S12_S16_S17_S18_S1B_S1C_jS1D_jS1E_S1E_jjS1G_bEUljE0_EEESZ_S10_S11_S18_S1C_S1E_T6_T7_T9_mT8_S1G_bDpT10_ENKUlT_T0_E_clISt17integral_constantIbLb1EES1T_IbLb0EEEEDaS1P_S1Q_EUlS1P_E_NS1_11comp_targetILNS1_3genE8ELNS1_11target_archE1030ELNS1_3gpuE2ELNS1_3repE0EEENS1_30default_config_static_selectorELNS0_4arch9wavefront6targetE0EEEvS12_,"axG",@progbits,_ZN7rocprim17ROCPRIM_400000_NS6detail17trampoline_kernelINS0_13select_configILj256ELj13ELNS0_17block_load_methodE3ELS4_3ELS4_3ELNS0_20block_scan_algorithmE0ELj4294967295EEENS1_25partition_config_selectorILNS1_17partition_subalgoE4EjNS0_10empty_typeEbEEZZNS1_14partition_implILS8_4ELb0ES6_15HIP_vector_typeIjLj2EENS0_17counting_iteratorIjlEEPS9_SG_NS0_5tupleIJPjSI_NS0_16reverse_iteratorISI_EEEEENSH_IJSG_SG_SG_EEES9_SI_JZNS1_25segmented_radix_sort_implINS0_14default_configELb1EPKbPbPKlPlN2at6native12_GLOBAL__N_18offset_tEEE10hipError_tPvRmT1_PNSt15iterator_traitsIS12_E10value_typeET2_T3_PNS13_IS18_E10value_typeET4_jRbjT5_S1E_jjP12ihipStream_tbEUljE_ZNSN_ISO_Lb1ESQ_SR_ST_SU_SY_EESZ_S10_S11_S12_S16_S17_S18_S1B_S1C_jS1D_jS1E_S1E_jjS1G_bEUljE0_EEESZ_S10_S11_S18_S1C_S1E_T6_T7_T9_mT8_S1G_bDpT10_ENKUlT_T0_E_clISt17integral_constantIbLb1EES1T_IbLb0EEEEDaS1P_S1Q_EUlS1P_E_NS1_11comp_targetILNS1_3genE8ELNS1_11target_archE1030ELNS1_3gpuE2ELNS1_3repE0EEENS1_30default_config_static_selectorELNS0_4arch9wavefront6targetE0EEEvS12_,comdat
	.globl	_ZN7rocprim17ROCPRIM_400000_NS6detail17trampoline_kernelINS0_13select_configILj256ELj13ELNS0_17block_load_methodE3ELS4_3ELS4_3ELNS0_20block_scan_algorithmE0ELj4294967295EEENS1_25partition_config_selectorILNS1_17partition_subalgoE4EjNS0_10empty_typeEbEEZZNS1_14partition_implILS8_4ELb0ES6_15HIP_vector_typeIjLj2EENS0_17counting_iteratorIjlEEPS9_SG_NS0_5tupleIJPjSI_NS0_16reverse_iteratorISI_EEEEENSH_IJSG_SG_SG_EEES9_SI_JZNS1_25segmented_radix_sort_implINS0_14default_configELb1EPKbPbPKlPlN2at6native12_GLOBAL__N_18offset_tEEE10hipError_tPvRmT1_PNSt15iterator_traitsIS12_E10value_typeET2_T3_PNS13_IS18_E10value_typeET4_jRbjT5_S1E_jjP12ihipStream_tbEUljE_ZNSN_ISO_Lb1ESQ_SR_ST_SU_SY_EESZ_S10_S11_S12_S16_S17_S18_S1B_S1C_jS1D_jS1E_S1E_jjS1G_bEUljE0_EEESZ_S10_S11_S18_S1C_S1E_T6_T7_T9_mT8_S1G_bDpT10_ENKUlT_T0_E_clISt17integral_constantIbLb1EES1T_IbLb0EEEEDaS1P_S1Q_EUlS1P_E_NS1_11comp_targetILNS1_3genE8ELNS1_11target_archE1030ELNS1_3gpuE2ELNS1_3repE0EEENS1_30default_config_static_selectorELNS0_4arch9wavefront6targetE0EEEvS12_ ; -- Begin function _ZN7rocprim17ROCPRIM_400000_NS6detail17trampoline_kernelINS0_13select_configILj256ELj13ELNS0_17block_load_methodE3ELS4_3ELS4_3ELNS0_20block_scan_algorithmE0ELj4294967295EEENS1_25partition_config_selectorILNS1_17partition_subalgoE4EjNS0_10empty_typeEbEEZZNS1_14partition_implILS8_4ELb0ES6_15HIP_vector_typeIjLj2EENS0_17counting_iteratorIjlEEPS9_SG_NS0_5tupleIJPjSI_NS0_16reverse_iteratorISI_EEEEENSH_IJSG_SG_SG_EEES9_SI_JZNS1_25segmented_radix_sort_implINS0_14default_configELb1EPKbPbPKlPlN2at6native12_GLOBAL__N_18offset_tEEE10hipError_tPvRmT1_PNSt15iterator_traitsIS12_E10value_typeET2_T3_PNS13_IS18_E10value_typeET4_jRbjT5_S1E_jjP12ihipStream_tbEUljE_ZNSN_ISO_Lb1ESQ_SR_ST_SU_SY_EESZ_S10_S11_S12_S16_S17_S18_S1B_S1C_jS1D_jS1E_S1E_jjS1G_bEUljE0_EEESZ_S10_S11_S18_S1C_S1E_T6_T7_T9_mT8_S1G_bDpT10_ENKUlT_T0_E_clISt17integral_constantIbLb1EES1T_IbLb0EEEEDaS1P_S1Q_EUlS1P_E_NS1_11comp_targetILNS1_3genE8ELNS1_11target_archE1030ELNS1_3gpuE2ELNS1_3repE0EEENS1_30default_config_static_selectorELNS0_4arch9wavefront6targetE0EEEvS12_
	.p2align	8
	.type	_ZN7rocprim17ROCPRIM_400000_NS6detail17trampoline_kernelINS0_13select_configILj256ELj13ELNS0_17block_load_methodE3ELS4_3ELS4_3ELNS0_20block_scan_algorithmE0ELj4294967295EEENS1_25partition_config_selectorILNS1_17partition_subalgoE4EjNS0_10empty_typeEbEEZZNS1_14partition_implILS8_4ELb0ES6_15HIP_vector_typeIjLj2EENS0_17counting_iteratorIjlEEPS9_SG_NS0_5tupleIJPjSI_NS0_16reverse_iteratorISI_EEEEENSH_IJSG_SG_SG_EEES9_SI_JZNS1_25segmented_radix_sort_implINS0_14default_configELb1EPKbPbPKlPlN2at6native12_GLOBAL__N_18offset_tEEE10hipError_tPvRmT1_PNSt15iterator_traitsIS12_E10value_typeET2_T3_PNS13_IS18_E10value_typeET4_jRbjT5_S1E_jjP12ihipStream_tbEUljE_ZNSN_ISO_Lb1ESQ_SR_ST_SU_SY_EESZ_S10_S11_S12_S16_S17_S18_S1B_S1C_jS1D_jS1E_S1E_jjS1G_bEUljE0_EEESZ_S10_S11_S18_S1C_S1E_T6_T7_T9_mT8_S1G_bDpT10_ENKUlT_T0_E_clISt17integral_constantIbLb1EES1T_IbLb0EEEEDaS1P_S1Q_EUlS1P_E_NS1_11comp_targetILNS1_3genE8ELNS1_11target_archE1030ELNS1_3gpuE2ELNS1_3repE0EEENS1_30default_config_static_selectorELNS0_4arch9wavefront6targetE0EEEvS12_,@function
_ZN7rocprim17ROCPRIM_400000_NS6detail17trampoline_kernelINS0_13select_configILj256ELj13ELNS0_17block_load_methodE3ELS4_3ELS4_3ELNS0_20block_scan_algorithmE0ELj4294967295EEENS1_25partition_config_selectorILNS1_17partition_subalgoE4EjNS0_10empty_typeEbEEZZNS1_14partition_implILS8_4ELb0ES6_15HIP_vector_typeIjLj2EENS0_17counting_iteratorIjlEEPS9_SG_NS0_5tupleIJPjSI_NS0_16reverse_iteratorISI_EEEEENSH_IJSG_SG_SG_EEES9_SI_JZNS1_25segmented_radix_sort_implINS0_14default_configELb1EPKbPbPKlPlN2at6native12_GLOBAL__N_18offset_tEEE10hipError_tPvRmT1_PNSt15iterator_traitsIS12_E10value_typeET2_T3_PNS13_IS18_E10value_typeET4_jRbjT5_S1E_jjP12ihipStream_tbEUljE_ZNSN_ISO_Lb1ESQ_SR_ST_SU_SY_EESZ_S10_S11_S12_S16_S17_S18_S1B_S1C_jS1D_jS1E_S1E_jjS1G_bEUljE0_EEESZ_S10_S11_S18_S1C_S1E_T6_T7_T9_mT8_S1G_bDpT10_ENKUlT_T0_E_clISt17integral_constantIbLb1EES1T_IbLb0EEEEDaS1P_S1Q_EUlS1P_E_NS1_11comp_targetILNS1_3genE8ELNS1_11target_archE1030ELNS1_3gpuE2ELNS1_3repE0EEENS1_30default_config_static_selectorELNS0_4arch9wavefront6targetE0EEEvS12_: ; @_ZN7rocprim17ROCPRIM_400000_NS6detail17trampoline_kernelINS0_13select_configILj256ELj13ELNS0_17block_load_methodE3ELS4_3ELS4_3ELNS0_20block_scan_algorithmE0ELj4294967295EEENS1_25partition_config_selectorILNS1_17partition_subalgoE4EjNS0_10empty_typeEbEEZZNS1_14partition_implILS8_4ELb0ES6_15HIP_vector_typeIjLj2EENS0_17counting_iteratorIjlEEPS9_SG_NS0_5tupleIJPjSI_NS0_16reverse_iteratorISI_EEEEENSH_IJSG_SG_SG_EEES9_SI_JZNS1_25segmented_radix_sort_implINS0_14default_configELb1EPKbPbPKlPlN2at6native12_GLOBAL__N_18offset_tEEE10hipError_tPvRmT1_PNSt15iterator_traitsIS12_E10value_typeET2_T3_PNS13_IS18_E10value_typeET4_jRbjT5_S1E_jjP12ihipStream_tbEUljE_ZNSN_ISO_Lb1ESQ_SR_ST_SU_SY_EESZ_S10_S11_S12_S16_S17_S18_S1B_S1C_jS1D_jS1E_S1E_jjS1G_bEUljE0_EEESZ_S10_S11_S18_S1C_S1E_T6_T7_T9_mT8_S1G_bDpT10_ENKUlT_T0_E_clISt17integral_constantIbLb1EES1T_IbLb0EEEEDaS1P_S1Q_EUlS1P_E_NS1_11comp_targetILNS1_3genE8ELNS1_11target_archE1030ELNS1_3gpuE2ELNS1_3repE0EEENS1_30default_config_static_selectorELNS0_4arch9wavefront6targetE0EEEvS12_
; %bb.0:
	.section	.rodata,"a",@progbits
	.p2align	6, 0x0
	.amdhsa_kernel _ZN7rocprim17ROCPRIM_400000_NS6detail17trampoline_kernelINS0_13select_configILj256ELj13ELNS0_17block_load_methodE3ELS4_3ELS4_3ELNS0_20block_scan_algorithmE0ELj4294967295EEENS1_25partition_config_selectorILNS1_17partition_subalgoE4EjNS0_10empty_typeEbEEZZNS1_14partition_implILS8_4ELb0ES6_15HIP_vector_typeIjLj2EENS0_17counting_iteratorIjlEEPS9_SG_NS0_5tupleIJPjSI_NS0_16reverse_iteratorISI_EEEEENSH_IJSG_SG_SG_EEES9_SI_JZNS1_25segmented_radix_sort_implINS0_14default_configELb1EPKbPbPKlPlN2at6native12_GLOBAL__N_18offset_tEEE10hipError_tPvRmT1_PNSt15iterator_traitsIS12_E10value_typeET2_T3_PNS13_IS18_E10value_typeET4_jRbjT5_S1E_jjP12ihipStream_tbEUljE_ZNSN_ISO_Lb1ESQ_SR_ST_SU_SY_EESZ_S10_S11_S12_S16_S17_S18_S1B_S1C_jS1D_jS1E_S1E_jjS1G_bEUljE0_EEESZ_S10_S11_S18_S1C_S1E_T6_T7_T9_mT8_S1G_bDpT10_ENKUlT_T0_E_clISt17integral_constantIbLb1EES1T_IbLb0EEEEDaS1P_S1Q_EUlS1P_E_NS1_11comp_targetILNS1_3genE8ELNS1_11target_archE1030ELNS1_3gpuE2ELNS1_3repE0EEENS1_30default_config_static_selectorELNS0_4arch9wavefront6targetE0EEEvS12_
		.amdhsa_group_segment_fixed_size 0
		.amdhsa_private_segment_fixed_size 0
		.amdhsa_kernarg_size 176
		.amdhsa_user_sgpr_count 2
		.amdhsa_user_sgpr_dispatch_ptr 0
		.amdhsa_user_sgpr_queue_ptr 0
		.amdhsa_user_sgpr_kernarg_segment_ptr 1
		.amdhsa_user_sgpr_dispatch_id 0
		.amdhsa_user_sgpr_kernarg_preload_length 0
		.amdhsa_user_sgpr_kernarg_preload_offset 0
		.amdhsa_user_sgpr_private_segment_size 0
		.amdhsa_wavefront_size32 1
		.amdhsa_uses_dynamic_stack 0
		.amdhsa_enable_private_segment 0
		.amdhsa_system_sgpr_workgroup_id_x 1
		.amdhsa_system_sgpr_workgroup_id_y 0
		.amdhsa_system_sgpr_workgroup_id_z 0
		.amdhsa_system_sgpr_workgroup_info 0
		.amdhsa_system_vgpr_workitem_id 0
		.amdhsa_next_free_vgpr 1
		.amdhsa_next_free_sgpr 1
		.amdhsa_named_barrier_count 0
		.amdhsa_reserve_vcc 0
		.amdhsa_float_round_mode_32 0
		.amdhsa_float_round_mode_16_64 0
		.amdhsa_float_denorm_mode_32 3
		.amdhsa_float_denorm_mode_16_64 3
		.amdhsa_fp16_overflow 0
		.amdhsa_memory_ordered 1
		.amdhsa_forward_progress 1
		.amdhsa_inst_pref_size 0
		.amdhsa_round_robin_scheduling 0
		.amdhsa_exception_fp_ieee_invalid_op 0
		.amdhsa_exception_fp_denorm_src 0
		.amdhsa_exception_fp_ieee_div_zero 0
		.amdhsa_exception_fp_ieee_overflow 0
		.amdhsa_exception_fp_ieee_underflow 0
		.amdhsa_exception_fp_ieee_inexact 0
		.amdhsa_exception_int_div_zero 0
	.end_amdhsa_kernel
	.section	.text._ZN7rocprim17ROCPRIM_400000_NS6detail17trampoline_kernelINS0_13select_configILj256ELj13ELNS0_17block_load_methodE3ELS4_3ELS4_3ELNS0_20block_scan_algorithmE0ELj4294967295EEENS1_25partition_config_selectorILNS1_17partition_subalgoE4EjNS0_10empty_typeEbEEZZNS1_14partition_implILS8_4ELb0ES6_15HIP_vector_typeIjLj2EENS0_17counting_iteratorIjlEEPS9_SG_NS0_5tupleIJPjSI_NS0_16reverse_iteratorISI_EEEEENSH_IJSG_SG_SG_EEES9_SI_JZNS1_25segmented_radix_sort_implINS0_14default_configELb1EPKbPbPKlPlN2at6native12_GLOBAL__N_18offset_tEEE10hipError_tPvRmT1_PNSt15iterator_traitsIS12_E10value_typeET2_T3_PNS13_IS18_E10value_typeET4_jRbjT5_S1E_jjP12ihipStream_tbEUljE_ZNSN_ISO_Lb1ESQ_SR_ST_SU_SY_EESZ_S10_S11_S12_S16_S17_S18_S1B_S1C_jS1D_jS1E_S1E_jjS1G_bEUljE0_EEESZ_S10_S11_S18_S1C_S1E_T6_T7_T9_mT8_S1G_bDpT10_ENKUlT_T0_E_clISt17integral_constantIbLb1EES1T_IbLb0EEEEDaS1P_S1Q_EUlS1P_E_NS1_11comp_targetILNS1_3genE8ELNS1_11target_archE1030ELNS1_3gpuE2ELNS1_3repE0EEENS1_30default_config_static_selectorELNS0_4arch9wavefront6targetE0EEEvS12_,"axG",@progbits,_ZN7rocprim17ROCPRIM_400000_NS6detail17trampoline_kernelINS0_13select_configILj256ELj13ELNS0_17block_load_methodE3ELS4_3ELS4_3ELNS0_20block_scan_algorithmE0ELj4294967295EEENS1_25partition_config_selectorILNS1_17partition_subalgoE4EjNS0_10empty_typeEbEEZZNS1_14partition_implILS8_4ELb0ES6_15HIP_vector_typeIjLj2EENS0_17counting_iteratorIjlEEPS9_SG_NS0_5tupleIJPjSI_NS0_16reverse_iteratorISI_EEEEENSH_IJSG_SG_SG_EEES9_SI_JZNS1_25segmented_radix_sort_implINS0_14default_configELb1EPKbPbPKlPlN2at6native12_GLOBAL__N_18offset_tEEE10hipError_tPvRmT1_PNSt15iterator_traitsIS12_E10value_typeET2_T3_PNS13_IS18_E10value_typeET4_jRbjT5_S1E_jjP12ihipStream_tbEUljE_ZNSN_ISO_Lb1ESQ_SR_ST_SU_SY_EESZ_S10_S11_S12_S16_S17_S18_S1B_S1C_jS1D_jS1E_S1E_jjS1G_bEUljE0_EEESZ_S10_S11_S18_S1C_S1E_T6_T7_T9_mT8_S1G_bDpT10_ENKUlT_T0_E_clISt17integral_constantIbLb1EES1T_IbLb0EEEEDaS1P_S1Q_EUlS1P_E_NS1_11comp_targetILNS1_3genE8ELNS1_11target_archE1030ELNS1_3gpuE2ELNS1_3repE0EEENS1_30default_config_static_selectorELNS0_4arch9wavefront6targetE0EEEvS12_,comdat
.Lfunc_end1483:
	.size	_ZN7rocprim17ROCPRIM_400000_NS6detail17trampoline_kernelINS0_13select_configILj256ELj13ELNS0_17block_load_methodE3ELS4_3ELS4_3ELNS0_20block_scan_algorithmE0ELj4294967295EEENS1_25partition_config_selectorILNS1_17partition_subalgoE4EjNS0_10empty_typeEbEEZZNS1_14partition_implILS8_4ELb0ES6_15HIP_vector_typeIjLj2EENS0_17counting_iteratorIjlEEPS9_SG_NS0_5tupleIJPjSI_NS0_16reverse_iteratorISI_EEEEENSH_IJSG_SG_SG_EEES9_SI_JZNS1_25segmented_radix_sort_implINS0_14default_configELb1EPKbPbPKlPlN2at6native12_GLOBAL__N_18offset_tEEE10hipError_tPvRmT1_PNSt15iterator_traitsIS12_E10value_typeET2_T3_PNS13_IS18_E10value_typeET4_jRbjT5_S1E_jjP12ihipStream_tbEUljE_ZNSN_ISO_Lb1ESQ_SR_ST_SU_SY_EESZ_S10_S11_S12_S16_S17_S18_S1B_S1C_jS1D_jS1E_S1E_jjS1G_bEUljE0_EEESZ_S10_S11_S18_S1C_S1E_T6_T7_T9_mT8_S1G_bDpT10_ENKUlT_T0_E_clISt17integral_constantIbLb1EES1T_IbLb0EEEEDaS1P_S1Q_EUlS1P_E_NS1_11comp_targetILNS1_3genE8ELNS1_11target_archE1030ELNS1_3gpuE2ELNS1_3repE0EEENS1_30default_config_static_selectorELNS0_4arch9wavefront6targetE0EEEvS12_, .Lfunc_end1483-_ZN7rocprim17ROCPRIM_400000_NS6detail17trampoline_kernelINS0_13select_configILj256ELj13ELNS0_17block_load_methodE3ELS4_3ELS4_3ELNS0_20block_scan_algorithmE0ELj4294967295EEENS1_25partition_config_selectorILNS1_17partition_subalgoE4EjNS0_10empty_typeEbEEZZNS1_14partition_implILS8_4ELb0ES6_15HIP_vector_typeIjLj2EENS0_17counting_iteratorIjlEEPS9_SG_NS0_5tupleIJPjSI_NS0_16reverse_iteratorISI_EEEEENSH_IJSG_SG_SG_EEES9_SI_JZNS1_25segmented_radix_sort_implINS0_14default_configELb1EPKbPbPKlPlN2at6native12_GLOBAL__N_18offset_tEEE10hipError_tPvRmT1_PNSt15iterator_traitsIS12_E10value_typeET2_T3_PNS13_IS18_E10value_typeET4_jRbjT5_S1E_jjP12ihipStream_tbEUljE_ZNSN_ISO_Lb1ESQ_SR_ST_SU_SY_EESZ_S10_S11_S12_S16_S17_S18_S1B_S1C_jS1D_jS1E_S1E_jjS1G_bEUljE0_EEESZ_S10_S11_S18_S1C_S1E_T6_T7_T9_mT8_S1G_bDpT10_ENKUlT_T0_E_clISt17integral_constantIbLb1EES1T_IbLb0EEEEDaS1P_S1Q_EUlS1P_E_NS1_11comp_targetILNS1_3genE8ELNS1_11target_archE1030ELNS1_3gpuE2ELNS1_3repE0EEENS1_30default_config_static_selectorELNS0_4arch9wavefront6targetE0EEEvS12_
                                        ; -- End function
	.set _ZN7rocprim17ROCPRIM_400000_NS6detail17trampoline_kernelINS0_13select_configILj256ELj13ELNS0_17block_load_methodE3ELS4_3ELS4_3ELNS0_20block_scan_algorithmE0ELj4294967295EEENS1_25partition_config_selectorILNS1_17partition_subalgoE4EjNS0_10empty_typeEbEEZZNS1_14partition_implILS8_4ELb0ES6_15HIP_vector_typeIjLj2EENS0_17counting_iteratorIjlEEPS9_SG_NS0_5tupleIJPjSI_NS0_16reverse_iteratorISI_EEEEENSH_IJSG_SG_SG_EEES9_SI_JZNS1_25segmented_radix_sort_implINS0_14default_configELb1EPKbPbPKlPlN2at6native12_GLOBAL__N_18offset_tEEE10hipError_tPvRmT1_PNSt15iterator_traitsIS12_E10value_typeET2_T3_PNS13_IS18_E10value_typeET4_jRbjT5_S1E_jjP12ihipStream_tbEUljE_ZNSN_ISO_Lb1ESQ_SR_ST_SU_SY_EESZ_S10_S11_S12_S16_S17_S18_S1B_S1C_jS1D_jS1E_S1E_jjS1G_bEUljE0_EEESZ_S10_S11_S18_S1C_S1E_T6_T7_T9_mT8_S1G_bDpT10_ENKUlT_T0_E_clISt17integral_constantIbLb1EES1T_IbLb0EEEEDaS1P_S1Q_EUlS1P_E_NS1_11comp_targetILNS1_3genE8ELNS1_11target_archE1030ELNS1_3gpuE2ELNS1_3repE0EEENS1_30default_config_static_selectorELNS0_4arch9wavefront6targetE0EEEvS12_.num_vgpr, 0
	.set _ZN7rocprim17ROCPRIM_400000_NS6detail17trampoline_kernelINS0_13select_configILj256ELj13ELNS0_17block_load_methodE3ELS4_3ELS4_3ELNS0_20block_scan_algorithmE0ELj4294967295EEENS1_25partition_config_selectorILNS1_17partition_subalgoE4EjNS0_10empty_typeEbEEZZNS1_14partition_implILS8_4ELb0ES6_15HIP_vector_typeIjLj2EENS0_17counting_iteratorIjlEEPS9_SG_NS0_5tupleIJPjSI_NS0_16reverse_iteratorISI_EEEEENSH_IJSG_SG_SG_EEES9_SI_JZNS1_25segmented_radix_sort_implINS0_14default_configELb1EPKbPbPKlPlN2at6native12_GLOBAL__N_18offset_tEEE10hipError_tPvRmT1_PNSt15iterator_traitsIS12_E10value_typeET2_T3_PNS13_IS18_E10value_typeET4_jRbjT5_S1E_jjP12ihipStream_tbEUljE_ZNSN_ISO_Lb1ESQ_SR_ST_SU_SY_EESZ_S10_S11_S12_S16_S17_S18_S1B_S1C_jS1D_jS1E_S1E_jjS1G_bEUljE0_EEESZ_S10_S11_S18_S1C_S1E_T6_T7_T9_mT8_S1G_bDpT10_ENKUlT_T0_E_clISt17integral_constantIbLb1EES1T_IbLb0EEEEDaS1P_S1Q_EUlS1P_E_NS1_11comp_targetILNS1_3genE8ELNS1_11target_archE1030ELNS1_3gpuE2ELNS1_3repE0EEENS1_30default_config_static_selectorELNS0_4arch9wavefront6targetE0EEEvS12_.num_agpr, 0
	.set _ZN7rocprim17ROCPRIM_400000_NS6detail17trampoline_kernelINS0_13select_configILj256ELj13ELNS0_17block_load_methodE3ELS4_3ELS4_3ELNS0_20block_scan_algorithmE0ELj4294967295EEENS1_25partition_config_selectorILNS1_17partition_subalgoE4EjNS0_10empty_typeEbEEZZNS1_14partition_implILS8_4ELb0ES6_15HIP_vector_typeIjLj2EENS0_17counting_iteratorIjlEEPS9_SG_NS0_5tupleIJPjSI_NS0_16reverse_iteratorISI_EEEEENSH_IJSG_SG_SG_EEES9_SI_JZNS1_25segmented_radix_sort_implINS0_14default_configELb1EPKbPbPKlPlN2at6native12_GLOBAL__N_18offset_tEEE10hipError_tPvRmT1_PNSt15iterator_traitsIS12_E10value_typeET2_T3_PNS13_IS18_E10value_typeET4_jRbjT5_S1E_jjP12ihipStream_tbEUljE_ZNSN_ISO_Lb1ESQ_SR_ST_SU_SY_EESZ_S10_S11_S12_S16_S17_S18_S1B_S1C_jS1D_jS1E_S1E_jjS1G_bEUljE0_EEESZ_S10_S11_S18_S1C_S1E_T6_T7_T9_mT8_S1G_bDpT10_ENKUlT_T0_E_clISt17integral_constantIbLb1EES1T_IbLb0EEEEDaS1P_S1Q_EUlS1P_E_NS1_11comp_targetILNS1_3genE8ELNS1_11target_archE1030ELNS1_3gpuE2ELNS1_3repE0EEENS1_30default_config_static_selectorELNS0_4arch9wavefront6targetE0EEEvS12_.numbered_sgpr, 0
	.set _ZN7rocprim17ROCPRIM_400000_NS6detail17trampoline_kernelINS0_13select_configILj256ELj13ELNS0_17block_load_methodE3ELS4_3ELS4_3ELNS0_20block_scan_algorithmE0ELj4294967295EEENS1_25partition_config_selectorILNS1_17partition_subalgoE4EjNS0_10empty_typeEbEEZZNS1_14partition_implILS8_4ELb0ES6_15HIP_vector_typeIjLj2EENS0_17counting_iteratorIjlEEPS9_SG_NS0_5tupleIJPjSI_NS0_16reverse_iteratorISI_EEEEENSH_IJSG_SG_SG_EEES9_SI_JZNS1_25segmented_radix_sort_implINS0_14default_configELb1EPKbPbPKlPlN2at6native12_GLOBAL__N_18offset_tEEE10hipError_tPvRmT1_PNSt15iterator_traitsIS12_E10value_typeET2_T3_PNS13_IS18_E10value_typeET4_jRbjT5_S1E_jjP12ihipStream_tbEUljE_ZNSN_ISO_Lb1ESQ_SR_ST_SU_SY_EESZ_S10_S11_S12_S16_S17_S18_S1B_S1C_jS1D_jS1E_S1E_jjS1G_bEUljE0_EEESZ_S10_S11_S18_S1C_S1E_T6_T7_T9_mT8_S1G_bDpT10_ENKUlT_T0_E_clISt17integral_constantIbLb1EES1T_IbLb0EEEEDaS1P_S1Q_EUlS1P_E_NS1_11comp_targetILNS1_3genE8ELNS1_11target_archE1030ELNS1_3gpuE2ELNS1_3repE0EEENS1_30default_config_static_selectorELNS0_4arch9wavefront6targetE0EEEvS12_.num_named_barrier, 0
	.set _ZN7rocprim17ROCPRIM_400000_NS6detail17trampoline_kernelINS0_13select_configILj256ELj13ELNS0_17block_load_methodE3ELS4_3ELS4_3ELNS0_20block_scan_algorithmE0ELj4294967295EEENS1_25partition_config_selectorILNS1_17partition_subalgoE4EjNS0_10empty_typeEbEEZZNS1_14partition_implILS8_4ELb0ES6_15HIP_vector_typeIjLj2EENS0_17counting_iteratorIjlEEPS9_SG_NS0_5tupleIJPjSI_NS0_16reverse_iteratorISI_EEEEENSH_IJSG_SG_SG_EEES9_SI_JZNS1_25segmented_radix_sort_implINS0_14default_configELb1EPKbPbPKlPlN2at6native12_GLOBAL__N_18offset_tEEE10hipError_tPvRmT1_PNSt15iterator_traitsIS12_E10value_typeET2_T3_PNS13_IS18_E10value_typeET4_jRbjT5_S1E_jjP12ihipStream_tbEUljE_ZNSN_ISO_Lb1ESQ_SR_ST_SU_SY_EESZ_S10_S11_S12_S16_S17_S18_S1B_S1C_jS1D_jS1E_S1E_jjS1G_bEUljE0_EEESZ_S10_S11_S18_S1C_S1E_T6_T7_T9_mT8_S1G_bDpT10_ENKUlT_T0_E_clISt17integral_constantIbLb1EES1T_IbLb0EEEEDaS1P_S1Q_EUlS1P_E_NS1_11comp_targetILNS1_3genE8ELNS1_11target_archE1030ELNS1_3gpuE2ELNS1_3repE0EEENS1_30default_config_static_selectorELNS0_4arch9wavefront6targetE0EEEvS12_.private_seg_size, 0
	.set _ZN7rocprim17ROCPRIM_400000_NS6detail17trampoline_kernelINS0_13select_configILj256ELj13ELNS0_17block_load_methodE3ELS4_3ELS4_3ELNS0_20block_scan_algorithmE0ELj4294967295EEENS1_25partition_config_selectorILNS1_17partition_subalgoE4EjNS0_10empty_typeEbEEZZNS1_14partition_implILS8_4ELb0ES6_15HIP_vector_typeIjLj2EENS0_17counting_iteratorIjlEEPS9_SG_NS0_5tupleIJPjSI_NS0_16reverse_iteratorISI_EEEEENSH_IJSG_SG_SG_EEES9_SI_JZNS1_25segmented_radix_sort_implINS0_14default_configELb1EPKbPbPKlPlN2at6native12_GLOBAL__N_18offset_tEEE10hipError_tPvRmT1_PNSt15iterator_traitsIS12_E10value_typeET2_T3_PNS13_IS18_E10value_typeET4_jRbjT5_S1E_jjP12ihipStream_tbEUljE_ZNSN_ISO_Lb1ESQ_SR_ST_SU_SY_EESZ_S10_S11_S12_S16_S17_S18_S1B_S1C_jS1D_jS1E_S1E_jjS1G_bEUljE0_EEESZ_S10_S11_S18_S1C_S1E_T6_T7_T9_mT8_S1G_bDpT10_ENKUlT_T0_E_clISt17integral_constantIbLb1EES1T_IbLb0EEEEDaS1P_S1Q_EUlS1P_E_NS1_11comp_targetILNS1_3genE8ELNS1_11target_archE1030ELNS1_3gpuE2ELNS1_3repE0EEENS1_30default_config_static_selectorELNS0_4arch9wavefront6targetE0EEEvS12_.uses_vcc, 0
	.set _ZN7rocprim17ROCPRIM_400000_NS6detail17trampoline_kernelINS0_13select_configILj256ELj13ELNS0_17block_load_methodE3ELS4_3ELS4_3ELNS0_20block_scan_algorithmE0ELj4294967295EEENS1_25partition_config_selectorILNS1_17partition_subalgoE4EjNS0_10empty_typeEbEEZZNS1_14partition_implILS8_4ELb0ES6_15HIP_vector_typeIjLj2EENS0_17counting_iteratorIjlEEPS9_SG_NS0_5tupleIJPjSI_NS0_16reverse_iteratorISI_EEEEENSH_IJSG_SG_SG_EEES9_SI_JZNS1_25segmented_radix_sort_implINS0_14default_configELb1EPKbPbPKlPlN2at6native12_GLOBAL__N_18offset_tEEE10hipError_tPvRmT1_PNSt15iterator_traitsIS12_E10value_typeET2_T3_PNS13_IS18_E10value_typeET4_jRbjT5_S1E_jjP12ihipStream_tbEUljE_ZNSN_ISO_Lb1ESQ_SR_ST_SU_SY_EESZ_S10_S11_S12_S16_S17_S18_S1B_S1C_jS1D_jS1E_S1E_jjS1G_bEUljE0_EEESZ_S10_S11_S18_S1C_S1E_T6_T7_T9_mT8_S1G_bDpT10_ENKUlT_T0_E_clISt17integral_constantIbLb1EES1T_IbLb0EEEEDaS1P_S1Q_EUlS1P_E_NS1_11comp_targetILNS1_3genE8ELNS1_11target_archE1030ELNS1_3gpuE2ELNS1_3repE0EEENS1_30default_config_static_selectorELNS0_4arch9wavefront6targetE0EEEvS12_.uses_flat_scratch, 0
	.set _ZN7rocprim17ROCPRIM_400000_NS6detail17trampoline_kernelINS0_13select_configILj256ELj13ELNS0_17block_load_methodE3ELS4_3ELS4_3ELNS0_20block_scan_algorithmE0ELj4294967295EEENS1_25partition_config_selectorILNS1_17partition_subalgoE4EjNS0_10empty_typeEbEEZZNS1_14partition_implILS8_4ELb0ES6_15HIP_vector_typeIjLj2EENS0_17counting_iteratorIjlEEPS9_SG_NS0_5tupleIJPjSI_NS0_16reverse_iteratorISI_EEEEENSH_IJSG_SG_SG_EEES9_SI_JZNS1_25segmented_radix_sort_implINS0_14default_configELb1EPKbPbPKlPlN2at6native12_GLOBAL__N_18offset_tEEE10hipError_tPvRmT1_PNSt15iterator_traitsIS12_E10value_typeET2_T3_PNS13_IS18_E10value_typeET4_jRbjT5_S1E_jjP12ihipStream_tbEUljE_ZNSN_ISO_Lb1ESQ_SR_ST_SU_SY_EESZ_S10_S11_S12_S16_S17_S18_S1B_S1C_jS1D_jS1E_S1E_jjS1G_bEUljE0_EEESZ_S10_S11_S18_S1C_S1E_T6_T7_T9_mT8_S1G_bDpT10_ENKUlT_T0_E_clISt17integral_constantIbLb1EES1T_IbLb0EEEEDaS1P_S1Q_EUlS1P_E_NS1_11comp_targetILNS1_3genE8ELNS1_11target_archE1030ELNS1_3gpuE2ELNS1_3repE0EEENS1_30default_config_static_selectorELNS0_4arch9wavefront6targetE0EEEvS12_.has_dyn_sized_stack, 0
	.set _ZN7rocprim17ROCPRIM_400000_NS6detail17trampoline_kernelINS0_13select_configILj256ELj13ELNS0_17block_load_methodE3ELS4_3ELS4_3ELNS0_20block_scan_algorithmE0ELj4294967295EEENS1_25partition_config_selectorILNS1_17partition_subalgoE4EjNS0_10empty_typeEbEEZZNS1_14partition_implILS8_4ELb0ES6_15HIP_vector_typeIjLj2EENS0_17counting_iteratorIjlEEPS9_SG_NS0_5tupleIJPjSI_NS0_16reverse_iteratorISI_EEEEENSH_IJSG_SG_SG_EEES9_SI_JZNS1_25segmented_radix_sort_implINS0_14default_configELb1EPKbPbPKlPlN2at6native12_GLOBAL__N_18offset_tEEE10hipError_tPvRmT1_PNSt15iterator_traitsIS12_E10value_typeET2_T3_PNS13_IS18_E10value_typeET4_jRbjT5_S1E_jjP12ihipStream_tbEUljE_ZNSN_ISO_Lb1ESQ_SR_ST_SU_SY_EESZ_S10_S11_S12_S16_S17_S18_S1B_S1C_jS1D_jS1E_S1E_jjS1G_bEUljE0_EEESZ_S10_S11_S18_S1C_S1E_T6_T7_T9_mT8_S1G_bDpT10_ENKUlT_T0_E_clISt17integral_constantIbLb1EES1T_IbLb0EEEEDaS1P_S1Q_EUlS1P_E_NS1_11comp_targetILNS1_3genE8ELNS1_11target_archE1030ELNS1_3gpuE2ELNS1_3repE0EEENS1_30default_config_static_selectorELNS0_4arch9wavefront6targetE0EEEvS12_.has_recursion, 0
	.set _ZN7rocprim17ROCPRIM_400000_NS6detail17trampoline_kernelINS0_13select_configILj256ELj13ELNS0_17block_load_methodE3ELS4_3ELS4_3ELNS0_20block_scan_algorithmE0ELj4294967295EEENS1_25partition_config_selectorILNS1_17partition_subalgoE4EjNS0_10empty_typeEbEEZZNS1_14partition_implILS8_4ELb0ES6_15HIP_vector_typeIjLj2EENS0_17counting_iteratorIjlEEPS9_SG_NS0_5tupleIJPjSI_NS0_16reverse_iteratorISI_EEEEENSH_IJSG_SG_SG_EEES9_SI_JZNS1_25segmented_radix_sort_implINS0_14default_configELb1EPKbPbPKlPlN2at6native12_GLOBAL__N_18offset_tEEE10hipError_tPvRmT1_PNSt15iterator_traitsIS12_E10value_typeET2_T3_PNS13_IS18_E10value_typeET4_jRbjT5_S1E_jjP12ihipStream_tbEUljE_ZNSN_ISO_Lb1ESQ_SR_ST_SU_SY_EESZ_S10_S11_S12_S16_S17_S18_S1B_S1C_jS1D_jS1E_S1E_jjS1G_bEUljE0_EEESZ_S10_S11_S18_S1C_S1E_T6_T7_T9_mT8_S1G_bDpT10_ENKUlT_T0_E_clISt17integral_constantIbLb1EES1T_IbLb0EEEEDaS1P_S1Q_EUlS1P_E_NS1_11comp_targetILNS1_3genE8ELNS1_11target_archE1030ELNS1_3gpuE2ELNS1_3repE0EEENS1_30default_config_static_selectorELNS0_4arch9wavefront6targetE0EEEvS12_.has_indirect_call, 0
	.section	.AMDGPU.csdata,"",@progbits
; Kernel info:
; codeLenInByte = 0
; TotalNumSgprs: 0
; NumVgprs: 0
; ScratchSize: 0
; MemoryBound: 0
; FloatMode: 240
; IeeeMode: 1
; LDSByteSize: 0 bytes/workgroup (compile time only)
; SGPRBlocks: 0
; VGPRBlocks: 0
; NumSGPRsForWavesPerEU: 1
; NumVGPRsForWavesPerEU: 1
; NamedBarCnt: 0
; Occupancy: 16
; WaveLimiterHint : 0
; COMPUTE_PGM_RSRC2:SCRATCH_EN: 0
; COMPUTE_PGM_RSRC2:USER_SGPR: 2
; COMPUTE_PGM_RSRC2:TRAP_HANDLER: 0
; COMPUTE_PGM_RSRC2:TGID_X_EN: 1
; COMPUTE_PGM_RSRC2:TGID_Y_EN: 0
; COMPUTE_PGM_RSRC2:TGID_Z_EN: 0
; COMPUTE_PGM_RSRC2:TIDIG_COMP_CNT: 0
	.section	.text._ZN7rocprim17ROCPRIM_400000_NS6detail17trampoline_kernelINS0_13select_configILj256ELj13ELNS0_17block_load_methodE3ELS4_3ELS4_3ELNS0_20block_scan_algorithmE0ELj4294967295EEENS1_25partition_config_selectorILNS1_17partition_subalgoE4EjNS0_10empty_typeEbEEZZNS1_14partition_implILS8_4ELb0ES6_15HIP_vector_typeIjLj2EENS0_17counting_iteratorIjlEEPS9_SG_NS0_5tupleIJPjSI_NS0_16reverse_iteratorISI_EEEEENSH_IJSG_SG_SG_EEES9_SI_JZNS1_25segmented_radix_sort_implINS0_14default_configELb1EPKbPbPKlPlN2at6native12_GLOBAL__N_18offset_tEEE10hipError_tPvRmT1_PNSt15iterator_traitsIS12_E10value_typeET2_T3_PNS13_IS18_E10value_typeET4_jRbjT5_S1E_jjP12ihipStream_tbEUljE_ZNSN_ISO_Lb1ESQ_SR_ST_SU_SY_EESZ_S10_S11_S12_S16_S17_S18_S1B_S1C_jS1D_jS1E_S1E_jjS1G_bEUljE0_EEESZ_S10_S11_S18_S1C_S1E_T6_T7_T9_mT8_S1G_bDpT10_ENKUlT_T0_E_clISt17integral_constantIbLb0EES1T_IbLb1EEEEDaS1P_S1Q_EUlS1P_E_NS1_11comp_targetILNS1_3genE0ELNS1_11target_archE4294967295ELNS1_3gpuE0ELNS1_3repE0EEENS1_30default_config_static_selectorELNS0_4arch9wavefront6targetE0EEEvS12_,"axG",@progbits,_ZN7rocprim17ROCPRIM_400000_NS6detail17trampoline_kernelINS0_13select_configILj256ELj13ELNS0_17block_load_methodE3ELS4_3ELS4_3ELNS0_20block_scan_algorithmE0ELj4294967295EEENS1_25partition_config_selectorILNS1_17partition_subalgoE4EjNS0_10empty_typeEbEEZZNS1_14partition_implILS8_4ELb0ES6_15HIP_vector_typeIjLj2EENS0_17counting_iteratorIjlEEPS9_SG_NS0_5tupleIJPjSI_NS0_16reverse_iteratorISI_EEEEENSH_IJSG_SG_SG_EEES9_SI_JZNS1_25segmented_radix_sort_implINS0_14default_configELb1EPKbPbPKlPlN2at6native12_GLOBAL__N_18offset_tEEE10hipError_tPvRmT1_PNSt15iterator_traitsIS12_E10value_typeET2_T3_PNS13_IS18_E10value_typeET4_jRbjT5_S1E_jjP12ihipStream_tbEUljE_ZNSN_ISO_Lb1ESQ_SR_ST_SU_SY_EESZ_S10_S11_S12_S16_S17_S18_S1B_S1C_jS1D_jS1E_S1E_jjS1G_bEUljE0_EEESZ_S10_S11_S18_S1C_S1E_T6_T7_T9_mT8_S1G_bDpT10_ENKUlT_T0_E_clISt17integral_constantIbLb0EES1T_IbLb1EEEEDaS1P_S1Q_EUlS1P_E_NS1_11comp_targetILNS1_3genE0ELNS1_11target_archE4294967295ELNS1_3gpuE0ELNS1_3repE0EEENS1_30default_config_static_selectorELNS0_4arch9wavefront6targetE0EEEvS12_,comdat
	.globl	_ZN7rocprim17ROCPRIM_400000_NS6detail17trampoline_kernelINS0_13select_configILj256ELj13ELNS0_17block_load_methodE3ELS4_3ELS4_3ELNS0_20block_scan_algorithmE0ELj4294967295EEENS1_25partition_config_selectorILNS1_17partition_subalgoE4EjNS0_10empty_typeEbEEZZNS1_14partition_implILS8_4ELb0ES6_15HIP_vector_typeIjLj2EENS0_17counting_iteratorIjlEEPS9_SG_NS0_5tupleIJPjSI_NS0_16reverse_iteratorISI_EEEEENSH_IJSG_SG_SG_EEES9_SI_JZNS1_25segmented_radix_sort_implINS0_14default_configELb1EPKbPbPKlPlN2at6native12_GLOBAL__N_18offset_tEEE10hipError_tPvRmT1_PNSt15iterator_traitsIS12_E10value_typeET2_T3_PNS13_IS18_E10value_typeET4_jRbjT5_S1E_jjP12ihipStream_tbEUljE_ZNSN_ISO_Lb1ESQ_SR_ST_SU_SY_EESZ_S10_S11_S12_S16_S17_S18_S1B_S1C_jS1D_jS1E_S1E_jjS1G_bEUljE0_EEESZ_S10_S11_S18_S1C_S1E_T6_T7_T9_mT8_S1G_bDpT10_ENKUlT_T0_E_clISt17integral_constantIbLb0EES1T_IbLb1EEEEDaS1P_S1Q_EUlS1P_E_NS1_11comp_targetILNS1_3genE0ELNS1_11target_archE4294967295ELNS1_3gpuE0ELNS1_3repE0EEENS1_30default_config_static_selectorELNS0_4arch9wavefront6targetE0EEEvS12_ ; -- Begin function _ZN7rocprim17ROCPRIM_400000_NS6detail17trampoline_kernelINS0_13select_configILj256ELj13ELNS0_17block_load_methodE3ELS4_3ELS4_3ELNS0_20block_scan_algorithmE0ELj4294967295EEENS1_25partition_config_selectorILNS1_17partition_subalgoE4EjNS0_10empty_typeEbEEZZNS1_14partition_implILS8_4ELb0ES6_15HIP_vector_typeIjLj2EENS0_17counting_iteratorIjlEEPS9_SG_NS0_5tupleIJPjSI_NS0_16reverse_iteratorISI_EEEEENSH_IJSG_SG_SG_EEES9_SI_JZNS1_25segmented_radix_sort_implINS0_14default_configELb1EPKbPbPKlPlN2at6native12_GLOBAL__N_18offset_tEEE10hipError_tPvRmT1_PNSt15iterator_traitsIS12_E10value_typeET2_T3_PNS13_IS18_E10value_typeET4_jRbjT5_S1E_jjP12ihipStream_tbEUljE_ZNSN_ISO_Lb1ESQ_SR_ST_SU_SY_EESZ_S10_S11_S12_S16_S17_S18_S1B_S1C_jS1D_jS1E_S1E_jjS1G_bEUljE0_EEESZ_S10_S11_S18_S1C_S1E_T6_T7_T9_mT8_S1G_bDpT10_ENKUlT_T0_E_clISt17integral_constantIbLb0EES1T_IbLb1EEEEDaS1P_S1Q_EUlS1P_E_NS1_11comp_targetILNS1_3genE0ELNS1_11target_archE4294967295ELNS1_3gpuE0ELNS1_3repE0EEENS1_30default_config_static_selectorELNS0_4arch9wavefront6targetE0EEEvS12_
	.p2align	8
	.type	_ZN7rocprim17ROCPRIM_400000_NS6detail17trampoline_kernelINS0_13select_configILj256ELj13ELNS0_17block_load_methodE3ELS4_3ELS4_3ELNS0_20block_scan_algorithmE0ELj4294967295EEENS1_25partition_config_selectorILNS1_17partition_subalgoE4EjNS0_10empty_typeEbEEZZNS1_14partition_implILS8_4ELb0ES6_15HIP_vector_typeIjLj2EENS0_17counting_iteratorIjlEEPS9_SG_NS0_5tupleIJPjSI_NS0_16reverse_iteratorISI_EEEEENSH_IJSG_SG_SG_EEES9_SI_JZNS1_25segmented_radix_sort_implINS0_14default_configELb1EPKbPbPKlPlN2at6native12_GLOBAL__N_18offset_tEEE10hipError_tPvRmT1_PNSt15iterator_traitsIS12_E10value_typeET2_T3_PNS13_IS18_E10value_typeET4_jRbjT5_S1E_jjP12ihipStream_tbEUljE_ZNSN_ISO_Lb1ESQ_SR_ST_SU_SY_EESZ_S10_S11_S12_S16_S17_S18_S1B_S1C_jS1D_jS1E_S1E_jjS1G_bEUljE0_EEESZ_S10_S11_S18_S1C_S1E_T6_T7_T9_mT8_S1G_bDpT10_ENKUlT_T0_E_clISt17integral_constantIbLb0EES1T_IbLb1EEEEDaS1P_S1Q_EUlS1P_E_NS1_11comp_targetILNS1_3genE0ELNS1_11target_archE4294967295ELNS1_3gpuE0ELNS1_3repE0EEENS1_30default_config_static_selectorELNS0_4arch9wavefront6targetE0EEEvS12_,@function
_ZN7rocprim17ROCPRIM_400000_NS6detail17trampoline_kernelINS0_13select_configILj256ELj13ELNS0_17block_load_methodE3ELS4_3ELS4_3ELNS0_20block_scan_algorithmE0ELj4294967295EEENS1_25partition_config_selectorILNS1_17partition_subalgoE4EjNS0_10empty_typeEbEEZZNS1_14partition_implILS8_4ELb0ES6_15HIP_vector_typeIjLj2EENS0_17counting_iteratorIjlEEPS9_SG_NS0_5tupleIJPjSI_NS0_16reverse_iteratorISI_EEEEENSH_IJSG_SG_SG_EEES9_SI_JZNS1_25segmented_radix_sort_implINS0_14default_configELb1EPKbPbPKlPlN2at6native12_GLOBAL__N_18offset_tEEE10hipError_tPvRmT1_PNSt15iterator_traitsIS12_E10value_typeET2_T3_PNS13_IS18_E10value_typeET4_jRbjT5_S1E_jjP12ihipStream_tbEUljE_ZNSN_ISO_Lb1ESQ_SR_ST_SU_SY_EESZ_S10_S11_S12_S16_S17_S18_S1B_S1C_jS1D_jS1E_S1E_jjS1G_bEUljE0_EEESZ_S10_S11_S18_S1C_S1E_T6_T7_T9_mT8_S1G_bDpT10_ENKUlT_T0_E_clISt17integral_constantIbLb0EES1T_IbLb1EEEEDaS1P_S1Q_EUlS1P_E_NS1_11comp_targetILNS1_3genE0ELNS1_11target_archE4294967295ELNS1_3gpuE0ELNS1_3repE0EEENS1_30default_config_static_selectorELNS0_4arch9wavefront6targetE0EEEvS12_: ; @_ZN7rocprim17ROCPRIM_400000_NS6detail17trampoline_kernelINS0_13select_configILj256ELj13ELNS0_17block_load_methodE3ELS4_3ELS4_3ELNS0_20block_scan_algorithmE0ELj4294967295EEENS1_25partition_config_selectorILNS1_17partition_subalgoE4EjNS0_10empty_typeEbEEZZNS1_14partition_implILS8_4ELb0ES6_15HIP_vector_typeIjLj2EENS0_17counting_iteratorIjlEEPS9_SG_NS0_5tupleIJPjSI_NS0_16reverse_iteratorISI_EEEEENSH_IJSG_SG_SG_EEES9_SI_JZNS1_25segmented_radix_sort_implINS0_14default_configELb1EPKbPbPKlPlN2at6native12_GLOBAL__N_18offset_tEEE10hipError_tPvRmT1_PNSt15iterator_traitsIS12_E10value_typeET2_T3_PNS13_IS18_E10value_typeET4_jRbjT5_S1E_jjP12ihipStream_tbEUljE_ZNSN_ISO_Lb1ESQ_SR_ST_SU_SY_EESZ_S10_S11_S12_S16_S17_S18_S1B_S1C_jS1D_jS1E_S1E_jjS1G_bEUljE0_EEESZ_S10_S11_S18_S1C_S1E_T6_T7_T9_mT8_S1G_bDpT10_ENKUlT_T0_E_clISt17integral_constantIbLb0EES1T_IbLb1EEEEDaS1P_S1Q_EUlS1P_E_NS1_11comp_targetILNS1_3genE0ELNS1_11target_archE4294967295ELNS1_3gpuE0ELNS1_3repE0EEENS1_30default_config_static_selectorELNS0_4arch9wavefront6targetE0EEEvS12_
; %bb.0:
	s_clause 0x7
	s_load_b64 s[34:35], s[0:1], 0x10
	s_load_b128 s[28:31], s[0:1], 0x28
	s_load_b64 s[14:15], s[0:1], 0x38
	s_load_b128 s[24:27], s[0:1], 0x58
	s_load_b64 s[4:5], s[0:1], 0x68
	s_load_b64 s[36:37], s[0:1], 0x78
	;; [unrolled: 1-line block ×3, first 2 shown]
	s_load_b256 s[16:23], s[0:1], 0x90
	v_cmp_eq_u32_e64 s2, 0, v0
	s_and_saveexec_b32 s3, s2
	s_cbranch_execz .LBB1484_4
; %bb.1:
	s_mov_b32 s7, exec_lo
	s_mov_b32 s6, exec_lo
	v_mbcnt_lo_u32_b32 v1, s7, 0
                                        ; implicit-def: $vgpr2
	s_delay_alu instid0(VALU_DEP_1)
	v_cmpx_eq_u32_e32 0, v1
	s_cbranch_execz .LBB1484_3
; %bb.2:
	s_load_b64 s[8:9], s[0:1], 0x88
	s_bcnt1_i32_b32 s7, s7
	s_delay_alu instid0(SALU_CYCLE_1)
	v_dual_mov_b32 v2, 0 :: v_dual_mov_b32 v3, s7
	s_wait_xcnt 0x0
	s_wait_kmcnt 0x0
	global_atomic_add_u32 v2, v2, v3, s[8:9] th:TH_ATOMIC_RETURN scope:SCOPE_DEV
.LBB1484_3:
	s_wait_xcnt 0x0
	s_or_b32 exec_lo, exec_lo, s6
	s_wait_loadcnt 0x0
	v_readfirstlane_b32 s6, v2
	s_delay_alu instid0(VALU_DEP_1)
	v_dual_mov_b32 v2, 0 :: v_dual_add_nc_u32 v1, s6, v1
	ds_store_b32 v2, v1
.LBB1484_4:
	s_or_b32 exec_lo, exec_lo, s3
	v_mov_b32_e32 v1, 0
	s_clause 0x1
	s_load_b32 s3, s[0:1], 0x8
	s_load_b32 s6, s[0:1], 0x80
	s_wait_dscnt 0x0
	s_barrier_signal -1
	s_barrier_wait -1
	ds_load_b32 v6, v1
	s_wait_dscnt 0x0
	s_barrier_signal -1
	s_barrier_wait -1
	s_wait_kmcnt 0x0
	global_load_b128 v[2:5], v1, s[26:27]
	s_mov_b32 s1, 0
	s_add_co_i32 s3, s3, s34
	s_mul_i32 s0, s6, 0xd00
	s_add_co_i32 s6, s6, -1
	s_add_nc_u64 s[8:9], s[34:35], s[0:1]
	s_delay_alu instid0(SALU_CYCLE_1)
	v_cmp_gt_u64_e64 s1, s[4:5], s[8:9]
	v_mul_lo_u32 v14, 0xd00, v6
	s_wait_xcnt 0x0
	v_readfirstlane_b32 s27, v6
	v_cmp_ne_u32_e32 vcc_lo, s6, v6
	s_cmp_eq_u32 s27, s6
	s_cselect_b32 s26, -1, 0
	s_or_b32 s1, s1, vcc_lo
	v_add3_u32 v1, v14, s3, v0
	s_and_b32 vcc_lo, exec_lo, s1
	s_mov_b32 s3, -1
	s_delay_alu instid0(VALU_DEP_1)
	v_add_nc_u32_e32 v6, 0x100, v1
	v_add_nc_u32_e32 v7, 0x200, v1
	;; [unrolled: 1-line block ×12, first 2 shown]
	s_cbranch_vccz .LBB1484_6
; %bb.5:
	v_lshlrev_b32_e32 v19, 2, v0
	s_mov_b32 s3, 0
	ds_store_2addr_stride64_b32 v19, v1, v6 offset1:4
	ds_store_2addr_stride64_b32 v19, v7, v8 offset0:8 offset1:12
	ds_store_2addr_stride64_b32 v19, v9, v10 offset0:16 offset1:20
	;; [unrolled: 1-line block ×5, first 2 shown]
	ds_store_b32 v19, v18 offset:12288
	s_wait_loadcnt_dscnt 0x0
	s_barrier_signal -1
	s_barrier_wait -1
.LBB1484_6:
	s_and_not1_b32 vcc_lo, exec_lo, s3
	s_add_co_i32 s0, s0, s34
	s_cbranch_vccnz .LBB1484_8
; %bb.7:
	v_lshlrev_b32_e32 v19, 2, v0
	ds_store_2addr_stride64_b32 v19, v1, v6 offset1:4
	ds_store_2addr_stride64_b32 v19, v7, v8 offset0:8 offset1:12
	ds_store_2addr_stride64_b32 v19, v9, v10 offset0:16 offset1:20
	;; [unrolled: 1-line block ×5, first 2 shown]
	ds_store_b32 v19, v18 offset:12288
	s_wait_loadcnt_dscnt 0x0
	s_barrier_signal -1
	s_barrier_wait -1
.LBB1484_8:
	v_mul_u32_u24_e32 v15, 13, v0
	s_wait_loadcnt 0x0
	v_cndmask_b32_e64 v35, 0, 1, s1
	s_sub_co_i32 s33, s4, s0
	s_and_not1_b32 vcc_lo, exec_lo, s1
	v_lshlrev_b32_e32 v1, 2, v15
	ds_load_b32 v34, v1 offset:48
	ds_load_2addr_b32 v[16:17], v1 offset0:10 offset1:11
	ds_load_2addr_b32 v[18:19], v1 offset0:8 offset1:9
	;; [unrolled: 1-line block ×4, first 2 shown]
	ds_load_2addr_b32 v[26:27], v1 offset1:1
	ds_load_2addr_b32 v[24:25], v1 offset0:2 offset1:3
	s_wait_dscnt 0x0
	s_barrier_signal -1
	s_barrier_wait -1
	s_cbranch_vccnz .LBB1484_36
; %bb.9:
	v_dual_add_nc_u32 v1, s17, v26 :: v_dual_add_nc_u32 v6, s19, v26
	s_mov_b32 s41, 0
	s_mov_b32 s40, 0
	s_mov_b32 s1, exec_lo
	s_delay_alu instid0(VALU_DEP_1) | instskip(SKIP_1) | instid1(VALU_DEP_1)
	v_mul_lo_u32 v1, v1, s16
	v_mul_lo_u32 v6, v6, s18
	v_sub_nc_u32_e32 v1, v1, v6
	s_delay_alu instid0(VALU_DEP_1)
	v_cmp_lt_u32_e32 vcc_lo, s20, v1
	v_cmpx_ge_u32_e64 s20, v1
	s_cbranch_execz .LBB1484_11
; %bb.10:
	v_dual_add_nc_u32 v1, s22, v26 :: v_dual_add_nc_u32 v6, s38, v26
	s_delay_alu instid0(VALU_DEP_1) | instskip(NEXT) | instid1(VALU_DEP_2)
	v_mul_lo_u32 v1, v1, s21
	v_mul_lo_u32 v6, v6, s23
	s_delay_alu instid0(VALU_DEP_1) | instskip(NEXT) | instid1(VALU_DEP_1)
	v_sub_nc_u32_e32 v1, v1, v6
	v_cmp_lt_u32_e64 s0, s39, v1
	s_and_b32 s40, s0, exec_lo
.LBB1484_11:
	s_or_b32 exec_lo, exec_lo, s1
	v_dual_add_nc_u32 v1, s17, v27 :: v_dual_add_nc_u32 v6, s19, v27
	s_mov_b32 s3, exec_lo
	s_delay_alu instid0(VALU_DEP_1) | instskip(NEXT) | instid1(VALU_DEP_2)
	v_mul_lo_u32 v1, v1, s16
	v_mul_lo_u32 v6, v6, s18
	s_delay_alu instid0(VALU_DEP_1) | instskip(NEXT) | instid1(VALU_DEP_1)
	v_sub_nc_u32_e32 v1, v1, v6
	v_cmp_lt_u32_e64 s0, s20, v1
	v_cmpx_ge_u32_e64 s20, v1
	s_cbranch_execz .LBB1484_13
; %bb.12:
	v_dual_add_nc_u32 v1, s22, v27 :: v_dual_add_nc_u32 v6, s38, v27
	s_delay_alu instid0(VALU_DEP_1) | instskip(NEXT) | instid1(VALU_DEP_2)
	v_mul_lo_u32 v1, v1, s21
	v_mul_lo_u32 v6, v6, s23
	s_delay_alu instid0(VALU_DEP_1) | instskip(NEXT) | instid1(VALU_DEP_1)
	v_sub_nc_u32_e32 v1, v1, v6
	v_cmp_lt_u32_e64 s1, s39, v1
	s_and_b32 s41, s1, exec_lo
.LBB1484_13:
	s_or_b32 exec_lo, exec_lo, s3
	v_dual_add_nc_u32 v1, s17, v24 :: v_dual_add_nc_u32 v6, s19, v24
	s_mov_b32 s43, 0
	s_mov_b32 s42, 0
	s_mov_b32 s4, exec_lo
	s_delay_alu instid0(VALU_DEP_1) | instskip(SKIP_1) | instid1(VALU_DEP_1)
	v_mul_lo_u32 v1, v1, s16
	v_mul_lo_u32 v6, v6, s18
	v_sub_nc_u32_e32 v1, v1, v6
	s_delay_alu instid0(VALU_DEP_1)
	v_cmp_lt_u32_e64 s1, s20, v1
	v_cmpx_ge_u32_e64 s20, v1
	s_cbranch_execz .LBB1484_15
; %bb.14:
	v_dual_add_nc_u32 v1, s22, v24 :: v_dual_add_nc_u32 v6, s38, v24
	s_delay_alu instid0(VALU_DEP_1) | instskip(NEXT) | instid1(VALU_DEP_2)
	v_mul_lo_u32 v1, v1, s21
	v_mul_lo_u32 v6, v6, s23
	s_delay_alu instid0(VALU_DEP_1) | instskip(NEXT) | instid1(VALU_DEP_1)
	v_sub_nc_u32_e32 v1, v1, v6
	v_cmp_lt_u32_e64 s3, s39, v1
	s_and_b32 s42, s3, exec_lo
.LBB1484_15:
	s_or_b32 exec_lo, exec_lo, s4
	v_dual_add_nc_u32 v1, s17, v25 :: v_dual_add_nc_u32 v6, s19, v25
	s_mov_b32 s5, exec_lo
	s_delay_alu instid0(VALU_DEP_1) | instskip(NEXT) | instid1(VALU_DEP_2)
	v_mul_lo_u32 v1, v1, s16
	v_mul_lo_u32 v6, v6, s18
	s_delay_alu instid0(VALU_DEP_1) | instskip(NEXT) | instid1(VALU_DEP_1)
	v_sub_nc_u32_e32 v1, v1, v6
	v_cmp_lt_u32_e64 s3, s20, v1
	v_cmpx_ge_u32_e64 s20, v1
	s_cbranch_execz .LBB1484_17
; %bb.16:
	v_dual_add_nc_u32 v1, s22, v25 :: v_dual_add_nc_u32 v6, s38, v25
	s_delay_alu instid0(VALU_DEP_1) | instskip(NEXT) | instid1(VALU_DEP_2)
	v_mul_lo_u32 v1, v1, s21
	v_mul_lo_u32 v6, v6, s23
	s_delay_alu instid0(VALU_DEP_1) | instskip(NEXT) | instid1(VALU_DEP_1)
	v_sub_nc_u32_e32 v1, v1, v6
	v_cmp_lt_u32_e64 s4, s39, v1
	s_and_b32 s43, s4, exec_lo
.LBB1484_17:
	s_or_b32 exec_lo, exec_lo, s5
	v_dual_add_nc_u32 v1, s17, v22 :: v_dual_add_nc_u32 v6, s19, v22
	s_mov_b32 s45, 0
	s_mov_b32 s44, 0
	s_mov_b32 s6, exec_lo
	s_delay_alu instid0(VALU_DEP_1) | instskip(SKIP_1) | instid1(VALU_DEP_1)
	v_mul_lo_u32 v1, v1, s16
	v_mul_lo_u32 v6, v6, s18
	v_sub_nc_u32_e32 v1, v1, v6
	s_delay_alu instid0(VALU_DEP_1)
	v_cmp_lt_u32_e64 s4, s20, v1
	;; [unrolled: 44-line block ×6, first 2 shown]
	v_cmpx_ge_u32_e64 s20, v1
	s_cbranch_execz .LBB1484_35
; %bb.34:
	v_dual_add_nc_u32 v1, s22, v34 :: v_dual_add_nc_u32 v6, s38, v34
	s_delay_alu instid0(VALU_DEP_1) | instskip(NEXT) | instid1(VALU_DEP_2)
	v_mul_lo_u32 v1, v1, s21
	v_mul_lo_u32 v6, v6, s23
	s_delay_alu instid0(VALU_DEP_1) | instskip(NEXT) | instid1(VALU_DEP_1)
	v_sub_nc_u32_e32 v1, v1, v6
	v_cmp_lt_u32_e64 s13, s39, v1
	s_and_b32 s53, s13, exec_lo
.LBB1484_35:
	s_or_b32 exec_lo, exec_lo, s54
	v_cndmask_b32_e64 v6, 0, 1, s0
	v_cndmask_b32_e64 v8, 0, 1, s3
	v_cndmask_b32_e64 v1, 0, 1, vcc_lo
	v_cndmask_b32_e64 v7, 0, 1, s1
	v_cndmask_b32_e64 v10, 0, 1, s5
	v_lshlrev_b16 v6, 8, v6
	v_lshlrev_b16 v8, 8, v8
	v_cndmask_b32_e64 v12, 0, 1, s7
	v_cndmask_b32_e64 v28, 0, 1, s9
	;; [unrolled: 1-line block ×3, first 2 shown]
	v_or_b32_e32 v1, v1, v6
	v_or_b32_e32 v6, v7, v8
	v_cndmask_b32_e64 v8, 0, 1, s42
	v_cndmask_b32_e64 v9, 0, 1, s4
	;; [unrolled: 1-line block ×4, first 2 shown]
	v_lshlrev_b32_e32 v6, 16, v6
	v_and_b32_e32 v1, 0xffff, v1
	v_cndmask_b32_e64 v38, 0, 1, s46
	v_cndmask_b32_e64 v41, 0, 1, s44
	;; [unrolled: 1-line block ×4, first 2 shown]
	v_or_b32_e32 v36, v1, v6
	v_lshlrev_b16 v1, 8, v10
	v_lshlrev_b16 v6, 8, v12
	;; [unrolled: 1-line block ×5, first 2 shown]
	v_cndmask_b32_e64 v11, 0, 1, s6
	v_cndmask_b32_e64 v30, 0, 1, s52
	;; [unrolled: 1-line block ×6, first 2 shown]
	v_lshlrev_b16 v28, 8, v44
	v_or_b32_e32 v8, v42, v8
	v_or_b32_e32 v1, v9, v1
	;; [unrolled: 1-line block ×4, first 2 shown]
	v_lshlrev_b16 v12, 8, v41
	v_lshlrev_b16 v13, 8, v38
	v_cndmask_b32_e64 v32, 0, 1, s50
	v_cndmask_b32_e64 v37, 0, 1, s47
	v_lshlrev_b16 v29, 8, v30
	v_or_b32_e32 v7, v7, v12
	v_or_b32_e32 v12, v40, v13
	;; [unrolled: 1-line block ×4, first 2 shown]
	v_lshlrev_b16 v28, 8, v33
	v_dual_lshlrev_b32 v10, 16, v10 :: v_dual_lshlrev_b32 v8, 16, v8
	v_and_b32_e32 v1, 0xffff, v1
	s_delay_alu instid0(VALU_DEP_4) | instskip(NEXT) | instid1(VALU_DEP_4)
	v_and_b32_e32 v11, 0xffff, v11
	v_or_b32_e32 v13, v37, v28
	v_or_b32_e32 v28, v32, v29
	v_and_b32_e32 v7, 0xffff, v7
	v_dual_lshlrev_b32 v12, 16, v12 :: v_dual_lshlrev_b32 v6, 16, v6
	s_delay_alu instid0(VALU_DEP_4) | instskip(NEXT) | instid1(VALU_DEP_4)
	v_and_b32_e32 v13, 0xffff, v13
	v_lshlrev_b32_e32 v28, 16, v28
	v_and_b32_e32 v9, 0xffff, v9
	v_cndmask_b32_e64 v39, 0, 1, s51
	v_cndmask_b32_e64 v43, 0, 1, s53
	v_or_b32_e32 v38, v1, v6
	v_or_b32_e32 v42, v11, v8
	;; [unrolled: 1-line block ×5, first 2 shown]
	s_and_b32 vcc_lo, exec_lo, s48
	s_add_co_i32 s5, s33, 0xd00
	s_cbranch_vccnz .LBB1484_37
	s_branch .LBB1484_114
.LBB1484_36:
                                        ; implicit-def: $vgpr43
                                        ; implicit-def: $vgpr39
                                        ; implicit-def: $vgpr40
                                        ; implicit-def: $vgpr37
                                        ; implicit-def: $vgpr42
                                        ; implicit-def: $vgpr41
                                        ; implicit-def: $vgpr38
                                        ; implicit-def: $vgpr36
	s_add_co_i32 s5, s33, 0xd00
	s_cbranch_execz .LBB1484_114
.LBB1484_37:
	v_dual_mov_b32 v6, 0 :: v_dual_mov_b32 v1, 0
	s_mov_b32 s1, exec_lo
	v_cmpx_gt_u32_e64 s5, v15
	s_cbranch_execz .LBB1484_41
; %bb.38:
	v_dual_add_nc_u32 v1, s17, v26 :: v_dual_add_nc_u32 v6, s19, v26
	s_mov_b32 s4, 0
	s_mov_b32 s3, exec_lo
	s_delay_alu instid0(VALU_DEP_1) | instskip(NEXT) | instid1(VALU_DEP_2)
	v_mul_lo_u32 v1, v1, s16
	v_mul_lo_u32 v6, v6, s18
	s_delay_alu instid0(VALU_DEP_1) | instskip(NEXT) | instid1(VALU_DEP_1)
	v_sub_nc_u32_e32 v1, v1, v6
	v_cmp_lt_u32_e32 vcc_lo, s20, v1
	v_cmpx_ge_u32_e64 s20, v1
	s_cbranch_execz .LBB1484_40
; %bb.39:
	v_dual_add_nc_u32 v1, s22, v26 :: v_dual_add_nc_u32 v6, s38, v26
	s_delay_alu instid0(VALU_DEP_1) | instskip(NEXT) | instid1(VALU_DEP_2)
	v_mul_lo_u32 v1, v1, s21
	v_mul_lo_u32 v6, v6, s23
	s_delay_alu instid0(VALU_DEP_1) | instskip(NEXT) | instid1(VALU_DEP_1)
	v_sub_nc_u32_e32 v1, v1, v6
	v_cmp_lt_u32_e64 s0, s39, v1
	s_and_b32 s4, s0, exec_lo
.LBB1484_40:
	s_or_b32 exec_lo, exec_lo, s3
	v_cndmask_b32_e64 v6, 0, 1, s4
	v_cndmask_b32_e64 v1, 0, 1, vcc_lo
.LBB1484_41:
	s_or_b32 exec_lo, exec_lo, s1
	s_delay_alu instid0(VALU_DEP_2) | instskip(SKIP_1) | instid1(VALU_DEP_2)
	v_lshlrev_b16 v6, 8, v6
	v_lshlrev_b16 v13, 8, 0
                                        ; implicit-def: $vgpr9
                                        ; implicit-def: $vgpr11
                                        ; implicit-def: $vgpr8
                                        ; implicit-def: $vgpr12
	v_and_b32_e32 v10, 0xffff, v6
	v_add_nc_u32_e32 v7, 1, v15
                                        ; implicit-def: $vgpr6
	s_delay_alu instid0(VALU_DEP_2) | instskip(NEXT) | instid1(VALU_DEP_2)
	v_lshrrev_b32_e32 v28, 8, v10
	v_cmp_le_u32_e32 vcc_lo, s5, v7
                                        ; implicit-def: $vgpr7
	s_and_saveexec_b32 s0, vcc_lo
	s_delay_alu instid0(SALU_CYCLE_1)
	s_xor_b32 s0, exec_lo, s0
	s_cbranch_execz .LBB1484_43
; %bb.42:
	v_lshlrev_b16 v6, 8, v28
	v_bitop3_b16 v7, 0, v13, 0xff bitop3:0xec
	v_and_b32_e32 v12, 0xff, v1
                                        ; implicit-def: $vgpr1
                                        ; implicit-def: $vgpr13
                                        ; implicit-def: $vgpr28
	v_mov_b32_e32 v9, 0
	s_delay_alu instid0(VALU_DEP_4) | instskip(SKIP_3) | instid1(VALU_DEP_4)
	v_bitop3_b16 v10, v10, v6, 0xff bitop3:0xec
	v_mov_b32_e32 v6, 0
	v_and_b32_e32 v8, 0xffff, v7
	v_and_b32_e32 v7, 0xffff, v7
	;; [unrolled: 1-line block ×3, first 2 shown]
                                        ; implicit-def: $vgpr10
.LBB1484_43:
	s_and_not1_saveexec_b32 s1, s0
	s_cbranch_execz .LBB1484_47
; %bb.44:
	v_dual_add_nc_u32 v6, s17, v27 :: v_dual_add_nc_u32 v7, s19, v27
	s_mov_b32 s3, 0
	s_mov_b32 s4, exec_lo
	s_delay_alu instid0(VALU_DEP_1) | instskip(NEXT) | instid1(VALU_DEP_2)
	v_mul_lo_u32 v6, v6, s16
	v_mul_lo_u32 v7, v7, s18
	s_delay_alu instid0(VALU_DEP_1) | instskip(NEXT) | instid1(VALU_DEP_1)
	v_sub_nc_u32_e32 v6, v6, v7
	v_cmp_lt_u32_e32 vcc_lo, s20, v6
	v_cmpx_ge_u32_e64 s20, v6
	s_cbranch_execz .LBB1484_46
; %bb.45:
	v_dual_add_nc_u32 v6, s22, v27 :: v_dual_add_nc_u32 v7, s38, v27
	s_delay_alu instid0(VALU_DEP_1) | instskip(NEXT) | instid1(VALU_DEP_2)
	v_mul_lo_u32 v6, v6, s21
	v_mul_lo_u32 v7, v7, s23
	s_delay_alu instid0(VALU_DEP_1) | instskip(NEXT) | instid1(VALU_DEP_1)
	v_sub_nc_u32_e32 v6, v6, v7
	v_cmp_lt_u32_e64 s0, s39, v6
	s_and_b32 s3, s0, exec_lo
.LBB1484_46:
	s_or_b32 exec_lo, exec_lo, s4
	v_cndmask_b32_e64 v6, 0, 1, vcc_lo
	v_lshlrev_b16 v7, 8, v28
	v_cndmask_b32_e64 v11, 0, 1, s3
	v_mov_b32_e32 v9, 0
	s_delay_alu instid0(VALU_DEP_4) | instskip(NEXT) | instid1(VALU_DEP_4)
	v_lshlrev_b16 v6, 8, v6
	v_bitop3_b16 v7, v10, v7, 0xff bitop3:0xec
	v_bitop3_b16 v10, 0, v13, 0xff bitop3:0xec
	s_delay_alu instid0(VALU_DEP_3) | instskip(NEXT) | instid1(VALU_DEP_3)
	v_bitop3_b16 v1, v1, v6, 0xff bitop3:0xec
	v_and_b32_e32 v7, 0xffff, v7
	v_mov_b32_e32 v6, 0
	s_delay_alu instid0(VALU_DEP_4) | instskip(NEXT) | instid1(VALU_DEP_4)
	v_and_b32_e32 v8, 0xffff, v10
	v_and_b32_e32 v12, 0xffff, v1
	s_delay_alu instid0(VALU_DEP_4)
	v_lshl_or_b32 v11, v11, 16, v7
	v_and_b32_e32 v7, 0xffff, v10
.LBB1484_47:
	s_or_b32 exec_lo, exec_lo, s1
	s_delay_alu instid0(VALU_DEP_3) | instskip(NEXT) | instid1(VALU_DEP_1)
	v_dual_add_nc_u32 v1, 2, v15 :: v_dual_lshrrev_b32 v13, 8, v12
                                        ; implicit-def: $vgpr10
	v_cmp_le_u32_e32 vcc_lo, s5, v1
                                        ; implicit-def: $vgpr1
	s_and_saveexec_b32 s0, vcc_lo
	s_delay_alu instid0(SALU_CYCLE_1)
	s_xor_b32 s0, exec_lo, s0
	s_cbranch_execz .LBB1484_49
; %bb.48:
	v_lshlrev_b16 v1, 8, v13
	v_and_b32_e32 v13, 0xff0000, v11
	v_perm_b32 v8, v8, v8, 0x3060504
	s_delay_alu instid0(VALU_DEP_3) | instskip(NEXT) | instid1(VALU_DEP_1)
	v_bitop3_b16 v1, v12, v1, 0xff bitop3:0xec
	v_and_b32_e32 v1, 0xffff, v1
	s_delay_alu instid0(VALU_DEP_1)
	v_and_or_b32 v10, 0xff000000, v12, v1
	v_perm_b32 v1, v11, v13, 0x3020504
                                        ; implicit-def: $vgpr13
                                        ; implicit-def: $vgpr12
                                        ; implicit-def: $vgpr11
.LBB1484_49:
	s_and_not1_saveexec_b32 s1, s0
	s_cbranch_execz .LBB1484_53
; %bb.50:
	v_dual_add_nc_u32 v1, s17, v24 :: v_dual_add_nc_u32 v10, s19, v24
	s_mov_b32 s3, 0
	s_mov_b32 s4, exec_lo
	s_delay_alu instid0(VALU_DEP_1) | instskip(NEXT) | instid1(VALU_DEP_2)
	v_mul_lo_u32 v1, v1, s16
	v_mul_lo_u32 v10, v10, s18
	s_delay_alu instid0(VALU_DEP_1) | instskip(NEXT) | instid1(VALU_DEP_1)
	v_sub_nc_u32_e32 v1, v1, v10
	v_cmp_lt_u32_e32 vcc_lo, s20, v1
	v_cmpx_ge_u32_e64 s20, v1
	s_cbranch_execz .LBB1484_52
; %bb.51:
	v_dual_add_nc_u32 v1, s22, v24 :: v_dual_add_nc_u32 v10, s38, v24
	s_delay_alu instid0(VALU_DEP_1) | instskip(NEXT) | instid1(VALU_DEP_2)
	v_mul_lo_u32 v1, v1, s21
	v_mul_lo_u32 v10, v10, s23
	s_delay_alu instid0(VALU_DEP_1) | instskip(NEXT) | instid1(VALU_DEP_1)
	v_sub_nc_u32_e32 v1, v1, v10
	v_cmp_lt_u32_e64 s0, s39, v1
	s_and_b32 s3, s0, exec_lo
.LBB1484_52:
	s_or_b32 exec_lo, exec_lo, s4
	v_dual_lshrrev_b32 v1, 24, v12 :: v_dual_lshrrev_b32 v29, 8, v11
	v_cndmask_b32_e64 v10, 0, 1, s3
	v_cndmask_b32_e64 v28, 0, 1, vcc_lo
	v_lshlrev_b16 v13, 8, v13
	s_delay_alu instid0(VALU_DEP_4)
	v_lshlrev_b16 v1, 8, v1
	v_lshrrev_b32_e32 v30, 16, v11
	v_lshlrev_b16 v10, 8, v10
	v_lshlrev_b16 v29, 8, v29
	v_bitop3_b16 v12, v12, v13, 0xff bitop3:0xec
	v_or_b32_e32 v1, v28, v1
	s_delay_alu instid0(VALU_DEP_4) | instskip(NEXT) | instid1(VALU_DEP_4)
	v_bitop3_b16 v10, v30, v10, 0xff bitop3:0xec
	v_bitop3_b16 v11, v11, v29, 0xff bitop3:0xec
	s_delay_alu instid0(VALU_DEP_4) | instskip(NEXT) | instid1(VALU_DEP_3)
	v_and_b32_e32 v12, 0xffff, v12
	v_dual_lshlrev_b32 v1, 16, v1 :: v_dual_lshlrev_b32 v13, 16, v10
	s_delay_alu instid0(VALU_DEP_3) | instskip(NEXT) | instid1(VALU_DEP_2)
	v_and_b32_e32 v11, 0xffff, v11
	v_or_b32_e32 v10, v12, v1
	s_delay_alu instid0(VALU_DEP_2)
	v_or_b32_e32 v1, v11, v13
.LBB1484_53:
	s_or_b32 exec_lo, exec_lo, s1
	v_dual_add_nc_u32 v12, 3, v15 :: v_dual_lshrrev_b32 v13, 24, v9
	v_lshrrev_b32_e32 v11, 16, v9
                                        ; implicit-def: $vgpr36
	s_delay_alu instid0(VALU_DEP_2) | instskip(SKIP_2) | instid1(SALU_CYCLE_1)
	v_cmp_le_u32_e32 vcc_lo, s5, v12
	v_lshrrev_b32_e32 v12, 8, v9
                                        ; implicit-def: $vgpr9
	s_and_saveexec_b32 s0, vcc_lo
	s_xor_b32 s0, exec_lo, s0
	s_cbranch_execz .LBB1484_55
; %bb.54:
	v_lshlrev_b16 v9, 8, v13
	v_lshlrev_b16 v12, 8, v12
	v_perm_b32 v8, v8, v8, 0x3060504
	v_perm_b32 v7, v7, v7, 0x3060504
                                        ; implicit-def: $vgpr13
	s_delay_alu instid0(VALU_DEP_4) | instskip(SKIP_2) | instid1(VALU_DEP_3)
	v_bitop3_b16 v9, v11, v9, 0xff bitop3:0xec
	v_and_b32_e32 v11, 0xff0000, v10
	v_and_b32_e32 v12, 0xffff, v12
	v_lshlrev_b32_e32 v9, 16, v9
	s_delay_alu instid0(VALU_DEP_3) | instskip(NEXT) | instid1(VALU_DEP_2)
	v_perm_b32 v36, v10, v11, 0x3020504
                                        ; implicit-def: $vgpr10
                                        ; implicit-def: $vgpr11
	v_or_b32_e32 v9, v12, v9
                                        ; implicit-def: $vgpr12
.LBB1484_55:
	s_and_not1_saveexec_b32 s1, s0
	s_cbranch_execz .LBB1484_59
; %bb.56:
	v_dual_add_nc_u32 v9, s17, v25 :: v_dual_add_nc_u32 v28, s19, v25
	s_mov_b32 s3, 0
	s_mov_b32 s4, exec_lo
	s_delay_alu instid0(VALU_DEP_1) | instskip(NEXT) | instid1(VALU_DEP_2)
	v_mul_lo_u32 v9, v9, s16
	v_mul_lo_u32 v28, v28, s18
	s_delay_alu instid0(VALU_DEP_1) | instskip(NEXT) | instid1(VALU_DEP_1)
	v_sub_nc_u32_e32 v9, v9, v28
	v_cmp_lt_u32_e32 vcc_lo, s20, v9
	v_cmpx_ge_u32_e64 s20, v9
	s_cbranch_execz .LBB1484_58
; %bb.57:
	v_dual_add_nc_u32 v9, s22, v25 :: v_dual_add_nc_u32 v28, s38, v25
	s_delay_alu instid0(VALU_DEP_1) | instskip(NEXT) | instid1(VALU_DEP_2)
	v_mul_lo_u32 v9, v9, s21
	v_mul_lo_u32 v28, v28, s23
	s_delay_alu instid0(VALU_DEP_1) | instskip(NEXT) | instid1(VALU_DEP_1)
	v_sub_nc_u32_e32 v9, v9, v28
	v_cmp_lt_u32_e64 s0, s39, v9
	s_and_b32 s3, s0, exec_lo
.LBB1484_58:
	s_or_b32 exec_lo, exec_lo, s4
	v_cndmask_b32_e64 v9, 0, 1, vcc_lo
	v_dual_lshrrev_b32 v28, 8, v10 :: v_dual_lshrrev_b32 v30, 16, v10
	v_cndmask_b32_e64 v29, 0, 1, s3
	v_lshlrev_b16 v13, 8, v13
	s_delay_alu instid0(VALU_DEP_4) | instskip(NEXT) | instid1(VALU_DEP_4)
	v_lshlrev_b16 v9, 8, v9
	v_lshlrev_b16 v28, 8, v28
	;; [unrolled: 1-line block ×3, first 2 shown]
	s_delay_alu instid0(VALU_DEP_4) | instskip(NEXT) | instid1(VALU_DEP_4)
	v_bitop3_b16 v11, v11, v13, 0xff bitop3:0xec
	v_bitop3_b16 v9, v30, v9, 0xff bitop3:0xec
	s_delay_alu instid0(VALU_DEP_4) | instskip(NEXT) | instid1(VALU_DEP_3)
	v_bitop3_b16 v10, v10, v28, 0xff bitop3:0xec
	v_dual_lshlrev_b32 v11, 16, v11 :: v_dual_bitop2_b32 v12, v29, v12 bitop3:0x54
	s_delay_alu instid0(VALU_DEP_3) | instskip(NEXT) | instid1(VALU_DEP_3)
	v_lshlrev_b32_e32 v9, 16, v9
	v_and_b32_e32 v10, 0xffff, v10
	s_delay_alu instid0(VALU_DEP_3) | instskip(NEXT) | instid1(VALU_DEP_2)
	v_and_b32_e32 v12, 0xffff, v12
	v_or_b32_e32 v36, v10, v9
	s_delay_alu instid0(VALU_DEP_2)
	v_or_b32_e32 v9, v12, v11
.LBB1484_59:
	s_or_b32 exec_lo, exec_lo, s1
	v_dual_add_nc_u32 v10, 4, v15 :: v_dual_lshrrev_b32 v28, 8, v8
	v_dual_lshrrev_b32 v11, 16, v8 :: v_dual_lshrrev_b32 v29, 24, v8
	s_delay_alu instid0(VALU_DEP_3) | instskip(NEXT) | instid1(VALU_DEP_3)
	v_dual_lshrrev_b32 v13, 24, v9 :: v_dual_lshrrev_b32 v12, 16, v9
	v_cmp_le_u32_e32 vcc_lo, s5, v10
                                        ; implicit-def: $vgpr8
                                        ; implicit-def: $vgpr10
	s_and_saveexec_b32 s0, vcc_lo
	s_delay_alu instid0(SALU_CYCLE_1)
	s_xor_b32 s0, exec_lo, s0
	s_cbranch_execz .LBB1484_61
; %bb.60:
	v_lshlrev_b16 v8, 8, v29
	v_lshlrev_b16 v10, 8, v28
	v_lshlrev_b16 v13, 8, v13
	v_perm_b32 v7, v7, v7, 0x3060504
                                        ; implicit-def: $vgpr28
                                        ; implicit-def: $vgpr29
	s_delay_alu instid0(VALU_DEP_4) | instskip(NEXT) | instid1(VALU_DEP_4)
	v_bitop3_b16 v8, v11, v8, 0xff bitop3:0xec
	v_and_b32_e32 v10, 0xffff, v10
	s_delay_alu instid0(VALU_DEP_4) | instskip(NEXT) | instid1(VALU_DEP_3)
	v_bitop3_b16 v11, v12, v13, 0xff bitop3:0xec
                                        ; implicit-def: $vgpr13
	v_lshlrev_b32_e32 v12, 16, v8
	s_delay_alu instid0(VALU_DEP_2) | instskip(NEXT) | instid1(VALU_DEP_2)
	v_perm_b32 v8, v11, v9, 0x5040c00
                                        ; implicit-def: $vgpr9
                                        ; implicit-def: $vgpr11
	v_or_b32_e32 v10, v10, v12
                                        ; implicit-def: $vgpr12
.LBB1484_61:
	s_and_not1_saveexec_b32 s1, s0
	s_cbranch_execz .LBB1484_65
; %bb.62:
	v_dual_add_nc_u32 v8, s17, v22 :: v_dual_add_nc_u32 v10, s19, v22
	s_mov_b32 s3, 0
	s_mov_b32 s4, exec_lo
	s_delay_alu instid0(VALU_DEP_1) | instskip(NEXT) | instid1(VALU_DEP_2)
	v_mul_lo_u32 v8, v8, s16
	v_mul_lo_u32 v10, v10, s18
	s_delay_alu instid0(VALU_DEP_1) | instskip(NEXT) | instid1(VALU_DEP_1)
	v_sub_nc_u32_e32 v8, v8, v10
	v_cmp_lt_u32_e32 vcc_lo, s20, v8
	v_cmpx_ge_u32_e64 s20, v8
	s_cbranch_execz .LBB1484_64
; %bb.63:
	v_dual_add_nc_u32 v8, s22, v22 :: v_dual_add_nc_u32 v10, s38, v22
	s_delay_alu instid0(VALU_DEP_1) | instskip(NEXT) | instid1(VALU_DEP_2)
	v_mul_lo_u32 v8, v8, s21
	v_mul_lo_u32 v10, v10, s23
	s_delay_alu instid0(VALU_DEP_1) | instskip(NEXT) | instid1(VALU_DEP_1)
	v_sub_nc_u32_e32 v8, v8, v10
	v_cmp_lt_u32_e64 s0, s39, v8
	s_and_b32 s3, s0, exec_lo
.LBB1484_64:
	s_or_b32 exec_lo, exec_lo, s4
	v_cndmask_b32_e64 v8, 0, 1, s3
	v_cndmask_b32_e64 v10, 0, 1, vcc_lo
	v_lshlrev_b16 v29, 8, v29
	v_lshlrev_b16 v28, 8, v28
	;; [unrolled: 1-line block ×4, first 2 shown]
	s_delay_alu instid0(VALU_DEP_4) | instskip(NEXT) | instid1(VALU_DEP_4)
	v_bitop3_b16 v11, v11, v29, 0xff bitop3:0xec
	v_or_b32_e32 v10, v10, v28
	s_delay_alu instid0(VALU_DEP_4) | instskip(NEXT) | instid1(VALU_DEP_4)
	v_bitop3_b16 v12, v12, v13, 0xff bitop3:0xec
	v_bitop3_b16 v8, v9, v8, 0xff bitop3:0xec
	s_delay_alu instid0(VALU_DEP_4) | instskip(NEXT) | instid1(VALU_DEP_4)
	v_lshlrev_b32_e32 v9, 16, v11
	v_and_b32_e32 v10, 0xffff, v10
	s_delay_alu instid0(VALU_DEP_4) | instskip(NEXT) | instid1(VALU_DEP_4)
	v_lshlrev_b32_e32 v11, 16, v12
	v_and_b32_e32 v8, 0xffff, v8
	s_delay_alu instid0(VALU_DEP_3) | instskip(NEXT) | instid1(VALU_DEP_2)
	v_or_b32_e32 v10, v10, v9
	v_or_b32_e32 v8, v8, v11
.LBB1484_65:
	s_or_b32 exec_lo, exec_lo, s1
	s_delay_alu instid0(VALU_DEP_1) | instskip(NEXT) | instid1(VALU_DEP_2)
	v_dual_add_nc_u32 v9, 5, v15 :: v_dual_lshrrev_b32 v12, 16, v10
	v_dual_lshrrev_b32 v13, 24, v10 :: v_dual_lshrrev_b32 v28, 8, v8
                                        ; implicit-def: $vgpr11
	s_delay_alu instid0(VALU_DEP_2) | instskip(SKIP_1) | instid1(SALU_CYCLE_1)
	v_cmp_le_u32_e32 vcc_lo, s5, v9
                                        ; implicit-def: $vgpr9
	s_and_saveexec_b32 s0, vcc_lo
	s_xor_b32 s0, exec_lo, s0
	s_cbranch_execz .LBB1484_67
; %bb.66:
	v_lshlrev_b16 v9, 8, v28
	v_lshlrev_b16 v11, 8, v13
	v_perm_b32 v7, v7, v7, 0x3060504
                                        ; implicit-def: $vgpr13
                                        ; implicit-def: $vgpr28
	s_delay_alu instid0(VALU_DEP_3) | instskip(NEXT) | instid1(VALU_DEP_3)
	v_bitop3_b16 v9, v8, v9, 0xff bitop3:0xec
	v_bitop3_b16 v11, v12, v11, 0xff bitop3:0xec
                                        ; implicit-def: $vgpr12
	s_delay_alu instid0(VALU_DEP_2) | instskip(NEXT) | instid1(VALU_DEP_2)
	v_and_b32_e32 v9, 0xffff, v9
	v_perm_b32 v11, v11, v10, 0x5040c00
                                        ; implicit-def: $vgpr10
	s_delay_alu instid0(VALU_DEP_2)
	v_and_or_b32 v9, 0xff000000, v8, v9
                                        ; implicit-def: $vgpr8
.LBB1484_67:
	s_and_not1_saveexec_b32 s1, s0
	s_cbranch_execz .LBB1484_71
; %bb.68:
	v_dual_add_nc_u32 v9, s17, v23 :: v_dual_add_nc_u32 v11, s19, v23
	s_mov_b32 s3, 0
	s_mov_b32 s4, exec_lo
	s_delay_alu instid0(VALU_DEP_1) | instskip(NEXT) | instid1(VALU_DEP_2)
	v_mul_lo_u32 v9, v9, s16
	v_mul_lo_u32 v11, v11, s18
	s_delay_alu instid0(VALU_DEP_1) | instskip(NEXT) | instid1(VALU_DEP_1)
	v_sub_nc_u32_e32 v9, v9, v11
	v_cmp_lt_u32_e32 vcc_lo, s20, v9
	v_cmpx_ge_u32_e64 s20, v9
	s_cbranch_execz .LBB1484_70
; %bb.69:
	v_dual_add_nc_u32 v9, s22, v23 :: v_dual_add_nc_u32 v11, s38, v23
	s_delay_alu instid0(VALU_DEP_1) | instskip(NEXT) | instid1(VALU_DEP_2)
	v_mul_lo_u32 v9, v9, s21
	v_mul_lo_u32 v11, v11, s23
	s_delay_alu instid0(VALU_DEP_1) | instskip(NEXT) | instid1(VALU_DEP_1)
	v_sub_nc_u32_e32 v9, v9, v11
	v_cmp_lt_u32_e64 s0, s39, v9
	s_and_b32 s3, s0, exec_lo
.LBB1484_70:
	s_or_b32 exec_lo, exec_lo, s4
	v_cndmask_b32_e64 v9, 0, 1, vcc_lo
	v_lshrrev_b32_e32 v11, 24, v8
	v_cndmask_b32_e64 v29, 0, 1, s3
	v_lshlrev_b16 v13, 8, v13
	v_lshlrev_b16 v28, 8, v28
	;; [unrolled: 1-line block ×4, first 2 shown]
	s_delay_alu instid0(VALU_DEP_4) | instskip(NEXT) | instid1(VALU_DEP_4)
	v_bitop3_b16 v12, v12, v13, 0xff bitop3:0xec
	v_bitop3_b16 v8, v8, v28, 0xff bitop3:0xec
	s_delay_alu instid0(VALU_DEP_4) | instskip(NEXT) | instid1(VALU_DEP_3)
	v_bitop3_b16 v9, v10, v9, 0xff bitop3:0xec
	v_dual_lshlrev_b32 v11, 16, v12 :: v_dual_bitop2_b32 v10, v29, v11 bitop3:0x54
	s_delay_alu instid0(VALU_DEP_3) | instskip(NEXT) | instid1(VALU_DEP_3)
	v_and_b32_e32 v8, 0xffff, v8
	v_and_b32_e32 v9, 0xffff, v9
	s_delay_alu instid0(VALU_DEP_1) | instskip(NEXT) | instid1(VALU_DEP_1)
	v_dual_lshlrev_b32 v10, 16, v10 :: v_dual_bitop2_b32 v11, v9, v11 bitop3:0x54
	v_or_b32_e32 v9, v8, v10
.LBB1484_71:
	s_or_b32 exec_lo, exec_lo, s1
	v_add_nc_u32_e32 v8, 6, v15
	s_delay_alu instid0(VALU_DEP_3) | instskip(NEXT) | instid1(VALU_DEP_2)
	v_lshrrev_b32_e32 v10, 8, v11
                                        ; implicit-def: $vgpr37
	v_cmp_le_u32_e32 vcc_lo, s5, v8
                                        ; implicit-def: $vgpr8
	s_and_saveexec_b32 s0, vcc_lo
	s_delay_alu instid0(SALU_CYCLE_1)
	s_xor_b32 s0, exec_lo, s0
	s_cbranch_execz .LBB1484_73
; %bb.72:
	v_lshlrev_b16 v8, 8, v10
	v_and_b32_e32 v10, 0xff0000, v9
	v_perm_b32 v7, v7, v7, 0x3060504
	s_delay_alu instid0(VALU_DEP_3) | instskip(NEXT) | instid1(VALU_DEP_3)
	v_bitop3_b16 v8, v11, v8, 0xff bitop3:0xec
	v_perm_b32 v37, v9, v10, 0x3020504
                                        ; implicit-def: $vgpr10
                                        ; implicit-def: $vgpr9
	s_delay_alu instid0(VALU_DEP_2) | instskip(NEXT) | instid1(VALU_DEP_1)
	v_and_b32_e32 v8, 0xffff, v8
	v_and_or_b32 v8, 0xff000000, v11, v8
                                        ; implicit-def: $vgpr11
.LBB1484_73:
	s_and_not1_saveexec_b32 s1, s0
	s_cbranch_execz .LBB1484_77
; %bb.74:
	v_dual_add_nc_u32 v8, s17, v20 :: v_dual_add_nc_u32 v12, s19, v20
	s_mov_b32 s3, 0
	s_mov_b32 s4, exec_lo
	s_delay_alu instid0(VALU_DEP_1) | instskip(NEXT) | instid1(VALU_DEP_2)
	v_mul_lo_u32 v8, v8, s16
	v_mul_lo_u32 v12, v12, s18
	s_delay_alu instid0(VALU_DEP_1) | instskip(NEXT) | instid1(VALU_DEP_1)
	v_sub_nc_u32_e32 v8, v8, v12
	v_cmp_lt_u32_e32 vcc_lo, s20, v8
	v_cmpx_ge_u32_e64 s20, v8
	s_cbranch_execz .LBB1484_76
; %bb.75:
	v_dual_add_nc_u32 v8, s22, v20 :: v_dual_add_nc_u32 v12, s38, v20
	s_delay_alu instid0(VALU_DEP_1) | instskip(NEXT) | instid1(VALU_DEP_2)
	v_mul_lo_u32 v8, v8, s21
	v_mul_lo_u32 v12, v12, s23
	s_delay_alu instid0(VALU_DEP_1) | instskip(NEXT) | instid1(VALU_DEP_1)
	v_sub_nc_u32_e32 v8, v8, v12
	v_cmp_lt_u32_e64 s0, s39, v8
	s_and_b32 s3, s0, exec_lo
.LBB1484_76:
	s_or_b32 exec_lo, exec_lo, s4
	v_dual_lshrrev_b32 v8, 24, v11 :: v_dual_lshrrev_b32 v28, 8, v9
	v_cndmask_b32_e64 v12, 0, 1, s3
	v_cndmask_b32_e64 v13, 0, 1, vcc_lo
	v_lshlrev_b16 v10, 8, v10
	s_delay_alu instid0(VALU_DEP_4)
	v_lshlrev_b16 v8, 8, v8
	v_lshrrev_b32_e32 v29, 16, v9
	v_lshlrev_b16 v12, 8, v12
	v_lshlrev_b16 v28, 8, v28
	v_bitop3_b16 v10, v11, v10, 0xff bitop3:0xec
	v_or_b32_e32 v8, v13, v8
	s_delay_alu instid0(VALU_DEP_4) | instskip(NEXT) | instid1(VALU_DEP_4)
	v_bitop3_b16 v11, v29, v12, 0xff bitop3:0xec
	v_bitop3_b16 v9, v9, v28, 0xff bitop3:0xec
	s_delay_alu instid0(VALU_DEP_4) | instskip(NEXT) | instid1(VALU_DEP_3)
	v_and_b32_e32 v10, 0xffff, v10
	v_dual_lshlrev_b32 v8, 16, v8 :: v_dual_lshlrev_b32 v11, 16, v11
	s_delay_alu instid0(VALU_DEP_3) | instskip(NEXT) | instid1(VALU_DEP_2)
	v_and_b32_e32 v9, 0xffff, v9
	v_or_b32_e32 v8, v10, v8
	s_delay_alu instid0(VALU_DEP_2)
	v_or_b32_e32 v37, v9, v11
.LBB1484_77:
	s_or_b32 exec_lo, exec_lo, s1
	v_add_nc_u32_e32 v11, 7, v15
	v_dual_lshrrev_b32 v9, 8, v7 :: v_dual_lshrrev_b32 v10, 16, v7
                                        ; implicit-def: $vgpr38
	s_delay_alu instid0(VALU_DEP_2) | instskip(SKIP_2) | instid1(SALU_CYCLE_1)
	v_cmp_le_u32_e32 vcc_lo, s5, v11
	v_lshrrev_b32_e32 v11, 24, v7
                                        ; implicit-def: $vgpr7
	s_and_saveexec_b32 s0, vcc_lo
	s_xor_b32 s0, exec_lo, s0
	s_cbranch_execz .LBB1484_79
; %bb.78:
	s_delay_alu instid0(VALU_DEP_1) | instskip(SKIP_1) | instid1(VALU_DEP_2)
	v_lshlrev_b16 v7, 8, v11
	v_lshlrev_b16 v9, 8, v9
                                        ; implicit-def: $vgpr11
	v_bitop3_b16 v7, v10, v7, 0xff bitop3:0xec
	v_and_b32_e32 v10, 0xff0000, v8
	s_delay_alu instid0(VALU_DEP_3) | instskip(NEXT) | instid1(VALU_DEP_3)
	v_and_b32_e32 v9, 0xffff, v9
	v_lshlrev_b32_e32 v7, 16, v7
	s_delay_alu instid0(VALU_DEP_3) | instskip(NEXT) | instid1(VALU_DEP_2)
	v_perm_b32 v38, v8, v10, 0x3020504
                                        ; implicit-def: $vgpr8
                                        ; implicit-def: $vgpr10
	v_or_b32_e32 v7, v9, v7
                                        ; implicit-def: $vgpr9
.LBB1484_79:
	s_and_not1_saveexec_b32 s1, s0
	s_cbranch_execz .LBB1484_83
; %bb.80:
	v_dual_add_nc_u32 v7, s17, v21 :: v_dual_add_nc_u32 v12, s19, v21
	s_mov_b32 s3, 0
	s_mov_b32 s4, exec_lo
	s_delay_alu instid0(VALU_DEP_1) | instskip(NEXT) | instid1(VALU_DEP_2)
	v_mul_lo_u32 v7, v7, s16
	v_mul_lo_u32 v12, v12, s18
	s_delay_alu instid0(VALU_DEP_1) | instskip(NEXT) | instid1(VALU_DEP_1)
	v_sub_nc_u32_e32 v7, v7, v12
	v_cmp_lt_u32_e32 vcc_lo, s20, v7
	v_cmpx_ge_u32_e64 s20, v7
	s_cbranch_execz .LBB1484_82
; %bb.81:
	v_dual_add_nc_u32 v7, s22, v21 :: v_dual_add_nc_u32 v12, s38, v21
	s_delay_alu instid0(VALU_DEP_1) | instskip(NEXT) | instid1(VALU_DEP_2)
	v_mul_lo_u32 v7, v7, s21
	v_mul_lo_u32 v12, v12, s23
	s_delay_alu instid0(VALU_DEP_1) | instskip(NEXT) | instid1(VALU_DEP_1)
	v_sub_nc_u32_e32 v7, v7, v12
	v_cmp_lt_u32_e64 s0, s39, v7
	s_and_b32 s3, s0, exec_lo
.LBB1484_82:
	s_or_b32 exec_lo, exec_lo, s4
	v_cndmask_b32_e64 v7, 0, 1, vcc_lo
	v_dual_lshrrev_b32 v12, 8, v8 :: v_dual_lshrrev_b32 v28, 16, v8
	v_cndmask_b32_e64 v13, 0, 1, s3
	v_lshlrev_b16 v11, 8, v11
	s_delay_alu instid0(VALU_DEP_4) | instskip(NEXT) | instid1(VALU_DEP_4)
	v_lshlrev_b16 v7, 8, v7
	v_lshlrev_b16 v12, 8, v12
	;; [unrolled: 1-line block ×3, first 2 shown]
	s_delay_alu instid0(VALU_DEP_4) | instskip(NEXT) | instid1(VALU_DEP_4)
	v_bitop3_b16 v10, v10, v11, 0xff bitop3:0xec
	v_bitop3_b16 v7, v28, v7, 0xff bitop3:0xec
	s_delay_alu instid0(VALU_DEP_4) | instskip(NEXT) | instid1(VALU_DEP_3)
	v_bitop3_b16 v8, v8, v12, 0xff bitop3:0xec
	v_dual_lshlrev_b32 v10, 16, v10 :: v_dual_bitop2_b32 v9, v13, v9 bitop3:0x54
	s_delay_alu instid0(VALU_DEP_3) | instskip(NEXT) | instid1(VALU_DEP_3)
	v_lshlrev_b32_e32 v7, 16, v7
	v_and_b32_e32 v8, 0xffff, v8
	s_delay_alu instid0(VALU_DEP_3) | instskip(NEXT) | instid1(VALU_DEP_2)
	v_and_b32_e32 v9, 0xffff, v9
	v_or_b32_e32 v38, v8, v7
	s_delay_alu instid0(VALU_DEP_2)
	v_or_b32_e32 v7, v9, v10
.LBB1484_83:
	s_or_b32 exec_lo, exec_lo, s1
	v_dual_add_nc_u32 v8, 8, v15 :: v_dual_lshrrev_b32 v13, 24, v6
	s_delay_alu instid0(VALU_DEP_2) | instskip(SKIP_1) | instid1(VALU_DEP_3)
	v_dual_lshrrev_b32 v9, 16, v7 :: v_dual_lshrrev_b32 v10, 24, v7
	v_dual_lshrrev_b32 v11, 16, v6 :: v_dual_lshrrev_b32 v12, 8, v6
	v_cmp_le_u32_e32 vcc_lo, s5, v8
                                        ; implicit-def: $vgpr6
                                        ; implicit-def: $vgpr8
	s_and_saveexec_b32 s0, vcc_lo
	s_delay_alu instid0(SALU_CYCLE_1)
	s_xor_b32 s0, exec_lo, s0
	s_cbranch_execz .LBB1484_85
; %bb.84:
	v_lshlrev_b16 v6, 8, v13
	v_lshlrev_b16 v8, 8, v12
	;; [unrolled: 1-line block ×3, first 2 shown]
	v_perm_b32 v1, v1, v1, 0x3060504
                                        ; implicit-def: $vgpr13
                                        ; implicit-def: $vgpr12
	s_delay_alu instid0(VALU_DEP_4) | instskip(NEXT) | instid1(VALU_DEP_4)
	v_bitop3_b16 v6, v11, v6, 0xff bitop3:0xec
	v_and_b32_e32 v8, 0xffff, v8
	s_delay_alu instid0(VALU_DEP_4) | instskip(NEXT) | instid1(VALU_DEP_3)
	v_bitop3_b16 v9, v9, v10, 0xff bitop3:0xec
                                        ; implicit-def: $vgpr10
                                        ; implicit-def: $vgpr11
	v_lshlrev_b32_e32 v6, 16, v6
	s_delay_alu instid0(VALU_DEP_1) | instskip(NEXT) | instid1(VALU_DEP_3)
	v_or_b32_e32 v8, v8, v6
	v_perm_b32 v6, v9, v7, 0x5040c00
                                        ; implicit-def: $vgpr7
                                        ; implicit-def: $vgpr9
.LBB1484_85:
	s_and_not1_saveexec_b32 s1, s0
	s_cbranch_execz .LBB1484_89
; %bb.86:
	v_dual_add_nc_u32 v6, s17, v18 :: v_dual_add_nc_u32 v8, s19, v18
	s_mov_b32 s3, 0
	s_mov_b32 s4, exec_lo
	s_delay_alu instid0(VALU_DEP_1) | instskip(NEXT) | instid1(VALU_DEP_2)
	v_mul_lo_u32 v6, v6, s16
	v_mul_lo_u32 v8, v8, s18
	s_delay_alu instid0(VALU_DEP_1) | instskip(NEXT) | instid1(VALU_DEP_1)
	v_sub_nc_u32_e32 v6, v6, v8
	v_cmp_lt_u32_e32 vcc_lo, s20, v6
	v_cmpx_ge_u32_e64 s20, v6
	s_cbranch_execz .LBB1484_88
; %bb.87:
	v_dual_add_nc_u32 v6, s22, v18 :: v_dual_add_nc_u32 v8, s38, v18
	s_delay_alu instid0(VALU_DEP_1) | instskip(NEXT) | instid1(VALU_DEP_2)
	v_mul_lo_u32 v6, v6, s21
	v_mul_lo_u32 v8, v8, s23
	s_delay_alu instid0(VALU_DEP_1) | instskip(NEXT) | instid1(VALU_DEP_1)
	v_sub_nc_u32_e32 v6, v6, v8
	v_cmp_lt_u32_e64 s0, s39, v6
	s_and_b32 s3, s0, exec_lo
.LBB1484_88:
	s_or_b32 exec_lo, exec_lo, s4
	v_cndmask_b32_e64 v6, 0, 1, s3
	v_cndmask_b32_e64 v8, 0, 1, vcc_lo
	v_lshlrev_b16 v13, 8, v13
	v_lshlrev_b16 v12, 8, v12
	;; [unrolled: 1-line block ×4, first 2 shown]
	s_delay_alu instid0(VALU_DEP_4) | instskip(NEXT) | instid1(VALU_DEP_4)
	v_bitop3_b16 v11, v11, v13, 0xff bitop3:0xec
	v_or_b32_e32 v8, v8, v12
	s_delay_alu instid0(VALU_DEP_4) | instskip(NEXT) | instid1(VALU_DEP_4)
	v_bitop3_b16 v9, v9, v10, 0xff bitop3:0xec
	v_bitop3_b16 v6, v7, v6, 0xff bitop3:0xec
	s_delay_alu instid0(VALU_DEP_4) | instskip(NEXT) | instid1(VALU_DEP_4)
	v_lshlrev_b32_e32 v7, 16, v11
	v_and_b32_e32 v8, 0xffff, v8
	s_delay_alu instid0(VALU_DEP_4) | instskip(NEXT) | instid1(VALU_DEP_4)
	v_lshlrev_b32_e32 v9, 16, v9
	v_and_b32_e32 v6, 0xffff, v6
	s_delay_alu instid0(VALU_DEP_3) | instskip(NEXT) | instid1(VALU_DEP_2)
	v_or_b32_e32 v8, v8, v7
	v_or_b32_e32 v6, v6, v9
.LBB1484_89:
	s_or_b32 exec_lo, exec_lo, s1
	s_delay_alu instid0(VALU_DEP_1) | instskip(NEXT) | instid1(VALU_DEP_3)
	v_dual_add_nc_u32 v7, 9, v15 :: v_dual_lshrrev_b32 v11, 8, v6
	v_dual_lshrrev_b32 v12, 24, v8 :: v_dual_lshrrev_b32 v10, 16, v8
                                        ; implicit-def: $vgpr9
	s_delay_alu instid0(VALU_DEP_2) | instskip(SKIP_1) | instid1(SALU_CYCLE_1)
	v_cmp_le_u32_e32 vcc_lo, s5, v7
                                        ; implicit-def: $vgpr7
	s_and_saveexec_b32 s0, vcc_lo
	s_xor_b32 s0, exec_lo, s0
	s_cbranch_execz .LBB1484_91
; %bb.90:
	v_lshlrev_b16 v7, 8, v11
	v_lshlrev_b16 v9, 8, v12
	v_perm_b32 v1, v1, v1, 0x3060504
                                        ; implicit-def: $vgpr11
                                        ; implicit-def: $vgpr12
	s_delay_alu instid0(VALU_DEP_3) | instskip(NEXT) | instid1(VALU_DEP_3)
	v_bitop3_b16 v7, v6, v7, 0xff bitop3:0xec
	v_bitop3_b16 v9, v10, v9, 0xff bitop3:0xec
                                        ; implicit-def: $vgpr10
	s_delay_alu instid0(VALU_DEP_2) | instskip(NEXT) | instid1(VALU_DEP_2)
	v_and_b32_e32 v7, 0xffff, v7
	v_perm_b32 v9, v9, v8, 0x5040c00
                                        ; implicit-def: $vgpr8
	s_delay_alu instid0(VALU_DEP_2)
	v_and_or_b32 v7, 0xff000000, v6, v7
                                        ; implicit-def: $vgpr6
.LBB1484_91:
	s_and_not1_saveexec_b32 s1, s0
	s_cbranch_execz .LBB1484_95
; %bb.92:
	v_dual_add_nc_u32 v7, s17, v19 :: v_dual_add_nc_u32 v9, s19, v19
	s_mov_b32 s3, 0
	s_mov_b32 s4, exec_lo
	s_delay_alu instid0(VALU_DEP_1) | instskip(NEXT) | instid1(VALU_DEP_2)
	v_mul_lo_u32 v7, v7, s16
	v_mul_lo_u32 v9, v9, s18
	s_delay_alu instid0(VALU_DEP_1) | instskip(NEXT) | instid1(VALU_DEP_1)
	v_sub_nc_u32_e32 v7, v7, v9
	v_cmp_lt_u32_e32 vcc_lo, s20, v7
	v_cmpx_ge_u32_e64 s20, v7
	s_cbranch_execz .LBB1484_94
; %bb.93:
	v_dual_add_nc_u32 v7, s22, v19 :: v_dual_add_nc_u32 v9, s38, v19
	s_delay_alu instid0(VALU_DEP_1) | instskip(NEXT) | instid1(VALU_DEP_2)
	v_mul_lo_u32 v7, v7, s21
	v_mul_lo_u32 v9, v9, s23
	s_delay_alu instid0(VALU_DEP_1) | instskip(NEXT) | instid1(VALU_DEP_1)
	v_sub_nc_u32_e32 v7, v7, v9
	v_cmp_lt_u32_e64 s0, s39, v7
	s_and_b32 s3, s0, exec_lo
.LBB1484_94:
	s_or_b32 exec_lo, exec_lo, s4
	v_cndmask_b32_e64 v7, 0, 1, vcc_lo
	v_lshrrev_b32_e32 v9, 24, v6
	v_cndmask_b32_e64 v13, 0, 1, s3
	v_lshlrev_b16 v12, 8, v12
	v_lshlrev_b16 v11, 8, v11
	;; [unrolled: 1-line block ×4, first 2 shown]
	s_delay_alu instid0(VALU_DEP_4) | instskip(NEXT) | instid1(VALU_DEP_4)
	v_bitop3_b16 v10, v10, v12, 0xff bitop3:0xec
	v_bitop3_b16 v6, v6, v11, 0xff bitop3:0xec
	s_delay_alu instid0(VALU_DEP_4) | instskip(NEXT) | instid1(VALU_DEP_3)
	v_bitop3_b16 v7, v8, v7, 0xff bitop3:0xec
	v_dual_lshlrev_b32 v9, 16, v10 :: v_dual_bitop2_b32 v8, v13, v9 bitop3:0x54
	s_delay_alu instid0(VALU_DEP_3) | instskip(NEXT) | instid1(VALU_DEP_3)
	v_and_b32_e32 v6, 0xffff, v6
	v_and_b32_e32 v7, 0xffff, v7
	s_delay_alu instid0(VALU_DEP_1) | instskip(NEXT) | instid1(VALU_DEP_1)
	v_dual_lshlrev_b32 v8, 16, v8 :: v_dual_bitop2_b32 v9, v7, v9 bitop3:0x54
	v_or_b32_e32 v7, v6, v8
.LBB1484_95:
	s_or_b32 exec_lo, exec_lo, s1
	s_delay_alu instid0(VALU_DEP_2) | instskip(NEXT) | instid1(VALU_DEP_1)
	v_dual_add_nc_u32 v6, 10, v15 :: v_dual_lshrrev_b32 v8, 8, v9
                                        ; implicit-def: $vgpr40
	v_cmp_le_u32_e32 vcc_lo, s5, v6
                                        ; implicit-def: $vgpr6
	s_and_saveexec_b32 s0, vcc_lo
	s_delay_alu instid0(SALU_CYCLE_1)
	s_xor_b32 s0, exec_lo, s0
	s_cbranch_execz .LBB1484_97
; %bb.96:
	v_lshlrev_b16 v6, 8, v8
	v_and_b32_e32 v8, 0xff0000, v7
	v_perm_b32 v1, v1, v1, 0x3060504
	s_delay_alu instid0(VALU_DEP_3) | instskip(NEXT) | instid1(VALU_DEP_3)
	v_bitop3_b16 v6, v9, v6, 0xff bitop3:0xec
	v_perm_b32 v40, v7, v8, 0x3020504
                                        ; implicit-def: $vgpr8
                                        ; implicit-def: $vgpr7
	s_delay_alu instid0(VALU_DEP_2) | instskip(NEXT) | instid1(VALU_DEP_1)
	v_and_b32_e32 v6, 0xffff, v6
	v_and_or_b32 v6, 0xff000000, v9, v6
                                        ; implicit-def: $vgpr9
.LBB1484_97:
	s_and_not1_saveexec_b32 s1, s0
	s_cbranch_execz .LBB1484_101
; %bb.98:
	v_dual_add_nc_u32 v6, s17, v16 :: v_dual_add_nc_u32 v10, s19, v16
	s_mov_b32 s3, 0
	s_mov_b32 s4, exec_lo
	s_delay_alu instid0(VALU_DEP_1) | instskip(NEXT) | instid1(VALU_DEP_2)
	v_mul_lo_u32 v6, v6, s16
	v_mul_lo_u32 v10, v10, s18
	s_delay_alu instid0(VALU_DEP_1) | instskip(NEXT) | instid1(VALU_DEP_1)
	v_sub_nc_u32_e32 v6, v6, v10
	v_cmp_lt_u32_e32 vcc_lo, s20, v6
	v_cmpx_ge_u32_e64 s20, v6
	s_cbranch_execz .LBB1484_100
; %bb.99:
	v_dual_add_nc_u32 v6, s22, v16 :: v_dual_add_nc_u32 v10, s38, v16
	s_delay_alu instid0(VALU_DEP_1) | instskip(NEXT) | instid1(VALU_DEP_2)
	v_mul_lo_u32 v6, v6, s21
	v_mul_lo_u32 v10, v10, s23
	s_delay_alu instid0(VALU_DEP_1) | instskip(NEXT) | instid1(VALU_DEP_1)
	v_sub_nc_u32_e32 v6, v6, v10
	v_cmp_lt_u32_e64 s0, s39, v6
	s_and_b32 s3, s0, exec_lo
.LBB1484_100:
	s_or_b32 exec_lo, exec_lo, s4
	v_dual_lshrrev_b32 v6, 24, v9 :: v_dual_lshrrev_b32 v12, 8, v7
	v_cndmask_b32_e64 v10, 0, 1, s3
	v_cndmask_b32_e64 v11, 0, 1, vcc_lo
	v_lshlrev_b16 v8, 8, v8
	s_delay_alu instid0(VALU_DEP_4)
	v_lshlrev_b16 v6, 8, v6
	v_lshrrev_b32_e32 v13, 16, v7
	v_lshlrev_b16 v10, 8, v10
	v_lshlrev_b16 v12, 8, v12
	v_bitop3_b16 v8, v9, v8, 0xff bitop3:0xec
	v_or_b32_e32 v6, v11, v6
	s_delay_alu instid0(VALU_DEP_4) | instskip(NEXT) | instid1(VALU_DEP_4)
	v_bitop3_b16 v9, v13, v10, 0xff bitop3:0xec
	v_bitop3_b16 v7, v7, v12, 0xff bitop3:0xec
	s_delay_alu instid0(VALU_DEP_4) | instskip(NEXT) | instid1(VALU_DEP_3)
	v_and_b32_e32 v8, 0xffff, v8
	v_dual_lshlrev_b32 v6, 16, v6 :: v_dual_lshlrev_b32 v9, 16, v9
	s_delay_alu instid0(VALU_DEP_3) | instskip(NEXT) | instid1(VALU_DEP_2)
	v_and_b32_e32 v7, 0xffff, v7
	v_or_b32_e32 v6, v8, v6
	s_delay_alu instid0(VALU_DEP_2)
	v_or_b32_e32 v40, v7, v9
.LBB1484_101:
	s_or_b32 exec_lo, exec_lo, s1
	v_dual_add_nc_u32 v7, 11, v15 :: v_dual_mov_b32 v39, 0
	s_mov_b32 s0, exec_lo
                                        ; implicit-def: $vgpr41
	s_delay_alu instid0(VALU_DEP_1)
	v_cmpx_le_u32_e64 s5, v7
	s_xor_b32 s0, exec_lo, s0
; %bb.102:
	v_and_b32_e32 v7, 0xff0000, v6
	v_perm_b32 v1, v1, v1, 0x3060504
	s_delay_alu instid0(VALU_DEP_2)
	v_perm_b32 v41, v6, v7, 0x3020504
                                        ; implicit-def: $vgpr6
; %bb.103:
	s_and_not1_saveexec_b32 s1, s0
	s_cbranch_execz .LBB1484_107
; %bb.104:
	v_dual_add_nc_u32 v7, s17, v17 :: v_dual_add_nc_u32 v8, s19, v17
	s_mov_b32 s3, 0
	s_mov_b32 s4, exec_lo
	s_delay_alu instid0(VALU_DEP_1) | instskip(NEXT) | instid1(VALU_DEP_2)
	v_mul_lo_u32 v7, v7, s16
	v_mul_lo_u32 v8, v8, s18
	s_delay_alu instid0(VALU_DEP_1) | instskip(NEXT) | instid1(VALU_DEP_1)
	v_sub_nc_u32_e32 v7, v7, v8
	v_cmp_lt_u32_e32 vcc_lo, s20, v7
	v_cmpx_ge_u32_e64 s20, v7
	s_cbranch_execz .LBB1484_106
; %bb.105:
	v_dual_add_nc_u32 v7, s22, v17 :: v_dual_add_nc_u32 v8, s38, v17
	s_delay_alu instid0(VALU_DEP_1) | instskip(NEXT) | instid1(VALU_DEP_2)
	v_mul_lo_u32 v7, v7, s21
	v_mul_lo_u32 v8, v8, s23
	s_delay_alu instid0(VALU_DEP_1) | instskip(NEXT) | instid1(VALU_DEP_1)
	v_sub_nc_u32_e32 v7, v7, v8
	v_cmp_lt_u32_e64 s0, s39, v7
	s_and_b32 s3, s0, exec_lo
.LBB1484_106:
	s_or_b32 exec_lo, exec_lo, s4
	v_cndmask_b32_e64 v7, 0, 1, vcc_lo
	v_dual_lshrrev_b32 v8, 8, v6 :: v_dual_lshrrev_b32 v9, 16, v6
	v_cndmask_b32_e64 v39, 0, 1, s3
	s_delay_alu instid0(VALU_DEP_3) | instskip(NEXT) | instid1(VALU_DEP_3)
	v_lshlrev_b16 v7, 8, v7
	v_lshlrev_b16 v8, 8, v8
	s_delay_alu instid0(VALU_DEP_2) | instskip(NEXT) | instid1(VALU_DEP_2)
	v_bitop3_b16 v7, v9, v7, 0xff bitop3:0xec
	v_bitop3_b16 v6, v6, v8, 0xff bitop3:0xec
	s_delay_alu instid0(VALU_DEP_2) | instskip(NEXT) | instid1(VALU_DEP_2)
	v_lshlrev_b32_e32 v7, 16, v7
	v_and_b32_e32 v6, 0xffff, v6
	s_delay_alu instid0(VALU_DEP_1)
	v_or_b32_e32 v41, v6, v7
.LBB1484_107:
	s_or_b32 exec_lo, exec_lo, s1
	v_dual_add_nc_u32 v8, 12, v15 :: v_dual_lshrrev_b32 v6, 8, v1
	v_dual_lshrrev_b32 v7, 16, v1 :: v_dual_lshrrev_b32 v1, 24, v1
	s_mov_b32 s0, exec_lo
                                        ; implicit-def: $vgpr42
	s_delay_alu instid0(VALU_DEP_2)
	v_cmpx_le_u32_e64 s5, v8
	s_xor_b32 s0, exec_lo, s0
; %bb.108:
	s_delay_alu instid0(VALU_DEP_2) | instskip(SKIP_1) | instid1(VALU_DEP_2)
	v_lshlrev_b16 v1, 8, v1
	v_lshlrev_b16 v6, 8, v6
	v_bitop3_b16 v1, v7, v1, 0xff bitop3:0xec
	s_delay_alu instid0(VALU_DEP_2) | instskip(NEXT) | instid1(VALU_DEP_2)
	v_and_b32_e32 v6, 0xffff, v6
                                        ; implicit-def: $vgpr7
	v_lshlrev_b32_e32 v1, 16, v1
	s_delay_alu instid0(VALU_DEP_1)
	v_or_b32_e32 v42, v6, v1
                                        ; implicit-def: $vgpr1
                                        ; implicit-def: $vgpr6
; %bb.109:
	s_or_saveexec_b32 s1, s0
	v_mov_b32_e32 v43, 0
	s_xor_b32 exec_lo, exec_lo, s1
	s_cbranch_execz .LBB1484_113
; %bb.110:
	v_dual_add_nc_u32 v8, s19, v34 :: v_dual_add_nc_u32 v9, s17, v34
	s_mov_b32 s3, 0
	s_mov_b32 s4, exec_lo
	s_delay_alu instid0(VALU_DEP_1) | instskip(NEXT) | instid1(VALU_DEP_2)
	v_mul_lo_u32 v8, v8, s18
	v_mul_lo_u32 v9, v9, s16
	s_delay_alu instid0(VALU_DEP_1) | instskip(NEXT) | instid1(VALU_DEP_1)
	v_sub_nc_u32_e32 v8, v9, v8
	v_cmp_lt_u32_e32 vcc_lo, s20, v8
	v_cmpx_ge_u32_e64 s20, v8
	s_cbranch_execz .LBB1484_112
; %bb.111:
	v_dual_add_nc_u32 v8, s38, v34 :: v_dual_add_nc_u32 v9, s22, v34
	s_delay_alu instid0(VALU_DEP_1) | instskip(NEXT) | instid1(VALU_DEP_2)
	v_mul_lo_u32 v8, v8, s23
	v_mul_lo_u32 v9, v9, s21
	s_delay_alu instid0(VALU_DEP_1) | instskip(NEXT) | instid1(VALU_DEP_1)
	v_sub_nc_u32_e32 v8, v9, v8
	v_cmp_lt_u32_e64 s0, s39, v8
	s_and_b32 s3, s0, exec_lo
.LBB1484_112:
	s_or_b32 exec_lo, exec_lo, s4
	v_cndmask_b32_e64 v8, 0, 1, vcc_lo
	v_lshlrev_b16 v1, 8, v1
	v_lshlrev_b16 v6, 8, v6
	v_cndmask_b32_e64 v43, 0, 1, s3
	s_delay_alu instid0(VALU_DEP_3) | instskip(NEXT) | instid1(VALU_DEP_1)
	v_bitop3_b16 v1, v7, v1, 0xff bitop3:0xec
	v_dual_lshlrev_b32 v1, 16, v1 :: v_dual_bitop2_b32 v6, v8, v6 bitop3:0x54
	s_delay_alu instid0(VALU_DEP_1) | instskip(NEXT) | instid1(VALU_DEP_1)
	v_and_b32_e32 v6, 0xffff, v6
	v_or_b32_e32 v42, v6, v1
.LBB1484_113:
	s_or_b32 exec_lo, exec_lo, s1
.LBB1484_114:
	v_and_b32_e32 v66, 0xff, v36
	s_delay_alu instid0(VALU_DEP_2)
	v_bfe_u32 v67, v42, 8, 8
	v_bfe_u32 v64, v36, 8, 8
	v_bfe_u32 v65, v42, 16, 8
	v_bfe_u32 v63, v36, 16, 8
	v_dual_lshrrev_b32 v49, 24, v42 :: v_dual_lshrrev_b32 v48, 24, v36
	v_and_b32_e32 v62, 0xff, v37
	v_and_b32_e32 v60, 0xff, v38
	v_bfe_u32 v61, v37, 8, 8
	v_add3_u32 v1, v64, v66, v63
	v_add3_u32 v6, v65, v67, v49
	v_bfe_u32 v58, v38, 8, 8
	v_bfe_u32 v59, v37, 16, 8
	;; [unrolled: 1-line block ×3, first 2 shown]
	v_dual_lshrrev_b32 v47, 24, v37 :: v_dual_lshrrev_b32 v46, 24, v38
	v_add3_u32 v1, v1, v48, v60
	v_add3_u32 v6, v6, v62, v61
	v_and_b32_e32 v57, 0xff, v40
	v_and_b32_e32 v53, 0xff, v41
	v_bfe_u32 v55, v40, 8, 8
	v_add3_u32 v1, v1, v58, v56
	v_add3_u32 v6, v6, v59, v47
	v_bfe_u32 v52, v41, 8, 8
	v_bfe_u32 v54, v40, 16, 8
	;; [unrolled: 1-line block ×3, first 2 shown]
	v_dual_lshrrev_b32 v45, 24, v40 :: v_dual_lshrrev_b32 v44, 24, v41
	v_add3_u32 v1, v1, v46, v53
	v_add3_u32 v6, v6, v57, v55
	v_mbcnt_lo_u32_b32 v68, -1, 0
	v_and_b32_e32 v50, 0xff, v39
	v_and_b32_e32 v7, 0xff, v42
	;; [unrolled: 1-line block ×3, first 2 shown]
	v_add3_u32 v1, v1, v52, v51
	v_add3_u32 v6, v6, v54, v45
	v_and_b32_e32 v70, 15, v68
	v_and_b32_e32 v72, 16, v68
	v_dual_lshrrev_b32 v69, 5, v0 :: v_dual_bitop2_b32 v71, 31, v0 bitop3:0x54
	v_add3_u32 v73, v1, v44, v7
	v_add3_u32 v74, v6, v50, v8
	v_cmp_eq_u32_e64 s1, 0, v70
	v_cmp_lt_u32_e64 s0, 1, v70
	v_cmp_lt_u32_e64 s3, 3, v70
	s_cmp_lg_u32 s27, 0
	s_mov_b32 s4, -1
	v_cmp_lt_u32_e32 vcc_lo, 7, v70
	s_cbranch_scc0 .LBB1484_135
; %bb.115:
	v_mov_b32_dpp v1, v74 row_shr:1 row_mask:0xf bank_mask:0xf
	v_mov_b32_dpp v6, v73 row_shr:1 row_mask:0xf bank_mask:0xf
	s_mov_b32 s4, exec_lo
	s_delay_alu instid0(VALU_DEP_1) | instskip(NEXT) | instid1(VALU_DEP_1)
	v_dual_add_nc_u32 v1, v1, v74 :: v_dual_add_nc_u32 v6, v6, v73
	v_dual_cndmask_b32 v1, v1, v74, s1 :: v_dual_cndmask_b32 v6, v6, v73, s1
	s_delay_alu instid0(VALU_DEP_1) | instskip(NEXT) | instid1(VALU_DEP_2)
	v_mov_b32_dpp v7, v1 row_shr:2 row_mask:0xf bank_mask:0xf
	v_mov_b32_dpp v8, v6 row_shr:2 row_mask:0xf bank_mask:0xf
	s_delay_alu instid0(VALU_DEP_1) | instskip(NEXT) | instid1(VALU_DEP_1)
	v_dual_add_nc_u32 v7, v1, v7 :: v_dual_add_nc_u32 v8, v6, v8
	v_dual_cndmask_b32 v1, v1, v7, s0 :: v_dual_cndmask_b32 v6, v6, v8, s0
	s_delay_alu instid0(VALU_DEP_1) | instskip(NEXT) | instid1(VALU_DEP_2)
	v_mov_b32_dpp v7, v1 row_shr:4 row_mask:0xf bank_mask:0xf
	v_mov_b32_dpp v8, v6 row_shr:4 row_mask:0xf bank_mask:0xf
	;; [unrolled: 6-line block ×3, first 2 shown]
	s_delay_alu instid0(VALU_DEP_1) | instskip(NEXT) | instid1(VALU_DEP_1)
	v_dual_add_nc_u32 v7, v1, v7 :: v_dual_add_nc_u32 v8, v6, v8
	v_dual_cndmask_b32 v1, v1, v7 :: v_dual_cndmask_b32 v6, v6, v8
	v_cmp_eq_u32_e32 vcc_lo, 0, v72
	ds_swizzle_b32 v7, v1 offset:swizzle(BROADCAST,32,15)
	ds_swizzle_b32 v8, v6 offset:swizzle(BROADCAST,32,15)
	s_wait_dscnt 0x0
	v_dual_add_nc_u32 v7, v1, v7 :: v_dual_add_nc_u32 v8, v6, v8
	v_cmpx_eq_u32_e64 v0, v71
; %bb.116:
	s_delay_alu instid0(VALU_DEP_2) | instskip(NEXT) | instid1(VALU_DEP_3)
	v_dual_cndmask_b32 v10, v8, v6 :: v_dual_lshlrev_b32 v9, 3, v69
	v_cndmask_b32_e32 v11, v7, v1, vcc_lo
	ds_store_b64 v9, v[10:11]
; %bb.117:
	s_or_b32 exec_lo, exec_lo, s4
	s_delay_alu instid0(SALU_CYCLE_1)
	s_mov_b32 s4, exec_lo
	s_wait_dscnt 0x0
	s_barrier_signal -1
	s_barrier_wait -1
	v_cmpx_gt_u32_e32 8, v0
	s_cbranch_execz .LBB1484_119
; %bb.118:
	v_lshlrev_b32_e32 v9, 3, v0
	ds_load_b64 v[10:11], v9
	s_wait_dscnt 0x0
	v_mov_b32_dpp v12, v10 row_shr:1 row_mask:0xf bank_mask:0xf
	v_mov_b32_dpp v13, v11 row_shr:1 row_mask:0xf bank_mask:0xf
	s_delay_alu instid0(VALU_DEP_2) | instskip(NEXT) | instid1(VALU_DEP_2)
	v_dual_add_nc_u32 v12, v12, v10 :: v_dual_bitop2_b32 v28, 7, v68 bitop3:0x40
	v_add_nc_u32_e32 v13, v13, v11
	s_delay_alu instid0(VALU_DEP_2) | instskip(NEXT) | instid1(VALU_DEP_1)
	v_cmp_eq_u32_e64 s3, 0, v28
	v_dual_cndmask_b32 v11, v13, v11, s3 :: v_dual_cndmask_b32 v10, v12, v10, s3
	v_cmp_lt_u32_e64 s3, 1, v28
	s_delay_alu instid0(VALU_DEP_2) | instskip(NEXT) | instid1(VALU_DEP_3)
	v_mov_b32_dpp v13, v11 row_shr:2 row_mask:0xf bank_mask:0xf
	v_mov_b32_dpp v12, v10 row_shr:2 row_mask:0xf bank_mask:0xf
	s_delay_alu instid0(VALU_DEP_1) | instskip(NEXT) | instid1(VALU_DEP_1)
	v_dual_add_nc_u32 v13, v11, v13 :: v_dual_add_nc_u32 v12, v10, v12
	v_dual_cndmask_b32 v11, v11, v13, s3 :: v_dual_cndmask_b32 v10, v10, v12, s3
	v_cmp_lt_u32_e64 s3, 3, v28
	s_delay_alu instid0(VALU_DEP_2) | instskip(NEXT) | instid1(VALU_DEP_3)
	v_mov_b32_dpp v13, v11 row_shr:4 row_mask:0xf bank_mask:0xf
	v_mov_b32_dpp v12, v10 row_shr:4 row_mask:0xf bank_mask:0xf
	s_delay_alu instid0(VALU_DEP_1) | instskip(NEXT) | instid1(VALU_DEP_1)
	v_dual_cndmask_b32 v13, 0, v13, s3 :: v_dual_cndmask_b32 v12, 0, v12, s3
	v_dual_add_nc_u32 v11, v13, v11 :: v_dual_add_nc_u32 v10, v12, v10
	ds_store_b64 v9, v[10:11]
.LBB1484_119:
	s_or_b32 exec_lo, exec_lo, s4
	v_dual_cndmask_b32 v1, v7, v1 :: v_dual_cndmask_b32 v6, v8, v6
	s_mov_b32 s4, exec_lo
	v_cmp_gt_u32_e32 vcc_lo, 32, v0
	s_wait_dscnt 0x0
	s_barrier_signal -1
	s_barrier_wait -1
                                        ; implicit-def: $vgpr28
	v_cmpx_lt_u32_e32 31, v0
	s_cbranch_execz .LBB1484_121
; %bb.120:
	v_lshl_add_u32 v7, v69, 3, -8
	ds_load_b64 v[28:29], v7
	s_wait_dscnt 0x0
	v_dual_add_nc_u32 v1, v29, v1 :: v_dual_add_nc_u32 v6, v28, v6
.LBB1484_121:
	s_or_b32 exec_lo, exec_lo, s4
	v_sub_co_u32 v7, s3, v68, 1
	s_delay_alu instid0(VALU_DEP_1) | instskip(NEXT) | instid1(VALU_DEP_1)
	v_cmp_gt_i32_e64 s4, 0, v7
	v_cndmask_b32_e64 v7, v7, v68, s4
	s_delay_alu instid0(VALU_DEP_1)
	v_lshlrev_b32_e32 v7, 2, v7
	ds_bpermute_b32 v75, v7, v6
	ds_bpermute_b32 v1, v7, v1
	s_and_saveexec_b32 s4, vcc_lo
	s_cbranch_execz .LBB1484_140
; %bb.122:
	v_mov_b32_e32 v9, 0
	ds_load_b64 v[6:7], v9 offset:56
	s_and_saveexec_b32 s6, s3
	s_cbranch_execz .LBB1484_124
; %bb.123:
	s_add_co_i32 s8, s27, 32
	s_mov_b32 s9, 0
	v_mov_b32_e32 v8, 1
	s_lshl_b64 s[8:9], s[8:9], 4
	s_delay_alu instid0(SALU_CYCLE_1) | instskip(NEXT) | instid1(SALU_CYCLE_1)
	s_add_nc_u64 s[8:9], s[36:37], s[8:9]
	v_mov_b64_e32 v[10:11], s[8:9]
	s_wait_dscnt 0x0
	;;#ASMSTART
	global_store_b128 v[10:11], v[6:9] off scope:SCOPE_DEV	
s_wait_storecnt 0x0
	;;#ASMEND
.LBB1484_124:
	s_or_b32 exec_lo, exec_lo, s6
	v_xad_u32 v30, v68, -1, s27
	s_mov_b32 s7, 0
	s_mov_b32 s6, exec_lo
	s_delay_alu instid0(VALU_DEP_1) | instskip(NEXT) | instid1(VALU_DEP_1)
	v_add_nc_u32_e32 v8, 32, v30
	v_lshl_add_u64 v[8:9], v[8:9], 4, s[36:37]
	;;#ASMSTART
	global_load_b128 v[10:13], v[8:9] off scope:SCOPE_DEV	
s_wait_loadcnt 0x0
	;;#ASMEND
	v_and_b32_e32 v13, 0xff, v12
	s_delay_alu instid0(VALU_DEP_1)
	v_cmpx_eq_u16_e32 0, v13
	s_cbranch_execz .LBB1484_127
.LBB1484_125:                           ; =>This Inner Loop Header: Depth=1
	;;#ASMSTART
	global_load_b128 v[10:13], v[8:9] off scope:SCOPE_DEV	
s_wait_loadcnt 0x0
	;;#ASMEND
	v_and_b32_e32 v13, 0xff, v12
	s_delay_alu instid0(VALU_DEP_1) | instskip(SKIP_1) | instid1(SALU_CYCLE_1)
	v_cmp_ne_u16_e32 vcc_lo, 0, v13
	s_or_b32 s7, vcc_lo, s7
	s_and_not1_b32 exec_lo, exec_lo, s7
	s_cbranch_execnz .LBB1484_125
; %bb.126:
	s_or_b32 exec_lo, exec_lo, s7
.LBB1484_127:
	s_delay_alu instid0(SALU_CYCLE_1) | instskip(SKIP_4) | instid1(VALU_DEP_1)
	s_or_b32 exec_lo, exec_lo, s6
	v_cmp_ne_u32_e32 vcc_lo, 31, v68
	v_lshlrev_b32_e64 v77, v68, -1
	v_lshl_or_b32 v84, v68, 2, 64
	v_add_co_ci_u32_e64 v8, null, 0, v68, vcc_lo
	v_lshlrev_b32_e32 v76, 2, v8
	v_and_b32_e32 v8, 0xff, v12
	s_delay_alu instid0(VALU_DEP_1)
	v_cmp_eq_u16_e32 vcc_lo, 2, v8
	v_and_b32_e32 v13, vcc_lo, v77
	ds_bpermute_b32 v9, v76, v11
	ds_bpermute_b32 v8, v76, v10
	v_cmp_gt_u32_e32 vcc_lo, 30, v68
	v_or_b32_e32 v13, 0x80000000, v13
	v_cndmask_b32_e64 v31, 0, 2, vcc_lo
	s_delay_alu instid0(VALU_DEP_2) | instskip(NEXT) | instid1(VALU_DEP_2)
	v_ctz_i32_b32_e32 v13, v13
	v_add_lshl_u32 v78, v31, v68, 2
	s_delay_alu instid0(VALU_DEP_2) | instskip(SKIP_2) | instid1(VALU_DEP_1)
	v_cmp_lt_u32_e32 vcc_lo, v68, v13
	s_wait_dscnt 0x0
	v_dual_add_nc_u32 v9, v9, v11 :: v_dual_add_nc_u32 v8, v8, v10
	v_dual_cndmask_b32 v9, v11, v9 :: v_dual_cndmask_b32 v8, v10, v8
	v_cmp_gt_u32_e32 vcc_lo, 28, v68
	ds_bpermute_b32 v10, v78, v9
	ds_bpermute_b32 v11, v78, v8
	v_add_nc_u32_e32 v79, 2, v68
	v_cndmask_b32_e64 v31, 0, 4, vcc_lo
	s_delay_alu instid0(VALU_DEP_1) | instskip(SKIP_4) | instid1(VALU_DEP_2)
	v_add_lshl_u32 v80, v31, v68, 2
	s_wait_dscnt 0x1
	v_add_nc_u32_e32 v10, v9, v10
	v_cmp_gt_u32_e32 vcc_lo, v79, v13
	s_wait_dscnt 0x0
	v_dual_add_nc_u32 v11, v8, v11 :: v_dual_cndmask_b32 v9, v10, v9, vcc_lo
	ds_bpermute_b32 v10, v80, v9
	v_cndmask_b32_e32 v8, v11, v8, vcc_lo
	v_cmp_gt_u32_e32 vcc_lo, 24, v68
	v_cndmask_b32_e64 v31, 0, 8, vcc_lo
	s_delay_alu instid0(VALU_DEP_1)
	v_add_lshl_u32 v82, v31, v68, 2
	s_wait_dscnt 0x0
	v_dual_mov_b32 v31, 0 :: v_dual_add_nc_u32 v10, v9, v10
	ds_bpermute_b32 v11, v80, v8
	s_wait_dscnt 0x0
	v_dual_add_nc_u32 v81, 4, v68 :: v_dual_add_nc_u32 v11, v8, v11
	s_delay_alu instid0(VALU_DEP_1) | instskip(NEXT) | instid1(VALU_DEP_2)
	v_cmp_gt_u32_e32 vcc_lo, v81, v13
	v_dual_cndmask_b32 v9, v10, v9 :: v_dual_cndmask_b32 v8, v11, v8
	ds_bpermute_b32 v10, v82, v9
	ds_bpermute_b32 v11, v82, v8
	s_wait_dscnt 0x1
	v_dual_add_nc_u32 v83, 8, v68 :: v_dual_add_nc_u32 v10, v9, v10
	s_delay_alu instid0(VALU_DEP_1) | instskip(SKIP_1) | instid1(VALU_DEP_2)
	v_cmp_gt_u32_e32 vcc_lo, v83, v13
	s_wait_dscnt 0x0
	v_dual_add_nc_u32 v11, v8, v11 :: v_dual_cndmask_b32 v9, v10, v9, vcc_lo
	s_delay_alu instid0(VALU_DEP_1) | instskip(SKIP_3) | instid1(VALU_DEP_1)
	v_cndmask_b32_e32 v8, v11, v8, vcc_lo
	ds_bpermute_b32 v11, v84, v9
	ds_bpermute_b32 v10, v84, v8
	v_add_nc_u32_e32 v85, 16, v68
	v_cmp_le_u32_e32 vcc_lo, v85, v13
	s_wait_dscnt 0x0
	v_dual_cndmask_b32 v11, 0, v11 :: v_dual_cndmask_b32 v10, 0, v10
	s_delay_alu instid0(VALU_DEP_1)
	v_dual_add_nc_u32 v11, v11, v9 :: v_dual_add_nc_u32 v10, v10, v8
	s_branch .LBB1484_131
.LBB1484_128:                           ;   in Loop: Header=BB1484_131 Depth=1
	s_or_b32 exec_lo, exec_lo, s7
.LBB1484_129:                           ;   in Loop: Header=BB1484_131 Depth=1
	s_delay_alu instid0(SALU_CYCLE_1)
	s_or_b32 exec_lo, exec_lo, s6
	ds_bpermute_b32 v13, v76, v10
	ds_bpermute_b32 v32, v76, v11
	v_and_b32_e32 v33, 0xff, v12
	v_subrev_nc_u32_e32 v30, 32, v30
	s_mov_b32 s6, 0
	s_delay_alu instid0(VALU_DEP_2) | instskip(SKIP_1) | instid1(VALU_DEP_1)
	v_cmp_eq_u16_e32 vcc_lo, 2, v33
	v_and_or_b32 v33, vcc_lo, v77, 0x80000000
	v_ctz_i32_b32_e32 v33, v33
	s_wait_dscnt 0x0
	v_dual_add_nc_u32 v13, v13, v10 :: v_dual_add_nc_u32 v32, v32, v11
	s_delay_alu instid0(VALU_DEP_2) | instskip(NEXT) | instid1(VALU_DEP_2)
	v_cmp_lt_u32_e32 vcc_lo, v68, v33
	v_dual_cndmask_b32 v11, v11, v32 :: v_dual_cndmask_b32 v10, v10, v13
	v_cmp_gt_u32_e32 vcc_lo, v79, v33
	ds_bpermute_b32 v32, v78, v11
	ds_bpermute_b32 v13, v78, v10
	s_wait_dscnt 0x0
	v_dual_add_nc_u32 v32, v11, v32 :: v_dual_add_nc_u32 v13, v10, v13
	s_delay_alu instid0(VALU_DEP_1)
	v_dual_cndmask_b32 v11, v32, v11 :: v_dual_cndmask_b32 v10, v13, v10
	v_cmp_gt_u32_e32 vcc_lo, v81, v33
	ds_bpermute_b32 v32, v80, v11
	ds_bpermute_b32 v13, v80, v10
	s_wait_dscnt 0x0
	v_dual_add_nc_u32 v32, v11, v32 :: v_dual_add_nc_u32 v13, v10, v13
	s_delay_alu instid0(VALU_DEP_1)
	;; [unrolled: 7-line block ×3, first 2 shown]
	v_dual_cndmask_b32 v11, v32, v11 :: v_dual_cndmask_b32 v10, v13, v10
	v_cmp_le_u32_e32 vcc_lo, v85, v33
	ds_bpermute_b32 v32, v84, v11
	ds_bpermute_b32 v13, v84, v10
	s_wait_dscnt 0x0
	v_dual_cndmask_b32 v32, 0, v32 :: v_dual_cndmask_b32 v13, 0, v13
	s_delay_alu instid0(VALU_DEP_1) | instskip(NEXT) | instid1(VALU_DEP_2)
	v_add3_u32 v11, v11, v9, v32
	v_add3_u32 v10, v10, v8, v13
.LBB1484_130:                           ;   in Loop: Header=BB1484_131 Depth=1
	s_and_b32 vcc_lo, exec_lo, s6
	s_cbranch_vccnz .LBB1484_136
.LBB1484_131:                           ; =>This Loop Header: Depth=1
                                        ;     Child Loop BB1484_134 Depth 2
	v_and_b32_e32 v8, 0xff, v12
	s_mov_b32 s6, -1
                                        ; implicit-def: $vgpr12
	s_delay_alu instid0(VALU_DEP_1)
	v_cmp_ne_u16_e32 vcc_lo, 2, v8
	v_mov_b64_e32 v[8:9], v[10:11]
                                        ; implicit-def: $vgpr10_vgpr11
	s_cmp_lg_u32 vcc_lo, exec_lo
	s_cbranch_scc1 .LBB1484_130
; %bb.132:                              ;   in Loop: Header=BB1484_131 Depth=1
	v_lshl_add_u64 v[32:33], v[30:31], 4, s[36:37]
	;;#ASMSTART
	global_load_b128 v[10:13], v[32:33] off scope:SCOPE_DEV	
s_wait_loadcnt 0x0
	;;#ASMEND
	v_and_b32_e32 v13, 0xff, v12
	s_mov_b32 s6, exec_lo
	s_delay_alu instid0(VALU_DEP_1)
	v_cmpx_eq_u16_e32 0, v13
	s_cbranch_execz .LBB1484_129
; %bb.133:                              ;   in Loop: Header=BB1484_131 Depth=1
	s_mov_b32 s7, 0
.LBB1484_134:                           ;   Parent Loop BB1484_131 Depth=1
                                        ; =>  This Inner Loop Header: Depth=2
	;;#ASMSTART
	global_load_b128 v[10:13], v[32:33] off scope:SCOPE_DEV	
s_wait_loadcnt 0x0
	;;#ASMEND
	v_and_b32_e32 v13, 0xff, v12
	s_delay_alu instid0(VALU_DEP_1) | instskip(SKIP_1) | instid1(SALU_CYCLE_1)
	v_cmp_ne_u16_e32 vcc_lo, 0, v13
	s_or_b32 s7, vcc_lo, s7
	s_and_not1_b32 exec_lo, exec_lo, s7
	s_cbranch_execnz .LBB1484_134
	s_branch .LBB1484_128
.LBB1484_135:
                                        ; implicit-def: $vgpr1
                                        ; implicit-def: $vgpr8
                                        ; implicit-def: $vgpr10
                                        ; implicit-def: $vgpr12
                                        ; implicit-def: $vgpr28
	s_and_b32 vcc_lo, exec_lo, s4
	s_cbranch_vccnz .LBB1484_141
	s_branch .LBB1484_150
.LBB1484_136:
	s_and_saveexec_b32 s6, s3
	s_cbranch_execz .LBB1484_138
; %bb.137:
	s_add_co_i32 s8, s27, 32
	s_mov_b32 s9, 0
	v_dual_mov_b32 v12, 2 :: v_dual_mov_b32 v13, 0
	s_lshl_b64 s[8:9], s[8:9], 4
	v_dual_add_nc_u32 v11, v9, v7 :: v_dual_add_nc_u32 v10, v8, v6
	s_add_nc_u64 s[8:9], s[36:37], s[8:9]
	s_delay_alu instid0(SALU_CYCLE_1)
	v_mov_b64_e32 v[30:31], s[8:9]
	;;#ASMSTART
	global_store_b128 v[30:31], v[10:13] off scope:SCOPE_DEV	
s_wait_storecnt 0x0
	;;#ASMEND
	ds_store_b128 v13, v[6:9] offset:13312
.LBB1484_138:
	s_or_b32 exec_lo, exec_lo, s6
	s_delay_alu instid0(SALU_CYCLE_1)
	s_and_b32 exec_lo, exec_lo, s2
; %bb.139:
	v_mov_b32_e32 v6, 0
	ds_store_b64 v6, v[8:9] offset:56
.LBB1484_140:
	s_or_b32 exec_lo, exec_lo, s4
	s_wait_dscnt 0x0
	v_dual_mov_b32 v6, 0 :: v_dual_cndmask_b32 v1, v1, v29, s3
	s_barrier_signal -1
	s_barrier_wait -1
	ds_load_b64 v[12:13], v6 offset:56
	s_wait_dscnt 0x0
	s_barrier_signal -1
	s_barrier_wait -1
	ds_load_b128 v[6:9], v6 offset:13312
	v_cndmask_b32_e64 v10, v75, v28, s3
	s_delay_alu instid0(VALU_DEP_1) | instskip(SKIP_2) | instid1(VALU_DEP_2)
	v_dual_add_nc_u32 v1, v13, v1 :: v_dual_add_nc_u32 v11, v12, v10
	s_wait_dscnt 0x0
	v_mov_b32_e32 v10, v9
	v_dual_cndmask_b32 v1, v1, v13, s2 :: v_dual_cndmask_b32 v28, v11, v12, s2
	v_mov_b32_e32 v12, v7
	s_branch .LBB1484_150
.LBB1484_141:
	v_mov_b32_dpp v1, v73 row_shr:1 row_mask:0xf bank_mask:0xf
	v_mov_b32_dpp v6, v74 row_shr:1 row_mask:0xf bank_mask:0xf
	v_cmp_lt_u32_e32 vcc_lo, 3, v70
	s_delay_alu instid0(VALU_DEP_2) | instskip(NEXT) | instid1(VALU_DEP_1)
	v_dual_add_nc_u32 v1, v1, v73 :: v_dual_add_nc_u32 v6, v6, v74
	v_dual_cndmask_b32 v1, v1, v73, s1 :: v_dual_cndmask_b32 v6, v6, v74, s1
	s_mov_b32 s1, exec_lo
	s_delay_alu instid0(VALU_DEP_1) | instskip(NEXT) | instid1(VALU_DEP_2)
	v_mov_b32_dpp v7, v1 row_shr:2 row_mask:0xf bank_mask:0xf
	v_mov_b32_dpp v8, v6 row_shr:2 row_mask:0xf bank_mask:0xf
	s_delay_alu instid0(VALU_DEP_1) | instskip(NEXT) | instid1(VALU_DEP_1)
	v_dual_add_nc_u32 v7, v1, v7 :: v_dual_add_nc_u32 v8, v6, v8
	v_dual_cndmask_b32 v1, v1, v7, s0 :: v_dual_cndmask_b32 v6, v6, v8, s0
	s_delay_alu instid0(VALU_DEP_1) | instskip(NEXT) | instid1(VALU_DEP_2)
	v_mov_b32_dpp v7, v1 row_shr:4 row_mask:0xf bank_mask:0xf
	v_mov_b32_dpp v8, v6 row_shr:4 row_mask:0xf bank_mask:0xf
	s_delay_alu instid0(VALU_DEP_1) | instskip(NEXT) | instid1(VALU_DEP_1)
	v_dual_add_nc_u32 v7, v1, v7 :: v_dual_add_nc_u32 v8, v6, v8
	v_dual_cndmask_b32 v7, v1, v7 :: v_dual_cndmask_b32 v6, v6, v8
	v_cmp_lt_u32_e32 vcc_lo, 7, v70
	s_delay_alu instid0(VALU_DEP_2) | instskip(NEXT) | instid1(VALU_DEP_3)
	v_mov_b32_dpp v1, v7 row_shr:8 row_mask:0xf bank_mask:0xf
	v_mov_b32_dpp v8, v6 row_shr:8 row_mask:0xf bank_mask:0xf
	s_delay_alu instid0(VALU_DEP_1) | instskip(NEXT) | instid1(VALU_DEP_1)
	v_dual_add_nc_u32 v9, v7, v1 :: v_dual_add_nc_u32 v1, v6, v8
	v_cndmask_b32_e32 v1, v6, v1, vcc_lo
	s_delay_alu instid0(VALU_DEP_2)
	v_cndmask_b32_e32 v6, v7, v9, vcc_lo
	v_cmp_eq_u32_e32 vcc_lo, 0, v72
	ds_swizzle_b32 v8, v6 offset:swizzle(BROADCAST,32,15)
	s_wait_dscnt 0x0
	v_add_nc_u32_e32 v8, v6, v8
	ds_swizzle_b32 v7, v1 offset:swizzle(BROADCAST,32,15)
	s_wait_dscnt 0x0
	v_add_nc_u32_e32 v7, v1, v7
	v_cmpx_eq_u32_e64 v0, v71
; %bb.142:
	s_delay_alu instid0(VALU_DEP_2)
	v_dual_cndmask_b32 v10, v8, v6 :: v_dual_cndmask_b32 v11, v7, v1
	v_lshlrev_b32_e32 v9, 3, v69
	ds_store_b64 v9, v[10:11]
; %bb.143:
	s_or_b32 exec_lo, exec_lo, s1
	s_delay_alu instid0(SALU_CYCLE_1)
	s_mov_b32 s1, exec_lo
	s_wait_dscnt 0x0
	s_barrier_signal -1
	s_barrier_wait -1
	v_cmpx_gt_u32_e32 8, v0
	s_cbranch_execz .LBB1484_145
; %bb.144:
	v_lshlrev_b32_e32 v9, 3, v0
	ds_load_b64 v[10:11], v9
	s_wait_dscnt 0x0
	v_mov_b32_dpp v12, v10 row_shr:1 row_mask:0xf bank_mask:0xf
	v_mov_b32_dpp v13, v11 row_shr:1 row_mask:0xf bank_mask:0xf
	s_delay_alu instid0(VALU_DEP_2) | instskip(NEXT) | instid1(VALU_DEP_2)
	v_dual_add_nc_u32 v12, v12, v10 :: v_dual_bitop2_b32 v28, 7, v68 bitop3:0x40
	v_add_nc_u32_e32 v13, v13, v11
	s_delay_alu instid0(VALU_DEP_2) | instskip(NEXT) | instid1(VALU_DEP_1)
	v_cmp_eq_u32_e64 s0, 0, v28
	v_dual_cndmask_b32 v11, v13, v11, s0 :: v_dual_cndmask_b32 v10, v12, v10, s0
	v_cmp_lt_u32_e64 s0, 1, v28
	s_delay_alu instid0(VALU_DEP_2) | instskip(NEXT) | instid1(VALU_DEP_3)
	v_mov_b32_dpp v13, v11 row_shr:2 row_mask:0xf bank_mask:0xf
	v_mov_b32_dpp v12, v10 row_shr:2 row_mask:0xf bank_mask:0xf
	s_delay_alu instid0(VALU_DEP_1) | instskip(NEXT) | instid1(VALU_DEP_1)
	v_dual_add_nc_u32 v13, v11, v13 :: v_dual_add_nc_u32 v12, v10, v12
	v_dual_cndmask_b32 v11, v11, v13, s0 :: v_dual_cndmask_b32 v10, v10, v12, s0
	v_cmp_lt_u32_e64 s0, 3, v28
	s_delay_alu instid0(VALU_DEP_2) | instskip(NEXT) | instid1(VALU_DEP_3)
	v_mov_b32_dpp v13, v11 row_shr:4 row_mask:0xf bank_mask:0xf
	v_mov_b32_dpp v12, v10 row_shr:4 row_mask:0xf bank_mask:0xf
	s_delay_alu instid0(VALU_DEP_1) | instskip(NEXT) | instid1(VALU_DEP_1)
	v_dual_cndmask_b32 v13, 0, v13, s0 :: v_dual_cndmask_b32 v12, 0, v12, s0
	v_dual_add_nc_u32 v11, v13, v11 :: v_dual_add_nc_u32 v10, v12, v10
	ds_store_b64 v9, v[10:11]
.LBB1484_145:
	s_or_b32 exec_lo, exec_lo, s1
	v_dual_mov_b32 v9, 0 :: v_dual_mov_b32 v10, 0
	v_mov_b32_e32 v11, 0
	s_mov_b32 s1, exec_lo
	s_wait_dscnt 0x0
	s_barrier_signal -1
	s_barrier_wait -1
	v_cmpx_lt_u32_e32 31, v0
; %bb.146:
	v_lshl_add_u32 v10, v69, 3, -8
	ds_load_b64 v[10:11], v10
; %bb.147:
	s_or_b32 exec_lo, exec_lo, s1
	v_sub_co_u32 v12, s0, v68, 1
	v_dual_cndmask_b32 v6, v8, v6 :: v_dual_cndmask_b32 v1, v7, v1
	s_delay_alu instid0(VALU_DEP_2) | instskip(SKIP_1) | instid1(VALU_DEP_1)
	v_cmp_gt_i32_e64 s1, 0, v12
	s_wait_dscnt 0x0
	v_dual_add_nc_u32 v6, v10, v6 :: v_dual_cndmask_b32 v8, v12, v68, s1
	s_delay_alu instid0(VALU_DEP_1)
	v_dual_lshlrev_b32 v7, 2, v8 :: v_dual_add_nc_u32 v8, v11, v1
	ds_bpermute_b32 v1, v7, v6
	ds_bpermute_b32 v12, v7, v8
	ds_load_b64 v[6:7], v9 offset:56
	s_and_saveexec_b32 s1, s2
	s_cbranch_execz .LBB1484_149
; %bb.148:
	s_add_nc_u64 s[6:7], s[36:37], 0x200
	v_dual_mov_b32 v8, 2 :: v_dual_mov_b32 v9, 0
	v_mov_b64_e32 v[28:29], s[6:7]
	s_wait_dscnt 0x0
	;;#ASMSTART
	global_store_b128 v[28:29], v[6:9] off scope:SCOPE_DEV	
s_wait_storecnt 0x0
	;;#ASMEND
.LBB1484_149:
	s_or_b32 exec_lo, exec_lo, s1
	s_wait_dscnt 0x1
	v_dual_cndmask_b32 v9, v12, v11, s0 :: v_dual_cndmask_b32 v11, v1, v10, s0
	v_dual_mov_b32 v10, 0 :: v_dual_mov_b32 v8, 0
	s_wait_dscnt 0x0
	v_mov_b32_e32 v12, v7
	s_delay_alu instid0(VALU_DEP_3)
	v_cndmask_b32_e64 v1, v9, 0, s2
	v_cndmask_b32_e64 v28, v11, 0, s2
	s_barrier_signal -1
	s_barrier_wait -1
.LBB1484_150:
	s_delay_alu instid0(VALU_DEP_1) | instskip(SKIP_2) | instid1(VALU_DEP_3)
	v_dual_add_nc_u32 v74, v1, v67 :: v_dual_add_nc_u32 v75, v28, v66
	v_dual_lshrrev_b32 v72, 16, v42 :: v_dual_lshrrev_b32 v7, 8, v42
	v_dual_lshrrev_b32 v73, 8, v36 :: v_dual_lshrrev_b32 v71, 16, v36
	v_dual_add_nc_u32 v65, v74, v65 :: v_dual_add_nc_u32 v64, v75, v64
	v_dual_mov_b32 v9, 0 :: v_dual_lshlrev_b32 v66, 1, v6
	s_delay_alu instid0(VALU_DEP_2) | instskip(NEXT) | instid1(VALU_DEP_3)
	v_dual_add_nc_u32 v76, v65, v49 :: v_dual_bitop2_b32 v36, 1, v36 bitop3:0x40
	v_add_nc_u32_e32 v63, v64, v63
	v_dual_sub_nc_u32 v28, v28, v8 :: v_dual_sub_nc_u32 v1, v1, v10
	s_delay_alu instid0(VALU_DEP_3) | instskip(NEXT) | instid1(VALU_DEP_3)
	v_dual_add_nc_u32 v62, v76, v62 :: v_dual_bitop2_b32 v77, 1, v7 bitop3:0x40
	v_dual_mov_b32 v7, v9 :: v_dual_add_nc_u32 v78, v63, v48
	v_mov_b32_e32 v11, v9
	s_delay_alu instid0(VALU_DEP_3) | instskip(SKIP_1) | instid1(VALU_DEP_4)
	v_dual_add_nc_u32 v1, v1, v6 :: v_dual_add_nc_u32 v61, v62, v61
	v_add3_u32 v15, v66, v12, v15
	v_add_nc_u32_e32 v60, v78, v60
	s_delay_alu instid0(VALU_DEP_3) | instskip(NEXT) | instid1(VALU_DEP_4)
	v_dual_sub_nc_u32 v74, v74, v10 :: v_dual_add_nc_u32 v81, v28, v1
	v_dual_add_nc_u32 v79, v61, v59 :: v_dual_sub_nc_u32 v75, v75, v8
	s_delay_alu instid0(VALU_DEP_3) | instskip(SKIP_1) | instid1(VALU_DEP_4)
	v_add_nc_u32_e32 v80, v60, v58
	v_cmp_eq_u32_e32 vcc_lo, 1, v77
	v_dual_add_nc_u32 v74, v74, v6 :: v_dual_sub_nc_u32 v64, v64, v8
	s_delay_alu instid0(VALU_DEP_3) | instskip(SKIP_2) | instid1(VALU_DEP_3)
	v_dual_add_nc_u32 v82, v79, v47 :: v_dual_add_nc_u32 v56, v80, v56
	v_dual_sub_nc_u32 v81, v15, v81 :: v_dual_sub_nc_u32 v65, v65, v10
	v_sub_nc_u64_e32 v[58:59], v[4:5], v[6:7]
	v_dual_add_nc_u32 v57, v82, v57 :: v_dual_add_nc_u32 v83, v56, v46
	s_delay_alu instid0(VALU_DEP_3) | instskip(SKIP_1) | instid1(VALU_DEP_3)
	v_dual_cndmask_b32 v1, v81, v1, vcc_lo :: v_dual_add_nc_u32 v81, v74, v75
	v_cmp_eq_u32_e32 vcc_lo, 1, v36
	v_dual_add_nc_u32 v55, v57, v55 :: v_dual_add_nc_u32 v77, v83, v53
	v_and_b32_e32 v72, 1, v72
	v_dual_sub_nc_u32 v63, v63, v8 :: v_dual_bitop2_b32 v49, 1, v49 bitop3:0x40
	s_delay_alu instid0(VALU_DEP_3) | instskip(NEXT) | instid1(VALU_DEP_4)
	v_dual_cndmask_b32 v1, v1, v28 :: v_dual_add_nc_u32 v28, v55, v54
	v_add_nc_u32_e32 v36, v77, v52
	v_add_nc_u32_e32 v54, v65, v6
	v_add_nc_u64_e32 v[52:53], v[58:59], v[10:11]
	s_delay_alu instid0(VALU_DEP_4)
	v_lshlrev_b32_e32 v1, 2, v1
	v_add_nc_u32_e32 v58, v28, v45
	v_dual_add_nc_u32 v51, v36, v51 :: v_dual_sub_nc_u32 v59, v15, v81
	v_add_nc_u32_e32 v65, v54, v64
	ds_store_b32 v1, v26
	v_dual_add_nc_u32 v1, v58, v50 :: v_dual_add_nc_u32 v26, v51, v44
	v_dual_sub_nc_u32 v73, v76, v10 :: v_dual_bitop2_b32 v50, 1, v73 bitop3:0x40
	v_dual_sub_nc_u32 v65, v15, v65 :: v_dual_add_nc_u32 v59, 1, v59
	v_cmp_eq_u32_e32 vcc_lo, 1, v72
	s_delay_alu instid0(VALU_DEP_3) | instskip(NEXT) | instid1(VALU_DEP_3)
	v_dual_add_nc_u32 v73, v73, v6 :: v_dual_bitop2_b32 v71, 1, v71 bitop3:0x40
	v_add_nc_u32_e32 v65, 2, v65
	v_dual_lshrrev_b32 v70, 8, v37 :: v_dual_lshrrev_b32 v69, 16, v37
	v_cndmask_b32_e32 v59, v59, v74, vcc_lo
	v_cmp_eq_u32_e32 vcc_lo, 1, v49
	v_dual_add_nc_u32 v72, v63, v73 :: v_dual_lshrrev_b32 v33, 16, v38
	v_dual_lshrrev_b32 v68, 8, v38 :: v_dual_lshrrev_b32 v31, 16, v40
	v_dual_cndmask_b32 v49, v65, v54 :: v_dual_lshrrev_b32 v32, 8, v40
	v_cmp_eq_u32_e32 vcc_lo, 1, v50
	s_delay_alu instid0(VALU_DEP_4)
	v_dual_sub_nc_u32 v54, v15, v72 :: v_dual_lshrrev_b32 v30, 8, v41
	v_dual_lshrrev_b32 v29, 16, v41 :: v_dual_sub_nc_u32 v1, v1, v10
	v_cndmask_b32_e32 v50, v59, v75, vcc_lo
	v_cmp_eq_u32_e32 vcc_lo, 1, v71
	v_dual_sub_nc_u32 v59, v62, v10 :: v_dual_bitop2_b32 v37, 1, v37 bitop3:0x40
	v_dual_add_nc_u32 v54, 3, v54 :: v_dual_bitop2_b32 v48, 1, v48 bitop3:0x40
	v_cndmask_b32_e32 v49, v49, v64, vcc_lo
	v_dual_sub_nc_u32 v62, v78, v8 :: v_dual_lshlrev_b32 v50, 2, v50
	s_delay_alu instid0(VALU_DEP_4) | instskip(SKIP_1) | instid1(VALU_DEP_4)
	v_add_nc_u32_e32 v59, v59, v6
	v_cmp_eq_u32_e32 vcc_lo, 1, v37
	v_lshlrev_b32_e32 v49, 2, v49
	v_add_nc_u64_e32 v[2:3], v[2:3], v[8:9]
	ds_store_b32 v50, v27
	v_dual_sub_nc_u32 v27, v61, v10 :: v_dual_cndmask_b32 v37, v54, v73, vcc_lo
	v_add_nc_u32_e32 v54, v62, v59
	v_cmp_eq_u32_e32 vcc_lo, 1, v48
	ds_store_b32 v49, v24
	v_dual_sub_nc_u32 v48, v60, v8 :: v_dual_sub_nc_u32 v50, v79, v10
	v_dual_cndmask_b32 v37, v37, v63 :: v_dual_sub_nc_u32 v24, v15, v54
	v_dual_add_nc_u32 v27, v27, v6 :: v_dual_mov_b32 v67, v9
	s_delay_alu instid0(VALU_DEP_2) | instskip(NEXT) | instid1(VALU_DEP_3)
	v_dual_mov_b32 v13, v9 :: v_dual_add_nc_u32 v24, 4, v24
	v_dual_lshlrev_b32 v37, 2, v37 :: v_dual_bitop2_b32 v49, 1, v70 bitop3:0x40
	s_delay_alu instid0(VALU_DEP_3)
	v_add_nc_u32_e32 v54, v48, v27
	s_mov_b32 s0, -1
	v_and_b32_e32 v40, 1, v40
	ds_store_b32 v37, v25
	v_cmp_eq_u32_e32 vcc_lo, 1, v49
	v_dual_sub_nc_u32 v49, v80, v8 :: v_dual_bitop2_b32 v38, 1, v38 bitop3:0x40
	v_dual_add_nc_u32 v50, v50, v6 :: v_dual_bitop2_b32 v37, 1, v69 bitop3:0x40
	v_cndmask_b32_e32 v24, v24, v59, vcc_lo
	s_delay_alu instid0(VALU_DEP_3) | instskip(SKIP_1) | instid1(VALU_DEP_3)
	v_cmp_eq_u32_e32 vcc_lo, 1, v38
	v_and_b32_e32 v32, 1, v32
	v_dual_cndmask_b32 v24, v24, v62, vcc_lo :: v_dual_bitop2_b32 v31, 1, v31 bitop3:0x40
	v_sub_nc_u32_e32 v54, v15, v54
	v_cmp_eq_u32_e32 vcc_lo, 1, v37
	s_delay_alu instid0(VALU_DEP_3) | instskip(NEXT) | instid1(VALU_DEP_3)
	v_dual_sub_nc_u32 v37, v57, v10 :: v_dual_lshlrev_b32 v24, 2, v24
	v_add_nc_u32_e32 v38, 5, v54
	v_dual_add_nc_u32 v25, v49, v50 :: v_dual_bitop2_b32 v54, 1, v68 bitop3:0x40
	ds_store_b32 v24, v22
	v_dual_cndmask_b32 v27, v38, v27, vcc_lo :: v_dual_sub_nc_u32 v25, v15, v25
	v_and_b32_e32 v22, 1, v47
	v_cmp_eq_u32_e32 vcc_lo, 1, v54
	v_dual_sub_nc_u32 v38, v55, v10 :: v_dual_sub_nc_u32 v47, v77, v8
	s_delay_alu instid0(VALU_DEP_4) | instskip(SKIP_3) | instid1(VALU_DEP_3)
	v_dual_cndmask_b32 v25, v27, v48 :: v_dual_add_nc_u32 v24, 6, v25
	v_sub_nc_u32_e32 v27, v82, v10
	v_cmp_eq_u32_e32 vcc_lo, 1, v22
	v_and_b32_e32 v33, 1, v33
	v_dual_lshlrev_b32 v25, 2, v25 :: v_dual_add_nc_u32 v27, v27, v6
	v_cndmask_b32_e32 v22, v24, v50, vcc_lo
	v_sub_nc_u32_e32 v24, v56, v8
	s_delay_alu instid0(VALU_DEP_4)
	v_cmp_eq_u32_e32 vcc_lo, 1, v33
	ds_store_b32 v25, v23
	v_dual_sub_nc_u32 v23, v83, v8 :: v_dual_add_nc_u32 v25, v37, v6
	v_dual_cndmask_b32 v22, v22, v49 :: v_dual_add_nc_u32 v33, v24, v27
	v_and_b32_e32 v37, 1, v46
	v_cmp_eq_u32_e32 vcc_lo, 1, v40
	s_delay_alu instid0(VALU_DEP_4) | instskip(NEXT) | instid1(VALU_DEP_4)
	v_add_nc_u32_e32 v46, v23, v25
	v_dual_sub_nc_u32 v33, v15, v33 :: v_dual_lshlrev_b32 v22, 2, v22
	s_delay_alu instid0(VALU_DEP_1)
	v_dual_sub_nc_u32 v46, v15, v46 :: v_dual_add_nc_u32 v33, 7, v33
	v_add_nc_u32_e32 v38, v38, v6
	ds_store_b32 v22, v20
	v_dual_cndmask_b32 v27, v33, v27, vcc_lo :: v_dual_bitop2_b32 v22, 1, v45 bitop3:0x40
	v_cmp_eq_u32_e32 vcc_lo, 1, v37
	v_add_nc_u32_e32 v33, v47, v38
	s_delay_alu instid0(VALU_DEP_3) | instskip(SKIP_2) | instid1(VALU_DEP_3)
	v_dual_add_nc_u32 v40, 8, v46 :: v_dual_cndmask_b32 v24, v27, v24, vcc_lo
	v_and_b32_e32 v27, 1, v41
	v_cmp_eq_u32_e32 vcc_lo, 1, v32
	v_dual_sub_nc_u32 v33, v15, v33 :: v_dual_lshlrev_b32 v24, 2, v24
	s_delay_alu instid0(VALU_DEP_4) | instskip(NEXT) | instid1(VALU_DEP_4)
	v_cndmask_b32_e32 v25, v40, v25, vcc_lo
	v_cmp_eq_u32_e32 vcc_lo, 1, v27
	s_delay_alu instid0(VALU_DEP_3) | instskip(NEXT) | instid1(VALU_DEP_3)
	v_dual_add_nc_u32 v32, 9, v33 :: v_dual_bitop2_b32 v27, 1, v30 bitop3:0x40
	v_dual_cndmask_b32 v23, v25, v23 :: v_dual_sub_nc_u32 v30, v36, v8
	v_sub_nc_u32_e32 v25, v28, v10
	v_cmp_eq_u32_e32 vcc_lo, 1, v31
	s_delay_alu instid0(VALU_DEP_2)
	v_dual_lshlrev_b32 v23, 2, v23 :: v_dual_add_nc_u32 v25, v25, v6
	v_cndmask_b32_e32 v28, v32, v38, vcc_lo
	v_cmp_eq_u32_e32 vcc_lo, 1, v27
	ds_store_b32 v24, v21
	ds_store_b32 v23, v18
	v_sub_nc_u32_e32 v21, v58, v10
	v_dual_add_nc_u32 v20, v30, v25 :: v_dual_sub_nc_u32 v23, v51, v8
	v_dual_cndmask_b32 v27, v28, v47 :: v_dual_sub_nc_u32 v8, v26, v8
	s_delay_alu instid0(VALU_DEP_2) | instskip(NEXT) | instid1(VALU_DEP_2)
	v_dual_add_nc_u32 v1, v1, v6 :: v_dual_sub_nc_u32 v20, v15, v20
	v_dual_add_nc_u32 v21, v21, v6 :: v_dual_lshlrev_b32 v18, 2, v27
	v_cmp_eq_u32_e32 vcc_lo, 1, v22
	s_delay_alu instid0(VALU_DEP_3) | instskip(SKIP_3) | instid1(VALU_DEP_1)
	v_dual_add_nc_u32 v22, v8, v1 :: v_dual_add_nc_u32 v20, 10, v20
	ds_store_b32 v18, v19
	v_cndmask_b32_e32 v20, v20, v25, vcc_lo
	v_add_nc_u32_e32 v26, v23, v21
	v_dual_sub_nc_u32 v18, v15, v26 :: v_dual_bitop2_b32 v24, 1, v29 bitop3:0x40
	s_delay_alu instid0(VALU_DEP_1) | instskip(SKIP_1) | instid1(VALU_DEP_3)
	v_cmp_eq_u32_e32 vcc_lo, 1, v24
	v_dual_sub_nc_u32 v15, v15, v22 :: v_dual_bitop2_b32 v24, 1, v39 bitop3:0x40
	v_dual_add_nc_u32 v25, 11, v18 :: v_dual_bitop2_b32 v22, 1, v44 bitop3:0x40
	v_cndmask_b32_e32 v20, v20, v30, vcc_lo
	s_delay_alu instid0(VALU_DEP_3) | instskip(SKIP_4) | instid1(VALU_DEP_4)
	v_cmp_eq_u32_e32 vcc_lo, 1, v24
	v_and_b32_e32 v26, 1, v43
	v_dual_add_nc_u32 v15, 12, v15 :: v_dual_bitop2_b32 v24, 1, v42 bitop3:0x40
	v_add_nc_u64_e32 v[18:19], v[12:13], v[66:67]
	v_cndmask_b32_e32 v21, v25, v21, vcc_lo
	v_cmp_eq_u32_e32 vcc_lo, 1, v26
	s_delay_alu instid0(VALU_DEP_4)
	v_dual_cndmask_b32 v1, v15, v1 :: v_dual_lshlrev_b32 v20, 2, v20
	v_cmp_eq_u32_e32 vcc_lo, 1, v22
	v_add_nc_u64_e32 v[18:19], v[18:19], v[52:53]
	v_mov_b32_e32 v15, v9
	ds_store_b32 v20, v16
	v_cndmask_b32_e32 v21, v21, v23, vcc_lo
	v_cmp_eq_u32_e32 vcc_lo, 1, v24
	s_delay_alu instid0(VALU_DEP_2)
	v_dual_cndmask_b32 v1, v1, v8 :: v_dual_lshlrev_b32 v22, 2, v21
	v_add_nc_u64_e32 v[8:9], s[34:35], v[14:15]
	v_add_nc_u64_e32 v[14:15], v[18:19], v[2:3]
	v_lshlrev_b64_e32 v[18:19], 2, v[52:53]
	v_lshlrev_b64_e32 v[20:21], 2, v[2:3]
	v_lshlrev_b32_e32 v1, 2, v1
	v_cmp_ne_u32_e32 vcc_lo, 1, v35
	v_sub_nc_u64_e32 v[14:15], v[8:9], v[14:15]
	v_add_nc_u64_e32 v[8:9], s[30:31], v[18:19]
	v_add_nc_u32_e32 v18, v6, v12
	ds_store_b32 v22, v17
	ds_store_b32 v1, v34
	v_add_nc_u64_e32 v[16:17], s[28:29], v[20:21]
	s_wait_dscnt 0x0
	s_barrier_signal -1
	s_barrier_wait -1
	s_cbranch_vccz .LBB1484_154
; %bb.151:
	s_and_b32 vcc_lo, exec_lo, s0
	s_cbranch_vccnz .LBB1484_259
.LBB1484_152:
	s_and_b32 s0, s2, s26
	s_delay_alu instid0(SALU_CYCLE_1)
	s_and_saveexec_b32 s1, s0
	s_cbranch_execnz .LBB1484_377
.LBB1484_153:
	s_sendmsg sendmsg(MSG_DEALLOC_VGPRS)
	s_endpgm
.LBB1484_154:
	s_mov_b32 s0, exec_lo
	v_cmpx_ge_u32_e64 v0, v6
	s_xor_b32 s0, exec_lo, s0
	s_cbranch_execz .LBB1484_160
; %bb.155:
	v_mov_b32_e32 v1, 0
	s_mov_b32 s1, exec_lo
	v_cmpx_ge_u32_e64 v0, v18
	s_xor_b32 s1, exec_lo, s1
	s_cbranch_execz .LBB1484_157
; %bb.156:
	v_lshlrev_b32_e32 v19, 2, v0
	v_add_nc_u64_e32 v[20:21], v[14:15], v[0:1]
	ds_load_b32 v1, v19
	v_lshlrev_b64_e32 v[20:21], 2, v[20:21]
	s_delay_alu instid0(VALU_DEP_1)
	v_sub_nc_u64_e32 v[20:21], s[14:15], v[20:21]
	s_wait_dscnt 0x0
	global_store_b32 v[20:21], v1, off offset:-4
.LBB1484_157:
	s_wait_xcnt 0x0
	s_and_not1_saveexec_b32 s1, s1
	s_cbranch_execz .LBB1484_159
; %bb.158:
	v_lshlrev_b32_e32 v1, 2, v0
	v_readfirstlane_b32 s6, v8
	v_readfirstlane_b32 s7, v9
	ds_load_b32 v1, v1
	s_wait_dscnt 0x0
	global_store_b32 v0, v1, s[6:7] scale_offset
.LBB1484_159:
	s_wait_xcnt 0x0
	s_or_b32 exec_lo, exec_lo, s1
.LBB1484_160:
	s_and_not1_saveexec_b32 s0, s0
	s_cbranch_execz .LBB1484_162
; %bb.161:
	v_lshlrev_b32_e32 v1, 2, v0
	v_readfirstlane_b32 s6, v16
	v_readfirstlane_b32 s7, v17
	ds_load_b32 v1, v1
	s_wait_dscnt 0x0
	global_store_b32 v0, v1, s[6:7] scale_offset
.LBB1484_162:
	s_wait_xcnt 0x0
	s_or_b32 exec_lo, exec_lo, s0
	v_or_b32_e32 v1, 0x100, v0
	s_mov_b32 s0, exec_lo
	s_delay_alu instid0(VALU_DEP_1)
	v_cmpx_ge_u32_e64 v1, v6
	s_xor_b32 s0, exec_lo, s0
	s_cbranch_execz .LBB1484_168
; %bb.163:
	s_mov_b32 s1, exec_lo
	v_cmpx_ge_u32_e64 v1, v18
	s_xor_b32 s1, exec_lo, s1
	s_cbranch_execz .LBB1484_165
; %bb.164:
	v_dual_mov_b32 v1, 0 :: v_dual_lshlrev_b32 v19, 2, v0
	s_delay_alu instid0(VALU_DEP_1) | instskip(SKIP_2) | instid1(VALU_DEP_1)
	v_add_nc_u64_e32 v[20:21], v[14:15], v[0:1]
	ds_load_b32 v1, v19 offset:1024
	v_lshlrev_b64_e32 v[20:21], 2, v[20:21]
	v_sub_nc_u64_e32 v[20:21], s[14:15], v[20:21]
	s_wait_dscnt 0x0
	global_store_b32 v[20:21], v1, off offset:-1028
.LBB1484_165:
	s_wait_xcnt 0x0
	s_and_not1_saveexec_b32 s1, s1
	s_cbranch_execz .LBB1484_167
; %bb.166:
	v_lshlrev_b32_e32 v1, 2, v0
	v_readfirstlane_b32 s6, v8
	v_readfirstlane_b32 s7, v9
	ds_load_b32 v1, v1 offset:1024
	s_wait_dscnt 0x0
	global_store_b32 v0, v1, s[6:7] offset:1024 scale_offset
.LBB1484_167:
	s_wait_xcnt 0x0
	s_or_b32 exec_lo, exec_lo, s1
.LBB1484_168:
	s_and_not1_saveexec_b32 s0, s0
	s_cbranch_execz .LBB1484_170
; %bb.169:
	v_lshlrev_b32_e32 v1, 2, v0
	v_readfirstlane_b32 s6, v16
	v_readfirstlane_b32 s7, v17
	ds_load_b32 v1, v1 offset:1024
	s_wait_dscnt 0x0
	global_store_b32 v0, v1, s[6:7] offset:1024 scale_offset
.LBB1484_170:
	s_wait_xcnt 0x0
	s_or_b32 exec_lo, exec_lo, s0
	v_or_b32_e32 v1, 0x200, v0
	s_mov_b32 s0, exec_lo
	s_delay_alu instid0(VALU_DEP_1)
	v_cmpx_ge_u32_e64 v1, v6
	s_xor_b32 s0, exec_lo, s0
	s_cbranch_execz .LBB1484_176
; %bb.171:
	s_mov_b32 s1, exec_lo
	v_cmpx_ge_u32_e64 v1, v18
	s_xor_b32 s1, exec_lo, s1
	s_cbranch_execz .LBB1484_173
; %bb.172:
	v_dual_mov_b32 v1, 0 :: v_dual_lshlrev_b32 v19, 2, v0
	s_delay_alu instid0(VALU_DEP_1) | instskip(SKIP_2) | instid1(VALU_DEP_1)
	v_add_nc_u64_e32 v[20:21], v[14:15], v[0:1]
	ds_load_b32 v1, v19 offset:2048
	v_lshlrev_b64_e32 v[20:21], 2, v[20:21]
	v_sub_nc_u64_e32 v[20:21], s[14:15], v[20:21]
	s_wait_dscnt 0x0
	global_store_b32 v[20:21], v1, off offset:-2052
.LBB1484_173:
	s_wait_xcnt 0x0
	s_and_not1_saveexec_b32 s1, s1
	s_cbranch_execz .LBB1484_175
; %bb.174:
	v_lshlrev_b32_e32 v1, 2, v0
	v_readfirstlane_b32 s6, v8
	v_readfirstlane_b32 s7, v9
	ds_load_b32 v1, v1 offset:2048
	s_wait_dscnt 0x0
	global_store_b32 v0, v1, s[6:7] offset:2048 scale_offset
.LBB1484_175:
	s_wait_xcnt 0x0
	s_or_b32 exec_lo, exec_lo, s1
.LBB1484_176:
	s_and_not1_saveexec_b32 s0, s0
	s_cbranch_execz .LBB1484_178
; %bb.177:
	v_lshlrev_b32_e32 v1, 2, v0
	v_readfirstlane_b32 s6, v16
	v_readfirstlane_b32 s7, v17
	ds_load_b32 v1, v1 offset:2048
	s_wait_dscnt 0x0
	global_store_b32 v0, v1, s[6:7] offset:2048 scale_offset
.LBB1484_178:
	;; [unrolled: 47-line block ×12, first 2 shown]
	s_wait_xcnt 0x0
	s_or_b32 exec_lo, exec_lo, s0
	s_branch .LBB1484_152
.LBB1484_259:
	s_mov_b32 s0, exec_lo
	v_cmpx_gt_u32_e64 s5, v0
	s_cbranch_execz .LBB1484_268
; %bb.260:
	s_mov_b32 s1, exec_lo
	v_cmpx_ge_u32_e64 v0, v6
	s_xor_b32 s1, exec_lo, s1
	s_cbranch_execz .LBB1484_266
; %bb.261:
	v_mov_b32_e32 v1, 0
	s_mov_b32 s3, exec_lo
	v_cmpx_ge_u32_e64 v0, v18
	s_xor_b32 s3, exec_lo, s3
	s_cbranch_execz .LBB1484_263
; %bb.262:
	v_lshlrev_b32_e32 v19, 2, v0
	v_add_nc_u64_e32 v[20:21], v[14:15], v[0:1]
	ds_load_b32 v1, v19
	v_lshlrev_b64_e32 v[20:21], 2, v[20:21]
	s_delay_alu instid0(VALU_DEP_1)
	v_sub_nc_u64_e32 v[20:21], s[14:15], v[20:21]
	s_wait_dscnt 0x0
	global_store_b32 v[20:21], v1, off offset:-4
.LBB1484_263:
	s_wait_xcnt 0x0
	s_and_not1_saveexec_b32 s3, s3
	s_cbranch_execz .LBB1484_265
; %bb.264:
	v_lshlrev_b32_e32 v1, 2, v0
	v_readfirstlane_b32 s6, v8
	v_readfirstlane_b32 s7, v9
	ds_load_b32 v1, v1
	s_wait_dscnt 0x0
	global_store_b32 v0, v1, s[6:7] scale_offset
.LBB1484_265:
	s_wait_xcnt 0x0
	s_or_b32 exec_lo, exec_lo, s3
.LBB1484_266:
	s_and_not1_saveexec_b32 s1, s1
	s_cbranch_execz .LBB1484_268
; %bb.267:
	v_lshlrev_b32_e32 v1, 2, v0
	v_readfirstlane_b32 s6, v16
	v_readfirstlane_b32 s7, v17
	ds_load_b32 v1, v1
	s_wait_dscnt 0x0
	global_store_b32 v0, v1, s[6:7] scale_offset
.LBB1484_268:
	s_wait_xcnt 0x0
	s_or_b32 exec_lo, exec_lo, s0
	v_or_b32_e32 v1, 0x100, v0
	s_mov_b32 s0, exec_lo
	s_delay_alu instid0(VALU_DEP_1)
	v_cmpx_gt_u32_e64 s5, v1
	s_cbranch_execz .LBB1484_277
; %bb.269:
	s_mov_b32 s1, exec_lo
	v_cmpx_ge_u32_e64 v1, v6
	s_xor_b32 s1, exec_lo, s1
	s_cbranch_execz .LBB1484_275
; %bb.270:
	s_mov_b32 s3, exec_lo
	v_cmpx_ge_u32_e64 v1, v18
	s_xor_b32 s3, exec_lo, s3
	s_cbranch_execz .LBB1484_272
; %bb.271:
	v_dual_mov_b32 v1, 0 :: v_dual_lshlrev_b32 v19, 2, v0
	s_delay_alu instid0(VALU_DEP_1) | instskip(SKIP_2) | instid1(VALU_DEP_1)
	v_add_nc_u64_e32 v[20:21], v[14:15], v[0:1]
	ds_load_b32 v1, v19 offset:1024
	v_lshlrev_b64_e32 v[20:21], 2, v[20:21]
	v_sub_nc_u64_e32 v[20:21], s[14:15], v[20:21]
	s_wait_dscnt 0x0
	global_store_b32 v[20:21], v1, off offset:-1028
.LBB1484_272:
	s_wait_xcnt 0x0
	s_and_not1_saveexec_b32 s3, s3
	s_cbranch_execz .LBB1484_274
; %bb.273:
	v_lshlrev_b32_e32 v1, 2, v0
	v_readfirstlane_b32 s6, v8
	v_readfirstlane_b32 s7, v9
	ds_load_b32 v1, v1 offset:1024
	s_wait_dscnt 0x0
	global_store_b32 v0, v1, s[6:7] offset:1024 scale_offset
.LBB1484_274:
	s_wait_xcnt 0x0
	s_or_b32 exec_lo, exec_lo, s3
.LBB1484_275:
	s_and_not1_saveexec_b32 s1, s1
	s_cbranch_execz .LBB1484_277
; %bb.276:
	v_lshlrev_b32_e32 v1, 2, v0
	v_readfirstlane_b32 s6, v16
	v_readfirstlane_b32 s7, v17
	ds_load_b32 v1, v1 offset:1024
	s_wait_dscnt 0x0
	global_store_b32 v0, v1, s[6:7] offset:1024 scale_offset
.LBB1484_277:
	s_wait_xcnt 0x0
	s_or_b32 exec_lo, exec_lo, s0
	v_or_b32_e32 v1, 0x200, v0
	s_mov_b32 s0, exec_lo
	s_delay_alu instid0(VALU_DEP_1)
	v_cmpx_gt_u32_e64 s5, v1
	s_cbranch_execz .LBB1484_286
; %bb.278:
	s_mov_b32 s1, exec_lo
	v_cmpx_ge_u32_e64 v1, v6
	s_xor_b32 s1, exec_lo, s1
	s_cbranch_execz .LBB1484_284
; %bb.279:
	s_mov_b32 s3, exec_lo
	v_cmpx_ge_u32_e64 v1, v18
	s_xor_b32 s3, exec_lo, s3
	s_cbranch_execz .LBB1484_281
; %bb.280:
	v_dual_mov_b32 v1, 0 :: v_dual_lshlrev_b32 v19, 2, v0
	s_delay_alu instid0(VALU_DEP_1) | instskip(SKIP_2) | instid1(VALU_DEP_1)
	v_add_nc_u64_e32 v[20:21], v[14:15], v[0:1]
	ds_load_b32 v1, v19 offset:2048
	v_lshlrev_b64_e32 v[20:21], 2, v[20:21]
	v_sub_nc_u64_e32 v[20:21], s[14:15], v[20:21]
	s_wait_dscnt 0x0
	global_store_b32 v[20:21], v1, off offset:-2052
.LBB1484_281:
	s_wait_xcnt 0x0
	s_and_not1_saveexec_b32 s3, s3
	s_cbranch_execz .LBB1484_283
; %bb.282:
	v_lshlrev_b32_e32 v1, 2, v0
	v_readfirstlane_b32 s6, v8
	v_readfirstlane_b32 s7, v9
	ds_load_b32 v1, v1 offset:2048
	s_wait_dscnt 0x0
	global_store_b32 v0, v1, s[6:7] offset:2048 scale_offset
.LBB1484_283:
	s_wait_xcnt 0x0
	s_or_b32 exec_lo, exec_lo, s3
.LBB1484_284:
	s_and_not1_saveexec_b32 s1, s1
	s_cbranch_execz .LBB1484_286
; %bb.285:
	v_lshlrev_b32_e32 v1, 2, v0
	v_readfirstlane_b32 s6, v16
	v_readfirstlane_b32 s7, v17
	ds_load_b32 v1, v1 offset:2048
	s_wait_dscnt 0x0
	global_store_b32 v0, v1, s[6:7] offset:2048 scale_offset
.LBB1484_286:
	;; [unrolled: 51-line block ×11, first 2 shown]
	s_wait_xcnt 0x0
	s_or_b32 exec_lo, exec_lo, s0
	v_or_b32_e32 v1, 0xc00, v0
	s_mov_b32 s0, exec_lo
	s_delay_alu instid0(VALU_DEP_1)
	v_cmpx_gt_u32_e64 s5, v1
	s_cbranch_execz .LBB1484_376
; %bb.368:
	s_mov_b32 s1, exec_lo
	v_cmpx_ge_u32_e64 v1, v6
	s_xor_b32 s1, exec_lo, s1
	s_cbranch_execz .LBB1484_374
; %bb.369:
	s_mov_b32 s3, exec_lo
	v_cmpx_ge_u32_e64 v1, v18
	s_xor_b32 s3, exec_lo, s3
	s_cbranch_execz .LBB1484_371
; %bb.370:
	v_dual_mov_b32 v1, 0 :: v_dual_lshlrev_b32 v8, 2, v0
	s_delay_alu instid0(VALU_DEP_1) | instskip(SKIP_2) | instid1(VALU_DEP_1)
	v_add_nc_u64_e32 v[0:1], v[14:15], v[0:1]
	ds_load_b32 v8, v8 offset:12288
	v_lshlrev_b64_e32 v[0:1], 2, v[0:1]
	v_sub_nc_u64_e32 v[0:1], s[14:15], v[0:1]
	s_wait_dscnt 0x0
	global_store_b32 v[0:1], v8, off offset:-12292
                                        ; implicit-def: $vgpr0
                                        ; implicit-def: $vgpr8_vgpr9
.LBB1484_371:
	s_wait_xcnt 0x0
	s_and_not1_saveexec_b32 s3, s3
	s_cbranch_execz .LBB1484_373
; %bb.372:
	v_lshlrev_b32_e32 v1, 2, v0
	v_readfirstlane_b32 s4, v8
	v_readfirstlane_b32 s5, v9
	ds_load_b32 v1, v1 offset:12288
	s_wait_dscnt 0x0
	global_store_b32 v0, v1, s[4:5] offset:12288 scale_offset
.LBB1484_373:
	s_wait_xcnt 0x0
	s_or_b32 exec_lo, exec_lo, s3
                                        ; implicit-def: $vgpr0
                                        ; implicit-def: $vgpr16_vgpr17
.LBB1484_374:
	s_and_not1_saveexec_b32 s1, s1
	s_cbranch_execz .LBB1484_376
; %bb.375:
	v_lshlrev_b32_e32 v1, 2, v0
	v_readfirstlane_b32 s4, v16
	v_readfirstlane_b32 s5, v17
	ds_load_b32 v1, v1 offset:12288
	s_wait_dscnt 0x0
	global_store_b32 v0, v1, s[4:5] offset:12288 scale_offset
.LBB1484_376:
	s_wait_xcnt 0x0
	s_or_b32 exec_lo, exec_lo, s0
	s_and_b32 s0, s2, s26
	s_delay_alu instid0(SALU_CYCLE_1)
	s_and_saveexec_b32 s1, s0
	s_cbranch_execz .LBB1484_153
.LBB1484_377:
	v_add_nc_u64_e32 v[0:1], v[4:5], v[12:13]
	v_add_nc_u64_e32 v[2:3], v[2:3], v[6:7]
	s_delay_alu instid0(VALU_DEP_2)
	v_add_nc_u64_e32 v[4:5], v[0:1], v[10:11]
	v_mov_b32_e32 v0, 0
	global_store_b128 v0, v[2:5], s[24:25]
	s_sendmsg sendmsg(MSG_DEALLOC_VGPRS)
	s_endpgm
	.section	.rodata,"a",@progbits
	.p2align	6, 0x0
	.amdhsa_kernel _ZN7rocprim17ROCPRIM_400000_NS6detail17trampoline_kernelINS0_13select_configILj256ELj13ELNS0_17block_load_methodE3ELS4_3ELS4_3ELNS0_20block_scan_algorithmE0ELj4294967295EEENS1_25partition_config_selectorILNS1_17partition_subalgoE4EjNS0_10empty_typeEbEEZZNS1_14partition_implILS8_4ELb0ES6_15HIP_vector_typeIjLj2EENS0_17counting_iteratorIjlEEPS9_SG_NS0_5tupleIJPjSI_NS0_16reverse_iteratorISI_EEEEENSH_IJSG_SG_SG_EEES9_SI_JZNS1_25segmented_radix_sort_implINS0_14default_configELb1EPKbPbPKlPlN2at6native12_GLOBAL__N_18offset_tEEE10hipError_tPvRmT1_PNSt15iterator_traitsIS12_E10value_typeET2_T3_PNS13_IS18_E10value_typeET4_jRbjT5_S1E_jjP12ihipStream_tbEUljE_ZNSN_ISO_Lb1ESQ_SR_ST_SU_SY_EESZ_S10_S11_S12_S16_S17_S18_S1B_S1C_jS1D_jS1E_S1E_jjS1G_bEUljE0_EEESZ_S10_S11_S18_S1C_S1E_T6_T7_T9_mT8_S1G_bDpT10_ENKUlT_T0_E_clISt17integral_constantIbLb0EES1T_IbLb1EEEEDaS1P_S1Q_EUlS1P_E_NS1_11comp_targetILNS1_3genE0ELNS1_11target_archE4294967295ELNS1_3gpuE0ELNS1_3repE0EEENS1_30default_config_static_selectorELNS0_4arch9wavefront6targetE0EEEvS12_
		.amdhsa_group_segment_fixed_size 13328
		.amdhsa_private_segment_fixed_size 0
		.amdhsa_kernarg_size 184
		.amdhsa_user_sgpr_count 2
		.amdhsa_user_sgpr_dispatch_ptr 0
		.amdhsa_user_sgpr_queue_ptr 0
		.amdhsa_user_sgpr_kernarg_segment_ptr 1
		.amdhsa_user_sgpr_dispatch_id 0
		.amdhsa_user_sgpr_kernarg_preload_length 0
		.amdhsa_user_sgpr_kernarg_preload_offset 0
		.amdhsa_user_sgpr_private_segment_size 0
		.amdhsa_wavefront_size32 1
		.amdhsa_uses_dynamic_stack 0
		.amdhsa_enable_private_segment 0
		.amdhsa_system_sgpr_workgroup_id_x 1
		.amdhsa_system_sgpr_workgroup_id_y 0
		.amdhsa_system_sgpr_workgroup_id_z 0
		.amdhsa_system_sgpr_workgroup_info 0
		.amdhsa_system_vgpr_workitem_id 0
		.amdhsa_next_free_vgpr 86
		.amdhsa_next_free_sgpr 55
		.amdhsa_named_barrier_count 0
		.amdhsa_reserve_vcc 1
		.amdhsa_float_round_mode_32 0
		.amdhsa_float_round_mode_16_64 0
		.amdhsa_float_denorm_mode_32 3
		.amdhsa_float_denorm_mode_16_64 3
		.amdhsa_fp16_overflow 0
		.amdhsa_memory_ordered 1
		.amdhsa_forward_progress 1
		.amdhsa_inst_pref_size 140
		.amdhsa_round_robin_scheduling 0
		.amdhsa_exception_fp_ieee_invalid_op 0
		.amdhsa_exception_fp_denorm_src 0
		.amdhsa_exception_fp_ieee_div_zero 0
		.amdhsa_exception_fp_ieee_overflow 0
		.amdhsa_exception_fp_ieee_underflow 0
		.amdhsa_exception_fp_ieee_inexact 0
		.amdhsa_exception_int_div_zero 0
	.end_amdhsa_kernel
	.section	.text._ZN7rocprim17ROCPRIM_400000_NS6detail17trampoline_kernelINS0_13select_configILj256ELj13ELNS0_17block_load_methodE3ELS4_3ELS4_3ELNS0_20block_scan_algorithmE0ELj4294967295EEENS1_25partition_config_selectorILNS1_17partition_subalgoE4EjNS0_10empty_typeEbEEZZNS1_14partition_implILS8_4ELb0ES6_15HIP_vector_typeIjLj2EENS0_17counting_iteratorIjlEEPS9_SG_NS0_5tupleIJPjSI_NS0_16reverse_iteratorISI_EEEEENSH_IJSG_SG_SG_EEES9_SI_JZNS1_25segmented_radix_sort_implINS0_14default_configELb1EPKbPbPKlPlN2at6native12_GLOBAL__N_18offset_tEEE10hipError_tPvRmT1_PNSt15iterator_traitsIS12_E10value_typeET2_T3_PNS13_IS18_E10value_typeET4_jRbjT5_S1E_jjP12ihipStream_tbEUljE_ZNSN_ISO_Lb1ESQ_SR_ST_SU_SY_EESZ_S10_S11_S12_S16_S17_S18_S1B_S1C_jS1D_jS1E_S1E_jjS1G_bEUljE0_EEESZ_S10_S11_S18_S1C_S1E_T6_T7_T9_mT8_S1G_bDpT10_ENKUlT_T0_E_clISt17integral_constantIbLb0EES1T_IbLb1EEEEDaS1P_S1Q_EUlS1P_E_NS1_11comp_targetILNS1_3genE0ELNS1_11target_archE4294967295ELNS1_3gpuE0ELNS1_3repE0EEENS1_30default_config_static_selectorELNS0_4arch9wavefront6targetE0EEEvS12_,"axG",@progbits,_ZN7rocprim17ROCPRIM_400000_NS6detail17trampoline_kernelINS0_13select_configILj256ELj13ELNS0_17block_load_methodE3ELS4_3ELS4_3ELNS0_20block_scan_algorithmE0ELj4294967295EEENS1_25partition_config_selectorILNS1_17partition_subalgoE4EjNS0_10empty_typeEbEEZZNS1_14partition_implILS8_4ELb0ES6_15HIP_vector_typeIjLj2EENS0_17counting_iteratorIjlEEPS9_SG_NS0_5tupleIJPjSI_NS0_16reverse_iteratorISI_EEEEENSH_IJSG_SG_SG_EEES9_SI_JZNS1_25segmented_radix_sort_implINS0_14default_configELb1EPKbPbPKlPlN2at6native12_GLOBAL__N_18offset_tEEE10hipError_tPvRmT1_PNSt15iterator_traitsIS12_E10value_typeET2_T3_PNS13_IS18_E10value_typeET4_jRbjT5_S1E_jjP12ihipStream_tbEUljE_ZNSN_ISO_Lb1ESQ_SR_ST_SU_SY_EESZ_S10_S11_S12_S16_S17_S18_S1B_S1C_jS1D_jS1E_S1E_jjS1G_bEUljE0_EEESZ_S10_S11_S18_S1C_S1E_T6_T7_T9_mT8_S1G_bDpT10_ENKUlT_T0_E_clISt17integral_constantIbLb0EES1T_IbLb1EEEEDaS1P_S1Q_EUlS1P_E_NS1_11comp_targetILNS1_3genE0ELNS1_11target_archE4294967295ELNS1_3gpuE0ELNS1_3repE0EEENS1_30default_config_static_selectorELNS0_4arch9wavefront6targetE0EEEvS12_,comdat
.Lfunc_end1484:
	.size	_ZN7rocprim17ROCPRIM_400000_NS6detail17trampoline_kernelINS0_13select_configILj256ELj13ELNS0_17block_load_methodE3ELS4_3ELS4_3ELNS0_20block_scan_algorithmE0ELj4294967295EEENS1_25partition_config_selectorILNS1_17partition_subalgoE4EjNS0_10empty_typeEbEEZZNS1_14partition_implILS8_4ELb0ES6_15HIP_vector_typeIjLj2EENS0_17counting_iteratorIjlEEPS9_SG_NS0_5tupleIJPjSI_NS0_16reverse_iteratorISI_EEEEENSH_IJSG_SG_SG_EEES9_SI_JZNS1_25segmented_radix_sort_implINS0_14default_configELb1EPKbPbPKlPlN2at6native12_GLOBAL__N_18offset_tEEE10hipError_tPvRmT1_PNSt15iterator_traitsIS12_E10value_typeET2_T3_PNS13_IS18_E10value_typeET4_jRbjT5_S1E_jjP12ihipStream_tbEUljE_ZNSN_ISO_Lb1ESQ_SR_ST_SU_SY_EESZ_S10_S11_S12_S16_S17_S18_S1B_S1C_jS1D_jS1E_S1E_jjS1G_bEUljE0_EEESZ_S10_S11_S18_S1C_S1E_T6_T7_T9_mT8_S1G_bDpT10_ENKUlT_T0_E_clISt17integral_constantIbLb0EES1T_IbLb1EEEEDaS1P_S1Q_EUlS1P_E_NS1_11comp_targetILNS1_3genE0ELNS1_11target_archE4294967295ELNS1_3gpuE0ELNS1_3repE0EEENS1_30default_config_static_selectorELNS0_4arch9wavefront6targetE0EEEvS12_, .Lfunc_end1484-_ZN7rocprim17ROCPRIM_400000_NS6detail17trampoline_kernelINS0_13select_configILj256ELj13ELNS0_17block_load_methodE3ELS4_3ELS4_3ELNS0_20block_scan_algorithmE0ELj4294967295EEENS1_25partition_config_selectorILNS1_17partition_subalgoE4EjNS0_10empty_typeEbEEZZNS1_14partition_implILS8_4ELb0ES6_15HIP_vector_typeIjLj2EENS0_17counting_iteratorIjlEEPS9_SG_NS0_5tupleIJPjSI_NS0_16reverse_iteratorISI_EEEEENSH_IJSG_SG_SG_EEES9_SI_JZNS1_25segmented_radix_sort_implINS0_14default_configELb1EPKbPbPKlPlN2at6native12_GLOBAL__N_18offset_tEEE10hipError_tPvRmT1_PNSt15iterator_traitsIS12_E10value_typeET2_T3_PNS13_IS18_E10value_typeET4_jRbjT5_S1E_jjP12ihipStream_tbEUljE_ZNSN_ISO_Lb1ESQ_SR_ST_SU_SY_EESZ_S10_S11_S12_S16_S17_S18_S1B_S1C_jS1D_jS1E_S1E_jjS1G_bEUljE0_EEESZ_S10_S11_S18_S1C_S1E_T6_T7_T9_mT8_S1G_bDpT10_ENKUlT_T0_E_clISt17integral_constantIbLb0EES1T_IbLb1EEEEDaS1P_S1Q_EUlS1P_E_NS1_11comp_targetILNS1_3genE0ELNS1_11target_archE4294967295ELNS1_3gpuE0ELNS1_3repE0EEENS1_30default_config_static_selectorELNS0_4arch9wavefront6targetE0EEEvS12_
                                        ; -- End function
	.set _ZN7rocprim17ROCPRIM_400000_NS6detail17trampoline_kernelINS0_13select_configILj256ELj13ELNS0_17block_load_methodE3ELS4_3ELS4_3ELNS0_20block_scan_algorithmE0ELj4294967295EEENS1_25partition_config_selectorILNS1_17partition_subalgoE4EjNS0_10empty_typeEbEEZZNS1_14partition_implILS8_4ELb0ES6_15HIP_vector_typeIjLj2EENS0_17counting_iteratorIjlEEPS9_SG_NS0_5tupleIJPjSI_NS0_16reverse_iteratorISI_EEEEENSH_IJSG_SG_SG_EEES9_SI_JZNS1_25segmented_radix_sort_implINS0_14default_configELb1EPKbPbPKlPlN2at6native12_GLOBAL__N_18offset_tEEE10hipError_tPvRmT1_PNSt15iterator_traitsIS12_E10value_typeET2_T3_PNS13_IS18_E10value_typeET4_jRbjT5_S1E_jjP12ihipStream_tbEUljE_ZNSN_ISO_Lb1ESQ_SR_ST_SU_SY_EESZ_S10_S11_S12_S16_S17_S18_S1B_S1C_jS1D_jS1E_S1E_jjS1G_bEUljE0_EEESZ_S10_S11_S18_S1C_S1E_T6_T7_T9_mT8_S1G_bDpT10_ENKUlT_T0_E_clISt17integral_constantIbLb0EES1T_IbLb1EEEEDaS1P_S1Q_EUlS1P_E_NS1_11comp_targetILNS1_3genE0ELNS1_11target_archE4294967295ELNS1_3gpuE0ELNS1_3repE0EEENS1_30default_config_static_selectorELNS0_4arch9wavefront6targetE0EEEvS12_.num_vgpr, 86
	.set _ZN7rocprim17ROCPRIM_400000_NS6detail17trampoline_kernelINS0_13select_configILj256ELj13ELNS0_17block_load_methodE3ELS4_3ELS4_3ELNS0_20block_scan_algorithmE0ELj4294967295EEENS1_25partition_config_selectorILNS1_17partition_subalgoE4EjNS0_10empty_typeEbEEZZNS1_14partition_implILS8_4ELb0ES6_15HIP_vector_typeIjLj2EENS0_17counting_iteratorIjlEEPS9_SG_NS0_5tupleIJPjSI_NS0_16reverse_iteratorISI_EEEEENSH_IJSG_SG_SG_EEES9_SI_JZNS1_25segmented_radix_sort_implINS0_14default_configELb1EPKbPbPKlPlN2at6native12_GLOBAL__N_18offset_tEEE10hipError_tPvRmT1_PNSt15iterator_traitsIS12_E10value_typeET2_T3_PNS13_IS18_E10value_typeET4_jRbjT5_S1E_jjP12ihipStream_tbEUljE_ZNSN_ISO_Lb1ESQ_SR_ST_SU_SY_EESZ_S10_S11_S12_S16_S17_S18_S1B_S1C_jS1D_jS1E_S1E_jjS1G_bEUljE0_EEESZ_S10_S11_S18_S1C_S1E_T6_T7_T9_mT8_S1G_bDpT10_ENKUlT_T0_E_clISt17integral_constantIbLb0EES1T_IbLb1EEEEDaS1P_S1Q_EUlS1P_E_NS1_11comp_targetILNS1_3genE0ELNS1_11target_archE4294967295ELNS1_3gpuE0ELNS1_3repE0EEENS1_30default_config_static_selectorELNS0_4arch9wavefront6targetE0EEEvS12_.num_agpr, 0
	.set _ZN7rocprim17ROCPRIM_400000_NS6detail17trampoline_kernelINS0_13select_configILj256ELj13ELNS0_17block_load_methodE3ELS4_3ELS4_3ELNS0_20block_scan_algorithmE0ELj4294967295EEENS1_25partition_config_selectorILNS1_17partition_subalgoE4EjNS0_10empty_typeEbEEZZNS1_14partition_implILS8_4ELb0ES6_15HIP_vector_typeIjLj2EENS0_17counting_iteratorIjlEEPS9_SG_NS0_5tupleIJPjSI_NS0_16reverse_iteratorISI_EEEEENSH_IJSG_SG_SG_EEES9_SI_JZNS1_25segmented_radix_sort_implINS0_14default_configELb1EPKbPbPKlPlN2at6native12_GLOBAL__N_18offset_tEEE10hipError_tPvRmT1_PNSt15iterator_traitsIS12_E10value_typeET2_T3_PNS13_IS18_E10value_typeET4_jRbjT5_S1E_jjP12ihipStream_tbEUljE_ZNSN_ISO_Lb1ESQ_SR_ST_SU_SY_EESZ_S10_S11_S12_S16_S17_S18_S1B_S1C_jS1D_jS1E_S1E_jjS1G_bEUljE0_EEESZ_S10_S11_S18_S1C_S1E_T6_T7_T9_mT8_S1G_bDpT10_ENKUlT_T0_E_clISt17integral_constantIbLb0EES1T_IbLb1EEEEDaS1P_S1Q_EUlS1P_E_NS1_11comp_targetILNS1_3genE0ELNS1_11target_archE4294967295ELNS1_3gpuE0ELNS1_3repE0EEENS1_30default_config_static_selectorELNS0_4arch9wavefront6targetE0EEEvS12_.numbered_sgpr, 55
	.set _ZN7rocprim17ROCPRIM_400000_NS6detail17trampoline_kernelINS0_13select_configILj256ELj13ELNS0_17block_load_methodE3ELS4_3ELS4_3ELNS0_20block_scan_algorithmE0ELj4294967295EEENS1_25partition_config_selectorILNS1_17partition_subalgoE4EjNS0_10empty_typeEbEEZZNS1_14partition_implILS8_4ELb0ES6_15HIP_vector_typeIjLj2EENS0_17counting_iteratorIjlEEPS9_SG_NS0_5tupleIJPjSI_NS0_16reverse_iteratorISI_EEEEENSH_IJSG_SG_SG_EEES9_SI_JZNS1_25segmented_radix_sort_implINS0_14default_configELb1EPKbPbPKlPlN2at6native12_GLOBAL__N_18offset_tEEE10hipError_tPvRmT1_PNSt15iterator_traitsIS12_E10value_typeET2_T3_PNS13_IS18_E10value_typeET4_jRbjT5_S1E_jjP12ihipStream_tbEUljE_ZNSN_ISO_Lb1ESQ_SR_ST_SU_SY_EESZ_S10_S11_S12_S16_S17_S18_S1B_S1C_jS1D_jS1E_S1E_jjS1G_bEUljE0_EEESZ_S10_S11_S18_S1C_S1E_T6_T7_T9_mT8_S1G_bDpT10_ENKUlT_T0_E_clISt17integral_constantIbLb0EES1T_IbLb1EEEEDaS1P_S1Q_EUlS1P_E_NS1_11comp_targetILNS1_3genE0ELNS1_11target_archE4294967295ELNS1_3gpuE0ELNS1_3repE0EEENS1_30default_config_static_selectorELNS0_4arch9wavefront6targetE0EEEvS12_.num_named_barrier, 0
	.set _ZN7rocprim17ROCPRIM_400000_NS6detail17trampoline_kernelINS0_13select_configILj256ELj13ELNS0_17block_load_methodE3ELS4_3ELS4_3ELNS0_20block_scan_algorithmE0ELj4294967295EEENS1_25partition_config_selectorILNS1_17partition_subalgoE4EjNS0_10empty_typeEbEEZZNS1_14partition_implILS8_4ELb0ES6_15HIP_vector_typeIjLj2EENS0_17counting_iteratorIjlEEPS9_SG_NS0_5tupleIJPjSI_NS0_16reverse_iteratorISI_EEEEENSH_IJSG_SG_SG_EEES9_SI_JZNS1_25segmented_radix_sort_implINS0_14default_configELb1EPKbPbPKlPlN2at6native12_GLOBAL__N_18offset_tEEE10hipError_tPvRmT1_PNSt15iterator_traitsIS12_E10value_typeET2_T3_PNS13_IS18_E10value_typeET4_jRbjT5_S1E_jjP12ihipStream_tbEUljE_ZNSN_ISO_Lb1ESQ_SR_ST_SU_SY_EESZ_S10_S11_S12_S16_S17_S18_S1B_S1C_jS1D_jS1E_S1E_jjS1G_bEUljE0_EEESZ_S10_S11_S18_S1C_S1E_T6_T7_T9_mT8_S1G_bDpT10_ENKUlT_T0_E_clISt17integral_constantIbLb0EES1T_IbLb1EEEEDaS1P_S1Q_EUlS1P_E_NS1_11comp_targetILNS1_3genE0ELNS1_11target_archE4294967295ELNS1_3gpuE0ELNS1_3repE0EEENS1_30default_config_static_selectorELNS0_4arch9wavefront6targetE0EEEvS12_.private_seg_size, 0
	.set _ZN7rocprim17ROCPRIM_400000_NS6detail17trampoline_kernelINS0_13select_configILj256ELj13ELNS0_17block_load_methodE3ELS4_3ELS4_3ELNS0_20block_scan_algorithmE0ELj4294967295EEENS1_25partition_config_selectorILNS1_17partition_subalgoE4EjNS0_10empty_typeEbEEZZNS1_14partition_implILS8_4ELb0ES6_15HIP_vector_typeIjLj2EENS0_17counting_iteratorIjlEEPS9_SG_NS0_5tupleIJPjSI_NS0_16reverse_iteratorISI_EEEEENSH_IJSG_SG_SG_EEES9_SI_JZNS1_25segmented_radix_sort_implINS0_14default_configELb1EPKbPbPKlPlN2at6native12_GLOBAL__N_18offset_tEEE10hipError_tPvRmT1_PNSt15iterator_traitsIS12_E10value_typeET2_T3_PNS13_IS18_E10value_typeET4_jRbjT5_S1E_jjP12ihipStream_tbEUljE_ZNSN_ISO_Lb1ESQ_SR_ST_SU_SY_EESZ_S10_S11_S12_S16_S17_S18_S1B_S1C_jS1D_jS1E_S1E_jjS1G_bEUljE0_EEESZ_S10_S11_S18_S1C_S1E_T6_T7_T9_mT8_S1G_bDpT10_ENKUlT_T0_E_clISt17integral_constantIbLb0EES1T_IbLb1EEEEDaS1P_S1Q_EUlS1P_E_NS1_11comp_targetILNS1_3genE0ELNS1_11target_archE4294967295ELNS1_3gpuE0ELNS1_3repE0EEENS1_30default_config_static_selectorELNS0_4arch9wavefront6targetE0EEEvS12_.uses_vcc, 1
	.set _ZN7rocprim17ROCPRIM_400000_NS6detail17trampoline_kernelINS0_13select_configILj256ELj13ELNS0_17block_load_methodE3ELS4_3ELS4_3ELNS0_20block_scan_algorithmE0ELj4294967295EEENS1_25partition_config_selectorILNS1_17partition_subalgoE4EjNS0_10empty_typeEbEEZZNS1_14partition_implILS8_4ELb0ES6_15HIP_vector_typeIjLj2EENS0_17counting_iteratorIjlEEPS9_SG_NS0_5tupleIJPjSI_NS0_16reverse_iteratorISI_EEEEENSH_IJSG_SG_SG_EEES9_SI_JZNS1_25segmented_radix_sort_implINS0_14default_configELb1EPKbPbPKlPlN2at6native12_GLOBAL__N_18offset_tEEE10hipError_tPvRmT1_PNSt15iterator_traitsIS12_E10value_typeET2_T3_PNS13_IS18_E10value_typeET4_jRbjT5_S1E_jjP12ihipStream_tbEUljE_ZNSN_ISO_Lb1ESQ_SR_ST_SU_SY_EESZ_S10_S11_S12_S16_S17_S18_S1B_S1C_jS1D_jS1E_S1E_jjS1G_bEUljE0_EEESZ_S10_S11_S18_S1C_S1E_T6_T7_T9_mT8_S1G_bDpT10_ENKUlT_T0_E_clISt17integral_constantIbLb0EES1T_IbLb1EEEEDaS1P_S1Q_EUlS1P_E_NS1_11comp_targetILNS1_3genE0ELNS1_11target_archE4294967295ELNS1_3gpuE0ELNS1_3repE0EEENS1_30default_config_static_selectorELNS0_4arch9wavefront6targetE0EEEvS12_.uses_flat_scratch, 0
	.set _ZN7rocprim17ROCPRIM_400000_NS6detail17trampoline_kernelINS0_13select_configILj256ELj13ELNS0_17block_load_methodE3ELS4_3ELS4_3ELNS0_20block_scan_algorithmE0ELj4294967295EEENS1_25partition_config_selectorILNS1_17partition_subalgoE4EjNS0_10empty_typeEbEEZZNS1_14partition_implILS8_4ELb0ES6_15HIP_vector_typeIjLj2EENS0_17counting_iteratorIjlEEPS9_SG_NS0_5tupleIJPjSI_NS0_16reverse_iteratorISI_EEEEENSH_IJSG_SG_SG_EEES9_SI_JZNS1_25segmented_radix_sort_implINS0_14default_configELb1EPKbPbPKlPlN2at6native12_GLOBAL__N_18offset_tEEE10hipError_tPvRmT1_PNSt15iterator_traitsIS12_E10value_typeET2_T3_PNS13_IS18_E10value_typeET4_jRbjT5_S1E_jjP12ihipStream_tbEUljE_ZNSN_ISO_Lb1ESQ_SR_ST_SU_SY_EESZ_S10_S11_S12_S16_S17_S18_S1B_S1C_jS1D_jS1E_S1E_jjS1G_bEUljE0_EEESZ_S10_S11_S18_S1C_S1E_T6_T7_T9_mT8_S1G_bDpT10_ENKUlT_T0_E_clISt17integral_constantIbLb0EES1T_IbLb1EEEEDaS1P_S1Q_EUlS1P_E_NS1_11comp_targetILNS1_3genE0ELNS1_11target_archE4294967295ELNS1_3gpuE0ELNS1_3repE0EEENS1_30default_config_static_selectorELNS0_4arch9wavefront6targetE0EEEvS12_.has_dyn_sized_stack, 0
	.set _ZN7rocprim17ROCPRIM_400000_NS6detail17trampoline_kernelINS0_13select_configILj256ELj13ELNS0_17block_load_methodE3ELS4_3ELS4_3ELNS0_20block_scan_algorithmE0ELj4294967295EEENS1_25partition_config_selectorILNS1_17partition_subalgoE4EjNS0_10empty_typeEbEEZZNS1_14partition_implILS8_4ELb0ES6_15HIP_vector_typeIjLj2EENS0_17counting_iteratorIjlEEPS9_SG_NS0_5tupleIJPjSI_NS0_16reverse_iteratorISI_EEEEENSH_IJSG_SG_SG_EEES9_SI_JZNS1_25segmented_radix_sort_implINS0_14default_configELb1EPKbPbPKlPlN2at6native12_GLOBAL__N_18offset_tEEE10hipError_tPvRmT1_PNSt15iterator_traitsIS12_E10value_typeET2_T3_PNS13_IS18_E10value_typeET4_jRbjT5_S1E_jjP12ihipStream_tbEUljE_ZNSN_ISO_Lb1ESQ_SR_ST_SU_SY_EESZ_S10_S11_S12_S16_S17_S18_S1B_S1C_jS1D_jS1E_S1E_jjS1G_bEUljE0_EEESZ_S10_S11_S18_S1C_S1E_T6_T7_T9_mT8_S1G_bDpT10_ENKUlT_T0_E_clISt17integral_constantIbLb0EES1T_IbLb1EEEEDaS1P_S1Q_EUlS1P_E_NS1_11comp_targetILNS1_3genE0ELNS1_11target_archE4294967295ELNS1_3gpuE0ELNS1_3repE0EEENS1_30default_config_static_selectorELNS0_4arch9wavefront6targetE0EEEvS12_.has_recursion, 0
	.set _ZN7rocprim17ROCPRIM_400000_NS6detail17trampoline_kernelINS0_13select_configILj256ELj13ELNS0_17block_load_methodE3ELS4_3ELS4_3ELNS0_20block_scan_algorithmE0ELj4294967295EEENS1_25partition_config_selectorILNS1_17partition_subalgoE4EjNS0_10empty_typeEbEEZZNS1_14partition_implILS8_4ELb0ES6_15HIP_vector_typeIjLj2EENS0_17counting_iteratorIjlEEPS9_SG_NS0_5tupleIJPjSI_NS0_16reverse_iteratorISI_EEEEENSH_IJSG_SG_SG_EEES9_SI_JZNS1_25segmented_radix_sort_implINS0_14default_configELb1EPKbPbPKlPlN2at6native12_GLOBAL__N_18offset_tEEE10hipError_tPvRmT1_PNSt15iterator_traitsIS12_E10value_typeET2_T3_PNS13_IS18_E10value_typeET4_jRbjT5_S1E_jjP12ihipStream_tbEUljE_ZNSN_ISO_Lb1ESQ_SR_ST_SU_SY_EESZ_S10_S11_S12_S16_S17_S18_S1B_S1C_jS1D_jS1E_S1E_jjS1G_bEUljE0_EEESZ_S10_S11_S18_S1C_S1E_T6_T7_T9_mT8_S1G_bDpT10_ENKUlT_T0_E_clISt17integral_constantIbLb0EES1T_IbLb1EEEEDaS1P_S1Q_EUlS1P_E_NS1_11comp_targetILNS1_3genE0ELNS1_11target_archE4294967295ELNS1_3gpuE0ELNS1_3repE0EEENS1_30default_config_static_selectorELNS0_4arch9wavefront6targetE0EEEvS12_.has_indirect_call, 0
	.section	.AMDGPU.csdata,"",@progbits
; Kernel info:
; codeLenInByte = 17828
; TotalNumSgprs: 57
; NumVgprs: 86
; ScratchSize: 0
; MemoryBound: 0
; FloatMode: 240
; IeeeMode: 1
; LDSByteSize: 13328 bytes/workgroup (compile time only)
; SGPRBlocks: 0
; VGPRBlocks: 5
; NumSGPRsForWavesPerEU: 57
; NumVGPRsForWavesPerEU: 86
; NamedBarCnt: 0
; Occupancy: 10
; WaveLimiterHint : 1
; COMPUTE_PGM_RSRC2:SCRATCH_EN: 0
; COMPUTE_PGM_RSRC2:USER_SGPR: 2
; COMPUTE_PGM_RSRC2:TRAP_HANDLER: 0
; COMPUTE_PGM_RSRC2:TGID_X_EN: 1
; COMPUTE_PGM_RSRC2:TGID_Y_EN: 0
; COMPUTE_PGM_RSRC2:TGID_Z_EN: 0
; COMPUTE_PGM_RSRC2:TIDIG_COMP_CNT: 0
	.section	.text._ZN7rocprim17ROCPRIM_400000_NS6detail17trampoline_kernelINS0_13select_configILj256ELj13ELNS0_17block_load_methodE3ELS4_3ELS4_3ELNS0_20block_scan_algorithmE0ELj4294967295EEENS1_25partition_config_selectorILNS1_17partition_subalgoE4EjNS0_10empty_typeEbEEZZNS1_14partition_implILS8_4ELb0ES6_15HIP_vector_typeIjLj2EENS0_17counting_iteratorIjlEEPS9_SG_NS0_5tupleIJPjSI_NS0_16reverse_iteratorISI_EEEEENSH_IJSG_SG_SG_EEES9_SI_JZNS1_25segmented_radix_sort_implINS0_14default_configELb1EPKbPbPKlPlN2at6native12_GLOBAL__N_18offset_tEEE10hipError_tPvRmT1_PNSt15iterator_traitsIS12_E10value_typeET2_T3_PNS13_IS18_E10value_typeET4_jRbjT5_S1E_jjP12ihipStream_tbEUljE_ZNSN_ISO_Lb1ESQ_SR_ST_SU_SY_EESZ_S10_S11_S12_S16_S17_S18_S1B_S1C_jS1D_jS1E_S1E_jjS1G_bEUljE0_EEESZ_S10_S11_S18_S1C_S1E_T6_T7_T9_mT8_S1G_bDpT10_ENKUlT_T0_E_clISt17integral_constantIbLb0EES1T_IbLb1EEEEDaS1P_S1Q_EUlS1P_E_NS1_11comp_targetILNS1_3genE5ELNS1_11target_archE942ELNS1_3gpuE9ELNS1_3repE0EEENS1_30default_config_static_selectorELNS0_4arch9wavefront6targetE0EEEvS12_,"axG",@progbits,_ZN7rocprim17ROCPRIM_400000_NS6detail17trampoline_kernelINS0_13select_configILj256ELj13ELNS0_17block_load_methodE3ELS4_3ELS4_3ELNS0_20block_scan_algorithmE0ELj4294967295EEENS1_25partition_config_selectorILNS1_17partition_subalgoE4EjNS0_10empty_typeEbEEZZNS1_14partition_implILS8_4ELb0ES6_15HIP_vector_typeIjLj2EENS0_17counting_iteratorIjlEEPS9_SG_NS0_5tupleIJPjSI_NS0_16reverse_iteratorISI_EEEEENSH_IJSG_SG_SG_EEES9_SI_JZNS1_25segmented_radix_sort_implINS0_14default_configELb1EPKbPbPKlPlN2at6native12_GLOBAL__N_18offset_tEEE10hipError_tPvRmT1_PNSt15iterator_traitsIS12_E10value_typeET2_T3_PNS13_IS18_E10value_typeET4_jRbjT5_S1E_jjP12ihipStream_tbEUljE_ZNSN_ISO_Lb1ESQ_SR_ST_SU_SY_EESZ_S10_S11_S12_S16_S17_S18_S1B_S1C_jS1D_jS1E_S1E_jjS1G_bEUljE0_EEESZ_S10_S11_S18_S1C_S1E_T6_T7_T9_mT8_S1G_bDpT10_ENKUlT_T0_E_clISt17integral_constantIbLb0EES1T_IbLb1EEEEDaS1P_S1Q_EUlS1P_E_NS1_11comp_targetILNS1_3genE5ELNS1_11target_archE942ELNS1_3gpuE9ELNS1_3repE0EEENS1_30default_config_static_selectorELNS0_4arch9wavefront6targetE0EEEvS12_,comdat
	.globl	_ZN7rocprim17ROCPRIM_400000_NS6detail17trampoline_kernelINS0_13select_configILj256ELj13ELNS0_17block_load_methodE3ELS4_3ELS4_3ELNS0_20block_scan_algorithmE0ELj4294967295EEENS1_25partition_config_selectorILNS1_17partition_subalgoE4EjNS0_10empty_typeEbEEZZNS1_14partition_implILS8_4ELb0ES6_15HIP_vector_typeIjLj2EENS0_17counting_iteratorIjlEEPS9_SG_NS0_5tupleIJPjSI_NS0_16reverse_iteratorISI_EEEEENSH_IJSG_SG_SG_EEES9_SI_JZNS1_25segmented_radix_sort_implINS0_14default_configELb1EPKbPbPKlPlN2at6native12_GLOBAL__N_18offset_tEEE10hipError_tPvRmT1_PNSt15iterator_traitsIS12_E10value_typeET2_T3_PNS13_IS18_E10value_typeET4_jRbjT5_S1E_jjP12ihipStream_tbEUljE_ZNSN_ISO_Lb1ESQ_SR_ST_SU_SY_EESZ_S10_S11_S12_S16_S17_S18_S1B_S1C_jS1D_jS1E_S1E_jjS1G_bEUljE0_EEESZ_S10_S11_S18_S1C_S1E_T6_T7_T9_mT8_S1G_bDpT10_ENKUlT_T0_E_clISt17integral_constantIbLb0EES1T_IbLb1EEEEDaS1P_S1Q_EUlS1P_E_NS1_11comp_targetILNS1_3genE5ELNS1_11target_archE942ELNS1_3gpuE9ELNS1_3repE0EEENS1_30default_config_static_selectorELNS0_4arch9wavefront6targetE0EEEvS12_ ; -- Begin function _ZN7rocprim17ROCPRIM_400000_NS6detail17trampoline_kernelINS0_13select_configILj256ELj13ELNS0_17block_load_methodE3ELS4_3ELS4_3ELNS0_20block_scan_algorithmE0ELj4294967295EEENS1_25partition_config_selectorILNS1_17partition_subalgoE4EjNS0_10empty_typeEbEEZZNS1_14partition_implILS8_4ELb0ES6_15HIP_vector_typeIjLj2EENS0_17counting_iteratorIjlEEPS9_SG_NS0_5tupleIJPjSI_NS0_16reverse_iteratorISI_EEEEENSH_IJSG_SG_SG_EEES9_SI_JZNS1_25segmented_radix_sort_implINS0_14default_configELb1EPKbPbPKlPlN2at6native12_GLOBAL__N_18offset_tEEE10hipError_tPvRmT1_PNSt15iterator_traitsIS12_E10value_typeET2_T3_PNS13_IS18_E10value_typeET4_jRbjT5_S1E_jjP12ihipStream_tbEUljE_ZNSN_ISO_Lb1ESQ_SR_ST_SU_SY_EESZ_S10_S11_S12_S16_S17_S18_S1B_S1C_jS1D_jS1E_S1E_jjS1G_bEUljE0_EEESZ_S10_S11_S18_S1C_S1E_T6_T7_T9_mT8_S1G_bDpT10_ENKUlT_T0_E_clISt17integral_constantIbLb0EES1T_IbLb1EEEEDaS1P_S1Q_EUlS1P_E_NS1_11comp_targetILNS1_3genE5ELNS1_11target_archE942ELNS1_3gpuE9ELNS1_3repE0EEENS1_30default_config_static_selectorELNS0_4arch9wavefront6targetE0EEEvS12_
	.p2align	8
	.type	_ZN7rocprim17ROCPRIM_400000_NS6detail17trampoline_kernelINS0_13select_configILj256ELj13ELNS0_17block_load_methodE3ELS4_3ELS4_3ELNS0_20block_scan_algorithmE0ELj4294967295EEENS1_25partition_config_selectorILNS1_17partition_subalgoE4EjNS0_10empty_typeEbEEZZNS1_14partition_implILS8_4ELb0ES6_15HIP_vector_typeIjLj2EENS0_17counting_iteratorIjlEEPS9_SG_NS0_5tupleIJPjSI_NS0_16reverse_iteratorISI_EEEEENSH_IJSG_SG_SG_EEES9_SI_JZNS1_25segmented_radix_sort_implINS0_14default_configELb1EPKbPbPKlPlN2at6native12_GLOBAL__N_18offset_tEEE10hipError_tPvRmT1_PNSt15iterator_traitsIS12_E10value_typeET2_T3_PNS13_IS18_E10value_typeET4_jRbjT5_S1E_jjP12ihipStream_tbEUljE_ZNSN_ISO_Lb1ESQ_SR_ST_SU_SY_EESZ_S10_S11_S12_S16_S17_S18_S1B_S1C_jS1D_jS1E_S1E_jjS1G_bEUljE0_EEESZ_S10_S11_S18_S1C_S1E_T6_T7_T9_mT8_S1G_bDpT10_ENKUlT_T0_E_clISt17integral_constantIbLb0EES1T_IbLb1EEEEDaS1P_S1Q_EUlS1P_E_NS1_11comp_targetILNS1_3genE5ELNS1_11target_archE942ELNS1_3gpuE9ELNS1_3repE0EEENS1_30default_config_static_selectorELNS0_4arch9wavefront6targetE0EEEvS12_,@function
_ZN7rocprim17ROCPRIM_400000_NS6detail17trampoline_kernelINS0_13select_configILj256ELj13ELNS0_17block_load_methodE3ELS4_3ELS4_3ELNS0_20block_scan_algorithmE0ELj4294967295EEENS1_25partition_config_selectorILNS1_17partition_subalgoE4EjNS0_10empty_typeEbEEZZNS1_14partition_implILS8_4ELb0ES6_15HIP_vector_typeIjLj2EENS0_17counting_iteratorIjlEEPS9_SG_NS0_5tupleIJPjSI_NS0_16reverse_iteratorISI_EEEEENSH_IJSG_SG_SG_EEES9_SI_JZNS1_25segmented_radix_sort_implINS0_14default_configELb1EPKbPbPKlPlN2at6native12_GLOBAL__N_18offset_tEEE10hipError_tPvRmT1_PNSt15iterator_traitsIS12_E10value_typeET2_T3_PNS13_IS18_E10value_typeET4_jRbjT5_S1E_jjP12ihipStream_tbEUljE_ZNSN_ISO_Lb1ESQ_SR_ST_SU_SY_EESZ_S10_S11_S12_S16_S17_S18_S1B_S1C_jS1D_jS1E_S1E_jjS1G_bEUljE0_EEESZ_S10_S11_S18_S1C_S1E_T6_T7_T9_mT8_S1G_bDpT10_ENKUlT_T0_E_clISt17integral_constantIbLb0EES1T_IbLb1EEEEDaS1P_S1Q_EUlS1P_E_NS1_11comp_targetILNS1_3genE5ELNS1_11target_archE942ELNS1_3gpuE9ELNS1_3repE0EEENS1_30default_config_static_selectorELNS0_4arch9wavefront6targetE0EEEvS12_: ; @_ZN7rocprim17ROCPRIM_400000_NS6detail17trampoline_kernelINS0_13select_configILj256ELj13ELNS0_17block_load_methodE3ELS4_3ELS4_3ELNS0_20block_scan_algorithmE0ELj4294967295EEENS1_25partition_config_selectorILNS1_17partition_subalgoE4EjNS0_10empty_typeEbEEZZNS1_14partition_implILS8_4ELb0ES6_15HIP_vector_typeIjLj2EENS0_17counting_iteratorIjlEEPS9_SG_NS0_5tupleIJPjSI_NS0_16reverse_iteratorISI_EEEEENSH_IJSG_SG_SG_EEES9_SI_JZNS1_25segmented_radix_sort_implINS0_14default_configELb1EPKbPbPKlPlN2at6native12_GLOBAL__N_18offset_tEEE10hipError_tPvRmT1_PNSt15iterator_traitsIS12_E10value_typeET2_T3_PNS13_IS18_E10value_typeET4_jRbjT5_S1E_jjP12ihipStream_tbEUljE_ZNSN_ISO_Lb1ESQ_SR_ST_SU_SY_EESZ_S10_S11_S12_S16_S17_S18_S1B_S1C_jS1D_jS1E_S1E_jjS1G_bEUljE0_EEESZ_S10_S11_S18_S1C_S1E_T6_T7_T9_mT8_S1G_bDpT10_ENKUlT_T0_E_clISt17integral_constantIbLb0EES1T_IbLb1EEEEDaS1P_S1Q_EUlS1P_E_NS1_11comp_targetILNS1_3genE5ELNS1_11target_archE942ELNS1_3gpuE9ELNS1_3repE0EEENS1_30default_config_static_selectorELNS0_4arch9wavefront6targetE0EEEvS12_
; %bb.0:
	.section	.rodata,"a",@progbits
	.p2align	6, 0x0
	.amdhsa_kernel _ZN7rocprim17ROCPRIM_400000_NS6detail17trampoline_kernelINS0_13select_configILj256ELj13ELNS0_17block_load_methodE3ELS4_3ELS4_3ELNS0_20block_scan_algorithmE0ELj4294967295EEENS1_25partition_config_selectorILNS1_17partition_subalgoE4EjNS0_10empty_typeEbEEZZNS1_14partition_implILS8_4ELb0ES6_15HIP_vector_typeIjLj2EENS0_17counting_iteratorIjlEEPS9_SG_NS0_5tupleIJPjSI_NS0_16reverse_iteratorISI_EEEEENSH_IJSG_SG_SG_EEES9_SI_JZNS1_25segmented_radix_sort_implINS0_14default_configELb1EPKbPbPKlPlN2at6native12_GLOBAL__N_18offset_tEEE10hipError_tPvRmT1_PNSt15iterator_traitsIS12_E10value_typeET2_T3_PNS13_IS18_E10value_typeET4_jRbjT5_S1E_jjP12ihipStream_tbEUljE_ZNSN_ISO_Lb1ESQ_SR_ST_SU_SY_EESZ_S10_S11_S12_S16_S17_S18_S1B_S1C_jS1D_jS1E_S1E_jjS1G_bEUljE0_EEESZ_S10_S11_S18_S1C_S1E_T6_T7_T9_mT8_S1G_bDpT10_ENKUlT_T0_E_clISt17integral_constantIbLb0EES1T_IbLb1EEEEDaS1P_S1Q_EUlS1P_E_NS1_11comp_targetILNS1_3genE5ELNS1_11target_archE942ELNS1_3gpuE9ELNS1_3repE0EEENS1_30default_config_static_selectorELNS0_4arch9wavefront6targetE0EEEvS12_
		.amdhsa_group_segment_fixed_size 0
		.amdhsa_private_segment_fixed_size 0
		.amdhsa_kernarg_size 184
		.amdhsa_user_sgpr_count 2
		.amdhsa_user_sgpr_dispatch_ptr 0
		.amdhsa_user_sgpr_queue_ptr 0
		.amdhsa_user_sgpr_kernarg_segment_ptr 1
		.amdhsa_user_sgpr_dispatch_id 0
		.amdhsa_user_sgpr_kernarg_preload_length 0
		.amdhsa_user_sgpr_kernarg_preload_offset 0
		.amdhsa_user_sgpr_private_segment_size 0
		.amdhsa_wavefront_size32 1
		.amdhsa_uses_dynamic_stack 0
		.amdhsa_enable_private_segment 0
		.amdhsa_system_sgpr_workgroup_id_x 1
		.amdhsa_system_sgpr_workgroup_id_y 0
		.amdhsa_system_sgpr_workgroup_id_z 0
		.amdhsa_system_sgpr_workgroup_info 0
		.amdhsa_system_vgpr_workitem_id 0
		.amdhsa_next_free_vgpr 1
		.amdhsa_next_free_sgpr 1
		.amdhsa_named_barrier_count 0
		.amdhsa_reserve_vcc 0
		.amdhsa_float_round_mode_32 0
		.amdhsa_float_round_mode_16_64 0
		.amdhsa_float_denorm_mode_32 3
		.amdhsa_float_denorm_mode_16_64 3
		.amdhsa_fp16_overflow 0
		.amdhsa_memory_ordered 1
		.amdhsa_forward_progress 1
		.amdhsa_inst_pref_size 0
		.amdhsa_round_robin_scheduling 0
		.amdhsa_exception_fp_ieee_invalid_op 0
		.amdhsa_exception_fp_denorm_src 0
		.amdhsa_exception_fp_ieee_div_zero 0
		.amdhsa_exception_fp_ieee_overflow 0
		.amdhsa_exception_fp_ieee_underflow 0
		.amdhsa_exception_fp_ieee_inexact 0
		.amdhsa_exception_int_div_zero 0
	.end_amdhsa_kernel
	.section	.text._ZN7rocprim17ROCPRIM_400000_NS6detail17trampoline_kernelINS0_13select_configILj256ELj13ELNS0_17block_load_methodE3ELS4_3ELS4_3ELNS0_20block_scan_algorithmE0ELj4294967295EEENS1_25partition_config_selectorILNS1_17partition_subalgoE4EjNS0_10empty_typeEbEEZZNS1_14partition_implILS8_4ELb0ES6_15HIP_vector_typeIjLj2EENS0_17counting_iteratorIjlEEPS9_SG_NS0_5tupleIJPjSI_NS0_16reverse_iteratorISI_EEEEENSH_IJSG_SG_SG_EEES9_SI_JZNS1_25segmented_radix_sort_implINS0_14default_configELb1EPKbPbPKlPlN2at6native12_GLOBAL__N_18offset_tEEE10hipError_tPvRmT1_PNSt15iterator_traitsIS12_E10value_typeET2_T3_PNS13_IS18_E10value_typeET4_jRbjT5_S1E_jjP12ihipStream_tbEUljE_ZNSN_ISO_Lb1ESQ_SR_ST_SU_SY_EESZ_S10_S11_S12_S16_S17_S18_S1B_S1C_jS1D_jS1E_S1E_jjS1G_bEUljE0_EEESZ_S10_S11_S18_S1C_S1E_T6_T7_T9_mT8_S1G_bDpT10_ENKUlT_T0_E_clISt17integral_constantIbLb0EES1T_IbLb1EEEEDaS1P_S1Q_EUlS1P_E_NS1_11comp_targetILNS1_3genE5ELNS1_11target_archE942ELNS1_3gpuE9ELNS1_3repE0EEENS1_30default_config_static_selectorELNS0_4arch9wavefront6targetE0EEEvS12_,"axG",@progbits,_ZN7rocprim17ROCPRIM_400000_NS6detail17trampoline_kernelINS0_13select_configILj256ELj13ELNS0_17block_load_methodE3ELS4_3ELS4_3ELNS0_20block_scan_algorithmE0ELj4294967295EEENS1_25partition_config_selectorILNS1_17partition_subalgoE4EjNS0_10empty_typeEbEEZZNS1_14partition_implILS8_4ELb0ES6_15HIP_vector_typeIjLj2EENS0_17counting_iteratorIjlEEPS9_SG_NS0_5tupleIJPjSI_NS0_16reverse_iteratorISI_EEEEENSH_IJSG_SG_SG_EEES9_SI_JZNS1_25segmented_radix_sort_implINS0_14default_configELb1EPKbPbPKlPlN2at6native12_GLOBAL__N_18offset_tEEE10hipError_tPvRmT1_PNSt15iterator_traitsIS12_E10value_typeET2_T3_PNS13_IS18_E10value_typeET4_jRbjT5_S1E_jjP12ihipStream_tbEUljE_ZNSN_ISO_Lb1ESQ_SR_ST_SU_SY_EESZ_S10_S11_S12_S16_S17_S18_S1B_S1C_jS1D_jS1E_S1E_jjS1G_bEUljE0_EEESZ_S10_S11_S18_S1C_S1E_T6_T7_T9_mT8_S1G_bDpT10_ENKUlT_T0_E_clISt17integral_constantIbLb0EES1T_IbLb1EEEEDaS1P_S1Q_EUlS1P_E_NS1_11comp_targetILNS1_3genE5ELNS1_11target_archE942ELNS1_3gpuE9ELNS1_3repE0EEENS1_30default_config_static_selectorELNS0_4arch9wavefront6targetE0EEEvS12_,comdat
.Lfunc_end1485:
	.size	_ZN7rocprim17ROCPRIM_400000_NS6detail17trampoline_kernelINS0_13select_configILj256ELj13ELNS0_17block_load_methodE3ELS4_3ELS4_3ELNS0_20block_scan_algorithmE0ELj4294967295EEENS1_25partition_config_selectorILNS1_17partition_subalgoE4EjNS0_10empty_typeEbEEZZNS1_14partition_implILS8_4ELb0ES6_15HIP_vector_typeIjLj2EENS0_17counting_iteratorIjlEEPS9_SG_NS0_5tupleIJPjSI_NS0_16reverse_iteratorISI_EEEEENSH_IJSG_SG_SG_EEES9_SI_JZNS1_25segmented_radix_sort_implINS0_14default_configELb1EPKbPbPKlPlN2at6native12_GLOBAL__N_18offset_tEEE10hipError_tPvRmT1_PNSt15iterator_traitsIS12_E10value_typeET2_T3_PNS13_IS18_E10value_typeET4_jRbjT5_S1E_jjP12ihipStream_tbEUljE_ZNSN_ISO_Lb1ESQ_SR_ST_SU_SY_EESZ_S10_S11_S12_S16_S17_S18_S1B_S1C_jS1D_jS1E_S1E_jjS1G_bEUljE0_EEESZ_S10_S11_S18_S1C_S1E_T6_T7_T9_mT8_S1G_bDpT10_ENKUlT_T0_E_clISt17integral_constantIbLb0EES1T_IbLb1EEEEDaS1P_S1Q_EUlS1P_E_NS1_11comp_targetILNS1_3genE5ELNS1_11target_archE942ELNS1_3gpuE9ELNS1_3repE0EEENS1_30default_config_static_selectorELNS0_4arch9wavefront6targetE0EEEvS12_, .Lfunc_end1485-_ZN7rocprim17ROCPRIM_400000_NS6detail17trampoline_kernelINS0_13select_configILj256ELj13ELNS0_17block_load_methodE3ELS4_3ELS4_3ELNS0_20block_scan_algorithmE0ELj4294967295EEENS1_25partition_config_selectorILNS1_17partition_subalgoE4EjNS0_10empty_typeEbEEZZNS1_14partition_implILS8_4ELb0ES6_15HIP_vector_typeIjLj2EENS0_17counting_iteratorIjlEEPS9_SG_NS0_5tupleIJPjSI_NS0_16reverse_iteratorISI_EEEEENSH_IJSG_SG_SG_EEES9_SI_JZNS1_25segmented_radix_sort_implINS0_14default_configELb1EPKbPbPKlPlN2at6native12_GLOBAL__N_18offset_tEEE10hipError_tPvRmT1_PNSt15iterator_traitsIS12_E10value_typeET2_T3_PNS13_IS18_E10value_typeET4_jRbjT5_S1E_jjP12ihipStream_tbEUljE_ZNSN_ISO_Lb1ESQ_SR_ST_SU_SY_EESZ_S10_S11_S12_S16_S17_S18_S1B_S1C_jS1D_jS1E_S1E_jjS1G_bEUljE0_EEESZ_S10_S11_S18_S1C_S1E_T6_T7_T9_mT8_S1G_bDpT10_ENKUlT_T0_E_clISt17integral_constantIbLb0EES1T_IbLb1EEEEDaS1P_S1Q_EUlS1P_E_NS1_11comp_targetILNS1_3genE5ELNS1_11target_archE942ELNS1_3gpuE9ELNS1_3repE0EEENS1_30default_config_static_selectorELNS0_4arch9wavefront6targetE0EEEvS12_
                                        ; -- End function
	.set _ZN7rocprim17ROCPRIM_400000_NS6detail17trampoline_kernelINS0_13select_configILj256ELj13ELNS0_17block_load_methodE3ELS4_3ELS4_3ELNS0_20block_scan_algorithmE0ELj4294967295EEENS1_25partition_config_selectorILNS1_17partition_subalgoE4EjNS0_10empty_typeEbEEZZNS1_14partition_implILS8_4ELb0ES6_15HIP_vector_typeIjLj2EENS0_17counting_iteratorIjlEEPS9_SG_NS0_5tupleIJPjSI_NS0_16reverse_iteratorISI_EEEEENSH_IJSG_SG_SG_EEES9_SI_JZNS1_25segmented_radix_sort_implINS0_14default_configELb1EPKbPbPKlPlN2at6native12_GLOBAL__N_18offset_tEEE10hipError_tPvRmT1_PNSt15iterator_traitsIS12_E10value_typeET2_T3_PNS13_IS18_E10value_typeET4_jRbjT5_S1E_jjP12ihipStream_tbEUljE_ZNSN_ISO_Lb1ESQ_SR_ST_SU_SY_EESZ_S10_S11_S12_S16_S17_S18_S1B_S1C_jS1D_jS1E_S1E_jjS1G_bEUljE0_EEESZ_S10_S11_S18_S1C_S1E_T6_T7_T9_mT8_S1G_bDpT10_ENKUlT_T0_E_clISt17integral_constantIbLb0EES1T_IbLb1EEEEDaS1P_S1Q_EUlS1P_E_NS1_11comp_targetILNS1_3genE5ELNS1_11target_archE942ELNS1_3gpuE9ELNS1_3repE0EEENS1_30default_config_static_selectorELNS0_4arch9wavefront6targetE0EEEvS12_.num_vgpr, 0
	.set _ZN7rocprim17ROCPRIM_400000_NS6detail17trampoline_kernelINS0_13select_configILj256ELj13ELNS0_17block_load_methodE3ELS4_3ELS4_3ELNS0_20block_scan_algorithmE0ELj4294967295EEENS1_25partition_config_selectorILNS1_17partition_subalgoE4EjNS0_10empty_typeEbEEZZNS1_14partition_implILS8_4ELb0ES6_15HIP_vector_typeIjLj2EENS0_17counting_iteratorIjlEEPS9_SG_NS0_5tupleIJPjSI_NS0_16reverse_iteratorISI_EEEEENSH_IJSG_SG_SG_EEES9_SI_JZNS1_25segmented_radix_sort_implINS0_14default_configELb1EPKbPbPKlPlN2at6native12_GLOBAL__N_18offset_tEEE10hipError_tPvRmT1_PNSt15iterator_traitsIS12_E10value_typeET2_T3_PNS13_IS18_E10value_typeET4_jRbjT5_S1E_jjP12ihipStream_tbEUljE_ZNSN_ISO_Lb1ESQ_SR_ST_SU_SY_EESZ_S10_S11_S12_S16_S17_S18_S1B_S1C_jS1D_jS1E_S1E_jjS1G_bEUljE0_EEESZ_S10_S11_S18_S1C_S1E_T6_T7_T9_mT8_S1G_bDpT10_ENKUlT_T0_E_clISt17integral_constantIbLb0EES1T_IbLb1EEEEDaS1P_S1Q_EUlS1P_E_NS1_11comp_targetILNS1_3genE5ELNS1_11target_archE942ELNS1_3gpuE9ELNS1_3repE0EEENS1_30default_config_static_selectorELNS0_4arch9wavefront6targetE0EEEvS12_.num_agpr, 0
	.set _ZN7rocprim17ROCPRIM_400000_NS6detail17trampoline_kernelINS0_13select_configILj256ELj13ELNS0_17block_load_methodE3ELS4_3ELS4_3ELNS0_20block_scan_algorithmE0ELj4294967295EEENS1_25partition_config_selectorILNS1_17partition_subalgoE4EjNS0_10empty_typeEbEEZZNS1_14partition_implILS8_4ELb0ES6_15HIP_vector_typeIjLj2EENS0_17counting_iteratorIjlEEPS9_SG_NS0_5tupleIJPjSI_NS0_16reverse_iteratorISI_EEEEENSH_IJSG_SG_SG_EEES9_SI_JZNS1_25segmented_radix_sort_implINS0_14default_configELb1EPKbPbPKlPlN2at6native12_GLOBAL__N_18offset_tEEE10hipError_tPvRmT1_PNSt15iterator_traitsIS12_E10value_typeET2_T3_PNS13_IS18_E10value_typeET4_jRbjT5_S1E_jjP12ihipStream_tbEUljE_ZNSN_ISO_Lb1ESQ_SR_ST_SU_SY_EESZ_S10_S11_S12_S16_S17_S18_S1B_S1C_jS1D_jS1E_S1E_jjS1G_bEUljE0_EEESZ_S10_S11_S18_S1C_S1E_T6_T7_T9_mT8_S1G_bDpT10_ENKUlT_T0_E_clISt17integral_constantIbLb0EES1T_IbLb1EEEEDaS1P_S1Q_EUlS1P_E_NS1_11comp_targetILNS1_3genE5ELNS1_11target_archE942ELNS1_3gpuE9ELNS1_3repE0EEENS1_30default_config_static_selectorELNS0_4arch9wavefront6targetE0EEEvS12_.numbered_sgpr, 0
	.set _ZN7rocprim17ROCPRIM_400000_NS6detail17trampoline_kernelINS0_13select_configILj256ELj13ELNS0_17block_load_methodE3ELS4_3ELS4_3ELNS0_20block_scan_algorithmE0ELj4294967295EEENS1_25partition_config_selectorILNS1_17partition_subalgoE4EjNS0_10empty_typeEbEEZZNS1_14partition_implILS8_4ELb0ES6_15HIP_vector_typeIjLj2EENS0_17counting_iteratorIjlEEPS9_SG_NS0_5tupleIJPjSI_NS0_16reverse_iteratorISI_EEEEENSH_IJSG_SG_SG_EEES9_SI_JZNS1_25segmented_radix_sort_implINS0_14default_configELb1EPKbPbPKlPlN2at6native12_GLOBAL__N_18offset_tEEE10hipError_tPvRmT1_PNSt15iterator_traitsIS12_E10value_typeET2_T3_PNS13_IS18_E10value_typeET4_jRbjT5_S1E_jjP12ihipStream_tbEUljE_ZNSN_ISO_Lb1ESQ_SR_ST_SU_SY_EESZ_S10_S11_S12_S16_S17_S18_S1B_S1C_jS1D_jS1E_S1E_jjS1G_bEUljE0_EEESZ_S10_S11_S18_S1C_S1E_T6_T7_T9_mT8_S1G_bDpT10_ENKUlT_T0_E_clISt17integral_constantIbLb0EES1T_IbLb1EEEEDaS1P_S1Q_EUlS1P_E_NS1_11comp_targetILNS1_3genE5ELNS1_11target_archE942ELNS1_3gpuE9ELNS1_3repE0EEENS1_30default_config_static_selectorELNS0_4arch9wavefront6targetE0EEEvS12_.num_named_barrier, 0
	.set _ZN7rocprim17ROCPRIM_400000_NS6detail17trampoline_kernelINS0_13select_configILj256ELj13ELNS0_17block_load_methodE3ELS4_3ELS4_3ELNS0_20block_scan_algorithmE0ELj4294967295EEENS1_25partition_config_selectorILNS1_17partition_subalgoE4EjNS0_10empty_typeEbEEZZNS1_14partition_implILS8_4ELb0ES6_15HIP_vector_typeIjLj2EENS0_17counting_iteratorIjlEEPS9_SG_NS0_5tupleIJPjSI_NS0_16reverse_iteratorISI_EEEEENSH_IJSG_SG_SG_EEES9_SI_JZNS1_25segmented_radix_sort_implINS0_14default_configELb1EPKbPbPKlPlN2at6native12_GLOBAL__N_18offset_tEEE10hipError_tPvRmT1_PNSt15iterator_traitsIS12_E10value_typeET2_T3_PNS13_IS18_E10value_typeET4_jRbjT5_S1E_jjP12ihipStream_tbEUljE_ZNSN_ISO_Lb1ESQ_SR_ST_SU_SY_EESZ_S10_S11_S12_S16_S17_S18_S1B_S1C_jS1D_jS1E_S1E_jjS1G_bEUljE0_EEESZ_S10_S11_S18_S1C_S1E_T6_T7_T9_mT8_S1G_bDpT10_ENKUlT_T0_E_clISt17integral_constantIbLb0EES1T_IbLb1EEEEDaS1P_S1Q_EUlS1P_E_NS1_11comp_targetILNS1_3genE5ELNS1_11target_archE942ELNS1_3gpuE9ELNS1_3repE0EEENS1_30default_config_static_selectorELNS0_4arch9wavefront6targetE0EEEvS12_.private_seg_size, 0
	.set _ZN7rocprim17ROCPRIM_400000_NS6detail17trampoline_kernelINS0_13select_configILj256ELj13ELNS0_17block_load_methodE3ELS4_3ELS4_3ELNS0_20block_scan_algorithmE0ELj4294967295EEENS1_25partition_config_selectorILNS1_17partition_subalgoE4EjNS0_10empty_typeEbEEZZNS1_14partition_implILS8_4ELb0ES6_15HIP_vector_typeIjLj2EENS0_17counting_iteratorIjlEEPS9_SG_NS0_5tupleIJPjSI_NS0_16reverse_iteratorISI_EEEEENSH_IJSG_SG_SG_EEES9_SI_JZNS1_25segmented_radix_sort_implINS0_14default_configELb1EPKbPbPKlPlN2at6native12_GLOBAL__N_18offset_tEEE10hipError_tPvRmT1_PNSt15iterator_traitsIS12_E10value_typeET2_T3_PNS13_IS18_E10value_typeET4_jRbjT5_S1E_jjP12ihipStream_tbEUljE_ZNSN_ISO_Lb1ESQ_SR_ST_SU_SY_EESZ_S10_S11_S12_S16_S17_S18_S1B_S1C_jS1D_jS1E_S1E_jjS1G_bEUljE0_EEESZ_S10_S11_S18_S1C_S1E_T6_T7_T9_mT8_S1G_bDpT10_ENKUlT_T0_E_clISt17integral_constantIbLb0EES1T_IbLb1EEEEDaS1P_S1Q_EUlS1P_E_NS1_11comp_targetILNS1_3genE5ELNS1_11target_archE942ELNS1_3gpuE9ELNS1_3repE0EEENS1_30default_config_static_selectorELNS0_4arch9wavefront6targetE0EEEvS12_.uses_vcc, 0
	.set _ZN7rocprim17ROCPRIM_400000_NS6detail17trampoline_kernelINS0_13select_configILj256ELj13ELNS0_17block_load_methodE3ELS4_3ELS4_3ELNS0_20block_scan_algorithmE0ELj4294967295EEENS1_25partition_config_selectorILNS1_17partition_subalgoE4EjNS0_10empty_typeEbEEZZNS1_14partition_implILS8_4ELb0ES6_15HIP_vector_typeIjLj2EENS0_17counting_iteratorIjlEEPS9_SG_NS0_5tupleIJPjSI_NS0_16reverse_iteratorISI_EEEEENSH_IJSG_SG_SG_EEES9_SI_JZNS1_25segmented_radix_sort_implINS0_14default_configELb1EPKbPbPKlPlN2at6native12_GLOBAL__N_18offset_tEEE10hipError_tPvRmT1_PNSt15iterator_traitsIS12_E10value_typeET2_T3_PNS13_IS18_E10value_typeET4_jRbjT5_S1E_jjP12ihipStream_tbEUljE_ZNSN_ISO_Lb1ESQ_SR_ST_SU_SY_EESZ_S10_S11_S12_S16_S17_S18_S1B_S1C_jS1D_jS1E_S1E_jjS1G_bEUljE0_EEESZ_S10_S11_S18_S1C_S1E_T6_T7_T9_mT8_S1G_bDpT10_ENKUlT_T0_E_clISt17integral_constantIbLb0EES1T_IbLb1EEEEDaS1P_S1Q_EUlS1P_E_NS1_11comp_targetILNS1_3genE5ELNS1_11target_archE942ELNS1_3gpuE9ELNS1_3repE0EEENS1_30default_config_static_selectorELNS0_4arch9wavefront6targetE0EEEvS12_.uses_flat_scratch, 0
	.set _ZN7rocprim17ROCPRIM_400000_NS6detail17trampoline_kernelINS0_13select_configILj256ELj13ELNS0_17block_load_methodE3ELS4_3ELS4_3ELNS0_20block_scan_algorithmE0ELj4294967295EEENS1_25partition_config_selectorILNS1_17partition_subalgoE4EjNS0_10empty_typeEbEEZZNS1_14partition_implILS8_4ELb0ES6_15HIP_vector_typeIjLj2EENS0_17counting_iteratorIjlEEPS9_SG_NS0_5tupleIJPjSI_NS0_16reverse_iteratorISI_EEEEENSH_IJSG_SG_SG_EEES9_SI_JZNS1_25segmented_radix_sort_implINS0_14default_configELb1EPKbPbPKlPlN2at6native12_GLOBAL__N_18offset_tEEE10hipError_tPvRmT1_PNSt15iterator_traitsIS12_E10value_typeET2_T3_PNS13_IS18_E10value_typeET4_jRbjT5_S1E_jjP12ihipStream_tbEUljE_ZNSN_ISO_Lb1ESQ_SR_ST_SU_SY_EESZ_S10_S11_S12_S16_S17_S18_S1B_S1C_jS1D_jS1E_S1E_jjS1G_bEUljE0_EEESZ_S10_S11_S18_S1C_S1E_T6_T7_T9_mT8_S1G_bDpT10_ENKUlT_T0_E_clISt17integral_constantIbLb0EES1T_IbLb1EEEEDaS1P_S1Q_EUlS1P_E_NS1_11comp_targetILNS1_3genE5ELNS1_11target_archE942ELNS1_3gpuE9ELNS1_3repE0EEENS1_30default_config_static_selectorELNS0_4arch9wavefront6targetE0EEEvS12_.has_dyn_sized_stack, 0
	.set _ZN7rocprim17ROCPRIM_400000_NS6detail17trampoline_kernelINS0_13select_configILj256ELj13ELNS0_17block_load_methodE3ELS4_3ELS4_3ELNS0_20block_scan_algorithmE0ELj4294967295EEENS1_25partition_config_selectorILNS1_17partition_subalgoE4EjNS0_10empty_typeEbEEZZNS1_14partition_implILS8_4ELb0ES6_15HIP_vector_typeIjLj2EENS0_17counting_iteratorIjlEEPS9_SG_NS0_5tupleIJPjSI_NS0_16reverse_iteratorISI_EEEEENSH_IJSG_SG_SG_EEES9_SI_JZNS1_25segmented_radix_sort_implINS0_14default_configELb1EPKbPbPKlPlN2at6native12_GLOBAL__N_18offset_tEEE10hipError_tPvRmT1_PNSt15iterator_traitsIS12_E10value_typeET2_T3_PNS13_IS18_E10value_typeET4_jRbjT5_S1E_jjP12ihipStream_tbEUljE_ZNSN_ISO_Lb1ESQ_SR_ST_SU_SY_EESZ_S10_S11_S12_S16_S17_S18_S1B_S1C_jS1D_jS1E_S1E_jjS1G_bEUljE0_EEESZ_S10_S11_S18_S1C_S1E_T6_T7_T9_mT8_S1G_bDpT10_ENKUlT_T0_E_clISt17integral_constantIbLb0EES1T_IbLb1EEEEDaS1P_S1Q_EUlS1P_E_NS1_11comp_targetILNS1_3genE5ELNS1_11target_archE942ELNS1_3gpuE9ELNS1_3repE0EEENS1_30default_config_static_selectorELNS0_4arch9wavefront6targetE0EEEvS12_.has_recursion, 0
	.set _ZN7rocprim17ROCPRIM_400000_NS6detail17trampoline_kernelINS0_13select_configILj256ELj13ELNS0_17block_load_methodE3ELS4_3ELS4_3ELNS0_20block_scan_algorithmE0ELj4294967295EEENS1_25partition_config_selectorILNS1_17partition_subalgoE4EjNS0_10empty_typeEbEEZZNS1_14partition_implILS8_4ELb0ES6_15HIP_vector_typeIjLj2EENS0_17counting_iteratorIjlEEPS9_SG_NS0_5tupleIJPjSI_NS0_16reverse_iteratorISI_EEEEENSH_IJSG_SG_SG_EEES9_SI_JZNS1_25segmented_radix_sort_implINS0_14default_configELb1EPKbPbPKlPlN2at6native12_GLOBAL__N_18offset_tEEE10hipError_tPvRmT1_PNSt15iterator_traitsIS12_E10value_typeET2_T3_PNS13_IS18_E10value_typeET4_jRbjT5_S1E_jjP12ihipStream_tbEUljE_ZNSN_ISO_Lb1ESQ_SR_ST_SU_SY_EESZ_S10_S11_S12_S16_S17_S18_S1B_S1C_jS1D_jS1E_S1E_jjS1G_bEUljE0_EEESZ_S10_S11_S18_S1C_S1E_T6_T7_T9_mT8_S1G_bDpT10_ENKUlT_T0_E_clISt17integral_constantIbLb0EES1T_IbLb1EEEEDaS1P_S1Q_EUlS1P_E_NS1_11comp_targetILNS1_3genE5ELNS1_11target_archE942ELNS1_3gpuE9ELNS1_3repE0EEENS1_30default_config_static_selectorELNS0_4arch9wavefront6targetE0EEEvS12_.has_indirect_call, 0
	.section	.AMDGPU.csdata,"",@progbits
; Kernel info:
; codeLenInByte = 0
; TotalNumSgprs: 0
; NumVgprs: 0
; ScratchSize: 0
; MemoryBound: 0
; FloatMode: 240
; IeeeMode: 1
; LDSByteSize: 0 bytes/workgroup (compile time only)
; SGPRBlocks: 0
; VGPRBlocks: 0
; NumSGPRsForWavesPerEU: 1
; NumVGPRsForWavesPerEU: 1
; NamedBarCnt: 0
; Occupancy: 16
; WaveLimiterHint : 0
; COMPUTE_PGM_RSRC2:SCRATCH_EN: 0
; COMPUTE_PGM_RSRC2:USER_SGPR: 2
; COMPUTE_PGM_RSRC2:TRAP_HANDLER: 0
; COMPUTE_PGM_RSRC2:TGID_X_EN: 1
; COMPUTE_PGM_RSRC2:TGID_Y_EN: 0
; COMPUTE_PGM_RSRC2:TGID_Z_EN: 0
; COMPUTE_PGM_RSRC2:TIDIG_COMP_CNT: 0
	.section	.text._ZN7rocprim17ROCPRIM_400000_NS6detail17trampoline_kernelINS0_13select_configILj256ELj13ELNS0_17block_load_methodE3ELS4_3ELS4_3ELNS0_20block_scan_algorithmE0ELj4294967295EEENS1_25partition_config_selectorILNS1_17partition_subalgoE4EjNS0_10empty_typeEbEEZZNS1_14partition_implILS8_4ELb0ES6_15HIP_vector_typeIjLj2EENS0_17counting_iteratorIjlEEPS9_SG_NS0_5tupleIJPjSI_NS0_16reverse_iteratorISI_EEEEENSH_IJSG_SG_SG_EEES9_SI_JZNS1_25segmented_radix_sort_implINS0_14default_configELb1EPKbPbPKlPlN2at6native12_GLOBAL__N_18offset_tEEE10hipError_tPvRmT1_PNSt15iterator_traitsIS12_E10value_typeET2_T3_PNS13_IS18_E10value_typeET4_jRbjT5_S1E_jjP12ihipStream_tbEUljE_ZNSN_ISO_Lb1ESQ_SR_ST_SU_SY_EESZ_S10_S11_S12_S16_S17_S18_S1B_S1C_jS1D_jS1E_S1E_jjS1G_bEUljE0_EEESZ_S10_S11_S18_S1C_S1E_T6_T7_T9_mT8_S1G_bDpT10_ENKUlT_T0_E_clISt17integral_constantIbLb0EES1T_IbLb1EEEEDaS1P_S1Q_EUlS1P_E_NS1_11comp_targetILNS1_3genE4ELNS1_11target_archE910ELNS1_3gpuE8ELNS1_3repE0EEENS1_30default_config_static_selectorELNS0_4arch9wavefront6targetE0EEEvS12_,"axG",@progbits,_ZN7rocprim17ROCPRIM_400000_NS6detail17trampoline_kernelINS0_13select_configILj256ELj13ELNS0_17block_load_methodE3ELS4_3ELS4_3ELNS0_20block_scan_algorithmE0ELj4294967295EEENS1_25partition_config_selectorILNS1_17partition_subalgoE4EjNS0_10empty_typeEbEEZZNS1_14partition_implILS8_4ELb0ES6_15HIP_vector_typeIjLj2EENS0_17counting_iteratorIjlEEPS9_SG_NS0_5tupleIJPjSI_NS0_16reverse_iteratorISI_EEEEENSH_IJSG_SG_SG_EEES9_SI_JZNS1_25segmented_radix_sort_implINS0_14default_configELb1EPKbPbPKlPlN2at6native12_GLOBAL__N_18offset_tEEE10hipError_tPvRmT1_PNSt15iterator_traitsIS12_E10value_typeET2_T3_PNS13_IS18_E10value_typeET4_jRbjT5_S1E_jjP12ihipStream_tbEUljE_ZNSN_ISO_Lb1ESQ_SR_ST_SU_SY_EESZ_S10_S11_S12_S16_S17_S18_S1B_S1C_jS1D_jS1E_S1E_jjS1G_bEUljE0_EEESZ_S10_S11_S18_S1C_S1E_T6_T7_T9_mT8_S1G_bDpT10_ENKUlT_T0_E_clISt17integral_constantIbLb0EES1T_IbLb1EEEEDaS1P_S1Q_EUlS1P_E_NS1_11comp_targetILNS1_3genE4ELNS1_11target_archE910ELNS1_3gpuE8ELNS1_3repE0EEENS1_30default_config_static_selectorELNS0_4arch9wavefront6targetE0EEEvS12_,comdat
	.globl	_ZN7rocprim17ROCPRIM_400000_NS6detail17trampoline_kernelINS0_13select_configILj256ELj13ELNS0_17block_load_methodE3ELS4_3ELS4_3ELNS0_20block_scan_algorithmE0ELj4294967295EEENS1_25partition_config_selectorILNS1_17partition_subalgoE4EjNS0_10empty_typeEbEEZZNS1_14partition_implILS8_4ELb0ES6_15HIP_vector_typeIjLj2EENS0_17counting_iteratorIjlEEPS9_SG_NS0_5tupleIJPjSI_NS0_16reverse_iteratorISI_EEEEENSH_IJSG_SG_SG_EEES9_SI_JZNS1_25segmented_radix_sort_implINS0_14default_configELb1EPKbPbPKlPlN2at6native12_GLOBAL__N_18offset_tEEE10hipError_tPvRmT1_PNSt15iterator_traitsIS12_E10value_typeET2_T3_PNS13_IS18_E10value_typeET4_jRbjT5_S1E_jjP12ihipStream_tbEUljE_ZNSN_ISO_Lb1ESQ_SR_ST_SU_SY_EESZ_S10_S11_S12_S16_S17_S18_S1B_S1C_jS1D_jS1E_S1E_jjS1G_bEUljE0_EEESZ_S10_S11_S18_S1C_S1E_T6_T7_T9_mT8_S1G_bDpT10_ENKUlT_T0_E_clISt17integral_constantIbLb0EES1T_IbLb1EEEEDaS1P_S1Q_EUlS1P_E_NS1_11comp_targetILNS1_3genE4ELNS1_11target_archE910ELNS1_3gpuE8ELNS1_3repE0EEENS1_30default_config_static_selectorELNS0_4arch9wavefront6targetE0EEEvS12_ ; -- Begin function _ZN7rocprim17ROCPRIM_400000_NS6detail17trampoline_kernelINS0_13select_configILj256ELj13ELNS0_17block_load_methodE3ELS4_3ELS4_3ELNS0_20block_scan_algorithmE0ELj4294967295EEENS1_25partition_config_selectorILNS1_17partition_subalgoE4EjNS0_10empty_typeEbEEZZNS1_14partition_implILS8_4ELb0ES6_15HIP_vector_typeIjLj2EENS0_17counting_iteratorIjlEEPS9_SG_NS0_5tupleIJPjSI_NS0_16reverse_iteratorISI_EEEEENSH_IJSG_SG_SG_EEES9_SI_JZNS1_25segmented_radix_sort_implINS0_14default_configELb1EPKbPbPKlPlN2at6native12_GLOBAL__N_18offset_tEEE10hipError_tPvRmT1_PNSt15iterator_traitsIS12_E10value_typeET2_T3_PNS13_IS18_E10value_typeET4_jRbjT5_S1E_jjP12ihipStream_tbEUljE_ZNSN_ISO_Lb1ESQ_SR_ST_SU_SY_EESZ_S10_S11_S12_S16_S17_S18_S1B_S1C_jS1D_jS1E_S1E_jjS1G_bEUljE0_EEESZ_S10_S11_S18_S1C_S1E_T6_T7_T9_mT8_S1G_bDpT10_ENKUlT_T0_E_clISt17integral_constantIbLb0EES1T_IbLb1EEEEDaS1P_S1Q_EUlS1P_E_NS1_11comp_targetILNS1_3genE4ELNS1_11target_archE910ELNS1_3gpuE8ELNS1_3repE0EEENS1_30default_config_static_selectorELNS0_4arch9wavefront6targetE0EEEvS12_
	.p2align	8
	.type	_ZN7rocprim17ROCPRIM_400000_NS6detail17trampoline_kernelINS0_13select_configILj256ELj13ELNS0_17block_load_methodE3ELS4_3ELS4_3ELNS0_20block_scan_algorithmE0ELj4294967295EEENS1_25partition_config_selectorILNS1_17partition_subalgoE4EjNS0_10empty_typeEbEEZZNS1_14partition_implILS8_4ELb0ES6_15HIP_vector_typeIjLj2EENS0_17counting_iteratorIjlEEPS9_SG_NS0_5tupleIJPjSI_NS0_16reverse_iteratorISI_EEEEENSH_IJSG_SG_SG_EEES9_SI_JZNS1_25segmented_radix_sort_implINS0_14default_configELb1EPKbPbPKlPlN2at6native12_GLOBAL__N_18offset_tEEE10hipError_tPvRmT1_PNSt15iterator_traitsIS12_E10value_typeET2_T3_PNS13_IS18_E10value_typeET4_jRbjT5_S1E_jjP12ihipStream_tbEUljE_ZNSN_ISO_Lb1ESQ_SR_ST_SU_SY_EESZ_S10_S11_S12_S16_S17_S18_S1B_S1C_jS1D_jS1E_S1E_jjS1G_bEUljE0_EEESZ_S10_S11_S18_S1C_S1E_T6_T7_T9_mT8_S1G_bDpT10_ENKUlT_T0_E_clISt17integral_constantIbLb0EES1T_IbLb1EEEEDaS1P_S1Q_EUlS1P_E_NS1_11comp_targetILNS1_3genE4ELNS1_11target_archE910ELNS1_3gpuE8ELNS1_3repE0EEENS1_30default_config_static_selectorELNS0_4arch9wavefront6targetE0EEEvS12_,@function
_ZN7rocprim17ROCPRIM_400000_NS6detail17trampoline_kernelINS0_13select_configILj256ELj13ELNS0_17block_load_methodE3ELS4_3ELS4_3ELNS0_20block_scan_algorithmE0ELj4294967295EEENS1_25partition_config_selectorILNS1_17partition_subalgoE4EjNS0_10empty_typeEbEEZZNS1_14partition_implILS8_4ELb0ES6_15HIP_vector_typeIjLj2EENS0_17counting_iteratorIjlEEPS9_SG_NS0_5tupleIJPjSI_NS0_16reverse_iteratorISI_EEEEENSH_IJSG_SG_SG_EEES9_SI_JZNS1_25segmented_radix_sort_implINS0_14default_configELb1EPKbPbPKlPlN2at6native12_GLOBAL__N_18offset_tEEE10hipError_tPvRmT1_PNSt15iterator_traitsIS12_E10value_typeET2_T3_PNS13_IS18_E10value_typeET4_jRbjT5_S1E_jjP12ihipStream_tbEUljE_ZNSN_ISO_Lb1ESQ_SR_ST_SU_SY_EESZ_S10_S11_S12_S16_S17_S18_S1B_S1C_jS1D_jS1E_S1E_jjS1G_bEUljE0_EEESZ_S10_S11_S18_S1C_S1E_T6_T7_T9_mT8_S1G_bDpT10_ENKUlT_T0_E_clISt17integral_constantIbLb0EES1T_IbLb1EEEEDaS1P_S1Q_EUlS1P_E_NS1_11comp_targetILNS1_3genE4ELNS1_11target_archE910ELNS1_3gpuE8ELNS1_3repE0EEENS1_30default_config_static_selectorELNS0_4arch9wavefront6targetE0EEEvS12_: ; @_ZN7rocprim17ROCPRIM_400000_NS6detail17trampoline_kernelINS0_13select_configILj256ELj13ELNS0_17block_load_methodE3ELS4_3ELS4_3ELNS0_20block_scan_algorithmE0ELj4294967295EEENS1_25partition_config_selectorILNS1_17partition_subalgoE4EjNS0_10empty_typeEbEEZZNS1_14partition_implILS8_4ELb0ES6_15HIP_vector_typeIjLj2EENS0_17counting_iteratorIjlEEPS9_SG_NS0_5tupleIJPjSI_NS0_16reverse_iteratorISI_EEEEENSH_IJSG_SG_SG_EEES9_SI_JZNS1_25segmented_radix_sort_implINS0_14default_configELb1EPKbPbPKlPlN2at6native12_GLOBAL__N_18offset_tEEE10hipError_tPvRmT1_PNSt15iterator_traitsIS12_E10value_typeET2_T3_PNS13_IS18_E10value_typeET4_jRbjT5_S1E_jjP12ihipStream_tbEUljE_ZNSN_ISO_Lb1ESQ_SR_ST_SU_SY_EESZ_S10_S11_S12_S16_S17_S18_S1B_S1C_jS1D_jS1E_S1E_jjS1G_bEUljE0_EEESZ_S10_S11_S18_S1C_S1E_T6_T7_T9_mT8_S1G_bDpT10_ENKUlT_T0_E_clISt17integral_constantIbLb0EES1T_IbLb1EEEEDaS1P_S1Q_EUlS1P_E_NS1_11comp_targetILNS1_3genE4ELNS1_11target_archE910ELNS1_3gpuE8ELNS1_3repE0EEENS1_30default_config_static_selectorELNS0_4arch9wavefront6targetE0EEEvS12_
; %bb.0:
	.section	.rodata,"a",@progbits
	.p2align	6, 0x0
	.amdhsa_kernel _ZN7rocprim17ROCPRIM_400000_NS6detail17trampoline_kernelINS0_13select_configILj256ELj13ELNS0_17block_load_methodE3ELS4_3ELS4_3ELNS0_20block_scan_algorithmE0ELj4294967295EEENS1_25partition_config_selectorILNS1_17partition_subalgoE4EjNS0_10empty_typeEbEEZZNS1_14partition_implILS8_4ELb0ES6_15HIP_vector_typeIjLj2EENS0_17counting_iteratorIjlEEPS9_SG_NS0_5tupleIJPjSI_NS0_16reverse_iteratorISI_EEEEENSH_IJSG_SG_SG_EEES9_SI_JZNS1_25segmented_radix_sort_implINS0_14default_configELb1EPKbPbPKlPlN2at6native12_GLOBAL__N_18offset_tEEE10hipError_tPvRmT1_PNSt15iterator_traitsIS12_E10value_typeET2_T3_PNS13_IS18_E10value_typeET4_jRbjT5_S1E_jjP12ihipStream_tbEUljE_ZNSN_ISO_Lb1ESQ_SR_ST_SU_SY_EESZ_S10_S11_S12_S16_S17_S18_S1B_S1C_jS1D_jS1E_S1E_jjS1G_bEUljE0_EEESZ_S10_S11_S18_S1C_S1E_T6_T7_T9_mT8_S1G_bDpT10_ENKUlT_T0_E_clISt17integral_constantIbLb0EES1T_IbLb1EEEEDaS1P_S1Q_EUlS1P_E_NS1_11comp_targetILNS1_3genE4ELNS1_11target_archE910ELNS1_3gpuE8ELNS1_3repE0EEENS1_30default_config_static_selectorELNS0_4arch9wavefront6targetE0EEEvS12_
		.amdhsa_group_segment_fixed_size 0
		.amdhsa_private_segment_fixed_size 0
		.amdhsa_kernarg_size 184
		.amdhsa_user_sgpr_count 2
		.amdhsa_user_sgpr_dispatch_ptr 0
		.amdhsa_user_sgpr_queue_ptr 0
		.amdhsa_user_sgpr_kernarg_segment_ptr 1
		.amdhsa_user_sgpr_dispatch_id 0
		.amdhsa_user_sgpr_kernarg_preload_length 0
		.amdhsa_user_sgpr_kernarg_preload_offset 0
		.amdhsa_user_sgpr_private_segment_size 0
		.amdhsa_wavefront_size32 1
		.amdhsa_uses_dynamic_stack 0
		.amdhsa_enable_private_segment 0
		.amdhsa_system_sgpr_workgroup_id_x 1
		.amdhsa_system_sgpr_workgroup_id_y 0
		.amdhsa_system_sgpr_workgroup_id_z 0
		.amdhsa_system_sgpr_workgroup_info 0
		.amdhsa_system_vgpr_workitem_id 0
		.amdhsa_next_free_vgpr 1
		.amdhsa_next_free_sgpr 1
		.amdhsa_named_barrier_count 0
		.amdhsa_reserve_vcc 0
		.amdhsa_float_round_mode_32 0
		.amdhsa_float_round_mode_16_64 0
		.amdhsa_float_denorm_mode_32 3
		.amdhsa_float_denorm_mode_16_64 3
		.amdhsa_fp16_overflow 0
		.amdhsa_memory_ordered 1
		.amdhsa_forward_progress 1
		.amdhsa_inst_pref_size 0
		.amdhsa_round_robin_scheduling 0
		.amdhsa_exception_fp_ieee_invalid_op 0
		.amdhsa_exception_fp_denorm_src 0
		.amdhsa_exception_fp_ieee_div_zero 0
		.amdhsa_exception_fp_ieee_overflow 0
		.amdhsa_exception_fp_ieee_underflow 0
		.amdhsa_exception_fp_ieee_inexact 0
		.amdhsa_exception_int_div_zero 0
	.end_amdhsa_kernel
	.section	.text._ZN7rocprim17ROCPRIM_400000_NS6detail17trampoline_kernelINS0_13select_configILj256ELj13ELNS0_17block_load_methodE3ELS4_3ELS4_3ELNS0_20block_scan_algorithmE0ELj4294967295EEENS1_25partition_config_selectorILNS1_17partition_subalgoE4EjNS0_10empty_typeEbEEZZNS1_14partition_implILS8_4ELb0ES6_15HIP_vector_typeIjLj2EENS0_17counting_iteratorIjlEEPS9_SG_NS0_5tupleIJPjSI_NS0_16reverse_iteratorISI_EEEEENSH_IJSG_SG_SG_EEES9_SI_JZNS1_25segmented_radix_sort_implINS0_14default_configELb1EPKbPbPKlPlN2at6native12_GLOBAL__N_18offset_tEEE10hipError_tPvRmT1_PNSt15iterator_traitsIS12_E10value_typeET2_T3_PNS13_IS18_E10value_typeET4_jRbjT5_S1E_jjP12ihipStream_tbEUljE_ZNSN_ISO_Lb1ESQ_SR_ST_SU_SY_EESZ_S10_S11_S12_S16_S17_S18_S1B_S1C_jS1D_jS1E_S1E_jjS1G_bEUljE0_EEESZ_S10_S11_S18_S1C_S1E_T6_T7_T9_mT8_S1G_bDpT10_ENKUlT_T0_E_clISt17integral_constantIbLb0EES1T_IbLb1EEEEDaS1P_S1Q_EUlS1P_E_NS1_11comp_targetILNS1_3genE4ELNS1_11target_archE910ELNS1_3gpuE8ELNS1_3repE0EEENS1_30default_config_static_selectorELNS0_4arch9wavefront6targetE0EEEvS12_,"axG",@progbits,_ZN7rocprim17ROCPRIM_400000_NS6detail17trampoline_kernelINS0_13select_configILj256ELj13ELNS0_17block_load_methodE3ELS4_3ELS4_3ELNS0_20block_scan_algorithmE0ELj4294967295EEENS1_25partition_config_selectorILNS1_17partition_subalgoE4EjNS0_10empty_typeEbEEZZNS1_14partition_implILS8_4ELb0ES6_15HIP_vector_typeIjLj2EENS0_17counting_iteratorIjlEEPS9_SG_NS0_5tupleIJPjSI_NS0_16reverse_iteratorISI_EEEEENSH_IJSG_SG_SG_EEES9_SI_JZNS1_25segmented_radix_sort_implINS0_14default_configELb1EPKbPbPKlPlN2at6native12_GLOBAL__N_18offset_tEEE10hipError_tPvRmT1_PNSt15iterator_traitsIS12_E10value_typeET2_T3_PNS13_IS18_E10value_typeET4_jRbjT5_S1E_jjP12ihipStream_tbEUljE_ZNSN_ISO_Lb1ESQ_SR_ST_SU_SY_EESZ_S10_S11_S12_S16_S17_S18_S1B_S1C_jS1D_jS1E_S1E_jjS1G_bEUljE0_EEESZ_S10_S11_S18_S1C_S1E_T6_T7_T9_mT8_S1G_bDpT10_ENKUlT_T0_E_clISt17integral_constantIbLb0EES1T_IbLb1EEEEDaS1P_S1Q_EUlS1P_E_NS1_11comp_targetILNS1_3genE4ELNS1_11target_archE910ELNS1_3gpuE8ELNS1_3repE0EEENS1_30default_config_static_selectorELNS0_4arch9wavefront6targetE0EEEvS12_,comdat
.Lfunc_end1486:
	.size	_ZN7rocprim17ROCPRIM_400000_NS6detail17trampoline_kernelINS0_13select_configILj256ELj13ELNS0_17block_load_methodE3ELS4_3ELS4_3ELNS0_20block_scan_algorithmE0ELj4294967295EEENS1_25partition_config_selectorILNS1_17partition_subalgoE4EjNS0_10empty_typeEbEEZZNS1_14partition_implILS8_4ELb0ES6_15HIP_vector_typeIjLj2EENS0_17counting_iteratorIjlEEPS9_SG_NS0_5tupleIJPjSI_NS0_16reverse_iteratorISI_EEEEENSH_IJSG_SG_SG_EEES9_SI_JZNS1_25segmented_radix_sort_implINS0_14default_configELb1EPKbPbPKlPlN2at6native12_GLOBAL__N_18offset_tEEE10hipError_tPvRmT1_PNSt15iterator_traitsIS12_E10value_typeET2_T3_PNS13_IS18_E10value_typeET4_jRbjT5_S1E_jjP12ihipStream_tbEUljE_ZNSN_ISO_Lb1ESQ_SR_ST_SU_SY_EESZ_S10_S11_S12_S16_S17_S18_S1B_S1C_jS1D_jS1E_S1E_jjS1G_bEUljE0_EEESZ_S10_S11_S18_S1C_S1E_T6_T7_T9_mT8_S1G_bDpT10_ENKUlT_T0_E_clISt17integral_constantIbLb0EES1T_IbLb1EEEEDaS1P_S1Q_EUlS1P_E_NS1_11comp_targetILNS1_3genE4ELNS1_11target_archE910ELNS1_3gpuE8ELNS1_3repE0EEENS1_30default_config_static_selectorELNS0_4arch9wavefront6targetE0EEEvS12_, .Lfunc_end1486-_ZN7rocprim17ROCPRIM_400000_NS6detail17trampoline_kernelINS0_13select_configILj256ELj13ELNS0_17block_load_methodE3ELS4_3ELS4_3ELNS0_20block_scan_algorithmE0ELj4294967295EEENS1_25partition_config_selectorILNS1_17partition_subalgoE4EjNS0_10empty_typeEbEEZZNS1_14partition_implILS8_4ELb0ES6_15HIP_vector_typeIjLj2EENS0_17counting_iteratorIjlEEPS9_SG_NS0_5tupleIJPjSI_NS0_16reverse_iteratorISI_EEEEENSH_IJSG_SG_SG_EEES9_SI_JZNS1_25segmented_radix_sort_implINS0_14default_configELb1EPKbPbPKlPlN2at6native12_GLOBAL__N_18offset_tEEE10hipError_tPvRmT1_PNSt15iterator_traitsIS12_E10value_typeET2_T3_PNS13_IS18_E10value_typeET4_jRbjT5_S1E_jjP12ihipStream_tbEUljE_ZNSN_ISO_Lb1ESQ_SR_ST_SU_SY_EESZ_S10_S11_S12_S16_S17_S18_S1B_S1C_jS1D_jS1E_S1E_jjS1G_bEUljE0_EEESZ_S10_S11_S18_S1C_S1E_T6_T7_T9_mT8_S1G_bDpT10_ENKUlT_T0_E_clISt17integral_constantIbLb0EES1T_IbLb1EEEEDaS1P_S1Q_EUlS1P_E_NS1_11comp_targetILNS1_3genE4ELNS1_11target_archE910ELNS1_3gpuE8ELNS1_3repE0EEENS1_30default_config_static_selectorELNS0_4arch9wavefront6targetE0EEEvS12_
                                        ; -- End function
	.set _ZN7rocprim17ROCPRIM_400000_NS6detail17trampoline_kernelINS0_13select_configILj256ELj13ELNS0_17block_load_methodE3ELS4_3ELS4_3ELNS0_20block_scan_algorithmE0ELj4294967295EEENS1_25partition_config_selectorILNS1_17partition_subalgoE4EjNS0_10empty_typeEbEEZZNS1_14partition_implILS8_4ELb0ES6_15HIP_vector_typeIjLj2EENS0_17counting_iteratorIjlEEPS9_SG_NS0_5tupleIJPjSI_NS0_16reverse_iteratorISI_EEEEENSH_IJSG_SG_SG_EEES9_SI_JZNS1_25segmented_radix_sort_implINS0_14default_configELb1EPKbPbPKlPlN2at6native12_GLOBAL__N_18offset_tEEE10hipError_tPvRmT1_PNSt15iterator_traitsIS12_E10value_typeET2_T3_PNS13_IS18_E10value_typeET4_jRbjT5_S1E_jjP12ihipStream_tbEUljE_ZNSN_ISO_Lb1ESQ_SR_ST_SU_SY_EESZ_S10_S11_S12_S16_S17_S18_S1B_S1C_jS1D_jS1E_S1E_jjS1G_bEUljE0_EEESZ_S10_S11_S18_S1C_S1E_T6_T7_T9_mT8_S1G_bDpT10_ENKUlT_T0_E_clISt17integral_constantIbLb0EES1T_IbLb1EEEEDaS1P_S1Q_EUlS1P_E_NS1_11comp_targetILNS1_3genE4ELNS1_11target_archE910ELNS1_3gpuE8ELNS1_3repE0EEENS1_30default_config_static_selectorELNS0_4arch9wavefront6targetE0EEEvS12_.num_vgpr, 0
	.set _ZN7rocprim17ROCPRIM_400000_NS6detail17trampoline_kernelINS0_13select_configILj256ELj13ELNS0_17block_load_methodE3ELS4_3ELS4_3ELNS0_20block_scan_algorithmE0ELj4294967295EEENS1_25partition_config_selectorILNS1_17partition_subalgoE4EjNS0_10empty_typeEbEEZZNS1_14partition_implILS8_4ELb0ES6_15HIP_vector_typeIjLj2EENS0_17counting_iteratorIjlEEPS9_SG_NS0_5tupleIJPjSI_NS0_16reverse_iteratorISI_EEEEENSH_IJSG_SG_SG_EEES9_SI_JZNS1_25segmented_radix_sort_implINS0_14default_configELb1EPKbPbPKlPlN2at6native12_GLOBAL__N_18offset_tEEE10hipError_tPvRmT1_PNSt15iterator_traitsIS12_E10value_typeET2_T3_PNS13_IS18_E10value_typeET4_jRbjT5_S1E_jjP12ihipStream_tbEUljE_ZNSN_ISO_Lb1ESQ_SR_ST_SU_SY_EESZ_S10_S11_S12_S16_S17_S18_S1B_S1C_jS1D_jS1E_S1E_jjS1G_bEUljE0_EEESZ_S10_S11_S18_S1C_S1E_T6_T7_T9_mT8_S1G_bDpT10_ENKUlT_T0_E_clISt17integral_constantIbLb0EES1T_IbLb1EEEEDaS1P_S1Q_EUlS1P_E_NS1_11comp_targetILNS1_3genE4ELNS1_11target_archE910ELNS1_3gpuE8ELNS1_3repE0EEENS1_30default_config_static_selectorELNS0_4arch9wavefront6targetE0EEEvS12_.num_agpr, 0
	.set _ZN7rocprim17ROCPRIM_400000_NS6detail17trampoline_kernelINS0_13select_configILj256ELj13ELNS0_17block_load_methodE3ELS4_3ELS4_3ELNS0_20block_scan_algorithmE0ELj4294967295EEENS1_25partition_config_selectorILNS1_17partition_subalgoE4EjNS0_10empty_typeEbEEZZNS1_14partition_implILS8_4ELb0ES6_15HIP_vector_typeIjLj2EENS0_17counting_iteratorIjlEEPS9_SG_NS0_5tupleIJPjSI_NS0_16reverse_iteratorISI_EEEEENSH_IJSG_SG_SG_EEES9_SI_JZNS1_25segmented_radix_sort_implINS0_14default_configELb1EPKbPbPKlPlN2at6native12_GLOBAL__N_18offset_tEEE10hipError_tPvRmT1_PNSt15iterator_traitsIS12_E10value_typeET2_T3_PNS13_IS18_E10value_typeET4_jRbjT5_S1E_jjP12ihipStream_tbEUljE_ZNSN_ISO_Lb1ESQ_SR_ST_SU_SY_EESZ_S10_S11_S12_S16_S17_S18_S1B_S1C_jS1D_jS1E_S1E_jjS1G_bEUljE0_EEESZ_S10_S11_S18_S1C_S1E_T6_T7_T9_mT8_S1G_bDpT10_ENKUlT_T0_E_clISt17integral_constantIbLb0EES1T_IbLb1EEEEDaS1P_S1Q_EUlS1P_E_NS1_11comp_targetILNS1_3genE4ELNS1_11target_archE910ELNS1_3gpuE8ELNS1_3repE0EEENS1_30default_config_static_selectorELNS0_4arch9wavefront6targetE0EEEvS12_.numbered_sgpr, 0
	.set _ZN7rocprim17ROCPRIM_400000_NS6detail17trampoline_kernelINS0_13select_configILj256ELj13ELNS0_17block_load_methodE3ELS4_3ELS4_3ELNS0_20block_scan_algorithmE0ELj4294967295EEENS1_25partition_config_selectorILNS1_17partition_subalgoE4EjNS0_10empty_typeEbEEZZNS1_14partition_implILS8_4ELb0ES6_15HIP_vector_typeIjLj2EENS0_17counting_iteratorIjlEEPS9_SG_NS0_5tupleIJPjSI_NS0_16reverse_iteratorISI_EEEEENSH_IJSG_SG_SG_EEES9_SI_JZNS1_25segmented_radix_sort_implINS0_14default_configELb1EPKbPbPKlPlN2at6native12_GLOBAL__N_18offset_tEEE10hipError_tPvRmT1_PNSt15iterator_traitsIS12_E10value_typeET2_T3_PNS13_IS18_E10value_typeET4_jRbjT5_S1E_jjP12ihipStream_tbEUljE_ZNSN_ISO_Lb1ESQ_SR_ST_SU_SY_EESZ_S10_S11_S12_S16_S17_S18_S1B_S1C_jS1D_jS1E_S1E_jjS1G_bEUljE0_EEESZ_S10_S11_S18_S1C_S1E_T6_T7_T9_mT8_S1G_bDpT10_ENKUlT_T0_E_clISt17integral_constantIbLb0EES1T_IbLb1EEEEDaS1P_S1Q_EUlS1P_E_NS1_11comp_targetILNS1_3genE4ELNS1_11target_archE910ELNS1_3gpuE8ELNS1_3repE0EEENS1_30default_config_static_selectorELNS0_4arch9wavefront6targetE0EEEvS12_.num_named_barrier, 0
	.set _ZN7rocprim17ROCPRIM_400000_NS6detail17trampoline_kernelINS0_13select_configILj256ELj13ELNS0_17block_load_methodE3ELS4_3ELS4_3ELNS0_20block_scan_algorithmE0ELj4294967295EEENS1_25partition_config_selectorILNS1_17partition_subalgoE4EjNS0_10empty_typeEbEEZZNS1_14partition_implILS8_4ELb0ES6_15HIP_vector_typeIjLj2EENS0_17counting_iteratorIjlEEPS9_SG_NS0_5tupleIJPjSI_NS0_16reverse_iteratorISI_EEEEENSH_IJSG_SG_SG_EEES9_SI_JZNS1_25segmented_radix_sort_implINS0_14default_configELb1EPKbPbPKlPlN2at6native12_GLOBAL__N_18offset_tEEE10hipError_tPvRmT1_PNSt15iterator_traitsIS12_E10value_typeET2_T3_PNS13_IS18_E10value_typeET4_jRbjT5_S1E_jjP12ihipStream_tbEUljE_ZNSN_ISO_Lb1ESQ_SR_ST_SU_SY_EESZ_S10_S11_S12_S16_S17_S18_S1B_S1C_jS1D_jS1E_S1E_jjS1G_bEUljE0_EEESZ_S10_S11_S18_S1C_S1E_T6_T7_T9_mT8_S1G_bDpT10_ENKUlT_T0_E_clISt17integral_constantIbLb0EES1T_IbLb1EEEEDaS1P_S1Q_EUlS1P_E_NS1_11comp_targetILNS1_3genE4ELNS1_11target_archE910ELNS1_3gpuE8ELNS1_3repE0EEENS1_30default_config_static_selectorELNS0_4arch9wavefront6targetE0EEEvS12_.private_seg_size, 0
	.set _ZN7rocprim17ROCPRIM_400000_NS6detail17trampoline_kernelINS0_13select_configILj256ELj13ELNS0_17block_load_methodE3ELS4_3ELS4_3ELNS0_20block_scan_algorithmE0ELj4294967295EEENS1_25partition_config_selectorILNS1_17partition_subalgoE4EjNS0_10empty_typeEbEEZZNS1_14partition_implILS8_4ELb0ES6_15HIP_vector_typeIjLj2EENS0_17counting_iteratorIjlEEPS9_SG_NS0_5tupleIJPjSI_NS0_16reverse_iteratorISI_EEEEENSH_IJSG_SG_SG_EEES9_SI_JZNS1_25segmented_radix_sort_implINS0_14default_configELb1EPKbPbPKlPlN2at6native12_GLOBAL__N_18offset_tEEE10hipError_tPvRmT1_PNSt15iterator_traitsIS12_E10value_typeET2_T3_PNS13_IS18_E10value_typeET4_jRbjT5_S1E_jjP12ihipStream_tbEUljE_ZNSN_ISO_Lb1ESQ_SR_ST_SU_SY_EESZ_S10_S11_S12_S16_S17_S18_S1B_S1C_jS1D_jS1E_S1E_jjS1G_bEUljE0_EEESZ_S10_S11_S18_S1C_S1E_T6_T7_T9_mT8_S1G_bDpT10_ENKUlT_T0_E_clISt17integral_constantIbLb0EES1T_IbLb1EEEEDaS1P_S1Q_EUlS1P_E_NS1_11comp_targetILNS1_3genE4ELNS1_11target_archE910ELNS1_3gpuE8ELNS1_3repE0EEENS1_30default_config_static_selectorELNS0_4arch9wavefront6targetE0EEEvS12_.uses_vcc, 0
	.set _ZN7rocprim17ROCPRIM_400000_NS6detail17trampoline_kernelINS0_13select_configILj256ELj13ELNS0_17block_load_methodE3ELS4_3ELS4_3ELNS0_20block_scan_algorithmE0ELj4294967295EEENS1_25partition_config_selectorILNS1_17partition_subalgoE4EjNS0_10empty_typeEbEEZZNS1_14partition_implILS8_4ELb0ES6_15HIP_vector_typeIjLj2EENS0_17counting_iteratorIjlEEPS9_SG_NS0_5tupleIJPjSI_NS0_16reverse_iteratorISI_EEEEENSH_IJSG_SG_SG_EEES9_SI_JZNS1_25segmented_radix_sort_implINS0_14default_configELb1EPKbPbPKlPlN2at6native12_GLOBAL__N_18offset_tEEE10hipError_tPvRmT1_PNSt15iterator_traitsIS12_E10value_typeET2_T3_PNS13_IS18_E10value_typeET4_jRbjT5_S1E_jjP12ihipStream_tbEUljE_ZNSN_ISO_Lb1ESQ_SR_ST_SU_SY_EESZ_S10_S11_S12_S16_S17_S18_S1B_S1C_jS1D_jS1E_S1E_jjS1G_bEUljE0_EEESZ_S10_S11_S18_S1C_S1E_T6_T7_T9_mT8_S1G_bDpT10_ENKUlT_T0_E_clISt17integral_constantIbLb0EES1T_IbLb1EEEEDaS1P_S1Q_EUlS1P_E_NS1_11comp_targetILNS1_3genE4ELNS1_11target_archE910ELNS1_3gpuE8ELNS1_3repE0EEENS1_30default_config_static_selectorELNS0_4arch9wavefront6targetE0EEEvS12_.uses_flat_scratch, 0
	.set _ZN7rocprim17ROCPRIM_400000_NS6detail17trampoline_kernelINS0_13select_configILj256ELj13ELNS0_17block_load_methodE3ELS4_3ELS4_3ELNS0_20block_scan_algorithmE0ELj4294967295EEENS1_25partition_config_selectorILNS1_17partition_subalgoE4EjNS0_10empty_typeEbEEZZNS1_14partition_implILS8_4ELb0ES6_15HIP_vector_typeIjLj2EENS0_17counting_iteratorIjlEEPS9_SG_NS0_5tupleIJPjSI_NS0_16reverse_iteratorISI_EEEEENSH_IJSG_SG_SG_EEES9_SI_JZNS1_25segmented_radix_sort_implINS0_14default_configELb1EPKbPbPKlPlN2at6native12_GLOBAL__N_18offset_tEEE10hipError_tPvRmT1_PNSt15iterator_traitsIS12_E10value_typeET2_T3_PNS13_IS18_E10value_typeET4_jRbjT5_S1E_jjP12ihipStream_tbEUljE_ZNSN_ISO_Lb1ESQ_SR_ST_SU_SY_EESZ_S10_S11_S12_S16_S17_S18_S1B_S1C_jS1D_jS1E_S1E_jjS1G_bEUljE0_EEESZ_S10_S11_S18_S1C_S1E_T6_T7_T9_mT8_S1G_bDpT10_ENKUlT_T0_E_clISt17integral_constantIbLb0EES1T_IbLb1EEEEDaS1P_S1Q_EUlS1P_E_NS1_11comp_targetILNS1_3genE4ELNS1_11target_archE910ELNS1_3gpuE8ELNS1_3repE0EEENS1_30default_config_static_selectorELNS0_4arch9wavefront6targetE0EEEvS12_.has_dyn_sized_stack, 0
	.set _ZN7rocprim17ROCPRIM_400000_NS6detail17trampoline_kernelINS0_13select_configILj256ELj13ELNS0_17block_load_methodE3ELS4_3ELS4_3ELNS0_20block_scan_algorithmE0ELj4294967295EEENS1_25partition_config_selectorILNS1_17partition_subalgoE4EjNS0_10empty_typeEbEEZZNS1_14partition_implILS8_4ELb0ES6_15HIP_vector_typeIjLj2EENS0_17counting_iteratorIjlEEPS9_SG_NS0_5tupleIJPjSI_NS0_16reverse_iteratorISI_EEEEENSH_IJSG_SG_SG_EEES9_SI_JZNS1_25segmented_radix_sort_implINS0_14default_configELb1EPKbPbPKlPlN2at6native12_GLOBAL__N_18offset_tEEE10hipError_tPvRmT1_PNSt15iterator_traitsIS12_E10value_typeET2_T3_PNS13_IS18_E10value_typeET4_jRbjT5_S1E_jjP12ihipStream_tbEUljE_ZNSN_ISO_Lb1ESQ_SR_ST_SU_SY_EESZ_S10_S11_S12_S16_S17_S18_S1B_S1C_jS1D_jS1E_S1E_jjS1G_bEUljE0_EEESZ_S10_S11_S18_S1C_S1E_T6_T7_T9_mT8_S1G_bDpT10_ENKUlT_T0_E_clISt17integral_constantIbLb0EES1T_IbLb1EEEEDaS1P_S1Q_EUlS1P_E_NS1_11comp_targetILNS1_3genE4ELNS1_11target_archE910ELNS1_3gpuE8ELNS1_3repE0EEENS1_30default_config_static_selectorELNS0_4arch9wavefront6targetE0EEEvS12_.has_recursion, 0
	.set _ZN7rocprim17ROCPRIM_400000_NS6detail17trampoline_kernelINS0_13select_configILj256ELj13ELNS0_17block_load_methodE3ELS4_3ELS4_3ELNS0_20block_scan_algorithmE0ELj4294967295EEENS1_25partition_config_selectorILNS1_17partition_subalgoE4EjNS0_10empty_typeEbEEZZNS1_14partition_implILS8_4ELb0ES6_15HIP_vector_typeIjLj2EENS0_17counting_iteratorIjlEEPS9_SG_NS0_5tupleIJPjSI_NS0_16reverse_iteratorISI_EEEEENSH_IJSG_SG_SG_EEES9_SI_JZNS1_25segmented_radix_sort_implINS0_14default_configELb1EPKbPbPKlPlN2at6native12_GLOBAL__N_18offset_tEEE10hipError_tPvRmT1_PNSt15iterator_traitsIS12_E10value_typeET2_T3_PNS13_IS18_E10value_typeET4_jRbjT5_S1E_jjP12ihipStream_tbEUljE_ZNSN_ISO_Lb1ESQ_SR_ST_SU_SY_EESZ_S10_S11_S12_S16_S17_S18_S1B_S1C_jS1D_jS1E_S1E_jjS1G_bEUljE0_EEESZ_S10_S11_S18_S1C_S1E_T6_T7_T9_mT8_S1G_bDpT10_ENKUlT_T0_E_clISt17integral_constantIbLb0EES1T_IbLb1EEEEDaS1P_S1Q_EUlS1P_E_NS1_11comp_targetILNS1_3genE4ELNS1_11target_archE910ELNS1_3gpuE8ELNS1_3repE0EEENS1_30default_config_static_selectorELNS0_4arch9wavefront6targetE0EEEvS12_.has_indirect_call, 0
	.section	.AMDGPU.csdata,"",@progbits
; Kernel info:
; codeLenInByte = 0
; TotalNumSgprs: 0
; NumVgprs: 0
; ScratchSize: 0
; MemoryBound: 0
; FloatMode: 240
; IeeeMode: 1
; LDSByteSize: 0 bytes/workgroup (compile time only)
; SGPRBlocks: 0
; VGPRBlocks: 0
; NumSGPRsForWavesPerEU: 1
; NumVGPRsForWavesPerEU: 1
; NamedBarCnt: 0
; Occupancy: 16
; WaveLimiterHint : 0
; COMPUTE_PGM_RSRC2:SCRATCH_EN: 0
; COMPUTE_PGM_RSRC2:USER_SGPR: 2
; COMPUTE_PGM_RSRC2:TRAP_HANDLER: 0
; COMPUTE_PGM_RSRC2:TGID_X_EN: 1
; COMPUTE_PGM_RSRC2:TGID_Y_EN: 0
; COMPUTE_PGM_RSRC2:TGID_Z_EN: 0
; COMPUTE_PGM_RSRC2:TIDIG_COMP_CNT: 0
	.section	.text._ZN7rocprim17ROCPRIM_400000_NS6detail17trampoline_kernelINS0_13select_configILj256ELj13ELNS0_17block_load_methodE3ELS4_3ELS4_3ELNS0_20block_scan_algorithmE0ELj4294967295EEENS1_25partition_config_selectorILNS1_17partition_subalgoE4EjNS0_10empty_typeEbEEZZNS1_14partition_implILS8_4ELb0ES6_15HIP_vector_typeIjLj2EENS0_17counting_iteratorIjlEEPS9_SG_NS0_5tupleIJPjSI_NS0_16reverse_iteratorISI_EEEEENSH_IJSG_SG_SG_EEES9_SI_JZNS1_25segmented_radix_sort_implINS0_14default_configELb1EPKbPbPKlPlN2at6native12_GLOBAL__N_18offset_tEEE10hipError_tPvRmT1_PNSt15iterator_traitsIS12_E10value_typeET2_T3_PNS13_IS18_E10value_typeET4_jRbjT5_S1E_jjP12ihipStream_tbEUljE_ZNSN_ISO_Lb1ESQ_SR_ST_SU_SY_EESZ_S10_S11_S12_S16_S17_S18_S1B_S1C_jS1D_jS1E_S1E_jjS1G_bEUljE0_EEESZ_S10_S11_S18_S1C_S1E_T6_T7_T9_mT8_S1G_bDpT10_ENKUlT_T0_E_clISt17integral_constantIbLb0EES1T_IbLb1EEEEDaS1P_S1Q_EUlS1P_E_NS1_11comp_targetILNS1_3genE3ELNS1_11target_archE908ELNS1_3gpuE7ELNS1_3repE0EEENS1_30default_config_static_selectorELNS0_4arch9wavefront6targetE0EEEvS12_,"axG",@progbits,_ZN7rocprim17ROCPRIM_400000_NS6detail17trampoline_kernelINS0_13select_configILj256ELj13ELNS0_17block_load_methodE3ELS4_3ELS4_3ELNS0_20block_scan_algorithmE0ELj4294967295EEENS1_25partition_config_selectorILNS1_17partition_subalgoE4EjNS0_10empty_typeEbEEZZNS1_14partition_implILS8_4ELb0ES6_15HIP_vector_typeIjLj2EENS0_17counting_iteratorIjlEEPS9_SG_NS0_5tupleIJPjSI_NS0_16reverse_iteratorISI_EEEEENSH_IJSG_SG_SG_EEES9_SI_JZNS1_25segmented_radix_sort_implINS0_14default_configELb1EPKbPbPKlPlN2at6native12_GLOBAL__N_18offset_tEEE10hipError_tPvRmT1_PNSt15iterator_traitsIS12_E10value_typeET2_T3_PNS13_IS18_E10value_typeET4_jRbjT5_S1E_jjP12ihipStream_tbEUljE_ZNSN_ISO_Lb1ESQ_SR_ST_SU_SY_EESZ_S10_S11_S12_S16_S17_S18_S1B_S1C_jS1D_jS1E_S1E_jjS1G_bEUljE0_EEESZ_S10_S11_S18_S1C_S1E_T6_T7_T9_mT8_S1G_bDpT10_ENKUlT_T0_E_clISt17integral_constantIbLb0EES1T_IbLb1EEEEDaS1P_S1Q_EUlS1P_E_NS1_11comp_targetILNS1_3genE3ELNS1_11target_archE908ELNS1_3gpuE7ELNS1_3repE0EEENS1_30default_config_static_selectorELNS0_4arch9wavefront6targetE0EEEvS12_,comdat
	.globl	_ZN7rocprim17ROCPRIM_400000_NS6detail17trampoline_kernelINS0_13select_configILj256ELj13ELNS0_17block_load_methodE3ELS4_3ELS4_3ELNS0_20block_scan_algorithmE0ELj4294967295EEENS1_25partition_config_selectorILNS1_17partition_subalgoE4EjNS0_10empty_typeEbEEZZNS1_14partition_implILS8_4ELb0ES6_15HIP_vector_typeIjLj2EENS0_17counting_iteratorIjlEEPS9_SG_NS0_5tupleIJPjSI_NS0_16reverse_iteratorISI_EEEEENSH_IJSG_SG_SG_EEES9_SI_JZNS1_25segmented_radix_sort_implINS0_14default_configELb1EPKbPbPKlPlN2at6native12_GLOBAL__N_18offset_tEEE10hipError_tPvRmT1_PNSt15iterator_traitsIS12_E10value_typeET2_T3_PNS13_IS18_E10value_typeET4_jRbjT5_S1E_jjP12ihipStream_tbEUljE_ZNSN_ISO_Lb1ESQ_SR_ST_SU_SY_EESZ_S10_S11_S12_S16_S17_S18_S1B_S1C_jS1D_jS1E_S1E_jjS1G_bEUljE0_EEESZ_S10_S11_S18_S1C_S1E_T6_T7_T9_mT8_S1G_bDpT10_ENKUlT_T0_E_clISt17integral_constantIbLb0EES1T_IbLb1EEEEDaS1P_S1Q_EUlS1P_E_NS1_11comp_targetILNS1_3genE3ELNS1_11target_archE908ELNS1_3gpuE7ELNS1_3repE0EEENS1_30default_config_static_selectorELNS0_4arch9wavefront6targetE0EEEvS12_ ; -- Begin function _ZN7rocprim17ROCPRIM_400000_NS6detail17trampoline_kernelINS0_13select_configILj256ELj13ELNS0_17block_load_methodE3ELS4_3ELS4_3ELNS0_20block_scan_algorithmE0ELj4294967295EEENS1_25partition_config_selectorILNS1_17partition_subalgoE4EjNS0_10empty_typeEbEEZZNS1_14partition_implILS8_4ELb0ES6_15HIP_vector_typeIjLj2EENS0_17counting_iteratorIjlEEPS9_SG_NS0_5tupleIJPjSI_NS0_16reverse_iteratorISI_EEEEENSH_IJSG_SG_SG_EEES9_SI_JZNS1_25segmented_radix_sort_implINS0_14default_configELb1EPKbPbPKlPlN2at6native12_GLOBAL__N_18offset_tEEE10hipError_tPvRmT1_PNSt15iterator_traitsIS12_E10value_typeET2_T3_PNS13_IS18_E10value_typeET4_jRbjT5_S1E_jjP12ihipStream_tbEUljE_ZNSN_ISO_Lb1ESQ_SR_ST_SU_SY_EESZ_S10_S11_S12_S16_S17_S18_S1B_S1C_jS1D_jS1E_S1E_jjS1G_bEUljE0_EEESZ_S10_S11_S18_S1C_S1E_T6_T7_T9_mT8_S1G_bDpT10_ENKUlT_T0_E_clISt17integral_constantIbLb0EES1T_IbLb1EEEEDaS1P_S1Q_EUlS1P_E_NS1_11comp_targetILNS1_3genE3ELNS1_11target_archE908ELNS1_3gpuE7ELNS1_3repE0EEENS1_30default_config_static_selectorELNS0_4arch9wavefront6targetE0EEEvS12_
	.p2align	8
	.type	_ZN7rocprim17ROCPRIM_400000_NS6detail17trampoline_kernelINS0_13select_configILj256ELj13ELNS0_17block_load_methodE3ELS4_3ELS4_3ELNS0_20block_scan_algorithmE0ELj4294967295EEENS1_25partition_config_selectorILNS1_17partition_subalgoE4EjNS0_10empty_typeEbEEZZNS1_14partition_implILS8_4ELb0ES6_15HIP_vector_typeIjLj2EENS0_17counting_iteratorIjlEEPS9_SG_NS0_5tupleIJPjSI_NS0_16reverse_iteratorISI_EEEEENSH_IJSG_SG_SG_EEES9_SI_JZNS1_25segmented_radix_sort_implINS0_14default_configELb1EPKbPbPKlPlN2at6native12_GLOBAL__N_18offset_tEEE10hipError_tPvRmT1_PNSt15iterator_traitsIS12_E10value_typeET2_T3_PNS13_IS18_E10value_typeET4_jRbjT5_S1E_jjP12ihipStream_tbEUljE_ZNSN_ISO_Lb1ESQ_SR_ST_SU_SY_EESZ_S10_S11_S12_S16_S17_S18_S1B_S1C_jS1D_jS1E_S1E_jjS1G_bEUljE0_EEESZ_S10_S11_S18_S1C_S1E_T6_T7_T9_mT8_S1G_bDpT10_ENKUlT_T0_E_clISt17integral_constantIbLb0EES1T_IbLb1EEEEDaS1P_S1Q_EUlS1P_E_NS1_11comp_targetILNS1_3genE3ELNS1_11target_archE908ELNS1_3gpuE7ELNS1_3repE0EEENS1_30default_config_static_selectorELNS0_4arch9wavefront6targetE0EEEvS12_,@function
_ZN7rocprim17ROCPRIM_400000_NS6detail17trampoline_kernelINS0_13select_configILj256ELj13ELNS0_17block_load_methodE3ELS4_3ELS4_3ELNS0_20block_scan_algorithmE0ELj4294967295EEENS1_25partition_config_selectorILNS1_17partition_subalgoE4EjNS0_10empty_typeEbEEZZNS1_14partition_implILS8_4ELb0ES6_15HIP_vector_typeIjLj2EENS0_17counting_iteratorIjlEEPS9_SG_NS0_5tupleIJPjSI_NS0_16reverse_iteratorISI_EEEEENSH_IJSG_SG_SG_EEES9_SI_JZNS1_25segmented_radix_sort_implINS0_14default_configELb1EPKbPbPKlPlN2at6native12_GLOBAL__N_18offset_tEEE10hipError_tPvRmT1_PNSt15iterator_traitsIS12_E10value_typeET2_T3_PNS13_IS18_E10value_typeET4_jRbjT5_S1E_jjP12ihipStream_tbEUljE_ZNSN_ISO_Lb1ESQ_SR_ST_SU_SY_EESZ_S10_S11_S12_S16_S17_S18_S1B_S1C_jS1D_jS1E_S1E_jjS1G_bEUljE0_EEESZ_S10_S11_S18_S1C_S1E_T6_T7_T9_mT8_S1G_bDpT10_ENKUlT_T0_E_clISt17integral_constantIbLb0EES1T_IbLb1EEEEDaS1P_S1Q_EUlS1P_E_NS1_11comp_targetILNS1_3genE3ELNS1_11target_archE908ELNS1_3gpuE7ELNS1_3repE0EEENS1_30default_config_static_selectorELNS0_4arch9wavefront6targetE0EEEvS12_: ; @_ZN7rocprim17ROCPRIM_400000_NS6detail17trampoline_kernelINS0_13select_configILj256ELj13ELNS0_17block_load_methodE3ELS4_3ELS4_3ELNS0_20block_scan_algorithmE0ELj4294967295EEENS1_25partition_config_selectorILNS1_17partition_subalgoE4EjNS0_10empty_typeEbEEZZNS1_14partition_implILS8_4ELb0ES6_15HIP_vector_typeIjLj2EENS0_17counting_iteratorIjlEEPS9_SG_NS0_5tupleIJPjSI_NS0_16reverse_iteratorISI_EEEEENSH_IJSG_SG_SG_EEES9_SI_JZNS1_25segmented_radix_sort_implINS0_14default_configELb1EPKbPbPKlPlN2at6native12_GLOBAL__N_18offset_tEEE10hipError_tPvRmT1_PNSt15iterator_traitsIS12_E10value_typeET2_T3_PNS13_IS18_E10value_typeET4_jRbjT5_S1E_jjP12ihipStream_tbEUljE_ZNSN_ISO_Lb1ESQ_SR_ST_SU_SY_EESZ_S10_S11_S12_S16_S17_S18_S1B_S1C_jS1D_jS1E_S1E_jjS1G_bEUljE0_EEESZ_S10_S11_S18_S1C_S1E_T6_T7_T9_mT8_S1G_bDpT10_ENKUlT_T0_E_clISt17integral_constantIbLb0EES1T_IbLb1EEEEDaS1P_S1Q_EUlS1P_E_NS1_11comp_targetILNS1_3genE3ELNS1_11target_archE908ELNS1_3gpuE7ELNS1_3repE0EEENS1_30default_config_static_selectorELNS0_4arch9wavefront6targetE0EEEvS12_
; %bb.0:
	.section	.rodata,"a",@progbits
	.p2align	6, 0x0
	.amdhsa_kernel _ZN7rocprim17ROCPRIM_400000_NS6detail17trampoline_kernelINS0_13select_configILj256ELj13ELNS0_17block_load_methodE3ELS4_3ELS4_3ELNS0_20block_scan_algorithmE0ELj4294967295EEENS1_25partition_config_selectorILNS1_17partition_subalgoE4EjNS0_10empty_typeEbEEZZNS1_14partition_implILS8_4ELb0ES6_15HIP_vector_typeIjLj2EENS0_17counting_iteratorIjlEEPS9_SG_NS0_5tupleIJPjSI_NS0_16reverse_iteratorISI_EEEEENSH_IJSG_SG_SG_EEES9_SI_JZNS1_25segmented_radix_sort_implINS0_14default_configELb1EPKbPbPKlPlN2at6native12_GLOBAL__N_18offset_tEEE10hipError_tPvRmT1_PNSt15iterator_traitsIS12_E10value_typeET2_T3_PNS13_IS18_E10value_typeET4_jRbjT5_S1E_jjP12ihipStream_tbEUljE_ZNSN_ISO_Lb1ESQ_SR_ST_SU_SY_EESZ_S10_S11_S12_S16_S17_S18_S1B_S1C_jS1D_jS1E_S1E_jjS1G_bEUljE0_EEESZ_S10_S11_S18_S1C_S1E_T6_T7_T9_mT8_S1G_bDpT10_ENKUlT_T0_E_clISt17integral_constantIbLb0EES1T_IbLb1EEEEDaS1P_S1Q_EUlS1P_E_NS1_11comp_targetILNS1_3genE3ELNS1_11target_archE908ELNS1_3gpuE7ELNS1_3repE0EEENS1_30default_config_static_selectorELNS0_4arch9wavefront6targetE0EEEvS12_
		.amdhsa_group_segment_fixed_size 0
		.amdhsa_private_segment_fixed_size 0
		.amdhsa_kernarg_size 184
		.amdhsa_user_sgpr_count 2
		.amdhsa_user_sgpr_dispatch_ptr 0
		.amdhsa_user_sgpr_queue_ptr 0
		.amdhsa_user_sgpr_kernarg_segment_ptr 1
		.amdhsa_user_sgpr_dispatch_id 0
		.amdhsa_user_sgpr_kernarg_preload_length 0
		.amdhsa_user_sgpr_kernarg_preload_offset 0
		.amdhsa_user_sgpr_private_segment_size 0
		.amdhsa_wavefront_size32 1
		.amdhsa_uses_dynamic_stack 0
		.amdhsa_enable_private_segment 0
		.amdhsa_system_sgpr_workgroup_id_x 1
		.amdhsa_system_sgpr_workgroup_id_y 0
		.amdhsa_system_sgpr_workgroup_id_z 0
		.amdhsa_system_sgpr_workgroup_info 0
		.amdhsa_system_vgpr_workitem_id 0
		.amdhsa_next_free_vgpr 1
		.amdhsa_next_free_sgpr 1
		.amdhsa_named_barrier_count 0
		.amdhsa_reserve_vcc 0
		.amdhsa_float_round_mode_32 0
		.amdhsa_float_round_mode_16_64 0
		.amdhsa_float_denorm_mode_32 3
		.amdhsa_float_denorm_mode_16_64 3
		.amdhsa_fp16_overflow 0
		.amdhsa_memory_ordered 1
		.amdhsa_forward_progress 1
		.amdhsa_inst_pref_size 0
		.amdhsa_round_robin_scheduling 0
		.amdhsa_exception_fp_ieee_invalid_op 0
		.amdhsa_exception_fp_denorm_src 0
		.amdhsa_exception_fp_ieee_div_zero 0
		.amdhsa_exception_fp_ieee_overflow 0
		.amdhsa_exception_fp_ieee_underflow 0
		.amdhsa_exception_fp_ieee_inexact 0
		.amdhsa_exception_int_div_zero 0
	.end_amdhsa_kernel
	.section	.text._ZN7rocprim17ROCPRIM_400000_NS6detail17trampoline_kernelINS0_13select_configILj256ELj13ELNS0_17block_load_methodE3ELS4_3ELS4_3ELNS0_20block_scan_algorithmE0ELj4294967295EEENS1_25partition_config_selectorILNS1_17partition_subalgoE4EjNS0_10empty_typeEbEEZZNS1_14partition_implILS8_4ELb0ES6_15HIP_vector_typeIjLj2EENS0_17counting_iteratorIjlEEPS9_SG_NS0_5tupleIJPjSI_NS0_16reverse_iteratorISI_EEEEENSH_IJSG_SG_SG_EEES9_SI_JZNS1_25segmented_radix_sort_implINS0_14default_configELb1EPKbPbPKlPlN2at6native12_GLOBAL__N_18offset_tEEE10hipError_tPvRmT1_PNSt15iterator_traitsIS12_E10value_typeET2_T3_PNS13_IS18_E10value_typeET4_jRbjT5_S1E_jjP12ihipStream_tbEUljE_ZNSN_ISO_Lb1ESQ_SR_ST_SU_SY_EESZ_S10_S11_S12_S16_S17_S18_S1B_S1C_jS1D_jS1E_S1E_jjS1G_bEUljE0_EEESZ_S10_S11_S18_S1C_S1E_T6_T7_T9_mT8_S1G_bDpT10_ENKUlT_T0_E_clISt17integral_constantIbLb0EES1T_IbLb1EEEEDaS1P_S1Q_EUlS1P_E_NS1_11comp_targetILNS1_3genE3ELNS1_11target_archE908ELNS1_3gpuE7ELNS1_3repE0EEENS1_30default_config_static_selectorELNS0_4arch9wavefront6targetE0EEEvS12_,"axG",@progbits,_ZN7rocprim17ROCPRIM_400000_NS6detail17trampoline_kernelINS0_13select_configILj256ELj13ELNS0_17block_load_methodE3ELS4_3ELS4_3ELNS0_20block_scan_algorithmE0ELj4294967295EEENS1_25partition_config_selectorILNS1_17partition_subalgoE4EjNS0_10empty_typeEbEEZZNS1_14partition_implILS8_4ELb0ES6_15HIP_vector_typeIjLj2EENS0_17counting_iteratorIjlEEPS9_SG_NS0_5tupleIJPjSI_NS0_16reverse_iteratorISI_EEEEENSH_IJSG_SG_SG_EEES9_SI_JZNS1_25segmented_radix_sort_implINS0_14default_configELb1EPKbPbPKlPlN2at6native12_GLOBAL__N_18offset_tEEE10hipError_tPvRmT1_PNSt15iterator_traitsIS12_E10value_typeET2_T3_PNS13_IS18_E10value_typeET4_jRbjT5_S1E_jjP12ihipStream_tbEUljE_ZNSN_ISO_Lb1ESQ_SR_ST_SU_SY_EESZ_S10_S11_S12_S16_S17_S18_S1B_S1C_jS1D_jS1E_S1E_jjS1G_bEUljE0_EEESZ_S10_S11_S18_S1C_S1E_T6_T7_T9_mT8_S1G_bDpT10_ENKUlT_T0_E_clISt17integral_constantIbLb0EES1T_IbLb1EEEEDaS1P_S1Q_EUlS1P_E_NS1_11comp_targetILNS1_3genE3ELNS1_11target_archE908ELNS1_3gpuE7ELNS1_3repE0EEENS1_30default_config_static_selectorELNS0_4arch9wavefront6targetE0EEEvS12_,comdat
.Lfunc_end1487:
	.size	_ZN7rocprim17ROCPRIM_400000_NS6detail17trampoline_kernelINS0_13select_configILj256ELj13ELNS0_17block_load_methodE3ELS4_3ELS4_3ELNS0_20block_scan_algorithmE0ELj4294967295EEENS1_25partition_config_selectorILNS1_17partition_subalgoE4EjNS0_10empty_typeEbEEZZNS1_14partition_implILS8_4ELb0ES6_15HIP_vector_typeIjLj2EENS0_17counting_iteratorIjlEEPS9_SG_NS0_5tupleIJPjSI_NS0_16reverse_iteratorISI_EEEEENSH_IJSG_SG_SG_EEES9_SI_JZNS1_25segmented_radix_sort_implINS0_14default_configELb1EPKbPbPKlPlN2at6native12_GLOBAL__N_18offset_tEEE10hipError_tPvRmT1_PNSt15iterator_traitsIS12_E10value_typeET2_T3_PNS13_IS18_E10value_typeET4_jRbjT5_S1E_jjP12ihipStream_tbEUljE_ZNSN_ISO_Lb1ESQ_SR_ST_SU_SY_EESZ_S10_S11_S12_S16_S17_S18_S1B_S1C_jS1D_jS1E_S1E_jjS1G_bEUljE0_EEESZ_S10_S11_S18_S1C_S1E_T6_T7_T9_mT8_S1G_bDpT10_ENKUlT_T0_E_clISt17integral_constantIbLb0EES1T_IbLb1EEEEDaS1P_S1Q_EUlS1P_E_NS1_11comp_targetILNS1_3genE3ELNS1_11target_archE908ELNS1_3gpuE7ELNS1_3repE0EEENS1_30default_config_static_selectorELNS0_4arch9wavefront6targetE0EEEvS12_, .Lfunc_end1487-_ZN7rocprim17ROCPRIM_400000_NS6detail17trampoline_kernelINS0_13select_configILj256ELj13ELNS0_17block_load_methodE3ELS4_3ELS4_3ELNS0_20block_scan_algorithmE0ELj4294967295EEENS1_25partition_config_selectorILNS1_17partition_subalgoE4EjNS0_10empty_typeEbEEZZNS1_14partition_implILS8_4ELb0ES6_15HIP_vector_typeIjLj2EENS0_17counting_iteratorIjlEEPS9_SG_NS0_5tupleIJPjSI_NS0_16reverse_iteratorISI_EEEEENSH_IJSG_SG_SG_EEES9_SI_JZNS1_25segmented_radix_sort_implINS0_14default_configELb1EPKbPbPKlPlN2at6native12_GLOBAL__N_18offset_tEEE10hipError_tPvRmT1_PNSt15iterator_traitsIS12_E10value_typeET2_T3_PNS13_IS18_E10value_typeET4_jRbjT5_S1E_jjP12ihipStream_tbEUljE_ZNSN_ISO_Lb1ESQ_SR_ST_SU_SY_EESZ_S10_S11_S12_S16_S17_S18_S1B_S1C_jS1D_jS1E_S1E_jjS1G_bEUljE0_EEESZ_S10_S11_S18_S1C_S1E_T6_T7_T9_mT8_S1G_bDpT10_ENKUlT_T0_E_clISt17integral_constantIbLb0EES1T_IbLb1EEEEDaS1P_S1Q_EUlS1P_E_NS1_11comp_targetILNS1_3genE3ELNS1_11target_archE908ELNS1_3gpuE7ELNS1_3repE0EEENS1_30default_config_static_selectorELNS0_4arch9wavefront6targetE0EEEvS12_
                                        ; -- End function
	.set _ZN7rocprim17ROCPRIM_400000_NS6detail17trampoline_kernelINS0_13select_configILj256ELj13ELNS0_17block_load_methodE3ELS4_3ELS4_3ELNS0_20block_scan_algorithmE0ELj4294967295EEENS1_25partition_config_selectorILNS1_17partition_subalgoE4EjNS0_10empty_typeEbEEZZNS1_14partition_implILS8_4ELb0ES6_15HIP_vector_typeIjLj2EENS0_17counting_iteratorIjlEEPS9_SG_NS0_5tupleIJPjSI_NS0_16reverse_iteratorISI_EEEEENSH_IJSG_SG_SG_EEES9_SI_JZNS1_25segmented_radix_sort_implINS0_14default_configELb1EPKbPbPKlPlN2at6native12_GLOBAL__N_18offset_tEEE10hipError_tPvRmT1_PNSt15iterator_traitsIS12_E10value_typeET2_T3_PNS13_IS18_E10value_typeET4_jRbjT5_S1E_jjP12ihipStream_tbEUljE_ZNSN_ISO_Lb1ESQ_SR_ST_SU_SY_EESZ_S10_S11_S12_S16_S17_S18_S1B_S1C_jS1D_jS1E_S1E_jjS1G_bEUljE0_EEESZ_S10_S11_S18_S1C_S1E_T6_T7_T9_mT8_S1G_bDpT10_ENKUlT_T0_E_clISt17integral_constantIbLb0EES1T_IbLb1EEEEDaS1P_S1Q_EUlS1P_E_NS1_11comp_targetILNS1_3genE3ELNS1_11target_archE908ELNS1_3gpuE7ELNS1_3repE0EEENS1_30default_config_static_selectorELNS0_4arch9wavefront6targetE0EEEvS12_.num_vgpr, 0
	.set _ZN7rocprim17ROCPRIM_400000_NS6detail17trampoline_kernelINS0_13select_configILj256ELj13ELNS0_17block_load_methodE3ELS4_3ELS4_3ELNS0_20block_scan_algorithmE0ELj4294967295EEENS1_25partition_config_selectorILNS1_17partition_subalgoE4EjNS0_10empty_typeEbEEZZNS1_14partition_implILS8_4ELb0ES6_15HIP_vector_typeIjLj2EENS0_17counting_iteratorIjlEEPS9_SG_NS0_5tupleIJPjSI_NS0_16reverse_iteratorISI_EEEEENSH_IJSG_SG_SG_EEES9_SI_JZNS1_25segmented_radix_sort_implINS0_14default_configELb1EPKbPbPKlPlN2at6native12_GLOBAL__N_18offset_tEEE10hipError_tPvRmT1_PNSt15iterator_traitsIS12_E10value_typeET2_T3_PNS13_IS18_E10value_typeET4_jRbjT5_S1E_jjP12ihipStream_tbEUljE_ZNSN_ISO_Lb1ESQ_SR_ST_SU_SY_EESZ_S10_S11_S12_S16_S17_S18_S1B_S1C_jS1D_jS1E_S1E_jjS1G_bEUljE0_EEESZ_S10_S11_S18_S1C_S1E_T6_T7_T9_mT8_S1G_bDpT10_ENKUlT_T0_E_clISt17integral_constantIbLb0EES1T_IbLb1EEEEDaS1P_S1Q_EUlS1P_E_NS1_11comp_targetILNS1_3genE3ELNS1_11target_archE908ELNS1_3gpuE7ELNS1_3repE0EEENS1_30default_config_static_selectorELNS0_4arch9wavefront6targetE0EEEvS12_.num_agpr, 0
	.set _ZN7rocprim17ROCPRIM_400000_NS6detail17trampoline_kernelINS0_13select_configILj256ELj13ELNS0_17block_load_methodE3ELS4_3ELS4_3ELNS0_20block_scan_algorithmE0ELj4294967295EEENS1_25partition_config_selectorILNS1_17partition_subalgoE4EjNS0_10empty_typeEbEEZZNS1_14partition_implILS8_4ELb0ES6_15HIP_vector_typeIjLj2EENS0_17counting_iteratorIjlEEPS9_SG_NS0_5tupleIJPjSI_NS0_16reverse_iteratorISI_EEEEENSH_IJSG_SG_SG_EEES9_SI_JZNS1_25segmented_radix_sort_implINS0_14default_configELb1EPKbPbPKlPlN2at6native12_GLOBAL__N_18offset_tEEE10hipError_tPvRmT1_PNSt15iterator_traitsIS12_E10value_typeET2_T3_PNS13_IS18_E10value_typeET4_jRbjT5_S1E_jjP12ihipStream_tbEUljE_ZNSN_ISO_Lb1ESQ_SR_ST_SU_SY_EESZ_S10_S11_S12_S16_S17_S18_S1B_S1C_jS1D_jS1E_S1E_jjS1G_bEUljE0_EEESZ_S10_S11_S18_S1C_S1E_T6_T7_T9_mT8_S1G_bDpT10_ENKUlT_T0_E_clISt17integral_constantIbLb0EES1T_IbLb1EEEEDaS1P_S1Q_EUlS1P_E_NS1_11comp_targetILNS1_3genE3ELNS1_11target_archE908ELNS1_3gpuE7ELNS1_3repE0EEENS1_30default_config_static_selectorELNS0_4arch9wavefront6targetE0EEEvS12_.numbered_sgpr, 0
	.set _ZN7rocprim17ROCPRIM_400000_NS6detail17trampoline_kernelINS0_13select_configILj256ELj13ELNS0_17block_load_methodE3ELS4_3ELS4_3ELNS0_20block_scan_algorithmE0ELj4294967295EEENS1_25partition_config_selectorILNS1_17partition_subalgoE4EjNS0_10empty_typeEbEEZZNS1_14partition_implILS8_4ELb0ES6_15HIP_vector_typeIjLj2EENS0_17counting_iteratorIjlEEPS9_SG_NS0_5tupleIJPjSI_NS0_16reverse_iteratorISI_EEEEENSH_IJSG_SG_SG_EEES9_SI_JZNS1_25segmented_radix_sort_implINS0_14default_configELb1EPKbPbPKlPlN2at6native12_GLOBAL__N_18offset_tEEE10hipError_tPvRmT1_PNSt15iterator_traitsIS12_E10value_typeET2_T3_PNS13_IS18_E10value_typeET4_jRbjT5_S1E_jjP12ihipStream_tbEUljE_ZNSN_ISO_Lb1ESQ_SR_ST_SU_SY_EESZ_S10_S11_S12_S16_S17_S18_S1B_S1C_jS1D_jS1E_S1E_jjS1G_bEUljE0_EEESZ_S10_S11_S18_S1C_S1E_T6_T7_T9_mT8_S1G_bDpT10_ENKUlT_T0_E_clISt17integral_constantIbLb0EES1T_IbLb1EEEEDaS1P_S1Q_EUlS1P_E_NS1_11comp_targetILNS1_3genE3ELNS1_11target_archE908ELNS1_3gpuE7ELNS1_3repE0EEENS1_30default_config_static_selectorELNS0_4arch9wavefront6targetE0EEEvS12_.num_named_barrier, 0
	.set _ZN7rocprim17ROCPRIM_400000_NS6detail17trampoline_kernelINS0_13select_configILj256ELj13ELNS0_17block_load_methodE3ELS4_3ELS4_3ELNS0_20block_scan_algorithmE0ELj4294967295EEENS1_25partition_config_selectorILNS1_17partition_subalgoE4EjNS0_10empty_typeEbEEZZNS1_14partition_implILS8_4ELb0ES6_15HIP_vector_typeIjLj2EENS0_17counting_iteratorIjlEEPS9_SG_NS0_5tupleIJPjSI_NS0_16reverse_iteratorISI_EEEEENSH_IJSG_SG_SG_EEES9_SI_JZNS1_25segmented_radix_sort_implINS0_14default_configELb1EPKbPbPKlPlN2at6native12_GLOBAL__N_18offset_tEEE10hipError_tPvRmT1_PNSt15iterator_traitsIS12_E10value_typeET2_T3_PNS13_IS18_E10value_typeET4_jRbjT5_S1E_jjP12ihipStream_tbEUljE_ZNSN_ISO_Lb1ESQ_SR_ST_SU_SY_EESZ_S10_S11_S12_S16_S17_S18_S1B_S1C_jS1D_jS1E_S1E_jjS1G_bEUljE0_EEESZ_S10_S11_S18_S1C_S1E_T6_T7_T9_mT8_S1G_bDpT10_ENKUlT_T0_E_clISt17integral_constantIbLb0EES1T_IbLb1EEEEDaS1P_S1Q_EUlS1P_E_NS1_11comp_targetILNS1_3genE3ELNS1_11target_archE908ELNS1_3gpuE7ELNS1_3repE0EEENS1_30default_config_static_selectorELNS0_4arch9wavefront6targetE0EEEvS12_.private_seg_size, 0
	.set _ZN7rocprim17ROCPRIM_400000_NS6detail17trampoline_kernelINS0_13select_configILj256ELj13ELNS0_17block_load_methodE3ELS4_3ELS4_3ELNS0_20block_scan_algorithmE0ELj4294967295EEENS1_25partition_config_selectorILNS1_17partition_subalgoE4EjNS0_10empty_typeEbEEZZNS1_14partition_implILS8_4ELb0ES6_15HIP_vector_typeIjLj2EENS0_17counting_iteratorIjlEEPS9_SG_NS0_5tupleIJPjSI_NS0_16reverse_iteratorISI_EEEEENSH_IJSG_SG_SG_EEES9_SI_JZNS1_25segmented_radix_sort_implINS0_14default_configELb1EPKbPbPKlPlN2at6native12_GLOBAL__N_18offset_tEEE10hipError_tPvRmT1_PNSt15iterator_traitsIS12_E10value_typeET2_T3_PNS13_IS18_E10value_typeET4_jRbjT5_S1E_jjP12ihipStream_tbEUljE_ZNSN_ISO_Lb1ESQ_SR_ST_SU_SY_EESZ_S10_S11_S12_S16_S17_S18_S1B_S1C_jS1D_jS1E_S1E_jjS1G_bEUljE0_EEESZ_S10_S11_S18_S1C_S1E_T6_T7_T9_mT8_S1G_bDpT10_ENKUlT_T0_E_clISt17integral_constantIbLb0EES1T_IbLb1EEEEDaS1P_S1Q_EUlS1P_E_NS1_11comp_targetILNS1_3genE3ELNS1_11target_archE908ELNS1_3gpuE7ELNS1_3repE0EEENS1_30default_config_static_selectorELNS0_4arch9wavefront6targetE0EEEvS12_.uses_vcc, 0
	.set _ZN7rocprim17ROCPRIM_400000_NS6detail17trampoline_kernelINS0_13select_configILj256ELj13ELNS0_17block_load_methodE3ELS4_3ELS4_3ELNS0_20block_scan_algorithmE0ELj4294967295EEENS1_25partition_config_selectorILNS1_17partition_subalgoE4EjNS0_10empty_typeEbEEZZNS1_14partition_implILS8_4ELb0ES6_15HIP_vector_typeIjLj2EENS0_17counting_iteratorIjlEEPS9_SG_NS0_5tupleIJPjSI_NS0_16reverse_iteratorISI_EEEEENSH_IJSG_SG_SG_EEES9_SI_JZNS1_25segmented_radix_sort_implINS0_14default_configELb1EPKbPbPKlPlN2at6native12_GLOBAL__N_18offset_tEEE10hipError_tPvRmT1_PNSt15iterator_traitsIS12_E10value_typeET2_T3_PNS13_IS18_E10value_typeET4_jRbjT5_S1E_jjP12ihipStream_tbEUljE_ZNSN_ISO_Lb1ESQ_SR_ST_SU_SY_EESZ_S10_S11_S12_S16_S17_S18_S1B_S1C_jS1D_jS1E_S1E_jjS1G_bEUljE0_EEESZ_S10_S11_S18_S1C_S1E_T6_T7_T9_mT8_S1G_bDpT10_ENKUlT_T0_E_clISt17integral_constantIbLb0EES1T_IbLb1EEEEDaS1P_S1Q_EUlS1P_E_NS1_11comp_targetILNS1_3genE3ELNS1_11target_archE908ELNS1_3gpuE7ELNS1_3repE0EEENS1_30default_config_static_selectorELNS0_4arch9wavefront6targetE0EEEvS12_.uses_flat_scratch, 0
	.set _ZN7rocprim17ROCPRIM_400000_NS6detail17trampoline_kernelINS0_13select_configILj256ELj13ELNS0_17block_load_methodE3ELS4_3ELS4_3ELNS0_20block_scan_algorithmE0ELj4294967295EEENS1_25partition_config_selectorILNS1_17partition_subalgoE4EjNS0_10empty_typeEbEEZZNS1_14partition_implILS8_4ELb0ES6_15HIP_vector_typeIjLj2EENS0_17counting_iteratorIjlEEPS9_SG_NS0_5tupleIJPjSI_NS0_16reverse_iteratorISI_EEEEENSH_IJSG_SG_SG_EEES9_SI_JZNS1_25segmented_radix_sort_implINS0_14default_configELb1EPKbPbPKlPlN2at6native12_GLOBAL__N_18offset_tEEE10hipError_tPvRmT1_PNSt15iterator_traitsIS12_E10value_typeET2_T3_PNS13_IS18_E10value_typeET4_jRbjT5_S1E_jjP12ihipStream_tbEUljE_ZNSN_ISO_Lb1ESQ_SR_ST_SU_SY_EESZ_S10_S11_S12_S16_S17_S18_S1B_S1C_jS1D_jS1E_S1E_jjS1G_bEUljE0_EEESZ_S10_S11_S18_S1C_S1E_T6_T7_T9_mT8_S1G_bDpT10_ENKUlT_T0_E_clISt17integral_constantIbLb0EES1T_IbLb1EEEEDaS1P_S1Q_EUlS1P_E_NS1_11comp_targetILNS1_3genE3ELNS1_11target_archE908ELNS1_3gpuE7ELNS1_3repE0EEENS1_30default_config_static_selectorELNS0_4arch9wavefront6targetE0EEEvS12_.has_dyn_sized_stack, 0
	.set _ZN7rocprim17ROCPRIM_400000_NS6detail17trampoline_kernelINS0_13select_configILj256ELj13ELNS0_17block_load_methodE3ELS4_3ELS4_3ELNS0_20block_scan_algorithmE0ELj4294967295EEENS1_25partition_config_selectorILNS1_17partition_subalgoE4EjNS0_10empty_typeEbEEZZNS1_14partition_implILS8_4ELb0ES6_15HIP_vector_typeIjLj2EENS0_17counting_iteratorIjlEEPS9_SG_NS0_5tupleIJPjSI_NS0_16reverse_iteratorISI_EEEEENSH_IJSG_SG_SG_EEES9_SI_JZNS1_25segmented_radix_sort_implINS0_14default_configELb1EPKbPbPKlPlN2at6native12_GLOBAL__N_18offset_tEEE10hipError_tPvRmT1_PNSt15iterator_traitsIS12_E10value_typeET2_T3_PNS13_IS18_E10value_typeET4_jRbjT5_S1E_jjP12ihipStream_tbEUljE_ZNSN_ISO_Lb1ESQ_SR_ST_SU_SY_EESZ_S10_S11_S12_S16_S17_S18_S1B_S1C_jS1D_jS1E_S1E_jjS1G_bEUljE0_EEESZ_S10_S11_S18_S1C_S1E_T6_T7_T9_mT8_S1G_bDpT10_ENKUlT_T0_E_clISt17integral_constantIbLb0EES1T_IbLb1EEEEDaS1P_S1Q_EUlS1P_E_NS1_11comp_targetILNS1_3genE3ELNS1_11target_archE908ELNS1_3gpuE7ELNS1_3repE0EEENS1_30default_config_static_selectorELNS0_4arch9wavefront6targetE0EEEvS12_.has_recursion, 0
	.set _ZN7rocprim17ROCPRIM_400000_NS6detail17trampoline_kernelINS0_13select_configILj256ELj13ELNS0_17block_load_methodE3ELS4_3ELS4_3ELNS0_20block_scan_algorithmE0ELj4294967295EEENS1_25partition_config_selectorILNS1_17partition_subalgoE4EjNS0_10empty_typeEbEEZZNS1_14partition_implILS8_4ELb0ES6_15HIP_vector_typeIjLj2EENS0_17counting_iteratorIjlEEPS9_SG_NS0_5tupleIJPjSI_NS0_16reverse_iteratorISI_EEEEENSH_IJSG_SG_SG_EEES9_SI_JZNS1_25segmented_radix_sort_implINS0_14default_configELb1EPKbPbPKlPlN2at6native12_GLOBAL__N_18offset_tEEE10hipError_tPvRmT1_PNSt15iterator_traitsIS12_E10value_typeET2_T3_PNS13_IS18_E10value_typeET4_jRbjT5_S1E_jjP12ihipStream_tbEUljE_ZNSN_ISO_Lb1ESQ_SR_ST_SU_SY_EESZ_S10_S11_S12_S16_S17_S18_S1B_S1C_jS1D_jS1E_S1E_jjS1G_bEUljE0_EEESZ_S10_S11_S18_S1C_S1E_T6_T7_T9_mT8_S1G_bDpT10_ENKUlT_T0_E_clISt17integral_constantIbLb0EES1T_IbLb1EEEEDaS1P_S1Q_EUlS1P_E_NS1_11comp_targetILNS1_3genE3ELNS1_11target_archE908ELNS1_3gpuE7ELNS1_3repE0EEENS1_30default_config_static_selectorELNS0_4arch9wavefront6targetE0EEEvS12_.has_indirect_call, 0
	.section	.AMDGPU.csdata,"",@progbits
; Kernel info:
; codeLenInByte = 0
; TotalNumSgprs: 0
; NumVgprs: 0
; ScratchSize: 0
; MemoryBound: 0
; FloatMode: 240
; IeeeMode: 1
; LDSByteSize: 0 bytes/workgroup (compile time only)
; SGPRBlocks: 0
; VGPRBlocks: 0
; NumSGPRsForWavesPerEU: 1
; NumVGPRsForWavesPerEU: 1
; NamedBarCnt: 0
; Occupancy: 16
; WaveLimiterHint : 0
; COMPUTE_PGM_RSRC2:SCRATCH_EN: 0
; COMPUTE_PGM_RSRC2:USER_SGPR: 2
; COMPUTE_PGM_RSRC2:TRAP_HANDLER: 0
; COMPUTE_PGM_RSRC2:TGID_X_EN: 1
; COMPUTE_PGM_RSRC2:TGID_Y_EN: 0
; COMPUTE_PGM_RSRC2:TGID_Z_EN: 0
; COMPUTE_PGM_RSRC2:TIDIG_COMP_CNT: 0
	.section	.text._ZN7rocprim17ROCPRIM_400000_NS6detail17trampoline_kernelINS0_13select_configILj256ELj13ELNS0_17block_load_methodE3ELS4_3ELS4_3ELNS0_20block_scan_algorithmE0ELj4294967295EEENS1_25partition_config_selectorILNS1_17partition_subalgoE4EjNS0_10empty_typeEbEEZZNS1_14partition_implILS8_4ELb0ES6_15HIP_vector_typeIjLj2EENS0_17counting_iteratorIjlEEPS9_SG_NS0_5tupleIJPjSI_NS0_16reverse_iteratorISI_EEEEENSH_IJSG_SG_SG_EEES9_SI_JZNS1_25segmented_radix_sort_implINS0_14default_configELb1EPKbPbPKlPlN2at6native12_GLOBAL__N_18offset_tEEE10hipError_tPvRmT1_PNSt15iterator_traitsIS12_E10value_typeET2_T3_PNS13_IS18_E10value_typeET4_jRbjT5_S1E_jjP12ihipStream_tbEUljE_ZNSN_ISO_Lb1ESQ_SR_ST_SU_SY_EESZ_S10_S11_S12_S16_S17_S18_S1B_S1C_jS1D_jS1E_S1E_jjS1G_bEUljE0_EEESZ_S10_S11_S18_S1C_S1E_T6_T7_T9_mT8_S1G_bDpT10_ENKUlT_T0_E_clISt17integral_constantIbLb0EES1T_IbLb1EEEEDaS1P_S1Q_EUlS1P_E_NS1_11comp_targetILNS1_3genE2ELNS1_11target_archE906ELNS1_3gpuE6ELNS1_3repE0EEENS1_30default_config_static_selectorELNS0_4arch9wavefront6targetE0EEEvS12_,"axG",@progbits,_ZN7rocprim17ROCPRIM_400000_NS6detail17trampoline_kernelINS0_13select_configILj256ELj13ELNS0_17block_load_methodE3ELS4_3ELS4_3ELNS0_20block_scan_algorithmE0ELj4294967295EEENS1_25partition_config_selectorILNS1_17partition_subalgoE4EjNS0_10empty_typeEbEEZZNS1_14partition_implILS8_4ELb0ES6_15HIP_vector_typeIjLj2EENS0_17counting_iteratorIjlEEPS9_SG_NS0_5tupleIJPjSI_NS0_16reverse_iteratorISI_EEEEENSH_IJSG_SG_SG_EEES9_SI_JZNS1_25segmented_radix_sort_implINS0_14default_configELb1EPKbPbPKlPlN2at6native12_GLOBAL__N_18offset_tEEE10hipError_tPvRmT1_PNSt15iterator_traitsIS12_E10value_typeET2_T3_PNS13_IS18_E10value_typeET4_jRbjT5_S1E_jjP12ihipStream_tbEUljE_ZNSN_ISO_Lb1ESQ_SR_ST_SU_SY_EESZ_S10_S11_S12_S16_S17_S18_S1B_S1C_jS1D_jS1E_S1E_jjS1G_bEUljE0_EEESZ_S10_S11_S18_S1C_S1E_T6_T7_T9_mT8_S1G_bDpT10_ENKUlT_T0_E_clISt17integral_constantIbLb0EES1T_IbLb1EEEEDaS1P_S1Q_EUlS1P_E_NS1_11comp_targetILNS1_3genE2ELNS1_11target_archE906ELNS1_3gpuE6ELNS1_3repE0EEENS1_30default_config_static_selectorELNS0_4arch9wavefront6targetE0EEEvS12_,comdat
	.globl	_ZN7rocprim17ROCPRIM_400000_NS6detail17trampoline_kernelINS0_13select_configILj256ELj13ELNS0_17block_load_methodE3ELS4_3ELS4_3ELNS0_20block_scan_algorithmE0ELj4294967295EEENS1_25partition_config_selectorILNS1_17partition_subalgoE4EjNS0_10empty_typeEbEEZZNS1_14partition_implILS8_4ELb0ES6_15HIP_vector_typeIjLj2EENS0_17counting_iteratorIjlEEPS9_SG_NS0_5tupleIJPjSI_NS0_16reverse_iteratorISI_EEEEENSH_IJSG_SG_SG_EEES9_SI_JZNS1_25segmented_radix_sort_implINS0_14default_configELb1EPKbPbPKlPlN2at6native12_GLOBAL__N_18offset_tEEE10hipError_tPvRmT1_PNSt15iterator_traitsIS12_E10value_typeET2_T3_PNS13_IS18_E10value_typeET4_jRbjT5_S1E_jjP12ihipStream_tbEUljE_ZNSN_ISO_Lb1ESQ_SR_ST_SU_SY_EESZ_S10_S11_S12_S16_S17_S18_S1B_S1C_jS1D_jS1E_S1E_jjS1G_bEUljE0_EEESZ_S10_S11_S18_S1C_S1E_T6_T7_T9_mT8_S1G_bDpT10_ENKUlT_T0_E_clISt17integral_constantIbLb0EES1T_IbLb1EEEEDaS1P_S1Q_EUlS1P_E_NS1_11comp_targetILNS1_3genE2ELNS1_11target_archE906ELNS1_3gpuE6ELNS1_3repE0EEENS1_30default_config_static_selectorELNS0_4arch9wavefront6targetE0EEEvS12_ ; -- Begin function _ZN7rocprim17ROCPRIM_400000_NS6detail17trampoline_kernelINS0_13select_configILj256ELj13ELNS0_17block_load_methodE3ELS4_3ELS4_3ELNS0_20block_scan_algorithmE0ELj4294967295EEENS1_25partition_config_selectorILNS1_17partition_subalgoE4EjNS0_10empty_typeEbEEZZNS1_14partition_implILS8_4ELb0ES6_15HIP_vector_typeIjLj2EENS0_17counting_iteratorIjlEEPS9_SG_NS0_5tupleIJPjSI_NS0_16reverse_iteratorISI_EEEEENSH_IJSG_SG_SG_EEES9_SI_JZNS1_25segmented_radix_sort_implINS0_14default_configELb1EPKbPbPKlPlN2at6native12_GLOBAL__N_18offset_tEEE10hipError_tPvRmT1_PNSt15iterator_traitsIS12_E10value_typeET2_T3_PNS13_IS18_E10value_typeET4_jRbjT5_S1E_jjP12ihipStream_tbEUljE_ZNSN_ISO_Lb1ESQ_SR_ST_SU_SY_EESZ_S10_S11_S12_S16_S17_S18_S1B_S1C_jS1D_jS1E_S1E_jjS1G_bEUljE0_EEESZ_S10_S11_S18_S1C_S1E_T6_T7_T9_mT8_S1G_bDpT10_ENKUlT_T0_E_clISt17integral_constantIbLb0EES1T_IbLb1EEEEDaS1P_S1Q_EUlS1P_E_NS1_11comp_targetILNS1_3genE2ELNS1_11target_archE906ELNS1_3gpuE6ELNS1_3repE0EEENS1_30default_config_static_selectorELNS0_4arch9wavefront6targetE0EEEvS12_
	.p2align	8
	.type	_ZN7rocprim17ROCPRIM_400000_NS6detail17trampoline_kernelINS0_13select_configILj256ELj13ELNS0_17block_load_methodE3ELS4_3ELS4_3ELNS0_20block_scan_algorithmE0ELj4294967295EEENS1_25partition_config_selectorILNS1_17partition_subalgoE4EjNS0_10empty_typeEbEEZZNS1_14partition_implILS8_4ELb0ES6_15HIP_vector_typeIjLj2EENS0_17counting_iteratorIjlEEPS9_SG_NS0_5tupleIJPjSI_NS0_16reverse_iteratorISI_EEEEENSH_IJSG_SG_SG_EEES9_SI_JZNS1_25segmented_radix_sort_implINS0_14default_configELb1EPKbPbPKlPlN2at6native12_GLOBAL__N_18offset_tEEE10hipError_tPvRmT1_PNSt15iterator_traitsIS12_E10value_typeET2_T3_PNS13_IS18_E10value_typeET4_jRbjT5_S1E_jjP12ihipStream_tbEUljE_ZNSN_ISO_Lb1ESQ_SR_ST_SU_SY_EESZ_S10_S11_S12_S16_S17_S18_S1B_S1C_jS1D_jS1E_S1E_jjS1G_bEUljE0_EEESZ_S10_S11_S18_S1C_S1E_T6_T7_T9_mT8_S1G_bDpT10_ENKUlT_T0_E_clISt17integral_constantIbLb0EES1T_IbLb1EEEEDaS1P_S1Q_EUlS1P_E_NS1_11comp_targetILNS1_3genE2ELNS1_11target_archE906ELNS1_3gpuE6ELNS1_3repE0EEENS1_30default_config_static_selectorELNS0_4arch9wavefront6targetE0EEEvS12_,@function
_ZN7rocprim17ROCPRIM_400000_NS6detail17trampoline_kernelINS0_13select_configILj256ELj13ELNS0_17block_load_methodE3ELS4_3ELS4_3ELNS0_20block_scan_algorithmE0ELj4294967295EEENS1_25partition_config_selectorILNS1_17partition_subalgoE4EjNS0_10empty_typeEbEEZZNS1_14partition_implILS8_4ELb0ES6_15HIP_vector_typeIjLj2EENS0_17counting_iteratorIjlEEPS9_SG_NS0_5tupleIJPjSI_NS0_16reverse_iteratorISI_EEEEENSH_IJSG_SG_SG_EEES9_SI_JZNS1_25segmented_radix_sort_implINS0_14default_configELb1EPKbPbPKlPlN2at6native12_GLOBAL__N_18offset_tEEE10hipError_tPvRmT1_PNSt15iterator_traitsIS12_E10value_typeET2_T3_PNS13_IS18_E10value_typeET4_jRbjT5_S1E_jjP12ihipStream_tbEUljE_ZNSN_ISO_Lb1ESQ_SR_ST_SU_SY_EESZ_S10_S11_S12_S16_S17_S18_S1B_S1C_jS1D_jS1E_S1E_jjS1G_bEUljE0_EEESZ_S10_S11_S18_S1C_S1E_T6_T7_T9_mT8_S1G_bDpT10_ENKUlT_T0_E_clISt17integral_constantIbLb0EES1T_IbLb1EEEEDaS1P_S1Q_EUlS1P_E_NS1_11comp_targetILNS1_3genE2ELNS1_11target_archE906ELNS1_3gpuE6ELNS1_3repE0EEENS1_30default_config_static_selectorELNS0_4arch9wavefront6targetE0EEEvS12_: ; @_ZN7rocprim17ROCPRIM_400000_NS6detail17trampoline_kernelINS0_13select_configILj256ELj13ELNS0_17block_load_methodE3ELS4_3ELS4_3ELNS0_20block_scan_algorithmE0ELj4294967295EEENS1_25partition_config_selectorILNS1_17partition_subalgoE4EjNS0_10empty_typeEbEEZZNS1_14partition_implILS8_4ELb0ES6_15HIP_vector_typeIjLj2EENS0_17counting_iteratorIjlEEPS9_SG_NS0_5tupleIJPjSI_NS0_16reverse_iteratorISI_EEEEENSH_IJSG_SG_SG_EEES9_SI_JZNS1_25segmented_radix_sort_implINS0_14default_configELb1EPKbPbPKlPlN2at6native12_GLOBAL__N_18offset_tEEE10hipError_tPvRmT1_PNSt15iterator_traitsIS12_E10value_typeET2_T3_PNS13_IS18_E10value_typeET4_jRbjT5_S1E_jjP12ihipStream_tbEUljE_ZNSN_ISO_Lb1ESQ_SR_ST_SU_SY_EESZ_S10_S11_S12_S16_S17_S18_S1B_S1C_jS1D_jS1E_S1E_jjS1G_bEUljE0_EEESZ_S10_S11_S18_S1C_S1E_T6_T7_T9_mT8_S1G_bDpT10_ENKUlT_T0_E_clISt17integral_constantIbLb0EES1T_IbLb1EEEEDaS1P_S1Q_EUlS1P_E_NS1_11comp_targetILNS1_3genE2ELNS1_11target_archE906ELNS1_3gpuE6ELNS1_3repE0EEENS1_30default_config_static_selectorELNS0_4arch9wavefront6targetE0EEEvS12_
; %bb.0:
	.section	.rodata,"a",@progbits
	.p2align	6, 0x0
	.amdhsa_kernel _ZN7rocprim17ROCPRIM_400000_NS6detail17trampoline_kernelINS0_13select_configILj256ELj13ELNS0_17block_load_methodE3ELS4_3ELS4_3ELNS0_20block_scan_algorithmE0ELj4294967295EEENS1_25partition_config_selectorILNS1_17partition_subalgoE4EjNS0_10empty_typeEbEEZZNS1_14partition_implILS8_4ELb0ES6_15HIP_vector_typeIjLj2EENS0_17counting_iteratorIjlEEPS9_SG_NS0_5tupleIJPjSI_NS0_16reverse_iteratorISI_EEEEENSH_IJSG_SG_SG_EEES9_SI_JZNS1_25segmented_radix_sort_implINS0_14default_configELb1EPKbPbPKlPlN2at6native12_GLOBAL__N_18offset_tEEE10hipError_tPvRmT1_PNSt15iterator_traitsIS12_E10value_typeET2_T3_PNS13_IS18_E10value_typeET4_jRbjT5_S1E_jjP12ihipStream_tbEUljE_ZNSN_ISO_Lb1ESQ_SR_ST_SU_SY_EESZ_S10_S11_S12_S16_S17_S18_S1B_S1C_jS1D_jS1E_S1E_jjS1G_bEUljE0_EEESZ_S10_S11_S18_S1C_S1E_T6_T7_T9_mT8_S1G_bDpT10_ENKUlT_T0_E_clISt17integral_constantIbLb0EES1T_IbLb1EEEEDaS1P_S1Q_EUlS1P_E_NS1_11comp_targetILNS1_3genE2ELNS1_11target_archE906ELNS1_3gpuE6ELNS1_3repE0EEENS1_30default_config_static_selectorELNS0_4arch9wavefront6targetE0EEEvS12_
		.amdhsa_group_segment_fixed_size 0
		.amdhsa_private_segment_fixed_size 0
		.amdhsa_kernarg_size 184
		.amdhsa_user_sgpr_count 2
		.amdhsa_user_sgpr_dispatch_ptr 0
		.amdhsa_user_sgpr_queue_ptr 0
		.amdhsa_user_sgpr_kernarg_segment_ptr 1
		.amdhsa_user_sgpr_dispatch_id 0
		.amdhsa_user_sgpr_kernarg_preload_length 0
		.amdhsa_user_sgpr_kernarg_preload_offset 0
		.amdhsa_user_sgpr_private_segment_size 0
		.amdhsa_wavefront_size32 1
		.amdhsa_uses_dynamic_stack 0
		.amdhsa_enable_private_segment 0
		.amdhsa_system_sgpr_workgroup_id_x 1
		.amdhsa_system_sgpr_workgroup_id_y 0
		.amdhsa_system_sgpr_workgroup_id_z 0
		.amdhsa_system_sgpr_workgroup_info 0
		.amdhsa_system_vgpr_workitem_id 0
		.amdhsa_next_free_vgpr 1
		.amdhsa_next_free_sgpr 1
		.amdhsa_named_barrier_count 0
		.amdhsa_reserve_vcc 0
		.amdhsa_float_round_mode_32 0
		.amdhsa_float_round_mode_16_64 0
		.amdhsa_float_denorm_mode_32 3
		.amdhsa_float_denorm_mode_16_64 3
		.amdhsa_fp16_overflow 0
		.amdhsa_memory_ordered 1
		.amdhsa_forward_progress 1
		.amdhsa_inst_pref_size 0
		.amdhsa_round_robin_scheduling 0
		.amdhsa_exception_fp_ieee_invalid_op 0
		.amdhsa_exception_fp_denorm_src 0
		.amdhsa_exception_fp_ieee_div_zero 0
		.amdhsa_exception_fp_ieee_overflow 0
		.amdhsa_exception_fp_ieee_underflow 0
		.amdhsa_exception_fp_ieee_inexact 0
		.amdhsa_exception_int_div_zero 0
	.end_amdhsa_kernel
	.section	.text._ZN7rocprim17ROCPRIM_400000_NS6detail17trampoline_kernelINS0_13select_configILj256ELj13ELNS0_17block_load_methodE3ELS4_3ELS4_3ELNS0_20block_scan_algorithmE0ELj4294967295EEENS1_25partition_config_selectorILNS1_17partition_subalgoE4EjNS0_10empty_typeEbEEZZNS1_14partition_implILS8_4ELb0ES6_15HIP_vector_typeIjLj2EENS0_17counting_iteratorIjlEEPS9_SG_NS0_5tupleIJPjSI_NS0_16reverse_iteratorISI_EEEEENSH_IJSG_SG_SG_EEES9_SI_JZNS1_25segmented_radix_sort_implINS0_14default_configELb1EPKbPbPKlPlN2at6native12_GLOBAL__N_18offset_tEEE10hipError_tPvRmT1_PNSt15iterator_traitsIS12_E10value_typeET2_T3_PNS13_IS18_E10value_typeET4_jRbjT5_S1E_jjP12ihipStream_tbEUljE_ZNSN_ISO_Lb1ESQ_SR_ST_SU_SY_EESZ_S10_S11_S12_S16_S17_S18_S1B_S1C_jS1D_jS1E_S1E_jjS1G_bEUljE0_EEESZ_S10_S11_S18_S1C_S1E_T6_T7_T9_mT8_S1G_bDpT10_ENKUlT_T0_E_clISt17integral_constantIbLb0EES1T_IbLb1EEEEDaS1P_S1Q_EUlS1P_E_NS1_11comp_targetILNS1_3genE2ELNS1_11target_archE906ELNS1_3gpuE6ELNS1_3repE0EEENS1_30default_config_static_selectorELNS0_4arch9wavefront6targetE0EEEvS12_,"axG",@progbits,_ZN7rocprim17ROCPRIM_400000_NS6detail17trampoline_kernelINS0_13select_configILj256ELj13ELNS0_17block_load_methodE3ELS4_3ELS4_3ELNS0_20block_scan_algorithmE0ELj4294967295EEENS1_25partition_config_selectorILNS1_17partition_subalgoE4EjNS0_10empty_typeEbEEZZNS1_14partition_implILS8_4ELb0ES6_15HIP_vector_typeIjLj2EENS0_17counting_iteratorIjlEEPS9_SG_NS0_5tupleIJPjSI_NS0_16reverse_iteratorISI_EEEEENSH_IJSG_SG_SG_EEES9_SI_JZNS1_25segmented_radix_sort_implINS0_14default_configELb1EPKbPbPKlPlN2at6native12_GLOBAL__N_18offset_tEEE10hipError_tPvRmT1_PNSt15iterator_traitsIS12_E10value_typeET2_T3_PNS13_IS18_E10value_typeET4_jRbjT5_S1E_jjP12ihipStream_tbEUljE_ZNSN_ISO_Lb1ESQ_SR_ST_SU_SY_EESZ_S10_S11_S12_S16_S17_S18_S1B_S1C_jS1D_jS1E_S1E_jjS1G_bEUljE0_EEESZ_S10_S11_S18_S1C_S1E_T6_T7_T9_mT8_S1G_bDpT10_ENKUlT_T0_E_clISt17integral_constantIbLb0EES1T_IbLb1EEEEDaS1P_S1Q_EUlS1P_E_NS1_11comp_targetILNS1_3genE2ELNS1_11target_archE906ELNS1_3gpuE6ELNS1_3repE0EEENS1_30default_config_static_selectorELNS0_4arch9wavefront6targetE0EEEvS12_,comdat
.Lfunc_end1488:
	.size	_ZN7rocprim17ROCPRIM_400000_NS6detail17trampoline_kernelINS0_13select_configILj256ELj13ELNS0_17block_load_methodE3ELS4_3ELS4_3ELNS0_20block_scan_algorithmE0ELj4294967295EEENS1_25partition_config_selectorILNS1_17partition_subalgoE4EjNS0_10empty_typeEbEEZZNS1_14partition_implILS8_4ELb0ES6_15HIP_vector_typeIjLj2EENS0_17counting_iteratorIjlEEPS9_SG_NS0_5tupleIJPjSI_NS0_16reverse_iteratorISI_EEEEENSH_IJSG_SG_SG_EEES9_SI_JZNS1_25segmented_radix_sort_implINS0_14default_configELb1EPKbPbPKlPlN2at6native12_GLOBAL__N_18offset_tEEE10hipError_tPvRmT1_PNSt15iterator_traitsIS12_E10value_typeET2_T3_PNS13_IS18_E10value_typeET4_jRbjT5_S1E_jjP12ihipStream_tbEUljE_ZNSN_ISO_Lb1ESQ_SR_ST_SU_SY_EESZ_S10_S11_S12_S16_S17_S18_S1B_S1C_jS1D_jS1E_S1E_jjS1G_bEUljE0_EEESZ_S10_S11_S18_S1C_S1E_T6_T7_T9_mT8_S1G_bDpT10_ENKUlT_T0_E_clISt17integral_constantIbLb0EES1T_IbLb1EEEEDaS1P_S1Q_EUlS1P_E_NS1_11comp_targetILNS1_3genE2ELNS1_11target_archE906ELNS1_3gpuE6ELNS1_3repE0EEENS1_30default_config_static_selectorELNS0_4arch9wavefront6targetE0EEEvS12_, .Lfunc_end1488-_ZN7rocprim17ROCPRIM_400000_NS6detail17trampoline_kernelINS0_13select_configILj256ELj13ELNS0_17block_load_methodE3ELS4_3ELS4_3ELNS0_20block_scan_algorithmE0ELj4294967295EEENS1_25partition_config_selectorILNS1_17partition_subalgoE4EjNS0_10empty_typeEbEEZZNS1_14partition_implILS8_4ELb0ES6_15HIP_vector_typeIjLj2EENS0_17counting_iteratorIjlEEPS9_SG_NS0_5tupleIJPjSI_NS0_16reverse_iteratorISI_EEEEENSH_IJSG_SG_SG_EEES9_SI_JZNS1_25segmented_radix_sort_implINS0_14default_configELb1EPKbPbPKlPlN2at6native12_GLOBAL__N_18offset_tEEE10hipError_tPvRmT1_PNSt15iterator_traitsIS12_E10value_typeET2_T3_PNS13_IS18_E10value_typeET4_jRbjT5_S1E_jjP12ihipStream_tbEUljE_ZNSN_ISO_Lb1ESQ_SR_ST_SU_SY_EESZ_S10_S11_S12_S16_S17_S18_S1B_S1C_jS1D_jS1E_S1E_jjS1G_bEUljE0_EEESZ_S10_S11_S18_S1C_S1E_T6_T7_T9_mT8_S1G_bDpT10_ENKUlT_T0_E_clISt17integral_constantIbLb0EES1T_IbLb1EEEEDaS1P_S1Q_EUlS1P_E_NS1_11comp_targetILNS1_3genE2ELNS1_11target_archE906ELNS1_3gpuE6ELNS1_3repE0EEENS1_30default_config_static_selectorELNS0_4arch9wavefront6targetE0EEEvS12_
                                        ; -- End function
	.set _ZN7rocprim17ROCPRIM_400000_NS6detail17trampoline_kernelINS0_13select_configILj256ELj13ELNS0_17block_load_methodE3ELS4_3ELS4_3ELNS0_20block_scan_algorithmE0ELj4294967295EEENS1_25partition_config_selectorILNS1_17partition_subalgoE4EjNS0_10empty_typeEbEEZZNS1_14partition_implILS8_4ELb0ES6_15HIP_vector_typeIjLj2EENS0_17counting_iteratorIjlEEPS9_SG_NS0_5tupleIJPjSI_NS0_16reverse_iteratorISI_EEEEENSH_IJSG_SG_SG_EEES9_SI_JZNS1_25segmented_radix_sort_implINS0_14default_configELb1EPKbPbPKlPlN2at6native12_GLOBAL__N_18offset_tEEE10hipError_tPvRmT1_PNSt15iterator_traitsIS12_E10value_typeET2_T3_PNS13_IS18_E10value_typeET4_jRbjT5_S1E_jjP12ihipStream_tbEUljE_ZNSN_ISO_Lb1ESQ_SR_ST_SU_SY_EESZ_S10_S11_S12_S16_S17_S18_S1B_S1C_jS1D_jS1E_S1E_jjS1G_bEUljE0_EEESZ_S10_S11_S18_S1C_S1E_T6_T7_T9_mT8_S1G_bDpT10_ENKUlT_T0_E_clISt17integral_constantIbLb0EES1T_IbLb1EEEEDaS1P_S1Q_EUlS1P_E_NS1_11comp_targetILNS1_3genE2ELNS1_11target_archE906ELNS1_3gpuE6ELNS1_3repE0EEENS1_30default_config_static_selectorELNS0_4arch9wavefront6targetE0EEEvS12_.num_vgpr, 0
	.set _ZN7rocprim17ROCPRIM_400000_NS6detail17trampoline_kernelINS0_13select_configILj256ELj13ELNS0_17block_load_methodE3ELS4_3ELS4_3ELNS0_20block_scan_algorithmE0ELj4294967295EEENS1_25partition_config_selectorILNS1_17partition_subalgoE4EjNS0_10empty_typeEbEEZZNS1_14partition_implILS8_4ELb0ES6_15HIP_vector_typeIjLj2EENS0_17counting_iteratorIjlEEPS9_SG_NS0_5tupleIJPjSI_NS0_16reverse_iteratorISI_EEEEENSH_IJSG_SG_SG_EEES9_SI_JZNS1_25segmented_radix_sort_implINS0_14default_configELb1EPKbPbPKlPlN2at6native12_GLOBAL__N_18offset_tEEE10hipError_tPvRmT1_PNSt15iterator_traitsIS12_E10value_typeET2_T3_PNS13_IS18_E10value_typeET4_jRbjT5_S1E_jjP12ihipStream_tbEUljE_ZNSN_ISO_Lb1ESQ_SR_ST_SU_SY_EESZ_S10_S11_S12_S16_S17_S18_S1B_S1C_jS1D_jS1E_S1E_jjS1G_bEUljE0_EEESZ_S10_S11_S18_S1C_S1E_T6_T7_T9_mT8_S1G_bDpT10_ENKUlT_T0_E_clISt17integral_constantIbLb0EES1T_IbLb1EEEEDaS1P_S1Q_EUlS1P_E_NS1_11comp_targetILNS1_3genE2ELNS1_11target_archE906ELNS1_3gpuE6ELNS1_3repE0EEENS1_30default_config_static_selectorELNS0_4arch9wavefront6targetE0EEEvS12_.num_agpr, 0
	.set _ZN7rocprim17ROCPRIM_400000_NS6detail17trampoline_kernelINS0_13select_configILj256ELj13ELNS0_17block_load_methodE3ELS4_3ELS4_3ELNS0_20block_scan_algorithmE0ELj4294967295EEENS1_25partition_config_selectorILNS1_17partition_subalgoE4EjNS0_10empty_typeEbEEZZNS1_14partition_implILS8_4ELb0ES6_15HIP_vector_typeIjLj2EENS0_17counting_iteratorIjlEEPS9_SG_NS0_5tupleIJPjSI_NS0_16reverse_iteratorISI_EEEEENSH_IJSG_SG_SG_EEES9_SI_JZNS1_25segmented_radix_sort_implINS0_14default_configELb1EPKbPbPKlPlN2at6native12_GLOBAL__N_18offset_tEEE10hipError_tPvRmT1_PNSt15iterator_traitsIS12_E10value_typeET2_T3_PNS13_IS18_E10value_typeET4_jRbjT5_S1E_jjP12ihipStream_tbEUljE_ZNSN_ISO_Lb1ESQ_SR_ST_SU_SY_EESZ_S10_S11_S12_S16_S17_S18_S1B_S1C_jS1D_jS1E_S1E_jjS1G_bEUljE0_EEESZ_S10_S11_S18_S1C_S1E_T6_T7_T9_mT8_S1G_bDpT10_ENKUlT_T0_E_clISt17integral_constantIbLb0EES1T_IbLb1EEEEDaS1P_S1Q_EUlS1P_E_NS1_11comp_targetILNS1_3genE2ELNS1_11target_archE906ELNS1_3gpuE6ELNS1_3repE0EEENS1_30default_config_static_selectorELNS0_4arch9wavefront6targetE0EEEvS12_.numbered_sgpr, 0
	.set _ZN7rocprim17ROCPRIM_400000_NS6detail17trampoline_kernelINS0_13select_configILj256ELj13ELNS0_17block_load_methodE3ELS4_3ELS4_3ELNS0_20block_scan_algorithmE0ELj4294967295EEENS1_25partition_config_selectorILNS1_17partition_subalgoE4EjNS0_10empty_typeEbEEZZNS1_14partition_implILS8_4ELb0ES6_15HIP_vector_typeIjLj2EENS0_17counting_iteratorIjlEEPS9_SG_NS0_5tupleIJPjSI_NS0_16reverse_iteratorISI_EEEEENSH_IJSG_SG_SG_EEES9_SI_JZNS1_25segmented_radix_sort_implINS0_14default_configELb1EPKbPbPKlPlN2at6native12_GLOBAL__N_18offset_tEEE10hipError_tPvRmT1_PNSt15iterator_traitsIS12_E10value_typeET2_T3_PNS13_IS18_E10value_typeET4_jRbjT5_S1E_jjP12ihipStream_tbEUljE_ZNSN_ISO_Lb1ESQ_SR_ST_SU_SY_EESZ_S10_S11_S12_S16_S17_S18_S1B_S1C_jS1D_jS1E_S1E_jjS1G_bEUljE0_EEESZ_S10_S11_S18_S1C_S1E_T6_T7_T9_mT8_S1G_bDpT10_ENKUlT_T0_E_clISt17integral_constantIbLb0EES1T_IbLb1EEEEDaS1P_S1Q_EUlS1P_E_NS1_11comp_targetILNS1_3genE2ELNS1_11target_archE906ELNS1_3gpuE6ELNS1_3repE0EEENS1_30default_config_static_selectorELNS0_4arch9wavefront6targetE0EEEvS12_.num_named_barrier, 0
	.set _ZN7rocprim17ROCPRIM_400000_NS6detail17trampoline_kernelINS0_13select_configILj256ELj13ELNS0_17block_load_methodE3ELS4_3ELS4_3ELNS0_20block_scan_algorithmE0ELj4294967295EEENS1_25partition_config_selectorILNS1_17partition_subalgoE4EjNS0_10empty_typeEbEEZZNS1_14partition_implILS8_4ELb0ES6_15HIP_vector_typeIjLj2EENS0_17counting_iteratorIjlEEPS9_SG_NS0_5tupleIJPjSI_NS0_16reverse_iteratorISI_EEEEENSH_IJSG_SG_SG_EEES9_SI_JZNS1_25segmented_radix_sort_implINS0_14default_configELb1EPKbPbPKlPlN2at6native12_GLOBAL__N_18offset_tEEE10hipError_tPvRmT1_PNSt15iterator_traitsIS12_E10value_typeET2_T3_PNS13_IS18_E10value_typeET4_jRbjT5_S1E_jjP12ihipStream_tbEUljE_ZNSN_ISO_Lb1ESQ_SR_ST_SU_SY_EESZ_S10_S11_S12_S16_S17_S18_S1B_S1C_jS1D_jS1E_S1E_jjS1G_bEUljE0_EEESZ_S10_S11_S18_S1C_S1E_T6_T7_T9_mT8_S1G_bDpT10_ENKUlT_T0_E_clISt17integral_constantIbLb0EES1T_IbLb1EEEEDaS1P_S1Q_EUlS1P_E_NS1_11comp_targetILNS1_3genE2ELNS1_11target_archE906ELNS1_3gpuE6ELNS1_3repE0EEENS1_30default_config_static_selectorELNS0_4arch9wavefront6targetE0EEEvS12_.private_seg_size, 0
	.set _ZN7rocprim17ROCPRIM_400000_NS6detail17trampoline_kernelINS0_13select_configILj256ELj13ELNS0_17block_load_methodE3ELS4_3ELS4_3ELNS0_20block_scan_algorithmE0ELj4294967295EEENS1_25partition_config_selectorILNS1_17partition_subalgoE4EjNS0_10empty_typeEbEEZZNS1_14partition_implILS8_4ELb0ES6_15HIP_vector_typeIjLj2EENS0_17counting_iteratorIjlEEPS9_SG_NS0_5tupleIJPjSI_NS0_16reverse_iteratorISI_EEEEENSH_IJSG_SG_SG_EEES9_SI_JZNS1_25segmented_radix_sort_implINS0_14default_configELb1EPKbPbPKlPlN2at6native12_GLOBAL__N_18offset_tEEE10hipError_tPvRmT1_PNSt15iterator_traitsIS12_E10value_typeET2_T3_PNS13_IS18_E10value_typeET4_jRbjT5_S1E_jjP12ihipStream_tbEUljE_ZNSN_ISO_Lb1ESQ_SR_ST_SU_SY_EESZ_S10_S11_S12_S16_S17_S18_S1B_S1C_jS1D_jS1E_S1E_jjS1G_bEUljE0_EEESZ_S10_S11_S18_S1C_S1E_T6_T7_T9_mT8_S1G_bDpT10_ENKUlT_T0_E_clISt17integral_constantIbLb0EES1T_IbLb1EEEEDaS1P_S1Q_EUlS1P_E_NS1_11comp_targetILNS1_3genE2ELNS1_11target_archE906ELNS1_3gpuE6ELNS1_3repE0EEENS1_30default_config_static_selectorELNS0_4arch9wavefront6targetE0EEEvS12_.uses_vcc, 0
	.set _ZN7rocprim17ROCPRIM_400000_NS6detail17trampoline_kernelINS0_13select_configILj256ELj13ELNS0_17block_load_methodE3ELS4_3ELS4_3ELNS0_20block_scan_algorithmE0ELj4294967295EEENS1_25partition_config_selectorILNS1_17partition_subalgoE4EjNS0_10empty_typeEbEEZZNS1_14partition_implILS8_4ELb0ES6_15HIP_vector_typeIjLj2EENS0_17counting_iteratorIjlEEPS9_SG_NS0_5tupleIJPjSI_NS0_16reverse_iteratorISI_EEEEENSH_IJSG_SG_SG_EEES9_SI_JZNS1_25segmented_radix_sort_implINS0_14default_configELb1EPKbPbPKlPlN2at6native12_GLOBAL__N_18offset_tEEE10hipError_tPvRmT1_PNSt15iterator_traitsIS12_E10value_typeET2_T3_PNS13_IS18_E10value_typeET4_jRbjT5_S1E_jjP12ihipStream_tbEUljE_ZNSN_ISO_Lb1ESQ_SR_ST_SU_SY_EESZ_S10_S11_S12_S16_S17_S18_S1B_S1C_jS1D_jS1E_S1E_jjS1G_bEUljE0_EEESZ_S10_S11_S18_S1C_S1E_T6_T7_T9_mT8_S1G_bDpT10_ENKUlT_T0_E_clISt17integral_constantIbLb0EES1T_IbLb1EEEEDaS1P_S1Q_EUlS1P_E_NS1_11comp_targetILNS1_3genE2ELNS1_11target_archE906ELNS1_3gpuE6ELNS1_3repE0EEENS1_30default_config_static_selectorELNS0_4arch9wavefront6targetE0EEEvS12_.uses_flat_scratch, 0
	.set _ZN7rocprim17ROCPRIM_400000_NS6detail17trampoline_kernelINS0_13select_configILj256ELj13ELNS0_17block_load_methodE3ELS4_3ELS4_3ELNS0_20block_scan_algorithmE0ELj4294967295EEENS1_25partition_config_selectorILNS1_17partition_subalgoE4EjNS0_10empty_typeEbEEZZNS1_14partition_implILS8_4ELb0ES6_15HIP_vector_typeIjLj2EENS0_17counting_iteratorIjlEEPS9_SG_NS0_5tupleIJPjSI_NS0_16reverse_iteratorISI_EEEEENSH_IJSG_SG_SG_EEES9_SI_JZNS1_25segmented_radix_sort_implINS0_14default_configELb1EPKbPbPKlPlN2at6native12_GLOBAL__N_18offset_tEEE10hipError_tPvRmT1_PNSt15iterator_traitsIS12_E10value_typeET2_T3_PNS13_IS18_E10value_typeET4_jRbjT5_S1E_jjP12ihipStream_tbEUljE_ZNSN_ISO_Lb1ESQ_SR_ST_SU_SY_EESZ_S10_S11_S12_S16_S17_S18_S1B_S1C_jS1D_jS1E_S1E_jjS1G_bEUljE0_EEESZ_S10_S11_S18_S1C_S1E_T6_T7_T9_mT8_S1G_bDpT10_ENKUlT_T0_E_clISt17integral_constantIbLb0EES1T_IbLb1EEEEDaS1P_S1Q_EUlS1P_E_NS1_11comp_targetILNS1_3genE2ELNS1_11target_archE906ELNS1_3gpuE6ELNS1_3repE0EEENS1_30default_config_static_selectorELNS0_4arch9wavefront6targetE0EEEvS12_.has_dyn_sized_stack, 0
	.set _ZN7rocprim17ROCPRIM_400000_NS6detail17trampoline_kernelINS0_13select_configILj256ELj13ELNS0_17block_load_methodE3ELS4_3ELS4_3ELNS0_20block_scan_algorithmE0ELj4294967295EEENS1_25partition_config_selectorILNS1_17partition_subalgoE4EjNS0_10empty_typeEbEEZZNS1_14partition_implILS8_4ELb0ES6_15HIP_vector_typeIjLj2EENS0_17counting_iteratorIjlEEPS9_SG_NS0_5tupleIJPjSI_NS0_16reverse_iteratorISI_EEEEENSH_IJSG_SG_SG_EEES9_SI_JZNS1_25segmented_radix_sort_implINS0_14default_configELb1EPKbPbPKlPlN2at6native12_GLOBAL__N_18offset_tEEE10hipError_tPvRmT1_PNSt15iterator_traitsIS12_E10value_typeET2_T3_PNS13_IS18_E10value_typeET4_jRbjT5_S1E_jjP12ihipStream_tbEUljE_ZNSN_ISO_Lb1ESQ_SR_ST_SU_SY_EESZ_S10_S11_S12_S16_S17_S18_S1B_S1C_jS1D_jS1E_S1E_jjS1G_bEUljE0_EEESZ_S10_S11_S18_S1C_S1E_T6_T7_T9_mT8_S1G_bDpT10_ENKUlT_T0_E_clISt17integral_constantIbLb0EES1T_IbLb1EEEEDaS1P_S1Q_EUlS1P_E_NS1_11comp_targetILNS1_3genE2ELNS1_11target_archE906ELNS1_3gpuE6ELNS1_3repE0EEENS1_30default_config_static_selectorELNS0_4arch9wavefront6targetE0EEEvS12_.has_recursion, 0
	.set _ZN7rocprim17ROCPRIM_400000_NS6detail17trampoline_kernelINS0_13select_configILj256ELj13ELNS0_17block_load_methodE3ELS4_3ELS4_3ELNS0_20block_scan_algorithmE0ELj4294967295EEENS1_25partition_config_selectorILNS1_17partition_subalgoE4EjNS0_10empty_typeEbEEZZNS1_14partition_implILS8_4ELb0ES6_15HIP_vector_typeIjLj2EENS0_17counting_iteratorIjlEEPS9_SG_NS0_5tupleIJPjSI_NS0_16reverse_iteratorISI_EEEEENSH_IJSG_SG_SG_EEES9_SI_JZNS1_25segmented_radix_sort_implINS0_14default_configELb1EPKbPbPKlPlN2at6native12_GLOBAL__N_18offset_tEEE10hipError_tPvRmT1_PNSt15iterator_traitsIS12_E10value_typeET2_T3_PNS13_IS18_E10value_typeET4_jRbjT5_S1E_jjP12ihipStream_tbEUljE_ZNSN_ISO_Lb1ESQ_SR_ST_SU_SY_EESZ_S10_S11_S12_S16_S17_S18_S1B_S1C_jS1D_jS1E_S1E_jjS1G_bEUljE0_EEESZ_S10_S11_S18_S1C_S1E_T6_T7_T9_mT8_S1G_bDpT10_ENKUlT_T0_E_clISt17integral_constantIbLb0EES1T_IbLb1EEEEDaS1P_S1Q_EUlS1P_E_NS1_11comp_targetILNS1_3genE2ELNS1_11target_archE906ELNS1_3gpuE6ELNS1_3repE0EEENS1_30default_config_static_selectorELNS0_4arch9wavefront6targetE0EEEvS12_.has_indirect_call, 0
	.section	.AMDGPU.csdata,"",@progbits
; Kernel info:
; codeLenInByte = 0
; TotalNumSgprs: 0
; NumVgprs: 0
; ScratchSize: 0
; MemoryBound: 0
; FloatMode: 240
; IeeeMode: 1
; LDSByteSize: 0 bytes/workgroup (compile time only)
; SGPRBlocks: 0
; VGPRBlocks: 0
; NumSGPRsForWavesPerEU: 1
; NumVGPRsForWavesPerEU: 1
; NamedBarCnt: 0
; Occupancy: 16
; WaveLimiterHint : 0
; COMPUTE_PGM_RSRC2:SCRATCH_EN: 0
; COMPUTE_PGM_RSRC2:USER_SGPR: 2
; COMPUTE_PGM_RSRC2:TRAP_HANDLER: 0
; COMPUTE_PGM_RSRC2:TGID_X_EN: 1
; COMPUTE_PGM_RSRC2:TGID_Y_EN: 0
; COMPUTE_PGM_RSRC2:TGID_Z_EN: 0
; COMPUTE_PGM_RSRC2:TIDIG_COMP_CNT: 0
	.section	.text._ZN7rocprim17ROCPRIM_400000_NS6detail17trampoline_kernelINS0_13select_configILj256ELj13ELNS0_17block_load_methodE3ELS4_3ELS4_3ELNS0_20block_scan_algorithmE0ELj4294967295EEENS1_25partition_config_selectorILNS1_17partition_subalgoE4EjNS0_10empty_typeEbEEZZNS1_14partition_implILS8_4ELb0ES6_15HIP_vector_typeIjLj2EENS0_17counting_iteratorIjlEEPS9_SG_NS0_5tupleIJPjSI_NS0_16reverse_iteratorISI_EEEEENSH_IJSG_SG_SG_EEES9_SI_JZNS1_25segmented_radix_sort_implINS0_14default_configELb1EPKbPbPKlPlN2at6native12_GLOBAL__N_18offset_tEEE10hipError_tPvRmT1_PNSt15iterator_traitsIS12_E10value_typeET2_T3_PNS13_IS18_E10value_typeET4_jRbjT5_S1E_jjP12ihipStream_tbEUljE_ZNSN_ISO_Lb1ESQ_SR_ST_SU_SY_EESZ_S10_S11_S12_S16_S17_S18_S1B_S1C_jS1D_jS1E_S1E_jjS1G_bEUljE0_EEESZ_S10_S11_S18_S1C_S1E_T6_T7_T9_mT8_S1G_bDpT10_ENKUlT_T0_E_clISt17integral_constantIbLb0EES1T_IbLb1EEEEDaS1P_S1Q_EUlS1P_E_NS1_11comp_targetILNS1_3genE10ELNS1_11target_archE1200ELNS1_3gpuE4ELNS1_3repE0EEENS1_30default_config_static_selectorELNS0_4arch9wavefront6targetE0EEEvS12_,"axG",@progbits,_ZN7rocprim17ROCPRIM_400000_NS6detail17trampoline_kernelINS0_13select_configILj256ELj13ELNS0_17block_load_methodE3ELS4_3ELS4_3ELNS0_20block_scan_algorithmE0ELj4294967295EEENS1_25partition_config_selectorILNS1_17partition_subalgoE4EjNS0_10empty_typeEbEEZZNS1_14partition_implILS8_4ELb0ES6_15HIP_vector_typeIjLj2EENS0_17counting_iteratorIjlEEPS9_SG_NS0_5tupleIJPjSI_NS0_16reverse_iteratorISI_EEEEENSH_IJSG_SG_SG_EEES9_SI_JZNS1_25segmented_radix_sort_implINS0_14default_configELb1EPKbPbPKlPlN2at6native12_GLOBAL__N_18offset_tEEE10hipError_tPvRmT1_PNSt15iterator_traitsIS12_E10value_typeET2_T3_PNS13_IS18_E10value_typeET4_jRbjT5_S1E_jjP12ihipStream_tbEUljE_ZNSN_ISO_Lb1ESQ_SR_ST_SU_SY_EESZ_S10_S11_S12_S16_S17_S18_S1B_S1C_jS1D_jS1E_S1E_jjS1G_bEUljE0_EEESZ_S10_S11_S18_S1C_S1E_T6_T7_T9_mT8_S1G_bDpT10_ENKUlT_T0_E_clISt17integral_constantIbLb0EES1T_IbLb1EEEEDaS1P_S1Q_EUlS1P_E_NS1_11comp_targetILNS1_3genE10ELNS1_11target_archE1200ELNS1_3gpuE4ELNS1_3repE0EEENS1_30default_config_static_selectorELNS0_4arch9wavefront6targetE0EEEvS12_,comdat
	.globl	_ZN7rocprim17ROCPRIM_400000_NS6detail17trampoline_kernelINS0_13select_configILj256ELj13ELNS0_17block_load_methodE3ELS4_3ELS4_3ELNS0_20block_scan_algorithmE0ELj4294967295EEENS1_25partition_config_selectorILNS1_17partition_subalgoE4EjNS0_10empty_typeEbEEZZNS1_14partition_implILS8_4ELb0ES6_15HIP_vector_typeIjLj2EENS0_17counting_iteratorIjlEEPS9_SG_NS0_5tupleIJPjSI_NS0_16reverse_iteratorISI_EEEEENSH_IJSG_SG_SG_EEES9_SI_JZNS1_25segmented_radix_sort_implINS0_14default_configELb1EPKbPbPKlPlN2at6native12_GLOBAL__N_18offset_tEEE10hipError_tPvRmT1_PNSt15iterator_traitsIS12_E10value_typeET2_T3_PNS13_IS18_E10value_typeET4_jRbjT5_S1E_jjP12ihipStream_tbEUljE_ZNSN_ISO_Lb1ESQ_SR_ST_SU_SY_EESZ_S10_S11_S12_S16_S17_S18_S1B_S1C_jS1D_jS1E_S1E_jjS1G_bEUljE0_EEESZ_S10_S11_S18_S1C_S1E_T6_T7_T9_mT8_S1G_bDpT10_ENKUlT_T0_E_clISt17integral_constantIbLb0EES1T_IbLb1EEEEDaS1P_S1Q_EUlS1P_E_NS1_11comp_targetILNS1_3genE10ELNS1_11target_archE1200ELNS1_3gpuE4ELNS1_3repE0EEENS1_30default_config_static_selectorELNS0_4arch9wavefront6targetE0EEEvS12_ ; -- Begin function _ZN7rocprim17ROCPRIM_400000_NS6detail17trampoline_kernelINS0_13select_configILj256ELj13ELNS0_17block_load_methodE3ELS4_3ELS4_3ELNS0_20block_scan_algorithmE0ELj4294967295EEENS1_25partition_config_selectorILNS1_17partition_subalgoE4EjNS0_10empty_typeEbEEZZNS1_14partition_implILS8_4ELb0ES6_15HIP_vector_typeIjLj2EENS0_17counting_iteratorIjlEEPS9_SG_NS0_5tupleIJPjSI_NS0_16reverse_iteratorISI_EEEEENSH_IJSG_SG_SG_EEES9_SI_JZNS1_25segmented_radix_sort_implINS0_14default_configELb1EPKbPbPKlPlN2at6native12_GLOBAL__N_18offset_tEEE10hipError_tPvRmT1_PNSt15iterator_traitsIS12_E10value_typeET2_T3_PNS13_IS18_E10value_typeET4_jRbjT5_S1E_jjP12ihipStream_tbEUljE_ZNSN_ISO_Lb1ESQ_SR_ST_SU_SY_EESZ_S10_S11_S12_S16_S17_S18_S1B_S1C_jS1D_jS1E_S1E_jjS1G_bEUljE0_EEESZ_S10_S11_S18_S1C_S1E_T6_T7_T9_mT8_S1G_bDpT10_ENKUlT_T0_E_clISt17integral_constantIbLb0EES1T_IbLb1EEEEDaS1P_S1Q_EUlS1P_E_NS1_11comp_targetILNS1_3genE10ELNS1_11target_archE1200ELNS1_3gpuE4ELNS1_3repE0EEENS1_30default_config_static_selectorELNS0_4arch9wavefront6targetE0EEEvS12_
	.p2align	8
	.type	_ZN7rocprim17ROCPRIM_400000_NS6detail17trampoline_kernelINS0_13select_configILj256ELj13ELNS0_17block_load_methodE3ELS4_3ELS4_3ELNS0_20block_scan_algorithmE0ELj4294967295EEENS1_25partition_config_selectorILNS1_17partition_subalgoE4EjNS0_10empty_typeEbEEZZNS1_14partition_implILS8_4ELb0ES6_15HIP_vector_typeIjLj2EENS0_17counting_iteratorIjlEEPS9_SG_NS0_5tupleIJPjSI_NS0_16reverse_iteratorISI_EEEEENSH_IJSG_SG_SG_EEES9_SI_JZNS1_25segmented_radix_sort_implINS0_14default_configELb1EPKbPbPKlPlN2at6native12_GLOBAL__N_18offset_tEEE10hipError_tPvRmT1_PNSt15iterator_traitsIS12_E10value_typeET2_T3_PNS13_IS18_E10value_typeET4_jRbjT5_S1E_jjP12ihipStream_tbEUljE_ZNSN_ISO_Lb1ESQ_SR_ST_SU_SY_EESZ_S10_S11_S12_S16_S17_S18_S1B_S1C_jS1D_jS1E_S1E_jjS1G_bEUljE0_EEESZ_S10_S11_S18_S1C_S1E_T6_T7_T9_mT8_S1G_bDpT10_ENKUlT_T0_E_clISt17integral_constantIbLb0EES1T_IbLb1EEEEDaS1P_S1Q_EUlS1P_E_NS1_11comp_targetILNS1_3genE10ELNS1_11target_archE1200ELNS1_3gpuE4ELNS1_3repE0EEENS1_30default_config_static_selectorELNS0_4arch9wavefront6targetE0EEEvS12_,@function
_ZN7rocprim17ROCPRIM_400000_NS6detail17trampoline_kernelINS0_13select_configILj256ELj13ELNS0_17block_load_methodE3ELS4_3ELS4_3ELNS0_20block_scan_algorithmE0ELj4294967295EEENS1_25partition_config_selectorILNS1_17partition_subalgoE4EjNS0_10empty_typeEbEEZZNS1_14partition_implILS8_4ELb0ES6_15HIP_vector_typeIjLj2EENS0_17counting_iteratorIjlEEPS9_SG_NS0_5tupleIJPjSI_NS0_16reverse_iteratorISI_EEEEENSH_IJSG_SG_SG_EEES9_SI_JZNS1_25segmented_radix_sort_implINS0_14default_configELb1EPKbPbPKlPlN2at6native12_GLOBAL__N_18offset_tEEE10hipError_tPvRmT1_PNSt15iterator_traitsIS12_E10value_typeET2_T3_PNS13_IS18_E10value_typeET4_jRbjT5_S1E_jjP12ihipStream_tbEUljE_ZNSN_ISO_Lb1ESQ_SR_ST_SU_SY_EESZ_S10_S11_S12_S16_S17_S18_S1B_S1C_jS1D_jS1E_S1E_jjS1G_bEUljE0_EEESZ_S10_S11_S18_S1C_S1E_T6_T7_T9_mT8_S1G_bDpT10_ENKUlT_T0_E_clISt17integral_constantIbLb0EES1T_IbLb1EEEEDaS1P_S1Q_EUlS1P_E_NS1_11comp_targetILNS1_3genE10ELNS1_11target_archE1200ELNS1_3gpuE4ELNS1_3repE0EEENS1_30default_config_static_selectorELNS0_4arch9wavefront6targetE0EEEvS12_: ; @_ZN7rocprim17ROCPRIM_400000_NS6detail17trampoline_kernelINS0_13select_configILj256ELj13ELNS0_17block_load_methodE3ELS4_3ELS4_3ELNS0_20block_scan_algorithmE0ELj4294967295EEENS1_25partition_config_selectorILNS1_17partition_subalgoE4EjNS0_10empty_typeEbEEZZNS1_14partition_implILS8_4ELb0ES6_15HIP_vector_typeIjLj2EENS0_17counting_iteratorIjlEEPS9_SG_NS0_5tupleIJPjSI_NS0_16reverse_iteratorISI_EEEEENSH_IJSG_SG_SG_EEES9_SI_JZNS1_25segmented_radix_sort_implINS0_14default_configELb1EPKbPbPKlPlN2at6native12_GLOBAL__N_18offset_tEEE10hipError_tPvRmT1_PNSt15iterator_traitsIS12_E10value_typeET2_T3_PNS13_IS18_E10value_typeET4_jRbjT5_S1E_jjP12ihipStream_tbEUljE_ZNSN_ISO_Lb1ESQ_SR_ST_SU_SY_EESZ_S10_S11_S12_S16_S17_S18_S1B_S1C_jS1D_jS1E_S1E_jjS1G_bEUljE0_EEESZ_S10_S11_S18_S1C_S1E_T6_T7_T9_mT8_S1G_bDpT10_ENKUlT_T0_E_clISt17integral_constantIbLb0EES1T_IbLb1EEEEDaS1P_S1Q_EUlS1P_E_NS1_11comp_targetILNS1_3genE10ELNS1_11target_archE1200ELNS1_3gpuE4ELNS1_3repE0EEENS1_30default_config_static_selectorELNS0_4arch9wavefront6targetE0EEEvS12_
; %bb.0:
	.section	.rodata,"a",@progbits
	.p2align	6, 0x0
	.amdhsa_kernel _ZN7rocprim17ROCPRIM_400000_NS6detail17trampoline_kernelINS0_13select_configILj256ELj13ELNS0_17block_load_methodE3ELS4_3ELS4_3ELNS0_20block_scan_algorithmE0ELj4294967295EEENS1_25partition_config_selectorILNS1_17partition_subalgoE4EjNS0_10empty_typeEbEEZZNS1_14partition_implILS8_4ELb0ES6_15HIP_vector_typeIjLj2EENS0_17counting_iteratorIjlEEPS9_SG_NS0_5tupleIJPjSI_NS0_16reverse_iteratorISI_EEEEENSH_IJSG_SG_SG_EEES9_SI_JZNS1_25segmented_radix_sort_implINS0_14default_configELb1EPKbPbPKlPlN2at6native12_GLOBAL__N_18offset_tEEE10hipError_tPvRmT1_PNSt15iterator_traitsIS12_E10value_typeET2_T3_PNS13_IS18_E10value_typeET4_jRbjT5_S1E_jjP12ihipStream_tbEUljE_ZNSN_ISO_Lb1ESQ_SR_ST_SU_SY_EESZ_S10_S11_S12_S16_S17_S18_S1B_S1C_jS1D_jS1E_S1E_jjS1G_bEUljE0_EEESZ_S10_S11_S18_S1C_S1E_T6_T7_T9_mT8_S1G_bDpT10_ENKUlT_T0_E_clISt17integral_constantIbLb0EES1T_IbLb1EEEEDaS1P_S1Q_EUlS1P_E_NS1_11comp_targetILNS1_3genE10ELNS1_11target_archE1200ELNS1_3gpuE4ELNS1_3repE0EEENS1_30default_config_static_selectorELNS0_4arch9wavefront6targetE0EEEvS12_
		.amdhsa_group_segment_fixed_size 0
		.amdhsa_private_segment_fixed_size 0
		.amdhsa_kernarg_size 184
		.amdhsa_user_sgpr_count 2
		.amdhsa_user_sgpr_dispatch_ptr 0
		.amdhsa_user_sgpr_queue_ptr 0
		.amdhsa_user_sgpr_kernarg_segment_ptr 1
		.amdhsa_user_sgpr_dispatch_id 0
		.amdhsa_user_sgpr_kernarg_preload_length 0
		.amdhsa_user_sgpr_kernarg_preload_offset 0
		.amdhsa_user_sgpr_private_segment_size 0
		.amdhsa_wavefront_size32 1
		.amdhsa_uses_dynamic_stack 0
		.amdhsa_enable_private_segment 0
		.amdhsa_system_sgpr_workgroup_id_x 1
		.amdhsa_system_sgpr_workgroup_id_y 0
		.amdhsa_system_sgpr_workgroup_id_z 0
		.amdhsa_system_sgpr_workgroup_info 0
		.amdhsa_system_vgpr_workitem_id 0
		.amdhsa_next_free_vgpr 1
		.amdhsa_next_free_sgpr 1
		.amdhsa_named_barrier_count 0
		.amdhsa_reserve_vcc 0
		.amdhsa_float_round_mode_32 0
		.amdhsa_float_round_mode_16_64 0
		.amdhsa_float_denorm_mode_32 3
		.amdhsa_float_denorm_mode_16_64 3
		.amdhsa_fp16_overflow 0
		.amdhsa_memory_ordered 1
		.amdhsa_forward_progress 1
		.amdhsa_inst_pref_size 0
		.amdhsa_round_robin_scheduling 0
		.amdhsa_exception_fp_ieee_invalid_op 0
		.amdhsa_exception_fp_denorm_src 0
		.amdhsa_exception_fp_ieee_div_zero 0
		.amdhsa_exception_fp_ieee_overflow 0
		.amdhsa_exception_fp_ieee_underflow 0
		.amdhsa_exception_fp_ieee_inexact 0
		.amdhsa_exception_int_div_zero 0
	.end_amdhsa_kernel
	.section	.text._ZN7rocprim17ROCPRIM_400000_NS6detail17trampoline_kernelINS0_13select_configILj256ELj13ELNS0_17block_load_methodE3ELS4_3ELS4_3ELNS0_20block_scan_algorithmE0ELj4294967295EEENS1_25partition_config_selectorILNS1_17partition_subalgoE4EjNS0_10empty_typeEbEEZZNS1_14partition_implILS8_4ELb0ES6_15HIP_vector_typeIjLj2EENS0_17counting_iteratorIjlEEPS9_SG_NS0_5tupleIJPjSI_NS0_16reverse_iteratorISI_EEEEENSH_IJSG_SG_SG_EEES9_SI_JZNS1_25segmented_radix_sort_implINS0_14default_configELb1EPKbPbPKlPlN2at6native12_GLOBAL__N_18offset_tEEE10hipError_tPvRmT1_PNSt15iterator_traitsIS12_E10value_typeET2_T3_PNS13_IS18_E10value_typeET4_jRbjT5_S1E_jjP12ihipStream_tbEUljE_ZNSN_ISO_Lb1ESQ_SR_ST_SU_SY_EESZ_S10_S11_S12_S16_S17_S18_S1B_S1C_jS1D_jS1E_S1E_jjS1G_bEUljE0_EEESZ_S10_S11_S18_S1C_S1E_T6_T7_T9_mT8_S1G_bDpT10_ENKUlT_T0_E_clISt17integral_constantIbLb0EES1T_IbLb1EEEEDaS1P_S1Q_EUlS1P_E_NS1_11comp_targetILNS1_3genE10ELNS1_11target_archE1200ELNS1_3gpuE4ELNS1_3repE0EEENS1_30default_config_static_selectorELNS0_4arch9wavefront6targetE0EEEvS12_,"axG",@progbits,_ZN7rocprim17ROCPRIM_400000_NS6detail17trampoline_kernelINS0_13select_configILj256ELj13ELNS0_17block_load_methodE3ELS4_3ELS4_3ELNS0_20block_scan_algorithmE0ELj4294967295EEENS1_25partition_config_selectorILNS1_17partition_subalgoE4EjNS0_10empty_typeEbEEZZNS1_14partition_implILS8_4ELb0ES6_15HIP_vector_typeIjLj2EENS0_17counting_iteratorIjlEEPS9_SG_NS0_5tupleIJPjSI_NS0_16reverse_iteratorISI_EEEEENSH_IJSG_SG_SG_EEES9_SI_JZNS1_25segmented_radix_sort_implINS0_14default_configELb1EPKbPbPKlPlN2at6native12_GLOBAL__N_18offset_tEEE10hipError_tPvRmT1_PNSt15iterator_traitsIS12_E10value_typeET2_T3_PNS13_IS18_E10value_typeET4_jRbjT5_S1E_jjP12ihipStream_tbEUljE_ZNSN_ISO_Lb1ESQ_SR_ST_SU_SY_EESZ_S10_S11_S12_S16_S17_S18_S1B_S1C_jS1D_jS1E_S1E_jjS1G_bEUljE0_EEESZ_S10_S11_S18_S1C_S1E_T6_T7_T9_mT8_S1G_bDpT10_ENKUlT_T0_E_clISt17integral_constantIbLb0EES1T_IbLb1EEEEDaS1P_S1Q_EUlS1P_E_NS1_11comp_targetILNS1_3genE10ELNS1_11target_archE1200ELNS1_3gpuE4ELNS1_3repE0EEENS1_30default_config_static_selectorELNS0_4arch9wavefront6targetE0EEEvS12_,comdat
.Lfunc_end1489:
	.size	_ZN7rocprim17ROCPRIM_400000_NS6detail17trampoline_kernelINS0_13select_configILj256ELj13ELNS0_17block_load_methodE3ELS4_3ELS4_3ELNS0_20block_scan_algorithmE0ELj4294967295EEENS1_25partition_config_selectorILNS1_17partition_subalgoE4EjNS0_10empty_typeEbEEZZNS1_14partition_implILS8_4ELb0ES6_15HIP_vector_typeIjLj2EENS0_17counting_iteratorIjlEEPS9_SG_NS0_5tupleIJPjSI_NS0_16reverse_iteratorISI_EEEEENSH_IJSG_SG_SG_EEES9_SI_JZNS1_25segmented_radix_sort_implINS0_14default_configELb1EPKbPbPKlPlN2at6native12_GLOBAL__N_18offset_tEEE10hipError_tPvRmT1_PNSt15iterator_traitsIS12_E10value_typeET2_T3_PNS13_IS18_E10value_typeET4_jRbjT5_S1E_jjP12ihipStream_tbEUljE_ZNSN_ISO_Lb1ESQ_SR_ST_SU_SY_EESZ_S10_S11_S12_S16_S17_S18_S1B_S1C_jS1D_jS1E_S1E_jjS1G_bEUljE0_EEESZ_S10_S11_S18_S1C_S1E_T6_T7_T9_mT8_S1G_bDpT10_ENKUlT_T0_E_clISt17integral_constantIbLb0EES1T_IbLb1EEEEDaS1P_S1Q_EUlS1P_E_NS1_11comp_targetILNS1_3genE10ELNS1_11target_archE1200ELNS1_3gpuE4ELNS1_3repE0EEENS1_30default_config_static_selectorELNS0_4arch9wavefront6targetE0EEEvS12_, .Lfunc_end1489-_ZN7rocprim17ROCPRIM_400000_NS6detail17trampoline_kernelINS0_13select_configILj256ELj13ELNS0_17block_load_methodE3ELS4_3ELS4_3ELNS0_20block_scan_algorithmE0ELj4294967295EEENS1_25partition_config_selectorILNS1_17partition_subalgoE4EjNS0_10empty_typeEbEEZZNS1_14partition_implILS8_4ELb0ES6_15HIP_vector_typeIjLj2EENS0_17counting_iteratorIjlEEPS9_SG_NS0_5tupleIJPjSI_NS0_16reverse_iteratorISI_EEEEENSH_IJSG_SG_SG_EEES9_SI_JZNS1_25segmented_radix_sort_implINS0_14default_configELb1EPKbPbPKlPlN2at6native12_GLOBAL__N_18offset_tEEE10hipError_tPvRmT1_PNSt15iterator_traitsIS12_E10value_typeET2_T3_PNS13_IS18_E10value_typeET4_jRbjT5_S1E_jjP12ihipStream_tbEUljE_ZNSN_ISO_Lb1ESQ_SR_ST_SU_SY_EESZ_S10_S11_S12_S16_S17_S18_S1B_S1C_jS1D_jS1E_S1E_jjS1G_bEUljE0_EEESZ_S10_S11_S18_S1C_S1E_T6_T7_T9_mT8_S1G_bDpT10_ENKUlT_T0_E_clISt17integral_constantIbLb0EES1T_IbLb1EEEEDaS1P_S1Q_EUlS1P_E_NS1_11comp_targetILNS1_3genE10ELNS1_11target_archE1200ELNS1_3gpuE4ELNS1_3repE0EEENS1_30default_config_static_selectorELNS0_4arch9wavefront6targetE0EEEvS12_
                                        ; -- End function
	.set _ZN7rocprim17ROCPRIM_400000_NS6detail17trampoline_kernelINS0_13select_configILj256ELj13ELNS0_17block_load_methodE3ELS4_3ELS4_3ELNS0_20block_scan_algorithmE0ELj4294967295EEENS1_25partition_config_selectorILNS1_17partition_subalgoE4EjNS0_10empty_typeEbEEZZNS1_14partition_implILS8_4ELb0ES6_15HIP_vector_typeIjLj2EENS0_17counting_iteratorIjlEEPS9_SG_NS0_5tupleIJPjSI_NS0_16reverse_iteratorISI_EEEEENSH_IJSG_SG_SG_EEES9_SI_JZNS1_25segmented_radix_sort_implINS0_14default_configELb1EPKbPbPKlPlN2at6native12_GLOBAL__N_18offset_tEEE10hipError_tPvRmT1_PNSt15iterator_traitsIS12_E10value_typeET2_T3_PNS13_IS18_E10value_typeET4_jRbjT5_S1E_jjP12ihipStream_tbEUljE_ZNSN_ISO_Lb1ESQ_SR_ST_SU_SY_EESZ_S10_S11_S12_S16_S17_S18_S1B_S1C_jS1D_jS1E_S1E_jjS1G_bEUljE0_EEESZ_S10_S11_S18_S1C_S1E_T6_T7_T9_mT8_S1G_bDpT10_ENKUlT_T0_E_clISt17integral_constantIbLb0EES1T_IbLb1EEEEDaS1P_S1Q_EUlS1P_E_NS1_11comp_targetILNS1_3genE10ELNS1_11target_archE1200ELNS1_3gpuE4ELNS1_3repE0EEENS1_30default_config_static_selectorELNS0_4arch9wavefront6targetE0EEEvS12_.num_vgpr, 0
	.set _ZN7rocprim17ROCPRIM_400000_NS6detail17trampoline_kernelINS0_13select_configILj256ELj13ELNS0_17block_load_methodE3ELS4_3ELS4_3ELNS0_20block_scan_algorithmE0ELj4294967295EEENS1_25partition_config_selectorILNS1_17partition_subalgoE4EjNS0_10empty_typeEbEEZZNS1_14partition_implILS8_4ELb0ES6_15HIP_vector_typeIjLj2EENS0_17counting_iteratorIjlEEPS9_SG_NS0_5tupleIJPjSI_NS0_16reverse_iteratorISI_EEEEENSH_IJSG_SG_SG_EEES9_SI_JZNS1_25segmented_radix_sort_implINS0_14default_configELb1EPKbPbPKlPlN2at6native12_GLOBAL__N_18offset_tEEE10hipError_tPvRmT1_PNSt15iterator_traitsIS12_E10value_typeET2_T3_PNS13_IS18_E10value_typeET4_jRbjT5_S1E_jjP12ihipStream_tbEUljE_ZNSN_ISO_Lb1ESQ_SR_ST_SU_SY_EESZ_S10_S11_S12_S16_S17_S18_S1B_S1C_jS1D_jS1E_S1E_jjS1G_bEUljE0_EEESZ_S10_S11_S18_S1C_S1E_T6_T7_T9_mT8_S1G_bDpT10_ENKUlT_T0_E_clISt17integral_constantIbLb0EES1T_IbLb1EEEEDaS1P_S1Q_EUlS1P_E_NS1_11comp_targetILNS1_3genE10ELNS1_11target_archE1200ELNS1_3gpuE4ELNS1_3repE0EEENS1_30default_config_static_selectorELNS0_4arch9wavefront6targetE0EEEvS12_.num_agpr, 0
	.set _ZN7rocprim17ROCPRIM_400000_NS6detail17trampoline_kernelINS0_13select_configILj256ELj13ELNS0_17block_load_methodE3ELS4_3ELS4_3ELNS0_20block_scan_algorithmE0ELj4294967295EEENS1_25partition_config_selectorILNS1_17partition_subalgoE4EjNS0_10empty_typeEbEEZZNS1_14partition_implILS8_4ELb0ES6_15HIP_vector_typeIjLj2EENS0_17counting_iteratorIjlEEPS9_SG_NS0_5tupleIJPjSI_NS0_16reverse_iteratorISI_EEEEENSH_IJSG_SG_SG_EEES9_SI_JZNS1_25segmented_radix_sort_implINS0_14default_configELb1EPKbPbPKlPlN2at6native12_GLOBAL__N_18offset_tEEE10hipError_tPvRmT1_PNSt15iterator_traitsIS12_E10value_typeET2_T3_PNS13_IS18_E10value_typeET4_jRbjT5_S1E_jjP12ihipStream_tbEUljE_ZNSN_ISO_Lb1ESQ_SR_ST_SU_SY_EESZ_S10_S11_S12_S16_S17_S18_S1B_S1C_jS1D_jS1E_S1E_jjS1G_bEUljE0_EEESZ_S10_S11_S18_S1C_S1E_T6_T7_T9_mT8_S1G_bDpT10_ENKUlT_T0_E_clISt17integral_constantIbLb0EES1T_IbLb1EEEEDaS1P_S1Q_EUlS1P_E_NS1_11comp_targetILNS1_3genE10ELNS1_11target_archE1200ELNS1_3gpuE4ELNS1_3repE0EEENS1_30default_config_static_selectorELNS0_4arch9wavefront6targetE0EEEvS12_.numbered_sgpr, 0
	.set _ZN7rocprim17ROCPRIM_400000_NS6detail17trampoline_kernelINS0_13select_configILj256ELj13ELNS0_17block_load_methodE3ELS4_3ELS4_3ELNS0_20block_scan_algorithmE0ELj4294967295EEENS1_25partition_config_selectorILNS1_17partition_subalgoE4EjNS0_10empty_typeEbEEZZNS1_14partition_implILS8_4ELb0ES6_15HIP_vector_typeIjLj2EENS0_17counting_iteratorIjlEEPS9_SG_NS0_5tupleIJPjSI_NS0_16reverse_iteratorISI_EEEEENSH_IJSG_SG_SG_EEES9_SI_JZNS1_25segmented_radix_sort_implINS0_14default_configELb1EPKbPbPKlPlN2at6native12_GLOBAL__N_18offset_tEEE10hipError_tPvRmT1_PNSt15iterator_traitsIS12_E10value_typeET2_T3_PNS13_IS18_E10value_typeET4_jRbjT5_S1E_jjP12ihipStream_tbEUljE_ZNSN_ISO_Lb1ESQ_SR_ST_SU_SY_EESZ_S10_S11_S12_S16_S17_S18_S1B_S1C_jS1D_jS1E_S1E_jjS1G_bEUljE0_EEESZ_S10_S11_S18_S1C_S1E_T6_T7_T9_mT8_S1G_bDpT10_ENKUlT_T0_E_clISt17integral_constantIbLb0EES1T_IbLb1EEEEDaS1P_S1Q_EUlS1P_E_NS1_11comp_targetILNS1_3genE10ELNS1_11target_archE1200ELNS1_3gpuE4ELNS1_3repE0EEENS1_30default_config_static_selectorELNS0_4arch9wavefront6targetE0EEEvS12_.num_named_barrier, 0
	.set _ZN7rocprim17ROCPRIM_400000_NS6detail17trampoline_kernelINS0_13select_configILj256ELj13ELNS0_17block_load_methodE3ELS4_3ELS4_3ELNS0_20block_scan_algorithmE0ELj4294967295EEENS1_25partition_config_selectorILNS1_17partition_subalgoE4EjNS0_10empty_typeEbEEZZNS1_14partition_implILS8_4ELb0ES6_15HIP_vector_typeIjLj2EENS0_17counting_iteratorIjlEEPS9_SG_NS0_5tupleIJPjSI_NS0_16reverse_iteratorISI_EEEEENSH_IJSG_SG_SG_EEES9_SI_JZNS1_25segmented_radix_sort_implINS0_14default_configELb1EPKbPbPKlPlN2at6native12_GLOBAL__N_18offset_tEEE10hipError_tPvRmT1_PNSt15iterator_traitsIS12_E10value_typeET2_T3_PNS13_IS18_E10value_typeET4_jRbjT5_S1E_jjP12ihipStream_tbEUljE_ZNSN_ISO_Lb1ESQ_SR_ST_SU_SY_EESZ_S10_S11_S12_S16_S17_S18_S1B_S1C_jS1D_jS1E_S1E_jjS1G_bEUljE0_EEESZ_S10_S11_S18_S1C_S1E_T6_T7_T9_mT8_S1G_bDpT10_ENKUlT_T0_E_clISt17integral_constantIbLb0EES1T_IbLb1EEEEDaS1P_S1Q_EUlS1P_E_NS1_11comp_targetILNS1_3genE10ELNS1_11target_archE1200ELNS1_3gpuE4ELNS1_3repE0EEENS1_30default_config_static_selectorELNS0_4arch9wavefront6targetE0EEEvS12_.private_seg_size, 0
	.set _ZN7rocprim17ROCPRIM_400000_NS6detail17trampoline_kernelINS0_13select_configILj256ELj13ELNS0_17block_load_methodE3ELS4_3ELS4_3ELNS0_20block_scan_algorithmE0ELj4294967295EEENS1_25partition_config_selectorILNS1_17partition_subalgoE4EjNS0_10empty_typeEbEEZZNS1_14partition_implILS8_4ELb0ES6_15HIP_vector_typeIjLj2EENS0_17counting_iteratorIjlEEPS9_SG_NS0_5tupleIJPjSI_NS0_16reverse_iteratorISI_EEEEENSH_IJSG_SG_SG_EEES9_SI_JZNS1_25segmented_radix_sort_implINS0_14default_configELb1EPKbPbPKlPlN2at6native12_GLOBAL__N_18offset_tEEE10hipError_tPvRmT1_PNSt15iterator_traitsIS12_E10value_typeET2_T3_PNS13_IS18_E10value_typeET4_jRbjT5_S1E_jjP12ihipStream_tbEUljE_ZNSN_ISO_Lb1ESQ_SR_ST_SU_SY_EESZ_S10_S11_S12_S16_S17_S18_S1B_S1C_jS1D_jS1E_S1E_jjS1G_bEUljE0_EEESZ_S10_S11_S18_S1C_S1E_T6_T7_T9_mT8_S1G_bDpT10_ENKUlT_T0_E_clISt17integral_constantIbLb0EES1T_IbLb1EEEEDaS1P_S1Q_EUlS1P_E_NS1_11comp_targetILNS1_3genE10ELNS1_11target_archE1200ELNS1_3gpuE4ELNS1_3repE0EEENS1_30default_config_static_selectorELNS0_4arch9wavefront6targetE0EEEvS12_.uses_vcc, 0
	.set _ZN7rocprim17ROCPRIM_400000_NS6detail17trampoline_kernelINS0_13select_configILj256ELj13ELNS0_17block_load_methodE3ELS4_3ELS4_3ELNS0_20block_scan_algorithmE0ELj4294967295EEENS1_25partition_config_selectorILNS1_17partition_subalgoE4EjNS0_10empty_typeEbEEZZNS1_14partition_implILS8_4ELb0ES6_15HIP_vector_typeIjLj2EENS0_17counting_iteratorIjlEEPS9_SG_NS0_5tupleIJPjSI_NS0_16reverse_iteratorISI_EEEEENSH_IJSG_SG_SG_EEES9_SI_JZNS1_25segmented_radix_sort_implINS0_14default_configELb1EPKbPbPKlPlN2at6native12_GLOBAL__N_18offset_tEEE10hipError_tPvRmT1_PNSt15iterator_traitsIS12_E10value_typeET2_T3_PNS13_IS18_E10value_typeET4_jRbjT5_S1E_jjP12ihipStream_tbEUljE_ZNSN_ISO_Lb1ESQ_SR_ST_SU_SY_EESZ_S10_S11_S12_S16_S17_S18_S1B_S1C_jS1D_jS1E_S1E_jjS1G_bEUljE0_EEESZ_S10_S11_S18_S1C_S1E_T6_T7_T9_mT8_S1G_bDpT10_ENKUlT_T0_E_clISt17integral_constantIbLb0EES1T_IbLb1EEEEDaS1P_S1Q_EUlS1P_E_NS1_11comp_targetILNS1_3genE10ELNS1_11target_archE1200ELNS1_3gpuE4ELNS1_3repE0EEENS1_30default_config_static_selectorELNS0_4arch9wavefront6targetE0EEEvS12_.uses_flat_scratch, 0
	.set _ZN7rocprim17ROCPRIM_400000_NS6detail17trampoline_kernelINS0_13select_configILj256ELj13ELNS0_17block_load_methodE3ELS4_3ELS4_3ELNS0_20block_scan_algorithmE0ELj4294967295EEENS1_25partition_config_selectorILNS1_17partition_subalgoE4EjNS0_10empty_typeEbEEZZNS1_14partition_implILS8_4ELb0ES6_15HIP_vector_typeIjLj2EENS0_17counting_iteratorIjlEEPS9_SG_NS0_5tupleIJPjSI_NS0_16reverse_iteratorISI_EEEEENSH_IJSG_SG_SG_EEES9_SI_JZNS1_25segmented_radix_sort_implINS0_14default_configELb1EPKbPbPKlPlN2at6native12_GLOBAL__N_18offset_tEEE10hipError_tPvRmT1_PNSt15iterator_traitsIS12_E10value_typeET2_T3_PNS13_IS18_E10value_typeET4_jRbjT5_S1E_jjP12ihipStream_tbEUljE_ZNSN_ISO_Lb1ESQ_SR_ST_SU_SY_EESZ_S10_S11_S12_S16_S17_S18_S1B_S1C_jS1D_jS1E_S1E_jjS1G_bEUljE0_EEESZ_S10_S11_S18_S1C_S1E_T6_T7_T9_mT8_S1G_bDpT10_ENKUlT_T0_E_clISt17integral_constantIbLb0EES1T_IbLb1EEEEDaS1P_S1Q_EUlS1P_E_NS1_11comp_targetILNS1_3genE10ELNS1_11target_archE1200ELNS1_3gpuE4ELNS1_3repE0EEENS1_30default_config_static_selectorELNS0_4arch9wavefront6targetE0EEEvS12_.has_dyn_sized_stack, 0
	.set _ZN7rocprim17ROCPRIM_400000_NS6detail17trampoline_kernelINS0_13select_configILj256ELj13ELNS0_17block_load_methodE3ELS4_3ELS4_3ELNS0_20block_scan_algorithmE0ELj4294967295EEENS1_25partition_config_selectorILNS1_17partition_subalgoE4EjNS0_10empty_typeEbEEZZNS1_14partition_implILS8_4ELb0ES6_15HIP_vector_typeIjLj2EENS0_17counting_iteratorIjlEEPS9_SG_NS0_5tupleIJPjSI_NS0_16reverse_iteratorISI_EEEEENSH_IJSG_SG_SG_EEES9_SI_JZNS1_25segmented_radix_sort_implINS0_14default_configELb1EPKbPbPKlPlN2at6native12_GLOBAL__N_18offset_tEEE10hipError_tPvRmT1_PNSt15iterator_traitsIS12_E10value_typeET2_T3_PNS13_IS18_E10value_typeET4_jRbjT5_S1E_jjP12ihipStream_tbEUljE_ZNSN_ISO_Lb1ESQ_SR_ST_SU_SY_EESZ_S10_S11_S12_S16_S17_S18_S1B_S1C_jS1D_jS1E_S1E_jjS1G_bEUljE0_EEESZ_S10_S11_S18_S1C_S1E_T6_T7_T9_mT8_S1G_bDpT10_ENKUlT_T0_E_clISt17integral_constantIbLb0EES1T_IbLb1EEEEDaS1P_S1Q_EUlS1P_E_NS1_11comp_targetILNS1_3genE10ELNS1_11target_archE1200ELNS1_3gpuE4ELNS1_3repE0EEENS1_30default_config_static_selectorELNS0_4arch9wavefront6targetE0EEEvS12_.has_recursion, 0
	.set _ZN7rocprim17ROCPRIM_400000_NS6detail17trampoline_kernelINS0_13select_configILj256ELj13ELNS0_17block_load_methodE3ELS4_3ELS4_3ELNS0_20block_scan_algorithmE0ELj4294967295EEENS1_25partition_config_selectorILNS1_17partition_subalgoE4EjNS0_10empty_typeEbEEZZNS1_14partition_implILS8_4ELb0ES6_15HIP_vector_typeIjLj2EENS0_17counting_iteratorIjlEEPS9_SG_NS0_5tupleIJPjSI_NS0_16reverse_iteratorISI_EEEEENSH_IJSG_SG_SG_EEES9_SI_JZNS1_25segmented_radix_sort_implINS0_14default_configELb1EPKbPbPKlPlN2at6native12_GLOBAL__N_18offset_tEEE10hipError_tPvRmT1_PNSt15iterator_traitsIS12_E10value_typeET2_T3_PNS13_IS18_E10value_typeET4_jRbjT5_S1E_jjP12ihipStream_tbEUljE_ZNSN_ISO_Lb1ESQ_SR_ST_SU_SY_EESZ_S10_S11_S12_S16_S17_S18_S1B_S1C_jS1D_jS1E_S1E_jjS1G_bEUljE0_EEESZ_S10_S11_S18_S1C_S1E_T6_T7_T9_mT8_S1G_bDpT10_ENKUlT_T0_E_clISt17integral_constantIbLb0EES1T_IbLb1EEEEDaS1P_S1Q_EUlS1P_E_NS1_11comp_targetILNS1_3genE10ELNS1_11target_archE1200ELNS1_3gpuE4ELNS1_3repE0EEENS1_30default_config_static_selectorELNS0_4arch9wavefront6targetE0EEEvS12_.has_indirect_call, 0
	.section	.AMDGPU.csdata,"",@progbits
; Kernel info:
; codeLenInByte = 0
; TotalNumSgprs: 0
; NumVgprs: 0
; ScratchSize: 0
; MemoryBound: 0
; FloatMode: 240
; IeeeMode: 1
; LDSByteSize: 0 bytes/workgroup (compile time only)
; SGPRBlocks: 0
; VGPRBlocks: 0
; NumSGPRsForWavesPerEU: 1
; NumVGPRsForWavesPerEU: 1
; NamedBarCnt: 0
; Occupancy: 16
; WaveLimiterHint : 0
; COMPUTE_PGM_RSRC2:SCRATCH_EN: 0
; COMPUTE_PGM_RSRC2:USER_SGPR: 2
; COMPUTE_PGM_RSRC2:TRAP_HANDLER: 0
; COMPUTE_PGM_RSRC2:TGID_X_EN: 1
; COMPUTE_PGM_RSRC2:TGID_Y_EN: 0
; COMPUTE_PGM_RSRC2:TGID_Z_EN: 0
; COMPUTE_PGM_RSRC2:TIDIG_COMP_CNT: 0
	.section	.text._ZN7rocprim17ROCPRIM_400000_NS6detail17trampoline_kernelINS0_13select_configILj256ELj13ELNS0_17block_load_methodE3ELS4_3ELS4_3ELNS0_20block_scan_algorithmE0ELj4294967295EEENS1_25partition_config_selectorILNS1_17partition_subalgoE4EjNS0_10empty_typeEbEEZZNS1_14partition_implILS8_4ELb0ES6_15HIP_vector_typeIjLj2EENS0_17counting_iteratorIjlEEPS9_SG_NS0_5tupleIJPjSI_NS0_16reverse_iteratorISI_EEEEENSH_IJSG_SG_SG_EEES9_SI_JZNS1_25segmented_radix_sort_implINS0_14default_configELb1EPKbPbPKlPlN2at6native12_GLOBAL__N_18offset_tEEE10hipError_tPvRmT1_PNSt15iterator_traitsIS12_E10value_typeET2_T3_PNS13_IS18_E10value_typeET4_jRbjT5_S1E_jjP12ihipStream_tbEUljE_ZNSN_ISO_Lb1ESQ_SR_ST_SU_SY_EESZ_S10_S11_S12_S16_S17_S18_S1B_S1C_jS1D_jS1E_S1E_jjS1G_bEUljE0_EEESZ_S10_S11_S18_S1C_S1E_T6_T7_T9_mT8_S1G_bDpT10_ENKUlT_T0_E_clISt17integral_constantIbLb0EES1T_IbLb1EEEEDaS1P_S1Q_EUlS1P_E_NS1_11comp_targetILNS1_3genE9ELNS1_11target_archE1100ELNS1_3gpuE3ELNS1_3repE0EEENS1_30default_config_static_selectorELNS0_4arch9wavefront6targetE0EEEvS12_,"axG",@progbits,_ZN7rocprim17ROCPRIM_400000_NS6detail17trampoline_kernelINS0_13select_configILj256ELj13ELNS0_17block_load_methodE3ELS4_3ELS4_3ELNS0_20block_scan_algorithmE0ELj4294967295EEENS1_25partition_config_selectorILNS1_17partition_subalgoE4EjNS0_10empty_typeEbEEZZNS1_14partition_implILS8_4ELb0ES6_15HIP_vector_typeIjLj2EENS0_17counting_iteratorIjlEEPS9_SG_NS0_5tupleIJPjSI_NS0_16reverse_iteratorISI_EEEEENSH_IJSG_SG_SG_EEES9_SI_JZNS1_25segmented_radix_sort_implINS0_14default_configELb1EPKbPbPKlPlN2at6native12_GLOBAL__N_18offset_tEEE10hipError_tPvRmT1_PNSt15iterator_traitsIS12_E10value_typeET2_T3_PNS13_IS18_E10value_typeET4_jRbjT5_S1E_jjP12ihipStream_tbEUljE_ZNSN_ISO_Lb1ESQ_SR_ST_SU_SY_EESZ_S10_S11_S12_S16_S17_S18_S1B_S1C_jS1D_jS1E_S1E_jjS1G_bEUljE0_EEESZ_S10_S11_S18_S1C_S1E_T6_T7_T9_mT8_S1G_bDpT10_ENKUlT_T0_E_clISt17integral_constantIbLb0EES1T_IbLb1EEEEDaS1P_S1Q_EUlS1P_E_NS1_11comp_targetILNS1_3genE9ELNS1_11target_archE1100ELNS1_3gpuE3ELNS1_3repE0EEENS1_30default_config_static_selectorELNS0_4arch9wavefront6targetE0EEEvS12_,comdat
	.globl	_ZN7rocprim17ROCPRIM_400000_NS6detail17trampoline_kernelINS0_13select_configILj256ELj13ELNS0_17block_load_methodE3ELS4_3ELS4_3ELNS0_20block_scan_algorithmE0ELj4294967295EEENS1_25partition_config_selectorILNS1_17partition_subalgoE4EjNS0_10empty_typeEbEEZZNS1_14partition_implILS8_4ELb0ES6_15HIP_vector_typeIjLj2EENS0_17counting_iteratorIjlEEPS9_SG_NS0_5tupleIJPjSI_NS0_16reverse_iteratorISI_EEEEENSH_IJSG_SG_SG_EEES9_SI_JZNS1_25segmented_radix_sort_implINS0_14default_configELb1EPKbPbPKlPlN2at6native12_GLOBAL__N_18offset_tEEE10hipError_tPvRmT1_PNSt15iterator_traitsIS12_E10value_typeET2_T3_PNS13_IS18_E10value_typeET4_jRbjT5_S1E_jjP12ihipStream_tbEUljE_ZNSN_ISO_Lb1ESQ_SR_ST_SU_SY_EESZ_S10_S11_S12_S16_S17_S18_S1B_S1C_jS1D_jS1E_S1E_jjS1G_bEUljE0_EEESZ_S10_S11_S18_S1C_S1E_T6_T7_T9_mT8_S1G_bDpT10_ENKUlT_T0_E_clISt17integral_constantIbLb0EES1T_IbLb1EEEEDaS1P_S1Q_EUlS1P_E_NS1_11comp_targetILNS1_3genE9ELNS1_11target_archE1100ELNS1_3gpuE3ELNS1_3repE0EEENS1_30default_config_static_selectorELNS0_4arch9wavefront6targetE0EEEvS12_ ; -- Begin function _ZN7rocprim17ROCPRIM_400000_NS6detail17trampoline_kernelINS0_13select_configILj256ELj13ELNS0_17block_load_methodE3ELS4_3ELS4_3ELNS0_20block_scan_algorithmE0ELj4294967295EEENS1_25partition_config_selectorILNS1_17partition_subalgoE4EjNS0_10empty_typeEbEEZZNS1_14partition_implILS8_4ELb0ES6_15HIP_vector_typeIjLj2EENS0_17counting_iteratorIjlEEPS9_SG_NS0_5tupleIJPjSI_NS0_16reverse_iteratorISI_EEEEENSH_IJSG_SG_SG_EEES9_SI_JZNS1_25segmented_radix_sort_implINS0_14default_configELb1EPKbPbPKlPlN2at6native12_GLOBAL__N_18offset_tEEE10hipError_tPvRmT1_PNSt15iterator_traitsIS12_E10value_typeET2_T3_PNS13_IS18_E10value_typeET4_jRbjT5_S1E_jjP12ihipStream_tbEUljE_ZNSN_ISO_Lb1ESQ_SR_ST_SU_SY_EESZ_S10_S11_S12_S16_S17_S18_S1B_S1C_jS1D_jS1E_S1E_jjS1G_bEUljE0_EEESZ_S10_S11_S18_S1C_S1E_T6_T7_T9_mT8_S1G_bDpT10_ENKUlT_T0_E_clISt17integral_constantIbLb0EES1T_IbLb1EEEEDaS1P_S1Q_EUlS1P_E_NS1_11comp_targetILNS1_3genE9ELNS1_11target_archE1100ELNS1_3gpuE3ELNS1_3repE0EEENS1_30default_config_static_selectorELNS0_4arch9wavefront6targetE0EEEvS12_
	.p2align	8
	.type	_ZN7rocprim17ROCPRIM_400000_NS6detail17trampoline_kernelINS0_13select_configILj256ELj13ELNS0_17block_load_methodE3ELS4_3ELS4_3ELNS0_20block_scan_algorithmE0ELj4294967295EEENS1_25partition_config_selectorILNS1_17partition_subalgoE4EjNS0_10empty_typeEbEEZZNS1_14partition_implILS8_4ELb0ES6_15HIP_vector_typeIjLj2EENS0_17counting_iteratorIjlEEPS9_SG_NS0_5tupleIJPjSI_NS0_16reverse_iteratorISI_EEEEENSH_IJSG_SG_SG_EEES9_SI_JZNS1_25segmented_radix_sort_implINS0_14default_configELb1EPKbPbPKlPlN2at6native12_GLOBAL__N_18offset_tEEE10hipError_tPvRmT1_PNSt15iterator_traitsIS12_E10value_typeET2_T3_PNS13_IS18_E10value_typeET4_jRbjT5_S1E_jjP12ihipStream_tbEUljE_ZNSN_ISO_Lb1ESQ_SR_ST_SU_SY_EESZ_S10_S11_S12_S16_S17_S18_S1B_S1C_jS1D_jS1E_S1E_jjS1G_bEUljE0_EEESZ_S10_S11_S18_S1C_S1E_T6_T7_T9_mT8_S1G_bDpT10_ENKUlT_T0_E_clISt17integral_constantIbLb0EES1T_IbLb1EEEEDaS1P_S1Q_EUlS1P_E_NS1_11comp_targetILNS1_3genE9ELNS1_11target_archE1100ELNS1_3gpuE3ELNS1_3repE0EEENS1_30default_config_static_selectorELNS0_4arch9wavefront6targetE0EEEvS12_,@function
_ZN7rocprim17ROCPRIM_400000_NS6detail17trampoline_kernelINS0_13select_configILj256ELj13ELNS0_17block_load_methodE3ELS4_3ELS4_3ELNS0_20block_scan_algorithmE0ELj4294967295EEENS1_25partition_config_selectorILNS1_17partition_subalgoE4EjNS0_10empty_typeEbEEZZNS1_14partition_implILS8_4ELb0ES6_15HIP_vector_typeIjLj2EENS0_17counting_iteratorIjlEEPS9_SG_NS0_5tupleIJPjSI_NS0_16reverse_iteratorISI_EEEEENSH_IJSG_SG_SG_EEES9_SI_JZNS1_25segmented_radix_sort_implINS0_14default_configELb1EPKbPbPKlPlN2at6native12_GLOBAL__N_18offset_tEEE10hipError_tPvRmT1_PNSt15iterator_traitsIS12_E10value_typeET2_T3_PNS13_IS18_E10value_typeET4_jRbjT5_S1E_jjP12ihipStream_tbEUljE_ZNSN_ISO_Lb1ESQ_SR_ST_SU_SY_EESZ_S10_S11_S12_S16_S17_S18_S1B_S1C_jS1D_jS1E_S1E_jjS1G_bEUljE0_EEESZ_S10_S11_S18_S1C_S1E_T6_T7_T9_mT8_S1G_bDpT10_ENKUlT_T0_E_clISt17integral_constantIbLb0EES1T_IbLb1EEEEDaS1P_S1Q_EUlS1P_E_NS1_11comp_targetILNS1_3genE9ELNS1_11target_archE1100ELNS1_3gpuE3ELNS1_3repE0EEENS1_30default_config_static_selectorELNS0_4arch9wavefront6targetE0EEEvS12_: ; @_ZN7rocprim17ROCPRIM_400000_NS6detail17trampoline_kernelINS0_13select_configILj256ELj13ELNS0_17block_load_methodE3ELS4_3ELS4_3ELNS0_20block_scan_algorithmE0ELj4294967295EEENS1_25partition_config_selectorILNS1_17partition_subalgoE4EjNS0_10empty_typeEbEEZZNS1_14partition_implILS8_4ELb0ES6_15HIP_vector_typeIjLj2EENS0_17counting_iteratorIjlEEPS9_SG_NS0_5tupleIJPjSI_NS0_16reverse_iteratorISI_EEEEENSH_IJSG_SG_SG_EEES9_SI_JZNS1_25segmented_radix_sort_implINS0_14default_configELb1EPKbPbPKlPlN2at6native12_GLOBAL__N_18offset_tEEE10hipError_tPvRmT1_PNSt15iterator_traitsIS12_E10value_typeET2_T3_PNS13_IS18_E10value_typeET4_jRbjT5_S1E_jjP12ihipStream_tbEUljE_ZNSN_ISO_Lb1ESQ_SR_ST_SU_SY_EESZ_S10_S11_S12_S16_S17_S18_S1B_S1C_jS1D_jS1E_S1E_jjS1G_bEUljE0_EEESZ_S10_S11_S18_S1C_S1E_T6_T7_T9_mT8_S1G_bDpT10_ENKUlT_T0_E_clISt17integral_constantIbLb0EES1T_IbLb1EEEEDaS1P_S1Q_EUlS1P_E_NS1_11comp_targetILNS1_3genE9ELNS1_11target_archE1100ELNS1_3gpuE3ELNS1_3repE0EEENS1_30default_config_static_selectorELNS0_4arch9wavefront6targetE0EEEvS12_
; %bb.0:
	.section	.rodata,"a",@progbits
	.p2align	6, 0x0
	.amdhsa_kernel _ZN7rocprim17ROCPRIM_400000_NS6detail17trampoline_kernelINS0_13select_configILj256ELj13ELNS0_17block_load_methodE3ELS4_3ELS4_3ELNS0_20block_scan_algorithmE0ELj4294967295EEENS1_25partition_config_selectorILNS1_17partition_subalgoE4EjNS0_10empty_typeEbEEZZNS1_14partition_implILS8_4ELb0ES6_15HIP_vector_typeIjLj2EENS0_17counting_iteratorIjlEEPS9_SG_NS0_5tupleIJPjSI_NS0_16reverse_iteratorISI_EEEEENSH_IJSG_SG_SG_EEES9_SI_JZNS1_25segmented_radix_sort_implINS0_14default_configELb1EPKbPbPKlPlN2at6native12_GLOBAL__N_18offset_tEEE10hipError_tPvRmT1_PNSt15iterator_traitsIS12_E10value_typeET2_T3_PNS13_IS18_E10value_typeET4_jRbjT5_S1E_jjP12ihipStream_tbEUljE_ZNSN_ISO_Lb1ESQ_SR_ST_SU_SY_EESZ_S10_S11_S12_S16_S17_S18_S1B_S1C_jS1D_jS1E_S1E_jjS1G_bEUljE0_EEESZ_S10_S11_S18_S1C_S1E_T6_T7_T9_mT8_S1G_bDpT10_ENKUlT_T0_E_clISt17integral_constantIbLb0EES1T_IbLb1EEEEDaS1P_S1Q_EUlS1P_E_NS1_11comp_targetILNS1_3genE9ELNS1_11target_archE1100ELNS1_3gpuE3ELNS1_3repE0EEENS1_30default_config_static_selectorELNS0_4arch9wavefront6targetE0EEEvS12_
		.amdhsa_group_segment_fixed_size 0
		.amdhsa_private_segment_fixed_size 0
		.amdhsa_kernarg_size 184
		.amdhsa_user_sgpr_count 2
		.amdhsa_user_sgpr_dispatch_ptr 0
		.amdhsa_user_sgpr_queue_ptr 0
		.amdhsa_user_sgpr_kernarg_segment_ptr 1
		.amdhsa_user_sgpr_dispatch_id 0
		.amdhsa_user_sgpr_kernarg_preload_length 0
		.amdhsa_user_sgpr_kernarg_preload_offset 0
		.amdhsa_user_sgpr_private_segment_size 0
		.amdhsa_wavefront_size32 1
		.amdhsa_uses_dynamic_stack 0
		.amdhsa_enable_private_segment 0
		.amdhsa_system_sgpr_workgroup_id_x 1
		.amdhsa_system_sgpr_workgroup_id_y 0
		.amdhsa_system_sgpr_workgroup_id_z 0
		.amdhsa_system_sgpr_workgroup_info 0
		.amdhsa_system_vgpr_workitem_id 0
		.amdhsa_next_free_vgpr 1
		.amdhsa_next_free_sgpr 1
		.amdhsa_named_barrier_count 0
		.amdhsa_reserve_vcc 0
		.amdhsa_float_round_mode_32 0
		.amdhsa_float_round_mode_16_64 0
		.amdhsa_float_denorm_mode_32 3
		.amdhsa_float_denorm_mode_16_64 3
		.amdhsa_fp16_overflow 0
		.amdhsa_memory_ordered 1
		.amdhsa_forward_progress 1
		.amdhsa_inst_pref_size 0
		.amdhsa_round_robin_scheduling 0
		.amdhsa_exception_fp_ieee_invalid_op 0
		.amdhsa_exception_fp_denorm_src 0
		.amdhsa_exception_fp_ieee_div_zero 0
		.amdhsa_exception_fp_ieee_overflow 0
		.amdhsa_exception_fp_ieee_underflow 0
		.amdhsa_exception_fp_ieee_inexact 0
		.amdhsa_exception_int_div_zero 0
	.end_amdhsa_kernel
	.section	.text._ZN7rocprim17ROCPRIM_400000_NS6detail17trampoline_kernelINS0_13select_configILj256ELj13ELNS0_17block_load_methodE3ELS4_3ELS4_3ELNS0_20block_scan_algorithmE0ELj4294967295EEENS1_25partition_config_selectorILNS1_17partition_subalgoE4EjNS0_10empty_typeEbEEZZNS1_14partition_implILS8_4ELb0ES6_15HIP_vector_typeIjLj2EENS0_17counting_iteratorIjlEEPS9_SG_NS0_5tupleIJPjSI_NS0_16reverse_iteratorISI_EEEEENSH_IJSG_SG_SG_EEES9_SI_JZNS1_25segmented_radix_sort_implINS0_14default_configELb1EPKbPbPKlPlN2at6native12_GLOBAL__N_18offset_tEEE10hipError_tPvRmT1_PNSt15iterator_traitsIS12_E10value_typeET2_T3_PNS13_IS18_E10value_typeET4_jRbjT5_S1E_jjP12ihipStream_tbEUljE_ZNSN_ISO_Lb1ESQ_SR_ST_SU_SY_EESZ_S10_S11_S12_S16_S17_S18_S1B_S1C_jS1D_jS1E_S1E_jjS1G_bEUljE0_EEESZ_S10_S11_S18_S1C_S1E_T6_T7_T9_mT8_S1G_bDpT10_ENKUlT_T0_E_clISt17integral_constantIbLb0EES1T_IbLb1EEEEDaS1P_S1Q_EUlS1P_E_NS1_11comp_targetILNS1_3genE9ELNS1_11target_archE1100ELNS1_3gpuE3ELNS1_3repE0EEENS1_30default_config_static_selectorELNS0_4arch9wavefront6targetE0EEEvS12_,"axG",@progbits,_ZN7rocprim17ROCPRIM_400000_NS6detail17trampoline_kernelINS0_13select_configILj256ELj13ELNS0_17block_load_methodE3ELS4_3ELS4_3ELNS0_20block_scan_algorithmE0ELj4294967295EEENS1_25partition_config_selectorILNS1_17partition_subalgoE4EjNS0_10empty_typeEbEEZZNS1_14partition_implILS8_4ELb0ES6_15HIP_vector_typeIjLj2EENS0_17counting_iteratorIjlEEPS9_SG_NS0_5tupleIJPjSI_NS0_16reverse_iteratorISI_EEEEENSH_IJSG_SG_SG_EEES9_SI_JZNS1_25segmented_radix_sort_implINS0_14default_configELb1EPKbPbPKlPlN2at6native12_GLOBAL__N_18offset_tEEE10hipError_tPvRmT1_PNSt15iterator_traitsIS12_E10value_typeET2_T3_PNS13_IS18_E10value_typeET4_jRbjT5_S1E_jjP12ihipStream_tbEUljE_ZNSN_ISO_Lb1ESQ_SR_ST_SU_SY_EESZ_S10_S11_S12_S16_S17_S18_S1B_S1C_jS1D_jS1E_S1E_jjS1G_bEUljE0_EEESZ_S10_S11_S18_S1C_S1E_T6_T7_T9_mT8_S1G_bDpT10_ENKUlT_T0_E_clISt17integral_constantIbLb0EES1T_IbLb1EEEEDaS1P_S1Q_EUlS1P_E_NS1_11comp_targetILNS1_3genE9ELNS1_11target_archE1100ELNS1_3gpuE3ELNS1_3repE0EEENS1_30default_config_static_selectorELNS0_4arch9wavefront6targetE0EEEvS12_,comdat
.Lfunc_end1490:
	.size	_ZN7rocprim17ROCPRIM_400000_NS6detail17trampoline_kernelINS0_13select_configILj256ELj13ELNS0_17block_load_methodE3ELS4_3ELS4_3ELNS0_20block_scan_algorithmE0ELj4294967295EEENS1_25partition_config_selectorILNS1_17partition_subalgoE4EjNS0_10empty_typeEbEEZZNS1_14partition_implILS8_4ELb0ES6_15HIP_vector_typeIjLj2EENS0_17counting_iteratorIjlEEPS9_SG_NS0_5tupleIJPjSI_NS0_16reverse_iteratorISI_EEEEENSH_IJSG_SG_SG_EEES9_SI_JZNS1_25segmented_radix_sort_implINS0_14default_configELb1EPKbPbPKlPlN2at6native12_GLOBAL__N_18offset_tEEE10hipError_tPvRmT1_PNSt15iterator_traitsIS12_E10value_typeET2_T3_PNS13_IS18_E10value_typeET4_jRbjT5_S1E_jjP12ihipStream_tbEUljE_ZNSN_ISO_Lb1ESQ_SR_ST_SU_SY_EESZ_S10_S11_S12_S16_S17_S18_S1B_S1C_jS1D_jS1E_S1E_jjS1G_bEUljE0_EEESZ_S10_S11_S18_S1C_S1E_T6_T7_T9_mT8_S1G_bDpT10_ENKUlT_T0_E_clISt17integral_constantIbLb0EES1T_IbLb1EEEEDaS1P_S1Q_EUlS1P_E_NS1_11comp_targetILNS1_3genE9ELNS1_11target_archE1100ELNS1_3gpuE3ELNS1_3repE0EEENS1_30default_config_static_selectorELNS0_4arch9wavefront6targetE0EEEvS12_, .Lfunc_end1490-_ZN7rocprim17ROCPRIM_400000_NS6detail17trampoline_kernelINS0_13select_configILj256ELj13ELNS0_17block_load_methodE3ELS4_3ELS4_3ELNS0_20block_scan_algorithmE0ELj4294967295EEENS1_25partition_config_selectorILNS1_17partition_subalgoE4EjNS0_10empty_typeEbEEZZNS1_14partition_implILS8_4ELb0ES6_15HIP_vector_typeIjLj2EENS0_17counting_iteratorIjlEEPS9_SG_NS0_5tupleIJPjSI_NS0_16reverse_iteratorISI_EEEEENSH_IJSG_SG_SG_EEES9_SI_JZNS1_25segmented_radix_sort_implINS0_14default_configELb1EPKbPbPKlPlN2at6native12_GLOBAL__N_18offset_tEEE10hipError_tPvRmT1_PNSt15iterator_traitsIS12_E10value_typeET2_T3_PNS13_IS18_E10value_typeET4_jRbjT5_S1E_jjP12ihipStream_tbEUljE_ZNSN_ISO_Lb1ESQ_SR_ST_SU_SY_EESZ_S10_S11_S12_S16_S17_S18_S1B_S1C_jS1D_jS1E_S1E_jjS1G_bEUljE0_EEESZ_S10_S11_S18_S1C_S1E_T6_T7_T9_mT8_S1G_bDpT10_ENKUlT_T0_E_clISt17integral_constantIbLb0EES1T_IbLb1EEEEDaS1P_S1Q_EUlS1P_E_NS1_11comp_targetILNS1_3genE9ELNS1_11target_archE1100ELNS1_3gpuE3ELNS1_3repE0EEENS1_30default_config_static_selectorELNS0_4arch9wavefront6targetE0EEEvS12_
                                        ; -- End function
	.set _ZN7rocprim17ROCPRIM_400000_NS6detail17trampoline_kernelINS0_13select_configILj256ELj13ELNS0_17block_load_methodE3ELS4_3ELS4_3ELNS0_20block_scan_algorithmE0ELj4294967295EEENS1_25partition_config_selectorILNS1_17partition_subalgoE4EjNS0_10empty_typeEbEEZZNS1_14partition_implILS8_4ELb0ES6_15HIP_vector_typeIjLj2EENS0_17counting_iteratorIjlEEPS9_SG_NS0_5tupleIJPjSI_NS0_16reverse_iteratorISI_EEEEENSH_IJSG_SG_SG_EEES9_SI_JZNS1_25segmented_radix_sort_implINS0_14default_configELb1EPKbPbPKlPlN2at6native12_GLOBAL__N_18offset_tEEE10hipError_tPvRmT1_PNSt15iterator_traitsIS12_E10value_typeET2_T3_PNS13_IS18_E10value_typeET4_jRbjT5_S1E_jjP12ihipStream_tbEUljE_ZNSN_ISO_Lb1ESQ_SR_ST_SU_SY_EESZ_S10_S11_S12_S16_S17_S18_S1B_S1C_jS1D_jS1E_S1E_jjS1G_bEUljE0_EEESZ_S10_S11_S18_S1C_S1E_T6_T7_T9_mT8_S1G_bDpT10_ENKUlT_T0_E_clISt17integral_constantIbLb0EES1T_IbLb1EEEEDaS1P_S1Q_EUlS1P_E_NS1_11comp_targetILNS1_3genE9ELNS1_11target_archE1100ELNS1_3gpuE3ELNS1_3repE0EEENS1_30default_config_static_selectorELNS0_4arch9wavefront6targetE0EEEvS12_.num_vgpr, 0
	.set _ZN7rocprim17ROCPRIM_400000_NS6detail17trampoline_kernelINS0_13select_configILj256ELj13ELNS0_17block_load_methodE3ELS4_3ELS4_3ELNS0_20block_scan_algorithmE0ELj4294967295EEENS1_25partition_config_selectorILNS1_17partition_subalgoE4EjNS0_10empty_typeEbEEZZNS1_14partition_implILS8_4ELb0ES6_15HIP_vector_typeIjLj2EENS0_17counting_iteratorIjlEEPS9_SG_NS0_5tupleIJPjSI_NS0_16reverse_iteratorISI_EEEEENSH_IJSG_SG_SG_EEES9_SI_JZNS1_25segmented_radix_sort_implINS0_14default_configELb1EPKbPbPKlPlN2at6native12_GLOBAL__N_18offset_tEEE10hipError_tPvRmT1_PNSt15iterator_traitsIS12_E10value_typeET2_T3_PNS13_IS18_E10value_typeET4_jRbjT5_S1E_jjP12ihipStream_tbEUljE_ZNSN_ISO_Lb1ESQ_SR_ST_SU_SY_EESZ_S10_S11_S12_S16_S17_S18_S1B_S1C_jS1D_jS1E_S1E_jjS1G_bEUljE0_EEESZ_S10_S11_S18_S1C_S1E_T6_T7_T9_mT8_S1G_bDpT10_ENKUlT_T0_E_clISt17integral_constantIbLb0EES1T_IbLb1EEEEDaS1P_S1Q_EUlS1P_E_NS1_11comp_targetILNS1_3genE9ELNS1_11target_archE1100ELNS1_3gpuE3ELNS1_3repE0EEENS1_30default_config_static_selectorELNS0_4arch9wavefront6targetE0EEEvS12_.num_agpr, 0
	.set _ZN7rocprim17ROCPRIM_400000_NS6detail17trampoline_kernelINS0_13select_configILj256ELj13ELNS0_17block_load_methodE3ELS4_3ELS4_3ELNS0_20block_scan_algorithmE0ELj4294967295EEENS1_25partition_config_selectorILNS1_17partition_subalgoE4EjNS0_10empty_typeEbEEZZNS1_14partition_implILS8_4ELb0ES6_15HIP_vector_typeIjLj2EENS0_17counting_iteratorIjlEEPS9_SG_NS0_5tupleIJPjSI_NS0_16reverse_iteratorISI_EEEEENSH_IJSG_SG_SG_EEES9_SI_JZNS1_25segmented_radix_sort_implINS0_14default_configELb1EPKbPbPKlPlN2at6native12_GLOBAL__N_18offset_tEEE10hipError_tPvRmT1_PNSt15iterator_traitsIS12_E10value_typeET2_T3_PNS13_IS18_E10value_typeET4_jRbjT5_S1E_jjP12ihipStream_tbEUljE_ZNSN_ISO_Lb1ESQ_SR_ST_SU_SY_EESZ_S10_S11_S12_S16_S17_S18_S1B_S1C_jS1D_jS1E_S1E_jjS1G_bEUljE0_EEESZ_S10_S11_S18_S1C_S1E_T6_T7_T9_mT8_S1G_bDpT10_ENKUlT_T0_E_clISt17integral_constantIbLb0EES1T_IbLb1EEEEDaS1P_S1Q_EUlS1P_E_NS1_11comp_targetILNS1_3genE9ELNS1_11target_archE1100ELNS1_3gpuE3ELNS1_3repE0EEENS1_30default_config_static_selectorELNS0_4arch9wavefront6targetE0EEEvS12_.numbered_sgpr, 0
	.set _ZN7rocprim17ROCPRIM_400000_NS6detail17trampoline_kernelINS0_13select_configILj256ELj13ELNS0_17block_load_methodE3ELS4_3ELS4_3ELNS0_20block_scan_algorithmE0ELj4294967295EEENS1_25partition_config_selectorILNS1_17partition_subalgoE4EjNS0_10empty_typeEbEEZZNS1_14partition_implILS8_4ELb0ES6_15HIP_vector_typeIjLj2EENS0_17counting_iteratorIjlEEPS9_SG_NS0_5tupleIJPjSI_NS0_16reverse_iteratorISI_EEEEENSH_IJSG_SG_SG_EEES9_SI_JZNS1_25segmented_radix_sort_implINS0_14default_configELb1EPKbPbPKlPlN2at6native12_GLOBAL__N_18offset_tEEE10hipError_tPvRmT1_PNSt15iterator_traitsIS12_E10value_typeET2_T3_PNS13_IS18_E10value_typeET4_jRbjT5_S1E_jjP12ihipStream_tbEUljE_ZNSN_ISO_Lb1ESQ_SR_ST_SU_SY_EESZ_S10_S11_S12_S16_S17_S18_S1B_S1C_jS1D_jS1E_S1E_jjS1G_bEUljE0_EEESZ_S10_S11_S18_S1C_S1E_T6_T7_T9_mT8_S1G_bDpT10_ENKUlT_T0_E_clISt17integral_constantIbLb0EES1T_IbLb1EEEEDaS1P_S1Q_EUlS1P_E_NS1_11comp_targetILNS1_3genE9ELNS1_11target_archE1100ELNS1_3gpuE3ELNS1_3repE0EEENS1_30default_config_static_selectorELNS0_4arch9wavefront6targetE0EEEvS12_.num_named_barrier, 0
	.set _ZN7rocprim17ROCPRIM_400000_NS6detail17trampoline_kernelINS0_13select_configILj256ELj13ELNS0_17block_load_methodE3ELS4_3ELS4_3ELNS0_20block_scan_algorithmE0ELj4294967295EEENS1_25partition_config_selectorILNS1_17partition_subalgoE4EjNS0_10empty_typeEbEEZZNS1_14partition_implILS8_4ELb0ES6_15HIP_vector_typeIjLj2EENS0_17counting_iteratorIjlEEPS9_SG_NS0_5tupleIJPjSI_NS0_16reverse_iteratorISI_EEEEENSH_IJSG_SG_SG_EEES9_SI_JZNS1_25segmented_radix_sort_implINS0_14default_configELb1EPKbPbPKlPlN2at6native12_GLOBAL__N_18offset_tEEE10hipError_tPvRmT1_PNSt15iterator_traitsIS12_E10value_typeET2_T3_PNS13_IS18_E10value_typeET4_jRbjT5_S1E_jjP12ihipStream_tbEUljE_ZNSN_ISO_Lb1ESQ_SR_ST_SU_SY_EESZ_S10_S11_S12_S16_S17_S18_S1B_S1C_jS1D_jS1E_S1E_jjS1G_bEUljE0_EEESZ_S10_S11_S18_S1C_S1E_T6_T7_T9_mT8_S1G_bDpT10_ENKUlT_T0_E_clISt17integral_constantIbLb0EES1T_IbLb1EEEEDaS1P_S1Q_EUlS1P_E_NS1_11comp_targetILNS1_3genE9ELNS1_11target_archE1100ELNS1_3gpuE3ELNS1_3repE0EEENS1_30default_config_static_selectorELNS0_4arch9wavefront6targetE0EEEvS12_.private_seg_size, 0
	.set _ZN7rocprim17ROCPRIM_400000_NS6detail17trampoline_kernelINS0_13select_configILj256ELj13ELNS0_17block_load_methodE3ELS4_3ELS4_3ELNS0_20block_scan_algorithmE0ELj4294967295EEENS1_25partition_config_selectorILNS1_17partition_subalgoE4EjNS0_10empty_typeEbEEZZNS1_14partition_implILS8_4ELb0ES6_15HIP_vector_typeIjLj2EENS0_17counting_iteratorIjlEEPS9_SG_NS0_5tupleIJPjSI_NS0_16reverse_iteratorISI_EEEEENSH_IJSG_SG_SG_EEES9_SI_JZNS1_25segmented_radix_sort_implINS0_14default_configELb1EPKbPbPKlPlN2at6native12_GLOBAL__N_18offset_tEEE10hipError_tPvRmT1_PNSt15iterator_traitsIS12_E10value_typeET2_T3_PNS13_IS18_E10value_typeET4_jRbjT5_S1E_jjP12ihipStream_tbEUljE_ZNSN_ISO_Lb1ESQ_SR_ST_SU_SY_EESZ_S10_S11_S12_S16_S17_S18_S1B_S1C_jS1D_jS1E_S1E_jjS1G_bEUljE0_EEESZ_S10_S11_S18_S1C_S1E_T6_T7_T9_mT8_S1G_bDpT10_ENKUlT_T0_E_clISt17integral_constantIbLb0EES1T_IbLb1EEEEDaS1P_S1Q_EUlS1P_E_NS1_11comp_targetILNS1_3genE9ELNS1_11target_archE1100ELNS1_3gpuE3ELNS1_3repE0EEENS1_30default_config_static_selectorELNS0_4arch9wavefront6targetE0EEEvS12_.uses_vcc, 0
	.set _ZN7rocprim17ROCPRIM_400000_NS6detail17trampoline_kernelINS0_13select_configILj256ELj13ELNS0_17block_load_methodE3ELS4_3ELS4_3ELNS0_20block_scan_algorithmE0ELj4294967295EEENS1_25partition_config_selectorILNS1_17partition_subalgoE4EjNS0_10empty_typeEbEEZZNS1_14partition_implILS8_4ELb0ES6_15HIP_vector_typeIjLj2EENS0_17counting_iteratorIjlEEPS9_SG_NS0_5tupleIJPjSI_NS0_16reverse_iteratorISI_EEEEENSH_IJSG_SG_SG_EEES9_SI_JZNS1_25segmented_radix_sort_implINS0_14default_configELb1EPKbPbPKlPlN2at6native12_GLOBAL__N_18offset_tEEE10hipError_tPvRmT1_PNSt15iterator_traitsIS12_E10value_typeET2_T3_PNS13_IS18_E10value_typeET4_jRbjT5_S1E_jjP12ihipStream_tbEUljE_ZNSN_ISO_Lb1ESQ_SR_ST_SU_SY_EESZ_S10_S11_S12_S16_S17_S18_S1B_S1C_jS1D_jS1E_S1E_jjS1G_bEUljE0_EEESZ_S10_S11_S18_S1C_S1E_T6_T7_T9_mT8_S1G_bDpT10_ENKUlT_T0_E_clISt17integral_constantIbLb0EES1T_IbLb1EEEEDaS1P_S1Q_EUlS1P_E_NS1_11comp_targetILNS1_3genE9ELNS1_11target_archE1100ELNS1_3gpuE3ELNS1_3repE0EEENS1_30default_config_static_selectorELNS0_4arch9wavefront6targetE0EEEvS12_.uses_flat_scratch, 0
	.set _ZN7rocprim17ROCPRIM_400000_NS6detail17trampoline_kernelINS0_13select_configILj256ELj13ELNS0_17block_load_methodE3ELS4_3ELS4_3ELNS0_20block_scan_algorithmE0ELj4294967295EEENS1_25partition_config_selectorILNS1_17partition_subalgoE4EjNS0_10empty_typeEbEEZZNS1_14partition_implILS8_4ELb0ES6_15HIP_vector_typeIjLj2EENS0_17counting_iteratorIjlEEPS9_SG_NS0_5tupleIJPjSI_NS0_16reverse_iteratorISI_EEEEENSH_IJSG_SG_SG_EEES9_SI_JZNS1_25segmented_radix_sort_implINS0_14default_configELb1EPKbPbPKlPlN2at6native12_GLOBAL__N_18offset_tEEE10hipError_tPvRmT1_PNSt15iterator_traitsIS12_E10value_typeET2_T3_PNS13_IS18_E10value_typeET4_jRbjT5_S1E_jjP12ihipStream_tbEUljE_ZNSN_ISO_Lb1ESQ_SR_ST_SU_SY_EESZ_S10_S11_S12_S16_S17_S18_S1B_S1C_jS1D_jS1E_S1E_jjS1G_bEUljE0_EEESZ_S10_S11_S18_S1C_S1E_T6_T7_T9_mT8_S1G_bDpT10_ENKUlT_T0_E_clISt17integral_constantIbLb0EES1T_IbLb1EEEEDaS1P_S1Q_EUlS1P_E_NS1_11comp_targetILNS1_3genE9ELNS1_11target_archE1100ELNS1_3gpuE3ELNS1_3repE0EEENS1_30default_config_static_selectorELNS0_4arch9wavefront6targetE0EEEvS12_.has_dyn_sized_stack, 0
	.set _ZN7rocprim17ROCPRIM_400000_NS6detail17trampoline_kernelINS0_13select_configILj256ELj13ELNS0_17block_load_methodE3ELS4_3ELS4_3ELNS0_20block_scan_algorithmE0ELj4294967295EEENS1_25partition_config_selectorILNS1_17partition_subalgoE4EjNS0_10empty_typeEbEEZZNS1_14partition_implILS8_4ELb0ES6_15HIP_vector_typeIjLj2EENS0_17counting_iteratorIjlEEPS9_SG_NS0_5tupleIJPjSI_NS0_16reverse_iteratorISI_EEEEENSH_IJSG_SG_SG_EEES9_SI_JZNS1_25segmented_radix_sort_implINS0_14default_configELb1EPKbPbPKlPlN2at6native12_GLOBAL__N_18offset_tEEE10hipError_tPvRmT1_PNSt15iterator_traitsIS12_E10value_typeET2_T3_PNS13_IS18_E10value_typeET4_jRbjT5_S1E_jjP12ihipStream_tbEUljE_ZNSN_ISO_Lb1ESQ_SR_ST_SU_SY_EESZ_S10_S11_S12_S16_S17_S18_S1B_S1C_jS1D_jS1E_S1E_jjS1G_bEUljE0_EEESZ_S10_S11_S18_S1C_S1E_T6_T7_T9_mT8_S1G_bDpT10_ENKUlT_T0_E_clISt17integral_constantIbLb0EES1T_IbLb1EEEEDaS1P_S1Q_EUlS1P_E_NS1_11comp_targetILNS1_3genE9ELNS1_11target_archE1100ELNS1_3gpuE3ELNS1_3repE0EEENS1_30default_config_static_selectorELNS0_4arch9wavefront6targetE0EEEvS12_.has_recursion, 0
	.set _ZN7rocprim17ROCPRIM_400000_NS6detail17trampoline_kernelINS0_13select_configILj256ELj13ELNS0_17block_load_methodE3ELS4_3ELS4_3ELNS0_20block_scan_algorithmE0ELj4294967295EEENS1_25partition_config_selectorILNS1_17partition_subalgoE4EjNS0_10empty_typeEbEEZZNS1_14partition_implILS8_4ELb0ES6_15HIP_vector_typeIjLj2EENS0_17counting_iteratorIjlEEPS9_SG_NS0_5tupleIJPjSI_NS0_16reverse_iteratorISI_EEEEENSH_IJSG_SG_SG_EEES9_SI_JZNS1_25segmented_radix_sort_implINS0_14default_configELb1EPKbPbPKlPlN2at6native12_GLOBAL__N_18offset_tEEE10hipError_tPvRmT1_PNSt15iterator_traitsIS12_E10value_typeET2_T3_PNS13_IS18_E10value_typeET4_jRbjT5_S1E_jjP12ihipStream_tbEUljE_ZNSN_ISO_Lb1ESQ_SR_ST_SU_SY_EESZ_S10_S11_S12_S16_S17_S18_S1B_S1C_jS1D_jS1E_S1E_jjS1G_bEUljE0_EEESZ_S10_S11_S18_S1C_S1E_T6_T7_T9_mT8_S1G_bDpT10_ENKUlT_T0_E_clISt17integral_constantIbLb0EES1T_IbLb1EEEEDaS1P_S1Q_EUlS1P_E_NS1_11comp_targetILNS1_3genE9ELNS1_11target_archE1100ELNS1_3gpuE3ELNS1_3repE0EEENS1_30default_config_static_selectorELNS0_4arch9wavefront6targetE0EEEvS12_.has_indirect_call, 0
	.section	.AMDGPU.csdata,"",@progbits
; Kernel info:
; codeLenInByte = 0
; TotalNumSgprs: 0
; NumVgprs: 0
; ScratchSize: 0
; MemoryBound: 0
; FloatMode: 240
; IeeeMode: 1
; LDSByteSize: 0 bytes/workgroup (compile time only)
; SGPRBlocks: 0
; VGPRBlocks: 0
; NumSGPRsForWavesPerEU: 1
; NumVGPRsForWavesPerEU: 1
; NamedBarCnt: 0
; Occupancy: 16
; WaveLimiterHint : 0
; COMPUTE_PGM_RSRC2:SCRATCH_EN: 0
; COMPUTE_PGM_RSRC2:USER_SGPR: 2
; COMPUTE_PGM_RSRC2:TRAP_HANDLER: 0
; COMPUTE_PGM_RSRC2:TGID_X_EN: 1
; COMPUTE_PGM_RSRC2:TGID_Y_EN: 0
; COMPUTE_PGM_RSRC2:TGID_Z_EN: 0
; COMPUTE_PGM_RSRC2:TIDIG_COMP_CNT: 0
	.section	.text._ZN7rocprim17ROCPRIM_400000_NS6detail17trampoline_kernelINS0_13select_configILj256ELj13ELNS0_17block_load_methodE3ELS4_3ELS4_3ELNS0_20block_scan_algorithmE0ELj4294967295EEENS1_25partition_config_selectorILNS1_17partition_subalgoE4EjNS0_10empty_typeEbEEZZNS1_14partition_implILS8_4ELb0ES6_15HIP_vector_typeIjLj2EENS0_17counting_iteratorIjlEEPS9_SG_NS0_5tupleIJPjSI_NS0_16reverse_iteratorISI_EEEEENSH_IJSG_SG_SG_EEES9_SI_JZNS1_25segmented_radix_sort_implINS0_14default_configELb1EPKbPbPKlPlN2at6native12_GLOBAL__N_18offset_tEEE10hipError_tPvRmT1_PNSt15iterator_traitsIS12_E10value_typeET2_T3_PNS13_IS18_E10value_typeET4_jRbjT5_S1E_jjP12ihipStream_tbEUljE_ZNSN_ISO_Lb1ESQ_SR_ST_SU_SY_EESZ_S10_S11_S12_S16_S17_S18_S1B_S1C_jS1D_jS1E_S1E_jjS1G_bEUljE0_EEESZ_S10_S11_S18_S1C_S1E_T6_T7_T9_mT8_S1G_bDpT10_ENKUlT_T0_E_clISt17integral_constantIbLb0EES1T_IbLb1EEEEDaS1P_S1Q_EUlS1P_E_NS1_11comp_targetILNS1_3genE8ELNS1_11target_archE1030ELNS1_3gpuE2ELNS1_3repE0EEENS1_30default_config_static_selectorELNS0_4arch9wavefront6targetE0EEEvS12_,"axG",@progbits,_ZN7rocprim17ROCPRIM_400000_NS6detail17trampoline_kernelINS0_13select_configILj256ELj13ELNS0_17block_load_methodE3ELS4_3ELS4_3ELNS0_20block_scan_algorithmE0ELj4294967295EEENS1_25partition_config_selectorILNS1_17partition_subalgoE4EjNS0_10empty_typeEbEEZZNS1_14partition_implILS8_4ELb0ES6_15HIP_vector_typeIjLj2EENS0_17counting_iteratorIjlEEPS9_SG_NS0_5tupleIJPjSI_NS0_16reverse_iteratorISI_EEEEENSH_IJSG_SG_SG_EEES9_SI_JZNS1_25segmented_radix_sort_implINS0_14default_configELb1EPKbPbPKlPlN2at6native12_GLOBAL__N_18offset_tEEE10hipError_tPvRmT1_PNSt15iterator_traitsIS12_E10value_typeET2_T3_PNS13_IS18_E10value_typeET4_jRbjT5_S1E_jjP12ihipStream_tbEUljE_ZNSN_ISO_Lb1ESQ_SR_ST_SU_SY_EESZ_S10_S11_S12_S16_S17_S18_S1B_S1C_jS1D_jS1E_S1E_jjS1G_bEUljE0_EEESZ_S10_S11_S18_S1C_S1E_T6_T7_T9_mT8_S1G_bDpT10_ENKUlT_T0_E_clISt17integral_constantIbLb0EES1T_IbLb1EEEEDaS1P_S1Q_EUlS1P_E_NS1_11comp_targetILNS1_3genE8ELNS1_11target_archE1030ELNS1_3gpuE2ELNS1_3repE0EEENS1_30default_config_static_selectorELNS0_4arch9wavefront6targetE0EEEvS12_,comdat
	.globl	_ZN7rocprim17ROCPRIM_400000_NS6detail17trampoline_kernelINS0_13select_configILj256ELj13ELNS0_17block_load_methodE3ELS4_3ELS4_3ELNS0_20block_scan_algorithmE0ELj4294967295EEENS1_25partition_config_selectorILNS1_17partition_subalgoE4EjNS0_10empty_typeEbEEZZNS1_14partition_implILS8_4ELb0ES6_15HIP_vector_typeIjLj2EENS0_17counting_iteratorIjlEEPS9_SG_NS0_5tupleIJPjSI_NS0_16reverse_iteratorISI_EEEEENSH_IJSG_SG_SG_EEES9_SI_JZNS1_25segmented_radix_sort_implINS0_14default_configELb1EPKbPbPKlPlN2at6native12_GLOBAL__N_18offset_tEEE10hipError_tPvRmT1_PNSt15iterator_traitsIS12_E10value_typeET2_T3_PNS13_IS18_E10value_typeET4_jRbjT5_S1E_jjP12ihipStream_tbEUljE_ZNSN_ISO_Lb1ESQ_SR_ST_SU_SY_EESZ_S10_S11_S12_S16_S17_S18_S1B_S1C_jS1D_jS1E_S1E_jjS1G_bEUljE0_EEESZ_S10_S11_S18_S1C_S1E_T6_T7_T9_mT8_S1G_bDpT10_ENKUlT_T0_E_clISt17integral_constantIbLb0EES1T_IbLb1EEEEDaS1P_S1Q_EUlS1P_E_NS1_11comp_targetILNS1_3genE8ELNS1_11target_archE1030ELNS1_3gpuE2ELNS1_3repE0EEENS1_30default_config_static_selectorELNS0_4arch9wavefront6targetE0EEEvS12_ ; -- Begin function _ZN7rocprim17ROCPRIM_400000_NS6detail17trampoline_kernelINS0_13select_configILj256ELj13ELNS0_17block_load_methodE3ELS4_3ELS4_3ELNS0_20block_scan_algorithmE0ELj4294967295EEENS1_25partition_config_selectorILNS1_17partition_subalgoE4EjNS0_10empty_typeEbEEZZNS1_14partition_implILS8_4ELb0ES6_15HIP_vector_typeIjLj2EENS0_17counting_iteratorIjlEEPS9_SG_NS0_5tupleIJPjSI_NS0_16reverse_iteratorISI_EEEEENSH_IJSG_SG_SG_EEES9_SI_JZNS1_25segmented_radix_sort_implINS0_14default_configELb1EPKbPbPKlPlN2at6native12_GLOBAL__N_18offset_tEEE10hipError_tPvRmT1_PNSt15iterator_traitsIS12_E10value_typeET2_T3_PNS13_IS18_E10value_typeET4_jRbjT5_S1E_jjP12ihipStream_tbEUljE_ZNSN_ISO_Lb1ESQ_SR_ST_SU_SY_EESZ_S10_S11_S12_S16_S17_S18_S1B_S1C_jS1D_jS1E_S1E_jjS1G_bEUljE0_EEESZ_S10_S11_S18_S1C_S1E_T6_T7_T9_mT8_S1G_bDpT10_ENKUlT_T0_E_clISt17integral_constantIbLb0EES1T_IbLb1EEEEDaS1P_S1Q_EUlS1P_E_NS1_11comp_targetILNS1_3genE8ELNS1_11target_archE1030ELNS1_3gpuE2ELNS1_3repE0EEENS1_30default_config_static_selectorELNS0_4arch9wavefront6targetE0EEEvS12_
	.p2align	8
	.type	_ZN7rocprim17ROCPRIM_400000_NS6detail17trampoline_kernelINS0_13select_configILj256ELj13ELNS0_17block_load_methodE3ELS4_3ELS4_3ELNS0_20block_scan_algorithmE0ELj4294967295EEENS1_25partition_config_selectorILNS1_17partition_subalgoE4EjNS0_10empty_typeEbEEZZNS1_14partition_implILS8_4ELb0ES6_15HIP_vector_typeIjLj2EENS0_17counting_iteratorIjlEEPS9_SG_NS0_5tupleIJPjSI_NS0_16reverse_iteratorISI_EEEEENSH_IJSG_SG_SG_EEES9_SI_JZNS1_25segmented_radix_sort_implINS0_14default_configELb1EPKbPbPKlPlN2at6native12_GLOBAL__N_18offset_tEEE10hipError_tPvRmT1_PNSt15iterator_traitsIS12_E10value_typeET2_T3_PNS13_IS18_E10value_typeET4_jRbjT5_S1E_jjP12ihipStream_tbEUljE_ZNSN_ISO_Lb1ESQ_SR_ST_SU_SY_EESZ_S10_S11_S12_S16_S17_S18_S1B_S1C_jS1D_jS1E_S1E_jjS1G_bEUljE0_EEESZ_S10_S11_S18_S1C_S1E_T6_T7_T9_mT8_S1G_bDpT10_ENKUlT_T0_E_clISt17integral_constantIbLb0EES1T_IbLb1EEEEDaS1P_S1Q_EUlS1P_E_NS1_11comp_targetILNS1_3genE8ELNS1_11target_archE1030ELNS1_3gpuE2ELNS1_3repE0EEENS1_30default_config_static_selectorELNS0_4arch9wavefront6targetE0EEEvS12_,@function
_ZN7rocprim17ROCPRIM_400000_NS6detail17trampoline_kernelINS0_13select_configILj256ELj13ELNS0_17block_load_methodE3ELS4_3ELS4_3ELNS0_20block_scan_algorithmE0ELj4294967295EEENS1_25partition_config_selectorILNS1_17partition_subalgoE4EjNS0_10empty_typeEbEEZZNS1_14partition_implILS8_4ELb0ES6_15HIP_vector_typeIjLj2EENS0_17counting_iteratorIjlEEPS9_SG_NS0_5tupleIJPjSI_NS0_16reverse_iteratorISI_EEEEENSH_IJSG_SG_SG_EEES9_SI_JZNS1_25segmented_radix_sort_implINS0_14default_configELb1EPKbPbPKlPlN2at6native12_GLOBAL__N_18offset_tEEE10hipError_tPvRmT1_PNSt15iterator_traitsIS12_E10value_typeET2_T3_PNS13_IS18_E10value_typeET4_jRbjT5_S1E_jjP12ihipStream_tbEUljE_ZNSN_ISO_Lb1ESQ_SR_ST_SU_SY_EESZ_S10_S11_S12_S16_S17_S18_S1B_S1C_jS1D_jS1E_S1E_jjS1G_bEUljE0_EEESZ_S10_S11_S18_S1C_S1E_T6_T7_T9_mT8_S1G_bDpT10_ENKUlT_T0_E_clISt17integral_constantIbLb0EES1T_IbLb1EEEEDaS1P_S1Q_EUlS1P_E_NS1_11comp_targetILNS1_3genE8ELNS1_11target_archE1030ELNS1_3gpuE2ELNS1_3repE0EEENS1_30default_config_static_selectorELNS0_4arch9wavefront6targetE0EEEvS12_: ; @_ZN7rocprim17ROCPRIM_400000_NS6detail17trampoline_kernelINS0_13select_configILj256ELj13ELNS0_17block_load_methodE3ELS4_3ELS4_3ELNS0_20block_scan_algorithmE0ELj4294967295EEENS1_25partition_config_selectorILNS1_17partition_subalgoE4EjNS0_10empty_typeEbEEZZNS1_14partition_implILS8_4ELb0ES6_15HIP_vector_typeIjLj2EENS0_17counting_iteratorIjlEEPS9_SG_NS0_5tupleIJPjSI_NS0_16reverse_iteratorISI_EEEEENSH_IJSG_SG_SG_EEES9_SI_JZNS1_25segmented_radix_sort_implINS0_14default_configELb1EPKbPbPKlPlN2at6native12_GLOBAL__N_18offset_tEEE10hipError_tPvRmT1_PNSt15iterator_traitsIS12_E10value_typeET2_T3_PNS13_IS18_E10value_typeET4_jRbjT5_S1E_jjP12ihipStream_tbEUljE_ZNSN_ISO_Lb1ESQ_SR_ST_SU_SY_EESZ_S10_S11_S12_S16_S17_S18_S1B_S1C_jS1D_jS1E_S1E_jjS1G_bEUljE0_EEESZ_S10_S11_S18_S1C_S1E_T6_T7_T9_mT8_S1G_bDpT10_ENKUlT_T0_E_clISt17integral_constantIbLb0EES1T_IbLb1EEEEDaS1P_S1Q_EUlS1P_E_NS1_11comp_targetILNS1_3genE8ELNS1_11target_archE1030ELNS1_3gpuE2ELNS1_3repE0EEENS1_30default_config_static_selectorELNS0_4arch9wavefront6targetE0EEEvS12_
; %bb.0:
	.section	.rodata,"a",@progbits
	.p2align	6, 0x0
	.amdhsa_kernel _ZN7rocprim17ROCPRIM_400000_NS6detail17trampoline_kernelINS0_13select_configILj256ELj13ELNS0_17block_load_methodE3ELS4_3ELS4_3ELNS0_20block_scan_algorithmE0ELj4294967295EEENS1_25partition_config_selectorILNS1_17partition_subalgoE4EjNS0_10empty_typeEbEEZZNS1_14partition_implILS8_4ELb0ES6_15HIP_vector_typeIjLj2EENS0_17counting_iteratorIjlEEPS9_SG_NS0_5tupleIJPjSI_NS0_16reverse_iteratorISI_EEEEENSH_IJSG_SG_SG_EEES9_SI_JZNS1_25segmented_radix_sort_implINS0_14default_configELb1EPKbPbPKlPlN2at6native12_GLOBAL__N_18offset_tEEE10hipError_tPvRmT1_PNSt15iterator_traitsIS12_E10value_typeET2_T3_PNS13_IS18_E10value_typeET4_jRbjT5_S1E_jjP12ihipStream_tbEUljE_ZNSN_ISO_Lb1ESQ_SR_ST_SU_SY_EESZ_S10_S11_S12_S16_S17_S18_S1B_S1C_jS1D_jS1E_S1E_jjS1G_bEUljE0_EEESZ_S10_S11_S18_S1C_S1E_T6_T7_T9_mT8_S1G_bDpT10_ENKUlT_T0_E_clISt17integral_constantIbLb0EES1T_IbLb1EEEEDaS1P_S1Q_EUlS1P_E_NS1_11comp_targetILNS1_3genE8ELNS1_11target_archE1030ELNS1_3gpuE2ELNS1_3repE0EEENS1_30default_config_static_selectorELNS0_4arch9wavefront6targetE0EEEvS12_
		.amdhsa_group_segment_fixed_size 0
		.amdhsa_private_segment_fixed_size 0
		.amdhsa_kernarg_size 184
		.amdhsa_user_sgpr_count 2
		.amdhsa_user_sgpr_dispatch_ptr 0
		.amdhsa_user_sgpr_queue_ptr 0
		.amdhsa_user_sgpr_kernarg_segment_ptr 1
		.amdhsa_user_sgpr_dispatch_id 0
		.amdhsa_user_sgpr_kernarg_preload_length 0
		.amdhsa_user_sgpr_kernarg_preload_offset 0
		.amdhsa_user_sgpr_private_segment_size 0
		.amdhsa_wavefront_size32 1
		.amdhsa_uses_dynamic_stack 0
		.amdhsa_enable_private_segment 0
		.amdhsa_system_sgpr_workgroup_id_x 1
		.amdhsa_system_sgpr_workgroup_id_y 0
		.amdhsa_system_sgpr_workgroup_id_z 0
		.amdhsa_system_sgpr_workgroup_info 0
		.amdhsa_system_vgpr_workitem_id 0
		.amdhsa_next_free_vgpr 1
		.amdhsa_next_free_sgpr 1
		.amdhsa_named_barrier_count 0
		.amdhsa_reserve_vcc 0
		.amdhsa_float_round_mode_32 0
		.amdhsa_float_round_mode_16_64 0
		.amdhsa_float_denorm_mode_32 3
		.amdhsa_float_denorm_mode_16_64 3
		.amdhsa_fp16_overflow 0
		.amdhsa_memory_ordered 1
		.amdhsa_forward_progress 1
		.amdhsa_inst_pref_size 0
		.amdhsa_round_robin_scheduling 0
		.amdhsa_exception_fp_ieee_invalid_op 0
		.amdhsa_exception_fp_denorm_src 0
		.amdhsa_exception_fp_ieee_div_zero 0
		.amdhsa_exception_fp_ieee_overflow 0
		.amdhsa_exception_fp_ieee_underflow 0
		.amdhsa_exception_fp_ieee_inexact 0
		.amdhsa_exception_int_div_zero 0
	.end_amdhsa_kernel
	.section	.text._ZN7rocprim17ROCPRIM_400000_NS6detail17trampoline_kernelINS0_13select_configILj256ELj13ELNS0_17block_load_methodE3ELS4_3ELS4_3ELNS0_20block_scan_algorithmE0ELj4294967295EEENS1_25partition_config_selectorILNS1_17partition_subalgoE4EjNS0_10empty_typeEbEEZZNS1_14partition_implILS8_4ELb0ES6_15HIP_vector_typeIjLj2EENS0_17counting_iteratorIjlEEPS9_SG_NS0_5tupleIJPjSI_NS0_16reverse_iteratorISI_EEEEENSH_IJSG_SG_SG_EEES9_SI_JZNS1_25segmented_radix_sort_implINS0_14default_configELb1EPKbPbPKlPlN2at6native12_GLOBAL__N_18offset_tEEE10hipError_tPvRmT1_PNSt15iterator_traitsIS12_E10value_typeET2_T3_PNS13_IS18_E10value_typeET4_jRbjT5_S1E_jjP12ihipStream_tbEUljE_ZNSN_ISO_Lb1ESQ_SR_ST_SU_SY_EESZ_S10_S11_S12_S16_S17_S18_S1B_S1C_jS1D_jS1E_S1E_jjS1G_bEUljE0_EEESZ_S10_S11_S18_S1C_S1E_T6_T7_T9_mT8_S1G_bDpT10_ENKUlT_T0_E_clISt17integral_constantIbLb0EES1T_IbLb1EEEEDaS1P_S1Q_EUlS1P_E_NS1_11comp_targetILNS1_3genE8ELNS1_11target_archE1030ELNS1_3gpuE2ELNS1_3repE0EEENS1_30default_config_static_selectorELNS0_4arch9wavefront6targetE0EEEvS12_,"axG",@progbits,_ZN7rocprim17ROCPRIM_400000_NS6detail17trampoline_kernelINS0_13select_configILj256ELj13ELNS0_17block_load_methodE3ELS4_3ELS4_3ELNS0_20block_scan_algorithmE0ELj4294967295EEENS1_25partition_config_selectorILNS1_17partition_subalgoE4EjNS0_10empty_typeEbEEZZNS1_14partition_implILS8_4ELb0ES6_15HIP_vector_typeIjLj2EENS0_17counting_iteratorIjlEEPS9_SG_NS0_5tupleIJPjSI_NS0_16reverse_iteratorISI_EEEEENSH_IJSG_SG_SG_EEES9_SI_JZNS1_25segmented_radix_sort_implINS0_14default_configELb1EPKbPbPKlPlN2at6native12_GLOBAL__N_18offset_tEEE10hipError_tPvRmT1_PNSt15iterator_traitsIS12_E10value_typeET2_T3_PNS13_IS18_E10value_typeET4_jRbjT5_S1E_jjP12ihipStream_tbEUljE_ZNSN_ISO_Lb1ESQ_SR_ST_SU_SY_EESZ_S10_S11_S12_S16_S17_S18_S1B_S1C_jS1D_jS1E_S1E_jjS1G_bEUljE0_EEESZ_S10_S11_S18_S1C_S1E_T6_T7_T9_mT8_S1G_bDpT10_ENKUlT_T0_E_clISt17integral_constantIbLb0EES1T_IbLb1EEEEDaS1P_S1Q_EUlS1P_E_NS1_11comp_targetILNS1_3genE8ELNS1_11target_archE1030ELNS1_3gpuE2ELNS1_3repE0EEENS1_30default_config_static_selectorELNS0_4arch9wavefront6targetE0EEEvS12_,comdat
.Lfunc_end1491:
	.size	_ZN7rocprim17ROCPRIM_400000_NS6detail17trampoline_kernelINS0_13select_configILj256ELj13ELNS0_17block_load_methodE3ELS4_3ELS4_3ELNS0_20block_scan_algorithmE0ELj4294967295EEENS1_25partition_config_selectorILNS1_17partition_subalgoE4EjNS0_10empty_typeEbEEZZNS1_14partition_implILS8_4ELb0ES6_15HIP_vector_typeIjLj2EENS0_17counting_iteratorIjlEEPS9_SG_NS0_5tupleIJPjSI_NS0_16reverse_iteratorISI_EEEEENSH_IJSG_SG_SG_EEES9_SI_JZNS1_25segmented_radix_sort_implINS0_14default_configELb1EPKbPbPKlPlN2at6native12_GLOBAL__N_18offset_tEEE10hipError_tPvRmT1_PNSt15iterator_traitsIS12_E10value_typeET2_T3_PNS13_IS18_E10value_typeET4_jRbjT5_S1E_jjP12ihipStream_tbEUljE_ZNSN_ISO_Lb1ESQ_SR_ST_SU_SY_EESZ_S10_S11_S12_S16_S17_S18_S1B_S1C_jS1D_jS1E_S1E_jjS1G_bEUljE0_EEESZ_S10_S11_S18_S1C_S1E_T6_T7_T9_mT8_S1G_bDpT10_ENKUlT_T0_E_clISt17integral_constantIbLb0EES1T_IbLb1EEEEDaS1P_S1Q_EUlS1P_E_NS1_11comp_targetILNS1_3genE8ELNS1_11target_archE1030ELNS1_3gpuE2ELNS1_3repE0EEENS1_30default_config_static_selectorELNS0_4arch9wavefront6targetE0EEEvS12_, .Lfunc_end1491-_ZN7rocprim17ROCPRIM_400000_NS6detail17trampoline_kernelINS0_13select_configILj256ELj13ELNS0_17block_load_methodE3ELS4_3ELS4_3ELNS0_20block_scan_algorithmE0ELj4294967295EEENS1_25partition_config_selectorILNS1_17partition_subalgoE4EjNS0_10empty_typeEbEEZZNS1_14partition_implILS8_4ELb0ES6_15HIP_vector_typeIjLj2EENS0_17counting_iteratorIjlEEPS9_SG_NS0_5tupleIJPjSI_NS0_16reverse_iteratorISI_EEEEENSH_IJSG_SG_SG_EEES9_SI_JZNS1_25segmented_radix_sort_implINS0_14default_configELb1EPKbPbPKlPlN2at6native12_GLOBAL__N_18offset_tEEE10hipError_tPvRmT1_PNSt15iterator_traitsIS12_E10value_typeET2_T3_PNS13_IS18_E10value_typeET4_jRbjT5_S1E_jjP12ihipStream_tbEUljE_ZNSN_ISO_Lb1ESQ_SR_ST_SU_SY_EESZ_S10_S11_S12_S16_S17_S18_S1B_S1C_jS1D_jS1E_S1E_jjS1G_bEUljE0_EEESZ_S10_S11_S18_S1C_S1E_T6_T7_T9_mT8_S1G_bDpT10_ENKUlT_T0_E_clISt17integral_constantIbLb0EES1T_IbLb1EEEEDaS1P_S1Q_EUlS1P_E_NS1_11comp_targetILNS1_3genE8ELNS1_11target_archE1030ELNS1_3gpuE2ELNS1_3repE0EEENS1_30default_config_static_selectorELNS0_4arch9wavefront6targetE0EEEvS12_
                                        ; -- End function
	.set _ZN7rocprim17ROCPRIM_400000_NS6detail17trampoline_kernelINS0_13select_configILj256ELj13ELNS0_17block_load_methodE3ELS4_3ELS4_3ELNS0_20block_scan_algorithmE0ELj4294967295EEENS1_25partition_config_selectorILNS1_17partition_subalgoE4EjNS0_10empty_typeEbEEZZNS1_14partition_implILS8_4ELb0ES6_15HIP_vector_typeIjLj2EENS0_17counting_iteratorIjlEEPS9_SG_NS0_5tupleIJPjSI_NS0_16reverse_iteratorISI_EEEEENSH_IJSG_SG_SG_EEES9_SI_JZNS1_25segmented_radix_sort_implINS0_14default_configELb1EPKbPbPKlPlN2at6native12_GLOBAL__N_18offset_tEEE10hipError_tPvRmT1_PNSt15iterator_traitsIS12_E10value_typeET2_T3_PNS13_IS18_E10value_typeET4_jRbjT5_S1E_jjP12ihipStream_tbEUljE_ZNSN_ISO_Lb1ESQ_SR_ST_SU_SY_EESZ_S10_S11_S12_S16_S17_S18_S1B_S1C_jS1D_jS1E_S1E_jjS1G_bEUljE0_EEESZ_S10_S11_S18_S1C_S1E_T6_T7_T9_mT8_S1G_bDpT10_ENKUlT_T0_E_clISt17integral_constantIbLb0EES1T_IbLb1EEEEDaS1P_S1Q_EUlS1P_E_NS1_11comp_targetILNS1_3genE8ELNS1_11target_archE1030ELNS1_3gpuE2ELNS1_3repE0EEENS1_30default_config_static_selectorELNS0_4arch9wavefront6targetE0EEEvS12_.num_vgpr, 0
	.set _ZN7rocprim17ROCPRIM_400000_NS6detail17trampoline_kernelINS0_13select_configILj256ELj13ELNS0_17block_load_methodE3ELS4_3ELS4_3ELNS0_20block_scan_algorithmE0ELj4294967295EEENS1_25partition_config_selectorILNS1_17partition_subalgoE4EjNS0_10empty_typeEbEEZZNS1_14partition_implILS8_4ELb0ES6_15HIP_vector_typeIjLj2EENS0_17counting_iteratorIjlEEPS9_SG_NS0_5tupleIJPjSI_NS0_16reverse_iteratorISI_EEEEENSH_IJSG_SG_SG_EEES9_SI_JZNS1_25segmented_radix_sort_implINS0_14default_configELb1EPKbPbPKlPlN2at6native12_GLOBAL__N_18offset_tEEE10hipError_tPvRmT1_PNSt15iterator_traitsIS12_E10value_typeET2_T3_PNS13_IS18_E10value_typeET4_jRbjT5_S1E_jjP12ihipStream_tbEUljE_ZNSN_ISO_Lb1ESQ_SR_ST_SU_SY_EESZ_S10_S11_S12_S16_S17_S18_S1B_S1C_jS1D_jS1E_S1E_jjS1G_bEUljE0_EEESZ_S10_S11_S18_S1C_S1E_T6_T7_T9_mT8_S1G_bDpT10_ENKUlT_T0_E_clISt17integral_constantIbLb0EES1T_IbLb1EEEEDaS1P_S1Q_EUlS1P_E_NS1_11comp_targetILNS1_3genE8ELNS1_11target_archE1030ELNS1_3gpuE2ELNS1_3repE0EEENS1_30default_config_static_selectorELNS0_4arch9wavefront6targetE0EEEvS12_.num_agpr, 0
	.set _ZN7rocprim17ROCPRIM_400000_NS6detail17trampoline_kernelINS0_13select_configILj256ELj13ELNS0_17block_load_methodE3ELS4_3ELS4_3ELNS0_20block_scan_algorithmE0ELj4294967295EEENS1_25partition_config_selectorILNS1_17partition_subalgoE4EjNS0_10empty_typeEbEEZZNS1_14partition_implILS8_4ELb0ES6_15HIP_vector_typeIjLj2EENS0_17counting_iteratorIjlEEPS9_SG_NS0_5tupleIJPjSI_NS0_16reverse_iteratorISI_EEEEENSH_IJSG_SG_SG_EEES9_SI_JZNS1_25segmented_radix_sort_implINS0_14default_configELb1EPKbPbPKlPlN2at6native12_GLOBAL__N_18offset_tEEE10hipError_tPvRmT1_PNSt15iterator_traitsIS12_E10value_typeET2_T3_PNS13_IS18_E10value_typeET4_jRbjT5_S1E_jjP12ihipStream_tbEUljE_ZNSN_ISO_Lb1ESQ_SR_ST_SU_SY_EESZ_S10_S11_S12_S16_S17_S18_S1B_S1C_jS1D_jS1E_S1E_jjS1G_bEUljE0_EEESZ_S10_S11_S18_S1C_S1E_T6_T7_T9_mT8_S1G_bDpT10_ENKUlT_T0_E_clISt17integral_constantIbLb0EES1T_IbLb1EEEEDaS1P_S1Q_EUlS1P_E_NS1_11comp_targetILNS1_3genE8ELNS1_11target_archE1030ELNS1_3gpuE2ELNS1_3repE0EEENS1_30default_config_static_selectorELNS0_4arch9wavefront6targetE0EEEvS12_.numbered_sgpr, 0
	.set _ZN7rocprim17ROCPRIM_400000_NS6detail17trampoline_kernelINS0_13select_configILj256ELj13ELNS0_17block_load_methodE3ELS4_3ELS4_3ELNS0_20block_scan_algorithmE0ELj4294967295EEENS1_25partition_config_selectorILNS1_17partition_subalgoE4EjNS0_10empty_typeEbEEZZNS1_14partition_implILS8_4ELb0ES6_15HIP_vector_typeIjLj2EENS0_17counting_iteratorIjlEEPS9_SG_NS0_5tupleIJPjSI_NS0_16reverse_iteratorISI_EEEEENSH_IJSG_SG_SG_EEES9_SI_JZNS1_25segmented_radix_sort_implINS0_14default_configELb1EPKbPbPKlPlN2at6native12_GLOBAL__N_18offset_tEEE10hipError_tPvRmT1_PNSt15iterator_traitsIS12_E10value_typeET2_T3_PNS13_IS18_E10value_typeET4_jRbjT5_S1E_jjP12ihipStream_tbEUljE_ZNSN_ISO_Lb1ESQ_SR_ST_SU_SY_EESZ_S10_S11_S12_S16_S17_S18_S1B_S1C_jS1D_jS1E_S1E_jjS1G_bEUljE0_EEESZ_S10_S11_S18_S1C_S1E_T6_T7_T9_mT8_S1G_bDpT10_ENKUlT_T0_E_clISt17integral_constantIbLb0EES1T_IbLb1EEEEDaS1P_S1Q_EUlS1P_E_NS1_11comp_targetILNS1_3genE8ELNS1_11target_archE1030ELNS1_3gpuE2ELNS1_3repE0EEENS1_30default_config_static_selectorELNS0_4arch9wavefront6targetE0EEEvS12_.num_named_barrier, 0
	.set _ZN7rocprim17ROCPRIM_400000_NS6detail17trampoline_kernelINS0_13select_configILj256ELj13ELNS0_17block_load_methodE3ELS4_3ELS4_3ELNS0_20block_scan_algorithmE0ELj4294967295EEENS1_25partition_config_selectorILNS1_17partition_subalgoE4EjNS0_10empty_typeEbEEZZNS1_14partition_implILS8_4ELb0ES6_15HIP_vector_typeIjLj2EENS0_17counting_iteratorIjlEEPS9_SG_NS0_5tupleIJPjSI_NS0_16reverse_iteratorISI_EEEEENSH_IJSG_SG_SG_EEES9_SI_JZNS1_25segmented_radix_sort_implINS0_14default_configELb1EPKbPbPKlPlN2at6native12_GLOBAL__N_18offset_tEEE10hipError_tPvRmT1_PNSt15iterator_traitsIS12_E10value_typeET2_T3_PNS13_IS18_E10value_typeET4_jRbjT5_S1E_jjP12ihipStream_tbEUljE_ZNSN_ISO_Lb1ESQ_SR_ST_SU_SY_EESZ_S10_S11_S12_S16_S17_S18_S1B_S1C_jS1D_jS1E_S1E_jjS1G_bEUljE0_EEESZ_S10_S11_S18_S1C_S1E_T6_T7_T9_mT8_S1G_bDpT10_ENKUlT_T0_E_clISt17integral_constantIbLb0EES1T_IbLb1EEEEDaS1P_S1Q_EUlS1P_E_NS1_11comp_targetILNS1_3genE8ELNS1_11target_archE1030ELNS1_3gpuE2ELNS1_3repE0EEENS1_30default_config_static_selectorELNS0_4arch9wavefront6targetE0EEEvS12_.private_seg_size, 0
	.set _ZN7rocprim17ROCPRIM_400000_NS6detail17trampoline_kernelINS0_13select_configILj256ELj13ELNS0_17block_load_methodE3ELS4_3ELS4_3ELNS0_20block_scan_algorithmE0ELj4294967295EEENS1_25partition_config_selectorILNS1_17partition_subalgoE4EjNS0_10empty_typeEbEEZZNS1_14partition_implILS8_4ELb0ES6_15HIP_vector_typeIjLj2EENS0_17counting_iteratorIjlEEPS9_SG_NS0_5tupleIJPjSI_NS0_16reverse_iteratorISI_EEEEENSH_IJSG_SG_SG_EEES9_SI_JZNS1_25segmented_radix_sort_implINS0_14default_configELb1EPKbPbPKlPlN2at6native12_GLOBAL__N_18offset_tEEE10hipError_tPvRmT1_PNSt15iterator_traitsIS12_E10value_typeET2_T3_PNS13_IS18_E10value_typeET4_jRbjT5_S1E_jjP12ihipStream_tbEUljE_ZNSN_ISO_Lb1ESQ_SR_ST_SU_SY_EESZ_S10_S11_S12_S16_S17_S18_S1B_S1C_jS1D_jS1E_S1E_jjS1G_bEUljE0_EEESZ_S10_S11_S18_S1C_S1E_T6_T7_T9_mT8_S1G_bDpT10_ENKUlT_T0_E_clISt17integral_constantIbLb0EES1T_IbLb1EEEEDaS1P_S1Q_EUlS1P_E_NS1_11comp_targetILNS1_3genE8ELNS1_11target_archE1030ELNS1_3gpuE2ELNS1_3repE0EEENS1_30default_config_static_selectorELNS0_4arch9wavefront6targetE0EEEvS12_.uses_vcc, 0
	.set _ZN7rocprim17ROCPRIM_400000_NS6detail17trampoline_kernelINS0_13select_configILj256ELj13ELNS0_17block_load_methodE3ELS4_3ELS4_3ELNS0_20block_scan_algorithmE0ELj4294967295EEENS1_25partition_config_selectorILNS1_17partition_subalgoE4EjNS0_10empty_typeEbEEZZNS1_14partition_implILS8_4ELb0ES6_15HIP_vector_typeIjLj2EENS0_17counting_iteratorIjlEEPS9_SG_NS0_5tupleIJPjSI_NS0_16reverse_iteratorISI_EEEEENSH_IJSG_SG_SG_EEES9_SI_JZNS1_25segmented_radix_sort_implINS0_14default_configELb1EPKbPbPKlPlN2at6native12_GLOBAL__N_18offset_tEEE10hipError_tPvRmT1_PNSt15iterator_traitsIS12_E10value_typeET2_T3_PNS13_IS18_E10value_typeET4_jRbjT5_S1E_jjP12ihipStream_tbEUljE_ZNSN_ISO_Lb1ESQ_SR_ST_SU_SY_EESZ_S10_S11_S12_S16_S17_S18_S1B_S1C_jS1D_jS1E_S1E_jjS1G_bEUljE0_EEESZ_S10_S11_S18_S1C_S1E_T6_T7_T9_mT8_S1G_bDpT10_ENKUlT_T0_E_clISt17integral_constantIbLb0EES1T_IbLb1EEEEDaS1P_S1Q_EUlS1P_E_NS1_11comp_targetILNS1_3genE8ELNS1_11target_archE1030ELNS1_3gpuE2ELNS1_3repE0EEENS1_30default_config_static_selectorELNS0_4arch9wavefront6targetE0EEEvS12_.uses_flat_scratch, 0
	.set _ZN7rocprim17ROCPRIM_400000_NS6detail17trampoline_kernelINS0_13select_configILj256ELj13ELNS0_17block_load_methodE3ELS4_3ELS4_3ELNS0_20block_scan_algorithmE0ELj4294967295EEENS1_25partition_config_selectorILNS1_17partition_subalgoE4EjNS0_10empty_typeEbEEZZNS1_14partition_implILS8_4ELb0ES6_15HIP_vector_typeIjLj2EENS0_17counting_iteratorIjlEEPS9_SG_NS0_5tupleIJPjSI_NS0_16reverse_iteratorISI_EEEEENSH_IJSG_SG_SG_EEES9_SI_JZNS1_25segmented_radix_sort_implINS0_14default_configELb1EPKbPbPKlPlN2at6native12_GLOBAL__N_18offset_tEEE10hipError_tPvRmT1_PNSt15iterator_traitsIS12_E10value_typeET2_T3_PNS13_IS18_E10value_typeET4_jRbjT5_S1E_jjP12ihipStream_tbEUljE_ZNSN_ISO_Lb1ESQ_SR_ST_SU_SY_EESZ_S10_S11_S12_S16_S17_S18_S1B_S1C_jS1D_jS1E_S1E_jjS1G_bEUljE0_EEESZ_S10_S11_S18_S1C_S1E_T6_T7_T9_mT8_S1G_bDpT10_ENKUlT_T0_E_clISt17integral_constantIbLb0EES1T_IbLb1EEEEDaS1P_S1Q_EUlS1P_E_NS1_11comp_targetILNS1_3genE8ELNS1_11target_archE1030ELNS1_3gpuE2ELNS1_3repE0EEENS1_30default_config_static_selectorELNS0_4arch9wavefront6targetE0EEEvS12_.has_dyn_sized_stack, 0
	.set _ZN7rocprim17ROCPRIM_400000_NS6detail17trampoline_kernelINS0_13select_configILj256ELj13ELNS0_17block_load_methodE3ELS4_3ELS4_3ELNS0_20block_scan_algorithmE0ELj4294967295EEENS1_25partition_config_selectorILNS1_17partition_subalgoE4EjNS0_10empty_typeEbEEZZNS1_14partition_implILS8_4ELb0ES6_15HIP_vector_typeIjLj2EENS0_17counting_iteratorIjlEEPS9_SG_NS0_5tupleIJPjSI_NS0_16reverse_iteratorISI_EEEEENSH_IJSG_SG_SG_EEES9_SI_JZNS1_25segmented_radix_sort_implINS0_14default_configELb1EPKbPbPKlPlN2at6native12_GLOBAL__N_18offset_tEEE10hipError_tPvRmT1_PNSt15iterator_traitsIS12_E10value_typeET2_T3_PNS13_IS18_E10value_typeET4_jRbjT5_S1E_jjP12ihipStream_tbEUljE_ZNSN_ISO_Lb1ESQ_SR_ST_SU_SY_EESZ_S10_S11_S12_S16_S17_S18_S1B_S1C_jS1D_jS1E_S1E_jjS1G_bEUljE0_EEESZ_S10_S11_S18_S1C_S1E_T6_T7_T9_mT8_S1G_bDpT10_ENKUlT_T0_E_clISt17integral_constantIbLb0EES1T_IbLb1EEEEDaS1P_S1Q_EUlS1P_E_NS1_11comp_targetILNS1_3genE8ELNS1_11target_archE1030ELNS1_3gpuE2ELNS1_3repE0EEENS1_30default_config_static_selectorELNS0_4arch9wavefront6targetE0EEEvS12_.has_recursion, 0
	.set _ZN7rocprim17ROCPRIM_400000_NS6detail17trampoline_kernelINS0_13select_configILj256ELj13ELNS0_17block_load_methodE3ELS4_3ELS4_3ELNS0_20block_scan_algorithmE0ELj4294967295EEENS1_25partition_config_selectorILNS1_17partition_subalgoE4EjNS0_10empty_typeEbEEZZNS1_14partition_implILS8_4ELb0ES6_15HIP_vector_typeIjLj2EENS0_17counting_iteratorIjlEEPS9_SG_NS0_5tupleIJPjSI_NS0_16reverse_iteratorISI_EEEEENSH_IJSG_SG_SG_EEES9_SI_JZNS1_25segmented_radix_sort_implINS0_14default_configELb1EPKbPbPKlPlN2at6native12_GLOBAL__N_18offset_tEEE10hipError_tPvRmT1_PNSt15iterator_traitsIS12_E10value_typeET2_T3_PNS13_IS18_E10value_typeET4_jRbjT5_S1E_jjP12ihipStream_tbEUljE_ZNSN_ISO_Lb1ESQ_SR_ST_SU_SY_EESZ_S10_S11_S12_S16_S17_S18_S1B_S1C_jS1D_jS1E_S1E_jjS1G_bEUljE0_EEESZ_S10_S11_S18_S1C_S1E_T6_T7_T9_mT8_S1G_bDpT10_ENKUlT_T0_E_clISt17integral_constantIbLb0EES1T_IbLb1EEEEDaS1P_S1Q_EUlS1P_E_NS1_11comp_targetILNS1_3genE8ELNS1_11target_archE1030ELNS1_3gpuE2ELNS1_3repE0EEENS1_30default_config_static_selectorELNS0_4arch9wavefront6targetE0EEEvS12_.has_indirect_call, 0
	.section	.AMDGPU.csdata,"",@progbits
; Kernel info:
; codeLenInByte = 0
; TotalNumSgprs: 0
; NumVgprs: 0
; ScratchSize: 0
; MemoryBound: 0
; FloatMode: 240
; IeeeMode: 1
; LDSByteSize: 0 bytes/workgroup (compile time only)
; SGPRBlocks: 0
; VGPRBlocks: 0
; NumSGPRsForWavesPerEU: 1
; NumVGPRsForWavesPerEU: 1
; NamedBarCnt: 0
; Occupancy: 16
; WaveLimiterHint : 0
; COMPUTE_PGM_RSRC2:SCRATCH_EN: 0
; COMPUTE_PGM_RSRC2:USER_SGPR: 2
; COMPUTE_PGM_RSRC2:TRAP_HANDLER: 0
; COMPUTE_PGM_RSRC2:TGID_X_EN: 1
; COMPUTE_PGM_RSRC2:TGID_Y_EN: 0
; COMPUTE_PGM_RSRC2:TGID_Z_EN: 0
; COMPUTE_PGM_RSRC2:TIDIG_COMP_CNT: 0
	.section	.text._ZN7rocprim17ROCPRIM_400000_NS6detail17trampoline_kernelINS0_13select_configILj256ELj13ELNS0_17block_load_methodE3ELS4_3ELS4_3ELNS0_20block_scan_algorithmE0ELj4294967295EEENS1_25partition_config_selectorILNS1_17partition_subalgoE3EjNS0_10empty_typeEbEEZZNS1_14partition_implILS8_3ELb0ES6_jNS0_17counting_iteratorIjlEEPS9_SE_NS0_5tupleIJPjSE_EEENSF_IJSE_SE_EEES9_SG_JZNS1_25segmented_radix_sort_implINS0_14default_configELb1EPKbPbPKlPlN2at6native12_GLOBAL__N_18offset_tEEE10hipError_tPvRmT1_PNSt15iterator_traitsISY_E10value_typeET2_T3_PNSZ_IS14_E10value_typeET4_jRbjT5_S1A_jjP12ihipStream_tbEUljE_EEESV_SW_SX_S14_S18_S1A_T6_T7_T9_mT8_S1C_bDpT10_ENKUlT_T0_E_clISt17integral_constantIbLb0EES1P_EEDaS1K_S1L_EUlS1K_E_NS1_11comp_targetILNS1_3genE0ELNS1_11target_archE4294967295ELNS1_3gpuE0ELNS1_3repE0EEENS1_30default_config_static_selectorELNS0_4arch9wavefront6targetE0EEEvSY_,"axG",@progbits,_ZN7rocprim17ROCPRIM_400000_NS6detail17trampoline_kernelINS0_13select_configILj256ELj13ELNS0_17block_load_methodE3ELS4_3ELS4_3ELNS0_20block_scan_algorithmE0ELj4294967295EEENS1_25partition_config_selectorILNS1_17partition_subalgoE3EjNS0_10empty_typeEbEEZZNS1_14partition_implILS8_3ELb0ES6_jNS0_17counting_iteratorIjlEEPS9_SE_NS0_5tupleIJPjSE_EEENSF_IJSE_SE_EEES9_SG_JZNS1_25segmented_radix_sort_implINS0_14default_configELb1EPKbPbPKlPlN2at6native12_GLOBAL__N_18offset_tEEE10hipError_tPvRmT1_PNSt15iterator_traitsISY_E10value_typeET2_T3_PNSZ_IS14_E10value_typeET4_jRbjT5_S1A_jjP12ihipStream_tbEUljE_EEESV_SW_SX_S14_S18_S1A_T6_T7_T9_mT8_S1C_bDpT10_ENKUlT_T0_E_clISt17integral_constantIbLb0EES1P_EEDaS1K_S1L_EUlS1K_E_NS1_11comp_targetILNS1_3genE0ELNS1_11target_archE4294967295ELNS1_3gpuE0ELNS1_3repE0EEENS1_30default_config_static_selectorELNS0_4arch9wavefront6targetE0EEEvSY_,comdat
	.globl	_ZN7rocprim17ROCPRIM_400000_NS6detail17trampoline_kernelINS0_13select_configILj256ELj13ELNS0_17block_load_methodE3ELS4_3ELS4_3ELNS0_20block_scan_algorithmE0ELj4294967295EEENS1_25partition_config_selectorILNS1_17partition_subalgoE3EjNS0_10empty_typeEbEEZZNS1_14partition_implILS8_3ELb0ES6_jNS0_17counting_iteratorIjlEEPS9_SE_NS0_5tupleIJPjSE_EEENSF_IJSE_SE_EEES9_SG_JZNS1_25segmented_radix_sort_implINS0_14default_configELb1EPKbPbPKlPlN2at6native12_GLOBAL__N_18offset_tEEE10hipError_tPvRmT1_PNSt15iterator_traitsISY_E10value_typeET2_T3_PNSZ_IS14_E10value_typeET4_jRbjT5_S1A_jjP12ihipStream_tbEUljE_EEESV_SW_SX_S14_S18_S1A_T6_T7_T9_mT8_S1C_bDpT10_ENKUlT_T0_E_clISt17integral_constantIbLb0EES1P_EEDaS1K_S1L_EUlS1K_E_NS1_11comp_targetILNS1_3genE0ELNS1_11target_archE4294967295ELNS1_3gpuE0ELNS1_3repE0EEENS1_30default_config_static_selectorELNS0_4arch9wavefront6targetE0EEEvSY_ ; -- Begin function _ZN7rocprim17ROCPRIM_400000_NS6detail17trampoline_kernelINS0_13select_configILj256ELj13ELNS0_17block_load_methodE3ELS4_3ELS4_3ELNS0_20block_scan_algorithmE0ELj4294967295EEENS1_25partition_config_selectorILNS1_17partition_subalgoE3EjNS0_10empty_typeEbEEZZNS1_14partition_implILS8_3ELb0ES6_jNS0_17counting_iteratorIjlEEPS9_SE_NS0_5tupleIJPjSE_EEENSF_IJSE_SE_EEES9_SG_JZNS1_25segmented_radix_sort_implINS0_14default_configELb1EPKbPbPKlPlN2at6native12_GLOBAL__N_18offset_tEEE10hipError_tPvRmT1_PNSt15iterator_traitsISY_E10value_typeET2_T3_PNSZ_IS14_E10value_typeET4_jRbjT5_S1A_jjP12ihipStream_tbEUljE_EEESV_SW_SX_S14_S18_S1A_T6_T7_T9_mT8_S1C_bDpT10_ENKUlT_T0_E_clISt17integral_constantIbLb0EES1P_EEDaS1K_S1L_EUlS1K_E_NS1_11comp_targetILNS1_3genE0ELNS1_11target_archE4294967295ELNS1_3gpuE0ELNS1_3repE0EEENS1_30default_config_static_selectorELNS0_4arch9wavefront6targetE0EEEvSY_
	.p2align	8
	.type	_ZN7rocprim17ROCPRIM_400000_NS6detail17trampoline_kernelINS0_13select_configILj256ELj13ELNS0_17block_load_methodE3ELS4_3ELS4_3ELNS0_20block_scan_algorithmE0ELj4294967295EEENS1_25partition_config_selectorILNS1_17partition_subalgoE3EjNS0_10empty_typeEbEEZZNS1_14partition_implILS8_3ELb0ES6_jNS0_17counting_iteratorIjlEEPS9_SE_NS0_5tupleIJPjSE_EEENSF_IJSE_SE_EEES9_SG_JZNS1_25segmented_radix_sort_implINS0_14default_configELb1EPKbPbPKlPlN2at6native12_GLOBAL__N_18offset_tEEE10hipError_tPvRmT1_PNSt15iterator_traitsISY_E10value_typeET2_T3_PNSZ_IS14_E10value_typeET4_jRbjT5_S1A_jjP12ihipStream_tbEUljE_EEESV_SW_SX_S14_S18_S1A_T6_T7_T9_mT8_S1C_bDpT10_ENKUlT_T0_E_clISt17integral_constantIbLb0EES1P_EEDaS1K_S1L_EUlS1K_E_NS1_11comp_targetILNS1_3genE0ELNS1_11target_archE4294967295ELNS1_3gpuE0ELNS1_3repE0EEENS1_30default_config_static_selectorELNS0_4arch9wavefront6targetE0EEEvSY_,@function
_ZN7rocprim17ROCPRIM_400000_NS6detail17trampoline_kernelINS0_13select_configILj256ELj13ELNS0_17block_load_methodE3ELS4_3ELS4_3ELNS0_20block_scan_algorithmE0ELj4294967295EEENS1_25partition_config_selectorILNS1_17partition_subalgoE3EjNS0_10empty_typeEbEEZZNS1_14partition_implILS8_3ELb0ES6_jNS0_17counting_iteratorIjlEEPS9_SE_NS0_5tupleIJPjSE_EEENSF_IJSE_SE_EEES9_SG_JZNS1_25segmented_radix_sort_implINS0_14default_configELb1EPKbPbPKlPlN2at6native12_GLOBAL__N_18offset_tEEE10hipError_tPvRmT1_PNSt15iterator_traitsISY_E10value_typeET2_T3_PNSZ_IS14_E10value_typeET4_jRbjT5_S1A_jjP12ihipStream_tbEUljE_EEESV_SW_SX_S14_S18_S1A_T6_T7_T9_mT8_S1C_bDpT10_ENKUlT_T0_E_clISt17integral_constantIbLb0EES1P_EEDaS1K_S1L_EUlS1K_E_NS1_11comp_targetILNS1_3genE0ELNS1_11target_archE4294967295ELNS1_3gpuE0ELNS1_3repE0EEENS1_30default_config_static_selectorELNS0_4arch9wavefront6targetE0EEEvSY_: ; @_ZN7rocprim17ROCPRIM_400000_NS6detail17trampoline_kernelINS0_13select_configILj256ELj13ELNS0_17block_load_methodE3ELS4_3ELS4_3ELNS0_20block_scan_algorithmE0ELj4294967295EEENS1_25partition_config_selectorILNS1_17partition_subalgoE3EjNS0_10empty_typeEbEEZZNS1_14partition_implILS8_3ELb0ES6_jNS0_17counting_iteratorIjlEEPS9_SE_NS0_5tupleIJPjSE_EEENSF_IJSE_SE_EEES9_SG_JZNS1_25segmented_radix_sort_implINS0_14default_configELb1EPKbPbPKlPlN2at6native12_GLOBAL__N_18offset_tEEE10hipError_tPvRmT1_PNSt15iterator_traitsISY_E10value_typeET2_T3_PNSZ_IS14_E10value_typeET4_jRbjT5_S1A_jjP12ihipStream_tbEUljE_EEESV_SW_SX_S14_S18_S1A_T6_T7_T9_mT8_S1C_bDpT10_ENKUlT_T0_E_clISt17integral_constantIbLb0EES1P_EEDaS1K_S1L_EUlS1K_E_NS1_11comp_targetILNS1_3genE0ELNS1_11target_archE4294967295ELNS1_3gpuE0ELNS1_3repE0EEENS1_30default_config_static_selectorELNS0_4arch9wavefront6targetE0EEEvSY_
; %bb.0:
	s_clause 0x4
	s_load_b128 s[8:11], s[0:1], 0x48
	s_load_b32 s2, s[0:1], 0x70
	s_load_b64 s[12:13], s[0:1], 0x10
	s_load_b64 s[14:15], s[0:1], 0x58
	s_load_b32 s20, s[0:1], 0x8
	s_bfe_u32 s3, ttmp6, 0x4000c
	s_and_b32 s4, ttmp6, 15
	s_add_co_i32 s3, s3, 1
	s_getreg_b32 s5, hwreg(HW_REG_IB_STS2, 6, 4)
	s_mul_i32 s3, ttmp9, s3
	s_mov_b32 s17, 0
	s_add_co_i32 s16, s4, s3
	s_cmp_eq_u32 s5, 0
	s_clause 0x1
	s_load_b32 s3, s[0:1], 0x88
	s_load_b128 s[4:7], s[0:1], 0x78
	s_cselect_b32 s24, ttmp9, s16
	v_lshlrev_b32_e32 v19, 2, v0
	s_wait_kmcnt 0x0
	s_load_b64 s[18:19], s[10:11], 0x0
	s_mul_i32 s16, s2, 0xd00
	s_add_co_i32 s2, s2, -1
	s_add_co_i32 s21, s16, s12
	s_wait_xcnt 0x0
	s_add_nc_u64 s[10:11], s[12:13], s[16:17]
	s_sub_co_i32 s23, s14, s21
	v_cmp_gt_u64_e64 s11, s[14:15], s[10:11]
	s_addk_co_i32 s23, 0xd00
	s_cmp_eq_u32 s24, s2
	s_mul_i32 s10, s24, 0xd00
	s_cselect_b32 s22, -1, 0
	s_cmp_lg_u32 s24, s2
	s_mov_b32 s17, -1
	s_cselect_b32 s2, -1, 0
	s_add_co_i32 s16, s20, s10
	s_or_b32 s11, s2, s11
	s_add_co_i32 s16, s16, s12
	s_and_b32 vcc_lo, exec_lo, s11
	v_add_nc_u32_e32 v1, s16, v0
	s_cbranch_vccz .LBB1492_2
; %bb.1:
	s_delay_alu instid0(VALU_DEP_1)
	v_add_nc_u32_e32 v2, 0x100, v1
	v_add_nc_u32_e32 v3, 0x200, v1
	;; [unrolled: 1-line block ×12, first 2 shown]
	ds_store_2addr_stride64_b32 v19, v1, v2 offset1:4
	ds_store_2addr_stride64_b32 v19, v3, v4 offset0:8 offset1:12
	ds_store_2addr_stride64_b32 v19, v5, v6 offset0:16 offset1:20
	;; [unrolled: 1-line block ×5, first 2 shown]
	ds_store_b32 v19, v13 offset:12288
	s_wait_dscnt 0x0
	s_barrier_signal -1
	s_mov_b32 s17, 0
	s_barrier_wait -1
.LBB1492_2:
	v_cmp_gt_u32_e64 s2, s23, v0
	v_or_b32_e32 v40, 0x100, v0
	v_or_b32_e32 v38, 0x200, v0
	;; [unrolled: 1-line block ×12, first 2 shown]
	s_and_not1_b32 vcc_lo, exec_lo, s17
	s_cbranch_vccnz .LBB1492_4
; %bb.3:
	v_dual_add_nc_u32 v2, s16, v40 :: v_dual_cndmask_b32 v1, 0, v1, s2
	v_cmp_gt_u32_e32 vcc_lo, s23, v40
	v_dual_add_nc_u32 v3, s16, v38 :: v_dual_add_nc_u32 v4, s16, v36
	v_dual_add_nc_u32 v7, s16, v30 :: v_dual_add_nc_u32 v8, s16, v28
	s_delay_alu instid0(VALU_DEP_4)
	v_cndmask_b32_e32 v2, 0, v2, vcc_lo
	v_cmp_gt_u32_e32 vcc_lo, s23, v38
	v_dual_add_nc_u32 v11, s16, v22 :: v_dual_add_nc_u32 v12, s16, v20
	v_cndmask_b32_e32 v3, 0, v3, vcc_lo
	v_cmp_gt_u32_e32 vcc_lo, s23, v36
	v_dual_cndmask_b32 v4, 0, v4 :: v_dual_add_nc_u32 v5, s16, v34
	v_cmp_gt_u32_e32 vcc_lo, s23, v34
	s_delay_alu instid0(VALU_DEP_2) | instskip(SKIP_1) | instid1(VALU_DEP_2)
	v_dual_cndmask_b32 v5, 0, v5 :: v_dual_add_nc_u32 v6, s16, v32
	v_cmp_gt_u32_e32 vcc_lo, s23, v32
	v_cndmask_b32_e32 v6, 0, v6, vcc_lo
	v_cmp_gt_u32_e32 vcc_lo, s23, v30
	v_cndmask_b32_e32 v7, 0, v7, vcc_lo
	v_cmp_gt_u32_e32 vcc_lo, s23, v28
	v_dual_cndmask_b32 v8, 0, v8 :: v_dual_add_nc_u32 v9, s16, v26
	v_cmp_gt_u32_e32 vcc_lo, s23, v26
	s_delay_alu instid0(VALU_DEP_2) | instskip(SKIP_1) | instid1(VALU_DEP_2)
	v_dual_cndmask_b32 v9, 0, v9 :: v_dual_add_nc_u32 v10, s16, v24
	v_cmp_gt_u32_e32 vcc_lo, s23, v24
	v_cndmask_b32_e32 v10, 0, v10, vcc_lo
	v_cmp_gt_u32_e32 vcc_lo, s23, v22
	v_cndmask_b32_e32 v11, 0, v11, vcc_lo
	v_cmp_gt_u32_e32 vcc_lo, s23, v20
	v_dual_cndmask_b32 v12, 0, v12 :: v_dual_add_nc_u32 v13, s16, v18
	v_cmp_gt_u32_e32 vcc_lo, s23, v18
	s_delay_alu instid0(VALU_DEP_2)
	v_cndmask_b32_e32 v13, 0, v13, vcc_lo
	ds_store_2addr_stride64_b32 v19, v1, v2 offset1:4
	ds_store_2addr_stride64_b32 v19, v3, v4 offset0:8 offset1:12
	ds_store_2addr_stride64_b32 v19, v5, v6 offset0:16 offset1:20
	ds_store_2addr_stride64_b32 v19, v7, v8 offset0:24 offset1:28
	ds_store_2addr_stride64_b32 v19, v9, v10 offset0:32 offset1:36
	ds_store_2addr_stride64_b32 v19, v11, v12 offset0:40 offset1:44
	ds_store_b32 v19, v13 offset:12288
	s_wait_dscnt 0x0
	s_barrier_signal -1
	s_barrier_wait -1
.LBB1492_4:
	v_mul_u32_u24_e32 v23, 13, v0
	v_cndmask_b32_e64 v21, 0, 1, s11
	s_and_not1_b32 vcc_lo, exec_lo, s11
	s_delay_alu instid0(VALU_DEP_2)
	v_lshlrev_b32_e32 v2, 2, v23
	ds_load_2addr_b32 v[50:51], v2 offset0:2 offset1:3
	ds_load_2addr_b32 v[46:47], v2 offset0:6 offset1:7
	ds_load_2addr_b32 v[48:49], v2 offset0:4 offset1:5
	ds_load_2addr_b32 v[52:53], v2 offset1:1
	ds_load_2addr_b32 v[42:43], v2 offset0:10 offset1:11
	ds_load_b32 v1, v2 offset:48
	ds_load_2addr_b32 v[44:45], v2 offset0:8 offset1:9
	s_wait_dscnt 0x0
	s_barrier_signal -1
	s_barrier_wait -1
	s_cbranch_vccnz .LBB1492_6
; %bb.5:
	v_dual_add_nc_u32 v2, s5, v51 :: v_dual_add_nc_u32 v3, s5, v53
	v_dual_add_nc_u32 v4, s5, v52 :: v_dual_add_nc_u32 v5, s5, v50
	;; [unrolled: 1-line block ×4, first 2 shown]
	s_delay_alu instid0(VALU_DEP_3) | instskip(NEXT) | instid1(VALU_DEP_4)
	v_mul_lo_u32 v5, v5, s4
	v_mul_lo_u32 v4, v4, s4
	;; [unrolled: 1-line block ×8, first 2 shown]
	v_dual_add_nc_u32 v10, s5, v48 :: v_dual_add_nc_u32 v11, s7, v48
	v_dual_add_nc_u32 v14, s7, v43 :: v_dual_add_nc_u32 v15, s5, v42
	v_dual_add_nc_u32 v16, s7, v45 :: v_dual_add_nc_u32 v17, s7, v44
	s_delay_alu instid0(VALU_DEP_3)
	v_mul_lo_u32 v10, v10, s4
	v_dual_sub_nc_u32 v2, v2, v6 :: v_dual_sub_nc_u32 v3, v3, v7
	v_dual_sub_nc_u32 v4, v4, v8 :: v_dual_sub_nc_u32 v5, v5, v9
	v_dual_add_nc_u32 v6, s5, v49 :: v_dual_add_nc_u32 v7, s7, v49
	v_dual_add_nc_u32 v8, s5, v47 :: v_dual_add_nc_u32 v9, s7, v47
	v_mul_lo_u32 v11, v11, s6
	s_delay_alu instid0(VALU_DEP_3) | instskip(NEXT) | instid1(VALU_DEP_4)
	v_mul_lo_u32 v6, v6, s4
	v_mul_lo_u32 v7, v7, s6
	s_delay_alu instid0(VALU_DEP_4)
	v_mul_lo_u32 v8, v8, s4
	v_mul_lo_u32 v9, v9, s6
	v_cmp_lt_u32_e32 vcc_lo, s3, v2
	v_dual_add_nc_u32 v12, s5, v46 :: v_dual_add_nc_u32 v13, s5, v44
	v_mul_lo_u32 v14, v14, s6
	v_mul_lo_u32 v16, v16, s6
	v_cndmask_b32_e64 v2, 0, 1, vcc_lo
	v_cmp_lt_u32_e32 vcc_lo, s3, v3
	v_mul_lo_u32 v13, v13, s4
	v_dual_sub_nc_u32 v6, v6, v7 :: v_dual_add_nc_u32 v7, s7, v46
	v_dual_sub_nc_u32 v8, v8, v9 :: v_dual_sub_nc_u32 v9, v10, v11
	v_dual_add_nc_u32 v11, s5, v45 :: v_dual_add_nc_u32 v10, s5, v43
	v_cndmask_b32_e64 v3, 0, 1, vcc_lo
	s_delay_alu instid0(VALU_DEP_4)
	v_cmp_lt_u32_e32 vcc_lo, s3, v6
	v_mul_lo_u32 v12, v12, s4
	v_mul_lo_u32 v7, v7, s6
	;; [unrolled: 1-line block ×4, first 2 shown]
	v_cndmask_b32_e64 v6, 0, 1, vcc_lo
	v_cmp_lt_u32_e32 vcc_lo, s3, v8
	v_lshlrev_b16 v3, 8, v3
	v_add_nc_u32_e32 v25, s7, v42
	v_mul_lo_u32 v17, v17, s6
	v_lshlrev_b16 v6, 8, v6
	v_cndmask_b32_e64 v8, 0, 1, vcc_lo
	v_cmp_lt_u32_e32 vcc_lo, s3, v4
	v_dual_sub_nc_u32 v7, v12, v7 :: v_dual_sub_nc_u32 v10, v10, v14
	v_mul_lo_u32 v12, v15, s4
	v_mul_lo_u32 v15, v25, s6
	v_dual_add_nc_u32 v25, s7, v1 :: v_dual_lshrrev_b32 v3, 8, v3
	v_sub_nc_u32_e32 v11, v11, v16
	v_cndmask_b32_e64 v4, 0, 1, vcc_lo
	v_cmp_lt_u32_e32 vcc_lo, s3, v10
	v_dual_lshrrev_b32 v6, 8, v6 :: v_dual_add_nc_u32 v14, s5, v1
	v_mul_lo_u32 v16, v25, s6
	v_lshlrev_b16 v2, 8, v2
	v_cndmask_b32_e64 v10, 0, 1, vcc_lo
	v_cmp_lt_u32_e32 vcc_lo, s3, v11
	v_mul_lo_u32 v14, v14, s4
	v_dual_sub_nc_u32 v13, v13, v17 :: v_dual_sub_nc_u32 v12, v12, v15
	v_lshlrev_b16 v3, 8, v3
	v_cndmask_b32_e64 v11, 0, 1, vcc_lo
	v_cmp_lt_u32_e32 vcc_lo, s3, v5
	v_lshrrev_b32_e32 v2, 8, v2
	v_lshlrev_b16 v8, 8, v8
	v_or_b32_e32 v3, v4, v3
	v_lshlrev_b16 v4, 8, v10
	v_cndmask_b32_e64 v5, 0, 1, vcc_lo
	v_cmp_lt_u32_e32 vcc_lo, s3, v9
	v_lshlrev_b16 v10, 8, v11
	v_sub_nc_u32_e32 v11, v14, v16
	v_lshlrev_b16 v2, 8, v2
	v_lshrrev_b32_e32 v4, 8, v4
	v_cndmask_b32_e64 v9, 0, 1, vcc_lo
	v_cmp_lt_u32_e32 vcc_lo, s3, v7
	v_lshrrev_b32_e32 v10, 8, v10
	v_lshlrev_b16 v6, 8, v6
	v_or_b32_e32 v2, v5, v2
	v_lshlrev_b16 v4, 8, v4
	v_cndmask_b32_e64 v7, 0, 1, vcc_lo
	v_cmp_lt_u32_e32 vcc_lo, s3, v13
	v_lshlrev_b16 v10, 8, v10
	v_or_b32_e32 v5, v9, v6
	v_and_b32_e32 v3, 0xffff, v3
	v_dual_lshlrev_b32 v2, 16, v2 :: v_dual_bitop2_b32 v6, v7, v8 bitop3:0x54
	v_cndmask_b32_e64 v13, 0, 1, vcc_lo
	v_cmp_lt_u32_e32 vcc_lo, s3, v12
	s_delay_alu instid0(VALU_DEP_3) | instskip(SKIP_4) | instid1(VALU_DEP_4)
	v_lshlrev_b32_e32 v6, 16, v6
	v_and_b32_e32 v5, 0xffff, v5
	v_or_b32_e32 v35, v3, v2
	v_cndmask_b32_e64 v12, 0, 1, vcc_lo
	v_cmp_lt_u32_e32 vcc_lo, s3, v11
	v_or_b32_e32 v31, v5, v6
	s_delay_alu instid0(VALU_DEP_3) | instskip(SKIP_2) | instid1(VALU_DEP_3)
	v_or_b32_e32 v4, v12, v4
	v_or_b32_e32 v7, v13, v10
	v_cndmask_b32_e64 v25, 0, 1, vcc_lo
	v_lshlrev_b32_e32 v4, 16, v4
	s_delay_alu instid0(VALU_DEP_3) | instskip(NEXT) | instid1(VALU_DEP_1)
	v_and_b32_e32 v7, 0xffff, v7
	v_or_b32_e32 v27, v7, v4
	s_load_b64 s[20:21], s[0:1], 0x68
	s_cbranch_execz .LBB1492_7
	s_branch .LBB1492_34
.LBB1492_6:
                                        ; implicit-def: $vgpr25
                                        ; implicit-def: $vgpr27
                                        ; implicit-def: $vgpr31
                                        ; implicit-def: $vgpr35
	s_load_b64 s[20:21], s[0:1], 0x68
.LBB1492_7:
	v_dual_mov_b32 v3, 0 :: v_dual_mov_b32 v2, 0
	s_mov_b32 s2, exec_lo
	v_cmpx_gt_u32_e64 s23, v23
	s_cbranch_execz .LBB1492_9
; %bb.8:
	v_dual_add_nc_u32 v2, s5, v52 :: v_dual_add_nc_u32 v4, s7, v52
	s_delay_alu instid0(VALU_DEP_1) | instskip(NEXT) | instid1(VALU_DEP_2)
	v_mul_lo_u32 v2, v2, s4
	v_mul_lo_u32 v4, v4, s6
	s_delay_alu instid0(VALU_DEP_1) | instskip(NEXT) | instid1(VALU_DEP_1)
	v_sub_nc_u32_e32 v2, v2, v4
	v_cmp_lt_u32_e32 vcc_lo, s3, v2
	v_cndmask_b32_e64 v2, 0, 1, vcc_lo
.LBB1492_9:
	s_or_b32 exec_lo, exec_lo, s2
	v_add_nc_u32_e32 v4, 1, v23
	s_mov_b32 s2, exec_lo
	s_delay_alu instid0(VALU_DEP_1)
	v_cmpx_gt_u32_e64 s23, v4
	s_cbranch_execz .LBB1492_11
; %bb.10:
	v_dual_add_nc_u32 v3, s5, v53 :: v_dual_add_nc_u32 v4, s7, v53
	s_delay_alu instid0(VALU_DEP_1) | instskip(NEXT) | instid1(VALU_DEP_2)
	v_mul_lo_u32 v3, v3, s4
	v_mul_lo_u32 v4, v4, s6
	s_delay_alu instid0(VALU_DEP_1) | instskip(NEXT) | instid1(VALU_DEP_1)
	v_sub_nc_u32_e32 v3, v3, v4
	v_cmp_lt_u32_e32 vcc_lo, s3, v3
	v_cndmask_b32_e64 v3, 0, 1, vcc_lo
.LBB1492_11:
	s_or_b32 exec_lo, exec_lo, s2
	v_dual_mov_b32 v5, 0 :: v_dual_add_nc_u32 v4, 2, v23
	s_delay_alu instid0(VALU_DEP_1)
	v_cmp_gt_u32_e32 vcc_lo, s23, v4
	v_mov_b32_e32 v4, 0
	s_and_saveexec_b32 s2, vcc_lo
	s_cbranch_execz .LBB1492_13
; %bb.12:
	v_dual_add_nc_u32 v4, s5, v50 :: v_dual_add_nc_u32 v6, s7, v50
	s_delay_alu instid0(VALU_DEP_1) | instskip(NEXT) | instid1(VALU_DEP_2)
	v_mul_lo_u32 v4, v4, s4
	v_mul_lo_u32 v6, v6, s6
	s_delay_alu instid0(VALU_DEP_1) | instskip(NEXT) | instid1(VALU_DEP_1)
	v_sub_nc_u32_e32 v4, v4, v6
	v_cmp_lt_u32_e32 vcc_lo, s3, v4
	v_cndmask_b32_e64 v4, 0, 1, vcc_lo
.LBB1492_13:
	s_or_b32 exec_lo, exec_lo, s2
	v_add_nc_u32_e32 v6, 3, v23
	s_mov_b32 s2, exec_lo
	s_delay_alu instid0(VALU_DEP_1)
	v_cmpx_gt_u32_e64 s23, v6
	s_cbranch_execz .LBB1492_15
; %bb.14:
	v_dual_add_nc_u32 v5, s5, v51 :: v_dual_add_nc_u32 v6, s7, v51
	s_delay_alu instid0(VALU_DEP_1) | instskip(NEXT) | instid1(VALU_DEP_2)
	v_mul_lo_u32 v5, v5, s4
	v_mul_lo_u32 v6, v6, s6
	s_delay_alu instid0(VALU_DEP_1) | instskip(NEXT) | instid1(VALU_DEP_1)
	v_sub_nc_u32_e32 v5, v5, v6
	v_cmp_lt_u32_e32 vcc_lo, s3, v5
	v_cndmask_b32_e64 v5, 0, 1, vcc_lo
.LBB1492_15:
	s_or_b32 exec_lo, exec_lo, s2
	v_dual_mov_b32 v7, 0 :: v_dual_add_nc_u32 v6, 4, v23
	s_delay_alu instid0(VALU_DEP_1)
	v_cmp_gt_u32_e32 vcc_lo, s23, v6
	v_mov_b32_e32 v6, 0
	s_and_saveexec_b32 s2, vcc_lo
	;; [unrolled: 33-line block ×5, first 2 shown]
	s_cbranch_execz .LBB1492_29
; %bb.28:
	v_dual_add_nc_u32 v12, s5, v42 :: v_dual_add_nc_u32 v14, s7, v42
	s_delay_alu instid0(VALU_DEP_1) | instskip(NEXT) | instid1(VALU_DEP_2)
	v_mul_lo_u32 v12, v12, s4
	v_mul_lo_u32 v14, v14, s6
	s_delay_alu instid0(VALU_DEP_1) | instskip(NEXT) | instid1(VALU_DEP_1)
	v_sub_nc_u32_e32 v12, v12, v14
	v_cmp_lt_u32_e32 vcc_lo, s3, v12
	v_cndmask_b32_e64 v12, 0, 1, vcc_lo
.LBB1492_29:
	s_or_b32 exec_lo, exec_lo, s2
	v_add_nc_u32_e32 v14, 11, v23
	s_mov_b32 s2, exec_lo
	s_delay_alu instid0(VALU_DEP_1)
	v_cmpx_gt_u32_e64 s23, v14
	s_cbranch_execz .LBB1492_31
; %bb.30:
	v_dual_add_nc_u32 v13, s5, v43 :: v_dual_add_nc_u32 v14, s7, v43
	s_delay_alu instid0(VALU_DEP_1) | instskip(NEXT) | instid1(VALU_DEP_2)
	v_mul_lo_u32 v13, v13, s4
	v_mul_lo_u32 v14, v14, s6
	s_delay_alu instid0(VALU_DEP_1) | instskip(NEXT) | instid1(VALU_DEP_1)
	v_sub_nc_u32_e32 v13, v13, v14
	v_cmp_lt_u32_e32 vcc_lo, s3, v13
	v_cndmask_b32_e64 v13, 0, 1, vcc_lo
.LBB1492_31:
	s_or_b32 exec_lo, exec_lo, s2
	v_dual_mov_b32 v25, 0 :: v_dual_add_nc_u32 v14, 12, v23
	s_mov_b32 s2, exec_lo
	s_delay_alu instid0(VALU_DEP_1)
	v_cmpx_gt_u32_e64 s23, v14
	s_cbranch_execz .LBB1492_33
; %bb.32:
	v_dual_add_nc_u32 v14, s7, v1 :: v_dual_add_nc_u32 v15, s5, v1
	s_delay_alu instid0(VALU_DEP_1) | instskip(NEXT) | instid1(VALU_DEP_2)
	v_mul_lo_u32 v14, v14, s6
	v_mul_lo_u32 v15, v15, s4
	s_delay_alu instid0(VALU_DEP_1) | instskip(NEXT) | instid1(VALU_DEP_1)
	v_sub_nc_u32_e32 v14, v15, v14
	v_cmp_lt_u32_e32 vcc_lo, s3, v14
	v_cndmask_b32_e64 v25, 0, 1, vcc_lo
.LBB1492_33:
	s_or_b32 exec_lo, exec_lo, s2
	v_lshlrev_b16 v5, 8, v5
	v_lshlrev_b16 v7, 8, v7
	;; [unrolled: 1-line block ×5, first 2 shown]
	v_or_b32_e32 v4, v4, v5
	v_or_b32_e32 v5, v6, v7
	;; [unrolled: 1-line block ×3, first 2 shown]
	s_delay_alu instid0(VALU_DEP_4) | instskip(NEXT) | instid1(VALU_DEP_3)
	v_or_b32_e32 v7, v10, v11
	v_and_b32_e32 v5, 0xffff, v5
	s_delay_alu instid0(VALU_DEP_3) | instskip(SKIP_3) | instid1(VALU_DEP_4)
	v_dual_lshlrev_b32 v6, 16, v6 :: v_dual_bitop2_b32 v2, v2, v3 bitop3:0x54
	v_lshlrev_b32_e32 v4, 16, v4
	v_lshlrev_b16 v3, 8, v13
	v_and_b32_e32 v7, 0xffff, v7
	v_or_b32_e32 v31, v5, v6
	v_and_b32_e32 v2, 0xffff, v2
	s_delay_alu instid0(VALU_DEP_4) | instskip(NEXT) | instid1(VALU_DEP_1)
	v_or_b32_e32 v3, v12, v3
	v_dual_lshlrev_b32 v3, 16, v3 :: v_dual_bitop2_b32 v35, v2, v4 bitop3:0x54
	s_delay_alu instid0(VALU_DEP_1)
	v_or_b32_e32 v27, v7, v3
.LBB1492_34:
	s_delay_alu instid0(VALU_DEP_2)
	v_bfe_u32 v39, v35, 16, 8
	v_bfe_u32 v41, v35, 8, 8
	v_and_b32_e32 v55, 0xff, v35
	v_and_b32_e32 v56, 0xff, v31
	v_mbcnt_lo_u32_b32 v62, -1, 0
	v_lshrrev_b32_e32 v37, 24, v35
	v_bfe_u32 v57, v31, 16, 8
	v_add3_u32 v2, v41, v55, v39
	v_bfe_u32 v58, v31, 8, 8
	v_and_b32_e32 v4, 15, v62
	s_load_b64 s[16:17], s[0:1], 0x28
	v_dual_lshrrev_b32 v33, 24, v31 :: v_dual_lshrrev_b32 v63, 5, v0
	v_add3_u32 v2, v2, v37, v56
	v_and_b32_e32 v59, 0xff, v27
	v_bfe_u32 v60, v27, 16, 8
	v_bfe_u32 v61, v27, 8, 8
	v_dual_lshrrev_b32 v29, 24, v27 :: v_dual_bitop2_b32 v5, 31, v0 bitop3:0x54
	v_add3_u32 v2, v2, v58, v57
	v_and_b32_e32 v3, 0xff, v25
	v_and_b32_e32 v6, 16, v62
	v_cmp_eq_u32_e64 s5, 0, v4
	v_cmp_lt_u32_e64 s4, 1, v4
	v_add3_u32 v2, v2, v33, v59
	v_cmp_lt_u32_e64 s3, 3, v4
	v_cmp_lt_u32_e64 s2, 7, v4
	s_wait_xcnt 0x0
	v_cmp_eq_u32_e64 s1, 0, v6
	v_cmp_eq_u32_e64 s0, v0, v5
	v_add3_u32 v2, v2, v61, v60
	s_cmp_lg_u32 s24, 0
	s_mov_b32 s6, -1
	s_delay_alu instid0(VALU_DEP_1)
	v_add3_u32 v64, v2, v29, v3
	s_cbranch_scc0 .LBB1492_56
; %bb.35:
	s_delay_alu instid0(VALU_DEP_1) | instskip(NEXT) | instid1(VALU_DEP_1)
	v_mov_b32_dpp v2, v64 row_shr:1 row_mask:0xf bank_mask:0xf
	v_cndmask_b32_e64 v2, v2, 0, s5
	s_delay_alu instid0(VALU_DEP_1) | instskip(NEXT) | instid1(VALU_DEP_1)
	v_add_nc_u32_e32 v2, v2, v64
	v_mov_b32_dpp v3, v2 row_shr:2 row_mask:0xf bank_mask:0xf
	s_delay_alu instid0(VALU_DEP_1) | instskip(NEXT) | instid1(VALU_DEP_1)
	v_cndmask_b32_e64 v3, 0, v3, s4
	v_add_nc_u32_e32 v2, v2, v3
	s_delay_alu instid0(VALU_DEP_1) | instskip(NEXT) | instid1(VALU_DEP_1)
	v_mov_b32_dpp v3, v2 row_shr:4 row_mask:0xf bank_mask:0xf
	v_cndmask_b32_e64 v3, 0, v3, s3
	s_delay_alu instid0(VALU_DEP_1) | instskip(NEXT) | instid1(VALU_DEP_1)
	v_add_nc_u32_e32 v2, v2, v3
	v_mov_b32_dpp v3, v2 row_shr:8 row_mask:0xf bank_mask:0xf
	s_delay_alu instid0(VALU_DEP_1) | instskip(NEXT) | instid1(VALU_DEP_1)
	v_cndmask_b32_e64 v3, 0, v3, s2
	v_add_nc_u32_e32 v2, v2, v3
	ds_swizzle_b32 v3, v2 offset:swizzle(BROADCAST,32,15)
	s_wait_dscnt 0x0
	v_cndmask_b32_e64 v3, v3, 0, s1
	s_delay_alu instid0(VALU_DEP_1)
	v_add_nc_u32_e32 v2, v2, v3
	s_and_saveexec_b32 s6, s0
; %bb.36:
	v_lshlrev_b32_e32 v3, 2, v63
	ds_store_b32 v3, v2
; %bb.37:
	s_or_b32 exec_lo, exec_lo, s6
	s_delay_alu instid0(SALU_CYCLE_1)
	s_mov_b32 s6, exec_lo
	s_wait_dscnt 0x0
	s_barrier_signal -1
	s_barrier_wait -1
	v_cmpx_gt_u32_e32 8, v0
	s_cbranch_execz .LBB1492_39
; %bb.38:
	ds_load_b32 v3, v19
	s_wait_dscnt 0x0
	v_mov_b32_dpp v5, v3 row_shr:1 row_mask:0xf bank_mask:0xf
	v_and_b32_e32 v4, 7, v62
	s_delay_alu instid0(VALU_DEP_1) | instskip(NEXT) | instid1(VALU_DEP_3)
	v_cmp_ne_u32_e32 vcc_lo, 0, v4
	v_cndmask_b32_e32 v5, 0, v5, vcc_lo
	v_cmp_lt_u32_e32 vcc_lo, 1, v4
	s_delay_alu instid0(VALU_DEP_2) | instskip(NEXT) | instid1(VALU_DEP_1)
	v_add_nc_u32_e32 v3, v5, v3
	v_mov_b32_dpp v5, v3 row_shr:2 row_mask:0xf bank_mask:0xf
	s_delay_alu instid0(VALU_DEP_1) | instskip(SKIP_1) | instid1(VALU_DEP_2)
	v_cndmask_b32_e32 v5, 0, v5, vcc_lo
	v_cmp_lt_u32_e32 vcc_lo, 3, v4
	v_add_nc_u32_e32 v3, v3, v5
	s_delay_alu instid0(VALU_DEP_1) | instskip(NEXT) | instid1(VALU_DEP_1)
	v_mov_b32_dpp v5, v3 row_shr:4 row_mask:0xf bank_mask:0xf
	v_cndmask_b32_e32 v4, 0, v5, vcc_lo
	s_delay_alu instid0(VALU_DEP_1)
	v_add_nc_u32_e32 v3, v3, v4
	ds_store_b32 v19, v3
.LBB1492_39:
	s_or_b32 exec_lo, exec_lo, s6
	s_delay_alu instid0(SALU_CYCLE_1)
	s_mov_b32 s7, exec_lo
	v_cmp_gt_u32_e32 vcc_lo, 32, v0
	s_wait_dscnt 0x0
	s_barrier_signal -1
	s_barrier_wait -1
                                        ; implicit-def: $vgpr10
	v_cmpx_lt_u32_e32 31, v0
	s_cbranch_execz .LBB1492_41
; %bb.40:
	v_lshl_add_u32 v3, v63, 2, -4
	ds_load_b32 v10, v3
	s_wait_dscnt 0x0
	v_add_nc_u32_e32 v2, v10, v2
.LBB1492_41:
	s_or_b32 exec_lo, exec_lo, s7
	v_sub_co_u32 v3, s6, v62, 1
	s_delay_alu instid0(VALU_DEP_1) | instskip(NEXT) | instid1(VALU_DEP_1)
	v_cmp_gt_i32_e64 s7, 0, v3
	v_cndmask_b32_e64 v3, v3, v62, s7
	s_delay_alu instid0(VALU_DEP_1)
	v_lshlrev_b32_e32 v3, 2, v3
	ds_bpermute_b32 v11, v3, v2
	s_and_saveexec_b32 s7, vcc_lo
	s_cbranch_execz .LBB1492_61
; %bb.42:
	v_mov_b32_e32 v9, 0
	ds_load_b32 v2, v9 offset:28
	s_and_saveexec_b32 s11, s6
	s_cbranch_execz .LBB1492_44
; %bb.43:
	s_add_co_i32 s25, s24, 32
	s_delay_alu instid0(SALU_CYCLE_1)
	v_dual_mov_b32 v3, 1 :: v_dual_mov_b32 v4, s25
	s_wait_dscnt 0x0
	s_wait_kmcnt 0x0
	global_store_b64 v4, v[2:3], s[20:21] scale_offset scope:SCOPE_DEV
.LBB1492_44:
	s_wait_xcnt 0x0
	s_or_b32 exec_lo, exec_lo, s11
	v_xad_u32 v4, v62, -1, s24
	s_mov_b32 s25, 0
	s_mov_b32 s11, exec_lo
	s_delay_alu instid0(VALU_DEP_1)
	v_add_nc_u32_e32 v8, 32, v4
	s_wait_kmcnt 0x0
	global_load_b64 v[6:7], v8, s[20:21] scale_offset scope:SCOPE_DEV
	s_wait_loadcnt 0x0
	v_and_b32_e32 v3, 0xff, v7
	s_wait_xcnt 0x0
	s_delay_alu instid0(VALU_DEP_1)
	v_cmpx_eq_u16_e32 0, v3
	s_cbranch_execz .LBB1492_48
; %bb.45:
	v_lshl_add_u64 v[8:9], v[8:9], 3, s[20:21]
.LBB1492_46:                            ; =>This Inner Loop Header: Depth=1
	global_load_b64 v[6:7], v[8:9], off scope:SCOPE_DEV
	s_wait_loadcnt 0x0
	v_and_b32_e32 v3, 0xff, v7
	s_delay_alu instid0(VALU_DEP_1)
	v_cmp_ne_u16_e32 vcc_lo, 0, v3
	s_or_b32 s25, vcc_lo, s25
	s_wait_xcnt 0x0
	s_and_not1_b32 exec_lo, exec_lo, s25
	s_cbranch_execnz .LBB1492_46
; %bb.47:
	s_or_b32 exec_lo, exec_lo, s25
.LBB1492_48:
	s_delay_alu instid0(SALU_CYCLE_1)
	s_or_b32 exec_lo, exec_lo, s11
	v_cmp_ne_u32_e32 vcc_lo, 31, v62
	v_lshlrev_b32_e64 v13, v62, -1
	v_dual_add_nc_u32 v15, 2, v62 :: v_dual_add_nc_u32 v17, 4, v62
	v_dual_add_nc_u32 v65, 8, v62 :: v_dual_add_nc_u32 v67, 16, v62
	v_add_co_ci_u32_e64 v3, null, 0, v62, vcc_lo
	v_lshl_or_b32 v66, v62, 2, 64
	s_delay_alu instid0(VALU_DEP_2)
	v_lshlrev_b32_e32 v12, 2, v3
	v_and_b32_e32 v3, 0xff, v7
	ds_bpermute_b32 v5, v12, v6
	v_cmp_eq_u16_e32 vcc_lo, 2, v3
	v_and_or_b32 v3, vcc_lo, v13, 0x80000000
	v_cmp_gt_u32_e32 vcc_lo, 30, v62
	s_delay_alu instid0(VALU_DEP_2) | instskip(SKIP_1) | instid1(VALU_DEP_2)
	v_ctz_i32_b32_e32 v3, v3
	v_cndmask_b32_e64 v8, 0, 2, vcc_lo
	v_cmp_lt_u32_e32 vcc_lo, v62, v3
	s_delay_alu instid0(VALU_DEP_2)
	v_add_lshl_u32 v14, v8, v62, 2
	s_wait_dscnt 0x0
	v_cndmask_b32_e32 v5, 0, v5, vcc_lo
	v_cmp_gt_u32_e32 vcc_lo, 28, v62
	v_cndmask_b32_e64 v8, 0, 4, vcc_lo
	v_cmp_le_u32_e32 vcc_lo, v15, v3
	s_delay_alu instid0(VALU_DEP_4) | instskip(NEXT) | instid1(VALU_DEP_3)
	v_add_nc_u32_e32 v5, v5, v6
	v_add_lshl_u32 v16, v8, v62, 2
	ds_bpermute_b32 v6, v14, v5
	s_wait_dscnt 0x0
	v_cndmask_b32_e32 v6, 0, v6, vcc_lo
	v_cmp_gt_u32_e32 vcc_lo, 24, v62
	v_cndmask_b32_e64 v8, 0, 8, vcc_lo
	v_cmp_le_u32_e32 vcc_lo, v17, v3
	s_delay_alu instid0(VALU_DEP_4) | instskip(NEXT) | instid1(VALU_DEP_3)
	v_add_nc_u32_e32 v5, v5, v6
	v_add_lshl_u32 v54, v8, v62, 2
	ds_bpermute_b32 v6, v16, v5
	s_wait_dscnt 0x0
	v_cndmask_b32_e32 v6, 0, v6, vcc_lo
	v_cmp_le_u32_e32 vcc_lo, v65, v3
	s_delay_alu instid0(VALU_DEP_2) | instskip(SKIP_4) | instid1(VALU_DEP_2)
	v_add_nc_u32_e32 v5, v5, v6
	ds_bpermute_b32 v6, v54, v5
	s_wait_dscnt 0x0
	v_cndmask_b32_e32 v6, 0, v6, vcc_lo
	v_cmp_le_u32_e32 vcc_lo, v67, v3
	v_add_nc_u32_e32 v5, v5, v6
	ds_bpermute_b32 v6, v66, v5
	s_wait_dscnt 0x0
	v_cndmask_b32_e32 v3, 0, v6, vcc_lo
	s_delay_alu instid0(VALU_DEP_1)
	v_dual_mov_b32 v5, 0 :: v_dual_add_nc_u32 v6, v5, v3
	s_branch .LBB1492_52
.LBB1492_49:                            ;   in Loop: Header=BB1492_52 Depth=1
	s_or_b32 exec_lo, exec_lo, s25
.LBB1492_50:                            ;   in Loop: Header=BB1492_52 Depth=1
	s_delay_alu instid0(SALU_CYCLE_1)
	s_or_b32 exec_lo, exec_lo, s11
	v_and_b32_e32 v8, 0xff, v7
	ds_bpermute_b32 v9, v12, v6
	v_subrev_nc_u32_e32 v4, 32, v4
	s_mov_b32 s11, 0
	v_cmp_eq_u16_e32 vcc_lo, 2, v8
	v_and_or_b32 v8, vcc_lo, v13, 0x80000000
	s_delay_alu instid0(VALU_DEP_1) | instskip(NEXT) | instid1(VALU_DEP_1)
	v_ctz_i32_b32_e32 v8, v8
	v_cmp_lt_u32_e32 vcc_lo, v62, v8
	s_wait_dscnt 0x0
	v_cndmask_b32_e32 v9, 0, v9, vcc_lo
	v_cmp_le_u32_e32 vcc_lo, v15, v8
	s_delay_alu instid0(VALU_DEP_2) | instskip(SKIP_4) | instid1(VALU_DEP_2)
	v_add_nc_u32_e32 v6, v9, v6
	ds_bpermute_b32 v9, v14, v6
	s_wait_dscnt 0x0
	v_cndmask_b32_e32 v9, 0, v9, vcc_lo
	v_cmp_le_u32_e32 vcc_lo, v17, v8
	v_add_nc_u32_e32 v6, v6, v9
	ds_bpermute_b32 v9, v16, v6
	s_wait_dscnt 0x0
	v_cndmask_b32_e32 v9, 0, v9, vcc_lo
	v_cmp_le_u32_e32 vcc_lo, v65, v8
	s_delay_alu instid0(VALU_DEP_2) | instskip(SKIP_4) | instid1(VALU_DEP_2)
	v_add_nc_u32_e32 v6, v6, v9
	ds_bpermute_b32 v9, v54, v6
	s_wait_dscnt 0x0
	v_cndmask_b32_e32 v9, 0, v9, vcc_lo
	v_cmp_le_u32_e32 vcc_lo, v67, v8
	v_add_nc_u32_e32 v6, v6, v9
	ds_bpermute_b32 v9, v66, v6
	s_wait_dscnt 0x0
	v_cndmask_b32_e32 v8, 0, v9, vcc_lo
	s_delay_alu instid0(VALU_DEP_1)
	v_add3_u32 v6, v8, v3, v6
.LBB1492_51:                            ;   in Loop: Header=BB1492_52 Depth=1
	s_and_b32 vcc_lo, exec_lo, s11
	s_cbranch_vccnz .LBB1492_57
.LBB1492_52:                            ; =>This Loop Header: Depth=1
                                        ;     Child Loop BB1492_55 Depth 2
	v_and_b32_e32 v3, 0xff, v7
	s_mov_b32 s11, -1
                                        ; implicit-def: $vgpr7
	s_delay_alu instid0(VALU_DEP_1)
	v_cmp_ne_u16_e32 vcc_lo, 2, v3
	v_mov_b32_e32 v3, v6
                                        ; implicit-def: $vgpr6
	s_cmp_lg_u32 vcc_lo, exec_lo
	s_cbranch_scc1 .LBB1492_51
; %bb.53:                               ;   in Loop: Header=BB1492_52 Depth=1
	global_load_b64 v[6:7], v4, s[20:21] scale_offset scope:SCOPE_DEV
	s_mov_b32 s11, exec_lo
	s_wait_loadcnt 0x0
	v_and_b32_e32 v8, 0xff, v7
	s_wait_xcnt 0x0
	s_delay_alu instid0(VALU_DEP_1)
	v_cmpx_eq_u16_e32 0, v8
	s_cbranch_execz .LBB1492_50
; %bb.54:                               ;   in Loop: Header=BB1492_52 Depth=1
	v_lshl_add_u64 v[8:9], v[4:5], 3, s[20:21]
	s_mov_b32 s25, 0
.LBB1492_55:                            ;   Parent Loop BB1492_52 Depth=1
                                        ; =>  This Inner Loop Header: Depth=2
	global_load_b64 v[6:7], v[8:9], off scope:SCOPE_DEV
	s_wait_loadcnt 0x0
	v_and_b32_e32 v68, 0xff, v7
	s_delay_alu instid0(VALU_DEP_1)
	v_cmp_ne_u16_e32 vcc_lo, 0, v68
	s_or_b32 s25, vcc_lo, s25
	s_wait_xcnt 0x0
	s_and_not1_b32 exec_lo, exec_lo, s25
	s_cbranch_execnz .LBB1492_55
	s_branch .LBB1492_49
.LBB1492_56:
                                        ; implicit-def: $vgpr2_vgpr3_vgpr4_vgpr5_vgpr6_vgpr7_vgpr8_vgpr9_vgpr10_vgpr11_vgpr12_vgpr13_vgpr14_vgpr15_vgpr16_vgpr17
                                        ; implicit-def: $vgpr54
                                        ; implicit-def: $vgpr16
	s_and_b32 vcc_lo, exec_lo, s6
	s_cbranch_vccnz .LBB1492_62
	s_branch .LBB1492_71
.LBB1492_57:
	s_and_saveexec_b32 s11, s6
	s_cbranch_execz .LBB1492_59
; %bb.58:
	s_add_co_i32 s24, s24, 32
	v_dual_mov_b32 v5, 2 :: v_dual_add_nc_u32 v4, v3, v2
	v_dual_mov_b32 v6, s24 :: v_dual_mov_b32 v7, 0
	global_store_b64 v6, v[4:5], s[20:21] scale_offset scope:SCOPE_DEV
	ds_store_b64 v7, v[2:3] offset:13312
.LBB1492_59:
	s_wait_xcnt 0x0
	s_or_b32 exec_lo, exec_lo, s11
	v_cmp_eq_u32_e32 vcc_lo, 0, v0
	s_and_b32 exec_lo, exec_lo, vcc_lo
; %bb.60:
	v_mov_b32_e32 v2, 0
	ds_store_b32 v2, v3 offset:28
.LBB1492_61:
	s_or_b32 exec_lo, exec_lo, s7
	s_wait_dscnt 0x0
	v_dual_mov_b32 v12, 0 :: v_dual_cndmask_b32 v3, v11, v10, s6
	s_wait_storecnt 0x0
	s_barrier_signal -1
	s_barrier_wait -1
	ds_load_b32 v2, v12 offset:28
	v_cmp_ne_u32_e32 vcc_lo, 0, v0
	s_wait_dscnt 0x0
	s_barrier_signal -1
	s_barrier_wait -1
	v_cndmask_b32_e32 v3, 0, v3, vcc_lo
	ds_load_b64 v[16:17], v12 offset:13312
	v_add_nc_u32_e32 v2, v2, v3
	s_wait_dscnt 0x0
	s_delay_alu instid0(VALU_DEP_1) | instskip(NEXT) | instid1(VALU_DEP_1)
	v_dual_mov_b32 v54, v17 :: v_dual_add_nc_u32 v3, v2, v55
	v_add_nc_u32_e32 v4, v3, v41
	s_delay_alu instid0(VALU_DEP_1) | instskip(NEXT) | instid1(VALU_DEP_1)
	v_add_nc_u32_e32 v5, v4, v39
	v_add_nc_u32_e32 v6, v5, v37
	s_delay_alu instid0(VALU_DEP_1) | instskip(NEXT) | instid1(VALU_DEP_1)
	v_add_nc_u32_e32 v7, v6, v56
	;; [unrolled: 3-line block ×5, first 2 shown]
	v_add_nc_u32_e32 v14, v13, v29
	s_branch .LBB1492_71
.LBB1492_62:
	v_mov_b32_dpp v2, v64 row_shr:1 row_mask:0xf bank_mask:0xf
	s_delay_alu instid0(VALU_DEP_1) | instskip(NEXT) | instid1(VALU_DEP_1)
	v_cndmask_b32_e64 v2, v2, 0, s5
	v_add_nc_u32_e32 v2, v2, v64
	s_delay_alu instid0(VALU_DEP_1) | instskip(NEXT) | instid1(VALU_DEP_1)
	v_mov_b32_dpp v3, v2 row_shr:2 row_mask:0xf bank_mask:0xf
	v_cndmask_b32_e64 v3, 0, v3, s4
	s_delay_alu instid0(VALU_DEP_1) | instskip(NEXT) | instid1(VALU_DEP_1)
	v_add_nc_u32_e32 v2, v2, v3
	v_mov_b32_dpp v3, v2 row_shr:4 row_mask:0xf bank_mask:0xf
	s_delay_alu instid0(VALU_DEP_1) | instskip(NEXT) | instid1(VALU_DEP_1)
	v_cndmask_b32_e64 v3, 0, v3, s3
	v_add_nc_u32_e32 v2, v2, v3
	s_delay_alu instid0(VALU_DEP_1) | instskip(NEXT) | instid1(VALU_DEP_1)
	v_mov_b32_dpp v3, v2 row_shr:8 row_mask:0xf bank_mask:0xf
	v_cndmask_b32_e64 v3, 0, v3, s2
	s_delay_alu instid0(VALU_DEP_1) | instskip(SKIP_3) | instid1(VALU_DEP_1)
	v_add_nc_u32_e32 v2, v2, v3
	ds_swizzle_b32 v3, v2 offset:swizzle(BROADCAST,32,15)
	s_wait_dscnt 0x0
	v_cndmask_b32_e64 v3, v3, 0, s1
	v_add_nc_u32_e32 v2, v2, v3
	s_and_saveexec_b32 s1, s0
; %bb.63:
	v_lshlrev_b32_e32 v3, 2, v63
	ds_store_b32 v3, v2
; %bb.64:
	s_or_b32 exec_lo, exec_lo, s1
	s_delay_alu instid0(SALU_CYCLE_1)
	s_mov_b32 s0, exec_lo
	s_wait_dscnt 0x0
	s_barrier_signal -1
	s_barrier_wait -1
	v_cmpx_gt_u32_e32 8, v0
	s_cbranch_execz .LBB1492_66
; %bb.65:
	ds_load_b32 v3, v19
	s_wait_dscnt 0x0
	v_mov_b32_dpp v5, v3 row_shr:1 row_mask:0xf bank_mask:0xf
	v_and_b32_e32 v4, 7, v62
	s_delay_alu instid0(VALU_DEP_1) | instskip(NEXT) | instid1(VALU_DEP_3)
	v_cmp_ne_u32_e32 vcc_lo, 0, v4
	v_cndmask_b32_e32 v5, 0, v5, vcc_lo
	v_cmp_lt_u32_e32 vcc_lo, 1, v4
	s_delay_alu instid0(VALU_DEP_2) | instskip(NEXT) | instid1(VALU_DEP_1)
	v_add_nc_u32_e32 v3, v5, v3
	v_mov_b32_dpp v5, v3 row_shr:2 row_mask:0xf bank_mask:0xf
	s_delay_alu instid0(VALU_DEP_1) | instskip(SKIP_1) | instid1(VALU_DEP_2)
	v_cndmask_b32_e32 v5, 0, v5, vcc_lo
	v_cmp_lt_u32_e32 vcc_lo, 3, v4
	v_add_nc_u32_e32 v3, v3, v5
	s_delay_alu instid0(VALU_DEP_1) | instskip(NEXT) | instid1(VALU_DEP_1)
	v_mov_b32_dpp v5, v3 row_shr:4 row_mask:0xf bank_mask:0xf
	v_cndmask_b32_e32 v4, 0, v5, vcc_lo
	s_delay_alu instid0(VALU_DEP_1)
	v_add_nc_u32_e32 v3, v3, v4
	ds_store_b32 v19, v3
.LBB1492_66:
	s_or_b32 exec_lo, exec_lo, s0
	v_dual_mov_b32 v4, 0 :: v_dual_mov_b32 v3, 0
	s_mov_b32 s0, exec_lo
	s_wait_dscnt 0x0
	s_barrier_signal -1
	s_barrier_wait -1
	v_cmpx_lt_u32_e32 31, v0
; %bb.67:
	v_lshl_add_u32 v3, v63, 2, -4
	ds_load_b32 v3, v3
; %bb.68:
	s_or_b32 exec_lo, exec_lo, s0
	v_sub_co_u32 v5, vcc_lo, v62, 1
	ds_load_b32 v16, v4 offset:28
	v_cmp_gt_i32_e64 s0, 0, v5
	s_delay_alu instid0(VALU_DEP_1) | instskip(SKIP_3) | instid1(VALU_DEP_3)
	v_cndmask_b32_e64 v5, v5, v62, s0
	s_wait_dscnt 0x1
	v_add_nc_u32_e32 v2, v3, v2
	v_cmp_eq_u32_e64 s0, 0, v0
	v_lshlrev_b32_e32 v5, 2, v5
	ds_bpermute_b32 v2, v5, v2
	s_and_saveexec_b32 s1, s0
	s_cbranch_execz .LBB1492_70
; %bb.69:
	v_dual_mov_b32 v4, 0 :: v_dual_mov_b32 v17, 2
	s_wait_dscnt 0x1
	s_wait_kmcnt 0x0
	global_store_b64 v4, v[16:17], s[20:21] offset:256 scope:SCOPE_DEV
.LBB1492_70:
	s_wait_xcnt 0x0
	s_or_b32 exec_lo, exec_lo, s1
	s_wait_dscnt 0x0
	v_cndmask_b32_e32 v2, v2, v3, vcc_lo
	s_wait_storecnt 0x0
	s_barrier_signal -1
	s_barrier_wait -1
	s_delay_alu instid0(VALU_DEP_1) | instskip(NEXT) | instid1(VALU_DEP_1)
	v_cndmask_b32_e64 v2, v2, 0, s0
	v_dual_mov_b32 v54, 0 :: v_dual_add_nc_u32 v3, v2, v55
	s_delay_alu instid0(VALU_DEP_1) | instskip(NEXT) | instid1(VALU_DEP_1)
	v_add_nc_u32_e32 v4, v3, v41
	v_add_nc_u32_e32 v5, v4, v39
	s_delay_alu instid0(VALU_DEP_1) | instskip(NEXT) | instid1(VALU_DEP_1)
	v_add_nc_u32_e32 v6, v5, v37
	v_add_nc_u32_e32 v7, v6, v56
	;; [unrolled: 3-line block ×5, first 2 shown]
	s_delay_alu instid0(VALU_DEP_1)
	v_add_nc_u32_e32 v14, v13, v29
.LBB1492_71:
	v_dual_lshrrev_b32 v55, 16, v35 :: v_dual_lshrrev_b32 v56, 8, v35
	v_dual_add_nc_u32 v23, v16, v23 :: v_dual_sub_nc_u32 v3, v3, v54
	v_dual_sub_nc_u32 v2, v2, v54 :: v_dual_bitop2_b32 v35, 1, v35 bitop3:0x40
	s_delay_alu instid0(VALU_DEP_3) | instskip(NEXT) | instid1(VALU_DEP_4)
	v_dual_sub_nc_u32 v4, v4, v54 :: v_dual_bitop2_b32 v56, 1, v56 bitop3:0x40
	v_and_b32_e32 v55, 1, v55
	s_delay_alu instid0(VALU_DEP_3) | instskip(NEXT) | instid1(VALU_DEP_4)
	v_dual_sub_nc_u32 v57, v23, v3 :: v_dual_sub_nc_u32 v58, v23, v2
	v_cmp_eq_u32_e32 vcc_lo, 1, v35
	s_delay_alu instid0(VALU_DEP_4) | instskip(NEXT) | instid1(VALU_DEP_3)
	v_dual_sub_nc_u32 v5, v5, v54 :: v_dual_sub_nc_u32 v59, v23, v4
	v_dual_add_nc_u32 v57, 1, v57 :: v_dual_sub_nc_u32 v6, v6, v54
	s_delay_alu instid0(VALU_DEP_4) | instskip(SKIP_1) | instid1(VALU_DEP_4)
	v_cndmask_b32_e32 v2, v58, v2, vcc_lo
	v_cmp_eq_u32_e32 vcc_lo, 1, v56
	v_dual_sub_nc_u32 v35, v23, v5 :: v_dual_add_nc_u32 v56, 2, v59
	v_dual_lshrrev_b32 v41, 8, v31 :: v_dual_lshrrev_b32 v39, 16, v31
	v_dual_cndmask_b32 v3, v57, v3, vcc_lo :: v_dual_bitop2_b32 v37, 1, v37 bitop3:0x40
	v_lshlrev_b32_e32 v2, 2, v2
	v_cmp_eq_u32_e32 vcc_lo, 1, v55
	v_add_nc_u32_e32 v35, 3, v35
	s_delay_alu instid0(VALU_DEP_4)
	v_lshlrev_b32_e32 v3, 2, v3
	v_dual_lshrrev_b32 v15, 16, v27 :: v_dual_lshrrev_b32 v17, 8, v27
	v_cndmask_b32_e32 v4, v56, v4, vcc_lo
	v_cmp_eq_u32_e32 vcc_lo, 1, v37
	ds_store_b32 v2, v52
	ds_store_b32 v3, v53
	v_dual_lshlrev_b32 v3, 2, v4 :: v_dual_cndmask_b32 v5, v35, v5, vcc_lo
	s_delay_alu instid0(VALU_DEP_1) | instskip(SKIP_1) | instid1(VALU_DEP_2)
	v_dual_sub_nc_u32 v2, v23, v6 :: v_dual_lshlrev_b32 v4, 2, v5
	v_dual_sub_nc_u32 v5, v7, v54 :: v_dual_bitop2_b32 v7, 1, v31 bitop3:0x40
	v_add_nc_u32_e32 v2, 4, v2
	ds_store_b32 v3, v50
	ds_store_b32 v4, v51
	v_sub_nc_u32_e32 v3, v23, v5
	v_cmp_eq_u32_e32 vcc_lo, 1, v7
	s_delay_alu instid0(VALU_DEP_2) | instskip(SKIP_1) | instid1(VALU_DEP_2)
	v_dual_sub_nc_u32 v4, v8, v54 :: v_dual_add_nc_u32 v3, 5, v3
	v_dual_cndmask_b32 v2, v2, v6, vcc_lo :: v_dual_bitop2_b32 v6, 1, v41 bitop3:0x40
	v_dual_sub_nc_u32 v7, v9, v54 :: v_dual_sub_nc_u32 v8, v23, v4
	s_delay_alu instid0(VALU_DEP_2) | instskip(NEXT) | instid1(VALU_DEP_2)
	v_cmp_eq_u32_e32 vcc_lo, 1, v6
	v_dual_lshlrev_b32 v2, 2, v2 :: v_dual_add_nc_u32 v8, 6, v8
	v_cndmask_b32_e32 v3, v3, v5, vcc_lo
	s_delay_alu instid0(VALU_DEP_4)
	v_sub_nc_u32_e32 v5, v23, v7
	v_and_b32_e32 v6, 1, v39
	ds_store_b32 v2, v48
	v_dual_lshlrev_b32 v3, 2, v3 :: v_dual_add_nc_u32 v5, 7, v5
	v_cmp_eq_u32_e32 vcc_lo, 1, v6
	v_dual_sub_nc_u32 v6, v11, v54 :: v_dual_bitop2_b32 v2, 1, v33 bitop3:0x40
	ds_store_b32 v3, v49
	v_cndmask_b32_e32 v4, v8, v4, vcc_lo
	v_cmp_eq_u32_e32 vcc_lo, 1, v2
	s_delay_alu instid0(VALU_DEP_2)
	v_dual_lshlrev_b32 v4, 2, v4 :: v_dual_cndmask_b32 v2, v5, v7, vcc_lo
	v_dual_sub_nc_u32 v5, v10, v54 :: v_dual_bitop2_b32 v7, 1, v17 bitop3:0x40
	v_sub_nc_u32_e32 v3, v23, v6
	ds_store_b32 v4, v46
	v_dual_sub_nc_u32 v4, v23, v5 :: v_dual_lshlrev_b32 v2, 2, v2
	v_add_nc_u32_e32 v3, 9, v3
	v_cmp_eq_u32_e32 vcc_lo, 1, v7
	s_delay_alu instid0(VALU_DEP_3) | instskip(SKIP_3) | instid1(VALU_DEP_2)
	v_dual_sub_nc_u32 v7, v12, v54 :: v_dual_add_nc_u32 v4, 8, v4
	ds_store_b32 v2, v47
	v_dual_cndmask_b32 v3, v3, v6, vcc_lo :: v_dual_bitop2_b32 v2, 1, v27 bitop3:0x40
	v_dual_sub_nc_u32 v6, v13, v54 :: v_dual_sub_nc_u32 v8, v14, v54
	v_cmp_eq_u32_e32 vcc_lo, 1, v2
	v_dual_cndmask_b32 v2, v4, v5 :: v_dual_sub_nc_u32 v5, v23, v7
	s_delay_alu instid0(VALU_DEP_3) | instskip(SKIP_1) | instid1(VALU_DEP_3)
	v_dual_sub_nc_u32 v4, v23, v6 :: v_dual_sub_nc_u32 v9, v23, v8
	v_and_b32_e32 v10, 1, v15
	v_dual_lshlrev_b32 v2, 2, v2 :: v_dual_bitop2_b32 v12, 1, v25 bitop3:0x40
	s_delay_alu instid0(VALU_DEP_3) | instskip(NEXT) | instid1(VALU_DEP_1)
	v_dual_add_nc_u32 v4, 11, v4 :: v_dual_bitop2_b32 v11, 1, v29 bitop3:0x40
	v_cmp_eq_u32_e32 vcc_lo, 1, v11
	s_delay_alu instid0(VALU_DEP_2) | instskip(SKIP_3) | instid1(VALU_DEP_1)
	v_cndmask_b32_e32 v4, v4, v6, vcc_lo
	v_cmp_eq_u32_e32 vcc_lo, 1, v10
	v_add_nc_u32_e32 v9, 12, v9
	v_add_nc_u32_e32 v5, 10, v5
	v_cndmask_b32_e32 v5, v5, v7, vcc_lo
	v_cmp_eq_u32_e32 vcc_lo, 1, v12
	s_delay_alu instid0(VALU_DEP_2) | instskip(SKIP_3) | instid1(VALU_DEP_3)
	v_dual_lshlrev_b32 v3, 2, v3 :: v_dual_lshlrev_b32 v5, 2, v5
	v_cndmask_b32_e32 v6, v9, v8, vcc_lo
	v_lshlrev_b32_e32 v4, 2, v4
	v_cmp_ne_u32_e32 vcc_lo, 1, v21
	v_lshlrev_b32_e32 v6, 2, v6
	ds_store_b32 v2, v44
	ds_store_b32 v3, v45
	;; [unrolled: 1-line block ×5, first 2 shown]
	s_wait_dscnt 0x0
	s_barrier_signal -1
	s_barrier_wait -1
	ds_load_2addr_stride64_b32 v[14:15], v19 offset1:4
	ds_load_2addr_stride64_b32 v[12:13], v19 offset0:8 offset1:12
	ds_load_2addr_stride64_b32 v[10:11], v19 offset0:16 offset1:20
	;; [unrolled: 1-line block ×5, first 2 shown]
	ds_load_b32 v46, v19 offset:12288
	v_mov_b32_e32 v1, 0
	s_and_b32 vcc_lo, exec_lo, vcc_lo
	s_delay_alu instid0(VALU_DEP_1) | instskip(SKIP_3) | instid1(VALU_DEP_3)
	v_dual_mov_b32 v29, v1 :: v_dual_mov_b32 v55, v1
	v_dual_mov_b32 v41, v1 :: v_dual_mov_b32 v39, v1
	;; [unrolled: 1-line block ×3, first 2 shown]
	s_wait_kmcnt 0x0
	v_add_nc_u64_e32 v[2:3], s[18:19], v[54:55]
	v_dual_mov_b32 v33, v1 :: v_dual_mov_b32 v31, v1
	v_dual_mov_b32 v27, v1 :: v_dual_mov_b32 v25, v1
	;; [unrolled: 1-line block ×3, first 2 shown]
	v_mov_b32_e32 v19, v1
	s_cbranch_vccnz .LBB1492_125
; %bb.72:
	v_mov_b32_e32 v17, v1
	s_mov_b32 s11, 0
	v_sub_nc_u64_e64 v[42:43], v[2:3], s[12:13]
	s_sub_nc_u64 s[0:1], s[14:15], s[10:11]
	s_delay_alu instid0(VALU_DEP_2) | instid1(SALU_CYCLE_1)
	v_add_nc_u64_e32 v[44:45], s[0:1], v[16:17]
	s_mov_b32 s0, exec_lo
	s_delay_alu instid0(VALU_DEP_1)
	v_add_nc_u64_e32 v[42:43], v[44:45], v[42:43]
                                        ; implicit-def: $vgpr44_vgpr45
	v_cmpx_ge_u32_e64 v0, v16
	s_xor_b32 s0, exec_lo, s0
; %bb.73:
	v_not_b32_e32 v44, v0
	s_delay_alu instid0(VALU_DEP_1) | instskip(NEXT) | instid1(VALU_DEP_1)
	v_ashrrev_i32_e32 v45, 31, v44
	v_add_nc_u64_e32 v[44:45], v[42:43], v[44:45]
; %bb.74:
	s_and_not1_saveexec_b32 s0, s0
; %bb.75:
	v_add_nc_u64_e32 v[44:45], v[2:3], v[0:1]
; %bb.76:
	s_or_b32 exec_lo, exec_lo, s0
	s_delay_alu instid0(VALU_DEP_1)
	v_lshl_add_u64 v[44:45], v[44:45], 2, s[16:17]
	s_mov_b32 s0, exec_lo
	s_wait_dscnt 0x6
	global_store_b32 v[44:45], v14, off
                                        ; implicit-def: $vgpr44_vgpr45
	s_wait_xcnt 0x0
	v_cmpx_ge_u32_e64 v40, v16
	s_xor_b32 s0, exec_lo, s0
; %bb.77:
	v_xor_b32_e32 v44, 0xfffffeff, v0
	s_delay_alu instid0(VALU_DEP_1) | instskip(NEXT) | instid1(VALU_DEP_1)
	v_ashrrev_i32_e32 v45, 31, v44
	v_add_nc_u64_e32 v[44:45], v[42:43], v[44:45]
; %bb.78:
	s_and_not1_saveexec_b32 s0, s0
; %bb.79:
	v_add_nc_u64_e32 v[44:45], v[2:3], v[40:41]
; %bb.80:
	s_or_b32 exec_lo, exec_lo, s0
	s_delay_alu instid0(VALU_DEP_1)
	v_lshl_add_u64 v[44:45], v[44:45], 2, s[16:17]
	s_mov_b32 s0, exec_lo
	global_store_b32 v[44:45], v15, off
                                        ; implicit-def: $vgpr44_vgpr45
	s_wait_xcnt 0x0
	v_cmpx_ge_u32_e64 v38, v16
	s_xor_b32 s0, exec_lo, s0
; %bb.81:
	v_xor_b32_e32 v44, 0xfffffdff, v0
	s_delay_alu instid0(VALU_DEP_1) | instskip(NEXT) | instid1(VALU_DEP_1)
	v_ashrrev_i32_e32 v45, 31, v44
	v_add_nc_u64_e32 v[44:45], v[42:43], v[44:45]
; %bb.82:
	s_and_not1_saveexec_b32 s0, s0
; %bb.83:
	v_add_nc_u64_e32 v[44:45], v[2:3], v[38:39]
; %bb.84:
	s_or_b32 exec_lo, exec_lo, s0
	s_delay_alu instid0(VALU_DEP_1)
	v_lshl_add_u64 v[44:45], v[44:45], 2, s[16:17]
	s_mov_b32 s0, exec_lo
	s_wait_dscnt 0x5
	global_store_b32 v[44:45], v12, off
                                        ; implicit-def: $vgpr44_vgpr45
	s_wait_xcnt 0x0
	v_cmpx_ge_u32_e64 v36, v16
	s_xor_b32 s0, exec_lo, s0
; %bb.85:
	v_xor_b32_e32 v44, 0xfffffcff, v0
	s_delay_alu instid0(VALU_DEP_1) | instskip(NEXT) | instid1(VALU_DEP_1)
	v_ashrrev_i32_e32 v45, 31, v44
	v_add_nc_u64_e32 v[44:45], v[42:43], v[44:45]
; %bb.86:
	s_and_not1_saveexec_b32 s0, s0
; %bb.87:
	v_add_nc_u64_e32 v[44:45], v[2:3], v[36:37]
; %bb.88:
	s_or_b32 exec_lo, exec_lo, s0
	s_delay_alu instid0(VALU_DEP_1)
	v_lshl_add_u64 v[44:45], v[44:45], 2, s[16:17]
	s_mov_b32 s0, exec_lo
	global_store_b32 v[44:45], v13, off
                                        ; implicit-def: $vgpr44_vgpr45
	s_wait_xcnt 0x0
	v_cmpx_ge_u32_e64 v34, v16
	s_xor_b32 s0, exec_lo, s0
; %bb.89:
	v_xor_b32_e32 v44, 0xfffffbff, v0
	;; [unrolled: 39-line block ×6, first 2 shown]
	s_delay_alu instid0(VALU_DEP_1) | instskip(NEXT) | instid1(VALU_DEP_1)
	v_ashrrev_i32_e32 v45, 31, v44
	v_add_nc_u64_e32 v[44:45], v[42:43], v[44:45]
; %bb.122:
	s_and_not1_saveexec_b32 s0, s0
; %bb.123:
	v_add_nc_u64_e32 v[44:45], v[2:3], v[18:19]
; %bb.124:
	s_or_b32 exec_lo, exec_lo, s0
	s_mov_b32 s0, -1
	s_branch .LBB1492_205
.LBB1492_125:
	s_mov_b32 s0, 0
                                        ; implicit-def: $vgpr44_vgpr45
	s_cbranch_execz .LBB1492_205
; %bb.126:
	s_mov_b32 s11, 0
	v_mov_b32_e32 v17, 0
	s_add_nc_u64 s[2:3], s[12:13], s[10:11]
	s_mov_b32 s1, exec_lo
	s_sub_nc_u64 s[2:3], s[14:15], s[2:3]
	s_delay_alu instid0(VALU_DEP_1) | instid1(SALU_CYCLE_1)
	v_add_nc_u64_e32 v[42:43], s[2:3], v[16:17]
	s_delay_alu instid0(VALU_DEP_1)
	v_add_nc_u64_e32 v[42:43], v[42:43], v[2:3]
	v_cmpx_gt_u32_e64 s23, v0
	s_cbranch_execz .LBB1492_162
; %bb.127:
	s_mov_b32 s2, exec_lo
                                        ; implicit-def: $vgpr44_vgpr45
	v_cmpx_ge_u32_e64 v0, v16
	s_xor_b32 s2, exec_lo, s2
; %bb.128:
	v_not_b32_e32 v44, v0
	s_delay_alu instid0(VALU_DEP_1) | instskip(NEXT) | instid1(VALU_DEP_1)
	v_ashrrev_i32_e32 v45, 31, v44
	v_add_nc_u64_e32 v[44:45], v[42:43], v[44:45]
; %bb.129:
	s_and_not1_saveexec_b32 s2, s2
; %bb.130:
	v_add_nc_u64_e32 v[44:45], v[2:3], v[0:1]
; %bb.131:
	s_or_b32 exec_lo, exec_lo, s2
	s_delay_alu instid0(VALU_DEP_1) | instskip(SKIP_4) | instid1(SALU_CYCLE_1)
	v_lshl_add_u64 v[44:45], v[44:45], 2, s[16:17]
	s_wait_dscnt 0x6
	global_store_b32 v[44:45], v14, off
	s_wait_xcnt 0x0
	s_or_b32 exec_lo, exec_lo, s1
	s_mov_b32 s1, exec_lo
	v_cmpx_gt_u32_e64 s23, v40
	s_cbranch_execnz .LBB1492_163
.LBB1492_132:
	s_or_b32 exec_lo, exec_lo, s1
	s_delay_alu instid0(SALU_CYCLE_1)
	s_mov_b32 s1, exec_lo
	v_cmpx_gt_u32_e64 s23, v38
	s_cbranch_execz .LBB1492_168
.LBB1492_133:
	s_mov_b32 s2, exec_lo
                                        ; implicit-def: $vgpr14_vgpr15
	v_cmpx_ge_u32_e64 v38, v16
	s_xor_b32 s2, exec_lo, s2
	s_cbranch_execz .LBB1492_135
; %bb.134:
	s_wait_dscnt 0x6
	v_xor_b32_e32 v14, 0xfffffdff, v0
                                        ; implicit-def: $vgpr38_vgpr39
	s_delay_alu instid0(VALU_DEP_1) | instskip(NEXT) | instid1(VALU_DEP_1)
	v_ashrrev_i32_e32 v15, 31, v14
	v_add_nc_u64_e32 v[14:15], v[42:43], v[14:15]
.LBB1492_135:
	s_and_not1_saveexec_b32 s2, s2
	s_cbranch_execz .LBB1492_137
; %bb.136:
	s_wait_dscnt 0x6
	v_add_nc_u64_e32 v[14:15], v[2:3], v[38:39]
.LBB1492_137:
	s_or_b32 exec_lo, exec_lo, s2
	s_wait_dscnt 0x6
	s_delay_alu instid0(VALU_DEP_1) | instskip(SKIP_4) | instid1(SALU_CYCLE_1)
	v_lshl_add_u64 v[14:15], v[14:15], 2, s[16:17]
	s_wait_dscnt 0x5
	global_store_b32 v[14:15], v12, off
	s_wait_xcnt 0x0
	s_or_b32 exec_lo, exec_lo, s1
	s_mov_b32 s1, exec_lo
	v_cmpx_gt_u32_e64 s23, v36
	s_cbranch_execnz .LBB1492_169
.LBB1492_138:
	s_or_b32 exec_lo, exec_lo, s1
	s_delay_alu instid0(SALU_CYCLE_1)
	s_mov_b32 s1, exec_lo
	v_cmpx_gt_u32_e64 s23, v34
	s_cbranch_execz .LBB1492_174
.LBB1492_139:
	s_mov_b32 s2, exec_lo
                                        ; implicit-def: $vgpr12_vgpr13
	v_cmpx_ge_u32_e64 v34, v16
	s_xor_b32 s2, exec_lo, s2
	s_cbranch_execz .LBB1492_141
; %bb.140:
	s_wait_dscnt 0x5
	v_xor_b32_e32 v12, 0xfffffbff, v0
                                        ; implicit-def: $vgpr34_vgpr35
	s_delay_alu instid0(VALU_DEP_1) | instskip(NEXT) | instid1(VALU_DEP_1)
	v_ashrrev_i32_e32 v13, 31, v12
	v_add_nc_u64_e32 v[12:13], v[42:43], v[12:13]
.LBB1492_141:
	s_and_not1_saveexec_b32 s2, s2
	s_cbranch_execz .LBB1492_143
; %bb.142:
	s_wait_dscnt 0x5
	v_add_nc_u64_e32 v[12:13], v[2:3], v[34:35]
.LBB1492_143:
	s_or_b32 exec_lo, exec_lo, s2
	s_wait_dscnt 0x5
	s_delay_alu instid0(VALU_DEP_1) | instskip(SKIP_4) | instid1(SALU_CYCLE_1)
	v_lshl_add_u64 v[12:13], v[12:13], 2, s[16:17]
	s_wait_dscnt 0x4
	global_store_b32 v[12:13], v10, off
	s_wait_xcnt 0x0
	s_or_b32 exec_lo, exec_lo, s1
	s_mov_b32 s1, exec_lo
	v_cmpx_gt_u32_e64 s23, v32
	s_cbranch_execnz .LBB1492_175
.LBB1492_144:
	s_or_b32 exec_lo, exec_lo, s1
	s_delay_alu instid0(SALU_CYCLE_1)
	s_mov_b32 s1, exec_lo
	v_cmpx_gt_u32_e64 s23, v30
	s_cbranch_execz .LBB1492_180
.LBB1492_145:
	s_mov_b32 s2, exec_lo
                                        ; implicit-def: $vgpr10_vgpr11
	v_cmpx_ge_u32_e64 v30, v16
	s_xor_b32 s2, exec_lo, s2
	s_cbranch_execz .LBB1492_147
; %bb.146:
	s_wait_dscnt 0x4
	v_xor_b32_e32 v10, 0xfffff9ff, v0
                                        ; implicit-def: $vgpr30_vgpr31
	s_delay_alu instid0(VALU_DEP_1) | instskip(NEXT) | instid1(VALU_DEP_1)
	v_ashrrev_i32_e32 v11, 31, v10
	v_add_nc_u64_e32 v[10:11], v[42:43], v[10:11]
.LBB1492_147:
	s_and_not1_saveexec_b32 s2, s2
	s_cbranch_execz .LBB1492_149
; %bb.148:
	s_wait_dscnt 0x4
	v_add_nc_u64_e32 v[10:11], v[2:3], v[30:31]
.LBB1492_149:
	s_or_b32 exec_lo, exec_lo, s2
	s_wait_dscnt 0x4
	s_delay_alu instid0(VALU_DEP_1) | instskip(SKIP_4) | instid1(SALU_CYCLE_1)
	v_lshl_add_u64 v[10:11], v[10:11], 2, s[16:17]
	s_wait_dscnt 0x3
	global_store_b32 v[10:11], v8, off
	s_wait_xcnt 0x0
	s_or_b32 exec_lo, exec_lo, s1
	s_mov_b32 s1, exec_lo
	v_cmpx_gt_u32_e64 s23, v28
	s_cbranch_execnz .LBB1492_181
.LBB1492_150:
	s_or_b32 exec_lo, exec_lo, s1
	s_delay_alu instid0(SALU_CYCLE_1)
	s_mov_b32 s1, exec_lo
	v_cmpx_gt_u32_e64 s23, v26
	s_cbranch_execz .LBB1492_186
.LBB1492_151:
	s_mov_b32 s2, exec_lo
                                        ; implicit-def: $vgpr8_vgpr9
	v_cmpx_ge_u32_e64 v26, v16
	s_xor_b32 s2, exec_lo, s2
	s_cbranch_execz .LBB1492_153
; %bb.152:
	s_wait_dscnt 0x3
	v_xor_b32_e32 v8, 0xfffff7ff, v0
                                        ; implicit-def: $vgpr26_vgpr27
	s_delay_alu instid0(VALU_DEP_1) | instskip(NEXT) | instid1(VALU_DEP_1)
	v_ashrrev_i32_e32 v9, 31, v8
	v_add_nc_u64_e32 v[8:9], v[42:43], v[8:9]
.LBB1492_153:
	s_and_not1_saveexec_b32 s2, s2
	s_cbranch_execz .LBB1492_155
; %bb.154:
	s_wait_dscnt 0x3
	v_add_nc_u64_e32 v[8:9], v[2:3], v[26:27]
.LBB1492_155:
	s_or_b32 exec_lo, exec_lo, s2
	s_wait_dscnt 0x3
	s_delay_alu instid0(VALU_DEP_1) | instskip(SKIP_4) | instid1(SALU_CYCLE_1)
	v_lshl_add_u64 v[8:9], v[8:9], 2, s[16:17]
	s_wait_dscnt 0x2
	global_store_b32 v[8:9], v6, off
	s_wait_xcnt 0x0
	s_or_b32 exec_lo, exec_lo, s1
	s_mov_b32 s1, exec_lo
	v_cmpx_gt_u32_e64 s23, v24
	s_cbranch_execnz .LBB1492_187
.LBB1492_156:
	s_or_b32 exec_lo, exec_lo, s1
	s_delay_alu instid0(SALU_CYCLE_1)
	s_mov_b32 s1, exec_lo
	v_cmpx_gt_u32_e64 s23, v22
	s_cbranch_execz .LBB1492_192
.LBB1492_157:
	s_mov_b32 s2, exec_lo
                                        ; implicit-def: $vgpr6_vgpr7
	v_cmpx_ge_u32_e64 v22, v16
	s_xor_b32 s2, exec_lo, s2
	s_cbranch_execz .LBB1492_159
; %bb.158:
	s_wait_dscnt 0x2
	v_xor_b32_e32 v6, 0xfffff5ff, v0
                                        ; implicit-def: $vgpr22_vgpr23
	s_delay_alu instid0(VALU_DEP_1) | instskip(NEXT) | instid1(VALU_DEP_1)
	v_ashrrev_i32_e32 v7, 31, v6
	v_add_nc_u64_e32 v[6:7], v[42:43], v[6:7]
.LBB1492_159:
	s_and_not1_saveexec_b32 s2, s2
	s_cbranch_execz .LBB1492_161
; %bb.160:
	s_wait_dscnt 0x2
	v_add_nc_u64_e32 v[6:7], v[2:3], v[22:23]
.LBB1492_161:
	s_or_b32 exec_lo, exec_lo, s2
	s_wait_dscnt 0x2
	s_delay_alu instid0(VALU_DEP_1) | instskip(SKIP_4) | instid1(SALU_CYCLE_1)
	v_lshl_add_u64 v[6:7], v[6:7], 2, s[16:17]
	s_wait_dscnt 0x1
	global_store_b32 v[6:7], v4, off
	s_wait_xcnt 0x0
	s_or_b32 exec_lo, exec_lo, s1
	s_mov_b32 s1, exec_lo
	v_cmpx_gt_u32_e64 s23, v20
	s_cbranch_execz .LBB1492_198
	s_branch .LBB1492_193
.LBB1492_162:
	s_or_b32 exec_lo, exec_lo, s1
	s_delay_alu instid0(SALU_CYCLE_1)
	s_mov_b32 s1, exec_lo
	v_cmpx_gt_u32_e64 s23, v40
	s_cbranch_execz .LBB1492_132
.LBB1492_163:
	s_mov_b32 s2, exec_lo
                                        ; implicit-def: $vgpr44_vgpr45
	v_cmpx_ge_u32_e64 v40, v16
	s_xor_b32 s2, exec_lo, s2
; %bb.164:
	v_xor_b32_e32 v40, 0xfffffeff, v0
	s_delay_alu instid0(VALU_DEP_1) | instskip(NEXT) | instid1(VALU_DEP_1)
	v_ashrrev_i32_e32 v41, 31, v40
	v_add_nc_u64_e32 v[44:45], v[42:43], v[40:41]
                                        ; implicit-def: $vgpr40_vgpr41
; %bb.165:
	s_and_not1_saveexec_b32 s2, s2
; %bb.166:
	v_add_nc_u64_e32 v[44:45], v[2:3], v[40:41]
; %bb.167:
	s_or_b32 exec_lo, exec_lo, s2
	s_delay_alu instid0(VALU_DEP_1) | instskip(SKIP_4) | instid1(SALU_CYCLE_1)
	v_lshl_add_u64 v[40:41], v[44:45], 2, s[16:17]
	s_wait_dscnt 0x6
	global_store_b32 v[40:41], v15, off
	s_wait_xcnt 0x0
	s_or_b32 exec_lo, exec_lo, s1
	s_mov_b32 s1, exec_lo
	v_cmpx_gt_u32_e64 s23, v38
	s_cbranch_execnz .LBB1492_133
.LBB1492_168:
	s_or_b32 exec_lo, exec_lo, s1
	s_delay_alu instid0(SALU_CYCLE_1)
	s_mov_b32 s1, exec_lo
	v_cmpx_gt_u32_e64 s23, v36
	s_cbranch_execz .LBB1492_138
.LBB1492_169:
	s_mov_b32 s2, exec_lo
                                        ; implicit-def: $vgpr14_vgpr15
	v_cmpx_ge_u32_e64 v36, v16
	s_xor_b32 s2, exec_lo, s2
	s_cbranch_execz .LBB1492_171
; %bb.170:
	s_wait_dscnt 0x6
	v_xor_b32_e32 v14, 0xfffffcff, v0
                                        ; implicit-def: $vgpr36_vgpr37
	s_delay_alu instid0(VALU_DEP_1) | instskip(NEXT) | instid1(VALU_DEP_1)
	v_ashrrev_i32_e32 v15, 31, v14
	v_add_nc_u64_e32 v[14:15], v[42:43], v[14:15]
.LBB1492_171:
	s_and_not1_saveexec_b32 s2, s2
	s_cbranch_execz .LBB1492_173
; %bb.172:
	s_wait_dscnt 0x6
	v_add_nc_u64_e32 v[14:15], v[2:3], v[36:37]
.LBB1492_173:
	s_or_b32 exec_lo, exec_lo, s2
	s_wait_dscnt 0x6
	s_delay_alu instid0(VALU_DEP_1) | instskip(SKIP_4) | instid1(SALU_CYCLE_1)
	v_lshl_add_u64 v[14:15], v[14:15], 2, s[16:17]
	s_wait_dscnt 0x5
	global_store_b32 v[14:15], v13, off
	s_wait_xcnt 0x0
	s_or_b32 exec_lo, exec_lo, s1
	s_mov_b32 s1, exec_lo
	v_cmpx_gt_u32_e64 s23, v34
	s_cbranch_execnz .LBB1492_139
.LBB1492_174:
	s_or_b32 exec_lo, exec_lo, s1
	s_delay_alu instid0(SALU_CYCLE_1)
	s_mov_b32 s1, exec_lo
	v_cmpx_gt_u32_e64 s23, v32
	s_cbranch_execz .LBB1492_144
.LBB1492_175:
	s_mov_b32 s2, exec_lo
                                        ; implicit-def: $vgpr12_vgpr13
	v_cmpx_ge_u32_e64 v32, v16
	s_xor_b32 s2, exec_lo, s2
	s_cbranch_execz .LBB1492_177
; %bb.176:
	s_wait_dscnt 0x5
	v_xor_b32_e32 v12, 0xfffffaff, v0
                                        ; implicit-def: $vgpr32_vgpr33
	s_delay_alu instid0(VALU_DEP_1) | instskip(NEXT) | instid1(VALU_DEP_1)
	v_ashrrev_i32_e32 v13, 31, v12
	v_add_nc_u64_e32 v[12:13], v[42:43], v[12:13]
.LBB1492_177:
	s_and_not1_saveexec_b32 s2, s2
	s_cbranch_execz .LBB1492_179
; %bb.178:
	s_wait_dscnt 0x5
	v_add_nc_u64_e32 v[12:13], v[2:3], v[32:33]
.LBB1492_179:
	s_or_b32 exec_lo, exec_lo, s2
	s_wait_dscnt 0x5
	s_delay_alu instid0(VALU_DEP_1) | instskip(SKIP_4) | instid1(SALU_CYCLE_1)
	v_lshl_add_u64 v[12:13], v[12:13], 2, s[16:17]
	s_wait_dscnt 0x4
	global_store_b32 v[12:13], v11, off
	s_wait_xcnt 0x0
	s_or_b32 exec_lo, exec_lo, s1
	s_mov_b32 s1, exec_lo
	v_cmpx_gt_u32_e64 s23, v30
	s_cbranch_execnz .LBB1492_145
.LBB1492_180:
	s_or_b32 exec_lo, exec_lo, s1
	s_delay_alu instid0(SALU_CYCLE_1)
	s_mov_b32 s1, exec_lo
	v_cmpx_gt_u32_e64 s23, v28
	s_cbranch_execz .LBB1492_150
.LBB1492_181:
	s_mov_b32 s2, exec_lo
                                        ; implicit-def: $vgpr10_vgpr11
	v_cmpx_ge_u32_e64 v28, v16
	s_xor_b32 s2, exec_lo, s2
	s_cbranch_execz .LBB1492_183
; %bb.182:
	s_wait_dscnt 0x4
	v_xor_b32_e32 v10, 0xfffff8ff, v0
                                        ; implicit-def: $vgpr28_vgpr29
	s_delay_alu instid0(VALU_DEP_1) | instskip(NEXT) | instid1(VALU_DEP_1)
	v_ashrrev_i32_e32 v11, 31, v10
	v_add_nc_u64_e32 v[10:11], v[42:43], v[10:11]
.LBB1492_183:
	s_and_not1_saveexec_b32 s2, s2
	s_cbranch_execz .LBB1492_185
; %bb.184:
	s_wait_dscnt 0x4
	v_add_nc_u64_e32 v[10:11], v[2:3], v[28:29]
.LBB1492_185:
	s_or_b32 exec_lo, exec_lo, s2
	s_wait_dscnt 0x4
	s_delay_alu instid0(VALU_DEP_1) | instskip(SKIP_4) | instid1(SALU_CYCLE_1)
	v_lshl_add_u64 v[10:11], v[10:11], 2, s[16:17]
	s_wait_dscnt 0x3
	global_store_b32 v[10:11], v9, off
	s_wait_xcnt 0x0
	s_or_b32 exec_lo, exec_lo, s1
	s_mov_b32 s1, exec_lo
	v_cmpx_gt_u32_e64 s23, v26
	s_cbranch_execnz .LBB1492_151
.LBB1492_186:
	s_or_b32 exec_lo, exec_lo, s1
	s_delay_alu instid0(SALU_CYCLE_1)
	s_mov_b32 s1, exec_lo
	v_cmpx_gt_u32_e64 s23, v24
	s_cbranch_execz .LBB1492_156
.LBB1492_187:
	s_mov_b32 s2, exec_lo
                                        ; implicit-def: $vgpr8_vgpr9
	v_cmpx_ge_u32_e64 v24, v16
	s_xor_b32 s2, exec_lo, s2
	s_cbranch_execz .LBB1492_189
; %bb.188:
	s_wait_dscnt 0x3
	v_xor_b32_e32 v8, 0xfffff6ff, v0
                                        ; implicit-def: $vgpr24_vgpr25
	s_delay_alu instid0(VALU_DEP_1) | instskip(NEXT) | instid1(VALU_DEP_1)
	v_ashrrev_i32_e32 v9, 31, v8
	v_add_nc_u64_e32 v[8:9], v[42:43], v[8:9]
.LBB1492_189:
	s_and_not1_saveexec_b32 s2, s2
	s_cbranch_execz .LBB1492_191
; %bb.190:
	s_wait_dscnt 0x3
	v_add_nc_u64_e32 v[8:9], v[2:3], v[24:25]
.LBB1492_191:
	s_or_b32 exec_lo, exec_lo, s2
	s_wait_dscnt 0x3
	s_delay_alu instid0(VALU_DEP_1) | instskip(SKIP_4) | instid1(SALU_CYCLE_1)
	v_lshl_add_u64 v[8:9], v[8:9], 2, s[16:17]
	s_wait_dscnt 0x2
	global_store_b32 v[8:9], v7, off
	s_wait_xcnt 0x0
	s_or_b32 exec_lo, exec_lo, s1
	s_mov_b32 s1, exec_lo
	v_cmpx_gt_u32_e64 s23, v22
	s_cbranch_execnz .LBB1492_157
.LBB1492_192:
	s_or_b32 exec_lo, exec_lo, s1
	s_delay_alu instid0(SALU_CYCLE_1)
	s_mov_b32 s1, exec_lo
	v_cmpx_gt_u32_e64 s23, v20
	s_cbranch_execz .LBB1492_198
.LBB1492_193:
	s_mov_b32 s2, exec_lo
                                        ; implicit-def: $vgpr6_vgpr7
	v_cmpx_ge_u32_e64 v20, v16
	s_xor_b32 s2, exec_lo, s2
	s_cbranch_execz .LBB1492_195
; %bb.194:
	s_wait_dscnt 0x2
	v_xor_b32_e32 v6, 0xfffff4ff, v0
                                        ; implicit-def: $vgpr20_vgpr21
	s_delay_alu instid0(VALU_DEP_1) | instskip(NEXT) | instid1(VALU_DEP_1)
	v_ashrrev_i32_e32 v7, 31, v6
	v_add_nc_u64_e32 v[6:7], v[42:43], v[6:7]
.LBB1492_195:
	s_and_not1_saveexec_b32 s2, s2
	s_cbranch_execz .LBB1492_197
; %bb.196:
	s_wait_dscnt 0x2
	v_add_nc_u64_e32 v[6:7], v[2:3], v[20:21]
.LBB1492_197:
	s_or_b32 exec_lo, exec_lo, s2
	s_wait_dscnt 0x2
	s_delay_alu instid0(VALU_DEP_1)
	v_lshl_add_u64 v[6:7], v[6:7], 2, s[16:17]
	s_wait_dscnt 0x1
	global_store_b32 v[6:7], v5, off
.LBB1492_198:
	s_wait_xcnt 0x0
	s_or_b32 exec_lo, exec_lo, s1
	s_delay_alu instid0(SALU_CYCLE_1)
	s_mov_b32 s1, exec_lo
                                        ; implicit-def: $vgpr44_vgpr45
	v_cmpx_gt_u32_e64 s23, v18
	s_cbranch_execz .LBB1492_204
; %bb.199:
	s_mov_b32 s2, exec_lo
                                        ; implicit-def: $vgpr44_vgpr45
	v_cmpx_ge_u32_e64 v18, v16
	s_xor_b32 s2, exec_lo, s2
	s_cbranch_execz .LBB1492_201
; %bb.200:
	s_wait_dscnt 0x1
	v_xor_b32_e32 v4, 0xfffff3ff, v0
                                        ; implicit-def: $vgpr18_vgpr19
	s_delay_alu instid0(VALU_DEP_1) | instskip(NEXT) | instid1(VALU_DEP_1)
	v_ashrrev_i32_e32 v5, 31, v4
	v_add_nc_u64_e32 v[44:45], v[42:43], v[4:5]
.LBB1492_201:
	s_and_not1_saveexec_b32 s2, s2
; %bb.202:
	v_add_nc_u64_e32 v[44:45], v[2:3], v[18:19]
; %bb.203:
	s_or_b32 exec_lo, exec_lo, s2
	s_delay_alu instid0(SALU_CYCLE_1)
	s_or_b32 s0, s0, exec_lo
.LBB1492_204:
	s_or_b32 exec_lo, exec_lo, s1
.LBB1492_205:
	s_and_saveexec_b32 s1, s0
	s_cbranch_execz .LBB1492_207
; %bb.206:
	s_wait_dscnt 0x1
	v_lshl_add_u64 v[4:5], v[44:45], 2, s[16:17]
	s_wait_dscnt 0x0
	global_store_b32 v[4:5], v46, off
.LBB1492_207:
	s_wait_xcnt 0x0
	s_or_b32 exec_lo, exec_lo, s1
	v_cmp_eq_u32_e32 vcc_lo, 0, v0
	s_and_b32 s0, vcc_lo, s22
	s_delay_alu instid0(SALU_CYCLE_1)
	s_and_saveexec_b32 s1, s0
	s_cbranch_execz .LBB1492_209
; %bb.208:
	v_mov_b32_e32 v17, 0
	s_delay_alu instid0(VALU_DEP_1)
	v_add_nc_u64_e32 v[0:1], v[2:3], v[16:17]
	global_store_b64 v17, v[0:1], s[8:9]
.LBB1492_209:
	s_sendmsg sendmsg(MSG_DEALLOC_VGPRS)
	s_endpgm
	.section	.rodata,"a",@progbits
	.p2align	6, 0x0
	.amdhsa_kernel _ZN7rocprim17ROCPRIM_400000_NS6detail17trampoline_kernelINS0_13select_configILj256ELj13ELNS0_17block_load_methodE3ELS4_3ELS4_3ELNS0_20block_scan_algorithmE0ELj4294967295EEENS1_25partition_config_selectorILNS1_17partition_subalgoE3EjNS0_10empty_typeEbEEZZNS1_14partition_implILS8_3ELb0ES6_jNS0_17counting_iteratorIjlEEPS9_SE_NS0_5tupleIJPjSE_EEENSF_IJSE_SE_EEES9_SG_JZNS1_25segmented_radix_sort_implINS0_14default_configELb1EPKbPbPKlPlN2at6native12_GLOBAL__N_18offset_tEEE10hipError_tPvRmT1_PNSt15iterator_traitsISY_E10value_typeET2_T3_PNSZ_IS14_E10value_typeET4_jRbjT5_S1A_jjP12ihipStream_tbEUljE_EEESV_SW_SX_S14_S18_S1A_T6_T7_T9_mT8_S1C_bDpT10_ENKUlT_T0_E_clISt17integral_constantIbLb0EES1P_EEDaS1K_S1L_EUlS1K_E_NS1_11comp_targetILNS1_3genE0ELNS1_11target_archE4294967295ELNS1_3gpuE0ELNS1_3repE0EEENS1_30default_config_static_selectorELNS0_4arch9wavefront6targetE0EEEvSY_
		.amdhsa_group_segment_fixed_size 13320
		.amdhsa_private_segment_fixed_size 0
		.amdhsa_kernarg_size 144
		.amdhsa_user_sgpr_count 2
		.amdhsa_user_sgpr_dispatch_ptr 0
		.amdhsa_user_sgpr_queue_ptr 0
		.amdhsa_user_sgpr_kernarg_segment_ptr 1
		.amdhsa_user_sgpr_dispatch_id 0
		.amdhsa_user_sgpr_kernarg_preload_length 0
		.amdhsa_user_sgpr_kernarg_preload_offset 0
		.amdhsa_user_sgpr_private_segment_size 0
		.amdhsa_wavefront_size32 1
		.amdhsa_uses_dynamic_stack 0
		.amdhsa_enable_private_segment 0
		.amdhsa_system_sgpr_workgroup_id_x 1
		.amdhsa_system_sgpr_workgroup_id_y 0
		.amdhsa_system_sgpr_workgroup_id_z 0
		.amdhsa_system_sgpr_workgroup_info 0
		.amdhsa_system_vgpr_workitem_id 0
		.amdhsa_next_free_vgpr 69
		.amdhsa_next_free_sgpr 26
		.amdhsa_named_barrier_count 0
		.amdhsa_reserve_vcc 1
		.amdhsa_float_round_mode_32 0
		.amdhsa_float_round_mode_16_64 0
		.amdhsa_float_denorm_mode_32 3
		.amdhsa_float_denorm_mode_16_64 3
		.amdhsa_fp16_overflow 0
		.amdhsa_memory_ordered 1
		.amdhsa_forward_progress 1
		.amdhsa_inst_pref_size 70
		.amdhsa_round_robin_scheduling 0
		.amdhsa_exception_fp_ieee_invalid_op 0
		.amdhsa_exception_fp_denorm_src 0
		.amdhsa_exception_fp_ieee_div_zero 0
		.amdhsa_exception_fp_ieee_overflow 0
		.amdhsa_exception_fp_ieee_underflow 0
		.amdhsa_exception_fp_ieee_inexact 0
		.amdhsa_exception_int_div_zero 0
	.end_amdhsa_kernel
	.section	.text._ZN7rocprim17ROCPRIM_400000_NS6detail17trampoline_kernelINS0_13select_configILj256ELj13ELNS0_17block_load_methodE3ELS4_3ELS4_3ELNS0_20block_scan_algorithmE0ELj4294967295EEENS1_25partition_config_selectorILNS1_17partition_subalgoE3EjNS0_10empty_typeEbEEZZNS1_14partition_implILS8_3ELb0ES6_jNS0_17counting_iteratorIjlEEPS9_SE_NS0_5tupleIJPjSE_EEENSF_IJSE_SE_EEES9_SG_JZNS1_25segmented_radix_sort_implINS0_14default_configELb1EPKbPbPKlPlN2at6native12_GLOBAL__N_18offset_tEEE10hipError_tPvRmT1_PNSt15iterator_traitsISY_E10value_typeET2_T3_PNSZ_IS14_E10value_typeET4_jRbjT5_S1A_jjP12ihipStream_tbEUljE_EEESV_SW_SX_S14_S18_S1A_T6_T7_T9_mT8_S1C_bDpT10_ENKUlT_T0_E_clISt17integral_constantIbLb0EES1P_EEDaS1K_S1L_EUlS1K_E_NS1_11comp_targetILNS1_3genE0ELNS1_11target_archE4294967295ELNS1_3gpuE0ELNS1_3repE0EEENS1_30default_config_static_selectorELNS0_4arch9wavefront6targetE0EEEvSY_,"axG",@progbits,_ZN7rocprim17ROCPRIM_400000_NS6detail17trampoline_kernelINS0_13select_configILj256ELj13ELNS0_17block_load_methodE3ELS4_3ELS4_3ELNS0_20block_scan_algorithmE0ELj4294967295EEENS1_25partition_config_selectorILNS1_17partition_subalgoE3EjNS0_10empty_typeEbEEZZNS1_14partition_implILS8_3ELb0ES6_jNS0_17counting_iteratorIjlEEPS9_SE_NS0_5tupleIJPjSE_EEENSF_IJSE_SE_EEES9_SG_JZNS1_25segmented_radix_sort_implINS0_14default_configELb1EPKbPbPKlPlN2at6native12_GLOBAL__N_18offset_tEEE10hipError_tPvRmT1_PNSt15iterator_traitsISY_E10value_typeET2_T3_PNSZ_IS14_E10value_typeET4_jRbjT5_S1A_jjP12ihipStream_tbEUljE_EEESV_SW_SX_S14_S18_S1A_T6_T7_T9_mT8_S1C_bDpT10_ENKUlT_T0_E_clISt17integral_constantIbLb0EES1P_EEDaS1K_S1L_EUlS1K_E_NS1_11comp_targetILNS1_3genE0ELNS1_11target_archE4294967295ELNS1_3gpuE0ELNS1_3repE0EEENS1_30default_config_static_selectorELNS0_4arch9wavefront6targetE0EEEvSY_,comdat
.Lfunc_end1492:
	.size	_ZN7rocprim17ROCPRIM_400000_NS6detail17trampoline_kernelINS0_13select_configILj256ELj13ELNS0_17block_load_methodE3ELS4_3ELS4_3ELNS0_20block_scan_algorithmE0ELj4294967295EEENS1_25partition_config_selectorILNS1_17partition_subalgoE3EjNS0_10empty_typeEbEEZZNS1_14partition_implILS8_3ELb0ES6_jNS0_17counting_iteratorIjlEEPS9_SE_NS0_5tupleIJPjSE_EEENSF_IJSE_SE_EEES9_SG_JZNS1_25segmented_radix_sort_implINS0_14default_configELb1EPKbPbPKlPlN2at6native12_GLOBAL__N_18offset_tEEE10hipError_tPvRmT1_PNSt15iterator_traitsISY_E10value_typeET2_T3_PNSZ_IS14_E10value_typeET4_jRbjT5_S1A_jjP12ihipStream_tbEUljE_EEESV_SW_SX_S14_S18_S1A_T6_T7_T9_mT8_S1C_bDpT10_ENKUlT_T0_E_clISt17integral_constantIbLb0EES1P_EEDaS1K_S1L_EUlS1K_E_NS1_11comp_targetILNS1_3genE0ELNS1_11target_archE4294967295ELNS1_3gpuE0ELNS1_3repE0EEENS1_30default_config_static_selectorELNS0_4arch9wavefront6targetE0EEEvSY_, .Lfunc_end1492-_ZN7rocprim17ROCPRIM_400000_NS6detail17trampoline_kernelINS0_13select_configILj256ELj13ELNS0_17block_load_methodE3ELS4_3ELS4_3ELNS0_20block_scan_algorithmE0ELj4294967295EEENS1_25partition_config_selectorILNS1_17partition_subalgoE3EjNS0_10empty_typeEbEEZZNS1_14partition_implILS8_3ELb0ES6_jNS0_17counting_iteratorIjlEEPS9_SE_NS0_5tupleIJPjSE_EEENSF_IJSE_SE_EEES9_SG_JZNS1_25segmented_radix_sort_implINS0_14default_configELb1EPKbPbPKlPlN2at6native12_GLOBAL__N_18offset_tEEE10hipError_tPvRmT1_PNSt15iterator_traitsISY_E10value_typeET2_T3_PNSZ_IS14_E10value_typeET4_jRbjT5_S1A_jjP12ihipStream_tbEUljE_EEESV_SW_SX_S14_S18_S1A_T6_T7_T9_mT8_S1C_bDpT10_ENKUlT_T0_E_clISt17integral_constantIbLb0EES1P_EEDaS1K_S1L_EUlS1K_E_NS1_11comp_targetILNS1_3genE0ELNS1_11target_archE4294967295ELNS1_3gpuE0ELNS1_3repE0EEENS1_30default_config_static_selectorELNS0_4arch9wavefront6targetE0EEEvSY_
                                        ; -- End function
	.set _ZN7rocprim17ROCPRIM_400000_NS6detail17trampoline_kernelINS0_13select_configILj256ELj13ELNS0_17block_load_methodE3ELS4_3ELS4_3ELNS0_20block_scan_algorithmE0ELj4294967295EEENS1_25partition_config_selectorILNS1_17partition_subalgoE3EjNS0_10empty_typeEbEEZZNS1_14partition_implILS8_3ELb0ES6_jNS0_17counting_iteratorIjlEEPS9_SE_NS0_5tupleIJPjSE_EEENSF_IJSE_SE_EEES9_SG_JZNS1_25segmented_radix_sort_implINS0_14default_configELb1EPKbPbPKlPlN2at6native12_GLOBAL__N_18offset_tEEE10hipError_tPvRmT1_PNSt15iterator_traitsISY_E10value_typeET2_T3_PNSZ_IS14_E10value_typeET4_jRbjT5_S1A_jjP12ihipStream_tbEUljE_EEESV_SW_SX_S14_S18_S1A_T6_T7_T9_mT8_S1C_bDpT10_ENKUlT_T0_E_clISt17integral_constantIbLb0EES1P_EEDaS1K_S1L_EUlS1K_E_NS1_11comp_targetILNS1_3genE0ELNS1_11target_archE4294967295ELNS1_3gpuE0ELNS1_3repE0EEENS1_30default_config_static_selectorELNS0_4arch9wavefront6targetE0EEEvSY_.num_vgpr, 69
	.set _ZN7rocprim17ROCPRIM_400000_NS6detail17trampoline_kernelINS0_13select_configILj256ELj13ELNS0_17block_load_methodE3ELS4_3ELS4_3ELNS0_20block_scan_algorithmE0ELj4294967295EEENS1_25partition_config_selectorILNS1_17partition_subalgoE3EjNS0_10empty_typeEbEEZZNS1_14partition_implILS8_3ELb0ES6_jNS0_17counting_iteratorIjlEEPS9_SE_NS0_5tupleIJPjSE_EEENSF_IJSE_SE_EEES9_SG_JZNS1_25segmented_radix_sort_implINS0_14default_configELb1EPKbPbPKlPlN2at6native12_GLOBAL__N_18offset_tEEE10hipError_tPvRmT1_PNSt15iterator_traitsISY_E10value_typeET2_T3_PNSZ_IS14_E10value_typeET4_jRbjT5_S1A_jjP12ihipStream_tbEUljE_EEESV_SW_SX_S14_S18_S1A_T6_T7_T9_mT8_S1C_bDpT10_ENKUlT_T0_E_clISt17integral_constantIbLb0EES1P_EEDaS1K_S1L_EUlS1K_E_NS1_11comp_targetILNS1_3genE0ELNS1_11target_archE4294967295ELNS1_3gpuE0ELNS1_3repE0EEENS1_30default_config_static_selectorELNS0_4arch9wavefront6targetE0EEEvSY_.num_agpr, 0
	.set _ZN7rocprim17ROCPRIM_400000_NS6detail17trampoline_kernelINS0_13select_configILj256ELj13ELNS0_17block_load_methodE3ELS4_3ELS4_3ELNS0_20block_scan_algorithmE0ELj4294967295EEENS1_25partition_config_selectorILNS1_17partition_subalgoE3EjNS0_10empty_typeEbEEZZNS1_14partition_implILS8_3ELb0ES6_jNS0_17counting_iteratorIjlEEPS9_SE_NS0_5tupleIJPjSE_EEENSF_IJSE_SE_EEES9_SG_JZNS1_25segmented_radix_sort_implINS0_14default_configELb1EPKbPbPKlPlN2at6native12_GLOBAL__N_18offset_tEEE10hipError_tPvRmT1_PNSt15iterator_traitsISY_E10value_typeET2_T3_PNSZ_IS14_E10value_typeET4_jRbjT5_S1A_jjP12ihipStream_tbEUljE_EEESV_SW_SX_S14_S18_S1A_T6_T7_T9_mT8_S1C_bDpT10_ENKUlT_T0_E_clISt17integral_constantIbLb0EES1P_EEDaS1K_S1L_EUlS1K_E_NS1_11comp_targetILNS1_3genE0ELNS1_11target_archE4294967295ELNS1_3gpuE0ELNS1_3repE0EEENS1_30default_config_static_selectorELNS0_4arch9wavefront6targetE0EEEvSY_.numbered_sgpr, 26
	.set _ZN7rocprim17ROCPRIM_400000_NS6detail17trampoline_kernelINS0_13select_configILj256ELj13ELNS0_17block_load_methodE3ELS4_3ELS4_3ELNS0_20block_scan_algorithmE0ELj4294967295EEENS1_25partition_config_selectorILNS1_17partition_subalgoE3EjNS0_10empty_typeEbEEZZNS1_14partition_implILS8_3ELb0ES6_jNS0_17counting_iteratorIjlEEPS9_SE_NS0_5tupleIJPjSE_EEENSF_IJSE_SE_EEES9_SG_JZNS1_25segmented_radix_sort_implINS0_14default_configELb1EPKbPbPKlPlN2at6native12_GLOBAL__N_18offset_tEEE10hipError_tPvRmT1_PNSt15iterator_traitsISY_E10value_typeET2_T3_PNSZ_IS14_E10value_typeET4_jRbjT5_S1A_jjP12ihipStream_tbEUljE_EEESV_SW_SX_S14_S18_S1A_T6_T7_T9_mT8_S1C_bDpT10_ENKUlT_T0_E_clISt17integral_constantIbLb0EES1P_EEDaS1K_S1L_EUlS1K_E_NS1_11comp_targetILNS1_3genE0ELNS1_11target_archE4294967295ELNS1_3gpuE0ELNS1_3repE0EEENS1_30default_config_static_selectorELNS0_4arch9wavefront6targetE0EEEvSY_.num_named_barrier, 0
	.set _ZN7rocprim17ROCPRIM_400000_NS6detail17trampoline_kernelINS0_13select_configILj256ELj13ELNS0_17block_load_methodE3ELS4_3ELS4_3ELNS0_20block_scan_algorithmE0ELj4294967295EEENS1_25partition_config_selectorILNS1_17partition_subalgoE3EjNS0_10empty_typeEbEEZZNS1_14partition_implILS8_3ELb0ES6_jNS0_17counting_iteratorIjlEEPS9_SE_NS0_5tupleIJPjSE_EEENSF_IJSE_SE_EEES9_SG_JZNS1_25segmented_radix_sort_implINS0_14default_configELb1EPKbPbPKlPlN2at6native12_GLOBAL__N_18offset_tEEE10hipError_tPvRmT1_PNSt15iterator_traitsISY_E10value_typeET2_T3_PNSZ_IS14_E10value_typeET4_jRbjT5_S1A_jjP12ihipStream_tbEUljE_EEESV_SW_SX_S14_S18_S1A_T6_T7_T9_mT8_S1C_bDpT10_ENKUlT_T0_E_clISt17integral_constantIbLb0EES1P_EEDaS1K_S1L_EUlS1K_E_NS1_11comp_targetILNS1_3genE0ELNS1_11target_archE4294967295ELNS1_3gpuE0ELNS1_3repE0EEENS1_30default_config_static_selectorELNS0_4arch9wavefront6targetE0EEEvSY_.private_seg_size, 0
	.set _ZN7rocprim17ROCPRIM_400000_NS6detail17trampoline_kernelINS0_13select_configILj256ELj13ELNS0_17block_load_methodE3ELS4_3ELS4_3ELNS0_20block_scan_algorithmE0ELj4294967295EEENS1_25partition_config_selectorILNS1_17partition_subalgoE3EjNS0_10empty_typeEbEEZZNS1_14partition_implILS8_3ELb0ES6_jNS0_17counting_iteratorIjlEEPS9_SE_NS0_5tupleIJPjSE_EEENSF_IJSE_SE_EEES9_SG_JZNS1_25segmented_radix_sort_implINS0_14default_configELb1EPKbPbPKlPlN2at6native12_GLOBAL__N_18offset_tEEE10hipError_tPvRmT1_PNSt15iterator_traitsISY_E10value_typeET2_T3_PNSZ_IS14_E10value_typeET4_jRbjT5_S1A_jjP12ihipStream_tbEUljE_EEESV_SW_SX_S14_S18_S1A_T6_T7_T9_mT8_S1C_bDpT10_ENKUlT_T0_E_clISt17integral_constantIbLb0EES1P_EEDaS1K_S1L_EUlS1K_E_NS1_11comp_targetILNS1_3genE0ELNS1_11target_archE4294967295ELNS1_3gpuE0ELNS1_3repE0EEENS1_30default_config_static_selectorELNS0_4arch9wavefront6targetE0EEEvSY_.uses_vcc, 1
	.set _ZN7rocprim17ROCPRIM_400000_NS6detail17trampoline_kernelINS0_13select_configILj256ELj13ELNS0_17block_load_methodE3ELS4_3ELS4_3ELNS0_20block_scan_algorithmE0ELj4294967295EEENS1_25partition_config_selectorILNS1_17partition_subalgoE3EjNS0_10empty_typeEbEEZZNS1_14partition_implILS8_3ELb0ES6_jNS0_17counting_iteratorIjlEEPS9_SE_NS0_5tupleIJPjSE_EEENSF_IJSE_SE_EEES9_SG_JZNS1_25segmented_radix_sort_implINS0_14default_configELb1EPKbPbPKlPlN2at6native12_GLOBAL__N_18offset_tEEE10hipError_tPvRmT1_PNSt15iterator_traitsISY_E10value_typeET2_T3_PNSZ_IS14_E10value_typeET4_jRbjT5_S1A_jjP12ihipStream_tbEUljE_EEESV_SW_SX_S14_S18_S1A_T6_T7_T9_mT8_S1C_bDpT10_ENKUlT_T0_E_clISt17integral_constantIbLb0EES1P_EEDaS1K_S1L_EUlS1K_E_NS1_11comp_targetILNS1_3genE0ELNS1_11target_archE4294967295ELNS1_3gpuE0ELNS1_3repE0EEENS1_30default_config_static_selectorELNS0_4arch9wavefront6targetE0EEEvSY_.uses_flat_scratch, 0
	.set _ZN7rocprim17ROCPRIM_400000_NS6detail17trampoline_kernelINS0_13select_configILj256ELj13ELNS0_17block_load_methodE3ELS4_3ELS4_3ELNS0_20block_scan_algorithmE0ELj4294967295EEENS1_25partition_config_selectorILNS1_17partition_subalgoE3EjNS0_10empty_typeEbEEZZNS1_14partition_implILS8_3ELb0ES6_jNS0_17counting_iteratorIjlEEPS9_SE_NS0_5tupleIJPjSE_EEENSF_IJSE_SE_EEES9_SG_JZNS1_25segmented_radix_sort_implINS0_14default_configELb1EPKbPbPKlPlN2at6native12_GLOBAL__N_18offset_tEEE10hipError_tPvRmT1_PNSt15iterator_traitsISY_E10value_typeET2_T3_PNSZ_IS14_E10value_typeET4_jRbjT5_S1A_jjP12ihipStream_tbEUljE_EEESV_SW_SX_S14_S18_S1A_T6_T7_T9_mT8_S1C_bDpT10_ENKUlT_T0_E_clISt17integral_constantIbLb0EES1P_EEDaS1K_S1L_EUlS1K_E_NS1_11comp_targetILNS1_3genE0ELNS1_11target_archE4294967295ELNS1_3gpuE0ELNS1_3repE0EEENS1_30default_config_static_selectorELNS0_4arch9wavefront6targetE0EEEvSY_.has_dyn_sized_stack, 0
	.set _ZN7rocprim17ROCPRIM_400000_NS6detail17trampoline_kernelINS0_13select_configILj256ELj13ELNS0_17block_load_methodE3ELS4_3ELS4_3ELNS0_20block_scan_algorithmE0ELj4294967295EEENS1_25partition_config_selectorILNS1_17partition_subalgoE3EjNS0_10empty_typeEbEEZZNS1_14partition_implILS8_3ELb0ES6_jNS0_17counting_iteratorIjlEEPS9_SE_NS0_5tupleIJPjSE_EEENSF_IJSE_SE_EEES9_SG_JZNS1_25segmented_radix_sort_implINS0_14default_configELb1EPKbPbPKlPlN2at6native12_GLOBAL__N_18offset_tEEE10hipError_tPvRmT1_PNSt15iterator_traitsISY_E10value_typeET2_T3_PNSZ_IS14_E10value_typeET4_jRbjT5_S1A_jjP12ihipStream_tbEUljE_EEESV_SW_SX_S14_S18_S1A_T6_T7_T9_mT8_S1C_bDpT10_ENKUlT_T0_E_clISt17integral_constantIbLb0EES1P_EEDaS1K_S1L_EUlS1K_E_NS1_11comp_targetILNS1_3genE0ELNS1_11target_archE4294967295ELNS1_3gpuE0ELNS1_3repE0EEENS1_30default_config_static_selectorELNS0_4arch9wavefront6targetE0EEEvSY_.has_recursion, 0
	.set _ZN7rocprim17ROCPRIM_400000_NS6detail17trampoline_kernelINS0_13select_configILj256ELj13ELNS0_17block_load_methodE3ELS4_3ELS4_3ELNS0_20block_scan_algorithmE0ELj4294967295EEENS1_25partition_config_selectorILNS1_17partition_subalgoE3EjNS0_10empty_typeEbEEZZNS1_14partition_implILS8_3ELb0ES6_jNS0_17counting_iteratorIjlEEPS9_SE_NS0_5tupleIJPjSE_EEENSF_IJSE_SE_EEES9_SG_JZNS1_25segmented_radix_sort_implINS0_14default_configELb1EPKbPbPKlPlN2at6native12_GLOBAL__N_18offset_tEEE10hipError_tPvRmT1_PNSt15iterator_traitsISY_E10value_typeET2_T3_PNSZ_IS14_E10value_typeET4_jRbjT5_S1A_jjP12ihipStream_tbEUljE_EEESV_SW_SX_S14_S18_S1A_T6_T7_T9_mT8_S1C_bDpT10_ENKUlT_T0_E_clISt17integral_constantIbLb0EES1P_EEDaS1K_S1L_EUlS1K_E_NS1_11comp_targetILNS1_3genE0ELNS1_11target_archE4294967295ELNS1_3gpuE0ELNS1_3repE0EEENS1_30default_config_static_selectorELNS0_4arch9wavefront6targetE0EEEvSY_.has_indirect_call, 0
	.section	.AMDGPU.csdata,"",@progbits
; Kernel info:
; codeLenInByte = 8920
; TotalNumSgprs: 28
; NumVgprs: 69
; ScratchSize: 0
; MemoryBound: 0
; FloatMode: 240
; IeeeMode: 1
; LDSByteSize: 13320 bytes/workgroup (compile time only)
; SGPRBlocks: 0
; VGPRBlocks: 4
; NumSGPRsForWavesPerEU: 28
; NumVGPRsForWavesPerEU: 69
; NamedBarCnt: 0
; Occupancy: 12
; WaveLimiterHint : 0
; COMPUTE_PGM_RSRC2:SCRATCH_EN: 0
; COMPUTE_PGM_RSRC2:USER_SGPR: 2
; COMPUTE_PGM_RSRC2:TRAP_HANDLER: 0
; COMPUTE_PGM_RSRC2:TGID_X_EN: 1
; COMPUTE_PGM_RSRC2:TGID_Y_EN: 0
; COMPUTE_PGM_RSRC2:TGID_Z_EN: 0
; COMPUTE_PGM_RSRC2:TIDIG_COMP_CNT: 0
	.section	.text._ZN7rocprim17ROCPRIM_400000_NS6detail17trampoline_kernelINS0_13select_configILj256ELj13ELNS0_17block_load_methodE3ELS4_3ELS4_3ELNS0_20block_scan_algorithmE0ELj4294967295EEENS1_25partition_config_selectorILNS1_17partition_subalgoE3EjNS0_10empty_typeEbEEZZNS1_14partition_implILS8_3ELb0ES6_jNS0_17counting_iteratorIjlEEPS9_SE_NS0_5tupleIJPjSE_EEENSF_IJSE_SE_EEES9_SG_JZNS1_25segmented_radix_sort_implINS0_14default_configELb1EPKbPbPKlPlN2at6native12_GLOBAL__N_18offset_tEEE10hipError_tPvRmT1_PNSt15iterator_traitsISY_E10value_typeET2_T3_PNSZ_IS14_E10value_typeET4_jRbjT5_S1A_jjP12ihipStream_tbEUljE_EEESV_SW_SX_S14_S18_S1A_T6_T7_T9_mT8_S1C_bDpT10_ENKUlT_T0_E_clISt17integral_constantIbLb0EES1P_EEDaS1K_S1L_EUlS1K_E_NS1_11comp_targetILNS1_3genE5ELNS1_11target_archE942ELNS1_3gpuE9ELNS1_3repE0EEENS1_30default_config_static_selectorELNS0_4arch9wavefront6targetE0EEEvSY_,"axG",@progbits,_ZN7rocprim17ROCPRIM_400000_NS6detail17trampoline_kernelINS0_13select_configILj256ELj13ELNS0_17block_load_methodE3ELS4_3ELS4_3ELNS0_20block_scan_algorithmE0ELj4294967295EEENS1_25partition_config_selectorILNS1_17partition_subalgoE3EjNS0_10empty_typeEbEEZZNS1_14partition_implILS8_3ELb0ES6_jNS0_17counting_iteratorIjlEEPS9_SE_NS0_5tupleIJPjSE_EEENSF_IJSE_SE_EEES9_SG_JZNS1_25segmented_radix_sort_implINS0_14default_configELb1EPKbPbPKlPlN2at6native12_GLOBAL__N_18offset_tEEE10hipError_tPvRmT1_PNSt15iterator_traitsISY_E10value_typeET2_T3_PNSZ_IS14_E10value_typeET4_jRbjT5_S1A_jjP12ihipStream_tbEUljE_EEESV_SW_SX_S14_S18_S1A_T6_T7_T9_mT8_S1C_bDpT10_ENKUlT_T0_E_clISt17integral_constantIbLb0EES1P_EEDaS1K_S1L_EUlS1K_E_NS1_11comp_targetILNS1_3genE5ELNS1_11target_archE942ELNS1_3gpuE9ELNS1_3repE0EEENS1_30default_config_static_selectorELNS0_4arch9wavefront6targetE0EEEvSY_,comdat
	.globl	_ZN7rocprim17ROCPRIM_400000_NS6detail17trampoline_kernelINS0_13select_configILj256ELj13ELNS0_17block_load_methodE3ELS4_3ELS4_3ELNS0_20block_scan_algorithmE0ELj4294967295EEENS1_25partition_config_selectorILNS1_17partition_subalgoE3EjNS0_10empty_typeEbEEZZNS1_14partition_implILS8_3ELb0ES6_jNS0_17counting_iteratorIjlEEPS9_SE_NS0_5tupleIJPjSE_EEENSF_IJSE_SE_EEES9_SG_JZNS1_25segmented_radix_sort_implINS0_14default_configELb1EPKbPbPKlPlN2at6native12_GLOBAL__N_18offset_tEEE10hipError_tPvRmT1_PNSt15iterator_traitsISY_E10value_typeET2_T3_PNSZ_IS14_E10value_typeET4_jRbjT5_S1A_jjP12ihipStream_tbEUljE_EEESV_SW_SX_S14_S18_S1A_T6_T7_T9_mT8_S1C_bDpT10_ENKUlT_T0_E_clISt17integral_constantIbLb0EES1P_EEDaS1K_S1L_EUlS1K_E_NS1_11comp_targetILNS1_3genE5ELNS1_11target_archE942ELNS1_3gpuE9ELNS1_3repE0EEENS1_30default_config_static_selectorELNS0_4arch9wavefront6targetE0EEEvSY_ ; -- Begin function _ZN7rocprim17ROCPRIM_400000_NS6detail17trampoline_kernelINS0_13select_configILj256ELj13ELNS0_17block_load_methodE3ELS4_3ELS4_3ELNS0_20block_scan_algorithmE0ELj4294967295EEENS1_25partition_config_selectorILNS1_17partition_subalgoE3EjNS0_10empty_typeEbEEZZNS1_14partition_implILS8_3ELb0ES6_jNS0_17counting_iteratorIjlEEPS9_SE_NS0_5tupleIJPjSE_EEENSF_IJSE_SE_EEES9_SG_JZNS1_25segmented_radix_sort_implINS0_14default_configELb1EPKbPbPKlPlN2at6native12_GLOBAL__N_18offset_tEEE10hipError_tPvRmT1_PNSt15iterator_traitsISY_E10value_typeET2_T3_PNSZ_IS14_E10value_typeET4_jRbjT5_S1A_jjP12ihipStream_tbEUljE_EEESV_SW_SX_S14_S18_S1A_T6_T7_T9_mT8_S1C_bDpT10_ENKUlT_T0_E_clISt17integral_constantIbLb0EES1P_EEDaS1K_S1L_EUlS1K_E_NS1_11comp_targetILNS1_3genE5ELNS1_11target_archE942ELNS1_3gpuE9ELNS1_3repE0EEENS1_30default_config_static_selectorELNS0_4arch9wavefront6targetE0EEEvSY_
	.p2align	8
	.type	_ZN7rocprim17ROCPRIM_400000_NS6detail17trampoline_kernelINS0_13select_configILj256ELj13ELNS0_17block_load_methodE3ELS4_3ELS4_3ELNS0_20block_scan_algorithmE0ELj4294967295EEENS1_25partition_config_selectorILNS1_17partition_subalgoE3EjNS0_10empty_typeEbEEZZNS1_14partition_implILS8_3ELb0ES6_jNS0_17counting_iteratorIjlEEPS9_SE_NS0_5tupleIJPjSE_EEENSF_IJSE_SE_EEES9_SG_JZNS1_25segmented_radix_sort_implINS0_14default_configELb1EPKbPbPKlPlN2at6native12_GLOBAL__N_18offset_tEEE10hipError_tPvRmT1_PNSt15iterator_traitsISY_E10value_typeET2_T3_PNSZ_IS14_E10value_typeET4_jRbjT5_S1A_jjP12ihipStream_tbEUljE_EEESV_SW_SX_S14_S18_S1A_T6_T7_T9_mT8_S1C_bDpT10_ENKUlT_T0_E_clISt17integral_constantIbLb0EES1P_EEDaS1K_S1L_EUlS1K_E_NS1_11comp_targetILNS1_3genE5ELNS1_11target_archE942ELNS1_3gpuE9ELNS1_3repE0EEENS1_30default_config_static_selectorELNS0_4arch9wavefront6targetE0EEEvSY_,@function
_ZN7rocprim17ROCPRIM_400000_NS6detail17trampoline_kernelINS0_13select_configILj256ELj13ELNS0_17block_load_methodE3ELS4_3ELS4_3ELNS0_20block_scan_algorithmE0ELj4294967295EEENS1_25partition_config_selectorILNS1_17partition_subalgoE3EjNS0_10empty_typeEbEEZZNS1_14partition_implILS8_3ELb0ES6_jNS0_17counting_iteratorIjlEEPS9_SE_NS0_5tupleIJPjSE_EEENSF_IJSE_SE_EEES9_SG_JZNS1_25segmented_radix_sort_implINS0_14default_configELb1EPKbPbPKlPlN2at6native12_GLOBAL__N_18offset_tEEE10hipError_tPvRmT1_PNSt15iterator_traitsISY_E10value_typeET2_T3_PNSZ_IS14_E10value_typeET4_jRbjT5_S1A_jjP12ihipStream_tbEUljE_EEESV_SW_SX_S14_S18_S1A_T6_T7_T9_mT8_S1C_bDpT10_ENKUlT_T0_E_clISt17integral_constantIbLb0EES1P_EEDaS1K_S1L_EUlS1K_E_NS1_11comp_targetILNS1_3genE5ELNS1_11target_archE942ELNS1_3gpuE9ELNS1_3repE0EEENS1_30default_config_static_selectorELNS0_4arch9wavefront6targetE0EEEvSY_: ; @_ZN7rocprim17ROCPRIM_400000_NS6detail17trampoline_kernelINS0_13select_configILj256ELj13ELNS0_17block_load_methodE3ELS4_3ELS4_3ELNS0_20block_scan_algorithmE0ELj4294967295EEENS1_25partition_config_selectorILNS1_17partition_subalgoE3EjNS0_10empty_typeEbEEZZNS1_14partition_implILS8_3ELb0ES6_jNS0_17counting_iteratorIjlEEPS9_SE_NS0_5tupleIJPjSE_EEENSF_IJSE_SE_EEES9_SG_JZNS1_25segmented_radix_sort_implINS0_14default_configELb1EPKbPbPKlPlN2at6native12_GLOBAL__N_18offset_tEEE10hipError_tPvRmT1_PNSt15iterator_traitsISY_E10value_typeET2_T3_PNSZ_IS14_E10value_typeET4_jRbjT5_S1A_jjP12ihipStream_tbEUljE_EEESV_SW_SX_S14_S18_S1A_T6_T7_T9_mT8_S1C_bDpT10_ENKUlT_T0_E_clISt17integral_constantIbLb0EES1P_EEDaS1K_S1L_EUlS1K_E_NS1_11comp_targetILNS1_3genE5ELNS1_11target_archE942ELNS1_3gpuE9ELNS1_3repE0EEENS1_30default_config_static_selectorELNS0_4arch9wavefront6targetE0EEEvSY_
; %bb.0:
	.section	.rodata,"a",@progbits
	.p2align	6, 0x0
	.amdhsa_kernel _ZN7rocprim17ROCPRIM_400000_NS6detail17trampoline_kernelINS0_13select_configILj256ELj13ELNS0_17block_load_methodE3ELS4_3ELS4_3ELNS0_20block_scan_algorithmE0ELj4294967295EEENS1_25partition_config_selectorILNS1_17partition_subalgoE3EjNS0_10empty_typeEbEEZZNS1_14partition_implILS8_3ELb0ES6_jNS0_17counting_iteratorIjlEEPS9_SE_NS0_5tupleIJPjSE_EEENSF_IJSE_SE_EEES9_SG_JZNS1_25segmented_radix_sort_implINS0_14default_configELb1EPKbPbPKlPlN2at6native12_GLOBAL__N_18offset_tEEE10hipError_tPvRmT1_PNSt15iterator_traitsISY_E10value_typeET2_T3_PNSZ_IS14_E10value_typeET4_jRbjT5_S1A_jjP12ihipStream_tbEUljE_EEESV_SW_SX_S14_S18_S1A_T6_T7_T9_mT8_S1C_bDpT10_ENKUlT_T0_E_clISt17integral_constantIbLb0EES1P_EEDaS1K_S1L_EUlS1K_E_NS1_11comp_targetILNS1_3genE5ELNS1_11target_archE942ELNS1_3gpuE9ELNS1_3repE0EEENS1_30default_config_static_selectorELNS0_4arch9wavefront6targetE0EEEvSY_
		.amdhsa_group_segment_fixed_size 0
		.amdhsa_private_segment_fixed_size 0
		.amdhsa_kernarg_size 144
		.amdhsa_user_sgpr_count 2
		.amdhsa_user_sgpr_dispatch_ptr 0
		.amdhsa_user_sgpr_queue_ptr 0
		.amdhsa_user_sgpr_kernarg_segment_ptr 1
		.amdhsa_user_sgpr_dispatch_id 0
		.amdhsa_user_sgpr_kernarg_preload_length 0
		.amdhsa_user_sgpr_kernarg_preload_offset 0
		.amdhsa_user_sgpr_private_segment_size 0
		.amdhsa_wavefront_size32 1
		.amdhsa_uses_dynamic_stack 0
		.amdhsa_enable_private_segment 0
		.amdhsa_system_sgpr_workgroup_id_x 1
		.amdhsa_system_sgpr_workgroup_id_y 0
		.amdhsa_system_sgpr_workgroup_id_z 0
		.amdhsa_system_sgpr_workgroup_info 0
		.amdhsa_system_vgpr_workitem_id 0
		.amdhsa_next_free_vgpr 1
		.amdhsa_next_free_sgpr 1
		.amdhsa_named_barrier_count 0
		.amdhsa_reserve_vcc 0
		.amdhsa_float_round_mode_32 0
		.amdhsa_float_round_mode_16_64 0
		.amdhsa_float_denorm_mode_32 3
		.amdhsa_float_denorm_mode_16_64 3
		.amdhsa_fp16_overflow 0
		.amdhsa_memory_ordered 1
		.amdhsa_forward_progress 1
		.amdhsa_inst_pref_size 0
		.amdhsa_round_robin_scheduling 0
		.amdhsa_exception_fp_ieee_invalid_op 0
		.amdhsa_exception_fp_denorm_src 0
		.amdhsa_exception_fp_ieee_div_zero 0
		.amdhsa_exception_fp_ieee_overflow 0
		.amdhsa_exception_fp_ieee_underflow 0
		.amdhsa_exception_fp_ieee_inexact 0
		.amdhsa_exception_int_div_zero 0
	.end_amdhsa_kernel
	.section	.text._ZN7rocprim17ROCPRIM_400000_NS6detail17trampoline_kernelINS0_13select_configILj256ELj13ELNS0_17block_load_methodE3ELS4_3ELS4_3ELNS0_20block_scan_algorithmE0ELj4294967295EEENS1_25partition_config_selectorILNS1_17partition_subalgoE3EjNS0_10empty_typeEbEEZZNS1_14partition_implILS8_3ELb0ES6_jNS0_17counting_iteratorIjlEEPS9_SE_NS0_5tupleIJPjSE_EEENSF_IJSE_SE_EEES9_SG_JZNS1_25segmented_radix_sort_implINS0_14default_configELb1EPKbPbPKlPlN2at6native12_GLOBAL__N_18offset_tEEE10hipError_tPvRmT1_PNSt15iterator_traitsISY_E10value_typeET2_T3_PNSZ_IS14_E10value_typeET4_jRbjT5_S1A_jjP12ihipStream_tbEUljE_EEESV_SW_SX_S14_S18_S1A_T6_T7_T9_mT8_S1C_bDpT10_ENKUlT_T0_E_clISt17integral_constantIbLb0EES1P_EEDaS1K_S1L_EUlS1K_E_NS1_11comp_targetILNS1_3genE5ELNS1_11target_archE942ELNS1_3gpuE9ELNS1_3repE0EEENS1_30default_config_static_selectorELNS0_4arch9wavefront6targetE0EEEvSY_,"axG",@progbits,_ZN7rocprim17ROCPRIM_400000_NS6detail17trampoline_kernelINS0_13select_configILj256ELj13ELNS0_17block_load_methodE3ELS4_3ELS4_3ELNS0_20block_scan_algorithmE0ELj4294967295EEENS1_25partition_config_selectorILNS1_17partition_subalgoE3EjNS0_10empty_typeEbEEZZNS1_14partition_implILS8_3ELb0ES6_jNS0_17counting_iteratorIjlEEPS9_SE_NS0_5tupleIJPjSE_EEENSF_IJSE_SE_EEES9_SG_JZNS1_25segmented_radix_sort_implINS0_14default_configELb1EPKbPbPKlPlN2at6native12_GLOBAL__N_18offset_tEEE10hipError_tPvRmT1_PNSt15iterator_traitsISY_E10value_typeET2_T3_PNSZ_IS14_E10value_typeET4_jRbjT5_S1A_jjP12ihipStream_tbEUljE_EEESV_SW_SX_S14_S18_S1A_T6_T7_T9_mT8_S1C_bDpT10_ENKUlT_T0_E_clISt17integral_constantIbLb0EES1P_EEDaS1K_S1L_EUlS1K_E_NS1_11comp_targetILNS1_3genE5ELNS1_11target_archE942ELNS1_3gpuE9ELNS1_3repE0EEENS1_30default_config_static_selectorELNS0_4arch9wavefront6targetE0EEEvSY_,comdat
.Lfunc_end1493:
	.size	_ZN7rocprim17ROCPRIM_400000_NS6detail17trampoline_kernelINS0_13select_configILj256ELj13ELNS0_17block_load_methodE3ELS4_3ELS4_3ELNS0_20block_scan_algorithmE0ELj4294967295EEENS1_25partition_config_selectorILNS1_17partition_subalgoE3EjNS0_10empty_typeEbEEZZNS1_14partition_implILS8_3ELb0ES6_jNS0_17counting_iteratorIjlEEPS9_SE_NS0_5tupleIJPjSE_EEENSF_IJSE_SE_EEES9_SG_JZNS1_25segmented_radix_sort_implINS0_14default_configELb1EPKbPbPKlPlN2at6native12_GLOBAL__N_18offset_tEEE10hipError_tPvRmT1_PNSt15iterator_traitsISY_E10value_typeET2_T3_PNSZ_IS14_E10value_typeET4_jRbjT5_S1A_jjP12ihipStream_tbEUljE_EEESV_SW_SX_S14_S18_S1A_T6_T7_T9_mT8_S1C_bDpT10_ENKUlT_T0_E_clISt17integral_constantIbLb0EES1P_EEDaS1K_S1L_EUlS1K_E_NS1_11comp_targetILNS1_3genE5ELNS1_11target_archE942ELNS1_3gpuE9ELNS1_3repE0EEENS1_30default_config_static_selectorELNS0_4arch9wavefront6targetE0EEEvSY_, .Lfunc_end1493-_ZN7rocprim17ROCPRIM_400000_NS6detail17trampoline_kernelINS0_13select_configILj256ELj13ELNS0_17block_load_methodE3ELS4_3ELS4_3ELNS0_20block_scan_algorithmE0ELj4294967295EEENS1_25partition_config_selectorILNS1_17partition_subalgoE3EjNS0_10empty_typeEbEEZZNS1_14partition_implILS8_3ELb0ES6_jNS0_17counting_iteratorIjlEEPS9_SE_NS0_5tupleIJPjSE_EEENSF_IJSE_SE_EEES9_SG_JZNS1_25segmented_radix_sort_implINS0_14default_configELb1EPKbPbPKlPlN2at6native12_GLOBAL__N_18offset_tEEE10hipError_tPvRmT1_PNSt15iterator_traitsISY_E10value_typeET2_T3_PNSZ_IS14_E10value_typeET4_jRbjT5_S1A_jjP12ihipStream_tbEUljE_EEESV_SW_SX_S14_S18_S1A_T6_T7_T9_mT8_S1C_bDpT10_ENKUlT_T0_E_clISt17integral_constantIbLb0EES1P_EEDaS1K_S1L_EUlS1K_E_NS1_11comp_targetILNS1_3genE5ELNS1_11target_archE942ELNS1_3gpuE9ELNS1_3repE0EEENS1_30default_config_static_selectorELNS0_4arch9wavefront6targetE0EEEvSY_
                                        ; -- End function
	.set _ZN7rocprim17ROCPRIM_400000_NS6detail17trampoline_kernelINS0_13select_configILj256ELj13ELNS0_17block_load_methodE3ELS4_3ELS4_3ELNS0_20block_scan_algorithmE0ELj4294967295EEENS1_25partition_config_selectorILNS1_17partition_subalgoE3EjNS0_10empty_typeEbEEZZNS1_14partition_implILS8_3ELb0ES6_jNS0_17counting_iteratorIjlEEPS9_SE_NS0_5tupleIJPjSE_EEENSF_IJSE_SE_EEES9_SG_JZNS1_25segmented_radix_sort_implINS0_14default_configELb1EPKbPbPKlPlN2at6native12_GLOBAL__N_18offset_tEEE10hipError_tPvRmT1_PNSt15iterator_traitsISY_E10value_typeET2_T3_PNSZ_IS14_E10value_typeET4_jRbjT5_S1A_jjP12ihipStream_tbEUljE_EEESV_SW_SX_S14_S18_S1A_T6_T7_T9_mT8_S1C_bDpT10_ENKUlT_T0_E_clISt17integral_constantIbLb0EES1P_EEDaS1K_S1L_EUlS1K_E_NS1_11comp_targetILNS1_3genE5ELNS1_11target_archE942ELNS1_3gpuE9ELNS1_3repE0EEENS1_30default_config_static_selectorELNS0_4arch9wavefront6targetE0EEEvSY_.num_vgpr, 0
	.set _ZN7rocprim17ROCPRIM_400000_NS6detail17trampoline_kernelINS0_13select_configILj256ELj13ELNS0_17block_load_methodE3ELS4_3ELS4_3ELNS0_20block_scan_algorithmE0ELj4294967295EEENS1_25partition_config_selectorILNS1_17partition_subalgoE3EjNS0_10empty_typeEbEEZZNS1_14partition_implILS8_3ELb0ES6_jNS0_17counting_iteratorIjlEEPS9_SE_NS0_5tupleIJPjSE_EEENSF_IJSE_SE_EEES9_SG_JZNS1_25segmented_radix_sort_implINS0_14default_configELb1EPKbPbPKlPlN2at6native12_GLOBAL__N_18offset_tEEE10hipError_tPvRmT1_PNSt15iterator_traitsISY_E10value_typeET2_T3_PNSZ_IS14_E10value_typeET4_jRbjT5_S1A_jjP12ihipStream_tbEUljE_EEESV_SW_SX_S14_S18_S1A_T6_T7_T9_mT8_S1C_bDpT10_ENKUlT_T0_E_clISt17integral_constantIbLb0EES1P_EEDaS1K_S1L_EUlS1K_E_NS1_11comp_targetILNS1_3genE5ELNS1_11target_archE942ELNS1_3gpuE9ELNS1_3repE0EEENS1_30default_config_static_selectorELNS0_4arch9wavefront6targetE0EEEvSY_.num_agpr, 0
	.set _ZN7rocprim17ROCPRIM_400000_NS6detail17trampoline_kernelINS0_13select_configILj256ELj13ELNS0_17block_load_methodE3ELS4_3ELS4_3ELNS0_20block_scan_algorithmE0ELj4294967295EEENS1_25partition_config_selectorILNS1_17partition_subalgoE3EjNS0_10empty_typeEbEEZZNS1_14partition_implILS8_3ELb0ES6_jNS0_17counting_iteratorIjlEEPS9_SE_NS0_5tupleIJPjSE_EEENSF_IJSE_SE_EEES9_SG_JZNS1_25segmented_radix_sort_implINS0_14default_configELb1EPKbPbPKlPlN2at6native12_GLOBAL__N_18offset_tEEE10hipError_tPvRmT1_PNSt15iterator_traitsISY_E10value_typeET2_T3_PNSZ_IS14_E10value_typeET4_jRbjT5_S1A_jjP12ihipStream_tbEUljE_EEESV_SW_SX_S14_S18_S1A_T6_T7_T9_mT8_S1C_bDpT10_ENKUlT_T0_E_clISt17integral_constantIbLb0EES1P_EEDaS1K_S1L_EUlS1K_E_NS1_11comp_targetILNS1_3genE5ELNS1_11target_archE942ELNS1_3gpuE9ELNS1_3repE0EEENS1_30default_config_static_selectorELNS0_4arch9wavefront6targetE0EEEvSY_.numbered_sgpr, 0
	.set _ZN7rocprim17ROCPRIM_400000_NS6detail17trampoline_kernelINS0_13select_configILj256ELj13ELNS0_17block_load_methodE3ELS4_3ELS4_3ELNS0_20block_scan_algorithmE0ELj4294967295EEENS1_25partition_config_selectorILNS1_17partition_subalgoE3EjNS0_10empty_typeEbEEZZNS1_14partition_implILS8_3ELb0ES6_jNS0_17counting_iteratorIjlEEPS9_SE_NS0_5tupleIJPjSE_EEENSF_IJSE_SE_EEES9_SG_JZNS1_25segmented_radix_sort_implINS0_14default_configELb1EPKbPbPKlPlN2at6native12_GLOBAL__N_18offset_tEEE10hipError_tPvRmT1_PNSt15iterator_traitsISY_E10value_typeET2_T3_PNSZ_IS14_E10value_typeET4_jRbjT5_S1A_jjP12ihipStream_tbEUljE_EEESV_SW_SX_S14_S18_S1A_T6_T7_T9_mT8_S1C_bDpT10_ENKUlT_T0_E_clISt17integral_constantIbLb0EES1P_EEDaS1K_S1L_EUlS1K_E_NS1_11comp_targetILNS1_3genE5ELNS1_11target_archE942ELNS1_3gpuE9ELNS1_3repE0EEENS1_30default_config_static_selectorELNS0_4arch9wavefront6targetE0EEEvSY_.num_named_barrier, 0
	.set _ZN7rocprim17ROCPRIM_400000_NS6detail17trampoline_kernelINS0_13select_configILj256ELj13ELNS0_17block_load_methodE3ELS4_3ELS4_3ELNS0_20block_scan_algorithmE0ELj4294967295EEENS1_25partition_config_selectorILNS1_17partition_subalgoE3EjNS0_10empty_typeEbEEZZNS1_14partition_implILS8_3ELb0ES6_jNS0_17counting_iteratorIjlEEPS9_SE_NS0_5tupleIJPjSE_EEENSF_IJSE_SE_EEES9_SG_JZNS1_25segmented_radix_sort_implINS0_14default_configELb1EPKbPbPKlPlN2at6native12_GLOBAL__N_18offset_tEEE10hipError_tPvRmT1_PNSt15iterator_traitsISY_E10value_typeET2_T3_PNSZ_IS14_E10value_typeET4_jRbjT5_S1A_jjP12ihipStream_tbEUljE_EEESV_SW_SX_S14_S18_S1A_T6_T7_T9_mT8_S1C_bDpT10_ENKUlT_T0_E_clISt17integral_constantIbLb0EES1P_EEDaS1K_S1L_EUlS1K_E_NS1_11comp_targetILNS1_3genE5ELNS1_11target_archE942ELNS1_3gpuE9ELNS1_3repE0EEENS1_30default_config_static_selectorELNS0_4arch9wavefront6targetE0EEEvSY_.private_seg_size, 0
	.set _ZN7rocprim17ROCPRIM_400000_NS6detail17trampoline_kernelINS0_13select_configILj256ELj13ELNS0_17block_load_methodE3ELS4_3ELS4_3ELNS0_20block_scan_algorithmE0ELj4294967295EEENS1_25partition_config_selectorILNS1_17partition_subalgoE3EjNS0_10empty_typeEbEEZZNS1_14partition_implILS8_3ELb0ES6_jNS0_17counting_iteratorIjlEEPS9_SE_NS0_5tupleIJPjSE_EEENSF_IJSE_SE_EEES9_SG_JZNS1_25segmented_radix_sort_implINS0_14default_configELb1EPKbPbPKlPlN2at6native12_GLOBAL__N_18offset_tEEE10hipError_tPvRmT1_PNSt15iterator_traitsISY_E10value_typeET2_T3_PNSZ_IS14_E10value_typeET4_jRbjT5_S1A_jjP12ihipStream_tbEUljE_EEESV_SW_SX_S14_S18_S1A_T6_T7_T9_mT8_S1C_bDpT10_ENKUlT_T0_E_clISt17integral_constantIbLb0EES1P_EEDaS1K_S1L_EUlS1K_E_NS1_11comp_targetILNS1_3genE5ELNS1_11target_archE942ELNS1_3gpuE9ELNS1_3repE0EEENS1_30default_config_static_selectorELNS0_4arch9wavefront6targetE0EEEvSY_.uses_vcc, 0
	.set _ZN7rocprim17ROCPRIM_400000_NS6detail17trampoline_kernelINS0_13select_configILj256ELj13ELNS0_17block_load_methodE3ELS4_3ELS4_3ELNS0_20block_scan_algorithmE0ELj4294967295EEENS1_25partition_config_selectorILNS1_17partition_subalgoE3EjNS0_10empty_typeEbEEZZNS1_14partition_implILS8_3ELb0ES6_jNS0_17counting_iteratorIjlEEPS9_SE_NS0_5tupleIJPjSE_EEENSF_IJSE_SE_EEES9_SG_JZNS1_25segmented_radix_sort_implINS0_14default_configELb1EPKbPbPKlPlN2at6native12_GLOBAL__N_18offset_tEEE10hipError_tPvRmT1_PNSt15iterator_traitsISY_E10value_typeET2_T3_PNSZ_IS14_E10value_typeET4_jRbjT5_S1A_jjP12ihipStream_tbEUljE_EEESV_SW_SX_S14_S18_S1A_T6_T7_T9_mT8_S1C_bDpT10_ENKUlT_T0_E_clISt17integral_constantIbLb0EES1P_EEDaS1K_S1L_EUlS1K_E_NS1_11comp_targetILNS1_3genE5ELNS1_11target_archE942ELNS1_3gpuE9ELNS1_3repE0EEENS1_30default_config_static_selectorELNS0_4arch9wavefront6targetE0EEEvSY_.uses_flat_scratch, 0
	.set _ZN7rocprim17ROCPRIM_400000_NS6detail17trampoline_kernelINS0_13select_configILj256ELj13ELNS0_17block_load_methodE3ELS4_3ELS4_3ELNS0_20block_scan_algorithmE0ELj4294967295EEENS1_25partition_config_selectorILNS1_17partition_subalgoE3EjNS0_10empty_typeEbEEZZNS1_14partition_implILS8_3ELb0ES6_jNS0_17counting_iteratorIjlEEPS9_SE_NS0_5tupleIJPjSE_EEENSF_IJSE_SE_EEES9_SG_JZNS1_25segmented_radix_sort_implINS0_14default_configELb1EPKbPbPKlPlN2at6native12_GLOBAL__N_18offset_tEEE10hipError_tPvRmT1_PNSt15iterator_traitsISY_E10value_typeET2_T3_PNSZ_IS14_E10value_typeET4_jRbjT5_S1A_jjP12ihipStream_tbEUljE_EEESV_SW_SX_S14_S18_S1A_T6_T7_T9_mT8_S1C_bDpT10_ENKUlT_T0_E_clISt17integral_constantIbLb0EES1P_EEDaS1K_S1L_EUlS1K_E_NS1_11comp_targetILNS1_3genE5ELNS1_11target_archE942ELNS1_3gpuE9ELNS1_3repE0EEENS1_30default_config_static_selectorELNS0_4arch9wavefront6targetE0EEEvSY_.has_dyn_sized_stack, 0
	.set _ZN7rocprim17ROCPRIM_400000_NS6detail17trampoline_kernelINS0_13select_configILj256ELj13ELNS0_17block_load_methodE3ELS4_3ELS4_3ELNS0_20block_scan_algorithmE0ELj4294967295EEENS1_25partition_config_selectorILNS1_17partition_subalgoE3EjNS0_10empty_typeEbEEZZNS1_14partition_implILS8_3ELb0ES6_jNS0_17counting_iteratorIjlEEPS9_SE_NS0_5tupleIJPjSE_EEENSF_IJSE_SE_EEES9_SG_JZNS1_25segmented_radix_sort_implINS0_14default_configELb1EPKbPbPKlPlN2at6native12_GLOBAL__N_18offset_tEEE10hipError_tPvRmT1_PNSt15iterator_traitsISY_E10value_typeET2_T3_PNSZ_IS14_E10value_typeET4_jRbjT5_S1A_jjP12ihipStream_tbEUljE_EEESV_SW_SX_S14_S18_S1A_T6_T7_T9_mT8_S1C_bDpT10_ENKUlT_T0_E_clISt17integral_constantIbLb0EES1P_EEDaS1K_S1L_EUlS1K_E_NS1_11comp_targetILNS1_3genE5ELNS1_11target_archE942ELNS1_3gpuE9ELNS1_3repE0EEENS1_30default_config_static_selectorELNS0_4arch9wavefront6targetE0EEEvSY_.has_recursion, 0
	.set _ZN7rocprim17ROCPRIM_400000_NS6detail17trampoline_kernelINS0_13select_configILj256ELj13ELNS0_17block_load_methodE3ELS4_3ELS4_3ELNS0_20block_scan_algorithmE0ELj4294967295EEENS1_25partition_config_selectorILNS1_17partition_subalgoE3EjNS0_10empty_typeEbEEZZNS1_14partition_implILS8_3ELb0ES6_jNS0_17counting_iteratorIjlEEPS9_SE_NS0_5tupleIJPjSE_EEENSF_IJSE_SE_EEES9_SG_JZNS1_25segmented_radix_sort_implINS0_14default_configELb1EPKbPbPKlPlN2at6native12_GLOBAL__N_18offset_tEEE10hipError_tPvRmT1_PNSt15iterator_traitsISY_E10value_typeET2_T3_PNSZ_IS14_E10value_typeET4_jRbjT5_S1A_jjP12ihipStream_tbEUljE_EEESV_SW_SX_S14_S18_S1A_T6_T7_T9_mT8_S1C_bDpT10_ENKUlT_T0_E_clISt17integral_constantIbLb0EES1P_EEDaS1K_S1L_EUlS1K_E_NS1_11comp_targetILNS1_3genE5ELNS1_11target_archE942ELNS1_3gpuE9ELNS1_3repE0EEENS1_30default_config_static_selectorELNS0_4arch9wavefront6targetE0EEEvSY_.has_indirect_call, 0
	.section	.AMDGPU.csdata,"",@progbits
; Kernel info:
; codeLenInByte = 0
; TotalNumSgprs: 0
; NumVgprs: 0
; ScratchSize: 0
; MemoryBound: 0
; FloatMode: 240
; IeeeMode: 1
; LDSByteSize: 0 bytes/workgroup (compile time only)
; SGPRBlocks: 0
; VGPRBlocks: 0
; NumSGPRsForWavesPerEU: 1
; NumVGPRsForWavesPerEU: 1
; NamedBarCnt: 0
; Occupancy: 16
; WaveLimiterHint : 0
; COMPUTE_PGM_RSRC2:SCRATCH_EN: 0
; COMPUTE_PGM_RSRC2:USER_SGPR: 2
; COMPUTE_PGM_RSRC2:TRAP_HANDLER: 0
; COMPUTE_PGM_RSRC2:TGID_X_EN: 1
; COMPUTE_PGM_RSRC2:TGID_Y_EN: 0
; COMPUTE_PGM_RSRC2:TGID_Z_EN: 0
; COMPUTE_PGM_RSRC2:TIDIG_COMP_CNT: 0
	.section	.text._ZN7rocprim17ROCPRIM_400000_NS6detail17trampoline_kernelINS0_13select_configILj256ELj13ELNS0_17block_load_methodE3ELS4_3ELS4_3ELNS0_20block_scan_algorithmE0ELj4294967295EEENS1_25partition_config_selectorILNS1_17partition_subalgoE3EjNS0_10empty_typeEbEEZZNS1_14partition_implILS8_3ELb0ES6_jNS0_17counting_iteratorIjlEEPS9_SE_NS0_5tupleIJPjSE_EEENSF_IJSE_SE_EEES9_SG_JZNS1_25segmented_radix_sort_implINS0_14default_configELb1EPKbPbPKlPlN2at6native12_GLOBAL__N_18offset_tEEE10hipError_tPvRmT1_PNSt15iterator_traitsISY_E10value_typeET2_T3_PNSZ_IS14_E10value_typeET4_jRbjT5_S1A_jjP12ihipStream_tbEUljE_EEESV_SW_SX_S14_S18_S1A_T6_T7_T9_mT8_S1C_bDpT10_ENKUlT_T0_E_clISt17integral_constantIbLb0EES1P_EEDaS1K_S1L_EUlS1K_E_NS1_11comp_targetILNS1_3genE4ELNS1_11target_archE910ELNS1_3gpuE8ELNS1_3repE0EEENS1_30default_config_static_selectorELNS0_4arch9wavefront6targetE0EEEvSY_,"axG",@progbits,_ZN7rocprim17ROCPRIM_400000_NS6detail17trampoline_kernelINS0_13select_configILj256ELj13ELNS0_17block_load_methodE3ELS4_3ELS4_3ELNS0_20block_scan_algorithmE0ELj4294967295EEENS1_25partition_config_selectorILNS1_17partition_subalgoE3EjNS0_10empty_typeEbEEZZNS1_14partition_implILS8_3ELb0ES6_jNS0_17counting_iteratorIjlEEPS9_SE_NS0_5tupleIJPjSE_EEENSF_IJSE_SE_EEES9_SG_JZNS1_25segmented_radix_sort_implINS0_14default_configELb1EPKbPbPKlPlN2at6native12_GLOBAL__N_18offset_tEEE10hipError_tPvRmT1_PNSt15iterator_traitsISY_E10value_typeET2_T3_PNSZ_IS14_E10value_typeET4_jRbjT5_S1A_jjP12ihipStream_tbEUljE_EEESV_SW_SX_S14_S18_S1A_T6_T7_T9_mT8_S1C_bDpT10_ENKUlT_T0_E_clISt17integral_constantIbLb0EES1P_EEDaS1K_S1L_EUlS1K_E_NS1_11comp_targetILNS1_3genE4ELNS1_11target_archE910ELNS1_3gpuE8ELNS1_3repE0EEENS1_30default_config_static_selectorELNS0_4arch9wavefront6targetE0EEEvSY_,comdat
	.globl	_ZN7rocprim17ROCPRIM_400000_NS6detail17trampoline_kernelINS0_13select_configILj256ELj13ELNS0_17block_load_methodE3ELS4_3ELS4_3ELNS0_20block_scan_algorithmE0ELj4294967295EEENS1_25partition_config_selectorILNS1_17partition_subalgoE3EjNS0_10empty_typeEbEEZZNS1_14partition_implILS8_3ELb0ES6_jNS0_17counting_iteratorIjlEEPS9_SE_NS0_5tupleIJPjSE_EEENSF_IJSE_SE_EEES9_SG_JZNS1_25segmented_radix_sort_implINS0_14default_configELb1EPKbPbPKlPlN2at6native12_GLOBAL__N_18offset_tEEE10hipError_tPvRmT1_PNSt15iterator_traitsISY_E10value_typeET2_T3_PNSZ_IS14_E10value_typeET4_jRbjT5_S1A_jjP12ihipStream_tbEUljE_EEESV_SW_SX_S14_S18_S1A_T6_T7_T9_mT8_S1C_bDpT10_ENKUlT_T0_E_clISt17integral_constantIbLb0EES1P_EEDaS1K_S1L_EUlS1K_E_NS1_11comp_targetILNS1_3genE4ELNS1_11target_archE910ELNS1_3gpuE8ELNS1_3repE0EEENS1_30default_config_static_selectorELNS0_4arch9wavefront6targetE0EEEvSY_ ; -- Begin function _ZN7rocprim17ROCPRIM_400000_NS6detail17trampoline_kernelINS0_13select_configILj256ELj13ELNS0_17block_load_methodE3ELS4_3ELS4_3ELNS0_20block_scan_algorithmE0ELj4294967295EEENS1_25partition_config_selectorILNS1_17partition_subalgoE3EjNS0_10empty_typeEbEEZZNS1_14partition_implILS8_3ELb0ES6_jNS0_17counting_iteratorIjlEEPS9_SE_NS0_5tupleIJPjSE_EEENSF_IJSE_SE_EEES9_SG_JZNS1_25segmented_radix_sort_implINS0_14default_configELb1EPKbPbPKlPlN2at6native12_GLOBAL__N_18offset_tEEE10hipError_tPvRmT1_PNSt15iterator_traitsISY_E10value_typeET2_T3_PNSZ_IS14_E10value_typeET4_jRbjT5_S1A_jjP12ihipStream_tbEUljE_EEESV_SW_SX_S14_S18_S1A_T6_T7_T9_mT8_S1C_bDpT10_ENKUlT_T0_E_clISt17integral_constantIbLb0EES1P_EEDaS1K_S1L_EUlS1K_E_NS1_11comp_targetILNS1_3genE4ELNS1_11target_archE910ELNS1_3gpuE8ELNS1_3repE0EEENS1_30default_config_static_selectorELNS0_4arch9wavefront6targetE0EEEvSY_
	.p2align	8
	.type	_ZN7rocprim17ROCPRIM_400000_NS6detail17trampoline_kernelINS0_13select_configILj256ELj13ELNS0_17block_load_methodE3ELS4_3ELS4_3ELNS0_20block_scan_algorithmE0ELj4294967295EEENS1_25partition_config_selectorILNS1_17partition_subalgoE3EjNS0_10empty_typeEbEEZZNS1_14partition_implILS8_3ELb0ES6_jNS0_17counting_iteratorIjlEEPS9_SE_NS0_5tupleIJPjSE_EEENSF_IJSE_SE_EEES9_SG_JZNS1_25segmented_radix_sort_implINS0_14default_configELb1EPKbPbPKlPlN2at6native12_GLOBAL__N_18offset_tEEE10hipError_tPvRmT1_PNSt15iterator_traitsISY_E10value_typeET2_T3_PNSZ_IS14_E10value_typeET4_jRbjT5_S1A_jjP12ihipStream_tbEUljE_EEESV_SW_SX_S14_S18_S1A_T6_T7_T9_mT8_S1C_bDpT10_ENKUlT_T0_E_clISt17integral_constantIbLb0EES1P_EEDaS1K_S1L_EUlS1K_E_NS1_11comp_targetILNS1_3genE4ELNS1_11target_archE910ELNS1_3gpuE8ELNS1_3repE0EEENS1_30default_config_static_selectorELNS0_4arch9wavefront6targetE0EEEvSY_,@function
_ZN7rocprim17ROCPRIM_400000_NS6detail17trampoline_kernelINS0_13select_configILj256ELj13ELNS0_17block_load_methodE3ELS4_3ELS4_3ELNS0_20block_scan_algorithmE0ELj4294967295EEENS1_25partition_config_selectorILNS1_17partition_subalgoE3EjNS0_10empty_typeEbEEZZNS1_14partition_implILS8_3ELb0ES6_jNS0_17counting_iteratorIjlEEPS9_SE_NS0_5tupleIJPjSE_EEENSF_IJSE_SE_EEES9_SG_JZNS1_25segmented_radix_sort_implINS0_14default_configELb1EPKbPbPKlPlN2at6native12_GLOBAL__N_18offset_tEEE10hipError_tPvRmT1_PNSt15iterator_traitsISY_E10value_typeET2_T3_PNSZ_IS14_E10value_typeET4_jRbjT5_S1A_jjP12ihipStream_tbEUljE_EEESV_SW_SX_S14_S18_S1A_T6_T7_T9_mT8_S1C_bDpT10_ENKUlT_T0_E_clISt17integral_constantIbLb0EES1P_EEDaS1K_S1L_EUlS1K_E_NS1_11comp_targetILNS1_3genE4ELNS1_11target_archE910ELNS1_3gpuE8ELNS1_3repE0EEENS1_30default_config_static_selectorELNS0_4arch9wavefront6targetE0EEEvSY_: ; @_ZN7rocprim17ROCPRIM_400000_NS6detail17trampoline_kernelINS0_13select_configILj256ELj13ELNS0_17block_load_methodE3ELS4_3ELS4_3ELNS0_20block_scan_algorithmE0ELj4294967295EEENS1_25partition_config_selectorILNS1_17partition_subalgoE3EjNS0_10empty_typeEbEEZZNS1_14partition_implILS8_3ELb0ES6_jNS0_17counting_iteratorIjlEEPS9_SE_NS0_5tupleIJPjSE_EEENSF_IJSE_SE_EEES9_SG_JZNS1_25segmented_radix_sort_implINS0_14default_configELb1EPKbPbPKlPlN2at6native12_GLOBAL__N_18offset_tEEE10hipError_tPvRmT1_PNSt15iterator_traitsISY_E10value_typeET2_T3_PNSZ_IS14_E10value_typeET4_jRbjT5_S1A_jjP12ihipStream_tbEUljE_EEESV_SW_SX_S14_S18_S1A_T6_T7_T9_mT8_S1C_bDpT10_ENKUlT_T0_E_clISt17integral_constantIbLb0EES1P_EEDaS1K_S1L_EUlS1K_E_NS1_11comp_targetILNS1_3genE4ELNS1_11target_archE910ELNS1_3gpuE8ELNS1_3repE0EEENS1_30default_config_static_selectorELNS0_4arch9wavefront6targetE0EEEvSY_
; %bb.0:
	.section	.rodata,"a",@progbits
	.p2align	6, 0x0
	.amdhsa_kernel _ZN7rocprim17ROCPRIM_400000_NS6detail17trampoline_kernelINS0_13select_configILj256ELj13ELNS0_17block_load_methodE3ELS4_3ELS4_3ELNS0_20block_scan_algorithmE0ELj4294967295EEENS1_25partition_config_selectorILNS1_17partition_subalgoE3EjNS0_10empty_typeEbEEZZNS1_14partition_implILS8_3ELb0ES6_jNS0_17counting_iteratorIjlEEPS9_SE_NS0_5tupleIJPjSE_EEENSF_IJSE_SE_EEES9_SG_JZNS1_25segmented_radix_sort_implINS0_14default_configELb1EPKbPbPKlPlN2at6native12_GLOBAL__N_18offset_tEEE10hipError_tPvRmT1_PNSt15iterator_traitsISY_E10value_typeET2_T3_PNSZ_IS14_E10value_typeET4_jRbjT5_S1A_jjP12ihipStream_tbEUljE_EEESV_SW_SX_S14_S18_S1A_T6_T7_T9_mT8_S1C_bDpT10_ENKUlT_T0_E_clISt17integral_constantIbLb0EES1P_EEDaS1K_S1L_EUlS1K_E_NS1_11comp_targetILNS1_3genE4ELNS1_11target_archE910ELNS1_3gpuE8ELNS1_3repE0EEENS1_30default_config_static_selectorELNS0_4arch9wavefront6targetE0EEEvSY_
		.amdhsa_group_segment_fixed_size 0
		.amdhsa_private_segment_fixed_size 0
		.amdhsa_kernarg_size 144
		.amdhsa_user_sgpr_count 2
		.amdhsa_user_sgpr_dispatch_ptr 0
		.amdhsa_user_sgpr_queue_ptr 0
		.amdhsa_user_sgpr_kernarg_segment_ptr 1
		.amdhsa_user_sgpr_dispatch_id 0
		.amdhsa_user_sgpr_kernarg_preload_length 0
		.amdhsa_user_sgpr_kernarg_preload_offset 0
		.amdhsa_user_sgpr_private_segment_size 0
		.amdhsa_wavefront_size32 1
		.amdhsa_uses_dynamic_stack 0
		.amdhsa_enable_private_segment 0
		.amdhsa_system_sgpr_workgroup_id_x 1
		.amdhsa_system_sgpr_workgroup_id_y 0
		.amdhsa_system_sgpr_workgroup_id_z 0
		.amdhsa_system_sgpr_workgroup_info 0
		.amdhsa_system_vgpr_workitem_id 0
		.amdhsa_next_free_vgpr 1
		.amdhsa_next_free_sgpr 1
		.amdhsa_named_barrier_count 0
		.amdhsa_reserve_vcc 0
		.amdhsa_float_round_mode_32 0
		.amdhsa_float_round_mode_16_64 0
		.amdhsa_float_denorm_mode_32 3
		.amdhsa_float_denorm_mode_16_64 3
		.amdhsa_fp16_overflow 0
		.amdhsa_memory_ordered 1
		.amdhsa_forward_progress 1
		.amdhsa_inst_pref_size 0
		.amdhsa_round_robin_scheduling 0
		.amdhsa_exception_fp_ieee_invalid_op 0
		.amdhsa_exception_fp_denorm_src 0
		.amdhsa_exception_fp_ieee_div_zero 0
		.amdhsa_exception_fp_ieee_overflow 0
		.amdhsa_exception_fp_ieee_underflow 0
		.amdhsa_exception_fp_ieee_inexact 0
		.amdhsa_exception_int_div_zero 0
	.end_amdhsa_kernel
	.section	.text._ZN7rocprim17ROCPRIM_400000_NS6detail17trampoline_kernelINS0_13select_configILj256ELj13ELNS0_17block_load_methodE3ELS4_3ELS4_3ELNS0_20block_scan_algorithmE0ELj4294967295EEENS1_25partition_config_selectorILNS1_17partition_subalgoE3EjNS0_10empty_typeEbEEZZNS1_14partition_implILS8_3ELb0ES6_jNS0_17counting_iteratorIjlEEPS9_SE_NS0_5tupleIJPjSE_EEENSF_IJSE_SE_EEES9_SG_JZNS1_25segmented_radix_sort_implINS0_14default_configELb1EPKbPbPKlPlN2at6native12_GLOBAL__N_18offset_tEEE10hipError_tPvRmT1_PNSt15iterator_traitsISY_E10value_typeET2_T3_PNSZ_IS14_E10value_typeET4_jRbjT5_S1A_jjP12ihipStream_tbEUljE_EEESV_SW_SX_S14_S18_S1A_T6_T7_T9_mT8_S1C_bDpT10_ENKUlT_T0_E_clISt17integral_constantIbLb0EES1P_EEDaS1K_S1L_EUlS1K_E_NS1_11comp_targetILNS1_3genE4ELNS1_11target_archE910ELNS1_3gpuE8ELNS1_3repE0EEENS1_30default_config_static_selectorELNS0_4arch9wavefront6targetE0EEEvSY_,"axG",@progbits,_ZN7rocprim17ROCPRIM_400000_NS6detail17trampoline_kernelINS0_13select_configILj256ELj13ELNS0_17block_load_methodE3ELS4_3ELS4_3ELNS0_20block_scan_algorithmE0ELj4294967295EEENS1_25partition_config_selectorILNS1_17partition_subalgoE3EjNS0_10empty_typeEbEEZZNS1_14partition_implILS8_3ELb0ES6_jNS0_17counting_iteratorIjlEEPS9_SE_NS0_5tupleIJPjSE_EEENSF_IJSE_SE_EEES9_SG_JZNS1_25segmented_radix_sort_implINS0_14default_configELb1EPKbPbPKlPlN2at6native12_GLOBAL__N_18offset_tEEE10hipError_tPvRmT1_PNSt15iterator_traitsISY_E10value_typeET2_T3_PNSZ_IS14_E10value_typeET4_jRbjT5_S1A_jjP12ihipStream_tbEUljE_EEESV_SW_SX_S14_S18_S1A_T6_T7_T9_mT8_S1C_bDpT10_ENKUlT_T0_E_clISt17integral_constantIbLb0EES1P_EEDaS1K_S1L_EUlS1K_E_NS1_11comp_targetILNS1_3genE4ELNS1_11target_archE910ELNS1_3gpuE8ELNS1_3repE0EEENS1_30default_config_static_selectorELNS0_4arch9wavefront6targetE0EEEvSY_,comdat
.Lfunc_end1494:
	.size	_ZN7rocprim17ROCPRIM_400000_NS6detail17trampoline_kernelINS0_13select_configILj256ELj13ELNS0_17block_load_methodE3ELS4_3ELS4_3ELNS0_20block_scan_algorithmE0ELj4294967295EEENS1_25partition_config_selectorILNS1_17partition_subalgoE3EjNS0_10empty_typeEbEEZZNS1_14partition_implILS8_3ELb0ES6_jNS0_17counting_iteratorIjlEEPS9_SE_NS0_5tupleIJPjSE_EEENSF_IJSE_SE_EEES9_SG_JZNS1_25segmented_radix_sort_implINS0_14default_configELb1EPKbPbPKlPlN2at6native12_GLOBAL__N_18offset_tEEE10hipError_tPvRmT1_PNSt15iterator_traitsISY_E10value_typeET2_T3_PNSZ_IS14_E10value_typeET4_jRbjT5_S1A_jjP12ihipStream_tbEUljE_EEESV_SW_SX_S14_S18_S1A_T6_T7_T9_mT8_S1C_bDpT10_ENKUlT_T0_E_clISt17integral_constantIbLb0EES1P_EEDaS1K_S1L_EUlS1K_E_NS1_11comp_targetILNS1_3genE4ELNS1_11target_archE910ELNS1_3gpuE8ELNS1_3repE0EEENS1_30default_config_static_selectorELNS0_4arch9wavefront6targetE0EEEvSY_, .Lfunc_end1494-_ZN7rocprim17ROCPRIM_400000_NS6detail17trampoline_kernelINS0_13select_configILj256ELj13ELNS0_17block_load_methodE3ELS4_3ELS4_3ELNS0_20block_scan_algorithmE0ELj4294967295EEENS1_25partition_config_selectorILNS1_17partition_subalgoE3EjNS0_10empty_typeEbEEZZNS1_14partition_implILS8_3ELb0ES6_jNS0_17counting_iteratorIjlEEPS9_SE_NS0_5tupleIJPjSE_EEENSF_IJSE_SE_EEES9_SG_JZNS1_25segmented_radix_sort_implINS0_14default_configELb1EPKbPbPKlPlN2at6native12_GLOBAL__N_18offset_tEEE10hipError_tPvRmT1_PNSt15iterator_traitsISY_E10value_typeET2_T3_PNSZ_IS14_E10value_typeET4_jRbjT5_S1A_jjP12ihipStream_tbEUljE_EEESV_SW_SX_S14_S18_S1A_T6_T7_T9_mT8_S1C_bDpT10_ENKUlT_T0_E_clISt17integral_constantIbLb0EES1P_EEDaS1K_S1L_EUlS1K_E_NS1_11comp_targetILNS1_3genE4ELNS1_11target_archE910ELNS1_3gpuE8ELNS1_3repE0EEENS1_30default_config_static_selectorELNS0_4arch9wavefront6targetE0EEEvSY_
                                        ; -- End function
	.set _ZN7rocprim17ROCPRIM_400000_NS6detail17trampoline_kernelINS0_13select_configILj256ELj13ELNS0_17block_load_methodE3ELS4_3ELS4_3ELNS0_20block_scan_algorithmE0ELj4294967295EEENS1_25partition_config_selectorILNS1_17partition_subalgoE3EjNS0_10empty_typeEbEEZZNS1_14partition_implILS8_3ELb0ES6_jNS0_17counting_iteratorIjlEEPS9_SE_NS0_5tupleIJPjSE_EEENSF_IJSE_SE_EEES9_SG_JZNS1_25segmented_radix_sort_implINS0_14default_configELb1EPKbPbPKlPlN2at6native12_GLOBAL__N_18offset_tEEE10hipError_tPvRmT1_PNSt15iterator_traitsISY_E10value_typeET2_T3_PNSZ_IS14_E10value_typeET4_jRbjT5_S1A_jjP12ihipStream_tbEUljE_EEESV_SW_SX_S14_S18_S1A_T6_T7_T9_mT8_S1C_bDpT10_ENKUlT_T0_E_clISt17integral_constantIbLb0EES1P_EEDaS1K_S1L_EUlS1K_E_NS1_11comp_targetILNS1_3genE4ELNS1_11target_archE910ELNS1_3gpuE8ELNS1_3repE0EEENS1_30default_config_static_selectorELNS0_4arch9wavefront6targetE0EEEvSY_.num_vgpr, 0
	.set _ZN7rocprim17ROCPRIM_400000_NS6detail17trampoline_kernelINS0_13select_configILj256ELj13ELNS0_17block_load_methodE3ELS4_3ELS4_3ELNS0_20block_scan_algorithmE0ELj4294967295EEENS1_25partition_config_selectorILNS1_17partition_subalgoE3EjNS0_10empty_typeEbEEZZNS1_14partition_implILS8_3ELb0ES6_jNS0_17counting_iteratorIjlEEPS9_SE_NS0_5tupleIJPjSE_EEENSF_IJSE_SE_EEES9_SG_JZNS1_25segmented_radix_sort_implINS0_14default_configELb1EPKbPbPKlPlN2at6native12_GLOBAL__N_18offset_tEEE10hipError_tPvRmT1_PNSt15iterator_traitsISY_E10value_typeET2_T3_PNSZ_IS14_E10value_typeET4_jRbjT5_S1A_jjP12ihipStream_tbEUljE_EEESV_SW_SX_S14_S18_S1A_T6_T7_T9_mT8_S1C_bDpT10_ENKUlT_T0_E_clISt17integral_constantIbLb0EES1P_EEDaS1K_S1L_EUlS1K_E_NS1_11comp_targetILNS1_3genE4ELNS1_11target_archE910ELNS1_3gpuE8ELNS1_3repE0EEENS1_30default_config_static_selectorELNS0_4arch9wavefront6targetE0EEEvSY_.num_agpr, 0
	.set _ZN7rocprim17ROCPRIM_400000_NS6detail17trampoline_kernelINS0_13select_configILj256ELj13ELNS0_17block_load_methodE3ELS4_3ELS4_3ELNS0_20block_scan_algorithmE0ELj4294967295EEENS1_25partition_config_selectorILNS1_17partition_subalgoE3EjNS0_10empty_typeEbEEZZNS1_14partition_implILS8_3ELb0ES6_jNS0_17counting_iteratorIjlEEPS9_SE_NS0_5tupleIJPjSE_EEENSF_IJSE_SE_EEES9_SG_JZNS1_25segmented_radix_sort_implINS0_14default_configELb1EPKbPbPKlPlN2at6native12_GLOBAL__N_18offset_tEEE10hipError_tPvRmT1_PNSt15iterator_traitsISY_E10value_typeET2_T3_PNSZ_IS14_E10value_typeET4_jRbjT5_S1A_jjP12ihipStream_tbEUljE_EEESV_SW_SX_S14_S18_S1A_T6_T7_T9_mT8_S1C_bDpT10_ENKUlT_T0_E_clISt17integral_constantIbLb0EES1P_EEDaS1K_S1L_EUlS1K_E_NS1_11comp_targetILNS1_3genE4ELNS1_11target_archE910ELNS1_3gpuE8ELNS1_3repE0EEENS1_30default_config_static_selectorELNS0_4arch9wavefront6targetE0EEEvSY_.numbered_sgpr, 0
	.set _ZN7rocprim17ROCPRIM_400000_NS6detail17trampoline_kernelINS0_13select_configILj256ELj13ELNS0_17block_load_methodE3ELS4_3ELS4_3ELNS0_20block_scan_algorithmE0ELj4294967295EEENS1_25partition_config_selectorILNS1_17partition_subalgoE3EjNS0_10empty_typeEbEEZZNS1_14partition_implILS8_3ELb0ES6_jNS0_17counting_iteratorIjlEEPS9_SE_NS0_5tupleIJPjSE_EEENSF_IJSE_SE_EEES9_SG_JZNS1_25segmented_radix_sort_implINS0_14default_configELb1EPKbPbPKlPlN2at6native12_GLOBAL__N_18offset_tEEE10hipError_tPvRmT1_PNSt15iterator_traitsISY_E10value_typeET2_T3_PNSZ_IS14_E10value_typeET4_jRbjT5_S1A_jjP12ihipStream_tbEUljE_EEESV_SW_SX_S14_S18_S1A_T6_T7_T9_mT8_S1C_bDpT10_ENKUlT_T0_E_clISt17integral_constantIbLb0EES1P_EEDaS1K_S1L_EUlS1K_E_NS1_11comp_targetILNS1_3genE4ELNS1_11target_archE910ELNS1_3gpuE8ELNS1_3repE0EEENS1_30default_config_static_selectorELNS0_4arch9wavefront6targetE0EEEvSY_.num_named_barrier, 0
	.set _ZN7rocprim17ROCPRIM_400000_NS6detail17trampoline_kernelINS0_13select_configILj256ELj13ELNS0_17block_load_methodE3ELS4_3ELS4_3ELNS0_20block_scan_algorithmE0ELj4294967295EEENS1_25partition_config_selectorILNS1_17partition_subalgoE3EjNS0_10empty_typeEbEEZZNS1_14partition_implILS8_3ELb0ES6_jNS0_17counting_iteratorIjlEEPS9_SE_NS0_5tupleIJPjSE_EEENSF_IJSE_SE_EEES9_SG_JZNS1_25segmented_radix_sort_implINS0_14default_configELb1EPKbPbPKlPlN2at6native12_GLOBAL__N_18offset_tEEE10hipError_tPvRmT1_PNSt15iterator_traitsISY_E10value_typeET2_T3_PNSZ_IS14_E10value_typeET4_jRbjT5_S1A_jjP12ihipStream_tbEUljE_EEESV_SW_SX_S14_S18_S1A_T6_T7_T9_mT8_S1C_bDpT10_ENKUlT_T0_E_clISt17integral_constantIbLb0EES1P_EEDaS1K_S1L_EUlS1K_E_NS1_11comp_targetILNS1_3genE4ELNS1_11target_archE910ELNS1_3gpuE8ELNS1_3repE0EEENS1_30default_config_static_selectorELNS0_4arch9wavefront6targetE0EEEvSY_.private_seg_size, 0
	.set _ZN7rocprim17ROCPRIM_400000_NS6detail17trampoline_kernelINS0_13select_configILj256ELj13ELNS0_17block_load_methodE3ELS4_3ELS4_3ELNS0_20block_scan_algorithmE0ELj4294967295EEENS1_25partition_config_selectorILNS1_17partition_subalgoE3EjNS0_10empty_typeEbEEZZNS1_14partition_implILS8_3ELb0ES6_jNS0_17counting_iteratorIjlEEPS9_SE_NS0_5tupleIJPjSE_EEENSF_IJSE_SE_EEES9_SG_JZNS1_25segmented_radix_sort_implINS0_14default_configELb1EPKbPbPKlPlN2at6native12_GLOBAL__N_18offset_tEEE10hipError_tPvRmT1_PNSt15iterator_traitsISY_E10value_typeET2_T3_PNSZ_IS14_E10value_typeET4_jRbjT5_S1A_jjP12ihipStream_tbEUljE_EEESV_SW_SX_S14_S18_S1A_T6_T7_T9_mT8_S1C_bDpT10_ENKUlT_T0_E_clISt17integral_constantIbLb0EES1P_EEDaS1K_S1L_EUlS1K_E_NS1_11comp_targetILNS1_3genE4ELNS1_11target_archE910ELNS1_3gpuE8ELNS1_3repE0EEENS1_30default_config_static_selectorELNS0_4arch9wavefront6targetE0EEEvSY_.uses_vcc, 0
	.set _ZN7rocprim17ROCPRIM_400000_NS6detail17trampoline_kernelINS0_13select_configILj256ELj13ELNS0_17block_load_methodE3ELS4_3ELS4_3ELNS0_20block_scan_algorithmE0ELj4294967295EEENS1_25partition_config_selectorILNS1_17partition_subalgoE3EjNS0_10empty_typeEbEEZZNS1_14partition_implILS8_3ELb0ES6_jNS0_17counting_iteratorIjlEEPS9_SE_NS0_5tupleIJPjSE_EEENSF_IJSE_SE_EEES9_SG_JZNS1_25segmented_radix_sort_implINS0_14default_configELb1EPKbPbPKlPlN2at6native12_GLOBAL__N_18offset_tEEE10hipError_tPvRmT1_PNSt15iterator_traitsISY_E10value_typeET2_T3_PNSZ_IS14_E10value_typeET4_jRbjT5_S1A_jjP12ihipStream_tbEUljE_EEESV_SW_SX_S14_S18_S1A_T6_T7_T9_mT8_S1C_bDpT10_ENKUlT_T0_E_clISt17integral_constantIbLb0EES1P_EEDaS1K_S1L_EUlS1K_E_NS1_11comp_targetILNS1_3genE4ELNS1_11target_archE910ELNS1_3gpuE8ELNS1_3repE0EEENS1_30default_config_static_selectorELNS0_4arch9wavefront6targetE0EEEvSY_.uses_flat_scratch, 0
	.set _ZN7rocprim17ROCPRIM_400000_NS6detail17trampoline_kernelINS0_13select_configILj256ELj13ELNS0_17block_load_methodE3ELS4_3ELS4_3ELNS0_20block_scan_algorithmE0ELj4294967295EEENS1_25partition_config_selectorILNS1_17partition_subalgoE3EjNS0_10empty_typeEbEEZZNS1_14partition_implILS8_3ELb0ES6_jNS0_17counting_iteratorIjlEEPS9_SE_NS0_5tupleIJPjSE_EEENSF_IJSE_SE_EEES9_SG_JZNS1_25segmented_radix_sort_implINS0_14default_configELb1EPKbPbPKlPlN2at6native12_GLOBAL__N_18offset_tEEE10hipError_tPvRmT1_PNSt15iterator_traitsISY_E10value_typeET2_T3_PNSZ_IS14_E10value_typeET4_jRbjT5_S1A_jjP12ihipStream_tbEUljE_EEESV_SW_SX_S14_S18_S1A_T6_T7_T9_mT8_S1C_bDpT10_ENKUlT_T0_E_clISt17integral_constantIbLb0EES1P_EEDaS1K_S1L_EUlS1K_E_NS1_11comp_targetILNS1_3genE4ELNS1_11target_archE910ELNS1_3gpuE8ELNS1_3repE0EEENS1_30default_config_static_selectorELNS0_4arch9wavefront6targetE0EEEvSY_.has_dyn_sized_stack, 0
	.set _ZN7rocprim17ROCPRIM_400000_NS6detail17trampoline_kernelINS0_13select_configILj256ELj13ELNS0_17block_load_methodE3ELS4_3ELS4_3ELNS0_20block_scan_algorithmE0ELj4294967295EEENS1_25partition_config_selectorILNS1_17partition_subalgoE3EjNS0_10empty_typeEbEEZZNS1_14partition_implILS8_3ELb0ES6_jNS0_17counting_iteratorIjlEEPS9_SE_NS0_5tupleIJPjSE_EEENSF_IJSE_SE_EEES9_SG_JZNS1_25segmented_radix_sort_implINS0_14default_configELb1EPKbPbPKlPlN2at6native12_GLOBAL__N_18offset_tEEE10hipError_tPvRmT1_PNSt15iterator_traitsISY_E10value_typeET2_T3_PNSZ_IS14_E10value_typeET4_jRbjT5_S1A_jjP12ihipStream_tbEUljE_EEESV_SW_SX_S14_S18_S1A_T6_T7_T9_mT8_S1C_bDpT10_ENKUlT_T0_E_clISt17integral_constantIbLb0EES1P_EEDaS1K_S1L_EUlS1K_E_NS1_11comp_targetILNS1_3genE4ELNS1_11target_archE910ELNS1_3gpuE8ELNS1_3repE0EEENS1_30default_config_static_selectorELNS0_4arch9wavefront6targetE0EEEvSY_.has_recursion, 0
	.set _ZN7rocprim17ROCPRIM_400000_NS6detail17trampoline_kernelINS0_13select_configILj256ELj13ELNS0_17block_load_methodE3ELS4_3ELS4_3ELNS0_20block_scan_algorithmE0ELj4294967295EEENS1_25partition_config_selectorILNS1_17partition_subalgoE3EjNS0_10empty_typeEbEEZZNS1_14partition_implILS8_3ELb0ES6_jNS0_17counting_iteratorIjlEEPS9_SE_NS0_5tupleIJPjSE_EEENSF_IJSE_SE_EEES9_SG_JZNS1_25segmented_radix_sort_implINS0_14default_configELb1EPKbPbPKlPlN2at6native12_GLOBAL__N_18offset_tEEE10hipError_tPvRmT1_PNSt15iterator_traitsISY_E10value_typeET2_T3_PNSZ_IS14_E10value_typeET4_jRbjT5_S1A_jjP12ihipStream_tbEUljE_EEESV_SW_SX_S14_S18_S1A_T6_T7_T9_mT8_S1C_bDpT10_ENKUlT_T0_E_clISt17integral_constantIbLb0EES1P_EEDaS1K_S1L_EUlS1K_E_NS1_11comp_targetILNS1_3genE4ELNS1_11target_archE910ELNS1_3gpuE8ELNS1_3repE0EEENS1_30default_config_static_selectorELNS0_4arch9wavefront6targetE0EEEvSY_.has_indirect_call, 0
	.section	.AMDGPU.csdata,"",@progbits
; Kernel info:
; codeLenInByte = 0
; TotalNumSgprs: 0
; NumVgprs: 0
; ScratchSize: 0
; MemoryBound: 0
; FloatMode: 240
; IeeeMode: 1
; LDSByteSize: 0 bytes/workgroup (compile time only)
; SGPRBlocks: 0
; VGPRBlocks: 0
; NumSGPRsForWavesPerEU: 1
; NumVGPRsForWavesPerEU: 1
; NamedBarCnt: 0
; Occupancy: 16
; WaveLimiterHint : 0
; COMPUTE_PGM_RSRC2:SCRATCH_EN: 0
; COMPUTE_PGM_RSRC2:USER_SGPR: 2
; COMPUTE_PGM_RSRC2:TRAP_HANDLER: 0
; COMPUTE_PGM_RSRC2:TGID_X_EN: 1
; COMPUTE_PGM_RSRC2:TGID_Y_EN: 0
; COMPUTE_PGM_RSRC2:TGID_Z_EN: 0
; COMPUTE_PGM_RSRC2:TIDIG_COMP_CNT: 0
	.section	.text._ZN7rocprim17ROCPRIM_400000_NS6detail17trampoline_kernelINS0_13select_configILj256ELj13ELNS0_17block_load_methodE3ELS4_3ELS4_3ELNS0_20block_scan_algorithmE0ELj4294967295EEENS1_25partition_config_selectorILNS1_17partition_subalgoE3EjNS0_10empty_typeEbEEZZNS1_14partition_implILS8_3ELb0ES6_jNS0_17counting_iteratorIjlEEPS9_SE_NS0_5tupleIJPjSE_EEENSF_IJSE_SE_EEES9_SG_JZNS1_25segmented_radix_sort_implINS0_14default_configELb1EPKbPbPKlPlN2at6native12_GLOBAL__N_18offset_tEEE10hipError_tPvRmT1_PNSt15iterator_traitsISY_E10value_typeET2_T3_PNSZ_IS14_E10value_typeET4_jRbjT5_S1A_jjP12ihipStream_tbEUljE_EEESV_SW_SX_S14_S18_S1A_T6_T7_T9_mT8_S1C_bDpT10_ENKUlT_T0_E_clISt17integral_constantIbLb0EES1P_EEDaS1K_S1L_EUlS1K_E_NS1_11comp_targetILNS1_3genE3ELNS1_11target_archE908ELNS1_3gpuE7ELNS1_3repE0EEENS1_30default_config_static_selectorELNS0_4arch9wavefront6targetE0EEEvSY_,"axG",@progbits,_ZN7rocprim17ROCPRIM_400000_NS6detail17trampoline_kernelINS0_13select_configILj256ELj13ELNS0_17block_load_methodE3ELS4_3ELS4_3ELNS0_20block_scan_algorithmE0ELj4294967295EEENS1_25partition_config_selectorILNS1_17partition_subalgoE3EjNS0_10empty_typeEbEEZZNS1_14partition_implILS8_3ELb0ES6_jNS0_17counting_iteratorIjlEEPS9_SE_NS0_5tupleIJPjSE_EEENSF_IJSE_SE_EEES9_SG_JZNS1_25segmented_radix_sort_implINS0_14default_configELb1EPKbPbPKlPlN2at6native12_GLOBAL__N_18offset_tEEE10hipError_tPvRmT1_PNSt15iterator_traitsISY_E10value_typeET2_T3_PNSZ_IS14_E10value_typeET4_jRbjT5_S1A_jjP12ihipStream_tbEUljE_EEESV_SW_SX_S14_S18_S1A_T6_T7_T9_mT8_S1C_bDpT10_ENKUlT_T0_E_clISt17integral_constantIbLb0EES1P_EEDaS1K_S1L_EUlS1K_E_NS1_11comp_targetILNS1_3genE3ELNS1_11target_archE908ELNS1_3gpuE7ELNS1_3repE0EEENS1_30default_config_static_selectorELNS0_4arch9wavefront6targetE0EEEvSY_,comdat
	.globl	_ZN7rocprim17ROCPRIM_400000_NS6detail17trampoline_kernelINS0_13select_configILj256ELj13ELNS0_17block_load_methodE3ELS4_3ELS4_3ELNS0_20block_scan_algorithmE0ELj4294967295EEENS1_25partition_config_selectorILNS1_17partition_subalgoE3EjNS0_10empty_typeEbEEZZNS1_14partition_implILS8_3ELb0ES6_jNS0_17counting_iteratorIjlEEPS9_SE_NS0_5tupleIJPjSE_EEENSF_IJSE_SE_EEES9_SG_JZNS1_25segmented_radix_sort_implINS0_14default_configELb1EPKbPbPKlPlN2at6native12_GLOBAL__N_18offset_tEEE10hipError_tPvRmT1_PNSt15iterator_traitsISY_E10value_typeET2_T3_PNSZ_IS14_E10value_typeET4_jRbjT5_S1A_jjP12ihipStream_tbEUljE_EEESV_SW_SX_S14_S18_S1A_T6_T7_T9_mT8_S1C_bDpT10_ENKUlT_T0_E_clISt17integral_constantIbLb0EES1P_EEDaS1K_S1L_EUlS1K_E_NS1_11comp_targetILNS1_3genE3ELNS1_11target_archE908ELNS1_3gpuE7ELNS1_3repE0EEENS1_30default_config_static_selectorELNS0_4arch9wavefront6targetE0EEEvSY_ ; -- Begin function _ZN7rocprim17ROCPRIM_400000_NS6detail17trampoline_kernelINS0_13select_configILj256ELj13ELNS0_17block_load_methodE3ELS4_3ELS4_3ELNS0_20block_scan_algorithmE0ELj4294967295EEENS1_25partition_config_selectorILNS1_17partition_subalgoE3EjNS0_10empty_typeEbEEZZNS1_14partition_implILS8_3ELb0ES6_jNS0_17counting_iteratorIjlEEPS9_SE_NS0_5tupleIJPjSE_EEENSF_IJSE_SE_EEES9_SG_JZNS1_25segmented_radix_sort_implINS0_14default_configELb1EPKbPbPKlPlN2at6native12_GLOBAL__N_18offset_tEEE10hipError_tPvRmT1_PNSt15iterator_traitsISY_E10value_typeET2_T3_PNSZ_IS14_E10value_typeET4_jRbjT5_S1A_jjP12ihipStream_tbEUljE_EEESV_SW_SX_S14_S18_S1A_T6_T7_T9_mT8_S1C_bDpT10_ENKUlT_T0_E_clISt17integral_constantIbLb0EES1P_EEDaS1K_S1L_EUlS1K_E_NS1_11comp_targetILNS1_3genE3ELNS1_11target_archE908ELNS1_3gpuE7ELNS1_3repE0EEENS1_30default_config_static_selectorELNS0_4arch9wavefront6targetE0EEEvSY_
	.p2align	8
	.type	_ZN7rocprim17ROCPRIM_400000_NS6detail17trampoline_kernelINS0_13select_configILj256ELj13ELNS0_17block_load_methodE3ELS4_3ELS4_3ELNS0_20block_scan_algorithmE0ELj4294967295EEENS1_25partition_config_selectorILNS1_17partition_subalgoE3EjNS0_10empty_typeEbEEZZNS1_14partition_implILS8_3ELb0ES6_jNS0_17counting_iteratorIjlEEPS9_SE_NS0_5tupleIJPjSE_EEENSF_IJSE_SE_EEES9_SG_JZNS1_25segmented_radix_sort_implINS0_14default_configELb1EPKbPbPKlPlN2at6native12_GLOBAL__N_18offset_tEEE10hipError_tPvRmT1_PNSt15iterator_traitsISY_E10value_typeET2_T3_PNSZ_IS14_E10value_typeET4_jRbjT5_S1A_jjP12ihipStream_tbEUljE_EEESV_SW_SX_S14_S18_S1A_T6_T7_T9_mT8_S1C_bDpT10_ENKUlT_T0_E_clISt17integral_constantIbLb0EES1P_EEDaS1K_S1L_EUlS1K_E_NS1_11comp_targetILNS1_3genE3ELNS1_11target_archE908ELNS1_3gpuE7ELNS1_3repE0EEENS1_30default_config_static_selectorELNS0_4arch9wavefront6targetE0EEEvSY_,@function
_ZN7rocprim17ROCPRIM_400000_NS6detail17trampoline_kernelINS0_13select_configILj256ELj13ELNS0_17block_load_methodE3ELS4_3ELS4_3ELNS0_20block_scan_algorithmE0ELj4294967295EEENS1_25partition_config_selectorILNS1_17partition_subalgoE3EjNS0_10empty_typeEbEEZZNS1_14partition_implILS8_3ELb0ES6_jNS0_17counting_iteratorIjlEEPS9_SE_NS0_5tupleIJPjSE_EEENSF_IJSE_SE_EEES9_SG_JZNS1_25segmented_radix_sort_implINS0_14default_configELb1EPKbPbPKlPlN2at6native12_GLOBAL__N_18offset_tEEE10hipError_tPvRmT1_PNSt15iterator_traitsISY_E10value_typeET2_T3_PNSZ_IS14_E10value_typeET4_jRbjT5_S1A_jjP12ihipStream_tbEUljE_EEESV_SW_SX_S14_S18_S1A_T6_T7_T9_mT8_S1C_bDpT10_ENKUlT_T0_E_clISt17integral_constantIbLb0EES1P_EEDaS1K_S1L_EUlS1K_E_NS1_11comp_targetILNS1_3genE3ELNS1_11target_archE908ELNS1_3gpuE7ELNS1_3repE0EEENS1_30default_config_static_selectorELNS0_4arch9wavefront6targetE0EEEvSY_: ; @_ZN7rocprim17ROCPRIM_400000_NS6detail17trampoline_kernelINS0_13select_configILj256ELj13ELNS0_17block_load_methodE3ELS4_3ELS4_3ELNS0_20block_scan_algorithmE0ELj4294967295EEENS1_25partition_config_selectorILNS1_17partition_subalgoE3EjNS0_10empty_typeEbEEZZNS1_14partition_implILS8_3ELb0ES6_jNS0_17counting_iteratorIjlEEPS9_SE_NS0_5tupleIJPjSE_EEENSF_IJSE_SE_EEES9_SG_JZNS1_25segmented_radix_sort_implINS0_14default_configELb1EPKbPbPKlPlN2at6native12_GLOBAL__N_18offset_tEEE10hipError_tPvRmT1_PNSt15iterator_traitsISY_E10value_typeET2_T3_PNSZ_IS14_E10value_typeET4_jRbjT5_S1A_jjP12ihipStream_tbEUljE_EEESV_SW_SX_S14_S18_S1A_T6_T7_T9_mT8_S1C_bDpT10_ENKUlT_T0_E_clISt17integral_constantIbLb0EES1P_EEDaS1K_S1L_EUlS1K_E_NS1_11comp_targetILNS1_3genE3ELNS1_11target_archE908ELNS1_3gpuE7ELNS1_3repE0EEENS1_30default_config_static_selectorELNS0_4arch9wavefront6targetE0EEEvSY_
; %bb.0:
	.section	.rodata,"a",@progbits
	.p2align	6, 0x0
	.amdhsa_kernel _ZN7rocprim17ROCPRIM_400000_NS6detail17trampoline_kernelINS0_13select_configILj256ELj13ELNS0_17block_load_methodE3ELS4_3ELS4_3ELNS0_20block_scan_algorithmE0ELj4294967295EEENS1_25partition_config_selectorILNS1_17partition_subalgoE3EjNS0_10empty_typeEbEEZZNS1_14partition_implILS8_3ELb0ES6_jNS0_17counting_iteratorIjlEEPS9_SE_NS0_5tupleIJPjSE_EEENSF_IJSE_SE_EEES9_SG_JZNS1_25segmented_radix_sort_implINS0_14default_configELb1EPKbPbPKlPlN2at6native12_GLOBAL__N_18offset_tEEE10hipError_tPvRmT1_PNSt15iterator_traitsISY_E10value_typeET2_T3_PNSZ_IS14_E10value_typeET4_jRbjT5_S1A_jjP12ihipStream_tbEUljE_EEESV_SW_SX_S14_S18_S1A_T6_T7_T9_mT8_S1C_bDpT10_ENKUlT_T0_E_clISt17integral_constantIbLb0EES1P_EEDaS1K_S1L_EUlS1K_E_NS1_11comp_targetILNS1_3genE3ELNS1_11target_archE908ELNS1_3gpuE7ELNS1_3repE0EEENS1_30default_config_static_selectorELNS0_4arch9wavefront6targetE0EEEvSY_
		.amdhsa_group_segment_fixed_size 0
		.amdhsa_private_segment_fixed_size 0
		.amdhsa_kernarg_size 144
		.amdhsa_user_sgpr_count 2
		.amdhsa_user_sgpr_dispatch_ptr 0
		.amdhsa_user_sgpr_queue_ptr 0
		.amdhsa_user_sgpr_kernarg_segment_ptr 1
		.amdhsa_user_sgpr_dispatch_id 0
		.amdhsa_user_sgpr_kernarg_preload_length 0
		.amdhsa_user_sgpr_kernarg_preload_offset 0
		.amdhsa_user_sgpr_private_segment_size 0
		.amdhsa_wavefront_size32 1
		.amdhsa_uses_dynamic_stack 0
		.amdhsa_enable_private_segment 0
		.amdhsa_system_sgpr_workgroup_id_x 1
		.amdhsa_system_sgpr_workgroup_id_y 0
		.amdhsa_system_sgpr_workgroup_id_z 0
		.amdhsa_system_sgpr_workgroup_info 0
		.amdhsa_system_vgpr_workitem_id 0
		.amdhsa_next_free_vgpr 1
		.amdhsa_next_free_sgpr 1
		.amdhsa_named_barrier_count 0
		.amdhsa_reserve_vcc 0
		.amdhsa_float_round_mode_32 0
		.amdhsa_float_round_mode_16_64 0
		.amdhsa_float_denorm_mode_32 3
		.amdhsa_float_denorm_mode_16_64 3
		.amdhsa_fp16_overflow 0
		.amdhsa_memory_ordered 1
		.amdhsa_forward_progress 1
		.amdhsa_inst_pref_size 0
		.amdhsa_round_robin_scheduling 0
		.amdhsa_exception_fp_ieee_invalid_op 0
		.amdhsa_exception_fp_denorm_src 0
		.amdhsa_exception_fp_ieee_div_zero 0
		.amdhsa_exception_fp_ieee_overflow 0
		.amdhsa_exception_fp_ieee_underflow 0
		.amdhsa_exception_fp_ieee_inexact 0
		.amdhsa_exception_int_div_zero 0
	.end_amdhsa_kernel
	.section	.text._ZN7rocprim17ROCPRIM_400000_NS6detail17trampoline_kernelINS0_13select_configILj256ELj13ELNS0_17block_load_methodE3ELS4_3ELS4_3ELNS0_20block_scan_algorithmE0ELj4294967295EEENS1_25partition_config_selectorILNS1_17partition_subalgoE3EjNS0_10empty_typeEbEEZZNS1_14partition_implILS8_3ELb0ES6_jNS0_17counting_iteratorIjlEEPS9_SE_NS0_5tupleIJPjSE_EEENSF_IJSE_SE_EEES9_SG_JZNS1_25segmented_radix_sort_implINS0_14default_configELb1EPKbPbPKlPlN2at6native12_GLOBAL__N_18offset_tEEE10hipError_tPvRmT1_PNSt15iterator_traitsISY_E10value_typeET2_T3_PNSZ_IS14_E10value_typeET4_jRbjT5_S1A_jjP12ihipStream_tbEUljE_EEESV_SW_SX_S14_S18_S1A_T6_T7_T9_mT8_S1C_bDpT10_ENKUlT_T0_E_clISt17integral_constantIbLb0EES1P_EEDaS1K_S1L_EUlS1K_E_NS1_11comp_targetILNS1_3genE3ELNS1_11target_archE908ELNS1_3gpuE7ELNS1_3repE0EEENS1_30default_config_static_selectorELNS0_4arch9wavefront6targetE0EEEvSY_,"axG",@progbits,_ZN7rocprim17ROCPRIM_400000_NS6detail17trampoline_kernelINS0_13select_configILj256ELj13ELNS0_17block_load_methodE3ELS4_3ELS4_3ELNS0_20block_scan_algorithmE0ELj4294967295EEENS1_25partition_config_selectorILNS1_17partition_subalgoE3EjNS0_10empty_typeEbEEZZNS1_14partition_implILS8_3ELb0ES6_jNS0_17counting_iteratorIjlEEPS9_SE_NS0_5tupleIJPjSE_EEENSF_IJSE_SE_EEES9_SG_JZNS1_25segmented_radix_sort_implINS0_14default_configELb1EPKbPbPKlPlN2at6native12_GLOBAL__N_18offset_tEEE10hipError_tPvRmT1_PNSt15iterator_traitsISY_E10value_typeET2_T3_PNSZ_IS14_E10value_typeET4_jRbjT5_S1A_jjP12ihipStream_tbEUljE_EEESV_SW_SX_S14_S18_S1A_T6_T7_T9_mT8_S1C_bDpT10_ENKUlT_T0_E_clISt17integral_constantIbLb0EES1P_EEDaS1K_S1L_EUlS1K_E_NS1_11comp_targetILNS1_3genE3ELNS1_11target_archE908ELNS1_3gpuE7ELNS1_3repE0EEENS1_30default_config_static_selectorELNS0_4arch9wavefront6targetE0EEEvSY_,comdat
.Lfunc_end1495:
	.size	_ZN7rocprim17ROCPRIM_400000_NS6detail17trampoline_kernelINS0_13select_configILj256ELj13ELNS0_17block_load_methodE3ELS4_3ELS4_3ELNS0_20block_scan_algorithmE0ELj4294967295EEENS1_25partition_config_selectorILNS1_17partition_subalgoE3EjNS0_10empty_typeEbEEZZNS1_14partition_implILS8_3ELb0ES6_jNS0_17counting_iteratorIjlEEPS9_SE_NS0_5tupleIJPjSE_EEENSF_IJSE_SE_EEES9_SG_JZNS1_25segmented_radix_sort_implINS0_14default_configELb1EPKbPbPKlPlN2at6native12_GLOBAL__N_18offset_tEEE10hipError_tPvRmT1_PNSt15iterator_traitsISY_E10value_typeET2_T3_PNSZ_IS14_E10value_typeET4_jRbjT5_S1A_jjP12ihipStream_tbEUljE_EEESV_SW_SX_S14_S18_S1A_T6_T7_T9_mT8_S1C_bDpT10_ENKUlT_T0_E_clISt17integral_constantIbLb0EES1P_EEDaS1K_S1L_EUlS1K_E_NS1_11comp_targetILNS1_3genE3ELNS1_11target_archE908ELNS1_3gpuE7ELNS1_3repE0EEENS1_30default_config_static_selectorELNS0_4arch9wavefront6targetE0EEEvSY_, .Lfunc_end1495-_ZN7rocprim17ROCPRIM_400000_NS6detail17trampoline_kernelINS0_13select_configILj256ELj13ELNS0_17block_load_methodE3ELS4_3ELS4_3ELNS0_20block_scan_algorithmE0ELj4294967295EEENS1_25partition_config_selectorILNS1_17partition_subalgoE3EjNS0_10empty_typeEbEEZZNS1_14partition_implILS8_3ELb0ES6_jNS0_17counting_iteratorIjlEEPS9_SE_NS0_5tupleIJPjSE_EEENSF_IJSE_SE_EEES9_SG_JZNS1_25segmented_radix_sort_implINS0_14default_configELb1EPKbPbPKlPlN2at6native12_GLOBAL__N_18offset_tEEE10hipError_tPvRmT1_PNSt15iterator_traitsISY_E10value_typeET2_T3_PNSZ_IS14_E10value_typeET4_jRbjT5_S1A_jjP12ihipStream_tbEUljE_EEESV_SW_SX_S14_S18_S1A_T6_T7_T9_mT8_S1C_bDpT10_ENKUlT_T0_E_clISt17integral_constantIbLb0EES1P_EEDaS1K_S1L_EUlS1K_E_NS1_11comp_targetILNS1_3genE3ELNS1_11target_archE908ELNS1_3gpuE7ELNS1_3repE0EEENS1_30default_config_static_selectorELNS0_4arch9wavefront6targetE0EEEvSY_
                                        ; -- End function
	.set _ZN7rocprim17ROCPRIM_400000_NS6detail17trampoline_kernelINS0_13select_configILj256ELj13ELNS0_17block_load_methodE3ELS4_3ELS4_3ELNS0_20block_scan_algorithmE0ELj4294967295EEENS1_25partition_config_selectorILNS1_17partition_subalgoE3EjNS0_10empty_typeEbEEZZNS1_14partition_implILS8_3ELb0ES6_jNS0_17counting_iteratorIjlEEPS9_SE_NS0_5tupleIJPjSE_EEENSF_IJSE_SE_EEES9_SG_JZNS1_25segmented_radix_sort_implINS0_14default_configELb1EPKbPbPKlPlN2at6native12_GLOBAL__N_18offset_tEEE10hipError_tPvRmT1_PNSt15iterator_traitsISY_E10value_typeET2_T3_PNSZ_IS14_E10value_typeET4_jRbjT5_S1A_jjP12ihipStream_tbEUljE_EEESV_SW_SX_S14_S18_S1A_T6_T7_T9_mT8_S1C_bDpT10_ENKUlT_T0_E_clISt17integral_constantIbLb0EES1P_EEDaS1K_S1L_EUlS1K_E_NS1_11comp_targetILNS1_3genE3ELNS1_11target_archE908ELNS1_3gpuE7ELNS1_3repE0EEENS1_30default_config_static_selectorELNS0_4arch9wavefront6targetE0EEEvSY_.num_vgpr, 0
	.set _ZN7rocprim17ROCPRIM_400000_NS6detail17trampoline_kernelINS0_13select_configILj256ELj13ELNS0_17block_load_methodE3ELS4_3ELS4_3ELNS0_20block_scan_algorithmE0ELj4294967295EEENS1_25partition_config_selectorILNS1_17partition_subalgoE3EjNS0_10empty_typeEbEEZZNS1_14partition_implILS8_3ELb0ES6_jNS0_17counting_iteratorIjlEEPS9_SE_NS0_5tupleIJPjSE_EEENSF_IJSE_SE_EEES9_SG_JZNS1_25segmented_radix_sort_implINS0_14default_configELb1EPKbPbPKlPlN2at6native12_GLOBAL__N_18offset_tEEE10hipError_tPvRmT1_PNSt15iterator_traitsISY_E10value_typeET2_T3_PNSZ_IS14_E10value_typeET4_jRbjT5_S1A_jjP12ihipStream_tbEUljE_EEESV_SW_SX_S14_S18_S1A_T6_T7_T9_mT8_S1C_bDpT10_ENKUlT_T0_E_clISt17integral_constantIbLb0EES1P_EEDaS1K_S1L_EUlS1K_E_NS1_11comp_targetILNS1_3genE3ELNS1_11target_archE908ELNS1_3gpuE7ELNS1_3repE0EEENS1_30default_config_static_selectorELNS0_4arch9wavefront6targetE0EEEvSY_.num_agpr, 0
	.set _ZN7rocprim17ROCPRIM_400000_NS6detail17trampoline_kernelINS0_13select_configILj256ELj13ELNS0_17block_load_methodE3ELS4_3ELS4_3ELNS0_20block_scan_algorithmE0ELj4294967295EEENS1_25partition_config_selectorILNS1_17partition_subalgoE3EjNS0_10empty_typeEbEEZZNS1_14partition_implILS8_3ELb0ES6_jNS0_17counting_iteratorIjlEEPS9_SE_NS0_5tupleIJPjSE_EEENSF_IJSE_SE_EEES9_SG_JZNS1_25segmented_radix_sort_implINS0_14default_configELb1EPKbPbPKlPlN2at6native12_GLOBAL__N_18offset_tEEE10hipError_tPvRmT1_PNSt15iterator_traitsISY_E10value_typeET2_T3_PNSZ_IS14_E10value_typeET4_jRbjT5_S1A_jjP12ihipStream_tbEUljE_EEESV_SW_SX_S14_S18_S1A_T6_T7_T9_mT8_S1C_bDpT10_ENKUlT_T0_E_clISt17integral_constantIbLb0EES1P_EEDaS1K_S1L_EUlS1K_E_NS1_11comp_targetILNS1_3genE3ELNS1_11target_archE908ELNS1_3gpuE7ELNS1_3repE0EEENS1_30default_config_static_selectorELNS0_4arch9wavefront6targetE0EEEvSY_.numbered_sgpr, 0
	.set _ZN7rocprim17ROCPRIM_400000_NS6detail17trampoline_kernelINS0_13select_configILj256ELj13ELNS0_17block_load_methodE3ELS4_3ELS4_3ELNS0_20block_scan_algorithmE0ELj4294967295EEENS1_25partition_config_selectorILNS1_17partition_subalgoE3EjNS0_10empty_typeEbEEZZNS1_14partition_implILS8_3ELb0ES6_jNS0_17counting_iteratorIjlEEPS9_SE_NS0_5tupleIJPjSE_EEENSF_IJSE_SE_EEES9_SG_JZNS1_25segmented_radix_sort_implINS0_14default_configELb1EPKbPbPKlPlN2at6native12_GLOBAL__N_18offset_tEEE10hipError_tPvRmT1_PNSt15iterator_traitsISY_E10value_typeET2_T3_PNSZ_IS14_E10value_typeET4_jRbjT5_S1A_jjP12ihipStream_tbEUljE_EEESV_SW_SX_S14_S18_S1A_T6_T7_T9_mT8_S1C_bDpT10_ENKUlT_T0_E_clISt17integral_constantIbLb0EES1P_EEDaS1K_S1L_EUlS1K_E_NS1_11comp_targetILNS1_3genE3ELNS1_11target_archE908ELNS1_3gpuE7ELNS1_3repE0EEENS1_30default_config_static_selectorELNS0_4arch9wavefront6targetE0EEEvSY_.num_named_barrier, 0
	.set _ZN7rocprim17ROCPRIM_400000_NS6detail17trampoline_kernelINS0_13select_configILj256ELj13ELNS0_17block_load_methodE3ELS4_3ELS4_3ELNS0_20block_scan_algorithmE0ELj4294967295EEENS1_25partition_config_selectorILNS1_17partition_subalgoE3EjNS0_10empty_typeEbEEZZNS1_14partition_implILS8_3ELb0ES6_jNS0_17counting_iteratorIjlEEPS9_SE_NS0_5tupleIJPjSE_EEENSF_IJSE_SE_EEES9_SG_JZNS1_25segmented_radix_sort_implINS0_14default_configELb1EPKbPbPKlPlN2at6native12_GLOBAL__N_18offset_tEEE10hipError_tPvRmT1_PNSt15iterator_traitsISY_E10value_typeET2_T3_PNSZ_IS14_E10value_typeET4_jRbjT5_S1A_jjP12ihipStream_tbEUljE_EEESV_SW_SX_S14_S18_S1A_T6_T7_T9_mT8_S1C_bDpT10_ENKUlT_T0_E_clISt17integral_constantIbLb0EES1P_EEDaS1K_S1L_EUlS1K_E_NS1_11comp_targetILNS1_3genE3ELNS1_11target_archE908ELNS1_3gpuE7ELNS1_3repE0EEENS1_30default_config_static_selectorELNS0_4arch9wavefront6targetE0EEEvSY_.private_seg_size, 0
	.set _ZN7rocprim17ROCPRIM_400000_NS6detail17trampoline_kernelINS0_13select_configILj256ELj13ELNS0_17block_load_methodE3ELS4_3ELS4_3ELNS0_20block_scan_algorithmE0ELj4294967295EEENS1_25partition_config_selectorILNS1_17partition_subalgoE3EjNS0_10empty_typeEbEEZZNS1_14partition_implILS8_3ELb0ES6_jNS0_17counting_iteratorIjlEEPS9_SE_NS0_5tupleIJPjSE_EEENSF_IJSE_SE_EEES9_SG_JZNS1_25segmented_radix_sort_implINS0_14default_configELb1EPKbPbPKlPlN2at6native12_GLOBAL__N_18offset_tEEE10hipError_tPvRmT1_PNSt15iterator_traitsISY_E10value_typeET2_T3_PNSZ_IS14_E10value_typeET4_jRbjT5_S1A_jjP12ihipStream_tbEUljE_EEESV_SW_SX_S14_S18_S1A_T6_T7_T9_mT8_S1C_bDpT10_ENKUlT_T0_E_clISt17integral_constantIbLb0EES1P_EEDaS1K_S1L_EUlS1K_E_NS1_11comp_targetILNS1_3genE3ELNS1_11target_archE908ELNS1_3gpuE7ELNS1_3repE0EEENS1_30default_config_static_selectorELNS0_4arch9wavefront6targetE0EEEvSY_.uses_vcc, 0
	.set _ZN7rocprim17ROCPRIM_400000_NS6detail17trampoline_kernelINS0_13select_configILj256ELj13ELNS0_17block_load_methodE3ELS4_3ELS4_3ELNS0_20block_scan_algorithmE0ELj4294967295EEENS1_25partition_config_selectorILNS1_17partition_subalgoE3EjNS0_10empty_typeEbEEZZNS1_14partition_implILS8_3ELb0ES6_jNS0_17counting_iteratorIjlEEPS9_SE_NS0_5tupleIJPjSE_EEENSF_IJSE_SE_EEES9_SG_JZNS1_25segmented_radix_sort_implINS0_14default_configELb1EPKbPbPKlPlN2at6native12_GLOBAL__N_18offset_tEEE10hipError_tPvRmT1_PNSt15iterator_traitsISY_E10value_typeET2_T3_PNSZ_IS14_E10value_typeET4_jRbjT5_S1A_jjP12ihipStream_tbEUljE_EEESV_SW_SX_S14_S18_S1A_T6_T7_T9_mT8_S1C_bDpT10_ENKUlT_T0_E_clISt17integral_constantIbLb0EES1P_EEDaS1K_S1L_EUlS1K_E_NS1_11comp_targetILNS1_3genE3ELNS1_11target_archE908ELNS1_3gpuE7ELNS1_3repE0EEENS1_30default_config_static_selectorELNS0_4arch9wavefront6targetE0EEEvSY_.uses_flat_scratch, 0
	.set _ZN7rocprim17ROCPRIM_400000_NS6detail17trampoline_kernelINS0_13select_configILj256ELj13ELNS0_17block_load_methodE3ELS4_3ELS4_3ELNS0_20block_scan_algorithmE0ELj4294967295EEENS1_25partition_config_selectorILNS1_17partition_subalgoE3EjNS0_10empty_typeEbEEZZNS1_14partition_implILS8_3ELb0ES6_jNS0_17counting_iteratorIjlEEPS9_SE_NS0_5tupleIJPjSE_EEENSF_IJSE_SE_EEES9_SG_JZNS1_25segmented_radix_sort_implINS0_14default_configELb1EPKbPbPKlPlN2at6native12_GLOBAL__N_18offset_tEEE10hipError_tPvRmT1_PNSt15iterator_traitsISY_E10value_typeET2_T3_PNSZ_IS14_E10value_typeET4_jRbjT5_S1A_jjP12ihipStream_tbEUljE_EEESV_SW_SX_S14_S18_S1A_T6_T7_T9_mT8_S1C_bDpT10_ENKUlT_T0_E_clISt17integral_constantIbLb0EES1P_EEDaS1K_S1L_EUlS1K_E_NS1_11comp_targetILNS1_3genE3ELNS1_11target_archE908ELNS1_3gpuE7ELNS1_3repE0EEENS1_30default_config_static_selectorELNS0_4arch9wavefront6targetE0EEEvSY_.has_dyn_sized_stack, 0
	.set _ZN7rocprim17ROCPRIM_400000_NS6detail17trampoline_kernelINS0_13select_configILj256ELj13ELNS0_17block_load_methodE3ELS4_3ELS4_3ELNS0_20block_scan_algorithmE0ELj4294967295EEENS1_25partition_config_selectorILNS1_17partition_subalgoE3EjNS0_10empty_typeEbEEZZNS1_14partition_implILS8_3ELb0ES6_jNS0_17counting_iteratorIjlEEPS9_SE_NS0_5tupleIJPjSE_EEENSF_IJSE_SE_EEES9_SG_JZNS1_25segmented_radix_sort_implINS0_14default_configELb1EPKbPbPKlPlN2at6native12_GLOBAL__N_18offset_tEEE10hipError_tPvRmT1_PNSt15iterator_traitsISY_E10value_typeET2_T3_PNSZ_IS14_E10value_typeET4_jRbjT5_S1A_jjP12ihipStream_tbEUljE_EEESV_SW_SX_S14_S18_S1A_T6_T7_T9_mT8_S1C_bDpT10_ENKUlT_T0_E_clISt17integral_constantIbLb0EES1P_EEDaS1K_S1L_EUlS1K_E_NS1_11comp_targetILNS1_3genE3ELNS1_11target_archE908ELNS1_3gpuE7ELNS1_3repE0EEENS1_30default_config_static_selectorELNS0_4arch9wavefront6targetE0EEEvSY_.has_recursion, 0
	.set _ZN7rocprim17ROCPRIM_400000_NS6detail17trampoline_kernelINS0_13select_configILj256ELj13ELNS0_17block_load_methodE3ELS4_3ELS4_3ELNS0_20block_scan_algorithmE0ELj4294967295EEENS1_25partition_config_selectorILNS1_17partition_subalgoE3EjNS0_10empty_typeEbEEZZNS1_14partition_implILS8_3ELb0ES6_jNS0_17counting_iteratorIjlEEPS9_SE_NS0_5tupleIJPjSE_EEENSF_IJSE_SE_EEES9_SG_JZNS1_25segmented_radix_sort_implINS0_14default_configELb1EPKbPbPKlPlN2at6native12_GLOBAL__N_18offset_tEEE10hipError_tPvRmT1_PNSt15iterator_traitsISY_E10value_typeET2_T3_PNSZ_IS14_E10value_typeET4_jRbjT5_S1A_jjP12ihipStream_tbEUljE_EEESV_SW_SX_S14_S18_S1A_T6_T7_T9_mT8_S1C_bDpT10_ENKUlT_T0_E_clISt17integral_constantIbLb0EES1P_EEDaS1K_S1L_EUlS1K_E_NS1_11comp_targetILNS1_3genE3ELNS1_11target_archE908ELNS1_3gpuE7ELNS1_3repE0EEENS1_30default_config_static_selectorELNS0_4arch9wavefront6targetE0EEEvSY_.has_indirect_call, 0
	.section	.AMDGPU.csdata,"",@progbits
; Kernel info:
; codeLenInByte = 0
; TotalNumSgprs: 0
; NumVgprs: 0
; ScratchSize: 0
; MemoryBound: 0
; FloatMode: 240
; IeeeMode: 1
; LDSByteSize: 0 bytes/workgroup (compile time only)
; SGPRBlocks: 0
; VGPRBlocks: 0
; NumSGPRsForWavesPerEU: 1
; NumVGPRsForWavesPerEU: 1
; NamedBarCnt: 0
; Occupancy: 16
; WaveLimiterHint : 0
; COMPUTE_PGM_RSRC2:SCRATCH_EN: 0
; COMPUTE_PGM_RSRC2:USER_SGPR: 2
; COMPUTE_PGM_RSRC2:TRAP_HANDLER: 0
; COMPUTE_PGM_RSRC2:TGID_X_EN: 1
; COMPUTE_PGM_RSRC2:TGID_Y_EN: 0
; COMPUTE_PGM_RSRC2:TGID_Z_EN: 0
; COMPUTE_PGM_RSRC2:TIDIG_COMP_CNT: 0
	.section	.text._ZN7rocprim17ROCPRIM_400000_NS6detail17trampoline_kernelINS0_13select_configILj256ELj13ELNS0_17block_load_methodE3ELS4_3ELS4_3ELNS0_20block_scan_algorithmE0ELj4294967295EEENS1_25partition_config_selectorILNS1_17partition_subalgoE3EjNS0_10empty_typeEbEEZZNS1_14partition_implILS8_3ELb0ES6_jNS0_17counting_iteratorIjlEEPS9_SE_NS0_5tupleIJPjSE_EEENSF_IJSE_SE_EEES9_SG_JZNS1_25segmented_radix_sort_implINS0_14default_configELb1EPKbPbPKlPlN2at6native12_GLOBAL__N_18offset_tEEE10hipError_tPvRmT1_PNSt15iterator_traitsISY_E10value_typeET2_T3_PNSZ_IS14_E10value_typeET4_jRbjT5_S1A_jjP12ihipStream_tbEUljE_EEESV_SW_SX_S14_S18_S1A_T6_T7_T9_mT8_S1C_bDpT10_ENKUlT_T0_E_clISt17integral_constantIbLb0EES1P_EEDaS1K_S1L_EUlS1K_E_NS1_11comp_targetILNS1_3genE2ELNS1_11target_archE906ELNS1_3gpuE6ELNS1_3repE0EEENS1_30default_config_static_selectorELNS0_4arch9wavefront6targetE0EEEvSY_,"axG",@progbits,_ZN7rocprim17ROCPRIM_400000_NS6detail17trampoline_kernelINS0_13select_configILj256ELj13ELNS0_17block_load_methodE3ELS4_3ELS4_3ELNS0_20block_scan_algorithmE0ELj4294967295EEENS1_25partition_config_selectorILNS1_17partition_subalgoE3EjNS0_10empty_typeEbEEZZNS1_14partition_implILS8_3ELb0ES6_jNS0_17counting_iteratorIjlEEPS9_SE_NS0_5tupleIJPjSE_EEENSF_IJSE_SE_EEES9_SG_JZNS1_25segmented_radix_sort_implINS0_14default_configELb1EPKbPbPKlPlN2at6native12_GLOBAL__N_18offset_tEEE10hipError_tPvRmT1_PNSt15iterator_traitsISY_E10value_typeET2_T3_PNSZ_IS14_E10value_typeET4_jRbjT5_S1A_jjP12ihipStream_tbEUljE_EEESV_SW_SX_S14_S18_S1A_T6_T7_T9_mT8_S1C_bDpT10_ENKUlT_T0_E_clISt17integral_constantIbLb0EES1P_EEDaS1K_S1L_EUlS1K_E_NS1_11comp_targetILNS1_3genE2ELNS1_11target_archE906ELNS1_3gpuE6ELNS1_3repE0EEENS1_30default_config_static_selectorELNS0_4arch9wavefront6targetE0EEEvSY_,comdat
	.globl	_ZN7rocprim17ROCPRIM_400000_NS6detail17trampoline_kernelINS0_13select_configILj256ELj13ELNS0_17block_load_methodE3ELS4_3ELS4_3ELNS0_20block_scan_algorithmE0ELj4294967295EEENS1_25partition_config_selectorILNS1_17partition_subalgoE3EjNS0_10empty_typeEbEEZZNS1_14partition_implILS8_3ELb0ES6_jNS0_17counting_iteratorIjlEEPS9_SE_NS0_5tupleIJPjSE_EEENSF_IJSE_SE_EEES9_SG_JZNS1_25segmented_radix_sort_implINS0_14default_configELb1EPKbPbPKlPlN2at6native12_GLOBAL__N_18offset_tEEE10hipError_tPvRmT1_PNSt15iterator_traitsISY_E10value_typeET2_T3_PNSZ_IS14_E10value_typeET4_jRbjT5_S1A_jjP12ihipStream_tbEUljE_EEESV_SW_SX_S14_S18_S1A_T6_T7_T9_mT8_S1C_bDpT10_ENKUlT_T0_E_clISt17integral_constantIbLb0EES1P_EEDaS1K_S1L_EUlS1K_E_NS1_11comp_targetILNS1_3genE2ELNS1_11target_archE906ELNS1_3gpuE6ELNS1_3repE0EEENS1_30default_config_static_selectorELNS0_4arch9wavefront6targetE0EEEvSY_ ; -- Begin function _ZN7rocprim17ROCPRIM_400000_NS6detail17trampoline_kernelINS0_13select_configILj256ELj13ELNS0_17block_load_methodE3ELS4_3ELS4_3ELNS0_20block_scan_algorithmE0ELj4294967295EEENS1_25partition_config_selectorILNS1_17partition_subalgoE3EjNS0_10empty_typeEbEEZZNS1_14partition_implILS8_3ELb0ES6_jNS0_17counting_iteratorIjlEEPS9_SE_NS0_5tupleIJPjSE_EEENSF_IJSE_SE_EEES9_SG_JZNS1_25segmented_radix_sort_implINS0_14default_configELb1EPKbPbPKlPlN2at6native12_GLOBAL__N_18offset_tEEE10hipError_tPvRmT1_PNSt15iterator_traitsISY_E10value_typeET2_T3_PNSZ_IS14_E10value_typeET4_jRbjT5_S1A_jjP12ihipStream_tbEUljE_EEESV_SW_SX_S14_S18_S1A_T6_T7_T9_mT8_S1C_bDpT10_ENKUlT_T0_E_clISt17integral_constantIbLb0EES1P_EEDaS1K_S1L_EUlS1K_E_NS1_11comp_targetILNS1_3genE2ELNS1_11target_archE906ELNS1_3gpuE6ELNS1_3repE0EEENS1_30default_config_static_selectorELNS0_4arch9wavefront6targetE0EEEvSY_
	.p2align	8
	.type	_ZN7rocprim17ROCPRIM_400000_NS6detail17trampoline_kernelINS0_13select_configILj256ELj13ELNS0_17block_load_methodE3ELS4_3ELS4_3ELNS0_20block_scan_algorithmE0ELj4294967295EEENS1_25partition_config_selectorILNS1_17partition_subalgoE3EjNS0_10empty_typeEbEEZZNS1_14partition_implILS8_3ELb0ES6_jNS0_17counting_iteratorIjlEEPS9_SE_NS0_5tupleIJPjSE_EEENSF_IJSE_SE_EEES9_SG_JZNS1_25segmented_radix_sort_implINS0_14default_configELb1EPKbPbPKlPlN2at6native12_GLOBAL__N_18offset_tEEE10hipError_tPvRmT1_PNSt15iterator_traitsISY_E10value_typeET2_T3_PNSZ_IS14_E10value_typeET4_jRbjT5_S1A_jjP12ihipStream_tbEUljE_EEESV_SW_SX_S14_S18_S1A_T6_T7_T9_mT8_S1C_bDpT10_ENKUlT_T0_E_clISt17integral_constantIbLb0EES1P_EEDaS1K_S1L_EUlS1K_E_NS1_11comp_targetILNS1_3genE2ELNS1_11target_archE906ELNS1_3gpuE6ELNS1_3repE0EEENS1_30default_config_static_selectorELNS0_4arch9wavefront6targetE0EEEvSY_,@function
_ZN7rocprim17ROCPRIM_400000_NS6detail17trampoline_kernelINS0_13select_configILj256ELj13ELNS0_17block_load_methodE3ELS4_3ELS4_3ELNS0_20block_scan_algorithmE0ELj4294967295EEENS1_25partition_config_selectorILNS1_17partition_subalgoE3EjNS0_10empty_typeEbEEZZNS1_14partition_implILS8_3ELb0ES6_jNS0_17counting_iteratorIjlEEPS9_SE_NS0_5tupleIJPjSE_EEENSF_IJSE_SE_EEES9_SG_JZNS1_25segmented_radix_sort_implINS0_14default_configELb1EPKbPbPKlPlN2at6native12_GLOBAL__N_18offset_tEEE10hipError_tPvRmT1_PNSt15iterator_traitsISY_E10value_typeET2_T3_PNSZ_IS14_E10value_typeET4_jRbjT5_S1A_jjP12ihipStream_tbEUljE_EEESV_SW_SX_S14_S18_S1A_T6_T7_T9_mT8_S1C_bDpT10_ENKUlT_T0_E_clISt17integral_constantIbLb0EES1P_EEDaS1K_S1L_EUlS1K_E_NS1_11comp_targetILNS1_3genE2ELNS1_11target_archE906ELNS1_3gpuE6ELNS1_3repE0EEENS1_30default_config_static_selectorELNS0_4arch9wavefront6targetE0EEEvSY_: ; @_ZN7rocprim17ROCPRIM_400000_NS6detail17trampoline_kernelINS0_13select_configILj256ELj13ELNS0_17block_load_methodE3ELS4_3ELS4_3ELNS0_20block_scan_algorithmE0ELj4294967295EEENS1_25partition_config_selectorILNS1_17partition_subalgoE3EjNS0_10empty_typeEbEEZZNS1_14partition_implILS8_3ELb0ES6_jNS0_17counting_iteratorIjlEEPS9_SE_NS0_5tupleIJPjSE_EEENSF_IJSE_SE_EEES9_SG_JZNS1_25segmented_radix_sort_implINS0_14default_configELb1EPKbPbPKlPlN2at6native12_GLOBAL__N_18offset_tEEE10hipError_tPvRmT1_PNSt15iterator_traitsISY_E10value_typeET2_T3_PNSZ_IS14_E10value_typeET4_jRbjT5_S1A_jjP12ihipStream_tbEUljE_EEESV_SW_SX_S14_S18_S1A_T6_T7_T9_mT8_S1C_bDpT10_ENKUlT_T0_E_clISt17integral_constantIbLb0EES1P_EEDaS1K_S1L_EUlS1K_E_NS1_11comp_targetILNS1_3genE2ELNS1_11target_archE906ELNS1_3gpuE6ELNS1_3repE0EEENS1_30default_config_static_selectorELNS0_4arch9wavefront6targetE0EEEvSY_
; %bb.0:
	.section	.rodata,"a",@progbits
	.p2align	6, 0x0
	.amdhsa_kernel _ZN7rocprim17ROCPRIM_400000_NS6detail17trampoline_kernelINS0_13select_configILj256ELj13ELNS0_17block_load_methodE3ELS4_3ELS4_3ELNS0_20block_scan_algorithmE0ELj4294967295EEENS1_25partition_config_selectorILNS1_17partition_subalgoE3EjNS0_10empty_typeEbEEZZNS1_14partition_implILS8_3ELb0ES6_jNS0_17counting_iteratorIjlEEPS9_SE_NS0_5tupleIJPjSE_EEENSF_IJSE_SE_EEES9_SG_JZNS1_25segmented_radix_sort_implINS0_14default_configELb1EPKbPbPKlPlN2at6native12_GLOBAL__N_18offset_tEEE10hipError_tPvRmT1_PNSt15iterator_traitsISY_E10value_typeET2_T3_PNSZ_IS14_E10value_typeET4_jRbjT5_S1A_jjP12ihipStream_tbEUljE_EEESV_SW_SX_S14_S18_S1A_T6_T7_T9_mT8_S1C_bDpT10_ENKUlT_T0_E_clISt17integral_constantIbLb0EES1P_EEDaS1K_S1L_EUlS1K_E_NS1_11comp_targetILNS1_3genE2ELNS1_11target_archE906ELNS1_3gpuE6ELNS1_3repE0EEENS1_30default_config_static_selectorELNS0_4arch9wavefront6targetE0EEEvSY_
		.amdhsa_group_segment_fixed_size 0
		.amdhsa_private_segment_fixed_size 0
		.amdhsa_kernarg_size 144
		.amdhsa_user_sgpr_count 2
		.amdhsa_user_sgpr_dispatch_ptr 0
		.amdhsa_user_sgpr_queue_ptr 0
		.amdhsa_user_sgpr_kernarg_segment_ptr 1
		.amdhsa_user_sgpr_dispatch_id 0
		.amdhsa_user_sgpr_kernarg_preload_length 0
		.amdhsa_user_sgpr_kernarg_preload_offset 0
		.amdhsa_user_sgpr_private_segment_size 0
		.amdhsa_wavefront_size32 1
		.amdhsa_uses_dynamic_stack 0
		.amdhsa_enable_private_segment 0
		.amdhsa_system_sgpr_workgroup_id_x 1
		.amdhsa_system_sgpr_workgroup_id_y 0
		.amdhsa_system_sgpr_workgroup_id_z 0
		.amdhsa_system_sgpr_workgroup_info 0
		.amdhsa_system_vgpr_workitem_id 0
		.amdhsa_next_free_vgpr 1
		.amdhsa_next_free_sgpr 1
		.amdhsa_named_barrier_count 0
		.amdhsa_reserve_vcc 0
		.amdhsa_float_round_mode_32 0
		.amdhsa_float_round_mode_16_64 0
		.amdhsa_float_denorm_mode_32 3
		.amdhsa_float_denorm_mode_16_64 3
		.amdhsa_fp16_overflow 0
		.amdhsa_memory_ordered 1
		.amdhsa_forward_progress 1
		.amdhsa_inst_pref_size 0
		.amdhsa_round_robin_scheduling 0
		.amdhsa_exception_fp_ieee_invalid_op 0
		.amdhsa_exception_fp_denorm_src 0
		.amdhsa_exception_fp_ieee_div_zero 0
		.amdhsa_exception_fp_ieee_overflow 0
		.amdhsa_exception_fp_ieee_underflow 0
		.amdhsa_exception_fp_ieee_inexact 0
		.amdhsa_exception_int_div_zero 0
	.end_amdhsa_kernel
	.section	.text._ZN7rocprim17ROCPRIM_400000_NS6detail17trampoline_kernelINS0_13select_configILj256ELj13ELNS0_17block_load_methodE3ELS4_3ELS4_3ELNS0_20block_scan_algorithmE0ELj4294967295EEENS1_25partition_config_selectorILNS1_17partition_subalgoE3EjNS0_10empty_typeEbEEZZNS1_14partition_implILS8_3ELb0ES6_jNS0_17counting_iteratorIjlEEPS9_SE_NS0_5tupleIJPjSE_EEENSF_IJSE_SE_EEES9_SG_JZNS1_25segmented_radix_sort_implINS0_14default_configELb1EPKbPbPKlPlN2at6native12_GLOBAL__N_18offset_tEEE10hipError_tPvRmT1_PNSt15iterator_traitsISY_E10value_typeET2_T3_PNSZ_IS14_E10value_typeET4_jRbjT5_S1A_jjP12ihipStream_tbEUljE_EEESV_SW_SX_S14_S18_S1A_T6_T7_T9_mT8_S1C_bDpT10_ENKUlT_T0_E_clISt17integral_constantIbLb0EES1P_EEDaS1K_S1L_EUlS1K_E_NS1_11comp_targetILNS1_3genE2ELNS1_11target_archE906ELNS1_3gpuE6ELNS1_3repE0EEENS1_30default_config_static_selectorELNS0_4arch9wavefront6targetE0EEEvSY_,"axG",@progbits,_ZN7rocprim17ROCPRIM_400000_NS6detail17trampoline_kernelINS0_13select_configILj256ELj13ELNS0_17block_load_methodE3ELS4_3ELS4_3ELNS0_20block_scan_algorithmE0ELj4294967295EEENS1_25partition_config_selectorILNS1_17partition_subalgoE3EjNS0_10empty_typeEbEEZZNS1_14partition_implILS8_3ELb0ES6_jNS0_17counting_iteratorIjlEEPS9_SE_NS0_5tupleIJPjSE_EEENSF_IJSE_SE_EEES9_SG_JZNS1_25segmented_radix_sort_implINS0_14default_configELb1EPKbPbPKlPlN2at6native12_GLOBAL__N_18offset_tEEE10hipError_tPvRmT1_PNSt15iterator_traitsISY_E10value_typeET2_T3_PNSZ_IS14_E10value_typeET4_jRbjT5_S1A_jjP12ihipStream_tbEUljE_EEESV_SW_SX_S14_S18_S1A_T6_T7_T9_mT8_S1C_bDpT10_ENKUlT_T0_E_clISt17integral_constantIbLb0EES1P_EEDaS1K_S1L_EUlS1K_E_NS1_11comp_targetILNS1_3genE2ELNS1_11target_archE906ELNS1_3gpuE6ELNS1_3repE0EEENS1_30default_config_static_selectorELNS0_4arch9wavefront6targetE0EEEvSY_,comdat
.Lfunc_end1496:
	.size	_ZN7rocprim17ROCPRIM_400000_NS6detail17trampoline_kernelINS0_13select_configILj256ELj13ELNS0_17block_load_methodE3ELS4_3ELS4_3ELNS0_20block_scan_algorithmE0ELj4294967295EEENS1_25partition_config_selectorILNS1_17partition_subalgoE3EjNS0_10empty_typeEbEEZZNS1_14partition_implILS8_3ELb0ES6_jNS0_17counting_iteratorIjlEEPS9_SE_NS0_5tupleIJPjSE_EEENSF_IJSE_SE_EEES9_SG_JZNS1_25segmented_radix_sort_implINS0_14default_configELb1EPKbPbPKlPlN2at6native12_GLOBAL__N_18offset_tEEE10hipError_tPvRmT1_PNSt15iterator_traitsISY_E10value_typeET2_T3_PNSZ_IS14_E10value_typeET4_jRbjT5_S1A_jjP12ihipStream_tbEUljE_EEESV_SW_SX_S14_S18_S1A_T6_T7_T9_mT8_S1C_bDpT10_ENKUlT_T0_E_clISt17integral_constantIbLb0EES1P_EEDaS1K_S1L_EUlS1K_E_NS1_11comp_targetILNS1_3genE2ELNS1_11target_archE906ELNS1_3gpuE6ELNS1_3repE0EEENS1_30default_config_static_selectorELNS0_4arch9wavefront6targetE0EEEvSY_, .Lfunc_end1496-_ZN7rocprim17ROCPRIM_400000_NS6detail17trampoline_kernelINS0_13select_configILj256ELj13ELNS0_17block_load_methodE3ELS4_3ELS4_3ELNS0_20block_scan_algorithmE0ELj4294967295EEENS1_25partition_config_selectorILNS1_17partition_subalgoE3EjNS0_10empty_typeEbEEZZNS1_14partition_implILS8_3ELb0ES6_jNS0_17counting_iteratorIjlEEPS9_SE_NS0_5tupleIJPjSE_EEENSF_IJSE_SE_EEES9_SG_JZNS1_25segmented_radix_sort_implINS0_14default_configELb1EPKbPbPKlPlN2at6native12_GLOBAL__N_18offset_tEEE10hipError_tPvRmT1_PNSt15iterator_traitsISY_E10value_typeET2_T3_PNSZ_IS14_E10value_typeET4_jRbjT5_S1A_jjP12ihipStream_tbEUljE_EEESV_SW_SX_S14_S18_S1A_T6_T7_T9_mT8_S1C_bDpT10_ENKUlT_T0_E_clISt17integral_constantIbLb0EES1P_EEDaS1K_S1L_EUlS1K_E_NS1_11comp_targetILNS1_3genE2ELNS1_11target_archE906ELNS1_3gpuE6ELNS1_3repE0EEENS1_30default_config_static_selectorELNS0_4arch9wavefront6targetE0EEEvSY_
                                        ; -- End function
	.set _ZN7rocprim17ROCPRIM_400000_NS6detail17trampoline_kernelINS0_13select_configILj256ELj13ELNS0_17block_load_methodE3ELS4_3ELS4_3ELNS0_20block_scan_algorithmE0ELj4294967295EEENS1_25partition_config_selectorILNS1_17partition_subalgoE3EjNS0_10empty_typeEbEEZZNS1_14partition_implILS8_3ELb0ES6_jNS0_17counting_iteratorIjlEEPS9_SE_NS0_5tupleIJPjSE_EEENSF_IJSE_SE_EEES9_SG_JZNS1_25segmented_radix_sort_implINS0_14default_configELb1EPKbPbPKlPlN2at6native12_GLOBAL__N_18offset_tEEE10hipError_tPvRmT1_PNSt15iterator_traitsISY_E10value_typeET2_T3_PNSZ_IS14_E10value_typeET4_jRbjT5_S1A_jjP12ihipStream_tbEUljE_EEESV_SW_SX_S14_S18_S1A_T6_T7_T9_mT8_S1C_bDpT10_ENKUlT_T0_E_clISt17integral_constantIbLb0EES1P_EEDaS1K_S1L_EUlS1K_E_NS1_11comp_targetILNS1_3genE2ELNS1_11target_archE906ELNS1_3gpuE6ELNS1_3repE0EEENS1_30default_config_static_selectorELNS0_4arch9wavefront6targetE0EEEvSY_.num_vgpr, 0
	.set _ZN7rocprim17ROCPRIM_400000_NS6detail17trampoline_kernelINS0_13select_configILj256ELj13ELNS0_17block_load_methodE3ELS4_3ELS4_3ELNS0_20block_scan_algorithmE0ELj4294967295EEENS1_25partition_config_selectorILNS1_17partition_subalgoE3EjNS0_10empty_typeEbEEZZNS1_14partition_implILS8_3ELb0ES6_jNS0_17counting_iteratorIjlEEPS9_SE_NS0_5tupleIJPjSE_EEENSF_IJSE_SE_EEES9_SG_JZNS1_25segmented_radix_sort_implINS0_14default_configELb1EPKbPbPKlPlN2at6native12_GLOBAL__N_18offset_tEEE10hipError_tPvRmT1_PNSt15iterator_traitsISY_E10value_typeET2_T3_PNSZ_IS14_E10value_typeET4_jRbjT5_S1A_jjP12ihipStream_tbEUljE_EEESV_SW_SX_S14_S18_S1A_T6_T7_T9_mT8_S1C_bDpT10_ENKUlT_T0_E_clISt17integral_constantIbLb0EES1P_EEDaS1K_S1L_EUlS1K_E_NS1_11comp_targetILNS1_3genE2ELNS1_11target_archE906ELNS1_3gpuE6ELNS1_3repE0EEENS1_30default_config_static_selectorELNS0_4arch9wavefront6targetE0EEEvSY_.num_agpr, 0
	.set _ZN7rocprim17ROCPRIM_400000_NS6detail17trampoline_kernelINS0_13select_configILj256ELj13ELNS0_17block_load_methodE3ELS4_3ELS4_3ELNS0_20block_scan_algorithmE0ELj4294967295EEENS1_25partition_config_selectorILNS1_17partition_subalgoE3EjNS0_10empty_typeEbEEZZNS1_14partition_implILS8_3ELb0ES6_jNS0_17counting_iteratorIjlEEPS9_SE_NS0_5tupleIJPjSE_EEENSF_IJSE_SE_EEES9_SG_JZNS1_25segmented_radix_sort_implINS0_14default_configELb1EPKbPbPKlPlN2at6native12_GLOBAL__N_18offset_tEEE10hipError_tPvRmT1_PNSt15iterator_traitsISY_E10value_typeET2_T3_PNSZ_IS14_E10value_typeET4_jRbjT5_S1A_jjP12ihipStream_tbEUljE_EEESV_SW_SX_S14_S18_S1A_T6_T7_T9_mT8_S1C_bDpT10_ENKUlT_T0_E_clISt17integral_constantIbLb0EES1P_EEDaS1K_S1L_EUlS1K_E_NS1_11comp_targetILNS1_3genE2ELNS1_11target_archE906ELNS1_3gpuE6ELNS1_3repE0EEENS1_30default_config_static_selectorELNS0_4arch9wavefront6targetE0EEEvSY_.numbered_sgpr, 0
	.set _ZN7rocprim17ROCPRIM_400000_NS6detail17trampoline_kernelINS0_13select_configILj256ELj13ELNS0_17block_load_methodE3ELS4_3ELS4_3ELNS0_20block_scan_algorithmE0ELj4294967295EEENS1_25partition_config_selectorILNS1_17partition_subalgoE3EjNS0_10empty_typeEbEEZZNS1_14partition_implILS8_3ELb0ES6_jNS0_17counting_iteratorIjlEEPS9_SE_NS0_5tupleIJPjSE_EEENSF_IJSE_SE_EEES9_SG_JZNS1_25segmented_radix_sort_implINS0_14default_configELb1EPKbPbPKlPlN2at6native12_GLOBAL__N_18offset_tEEE10hipError_tPvRmT1_PNSt15iterator_traitsISY_E10value_typeET2_T3_PNSZ_IS14_E10value_typeET4_jRbjT5_S1A_jjP12ihipStream_tbEUljE_EEESV_SW_SX_S14_S18_S1A_T6_T7_T9_mT8_S1C_bDpT10_ENKUlT_T0_E_clISt17integral_constantIbLb0EES1P_EEDaS1K_S1L_EUlS1K_E_NS1_11comp_targetILNS1_3genE2ELNS1_11target_archE906ELNS1_3gpuE6ELNS1_3repE0EEENS1_30default_config_static_selectorELNS0_4arch9wavefront6targetE0EEEvSY_.num_named_barrier, 0
	.set _ZN7rocprim17ROCPRIM_400000_NS6detail17trampoline_kernelINS0_13select_configILj256ELj13ELNS0_17block_load_methodE3ELS4_3ELS4_3ELNS0_20block_scan_algorithmE0ELj4294967295EEENS1_25partition_config_selectorILNS1_17partition_subalgoE3EjNS0_10empty_typeEbEEZZNS1_14partition_implILS8_3ELb0ES6_jNS0_17counting_iteratorIjlEEPS9_SE_NS0_5tupleIJPjSE_EEENSF_IJSE_SE_EEES9_SG_JZNS1_25segmented_radix_sort_implINS0_14default_configELb1EPKbPbPKlPlN2at6native12_GLOBAL__N_18offset_tEEE10hipError_tPvRmT1_PNSt15iterator_traitsISY_E10value_typeET2_T3_PNSZ_IS14_E10value_typeET4_jRbjT5_S1A_jjP12ihipStream_tbEUljE_EEESV_SW_SX_S14_S18_S1A_T6_T7_T9_mT8_S1C_bDpT10_ENKUlT_T0_E_clISt17integral_constantIbLb0EES1P_EEDaS1K_S1L_EUlS1K_E_NS1_11comp_targetILNS1_3genE2ELNS1_11target_archE906ELNS1_3gpuE6ELNS1_3repE0EEENS1_30default_config_static_selectorELNS0_4arch9wavefront6targetE0EEEvSY_.private_seg_size, 0
	.set _ZN7rocprim17ROCPRIM_400000_NS6detail17trampoline_kernelINS0_13select_configILj256ELj13ELNS0_17block_load_methodE3ELS4_3ELS4_3ELNS0_20block_scan_algorithmE0ELj4294967295EEENS1_25partition_config_selectorILNS1_17partition_subalgoE3EjNS0_10empty_typeEbEEZZNS1_14partition_implILS8_3ELb0ES6_jNS0_17counting_iteratorIjlEEPS9_SE_NS0_5tupleIJPjSE_EEENSF_IJSE_SE_EEES9_SG_JZNS1_25segmented_radix_sort_implINS0_14default_configELb1EPKbPbPKlPlN2at6native12_GLOBAL__N_18offset_tEEE10hipError_tPvRmT1_PNSt15iterator_traitsISY_E10value_typeET2_T3_PNSZ_IS14_E10value_typeET4_jRbjT5_S1A_jjP12ihipStream_tbEUljE_EEESV_SW_SX_S14_S18_S1A_T6_T7_T9_mT8_S1C_bDpT10_ENKUlT_T0_E_clISt17integral_constantIbLb0EES1P_EEDaS1K_S1L_EUlS1K_E_NS1_11comp_targetILNS1_3genE2ELNS1_11target_archE906ELNS1_3gpuE6ELNS1_3repE0EEENS1_30default_config_static_selectorELNS0_4arch9wavefront6targetE0EEEvSY_.uses_vcc, 0
	.set _ZN7rocprim17ROCPRIM_400000_NS6detail17trampoline_kernelINS0_13select_configILj256ELj13ELNS0_17block_load_methodE3ELS4_3ELS4_3ELNS0_20block_scan_algorithmE0ELj4294967295EEENS1_25partition_config_selectorILNS1_17partition_subalgoE3EjNS0_10empty_typeEbEEZZNS1_14partition_implILS8_3ELb0ES6_jNS0_17counting_iteratorIjlEEPS9_SE_NS0_5tupleIJPjSE_EEENSF_IJSE_SE_EEES9_SG_JZNS1_25segmented_radix_sort_implINS0_14default_configELb1EPKbPbPKlPlN2at6native12_GLOBAL__N_18offset_tEEE10hipError_tPvRmT1_PNSt15iterator_traitsISY_E10value_typeET2_T3_PNSZ_IS14_E10value_typeET4_jRbjT5_S1A_jjP12ihipStream_tbEUljE_EEESV_SW_SX_S14_S18_S1A_T6_T7_T9_mT8_S1C_bDpT10_ENKUlT_T0_E_clISt17integral_constantIbLb0EES1P_EEDaS1K_S1L_EUlS1K_E_NS1_11comp_targetILNS1_3genE2ELNS1_11target_archE906ELNS1_3gpuE6ELNS1_3repE0EEENS1_30default_config_static_selectorELNS0_4arch9wavefront6targetE0EEEvSY_.uses_flat_scratch, 0
	.set _ZN7rocprim17ROCPRIM_400000_NS6detail17trampoline_kernelINS0_13select_configILj256ELj13ELNS0_17block_load_methodE3ELS4_3ELS4_3ELNS0_20block_scan_algorithmE0ELj4294967295EEENS1_25partition_config_selectorILNS1_17partition_subalgoE3EjNS0_10empty_typeEbEEZZNS1_14partition_implILS8_3ELb0ES6_jNS0_17counting_iteratorIjlEEPS9_SE_NS0_5tupleIJPjSE_EEENSF_IJSE_SE_EEES9_SG_JZNS1_25segmented_radix_sort_implINS0_14default_configELb1EPKbPbPKlPlN2at6native12_GLOBAL__N_18offset_tEEE10hipError_tPvRmT1_PNSt15iterator_traitsISY_E10value_typeET2_T3_PNSZ_IS14_E10value_typeET4_jRbjT5_S1A_jjP12ihipStream_tbEUljE_EEESV_SW_SX_S14_S18_S1A_T6_T7_T9_mT8_S1C_bDpT10_ENKUlT_T0_E_clISt17integral_constantIbLb0EES1P_EEDaS1K_S1L_EUlS1K_E_NS1_11comp_targetILNS1_3genE2ELNS1_11target_archE906ELNS1_3gpuE6ELNS1_3repE0EEENS1_30default_config_static_selectorELNS0_4arch9wavefront6targetE0EEEvSY_.has_dyn_sized_stack, 0
	.set _ZN7rocprim17ROCPRIM_400000_NS6detail17trampoline_kernelINS0_13select_configILj256ELj13ELNS0_17block_load_methodE3ELS4_3ELS4_3ELNS0_20block_scan_algorithmE0ELj4294967295EEENS1_25partition_config_selectorILNS1_17partition_subalgoE3EjNS0_10empty_typeEbEEZZNS1_14partition_implILS8_3ELb0ES6_jNS0_17counting_iteratorIjlEEPS9_SE_NS0_5tupleIJPjSE_EEENSF_IJSE_SE_EEES9_SG_JZNS1_25segmented_radix_sort_implINS0_14default_configELb1EPKbPbPKlPlN2at6native12_GLOBAL__N_18offset_tEEE10hipError_tPvRmT1_PNSt15iterator_traitsISY_E10value_typeET2_T3_PNSZ_IS14_E10value_typeET4_jRbjT5_S1A_jjP12ihipStream_tbEUljE_EEESV_SW_SX_S14_S18_S1A_T6_T7_T9_mT8_S1C_bDpT10_ENKUlT_T0_E_clISt17integral_constantIbLb0EES1P_EEDaS1K_S1L_EUlS1K_E_NS1_11comp_targetILNS1_3genE2ELNS1_11target_archE906ELNS1_3gpuE6ELNS1_3repE0EEENS1_30default_config_static_selectorELNS0_4arch9wavefront6targetE0EEEvSY_.has_recursion, 0
	.set _ZN7rocprim17ROCPRIM_400000_NS6detail17trampoline_kernelINS0_13select_configILj256ELj13ELNS0_17block_load_methodE3ELS4_3ELS4_3ELNS0_20block_scan_algorithmE0ELj4294967295EEENS1_25partition_config_selectorILNS1_17partition_subalgoE3EjNS0_10empty_typeEbEEZZNS1_14partition_implILS8_3ELb0ES6_jNS0_17counting_iteratorIjlEEPS9_SE_NS0_5tupleIJPjSE_EEENSF_IJSE_SE_EEES9_SG_JZNS1_25segmented_radix_sort_implINS0_14default_configELb1EPKbPbPKlPlN2at6native12_GLOBAL__N_18offset_tEEE10hipError_tPvRmT1_PNSt15iterator_traitsISY_E10value_typeET2_T3_PNSZ_IS14_E10value_typeET4_jRbjT5_S1A_jjP12ihipStream_tbEUljE_EEESV_SW_SX_S14_S18_S1A_T6_T7_T9_mT8_S1C_bDpT10_ENKUlT_T0_E_clISt17integral_constantIbLb0EES1P_EEDaS1K_S1L_EUlS1K_E_NS1_11comp_targetILNS1_3genE2ELNS1_11target_archE906ELNS1_3gpuE6ELNS1_3repE0EEENS1_30default_config_static_selectorELNS0_4arch9wavefront6targetE0EEEvSY_.has_indirect_call, 0
	.section	.AMDGPU.csdata,"",@progbits
; Kernel info:
; codeLenInByte = 0
; TotalNumSgprs: 0
; NumVgprs: 0
; ScratchSize: 0
; MemoryBound: 0
; FloatMode: 240
; IeeeMode: 1
; LDSByteSize: 0 bytes/workgroup (compile time only)
; SGPRBlocks: 0
; VGPRBlocks: 0
; NumSGPRsForWavesPerEU: 1
; NumVGPRsForWavesPerEU: 1
; NamedBarCnt: 0
; Occupancy: 16
; WaveLimiterHint : 0
; COMPUTE_PGM_RSRC2:SCRATCH_EN: 0
; COMPUTE_PGM_RSRC2:USER_SGPR: 2
; COMPUTE_PGM_RSRC2:TRAP_HANDLER: 0
; COMPUTE_PGM_RSRC2:TGID_X_EN: 1
; COMPUTE_PGM_RSRC2:TGID_Y_EN: 0
; COMPUTE_PGM_RSRC2:TGID_Z_EN: 0
; COMPUTE_PGM_RSRC2:TIDIG_COMP_CNT: 0
	.section	.text._ZN7rocprim17ROCPRIM_400000_NS6detail17trampoline_kernelINS0_13select_configILj256ELj13ELNS0_17block_load_methodE3ELS4_3ELS4_3ELNS0_20block_scan_algorithmE0ELj4294967295EEENS1_25partition_config_selectorILNS1_17partition_subalgoE3EjNS0_10empty_typeEbEEZZNS1_14partition_implILS8_3ELb0ES6_jNS0_17counting_iteratorIjlEEPS9_SE_NS0_5tupleIJPjSE_EEENSF_IJSE_SE_EEES9_SG_JZNS1_25segmented_radix_sort_implINS0_14default_configELb1EPKbPbPKlPlN2at6native12_GLOBAL__N_18offset_tEEE10hipError_tPvRmT1_PNSt15iterator_traitsISY_E10value_typeET2_T3_PNSZ_IS14_E10value_typeET4_jRbjT5_S1A_jjP12ihipStream_tbEUljE_EEESV_SW_SX_S14_S18_S1A_T6_T7_T9_mT8_S1C_bDpT10_ENKUlT_T0_E_clISt17integral_constantIbLb0EES1P_EEDaS1K_S1L_EUlS1K_E_NS1_11comp_targetILNS1_3genE10ELNS1_11target_archE1200ELNS1_3gpuE4ELNS1_3repE0EEENS1_30default_config_static_selectorELNS0_4arch9wavefront6targetE0EEEvSY_,"axG",@progbits,_ZN7rocprim17ROCPRIM_400000_NS6detail17trampoline_kernelINS0_13select_configILj256ELj13ELNS0_17block_load_methodE3ELS4_3ELS4_3ELNS0_20block_scan_algorithmE0ELj4294967295EEENS1_25partition_config_selectorILNS1_17partition_subalgoE3EjNS0_10empty_typeEbEEZZNS1_14partition_implILS8_3ELb0ES6_jNS0_17counting_iteratorIjlEEPS9_SE_NS0_5tupleIJPjSE_EEENSF_IJSE_SE_EEES9_SG_JZNS1_25segmented_radix_sort_implINS0_14default_configELb1EPKbPbPKlPlN2at6native12_GLOBAL__N_18offset_tEEE10hipError_tPvRmT1_PNSt15iterator_traitsISY_E10value_typeET2_T3_PNSZ_IS14_E10value_typeET4_jRbjT5_S1A_jjP12ihipStream_tbEUljE_EEESV_SW_SX_S14_S18_S1A_T6_T7_T9_mT8_S1C_bDpT10_ENKUlT_T0_E_clISt17integral_constantIbLb0EES1P_EEDaS1K_S1L_EUlS1K_E_NS1_11comp_targetILNS1_3genE10ELNS1_11target_archE1200ELNS1_3gpuE4ELNS1_3repE0EEENS1_30default_config_static_selectorELNS0_4arch9wavefront6targetE0EEEvSY_,comdat
	.globl	_ZN7rocprim17ROCPRIM_400000_NS6detail17trampoline_kernelINS0_13select_configILj256ELj13ELNS0_17block_load_methodE3ELS4_3ELS4_3ELNS0_20block_scan_algorithmE0ELj4294967295EEENS1_25partition_config_selectorILNS1_17partition_subalgoE3EjNS0_10empty_typeEbEEZZNS1_14partition_implILS8_3ELb0ES6_jNS0_17counting_iteratorIjlEEPS9_SE_NS0_5tupleIJPjSE_EEENSF_IJSE_SE_EEES9_SG_JZNS1_25segmented_radix_sort_implINS0_14default_configELb1EPKbPbPKlPlN2at6native12_GLOBAL__N_18offset_tEEE10hipError_tPvRmT1_PNSt15iterator_traitsISY_E10value_typeET2_T3_PNSZ_IS14_E10value_typeET4_jRbjT5_S1A_jjP12ihipStream_tbEUljE_EEESV_SW_SX_S14_S18_S1A_T6_T7_T9_mT8_S1C_bDpT10_ENKUlT_T0_E_clISt17integral_constantIbLb0EES1P_EEDaS1K_S1L_EUlS1K_E_NS1_11comp_targetILNS1_3genE10ELNS1_11target_archE1200ELNS1_3gpuE4ELNS1_3repE0EEENS1_30default_config_static_selectorELNS0_4arch9wavefront6targetE0EEEvSY_ ; -- Begin function _ZN7rocprim17ROCPRIM_400000_NS6detail17trampoline_kernelINS0_13select_configILj256ELj13ELNS0_17block_load_methodE3ELS4_3ELS4_3ELNS0_20block_scan_algorithmE0ELj4294967295EEENS1_25partition_config_selectorILNS1_17partition_subalgoE3EjNS0_10empty_typeEbEEZZNS1_14partition_implILS8_3ELb0ES6_jNS0_17counting_iteratorIjlEEPS9_SE_NS0_5tupleIJPjSE_EEENSF_IJSE_SE_EEES9_SG_JZNS1_25segmented_radix_sort_implINS0_14default_configELb1EPKbPbPKlPlN2at6native12_GLOBAL__N_18offset_tEEE10hipError_tPvRmT1_PNSt15iterator_traitsISY_E10value_typeET2_T3_PNSZ_IS14_E10value_typeET4_jRbjT5_S1A_jjP12ihipStream_tbEUljE_EEESV_SW_SX_S14_S18_S1A_T6_T7_T9_mT8_S1C_bDpT10_ENKUlT_T0_E_clISt17integral_constantIbLb0EES1P_EEDaS1K_S1L_EUlS1K_E_NS1_11comp_targetILNS1_3genE10ELNS1_11target_archE1200ELNS1_3gpuE4ELNS1_3repE0EEENS1_30default_config_static_selectorELNS0_4arch9wavefront6targetE0EEEvSY_
	.p2align	8
	.type	_ZN7rocprim17ROCPRIM_400000_NS6detail17trampoline_kernelINS0_13select_configILj256ELj13ELNS0_17block_load_methodE3ELS4_3ELS4_3ELNS0_20block_scan_algorithmE0ELj4294967295EEENS1_25partition_config_selectorILNS1_17partition_subalgoE3EjNS0_10empty_typeEbEEZZNS1_14partition_implILS8_3ELb0ES6_jNS0_17counting_iteratorIjlEEPS9_SE_NS0_5tupleIJPjSE_EEENSF_IJSE_SE_EEES9_SG_JZNS1_25segmented_radix_sort_implINS0_14default_configELb1EPKbPbPKlPlN2at6native12_GLOBAL__N_18offset_tEEE10hipError_tPvRmT1_PNSt15iterator_traitsISY_E10value_typeET2_T3_PNSZ_IS14_E10value_typeET4_jRbjT5_S1A_jjP12ihipStream_tbEUljE_EEESV_SW_SX_S14_S18_S1A_T6_T7_T9_mT8_S1C_bDpT10_ENKUlT_T0_E_clISt17integral_constantIbLb0EES1P_EEDaS1K_S1L_EUlS1K_E_NS1_11comp_targetILNS1_3genE10ELNS1_11target_archE1200ELNS1_3gpuE4ELNS1_3repE0EEENS1_30default_config_static_selectorELNS0_4arch9wavefront6targetE0EEEvSY_,@function
_ZN7rocprim17ROCPRIM_400000_NS6detail17trampoline_kernelINS0_13select_configILj256ELj13ELNS0_17block_load_methodE3ELS4_3ELS4_3ELNS0_20block_scan_algorithmE0ELj4294967295EEENS1_25partition_config_selectorILNS1_17partition_subalgoE3EjNS0_10empty_typeEbEEZZNS1_14partition_implILS8_3ELb0ES6_jNS0_17counting_iteratorIjlEEPS9_SE_NS0_5tupleIJPjSE_EEENSF_IJSE_SE_EEES9_SG_JZNS1_25segmented_radix_sort_implINS0_14default_configELb1EPKbPbPKlPlN2at6native12_GLOBAL__N_18offset_tEEE10hipError_tPvRmT1_PNSt15iterator_traitsISY_E10value_typeET2_T3_PNSZ_IS14_E10value_typeET4_jRbjT5_S1A_jjP12ihipStream_tbEUljE_EEESV_SW_SX_S14_S18_S1A_T6_T7_T9_mT8_S1C_bDpT10_ENKUlT_T0_E_clISt17integral_constantIbLb0EES1P_EEDaS1K_S1L_EUlS1K_E_NS1_11comp_targetILNS1_3genE10ELNS1_11target_archE1200ELNS1_3gpuE4ELNS1_3repE0EEENS1_30default_config_static_selectorELNS0_4arch9wavefront6targetE0EEEvSY_: ; @_ZN7rocprim17ROCPRIM_400000_NS6detail17trampoline_kernelINS0_13select_configILj256ELj13ELNS0_17block_load_methodE3ELS4_3ELS4_3ELNS0_20block_scan_algorithmE0ELj4294967295EEENS1_25partition_config_selectorILNS1_17partition_subalgoE3EjNS0_10empty_typeEbEEZZNS1_14partition_implILS8_3ELb0ES6_jNS0_17counting_iteratorIjlEEPS9_SE_NS0_5tupleIJPjSE_EEENSF_IJSE_SE_EEES9_SG_JZNS1_25segmented_radix_sort_implINS0_14default_configELb1EPKbPbPKlPlN2at6native12_GLOBAL__N_18offset_tEEE10hipError_tPvRmT1_PNSt15iterator_traitsISY_E10value_typeET2_T3_PNSZ_IS14_E10value_typeET4_jRbjT5_S1A_jjP12ihipStream_tbEUljE_EEESV_SW_SX_S14_S18_S1A_T6_T7_T9_mT8_S1C_bDpT10_ENKUlT_T0_E_clISt17integral_constantIbLb0EES1P_EEDaS1K_S1L_EUlS1K_E_NS1_11comp_targetILNS1_3genE10ELNS1_11target_archE1200ELNS1_3gpuE4ELNS1_3repE0EEENS1_30default_config_static_selectorELNS0_4arch9wavefront6targetE0EEEvSY_
; %bb.0:
	.section	.rodata,"a",@progbits
	.p2align	6, 0x0
	.amdhsa_kernel _ZN7rocprim17ROCPRIM_400000_NS6detail17trampoline_kernelINS0_13select_configILj256ELj13ELNS0_17block_load_methodE3ELS4_3ELS4_3ELNS0_20block_scan_algorithmE0ELj4294967295EEENS1_25partition_config_selectorILNS1_17partition_subalgoE3EjNS0_10empty_typeEbEEZZNS1_14partition_implILS8_3ELb0ES6_jNS0_17counting_iteratorIjlEEPS9_SE_NS0_5tupleIJPjSE_EEENSF_IJSE_SE_EEES9_SG_JZNS1_25segmented_radix_sort_implINS0_14default_configELb1EPKbPbPKlPlN2at6native12_GLOBAL__N_18offset_tEEE10hipError_tPvRmT1_PNSt15iterator_traitsISY_E10value_typeET2_T3_PNSZ_IS14_E10value_typeET4_jRbjT5_S1A_jjP12ihipStream_tbEUljE_EEESV_SW_SX_S14_S18_S1A_T6_T7_T9_mT8_S1C_bDpT10_ENKUlT_T0_E_clISt17integral_constantIbLb0EES1P_EEDaS1K_S1L_EUlS1K_E_NS1_11comp_targetILNS1_3genE10ELNS1_11target_archE1200ELNS1_3gpuE4ELNS1_3repE0EEENS1_30default_config_static_selectorELNS0_4arch9wavefront6targetE0EEEvSY_
		.amdhsa_group_segment_fixed_size 0
		.amdhsa_private_segment_fixed_size 0
		.amdhsa_kernarg_size 144
		.amdhsa_user_sgpr_count 2
		.amdhsa_user_sgpr_dispatch_ptr 0
		.amdhsa_user_sgpr_queue_ptr 0
		.amdhsa_user_sgpr_kernarg_segment_ptr 1
		.amdhsa_user_sgpr_dispatch_id 0
		.amdhsa_user_sgpr_kernarg_preload_length 0
		.amdhsa_user_sgpr_kernarg_preload_offset 0
		.amdhsa_user_sgpr_private_segment_size 0
		.amdhsa_wavefront_size32 1
		.amdhsa_uses_dynamic_stack 0
		.amdhsa_enable_private_segment 0
		.amdhsa_system_sgpr_workgroup_id_x 1
		.amdhsa_system_sgpr_workgroup_id_y 0
		.amdhsa_system_sgpr_workgroup_id_z 0
		.amdhsa_system_sgpr_workgroup_info 0
		.amdhsa_system_vgpr_workitem_id 0
		.amdhsa_next_free_vgpr 1
		.amdhsa_next_free_sgpr 1
		.amdhsa_named_barrier_count 0
		.amdhsa_reserve_vcc 0
		.amdhsa_float_round_mode_32 0
		.amdhsa_float_round_mode_16_64 0
		.amdhsa_float_denorm_mode_32 3
		.amdhsa_float_denorm_mode_16_64 3
		.amdhsa_fp16_overflow 0
		.amdhsa_memory_ordered 1
		.amdhsa_forward_progress 1
		.amdhsa_inst_pref_size 0
		.amdhsa_round_robin_scheduling 0
		.amdhsa_exception_fp_ieee_invalid_op 0
		.amdhsa_exception_fp_denorm_src 0
		.amdhsa_exception_fp_ieee_div_zero 0
		.amdhsa_exception_fp_ieee_overflow 0
		.amdhsa_exception_fp_ieee_underflow 0
		.amdhsa_exception_fp_ieee_inexact 0
		.amdhsa_exception_int_div_zero 0
	.end_amdhsa_kernel
	.section	.text._ZN7rocprim17ROCPRIM_400000_NS6detail17trampoline_kernelINS0_13select_configILj256ELj13ELNS0_17block_load_methodE3ELS4_3ELS4_3ELNS0_20block_scan_algorithmE0ELj4294967295EEENS1_25partition_config_selectorILNS1_17partition_subalgoE3EjNS0_10empty_typeEbEEZZNS1_14partition_implILS8_3ELb0ES6_jNS0_17counting_iteratorIjlEEPS9_SE_NS0_5tupleIJPjSE_EEENSF_IJSE_SE_EEES9_SG_JZNS1_25segmented_radix_sort_implINS0_14default_configELb1EPKbPbPKlPlN2at6native12_GLOBAL__N_18offset_tEEE10hipError_tPvRmT1_PNSt15iterator_traitsISY_E10value_typeET2_T3_PNSZ_IS14_E10value_typeET4_jRbjT5_S1A_jjP12ihipStream_tbEUljE_EEESV_SW_SX_S14_S18_S1A_T6_T7_T9_mT8_S1C_bDpT10_ENKUlT_T0_E_clISt17integral_constantIbLb0EES1P_EEDaS1K_S1L_EUlS1K_E_NS1_11comp_targetILNS1_3genE10ELNS1_11target_archE1200ELNS1_3gpuE4ELNS1_3repE0EEENS1_30default_config_static_selectorELNS0_4arch9wavefront6targetE0EEEvSY_,"axG",@progbits,_ZN7rocprim17ROCPRIM_400000_NS6detail17trampoline_kernelINS0_13select_configILj256ELj13ELNS0_17block_load_methodE3ELS4_3ELS4_3ELNS0_20block_scan_algorithmE0ELj4294967295EEENS1_25partition_config_selectorILNS1_17partition_subalgoE3EjNS0_10empty_typeEbEEZZNS1_14partition_implILS8_3ELb0ES6_jNS0_17counting_iteratorIjlEEPS9_SE_NS0_5tupleIJPjSE_EEENSF_IJSE_SE_EEES9_SG_JZNS1_25segmented_radix_sort_implINS0_14default_configELb1EPKbPbPKlPlN2at6native12_GLOBAL__N_18offset_tEEE10hipError_tPvRmT1_PNSt15iterator_traitsISY_E10value_typeET2_T3_PNSZ_IS14_E10value_typeET4_jRbjT5_S1A_jjP12ihipStream_tbEUljE_EEESV_SW_SX_S14_S18_S1A_T6_T7_T9_mT8_S1C_bDpT10_ENKUlT_T0_E_clISt17integral_constantIbLb0EES1P_EEDaS1K_S1L_EUlS1K_E_NS1_11comp_targetILNS1_3genE10ELNS1_11target_archE1200ELNS1_3gpuE4ELNS1_3repE0EEENS1_30default_config_static_selectorELNS0_4arch9wavefront6targetE0EEEvSY_,comdat
.Lfunc_end1497:
	.size	_ZN7rocprim17ROCPRIM_400000_NS6detail17trampoline_kernelINS0_13select_configILj256ELj13ELNS0_17block_load_methodE3ELS4_3ELS4_3ELNS0_20block_scan_algorithmE0ELj4294967295EEENS1_25partition_config_selectorILNS1_17partition_subalgoE3EjNS0_10empty_typeEbEEZZNS1_14partition_implILS8_3ELb0ES6_jNS0_17counting_iteratorIjlEEPS9_SE_NS0_5tupleIJPjSE_EEENSF_IJSE_SE_EEES9_SG_JZNS1_25segmented_radix_sort_implINS0_14default_configELb1EPKbPbPKlPlN2at6native12_GLOBAL__N_18offset_tEEE10hipError_tPvRmT1_PNSt15iterator_traitsISY_E10value_typeET2_T3_PNSZ_IS14_E10value_typeET4_jRbjT5_S1A_jjP12ihipStream_tbEUljE_EEESV_SW_SX_S14_S18_S1A_T6_T7_T9_mT8_S1C_bDpT10_ENKUlT_T0_E_clISt17integral_constantIbLb0EES1P_EEDaS1K_S1L_EUlS1K_E_NS1_11comp_targetILNS1_3genE10ELNS1_11target_archE1200ELNS1_3gpuE4ELNS1_3repE0EEENS1_30default_config_static_selectorELNS0_4arch9wavefront6targetE0EEEvSY_, .Lfunc_end1497-_ZN7rocprim17ROCPRIM_400000_NS6detail17trampoline_kernelINS0_13select_configILj256ELj13ELNS0_17block_load_methodE3ELS4_3ELS4_3ELNS0_20block_scan_algorithmE0ELj4294967295EEENS1_25partition_config_selectorILNS1_17partition_subalgoE3EjNS0_10empty_typeEbEEZZNS1_14partition_implILS8_3ELb0ES6_jNS0_17counting_iteratorIjlEEPS9_SE_NS0_5tupleIJPjSE_EEENSF_IJSE_SE_EEES9_SG_JZNS1_25segmented_radix_sort_implINS0_14default_configELb1EPKbPbPKlPlN2at6native12_GLOBAL__N_18offset_tEEE10hipError_tPvRmT1_PNSt15iterator_traitsISY_E10value_typeET2_T3_PNSZ_IS14_E10value_typeET4_jRbjT5_S1A_jjP12ihipStream_tbEUljE_EEESV_SW_SX_S14_S18_S1A_T6_T7_T9_mT8_S1C_bDpT10_ENKUlT_T0_E_clISt17integral_constantIbLb0EES1P_EEDaS1K_S1L_EUlS1K_E_NS1_11comp_targetILNS1_3genE10ELNS1_11target_archE1200ELNS1_3gpuE4ELNS1_3repE0EEENS1_30default_config_static_selectorELNS0_4arch9wavefront6targetE0EEEvSY_
                                        ; -- End function
	.set _ZN7rocprim17ROCPRIM_400000_NS6detail17trampoline_kernelINS0_13select_configILj256ELj13ELNS0_17block_load_methodE3ELS4_3ELS4_3ELNS0_20block_scan_algorithmE0ELj4294967295EEENS1_25partition_config_selectorILNS1_17partition_subalgoE3EjNS0_10empty_typeEbEEZZNS1_14partition_implILS8_3ELb0ES6_jNS0_17counting_iteratorIjlEEPS9_SE_NS0_5tupleIJPjSE_EEENSF_IJSE_SE_EEES9_SG_JZNS1_25segmented_radix_sort_implINS0_14default_configELb1EPKbPbPKlPlN2at6native12_GLOBAL__N_18offset_tEEE10hipError_tPvRmT1_PNSt15iterator_traitsISY_E10value_typeET2_T3_PNSZ_IS14_E10value_typeET4_jRbjT5_S1A_jjP12ihipStream_tbEUljE_EEESV_SW_SX_S14_S18_S1A_T6_T7_T9_mT8_S1C_bDpT10_ENKUlT_T0_E_clISt17integral_constantIbLb0EES1P_EEDaS1K_S1L_EUlS1K_E_NS1_11comp_targetILNS1_3genE10ELNS1_11target_archE1200ELNS1_3gpuE4ELNS1_3repE0EEENS1_30default_config_static_selectorELNS0_4arch9wavefront6targetE0EEEvSY_.num_vgpr, 0
	.set _ZN7rocprim17ROCPRIM_400000_NS6detail17trampoline_kernelINS0_13select_configILj256ELj13ELNS0_17block_load_methodE3ELS4_3ELS4_3ELNS0_20block_scan_algorithmE0ELj4294967295EEENS1_25partition_config_selectorILNS1_17partition_subalgoE3EjNS0_10empty_typeEbEEZZNS1_14partition_implILS8_3ELb0ES6_jNS0_17counting_iteratorIjlEEPS9_SE_NS0_5tupleIJPjSE_EEENSF_IJSE_SE_EEES9_SG_JZNS1_25segmented_radix_sort_implINS0_14default_configELb1EPKbPbPKlPlN2at6native12_GLOBAL__N_18offset_tEEE10hipError_tPvRmT1_PNSt15iterator_traitsISY_E10value_typeET2_T3_PNSZ_IS14_E10value_typeET4_jRbjT5_S1A_jjP12ihipStream_tbEUljE_EEESV_SW_SX_S14_S18_S1A_T6_T7_T9_mT8_S1C_bDpT10_ENKUlT_T0_E_clISt17integral_constantIbLb0EES1P_EEDaS1K_S1L_EUlS1K_E_NS1_11comp_targetILNS1_3genE10ELNS1_11target_archE1200ELNS1_3gpuE4ELNS1_3repE0EEENS1_30default_config_static_selectorELNS0_4arch9wavefront6targetE0EEEvSY_.num_agpr, 0
	.set _ZN7rocprim17ROCPRIM_400000_NS6detail17trampoline_kernelINS0_13select_configILj256ELj13ELNS0_17block_load_methodE3ELS4_3ELS4_3ELNS0_20block_scan_algorithmE0ELj4294967295EEENS1_25partition_config_selectorILNS1_17partition_subalgoE3EjNS0_10empty_typeEbEEZZNS1_14partition_implILS8_3ELb0ES6_jNS0_17counting_iteratorIjlEEPS9_SE_NS0_5tupleIJPjSE_EEENSF_IJSE_SE_EEES9_SG_JZNS1_25segmented_radix_sort_implINS0_14default_configELb1EPKbPbPKlPlN2at6native12_GLOBAL__N_18offset_tEEE10hipError_tPvRmT1_PNSt15iterator_traitsISY_E10value_typeET2_T3_PNSZ_IS14_E10value_typeET4_jRbjT5_S1A_jjP12ihipStream_tbEUljE_EEESV_SW_SX_S14_S18_S1A_T6_T7_T9_mT8_S1C_bDpT10_ENKUlT_T0_E_clISt17integral_constantIbLb0EES1P_EEDaS1K_S1L_EUlS1K_E_NS1_11comp_targetILNS1_3genE10ELNS1_11target_archE1200ELNS1_3gpuE4ELNS1_3repE0EEENS1_30default_config_static_selectorELNS0_4arch9wavefront6targetE0EEEvSY_.numbered_sgpr, 0
	.set _ZN7rocprim17ROCPRIM_400000_NS6detail17trampoline_kernelINS0_13select_configILj256ELj13ELNS0_17block_load_methodE3ELS4_3ELS4_3ELNS0_20block_scan_algorithmE0ELj4294967295EEENS1_25partition_config_selectorILNS1_17partition_subalgoE3EjNS0_10empty_typeEbEEZZNS1_14partition_implILS8_3ELb0ES6_jNS0_17counting_iteratorIjlEEPS9_SE_NS0_5tupleIJPjSE_EEENSF_IJSE_SE_EEES9_SG_JZNS1_25segmented_radix_sort_implINS0_14default_configELb1EPKbPbPKlPlN2at6native12_GLOBAL__N_18offset_tEEE10hipError_tPvRmT1_PNSt15iterator_traitsISY_E10value_typeET2_T3_PNSZ_IS14_E10value_typeET4_jRbjT5_S1A_jjP12ihipStream_tbEUljE_EEESV_SW_SX_S14_S18_S1A_T6_T7_T9_mT8_S1C_bDpT10_ENKUlT_T0_E_clISt17integral_constantIbLb0EES1P_EEDaS1K_S1L_EUlS1K_E_NS1_11comp_targetILNS1_3genE10ELNS1_11target_archE1200ELNS1_3gpuE4ELNS1_3repE0EEENS1_30default_config_static_selectorELNS0_4arch9wavefront6targetE0EEEvSY_.num_named_barrier, 0
	.set _ZN7rocprim17ROCPRIM_400000_NS6detail17trampoline_kernelINS0_13select_configILj256ELj13ELNS0_17block_load_methodE3ELS4_3ELS4_3ELNS0_20block_scan_algorithmE0ELj4294967295EEENS1_25partition_config_selectorILNS1_17partition_subalgoE3EjNS0_10empty_typeEbEEZZNS1_14partition_implILS8_3ELb0ES6_jNS0_17counting_iteratorIjlEEPS9_SE_NS0_5tupleIJPjSE_EEENSF_IJSE_SE_EEES9_SG_JZNS1_25segmented_radix_sort_implINS0_14default_configELb1EPKbPbPKlPlN2at6native12_GLOBAL__N_18offset_tEEE10hipError_tPvRmT1_PNSt15iterator_traitsISY_E10value_typeET2_T3_PNSZ_IS14_E10value_typeET4_jRbjT5_S1A_jjP12ihipStream_tbEUljE_EEESV_SW_SX_S14_S18_S1A_T6_T7_T9_mT8_S1C_bDpT10_ENKUlT_T0_E_clISt17integral_constantIbLb0EES1P_EEDaS1K_S1L_EUlS1K_E_NS1_11comp_targetILNS1_3genE10ELNS1_11target_archE1200ELNS1_3gpuE4ELNS1_3repE0EEENS1_30default_config_static_selectorELNS0_4arch9wavefront6targetE0EEEvSY_.private_seg_size, 0
	.set _ZN7rocprim17ROCPRIM_400000_NS6detail17trampoline_kernelINS0_13select_configILj256ELj13ELNS0_17block_load_methodE3ELS4_3ELS4_3ELNS0_20block_scan_algorithmE0ELj4294967295EEENS1_25partition_config_selectorILNS1_17partition_subalgoE3EjNS0_10empty_typeEbEEZZNS1_14partition_implILS8_3ELb0ES6_jNS0_17counting_iteratorIjlEEPS9_SE_NS0_5tupleIJPjSE_EEENSF_IJSE_SE_EEES9_SG_JZNS1_25segmented_radix_sort_implINS0_14default_configELb1EPKbPbPKlPlN2at6native12_GLOBAL__N_18offset_tEEE10hipError_tPvRmT1_PNSt15iterator_traitsISY_E10value_typeET2_T3_PNSZ_IS14_E10value_typeET4_jRbjT5_S1A_jjP12ihipStream_tbEUljE_EEESV_SW_SX_S14_S18_S1A_T6_T7_T9_mT8_S1C_bDpT10_ENKUlT_T0_E_clISt17integral_constantIbLb0EES1P_EEDaS1K_S1L_EUlS1K_E_NS1_11comp_targetILNS1_3genE10ELNS1_11target_archE1200ELNS1_3gpuE4ELNS1_3repE0EEENS1_30default_config_static_selectorELNS0_4arch9wavefront6targetE0EEEvSY_.uses_vcc, 0
	.set _ZN7rocprim17ROCPRIM_400000_NS6detail17trampoline_kernelINS0_13select_configILj256ELj13ELNS0_17block_load_methodE3ELS4_3ELS4_3ELNS0_20block_scan_algorithmE0ELj4294967295EEENS1_25partition_config_selectorILNS1_17partition_subalgoE3EjNS0_10empty_typeEbEEZZNS1_14partition_implILS8_3ELb0ES6_jNS0_17counting_iteratorIjlEEPS9_SE_NS0_5tupleIJPjSE_EEENSF_IJSE_SE_EEES9_SG_JZNS1_25segmented_radix_sort_implINS0_14default_configELb1EPKbPbPKlPlN2at6native12_GLOBAL__N_18offset_tEEE10hipError_tPvRmT1_PNSt15iterator_traitsISY_E10value_typeET2_T3_PNSZ_IS14_E10value_typeET4_jRbjT5_S1A_jjP12ihipStream_tbEUljE_EEESV_SW_SX_S14_S18_S1A_T6_T7_T9_mT8_S1C_bDpT10_ENKUlT_T0_E_clISt17integral_constantIbLb0EES1P_EEDaS1K_S1L_EUlS1K_E_NS1_11comp_targetILNS1_3genE10ELNS1_11target_archE1200ELNS1_3gpuE4ELNS1_3repE0EEENS1_30default_config_static_selectorELNS0_4arch9wavefront6targetE0EEEvSY_.uses_flat_scratch, 0
	.set _ZN7rocprim17ROCPRIM_400000_NS6detail17trampoline_kernelINS0_13select_configILj256ELj13ELNS0_17block_load_methodE3ELS4_3ELS4_3ELNS0_20block_scan_algorithmE0ELj4294967295EEENS1_25partition_config_selectorILNS1_17partition_subalgoE3EjNS0_10empty_typeEbEEZZNS1_14partition_implILS8_3ELb0ES6_jNS0_17counting_iteratorIjlEEPS9_SE_NS0_5tupleIJPjSE_EEENSF_IJSE_SE_EEES9_SG_JZNS1_25segmented_radix_sort_implINS0_14default_configELb1EPKbPbPKlPlN2at6native12_GLOBAL__N_18offset_tEEE10hipError_tPvRmT1_PNSt15iterator_traitsISY_E10value_typeET2_T3_PNSZ_IS14_E10value_typeET4_jRbjT5_S1A_jjP12ihipStream_tbEUljE_EEESV_SW_SX_S14_S18_S1A_T6_T7_T9_mT8_S1C_bDpT10_ENKUlT_T0_E_clISt17integral_constantIbLb0EES1P_EEDaS1K_S1L_EUlS1K_E_NS1_11comp_targetILNS1_3genE10ELNS1_11target_archE1200ELNS1_3gpuE4ELNS1_3repE0EEENS1_30default_config_static_selectorELNS0_4arch9wavefront6targetE0EEEvSY_.has_dyn_sized_stack, 0
	.set _ZN7rocprim17ROCPRIM_400000_NS6detail17trampoline_kernelINS0_13select_configILj256ELj13ELNS0_17block_load_methodE3ELS4_3ELS4_3ELNS0_20block_scan_algorithmE0ELj4294967295EEENS1_25partition_config_selectorILNS1_17partition_subalgoE3EjNS0_10empty_typeEbEEZZNS1_14partition_implILS8_3ELb0ES6_jNS0_17counting_iteratorIjlEEPS9_SE_NS0_5tupleIJPjSE_EEENSF_IJSE_SE_EEES9_SG_JZNS1_25segmented_radix_sort_implINS0_14default_configELb1EPKbPbPKlPlN2at6native12_GLOBAL__N_18offset_tEEE10hipError_tPvRmT1_PNSt15iterator_traitsISY_E10value_typeET2_T3_PNSZ_IS14_E10value_typeET4_jRbjT5_S1A_jjP12ihipStream_tbEUljE_EEESV_SW_SX_S14_S18_S1A_T6_T7_T9_mT8_S1C_bDpT10_ENKUlT_T0_E_clISt17integral_constantIbLb0EES1P_EEDaS1K_S1L_EUlS1K_E_NS1_11comp_targetILNS1_3genE10ELNS1_11target_archE1200ELNS1_3gpuE4ELNS1_3repE0EEENS1_30default_config_static_selectorELNS0_4arch9wavefront6targetE0EEEvSY_.has_recursion, 0
	.set _ZN7rocprim17ROCPRIM_400000_NS6detail17trampoline_kernelINS0_13select_configILj256ELj13ELNS0_17block_load_methodE3ELS4_3ELS4_3ELNS0_20block_scan_algorithmE0ELj4294967295EEENS1_25partition_config_selectorILNS1_17partition_subalgoE3EjNS0_10empty_typeEbEEZZNS1_14partition_implILS8_3ELb0ES6_jNS0_17counting_iteratorIjlEEPS9_SE_NS0_5tupleIJPjSE_EEENSF_IJSE_SE_EEES9_SG_JZNS1_25segmented_radix_sort_implINS0_14default_configELb1EPKbPbPKlPlN2at6native12_GLOBAL__N_18offset_tEEE10hipError_tPvRmT1_PNSt15iterator_traitsISY_E10value_typeET2_T3_PNSZ_IS14_E10value_typeET4_jRbjT5_S1A_jjP12ihipStream_tbEUljE_EEESV_SW_SX_S14_S18_S1A_T6_T7_T9_mT8_S1C_bDpT10_ENKUlT_T0_E_clISt17integral_constantIbLb0EES1P_EEDaS1K_S1L_EUlS1K_E_NS1_11comp_targetILNS1_3genE10ELNS1_11target_archE1200ELNS1_3gpuE4ELNS1_3repE0EEENS1_30default_config_static_selectorELNS0_4arch9wavefront6targetE0EEEvSY_.has_indirect_call, 0
	.section	.AMDGPU.csdata,"",@progbits
; Kernel info:
; codeLenInByte = 0
; TotalNumSgprs: 0
; NumVgprs: 0
; ScratchSize: 0
; MemoryBound: 0
; FloatMode: 240
; IeeeMode: 1
; LDSByteSize: 0 bytes/workgroup (compile time only)
; SGPRBlocks: 0
; VGPRBlocks: 0
; NumSGPRsForWavesPerEU: 1
; NumVGPRsForWavesPerEU: 1
; NamedBarCnt: 0
; Occupancy: 16
; WaveLimiterHint : 0
; COMPUTE_PGM_RSRC2:SCRATCH_EN: 0
; COMPUTE_PGM_RSRC2:USER_SGPR: 2
; COMPUTE_PGM_RSRC2:TRAP_HANDLER: 0
; COMPUTE_PGM_RSRC2:TGID_X_EN: 1
; COMPUTE_PGM_RSRC2:TGID_Y_EN: 0
; COMPUTE_PGM_RSRC2:TGID_Z_EN: 0
; COMPUTE_PGM_RSRC2:TIDIG_COMP_CNT: 0
	.section	.text._ZN7rocprim17ROCPRIM_400000_NS6detail17trampoline_kernelINS0_13select_configILj256ELj13ELNS0_17block_load_methodE3ELS4_3ELS4_3ELNS0_20block_scan_algorithmE0ELj4294967295EEENS1_25partition_config_selectorILNS1_17partition_subalgoE3EjNS0_10empty_typeEbEEZZNS1_14partition_implILS8_3ELb0ES6_jNS0_17counting_iteratorIjlEEPS9_SE_NS0_5tupleIJPjSE_EEENSF_IJSE_SE_EEES9_SG_JZNS1_25segmented_radix_sort_implINS0_14default_configELb1EPKbPbPKlPlN2at6native12_GLOBAL__N_18offset_tEEE10hipError_tPvRmT1_PNSt15iterator_traitsISY_E10value_typeET2_T3_PNSZ_IS14_E10value_typeET4_jRbjT5_S1A_jjP12ihipStream_tbEUljE_EEESV_SW_SX_S14_S18_S1A_T6_T7_T9_mT8_S1C_bDpT10_ENKUlT_T0_E_clISt17integral_constantIbLb0EES1P_EEDaS1K_S1L_EUlS1K_E_NS1_11comp_targetILNS1_3genE9ELNS1_11target_archE1100ELNS1_3gpuE3ELNS1_3repE0EEENS1_30default_config_static_selectorELNS0_4arch9wavefront6targetE0EEEvSY_,"axG",@progbits,_ZN7rocprim17ROCPRIM_400000_NS6detail17trampoline_kernelINS0_13select_configILj256ELj13ELNS0_17block_load_methodE3ELS4_3ELS4_3ELNS0_20block_scan_algorithmE0ELj4294967295EEENS1_25partition_config_selectorILNS1_17partition_subalgoE3EjNS0_10empty_typeEbEEZZNS1_14partition_implILS8_3ELb0ES6_jNS0_17counting_iteratorIjlEEPS9_SE_NS0_5tupleIJPjSE_EEENSF_IJSE_SE_EEES9_SG_JZNS1_25segmented_radix_sort_implINS0_14default_configELb1EPKbPbPKlPlN2at6native12_GLOBAL__N_18offset_tEEE10hipError_tPvRmT1_PNSt15iterator_traitsISY_E10value_typeET2_T3_PNSZ_IS14_E10value_typeET4_jRbjT5_S1A_jjP12ihipStream_tbEUljE_EEESV_SW_SX_S14_S18_S1A_T6_T7_T9_mT8_S1C_bDpT10_ENKUlT_T0_E_clISt17integral_constantIbLb0EES1P_EEDaS1K_S1L_EUlS1K_E_NS1_11comp_targetILNS1_3genE9ELNS1_11target_archE1100ELNS1_3gpuE3ELNS1_3repE0EEENS1_30default_config_static_selectorELNS0_4arch9wavefront6targetE0EEEvSY_,comdat
	.globl	_ZN7rocprim17ROCPRIM_400000_NS6detail17trampoline_kernelINS0_13select_configILj256ELj13ELNS0_17block_load_methodE3ELS4_3ELS4_3ELNS0_20block_scan_algorithmE0ELj4294967295EEENS1_25partition_config_selectorILNS1_17partition_subalgoE3EjNS0_10empty_typeEbEEZZNS1_14partition_implILS8_3ELb0ES6_jNS0_17counting_iteratorIjlEEPS9_SE_NS0_5tupleIJPjSE_EEENSF_IJSE_SE_EEES9_SG_JZNS1_25segmented_radix_sort_implINS0_14default_configELb1EPKbPbPKlPlN2at6native12_GLOBAL__N_18offset_tEEE10hipError_tPvRmT1_PNSt15iterator_traitsISY_E10value_typeET2_T3_PNSZ_IS14_E10value_typeET4_jRbjT5_S1A_jjP12ihipStream_tbEUljE_EEESV_SW_SX_S14_S18_S1A_T6_T7_T9_mT8_S1C_bDpT10_ENKUlT_T0_E_clISt17integral_constantIbLb0EES1P_EEDaS1K_S1L_EUlS1K_E_NS1_11comp_targetILNS1_3genE9ELNS1_11target_archE1100ELNS1_3gpuE3ELNS1_3repE0EEENS1_30default_config_static_selectorELNS0_4arch9wavefront6targetE0EEEvSY_ ; -- Begin function _ZN7rocprim17ROCPRIM_400000_NS6detail17trampoline_kernelINS0_13select_configILj256ELj13ELNS0_17block_load_methodE3ELS4_3ELS4_3ELNS0_20block_scan_algorithmE0ELj4294967295EEENS1_25partition_config_selectorILNS1_17partition_subalgoE3EjNS0_10empty_typeEbEEZZNS1_14partition_implILS8_3ELb0ES6_jNS0_17counting_iteratorIjlEEPS9_SE_NS0_5tupleIJPjSE_EEENSF_IJSE_SE_EEES9_SG_JZNS1_25segmented_radix_sort_implINS0_14default_configELb1EPKbPbPKlPlN2at6native12_GLOBAL__N_18offset_tEEE10hipError_tPvRmT1_PNSt15iterator_traitsISY_E10value_typeET2_T3_PNSZ_IS14_E10value_typeET4_jRbjT5_S1A_jjP12ihipStream_tbEUljE_EEESV_SW_SX_S14_S18_S1A_T6_T7_T9_mT8_S1C_bDpT10_ENKUlT_T0_E_clISt17integral_constantIbLb0EES1P_EEDaS1K_S1L_EUlS1K_E_NS1_11comp_targetILNS1_3genE9ELNS1_11target_archE1100ELNS1_3gpuE3ELNS1_3repE0EEENS1_30default_config_static_selectorELNS0_4arch9wavefront6targetE0EEEvSY_
	.p2align	8
	.type	_ZN7rocprim17ROCPRIM_400000_NS6detail17trampoline_kernelINS0_13select_configILj256ELj13ELNS0_17block_load_methodE3ELS4_3ELS4_3ELNS0_20block_scan_algorithmE0ELj4294967295EEENS1_25partition_config_selectorILNS1_17partition_subalgoE3EjNS0_10empty_typeEbEEZZNS1_14partition_implILS8_3ELb0ES6_jNS0_17counting_iteratorIjlEEPS9_SE_NS0_5tupleIJPjSE_EEENSF_IJSE_SE_EEES9_SG_JZNS1_25segmented_radix_sort_implINS0_14default_configELb1EPKbPbPKlPlN2at6native12_GLOBAL__N_18offset_tEEE10hipError_tPvRmT1_PNSt15iterator_traitsISY_E10value_typeET2_T3_PNSZ_IS14_E10value_typeET4_jRbjT5_S1A_jjP12ihipStream_tbEUljE_EEESV_SW_SX_S14_S18_S1A_T6_T7_T9_mT8_S1C_bDpT10_ENKUlT_T0_E_clISt17integral_constantIbLb0EES1P_EEDaS1K_S1L_EUlS1K_E_NS1_11comp_targetILNS1_3genE9ELNS1_11target_archE1100ELNS1_3gpuE3ELNS1_3repE0EEENS1_30default_config_static_selectorELNS0_4arch9wavefront6targetE0EEEvSY_,@function
_ZN7rocprim17ROCPRIM_400000_NS6detail17trampoline_kernelINS0_13select_configILj256ELj13ELNS0_17block_load_methodE3ELS4_3ELS4_3ELNS0_20block_scan_algorithmE0ELj4294967295EEENS1_25partition_config_selectorILNS1_17partition_subalgoE3EjNS0_10empty_typeEbEEZZNS1_14partition_implILS8_3ELb0ES6_jNS0_17counting_iteratorIjlEEPS9_SE_NS0_5tupleIJPjSE_EEENSF_IJSE_SE_EEES9_SG_JZNS1_25segmented_radix_sort_implINS0_14default_configELb1EPKbPbPKlPlN2at6native12_GLOBAL__N_18offset_tEEE10hipError_tPvRmT1_PNSt15iterator_traitsISY_E10value_typeET2_T3_PNSZ_IS14_E10value_typeET4_jRbjT5_S1A_jjP12ihipStream_tbEUljE_EEESV_SW_SX_S14_S18_S1A_T6_T7_T9_mT8_S1C_bDpT10_ENKUlT_T0_E_clISt17integral_constantIbLb0EES1P_EEDaS1K_S1L_EUlS1K_E_NS1_11comp_targetILNS1_3genE9ELNS1_11target_archE1100ELNS1_3gpuE3ELNS1_3repE0EEENS1_30default_config_static_selectorELNS0_4arch9wavefront6targetE0EEEvSY_: ; @_ZN7rocprim17ROCPRIM_400000_NS6detail17trampoline_kernelINS0_13select_configILj256ELj13ELNS0_17block_load_methodE3ELS4_3ELS4_3ELNS0_20block_scan_algorithmE0ELj4294967295EEENS1_25partition_config_selectorILNS1_17partition_subalgoE3EjNS0_10empty_typeEbEEZZNS1_14partition_implILS8_3ELb0ES6_jNS0_17counting_iteratorIjlEEPS9_SE_NS0_5tupleIJPjSE_EEENSF_IJSE_SE_EEES9_SG_JZNS1_25segmented_radix_sort_implINS0_14default_configELb1EPKbPbPKlPlN2at6native12_GLOBAL__N_18offset_tEEE10hipError_tPvRmT1_PNSt15iterator_traitsISY_E10value_typeET2_T3_PNSZ_IS14_E10value_typeET4_jRbjT5_S1A_jjP12ihipStream_tbEUljE_EEESV_SW_SX_S14_S18_S1A_T6_T7_T9_mT8_S1C_bDpT10_ENKUlT_T0_E_clISt17integral_constantIbLb0EES1P_EEDaS1K_S1L_EUlS1K_E_NS1_11comp_targetILNS1_3genE9ELNS1_11target_archE1100ELNS1_3gpuE3ELNS1_3repE0EEENS1_30default_config_static_selectorELNS0_4arch9wavefront6targetE0EEEvSY_
; %bb.0:
	.section	.rodata,"a",@progbits
	.p2align	6, 0x0
	.amdhsa_kernel _ZN7rocprim17ROCPRIM_400000_NS6detail17trampoline_kernelINS0_13select_configILj256ELj13ELNS0_17block_load_methodE3ELS4_3ELS4_3ELNS0_20block_scan_algorithmE0ELj4294967295EEENS1_25partition_config_selectorILNS1_17partition_subalgoE3EjNS0_10empty_typeEbEEZZNS1_14partition_implILS8_3ELb0ES6_jNS0_17counting_iteratorIjlEEPS9_SE_NS0_5tupleIJPjSE_EEENSF_IJSE_SE_EEES9_SG_JZNS1_25segmented_radix_sort_implINS0_14default_configELb1EPKbPbPKlPlN2at6native12_GLOBAL__N_18offset_tEEE10hipError_tPvRmT1_PNSt15iterator_traitsISY_E10value_typeET2_T3_PNSZ_IS14_E10value_typeET4_jRbjT5_S1A_jjP12ihipStream_tbEUljE_EEESV_SW_SX_S14_S18_S1A_T6_T7_T9_mT8_S1C_bDpT10_ENKUlT_T0_E_clISt17integral_constantIbLb0EES1P_EEDaS1K_S1L_EUlS1K_E_NS1_11comp_targetILNS1_3genE9ELNS1_11target_archE1100ELNS1_3gpuE3ELNS1_3repE0EEENS1_30default_config_static_selectorELNS0_4arch9wavefront6targetE0EEEvSY_
		.amdhsa_group_segment_fixed_size 0
		.amdhsa_private_segment_fixed_size 0
		.amdhsa_kernarg_size 144
		.amdhsa_user_sgpr_count 2
		.amdhsa_user_sgpr_dispatch_ptr 0
		.amdhsa_user_sgpr_queue_ptr 0
		.amdhsa_user_sgpr_kernarg_segment_ptr 1
		.amdhsa_user_sgpr_dispatch_id 0
		.amdhsa_user_sgpr_kernarg_preload_length 0
		.amdhsa_user_sgpr_kernarg_preload_offset 0
		.amdhsa_user_sgpr_private_segment_size 0
		.amdhsa_wavefront_size32 1
		.amdhsa_uses_dynamic_stack 0
		.amdhsa_enable_private_segment 0
		.amdhsa_system_sgpr_workgroup_id_x 1
		.amdhsa_system_sgpr_workgroup_id_y 0
		.amdhsa_system_sgpr_workgroup_id_z 0
		.amdhsa_system_sgpr_workgroup_info 0
		.amdhsa_system_vgpr_workitem_id 0
		.amdhsa_next_free_vgpr 1
		.amdhsa_next_free_sgpr 1
		.amdhsa_named_barrier_count 0
		.amdhsa_reserve_vcc 0
		.amdhsa_float_round_mode_32 0
		.amdhsa_float_round_mode_16_64 0
		.amdhsa_float_denorm_mode_32 3
		.amdhsa_float_denorm_mode_16_64 3
		.amdhsa_fp16_overflow 0
		.amdhsa_memory_ordered 1
		.amdhsa_forward_progress 1
		.amdhsa_inst_pref_size 0
		.amdhsa_round_robin_scheduling 0
		.amdhsa_exception_fp_ieee_invalid_op 0
		.amdhsa_exception_fp_denorm_src 0
		.amdhsa_exception_fp_ieee_div_zero 0
		.amdhsa_exception_fp_ieee_overflow 0
		.amdhsa_exception_fp_ieee_underflow 0
		.amdhsa_exception_fp_ieee_inexact 0
		.amdhsa_exception_int_div_zero 0
	.end_amdhsa_kernel
	.section	.text._ZN7rocprim17ROCPRIM_400000_NS6detail17trampoline_kernelINS0_13select_configILj256ELj13ELNS0_17block_load_methodE3ELS4_3ELS4_3ELNS0_20block_scan_algorithmE0ELj4294967295EEENS1_25partition_config_selectorILNS1_17partition_subalgoE3EjNS0_10empty_typeEbEEZZNS1_14partition_implILS8_3ELb0ES6_jNS0_17counting_iteratorIjlEEPS9_SE_NS0_5tupleIJPjSE_EEENSF_IJSE_SE_EEES9_SG_JZNS1_25segmented_radix_sort_implINS0_14default_configELb1EPKbPbPKlPlN2at6native12_GLOBAL__N_18offset_tEEE10hipError_tPvRmT1_PNSt15iterator_traitsISY_E10value_typeET2_T3_PNSZ_IS14_E10value_typeET4_jRbjT5_S1A_jjP12ihipStream_tbEUljE_EEESV_SW_SX_S14_S18_S1A_T6_T7_T9_mT8_S1C_bDpT10_ENKUlT_T0_E_clISt17integral_constantIbLb0EES1P_EEDaS1K_S1L_EUlS1K_E_NS1_11comp_targetILNS1_3genE9ELNS1_11target_archE1100ELNS1_3gpuE3ELNS1_3repE0EEENS1_30default_config_static_selectorELNS0_4arch9wavefront6targetE0EEEvSY_,"axG",@progbits,_ZN7rocprim17ROCPRIM_400000_NS6detail17trampoline_kernelINS0_13select_configILj256ELj13ELNS0_17block_load_methodE3ELS4_3ELS4_3ELNS0_20block_scan_algorithmE0ELj4294967295EEENS1_25partition_config_selectorILNS1_17partition_subalgoE3EjNS0_10empty_typeEbEEZZNS1_14partition_implILS8_3ELb0ES6_jNS0_17counting_iteratorIjlEEPS9_SE_NS0_5tupleIJPjSE_EEENSF_IJSE_SE_EEES9_SG_JZNS1_25segmented_radix_sort_implINS0_14default_configELb1EPKbPbPKlPlN2at6native12_GLOBAL__N_18offset_tEEE10hipError_tPvRmT1_PNSt15iterator_traitsISY_E10value_typeET2_T3_PNSZ_IS14_E10value_typeET4_jRbjT5_S1A_jjP12ihipStream_tbEUljE_EEESV_SW_SX_S14_S18_S1A_T6_T7_T9_mT8_S1C_bDpT10_ENKUlT_T0_E_clISt17integral_constantIbLb0EES1P_EEDaS1K_S1L_EUlS1K_E_NS1_11comp_targetILNS1_3genE9ELNS1_11target_archE1100ELNS1_3gpuE3ELNS1_3repE0EEENS1_30default_config_static_selectorELNS0_4arch9wavefront6targetE0EEEvSY_,comdat
.Lfunc_end1498:
	.size	_ZN7rocprim17ROCPRIM_400000_NS6detail17trampoline_kernelINS0_13select_configILj256ELj13ELNS0_17block_load_methodE3ELS4_3ELS4_3ELNS0_20block_scan_algorithmE0ELj4294967295EEENS1_25partition_config_selectorILNS1_17partition_subalgoE3EjNS0_10empty_typeEbEEZZNS1_14partition_implILS8_3ELb0ES6_jNS0_17counting_iteratorIjlEEPS9_SE_NS0_5tupleIJPjSE_EEENSF_IJSE_SE_EEES9_SG_JZNS1_25segmented_radix_sort_implINS0_14default_configELb1EPKbPbPKlPlN2at6native12_GLOBAL__N_18offset_tEEE10hipError_tPvRmT1_PNSt15iterator_traitsISY_E10value_typeET2_T3_PNSZ_IS14_E10value_typeET4_jRbjT5_S1A_jjP12ihipStream_tbEUljE_EEESV_SW_SX_S14_S18_S1A_T6_T7_T9_mT8_S1C_bDpT10_ENKUlT_T0_E_clISt17integral_constantIbLb0EES1P_EEDaS1K_S1L_EUlS1K_E_NS1_11comp_targetILNS1_3genE9ELNS1_11target_archE1100ELNS1_3gpuE3ELNS1_3repE0EEENS1_30default_config_static_selectorELNS0_4arch9wavefront6targetE0EEEvSY_, .Lfunc_end1498-_ZN7rocprim17ROCPRIM_400000_NS6detail17trampoline_kernelINS0_13select_configILj256ELj13ELNS0_17block_load_methodE3ELS4_3ELS4_3ELNS0_20block_scan_algorithmE0ELj4294967295EEENS1_25partition_config_selectorILNS1_17partition_subalgoE3EjNS0_10empty_typeEbEEZZNS1_14partition_implILS8_3ELb0ES6_jNS0_17counting_iteratorIjlEEPS9_SE_NS0_5tupleIJPjSE_EEENSF_IJSE_SE_EEES9_SG_JZNS1_25segmented_radix_sort_implINS0_14default_configELb1EPKbPbPKlPlN2at6native12_GLOBAL__N_18offset_tEEE10hipError_tPvRmT1_PNSt15iterator_traitsISY_E10value_typeET2_T3_PNSZ_IS14_E10value_typeET4_jRbjT5_S1A_jjP12ihipStream_tbEUljE_EEESV_SW_SX_S14_S18_S1A_T6_T7_T9_mT8_S1C_bDpT10_ENKUlT_T0_E_clISt17integral_constantIbLb0EES1P_EEDaS1K_S1L_EUlS1K_E_NS1_11comp_targetILNS1_3genE9ELNS1_11target_archE1100ELNS1_3gpuE3ELNS1_3repE0EEENS1_30default_config_static_selectorELNS0_4arch9wavefront6targetE0EEEvSY_
                                        ; -- End function
	.set _ZN7rocprim17ROCPRIM_400000_NS6detail17trampoline_kernelINS0_13select_configILj256ELj13ELNS0_17block_load_methodE3ELS4_3ELS4_3ELNS0_20block_scan_algorithmE0ELj4294967295EEENS1_25partition_config_selectorILNS1_17partition_subalgoE3EjNS0_10empty_typeEbEEZZNS1_14partition_implILS8_3ELb0ES6_jNS0_17counting_iteratorIjlEEPS9_SE_NS0_5tupleIJPjSE_EEENSF_IJSE_SE_EEES9_SG_JZNS1_25segmented_radix_sort_implINS0_14default_configELb1EPKbPbPKlPlN2at6native12_GLOBAL__N_18offset_tEEE10hipError_tPvRmT1_PNSt15iterator_traitsISY_E10value_typeET2_T3_PNSZ_IS14_E10value_typeET4_jRbjT5_S1A_jjP12ihipStream_tbEUljE_EEESV_SW_SX_S14_S18_S1A_T6_T7_T9_mT8_S1C_bDpT10_ENKUlT_T0_E_clISt17integral_constantIbLb0EES1P_EEDaS1K_S1L_EUlS1K_E_NS1_11comp_targetILNS1_3genE9ELNS1_11target_archE1100ELNS1_3gpuE3ELNS1_3repE0EEENS1_30default_config_static_selectorELNS0_4arch9wavefront6targetE0EEEvSY_.num_vgpr, 0
	.set _ZN7rocprim17ROCPRIM_400000_NS6detail17trampoline_kernelINS0_13select_configILj256ELj13ELNS0_17block_load_methodE3ELS4_3ELS4_3ELNS0_20block_scan_algorithmE0ELj4294967295EEENS1_25partition_config_selectorILNS1_17partition_subalgoE3EjNS0_10empty_typeEbEEZZNS1_14partition_implILS8_3ELb0ES6_jNS0_17counting_iteratorIjlEEPS9_SE_NS0_5tupleIJPjSE_EEENSF_IJSE_SE_EEES9_SG_JZNS1_25segmented_radix_sort_implINS0_14default_configELb1EPKbPbPKlPlN2at6native12_GLOBAL__N_18offset_tEEE10hipError_tPvRmT1_PNSt15iterator_traitsISY_E10value_typeET2_T3_PNSZ_IS14_E10value_typeET4_jRbjT5_S1A_jjP12ihipStream_tbEUljE_EEESV_SW_SX_S14_S18_S1A_T6_T7_T9_mT8_S1C_bDpT10_ENKUlT_T0_E_clISt17integral_constantIbLb0EES1P_EEDaS1K_S1L_EUlS1K_E_NS1_11comp_targetILNS1_3genE9ELNS1_11target_archE1100ELNS1_3gpuE3ELNS1_3repE0EEENS1_30default_config_static_selectorELNS0_4arch9wavefront6targetE0EEEvSY_.num_agpr, 0
	.set _ZN7rocprim17ROCPRIM_400000_NS6detail17trampoline_kernelINS0_13select_configILj256ELj13ELNS0_17block_load_methodE3ELS4_3ELS4_3ELNS0_20block_scan_algorithmE0ELj4294967295EEENS1_25partition_config_selectorILNS1_17partition_subalgoE3EjNS0_10empty_typeEbEEZZNS1_14partition_implILS8_3ELb0ES6_jNS0_17counting_iteratorIjlEEPS9_SE_NS0_5tupleIJPjSE_EEENSF_IJSE_SE_EEES9_SG_JZNS1_25segmented_radix_sort_implINS0_14default_configELb1EPKbPbPKlPlN2at6native12_GLOBAL__N_18offset_tEEE10hipError_tPvRmT1_PNSt15iterator_traitsISY_E10value_typeET2_T3_PNSZ_IS14_E10value_typeET4_jRbjT5_S1A_jjP12ihipStream_tbEUljE_EEESV_SW_SX_S14_S18_S1A_T6_T7_T9_mT8_S1C_bDpT10_ENKUlT_T0_E_clISt17integral_constantIbLb0EES1P_EEDaS1K_S1L_EUlS1K_E_NS1_11comp_targetILNS1_3genE9ELNS1_11target_archE1100ELNS1_3gpuE3ELNS1_3repE0EEENS1_30default_config_static_selectorELNS0_4arch9wavefront6targetE0EEEvSY_.numbered_sgpr, 0
	.set _ZN7rocprim17ROCPRIM_400000_NS6detail17trampoline_kernelINS0_13select_configILj256ELj13ELNS0_17block_load_methodE3ELS4_3ELS4_3ELNS0_20block_scan_algorithmE0ELj4294967295EEENS1_25partition_config_selectorILNS1_17partition_subalgoE3EjNS0_10empty_typeEbEEZZNS1_14partition_implILS8_3ELb0ES6_jNS0_17counting_iteratorIjlEEPS9_SE_NS0_5tupleIJPjSE_EEENSF_IJSE_SE_EEES9_SG_JZNS1_25segmented_radix_sort_implINS0_14default_configELb1EPKbPbPKlPlN2at6native12_GLOBAL__N_18offset_tEEE10hipError_tPvRmT1_PNSt15iterator_traitsISY_E10value_typeET2_T3_PNSZ_IS14_E10value_typeET4_jRbjT5_S1A_jjP12ihipStream_tbEUljE_EEESV_SW_SX_S14_S18_S1A_T6_T7_T9_mT8_S1C_bDpT10_ENKUlT_T0_E_clISt17integral_constantIbLb0EES1P_EEDaS1K_S1L_EUlS1K_E_NS1_11comp_targetILNS1_3genE9ELNS1_11target_archE1100ELNS1_3gpuE3ELNS1_3repE0EEENS1_30default_config_static_selectorELNS0_4arch9wavefront6targetE0EEEvSY_.num_named_barrier, 0
	.set _ZN7rocprim17ROCPRIM_400000_NS6detail17trampoline_kernelINS0_13select_configILj256ELj13ELNS0_17block_load_methodE3ELS4_3ELS4_3ELNS0_20block_scan_algorithmE0ELj4294967295EEENS1_25partition_config_selectorILNS1_17partition_subalgoE3EjNS0_10empty_typeEbEEZZNS1_14partition_implILS8_3ELb0ES6_jNS0_17counting_iteratorIjlEEPS9_SE_NS0_5tupleIJPjSE_EEENSF_IJSE_SE_EEES9_SG_JZNS1_25segmented_radix_sort_implINS0_14default_configELb1EPKbPbPKlPlN2at6native12_GLOBAL__N_18offset_tEEE10hipError_tPvRmT1_PNSt15iterator_traitsISY_E10value_typeET2_T3_PNSZ_IS14_E10value_typeET4_jRbjT5_S1A_jjP12ihipStream_tbEUljE_EEESV_SW_SX_S14_S18_S1A_T6_T7_T9_mT8_S1C_bDpT10_ENKUlT_T0_E_clISt17integral_constantIbLb0EES1P_EEDaS1K_S1L_EUlS1K_E_NS1_11comp_targetILNS1_3genE9ELNS1_11target_archE1100ELNS1_3gpuE3ELNS1_3repE0EEENS1_30default_config_static_selectorELNS0_4arch9wavefront6targetE0EEEvSY_.private_seg_size, 0
	.set _ZN7rocprim17ROCPRIM_400000_NS6detail17trampoline_kernelINS0_13select_configILj256ELj13ELNS0_17block_load_methodE3ELS4_3ELS4_3ELNS0_20block_scan_algorithmE0ELj4294967295EEENS1_25partition_config_selectorILNS1_17partition_subalgoE3EjNS0_10empty_typeEbEEZZNS1_14partition_implILS8_3ELb0ES6_jNS0_17counting_iteratorIjlEEPS9_SE_NS0_5tupleIJPjSE_EEENSF_IJSE_SE_EEES9_SG_JZNS1_25segmented_radix_sort_implINS0_14default_configELb1EPKbPbPKlPlN2at6native12_GLOBAL__N_18offset_tEEE10hipError_tPvRmT1_PNSt15iterator_traitsISY_E10value_typeET2_T3_PNSZ_IS14_E10value_typeET4_jRbjT5_S1A_jjP12ihipStream_tbEUljE_EEESV_SW_SX_S14_S18_S1A_T6_T7_T9_mT8_S1C_bDpT10_ENKUlT_T0_E_clISt17integral_constantIbLb0EES1P_EEDaS1K_S1L_EUlS1K_E_NS1_11comp_targetILNS1_3genE9ELNS1_11target_archE1100ELNS1_3gpuE3ELNS1_3repE0EEENS1_30default_config_static_selectorELNS0_4arch9wavefront6targetE0EEEvSY_.uses_vcc, 0
	.set _ZN7rocprim17ROCPRIM_400000_NS6detail17trampoline_kernelINS0_13select_configILj256ELj13ELNS0_17block_load_methodE3ELS4_3ELS4_3ELNS0_20block_scan_algorithmE0ELj4294967295EEENS1_25partition_config_selectorILNS1_17partition_subalgoE3EjNS0_10empty_typeEbEEZZNS1_14partition_implILS8_3ELb0ES6_jNS0_17counting_iteratorIjlEEPS9_SE_NS0_5tupleIJPjSE_EEENSF_IJSE_SE_EEES9_SG_JZNS1_25segmented_radix_sort_implINS0_14default_configELb1EPKbPbPKlPlN2at6native12_GLOBAL__N_18offset_tEEE10hipError_tPvRmT1_PNSt15iterator_traitsISY_E10value_typeET2_T3_PNSZ_IS14_E10value_typeET4_jRbjT5_S1A_jjP12ihipStream_tbEUljE_EEESV_SW_SX_S14_S18_S1A_T6_T7_T9_mT8_S1C_bDpT10_ENKUlT_T0_E_clISt17integral_constantIbLb0EES1P_EEDaS1K_S1L_EUlS1K_E_NS1_11comp_targetILNS1_3genE9ELNS1_11target_archE1100ELNS1_3gpuE3ELNS1_3repE0EEENS1_30default_config_static_selectorELNS0_4arch9wavefront6targetE0EEEvSY_.uses_flat_scratch, 0
	.set _ZN7rocprim17ROCPRIM_400000_NS6detail17trampoline_kernelINS0_13select_configILj256ELj13ELNS0_17block_load_methodE3ELS4_3ELS4_3ELNS0_20block_scan_algorithmE0ELj4294967295EEENS1_25partition_config_selectorILNS1_17partition_subalgoE3EjNS0_10empty_typeEbEEZZNS1_14partition_implILS8_3ELb0ES6_jNS0_17counting_iteratorIjlEEPS9_SE_NS0_5tupleIJPjSE_EEENSF_IJSE_SE_EEES9_SG_JZNS1_25segmented_radix_sort_implINS0_14default_configELb1EPKbPbPKlPlN2at6native12_GLOBAL__N_18offset_tEEE10hipError_tPvRmT1_PNSt15iterator_traitsISY_E10value_typeET2_T3_PNSZ_IS14_E10value_typeET4_jRbjT5_S1A_jjP12ihipStream_tbEUljE_EEESV_SW_SX_S14_S18_S1A_T6_T7_T9_mT8_S1C_bDpT10_ENKUlT_T0_E_clISt17integral_constantIbLb0EES1P_EEDaS1K_S1L_EUlS1K_E_NS1_11comp_targetILNS1_3genE9ELNS1_11target_archE1100ELNS1_3gpuE3ELNS1_3repE0EEENS1_30default_config_static_selectorELNS0_4arch9wavefront6targetE0EEEvSY_.has_dyn_sized_stack, 0
	.set _ZN7rocprim17ROCPRIM_400000_NS6detail17trampoline_kernelINS0_13select_configILj256ELj13ELNS0_17block_load_methodE3ELS4_3ELS4_3ELNS0_20block_scan_algorithmE0ELj4294967295EEENS1_25partition_config_selectorILNS1_17partition_subalgoE3EjNS0_10empty_typeEbEEZZNS1_14partition_implILS8_3ELb0ES6_jNS0_17counting_iteratorIjlEEPS9_SE_NS0_5tupleIJPjSE_EEENSF_IJSE_SE_EEES9_SG_JZNS1_25segmented_radix_sort_implINS0_14default_configELb1EPKbPbPKlPlN2at6native12_GLOBAL__N_18offset_tEEE10hipError_tPvRmT1_PNSt15iterator_traitsISY_E10value_typeET2_T3_PNSZ_IS14_E10value_typeET4_jRbjT5_S1A_jjP12ihipStream_tbEUljE_EEESV_SW_SX_S14_S18_S1A_T6_T7_T9_mT8_S1C_bDpT10_ENKUlT_T0_E_clISt17integral_constantIbLb0EES1P_EEDaS1K_S1L_EUlS1K_E_NS1_11comp_targetILNS1_3genE9ELNS1_11target_archE1100ELNS1_3gpuE3ELNS1_3repE0EEENS1_30default_config_static_selectorELNS0_4arch9wavefront6targetE0EEEvSY_.has_recursion, 0
	.set _ZN7rocprim17ROCPRIM_400000_NS6detail17trampoline_kernelINS0_13select_configILj256ELj13ELNS0_17block_load_methodE3ELS4_3ELS4_3ELNS0_20block_scan_algorithmE0ELj4294967295EEENS1_25partition_config_selectorILNS1_17partition_subalgoE3EjNS0_10empty_typeEbEEZZNS1_14partition_implILS8_3ELb0ES6_jNS0_17counting_iteratorIjlEEPS9_SE_NS0_5tupleIJPjSE_EEENSF_IJSE_SE_EEES9_SG_JZNS1_25segmented_radix_sort_implINS0_14default_configELb1EPKbPbPKlPlN2at6native12_GLOBAL__N_18offset_tEEE10hipError_tPvRmT1_PNSt15iterator_traitsISY_E10value_typeET2_T3_PNSZ_IS14_E10value_typeET4_jRbjT5_S1A_jjP12ihipStream_tbEUljE_EEESV_SW_SX_S14_S18_S1A_T6_T7_T9_mT8_S1C_bDpT10_ENKUlT_T0_E_clISt17integral_constantIbLb0EES1P_EEDaS1K_S1L_EUlS1K_E_NS1_11comp_targetILNS1_3genE9ELNS1_11target_archE1100ELNS1_3gpuE3ELNS1_3repE0EEENS1_30default_config_static_selectorELNS0_4arch9wavefront6targetE0EEEvSY_.has_indirect_call, 0
	.section	.AMDGPU.csdata,"",@progbits
; Kernel info:
; codeLenInByte = 0
; TotalNumSgprs: 0
; NumVgprs: 0
; ScratchSize: 0
; MemoryBound: 0
; FloatMode: 240
; IeeeMode: 1
; LDSByteSize: 0 bytes/workgroup (compile time only)
; SGPRBlocks: 0
; VGPRBlocks: 0
; NumSGPRsForWavesPerEU: 1
; NumVGPRsForWavesPerEU: 1
; NamedBarCnt: 0
; Occupancy: 16
; WaveLimiterHint : 0
; COMPUTE_PGM_RSRC2:SCRATCH_EN: 0
; COMPUTE_PGM_RSRC2:USER_SGPR: 2
; COMPUTE_PGM_RSRC2:TRAP_HANDLER: 0
; COMPUTE_PGM_RSRC2:TGID_X_EN: 1
; COMPUTE_PGM_RSRC2:TGID_Y_EN: 0
; COMPUTE_PGM_RSRC2:TGID_Z_EN: 0
; COMPUTE_PGM_RSRC2:TIDIG_COMP_CNT: 0
	.section	.text._ZN7rocprim17ROCPRIM_400000_NS6detail17trampoline_kernelINS0_13select_configILj256ELj13ELNS0_17block_load_methodE3ELS4_3ELS4_3ELNS0_20block_scan_algorithmE0ELj4294967295EEENS1_25partition_config_selectorILNS1_17partition_subalgoE3EjNS0_10empty_typeEbEEZZNS1_14partition_implILS8_3ELb0ES6_jNS0_17counting_iteratorIjlEEPS9_SE_NS0_5tupleIJPjSE_EEENSF_IJSE_SE_EEES9_SG_JZNS1_25segmented_radix_sort_implINS0_14default_configELb1EPKbPbPKlPlN2at6native12_GLOBAL__N_18offset_tEEE10hipError_tPvRmT1_PNSt15iterator_traitsISY_E10value_typeET2_T3_PNSZ_IS14_E10value_typeET4_jRbjT5_S1A_jjP12ihipStream_tbEUljE_EEESV_SW_SX_S14_S18_S1A_T6_T7_T9_mT8_S1C_bDpT10_ENKUlT_T0_E_clISt17integral_constantIbLb0EES1P_EEDaS1K_S1L_EUlS1K_E_NS1_11comp_targetILNS1_3genE8ELNS1_11target_archE1030ELNS1_3gpuE2ELNS1_3repE0EEENS1_30default_config_static_selectorELNS0_4arch9wavefront6targetE0EEEvSY_,"axG",@progbits,_ZN7rocprim17ROCPRIM_400000_NS6detail17trampoline_kernelINS0_13select_configILj256ELj13ELNS0_17block_load_methodE3ELS4_3ELS4_3ELNS0_20block_scan_algorithmE0ELj4294967295EEENS1_25partition_config_selectorILNS1_17partition_subalgoE3EjNS0_10empty_typeEbEEZZNS1_14partition_implILS8_3ELb0ES6_jNS0_17counting_iteratorIjlEEPS9_SE_NS0_5tupleIJPjSE_EEENSF_IJSE_SE_EEES9_SG_JZNS1_25segmented_radix_sort_implINS0_14default_configELb1EPKbPbPKlPlN2at6native12_GLOBAL__N_18offset_tEEE10hipError_tPvRmT1_PNSt15iterator_traitsISY_E10value_typeET2_T3_PNSZ_IS14_E10value_typeET4_jRbjT5_S1A_jjP12ihipStream_tbEUljE_EEESV_SW_SX_S14_S18_S1A_T6_T7_T9_mT8_S1C_bDpT10_ENKUlT_T0_E_clISt17integral_constantIbLb0EES1P_EEDaS1K_S1L_EUlS1K_E_NS1_11comp_targetILNS1_3genE8ELNS1_11target_archE1030ELNS1_3gpuE2ELNS1_3repE0EEENS1_30default_config_static_selectorELNS0_4arch9wavefront6targetE0EEEvSY_,comdat
	.globl	_ZN7rocprim17ROCPRIM_400000_NS6detail17trampoline_kernelINS0_13select_configILj256ELj13ELNS0_17block_load_methodE3ELS4_3ELS4_3ELNS0_20block_scan_algorithmE0ELj4294967295EEENS1_25partition_config_selectorILNS1_17partition_subalgoE3EjNS0_10empty_typeEbEEZZNS1_14partition_implILS8_3ELb0ES6_jNS0_17counting_iteratorIjlEEPS9_SE_NS0_5tupleIJPjSE_EEENSF_IJSE_SE_EEES9_SG_JZNS1_25segmented_radix_sort_implINS0_14default_configELb1EPKbPbPKlPlN2at6native12_GLOBAL__N_18offset_tEEE10hipError_tPvRmT1_PNSt15iterator_traitsISY_E10value_typeET2_T3_PNSZ_IS14_E10value_typeET4_jRbjT5_S1A_jjP12ihipStream_tbEUljE_EEESV_SW_SX_S14_S18_S1A_T6_T7_T9_mT8_S1C_bDpT10_ENKUlT_T0_E_clISt17integral_constantIbLb0EES1P_EEDaS1K_S1L_EUlS1K_E_NS1_11comp_targetILNS1_3genE8ELNS1_11target_archE1030ELNS1_3gpuE2ELNS1_3repE0EEENS1_30default_config_static_selectorELNS0_4arch9wavefront6targetE0EEEvSY_ ; -- Begin function _ZN7rocprim17ROCPRIM_400000_NS6detail17trampoline_kernelINS0_13select_configILj256ELj13ELNS0_17block_load_methodE3ELS4_3ELS4_3ELNS0_20block_scan_algorithmE0ELj4294967295EEENS1_25partition_config_selectorILNS1_17partition_subalgoE3EjNS0_10empty_typeEbEEZZNS1_14partition_implILS8_3ELb0ES6_jNS0_17counting_iteratorIjlEEPS9_SE_NS0_5tupleIJPjSE_EEENSF_IJSE_SE_EEES9_SG_JZNS1_25segmented_radix_sort_implINS0_14default_configELb1EPKbPbPKlPlN2at6native12_GLOBAL__N_18offset_tEEE10hipError_tPvRmT1_PNSt15iterator_traitsISY_E10value_typeET2_T3_PNSZ_IS14_E10value_typeET4_jRbjT5_S1A_jjP12ihipStream_tbEUljE_EEESV_SW_SX_S14_S18_S1A_T6_T7_T9_mT8_S1C_bDpT10_ENKUlT_T0_E_clISt17integral_constantIbLb0EES1P_EEDaS1K_S1L_EUlS1K_E_NS1_11comp_targetILNS1_3genE8ELNS1_11target_archE1030ELNS1_3gpuE2ELNS1_3repE0EEENS1_30default_config_static_selectorELNS0_4arch9wavefront6targetE0EEEvSY_
	.p2align	8
	.type	_ZN7rocprim17ROCPRIM_400000_NS6detail17trampoline_kernelINS0_13select_configILj256ELj13ELNS0_17block_load_methodE3ELS4_3ELS4_3ELNS0_20block_scan_algorithmE0ELj4294967295EEENS1_25partition_config_selectorILNS1_17partition_subalgoE3EjNS0_10empty_typeEbEEZZNS1_14partition_implILS8_3ELb0ES6_jNS0_17counting_iteratorIjlEEPS9_SE_NS0_5tupleIJPjSE_EEENSF_IJSE_SE_EEES9_SG_JZNS1_25segmented_radix_sort_implINS0_14default_configELb1EPKbPbPKlPlN2at6native12_GLOBAL__N_18offset_tEEE10hipError_tPvRmT1_PNSt15iterator_traitsISY_E10value_typeET2_T3_PNSZ_IS14_E10value_typeET4_jRbjT5_S1A_jjP12ihipStream_tbEUljE_EEESV_SW_SX_S14_S18_S1A_T6_T7_T9_mT8_S1C_bDpT10_ENKUlT_T0_E_clISt17integral_constantIbLb0EES1P_EEDaS1K_S1L_EUlS1K_E_NS1_11comp_targetILNS1_3genE8ELNS1_11target_archE1030ELNS1_3gpuE2ELNS1_3repE0EEENS1_30default_config_static_selectorELNS0_4arch9wavefront6targetE0EEEvSY_,@function
_ZN7rocprim17ROCPRIM_400000_NS6detail17trampoline_kernelINS0_13select_configILj256ELj13ELNS0_17block_load_methodE3ELS4_3ELS4_3ELNS0_20block_scan_algorithmE0ELj4294967295EEENS1_25partition_config_selectorILNS1_17partition_subalgoE3EjNS0_10empty_typeEbEEZZNS1_14partition_implILS8_3ELb0ES6_jNS0_17counting_iteratorIjlEEPS9_SE_NS0_5tupleIJPjSE_EEENSF_IJSE_SE_EEES9_SG_JZNS1_25segmented_radix_sort_implINS0_14default_configELb1EPKbPbPKlPlN2at6native12_GLOBAL__N_18offset_tEEE10hipError_tPvRmT1_PNSt15iterator_traitsISY_E10value_typeET2_T3_PNSZ_IS14_E10value_typeET4_jRbjT5_S1A_jjP12ihipStream_tbEUljE_EEESV_SW_SX_S14_S18_S1A_T6_T7_T9_mT8_S1C_bDpT10_ENKUlT_T0_E_clISt17integral_constantIbLb0EES1P_EEDaS1K_S1L_EUlS1K_E_NS1_11comp_targetILNS1_3genE8ELNS1_11target_archE1030ELNS1_3gpuE2ELNS1_3repE0EEENS1_30default_config_static_selectorELNS0_4arch9wavefront6targetE0EEEvSY_: ; @_ZN7rocprim17ROCPRIM_400000_NS6detail17trampoline_kernelINS0_13select_configILj256ELj13ELNS0_17block_load_methodE3ELS4_3ELS4_3ELNS0_20block_scan_algorithmE0ELj4294967295EEENS1_25partition_config_selectorILNS1_17partition_subalgoE3EjNS0_10empty_typeEbEEZZNS1_14partition_implILS8_3ELb0ES6_jNS0_17counting_iteratorIjlEEPS9_SE_NS0_5tupleIJPjSE_EEENSF_IJSE_SE_EEES9_SG_JZNS1_25segmented_radix_sort_implINS0_14default_configELb1EPKbPbPKlPlN2at6native12_GLOBAL__N_18offset_tEEE10hipError_tPvRmT1_PNSt15iterator_traitsISY_E10value_typeET2_T3_PNSZ_IS14_E10value_typeET4_jRbjT5_S1A_jjP12ihipStream_tbEUljE_EEESV_SW_SX_S14_S18_S1A_T6_T7_T9_mT8_S1C_bDpT10_ENKUlT_T0_E_clISt17integral_constantIbLb0EES1P_EEDaS1K_S1L_EUlS1K_E_NS1_11comp_targetILNS1_3genE8ELNS1_11target_archE1030ELNS1_3gpuE2ELNS1_3repE0EEENS1_30default_config_static_selectorELNS0_4arch9wavefront6targetE0EEEvSY_
; %bb.0:
	.section	.rodata,"a",@progbits
	.p2align	6, 0x0
	.amdhsa_kernel _ZN7rocprim17ROCPRIM_400000_NS6detail17trampoline_kernelINS0_13select_configILj256ELj13ELNS0_17block_load_methodE3ELS4_3ELS4_3ELNS0_20block_scan_algorithmE0ELj4294967295EEENS1_25partition_config_selectorILNS1_17partition_subalgoE3EjNS0_10empty_typeEbEEZZNS1_14partition_implILS8_3ELb0ES6_jNS0_17counting_iteratorIjlEEPS9_SE_NS0_5tupleIJPjSE_EEENSF_IJSE_SE_EEES9_SG_JZNS1_25segmented_radix_sort_implINS0_14default_configELb1EPKbPbPKlPlN2at6native12_GLOBAL__N_18offset_tEEE10hipError_tPvRmT1_PNSt15iterator_traitsISY_E10value_typeET2_T3_PNSZ_IS14_E10value_typeET4_jRbjT5_S1A_jjP12ihipStream_tbEUljE_EEESV_SW_SX_S14_S18_S1A_T6_T7_T9_mT8_S1C_bDpT10_ENKUlT_T0_E_clISt17integral_constantIbLb0EES1P_EEDaS1K_S1L_EUlS1K_E_NS1_11comp_targetILNS1_3genE8ELNS1_11target_archE1030ELNS1_3gpuE2ELNS1_3repE0EEENS1_30default_config_static_selectorELNS0_4arch9wavefront6targetE0EEEvSY_
		.amdhsa_group_segment_fixed_size 0
		.amdhsa_private_segment_fixed_size 0
		.amdhsa_kernarg_size 144
		.amdhsa_user_sgpr_count 2
		.amdhsa_user_sgpr_dispatch_ptr 0
		.amdhsa_user_sgpr_queue_ptr 0
		.amdhsa_user_sgpr_kernarg_segment_ptr 1
		.amdhsa_user_sgpr_dispatch_id 0
		.amdhsa_user_sgpr_kernarg_preload_length 0
		.amdhsa_user_sgpr_kernarg_preload_offset 0
		.amdhsa_user_sgpr_private_segment_size 0
		.amdhsa_wavefront_size32 1
		.amdhsa_uses_dynamic_stack 0
		.amdhsa_enable_private_segment 0
		.amdhsa_system_sgpr_workgroup_id_x 1
		.amdhsa_system_sgpr_workgroup_id_y 0
		.amdhsa_system_sgpr_workgroup_id_z 0
		.amdhsa_system_sgpr_workgroup_info 0
		.amdhsa_system_vgpr_workitem_id 0
		.amdhsa_next_free_vgpr 1
		.amdhsa_next_free_sgpr 1
		.amdhsa_named_barrier_count 0
		.amdhsa_reserve_vcc 0
		.amdhsa_float_round_mode_32 0
		.amdhsa_float_round_mode_16_64 0
		.amdhsa_float_denorm_mode_32 3
		.amdhsa_float_denorm_mode_16_64 3
		.amdhsa_fp16_overflow 0
		.amdhsa_memory_ordered 1
		.amdhsa_forward_progress 1
		.amdhsa_inst_pref_size 0
		.amdhsa_round_robin_scheduling 0
		.amdhsa_exception_fp_ieee_invalid_op 0
		.amdhsa_exception_fp_denorm_src 0
		.amdhsa_exception_fp_ieee_div_zero 0
		.amdhsa_exception_fp_ieee_overflow 0
		.amdhsa_exception_fp_ieee_underflow 0
		.amdhsa_exception_fp_ieee_inexact 0
		.amdhsa_exception_int_div_zero 0
	.end_amdhsa_kernel
	.section	.text._ZN7rocprim17ROCPRIM_400000_NS6detail17trampoline_kernelINS0_13select_configILj256ELj13ELNS0_17block_load_methodE3ELS4_3ELS4_3ELNS0_20block_scan_algorithmE0ELj4294967295EEENS1_25partition_config_selectorILNS1_17partition_subalgoE3EjNS0_10empty_typeEbEEZZNS1_14partition_implILS8_3ELb0ES6_jNS0_17counting_iteratorIjlEEPS9_SE_NS0_5tupleIJPjSE_EEENSF_IJSE_SE_EEES9_SG_JZNS1_25segmented_radix_sort_implINS0_14default_configELb1EPKbPbPKlPlN2at6native12_GLOBAL__N_18offset_tEEE10hipError_tPvRmT1_PNSt15iterator_traitsISY_E10value_typeET2_T3_PNSZ_IS14_E10value_typeET4_jRbjT5_S1A_jjP12ihipStream_tbEUljE_EEESV_SW_SX_S14_S18_S1A_T6_T7_T9_mT8_S1C_bDpT10_ENKUlT_T0_E_clISt17integral_constantIbLb0EES1P_EEDaS1K_S1L_EUlS1K_E_NS1_11comp_targetILNS1_3genE8ELNS1_11target_archE1030ELNS1_3gpuE2ELNS1_3repE0EEENS1_30default_config_static_selectorELNS0_4arch9wavefront6targetE0EEEvSY_,"axG",@progbits,_ZN7rocprim17ROCPRIM_400000_NS6detail17trampoline_kernelINS0_13select_configILj256ELj13ELNS0_17block_load_methodE3ELS4_3ELS4_3ELNS0_20block_scan_algorithmE0ELj4294967295EEENS1_25partition_config_selectorILNS1_17partition_subalgoE3EjNS0_10empty_typeEbEEZZNS1_14partition_implILS8_3ELb0ES6_jNS0_17counting_iteratorIjlEEPS9_SE_NS0_5tupleIJPjSE_EEENSF_IJSE_SE_EEES9_SG_JZNS1_25segmented_radix_sort_implINS0_14default_configELb1EPKbPbPKlPlN2at6native12_GLOBAL__N_18offset_tEEE10hipError_tPvRmT1_PNSt15iterator_traitsISY_E10value_typeET2_T3_PNSZ_IS14_E10value_typeET4_jRbjT5_S1A_jjP12ihipStream_tbEUljE_EEESV_SW_SX_S14_S18_S1A_T6_T7_T9_mT8_S1C_bDpT10_ENKUlT_T0_E_clISt17integral_constantIbLb0EES1P_EEDaS1K_S1L_EUlS1K_E_NS1_11comp_targetILNS1_3genE8ELNS1_11target_archE1030ELNS1_3gpuE2ELNS1_3repE0EEENS1_30default_config_static_selectorELNS0_4arch9wavefront6targetE0EEEvSY_,comdat
.Lfunc_end1499:
	.size	_ZN7rocprim17ROCPRIM_400000_NS6detail17trampoline_kernelINS0_13select_configILj256ELj13ELNS0_17block_load_methodE3ELS4_3ELS4_3ELNS0_20block_scan_algorithmE0ELj4294967295EEENS1_25partition_config_selectorILNS1_17partition_subalgoE3EjNS0_10empty_typeEbEEZZNS1_14partition_implILS8_3ELb0ES6_jNS0_17counting_iteratorIjlEEPS9_SE_NS0_5tupleIJPjSE_EEENSF_IJSE_SE_EEES9_SG_JZNS1_25segmented_radix_sort_implINS0_14default_configELb1EPKbPbPKlPlN2at6native12_GLOBAL__N_18offset_tEEE10hipError_tPvRmT1_PNSt15iterator_traitsISY_E10value_typeET2_T3_PNSZ_IS14_E10value_typeET4_jRbjT5_S1A_jjP12ihipStream_tbEUljE_EEESV_SW_SX_S14_S18_S1A_T6_T7_T9_mT8_S1C_bDpT10_ENKUlT_T0_E_clISt17integral_constantIbLb0EES1P_EEDaS1K_S1L_EUlS1K_E_NS1_11comp_targetILNS1_3genE8ELNS1_11target_archE1030ELNS1_3gpuE2ELNS1_3repE0EEENS1_30default_config_static_selectorELNS0_4arch9wavefront6targetE0EEEvSY_, .Lfunc_end1499-_ZN7rocprim17ROCPRIM_400000_NS6detail17trampoline_kernelINS0_13select_configILj256ELj13ELNS0_17block_load_methodE3ELS4_3ELS4_3ELNS0_20block_scan_algorithmE0ELj4294967295EEENS1_25partition_config_selectorILNS1_17partition_subalgoE3EjNS0_10empty_typeEbEEZZNS1_14partition_implILS8_3ELb0ES6_jNS0_17counting_iteratorIjlEEPS9_SE_NS0_5tupleIJPjSE_EEENSF_IJSE_SE_EEES9_SG_JZNS1_25segmented_radix_sort_implINS0_14default_configELb1EPKbPbPKlPlN2at6native12_GLOBAL__N_18offset_tEEE10hipError_tPvRmT1_PNSt15iterator_traitsISY_E10value_typeET2_T3_PNSZ_IS14_E10value_typeET4_jRbjT5_S1A_jjP12ihipStream_tbEUljE_EEESV_SW_SX_S14_S18_S1A_T6_T7_T9_mT8_S1C_bDpT10_ENKUlT_T0_E_clISt17integral_constantIbLb0EES1P_EEDaS1K_S1L_EUlS1K_E_NS1_11comp_targetILNS1_3genE8ELNS1_11target_archE1030ELNS1_3gpuE2ELNS1_3repE0EEENS1_30default_config_static_selectorELNS0_4arch9wavefront6targetE0EEEvSY_
                                        ; -- End function
	.set _ZN7rocprim17ROCPRIM_400000_NS6detail17trampoline_kernelINS0_13select_configILj256ELj13ELNS0_17block_load_methodE3ELS4_3ELS4_3ELNS0_20block_scan_algorithmE0ELj4294967295EEENS1_25partition_config_selectorILNS1_17partition_subalgoE3EjNS0_10empty_typeEbEEZZNS1_14partition_implILS8_3ELb0ES6_jNS0_17counting_iteratorIjlEEPS9_SE_NS0_5tupleIJPjSE_EEENSF_IJSE_SE_EEES9_SG_JZNS1_25segmented_radix_sort_implINS0_14default_configELb1EPKbPbPKlPlN2at6native12_GLOBAL__N_18offset_tEEE10hipError_tPvRmT1_PNSt15iterator_traitsISY_E10value_typeET2_T3_PNSZ_IS14_E10value_typeET4_jRbjT5_S1A_jjP12ihipStream_tbEUljE_EEESV_SW_SX_S14_S18_S1A_T6_T7_T9_mT8_S1C_bDpT10_ENKUlT_T0_E_clISt17integral_constantIbLb0EES1P_EEDaS1K_S1L_EUlS1K_E_NS1_11comp_targetILNS1_3genE8ELNS1_11target_archE1030ELNS1_3gpuE2ELNS1_3repE0EEENS1_30default_config_static_selectorELNS0_4arch9wavefront6targetE0EEEvSY_.num_vgpr, 0
	.set _ZN7rocprim17ROCPRIM_400000_NS6detail17trampoline_kernelINS0_13select_configILj256ELj13ELNS0_17block_load_methodE3ELS4_3ELS4_3ELNS0_20block_scan_algorithmE0ELj4294967295EEENS1_25partition_config_selectorILNS1_17partition_subalgoE3EjNS0_10empty_typeEbEEZZNS1_14partition_implILS8_3ELb0ES6_jNS0_17counting_iteratorIjlEEPS9_SE_NS0_5tupleIJPjSE_EEENSF_IJSE_SE_EEES9_SG_JZNS1_25segmented_radix_sort_implINS0_14default_configELb1EPKbPbPKlPlN2at6native12_GLOBAL__N_18offset_tEEE10hipError_tPvRmT1_PNSt15iterator_traitsISY_E10value_typeET2_T3_PNSZ_IS14_E10value_typeET4_jRbjT5_S1A_jjP12ihipStream_tbEUljE_EEESV_SW_SX_S14_S18_S1A_T6_T7_T9_mT8_S1C_bDpT10_ENKUlT_T0_E_clISt17integral_constantIbLb0EES1P_EEDaS1K_S1L_EUlS1K_E_NS1_11comp_targetILNS1_3genE8ELNS1_11target_archE1030ELNS1_3gpuE2ELNS1_3repE0EEENS1_30default_config_static_selectorELNS0_4arch9wavefront6targetE0EEEvSY_.num_agpr, 0
	.set _ZN7rocprim17ROCPRIM_400000_NS6detail17trampoline_kernelINS0_13select_configILj256ELj13ELNS0_17block_load_methodE3ELS4_3ELS4_3ELNS0_20block_scan_algorithmE0ELj4294967295EEENS1_25partition_config_selectorILNS1_17partition_subalgoE3EjNS0_10empty_typeEbEEZZNS1_14partition_implILS8_3ELb0ES6_jNS0_17counting_iteratorIjlEEPS9_SE_NS0_5tupleIJPjSE_EEENSF_IJSE_SE_EEES9_SG_JZNS1_25segmented_radix_sort_implINS0_14default_configELb1EPKbPbPKlPlN2at6native12_GLOBAL__N_18offset_tEEE10hipError_tPvRmT1_PNSt15iterator_traitsISY_E10value_typeET2_T3_PNSZ_IS14_E10value_typeET4_jRbjT5_S1A_jjP12ihipStream_tbEUljE_EEESV_SW_SX_S14_S18_S1A_T6_T7_T9_mT8_S1C_bDpT10_ENKUlT_T0_E_clISt17integral_constantIbLb0EES1P_EEDaS1K_S1L_EUlS1K_E_NS1_11comp_targetILNS1_3genE8ELNS1_11target_archE1030ELNS1_3gpuE2ELNS1_3repE0EEENS1_30default_config_static_selectorELNS0_4arch9wavefront6targetE0EEEvSY_.numbered_sgpr, 0
	.set _ZN7rocprim17ROCPRIM_400000_NS6detail17trampoline_kernelINS0_13select_configILj256ELj13ELNS0_17block_load_methodE3ELS4_3ELS4_3ELNS0_20block_scan_algorithmE0ELj4294967295EEENS1_25partition_config_selectorILNS1_17partition_subalgoE3EjNS0_10empty_typeEbEEZZNS1_14partition_implILS8_3ELb0ES6_jNS0_17counting_iteratorIjlEEPS9_SE_NS0_5tupleIJPjSE_EEENSF_IJSE_SE_EEES9_SG_JZNS1_25segmented_radix_sort_implINS0_14default_configELb1EPKbPbPKlPlN2at6native12_GLOBAL__N_18offset_tEEE10hipError_tPvRmT1_PNSt15iterator_traitsISY_E10value_typeET2_T3_PNSZ_IS14_E10value_typeET4_jRbjT5_S1A_jjP12ihipStream_tbEUljE_EEESV_SW_SX_S14_S18_S1A_T6_T7_T9_mT8_S1C_bDpT10_ENKUlT_T0_E_clISt17integral_constantIbLb0EES1P_EEDaS1K_S1L_EUlS1K_E_NS1_11comp_targetILNS1_3genE8ELNS1_11target_archE1030ELNS1_3gpuE2ELNS1_3repE0EEENS1_30default_config_static_selectorELNS0_4arch9wavefront6targetE0EEEvSY_.num_named_barrier, 0
	.set _ZN7rocprim17ROCPRIM_400000_NS6detail17trampoline_kernelINS0_13select_configILj256ELj13ELNS0_17block_load_methodE3ELS4_3ELS4_3ELNS0_20block_scan_algorithmE0ELj4294967295EEENS1_25partition_config_selectorILNS1_17partition_subalgoE3EjNS0_10empty_typeEbEEZZNS1_14partition_implILS8_3ELb0ES6_jNS0_17counting_iteratorIjlEEPS9_SE_NS0_5tupleIJPjSE_EEENSF_IJSE_SE_EEES9_SG_JZNS1_25segmented_radix_sort_implINS0_14default_configELb1EPKbPbPKlPlN2at6native12_GLOBAL__N_18offset_tEEE10hipError_tPvRmT1_PNSt15iterator_traitsISY_E10value_typeET2_T3_PNSZ_IS14_E10value_typeET4_jRbjT5_S1A_jjP12ihipStream_tbEUljE_EEESV_SW_SX_S14_S18_S1A_T6_T7_T9_mT8_S1C_bDpT10_ENKUlT_T0_E_clISt17integral_constantIbLb0EES1P_EEDaS1K_S1L_EUlS1K_E_NS1_11comp_targetILNS1_3genE8ELNS1_11target_archE1030ELNS1_3gpuE2ELNS1_3repE0EEENS1_30default_config_static_selectorELNS0_4arch9wavefront6targetE0EEEvSY_.private_seg_size, 0
	.set _ZN7rocprim17ROCPRIM_400000_NS6detail17trampoline_kernelINS0_13select_configILj256ELj13ELNS0_17block_load_methodE3ELS4_3ELS4_3ELNS0_20block_scan_algorithmE0ELj4294967295EEENS1_25partition_config_selectorILNS1_17partition_subalgoE3EjNS0_10empty_typeEbEEZZNS1_14partition_implILS8_3ELb0ES6_jNS0_17counting_iteratorIjlEEPS9_SE_NS0_5tupleIJPjSE_EEENSF_IJSE_SE_EEES9_SG_JZNS1_25segmented_radix_sort_implINS0_14default_configELb1EPKbPbPKlPlN2at6native12_GLOBAL__N_18offset_tEEE10hipError_tPvRmT1_PNSt15iterator_traitsISY_E10value_typeET2_T3_PNSZ_IS14_E10value_typeET4_jRbjT5_S1A_jjP12ihipStream_tbEUljE_EEESV_SW_SX_S14_S18_S1A_T6_T7_T9_mT8_S1C_bDpT10_ENKUlT_T0_E_clISt17integral_constantIbLb0EES1P_EEDaS1K_S1L_EUlS1K_E_NS1_11comp_targetILNS1_3genE8ELNS1_11target_archE1030ELNS1_3gpuE2ELNS1_3repE0EEENS1_30default_config_static_selectorELNS0_4arch9wavefront6targetE0EEEvSY_.uses_vcc, 0
	.set _ZN7rocprim17ROCPRIM_400000_NS6detail17trampoline_kernelINS0_13select_configILj256ELj13ELNS0_17block_load_methodE3ELS4_3ELS4_3ELNS0_20block_scan_algorithmE0ELj4294967295EEENS1_25partition_config_selectorILNS1_17partition_subalgoE3EjNS0_10empty_typeEbEEZZNS1_14partition_implILS8_3ELb0ES6_jNS0_17counting_iteratorIjlEEPS9_SE_NS0_5tupleIJPjSE_EEENSF_IJSE_SE_EEES9_SG_JZNS1_25segmented_radix_sort_implINS0_14default_configELb1EPKbPbPKlPlN2at6native12_GLOBAL__N_18offset_tEEE10hipError_tPvRmT1_PNSt15iterator_traitsISY_E10value_typeET2_T3_PNSZ_IS14_E10value_typeET4_jRbjT5_S1A_jjP12ihipStream_tbEUljE_EEESV_SW_SX_S14_S18_S1A_T6_T7_T9_mT8_S1C_bDpT10_ENKUlT_T0_E_clISt17integral_constantIbLb0EES1P_EEDaS1K_S1L_EUlS1K_E_NS1_11comp_targetILNS1_3genE8ELNS1_11target_archE1030ELNS1_3gpuE2ELNS1_3repE0EEENS1_30default_config_static_selectorELNS0_4arch9wavefront6targetE0EEEvSY_.uses_flat_scratch, 0
	.set _ZN7rocprim17ROCPRIM_400000_NS6detail17trampoline_kernelINS0_13select_configILj256ELj13ELNS0_17block_load_methodE3ELS4_3ELS4_3ELNS0_20block_scan_algorithmE0ELj4294967295EEENS1_25partition_config_selectorILNS1_17partition_subalgoE3EjNS0_10empty_typeEbEEZZNS1_14partition_implILS8_3ELb0ES6_jNS0_17counting_iteratorIjlEEPS9_SE_NS0_5tupleIJPjSE_EEENSF_IJSE_SE_EEES9_SG_JZNS1_25segmented_radix_sort_implINS0_14default_configELb1EPKbPbPKlPlN2at6native12_GLOBAL__N_18offset_tEEE10hipError_tPvRmT1_PNSt15iterator_traitsISY_E10value_typeET2_T3_PNSZ_IS14_E10value_typeET4_jRbjT5_S1A_jjP12ihipStream_tbEUljE_EEESV_SW_SX_S14_S18_S1A_T6_T7_T9_mT8_S1C_bDpT10_ENKUlT_T0_E_clISt17integral_constantIbLb0EES1P_EEDaS1K_S1L_EUlS1K_E_NS1_11comp_targetILNS1_3genE8ELNS1_11target_archE1030ELNS1_3gpuE2ELNS1_3repE0EEENS1_30default_config_static_selectorELNS0_4arch9wavefront6targetE0EEEvSY_.has_dyn_sized_stack, 0
	.set _ZN7rocprim17ROCPRIM_400000_NS6detail17trampoline_kernelINS0_13select_configILj256ELj13ELNS0_17block_load_methodE3ELS4_3ELS4_3ELNS0_20block_scan_algorithmE0ELj4294967295EEENS1_25partition_config_selectorILNS1_17partition_subalgoE3EjNS0_10empty_typeEbEEZZNS1_14partition_implILS8_3ELb0ES6_jNS0_17counting_iteratorIjlEEPS9_SE_NS0_5tupleIJPjSE_EEENSF_IJSE_SE_EEES9_SG_JZNS1_25segmented_radix_sort_implINS0_14default_configELb1EPKbPbPKlPlN2at6native12_GLOBAL__N_18offset_tEEE10hipError_tPvRmT1_PNSt15iterator_traitsISY_E10value_typeET2_T3_PNSZ_IS14_E10value_typeET4_jRbjT5_S1A_jjP12ihipStream_tbEUljE_EEESV_SW_SX_S14_S18_S1A_T6_T7_T9_mT8_S1C_bDpT10_ENKUlT_T0_E_clISt17integral_constantIbLb0EES1P_EEDaS1K_S1L_EUlS1K_E_NS1_11comp_targetILNS1_3genE8ELNS1_11target_archE1030ELNS1_3gpuE2ELNS1_3repE0EEENS1_30default_config_static_selectorELNS0_4arch9wavefront6targetE0EEEvSY_.has_recursion, 0
	.set _ZN7rocprim17ROCPRIM_400000_NS6detail17trampoline_kernelINS0_13select_configILj256ELj13ELNS0_17block_load_methodE3ELS4_3ELS4_3ELNS0_20block_scan_algorithmE0ELj4294967295EEENS1_25partition_config_selectorILNS1_17partition_subalgoE3EjNS0_10empty_typeEbEEZZNS1_14partition_implILS8_3ELb0ES6_jNS0_17counting_iteratorIjlEEPS9_SE_NS0_5tupleIJPjSE_EEENSF_IJSE_SE_EEES9_SG_JZNS1_25segmented_radix_sort_implINS0_14default_configELb1EPKbPbPKlPlN2at6native12_GLOBAL__N_18offset_tEEE10hipError_tPvRmT1_PNSt15iterator_traitsISY_E10value_typeET2_T3_PNSZ_IS14_E10value_typeET4_jRbjT5_S1A_jjP12ihipStream_tbEUljE_EEESV_SW_SX_S14_S18_S1A_T6_T7_T9_mT8_S1C_bDpT10_ENKUlT_T0_E_clISt17integral_constantIbLb0EES1P_EEDaS1K_S1L_EUlS1K_E_NS1_11comp_targetILNS1_3genE8ELNS1_11target_archE1030ELNS1_3gpuE2ELNS1_3repE0EEENS1_30default_config_static_selectorELNS0_4arch9wavefront6targetE0EEEvSY_.has_indirect_call, 0
	.section	.AMDGPU.csdata,"",@progbits
; Kernel info:
; codeLenInByte = 0
; TotalNumSgprs: 0
; NumVgprs: 0
; ScratchSize: 0
; MemoryBound: 0
; FloatMode: 240
; IeeeMode: 1
; LDSByteSize: 0 bytes/workgroup (compile time only)
; SGPRBlocks: 0
; VGPRBlocks: 0
; NumSGPRsForWavesPerEU: 1
; NumVGPRsForWavesPerEU: 1
; NamedBarCnt: 0
; Occupancy: 16
; WaveLimiterHint : 0
; COMPUTE_PGM_RSRC2:SCRATCH_EN: 0
; COMPUTE_PGM_RSRC2:USER_SGPR: 2
; COMPUTE_PGM_RSRC2:TRAP_HANDLER: 0
; COMPUTE_PGM_RSRC2:TGID_X_EN: 1
; COMPUTE_PGM_RSRC2:TGID_Y_EN: 0
; COMPUTE_PGM_RSRC2:TGID_Z_EN: 0
; COMPUTE_PGM_RSRC2:TIDIG_COMP_CNT: 0
	.section	.text._ZN7rocprim17ROCPRIM_400000_NS6detail17trampoline_kernelINS0_13select_configILj256ELj13ELNS0_17block_load_methodE3ELS4_3ELS4_3ELNS0_20block_scan_algorithmE0ELj4294967295EEENS1_25partition_config_selectorILNS1_17partition_subalgoE3EjNS0_10empty_typeEbEEZZNS1_14partition_implILS8_3ELb0ES6_jNS0_17counting_iteratorIjlEEPS9_SE_NS0_5tupleIJPjSE_EEENSF_IJSE_SE_EEES9_SG_JZNS1_25segmented_radix_sort_implINS0_14default_configELb1EPKbPbPKlPlN2at6native12_GLOBAL__N_18offset_tEEE10hipError_tPvRmT1_PNSt15iterator_traitsISY_E10value_typeET2_T3_PNSZ_IS14_E10value_typeET4_jRbjT5_S1A_jjP12ihipStream_tbEUljE_EEESV_SW_SX_S14_S18_S1A_T6_T7_T9_mT8_S1C_bDpT10_ENKUlT_T0_E_clISt17integral_constantIbLb1EES1P_EEDaS1K_S1L_EUlS1K_E_NS1_11comp_targetILNS1_3genE0ELNS1_11target_archE4294967295ELNS1_3gpuE0ELNS1_3repE0EEENS1_30default_config_static_selectorELNS0_4arch9wavefront6targetE0EEEvSY_,"axG",@progbits,_ZN7rocprim17ROCPRIM_400000_NS6detail17trampoline_kernelINS0_13select_configILj256ELj13ELNS0_17block_load_methodE3ELS4_3ELS4_3ELNS0_20block_scan_algorithmE0ELj4294967295EEENS1_25partition_config_selectorILNS1_17partition_subalgoE3EjNS0_10empty_typeEbEEZZNS1_14partition_implILS8_3ELb0ES6_jNS0_17counting_iteratorIjlEEPS9_SE_NS0_5tupleIJPjSE_EEENSF_IJSE_SE_EEES9_SG_JZNS1_25segmented_radix_sort_implINS0_14default_configELb1EPKbPbPKlPlN2at6native12_GLOBAL__N_18offset_tEEE10hipError_tPvRmT1_PNSt15iterator_traitsISY_E10value_typeET2_T3_PNSZ_IS14_E10value_typeET4_jRbjT5_S1A_jjP12ihipStream_tbEUljE_EEESV_SW_SX_S14_S18_S1A_T6_T7_T9_mT8_S1C_bDpT10_ENKUlT_T0_E_clISt17integral_constantIbLb1EES1P_EEDaS1K_S1L_EUlS1K_E_NS1_11comp_targetILNS1_3genE0ELNS1_11target_archE4294967295ELNS1_3gpuE0ELNS1_3repE0EEENS1_30default_config_static_selectorELNS0_4arch9wavefront6targetE0EEEvSY_,comdat
	.globl	_ZN7rocprim17ROCPRIM_400000_NS6detail17trampoline_kernelINS0_13select_configILj256ELj13ELNS0_17block_load_methodE3ELS4_3ELS4_3ELNS0_20block_scan_algorithmE0ELj4294967295EEENS1_25partition_config_selectorILNS1_17partition_subalgoE3EjNS0_10empty_typeEbEEZZNS1_14partition_implILS8_3ELb0ES6_jNS0_17counting_iteratorIjlEEPS9_SE_NS0_5tupleIJPjSE_EEENSF_IJSE_SE_EEES9_SG_JZNS1_25segmented_radix_sort_implINS0_14default_configELb1EPKbPbPKlPlN2at6native12_GLOBAL__N_18offset_tEEE10hipError_tPvRmT1_PNSt15iterator_traitsISY_E10value_typeET2_T3_PNSZ_IS14_E10value_typeET4_jRbjT5_S1A_jjP12ihipStream_tbEUljE_EEESV_SW_SX_S14_S18_S1A_T6_T7_T9_mT8_S1C_bDpT10_ENKUlT_T0_E_clISt17integral_constantIbLb1EES1P_EEDaS1K_S1L_EUlS1K_E_NS1_11comp_targetILNS1_3genE0ELNS1_11target_archE4294967295ELNS1_3gpuE0ELNS1_3repE0EEENS1_30default_config_static_selectorELNS0_4arch9wavefront6targetE0EEEvSY_ ; -- Begin function _ZN7rocprim17ROCPRIM_400000_NS6detail17trampoline_kernelINS0_13select_configILj256ELj13ELNS0_17block_load_methodE3ELS4_3ELS4_3ELNS0_20block_scan_algorithmE0ELj4294967295EEENS1_25partition_config_selectorILNS1_17partition_subalgoE3EjNS0_10empty_typeEbEEZZNS1_14partition_implILS8_3ELb0ES6_jNS0_17counting_iteratorIjlEEPS9_SE_NS0_5tupleIJPjSE_EEENSF_IJSE_SE_EEES9_SG_JZNS1_25segmented_radix_sort_implINS0_14default_configELb1EPKbPbPKlPlN2at6native12_GLOBAL__N_18offset_tEEE10hipError_tPvRmT1_PNSt15iterator_traitsISY_E10value_typeET2_T3_PNSZ_IS14_E10value_typeET4_jRbjT5_S1A_jjP12ihipStream_tbEUljE_EEESV_SW_SX_S14_S18_S1A_T6_T7_T9_mT8_S1C_bDpT10_ENKUlT_T0_E_clISt17integral_constantIbLb1EES1P_EEDaS1K_S1L_EUlS1K_E_NS1_11comp_targetILNS1_3genE0ELNS1_11target_archE4294967295ELNS1_3gpuE0ELNS1_3repE0EEENS1_30default_config_static_selectorELNS0_4arch9wavefront6targetE0EEEvSY_
	.p2align	8
	.type	_ZN7rocprim17ROCPRIM_400000_NS6detail17trampoline_kernelINS0_13select_configILj256ELj13ELNS0_17block_load_methodE3ELS4_3ELS4_3ELNS0_20block_scan_algorithmE0ELj4294967295EEENS1_25partition_config_selectorILNS1_17partition_subalgoE3EjNS0_10empty_typeEbEEZZNS1_14partition_implILS8_3ELb0ES6_jNS0_17counting_iteratorIjlEEPS9_SE_NS0_5tupleIJPjSE_EEENSF_IJSE_SE_EEES9_SG_JZNS1_25segmented_radix_sort_implINS0_14default_configELb1EPKbPbPKlPlN2at6native12_GLOBAL__N_18offset_tEEE10hipError_tPvRmT1_PNSt15iterator_traitsISY_E10value_typeET2_T3_PNSZ_IS14_E10value_typeET4_jRbjT5_S1A_jjP12ihipStream_tbEUljE_EEESV_SW_SX_S14_S18_S1A_T6_T7_T9_mT8_S1C_bDpT10_ENKUlT_T0_E_clISt17integral_constantIbLb1EES1P_EEDaS1K_S1L_EUlS1K_E_NS1_11comp_targetILNS1_3genE0ELNS1_11target_archE4294967295ELNS1_3gpuE0ELNS1_3repE0EEENS1_30default_config_static_selectorELNS0_4arch9wavefront6targetE0EEEvSY_,@function
_ZN7rocprim17ROCPRIM_400000_NS6detail17trampoline_kernelINS0_13select_configILj256ELj13ELNS0_17block_load_methodE3ELS4_3ELS4_3ELNS0_20block_scan_algorithmE0ELj4294967295EEENS1_25partition_config_selectorILNS1_17partition_subalgoE3EjNS0_10empty_typeEbEEZZNS1_14partition_implILS8_3ELb0ES6_jNS0_17counting_iteratorIjlEEPS9_SE_NS0_5tupleIJPjSE_EEENSF_IJSE_SE_EEES9_SG_JZNS1_25segmented_radix_sort_implINS0_14default_configELb1EPKbPbPKlPlN2at6native12_GLOBAL__N_18offset_tEEE10hipError_tPvRmT1_PNSt15iterator_traitsISY_E10value_typeET2_T3_PNSZ_IS14_E10value_typeET4_jRbjT5_S1A_jjP12ihipStream_tbEUljE_EEESV_SW_SX_S14_S18_S1A_T6_T7_T9_mT8_S1C_bDpT10_ENKUlT_T0_E_clISt17integral_constantIbLb1EES1P_EEDaS1K_S1L_EUlS1K_E_NS1_11comp_targetILNS1_3genE0ELNS1_11target_archE4294967295ELNS1_3gpuE0ELNS1_3repE0EEENS1_30default_config_static_selectorELNS0_4arch9wavefront6targetE0EEEvSY_: ; @_ZN7rocprim17ROCPRIM_400000_NS6detail17trampoline_kernelINS0_13select_configILj256ELj13ELNS0_17block_load_methodE3ELS4_3ELS4_3ELNS0_20block_scan_algorithmE0ELj4294967295EEENS1_25partition_config_selectorILNS1_17partition_subalgoE3EjNS0_10empty_typeEbEEZZNS1_14partition_implILS8_3ELb0ES6_jNS0_17counting_iteratorIjlEEPS9_SE_NS0_5tupleIJPjSE_EEENSF_IJSE_SE_EEES9_SG_JZNS1_25segmented_radix_sort_implINS0_14default_configELb1EPKbPbPKlPlN2at6native12_GLOBAL__N_18offset_tEEE10hipError_tPvRmT1_PNSt15iterator_traitsISY_E10value_typeET2_T3_PNSZ_IS14_E10value_typeET4_jRbjT5_S1A_jjP12ihipStream_tbEUljE_EEESV_SW_SX_S14_S18_S1A_T6_T7_T9_mT8_S1C_bDpT10_ENKUlT_T0_E_clISt17integral_constantIbLb1EES1P_EEDaS1K_S1L_EUlS1K_E_NS1_11comp_targetILNS1_3genE0ELNS1_11target_archE4294967295ELNS1_3gpuE0ELNS1_3repE0EEENS1_30default_config_static_selectorELNS0_4arch9wavefront6targetE0EEEvSY_
; %bb.0:
	s_endpgm
	.section	.rodata,"a",@progbits
	.p2align	6, 0x0
	.amdhsa_kernel _ZN7rocprim17ROCPRIM_400000_NS6detail17trampoline_kernelINS0_13select_configILj256ELj13ELNS0_17block_load_methodE3ELS4_3ELS4_3ELNS0_20block_scan_algorithmE0ELj4294967295EEENS1_25partition_config_selectorILNS1_17partition_subalgoE3EjNS0_10empty_typeEbEEZZNS1_14partition_implILS8_3ELb0ES6_jNS0_17counting_iteratorIjlEEPS9_SE_NS0_5tupleIJPjSE_EEENSF_IJSE_SE_EEES9_SG_JZNS1_25segmented_radix_sort_implINS0_14default_configELb1EPKbPbPKlPlN2at6native12_GLOBAL__N_18offset_tEEE10hipError_tPvRmT1_PNSt15iterator_traitsISY_E10value_typeET2_T3_PNSZ_IS14_E10value_typeET4_jRbjT5_S1A_jjP12ihipStream_tbEUljE_EEESV_SW_SX_S14_S18_S1A_T6_T7_T9_mT8_S1C_bDpT10_ENKUlT_T0_E_clISt17integral_constantIbLb1EES1P_EEDaS1K_S1L_EUlS1K_E_NS1_11comp_targetILNS1_3genE0ELNS1_11target_archE4294967295ELNS1_3gpuE0ELNS1_3repE0EEENS1_30default_config_static_selectorELNS0_4arch9wavefront6targetE0EEEvSY_
		.amdhsa_group_segment_fixed_size 0
		.amdhsa_private_segment_fixed_size 0
		.amdhsa_kernarg_size 152
		.amdhsa_user_sgpr_count 2
		.amdhsa_user_sgpr_dispatch_ptr 0
		.amdhsa_user_sgpr_queue_ptr 0
		.amdhsa_user_sgpr_kernarg_segment_ptr 1
		.amdhsa_user_sgpr_dispatch_id 0
		.amdhsa_user_sgpr_kernarg_preload_length 0
		.amdhsa_user_sgpr_kernarg_preload_offset 0
		.amdhsa_user_sgpr_private_segment_size 0
		.amdhsa_wavefront_size32 1
		.amdhsa_uses_dynamic_stack 0
		.amdhsa_enable_private_segment 0
		.amdhsa_system_sgpr_workgroup_id_x 1
		.amdhsa_system_sgpr_workgroup_id_y 0
		.amdhsa_system_sgpr_workgroup_id_z 0
		.amdhsa_system_sgpr_workgroup_info 0
		.amdhsa_system_vgpr_workitem_id 0
		.amdhsa_next_free_vgpr 1
		.amdhsa_next_free_sgpr 1
		.amdhsa_named_barrier_count 0
		.amdhsa_reserve_vcc 0
		.amdhsa_float_round_mode_32 0
		.amdhsa_float_round_mode_16_64 0
		.amdhsa_float_denorm_mode_32 3
		.amdhsa_float_denorm_mode_16_64 3
		.amdhsa_fp16_overflow 0
		.amdhsa_memory_ordered 1
		.amdhsa_forward_progress 1
		.amdhsa_inst_pref_size 1
		.amdhsa_round_robin_scheduling 0
		.amdhsa_exception_fp_ieee_invalid_op 0
		.amdhsa_exception_fp_denorm_src 0
		.amdhsa_exception_fp_ieee_div_zero 0
		.amdhsa_exception_fp_ieee_overflow 0
		.amdhsa_exception_fp_ieee_underflow 0
		.amdhsa_exception_fp_ieee_inexact 0
		.amdhsa_exception_int_div_zero 0
	.end_amdhsa_kernel
	.section	.text._ZN7rocprim17ROCPRIM_400000_NS6detail17trampoline_kernelINS0_13select_configILj256ELj13ELNS0_17block_load_methodE3ELS4_3ELS4_3ELNS0_20block_scan_algorithmE0ELj4294967295EEENS1_25partition_config_selectorILNS1_17partition_subalgoE3EjNS0_10empty_typeEbEEZZNS1_14partition_implILS8_3ELb0ES6_jNS0_17counting_iteratorIjlEEPS9_SE_NS0_5tupleIJPjSE_EEENSF_IJSE_SE_EEES9_SG_JZNS1_25segmented_radix_sort_implINS0_14default_configELb1EPKbPbPKlPlN2at6native12_GLOBAL__N_18offset_tEEE10hipError_tPvRmT1_PNSt15iterator_traitsISY_E10value_typeET2_T3_PNSZ_IS14_E10value_typeET4_jRbjT5_S1A_jjP12ihipStream_tbEUljE_EEESV_SW_SX_S14_S18_S1A_T6_T7_T9_mT8_S1C_bDpT10_ENKUlT_T0_E_clISt17integral_constantIbLb1EES1P_EEDaS1K_S1L_EUlS1K_E_NS1_11comp_targetILNS1_3genE0ELNS1_11target_archE4294967295ELNS1_3gpuE0ELNS1_3repE0EEENS1_30default_config_static_selectorELNS0_4arch9wavefront6targetE0EEEvSY_,"axG",@progbits,_ZN7rocprim17ROCPRIM_400000_NS6detail17trampoline_kernelINS0_13select_configILj256ELj13ELNS0_17block_load_methodE3ELS4_3ELS4_3ELNS0_20block_scan_algorithmE0ELj4294967295EEENS1_25partition_config_selectorILNS1_17partition_subalgoE3EjNS0_10empty_typeEbEEZZNS1_14partition_implILS8_3ELb0ES6_jNS0_17counting_iteratorIjlEEPS9_SE_NS0_5tupleIJPjSE_EEENSF_IJSE_SE_EEES9_SG_JZNS1_25segmented_radix_sort_implINS0_14default_configELb1EPKbPbPKlPlN2at6native12_GLOBAL__N_18offset_tEEE10hipError_tPvRmT1_PNSt15iterator_traitsISY_E10value_typeET2_T3_PNSZ_IS14_E10value_typeET4_jRbjT5_S1A_jjP12ihipStream_tbEUljE_EEESV_SW_SX_S14_S18_S1A_T6_T7_T9_mT8_S1C_bDpT10_ENKUlT_T0_E_clISt17integral_constantIbLb1EES1P_EEDaS1K_S1L_EUlS1K_E_NS1_11comp_targetILNS1_3genE0ELNS1_11target_archE4294967295ELNS1_3gpuE0ELNS1_3repE0EEENS1_30default_config_static_selectorELNS0_4arch9wavefront6targetE0EEEvSY_,comdat
.Lfunc_end1500:
	.size	_ZN7rocprim17ROCPRIM_400000_NS6detail17trampoline_kernelINS0_13select_configILj256ELj13ELNS0_17block_load_methodE3ELS4_3ELS4_3ELNS0_20block_scan_algorithmE0ELj4294967295EEENS1_25partition_config_selectorILNS1_17partition_subalgoE3EjNS0_10empty_typeEbEEZZNS1_14partition_implILS8_3ELb0ES6_jNS0_17counting_iteratorIjlEEPS9_SE_NS0_5tupleIJPjSE_EEENSF_IJSE_SE_EEES9_SG_JZNS1_25segmented_radix_sort_implINS0_14default_configELb1EPKbPbPKlPlN2at6native12_GLOBAL__N_18offset_tEEE10hipError_tPvRmT1_PNSt15iterator_traitsISY_E10value_typeET2_T3_PNSZ_IS14_E10value_typeET4_jRbjT5_S1A_jjP12ihipStream_tbEUljE_EEESV_SW_SX_S14_S18_S1A_T6_T7_T9_mT8_S1C_bDpT10_ENKUlT_T0_E_clISt17integral_constantIbLb1EES1P_EEDaS1K_S1L_EUlS1K_E_NS1_11comp_targetILNS1_3genE0ELNS1_11target_archE4294967295ELNS1_3gpuE0ELNS1_3repE0EEENS1_30default_config_static_selectorELNS0_4arch9wavefront6targetE0EEEvSY_, .Lfunc_end1500-_ZN7rocprim17ROCPRIM_400000_NS6detail17trampoline_kernelINS0_13select_configILj256ELj13ELNS0_17block_load_methodE3ELS4_3ELS4_3ELNS0_20block_scan_algorithmE0ELj4294967295EEENS1_25partition_config_selectorILNS1_17partition_subalgoE3EjNS0_10empty_typeEbEEZZNS1_14partition_implILS8_3ELb0ES6_jNS0_17counting_iteratorIjlEEPS9_SE_NS0_5tupleIJPjSE_EEENSF_IJSE_SE_EEES9_SG_JZNS1_25segmented_radix_sort_implINS0_14default_configELb1EPKbPbPKlPlN2at6native12_GLOBAL__N_18offset_tEEE10hipError_tPvRmT1_PNSt15iterator_traitsISY_E10value_typeET2_T3_PNSZ_IS14_E10value_typeET4_jRbjT5_S1A_jjP12ihipStream_tbEUljE_EEESV_SW_SX_S14_S18_S1A_T6_T7_T9_mT8_S1C_bDpT10_ENKUlT_T0_E_clISt17integral_constantIbLb1EES1P_EEDaS1K_S1L_EUlS1K_E_NS1_11comp_targetILNS1_3genE0ELNS1_11target_archE4294967295ELNS1_3gpuE0ELNS1_3repE0EEENS1_30default_config_static_selectorELNS0_4arch9wavefront6targetE0EEEvSY_
                                        ; -- End function
	.set _ZN7rocprim17ROCPRIM_400000_NS6detail17trampoline_kernelINS0_13select_configILj256ELj13ELNS0_17block_load_methodE3ELS4_3ELS4_3ELNS0_20block_scan_algorithmE0ELj4294967295EEENS1_25partition_config_selectorILNS1_17partition_subalgoE3EjNS0_10empty_typeEbEEZZNS1_14partition_implILS8_3ELb0ES6_jNS0_17counting_iteratorIjlEEPS9_SE_NS0_5tupleIJPjSE_EEENSF_IJSE_SE_EEES9_SG_JZNS1_25segmented_radix_sort_implINS0_14default_configELb1EPKbPbPKlPlN2at6native12_GLOBAL__N_18offset_tEEE10hipError_tPvRmT1_PNSt15iterator_traitsISY_E10value_typeET2_T3_PNSZ_IS14_E10value_typeET4_jRbjT5_S1A_jjP12ihipStream_tbEUljE_EEESV_SW_SX_S14_S18_S1A_T6_T7_T9_mT8_S1C_bDpT10_ENKUlT_T0_E_clISt17integral_constantIbLb1EES1P_EEDaS1K_S1L_EUlS1K_E_NS1_11comp_targetILNS1_3genE0ELNS1_11target_archE4294967295ELNS1_3gpuE0ELNS1_3repE0EEENS1_30default_config_static_selectorELNS0_4arch9wavefront6targetE0EEEvSY_.num_vgpr, 0
	.set _ZN7rocprim17ROCPRIM_400000_NS6detail17trampoline_kernelINS0_13select_configILj256ELj13ELNS0_17block_load_methodE3ELS4_3ELS4_3ELNS0_20block_scan_algorithmE0ELj4294967295EEENS1_25partition_config_selectorILNS1_17partition_subalgoE3EjNS0_10empty_typeEbEEZZNS1_14partition_implILS8_3ELb0ES6_jNS0_17counting_iteratorIjlEEPS9_SE_NS0_5tupleIJPjSE_EEENSF_IJSE_SE_EEES9_SG_JZNS1_25segmented_radix_sort_implINS0_14default_configELb1EPKbPbPKlPlN2at6native12_GLOBAL__N_18offset_tEEE10hipError_tPvRmT1_PNSt15iterator_traitsISY_E10value_typeET2_T3_PNSZ_IS14_E10value_typeET4_jRbjT5_S1A_jjP12ihipStream_tbEUljE_EEESV_SW_SX_S14_S18_S1A_T6_T7_T9_mT8_S1C_bDpT10_ENKUlT_T0_E_clISt17integral_constantIbLb1EES1P_EEDaS1K_S1L_EUlS1K_E_NS1_11comp_targetILNS1_3genE0ELNS1_11target_archE4294967295ELNS1_3gpuE0ELNS1_3repE0EEENS1_30default_config_static_selectorELNS0_4arch9wavefront6targetE0EEEvSY_.num_agpr, 0
	.set _ZN7rocprim17ROCPRIM_400000_NS6detail17trampoline_kernelINS0_13select_configILj256ELj13ELNS0_17block_load_methodE3ELS4_3ELS4_3ELNS0_20block_scan_algorithmE0ELj4294967295EEENS1_25partition_config_selectorILNS1_17partition_subalgoE3EjNS0_10empty_typeEbEEZZNS1_14partition_implILS8_3ELb0ES6_jNS0_17counting_iteratorIjlEEPS9_SE_NS0_5tupleIJPjSE_EEENSF_IJSE_SE_EEES9_SG_JZNS1_25segmented_radix_sort_implINS0_14default_configELb1EPKbPbPKlPlN2at6native12_GLOBAL__N_18offset_tEEE10hipError_tPvRmT1_PNSt15iterator_traitsISY_E10value_typeET2_T3_PNSZ_IS14_E10value_typeET4_jRbjT5_S1A_jjP12ihipStream_tbEUljE_EEESV_SW_SX_S14_S18_S1A_T6_T7_T9_mT8_S1C_bDpT10_ENKUlT_T0_E_clISt17integral_constantIbLb1EES1P_EEDaS1K_S1L_EUlS1K_E_NS1_11comp_targetILNS1_3genE0ELNS1_11target_archE4294967295ELNS1_3gpuE0ELNS1_3repE0EEENS1_30default_config_static_selectorELNS0_4arch9wavefront6targetE0EEEvSY_.numbered_sgpr, 0
	.set _ZN7rocprim17ROCPRIM_400000_NS6detail17trampoline_kernelINS0_13select_configILj256ELj13ELNS0_17block_load_methodE3ELS4_3ELS4_3ELNS0_20block_scan_algorithmE0ELj4294967295EEENS1_25partition_config_selectorILNS1_17partition_subalgoE3EjNS0_10empty_typeEbEEZZNS1_14partition_implILS8_3ELb0ES6_jNS0_17counting_iteratorIjlEEPS9_SE_NS0_5tupleIJPjSE_EEENSF_IJSE_SE_EEES9_SG_JZNS1_25segmented_radix_sort_implINS0_14default_configELb1EPKbPbPKlPlN2at6native12_GLOBAL__N_18offset_tEEE10hipError_tPvRmT1_PNSt15iterator_traitsISY_E10value_typeET2_T3_PNSZ_IS14_E10value_typeET4_jRbjT5_S1A_jjP12ihipStream_tbEUljE_EEESV_SW_SX_S14_S18_S1A_T6_T7_T9_mT8_S1C_bDpT10_ENKUlT_T0_E_clISt17integral_constantIbLb1EES1P_EEDaS1K_S1L_EUlS1K_E_NS1_11comp_targetILNS1_3genE0ELNS1_11target_archE4294967295ELNS1_3gpuE0ELNS1_3repE0EEENS1_30default_config_static_selectorELNS0_4arch9wavefront6targetE0EEEvSY_.num_named_barrier, 0
	.set _ZN7rocprim17ROCPRIM_400000_NS6detail17trampoline_kernelINS0_13select_configILj256ELj13ELNS0_17block_load_methodE3ELS4_3ELS4_3ELNS0_20block_scan_algorithmE0ELj4294967295EEENS1_25partition_config_selectorILNS1_17partition_subalgoE3EjNS0_10empty_typeEbEEZZNS1_14partition_implILS8_3ELb0ES6_jNS0_17counting_iteratorIjlEEPS9_SE_NS0_5tupleIJPjSE_EEENSF_IJSE_SE_EEES9_SG_JZNS1_25segmented_radix_sort_implINS0_14default_configELb1EPKbPbPKlPlN2at6native12_GLOBAL__N_18offset_tEEE10hipError_tPvRmT1_PNSt15iterator_traitsISY_E10value_typeET2_T3_PNSZ_IS14_E10value_typeET4_jRbjT5_S1A_jjP12ihipStream_tbEUljE_EEESV_SW_SX_S14_S18_S1A_T6_T7_T9_mT8_S1C_bDpT10_ENKUlT_T0_E_clISt17integral_constantIbLb1EES1P_EEDaS1K_S1L_EUlS1K_E_NS1_11comp_targetILNS1_3genE0ELNS1_11target_archE4294967295ELNS1_3gpuE0ELNS1_3repE0EEENS1_30default_config_static_selectorELNS0_4arch9wavefront6targetE0EEEvSY_.private_seg_size, 0
	.set _ZN7rocprim17ROCPRIM_400000_NS6detail17trampoline_kernelINS0_13select_configILj256ELj13ELNS0_17block_load_methodE3ELS4_3ELS4_3ELNS0_20block_scan_algorithmE0ELj4294967295EEENS1_25partition_config_selectorILNS1_17partition_subalgoE3EjNS0_10empty_typeEbEEZZNS1_14partition_implILS8_3ELb0ES6_jNS0_17counting_iteratorIjlEEPS9_SE_NS0_5tupleIJPjSE_EEENSF_IJSE_SE_EEES9_SG_JZNS1_25segmented_radix_sort_implINS0_14default_configELb1EPKbPbPKlPlN2at6native12_GLOBAL__N_18offset_tEEE10hipError_tPvRmT1_PNSt15iterator_traitsISY_E10value_typeET2_T3_PNSZ_IS14_E10value_typeET4_jRbjT5_S1A_jjP12ihipStream_tbEUljE_EEESV_SW_SX_S14_S18_S1A_T6_T7_T9_mT8_S1C_bDpT10_ENKUlT_T0_E_clISt17integral_constantIbLb1EES1P_EEDaS1K_S1L_EUlS1K_E_NS1_11comp_targetILNS1_3genE0ELNS1_11target_archE4294967295ELNS1_3gpuE0ELNS1_3repE0EEENS1_30default_config_static_selectorELNS0_4arch9wavefront6targetE0EEEvSY_.uses_vcc, 0
	.set _ZN7rocprim17ROCPRIM_400000_NS6detail17trampoline_kernelINS0_13select_configILj256ELj13ELNS0_17block_load_methodE3ELS4_3ELS4_3ELNS0_20block_scan_algorithmE0ELj4294967295EEENS1_25partition_config_selectorILNS1_17partition_subalgoE3EjNS0_10empty_typeEbEEZZNS1_14partition_implILS8_3ELb0ES6_jNS0_17counting_iteratorIjlEEPS9_SE_NS0_5tupleIJPjSE_EEENSF_IJSE_SE_EEES9_SG_JZNS1_25segmented_radix_sort_implINS0_14default_configELb1EPKbPbPKlPlN2at6native12_GLOBAL__N_18offset_tEEE10hipError_tPvRmT1_PNSt15iterator_traitsISY_E10value_typeET2_T3_PNSZ_IS14_E10value_typeET4_jRbjT5_S1A_jjP12ihipStream_tbEUljE_EEESV_SW_SX_S14_S18_S1A_T6_T7_T9_mT8_S1C_bDpT10_ENKUlT_T0_E_clISt17integral_constantIbLb1EES1P_EEDaS1K_S1L_EUlS1K_E_NS1_11comp_targetILNS1_3genE0ELNS1_11target_archE4294967295ELNS1_3gpuE0ELNS1_3repE0EEENS1_30default_config_static_selectorELNS0_4arch9wavefront6targetE0EEEvSY_.uses_flat_scratch, 0
	.set _ZN7rocprim17ROCPRIM_400000_NS6detail17trampoline_kernelINS0_13select_configILj256ELj13ELNS0_17block_load_methodE3ELS4_3ELS4_3ELNS0_20block_scan_algorithmE0ELj4294967295EEENS1_25partition_config_selectorILNS1_17partition_subalgoE3EjNS0_10empty_typeEbEEZZNS1_14partition_implILS8_3ELb0ES6_jNS0_17counting_iteratorIjlEEPS9_SE_NS0_5tupleIJPjSE_EEENSF_IJSE_SE_EEES9_SG_JZNS1_25segmented_radix_sort_implINS0_14default_configELb1EPKbPbPKlPlN2at6native12_GLOBAL__N_18offset_tEEE10hipError_tPvRmT1_PNSt15iterator_traitsISY_E10value_typeET2_T3_PNSZ_IS14_E10value_typeET4_jRbjT5_S1A_jjP12ihipStream_tbEUljE_EEESV_SW_SX_S14_S18_S1A_T6_T7_T9_mT8_S1C_bDpT10_ENKUlT_T0_E_clISt17integral_constantIbLb1EES1P_EEDaS1K_S1L_EUlS1K_E_NS1_11comp_targetILNS1_3genE0ELNS1_11target_archE4294967295ELNS1_3gpuE0ELNS1_3repE0EEENS1_30default_config_static_selectorELNS0_4arch9wavefront6targetE0EEEvSY_.has_dyn_sized_stack, 0
	.set _ZN7rocprim17ROCPRIM_400000_NS6detail17trampoline_kernelINS0_13select_configILj256ELj13ELNS0_17block_load_methodE3ELS4_3ELS4_3ELNS0_20block_scan_algorithmE0ELj4294967295EEENS1_25partition_config_selectorILNS1_17partition_subalgoE3EjNS0_10empty_typeEbEEZZNS1_14partition_implILS8_3ELb0ES6_jNS0_17counting_iteratorIjlEEPS9_SE_NS0_5tupleIJPjSE_EEENSF_IJSE_SE_EEES9_SG_JZNS1_25segmented_radix_sort_implINS0_14default_configELb1EPKbPbPKlPlN2at6native12_GLOBAL__N_18offset_tEEE10hipError_tPvRmT1_PNSt15iterator_traitsISY_E10value_typeET2_T3_PNSZ_IS14_E10value_typeET4_jRbjT5_S1A_jjP12ihipStream_tbEUljE_EEESV_SW_SX_S14_S18_S1A_T6_T7_T9_mT8_S1C_bDpT10_ENKUlT_T0_E_clISt17integral_constantIbLb1EES1P_EEDaS1K_S1L_EUlS1K_E_NS1_11comp_targetILNS1_3genE0ELNS1_11target_archE4294967295ELNS1_3gpuE0ELNS1_3repE0EEENS1_30default_config_static_selectorELNS0_4arch9wavefront6targetE0EEEvSY_.has_recursion, 0
	.set _ZN7rocprim17ROCPRIM_400000_NS6detail17trampoline_kernelINS0_13select_configILj256ELj13ELNS0_17block_load_methodE3ELS4_3ELS4_3ELNS0_20block_scan_algorithmE0ELj4294967295EEENS1_25partition_config_selectorILNS1_17partition_subalgoE3EjNS0_10empty_typeEbEEZZNS1_14partition_implILS8_3ELb0ES6_jNS0_17counting_iteratorIjlEEPS9_SE_NS0_5tupleIJPjSE_EEENSF_IJSE_SE_EEES9_SG_JZNS1_25segmented_radix_sort_implINS0_14default_configELb1EPKbPbPKlPlN2at6native12_GLOBAL__N_18offset_tEEE10hipError_tPvRmT1_PNSt15iterator_traitsISY_E10value_typeET2_T3_PNSZ_IS14_E10value_typeET4_jRbjT5_S1A_jjP12ihipStream_tbEUljE_EEESV_SW_SX_S14_S18_S1A_T6_T7_T9_mT8_S1C_bDpT10_ENKUlT_T0_E_clISt17integral_constantIbLb1EES1P_EEDaS1K_S1L_EUlS1K_E_NS1_11comp_targetILNS1_3genE0ELNS1_11target_archE4294967295ELNS1_3gpuE0ELNS1_3repE0EEENS1_30default_config_static_selectorELNS0_4arch9wavefront6targetE0EEEvSY_.has_indirect_call, 0
	.section	.AMDGPU.csdata,"",@progbits
; Kernel info:
; codeLenInByte = 4
; TotalNumSgprs: 0
; NumVgprs: 0
; ScratchSize: 0
; MemoryBound: 0
; FloatMode: 240
; IeeeMode: 1
; LDSByteSize: 0 bytes/workgroup (compile time only)
; SGPRBlocks: 0
; VGPRBlocks: 0
; NumSGPRsForWavesPerEU: 1
; NumVGPRsForWavesPerEU: 1
; NamedBarCnt: 0
; Occupancy: 16
; WaveLimiterHint : 0
; COMPUTE_PGM_RSRC2:SCRATCH_EN: 0
; COMPUTE_PGM_RSRC2:USER_SGPR: 2
; COMPUTE_PGM_RSRC2:TRAP_HANDLER: 0
; COMPUTE_PGM_RSRC2:TGID_X_EN: 1
; COMPUTE_PGM_RSRC2:TGID_Y_EN: 0
; COMPUTE_PGM_RSRC2:TGID_Z_EN: 0
; COMPUTE_PGM_RSRC2:TIDIG_COMP_CNT: 0
	.section	.text._ZN7rocprim17ROCPRIM_400000_NS6detail17trampoline_kernelINS0_13select_configILj256ELj13ELNS0_17block_load_methodE3ELS4_3ELS4_3ELNS0_20block_scan_algorithmE0ELj4294967295EEENS1_25partition_config_selectorILNS1_17partition_subalgoE3EjNS0_10empty_typeEbEEZZNS1_14partition_implILS8_3ELb0ES6_jNS0_17counting_iteratorIjlEEPS9_SE_NS0_5tupleIJPjSE_EEENSF_IJSE_SE_EEES9_SG_JZNS1_25segmented_radix_sort_implINS0_14default_configELb1EPKbPbPKlPlN2at6native12_GLOBAL__N_18offset_tEEE10hipError_tPvRmT1_PNSt15iterator_traitsISY_E10value_typeET2_T3_PNSZ_IS14_E10value_typeET4_jRbjT5_S1A_jjP12ihipStream_tbEUljE_EEESV_SW_SX_S14_S18_S1A_T6_T7_T9_mT8_S1C_bDpT10_ENKUlT_T0_E_clISt17integral_constantIbLb1EES1P_EEDaS1K_S1L_EUlS1K_E_NS1_11comp_targetILNS1_3genE5ELNS1_11target_archE942ELNS1_3gpuE9ELNS1_3repE0EEENS1_30default_config_static_selectorELNS0_4arch9wavefront6targetE0EEEvSY_,"axG",@progbits,_ZN7rocprim17ROCPRIM_400000_NS6detail17trampoline_kernelINS0_13select_configILj256ELj13ELNS0_17block_load_methodE3ELS4_3ELS4_3ELNS0_20block_scan_algorithmE0ELj4294967295EEENS1_25partition_config_selectorILNS1_17partition_subalgoE3EjNS0_10empty_typeEbEEZZNS1_14partition_implILS8_3ELb0ES6_jNS0_17counting_iteratorIjlEEPS9_SE_NS0_5tupleIJPjSE_EEENSF_IJSE_SE_EEES9_SG_JZNS1_25segmented_radix_sort_implINS0_14default_configELb1EPKbPbPKlPlN2at6native12_GLOBAL__N_18offset_tEEE10hipError_tPvRmT1_PNSt15iterator_traitsISY_E10value_typeET2_T3_PNSZ_IS14_E10value_typeET4_jRbjT5_S1A_jjP12ihipStream_tbEUljE_EEESV_SW_SX_S14_S18_S1A_T6_T7_T9_mT8_S1C_bDpT10_ENKUlT_T0_E_clISt17integral_constantIbLb1EES1P_EEDaS1K_S1L_EUlS1K_E_NS1_11comp_targetILNS1_3genE5ELNS1_11target_archE942ELNS1_3gpuE9ELNS1_3repE0EEENS1_30default_config_static_selectorELNS0_4arch9wavefront6targetE0EEEvSY_,comdat
	.globl	_ZN7rocprim17ROCPRIM_400000_NS6detail17trampoline_kernelINS0_13select_configILj256ELj13ELNS0_17block_load_methodE3ELS4_3ELS4_3ELNS0_20block_scan_algorithmE0ELj4294967295EEENS1_25partition_config_selectorILNS1_17partition_subalgoE3EjNS0_10empty_typeEbEEZZNS1_14partition_implILS8_3ELb0ES6_jNS0_17counting_iteratorIjlEEPS9_SE_NS0_5tupleIJPjSE_EEENSF_IJSE_SE_EEES9_SG_JZNS1_25segmented_radix_sort_implINS0_14default_configELb1EPKbPbPKlPlN2at6native12_GLOBAL__N_18offset_tEEE10hipError_tPvRmT1_PNSt15iterator_traitsISY_E10value_typeET2_T3_PNSZ_IS14_E10value_typeET4_jRbjT5_S1A_jjP12ihipStream_tbEUljE_EEESV_SW_SX_S14_S18_S1A_T6_T7_T9_mT8_S1C_bDpT10_ENKUlT_T0_E_clISt17integral_constantIbLb1EES1P_EEDaS1K_S1L_EUlS1K_E_NS1_11comp_targetILNS1_3genE5ELNS1_11target_archE942ELNS1_3gpuE9ELNS1_3repE0EEENS1_30default_config_static_selectorELNS0_4arch9wavefront6targetE0EEEvSY_ ; -- Begin function _ZN7rocprim17ROCPRIM_400000_NS6detail17trampoline_kernelINS0_13select_configILj256ELj13ELNS0_17block_load_methodE3ELS4_3ELS4_3ELNS0_20block_scan_algorithmE0ELj4294967295EEENS1_25partition_config_selectorILNS1_17partition_subalgoE3EjNS0_10empty_typeEbEEZZNS1_14partition_implILS8_3ELb0ES6_jNS0_17counting_iteratorIjlEEPS9_SE_NS0_5tupleIJPjSE_EEENSF_IJSE_SE_EEES9_SG_JZNS1_25segmented_radix_sort_implINS0_14default_configELb1EPKbPbPKlPlN2at6native12_GLOBAL__N_18offset_tEEE10hipError_tPvRmT1_PNSt15iterator_traitsISY_E10value_typeET2_T3_PNSZ_IS14_E10value_typeET4_jRbjT5_S1A_jjP12ihipStream_tbEUljE_EEESV_SW_SX_S14_S18_S1A_T6_T7_T9_mT8_S1C_bDpT10_ENKUlT_T0_E_clISt17integral_constantIbLb1EES1P_EEDaS1K_S1L_EUlS1K_E_NS1_11comp_targetILNS1_3genE5ELNS1_11target_archE942ELNS1_3gpuE9ELNS1_3repE0EEENS1_30default_config_static_selectorELNS0_4arch9wavefront6targetE0EEEvSY_
	.p2align	8
	.type	_ZN7rocprim17ROCPRIM_400000_NS6detail17trampoline_kernelINS0_13select_configILj256ELj13ELNS0_17block_load_methodE3ELS4_3ELS4_3ELNS0_20block_scan_algorithmE0ELj4294967295EEENS1_25partition_config_selectorILNS1_17partition_subalgoE3EjNS0_10empty_typeEbEEZZNS1_14partition_implILS8_3ELb0ES6_jNS0_17counting_iteratorIjlEEPS9_SE_NS0_5tupleIJPjSE_EEENSF_IJSE_SE_EEES9_SG_JZNS1_25segmented_radix_sort_implINS0_14default_configELb1EPKbPbPKlPlN2at6native12_GLOBAL__N_18offset_tEEE10hipError_tPvRmT1_PNSt15iterator_traitsISY_E10value_typeET2_T3_PNSZ_IS14_E10value_typeET4_jRbjT5_S1A_jjP12ihipStream_tbEUljE_EEESV_SW_SX_S14_S18_S1A_T6_T7_T9_mT8_S1C_bDpT10_ENKUlT_T0_E_clISt17integral_constantIbLb1EES1P_EEDaS1K_S1L_EUlS1K_E_NS1_11comp_targetILNS1_3genE5ELNS1_11target_archE942ELNS1_3gpuE9ELNS1_3repE0EEENS1_30default_config_static_selectorELNS0_4arch9wavefront6targetE0EEEvSY_,@function
_ZN7rocprim17ROCPRIM_400000_NS6detail17trampoline_kernelINS0_13select_configILj256ELj13ELNS0_17block_load_methodE3ELS4_3ELS4_3ELNS0_20block_scan_algorithmE0ELj4294967295EEENS1_25partition_config_selectorILNS1_17partition_subalgoE3EjNS0_10empty_typeEbEEZZNS1_14partition_implILS8_3ELb0ES6_jNS0_17counting_iteratorIjlEEPS9_SE_NS0_5tupleIJPjSE_EEENSF_IJSE_SE_EEES9_SG_JZNS1_25segmented_radix_sort_implINS0_14default_configELb1EPKbPbPKlPlN2at6native12_GLOBAL__N_18offset_tEEE10hipError_tPvRmT1_PNSt15iterator_traitsISY_E10value_typeET2_T3_PNSZ_IS14_E10value_typeET4_jRbjT5_S1A_jjP12ihipStream_tbEUljE_EEESV_SW_SX_S14_S18_S1A_T6_T7_T9_mT8_S1C_bDpT10_ENKUlT_T0_E_clISt17integral_constantIbLb1EES1P_EEDaS1K_S1L_EUlS1K_E_NS1_11comp_targetILNS1_3genE5ELNS1_11target_archE942ELNS1_3gpuE9ELNS1_3repE0EEENS1_30default_config_static_selectorELNS0_4arch9wavefront6targetE0EEEvSY_: ; @_ZN7rocprim17ROCPRIM_400000_NS6detail17trampoline_kernelINS0_13select_configILj256ELj13ELNS0_17block_load_methodE3ELS4_3ELS4_3ELNS0_20block_scan_algorithmE0ELj4294967295EEENS1_25partition_config_selectorILNS1_17partition_subalgoE3EjNS0_10empty_typeEbEEZZNS1_14partition_implILS8_3ELb0ES6_jNS0_17counting_iteratorIjlEEPS9_SE_NS0_5tupleIJPjSE_EEENSF_IJSE_SE_EEES9_SG_JZNS1_25segmented_radix_sort_implINS0_14default_configELb1EPKbPbPKlPlN2at6native12_GLOBAL__N_18offset_tEEE10hipError_tPvRmT1_PNSt15iterator_traitsISY_E10value_typeET2_T3_PNSZ_IS14_E10value_typeET4_jRbjT5_S1A_jjP12ihipStream_tbEUljE_EEESV_SW_SX_S14_S18_S1A_T6_T7_T9_mT8_S1C_bDpT10_ENKUlT_T0_E_clISt17integral_constantIbLb1EES1P_EEDaS1K_S1L_EUlS1K_E_NS1_11comp_targetILNS1_3genE5ELNS1_11target_archE942ELNS1_3gpuE9ELNS1_3repE0EEENS1_30default_config_static_selectorELNS0_4arch9wavefront6targetE0EEEvSY_
; %bb.0:
	.section	.rodata,"a",@progbits
	.p2align	6, 0x0
	.amdhsa_kernel _ZN7rocprim17ROCPRIM_400000_NS6detail17trampoline_kernelINS0_13select_configILj256ELj13ELNS0_17block_load_methodE3ELS4_3ELS4_3ELNS0_20block_scan_algorithmE0ELj4294967295EEENS1_25partition_config_selectorILNS1_17partition_subalgoE3EjNS0_10empty_typeEbEEZZNS1_14partition_implILS8_3ELb0ES6_jNS0_17counting_iteratorIjlEEPS9_SE_NS0_5tupleIJPjSE_EEENSF_IJSE_SE_EEES9_SG_JZNS1_25segmented_radix_sort_implINS0_14default_configELb1EPKbPbPKlPlN2at6native12_GLOBAL__N_18offset_tEEE10hipError_tPvRmT1_PNSt15iterator_traitsISY_E10value_typeET2_T3_PNSZ_IS14_E10value_typeET4_jRbjT5_S1A_jjP12ihipStream_tbEUljE_EEESV_SW_SX_S14_S18_S1A_T6_T7_T9_mT8_S1C_bDpT10_ENKUlT_T0_E_clISt17integral_constantIbLb1EES1P_EEDaS1K_S1L_EUlS1K_E_NS1_11comp_targetILNS1_3genE5ELNS1_11target_archE942ELNS1_3gpuE9ELNS1_3repE0EEENS1_30default_config_static_selectorELNS0_4arch9wavefront6targetE0EEEvSY_
		.amdhsa_group_segment_fixed_size 0
		.amdhsa_private_segment_fixed_size 0
		.amdhsa_kernarg_size 152
		.amdhsa_user_sgpr_count 2
		.amdhsa_user_sgpr_dispatch_ptr 0
		.amdhsa_user_sgpr_queue_ptr 0
		.amdhsa_user_sgpr_kernarg_segment_ptr 1
		.amdhsa_user_sgpr_dispatch_id 0
		.amdhsa_user_sgpr_kernarg_preload_length 0
		.amdhsa_user_sgpr_kernarg_preload_offset 0
		.amdhsa_user_sgpr_private_segment_size 0
		.amdhsa_wavefront_size32 1
		.amdhsa_uses_dynamic_stack 0
		.amdhsa_enable_private_segment 0
		.amdhsa_system_sgpr_workgroup_id_x 1
		.amdhsa_system_sgpr_workgroup_id_y 0
		.amdhsa_system_sgpr_workgroup_id_z 0
		.amdhsa_system_sgpr_workgroup_info 0
		.amdhsa_system_vgpr_workitem_id 0
		.amdhsa_next_free_vgpr 1
		.amdhsa_next_free_sgpr 1
		.amdhsa_named_barrier_count 0
		.amdhsa_reserve_vcc 0
		.amdhsa_float_round_mode_32 0
		.amdhsa_float_round_mode_16_64 0
		.amdhsa_float_denorm_mode_32 3
		.amdhsa_float_denorm_mode_16_64 3
		.amdhsa_fp16_overflow 0
		.amdhsa_memory_ordered 1
		.amdhsa_forward_progress 1
		.amdhsa_inst_pref_size 0
		.amdhsa_round_robin_scheduling 0
		.amdhsa_exception_fp_ieee_invalid_op 0
		.amdhsa_exception_fp_denorm_src 0
		.amdhsa_exception_fp_ieee_div_zero 0
		.amdhsa_exception_fp_ieee_overflow 0
		.amdhsa_exception_fp_ieee_underflow 0
		.amdhsa_exception_fp_ieee_inexact 0
		.amdhsa_exception_int_div_zero 0
	.end_amdhsa_kernel
	.section	.text._ZN7rocprim17ROCPRIM_400000_NS6detail17trampoline_kernelINS0_13select_configILj256ELj13ELNS0_17block_load_methodE3ELS4_3ELS4_3ELNS0_20block_scan_algorithmE0ELj4294967295EEENS1_25partition_config_selectorILNS1_17partition_subalgoE3EjNS0_10empty_typeEbEEZZNS1_14partition_implILS8_3ELb0ES6_jNS0_17counting_iteratorIjlEEPS9_SE_NS0_5tupleIJPjSE_EEENSF_IJSE_SE_EEES9_SG_JZNS1_25segmented_radix_sort_implINS0_14default_configELb1EPKbPbPKlPlN2at6native12_GLOBAL__N_18offset_tEEE10hipError_tPvRmT1_PNSt15iterator_traitsISY_E10value_typeET2_T3_PNSZ_IS14_E10value_typeET4_jRbjT5_S1A_jjP12ihipStream_tbEUljE_EEESV_SW_SX_S14_S18_S1A_T6_T7_T9_mT8_S1C_bDpT10_ENKUlT_T0_E_clISt17integral_constantIbLb1EES1P_EEDaS1K_S1L_EUlS1K_E_NS1_11comp_targetILNS1_3genE5ELNS1_11target_archE942ELNS1_3gpuE9ELNS1_3repE0EEENS1_30default_config_static_selectorELNS0_4arch9wavefront6targetE0EEEvSY_,"axG",@progbits,_ZN7rocprim17ROCPRIM_400000_NS6detail17trampoline_kernelINS0_13select_configILj256ELj13ELNS0_17block_load_methodE3ELS4_3ELS4_3ELNS0_20block_scan_algorithmE0ELj4294967295EEENS1_25partition_config_selectorILNS1_17partition_subalgoE3EjNS0_10empty_typeEbEEZZNS1_14partition_implILS8_3ELb0ES6_jNS0_17counting_iteratorIjlEEPS9_SE_NS0_5tupleIJPjSE_EEENSF_IJSE_SE_EEES9_SG_JZNS1_25segmented_radix_sort_implINS0_14default_configELb1EPKbPbPKlPlN2at6native12_GLOBAL__N_18offset_tEEE10hipError_tPvRmT1_PNSt15iterator_traitsISY_E10value_typeET2_T3_PNSZ_IS14_E10value_typeET4_jRbjT5_S1A_jjP12ihipStream_tbEUljE_EEESV_SW_SX_S14_S18_S1A_T6_T7_T9_mT8_S1C_bDpT10_ENKUlT_T0_E_clISt17integral_constantIbLb1EES1P_EEDaS1K_S1L_EUlS1K_E_NS1_11comp_targetILNS1_3genE5ELNS1_11target_archE942ELNS1_3gpuE9ELNS1_3repE0EEENS1_30default_config_static_selectorELNS0_4arch9wavefront6targetE0EEEvSY_,comdat
.Lfunc_end1501:
	.size	_ZN7rocprim17ROCPRIM_400000_NS6detail17trampoline_kernelINS0_13select_configILj256ELj13ELNS0_17block_load_methodE3ELS4_3ELS4_3ELNS0_20block_scan_algorithmE0ELj4294967295EEENS1_25partition_config_selectorILNS1_17partition_subalgoE3EjNS0_10empty_typeEbEEZZNS1_14partition_implILS8_3ELb0ES6_jNS0_17counting_iteratorIjlEEPS9_SE_NS0_5tupleIJPjSE_EEENSF_IJSE_SE_EEES9_SG_JZNS1_25segmented_radix_sort_implINS0_14default_configELb1EPKbPbPKlPlN2at6native12_GLOBAL__N_18offset_tEEE10hipError_tPvRmT1_PNSt15iterator_traitsISY_E10value_typeET2_T3_PNSZ_IS14_E10value_typeET4_jRbjT5_S1A_jjP12ihipStream_tbEUljE_EEESV_SW_SX_S14_S18_S1A_T6_T7_T9_mT8_S1C_bDpT10_ENKUlT_T0_E_clISt17integral_constantIbLb1EES1P_EEDaS1K_S1L_EUlS1K_E_NS1_11comp_targetILNS1_3genE5ELNS1_11target_archE942ELNS1_3gpuE9ELNS1_3repE0EEENS1_30default_config_static_selectorELNS0_4arch9wavefront6targetE0EEEvSY_, .Lfunc_end1501-_ZN7rocprim17ROCPRIM_400000_NS6detail17trampoline_kernelINS0_13select_configILj256ELj13ELNS0_17block_load_methodE3ELS4_3ELS4_3ELNS0_20block_scan_algorithmE0ELj4294967295EEENS1_25partition_config_selectorILNS1_17partition_subalgoE3EjNS0_10empty_typeEbEEZZNS1_14partition_implILS8_3ELb0ES6_jNS0_17counting_iteratorIjlEEPS9_SE_NS0_5tupleIJPjSE_EEENSF_IJSE_SE_EEES9_SG_JZNS1_25segmented_radix_sort_implINS0_14default_configELb1EPKbPbPKlPlN2at6native12_GLOBAL__N_18offset_tEEE10hipError_tPvRmT1_PNSt15iterator_traitsISY_E10value_typeET2_T3_PNSZ_IS14_E10value_typeET4_jRbjT5_S1A_jjP12ihipStream_tbEUljE_EEESV_SW_SX_S14_S18_S1A_T6_T7_T9_mT8_S1C_bDpT10_ENKUlT_T0_E_clISt17integral_constantIbLb1EES1P_EEDaS1K_S1L_EUlS1K_E_NS1_11comp_targetILNS1_3genE5ELNS1_11target_archE942ELNS1_3gpuE9ELNS1_3repE0EEENS1_30default_config_static_selectorELNS0_4arch9wavefront6targetE0EEEvSY_
                                        ; -- End function
	.set _ZN7rocprim17ROCPRIM_400000_NS6detail17trampoline_kernelINS0_13select_configILj256ELj13ELNS0_17block_load_methodE3ELS4_3ELS4_3ELNS0_20block_scan_algorithmE0ELj4294967295EEENS1_25partition_config_selectorILNS1_17partition_subalgoE3EjNS0_10empty_typeEbEEZZNS1_14partition_implILS8_3ELb0ES6_jNS0_17counting_iteratorIjlEEPS9_SE_NS0_5tupleIJPjSE_EEENSF_IJSE_SE_EEES9_SG_JZNS1_25segmented_radix_sort_implINS0_14default_configELb1EPKbPbPKlPlN2at6native12_GLOBAL__N_18offset_tEEE10hipError_tPvRmT1_PNSt15iterator_traitsISY_E10value_typeET2_T3_PNSZ_IS14_E10value_typeET4_jRbjT5_S1A_jjP12ihipStream_tbEUljE_EEESV_SW_SX_S14_S18_S1A_T6_T7_T9_mT8_S1C_bDpT10_ENKUlT_T0_E_clISt17integral_constantIbLb1EES1P_EEDaS1K_S1L_EUlS1K_E_NS1_11comp_targetILNS1_3genE5ELNS1_11target_archE942ELNS1_3gpuE9ELNS1_3repE0EEENS1_30default_config_static_selectorELNS0_4arch9wavefront6targetE0EEEvSY_.num_vgpr, 0
	.set _ZN7rocprim17ROCPRIM_400000_NS6detail17trampoline_kernelINS0_13select_configILj256ELj13ELNS0_17block_load_methodE3ELS4_3ELS4_3ELNS0_20block_scan_algorithmE0ELj4294967295EEENS1_25partition_config_selectorILNS1_17partition_subalgoE3EjNS0_10empty_typeEbEEZZNS1_14partition_implILS8_3ELb0ES6_jNS0_17counting_iteratorIjlEEPS9_SE_NS0_5tupleIJPjSE_EEENSF_IJSE_SE_EEES9_SG_JZNS1_25segmented_radix_sort_implINS0_14default_configELb1EPKbPbPKlPlN2at6native12_GLOBAL__N_18offset_tEEE10hipError_tPvRmT1_PNSt15iterator_traitsISY_E10value_typeET2_T3_PNSZ_IS14_E10value_typeET4_jRbjT5_S1A_jjP12ihipStream_tbEUljE_EEESV_SW_SX_S14_S18_S1A_T6_T7_T9_mT8_S1C_bDpT10_ENKUlT_T0_E_clISt17integral_constantIbLb1EES1P_EEDaS1K_S1L_EUlS1K_E_NS1_11comp_targetILNS1_3genE5ELNS1_11target_archE942ELNS1_3gpuE9ELNS1_3repE0EEENS1_30default_config_static_selectorELNS0_4arch9wavefront6targetE0EEEvSY_.num_agpr, 0
	.set _ZN7rocprim17ROCPRIM_400000_NS6detail17trampoline_kernelINS0_13select_configILj256ELj13ELNS0_17block_load_methodE3ELS4_3ELS4_3ELNS0_20block_scan_algorithmE0ELj4294967295EEENS1_25partition_config_selectorILNS1_17partition_subalgoE3EjNS0_10empty_typeEbEEZZNS1_14partition_implILS8_3ELb0ES6_jNS0_17counting_iteratorIjlEEPS9_SE_NS0_5tupleIJPjSE_EEENSF_IJSE_SE_EEES9_SG_JZNS1_25segmented_radix_sort_implINS0_14default_configELb1EPKbPbPKlPlN2at6native12_GLOBAL__N_18offset_tEEE10hipError_tPvRmT1_PNSt15iterator_traitsISY_E10value_typeET2_T3_PNSZ_IS14_E10value_typeET4_jRbjT5_S1A_jjP12ihipStream_tbEUljE_EEESV_SW_SX_S14_S18_S1A_T6_T7_T9_mT8_S1C_bDpT10_ENKUlT_T0_E_clISt17integral_constantIbLb1EES1P_EEDaS1K_S1L_EUlS1K_E_NS1_11comp_targetILNS1_3genE5ELNS1_11target_archE942ELNS1_3gpuE9ELNS1_3repE0EEENS1_30default_config_static_selectorELNS0_4arch9wavefront6targetE0EEEvSY_.numbered_sgpr, 0
	.set _ZN7rocprim17ROCPRIM_400000_NS6detail17trampoline_kernelINS0_13select_configILj256ELj13ELNS0_17block_load_methodE3ELS4_3ELS4_3ELNS0_20block_scan_algorithmE0ELj4294967295EEENS1_25partition_config_selectorILNS1_17partition_subalgoE3EjNS0_10empty_typeEbEEZZNS1_14partition_implILS8_3ELb0ES6_jNS0_17counting_iteratorIjlEEPS9_SE_NS0_5tupleIJPjSE_EEENSF_IJSE_SE_EEES9_SG_JZNS1_25segmented_radix_sort_implINS0_14default_configELb1EPKbPbPKlPlN2at6native12_GLOBAL__N_18offset_tEEE10hipError_tPvRmT1_PNSt15iterator_traitsISY_E10value_typeET2_T3_PNSZ_IS14_E10value_typeET4_jRbjT5_S1A_jjP12ihipStream_tbEUljE_EEESV_SW_SX_S14_S18_S1A_T6_T7_T9_mT8_S1C_bDpT10_ENKUlT_T0_E_clISt17integral_constantIbLb1EES1P_EEDaS1K_S1L_EUlS1K_E_NS1_11comp_targetILNS1_3genE5ELNS1_11target_archE942ELNS1_3gpuE9ELNS1_3repE0EEENS1_30default_config_static_selectorELNS0_4arch9wavefront6targetE0EEEvSY_.num_named_barrier, 0
	.set _ZN7rocprim17ROCPRIM_400000_NS6detail17trampoline_kernelINS0_13select_configILj256ELj13ELNS0_17block_load_methodE3ELS4_3ELS4_3ELNS0_20block_scan_algorithmE0ELj4294967295EEENS1_25partition_config_selectorILNS1_17partition_subalgoE3EjNS0_10empty_typeEbEEZZNS1_14partition_implILS8_3ELb0ES6_jNS0_17counting_iteratorIjlEEPS9_SE_NS0_5tupleIJPjSE_EEENSF_IJSE_SE_EEES9_SG_JZNS1_25segmented_radix_sort_implINS0_14default_configELb1EPKbPbPKlPlN2at6native12_GLOBAL__N_18offset_tEEE10hipError_tPvRmT1_PNSt15iterator_traitsISY_E10value_typeET2_T3_PNSZ_IS14_E10value_typeET4_jRbjT5_S1A_jjP12ihipStream_tbEUljE_EEESV_SW_SX_S14_S18_S1A_T6_T7_T9_mT8_S1C_bDpT10_ENKUlT_T0_E_clISt17integral_constantIbLb1EES1P_EEDaS1K_S1L_EUlS1K_E_NS1_11comp_targetILNS1_3genE5ELNS1_11target_archE942ELNS1_3gpuE9ELNS1_3repE0EEENS1_30default_config_static_selectorELNS0_4arch9wavefront6targetE0EEEvSY_.private_seg_size, 0
	.set _ZN7rocprim17ROCPRIM_400000_NS6detail17trampoline_kernelINS0_13select_configILj256ELj13ELNS0_17block_load_methodE3ELS4_3ELS4_3ELNS0_20block_scan_algorithmE0ELj4294967295EEENS1_25partition_config_selectorILNS1_17partition_subalgoE3EjNS0_10empty_typeEbEEZZNS1_14partition_implILS8_3ELb0ES6_jNS0_17counting_iteratorIjlEEPS9_SE_NS0_5tupleIJPjSE_EEENSF_IJSE_SE_EEES9_SG_JZNS1_25segmented_radix_sort_implINS0_14default_configELb1EPKbPbPKlPlN2at6native12_GLOBAL__N_18offset_tEEE10hipError_tPvRmT1_PNSt15iterator_traitsISY_E10value_typeET2_T3_PNSZ_IS14_E10value_typeET4_jRbjT5_S1A_jjP12ihipStream_tbEUljE_EEESV_SW_SX_S14_S18_S1A_T6_T7_T9_mT8_S1C_bDpT10_ENKUlT_T0_E_clISt17integral_constantIbLb1EES1P_EEDaS1K_S1L_EUlS1K_E_NS1_11comp_targetILNS1_3genE5ELNS1_11target_archE942ELNS1_3gpuE9ELNS1_3repE0EEENS1_30default_config_static_selectorELNS0_4arch9wavefront6targetE0EEEvSY_.uses_vcc, 0
	.set _ZN7rocprim17ROCPRIM_400000_NS6detail17trampoline_kernelINS0_13select_configILj256ELj13ELNS0_17block_load_methodE3ELS4_3ELS4_3ELNS0_20block_scan_algorithmE0ELj4294967295EEENS1_25partition_config_selectorILNS1_17partition_subalgoE3EjNS0_10empty_typeEbEEZZNS1_14partition_implILS8_3ELb0ES6_jNS0_17counting_iteratorIjlEEPS9_SE_NS0_5tupleIJPjSE_EEENSF_IJSE_SE_EEES9_SG_JZNS1_25segmented_radix_sort_implINS0_14default_configELb1EPKbPbPKlPlN2at6native12_GLOBAL__N_18offset_tEEE10hipError_tPvRmT1_PNSt15iterator_traitsISY_E10value_typeET2_T3_PNSZ_IS14_E10value_typeET4_jRbjT5_S1A_jjP12ihipStream_tbEUljE_EEESV_SW_SX_S14_S18_S1A_T6_T7_T9_mT8_S1C_bDpT10_ENKUlT_T0_E_clISt17integral_constantIbLb1EES1P_EEDaS1K_S1L_EUlS1K_E_NS1_11comp_targetILNS1_3genE5ELNS1_11target_archE942ELNS1_3gpuE9ELNS1_3repE0EEENS1_30default_config_static_selectorELNS0_4arch9wavefront6targetE0EEEvSY_.uses_flat_scratch, 0
	.set _ZN7rocprim17ROCPRIM_400000_NS6detail17trampoline_kernelINS0_13select_configILj256ELj13ELNS0_17block_load_methodE3ELS4_3ELS4_3ELNS0_20block_scan_algorithmE0ELj4294967295EEENS1_25partition_config_selectorILNS1_17partition_subalgoE3EjNS0_10empty_typeEbEEZZNS1_14partition_implILS8_3ELb0ES6_jNS0_17counting_iteratorIjlEEPS9_SE_NS0_5tupleIJPjSE_EEENSF_IJSE_SE_EEES9_SG_JZNS1_25segmented_radix_sort_implINS0_14default_configELb1EPKbPbPKlPlN2at6native12_GLOBAL__N_18offset_tEEE10hipError_tPvRmT1_PNSt15iterator_traitsISY_E10value_typeET2_T3_PNSZ_IS14_E10value_typeET4_jRbjT5_S1A_jjP12ihipStream_tbEUljE_EEESV_SW_SX_S14_S18_S1A_T6_T7_T9_mT8_S1C_bDpT10_ENKUlT_T0_E_clISt17integral_constantIbLb1EES1P_EEDaS1K_S1L_EUlS1K_E_NS1_11comp_targetILNS1_3genE5ELNS1_11target_archE942ELNS1_3gpuE9ELNS1_3repE0EEENS1_30default_config_static_selectorELNS0_4arch9wavefront6targetE0EEEvSY_.has_dyn_sized_stack, 0
	.set _ZN7rocprim17ROCPRIM_400000_NS6detail17trampoline_kernelINS0_13select_configILj256ELj13ELNS0_17block_load_methodE3ELS4_3ELS4_3ELNS0_20block_scan_algorithmE0ELj4294967295EEENS1_25partition_config_selectorILNS1_17partition_subalgoE3EjNS0_10empty_typeEbEEZZNS1_14partition_implILS8_3ELb0ES6_jNS0_17counting_iteratorIjlEEPS9_SE_NS0_5tupleIJPjSE_EEENSF_IJSE_SE_EEES9_SG_JZNS1_25segmented_radix_sort_implINS0_14default_configELb1EPKbPbPKlPlN2at6native12_GLOBAL__N_18offset_tEEE10hipError_tPvRmT1_PNSt15iterator_traitsISY_E10value_typeET2_T3_PNSZ_IS14_E10value_typeET4_jRbjT5_S1A_jjP12ihipStream_tbEUljE_EEESV_SW_SX_S14_S18_S1A_T6_T7_T9_mT8_S1C_bDpT10_ENKUlT_T0_E_clISt17integral_constantIbLb1EES1P_EEDaS1K_S1L_EUlS1K_E_NS1_11comp_targetILNS1_3genE5ELNS1_11target_archE942ELNS1_3gpuE9ELNS1_3repE0EEENS1_30default_config_static_selectorELNS0_4arch9wavefront6targetE0EEEvSY_.has_recursion, 0
	.set _ZN7rocprim17ROCPRIM_400000_NS6detail17trampoline_kernelINS0_13select_configILj256ELj13ELNS0_17block_load_methodE3ELS4_3ELS4_3ELNS0_20block_scan_algorithmE0ELj4294967295EEENS1_25partition_config_selectorILNS1_17partition_subalgoE3EjNS0_10empty_typeEbEEZZNS1_14partition_implILS8_3ELb0ES6_jNS0_17counting_iteratorIjlEEPS9_SE_NS0_5tupleIJPjSE_EEENSF_IJSE_SE_EEES9_SG_JZNS1_25segmented_radix_sort_implINS0_14default_configELb1EPKbPbPKlPlN2at6native12_GLOBAL__N_18offset_tEEE10hipError_tPvRmT1_PNSt15iterator_traitsISY_E10value_typeET2_T3_PNSZ_IS14_E10value_typeET4_jRbjT5_S1A_jjP12ihipStream_tbEUljE_EEESV_SW_SX_S14_S18_S1A_T6_T7_T9_mT8_S1C_bDpT10_ENKUlT_T0_E_clISt17integral_constantIbLb1EES1P_EEDaS1K_S1L_EUlS1K_E_NS1_11comp_targetILNS1_3genE5ELNS1_11target_archE942ELNS1_3gpuE9ELNS1_3repE0EEENS1_30default_config_static_selectorELNS0_4arch9wavefront6targetE0EEEvSY_.has_indirect_call, 0
	.section	.AMDGPU.csdata,"",@progbits
; Kernel info:
; codeLenInByte = 0
; TotalNumSgprs: 0
; NumVgprs: 0
; ScratchSize: 0
; MemoryBound: 0
; FloatMode: 240
; IeeeMode: 1
; LDSByteSize: 0 bytes/workgroup (compile time only)
; SGPRBlocks: 0
; VGPRBlocks: 0
; NumSGPRsForWavesPerEU: 1
; NumVGPRsForWavesPerEU: 1
; NamedBarCnt: 0
; Occupancy: 16
; WaveLimiterHint : 0
; COMPUTE_PGM_RSRC2:SCRATCH_EN: 0
; COMPUTE_PGM_RSRC2:USER_SGPR: 2
; COMPUTE_PGM_RSRC2:TRAP_HANDLER: 0
; COMPUTE_PGM_RSRC2:TGID_X_EN: 1
; COMPUTE_PGM_RSRC2:TGID_Y_EN: 0
; COMPUTE_PGM_RSRC2:TGID_Z_EN: 0
; COMPUTE_PGM_RSRC2:TIDIG_COMP_CNT: 0
	.section	.text._ZN7rocprim17ROCPRIM_400000_NS6detail17trampoline_kernelINS0_13select_configILj256ELj13ELNS0_17block_load_methodE3ELS4_3ELS4_3ELNS0_20block_scan_algorithmE0ELj4294967295EEENS1_25partition_config_selectorILNS1_17partition_subalgoE3EjNS0_10empty_typeEbEEZZNS1_14partition_implILS8_3ELb0ES6_jNS0_17counting_iteratorIjlEEPS9_SE_NS0_5tupleIJPjSE_EEENSF_IJSE_SE_EEES9_SG_JZNS1_25segmented_radix_sort_implINS0_14default_configELb1EPKbPbPKlPlN2at6native12_GLOBAL__N_18offset_tEEE10hipError_tPvRmT1_PNSt15iterator_traitsISY_E10value_typeET2_T3_PNSZ_IS14_E10value_typeET4_jRbjT5_S1A_jjP12ihipStream_tbEUljE_EEESV_SW_SX_S14_S18_S1A_T6_T7_T9_mT8_S1C_bDpT10_ENKUlT_T0_E_clISt17integral_constantIbLb1EES1P_EEDaS1K_S1L_EUlS1K_E_NS1_11comp_targetILNS1_3genE4ELNS1_11target_archE910ELNS1_3gpuE8ELNS1_3repE0EEENS1_30default_config_static_selectorELNS0_4arch9wavefront6targetE0EEEvSY_,"axG",@progbits,_ZN7rocprim17ROCPRIM_400000_NS6detail17trampoline_kernelINS0_13select_configILj256ELj13ELNS0_17block_load_methodE3ELS4_3ELS4_3ELNS0_20block_scan_algorithmE0ELj4294967295EEENS1_25partition_config_selectorILNS1_17partition_subalgoE3EjNS0_10empty_typeEbEEZZNS1_14partition_implILS8_3ELb0ES6_jNS0_17counting_iteratorIjlEEPS9_SE_NS0_5tupleIJPjSE_EEENSF_IJSE_SE_EEES9_SG_JZNS1_25segmented_radix_sort_implINS0_14default_configELb1EPKbPbPKlPlN2at6native12_GLOBAL__N_18offset_tEEE10hipError_tPvRmT1_PNSt15iterator_traitsISY_E10value_typeET2_T3_PNSZ_IS14_E10value_typeET4_jRbjT5_S1A_jjP12ihipStream_tbEUljE_EEESV_SW_SX_S14_S18_S1A_T6_T7_T9_mT8_S1C_bDpT10_ENKUlT_T0_E_clISt17integral_constantIbLb1EES1P_EEDaS1K_S1L_EUlS1K_E_NS1_11comp_targetILNS1_3genE4ELNS1_11target_archE910ELNS1_3gpuE8ELNS1_3repE0EEENS1_30default_config_static_selectorELNS0_4arch9wavefront6targetE0EEEvSY_,comdat
	.globl	_ZN7rocprim17ROCPRIM_400000_NS6detail17trampoline_kernelINS0_13select_configILj256ELj13ELNS0_17block_load_methodE3ELS4_3ELS4_3ELNS0_20block_scan_algorithmE0ELj4294967295EEENS1_25partition_config_selectorILNS1_17partition_subalgoE3EjNS0_10empty_typeEbEEZZNS1_14partition_implILS8_3ELb0ES6_jNS0_17counting_iteratorIjlEEPS9_SE_NS0_5tupleIJPjSE_EEENSF_IJSE_SE_EEES9_SG_JZNS1_25segmented_radix_sort_implINS0_14default_configELb1EPKbPbPKlPlN2at6native12_GLOBAL__N_18offset_tEEE10hipError_tPvRmT1_PNSt15iterator_traitsISY_E10value_typeET2_T3_PNSZ_IS14_E10value_typeET4_jRbjT5_S1A_jjP12ihipStream_tbEUljE_EEESV_SW_SX_S14_S18_S1A_T6_T7_T9_mT8_S1C_bDpT10_ENKUlT_T0_E_clISt17integral_constantIbLb1EES1P_EEDaS1K_S1L_EUlS1K_E_NS1_11comp_targetILNS1_3genE4ELNS1_11target_archE910ELNS1_3gpuE8ELNS1_3repE0EEENS1_30default_config_static_selectorELNS0_4arch9wavefront6targetE0EEEvSY_ ; -- Begin function _ZN7rocprim17ROCPRIM_400000_NS6detail17trampoline_kernelINS0_13select_configILj256ELj13ELNS0_17block_load_methodE3ELS4_3ELS4_3ELNS0_20block_scan_algorithmE0ELj4294967295EEENS1_25partition_config_selectorILNS1_17partition_subalgoE3EjNS0_10empty_typeEbEEZZNS1_14partition_implILS8_3ELb0ES6_jNS0_17counting_iteratorIjlEEPS9_SE_NS0_5tupleIJPjSE_EEENSF_IJSE_SE_EEES9_SG_JZNS1_25segmented_radix_sort_implINS0_14default_configELb1EPKbPbPKlPlN2at6native12_GLOBAL__N_18offset_tEEE10hipError_tPvRmT1_PNSt15iterator_traitsISY_E10value_typeET2_T3_PNSZ_IS14_E10value_typeET4_jRbjT5_S1A_jjP12ihipStream_tbEUljE_EEESV_SW_SX_S14_S18_S1A_T6_T7_T9_mT8_S1C_bDpT10_ENKUlT_T0_E_clISt17integral_constantIbLb1EES1P_EEDaS1K_S1L_EUlS1K_E_NS1_11comp_targetILNS1_3genE4ELNS1_11target_archE910ELNS1_3gpuE8ELNS1_3repE0EEENS1_30default_config_static_selectorELNS0_4arch9wavefront6targetE0EEEvSY_
	.p2align	8
	.type	_ZN7rocprim17ROCPRIM_400000_NS6detail17trampoline_kernelINS0_13select_configILj256ELj13ELNS0_17block_load_methodE3ELS4_3ELS4_3ELNS0_20block_scan_algorithmE0ELj4294967295EEENS1_25partition_config_selectorILNS1_17partition_subalgoE3EjNS0_10empty_typeEbEEZZNS1_14partition_implILS8_3ELb0ES6_jNS0_17counting_iteratorIjlEEPS9_SE_NS0_5tupleIJPjSE_EEENSF_IJSE_SE_EEES9_SG_JZNS1_25segmented_radix_sort_implINS0_14default_configELb1EPKbPbPKlPlN2at6native12_GLOBAL__N_18offset_tEEE10hipError_tPvRmT1_PNSt15iterator_traitsISY_E10value_typeET2_T3_PNSZ_IS14_E10value_typeET4_jRbjT5_S1A_jjP12ihipStream_tbEUljE_EEESV_SW_SX_S14_S18_S1A_T6_T7_T9_mT8_S1C_bDpT10_ENKUlT_T0_E_clISt17integral_constantIbLb1EES1P_EEDaS1K_S1L_EUlS1K_E_NS1_11comp_targetILNS1_3genE4ELNS1_11target_archE910ELNS1_3gpuE8ELNS1_3repE0EEENS1_30default_config_static_selectorELNS0_4arch9wavefront6targetE0EEEvSY_,@function
_ZN7rocprim17ROCPRIM_400000_NS6detail17trampoline_kernelINS0_13select_configILj256ELj13ELNS0_17block_load_methodE3ELS4_3ELS4_3ELNS0_20block_scan_algorithmE0ELj4294967295EEENS1_25partition_config_selectorILNS1_17partition_subalgoE3EjNS0_10empty_typeEbEEZZNS1_14partition_implILS8_3ELb0ES6_jNS0_17counting_iteratorIjlEEPS9_SE_NS0_5tupleIJPjSE_EEENSF_IJSE_SE_EEES9_SG_JZNS1_25segmented_radix_sort_implINS0_14default_configELb1EPKbPbPKlPlN2at6native12_GLOBAL__N_18offset_tEEE10hipError_tPvRmT1_PNSt15iterator_traitsISY_E10value_typeET2_T3_PNSZ_IS14_E10value_typeET4_jRbjT5_S1A_jjP12ihipStream_tbEUljE_EEESV_SW_SX_S14_S18_S1A_T6_T7_T9_mT8_S1C_bDpT10_ENKUlT_T0_E_clISt17integral_constantIbLb1EES1P_EEDaS1K_S1L_EUlS1K_E_NS1_11comp_targetILNS1_3genE4ELNS1_11target_archE910ELNS1_3gpuE8ELNS1_3repE0EEENS1_30default_config_static_selectorELNS0_4arch9wavefront6targetE0EEEvSY_: ; @_ZN7rocprim17ROCPRIM_400000_NS6detail17trampoline_kernelINS0_13select_configILj256ELj13ELNS0_17block_load_methodE3ELS4_3ELS4_3ELNS0_20block_scan_algorithmE0ELj4294967295EEENS1_25partition_config_selectorILNS1_17partition_subalgoE3EjNS0_10empty_typeEbEEZZNS1_14partition_implILS8_3ELb0ES6_jNS0_17counting_iteratorIjlEEPS9_SE_NS0_5tupleIJPjSE_EEENSF_IJSE_SE_EEES9_SG_JZNS1_25segmented_radix_sort_implINS0_14default_configELb1EPKbPbPKlPlN2at6native12_GLOBAL__N_18offset_tEEE10hipError_tPvRmT1_PNSt15iterator_traitsISY_E10value_typeET2_T3_PNSZ_IS14_E10value_typeET4_jRbjT5_S1A_jjP12ihipStream_tbEUljE_EEESV_SW_SX_S14_S18_S1A_T6_T7_T9_mT8_S1C_bDpT10_ENKUlT_T0_E_clISt17integral_constantIbLb1EES1P_EEDaS1K_S1L_EUlS1K_E_NS1_11comp_targetILNS1_3genE4ELNS1_11target_archE910ELNS1_3gpuE8ELNS1_3repE0EEENS1_30default_config_static_selectorELNS0_4arch9wavefront6targetE0EEEvSY_
; %bb.0:
	.section	.rodata,"a",@progbits
	.p2align	6, 0x0
	.amdhsa_kernel _ZN7rocprim17ROCPRIM_400000_NS6detail17trampoline_kernelINS0_13select_configILj256ELj13ELNS0_17block_load_methodE3ELS4_3ELS4_3ELNS0_20block_scan_algorithmE0ELj4294967295EEENS1_25partition_config_selectorILNS1_17partition_subalgoE3EjNS0_10empty_typeEbEEZZNS1_14partition_implILS8_3ELb0ES6_jNS0_17counting_iteratorIjlEEPS9_SE_NS0_5tupleIJPjSE_EEENSF_IJSE_SE_EEES9_SG_JZNS1_25segmented_radix_sort_implINS0_14default_configELb1EPKbPbPKlPlN2at6native12_GLOBAL__N_18offset_tEEE10hipError_tPvRmT1_PNSt15iterator_traitsISY_E10value_typeET2_T3_PNSZ_IS14_E10value_typeET4_jRbjT5_S1A_jjP12ihipStream_tbEUljE_EEESV_SW_SX_S14_S18_S1A_T6_T7_T9_mT8_S1C_bDpT10_ENKUlT_T0_E_clISt17integral_constantIbLb1EES1P_EEDaS1K_S1L_EUlS1K_E_NS1_11comp_targetILNS1_3genE4ELNS1_11target_archE910ELNS1_3gpuE8ELNS1_3repE0EEENS1_30default_config_static_selectorELNS0_4arch9wavefront6targetE0EEEvSY_
		.amdhsa_group_segment_fixed_size 0
		.amdhsa_private_segment_fixed_size 0
		.amdhsa_kernarg_size 152
		.amdhsa_user_sgpr_count 2
		.amdhsa_user_sgpr_dispatch_ptr 0
		.amdhsa_user_sgpr_queue_ptr 0
		.amdhsa_user_sgpr_kernarg_segment_ptr 1
		.amdhsa_user_sgpr_dispatch_id 0
		.amdhsa_user_sgpr_kernarg_preload_length 0
		.amdhsa_user_sgpr_kernarg_preload_offset 0
		.amdhsa_user_sgpr_private_segment_size 0
		.amdhsa_wavefront_size32 1
		.amdhsa_uses_dynamic_stack 0
		.amdhsa_enable_private_segment 0
		.amdhsa_system_sgpr_workgroup_id_x 1
		.amdhsa_system_sgpr_workgroup_id_y 0
		.amdhsa_system_sgpr_workgroup_id_z 0
		.amdhsa_system_sgpr_workgroup_info 0
		.amdhsa_system_vgpr_workitem_id 0
		.amdhsa_next_free_vgpr 1
		.amdhsa_next_free_sgpr 1
		.amdhsa_named_barrier_count 0
		.amdhsa_reserve_vcc 0
		.amdhsa_float_round_mode_32 0
		.amdhsa_float_round_mode_16_64 0
		.amdhsa_float_denorm_mode_32 3
		.amdhsa_float_denorm_mode_16_64 3
		.amdhsa_fp16_overflow 0
		.amdhsa_memory_ordered 1
		.amdhsa_forward_progress 1
		.amdhsa_inst_pref_size 0
		.amdhsa_round_robin_scheduling 0
		.amdhsa_exception_fp_ieee_invalid_op 0
		.amdhsa_exception_fp_denorm_src 0
		.amdhsa_exception_fp_ieee_div_zero 0
		.amdhsa_exception_fp_ieee_overflow 0
		.amdhsa_exception_fp_ieee_underflow 0
		.amdhsa_exception_fp_ieee_inexact 0
		.amdhsa_exception_int_div_zero 0
	.end_amdhsa_kernel
	.section	.text._ZN7rocprim17ROCPRIM_400000_NS6detail17trampoline_kernelINS0_13select_configILj256ELj13ELNS0_17block_load_methodE3ELS4_3ELS4_3ELNS0_20block_scan_algorithmE0ELj4294967295EEENS1_25partition_config_selectorILNS1_17partition_subalgoE3EjNS0_10empty_typeEbEEZZNS1_14partition_implILS8_3ELb0ES6_jNS0_17counting_iteratorIjlEEPS9_SE_NS0_5tupleIJPjSE_EEENSF_IJSE_SE_EEES9_SG_JZNS1_25segmented_radix_sort_implINS0_14default_configELb1EPKbPbPKlPlN2at6native12_GLOBAL__N_18offset_tEEE10hipError_tPvRmT1_PNSt15iterator_traitsISY_E10value_typeET2_T3_PNSZ_IS14_E10value_typeET4_jRbjT5_S1A_jjP12ihipStream_tbEUljE_EEESV_SW_SX_S14_S18_S1A_T6_T7_T9_mT8_S1C_bDpT10_ENKUlT_T0_E_clISt17integral_constantIbLb1EES1P_EEDaS1K_S1L_EUlS1K_E_NS1_11comp_targetILNS1_3genE4ELNS1_11target_archE910ELNS1_3gpuE8ELNS1_3repE0EEENS1_30default_config_static_selectorELNS0_4arch9wavefront6targetE0EEEvSY_,"axG",@progbits,_ZN7rocprim17ROCPRIM_400000_NS6detail17trampoline_kernelINS0_13select_configILj256ELj13ELNS0_17block_load_methodE3ELS4_3ELS4_3ELNS0_20block_scan_algorithmE0ELj4294967295EEENS1_25partition_config_selectorILNS1_17partition_subalgoE3EjNS0_10empty_typeEbEEZZNS1_14partition_implILS8_3ELb0ES6_jNS0_17counting_iteratorIjlEEPS9_SE_NS0_5tupleIJPjSE_EEENSF_IJSE_SE_EEES9_SG_JZNS1_25segmented_radix_sort_implINS0_14default_configELb1EPKbPbPKlPlN2at6native12_GLOBAL__N_18offset_tEEE10hipError_tPvRmT1_PNSt15iterator_traitsISY_E10value_typeET2_T3_PNSZ_IS14_E10value_typeET4_jRbjT5_S1A_jjP12ihipStream_tbEUljE_EEESV_SW_SX_S14_S18_S1A_T6_T7_T9_mT8_S1C_bDpT10_ENKUlT_T0_E_clISt17integral_constantIbLb1EES1P_EEDaS1K_S1L_EUlS1K_E_NS1_11comp_targetILNS1_3genE4ELNS1_11target_archE910ELNS1_3gpuE8ELNS1_3repE0EEENS1_30default_config_static_selectorELNS0_4arch9wavefront6targetE0EEEvSY_,comdat
.Lfunc_end1502:
	.size	_ZN7rocprim17ROCPRIM_400000_NS6detail17trampoline_kernelINS0_13select_configILj256ELj13ELNS0_17block_load_methodE3ELS4_3ELS4_3ELNS0_20block_scan_algorithmE0ELj4294967295EEENS1_25partition_config_selectorILNS1_17partition_subalgoE3EjNS0_10empty_typeEbEEZZNS1_14partition_implILS8_3ELb0ES6_jNS0_17counting_iteratorIjlEEPS9_SE_NS0_5tupleIJPjSE_EEENSF_IJSE_SE_EEES9_SG_JZNS1_25segmented_radix_sort_implINS0_14default_configELb1EPKbPbPKlPlN2at6native12_GLOBAL__N_18offset_tEEE10hipError_tPvRmT1_PNSt15iterator_traitsISY_E10value_typeET2_T3_PNSZ_IS14_E10value_typeET4_jRbjT5_S1A_jjP12ihipStream_tbEUljE_EEESV_SW_SX_S14_S18_S1A_T6_T7_T9_mT8_S1C_bDpT10_ENKUlT_T0_E_clISt17integral_constantIbLb1EES1P_EEDaS1K_S1L_EUlS1K_E_NS1_11comp_targetILNS1_3genE4ELNS1_11target_archE910ELNS1_3gpuE8ELNS1_3repE0EEENS1_30default_config_static_selectorELNS0_4arch9wavefront6targetE0EEEvSY_, .Lfunc_end1502-_ZN7rocprim17ROCPRIM_400000_NS6detail17trampoline_kernelINS0_13select_configILj256ELj13ELNS0_17block_load_methodE3ELS4_3ELS4_3ELNS0_20block_scan_algorithmE0ELj4294967295EEENS1_25partition_config_selectorILNS1_17partition_subalgoE3EjNS0_10empty_typeEbEEZZNS1_14partition_implILS8_3ELb0ES6_jNS0_17counting_iteratorIjlEEPS9_SE_NS0_5tupleIJPjSE_EEENSF_IJSE_SE_EEES9_SG_JZNS1_25segmented_radix_sort_implINS0_14default_configELb1EPKbPbPKlPlN2at6native12_GLOBAL__N_18offset_tEEE10hipError_tPvRmT1_PNSt15iterator_traitsISY_E10value_typeET2_T3_PNSZ_IS14_E10value_typeET4_jRbjT5_S1A_jjP12ihipStream_tbEUljE_EEESV_SW_SX_S14_S18_S1A_T6_T7_T9_mT8_S1C_bDpT10_ENKUlT_T0_E_clISt17integral_constantIbLb1EES1P_EEDaS1K_S1L_EUlS1K_E_NS1_11comp_targetILNS1_3genE4ELNS1_11target_archE910ELNS1_3gpuE8ELNS1_3repE0EEENS1_30default_config_static_selectorELNS0_4arch9wavefront6targetE0EEEvSY_
                                        ; -- End function
	.set _ZN7rocprim17ROCPRIM_400000_NS6detail17trampoline_kernelINS0_13select_configILj256ELj13ELNS0_17block_load_methodE3ELS4_3ELS4_3ELNS0_20block_scan_algorithmE0ELj4294967295EEENS1_25partition_config_selectorILNS1_17partition_subalgoE3EjNS0_10empty_typeEbEEZZNS1_14partition_implILS8_3ELb0ES6_jNS0_17counting_iteratorIjlEEPS9_SE_NS0_5tupleIJPjSE_EEENSF_IJSE_SE_EEES9_SG_JZNS1_25segmented_radix_sort_implINS0_14default_configELb1EPKbPbPKlPlN2at6native12_GLOBAL__N_18offset_tEEE10hipError_tPvRmT1_PNSt15iterator_traitsISY_E10value_typeET2_T3_PNSZ_IS14_E10value_typeET4_jRbjT5_S1A_jjP12ihipStream_tbEUljE_EEESV_SW_SX_S14_S18_S1A_T6_T7_T9_mT8_S1C_bDpT10_ENKUlT_T0_E_clISt17integral_constantIbLb1EES1P_EEDaS1K_S1L_EUlS1K_E_NS1_11comp_targetILNS1_3genE4ELNS1_11target_archE910ELNS1_3gpuE8ELNS1_3repE0EEENS1_30default_config_static_selectorELNS0_4arch9wavefront6targetE0EEEvSY_.num_vgpr, 0
	.set _ZN7rocprim17ROCPRIM_400000_NS6detail17trampoline_kernelINS0_13select_configILj256ELj13ELNS0_17block_load_methodE3ELS4_3ELS4_3ELNS0_20block_scan_algorithmE0ELj4294967295EEENS1_25partition_config_selectorILNS1_17partition_subalgoE3EjNS0_10empty_typeEbEEZZNS1_14partition_implILS8_3ELb0ES6_jNS0_17counting_iteratorIjlEEPS9_SE_NS0_5tupleIJPjSE_EEENSF_IJSE_SE_EEES9_SG_JZNS1_25segmented_radix_sort_implINS0_14default_configELb1EPKbPbPKlPlN2at6native12_GLOBAL__N_18offset_tEEE10hipError_tPvRmT1_PNSt15iterator_traitsISY_E10value_typeET2_T3_PNSZ_IS14_E10value_typeET4_jRbjT5_S1A_jjP12ihipStream_tbEUljE_EEESV_SW_SX_S14_S18_S1A_T6_T7_T9_mT8_S1C_bDpT10_ENKUlT_T0_E_clISt17integral_constantIbLb1EES1P_EEDaS1K_S1L_EUlS1K_E_NS1_11comp_targetILNS1_3genE4ELNS1_11target_archE910ELNS1_3gpuE8ELNS1_3repE0EEENS1_30default_config_static_selectorELNS0_4arch9wavefront6targetE0EEEvSY_.num_agpr, 0
	.set _ZN7rocprim17ROCPRIM_400000_NS6detail17trampoline_kernelINS0_13select_configILj256ELj13ELNS0_17block_load_methodE3ELS4_3ELS4_3ELNS0_20block_scan_algorithmE0ELj4294967295EEENS1_25partition_config_selectorILNS1_17partition_subalgoE3EjNS0_10empty_typeEbEEZZNS1_14partition_implILS8_3ELb0ES6_jNS0_17counting_iteratorIjlEEPS9_SE_NS0_5tupleIJPjSE_EEENSF_IJSE_SE_EEES9_SG_JZNS1_25segmented_radix_sort_implINS0_14default_configELb1EPKbPbPKlPlN2at6native12_GLOBAL__N_18offset_tEEE10hipError_tPvRmT1_PNSt15iterator_traitsISY_E10value_typeET2_T3_PNSZ_IS14_E10value_typeET4_jRbjT5_S1A_jjP12ihipStream_tbEUljE_EEESV_SW_SX_S14_S18_S1A_T6_T7_T9_mT8_S1C_bDpT10_ENKUlT_T0_E_clISt17integral_constantIbLb1EES1P_EEDaS1K_S1L_EUlS1K_E_NS1_11comp_targetILNS1_3genE4ELNS1_11target_archE910ELNS1_3gpuE8ELNS1_3repE0EEENS1_30default_config_static_selectorELNS0_4arch9wavefront6targetE0EEEvSY_.numbered_sgpr, 0
	.set _ZN7rocprim17ROCPRIM_400000_NS6detail17trampoline_kernelINS0_13select_configILj256ELj13ELNS0_17block_load_methodE3ELS4_3ELS4_3ELNS0_20block_scan_algorithmE0ELj4294967295EEENS1_25partition_config_selectorILNS1_17partition_subalgoE3EjNS0_10empty_typeEbEEZZNS1_14partition_implILS8_3ELb0ES6_jNS0_17counting_iteratorIjlEEPS9_SE_NS0_5tupleIJPjSE_EEENSF_IJSE_SE_EEES9_SG_JZNS1_25segmented_radix_sort_implINS0_14default_configELb1EPKbPbPKlPlN2at6native12_GLOBAL__N_18offset_tEEE10hipError_tPvRmT1_PNSt15iterator_traitsISY_E10value_typeET2_T3_PNSZ_IS14_E10value_typeET4_jRbjT5_S1A_jjP12ihipStream_tbEUljE_EEESV_SW_SX_S14_S18_S1A_T6_T7_T9_mT8_S1C_bDpT10_ENKUlT_T0_E_clISt17integral_constantIbLb1EES1P_EEDaS1K_S1L_EUlS1K_E_NS1_11comp_targetILNS1_3genE4ELNS1_11target_archE910ELNS1_3gpuE8ELNS1_3repE0EEENS1_30default_config_static_selectorELNS0_4arch9wavefront6targetE0EEEvSY_.num_named_barrier, 0
	.set _ZN7rocprim17ROCPRIM_400000_NS6detail17trampoline_kernelINS0_13select_configILj256ELj13ELNS0_17block_load_methodE3ELS4_3ELS4_3ELNS0_20block_scan_algorithmE0ELj4294967295EEENS1_25partition_config_selectorILNS1_17partition_subalgoE3EjNS0_10empty_typeEbEEZZNS1_14partition_implILS8_3ELb0ES6_jNS0_17counting_iteratorIjlEEPS9_SE_NS0_5tupleIJPjSE_EEENSF_IJSE_SE_EEES9_SG_JZNS1_25segmented_radix_sort_implINS0_14default_configELb1EPKbPbPKlPlN2at6native12_GLOBAL__N_18offset_tEEE10hipError_tPvRmT1_PNSt15iterator_traitsISY_E10value_typeET2_T3_PNSZ_IS14_E10value_typeET4_jRbjT5_S1A_jjP12ihipStream_tbEUljE_EEESV_SW_SX_S14_S18_S1A_T6_T7_T9_mT8_S1C_bDpT10_ENKUlT_T0_E_clISt17integral_constantIbLb1EES1P_EEDaS1K_S1L_EUlS1K_E_NS1_11comp_targetILNS1_3genE4ELNS1_11target_archE910ELNS1_3gpuE8ELNS1_3repE0EEENS1_30default_config_static_selectorELNS0_4arch9wavefront6targetE0EEEvSY_.private_seg_size, 0
	.set _ZN7rocprim17ROCPRIM_400000_NS6detail17trampoline_kernelINS0_13select_configILj256ELj13ELNS0_17block_load_methodE3ELS4_3ELS4_3ELNS0_20block_scan_algorithmE0ELj4294967295EEENS1_25partition_config_selectorILNS1_17partition_subalgoE3EjNS0_10empty_typeEbEEZZNS1_14partition_implILS8_3ELb0ES6_jNS0_17counting_iteratorIjlEEPS9_SE_NS0_5tupleIJPjSE_EEENSF_IJSE_SE_EEES9_SG_JZNS1_25segmented_radix_sort_implINS0_14default_configELb1EPKbPbPKlPlN2at6native12_GLOBAL__N_18offset_tEEE10hipError_tPvRmT1_PNSt15iterator_traitsISY_E10value_typeET2_T3_PNSZ_IS14_E10value_typeET4_jRbjT5_S1A_jjP12ihipStream_tbEUljE_EEESV_SW_SX_S14_S18_S1A_T6_T7_T9_mT8_S1C_bDpT10_ENKUlT_T0_E_clISt17integral_constantIbLb1EES1P_EEDaS1K_S1L_EUlS1K_E_NS1_11comp_targetILNS1_3genE4ELNS1_11target_archE910ELNS1_3gpuE8ELNS1_3repE0EEENS1_30default_config_static_selectorELNS0_4arch9wavefront6targetE0EEEvSY_.uses_vcc, 0
	.set _ZN7rocprim17ROCPRIM_400000_NS6detail17trampoline_kernelINS0_13select_configILj256ELj13ELNS0_17block_load_methodE3ELS4_3ELS4_3ELNS0_20block_scan_algorithmE0ELj4294967295EEENS1_25partition_config_selectorILNS1_17partition_subalgoE3EjNS0_10empty_typeEbEEZZNS1_14partition_implILS8_3ELb0ES6_jNS0_17counting_iteratorIjlEEPS9_SE_NS0_5tupleIJPjSE_EEENSF_IJSE_SE_EEES9_SG_JZNS1_25segmented_radix_sort_implINS0_14default_configELb1EPKbPbPKlPlN2at6native12_GLOBAL__N_18offset_tEEE10hipError_tPvRmT1_PNSt15iterator_traitsISY_E10value_typeET2_T3_PNSZ_IS14_E10value_typeET4_jRbjT5_S1A_jjP12ihipStream_tbEUljE_EEESV_SW_SX_S14_S18_S1A_T6_T7_T9_mT8_S1C_bDpT10_ENKUlT_T0_E_clISt17integral_constantIbLb1EES1P_EEDaS1K_S1L_EUlS1K_E_NS1_11comp_targetILNS1_3genE4ELNS1_11target_archE910ELNS1_3gpuE8ELNS1_3repE0EEENS1_30default_config_static_selectorELNS0_4arch9wavefront6targetE0EEEvSY_.uses_flat_scratch, 0
	.set _ZN7rocprim17ROCPRIM_400000_NS6detail17trampoline_kernelINS0_13select_configILj256ELj13ELNS0_17block_load_methodE3ELS4_3ELS4_3ELNS0_20block_scan_algorithmE0ELj4294967295EEENS1_25partition_config_selectorILNS1_17partition_subalgoE3EjNS0_10empty_typeEbEEZZNS1_14partition_implILS8_3ELb0ES6_jNS0_17counting_iteratorIjlEEPS9_SE_NS0_5tupleIJPjSE_EEENSF_IJSE_SE_EEES9_SG_JZNS1_25segmented_radix_sort_implINS0_14default_configELb1EPKbPbPKlPlN2at6native12_GLOBAL__N_18offset_tEEE10hipError_tPvRmT1_PNSt15iterator_traitsISY_E10value_typeET2_T3_PNSZ_IS14_E10value_typeET4_jRbjT5_S1A_jjP12ihipStream_tbEUljE_EEESV_SW_SX_S14_S18_S1A_T6_T7_T9_mT8_S1C_bDpT10_ENKUlT_T0_E_clISt17integral_constantIbLb1EES1P_EEDaS1K_S1L_EUlS1K_E_NS1_11comp_targetILNS1_3genE4ELNS1_11target_archE910ELNS1_3gpuE8ELNS1_3repE0EEENS1_30default_config_static_selectorELNS0_4arch9wavefront6targetE0EEEvSY_.has_dyn_sized_stack, 0
	.set _ZN7rocprim17ROCPRIM_400000_NS6detail17trampoline_kernelINS0_13select_configILj256ELj13ELNS0_17block_load_methodE3ELS4_3ELS4_3ELNS0_20block_scan_algorithmE0ELj4294967295EEENS1_25partition_config_selectorILNS1_17partition_subalgoE3EjNS0_10empty_typeEbEEZZNS1_14partition_implILS8_3ELb0ES6_jNS0_17counting_iteratorIjlEEPS9_SE_NS0_5tupleIJPjSE_EEENSF_IJSE_SE_EEES9_SG_JZNS1_25segmented_radix_sort_implINS0_14default_configELb1EPKbPbPKlPlN2at6native12_GLOBAL__N_18offset_tEEE10hipError_tPvRmT1_PNSt15iterator_traitsISY_E10value_typeET2_T3_PNSZ_IS14_E10value_typeET4_jRbjT5_S1A_jjP12ihipStream_tbEUljE_EEESV_SW_SX_S14_S18_S1A_T6_T7_T9_mT8_S1C_bDpT10_ENKUlT_T0_E_clISt17integral_constantIbLb1EES1P_EEDaS1K_S1L_EUlS1K_E_NS1_11comp_targetILNS1_3genE4ELNS1_11target_archE910ELNS1_3gpuE8ELNS1_3repE0EEENS1_30default_config_static_selectorELNS0_4arch9wavefront6targetE0EEEvSY_.has_recursion, 0
	.set _ZN7rocprim17ROCPRIM_400000_NS6detail17trampoline_kernelINS0_13select_configILj256ELj13ELNS0_17block_load_methodE3ELS4_3ELS4_3ELNS0_20block_scan_algorithmE0ELj4294967295EEENS1_25partition_config_selectorILNS1_17partition_subalgoE3EjNS0_10empty_typeEbEEZZNS1_14partition_implILS8_3ELb0ES6_jNS0_17counting_iteratorIjlEEPS9_SE_NS0_5tupleIJPjSE_EEENSF_IJSE_SE_EEES9_SG_JZNS1_25segmented_radix_sort_implINS0_14default_configELb1EPKbPbPKlPlN2at6native12_GLOBAL__N_18offset_tEEE10hipError_tPvRmT1_PNSt15iterator_traitsISY_E10value_typeET2_T3_PNSZ_IS14_E10value_typeET4_jRbjT5_S1A_jjP12ihipStream_tbEUljE_EEESV_SW_SX_S14_S18_S1A_T6_T7_T9_mT8_S1C_bDpT10_ENKUlT_T0_E_clISt17integral_constantIbLb1EES1P_EEDaS1K_S1L_EUlS1K_E_NS1_11comp_targetILNS1_3genE4ELNS1_11target_archE910ELNS1_3gpuE8ELNS1_3repE0EEENS1_30default_config_static_selectorELNS0_4arch9wavefront6targetE0EEEvSY_.has_indirect_call, 0
	.section	.AMDGPU.csdata,"",@progbits
; Kernel info:
; codeLenInByte = 0
; TotalNumSgprs: 0
; NumVgprs: 0
; ScratchSize: 0
; MemoryBound: 0
; FloatMode: 240
; IeeeMode: 1
; LDSByteSize: 0 bytes/workgroup (compile time only)
; SGPRBlocks: 0
; VGPRBlocks: 0
; NumSGPRsForWavesPerEU: 1
; NumVGPRsForWavesPerEU: 1
; NamedBarCnt: 0
; Occupancy: 16
; WaveLimiterHint : 0
; COMPUTE_PGM_RSRC2:SCRATCH_EN: 0
; COMPUTE_PGM_RSRC2:USER_SGPR: 2
; COMPUTE_PGM_RSRC2:TRAP_HANDLER: 0
; COMPUTE_PGM_RSRC2:TGID_X_EN: 1
; COMPUTE_PGM_RSRC2:TGID_Y_EN: 0
; COMPUTE_PGM_RSRC2:TGID_Z_EN: 0
; COMPUTE_PGM_RSRC2:TIDIG_COMP_CNT: 0
	.section	.text._ZN7rocprim17ROCPRIM_400000_NS6detail17trampoline_kernelINS0_13select_configILj256ELj13ELNS0_17block_load_methodE3ELS4_3ELS4_3ELNS0_20block_scan_algorithmE0ELj4294967295EEENS1_25partition_config_selectorILNS1_17partition_subalgoE3EjNS0_10empty_typeEbEEZZNS1_14partition_implILS8_3ELb0ES6_jNS0_17counting_iteratorIjlEEPS9_SE_NS0_5tupleIJPjSE_EEENSF_IJSE_SE_EEES9_SG_JZNS1_25segmented_radix_sort_implINS0_14default_configELb1EPKbPbPKlPlN2at6native12_GLOBAL__N_18offset_tEEE10hipError_tPvRmT1_PNSt15iterator_traitsISY_E10value_typeET2_T3_PNSZ_IS14_E10value_typeET4_jRbjT5_S1A_jjP12ihipStream_tbEUljE_EEESV_SW_SX_S14_S18_S1A_T6_T7_T9_mT8_S1C_bDpT10_ENKUlT_T0_E_clISt17integral_constantIbLb1EES1P_EEDaS1K_S1L_EUlS1K_E_NS1_11comp_targetILNS1_3genE3ELNS1_11target_archE908ELNS1_3gpuE7ELNS1_3repE0EEENS1_30default_config_static_selectorELNS0_4arch9wavefront6targetE0EEEvSY_,"axG",@progbits,_ZN7rocprim17ROCPRIM_400000_NS6detail17trampoline_kernelINS0_13select_configILj256ELj13ELNS0_17block_load_methodE3ELS4_3ELS4_3ELNS0_20block_scan_algorithmE0ELj4294967295EEENS1_25partition_config_selectorILNS1_17partition_subalgoE3EjNS0_10empty_typeEbEEZZNS1_14partition_implILS8_3ELb0ES6_jNS0_17counting_iteratorIjlEEPS9_SE_NS0_5tupleIJPjSE_EEENSF_IJSE_SE_EEES9_SG_JZNS1_25segmented_radix_sort_implINS0_14default_configELb1EPKbPbPKlPlN2at6native12_GLOBAL__N_18offset_tEEE10hipError_tPvRmT1_PNSt15iterator_traitsISY_E10value_typeET2_T3_PNSZ_IS14_E10value_typeET4_jRbjT5_S1A_jjP12ihipStream_tbEUljE_EEESV_SW_SX_S14_S18_S1A_T6_T7_T9_mT8_S1C_bDpT10_ENKUlT_T0_E_clISt17integral_constantIbLb1EES1P_EEDaS1K_S1L_EUlS1K_E_NS1_11comp_targetILNS1_3genE3ELNS1_11target_archE908ELNS1_3gpuE7ELNS1_3repE0EEENS1_30default_config_static_selectorELNS0_4arch9wavefront6targetE0EEEvSY_,comdat
	.globl	_ZN7rocprim17ROCPRIM_400000_NS6detail17trampoline_kernelINS0_13select_configILj256ELj13ELNS0_17block_load_methodE3ELS4_3ELS4_3ELNS0_20block_scan_algorithmE0ELj4294967295EEENS1_25partition_config_selectorILNS1_17partition_subalgoE3EjNS0_10empty_typeEbEEZZNS1_14partition_implILS8_3ELb0ES6_jNS0_17counting_iteratorIjlEEPS9_SE_NS0_5tupleIJPjSE_EEENSF_IJSE_SE_EEES9_SG_JZNS1_25segmented_radix_sort_implINS0_14default_configELb1EPKbPbPKlPlN2at6native12_GLOBAL__N_18offset_tEEE10hipError_tPvRmT1_PNSt15iterator_traitsISY_E10value_typeET2_T3_PNSZ_IS14_E10value_typeET4_jRbjT5_S1A_jjP12ihipStream_tbEUljE_EEESV_SW_SX_S14_S18_S1A_T6_T7_T9_mT8_S1C_bDpT10_ENKUlT_T0_E_clISt17integral_constantIbLb1EES1P_EEDaS1K_S1L_EUlS1K_E_NS1_11comp_targetILNS1_3genE3ELNS1_11target_archE908ELNS1_3gpuE7ELNS1_3repE0EEENS1_30default_config_static_selectorELNS0_4arch9wavefront6targetE0EEEvSY_ ; -- Begin function _ZN7rocprim17ROCPRIM_400000_NS6detail17trampoline_kernelINS0_13select_configILj256ELj13ELNS0_17block_load_methodE3ELS4_3ELS4_3ELNS0_20block_scan_algorithmE0ELj4294967295EEENS1_25partition_config_selectorILNS1_17partition_subalgoE3EjNS0_10empty_typeEbEEZZNS1_14partition_implILS8_3ELb0ES6_jNS0_17counting_iteratorIjlEEPS9_SE_NS0_5tupleIJPjSE_EEENSF_IJSE_SE_EEES9_SG_JZNS1_25segmented_radix_sort_implINS0_14default_configELb1EPKbPbPKlPlN2at6native12_GLOBAL__N_18offset_tEEE10hipError_tPvRmT1_PNSt15iterator_traitsISY_E10value_typeET2_T3_PNSZ_IS14_E10value_typeET4_jRbjT5_S1A_jjP12ihipStream_tbEUljE_EEESV_SW_SX_S14_S18_S1A_T6_T7_T9_mT8_S1C_bDpT10_ENKUlT_T0_E_clISt17integral_constantIbLb1EES1P_EEDaS1K_S1L_EUlS1K_E_NS1_11comp_targetILNS1_3genE3ELNS1_11target_archE908ELNS1_3gpuE7ELNS1_3repE0EEENS1_30default_config_static_selectorELNS0_4arch9wavefront6targetE0EEEvSY_
	.p2align	8
	.type	_ZN7rocprim17ROCPRIM_400000_NS6detail17trampoline_kernelINS0_13select_configILj256ELj13ELNS0_17block_load_methodE3ELS4_3ELS4_3ELNS0_20block_scan_algorithmE0ELj4294967295EEENS1_25partition_config_selectorILNS1_17partition_subalgoE3EjNS0_10empty_typeEbEEZZNS1_14partition_implILS8_3ELb0ES6_jNS0_17counting_iteratorIjlEEPS9_SE_NS0_5tupleIJPjSE_EEENSF_IJSE_SE_EEES9_SG_JZNS1_25segmented_radix_sort_implINS0_14default_configELb1EPKbPbPKlPlN2at6native12_GLOBAL__N_18offset_tEEE10hipError_tPvRmT1_PNSt15iterator_traitsISY_E10value_typeET2_T3_PNSZ_IS14_E10value_typeET4_jRbjT5_S1A_jjP12ihipStream_tbEUljE_EEESV_SW_SX_S14_S18_S1A_T6_T7_T9_mT8_S1C_bDpT10_ENKUlT_T0_E_clISt17integral_constantIbLb1EES1P_EEDaS1K_S1L_EUlS1K_E_NS1_11comp_targetILNS1_3genE3ELNS1_11target_archE908ELNS1_3gpuE7ELNS1_3repE0EEENS1_30default_config_static_selectorELNS0_4arch9wavefront6targetE0EEEvSY_,@function
_ZN7rocprim17ROCPRIM_400000_NS6detail17trampoline_kernelINS0_13select_configILj256ELj13ELNS0_17block_load_methodE3ELS4_3ELS4_3ELNS0_20block_scan_algorithmE0ELj4294967295EEENS1_25partition_config_selectorILNS1_17partition_subalgoE3EjNS0_10empty_typeEbEEZZNS1_14partition_implILS8_3ELb0ES6_jNS0_17counting_iteratorIjlEEPS9_SE_NS0_5tupleIJPjSE_EEENSF_IJSE_SE_EEES9_SG_JZNS1_25segmented_radix_sort_implINS0_14default_configELb1EPKbPbPKlPlN2at6native12_GLOBAL__N_18offset_tEEE10hipError_tPvRmT1_PNSt15iterator_traitsISY_E10value_typeET2_T3_PNSZ_IS14_E10value_typeET4_jRbjT5_S1A_jjP12ihipStream_tbEUljE_EEESV_SW_SX_S14_S18_S1A_T6_T7_T9_mT8_S1C_bDpT10_ENKUlT_T0_E_clISt17integral_constantIbLb1EES1P_EEDaS1K_S1L_EUlS1K_E_NS1_11comp_targetILNS1_3genE3ELNS1_11target_archE908ELNS1_3gpuE7ELNS1_3repE0EEENS1_30default_config_static_selectorELNS0_4arch9wavefront6targetE0EEEvSY_: ; @_ZN7rocprim17ROCPRIM_400000_NS6detail17trampoline_kernelINS0_13select_configILj256ELj13ELNS0_17block_load_methodE3ELS4_3ELS4_3ELNS0_20block_scan_algorithmE0ELj4294967295EEENS1_25partition_config_selectorILNS1_17partition_subalgoE3EjNS0_10empty_typeEbEEZZNS1_14partition_implILS8_3ELb0ES6_jNS0_17counting_iteratorIjlEEPS9_SE_NS0_5tupleIJPjSE_EEENSF_IJSE_SE_EEES9_SG_JZNS1_25segmented_radix_sort_implINS0_14default_configELb1EPKbPbPKlPlN2at6native12_GLOBAL__N_18offset_tEEE10hipError_tPvRmT1_PNSt15iterator_traitsISY_E10value_typeET2_T3_PNSZ_IS14_E10value_typeET4_jRbjT5_S1A_jjP12ihipStream_tbEUljE_EEESV_SW_SX_S14_S18_S1A_T6_T7_T9_mT8_S1C_bDpT10_ENKUlT_T0_E_clISt17integral_constantIbLb1EES1P_EEDaS1K_S1L_EUlS1K_E_NS1_11comp_targetILNS1_3genE3ELNS1_11target_archE908ELNS1_3gpuE7ELNS1_3repE0EEENS1_30default_config_static_selectorELNS0_4arch9wavefront6targetE0EEEvSY_
; %bb.0:
	.section	.rodata,"a",@progbits
	.p2align	6, 0x0
	.amdhsa_kernel _ZN7rocprim17ROCPRIM_400000_NS6detail17trampoline_kernelINS0_13select_configILj256ELj13ELNS0_17block_load_methodE3ELS4_3ELS4_3ELNS0_20block_scan_algorithmE0ELj4294967295EEENS1_25partition_config_selectorILNS1_17partition_subalgoE3EjNS0_10empty_typeEbEEZZNS1_14partition_implILS8_3ELb0ES6_jNS0_17counting_iteratorIjlEEPS9_SE_NS0_5tupleIJPjSE_EEENSF_IJSE_SE_EEES9_SG_JZNS1_25segmented_radix_sort_implINS0_14default_configELb1EPKbPbPKlPlN2at6native12_GLOBAL__N_18offset_tEEE10hipError_tPvRmT1_PNSt15iterator_traitsISY_E10value_typeET2_T3_PNSZ_IS14_E10value_typeET4_jRbjT5_S1A_jjP12ihipStream_tbEUljE_EEESV_SW_SX_S14_S18_S1A_T6_T7_T9_mT8_S1C_bDpT10_ENKUlT_T0_E_clISt17integral_constantIbLb1EES1P_EEDaS1K_S1L_EUlS1K_E_NS1_11comp_targetILNS1_3genE3ELNS1_11target_archE908ELNS1_3gpuE7ELNS1_3repE0EEENS1_30default_config_static_selectorELNS0_4arch9wavefront6targetE0EEEvSY_
		.amdhsa_group_segment_fixed_size 0
		.amdhsa_private_segment_fixed_size 0
		.amdhsa_kernarg_size 152
		.amdhsa_user_sgpr_count 2
		.amdhsa_user_sgpr_dispatch_ptr 0
		.amdhsa_user_sgpr_queue_ptr 0
		.amdhsa_user_sgpr_kernarg_segment_ptr 1
		.amdhsa_user_sgpr_dispatch_id 0
		.amdhsa_user_sgpr_kernarg_preload_length 0
		.amdhsa_user_sgpr_kernarg_preload_offset 0
		.amdhsa_user_sgpr_private_segment_size 0
		.amdhsa_wavefront_size32 1
		.amdhsa_uses_dynamic_stack 0
		.amdhsa_enable_private_segment 0
		.amdhsa_system_sgpr_workgroup_id_x 1
		.amdhsa_system_sgpr_workgroup_id_y 0
		.amdhsa_system_sgpr_workgroup_id_z 0
		.amdhsa_system_sgpr_workgroup_info 0
		.amdhsa_system_vgpr_workitem_id 0
		.amdhsa_next_free_vgpr 1
		.amdhsa_next_free_sgpr 1
		.amdhsa_named_barrier_count 0
		.amdhsa_reserve_vcc 0
		.amdhsa_float_round_mode_32 0
		.amdhsa_float_round_mode_16_64 0
		.amdhsa_float_denorm_mode_32 3
		.amdhsa_float_denorm_mode_16_64 3
		.amdhsa_fp16_overflow 0
		.amdhsa_memory_ordered 1
		.amdhsa_forward_progress 1
		.amdhsa_inst_pref_size 0
		.amdhsa_round_robin_scheduling 0
		.amdhsa_exception_fp_ieee_invalid_op 0
		.amdhsa_exception_fp_denorm_src 0
		.amdhsa_exception_fp_ieee_div_zero 0
		.amdhsa_exception_fp_ieee_overflow 0
		.amdhsa_exception_fp_ieee_underflow 0
		.amdhsa_exception_fp_ieee_inexact 0
		.amdhsa_exception_int_div_zero 0
	.end_amdhsa_kernel
	.section	.text._ZN7rocprim17ROCPRIM_400000_NS6detail17trampoline_kernelINS0_13select_configILj256ELj13ELNS0_17block_load_methodE3ELS4_3ELS4_3ELNS0_20block_scan_algorithmE0ELj4294967295EEENS1_25partition_config_selectorILNS1_17partition_subalgoE3EjNS0_10empty_typeEbEEZZNS1_14partition_implILS8_3ELb0ES6_jNS0_17counting_iteratorIjlEEPS9_SE_NS0_5tupleIJPjSE_EEENSF_IJSE_SE_EEES9_SG_JZNS1_25segmented_radix_sort_implINS0_14default_configELb1EPKbPbPKlPlN2at6native12_GLOBAL__N_18offset_tEEE10hipError_tPvRmT1_PNSt15iterator_traitsISY_E10value_typeET2_T3_PNSZ_IS14_E10value_typeET4_jRbjT5_S1A_jjP12ihipStream_tbEUljE_EEESV_SW_SX_S14_S18_S1A_T6_T7_T9_mT8_S1C_bDpT10_ENKUlT_T0_E_clISt17integral_constantIbLb1EES1P_EEDaS1K_S1L_EUlS1K_E_NS1_11comp_targetILNS1_3genE3ELNS1_11target_archE908ELNS1_3gpuE7ELNS1_3repE0EEENS1_30default_config_static_selectorELNS0_4arch9wavefront6targetE0EEEvSY_,"axG",@progbits,_ZN7rocprim17ROCPRIM_400000_NS6detail17trampoline_kernelINS0_13select_configILj256ELj13ELNS0_17block_load_methodE3ELS4_3ELS4_3ELNS0_20block_scan_algorithmE0ELj4294967295EEENS1_25partition_config_selectorILNS1_17partition_subalgoE3EjNS0_10empty_typeEbEEZZNS1_14partition_implILS8_3ELb0ES6_jNS0_17counting_iteratorIjlEEPS9_SE_NS0_5tupleIJPjSE_EEENSF_IJSE_SE_EEES9_SG_JZNS1_25segmented_radix_sort_implINS0_14default_configELb1EPKbPbPKlPlN2at6native12_GLOBAL__N_18offset_tEEE10hipError_tPvRmT1_PNSt15iterator_traitsISY_E10value_typeET2_T3_PNSZ_IS14_E10value_typeET4_jRbjT5_S1A_jjP12ihipStream_tbEUljE_EEESV_SW_SX_S14_S18_S1A_T6_T7_T9_mT8_S1C_bDpT10_ENKUlT_T0_E_clISt17integral_constantIbLb1EES1P_EEDaS1K_S1L_EUlS1K_E_NS1_11comp_targetILNS1_3genE3ELNS1_11target_archE908ELNS1_3gpuE7ELNS1_3repE0EEENS1_30default_config_static_selectorELNS0_4arch9wavefront6targetE0EEEvSY_,comdat
.Lfunc_end1503:
	.size	_ZN7rocprim17ROCPRIM_400000_NS6detail17trampoline_kernelINS0_13select_configILj256ELj13ELNS0_17block_load_methodE3ELS4_3ELS4_3ELNS0_20block_scan_algorithmE0ELj4294967295EEENS1_25partition_config_selectorILNS1_17partition_subalgoE3EjNS0_10empty_typeEbEEZZNS1_14partition_implILS8_3ELb0ES6_jNS0_17counting_iteratorIjlEEPS9_SE_NS0_5tupleIJPjSE_EEENSF_IJSE_SE_EEES9_SG_JZNS1_25segmented_radix_sort_implINS0_14default_configELb1EPKbPbPKlPlN2at6native12_GLOBAL__N_18offset_tEEE10hipError_tPvRmT1_PNSt15iterator_traitsISY_E10value_typeET2_T3_PNSZ_IS14_E10value_typeET4_jRbjT5_S1A_jjP12ihipStream_tbEUljE_EEESV_SW_SX_S14_S18_S1A_T6_T7_T9_mT8_S1C_bDpT10_ENKUlT_T0_E_clISt17integral_constantIbLb1EES1P_EEDaS1K_S1L_EUlS1K_E_NS1_11comp_targetILNS1_3genE3ELNS1_11target_archE908ELNS1_3gpuE7ELNS1_3repE0EEENS1_30default_config_static_selectorELNS0_4arch9wavefront6targetE0EEEvSY_, .Lfunc_end1503-_ZN7rocprim17ROCPRIM_400000_NS6detail17trampoline_kernelINS0_13select_configILj256ELj13ELNS0_17block_load_methodE3ELS4_3ELS4_3ELNS0_20block_scan_algorithmE0ELj4294967295EEENS1_25partition_config_selectorILNS1_17partition_subalgoE3EjNS0_10empty_typeEbEEZZNS1_14partition_implILS8_3ELb0ES6_jNS0_17counting_iteratorIjlEEPS9_SE_NS0_5tupleIJPjSE_EEENSF_IJSE_SE_EEES9_SG_JZNS1_25segmented_radix_sort_implINS0_14default_configELb1EPKbPbPKlPlN2at6native12_GLOBAL__N_18offset_tEEE10hipError_tPvRmT1_PNSt15iterator_traitsISY_E10value_typeET2_T3_PNSZ_IS14_E10value_typeET4_jRbjT5_S1A_jjP12ihipStream_tbEUljE_EEESV_SW_SX_S14_S18_S1A_T6_T7_T9_mT8_S1C_bDpT10_ENKUlT_T0_E_clISt17integral_constantIbLb1EES1P_EEDaS1K_S1L_EUlS1K_E_NS1_11comp_targetILNS1_3genE3ELNS1_11target_archE908ELNS1_3gpuE7ELNS1_3repE0EEENS1_30default_config_static_selectorELNS0_4arch9wavefront6targetE0EEEvSY_
                                        ; -- End function
	.set _ZN7rocprim17ROCPRIM_400000_NS6detail17trampoline_kernelINS0_13select_configILj256ELj13ELNS0_17block_load_methodE3ELS4_3ELS4_3ELNS0_20block_scan_algorithmE0ELj4294967295EEENS1_25partition_config_selectorILNS1_17partition_subalgoE3EjNS0_10empty_typeEbEEZZNS1_14partition_implILS8_3ELb0ES6_jNS0_17counting_iteratorIjlEEPS9_SE_NS0_5tupleIJPjSE_EEENSF_IJSE_SE_EEES9_SG_JZNS1_25segmented_radix_sort_implINS0_14default_configELb1EPKbPbPKlPlN2at6native12_GLOBAL__N_18offset_tEEE10hipError_tPvRmT1_PNSt15iterator_traitsISY_E10value_typeET2_T3_PNSZ_IS14_E10value_typeET4_jRbjT5_S1A_jjP12ihipStream_tbEUljE_EEESV_SW_SX_S14_S18_S1A_T6_T7_T9_mT8_S1C_bDpT10_ENKUlT_T0_E_clISt17integral_constantIbLb1EES1P_EEDaS1K_S1L_EUlS1K_E_NS1_11comp_targetILNS1_3genE3ELNS1_11target_archE908ELNS1_3gpuE7ELNS1_3repE0EEENS1_30default_config_static_selectorELNS0_4arch9wavefront6targetE0EEEvSY_.num_vgpr, 0
	.set _ZN7rocprim17ROCPRIM_400000_NS6detail17trampoline_kernelINS0_13select_configILj256ELj13ELNS0_17block_load_methodE3ELS4_3ELS4_3ELNS0_20block_scan_algorithmE0ELj4294967295EEENS1_25partition_config_selectorILNS1_17partition_subalgoE3EjNS0_10empty_typeEbEEZZNS1_14partition_implILS8_3ELb0ES6_jNS0_17counting_iteratorIjlEEPS9_SE_NS0_5tupleIJPjSE_EEENSF_IJSE_SE_EEES9_SG_JZNS1_25segmented_radix_sort_implINS0_14default_configELb1EPKbPbPKlPlN2at6native12_GLOBAL__N_18offset_tEEE10hipError_tPvRmT1_PNSt15iterator_traitsISY_E10value_typeET2_T3_PNSZ_IS14_E10value_typeET4_jRbjT5_S1A_jjP12ihipStream_tbEUljE_EEESV_SW_SX_S14_S18_S1A_T6_T7_T9_mT8_S1C_bDpT10_ENKUlT_T0_E_clISt17integral_constantIbLb1EES1P_EEDaS1K_S1L_EUlS1K_E_NS1_11comp_targetILNS1_3genE3ELNS1_11target_archE908ELNS1_3gpuE7ELNS1_3repE0EEENS1_30default_config_static_selectorELNS0_4arch9wavefront6targetE0EEEvSY_.num_agpr, 0
	.set _ZN7rocprim17ROCPRIM_400000_NS6detail17trampoline_kernelINS0_13select_configILj256ELj13ELNS0_17block_load_methodE3ELS4_3ELS4_3ELNS0_20block_scan_algorithmE0ELj4294967295EEENS1_25partition_config_selectorILNS1_17partition_subalgoE3EjNS0_10empty_typeEbEEZZNS1_14partition_implILS8_3ELb0ES6_jNS0_17counting_iteratorIjlEEPS9_SE_NS0_5tupleIJPjSE_EEENSF_IJSE_SE_EEES9_SG_JZNS1_25segmented_radix_sort_implINS0_14default_configELb1EPKbPbPKlPlN2at6native12_GLOBAL__N_18offset_tEEE10hipError_tPvRmT1_PNSt15iterator_traitsISY_E10value_typeET2_T3_PNSZ_IS14_E10value_typeET4_jRbjT5_S1A_jjP12ihipStream_tbEUljE_EEESV_SW_SX_S14_S18_S1A_T6_T7_T9_mT8_S1C_bDpT10_ENKUlT_T0_E_clISt17integral_constantIbLb1EES1P_EEDaS1K_S1L_EUlS1K_E_NS1_11comp_targetILNS1_3genE3ELNS1_11target_archE908ELNS1_3gpuE7ELNS1_3repE0EEENS1_30default_config_static_selectorELNS0_4arch9wavefront6targetE0EEEvSY_.numbered_sgpr, 0
	.set _ZN7rocprim17ROCPRIM_400000_NS6detail17trampoline_kernelINS0_13select_configILj256ELj13ELNS0_17block_load_methodE3ELS4_3ELS4_3ELNS0_20block_scan_algorithmE0ELj4294967295EEENS1_25partition_config_selectorILNS1_17partition_subalgoE3EjNS0_10empty_typeEbEEZZNS1_14partition_implILS8_3ELb0ES6_jNS0_17counting_iteratorIjlEEPS9_SE_NS0_5tupleIJPjSE_EEENSF_IJSE_SE_EEES9_SG_JZNS1_25segmented_radix_sort_implINS0_14default_configELb1EPKbPbPKlPlN2at6native12_GLOBAL__N_18offset_tEEE10hipError_tPvRmT1_PNSt15iterator_traitsISY_E10value_typeET2_T3_PNSZ_IS14_E10value_typeET4_jRbjT5_S1A_jjP12ihipStream_tbEUljE_EEESV_SW_SX_S14_S18_S1A_T6_T7_T9_mT8_S1C_bDpT10_ENKUlT_T0_E_clISt17integral_constantIbLb1EES1P_EEDaS1K_S1L_EUlS1K_E_NS1_11comp_targetILNS1_3genE3ELNS1_11target_archE908ELNS1_3gpuE7ELNS1_3repE0EEENS1_30default_config_static_selectorELNS0_4arch9wavefront6targetE0EEEvSY_.num_named_barrier, 0
	.set _ZN7rocprim17ROCPRIM_400000_NS6detail17trampoline_kernelINS0_13select_configILj256ELj13ELNS0_17block_load_methodE3ELS4_3ELS4_3ELNS0_20block_scan_algorithmE0ELj4294967295EEENS1_25partition_config_selectorILNS1_17partition_subalgoE3EjNS0_10empty_typeEbEEZZNS1_14partition_implILS8_3ELb0ES6_jNS0_17counting_iteratorIjlEEPS9_SE_NS0_5tupleIJPjSE_EEENSF_IJSE_SE_EEES9_SG_JZNS1_25segmented_radix_sort_implINS0_14default_configELb1EPKbPbPKlPlN2at6native12_GLOBAL__N_18offset_tEEE10hipError_tPvRmT1_PNSt15iterator_traitsISY_E10value_typeET2_T3_PNSZ_IS14_E10value_typeET4_jRbjT5_S1A_jjP12ihipStream_tbEUljE_EEESV_SW_SX_S14_S18_S1A_T6_T7_T9_mT8_S1C_bDpT10_ENKUlT_T0_E_clISt17integral_constantIbLb1EES1P_EEDaS1K_S1L_EUlS1K_E_NS1_11comp_targetILNS1_3genE3ELNS1_11target_archE908ELNS1_3gpuE7ELNS1_3repE0EEENS1_30default_config_static_selectorELNS0_4arch9wavefront6targetE0EEEvSY_.private_seg_size, 0
	.set _ZN7rocprim17ROCPRIM_400000_NS6detail17trampoline_kernelINS0_13select_configILj256ELj13ELNS0_17block_load_methodE3ELS4_3ELS4_3ELNS0_20block_scan_algorithmE0ELj4294967295EEENS1_25partition_config_selectorILNS1_17partition_subalgoE3EjNS0_10empty_typeEbEEZZNS1_14partition_implILS8_3ELb0ES6_jNS0_17counting_iteratorIjlEEPS9_SE_NS0_5tupleIJPjSE_EEENSF_IJSE_SE_EEES9_SG_JZNS1_25segmented_radix_sort_implINS0_14default_configELb1EPKbPbPKlPlN2at6native12_GLOBAL__N_18offset_tEEE10hipError_tPvRmT1_PNSt15iterator_traitsISY_E10value_typeET2_T3_PNSZ_IS14_E10value_typeET4_jRbjT5_S1A_jjP12ihipStream_tbEUljE_EEESV_SW_SX_S14_S18_S1A_T6_T7_T9_mT8_S1C_bDpT10_ENKUlT_T0_E_clISt17integral_constantIbLb1EES1P_EEDaS1K_S1L_EUlS1K_E_NS1_11comp_targetILNS1_3genE3ELNS1_11target_archE908ELNS1_3gpuE7ELNS1_3repE0EEENS1_30default_config_static_selectorELNS0_4arch9wavefront6targetE0EEEvSY_.uses_vcc, 0
	.set _ZN7rocprim17ROCPRIM_400000_NS6detail17trampoline_kernelINS0_13select_configILj256ELj13ELNS0_17block_load_methodE3ELS4_3ELS4_3ELNS0_20block_scan_algorithmE0ELj4294967295EEENS1_25partition_config_selectorILNS1_17partition_subalgoE3EjNS0_10empty_typeEbEEZZNS1_14partition_implILS8_3ELb0ES6_jNS0_17counting_iteratorIjlEEPS9_SE_NS0_5tupleIJPjSE_EEENSF_IJSE_SE_EEES9_SG_JZNS1_25segmented_radix_sort_implINS0_14default_configELb1EPKbPbPKlPlN2at6native12_GLOBAL__N_18offset_tEEE10hipError_tPvRmT1_PNSt15iterator_traitsISY_E10value_typeET2_T3_PNSZ_IS14_E10value_typeET4_jRbjT5_S1A_jjP12ihipStream_tbEUljE_EEESV_SW_SX_S14_S18_S1A_T6_T7_T9_mT8_S1C_bDpT10_ENKUlT_T0_E_clISt17integral_constantIbLb1EES1P_EEDaS1K_S1L_EUlS1K_E_NS1_11comp_targetILNS1_3genE3ELNS1_11target_archE908ELNS1_3gpuE7ELNS1_3repE0EEENS1_30default_config_static_selectorELNS0_4arch9wavefront6targetE0EEEvSY_.uses_flat_scratch, 0
	.set _ZN7rocprim17ROCPRIM_400000_NS6detail17trampoline_kernelINS0_13select_configILj256ELj13ELNS0_17block_load_methodE3ELS4_3ELS4_3ELNS0_20block_scan_algorithmE0ELj4294967295EEENS1_25partition_config_selectorILNS1_17partition_subalgoE3EjNS0_10empty_typeEbEEZZNS1_14partition_implILS8_3ELb0ES6_jNS0_17counting_iteratorIjlEEPS9_SE_NS0_5tupleIJPjSE_EEENSF_IJSE_SE_EEES9_SG_JZNS1_25segmented_radix_sort_implINS0_14default_configELb1EPKbPbPKlPlN2at6native12_GLOBAL__N_18offset_tEEE10hipError_tPvRmT1_PNSt15iterator_traitsISY_E10value_typeET2_T3_PNSZ_IS14_E10value_typeET4_jRbjT5_S1A_jjP12ihipStream_tbEUljE_EEESV_SW_SX_S14_S18_S1A_T6_T7_T9_mT8_S1C_bDpT10_ENKUlT_T0_E_clISt17integral_constantIbLb1EES1P_EEDaS1K_S1L_EUlS1K_E_NS1_11comp_targetILNS1_3genE3ELNS1_11target_archE908ELNS1_3gpuE7ELNS1_3repE0EEENS1_30default_config_static_selectorELNS0_4arch9wavefront6targetE0EEEvSY_.has_dyn_sized_stack, 0
	.set _ZN7rocprim17ROCPRIM_400000_NS6detail17trampoline_kernelINS0_13select_configILj256ELj13ELNS0_17block_load_methodE3ELS4_3ELS4_3ELNS0_20block_scan_algorithmE0ELj4294967295EEENS1_25partition_config_selectorILNS1_17partition_subalgoE3EjNS0_10empty_typeEbEEZZNS1_14partition_implILS8_3ELb0ES6_jNS0_17counting_iteratorIjlEEPS9_SE_NS0_5tupleIJPjSE_EEENSF_IJSE_SE_EEES9_SG_JZNS1_25segmented_radix_sort_implINS0_14default_configELb1EPKbPbPKlPlN2at6native12_GLOBAL__N_18offset_tEEE10hipError_tPvRmT1_PNSt15iterator_traitsISY_E10value_typeET2_T3_PNSZ_IS14_E10value_typeET4_jRbjT5_S1A_jjP12ihipStream_tbEUljE_EEESV_SW_SX_S14_S18_S1A_T6_T7_T9_mT8_S1C_bDpT10_ENKUlT_T0_E_clISt17integral_constantIbLb1EES1P_EEDaS1K_S1L_EUlS1K_E_NS1_11comp_targetILNS1_3genE3ELNS1_11target_archE908ELNS1_3gpuE7ELNS1_3repE0EEENS1_30default_config_static_selectorELNS0_4arch9wavefront6targetE0EEEvSY_.has_recursion, 0
	.set _ZN7rocprim17ROCPRIM_400000_NS6detail17trampoline_kernelINS0_13select_configILj256ELj13ELNS0_17block_load_methodE3ELS4_3ELS4_3ELNS0_20block_scan_algorithmE0ELj4294967295EEENS1_25partition_config_selectorILNS1_17partition_subalgoE3EjNS0_10empty_typeEbEEZZNS1_14partition_implILS8_3ELb0ES6_jNS0_17counting_iteratorIjlEEPS9_SE_NS0_5tupleIJPjSE_EEENSF_IJSE_SE_EEES9_SG_JZNS1_25segmented_radix_sort_implINS0_14default_configELb1EPKbPbPKlPlN2at6native12_GLOBAL__N_18offset_tEEE10hipError_tPvRmT1_PNSt15iterator_traitsISY_E10value_typeET2_T3_PNSZ_IS14_E10value_typeET4_jRbjT5_S1A_jjP12ihipStream_tbEUljE_EEESV_SW_SX_S14_S18_S1A_T6_T7_T9_mT8_S1C_bDpT10_ENKUlT_T0_E_clISt17integral_constantIbLb1EES1P_EEDaS1K_S1L_EUlS1K_E_NS1_11comp_targetILNS1_3genE3ELNS1_11target_archE908ELNS1_3gpuE7ELNS1_3repE0EEENS1_30default_config_static_selectorELNS0_4arch9wavefront6targetE0EEEvSY_.has_indirect_call, 0
	.section	.AMDGPU.csdata,"",@progbits
; Kernel info:
; codeLenInByte = 0
; TotalNumSgprs: 0
; NumVgprs: 0
; ScratchSize: 0
; MemoryBound: 0
; FloatMode: 240
; IeeeMode: 1
; LDSByteSize: 0 bytes/workgroup (compile time only)
; SGPRBlocks: 0
; VGPRBlocks: 0
; NumSGPRsForWavesPerEU: 1
; NumVGPRsForWavesPerEU: 1
; NamedBarCnt: 0
; Occupancy: 16
; WaveLimiterHint : 0
; COMPUTE_PGM_RSRC2:SCRATCH_EN: 0
; COMPUTE_PGM_RSRC2:USER_SGPR: 2
; COMPUTE_PGM_RSRC2:TRAP_HANDLER: 0
; COMPUTE_PGM_RSRC2:TGID_X_EN: 1
; COMPUTE_PGM_RSRC2:TGID_Y_EN: 0
; COMPUTE_PGM_RSRC2:TGID_Z_EN: 0
; COMPUTE_PGM_RSRC2:TIDIG_COMP_CNT: 0
	.section	.text._ZN7rocprim17ROCPRIM_400000_NS6detail17trampoline_kernelINS0_13select_configILj256ELj13ELNS0_17block_load_methodE3ELS4_3ELS4_3ELNS0_20block_scan_algorithmE0ELj4294967295EEENS1_25partition_config_selectorILNS1_17partition_subalgoE3EjNS0_10empty_typeEbEEZZNS1_14partition_implILS8_3ELb0ES6_jNS0_17counting_iteratorIjlEEPS9_SE_NS0_5tupleIJPjSE_EEENSF_IJSE_SE_EEES9_SG_JZNS1_25segmented_radix_sort_implINS0_14default_configELb1EPKbPbPKlPlN2at6native12_GLOBAL__N_18offset_tEEE10hipError_tPvRmT1_PNSt15iterator_traitsISY_E10value_typeET2_T3_PNSZ_IS14_E10value_typeET4_jRbjT5_S1A_jjP12ihipStream_tbEUljE_EEESV_SW_SX_S14_S18_S1A_T6_T7_T9_mT8_S1C_bDpT10_ENKUlT_T0_E_clISt17integral_constantIbLb1EES1P_EEDaS1K_S1L_EUlS1K_E_NS1_11comp_targetILNS1_3genE2ELNS1_11target_archE906ELNS1_3gpuE6ELNS1_3repE0EEENS1_30default_config_static_selectorELNS0_4arch9wavefront6targetE0EEEvSY_,"axG",@progbits,_ZN7rocprim17ROCPRIM_400000_NS6detail17trampoline_kernelINS0_13select_configILj256ELj13ELNS0_17block_load_methodE3ELS4_3ELS4_3ELNS0_20block_scan_algorithmE0ELj4294967295EEENS1_25partition_config_selectorILNS1_17partition_subalgoE3EjNS0_10empty_typeEbEEZZNS1_14partition_implILS8_3ELb0ES6_jNS0_17counting_iteratorIjlEEPS9_SE_NS0_5tupleIJPjSE_EEENSF_IJSE_SE_EEES9_SG_JZNS1_25segmented_radix_sort_implINS0_14default_configELb1EPKbPbPKlPlN2at6native12_GLOBAL__N_18offset_tEEE10hipError_tPvRmT1_PNSt15iterator_traitsISY_E10value_typeET2_T3_PNSZ_IS14_E10value_typeET4_jRbjT5_S1A_jjP12ihipStream_tbEUljE_EEESV_SW_SX_S14_S18_S1A_T6_T7_T9_mT8_S1C_bDpT10_ENKUlT_T0_E_clISt17integral_constantIbLb1EES1P_EEDaS1K_S1L_EUlS1K_E_NS1_11comp_targetILNS1_3genE2ELNS1_11target_archE906ELNS1_3gpuE6ELNS1_3repE0EEENS1_30default_config_static_selectorELNS0_4arch9wavefront6targetE0EEEvSY_,comdat
	.globl	_ZN7rocprim17ROCPRIM_400000_NS6detail17trampoline_kernelINS0_13select_configILj256ELj13ELNS0_17block_load_methodE3ELS4_3ELS4_3ELNS0_20block_scan_algorithmE0ELj4294967295EEENS1_25partition_config_selectorILNS1_17partition_subalgoE3EjNS0_10empty_typeEbEEZZNS1_14partition_implILS8_3ELb0ES6_jNS0_17counting_iteratorIjlEEPS9_SE_NS0_5tupleIJPjSE_EEENSF_IJSE_SE_EEES9_SG_JZNS1_25segmented_radix_sort_implINS0_14default_configELb1EPKbPbPKlPlN2at6native12_GLOBAL__N_18offset_tEEE10hipError_tPvRmT1_PNSt15iterator_traitsISY_E10value_typeET2_T3_PNSZ_IS14_E10value_typeET4_jRbjT5_S1A_jjP12ihipStream_tbEUljE_EEESV_SW_SX_S14_S18_S1A_T6_T7_T9_mT8_S1C_bDpT10_ENKUlT_T0_E_clISt17integral_constantIbLb1EES1P_EEDaS1K_S1L_EUlS1K_E_NS1_11comp_targetILNS1_3genE2ELNS1_11target_archE906ELNS1_3gpuE6ELNS1_3repE0EEENS1_30default_config_static_selectorELNS0_4arch9wavefront6targetE0EEEvSY_ ; -- Begin function _ZN7rocprim17ROCPRIM_400000_NS6detail17trampoline_kernelINS0_13select_configILj256ELj13ELNS0_17block_load_methodE3ELS4_3ELS4_3ELNS0_20block_scan_algorithmE0ELj4294967295EEENS1_25partition_config_selectorILNS1_17partition_subalgoE3EjNS0_10empty_typeEbEEZZNS1_14partition_implILS8_3ELb0ES6_jNS0_17counting_iteratorIjlEEPS9_SE_NS0_5tupleIJPjSE_EEENSF_IJSE_SE_EEES9_SG_JZNS1_25segmented_radix_sort_implINS0_14default_configELb1EPKbPbPKlPlN2at6native12_GLOBAL__N_18offset_tEEE10hipError_tPvRmT1_PNSt15iterator_traitsISY_E10value_typeET2_T3_PNSZ_IS14_E10value_typeET4_jRbjT5_S1A_jjP12ihipStream_tbEUljE_EEESV_SW_SX_S14_S18_S1A_T6_T7_T9_mT8_S1C_bDpT10_ENKUlT_T0_E_clISt17integral_constantIbLb1EES1P_EEDaS1K_S1L_EUlS1K_E_NS1_11comp_targetILNS1_3genE2ELNS1_11target_archE906ELNS1_3gpuE6ELNS1_3repE0EEENS1_30default_config_static_selectorELNS0_4arch9wavefront6targetE0EEEvSY_
	.p2align	8
	.type	_ZN7rocprim17ROCPRIM_400000_NS6detail17trampoline_kernelINS0_13select_configILj256ELj13ELNS0_17block_load_methodE3ELS4_3ELS4_3ELNS0_20block_scan_algorithmE0ELj4294967295EEENS1_25partition_config_selectorILNS1_17partition_subalgoE3EjNS0_10empty_typeEbEEZZNS1_14partition_implILS8_3ELb0ES6_jNS0_17counting_iteratorIjlEEPS9_SE_NS0_5tupleIJPjSE_EEENSF_IJSE_SE_EEES9_SG_JZNS1_25segmented_radix_sort_implINS0_14default_configELb1EPKbPbPKlPlN2at6native12_GLOBAL__N_18offset_tEEE10hipError_tPvRmT1_PNSt15iterator_traitsISY_E10value_typeET2_T3_PNSZ_IS14_E10value_typeET4_jRbjT5_S1A_jjP12ihipStream_tbEUljE_EEESV_SW_SX_S14_S18_S1A_T6_T7_T9_mT8_S1C_bDpT10_ENKUlT_T0_E_clISt17integral_constantIbLb1EES1P_EEDaS1K_S1L_EUlS1K_E_NS1_11comp_targetILNS1_3genE2ELNS1_11target_archE906ELNS1_3gpuE6ELNS1_3repE0EEENS1_30default_config_static_selectorELNS0_4arch9wavefront6targetE0EEEvSY_,@function
_ZN7rocprim17ROCPRIM_400000_NS6detail17trampoline_kernelINS0_13select_configILj256ELj13ELNS0_17block_load_methodE3ELS4_3ELS4_3ELNS0_20block_scan_algorithmE0ELj4294967295EEENS1_25partition_config_selectorILNS1_17partition_subalgoE3EjNS0_10empty_typeEbEEZZNS1_14partition_implILS8_3ELb0ES6_jNS0_17counting_iteratorIjlEEPS9_SE_NS0_5tupleIJPjSE_EEENSF_IJSE_SE_EEES9_SG_JZNS1_25segmented_radix_sort_implINS0_14default_configELb1EPKbPbPKlPlN2at6native12_GLOBAL__N_18offset_tEEE10hipError_tPvRmT1_PNSt15iterator_traitsISY_E10value_typeET2_T3_PNSZ_IS14_E10value_typeET4_jRbjT5_S1A_jjP12ihipStream_tbEUljE_EEESV_SW_SX_S14_S18_S1A_T6_T7_T9_mT8_S1C_bDpT10_ENKUlT_T0_E_clISt17integral_constantIbLb1EES1P_EEDaS1K_S1L_EUlS1K_E_NS1_11comp_targetILNS1_3genE2ELNS1_11target_archE906ELNS1_3gpuE6ELNS1_3repE0EEENS1_30default_config_static_selectorELNS0_4arch9wavefront6targetE0EEEvSY_: ; @_ZN7rocprim17ROCPRIM_400000_NS6detail17trampoline_kernelINS0_13select_configILj256ELj13ELNS0_17block_load_methodE3ELS4_3ELS4_3ELNS0_20block_scan_algorithmE0ELj4294967295EEENS1_25partition_config_selectorILNS1_17partition_subalgoE3EjNS0_10empty_typeEbEEZZNS1_14partition_implILS8_3ELb0ES6_jNS0_17counting_iteratorIjlEEPS9_SE_NS0_5tupleIJPjSE_EEENSF_IJSE_SE_EEES9_SG_JZNS1_25segmented_radix_sort_implINS0_14default_configELb1EPKbPbPKlPlN2at6native12_GLOBAL__N_18offset_tEEE10hipError_tPvRmT1_PNSt15iterator_traitsISY_E10value_typeET2_T3_PNSZ_IS14_E10value_typeET4_jRbjT5_S1A_jjP12ihipStream_tbEUljE_EEESV_SW_SX_S14_S18_S1A_T6_T7_T9_mT8_S1C_bDpT10_ENKUlT_T0_E_clISt17integral_constantIbLb1EES1P_EEDaS1K_S1L_EUlS1K_E_NS1_11comp_targetILNS1_3genE2ELNS1_11target_archE906ELNS1_3gpuE6ELNS1_3repE0EEENS1_30default_config_static_selectorELNS0_4arch9wavefront6targetE0EEEvSY_
; %bb.0:
	.section	.rodata,"a",@progbits
	.p2align	6, 0x0
	.amdhsa_kernel _ZN7rocprim17ROCPRIM_400000_NS6detail17trampoline_kernelINS0_13select_configILj256ELj13ELNS0_17block_load_methodE3ELS4_3ELS4_3ELNS0_20block_scan_algorithmE0ELj4294967295EEENS1_25partition_config_selectorILNS1_17partition_subalgoE3EjNS0_10empty_typeEbEEZZNS1_14partition_implILS8_3ELb0ES6_jNS0_17counting_iteratorIjlEEPS9_SE_NS0_5tupleIJPjSE_EEENSF_IJSE_SE_EEES9_SG_JZNS1_25segmented_radix_sort_implINS0_14default_configELb1EPKbPbPKlPlN2at6native12_GLOBAL__N_18offset_tEEE10hipError_tPvRmT1_PNSt15iterator_traitsISY_E10value_typeET2_T3_PNSZ_IS14_E10value_typeET4_jRbjT5_S1A_jjP12ihipStream_tbEUljE_EEESV_SW_SX_S14_S18_S1A_T6_T7_T9_mT8_S1C_bDpT10_ENKUlT_T0_E_clISt17integral_constantIbLb1EES1P_EEDaS1K_S1L_EUlS1K_E_NS1_11comp_targetILNS1_3genE2ELNS1_11target_archE906ELNS1_3gpuE6ELNS1_3repE0EEENS1_30default_config_static_selectorELNS0_4arch9wavefront6targetE0EEEvSY_
		.amdhsa_group_segment_fixed_size 0
		.amdhsa_private_segment_fixed_size 0
		.amdhsa_kernarg_size 152
		.amdhsa_user_sgpr_count 2
		.amdhsa_user_sgpr_dispatch_ptr 0
		.amdhsa_user_sgpr_queue_ptr 0
		.amdhsa_user_sgpr_kernarg_segment_ptr 1
		.amdhsa_user_sgpr_dispatch_id 0
		.amdhsa_user_sgpr_kernarg_preload_length 0
		.amdhsa_user_sgpr_kernarg_preload_offset 0
		.amdhsa_user_sgpr_private_segment_size 0
		.amdhsa_wavefront_size32 1
		.amdhsa_uses_dynamic_stack 0
		.amdhsa_enable_private_segment 0
		.amdhsa_system_sgpr_workgroup_id_x 1
		.amdhsa_system_sgpr_workgroup_id_y 0
		.amdhsa_system_sgpr_workgroup_id_z 0
		.amdhsa_system_sgpr_workgroup_info 0
		.amdhsa_system_vgpr_workitem_id 0
		.amdhsa_next_free_vgpr 1
		.amdhsa_next_free_sgpr 1
		.amdhsa_named_barrier_count 0
		.amdhsa_reserve_vcc 0
		.amdhsa_float_round_mode_32 0
		.amdhsa_float_round_mode_16_64 0
		.amdhsa_float_denorm_mode_32 3
		.amdhsa_float_denorm_mode_16_64 3
		.amdhsa_fp16_overflow 0
		.amdhsa_memory_ordered 1
		.amdhsa_forward_progress 1
		.amdhsa_inst_pref_size 0
		.amdhsa_round_robin_scheduling 0
		.amdhsa_exception_fp_ieee_invalid_op 0
		.amdhsa_exception_fp_denorm_src 0
		.amdhsa_exception_fp_ieee_div_zero 0
		.amdhsa_exception_fp_ieee_overflow 0
		.amdhsa_exception_fp_ieee_underflow 0
		.amdhsa_exception_fp_ieee_inexact 0
		.amdhsa_exception_int_div_zero 0
	.end_amdhsa_kernel
	.section	.text._ZN7rocprim17ROCPRIM_400000_NS6detail17trampoline_kernelINS0_13select_configILj256ELj13ELNS0_17block_load_methodE3ELS4_3ELS4_3ELNS0_20block_scan_algorithmE0ELj4294967295EEENS1_25partition_config_selectorILNS1_17partition_subalgoE3EjNS0_10empty_typeEbEEZZNS1_14partition_implILS8_3ELb0ES6_jNS0_17counting_iteratorIjlEEPS9_SE_NS0_5tupleIJPjSE_EEENSF_IJSE_SE_EEES9_SG_JZNS1_25segmented_radix_sort_implINS0_14default_configELb1EPKbPbPKlPlN2at6native12_GLOBAL__N_18offset_tEEE10hipError_tPvRmT1_PNSt15iterator_traitsISY_E10value_typeET2_T3_PNSZ_IS14_E10value_typeET4_jRbjT5_S1A_jjP12ihipStream_tbEUljE_EEESV_SW_SX_S14_S18_S1A_T6_T7_T9_mT8_S1C_bDpT10_ENKUlT_T0_E_clISt17integral_constantIbLb1EES1P_EEDaS1K_S1L_EUlS1K_E_NS1_11comp_targetILNS1_3genE2ELNS1_11target_archE906ELNS1_3gpuE6ELNS1_3repE0EEENS1_30default_config_static_selectorELNS0_4arch9wavefront6targetE0EEEvSY_,"axG",@progbits,_ZN7rocprim17ROCPRIM_400000_NS6detail17trampoline_kernelINS0_13select_configILj256ELj13ELNS0_17block_load_methodE3ELS4_3ELS4_3ELNS0_20block_scan_algorithmE0ELj4294967295EEENS1_25partition_config_selectorILNS1_17partition_subalgoE3EjNS0_10empty_typeEbEEZZNS1_14partition_implILS8_3ELb0ES6_jNS0_17counting_iteratorIjlEEPS9_SE_NS0_5tupleIJPjSE_EEENSF_IJSE_SE_EEES9_SG_JZNS1_25segmented_radix_sort_implINS0_14default_configELb1EPKbPbPKlPlN2at6native12_GLOBAL__N_18offset_tEEE10hipError_tPvRmT1_PNSt15iterator_traitsISY_E10value_typeET2_T3_PNSZ_IS14_E10value_typeET4_jRbjT5_S1A_jjP12ihipStream_tbEUljE_EEESV_SW_SX_S14_S18_S1A_T6_T7_T9_mT8_S1C_bDpT10_ENKUlT_T0_E_clISt17integral_constantIbLb1EES1P_EEDaS1K_S1L_EUlS1K_E_NS1_11comp_targetILNS1_3genE2ELNS1_11target_archE906ELNS1_3gpuE6ELNS1_3repE0EEENS1_30default_config_static_selectorELNS0_4arch9wavefront6targetE0EEEvSY_,comdat
.Lfunc_end1504:
	.size	_ZN7rocprim17ROCPRIM_400000_NS6detail17trampoline_kernelINS0_13select_configILj256ELj13ELNS0_17block_load_methodE3ELS4_3ELS4_3ELNS0_20block_scan_algorithmE0ELj4294967295EEENS1_25partition_config_selectorILNS1_17partition_subalgoE3EjNS0_10empty_typeEbEEZZNS1_14partition_implILS8_3ELb0ES6_jNS0_17counting_iteratorIjlEEPS9_SE_NS0_5tupleIJPjSE_EEENSF_IJSE_SE_EEES9_SG_JZNS1_25segmented_radix_sort_implINS0_14default_configELb1EPKbPbPKlPlN2at6native12_GLOBAL__N_18offset_tEEE10hipError_tPvRmT1_PNSt15iterator_traitsISY_E10value_typeET2_T3_PNSZ_IS14_E10value_typeET4_jRbjT5_S1A_jjP12ihipStream_tbEUljE_EEESV_SW_SX_S14_S18_S1A_T6_T7_T9_mT8_S1C_bDpT10_ENKUlT_T0_E_clISt17integral_constantIbLb1EES1P_EEDaS1K_S1L_EUlS1K_E_NS1_11comp_targetILNS1_3genE2ELNS1_11target_archE906ELNS1_3gpuE6ELNS1_3repE0EEENS1_30default_config_static_selectorELNS0_4arch9wavefront6targetE0EEEvSY_, .Lfunc_end1504-_ZN7rocprim17ROCPRIM_400000_NS6detail17trampoline_kernelINS0_13select_configILj256ELj13ELNS0_17block_load_methodE3ELS4_3ELS4_3ELNS0_20block_scan_algorithmE0ELj4294967295EEENS1_25partition_config_selectorILNS1_17partition_subalgoE3EjNS0_10empty_typeEbEEZZNS1_14partition_implILS8_3ELb0ES6_jNS0_17counting_iteratorIjlEEPS9_SE_NS0_5tupleIJPjSE_EEENSF_IJSE_SE_EEES9_SG_JZNS1_25segmented_radix_sort_implINS0_14default_configELb1EPKbPbPKlPlN2at6native12_GLOBAL__N_18offset_tEEE10hipError_tPvRmT1_PNSt15iterator_traitsISY_E10value_typeET2_T3_PNSZ_IS14_E10value_typeET4_jRbjT5_S1A_jjP12ihipStream_tbEUljE_EEESV_SW_SX_S14_S18_S1A_T6_T7_T9_mT8_S1C_bDpT10_ENKUlT_T0_E_clISt17integral_constantIbLb1EES1P_EEDaS1K_S1L_EUlS1K_E_NS1_11comp_targetILNS1_3genE2ELNS1_11target_archE906ELNS1_3gpuE6ELNS1_3repE0EEENS1_30default_config_static_selectorELNS0_4arch9wavefront6targetE0EEEvSY_
                                        ; -- End function
	.set _ZN7rocprim17ROCPRIM_400000_NS6detail17trampoline_kernelINS0_13select_configILj256ELj13ELNS0_17block_load_methodE3ELS4_3ELS4_3ELNS0_20block_scan_algorithmE0ELj4294967295EEENS1_25partition_config_selectorILNS1_17partition_subalgoE3EjNS0_10empty_typeEbEEZZNS1_14partition_implILS8_3ELb0ES6_jNS0_17counting_iteratorIjlEEPS9_SE_NS0_5tupleIJPjSE_EEENSF_IJSE_SE_EEES9_SG_JZNS1_25segmented_radix_sort_implINS0_14default_configELb1EPKbPbPKlPlN2at6native12_GLOBAL__N_18offset_tEEE10hipError_tPvRmT1_PNSt15iterator_traitsISY_E10value_typeET2_T3_PNSZ_IS14_E10value_typeET4_jRbjT5_S1A_jjP12ihipStream_tbEUljE_EEESV_SW_SX_S14_S18_S1A_T6_T7_T9_mT8_S1C_bDpT10_ENKUlT_T0_E_clISt17integral_constantIbLb1EES1P_EEDaS1K_S1L_EUlS1K_E_NS1_11comp_targetILNS1_3genE2ELNS1_11target_archE906ELNS1_3gpuE6ELNS1_3repE0EEENS1_30default_config_static_selectorELNS0_4arch9wavefront6targetE0EEEvSY_.num_vgpr, 0
	.set _ZN7rocprim17ROCPRIM_400000_NS6detail17trampoline_kernelINS0_13select_configILj256ELj13ELNS0_17block_load_methodE3ELS4_3ELS4_3ELNS0_20block_scan_algorithmE0ELj4294967295EEENS1_25partition_config_selectorILNS1_17partition_subalgoE3EjNS0_10empty_typeEbEEZZNS1_14partition_implILS8_3ELb0ES6_jNS0_17counting_iteratorIjlEEPS9_SE_NS0_5tupleIJPjSE_EEENSF_IJSE_SE_EEES9_SG_JZNS1_25segmented_radix_sort_implINS0_14default_configELb1EPKbPbPKlPlN2at6native12_GLOBAL__N_18offset_tEEE10hipError_tPvRmT1_PNSt15iterator_traitsISY_E10value_typeET2_T3_PNSZ_IS14_E10value_typeET4_jRbjT5_S1A_jjP12ihipStream_tbEUljE_EEESV_SW_SX_S14_S18_S1A_T6_T7_T9_mT8_S1C_bDpT10_ENKUlT_T0_E_clISt17integral_constantIbLb1EES1P_EEDaS1K_S1L_EUlS1K_E_NS1_11comp_targetILNS1_3genE2ELNS1_11target_archE906ELNS1_3gpuE6ELNS1_3repE0EEENS1_30default_config_static_selectorELNS0_4arch9wavefront6targetE0EEEvSY_.num_agpr, 0
	.set _ZN7rocprim17ROCPRIM_400000_NS6detail17trampoline_kernelINS0_13select_configILj256ELj13ELNS0_17block_load_methodE3ELS4_3ELS4_3ELNS0_20block_scan_algorithmE0ELj4294967295EEENS1_25partition_config_selectorILNS1_17partition_subalgoE3EjNS0_10empty_typeEbEEZZNS1_14partition_implILS8_3ELb0ES6_jNS0_17counting_iteratorIjlEEPS9_SE_NS0_5tupleIJPjSE_EEENSF_IJSE_SE_EEES9_SG_JZNS1_25segmented_radix_sort_implINS0_14default_configELb1EPKbPbPKlPlN2at6native12_GLOBAL__N_18offset_tEEE10hipError_tPvRmT1_PNSt15iterator_traitsISY_E10value_typeET2_T3_PNSZ_IS14_E10value_typeET4_jRbjT5_S1A_jjP12ihipStream_tbEUljE_EEESV_SW_SX_S14_S18_S1A_T6_T7_T9_mT8_S1C_bDpT10_ENKUlT_T0_E_clISt17integral_constantIbLb1EES1P_EEDaS1K_S1L_EUlS1K_E_NS1_11comp_targetILNS1_3genE2ELNS1_11target_archE906ELNS1_3gpuE6ELNS1_3repE0EEENS1_30default_config_static_selectorELNS0_4arch9wavefront6targetE0EEEvSY_.numbered_sgpr, 0
	.set _ZN7rocprim17ROCPRIM_400000_NS6detail17trampoline_kernelINS0_13select_configILj256ELj13ELNS0_17block_load_methodE3ELS4_3ELS4_3ELNS0_20block_scan_algorithmE0ELj4294967295EEENS1_25partition_config_selectorILNS1_17partition_subalgoE3EjNS0_10empty_typeEbEEZZNS1_14partition_implILS8_3ELb0ES6_jNS0_17counting_iteratorIjlEEPS9_SE_NS0_5tupleIJPjSE_EEENSF_IJSE_SE_EEES9_SG_JZNS1_25segmented_radix_sort_implINS0_14default_configELb1EPKbPbPKlPlN2at6native12_GLOBAL__N_18offset_tEEE10hipError_tPvRmT1_PNSt15iterator_traitsISY_E10value_typeET2_T3_PNSZ_IS14_E10value_typeET4_jRbjT5_S1A_jjP12ihipStream_tbEUljE_EEESV_SW_SX_S14_S18_S1A_T6_T7_T9_mT8_S1C_bDpT10_ENKUlT_T0_E_clISt17integral_constantIbLb1EES1P_EEDaS1K_S1L_EUlS1K_E_NS1_11comp_targetILNS1_3genE2ELNS1_11target_archE906ELNS1_3gpuE6ELNS1_3repE0EEENS1_30default_config_static_selectorELNS0_4arch9wavefront6targetE0EEEvSY_.num_named_barrier, 0
	.set _ZN7rocprim17ROCPRIM_400000_NS6detail17trampoline_kernelINS0_13select_configILj256ELj13ELNS0_17block_load_methodE3ELS4_3ELS4_3ELNS0_20block_scan_algorithmE0ELj4294967295EEENS1_25partition_config_selectorILNS1_17partition_subalgoE3EjNS0_10empty_typeEbEEZZNS1_14partition_implILS8_3ELb0ES6_jNS0_17counting_iteratorIjlEEPS9_SE_NS0_5tupleIJPjSE_EEENSF_IJSE_SE_EEES9_SG_JZNS1_25segmented_radix_sort_implINS0_14default_configELb1EPKbPbPKlPlN2at6native12_GLOBAL__N_18offset_tEEE10hipError_tPvRmT1_PNSt15iterator_traitsISY_E10value_typeET2_T3_PNSZ_IS14_E10value_typeET4_jRbjT5_S1A_jjP12ihipStream_tbEUljE_EEESV_SW_SX_S14_S18_S1A_T6_T7_T9_mT8_S1C_bDpT10_ENKUlT_T0_E_clISt17integral_constantIbLb1EES1P_EEDaS1K_S1L_EUlS1K_E_NS1_11comp_targetILNS1_3genE2ELNS1_11target_archE906ELNS1_3gpuE6ELNS1_3repE0EEENS1_30default_config_static_selectorELNS0_4arch9wavefront6targetE0EEEvSY_.private_seg_size, 0
	.set _ZN7rocprim17ROCPRIM_400000_NS6detail17trampoline_kernelINS0_13select_configILj256ELj13ELNS0_17block_load_methodE3ELS4_3ELS4_3ELNS0_20block_scan_algorithmE0ELj4294967295EEENS1_25partition_config_selectorILNS1_17partition_subalgoE3EjNS0_10empty_typeEbEEZZNS1_14partition_implILS8_3ELb0ES6_jNS0_17counting_iteratorIjlEEPS9_SE_NS0_5tupleIJPjSE_EEENSF_IJSE_SE_EEES9_SG_JZNS1_25segmented_radix_sort_implINS0_14default_configELb1EPKbPbPKlPlN2at6native12_GLOBAL__N_18offset_tEEE10hipError_tPvRmT1_PNSt15iterator_traitsISY_E10value_typeET2_T3_PNSZ_IS14_E10value_typeET4_jRbjT5_S1A_jjP12ihipStream_tbEUljE_EEESV_SW_SX_S14_S18_S1A_T6_T7_T9_mT8_S1C_bDpT10_ENKUlT_T0_E_clISt17integral_constantIbLb1EES1P_EEDaS1K_S1L_EUlS1K_E_NS1_11comp_targetILNS1_3genE2ELNS1_11target_archE906ELNS1_3gpuE6ELNS1_3repE0EEENS1_30default_config_static_selectorELNS0_4arch9wavefront6targetE0EEEvSY_.uses_vcc, 0
	.set _ZN7rocprim17ROCPRIM_400000_NS6detail17trampoline_kernelINS0_13select_configILj256ELj13ELNS0_17block_load_methodE3ELS4_3ELS4_3ELNS0_20block_scan_algorithmE0ELj4294967295EEENS1_25partition_config_selectorILNS1_17partition_subalgoE3EjNS0_10empty_typeEbEEZZNS1_14partition_implILS8_3ELb0ES6_jNS0_17counting_iteratorIjlEEPS9_SE_NS0_5tupleIJPjSE_EEENSF_IJSE_SE_EEES9_SG_JZNS1_25segmented_radix_sort_implINS0_14default_configELb1EPKbPbPKlPlN2at6native12_GLOBAL__N_18offset_tEEE10hipError_tPvRmT1_PNSt15iterator_traitsISY_E10value_typeET2_T3_PNSZ_IS14_E10value_typeET4_jRbjT5_S1A_jjP12ihipStream_tbEUljE_EEESV_SW_SX_S14_S18_S1A_T6_T7_T9_mT8_S1C_bDpT10_ENKUlT_T0_E_clISt17integral_constantIbLb1EES1P_EEDaS1K_S1L_EUlS1K_E_NS1_11comp_targetILNS1_3genE2ELNS1_11target_archE906ELNS1_3gpuE6ELNS1_3repE0EEENS1_30default_config_static_selectorELNS0_4arch9wavefront6targetE0EEEvSY_.uses_flat_scratch, 0
	.set _ZN7rocprim17ROCPRIM_400000_NS6detail17trampoline_kernelINS0_13select_configILj256ELj13ELNS0_17block_load_methodE3ELS4_3ELS4_3ELNS0_20block_scan_algorithmE0ELj4294967295EEENS1_25partition_config_selectorILNS1_17partition_subalgoE3EjNS0_10empty_typeEbEEZZNS1_14partition_implILS8_3ELb0ES6_jNS0_17counting_iteratorIjlEEPS9_SE_NS0_5tupleIJPjSE_EEENSF_IJSE_SE_EEES9_SG_JZNS1_25segmented_radix_sort_implINS0_14default_configELb1EPKbPbPKlPlN2at6native12_GLOBAL__N_18offset_tEEE10hipError_tPvRmT1_PNSt15iterator_traitsISY_E10value_typeET2_T3_PNSZ_IS14_E10value_typeET4_jRbjT5_S1A_jjP12ihipStream_tbEUljE_EEESV_SW_SX_S14_S18_S1A_T6_T7_T9_mT8_S1C_bDpT10_ENKUlT_T0_E_clISt17integral_constantIbLb1EES1P_EEDaS1K_S1L_EUlS1K_E_NS1_11comp_targetILNS1_3genE2ELNS1_11target_archE906ELNS1_3gpuE6ELNS1_3repE0EEENS1_30default_config_static_selectorELNS0_4arch9wavefront6targetE0EEEvSY_.has_dyn_sized_stack, 0
	.set _ZN7rocprim17ROCPRIM_400000_NS6detail17trampoline_kernelINS0_13select_configILj256ELj13ELNS0_17block_load_methodE3ELS4_3ELS4_3ELNS0_20block_scan_algorithmE0ELj4294967295EEENS1_25partition_config_selectorILNS1_17partition_subalgoE3EjNS0_10empty_typeEbEEZZNS1_14partition_implILS8_3ELb0ES6_jNS0_17counting_iteratorIjlEEPS9_SE_NS0_5tupleIJPjSE_EEENSF_IJSE_SE_EEES9_SG_JZNS1_25segmented_radix_sort_implINS0_14default_configELb1EPKbPbPKlPlN2at6native12_GLOBAL__N_18offset_tEEE10hipError_tPvRmT1_PNSt15iterator_traitsISY_E10value_typeET2_T3_PNSZ_IS14_E10value_typeET4_jRbjT5_S1A_jjP12ihipStream_tbEUljE_EEESV_SW_SX_S14_S18_S1A_T6_T7_T9_mT8_S1C_bDpT10_ENKUlT_T0_E_clISt17integral_constantIbLb1EES1P_EEDaS1K_S1L_EUlS1K_E_NS1_11comp_targetILNS1_3genE2ELNS1_11target_archE906ELNS1_3gpuE6ELNS1_3repE0EEENS1_30default_config_static_selectorELNS0_4arch9wavefront6targetE0EEEvSY_.has_recursion, 0
	.set _ZN7rocprim17ROCPRIM_400000_NS6detail17trampoline_kernelINS0_13select_configILj256ELj13ELNS0_17block_load_methodE3ELS4_3ELS4_3ELNS0_20block_scan_algorithmE0ELj4294967295EEENS1_25partition_config_selectorILNS1_17partition_subalgoE3EjNS0_10empty_typeEbEEZZNS1_14partition_implILS8_3ELb0ES6_jNS0_17counting_iteratorIjlEEPS9_SE_NS0_5tupleIJPjSE_EEENSF_IJSE_SE_EEES9_SG_JZNS1_25segmented_radix_sort_implINS0_14default_configELb1EPKbPbPKlPlN2at6native12_GLOBAL__N_18offset_tEEE10hipError_tPvRmT1_PNSt15iterator_traitsISY_E10value_typeET2_T3_PNSZ_IS14_E10value_typeET4_jRbjT5_S1A_jjP12ihipStream_tbEUljE_EEESV_SW_SX_S14_S18_S1A_T6_T7_T9_mT8_S1C_bDpT10_ENKUlT_T0_E_clISt17integral_constantIbLb1EES1P_EEDaS1K_S1L_EUlS1K_E_NS1_11comp_targetILNS1_3genE2ELNS1_11target_archE906ELNS1_3gpuE6ELNS1_3repE0EEENS1_30default_config_static_selectorELNS0_4arch9wavefront6targetE0EEEvSY_.has_indirect_call, 0
	.section	.AMDGPU.csdata,"",@progbits
; Kernel info:
; codeLenInByte = 0
; TotalNumSgprs: 0
; NumVgprs: 0
; ScratchSize: 0
; MemoryBound: 0
; FloatMode: 240
; IeeeMode: 1
; LDSByteSize: 0 bytes/workgroup (compile time only)
; SGPRBlocks: 0
; VGPRBlocks: 0
; NumSGPRsForWavesPerEU: 1
; NumVGPRsForWavesPerEU: 1
; NamedBarCnt: 0
; Occupancy: 16
; WaveLimiterHint : 0
; COMPUTE_PGM_RSRC2:SCRATCH_EN: 0
; COMPUTE_PGM_RSRC2:USER_SGPR: 2
; COMPUTE_PGM_RSRC2:TRAP_HANDLER: 0
; COMPUTE_PGM_RSRC2:TGID_X_EN: 1
; COMPUTE_PGM_RSRC2:TGID_Y_EN: 0
; COMPUTE_PGM_RSRC2:TGID_Z_EN: 0
; COMPUTE_PGM_RSRC2:TIDIG_COMP_CNT: 0
	.section	.text._ZN7rocprim17ROCPRIM_400000_NS6detail17trampoline_kernelINS0_13select_configILj256ELj13ELNS0_17block_load_methodE3ELS4_3ELS4_3ELNS0_20block_scan_algorithmE0ELj4294967295EEENS1_25partition_config_selectorILNS1_17partition_subalgoE3EjNS0_10empty_typeEbEEZZNS1_14partition_implILS8_3ELb0ES6_jNS0_17counting_iteratorIjlEEPS9_SE_NS0_5tupleIJPjSE_EEENSF_IJSE_SE_EEES9_SG_JZNS1_25segmented_radix_sort_implINS0_14default_configELb1EPKbPbPKlPlN2at6native12_GLOBAL__N_18offset_tEEE10hipError_tPvRmT1_PNSt15iterator_traitsISY_E10value_typeET2_T3_PNSZ_IS14_E10value_typeET4_jRbjT5_S1A_jjP12ihipStream_tbEUljE_EEESV_SW_SX_S14_S18_S1A_T6_T7_T9_mT8_S1C_bDpT10_ENKUlT_T0_E_clISt17integral_constantIbLb1EES1P_EEDaS1K_S1L_EUlS1K_E_NS1_11comp_targetILNS1_3genE10ELNS1_11target_archE1200ELNS1_3gpuE4ELNS1_3repE0EEENS1_30default_config_static_selectorELNS0_4arch9wavefront6targetE0EEEvSY_,"axG",@progbits,_ZN7rocprim17ROCPRIM_400000_NS6detail17trampoline_kernelINS0_13select_configILj256ELj13ELNS0_17block_load_methodE3ELS4_3ELS4_3ELNS0_20block_scan_algorithmE0ELj4294967295EEENS1_25partition_config_selectorILNS1_17partition_subalgoE3EjNS0_10empty_typeEbEEZZNS1_14partition_implILS8_3ELb0ES6_jNS0_17counting_iteratorIjlEEPS9_SE_NS0_5tupleIJPjSE_EEENSF_IJSE_SE_EEES9_SG_JZNS1_25segmented_radix_sort_implINS0_14default_configELb1EPKbPbPKlPlN2at6native12_GLOBAL__N_18offset_tEEE10hipError_tPvRmT1_PNSt15iterator_traitsISY_E10value_typeET2_T3_PNSZ_IS14_E10value_typeET4_jRbjT5_S1A_jjP12ihipStream_tbEUljE_EEESV_SW_SX_S14_S18_S1A_T6_T7_T9_mT8_S1C_bDpT10_ENKUlT_T0_E_clISt17integral_constantIbLb1EES1P_EEDaS1K_S1L_EUlS1K_E_NS1_11comp_targetILNS1_3genE10ELNS1_11target_archE1200ELNS1_3gpuE4ELNS1_3repE0EEENS1_30default_config_static_selectorELNS0_4arch9wavefront6targetE0EEEvSY_,comdat
	.globl	_ZN7rocprim17ROCPRIM_400000_NS6detail17trampoline_kernelINS0_13select_configILj256ELj13ELNS0_17block_load_methodE3ELS4_3ELS4_3ELNS0_20block_scan_algorithmE0ELj4294967295EEENS1_25partition_config_selectorILNS1_17partition_subalgoE3EjNS0_10empty_typeEbEEZZNS1_14partition_implILS8_3ELb0ES6_jNS0_17counting_iteratorIjlEEPS9_SE_NS0_5tupleIJPjSE_EEENSF_IJSE_SE_EEES9_SG_JZNS1_25segmented_radix_sort_implINS0_14default_configELb1EPKbPbPKlPlN2at6native12_GLOBAL__N_18offset_tEEE10hipError_tPvRmT1_PNSt15iterator_traitsISY_E10value_typeET2_T3_PNSZ_IS14_E10value_typeET4_jRbjT5_S1A_jjP12ihipStream_tbEUljE_EEESV_SW_SX_S14_S18_S1A_T6_T7_T9_mT8_S1C_bDpT10_ENKUlT_T0_E_clISt17integral_constantIbLb1EES1P_EEDaS1K_S1L_EUlS1K_E_NS1_11comp_targetILNS1_3genE10ELNS1_11target_archE1200ELNS1_3gpuE4ELNS1_3repE0EEENS1_30default_config_static_selectorELNS0_4arch9wavefront6targetE0EEEvSY_ ; -- Begin function _ZN7rocprim17ROCPRIM_400000_NS6detail17trampoline_kernelINS0_13select_configILj256ELj13ELNS0_17block_load_methodE3ELS4_3ELS4_3ELNS0_20block_scan_algorithmE0ELj4294967295EEENS1_25partition_config_selectorILNS1_17partition_subalgoE3EjNS0_10empty_typeEbEEZZNS1_14partition_implILS8_3ELb0ES6_jNS0_17counting_iteratorIjlEEPS9_SE_NS0_5tupleIJPjSE_EEENSF_IJSE_SE_EEES9_SG_JZNS1_25segmented_radix_sort_implINS0_14default_configELb1EPKbPbPKlPlN2at6native12_GLOBAL__N_18offset_tEEE10hipError_tPvRmT1_PNSt15iterator_traitsISY_E10value_typeET2_T3_PNSZ_IS14_E10value_typeET4_jRbjT5_S1A_jjP12ihipStream_tbEUljE_EEESV_SW_SX_S14_S18_S1A_T6_T7_T9_mT8_S1C_bDpT10_ENKUlT_T0_E_clISt17integral_constantIbLb1EES1P_EEDaS1K_S1L_EUlS1K_E_NS1_11comp_targetILNS1_3genE10ELNS1_11target_archE1200ELNS1_3gpuE4ELNS1_3repE0EEENS1_30default_config_static_selectorELNS0_4arch9wavefront6targetE0EEEvSY_
	.p2align	8
	.type	_ZN7rocprim17ROCPRIM_400000_NS6detail17trampoline_kernelINS0_13select_configILj256ELj13ELNS0_17block_load_methodE3ELS4_3ELS4_3ELNS0_20block_scan_algorithmE0ELj4294967295EEENS1_25partition_config_selectorILNS1_17partition_subalgoE3EjNS0_10empty_typeEbEEZZNS1_14partition_implILS8_3ELb0ES6_jNS0_17counting_iteratorIjlEEPS9_SE_NS0_5tupleIJPjSE_EEENSF_IJSE_SE_EEES9_SG_JZNS1_25segmented_radix_sort_implINS0_14default_configELb1EPKbPbPKlPlN2at6native12_GLOBAL__N_18offset_tEEE10hipError_tPvRmT1_PNSt15iterator_traitsISY_E10value_typeET2_T3_PNSZ_IS14_E10value_typeET4_jRbjT5_S1A_jjP12ihipStream_tbEUljE_EEESV_SW_SX_S14_S18_S1A_T6_T7_T9_mT8_S1C_bDpT10_ENKUlT_T0_E_clISt17integral_constantIbLb1EES1P_EEDaS1K_S1L_EUlS1K_E_NS1_11comp_targetILNS1_3genE10ELNS1_11target_archE1200ELNS1_3gpuE4ELNS1_3repE0EEENS1_30default_config_static_selectorELNS0_4arch9wavefront6targetE0EEEvSY_,@function
_ZN7rocprim17ROCPRIM_400000_NS6detail17trampoline_kernelINS0_13select_configILj256ELj13ELNS0_17block_load_methodE3ELS4_3ELS4_3ELNS0_20block_scan_algorithmE0ELj4294967295EEENS1_25partition_config_selectorILNS1_17partition_subalgoE3EjNS0_10empty_typeEbEEZZNS1_14partition_implILS8_3ELb0ES6_jNS0_17counting_iteratorIjlEEPS9_SE_NS0_5tupleIJPjSE_EEENSF_IJSE_SE_EEES9_SG_JZNS1_25segmented_radix_sort_implINS0_14default_configELb1EPKbPbPKlPlN2at6native12_GLOBAL__N_18offset_tEEE10hipError_tPvRmT1_PNSt15iterator_traitsISY_E10value_typeET2_T3_PNSZ_IS14_E10value_typeET4_jRbjT5_S1A_jjP12ihipStream_tbEUljE_EEESV_SW_SX_S14_S18_S1A_T6_T7_T9_mT8_S1C_bDpT10_ENKUlT_T0_E_clISt17integral_constantIbLb1EES1P_EEDaS1K_S1L_EUlS1K_E_NS1_11comp_targetILNS1_3genE10ELNS1_11target_archE1200ELNS1_3gpuE4ELNS1_3repE0EEENS1_30default_config_static_selectorELNS0_4arch9wavefront6targetE0EEEvSY_: ; @_ZN7rocprim17ROCPRIM_400000_NS6detail17trampoline_kernelINS0_13select_configILj256ELj13ELNS0_17block_load_methodE3ELS4_3ELS4_3ELNS0_20block_scan_algorithmE0ELj4294967295EEENS1_25partition_config_selectorILNS1_17partition_subalgoE3EjNS0_10empty_typeEbEEZZNS1_14partition_implILS8_3ELb0ES6_jNS0_17counting_iteratorIjlEEPS9_SE_NS0_5tupleIJPjSE_EEENSF_IJSE_SE_EEES9_SG_JZNS1_25segmented_radix_sort_implINS0_14default_configELb1EPKbPbPKlPlN2at6native12_GLOBAL__N_18offset_tEEE10hipError_tPvRmT1_PNSt15iterator_traitsISY_E10value_typeET2_T3_PNSZ_IS14_E10value_typeET4_jRbjT5_S1A_jjP12ihipStream_tbEUljE_EEESV_SW_SX_S14_S18_S1A_T6_T7_T9_mT8_S1C_bDpT10_ENKUlT_T0_E_clISt17integral_constantIbLb1EES1P_EEDaS1K_S1L_EUlS1K_E_NS1_11comp_targetILNS1_3genE10ELNS1_11target_archE1200ELNS1_3gpuE4ELNS1_3repE0EEENS1_30default_config_static_selectorELNS0_4arch9wavefront6targetE0EEEvSY_
; %bb.0:
	.section	.rodata,"a",@progbits
	.p2align	6, 0x0
	.amdhsa_kernel _ZN7rocprim17ROCPRIM_400000_NS6detail17trampoline_kernelINS0_13select_configILj256ELj13ELNS0_17block_load_methodE3ELS4_3ELS4_3ELNS0_20block_scan_algorithmE0ELj4294967295EEENS1_25partition_config_selectorILNS1_17partition_subalgoE3EjNS0_10empty_typeEbEEZZNS1_14partition_implILS8_3ELb0ES6_jNS0_17counting_iteratorIjlEEPS9_SE_NS0_5tupleIJPjSE_EEENSF_IJSE_SE_EEES9_SG_JZNS1_25segmented_radix_sort_implINS0_14default_configELb1EPKbPbPKlPlN2at6native12_GLOBAL__N_18offset_tEEE10hipError_tPvRmT1_PNSt15iterator_traitsISY_E10value_typeET2_T3_PNSZ_IS14_E10value_typeET4_jRbjT5_S1A_jjP12ihipStream_tbEUljE_EEESV_SW_SX_S14_S18_S1A_T6_T7_T9_mT8_S1C_bDpT10_ENKUlT_T0_E_clISt17integral_constantIbLb1EES1P_EEDaS1K_S1L_EUlS1K_E_NS1_11comp_targetILNS1_3genE10ELNS1_11target_archE1200ELNS1_3gpuE4ELNS1_3repE0EEENS1_30default_config_static_selectorELNS0_4arch9wavefront6targetE0EEEvSY_
		.amdhsa_group_segment_fixed_size 0
		.amdhsa_private_segment_fixed_size 0
		.amdhsa_kernarg_size 152
		.amdhsa_user_sgpr_count 2
		.amdhsa_user_sgpr_dispatch_ptr 0
		.amdhsa_user_sgpr_queue_ptr 0
		.amdhsa_user_sgpr_kernarg_segment_ptr 1
		.amdhsa_user_sgpr_dispatch_id 0
		.amdhsa_user_sgpr_kernarg_preload_length 0
		.amdhsa_user_sgpr_kernarg_preload_offset 0
		.amdhsa_user_sgpr_private_segment_size 0
		.amdhsa_wavefront_size32 1
		.amdhsa_uses_dynamic_stack 0
		.amdhsa_enable_private_segment 0
		.amdhsa_system_sgpr_workgroup_id_x 1
		.amdhsa_system_sgpr_workgroup_id_y 0
		.amdhsa_system_sgpr_workgroup_id_z 0
		.amdhsa_system_sgpr_workgroup_info 0
		.amdhsa_system_vgpr_workitem_id 0
		.amdhsa_next_free_vgpr 1
		.amdhsa_next_free_sgpr 1
		.amdhsa_named_barrier_count 0
		.amdhsa_reserve_vcc 0
		.amdhsa_float_round_mode_32 0
		.amdhsa_float_round_mode_16_64 0
		.amdhsa_float_denorm_mode_32 3
		.amdhsa_float_denorm_mode_16_64 3
		.amdhsa_fp16_overflow 0
		.amdhsa_memory_ordered 1
		.amdhsa_forward_progress 1
		.amdhsa_inst_pref_size 0
		.amdhsa_round_robin_scheduling 0
		.amdhsa_exception_fp_ieee_invalid_op 0
		.amdhsa_exception_fp_denorm_src 0
		.amdhsa_exception_fp_ieee_div_zero 0
		.amdhsa_exception_fp_ieee_overflow 0
		.amdhsa_exception_fp_ieee_underflow 0
		.amdhsa_exception_fp_ieee_inexact 0
		.amdhsa_exception_int_div_zero 0
	.end_amdhsa_kernel
	.section	.text._ZN7rocprim17ROCPRIM_400000_NS6detail17trampoline_kernelINS0_13select_configILj256ELj13ELNS0_17block_load_methodE3ELS4_3ELS4_3ELNS0_20block_scan_algorithmE0ELj4294967295EEENS1_25partition_config_selectorILNS1_17partition_subalgoE3EjNS0_10empty_typeEbEEZZNS1_14partition_implILS8_3ELb0ES6_jNS0_17counting_iteratorIjlEEPS9_SE_NS0_5tupleIJPjSE_EEENSF_IJSE_SE_EEES9_SG_JZNS1_25segmented_radix_sort_implINS0_14default_configELb1EPKbPbPKlPlN2at6native12_GLOBAL__N_18offset_tEEE10hipError_tPvRmT1_PNSt15iterator_traitsISY_E10value_typeET2_T3_PNSZ_IS14_E10value_typeET4_jRbjT5_S1A_jjP12ihipStream_tbEUljE_EEESV_SW_SX_S14_S18_S1A_T6_T7_T9_mT8_S1C_bDpT10_ENKUlT_T0_E_clISt17integral_constantIbLb1EES1P_EEDaS1K_S1L_EUlS1K_E_NS1_11comp_targetILNS1_3genE10ELNS1_11target_archE1200ELNS1_3gpuE4ELNS1_3repE0EEENS1_30default_config_static_selectorELNS0_4arch9wavefront6targetE0EEEvSY_,"axG",@progbits,_ZN7rocprim17ROCPRIM_400000_NS6detail17trampoline_kernelINS0_13select_configILj256ELj13ELNS0_17block_load_methodE3ELS4_3ELS4_3ELNS0_20block_scan_algorithmE0ELj4294967295EEENS1_25partition_config_selectorILNS1_17partition_subalgoE3EjNS0_10empty_typeEbEEZZNS1_14partition_implILS8_3ELb0ES6_jNS0_17counting_iteratorIjlEEPS9_SE_NS0_5tupleIJPjSE_EEENSF_IJSE_SE_EEES9_SG_JZNS1_25segmented_radix_sort_implINS0_14default_configELb1EPKbPbPKlPlN2at6native12_GLOBAL__N_18offset_tEEE10hipError_tPvRmT1_PNSt15iterator_traitsISY_E10value_typeET2_T3_PNSZ_IS14_E10value_typeET4_jRbjT5_S1A_jjP12ihipStream_tbEUljE_EEESV_SW_SX_S14_S18_S1A_T6_T7_T9_mT8_S1C_bDpT10_ENKUlT_T0_E_clISt17integral_constantIbLb1EES1P_EEDaS1K_S1L_EUlS1K_E_NS1_11comp_targetILNS1_3genE10ELNS1_11target_archE1200ELNS1_3gpuE4ELNS1_3repE0EEENS1_30default_config_static_selectorELNS0_4arch9wavefront6targetE0EEEvSY_,comdat
.Lfunc_end1505:
	.size	_ZN7rocprim17ROCPRIM_400000_NS6detail17trampoline_kernelINS0_13select_configILj256ELj13ELNS0_17block_load_methodE3ELS4_3ELS4_3ELNS0_20block_scan_algorithmE0ELj4294967295EEENS1_25partition_config_selectorILNS1_17partition_subalgoE3EjNS0_10empty_typeEbEEZZNS1_14partition_implILS8_3ELb0ES6_jNS0_17counting_iteratorIjlEEPS9_SE_NS0_5tupleIJPjSE_EEENSF_IJSE_SE_EEES9_SG_JZNS1_25segmented_radix_sort_implINS0_14default_configELb1EPKbPbPKlPlN2at6native12_GLOBAL__N_18offset_tEEE10hipError_tPvRmT1_PNSt15iterator_traitsISY_E10value_typeET2_T3_PNSZ_IS14_E10value_typeET4_jRbjT5_S1A_jjP12ihipStream_tbEUljE_EEESV_SW_SX_S14_S18_S1A_T6_T7_T9_mT8_S1C_bDpT10_ENKUlT_T0_E_clISt17integral_constantIbLb1EES1P_EEDaS1K_S1L_EUlS1K_E_NS1_11comp_targetILNS1_3genE10ELNS1_11target_archE1200ELNS1_3gpuE4ELNS1_3repE0EEENS1_30default_config_static_selectorELNS0_4arch9wavefront6targetE0EEEvSY_, .Lfunc_end1505-_ZN7rocprim17ROCPRIM_400000_NS6detail17trampoline_kernelINS0_13select_configILj256ELj13ELNS0_17block_load_methodE3ELS4_3ELS4_3ELNS0_20block_scan_algorithmE0ELj4294967295EEENS1_25partition_config_selectorILNS1_17partition_subalgoE3EjNS0_10empty_typeEbEEZZNS1_14partition_implILS8_3ELb0ES6_jNS0_17counting_iteratorIjlEEPS9_SE_NS0_5tupleIJPjSE_EEENSF_IJSE_SE_EEES9_SG_JZNS1_25segmented_radix_sort_implINS0_14default_configELb1EPKbPbPKlPlN2at6native12_GLOBAL__N_18offset_tEEE10hipError_tPvRmT1_PNSt15iterator_traitsISY_E10value_typeET2_T3_PNSZ_IS14_E10value_typeET4_jRbjT5_S1A_jjP12ihipStream_tbEUljE_EEESV_SW_SX_S14_S18_S1A_T6_T7_T9_mT8_S1C_bDpT10_ENKUlT_T0_E_clISt17integral_constantIbLb1EES1P_EEDaS1K_S1L_EUlS1K_E_NS1_11comp_targetILNS1_3genE10ELNS1_11target_archE1200ELNS1_3gpuE4ELNS1_3repE0EEENS1_30default_config_static_selectorELNS0_4arch9wavefront6targetE0EEEvSY_
                                        ; -- End function
	.set _ZN7rocprim17ROCPRIM_400000_NS6detail17trampoline_kernelINS0_13select_configILj256ELj13ELNS0_17block_load_methodE3ELS4_3ELS4_3ELNS0_20block_scan_algorithmE0ELj4294967295EEENS1_25partition_config_selectorILNS1_17partition_subalgoE3EjNS0_10empty_typeEbEEZZNS1_14partition_implILS8_3ELb0ES6_jNS0_17counting_iteratorIjlEEPS9_SE_NS0_5tupleIJPjSE_EEENSF_IJSE_SE_EEES9_SG_JZNS1_25segmented_radix_sort_implINS0_14default_configELb1EPKbPbPKlPlN2at6native12_GLOBAL__N_18offset_tEEE10hipError_tPvRmT1_PNSt15iterator_traitsISY_E10value_typeET2_T3_PNSZ_IS14_E10value_typeET4_jRbjT5_S1A_jjP12ihipStream_tbEUljE_EEESV_SW_SX_S14_S18_S1A_T6_T7_T9_mT8_S1C_bDpT10_ENKUlT_T0_E_clISt17integral_constantIbLb1EES1P_EEDaS1K_S1L_EUlS1K_E_NS1_11comp_targetILNS1_3genE10ELNS1_11target_archE1200ELNS1_3gpuE4ELNS1_3repE0EEENS1_30default_config_static_selectorELNS0_4arch9wavefront6targetE0EEEvSY_.num_vgpr, 0
	.set _ZN7rocprim17ROCPRIM_400000_NS6detail17trampoline_kernelINS0_13select_configILj256ELj13ELNS0_17block_load_methodE3ELS4_3ELS4_3ELNS0_20block_scan_algorithmE0ELj4294967295EEENS1_25partition_config_selectorILNS1_17partition_subalgoE3EjNS0_10empty_typeEbEEZZNS1_14partition_implILS8_3ELb0ES6_jNS0_17counting_iteratorIjlEEPS9_SE_NS0_5tupleIJPjSE_EEENSF_IJSE_SE_EEES9_SG_JZNS1_25segmented_radix_sort_implINS0_14default_configELb1EPKbPbPKlPlN2at6native12_GLOBAL__N_18offset_tEEE10hipError_tPvRmT1_PNSt15iterator_traitsISY_E10value_typeET2_T3_PNSZ_IS14_E10value_typeET4_jRbjT5_S1A_jjP12ihipStream_tbEUljE_EEESV_SW_SX_S14_S18_S1A_T6_T7_T9_mT8_S1C_bDpT10_ENKUlT_T0_E_clISt17integral_constantIbLb1EES1P_EEDaS1K_S1L_EUlS1K_E_NS1_11comp_targetILNS1_3genE10ELNS1_11target_archE1200ELNS1_3gpuE4ELNS1_3repE0EEENS1_30default_config_static_selectorELNS0_4arch9wavefront6targetE0EEEvSY_.num_agpr, 0
	.set _ZN7rocprim17ROCPRIM_400000_NS6detail17trampoline_kernelINS0_13select_configILj256ELj13ELNS0_17block_load_methodE3ELS4_3ELS4_3ELNS0_20block_scan_algorithmE0ELj4294967295EEENS1_25partition_config_selectorILNS1_17partition_subalgoE3EjNS0_10empty_typeEbEEZZNS1_14partition_implILS8_3ELb0ES6_jNS0_17counting_iteratorIjlEEPS9_SE_NS0_5tupleIJPjSE_EEENSF_IJSE_SE_EEES9_SG_JZNS1_25segmented_radix_sort_implINS0_14default_configELb1EPKbPbPKlPlN2at6native12_GLOBAL__N_18offset_tEEE10hipError_tPvRmT1_PNSt15iterator_traitsISY_E10value_typeET2_T3_PNSZ_IS14_E10value_typeET4_jRbjT5_S1A_jjP12ihipStream_tbEUljE_EEESV_SW_SX_S14_S18_S1A_T6_T7_T9_mT8_S1C_bDpT10_ENKUlT_T0_E_clISt17integral_constantIbLb1EES1P_EEDaS1K_S1L_EUlS1K_E_NS1_11comp_targetILNS1_3genE10ELNS1_11target_archE1200ELNS1_3gpuE4ELNS1_3repE0EEENS1_30default_config_static_selectorELNS0_4arch9wavefront6targetE0EEEvSY_.numbered_sgpr, 0
	.set _ZN7rocprim17ROCPRIM_400000_NS6detail17trampoline_kernelINS0_13select_configILj256ELj13ELNS0_17block_load_methodE3ELS4_3ELS4_3ELNS0_20block_scan_algorithmE0ELj4294967295EEENS1_25partition_config_selectorILNS1_17partition_subalgoE3EjNS0_10empty_typeEbEEZZNS1_14partition_implILS8_3ELb0ES6_jNS0_17counting_iteratorIjlEEPS9_SE_NS0_5tupleIJPjSE_EEENSF_IJSE_SE_EEES9_SG_JZNS1_25segmented_radix_sort_implINS0_14default_configELb1EPKbPbPKlPlN2at6native12_GLOBAL__N_18offset_tEEE10hipError_tPvRmT1_PNSt15iterator_traitsISY_E10value_typeET2_T3_PNSZ_IS14_E10value_typeET4_jRbjT5_S1A_jjP12ihipStream_tbEUljE_EEESV_SW_SX_S14_S18_S1A_T6_T7_T9_mT8_S1C_bDpT10_ENKUlT_T0_E_clISt17integral_constantIbLb1EES1P_EEDaS1K_S1L_EUlS1K_E_NS1_11comp_targetILNS1_3genE10ELNS1_11target_archE1200ELNS1_3gpuE4ELNS1_3repE0EEENS1_30default_config_static_selectorELNS0_4arch9wavefront6targetE0EEEvSY_.num_named_barrier, 0
	.set _ZN7rocprim17ROCPRIM_400000_NS6detail17trampoline_kernelINS0_13select_configILj256ELj13ELNS0_17block_load_methodE3ELS4_3ELS4_3ELNS0_20block_scan_algorithmE0ELj4294967295EEENS1_25partition_config_selectorILNS1_17partition_subalgoE3EjNS0_10empty_typeEbEEZZNS1_14partition_implILS8_3ELb0ES6_jNS0_17counting_iteratorIjlEEPS9_SE_NS0_5tupleIJPjSE_EEENSF_IJSE_SE_EEES9_SG_JZNS1_25segmented_radix_sort_implINS0_14default_configELb1EPKbPbPKlPlN2at6native12_GLOBAL__N_18offset_tEEE10hipError_tPvRmT1_PNSt15iterator_traitsISY_E10value_typeET2_T3_PNSZ_IS14_E10value_typeET4_jRbjT5_S1A_jjP12ihipStream_tbEUljE_EEESV_SW_SX_S14_S18_S1A_T6_T7_T9_mT8_S1C_bDpT10_ENKUlT_T0_E_clISt17integral_constantIbLb1EES1P_EEDaS1K_S1L_EUlS1K_E_NS1_11comp_targetILNS1_3genE10ELNS1_11target_archE1200ELNS1_3gpuE4ELNS1_3repE0EEENS1_30default_config_static_selectorELNS0_4arch9wavefront6targetE0EEEvSY_.private_seg_size, 0
	.set _ZN7rocprim17ROCPRIM_400000_NS6detail17trampoline_kernelINS0_13select_configILj256ELj13ELNS0_17block_load_methodE3ELS4_3ELS4_3ELNS0_20block_scan_algorithmE0ELj4294967295EEENS1_25partition_config_selectorILNS1_17partition_subalgoE3EjNS0_10empty_typeEbEEZZNS1_14partition_implILS8_3ELb0ES6_jNS0_17counting_iteratorIjlEEPS9_SE_NS0_5tupleIJPjSE_EEENSF_IJSE_SE_EEES9_SG_JZNS1_25segmented_radix_sort_implINS0_14default_configELb1EPKbPbPKlPlN2at6native12_GLOBAL__N_18offset_tEEE10hipError_tPvRmT1_PNSt15iterator_traitsISY_E10value_typeET2_T3_PNSZ_IS14_E10value_typeET4_jRbjT5_S1A_jjP12ihipStream_tbEUljE_EEESV_SW_SX_S14_S18_S1A_T6_T7_T9_mT8_S1C_bDpT10_ENKUlT_T0_E_clISt17integral_constantIbLb1EES1P_EEDaS1K_S1L_EUlS1K_E_NS1_11comp_targetILNS1_3genE10ELNS1_11target_archE1200ELNS1_3gpuE4ELNS1_3repE0EEENS1_30default_config_static_selectorELNS0_4arch9wavefront6targetE0EEEvSY_.uses_vcc, 0
	.set _ZN7rocprim17ROCPRIM_400000_NS6detail17trampoline_kernelINS0_13select_configILj256ELj13ELNS0_17block_load_methodE3ELS4_3ELS4_3ELNS0_20block_scan_algorithmE0ELj4294967295EEENS1_25partition_config_selectorILNS1_17partition_subalgoE3EjNS0_10empty_typeEbEEZZNS1_14partition_implILS8_3ELb0ES6_jNS0_17counting_iteratorIjlEEPS9_SE_NS0_5tupleIJPjSE_EEENSF_IJSE_SE_EEES9_SG_JZNS1_25segmented_radix_sort_implINS0_14default_configELb1EPKbPbPKlPlN2at6native12_GLOBAL__N_18offset_tEEE10hipError_tPvRmT1_PNSt15iterator_traitsISY_E10value_typeET2_T3_PNSZ_IS14_E10value_typeET4_jRbjT5_S1A_jjP12ihipStream_tbEUljE_EEESV_SW_SX_S14_S18_S1A_T6_T7_T9_mT8_S1C_bDpT10_ENKUlT_T0_E_clISt17integral_constantIbLb1EES1P_EEDaS1K_S1L_EUlS1K_E_NS1_11comp_targetILNS1_3genE10ELNS1_11target_archE1200ELNS1_3gpuE4ELNS1_3repE0EEENS1_30default_config_static_selectorELNS0_4arch9wavefront6targetE0EEEvSY_.uses_flat_scratch, 0
	.set _ZN7rocprim17ROCPRIM_400000_NS6detail17trampoline_kernelINS0_13select_configILj256ELj13ELNS0_17block_load_methodE3ELS4_3ELS4_3ELNS0_20block_scan_algorithmE0ELj4294967295EEENS1_25partition_config_selectorILNS1_17partition_subalgoE3EjNS0_10empty_typeEbEEZZNS1_14partition_implILS8_3ELb0ES6_jNS0_17counting_iteratorIjlEEPS9_SE_NS0_5tupleIJPjSE_EEENSF_IJSE_SE_EEES9_SG_JZNS1_25segmented_radix_sort_implINS0_14default_configELb1EPKbPbPKlPlN2at6native12_GLOBAL__N_18offset_tEEE10hipError_tPvRmT1_PNSt15iterator_traitsISY_E10value_typeET2_T3_PNSZ_IS14_E10value_typeET4_jRbjT5_S1A_jjP12ihipStream_tbEUljE_EEESV_SW_SX_S14_S18_S1A_T6_T7_T9_mT8_S1C_bDpT10_ENKUlT_T0_E_clISt17integral_constantIbLb1EES1P_EEDaS1K_S1L_EUlS1K_E_NS1_11comp_targetILNS1_3genE10ELNS1_11target_archE1200ELNS1_3gpuE4ELNS1_3repE0EEENS1_30default_config_static_selectorELNS0_4arch9wavefront6targetE0EEEvSY_.has_dyn_sized_stack, 0
	.set _ZN7rocprim17ROCPRIM_400000_NS6detail17trampoline_kernelINS0_13select_configILj256ELj13ELNS0_17block_load_methodE3ELS4_3ELS4_3ELNS0_20block_scan_algorithmE0ELj4294967295EEENS1_25partition_config_selectorILNS1_17partition_subalgoE3EjNS0_10empty_typeEbEEZZNS1_14partition_implILS8_3ELb0ES6_jNS0_17counting_iteratorIjlEEPS9_SE_NS0_5tupleIJPjSE_EEENSF_IJSE_SE_EEES9_SG_JZNS1_25segmented_radix_sort_implINS0_14default_configELb1EPKbPbPKlPlN2at6native12_GLOBAL__N_18offset_tEEE10hipError_tPvRmT1_PNSt15iterator_traitsISY_E10value_typeET2_T3_PNSZ_IS14_E10value_typeET4_jRbjT5_S1A_jjP12ihipStream_tbEUljE_EEESV_SW_SX_S14_S18_S1A_T6_T7_T9_mT8_S1C_bDpT10_ENKUlT_T0_E_clISt17integral_constantIbLb1EES1P_EEDaS1K_S1L_EUlS1K_E_NS1_11comp_targetILNS1_3genE10ELNS1_11target_archE1200ELNS1_3gpuE4ELNS1_3repE0EEENS1_30default_config_static_selectorELNS0_4arch9wavefront6targetE0EEEvSY_.has_recursion, 0
	.set _ZN7rocprim17ROCPRIM_400000_NS6detail17trampoline_kernelINS0_13select_configILj256ELj13ELNS0_17block_load_methodE3ELS4_3ELS4_3ELNS0_20block_scan_algorithmE0ELj4294967295EEENS1_25partition_config_selectorILNS1_17partition_subalgoE3EjNS0_10empty_typeEbEEZZNS1_14partition_implILS8_3ELb0ES6_jNS0_17counting_iteratorIjlEEPS9_SE_NS0_5tupleIJPjSE_EEENSF_IJSE_SE_EEES9_SG_JZNS1_25segmented_radix_sort_implINS0_14default_configELb1EPKbPbPKlPlN2at6native12_GLOBAL__N_18offset_tEEE10hipError_tPvRmT1_PNSt15iterator_traitsISY_E10value_typeET2_T3_PNSZ_IS14_E10value_typeET4_jRbjT5_S1A_jjP12ihipStream_tbEUljE_EEESV_SW_SX_S14_S18_S1A_T6_T7_T9_mT8_S1C_bDpT10_ENKUlT_T0_E_clISt17integral_constantIbLb1EES1P_EEDaS1K_S1L_EUlS1K_E_NS1_11comp_targetILNS1_3genE10ELNS1_11target_archE1200ELNS1_3gpuE4ELNS1_3repE0EEENS1_30default_config_static_selectorELNS0_4arch9wavefront6targetE0EEEvSY_.has_indirect_call, 0
	.section	.AMDGPU.csdata,"",@progbits
; Kernel info:
; codeLenInByte = 0
; TotalNumSgprs: 0
; NumVgprs: 0
; ScratchSize: 0
; MemoryBound: 0
; FloatMode: 240
; IeeeMode: 1
; LDSByteSize: 0 bytes/workgroup (compile time only)
; SGPRBlocks: 0
; VGPRBlocks: 0
; NumSGPRsForWavesPerEU: 1
; NumVGPRsForWavesPerEU: 1
; NamedBarCnt: 0
; Occupancy: 16
; WaveLimiterHint : 0
; COMPUTE_PGM_RSRC2:SCRATCH_EN: 0
; COMPUTE_PGM_RSRC2:USER_SGPR: 2
; COMPUTE_PGM_RSRC2:TRAP_HANDLER: 0
; COMPUTE_PGM_RSRC2:TGID_X_EN: 1
; COMPUTE_PGM_RSRC2:TGID_Y_EN: 0
; COMPUTE_PGM_RSRC2:TGID_Z_EN: 0
; COMPUTE_PGM_RSRC2:TIDIG_COMP_CNT: 0
	.section	.text._ZN7rocprim17ROCPRIM_400000_NS6detail17trampoline_kernelINS0_13select_configILj256ELj13ELNS0_17block_load_methodE3ELS4_3ELS4_3ELNS0_20block_scan_algorithmE0ELj4294967295EEENS1_25partition_config_selectorILNS1_17partition_subalgoE3EjNS0_10empty_typeEbEEZZNS1_14partition_implILS8_3ELb0ES6_jNS0_17counting_iteratorIjlEEPS9_SE_NS0_5tupleIJPjSE_EEENSF_IJSE_SE_EEES9_SG_JZNS1_25segmented_radix_sort_implINS0_14default_configELb1EPKbPbPKlPlN2at6native12_GLOBAL__N_18offset_tEEE10hipError_tPvRmT1_PNSt15iterator_traitsISY_E10value_typeET2_T3_PNSZ_IS14_E10value_typeET4_jRbjT5_S1A_jjP12ihipStream_tbEUljE_EEESV_SW_SX_S14_S18_S1A_T6_T7_T9_mT8_S1C_bDpT10_ENKUlT_T0_E_clISt17integral_constantIbLb1EES1P_EEDaS1K_S1L_EUlS1K_E_NS1_11comp_targetILNS1_3genE9ELNS1_11target_archE1100ELNS1_3gpuE3ELNS1_3repE0EEENS1_30default_config_static_selectorELNS0_4arch9wavefront6targetE0EEEvSY_,"axG",@progbits,_ZN7rocprim17ROCPRIM_400000_NS6detail17trampoline_kernelINS0_13select_configILj256ELj13ELNS0_17block_load_methodE3ELS4_3ELS4_3ELNS0_20block_scan_algorithmE0ELj4294967295EEENS1_25partition_config_selectorILNS1_17partition_subalgoE3EjNS0_10empty_typeEbEEZZNS1_14partition_implILS8_3ELb0ES6_jNS0_17counting_iteratorIjlEEPS9_SE_NS0_5tupleIJPjSE_EEENSF_IJSE_SE_EEES9_SG_JZNS1_25segmented_radix_sort_implINS0_14default_configELb1EPKbPbPKlPlN2at6native12_GLOBAL__N_18offset_tEEE10hipError_tPvRmT1_PNSt15iterator_traitsISY_E10value_typeET2_T3_PNSZ_IS14_E10value_typeET4_jRbjT5_S1A_jjP12ihipStream_tbEUljE_EEESV_SW_SX_S14_S18_S1A_T6_T7_T9_mT8_S1C_bDpT10_ENKUlT_T0_E_clISt17integral_constantIbLb1EES1P_EEDaS1K_S1L_EUlS1K_E_NS1_11comp_targetILNS1_3genE9ELNS1_11target_archE1100ELNS1_3gpuE3ELNS1_3repE0EEENS1_30default_config_static_selectorELNS0_4arch9wavefront6targetE0EEEvSY_,comdat
	.globl	_ZN7rocprim17ROCPRIM_400000_NS6detail17trampoline_kernelINS0_13select_configILj256ELj13ELNS0_17block_load_methodE3ELS4_3ELS4_3ELNS0_20block_scan_algorithmE0ELj4294967295EEENS1_25partition_config_selectorILNS1_17partition_subalgoE3EjNS0_10empty_typeEbEEZZNS1_14partition_implILS8_3ELb0ES6_jNS0_17counting_iteratorIjlEEPS9_SE_NS0_5tupleIJPjSE_EEENSF_IJSE_SE_EEES9_SG_JZNS1_25segmented_radix_sort_implINS0_14default_configELb1EPKbPbPKlPlN2at6native12_GLOBAL__N_18offset_tEEE10hipError_tPvRmT1_PNSt15iterator_traitsISY_E10value_typeET2_T3_PNSZ_IS14_E10value_typeET4_jRbjT5_S1A_jjP12ihipStream_tbEUljE_EEESV_SW_SX_S14_S18_S1A_T6_T7_T9_mT8_S1C_bDpT10_ENKUlT_T0_E_clISt17integral_constantIbLb1EES1P_EEDaS1K_S1L_EUlS1K_E_NS1_11comp_targetILNS1_3genE9ELNS1_11target_archE1100ELNS1_3gpuE3ELNS1_3repE0EEENS1_30default_config_static_selectorELNS0_4arch9wavefront6targetE0EEEvSY_ ; -- Begin function _ZN7rocprim17ROCPRIM_400000_NS6detail17trampoline_kernelINS0_13select_configILj256ELj13ELNS0_17block_load_methodE3ELS4_3ELS4_3ELNS0_20block_scan_algorithmE0ELj4294967295EEENS1_25partition_config_selectorILNS1_17partition_subalgoE3EjNS0_10empty_typeEbEEZZNS1_14partition_implILS8_3ELb0ES6_jNS0_17counting_iteratorIjlEEPS9_SE_NS0_5tupleIJPjSE_EEENSF_IJSE_SE_EEES9_SG_JZNS1_25segmented_radix_sort_implINS0_14default_configELb1EPKbPbPKlPlN2at6native12_GLOBAL__N_18offset_tEEE10hipError_tPvRmT1_PNSt15iterator_traitsISY_E10value_typeET2_T3_PNSZ_IS14_E10value_typeET4_jRbjT5_S1A_jjP12ihipStream_tbEUljE_EEESV_SW_SX_S14_S18_S1A_T6_T7_T9_mT8_S1C_bDpT10_ENKUlT_T0_E_clISt17integral_constantIbLb1EES1P_EEDaS1K_S1L_EUlS1K_E_NS1_11comp_targetILNS1_3genE9ELNS1_11target_archE1100ELNS1_3gpuE3ELNS1_3repE0EEENS1_30default_config_static_selectorELNS0_4arch9wavefront6targetE0EEEvSY_
	.p2align	8
	.type	_ZN7rocprim17ROCPRIM_400000_NS6detail17trampoline_kernelINS0_13select_configILj256ELj13ELNS0_17block_load_methodE3ELS4_3ELS4_3ELNS0_20block_scan_algorithmE0ELj4294967295EEENS1_25partition_config_selectorILNS1_17partition_subalgoE3EjNS0_10empty_typeEbEEZZNS1_14partition_implILS8_3ELb0ES6_jNS0_17counting_iteratorIjlEEPS9_SE_NS0_5tupleIJPjSE_EEENSF_IJSE_SE_EEES9_SG_JZNS1_25segmented_radix_sort_implINS0_14default_configELb1EPKbPbPKlPlN2at6native12_GLOBAL__N_18offset_tEEE10hipError_tPvRmT1_PNSt15iterator_traitsISY_E10value_typeET2_T3_PNSZ_IS14_E10value_typeET4_jRbjT5_S1A_jjP12ihipStream_tbEUljE_EEESV_SW_SX_S14_S18_S1A_T6_T7_T9_mT8_S1C_bDpT10_ENKUlT_T0_E_clISt17integral_constantIbLb1EES1P_EEDaS1K_S1L_EUlS1K_E_NS1_11comp_targetILNS1_3genE9ELNS1_11target_archE1100ELNS1_3gpuE3ELNS1_3repE0EEENS1_30default_config_static_selectorELNS0_4arch9wavefront6targetE0EEEvSY_,@function
_ZN7rocprim17ROCPRIM_400000_NS6detail17trampoline_kernelINS0_13select_configILj256ELj13ELNS0_17block_load_methodE3ELS4_3ELS4_3ELNS0_20block_scan_algorithmE0ELj4294967295EEENS1_25partition_config_selectorILNS1_17partition_subalgoE3EjNS0_10empty_typeEbEEZZNS1_14partition_implILS8_3ELb0ES6_jNS0_17counting_iteratorIjlEEPS9_SE_NS0_5tupleIJPjSE_EEENSF_IJSE_SE_EEES9_SG_JZNS1_25segmented_radix_sort_implINS0_14default_configELb1EPKbPbPKlPlN2at6native12_GLOBAL__N_18offset_tEEE10hipError_tPvRmT1_PNSt15iterator_traitsISY_E10value_typeET2_T3_PNSZ_IS14_E10value_typeET4_jRbjT5_S1A_jjP12ihipStream_tbEUljE_EEESV_SW_SX_S14_S18_S1A_T6_T7_T9_mT8_S1C_bDpT10_ENKUlT_T0_E_clISt17integral_constantIbLb1EES1P_EEDaS1K_S1L_EUlS1K_E_NS1_11comp_targetILNS1_3genE9ELNS1_11target_archE1100ELNS1_3gpuE3ELNS1_3repE0EEENS1_30default_config_static_selectorELNS0_4arch9wavefront6targetE0EEEvSY_: ; @_ZN7rocprim17ROCPRIM_400000_NS6detail17trampoline_kernelINS0_13select_configILj256ELj13ELNS0_17block_load_methodE3ELS4_3ELS4_3ELNS0_20block_scan_algorithmE0ELj4294967295EEENS1_25partition_config_selectorILNS1_17partition_subalgoE3EjNS0_10empty_typeEbEEZZNS1_14partition_implILS8_3ELb0ES6_jNS0_17counting_iteratorIjlEEPS9_SE_NS0_5tupleIJPjSE_EEENSF_IJSE_SE_EEES9_SG_JZNS1_25segmented_radix_sort_implINS0_14default_configELb1EPKbPbPKlPlN2at6native12_GLOBAL__N_18offset_tEEE10hipError_tPvRmT1_PNSt15iterator_traitsISY_E10value_typeET2_T3_PNSZ_IS14_E10value_typeET4_jRbjT5_S1A_jjP12ihipStream_tbEUljE_EEESV_SW_SX_S14_S18_S1A_T6_T7_T9_mT8_S1C_bDpT10_ENKUlT_T0_E_clISt17integral_constantIbLb1EES1P_EEDaS1K_S1L_EUlS1K_E_NS1_11comp_targetILNS1_3genE9ELNS1_11target_archE1100ELNS1_3gpuE3ELNS1_3repE0EEENS1_30default_config_static_selectorELNS0_4arch9wavefront6targetE0EEEvSY_
; %bb.0:
	.section	.rodata,"a",@progbits
	.p2align	6, 0x0
	.amdhsa_kernel _ZN7rocprim17ROCPRIM_400000_NS6detail17trampoline_kernelINS0_13select_configILj256ELj13ELNS0_17block_load_methodE3ELS4_3ELS4_3ELNS0_20block_scan_algorithmE0ELj4294967295EEENS1_25partition_config_selectorILNS1_17partition_subalgoE3EjNS0_10empty_typeEbEEZZNS1_14partition_implILS8_3ELb0ES6_jNS0_17counting_iteratorIjlEEPS9_SE_NS0_5tupleIJPjSE_EEENSF_IJSE_SE_EEES9_SG_JZNS1_25segmented_radix_sort_implINS0_14default_configELb1EPKbPbPKlPlN2at6native12_GLOBAL__N_18offset_tEEE10hipError_tPvRmT1_PNSt15iterator_traitsISY_E10value_typeET2_T3_PNSZ_IS14_E10value_typeET4_jRbjT5_S1A_jjP12ihipStream_tbEUljE_EEESV_SW_SX_S14_S18_S1A_T6_T7_T9_mT8_S1C_bDpT10_ENKUlT_T0_E_clISt17integral_constantIbLb1EES1P_EEDaS1K_S1L_EUlS1K_E_NS1_11comp_targetILNS1_3genE9ELNS1_11target_archE1100ELNS1_3gpuE3ELNS1_3repE0EEENS1_30default_config_static_selectorELNS0_4arch9wavefront6targetE0EEEvSY_
		.amdhsa_group_segment_fixed_size 0
		.amdhsa_private_segment_fixed_size 0
		.amdhsa_kernarg_size 152
		.amdhsa_user_sgpr_count 2
		.amdhsa_user_sgpr_dispatch_ptr 0
		.amdhsa_user_sgpr_queue_ptr 0
		.amdhsa_user_sgpr_kernarg_segment_ptr 1
		.amdhsa_user_sgpr_dispatch_id 0
		.amdhsa_user_sgpr_kernarg_preload_length 0
		.amdhsa_user_sgpr_kernarg_preload_offset 0
		.amdhsa_user_sgpr_private_segment_size 0
		.amdhsa_wavefront_size32 1
		.amdhsa_uses_dynamic_stack 0
		.amdhsa_enable_private_segment 0
		.amdhsa_system_sgpr_workgroup_id_x 1
		.amdhsa_system_sgpr_workgroup_id_y 0
		.amdhsa_system_sgpr_workgroup_id_z 0
		.amdhsa_system_sgpr_workgroup_info 0
		.amdhsa_system_vgpr_workitem_id 0
		.amdhsa_next_free_vgpr 1
		.amdhsa_next_free_sgpr 1
		.amdhsa_named_barrier_count 0
		.amdhsa_reserve_vcc 0
		.amdhsa_float_round_mode_32 0
		.amdhsa_float_round_mode_16_64 0
		.amdhsa_float_denorm_mode_32 3
		.amdhsa_float_denorm_mode_16_64 3
		.amdhsa_fp16_overflow 0
		.amdhsa_memory_ordered 1
		.amdhsa_forward_progress 1
		.amdhsa_inst_pref_size 0
		.amdhsa_round_robin_scheduling 0
		.amdhsa_exception_fp_ieee_invalid_op 0
		.amdhsa_exception_fp_denorm_src 0
		.amdhsa_exception_fp_ieee_div_zero 0
		.amdhsa_exception_fp_ieee_overflow 0
		.amdhsa_exception_fp_ieee_underflow 0
		.amdhsa_exception_fp_ieee_inexact 0
		.amdhsa_exception_int_div_zero 0
	.end_amdhsa_kernel
	.section	.text._ZN7rocprim17ROCPRIM_400000_NS6detail17trampoline_kernelINS0_13select_configILj256ELj13ELNS0_17block_load_methodE3ELS4_3ELS4_3ELNS0_20block_scan_algorithmE0ELj4294967295EEENS1_25partition_config_selectorILNS1_17partition_subalgoE3EjNS0_10empty_typeEbEEZZNS1_14partition_implILS8_3ELb0ES6_jNS0_17counting_iteratorIjlEEPS9_SE_NS0_5tupleIJPjSE_EEENSF_IJSE_SE_EEES9_SG_JZNS1_25segmented_radix_sort_implINS0_14default_configELb1EPKbPbPKlPlN2at6native12_GLOBAL__N_18offset_tEEE10hipError_tPvRmT1_PNSt15iterator_traitsISY_E10value_typeET2_T3_PNSZ_IS14_E10value_typeET4_jRbjT5_S1A_jjP12ihipStream_tbEUljE_EEESV_SW_SX_S14_S18_S1A_T6_T7_T9_mT8_S1C_bDpT10_ENKUlT_T0_E_clISt17integral_constantIbLb1EES1P_EEDaS1K_S1L_EUlS1K_E_NS1_11comp_targetILNS1_3genE9ELNS1_11target_archE1100ELNS1_3gpuE3ELNS1_3repE0EEENS1_30default_config_static_selectorELNS0_4arch9wavefront6targetE0EEEvSY_,"axG",@progbits,_ZN7rocprim17ROCPRIM_400000_NS6detail17trampoline_kernelINS0_13select_configILj256ELj13ELNS0_17block_load_methodE3ELS4_3ELS4_3ELNS0_20block_scan_algorithmE0ELj4294967295EEENS1_25partition_config_selectorILNS1_17partition_subalgoE3EjNS0_10empty_typeEbEEZZNS1_14partition_implILS8_3ELb0ES6_jNS0_17counting_iteratorIjlEEPS9_SE_NS0_5tupleIJPjSE_EEENSF_IJSE_SE_EEES9_SG_JZNS1_25segmented_radix_sort_implINS0_14default_configELb1EPKbPbPKlPlN2at6native12_GLOBAL__N_18offset_tEEE10hipError_tPvRmT1_PNSt15iterator_traitsISY_E10value_typeET2_T3_PNSZ_IS14_E10value_typeET4_jRbjT5_S1A_jjP12ihipStream_tbEUljE_EEESV_SW_SX_S14_S18_S1A_T6_T7_T9_mT8_S1C_bDpT10_ENKUlT_T0_E_clISt17integral_constantIbLb1EES1P_EEDaS1K_S1L_EUlS1K_E_NS1_11comp_targetILNS1_3genE9ELNS1_11target_archE1100ELNS1_3gpuE3ELNS1_3repE0EEENS1_30default_config_static_selectorELNS0_4arch9wavefront6targetE0EEEvSY_,comdat
.Lfunc_end1506:
	.size	_ZN7rocprim17ROCPRIM_400000_NS6detail17trampoline_kernelINS0_13select_configILj256ELj13ELNS0_17block_load_methodE3ELS4_3ELS4_3ELNS0_20block_scan_algorithmE0ELj4294967295EEENS1_25partition_config_selectorILNS1_17partition_subalgoE3EjNS0_10empty_typeEbEEZZNS1_14partition_implILS8_3ELb0ES6_jNS0_17counting_iteratorIjlEEPS9_SE_NS0_5tupleIJPjSE_EEENSF_IJSE_SE_EEES9_SG_JZNS1_25segmented_radix_sort_implINS0_14default_configELb1EPKbPbPKlPlN2at6native12_GLOBAL__N_18offset_tEEE10hipError_tPvRmT1_PNSt15iterator_traitsISY_E10value_typeET2_T3_PNSZ_IS14_E10value_typeET4_jRbjT5_S1A_jjP12ihipStream_tbEUljE_EEESV_SW_SX_S14_S18_S1A_T6_T7_T9_mT8_S1C_bDpT10_ENKUlT_T0_E_clISt17integral_constantIbLb1EES1P_EEDaS1K_S1L_EUlS1K_E_NS1_11comp_targetILNS1_3genE9ELNS1_11target_archE1100ELNS1_3gpuE3ELNS1_3repE0EEENS1_30default_config_static_selectorELNS0_4arch9wavefront6targetE0EEEvSY_, .Lfunc_end1506-_ZN7rocprim17ROCPRIM_400000_NS6detail17trampoline_kernelINS0_13select_configILj256ELj13ELNS0_17block_load_methodE3ELS4_3ELS4_3ELNS0_20block_scan_algorithmE0ELj4294967295EEENS1_25partition_config_selectorILNS1_17partition_subalgoE3EjNS0_10empty_typeEbEEZZNS1_14partition_implILS8_3ELb0ES6_jNS0_17counting_iteratorIjlEEPS9_SE_NS0_5tupleIJPjSE_EEENSF_IJSE_SE_EEES9_SG_JZNS1_25segmented_radix_sort_implINS0_14default_configELb1EPKbPbPKlPlN2at6native12_GLOBAL__N_18offset_tEEE10hipError_tPvRmT1_PNSt15iterator_traitsISY_E10value_typeET2_T3_PNSZ_IS14_E10value_typeET4_jRbjT5_S1A_jjP12ihipStream_tbEUljE_EEESV_SW_SX_S14_S18_S1A_T6_T7_T9_mT8_S1C_bDpT10_ENKUlT_T0_E_clISt17integral_constantIbLb1EES1P_EEDaS1K_S1L_EUlS1K_E_NS1_11comp_targetILNS1_3genE9ELNS1_11target_archE1100ELNS1_3gpuE3ELNS1_3repE0EEENS1_30default_config_static_selectorELNS0_4arch9wavefront6targetE0EEEvSY_
                                        ; -- End function
	.set _ZN7rocprim17ROCPRIM_400000_NS6detail17trampoline_kernelINS0_13select_configILj256ELj13ELNS0_17block_load_methodE3ELS4_3ELS4_3ELNS0_20block_scan_algorithmE0ELj4294967295EEENS1_25partition_config_selectorILNS1_17partition_subalgoE3EjNS0_10empty_typeEbEEZZNS1_14partition_implILS8_3ELb0ES6_jNS0_17counting_iteratorIjlEEPS9_SE_NS0_5tupleIJPjSE_EEENSF_IJSE_SE_EEES9_SG_JZNS1_25segmented_radix_sort_implINS0_14default_configELb1EPKbPbPKlPlN2at6native12_GLOBAL__N_18offset_tEEE10hipError_tPvRmT1_PNSt15iterator_traitsISY_E10value_typeET2_T3_PNSZ_IS14_E10value_typeET4_jRbjT5_S1A_jjP12ihipStream_tbEUljE_EEESV_SW_SX_S14_S18_S1A_T6_T7_T9_mT8_S1C_bDpT10_ENKUlT_T0_E_clISt17integral_constantIbLb1EES1P_EEDaS1K_S1L_EUlS1K_E_NS1_11comp_targetILNS1_3genE9ELNS1_11target_archE1100ELNS1_3gpuE3ELNS1_3repE0EEENS1_30default_config_static_selectorELNS0_4arch9wavefront6targetE0EEEvSY_.num_vgpr, 0
	.set _ZN7rocprim17ROCPRIM_400000_NS6detail17trampoline_kernelINS0_13select_configILj256ELj13ELNS0_17block_load_methodE3ELS4_3ELS4_3ELNS0_20block_scan_algorithmE0ELj4294967295EEENS1_25partition_config_selectorILNS1_17partition_subalgoE3EjNS0_10empty_typeEbEEZZNS1_14partition_implILS8_3ELb0ES6_jNS0_17counting_iteratorIjlEEPS9_SE_NS0_5tupleIJPjSE_EEENSF_IJSE_SE_EEES9_SG_JZNS1_25segmented_radix_sort_implINS0_14default_configELb1EPKbPbPKlPlN2at6native12_GLOBAL__N_18offset_tEEE10hipError_tPvRmT1_PNSt15iterator_traitsISY_E10value_typeET2_T3_PNSZ_IS14_E10value_typeET4_jRbjT5_S1A_jjP12ihipStream_tbEUljE_EEESV_SW_SX_S14_S18_S1A_T6_T7_T9_mT8_S1C_bDpT10_ENKUlT_T0_E_clISt17integral_constantIbLb1EES1P_EEDaS1K_S1L_EUlS1K_E_NS1_11comp_targetILNS1_3genE9ELNS1_11target_archE1100ELNS1_3gpuE3ELNS1_3repE0EEENS1_30default_config_static_selectorELNS0_4arch9wavefront6targetE0EEEvSY_.num_agpr, 0
	.set _ZN7rocprim17ROCPRIM_400000_NS6detail17trampoline_kernelINS0_13select_configILj256ELj13ELNS0_17block_load_methodE3ELS4_3ELS4_3ELNS0_20block_scan_algorithmE0ELj4294967295EEENS1_25partition_config_selectorILNS1_17partition_subalgoE3EjNS0_10empty_typeEbEEZZNS1_14partition_implILS8_3ELb0ES6_jNS0_17counting_iteratorIjlEEPS9_SE_NS0_5tupleIJPjSE_EEENSF_IJSE_SE_EEES9_SG_JZNS1_25segmented_radix_sort_implINS0_14default_configELb1EPKbPbPKlPlN2at6native12_GLOBAL__N_18offset_tEEE10hipError_tPvRmT1_PNSt15iterator_traitsISY_E10value_typeET2_T3_PNSZ_IS14_E10value_typeET4_jRbjT5_S1A_jjP12ihipStream_tbEUljE_EEESV_SW_SX_S14_S18_S1A_T6_T7_T9_mT8_S1C_bDpT10_ENKUlT_T0_E_clISt17integral_constantIbLb1EES1P_EEDaS1K_S1L_EUlS1K_E_NS1_11comp_targetILNS1_3genE9ELNS1_11target_archE1100ELNS1_3gpuE3ELNS1_3repE0EEENS1_30default_config_static_selectorELNS0_4arch9wavefront6targetE0EEEvSY_.numbered_sgpr, 0
	.set _ZN7rocprim17ROCPRIM_400000_NS6detail17trampoline_kernelINS0_13select_configILj256ELj13ELNS0_17block_load_methodE3ELS4_3ELS4_3ELNS0_20block_scan_algorithmE0ELj4294967295EEENS1_25partition_config_selectorILNS1_17partition_subalgoE3EjNS0_10empty_typeEbEEZZNS1_14partition_implILS8_3ELb0ES6_jNS0_17counting_iteratorIjlEEPS9_SE_NS0_5tupleIJPjSE_EEENSF_IJSE_SE_EEES9_SG_JZNS1_25segmented_radix_sort_implINS0_14default_configELb1EPKbPbPKlPlN2at6native12_GLOBAL__N_18offset_tEEE10hipError_tPvRmT1_PNSt15iterator_traitsISY_E10value_typeET2_T3_PNSZ_IS14_E10value_typeET4_jRbjT5_S1A_jjP12ihipStream_tbEUljE_EEESV_SW_SX_S14_S18_S1A_T6_T7_T9_mT8_S1C_bDpT10_ENKUlT_T0_E_clISt17integral_constantIbLb1EES1P_EEDaS1K_S1L_EUlS1K_E_NS1_11comp_targetILNS1_3genE9ELNS1_11target_archE1100ELNS1_3gpuE3ELNS1_3repE0EEENS1_30default_config_static_selectorELNS0_4arch9wavefront6targetE0EEEvSY_.num_named_barrier, 0
	.set _ZN7rocprim17ROCPRIM_400000_NS6detail17trampoline_kernelINS0_13select_configILj256ELj13ELNS0_17block_load_methodE3ELS4_3ELS4_3ELNS0_20block_scan_algorithmE0ELj4294967295EEENS1_25partition_config_selectorILNS1_17partition_subalgoE3EjNS0_10empty_typeEbEEZZNS1_14partition_implILS8_3ELb0ES6_jNS0_17counting_iteratorIjlEEPS9_SE_NS0_5tupleIJPjSE_EEENSF_IJSE_SE_EEES9_SG_JZNS1_25segmented_radix_sort_implINS0_14default_configELb1EPKbPbPKlPlN2at6native12_GLOBAL__N_18offset_tEEE10hipError_tPvRmT1_PNSt15iterator_traitsISY_E10value_typeET2_T3_PNSZ_IS14_E10value_typeET4_jRbjT5_S1A_jjP12ihipStream_tbEUljE_EEESV_SW_SX_S14_S18_S1A_T6_T7_T9_mT8_S1C_bDpT10_ENKUlT_T0_E_clISt17integral_constantIbLb1EES1P_EEDaS1K_S1L_EUlS1K_E_NS1_11comp_targetILNS1_3genE9ELNS1_11target_archE1100ELNS1_3gpuE3ELNS1_3repE0EEENS1_30default_config_static_selectorELNS0_4arch9wavefront6targetE0EEEvSY_.private_seg_size, 0
	.set _ZN7rocprim17ROCPRIM_400000_NS6detail17trampoline_kernelINS0_13select_configILj256ELj13ELNS0_17block_load_methodE3ELS4_3ELS4_3ELNS0_20block_scan_algorithmE0ELj4294967295EEENS1_25partition_config_selectorILNS1_17partition_subalgoE3EjNS0_10empty_typeEbEEZZNS1_14partition_implILS8_3ELb0ES6_jNS0_17counting_iteratorIjlEEPS9_SE_NS0_5tupleIJPjSE_EEENSF_IJSE_SE_EEES9_SG_JZNS1_25segmented_radix_sort_implINS0_14default_configELb1EPKbPbPKlPlN2at6native12_GLOBAL__N_18offset_tEEE10hipError_tPvRmT1_PNSt15iterator_traitsISY_E10value_typeET2_T3_PNSZ_IS14_E10value_typeET4_jRbjT5_S1A_jjP12ihipStream_tbEUljE_EEESV_SW_SX_S14_S18_S1A_T6_T7_T9_mT8_S1C_bDpT10_ENKUlT_T0_E_clISt17integral_constantIbLb1EES1P_EEDaS1K_S1L_EUlS1K_E_NS1_11comp_targetILNS1_3genE9ELNS1_11target_archE1100ELNS1_3gpuE3ELNS1_3repE0EEENS1_30default_config_static_selectorELNS0_4arch9wavefront6targetE0EEEvSY_.uses_vcc, 0
	.set _ZN7rocprim17ROCPRIM_400000_NS6detail17trampoline_kernelINS0_13select_configILj256ELj13ELNS0_17block_load_methodE3ELS4_3ELS4_3ELNS0_20block_scan_algorithmE0ELj4294967295EEENS1_25partition_config_selectorILNS1_17partition_subalgoE3EjNS0_10empty_typeEbEEZZNS1_14partition_implILS8_3ELb0ES6_jNS0_17counting_iteratorIjlEEPS9_SE_NS0_5tupleIJPjSE_EEENSF_IJSE_SE_EEES9_SG_JZNS1_25segmented_radix_sort_implINS0_14default_configELb1EPKbPbPKlPlN2at6native12_GLOBAL__N_18offset_tEEE10hipError_tPvRmT1_PNSt15iterator_traitsISY_E10value_typeET2_T3_PNSZ_IS14_E10value_typeET4_jRbjT5_S1A_jjP12ihipStream_tbEUljE_EEESV_SW_SX_S14_S18_S1A_T6_T7_T9_mT8_S1C_bDpT10_ENKUlT_T0_E_clISt17integral_constantIbLb1EES1P_EEDaS1K_S1L_EUlS1K_E_NS1_11comp_targetILNS1_3genE9ELNS1_11target_archE1100ELNS1_3gpuE3ELNS1_3repE0EEENS1_30default_config_static_selectorELNS0_4arch9wavefront6targetE0EEEvSY_.uses_flat_scratch, 0
	.set _ZN7rocprim17ROCPRIM_400000_NS6detail17trampoline_kernelINS0_13select_configILj256ELj13ELNS0_17block_load_methodE3ELS4_3ELS4_3ELNS0_20block_scan_algorithmE0ELj4294967295EEENS1_25partition_config_selectorILNS1_17partition_subalgoE3EjNS0_10empty_typeEbEEZZNS1_14partition_implILS8_3ELb0ES6_jNS0_17counting_iteratorIjlEEPS9_SE_NS0_5tupleIJPjSE_EEENSF_IJSE_SE_EEES9_SG_JZNS1_25segmented_radix_sort_implINS0_14default_configELb1EPKbPbPKlPlN2at6native12_GLOBAL__N_18offset_tEEE10hipError_tPvRmT1_PNSt15iterator_traitsISY_E10value_typeET2_T3_PNSZ_IS14_E10value_typeET4_jRbjT5_S1A_jjP12ihipStream_tbEUljE_EEESV_SW_SX_S14_S18_S1A_T6_T7_T9_mT8_S1C_bDpT10_ENKUlT_T0_E_clISt17integral_constantIbLb1EES1P_EEDaS1K_S1L_EUlS1K_E_NS1_11comp_targetILNS1_3genE9ELNS1_11target_archE1100ELNS1_3gpuE3ELNS1_3repE0EEENS1_30default_config_static_selectorELNS0_4arch9wavefront6targetE0EEEvSY_.has_dyn_sized_stack, 0
	.set _ZN7rocprim17ROCPRIM_400000_NS6detail17trampoline_kernelINS0_13select_configILj256ELj13ELNS0_17block_load_methodE3ELS4_3ELS4_3ELNS0_20block_scan_algorithmE0ELj4294967295EEENS1_25partition_config_selectorILNS1_17partition_subalgoE3EjNS0_10empty_typeEbEEZZNS1_14partition_implILS8_3ELb0ES6_jNS0_17counting_iteratorIjlEEPS9_SE_NS0_5tupleIJPjSE_EEENSF_IJSE_SE_EEES9_SG_JZNS1_25segmented_radix_sort_implINS0_14default_configELb1EPKbPbPKlPlN2at6native12_GLOBAL__N_18offset_tEEE10hipError_tPvRmT1_PNSt15iterator_traitsISY_E10value_typeET2_T3_PNSZ_IS14_E10value_typeET4_jRbjT5_S1A_jjP12ihipStream_tbEUljE_EEESV_SW_SX_S14_S18_S1A_T6_T7_T9_mT8_S1C_bDpT10_ENKUlT_T0_E_clISt17integral_constantIbLb1EES1P_EEDaS1K_S1L_EUlS1K_E_NS1_11comp_targetILNS1_3genE9ELNS1_11target_archE1100ELNS1_3gpuE3ELNS1_3repE0EEENS1_30default_config_static_selectorELNS0_4arch9wavefront6targetE0EEEvSY_.has_recursion, 0
	.set _ZN7rocprim17ROCPRIM_400000_NS6detail17trampoline_kernelINS0_13select_configILj256ELj13ELNS0_17block_load_methodE3ELS4_3ELS4_3ELNS0_20block_scan_algorithmE0ELj4294967295EEENS1_25partition_config_selectorILNS1_17partition_subalgoE3EjNS0_10empty_typeEbEEZZNS1_14partition_implILS8_3ELb0ES6_jNS0_17counting_iteratorIjlEEPS9_SE_NS0_5tupleIJPjSE_EEENSF_IJSE_SE_EEES9_SG_JZNS1_25segmented_radix_sort_implINS0_14default_configELb1EPKbPbPKlPlN2at6native12_GLOBAL__N_18offset_tEEE10hipError_tPvRmT1_PNSt15iterator_traitsISY_E10value_typeET2_T3_PNSZ_IS14_E10value_typeET4_jRbjT5_S1A_jjP12ihipStream_tbEUljE_EEESV_SW_SX_S14_S18_S1A_T6_T7_T9_mT8_S1C_bDpT10_ENKUlT_T0_E_clISt17integral_constantIbLb1EES1P_EEDaS1K_S1L_EUlS1K_E_NS1_11comp_targetILNS1_3genE9ELNS1_11target_archE1100ELNS1_3gpuE3ELNS1_3repE0EEENS1_30default_config_static_selectorELNS0_4arch9wavefront6targetE0EEEvSY_.has_indirect_call, 0
	.section	.AMDGPU.csdata,"",@progbits
; Kernel info:
; codeLenInByte = 0
; TotalNumSgprs: 0
; NumVgprs: 0
; ScratchSize: 0
; MemoryBound: 0
; FloatMode: 240
; IeeeMode: 1
; LDSByteSize: 0 bytes/workgroup (compile time only)
; SGPRBlocks: 0
; VGPRBlocks: 0
; NumSGPRsForWavesPerEU: 1
; NumVGPRsForWavesPerEU: 1
; NamedBarCnt: 0
; Occupancy: 16
; WaveLimiterHint : 0
; COMPUTE_PGM_RSRC2:SCRATCH_EN: 0
; COMPUTE_PGM_RSRC2:USER_SGPR: 2
; COMPUTE_PGM_RSRC2:TRAP_HANDLER: 0
; COMPUTE_PGM_RSRC2:TGID_X_EN: 1
; COMPUTE_PGM_RSRC2:TGID_Y_EN: 0
; COMPUTE_PGM_RSRC2:TGID_Z_EN: 0
; COMPUTE_PGM_RSRC2:TIDIG_COMP_CNT: 0
	.section	.text._ZN7rocprim17ROCPRIM_400000_NS6detail17trampoline_kernelINS0_13select_configILj256ELj13ELNS0_17block_load_methodE3ELS4_3ELS4_3ELNS0_20block_scan_algorithmE0ELj4294967295EEENS1_25partition_config_selectorILNS1_17partition_subalgoE3EjNS0_10empty_typeEbEEZZNS1_14partition_implILS8_3ELb0ES6_jNS0_17counting_iteratorIjlEEPS9_SE_NS0_5tupleIJPjSE_EEENSF_IJSE_SE_EEES9_SG_JZNS1_25segmented_radix_sort_implINS0_14default_configELb1EPKbPbPKlPlN2at6native12_GLOBAL__N_18offset_tEEE10hipError_tPvRmT1_PNSt15iterator_traitsISY_E10value_typeET2_T3_PNSZ_IS14_E10value_typeET4_jRbjT5_S1A_jjP12ihipStream_tbEUljE_EEESV_SW_SX_S14_S18_S1A_T6_T7_T9_mT8_S1C_bDpT10_ENKUlT_T0_E_clISt17integral_constantIbLb1EES1P_EEDaS1K_S1L_EUlS1K_E_NS1_11comp_targetILNS1_3genE8ELNS1_11target_archE1030ELNS1_3gpuE2ELNS1_3repE0EEENS1_30default_config_static_selectorELNS0_4arch9wavefront6targetE0EEEvSY_,"axG",@progbits,_ZN7rocprim17ROCPRIM_400000_NS6detail17trampoline_kernelINS0_13select_configILj256ELj13ELNS0_17block_load_methodE3ELS4_3ELS4_3ELNS0_20block_scan_algorithmE0ELj4294967295EEENS1_25partition_config_selectorILNS1_17partition_subalgoE3EjNS0_10empty_typeEbEEZZNS1_14partition_implILS8_3ELb0ES6_jNS0_17counting_iteratorIjlEEPS9_SE_NS0_5tupleIJPjSE_EEENSF_IJSE_SE_EEES9_SG_JZNS1_25segmented_radix_sort_implINS0_14default_configELb1EPKbPbPKlPlN2at6native12_GLOBAL__N_18offset_tEEE10hipError_tPvRmT1_PNSt15iterator_traitsISY_E10value_typeET2_T3_PNSZ_IS14_E10value_typeET4_jRbjT5_S1A_jjP12ihipStream_tbEUljE_EEESV_SW_SX_S14_S18_S1A_T6_T7_T9_mT8_S1C_bDpT10_ENKUlT_T0_E_clISt17integral_constantIbLb1EES1P_EEDaS1K_S1L_EUlS1K_E_NS1_11comp_targetILNS1_3genE8ELNS1_11target_archE1030ELNS1_3gpuE2ELNS1_3repE0EEENS1_30default_config_static_selectorELNS0_4arch9wavefront6targetE0EEEvSY_,comdat
	.globl	_ZN7rocprim17ROCPRIM_400000_NS6detail17trampoline_kernelINS0_13select_configILj256ELj13ELNS0_17block_load_methodE3ELS4_3ELS4_3ELNS0_20block_scan_algorithmE0ELj4294967295EEENS1_25partition_config_selectorILNS1_17partition_subalgoE3EjNS0_10empty_typeEbEEZZNS1_14partition_implILS8_3ELb0ES6_jNS0_17counting_iteratorIjlEEPS9_SE_NS0_5tupleIJPjSE_EEENSF_IJSE_SE_EEES9_SG_JZNS1_25segmented_radix_sort_implINS0_14default_configELb1EPKbPbPKlPlN2at6native12_GLOBAL__N_18offset_tEEE10hipError_tPvRmT1_PNSt15iterator_traitsISY_E10value_typeET2_T3_PNSZ_IS14_E10value_typeET4_jRbjT5_S1A_jjP12ihipStream_tbEUljE_EEESV_SW_SX_S14_S18_S1A_T6_T7_T9_mT8_S1C_bDpT10_ENKUlT_T0_E_clISt17integral_constantIbLb1EES1P_EEDaS1K_S1L_EUlS1K_E_NS1_11comp_targetILNS1_3genE8ELNS1_11target_archE1030ELNS1_3gpuE2ELNS1_3repE0EEENS1_30default_config_static_selectorELNS0_4arch9wavefront6targetE0EEEvSY_ ; -- Begin function _ZN7rocprim17ROCPRIM_400000_NS6detail17trampoline_kernelINS0_13select_configILj256ELj13ELNS0_17block_load_methodE3ELS4_3ELS4_3ELNS0_20block_scan_algorithmE0ELj4294967295EEENS1_25partition_config_selectorILNS1_17partition_subalgoE3EjNS0_10empty_typeEbEEZZNS1_14partition_implILS8_3ELb0ES6_jNS0_17counting_iteratorIjlEEPS9_SE_NS0_5tupleIJPjSE_EEENSF_IJSE_SE_EEES9_SG_JZNS1_25segmented_radix_sort_implINS0_14default_configELb1EPKbPbPKlPlN2at6native12_GLOBAL__N_18offset_tEEE10hipError_tPvRmT1_PNSt15iterator_traitsISY_E10value_typeET2_T3_PNSZ_IS14_E10value_typeET4_jRbjT5_S1A_jjP12ihipStream_tbEUljE_EEESV_SW_SX_S14_S18_S1A_T6_T7_T9_mT8_S1C_bDpT10_ENKUlT_T0_E_clISt17integral_constantIbLb1EES1P_EEDaS1K_S1L_EUlS1K_E_NS1_11comp_targetILNS1_3genE8ELNS1_11target_archE1030ELNS1_3gpuE2ELNS1_3repE0EEENS1_30default_config_static_selectorELNS0_4arch9wavefront6targetE0EEEvSY_
	.p2align	8
	.type	_ZN7rocprim17ROCPRIM_400000_NS6detail17trampoline_kernelINS0_13select_configILj256ELj13ELNS0_17block_load_methodE3ELS4_3ELS4_3ELNS0_20block_scan_algorithmE0ELj4294967295EEENS1_25partition_config_selectorILNS1_17partition_subalgoE3EjNS0_10empty_typeEbEEZZNS1_14partition_implILS8_3ELb0ES6_jNS0_17counting_iteratorIjlEEPS9_SE_NS0_5tupleIJPjSE_EEENSF_IJSE_SE_EEES9_SG_JZNS1_25segmented_radix_sort_implINS0_14default_configELb1EPKbPbPKlPlN2at6native12_GLOBAL__N_18offset_tEEE10hipError_tPvRmT1_PNSt15iterator_traitsISY_E10value_typeET2_T3_PNSZ_IS14_E10value_typeET4_jRbjT5_S1A_jjP12ihipStream_tbEUljE_EEESV_SW_SX_S14_S18_S1A_T6_T7_T9_mT8_S1C_bDpT10_ENKUlT_T0_E_clISt17integral_constantIbLb1EES1P_EEDaS1K_S1L_EUlS1K_E_NS1_11comp_targetILNS1_3genE8ELNS1_11target_archE1030ELNS1_3gpuE2ELNS1_3repE0EEENS1_30default_config_static_selectorELNS0_4arch9wavefront6targetE0EEEvSY_,@function
_ZN7rocprim17ROCPRIM_400000_NS6detail17trampoline_kernelINS0_13select_configILj256ELj13ELNS0_17block_load_methodE3ELS4_3ELS4_3ELNS0_20block_scan_algorithmE0ELj4294967295EEENS1_25partition_config_selectorILNS1_17partition_subalgoE3EjNS0_10empty_typeEbEEZZNS1_14partition_implILS8_3ELb0ES6_jNS0_17counting_iteratorIjlEEPS9_SE_NS0_5tupleIJPjSE_EEENSF_IJSE_SE_EEES9_SG_JZNS1_25segmented_radix_sort_implINS0_14default_configELb1EPKbPbPKlPlN2at6native12_GLOBAL__N_18offset_tEEE10hipError_tPvRmT1_PNSt15iterator_traitsISY_E10value_typeET2_T3_PNSZ_IS14_E10value_typeET4_jRbjT5_S1A_jjP12ihipStream_tbEUljE_EEESV_SW_SX_S14_S18_S1A_T6_T7_T9_mT8_S1C_bDpT10_ENKUlT_T0_E_clISt17integral_constantIbLb1EES1P_EEDaS1K_S1L_EUlS1K_E_NS1_11comp_targetILNS1_3genE8ELNS1_11target_archE1030ELNS1_3gpuE2ELNS1_3repE0EEENS1_30default_config_static_selectorELNS0_4arch9wavefront6targetE0EEEvSY_: ; @_ZN7rocprim17ROCPRIM_400000_NS6detail17trampoline_kernelINS0_13select_configILj256ELj13ELNS0_17block_load_methodE3ELS4_3ELS4_3ELNS0_20block_scan_algorithmE0ELj4294967295EEENS1_25partition_config_selectorILNS1_17partition_subalgoE3EjNS0_10empty_typeEbEEZZNS1_14partition_implILS8_3ELb0ES6_jNS0_17counting_iteratorIjlEEPS9_SE_NS0_5tupleIJPjSE_EEENSF_IJSE_SE_EEES9_SG_JZNS1_25segmented_radix_sort_implINS0_14default_configELb1EPKbPbPKlPlN2at6native12_GLOBAL__N_18offset_tEEE10hipError_tPvRmT1_PNSt15iterator_traitsISY_E10value_typeET2_T3_PNSZ_IS14_E10value_typeET4_jRbjT5_S1A_jjP12ihipStream_tbEUljE_EEESV_SW_SX_S14_S18_S1A_T6_T7_T9_mT8_S1C_bDpT10_ENKUlT_T0_E_clISt17integral_constantIbLb1EES1P_EEDaS1K_S1L_EUlS1K_E_NS1_11comp_targetILNS1_3genE8ELNS1_11target_archE1030ELNS1_3gpuE2ELNS1_3repE0EEENS1_30default_config_static_selectorELNS0_4arch9wavefront6targetE0EEEvSY_
; %bb.0:
	.section	.rodata,"a",@progbits
	.p2align	6, 0x0
	.amdhsa_kernel _ZN7rocprim17ROCPRIM_400000_NS6detail17trampoline_kernelINS0_13select_configILj256ELj13ELNS0_17block_load_methodE3ELS4_3ELS4_3ELNS0_20block_scan_algorithmE0ELj4294967295EEENS1_25partition_config_selectorILNS1_17partition_subalgoE3EjNS0_10empty_typeEbEEZZNS1_14partition_implILS8_3ELb0ES6_jNS0_17counting_iteratorIjlEEPS9_SE_NS0_5tupleIJPjSE_EEENSF_IJSE_SE_EEES9_SG_JZNS1_25segmented_radix_sort_implINS0_14default_configELb1EPKbPbPKlPlN2at6native12_GLOBAL__N_18offset_tEEE10hipError_tPvRmT1_PNSt15iterator_traitsISY_E10value_typeET2_T3_PNSZ_IS14_E10value_typeET4_jRbjT5_S1A_jjP12ihipStream_tbEUljE_EEESV_SW_SX_S14_S18_S1A_T6_T7_T9_mT8_S1C_bDpT10_ENKUlT_T0_E_clISt17integral_constantIbLb1EES1P_EEDaS1K_S1L_EUlS1K_E_NS1_11comp_targetILNS1_3genE8ELNS1_11target_archE1030ELNS1_3gpuE2ELNS1_3repE0EEENS1_30default_config_static_selectorELNS0_4arch9wavefront6targetE0EEEvSY_
		.amdhsa_group_segment_fixed_size 0
		.amdhsa_private_segment_fixed_size 0
		.amdhsa_kernarg_size 152
		.amdhsa_user_sgpr_count 2
		.amdhsa_user_sgpr_dispatch_ptr 0
		.amdhsa_user_sgpr_queue_ptr 0
		.amdhsa_user_sgpr_kernarg_segment_ptr 1
		.amdhsa_user_sgpr_dispatch_id 0
		.amdhsa_user_sgpr_kernarg_preload_length 0
		.amdhsa_user_sgpr_kernarg_preload_offset 0
		.amdhsa_user_sgpr_private_segment_size 0
		.amdhsa_wavefront_size32 1
		.amdhsa_uses_dynamic_stack 0
		.amdhsa_enable_private_segment 0
		.amdhsa_system_sgpr_workgroup_id_x 1
		.amdhsa_system_sgpr_workgroup_id_y 0
		.amdhsa_system_sgpr_workgroup_id_z 0
		.amdhsa_system_sgpr_workgroup_info 0
		.amdhsa_system_vgpr_workitem_id 0
		.amdhsa_next_free_vgpr 1
		.amdhsa_next_free_sgpr 1
		.amdhsa_named_barrier_count 0
		.amdhsa_reserve_vcc 0
		.amdhsa_float_round_mode_32 0
		.amdhsa_float_round_mode_16_64 0
		.amdhsa_float_denorm_mode_32 3
		.amdhsa_float_denorm_mode_16_64 3
		.amdhsa_fp16_overflow 0
		.amdhsa_memory_ordered 1
		.amdhsa_forward_progress 1
		.amdhsa_inst_pref_size 0
		.amdhsa_round_robin_scheduling 0
		.amdhsa_exception_fp_ieee_invalid_op 0
		.amdhsa_exception_fp_denorm_src 0
		.amdhsa_exception_fp_ieee_div_zero 0
		.amdhsa_exception_fp_ieee_overflow 0
		.amdhsa_exception_fp_ieee_underflow 0
		.amdhsa_exception_fp_ieee_inexact 0
		.amdhsa_exception_int_div_zero 0
	.end_amdhsa_kernel
	.section	.text._ZN7rocprim17ROCPRIM_400000_NS6detail17trampoline_kernelINS0_13select_configILj256ELj13ELNS0_17block_load_methodE3ELS4_3ELS4_3ELNS0_20block_scan_algorithmE0ELj4294967295EEENS1_25partition_config_selectorILNS1_17partition_subalgoE3EjNS0_10empty_typeEbEEZZNS1_14partition_implILS8_3ELb0ES6_jNS0_17counting_iteratorIjlEEPS9_SE_NS0_5tupleIJPjSE_EEENSF_IJSE_SE_EEES9_SG_JZNS1_25segmented_radix_sort_implINS0_14default_configELb1EPKbPbPKlPlN2at6native12_GLOBAL__N_18offset_tEEE10hipError_tPvRmT1_PNSt15iterator_traitsISY_E10value_typeET2_T3_PNSZ_IS14_E10value_typeET4_jRbjT5_S1A_jjP12ihipStream_tbEUljE_EEESV_SW_SX_S14_S18_S1A_T6_T7_T9_mT8_S1C_bDpT10_ENKUlT_T0_E_clISt17integral_constantIbLb1EES1P_EEDaS1K_S1L_EUlS1K_E_NS1_11comp_targetILNS1_3genE8ELNS1_11target_archE1030ELNS1_3gpuE2ELNS1_3repE0EEENS1_30default_config_static_selectorELNS0_4arch9wavefront6targetE0EEEvSY_,"axG",@progbits,_ZN7rocprim17ROCPRIM_400000_NS6detail17trampoline_kernelINS0_13select_configILj256ELj13ELNS0_17block_load_methodE3ELS4_3ELS4_3ELNS0_20block_scan_algorithmE0ELj4294967295EEENS1_25partition_config_selectorILNS1_17partition_subalgoE3EjNS0_10empty_typeEbEEZZNS1_14partition_implILS8_3ELb0ES6_jNS0_17counting_iteratorIjlEEPS9_SE_NS0_5tupleIJPjSE_EEENSF_IJSE_SE_EEES9_SG_JZNS1_25segmented_radix_sort_implINS0_14default_configELb1EPKbPbPKlPlN2at6native12_GLOBAL__N_18offset_tEEE10hipError_tPvRmT1_PNSt15iterator_traitsISY_E10value_typeET2_T3_PNSZ_IS14_E10value_typeET4_jRbjT5_S1A_jjP12ihipStream_tbEUljE_EEESV_SW_SX_S14_S18_S1A_T6_T7_T9_mT8_S1C_bDpT10_ENKUlT_T0_E_clISt17integral_constantIbLb1EES1P_EEDaS1K_S1L_EUlS1K_E_NS1_11comp_targetILNS1_3genE8ELNS1_11target_archE1030ELNS1_3gpuE2ELNS1_3repE0EEENS1_30default_config_static_selectorELNS0_4arch9wavefront6targetE0EEEvSY_,comdat
.Lfunc_end1507:
	.size	_ZN7rocprim17ROCPRIM_400000_NS6detail17trampoline_kernelINS0_13select_configILj256ELj13ELNS0_17block_load_methodE3ELS4_3ELS4_3ELNS0_20block_scan_algorithmE0ELj4294967295EEENS1_25partition_config_selectorILNS1_17partition_subalgoE3EjNS0_10empty_typeEbEEZZNS1_14partition_implILS8_3ELb0ES6_jNS0_17counting_iteratorIjlEEPS9_SE_NS0_5tupleIJPjSE_EEENSF_IJSE_SE_EEES9_SG_JZNS1_25segmented_radix_sort_implINS0_14default_configELb1EPKbPbPKlPlN2at6native12_GLOBAL__N_18offset_tEEE10hipError_tPvRmT1_PNSt15iterator_traitsISY_E10value_typeET2_T3_PNSZ_IS14_E10value_typeET4_jRbjT5_S1A_jjP12ihipStream_tbEUljE_EEESV_SW_SX_S14_S18_S1A_T6_T7_T9_mT8_S1C_bDpT10_ENKUlT_T0_E_clISt17integral_constantIbLb1EES1P_EEDaS1K_S1L_EUlS1K_E_NS1_11comp_targetILNS1_3genE8ELNS1_11target_archE1030ELNS1_3gpuE2ELNS1_3repE0EEENS1_30default_config_static_selectorELNS0_4arch9wavefront6targetE0EEEvSY_, .Lfunc_end1507-_ZN7rocprim17ROCPRIM_400000_NS6detail17trampoline_kernelINS0_13select_configILj256ELj13ELNS0_17block_load_methodE3ELS4_3ELS4_3ELNS0_20block_scan_algorithmE0ELj4294967295EEENS1_25partition_config_selectorILNS1_17partition_subalgoE3EjNS0_10empty_typeEbEEZZNS1_14partition_implILS8_3ELb0ES6_jNS0_17counting_iteratorIjlEEPS9_SE_NS0_5tupleIJPjSE_EEENSF_IJSE_SE_EEES9_SG_JZNS1_25segmented_radix_sort_implINS0_14default_configELb1EPKbPbPKlPlN2at6native12_GLOBAL__N_18offset_tEEE10hipError_tPvRmT1_PNSt15iterator_traitsISY_E10value_typeET2_T3_PNSZ_IS14_E10value_typeET4_jRbjT5_S1A_jjP12ihipStream_tbEUljE_EEESV_SW_SX_S14_S18_S1A_T6_T7_T9_mT8_S1C_bDpT10_ENKUlT_T0_E_clISt17integral_constantIbLb1EES1P_EEDaS1K_S1L_EUlS1K_E_NS1_11comp_targetILNS1_3genE8ELNS1_11target_archE1030ELNS1_3gpuE2ELNS1_3repE0EEENS1_30default_config_static_selectorELNS0_4arch9wavefront6targetE0EEEvSY_
                                        ; -- End function
	.set _ZN7rocprim17ROCPRIM_400000_NS6detail17trampoline_kernelINS0_13select_configILj256ELj13ELNS0_17block_load_methodE3ELS4_3ELS4_3ELNS0_20block_scan_algorithmE0ELj4294967295EEENS1_25partition_config_selectorILNS1_17partition_subalgoE3EjNS0_10empty_typeEbEEZZNS1_14partition_implILS8_3ELb0ES6_jNS0_17counting_iteratorIjlEEPS9_SE_NS0_5tupleIJPjSE_EEENSF_IJSE_SE_EEES9_SG_JZNS1_25segmented_radix_sort_implINS0_14default_configELb1EPKbPbPKlPlN2at6native12_GLOBAL__N_18offset_tEEE10hipError_tPvRmT1_PNSt15iterator_traitsISY_E10value_typeET2_T3_PNSZ_IS14_E10value_typeET4_jRbjT5_S1A_jjP12ihipStream_tbEUljE_EEESV_SW_SX_S14_S18_S1A_T6_T7_T9_mT8_S1C_bDpT10_ENKUlT_T0_E_clISt17integral_constantIbLb1EES1P_EEDaS1K_S1L_EUlS1K_E_NS1_11comp_targetILNS1_3genE8ELNS1_11target_archE1030ELNS1_3gpuE2ELNS1_3repE0EEENS1_30default_config_static_selectorELNS0_4arch9wavefront6targetE0EEEvSY_.num_vgpr, 0
	.set _ZN7rocprim17ROCPRIM_400000_NS6detail17trampoline_kernelINS0_13select_configILj256ELj13ELNS0_17block_load_methodE3ELS4_3ELS4_3ELNS0_20block_scan_algorithmE0ELj4294967295EEENS1_25partition_config_selectorILNS1_17partition_subalgoE3EjNS0_10empty_typeEbEEZZNS1_14partition_implILS8_3ELb0ES6_jNS0_17counting_iteratorIjlEEPS9_SE_NS0_5tupleIJPjSE_EEENSF_IJSE_SE_EEES9_SG_JZNS1_25segmented_radix_sort_implINS0_14default_configELb1EPKbPbPKlPlN2at6native12_GLOBAL__N_18offset_tEEE10hipError_tPvRmT1_PNSt15iterator_traitsISY_E10value_typeET2_T3_PNSZ_IS14_E10value_typeET4_jRbjT5_S1A_jjP12ihipStream_tbEUljE_EEESV_SW_SX_S14_S18_S1A_T6_T7_T9_mT8_S1C_bDpT10_ENKUlT_T0_E_clISt17integral_constantIbLb1EES1P_EEDaS1K_S1L_EUlS1K_E_NS1_11comp_targetILNS1_3genE8ELNS1_11target_archE1030ELNS1_3gpuE2ELNS1_3repE0EEENS1_30default_config_static_selectorELNS0_4arch9wavefront6targetE0EEEvSY_.num_agpr, 0
	.set _ZN7rocprim17ROCPRIM_400000_NS6detail17trampoline_kernelINS0_13select_configILj256ELj13ELNS0_17block_load_methodE3ELS4_3ELS4_3ELNS0_20block_scan_algorithmE0ELj4294967295EEENS1_25partition_config_selectorILNS1_17partition_subalgoE3EjNS0_10empty_typeEbEEZZNS1_14partition_implILS8_3ELb0ES6_jNS0_17counting_iteratorIjlEEPS9_SE_NS0_5tupleIJPjSE_EEENSF_IJSE_SE_EEES9_SG_JZNS1_25segmented_radix_sort_implINS0_14default_configELb1EPKbPbPKlPlN2at6native12_GLOBAL__N_18offset_tEEE10hipError_tPvRmT1_PNSt15iterator_traitsISY_E10value_typeET2_T3_PNSZ_IS14_E10value_typeET4_jRbjT5_S1A_jjP12ihipStream_tbEUljE_EEESV_SW_SX_S14_S18_S1A_T6_T7_T9_mT8_S1C_bDpT10_ENKUlT_T0_E_clISt17integral_constantIbLb1EES1P_EEDaS1K_S1L_EUlS1K_E_NS1_11comp_targetILNS1_3genE8ELNS1_11target_archE1030ELNS1_3gpuE2ELNS1_3repE0EEENS1_30default_config_static_selectorELNS0_4arch9wavefront6targetE0EEEvSY_.numbered_sgpr, 0
	.set _ZN7rocprim17ROCPRIM_400000_NS6detail17trampoline_kernelINS0_13select_configILj256ELj13ELNS0_17block_load_methodE3ELS4_3ELS4_3ELNS0_20block_scan_algorithmE0ELj4294967295EEENS1_25partition_config_selectorILNS1_17partition_subalgoE3EjNS0_10empty_typeEbEEZZNS1_14partition_implILS8_3ELb0ES6_jNS0_17counting_iteratorIjlEEPS9_SE_NS0_5tupleIJPjSE_EEENSF_IJSE_SE_EEES9_SG_JZNS1_25segmented_radix_sort_implINS0_14default_configELb1EPKbPbPKlPlN2at6native12_GLOBAL__N_18offset_tEEE10hipError_tPvRmT1_PNSt15iterator_traitsISY_E10value_typeET2_T3_PNSZ_IS14_E10value_typeET4_jRbjT5_S1A_jjP12ihipStream_tbEUljE_EEESV_SW_SX_S14_S18_S1A_T6_T7_T9_mT8_S1C_bDpT10_ENKUlT_T0_E_clISt17integral_constantIbLb1EES1P_EEDaS1K_S1L_EUlS1K_E_NS1_11comp_targetILNS1_3genE8ELNS1_11target_archE1030ELNS1_3gpuE2ELNS1_3repE0EEENS1_30default_config_static_selectorELNS0_4arch9wavefront6targetE0EEEvSY_.num_named_barrier, 0
	.set _ZN7rocprim17ROCPRIM_400000_NS6detail17trampoline_kernelINS0_13select_configILj256ELj13ELNS0_17block_load_methodE3ELS4_3ELS4_3ELNS0_20block_scan_algorithmE0ELj4294967295EEENS1_25partition_config_selectorILNS1_17partition_subalgoE3EjNS0_10empty_typeEbEEZZNS1_14partition_implILS8_3ELb0ES6_jNS0_17counting_iteratorIjlEEPS9_SE_NS0_5tupleIJPjSE_EEENSF_IJSE_SE_EEES9_SG_JZNS1_25segmented_radix_sort_implINS0_14default_configELb1EPKbPbPKlPlN2at6native12_GLOBAL__N_18offset_tEEE10hipError_tPvRmT1_PNSt15iterator_traitsISY_E10value_typeET2_T3_PNSZ_IS14_E10value_typeET4_jRbjT5_S1A_jjP12ihipStream_tbEUljE_EEESV_SW_SX_S14_S18_S1A_T6_T7_T9_mT8_S1C_bDpT10_ENKUlT_T0_E_clISt17integral_constantIbLb1EES1P_EEDaS1K_S1L_EUlS1K_E_NS1_11comp_targetILNS1_3genE8ELNS1_11target_archE1030ELNS1_3gpuE2ELNS1_3repE0EEENS1_30default_config_static_selectorELNS0_4arch9wavefront6targetE0EEEvSY_.private_seg_size, 0
	.set _ZN7rocprim17ROCPRIM_400000_NS6detail17trampoline_kernelINS0_13select_configILj256ELj13ELNS0_17block_load_methodE3ELS4_3ELS4_3ELNS0_20block_scan_algorithmE0ELj4294967295EEENS1_25partition_config_selectorILNS1_17partition_subalgoE3EjNS0_10empty_typeEbEEZZNS1_14partition_implILS8_3ELb0ES6_jNS0_17counting_iteratorIjlEEPS9_SE_NS0_5tupleIJPjSE_EEENSF_IJSE_SE_EEES9_SG_JZNS1_25segmented_radix_sort_implINS0_14default_configELb1EPKbPbPKlPlN2at6native12_GLOBAL__N_18offset_tEEE10hipError_tPvRmT1_PNSt15iterator_traitsISY_E10value_typeET2_T3_PNSZ_IS14_E10value_typeET4_jRbjT5_S1A_jjP12ihipStream_tbEUljE_EEESV_SW_SX_S14_S18_S1A_T6_T7_T9_mT8_S1C_bDpT10_ENKUlT_T0_E_clISt17integral_constantIbLb1EES1P_EEDaS1K_S1L_EUlS1K_E_NS1_11comp_targetILNS1_3genE8ELNS1_11target_archE1030ELNS1_3gpuE2ELNS1_3repE0EEENS1_30default_config_static_selectorELNS0_4arch9wavefront6targetE0EEEvSY_.uses_vcc, 0
	.set _ZN7rocprim17ROCPRIM_400000_NS6detail17trampoline_kernelINS0_13select_configILj256ELj13ELNS0_17block_load_methodE3ELS4_3ELS4_3ELNS0_20block_scan_algorithmE0ELj4294967295EEENS1_25partition_config_selectorILNS1_17partition_subalgoE3EjNS0_10empty_typeEbEEZZNS1_14partition_implILS8_3ELb0ES6_jNS0_17counting_iteratorIjlEEPS9_SE_NS0_5tupleIJPjSE_EEENSF_IJSE_SE_EEES9_SG_JZNS1_25segmented_radix_sort_implINS0_14default_configELb1EPKbPbPKlPlN2at6native12_GLOBAL__N_18offset_tEEE10hipError_tPvRmT1_PNSt15iterator_traitsISY_E10value_typeET2_T3_PNSZ_IS14_E10value_typeET4_jRbjT5_S1A_jjP12ihipStream_tbEUljE_EEESV_SW_SX_S14_S18_S1A_T6_T7_T9_mT8_S1C_bDpT10_ENKUlT_T0_E_clISt17integral_constantIbLb1EES1P_EEDaS1K_S1L_EUlS1K_E_NS1_11comp_targetILNS1_3genE8ELNS1_11target_archE1030ELNS1_3gpuE2ELNS1_3repE0EEENS1_30default_config_static_selectorELNS0_4arch9wavefront6targetE0EEEvSY_.uses_flat_scratch, 0
	.set _ZN7rocprim17ROCPRIM_400000_NS6detail17trampoline_kernelINS0_13select_configILj256ELj13ELNS0_17block_load_methodE3ELS4_3ELS4_3ELNS0_20block_scan_algorithmE0ELj4294967295EEENS1_25partition_config_selectorILNS1_17partition_subalgoE3EjNS0_10empty_typeEbEEZZNS1_14partition_implILS8_3ELb0ES6_jNS0_17counting_iteratorIjlEEPS9_SE_NS0_5tupleIJPjSE_EEENSF_IJSE_SE_EEES9_SG_JZNS1_25segmented_radix_sort_implINS0_14default_configELb1EPKbPbPKlPlN2at6native12_GLOBAL__N_18offset_tEEE10hipError_tPvRmT1_PNSt15iterator_traitsISY_E10value_typeET2_T3_PNSZ_IS14_E10value_typeET4_jRbjT5_S1A_jjP12ihipStream_tbEUljE_EEESV_SW_SX_S14_S18_S1A_T6_T7_T9_mT8_S1C_bDpT10_ENKUlT_T0_E_clISt17integral_constantIbLb1EES1P_EEDaS1K_S1L_EUlS1K_E_NS1_11comp_targetILNS1_3genE8ELNS1_11target_archE1030ELNS1_3gpuE2ELNS1_3repE0EEENS1_30default_config_static_selectorELNS0_4arch9wavefront6targetE0EEEvSY_.has_dyn_sized_stack, 0
	.set _ZN7rocprim17ROCPRIM_400000_NS6detail17trampoline_kernelINS0_13select_configILj256ELj13ELNS0_17block_load_methodE3ELS4_3ELS4_3ELNS0_20block_scan_algorithmE0ELj4294967295EEENS1_25partition_config_selectorILNS1_17partition_subalgoE3EjNS0_10empty_typeEbEEZZNS1_14partition_implILS8_3ELb0ES6_jNS0_17counting_iteratorIjlEEPS9_SE_NS0_5tupleIJPjSE_EEENSF_IJSE_SE_EEES9_SG_JZNS1_25segmented_radix_sort_implINS0_14default_configELb1EPKbPbPKlPlN2at6native12_GLOBAL__N_18offset_tEEE10hipError_tPvRmT1_PNSt15iterator_traitsISY_E10value_typeET2_T3_PNSZ_IS14_E10value_typeET4_jRbjT5_S1A_jjP12ihipStream_tbEUljE_EEESV_SW_SX_S14_S18_S1A_T6_T7_T9_mT8_S1C_bDpT10_ENKUlT_T0_E_clISt17integral_constantIbLb1EES1P_EEDaS1K_S1L_EUlS1K_E_NS1_11comp_targetILNS1_3genE8ELNS1_11target_archE1030ELNS1_3gpuE2ELNS1_3repE0EEENS1_30default_config_static_selectorELNS0_4arch9wavefront6targetE0EEEvSY_.has_recursion, 0
	.set _ZN7rocprim17ROCPRIM_400000_NS6detail17trampoline_kernelINS0_13select_configILj256ELj13ELNS0_17block_load_methodE3ELS4_3ELS4_3ELNS0_20block_scan_algorithmE0ELj4294967295EEENS1_25partition_config_selectorILNS1_17partition_subalgoE3EjNS0_10empty_typeEbEEZZNS1_14partition_implILS8_3ELb0ES6_jNS0_17counting_iteratorIjlEEPS9_SE_NS0_5tupleIJPjSE_EEENSF_IJSE_SE_EEES9_SG_JZNS1_25segmented_radix_sort_implINS0_14default_configELb1EPKbPbPKlPlN2at6native12_GLOBAL__N_18offset_tEEE10hipError_tPvRmT1_PNSt15iterator_traitsISY_E10value_typeET2_T3_PNSZ_IS14_E10value_typeET4_jRbjT5_S1A_jjP12ihipStream_tbEUljE_EEESV_SW_SX_S14_S18_S1A_T6_T7_T9_mT8_S1C_bDpT10_ENKUlT_T0_E_clISt17integral_constantIbLb1EES1P_EEDaS1K_S1L_EUlS1K_E_NS1_11comp_targetILNS1_3genE8ELNS1_11target_archE1030ELNS1_3gpuE2ELNS1_3repE0EEENS1_30default_config_static_selectorELNS0_4arch9wavefront6targetE0EEEvSY_.has_indirect_call, 0
	.section	.AMDGPU.csdata,"",@progbits
; Kernel info:
; codeLenInByte = 0
; TotalNumSgprs: 0
; NumVgprs: 0
; ScratchSize: 0
; MemoryBound: 0
; FloatMode: 240
; IeeeMode: 1
; LDSByteSize: 0 bytes/workgroup (compile time only)
; SGPRBlocks: 0
; VGPRBlocks: 0
; NumSGPRsForWavesPerEU: 1
; NumVGPRsForWavesPerEU: 1
; NamedBarCnt: 0
; Occupancy: 16
; WaveLimiterHint : 0
; COMPUTE_PGM_RSRC2:SCRATCH_EN: 0
; COMPUTE_PGM_RSRC2:USER_SGPR: 2
; COMPUTE_PGM_RSRC2:TRAP_HANDLER: 0
; COMPUTE_PGM_RSRC2:TGID_X_EN: 1
; COMPUTE_PGM_RSRC2:TGID_Y_EN: 0
; COMPUTE_PGM_RSRC2:TGID_Z_EN: 0
; COMPUTE_PGM_RSRC2:TIDIG_COMP_CNT: 0
	.section	.text._ZN7rocprim17ROCPRIM_400000_NS6detail17trampoline_kernelINS0_13select_configILj256ELj13ELNS0_17block_load_methodE3ELS4_3ELS4_3ELNS0_20block_scan_algorithmE0ELj4294967295EEENS1_25partition_config_selectorILNS1_17partition_subalgoE3EjNS0_10empty_typeEbEEZZNS1_14partition_implILS8_3ELb0ES6_jNS0_17counting_iteratorIjlEEPS9_SE_NS0_5tupleIJPjSE_EEENSF_IJSE_SE_EEES9_SG_JZNS1_25segmented_radix_sort_implINS0_14default_configELb1EPKbPbPKlPlN2at6native12_GLOBAL__N_18offset_tEEE10hipError_tPvRmT1_PNSt15iterator_traitsISY_E10value_typeET2_T3_PNSZ_IS14_E10value_typeET4_jRbjT5_S1A_jjP12ihipStream_tbEUljE_EEESV_SW_SX_S14_S18_S1A_T6_T7_T9_mT8_S1C_bDpT10_ENKUlT_T0_E_clISt17integral_constantIbLb1EES1O_IbLb0EEEEDaS1K_S1L_EUlS1K_E_NS1_11comp_targetILNS1_3genE0ELNS1_11target_archE4294967295ELNS1_3gpuE0ELNS1_3repE0EEENS1_30default_config_static_selectorELNS0_4arch9wavefront6targetE0EEEvSY_,"axG",@progbits,_ZN7rocprim17ROCPRIM_400000_NS6detail17trampoline_kernelINS0_13select_configILj256ELj13ELNS0_17block_load_methodE3ELS4_3ELS4_3ELNS0_20block_scan_algorithmE0ELj4294967295EEENS1_25partition_config_selectorILNS1_17partition_subalgoE3EjNS0_10empty_typeEbEEZZNS1_14partition_implILS8_3ELb0ES6_jNS0_17counting_iteratorIjlEEPS9_SE_NS0_5tupleIJPjSE_EEENSF_IJSE_SE_EEES9_SG_JZNS1_25segmented_radix_sort_implINS0_14default_configELb1EPKbPbPKlPlN2at6native12_GLOBAL__N_18offset_tEEE10hipError_tPvRmT1_PNSt15iterator_traitsISY_E10value_typeET2_T3_PNSZ_IS14_E10value_typeET4_jRbjT5_S1A_jjP12ihipStream_tbEUljE_EEESV_SW_SX_S14_S18_S1A_T6_T7_T9_mT8_S1C_bDpT10_ENKUlT_T0_E_clISt17integral_constantIbLb1EES1O_IbLb0EEEEDaS1K_S1L_EUlS1K_E_NS1_11comp_targetILNS1_3genE0ELNS1_11target_archE4294967295ELNS1_3gpuE0ELNS1_3repE0EEENS1_30default_config_static_selectorELNS0_4arch9wavefront6targetE0EEEvSY_,comdat
	.globl	_ZN7rocprim17ROCPRIM_400000_NS6detail17trampoline_kernelINS0_13select_configILj256ELj13ELNS0_17block_load_methodE3ELS4_3ELS4_3ELNS0_20block_scan_algorithmE0ELj4294967295EEENS1_25partition_config_selectorILNS1_17partition_subalgoE3EjNS0_10empty_typeEbEEZZNS1_14partition_implILS8_3ELb0ES6_jNS0_17counting_iteratorIjlEEPS9_SE_NS0_5tupleIJPjSE_EEENSF_IJSE_SE_EEES9_SG_JZNS1_25segmented_radix_sort_implINS0_14default_configELb1EPKbPbPKlPlN2at6native12_GLOBAL__N_18offset_tEEE10hipError_tPvRmT1_PNSt15iterator_traitsISY_E10value_typeET2_T3_PNSZ_IS14_E10value_typeET4_jRbjT5_S1A_jjP12ihipStream_tbEUljE_EEESV_SW_SX_S14_S18_S1A_T6_T7_T9_mT8_S1C_bDpT10_ENKUlT_T0_E_clISt17integral_constantIbLb1EES1O_IbLb0EEEEDaS1K_S1L_EUlS1K_E_NS1_11comp_targetILNS1_3genE0ELNS1_11target_archE4294967295ELNS1_3gpuE0ELNS1_3repE0EEENS1_30default_config_static_selectorELNS0_4arch9wavefront6targetE0EEEvSY_ ; -- Begin function _ZN7rocprim17ROCPRIM_400000_NS6detail17trampoline_kernelINS0_13select_configILj256ELj13ELNS0_17block_load_methodE3ELS4_3ELS4_3ELNS0_20block_scan_algorithmE0ELj4294967295EEENS1_25partition_config_selectorILNS1_17partition_subalgoE3EjNS0_10empty_typeEbEEZZNS1_14partition_implILS8_3ELb0ES6_jNS0_17counting_iteratorIjlEEPS9_SE_NS0_5tupleIJPjSE_EEENSF_IJSE_SE_EEES9_SG_JZNS1_25segmented_radix_sort_implINS0_14default_configELb1EPKbPbPKlPlN2at6native12_GLOBAL__N_18offset_tEEE10hipError_tPvRmT1_PNSt15iterator_traitsISY_E10value_typeET2_T3_PNSZ_IS14_E10value_typeET4_jRbjT5_S1A_jjP12ihipStream_tbEUljE_EEESV_SW_SX_S14_S18_S1A_T6_T7_T9_mT8_S1C_bDpT10_ENKUlT_T0_E_clISt17integral_constantIbLb1EES1O_IbLb0EEEEDaS1K_S1L_EUlS1K_E_NS1_11comp_targetILNS1_3genE0ELNS1_11target_archE4294967295ELNS1_3gpuE0ELNS1_3repE0EEENS1_30default_config_static_selectorELNS0_4arch9wavefront6targetE0EEEvSY_
	.p2align	8
	.type	_ZN7rocprim17ROCPRIM_400000_NS6detail17trampoline_kernelINS0_13select_configILj256ELj13ELNS0_17block_load_methodE3ELS4_3ELS4_3ELNS0_20block_scan_algorithmE0ELj4294967295EEENS1_25partition_config_selectorILNS1_17partition_subalgoE3EjNS0_10empty_typeEbEEZZNS1_14partition_implILS8_3ELb0ES6_jNS0_17counting_iteratorIjlEEPS9_SE_NS0_5tupleIJPjSE_EEENSF_IJSE_SE_EEES9_SG_JZNS1_25segmented_radix_sort_implINS0_14default_configELb1EPKbPbPKlPlN2at6native12_GLOBAL__N_18offset_tEEE10hipError_tPvRmT1_PNSt15iterator_traitsISY_E10value_typeET2_T3_PNSZ_IS14_E10value_typeET4_jRbjT5_S1A_jjP12ihipStream_tbEUljE_EEESV_SW_SX_S14_S18_S1A_T6_T7_T9_mT8_S1C_bDpT10_ENKUlT_T0_E_clISt17integral_constantIbLb1EES1O_IbLb0EEEEDaS1K_S1L_EUlS1K_E_NS1_11comp_targetILNS1_3genE0ELNS1_11target_archE4294967295ELNS1_3gpuE0ELNS1_3repE0EEENS1_30default_config_static_selectorELNS0_4arch9wavefront6targetE0EEEvSY_,@function
_ZN7rocprim17ROCPRIM_400000_NS6detail17trampoline_kernelINS0_13select_configILj256ELj13ELNS0_17block_load_methodE3ELS4_3ELS4_3ELNS0_20block_scan_algorithmE0ELj4294967295EEENS1_25partition_config_selectorILNS1_17partition_subalgoE3EjNS0_10empty_typeEbEEZZNS1_14partition_implILS8_3ELb0ES6_jNS0_17counting_iteratorIjlEEPS9_SE_NS0_5tupleIJPjSE_EEENSF_IJSE_SE_EEES9_SG_JZNS1_25segmented_radix_sort_implINS0_14default_configELb1EPKbPbPKlPlN2at6native12_GLOBAL__N_18offset_tEEE10hipError_tPvRmT1_PNSt15iterator_traitsISY_E10value_typeET2_T3_PNSZ_IS14_E10value_typeET4_jRbjT5_S1A_jjP12ihipStream_tbEUljE_EEESV_SW_SX_S14_S18_S1A_T6_T7_T9_mT8_S1C_bDpT10_ENKUlT_T0_E_clISt17integral_constantIbLb1EES1O_IbLb0EEEEDaS1K_S1L_EUlS1K_E_NS1_11comp_targetILNS1_3genE0ELNS1_11target_archE4294967295ELNS1_3gpuE0ELNS1_3repE0EEENS1_30default_config_static_selectorELNS0_4arch9wavefront6targetE0EEEvSY_: ; @_ZN7rocprim17ROCPRIM_400000_NS6detail17trampoline_kernelINS0_13select_configILj256ELj13ELNS0_17block_load_methodE3ELS4_3ELS4_3ELNS0_20block_scan_algorithmE0ELj4294967295EEENS1_25partition_config_selectorILNS1_17partition_subalgoE3EjNS0_10empty_typeEbEEZZNS1_14partition_implILS8_3ELb0ES6_jNS0_17counting_iteratorIjlEEPS9_SE_NS0_5tupleIJPjSE_EEENSF_IJSE_SE_EEES9_SG_JZNS1_25segmented_radix_sort_implINS0_14default_configELb1EPKbPbPKlPlN2at6native12_GLOBAL__N_18offset_tEEE10hipError_tPvRmT1_PNSt15iterator_traitsISY_E10value_typeET2_T3_PNSZ_IS14_E10value_typeET4_jRbjT5_S1A_jjP12ihipStream_tbEUljE_EEESV_SW_SX_S14_S18_S1A_T6_T7_T9_mT8_S1C_bDpT10_ENKUlT_T0_E_clISt17integral_constantIbLb1EES1O_IbLb0EEEEDaS1K_S1L_EUlS1K_E_NS1_11comp_targetILNS1_3genE0ELNS1_11target_archE4294967295ELNS1_3gpuE0ELNS1_3repE0EEENS1_30default_config_static_selectorELNS0_4arch9wavefront6targetE0EEEvSY_
; %bb.0:
	s_endpgm
	.section	.rodata,"a",@progbits
	.p2align	6, 0x0
	.amdhsa_kernel _ZN7rocprim17ROCPRIM_400000_NS6detail17trampoline_kernelINS0_13select_configILj256ELj13ELNS0_17block_load_methodE3ELS4_3ELS4_3ELNS0_20block_scan_algorithmE0ELj4294967295EEENS1_25partition_config_selectorILNS1_17partition_subalgoE3EjNS0_10empty_typeEbEEZZNS1_14partition_implILS8_3ELb0ES6_jNS0_17counting_iteratorIjlEEPS9_SE_NS0_5tupleIJPjSE_EEENSF_IJSE_SE_EEES9_SG_JZNS1_25segmented_radix_sort_implINS0_14default_configELb1EPKbPbPKlPlN2at6native12_GLOBAL__N_18offset_tEEE10hipError_tPvRmT1_PNSt15iterator_traitsISY_E10value_typeET2_T3_PNSZ_IS14_E10value_typeET4_jRbjT5_S1A_jjP12ihipStream_tbEUljE_EEESV_SW_SX_S14_S18_S1A_T6_T7_T9_mT8_S1C_bDpT10_ENKUlT_T0_E_clISt17integral_constantIbLb1EES1O_IbLb0EEEEDaS1K_S1L_EUlS1K_E_NS1_11comp_targetILNS1_3genE0ELNS1_11target_archE4294967295ELNS1_3gpuE0ELNS1_3repE0EEENS1_30default_config_static_selectorELNS0_4arch9wavefront6targetE0EEEvSY_
		.amdhsa_group_segment_fixed_size 0
		.amdhsa_private_segment_fixed_size 0
		.amdhsa_kernarg_size 144
		.amdhsa_user_sgpr_count 2
		.amdhsa_user_sgpr_dispatch_ptr 0
		.amdhsa_user_sgpr_queue_ptr 0
		.amdhsa_user_sgpr_kernarg_segment_ptr 1
		.amdhsa_user_sgpr_dispatch_id 0
		.amdhsa_user_sgpr_kernarg_preload_length 0
		.amdhsa_user_sgpr_kernarg_preload_offset 0
		.amdhsa_user_sgpr_private_segment_size 0
		.amdhsa_wavefront_size32 1
		.amdhsa_uses_dynamic_stack 0
		.amdhsa_enable_private_segment 0
		.amdhsa_system_sgpr_workgroup_id_x 1
		.amdhsa_system_sgpr_workgroup_id_y 0
		.amdhsa_system_sgpr_workgroup_id_z 0
		.amdhsa_system_sgpr_workgroup_info 0
		.amdhsa_system_vgpr_workitem_id 0
		.amdhsa_next_free_vgpr 1
		.amdhsa_next_free_sgpr 1
		.amdhsa_named_barrier_count 0
		.amdhsa_reserve_vcc 0
		.amdhsa_float_round_mode_32 0
		.amdhsa_float_round_mode_16_64 0
		.amdhsa_float_denorm_mode_32 3
		.amdhsa_float_denorm_mode_16_64 3
		.amdhsa_fp16_overflow 0
		.amdhsa_memory_ordered 1
		.amdhsa_forward_progress 1
		.amdhsa_inst_pref_size 1
		.amdhsa_round_robin_scheduling 0
		.amdhsa_exception_fp_ieee_invalid_op 0
		.amdhsa_exception_fp_denorm_src 0
		.amdhsa_exception_fp_ieee_div_zero 0
		.amdhsa_exception_fp_ieee_overflow 0
		.amdhsa_exception_fp_ieee_underflow 0
		.amdhsa_exception_fp_ieee_inexact 0
		.amdhsa_exception_int_div_zero 0
	.end_amdhsa_kernel
	.section	.text._ZN7rocprim17ROCPRIM_400000_NS6detail17trampoline_kernelINS0_13select_configILj256ELj13ELNS0_17block_load_methodE3ELS4_3ELS4_3ELNS0_20block_scan_algorithmE0ELj4294967295EEENS1_25partition_config_selectorILNS1_17partition_subalgoE3EjNS0_10empty_typeEbEEZZNS1_14partition_implILS8_3ELb0ES6_jNS0_17counting_iteratorIjlEEPS9_SE_NS0_5tupleIJPjSE_EEENSF_IJSE_SE_EEES9_SG_JZNS1_25segmented_radix_sort_implINS0_14default_configELb1EPKbPbPKlPlN2at6native12_GLOBAL__N_18offset_tEEE10hipError_tPvRmT1_PNSt15iterator_traitsISY_E10value_typeET2_T3_PNSZ_IS14_E10value_typeET4_jRbjT5_S1A_jjP12ihipStream_tbEUljE_EEESV_SW_SX_S14_S18_S1A_T6_T7_T9_mT8_S1C_bDpT10_ENKUlT_T0_E_clISt17integral_constantIbLb1EES1O_IbLb0EEEEDaS1K_S1L_EUlS1K_E_NS1_11comp_targetILNS1_3genE0ELNS1_11target_archE4294967295ELNS1_3gpuE0ELNS1_3repE0EEENS1_30default_config_static_selectorELNS0_4arch9wavefront6targetE0EEEvSY_,"axG",@progbits,_ZN7rocprim17ROCPRIM_400000_NS6detail17trampoline_kernelINS0_13select_configILj256ELj13ELNS0_17block_load_methodE3ELS4_3ELS4_3ELNS0_20block_scan_algorithmE0ELj4294967295EEENS1_25partition_config_selectorILNS1_17partition_subalgoE3EjNS0_10empty_typeEbEEZZNS1_14partition_implILS8_3ELb0ES6_jNS0_17counting_iteratorIjlEEPS9_SE_NS0_5tupleIJPjSE_EEENSF_IJSE_SE_EEES9_SG_JZNS1_25segmented_radix_sort_implINS0_14default_configELb1EPKbPbPKlPlN2at6native12_GLOBAL__N_18offset_tEEE10hipError_tPvRmT1_PNSt15iterator_traitsISY_E10value_typeET2_T3_PNSZ_IS14_E10value_typeET4_jRbjT5_S1A_jjP12ihipStream_tbEUljE_EEESV_SW_SX_S14_S18_S1A_T6_T7_T9_mT8_S1C_bDpT10_ENKUlT_T0_E_clISt17integral_constantIbLb1EES1O_IbLb0EEEEDaS1K_S1L_EUlS1K_E_NS1_11comp_targetILNS1_3genE0ELNS1_11target_archE4294967295ELNS1_3gpuE0ELNS1_3repE0EEENS1_30default_config_static_selectorELNS0_4arch9wavefront6targetE0EEEvSY_,comdat
.Lfunc_end1508:
	.size	_ZN7rocprim17ROCPRIM_400000_NS6detail17trampoline_kernelINS0_13select_configILj256ELj13ELNS0_17block_load_methodE3ELS4_3ELS4_3ELNS0_20block_scan_algorithmE0ELj4294967295EEENS1_25partition_config_selectorILNS1_17partition_subalgoE3EjNS0_10empty_typeEbEEZZNS1_14partition_implILS8_3ELb0ES6_jNS0_17counting_iteratorIjlEEPS9_SE_NS0_5tupleIJPjSE_EEENSF_IJSE_SE_EEES9_SG_JZNS1_25segmented_radix_sort_implINS0_14default_configELb1EPKbPbPKlPlN2at6native12_GLOBAL__N_18offset_tEEE10hipError_tPvRmT1_PNSt15iterator_traitsISY_E10value_typeET2_T3_PNSZ_IS14_E10value_typeET4_jRbjT5_S1A_jjP12ihipStream_tbEUljE_EEESV_SW_SX_S14_S18_S1A_T6_T7_T9_mT8_S1C_bDpT10_ENKUlT_T0_E_clISt17integral_constantIbLb1EES1O_IbLb0EEEEDaS1K_S1L_EUlS1K_E_NS1_11comp_targetILNS1_3genE0ELNS1_11target_archE4294967295ELNS1_3gpuE0ELNS1_3repE0EEENS1_30default_config_static_selectorELNS0_4arch9wavefront6targetE0EEEvSY_, .Lfunc_end1508-_ZN7rocprim17ROCPRIM_400000_NS6detail17trampoline_kernelINS0_13select_configILj256ELj13ELNS0_17block_load_methodE3ELS4_3ELS4_3ELNS0_20block_scan_algorithmE0ELj4294967295EEENS1_25partition_config_selectorILNS1_17partition_subalgoE3EjNS0_10empty_typeEbEEZZNS1_14partition_implILS8_3ELb0ES6_jNS0_17counting_iteratorIjlEEPS9_SE_NS0_5tupleIJPjSE_EEENSF_IJSE_SE_EEES9_SG_JZNS1_25segmented_radix_sort_implINS0_14default_configELb1EPKbPbPKlPlN2at6native12_GLOBAL__N_18offset_tEEE10hipError_tPvRmT1_PNSt15iterator_traitsISY_E10value_typeET2_T3_PNSZ_IS14_E10value_typeET4_jRbjT5_S1A_jjP12ihipStream_tbEUljE_EEESV_SW_SX_S14_S18_S1A_T6_T7_T9_mT8_S1C_bDpT10_ENKUlT_T0_E_clISt17integral_constantIbLb1EES1O_IbLb0EEEEDaS1K_S1L_EUlS1K_E_NS1_11comp_targetILNS1_3genE0ELNS1_11target_archE4294967295ELNS1_3gpuE0ELNS1_3repE0EEENS1_30default_config_static_selectorELNS0_4arch9wavefront6targetE0EEEvSY_
                                        ; -- End function
	.set _ZN7rocprim17ROCPRIM_400000_NS6detail17trampoline_kernelINS0_13select_configILj256ELj13ELNS0_17block_load_methodE3ELS4_3ELS4_3ELNS0_20block_scan_algorithmE0ELj4294967295EEENS1_25partition_config_selectorILNS1_17partition_subalgoE3EjNS0_10empty_typeEbEEZZNS1_14partition_implILS8_3ELb0ES6_jNS0_17counting_iteratorIjlEEPS9_SE_NS0_5tupleIJPjSE_EEENSF_IJSE_SE_EEES9_SG_JZNS1_25segmented_radix_sort_implINS0_14default_configELb1EPKbPbPKlPlN2at6native12_GLOBAL__N_18offset_tEEE10hipError_tPvRmT1_PNSt15iterator_traitsISY_E10value_typeET2_T3_PNSZ_IS14_E10value_typeET4_jRbjT5_S1A_jjP12ihipStream_tbEUljE_EEESV_SW_SX_S14_S18_S1A_T6_T7_T9_mT8_S1C_bDpT10_ENKUlT_T0_E_clISt17integral_constantIbLb1EES1O_IbLb0EEEEDaS1K_S1L_EUlS1K_E_NS1_11comp_targetILNS1_3genE0ELNS1_11target_archE4294967295ELNS1_3gpuE0ELNS1_3repE0EEENS1_30default_config_static_selectorELNS0_4arch9wavefront6targetE0EEEvSY_.num_vgpr, 0
	.set _ZN7rocprim17ROCPRIM_400000_NS6detail17trampoline_kernelINS0_13select_configILj256ELj13ELNS0_17block_load_methodE3ELS4_3ELS4_3ELNS0_20block_scan_algorithmE0ELj4294967295EEENS1_25partition_config_selectorILNS1_17partition_subalgoE3EjNS0_10empty_typeEbEEZZNS1_14partition_implILS8_3ELb0ES6_jNS0_17counting_iteratorIjlEEPS9_SE_NS0_5tupleIJPjSE_EEENSF_IJSE_SE_EEES9_SG_JZNS1_25segmented_radix_sort_implINS0_14default_configELb1EPKbPbPKlPlN2at6native12_GLOBAL__N_18offset_tEEE10hipError_tPvRmT1_PNSt15iterator_traitsISY_E10value_typeET2_T3_PNSZ_IS14_E10value_typeET4_jRbjT5_S1A_jjP12ihipStream_tbEUljE_EEESV_SW_SX_S14_S18_S1A_T6_T7_T9_mT8_S1C_bDpT10_ENKUlT_T0_E_clISt17integral_constantIbLb1EES1O_IbLb0EEEEDaS1K_S1L_EUlS1K_E_NS1_11comp_targetILNS1_3genE0ELNS1_11target_archE4294967295ELNS1_3gpuE0ELNS1_3repE0EEENS1_30default_config_static_selectorELNS0_4arch9wavefront6targetE0EEEvSY_.num_agpr, 0
	.set _ZN7rocprim17ROCPRIM_400000_NS6detail17trampoline_kernelINS0_13select_configILj256ELj13ELNS0_17block_load_methodE3ELS4_3ELS4_3ELNS0_20block_scan_algorithmE0ELj4294967295EEENS1_25partition_config_selectorILNS1_17partition_subalgoE3EjNS0_10empty_typeEbEEZZNS1_14partition_implILS8_3ELb0ES6_jNS0_17counting_iteratorIjlEEPS9_SE_NS0_5tupleIJPjSE_EEENSF_IJSE_SE_EEES9_SG_JZNS1_25segmented_radix_sort_implINS0_14default_configELb1EPKbPbPKlPlN2at6native12_GLOBAL__N_18offset_tEEE10hipError_tPvRmT1_PNSt15iterator_traitsISY_E10value_typeET2_T3_PNSZ_IS14_E10value_typeET4_jRbjT5_S1A_jjP12ihipStream_tbEUljE_EEESV_SW_SX_S14_S18_S1A_T6_T7_T9_mT8_S1C_bDpT10_ENKUlT_T0_E_clISt17integral_constantIbLb1EES1O_IbLb0EEEEDaS1K_S1L_EUlS1K_E_NS1_11comp_targetILNS1_3genE0ELNS1_11target_archE4294967295ELNS1_3gpuE0ELNS1_3repE0EEENS1_30default_config_static_selectorELNS0_4arch9wavefront6targetE0EEEvSY_.numbered_sgpr, 0
	.set _ZN7rocprim17ROCPRIM_400000_NS6detail17trampoline_kernelINS0_13select_configILj256ELj13ELNS0_17block_load_methodE3ELS4_3ELS4_3ELNS0_20block_scan_algorithmE0ELj4294967295EEENS1_25partition_config_selectorILNS1_17partition_subalgoE3EjNS0_10empty_typeEbEEZZNS1_14partition_implILS8_3ELb0ES6_jNS0_17counting_iteratorIjlEEPS9_SE_NS0_5tupleIJPjSE_EEENSF_IJSE_SE_EEES9_SG_JZNS1_25segmented_radix_sort_implINS0_14default_configELb1EPKbPbPKlPlN2at6native12_GLOBAL__N_18offset_tEEE10hipError_tPvRmT1_PNSt15iterator_traitsISY_E10value_typeET2_T3_PNSZ_IS14_E10value_typeET4_jRbjT5_S1A_jjP12ihipStream_tbEUljE_EEESV_SW_SX_S14_S18_S1A_T6_T7_T9_mT8_S1C_bDpT10_ENKUlT_T0_E_clISt17integral_constantIbLb1EES1O_IbLb0EEEEDaS1K_S1L_EUlS1K_E_NS1_11comp_targetILNS1_3genE0ELNS1_11target_archE4294967295ELNS1_3gpuE0ELNS1_3repE0EEENS1_30default_config_static_selectorELNS0_4arch9wavefront6targetE0EEEvSY_.num_named_barrier, 0
	.set _ZN7rocprim17ROCPRIM_400000_NS6detail17trampoline_kernelINS0_13select_configILj256ELj13ELNS0_17block_load_methodE3ELS4_3ELS4_3ELNS0_20block_scan_algorithmE0ELj4294967295EEENS1_25partition_config_selectorILNS1_17partition_subalgoE3EjNS0_10empty_typeEbEEZZNS1_14partition_implILS8_3ELb0ES6_jNS0_17counting_iteratorIjlEEPS9_SE_NS0_5tupleIJPjSE_EEENSF_IJSE_SE_EEES9_SG_JZNS1_25segmented_radix_sort_implINS0_14default_configELb1EPKbPbPKlPlN2at6native12_GLOBAL__N_18offset_tEEE10hipError_tPvRmT1_PNSt15iterator_traitsISY_E10value_typeET2_T3_PNSZ_IS14_E10value_typeET4_jRbjT5_S1A_jjP12ihipStream_tbEUljE_EEESV_SW_SX_S14_S18_S1A_T6_T7_T9_mT8_S1C_bDpT10_ENKUlT_T0_E_clISt17integral_constantIbLb1EES1O_IbLb0EEEEDaS1K_S1L_EUlS1K_E_NS1_11comp_targetILNS1_3genE0ELNS1_11target_archE4294967295ELNS1_3gpuE0ELNS1_3repE0EEENS1_30default_config_static_selectorELNS0_4arch9wavefront6targetE0EEEvSY_.private_seg_size, 0
	.set _ZN7rocprim17ROCPRIM_400000_NS6detail17trampoline_kernelINS0_13select_configILj256ELj13ELNS0_17block_load_methodE3ELS4_3ELS4_3ELNS0_20block_scan_algorithmE0ELj4294967295EEENS1_25partition_config_selectorILNS1_17partition_subalgoE3EjNS0_10empty_typeEbEEZZNS1_14partition_implILS8_3ELb0ES6_jNS0_17counting_iteratorIjlEEPS9_SE_NS0_5tupleIJPjSE_EEENSF_IJSE_SE_EEES9_SG_JZNS1_25segmented_radix_sort_implINS0_14default_configELb1EPKbPbPKlPlN2at6native12_GLOBAL__N_18offset_tEEE10hipError_tPvRmT1_PNSt15iterator_traitsISY_E10value_typeET2_T3_PNSZ_IS14_E10value_typeET4_jRbjT5_S1A_jjP12ihipStream_tbEUljE_EEESV_SW_SX_S14_S18_S1A_T6_T7_T9_mT8_S1C_bDpT10_ENKUlT_T0_E_clISt17integral_constantIbLb1EES1O_IbLb0EEEEDaS1K_S1L_EUlS1K_E_NS1_11comp_targetILNS1_3genE0ELNS1_11target_archE4294967295ELNS1_3gpuE0ELNS1_3repE0EEENS1_30default_config_static_selectorELNS0_4arch9wavefront6targetE0EEEvSY_.uses_vcc, 0
	.set _ZN7rocprim17ROCPRIM_400000_NS6detail17trampoline_kernelINS0_13select_configILj256ELj13ELNS0_17block_load_methodE3ELS4_3ELS4_3ELNS0_20block_scan_algorithmE0ELj4294967295EEENS1_25partition_config_selectorILNS1_17partition_subalgoE3EjNS0_10empty_typeEbEEZZNS1_14partition_implILS8_3ELb0ES6_jNS0_17counting_iteratorIjlEEPS9_SE_NS0_5tupleIJPjSE_EEENSF_IJSE_SE_EEES9_SG_JZNS1_25segmented_radix_sort_implINS0_14default_configELb1EPKbPbPKlPlN2at6native12_GLOBAL__N_18offset_tEEE10hipError_tPvRmT1_PNSt15iterator_traitsISY_E10value_typeET2_T3_PNSZ_IS14_E10value_typeET4_jRbjT5_S1A_jjP12ihipStream_tbEUljE_EEESV_SW_SX_S14_S18_S1A_T6_T7_T9_mT8_S1C_bDpT10_ENKUlT_T0_E_clISt17integral_constantIbLb1EES1O_IbLb0EEEEDaS1K_S1L_EUlS1K_E_NS1_11comp_targetILNS1_3genE0ELNS1_11target_archE4294967295ELNS1_3gpuE0ELNS1_3repE0EEENS1_30default_config_static_selectorELNS0_4arch9wavefront6targetE0EEEvSY_.uses_flat_scratch, 0
	.set _ZN7rocprim17ROCPRIM_400000_NS6detail17trampoline_kernelINS0_13select_configILj256ELj13ELNS0_17block_load_methodE3ELS4_3ELS4_3ELNS0_20block_scan_algorithmE0ELj4294967295EEENS1_25partition_config_selectorILNS1_17partition_subalgoE3EjNS0_10empty_typeEbEEZZNS1_14partition_implILS8_3ELb0ES6_jNS0_17counting_iteratorIjlEEPS9_SE_NS0_5tupleIJPjSE_EEENSF_IJSE_SE_EEES9_SG_JZNS1_25segmented_radix_sort_implINS0_14default_configELb1EPKbPbPKlPlN2at6native12_GLOBAL__N_18offset_tEEE10hipError_tPvRmT1_PNSt15iterator_traitsISY_E10value_typeET2_T3_PNSZ_IS14_E10value_typeET4_jRbjT5_S1A_jjP12ihipStream_tbEUljE_EEESV_SW_SX_S14_S18_S1A_T6_T7_T9_mT8_S1C_bDpT10_ENKUlT_T0_E_clISt17integral_constantIbLb1EES1O_IbLb0EEEEDaS1K_S1L_EUlS1K_E_NS1_11comp_targetILNS1_3genE0ELNS1_11target_archE4294967295ELNS1_3gpuE0ELNS1_3repE0EEENS1_30default_config_static_selectorELNS0_4arch9wavefront6targetE0EEEvSY_.has_dyn_sized_stack, 0
	.set _ZN7rocprim17ROCPRIM_400000_NS6detail17trampoline_kernelINS0_13select_configILj256ELj13ELNS0_17block_load_methodE3ELS4_3ELS4_3ELNS0_20block_scan_algorithmE0ELj4294967295EEENS1_25partition_config_selectorILNS1_17partition_subalgoE3EjNS0_10empty_typeEbEEZZNS1_14partition_implILS8_3ELb0ES6_jNS0_17counting_iteratorIjlEEPS9_SE_NS0_5tupleIJPjSE_EEENSF_IJSE_SE_EEES9_SG_JZNS1_25segmented_radix_sort_implINS0_14default_configELb1EPKbPbPKlPlN2at6native12_GLOBAL__N_18offset_tEEE10hipError_tPvRmT1_PNSt15iterator_traitsISY_E10value_typeET2_T3_PNSZ_IS14_E10value_typeET4_jRbjT5_S1A_jjP12ihipStream_tbEUljE_EEESV_SW_SX_S14_S18_S1A_T6_T7_T9_mT8_S1C_bDpT10_ENKUlT_T0_E_clISt17integral_constantIbLb1EES1O_IbLb0EEEEDaS1K_S1L_EUlS1K_E_NS1_11comp_targetILNS1_3genE0ELNS1_11target_archE4294967295ELNS1_3gpuE0ELNS1_3repE0EEENS1_30default_config_static_selectorELNS0_4arch9wavefront6targetE0EEEvSY_.has_recursion, 0
	.set _ZN7rocprim17ROCPRIM_400000_NS6detail17trampoline_kernelINS0_13select_configILj256ELj13ELNS0_17block_load_methodE3ELS4_3ELS4_3ELNS0_20block_scan_algorithmE0ELj4294967295EEENS1_25partition_config_selectorILNS1_17partition_subalgoE3EjNS0_10empty_typeEbEEZZNS1_14partition_implILS8_3ELb0ES6_jNS0_17counting_iteratorIjlEEPS9_SE_NS0_5tupleIJPjSE_EEENSF_IJSE_SE_EEES9_SG_JZNS1_25segmented_radix_sort_implINS0_14default_configELb1EPKbPbPKlPlN2at6native12_GLOBAL__N_18offset_tEEE10hipError_tPvRmT1_PNSt15iterator_traitsISY_E10value_typeET2_T3_PNSZ_IS14_E10value_typeET4_jRbjT5_S1A_jjP12ihipStream_tbEUljE_EEESV_SW_SX_S14_S18_S1A_T6_T7_T9_mT8_S1C_bDpT10_ENKUlT_T0_E_clISt17integral_constantIbLb1EES1O_IbLb0EEEEDaS1K_S1L_EUlS1K_E_NS1_11comp_targetILNS1_3genE0ELNS1_11target_archE4294967295ELNS1_3gpuE0ELNS1_3repE0EEENS1_30default_config_static_selectorELNS0_4arch9wavefront6targetE0EEEvSY_.has_indirect_call, 0
	.section	.AMDGPU.csdata,"",@progbits
; Kernel info:
; codeLenInByte = 4
; TotalNumSgprs: 0
; NumVgprs: 0
; ScratchSize: 0
; MemoryBound: 0
; FloatMode: 240
; IeeeMode: 1
; LDSByteSize: 0 bytes/workgroup (compile time only)
; SGPRBlocks: 0
; VGPRBlocks: 0
; NumSGPRsForWavesPerEU: 1
; NumVGPRsForWavesPerEU: 1
; NamedBarCnt: 0
; Occupancy: 16
; WaveLimiterHint : 0
; COMPUTE_PGM_RSRC2:SCRATCH_EN: 0
; COMPUTE_PGM_RSRC2:USER_SGPR: 2
; COMPUTE_PGM_RSRC2:TRAP_HANDLER: 0
; COMPUTE_PGM_RSRC2:TGID_X_EN: 1
; COMPUTE_PGM_RSRC2:TGID_Y_EN: 0
; COMPUTE_PGM_RSRC2:TGID_Z_EN: 0
; COMPUTE_PGM_RSRC2:TIDIG_COMP_CNT: 0
	.section	.text._ZN7rocprim17ROCPRIM_400000_NS6detail17trampoline_kernelINS0_13select_configILj256ELj13ELNS0_17block_load_methodE3ELS4_3ELS4_3ELNS0_20block_scan_algorithmE0ELj4294967295EEENS1_25partition_config_selectorILNS1_17partition_subalgoE3EjNS0_10empty_typeEbEEZZNS1_14partition_implILS8_3ELb0ES6_jNS0_17counting_iteratorIjlEEPS9_SE_NS0_5tupleIJPjSE_EEENSF_IJSE_SE_EEES9_SG_JZNS1_25segmented_radix_sort_implINS0_14default_configELb1EPKbPbPKlPlN2at6native12_GLOBAL__N_18offset_tEEE10hipError_tPvRmT1_PNSt15iterator_traitsISY_E10value_typeET2_T3_PNSZ_IS14_E10value_typeET4_jRbjT5_S1A_jjP12ihipStream_tbEUljE_EEESV_SW_SX_S14_S18_S1A_T6_T7_T9_mT8_S1C_bDpT10_ENKUlT_T0_E_clISt17integral_constantIbLb1EES1O_IbLb0EEEEDaS1K_S1L_EUlS1K_E_NS1_11comp_targetILNS1_3genE5ELNS1_11target_archE942ELNS1_3gpuE9ELNS1_3repE0EEENS1_30default_config_static_selectorELNS0_4arch9wavefront6targetE0EEEvSY_,"axG",@progbits,_ZN7rocprim17ROCPRIM_400000_NS6detail17trampoline_kernelINS0_13select_configILj256ELj13ELNS0_17block_load_methodE3ELS4_3ELS4_3ELNS0_20block_scan_algorithmE0ELj4294967295EEENS1_25partition_config_selectorILNS1_17partition_subalgoE3EjNS0_10empty_typeEbEEZZNS1_14partition_implILS8_3ELb0ES6_jNS0_17counting_iteratorIjlEEPS9_SE_NS0_5tupleIJPjSE_EEENSF_IJSE_SE_EEES9_SG_JZNS1_25segmented_radix_sort_implINS0_14default_configELb1EPKbPbPKlPlN2at6native12_GLOBAL__N_18offset_tEEE10hipError_tPvRmT1_PNSt15iterator_traitsISY_E10value_typeET2_T3_PNSZ_IS14_E10value_typeET4_jRbjT5_S1A_jjP12ihipStream_tbEUljE_EEESV_SW_SX_S14_S18_S1A_T6_T7_T9_mT8_S1C_bDpT10_ENKUlT_T0_E_clISt17integral_constantIbLb1EES1O_IbLb0EEEEDaS1K_S1L_EUlS1K_E_NS1_11comp_targetILNS1_3genE5ELNS1_11target_archE942ELNS1_3gpuE9ELNS1_3repE0EEENS1_30default_config_static_selectorELNS0_4arch9wavefront6targetE0EEEvSY_,comdat
	.globl	_ZN7rocprim17ROCPRIM_400000_NS6detail17trampoline_kernelINS0_13select_configILj256ELj13ELNS0_17block_load_methodE3ELS4_3ELS4_3ELNS0_20block_scan_algorithmE0ELj4294967295EEENS1_25partition_config_selectorILNS1_17partition_subalgoE3EjNS0_10empty_typeEbEEZZNS1_14partition_implILS8_3ELb0ES6_jNS0_17counting_iteratorIjlEEPS9_SE_NS0_5tupleIJPjSE_EEENSF_IJSE_SE_EEES9_SG_JZNS1_25segmented_radix_sort_implINS0_14default_configELb1EPKbPbPKlPlN2at6native12_GLOBAL__N_18offset_tEEE10hipError_tPvRmT1_PNSt15iterator_traitsISY_E10value_typeET2_T3_PNSZ_IS14_E10value_typeET4_jRbjT5_S1A_jjP12ihipStream_tbEUljE_EEESV_SW_SX_S14_S18_S1A_T6_T7_T9_mT8_S1C_bDpT10_ENKUlT_T0_E_clISt17integral_constantIbLb1EES1O_IbLb0EEEEDaS1K_S1L_EUlS1K_E_NS1_11comp_targetILNS1_3genE5ELNS1_11target_archE942ELNS1_3gpuE9ELNS1_3repE0EEENS1_30default_config_static_selectorELNS0_4arch9wavefront6targetE0EEEvSY_ ; -- Begin function _ZN7rocprim17ROCPRIM_400000_NS6detail17trampoline_kernelINS0_13select_configILj256ELj13ELNS0_17block_load_methodE3ELS4_3ELS4_3ELNS0_20block_scan_algorithmE0ELj4294967295EEENS1_25partition_config_selectorILNS1_17partition_subalgoE3EjNS0_10empty_typeEbEEZZNS1_14partition_implILS8_3ELb0ES6_jNS0_17counting_iteratorIjlEEPS9_SE_NS0_5tupleIJPjSE_EEENSF_IJSE_SE_EEES9_SG_JZNS1_25segmented_radix_sort_implINS0_14default_configELb1EPKbPbPKlPlN2at6native12_GLOBAL__N_18offset_tEEE10hipError_tPvRmT1_PNSt15iterator_traitsISY_E10value_typeET2_T3_PNSZ_IS14_E10value_typeET4_jRbjT5_S1A_jjP12ihipStream_tbEUljE_EEESV_SW_SX_S14_S18_S1A_T6_T7_T9_mT8_S1C_bDpT10_ENKUlT_T0_E_clISt17integral_constantIbLb1EES1O_IbLb0EEEEDaS1K_S1L_EUlS1K_E_NS1_11comp_targetILNS1_3genE5ELNS1_11target_archE942ELNS1_3gpuE9ELNS1_3repE0EEENS1_30default_config_static_selectorELNS0_4arch9wavefront6targetE0EEEvSY_
	.p2align	8
	.type	_ZN7rocprim17ROCPRIM_400000_NS6detail17trampoline_kernelINS0_13select_configILj256ELj13ELNS0_17block_load_methodE3ELS4_3ELS4_3ELNS0_20block_scan_algorithmE0ELj4294967295EEENS1_25partition_config_selectorILNS1_17partition_subalgoE3EjNS0_10empty_typeEbEEZZNS1_14partition_implILS8_3ELb0ES6_jNS0_17counting_iteratorIjlEEPS9_SE_NS0_5tupleIJPjSE_EEENSF_IJSE_SE_EEES9_SG_JZNS1_25segmented_radix_sort_implINS0_14default_configELb1EPKbPbPKlPlN2at6native12_GLOBAL__N_18offset_tEEE10hipError_tPvRmT1_PNSt15iterator_traitsISY_E10value_typeET2_T3_PNSZ_IS14_E10value_typeET4_jRbjT5_S1A_jjP12ihipStream_tbEUljE_EEESV_SW_SX_S14_S18_S1A_T6_T7_T9_mT8_S1C_bDpT10_ENKUlT_T0_E_clISt17integral_constantIbLb1EES1O_IbLb0EEEEDaS1K_S1L_EUlS1K_E_NS1_11comp_targetILNS1_3genE5ELNS1_11target_archE942ELNS1_3gpuE9ELNS1_3repE0EEENS1_30default_config_static_selectorELNS0_4arch9wavefront6targetE0EEEvSY_,@function
_ZN7rocprim17ROCPRIM_400000_NS6detail17trampoline_kernelINS0_13select_configILj256ELj13ELNS0_17block_load_methodE3ELS4_3ELS4_3ELNS0_20block_scan_algorithmE0ELj4294967295EEENS1_25partition_config_selectorILNS1_17partition_subalgoE3EjNS0_10empty_typeEbEEZZNS1_14partition_implILS8_3ELb0ES6_jNS0_17counting_iteratorIjlEEPS9_SE_NS0_5tupleIJPjSE_EEENSF_IJSE_SE_EEES9_SG_JZNS1_25segmented_radix_sort_implINS0_14default_configELb1EPKbPbPKlPlN2at6native12_GLOBAL__N_18offset_tEEE10hipError_tPvRmT1_PNSt15iterator_traitsISY_E10value_typeET2_T3_PNSZ_IS14_E10value_typeET4_jRbjT5_S1A_jjP12ihipStream_tbEUljE_EEESV_SW_SX_S14_S18_S1A_T6_T7_T9_mT8_S1C_bDpT10_ENKUlT_T0_E_clISt17integral_constantIbLb1EES1O_IbLb0EEEEDaS1K_S1L_EUlS1K_E_NS1_11comp_targetILNS1_3genE5ELNS1_11target_archE942ELNS1_3gpuE9ELNS1_3repE0EEENS1_30default_config_static_selectorELNS0_4arch9wavefront6targetE0EEEvSY_: ; @_ZN7rocprim17ROCPRIM_400000_NS6detail17trampoline_kernelINS0_13select_configILj256ELj13ELNS0_17block_load_methodE3ELS4_3ELS4_3ELNS0_20block_scan_algorithmE0ELj4294967295EEENS1_25partition_config_selectorILNS1_17partition_subalgoE3EjNS0_10empty_typeEbEEZZNS1_14partition_implILS8_3ELb0ES6_jNS0_17counting_iteratorIjlEEPS9_SE_NS0_5tupleIJPjSE_EEENSF_IJSE_SE_EEES9_SG_JZNS1_25segmented_radix_sort_implINS0_14default_configELb1EPKbPbPKlPlN2at6native12_GLOBAL__N_18offset_tEEE10hipError_tPvRmT1_PNSt15iterator_traitsISY_E10value_typeET2_T3_PNSZ_IS14_E10value_typeET4_jRbjT5_S1A_jjP12ihipStream_tbEUljE_EEESV_SW_SX_S14_S18_S1A_T6_T7_T9_mT8_S1C_bDpT10_ENKUlT_T0_E_clISt17integral_constantIbLb1EES1O_IbLb0EEEEDaS1K_S1L_EUlS1K_E_NS1_11comp_targetILNS1_3genE5ELNS1_11target_archE942ELNS1_3gpuE9ELNS1_3repE0EEENS1_30default_config_static_selectorELNS0_4arch9wavefront6targetE0EEEvSY_
; %bb.0:
	.section	.rodata,"a",@progbits
	.p2align	6, 0x0
	.amdhsa_kernel _ZN7rocprim17ROCPRIM_400000_NS6detail17trampoline_kernelINS0_13select_configILj256ELj13ELNS0_17block_load_methodE3ELS4_3ELS4_3ELNS0_20block_scan_algorithmE0ELj4294967295EEENS1_25partition_config_selectorILNS1_17partition_subalgoE3EjNS0_10empty_typeEbEEZZNS1_14partition_implILS8_3ELb0ES6_jNS0_17counting_iteratorIjlEEPS9_SE_NS0_5tupleIJPjSE_EEENSF_IJSE_SE_EEES9_SG_JZNS1_25segmented_radix_sort_implINS0_14default_configELb1EPKbPbPKlPlN2at6native12_GLOBAL__N_18offset_tEEE10hipError_tPvRmT1_PNSt15iterator_traitsISY_E10value_typeET2_T3_PNSZ_IS14_E10value_typeET4_jRbjT5_S1A_jjP12ihipStream_tbEUljE_EEESV_SW_SX_S14_S18_S1A_T6_T7_T9_mT8_S1C_bDpT10_ENKUlT_T0_E_clISt17integral_constantIbLb1EES1O_IbLb0EEEEDaS1K_S1L_EUlS1K_E_NS1_11comp_targetILNS1_3genE5ELNS1_11target_archE942ELNS1_3gpuE9ELNS1_3repE0EEENS1_30default_config_static_selectorELNS0_4arch9wavefront6targetE0EEEvSY_
		.amdhsa_group_segment_fixed_size 0
		.amdhsa_private_segment_fixed_size 0
		.amdhsa_kernarg_size 144
		.amdhsa_user_sgpr_count 2
		.amdhsa_user_sgpr_dispatch_ptr 0
		.amdhsa_user_sgpr_queue_ptr 0
		.amdhsa_user_sgpr_kernarg_segment_ptr 1
		.amdhsa_user_sgpr_dispatch_id 0
		.amdhsa_user_sgpr_kernarg_preload_length 0
		.amdhsa_user_sgpr_kernarg_preload_offset 0
		.amdhsa_user_sgpr_private_segment_size 0
		.amdhsa_wavefront_size32 1
		.amdhsa_uses_dynamic_stack 0
		.amdhsa_enable_private_segment 0
		.amdhsa_system_sgpr_workgroup_id_x 1
		.amdhsa_system_sgpr_workgroup_id_y 0
		.amdhsa_system_sgpr_workgroup_id_z 0
		.amdhsa_system_sgpr_workgroup_info 0
		.amdhsa_system_vgpr_workitem_id 0
		.amdhsa_next_free_vgpr 1
		.amdhsa_next_free_sgpr 1
		.amdhsa_named_barrier_count 0
		.amdhsa_reserve_vcc 0
		.amdhsa_float_round_mode_32 0
		.amdhsa_float_round_mode_16_64 0
		.amdhsa_float_denorm_mode_32 3
		.amdhsa_float_denorm_mode_16_64 3
		.amdhsa_fp16_overflow 0
		.amdhsa_memory_ordered 1
		.amdhsa_forward_progress 1
		.amdhsa_inst_pref_size 0
		.amdhsa_round_robin_scheduling 0
		.amdhsa_exception_fp_ieee_invalid_op 0
		.amdhsa_exception_fp_denorm_src 0
		.amdhsa_exception_fp_ieee_div_zero 0
		.amdhsa_exception_fp_ieee_overflow 0
		.amdhsa_exception_fp_ieee_underflow 0
		.amdhsa_exception_fp_ieee_inexact 0
		.amdhsa_exception_int_div_zero 0
	.end_amdhsa_kernel
	.section	.text._ZN7rocprim17ROCPRIM_400000_NS6detail17trampoline_kernelINS0_13select_configILj256ELj13ELNS0_17block_load_methodE3ELS4_3ELS4_3ELNS0_20block_scan_algorithmE0ELj4294967295EEENS1_25partition_config_selectorILNS1_17partition_subalgoE3EjNS0_10empty_typeEbEEZZNS1_14partition_implILS8_3ELb0ES6_jNS0_17counting_iteratorIjlEEPS9_SE_NS0_5tupleIJPjSE_EEENSF_IJSE_SE_EEES9_SG_JZNS1_25segmented_radix_sort_implINS0_14default_configELb1EPKbPbPKlPlN2at6native12_GLOBAL__N_18offset_tEEE10hipError_tPvRmT1_PNSt15iterator_traitsISY_E10value_typeET2_T3_PNSZ_IS14_E10value_typeET4_jRbjT5_S1A_jjP12ihipStream_tbEUljE_EEESV_SW_SX_S14_S18_S1A_T6_T7_T9_mT8_S1C_bDpT10_ENKUlT_T0_E_clISt17integral_constantIbLb1EES1O_IbLb0EEEEDaS1K_S1L_EUlS1K_E_NS1_11comp_targetILNS1_3genE5ELNS1_11target_archE942ELNS1_3gpuE9ELNS1_3repE0EEENS1_30default_config_static_selectorELNS0_4arch9wavefront6targetE0EEEvSY_,"axG",@progbits,_ZN7rocprim17ROCPRIM_400000_NS6detail17trampoline_kernelINS0_13select_configILj256ELj13ELNS0_17block_load_methodE3ELS4_3ELS4_3ELNS0_20block_scan_algorithmE0ELj4294967295EEENS1_25partition_config_selectorILNS1_17partition_subalgoE3EjNS0_10empty_typeEbEEZZNS1_14partition_implILS8_3ELb0ES6_jNS0_17counting_iteratorIjlEEPS9_SE_NS0_5tupleIJPjSE_EEENSF_IJSE_SE_EEES9_SG_JZNS1_25segmented_radix_sort_implINS0_14default_configELb1EPKbPbPKlPlN2at6native12_GLOBAL__N_18offset_tEEE10hipError_tPvRmT1_PNSt15iterator_traitsISY_E10value_typeET2_T3_PNSZ_IS14_E10value_typeET4_jRbjT5_S1A_jjP12ihipStream_tbEUljE_EEESV_SW_SX_S14_S18_S1A_T6_T7_T9_mT8_S1C_bDpT10_ENKUlT_T0_E_clISt17integral_constantIbLb1EES1O_IbLb0EEEEDaS1K_S1L_EUlS1K_E_NS1_11comp_targetILNS1_3genE5ELNS1_11target_archE942ELNS1_3gpuE9ELNS1_3repE0EEENS1_30default_config_static_selectorELNS0_4arch9wavefront6targetE0EEEvSY_,comdat
.Lfunc_end1509:
	.size	_ZN7rocprim17ROCPRIM_400000_NS6detail17trampoline_kernelINS0_13select_configILj256ELj13ELNS0_17block_load_methodE3ELS4_3ELS4_3ELNS0_20block_scan_algorithmE0ELj4294967295EEENS1_25partition_config_selectorILNS1_17partition_subalgoE3EjNS0_10empty_typeEbEEZZNS1_14partition_implILS8_3ELb0ES6_jNS0_17counting_iteratorIjlEEPS9_SE_NS0_5tupleIJPjSE_EEENSF_IJSE_SE_EEES9_SG_JZNS1_25segmented_radix_sort_implINS0_14default_configELb1EPKbPbPKlPlN2at6native12_GLOBAL__N_18offset_tEEE10hipError_tPvRmT1_PNSt15iterator_traitsISY_E10value_typeET2_T3_PNSZ_IS14_E10value_typeET4_jRbjT5_S1A_jjP12ihipStream_tbEUljE_EEESV_SW_SX_S14_S18_S1A_T6_T7_T9_mT8_S1C_bDpT10_ENKUlT_T0_E_clISt17integral_constantIbLb1EES1O_IbLb0EEEEDaS1K_S1L_EUlS1K_E_NS1_11comp_targetILNS1_3genE5ELNS1_11target_archE942ELNS1_3gpuE9ELNS1_3repE0EEENS1_30default_config_static_selectorELNS0_4arch9wavefront6targetE0EEEvSY_, .Lfunc_end1509-_ZN7rocprim17ROCPRIM_400000_NS6detail17trampoline_kernelINS0_13select_configILj256ELj13ELNS0_17block_load_methodE3ELS4_3ELS4_3ELNS0_20block_scan_algorithmE0ELj4294967295EEENS1_25partition_config_selectorILNS1_17partition_subalgoE3EjNS0_10empty_typeEbEEZZNS1_14partition_implILS8_3ELb0ES6_jNS0_17counting_iteratorIjlEEPS9_SE_NS0_5tupleIJPjSE_EEENSF_IJSE_SE_EEES9_SG_JZNS1_25segmented_radix_sort_implINS0_14default_configELb1EPKbPbPKlPlN2at6native12_GLOBAL__N_18offset_tEEE10hipError_tPvRmT1_PNSt15iterator_traitsISY_E10value_typeET2_T3_PNSZ_IS14_E10value_typeET4_jRbjT5_S1A_jjP12ihipStream_tbEUljE_EEESV_SW_SX_S14_S18_S1A_T6_T7_T9_mT8_S1C_bDpT10_ENKUlT_T0_E_clISt17integral_constantIbLb1EES1O_IbLb0EEEEDaS1K_S1L_EUlS1K_E_NS1_11comp_targetILNS1_3genE5ELNS1_11target_archE942ELNS1_3gpuE9ELNS1_3repE0EEENS1_30default_config_static_selectorELNS0_4arch9wavefront6targetE0EEEvSY_
                                        ; -- End function
	.set _ZN7rocprim17ROCPRIM_400000_NS6detail17trampoline_kernelINS0_13select_configILj256ELj13ELNS0_17block_load_methodE3ELS4_3ELS4_3ELNS0_20block_scan_algorithmE0ELj4294967295EEENS1_25partition_config_selectorILNS1_17partition_subalgoE3EjNS0_10empty_typeEbEEZZNS1_14partition_implILS8_3ELb0ES6_jNS0_17counting_iteratorIjlEEPS9_SE_NS0_5tupleIJPjSE_EEENSF_IJSE_SE_EEES9_SG_JZNS1_25segmented_radix_sort_implINS0_14default_configELb1EPKbPbPKlPlN2at6native12_GLOBAL__N_18offset_tEEE10hipError_tPvRmT1_PNSt15iterator_traitsISY_E10value_typeET2_T3_PNSZ_IS14_E10value_typeET4_jRbjT5_S1A_jjP12ihipStream_tbEUljE_EEESV_SW_SX_S14_S18_S1A_T6_T7_T9_mT8_S1C_bDpT10_ENKUlT_T0_E_clISt17integral_constantIbLb1EES1O_IbLb0EEEEDaS1K_S1L_EUlS1K_E_NS1_11comp_targetILNS1_3genE5ELNS1_11target_archE942ELNS1_3gpuE9ELNS1_3repE0EEENS1_30default_config_static_selectorELNS0_4arch9wavefront6targetE0EEEvSY_.num_vgpr, 0
	.set _ZN7rocprim17ROCPRIM_400000_NS6detail17trampoline_kernelINS0_13select_configILj256ELj13ELNS0_17block_load_methodE3ELS4_3ELS4_3ELNS0_20block_scan_algorithmE0ELj4294967295EEENS1_25partition_config_selectorILNS1_17partition_subalgoE3EjNS0_10empty_typeEbEEZZNS1_14partition_implILS8_3ELb0ES6_jNS0_17counting_iteratorIjlEEPS9_SE_NS0_5tupleIJPjSE_EEENSF_IJSE_SE_EEES9_SG_JZNS1_25segmented_radix_sort_implINS0_14default_configELb1EPKbPbPKlPlN2at6native12_GLOBAL__N_18offset_tEEE10hipError_tPvRmT1_PNSt15iterator_traitsISY_E10value_typeET2_T3_PNSZ_IS14_E10value_typeET4_jRbjT5_S1A_jjP12ihipStream_tbEUljE_EEESV_SW_SX_S14_S18_S1A_T6_T7_T9_mT8_S1C_bDpT10_ENKUlT_T0_E_clISt17integral_constantIbLb1EES1O_IbLb0EEEEDaS1K_S1L_EUlS1K_E_NS1_11comp_targetILNS1_3genE5ELNS1_11target_archE942ELNS1_3gpuE9ELNS1_3repE0EEENS1_30default_config_static_selectorELNS0_4arch9wavefront6targetE0EEEvSY_.num_agpr, 0
	.set _ZN7rocprim17ROCPRIM_400000_NS6detail17trampoline_kernelINS0_13select_configILj256ELj13ELNS0_17block_load_methodE3ELS4_3ELS4_3ELNS0_20block_scan_algorithmE0ELj4294967295EEENS1_25partition_config_selectorILNS1_17partition_subalgoE3EjNS0_10empty_typeEbEEZZNS1_14partition_implILS8_3ELb0ES6_jNS0_17counting_iteratorIjlEEPS9_SE_NS0_5tupleIJPjSE_EEENSF_IJSE_SE_EEES9_SG_JZNS1_25segmented_radix_sort_implINS0_14default_configELb1EPKbPbPKlPlN2at6native12_GLOBAL__N_18offset_tEEE10hipError_tPvRmT1_PNSt15iterator_traitsISY_E10value_typeET2_T3_PNSZ_IS14_E10value_typeET4_jRbjT5_S1A_jjP12ihipStream_tbEUljE_EEESV_SW_SX_S14_S18_S1A_T6_T7_T9_mT8_S1C_bDpT10_ENKUlT_T0_E_clISt17integral_constantIbLb1EES1O_IbLb0EEEEDaS1K_S1L_EUlS1K_E_NS1_11comp_targetILNS1_3genE5ELNS1_11target_archE942ELNS1_3gpuE9ELNS1_3repE0EEENS1_30default_config_static_selectorELNS0_4arch9wavefront6targetE0EEEvSY_.numbered_sgpr, 0
	.set _ZN7rocprim17ROCPRIM_400000_NS6detail17trampoline_kernelINS0_13select_configILj256ELj13ELNS0_17block_load_methodE3ELS4_3ELS4_3ELNS0_20block_scan_algorithmE0ELj4294967295EEENS1_25partition_config_selectorILNS1_17partition_subalgoE3EjNS0_10empty_typeEbEEZZNS1_14partition_implILS8_3ELb0ES6_jNS0_17counting_iteratorIjlEEPS9_SE_NS0_5tupleIJPjSE_EEENSF_IJSE_SE_EEES9_SG_JZNS1_25segmented_radix_sort_implINS0_14default_configELb1EPKbPbPKlPlN2at6native12_GLOBAL__N_18offset_tEEE10hipError_tPvRmT1_PNSt15iterator_traitsISY_E10value_typeET2_T3_PNSZ_IS14_E10value_typeET4_jRbjT5_S1A_jjP12ihipStream_tbEUljE_EEESV_SW_SX_S14_S18_S1A_T6_T7_T9_mT8_S1C_bDpT10_ENKUlT_T0_E_clISt17integral_constantIbLb1EES1O_IbLb0EEEEDaS1K_S1L_EUlS1K_E_NS1_11comp_targetILNS1_3genE5ELNS1_11target_archE942ELNS1_3gpuE9ELNS1_3repE0EEENS1_30default_config_static_selectorELNS0_4arch9wavefront6targetE0EEEvSY_.num_named_barrier, 0
	.set _ZN7rocprim17ROCPRIM_400000_NS6detail17trampoline_kernelINS0_13select_configILj256ELj13ELNS0_17block_load_methodE3ELS4_3ELS4_3ELNS0_20block_scan_algorithmE0ELj4294967295EEENS1_25partition_config_selectorILNS1_17partition_subalgoE3EjNS0_10empty_typeEbEEZZNS1_14partition_implILS8_3ELb0ES6_jNS0_17counting_iteratorIjlEEPS9_SE_NS0_5tupleIJPjSE_EEENSF_IJSE_SE_EEES9_SG_JZNS1_25segmented_radix_sort_implINS0_14default_configELb1EPKbPbPKlPlN2at6native12_GLOBAL__N_18offset_tEEE10hipError_tPvRmT1_PNSt15iterator_traitsISY_E10value_typeET2_T3_PNSZ_IS14_E10value_typeET4_jRbjT5_S1A_jjP12ihipStream_tbEUljE_EEESV_SW_SX_S14_S18_S1A_T6_T7_T9_mT8_S1C_bDpT10_ENKUlT_T0_E_clISt17integral_constantIbLb1EES1O_IbLb0EEEEDaS1K_S1L_EUlS1K_E_NS1_11comp_targetILNS1_3genE5ELNS1_11target_archE942ELNS1_3gpuE9ELNS1_3repE0EEENS1_30default_config_static_selectorELNS0_4arch9wavefront6targetE0EEEvSY_.private_seg_size, 0
	.set _ZN7rocprim17ROCPRIM_400000_NS6detail17trampoline_kernelINS0_13select_configILj256ELj13ELNS0_17block_load_methodE3ELS4_3ELS4_3ELNS0_20block_scan_algorithmE0ELj4294967295EEENS1_25partition_config_selectorILNS1_17partition_subalgoE3EjNS0_10empty_typeEbEEZZNS1_14partition_implILS8_3ELb0ES6_jNS0_17counting_iteratorIjlEEPS9_SE_NS0_5tupleIJPjSE_EEENSF_IJSE_SE_EEES9_SG_JZNS1_25segmented_radix_sort_implINS0_14default_configELb1EPKbPbPKlPlN2at6native12_GLOBAL__N_18offset_tEEE10hipError_tPvRmT1_PNSt15iterator_traitsISY_E10value_typeET2_T3_PNSZ_IS14_E10value_typeET4_jRbjT5_S1A_jjP12ihipStream_tbEUljE_EEESV_SW_SX_S14_S18_S1A_T6_T7_T9_mT8_S1C_bDpT10_ENKUlT_T0_E_clISt17integral_constantIbLb1EES1O_IbLb0EEEEDaS1K_S1L_EUlS1K_E_NS1_11comp_targetILNS1_3genE5ELNS1_11target_archE942ELNS1_3gpuE9ELNS1_3repE0EEENS1_30default_config_static_selectorELNS0_4arch9wavefront6targetE0EEEvSY_.uses_vcc, 0
	.set _ZN7rocprim17ROCPRIM_400000_NS6detail17trampoline_kernelINS0_13select_configILj256ELj13ELNS0_17block_load_methodE3ELS4_3ELS4_3ELNS0_20block_scan_algorithmE0ELj4294967295EEENS1_25partition_config_selectorILNS1_17partition_subalgoE3EjNS0_10empty_typeEbEEZZNS1_14partition_implILS8_3ELb0ES6_jNS0_17counting_iteratorIjlEEPS9_SE_NS0_5tupleIJPjSE_EEENSF_IJSE_SE_EEES9_SG_JZNS1_25segmented_radix_sort_implINS0_14default_configELb1EPKbPbPKlPlN2at6native12_GLOBAL__N_18offset_tEEE10hipError_tPvRmT1_PNSt15iterator_traitsISY_E10value_typeET2_T3_PNSZ_IS14_E10value_typeET4_jRbjT5_S1A_jjP12ihipStream_tbEUljE_EEESV_SW_SX_S14_S18_S1A_T6_T7_T9_mT8_S1C_bDpT10_ENKUlT_T0_E_clISt17integral_constantIbLb1EES1O_IbLb0EEEEDaS1K_S1L_EUlS1K_E_NS1_11comp_targetILNS1_3genE5ELNS1_11target_archE942ELNS1_3gpuE9ELNS1_3repE0EEENS1_30default_config_static_selectorELNS0_4arch9wavefront6targetE0EEEvSY_.uses_flat_scratch, 0
	.set _ZN7rocprim17ROCPRIM_400000_NS6detail17trampoline_kernelINS0_13select_configILj256ELj13ELNS0_17block_load_methodE3ELS4_3ELS4_3ELNS0_20block_scan_algorithmE0ELj4294967295EEENS1_25partition_config_selectorILNS1_17partition_subalgoE3EjNS0_10empty_typeEbEEZZNS1_14partition_implILS8_3ELb0ES6_jNS0_17counting_iteratorIjlEEPS9_SE_NS0_5tupleIJPjSE_EEENSF_IJSE_SE_EEES9_SG_JZNS1_25segmented_radix_sort_implINS0_14default_configELb1EPKbPbPKlPlN2at6native12_GLOBAL__N_18offset_tEEE10hipError_tPvRmT1_PNSt15iterator_traitsISY_E10value_typeET2_T3_PNSZ_IS14_E10value_typeET4_jRbjT5_S1A_jjP12ihipStream_tbEUljE_EEESV_SW_SX_S14_S18_S1A_T6_T7_T9_mT8_S1C_bDpT10_ENKUlT_T0_E_clISt17integral_constantIbLb1EES1O_IbLb0EEEEDaS1K_S1L_EUlS1K_E_NS1_11comp_targetILNS1_3genE5ELNS1_11target_archE942ELNS1_3gpuE9ELNS1_3repE0EEENS1_30default_config_static_selectorELNS0_4arch9wavefront6targetE0EEEvSY_.has_dyn_sized_stack, 0
	.set _ZN7rocprim17ROCPRIM_400000_NS6detail17trampoline_kernelINS0_13select_configILj256ELj13ELNS0_17block_load_methodE3ELS4_3ELS4_3ELNS0_20block_scan_algorithmE0ELj4294967295EEENS1_25partition_config_selectorILNS1_17partition_subalgoE3EjNS0_10empty_typeEbEEZZNS1_14partition_implILS8_3ELb0ES6_jNS0_17counting_iteratorIjlEEPS9_SE_NS0_5tupleIJPjSE_EEENSF_IJSE_SE_EEES9_SG_JZNS1_25segmented_radix_sort_implINS0_14default_configELb1EPKbPbPKlPlN2at6native12_GLOBAL__N_18offset_tEEE10hipError_tPvRmT1_PNSt15iterator_traitsISY_E10value_typeET2_T3_PNSZ_IS14_E10value_typeET4_jRbjT5_S1A_jjP12ihipStream_tbEUljE_EEESV_SW_SX_S14_S18_S1A_T6_T7_T9_mT8_S1C_bDpT10_ENKUlT_T0_E_clISt17integral_constantIbLb1EES1O_IbLb0EEEEDaS1K_S1L_EUlS1K_E_NS1_11comp_targetILNS1_3genE5ELNS1_11target_archE942ELNS1_3gpuE9ELNS1_3repE0EEENS1_30default_config_static_selectorELNS0_4arch9wavefront6targetE0EEEvSY_.has_recursion, 0
	.set _ZN7rocprim17ROCPRIM_400000_NS6detail17trampoline_kernelINS0_13select_configILj256ELj13ELNS0_17block_load_methodE3ELS4_3ELS4_3ELNS0_20block_scan_algorithmE0ELj4294967295EEENS1_25partition_config_selectorILNS1_17partition_subalgoE3EjNS0_10empty_typeEbEEZZNS1_14partition_implILS8_3ELb0ES6_jNS0_17counting_iteratorIjlEEPS9_SE_NS0_5tupleIJPjSE_EEENSF_IJSE_SE_EEES9_SG_JZNS1_25segmented_radix_sort_implINS0_14default_configELb1EPKbPbPKlPlN2at6native12_GLOBAL__N_18offset_tEEE10hipError_tPvRmT1_PNSt15iterator_traitsISY_E10value_typeET2_T3_PNSZ_IS14_E10value_typeET4_jRbjT5_S1A_jjP12ihipStream_tbEUljE_EEESV_SW_SX_S14_S18_S1A_T6_T7_T9_mT8_S1C_bDpT10_ENKUlT_T0_E_clISt17integral_constantIbLb1EES1O_IbLb0EEEEDaS1K_S1L_EUlS1K_E_NS1_11comp_targetILNS1_3genE5ELNS1_11target_archE942ELNS1_3gpuE9ELNS1_3repE0EEENS1_30default_config_static_selectorELNS0_4arch9wavefront6targetE0EEEvSY_.has_indirect_call, 0
	.section	.AMDGPU.csdata,"",@progbits
; Kernel info:
; codeLenInByte = 0
; TotalNumSgprs: 0
; NumVgprs: 0
; ScratchSize: 0
; MemoryBound: 0
; FloatMode: 240
; IeeeMode: 1
; LDSByteSize: 0 bytes/workgroup (compile time only)
; SGPRBlocks: 0
; VGPRBlocks: 0
; NumSGPRsForWavesPerEU: 1
; NumVGPRsForWavesPerEU: 1
; NamedBarCnt: 0
; Occupancy: 16
; WaveLimiterHint : 0
; COMPUTE_PGM_RSRC2:SCRATCH_EN: 0
; COMPUTE_PGM_RSRC2:USER_SGPR: 2
; COMPUTE_PGM_RSRC2:TRAP_HANDLER: 0
; COMPUTE_PGM_RSRC2:TGID_X_EN: 1
; COMPUTE_PGM_RSRC2:TGID_Y_EN: 0
; COMPUTE_PGM_RSRC2:TGID_Z_EN: 0
; COMPUTE_PGM_RSRC2:TIDIG_COMP_CNT: 0
	.section	.text._ZN7rocprim17ROCPRIM_400000_NS6detail17trampoline_kernelINS0_13select_configILj256ELj13ELNS0_17block_load_methodE3ELS4_3ELS4_3ELNS0_20block_scan_algorithmE0ELj4294967295EEENS1_25partition_config_selectorILNS1_17partition_subalgoE3EjNS0_10empty_typeEbEEZZNS1_14partition_implILS8_3ELb0ES6_jNS0_17counting_iteratorIjlEEPS9_SE_NS0_5tupleIJPjSE_EEENSF_IJSE_SE_EEES9_SG_JZNS1_25segmented_radix_sort_implINS0_14default_configELb1EPKbPbPKlPlN2at6native12_GLOBAL__N_18offset_tEEE10hipError_tPvRmT1_PNSt15iterator_traitsISY_E10value_typeET2_T3_PNSZ_IS14_E10value_typeET4_jRbjT5_S1A_jjP12ihipStream_tbEUljE_EEESV_SW_SX_S14_S18_S1A_T6_T7_T9_mT8_S1C_bDpT10_ENKUlT_T0_E_clISt17integral_constantIbLb1EES1O_IbLb0EEEEDaS1K_S1L_EUlS1K_E_NS1_11comp_targetILNS1_3genE4ELNS1_11target_archE910ELNS1_3gpuE8ELNS1_3repE0EEENS1_30default_config_static_selectorELNS0_4arch9wavefront6targetE0EEEvSY_,"axG",@progbits,_ZN7rocprim17ROCPRIM_400000_NS6detail17trampoline_kernelINS0_13select_configILj256ELj13ELNS0_17block_load_methodE3ELS4_3ELS4_3ELNS0_20block_scan_algorithmE0ELj4294967295EEENS1_25partition_config_selectorILNS1_17partition_subalgoE3EjNS0_10empty_typeEbEEZZNS1_14partition_implILS8_3ELb0ES6_jNS0_17counting_iteratorIjlEEPS9_SE_NS0_5tupleIJPjSE_EEENSF_IJSE_SE_EEES9_SG_JZNS1_25segmented_radix_sort_implINS0_14default_configELb1EPKbPbPKlPlN2at6native12_GLOBAL__N_18offset_tEEE10hipError_tPvRmT1_PNSt15iterator_traitsISY_E10value_typeET2_T3_PNSZ_IS14_E10value_typeET4_jRbjT5_S1A_jjP12ihipStream_tbEUljE_EEESV_SW_SX_S14_S18_S1A_T6_T7_T9_mT8_S1C_bDpT10_ENKUlT_T0_E_clISt17integral_constantIbLb1EES1O_IbLb0EEEEDaS1K_S1L_EUlS1K_E_NS1_11comp_targetILNS1_3genE4ELNS1_11target_archE910ELNS1_3gpuE8ELNS1_3repE0EEENS1_30default_config_static_selectorELNS0_4arch9wavefront6targetE0EEEvSY_,comdat
	.globl	_ZN7rocprim17ROCPRIM_400000_NS6detail17trampoline_kernelINS0_13select_configILj256ELj13ELNS0_17block_load_methodE3ELS4_3ELS4_3ELNS0_20block_scan_algorithmE0ELj4294967295EEENS1_25partition_config_selectorILNS1_17partition_subalgoE3EjNS0_10empty_typeEbEEZZNS1_14partition_implILS8_3ELb0ES6_jNS0_17counting_iteratorIjlEEPS9_SE_NS0_5tupleIJPjSE_EEENSF_IJSE_SE_EEES9_SG_JZNS1_25segmented_radix_sort_implINS0_14default_configELb1EPKbPbPKlPlN2at6native12_GLOBAL__N_18offset_tEEE10hipError_tPvRmT1_PNSt15iterator_traitsISY_E10value_typeET2_T3_PNSZ_IS14_E10value_typeET4_jRbjT5_S1A_jjP12ihipStream_tbEUljE_EEESV_SW_SX_S14_S18_S1A_T6_T7_T9_mT8_S1C_bDpT10_ENKUlT_T0_E_clISt17integral_constantIbLb1EES1O_IbLb0EEEEDaS1K_S1L_EUlS1K_E_NS1_11comp_targetILNS1_3genE4ELNS1_11target_archE910ELNS1_3gpuE8ELNS1_3repE0EEENS1_30default_config_static_selectorELNS0_4arch9wavefront6targetE0EEEvSY_ ; -- Begin function _ZN7rocprim17ROCPRIM_400000_NS6detail17trampoline_kernelINS0_13select_configILj256ELj13ELNS0_17block_load_methodE3ELS4_3ELS4_3ELNS0_20block_scan_algorithmE0ELj4294967295EEENS1_25partition_config_selectorILNS1_17partition_subalgoE3EjNS0_10empty_typeEbEEZZNS1_14partition_implILS8_3ELb0ES6_jNS0_17counting_iteratorIjlEEPS9_SE_NS0_5tupleIJPjSE_EEENSF_IJSE_SE_EEES9_SG_JZNS1_25segmented_radix_sort_implINS0_14default_configELb1EPKbPbPKlPlN2at6native12_GLOBAL__N_18offset_tEEE10hipError_tPvRmT1_PNSt15iterator_traitsISY_E10value_typeET2_T3_PNSZ_IS14_E10value_typeET4_jRbjT5_S1A_jjP12ihipStream_tbEUljE_EEESV_SW_SX_S14_S18_S1A_T6_T7_T9_mT8_S1C_bDpT10_ENKUlT_T0_E_clISt17integral_constantIbLb1EES1O_IbLb0EEEEDaS1K_S1L_EUlS1K_E_NS1_11comp_targetILNS1_3genE4ELNS1_11target_archE910ELNS1_3gpuE8ELNS1_3repE0EEENS1_30default_config_static_selectorELNS0_4arch9wavefront6targetE0EEEvSY_
	.p2align	8
	.type	_ZN7rocprim17ROCPRIM_400000_NS6detail17trampoline_kernelINS0_13select_configILj256ELj13ELNS0_17block_load_methodE3ELS4_3ELS4_3ELNS0_20block_scan_algorithmE0ELj4294967295EEENS1_25partition_config_selectorILNS1_17partition_subalgoE3EjNS0_10empty_typeEbEEZZNS1_14partition_implILS8_3ELb0ES6_jNS0_17counting_iteratorIjlEEPS9_SE_NS0_5tupleIJPjSE_EEENSF_IJSE_SE_EEES9_SG_JZNS1_25segmented_radix_sort_implINS0_14default_configELb1EPKbPbPKlPlN2at6native12_GLOBAL__N_18offset_tEEE10hipError_tPvRmT1_PNSt15iterator_traitsISY_E10value_typeET2_T3_PNSZ_IS14_E10value_typeET4_jRbjT5_S1A_jjP12ihipStream_tbEUljE_EEESV_SW_SX_S14_S18_S1A_T6_T7_T9_mT8_S1C_bDpT10_ENKUlT_T0_E_clISt17integral_constantIbLb1EES1O_IbLb0EEEEDaS1K_S1L_EUlS1K_E_NS1_11comp_targetILNS1_3genE4ELNS1_11target_archE910ELNS1_3gpuE8ELNS1_3repE0EEENS1_30default_config_static_selectorELNS0_4arch9wavefront6targetE0EEEvSY_,@function
_ZN7rocprim17ROCPRIM_400000_NS6detail17trampoline_kernelINS0_13select_configILj256ELj13ELNS0_17block_load_methodE3ELS4_3ELS4_3ELNS0_20block_scan_algorithmE0ELj4294967295EEENS1_25partition_config_selectorILNS1_17partition_subalgoE3EjNS0_10empty_typeEbEEZZNS1_14partition_implILS8_3ELb0ES6_jNS0_17counting_iteratorIjlEEPS9_SE_NS0_5tupleIJPjSE_EEENSF_IJSE_SE_EEES9_SG_JZNS1_25segmented_radix_sort_implINS0_14default_configELb1EPKbPbPKlPlN2at6native12_GLOBAL__N_18offset_tEEE10hipError_tPvRmT1_PNSt15iterator_traitsISY_E10value_typeET2_T3_PNSZ_IS14_E10value_typeET4_jRbjT5_S1A_jjP12ihipStream_tbEUljE_EEESV_SW_SX_S14_S18_S1A_T6_T7_T9_mT8_S1C_bDpT10_ENKUlT_T0_E_clISt17integral_constantIbLb1EES1O_IbLb0EEEEDaS1K_S1L_EUlS1K_E_NS1_11comp_targetILNS1_3genE4ELNS1_11target_archE910ELNS1_3gpuE8ELNS1_3repE0EEENS1_30default_config_static_selectorELNS0_4arch9wavefront6targetE0EEEvSY_: ; @_ZN7rocprim17ROCPRIM_400000_NS6detail17trampoline_kernelINS0_13select_configILj256ELj13ELNS0_17block_load_methodE3ELS4_3ELS4_3ELNS0_20block_scan_algorithmE0ELj4294967295EEENS1_25partition_config_selectorILNS1_17partition_subalgoE3EjNS0_10empty_typeEbEEZZNS1_14partition_implILS8_3ELb0ES6_jNS0_17counting_iteratorIjlEEPS9_SE_NS0_5tupleIJPjSE_EEENSF_IJSE_SE_EEES9_SG_JZNS1_25segmented_radix_sort_implINS0_14default_configELb1EPKbPbPKlPlN2at6native12_GLOBAL__N_18offset_tEEE10hipError_tPvRmT1_PNSt15iterator_traitsISY_E10value_typeET2_T3_PNSZ_IS14_E10value_typeET4_jRbjT5_S1A_jjP12ihipStream_tbEUljE_EEESV_SW_SX_S14_S18_S1A_T6_T7_T9_mT8_S1C_bDpT10_ENKUlT_T0_E_clISt17integral_constantIbLb1EES1O_IbLb0EEEEDaS1K_S1L_EUlS1K_E_NS1_11comp_targetILNS1_3genE4ELNS1_11target_archE910ELNS1_3gpuE8ELNS1_3repE0EEENS1_30default_config_static_selectorELNS0_4arch9wavefront6targetE0EEEvSY_
; %bb.0:
	.section	.rodata,"a",@progbits
	.p2align	6, 0x0
	.amdhsa_kernel _ZN7rocprim17ROCPRIM_400000_NS6detail17trampoline_kernelINS0_13select_configILj256ELj13ELNS0_17block_load_methodE3ELS4_3ELS4_3ELNS0_20block_scan_algorithmE0ELj4294967295EEENS1_25partition_config_selectorILNS1_17partition_subalgoE3EjNS0_10empty_typeEbEEZZNS1_14partition_implILS8_3ELb0ES6_jNS0_17counting_iteratorIjlEEPS9_SE_NS0_5tupleIJPjSE_EEENSF_IJSE_SE_EEES9_SG_JZNS1_25segmented_radix_sort_implINS0_14default_configELb1EPKbPbPKlPlN2at6native12_GLOBAL__N_18offset_tEEE10hipError_tPvRmT1_PNSt15iterator_traitsISY_E10value_typeET2_T3_PNSZ_IS14_E10value_typeET4_jRbjT5_S1A_jjP12ihipStream_tbEUljE_EEESV_SW_SX_S14_S18_S1A_T6_T7_T9_mT8_S1C_bDpT10_ENKUlT_T0_E_clISt17integral_constantIbLb1EES1O_IbLb0EEEEDaS1K_S1L_EUlS1K_E_NS1_11comp_targetILNS1_3genE4ELNS1_11target_archE910ELNS1_3gpuE8ELNS1_3repE0EEENS1_30default_config_static_selectorELNS0_4arch9wavefront6targetE0EEEvSY_
		.amdhsa_group_segment_fixed_size 0
		.amdhsa_private_segment_fixed_size 0
		.amdhsa_kernarg_size 144
		.amdhsa_user_sgpr_count 2
		.amdhsa_user_sgpr_dispatch_ptr 0
		.amdhsa_user_sgpr_queue_ptr 0
		.amdhsa_user_sgpr_kernarg_segment_ptr 1
		.amdhsa_user_sgpr_dispatch_id 0
		.amdhsa_user_sgpr_kernarg_preload_length 0
		.amdhsa_user_sgpr_kernarg_preload_offset 0
		.amdhsa_user_sgpr_private_segment_size 0
		.amdhsa_wavefront_size32 1
		.amdhsa_uses_dynamic_stack 0
		.amdhsa_enable_private_segment 0
		.amdhsa_system_sgpr_workgroup_id_x 1
		.amdhsa_system_sgpr_workgroup_id_y 0
		.amdhsa_system_sgpr_workgroup_id_z 0
		.amdhsa_system_sgpr_workgroup_info 0
		.amdhsa_system_vgpr_workitem_id 0
		.amdhsa_next_free_vgpr 1
		.amdhsa_next_free_sgpr 1
		.amdhsa_named_barrier_count 0
		.amdhsa_reserve_vcc 0
		.amdhsa_float_round_mode_32 0
		.amdhsa_float_round_mode_16_64 0
		.amdhsa_float_denorm_mode_32 3
		.amdhsa_float_denorm_mode_16_64 3
		.amdhsa_fp16_overflow 0
		.amdhsa_memory_ordered 1
		.amdhsa_forward_progress 1
		.amdhsa_inst_pref_size 0
		.amdhsa_round_robin_scheduling 0
		.amdhsa_exception_fp_ieee_invalid_op 0
		.amdhsa_exception_fp_denorm_src 0
		.amdhsa_exception_fp_ieee_div_zero 0
		.amdhsa_exception_fp_ieee_overflow 0
		.amdhsa_exception_fp_ieee_underflow 0
		.amdhsa_exception_fp_ieee_inexact 0
		.amdhsa_exception_int_div_zero 0
	.end_amdhsa_kernel
	.section	.text._ZN7rocprim17ROCPRIM_400000_NS6detail17trampoline_kernelINS0_13select_configILj256ELj13ELNS0_17block_load_methodE3ELS4_3ELS4_3ELNS0_20block_scan_algorithmE0ELj4294967295EEENS1_25partition_config_selectorILNS1_17partition_subalgoE3EjNS0_10empty_typeEbEEZZNS1_14partition_implILS8_3ELb0ES6_jNS0_17counting_iteratorIjlEEPS9_SE_NS0_5tupleIJPjSE_EEENSF_IJSE_SE_EEES9_SG_JZNS1_25segmented_radix_sort_implINS0_14default_configELb1EPKbPbPKlPlN2at6native12_GLOBAL__N_18offset_tEEE10hipError_tPvRmT1_PNSt15iterator_traitsISY_E10value_typeET2_T3_PNSZ_IS14_E10value_typeET4_jRbjT5_S1A_jjP12ihipStream_tbEUljE_EEESV_SW_SX_S14_S18_S1A_T6_T7_T9_mT8_S1C_bDpT10_ENKUlT_T0_E_clISt17integral_constantIbLb1EES1O_IbLb0EEEEDaS1K_S1L_EUlS1K_E_NS1_11comp_targetILNS1_3genE4ELNS1_11target_archE910ELNS1_3gpuE8ELNS1_3repE0EEENS1_30default_config_static_selectorELNS0_4arch9wavefront6targetE0EEEvSY_,"axG",@progbits,_ZN7rocprim17ROCPRIM_400000_NS6detail17trampoline_kernelINS0_13select_configILj256ELj13ELNS0_17block_load_methodE3ELS4_3ELS4_3ELNS0_20block_scan_algorithmE0ELj4294967295EEENS1_25partition_config_selectorILNS1_17partition_subalgoE3EjNS0_10empty_typeEbEEZZNS1_14partition_implILS8_3ELb0ES6_jNS0_17counting_iteratorIjlEEPS9_SE_NS0_5tupleIJPjSE_EEENSF_IJSE_SE_EEES9_SG_JZNS1_25segmented_radix_sort_implINS0_14default_configELb1EPKbPbPKlPlN2at6native12_GLOBAL__N_18offset_tEEE10hipError_tPvRmT1_PNSt15iterator_traitsISY_E10value_typeET2_T3_PNSZ_IS14_E10value_typeET4_jRbjT5_S1A_jjP12ihipStream_tbEUljE_EEESV_SW_SX_S14_S18_S1A_T6_T7_T9_mT8_S1C_bDpT10_ENKUlT_T0_E_clISt17integral_constantIbLb1EES1O_IbLb0EEEEDaS1K_S1L_EUlS1K_E_NS1_11comp_targetILNS1_3genE4ELNS1_11target_archE910ELNS1_3gpuE8ELNS1_3repE0EEENS1_30default_config_static_selectorELNS0_4arch9wavefront6targetE0EEEvSY_,comdat
.Lfunc_end1510:
	.size	_ZN7rocprim17ROCPRIM_400000_NS6detail17trampoline_kernelINS0_13select_configILj256ELj13ELNS0_17block_load_methodE3ELS4_3ELS4_3ELNS0_20block_scan_algorithmE0ELj4294967295EEENS1_25partition_config_selectorILNS1_17partition_subalgoE3EjNS0_10empty_typeEbEEZZNS1_14partition_implILS8_3ELb0ES6_jNS0_17counting_iteratorIjlEEPS9_SE_NS0_5tupleIJPjSE_EEENSF_IJSE_SE_EEES9_SG_JZNS1_25segmented_radix_sort_implINS0_14default_configELb1EPKbPbPKlPlN2at6native12_GLOBAL__N_18offset_tEEE10hipError_tPvRmT1_PNSt15iterator_traitsISY_E10value_typeET2_T3_PNSZ_IS14_E10value_typeET4_jRbjT5_S1A_jjP12ihipStream_tbEUljE_EEESV_SW_SX_S14_S18_S1A_T6_T7_T9_mT8_S1C_bDpT10_ENKUlT_T0_E_clISt17integral_constantIbLb1EES1O_IbLb0EEEEDaS1K_S1L_EUlS1K_E_NS1_11comp_targetILNS1_3genE4ELNS1_11target_archE910ELNS1_3gpuE8ELNS1_3repE0EEENS1_30default_config_static_selectorELNS0_4arch9wavefront6targetE0EEEvSY_, .Lfunc_end1510-_ZN7rocprim17ROCPRIM_400000_NS6detail17trampoline_kernelINS0_13select_configILj256ELj13ELNS0_17block_load_methodE3ELS4_3ELS4_3ELNS0_20block_scan_algorithmE0ELj4294967295EEENS1_25partition_config_selectorILNS1_17partition_subalgoE3EjNS0_10empty_typeEbEEZZNS1_14partition_implILS8_3ELb0ES6_jNS0_17counting_iteratorIjlEEPS9_SE_NS0_5tupleIJPjSE_EEENSF_IJSE_SE_EEES9_SG_JZNS1_25segmented_radix_sort_implINS0_14default_configELb1EPKbPbPKlPlN2at6native12_GLOBAL__N_18offset_tEEE10hipError_tPvRmT1_PNSt15iterator_traitsISY_E10value_typeET2_T3_PNSZ_IS14_E10value_typeET4_jRbjT5_S1A_jjP12ihipStream_tbEUljE_EEESV_SW_SX_S14_S18_S1A_T6_T7_T9_mT8_S1C_bDpT10_ENKUlT_T0_E_clISt17integral_constantIbLb1EES1O_IbLb0EEEEDaS1K_S1L_EUlS1K_E_NS1_11comp_targetILNS1_3genE4ELNS1_11target_archE910ELNS1_3gpuE8ELNS1_3repE0EEENS1_30default_config_static_selectorELNS0_4arch9wavefront6targetE0EEEvSY_
                                        ; -- End function
	.set _ZN7rocprim17ROCPRIM_400000_NS6detail17trampoline_kernelINS0_13select_configILj256ELj13ELNS0_17block_load_methodE3ELS4_3ELS4_3ELNS0_20block_scan_algorithmE0ELj4294967295EEENS1_25partition_config_selectorILNS1_17partition_subalgoE3EjNS0_10empty_typeEbEEZZNS1_14partition_implILS8_3ELb0ES6_jNS0_17counting_iteratorIjlEEPS9_SE_NS0_5tupleIJPjSE_EEENSF_IJSE_SE_EEES9_SG_JZNS1_25segmented_radix_sort_implINS0_14default_configELb1EPKbPbPKlPlN2at6native12_GLOBAL__N_18offset_tEEE10hipError_tPvRmT1_PNSt15iterator_traitsISY_E10value_typeET2_T3_PNSZ_IS14_E10value_typeET4_jRbjT5_S1A_jjP12ihipStream_tbEUljE_EEESV_SW_SX_S14_S18_S1A_T6_T7_T9_mT8_S1C_bDpT10_ENKUlT_T0_E_clISt17integral_constantIbLb1EES1O_IbLb0EEEEDaS1K_S1L_EUlS1K_E_NS1_11comp_targetILNS1_3genE4ELNS1_11target_archE910ELNS1_3gpuE8ELNS1_3repE0EEENS1_30default_config_static_selectorELNS0_4arch9wavefront6targetE0EEEvSY_.num_vgpr, 0
	.set _ZN7rocprim17ROCPRIM_400000_NS6detail17trampoline_kernelINS0_13select_configILj256ELj13ELNS0_17block_load_methodE3ELS4_3ELS4_3ELNS0_20block_scan_algorithmE0ELj4294967295EEENS1_25partition_config_selectorILNS1_17partition_subalgoE3EjNS0_10empty_typeEbEEZZNS1_14partition_implILS8_3ELb0ES6_jNS0_17counting_iteratorIjlEEPS9_SE_NS0_5tupleIJPjSE_EEENSF_IJSE_SE_EEES9_SG_JZNS1_25segmented_radix_sort_implINS0_14default_configELb1EPKbPbPKlPlN2at6native12_GLOBAL__N_18offset_tEEE10hipError_tPvRmT1_PNSt15iterator_traitsISY_E10value_typeET2_T3_PNSZ_IS14_E10value_typeET4_jRbjT5_S1A_jjP12ihipStream_tbEUljE_EEESV_SW_SX_S14_S18_S1A_T6_T7_T9_mT8_S1C_bDpT10_ENKUlT_T0_E_clISt17integral_constantIbLb1EES1O_IbLb0EEEEDaS1K_S1L_EUlS1K_E_NS1_11comp_targetILNS1_3genE4ELNS1_11target_archE910ELNS1_3gpuE8ELNS1_3repE0EEENS1_30default_config_static_selectorELNS0_4arch9wavefront6targetE0EEEvSY_.num_agpr, 0
	.set _ZN7rocprim17ROCPRIM_400000_NS6detail17trampoline_kernelINS0_13select_configILj256ELj13ELNS0_17block_load_methodE3ELS4_3ELS4_3ELNS0_20block_scan_algorithmE0ELj4294967295EEENS1_25partition_config_selectorILNS1_17partition_subalgoE3EjNS0_10empty_typeEbEEZZNS1_14partition_implILS8_3ELb0ES6_jNS0_17counting_iteratorIjlEEPS9_SE_NS0_5tupleIJPjSE_EEENSF_IJSE_SE_EEES9_SG_JZNS1_25segmented_radix_sort_implINS0_14default_configELb1EPKbPbPKlPlN2at6native12_GLOBAL__N_18offset_tEEE10hipError_tPvRmT1_PNSt15iterator_traitsISY_E10value_typeET2_T3_PNSZ_IS14_E10value_typeET4_jRbjT5_S1A_jjP12ihipStream_tbEUljE_EEESV_SW_SX_S14_S18_S1A_T6_T7_T9_mT8_S1C_bDpT10_ENKUlT_T0_E_clISt17integral_constantIbLb1EES1O_IbLb0EEEEDaS1K_S1L_EUlS1K_E_NS1_11comp_targetILNS1_3genE4ELNS1_11target_archE910ELNS1_3gpuE8ELNS1_3repE0EEENS1_30default_config_static_selectorELNS0_4arch9wavefront6targetE0EEEvSY_.numbered_sgpr, 0
	.set _ZN7rocprim17ROCPRIM_400000_NS6detail17trampoline_kernelINS0_13select_configILj256ELj13ELNS0_17block_load_methodE3ELS4_3ELS4_3ELNS0_20block_scan_algorithmE0ELj4294967295EEENS1_25partition_config_selectorILNS1_17partition_subalgoE3EjNS0_10empty_typeEbEEZZNS1_14partition_implILS8_3ELb0ES6_jNS0_17counting_iteratorIjlEEPS9_SE_NS0_5tupleIJPjSE_EEENSF_IJSE_SE_EEES9_SG_JZNS1_25segmented_radix_sort_implINS0_14default_configELb1EPKbPbPKlPlN2at6native12_GLOBAL__N_18offset_tEEE10hipError_tPvRmT1_PNSt15iterator_traitsISY_E10value_typeET2_T3_PNSZ_IS14_E10value_typeET4_jRbjT5_S1A_jjP12ihipStream_tbEUljE_EEESV_SW_SX_S14_S18_S1A_T6_T7_T9_mT8_S1C_bDpT10_ENKUlT_T0_E_clISt17integral_constantIbLb1EES1O_IbLb0EEEEDaS1K_S1L_EUlS1K_E_NS1_11comp_targetILNS1_3genE4ELNS1_11target_archE910ELNS1_3gpuE8ELNS1_3repE0EEENS1_30default_config_static_selectorELNS0_4arch9wavefront6targetE0EEEvSY_.num_named_barrier, 0
	.set _ZN7rocprim17ROCPRIM_400000_NS6detail17trampoline_kernelINS0_13select_configILj256ELj13ELNS0_17block_load_methodE3ELS4_3ELS4_3ELNS0_20block_scan_algorithmE0ELj4294967295EEENS1_25partition_config_selectorILNS1_17partition_subalgoE3EjNS0_10empty_typeEbEEZZNS1_14partition_implILS8_3ELb0ES6_jNS0_17counting_iteratorIjlEEPS9_SE_NS0_5tupleIJPjSE_EEENSF_IJSE_SE_EEES9_SG_JZNS1_25segmented_radix_sort_implINS0_14default_configELb1EPKbPbPKlPlN2at6native12_GLOBAL__N_18offset_tEEE10hipError_tPvRmT1_PNSt15iterator_traitsISY_E10value_typeET2_T3_PNSZ_IS14_E10value_typeET4_jRbjT5_S1A_jjP12ihipStream_tbEUljE_EEESV_SW_SX_S14_S18_S1A_T6_T7_T9_mT8_S1C_bDpT10_ENKUlT_T0_E_clISt17integral_constantIbLb1EES1O_IbLb0EEEEDaS1K_S1L_EUlS1K_E_NS1_11comp_targetILNS1_3genE4ELNS1_11target_archE910ELNS1_3gpuE8ELNS1_3repE0EEENS1_30default_config_static_selectorELNS0_4arch9wavefront6targetE0EEEvSY_.private_seg_size, 0
	.set _ZN7rocprim17ROCPRIM_400000_NS6detail17trampoline_kernelINS0_13select_configILj256ELj13ELNS0_17block_load_methodE3ELS4_3ELS4_3ELNS0_20block_scan_algorithmE0ELj4294967295EEENS1_25partition_config_selectorILNS1_17partition_subalgoE3EjNS0_10empty_typeEbEEZZNS1_14partition_implILS8_3ELb0ES6_jNS0_17counting_iteratorIjlEEPS9_SE_NS0_5tupleIJPjSE_EEENSF_IJSE_SE_EEES9_SG_JZNS1_25segmented_radix_sort_implINS0_14default_configELb1EPKbPbPKlPlN2at6native12_GLOBAL__N_18offset_tEEE10hipError_tPvRmT1_PNSt15iterator_traitsISY_E10value_typeET2_T3_PNSZ_IS14_E10value_typeET4_jRbjT5_S1A_jjP12ihipStream_tbEUljE_EEESV_SW_SX_S14_S18_S1A_T6_T7_T9_mT8_S1C_bDpT10_ENKUlT_T0_E_clISt17integral_constantIbLb1EES1O_IbLb0EEEEDaS1K_S1L_EUlS1K_E_NS1_11comp_targetILNS1_3genE4ELNS1_11target_archE910ELNS1_3gpuE8ELNS1_3repE0EEENS1_30default_config_static_selectorELNS0_4arch9wavefront6targetE0EEEvSY_.uses_vcc, 0
	.set _ZN7rocprim17ROCPRIM_400000_NS6detail17trampoline_kernelINS0_13select_configILj256ELj13ELNS0_17block_load_methodE3ELS4_3ELS4_3ELNS0_20block_scan_algorithmE0ELj4294967295EEENS1_25partition_config_selectorILNS1_17partition_subalgoE3EjNS0_10empty_typeEbEEZZNS1_14partition_implILS8_3ELb0ES6_jNS0_17counting_iteratorIjlEEPS9_SE_NS0_5tupleIJPjSE_EEENSF_IJSE_SE_EEES9_SG_JZNS1_25segmented_radix_sort_implINS0_14default_configELb1EPKbPbPKlPlN2at6native12_GLOBAL__N_18offset_tEEE10hipError_tPvRmT1_PNSt15iterator_traitsISY_E10value_typeET2_T3_PNSZ_IS14_E10value_typeET4_jRbjT5_S1A_jjP12ihipStream_tbEUljE_EEESV_SW_SX_S14_S18_S1A_T6_T7_T9_mT8_S1C_bDpT10_ENKUlT_T0_E_clISt17integral_constantIbLb1EES1O_IbLb0EEEEDaS1K_S1L_EUlS1K_E_NS1_11comp_targetILNS1_3genE4ELNS1_11target_archE910ELNS1_3gpuE8ELNS1_3repE0EEENS1_30default_config_static_selectorELNS0_4arch9wavefront6targetE0EEEvSY_.uses_flat_scratch, 0
	.set _ZN7rocprim17ROCPRIM_400000_NS6detail17trampoline_kernelINS0_13select_configILj256ELj13ELNS0_17block_load_methodE3ELS4_3ELS4_3ELNS0_20block_scan_algorithmE0ELj4294967295EEENS1_25partition_config_selectorILNS1_17partition_subalgoE3EjNS0_10empty_typeEbEEZZNS1_14partition_implILS8_3ELb0ES6_jNS0_17counting_iteratorIjlEEPS9_SE_NS0_5tupleIJPjSE_EEENSF_IJSE_SE_EEES9_SG_JZNS1_25segmented_radix_sort_implINS0_14default_configELb1EPKbPbPKlPlN2at6native12_GLOBAL__N_18offset_tEEE10hipError_tPvRmT1_PNSt15iterator_traitsISY_E10value_typeET2_T3_PNSZ_IS14_E10value_typeET4_jRbjT5_S1A_jjP12ihipStream_tbEUljE_EEESV_SW_SX_S14_S18_S1A_T6_T7_T9_mT8_S1C_bDpT10_ENKUlT_T0_E_clISt17integral_constantIbLb1EES1O_IbLb0EEEEDaS1K_S1L_EUlS1K_E_NS1_11comp_targetILNS1_3genE4ELNS1_11target_archE910ELNS1_3gpuE8ELNS1_3repE0EEENS1_30default_config_static_selectorELNS0_4arch9wavefront6targetE0EEEvSY_.has_dyn_sized_stack, 0
	.set _ZN7rocprim17ROCPRIM_400000_NS6detail17trampoline_kernelINS0_13select_configILj256ELj13ELNS0_17block_load_methodE3ELS4_3ELS4_3ELNS0_20block_scan_algorithmE0ELj4294967295EEENS1_25partition_config_selectorILNS1_17partition_subalgoE3EjNS0_10empty_typeEbEEZZNS1_14partition_implILS8_3ELb0ES6_jNS0_17counting_iteratorIjlEEPS9_SE_NS0_5tupleIJPjSE_EEENSF_IJSE_SE_EEES9_SG_JZNS1_25segmented_radix_sort_implINS0_14default_configELb1EPKbPbPKlPlN2at6native12_GLOBAL__N_18offset_tEEE10hipError_tPvRmT1_PNSt15iterator_traitsISY_E10value_typeET2_T3_PNSZ_IS14_E10value_typeET4_jRbjT5_S1A_jjP12ihipStream_tbEUljE_EEESV_SW_SX_S14_S18_S1A_T6_T7_T9_mT8_S1C_bDpT10_ENKUlT_T0_E_clISt17integral_constantIbLb1EES1O_IbLb0EEEEDaS1K_S1L_EUlS1K_E_NS1_11comp_targetILNS1_3genE4ELNS1_11target_archE910ELNS1_3gpuE8ELNS1_3repE0EEENS1_30default_config_static_selectorELNS0_4arch9wavefront6targetE0EEEvSY_.has_recursion, 0
	.set _ZN7rocprim17ROCPRIM_400000_NS6detail17trampoline_kernelINS0_13select_configILj256ELj13ELNS0_17block_load_methodE3ELS4_3ELS4_3ELNS0_20block_scan_algorithmE0ELj4294967295EEENS1_25partition_config_selectorILNS1_17partition_subalgoE3EjNS0_10empty_typeEbEEZZNS1_14partition_implILS8_3ELb0ES6_jNS0_17counting_iteratorIjlEEPS9_SE_NS0_5tupleIJPjSE_EEENSF_IJSE_SE_EEES9_SG_JZNS1_25segmented_radix_sort_implINS0_14default_configELb1EPKbPbPKlPlN2at6native12_GLOBAL__N_18offset_tEEE10hipError_tPvRmT1_PNSt15iterator_traitsISY_E10value_typeET2_T3_PNSZ_IS14_E10value_typeET4_jRbjT5_S1A_jjP12ihipStream_tbEUljE_EEESV_SW_SX_S14_S18_S1A_T6_T7_T9_mT8_S1C_bDpT10_ENKUlT_T0_E_clISt17integral_constantIbLb1EES1O_IbLb0EEEEDaS1K_S1L_EUlS1K_E_NS1_11comp_targetILNS1_3genE4ELNS1_11target_archE910ELNS1_3gpuE8ELNS1_3repE0EEENS1_30default_config_static_selectorELNS0_4arch9wavefront6targetE0EEEvSY_.has_indirect_call, 0
	.section	.AMDGPU.csdata,"",@progbits
; Kernel info:
; codeLenInByte = 0
; TotalNumSgprs: 0
; NumVgprs: 0
; ScratchSize: 0
; MemoryBound: 0
; FloatMode: 240
; IeeeMode: 1
; LDSByteSize: 0 bytes/workgroup (compile time only)
; SGPRBlocks: 0
; VGPRBlocks: 0
; NumSGPRsForWavesPerEU: 1
; NumVGPRsForWavesPerEU: 1
; NamedBarCnt: 0
; Occupancy: 16
; WaveLimiterHint : 0
; COMPUTE_PGM_RSRC2:SCRATCH_EN: 0
; COMPUTE_PGM_RSRC2:USER_SGPR: 2
; COMPUTE_PGM_RSRC2:TRAP_HANDLER: 0
; COMPUTE_PGM_RSRC2:TGID_X_EN: 1
; COMPUTE_PGM_RSRC2:TGID_Y_EN: 0
; COMPUTE_PGM_RSRC2:TGID_Z_EN: 0
; COMPUTE_PGM_RSRC2:TIDIG_COMP_CNT: 0
	.section	.text._ZN7rocprim17ROCPRIM_400000_NS6detail17trampoline_kernelINS0_13select_configILj256ELj13ELNS0_17block_load_methodE3ELS4_3ELS4_3ELNS0_20block_scan_algorithmE0ELj4294967295EEENS1_25partition_config_selectorILNS1_17partition_subalgoE3EjNS0_10empty_typeEbEEZZNS1_14partition_implILS8_3ELb0ES6_jNS0_17counting_iteratorIjlEEPS9_SE_NS0_5tupleIJPjSE_EEENSF_IJSE_SE_EEES9_SG_JZNS1_25segmented_radix_sort_implINS0_14default_configELb1EPKbPbPKlPlN2at6native12_GLOBAL__N_18offset_tEEE10hipError_tPvRmT1_PNSt15iterator_traitsISY_E10value_typeET2_T3_PNSZ_IS14_E10value_typeET4_jRbjT5_S1A_jjP12ihipStream_tbEUljE_EEESV_SW_SX_S14_S18_S1A_T6_T7_T9_mT8_S1C_bDpT10_ENKUlT_T0_E_clISt17integral_constantIbLb1EES1O_IbLb0EEEEDaS1K_S1L_EUlS1K_E_NS1_11comp_targetILNS1_3genE3ELNS1_11target_archE908ELNS1_3gpuE7ELNS1_3repE0EEENS1_30default_config_static_selectorELNS0_4arch9wavefront6targetE0EEEvSY_,"axG",@progbits,_ZN7rocprim17ROCPRIM_400000_NS6detail17trampoline_kernelINS0_13select_configILj256ELj13ELNS0_17block_load_methodE3ELS4_3ELS4_3ELNS0_20block_scan_algorithmE0ELj4294967295EEENS1_25partition_config_selectorILNS1_17partition_subalgoE3EjNS0_10empty_typeEbEEZZNS1_14partition_implILS8_3ELb0ES6_jNS0_17counting_iteratorIjlEEPS9_SE_NS0_5tupleIJPjSE_EEENSF_IJSE_SE_EEES9_SG_JZNS1_25segmented_radix_sort_implINS0_14default_configELb1EPKbPbPKlPlN2at6native12_GLOBAL__N_18offset_tEEE10hipError_tPvRmT1_PNSt15iterator_traitsISY_E10value_typeET2_T3_PNSZ_IS14_E10value_typeET4_jRbjT5_S1A_jjP12ihipStream_tbEUljE_EEESV_SW_SX_S14_S18_S1A_T6_T7_T9_mT8_S1C_bDpT10_ENKUlT_T0_E_clISt17integral_constantIbLb1EES1O_IbLb0EEEEDaS1K_S1L_EUlS1K_E_NS1_11comp_targetILNS1_3genE3ELNS1_11target_archE908ELNS1_3gpuE7ELNS1_3repE0EEENS1_30default_config_static_selectorELNS0_4arch9wavefront6targetE0EEEvSY_,comdat
	.globl	_ZN7rocprim17ROCPRIM_400000_NS6detail17trampoline_kernelINS0_13select_configILj256ELj13ELNS0_17block_load_methodE3ELS4_3ELS4_3ELNS0_20block_scan_algorithmE0ELj4294967295EEENS1_25partition_config_selectorILNS1_17partition_subalgoE3EjNS0_10empty_typeEbEEZZNS1_14partition_implILS8_3ELb0ES6_jNS0_17counting_iteratorIjlEEPS9_SE_NS0_5tupleIJPjSE_EEENSF_IJSE_SE_EEES9_SG_JZNS1_25segmented_radix_sort_implINS0_14default_configELb1EPKbPbPKlPlN2at6native12_GLOBAL__N_18offset_tEEE10hipError_tPvRmT1_PNSt15iterator_traitsISY_E10value_typeET2_T3_PNSZ_IS14_E10value_typeET4_jRbjT5_S1A_jjP12ihipStream_tbEUljE_EEESV_SW_SX_S14_S18_S1A_T6_T7_T9_mT8_S1C_bDpT10_ENKUlT_T0_E_clISt17integral_constantIbLb1EES1O_IbLb0EEEEDaS1K_S1L_EUlS1K_E_NS1_11comp_targetILNS1_3genE3ELNS1_11target_archE908ELNS1_3gpuE7ELNS1_3repE0EEENS1_30default_config_static_selectorELNS0_4arch9wavefront6targetE0EEEvSY_ ; -- Begin function _ZN7rocprim17ROCPRIM_400000_NS6detail17trampoline_kernelINS0_13select_configILj256ELj13ELNS0_17block_load_methodE3ELS4_3ELS4_3ELNS0_20block_scan_algorithmE0ELj4294967295EEENS1_25partition_config_selectorILNS1_17partition_subalgoE3EjNS0_10empty_typeEbEEZZNS1_14partition_implILS8_3ELb0ES6_jNS0_17counting_iteratorIjlEEPS9_SE_NS0_5tupleIJPjSE_EEENSF_IJSE_SE_EEES9_SG_JZNS1_25segmented_radix_sort_implINS0_14default_configELb1EPKbPbPKlPlN2at6native12_GLOBAL__N_18offset_tEEE10hipError_tPvRmT1_PNSt15iterator_traitsISY_E10value_typeET2_T3_PNSZ_IS14_E10value_typeET4_jRbjT5_S1A_jjP12ihipStream_tbEUljE_EEESV_SW_SX_S14_S18_S1A_T6_T7_T9_mT8_S1C_bDpT10_ENKUlT_T0_E_clISt17integral_constantIbLb1EES1O_IbLb0EEEEDaS1K_S1L_EUlS1K_E_NS1_11comp_targetILNS1_3genE3ELNS1_11target_archE908ELNS1_3gpuE7ELNS1_3repE0EEENS1_30default_config_static_selectorELNS0_4arch9wavefront6targetE0EEEvSY_
	.p2align	8
	.type	_ZN7rocprim17ROCPRIM_400000_NS6detail17trampoline_kernelINS0_13select_configILj256ELj13ELNS0_17block_load_methodE3ELS4_3ELS4_3ELNS0_20block_scan_algorithmE0ELj4294967295EEENS1_25partition_config_selectorILNS1_17partition_subalgoE3EjNS0_10empty_typeEbEEZZNS1_14partition_implILS8_3ELb0ES6_jNS0_17counting_iteratorIjlEEPS9_SE_NS0_5tupleIJPjSE_EEENSF_IJSE_SE_EEES9_SG_JZNS1_25segmented_radix_sort_implINS0_14default_configELb1EPKbPbPKlPlN2at6native12_GLOBAL__N_18offset_tEEE10hipError_tPvRmT1_PNSt15iterator_traitsISY_E10value_typeET2_T3_PNSZ_IS14_E10value_typeET4_jRbjT5_S1A_jjP12ihipStream_tbEUljE_EEESV_SW_SX_S14_S18_S1A_T6_T7_T9_mT8_S1C_bDpT10_ENKUlT_T0_E_clISt17integral_constantIbLb1EES1O_IbLb0EEEEDaS1K_S1L_EUlS1K_E_NS1_11comp_targetILNS1_3genE3ELNS1_11target_archE908ELNS1_3gpuE7ELNS1_3repE0EEENS1_30default_config_static_selectorELNS0_4arch9wavefront6targetE0EEEvSY_,@function
_ZN7rocprim17ROCPRIM_400000_NS6detail17trampoline_kernelINS0_13select_configILj256ELj13ELNS0_17block_load_methodE3ELS4_3ELS4_3ELNS0_20block_scan_algorithmE0ELj4294967295EEENS1_25partition_config_selectorILNS1_17partition_subalgoE3EjNS0_10empty_typeEbEEZZNS1_14partition_implILS8_3ELb0ES6_jNS0_17counting_iteratorIjlEEPS9_SE_NS0_5tupleIJPjSE_EEENSF_IJSE_SE_EEES9_SG_JZNS1_25segmented_radix_sort_implINS0_14default_configELb1EPKbPbPKlPlN2at6native12_GLOBAL__N_18offset_tEEE10hipError_tPvRmT1_PNSt15iterator_traitsISY_E10value_typeET2_T3_PNSZ_IS14_E10value_typeET4_jRbjT5_S1A_jjP12ihipStream_tbEUljE_EEESV_SW_SX_S14_S18_S1A_T6_T7_T9_mT8_S1C_bDpT10_ENKUlT_T0_E_clISt17integral_constantIbLb1EES1O_IbLb0EEEEDaS1K_S1L_EUlS1K_E_NS1_11comp_targetILNS1_3genE3ELNS1_11target_archE908ELNS1_3gpuE7ELNS1_3repE0EEENS1_30default_config_static_selectorELNS0_4arch9wavefront6targetE0EEEvSY_: ; @_ZN7rocprim17ROCPRIM_400000_NS6detail17trampoline_kernelINS0_13select_configILj256ELj13ELNS0_17block_load_methodE3ELS4_3ELS4_3ELNS0_20block_scan_algorithmE0ELj4294967295EEENS1_25partition_config_selectorILNS1_17partition_subalgoE3EjNS0_10empty_typeEbEEZZNS1_14partition_implILS8_3ELb0ES6_jNS0_17counting_iteratorIjlEEPS9_SE_NS0_5tupleIJPjSE_EEENSF_IJSE_SE_EEES9_SG_JZNS1_25segmented_radix_sort_implINS0_14default_configELb1EPKbPbPKlPlN2at6native12_GLOBAL__N_18offset_tEEE10hipError_tPvRmT1_PNSt15iterator_traitsISY_E10value_typeET2_T3_PNSZ_IS14_E10value_typeET4_jRbjT5_S1A_jjP12ihipStream_tbEUljE_EEESV_SW_SX_S14_S18_S1A_T6_T7_T9_mT8_S1C_bDpT10_ENKUlT_T0_E_clISt17integral_constantIbLb1EES1O_IbLb0EEEEDaS1K_S1L_EUlS1K_E_NS1_11comp_targetILNS1_3genE3ELNS1_11target_archE908ELNS1_3gpuE7ELNS1_3repE0EEENS1_30default_config_static_selectorELNS0_4arch9wavefront6targetE0EEEvSY_
; %bb.0:
	.section	.rodata,"a",@progbits
	.p2align	6, 0x0
	.amdhsa_kernel _ZN7rocprim17ROCPRIM_400000_NS6detail17trampoline_kernelINS0_13select_configILj256ELj13ELNS0_17block_load_methodE3ELS4_3ELS4_3ELNS0_20block_scan_algorithmE0ELj4294967295EEENS1_25partition_config_selectorILNS1_17partition_subalgoE3EjNS0_10empty_typeEbEEZZNS1_14partition_implILS8_3ELb0ES6_jNS0_17counting_iteratorIjlEEPS9_SE_NS0_5tupleIJPjSE_EEENSF_IJSE_SE_EEES9_SG_JZNS1_25segmented_radix_sort_implINS0_14default_configELb1EPKbPbPKlPlN2at6native12_GLOBAL__N_18offset_tEEE10hipError_tPvRmT1_PNSt15iterator_traitsISY_E10value_typeET2_T3_PNSZ_IS14_E10value_typeET4_jRbjT5_S1A_jjP12ihipStream_tbEUljE_EEESV_SW_SX_S14_S18_S1A_T6_T7_T9_mT8_S1C_bDpT10_ENKUlT_T0_E_clISt17integral_constantIbLb1EES1O_IbLb0EEEEDaS1K_S1L_EUlS1K_E_NS1_11comp_targetILNS1_3genE3ELNS1_11target_archE908ELNS1_3gpuE7ELNS1_3repE0EEENS1_30default_config_static_selectorELNS0_4arch9wavefront6targetE0EEEvSY_
		.amdhsa_group_segment_fixed_size 0
		.amdhsa_private_segment_fixed_size 0
		.amdhsa_kernarg_size 144
		.amdhsa_user_sgpr_count 2
		.amdhsa_user_sgpr_dispatch_ptr 0
		.amdhsa_user_sgpr_queue_ptr 0
		.amdhsa_user_sgpr_kernarg_segment_ptr 1
		.amdhsa_user_sgpr_dispatch_id 0
		.amdhsa_user_sgpr_kernarg_preload_length 0
		.amdhsa_user_sgpr_kernarg_preload_offset 0
		.amdhsa_user_sgpr_private_segment_size 0
		.amdhsa_wavefront_size32 1
		.amdhsa_uses_dynamic_stack 0
		.amdhsa_enable_private_segment 0
		.amdhsa_system_sgpr_workgroup_id_x 1
		.amdhsa_system_sgpr_workgroup_id_y 0
		.amdhsa_system_sgpr_workgroup_id_z 0
		.amdhsa_system_sgpr_workgroup_info 0
		.amdhsa_system_vgpr_workitem_id 0
		.amdhsa_next_free_vgpr 1
		.amdhsa_next_free_sgpr 1
		.amdhsa_named_barrier_count 0
		.amdhsa_reserve_vcc 0
		.amdhsa_float_round_mode_32 0
		.amdhsa_float_round_mode_16_64 0
		.amdhsa_float_denorm_mode_32 3
		.amdhsa_float_denorm_mode_16_64 3
		.amdhsa_fp16_overflow 0
		.amdhsa_memory_ordered 1
		.amdhsa_forward_progress 1
		.amdhsa_inst_pref_size 0
		.amdhsa_round_robin_scheduling 0
		.amdhsa_exception_fp_ieee_invalid_op 0
		.amdhsa_exception_fp_denorm_src 0
		.amdhsa_exception_fp_ieee_div_zero 0
		.amdhsa_exception_fp_ieee_overflow 0
		.amdhsa_exception_fp_ieee_underflow 0
		.amdhsa_exception_fp_ieee_inexact 0
		.amdhsa_exception_int_div_zero 0
	.end_amdhsa_kernel
	.section	.text._ZN7rocprim17ROCPRIM_400000_NS6detail17trampoline_kernelINS0_13select_configILj256ELj13ELNS0_17block_load_methodE3ELS4_3ELS4_3ELNS0_20block_scan_algorithmE0ELj4294967295EEENS1_25partition_config_selectorILNS1_17partition_subalgoE3EjNS0_10empty_typeEbEEZZNS1_14partition_implILS8_3ELb0ES6_jNS0_17counting_iteratorIjlEEPS9_SE_NS0_5tupleIJPjSE_EEENSF_IJSE_SE_EEES9_SG_JZNS1_25segmented_radix_sort_implINS0_14default_configELb1EPKbPbPKlPlN2at6native12_GLOBAL__N_18offset_tEEE10hipError_tPvRmT1_PNSt15iterator_traitsISY_E10value_typeET2_T3_PNSZ_IS14_E10value_typeET4_jRbjT5_S1A_jjP12ihipStream_tbEUljE_EEESV_SW_SX_S14_S18_S1A_T6_T7_T9_mT8_S1C_bDpT10_ENKUlT_T0_E_clISt17integral_constantIbLb1EES1O_IbLb0EEEEDaS1K_S1L_EUlS1K_E_NS1_11comp_targetILNS1_3genE3ELNS1_11target_archE908ELNS1_3gpuE7ELNS1_3repE0EEENS1_30default_config_static_selectorELNS0_4arch9wavefront6targetE0EEEvSY_,"axG",@progbits,_ZN7rocprim17ROCPRIM_400000_NS6detail17trampoline_kernelINS0_13select_configILj256ELj13ELNS0_17block_load_methodE3ELS4_3ELS4_3ELNS0_20block_scan_algorithmE0ELj4294967295EEENS1_25partition_config_selectorILNS1_17partition_subalgoE3EjNS0_10empty_typeEbEEZZNS1_14partition_implILS8_3ELb0ES6_jNS0_17counting_iteratorIjlEEPS9_SE_NS0_5tupleIJPjSE_EEENSF_IJSE_SE_EEES9_SG_JZNS1_25segmented_radix_sort_implINS0_14default_configELb1EPKbPbPKlPlN2at6native12_GLOBAL__N_18offset_tEEE10hipError_tPvRmT1_PNSt15iterator_traitsISY_E10value_typeET2_T3_PNSZ_IS14_E10value_typeET4_jRbjT5_S1A_jjP12ihipStream_tbEUljE_EEESV_SW_SX_S14_S18_S1A_T6_T7_T9_mT8_S1C_bDpT10_ENKUlT_T0_E_clISt17integral_constantIbLb1EES1O_IbLb0EEEEDaS1K_S1L_EUlS1K_E_NS1_11comp_targetILNS1_3genE3ELNS1_11target_archE908ELNS1_3gpuE7ELNS1_3repE0EEENS1_30default_config_static_selectorELNS0_4arch9wavefront6targetE0EEEvSY_,comdat
.Lfunc_end1511:
	.size	_ZN7rocprim17ROCPRIM_400000_NS6detail17trampoline_kernelINS0_13select_configILj256ELj13ELNS0_17block_load_methodE3ELS4_3ELS4_3ELNS0_20block_scan_algorithmE0ELj4294967295EEENS1_25partition_config_selectorILNS1_17partition_subalgoE3EjNS0_10empty_typeEbEEZZNS1_14partition_implILS8_3ELb0ES6_jNS0_17counting_iteratorIjlEEPS9_SE_NS0_5tupleIJPjSE_EEENSF_IJSE_SE_EEES9_SG_JZNS1_25segmented_radix_sort_implINS0_14default_configELb1EPKbPbPKlPlN2at6native12_GLOBAL__N_18offset_tEEE10hipError_tPvRmT1_PNSt15iterator_traitsISY_E10value_typeET2_T3_PNSZ_IS14_E10value_typeET4_jRbjT5_S1A_jjP12ihipStream_tbEUljE_EEESV_SW_SX_S14_S18_S1A_T6_T7_T9_mT8_S1C_bDpT10_ENKUlT_T0_E_clISt17integral_constantIbLb1EES1O_IbLb0EEEEDaS1K_S1L_EUlS1K_E_NS1_11comp_targetILNS1_3genE3ELNS1_11target_archE908ELNS1_3gpuE7ELNS1_3repE0EEENS1_30default_config_static_selectorELNS0_4arch9wavefront6targetE0EEEvSY_, .Lfunc_end1511-_ZN7rocprim17ROCPRIM_400000_NS6detail17trampoline_kernelINS0_13select_configILj256ELj13ELNS0_17block_load_methodE3ELS4_3ELS4_3ELNS0_20block_scan_algorithmE0ELj4294967295EEENS1_25partition_config_selectorILNS1_17partition_subalgoE3EjNS0_10empty_typeEbEEZZNS1_14partition_implILS8_3ELb0ES6_jNS0_17counting_iteratorIjlEEPS9_SE_NS0_5tupleIJPjSE_EEENSF_IJSE_SE_EEES9_SG_JZNS1_25segmented_radix_sort_implINS0_14default_configELb1EPKbPbPKlPlN2at6native12_GLOBAL__N_18offset_tEEE10hipError_tPvRmT1_PNSt15iterator_traitsISY_E10value_typeET2_T3_PNSZ_IS14_E10value_typeET4_jRbjT5_S1A_jjP12ihipStream_tbEUljE_EEESV_SW_SX_S14_S18_S1A_T6_T7_T9_mT8_S1C_bDpT10_ENKUlT_T0_E_clISt17integral_constantIbLb1EES1O_IbLb0EEEEDaS1K_S1L_EUlS1K_E_NS1_11comp_targetILNS1_3genE3ELNS1_11target_archE908ELNS1_3gpuE7ELNS1_3repE0EEENS1_30default_config_static_selectorELNS0_4arch9wavefront6targetE0EEEvSY_
                                        ; -- End function
	.set _ZN7rocprim17ROCPRIM_400000_NS6detail17trampoline_kernelINS0_13select_configILj256ELj13ELNS0_17block_load_methodE3ELS4_3ELS4_3ELNS0_20block_scan_algorithmE0ELj4294967295EEENS1_25partition_config_selectorILNS1_17partition_subalgoE3EjNS0_10empty_typeEbEEZZNS1_14partition_implILS8_3ELb0ES6_jNS0_17counting_iteratorIjlEEPS9_SE_NS0_5tupleIJPjSE_EEENSF_IJSE_SE_EEES9_SG_JZNS1_25segmented_radix_sort_implINS0_14default_configELb1EPKbPbPKlPlN2at6native12_GLOBAL__N_18offset_tEEE10hipError_tPvRmT1_PNSt15iterator_traitsISY_E10value_typeET2_T3_PNSZ_IS14_E10value_typeET4_jRbjT5_S1A_jjP12ihipStream_tbEUljE_EEESV_SW_SX_S14_S18_S1A_T6_T7_T9_mT8_S1C_bDpT10_ENKUlT_T0_E_clISt17integral_constantIbLb1EES1O_IbLb0EEEEDaS1K_S1L_EUlS1K_E_NS1_11comp_targetILNS1_3genE3ELNS1_11target_archE908ELNS1_3gpuE7ELNS1_3repE0EEENS1_30default_config_static_selectorELNS0_4arch9wavefront6targetE0EEEvSY_.num_vgpr, 0
	.set _ZN7rocprim17ROCPRIM_400000_NS6detail17trampoline_kernelINS0_13select_configILj256ELj13ELNS0_17block_load_methodE3ELS4_3ELS4_3ELNS0_20block_scan_algorithmE0ELj4294967295EEENS1_25partition_config_selectorILNS1_17partition_subalgoE3EjNS0_10empty_typeEbEEZZNS1_14partition_implILS8_3ELb0ES6_jNS0_17counting_iteratorIjlEEPS9_SE_NS0_5tupleIJPjSE_EEENSF_IJSE_SE_EEES9_SG_JZNS1_25segmented_radix_sort_implINS0_14default_configELb1EPKbPbPKlPlN2at6native12_GLOBAL__N_18offset_tEEE10hipError_tPvRmT1_PNSt15iterator_traitsISY_E10value_typeET2_T3_PNSZ_IS14_E10value_typeET4_jRbjT5_S1A_jjP12ihipStream_tbEUljE_EEESV_SW_SX_S14_S18_S1A_T6_T7_T9_mT8_S1C_bDpT10_ENKUlT_T0_E_clISt17integral_constantIbLb1EES1O_IbLb0EEEEDaS1K_S1L_EUlS1K_E_NS1_11comp_targetILNS1_3genE3ELNS1_11target_archE908ELNS1_3gpuE7ELNS1_3repE0EEENS1_30default_config_static_selectorELNS0_4arch9wavefront6targetE0EEEvSY_.num_agpr, 0
	.set _ZN7rocprim17ROCPRIM_400000_NS6detail17trampoline_kernelINS0_13select_configILj256ELj13ELNS0_17block_load_methodE3ELS4_3ELS4_3ELNS0_20block_scan_algorithmE0ELj4294967295EEENS1_25partition_config_selectorILNS1_17partition_subalgoE3EjNS0_10empty_typeEbEEZZNS1_14partition_implILS8_3ELb0ES6_jNS0_17counting_iteratorIjlEEPS9_SE_NS0_5tupleIJPjSE_EEENSF_IJSE_SE_EEES9_SG_JZNS1_25segmented_radix_sort_implINS0_14default_configELb1EPKbPbPKlPlN2at6native12_GLOBAL__N_18offset_tEEE10hipError_tPvRmT1_PNSt15iterator_traitsISY_E10value_typeET2_T3_PNSZ_IS14_E10value_typeET4_jRbjT5_S1A_jjP12ihipStream_tbEUljE_EEESV_SW_SX_S14_S18_S1A_T6_T7_T9_mT8_S1C_bDpT10_ENKUlT_T0_E_clISt17integral_constantIbLb1EES1O_IbLb0EEEEDaS1K_S1L_EUlS1K_E_NS1_11comp_targetILNS1_3genE3ELNS1_11target_archE908ELNS1_3gpuE7ELNS1_3repE0EEENS1_30default_config_static_selectorELNS0_4arch9wavefront6targetE0EEEvSY_.numbered_sgpr, 0
	.set _ZN7rocprim17ROCPRIM_400000_NS6detail17trampoline_kernelINS0_13select_configILj256ELj13ELNS0_17block_load_methodE3ELS4_3ELS4_3ELNS0_20block_scan_algorithmE0ELj4294967295EEENS1_25partition_config_selectorILNS1_17partition_subalgoE3EjNS0_10empty_typeEbEEZZNS1_14partition_implILS8_3ELb0ES6_jNS0_17counting_iteratorIjlEEPS9_SE_NS0_5tupleIJPjSE_EEENSF_IJSE_SE_EEES9_SG_JZNS1_25segmented_radix_sort_implINS0_14default_configELb1EPKbPbPKlPlN2at6native12_GLOBAL__N_18offset_tEEE10hipError_tPvRmT1_PNSt15iterator_traitsISY_E10value_typeET2_T3_PNSZ_IS14_E10value_typeET4_jRbjT5_S1A_jjP12ihipStream_tbEUljE_EEESV_SW_SX_S14_S18_S1A_T6_T7_T9_mT8_S1C_bDpT10_ENKUlT_T0_E_clISt17integral_constantIbLb1EES1O_IbLb0EEEEDaS1K_S1L_EUlS1K_E_NS1_11comp_targetILNS1_3genE3ELNS1_11target_archE908ELNS1_3gpuE7ELNS1_3repE0EEENS1_30default_config_static_selectorELNS0_4arch9wavefront6targetE0EEEvSY_.num_named_barrier, 0
	.set _ZN7rocprim17ROCPRIM_400000_NS6detail17trampoline_kernelINS0_13select_configILj256ELj13ELNS0_17block_load_methodE3ELS4_3ELS4_3ELNS0_20block_scan_algorithmE0ELj4294967295EEENS1_25partition_config_selectorILNS1_17partition_subalgoE3EjNS0_10empty_typeEbEEZZNS1_14partition_implILS8_3ELb0ES6_jNS0_17counting_iteratorIjlEEPS9_SE_NS0_5tupleIJPjSE_EEENSF_IJSE_SE_EEES9_SG_JZNS1_25segmented_radix_sort_implINS0_14default_configELb1EPKbPbPKlPlN2at6native12_GLOBAL__N_18offset_tEEE10hipError_tPvRmT1_PNSt15iterator_traitsISY_E10value_typeET2_T3_PNSZ_IS14_E10value_typeET4_jRbjT5_S1A_jjP12ihipStream_tbEUljE_EEESV_SW_SX_S14_S18_S1A_T6_T7_T9_mT8_S1C_bDpT10_ENKUlT_T0_E_clISt17integral_constantIbLb1EES1O_IbLb0EEEEDaS1K_S1L_EUlS1K_E_NS1_11comp_targetILNS1_3genE3ELNS1_11target_archE908ELNS1_3gpuE7ELNS1_3repE0EEENS1_30default_config_static_selectorELNS0_4arch9wavefront6targetE0EEEvSY_.private_seg_size, 0
	.set _ZN7rocprim17ROCPRIM_400000_NS6detail17trampoline_kernelINS0_13select_configILj256ELj13ELNS0_17block_load_methodE3ELS4_3ELS4_3ELNS0_20block_scan_algorithmE0ELj4294967295EEENS1_25partition_config_selectorILNS1_17partition_subalgoE3EjNS0_10empty_typeEbEEZZNS1_14partition_implILS8_3ELb0ES6_jNS0_17counting_iteratorIjlEEPS9_SE_NS0_5tupleIJPjSE_EEENSF_IJSE_SE_EEES9_SG_JZNS1_25segmented_radix_sort_implINS0_14default_configELb1EPKbPbPKlPlN2at6native12_GLOBAL__N_18offset_tEEE10hipError_tPvRmT1_PNSt15iterator_traitsISY_E10value_typeET2_T3_PNSZ_IS14_E10value_typeET4_jRbjT5_S1A_jjP12ihipStream_tbEUljE_EEESV_SW_SX_S14_S18_S1A_T6_T7_T9_mT8_S1C_bDpT10_ENKUlT_T0_E_clISt17integral_constantIbLb1EES1O_IbLb0EEEEDaS1K_S1L_EUlS1K_E_NS1_11comp_targetILNS1_3genE3ELNS1_11target_archE908ELNS1_3gpuE7ELNS1_3repE0EEENS1_30default_config_static_selectorELNS0_4arch9wavefront6targetE0EEEvSY_.uses_vcc, 0
	.set _ZN7rocprim17ROCPRIM_400000_NS6detail17trampoline_kernelINS0_13select_configILj256ELj13ELNS0_17block_load_methodE3ELS4_3ELS4_3ELNS0_20block_scan_algorithmE0ELj4294967295EEENS1_25partition_config_selectorILNS1_17partition_subalgoE3EjNS0_10empty_typeEbEEZZNS1_14partition_implILS8_3ELb0ES6_jNS0_17counting_iteratorIjlEEPS9_SE_NS0_5tupleIJPjSE_EEENSF_IJSE_SE_EEES9_SG_JZNS1_25segmented_radix_sort_implINS0_14default_configELb1EPKbPbPKlPlN2at6native12_GLOBAL__N_18offset_tEEE10hipError_tPvRmT1_PNSt15iterator_traitsISY_E10value_typeET2_T3_PNSZ_IS14_E10value_typeET4_jRbjT5_S1A_jjP12ihipStream_tbEUljE_EEESV_SW_SX_S14_S18_S1A_T6_T7_T9_mT8_S1C_bDpT10_ENKUlT_T0_E_clISt17integral_constantIbLb1EES1O_IbLb0EEEEDaS1K_S1L_EUlS1K_E_NS1_11comp_targetILNS1_3genE3ELNS1_11target_archE908ELNS1_3gpuE7ELNS1_3repE0EEENS1_30default_config_static_selectorELNS0_4arch9wavefront6targetE0EEEvSY_.uses_flat_scratch, 0
	.set _ZN7rocprim17ROCPRIM_400000_NS6detail17trampoline_kernelINS0_13select_configILj256ELj13ELNS0_17block_load_methodE3ELS4_3ELS4_3ELNS0_20block_scan_algorithmE0ELj4294967295EEENS1_25partition_config_selectorILNS1_17partition_subalgoE3EjNS0_10empty_typeEbEEZZNS1_14partition_implILS8_3ELb0ES6_jNS0_17counting_iteratorIjlEEPS9_SE_NS0_5tupleIJPjSE_EEENSF_IJSE_SE_EEES9_SG_JZNS1_25segmented_radix_sort_implINS0_14default_configELb1EPKbPbPKlPlN2at6native12_GLOBAL__N_18offset_tEEE10hipError_tPvRmT1_PNSt15iterator_traitsISY_E10value_typeET2_T3_PNSZ_IS14_E10value_typeET4_jRbjT5_S1A_jjP12ihipStream_tbEUljE_EEESV_SW_SX_S14_S18_S1A_T6_T7_T9_mT8_S1C_bDpT10_ENKUlT_T0_E_clISt17integral_constantIbLb1EES1O_IbLb0EEEEDaS1K_S1L_EUlS1K_E_NS1_11comp_targetILNS1_3genE3ELNS1_11target_archE908ELNS1_3gpuE7ELNS1_3repE0EEENS1_30default_config_static_selectorELNS0_4arch9wavefront6targetE0EEEvSY_.has_dyn_sized_stack, 0
	.set _ZN7rocprim17ROCPRIM_400000_NS6detail17trampoline_kernelINS0_13select_configILj256ELj13ELNS0_17block_load_methodE3ELS4_3ELS4_3ELNS0_20block_scan_algorithmE0ELj4294967295EEENS1_25partition_config_selectorILNS1_17partition_subalgoE3EjNS0_10empty_typeEbEEZZNS1_14partition_implILS8_3ELb0ES6_jNS0_17counting_iteratorIjlEEPS9_SE_NS0_5tupleIJPjSE_EEENSF_IJSE_SE_EEES9_SG_JZNS1_25segmented_radix_sort_implINS0_14default_configELb1EPKbPbPKlPlN2at6native12_GLOBAL__N_18offset_tEEE10hipError_tPvRmT1_PNSt15iterator_traitsISY_E10value_typeET2_T3_PNSZ_IS14_E10value_typeET4_jRbjT5_S1A_jjP12ihipStream_tbEUljE_EEESV_SW_SX_S14_S18_S1A_T6_T7_T9_mT8_S1C_bDpT10_ENKUlT_T0_E_clISt17integral_constantIbLb1EES1O_IbLb0EEEEDaS1K_S1L_EUlS1K_E_NS1_11comp_targetILNS1_3genE3ELNS1_11target_archE908ELNS1_3gpuE7ELNS1_3repE0EEENS1_30default_config_static_selectorELNS0_4arch9wavefront6targetE0EEEvSY_.has_recursion, 0
	.set _ZN7rocprim17ROCPRIM_400000_NS6detail17trampoline_kernelINS0_13select_configILj256ELj13ELNS0_17block_load_methodE3ELS4_3ELS4_3ELNS0_20block_scan_algorithmE0ELj4294967295EEENS1_25partition_config_selectorILNS1_17partition_subalgoE3EjNS0_10empty_typeEbEEZZNS1_14partition_implILS8_3ELb0ES6_jNS0_17counting_iteratorIjlEEPS9_SE_NS0_5tupleIJPjSE_EEENSF_IJSE_SE_EEES9_SG_JZNS1_25segmented_radix_sort_implINS0_14default_configELb1EPKbPbPKlPlN2at6native12_GLOBAL__N_18offset_tEEE10hipError_tPvRmT1_PNSt15iterator_traitsISY_E10value_typeET2_T3_PNSZ_IS14_E10value_typeET4_jRbjT5_S1A_jjP12ihipStream_tbEUljE_EEESV_SW_SX_S14_S18_S1A_T6_T7_T9_mT8_S1C_bDpT10_ENKUlT_T0_E_clISt17integral_constantIbLb1EES1O_IbLb0EEEEDaS1K_S1L_EUlS1K_E_NS1_11comp_targetILNS1_3genE3ELNS1_11target_archE908ELNS1_3gpuE7ELNS1_3repE0EEENS1_30default_config_static_selectorELNS0_4arch9wavefront6targetE0EEEvSY_.has_indirect_call, 0
	.section	.AMDGPU.csdata,"",@progbits
; Kernel info:
; codeLenInByte = 0
; TotalNumSgprs: 0
; NumVgprs: 0
; ScratchSize: 0
; MemoryBound: 0
; FloatMode: 240
; IeeeMode: 1
; LDSByteSize: 0 bytes/workgroup (compile time only)
; SGPRBlocks: 0
; VGPRBlocks: 0
; NumSGPRsForWavesPerEU: 1
; NumVGPRsForWavesPerEU: 1
; NamedBarCnt: 0
; Occupancy: 16
; WaveLimiterHint : 0
; COMPUTE_PGM_RSRC2:SCRATCH_EN: 0
; COMPUTE_PGM_RSRC2:USER_SGPR: 2
; COMPUTE_PGM_RSRC2:TRAP_HANDLER: 0
; COMPUTE_PGM_RSRC2:TGID_X_EN: 1
; COMPUTE_PGM_RSRC2:TGID_Y_EN: 0
; COMPUTE_PGM_RSRC2:TGID_Z_EN: 0
; COMPUTE_PGM_RSRC2:TIDIG_COMP_CNT: 0
	.section	.text._ZN7rocprim17ROCPRIM_400000_NS6detail17trampoline_kernelINS0_13select_configILj256ELj13ELNS0_17block_load_methodE3ELS4_3ELS4_3ELNS0_20block_scan_algorithmE0ELj4294967295EEENS1_25partition_config_selectorILNS1_17partition_subalgoE3EjNS0_10empty_typeEbEEZZNS1_14partition_implILS8_3ELb0ES6_jNS0_17counting_iteratorIjlEEPS9_SE_NS0_5tupleIJPjSE_EEENSF_IJSE_SE_EEES9_SG_JZNS1_25segmented_radix_sort_implINS0_14default_configELb1EPKbPbPKlPlN2at6native12_GLOBAL__N_18offset_tEEE10hipError_tPvRmT1_PNSt15iterator_traitsISY_E10value_typeET2_T3_PNSZ_IS14_E10value_typeET4_jRbjT5_S1A_jjP12ihipStream_tbEUljE_EEESV_SW_SX_S14_S18_S1A_T6_T7_T9_mT8_S1C_bDpT10_ENKUlT_T0_E_clISt17integral_constantIbLb1EES1O_IbLb0EEEEDaS1K_S1L_EUlS1K_E_NS1_11comp_targetILNS1_3genE2ELNS1_11target_archE906ELNS1_3gpuE6ELNS1_3repE0EEENS1_30default_config_static_selectorELNS0_4arch9wavefront6targetE0EEEvSY_,"axG",@progbits,_ZN7rocprim17ROCPRIM_400000_NS6detail17trampoline_kernelINS0_13select_configILj256ELj13ELNS0_17block_load_methodE3ELS4_3ELS4_3ELNS0_20block_scan_algorithmE0ELj4294967295EEENS1_25partition_config_selectorILNS1_17partition_subalgoE3EjNS0_10empty_typeEbEEZZNS1_14partition_implILS8_3ELb0ES6_jNS0_17counting_iteratorIjlEEPS9_SE_NS0_5tupleIJPjSE_EEENSF_IJSE_SE_EEES9_SG_JZNS1_25segmented_radix_sort_implINS0_14default_configELb1EPKbPbPKlPlN2at6native12_GLOBAL__N_18offset_tEEE10hipError_tPvRmT1_PNSt15iterator_traitsISY_E10value_typeET2_T3_PNSZ_IS14_E10value_typeET4_jRbjT5_S1A_jjP12ihipStream_tbEUljE_EEESV_SW_SX_S14_S18_S1A_T6_T7_T9_mT8_S1C_bDpT10_ENKUlT_T0_E_clISt17integral_constantIbLb1EES1O_IbLb0EEEEDaS1K_S1L_EUlS1K_E_NS1_11comp_targetILNS1_3genE2ELNS1_11target_archE906ELNS1_3gpuE6ELNS1_3repE0EEENS1_30default_config_static_selectorELNS0_4arch9wavefront6targetE0EEEvSY_,comdat
	.globl	_ZN7rocprim17ROCPRIM_400000_NS6detail17trampoline_kernelINS0_13select_configILj256ELj13ELNS0_17block_load_methodE3ELS4_3ELS4_3ELNS0_20block_scan_algorithmE0ELj4294967295EEENS1_25partition_config_selectorILNS1_17partition_subalgoE3EjNS0_10empty_typeEbEEZZNS1_14partition_implILS8_3ELb0ES6_jNS0_17counting_iteratorIjlEEPS9_SE_NS0_5tupleIJPjSE_EEENSF_IJSE_SE_EEES9_SG_JZNS1_25segmented_radix_sort_implINS0_14default_configELb1EPKbPbPKlPlN2at6native12_GLOBAL__N_18offset_tEEE10hipError_tPvRmT1_PNSt15iterator_traitsISY_E10value_typeET2_T3_PNSZ_IS14_E10value_typeET4_jRbjT5_S1A_jjP12ihipStream_tbEUljE_EEESV_SW_SX_S14_S18_S1A_T6_T7_T9_mT8_S1C_bDpT10_ENKUlT_T0_E_clISt17integral_constantIbLb1EES1O_IbLb0EEEEDaS1K_S1L_EUlS1K_E_NS1_11comp_targetILNS1_3genE2ELNS1_11target_archE906ELNS1_3gpuE6ELNS1_3repE0EEENS1_30default_config_static_selectorELNS0_4arch9wavefront6targetE0EEEvSY_ ; -- Begin function _ZN7rocprim17ROCPRIM_400000_NS6detail17trampoline_kernelINS0_13select_configILj256ELj13ELNS0_17block_load_methodE3ELS4_3ELS4_3ELNS0_20block_scan_algorithmE0ELj4294967295EEENS1_25partition_config_selectorILNS1_17partition_subalgoE3EjNS0_10empty_typeEbEEZZNS1_14partition_implILS8_3ELb0ES6_jNS0_17counting_iteratorIjlEEPS9_SE_NS0_5tupleIJPjSE_EEENSF_IJSE_SE_EEES9_SG_JZNS1_25segmented_radix_sort_implINS0_14default_configELb1EPKbPbPKlPlN2at6native12_GLOBAL__N_18offset_tEEE10hipError_tPvRmT1_PNSt15iterator_traitsISY_E10value_typeET2_T3_PNSZ_IS14_E10value_typeET4_jRbjT5_S1A_jjP12ihipStream_tbEUljE_EEESV_SW_SX_S14_S18_S1A_T6_T7_T9_mT8_S1C_bDpT10_ENKUlT_T0_E_clISt17integral_constantIbLb1EES1O_IbLb0EEEEDaS1K_S1L_EUlS1K_E_NS1_11comp_targetILNS1_3genE2ELNS1_11target_archE906ELNS1_3gpuE6ELNS1_3repE0EEENS1_30default_config_static_selectorELNS0_4arch9wavefront6targetE0EEEvSY_
	.p2align	8
	.type	_ZN7rocprim17ROCPRIM_400000_NS6detail17trampoline_kernelINS0_13select_configILj256ELj13ELNS0_17block_load_methodE3ELS4_3ELS4_3ELNS0_20block_scan_algorithmE0ELj4294967295EEENS1_25partition_config_selectorILNS1_17partition_subalgoE3EjNS0_10empty_typeEbEEZZNS1_14partition_implILS8_3ELb0ES6_jNS0_17counting_iteratorIjlEEPS9_SE_NS0_5tupleIJPjSE_EEENSF_IJSE_SE_EEES9_SG_JZNS1_25segmented_radix_sort_implINS0_14default_configELb1EPKbPbPKlPlN2at6native12_GLOBAL__N_18offset_tEEE10hipError_tPvRmT1_PNSt15iterator_traitsISY_E10value_typeET2_T3_PNSZ_IS14_E10value_typeET4_jRbjT5_S1A_jjP12ihipStream_tbEUljE_EEESV_SW_SX_S14_S18_S1A_T6_T7_T9_mT8_S1C_bDpT10_ENKUlT_T0_E_clISt17integral_constantIbLb1EES1O_IbLb0EEEEDaS1K_S1L_EUlS1K_E_NS1_11comp_targetILNS1_3genE2ELNS1_11target_archE906ELNS1_3gpuE6ELNS1_3repE0EEENS1_30default_config_static_selectorELNS0_4arch9wavefront6targetE0EEEvSY_,@function
_ZN7rocprim17ROCPRIM_400000_NS6detail17trampoline_kernelINS0_13select_configILj256ELj13ELNS0_17block_load_methodE3ELS4_3ELS4_3ELNS0_20block_scan_algorithmE0ELj4294967295EEENS1_25partition_config_selectorILNS1_17partition_subalgoE3EjNS0_10empty_typeEbEEZZNS1_14partition_implILS8_3ELb0ES6_jNS0_17counting_iteratorIjlEEPS9_SE_NS0_5tupleIJPjSE_EEENSF_IJSE_SE_EEES9_SG_JZNS1_25segmented_radix_sort_implINS0_14default_configELb1EPKbPbPKlPlN2at6native12_GLOBAL__N_18offset_tEEE10hipError_tPvRmT1_PNSt15iterator_traitsISY_E10value_typeET2_T3_PNSZ_IS14_E10value_typeET4_jRbjT5_S1A_jjP12ihipStream_tbEUljE_EEESV_SW_SX_S14_S18_S1A_T6_T7_T9_mT8_S1C_bDpT10_ENKUlT_T0_E_clISt17integral_constantIbLb1EES1O_IbLb0EEEEDaS1K_S1L_EUlS1K_E_NS1_11comp_targetILNS1_3genE2ELNS1_11target_archE906ELNS1_3gpuE6ELNS1_3repE0EEENS1_30default_config_static_selectorELNS0_4arch9wavefront6targetE0EEEvSY_: ; @_ZN7rocprim17ROCPRIM_400000_NS6detail17trampoline_kernelINS0_13select_configILj256ELj13ELNS0_17block_load_methodE3ELS4_3ELS4_3ELNS0_20block_scan_algorithmE0ELj4294967295EEENS1_25partition_config_selectorILNS1_17partition_subalgoE3EjNS0_10empty_typeEbEEZZNS1_14partition_implILS8_3ELb0ES6_jNS0_17counting_iteratorIjlEEPS9_SE_NS0_5tupleIJPjSE_EEENSF_IJSE_SE_EEES9_SG_JZNS1_25segmented_radix_sort_implINS0_14default_configELb1EPKbPbPKlPlN2at6native12_GLOBAL__N_18offset_tEEE10hipError_tPvRmT1_PNSt15iterator_traitsISY_E10value_typeET2_T3_PNSZ_IS14_E10value_typeET4_jRbjT5_S1A_jjP12ihipStream_tbEUljE_EEESV_SW_SX_S14_S18_S1A_T6_T7_T9_mT8_S1C_bDpT10_ENKUlT_T0_E_clISt17integral_constantIbLb1EES1O_IbLb0EEEEDaS1K_S1L_EUlS1K_E_NS1_11comp_targetILNS1_3genE2ELNS1_11target_archE906ELNS1_3gpuE6ELNS1_3repE0EEENS1_30default_config_static_selectorELNS0_4arch9wavefront6targetE0EEEvSY_
; %bb.0:
	.section	.rodata,"a",@progbits
	.p2align	6, 0x0
	.amdhsa_kernel _ZN7rocprim17ROCPRIM_400000_NS6detail17trampoline_kernelINS0_13select_configILj256ELj13ELNS0_17block_load_methodE3ELS4_3ELS4_3ELNS0_20block_scan_algorithmE0ELj4294967295EEENS1_25partition_config_selectorILNS1_17partition_subalgoE3EjNS0_10empty_typeEbEEZZNS1_14partition_implILS8_3ELb0ES6_jNS0_17counting_iteratorIjlEEPS9_SE_NS0_5tupleIJPjSE_EEENSF_IJSE_SE_EEES9_SG_JZNS1_25segmented_radix_sort_implINS0_14default_configELb1EPKbPbPKlPlN2at6native12_GLOBAL__N_18offset_tEEE10hipError_tPvRmT1_PNSt15iterator_traitsISY_E10value_typeET2_T3_PNSZ_IS14_E10value_typeET4_jRbjT5_S1A_jjP12ihipStream_tbEUljE_EEESV_SW_SX_S14_S18_S1A_T6_T7_T9_mT8_S1C_bDpT10_ENKUlT_T0_E_clISt17integral_constantIbLb1EES1O_IbLb0EEEEDaS1K_S1L_EUlS1K_E_NS1_11comp_targetILNS1_3genE2ELNS1_11target_archE906ELNS1_3gpuE6ELNS1_3repE0EEENS1_30default_config_static_selectorELNS0_4arch9wavefront6targetE0EEEvSY_
		.amdhsa_group_segment_fixed_size 0
		.amdhsa_private_segment_fixed_size 0
		.amdhsa_kernarg_size 144
		.amdhsa_user_sgpr_count 2
		.amdhsa_user_sgpr_dispatch_ptr 0
		.amdhsa_user_sgpr_queue_ptr 0
		.amdhsa_user_sgpr_kernarg_segment_ptr 1
		.amdhsa_user_sgpr_dispatch_id 0
		.amdhsa_user_sgpr_kernarg_preload_length 0
		.amdhsa_user_sgpr_kernarg_preload_offset 0
		.amdhsa_user_sgpr_private_segment_size 0
		.amdhsa_wavefront_size32 1
		.amdhsa_uses_dynamic_stack 0
		.amdhsa_enable_private_segment 0
		.amdhsa_system_sgpr_workgroup_id_x 1
		.amdhsa_system_sgpr_workgroup_id_y 0
		.amdhsa_system_sgpr_workgroup_id_z 0
		.amdhsa_system_sgpr_workgroup_info 0
		.amdhsa_system_vgpr_workitem_id 0
		.amdhsa_next_free_vgpr 1
		.amdhsa_next_free_sgpr 1
		.amdhsa_named_barrier_count 0
		.amdhsa_reserve_vcc 0
		.amdhsa_float_round_mode_32 0
		.amdhsa_float_round_mode_16_64 0
		.amdhsa_float_denorm_mode_32 3
		.amdhsa_float_denorm_mode_16_64 3
		.amdhsa_fp16_overflow 0
		.amdhsa_memory_ordered 1
		.amdhsa_forward_progress 1
		.amdhsa_inst_pref_size 0
		.amdhsa_round_robin_scheduling 0
		.amdhsa_exception_fp_ieee_invalid_op 0
		.amdhsa_exception_fp_denorm_src 0
		.amdhsa_exception_fp_ieee_div_zero 0
		.amdhsa_exception_fp_ieee_overflow 0
		.amdhsa_exception_fp_ieee_underflow 0
		.amdhsa_exception_fp_ieee_inexact 0
		.amdhsa_exception_int_div_zero 0
	.end_amdhsa_kernel
	.section	.text._ZN7rocprim17ROCPRIM_400000_NS6detail17trampoline_kernelINS0_13select_configILj256ELj13ELNS0_17block_load_methodE3ELS4_3ELS4_3ELNS0_20block_scan_algorithmE0ELj4294967295EEENS1_25partition_config_selectorILNS1_17partition_subalgoE3EjNS0_10empty_typeEbEEZZNS1_14partition_implILS8_3ELb0ES6_jNS0_17counting_iteratorIjlEEPS9_SE_NS0_5tupleIJPjSE_EEENSF_IJSE_SE_EEES9_SG_JZNS1_25segmented_radix_sort_implINS0_14default_configELb1EPKbPbPKlPlN2at6native12_GLOBAL__N_18offset_tEEE10hipError_tPvRmT1_PNSt15iterator_traitsISY_E10value_typeET2_T3_PNSZ_IS14_E10value_typeET4_jRbjT5_S1A_jjP12ihipStream_tbEUljE_EEESV_SW_SX_S14_S18_S1A_T6_T7_T9_mT8_S1C_bDpT10_ENKUlT_T0_E_clISt17integral_constantIbLb1EES1O_IbLb0EEEEDaS1K_S1L_EUlS1K_E_NS1_11comp_targetILNS1_3genE2ELNS1_11target_archE906ELNS1_3gpuE6ELNS1_3repE0EEENS1_30default_config_static_selectorELNS0_4arch9wavefront6targetE0EEEvSY_,"axG",@progbits,_ZN7rocprim17ROCPRIM_400000_NS6detail17trampoline_kernelINS0_13select_configILj256ELj13ELNS0_17block_load_methodE3ELS4_3ELS4_3ELNS0_20block_scan_algorithmE0ELj4294967295EEENS1_25partition_config_selectorILNS1_17partition_subalgoE3EjNS0_10empty_typeEbEEZZNS1_14partition_implILS8_3ELb0ES6_jNS0_17counting_iteratorIjlEEPS9_SE_NS0_5tupleIJPjSE_EEENSF_IJSE_SE_EEES9_SG_JZNS1_25segmented_radix_sort_implINS0_14default_configELb1EPKbPbPKlPlN2at6native12_GLOBAL__N_18offset_tEEE10hipError_tPvRmT1_PNSt15iterator_traitsISY_E10value_typeET2_T3_PNSZ_IS14_E10value_typeET4_jRbjT5_S1A_jjP12ihipStream_tbEUljE_EEESV_SW_SX_S14_S18_S1A_T6_T7_T9_mT8_S1C_bDpT10_ENKUlT_T0_E_clISt17integral_constantIbLb1EES1O_IbLb0EEEEDaS1K_S1L_EUlS1K_E_NS1_11comp_targetILNS1_3genE2ELNS1_11target_archE906ELNS1_3gpuE6ELNS1_3repE0EEENS1_30default_config_static_selectorELNS0_4arch9wavefront6targetE0EEEvSY_,comdat
.Lfunc_end1512:
	.size	_ZN7rocprim17ROCPRIM_400000_NS6detail17trampoline_kernelINS0_13select_configILj256ELj13ELNS0_17block_load_methodE3ELS4_3ELS4_3ELNS0_20block_scan_algorithmE0ELj4294967295EEENS1_25partition_config_selectorILNS1_17partition_subalgoE3EjNS0_10empty_typeEbEEZZNS1_14partition_implILS8_3ELb0ES6_jNS0_17counting_iteratorIjlEEPS9_SE_NS0_5tupleIJPjSE_EEENSF_IJSE_SE_EEES9_SG_JZNS1_25segmented_radix_sort_implINS0_14default_configELb1EPKbPbPKlPlN2at6native12_GLOBAL__N_18offset_tEEE10hipError_tPvRmT1_PNSt15iterator_traitsISY_E10value_typeET2_T3_PNSZ_IS14_E10value_typeET4_jRbjT5_S1A_jjP12ihipStream_tbEUljE_EEESV_SW_SX_S14_S18_S1A_T6_T7_T9_mT8_S1C_bDpT10_ENKUlT_T0_E_clISt17integral_constantIbLb1EES1O_IbLb0EEEEDaS1K_S1L_EUlS1K_E_NS1_11comp_targetILNS1_3genE2ELNS1_11target_archE906ELNS1_3gpuE6ELNS1_3repE0EEENS1_30default_config_static_selectorELNS0_4arch9wavefront6targetE0EEEvSY_, .Lfunc_end1512-_ZN7rocprim17ROCPRIM_400000_NS6detail17trampoline_kernelINS0_13select_configILj256ELj13ELNS0_17block_load_methodE3ELS4_3ELS4_3ELNS0_20block_scan_algorithmE0ELj4294967295EEENS1_25partition_config_selectorILNS1_17partition_subalgoE3EjNS0_10empty_typeEbEEZZNS1_14partition_implILS8_3ELb0ES6_jNS0_17counting_iteratorIjlEEPS9_SE_NS0_5tupleIJPjSE_EEENSF_IJSE_SE_EEES9_SG_JZNS1_25segmented_radix_sort_implINS0_14default_configELb1EPKbPbPKlPlN2at6native12_GLOBAL__N_18offset_tEEE10hipError_tPvRmT1_PNSt15iterator_traitsISY_E10value_typeET2_T3_PNSZ_IS14_E10value_typeET4_jRbjT5_S1A_jjP12ihipStream_tbEUljE_EEESV_SW_SX_S14_S18_S1A_T6_T7_T9_mT8_S1C_bDpT10_ENKUlT_T0_E_clISt17integral_constantIbLb1EES1O_IbLb0EEEEDaS1K_S1L_EUlS1K_E_NS1_11comp_targetILNS1_3genE2ELNS1_11target_archE906ELNS1_3gpuE6ELNS1_3repE0EEENS1_30default_config_static_selectorELNS0_4arch9wavefront6targetE0EEEvSY_
                                        ; -- End function
	.set _ZN7rocprim17ROCPRIM_400000_NS6detail17trampoline_kernelINS0_13select_configILj256ELj13ELNS0_17block_load_methodE3ELS4_3ELS4_3ELNS0_20block_scan_algorithmE0ELj4294967295EEENS1_25partition_config_selectorILNS1_17partition_subalgoE3EjNS0_10empty_typeEbEEZZNS1_14partition_implILS8_3ELb0ES6_jNS0_17counting_iteratorIjlEEPS9_SE_NS0_5tupleIJPjSE_EEENSF_IJSE_SE_EEES9_SG_JZNS1_25segmented_radix_sort_implINS0_14default_configELb1EPKbPbPKlPlN2at6native12_GLOBAL__N_18offset_tEEE10hipError_tPvRmT1_PNSt15iterator_traitsISY_E10value_typeET2_T3_PNSZ_IS14_E10value_typeET4_jRbjT5_S1A_jjP12ihipStream_tbEUljE_EEESV_SW_SX_S14_S18_S1A_T6_T7_T9_mT8_S1C_bDpT10_ENKUlT_T0_E_clISt17integral_constantIbLb1EES1O_IbLb0EEEEDaS1K_S1L_EUlS1K_E_NS1_11comp_targetILNS1_3genE2ELNS1_11target_archE906ELNS1_3gpuE6ELNS1_3repE0EEENS1_30default_config_static_selectorELNS0_4arch9wavefront6targetE0EEEvSY_.num_vgpr, 0
	.set _ZN7rocprim17ROCPRIM_400000_NS6detail17trampoline_kernelINS0_13select_configILj256ELj13ELNS0_17block_load_methodE3ELS4_3ELS4_3ELNS0_20block_scan_algorithmE0ELj4294967295EEENS1_25partition_config_selectorILNS1_17partition_subalgoE3EjNS0_10empty_typeEbEEZZNS1_14partition_implILS8_3ELb0ES6_jNS0_17counting_iteratorIjlEEPS9_SE_NS0_5tupleIJPjSE_EEENSF_IJSE_SE_EEES9_SG_JZNS1_25segmented_radix_sort_implINS0_14default_configELb1EPKbPbPKlPlN2at6native12_GLOBAL__N_18offset_tEEE10hipError_tPvRmT1_PNSt15iterator_traitsISY_E10value_typeET2_T3_PNSZ_IS14_E10value_typeET4_jRbjT5_S1A_jjP12ihipStream_tbEUljE_EEESV_SW_SX_S14_S18_S1A_T6_T7_T9_mT8_S1C_bDpT10_ENKUlT_T0_E_clISt17integral_constantIbLb1EES1O_IbLb0EEEEDaS1K_S1L_EUlS1K_E_NS1_11comp_targetILNS1_3genE2ELNS1_11target_archE906ELNS1_3gpuE6ELNS1_3repE0EEENS1_30default_config_static_selectorELNS0_4arch9wavefront6targetE0EEEvSY_.num_agpr, 0
	.set _ZN7rocprim17ROCPRIM_400000_NS6detail17trampoline_kernelINS0_13select_configILj256ELj13ELNS0_17block_load_methodE3ELS4_3ELS4_3ELNS0_20block_scan_algorithmE0ELj4294967295EEENS1_25partition_config_selectorILNS1_17partition_subalgoE3EjNS0_10empty_typeEbEEZZNS1_14partition_implILS8_3ELb0ES6_jNS0_17counting_iteratorIjlEEPS9_SE_NS0_5tupleIJPjSE_EEENSF_IJSE_SE_EEES9_SG_JZNS1_25segmented_radix_sort_implINS0_14default_configELb1EPKbPbPKlPlN2at6native12_GLOBAL__N_18offset_tEEE10hipError_tPvRmT1_PNSt15iterator_traitsISY_E10value_typeET2_T3_PNSZ_IS14_E10value_typeET4_jRbjT5_S1A_jjP12ihipStream_tbEUljE_EEESV_SW_SX_S14_S18_S1A_T6_T7_T9_mT8_S1C_bDpT10_ENKUlT_T0_E_clISt17integral_constantIbLb1EES1O_IbLb0EEEEDaS1K_S1L_EUlS1K_E_NS1_11comp_targetILNS1_3genE2ELNS1_11target_archE906ELNS1_3gpuE6ELNS1_3repE0EEENS1_30default_config_static_selectorELNS0_4arch9wavefront6targetE0EEEvSY_.numbered_sgpr, 0
	.set _ZN7rocprim17ROCPRIM_400000_NS6detail17trampoline_kernelINS0_13select_configILj256ELj13ELNS0_17block_load_methodE3ELS4_3ELS4_3ELNS0_20block_scan_algorithmE0ELj4294967295EEENS1_25partition_config_selectorILNS1_17partition_subalgoE3EjNS0_10empty_typeEbEEZZNS1_14partition_implILS8_3ELb0ES6_jNS0_17counting_iteratorIjlEEPS9_SE_NS0_5tupleIJPjSE_EEENSF_IJSE_SE_EEES9_SG_JZNS1_25segmented_radix_sort_implINS0_14default_configELb1EPKbPbPKlPlN2at6native12_GLOBAL__N_18offset_tEEE10hipError_tPvRmT1_PNSt15iterator_traitsISY_E10value_typeET2_T3_PNSZ_IS14_E10value_typeET4_jRbjT5_S1A_jjP12ihipStream_tbEUljE_EEESV_SW_SX_S14_S18_S1A_T6_T7_T9_mT8_S1C_bDpT10_ENKUlT_T0_E_clISt17integral_constantIbLb1EES1O_IbLb0EEEEDaS1K_S1L_EUlS1K_E_NS1_11comp_targetILNS1_3genE2ELNS1_11target_archE906ELNS1_3gpuE6ELNS1_3repE0EEENS1_30default_config_static_selectorELNS0_4arch9wavefront6targetE0EEEvSY_.num_named_barrier, 0
	.set _ZN7rocprim17ROCPRIM_400000_NS6detail17trampoline_kernelINS0_13select_configILj256ELj13ELNS0_17block_load_methodE3ELS4_3ELS4_3ELNS0_20block_scan_algorithmE0ELj4294967295EEENS1_25partition_config_selectorILNS1_17partition_subalgoE3EjNS0_10empty_typeEbEEZZNS1_14partition_implILS8_3ELb0ES6_jNS0_17counting_iteratorIjlEEPS9_SE_NS0_5tupleIJPjSE_EEENSF_IJSE_SE_EEES9_SG_JZNS1_25segmented_radix_sort_implINS0_14default_configELb1EPKbPbPKlPlN2at6native12_GLOBAL__N_18offset_tEEE10hipError_tPvRmT1_PNSt15iterator_traitsISY_E10value_typeET2_T3_PNSZ_IS14_E10value_typeET4_jRbjT5_S1A_jjP12ihipStream_tbEUljE_EEESV_SW_SX_S14_S18_S1A_T6_T7_T9_mT8_S1C_bDpT10_ENKUlT_T0_E_clISt17integral_constantIbLb1EES1O_IbLb0EEEEDaS1K_S1L_EUlS1K_E_NS1_11comp_targetILNS1_3genE2ELNS1_11target_archE906ELNS1_3gpuE6ELNS1_3repE0EEENS1_30default_config_static_selectorELNS0_4arch9wavefront6targetE0EEEvSY_.private_seg_size, 0
	.set _ZN7rocprim17ROCPRIM_400000_NS6detail17trampoline_kernelINS0_13select_configILj256ELj13ELNS0_17block_load_methodE3ELS4_3ELS4_3ELNS0_20block_scan_algorithmE0ELj4294967295EEENS1_25partition_config_selectorILNS1_17partition_subalgoE3EjNS0_10empty_typeEbEEZZNS1_14partition_implILS8_3ELb0ES6_jNS0_17counting_iteratorIjlEEPS9_SE_NS0_5tupleIJPjSE_EEENSF_IJSE_SE_EEES9_SG_JZNS1_25segmented_radix_sort_implINS0_14default_configELb1EPKbPbPKlPlN2at6native12_GLOBAL__N_18offset_tEEE10hipError_tPvRmT1_PNSt15iterator_traitsISY_E10value_typeET2_T3_PNSZ_IS14_E10value_typeET4_jRbjT5_S1A_jjP12ihipStream_tbEUljE_EEESV_SW_SX_S14_S18_S1A_T6_T7_T9_mT8_S1C_bDpT10_ENKUlT_T0_E_clISt17integral_constantIbLb1EES1O_IbLb0EEEEDaS1K_S1L_EUlS1K_E_NS1_11comp_targetILNS1_3genE2ELNS1_11target_archE906ELNS1_3gpuE6ELNS1_3repE0EEENS1_30default_config_static_selectorELNS0_4arch9wavefront6targetE0EEEvSY_.uses_vcc, 0
	.set _ZN7rocprim17ROCPRIM_400000_NS6detail17trampoline_kernelINS0_13select_configILj256ELj13ELNS0_17block_load_methodE3ELS4_3ELS4_3ELNS0_20block_scan_algorithmE0ELj4294967295EEENS1_25partition_config_selectorILNS1_17partition_subalgoE3EjNS0_10empty_typeEbEEZZNS1_14partition_implILS8_3ELb0ES6_jNS0_17counting_iteratorIjlEEPS9_SE_NS0_5tupleIJPjSE_EEENSF_IJSE_SE_EEES9_SG_JZNS1_25segmented_radix_sort_implINS0_14default_configELb1EPKbPbPKlPlN2at6native12_GLOBAL__N_18offset_tEEE10hipError_tPvRmT1_PNSt15iterator_traitsISY_E10value_typeET2_T3_PNSZ_IS14_E10value_typeET4_jRbjT5_S1A_jjP12ihipStream_tbEUljE_EEESV_SW_SX_S14_S18_S1A_T6_T7_T9_mT8_S1C_bDpT10_ENKUlT_T0_E_clISt17integral_constantIbLb1EES1O_IbLb0EEEEDaS1K_S1L_EUlS1K_E_NS1_11comp_targetILNS1_3genE2ELNS1_11target_archE906ELNS1_3gpuE6ELNS1_3repE0EEENS1_30default_config_static_selectorELNS0_4arch9wavefront6targetE0EEEvSY_.uses_flat_scratch, 0
	.set _ZN7rocprim17ROCPRIM_400000_NS6detail17trampoline_kernelINS0_13select_configILj256ELj13ELNS0_17block_load_methodE3ELS4_3ELS4_3ELNS0_20block_scan_algorithmE0ELj4294967295EEENS1_25partition_config_selectorILNS1_17partition_subalgoE3EjNS0_10empty_typeEbEEZZNS1_14partition_implILS8_3ELb0ES6_jNS0_17counting_iteratorIjlEEPS9_SE_NS0_5tupleIJPjSE_EEENSF_IJSE_SE_EEES9_SG_JZNS1_25segmented_radix_sort_implINS0_14default_configELb1EPKbPbPKlPlN2at6native12_GLOBAL__N_18offset_tEEE10hipError_tPvRmT1_PNSt15iterator_traitsISY_E10value_typeET2_T3_PNSZ_IS14_E10value_typeET4_jRbjT5_S1A_jjP12ihipStream_tbEUljE_EEESV_SW_SX_S14_S18_S1A_T6_T7_T9_mT8_S1C_bDpT10_ENKUlT_T0_E_clISt17integral_constantIbLb1EES1O_IbLb0EEEEDaS1K_S1L_EUlS1K_E_NS1_11comp_targetILNS1_3genE2ELNS1_11target_archE906ELNS1_3gpuE6ELNS1_3repE0EEENS1_30default_config_static_selectorELNS0_4arch9wavefront6targetE0EEEvSY_.has_dyn_sized_stack, 0
	.set _ZN7rocprim17ROCPRIM_400000_NS6detail17trampoline_kernelINS0_13select_configILj256ELj13ELNS0_17block_load_methodE3ELS4_3ELS4_3ELNS0_20block_scan_algorithmE0ELj4294967295EEENS1_25partition_config_selectorILNS1_17partition_subalgoE3EjNS0_10empty_typeEbEEZZNS1_14partition_implILS8_3ELb0ES6_jNS0_17counting_iteratorIjlEEPS9_SE_NS0_5tupleIJPjSE_EEENSF_IJSE_SE_EEES9_SG_JZNS1_25segmented_radix_sort_implINS0_14default_configELb1EPKbPbPKlPlN2at6native12_GLOBAL__N_18offset_tEEE10hipError_tPvRmT1_PNSt15iterator_traitsISY_E10value_typeET2_T3_PNSZ_IS14_E10value_typeET4_jRbjT5_S1A_jjP12ihipStream_tbEUljE_EEESV_SW_SX_S14_S18_S1A_T6_T7_T9_mT8_S1C_bDpT10_ENKUlT_T0_E_clISt17integral_constantIbLb1EES1O_IbLb0EEEEDaS1K_S1L_EUlS1K_E_NS1_11comp_targetILNS1_3genE2ELNS1_11target_archE906ELNS1_3gpuE6ELNS1_3repE0EEENS1_30default_config_static_selectorELNS0_4arch9wavefront6targetE0EEEvSY_.has_recursion, 0
	.set _ZN7rocprim17ROCPRIM_400000_NS6detail17trampoline_kernelINS0_13select_configILj256ELj13ELNS0_17block_load_methodE3ELS4_3ELS4_3ELNS0_20block_scan_algorithmE0ELj4294967295EEENS1_25partition_config_selectorILNS1_17partition_subalgoE3EjNS0_10empty_typeEbEEZZNS1_14partition_implILS8_3ELb0ES6_jNS0_17counting_iteratorIjlEEPS9_SE_NS0_5tupleIJPjSE_EEENSF_IJSE_SE_EEES9_SG_JZNS1_25segmented_radix_sort_implINS0_14default_configELb1EPKbPbPKlPlN2at6native12_GLOBAL__N_18offset_tEEE10hipError_tPvRmT1_PNSt15iterator_traitsISY_E10value_typeET2_T3_PNSZ_IS14_E10value_typeET4_jRbjT5_S1A_jjP12ihipStream_tbEUljE_EEESV_SW_SX_S14_S18_S1A_T6_T7_T9_mT8_S1C_bDpT10_ENKUlT_T0_E_clISt17integral_constantIbLb1EES1O_IbLb0EEEEDaS1K_S1L_EUlS1K_E_NS1_11comp_targetILNS1_3genE2ELNS1_11target_archE906ELNS1_3gpuE6ELNS1_3repE0EEENS1_30default_config_static_selectorELNS0_4arch9wavefront6targetE0EEEvSY_.has_indirect_call, 0
	.section	.AMDGPU.csdata,"",@progbits
; Kernel info:
; codeLenInByte = 0
; TotalNumSgprs: 0
; NumVgprs: 0
; ScratchSize: 0
; MemoryBound: 0
; FloatMode: 240
; IeeeMode: 1
; LDSByteSize: 0 bytes/workgroup (compile time only)
; SGPRBlocks: 0
; VGPRBlocks: 0
; NumSGPRsForWavesPerEU: 1
; NumVGPRsForWavesPerEU: 1
; NamedBarCnt: 0
; Occupancy: 16
; WaveLimiterHint : 0
; COMPUTE_PGM_RSRC2:SCRATCH_EN: 0
; COMPUTE_PGM_RSRC2:USER_SGPR: 2
; COMPUTE_PGM_RSRC2:TRAP_HANDLER: 0
; COMPUTE_PGM_RSRC2:TGID_X_EN: 1
; COMPUTE_PGM_RSRC2:TGID_Y_EN: 0
; COMPUTE_PGM_RSRC2:TGID_Z_EN: 0
; COMPUTE_PGM_RSRC2:TIDIG_COMP_CNT: 0
	.section	.text._ZN7rocprim17ROCPRIM_400000_NS6detail17trampoline_kernelINS0_13select_configILj256ELj13ELNS0_17block_load_methodE3ELS4_3ELS4_3ELNS0_20block_scan_algorithmE0ELj4294967295EEENS1_25partition_config_selectorILNS1_17partition_subalgoE3EjNS0_10empty_typeEbEEZZNS1_14partition_implILS8_3ELb0ES6_jNS0_17counting_iteratorIjlEEPS9_SE_NS0_5tupleIJPjSE_EEENSF_IJSE_SE_EEES9_SG_JZNS1_25segmented_radix_sort_implINS0_14default_configELb1EPKbPbPKlPlN2at6native12_GLOBAL__N_18offset_tEEE10hipError_tPvRmT1_PNSt15iterator_traitsISY_E10value_typeET2_T3_PNSZ_IS14_E10value_typeET4_jRbjT5_S1A_jjP12ihipStream_tbEUljE_EEESV_SW_SX_S14_S18_S1A_T6_T7_T9_mT8_S1C_bDpT10_ENKUlT_T0_E_clISt17integral_constantIbLb1EES1O_IbLb0EEEEDaS1K_S1L_EUlS1K_E_NS1_11comp_targetILNS1_3genE10ELNS1_11target_archE1200ELNS1_3gpuE4ELNS1_3repE0EEENS1_30default_config_static_selectorELNS0_4arch9wavefront6targetE0EEEvSY_,"axG",@progbits,_ZN7rocprim17ROCPRIM_400000_NS6detail17trampoline_kernelINS0_13select_configILj256ELj13ELNS0_17block_load_methodE3ELS4_3ELS4_3ELNS0_20block_scan_algorithmE0ELj4294967295EEENS1_25partition_config_selectorILNS1_17partition_subalgoE3EjNS0_10empty_typeEbEEZZNS1_14partition_implILS8_3ELb0ES6_jNS0_17counting_iteratorIjlEEPS9_SE_NS0_5tupleIJPjSE_EEENSF_IJSE_SE_EEES9_SG_JZNS1_25segmented_radix_sort_implINS0_14default_configELb1EPKbPbPKlPlN2at6native12_GLOBAL__N_18offset_tEEE10hipError_tPvRmT1_PNSt15iterator_traitsISY_E10value_typeET2_T3_PNSZ_IS14_E10value_typeET4_jRbjT5_S1A_jjP12ihipStream_tbEUljE_EEESV_SW_SX_S14_S18_S1A_T6_T7_T9_mT8_S1C_bDpT10_ENKUlT_T0_E_clISt17integral_constantIbLb1EES1O_IbLb0EEEEDaS1K_S1L_EUlS1K_E_NS1_11comp_targetILNS1_3genE10ELNS1_11target_archE1200ELNS1_3gpuE4ELNS1_3repE0EEENS1_30default_config_static_selectorELNS0_4arch9wavefront6targetE0EEEvSY_,comdat
	.globl	_ZN7rocprim17ROCPRIM_400000_NS6detail17trampoline_kernelINS0_13select_configILj256ELj13ELNS0_17block_load_methodE3ELS4_3ELS4_3ELNS0_20block_scan_algorithmE0ELj4294967295EEENS1_25partition_config_selectorILNS1_17partition_subalgoE3EjNS0_10empty_typeEbEEZZNS1_14partition_implILS8_3ELb0ES6_jNS0_17counting_iteratorIjlEEPS9_SE_NS0_5tupleIJPjSE_EEENSF_IJSE_SE_EEES9_SG_JZNS1_25segmented_radix_sort_implINS0_14default_configELb1EPKbPbPKlPlN2at6native12_GLOBAL__N_18offset_tEEE10hipError_tPvRmT1_PNSt15iterator_traitsISY_E10value_typeET2_T3_PNSZ_IS14_E10value_typeET4_jRbjT5_S1A_jjP12ihipStream_tbEUljE_EEESV_SW_SX_S14_S18_S1A_T6_T7_T9_mT8_S1C_bDpT10_ENKUlT_T0_E_clISt17integral_constantIbLb1EES1O_IbLb0EEEEDaS1K_S1L_EUlS1K_E_NS1_11comp_targetILNS1_3genE10ELNS1_11target_archE1200ELNS1_3gpuE4ELNS1_3repE0EEENS1_30default_config_static_selectorELNS0_4arch9wavefront6targetE0EEEvSY_ ; -- Begin function _ZN7rocprim17ROCPRIM_400000_NS6detail17trampoline_kernelINS0_13select_configILj256ELj13ELNS0_17block_load_methodE3ELS4_3ELS4_3ELNS0_20block_scan_algorithmE0ELj4294967295EEENS1_25partition_config_selectorILNS1_17partition_subalgoE3EjNS0_10empty_typeEbEEZZNS1_14partition_implILS8_3ELb0ES6_jNS0_17counting_iteratorIjlEEPS9_SE_NS0_5tupleIJPjSE_EEENSF_IJSE_SE_EEES9_SG_JZNS1_25segmented_radix_sort_implINS0_14default_configELb1EPKbPbPKlPlN2at6native12_GLOBAL__N_18offset_tEEE10hipError_tPvRmT1_PNSt15iterator_traitsISY_E10value_typeET2_T3_PNSZ_IS14_E10value_typeET4_jRbjT5_S1A_jjP12ihipStream_tbEUljE_EEESV_SW_SX_S14_S18_S1A_T6_T7_T9_mT8_S1C_bDpT10_ENKUlT_T0_E_clISt17integral_constantIbLb1EES1O_IbLb0EEEEDaS1K_S1L_EUlS1K_E_NS1_11comp_targetILNS1_3genE10ELNS1_11target_archE1200ELNS1_3gpuE4ELNS1_3repE0EEENS1_30default_config_static_selectorELNS0_4arch9wavefront6targetE0EEEvSY_
	.p2align	8
	.type	_ZN7rocprim17ROCPRIM_400000_NS6detail17trampoline_kernelINS0_13select_configILj256ELj13ELNS0_17block_load_methodE3ELS4_3ELS4_3ELNS0_20block_scan_algorithmE0ELj4294967295EEENS1_25partition_config_selectorILNS1_17partition_subalgoE3EjNS0_10empty_typeEbEEZZNS1_14partition_implILS8_3ELb0ES6_jNS0_17counting_iteratorIjlEEPS9_SE_NS0_5tupleIJPjSE_EEENSF_IJSE_SE_EEES9_SG_JZNS1_25segmented_radix_sort_implINS0_14default_configELb1EPKbPbPKlPlN2at6native12_GLOBAL__N_18offset_tEEE10hipError_tPvRmT1_PNSt15iterator_traitsISY_E10value_typeET2_T3_PNSZ_IS14_E10value_typeET4_jRbjT5_S1A_jjP12ihipStream_tbEUljE_EEESV_SW_SX_S14_S18_S1A_T6_T7_T9_mT8_S1C_bDpT10_ENKUlT_T0_E_clISt17integral_constantIbLb1EES1O_IbLb0EEEEDaS1K_S1L_EUlS1K_E_NS1_11comp_targetILNS1_3genE10ELNS1_11target_archE1200ELNS1_3gpuE4ELNS1_3repE0EEENS1_30default_config_static_selectorELNS0_4arch9wavefront6targetE0EEEvSY_,@function
_ZN7rocprim17ROCPRIM_400000_NS6detail17trampoline_kernelINS0_13select_configILj256ELj13ELNS0_17block_load_methodE3ELS4_3ELS4_3ELNS0_20block_scan_algorithmE0ELj4294967295EEENS1_25partition_config_selectorILNS1_17partition_subalgoE3EjNS0_10empty_typeEbEEZZNS1_14partition_implILS8_3ELb0ES6_jNS0_17counting_iteratorIjlEEPS9_SE_NS0_5tupleIJPjSE_EEENSF_IJSE_SE_EEES9_SG_JZNS1_25segmented_radix_sort_implINS0_14default_configELb1EPKbPbPKlPlN2at6native12_GLOBAL__N_18offset_tEEE10hipError_tPvRmT1_PNSt15iterator_traitsISY_E10value_typeET2_T3_PNSZ_IS14_E10value_typeET4_jRbjT5_S1A_jjP12ihipStream_tbEUljE_EEESV_SW_SX_S14_S18_S1A_T6_T7_T9_mT8_S1C_bDpT10_ENKUlT_T0_E_clISt17integral_constantIbLb1EES1O_IbLb0EEEEDaS1K_S1L_EUlS1K_E_NS1_11comp_targetILNS1_3genE10ELNS1_11target_archE1200ELNS1_3gpuE4ELNS1_3repE0EEENS1_30default_config_static_selectorELNS0_4arch9wavefront6targetE0EEEvSY_: ; @_ZN7rocprim17ROCPRIM_400000_NS6detail17trampoline_kernelINS0_13select_configILj256ELj13ELNS0_17block_load_methodE3ELS4_3ELS4_3ELNS0_20block_scan_algorithmE0ELj4294967295EEENS1_25partition_config_selectorILNS1_17partition_subalgoE3EjNS0_10empty_typeEbEEZZNS1_14partition_implILS8_3ELb0ES6_jNS0_17counting_iteratorIjlEEPS9_SE_NS0_5tupleIJPjSE_EEENSF_IJSE_SE_EEES9_SG_JZNS1_25segmented_radix_sort_implINS0_14default_configELb1EPKbPbPKlPlN2at6native12_GLOBAL__N_18offset_tEEE10hipError_tPvRmT1_PNSt15iterator_traitsISY_E10value_typeET2_T3_PNSZ_IS14_E10value_typeET4_jRbjT5_S1A_jjP12ihipStream_tbEUljE_EEESV_SW_SX_S14_S18_S1A_T6_T7_T9_mT8_S1C_bDpT10_ENKUlT_T0_E_clISt17integral_constantIbLb1EES1O_IbLb0EEEEDaS1K_S1L_EUlS1K_E_NS1_11comp_targetILNS1_3genE10ELNS1_11target_archE1200ELNS1_3gpuE4ELNS1_3repE0EEENS1_30default_config_static_selectorELNS0_4arch9wavefront6targetE0EEEvSY_
; %bb.0:
	.section	.rodata,"a",@progbits
	.p2align	6, 0x0
	.amdhsa_kernel _ZN7rocprim17ROCPRIM_400000_NS6detail17trampoline_kernelINS0_13select_configILj256ELj13ELNS0_17block_load_methodE3ELS4_3ELS4_3ELNS0_20block_scan_algorithmE0ELj4294967295EEENS1_25partition_config_selectorILNS1_17partition_subalgoE3EjNS0_10empty_typeEbEEZZNS1_14partition_implILS8_3ELb0ES6_jNS0_17counting_iteratorIjlEEPS9_SE_NS0_5tupleIJPjSE_EEENSF_IJSE_SE_EEES9_SG_JZNS1_25segmented_radix_sort_implINS0_14default_configELb1EPKbPbPKlPlN2at6native12_GLOBAL__N_18offset_tEEE10hipError_tPvRmT1_PNSt15iterator_traitsISY_E10value_typeET2_T3_PNSZ_IS14_E10value_typeET4_jRbjT5_S1A_jjP12ihipStream_tbEUljE_EEESV_SW_SX_S14_S18_S1A_T6_T7_T9_mT8_S1C_bDpT10_ENKUlT_T0_E_clISt17integral_constantIbLb1EES1O_IbLb0EEEEDaS1K_S1L_EUlS1K_E_NS1_11comp_targetILNS1_3genE10ELNS1_11target_archE1200ELNS1_3gpuE4ELNS1_3repE0EEENS1_30default_config_static_selectorELNS0_4arch9wavefront6targetE0EEEvSY_
		.amdhsa_group_segment_fixed_size 0
		.amdhsa_private_segment_fixed_size 0
		.amdhsa_kernarg_size 144
		.amdhsa_user_sgpr_count 2
		.amdhsa_user_sgpr_dispatch_ptr 0
		.amdhsa_user_sgpr_queue_ptr 0
		.amdhsa_user_sgpr_kernarg_segment_ptr 1
		.amdhsa_user_sgpr_dispatch_id 0
		.amdhsa_user_sgpr_kernarg_preload_length 0
		.amdhsa_user_sgpr_kernarg_preload_offset 0
		.amdhsa_user_sgpr_private_segment_size 0
		.amdhsa_wavefront_size32 1
		.amdhsa_uses_dynamic_stack 0
		.amdhsa_enable_private_segment 0
		.amdhsa_system_sgpr_workgroup_id_x 1
		.amdhsa_system_sgpr_workgroup_id_y 0
		.amdhsa_system_sgpr_workgroup_id_z 0
		.amdhsa_system_sgpr_workgroup_info 0
		.amdhsa_system_vgpr_workitem_id 0
		.amdhsa_next_free_vgpr 1
		.amdhsa_next_free_sgpr 1
		.amdhsa_named_barrier_count 0
		.amdhsa_reserve_vcc 0
		.amdhsa_float_round_mode_32 0
		.amdhsa_float_round_mode_16_64 0
		.amdhsa_float_denorm_mode_32 3
		.amdhsa_float_denorm_mode_16_64 3
		.amdhsa_fp16_overflow 0
		.amdhsa_memory_ordered 1
		.amdhsa_forward_progress 1
		.amdhsa_inst_pref_size 0
		.amdhsa_round_robin_scheduling 0
		.amdhsa_exception_fp_ieee_invalid_op 0
		.amdhsa_exception_fp_denorm_src 0
		.amdhsa_exception_fp_ieee_div_zero 0
		.amdhsa_exception_fp_ieee_overflow 0
		.amdhsa_exception_fp_ieee_underflow 0
		.amdhsa_exception_fp_ieee_inexact 0
		.amdhsa_exception_int_div_zero 0
	.end_amdhsa_kernel
	.section	.text._ZN7rocprim17ROCPRIM_400000_NS6detail17trampoline_kernelINS0_13select_configILj256ELj13ELNS0_17block_load_methodE3ELS4_3ELS4_3ELNS0_20block_scan_algorithmE0ELj4294967295EEENS1_25partition_config_selectorILNS1_17partition_subalgoE3EjNS0_10empty_typeEbEEZZNS1_14partition_implILS8_3ELb0ES6_jNS0_17counting_iteratorIjlEEPS9_SE_NS0_5tupleIJPjSE_EEENSF_IJSE_SE_EEES9_SG_JZNS1_25segmented_radix_sort_implINS0_14default_configELb1EPKbPbPKlPlN2at6native12_GLOBAL__N_18offset_tEEE10hipError_tPvRmT1_PNSt15iterator_traitsISY_E10value_typeET2_T3_PNSZ_IS14_E10value_typeET4_jRbjT5_S1A_jjP12ihipStream_tbEUljE_EEESV_SW_SX_S14_S18_S1A_T6_T7_T9_mT8_S1C_bDpT10_ENKUlT_T0_E_clISt17integral_constantIbLb1EES1O_IbLb0EEEEDaS1K_S1L_EUlS1K_E_NS1_11comp_targetILNS1_3genE10ELNS1_11target_archE1200ELNS1_3gpuE4ELNS1_3repE0EEENS1_30default_config_static_selectorELNS0_4arch9wavefront6targetE0EEEvSY_,"axG",@progbits,_ZN7rocprim17ROCPRIM_400000_NS6detail17trampoline_kernelINS0_13select_configILj256ELj13ELNS0_17block_load_methodE3ELS4_3ELS4_3ELNS0_20block_scan_algorithmE0ELj4294967295EEENS1_25partition_config_selectorILNS1_17partition_subalgoE3EjNS0_10empty_typeEbEEZZNS1_14partition_implILS8_3ELb0ES6_jNS0_17counting_iteratorIjlEEPS9_SE_NS0_5tupleIJPjSE_EEENSF_IJSE_SE_EEES9_SG_JZNS1_25segmented_radix_sort_implINS0_14default_configELb1EPKbPbPKlPlN2at6native12_GLOBAL__N_18offset_tEEE10hipError_tPvRmT1_PNSt15iterator_traitsISY_E10value_typeET2_T3_PNSZ_IS14_E10value_typeET4_jRbjT5_S1A_jjP12ihipStream_tbEUljE_EEESV_SW_SX_S14_S18_S1A_T6_T7_T9_mT8_S1C_bDpT10_ENKUlT_T0_E_clISt17integral_constantIbLb1EES1O_IbLb0EEEEDaS1K_S1L_EUlS1K_E_NS1_11comp_targetILNS1_3genE10ELNS1_11target_archE1200ELNS1_3gpuE4ELNS1_3repE0EEENS1_30default_config_static_selectorELNS0_4arch9wavefront6targetE0EEEvSY_,comdat
.Lfunc_end1513:
	.size	_ZN7rocprim17ROCPRIM_400000_NS6detail17trampoline_kernelINS0_13select_configILj256ELj13ELNS0_17block_load_methodE3ELS4_3ELS4_3ELNS0_20block_scan_algorithmE0ELj4294967295EEENS1_25partition_config_selectorILNS1_17partition_subalgoE3EjNS0_10empty_typeEbEEZZNS1_14partition_implILS8_3ELb0ES6_jNS0_17counting_iteratorIjlEEPS9_SE_NS0_5tupleIJPjSE_EEENSF_IJSE_SE_EEES9_SG_JZNS1_25segmented_radix_sort_implINS0_14default_configELb1EPKbPbPKlPlN2at6native12_GLOBAL__N_18offset_tEEE10hipError_tPvRmT1_PNSt15iterator_traitsISY_E10value_typeET2_T3_PNSZ_IS14_E10value_typeET4_jRbjT5_S1A_jjP12ihipStream_tbEUljE_EEESV_SW_SX_S14_S18_S1A_T6_T7_T9_mT8_S1C_bDpT10_ENKUlT_T0_E_clISt17integral_constantIbLb1EES1O_IbLb0EEEEDaS1K_S1L_EUlS1K_E_NS1_11comp_targetILNS1_3genE10ELNS1_11target_archE1200ELNS1_3gpuE4ELNS1_3repE0EEENS1_30default_config_static_selectorELNS0_4arch9wavefront6targetE0EEEvSY_, .Lfunc_end1513-_ZN7rocprim17ROCPRIM_400000_NS6detail17trampoline_kernelINS0_13select_configILj256ELj13ELNS0_17block_load_methodE3ELS4_3ELS4_3ELNS0_20block_scan_algorithmE0ELj4294967295EEENS1_25partition_config_selectorILNS1_17partition_subalgoE3EjNS0_10empty_typeEbEEZZNS1_14partition_implILS8_3ELb0ES6_jNS0_17counting_iteratorIjlEEPS9_SE_NS0_5tupleIJPjSE_EEENSF_IJSE_SE_EEES9_SG_JZNS1_25segmented_radix_sort_implINS0_14default_configELb1EPKbPbPKlPlN2at6native12_GLOBAL__N_18offset_tEEE10hipError_tPvRmT1_PNSt15iterator_traitsISY_E10value_typeET2_T3_PNSZ_IS14_E10value_typeET4_jRbjT5_S1A_jjP12ihipStream_tbEUljE_EEESV_SW_SX_S14_S18_S1A_T6_T7_T9_mT8_S1C_bDpT10_ENKUlT_T0_E_clISt17integral_constantIbLb1EES1O_IbLb0EEEEDaS1K_S1L_EUlS1K_E_NS1_11comp_targetILNS1_3genE10ELNS1_11target_archE1200ELNS1_3gpuE4ELNS1_3repE0EEENS1_30default_config_static_selectorELNS0_4arch9wavefront6targetE0EEEvSY_
                                        ; -- End function
	.set _ZN7rocprim17ROCPRIM_400000_NS6detail17trampoline_kernelINS0_13select_configILj256ELj13ELNS0_17block_load_methodE3ELS4_3ELS4_3ELNS0_20block_scan_algorithmE0ELj4294967295EEENS1_25partition_config_selectorILNS1_17partition_subalgoE3EjNS0_10empty_typeEbEEZZNS1_14partition_implILS8_3ELb0ES6_jNS0_17counting_iteratorIjlEEPS9_SE_NS0_5tupleIJPjSE_EEENSF_IJSE_SE_EEES9_SG_JZNS1_25segmented_radix_sort_implINS0_14default_configELb1EPKbPbPKlPlN2at6native12_GLOBAL__N_18offset_tEEE10hipError_tPvRmT1_PNSt15iterator_traitsISY_E10value_typeET2_T3_PNSZ_IS14_E10value_typeET4_jRbjT5_S1A_jjP12ihipStream_tbEUljE_EEESV_SW_SX_S14_S18_S1A_T6_T7_T9_mT8_S1C_bDpT10_ENKUlT_T0_E_clISt17integral_constantIbLb1EES1O_IbLb0EEEEDaS1K_S1L_EUlS1K_E_NS1_11comp_targetILNS1_3genE10ELNS1_11target_archE1200ELNS1_3gpuE4ELNS1_3repE0EEENS1_30default_config_static_selectorELNS0_4arch9wavefront6targetE0EEEvSY_.num_vgpr, 0
	.set _ZN7rocprim17ROCPRIM_400000_NS6detail17trampoline_kernelINS0_13select_configILj256ELj13ELNS0_17block_load_methodE3ELS4_3ELS4_3ELNS0_20block_scan_algorithmE0ELj4294967295EEENS1_25partition_config_selectorILNS1_17partition_subalgoE3EjNS0_10empty_typeEbEEZZNS1_14partition_implILS8_3ELb0ES6_jNS0_17counting_iteratorIjlEEPS9_SE_NS0_5tupleIJPjSE_EEENSF_IJSE_SE_EEES9_SG_JZNS1_25segmented_radix_sort_implINS0_14default_configELb1EPKbPbPKlPlN2at6native12_GLOBAL__N_18offset_tEEE10hipError_tPvRmT1_PNSt15iterator_traitsISY_E10value_typeET2_T3_PNSZ_IS14_E10value_typeET4_jRbjT5_S1A_jjP12ihipStream_tbEUljE_EEESV_SW_SX_S14_S18_S1A_T6_T7_T9_mT8_S1C_bDpT10_ENKUlT_T0_E_clISt17integral_constantIbLb1EES1O_IbLb0EEEEDaS1K_S1L_EUlS1K_E_NS1_11comp_targetILNS1_3genE10ELNS1_11target_archE1200ELNS1_3gpuE4ELNS1_3repE0EEENS1_30default_config_static_selectorELNS0_4arch9wavefront6targetE0EEEvSY_.num_agpr, 0
	.set _ZN7rocprim17ROCPRIM_400000_NS6detail17trampoline_kernelINS0_13select_configILj256ELj13ELNS0_17block_load_methodE3ELS4_3ELS4_3ELNS0_20block_scan_algorithmE0ELj4294967295EEENS1_25partition_config_selectorILNS1_17partition_subalgoE3EjNS0_10empty_typeEbEEZZNS1_14partition_implILS8_3ELb0ES6_jNS0_17counting_iteratorIjlEEPS9_SE_NS0_5tupleIJPjSE_EEENSF_IJSE_SE_EEES9_SG_JZNS1_25segmented_radix_sort_implINS0_14default_configELb1EPKbPbPKlPlN2at6native12_GLOBAL__N_18offset_tEEE10hipError_tPvRmT1_PNSt15iterator_traitsISY_E10value_typeET2_T3_PNSZ_IS14_E10value_typeET4_jRbjT5_S1A_jjP12ihipStream_tbEUljE_EEESV_SW_SX_S14_S18_S1A_T6_T7_T9_mT8_S1C_bDpT10_ENKUlT_T0_E_clISt17integral_constantIbLb1EES1O_IbLb0EEEEDaS1K_S1L_EUlS1K_E_NS1_11comp_targetILNS1_3genE10ELNS1_11target_archE1200ELNS1_3gpuE4ELNS1_3repE0EEENS1_30default_config_static_selectorELNS0_4arch9wavefront6targetE0EEEvSY_.numbered_sgpr, 0
	.set _ZN7rocprim17ROCPRIM_400000_NS6detail17trampoline_kernelINS0_13select_configILj256ELj13ELNS0_17block_load_methodE3ELS4_3ELS4_3ELNS0_20block_scan_algorithmE0ELj4294967295EEENS1_25partition_config_selectorILNS1_17partition_subalgoE3EjNS0_10empty_typeEbEEZZNS1_14partition_implILS8_3ELb0ES6_jNS0_17counting_iteratorIjlEEPS9_SE_NS0_5tupleIJPjSE_EEENSF_IJSE_SE_EEES9_SG_JZNS1_25segmented_radix_sort_implINS0_14default_configELb1EPKbPbPKlPlN2at6native12_GLOBAL__N_18offset_tEEE10hipError_tPvRmT1_PNSt15iterator_traitsISY_E10value_typeET2_T3_PNSZ_IS14_E10value_typeET4_jRbjT5_S1A_jjP12ihipStream_tbEUljE_EEESV_SW_SX_S14_S18_S1A_T6_T7_T9_mT8_S1C_bDpT10_ENKUlT_T0_E_clISt17integral_constantIbLb1EES1O_IbLb0EEEEDaS1K_S1L_EUlS1K_E_NS1_11comp_targetILNS1_3genE10ELNS1_11target_archE1200ELNS1_3gpuE4ELNS1_3repE0EEENS1_30default_config_static_selectorELNS0_4arch9wavefront6targetE0EEEvSY_.num_named_barrier, 0
	.set _ZN7rocprim17ROCPRIM_400000_NS6detail17trampoline_kernelINS0_13select_configILj256ELj13ELNS0_17block_load_methodE3ELS4_3ELS4_3ELNS0_20block_scan_algorithmE0ELj4294967295EEENS1_25partition_config_selectorILNS1_17partition_subalgoE3EjNS0_10empty_typeEbEEZZNS1_14partition_implILS8_3ELb0ES6_jNS0_17counting_iteratorIjlEEPS9_SE_NS0_5tupleIJPjSE_EEENSF_IJSE_SE_EEES9_SG_JZNS1_25segmented_radix_sort_implINS0_14default_configELb1EPKbPbPKlPlN2at6native12_GLOBAL__N_18offset_tEEE10hipError_tPvRmT1_PNSt15iterator_traitsISY_E10value_typeET2_T3_PNSZ_IS14_E10value_typeET4_jRbjT5_S1A_jjP12ihipStream_tbEUljE_EEESV_SW_SX_S14_S18_S1A_T6_T7_T9_mT8_S1C_bDpT10_ENKUlT_T0_E_clISt17integral_constantIbLb1EES1O_IbLb0EEEEDaS1K_S1L_EUlS1K_E_NS1_11comp_targetILNS1_3genE10ELNS1_11target_archE1200ELNS1_3gpuE4ELNS1_3repE0EEENS1_30default_config_static_selectorELNS0_4arch9wavefront6targetE0EEEvSY_.private_seg_size, 0
	.set _ZN7rocprim17ROCPRIM_400000_NS6detail17trampoline_kernelINS0_13select_configILj256ELj13ELNS0_17block_load_methodE3ELS4_3ELS4_3ELNS0_20block_scan_algorithmE0ELj4294967295EEENS1_25partition_config_selectorILNS1_17partition_subalgoE3EjNS0_10empty_typeEbEEZZNS1_14partition_implILS8_3ELb0ES6_jNS0_17counting_iteratorIjlEEPS9_SE_NS0_5tupleIJPjSE_EEENSF_IJSE_SE_EEES9_SG_JZNS1_25segmented_radix_sort_implINS0_14default_configELb1EPKbPbPKlPlN2at6native12_GLOBAL__N_18offset_tEEE10hipError_tPvRmT1_PNSt15iterator_traitsISY_E10value_typeET2_T3_PNSZ_IS14_E10value_typeET4_jRbjT5_S1A_jjP12ihipStream_tbEUljE_EEESV_SW_SX_S14_S18_S1A_T6_T7_T9_mT8_S1C_bDpT10_ENKUlT_T0_E_clISt17integral_constantIbLb1EES1O_IbLb0EEEEDaS1K_S1L_EUlS1K_E_NS1_11comp_targetILNS1_3genE10ELNS1_11target_archE1200ELNS1_3gpuE4ELNS1_3repE0EEENS1_30default_config_static_selectorELNS0_4arch9wavefront6targetE0EEEvSY_.uses_vcc, 0
	.set _ZN7rocprim17ROCPRIM_400000_NS6detail17trampoline_kernelINS0_13select_configILj256ELj13ELNS0_17block_load_methodE3ELS4_3ELS4_3ELNS0_20block_scan_algorithmE0ELj4294967295EEENS1_25partition_config_selectorILNS1_17partition_subalgoE3EjNS0_10empty_typeEbEEZZNS1_14partition_implILS8_3ELb0ES6_jNS0_17counting_iteratorIjlEEPS9_SE_NS0_5tupleIJPjSE_EEENSF_IJSE_SE_EEES9_SG_JZNS1_25segmented_radix_sort_implINS0_14default_configELb1EPKbPbPKlPlN2at6native12_GLOBAL__N_18offset_tEEE10hipError_tPvRmT1_PNSt15iterator_traitsISY_E10value_typeET2_T3_PNSZ_IS14_E10value_typeET4_jRbjT5_S1A_jjP12ihipStream_tbEUljE_EEESV_SW_SX_S14_S18_S1A_T6_T7_T9_mT8_S1C_bDpT10_ENKUlT_T0_E_clISt17integral_constantIbLb1EES1O_IbLb0EEEEDaS1K_S1L_EUlS1K_E_NS1_11comp_targetILNS1_3genE10ELNS1_11target_archE1200ELNS1_3gpuE4ELNS1_3repE0EEENS1_30default_config_static_selectorELNS0_4arch9wavefront6targetE0EEEvSY_.uses_flat_scratch, 0
	.set _ZN7rocprim17ROCPRIM_400000_NS6detail17trampoline_kernelINS0_13select_configILj256ELj13ELNS0_17block_load_methodE3ELS4_3ELS4_3ELNS0_20block_scan_algorithmE0ELj4294967295EEENS1_25partition_config_selectorILNS1_17partition_subalgoE3EjNS0_10empty_typeEbEEZZNS1_14partition_implILS8_3ELb0ES6_jNS0_17counting_iteratorIjlEEPS9_SE_NS0_5tupleIJPjSE_EEENSF_IJSE_SE_EEES9_SG_JZNS1_25segmented_radix_sort_implINS0_14default_configELb1EPKbPbPKlPlN2at6native12_GLOBAL__N_18offset_tEEE10hipError_tPvRmT1_PNSt15iterator_traitsISY_E10value_typeET2_T3_PNSZ_IS14_E10value_typeET4_jRbjT5_S1A_jjP12ihipStream_tbEUljE_EEESV_SW_SX_S14_S18_S1A_T6_T7_T9_mT8_S1C_bDpT10_ENKUlT_T0_E_clISt17integral_constantIbLb1EES1O_IbLb0EEEEDaS1K_S1L_EUlS1K_E_NS1_11comp_targetILNS1_3genE10ELNS1_11target_archE1200ELNS1_3gpuE4ELNS1_3repE0EEENS1_30default_config_static_selectorELNS0_4arch9wavefront6targetE0EEEvSY_.has_dyn_sized_stack, 0
	.set _ZN7rocprim17ROCPRIM_400000_NS6detail17trampoline_kernelINS0_13select_configILj256ELj13ELNS0_17block_load_methodE3ELS4_3ELS4_3ELNS0_20block_scan_algorithmE0ELj4294967295EEENS1_25partition_config_selectorILNS1_17partition_subalgoE3EjNS0_10empty_typeEbEEZZNS1_14partition_implILS8_3ELb0ES6_jNS0_17counting_iteratorIjlEEPS9_SE_NS0_5tupleIJPjSE_EEENSF_IJSE_SE_EEES9_SG_JZNS1_25segmented_radix_sort_implINS0_14default_configELb1EPKbPbPKlPlN2at6native12_GLOBAL__N_18offset_tEEE10hipError_tPvRmT1_PNSt15iterator_traitsISY_E10value_typeET2_T3_PNSZ_IS14_E10value_typeET4_jRbjT5_S1A_jjP12ihipStream_tbEUljE_EEESV_SW_SX_S14_S18_S1A_T6_T7_T9_mT8_S1C_bDpT10_ENKUlT_T0_E_clISt17integral_constantIbLb1EES1O_IbLb0EEEEDaS1K_S1L_EUlS1K_E_NS1_11comp_targetILNS1_3genE10ELNS1_11target_archE1200ELNS1_3gpuE4ELNS1_3repE0EEENS1_30default_config_static_selectorELNS0_4arch9wavefront6targetE0EEEvSY_.has_recursion, 0
	.set _ZN7rocprim17ROCPRIM_400000_NS6detail17trampoline_kernelINS0_13select_configILj256ELj13ELNS0_17block_load_methodE3ELS4_3ELS4_3ELNS0_20block_scan_algorithmE0ELj4294967295EEENS1_25partition_config_selectorILNS1_17partition_subalgoE3EjNS0_10empty_typeEbEEZZNS1_14partition_implILS8_3ELb0ES6_jNS0_17counting_iteratorIjlEEPS9_SE_NS0_5tupleIJPjSE_EEENSF_IJSE_SE_EEES9_SG_JZNS1_25segmented_radix_sort_implINS0_14default_configELb1EPKbPbPKlPlN2at6native12_GLOBAL__N_18offset_tEEE10hipError_tPvRmT1_PNSt15iterator_traitsISY_E10value_typeET2_T3_PNSZ_IS14_E10value_typeET4_jRbjT5_S1A_jjP12ihipStream_tbEUljE_EEESV_SW_SX_S14_S18_S1A_T6_T7_T9_mT8_S1C_bDpT10_ENKUlT_T0_E_clISt17integral_constantIbLb1EES1O_IbLb0EEEEDaS1K_S1L_EUlS1K_E_NS1_11comp_targetILNS1_3genE10ELNS1_11target_archE1200ELNS1_3gpuE4ELNS1_3repE0EEENS1_30default_config_static_selectorELNS0_4arch9wavefront6targetE0EEEvSY_.has_indirect_call, 0
	.section	.AMDGPU.csdata,"",@progbits
; Kernel info:
; codeLenInByte = 0
; TotalNumSgprs: 0
; NumVgprs: 0
; ScratchSize: 0
; MemoryBound: 0
; FloatMode: 240
; IeeeMode: 1
; LDSByteSize: 0 bytes/workgroup (compile time only)
; SGPRBlocks: 0
; VGPRBlocks: 0
; NumSGPRsForWavesPerEU: 1
; NumVGPRsForWavesPerEU: 1
; NamedBarCnt: 0
; Occupancy: 16
; WaveLimiterHint : 0
; COMPUTE_PGM_RSRC2:SCRATCH_EN: 0
; COMPUTE_PGM_RSRC2:USER_SGPR: 2
; COMPUTE_PGM_RSRC2:TRAP_HANDLER: 0
; COMPUTE_PGM_RSRC2:TGID_X_EN: 1
; COMPUTE_PGM_RSRC2:TGID_Y_EN: 0
; COMPUTE_PGM_RSRC2:TGID_Z_EN: 0
; COMPUTE_PGM_RSRC2:TIDIG_COMP_CNT: 0
	.section	.text._ZN7rocprim17ROCPRIM_400000_NS6detail17trampoline_kernelINS0_13select_configILj256ELj13ELNS0_17block_load_methodE3ELS4_3ELS4_3ELNS0_20block_scan_algorithmE0ELj4294967295EEENS1_25partition_config_selectorILNS1_17partition_subalgoE3EjNS0_10empty_typeEbEEZZNS1_14partition_implILS8_3ELb0ES6_jNS0_17counting_iteratorIjlEEPS9_SE_NS0_5tupleIJPjSE_EEENSF_IJSE_SE_EEES9_SG_JZNS1_25segmented_radix_sort_implINS0_14default_configELb1EPKbPbPKlPlN2at6native12_GLOBAL__N_18offset_tEEE10hipError_tPvRmT1_PNSt15iterator_traitsISY_E10value_typeET2_T3_PNSZ_IS14_E10value_typeET4_jRbjT5_S1A_jjP12ihipStream_tbEUljE_EEESV_SW_SX_S14_S18_S1A_T6_T7_T9_mT8_S1C_bDpT10_ENKUlT_T0_E_clISt17integral_constantIbLb1EES1O_IbLb0EEEEDaS1K_S1L_EUlS1K_E_NS1_11comp_targetILNS1_3genE9ELNS1_11target_archE1100ELNS1_3gpuE3ELNS1_3repE0EEENS1_30default_config_static_selectorELNS0_4arch9wavefront6targetE0EEEvSY_,"axG",@progbits,_ZN7rocprim17ROCPRIM_400000_NS6detail17trampoline_kernelINS0_13select_configILj256ELj13ELNS0_17block_load_methodE3ELS4_3ELS4_3ELNS0_20block_scan_algorithmE0ELj4294967295EEENS1_25partition_config_selectorILNS1_17partition_subalgoE3EjNS0_10empty_typeEbEEZZNS1_14partition_implILS8_3ELb0ES6_jNS0_17counting_iteratorIjlEEPS9_SE_NS0_5tupleIJPjSE_EEENSF_IJSE_SE_EEES9_SG_JZNS1_25segmented_radix_sort_implINS0_14default_configELb1EPKbPbPKlPlN2at6native12_GLOBAL__N_18offset_tEEE10hipError_tPvRmT1_PNSt15iterator_traitsISY_E10value_typeET2_T3_PNSZ_IS14_E10value_typeET4_jRbjT5_S1A_jjP12ihipStream_tbEUljE_EEESV_SW_SX_S14_S18_S1A_T6_T7_T9_mT8_S1C_bDpT10_ENKUlT_T0_E_clISt17integral_constantIbLb1EES1O_IbLb0EEEEDaS1K_S1L_EUlS1K_E_NS1_11comp_targetILNS1_3genE9ELNS1_11target_archE1100ELNS1_3gpuE3ELNS1_3repE0EEENS1_30default_config_static_selectorELNS0_4arch9wavefront6targetE0EEEvSY_,comdat
	.globl	_ZN7rocprim17ROCPRIM_400000_NS6detail17trampoline_kernelINS0_13select_configILj256ELj13ELNS0_17block_load_methodE3ELS4_3ELS4_3ELNS0_20block_scan_algorithmE0ELj4294967295EEENS1_25partition_config_selectorILNS1_17partition_subalgoE3EjNS0_10empty_typeEbEEZZNS1_14partition_implILS8_3ELb0ES6_jNS0_17counting_iteratorIjlEEPS9_SE_NS0_5tupleIJPjSE_EEENSF_IJSE_SE_EEES9_SG_JZNS1_25segmented_radix_sort_implINS0_14default_configELb1EPKbPbPKlPlN2at6native12_GLOBAL__N_18offset_tEEE10hipError_tPvRmT1_PNSt15iterator_traitsISY_E10value_typeET2_T3_PNSZ_IS14_E10value_typeET4_jRbjT5_S1A_jjP12ihipStream_tbEUljE_EEESV_SW_SX_S14_S18_S1A_T6_T7_T9_mT8_S1C_bDpT10_ENKUlT_T0_E_clISt17integral_constantIbLb1EES1O_IbLb0EEEEDaS1K_S1L_EUlS1K_E_NS1_11comp_targetILNS1_3genE9ELNS1_11target_archE1100ELNS1_3gpuE3ELNS1_3repE0EEENS1_30default_config_static_selectorELNS0_4arch9wavefront6targetE0EEEvSY_ ; -- Begin function _ZN7rocprim17ROCPRIM_400000_NS6detail17trampoline_kernelINS0_13select_configILj256ELj13ELNS0_17block_load_methodE3ELS4_3ELS4_3ELNS0_20block_scan_algorithmE0ELj4294967295EEENS1_25partition_config_selectorILNS1_17partition_subalgoE3EjNS0_10empty_typeEbEEZZNS1_14partition_implILS8_3ELb0ES6_jNS0_17counting_iteratorIjlEEPS9_SE_NS0_5tupleIJPjSE_EEENSF_IJSE_SE_EEES9_SG_JZNS1_25segmented_radix_sort_implINS0_14default_configELb1EPKbPbPKlPlN2at6native12_GLOBAL__N_18offset_tEEE10hipError_tPvRmT1_PNSt15iterator_traitsISY_E10value_typeET2_T3_PNSZ_IS14_E10value_typeET4_jRbjT5_S1A_jjP12ihipStream_tbEUljE_EEESV_SW_SX_S14_S18_S1A_T6_T7_T9_mT8_S1C_bDpT10_ENKUlT_T0_E_clISt17integral_constantIbLb1EES1O_IbLb0EEEEDaS1K_S1L_EUlS1K_E_NS1_11comp_targetILNS1_3genE9ELNS1_11target_archE1100ELNS1_3gpuE3ELNS1_3repE0EEENS1_30default_config_static_selectorELNS0_4arch9wavefront6targetE0EEEvSY_
	.p2align	8
	.type	_ZN7rocprim17ROCPRIM_400000_NS6detail17trampoline_kernelINS0_13select_configILj256ELj13ELNS0_17block_load_methodE3ELS4_3ELS4_3ELNS0_20block_scan_algorithmE0ELj4294967295EEENS1_25partition_config_selectorILNS1_17partition_subalgoE3EjNS0_10empty_typeEbEEZZNS1_14partition_implILS8_3ELb0ES6_jNS0_17counting_iteratorIjlEEPS9_SE_NS0_5tupleIJPjSE_EEENSF_IJSE_SE_EEES9_SG_JZNS1_25segmented_radix_sort_implINS0_14default_configELb1EPKbPbPKlPlN2at6native12_GLOBAL__N_18offset_tEEE10hipError_tPvRmT1_PNSt15iterator_traitsISY_E10value_typeET2_T3_PNSZ_IS14_E10value_typeET4_jRbjT5_S1A_jjP12ihipStream_tbEUljE_EEESV_SW_SX_S14_S18_S1A_T6_T7_T9_mT8_S1C_bDpT10_ENKUlT_T0_E_clISt17integral_constantIbLb1EES1O_IbLb0EEEEDaS1K_S1L_EUlS1K_E_NS1_11comp_targetILNS1_3genE9ELNS1_11target_archE1100ELNS1_3gpuE3ELNS1_3repE0EEENS1_30default_config_static_selectorELNS0_4arch9wavefront6targetE0EEEvSY_,@function
_ZN7rocprim17ROCPRIM_400000_NS6detail17trampoline_kernelINS0_13select_configILj256ELj13ELNS0_17block_load_methodE3ELS4_3ELS4_3ELNS0_20block_scan_algorithmE0ELj4294967295EEENS1_25partition_config_selectorILNS1_17partition_subalgoE3EjNS0_10empty_typeEbEEZZNS1_14partition_implILS8_3ELb0ES6_jNS0_17counting_iteratorIjlEEPS9_SE_NS0_5tupleIJPjSE_EEENSF_IJSE_SE_EEES9_SG_JZNS1_25segmented_radix_sort_implINS0_14default_configELb1EPKbPbPKlPlN2at6native12_GLOBAL__N_18offset_tEEE10hipError_tPvRmT1_PNSt15iterator_traitsISY_E10value_typeET2_T3_PNSZ_IS14_E10value_typeET4_jRbjT5_S1A_jjP12ihipStream_tbEUljE_EEESV_SW_SX_S14_S18_S1A_T6_T7_T9_mT8_S1C_bDpT10_ENKUlT_T0_E_clISt17integral_constantIbLb1EES1O_IbLb0EEEEDaS1K_S1L_EUlS1K_E_NS1_11comp_targetILNS1_3genE9ELNS1_11target_archE1100ELNS1_3gpuE3ELNS1_3repE0EEENS1_30default_config_static_selectorELNS0_4arch9wavefront6targetE0EEEvSY_: ; @_ZN7rocprim17ROCPRIM_400000_NS6detail17trampoline_kernelINS0_13select_configILj256ELj13ELNS0_17block_load_methodE3ELS4_3ELS4_3ELNS0_20block_scan_algorithmE0ELj4294967295EEENS1_25partition_config_selectorILNS1_17partition_subalgoE3EjNS0_10empty_typeEbEEZZNS1_14partition_implILS8_3ELb0ES6_jNS0_17counting_iteratorIjlEEPS9_SE_NS0_5tupleIJPjSE_EEENSF_IJSE_SE_EEES9_SG_JZNS1_25segmented_radix_sort_implINS0_14default_configELb1EPKbPbPKlPlN2at6native12_GLOBAL__N_18offset_tEEE10hipError_tPvRmT1_PNSt15iterator_traitsISY_E10value_typeET2_T3_PNSZ_IS14_E10value_typeET4_jRbjT5_S1A_jjP12ihipStream_tbEUljE_EEESV_SW_SX_S14_S18_S1A_T6_T7_T9_mT8_S1C_bDpT10_ENKUlT_T0_E_clISt17integral_constantIbLb1EES1O_IbLb0EEEEDaS1K_S1L_EUlS1K_E_NS1_11comp_targetILNS1_3genE9ELNS1_11target_archE1100ELNS1_3gpuE3ELNS1_3repE0EEENS1_30default_config_static_selectorELNS0_4arch9wavefront6targetE0EEEvSY_
; %bb.0:
	.section	.rodata,"a",@progbits
	.p2align	6, 0x0
	.amdhsa_kernel _ZN7rocprim17ROCPRIM_400000_NS6detail17trampoline_kernelINS0_13select_configILj256ELj13ELNS0_17block_load_methodE3ELS4_3ELS4_3ELNS0_20block_scan_algorithmE0ELj4294967295EEENS1_25partition_config_selectorILNS1_17partition_subalgoE3EjNS0_10empty_typeEbEEZZNS1_14partition_implILS8_3ELb0ES6_jNS0_17counting_iteratorIjlEEPS9_SE_NS0_5tupleIJPjSE_EEENSF_IJSE_SE_EEES9_SG_JZNS1_25segmented_radix_sort_implINS0_14default_configELb1EPKbPbPKlPlN2at6native12_GLOBAL__N_18offset_tEEE10hipError_tPvRmT1_PNSt15iterator_traitsISY_E10value_typeET2_T3_PNSZ_IS14_E10value_typeET4_jRbjT5_S1A_jjP12ihipStream_tbEUljE_EEESV_SW_SX_S14_S18_S1A_T6_T7_T9_mT8_S1C_bDpT10_ENKUlT_T0_E_clISt17integral_constantIbLb1EES1O_IbLb0EEEEDaS1K_S1L_EUlS1K_E_NS1_11comp_targetILNS1_3genE9ELNS1_11target_archE1100ELNS1_3gpuE3ELNS1_3repE0EEENS1_30default_config_static_selectorELNS0_4arch9wavefront6targetE0EEEvSY_
		.amdhsa_group_segment_fixed_size 0
		.amdhsa_private_segment_fixed_size 0
		.amdhsa_kernarg_size 144
		.amdhsa_user_sgpr_count 2
		.amdhsa_user_sgpr_dispatch_ptr 0
		.amdhsa_user_sgpr_queue_ptr 0
		.amdhsa_user_sgpr_kernarg_segment_ptr 1
		.amdhsa_user_sgpr_dispatch_id 0
		.amdhsa_user_sgpr_kernarg_preload_length 0
		.amdhsa_user_sgpr_kernarg_preload_offset 0
		.amdhsa_user_sgpr_private_segment_size 0
		.amdhsa_wavefront_size32 1
		.amdhsa_uses_dynamic_stack 0
		.amdhsa_enable_private_segment 0
		.amdhsa_system_sgpr_workgroup_id_x 1
		.amdhsa_system_sgpr_workgroup_id_y 0
		.amdhsa_system_sgpr_workgroup_id_z 0
		.amdhsa_system_sgpr_workgroup_info 0
		.amdhsa_system_vgpr_workitem_id 0
		.amdhsa_next_free_vgpr 1
		.amdhsa_next_free_sgpr 1
		.amdhsa_named_barrier_count 0
		.amdhsa_reserve_vcc 0
		.amdhsa_float_round_mode_32 0
		.amdhsa_float_round_mode_16_64 0
		.amdhsa_float_denorm_mode_32 3
		.amdhsa_float_denorm_mode_16_64 3
		.amdhsa_fp16_overflow 0
		.amdhsa_memory_ordered 1
		.amdhsa_forward_progress 1
		.amdhsa_inst_pref_size 0
		.amdhsa_round_robin_scheduling 0
		.amdhsa_exception_fp_ieee_invalid_op 0
		.amdhsa_exception_fp_denorm_src 0
		.amdhsa_exception_fp_ieee_div_zero 0
		.amdhsa_exception_fp_ieee_overflow 0
		.amdhsa_exception_fp_ieee_underflow 0
		.amdhsa_exception_fp_ieee_inexact 0
		.amdhsa_exception_int_div_zero 0
	.end_amdhsa_kernel
	.section	.text._ZN7rocprim17ROCPRIM_400000_NS6detail17trampoline_kernelINS0_13select_configILj256ELj13ELNS0_17block_load_methodE3ELS4_3ELS4_3ELNS0_20block_scan_algorithmE0ELj4294967295EEENS1_25partition_config_selectorILNS1_17partition_subalgoE3EjNS0_10empty_typeEbEEZZNS1_14partition_implILS8_3ELb0ES6_jNS0_17counting_iteratorIjlEEPS9_SE_NS0_5tupleIJPjSE_EEENSF_IJSE_SE_EEES9_SG_JZNS1_25segmented_radix_sort_implINS0_14default_configELb1EPKbPbPKlPlN2at6native12_GLOBAL__N_18offset_tEEE10hipError_tPvRmT1_PNSt15iterator_traitsISY_E10value_typeET2_T3_PNSZ_IS14_E10value_typeET4_jRbjT5_S1A_jjP12ihipStream_tbEUljE_EEESV_SW_SX_S14_S18_S1A_T6_T7_T9_mT8_S1C_bDpT10_ENKUlT_T0_E_clISt17integral_constantIbLb1EES1O_IbLb0EEEEDaS1K_S1L_EUlS1K_E_NS1_11comp_targetILNS1_3genE9ELNS1_11target_archE1100ELNS1_3gpuE3ELNS1_3repE0EEENS1_30default_config_static_selectorELNS0_4arch9wavefront6targetE0EEEvSY_,"axG",@progbits,_ZN7rocprim17ROCPRIM_400000_NS6detail17trampoline_kernelINS0_13select_configILj256ELj13ELNS0_17block_load_methodE3ELS4_3ELS4_3ELNS0_20block_scan_algorithmE0ELj4294967295EEENS1_25partition_config_selectorILNS1_17partition_subalgoE3EjNS0_10empty_typeEbEEZZNS1_14partition_implILS8_3ELb0ES6_jNS0_17counting_iteratorIjlEEPS9_SE_NS0_5tupleIJPjSE_EEENSF_IJSE_SE_EEES9_SG_JZNS1_25segmented_radix_sort_implINS0_14default_configELb1EPKbPbPKlPlN2at6native12_GLOBAL__N_18offset_tEEE10hipError_tPvRmT1_PNSt15iterator_traitsISY_E10value_typeET2_T3_PNSZ_IS14_E10value_typeET4_jRbjT5_S1A_jjP12ihipStream_tbEUljE_EEESV_SW_SX_S14_S18_S1A_T6_T7_T9_mT8_S1C_bDpT10_ENKUlT_T0_E_clISt17integral_constantIbLb1EES1O_IbLb0EEEEDaS1K_S1L_EUlS1K_E_NS1_11comp_targetILNS1_3genE9ELNS1_11target_archE1100ELNS1_3gpuE3ELNS1_3repE0EEENS1_30default_config_static_selectorELNS0_4arch9wavefront6targetE0EEEvSY_,comdat
.Lfunc_end1514:
	.size	_ZN7rocprim17ROCPRIM_400000_NS6detail17trampoline_kernelINS0_13select_configILj256ELj13ELNS0_17block_load_methodE3ELS4_3ELS4_3ELNS0_20block_scan_algorithmE0ELj4294967295EEENS1_25partition_config_selectorILNS1_17partition_subalgoE3EjNS0_10empty_typeEbEEZZNS1_14partition_implILS8_3ELb0ES6_jNS0_17counting_iteratorIjlEEPS9_SE_NS0_5tupleIJPjSE_EEENSF_IJSE_SE_EEES9_SG_JZNS1_25segmented_radix_sort_implINS0_14default_configELb1EPKbPbPKlPlN2at6native12_GLOBAL__N_18offset_tEEE10hipError_tPvRmT1_PNSt15iterator_traitsISY_E10value_typeET2_T3_PNSZ_IS14_E10value_typeET4_jRbjT5_S1A_jjP12ihipStream_tbEUljE_EEESV_SW_SX_S14_S18_S1A_T6_T7_T9_mT8_S1C_bDpT10_ENKUlT_T0_E_clISt17integral_constantIbLb1EES1O_IbLb0EEEEDaS1K_S1L_EUlS1K_E_NS1_11comp_targetILNS1_3genE9ELNS1_11target_archE1100ELNS1_3gpuE3ELNS1_3repE0EEENS1_30default_config_static_selectorELNS0_4arch9wavefront6targetE0EEEvSY_, .Lfunc_end1514-_ZN7rocprim17ROCPRIM_400000_NS6detail17trampoline_kernelINS0_13select_configILj256ELj13ELNS0_17block_load_methodE3ELS4_3ELS4_3ELNS0_20block_scan_algorithmE0ELj4294967295EEENS1_25partition_config_selectorILNS1_17partition_subalgoE3EjNS0_10empty_typeEbEEZZNS1_14partition_implILS8_3ELb0ES6_jNS0_17counting_iteratorIjlEEPS9_SE_NS0_5tupleIJPjSE_EEENSF_IJSE_SE_EEES9_SG_JZNS1_25segmented_radix_sort_implINS0_14default_configELb1EPKbPbPKlPlN2at6native12_GLOBAL__N_18offset_tEEE10hipError_tPvRmT1_PNSt15iterator_traitsISY_E10value_typeET2_T3_PNSZ_IS14_E10value_typeET4_jRbjT5_S1A_jjP12ihipStream_tbEUljE_EEESV_SW_SX_S14_S18_S1A_T6_T7_T9_mT8_S1C_bDpT10_ENKUlT_T0_E_clISt17integral_constantIbLb1EES1O_IbLb0EEEEDaS1K_S1L_EUlS1K_E_NS1_11comp_targetILNS1_3genE9ELNS1_11target_archE1100ELNS1_3gpuE3ELNS1_3repE0EEENS1_30default_config_static_selectorELNS0_4arch9wavefront6targetE0EEEvSY_
                                        ; -- End function
	.set _ZN7rocprim17ROCPRIM_400000_NS6detail17trampoline_kernelINS0_13select_configILj256ELj13ELNS0_17block_load_methodE3ELS4_3ELS4_3ELNS0_20block_scan_algorithmE0ELj4294967295EEENS1_25partition_config_selectorILNS1_17partition_subalgoE3EjNS0_10empty_typeEbEEZZNS1_14partition_implILS8_3ELb0ES6_jNS0_17counting_iteratorIjlEEPS9_SE_NS0_5tupleIJPjSE_EEENSF_IJSE_SE_EEES9_SG_JZNS1_25segmented_radix_sort_implINS0_14default_configELb1EPKbPbPKlPlN2at6native12_GLOBAL__N_18offset_tEEE10hipError_tPvRmT1_PNSt15iterator_traitsISY_E10value_typeET2_T3_PNSZ_IS14_E10value_typeET4_jRbjT5_S1A_jjP12ihipStream_tbEUljE_EEESV_SW_SX_S14_S18_S1A_T6_T7_T9_mT8_S1C_bDpT10_ENKUlT_T0_E_clISt17integral_constantIbLb1EES1O_IbLb0EEEEDaS1K_S1L_EUlS1K_E_NS1_11comp_targetILNS1_3genE9ELNS1_11target_archE1100ELNS1_3gpuE3ELNS1_3repE0EEENS1_30default_config_static_selectorELNS0_4arch9wavefront6targetE0EEEvSY_.num_vgpr, 0
	.set _ZN7rocprim17ROCPRIM_400000_NS6detail17trampoline_kernelINS0_13select_configILj256ELj13ELNS0_17block_load_methodE3ELS4_3ELS4_3ELNS0_20block_scan_algorithmE0ELj4294967295EEENS1_25partition_config_selectorILNS1_17partition_subalgoE3EjNS0_10empty_typeEbEEZZNS1_14partition_implILS8_3ELb0ES6_jNS0_17counting_iteratorIjlEEPS9_SE_NS0_5tupleIJPjSE_EEENSF_IJSE_SE_EEES9_SG_JZNS1_25segmented_radix_sort_implINS0_14default_configELb1EPKbPbPKlPlN2at6native12_GLOBAL__N_18offset_tEEE10hipError_tPvRmT1_PNSt15iterator_traitsISY_E10value_typeET2_T3_PNSZ_IS14_E10value_typeET4_jRbjT5_S1A_jjP12ihipStream_tbEUljE_EEESV_SW_SX_S14_S18_S1A_T6_T7_T9_mT8_S1C_bDpT10_ENKUlT_T0_E_clISt17integral_constantIbLb1EES1O_IbLb0EEEEDaS1K_S1L_EUlS1K_E_NS1_11comp_targetILNS1_3genE9ELNS1_11target_archE1100ELNS1_3gpuE3ELNS1_3repE0EEENS1_30default_config_static_selectorELNS0_4arch9wavefront6targetE0EEEvSY_.num_agpr, 0
	.set _ZN7rocprim17ROCPRIM_400000_NS6detail17trampoline_kernelINS0_13select_configILj256ELj13ELNS0_17block_load_methodE3ELS4_3ELS4_3ELNS0_20block_scan_algorithmE0ELj4294967295EEENS1_25partition_config_selectorILNS1_17partition_subalgoE3EjNS0_10empty_typeEbEEZZNS1_14partition_implILS8_3ELb0ES6_jNS0_17counting_iteratorIjlEEPS9_SE_NS0_5tupleIJPjSE_EEENSF_IJSE_SE_EEES9_SG_JZNS1_25segmented_radix_sort_implINS0_14default_configELb1EPKbPbPKlPlN2at6native12_GLOBAL__N_18offset_tEEE10hipError_tPvRmT1_PNSt15iterator_traitsISY_E10value_typeET2_T3_PNSZ_IS14_E10value_typeET4_jRbjT5_S1A_jjP12ihipStream_tbEUljE_EEESV_SW_SX_S14_S18_S1A_T6_T7_T9_mT8_S1C_bDpT10_ENKUlT_T0_E_clISt17integral_constantIbLb1EES1O_IbLb0EEEEDaS1K_S1L_EUlS1K_E_NS1_11comp_targetILNS1_3genE9ELNS1_11target_archE1100ELNS1_3gpuE3ELNS1_3repE0EEENS1_30default_config_static_selectorELNS0_4arch9wavefront6targetE0EEEvSY_.numbered_sgpr, 0
	.set _ZN7rocprim17ROCPRIM_400000_NS6detail17trampoline_kernelINS0_13select_configILj256ELj13ELNS0_17block_load_methodE3ELS4_3ELS4_3ELNS0_20block_scan_algorithmE0ELj4294967295EEENS1_25partition_config_selectorILNS1_17partition_subalgoE3EjNS0_10empty_typeEbEEZZNS1_14partition_implILS8_3ELb0ES6_jNS0_17counting_iteratorIjlEEPS9_SE_NS0_5tupleIJPjSE_EEENSF_IJSE_SE_EEES9_SG_JZNS1_25segmented_radix_sort_implINS0_14default_configELb1EPKbPbPKlPlN2at6native12_GLOBAL__N_18offset_tEEE10hipError_tPvRmT1_PNSt15iterator_traitsISY_E10value_typeET2_T3_PNSZ_IS14_E10value_typeET4_jRbjT5_S1A_jjP12ihipStream_tbEUljE_EEESV_SW_SX_S14_S18_S1A_T6_T7_T9_mT8_S1C_bDpT10_ENKUlT_T0_E_clISt17integral_constantIbLb1EES1O_IbLb0EEEEDaS1K_S1L_EUlS1K_E_NS1_11comp_targetILNS1_3genE9ELNS1_11target_archE1100ELNS1_3gpuE3ELNS1_3repE0EEENS1_30default_config_static_selectorELNS0_4arch9wavefront6targetE0EEEvSY_.num_named_barrier, 0
	.set _ZN7rocprim17ROCPRIM_400000_NS6detail17trampoline_kernelINS0_13select_configILj256ELj13ELNS0_17block_load_methodE3ELS4_3ELS4_3ELNS0_20block_scan_algorithmE0ELj4294967295EEENS1_25partition_config_selectorILNS1_17partition_subalgoE3EjNS0_10empty_typeEbEEZZNS1_14partition_implILS8_3ELb0ES6_jNS0_17counting_iteratorIjlEEPS9_SE_NS0_5tupleIJPjSE_EEENSF_IJSE_SE_EEES9_SG_JZNS1_25segmented_radix_sort_implINS0_14default_configELb1EPKbPbPKlPlN2at6native12_GLOBAL__N_18offset_tEEE10hipError_tPvRmT1_PNSt15iterator_traitsISY_E10value_typeET2_T3_PNSZ_IS14_E10value_typeET4_jRbjT5_S1A_jjP12ihipStream_tbEUljE_EEESV_SW_SX_S14_S18_S1A_T6_T7_T9_mT8_S1C_bDpT10_ENKUlT_T0_E_clISt17integral_constantIbLb1EES1O_IbLb0EEEEDaS1K_S1L_EUlS1K_E_NS1_11comp_targetILNS1_3genE9ELNS1_11target_archE1100ELNS1_3gpuE3ELNS1_3repE0EEENS1_30default_config_static_selectorELNS0_4arch9wavefront6targetE0EEEvSY_.private_seg_size, 0
	.set _ZN7rocprim17ROCPRIM_400000_NS6detail17trampoline_kernelINS0_13select_configILj256ELj13ELNS0_17block_load_methodE3ELS4_3ELS4_3ELNS0_20block_scan_algorithmE0ELj4294967295EEENS1_25partition_config_selectorILNS1_17partition_subalgoE3EjNS0_10empty_typeEbEEZZNS1_14partition_implILS8_3ELb0ES6_jNS0_17counting_iteratorIjlEEPS9_SE_NS0_5tupleIJPjSE_EEENSF_IJSE_SE_EEES9_SG_JZNS1_25segmented_radix_sort_implINS0_14default_configELb1EPKbPbPKlPlN2at6native12_GLOBAL__N_18offset_tEEE10hipError_tPvRmT1_PNSt15iterator_traitsISY_E10value_typeET2_T3_PNSZ_IS14_E10value_typeET4_jRbjT5_S1A_jjP12ihipStream_tbEUljE_EEESV_SW_SX_S14_S18_S1A_T6_T7_T9_mT8_S1C_bDpT10_ENKUlT_T0_E_clISt17integral_constantIbLb1EES1O_IbLb0EEEEDaS1K_S1L_EUlS1K_E_NS1_11comp_targetILNS1_3genE9ELNS1_11target_archE1100ELNS1_3gpuE3ELNS1_3repE0EEENS1_30default_config_static_selectorELNS0_4arch9wavefront6targetE0EEEvSY_.uses_vcc, 0
	.set _ZN7rocprim17ROCPRIM_400000_NS6detail17trampoline_kernelINS0_13select_configILj256ELj13ELNS0_17block_load_methodE3ELS4_3ELS4_3ELNS0_20block_scan_algorithmE0ELj4294967295EEENS1_25partition_config_selectorILNS1_17partition_subalgoE3EjNS0_10empty_typeEbEEZZNS1_14partition_implILS8_3ELb0ES6_jNS0_17counting_iteratorIjlEEPS9_SE_NS0_5tupleIJPjSE_EEENSF_IJSE_SE_EEES9_SG_JZNS1_25segmented_radix_sort_implINS0_14default_configELb1EPKbPbPKlPlN2at6native12_GLOBAL__N_18offset_tEEE10hipError_tPvRmT1_PNSt15iterator_traitsISY_E10value_typeET2_T3_PNSZ_IS14_E10value_typeET4_jRbjT5_S1A_jjP12ihipStream_tbEUljE_EEESV_SW_SX_S14_S18_S1A_T6_T7_T9_mT8_S1C_bDpT10_ENKUlT_T0_E_clISt17integral_constantIbLb1EES1O_IbLb0EEEEDaS1K_S1L_EUlS1K_E_NS1_11comp_targetILNS1_3genE9ELNS1_11target_archE1100ELNS1_3gpuE3ELNS1_3repE0EEENS1_30default_config_static_selectorELNS0_4arch9wavefront6targetE0EEEvSY_.uses_flat_scratch, 0
	.set _ZN7rocprim17ROCPRIM_400000_NS6detail17trampoline_kernelINS0_13select_configILj256ELj13ELNS0_17block_load_methodE3ELS4_3ELS4_3ELNS0_20block_scan_algorithmE0ELj4294967295EEENS1_25partition_config_selectorILNS1_17partition_subalgoE3EjNS0_10empty_typeEbEEZZNS1_14partition_implILS8_3ELb0ES6_jNS0_17counting_iteratorIjlEEPS9_SE_NS0_5tupleIJPjSE_EEENSF_IJSE_SE_EEES9_SG_JZNS1_25segmented_radix_sort_implINS0_14default_configELb1EPKbPbPKlPlN2at6native12_GLOBAL__N_18offset_tEEE10hipError_tPvRmT1_PNSt15iterator_traitsISY_E10value_typeET2_T3_PNSZ_IS14_E10value_typeET4_jRbjT5_S1A_jjP12ihipStream_tbEUljE_EEESV_SW_SX_S14_S18_S1A_T6_T7_T9_mT8_S1C_bDpT10_ENKUlT_T0_E_clISt17integral_constantIbLb1EES1O_IbLb0EEEEDaS1K_S1L_EUlS1K_E_NS1_11comp_targetILNS1_3genE9ELNS1_11target_archE1100ELNS1_3gpuE3ELNS1_3repE0EEENS1_30default_config_static_selectorELNS0_4arch9wavefront6targetE0EEEvSY_.has_dyn_sized_stack, 0
	.set _ZN7rocprim17ROCPRIM_400000_NS6detail17trampoline_kernelINS0_13select_configILj256ELj13ELNS0_17block_load_methodE3ELS4_3ELS4_3ELNS0_20block_scan_algorithmE0ELj4294967295EEENS1_25partition_config_selectorILNS1_17partition_subalgoE3EjNS0_10empty_typeEbEEZZNS1_14partition_implILS8_3ELb0ES6_jNS0_17counting_iteratorIjlEEPS9_SE_NS0_5tupleIJPjSE_EEENSF_IJSE_SE_EEES9_SG_JZNS1_25segmented_radix_sort_implINS0_14default_configELb1EPKbPbPKlPlN2at6native12_GLOBAL__N_18offset_tEEE10hipError_tPvRmT1_PNSt15iterator_traitsISY_E10value_typeET2_T3_PNSZ_IS14_E10value_typeET4_jRbjT5_S1A_jjP12ihipStream_tbEUljE_EEESV_SW_SX_S14_S18_S1A_T6_T7_T9_mT8_S1C_bDpT10_ENKUlT_T0_E_clISt17integral_constantIbLb1EES1O_IbLb0EEEEDaS1K_S1L_EUlS1K_E_NS1_11comp_targetILNS1_3genE9ELNS1_11target_archE1100ELNS1_3gpuE3ELNS1_3repE0EEENS1_30default_config_static_selectorELNS0_4arch9wavefront6targetE0EEEvSY_.has_recursion, 0
	.set _ZN7rocprim17ROCPRIM_400000_NS6detail17trampoline_kernelINS0_13select_configILj256ELj13ELNS0_17block_load_methodE3ELS4_3ELS4_3ELNS0_20block_scan_algorithmE0ELj4294967295EEENS1_25partition_config_selectorILNS1_17partition_subalgoE3EjNS0_10empty_typeEbEEZZNS1_14partition_implILS8_3ELb0ES6_jNS0_17counting_iteratorIjlEEPS9_SE_NS0_5tupleIJPjSE_EEENSF_IJSE_SE_EEES9_SG_JZNS1_25segmented_radix_sort_implINS0_14default_configELb1EPKbPbPKlPlN2at6native12_GLOBAL__N_18offset_tEEE10hipError_tPvRmT1_PNSt15iterator_traitsISY_E10value_typeET2_T3_PNSZ_IS14_E10value_typeET4_jRbjT5_S1A_jjP12ihipStream_tbEUljE_EEESV_SW_SX_S14_S18_S1A_T6_T7_T9_mT8_S1C_bDpT10_ENKUlT_T0_E_clISt17integral_constantIbLb1EES1O_IbLb0EEEEDaS1K_S1L_EUlS1K_E_NS1_11comp_targetILNS1_3genE9ELNS1_11target_archE1100ELNS1_3gpuE3ELNS1_3repE0EEENS1_30default_config_static_selectorELNS0_4arch9wavefront6targetE0EEEvSY_.has_indirect_call, 0
	.section	.AMDGPU.csdata,"",@progbits
; Kernel info:
; codeLenInByte = 0
; TotalNumSgprs: 0
; NumVgprs: 0
; ScratchSize: 0
; MemoryBound: 0
; FloatMode: 240
; IeeeMode: 1
; LDSByteSize: 0 bytes/workgroup (compile time only)
; SGPRBlocks: 0
; VGPRBlocks: 0
; NumSGPRsForWavesPerEU: 1
; NumVGPRsForWavesPerEU: 1
; NamedBarCnt: 0
; Occupancy: 16
; WaveLimiterHint : 0
; COMPUTE_PGM_RSRC2:SCRATCH_EN: 0
; COMPUTE_PGM_RSRC2:USER_SGPR: 2
; COMPUTE_PGM_RSRC2:TRAP_HANDLER: 0
; COMPUTE_PGM_RSRC2:TGID_X_EN: 1
; COMPUTE_PGM_RSRC2:TGID_Y_EN: 0
; COMPUTE_PGM_RSRC2:TGID_Z_EN: 0
; COMPUTE_PGM_RSRC2:TIDIG_COMP_CNT: 0
	.section	.text._ZN7rocprim17ROCPRIM_400000_NS6detail17trampoline_kernelINS0_13select_configILj256ELj13ELNS0_17block_load_methodE3ELS4_3ELS4_3ELNS0_20block_scan_algorithmE0ELj4294967295EEENS1_25partition_config_selectorILNS1_17partition_subalgoE3EjNS0_10empty_typeEbEEZZNS1_14partition_implILS8_3ELb0ES6_jNS0_17counting_iteratorIjlEEPS9_SE_NS0_5tupleIJPjSE_EEENSF_IJSE_SE_EEES9_SG_JZNS1_25segmented_radix_sort_implINS0_14default_configELb1EPKbPbPKlPlN2at6native12_GLOBAL__N_18offset_tEEE10hipError_tPvRmT1_PNSt15iterator_traitsISY_E10value_typeET2_T3_PNSZ_IS14_E10value_typeET4_jRbjT5_S1A_jjP12ihipStream_tbEUljE_EEESV_SW_SX_S14_S18_S1A_T6_T7_T9_mT8_S1C_bDpT10_ENKUlT_T0_E_clISt17integral_constantIbLb1EES1O_IbLb0EEEEDaS1K_S1L_EUlS1K_E_NS1_11comp_targetILNS1_3genE8ELNS1_11target_archE1030ELNS1_3gpuE2ELNS1_3repE0EEENS1_30default_config_static_selectorELNS0_4arch9wavefront6targetE0EEEvSY_,"axG",@progbits,_ZN7rocprim17ROCPRIM_400000_NS6detail17trampoline_kernelINS0_13select_configILj256ELj13ELNS0_17block_load_methodE3ELS4_3ELS4_3ELNS0_20block_scan_algorithmE0ELj4294967295EEENS1_25partition_config_selectorILNS1_17partition_subalgoE3EjNS0_10empty_typeEbEEZZNS1_14partition_implILS8_3ELb0ES6_jNS0_17counting_iteratorIjlEEPS9_SE_NS0_5tupleIJPjSE_EEENSF_IJSE_SE_EEES9_SG_JZNS1_25segmented_radix_sort_implINS0_14default_configELb1EPKbPbPKlPlN2at6native12_GLOBAL__N_18offset_tEEE10hipError_tPvRmT1_PNSt15iterator_traitsISY_E10value_typeET2_T3_PNSZ_IS14_E10value_typeET4_jRbjT5_S1A_jjP12ihipStream_tbEUljE_EEESV_SW_SX_S14_S18_S1A_T6_T7_T9_mT8_S1C_bDpT10_ENKUlT_T0_E_clISt17integral_constantIbLb1EES1O_IbLb0EEEEDaS1K_S1L_EUlS1K_E_NS1_11comp_targetILNS1_3genE8ELNS1_11target_archE1030ELNS1_3gpuE2ELNS1_3repE0EEENS1_30default_config_static_selectorELNS0_4arch9wavefront6targetE0EEEvSY_,comdat
	.globl	_ZN7rocprim17ROCPRIM_400000_NS6detail17trampoline_kernelINS0_13select_configILj256ELj13ELNS0_17block_load_methodE3ELS4_3ELS4_3ELNS0_20block_scan_algorithmE0ELj4294967295EEENS1_25partition_config_selectorILNS1_17partition_subalgoE3EjNS0_10empty_typeEbEEZZNS1_14partition_implILS8_3ELb0ES6_jNS0_17counting_iteratorIjlEEPS9_SE_NS0_5tupleIJPjSE_EEENSF_IJSE_SE_EEES9_SG_JZNS1_25segmented_radix_sort_implINS0_14default_configELb1EPKbPbPKlPlN2at6native12_GLOBAL__N_18offset_tEEE10hipError_tPvRmT1_PNSt15iterator_traitsISY_E10value_typeET2_T3_PNSZ_IS14_E10value_typeET4_jRbjT5_S1A_jjP12ihipStream_tbEUljE_EEESV_SW_SX_S14_S18_S1A_T6_T7_T9_mT8_S1C_bDpT10_ENKUlT_T0_E_clISt17integral_constantIbLb1EES1O_IbLb0EEEEDaS1K_S1L_EUlS1K_E_NS1_11comp_targetILNS1_3genE8ELNS1_11target_archE1030ELNS1_3gpuE2ELNS1_3repE0EEENS1_30default_config_static_selectorELNS0_4arch9wavefront6targetE0EEEvSY_ ; -- Begin function _ZN7rocprim17ROCPRIM_400000_NS6detail17trampoline_kernelINS0_13select_configILj256ELj13ELNS0_17block_load_methodE3ELS4_3ELS4_3ELNS0_20block_scan_algorithmE0ELj4294967295EEENS1_25partition_config_selectorILNS1_17partition_subalgoE3EjNS0_10empty_typeEbEEZZNS1_14partition_implILS8_3ELb0ES6_jNS0_17counting_iteratorIjlEEPS9_SE_NS0_5tupleIJPjSE_EEENSF_IJSE_SE_EEES9_SG_JZNS1_25segmented_radix_sort_implINS0_14default_configELb1EPKbPbPKlPlN2at6native12_GLOBAL__N_18offset_tEEE10hipError_tPvRmT1_PNSt15iterator_traitsISY_E10value_typeET2_T3_PNSZ_IS14_E10value_typeET4_jRbjT5_S1A_jjP12ihipStream_tbEUljE_EEESV_SW_SX_S14_S18_S1A_T6_T7_T9_mT8_S1C_bDpT10_ENKUlT_T0_E_clISt17integral_constantIbLb1EES1O_IbLb0EEEEDaS1K_S1L_EUlS1K_E_NS1_11comp_targetILNS1_3genE8ELNS1_11target_archE1030ELNS1_3gpuE2ELNS1_3repE0EEENS1_30default_config_static_selectorELNS0_4arch9wavefront6targetE0EEEvSY_
	.p2align	8
	.type	_ZN7rocprim17ROCPRIM_400000_NS6detail17trampoline_kernelINS0_13select_configILj256ELj13ELNS0_17block_load_methodE3ELS4_3ELS4_3ELNS0_20block_scan_algorithmE0ELj4294967295EEENS1_25partition_config_selectorILNS1_17partition_subalgoE3EjNS0_10empty_typeEbEEZZNS1_14partition_implILS8_3ELb0ES6_jNS0_17counting_iteratorIjlEEPS9_SE_NS0_5tupleIJPjSE_EEENSF_IJSE_SE_EEES9_SG_JZNS1_25segmented_radix_sort_implINS0_14default_configELb1EPKbPbPKlPlN2at6native12_GLOBAL__N_18offset_tEEE10hipError_tPvRmT1_PNSt15iterator_traitsISY_E10value_typeET2_T3_PNSZ_IS14_E10value_typeET4_jRbjT5_S1A_jjP12ihipStream_tbEUljE_EEESV_SW_SX_S14_S18_S1A_T6_T7_T9_mT8_S1C_bDpT10_ENKUlT_T0_E_clISt17integral_constantIbLb1EES1O_IbLb0EEEEDaS1K_S1L_EUlS1K_E_NS1_11comp_targetILNS1_3genE8ELNS1_11target_archE1030ELNS1_3gpuE2ELNS1_3repE0EEENS1_30default_config_static_selectorELNS0_4arch9wavefront6targetE0EEEvSY_,@function
_ZN7rocprim17ROCPRIM_400000_NS6detail17trampoline_kernelINS0_13select_configILj256ELj13ELNS0_17block_load_methodE3ELS4_3ELS4_3ELNS0_20block_scan_algorithmE0ELj4294967295EEENS1_25partition_config_selectorILNS1_17partition_subalgoE3EjNS0_10empty_typeEbEEZZNS1_14partition_implILS8_3ELb0ES6_jNS0_17counting_iteratorIjlEEPS9_SE_NS0_5tupleIJPjSE_EEENSF_IJSE_SE_EEES9_SG_JZNS1_25segmented_radix_sort_implINS0_14default_configELb1EPKbPbPKlPlN2at6native12_GLOBAL__N_18offset_tEEE10hipError_tPvRmT1_PNSt15iterator_traitsISY_E10value_typeET2_T3_PNSZ_IS14_E10value_typeET4_jRbjT5_S1A_jjP12ihipStream_tbEUljE_EEESV_SW_SX_S14_S18_S1A_T6_T7_T9_mT8_S1C_bDpT10_ENKUlT_T0_E_clISt17integral_constantIbLb1EES1O_IbLb0EEEEDaS1K_S1L_EUlS1K_E_NS1_11comp_targetILNS1_3genE8ELNS1_11target_archE1030ELNS1_3gpuE2ELNS1_3repE0EEENS1_30default_config_static_selectorELNS0_4arch9wavefront6targetE0EEEvSY_: ; @_ZN7rocprim17ROCPRIM_400000_NS6detail17trampoline_kernelINS0_13select_configILj256ELj13ELNS0_17block_load_methodE3ELS4_3ELS4_3ELNS0_20block_scan_algorithmE0ELj4294967295EEENS1_25partition_config_selectorILNS1_17partition_subalgoE3EjNS0_10empty_typeEbEEZZNS1_14partition_implILS8_3ELb0ES6_jNS0_17counting_iteratorIjlEEPS9_SE_NS0_5tupleIJPjSE_EEENSF_IJSE_SE_EEES9_SG_JZNS1_25segmented_radix_sort_implINS0_14default_configELb1EPKbPbPKlPlN2at6native12_GLOBAL__N_18offset_tEEE10hipError_tPvRmT1_PNSt15iterator_traitsISY_E10value_typeET2_T3_PNSZ_IS14_E10value_typeET4_jRbjT5_S1A_jjP12ihipStream_tbEUljE_EEESV_SW_SX_S14_S18_S1A_T6_T7_T9_mT8_S1C_bDpT10_ENKUlT_T0_E_clISt17integral_constantIbLb1EES1O_IbLb0EEEEDaS1K_S1L_EUlS1K_E_NS1_11comp_targetILNS1_3genE8ELNS1_11target_archE1030ELNS1_3gpuE2ELNS1_3repE0EEENS1_30default_config_static_selectorELNS0_4arch9wavefront6targetE0EEEvSY_
; %bb.0:
	.section	.rodata,"a",@progbits
	.p2align	6, 0x0
	.amdhsa_kernel _ZN7rocprim17ROCPRIM_400000_NS6detail17trampoline_kernelINS0_13select_configILj256ELj13ELNS0_17block_load_methodE3ELS4_3ELS4_3ELNS0_20block_scan_algorithmE0ELj4294967295EEENS1_25partition_config_selectorILNS1_17partition_subalgoE3EjNS0_10empty_typeEbEEZZNS1_14partition_implILS8_3ELb0ES6_jNS0_17counting_iteratorIjlEEPS9_SE_NS0_5tupleIJPjSE_EEENSF_IJSE_SE_EEES9_SG_JZNS1_25segmented_radix_sort_implINS0_14default_configELb1EPKbPbPKlPlN2at6native12_GLOBAL__N_18offset_tEEE10hipError_tPvRmT1_PNSt15iterator_traitsISY_E10value_typeET2_T3_PNSZ_IS14_E10value_typeET4_jRbjT5_S1A_jjP12ihipStream_tbEUljE_EEESV_SW_SX_S14_S18_S1A_T6_T7_T9_mT8_S1C_bDpT10_ENKUlT_T0_E_clISt17integral_constantIbLb1EES1O_IbLb0EEEEDaS1K_S1L_EUlS1K_E_NS1_11comp_targetILNS1_3genE8ELNS1_11target_archE1030ELNS1_3gpuE2ELNS1_3repE0EEENS1_30default_config_static_selectorELNS0_4arch9wavefront6targetE0EEEvSY_
		.amdhsa_group_segment_fixed_size 0
		.amdhsa_private_segment_fixed_size 0
		.amdhsa_kernarg_size 144
		.amdhsa_user_sgpr_count 2
		.amdhsa_user_sgpr_dispatch_ptr 0
		.amdhsa_user_sgpr_queue_ptr 0
		.amdhsa_user_sgpr_kernarg_segment_ptr 1
		.amdhsa_user_sgpr_dispatch_id 0
		.amdhsa_user_sgpr_kernarg_preload_length 0
		.amdhsa_user_sgpr_kernarg_preload_offset 0
		.amdhsa_user_sgpr_private_segment_size 0
		.amdhsa_wavefront_size32 1
		.amdhsa_uses_dynamic_stack 0
		.amdhsa_enable_private_segment 0
		.amdhsa_system_sgpr_workgroup_id_x 1
		.amdhsa_system_sgpr_workgroup_id_y 0
		.amdhsa_system_sgpr_workgroup_id_z 0
		.amdhsa_system_sgpr_workgroup_info 0
		.amdhsa_system_vgpr_workitem_id 0
		.amdhsa_next_free_vgpr 1
		.amdhsa_next_free_sgpr 1
		.amdhsa_named_barrier_count 0
		.amdhsa_reserve_vcc 0
		.amdhsa_float_round_mode_32 0
		.amdhsa_float_round_mode_16_64 0
		.amdhsa_float_denorm_mode_32 3
		.amdhsa_float_denorm_mode_16_64 3
		.amdhsa_fp16_overflow 0
		.amdhsa_memory_ordered 1
		.amdhsa_forward_progress 1
		.amdhsa_inst_pref_size 0
		.amdhsa_round_robin_scheduling 0
		.amdhsa_exception_fp_ieee_invalid_op 0
		.amdhsa_exception_fp_denorm_src 0
		.amdhsa_exception_fp_ieee_div_zero 0
		.amdhsa_exception_fp_ieee_overflow 0
		.amdhsa_exception_fp_ieee_underflow 0
		.amdhsa_exception_fp_ieee_inexact 0
		.amdhsa_exception_int_div_zero 0
	.end_amdhsa_kernel
	.section	.text._ZN7rocprim17ROCPRIM_400000_NS6detail17trampoline_kernelINS0_13select_configILj256ELj13ELNS0_17block_load_methodE3ELS4_3ELS4_3ELNS0_20block_scan_algorithmE0ELj4294967295EEENS1_25partition_config_selectorILNS1_17partition_subalgoE3EjNS0_10empty_typeEbEEZZNS1_14partition_implILS8_3ELb0ES6_jNS0_17counting_iteratorIjlEEPS9_SE_NS0_5tupleIJPjSE_EEENSF_IJSE_SE_EEES9_SG_JZNS1_25segmented_radix_sort_implINS0_14default_configELb1EPKbPbPKlPlN2at6native12_GLOBAL__N_18offset_tEEE10hipError_tPvRmT1_PNSt15iterator_traitsISY_E10value_typeET2_T3_PNSZ_IS14_E10value_typeET4_jRbjT5_S1A_jjP12ihipStream_tbEUljE_EEESV_SW_SX_S14_S18_S1A_T6_T7_T9_mT8_S1C_bDpT10_ENKUlT_T0_E_clISt17integral_constantIbLb1EES1O_IbLb0EEEEDaS1K_S1L_EUlS1K_E_NS1_11comp_targetILNS1_3genE8ELNS1_11target_archE1030ELNS1_3gpuE2ELNS1_3repE0EEENS1_30default_config_static_selectorELNS0_4arch9wavefront6targetE0EEEvSY_,"axG",@progbits,_ZN7rocprim17ROCPRIM_400000_NS6detail17trampoline_kernelINS0_13select_configILj256ELj13ELNS0_17block_load_methodE3ELS4_3ELS4_3ELNS0_20block_scan_algorithmE0ELj4294967295EEENS1_25partition_config_selectorILNS1_17partition_subalgoE3EjNS0_10empty_typeEbEEZZNS1_14partition_implILS8_3ELb0ES6_jNS0_17counting_iteratorIjlEEPS9_SE_NS0_5tupleIJPjSE_EEENSF_IJSE_SE_EEES9_SG_JZNS1_25segmented_radix_sort_implINS0_14default_configELb1EPKbPbPKlPlN2at6native12_GLOBAL__N_18offset_tEEE10hipError_tPvRmT1_PNSt15iterator_traitsISY_E10value_typeET2_T3_PNSZ_IS14_E10value_typeET4_jRbjT5_S1A_jjP12ihipStream_tbEUljE_EEESV_SW_SX_S14_S18_S1A_T6_T7_T9_mT8_S1C_bDpT10_ENKUlT_T0_E_clISt17integral_constantIbLb1EES1O_IbLb0EEEEDaS1K_S1L_EUlS1K_E_NS1_11comp_targetILNS1_3genE8ELNS1_11target_archE1030ELNS1_3gpuE2ELNS1_3repE0EEENS1_30default_config_static_selectorELNS0_4arch9wavefront6targetE0EEEvSY_,comdat
.Lfunc_end1515:
	.size	_ZN7rocprim17ROCPRIM_400000_NS6detail17trampoline_kernelINS0_13select_configILj256ELj13ELNS0_17block_load_methodE3ELS4_3ELS4_3ELNS0_20block_scan_algorithmE0ELj4294967295EEENS1_25partition_config_selectorILNS1_17partition_subalgoE3EjNS0_10empty_typeEbEEZZNS1_14partition_implILS8_3ELb0ES6_jNS0_17counting_iteratorIjlEEPS9_SE_NS0_5tupleIJPjSE_EEENSF_IJSE_SE_EEES9_SG_JZNS1_25segmented_radix_sort_implINS0_14default_configELb1EPKbPbPKlPlN2at6native12_GLOBAL__N_18offset_tEEE10hipError_tPvRmT1_PNSt15iterator_traitsISY_E10value_typeET2_T3_PNSZ_IS14_E10value_typeET4_jRbjT5_S1A_jjP12ihipStream_tbEUljE_EEESV_SW_SX_S14_S18_S1A_T6_T7_T9_mT8_S1C_bDpT10_ENKUlT_T0_E_clISt17integral_constantIbLb1EES1O_IbLb0EEEEDaS1K_S1L_EUlS1K_E_NS1_11comp_targetILNS1_3genE8ELNS1_11target_archE1030ELNS1_3gpuE2ELNS1_3repE0EEENS1_30default_config_static_selectorELNS0_4arch9wavefront6targetE0EEEvSY_, .Lfunc_end1515-_ZN7rocprim17ROCPRIM_400000_NS6detail17trampoline_kernelINS0_13select_configILj256ELj13ELNS0_17block_load_methodE3ELS4_3ELS4_3ELNS0_20block_scan_algorithmE0ELj4294967295EEENS1_25partition_config_selectorILNS1_17partition_subalgoE3EjNS0_10empty_typeEbEEZZNS1_14partition_implILS8_3ELb0ES6_jNS0_17counting_iteratorIjlEEPS9_SE_NS0_5tupleIJPjSE_EEENSF_IJSE_SE_EEES9_SG_JZNS1_25segmented_radix_sort_implINS0_14default_configELb1EPKbPbPKlPlN2at6native12_GLOBAL__N_18offset_tEEE10hipError_tPvRmT1_PNSt15iterator_traitsISY_E10value_typeET2_T3_PNSZ_IS14_E10value_typeET4_jRbjT5_S1A_jjP12ihipStream_tbEUljE_EEESV_SW_SX_S14_S18_S1A_T6_T7_T9_mT8_S1C_bDpT10_ENKUlT_T0_E_clISt17integral_constantIbLb1EES1O_IbLb0EEEEDaS1K_S1L_EUlS1K_E_NS1_11comp_targetILNS1_3genE8ELNS1_11target_archE1030ELNS1_3gpuE2ELNS1_3repE0EEENS1_30default_config_static_selectorELNS0_4arch9wavefront6targetE0EEEvSY_
                                        ; -- End function
	.set _ZN7rocprim17ROCPRIM_400000_NS6detail17trampoline_kernelINS0_13select_configILj256ELj13ELNS0_17block_load_methodE3ELS4_3ELS4_3ELNS0_20block_scan_algorithmE0ELj4294967295EEENS1_25partition_config_selectorILNS1_17partition_subalgoE3EjNS0_10empty_typeEbEEZZNS1_14partition_implILS8_3ELb0ES6_jNS0_17counting_iteratorIjlEEPS9_SE_NS0_5tupleIJPjSE_EEENSF_IJSE_SE_EEES9_SG_JZNS1_25segmented_radix_sort_implINS0_14default_configELb1EPKbPbPKlPlN2at6native12_GLOBAL__N_18offset_tEEE10hipError_tPvRmT1_PNSt15iterator_traitsISY_E10value_typeET2_T3_PNSZ_IS14_E10value_typeET4_jRbjT5_S1A_jjP12ihipStream_tbEUljE_EEESV_SW_SX_S14_S18_S1A_T6_T7_T9_mT8_S1C_bDpT10_ENKUlT_T0_E_clISt17integral_constantIbLb1EES1O_IbLb0EEEEDaS1K_S1L_EUlS1K_E_NS1_11comp_targetILNS1_3genE8ELNS1_11target_archE1030ELNS1_3gpuE2ELNS1_3repE0EEENS1_30default_config_static_selectorELNS0_4arch9wavefront6targetE0EEEvSY_.num_vgpr, 0
	.set _ZN7rocprim17ROCPRIM_400000_NS6detail17trampoline_kernelINS0_13select_configILj256ELj13ELNS0_17block_load_methodE3ELS4_3ELS4_3ELNS0_20block_scan_algorithmE0ELj4294967295EEENS1_25partition_config_selectorILNS1_17partition_subalgoE3EjNS0_10empty_typeEbEEZZNS1_14partition_implILS8_3ELb0ES6_jNS0_17counting_iteratorIjlEEPS9_SE_NS0_5tupleIJPjSE_EEENSF_IJSE_SE_EEES9_SG_JZNS1_25segmented_radix_sort_implINS0_14default_configELb1EPKbPbPKlPlN2at6native12_GLOBAL__N_18offset_tEEE10hipError_tPvRmT1_PNSt15iterator_traitsISY_E10value_typeET2_T3_PNSZ_IS14_E10value_typeET4_jRbjT5_S1A_jjP12ihipStream_tbEUljE_EEESV_SW_SX_S14_S18_S1A_T6_T7_T9_mT8_S1C_bDpT10_ENKUlT_T0_E_clISt17integral_constantIbLb1EES1O_IbLb0EEEEDaS1K_S1L_EUlS1K_E_NS1_11comp_targetILNS1_3genE8ELNS1_11target_archE1030ELNS1_3gpuE2ELNS1_3repE0EEENS1_30default_config_static_selectorELNS0_4arch9wavefront6targetE0EEEvSY_.num_agpr, 0
	.set _ZN7rocprim17ROCPRIM_400000_NS6detail17trampoline_kernelINS0_13select_configILj256ELj13ELNS0_17block_load_methodE3ELS4_3ELS4_3ELNS0_20block_scan_algorithmE0ELj4294967295EEENS1_25partition_config_selectorILNS1_17partition_subalgoE3EjNS0_10empty_typeEbEEZZNS1_14partition_implILS8_3ELb0ES6_jNS0_17counting_iteratorIjlEEPS9_SE_NS0_5tupleIJPjSE_EEENSF_IJSE_SE_EEES9_SG_JZNS1_25segmented_radix_sort_implINS0_14default_configELb1EPKbPbPKlPlN2at6native12_GLOBAL__N_18offset_tEEE10hipError_tPvRmT1_PNSt15iterator_traitsISY_E10value_typeET2_T3_PNSZ_IS14_E10value_typeET4_jRbjT5_S1A_jjP12ihipStream_tbEUljE_EEESV_SW_SX_S14_S18_S1A_T6_T7_T9_mT8_S1C_bDpT10_ENKUlT_T0_E_clISt17integral_constantIbLb1EES1O_IbLb0EEEEDaS1K_S1L_EUlS1K_E_NS1_11comp_targetILNS1_3genE8ELNS1_11target_archE1030ELNS1_3gpuE2ELNS1_3repE0EEENS1_30default_config_static_selectorELNS0_4arch9wavefront6targetE0EEEvSY_.numbered_sgpr, 0
	.set _ZN7rocprim17ROCPRIM_400000_NS6detail17trampoline_kernelINS0_13select_configILj256ELj13ELNS0_17block_load_methodE3ELS4_3ELS4_3ELNS0_20block_scan_algorithmE0ELj4294967295EEENS1_25partition_config_selectorILNS1_17partition_subalgoE3EjNS0_10empty_typeEbEEZZNS1_14partition_implILS8_3ELb0ES6_jNS0_17counting_iteratorIjlEEPS9_SE_NS0_5tupleIJPjSE_EEENSF_IJSE_SE_EEES9_SG_JZNS1_25segmented_radix_sort_implINS0_14default_configELb1EPKbPbPKlPlN2at6native12_GLOBAL__N_18offset_tEEE10hipError_tPvRmT1_PNSt15iterator_traitsISY_E10value_typeET2_T3_PNSZ_IS14_E10value_typeET4_jRbjT5_S1A_jjP12ihipStream_tbEUljE_EEESV_SW_SX_S14_S18_S1A_T6_T7_T9_mT8_S1C_bDpT10_ENKUlT_T0_E_clISt17integral_constantIbLb1EES1O_IbLb0EEEEDaS1K_S1L_EUlS1K_E_NS1_11comp_targetILNS1_3genE8ELNS1_11target_archE1030ELNS1_3gpuE2ELNS1_3repE0EEENS1_30default_config_static_selectorELNS0_4arch9wavefront6targetE0EEEvSY_.num_named_barrier, 0
	.set _ZN7rocprim17ROCPRIM_400000_NS6detail17trampoline_kernelINS0_13select_configILj256ELj13ELNS0_17block_load_methodE3ELS4_3ELS4_3ELNS0_20block_scan_algorithmE0ELj4294967295EEENS1_25partition_config_selectorILNS1_17partition_subalgoE3EjNS0_10empty_typeEbEEZZNS1_14partition_implILS8_3ELb0ES6_jNS0_17counting_iteratorIjlEEPS9_SE_NS0_5tupleIJPjSE_EEENSF_IJSE_SE_EEES9_SG_JZNS1_25segmented_radix_sort_implINS0_14default_configELb1EPKbPbPKlPlN2at6native12_GLOBAL__N_18offset_tEEE10hipError_tPvRmT1_PNSt15iterator_traitsISY_E10value_typeET2_T3_PNSZ_IS14_E10value_typeET4_jRbjT5_S1A_jjP12ihipStream_tbEUljE_EEESV_SW_SX_S14_S18_S1A_T6_T7_T9_mT8_S1C_bDpT10_ENKUlT_T0_E_clISt17integral_constantIbLb1EES1O_IbLb0EEEEDaS1K_S1L_EUlS1K_E_NS1_11comp_targetILNS1_3genE8ELNS1_11target_archE1030ELNS1_3gpuE2ELNS1_3repE0EEENS1_30default_config_static_selectorELNS0_4arch9wavefront6targetE0EEEvSY_.private_seg_size, 0
	.set _ZN7rocprim17ROCPRIM_400000_NS6detail17trampoline_kernelINS0_13select_configILj256ELj13ELNS0_17block_load_methodE3ELS4_3ELS4_3ELNS0_20block_scan_algorithmE0ELj4294967295EEENS1_25partition_config_selectorILNS1_17partition_subalgoE3EjNS0_10empty_typeEbEEZZNS1_14partition_implILS8_3ELb0ES6_jNS0_17counting_iteratorIjlEEPS9_SE_NS0_5tupleIJPjSE_EEENSF_IJSE_SE_EEES9_SG_JZNS1_25segmented_radix_sort_implINS0_14default_configELb1EPKbPbPKlPlN2at6native12_GLOBAL__N_18offset_tEEE10hipError_tPvRmT1_PNSt15iterator_traitsISY_E10value_typeET2_T3_PNSZ_IS14_E10value_typeET4_jRbjT5_S1A_jjP12ihipStream_tbEUljE_EEESV_SW_SX_S14_S18_S1A_T6_T7_T9_mT8_S1C_bDpT10_ENKUlT_T0_E_clISt17integral_constantIbLb1EES1O_IbLb0EEEEDaS1K_S1L_EUlS1K_E_NS1_11comp_targetILNS1_3genE8ELNS1_11target_archE1030ELNS1_3gpuE2ELNS1_3repE0EEENS1_30default_config_static_selectorELNS0_4arch9wavefront6targetE0EEEvSY_.uses_vcc, 0
	.set _ZN7rocprim17ROCPRIM_400000_NS6detail17trampoline_kernelINS0_13select_configILj256ELj13ELNS0_17block_load_methodE3ELS4_3ELS4_3ELNS0_20block_scan_algorithmE0ELj4294967295EEENS1_25partition_config_selectorILNS1_17partition_subalgoE3EjNS0_10empty_typeEbEEZZNS1_14partition_implILS8_3ELb0ES6_jNS0_17counting_iteratorIjlEEPS9_SE_NS0_5tupleIJPjSE_EEENSF_IJSE_SE_EEES9_SG_JZNS1_25segmented_radix_sort_implINS0_14default_configELb1EPKbPbPKlPlN2at6native12_GLOBAL__N_18offset_tEEE10hipError_tPvRmT1_PNSt15iterator_traitsISY_E10value_typeET2_T3_PNSZ_IS14_E10value_typeET4_jRbjT5_S1A_jjP12ihipStream_tbEUljE_EEESV_SW_SX_S14_S18_S1A_T6_T7_T9_mT8_S1C_bDpT10_ENKUlT_T0_E_clISt17integral_constantIbLb1EES1O_IbLb0EEEEDaS1K_S1L_EUlS1K_E_NS1_11comp_targetILNS1_3genE8ELNS1_11target_archE1030ELNS1_3gpuE2ELNS1_3repE0EEENS1_30default_config_static_selectorELNS0_4arch9wavefront6targetE0EEEvSY_.uses_flat_scratch, 0
	.set _ZN7rocprim17ROCPRIM_400000_NS6detail17trampoline_kernelINS0_13select_configILj256ELj13ELNS0_17block_load_methodE3ELS4_3ELS4_3ELNS0_20block_scan_algorithmE0ELj4294967295EEENS1_25partition_config_selectorILNS1_17partition_subalgoE3EjNS0_10empty_typeEbEEZZNS1_14partition_implILS8_3ELb0ES6_jNS0_17counting_iteratorIjlEEPS9_SE_NS0_5tupleIJPjSE_EEENSF_IJSE_SE_EEES9_SG_JZNS1_25segmented_radix_sort_implINS0_14default_configELb1EPKbPbPKlPlN2at6native12_GLOBAL__N_18offset_tEEE10hipError_tPvRmT1_PNSt15iterator_traitsISY_E10value_typeET2_T3_PNSZ_IS14_E10value_typeET4_jRbjT5_S1A_jjP12ihipStream_tbEUljE_EEESV_SW_SX_S14_S18_S1A_T6_T7_T9_mT8_S1C_bDpT10_ENKUlT_T0_E_clISt17integral_constantIbLb1EES1O_IbLb0EEEEDaS1K_S1L_EUlS1K_E_NS1_11comp_targetILNS1_3genE8ELNS1_11target_archE1030ELNS1_3gpuE2ELNS1_3repE0EEENS1_30default_config_static_selectorELNS0_4arch9wavefront6targetE0EEEvSY_.has_dyn_sized_stack, 0
	.set _ZN7rocprim17ROCPRIM_400000_NS6detail17trampoline_kernelINS0_13select_configILj256ELj13ELNS0_17block_load_methodE3ELS4_3ELS4_3ELNS0_20block_scan_algorithmE0ELj4294967295EEENS1_25partition_config_selectorILNS1_17partition_subalgoE3EjNS0_10empty_typeEbEEZZNS1_14partition_implILS8_3ELb0ES6_jNS0_17counting_iteratorIjlEEPS9_SE_NS0_5tupleIJPjSE_EEENSF_IJSE_SE_EEES9_SG_JZNS1_25segmented_radix_sort_implINS0_14default_configELb1EPKbPbPKlPlN2at6native12_GLOBAL__N_18offset_tEEE10hipError_tPvRmT1_PNSt15iterator_traitsISY_E10value_typeET2_T3_PNSZ_IS14_E10value_typeET4_jRbjT5_S1A_jjP12ihipStream_tbEUljE_EEESV_SW_SX_S14_S18_S1A_T6_T7_T9_mT8_S1C_bDpT10_ENKUlT_T0_E_clISt17integral_constantIbLb1EES1O_IbLb0EEEEDaS1K_S1L_EUlS1K_E_NS1_11comp_targetILNS1_3genE8ELNS1_11target_archE1030ELNS1_3gpuE2ELNS1_3repE0EEENS1_30default_config_static_selectorELNS0_4arch9wavefront6targetE0EEEvSY_.has_recursion, 0
	.set _ZN7rocprim17ROCPRIM_400000_NS6detail17trampoline_kernelINS0_13select_configILj256ELj13ELNS0_17block_load_methodE3ELS4_3ELS4_3ELNS0_20block_scan_algorithmE0ELj4294967295EEENS1_25partition_config_selectorILNS1_17partition_subalgoE3EjNS0_10empty_typeEbEEZZNS1_14partition_implILS8_3ELb0ES6_jNS0_17counting_iteratorIjlEEPS9_SE_NS0_5tupleIJPjSE_EEENSF_IJSE_SE_EEES9_SG_JZNS1_25segmented_radix_sort_implINS0_14default_configELb1EPKbPbPKlPlN2at6native12_GLOBAL__N_18offset_tEEE10hipError_tPvRmT1_PNSt15iterator_traitsISY_E10value_typeET2_T3_PNSZ_IS14_E10value_typeET4_jRbjT5_S1A_jjP12ihipStream_tbEUljE_EEESV_SW_SX_S14_S18_S1A_T6_T7_T9_mT8_S1C_bDpT10_ENKUlT_T0_E_clISt17integral_constantIbLb1EES1O_IbLb0EEEEDaS1K_S1L_EUlS1K_E_NS1_11comp_targetILNS1_3genE8ELNS1_11target_archE1030ELNS1_3gpuE2ELNS1_3repE0EEENS1_30default_config_static_selectorELNS0_4arch9wavefront6targetE0EEEvSY_.has_indirect_call, 0
	.section	.AMDGPU.csdata,"",@progbits
; Kernel info:
; codeLenInByte = 0
; TotalNumSgprs: 0
; NumVgprs: 0
; ScratchSize: 0
; MemoryBound: 0
; FloatMode: 240
; IeeeMode: 1
; LDSByteSize: 0 bytes/workgroup (compile time only)
; SGPRBlocks: 0
; VGPRBlocks: 0
; NumSGPRsForWavesPerEU: 1
; NumVGPRsForWavesPerEU: 1
; NamedBarCnt: 0
; Occupancy: 16
; WaveLimiterHint : 0
; COMPUTE_PGM_RSRC2:SCRATCH_EN: 0
; COMPUTE_PGM_RSRC2:USER_SGPR: 2
; COMPUTE_PGM_RSRC2:TRAP_HANDLER: 0
; COMPUTE_PGM_RSRC2:TGID_X_EN: 1
; COMPUTE_PGM_RSRC2:TGID_Y_EN: 0
; COMPUTE_PGM_RSRC2:TGID_Z_EN: 0
; COMPUTE_PGM_RSRC2:TIDIG_COMP_CNT: 0
	.section	.text._ZN7rocprim17ROCPRIM_400000_NS6detail17trampoline_kernelINS0_13select_configILj256ELj13ELNS0_17block_load_methodE3ELS4_3ELS4_3ELNS0_20block_scan_algorithmE0ELj4294967295EEENS1_25partition_config_selectorILNS1_17partition_subalgoE3EjNS0_10empty_typeEbEEZZNS1_14partition_implILS8_3ELb0ES6_jNS0_17counting_iteratorIjlEEPS9_SE_NS0_5tupleIJPjSE_EEENSF_IJSE_SE_EEES9_SG_JZNS1_25segmented_radix_sort_implINS0_14default_configELb1EPKbPbPKlPlN2at6native12_GLOBAL__N_18offset_tEEE10hipError_tPvRmT1_PNSt15iterator_traitsISY_E10value_typeET2_T3_PNSZ_IS14_E10value_typeET4_jRbjT5_S1A_jjP12ihipStream_tbEUljE_EEESV_SW_SX_S14_S18_S1A_T6_T7_T9_mT8_S1C_bDpT10_ENKUlT_T0_E_clISt17integral_constantIbLb0EES1O_IbLb1EEEEDaS1K_S1L_EUlS1K_E_NS1_11comp_targetILNS1_3genE0ELNS1_11target_archE4294967295ELNS1_3gpuE0ELNS1_3repE0EEENS1_30default_config_static_selectorELNS0_4arch9wavefront6targetE0EEEvSY_,"axG",@progbits,_ZN7rocprim17ROCPRIM_400000_NS6detail17trampoline_kernelINS0_13select_configILj256ELj13ELNS0_17block_load_methodE3ELS4_3ELS4_3ELNS0_20block_scan_algorithmE0ELj4294967295EEENS1_25partition_config_selectorILNS1_17partition_subalgoE3EjNS0_10empty_typeEbEEZZNS1_14partition_implILS8_3ELb0ES6_jNS0_17counting_iteratorIjlEEPS9_SE_NS0_5tupleIJPjSE_EEENSF_IJSE_SE_EEES9_SG_JZNS1_25segmented_radix_sort_implINS0_14default_configELb1EPKbPbPKlPlN2at6native12_GLOBAL__N_18offset_tEEE10hipError_tPvRmT1_PNSt15iterator_traitsISY_E10value_typeET2_T3_PNSZ_IS14_E10value_typeET4_jRbjT5_S1A_jjP12ihipStream_tbEUljE_EEESV_SW_SX_S14_S18_S1A_T6_T7_T9_mT8_S1C_bDpT10_ENKUlT_T0_E_clISt17integral_constantIbLb0EES1O_IbLb1EEEEDaS1K_S1L_EUlS1K_E_NS1_11comp_targetILNS1_3genE0ELNS1_11target_archE4294967295ELNS1_3gpuE0ELNS1_3repE0EEENS1_30default_config_static_selectorELNS0_4arch9wavefront6targetE0EEEvSY_,comdat
	.globl	_ZN7rocprim17ROCPRIM_400000_NS6detail17trampoline_kernelINS0_13select_configILj256ELj13ELNS0_17block_load_methodE3ELS4_3ELS4_3ELNS0_20block_scan_algorithmE0ELj4294967295EEENS1_25partition_config_selectorILNS1_17partition_subalgoE3EjNS0_10empty_typeEbEEZZNS1_14partition_implILS8_3ELb0ES6_jNS0_17counting_iteratorIjlEEPS9_SE_NS0_5tupleIJPjSE_EEENSF_IJSE_SE_EEES9_SG_JZNS1_25segmented_radix_sort_implINS0_14default_configELb1EPKbPbPKlPlN2at6native12_GLOBAL__N_18offset_tEEE10hipError_tPvRmT1_PNSt15iterator_traitsISY_E10value_typeET2_T3_PNSZ_IS14_E10value_typeET4_jRbjT5_S1A_jjP12ihipStream_tbEUljE_EEESV_SW_SX_S14_S18_S1A_T6_T7_T9_mT8_S1C_bDpT10_ENKUlT_T0_E_clISt17integral_constantIbLb0EES1O_IbLb1EEEEDaS1K_S1L_EUlS1K_E_NS1_11comp_targetILNS1_3genE0ELNS1_11target_archE4294967295ELNS1_3gpuE0ELNS1_3repE0EEENS1_30default_config_static_selectorELNS0_4arch9wavefront6targetE0EEEvSY_ ; -- Begin function _ZN7rocprim17ROCPRIM_400000_NS6detail17trampoline_kernelINS0_13select_configILj256ELj13ELNS0_17block_load_methodE3ELS4_3ELS4_3ELNS0_20block_scan_algorithmE0ELj4294967295EEENS1_25partition_config_selectorILNS1_17partition_subalgoE3EjNS0_10empty_typeEbEEZZNS1_14partition_implILS8_3ELb0ES6_jNS0_17counting_iteratorIjlEEPS9_SE_NS0_5tupleIJPjSE_EEENSF_IJSE_SE_EEES9_SG_JZNS1_25segmented_radix_sort_implINS0_14default_configELb1EPKbPbPKlPlN2at6native12_GLOBAL__N_18offset_tEEE10hipError_tPvRmT1_PNSt15iterator_traitsISY_E10value_typeET2_T3_PNSZ_IS14_E10value_typeET4_jRbjT5_S1A_jjP12ihipStream_tbEUljE_EEESV_SW_SX_S14_S18_S1A_T6_T7_T9_mT8_S1C_bDpT10_ENKUlT_T0_E_clISt17integral_constantIbLb0EES1O_IbLb1EEEEDaS1K_S1L_EUlS1K_E_NS1_11comp_targetILNS1_3genE0ELNS1_11target_archE4294967295ELNS1_3gpuE0ELNS1_3repE0EEENS1_30default_config_static_selectorELNS0_4arch9wavefront6targetE0EEEvSY_
	.p2align	8
	.type	_ZN7rocprim17ROCPRIM_400000_NS6detail17trampoline_kernelINS0_13select_configILj256ELj13ELNS0_17block_load_methodE3ELS4_3ELS4_3ELNS0_20block_scan_algorithmE0ELj4294967295EEENS1_25partition_config_selectorILNS1_17partition_subalgoE3EjNS0_10empty_typeEbEEZZNS1_14partition_implILS8_3ELb0ES6_jNS0_17counting_iteratorIjlEEPS9_SE_NS0_5tupleIJPjSE_EEENSF_IJSE_SE_EEES9_SG_JZNS1_25segmented_radix_sort_implINS0_14default_configELb1EPKbPbPKlPlN2at6native12_GLOBAL__N_18offset_tEEE10hipError_tPvRmT1_PNSt15iterator_traitsISY_E10value_typeET2_T3_PNSZ_IS14_E10value_typeET4_jRbjT5_S1A_jjP12ihipStream_tbEUljE_EEESV_SW_SX_S14_S18_S1A_T6_T7_T9_mT8_S1C_bDpT10_ENKUlT_T0_E_clISt17integral_constantIbLb0EES1O_IbLb1EEEEDaS1K_S1L_EUlS1K_E_NS1_11comp_targetILNS1_3genE0ELNS1_11target_archE4294967295ELNS1_3gpuE0ELNS1_3repE0EEENS1_30default_config_static_selectorELNS0_4arch9wavefront6targetE0EEEvSY_,@function
_ZN7rocprim17ROCPRIM_400000_NS6detail17trampoline_kernelINS0_13select_configILj256ELj13ELNS0_17block_load_methodE3ELS4_3ELS4_3ELNS0_20block_scan_algorithmE0ELj4294967295EEENS1_25partition_config_selectorILNS1_17partition_subalgoE3EjNS0_10empty_typeEbEEZZNS1_14partition_implILS8_3ELb0ES6_jNS0_17counting_iteratorIjlEEPS9_SE_NS0_5tupleIJPjSE_EEENSF_IJSE_SE_EEES9_SG_JZNS1_25segmented_radix_sort_implINS0_14default_configELb1EPKbPbPKlPlN2at6native12_GLOBAL__N_18offset_tEEE10hipError_tPvRmT1_PNSt15iterator_traitsISY_E10value_typeET2_T3_PNSZ_IS14_E10value_typeET4_jRbjT5_S1A_jjP12ihipStream_tbEUljE_EEESV_SW_SX_S14_S18_S1A_T6_T7_T9_mT8_S1C_bDpT10_ENKUlT_T0_E_clISt17integral_constantIbLb0EES1O_IbLb1EEEEDaS1K_S1L_EUlS1K_E_NS1_11comp_targetILNS1_3genE0ELNS1_11target_archE4294967295ELNS1_3gpuE0ELNS1_3repE0EEENS1_30default_config_static_selectorELNS0_4arch9wavefront6targetE0EEEvSY_: ; @_ZN7rocprim17ROCPRIM_400000_NS6detail17trampoline_kernelINS0_13select_configILj256ELj13ELNS0_17block_load_methodE3ELS4_3ELS4_3ELNS0_20block_scan_algorithmE0ELj4294967295EEENS1_25partition_config_selectorILNS1_17partition_subalgoE3EjNS0_10empty_typeEbEEZZNS1_14partition_implILS8_3ELb0ES6_jNS0_17counting_iteratorIjlEEPS9_SE_NS0_5tupleIJPjSE_EEENSF_IJSE_SE_EEES9_SG_JZNS1_25segmented_radix_sort_implINS0_14default_configELb1EPKbPbPKlPlN2at6native12_GLOBAL__N_18offset_tEEE10hipError_tPvRmT1_PNSt15iterator_traitsISY_E10value_typeET2_T3_PNSZ_IS14_E10value_typeET4_jRbjT5_S1A_jjP12ihipStream_tbEUljE_EEESV_SW_SX_S14_S18_S1A_T6_T7_T9_mT8_S1C_bDpT10_ENKUlT_T0_E_clISt17integral_constantIbLb0EES1O_IbLb1EEEEDaS1K_S1L_EUlS1K_E_NS1_11comp_targetILNS1_3genE0ELNS1_11target_archE4294967295ELNS1_3gpuE0ELNS1_3repE0EEENS1_30default_config_static_selectorELNS0_4arch9wavefront6targetE0EEEvSY_
; %bb.0:
	s_clause 0x5
	s_load_b64 s[16:17], s[0:1], 0x10
	s_load_b128 s[12:15], s[0:1], 0x48
	s_load_b64 s[18:19], s[0:1], 0x58
	s_load_b64 s[20:21], s[0:1], 0x68
	s_load_b32 s3, s[0:1], 0x90
	s_load_b128 s[4:7], s[0:1], 0x80
	v_cmp_eq_u32_e64 s2, 0, v0
	s_and_saveexec_b32 s8, s2
	s_cbranch_execz .LBB1516_4
; %bb.1:
	s_mov_b32 s10, exec_lo
	s_mov_b32 s9, exec_lo
	v_mbcnt_lo_u32_b32 v1, s10, 0
                                        ; implicit-def: $vgpr2
	s_delay_alu instid0(VALU_DEP_1)
	v_cmpx_eq_u32_e32 0, v1
	s_cbranch_execz .LBB1516_3
; %bb.2:
	s_load_b64 s[22:23], s[0:1], 0x78
	s_bcnt1_i32_b32 s10, s10
	s_delay_alu instid0(SALU_CYCLE_1)
	v_dual_mov_b32 v2, 0 :: v_dual_mov_b32 v3, s10
	s_wait_xcnt 0x0
	s_wait_kmcnt 0x0
	global_atomic_add_u32 v2, v2, v3, s[22:23] th:TH_ATOMIC_RETURN scope:SCOPE_DEV
.LBB1516_3:
	s_wait_xcnt 0x0
	s_or_b32 exec_lo, exec_lo, s9
	s_wait_loadcnt 0x0
	v_readfirstlane_b32 s9, v2
	s_delay_alu instid0(VALU_DEP_1)
	v_dual_mov_b32 v2, 0 :: v_dual_add_nc_u32 v1, s9, v1
	ds_store_b32 v2, v1
.LBB1516_4:
	s_or_b32 exec_lo, exec_lo, s8
	v_dual_mov_b32 v1, 0 :: v_dual_lshlrev_b32 v19, 2, v0
	s_clause 0x2
	s_load_b32 s8, s[0:1], 0x8
	s_load_b64 s[10:11], s[0:1], 0x28
	s_load_b32 s9, s[0:1], 0x70
	s_wait_dscnt 0x0
	s_barrier_signal -1
	s_barrier_wait -1
	ds_load_b32 v4, v1
	s_wait_dscnt 0x0
	s_barrier_signal -1
	s_barrier_wait -1
	s_wait_kmcnt 0x0
	global_load_b64 v[42:43], v1, s[14:15]
	s_mov_b32 s1, 0
	s_add_co_i32 s8, s8, s16
	s_mul_i32 s0, s9, 0xd00
	s_add_co_i32 s9, s9, -1
	s_wait_xcnt 0x0
	s_add_nc_u64 s[14:15], s[16:17], s[0:1]
	s_add_co_i32 s0, s0, s16
	v_cmp_gt_u64_e64 s1, s[18:19], s[14:15]
	v_readfirstlane_b32 s23, v4
	s_sub_co_i32 s22, s18, s0
	v_cmp_ne_u32_e32 vcc_lo, s9, v4
	s_addk_co_i32 s22, 0xd00
	s_mov_b32 s15, -1
	s_cmp_eq_u32 s23, s9
	s_mul_i32 s14, s23, 0xd00
	s_cselect_b32 s9, -1, 0
	s_or_b32 s1, s1, vcc_lo
	s_delay_alu instid0(SALU_CYCLE_1)
	s_and_b32 vcc_lo, exec_lo, s1
	s_cbranch_vccz .LBB1516_6
; %bb.5:
	v_add3_u32 v1, s14, s8, v0
	s_mov_b32 s15, 0
	s_delay_alu instid0(VALU_DEP_1)
	v_add_nc_u32_e32 v2, 0x100, v1
	v_add_nc_u32_e32 v3, 0x200, v1
	;; [unrolled: 1-line block ×12, first 2 shown]
	ds_store_2addr_stride64_b32 v19, v1, v2 offset1:4
	ds_store_2addr_stride64_b32 v19, v3, v5 offset0:8 offset1:12
	ds_store_2addr_stride64_b32 v19, v6, v7 offset0:16 offset1:20
	;; [unrolled: 1-line block ×5, first 2 shown]
	ds_store_b32 v19, v14 offset:12288
	s_wait_loadcnt_dscnt 0x0
	s_barrier_signal -1
	s_barrier_wait -1
.LBB1516_6:
	v_cmp_gt_u32_e64 s0, s22, v0
	v_or_b32_e32 v40, 0x100, v0
	v_or_b32_e32 v38, 0x200, v0
	;; [unrolled: 1-line block ×12, first 2 shown]
	s_and_not1_b32 vcc_lo, exec_lo, s15
	s_cbranch_vccnz .LBB1516_8
; %bb.7:
	s_add_co_i32 s8, s14, s8
	v_cmp_gt_u32_e32 vcc_lo, s22, v40
	v_dual_add_nc_u32 v1, s8, v0 :: v_dual_add_nc_u32 v3, s8, v38
	v_dual_add_nc_u32 v2, s8, v40 :: v_dual_add_nc_u32 v8, s8, v30
	s_delay_alu instid0(VALU_DEP_2) | instskip(NEXT) | instid1(VALU_DEP_2)
	v_dual_add_nc_u32 v9, s8, v28 :: v_dual_cndmask_b32 v1, 0, v1, s0
	v_dual_cndmask_b32 v2, 0, v2 :: v_dual_add_nc_u32 v5, s8, v36
	v_cmp_gt_u32_e32 vcc_lo, s22, v38
	v_dual_add_nc_u32 v12, s8, v22 :: v_dual_add_nc_u32 v13, s8, v20
	v_dual_add_nc_u32 v6, s8, v34 :: v_dual_add_nc_u32 v7, s8, v32
	v_cndmask_b32_e32 v3, 0, v3, vcc_lo
	v_cmp_gt_u32_e32 vcc_lo, s22, v36
	v_dual_add_nc_u32 v10, s8, v26 :: v_dual_add_nc_u32 v11, s8, v24
	v_cndmask_b32_e32 v5, 0, v5, vcc_lo
	v_cmp_gt_u32_e32 vcc_lo, s22, v34
	v_cndmask_b32_e32 v6, 0, v6, vcc_lo
	v_cmp_gt_u32_e32 vcc_lo, s22, v32
	v_cndmask_b32_e32 v7, 0, v7, vcc_lo
	v_cmp_gt_u32_e32 vcc_lo, s22, v30
	v_cndmask_b32_e32 v8, 0, v8, vcc_lo
	v_cmp_gt_u32_e32 vcc_lo, s22, v28
	v_cndmask_b32_e32 v9, 0, v9, vcc_lo
	v_cmp_gt_u32_e32 vcc_lo, s22, v26
	v_cndmask_b32_e32 v10, 0, v10, vcc_lo
	v_cmp_gt_u32_e32 vcc_lo, s22, v24
	v_cndmask_b32_e32 v11, 0, v11, vcc_lo
	v_cmp_gt_u32_e32 vcc_lo, s22, v22
	v_dual_add_nc_u32 v14, s8, v18 :: v_dual_cndmask_b32 v12, 0, v12, vcc_lo
	v_cmp_gt_u32_e32 vcc_lo, s22, v20
	v_cndmask_b32_e32 v13, 0, v13, vcc_lo
	v_cmp_gt_u32_e32 vcc_lo, s22, v18
	s_delay_alu instid0(VALU_DEP_4)
	v_cndmask_b32_e32 v14, 0, v14, vcc_lo
	ds_store_2addr_stride64_b32 v19, v1, v2 offset1:4
	ds_store_2addr_stride64_b32 v19, v3, v5 offset0:8 offset1:12
	ds_store_2addr_stride64_b32 v19, v6, v7 offset0:16 offset1:20
	ds_store_2addr_stride64_b32 v19, v8, v9 offset0:24 offset1:28
	ds_store_2addr_stride64_b32 v19, v10, v11 offset0:32 offset1:36
	ds_store_2addr_stride64_b32 v19, v12, v13 offset0:40 offset1:44
	ds_store_b32 v19, v14 offset:12288
	s_wait_loadcnt_dscnt 0x0
	s_barrier_signal -1
	s_barrier_wait -1
.LBB1516_8:
	v_mul_u32_u24_e32 v23, 13, v0
	s_wait_loadcnt 0x0
	v_cndmask_b32_e64 v21, 0, 1, s1
	s_and_not1_b32 vcc_lo, exec_lo, s1
	s_delay_alu instid0(VALU_DEP_2)
	v_lshlrev_b32_e32 v2, 2, v23
	ds_load_2addr_b32 v[52:53], v2 offset0:2 offset1:3
	ds_load_2addr_b32 v[48:49], v2 offset0:6 offset1:7
	;; [unrolled: 1-line block ×3, first 2 shown]
	ds_load_2addr_b32 v[54:55], v2 offset1:1
	ds_load_2addr_b32 v[44:45], v2 offset0:10 offset1:11
	ds_load_b32 v1, v2 offset:48
	ds_load_2addr_b32 v[46:47], v2 offset0:8 offset1:9
	s_wait_dscnt 0x0
	s_barrier_signal -1
	s_barrier_wait -1
	s_cbranch_vccnz .LBB1516_10
; %bb.9:
	v_dual_add_nc_u32 v2, s5, v53 :: v_dual_add_nc_u32 v3, s5, v55
	v_dual_add_nc_u32 v5, s5, v54 :: v_dual_add_nc_u32 v6, s5, v52
	;; [unrolled: 1-line block ×4, first 2 shown]
	s_delay_alu instid0(VALU_DEP_3) | instskip(NEXT) | instid1(VALU_DEP_4)
	v_mul_lo_u32 v6, v6, s4
	v_mul_lo_u32 v5, v5, s4
	;; [unrolled: 1-line block ×8, first 2 shown]
	v_dual_add_nc_u32 v11, s5, v50 :: v_dual_add_nc_u32 v12, s7, v50
	v_dual_add_nc_u32 v13, s5, v48 :: v_dual_add_nc_u32 v15, s7, v45
	v_add_nc_u32_e32 v16, s5, v44
	s_delay_alu instid0(VALU_DEP_3) | instskip(NEXT) | instid1(VALU_DEP_4)
	v_mul_lo_u32 v11, v11, s4
	v_mul_lo_u32 v12, v12, s6
	v_dual_sub_nc_u32 v2, v2, v7 :: v_dual_sub_nc_u32 v3, v3, v8
	v_dual_sub_nc_u32 v5, v5, v9 :: v_dual_sub_nc_u32 v6, v6, v10
	v_dual_add_nc_u32 v7, s5, v51 :: v_dual_add_nc_u32 v8, s7, v51
	v_dual_add_nc_u32 v9, s5, v49 :: v_dual_add_nc_u32 v10, s7, v49
	s_delay_alu instid0(VALU_DEP_4) | instskip(NEXT) | instid1(VALU_DEP_3)
	v_cmp_lt_u32_e32 vcc_lo, s3, v2
	v_mul_lo_u32 v7, v7, s4
	s_delay_alu instid0(VALU_DEP_4) | instskip(NEXT) | instid1(VALU_DEP_4)
	v_mul_lo_u32 v8, v8, s6
	v_mul_lo_u32 v9, v9, s4
	v_mul_lo_u32 v10, v10, s6
	v_cndmask_b32_e64 v2, 0, 1, vcc_lo
	v_cmp_lt_u32_e32 vcc_lo, s3, v3
	v_dual_add_nc_u32 v17, s7, v47 :: v_dual_add_nc_u32 v25, s7, v46
	v_mul_lo_u32 v15, v15, s6
	v_add_nc_u32_e32 v14, s5, v46
	v_cndmask_b32_e64 v3, 0, 1, vcc_lo
	s_delay_alu instid0(VALU_DEP_4) | instskip(SKIP_4) | instid1(VALU_DEP_3)
	v_mul_lo_u32 v17, v17, s6
	v_sub_nc_u32_e32 v7, v7, v8
	v_dual_add_nc_u32 v8, s7, v48 :: v_dual_sub_nc_u32 v9, v9, v10
	v_dual_sub_nc_u32 v10, v11, v12 :: v_dual_add_nc_u32 v11, s5, v45
	v_mul_lo_u32 v13, v13, s4
	v_mul_lo_u32 v8, v8, s6
	v_add_nc_u32_e32 v12, s5, v47
	v_cmp_lt_u32_e32 vcc_lo, s3, v7
	v_mul_lo_u32 v11, v11, s4
	v_lshlrev_b16 v3, 8, v3
	v_mul_lo_u32 v14, v14, s4
	v_mul_lo_u32 v12, v12, s4
	v_cndmask_b32_e64 v7, 0, 1, vcc_lo
	v_cmp_lt_u32_e32 vcc_lo, s3, v9
	v_lshrrev_b32_e32 v3, 8, v3
	v_mul_lo_u32 v25, v25, s6
	v_sub_nc_u32_e32 v8, v13, v8
	v_lshlrev_b16 v7, 8, v7
	v_cndmask_b32_e64 v9, 0, 1, vcc_lo
	v_sub_nc_u32_e32 v11, v11, v15
	v_cmp_lt_u32_e32 vcc_lo, s3, v5
	s_delay_alu instid0(VALU_DEP_4)
	v_dual_add_nc_u32 v27, s7, v44 :: v_dual_lshrrev_b32 v7, 8, v7
	v_sub_nc_u32_e32 v12, v12, v17
	v_mul_lo_u32 v13, v16, s4
	v_cndmask_b32_e64 v5, 0, 1, vcc_lo
	v_cmp_lt_u32_e32 vcc_lo, s3, v11
	v_mul_lo_u32 v16, v27, s6
	v_dual_add_nc_u32 v15, s5, v1 :: v_dual_add_nc_u32 v27, s7, v1
	v_lshlrev_b16 v2, 8, v2
	v_cndmask_b32_e64 v11, 0, 1, vcc_lo
	v_cmp_lt_u32_e32 vcc_lo, s3, v12
	s_delay_alu instid0(VALU_DEP_4)
	v_mul_lo_u32 v15, v15, s4
	v_mul_lo_u32 v17, v27, s6
	v_sub_nc_u32_e32 v14, v14, v25
	v_lshlrev_b16 v3, 8, v3
	v_cndmask_b32_e64 v12, 0, 1, vcc_lo
	v_cmp_lt_u32_e32 vcc_lo, s3, v6
	v_dual_sub_nc_u32 v13, v13, v16 :: v_dual_lshrrev_b32 v2, 8, v2
	s_delay_alu instid0(VALU_DEP_4)
	v_or_b32_e32 v3, v5, v3
	v_lshlrev_b16 v5, 8, v11
	v_cndmask_b32_e64 v6, 0, 1, vcc_lo
	v_cmp_lt_u32_e32 vcc_lo, s3, v10
	v_lshlrev_b16 v11, 8, v12
	v_lshlrev_b16 v9, 8, v9
	v_sub_nc_u32_e32 v12, v15, v17
	v_lshlrev_b16 v2, 8, v2
	v_cndmask_b32_e64 v10, 0, 1, vcc_lo
	v_cmp_lt_u32_e32 vcc_lo, s3, v8
	v_lshlrev_b16 v7, 8, v7
	v_dual_lshrrev_b32 v11, 8, v11 :: v_dual_lshrrev_b32 v5, 8, v5
	v_or_b32_e32 v2, v6, v2
	v_cndmask_b32_e64 v8, 0, 1, vcc_lo
	v_cmp_lt_u32_e32 vcc_lo, s3, v14
	s_delay_alu instid0(VALU_DEP_4)
	v_lshlrev_b16 v11, 8, v11
	v_lshlrev_b16 v5, 8, v5
	v_dual_lshlrev_b32 v2, 16, v2 :: v_dual_bitop2_b32 v6, v10, v7 bitop3:0x54
	v_cndmask_b32_e64 v14, 0, 1, vcc_lo
	v_cmp_lt_u32_e32 vcc_lo, s3, v13
	v_or_b32_e32 v7, v8, v9
	v_and_b32_e32 v3, 0xffff, v3
	v_and_b32_e32 v6, 0xffff, v6
	v_cndmask_b32_e64 v13, 0, 1, vcc_lo
	s_delay_alu instid0(VALU_DEP_4) | instskip(SKIP_2) | instid1(VALU_DEP_4)
	v_lshlrev_b32_e32 v7, 16, v7
	v_cmp_lt_u32_e32 vcc_lo, s3, v12
	v_or_b32_e32 v35, v3, v2
	v_or_b32_e32 v5, v13, v5
	;; [unrolled: 1-line block ×3, first 2 shown]
	v_cndmask_b32_e64 v25, 0, 1, vcc_lo
	s_delay_alu instid0(VALU_DEP_3) | instskip(NEXT) | instid1(VALU_DEP_3)
	v_dual_lshlrev_b32 v5, 16, v5 :: v_dual_bitop2_b32 v31, v6, v7 bitop3:0x54
	v_and_b32_e32 v8, 0xffff, v8
	s_delay_alu instid0(VALU_DEP_1)
	v_or_b32_e32 v27, v8, v5
	s_cbranch_execz .LBB1516_11
	s_branch .LBB1516_38
.LBB1516_10:
                                        ; implicit-def: $vgpr25
                                        ; implicit-def: $vgpr27
                                        ; implicit-def: $vgpr31
                                        ; implicit-def: $vgpr35
.LBB1516_11:
	v_dual_mov_b32 v3, 0 :: v_dual_mov_b32 v2, 0
	s_mov_b32 s0, exec_lo
	v_cmpx_gt_u32_e64 s22, v23
	s_cbranch_execz .LBB1516_13
; %bb.12:
	v_dual_add_nc_u32 v2, s5, v54 :: v_dual_add_nc_u32 v5, s7, v54
	s_delay_alu instid0(VALU_DEP_1) | instskip(NEXT) | instid1(VALU_DEP_2)
	v_mul_lo_u32 v2, v2, s4
	v_mul_lo_u32 v5, v5, s6
	s_delay_alu instid0(VALU_DEP_1) | instskip(NEXT) | instid1(VALU_DEP_1)
	v_sub_nc_u32_e32 v2, v2, v5
	v_cmp_lt_u32_e32 vcc_lo, s3, v2
	v_cndmask_b32_e64 v2, 0, 1, vcc_lo
.LBB1516_13:
	s_or_b32 exec_lo, exec_lo, s0
	v_add_nc_u32_e32 v5, 1, v23
	s_mov_b32 s0, exec_lo
	s_delay_alu instid0(VALU_DEP_1)
	v_cmpx_gt_u32_e64 s22, v5
	s_cbranch_execz .LBB1516_15
; %bb.14:
	v_dual_add_nc_u32 v3, s5, v55 :: v_dual_add_nc_u32 v5, s7, v55
	s_delay_alu instid0(VALU_DEP_1) | instskip(NEXT) | instid1(VALU_DEP_2)
	v_mul_lo_u32 v3, v3, s4
	v_mul_lo_u32 v5, v5, s6
	s_delay_alu instid0(VALU_DEP_1) | instskip(NEXT) | instid1(VALU_DEP_1)
	v_sub_nc_u32_e32 v3, v3, v5
	v_cmp_lt_u32_e32 vcc_lo, s3, v3
	v_cndmask_b32_e64 v3, 0, 1, vcc_lo
.LBB1516_15:
	s_or_b32 exec_lo, exec_lo, s0
	v_dual_mov_b32 v6, 0 :: v_dual_add_nc_u32 v5, 2, v23
	s_delay_alu instid0(VALU_DEP_1)
	v_cmp_gt_u32_e32 vcc_lo, s22, v5
	v_mov_b32_e32 v5, 0
	s_and_saveexec_b32 s0, vcc_lo
	s_cbranch_execz .LBB1516_17
; %bb.16:
	v_dual_add_nc_u32 v5, s5, v52 :: v_dual_add_nc_u32 v7, s7, v52
	s_delay_alu instid0(VALU_DEP_1) | instskip(NEXT) | instid1(VALU_DEP_2)
	v_mul_lo_u32 v5, v5, s4
	v_mul_lo_u32 v7, v7, s6
	s_delay_alu instid0(VALU_DEP_1) | instskip(NEXT) | instid1(VALU_DEP_1)
	v_sub_nc_u32_e32 v5, v5, v7
	v_cmp_lt_u32_e32 vcc_lo, s3, v5
	v_cndmask_b32_e64 v5, 0, 1, vcc_lo
.LBB1516_17:
	s_or_b32 exec_lo, exec_lo, s0
	v_add_nc_u32_e32 v7, 3, v23
	s_mov_b32 s0, exec_lo
	s_delay_alu instid0(VALU_DEP_1)
	v_cmpx_gt_u32_e64 s22, v7
	s_cbranch_execz .LBB1516_19
; %bb.18:
	v_dual_add_nc_u32 v6, s5, v53 :: v_dual_add_nc_u32 v7, s7, v53
	s_delay_alu instid0(VALU_DEP_1) | instskip(NEXT) | instid1(VALU_DEP_2)
	v_mul_lo_u32 v6, v6, s4
	v_mul_lo_u32 v7, v7, s6
	s_delay_alu instid0(VALU_DEP_1) | instskip(NEXT) | instid1(VALU_DEP_1)
	v_sub_nc_u32_e32 v6, v6, v7
	v_cmp_lt_u32_e32 vcc_lo, s3, v6
	v_cndmask_b32_e64 v6, 0, 1, vcc_lo
.LBB1516_19:
	s_or_b32 exec_lo, exec_lo, s0
	v_dual_mov_b32 v8, 0 :: v_dual_add_nc_u32 v7, 4, v23
	s_delay_alu instid0(VALU_DEP_1)
	v_cmp_gt_u32_e32 vcc_lo, s22, v7
	v_mov_b32_e32 v7, 0
	s_and_saveexec_b32 s0, vcc_lo
	;; [unrolled: 33-line block ×5, first 2 shown]
	s_cbranch_execz .LBB1516_33
; %bb.32:
	v_dual_add_nc_u32 v13, s5, v44 :: v_dual_add_nc_u32 v15, s7, v44
	s_delay_alu instid0(VALU_DEP_1) | instskip(NEXT) | instid1(VALU_DEP_2)
	v_mul_lo_u32 v13, v13, s4
	v_mul_lo_u32 v15, v15, s6
	s_delay_alu instid0(VALU_DEP_1) | instskip(NEXT) | instid1(VALU_DEP_1)
	v_sub_nc_u32_e32 v13, v13, v15
	v_cmp_lt_u32_e32 vcc_lo, s3, v13
	v_cndmask_b32_e64 v13, 0, 1, vcc_lo
.LBB1516_33:
	s_or_b32 exec_lo, exec_lo, s0
	v_add_nc_u32_e32 v15, 11, v23
	s_mov_b32 s0, exec_lo
	s_delay_alu instid0(VALU_DEP_1)
	v_cmpx_gt_u32_e64 s22, v15
	s_cbranch_execz .LBB1516_35
; %bb.34:
	v_dual_add_nc_u32 v14, s5, v45 :: v_dual_add_nc_u32 v15, s7, v45
	s_delay_alu instid0(VALU_DEP_1) | instskip(NEXT) | instid1(VALU_DEP_2)
	v_mul_lo_u32 v14, v14, s4
	v_mul_lo_u32 v15, v15, s6
	s_delay_alu instid0(VALU_DEP_1) | instskip(NEXT) | instid1(VALU_DEP_1)
	v_sub_nc_u32_e32 v14, v14, v15
	v_cmp_lt_u32_e32 vcc_lo, s3, v14
	v_cndmask_b32_e64 v14, 0, 1, vcc_lo
.LBB1516_35:
	s_or_b32 exec_lo, exec_lo, s0
	v_dual_add_nc_u32 v15, 12, v23 :: v_dual_mov_b32 v25, 0
	s_mov_b32 s0, exec_lo
	s_delay_alu instid0(VALU_DEP_1)
	v_cmpx_gt_u32_e64 s22, v15
	s_cbranch_execz .LBB1516_37
; %bb.36:
	v_dual_add_nc_u32 v15, s7, v1 :: v_dual_add_nc_u32 v16, s5, v1
	s_delay_alu instid0(VALU_DEP_1) | instskip(NEXT) | instid1(VALU_DEP_2)
	v_mul_lo_u32 v15, v15, s6
	v_mul_lo_u32 v16, v16, s4
	s_delay_alu instid0(VALU_DEP_1) | instskip(NEXT) | instid1(VALU_DEP_1)
	v_sub_nc_u32_e32 v15, v16, v15
	v_cmp_lt_u32_e32 vcc_lo, s3, v15
	v_cndmask_b32_e64 v25, 0, 1, vcc_lo
.LBB1516_37:
	s_or_b32 exec_lo, exec_lo, s0
	v_lshlrev_b16 v6, 8, v6
	v_lshlrev_b16 v8, 8, v8
	;; [unrolled: 1-line block ×5, first 2 shown]
	v_or_b32_e32 v5, v5, v6
	v_or_b32_e32 v6, v7, v8
	;; [unrolled: 1-line block ×3, first 2 shown]
	s_delay_alu instid0(VALU_DEP_1) | instskip(NEXT) | instid1(VALU_DEP_4)
	v_dual_lshlrev_b32 v7, 16, v7 :: v_dual_bitop2_b32 v8, v11, v12 bitop3:0x54
	v_dual_lshlrev_b32 v5, 16, v5 :: v_dual_bitop2_b32 v2, v2, v3 bitop3:0x54
	v_lshlrev_b16 v3, 8, v14
	s_delay_alu instid0(VALU_DEP_3) | instskip(NEXT) | instid1(VALU_DEP_3)
	v_and_b32_e32 v8, 0xffff, v8
	v_and_b32_e32 v2, 0xffff, v2
	s_delay_alu instid0(VALU_DEP_3) | instskip(NEXT) | instid1(VALU_DEP_1)
	v_or_b32_e32 v3, v13, v3
	v_dual_lshlrev_b32 v3, 16, v3 :: v_dual_bitop2_b32 v35, v2, v5 bitop3:0x54
	v_and_b32_e32 v6, 0xffff, v6
	s_delay_alu instid0(VALU_DEP_2) | instskip(NEXT) | instid1(VALU_DEP_2)
	v_or_b32_e32 v27, v8, v3
	v_or_b32_e32 v31, v6, v7
.LBB1516_38:
	s_delay_alu instid0(VALU_DEP_4) | instskip(SKIP_2) | instid1(VALU_DEP_4)
	v_bfe_u32 v39, v35, 16, 8
	v_bfe_u32 v41, v35, 8, 8
	v_and_b32_e32 v57, 0xff, v35
	v_and_b32_e32 v58, 0xff, v31
	v_mbcnt_lo_u32_b32 v64, -1, 0
	v_lshrrev_b32_e32 v37, 24, v35
	v_bfe_u32 v59, v31, 16, 8
	v_add3_u32 v2, v41, v57, v39
	v_bfe_u32 v60, v31, 8, 8
	v_dual_lshrrev_b32 v33, 24, v31 :: v_dual_bitop2_b32 v5, 15, v64 bitop3:0x40
	v_lshrrev_b32_e32 v65, 5, v0
	s_delay_alu instid0(VALU_DEP_4)
	v_add3_u32 v2, v2, v37, v58
	v_and_b32_e32 v61, 0xff, v27
	v_bfe_u32 v62, v27, 16, 8
	v_bfe_u32 v63, v27, 8, 8
	v_dual_lshrrev_b32 v29, 24, v27 :: v_dual_bitop2_b32 v6, 31, v0 bitop3:0x54
	v_add3_u32 v2, v2, v60, v59
	v_and_b32_e32 v3, 0xff, v25
	v_and_b32_e32 v7, 16, v64
	v_cmp_ne_u32_e32 vcc_lo, 0, v4
	v_cmp_eq_u32_e64 s6, 0, v5
	v_add3_u32 v2, v2, v33, v61
	v_cmp_lt_u32_e64 s5, 1, v5
	v_cmp_lt_u32_e64 s4, 3, v5
	;; [unrolled: 1-line block ×3, first 2 shown]
	v_cmp_eq_u32_e64 s1, 0, v7
	v_add3_u32 v2, v2, v63, v62
	v_cmp_eq_u32_e64 s0, v0, v6
	s_mov_b32 s7, -1
	v_add3_u32 v66, v2, v29, v3
	s_cbranch_vccz .LBB1516_60
; %bb.39:
	s_delay_alu instid0(VALU_DEP_1) | instskip(NEXT) | instid1(VALU_DEP_1)
	v_mov_b32_dpp v2, v66 row_shr:1 row_mask:0xf bank_mask:0xf
	v_cndmask_b32_e64 v2, v2, 0, s6
	s_delay_alu instid0(VALU_DEP_1) | instskip(NEXT) | instid1(VALU_DEP_1)
	v_add_nc_u32_e32 v2, v2, v66
	v_mov_b32_dpp v3, v2 row_shr:2 row_mask:0xf bank_mask:0xf
	s_delay_alu instid0(VALU_DEP_1) | instskip(NEXT) | instid1(VALU_DEP_1)
	v_cndmask_b32_e64 v3, 0, v3, s5
	v_add_nc_u32_e32 v2, v2, v3
	s_delay_alu instid0(VALU_DEP_1) | instskip(NEXT) | instid1(VALU_DEP_1)
	v_mov_b32_dpp v3, v2 row_shr:4 row_mask:0xf bank_mask:0xf
	v_cndmask_b32_e64 v3, 0, v3, s4
	s_delay_alu instid0(VALU_DEP_1) | instskip(NEXT) | instid1(VALU_DEP_1)
	v_add_nc_u32_e32 v2, v2, v3
	v_mov_b32_dpp v3, v2 row_shr:8 row_mask:0xf bank_mask:0xf
	s_delay_alu instid0(VALU_DEP_1) | instskip(NEXT) | instid1(VALU_DEP_1)
	v_cndmask_b32_e64 v3, 0, v3, s3
	v_add_nc_u32_e32 v2, v2, v3
	ds_swizzle_b32 v3, v2 offset:swizzle(BROADCAST,32,15)
	s_wait_dscnt 0x0
	v_cndmask_b32_e64 v3, v3, 0, s1
	s_delay_alu instid0(VALU_DEP_1)
	v_add_nc_u32_e32 v2, v2, v3
	s_and_saveexec_b32 s7, s0
; %bb.40:
	v_lshlrev_b32_e32 v3, 2, v65
	ds_store_b32 v3, v2
; %bb.41:
	s_or_b32 exec_lo, exec_lo, s7
	s_delay_alu instid0(SALU_CYCLE_1)
	s_mov_b32 s7, exec_lo
	s_wait_dscnt 0x0
	s_barrier_signal -1
	s_barrier_wait -1
	v_cmpx_gt_u32_e32 8, v0
	s_cbranch_execz .LBB1516_43
; %bb.42:
	ds_load_b32 v3, v19
	s_wait_dscnt 0x0
	v_mov_b32_dpp v6, v3 row_shr:1 row_mask:0xf bank_mask:0xf
	v_and_b32_e32 v5, 7, v64
	s_delay_alu instid0(VALU_DEP_1) | instskip(NEXT) | instid1(VALU_DEP_3)
	v_cmp_ne_u32_e32 vcc_lo, 0, v5
	v_cndmask_b32_e32 v6, 0, v6, vcc_lo
	v_cmp_lt_u32_e32 vcc_lo, 1, v5
	s_delay_alu instid0(VALU_DEP_2) | instskip(NEXT) | instid1(VALU_DEP_1)
	v_add_nc_u32_e32 v3, v6, v3
	v_mov_b32_dpp v6, v3 row_shr:2 row_mask:0xf bank_mask:0xf
	s_delay_alu instid0(VALU_DEP_1) | instskip(SKIP_1) | instid1(VALU_DEP_2)
	v_cndmask_b32_e32 v6, 0, v6, vcc_lo
	v_cmp_lt_u32_e32 vcc_lo, 3, v5
	v_add_nc_u32_e32 v3, v3, v6
	s_delay_alu instid0(VALU_DEP_1) | instskip(NEXT) | instid1(VALU_DEP_1)
	v_mov_b32_dpp v6, v3 row_shr:4 row_mask:0xf bank_mask:0xf
	v_cndmask_b32_e32 v5, 0, v6, vcc_lo
	s_delay_alu instid0(VALU_DEP_1)
	v_add_nc_u32_e32 v3, v3, v5
	ds_store_b32 v19, v3
.LBB1516_43:
	s_or_b32 exec_lo, exec_lo, s7
	s_delay_alu instid0(SALU_CYCLE_1)
	s_mov_b32 s8, exec_lo
	v_cmp_gt_u32_e32 vcc_lo, 32, v0
	s_wait_dscnt 0x0
	s_barrier_signal -1
	s_barrier_wait -1
                                        ; implicit-def: $vgpr10
	v_cmpx_lt_u32_e32 31, v0
	s_cbranch_execz .LBB1516_45
; %bb.44:
	v_lshl_add_u32 v3, v65, 2, -4
	ds_load_b32 v10, v3
	s_wait_dscnt 0x0
	v_add_nc_u32_e32 v2, v10, v2
.LBB1516_45:
	s_or_b32 exec_lo, exec_lo, s8
	v_sub_co_u32 v3, s7, v64, 1
	s_delay_alu instid0(VALU_DEP_1) | instskip(NEXT) | instid1(VALU_DEP_1)
	v_cmp_gt_i32_e64 s8, 0, v3
	v_cndmask_b32_e64 v3, v3, v64, s8
	s_delay_alu instid0(VALU_DEP_1)
	v_lshlrev_b32_e32 v3, 2, v3
	ds_bpermute_b32 v11, v3, v2
	s_and_saveexec_b32 s8, vcc_lo
	s_cbranch_execz .LBB1516_65
; %bb.46:
	v_dual_mov_b32 v9, 0 :: v_dual_add_nc_u32 v12, 32, v4
	ds_load_b32 v2, v9 offset:28
	s_and_saveexec_b32 s15, s7
	s_cbranch_execz .LBB1516_48
; %bb.47:
	v_mov_b32_e32 v3, 1
	s_wait_dscnt 0x0
	global_store_b64 v12, v[2:3], s[20:21] scale_offset scope:SCOPE_DEV
.LBB1516_48:
	s_wait_xcnt 0x0
	s_or_b32 exec_lo, exec_lo, s15
	v_xad_u32 v4, v64, -1, v4
	s_mov_b32 s23, 0
	s_mov_b32 s15, exec_lo
	s_delay_alu instid0(VALU_DEP_1) | instskip(SKIP_4) | instid1(VALU_DEP_1)
	v_add_nc_u32_e32 v8, 32, v4
	global_load_b64 v[6:7], v8, s[20:21] scale_offset scope:SCOPE_DEV
	s_wait_loadcnt 0x0
	v_and_b32_e32 v3, 0xff, v7
	s_wait_xcnt 0x0
	v_cmpx_eq_u16_e32 0, v3
	s_cbranch_execz .LBB1516_52
; %bb.49:
	v_lshl_add_u64 v[8:9], v[8:9], 3, s[20:21]
.LBB1516_50:                            ; =>This Inner Loop Header: Depth=1
	global_load_b64 v[6:7], v[8:9], off scope:SCOPE_DEV
	s_wait_loadcnt 0x0
	v_and_b32_e32 v3, 0xff, v7
	s_delay_alu instid0(VALU_DEP_1)
	v_cmp_ne_u16_e32 vcc_lo, 0, v3
	s_or_b32 s23, vcc_lo, s23
	s_wait_xcnt 0x0
	s_and_not1_b32 exec_lo, exec_lo, s23
	s_cbranch_execnz .LBB1516_50
; %bb.51:
	s_or_b32 exec_lo, exec_lo, s23
.LBB1516_52:
	s_delay_alu instid0(SALU_CYCLE_1)
	s_or_b32 exec_lo, exec_lo, s15
	v_cmp_ne_u32_e32 vcc_lo, 31, v64
	v_lshlrev_b32_e64 v14, v64, -1
	v_lshl_or_b32 v69, v64, 2, 64
	v_dual_add_nc_u32 v16, 2, v64 :: v_dual_add_nc_u32 v56, 4, v64
	v_add_co_ci_u32_e64 v3, null, 0, v64, vcc_lo
	v_dual_add_nc_u32 v68, 8, v64 :: v_dual_add_nc_u32 v70, 16, v64
	s_delay_alu instid0(VALU_DEP_2)
	v_lshlrev_b32_e32 v13, 2, v3
	v_and_b32_e32 v3, 0xff, v7
	ds_bpermute_b32 v5, v13, v6
	v_cmp_eq_u16_e32 vcc_lo, 2, v3
	v_and_or_b32 v3, vcc_lo, v14, 0x80000000
	v_cmp_gt_u32_e32 vcc_lo, 30, v64
	s_delay_alu instid0(VALU_DEP_2) | instskip(SKIP_1) | instid1(VALU_DEP_2)
	v_ctz_i32_b32_e32 v3, v3
	v_cndmask_b32_e64 v8, 0, 2, vcc_lo
	v_cmp_lt_u32_e32 vcc_lo, v64, v3
	s_delay_alu instid0(VALU_DEP_2) | instskip(SKIP_3) | instid1(VALU_DEP_2)
	v_add_lshl_u32 v15, v8, v64, 2
	s_wait_dscnt 0x0
	v_cndmask_b32_e32 v5, 0, v5, vcc_lo
	v_cmp_gt_u32_e32 vcc_lo, 28, v64
	v_add_nc_u32_e32 v5, v5, v6
	v_cndmask_b32_e64 v8, 0, 4, vcc_lo
	v_cmp_le_u32_e32 vcc_lo, v16, v3
	ds_bpermute_b32 v6, v15, v5
	v_add_lshl_u32 v17, v8, v64, 2
	s_wait_dscnt 0x0
	v_cndmask_b32_e32 v6, 0, v6, vcc_lo
	v_cmp_gt_u32_e32 vcc_lo, 24, v64
	v_cndmask_b32_e64 v8, 0, 8, vcc_lo
	v_cmp_le_u32_e32 vcc_lo, v56, v3
	s_delay_alu instid0(VALU_DEP_4) | instskip(NEXT) | instid1(VALU_DEP_3)
	v_add_nc_u32_e32 v5, v5, v6
	v_add_lshl_u32 v67, v8, v64, 2
	ds_bpermute_b32 v6, v17, v5
	s_wait_dscnt 0x0
	v_cndmask_b32_e32 v6, 0, v6, vcc_lo
	v_cmp_le_u32_e32 vcc_lo, v68, v3
	s_delay_alu instid0(VALU_DEP_2) | instskip(SKIP_4) | instid1(VALU_DEP_2)
	v_add_nc_u32_e32 v5, v5, v6
	ds_bpermute_b32 v6, v67, v5
	s_wait_dscnt 0x0
	v_cndmask_b32_e32 v6, 0, v6, vcc_lo
	v_cmp_le_u32_e32 vcc_lo, v70, v3
	v_add_nc_u32_e32 v5, v5, v6
	ds_bpermute_b32 v6, v69, v5
	s_wait_dscnt 0x0
	v_cndmask_b32_e32 v3, 0, v6, vcc_lo
	s_delay_alu instid0(VALU_DEP_1)
	v_dual_mov_b32 v5, 0 :: v_dual_add_nc_u32 v6, v5, v3
	s_branch .LBB1516_56
.LBB1516_53:                            ;   in Loop: Header=BB1516_56 Depth=1
	s_or_b32 exec_lo, exec_lo, s23
.LBB1516_54:                            ;   in Loop: Header=BB1516_56 Depth=1
	s_delay_alu instid0(SALU_CYCLE_1)
	s_or_b32 exec_lo, exec_lo, s15
	v_and_b32_e32 v8, 0xff, v7
	ds_bpermute_b32 v9, v13, v6
	v_subrev_nc_u32_e32 v4, 32, v4
	s_mov_b32 s15, 0
	v_cmp_eq_u16_e32 vcc_lo, 2, v8
	v_and_or_b32 v8, vcc_lo, v14, 0x80000000
	s_delay_alu instid0(VALU_DEP_1) | instskip(NEXT) | instid1(VALU_DEP_1)
	v_ctz_i32_b32_e32 v8, v8
	v_cmp_lt_u32_e32 vcc_lo, v64, v8
	s_wait_dscnt 0x0
	v_cndmask_b32_e32 v9, 0, v9, vcc_lo
	v_cmp_le_u32_e32 vcc_lo, v16, v8
	s_delay_alu instid0(VALU_DEP_2) | instskip(SKIP_4) | instid1(VALU_DEP_2)
	v_add_nc_u32_e32 v6, v9, v6
	ds_bpermute_b32 v9, v15, v6
	s_wait_dscnt 0x0
	v_cndmask_b32_e32 v9, 0, v9, vcc_lo
	v_cmp_le_u32_e32 vcc_lo, v56, v8
	v_add_nc_u32_e32 v6, v6, v9
	ds_bpermute_b32 v9, v17, v6
	s_wait_dscnt 0x0
	v_cndmask_b32_e32 v9, 0, v9, vcc_lo
	v_cmp_le_u32_e32 vcc_lo, v68, v8
	s_delay_alu instid0(VALU_DEP_2) | instskip(SKIP_4) | instid1(VALU_DEP_2)
	v_add_nc_u32_e32 v6, v6, v9
	ds_bpermute_b32 v9, v67, v6
	s_wait_dscnt 0x0
	v_cndmask_b32_e32 v9, 0, v9, vcc_lo
	v_cmp_le_u32_e32 vcc_lo, v70, v8
	v_add_nc_u32_e32 v6, v6, v9
	ds_bpermute_b32 v9, v69, v6
	s_wait_dscnt 0x0
	v_cndmask_b32_e32 v8, 0, v9, vcc_lo
	s_delay_alu instid0(VALU_DEP_1)
	v_add3_u32 v6, v8, v3, v6
.LBB1516_55:                            ;   in Loop: Header=BB1516_56 Depth=1
	s_and_b32 vcc_lo, exec_lo, s15
	s_cbranch_vccnz .LBB1516_61
.LBB1516_56:                            ; =>This Loop Header: Depth=1
                                        ;     Child Loop BB1516_59 Depth 2
	v_and_b32_e32 v3, 0xff, v7
	s_mov_b32 s15, -1
                                        ; implicit-def: $vgpr7
	s_delay_alu instid0(VALU_DEP_1)
	v_cmp_ne_u16_e32 vcc_lo, 2, v3
	v_mov_b32_e32 v3, v6
                                        ; implicit-def: $vgpr6
	s_cmp_lg_u32 vcc_lo, exec_lo
	s_cbranch_scc1 .LBB1516_55
; %bb.57:                               ;   in Loop: Header=BB1516_56 Depth=1
	global_load_b64 v[6:7], v4, s[20:21] scale_offset scope:SCOPE_DEV
	s_mov_b32 s15, exec_lo
	s_wait_loadcnt 0x0
	v_and_b32_e32 v8, 0xff, v7
	s_wait_xcnt 0x0
	s_delay_alu instid0(VALU_DEP_1)
	v_cmpx_eq_u16_e32 0, v8
	s_cbranch_execz .LBB1516_54
; %bb.58:                               ;   in Loop: Header=BB1516_56 Depth=1
	v_lshl_add_u64 v[8:9], v[4:5], 3, s[20:21]
	s_mov_b32 s23, 0
.LBB1516_59:                            ;   Parent Loop BB1516_56 Depth=1
                                        ; =>  This Inner Loop Header: Depth=2
	global_load_b64 v[6:7], v[8:9], off scope:SCOPE_DEV
	s_wait_loadcnt 0x0
	v_and_b32_e32 v71, 0xff, v7
	s_delay_alu instid0(VALU_DEP_1)
	v_cmp_ne_u16_e32 vcc_lo, 0, v71
	s_or_b32 s23, vcc_lo, s23
	s_wait_xcnt 0x0
	s_and_not1_b32 exec_lo, exec_lo, s23
	s_cbranch_execnz .LBB1516_59
	s_branch .LBB1516_53
.LBB1516_60:
                                        ; implicit-def: $vgpr2_vgpr3_vgpr4_vgpr5_vgpr6_vgpr7_vgpr8_vgpr9_vgpr10_vgpr11_vgpr12_vgpr13_vgpr14_vgpr15_vgpr16_vgpr17
                                        ; implicit-def: $vgpr56
                                        ; implicit-def: $vgpr16
	s_and_b32 vcc_lo, exec_lo, s7
	s_cbranch_vccnz .LBB1516_66
	s_branch .LBB1516_75
.LBB1516_61:
	s_and_saveexec_b32 s15, s7
	s_cbranch_execz .LBB1516_63
; %bb.62:
	v_dual_mov_b32 v5, 2 :: v_dual_add_nc_u32 v4, v3, v2
	v_mov_b32_e32 v6, 0
	global_store_b64 v12, v[4:5], s[20:21] scale_offset scope:SCOPE_DEV
	ds_store_b64 v6, v[2:3] offset:13312
.LBB1516_63:
	s_wait_xcnt 0x0
	s_or_b32 exec_lo, exec_lo, s15
	s_delay_alu instid0(SALU_CYCLE_1)
	s_and_b32 exec_lo, exec_lo, s2
; %bb.64:
	v_mov_b32_e32 v2, 0
	ds_store_b32 v2, v3 offset:28
.LBB1516_65:
	s_or_b32 exec_lo, exec_lo, s8
	s_wait_dscnt 0x0
	v_dual_mov_b32 v12, 0 :: v_dual_cndmask_b32 v3, v11, v10, s7
	s_wait_storecnt 0x0
	s_barrier_signal -1
	s_barrier_wait -1
	ds_load_b32 v2, v12 offset:28
	v_cndmask_b32_e64 v3, v3, 0, s2
	s_wait_dscnt 0x0
	s_barrier_signal -1
	s_barrier_wait -1
	ds_load_b64 v[16:17], v12 offset:13312
	v_add_nc_u32_e32 v2, v2, v3
	s_wait_dscnt 0x0
	s_delay_alu instid0(VALU_DEP_1) | instskip(NEXT) | instid1(VALU_DEP_1)
	v_dual_mov_b32 v56, v17 :: v_dual_add_nc_u32 v3, v2, v57
	v_add_nc_u32_e32 v4, v3, v41
	s_delay_alu instid0(VALU_DEP_1) | instskip(NEXT) | instid1(VALU_DEP_1)
	v_add_nc_u32_e32 v5, v4, v39
	v_add_nc_u32_e32 v6, v5, v37
	s_delay_alu instid0(VALU_DEP_1) | instskip(NEXT) | instid1(VALU_DEP_1)
	v_add_nc_u32_e32 v7, v6, v58
	;; [unrolled: 3-line block ×5, first 2 shown]
	v_add_nc_u32_e32 v14, v13, v29
	s_branch .LBB1516_75
.LBB1516_66:
	v_mov_b32_dpp v2, v66 row_shr:1 row_mask:0xf bank_mask:0xf
	s_delay_alu instid0(VALU_DEP_1) | instskip(NEXT) | instid1(VALU_DEP_1)
	v_cndmask_b32_e64 v2, v2, 0, s6
	v_add_nc_u32_e32 v2, v2, v66
	s_delay_alu instid0(VALU_DEP_1) | instskip(NEXT) | instid1(VALU_DEP_1)
	v_mov_b32_dpp v3, v2 row_shr:2 row_mask:0xf bank_mask:0xf
	v_cndmask_b32_e64 v3, 0, v3, s5
	s_delay_alu instid0(VALU_DEP_1) | instskip(NEXT) | instid1(VALU_DEP_1)
	v_add_nc_u32_e32 v2, v2, v3
	v_mov_b32_dpp v3, v2 row_shr:4 row_mask:0xf bank_mask:0xf
	s_delay_alu instid0(VALU_DEP_1) | instskip(NEXT) | instid1(VALU_DEP_1)
	v_cndmask_b32_e64 v3, 0, v3, s4
	v_add_nc_u32_e32 v2, v2, v3
	s_delay_alu instid0(VALU_DEP_1) | instskip(NEXT) | instid1(VALU_DEP_1)
	v_mov_b32_dpp v3, v2 row_shr:8 row_mask:0xf bank_mask:0xf
	v_cndmask_b32_e64 v3, 0, v3, s3
	s_delay_alu instid0(VALU_DEP_1) | instskip(SKIP_3) | instid1(VALU_DEP_1)
	v_add_nc_u32_e32 v2, v2, v3
	ds_swizzle_b32 v3, v2 offset:swizzle(BROADCAST,32,15)
	s_wait_dscnt 0x0
	v_cndmask_b32_e64 v3, v3, 0, s1
	v_add_nc_u32_e32 v2, v2, v3
	s_and_saveexec_b32 s1, s0
; %bb.67:
	v_lshlrev_b32_e32 v3, 2, v65
	ds_store_b32 v3, v2
; %bb.68:
	s_or_b32 exec_lo, exec_lo, s1
	s_delay_alu instid0(SALU_CYCLE_1)
	s_mov_b32 s0, exec_lo
	s_wait_dscnt 0x0
	s_barrier_signal -1
	s_barrier_wait -1
	v_cmpx_gt_u32_e32 8, v0
	s_cbranch_execz .LBB1516_70
; %bb.69:
	ds_load_b32 v3, v19
	s_wait_dscnt 0x0
	v_mov_b32_dpp v5, v3 row_shr:1 row_mask:0xf bank_mask:0xf
	v_and_b32_e32 v4, 7, v64
	s_delay_alu instid0(VALU_DEP_1) | instskip(NEXT) | instid1(VALU_DEP_3)
	v_cmp_ne_u32_e32 vcc_lo, 0, v4
	v_cndmask_b32_e32 v5, 0, v5, vcc_lo
	v_cmp_lt_u32_e32 vcc_lo, 1, v4
	s_delay_alu instid0(VALU_DEP_2) | instskip(NEXT) | instid1(VALU_DEP_1)
	v_add_nc_u32_e32 v3, v5, v3
	v_mov_b32_dpp v5, v3 row_shr:2 row_mask:0xf bank_mask:0xf
	s_delay_alu instid0(VALU_DEP_1) | instskip(SKIP_1) | instid1(VALU_DEP_2)
	v_cndmask_b32_e32 v5, 0, v5, vcc_lo
	v_cmp_lt_u32_e32 vcc_lo, 3, v4
	v_add_nc_u32_e32 v3, v3, v5
	s_delay_alu instid0(VALU_DEP_1) | instskip(NEXT) | instid1(VALU_DEP_1)
	v_mov_b32_dpp v5, v3 row_shr:4 row_mask:0xf bank_mask:0xf
	v_cndmask_b32_e32 v4, 0, v5, vcc_lo
	s_delay_alu instid0(VALU_DEP_1)
	v_add_nc_u32_e32 v3, v3, v4
	ds_store_b32 v19, v3
.LBB1516_70:
	s_or_b32 exec_lo, exec_lo, s0
	v_dual_mov_b32 v4, 0 :: v_dual_mov_b32 v3, 0
	s_mov_b32 s0, exec_lo
	s_wait_dscnt 0x0
	s_barrier_signal -1
	s_barrier_wait -1
	v_cmpx_lt_u32_e32 31, v0
; %bb.71:
	v_lshl_add_u32 v3, v65, 2, -4
	ds_load_b32 v3, v3
; %bb.72:
	s_or_b32 exec_lo, exec_lo, s0
	v_sub_co_u32 v5, vcc_lo, v64, 1
	ds_load_b32 v16, v4 offset:28
	s_wait_dscnt 0x1
	v_add_nc_u32_e32 v2, v3, v2
	v_cmp_gt_i32_e64 s0, 0, v5
	s_delay_alu instid0(VALU_DEP_1) | instskip(NEXT) | instid1(VALU_DEP_1)
	v_cndmask_b32_e64 v5, v5, v64, s0
	v_lshlrev_b32_e32 v5, 2, v5
	ds_bpermute_b32 v2, v5, v2
	s_and_saveexec_b32 s0, s2
	s_cbranch_execz .LBB1516_74
; %bb.73:
	v_dual_mov_b32 v4, 0 :: v_dual_mov_b32 v17, 2
	s_wait_dscnt 0x1
	global_store_b64 v4, v[16:17], s[20:21] offset:256 scope:SCOPE_DEV
.LBB1516_74:
	s_wait_xcnt 0x0
	s_or_b32 exec_lo, exec_lo, s0
	s_wait_dscnt 0x0
	v_cndmask_b32_e32 v2, v2, v3, vcc_lo
	s_wait_storecnt 0x0
	s_barrier_signal -1
	s_barrier_wait -1
	s_delay_alu instid0(VALU_DEP_1) | instskip(NEXT) | instid1(VALU_DEP_1)
	v_cndmask_b32_e64 v2, v2, 0, s2
	v_dual_mov_b32 v56, 0 :: v_dual_add_nc_u32 v3, v2, v57
	s_delay_alu instid0(VALU_DEP_1) | instskip(NEXT) | instid1(VALU_DEP_1)
	v_add_nc_u32_e32 v4, v3, v41
	v_add_nc_u32_e32 v5, v4, v39
	s_delay_alu instid0(VALU_DEP_1) | instskip(NEXT) | instid1(VALU_DEP_1)
	v_add_nc_u32_e32 v6, v5, v37
	v_add_nc_u32_e32 v7, v6, v58
	;; [unrolled: 3-line block ×5, first 2 shown]
	s_delay_alu instid0(VALU_DEP_1)
	v_add_nc_u32_e32 v14, v13, v29
.LBB1516_75:
	v_dual_lshrrev_b32 v57, 16, v35 :: v_dual_lshrrev_b32 v58, 8, v35
	v_dual_add_nc_u32 v23, v16, v23 :: v_dual_sub_nc_u32 v3, v3, v56
	v_dual_sub_nc_u32 v2, v2, v56 :: v_dual_bitop2_b32 v35, 1, v35 bitop3:0x40
	s_delay_alu instid0(VALU_DEP_3) | instskip(NEXT) | instid1(VALU_DEP_3)
	v_dual_sub_nc_u32 v4, v4, v56 :: v_dual_bitop2_b32 v58, 1, v58 bitop3:0x40
	v_dual_sub_nc_u32 v59, v23, v3 :: v_dual_bitop2_b32 v57, 1, v57 bitop3:0x40
	s_delay_alu instid0(VALU_DEP_3) | instskip(NEXT) | instid1(VALU_DEP_4)
	v_dual_sub_nc_u32 v60, v23, v2 :: v_dual_sub_nc_u32 v5, v5, v56
	v_cmp_eq_u32_e32 vcc_lo, 1, v35
	s_delay_alu instid0(VALU_DEP_3) | instskip(SKIP_1) | instid1(VALU_DEP_4)
	v_dual_sub_nc_u32 v61, v23, v4 :: v_dual_add_nc_u32 v59, 1, v59
	v_dual_lshrrev_b32 v41, 8, v31 :: v_dual_lshrrev_b32 v39, 16, v31
	v_cndmask_b32_e32 v2, v60, v2, vcc_lo
	v_cmp_eq_u32_e32 vcc_lo, 1, v58
	v_dual_lshrrev_b32 v15, 16, v27 :: v_dual_lshrrev_b32 v17, 8, v27
	v_cndmask_b32_e32 v3, v59, v3, vcc_lo
	s_delay_alu instid0(VALU_DEP_4)
	v_dual_sub_nc_u32 v35, v23, v5 :: v_dual_lshlrev_b32 v2, 2, v2
	v_and_b32_e32 v37, 1, v37
	v_add_nc_u32_e32 v58, 2, v61
	v_cmp_eq_u32_e32 vcc_lo, 1, v57
	v_lshlrev_b32_e32 v3, 2, v3
	v_add_nc_u32_e32 v35, 3, v35
	ds_store_b32 v2, v54
	ds_store_b32 v3, v55
	v_cndmask_b32_e32 v4, v58, v4, vcc_lo
	v_cmp_eq_u32_e32 vcc_lo, 1, v37
	v_dual_cndmask_b32 v5, v35, v5 :: v_dual_sub_nc_u32 v6, v6, v56
	s_delay_alu instid0(VALU_DEP_1) | instskip(NEXT) | instid1(VALU_DEP_2)
	v_dual_lshlrev_b32 v3, 2, v4 :: v_dual_lshlrev_b32 v4, 2, v5
	v_sub_nc_u32_e32 v2, v23, v6
	v_dual_sub_nc_u32 v5, v7, v56 :: v_dual_bitop2_b32 v7, 1, v31 bitop3:0x40
	s_delay_alu instid0(VALU_DEP_2)
	v_add_nc_u32_e32 v2, 4, v2
	ds_store_b32 v3, v52
	ds_store_b32 v4, v53
	v_cmp_eq_u32_e32 vcc_lo, 1, v7
	v_dual_sub_nc_u32 v4, v8, v56 :: v_dual_cndmask_b32 v2, v2, v6, vcc_lo
	v_sub_nc_u32_e32 v3, v23, v5
	v_dual_sub_nc_u32 v7, v9, v56 :: v_dual_bitop2_b32 v6, 1, v41 bitop3:0x40
	s_delay_alu instid0(VALU_DEP_2) | instskip(NEXT) | instid1(VALU_DEP_2)
	v_dual_lshlrev_b32 v2, 2, v2 :: v_dual_add_nc_u32 v3, 5, v3
	v_cmp_eq_u32_e32 vcc_lo, 1, v6
	v_dual_sub_nc_u32 v8, v23, v4 :: v_dual_bitop2_b32 v6, 1, v39 bitop3:0x40
	ds_store_b32 v2, v50
	v_and_b32_e32 v2, 1, v33
	v_cndmask_b32_e32 v3, v3, v5, vcc_lo
	v_dual_sub_nc_u32 v5, v23, v7 :: v_dual_add_nc_u32 v8, 6, v8
	v_cmp_eq_u32_e32 vcc_lo, 1, v6
	s_delay_alu instid0(VALU_DEP_3) | instskip(NEXT) | instid1(VALU_DEP_3)
	v_dual_sub_nc_u32 v6, v11, v56 :: v_dual_lshlrev_b32 v3, 2, v3
	v_dual_cndmask_b32 v4, v8, v4 :: v_dual_add_nc_u32 v5, 7, v5
	v_cmp_eq_u32_e32 vcc_lo, 1, v2
	ds_store_b32 v3, v51
	v_dual_sub_nc_u32 v3, v23, v6 :: v_dual_sub_nc_u32 v8, v14, v56
	v_dual_lshlrev_b32 v4, 2, v4 :: v_dual_cndmask_b32 v2, v5, v7, vcc_lo
	v_dual_sub_nc_u32 v5, v10, v56 :: v_dual_bitop2_b32 v7, 1, v17 bitop3:0x40
	s_delay_alu instid0(VALU_DEP_3)
	v_add_nc_u32_e32 v3, 9, v3
	ds_store_b32 v4, v48
	v_dual_lshlrev_b32 v2, 2, v2 :: v_dual_sub_nc_u32 v4, v23, v5
	v_cmp_eq_u32_e32 vcc_lo, 1, v7
	v_sub_nc_u32_e32 v7, v12, v56
	v_sub_nc_u32_e32 v9, v23, v8
	ds_store_b32 v2, v49
	v_dual_add_nc_u32 v4, 8, v4 :: v_dual_bitop2_b32 v2, 1, v27 bitop3:0x40
	v_dual_cndmask_b32 v3, v3, v6 :: v_dual_sub_nc_u32 v6, v13, v56
	s_delay_alu instid0(VALU_DEP_2) | instskip(NEXT) | instid1(VALU_DEP_2)
	v_cmp_eq_u32_e32 vcc_lo, 1, v2
	v_dual_cndmask_b32 v2, v4, v5, vcc_lo :: v_dual_sub_nc_u32 v4, v23, v6
	v_and_b32_e32 v10, 1, v15
	v_dual_sub_nc_u32 v5, v23, v7 :: v_dual_bitop2_b32 v12, 1, v25 bitop3:0x40
	s_delay_alu instid0(VALU_DEP_3) | instskip(SKIP_1) | instid1(VALU_DEP_1)
	v_dual_lshlrev_b32 v2, 2, v2 :: v_dual_add_nc_u32 v4, 11, v4
	v_and_b32_e32 v11, 1, v29
	v_cmp_eq_u32_e32 vcc_lo, 1, v11
	s_delay_alu instid0(VALU_DEP_3) | instskip(SKIP_3) | instid1(VALU_DEP_1)
	v_cndmask_b32_e32 v4, v4, v6, vcc_lo
	v_cmp_eq_u32_e32 vcc_lo, 1, v10
	v_add_nc_u32_e32 v9, 12, v9
	v_add_nc_u32_e32 v5, 10, v5
	v_cndmask_b32_e32 v5, v5, v7, vcc_lo
	v_cmp_eq_u32_e32 vcc_lo, 1, v12
	s_delay_alu instid0(VALU_DEP_2) | instskip(SKIP_3) | instid1(VALU_DEP_3)
	v_dual_lshlrev_b32 v3, 2, v3 :: v_dual_lshlrev_b32 v5, 2, v5
	v_cndmask_b32_e32 v6, v9, v8, vcc_lo
	v_lshlrev_b32_e32 v4, 2, v4
	v_cmp_ne_u32_e32 vcc_lo, 1, v21
	v_lshlrev_b32_e32 v6, 2, v6
	ds_store_b32 v2, v46
	ds_store_b32 v3, v47
	;; [unrolled: 1-line block ×5, first 2 shown]
	s_wait_dscnt 0x0
	s_barrier_signal -1
	s_barrier_wait -1
	ds_load_2addr_stride64_b32 v[14:15], v19 offset1:4
	ds_load_2addr_stride64_b32 v[12:13], v19 offset0:8 offset1:12
	ds_load_2addr_stride64_b32 v[10:11], v19 offset0:16 offset1:20
	ds_load_2addr_stride64_b32 v[8:9], v19 offset0:24 offset1:28
	ds_load_2addr_stride64_b32 v[6:7], v19 offset0:32 offset1:36
	ds_load_2addr_stride64_b32 v[4:5], v19 offset0:40 offset1:44
	ds_load_b32 v46, v19 offset:12288
	v_mov_b32_e32 v1, 0
	s_and_b32 vcc_lo, exec_lo, vcc_lo
	s_delay_alu instid0(VALU_DEP_1) | instskip(SKIP_2) | instid1(VALU_DEP_3)
	v_dual_mov_b32 v29, v1 :: v_dual_mov_b32 v57, v1
	v_dual_mov_b32 v41, v1 :: v_dual_mov_b32 v39, v1
	;; [unrolled: 1-line block ×3, first 2 shown]
	v_add_nc_u64_e32 v[2:3], v[42:43], v[56:57]
	v_dual_mov_b32 v33, v1 :: v_dual_mov_b32 v31, v1
	v_dual_mov_b32 v27, v1 :: v_dual_mov_b32 v25, v1
	;; [unrolled: 1-line block ×3, first 2 shown]
	v_mov_b32_e32 v19, v1
	s_cbranch_vccnz .LBB1516_132
; %bb.76:
	v_mov_b32_e32 v17, v1
	s_mov_b32 s15, 0
	v_sub_nc_u64_e64 v[42:43], v[2:3], s[16:17]
	s_sub_nc_u64 s[0:1], s[18:19], s[14:15]
	s_delay_alu instid0(VALU_DEP_2) | instid1(SALU_CYCLE_1)
	v_add_nc_u64_e32 v[44:45], s[0:1], v[16:17]
	s_mov_b32 s0, exec_lo
	s_delay_alu instid0(VALU_DEP_1)
	v_add_nc_u64_e32 v[42:43], v[44:45], v[42:43]
                                        ; implicit-def: $vgpr44_vgpr45
	v_cmpx_ge_u32_e64 v0, v16
	s_xor_b32 s0, exec_lo, s0
; %bb.77:
	v_not_b32_e32 v44, v0
	s_delay_alu instid0(VALU_DEP_1) | instskip(NEXT) | instid1(VALU_DEP_1)
	v_ashrrev_i32_e32 v45, 31, v44
	v_add_nc_u64_e32 v[44:45], v[42:43], v[44:45]
; %bb.78:
	s_and_not1_saveexec_b32 s0, s0
; %bb.79:
	v_add_nc_u64_e32 v[44:45], v[2:3], v[0:1]
; %bb.80:
	s_or_b32 exec_lo, exec_lo, s0
	s_delay_alu instid0(VALU_DEP_1)
	v_lshl_add_u64 v[44:45], v[44:45], 2, s[10:11]
	s_mov_b32 s0, exec_lo
	s_wait_dscnt 0x6
	global_store_b32 v[44:45], v14, off
                                        ; implicit-def: $vgpr44_vgpr45
	s_wait_xcnt 0x0
	v_cmpx_ge_u32_e64 v40, v16
	s_xor_b32 s0, exec_lo, s0
; %bb.81:
	v_xor_b32_e32 v44, 0xfffffeff, v0
	s_delay_alu instid0(VALU_DEP_1) | instskip(NEXT) | instid1(VALU_DEP_1)
	v_ashrrev_i32_e32 v45, 31, v44
	v_add_nc_u64_e32 v[44:45], v[42:43], v[44:45]
; %bb.82:
	s_and_not1_saveexec_b32 s0, s0
; %bb.83:
	v_add_nc_u64_e32 v[44:45], v[2:3], v[40:41]
; %bb.84:
	s_or_b32 exec_lo, exec_lo, s0
	s_delay_alu instid0(VALU_DEP_1)
	v_lshl_add_u64 v[44:45], v[44:45], 2, s[10:11]
	s_mov_b32 s0, exec_lo
	global_store_b32 v[44:45], v15, off
                                        ; implicit-def: $vgpr44_vgpr45
	s_wait_xcnt 0x0
	v_cmpx_ge_u32_e64 v38, v16
	s_xor_b32 s0, exec_lo, s0
; %bb.85:
	v_xor_b32_e32 v44, 0xfffffdff, v0
	s_delay_alu instid0(VALU_DEP_1) | instskip(NEXT) | instid1(VALU_DEP_1)
	v_ashrrev_i32_e32 v45, 31, v44
	v_add_nc_u64_e32 v[44:45], v[42:43], v[44:45]
; %bb.86:
	s_and_not1_saveexec_b32 s0, s0
; %bb.87:
	v_add_nc_u64_e32 v[44:45], v[2:3], v[38:39]
; %bb.88:
	s_or_b32 exec_lo, exec_lo, s0
	s_delay_alu instid0(VALU_DEP_1)
	v_lshl_add_u64 v[44:45], v[44:45], 2, s[10:11]
	s_mov_b32 s0, exec_lo
	s_wait_dscnt 0x5
	global_store_b32 v[44:45], v12, off
                                        ; implicit-def: $vgpr44_vgpr45
	s_wait_xcnt 0x0
	v_cmpx_ge_u32_e64 v36, v16
	s_xor_b32 s0, exec_lo, s0
; %bb.89:
	v_xor_b32_e32 v44, 0xfffffcff, v0
	s_delay_alu instid0(VALU_DEP_1) | instskip(NEXT) | instid1(VALU_DEP_1)
	v_ashrrev_i32_e32 v45, 31, v44
	v_add_nc_u64_e32 v[44:45], v[42:43], v[44:45]
; %bb.90:
	s_and_not1_saveexec_b32 s0, s0
; %bb.91:
	v_add_nc_u64_e32 v[44:45], v[2:3], v[36:37]
; %bb.92:
	s_or_b32 exec_lo, exec_lo, s0
	s_delay_alu instid0(VALU_DEP_1)
	v_lshl_add_u64 v[44:45], v[44:45], 2, s[10:11]
	s_mov_b32 s0, exec_lo
	global_store_b32 v[44:45], v13, off
                                        ; implicit-def: $vgpr44_vgpr45
	s_wait_xcnt 0x0
	v_cmpx_ge_u32_e64 v34, v16
	s_xor_b32 s0, exec_lo, s0
; %bb.93:
	v_xor_b32_e32 v44, 0xfffffbff, v0
	s_delay_alu instid0(VALU_DEP_1) | instskip(NEXT) | instid1(VALU_DEP_1)
	v_ashrrev_i32_e32 v45, 31, v44
	v_add_nc_u64_e32 v[44:45], v[42:43], v[44:45]
; %bb.94:
	s_and_not1_saveexec_b32 s0, s0
; %bb.95:
	v_add_nc_u64_e32 v[44:45], v[2:3], v[34:35]
; %bb.96:
	s_or_b32 exec_lo, exec_lo, s0
	s_delay_alu instid0(VALU_DEP_1)
	v_lshl_add_u64 v[44:45], v[44:45], 2, s[10:11]
	s_mov_b32 s0, exec_lo
	s_wait_dscnt 0x4
	global_store_b32 v[44:45], v10, off
                                        ; implicit-def: $vgpr44_vgpr45
	s_wait_xcnt 0x0
	v_cmpx_ge_u32_e64 v32, v16
	s_xor_b32 s0, exec_lo, s0
; %bb.97:
	v_xor_b32_e32 v44, 0xfffffaff, v0
	s_delay_alu instid0(VALU_DEP_1) | instskip(NEXT) | instid1(VALU_DEP_1)
	v_ashrrev_i32_e32 v45, 31, v44
	v_add_nc_u64_e32 v[44:45], v[42:43], v[44:45]
; %bb.98:
	s_and_not1_saveexec_b32 s0, s0
; %bb.99:
	v_add_nc_u64_e32 v[44:45], v[2:3], v[32:33]
; %bb.100:
	s_or_b32 exec_lo, exec_lo, s0
	s_delay_alu instid0(VALU_DEP_1)
	v_lshl_add_u64 v[44:45], v[44:45], 2, s[10:11]
	s_mov_b32 s0, exec_lo
	global_store_b32 v[44:45], v11, off
                                        ; implicit-def: $vgpr44_vgpr45
	s_wait_xcnt 0x0
	v_cmpx_ge_u32_e64 v30, v16
	s_xor_b32 s0, exec_lo, s0
; %bb.101:
	v_xor_b32_e32 v44, 0xfffff9ff, v0
	s_delay_alu instid0(VALU_DEP_1) | instskip(NEXT) | instid1(VALU_DEP_1)
	v_ashrrev_i32_e32 v45, 31, v44
	v_add_nc_u64_e32 v[44:45], v[42:43], v[44:45]
; %bb.102:
	s_and_not1_saveexec_b32 s0, s0
; %bb.103:
	v_add_nc_u64_e32 v[44:45], v[2:3], v[30:31]
; %bb.104:
	s_or_b32 exec_lo, exec_lo, s0
	s_delay_alu instid0(VALU_DEP_1)
	v_lshl_add_u64 v[44:45], v[44:45], 2, s[10:11]
	s_mov_b32 s0, exec_lo
	s_wait_dscnt 0x3
	global_store_b32 v[44:45], v8, off
                                        ; implicit-def: $vgpr44_vgpr45
	s_wait_xcnt 0x0
	v_cmpx_ge_u32_e64 v28, v16
	s_xor_b32 s0, exec_lo, s0
; %bb.105:
	v_xor_b32_e32 v44, 0xfffff8ff, v0
	s_delay_alu instid0(VALU_DEP_1) | instskip(NEXT) | instid1(VALU_DEP_1)
	v_ashrrev_i32_e32 v45, 31, v44
	v_add_nc_u64_e32 v[44:45], v[42:43], v[44:45]
; %bb.106:
	s_and_not1_saveexec_b32 s0, s0
; %bb.107:
	v_add_nc_u64_e32 v[44:45], v[2:3], v[28:29]
; %bb.108:
	s_or_b32 exec_lo, exec_lo, s0
	s_delay_alu instid0(VALU_DEP_1)
	v_lshl_add_u64 v[44:45], v[44:45], 2, s[10:11]
	s_mov_b32 s0, exec_lo
	global_store_b32 v[44:45], v9, off
                                        ; implicit-def: $vgpr44_vgpr45
	s_wait_xcnt 0x0
	v_cmpx_ge_u32_e64 v26, v16
	s_xor_b32 s0, exec_lo, s0
; %bb.109:
	v_xor_b32_e32 v44, 0xfffff7ff, v0
	s_delay_alu instid0(VALU_DEP_1) | instskip(NEXT) | instid1(VALU_DEP_1)
	v_ashrrev_i32_e32 v45, 31, v44
	v_add_nc_u64_e32 v[44:45], v[42:43], v[44:45]
; %bb.110:
	s_and_not1_saveexec_b32 s0, s0
; %bb.111:
	v_add_nc_u64_e32 v[44:45], v[2:3], v[26:27]
; %bb.112:
	s_or_b32 exec_lo, exec_lo, s0
	s_delay_alu instid0(VALU_DEP_1)
	v_lshl_add_u64 v[44:45], v[44:45], 2, s[10:11]
	s_mov_b32 s0, exec_lo
	s_wait_dscnt 0x2
	global_store_b32 v[44:45], v6, off
                                        ; implicit-def: $vgpr44_vgpr45
	s_wait_xcnt 0x0
	v_cmpx_ge_u32_e64 v24, v16
	s_xor_b32 s0, exec_lo, s0
; %bb.113:
	v_xor_b32_e32 v44, 0xfffff6ff, v0
	s_delay_alu instid0(VALU_DEP_1) | instskip(NEXT) | instid1(VALU_DEP_1)
	v_ashrrev_i32_e32 v45, 31, v44
	v_add_nc_u64_e32 v[44:45], v[42:43], v[44:45]
; %bb.114:
	s_and_not1_saveexec_b32 s0, s0
; %bb.115:
	v_add_nc_u64_e32 v[44:45], v[2:3], v[24:25]
; %bb.116:
	s_or_b32 exec_lo, exec_lo, s0
	s_delay_alu instid0(VALU_DEP_1)
	v_lshl_add_u64 v[44:45], v[44:45], 2, s[10:11]
	s_mov_b32 s0, exec_lo
	global_store_b32 v[44:45], v7, off
                                        ; implicit-def: $vgpr44_vgpr45
	s_wait_xcnt 0x0
	v_cmpx_ge_u32_e64 v22, v16
	s_xor_b32 s0, exec_lo, s0
; %bb.117:
	v_xor_b32_e32 v44, 0xfffff5ff, v0
	s_delay_alu instid0(VALU_DEP_1) | instskip(NEXT) | instid1(VALU_DEP_1)
	v_ashrrev_i32_e32 v45, 31, v44
	v_add_nc_u64_e32 v[44:45], v[42:43], v[44:45]
; %bb.118:
	s_and_not1_saveexec_b32 s0, s0
; %bb.119:
	v_add_nc_u64_e32 v[44:45], v[2:3], v[22:23]
; %bb.120:
	s_or_b32 exec_lo, exec_lo, s0
	s_delay_alu instid0(VALU_DEP_1)
	v_lshl_add_u64 v[44:45], v[44:45], 2, s[10:11]
	s_mov_b32 s0, exec_lo
	s_wait_dscnt 0x1
	global_store_b32 v[44:45], v4, off
                                        ; implicit-def: $vgpr44_vgpr45
	s_wait_xcnt 0x0
	v_cmpx_ge_u32_e64 v20, v16
	s_xor_b32 s0, exec_lo, s0
; %bb.121:
	v_xor_b32_e32 v44, 0xfffff4ff, v0
	s_delay_alu instid0(VALU_DEP_1) | instskip(NEXT) | instid1(VALU_DEP_1)
	v_ashrrev_i32_e32 v45, 31, v44
	v_add_nc_u64_e32 v[44:45], v[42:43], v[44:45]
; %bb.122:
	s_and_not1_saveexec_b32 s0, s0
; %bb.123:
	v_add_nc_u64_e32 v[44:45], v[2:3], v[20:21]
; %bb.124:
	s_or_b32 exec_lo, exec_lo, s0
	s_delay_alu instid0(VALU_DEP_1)
	v_lshl_add_u64 v[44:45], v[44:45], 2, s[10:11]
	s_mov_b32 s0, exec_lo
	global_store_b32 v[44:45], v5, off
                                        ; implicit-def: $vgpr44_vgpr45
	s_wait_xcnt 0x0
	v_cmpx_ge_u32_e64 v18, v16
	s_xor_b32 s0, exec_lo, s0
; %bb.125:
	v_xor_b32_e32 v44, 0xfffff3ff, v0
	s_delay_alu instid0(VALU_DEP_1) | instskip(NEXT) | instid1(VALU_DEP_1)
	v_ashrrev_i32_e32 v45, 31, v44
	v_add_nc_u64_e32 v[44:45], v[42:43], v[44:45]
; %bb.126:
	s_and_not1_saveexec_b32 s0, s0
; %bb.127:
	v_add_nc_u64_e32 v[44:45], v[2:3], v[18:19]
; %bb.128:
	s_or_b32 exec_lo, exec_lo, s0
	s_mov_b32 s0, -1
.LBB1516_129:
	s_delay_alu instid0(SALU_CYCLE_1)
	s_and_saveexec_b32 s1, s0
	s_cbranch_execz .LBB1516_212
.LBB1516_130:
	s_delay_alu instid0(VALU_DEP_1)
	v_lshl_add_u64 v[0:1], v[44:45], 2, s[10:11]
	s_wait_dscnt 0x0
	global_store_b32 v[0:1], v46, off
	s_wait_xcnt 0x0
	s_or_b32 exec_lo, exec_lo, s1
	s_and_b32 s0, s2, s9
	s_delay_alu instid0(SALU_CYCLE_1)
	s_and_saveexec_b32 s1, s0
	s_cbranch_execnz .LBB1516_213
.LBB1516_131:
	s_sendmsg sendmsg(MSG_DEALLOC_VGPRS)
	s_endpgm
.LBB1516_132:
	s_mov_b32 s0, 0
                                        ; implicit-def: $vgpr44_vgpr45
	s_cbranch_execz .LBB1516_129
; %bb.133:
	s_mov_b32 s15, 0
	v_mov_b32_e32 v17, 0
	s_add_nc_u64 s[4:5], s[16:17], s[14:15]
	s_mov_b32 s1, exec_lo
	s_sub_nc_u64 s[4:5], s[18:19], s[4:5]
	s_delay_alu instid0(VALU_DEP_1) | instid1(SALU_CYCLE_1)
	v_add_nc_u64_e32 v[42:43], s[4:5], v[16:17]
	s_delay_alu instid0(VALU_DEP_1)
	v_add_nc_u64_e32 v[42:43], v[42:43], v[2:3]
	v_cmpx_gt_u32_e64 s22, v0
	s_cbranch_execz .LBB1516_169
; %bb.134:
	s_mov_b32 s3, exec_lo
                                        ; implicit-def: $vgpr44_vgpr45
	v_cmpx_ge_u32_e64 v0, v16
	s_xor_b32 s3, exec_lo, s3
; %bb.135:
	v_not_b32_e32 v44, v0
	s_delay_alu instid0(VALU_DEP_1) | instskip(NEXT) | instid1(VALU_DEP_1)
	v_ashrrev_i32_e32 v45, 31, v44
	v_add_nc_u64_e32 v[44:45], v[42:43], v[44:45]
; %bb.136:
	s_and_not1_saveexec_b32 s3, s3
; %bb.137:
	v_add_nc_u64_e32 v[44:45], v[2:3], v[0:1]
; %bb.138:
	s_or_b32 exec_lo, exec_lo, s3
	s_delay_alu instid0(VALU_DEP_1) | instskip(SKIP_4) | instid1(SALU_CYCLE_1)
	v_lshl_add_u64 v[44:45], v[44:45], 2, s[10:11]
	s_wait_dscnt 0x6
	global_store_b32 v[44:45], v14, off
	s_wait_xcnt 0x0
	s_or_b32 exec_lo, exec_lo, s1
	s_mov_b32 s1, exec_lo
	v_cmpx_gt_u32_e64 s22, v40
	s_cbranch_execnz .LBB1516_170
.LBB1516_139:
	s_or_b32 exec_lo, exec_lo, s1
	s_delay_alu instid0(SALU_CYCLE_1)
	s_mov_b32 s1, exec_lo
	v_cmpx_gt_u32_e64 s22, v38
	s_cbranch_execz .LBB1516_175
.LBB1516_140:
	s_mov_b32 s3, exec_lo
                                        ; implicit-def: $vgpr14_vgpr15
	v_cmpx_ge_u32_e64 v38, v16
	s_xor_b32 s3, exec_lo, s3
	s_cbranch_execz .LBB1516_142
; %bb.141:
	s_wait_dscnt 0x6
	v_xor_b32_e32 v14, 0xfffffdff, v0
                                        ; implicit-def: $vgpr38_vgpr39
	s_delay_alu instid0(VALU_DEP_1) | instskip(NEXT) | instid1(VALU_DEP_1)
	v_ashrrev_i32_e32 v15, 31, v14
	v_add_nc_u64_e32 v[14:15], v[42:43], v[14:15]
.LBB1516_142:
	s_and_not1_saveexec_b32 s3, s3
	s_cbranch_execz .LBB1516_144
; %bb.143:
	s_wait_dscnt 0x6
	v_add_nc_u64_e32 v[14:15], v[2:3], v[38:39]
.LBB1516_144:
	s_or_b32 exec_lo, exec_lo, s3
	s_wait_dscnt 0x6
	s_delay_alu instid0(VALU_DEP_1) | instskip(SKIP_4) | instid1(SALU_CYCLE_1)
	v_lshl_add_u64 v[14:15], v[14:15], 2, s[10:11]
	s_wait_dscnt 0x5
	global_store_b32 v[14:15], v12, off
	s_wait_xcnt 0x0
	s_or_b32 exec_lo, exec_lo, s1
	s_mov_b32 s1, exec_lo
	v_cmpx_gt_u32_e64 s22, v36
	s_cbranch_execnz .LBB1516_176
.LBB1516_145:
	s_or_b32 exec_lo, exec_lo, s1
	s_delay_alu instid0(SALU_CYCLE_1)
	s_mov_b32 s1, exec_lo
	v_cmpx_gt_u32_e64 s22, v34
	s_cbranch_execz .LBB1516_181
.LBB1516_146:
	s_mov_b32 s3, exec_lo
                                        ; implicit-def: $vgpr12_vgpr13
	v_cmpx_ge_u32_e64 v34, v16
	s_xor_b32 s3, exec_lo, s3
	s_cbranch_execz .LBB1516_148
; %bb.147:
	s_wait_dscnt 0x5
	v_xor_b32_e32 v12, 0xfffffbff, v0
                                        ; implicit-def: $vgpr34_vgpr35
	s_delay_alu instid0(VALU_DEP_1) | instskip(NEXT) | instid1(VALU_DEP_1)
	v_ashrrev_i32_e32 v13, 31, v12
	v_add_nc_u64_e32 v[12:13], v[42:43], v[12:13]
.LBB1516_148:
	s_and_not1_saveexec_b32 s3, s3
	s_cbranch_execz .LBB1516_150
; %bb.149:
	s_wait_dscnt 0x5
	v_add_nc_u64_e32 v[12:13], v[2:3], v[34:35]
.LBB1516_150:
	s_or_b32 exec_lo, exec_lo, s3
	s_wait_dscnt 0x5
	s_delay_alu instid0(VALU_DEP_1) | instskip(SKIP_4) | instid1(SALU_CYCLE_1)
	v_lshl_add_u64 v[12:13], v[12:13], 2, s[10:11]
	s_wait_dscnt 0x4
	global_store_b32 v[12:13], v10, off
	s_wait_xcnt 0x0
	s_or_b32 exec_lo, exec_lo, s1
	s_mov_b32 s1, exec_lo
	v_cmpx_gt_u32_e64 s22, v32
	s_cbranch_execnz .LBB1516_182
.LBB1516_151:
	s_or_b32 exec_lo, exec_lo, s1
	s_delay_alu instid0(SALU_CYCLE_1)
	s_mov_b32 s1, exec_lo
	v_cmpx_gt_u32_e64 s22, v30
	s_cbranch_execz .LBB1516_187
.LBB1516_152:
	s_mov_b32 s3, exec_lo
                                        ; implicit-def: $vgpr10_vgpr11
	v_cmpx_ge_u32_e64 v30, v16
	s_xor_b32 s3, exec_lo, s3
	s_cbranch_execz .LBB1516_154
; %bb.153:
	s_wait_dscnt 0x4
	v_xor_b32_e32 v10, 0xfffff9ff, v0
                                        ; implicit-def: $vgpr30_vgpr31
	s_delay_alu instid0(VALU_DEP_1) | instskip(NEXT) | instid1(VALU_DEP_1)
	v_ashrrev_i32_e32 v11, 31, v10
	v_add_nc_u64_e32 v[10:11], v[42:43], v[10:11]
.LBB1516_154:
	s_and_not1_saveexec_b32 s3, s3
	s_cbranch_execz .LBB1516_156
; %bb.155:
	s_wait_dscnt 0x4
	v_add_nc_u64_e32 v[10:11], v[2:3], v[30:31]
.LBB1516_156:
	s_or_b32 exec_lo, exec_lo, s3
	s_wait_dscnt 0x4
	s_delay_alu instid0(VALU_DEP_1) | instskip(SKIP_4) | instid1(SALU_CYCLE_1)
	v_lshl_add_u64 v[10:11], v[10:11], 2, s[10:11]
	s_wait_dscnt 0x3
	global_store_b32 v[10:11], v8, off
	s_wait_xcnt 0x0
	s_or_b32 exec_lo, exec_lo, s1
	s_mov_b32 s1, exec_lo
	v_cmpx_gt_u32_e64 s22, v28
	s_cbranch_execnz .LBB1516_188
.LBB1516_157:
	s_or_b32 exec_lo, exec_lo, s1
	s_delay_alu instid0(SALU_CYCLE_1)
	s_mov_b32 s1, exec_lo
	v_cmpx_gt_u32_e64 s22, v26
	s_cbranch_execz .LBB1516_193
.LBB1516_158:
	s_mov_b32 s3, exec_lo
                                        ; implicit-def: $vgpr8_vgpr9
	v_cmpx_ge_u32_e64 v26, v16
	s_xor_b32 s3, exec_lo, s3
	s_cbranch_execz .LBB1516_160
; %bb.159:
	s_wait_dscnt 0x3
	v_xor_b32_e32 v8, 0xfffff7ff, v0
                                        ; implicit-def: $vgpr26_vgpr27
	s_delay_alu instid0(VALU_DEP_1) | instskip(NEXT) | instid1(VALU_DEP_1)
	v_ashrrev_i32_e32 v9, 31, v8
	v_add_nc_u64_e32 v[8:9], v[42:43], v[8:9]
.LBB1516_160:
	s_and_not1_saveexec_b32 s3, s3
	s_cbranch_execz .LBB1516_162
; %bb.161:
	s_wait_dscnt 0x3
	v_add_nc_u64_e32 v[8:9], v[2:3], v[26:27]
.LBB1516_162:
	s_or_b32 exec_lo, exec_lo, s3
	s_wait_dscnt 0x3
	s_delay_alu instid0(VALU_DEP_1) | instskip(SKIP_4) | instid1(SALU_CYCLE_1)
	v_lshl_add_u64 v[8:9], v[8:9], 2, s[10:11]
	s_wait_dscnt 0x2
	global_store_b32 v[8:9], v6, off
	s_wait_xcnt 0x0
	s_or_b32 exec_lo, exec_lo, s1
	s_mov_b32 s1, exec_lo
	v_cmpx_gt_u32_e64 s22, v24
	s_cbranch_execnz .LBB1516_194
.LBB1516_163:
	s_or_b32 exec_lo, exec_lo, s1
	s_delay_alu instid0(SALU_CYCLE_1)
	s_mov_b32 s1, exec_lo
	v_cmpx_gt_u32_e64 s22, v22
	s_cbranch_execz .LBB1516_199
.LBB1516_164:
	s_mov_b32 s3, exec_lo
                                        ; implicit-def: $vgpr6_vgpr7
	v_cmpx_ge_u32_e64 v22, v16
	s_xor_b32 s3, exec_lo, s3
	s_cbranch_execz .LBB1516_166
; %bb.165:
	s_wait_dscnt 0x2
	v_xor_b32_e32 v6, 0xfffff5ff, v0
                                        ; implicit-def: $vgpr22_vgpr23
	s_delay_alu instid0(VALU_DEP_1) | instskip(NEXT) | instid1(VALU_DEP_1)
	v_ashrrev_i32_e32 v7, 31, v6
	v_add_nc_u64_e32 v[6:7], v[42:43], v[6:7]
.LBB1516_166:
	s_and_not1_saveexec_b32 s3, s3
	s_cbranch_execz .LBB1516_168
; %bb.167:
	s_wait_dscnt 0x2
	v_add_nc_u64_e32 v[6:7], v[2:3], v[22:23]
.LBB1516_168:
	s_or_b32 exec_lo, exec_lo, s3
	s_wait_dscnt 0x2
	s_delay_alu instid0(VALU_DEP_1) | instskip(SKIP_4) | instid1(SALU_CYCLE_1)
	v_lshl_add_u64 v[6:7], v[6:7], 2, s[10:11]
	s_wait_dscnt 0x1
	global_store_b32 v[6:7], v4, off
	s_wait_xcnt 0x0
	s_or_b32 exec_lo, exec_lo, s1
	s_mov_b32 s1, exec_lo
	v_cmpx_gt_u32_e64 s22, v20
	s_cbranch_execz .LBB1516_205
	s_branch .LBB1516_200
.LBB1516_169:
	s_or_b32 exec_lo, exec_lo, s1
	s_delay_alu instid0(SALU_CYCLE_1)
	s_mov_b32 s1, exec_lo
	v_cmpx_gt_u32_e64 s22, v40
	s_cbranch_execz .LBB1516_139
.LBB1516_170:
	s_mov_b32 s3, exec_lo
                                        ; implicit-def: $vgpr44_vgpr45
	v_cmpx_ge_u32_e64 v40, v16
	s_xor_b32 s3, exec_lo, s3
; %bb.171:
	v_xor_b32_e32 v40, 0xfffffeff, v0
	s_delay_alu instid0(VALU_DEP_1) | instskip(NEXT) | instid1(VALU_DEP_1)
	v_ashrrev_i32_e32 v41, 31, v40
	v_add_nc_u64_e32 v[44:45], v[42:43], v[40:41]
                                        ; implicit-def: $vgpr40_vgpr41
; %bb.172:
	s_and_not1_saveexec_b32 s3, s3
; %bb.173:
	v_add_nc_u64_e32 v[44:45], v[2:3], v[40:41]
; %bb.174:
	s_or_b32 exec_lo, exec_lo, s3
	s_delay_alu instid0(VALU_DEP_1) | instskip(SKIP_4) | instid1(SALU_CYCLE_1)
	v_lshl_add_u64 v[40:41], v[44:45], 2, s[10:11]
	s_wait_dscnt 0x6
	global_store_b32 v[40:41], v15, off
	s_wait_xcnt 0x0
	s_or_b32 exec_lo, exec_lo, s1
	s_mov_b32 s1, exec_lo
	v_cmpx_gt_u32_e64 s22, v38
	s_cbranch_execnz .LBB1516_140
.LBB1516_175:
	s_or_b32 exec_lo, exec_lo, s1
	s_delay_alu instid0(SALU_CYCLE_1)
	s_mov_b32 s1, exec_lo
	v_cmpx_gt_u32_e64 s22, v36
	s_cbranch_execz .LBB1516_145
.LBB1516_176:
	s_mov_b32 s3, exec_lo
                                        ; implicit-def: $vgpr14_vgpr15
	v_cmpx_ge_u32_e64 v36, v16
	s_xor_b32 s3, exec_lo, s3
	s_cbranch_execz .LBB1516_178
; %bb.177:
	s_wait_dscnt 0x6
	v_xor_b32_e32 v14, 0xfffffcff, v0
                                        ; implicit-def: $vgpr36_vgpr37
	s_delay_alu instid0(VALU_DEP_1) | instskip(NEXT) | instid1(VALU_DEP_1)
	v_ashrrev_i32_e32 v15, 31, v14
	v_add_nc_u64_e32 v[14:15], v[42:43], v[14:15]
.LBB1516_178:
	s_and_not1_saveexec_b32 s3, s3
	s_cbranch_execz .LBB1516_180
; %bb.179:
	s_wait_dscnt 0x6
	v_add_nc_u64_e32 v[14:15], v[2:3], v[36:37]
.LBB1516_180:
	s_or_b32 exec_lo, exec_lo, s3
	s_wait_dscnt 0x6
	s_delay_alu instid0(VALU_DEP_1) | instskip(SKIP_4) | instid1(SALU_CYCLE_1)
	v_lshl_add_u64 v[14:15], v[14:15], 2, s[10:11]
	s_wait_dscnt 0x5
	global_store_b32 v[14:15], v13, off
	s_wait_xcnt 0x0
	s_or_b32 exec_lo, exec_lo, s1
	s_mov_b32 s1, exec_lo
	v_cmpx_gt_u32_e64 s22, v34
	s_cbranch_execnz .LBB1516_146
.LBB1516_181:
	s_or_b32 exec_lo, exec_lo, s1
	s_delay_alu instid0(SALU_CYCLE_1)
	s_mov_b32 s1, exec_lo
	v_cmpx_gt_u32_e64 s22, v32
	s_cbranch_execz .LBB1516_151
.LBB1516_182:
	s_mov_b32 s3, exec_lo
                                        ; implicit-def: $vgpr12_vgpr13
	v_cmpx_ge_u32_e64 v32, v16
	s_xor_b32 s3, exec_lo, s3
	s_cbranch_execz .LBB1516_184
; %bb.183:
	s_wait_dscnt 0x5
	v_xor_b32_e32 v12, 0xfffffaff, v0
                                        ; implicit-def: $vgpr32_vgpr33
	s_delay_alu instid0(VALU_DEP_1) | instskip(NEXT) | instid1(VALU_DEP_1)
	v_ashrrev_i32_e32 v13, 31, v12
	v_add_nc_u64_e32 v[12:13], v[42:43], v[12:13]
.LBB1516_184:
	s_and_not1_saveexec_b32 s3, s3
	s_cbranch_execz .LBB1516_186
; %bb.185:
	s_wait_dscnt 0x5
	v_add_nc_u64_e32 v[12:13], v[2:3], v[32:33]
.LBB1516_186:
	s_or_b32 exec_lo, exec_lo, s3
	s_wait_dscnt 0x5
	s_delay_alu instid0(VALU_DEP_1) | instskip(SKIP_4) | instid1(SALU_CYCLE_1)
	v_lshl_add_u64 v[12:13], v[12:13], 2, s[10:11]
	s_wait_dscnt 0x4
	global_store_b32 v[12:13], v11, off
	s_wait_xcnt 0x0
	s_or_b32 exec_lo, exec_lo, s1
	s_mov_b32 s1, exec_lo
	v_cmpx_gt_u32_e64 s22, v30
	s_cbranch_execnz .LBB1516_152
.LBB1516_187:
	s_or_b32 exec_lo, exec_lo, s1
	s_delay_alu instid0(SALU_CYCLE_1)
	s_mov_b32 s1, exec_lo
	v_cmpx_gt_u32_e64 s22, v28
	s_cbranch_execz .LBB1516_157
.LBB1516_188:
	s_mov_b32 s3, exec_lo
                                        ; implicit-def: $vgpr10_vgpr11
	v_cmpx_ge_u32_e64 v28, v16
	s_xor_b32 s3, exec_lo, s3
	s_cbranch_execz .LBB1516_190
; %bb.189:
	s_wait_dscnt 0x4
	v_xor_b32_e32 v10, 0xfffff8ff, v0
                                        ; implicit-def: $vgpr28_vgpr29
	s_delay_alu instid0(VALU_DEP_1) | instskip(NEXT) | instid1(VALU_DEP_1)
	v_ashrrev_i32_e32 v11, 31, v10
	v_add_nc_u64_e32 v[10:11], v[42:43], v[10:11]
.LBB1516_190:
	s_and_not1_saveexec_b32 s3, s3
	s_cbranch_execz .LBB1516_192
; %bb.191:
	s_wait_dscnt 0x4
	v_add_nc_u64_e32 v[10:11], v[2:3], v[28:29]
.LBB1516_192:
	s_or_b32 exec_lo, exec_lo, s3
	s_wait_dscnt 0x4
	s_delay_alu instid0(VALU_DEP_1) | instskip(SKIP_4) | instid1(SALU_CYCLE_1)
	v_lshl_add_u64 v[10:11], v[10:11], 2, s[10:11]
	s_wait_dscnt 0x3
	global_store_b32 v[10:11], v9, off
	s_wait_xcnt 0x0
	s_or_b32 exec_lo, exec_lo, s1
	s_mov_b32 s1, exec_lo
	v_cmpx_gt_u32_e64 s22, v26
	s_cbranch_execnz .LBB1516_158
.LBB1516_193:
	s_or_b32 exec_lo, exec_lo, s1
	s_delay_alu instid0(SALU_CYCLE_1)
	s_mov_b32 s1, exec_lo
	v_cmpx_gt_u32_e64 s22, v24
	s_cbranch_execz .LBB1516_163
.LBB1516_194:
	s_mov_b32 s3, exec_lo
                                        ; implicit-def: $vgpr8_vgpr9
	v_cmpx_ge_u32_e64 v24, v16
	s_xor_b32 s3, exec_lo, s3
	s_cbranch_execz .LBB1516_196
; %bb.195:
	s_wait_dscnt 0x3
	v_xor_b32_e32 v8, 0xfffff6ff, v0
                                        ; implicit-def: $vgpr24_vgpr25
	s_delay_alu instid0(VALU_DEP_1) | instskip(NEXT) | instid1(VALU_DEP_1)
	v_ashrrev_i32_e32 v9, 31, v8
	v_add_nc_u64_e32 v[8:9], v[42:43], v[8:9]
.LBB1516_196:
	s_and_not1_saveexec_b32 s3, s3
	s_cbranch_execz .LBB1516_198
; %bb.197:
	s_wait_dscnt 0x3
	v_add_nc_u64_e32 v[8:9], v[2:3], v[24:25]
.LBB1516_198:
	s_or_b32 exec_lo, exec_lo, s3
	s_wait_dscnt 0x3
	s_delay_alu instid0(VALU_DEP_1) | instskip(SKIP_4) | instid1(SALU_CYCLE_1)
	v_lshl_add_u64 v[8:9], v[8:9], 2, s[10:11]
	s_wait_dscnt 0x2
	global_store_b32 v[8:9], v7, off
	s_wait_xcnt 0x0
	s_or_b32 exec_lo, exec_lo, s1
	s_mov_b32 s1, exec_lo
	v_cmpx_gt_u32_e64 s22, v22
	s_cbranch_execnz .LBB1516_164
.LBB1516_199:
	s_or_b32 exec_lo, exec_lo, s1
	s_delay_alu instid0(SALU_CYCLE_1)
	s_mov_b32 s1, exec_lo
	v_cmpx_gt_u32_e64 s22, v20
	s_cbranch_execz .LBB1516_205
.LBB1516_200:
	s_mov_b32 s3, exec_lo
                                        ; implicit-def: $vgpr6_vgpr7
	v_cmpx_ge_u32_e64 v20, v16
	s_xor_b32 s3, exec_lo, s3
	s_cbranch_execz .LBB1516_202
; %bb.201:
	s_wait_dscnt 0x2
	v_xor_b32_e32 v6, 0xfffff4ff, v0
                                        ; implicit-def: $vgpr20_vgpr21
	s_delay_alu instid0(VALU_DEP_1) | instskip(NEXT) | instid1(VALU_DEP_1)
	v_ashrrev_i32_e32 v7, 31, v6
	v_add_nc_u64_e32 v[6:7], v[42:43], v[6:7]
.LBB1516_202:
	s_and_not1_saveexec_b32 s3, s3
	s_cbranch_execz .LBB1516_204
; %bb.203:
	s_wait_dscnt 0x2
	v_add_nc_u64_e32 v[6:7], v[2:3], v[20:21]
.LBB1516_204:
	s_or_b32 exec_lo, exec_lo, s3
	s_wait_dscnt 0x2
	s_delay_alu instid0(VALU_DEP_1)
	v_lshl_add_u64 v[6:7], v[6:7], 2, s[10:11]
	s_wait_dscnt 0x1
	global_store_b32 v[6:7], v5, off
.LBB1516_205:
	s_wait_xcnt 0x0
	s_or_b32 exec_lo, exec_lo, s1
	s_delay_alu instid0(SALU_CYCLE_1)
	s_mov_b32 s1, exec_lo
                                        ; implicit-def: $vgpr44_vgpr45
	v_cmpx_gt_u32_e64 s22, v18
	s_cbranch_execz .LBB1516_211
; %bb.206:
	s_mov_b32 s3, exec_lo
                                        ; implicit-def: $vgpr44_vgpr45
	v_cmpx_ge_u32_e64 v18, v16
	s_xor_b32 s3, exec_lo, s3
; %bb.207:
	v_xor_b32_e32 v0, 0xfffff3ff, v0
                                        ; implicit-def: $vgpr18_vgpr19
	s_delay_alu instid0(VALU_DEP_1) | instskip(NEXT) | instid1(VALU_DEP_1)
	v_ashrrev_i32_e32 v1, 31, v0
	v_add_nc_u64_e32 v[44:45], v[42:43], v[0:1]
; %bb.208:
	s_and_not1_saveexec_b32 s3, s3
; %bb.209:
	v_add_nc_u64_e32 v[44:45], v[2:3], v[18:19]
; %bb.210:
	s_or_b32 exec_lo, exec_lo, s3
	s_delay_alu instid0(SALU_CYCLE_1)
	s_or_b32 s0, s0, exec_lo
.LBB1516_211:
	s_or_b32 exec_lo, exec_lo, s1
	s_and_saveexec_b32 s1, s0
	s_cbranch_execnz .LBB1516_130
.LBB1516_212:
	s_or_b32 exec_lo, exec_lo, s1
	s_and_b32 s0, s2, s9
	s_delay_alu instid0(SALU_CYCLE_1)
	s_and_saveexec_b32 s1, s0
	s_cbranch_execz .LBB1516_131
.LBB1516_213:
	v_mov_b32_e32 v17, 0
	s_delay_alu instid0(VALU_DEP_1)
	v_add_nc_u64_e32 v[0:1], v[2:3], v[16:17]
	global_store_b64 v17, v[0:1], s[12:13]
	s_sendmsg sendmsg(MSG_DEALLOC_VGPRS)
	s_endpgm
	.section	.rodata,"a",@progbits
	.p2align	6, 0x0
	.amdhsa_kernel _ZN7rocprim17ROCPRIM_400000_NS6detail17trampoline_kernelINS0_13select_configILj256ELj13ELNS0_17block_load_methodE3ELS4_3ELS4_3ELNS0_20block_scan_algorithmE0ELj4294967295EEENS1_25partition_config_selectorILNS1_17partition_subalgoE3EjNS0_10empty_typeEbEEZZNS1_14partition_implILS8_3ELb0ES6_jNS0_17counting_iteratorIjlEEPS9_SE_NS0_5tupleIJPjSE_EEENSF_IJSE_SE_EEES9_SG_JZNS1_25segmented_radix_sort_implINS0_14default_configELb1EPKbPbPKlPlN2at6native12_GLOBAL__N_18offset_tEEE10hipError_tPvRmT1_PNSt15iterator_traitsISY_E10value_typeET2_T3_PNSZ_IS14_E10value_typeET4_jRbjT5_S1A_jjP12ihipStream_tbEUljE_EEESV_SW_SX_S14_S18_S1A_T6_T7_T9_mT8_S1C_bDpT10_ENKUlT_T0_E_clISt17integral_constantIbLb0EES1O_IbLb1EEEEDaS1K_S1L_EUlS1K_E_NS1_11comp_targetILNS1_3genE0ELNS1_11target_archE4294967295ELNS1_3gpuE0ELNS1_3repE0EEENS1_30default_config_static_selectorELNS0_4arch9wavefront6targetE0EEEvSY_
		.amdhsa_group_segment_fixed_size 13320
		.amdhsa_private_segment_fixed_size 0
		.amdhsa_kernarg_size 152
		.amdhsa_user_sgpr_count 2
		.amdhsa_user_sgpr_dispatch_ptr 0
		.amdhsa_user_sgpr_queue_ptr 0
		.amdhsa_user_sgpr_kernarg_segment_ptr 1
		.amdhsa_user_sgpr_dispatch_id 0
		.amdhsa_user_sgpr_kernarg_preload_length 0
		.amdhsa_user_sgpr_kernarg_preload_offset 0
		.amdhsa_user_sgpr_private_segment_size 0
		.amdhsa_wavefront_size32 1
		.amdhsa_uses_dynamic_stack 0
		.amdhsa_enable_private_segment 0
		.amdhsa_system_sgpr_workgroup_id_x 1
		.amdhsa_system_sgpr_workgroup_id_y 0
		.amdhsa_system_sgpr_workgroup_id_z 0
		.amdhsa_system_sgpr_workgroup_info 0
		.amdhsa_system_vgpr_workitem_id 0
		.amdhsa_next_free_vgpr 72
		.amdhsa_next_free_sgpr 24
		.amdhsa_named_barrier_count 0
		.amdhsa_reserve_vcc 1
		.amdhsa_float_round_mode_32 0
		.amdhsa_float_round_mode_16_64 0
		.amdhsa_float_denorm_mode_32 3
		.amdhsa_float_denorm_mode_16_64 3
		.amdhsa_fp16_overflow 0
		.amdhsa_memory_ordered 1
		.amdhsa_forward_progress 1
		.amdhsa_inst_pref_size 71
		.amdhsa_round_robin_scheduling 0
		.amdhsa_exception_fp_ieee_invalid_op 0
		.amdhsa_exception_fp_denorm_src 0
		.amdhsa_exception_fp_ieee_div_zero 0
		.amdhsa_exception_fp_ieee_overflow 0
		.amdhsa_exception_fp_ieee_underflow 0
		.amdhsa_exception_fp_ieee_inexact 0
		.amdhsa_exception_int_div_zero 0
	.end_amdhsa_kernel
	.section	.text._ZN7rocprim17ROCPRIM_400000_NS6detail17trampoline_kernelINS0_13select_configILj256ELj13ELNS0_17block_load_methodE3ELS4_3ELS4_3ELNS0_20block_scan_algorithmE0ELj4294967295EEENS1_25partition_config_selectorILNS1_17partition_subalgoE3EjNS0_10empty_typeEbEEZZNS1_14partition_implILS8_3ELb0ES6_jNS0_17counting_iteratorIjlEEPS9_SE_NS0_5tupleIJPjSE_EEENSF_IJSE_SE_EEES9_SG_JZNS1_25segmented_radix_sort_implINS0_14default_configELb1EPKbPbPKlPlN2at6native12_GLOBAL__N_18offset_tEEE10hipError_tPvRmT1_PNSt15iterator_traitsISY_E10value_typeET2_T3_PNSZ_IS14_E10value_typeET4_jRbjT5_S1A_jjP12ihipStream_tbEUljE_EEESV_SW_SX_S14_S18_S1A_T6_T7_T9_mT8_S1C_bDpT10_ENKUlT_T0_E_clISt17integral_constantIbLb0EES1O_IbLb1EEEEDaS1K_S1L_EUlS1K_E_NS1_11comp_targetILNS1_3genE0ELNS1_11target_archE4294967295ELNS1_3gpuE0ELNS1_3repE0EEENS1_30default_config_static_selectorELNS0_4arch9wavefront6targetE0EEEvSY_,"axG",@progbits,_ZN7rocprim17ROCPRIM_400000_NS6detail17trampoline_kernelINS0_13select_configILj256ELj13ELNS0_17block_load_methodE3ELS4_3ELS4_3ELNS0_20block_scan_algorithmE0ELj4294967295EEENS1_25partition_config_selectorILNS1_17partition_subalgoE3EjNS0_10empty_typeEbEEZZNS1_14partition_implILS8_3ELb0ES6_jNS0_17counting_iteratorIjlEEPS9_SE_NS0_5tupleIJPjSE_EEENSF_IJSE_SE_EEES9_SG_JZNS1_25segmented_radix_sort_implINS0_14default_configELb1EPKbPbPKlPlN2at6native12_GLOBAL__N_18offset_tEEE10hipError_tPvRmT1_PNSt15iterator_traitsISY_E10value_typeET2_T3_PNSZ_IS14_E10value_typeET4_jRbjT5_S1A_jjP12ihipStream_tbEUljE_EEESV_SW_SX_S14_S18_S1A_T6_T7_T9_mT8_S1C_bDpT10_ENKUlT_T0_E_clISt17integral_constantIbLb0EES1O_IbLb1EEEEDaS1K_S1L_EUlS1K_E_NS1_11comp_targetILNS1_3genE0ELNS1_11target_archE4294967295ELNS1_3gpuE0ELNS1_3repE0EEENS1_30default_config_static_selectorELNS0_4arch9wavefront6targetE0EEEvSY_,comdat
.Lfunc_end1516:
	.size	_ZN7rocprim17ROCPRIM_400000_NS6detail17trampoline_kernelINS0_13select_configILj256ELj13ELNS0_17block_load_methodE3ELS4_3ELS4_3ELNS0_20block_scan_algorithmE0ELj4294967295EEENS1_25partition_config_selectorILNS1_17partition_subalgoE3EjNS0_10empty_typeEbEEZZNS1_14partition_implILS8_3ELb0ES6_jNS0_17counting_iteratorIjlEEPS9_SE_NS0_5tupleIJPjSE_EEENSF_IJSE_SE_EEES9_SG_JZNS1_25segmented_radix_sort_implINS0_14default_configELb1EPKbPbPKlPlN2at6native12_GLOBAL__N_18offset_tEEE10hipError_tPvRmT1_PNSt15iterator_traitsISY_E10value_typeET2_T3_PNSZ_IS14_E10value_typeET4_jRbjT5_S1A_jjP12ihipStream_tbEUljE_EEESV_SW_SX_S14_S18_S1A_T6_T7_T9_mT8_S1C_bDpT10_ENKUlT_T0_E_clISt17integral_constantIbLb0EES1O_IbLb1EEEEDaS1K_S1L_EUlS1K_E_NS1_11comp_targetILNS1_3genE0ELNS1_11target_archE4294967295ELNS1_3gpuE0ELNS1_3repE0EEENS1_30default_config_static_selectorELNS0_4arch9wavefront6targetE0EEEvSY_, .Lfunc_end1516-_ZN7rocprim17ROCPRIM_400000_NS6detail17trampoline_kernelINS0_13select_configILj256ELj13ELNS0_17block_load_methodE3ELS4_3ELS4_3ELNS0_20block_scan_algorithmE0ELj4294967295EEENS1_25partition_config_selectorILNS1_17partition_subalgoE3EjNS0_10empty_typeEbEEZZNS1_14partition_implILS8_3ELb0ES6_jNS0_17counting_iteratorIjlEEPS9_SE_NS0_5tupleIJPjSE_EEENSF_IJSE_SE_EEES9_SG_JZNS1_25segmented_radix_sort_implINS0_14default_configELb1EPKbPbPKlPlN2at6native12_GLOBAL__N_18offset_tEEE10hipError_tPvRmT1_PNSt15iterator_traitsISY_E10value_typeET2_T3_PNSZ_IS14_E10value_typeET4_jRbjT5_S1A_jjP12ihipStream_tbEUljE_EEESV_SW_SX_S14_S18_S1A_T6_T7_T9_mT8_S1C_bDpT10_ENKUlT_T0_E_clISt17integral_constantIbLb0EES1O_IbLb1EEEEDaS1K_S1L_EUlS1K_E_NS1_11comp_targetILNS1_3genE0ELNS1_11target_archE4294967295ELNS1_3gpuE0ELNS1_3repE0EEENS1_30default_config_static_selectorELNS0_4arch9wavefront6targetE0EEEvSY_
                                        ; -- End function
	.set _ZN7rocprim17ROCPRIM_400000_NS6detail17trampoline_kernelINS0_13select_configILj256ELj13ELNS0_17block_load_methodE3ELS4_3ELS4_3ELNS0_20block_scan_algorithmE0ELj4294967295EEENS1_25partition_config_selectorILNS1_17partition_subalgoE3EjNS0_10empty_typeEbEEZZNS1_14partition_implILS8_3ELb0ES6_jNS0_17counting_iteratorIjlEEPS9_SE_NS0_5tupleIJPjSE_EEENSF_IJSE_SE_EEES9_SG_JZNS1_25segmented_radix_sort_implINS0_14default_configELb1EPKbPbPKlPlN2at6native12_GLOBAL__N_18offset_tEEE10hipError_tPvRmT1_PNSt15iterator_traitsISY_E10value_typeET2_T3_PNSZ_IS14_E10value_typeET4_jRbjT5_S1A_jjP12ihipStream_tbEUljE_EEESV_SW_SX_S14_S18_S1A_T6_T7_T9_mT8_S1C_bDpT10_ENKUlT_T0_E_clISt17integral_constantIbLb0EES1O_IbLb1EEEEDaS1K_S1L_EUlS1K_E_NS1_11comp_targetILNS1_3genE0ELNS1_11target_archE4294967295ELNS1_3gpuE0ELNS1_3repE0EEENS1_30default_config_static_selectorELNS0_4arch9wavefront6targetE0EEEvSY_.num_vgpr, 72
	.set _ZN7rocprim17ROCPRIM_400000_NS6detail17trampoline_kernelINS0_13select_configILj256ELj13ELNS0_17block_load_methodE3ELS4_3ELS4_3ELNS0_20block_scan_algorithmE0ELj4294967295EEENS1_25partition_config_selectorILNS1_17partition_subalgoE3EjNS0_10empty_typeEbEEZZNS1_14partition_implILS8_3ELb0ES6_jNS0_17counting_iteratorIjlEEPS9_SE_NS0_5tupleIJPjSE_EEENSF_IJSE_SE_EEES9_SG_JZNS1_25segmented_radix_sort_implINS0_14default_configELb1EPKbPbPKlPlN2at6native12_GLOBAL__N_18offset_tEEE10hipError_tPvRmT1_PNSt15iterator_traitsISY_E10value_typeET2_T3_PNSZ_IS14_E10value_typeET4_jRbjT5_S1A_jjP12ihipStream_tbEUljE_EEESV_SW_SX_S14_S18_S1A_T6_T7_T9_mT8_S1C_bDpT10_ENKUlT_T0_E_clISt17integral_constantIbLb0EES1O_IbLb1EEEEDaS1K_S1L_EUlS1K_E_NS1_11comp_targetILNS1_3genE0ELNS1_11target_archE4294967295ELNS1_3gpuE0ELNS1_3repE0EEENS1_30default_config_static_selectorELNS0_4arch9wavefront6targetE0EEEvSY_.num_agpr, 0
	.set _ZN7rocprim17ROCPRIM_400000_NS6detail17trampoline_kernelINS0_13select_configILj256ELj13ELNS0_17block_load_methodE3ELS4_3ELS4_3ELNS0_20block_scan_algorithmE0ELj4294967295EEENS1_25partition_config_selectorILNS1_17partition_subalgoE3EjNS0_10empty_typeEbEEZZNS1_14partition_implILS8_3ELb0ES6_jNS0_17counting_iteratorIjlEEPS9_SE_NS0_5tupleIJPjSE_EEENSF_IJSE_SE_EEES9_SG_JZNS1_25segmented_radix_sort_implINS0_14default_configELb1EPKbPbPKlPlN2at6native12_GLOBAL__N_18offset_tEEE10hipError_tPvRmT1_PNSt15iterator_traitsISY_E10value_typeET2_T3_PNSZ_IS14_E10value_typeET4_jRbjT5_S1A_jjP12ihipStream_tbEUljE_EEESV_SW_SX_S14_S18_S1A_T6_T7_T9_mT8_S1C_bDpT10_ENKUlT_T0_E_clISt17integral_constantIbLb0EES1O_IbLb1EEEEDaS1K_S1L_EUlS1K_E_NS1_11comp_targetILNS1_3genE0ELNS1_11target_archE4294967295ELNS1_3gpuE0ELNS1_3repE0EEENS1_30default_config_static_selectorELNS0_4arch9wavefront6targetE0EEEvSY_.numbered_sgpr, 24
	.set _ZN7rocprim17ROCPRIM_400000_NS6detail17trampoline_kernelINS0_13select_configILj256ELj13ELNS0_17block_load_methodE3ELS4_3ELS4_3ELNS0_20block_scan_algorithmE0ELj4294967295EEENS1_25partition_config_selectorILNS1_17partition_subalgoE3EjNS0_10empty_typeEbEEZZNS1_14partition_implILS8_3ELb0ES6_jNS0_17counting_iteratorIjlEEPS9_SE_NS0_5tupleIJPjSE_EEENSF_IJSE_SE_EEES9_SG_JZNS1_25segmented_radix_sort_implINS0_14default_configELb1EPKbPbPKlPlN2at6native12_GLOBAL__N_18offset_tEEE10hipError_tPvRmT1_PNSt15iterator_traitsISY_E10value_typeET2_T3_PNSZ_IS14_E10value_typeET4_jRbjT5_S1A_jjP12ihipStream_tbEUljE_EEESV_SW_SX_S14_S18_S1A_T6_T7_T9_mT8_S1C_bDpT10_ENKUlT_T0_E_clISt17integral_constantIbLb0EES1O_IbLb1EEEEDaS1K_S1L_EUlS1K_E_NS1_11comp_targetILNS1_3genE0ELNS1_11target_archE4294967295ELNS1_3gpuE0ELNS1_3repE0EEENS1_30default_config_static_selectorELNS0_4arch9wavefront6targetE0EEEvSY_.num_named_barrier, 0
	.set _ZN7rocprim17ROCPRIM_400000_NS6detail17trampoline_kernelINS0_13select_configILj256ELj13ELNS0_17block_load_methodE3ELS4_3ELS4_3ELNS0_20block_scan_algorithmE0ELj4294967295EEENS1_25partition_config_selectorILNS1_17partition_subalgoE3EjNS0_10empty_typeEbEEZZNS1_14partition_implILS8_3ELb0ES6_jNS0_17counting_iteratorIjlEEPS9_SE_NS0_5tupleIJPjSE_EEENSF_IJSE_SE_EEES9_SG_JZNS1_25segmented_radix_sort_implINS0_14default_configELb1EPKbPbPKlPlN2at6native12_GLOBAL__N_18offset_tEEE10hipError_tPvRmT1_PNSt15iterator_traitsISY_E10value_typeET2_T3_PNSZ_IS14_E10value_typeET4_jRbjT5_S1A_jjP12ihipStream_tbEUljE_EEESV_SW_SX_S14_S18_S1A_T6_T7_T9_mT8_S1C_bDpT10_ENKUlT_T0_E_clISt17integral_constantIbLb0EES1O_IbLb1EEEEDaS1K_S1L_EUlS1K_E_NS1_11comp_targetILNS1_3genE0ELNS1_11target_archE4294967295ELNS1_3gpuE0ELNS1_3repE0EEENS1_30default_config_static_selectorELNS0_4arch9wavefront6targetE0EEEvSY_.private_seg_size, 0
	.set _ZN7rocprim17ROCPRIM_400000_NS6detail17trampoline_kernelINS0_13select_configILj256ELj13ELNS0_17block_load_methodE3ELS4_3ELS4_3ELNS0_20block_scan_algorithmE0ELj4294967295EEENS1_25partition_config_selectorILNS1_17partition_subalgoE3EjNS0_10empty_typeEbEEZZNS1_14partition_implILS8_3ELb0ES6_jNS0_17counting_iteratorIjlEEPS9_SE_NS0_5tupleIJPjSE_EEENSF_IJSE_SE_EEES9_SG_JZNS1_25segmented_radix_sort_implINS0_14default_configELb1EPKbPbPKlPlN2at6native12_GLOBAL__N_18offset_tEEE10hipError_tPvRmT1_PNSt15iterator_traitsISY_E10value_typeET2_T3_PNSZ_IS14_E10value_typeET4_jRbjT5_S1A_jjP12ihipStream_tbEUljE_EEESV_SW_SX_S14_S18_S1A_T6_T7_T9_mT8_S1C_bDpT10_ENKUlT_T0_E_clISt17integral_constantIbLb0EES1O_IbLb1EEEEDaS1K_S1L_EUlS1K_E_NS1_11comp_targetILNS1_3genE0ELNS1_11target_archE4294967295ELNS1_3gpuE0ELNS1_3repE0EEENS1_30default_config_static_selectorELNS0_4arch9wavefront6targetE0EEEvSY_.uses_vcc, 1
	.set _ZN7rocprim17ROCPRIM_400000_NS6detail17trampoline_kernelINS0_13select_configILj256ELj13ELNS0_17block_load_methodE3ELS4_3ELS4_3ELNS0_20block_scan_algorithmE0ELj4294967295EEENS1_25partition_config_selectorILNS1_17partition_subalgoE3EjNS0_10empty_typeEbEEZZNS1_14partition_implILS8_3ELb0ES6_jNS0_17counting_iteratorIjlEEPS9_SE_NS0_5tupleIJPjSE_EEENSF_IJSE_SE_EEES9_SG_JZNS1_25segmented_radix_sort_implINS0_14default_configELb1EPKbPbPKlPlN2at6native12_GLOBAL__N_18offset_tEEE10hipError_tPvRmT1_PNSt15iterator_traitsISY_E10value_typeET2_T3_PNSZ_IS14_E10value_typeET4_jRbjT5_S1A_jjP12ihipStream_tbEUljE_EEESV_SW_SX_S14_S18_S1A_T6_T7_T9_mT8_S1C_bDpT10_ENKUlT_T0_E_clISt17integral_constantIbLb0EES1O_IbLb1EEEEDaS1K_S1L_EUlS1K_E_NS1_11comp_targetILNS1_3genE0ELNS1_11target_archE4294967295ELNS1_3gpuE0ELNS1_3repE0EEENS1_30default_config_static_selectorELNS0_4arch9wavefront6targetE0EEEvSY_.uses_flat_scratch, 0
	.set _ZN7rocprim17ROCPRIM_400000_NS6detail17trampoline_kernelINS0_13select_configILj256ELj13ELNS0_17block_load_methodE3ELS4_3ELS4_3ELNS0_20block_scan_algorithmE0ELj4294967295EEENS1_25partition_config_selectorILNS1_17partition_subalgoE3EjNS0_10empty_typeEbEEZZNS1_14partition_implILS8_3ELb0ES6_jNS0_17counting_iteratorIjlEEPS9_SE_NS0_5tupleIJPjSE_EEENSF_IJSE_SE_EEES9_SG_JZNS1_25segmented_radix_sort_implINS0_14default_configELb1EPKbPbPKlPlN2at6native12_GLOBAL__N_18offset_tEEE10hipError_tPvRmT1_PNSt15iterator_traitsISY_E10value_typeET2_T3_PNSZ_IS14_E10value_typeET4_jRbjT5_S1A_jjP12ihipStream_tbEUljE_EEESV_SW_SX_S14_S18_S1A_T6_T7_T9_mT8_S1C_bDpT10_ENKUlT_T0_E_clISt17integral_constantIbLb0EES1O_IbLb1EEEEDaS1K_S1L_EUlS1K_E_NS1_11comp_targetILNS1_3genE0ELNS1_11target_archE4294967295ELNS1_3gpuE0ELNS1_3repE0EEENS1_30default_config_static_selectorELNS0_4arch9wavefront6targetE0EEEvSY_.has_dyn_sized_stack, 0
	.set _ZN7rocprim17ROCPRIM_400000_NS6detail17trampoline_kernelINS0_13select_configILj256ELj13ELNS0_17block_load_methodE3ELS4_3ELS4_3ELNS0_20block_scan_algorithmE0ELj4294967295EEENS1_25partition_config_selectorILNS1_17partition_subalgoE3EjNS0_10empty_typeEbEEZZNS1_14partition_implILS8_3ELb0ES6_jNS0_17counting_iteratorIjlEEPS9_SE_NS0_5tupleIJPjSE_EEENSF_IJSE_SE_EEES9_SG_JZNS1_25segmented_radix_sort_implINS0_14default_configELb1EPKbPbPKlPlN2at6native12_GLOBAL__N_18offset_tEEE10hipError_tPvRmT1_PNSt15iterator_traitsISY_E10value_typeET2_T3_PNSZ_IS14_E10value_typeET4_jRbjT5_S1A_jjP12ihipStream_tbEUljE_EEESV_SW_SX_S14_S18_S1A_T6_T7_T9_mT8_S1C_bDpT10_ENKUlT_T0_E_clISt17integral_constantIbLb0EES1O_IbLb1EEEEDaS1K_S1L_EUlS1K_E_NS1_11comp_targetILNS1_3genE0ELNS1_11target_archE4294967295ELNS1_3gpuE0ELNS1_3repE0EEENS1_30default_config_static_selectorELNS0_4arch9wavefront6targetE0EEEvSY_.has_recursion, 0
	.set _ZN7rocprim17ROCPRIM_400000_NS6detail17trampoline_kernelINS0_13select_configILj256ELj13ELNS0_17block_load_methodE3ELS4_3ELS4_3ELNS0_20block_scan_algorithmE0ELj4294967295EEENS1_25partition_config_selectorILNS1_17partition_subalgoE3EjNS0_10empty_typeEbEEZZNS1_14partition_implILS8_3ELb0ES6_jNS0_17counting_iteratorIjlEEPS9_SE_NS0_5tupleIJPjSE_EEENSF_IJSE_SE_EEES9_SG_JZNS1_25segmented_radix_sort_implINS0_14default_configELb1EPKbPbPKlPlN2at6native12_GLOBAL__N_18offset_tEEE10hipError_tPvRmT1_PNSt15iterator_traitsISY_E10value_typeET2_T3_PNSZ_IS14_E10value_typeET4_jRbjT5_S1A_jjP12ihipStream_tbEUljE_EEESV_SW_SX_S14_S18_S1A_T6_T7_T9_mT8_S1C_bDpT10_ENKUlT_T0_E_clISt17integral_constantIbLb0EES1O_IbLb1EEEEDaS1K_S1L_EUlS1K_E_NS1_11comp_targetILNS1_3genE0ELNS1_11target_archE4294967295ELNS1_3gpuE0ELNS1_3repE0EEENS1_30default_config_static_selectorELNS0_4arch9wavefront6targetE0EEEvSY_.has_indirect_call, 0
	.section	.AMDGPU.csdata,"",@progbits
; Kernel info:
; codeLenInByte = 9040
; TotalNumSgprs: 26
; NumVgprs: 72
; ScratchSize: 0
; MemoryBound: 0
; FloatMode: 240
; IeeeMode: 1
; LDSByteSize: 13320 bytes/workgroup (compile time only)
; SGPRBlocks: 0
; VGPRBlocks: 4
; NumSGPRsForWavesPerEU: 26
; NumVGPRsForWavesPerEU: 72
; NamedBarCnt: 0
; Occupancy: 12
; WaveLimiterHint : 0
; COMPUTE_PGM_RSRC2:SCRATCH_EN: 0
; COMPUTE_PGM_RSRC2:USER_SGPR: 2
; COMPUTE_PGM_RSRC2:TRAP_HANDLER: 0
; COMPUTE_PGM_RSRC2:TGID_X_EN: 1
; COMPUTE_PGM_RSRC2:TGID_Y_EN: 0
; COMPUTE_PGM_RSRC2:TGID_Z_EN: 0
; COMPUTE_PGM_RSRC2:TIDIG_COMP_CNT: 0
	.section	.text._ZN7rocprim17ROCPRIM_400000_NS6detail17trampoline_kernelINS0_13select_configILj256ELj13ELNS0_17block_load_methodE3ELS4_3ELS4_3ELNS0_20block_scan_algorithmE0ELj4294967295EEENS1_25partition_config_selectorILNS1_17partition_subalgoE3EjNS0_10empty_typeEbEEZZNS1_14partition_implILS8_3ELb0ES6_jNS0_17counting_iteratorIjlEEPS9_SE_NS0_5tupleIJPjSE_EEENSF_IJSE_SE_EEES9_SG_JZNS1_25segmented_radix_sort_implINS0_14default_configELb1EPKbPbPKlPlN2at6native12_GLOBAL__N_18offset_tEEE10hipError_tPvRmT1_PNSt15iterator_traitsISY_E10value_typeET2_T3_PNSZ_IS14_E10value_typeET4_jRbjT5_S1A_jjP12ihipStream_tbEUljE_EEESV_SW_SX_S14_S18_S1A_T6_T7_T9_mT8_S1C_bDpT10_ENKUlT_T0_E_clISt17integral_constantIbLb0EES1O_IbLb1EEEEDaS1K_S1L_EUlS1K_E_NS1_11comp_targetILNS1_3genE5ELNS1_11target_archE942ELNS1_3gpuE9ELNS1_3repE0EEENS1_30default_config_static_selectorELNS0_4arch9wavefront6targetE0EEEvSY_,"axG",@progbits,_ZN7rocprim17ROCPRIM_400000_NS6detail17trampoline_kernelINS0_13select_configILj256ELj13ELNS0_17block_load_methodE3ELS4_3ELS4_3ELNS0_20block_scan_algorithmE0ELj4294967295EEENS1_25partition_config_selectorILNS1_17partition_subalgoE3EjNS0_10empty_typeEbEEZZNS1_14partition_implILS8_3ELb0ES6_jNS0_17counting_iteratorIjlEEPS9_SE_NS0_5tupleIJPjSE_EEENSF_IJSE_SE_EEES9_SG_JZNS1_25segmented_radix_sort_implINS0_14default_configELb1EPKbPbPKlPlN2at6native12_GLOBAL__N_18offset_tEEE10hipError_tPvRmT1_PNSt15iterator_traitsISY_E10value_typeET2_T3_PNSZ_IS14_E10value_typeET4_jRbjT5_S1A_jjP12ihipStream_tbEUljE_EEESV_SW_SX_S14_S18_S1A_T6_T7_T9_mT8_S1C_bDpT10_ENKUlT_T0_E_clISt17integral_constantIbLb0EES1O_IbLb1EEEEDaS1K_S1L_EUlS1K_E_NS1_11comp_targetILNS1_3genE5ELNS1_11target_archE942ELNS1_3gpuE9ELNS1_3repE0EEENS1_30default_config_static_selectorELNS0_4arch9wavefront6targetE0EEEvSY_,comdat
	.globl	_ZN7rocprim17ROCPRIM_400000_NS6detail17trampoline_kernelINS0_13select_configILj256ELj13ELNS0_17block_load_methodE3ELS4_3ELS4_3ELNS0_20block_scan_algorithmE0ELj4294967295EEENS1_25partition_config_selectorILNS1_17partition_subalgoE3EjNS0_10empty_typeEbEEZZNS1_14partition_implILS8_3ELb0ES6_jNS0_17counting_iteratorIjlEEPS9_SE_NS0_5tupleIJPjSE_EEENSF_IJSE_SE_EEES9_SG_JZNS1_25segmented_radix_sort_implINS0_14default_configELb1EPKbPbPKlPlN2at6native12_GLOBAL__N_18offset_tEEE10hipError_tPvRmT1_PNSt15iterator_traitsISY_E10value_typeET2_T3_PNSZ_IS14_E10value_typeET4_jRbjT5_S1A_jjP12ihipStream_tbEUljE_EEESV_SW_SX_S14_S18_S1A_T6_T7_T9_mT8_S1C_bDpT10_ENKUlT_T0_E_clISt17integral_constantIbLb0EES1O_IbLb1EEEEDaS1K_S1L_EUlS1K_E_NS1_11comp_targetILNS1_3genE5ELNS1_11target_archE942ELNS1_3gpuE9ELNS1_3repE0EEENS1_30default_config_static_selectorELNS0_4arch9wavefront6targetE0EEEvSY_ ; -- Begin function _ZN7rocprim17ROCPRIM_400000_NS6detail17trampoline_kernelINS0_13select_configILj256ELj13ELNS0_17block_load_methodE3ELS4_3ELS4_3ELNS0_20block_scan_algorithmE0ELj4294967295EEENS1_25partition_config_selectorILNS1_17partition_subalgoE3EjNS0_10empty_typeEbEEZZNS1_14partition_implILS8_3ELb0ES6_jNS0_17counting_iteratorIjlEEPS9_SE_NS0_5tupleIJPjSE_EEENSF_IJSE_SE_EEES9_SG_JZNS1_25segmented_radix_sort_implINS0_14default_configELb1EPKbPbPKlPlN2at6native12_GLOBAL__N_18offset_tEEE10hipError_tPvRmT1_PNSt15iterator_traitsISY_E10value_typeET2_T3_PNSZ_IS14_E10value_typeET4_jRbjT5_S1A_jjP12ihipStream_tbEUljE_EEESV_SW_SX_S14_S18_S1A_T6_T7_T9_mT8_S1C_bDpT10_ENKUlT_T0_E_clISt17integral_constantIbLb0EES1O_IbLb1EEEEDaS1K_S1L_EUlS1K_E_NS1_11comp_targetILNS1_3genE5ELNS1_11target_archE942ELNS1_3gpuE9ELNS1_3repE0EEENS1_30default_config_static_selectorELNS0_4arch9wavefront6targetE0EEEvSY_
	.p2align	8
	.type	_ZN7rocprim17ROCPRIM_400000_NS6detail17trampoline_kernelINS0_13select_configILj256ELj13ELNS0_17block_load_methodE3ELS4_3ELS4_3ELNS0_20block_scan_algorithmE0ELj4294967295EEENS1_25partition_config_selectorILNS1_17partition_subalgoE3EjNS0_10empty_typeEbEEZZNS1_14partition_implILS8_3ELb0ES6_jNS0_17counting_iteratorIjlEEPS9_SE_NS0_5tupleIJPjSE_EEENSF_IJSE_SE_EEES9_SG_JZNS1_25segmented_radix_sort_implINS0_14default_configELb1EPKbPbPKlPlN2at6native12_GLOBAL__N_18offset_tEEE10hipError_tPvRmT1_PNSt15iterator_traitsISY_E10value_typeET2_T3_PNSZ_IS14_E10value_typeET4_jRbjT5_S1A_jjP12ihipStream_tbEUljE_EEESV_SW_SX_S14_S18_S1A_T6_T7_T9_mT8_S1C_bDpT10_ENKUlT_T0_E_clISt17integral_constantIbLb0EES1O_IbLb1EEEEDaS1K_S1L_EUlS1K_E_NS1_11comp_targetILNS1_3genE5ELNS1_11target_archE942ELNS1_3gpuE9ELNS1_3repE0EEENS1_30default_config_static_selectorELNS0_4arch9wavefront6targetE0EEEvSY_,@function
_ZN7rocprim17ROCPRIM_400000_NS6detail17trampoline_kernelINS0_13select_configILj256ELj13ELNS0_17block_load_methodE3ELS4_3ELS4_3ELNS0_20block_scan_algorithmE0ELj4294967295EEENS1_25partition_config_selectorILNS1_17partition_subalgoE3EjNS0_10empty_typeEbEEZZNS1_14partition_implILS8_3ELb0ES6_jNS0_17counting_iteratorIjlEEPS9_SE_NS0_5tupleIJPjSE_EEENSF_IJSE_SE_EEES9_SG_JZNS1_25segmented_radix_sort_implINS0_14default_configELb1EPKbPbPKlPlN2at6native12_GLOBAL__N_18offset_tEEE10hipError_tPvRmT1_PNSt15iterator_traitsISY_E10value_typeET2_T3_PNSZ_IS14_E10value_typeET4_jRbjT5_S1A_jjP12ihipStream_tbEUljE_EEESV_SW_SX_S14_S18_S1A_T6_T7_T9_mT8_S1C_bDpT10_ENKUlT_T0_E_clISt17integral_constantIbLb0EES1O_IbLb1EEEEDaS1K_S1L_EUlS1K_E_NS1_11comp_targetILNS1_3genE5ELNS1_11target_archE942ELNS1_3gpuE9ELNS1_3repE0EEENS1_30default_config_static_selectorELNS0_4arch9wavefront6targetE0EEEvSY_: ; @_ZN7rocprim17ROCPRIM_400000_NS6detail17trampoline_kernelINS0_13select_configILj256ELj13ELNS0_17block_load_methodE3ELS4_3ELS4_3ELNS0_20block_scan_algorithmE0ELj4294967295EEENS1_25partition_config_selectorILNS1_17partition_subalgoE3EjNS0_10empty_typeEbEEZZNS1_14partition_implILS8_3ELb0ES6_jNS0_17counting_iteratorIjlEEPS9_SE_NS0_5tupleIJPjSE_EEENSF_IJSE_SE_EEES9_SG_JZNS1_25segmented_radix_sort_implINS0_14default_configELb1EPKbPbPKlPlN2at6native12_GLOBAL__N_18offset_tEEE10hipError_tPvRmT1_PNSt15iterator_traitsISY_E10value_typeET2_T3_PNSZ_IS14_E10value_typeET4_jRbjT5_S1A_jjP12ihipStream_tbEUljE_EEESV_SW_SX_S14_S18_S1A_T6_T7_T9_mT8_S1C_bDpT10_ENKUlT_T0_E_clISt17integral_constantIbLb0EES1O_IbLb1EEEEDaS1K_S1L_EUlS1K_E_NS1_11comp_targetILNS1_3genE5ELNS1_11target_archE942ELNS1_3gpuE9ELNS1_3repE0EEENS1_30default_config_static_selectorELNS0_4arch9wavefront6targetE0EEEvSY_
; %bb.0:
	.section	.rodata,"a",@progbits
	.p2align	6, 0x0
	.amdhsa_kernel _ZN7rocprim17ROCPRIM_400000_NS6detail17trampoline_kernelINS0_13select_configILj256ELj13ELNS0_17block_load_methodE3ELS4_3ELS4_3ELNS0_20block_scan_algorithmE0ELj4294967295EEENS1_25partition_config_selectorILNS1_17partition_subalgoE3EjNS0_10empty_typeEbEEZZNS1_14partition_implILS8_3ELb0ES6_jNS0_17counting_iteratorIjlEEPS9_SE_NS0_5tupleIJPjSE_EEENSF_IJSE_SE_EEES9_SG_JZNS1_25segmented_radix_sort_implINS0_14default_configELb1EPKbPbPKlPlN2at6native12_GLOBAL__N_18offset_tEEE10hipError_tPvRmT1_PNSt15iterator_traitsISY_E10value_typeET2_T3_PNSZ_IS14_E10value_typeET4_jRbjT5_S1A_jjP12ihipStream_tbEUljE_EEESV_SW_SX_S14_S18_S1A_T6_T7_T9_mT8_S1C_bDpT10_ENKUlT_T0_E_clISt17integral_constantIbLb0EES1O_IbLb1EEEEDaS1K_S1L_EUlS1K_E_NS1_11comp_targetILNS1_3genE5ELNS1_11target_archE942ELNS1_3gpuE9ELNS1_3repE0EEENS1_30default_config_static_selectorELNS0_4arch9wavefront6targetE0EEEvSY_
		.amdhsa_group_segment_fixed_size 0
		.amdhsa_private_segment_fixed_size 0
		.amdhsa_kernarg_size 152
		.amdhsa_user_sgpr_count 2
		.amdhsa_user_sgpr_dispatch_ptr 0
		.amdhsa_user_sgpr_queue_ptr 0
		.amdhsa_user_sgpr_kernarg_segment_ptr 1
		.amdhsa_user_sgpr_dispatch_id 0
		.amdhsa_user_sgpr_kernarg_preload_length 0
		.amdhsa_user_sgpr_kernarg_preload_offset 0
		.amdhsa_user_sgpr_private_segment_size 0
		.amdhsa_wavefront_size32 1
		.amdhsa_uses_dynamic_stack 0
		.amdhsa_enable_private_segment 0
		.amdhsa_system_sgpr_workgroup_id_x 1
		.amdhsa_system_sgpr_workgroup_id_y 0
		.amdhsa_system_sgpr_workgroup_id_z 0
		.amdhsa_system_sgpr_workgroup_info 0
		.amdhsa_system_vgpr_workitem_id 0
		.amdhsa_next_free_vgpr 1
		.amdhsa_next_free_sgpr 1
		.amdhsa_named_barrier_count 0
		.amdhsa_reserve_vcc 0
		.amdhsa_float_round_mode_32 0
		.amdhsa_float_round_mode_16_64 0
		.amdhsa_float_denorm_mode_32 3
		.amdhsa_float_denorm_mode_16_64 3
		.amdhsa_fp16_overflow 0
		.amdhsa_memory_ordered 1
		.amdhsa_forward_progress 1
		.amdhsa_inst_pref_size 0
		.amdhsa_round_robin_scheduling 0
		.amdhsa_exception_fp_ieee_invalid_op 0
		.amdhsa_exception_fp_denorm_src 0
		.amdhsa_exception_fp_ieee_div_zero 0
		.amdhsa_exception_fp_ieee_overflow 0
		.amdhsa_exception_fp_ieee_underflow 0
		.amdhsa_exception_fp_ieee_inexact 0
		.amdhsa_exception_int_div_zero 0
	.end_amdhsa_kernel
	.section	.text._ZN7rocprim17ROCPRIM_400000_NS6detail17trampoline_kernelINS0_13select_configILj256ELj13ELNS0_17block_load_methodE3ELS4_3ELS4_3ELNS0_20block_scan_algorithmE0ELj4294967295EEENS1_25partition_config_selectorILNS1_17partition_subalgoE3EjNS0_10empty_typeEbEEZZNS1_14partition_implILS8_3ELb0ES6_jNS0_17counting_iteratorIjlEEPS9_SE_NS0_5tupleIJPjSE_EEENSF_IJSE_SE_EEES9_SG_JZNS1_25segmented_radix_sort_implINS0_14default_configELb1EPKbPbPKlPlN2at6native12_GLOBAL__N_18offset_tEEE10hipError_tPvRmT1_PNSt15iterator_traitsISY_E10value_typeET2_T3_PNSZ_IS14_E10value_typeET4_jRbjT5_S1A_jjP12ihipStream_tbEUljE_EEESV_SW_SX_S14_S18_S1A_T6_T7_T9_mT8_S1C_bDpT10_ENKUlT_T0_E_clISt17integral_constantIbLb0EES1O_IbLb1EEEEDaS1K_S1L_EUlS1K_E_NS1_11comp_targetILNS1_3genE5ELNS1_11target_archE942ELNS1_3gpuE9ELNS1_3repE0EEENS1_30default_config_static_selectorELNS0_4arch9wavefront6targetE0EEEvSY_,"axG",@progbits,_ZN7rocprim17ROCPRIM_400000_NS6detail17trampoline_kernelINS0_13select_configILj256ELj13ELNS0_17block_load_methodE3ELS4_3ELS4_3ELNS0_20block_scan_algorithmE0ELj4294967295EEENS1_25partition_config_selectorILNS1_17partition_subalgoE3EjNS0_10empty_typeEbEEZZNS1_14partition_implILS8_3ELb0ES6_jNS0_17counting_iteratorIjlEEPS9_SE_NS0_5tupleIJPjSE_EEENSF_IJSE_SE_EEES9_SG_JZNS1_25segmented_radix_sort_implINS0_14default_configELb1EPKbPbPKlPlN2at6native12_GLOBAL__N_18offset_tEEE10hipError_tPvRmT1_PNSt15iterator_traitsISY_E10value_typeET2_T3_PNSZ_IS14_E10value_typeET4_jRbjT5_S1A_jjP12ihipStream_tbEUljE_EEESV_SW_SX_S14_S18_S1A_T6_T7_T9_mT8_S1C_bDpT10_ENKUlT_T0_E_clISt17integral_constantIbLb0EES1O_IbLb1EEEEDaS1K_S1L_EUlS1K_E_NS1_11comp_targetILNS1_3genE5ELNS1_11target_archE942ELNS1_3gpuE9ELNS1_3repE0EEENS1_30default_config_static_selectorELNS0_4arch9wavefront6targetE0EEEvSY_,comdat
.Lfunc_end1517:
	.size	_ZN7rocprim17ROCPRIM_400000_NS6detail17trampoline_kernelINS0_13select_configILj256ELj13ELNS0_17block_load_methodE3ELS4_3ELS4_3ELNS0_20block_scan_algorithmE0ELj4294967295EEENS1_25partition_config_selectorILNS1_17partition_subalgoE3EjNS0_10empty_typeEbEEZZNS1_14partition_implILS8_3ELb0ES6_jNS0_17counting_iteratorIjlEEPS9_SE_NS0_5tupleIJPjSE_EEENSF_IJSE_SE_EEES9_SG_JZNS1_25segmented_radix_sort_implINS0_14default_configELb1EPKbPbPKlPlN2at6native12_GLOBAL__N_18offset_tEEE10hipError_tPvRmT1_PNSt15iterator_traitsISY_E10value_typeET2_T3_PNSZ_IS14_E10value_typeET4_jRbjT5_S1A_jjP12ihipStream_tbEUljE_EEESV_SW_SX_S14_S18_S1A_T6_T7_T9_mT8_S1C_bDpT10_ENKUlT_T0_E_clISt17integral_constantIbLb0EES1O_IbLb1EEEEDaS1K_S1L_EUlS1K_E_NS1_11comp_targetILNS1_3genE5ELNS1_11target_archE942ELNS1_3gpuE9ELNS1_3repE0EEENS1_30default_config_static_selectorELNS0_4arch9wavefront6targetE0EEEvSY_, .Lfunc_end1517-_ZN7rocprim17ROCPRIM_400000_NS6detail17trampoline_kernelINS0_13select_configILj256ELj13ELNS0_17block_load_methodE3ELS4_3ELS4_3ELNS0_20block_scan_algorithmE0ELj4294967295EEENS1_25partition_config_selectorILNS1_17partition_subalgoE3EjNS0_10empty_typeEbEEZZNS1_14partition_implILS8_3ELb0ES6_jNS0_17counting_iteratorIjlEEPS9_SE_NS0_5tupleIJPjSE_EEENSF_IJSE_SE_EEES9_SG_JZNS1_25segmented_radix_sort_implINS0_14default_configELb1EPKbPbPKlPlN2at6native12_GLOBAL__N_18offset_tEEE10hipError_tPvRmT1_PNSt15iterator_traitsISY_E10value_typeET2_T3_PNSZ_IS14_E10value_typeET4_jRbjT5_S1A_jjP12ihipStream_tbEUljE_EEESV_SW_SX_S14_S18_S1A_T6_T7_T9_mT8_S1C_bDpT10_ENKUlT_T0_E_clISt17integral_constantIbLb0EES1O_IbLb1EEEEDaS1K_S1L_EUlS1K_E_NS1_11comp_targetILNS1_3genE5ELNS1_11target_archE942ELNS1_3gpuE9ELNS1_3repE0EEENS1_30default_config_static_selectorELNS0_4arch9wavefront6targetE0EEEvSY_
                                        ; -- End function
	.set _ZN7rocprim17ROCPRIM_400000_NS6detail17trampoline_kernelINS0_13select_configILj256ELj13ELNS0_17block_load_methodE3ELS4_3ELS4_3ELNS0_20block_scan_algorithmE0ELj4294967295EEENS1_25partition_config_selectorILNS1_17partition_subalgoE3EjNS0_10empty_typeEbEEZZNS1_14partition_implILS8_3ELb0ES6_jNS0_17counting_iteratorIjlEEPS9_SE_NS0_5tupleIJPjSE_EEENSF_IJSE_SE_EEES9_SG_JZNS1_25segmented_radix_sort_implINS0_14default_configELb1EPKbPbPKlPlN2at6native12_GLOBAL__N_18offset_tEEE10hipError_tPvRmT1_PNSt15iterator_traitsISY_E10value_typeET2_T3_PNSZ_IS14_E10value_typeET4_jRbjT5_S1A_jjP12ihipStream_tbEUljE_EEESV_SW_SX_S14_S18_S1A_T6_T7_T9_mT8_S1C_bDpT10_ENKUlT_T0_E_clISt17integral_constantIbLb0EES1O_IbLb1EEEEDaS1K_S1L_EUlS1K_E_NS1_11comp_targetILNS1_3genE5ELNS1_11target_archE942ELNS1_3gpuE9ELNS1_3repE0EEENS1_30default_config_static_selectorELNS0_4arch9wavefront6targetE0EEEvSY_.num_vgpr, 0
	.set _ZN7rocprim17ROCPRIM_400000_NS6detail17trampoline_kernelINS0_13select_configILj256ELj13ELNS0_17block_load_methodE3ELS4_3ELS4_3ELNS0_20block_scan_algorithmE0ELj4294967295EEENS1_25partition_config_selectorILNS1_17partition_subalgoE3EjNS0_10empty_typeEbEEZZNS1_14partition_implILS8_3ELb0ES6_jNS0_17counting_iteratorIjlEEPS9_SE_NS0_5tupleIJPjSE_EEENSF_IJSE_SE_EEES9_SG_JZNS1_25segmented_radix_sort_implINS0_14default_configELb1EPKbPbPKlPlN2at6native12_GLOBAL__N_18offset_tEEE10hipError_tPvRmT1_PNSt15iterator_traitsISY_E10value_typeET2_T3_PNSZ_IS14_E10value_typeET4_jRbjT5_S1A_jjP12ihipStream_tbEUljE_EEESV_SW_SX_S14_S18_S1A_T6_T7_T9_mT8_S1C_bDpT10_ENKUlT_T0_E_clISt17integral_constantIbLb0EES1O_IbLb1EEEEDaS1K_S1L_EUlS1K_E_NS1_11comp_targetILNS1_3genE5ELNS1_11target_archE942ELNS1_3gpuE9ELNS1_3repE0EEENS1_30default_config_static_selectorELNS0_4arch9wavefront6targetE0EEEvSY_.num_agpr, 0
	.set _ZN7rocprim17ROCPRIM_400000_NS6detail17trampoline_kernelINS0_13select_configILj256ELj13ELNS0_17block_load_methodE3ELS4_3ELS4_3ELNS0_20block_scan_algorithmE0ELj4294967295EEENS1_25partition_config_selectorILNS1_17partition_subalgoE3EjNS0_10empty_typeEbEEZZNS1_14partition_implILS8_3ELb0ES6_jNS0_17counting_iteratorIjlEEPS9_SE_NS0_5tupleIJPjSE_EEENSF_IJSE_SE_EEES9_SG_JZNS1_25segmented_radix_sort_implINS0_14default_configELb1EPKbPbPKlPlN2at6native12_GLOBAL__N_18offset_tEEE10hipError_tPvRmT1_PNSt15iterator_traitsISY_E10value_typeET2_T3_PNSZ_IS14_E10value_typeET4_jRbjT5_S1A_jjP12ihipStream_tbEUljE_EEESV_SW_SX_S14_S18_S1A_T6_T7_T9_mT8_S1C_bDpT10_ENKUlT_T0_E_clISt17integral_constantIbLb0EES1O_IbLb1EEEEDaS1K_S1L_EUlS1K_E_NS1_11comp_targetILNS1_3genE5ELNS1_11target_archE942ELNS1_3gpuE9ELNS1_3repE0EEENS1_30default_config_static_selectorELNS0_4arch9wavefront6targetE0EEEvSY_.numbered_sgpr, 0
	.set _ZN7rocprim17ROCPRIM_400000_NS6detail17trampoline_kernelINS0_13select_configILj256ELj13ELNS0_17block_load_methodE3ELS4_3ELS4_3ELNS0_20block_scan_algorithmE0ELj4294967295EEENS1_25partition_config_selectorILNS1_17partition_subalgoE3EjNS0_10empty_typeEbEEZZNS1_14partition_implILS8_3ELb0ES6_jNS0_17counting_iteratorIjlEEPS9_SE_NS0_5tupleIJPjSE_EEENSF_IJSE_SE_EEES9_SG_JZNS1_25segmented_radix_sort_implINS0_14default_configELb1EPKbPbPKlPlN2at6native12_GLOBAL__N_18offset_tEEE10hipError_tPvRmT1_PNSt15iterator_traitsISY_E10value_typeET2_T3_PNSZ_IS14_E10value_typeET4_jRbjT5_S1A_jjP12ihipStream_tbEUljE_EEESV_SW_SX_S14_S18_S1A_T6_T7_T9_mT8_S1C_bDpT10_ENKUlT_T0_E_clISt17integral_constantIbLb0EES1O_IbLb1EEEEDaS1K_S1L_EUlS1K_E_NS1_11comp_targetILNS1_3genE5ELNS1_11target_archE942ELNS1_3gpuE9ELNS1_3repE0EEENS1_30default_config_static_selectorELNS0_4arch9wavefront6targetE0EEEvSY_.num_named_barrier, 0
	.set _ZN7rocprim17ROCPRIM_400000_NS6detail17trampoline_kernelINS0_13select_configILj256ELj13ELNS0_17block_load_methodE3ELS4_3ELS4_3ELNS0_20block_scan_algorithmE0ELj4294967295EEENS1_25partition_config_selectorILNS1_17partition_subalgoE3EjNS0_10empty_typeEbEEZZNS1_14partition_implILS8_3ELb0ES6_jNS0_17counting_iteratorIjlEEPS9_SE_NS0_5tupleIJPjSE_EEENSF_IJSE_SE_EEES9_SG_JZNS1_25segmented_radix_sort_implINS0_14default_configELb1EPKbPbPKlPlN2at6native12_GLOBAL__N_18offset_tEEE10hipError_tPvRmT1_PNSt15iterator_traitsISY_E10value_typeET2_T3_PNSZ_IS14_E10value_typeET4_jRbjT5_S1A_jjP12ihipStream_tbEUljE_EEESV_SW_SX_S14_S18_S1A_T6_T7_T9_mT8_S1C_bDpT10_ENKUlT_T0_E_clISt17integral_constantIbLb0EES1O_IbLb1EEEEDaS1K_S1L_EUlS1K_E_NS1_11comp_targetILNS1_3genE5ELNS1_11target_archE942ELNS1_3gpuE9ELNS1_3repE0EEENS1_30default_config_static_selectorELNS0_4arch9wavefront6targetE0EEEvSY_.private_seg_size, 0
	.set _ZN7rocprim17ROCPRIM_400000_NS6detail17trampoline_kernelINS0_13select_configILj256ELj13ELNS0_17block_load_methodE3ELS4_3ELS4_3ELNS0_20block_scan_algorithmE0ELj4294967295EEENS1_25partition_config_selectorILNS1_17partition_subalgoE3EjNS0_10empty_typeEbEEZZNS1_14partition_implILS8_3ELb0ES6_jNS0_17counting_iteratorIjlEEPS9_SE_NS0_5tupleIJPjSE_EEENSF_IJSE_SE_EEES9_SG_JZNS1_25segmented_radix_sort_implINS0_14default_configELb1EPKbPbPKlPlN2at6native12_GLOBAL__N_18offset_tEEE10hipError_tPvRmT1_PNSt15iterator_traitsISY_E10value_typeET2_T3_PNSZ_IS14_E10value_typeET4_jRbjT5_S1A_jjP12ihipStream_tbEUljE_EEESV_SW_SX_S14_S18_S1A_T6_T7_T9_mT8_S1C_bDpT10_ENKUlT_T0_E_clISt17integral_constantIbLb0EES1O_IbLb1EEEEDaS1K_S1L_EUlS1K_E_NS1_11comp_targetILNS1_3genE5ELNS1_11target_archE942ELNS1_3gpuE9ELNS1_3repE0EEENS1_30default_config_static_selectorELNS0_4arch9wavefront6targetE0EEEvSY_.uses_vcc, 0
	.set _ZN7rocprim17ROCPRIM_400000_NS6detail17trampoline_kernelINS0_13select_configILj256ELj13ELNS0_17block_load_methodE3ELS4_3ELS4_3ELNS0_20block_scan_algorithmE0ELj4294967295EEENS1_25partition_config_selectorILNS1_17partition_subalgoE3EjNS0_10empty_typeEbEEZZNS1_14partition_implILS8_3ELb0ES6_jNS0_17counting_iteratorIjlEEPS9_SE_NS0_5tupleIJPjSE_EEENSF_IJSE_SE_EEES9_SG_JZNS1_25segmented_radix_sort_implINS0_14default_configELb1EPKbPbPKlPlN2at6native12_GLOBAL__N_18offset_tEEE10hipError_tPvRmT1_PNSt15iterator_traitsISY_E10value_typeET2_T3_PNSZ_IS14_E10value_typeET4_jRbjT5_S1A_jjP12ihipStream_tbEUljE_EEESV_SW_SX_S14_S18_S1A_T6_T7_T9_mT8_S1C_bDpT10_ENKUlT_T0_E_clISt17integral_constantIbLb0EES1O_IbLb1EEEEDaS1K_S1L_EUlS1K_E_NS1_11comp_targetILNS1_3genE5ELNS1_11target_archE942ELNS1_3gpuE9ELNS1_3repE0EEENS1_30default_config_static_selectorELNS0_4arch9wavefront6targetE0EEEvSY_.uses_flat_scratch, 0
	.set _ZN7rocprim17ROCPRIM_400000_NS6detail17trampoline_kernelINS0_13select_configILj256ELj13ELNS0_17block_load_methodE3ELS4_3ELS4_3ELNS0_20block_scan_algorithmE0ELj4294967295EEENS1_25partition_config_selectorILNS1_17partition_subalgoE3EjNS0_10empty_typeEbEEZZNS1_14partition_implILS8_3ELb0ES6_jNS0_17counting_iteratorIjlEEPS9_SE_NS0_5tupleIJPjSE_EEENSF_IJSE_SE_EEES9_SG_JZNS1_25segmented_radix_sort_implINS0_14default_configELb1EPKbPbPKlPlN2at6native12_GLOBAL__N_18offset_tEEE10hipError_tPvRmT1_PNSt15iterator_traitsISY_E10value_typeET2_T3_PNSZ_IS14_E10value_typeET4_jRbjT5_S1A_jjP12ihipStream_tbEUljE_EEESV_SW_SX_S14_S18_S1A_T6_T7_T9_mT8_S1C_bDpT10_ENKUlT_T0_E_clISt17integral_constantIbLb0EES1O_IbLb1EEEEDaS1K_S1L_EUlS1K_E_NS1_11comp_targetILNS1_3genE5ELNS1_11target_archE942ELNS1_3gpuE9ELNS1_3repE0EEENS1_30default_config_static_selectorELNS0_4arch9wavefront6targetE0EEEvSY_.has_dyn_sized_stack, 0
	.set _ZN7rocprim17ROCPRIM_400000_NS6detail17trampoline_kernelINS0_13select_configILj256ELj13ELNS0_17block_load_methodE3ELS4_3ELS4_3ELNS0_20block_scan_algorithmE0ELj4294967295EEENS1_25partition_config_selectorILNS1_17partition_subalgoE3EjNS0_10empty_typeEbEEZZNS1_14partition_implILS8_3ELb0ES6_jNS0_17counting_iteratorIjlEEPS9_SE_NS0_5tupleIJPjSE_EEENSF_IJSE_SE_EEES9_SG_JZNS1_25segmented_radix_sort_implINS0_14default_configELb1EPKbPbPKlPlN2at6native12_GLOBAL__N_18offset_tEEE10hipError_tPvRmT1_PNSt15iterator_traitsISY_E10value_typeET2_T3_PNSZ_IS14_E10value_typeET4_jRbjT5_S1A_jjP12ihipStream_tbEUljE_EEESV_SW_SX_S14_S18_S1A_T6_T7_T9_mT8_S1C_bDpT10_ENKUlT_T0_E_clISt17integral_constantIbLb0EES1O_IbLb1EEEEDaS1K_S1L_EUlS1K_E_NS1_11comp_targetILNS1_3genE5ELNS1_11target_archE942ELNS1_3gpuE9ELNS1_3repE0EEENS1_30default_config_static_selectorELNS0_4arch9wavefront6targetE0EEEvSY_.has_recursion, 0
	.set _ZN7rocprim17ROCPRIM_400000_NS6detail17trampoline_kernelINS0_13select_configILj256ELj13ELNS0_17block_load_methodE3ELS4_3ELS4_3ELNS0_20block_scan_algorithmE0ELj4294967295EEENS1_25partition_config_selectorILNS1_17partition_subalgoE3EjNS0_10empty_typeEbEEZZNS1_14partition_implILS8_3ELb0ES6_jNS0_17counting_iteratorIjlEEPS9_SE_NS0_5tupleIJPjSE_EEENSF_IJSE_SE_EEES9_SG_JZNS1_25segmented_radix_sort_implINS0_14default_configELb1EPKbPbPKlPlN2at6native12_GLOBAL__N_18offset_tEEE10hipError_tPvRmT1_PNSt15iterator_traitsISY_E10value_typeET2_T3_PNSZ_IS14_E10value_typeET4_jRbjT5_S1A_jjP12ihipStream_tbEUljE_EEESV_SW_SX_S14_S18_S1A_T6_T7_T9_mT8_S1C_bDpT10_ENKUlT_T0_E_clISt17integral_constantIbLb0EES1O_IbLb1EEEEDaS1K_S1L_EUlS1K_E_NS1_11comp_targetILNS1_3genE5ELNS1_11target_archE942ELNS1_3gpuE9ELNS1_3repE0EEENS1_30default_config_static_selectorELNS0_4arch9wavefront6targetE0EEEvSY_.has_indirect_call, 0
	.section	.AMDGPU.csdata,"",@progbits
; Kernel info:
; codeLenInByte = 0
; TotalNumSgprs: 0
; NumVgprs: 0
; ScratchSize: 0
; MemoryBound: 0
; FloatMode: 240
; IeeeMode: 1
; LDSByteSize: 0 bytes/workgroup (compile time only)
; SGPRBlocks: 0
; VGPRBlocks: 0
; NumSGPRsForWavesPerEU: 1
; NumVGPRsForWavesPerEU: 1
; NamedBarCnt: 0
; Occupancy: 16
; WaveLimiterHint : 0
; COMPUTE_PGM_RSRC2:SCRATCH_EN: 0
; COMPUTE_PGM_RSRC2:USER_SGPR: 2
; COMPUTE_PGM_RSRC2:TRAP_HANDLER: 0
; COMPUTE_PGM_RSRC2:TGID_X_EN: 1
; COMPUTE_PGM_RSRC2:TGID_Y_EN: 0
; COMPUTE_PGM_RSRC2:TGID_Z_EN: 0
; COMPUTE_PGM_RSRC2:TIDIG_COMP_CNT: 0
	.section	.text._ZN7rocprim17ROCPRIM_400000_NS6detail17trampoline_kernelINS0_13select_configILj256ELj13ELNS0_17block_load_methodE3ELS4_3ELS4_3ELNS0_20block_scan_algorithmE0ELj4294967295EEENS1_25partition_config_selectorILNS1_17partition_subalgoE3EjNS0_10empty_typeEbEEZZNS1_14partition_implILS8_3ELb0ES6_jNS0_17counting_iteratorIjlEEPS9_SE_NS0_5tupleIJPjSE_EEENSF_IJSE_SE_EEES9_SG_JZNS1_25segmented_radix_sort_implINS0_14default_configELb1EPKbPbPKlPlN2at6native12_GLOBAL__N_18offset_tEEE10hipError_tPvRmT1_PNSt15iterator_traitsISY_E10value_typeET2_T3_PNSZ_IS14_E10value_typeET4_jRbjT5_S1A_jjP12ihipStream_tbEUljE_EEESV_SW_SX_S14_S18_S1A_T6_T7_T9_mT8_S1C_bDpT10_ENKUlT_T0_E_clISt17integral_constantIbLb0EES1O_IbLb1EEEEDaS1K_S1L_EUlS1K_E_NS1_11comp_targetILNS1_3genE4ELNS1_11target_archE910ELNS1_3gpuE8ELNS1_3repE0EEENS1_30default_config_static_selectorELNS0_4arch9wavefront6targetE0EEEvSY_,"axG",@progbits,_ZN7rocprim17ROCPRIM_400000_NS6detail17trampoline_kernelINS0_13select_configILj256ELj13ELNS0_17block_load_methodE3ELS4_3ELS4_3ELNS0_20block_scan_algorithmE0ELj4294967295EEENS1_25partition_config_selectorILNS1_17partition_subalgoE3EjNS0_10empty_typeEbEEZZNS1_14partition_implILS8_3ELb0ES6_jNS0_17counting_iteratorIjlEEPS9_SE_NS0_5tupleIJPjSE_EEENSF_IJSE_SE_EEES9_SG_JZNS1_25segmented_radix_sort_implINS0_14default_configELb1EPKbPbPKlPlN2at6native12_GLOBAL__N_18offset_tEEE10hipError_tPvRmT1_PNSt15iterator_traitsISY_E10value_typeET2_T3_PNSZ_IS14_E10value_typeET4_jRbjT5_S1A_jjP12ihipStream_tbEUljE_EEESV_SW_SX_S14_S18_S1A_T6_T7_T9_mT8_S1C_bDpT10_ENKUlT_T0_E_clISt17integral_constantIbLb0EES1O_IbLb1EEEEDaS1K_S1L_EUlS1K_E_NS1_11comp_targetILNS1_3genE4ELNS1_11target_archE910ELNS1_3gpuE8ELNS1_3repE0EEENS1_30default_config_static_selectorELNS0_4arch9wavefront6targetE0EEEvSY_,comdat
	.globl	_ZN7rocprim17ROCPRIM_400000_NS6detail17trampoline_kernelINS0_13select_configILj256ELj13ELNS0_17block_load_methodE3ELS4_3ELS4_3ELNS0_20block_scan_algorithmE0ELj4294967295EEENS1_25partition_config_selectorILNS1_17partition_subalgoE3EjNS0_10empty_typeEbEEZZNS1_14partition_implILS8_3ELb0ES6_jNS0_17counting_iteratorIjlEEPS9_SE_NS0_5tupleIJPjSE_EEENSF_IJSE_SE_EEES9_SG_JZNS1_25segmented_radix_sort_implINS0_14default_configELb1EPKbPbPKlPlN2at6native12_GLOBAL__N_18offset_tEEE10hipError_tPvRmT1_PNSt15iterator_traitsISY_E10value_typeET2_T3_PNSZ_IS14_E10value_typeET4_jRbjT5_S1A_jjP12ihipStream_tbEUljE_EEESV_SW_SX_S14_S18_S1A_T6_T7_T9_mT8_S1C_bDpT10_ENKUlT_T0_E_clISt17integral_constantIbLb0EES1O_IbLb1EEEEDaS1K_S1L_EUlS1K_E_NS1_11comp_targetILNS1_3genE4ELNS1_11target_archE910ELNS1_3gpuE8ELNS1_3repE0EEENS1_30default_config_static_selectorELNS0_4arch9wavefront6targetE0EEEvSY_ ; -- Begin function _ZN7rocprim17ROCPRIM_400000_NS6detail17trampoline_kernelINS0_13select_configILj256ELj13ELNS0_17block_load_methodE3ELS4_3ELS4_3ELNS0_20block_scan_algorithmE0ELj4294967295EEENS1_25partition_config_selectorILNS1_17partition_subalgoE3EjNS0_10empty_typeEbEEZZNS1_14partition_implILS8_3ELb0ES6_jNS0_17counting_iteratorIjlEEPS9_SE_NS0_5tupleIJPjSE_EEENSF_IJSE_SE_EEES9_SG_JZNS1_25segmented_radix_sort_implINS0_14default_configELb1EPKbPbPKlPlN2at6native12_GLOBAL__N_18offset_tEEE10hipError_tPvRmT1_PNSt15iterator_traitsISY_E10value_typeET2_T3_PNSZ_IS14_E10value_typeET4_jRbjT5_S1A_jjP12ihipStream_tbEUljE_EEESV_SW_SX_S14_S18_S1A_T6_T7_T9_mT8_S1C_bDpT10_ENKUlT_T0_E_clISt17integral_constantIbLb0EES1O_IbLb1EEEEDaS1K_S1L_EUlS1K_E_NS1_11comp_targetILNS1_3genE4ELNS1_11target_archE910ELNS1_3gpuE8ELNS1_3repE0EEENS1_30default_config_static_selectorELNS0_4arch9wavefront6targetE0EEEvSY_
	.p2align	8
	.type	_ZN7rocprim17ROCPRIM_400000_NS6detail17trampoline_kernelINS0_13select_configILj256ELj13ELNS0_17block_load_methodE3ELS4_3ELS4_3ELNS0_20block_scan_algorithmE0ELj4294967295EEENS1_25partition_config_selectorILNS1_17partition_subalgoE3EjNS0_10empty_typeEbEEZZNS1_14partition_implILS8_3ELb0ES6_jNS0_17counting_iteratorIjlEEPS9_SE_NS0_5tupleIJPjSE_EEENSF_IJSE_SE_EEES9_SG_JZNS1_25segmented_radix_sort_implINS0_14default_configELb1EPKbPbPKlPlN2at6native12_GLOBAL__N_18offset_tEEE10hipError_tPvRmT1_PNSt15iterator_traitsISY_E10value_typeET2_T3_PNSZ_IS14_E10value_typeET4_jRbjT5_S1A_jjP12ihipStream_tbEUljE_EEESV_SW_SX_S14_S18_S1A_T6_T7_T9_mT8_S1C_bDpT10_ENKUlT_T0_E_clISt17integral_constantIbLb0EES1O_IbLb1EEEEDaS1K_S1L_EUlS1K_E_NS1_11comp_targetILNS1_3genE4ELNS1_11target_archE910ELNS1_3gpuE8ELNS1_3repE0EEENS1_30default_config_static_selectorELNS0_4arch9wavefront6targetE0EEEvSY_,@function
_ZN7rocprim17ROCPRIM_400000_NS6detail17trampoline_kernelINS0_13select_configILj256ELj13ELNS0_17block_load_methodE3ELS4_3ELS4_3ELNS0_20block_scan_algorithmE0ELj4294967295EEENS1_25partition_config_selectorILNS1_17partition_subalgoE3EjNS0_10empty_typeEbEEZZNS1_14partition_implILS8_3ELb0ES6_jNS0_17counting_iteratorIjlEEPS9_SE_NS0_5tupleIJPjSE_EEENSF_IJSE_SE_EEES9_SG_JZNS1_25segmented_radix_sort_implINS0_14default_configELb1EPKbPbPKlPlN2at6native12_GLOBAL__N_18offset_tEEE10hipError_tPvRmT1_PNSt15iterator_traitsISY_E10value_typeET2_T3_PNSZ_IS14_E10value_typeET4_jRbjT5_S1A_jjP12ihipStream_tbEUljE_EEESV_SW_SX_S14_S18_S1A_T6_T7_T9_mT8_S1C_bDpT10_ENKUlT_T0_E_clISt17integral_constantIbLb0EES1O_IbLb1EEEEDaS1K_S1L_EUlS1K_E_NS1_11comp_targetILNS1_3genE4ELNS1_11target_archE910ELNS1_3gpuE8ELNS1_3repE0EEENS1_30default_config_static_selectorELNS0_4arch9wavefront6targetE0EEEvSY_: ; @_ZN7rocprim17ROCPRIM_400000_NS6detail17trampoline_kernelINS0_13select_configILj256ELj13ELNS0_17block_load_methodE3ELS4_3ELS4_3ELNS0_20block_scan_algorithmE0ELj4294967295EEENS1_25partition_config_selectorILNS1_17partition_subalgoE3EjNS0_10empty_typeEbEEZZNS1_14partition_implILS8_3ELb0ES6_jNS0_17counting_iteratorIjlEEPS9_SE_NS0_5tupleIJPjSE_EEENSF_IJSE_SE_EEES9_SG_JZNS1_25segmented_radix_sort_implINS0_14default_configELb1EPKbPbPKlPlN2at6native12_GLOBAL__N_18offset_tEEE10hipError_tPvRmT1_PNSt15iterator_traitsISY_E10value_typeET2_T3_PNSZ_IS14_E10value_typeET4_jRbjT5_S1A_jjP12ihipStream_tbEUljE_EEESV_SW_SX_S14_S18_S1A_T6_T7_T9_mT8_S1C_bDpT10_ENKUlT_T0_E_clISt17integral_constantIbLb0EES1O_IbLb1EEEEDaS1K_S1L_EUlS1K_E_NS1_11comp_targetILNS1_3genE4ELNS1_11target_archE910ELNS1_3gpuE8ELNS1_3repE0EEENS1_30default_config_static_selectorELNS0_4arch9wavefront6targetE0EEEvSY_
; %bb.0:
	.section	.rodata,"a",@progbits
	.p2align	6, 0x0
	.amdhsa_kernel _ZN7rocprim17ROCPRIM_400000_NS6detail17trampoline_kernelINS0_13select_configILj256ELj13ELNS0_17block_load_methodE3ELS4_3ELS4_3ELNS0_20block_scan_algorithmE0ELj4294967295EEENS1_25partition_config_selectorILNS1_17partition_subalgoE3EjNS0_10empty_typeEbEEZZNS1_14partition_implILS8_3ELb0ES6_jNS0_17counting_iteratorIjlEEPS9_SE_NS0_5tupleIJPjSE_EEENSF_IJSE_SE_EEES9_SG_JZNS1_25segmented_radix_sort_implINS0_14default_configELb1EPKbPbPKlPlN2at6native12_GLOBAL__N_18offset_tEEE10hipError_tPvRmT1_PNSt15iterator_traitsISY_E10value_typeET2_T3_PNSZ_IS14_E10value_typeET4_jRbjT5_S1A_jjP12ihipStream_tbEUljE_EEESV_SW_SX_S14_S18_S1A_T6_T7_T9_mT8_S1C_bDpT10_ENKUlT_T0_E_clISt17integral_constantIbLb0EES1O_IbLb1EEEEDaS1K_S1L_EUlS1K_E_NS1_11comp_targetILNS1_3genE4ELNS1_11target_archE910ELNS1_3gpuE8ELNS1_3repE0EEENS1_30default_config_static_selectorELNS0_4arch9wavefront6targetE0EEEvSY_
		.amdhsa_group_segment_fixed_size 0
		.amdhsa_private_segment_fixed_size 0
		.amdhsa_kernarg_size 152
		.amdhsa_user_sgpr_count 2
		.amdhsa_user_sgpr_dispatch_ptr 0
		.amdhsa_user_sgpr_queue_ptr 0
		.amdhsa_user_sgpr_kernarg_segment_ptr 1
		.amdhsa_user_sgpr_dispatch_id 0
		.amdhsa_user_sgpr_kernarg_preload_length 0
		.amdhsa_user_sgpr_kernarg_preload_offset 0
		.amdhsa_user_sgpr_private_segment_size 0
		.amdhsa_wavefront_size32 1
		.amdhsa_uses_dynamic_stack 0
		.amdhsa_enable_private_segment 0
		.amdhsa_system_sgpr_workgroup_id_x 1
		.amdhsa_system_sgpr_workgroup_id_y 0
		.amdhsa_system_sgpr_workgroup_id_z 0
		.amdhsa_system_sgpr_workgroup_info 0
		.amdhsa_system_vgpr_workitem_id 0
		.amdhsa_next_free_vgpr 1
		.amdhsa_next_free_sgpr 1
		.amdhsa_named_barrier_count 0
		.amdhsa_reserve_vcc 0
		.amdhsa_float_round_mode_32 0
		.amdhsa_float_round_mode_16_64 0
		.amdhsa_float_denorm_mode_32 3
		.amdhsa_float_denorm_mode_16_64 3
		.amdhsa_fp16_overflow 0
		.amdhsa_memory_ordered 1
		.amdhsa_forward_progress 1
		.amdhsa_inst_pref_size 0
		.amdhsa_round_robin_scheduling 0
		.amdhsa_exception_fp_ieee_invalid_op 0
		.amdhsa_exception_fp_denorm_src 0
		.amdhsa_exception_fp_ieee_div_zero 0
		.amdhsa_exception_fp_ieee_overflow 0
		.amdhsa_exception_fp_ieee_underflow 0
		.amdhsa_exception_fp_ieee_inexact 0
		.amdhsa_exception_int_div_zero 0
	.end_amdhsa_kernel
	.section	.text._ZN7rocprim17ROCPRIM_400000_NS6detail17trampoline_kernelINS0_13select_configILj256ELj13ELNS0_17block_load_methodE3ELS4_3ELS4_3ELNS0_20block_scan_algorithmE0ELj4294967295EEENS1_25partition_config_selectorILNS1_17partition_subalgoE3EjNS0_10empty_typeEbEEZZNS1_14partition_implILS8_3ELb0ES6_jNS0_17counting_iteratorIjlEEPS9_SE_NS0_5tupleIJPjSE_EEENSF_IJSE_SE_EEES9_SG_JZNS1_25segmented_radix_sort_implINS0_14default_configELb1EPKbPbPKlPlN2at6native12_GLOBAL__N_18offset_tEEE10hipError_tPvRmT1_PNSt15iterator_traitsISY_E10value_typeET2_T3_PNSZ_IS14_E10value_typeET4_jRbjT5_S1A_jjP12ihipStream_tbEUljE_EEESV_SW_SX_S14_S18_S1A_T6_T7_T9_mT8_S1C_bDpT10_ENKUlT_T0_E_clISt17integral_constantIbLb0EES1O_IbLb1EEEEDaS1K_S1L_EUlS1K_E_NS1_11comp_targetILNS1_3genE4ELNS1_11target_archE910ELNS1_3gpuE8ELNS1_3repE0EEENS1_30default_config_static_selectorELNS0_4arch9wavefront6targetE0EEEvSY_,"axG",@progbits,_ZN7rocprim17ROCPRIM_400000_NS6detail17trampoline_kernelINS0_13select_configILj256ELj13ELNS0_17block_load_methodE3ELS4_3ELS4_3ELNS0_20block_scan_algorithmE0ELj4294967295EEENS1_25partition_config_selectorILNS1_17partition_subalgoE3EjNS0_10empty_typeEbEEZZNS1_14partition_implILS8_3ELb0ES6_jNS0_17counting_iteratorIjlEEPS9_SE_NS0_5tupleIJPjSE_EEENSF_IJSE_SE_EEES9_SG_JZNS1_25segmented_radix_sort_implINS0_14default_configELb1EPKbPbPKlPlN2at6native12_GLOBAL__N_18offset_tEEE10hipError_tPvRmT1_PNSt15iterator_traitsISY_E10value_typeET2_T3_PNSZ_IS14_E10value_typeET4_jRbjT5_S1A_jjP12ihipStream_tbEUljE_EEESV_SW_SX_S14_S18_S1A_T6_T7_T9_mT8_S1C_bDpT10_ENKUlT_T0_E_clISt17integral_constantIbLb0EES1O_IbLb1EEEEDaS1K_S1L_EUlS1K_E_NS1_11comp_targetILNS1_3genE4ELNS1_11target_archE910ELNS1_3gpuE8ELNS1_3repE0EEENS1_30default_config_static_selectorELNS0_4arch9wavefront6targetE0EEEvSY_,comdat
.Lfunc_end1518:
	.size	_ZN7rocprim17ROCPRIM_400000_NS6detail17trampoline_kernelINS0_13select_configILj256ELj13ELNS0_17block_load_methodE3ELS4_3ELS4_3ELNS0_20block_scan_algorithmE0ELj4294967295EEENS1_25partition_config_selectorILNS1_17partition_subalgoE3EjNS0_10empty_typeEbEEZZNS1_14partition_implILS8_3ELb0ES6_jNS0_17counting_iteratorIjlEEPS9_SE_NS0_5tupleIJPjSE_EEENSF_IJSE_SE_EEES9_SG_JZNS1_25segmented_radix_sort_implINS0_14default_configELb1EPKbPbPKlPlN2at6native12_GLOBAL__N_18offset_tEEE10hipError_tPvRmT1_PNSt15iterator_traitsISY_E10value_typeET2_T3_PNSZ_IS14_E10value_typeET4_jRbjT5_S1A_jjP12ihipStream_tbEUljE_EEESV_SW_SX_S14_S18_S1A_T6_T7_T9_mT8_S1C_bDpT10_ENKUlT_T0_E_clISt17integral_constantIbLb0EES1O_IbLb1EEEEDaS1K_S1L_EUlS1K_E_NS1_11comp_targetILNS1_3genE4ELNS1_11target_archE910ELNS1_3gpuE8ELNS1_3repE0EEENS1_30default_config_static_selectorELNS0_4arch9wavefront6targetE0EEEvSY_, .Lfunc_end1518-_ZN7rocprim17ROCPRIM_400000_NS6detail17trampoline_kernelINS0_13select_configILj256ELj13ELNS0_17block_load_methodE3ELS4_3ELS4_3ELNS0_20block_scan_algorithmE0ELj4294967295EEENS1_25partition_config_selectorILNS1_17partition_subalgoE3EjNS0_10empty_typeEbEEZZNS1_14partition_implILS8_3ELb0ES6_jNS0_17counting_iteratorIjlEEPS9_SE_NS0_5tupleIJPjSE_EEENSF_IJSE_SE_EEES9_SG_JZNS1_25segmented_radix_sort_implINS0_14default_configELb1EPKbPbPKlPlN2at6native12_GLOBAL__N_18offset_tEEE10hipError_tPvRmT1_PNSt15iterator_traitsISY_E10value_typeET2_T3_PNSZ_IS14_E10value_typeET4_jRbjT5_S1A_jjP12ihipStream_tbEUljE_EEESV_SW_SX_S14_S18_S1A_T6_T7_T9_mT8_S1C_bDpT10_ENKUlT_T0_E_clISt17integral_constantIbLb0EES1O_IbLb1EEEEDaS1K_S1L_EUlS1K_E_NS1_11comp_targetILNS1_3genE4ELNS1_11target_archE910ELNS1_3gpuE8ELNS1_3repE0EEENS1_30default_config_static_selectorELNS0_4arch9wavefront6targetE0EEEvSY_
                                        ; -- End function
	.set _ZN7rocprim17ROCPRIM_400000_NS6detail17trampoline_kernelINS0_13select_configILj256ELj13ELNS0_17block_load_methodE3ELS4_3ELS4_3ELNS0_20block_scan_algorithmE0ELj4294967295EEENS1_25partition_config_selectorILNS1_17partition_subalgoE3EjNS0_10empty_typeEbEEZZNS1_14partition_implILS8_3ELb0ES6_jNS0_17counting_iteratorIjlEEPS9_SE_NS0_5tupleIJPjSE_EEENSF_IJSE_SE_EEES9_SG_JZNS1_25segmented_radix_sort_implINS0_14default_configELb1EPKbPbPKlPlN2at6native12_GLOBAL__N_18offset_tEEE10hipError_tPvRmT1_PNSt15iterator_traitsISY_E10value_typeET2_T3_PNSZ_IS14_E10value_typeET4_jRbjT5_S1A_jjP12ihipStream_tbEUljE_EEESV_SW_SX_S14_S18_S1A_T6_T7_T9_mT8_S1C_bDpT10_ENKUlT_T0_E_clISt17integral_constantIbLb0EES1O_IbLb1EEEEDaS1K_S1L_EUlS1K_E_NS1_11comp_targetILNS1_3genE4ELNS1_11target_archE910ELNS1_3gpuE8ELNS1_3repE0EEENS1_30default_config_static_selectorELNS0_4arch9wavefront6targetE0EEEvSY_.num_vgpr, 0
	.set _ZN7rocprim17ROCPRIM_400000_NS6detail17trampoline_kernelINS0_13select_configILj256ELj13ELNS0_17block_load_methodE3ELS4_3ELS4_3ELNS0_20block_scan_algorithmE0ELj4294967295EEENS1_25partition_config_selectorILNS1_17partition_subalgoE3EjNS0_10empty_typeEbEEZZNS1_14partition_implILS8_3ELb0ES6_jNS0_17counting_iteratorIjlEEPS9_SE_NS0_5tupleIJPjSE_EEENSF_IJSE_SE_EEES9_SG_JZNS1_25segmented_radix_sort_implINS0_14default_configELb1EPKbPbPKlPlN2at6native12_GLOBAL__N_18offset_tEEE10hipError_tPvRmT1_PNSt15iterator_traitsISY_E10value_typeET2_T3_PNSZ_IS14_E10value_typeET4_jRbjT5_S1A_jjP12ihipStream_tbEUljE_EEESV_SW_SX_S14_S18_S1A_T6_T7_T9_mT8_S1C_bDpT10_ENKUlT_T0_E_clISt17integral_constantIbLb0EES1O_IbLb1EEEEDaS1K_S1L_EUlS1K_E_NS1_11comp_targetILNS1_3genE4ELNS1_11target_archE910ELNS1_3gpuE8ELNS1_3repE0EEENS1_30default_config_static_selectorELNS0_4arch9wavefront6targetE0EEEvSY_.num_agpr, 0
	.set _ZN7rocprim17ROCPRIM_400000_NS6detail17trampoline_kernelINS0_13select_configILj256ELj13ELNS0_17block_load_methodE3ELS4_3ELS4_3ELNS0_20block_scan_algorithmE0ELj4294967295EEENS1_25partition_config_selectorILNS1_17partition_subalgoE3EjNS0_10empty_typeEbEEZZNS1_14partition_implILS8_3ELb0ES6_jNS0_17counting_iteratorIjlEEPS9_SE_NS0_5tupleIJPjSE_EEENSF_IJSE_SE_EEES9_SG_JZNS1_25segmented_radix_sort_implINS0_14default_configELb1EPKbPbPKlPlN2at6native12_GLOBAL__N_18offset_tEEE10hipError_tPvRmT1_PNSt15iterator_traitsISY_E10value_typeET2_T3_PNSZ_IS14_E10value_typeET4_jRbjT5_S1A_jjP12ihipStream_tbEUljE_EEESV_SW_SX_S14_S18_S1A_T6_T7_T9_mT8_S1C_bDpT10_ENKUlT_T0_E_clISt17integral_constantIbLb0EES1O_IbLb1EEEEDaS1K_S1L_EUlS1K_E_NS1_11comp_targetILNS1_3genE4ELNS1_11target_archE910ELNS1_3gpuE8ELNS1_3repE0EEENS1_30default_config_static_selectorELNS0_4arch9wavefront6targetE0EEEvSY_.numbered_sgpr, 0
	.set _ZN7rocprim17ROCPRIM_400000_NS6detail17trampoline_kernelINS0_13select_configILj256ELj13ELNS0_17block_load_methodE3ELS4_3ELS4_3ELNS0_20block_scan_algorithmE0ELj4294967295EEENS1_25partition_config_selectorILNS1_17partition_subalgoE3EjNS0_10empty_typeEbEEZZNS1_14partition_implILS8_3ELb0ES6_jNS0_17counting_iteratorIjlEEPS9_SE_NS0_5tupleIJPjSE_EEENSF_IJSE_SE_EEES9_SG_JZNS1_25segmented_radix_sort_implINS0_14default_configELb1EPKbPbPKlPlN2at6native12_GLOBAL__N_18offset_tEEE10hipError_tPvRmT1_PNSt15iterator_traitsISY_E10value_typeET2_T3_PNSZ_IS14_E10value_typeET4_jRbjT5_S1A_jjP12ihipStream_tbEUljE_EEESV_SW_SX_S14_S18_S1A_T6_T7_T9_mT8_S1C_bDpT10_ENKUlT_T0_E_clISt17integral_constantIbLb0EES1O_IbLb1EEEEDaS1K_S1L_EUlS1K_E_NS1_11comp_targetILNS1_3genE4ELNS1_11target_archE910ELNS1_3gpuE8ELNS1_3repE0EEENS1_30default_config_static_selectorELNS0_4arch9wavefront6targetE0EEEvSY_.num_named_barrier, 0
	.set _ZN7rocprim17ROCPRIM_400000_NS6detail17trampoline_kernelINS0_13select_configILj256ELj13ELNS0_17block_load_methodE3ELS4_3ELS4_3ELNS0_20block_scan_algorithmE0ELj4294967295EEENS1_25partition_config_selectorILNS1_17partition_subalgoE3EjNS0_10empty_typeEbEEZZNS1_14partition_implILS8_3ELb0ES6_jNS0_17counting_iteratorIjlEEPS9_SE_NS0_5tupleIJPjSE_EEENSF_IJSE_SE_EEES9_SG_JZNS1_25segmented_radix_sort_implINS0_14default_configELb1EPKbPbPKlPlN2at6native12_GLOBAL__N_18offset_tEEE10hipError_tPvRmT1_PNSt15iterator_traitsISY_E10value_typeET2_T3_PNSZ_IS14_E10value_typeET4_jRbjT5_S1A_jjP12ihipStream_tbEUljE_EEESV_SW_SX_S14_S18_S1A_T6_T7_T9_mT8_S1C_bDpT10_ENKUlT_T0_E_clISt17integral_constantIbLb0EES1O_IbLb1EEEEDaS1K_S1L_EUlS1K_E_NS1_11comp_targetILNS1_3genE4ELNS1_11target_archE910ELNS1_3gpuE8ELNS1_3repE0EEENS1_30default_config_static_selectorELNS0_4arch9wavefront6targetE0EEEvSY_.private_seg_size, 0
	.set _ZN7rocprim17ROCPRIM_400000_NS6detail17trampoline_kernelINS0_13select_configILj256ELj13ELNS0_17block_load_methodE3ELS4_3ELS4_3ELNS0_20block_scan_algorithmE0ELj4294967295EEENS1_25partition_config_selectorILNS1_17partition_subalgoE3EjNS0_10empty_typeEbEEZZNS1_14partition_implILS8_3ELb0ES6_jNS0_17counting_iteratorIjlEEPS9_SE_NS0_5tupleIJPjSE_EEENSF_IJSE_SE_EEES9_SG_JZNS1_25segmented_radix_sort_implINS0_14default_configELb1EPKbPbPKlPlN2at6native12_GLOBAL__N_18offset_tEEE10hipError_tPvRmT1_PNSt15iterator_traitsISY_E10value_typeET2_T3_PNSZ_IS14_E10value_typeET4_jRbjT5_S1A_jjP12ihipStream_tbEUljE_EEESV_SW_SX_S14_S18_S1A_T6_T7_T9_mT8_S1C_bDpT10_ENKUlT_T0_E_clISt17integral_constantIbLb0EES1O_IbLb1EEEEDaS1K_S1L_EUlS1K_E_NS1_11comp_targetILNS1_3genE4ELNS1_11target_archE910ELNS1_3gpuE8ELNS1_3repE0EEENS1_30default_config_static_selectorELNS0_4arch9wavefront6targetE0EEEvSY_.uses_vcc, 0
	.set _ZN7rocprim17ROCPRIM_400000_NS6detail17trampoline_kernelINS0_13select_configILj256ELj13ELNS0_17block_load_methodE3ELS4_3ELS4_3ELNS0_20block_scan_algorithmE0ELj4294967295EEENS1_25partition_config_selectorILNS1_17partition_subalgoE3EjNS0_10empty_typeEbEEZZNS1_14partition_implILS8_3ELb0ES6_jNS0_17counting_iteratorIjlEEPS9_SE_NS0_5tupleIJPjSE_EEENSF_IJSE_SE_EEES9_SG_JZNS1_25segmented_radix_sort_implINS0_14default_configELb1EPKbPbPKlPlN2at6native12_GLOBAL__N_18offset_tEEE10hipError_tPvRmT1_PNSt15iterator_traitsISY_E10value_typeET2_T3_PNSZ_IS14_E10value_typeET4_jRbjT5_S1A_jjP12ihipStream_tbEUljE_EEESV_SW_SX_S14_S18_S1A_T6_T7_T9_mT8_S1C_bDpT10_ENKUlT_T0_E_clISt17integral_constantIbLb0EES1O_IbLb1EEEEDaS1K_S1L_EUlS1K_E_NS1_11comp_targetILNS1_3genE4ELNS1_11target_archE910ELNS1_3gpuE8ELNS1_3repE0EEENS1_30default_config_static_selectorELNS0_4arch9wavefront6targetE0EEEvSY_.uses_flat_scratch, 0
	.set _ZN7rocprim17ROCPRIM_400000_NS6detail17trampoline_kernelINS0_13select_configILj256ELj13ELNS0_17block_load_methodE3ELS4_3ELS4_3ELNS0_20block_scan_algorithmE0ELj4294967295EEENS1_25partition_config_selectorILNS1_17partition_subalgoE3EjNS0_10empty_typeEbEEZZNS1_14partition_implILS8_3ELb0ES6_jNS0_17counting_iteratorIjlEEPS9_SE_NS0_5tupleIJPjSE_EEENSF_IJSE_SE_EEES9_SG_JZNS1_25segmented_radix_sort_implINS0_14default_configELb1EPKbPbPKlPlN2at6native12_GLOBAL__N_18offset_tEEE10hipError_tPvRmT1_PNSt15iterator_traitsISY_E10value_typeET2_T3_PNSZ_IS14_E10value_typeET4_jRbjT5_S1A_jjP12ihipStream_tbEUljE_EEESV_SW_SX_S14_S18_S1A_T6_T7_T9_mT8_S1C_bDpT10_ENKUlT_T0_E_clISt17integral_constantIbLb0EES1O_IbLb1EEEEDaS1K_S1L_EUlS1K_E_NS1_11comp_targetILNS1_3genE4ELNS1_11target_archE910ELNS1_3gpuE8ELNS1_3repE0EEENS1_30default_config_static_selectorELNS0_4arch9wavefront6targetE0EEEvSY_.has_dyn_sized_stack, 0
	.set _ZN7rocprim17ROCPRIM_400000_NS6detail17trampoline_kernelINS0_13select_configILj256ELj13ELNS0_17block_load_methodE3ELS4_3ELS4_3ELNS0_20block_scan_algorithmE0ELj4294967295EEENS1_25partition_config_selectorILNS1_17partition_subalgoE3EjNS0_10empty_typeEbEEZZNS1_14partition_implILS8_3ELb0ES6_jNS0_17counting_iteratorIjlEEPS9_SE_NS0_5tupleIJPjSE_EEENSF_IJSE_SE_EEES9_SG_JZNS1_25segmented_radix_sort_implINS0_14default_configELb1EPKbPbPKlPlN2at6native12_GLOBAL__N_18offset_tEEE10hipError_tPvRmT1_PNSt15iterator_traitsISY_E10value_typeET2_T3_PNSZ_IS14_E10value_typeET4_jRbjT5_S1A_jjP12ihipStream_tbEUljE_EEESV_SW_SX_S14_S18_S1A_T6_T7_T9_mT8_S1C_bDpT10_ENKUlT_T0_E_clISt17integral_constantIbLb0EES1O_IbLb1EEEEDaS1K_S1L_EUlS1K_E_NS1_11comp_targetILNS1_3genE4ELNS1_11target_archE910ELNS1_3gpuE8ELNS1_3repE0EEENS1_30default_config_static_selectorELNS0_4arch9wavefront6targetE0EEEvSY_.has_recursion, 0
	.set _ZN7rocprim17ROCPRIM_400000_NS6detail17trampoline_kernelINS0_13select_configILj256ELj13ELNS0_17block_load_methodE3ELS4_3ELS4_3ELNS0_20block_scan_algorithmE0ELj4294967295EEENS1_25partition_config_selectorILNS1_17partition_subalgoE3EjNS0_10empty_typeEbEEZZNS1_14partition_implILS8_3ELb0ES6_jNS0_17counting_iteratorIjlEEPS9_SE_NS0_5tupleIJPjSE_EEENSF_IJSE_SE_EEES9_SG_JZNS1_25segmented_radix_sort_implINS0_14default_configELb1EPKbPbPKlPlN2at6native12_GLOBAL__N_18offset_tEEE10hipError_tPvRmT1_PNSt15iterator_traitsISY_E10value_typeET2_T3_PNSZ_IS14_E10value_typeET4_jRbjT5_S1A_jjP12ihipStream_tbEUljE_EEESV_SW_SX_S14_S18_S1A_T6_T7_T9_mT8_S1C_bDpT10_ENKUlT_T0_E_clISt17integral_constantIbLb0EES1O_IbLb1EEEEDaS1K_S1L_EUlS1K_E_NS1_11comp_targetILNS1_3genE4ELNS1_11target_archE910ELNS1_3gpuE8ELNS1_3repE0EEENS1_30default_config_static_selectorELNS0_4arch9wavefront6targetE0EEEvSY_.has_indirect_call, 0
	.section	.AMDGPU.csdata,"",@progbits
; Kernel info:
; codeLenInByte = 0
; TotalNumSgprs: 0
; NumVgprs: 0
; ScratchSize: 0
; MemoryBound: 0
; FloatMode: 240
; IeeeMode: 1
; LDSByteSize: 0 bytes/workgroup (compile time only)
; SGPRBlocks: 0
; VGPRBlocks: 0
; NumSGPRsForWavesPerEU: 1
; NumVGPRsForWavesPerEU: 1
; NamedBarCnt: 0
; Occupancy: 16
; WaveLimiterHint : 0
; COMPUTE_PGM_RSRC2:SCRATCH_EN: 0
; COMPUTE_PGM_RSRC2:USER_SGPR: 2
; COMPUTE_PGM_RSRC2:TRAP_HANDLER: 0
; COMPUTE_PGM_RSRC2:TGID_X_EN: 1
; COMPUTE_PGM_RSRC2:TGID_Y_EN: 0
; COMPUTE_PGM_RSRC2:TGID_Z_EN: 0
; COMPUTE_PGM_RSRC2:TIDIG_COMP_CNT: 0
	.section	.text._ZN7rocprim17ROCPRIM_400000_NS6detail17trampoline_kernelINS0_13select_configILj256ELj13ELNS0_17block_load_methodE3ELS4_3ELS4_3ELNS0_20block_scan_algorithmE0ELj4294967295EEENS1_25partition_config_selectorILNS1_17partition_subalgoE3EjNS0_10empty_typeEbEEZZNS1_14partition_implILS8_3ELb0ES6_jNS0_17counting_iteratorIjlEEPS9_SE_NS0_5tupleIJPjSE_EEENSF_IJSE_SE_EEES9_SG_JZNS1_25segmented_radix_sort_implINS0_14default_configELb1EPKbPbPKlPlN2at6native12_GLOBAL__N_18offset_tEEE10hipError_tPvRmT1_PNSt15iterator_traitsISY_E10value_typeET2_T3_PNSZ_IS14_E10value_typeET4_jRbjT5_S1A_jjP12ihipStream_tbEUljE_EEESV_SW_SX_S14_S18_S1A_T6_T7_T9_mT8_S1C_bDpT10_ENKUlT_T0_E_clISt17integral_constantIbLb0EES1O_IbLb1EEEEDaS1K_S1L_EUlS1K_E_NS1_11comp_targetILNS1_3genE3ELNS1_11target_archE908ELNS1_3gpuE7ELNS1_3repE0EEENS1_30default_config_static_selectorELNS0_4arch9wavefront6targetE0EEEvSY_,"axG",@progbits,_ZN7rocprim17ROCPRIM_400000_NS6detail17trampoline_kernelINS0_13select_configILj256ELj13ELNS0_17block_load_methodE3ELS4_3ELS4_3ELNS0_20block_scan_algorithmE0ELj4294967295EEENS1_25partition_config_selectorILNS1_17partition_subalgoE3EjNS0_10empty_typeEbEEZZNS1_14partition_implILS8_3ELb0ES6_jNS0_17counting_iteratorIjlEEPS9_SE_NS0_5tupleIJPjSE_EEENSF_IJSE_SE_EEES9_SG_JZNS1_25segmented_radix_sort_implINS0_14default_configELb1EPKbPbPKlPlN2at6native12_GLOBAL__N_18offset_tEEE10hipError_tPvRmT1_PNSt15iterator_traitsISY_E10value_typeET2_T3_PNSZ_IS14_E10value_typeET4_jRbjT5_S1A_jjP12ihipStream_tbEUljE_EEESV_SW_SX_S14_S18_S1A_T6_T7_T9_mT8_S1C_bDpT10_ENKUlT_T0_E_clISt17integral_constantIbLb0EES1O_IbLb1EEEEDaS1K_S1L_EUlS1K_E_NS1_11comp_targetILNS1_3genE3ELNS1_11target_archE908ELNS1_3gpuE7ELNS1_3repE0EEENS1_30default_config_static_selectorELNS0_4arch9wavefront6targetE0EEEvSY_,comdat
	.globl	_ZN7rocprim17ROCPRIM_400000_NS6detail17trampoline_kernelINS0_13select_configILj256ELj13ELNS0_17block_load_methodE3ELS4_3ELS4_3ELNS0_20block_scan_algorithmE0ELj4294967295EEENS1_25partition_config_selectorILNS1_17partition_subalgoE3EjNS0_10empty_typeEbEEZZNS1_14partition_implILS8_3ELb0ES6_jNS0_17counting_iteratorIjlEEPS9_SE_NS0_5tupleIJPjSE_EEENSF_IJSE_SE_EEES9_SG_JZNS1_25segmented_radix_sort_implINS0_14default_configELb1EPKbPbPKlPlN2at6native12_GLOBAL__N_18offset_tEEE10hipError_tPvRmT1_PNSt15iterator_traitsISY_E10value_typeET2_T3_PNSZ_IS14_E10value_typeET4_jRbjT5_S1A_jjP12ihipStream_tbEUljE_EEESV_SW_SX_S14_S18_S1A_T6_T7_T9_mT8_S1C_bDpT10_ENKUlT_T0_E_clISt17integral_constantIbLb0EES1O_IbLb1EEEEDaS1K_S1L_EUlS1K_E_NS1_11comp_targetILNS1_3genE3ELNS1_11target_archE908ELNS1_3gpuE7ELNS1_3repE0EEENS1_30default_config_static_selectorELNS0_4arch9wavefront6targetE0EEEvSY_ ; -- Begin function _ZN7rocprim17ROCPRIM_400000_NS6detail17trampoline_kernelINS0_13select_configILj256ELj13ELNS0_17block_load_methodE3ELS4_3ELS4_3ELNS0_20block_scan_algorithmE0ELj4294967295EEENS1_25partition_config_selectorILNS1_17partition_subalgoE3EjNS0_10empty_typeEbEEZZNS1_14partition_implILS8_3ELb0ES6_jNS0_17counting_iteratorIjlEEPS9_SE_NS0_5tupleIJPjSE_EEENSF_IJSE_SE_EEES9_SG_JZNS1_25segmented_radix_sort_implINS0_14default_configELb1EPKbPbPKlPlN2at6native12_GLOBAL__N_18offset_tEEE10hipError_tPvRmT1_PNSt15iterator_traitsISY_E10value_typeET2_T3_PNSZ_IS14_E10value_typeET4_jRbjT5_S1A_jjP12ihipStream_tbEUljE_EEESV_SW_SX_S14_S18_S1A_T6_T7_T9_mT8_S1C_bDpT10_ENKUlT_T0_E_clISt17integral_constantIbLb0EES1O_IbLb1EEEEDaS1K_S1L_EUlS1K_E_NS1_11comp_targetILNS1_3genE3ELNS1_11target_archE908ELNS1_3gpuE7ELNS1_3repE0EEENS1_30default_config_static_selectorELNS0_4arch9wavefront6targetE0EEEvSY_
	.p2align	8
	.type	_ZN7rocprim17ROCPRIM_400000_NS6detail17trampoline_kernelINS0_13select_configILj256ELj13ELNS0_17block_load_methodE3ELS4_3ELS4_3ELNS0_20block_scan_algorithmE0ELj4294967295EEENS1_25partition_config_selectorILNS1_17partition_subalgoE3EjNS0_10empty_typeEbEEZZNS1_14partition_implILS8_3ELb0ES6_jNS0_17counting_iteratorIjlEEPS9_SE_NS0_5tupleIJPjSE_EEENSF_IJSE_SE_EEES9_SG_JZNS1_25segmented_radix_sort_implINS0_14default_configELb1EPKbPbPKlPlN2at6native12_GLOBAL__N_18offset_tEEE10hipError_tPvRmT1_PNSt15iterator_traitsISY_E10value_typeET2_T3_PNSZ_IS14_E10value_typeET4_jRbjT5_S1A_jjP12ihipStream_tbEUljE_EEESV_SW_SX_S14_S18_S1A_T6_T7_T9_mT8_S1C_bDpT10_ENKUlT_T0_E_clISt17integral_constantIbLb0EES1O_IbLb1EEEEDaS1K_S1L_EUlS1K_E_NS1_11comp_targetILNS1_3genE3ELNS1_11target_archE908ELNS1_3gpuE7ELNS1_3repE0EEENS1_30default_config_static_selectorELNS0_4arch9wavefront6targetE0EEEvSY_,@function
_ZN7rocprim17ROCPRIM_400000_NS6detail17trampoline_kernelINS0_13select_configILj256ELj13ELNS0_17block_load_methodE3ELS4_3ELS4_3ELNS0_20block_scan_algorithmE0ELj4294967295EEENS1_25partition_config_selectorILNS1_17partition_subalgoE3EjNS0_10empty_typeEbEEZZNS1_14partition_implILS8_3ELb0ES6_jNS0_17counting_iteratorIjlEEPS9_SE_NS0_5tupleIJPjSE_EEENSF_IJSE_SE_EEES9_SG_JZNS1_25segmented_radix_sort_implINS0_14default_configELb1EPKbPbPKlPlN2at6native12_GLOBAL__N_18offset_tEEE10hipError_tPvRmT1_PNSt15iterator_traitsISY_E10value_typeET2_T3_PNSZ_IS14_E10value_typeET4_jRbjT5_S1A_jjP12ihipStream_tbEUljE_EEESV_SW_SX_S14_S18_S1A_T6_T7_T9_mT8_S1C_bDpT10_ENKUlT_T0_E_clISt17integral_constantIbLb0EES1O_IbLb1EEEEDaS1K_S1L_EUlS1K_E_NS1_11comp_targetILNS1_3genE3ELNS1_11target_archE908ELNS1_3gpuE7ELNS1_3repE0EEENS1_30default_config_static_selectorELNS0_4arch9wavefront6targetE0EEEvSY_: ; @_ZN7rocprim17ROCPRIM_400000_NS6detail17trampoline_kernelINS0_13select_configILj256ELj13ELNS0_17block_load_methodE3ELS4_3ELS4_3ELNS0_20block_scan_algorithmE0ELj4294967295EEENS1_25partition_config_selectorILNS1_17partition_subalgoE3EjNS0_10empty_typeEbEEZZNS1_14partition_implILS8_3ELb0ES6_jNS0_17counting_iteratorIjlEEPS9_SE_NS0_5tupleIJPjSE_EEENSF_IJSE_SE_EEES9_SG_JZNS1_25segmented_radix_sort_implINS0_14default_configELb1EPKbPbPKlPlN2at6native12_GLOBAL__N_18offset_tEEE10hipError_tPvRmT1_PNSt15iterator_traitsISY_E10value_typeET2_T3_PNSZ_IS14_E10value_typeET4_jRbjT5_S1A_jjP12ihipStream_tbEUljE_EEESV_SW_SX_S14_S18_S1A_T6_T7_T9_mT8_S1C_bDpT10_ENKUlT_T0_E_clISt17integral_constantIbLb0EES1O_IbLb1EEEEDaS1K_S1L_EUlS1K_E_NS1_11comp_targetILNS1_3genE3ELNS1_11target_archE908ELNS1_3gpuE7ELNS1_3repE0EEENS1_30default_config_static_selectorELNS0_4arch9wavefront6targetE0EEEvSY_
; %bb.0:
	.section	.rodata,"a",@progbits
	.p2align	6, 0x0
	.amdhsa_kernel _ZN7rocprim17ROCPRIM_400000_NS6detail17trampoline_kernelINS0_13select_configILj256ELj13ELNS0_17block_load_methodE3ELS4_3ELS4_3ELNS0_20block_scan_algorithmE0ELj4294967295EEENS1_25partition_config_selectorILNS1_17partition_subalgoE3EjNS0_10empty_typeEbEEZZNS1_14partition_implILS8_3ELb0ES6_jNS0_17counting_iteratorIjlEEPS9_SE_NS0_5tupleIJPjSE_EEENSF_IJSE_SE_EEES9_SG_JZNS1_25segmented_radix_sort_implINS0_14default_configELb1EPKbPbPKlPlN2at6native12_GLOBAL__N_18offset_tEEE10hipError_tPvRmT1_PNSt15iterator_traitsISY_E10value_typeET2_T3_PNSZ_IS14_E10value_typeET4_jRbjT5_S1A_jjP12ihipStream_tbEUljE_EEESV_SW_SX_S14_S18_S1A_T6_T7_T9_mT8_S1C_bDpT10_ENKUlT_T0_E_clISt17integral_constantIbLb0EES1O_IbLb1EEEEDaS1K_S1L_EUlS1K_E_NS1_11comp_targetILNS1_3genE3ELNS1_11target_archE908ELNS1_3gpuE7ELNS1_3repE0EEENS1_30default_config_static_selectorELNS0_4arch9wavefront6targetE0EEEvSY_
		.amdhsa_group_segment_fixed_size 0
		.amdhsa_private_segment_fixed_size 0
		.amdhsa_kernarg_size 152
		.amdhsa_user_sgpr_count 2
		.amdhsa_user_sgpr_dispatch_ptr 0
		.amdhsa_user_sgpr_queue_ptr 0
		.amdhsa_user_sgpr_kernarg_segment_ptr 1
		.amdhsa_user_sgpr_dispatch_id 0
		.amdhsa_user_sgpr_kernarg_preload_length 0
		.amdhsa_user_sgpr_kernarg_preload_offset 0
		.amdhsa_user_sgpr_private_segment_size 0
		.amdhsa_wavefront_size32 1
		.amdhsa_uses_dynamic_stack 0
		.amdhsa_enable_private_segment 0
		.amdhsa_system_sgpr_workgroup_id_x 1
		.amdhsa_system_sgpr_workgroup_id_y 0
		.amdhsa_system_sgpr_workgroup_id_z 0
		.amdhsa_system_sgpr_workgroup_info 0
		.amdhsa_system_vgpr_workitem_id 0
		.amdhsa_next_free_vgpr 1
		.amdhsa_next_free_sgpr 1
		.amdhsa_named_barrier_count 0
		.amdhsa_reserve_vcc 0
		.amdhsa_float_round_mode_32 0
		.amdhsa_float_round_mode_16_64 0
		.amdhsa_float_denorm_mode_32 3
		.amdhsa_float_denorm_mode_16_64 3
		.amdhsa_fp16_overflow 0
		.amdhsa_memory_ordered 1
		.amdhsa_forward_progress 1
		.amdhsa_inst_pref_size 0
		.amdhsa_round_robin_scheduling 0
		.amdhsa_exception_fp_ieee_invalid_op 0
		.amdhsa_exception_fp_denorm_src 0
		.amdhsa_exception_fp_ieee_div_zero 0
		.amdhsa_exception_fp_ieee_overflow 0
		.amdhsa_exception_fp_ieee_underflow 0
		.amdhsa_exception_fp_ieee_inexact 0
		.amdhsa_exception_int_div_zero 0
	.end_amdhsa_kernel
	.section	.text._ZN7rocprim17ROCPRIM_400000_NS6detail17trampoline_kernelINS0_13select_configILj256ELj13ELNS0_17block_load_methodE3ELS4_3ELS4_3ELNS0_20block_scan_algorithmE0ELj4294967295EEENS1_25partition_config_selectorILNS1_17partition_subalgoE3EjNS0_10empty_typeEbEEZZNS1_14partition_implILS8_3ELb0ES6_jNS0_17counting_iteratorIjlEEPS9_SE_NS0_5tupleIJPjSE_EEENSF_IJSE_SE_EEES9_SG_JZNS1_25segmented_radix_sort_implINS0_14default_configELb1EPKbPbPKlPlN2at6native12_GLOBAL__N_18offset_tEEE10hipError_tPvRmT1_PNSt15iterator_traitsISY_E10value_typeET2_T3_PNSZ_IS14_E10value_typeET4_jRbjT5_S1A_jjP12ihipStream_tbEUljE_EEESV_SW_SX_S14_S18_S1A_T6_T7_T9_mT8_S1C_bDpT10_ENKUlT_T0_E_clISt17integral_constantIbLb0EES1O_IbLb1EEEEDaS1K_S1L_EUlS1K_E_NS1_11comp_targetILNS1_3genE3ELNS1_11target_archE908ELNS1_3gpuE7ELNS1_3repE0EEENS1_30default_config_static_selectorELNS0_4arch9wavefront6targetE0EEEvSY_,"axG",@progbits,_ZN7rocprim17ROCPRIM_400000_NS6detail17trampoline_kernelINS0_13select_configILj256ELj13ELNS0_17block_load_methodE3ELS4_3ELS4_3ELNS0_20block_scan_algorithmE0ELj4294967295EEENS1_25partition_config_selectorILNS1_17partition_subalgoE3EjNS0_10empty_typeEbEEZZNS1_14partition_implILS8_3ELb0ES6_jNS0_17counting_iteratorIjlEEPS9_SE_NS0_5tupleIJPjSE_EEENSF_IJSE_SE_EEES9_SG_JZNS1_25segmented_radix_sort_implINS0_14default_configELb1EPKbPbPKlPlN2at6native12_GLOBAL__N_18offset_tEEE10hipError_tPvRmT1_PNSt15iterator_traitsISY_E10value_typeET2_T3_PNSZ_IS14_E10value_typeET4_jRbjT5_S1A_jjP12ihipStream_tbEUljE_EEESV_SW_SX_S14_S18_S1A_T6_T7_T9_mT8_S1C_bDpT10_ENKUlT_T0_E_clISt17integral_constantIbLb0EES1O_IbLb1EEEEDaS1K_S1L_EUlS1K_E_NS1_11comp_targetILNS1_3genE3ELNS1_11target_archE908ELNS1_3gpuE7ELNS1_3repE0EEENS1_30default_config_static_selectorELNS0_4arch9wavefront6targetE0EEEvSY_,comdat
.Lfunc_end1519:
	.size	_ZN7rocprim17ROCPRIM_400000_NS6detail17trampoline_kernelINS0_13select_configILj256ELj13ELNS0_17block_load_methodE3ELS4_3ELS4_3ELNS0_20block_scan_algorithmE0ELj4294967295EEENS1_25partition_config_selectorILNS1_17partition_subalgoE3EjNS0_10empty_typeEbEEZZNS1_14partition_implILS8_3ELb0ES6_jNS0_17counting_iteratorIjlEEPS9_SE_NS0_5tupleIJPjSE_EEENSF_IJSE_SE_EEES9_SG_JZNS1_25segmented_radix_sort_implINS0_14default_configELb1EPKbPbPKlPlN2at6native12_GLOBAL__N_18offset_tEEE10hipError_tPvRmT1_PNSt15iterator_traitsISY_E10value_typeET2_T3_PNSZ_IS14_E10value_typeET4_jRbjT5_S1A_jjP12ihipStream_tbEUljE_EEESV_SW_SX_S14_S18_S1A_T6_T7_T9_mT8_S1C_bDpT10_ENKUlT_T0_E_clISt17integral_constantIbLb0EES1O_IbLb1EEEEDaS1K_S1L_EUlS1K_E_NS1_11comp_targetILNS1_3genE3ELNS1_11target_archE908ELNS1_3gpuE7ELNS1_3repE0EEENS1_30default_config_static_selectorELNS0_4arch9wavefront6targetE0EEEvSY_, .Lfunc_end1519-_ZN7rocprim17ROCPRIM_400000_NS6detail17trampoline_kernelINS0_13select_configILj256ELj13ELNS0_17block_load_methodE3ELS4_3ELS4_3ELNS0_20block_scan_algorithmE0ELj4294967295EEENS1_25partition_config_selectorILNS1_17partition_subalgoE3EjNS0_10empty_typeEbEEZZNS1_14partition_implILS8_3ELb0ES6_jNS0_17counting_iteratorIjlEEPS9_SE_NS0_5tupleIJPjSE_EEENSF_IJSE_SE_EEES9_SG_JZNS1_25segmented_radix_sort_implINS0_14default_configELb1EPKbPbPKlPlN2at6native12_GLOBAL__N_18offset_tEEE10hipError_tPvRmT1_PNSt15iterator_traitsISY_E10value_typeET2_T3_PNSZ_IS14_E10value_typeET4_jRbjT5_S1A_jjP12ihipStream_tbEUljE_EEESV_SW_SX_S14_S18_S1A_T6_T7_T9_mT8_S1C_bDpT10_ENKUlT_T0_E_clISt17integral_constantIbLb0EES1O_IbLb1EEEEDaS1K_S1L_EUlS1K_E_NS1_11comp_targetILNS1_3genE3ELNS1_11target_archE908ELNS1_3gpuE7ELNS1_3repE0EEENS1_30default_config_static_selectorELNS0_4arch9wavefront6targetE0EEEvSY_
                                        ; -- End function
	.set _ZN7rocprim17ROCPRIM_400000_NS6detail17trampoline_kernelINS0_13select_configILj256ELj13ELNS0_17block_load_methodE3ELS4_3ELS4_3ELNS0_20block_scan_algorithmE0ELj4294967295EEENS1_25partition_config_selectorILNS1_17partition_subalgoE3EjNS0_10empty_typeEbEEZZNS1_14partition_implILS8_3ELb0ES6_jNS0_17counting_iteratorIjlEEPS9_SE_NS0_5tupleIJPjSE_EEENSF_IJSE_SE_EEES9_SG_JZNS1_25segmented_radix_sort_implINS0_14default_configELb1EPKbPbPKlPlN2at6native12_GLOBAL__N_18offset_tEEE10hipError_tPvRmT1_PNSt15iterator_traitsISY_E10value_typeET2_T3_PNSZ_IS14_E10value_typeET4_jRbjT5_S1A_jjP12ihipStream_tbEUljE_EEESV_SW_SX_S14_S18_S1A_T6_T7_T9_mT8_S1C_bDpT10_ENKUlT_T0_E_clISt17integral_constantIbLb0EES1O_IbLb1EEEEDaS1K_S1L_EUlS1K_E_NS1_11comp_targetILNS1_3genE3ELNS1_11target_archE908ELNS1_3gpuE7ELNS1_3repE0EEENS1_30default_config_static_selectorELNS0_4arch9wavefront6targetE0EEEvSY_.num_vgpr, 0
	.set _ZN7rocprim17ROCPRIM_400000_NS6detail17trampoline_kernelINS0_13select_configILj256ELj13ELNS0_17block_load_methodE3ELS4_3ELS4_3ELNS0_20block_scan_algorithmE0ELj4294967295EEENS1_25partition_config_selectorILNS1_17partition_subalgoE3EjNS0_10empty_typeEbEEZZNS1_14partition_implILS8_3ELb0ES6_jNS0_17counting_iteratorIjlEEPS9_SE_NS0_5tupleIJPjSE_EEENSF_IJSE_SE_EEES9_SG_JZNS1_25segmented_radix_sort_implINS0_14default_configELb1EPKbPbPKlPlN2at6native12_GLOBAL__N_18offset_tEEE10hipError_tPvRmT1_PNSt15iterator_traitsISY_E10value_typeET2_T3_PNSZ_IS14_E10value_typeET4_jRbjT5_S1A_jjP12ihipStream_tbEUljE_EEESV_SW_SX_S14_S18_S1A_T6_T7_T9_mT8_S1C_bDpT10_ENKUlT_T0_E_clISt17integral_constantIbLb0EES1O_IbLb1EEEEDaS1K_S1L_EUlS1K_E_NS1_11comp_targetILNS1_3genE3ELNS1_11target_archE908ELNS1_3gpuE7ELNS1_3repE0EEENS1_30default_config_static_selectorELNS0_4arch9wavefront6targetE0EEEvSY_.num_agpr, 0
	.set _ZN7rocprim17ROCPRIM_400000_NS6detail17trampoline_kernelINS0_13select_configILj256ELj13ELNS0_17block_load_methodE3ELS4_3ELS4_3ELNS0_20block_scan_algorithmE0ELj4294967295EEENS1_25partition_config_selectorILNS1_17partition_subalgoE3EjNS0_10empty_typeEbEEZZNS1_14partition_implILS8_3ELb0ES6_jNS0_17counting_iteratorIjlEEPS9_SE_NS0_5tupleIJPjSE_EEENSF_IJSE_SE_EEES9_SG_JZNS1_25segmented_radix_sort_implINS0_14default_configELb1EPKbPbPKlPlN2at6native12_GLOBAL__N_18offset_tEEE10hipError_tPvRmT1_PNSt15iterator_traitsISY_E10value_typeET2_T3_PNSZ_IS14_E10value_typeET4_jRbjT5_S1A_jjP12ihipStream_tbEUljE_EEESV_SW_SX_S14_S18_S1A_T6_T7_T9_mT8_S1C_bDpT10_ENKUlT_T0_E_clISt17integral_constantIbLb0EES1O_IbLb1EEEEDaS1K_S1L_EUlS1K_E_NS1_11comp_targetILNS1_3genE3ELNS1_11target_archE908ELNS1_3gpuE7ELNS1_3repE0EEENS1_30default_config_static_selectorELNS0_4arch9wavefront6targetE0EEEvSY_.numbered_sgpr, 0
	.set _ZN7rocprim17ROCPRIM_400000_NS6detail17trampoline_kernelINS0_13select_configILj256ELj13ELNS0_17block_load_methodE3ELS4_3ELS4_3ELNS0_20block_scan_algorithmE0ELj4294967295EEENS1_25partition_config_selectorILNS1_17partition_subalgoE3EjNS0_10empty_typeEbEEZZNS1_14partition_implILS8_3ELb0ES6_jNS0_17counting_iteratorIjlEEPS9_SE_NS0_5tupleIJPjSE_EEENSF_IJSE_SE_EEES9_SG_JZNS1_25segmented_radix_sort_implINS0_14default_configELb1EPKbPbPKlPlN2at6native12_GLOBAL__N_18offset_tEEE10hipError_tPvRmT1_PNSt15iterator_traitsISY_E10value_typeET2_T3_PNSZ_IS14_E10value_typeET4_jRbjT5_S1A_jjP12ihipStream_tbEUljE_EEESV_SW_SX_S14_S18_S1A_T6_T7_T9_mT8_S1C_bDpT10_ENKUlT_T0_E_clISt17integral_constantIbLb0EES1O_IbLb1EEEEDaS1K_S1L_EUlS1K_E_NS1_11comp_targetILNS1_3genE3ELNS1_11target_archE908ELNS1_3gpuE7ELNS1_3repE0EEENS1_30default_config_static_selectorELNS0_4arch9wavefront6targetE0EEEvSY_.num_named_barrier, 0
	.set _ZN7rocprim17ROCPRIM_400000_NS6detail17trampoline_kernelINS0_13select_configILj256ELj13ELNS0_17block_load_methodE3ELS4_3ELS4_3ELNS0_20block_scan_algorithmE0ELj4294967295EEENS1_25partition_config_selectorILNS1_17partition_subalgoE3EjNS0_10empty_typeEbEEZZNS1_14partition_implILS8_3ELb0ES6_jNS0_17counting_iteratorIjlEEPS9_SE_NS0_5tupleIJPjSE_EEENSF_IJSE_SE_EEES9_SG_JZNS1_25segmented_radix_sort_implINS0_14default_configELb1EPKbPbPKlPlN2at6native12_GLOBAL__N_18offset_tEEE10hipError_tPvRmT1_PNSt15iterator_traitsISY_E10value_typeET2_T3_PNSZ_IS14_E10value_typeET4_jRbjT5_S1A_jjP12ihipStream_tbEUljE_EEESV_SW_SX_S14_S18_S1A_T6_T7_T9_mT8_S1C_bDpT10_ENKUlT_T0_E_clISt17integral_constantIbLb0EES1O_IbLb1EEEEDaS1K_S1L_EUlS1K_E_NS1_11comp_targetILNS1_3genE3ELNS1_11target_archE908ELNS1_3gpuE7ELNS1_3repE0EEENS1_30default_config_static_selectorELNS0_4arch9wavefront6targetE0EEEvSY_.private_seg_size, 0
	.set _ZN7rocprim17ROCPRIM_400000_NS6detail17trampoline_kernelINS0_13select_configILj256ELj13ELNS0_17block_load_methodE3ELS4_3ELS4_3ELNS0_20block_scan_algorithmE0ELj4294967295EEENS1_25partition_config_selectorILNS1_17partition_subalgoE3EjNS0_10empty_typeEbEEZZNS1_14partition_implILS8_3ELb0ES6_jNS0_17counting_iteratorIjlEEPS9_SE_NS0_5tupleIJPjSE_EEENSF_IJSE_SE_EEES9_SG_JZNS1_25segmented_radix_sort_implINS0_14default_configELb1EPKbPbPKlPlN2at6native12_GLOBAL__N_18offset_tEEE10hipError_tPvRmT1_PNSt15iterator_traitsISY_E10value_typeET2_T3_PNSZ_IS14_E10value_typeET4_jRbjT5_S1A_jjP12ihipStream_tbEUljE_EEESV_SW_SX_S14_S18_S1A_T6_T7_T9_mT8_S1C_bDpT10_ENKUlT_T0_E_clISt17integral_constantIbLb0EES1O_IbLb1EEEEDaS1K_S1L_EUlS1K_E_NS1_11comp_targetILNS1_3genE3ELNS1_11target_archE908ELNS1_3gpuE7ELNS1_3repE0EEENS1_30default_config_static_selectorELNS0_4arch9wavefront6targetE0EEEvSY_.uses_vcc, 0
	.set _ZN7rocprim17ROCPRIM_400000_NS6detail17trampoline_kernelINS0_13select_configILj256ELj13ELNS0_17block_load_methodE3ELS4_3ELS4_3ELNS0_20block_scan_algorithmE0ELj4294967295EEENS1_25partition_config_selectorILNS1_17partition_subalgoE3EjNS0_10empty_typeEbEEZZNS1_14partition_implILS8_3ELb0ES6_jNS0_17counting_iteratorIjlEEPS9_SE_NS0_5tupleIJPjSE_EEENSF_IJSE_SE_EEES9_SG_JZNS1_25segmented_radix_sort_implINS0_14default_configELb1EPKbPbPKlPlN2at6native12_GLOBAL__N_18offset_tEEE10hipError_tPvRmT1_PNSt15iterator_traitsISY_E10value_typeET2_T3_PNSZ_IS14_E10value_typeET4_jRbjT5_S1A_jjP12ihipStream_tbEUljE_EEESV_SW_SX_S14_S18_S1A_T6_T7_T9_mT8_S1C_bDpT10_ENKUlT_T0_E_clISt17integral_constantIbLb0EES1O_IbLb1EEEEDaS1K_S1L_EUlS1K_E_NS1_11comp_targetILNS1_3genE3ELNS1_11target_archE908ELNS1_3gpuE7ELNS1_3repE0EEENS1_30default_config_static_selectorELNS0_4arch9wavefront6targetE0EEEvSY_.uses_flat_scratch, 0
	.set _ZN7rocprim17ROCPRIM_400000_NS6detail17trampoline_kernelINS0_13select_configILj256ELj13ELNS0_17block_load_methodE3ELS4_3ELS4_3ELNS0_20block_scan_algorithmE0ELj4294967295EEENS1_25partition_config_selectorILNS1_17partition_subalgoE3EjNS0_10empty_typeEbEEZZNS1_14partition_implILS8_3ELb0ES6_jNS0_17counting_iteratorIjlEEPS9_SE_NS0_5tupleIJPjSE_EEENSF_IJSE_SE_EEES9_SG_JZNS1_25segmented_radix_sort_implINS0_14default_configELb1EPKbPbPKlPlN2at6native12_GLOBAL__N_18offset_tEEE10hipError_tPvRmT1_PNSt15iterator_traitsISY_E10value_typeET2_T3_PNSZ_IS14_E10value_typeET4_jRbjT5_S1A_jjP12ihipStream_tbEUljE_EEESV_SW_SX_S14_S18_S1A_T6_T7_T9_mT8_S1C_bDpT10_ENKUlT_T0_E_clISt17integral_constantIbLb0EES1O_IbLb1EEEEDaS1K_S1L_EUlS1K_E_NS1_11comp_targetILNS1_3genE3ELNS1_11target_archE908ELNS1_3gpuE7ELNS1_3repE0EEENS1_30default_config_static_selectorELNS0_4arch9wavefront6targetE0EEEvSY_.has_dyn_sized_stack, 0
	.set _ZN7rocprim17ROCPRIM_400000_NS6detail17trampoline_kernelINS0_13select_configILj256ELj13ELNS0_17block_load_methodE3ELS4_3ELS4_3ELNS0_20block_scan_algorithmE0ELj4294967295EEENS1_25partition_config_selectorILNS1_17partition_subalgoE3EjNS0_10empty_typeEbEEZZNS1_14partition_implILS8_3ELb0ES6_jNS0_17counting_iteratorIjlEEPS9_SE_NS0_5tupleIJPjSE_EEENSF_IJSE_SE_EEES9_SG_JZNS1_25segmented_radix_sort_implINS0_14default_configELb1EPKbPbPKlPlN2at6native12_GLOBAL__N_18offset_tEEE10hipError_tPvRmT1_PNSt15iterator_traitsISY_E10value_typeET2_T3_PNSZ_IS14_E10value_typeET4_jRbjT5_S1A_jjP12ihipStream_tbEUljE_EEESV_SW_SX_S14_S18_S1A_T6_T7_T9_mT8_S1C_bDpT10_ENKUlT_T0_E_clISt17integral_constantIbLb0EES1O_IbLb1EEEEDaS1K_S1L_EUlS1K_E_NS1_11comp_targetILNS1_3genE3ELNS1_11target_archE908ELNS1_3gpuE7ELNS1_3repE0EEENS1_30default_config_static_selectorELNS0_4arch9wavefront6targetE0EEEvSY_.has_recursion, 0
	.set _ZN7rocprim17ROCPRIM_400000_NS6detail17trampoline_kernelINS0_13select_configILj256ELj13ELNS0_17block_load_methodE3ELS4_3ELS4_3ELNS0_20block_scan_algorithmE0ELj4294967295EEENS1_25partition_config_selectorILNS1_17partition_subalgoE3EjNS0_10empty_typeEbEEZZNS1_14partition_implILS8_3ELb0ES6_jNS0_17counting_iteratorIjlEEPS9_SE_NS0_5tupleIJPjSE_EEENSF_IJSE_SE_EEES9_SG_JZNS1_25segmented_radix_sort_implINS0_14default_configELb1EPKbPbPKlPlN2at6native12_GLOBAL__N_18offset_tEEE10hipError_tPvRmT1_PNSt15iterator_traitsISY_E10value_typeET2_T3_PNSZ_IS14_E10value_typeET4_jRbjT5_S1A_jjP12ihipStream_tbEUljE_EEESV_SW_SX_S14_S18_S1A_T6_T7_T9_mT8_S1C_bDpT10_ENKUlT_T0_E_clISt17integral_constantIbLb0EES1O_IbLb1EEEEDaS1K_S1L_EUlS1K_E_NS1_11comp_targetILNS1_3genE3ELNS1_11target_archE908ELNS1_3gpuE7ELNS1_3repE0EEENS1_30default_config_static_selectorELNS0_4arch9wavefront6targetE0EEEvSY_.has_indirect_call, 0
	.section	.AMDGPU.csdata,"",@progbits
; Kernel info:
; codeLenInByte = 0
; TotalNumSgprs: 0
; NumVgprs: 0
; ScratchSize: 0
; MemoryBound: 0
; FloatMode: 240
; IeeeMode: 1
; LDSByteSize: 0 bytes/workgroup (compile time only)
; SGPRBlocks: 0
; VGPRBlocks: 0
; NumSGPRsForWavesPerEU: 1
; NumVGPRsForWavesPerEU: 1
; NamedBarCnt: 0
; Occupancy: 16
; WaveLimiterHint : 0
; COMPUTE_PGM_RSRC2:SCRATCH_EN: 0
; COMPUTE_PGM_RSRC2:USER_SGPR: 2
; COMPUTE_PGM_RSRC2:TRAP_HANDLER: 0
; COMPUTE_PGM_RSRC2:TGID_X_EN: 1
; COMPUTE_PGM_RSRC2:TGID_Y_EN: 0
; COMPUTE_PGM_RSRC2:TGID_Z_EN: 0
; COMPUTE_PGM_RSRC2:TIDIG_COMP_CNT: 0
	.section	.text._ZN7rocprim17ROCPRIM_400000_NS6detail17trampoline_kernelINS0_13select_configILj256ELj13ELNS0_17block_load_methodE3ELS4_3ELS4_3ELNS0_20block_scan_algorithmE0ELj4294967295EEENS1_25partition_config_selectorILNS1_17partition_subalgoE3EjNS0_10empty_typeEbEEZZNS1_14partition_implILS8_3ELb0ES6_jNS0_17counting_iteratorIjlEEPS9_SE_NS0_5tupleIJPjSE_EEENSF_IJSE_SE_EEES9_SG_JZNS1_25segmented_radix_sort_implINS0_14default_configELb1EPKbPbPKlPlN2at6native12_GLOBAL__N_18offset_tEEE10hipError_tPvRmT1_PNSt15iterator_traitsISY_E10value_typeET2_T3_PNSZ_IS14_E10value_typeET4_jRbjT5_S1A_jjP12ihipStream_tbEUljE_EEESV_SW_SX_S14_S18_S1A_T6_T7_T9_mT8_S1C_bDpT10_ENKUlT_T0_E_clISt17integral_constantIbLb0EES1O_IbLb1EEEEDaS1K_S1L_EUlS1K_E_NS1_11comp_targetILNS1_3genE2ELNS1_11target_archE906ELNS1_3gpuE6ELNS1_3repE0EEENS1_30default_config_static_selectorELNS0_4arch9wavefront6targetE0EEEvSY_,"axG",@progbits,_ZN7rocprim17ROCPRIM_400000_NS6detail17trampoline_kernelINS0_13select_configILj256ELj13ELNS0_17block_load_methodE3ELS4_3ELS4_3ELNS0_20block_scan_algorithmE0ELj4294967295EEENS1_25partition_config_selectorILNS1_17partition_subalgoE3EjNS0_10empty_typeEbEEZZNS1_14partition_implILS8_3ELb0ES6_jNS0_17counting_iteratorIjlEEPS9_SE_NS0_5tupleIJPjSE_EEENSF_IJSE_SE_EEES9_SG_JZNS1_25segmented_radix_sort_implINS0_14default_configELb1EPKbPbPKlPlN2at6native12_GLOBAL__N_18offset_tEEE10hipError_tPvRmT1_PNSt15iterator_traitsISY_E10value_typeET2_T3_PNSZ_IS14_E10value_typeET4_jRbjT5_S1A_jjP12ihipStream_tbEUljE_EEESV_SW_SX_S14_S18_S1A_T6_T7_T9_mT8_S1C_bDpT10_ENKUlT_T0_E_clISt17integral_constantIbLb0EES1O_IbLb1EEEEDaS1K_S1L_EUlS1K_E_NS1_11comp_targetILNS1_3genE2ELNS1_11target_archE906ELNS1_3gpuE6ELNS1_3repE0EEENS1_30default_config_static_selectorELNS0_4arch9wavefront6targetE0EEEvSY_,comdat
	.globl	_ZN7rocprim17ROCPRIM_400000_NS6detail17trampoline_kernelINS0_13select_configILj256ELj13ELNS0_17block_load_methodE3ELS4_3ELS4_3ELNS0_20block_scan_algorithmE0ELj4294967295EEENS1_25partition_config_selectorILNS1_17partition_subalgoE3EjNS0_10empty_typeEbEEZZNS1_14partition_implILS8_3ELb0ES6_jNS0_17counting_iteratorIjlEEPS9_SE_NS0_5tupleIJPjSE_EEENSF_IJSE_SE_EEES9_SG_JZNS1_25segmented_radix_sort_implINS0_14default_configELb1EPKbPbPKlPlN2at6native12_GLOBAL__N_18offset_tEEE10hipError_tPvRmT1_PNSt15iterator_traitsISY_E10value_typeET2_T3_PNSZ_IS14_E10value_typeET4_jRbjT5_S1A_jjP12ihipStream_tbEUljE_EEESV_SW_SX_S14_S18_S1A_T6_T7_T9_mT8_S1C_bDpT10_ENKUlT_T0_E_clISt17integral_constantIbLb0EES1O_IbLb1EEEEDaS1K_S1L_EUlS1K_E_NS1_11comp_targetILNS1_3genE2ELNS1_11target_archE906ELNS1_3gpuE6ELNS1_3repE0EEENS1_30default_config_static_selectorELNS0_4arch9wavefront6targetE0EEEvSY_ ; -- Begin function _ZN7rocprim17ROCPRIM_400000_NS6detail17trampoline_kernelINS0_13select_configILj256ELj13ELNS0_17block_load_methodE3ELS4_3ELS4_3ELNS0_20block_scan_algorithmE0ELj4294967295EEENS1_25partition_config_selectorILNS1_17partition_subalgoE3EjNS0_10empty_typeEbEEZZNS1_14partition_implILS8_3ELb0ES6_jNS0_17counting_iteratorIjlEEPS9_SE_NS0_5tupleIJPjSE_EEENSF_IJSE_SE_EEES9_SG_JZNS1_25segmented_radix_sort_implINS0_14default_configELb1EPKbPbPKlPlN2at6native12_GLOBAL__N_18offset_tEEE10hipError_tPvRmT1_PNSt15iterator_traitsISY_E10value_typeET2_T3_PNSZ_IS14_E10value_typeET4_jRbjT5_S1A_jjP12ihipStream_tbEUljE_EEESV_SW_SX_S14_S18_S1A_T6_T7_T9_mT8_S1C_bDpT10_ENKUlT_T0_E_clISt17integral_constantIbLb0EES1O_IbLb1EEEEDaS1K_S1L_EUlS1K_E_NS1_11comp_targetILNS1_3genE2ELNS1_11target_archE906ELNS1_3gpuE6ELNS1_3repE0EEENS1_30default_config_static_selectorELNS0_4arch9wavefront6targetE0EEEvSY_
	.p2align	8
	.type	_ZN7rocprim17ROCPRIM_400000_NS6detail17trampoline_kernelINS0_13select_configILj256ELj13ELNS0_17block_load_methodE3ELS4_3ELS4_3ELNS0_20block_scan_algorithmE0ELj4294967295EEENS1_25partition_config_selectorILNS1_17partition_subalgoE3EjNS0_10empty_typeEbEEZZNS1_14partition_implILS8_3ELb0ES6_jNS0_17counting_iteratorIjlEEPS9_SE_NS0_5tupleIJPjSE_EEENSF_IJSE_SE_EEES9_SG_JZNS1_25segmented_radix_sort_implINS0_14default_configELb1EPKbPbPKlPlN2at6native12_GLOBAL__N_18offset_tEEE10hipError_tPvRmT1_PNSt15iterator_traitsISY_E10value_typeET2_T3_PNSZ_IS14_E10value_typeET4_jRbjT5_S1A_jjP12ihipStream_tbEUljE_EEESV_SW_SX_S14_S18_S1A_T6_T7_T9_mT8_S1C_bDpT10_ENKUlT_T0_E_clISt17integral_constantIbLb0EES1O_IbLb1EEEEDaS1K_S1L_EUlS1K_E_NS1_11comp_targetILNS1_3genE2ELNS1_11target_archE906ELNS1_3gpuE6ELNS1_3repE0EEENS1_30default_config_static_selectorELNS0_4arch9wavefront6targetE0EEEvSY_,@function
_ZN7rocprim17ROCPRIM_400000_NS6detail17trampoline_kernelINS0_13select_configILj256ELj13ELNS0_17block_load_methodE3ELS4_3ELS4_3ELNS0_20block_scan_algorithmE0ELj4294967295EEENS1_25partition_config_selectorILNS1_17partition_subalgoE3EjNS0_10empty_typeEbEEZZNS1_14partition_implILS8_3ELb0ES6_jNS0_17counting_iteratorIjlEEPS9_SE_NS0_5tupleIJPjSE_EEENSF_IJSE_SE_EEES9_SG_JZNS1_25segmented_radix_sort_implINS0_14default_configELb1EPKbPbPKlPlN2at6native12_GLOBAL__N_18offset_tEEE10hipError_tPvRmT1_PNSt15iterator_traitsISY_E10value_typeET2_T3_PNSZ_IS14_E10value_typeET4_jRbjT5_S1A_jjP12ihipStream_tbEUljE_EEESV_SW_SX_S14_S18_S1A_T6_T7_T9_mT8_S1C_bDpT10_ENKUlT_T0_E_clISt17integral_constantIbLb0EES1O_IbLb1EEEEDaS1K_S1L_EUlS1K_E_NS1_11comp_targetILNS1_3genE2ELNS1_11target_archE906ELNS1_3gpuE6ELNS1_3repE0EEENS1_30default_config_static_selectorELNS0_4arch9wavefront6targetE0EEEvSY_: ; @_ZN7rocprim17ROCPRIM_400000_NS6detail17trampoline_kernelINS0_13select_configILj256ELj13ELNS0_17block_load_methodE3ELS4_3ELS4_3ELNS0_20block_scan_algorithmE0ELj4294967295EEENS1_25partition_config_selectorILNS1_17partition_subalgoE3EjNS0_10empty_typeEbEEZZNS1_14partition_implILS8_3ELb0ES6_jNS0_17counting_iteratorIjlEEPS9_SE_NS0_5tupleIJPjSE_EEENSF_IJSE_SE_EEES9_SG_JZNS1_25segmented_radix_sort_implINS0_14default_configELb1EPKbPbPKlPlN2at6native12_GLOBAL__N_18offset_tEEE10hipError_tPvRmT1_PNSt15iterator_traitsISY_E10value_typeET2_T3_PNSZ_IS14_E10value_typeET4_jRbjT5_S1A_jjP12ihipStream_tbEUljE_EEESV_SW_SX_S14_S18_S1A_T6_T7_T9_mT8_S1C_bDpT10_ENKUlT_T0_E_clISt17integral_constantIbLb0EES1O_IbLb1EEEEDaS1K_S1L_EUlS1K_E_NS1_11comp_targetILNS1_3genE2ELNS1_11target_archE906ELNS1_3gpuE6ELNS1_3repE0EEENS1_30default_config_static_selectorELNS0_4arch9wavefront6targetE0EEEvSY_
; %bb.0:
	.section	.rodata,"a",@progbits
	.p2align	6, 0x0
	.amdhsa_kernel _ZN7rocprim17ROCPRIM_400000_NS6detail17trampoline_kernelINS0_13select_configILj256ELj13ELNS0_17block_load_methodE3ELS4_3ELS4_3ELNS0_20block_scan_algorithmE0ELj4294967295EEENS1_25partition_config_selectorILNS1_17partition_subalgoE3EjNS0_10empty_typeEbEEZZNS1_14partition_implILS8_3ELb0ES6_jNS0_17counting_iteratorIjlEEPS9_SE_NS0_5tupleIJPjSE_EEENSF_IJSE_SE_EEES9_SG_JZNS1_25segmented_radix_sort_implINS0_14default_configELb1EPKbPbPKlPlN2at6native12_GLOBAL__N_18offset_tEEE10hipError_tPvRmT1_PNSt15iterator_traitsISY_E10value_typeET2_T3_PNSZ_IS14_E10value_typeET4_jRbjT5_S1A_jjP12ihipStream_tbEUljE_EEESV_SW_SX_S14_S18_S1A_T6_T7_T9_mT8_S1C_bDpT10_ENKUlT_T0_E_clISt17integral_constantIbLb0EES1O_IbLb1EEEEDaS1K_S1L_EUlS1K_E_NS1_11comp_targetILNS1_3genE2ELNS1_11target_archE906ELNS1_3gpuE6ELNS1_3repE0EEENS1_30default_config_static_selectorELNS0_4arch9wavefront6targetE0EEEvSY_
		.amdhsa_group_segment_fixed_size 0
		.amdhsa_private_segment_fixed_size 0
		.amdhsa_kernarg_size 152
		.amdhsa_user_sgpr_count 2
		.amdhsa_user_sgpr_dispatch_ptr 0
		.amdhsa_user_sgpr_queue_ptr 0
		.amdhsa_user_sgpr_kernarg_segment_ptr 1
		.amdhsa_user_sgpr_dispatch_id 0
		.amdhsa_user_sgpr_kernarg_preload_length 0
		.amdhsa_user_sgpr_kernarg_preload_offset 0
		.amdhsa_user_sgpr_private_segment_size 0
		.amdhsa_wavefront_size32 1
		.amdhsa_uses_dynamic_stack 0
		.amdhsa_enable_private_segment 0
		.amdhsa_system_sgpr_workgroup_id_x 1
		.amdhsa_system_sgpr_workgroup_id_y 0
		.amdhsa_system_sgpr_workgroup_id_z 0
		.amdhsa_system_sgpr_workgroup_info 0
		.amdhsa_system_vgpr_workitem_id 0
		.amdhsa_next_free_vgpr 1
		.amdhsa_next_free_sgpr 1
		.amdhsa_named_barrier_count 0
		.amdhsa_reserve_vcc 0
		.amdhsa_float_round_mode_32 0
		.amdhsa_float_round_mode_16_64 0
		.amdhsa_float_denorm_mode_32 3
		.amdhsa_float_denorm_mode_16_64 3
		.amdhsa_fp16_overflow 0
		.amdhsa_memory_ordered 1
		.amdhsa_forward_progress 1
		.amdhsa_inst_pref_size 0
		.amdhsa_round_robin_scheduling 0
		.amdhsa_exception_fp_ieee_invalid_op 0
		.amdhsa_exception_fp_denorm_src 0
		.amdhsa_exception_fp_ieee_div_zero 0
		.amdhsa_exception_fp_ieee_overflow 0
		.amdhsa_exception_fp_ieee_underflow 0
		.amdhsa_exception_fp_ieee_inexact 0
		.amdhsa_exception_int_div_zero 0
	.end_amdhsa_kernel
	.section	.text._ZN7rocprim17ROCPRIM_400000_NS6detail17trampoline_kernelINS0_13select_configILj256ELj13ELNS0_17block_load_methodE3ELS4_3ELS4_3ELNS0_20block_scan_algorithmE0ELj4294967295EEENS1_25partition_config_selectorILNS1_17partition_subalgoE3EjNS0_10empty_typeEbEEZZNS1_14partition_implILS8_3ELb0ES6_jNS0_17counting_iteratorIjlEEPS9_SE_NS0_5tupleIJPjSE_EEENSF_IJSE_SE_EEES9_SG_JZNS1_25segmented_radix_sort_implINS0_14default_configELb1EPKbPbPKlPlN2at6native12_GLOBAL__N_18offset_tEEE10hipError_tPvRmT1_PNSt15iterator_traitsISY_E10value_typeET2_T3_PNSZ_IS14_E10value_typeET4_jRbjT5_S1A_jjP12ihipStream_tbEUljE_EEESV_SW_SX_S14_S18_S1A_T6_T7_T9_mT8_S1C_bDpT10_ENKUlT_T0_E_clISt17integral_constantIbLb0EES1O_IbLb1EEEEDaS1K_S1L_EUlS1K_E_NS1_11comp_targetILNS1_3genE2ELNS1_11target_archE906ELNS1_3gpuE6ELNS1_3repE0EEENS1_30default_config_static_selectorELNS0_4arch9wavefront6targetE0EEEvSY_,"axG",@progbits,_ZN7rocprim17ROCPRIM_400000_NS6detail17trampoline_kernelINS0_13select_configILj256ELj13ELNS0_17block_load_methodE3ELS4_3ELS4_3ELNS0_20block_scan_algorithmE0ELj4294967295EEENS1_25partition_config_selectorILNS1_17partition_subalgoE3EjNS0_10empty_typeEbEEZZNS1_14partition_implILS8_3ELb0ES6_jNS0_17counting_iteratorIjlEEPS9_SE_NS0_5tupleIJPjSE_EEENSF_IJSE_SE_EEES9_SG_JZNS1_25segmented_radix_sort_implINS0_14default_configELb1EPKbPbPKlPlN2at6native12_GLOBAL__N_18offset_tEEE10hipError_tPvRmT1_PNSt15iterator_traitsISY_E10value_typeET2_T3_PNSZ_IS14_E10value_typeET4_jRbjT5_S1A_jjP12ihipStream_tbEUljE_EEESV_SW_SX_S14_S18_S1A_T6_T7_T9_mT8_S1C_bDpT10_ENKUlT_T0_E_clISt17integral_constantIbLb0EES1O_IbLb1EEEEDaS1K_S1L_EUlS1K_E_NS1_11comp_targetILNS1_3genE2ELNS1_11target_archE906ELNS1_3gpuE6ELNS1_3repE0EEENS1_30default_config_static_selectorELNS0_4arch9wavefront6targetE0EEEvSY_,comdat
.Lfunc_end1520:
	.size	_ZN7rocprim17ROCPRIM_400000_NS6detail17trampoline_kernelINS0_13select_configILj256ELj13ELNS0_17block_load_methodE3ELS4_3ELS4_3ELNS0_20block_scan_algorithmE0ELj4294967295EEENS1_25partition_config_selectorILNS1_17partition_subalgoE3EjNS0_10empty_typeEbEEZZNS1_14partition_implILS8_3ELb0ES6_jNS0_17counting_iteratorIjlEEPS9_SE_NS0_5tupleIJPjSE_EEENSF_IJSE_SE_EEES9_SG_JZNS1_25segmented_radix_sort_implINS0_14default_configELb1EPKbPbPKlPlN2at6native12_GLOBAL__N_18offset_tEEE10hipError_tPvRmT1_PNSt15iterator_traitsISY_E10value_typeET2_T3_PNSZ_IS14_E10value_typeET4_jRbjT5_S1A_jjP12ihipStream_tbEUljE_EEESV_SW_SX_S14_S18_S1A_T6_T7_T9_mT8_S1C_bDpT10_ENKUlT_T0_E_clISt17integral_constantIbLb0EES1O_IbLb1EEEEDaS1K_S1L_EUlS1K_E_NS1_11comp_targetILNS1_3genE2ELNS1_11target_archE906ELNS1_3gpuE6ELNS1_3repE0EEENS1_30default_config_static_selectorELNS0_4arch9wavefront6targetE0EEEvSY_, .Lfunc_end1520-_ZN7rocprim17ROCPRIM_400000_NS6detail17trampoline_kernelINS0_13select_configILj256ELj13ELNS0_17block_load_methodE3ELS4_3ELS4_3ELNS0_20block_scan_algorithmE0ELj4294967295EEENS1_25partition_config_selectorILNS1_17partition_subalgoE3EjNS0_10empty_typeEbEEZZNS1_14partition_implILS8_3ELb0ES6_jNS0_17counting_iteratorIjlEEPS9_SE_NS0_5tupleIJPjSE_EEENSF_IJSE_SE_EEES9_SG_JZNS1_25segmented_radix_sort_implINS0_14default_configELb1EPKbPbPKlPlN2at6native12_GLOBAL__N_18offset_tEEE10hipError_tPvRmT1_PNSt15iterator_traitsISY_E10value_typeET2_T3_PNSZ_IS14_E10value_typeET4_jRbjT5_S1A_jjP12ihipStream_tbEUljE_EEESV_SW_SX_S14_S18_S1A_T6_T7_T9_mT8_S1C_bDpT10_ENKUlT_T0_E_clISt17integral_constantIbLb0EES1O_IbLb1EEEEDaS1K_S1L_EUlS1K_E_NS1_11comp_targetILNS1_3genE2ELNS1_11target_archE906ELNS1_3gpuE6ELNS1_3repE0EEENS1_30default_config_static_selectorELNS0_4arch9wavefront6targetE0EEEvSY_
                                        ; -- End function
	.set _ZN7rocprim17ROCPRIM_400000_NS6detail17trampoline_kernelINS0_13select_configILj256ELj13ELNS0_17block_load_methodE3ELS4_3ELS4_3ELNS0_20block_scan_algorithmE0ELj4294967295EEENS1_25partition_config_selectorILNS1_17partition_subalgoE3EjNS0_10empty_typeEbEEZZNS1_14partition_implILS8_3ELb0ES6_jNS0_17counting_iteratorIjlEEPS9_SE_NS0_5tupleIJPjSE_EEENSF_IJSE_SE_EEES9_SG_JZNS1_25segmented_radix_sort_implINS0_14default_configELb1EPKbPbPKlPlN2at6native12_GLOBAL__N_18offset_tEEE10hipError_tPvRmT1_PNSt15iterator_traitsISY_E10value_typeET2_T3_PNSZ_IS14_E10value_typeET4_jRbjT5_S1A_jjP12ihipStream_tbEUljE_EEESV_SW_SX_S14_S18_S1A_T6_T7_T9_mT8_S1C_bDpT10_ENKUlT_T0_E_clISt17integral_constantIbLb0EES1O_IbLb1EEEEDaS1K_S1L_EUlS1K_E_NS1_11comp_targetILNS1_3genE2ELNS1_11target_archE906ELNS1_3gpuE6ELNS1_3repE0EEENS1_30default_config_static_selectorELNS0_4arch9wavefront6targetE0EEEvSY_.num_vgpr, 0
	.set _ZN7rocprim17ROCPRIM_400000_NS6detail17trampoline_kernelINS0_13select_configILj256ELj13ELNS0_17block_load_methodE3ELS4_3ELS4_3ELNS0_20block_scan_algorithmE0ELj4294967295EEENS1_25partition_config_selectorILNS1_17partition_subalgoE3EjNS0_10empty_typeEbEEZZNS1_14partition_implILS8_3ELb0ES6_jNS0_17counting_iteratorIjlEEPS9_SE_NS0_5tupleIJPjSE_EEENSF_IJSE_SE_EEES9_SG_JZNS1_25segmented_radix_sort_implINS0_14default_configELb1EPKbPbPKlPlN2at6native12_GLOBAL__N_18offset_tEEE10hipError_tPvRmT1_PNSt15iterator_traitsISY_E10value_typeET2_T3_PNSZ_IS14_E10value_typeET4_jRbjT5_S1A_jjP12ihipStream_tbEUljE_EEESV_SW_SX_S14_S18_S1A_T6_T7_T9_mT8_S1C_bDpT10_ENKUlT_T0_E_clISt17integral_constantIbLb0EES1O_IbLb1EEEEDaS1K_S1L_EUlS1K_E_NS1_11comp_targetILNS1_3genE2ELNS1_11target_archE906ELNS1_3gpuE6ELNS1_3repE0EEENS1_30default_config_static_selectorELNS0_4arch9wavefront6targetE0EEEvSY_.num_agpr, 0
	.set _ZN7rocprim17ROCPRIM_400000_NS6detail17trampoline_kernelINS0_13select_configILj256ELj13ELNS0_17block_load_methodE3ELS4_3ELS4_3ELNS0_20block_scan_algorithmE0ELj4294967295EEENS1_25partition_config_selectorILNS1_17partition_subalgoE3EjNS0_10empty_typeEbEEZZNS1_14partition_implILS8_3ELb0ES6_jNS0_17counting_iteratorIjlEEPS9_SE_NS0_5tupleIJPjSE_EEENSF_IJSE_SE_EEES9_SG_JZNS1_25segmented_radix_sort_implINS0_14default_configELb1EPKbPbPKlPlN2at6native12_GLOBAL__N_18offset_tEEE10hipError_tPvRmT1_PNSt15iterator_traitsISY_E10value_typeET2_T3_PNSZ_IS14_E10value_typeET4_jRbjT5_S1A_jjP12ihipStream_tbEUljE_EEESV_SW_SX_S14_S18_S1A_T6_T7_T9_mT8_S1C_bDpT10_ENKUlT_T0_E_clISt17integral_constantIbLb0EES1O_IbLb1EEEEDaS1K_S1L_EUlS1K_E_NS1_11comp_targetILNS1_3genE2ELNS1_11target_archE906ELNS1_3gpuE6ELNS1_3repE0EEENS1_30default_config_static_selectorELNS0_4arch9wavefront6targetE0EEEvSY_.numbered_sgpr, 0
	.set _ZN7rocprim17ROCPRIM_400000_NS6detail17trampoline_kernelINS0_13select_configILj256ELj13ELNS0_17block_load_methodE3ELS4_3ELS4_3ELNS0_20block_scan_algorithmE0ELj4294967295EEENS1_25partition_config_selectorILNS1_17partition_subalgoE3EjNS0_10empty_typeEbEEZZNS1_14partition_implILS8_3ELb0ES6_jNS0_17counting_iteratorIjlEEPS9_SE_NS0_5tupleIJPjSE_EEENSF_IJSE_SE_EEES9_SG_JZNS1_25segmented_radix_sort_implINS0_14default_configELb1EPKbPbPKlPlN2at6native12_GLOBAL__N_18offset_tEEE10hipError_tPvRmT1_PNSt15iterator_traitsISY_E10value_typeET2_T3_PNSZ_IS14_E10value_typeET4_jRbjT5_S1A_jjP12ihipStream_tbEUljE_EEESV_SW_SX_S14_S18_S1A_T6_T7_T9_mT8_S1C_bDpT10_ENKUlT_T0_E_clISt17integral_constantIbLb0EES1O_IbLb1EEEEDaS1K_S1L_EUlS1K_E_NS1_11comp_targetILNS1_3genE2ELNS1_11target_archE906ELNS1_3gpuE6ELNS1_3repE0EEENS1_30default_config_static_selectorELNS0_4arch9wavefront6targetE0EEEvSY_.num_named_barrier, 0
	.set _ZN7rocprim17ROCPRIM_400000_NS6detail17trampoline_kernelINS0_13select_configILj256ELj13ELNS0_17block_load_methodE3ELS4_3ELS4_3ELNS0_20block_scan_algorithmE0ELj4294967295EEENS1_25partition_config_selectorILNS1_17partition_subalgoE3EjNS0_10empty_typeEbEEZZNS1_14partition_implILS8_3ELb0ES6_jNS0_17counting_iteratorIjlEEPS9_SE_NS0_5tupleIJPjSE_EEENSF_IJSE_SE_EEES9_SG_JZNS1_25segmented_radix_sort_implINS0_14default_configELb1EPKbPbPKlPlN2at6native12_GLOBAL__N_18offset_tEEE10hipError_tPvRmT1_PNSt15iterator_traitsISY_E10value_typeET2_T3_PNSZ_IS14_E10value_typeET4_jRbjT5_S1A_jjP12ihipStream_tbEUljE_EEESV_SW_SX_S14_S18_S1A_T6_T7_T9_mT8_S1C_bDpT10_ENKUlT_T0_E_clISt17integral_constantIbLb0EES1O_IbLb1EEEEDaS1K_S1L_EUlS1K_E_NS1_11comp_targetILNS1_3genE2ELNS1_11target_archE906ELNS1_3gpuE6ELNS1_3repE0EEENS1_30default_config_static_selectorELNS0_4arch9wavefront6targetE0EEEvSY_.private_seg_size, 0
	.set _ZN7rocprim17ROCPRIM_400000_NS6detail17trampoline_kernelINS0_13select_configILj256ELj13ELNS0_17block_load_methodE3ELS4_3ELS4_3ELNS0_20block_scan_algorithmE0ELj4294967295EEENS1_25partition_config_selectorILNS1_17partition_subalgoE3EjNS0_10empty_typeEbEEZZNS1_14partition_implILS8_3ELb0ES6_jNS0_17counting_iteratorIjlEEPS9_SE_NS0_5tupleIJPjSE_EEENSF_IJSE_SE_EEES9_SG_JZNS1_25segmented_radix_sort_implINS0_14default_configELb1EPKbPbPKlPlN2at6native12_GLOBAL__N_18offset_tEEE10hipError_tPvRmT1_PNSt15iterator_traitsISY_E10value_typeET2_T3_PNSZ_IS14_E10value_typeET4_jRbjT5_S1A_jjP12ihipStream_tbEUljE_EEESV_SW_SX_S14_S18_S1A_T6_T7_T9_mT8_S1C_bDpT10_ENKUlT_T0_E_clISt17integral_constantIbLb0EES1O_IbLb1EEEEDaS1K_S1L_EUlS1K_E_NS1_11comp_targetILNS1_3genE2ELNS1_11target_archE906ELNS1_3gpuE6ELNS1_3repE0EEENS1_30default_config_static_selectorELNS0_4arch9wavefront6targetE0EEEvSY_.uses_vcc, 0
	.set _ZN7rocprim17ROCPRIM_400000_NS6detail17trampoline_kernelINS0_13select_configILj256ELj13ELNS0_17block_load_methodE3ELS4_3ELS4_3ELNS0_20block_scan_algorithmE0ELj4294967295EEENS1_25partition_config_selectorILNS1_17partition_subalgoE3EjNS0_10empty_typeEbEEZZNS1_14partition_implILS8_3ELb0ES6_jNS0_17counting_iteratorIjlEEPS9_SE_NS0_5tupleIJPjSE_EEENSF_IJSE_SE_EEES9_SG_JZNS1_25segmented_radix_sort_implINS0_14default_configELb1EPKbPbPKlPlN2at6native12_GLOBAL__N_18offset_tEEE10hipError_tPvRmT1_PNSt15iterator_traitsISY_E10value_typeET2_T3_PNSZ_IS14_E10value_typeET4_jRbjT5_S1A_jjP12ihipStream_tbEUljE_EEESV_SW_SX_S14_S18_S1A_T6_T7_T9_mT8_S1C_bDpT10_ENKUlT_T0_E_clISt17integral_constantIbLb0EES1O_IbLb1EEEEDaS1K_S1L_EUlS1K_E_NS1_11comp_targetILNS1_3genE2ELNS1_11target_archE906ELNS1_3gpuE6ELNS1_3repE0EEENS1_30default_config_static_selectorELNS0_4arch9wavefront6targetE0EEEvSY_.uses_flat_scratch, 0
	.set _ZN7rocprim17ROCPRIM_400000_NS6detail17trampoline_kernelINS0_13select_configILj256ELj13ELNS0_17block_load_methodE3ELS4_3ELS4_3ELNS0_20block_scan_algorithmE0ELj4294967295EEENS1_25partition_config_selectorILNS1_17partition_subalgoE3EjNS0_10empty_typeEbEEZZNS1_14partition_implILS8_3ELb0ES6_jNS0_17counting_iteratorIjlEEPS9_SE_NS0_5tupleIJPjSE_EEENSF_IJSE_SE_EEES9_SG_JZNS1_25segmented_radix_sort_implINS0_14default_configELb1EPKbPbPKlPlN2at6native12_GLOBAL__N_18offset_tEEE10hipError_tPvRmT1_PNSt15iterator_traitsISY_E10value_typeET2_T3_PNSZ_IS14_E10value_typeET4_jRbjT5_S1A_jjP12ihipStream_tbEUljE_EEESV_SW_SX_S14_S18_S1A_T6_T7_T9_mT8_S1C_bDpT10_ENKUlT_T0_E_clISt17integral_constantIbLb0EES1O_IbLb1EEEEDaS1K_S1L_EUlS1K_E_NS1_11comp_targetILNS1_3genE2ELNS1_11target_archE906ELNS1_3gpuE6ELNS1_3repE0EEENS1_30default_config_static_selectorELNS0_4arch9wavefront6targetE0EEEvSY_.has_dyn_sized_stack, 0
	.set _ZN7rocprim17ROCPRIM_400000_NS6detail17trampoline_kernelINS0_13select_configILj256ELj13ELNS0_17block_load_methodE3ELS4_3ELS4_3ELNS0_20block_scan_algorithmE0ELj4294967295EEENS1_25partition_config_selectorILNS1_17partition_subalgoE3EjNS0_10empty_typeEbEEZZNS1_14partition_implILS8_3ELb0ES6_jNS0_17counting_iteratorIjlEEPS9_SE_NS0_5tupleIJPjSE_EEENSF_IJSE_SE_EEES9_SG_JZNS1_25segmented_radix_sort_implINS0_14default_configELb1EPKbPbPKlPlN2at6native12_GLOBAL__N_18offset_tEEE10hipError_tPvRmT1_PNSt15iterator_traitsISY_E10value_typeET2_T3_PNSZ_IS14_E10value_typeET4_jRbjT5_S1A_jjP12ihipStream_tbEUljE_EEESV_SW_SX_S14_S18_S1A_T6_T7_T9_mT8_S1C_bDpT10_ENKUlT_T0_E_clISt17integral_constantIbLb0EES1O_IbLb1EEEEDaS1K_S1L_EUlS1K_E_NS1_11comp_targetILNS1_3genE2ELNS1_11target_archE906ELNS1_3gpuE6ELNS1_3repE0EEENS1_30default_config_static_selectorELNS0_4arch9wavefront6targetE0EEEvSY_.has_recursion, 0
	.set _ZN7rocprim17ROCPRIM_400000_NS6detail17trampoline_kernelINS0_13select_configILj256ELj13ELNS0_17block_load_methodE3ELS4_3ELS4_3ELNS0_20block_scan_algorithmE0ELj4294967295EEENS1_25partition_config_selectorILNS1_17partition_subalgoE3EjNS0_10empty_typeEbEEZZNS1_14partition_implILS8_3ELb0ES6_jNS0_17counting_iteratorIjlEEPS9_SE_NS0_5tupleIJPjSE_EEENSF_IJSE_SE_EEES9_SG_JZNS1_25segmented_radix_sort_implINS0_14default_configELb1EPKbPbPKlPlN2at6native12_GLOBAL__N_18offset_tEEE10hipError_tPvRmT1_PNSt15iterator_traitsISY_E10value_typeET2_T3_PNSZ_IS14_E10value_typeET4_jRbjT5_S1A_jjP12ihipStream_tbEUljE_EEESV_SW_SX_S14_S18_S1A_T6_T7_T9_mT8_S1C_bDpT10_ENKUlT_T0_E_clISt17integral_constantIbLb0EES1O_IbLb1EEEEDaS1K_S1L_EUlS1K_E_NS1_11comp_targetILNS1_3genE2ELNS1_11target_archE906ELNS1_3gpuE6ELNS1_3repE0EEENS1_30default_config_static_selectorELNS0_4arch9wavefront6targetE0EEEvSY_.has_indirect_call, 0
	.section	.AMDGPU.csdata,"",@progbits
; Kernel info:
; codeLenInByte = 0
; TotalNumSgprs: 0
; NumVgprs: 0
; ScratchSize: 0
; MemoryBound: 0
; FloatMode: 240
; IeeeMode: 1
; LDSByteSize: 0 bytes/workgroup (compile time only)
; SGPRBlocks: 0
; VGPRBlocks: 0
; NumSGPRsForWavesPerEU: 1
; NumVGPRsForWavesPerEU: 1
; NamedBarCnt: 0
; Occupancy: 16
; WaveLimiterHint : 0
; COMPUTE_PGM_RSRC2:SCRATCH_EN: 0
; COMPUTE_PGM_RSRC2:USER_SGPR: 2
; COMPUTE_PGM_RSRC2:TRAP_HANDLER: 0
; COMPUTE_PGM_RSRC2:TGID_X_EN: 1
; COMPUTE_PGM_RSRC2:TGID_Y_EN: 0
; COMPUTE_PGM_RSRC2:TGID_Z_EN: 0
; COMPUTE_PGM_RSRC2:TIDIG_COMP_CNT: 0
	.section	.text._ZN7rocprim17ROCPRIM_400000_NS6detail17trampoline_kernelINS0_13select_configILj256ELj13ELNS0_17block_load_methodE3ELS4_3ELS4_3ELNS0_20block_scan_algorithmE0ELj4294967295EEENS1_25partition_config_selectorILNS1_17partition_subalgoE3EjNS0_10empty_typeEbEEZZNS1_14partition_implILS8_3ELb0ES6_jNS0_17counting_iteratorIjlEEPS9_SE_NS0_5tupleIJPjSE_EEENSF_IJSE_SE_EEES9_SG_JZNS1_25segmented_radix_sort_implINS0_14default_configELb1EPKbPbPKlPlN2at6native12_GLOBAL__N_18offset_tEEE10hipError_tPvRmT1_PNSt15iterator_traitsISY_E10value_typeET2_T3_PNSZ_IS14_E10value_typeET4_jRbjT5_S1A_jjP12ihipStream_tbEUljE_EEESV_SW_SX_S14_S18_S1A_T6_T7_T9_mT8_S1C_bDpT10_ENKUlT_T0_E_clISt17integral_constantIbLb0EES1O_IbLb1EEEEDaS1K_S1L_EUlS1K_E_NS1_11comp_targetILNS1_3genE10ELNS1_11target_archE1200ELNS1_3gpuE4ELNS1_3repE0EEENS1_30default_config_static_selectorELNS0_4arch9wavefront6targetE0EEEvSY_,"axG",@progbits,_ZN7rocprim17ROCPRIM_400000_NS6detail17trampoline_kernelINS0_13select_configILj256ELj13ELNS0_17block_load_methodE3ELS4_3ELS4_3ELNS0_20block_scan_algorithmE0ELj4294967295EEENS1_25partition_config_selectorILNS1_17partition_subalgoE3EjNS0_10empty_typeEbEEZZNS1_14partition_implILS8_3ELb0ES6_jNS0_17counting_iteratorIjlEEPS9_SE_NS0_5tupleIJPjSE_EEENSF_IJSE_SE_EEES9_SG_JZNS1_25segmented_radix_sort_implINS0_14default_configELb1EPKbPbPKlPlN2at6native12_GLOBAL__N_18offset_tEEE10hipError_tPvRmT1_PNSt15iterator_traitsISY_E10value_typeET2_T3_PNSZ_IS14_E10value_typeET4_jRbjT5_S1A_jjP12ihipStream_tbEUljE_EEESV_SW_SX_S14_S18_S1A_T6_T7_T9_mT8_S1C_bDpT10_ENKUlT_T0_E_clISt17integral_constantIbLb0EES1O_IbLb1EEEEDaS1K_S1L_EUlS1K_E_NS1_11comp_targetILNS1_3genE10ELNS1_11target_archE1200ELNS1_3gpuE4ELNS1_3repE0EEENS1_30default_config_static_selectorELNS0_4arch9wavefront6targetE0EEEvSY_,comdat
	.globl	_ZN7rocprim17ROCPRIM_400000_NS6detail17trampoline_kernelINS0_13select_configILj256ELj13ELNS0_17block_load_methodE3ELS4_3ELS4_3ELNS0_20block_scan_algorithmE0ELj4294967295EEENS1_25partition_config_selectorILNS1_17partition_subalgoE3EjNS0_10empty_typeEbEEZZNS1_14partition_implILS8_3ELb0ES6_jNS0_17counting_iteratorIjlEEPS9_SE_NS0_5tupleIJPjSE_EEENSF_IJSE_SE_EEES9_SG_JZNS1_25segmented_radix_sort_implINS0_14default_configELb1EPKbPbPKlPlN2at6native12_GLOBAL__N_18offset_tEEE10hipError_tPvRmT1_PNSt15iterator_traitsISY_E10value_typeET2_T3_PNSZ_IS14_E10value_typeET4_jRbjT5_S1A_jjP12ihipStream_tbEUljE_EEESV_SW_SX_S14_S18_S1A_T6_T7_T9_mT8_S1C_bDpT10_ENKUlT_T0_E_clISt17integral_constantIbLb0EES1O_IbLb1EEEEDaS1K_S1L_EUlS1K_E_NS1_11comp_targetILNS1_3genE10ELNS1_11target_archE1200ELNS1_3gpuE4ELNS1_3repE0EEENS1_30default_config_static_selectorELNS0_4arch9wavefront6targetE0EEEvSY_ ; -- Begin function _ZN7rocprim17ROCPRIM_400000_NS6detail17trampoline_kernelINS0_13select_configILj256ELj13ELNS0_17block_load_methodE3ELS4_3ELS4_3ELNS0_20block_scan_algorithmE0ELj4294967295EEENS1_25partition_config_selectorILNS1_17partition_subalgoE3EjNS0_10empty_typeEbEEZZNS1_14partition_implILS8_3ELb0ES6_jNS0_17counting_iteratorIjlEEPS9_SE_NS0_5tupleIJPjSE_EEENSF_IJSE_SE_EEES9_SG_JZNS1_25segmented_radix_sort_implINS0_14default_configELb1EPKbPbPKlPlN2at6native12_GLOBAL__N_18offset_tEEE10hipError_tPvRmT1_PNSt15iterator_traitsISY_E10value_typeET2_T3_PNSZ_IS14_E10value_typeET4_jRbjT5_S1A_jjP12ihipStream_tbEUljE_EEESV_SW_SX_S14_S18_S1A_T6_T7_T9_mT8_S1C_bDpT10_ENKUlT_T0_E_clISt17integral_constantIbLb0EES1O_IbLb1EEEEDaS1K_S1L_EUlS1K_E_NS1_11comp_targetILNS1_3genE10ELNS1_11target_archE1200ELNS1_3gpuE4ELNS1_3repE0EEENS1_30default_config_static_selectorELNS0_4arch9wavefront6targetE0EEEvSY_
	.p2align	8
	.type	_ZN7rocprim17ROCPRIM_400000_NS6detail17trampoline_kernelINS0_13select_configILj256ELj13ELNS0_17block_load_methodE3ELS4_3ELS4_3ELNS0_20block_scan_algorithmE0ELj4294967295EEENS1_25partition_config_selectorILNS1_17partition_subalgoE3EjNS0_10empty_typeEbEEZZNS1_14partition_implILS8_3ELb0ES6_jNS0_17counting_iteratorIjlEEPS9_SE_NS0_5tupleIJPjSE_EEENSF_IJSE_SE_EEES9_SG_JZNS1_25segmented_radix_sort_implINS0_14default_configELb1EPKbPbPKlPlN2at6native12_GLOBAL__N_18offset_tEEE10hipError_tPvRmT1_PNSt15iterator_traitsISY_E10value_typeET2_T3_PNSZ_IS14_E10value_typeET4_jRbjT5_S1A_jjP12ihipStream_tbEUljE_EEESV_SW_SX_S14_S18_S1A_T6_T7_T9_mT8_S1C_bDpT10_ENKUlT_T0_E_clISt17integral_constantIbLb0EES1O_IbLb1EEEEDaS1K_S1L_EUlS1K_E_NS1_11comp_targetILNS1_3genE10ELNS1_11target_archE1200ELNS1_3gpuE4ELNS1_3repE0EEENS1_30default_config_static_selectorELNS0_4arch9wavefront6targetE0EEEvSY_,@function
_ZN7rocprim17ROCPRIM_400000_NS6detail17trampoline_kernelINS0_13select_configILj256ELj13ELNS0_17block_load_methodE3ELS4_3ELS4_3ELNS0_20block_scan_algorithmE0ELj4294967295EEENS1_25partition_config_selectorILNS1_17partition_subalgoE3EjNS0_10empty_typeEbEEZZNS1_14partition_implILS8_3ELb0ES6_jNS0_17counting_iteratorIjlEEPS9_SE_NS0_5tupleIJPjSE_EEENSF_IJSE_SE_EEES9_SG_JZNS1_25segmented_radix_sort_implINS0_14default_configELb1EPKbPbPKlPlN2at6native12_GLOBAL__N_18offset_tEEE10hipError_tPvRmT1_PNSt15iterator_traitsISY_E10value_typeET2_T3_PNSZ_IS14_E10value_typeET4_jRbjT5_S1A_jjP12ihipStream_tbEUljE_EEESV_SW_SX_S14_S18_S1A_T6_T7_T9_mT8_S1C_bDpT10_ENKUlT_T0_E_clISt17integral_constantIbLb0EES1O_IbLb1EEEEDaS1K_S1L_EUlS1K_E_NS1_11comp_targetILNS1_3genE10ELNS1_11target_archE1200ELNS1_3gpuE4ELNS1_3repE0EEENS1_30default_config_static_selectorELNS0_4arch9wavefront6targetE0EEEvSY_: ; @_ZN7rocprim17ROCPRIM_400000_NS6detail17trampoline_kernelINS0_13select_configILj256ELj13ELNS0_17block_load_methodE3ELS4_3ELS4_3ELNS0_20block_scan_algorithmE0ELj4294967295EEENS1_25partition_config_selectorILNS1_17partition_subalgoE3EjNS0_10empty_typeEbEEZZNS1_14partition_implILS8_3ELb0ES6_jNS0_17counting_iteratorIjlEEPS9_SE_NS0_5tupleIJPjSE_EEENSF_IJSE_SE_EEES9_SG_JZNS1_25segmented_radix_sort_implINS0_14default_configELb1EPKbPbPKlPlN2at6native12_GLOBAL__N_18offset_tEEE10hipError_tPvRmT1_PNSt15iterator_traitsISY_E10value_typeET2_T3_PNSZ_IS14_E10value_typeET4_jRbjT5_S1A_jjP12ihipStream_tbEUljE_EEESV_SW_SX_S14_S18_S1A_T6_T7_T9_mT8_S1C_bDpT10_ENKUlT_T0_E_clISt17integral_constantIbLb0EES1O_IbLb1EEEEDaS1K_S1L_EUlS1K_E_NS1_11comp_targetILNS1_3genE10ELNS1_11target_archE1200ELNS1_3gpuE4ELNS1_3repE0EEENS1_30default_config_static_selectorELNS0_4arch9wavefront6targetE0EEEvSY_
; %bb.0:
	.section	.rodata,"a",@progbits
	.p2align	6, 0x0
	.amdhsa_kernel _ZN7rocprim17ROCPRIM_400000_NS6detail17trampoline_kernelINS0_13select_configILj256ELj13ELNS0_17block_load_methodE3ELS4_3ELS4_3ELNS0_20block_scan_algorithmE0ELj4294967295EEENS1_25partition_config_selectorILNS1_17partition_subalgoE3EjNS0_10empty_typeEbEEZZNS1_14partition_implILS8_3ELb0ES6_jNS0_17counting_iteratorIjlEEPS9_SE_NS0_5tupleIJPjSE_EEENSF_IJSE_SE_EEES9_SG_JZNS1_25segmented_radix_sort_implINS0_14default_configELb1EPKbPbPKlPlN2at6native12_GLOBAL__N_18offset_tEEE10hipError_tPvRmT1_PNSt15iterator_traitsISY_E10value_typeET2_T3_PNSZ_IS14_E10value_typeET4_jRbjT5_S1A_jjP12ihipStream_tbEUljE_EEESV_SW_SX_S14_S18_S1A_T6_T7_T9_mT8_S1C_bDpT10_ENKUlT_T0_E_clISt17integral_constantIbLb0EES1O_IbLb1EEEEDaS1K_S1L_EUlS1K_E_NS1_11comp_targetILNS1_3genE10ELNS1_11target_archE1200ELNS1_3gpuE4ELNS1_3repE0EEENS1_30default_config_static_selectorELNS0_4arch9wavefront6targetE0EEEvSY_
		.amdhsa_group_segment_fixed_size 0
		.amdhsa_private_segment_fixed_size 0
		.amdhsa_kernarg_size 152
		.amdhsa_user_sgpr_count 2
		.amdhsa_user_sgpr_dispatch_ptr 0
		.amdhsa_user_sgpr_queue_ptr 0
		.amdhsa_user_sgpr_kernarg_segment_ptr 1
		.amdhsa_user_sgpr_dispatch_id 0
		.amdhsa_user_sgpr_kernarg_preload_length 0
		.amdhsa_user_sgpr_kernarg_preload_offset 0
		.amdhsa_user_sgpr_private_segment_size 0
		.amdhsa_wavefront_size32 1
		.amdhsa_uses_dynamic_stack 0
		.amdhsa_enable_private_segment 0
		.amdhsa_system_sgpr_workgroup_id_x 1
		.amdhsa_system_sgpr_workgroup_id_y 0
		.amdhsa_system_sgpr_workgroup_id_z 0
		.amdhsa_system_sgpr_workgroup_info 0
		.amdhsa_system_vgpr_workitem_id 0
		.amdhsa_next_free_vgpr 1
		.amdhsa_next_free_sgpr 1
		.amdhsa_named_barrier_count 0
		.amdhsa_reserve_vcc 0
		.amdhsa_float_round_mode_32 0
		.amdhsa_float_round_mode_16_64 0
		.amdhsa_float_denorm_mode_32 3
		.amdhsa_float_denorm_mode_16_64 3
		.amdhsa_fp16_overflow 0
		.amdhsa_memory_ordered 1
		.amdhsa_forward_progress 1
		.amdhsa_inst_pref_size 0
		.amdhsa_round_robin_scheduling 0
		.amdhsa_exception_fp_ieee_invalid_op 0
		.amdhsa_exception_fp_denorm_src 0
		.amdhsa_exception_fp_ieee_div_zero 0
		.amdhsa_exception_fp_ieee_overflow 0
		.amdhsa_exception_fp_ieee_underflow 0
		.amdhsa_exception_fp_ieee_inexact 0
		.amdhsa_exception_int_div_zero 0
	.end_amdhsa_kernel
	.section	.text._ZN7rocprim17ROCPRIM_400000_NS6detail17trampoline_kernelINS0_13select_configILj256ELj13ELNS0_17block_load_methodE3ELS4_3ELS4_3ELNS0_20block_scan_algorithmE0ELj4294967295EEENS1_25partition_config_selectorILNS1_17partition_subalgoE3EjNS0_10empty_typeEbEEZZNS1_14partition_implILS8_3ELb0ES6_jNS0_17counting_iteratorIjlEEPS9_SE_NS0_5tupleIJPjSE_EEENSF_IJSE_SE_EEES9_SG_JZNS1_25segmented_radix_sort_implINS0_14default_configELb1EPKbPbPKlPlN2at6native12_GLOBAL__N_18offset_tEEE10hipError_tPvRmT1_PNSt15iterator_traitsISY_E10value_typeET2_T3_PNSZ_IS14_E10value_typeET4_jRbjT5_S1A_jjP12ihipStream_tbEUljE_EEESV_SW_SX_S14_S18_S1A_T6_T7_T9_mT8_S1C_bDpT10_ENKUlT_T0_E_clISt17integral_constantIbLb0EES1O_IbLb1EEEEDaS1K_S1L_EUlS1K_E_NS1_11comp_targetILNS1_3genE10ELNS1_11target_archE1200ELNS1_3gpuE4ELNS1_3repE0EEENS1_30default_config_static_selectorELNS0_4arch9wavefront6targetE0EEEvSY_,"axG",@progbits,_ZN7rocprim17ROCPRIM_400000_NS6detail17trampoline_kernelINS0_13select_configILj256ELj13ELNS0_17block_load_methodE3ELS4_3ELS4_3ELNS0_20block_scan_algorithmE0ELj4294967295EEENS1_25partition_config_selectorILNS1_17partition_subalgoE3EjNS0_10empty_typeEbEEZZNS1_14partition_implILS8_3ELb0ES6_jNS0_17counting_iteratorIjlEEPS9_SE_NS0_5tupleIJPjSE_EEENSF_IJSE_SE_EEES9_SG_JZNS1_25segmented_radix_sort_implINS0_14default_configELb1EPKbPbPKlPlN2at6native12_GLOBAL__N_18offset_tEEE10hipError_tPvRmT1_PNSt15iterator_traitsISY_E10value_typeET2_T3_PNSZ_IS14_E10value_typeET4_jRbjT5_S1A_jjP12ihipStream_tbEUljE_EEESV_SW_SX_S14_S18_S1A_T6_T7_T9_mT8_S1C_bDpT10_ENKUlT_T0_E_clISt17integral_constantIbLb0EES1O_IbLb1EEEEDaS1K_S1L_EUlS1K_E_NS1_11comp_targetILNS1_3genE10ELNS1_11target_archE1200ELNS1_3gpuE4ELNS1_3repE0EEENS1_30default_config_static_selectorELNS0_4arch9wavefront6targetE0EEEvSY_,comdat
.Lfunc_end1521:
	.size	_ZN7rocprim17ROCPRIM_400000_NS6detail17trampoline_kernelINS0_13select_configILj256ELj13ELNS0_17block_load_methodE3ELS4_3ELS4_3ELNS0_20block_scan_algorithmE0ELj4294967295EEENS1_25partition_config_selectorILNS1_17partition_subalgoE3EjNS0_10empty_typeEbEEZZNS1_14partition_implILS8_3ELb0ES6_jNS0_17counting_iteratorIjlEEPS9_SE_NS0_5tupleIJPjSE_EEENSF_IJSE_SE_EEES9_SG_JZNS1_25segmented_radix_sort_implINS0_14default_configELb1EPKbPbPKlPlN2at6native12_GLOBAL__N_18offset_tEEE10hipError_tPvRmT1_PNSt15iterator_traitsISY_E10value_typeET2_T3_PNSZ_IS14_E10value_typeET4_jRbjT5_S1A_jjP12ihipStream_tbEUljE_EEESV_SW_SX_S14_S18_S1A_T6_T7_T9_mT8_S1C_bDpT10_ENKUlT_T0_E_clISt17integral_constantIbLb0EES1O_IbLb1EEEEDaS1K_S1L_EUlS1K_E_NS1_11comp_targetILNS1_3genE10ELNS1_11target_archE1200ELNS1_3gpuE4ELNS1_3repE0EEENS1_30default_config_static_selectorELNS0_4arch9wavefront6targetE0EEEvSY_, .Lfunc_end1521-_ZN7rocprim17ROCPRIM_400000_NS6detail17trampoline_kernelINS0_13select_configILj256ELj13ELNS0_17block_load_methodE3ELS4_3ELS4_3ELNS0_20block_scan_algorithmE0ELj4294967295EEENS1_25partition_config_selectorILNS1_17partition_subalgoE3EjNS0_10empty_typeEbEEZZNS1_14partition_implILS8_3ELb0ES6_jNS0_17counting_iteratorIjlEEPS9_SE_NS0_5tupleIJPjSE_EEENSF_IJSE_SE_EEES9_SG_JZNS1_25segmented_radix_sort_implINS0_14default_configELb1EPKbPbPKlPlN2at6native12_GLOBAL__N_18offset_tEEE10hipError_tPvRmT1_PNSt15iterator_traitsISY_E10value_typeET2_T3_PNSZ_IS14_E10value_typeET4_jRbjT5_S1A_jjP12ihipStream_tbEUljE_EEESV_SW_SX_S14_S18_S1A_T6_T7_T9_mT8_S1C_bDpT10_ENKUlT_T0_E_clISt17integral_constantIbLb0EES1O_IbLb1EEEEDaS1K_S1L_EUlS1K_E_NS1_11comp_targetILNS1_3genE10ELNS1_11target_archE1200ELNS1_3gpuE4ELNS1_3repE0EEENS1_30default_config_static_selectorELNS0_4arch9wavefront6targetE0EEEvSY_
                                        ; -- End function
	.set _ZN7rocprim17ROCPRIM_400000_NS6detail17trampoline_kernelINS0_13select_configILj256ELj13ELNS0_17block_load_methodE3ELS4_3ELS4_3ELNS0_20block_scan_algorithmE0ELj4294967295EEENS1_25partition_config_selectorILNS1_17partition_subalgoE3EjNS0_10empty_typeEbEEZZNS1_14partition_implILS8_3ELb0ES6_jNS0_17counting_iteratorIjlEEPS9_SE_NS0_5tupleIJPjSE_EEENSF_IJSE_SE_EEES9_SG_JZNS1_25segmented_radix_sort_implINS0_14default_configELb1EPKbPbPKlPlN2at6native12_GLOBAL__N_18offset_tEEE10hipError_tPvRmT1_PNSt15iterator_traitsISY_E10value_typeET2_T3_PNSZ_IS14_E10value_typeET4_jRbjT5_S1A_jjP12ihipStream_tbEUljE_EEESV_SW_SX_S14_S18_S1A_T6_T7_T9_mT8_S1C_bDpT10_ENKUlT_T0_E_clISt17integral_constantIbLb0EES1O_IbLb1EEEEDaS1K_S1L_EUlS1K_E_NS1_11comp_targetILNS1_3genE10ELNS1_11target_archE1200ELNS1_3gpuE4ELNS1_3repE0EEENS1_30default_config_static_selectorELNS0_4arch9wavefront6targetE0EEEvSY_.num_vgpr, 0
	.set _ZN7rocprim17ROCPRIM_400000_NS6detail17trampoline_kernelINS0_13select_configILj256ELj13ELNS0_17block_load_methodE3ELS4_3ELS4_3ELNS0_20block_scan_algorithmE0ELj4294967295EEENS1_25partition_config_selectorILNS1_17partition_subalgoE3EjNS0_10empty_typeEbEEZZNS1_14partition_implILS8_3ELb0ES6_jNS0_17counting_iteratorIjlEEPS9_SE_NS0_5tupleIJPjSE_EEENSF_IJSE_SE_EEES9_SG_JZNS1_25segmented_radix_sort_implINS0_14default_configELb1EPKbPbPKlPlN2at6native12_GLOBAL__N_18offset_tEEE10hipError_tPvRmT1_PNSt15iterator_traitsISY_E10value_typeET2_T3_PNSZ_IS14_E10value_typeET4_jRbjT5_S1A_jjP12ihipStream_tbEUljE_EEESV_SW_SX_S14_S18_S1A_T6_T7_T9_mT8_S1C_bDpT10_ENKUlT_T0_E_clISt17integral_constantIbLb0EES1O_IbLb1EEEEDaS1K_S1L_EUlS1K_E_NS1_11comp_targetILNS1_3genE10ELNS1_11target_archE1200ELNS1_3gpuE4ELNS1_3repE0EEENS1_30default_config_static_selectorELNS0_4arch9wavefront6targetE0EEEvSY_.num_agpr, 0
	.set _ZN7rocprim17ROCPRIM_400000_NS6detail17trampoline_kernelINS0_13select_configILj256ELj13ELNS0_17block_load_methodE3ELS4_3ELS4_3ELNS0_20block_scan_algorithmE0ELj4294967295EEENS1_25partition_config_selectorILNS1_17partition_subalgoE3EjNS0_10empty_typeEbEEZZNS1_14partition_implILS8_3ELb0ES6_jNS0_17counting_iteratorIjlEEPS9_SE_NS0_5tupleIJPjSE_EEENSF_IJSE_SE_EEES9_SG_JZNS1_25segmented_radix_sort_implINS0_14default_configELb1EPKbPbPKlPlN2at6native12_GLOBAL__N_18offset_tEEE10hipError_tPvRmT1_PNSt15iterator_traitsISY_E10value_typeET2_T3_PNSZ_IS14_E10value_typeET4_jRbjT5_S1A_jjP12ihipStream_tbEUljE_EEESV_SW_SX_S14_S18_S1A_T6_T7_T9_mT8_S1C_bDpT10_ENKUlT_T0_E_clISt17integral_constantIbLb0EES1O_IbLb1EEEEDaS1K_S1L_EUlS1K_E_NS1_11comp_targetILNS1_3genE10ELNS1_11target_archE1200ELNS1_3gpuE4ELNS1_3repE0EEENS1_30default_config_static_selectorELNS0_4arch9wavefront6targetE0EEEvSY_.numbered_sgpr, 0
	.set _ZN7rocprim17ROCPRIM_400000_NS6detail17trampoline_kernelINS0_13select_configILj256ELj13ELNS0_17block_load_methodE3ELS4_3ELS4_3ELNS0_20block_scan_algorithmE0ELj4294967295EEENS1_25partition_config_selectorILNS1_17partition_subalgoE3EjNS0_10empty_typeEbEEZZNS1_14partition_implILS8_3ELb0ES6_jNS0_17counting_iteratorIjlEEPS9_SE_NS0_5tupleIJPjSE_EEENSF_IJSE_SE_EEES9_SG_JZNS1_25segmented_radix_sort_implINS0_14default_configELb1EPKbPbPKlPlN2at6native12_GLOBAL__N_18offset_tEEE10hipError_tPvRmT1_PNSt15iterator_traitsISY_E10value_typeET2_T3_PNSZ_IS14_E10value_typeET4_jRbjT5_S1A_jjP12ihipStream_tbEUljE_EEESV_SW_SX_S14_S18_S1A_T6_T7_T9_mT8_S1C_bDpT10_ENKUlT_T0_E_clISt17integral_constantIbLb0EES1O_IbLb1EEEEDaS1K_S1L_EUlS1K_E_NS1_11comp_targetILNS1_3genE10ELNS1_11target_archE1200ELNS1_3gpuE4ELNS1_3repE0EEENS1_30default_config_static_selectorELNS0_4arch9wavefront6targetE0EEEvSY_.num_named_barrier, 0
	.set _ZN7rocprim17ROCPRIM_400000_NS6detail17trampoline_kernelINS0_13select_configILj256ELj13ELNS0_17block_load_methodE3ELS4_3ELS4_3ELNS0_20block_scan_algorithmE0ELj4294967295EEENS1_25partition_config_selectorILNS1_17partition_subalgoE3EjNS0_10empty_typeEbEEZZNS1_14partition_implILS8_3ELb0ES6_jNS0_17counting_iteratorIjlEEPS9_SE_NS0_5tupleIJPjSE_EEENSF_IJSE_SE_EEES9_SG_JZNS1_25segmented_radix_sort_implINS0_14default_configELb1EPKbPbPKlPlN2at6native12_GLOBAL__N_18offset_tEEE10hipError_tPvRmT1_PNSt15iterator_traitsISY_E10value_typeET2_T3_PNSZ_IS14_E10value_typeET4_jRbjT5_S1A_jjP12ihipStream_tbEUljE_EEESV_SW_SX_S14_S18_S1A_T6_T7_T9_mT8_S1C_bDpT10_ENKUlT_T0_E_clISt17integral_constantIbLb0EES1O_IbLb1EEEEDaS1K_S1L_EUlS1K_E_NS1_11comp_targetILNS1_3genE10ELNS1_11target_archE1200ELNS1_3gpuE4ELNS1_3repE0EEENS1_30default_config_static_selectorELNS0_4arch9wavefront6targetE0EEEvSY_.private_seg_size, 0
	.set _ZN7rocprim17ROCPRIM_400000_NS6detail17trampoline_kernelINS0_13select_configILj256ELj13ELNS0_17block_load_methodE3ELS4_3ELS4_3ELNS0_20block_scan_algorithmE0ELj4294967295EEENS1_25partition_config_selectorILNS1_17partition_subalgoE3EjNS0_10empty_typeEbEEZZNS1_14partition_implILS8_3ELb0ES6_jNS0_17counting_iteratorIjlEEPS9_SE_NS0_5tupleIJPjSE_EEENSF_IJSE_SE_EEES9_SG_JZNS1_25segmented_radix_sort_implINS0_14default_configELb1EPKbPbPKlPlN2at6native12_GLOBAL__N_18offset_tEEE10hipError_tPvRmT1_PNSt15iterator_traitsISY_E10value_typeET2_T3_PNSZ_IS14_E10value_typeET4_jRbjT5_S1A_jjP12ihipStream_tbEUljE_EEESV_SW_SX_S14_S18_S1A_T6_T7_T9_mT8_S1C_bDpT10_ENKUlT_T0_E_clISt17integral_constantIbLb0EES1O_IbLb1EEEEDaS1K_S1L_EUlS1K_E_NS1_11comp_targetILNS1_3genE10ELNS1_11target_archE1200ELNS1_3gpuE4ELNS1_3repE0EEENS1_30default_config_static_selectorELNS0_4arch9wavefront6targetE0EEEvSY_.uses_vcc, 0
	.set _ZN7rocprim17ROCPRIM_400000_NS6detail17trampoline_kernelINS0_13select_configILj256ELj13ELNS0_17block_load_methodE3ELS4_3ELS4_3ELNS0_20block_scan_algorithmE0ELj4294967295EEENS1_25partition_config_selectorILNS1_17partition_subalgoE3EjNS0_10empty_typeEbEEZZNS1_14partition_implILS8_3ELb0ES6_jNS0_17counting_iteratorIjlEEPS9_SE_NS0_5tupleIJPjSE_EEENSF_IJSE_SE_EEES9_SG_JZNS1_25segmented_radix_sort_implINS0_14default_configELb1EPKbPbPKlPlN2at6native12_GLOBAL__N_18offset_tEEE10hipError_tPvRmT1_PNSt15iterator_traitsISY_E10value_typeET2_T3_PNSZ_IS14_E10value_typeET4_jRbjT5_S1A_jjP12ihipStream_tbEUljE_EEESV_SW_SX_S14_S18_S1A_T6_T7_T9_mT8_S1C_bDpT10_ENKUlT_T0_E_clISt17integral_constantIbLb0EES1O_IbLb1EEEEDaS1K_S1L_EUlS1K_E_NS1_11comp_targetILNS1_3genE10ELNS1_11target_archE1200ELNS1_3gpuE4ELNS1_3repE0EEENS1_30default_config_static_selectorELNS0_4arch9wavefront6targetE0EEEvSY_.uses_flat_scratch, 0
	.set _ZN7rocprim17ROCPRIM_400000_NS6detail17trampoline_kernelINS0_13select_configILj256ELj13ELNS0_17block_load_methodE3ELS4_3ELS4_3ELNS0_20block_scan_algorithmE0ELj4294967295EEENS1_25partition_config_selectorILNS1_17partition_subalgoE3EjNS0_10empty_typeEbEEZZNS1_14partition_implILS8_3ELb0ES6_jNS0_17counting_iteratorIjlEEPS9_SE_NS0_5tupleIJPjSE_EEENSF_IJSE_SE_EEES9_SG_JZNS1_25segmented_radix_sort_implINS0_14default_configELb1EPKbPbPKlPlN2at6native12_GLOBAL__N_18offset_tEEE10hipError_tPvRmT1_PNSt15iterator_traitsISY_E10value_typeET2_T3_PNSZ_IS14_E10value_typeET4_jRbjT5_S1A_jjP12ihipStream_tbEUljE_EEESV_SW_SX_S14_S18_S1A_T6_T7_T9_mT8_S1C_bDpT10_ENKUlT_T0_E_clISt17integral_constantIbLb0EES1O_IbLb1EEEEDaS1K_S1L_EUlS1K_E_NS1_11comp_targetILNS1_3genE10ELNS1_11target_archE1200ELNS1_3gpuE4ELNS1_3repE0EEENS1_30default_config_static_selectorELNS0_4arch9wavefront6targetE0EEEvSY_.has_dyn_sized_stack, 0
	.set _ZN7rocprim17ROCPRIM_400000_NS6detail17trampoline_kernelINS0_13select_configILj256ELj13ELNS0_17block_load_methodE3ELS4_3ELS4_3ELNS0_20block_scan_algorithmE0ELj4294967295EEENS1_25partition_config_selectorILNS1_17partition_subalgoE3EjNS0_10empty_typeEbEEZZNS1_14partition_implILS8_3ELb0ES6_jNS0_17counting_iteratorIjlEEPS9_SE_NS0_5tupleIJPjSE_EEENSF_IJSE_SE_EEES9_SG_JZNS1_25segmented_radix_sort_implINS0_14default_configELb1EPKbPbPKlPlN2at6native12_GLOBAL__N_18offset_tEEE10hipError_tPvRmT1_PNSt15iterator_traitsISY_E10value_typeET2_T3_PNSZ_IS14_E10value_typeET4_jRbjT5_S1A_jjP12ihipStream_tbEUljE_EEESV_SW_SX_S14_S18_S1A_T6_T7_T9_mT8_S1C_bDpT10_ENKUlT_T0_E_clISt17integral_constantIbLb0EES1O_IbLb1EEEEDaS1K_S1L_EUlS1K_E_NS1_11comp_targetILNS1_3genE10ELNS1_11target_archE1200ELNS1_3gpuE4ELNS1_3repE0EEENS1_30default_config_static_selectorELNS0_4arch9wavefront6targetE0EEEvSY_.has_recursion, 0
	.set _ZN7rocprim17ROCPRIM_400000_NS6detail17trampoline_kernelINS0_13select_configILj256ELj13ELNS0_17block_load_methodE3ELS4_3ELS4_3ELNS0_20block_scan_algorithmE0ELj4294967295EEENS1_25partition_config_selectorILNS1_17partition_subalgoE3EjNS0_10empty_typeEbEEZZNS1_14partition_implILS8_3ELb0ES6_jNS0_17counting_iteratorIjlEEPS9_SE_NS0_5tupleIJPjSE_EEENSF_IJSE_SE_EEES9_SG_JZNS1_25segmented_radix_sort_implINS0_14default_configELb1EPKbPbPKlPlN2at6native12_GLOBAL__N_18offset_tEEE10hipError_tPvRmT1_PNSt15iterator_traitsISY_E10value_typeET2_T3_PNSZ_IS14_E10value_typeET4_jRbjT5_S1A_jjP12ihipStream_tbEUljE_EEESV_SW_SX_S14_S18_S1A_T6_T7_T9_mT8_S1C_bDpT10_ENKUlT_T0_E_clISt17integral_constantIbLb0EES1O_IbLb1EEEEDaS1K_S1L_EUlS1K_E_NS1_11comp_targetILNS1_3genE10ELNS1_11target_archE1200ELNS1_3gpuE4ELNS1_3repE0EEENS1_30default_config_static_selectorELNS0_4arch9wavefront6targetE0EEEvSY_.has_indirect_call, 0
	.section	.AMDGPU.csdata,"",@progbits
; Kernel info:
; codeLenInByte = 0
; TotalNumSgprs: 0
; NumVgprs: 0
; ScratchSize: 0
; MemoryBound: 0
; FloatMode: 240
; IeeeMode: 1
; LDSByteSize: 0 bytes/workgroup (compile time only)
; SGPRBlocks: 0
; VGPRBlocks: 0
; NumSGPRsForWavesPerEU: 1
; NumVGPRsForWavesPerEU: 1
; NamedBarCnt: 0
; Occupancy: 16
; WaveLimiterHint : 0
; COMPUTE_PGM_RSRC2:SCRATCH_EN: 0
; COMPUTE_PGM_RSRC2:USER_SGPR: 2
; COMPUTE_PGM_RSRC2:TRAP_HANDLER: 0
; COMPUTE_PGM_RSRC2:TGID_X_EN: 1
; COMPUTE_PGM_RSRC2:TGID_Y_EN: 0
; COMPUTE_PGM_RSRC2:TGID_Z_EN: 0
; COMPUTE_PGM_RSRC2:TIDIG_COMP_CNT: 0
	.section	.text._ZN7rocprim17ROCPRIM_400000_NS6detail17trampoline_kernelINS0_13select_configILj256ELj13ELNS0_17block_load_methodE3ELS4_3ELS4_3ELNS0_20block_scan_algorithmE0ELj4294967295EEENS1_25partition_config_selectorILNS1_17partition_subalgoE3EjNS0_10empty_typeEbEEZZNS1_14partition_implILS8_3ELb0ES6_jNS0_17counting_iteratorIjlEEPS9_SE_NS0_5tupleIJPjSE_EEENSF_IJSE_SE_EEES9_SG_JZNS1_25segmented_radix_sort_implINS0_14default_configELb1EPKbPbPKlPlN2at6native12_GLOBAL__N_18offset_tEEE10hipError_tPvRmT1_PNSt15iterator_traitsISY_E10value_typeET2_T3_PNSZ_IS14_E10value_typeET4_jRbjT5_S1A_jjP12ihipStream_tbEUljE_EEESV_SW_SX_S14_S18_S1A_T6_T7_T9_mT8_S1C_bDpT10_ENKUlT_T0_E_clISt17integral_constantIbLb0EES1O_IbLb1EEEEDaS1K_S1L_EUlS1K_E_NS1_11comp_targetILNS1_3genE9ELNS1_11target_archE1100ELNS1_3gpuE3ELNS1_3repE0EEENS1_30default_config_static_selectorELNS0_4arch9wavefront6targetE0EEEvSY_,"axG",@progbits,_ZN7rocprim17ROCPRIM_400000_NS6detail17trampoline_kernelINS0_13select_configILj256ELj13ELNS0_17block_load_methodE3ELS4_3ELS4_3ELNS0_20block_scan_algorithmE0ELj4294967295EEENS1_25partition_config_selectorILNS1_17partition_subalgoE3EjNS0_10empty_typeEbEEZZNS1_14partition_implILS8_3ELb0ES6_jNS0_17counting_iteratorIjlEEPS9_SE_NS0_5tupleIJPjSE_EEENSF_IJSE_SE_EEES9_SG_JZNS1_25segmented_radix_sort_implINS0_14default_configELb1EPKbPbPKlPlN2at6native12_GLOBAL__N_18offset_tEEE10hipError_tPvRmT1_PNSt15iterator_traitsISY_E10value_typeET2_T3_PNSZ_IS14_E10value_typeET4_jRbjT5_S1A_jjP12ihipStream_tbEUljE_EEESV_SW_SX_S14_S18_S1A_T6_T7_T9_mT8_S1C_bDpT10_ENKUlT_T0_E_clISt17integral_constantIbLb0EES1O_IbLb1EEEEDaS1K_S1L_EUlS1K_E_NS1_11comp_targetILNS1_3genE9ELNS1_11target_archE1100ELNS1_3gpuE3ELNS1_3repE0EEENS1_30default_config_static_selectorELNS0_4arch9wavefront6targetE0EEEvSY_,comdat
	.globl	_ZN7rocprim17ROCPRIM_400000_NS6detail17trampoline_kernelINS0_13select_configILj256ELj13ELNS0_17block_load_methodE3ELS4_3ELS4_3ELNS0_20block_scan_algorithmE0ELj4294967295EEENS1_25partition_config_selectorILNS1_17partition_subalgoE3EjNS0_10empty_typeEbEEZZNS1_14partition_implILS8_3ELb0ES6_jNS0_17counting_iteratorIjlEEPS9_SE_NS0_5tupleIJPjSE_EEENSF_IJSE_SE_EEES9_SG_JZNS1_25segmented_radix_sort_implINS0_14default_configELb1EPKbPbPKlPlN2at6native12_GLOBAL__N_18offset_tEEE10hipError_tPvRmT1_PNSt15iterator_traitsISY_E10value_typeET2_T3_PNSZ_IS14_E10value_typeET4_jRbjT5_S1A_jjP12ihipStream_tbEUljE_EEESV_SW_SX_S14_S18_S1A_T6_T7_T9_mT8_S1C_bDpT10_ENKUlT_T0_E_clISt17integral_constantIbLb0EES1O_IbLb1EEEEDaS1K_S1L_EUlS1K_E_NS1_11comp_targetILNS1_3genE9ELNS1_11target_archE1100ELNS1_3gpuE3ELNS1_3repE0EEENS1_30default_config_static_selectorELNS0_4arch9wavefront6targetE0EEEvSY_ ; -- Begin function _ZN7rocprim17ROCPRIM_400000_NS6detail17trampoline_kernelINS0_13select_configILj256ELj13ELNS0_17block_load_methodE3ELS4_3ELS4_3ELNS0_20block_scan_algorithmE0ELj4294967295EEENS1_25partition_config_selectorILNS1_17partition_subalgoE3EjNS0_10empty_typeEbEEZZNS1_14partition_implILS8_3ELb0ES6_jNS0_17counting_iteratorIjlEEPS9_SE_NS0_5tupleIJPjSE_EEENSF_IJSE_SE_EEES9_SG_JZNS1_25segmented_radix_sort_implINS0_14default_configELb1EPKbPbPKlPlN2at6native12_GLOBAL__N_18offset_tEEE10hipError_tPvRmT1_PNSt15iterator_traitsISY_E10value_typeET2_T3_PNSZ_IS14_E10value_typeET4_jRbjT5_S1A_jjP12ihipStream_tbEUljE_EEESV_SW_SX_S14_S18_S1A_T6_T7_T9_mT8_S1C_bDpT10_ENKUlT_T0_E_clISt17integral_constantIbLb0EES1O_IbLb1EEEEDaS1K_S1L_EUlS1K_E_NS1_11comp_targetILNS1_3genE9ELNS1_11target_archE1100ELNS1_3gpuE3ELNS1_3repE0EEENS1_30default_config_static_selectorELNS0_4arch9wavefront6targetE0EEEvSY_
	.p2align	8
	.type	_ZN7rocprim17ROCPRIM_400000_NS6detail17trampoline_kernelINS0_13select_configILj256ELj13ELNS0_17block_load_methodE3ELS4_3ELS4_3ELNS0_20block_scan_algorithmE0ELj4294967295EEENS1_25partition_config_selectorILNS1_17partition_subalgoE3EjNS0_10empty_typeEbEEZZNS1_14partition_implILS8_3ELb0ES6_jNS0_17counting_iteratorIjlEEPS9_SE_NS0_5tupleIJPjSE_EEENSF_IJSE_SE_EEES9_SG_JZNS1_25segmented_radix_sort_implINS0_14default_configELb1EPKbPbPKlPlN2at6native12_GLOBAL__N_18offset_tEEE10hipError_tPvRmT1_PNSt15iterator_traitsISY_E10value_typeET2_T3_PNSZ_IS14_E10value_typeET4_jRbjT5_S1A_jjP12ihipStream_tbEUljE_EEESV_SW_SX_S14_S18_S1A_T6_T7_T9_mT8_S1C_bDpT10_ENKUlT_T0_E_clISt17integral_constantIbLb0EES1O_IbLb1EEEEDaS1K_S1L_EUlS1K_E_NS1_11comp_targetILNS1_3genE9ELNS1_11target_archE1100ELNS1_3gpuE3ELNS1_3repE0EEENS1_30default_config_static_selectorELNS0_4arch9wavefront6targetE0EEEvSY_,@function
_ZN7rocprim17ROCPRIM_400000_NS6detail17trampoline_kernelINS0_13select_configILj256ELj13ELNS0_17block_load_methodE3ELS4_3ELS4_3ELNS0_20block_scan_algorithmE0ELj4294967295EEENS1_25partition_config_selectorILNS1_17partition_subalgoE3EjNS0_10empty_typeEbEEZZNS1_14partition_implILS8_3ELb0ES6_jNS0_17counting_iteratorIjlEEPS9_SE_NS0_5tupleIJPjSE_EEENSF_IJSE_SE_EEES9_SG_JZNS1_25segmented_radix_sort_implINS0_14default_configELb1EPKbPbPKlPlN2at6native12_GLOBAL__N_18offset_tEEE10hipError_tPvRmT1_PNSt15iterator_traitsISY_E10value_typeET2_T3_PNSZ_IS14_E10value_typeET4_jRbjT5_S1A_jjP12ihipStream_tbEUljE_EEESV_SW_SX_S14_S18_S1A_T6_T7_T9_mT8_S1C_bDpT10_ENKUlT_T0_E_clISt17integral_constantIbLb0EES1O_IbLb1EEEEDaS1K_S1L_EUlS1K_E_NS1_11comp_targetILNS1_3genE9ELNS1_11target_archE1100ELNS1_3gpuE3ELNS1_3repE0EEENS1_30default_config_static_selectorELNS0_4arch9wavefront6targetE0EEEvSY_: ; @_ZN7rocprim17ROCPRIM_400000_NS6detail17trampoline_kernelINS0_13select_configILj256ELj13ELNS0_17block_load_methodE3ELS4_3ELS4_3ELNS0_20block_scan_algorithmE0ELj4294967295EEENS1_25partition_config_selectorILNS1_17partition_subalgoE3EjNS0_10empty_typeEbEEZZNS1_14partition_implILS8_3ELb0ES6_jNS0_17counting_iteratorIjlEEPS9_SE_NS0_5tupleIJPjSE_EEENSF_IJSE_SE_EEES9_SG_JZNS1_25segmented_radix_sort_implINS0_14default_configELb1EPKbPbPKlPlN2at6native12_GLOBAL__N_18offset_tEEE10hipError_tPvRmT1_PNSt15iterator_traitsISY_E10value_typeET2_T3_PNSZ_IS14_E10value_typeET4_jRbjT5_S1A_jjP12ihipStream_tbEUljE_EEESV_SW_SX_S14_S18_S1A_T6_T7_T9_mT8_S1C_bDpT10_ENKUlT_T0_E_clISt17integral_constantIbLb0EES1O_IbLb1EEEEDaS1K_S1L_EUlS1K_E_NS1_11comp_targetILNS1_3genE9ELNS1_11target_archE1100ELNS1_3gpuE3ELNS1_3repE0EEENS1_30default_config_static_selectorELNS0_4arch9wavefront6targetE0EEEvSY_
; %bb.0:
	.section	.rodata,"a",@progbits
	.p2align	6, 0x0
	.amdhsa_kernel _ZN7rocprim17ROCPRIM_400000_NS6detail17trampoline_kernelINS0_13select_configILj256ELj13ELNS0_17block_load_methodE3ELS4_3ELS4_3ELNS0_20block_scan_algorithmE0ELj4294967295EEENS1_25partition_config_selectorILNS1_17partition_subalgoE3EjNS0_10empty_typeEbEEZZNS1_14partition_implILS8_3ELb0ES6_jNS0_17counting_iteratorIjlEEPS9_SE_NS0_5tupleIJPjSE_EEENSF_IJSE_SE_EEES9_SG_JZNS1_25segmented_radix_sort_implINS0_14default_configELb1EPKbPbPKlPlN2at6native12_GLOBAL__N_18offset_tEEE10hipError_tPvRmT1_PNSt15iterator_traitsISY_E10value_typeET2_T3_PNSZ_IS14_E10value_typeET4_jRbjT5_S1A_jjP12ihipStream_tbEUljE_EEESV_SW_SX_S14_S18_S1A_T6_T7_T9_mT8_S1C_bDpT10_ENKUlT_T0_E_clISt17integral_constantIbLb0EES1O_IbLb1EEEEDaS1K_S1L_EUlS1K_E_NS1_11comp_targetILNS1_3genE9ELNS1_11target_archE1100ELNS1_3gpuE3ELNS1_3repE0EEENS1_30default_config_static_selectorELNS0_4arch9wavefront6targetE0EEEvSY_
		.amdhsa_group_segment_fixed_size 0
		.amdhsa_private_segment_fixed_size 0
		.amdhsa_kernarg_size 152
		.amdhsa_user_sgpr_count 2
		.amdhsa_user_sgpr_dispatch_ptr 0
		.amdhsa_user_sgpr_queue_ptr 0
		.amdhsa_user_sgpr_kernarg_segment_ptr 1
		.amdhsa_user_sgpr_dispatch_id 0
		.amdhsa_user_sgpr_kernarg_preload_length 0
		.amdhsa_user_sgpr_kernarg_preload_offset 0
		.amdhsa_user_sgpr_private_segment_size 0
		.amdhsa_wavefront_size32 1
		.amdhsa_uses_dynamic_stack 0
		.amdhsa_enable_private_segment 0
		.amdhsa_system_sgpr_workgroup_id_x 1
		.amdhsa_system_sgpr_workgroup_id_y 0
		.amdhsa_system_sgpr_workgroup_id_z 0
		.amdhsa_system_sgpr_workgroup_info 0
		.amdhsa_system_vgpr_workitem_id 0
		.amdhsa_next_free_vgpr 1
		.amdhsa_next_free_sgpr 1
		.amdhsa_named_barrier_count 0
		.amdhsa_reserve_vcc 0
		.amdhsa_float_round_mode_32 0
		.amdhsa_float_round_mode_16_64 0
		.amdhsa_float_denorm_mode_32 3
		.amdhsa_float_denorm_mode_16_64 3
		.amdhsa_fp16_overflow 0
		.amdhsa_memory_ordered 1
		.amdhsa_forward_progress 1
		.amdhsa_inst_pref_size 0
		.amdhsa_round_robin_scheduling 0
		.amdhsa_exception_fp_ieee_invalid_op 0
		.amdhsa_exception_fp_denorm_src 0
		.amdhsa_exception_fp_ieee_div_zero 0
		.amdhsa_exception_fp_ieee_overflow 0
		.amdhsa_exception_fp_ieee_underflow 0
		.amdhsa_exception_fp_ieee_inexact 0
		.amdhsa_exception_int_div_zero 0
	.end_amdhsa_kernel
	.section	.text._ZN7rocprim17ROCPRIM_400000_NS6detail17trampoline_kernelINS0_13select_configILj256ELj13ELNS0_17block_load_methodE3ELS4_3ELS4_3ELNS0_20block_scan_algorithmE0ELj4294967295EEENS1_25partition_config_selectorILNS1_17partition_subalgoE3EjNS0_10empty_typeEbEEZZNS1_14partition_implILS8_3ELb0ES6_jNS0_17counting_iteratorIjlEEPS9_SE_NS0_5tupleIJPjSE_EEENSF_IJSE_SE_EEES9_SG_JZNS1_25segmented_radix_sort_implINS0_14default_configELb1EPKbPbPKlPlN2at6native12_GLOBAL__N_18offset_tEEE10hipError_tPvRmT1_PNSt15iterator_traitsISY_E10value_typeET2_T3_PNSZ_IS14_E10value_typeET4_jRbjT5_S1A_jjP12ihipStream_tbEUljE_EEESV_SW_SX_S14_S18_S1A_T6_T7_T9_mT8_S1C_bDpT10_ENKUlT_T0_E_clISt17integral_constantIbLb0EES1O_IbLb1EEEEDaS1K_S1L_EUlS1K_E_NS1_11comp_targetILNS1_3genE9ELNS1_11target_archE1100ELNS1_3gpuE3ELNS1_3repE0EEENS1_30default_config_static_selectorELNS0_4arch9wavefront6targetE0EEEvSY_,"axG",@progbits,_ZN7rocprim17ROCPRIM_400000_NS6detail17trampoline_kernelINS0_13select_configILj256ELj13ELNS0_17block_load_methodE3ELS4_3ELS4_3ELNS0_20block_scan_algorithmE0ELj4294967295EEENS1_25partition_config_selectorILNS1_17partition_subalgoE3EjNS0_10empty_typeEbEEZZNS1_14partition_implILS8_3ELb0ES6_jNS0_17counting_iteratorIjlEEPS9_SE_NS0_5tupleIJPjSE_EEENSF_IJSE_SE_EEES9_SG_JZNS1_25segmented_radix_sort_implINS0_14default_configELb1EPKbPbPKlPlN2at6native12_GLOBAL__N_18offset_tEEE10hipError_tPvRmT1_PNSt15iterator_traitsISY_E10value_typeET2_T3_PNSZ_IS14_E10value_typeET4_jRbjT5_S1A_jjP12ihipStream_tbEUljE_EEESV_SW_SX_S14_S18_S1A_T6_T7_T9_mT8_S1C_bDpT10_ENKUlT_T0_E_clISt17integral_constantIbLb0EES1O_IbLb1EEEEDaS1K_S1L_EUlS1K_E_NS1_11comp_targetILNS1_3genE9ELNS1_11target_archE1100ELNS1_3gpuE3ELNS1_3repE0EEENS1_30default_config_static_selectorELNS0_4arch9wavefront6targetE0EEEvSY_,comdat
.Lfunc_end1522:
	.size	_ZN7rocprim17ROCPRIM_400000_NS6detail17trampoline_kernelINS0_13select_configILj256ELj13ELNS0_17block_load_methodE3ELS4_3ELS4_3ELNS0_20block_scan_algorithmE0ELj4294967295EEENS1_25partition_config_selectorILNS1_17partition_subalgoE3EjNS0_10empty_typeEbEEZZNS1_14partition_implILS8_3ELb0ES6_jNS0_17counting_iteratorIjlEEPS9_SE_NS0_5tupleIJPjSE_EEENSF_IJSE_SE_EEES9_SG_JZNS1_25segmented_radix_sort_implINS0_14default_configELb1EPKbPbPKlPlN2at6native12_GLOBAL__N_18offset_tEEE10hipError_tPvRmT1_PNSt15iterator_traitsISY_E10value_typeET2_T3_PNSZ_IS14_E10value_typeET4_jRbjT5_S1A_jjP12ihipStream_tbEUljE_EEESV_SW_SX_S14_S18_S1A_T6_T7_T9_mT8_S1C_bDpT10_ENKUlT_T0_E_clISt17integral_constantIbLb0EES1O_IbLb1EEEEDaS1K_S1L_EUlS1K_E_NS1_11comp_targetILNS1_3genE9ELNS1_11target_archE1100ELNS1_3gpuE3ELNS1_3repE0EEENS1_30default_config_static_selectorELNS0_4arch9wavefront6targetE0EEEvSY_, .Lfunc_end1522-_ZN7rocprim17ROCPRIM_400000_NS6detail17trampoline_kernelINS0_13select_configILj256ELj13ELNS0_17block_load_methodE3ELS4_3ELS4_3ELNS0_20block_scan_algorithmE0ELj4294967295EEENS1_25partition_config_selectorILNS1_17partition_subalgoE3EjNS0_10empty_typeEbEEZZNS1_14partition_implILS8_3ELb0ES6_jNS0_17counting_iteratorIjlEEPS9_SE_NS0_5tupleIJPjSE_EEENSF_IJSE_SE_EEES9_SG_JZNS1_25segmented_radix_sort_implINS0_14default_configELb1EPKbPbPKlPlN2at6native12_GLOBAL__N_18offset_tEEE10hipError_tPvRmT1_PNSt15iterator_traitsISY_E10value_typeET2_T3_PNSZ_IS14_E10value_typeET4_jRbjT5_S1A_jjP12ihipStream_tbEUljE_EEESV_SW_SX_S14_S18_S1A_T6_T7_T9_mT8_S1C_bDpT10_ENKUlT_T0_E_clISt17integral_constantIbLb0EES1O_IbLb1EEEEDaS1K_S1L_EUlS1K_E_NS1_11comp_targetILNS1_3genE9ELNS1_11target_archE1100ELNS1_3gpuE3ELNS1_3repE0EEENS1_30default_config_static_selectorELNS0_4arch9wavefront6targetE0EEEvSY_
                                        ; -- End function
	.set _ZN7rocprim17ROCPRIM_400000_NS6detail17trampoline_kernelINS0_13select_configILj256ELj13ELNS0_17block_load_methodE3ELS4_3ELS4_3ELNS0_20block_scan_algorithmE0ELj4294967295EEENS1_25partition_config_selectorILNS1_17partition_subalgoE3EjNS0_10empty_typeEbEEZZNS1_14partition_implILS8_3ELb0ES6_jNS0_17counting_iteratorIjlEEPS9_SE_NS0_5tupleIJPjSE_EEENSF_IJSE_SE_EEES9_SG_JZNS1_25segmented_radix_sort_implINS0_14default_configELb1EPKbPbPKlPlN2at6native12_GLOBAL__N_18offset_tEEE10hipError_tPvRmT1_PNSt15iterator_traitsISY_E10value_typeET2_T3_PNSZ_IS14_E10value_typeET4_jRbjT5_S1A_jjP12ihipStream_tbEUljE_EEESV_SW_SX_S14_S18_S1A_T6_T7_T9_mT8_S1C_bDpT10_ENKUlT_T0_E_clISt17integral_constantIbLb0EES1O_IbLb1EEEEDaS1K_S1L_EUlS1K_E_NS1_11comp_targetILNS1_3genE9ELNS1_11target_archE1100ELNS1_3gpuE3ELNS1_3repE0EEENS1_30default_config_static_selectorELNS0_4arch9wavefront6targetE0EEEvSY_.num_vgpr, 0
	.set _ZN7rocprim17ROCPRIM_400000_NS6detail17trampoline_kernelINS0_13select_configILj256ELj13ELNS0_17block_load_methodE3ELS4_3ELS4_3ELNS0_20block_scan_algorithmE0ELj4294967295EEENS1_25partition_config_selectorILNS1_17partition_subalgoE3EjNS0_10empty_typeEbEEZZNS1_14partition_implILS8_3ELb0ES6_jNS0_17counting_iteratorIjlEEPS9_SE_NS0_5tupleIJPjSE_EEENSF_IJSE_SE_EEES9_SG_JZNS1_25segmented_radix_sort_implINS0_14default_configELb1EPKbPbPKlPlN2at6native12_GLOBAL__N_18offset_tEEE10hipError_tPvRmT1_PNSt15iterator_traitsISY_E10value_typeET2_T3_PNSZ_IS14_E10value_typeET4_jRbjT5_S1A_jjP12ihipStream_tbEUljE_EEESV_SW_SX_S14_S18_S1A_T6_T7_T9_mT8_S1C_bDpT10_ENKUlT_T0_E_clISt17integral_constantIbLb0EES1O_IbLb1EEEEDaS1K_S1L_EUlS1K_E_NS1_11comp_targetILNS1_3genE9ELNS1_11target_archE1100ELNS1_3gpuE3ELNS1_3repE0EEENS1_30default_config_static_selectorELNS0_4arch9wavefront6targetE0EEEvSY_.num_agpr, 0
	.set _ZN7rocprim17ROCPRIM_400000_NS6detail17trampoline_kernelINS0_13select_configILj256ELj13ELNS0_17block_load_methodE3ELS4_3ELS4_3ELNS0_20block_scan_algorithmE0ELj4294967295EEENS1_25partition_config_selectorILNS1_17partition_subalgoE3EjNS0_10empty_typeEbEEZZNS1_14partition_implILS8_3ELb0ES6_jNS0_17counting_iteratorIjlEEPS9_SE_NS0_5tupleIJPjSE_EEENSF_IJSE_SE_EEES9_SG_JZNS1_25segmented_radix_sort_implINS0_14default_configELb1EPKbPbPKlPlN2at6native12_GLOBAL__N_18offset_tEEE10hipError_tPvRmT1_PNSt15iterator_traitsISY_E10value_typeET2_T3_PNSZ_IS14_E10value_typeET4_jRbjT5_S1A_jjP12ihipStream_tbEUljE_EEESV_SW_SX_S14_S18_S1A_T6_T7_T9_mT8_S1C_bDpT10_ENKUlT_T0_E_clISt17integral_constantIbLb0EES1O_IbLb1EEEEDaS1K_S1L_EUlS1K_E_NS1_11comp_targetILNS1_3genE9ELNS1_11target_archE1100ELNS1_3gpuE3ELNS1_3repE0EEENS1_30default_config_static_selectorELNS0_4arch9wavefront6targetE0EEEvSY_.numbered_sgpr, 0
	.set _ZN7rocprim17ROCPRIM_400000_NS6detail17trampoline_kernelINS0_13select_configILj256ELj13ELNS0_17block_load_methodE3ELS4_3ELS4_3ELNS0_20block_scan_algorithmE0ELj4294967295EEENS1_25partition_config_selectorILNS1_17partition_subalgoE3EjNS0_10empty_typeEbEEZZNS1_14partition_implILS8_3ELb0ES6_jNS0_17counting_iteratorIjlEEPS9_SE_NS0_5tupleIJPjSE_EEENSF_IJSE_SE_EEES9_SG_JZNS1_25segmented_radix_sort_implINS0_14default_configELb1EPKbPbPKlPlN2at6native12_GLOBAL__N_18offset_tEEE10hipError_tPvRmT1_PNSt15iterator_traitsISY_E10value_typeET2_T3_PNSZ_IS14_E10value_typeET4_jRbjT5_S1A_jjP12ihipStream_tbEUljE_EEESV_SW_SX_S14_S18_S1A_T6_T7_T9_mT8_S1C_bDpT10_ENKUlT_T0_E_clISt17integral_constantIbLb0EES1O_IbLb1EEEEDaS1K_S1L_EUlS1K_E_NS1_11comp_targetILNS1_3genE9ELNS1_11target_archE1100ELNS1_3gpuE3ELNS1_3repE0EEENS1_30default_config_static_selectorELNS0_4arch9wavefront6targetE0EEEvSY_.num_named_barrier, 0
	.set _ZN7rocprim17ROCPRIM_400000_NS6detail17trampoline_kernelINS0_13select_configILj256ELj13ELNS0_17block_load_methodE3ELS4_3ELS4_3ELNS0_20block_scan_algorithmE0ELj4294967295EEENS1_25partition_config_selectorILNS1_17partition_subalgoE3EjNS0_10empty_typeEbEEZZNS1_14partition_implILS8_3ELb0ES6_jNS0_17counting_iteratorIjlEEPS9_SE_NS0_5tupleIJPjSE_EEENSF_IJSE_SE_EEES9_SG_JZNS1_25segmented_radix_sort_implINS0_14default_configELb1EPKbPbPKlPlN2at6native12_GLOBAL__N_18offset_tEEE10hipError_tPvRmT1_PNSt15iterator_traitsISY_E10value_typeET2_T3_PNSZ_IS14_E10value_typeET4_jRbjT5_S1A_jjP12ihipStream_tbEUljE_EEESV_SW_SX_S14_S18_S1A_T6_T7_T9_mT8_S1C_bDpT10_ENKUlT_T0_E_clISt17integral_constantIbLb0EES1O_IbLb1EEEEDaS1K_S1L_EUlS1K_E_NS1_11comp_targetILNS1_3genE9ELNS1_11target_archE1100ELNS1_3gpuE3ELNS1_3repE0EEENS1_30default_config_static_selectorELNS0_4arch9wavefront6targetE0EEEvSY_.private_seg_size, 0
	.set _ZN7rocprim17ROCPRIM_400000_NS6detail17trampoline_kernelINS0_13select_configILj256ELj13ELNS0_17block_load_methodE3ELS4_3ELS4_3ELNS0_20block_scan_algorithmE0ELj4294967295EEENS1_25partition_config_selectorILNS1_17partition_subalgoE3EjNS0_10empty_typeEbEEZZNS1_14partition_implILS8_3ELb0ES6_jNS0_17counting_iteratorIjlEEPS9_SE_NS0_5tupleIJPjSE_EEENSF_IJSE_SE_EEES9_SG_JZNS1_25segmented_radix_sort_implINS0_14default_configELb1EPKbPbPKlPlN2at6native12_GLOBAL__N_18offset_tEEE10hipError_tPvRmT1_PNSt15iterator_traitsISY_E10value_typeET2_T3_PNSZ_IS14_E10value_typeET4_jRbjT5_S1A_jjP12ihipStream_tbEUljE_EEESV_SW_SX_S14_S18_S1A_T6_T7_T9_mT8_S1C_bDpT10_ENKUlT_T0_E_clISt17integral_constantIbLb0EES1O_IbLb1EEEEDaS1K_S1L_EUlS1K_E_NS1_11comp_targetILNS1_3genE9ELNS1_11target_archE1100ELNS1_3gpuE3ELNS1_3repE0EEENS1_30default_config_static_selectorELNS0_4arch9wavefront6targetE0EEEvSY_.uses_vcc, 0
	.set _ZN7rocprim17ROCPRIM_400000_NS6detail17trampoline_kernelINS0_13select_configILj256ELj13ELNS0_17block_load_methodE3ELS4_3ELS4_3ELNS0_20block_scan_algorithmE0ELj4294967295EEENS1_25partition_config_selectorILNS1_17partition_subalgoE3EjNS0_10empty_typeEbEEZZNS1_14partition_implILS8_3ELb0ES6_jNS0_17counting_iteratorIjlEEPS9_SE_NS0_5tupleIJPjSE_EEENSF_IJSE_SE_EEES9_SG_JZNS1_25segmented_radix_sort_implINS0_14default_configELb1EPKbPbPKlPlN2at6native12_GLOBAL__N_18offset_tEEE10hipError_tPvRmT1_PNSt15iterator_traitsISY_E10value_typeET2_T3_PNSZ_IS14_E10value_typeET4_jRbjT5_S1A_jjP12ihipStream_tbEUljE_EEESV_SW_SX_S14_S18_S1A_T6_T7_T9_mT8_S1C_bDpT10_ENKUlT_T0_E_clISt17integral_constantIbLb0EES1O_IbLb1EEEEDaS1K_S1L_EUlS1K_E_NS1_11comp_targetILNS1_3genE9ELNS1_11target_archE1100ELNS1_3gpuE3ELNS1_3repE0EEENS1_30default_config_static_selectorELNS0_4arch9wavefront6targetE0EEEvSY_.uses_flat_scratch, 0
	.set _ZN7rocprim17ROCPRIM_400000_NS6detail17trampoline_kernelINS0_13select_configILj256ELj13ELNS0_17block_load_methodE3ELS4_3ELS4_3ELNS0_20block_scan_algorithmE0ELj4294967295EEENS1_25partition_config_selectorILNS1_17partition_subalgoE3EjNS0_10empty_typeEbEEZZNS1_14partition_implILS8_3ELb0ES6_jNS0_17counting_iteratorIjlEEPS9_SE_NS0_5tupleIJPjSE_EEENSF_IJSE_SE_EEES9_SG_JZNS1_25segmented_radix_sort_implINS0_14default_configELb1EPKbPbPKlPlN2at6native12_GLOBAL__N_18offset_tEEE10hipError_tPvRmT1_PNSt15iterator_traitsISY_E10value_typeET2_T3_PNSZ_IS14_E10value_typeET4_jRbjT5_S1A_jjP12ihipStream_tbEUljE_EEESV_SW_SX_S14_S18_S1A_T6_T7_T9_mT8_S1C_bDpT10_ENKUlT_T0_E_clISt17integral_constantIbLb0EES1O_IbLb1EEEEDaS1K_S1L_EUlS1K_E_NS1_11comp_targetILNS1_3genE9ELNS1_11target_archE1100ELNS1_3gpuE3ELNS1_3repE0EEENS1_30default_config_static_selectorELNS0_4arch9wavefront6targetE0EEEvSY_.has_dyn_sized_stack, 0
	.set _ZN7rocprim17ROCPRIM_400000_NS6detail17trampoline_kernelINS0_13select_configILj256ELj13ELNS0_17block_load_methodE3ELS4_3ELS4_3ELNS0_20block_scan_algorithmE0ELj4294967295EEENS1_25partition_config_selectorILNS1_17partition_subalgoE3EjNS0_10empty_typeEbEEZZNS1_14partition_implILS8_3ELb0ES6_jNS0_17counting_iteratorIjlEEPS9_SE_NS0_5tupleIJPjSE_EEENSF_IJSE_SE_EEES9_SG_JZNS1_25segmented_radix_sort_implINS0_14default_configELb1EPKbPbPKlPlN2at6native12_GLOBAL__N_18offset_tEEE10hipError_tPvRmT1_PNSt15iterator_traitsISY_E10value_typeET2_T3_PNSZ_IS14_E10value_typeET4_jRbjT5_S1A_jjP12ihipStream_tbEUljE_EEESV_SW_SX_S14_S18_S1A_T6_T7_T9_mT8_S1C_bDpT10_ENKUlT_T0_E_clISt17integral_constantIbLb0EES1O_IbLb1EEEEDaS1K_S1L_EUlS1K_E_NS1_11comp_targetILNS1_3genE9ELNS1_11target_archE1100ELNS1_3gpuE3ELNS1_3repE0EEENS1_30default_config_static_selectorELNS0_4arch9wavefront6targetE0EEEvSY_.has_recursion, 0
	.set _ZN7rocprim17ROCPRIM_400000_NS6detail17trampoline_kernelINS0_13select_configILj256ELj13ELNS0_17block_load_methodE3ELS4_3ELS4_3ELNS0_20block_scan_algorithmE0ELj4294967295EEENS1_25partition_config_selectorILNS1_17partition_subalgoE3EjNS0_10empty_typeEbEEZZNS1_14partition_implILS8_3ELb0ES6_jNS0_17counting_iteratorIjlEEPS9_SE_NS0_5tupleIJPjSE_EEENSF_IJSE_SE_EEES9_SG_JZNS1_25segmented_radix_sort_implINS0_14default_configELb1EPKbPbPKlPlN2at6native12_GLOBAL__N_18offset_tEEE10hipError_tPvRmT1_PNSt15iterator_traitsISY_E10value_typeET2_T3_PNSZ_IS14_E10value_typeET4_jRbjT5_S1A_jjP12ihipStream_tbEUljE_EEESV_SW_SX_S14_S18_S1A_T6_T7_T9_mT8_S1C_bDpT10_ENKUlT_T0_E_clISt17integral_constantIbLb0EES1O_IbLb1EEEEDaS1K_S1L_EUlS1K_E_NS1_11comp_targetILNS1_3genE9ELNS1_11target_archE1100ELNS1_3gpuE3ELNS1_3repE0EEENS1_30default_config_static_selectorELNS0_4arch9wavefront6targetE0EEEvSY_.has_indirect_call, 0
	.section	.AMDGPU.csdata,"",@progbits
; Kernel info:
; codeLenInByte = 0
; TotalNumSgprs: 0
; NumVgprs: 0
; ScratchSize: 0
; MemoryBound: 0
; FloatMode: 240
; IeeeMode: 1
; LDSByteSize: 0 bytes/workgroup (compile time only)
; SGPRBlocks: 0
; VGPRBlocks: 0
; NumSGPRsForWavesPerEU: 1
; NumVGPRsForWavesPerEU: 1
; NamedBarCnt: 0
; Occupancy: 16
; WaveLimiterHint : 0
; COMPUTE_PGM_RSRC2:SCRATCH_EN: 0
; COMPUTE_PGM_RSRC2:USER_SGPR: 2
; COMPUTE_PGM_RSRC2:TRAP_HANDLER: 0
; COMPUTE_PGM_RSRC2:TGID_X_EN: 1
; COMPUTE_PGM_RSRC2:TGID_Y_EN: 0
; COMPUTE_PGM_RSRC2:TGID_Z_EN: 0
; COMPUTE_PGM_RSRC2:TIDIG_COMP_CNT: 0
	.section	.text._ZN7rocprim17ROCPRIM_400000_NS6detail17trampoline_kernelINS0_13select_configILj256ELj13ELNS0_17block_load_methodE3ELS4_3ELS4_3ELNS0_20block_scan_algorithmE0ELj4294967295EEENS1_25partition_config_selectorILNS1_17partition_subalgoE3EjNS0_10empty_typeEbEEZZNS1_14partition_implILS8_3ELb0ES6_jNS0_17counting_iteratorIjlEEPS9_SE_NS0_5tupleIJPjSE_EEENSF_IJSE_SE_EEES9_SG_JZNS1_25segmented_radix_sort_implINS0_14default_configELb1EPKbPbPKlPlN2at6native12_GLOBAL__N_18offset_tEEE10hipError_tPvRmT1_PNSt15iterator_traitsISY_E10value_typeET2_T3_PNSZ_IS14_E10value_typeET4_jRbjT5_S1A_jjP12ihipStream_tbEUljE_EEESV_SW_SX_S14_S18_S1A_T6_T7_T9_mT8_S1C_bDpT10_ENKUlT_T0_E_clISt17integral_constantIbLb0EES1O_IbLb1EEEEDaS1K_S1L_EUlS1K_E_NS1_11comp_targetILNS1_3genE8ELNS1_11target_archE1030ELNS1_3gpuE2ELNS1_3repE0EEENS1_30default_config_static_selectorELNS0_4arch9wavefront6targetE0EEEvSY_,"axG",@progbits,_ZN7rocprim17ROCPRIM_400000_NS6detail17trampoline_kernelINS0_13select_configILj256ELj13ELNS0_17block_load_methodE3ELS4_3ELS4_3ELNS0_20block_scan_algorithmE0ELj4294967295EEENS1_25partition_config_selectorILNS1_17partition_subalgoE3EjNS0_10empty_typeEbEEZZNS1_14partition_implILS8_3ELb0ES6_jNS0_17counting_iteratorIjlEEPS9_SE_NS0_5tupleIJPjSE_EEENSF_IJSE_SE_EEES9_SG_JZNS1_25segmented_radix_sort_implINS0_14default_configELb1EPKbPbPKlPlN2at6native12_GLOBAL__N_18offset_tEEE10hipError_tPvRmT1_PNSt15iterator_traitsISY_E10value_typeET2_T3_PNSZ_IS14_E10value_typeET4_jRbjT5_S1A_jjP12ihipStream_tbEUljE_EEESV_SW_SX_S14_S18_S1A_T6_T7_T9_mT8_S1C_bDpT10_ENKUlT_T0_E_clISt17integral_constantIbLb0EES1O_IbLb1EEEEDaS1K_S1L_EUlS1K_E_NS1_11comp_targetILNS1_3genE8ELNS1_11target_archE1030ELNS1_3gpuE2ELNS1_3repE0EEENS1_30default_config_static_selectorELNS0_4arch9wavefront6targetE0EEEvSY_,comdat
	.globl	_ZN7rocprim17ROCPRIM_400000_NS6detail17trampoline_kernelINS0_13select_configILj256ELj13ELNS0_17block_load_methodE3ELS4_3ELS4_3ELNS0_20block_scan_algorithmE0ELj4294967295EEENS1_25partition_config_selectorILNS1_17partition_subalgoE3EjNS0_10empty_typeEbEEZZNS1_14partition_implILS8_3ELb0ES6_jNS0_17counting_iteratorIjlEEPS9_SE_NS0_5tupleIJPjSE_EEENSF_IJSE_SE_EEES9_SG_JZNS1_25segmented_radix_sort_implINS0_14default_configELb1EPKbPbPKlPlN2at6native12_GLOBAL__N_18offset_tEEE10hipError_tPvRmT1_PNSt15iterator_traitsISY_E10value_typeET2_T3_PNSZ_IS14_E10value_typeET4_jRbjT5_S1A_jjP12ihipStream_tbEUljE_EEESV_SW_SX_S14_S18_S1A_T6_T7_T9_mT8_S1C_bDpT10_ENKUlT_T0_E_clISt17integral_constantIbLb0EES1O_IbLb1EEEEDaS1K_S1L_EUlS1K_E_NS1_11comp_targetILNS1_3genE8ELNS1_11target_archE1030ELNS1_3gpuE2ELNS1_3repE0EEENS1_30default_config_static_selectorELNS0_4arch9wavefront6targetE0EEEvSY_ ; -- Begin function _ZN7rocprim17ROCPRIM_400000_NS6detail17trampoline_kernelINS0_13select_configILj256ELj13ELNS0_17block_load_methodE3ELS4_3ELS4_3ELNS0_20block_scan_algorithmE0ELj4294967295EEENS1_25partition_config_selectorILNS1_17partition_subalgoE3EjNS0_10empty_typeEbEEZZNS1_14partition_implILS8_3ELb0ES6_jNS0_17counting_iteratorIjlEEPS9_SE_NS0_5tupleIJPjSE_EEENSF_IJSE_SE_EEES9_SG_JZNS1_25segmented_radix_sort_implINS0_14default_configELb1EPKbPbPKlPlN2at6native12_GLOBAL__N_18offset_tEEE10hipError_tPvRmT1_PNSt15iterator_traitsISY_E10value_typeET2_T3_PNSZ_IS14_E10value_typeET4_jRbjT5_S1A_jjP12ihipStream_tbEUljE_EEESV_SW_SX_S14_S18_S1A_T6_T7_T9_mT8_S1C_bDpT10_ENKUlT_T0_E_clISt17integral_constantIbLb0EES1O_IbLb1EEEEDaS1K_S1L_EUlS1K_E_NS1_11comp_targetILNS1_3genE8ELNS1_11target_archE1030ELNS1_3gpuE2ELNS1_3repE0EEENS1_30default_config_static_selectorELNS0_4arch9wavefront6targetE0EEEvSY_
	.p2align	8
	.type	_ZN7rocprim17ROCPRIM_400000_NS6detail17trampoline_kernelINS0_13select_configILj256ELj13ELNS0_17block_load_methodE3ELS4_3ELS4_3ELNS0_20block_scan_algorithmE0ELj4294967295EEENS1_25partition_config_selectorILNS1_17partition_subalgoE3EjNS0_10empty_typeEbEEZZNS1_14partition_implILS8_3ELb0ES6_jNS0_17counting_iteratorIjlEEPS9_SE_NS0_5tupleIJPjSE_EEENSF_IJSE_SE_EEES9_SG_JZNS1_25segmented_radix_sort_implINS0_14default_configELb1EPKbPbPKlPlN2at6native12_GLOBAL__N_18offset_tEEE10hipError_tPvRmT1_PNSt15iterator_traitsISY_E10value_typeET2_T3_PNSZ_IS14_E10value_typeET4_jRbjT5_S1A_jjP12ihipStream_tbEUljE_EEESV_SW_SX_S14_S18_S1A_T6_T7_T9_mT8_S1C_bDpT10_ENKUlT_T0_E_clISt17integral_constantIbLb0EES1O_IbLb1EEEEDaS1K_S1L_EUlS1K_E_NS1_11comp_targetILNS1_3genE8ELNS1_11target_archE1030ELNS1_3gpuE2ELNS1_3repE0EEENS1_30default_config_static_selectorELNS0_4arch9wavefront6targetE0EEEvSY_,@function
_ZN7rocprim17ROCPRIM_400000_NS6detail17trampoline_kernelINS0_13select_configILj256ELj13ELNS0_17block_load_methodE3ELS4_3ELS4_3ELNS0_20block_scan_algorithmE0ELj4294967295EEENS1_25partition_config_selectorILNS1_17partition_subalgoE3EjNS0_10empty_typeEbEEZZNS1_14partition_implILS8_3ELb0ES6_jNS0_17counting_iteratorIjlEEPS9_SE_NS0_5tupleIJPjSE_EEENSF_IJSE_SE_EEES9_SG_JZNS1_25segmented_radix_sort_implINS0_14default_configELb1EPKbPbPKlPlN2at6native12_GLOBAL__N_18offset_tEEE10hipError_tPvRmT1_PNSt15iterator_traitsISY_E10value_typeET2_T3_PNSZ_IS14_E10value_typeET4_jRbjT5_S1A_jjP12ihipStream_tbEUljE_EEESV_SW_SX_S14_S18_S1A_T6_T7_T9_mT8_S1C_bDpT10_ENKUlT_T0_E_clISt17integral_constantIbLb0EES1O_IbLb1EEEEDaS1K_S1L_EUlS1K_E_NS1_11comp_targetILNS1_3genE8ELNS1_11target_archE1030ELNS1_3gpuE2ELNS1_3repE0EEENS1_30default_config_static_selectorELNS0_4arch9wavefront6targetE0EEEvSY_: ; @_ZN7rocprim17ROCPRIM_400000_NS6detail17trampoline_kernelINS0_13select_configILj256ELj13ELNS0_17block_load_methodE3ELS4_3ELS4_3ELNS0_20block_scan_algorithmE0ELj4294967295EEENS1_25partition_config_selectorILNS1_17partition_subalgoE3EjNS0_10empty_typeEbEEZZNS1_14partition_implILS8_3ELb0ES6_jNS0_17counting_iteratorIjlEEPS9_SE_NS0_5tupleIJPjSE_EEENSF_IJSE_SE_EEES9_SG_JZNS1_25segmented_radix_sort_implINS0_14default_configELb1EPKbPbPKlPlN2at6native12_GLOBAL__N_18offset_tEEE10hipError_tPvRmT1_PNSt15iterator_traitsISY_E10value_typeET2_T3_PNSZ_IS14_E10value_typeET4_jRbjT5_S1A_jjP12ihipStream_tbEUljE_EEESV_SW_SX_S14_S18_S1A_T6_T7_T9_mT8_S1C_bDpT10_ENKUlT_T0_E_clISt17integral_constantIbLb0EES1O_IbLb1EEEEDaS1K_S1L_EUlS1K_E_NS1_11comp_targetILNS1_3genE8ELNS1_11target_archE1030ELNS1_3gpuE2ELNS1_3repE0EEENS1_30default_config_static_selectorELNS0_4arch9wavefront6targetE0EEEvSY_
; %bb.0:
	.section	.rodata,"a",@progbits
	.p2align	6, 0x0
	.amdhsa_kernel _ZN7rocprim17ROCPRIM_400000_NS6detail17trampoline_kernelINS0_13select_configILj256ELj13ELNS0_17block_load_methodE3ELS4_3ELS4_3ELNS0_20block_scan_algorithmE0ELj4294967295EEENS1_25partition_config_selectorILNS1_17partition_subalgoE3EjNS0_10empty_typeEbEEZZNS1_14partition_implILS8_3ELb0ES6_jNS0_17counting_iteratorIjlEEPS9_SE_NS0_5tupleIJPjSE_EEENSF_IJSE_SE_EEES9_SG_JZNS1_25segmented_radix_sort_implINS0_14default_configELb1EPKbPbPKlPlN2at6native12_GLOBAL__N_18offset_tEEE10hipError_tPvRmT1_PNSt15iterator_traitsISY_E10value_typeET2_T3_PNSZ_IS14_E10value_typeET4_jRbjT5_S1A_jjP12ihipStream_tbEUljE_EEESV_SW_SX_S14_S18_S1A_T6_T7_T9_mT8_S1C_bDpT10_ENKUlT_T0_E_clISt17integral_constantIbLb0EES1O_IbLb1EEEEDaS1K_S1L_EUlS1K_E_NS1_11comp_targetILNS1_3genE8ELNS1_11target_archE1030ELNS1_3gpuE2ELNS1_3repE0EEENS1_30default_config_static_selectorELNS0_4arch9wavefront6targetE0EEEvSY_
		.amdhsa_group_segment_fixed_size 0
		.amdhsa_private_segment_fixed_size 0
		.amdhsa_kernarg_size 152
		.amdhsa_user_sgpr_count 2
		.amdhsa_user_sgpr_dispatch_ptr 0
		.amdhsa_user_sgpr_queue_ptr 0
		.amdhsa_user_sgpr_kernarg_segment_ptr 1
		.amdhsa_user_sgpr_dispatch_id 0
		.amdhsa_user_sgpr_kernarg_preload_length 0
		.amdhsa_user_sgpr_kernarg_preload_offset 0
		.amdhsa_user_sgpr_private_segment_size 0
		.amdhsa_wavefront_size32 1
		.amdhsa_uses_dynamic_stack 0
		.amdhsa_enable_private_segment 0
		.amdhsa_system_sgpr_workgroup_id_x 1
		.amdhsa_system_sgpr_workgroup_id_y 0
		.amdhsa_system_sgpr_workgroup_id_z 0
		.amdhsa_system_sgpr_workgroup_info 0
		.amdhsa_system_vgpr_workitem_id 0
		.amdhsa_next_free_vgpr 1
		.amdhsa_next_free_sgpr 1
		.amdhsa_named_barrier_count 0
		.amdhsa_reserve_vcc 0
		.amdhsa_float_round_mode_32 0
		.amdhsa_float_round_mode_16_64 0
		.amdhsa_float_denorm_mode_32 3
		.amdhsa_float_denorm_mode_16_64 3
		.amdhsa_fp16_overflow 0
		.amdhsa_memory_ordered 1
		.amdhsa_forward_progress 1
		.amdhsa_inst_pref_size 0
		.amdhsa_round_robin_scheduling 0
		.amdhsa_exception_fp_ieee_invalid_op 0
		.amdhsa_exception_fp_denorm_src 0
		.amdhsa_exception_fp_ieee_div_zero 0
		.amdhsa_exception_fp_ieee_overflow 0
		.amdhsa_exception_fp_ieee_underflow 0
		.amdhsa_exception_fp_ieee_inexact 0
		.amdhsa_exception_int_div_zero 0
	.end_amdhsa_kernel
	.section	.text._ZN7rocprim17ROCPRIM_400000_NS6detail17trampoline_kernelINS0_13select_configILj256ELj13ELNS0_17block_load_methodE3ELS4_3ELS4_3ELNS0_20block_scan_algorithmE0ELj4294967295EEENS1_25partition_config_selectorILNS1_17partition_subalgoE3EjNS0_10empty_typeEbEEZZNS1_14partition_implILS8_3ELb0ES6_jNS0_17counting_iteratorIjlEEPS9_SE_NS0_5tupleIJPjSE_EEENSF_IJSE_SE_EEES9_SG_JZNS1_25segmented_radix_sort_implINS0_14default_configELb1EPKbPbPKlPlN2at6native12_GLOBAL__N_18offset_tEEE10hipError_tPvRmT1_PNSt15iterator_traitsISY_E10value_typeET2_T3_PNSZ_IS14_E10value_typeET4_jRbjT5_S1A_jjP12ihipStream_tbEUljE_EEESV_SW_SX_S14_S18_S1A_T6_T7_T9_mT8_S1C_bDpT10_ENKUlT_T0_E_clISt17integral_constantIbLb0EES1O_IbLb1EEEEDaS1K_S1L_EUlS1K_E_NS1_11comp_targetILNS1_3genE8ELNS1_11target_archE1030ELNS1_3gpuE2ELNS1_3repE0EEENS1_30default_config_static_selectorELNS0_4arch9wavefront6targetE0EEEvSY_,"axG",@progbits,_ZN7rocprim17ROCPRIM_400000_NS6detail17trampoline_kernelINS0_13select_configILj256ELj13ELNS0_17block_load_methodE3ELS4_3ELS4_3ELNS0_20block_scan_algorithmE0ELj4294967295EEENS1_25partition_config_selectorILNS1_17partition_subalgoE3EjNS0_10empty_typeEbEEZZNS1_14partition_implILS8_3ELb0ES6_jNS0_17counting_iteratorIjlEEPS9_SE_NS0_5tupleIJPjSE_EEENSF_IJSE_SE_EEES9_SG_JZNS1_25segmented_radix_sort_implINS0_14default_configELb1EPKbPbPKlPlN2at6native12_GLOBAL__N_18offset_tEEE10hipError_tPvRmT1_PNSt15iterator_traitsISY_E10value_typeET2_T3_PNSZ_IS14_E10value_typeET4_jRbjT5_S1A_jjP12ihipStream_tbEUljE_EEESV_SW_SX_S14_S18_S1A_T6_T7_T9_mT8_S1C_bDpT10_ENKUlT_T0_E_clISt17integral_constantIbLb0EES1O_IbLb1EEEEDaS1K_S1L_EUlS1K_E_NS1_11comp_targetILNS1_3genE8ELNS1_11target_archE1030ELNS1_3gpuE2ELNS1_3repE0EEENS1_30default_config_static_selectorELNS0_4arch9wavefront6targetE0EEEvSY_,comdat
.Lfunc_end1523:
	.size	_ZN7rocprim17ROCPRIM_400000_NS6detail17trampoline_kernelINS0_13select_configILj256ELj13ELNS0_17block_load_methodE3ELS4_3ELS4_3ELNS0_20block_scan_algorithmE0ELj4294967295EEENS1_25partition_config_selectorILNS1_17partition_subalgoE3EjNS0_10empty_typeEbEEZZNS1_14partition_implILS8_3ELb0ES6_jNS0_17counting_iteratorIjlEEPS9_SE_NS0_5tupleIJPjSE_EEENSF_IJSE_SE_EEES9_SG_JZNS1_25segmented_radix_sort_implINS0_14default_configELb1EPKbPbPKlPlN2at6native12_GLOBAL__N_18offset_tEEE10hipError_tPvRmT1_PNSt15iterator_traitsISY_E10value_typeET2_T3_PNSZ_IS14_E10value_typeET4_jRbjT5_S1A_jjP12ihipStream_tbEUljE_EEESV_SW_SX_S14_S18_S1A_T6_T7_T9_mT8_S1C_bDpT10_ENKUlT_T0_E_clISt17integral_constantIbLb0EES1O_IbLb1EEEEDaS1K_S1L_EUlS1K_E_NS1_11comp_targetILNS1_3genE8ELNS1_11target_archE1030ELNS1_3gpuE2ELNS1_3repE0EEENS1_30default_config_static_selectorELNS0_4arch9wavefront6targetE0EEEvSY_, .Lfunc_end1523-_ZN7rocprim17ROCPRIM_400000_NS6detail17trampoline_kernelINS0_13select_configILj256ELj13ELNS0_17block_load_methodE3ELS4_3ELS4_3ELNS0_20block_scan_algorithmE0ELj4294967295EEENS1_25partition_config_selectorILNS1_17partition_subalgoE3EjNS0_10empty_typeEbEEZZNS1_14partition_implILS8_3ELb0ES6_jNS0_17counting_iteratorIjlEEPS9_SE_NS0_5tupleIJPjSE_EEENSF_IJSE_SE_EEES9_SG_JZNS1_25segmented_radix_sort_implINS0_14default_configELb1EPKbPbPKlPlN2at6native12_GLOBAL__N_18offset_tEEE10hipError_tPvRmT1_PNSt15iterator_traitsISY_E10value_typeET2_T3_PNSZ_IS14_E10value_typeET4_jRbjT5_S1A_jjP12ihipStream_tbEUljE_EEESV_SW_SX_S14_S18_S1A_T6_T7_T9_mT8_S1C_bDpT10_ENKUlT_T0_E_clISt17integral_constantIbLb0EES1O_IbLb1EEEEDaS1K_S1L_EUlS1K_E_NS1_11comp_targetILNS1_3genE8ELNS1_11target_archE1030ELNS1_3gpuE2ELNS1_3repE0EEENS1_30default_config_static_selectorELNS0_4arch9wavefront6targetE0EEEvSY_
                                        ; -- End function
	.set _ZN7rocprim17ROCPRIM_400000_NS6detail17trampoline_kernelINS0_13select_configILj256ELj13ELNS0_17block_load_methodE3ELS4_3ELS4_3ELNS0_20block_scan_algorithmE0ELj4294967295EEENS1_25partition_config_selectorILNS1_17partition_subalgoE3EjNS0_10empty_typeEbEEZZNS1_14partition_implILS8_3ELb0ES6_jNS0_17counting_iteratorIjlEEPS9_SE_NS0_5tupleIJPjSE_EEENSF_IJSE_SE_EEES9_SG_JZNS1_25segmented_radix_sort_implINS0_14default_configELb1EPKbPbPKlPlN2at6native12_GLOBAL__N_18offset_tEEE10hipError_tPvRmT1_PNSt15iterator_traitsISY_E10value_typeET2_T3_PNSZ_IS14_E10value_typeET4_jRbjT5_S1A_jjP12ihipStream_tbEUljE_EEESV_SW_SX_S14_S18_S1A_T6_T7_T9_mT8_S1C_bDpT10_ENKUlT_T0_E_clISt17integral_constantIbLb0EES1O_IbLb1EEEEDaS1K_S1L_EUlS1K_E_NS1_11comp_targetILNS1_3genE8ELNS1_11target_archE1030ELNS1_3gpuE2ELNS1_3repE0EEENS1_30default_config_static_selectorELNS0_4arch9wavefront6targetE0EEEvSY_.num_vgpr, 0
	.set _ZN7rocprim17ROCPRIM_400000_NS6detail17trampoline_kernelINS0_13select_configILj256ELj13ELNS0_17block_load_methodE3ELS4_3ELS4_3ELNS0_20block_scan_algorithmE0ELj4294967295EEENS1_25partition_config_selectorILNS1_17partition_subalgoE3EjNS0_10empty_typeEbEEZZNS1_14partition_implILS8_3ELb0ES6_jNS0_17counting_iteratorIjlEEPS9_SE_NS0_5tupleIJPjSE_EEENSF_IJSE_SE_EEES9_SG_JZNS1_25segmented_radix_sort_implINS0_14default_configELb1EPKbPbPKlPlN2at6native12_GLOBAL__N_18offset_tEEE10hipError_tPvRmT1_PNSt15iterator_traitsISY_E10value_typeET2_T3_PNSZ_IS14_E10value_typeET4_jRbjT5_S1A_jjP12ihipStream_tbEUljE_EEESV_SW_SX_S14_S18_S1A_T6_T7_T9_mT8_S1C_bDpT10_ENKUlT_T0_E_clISt17integral_constantIbLb0EES1O_IbLb1EEEEDaS1K_S1L_EUlS1K_E_NS1_11comp_targetILNS1_3genE8ELNS1_11target_archE1030ELNS1_3gpuE2ELNS1_3repE0EEENS1_30default_config_static_selectorELNS0_4arch9wavefront6targetE0EEEvSY_.num_agpr, 0
	.set _ZN7rocprim17ROCPRIM_400000_NS6detail17trampoline_kernelINS0_13select_configILj256ELj13ELNS0_17block_load_methodE3ELS4_3ELS4_3ELNS0_20block_scan_algorithmE0ELj4294967295EEENS1_25partition_config_selectorILNS1_17partition_subalgoE3EjNS0_10empty_typeEbEEZZNS1_14partition_implILS8_3ELb0ES6_jNS0_17counting_iteratorIjlEEPS9_SE_NS0_5tupleIJPjSE_EEENSF_IJSE_SE_EEES9_SG_JZNS1_25segmented_radix_sort_implINS0_14default_configELb1EPKbPbPKlPlN2at6native12_GLOBAL__N_18offset_tEEE10hipError_tPvRmT1_PNSt15iterator_traitsISY_E10value_typeET2_T3_PNSZ_IS14_E10value_typeET4_jRbjT5_S1A_jjP12ihipStream_tbEUljE_EEESV_SW_SX_S14_S18_S1A_T6_T7_T9_mT8_S1C_bDpT10_ENKUlT_T0_E_clISt17integral_constantIbLb0EES1O_IbLb1EEEEDaS1K_S1L_EUlS1K_E_NS1_11comp_targetILNS1_3genE8ELNS1_11target_archE1030ELNS1_3gpuE2ELNS1_3repE0EEENS1_30default_config_static_selectorELNS0_4arch9wavefront6targetE0EEEvSY_.numbered_sgpr, 0
	.set _ZN7rocprim17ROCPRIM_400000_NS6detail17trampoline_kernelINS0_13select_configILj256ELj13ELNS0_17block_load_methodE3ELS4_3ELS4_3ELNS0_20block_scan_algorithmE0ELj4294967295EEENS1_25partition_config_selectorILNS1_17partition_subalgoE3EjNS0_10empty_typeEbEEZZNS1_14partition_implILS8_3ELb0ES6_jNS0_17counting_iteratorIjlEEPS9_SE_NS0_5tupleIJPjSE_EEENSF_IJSE_SE_EEES9_SG_JZNS1_25segmented_radix_sort_implINS0_14default_configELb1EPKbPbPKlPlN2at6native12_GLOBAL__N_18offset_tEEE10hipError_tPvRmT1_PNSt15iterator_traitsISY_E10value_typeET2_T3_PNSZ_IS14_E10value_typeET4_jRbjT5_S1A_jjP12ihipStream_tbEUljE_EEESV_SW_SX_S14_S18_S1A_T6_T7_T9_mT8_S1C_bDpT10_ENKUlT_T0_E_clISt17integral_constantIbLb0EES1O_IbLb1EEEEDaS1K_S1L_EUlS1K_E_NS1_11comp_targetILNS1_3genE8ELNS1_11target_archE1030ELNS1_3gpuE2ELNS1_3repE0EEENS1_30default_config_static_selectorELNS0_4arch9wavefront6targetE0EEEvSY_.num_named_barrier, 0
	.set _ZN7rocprim17ROCPRIM_400000_NS6detail17trampoline_kernelINS0_13select_configILj256ELj13ELNS0_17block_load_methodE3ELS4_3ELS4_3ELNS0_20block_scan_algorithmE0ELj4294967295EEENS1_25partition_config_selectorILNS1_17partition_subalgoE3EjNS0_10empty_typeEbEEZZNS1_14partition_implILS8_3ELb0ES6_jNS0_17counting_iteratorIjlEEPS9_SE_NS0_5tupleIJPjSE_EEENSF_IJSE_SE_EEES9_SG_JZNS1_25segmented_radix_sort_implINS0_14default_configELb1EPKbPbPKlPlN2at6native12_GLOBAL__N_18offset_tEEE10hipError_tPvRmT1_PNSt15iterator_traitsISY_E10value_typeET2_T3_PNSZ_IS14_E10value_typeET4_jRbjT5_S1A_jjP12ihipStream_tbEUljE_EEESV_SW_SX_S14_S18_S1A_T6_T7_T9_mT8_S1C_bDpT10_ENKUlT_T0_E_clISt17integral_constantIbLb0EES1O_IbLb1EEEEDaS1K_S1L_EUlS1K_E_NS1_11comp_targetILNS1_3genE8ELNS1_11target_archE1030ELNS1_3gpuE2ELNS1_3repE0EEENS1_30default_config_static_selectorELNS0_4arch9wavefront6targetE0EEEvSY_.private_seg_size, 0
	.set _ZN7rocprim17ROCPRIM_400000_NS6detail17trampoline_kernelINS0_13select_configILj256ELj13ELNS0_17block_load_methodE3ELS4_3ELS4_3ELNS0_20block_scan_algorithmE0ELj4294967295EEENS1_25partition_config_selectorILNS1_17partition_subalgoE3EjNS0_10empty_typeEbEEZZNS1_14partition_implILS8_3ELb0ES6_jNS0_17counting_iteratorIjlEEPS9_SE_NS0_5tupleIJPjSE_EEENSF_IJSE_SE_EEES9_SG_JZNS1_25segmented_radix_sort_implINS0_14default_configELb1EPKbPbPKlPlN2at6native12_GLOBAL__N_18offset_tEEE10hipError_tPvRmT1_PNSt15iterator_traitsISY_E10value_typeET2_T3_PNSZ_IS14_E10value_typeET4_jRbjT5_S1A_jjP12ihipStream_tbEUljE_EEESV_SW_SX_S14_S18_S1A_T6_T7_T9_mT8_S1C_bDpT10_ENKUlT_T0_E_clISt17integral_constantIbLb0EES1O_IbLb1EEEEDaS1K_S1L_EUlS1K_E_NS1_11comp_targetILNS1_3genE8ELNS1_11target_archE1030ELNS1_3gpuE2ELNS1_3repE0EEENS1_30default_config_static_selectorELNS0_4arch9wavefront6targetE0EEEvSY_.uses_vcc, 0
	.set _ZN7rocprim17ROCPRIM_400000_NS6detail17trampoline_kernelINS0_13select_configILj256ELj13ELNS0_17block_load_methodE3ELS4_3ELS4_3ELNS0_20block_scan_algorithmE0ELj4294967295EEENS1_25partition_config_selectorILNS1_17partition_subalgoE3EjNS0_10empty_typeEbEEZZNS1_14partition_implILS8_3ELb0ES6_jNS0_17counting_iteratorIjlEEPS9_SE_NS0_5tupleIJPjSE_EEENSF_IJSE_SE_EEES9_SG_JZNS1_25segmented_radix_sort_implINS0_14default_configELb1EPKbPbPKlPlN2at6native12_GLOBAL__N_18offset_tEEE10hipError_tPvRmT1_PNSt15iterator_traitsISY_E10value_typeET2_T3_PNSZ_IS14_E10value_typeET4_jRbjT5_S1A_jjP12ihipStream_tbEUljE_EEESV_SW_SX_S14_S18_S1A_T6_T7_T9_mT8_S1C_bDpT10_ENKUlT_T0_E_clISt17integral_constantIbLb0EES1O_IbLb1EEEEDaS1K_S1L_EUlS1K_E_NS1_11comp_targetILNS1_3genE8ELNS1_11target_archE1030ELNS1_3gpuE2ELNS1_3repE0EEENS1_30default_config_static_selectorELNS0_4arch9wavefront6targetE0EEEvSY_.uses_flat_scratch, 0
	.set _ZN7rocprim17ROCPRIM_400000_NS6detail17trampoline_kernelINS0_13select_configILj256ELj13ELNS0_17block_load_methodE3ELS4_3ELS4_3ELNS0_20block_scan_algorithmE0ELj4294967295EEENS1_25partition_config_selectorILNS1_17partition_subalgoE3EjNS0_10empty_typeEbEEZZNS1_14partition_implILS8_3ELb0ES6_jNS0_17counting_iteratorIjlEEPS9_SE_NS0_5tupleIJPjSE_EEENSF_IJSE_SE_EEES9_SG_JZNS1_25segmented_radix_sort_implINS0_14default_configELb1EPKbPbPKlPlN2at6native12_GLOBAL__N_18offset_tEEE10hipError_tPvRmT1_PNSt15iterator_traitsISY_E10value_typeET2_T3_PNSZ_IS14_E10value_typeET4_jRbjT5_S1A_jjP12ihipStream_tbEUljE_EEESV_SW_SX_S14_S18_S1A_T6_T7_T9_mT8_S1C_bDpT10_ENKUlT_T0_E_clISt17integral_constantIbLb0EES1O_IbLb1EEEEDaS1K_S1L_EUlS1K_E_NS1_11comp_targetILNS1_3genE8ELNS1_11target_archE1030ELNS1_3gpuE2ELNS1_3repE0EEENS1_30default_config_static_selectorELNS0_4arch9wavefront6targetE0EEEvSY_.has_dyn_sized_stack, 0
	.set _ZN7rocprim17ROCPRIM_400000_NS6detail17trampoline_kernelINS0_13select_configILj256ELj13ELNS0_17block_load_methodE3ELS4_3ELS4_3ELNS0_20block_scan_algorithmE0ELj4294967295EEENS1_25partition_config_selectorILNS1_17partition_subalgoE3EjNS0_10empty_typeEbEEZZNS1_14partition_implILS8_3ELb0ES6_jNS0_17counting_iteratorIjlEEPS9_SE_NS0_5tupleIJPjSE_EEENSF_IJSE_SE_EEES9_SG_JZNS1_25segmented_radix_sort_implINS0_14default_configELb1EPKbPbPKlPlN2at6native12_GLOBAL__N_18offset_tEEE10hipError_tPvRmT1_PNSt15iterator_traitsISY_E10value_typeET2_T3_PNSZ_IS14_E10value_typeET4_jRbjT5_S1A_jjP12ihipStream_tbEUljE_EEESV_SW_SX_S14_S18_S1A_T6_T7_T9_mT8_S1C_bDpT10_ENKUlT_T0_E_clISt17integral_constantIbLb0EES1O_IbLb1EEEEDaS1K_S1L_EUlS1K_E_NS1_11comp_targetILNS1_3genE8ELNS1_11target_archE1030ELNS1_3gpuE2ELNS1_3repE0EEENS1_30default_config_static_selectorELNS0_4arch9wavefront6targetE0EEEvSY_.has_recursion, 0
	.set _ZN7rocprim17ROCPRIM_400000_NS6detail17trampoline_kernelINS0_13select_configILj256ELj13ELNS0_17block_load_methodE3ELS4_3ELS4_3ELNS0_20block_scan_algorithmE0ELj4294967295EEENS1_25partition_config_selectorILNS1_17partition_subalgoE3EjNS0_10empty_typeEbEEZZNS1_14partition_implILS8_3ELb0ES6_jNS0_17counting_iteratorIjlEEPS9_SE_NS0_5tupleIJPjSE_EEENSF_IJSE_SE_EEES9_SG_JZNS1_25segmented_radix_sort_implINS0_14default_configELb1EPKbPbPKlPlN2at6native12_GLOBAL__N_18offset_tEEE10hipError_tPvRmT1_PNSt15iterator_traitsISY_E10value_typeET2_T3_PNSZ_IS14_E10value_typeET4_jRbjT5_S1A_jjP12ihipStream_tbEUljE_EEESV_SW_SX_S14_S18_S1A_T6_T7_T9_mT8_S1C_bDpT10_ENKUlT_T0_E_clISt17integral_constantIbLb0EES1O_IbLb1EEEEDaS1K_S1L_EUlS1K_E_NS1_11comp_targetILNS1_3genE8ELNS1_11target_archE1030ELNS1_3gpuE2ELNS1_3repE0EEENS1_30default_config_static_selectorELNS0_4arch9wavefront6targetE0EEEvSY_.has_indirect_call, 0
	.section	.AMDGPU.csdata,"",@progbits
; Kernel info:
; codeLenInByte = 0
; TotalNumSgprs: 0
; NumVgprs: 0
; ScratchSize: 0
; MemoryBound: 0
; FloatMode: 240
; IeeeMode: 1
; LDSByteSize: 0 bytes/workgroup (compile time only)
; SGPRBlocks: 0
; VGPRBlocks: 0
; NumSGPRsForWavesPerEU: 1
; NumVGPRsForWavesPerEU: 1
; NamedBarCnt: 0
; Occupancy: 16
; WaveLimiterHint : 0
; COMPUTE_PGM_RSRC2:SCRATCH_EN: 0
; COMPUTE_PGM_RSRC2:USER_SGPR: 2
; COMPUTE_PGM_RSRC2:TRAP_HANDLER: 0
; COMPUTE_PGM_RSRC2:TGID_X_EN: 1
; COMPUTE_PGM_RSRC2:TGID_Y_EN: 0
; COMPUTE_PGM_RSRC2:TGID_Z_EN: 0
; COMPUTE_PGM_RSRC2:TIDIG_COMP_CNT: 0
	.text
	.p2align	2                               ; -- Begin function _ZN7rocprim17ROCPRIM_400000_NS6detail40segmented_radix_sort_single_block_helperIblLj256ELj17ELb1EE4sortIPKbPbPKlPlEEbT_T0_T1_T2_jjjjRNS3_12storage_typeE
	.type	_ZN7rocprim17ROCPRIM_400000_NS6detail40segmented_radix_sort_single_block_helperIblLj256ELj17ELb1EE4sortIPKbPbPKlPlEEbT_T0_T1_T2_jjjjRNS3_12storage_typeE,@function
_ZN7rocprim17ROCPRIM_400000_NS6detail40segmented_radix_sort_single_block_helperIblLj256ELj17ELb1EE4sortIPKbPbPKlPlEEbT_T0_T1_T2_jjjjRNS3_12storage_typeE: ; @_ZN7rocprim17ROCPRIM_400000_NS6detail40segmented_radix_sort_single_block_helperIblLj256ELj17ELb1EE4sortIPKbPbPKlPlEEbT_T0_T1_T2_jjjjRNS3_12storage_typeE
; %bb.0:
	s_wait_loadcnt_dscnt 0x0
	s_wait_kmcnt 0x0
	s_set_vgpr_msb 64                       ;  msbs: dst=1 src0=0 src1=0 src2=0
	v_sub_nc_u32_e32 v28 /*v284*/, v9, v8
	s_mov_b32 s18, exec_lo
	s_set_vgpr_msb 4                        ;  msbs: dst=0 src0=0 src1=1 src2=0
	s_delay_alu instid0(VALU_DEP_1)
	v_cmpx_gt_u32_e32 0x1101, v28 /*v284*/
	s_set_vgpr_msb 0                        ;  msbs: dst=0 src0=0 src1=0 src2=0
	s_cbranch_execz .LBB1524_382
; %bb.1:
	v_bfe_u32 v9, v31, 10, 10
	v_bfe_u32 v14, v31, 20, 10
	v_and_b32_e32 v26, 0x3ff, v31
	v_mbcnt_lo_u32_b32 v18, -1, 0
	s_getreg_b32 s19, hwreg(HW_REG_IB_STS2, 6, 4)
	s_mov_b32 s0, exec_lo
	s_set_vgpr_msb 4                        ;  msbs: dst=0 src0=0 src1=1 src2=0
	v_cmpx_lt_u32_e32 0x800, v28 /*v284*/
	s_xor_b32 s20, exec_lo, s0
	s_set_vgpr_msb 0                        ;  msbs: dst=0 src0=0 src1=0 src2=0
	s_cbranch_execz .LBB1524_151
; %bb.2:
	s_load_b64 s[0:1], s[8:9], 0x0
	s_bfe_u32 s3, ttmp6, 0x4000c
	s_bfe_u32 s5, ttmp6, 0x40010
	s_and_b32 s4, ttmp7, 0xffff
	s_add_co_i32 s3, s3, 1
	s_add_co_i32 s5, s5, 1
	s_and_b32 s2, ttmp6, 15
	s_bfe_u32 s6, ttmp6, 0x40004
	s_mul_i32 s3, ttmp9, s3
	s_mul_i32 s5, s4, s5
	s_add_co_i32 s2, s2, s3
	s_add_co_i32 s6, s6, s5
	s_cmp_eq_u32 s19, 0
	s_mov_b32 s3, 0
	s_cselect_b32 s2, ttmp9, s2
	s_cselect_b32 s4, s4, s6
	s_wait_kmcnt 0x0
	s_cmp_lt_u32 s2, s0
	s_cselect_b32 s2, 12, 18
	s_cmp_lt_u32 s4, s1
	s_mov_b32 s1, s3
	s_cselect_b32 s0, 14, 20
	s_delay_alu instid0(SALU_CYCLE_1)
	s_add_nc_u64 s[0:1], s[8:9], s[0:1]
	s_load_u16 s4, s[0:1], 0x0
	s_wait_xcnt 0x0
	s_add_nc_u64 s[0:1], s[8:9], s[2:3]
	s_load_u16 s0, s[0:1], 0x0
	s_wait_kmcnt 0x0
	v_mad_u32_u24 v9, v14, s4, v9
	s_delay_alu instid0(VALU_DEP_1) | instskip(NEXT) | instid1(VALU_DEP_1)
	v_mad_u32 v38, v9, s0, v26
	v_and_b32_e32 v14, 0xffffffe0, v38
	s_delay_alu instid0(VALU_DEP_1) | instskip(NEXT) | instid1(VALU_DEP_1)
	v_lshl_add_u32 v20, v14, 4, v14
	v_dual_mov_b32 v9, 0 :: v_dual_bitop2_b32 v17, v20, v18 bitop3:0x54
	s_delay_alu instid0(VALU_DEP_1)
	v_add_nc_u64_e32 v[0:1], v[0:1], v[8:9]
	v_dual_mov_b32 v19, v9 :: v_dual_mov_b32 v21, v9
	v_dual_mov_b32 v16, v9 :: v_dual_mov_b32 v15, v9
	s_set_vgpr_msb 4                        ;  msbs: dst=0 src0=0 src1=1 src2=0
	v_cmp_lt_u32_e32 vcc_lo, v17, v28 /*v284*/
	v_mov_b32_e32 v14, v9
	s_set_vgpr_msb 0                        ;  msbs: dst=0 src0=0 src1=0 src2=0
	v_add_nc_u64_e32 v[22:23], v[0:1], v[18:19]
	v_dual_mov_b32 v0, v9 :: v_dual_mov_b32 v1, v9
	s_delay_alu instid0(VALU_DEP_2)
	v_add_nc_u64_e32 v[22:23], v[22:23], v[20:21]
	s_and_saveexec_b32 s0, vcc_lo
	s_cbranch_execz .LBB1524_4
; %bb.3:
	flat_load_u8 v0, v[22:23]
	v_dual_mov_b32 v1, v9 :: v_dual_mov_b32 v16, v9
	v_dual_mov_b32 v15, v9 :: v_dual_mov_b32 v14, v9
.LBB1524_4:
	s_wait_xcnt 0x0
	s_or_b32 exec_lo, exec_lo, s0
	v_add_nc_u32_e32 v19, 32, v17
	s_set_vgpr_msb 4                        ;  msbs: dst=0 src0=0 src1=1 src2=0
	s_delay_alu instid0(VALU_DEP_1)
	v_cmp_lt_u32_e64 s0, v19, v28 /*v284*/
	s_and_saveexec_b32 s1, s0
	s_set_vgpr_msb 0                        ;  msbs: dst=0 src0=0 src1=0 src2=0
	s_cbranch_execz .LBB1524_6
; %bb.5:
	flat_load_u8 v19, v[22:23] offset:32
	v_and_b32_e32 v14, 0xff, v14
	s_wait_loadcnt_dscnt 0x0
	v_perm_b32 v0, v0, v19, 0x7060004
.LBB1524_6:
	s_wait_xcnt 0x0
	s_or_b32 exec_lo, exec_lo, s1
	v_add_nc_u32_e32 v19, 64, v17
	s_set_vgpr_msb 4                        ;  msbs: dst=0 src0=0 src1=1 src2=0
	s_delay_alu instid0(VALU_DEP_1)
	v_cmp_lt_u32_e64 s1, v19, v28 /*v284*/
	s_and_saveexec_b32 s2, s1
	s_set_vgpr_msb 0                        ;  msbs: dst=0 src0=0 src1=0 src2=0
	s_cbranch_execz .LBB1524_8
; %bb.7:
	flat_load_u8 v19, v[22:23] offset:64
	v_and_b32_e32 v14, 0xff, v14
	s_wait_loadcnt_dscnt 0x0
	v_perm_b32 v0, v0, v19, 0x7000504
.LBB1524_8:
	;; [unrolled: 15-line block ×15, first 2 shown]
	s_wait_xcnt 0x0
	s_or_b32 exec_lo, exec_lo, s17
	v_add_nc_u32_e32 v17, 0x200, v17
	s_set_vgpr_msb 4                        ;  msbs: dst=0 src0=0 src1=1 src2=0
	s_delay_alu instid0(VALU_DEP_1)
	v_cmp_lt_u32_e64 s17, v17, v28 /*v284*/
	s_and_saveexec_b32 s21, s17
	s_set_vgpr_msb 0                        ;  msbs: dst=0 src0=0 src1=0 src2=0
	s_cbranch_execz .LBB1524_36
; %bb.35:
	flat_load_u8 v14, v[22:23] offset:512
.LBB1524_36:
	s_wait_xcnt 0x0
	s_or_b32 exec_lo, exec_lo, s21
	v_lshl_add_u64 v[4:5], v[8:9], 3, v[4:5]
	v_dual_mov_b32 v23, 0 :: v_dual_lshlrev_b32 v22, 3, v18
                                        ; implicit-def: $vgpr100_vgpr101
	s_delay_alu instid0(VALU_DEP_1) | instskip(NEXT) | instid1(VALU_DEP_1)
	v_add_nc_u64_e32 v[4:5], v[4:5], v[22:23]
	v_lshl_add_u64 v[4:5], v[20:21], 3, v[4:5]
	s_and_saveexec_b32 s21, vcc_lo
	s_cbranch_execnz .LBB1524_204
; %bb.37:
	s_or_b32 exec_lo, exec_lo, s21
                                        ; implicit-def: $vgpr102_vgpr103
	s_and_saveexec_b32 s21, s0
	s_cbranch_execnz .LBB1524_205
.LBB1524_38:
	s_or_b32 exec_lo, exec_lo, s21
                                        ; implicit-def: $vgpr112_vgpr113
	s_and_saveexec_b32 s0, s1
	s_cbranch_execnz .LBB1524_206
.LBB1524_39:
	s_or_b32 exec_lo, exec_lo, s0
                                        ; implicit-def: $vgpr114_vgpr115
	s_and_saveexec_b32 s0, s2
	s_cbranch_execnz .LBB1524_207
.LBB1524_40:
	s_or_b32 exec_lo, exec_lo, s0
                                        ; implicit-def: $vgpr116_vgpr117
	s_and_saveexec_b32 s0, s3
	s_cbranch_execnz .LBB1524_208
.LBB1524_41:
	s_or_b32 exec_lo, exec_lo, s0
                                        ; implicit-def: $vgpr118_vgpr119
	s_and_saveexec_b32 s0, s4
	s_cbranch_execnz .LBB1524_209
.LBB1524_42:
	s_or_b32 exec_lo, exec_lo, s0
                                        ; implicit-def: $vgpr128_vgpr129
	s_and_saveexec_b32 s0, s5
	s_cbranch_execnz .LBB1524_210
.LBB1524_43:
	s_or_b32 exec_lo, exec_lo, s0
                                        ; implicit-def: $vgpr130_vgpr131
	s_and_saveexec_b32 s0, s6
	s_cbranch_execnz .LBB1524_211
.LBB1524_44:
	s_or_b32 exec_lo, exec_lo, s0
                                        ; implicit-def: $vgpr132_vgpr133
	s_and_saveexec_b32 s0, s7
	s_cbranch_execnz .LBB1524_212
.LBB1524_45:
	s_or_b32 exec_lo, exec_lo, s0
                                        ; implicit-def: $vgpr134_vgpr135
	s_and_saveexec_b32 s0, s10
	s_cbranch_execnz .LBB1524_213
.LBB1524_46:
	s_or_b32 exec_lo, exec_lo, s0
                                        ; implicit-def: $vgpr144_vgpr145
	s_and_saveexec_b32 s0, s11
	s_cbranch_execnz .LBB1524_214
.LBB1524_47:
	s_or_b32 exec_lo, exec_lo, s0
                                        ; implicit-def: $vgpr146_vgpr147
	s_and_saveexec_b32 s0, s12
	s_cbranch_execnz .LBB1524_215
.LBB1524_48:
	s_or_b32 exec_lo, exec_lo, s0
                                        ; implicit-def: $vgpr148_vgpr149
	s_and_saveexec_b32 s0, s13
	s_cbranch_execnz .LBB1524_216
.LBB1524_49:
	s_or_b32 exec_lo, exec_lo, s0
                                        ; implicit-def: $vgpr150_vgpr151
	s_and_saveexec_b32 s0, s14
	s_cbranch_execnz .LBB1524_217
.LBB1524_50:
	s_or_b32 exec_lo, exec_lo, s0
                                        ; implicit-def: $vgpr160_vgpr161
	s_and_saveexec_b32 s0, s15
	s_cbranch_execnz .LBB1524_218
.LBB1524_51:
	s_or_b32 exec_lo, exec_lo, s0
                                        ; implicit-def: $vgpr162_vgpr163
	s_and_saveexec_b32 s0, s16
	s_cbranch_execnz .LBB1524_219
.LBB1524_52:
	s_or_b32 exec_lo, exec_lo, s0
                                        ; implicit-def: $vgpr164_vgpr165
	s_and_saveexec_b32 s0, s17
	s_cbranch_execz .LBB1524_54
.LBB1524_53:
	flat_load_b64 v[164:165], v[4:5] offset:4096
.LBB1524_54:
	s_wait_xcnt 0x0
	s_or_b32 exec_lo, exec_lo, s0
	v_lshrrev_b16 v4, 8, v15
	v_lshrrev_b16 v17, 8, v16
	v_lshrrev_b32_e32 v20, 24, v16
	v_lshrrev_b16 v21, 8, v1
	v_lshrrev_b32_e32 v22, 16, v16
	v_and_b32_e32 v4, 1, v4
	v_and_b32_e32 v17, 1, v17
	s_wait_loadcnt_dscnt 0x0
	v_lshrrev_b16 v23, 8, v0
	v_dual_lshrrev_b32 v5, 24, v15 :: v_dual_bitop2_b32 v16, 1, v16 bitop3:0x40
	v_lshrrev_b32_e32 v19, 16, v15
	v_cmp_eq_u32_e64 s0, 1, v17
	v_lshrrev_b32_e32 v17, 24, v1
	v_cmp_eq_u32_e32 vcc_lo, 1, v4
	v_and_b32_e32 v4, 1, v21
	v_dual_lshrrev_b32 v21, 16, v1 :: v_dual_bitop2_b32 v23, 1, v23 bitop3:0x40
	s_delay_alu instid0(VALU_DEP_4) | instskip(SKIP_1) | instid1(VALU_DEP_4)
	v_and_b32_e32 v17, 1, v17
	v_and_b32_e32 v22, 1, v22
	v_cmp_eq_u32_e64 s1, 1, v4
	s_delay_alu instid0(VALU_DEP_4)
	v_and_b32_e32 v21, 1, v21
	v_and_b32_e32 v20, 1, v20
	v_and_b32_e32 v5, 1, v5
	v_and_b32_e32 v19, 1, v19
	s_xor_b32 s1, s1, -1
	v_dual_lshrrev_b32 v24, 24, v0 :: v_dual_bitop2_b32 v4, 1, v0 bitop3:0x40
	v_cndmask_b32_e64 v25, 0, 1, s1
	v_cmp_ne_u32_e64 s1, 1, v21
	v_dual_lshrrev_b32 v0, 16, v0 :: v_dual_bitop2_b32 v1, 1, v1 bitop3:0x40
	v_cmp_eq_u32_e64 s2, 1, v23
	s_xor_b32 s0, s0, -1
	v_cndmask_b32_e64 v21, 0, 1, s1
	v_cmp_ne_u32_e64 s1, 1, v17
	v_cmp_ne_u32_e64 s3, 1, v4
	s_xor_b32 s2, s2, -1
	v_and_b32_e32 v14, 1, v14
	v_mov_b64_e32 v[84:85], 0
	v_cndmask_b32_e64 v17, 0, 1, s1
	v_cmp_ne_u32_e64 s1, 1, v16
	v_cndmask_b32_e64 v4, 0, 1, s3
	v_cmp_gt_u32_e64 s6, 8, v26
	v_cmp_lt_u32_e64 s7, 31, v26
	v_lshlrev_b16 v17, 8, v17
	v_cndmask_b32_e64 v16, 0, 1, s1
	v_cmp_ne_u32_e64 s1, 1, v22
	v_cmp_eq_u32_e64 s10, 0, v26
	s_set_vgpr_msb 64                       ;  msbs: dst=1 src0=0 src1=0 src2=0
	v_sub_nc_u32_e32 v55 /*v311*/, v11, v10
	s_set_vgpr_msb 0                        ;  msbs: dst=0 src0=0 src1=0 src2=0
	v_or_b32_e32 v17, v21, v17
	v_and_b32_e32 v23, 1, v24
	v_cndmask_b32_e64 v22, 0, 1, s1
	v_cmp_ne_u32_e64 s1, 1, v20
	v_cndmask_b32_e64 v24, 0, 1, s2
	v_lshlrev_b32_e32 v17, 16, v17
	s_mov_b32 s17, 0
	s_wait_storecnt 0x0
	v_cndmask_b32_e64 v20, 0, 1, s1
	v_cmp_ne_u32_e64 s1, 1, v5
	s_barrier_signal -1
	s_barrier_wait -1
	s_delay_alu instid0(VALU_DEP_2) | instskip(NEXT) | instid1(VALU_DEP_2)
	v_lshlrev_b16 v20, 8, v20
	v_cndmask_b32_e64 v5, 0, 1, s1
	s_xor_b32 s1, vcc_lo, -1
	v_cmp_ne_u32_e32 vcc_lo, 1, v19
	v_cndmask_b32_e64 v27, 0, 1, s1
	v_or_b32_e32 v20, v22, v20
	v_lshlrev_b16 v5, 8, v5
	v_lshlrev_b16 v22, 8, v25
	v_cndmask_b32_e64 v19, 0, 1, vcc_lo
	v_lshlrev_b16 v27, 8, v27
	s_delay_alu instid0(VALU_DEP_2)
	v_dual_lshlrev_b32 v20, 16, v20 :: v_dual_bitop2_b32 v5, v19, v5 bitop3:0x54
	v_and_b32_e32 v0, 1, v0
	v_cndmask_b32_e64 v19, 0, 1, s0
	s_get_pc_i64 s[0:1]
	s_add_nc_u64 s[0:1], s[0:1], _ZN7rocprim17ROCPRIM_400000_NS16block_radix_sortIbLj256ELj17ElLj1ELj1ELj8ELNS0_26block_radix_rank_algorithmE2ELNS0_18block_padding_hintE2ELNS0_4arch9wavefront6targetE0EE19radix_bits_per_passE@rel64+4
	v_lshlrev_b32_e32 v5, 16, v5
	v_cmp_ne_u32_e64 s2, 1, v0
	v_lshlrev_b16 v19, 8, v19
	s_load_b32 s16, s[0:1], 0x0
	v_cndmask_b32_e64 v0, 0, 1, s2
	v_cmp_ne_u32_e64 s2, 1, v23
	s_delay_alu instid0(VALU_DEP_3) | instskip(NEXT) | instid1(VALU_DEP_2)
	v_or_b32_e32 v16, v16, v19
	v_cndmask_b32_e64 v23, 0, 1, s2
	v_cmp_ne_u32_e64 s2, 1, v1
	s_delay_alu instid0(VALU_DEP_3) | instskip(NEXT) | instid1(VALU_DEP_3)
	v_and_b32_e32 v16, 0xffff, v16
	v_lshlrev_b16 v19, 8, v23
	s_delay_alu instid0(VALU_DEP_3) | instskip(SKIP_1) | instid1(VALU_DEP_3)
	v_cndmask_b32_e64 v1, 0, 1, s2
	v_lshlrev_b16 v23, 8, v24
	v_or_b32_e32 v0, v0, v19
	s_delay_alu instid0(VALU_DEP_3) | instskip(NEXT) | instid1(VALU_DEP_3)
	v_or_b32_e32 v1, v1, v22
	v_or_b32_e32 v4, v4, v23
	;; [unrolled: 1-line block ×3, first 2 shown]
	s_delay_alu instid0(VALU_DEP_4) | instskip(NEXT) | instid1(VALU_DEP_4)
	v_lshlrev_b32_e32 v0, 16, v0
	v_and_b32_e32 v1, 0xffff, v1
	s_delay_alu instid0(VALU_DEP_4) | instskip(NEXT) | instid1(VALU_DEP_2)
	v_and_b32_e32 v4, 0xffff, v4
	v_or_b32_e32 v21, v1, v17
	v_lshl_add_u32 v1, v26, 5, v12
	v_and_b32_e32 v15, 1, v15
	s_delay_alu instid0(VALU_DEP_4) | instskip(SKIP_1) | instid1(VALU_DEP_4)
	v_or_b32_e32 v20, v4, v0
	v_and_b32_e32 v0, 0x3e0, v26
	v_dual_add_nc_u32 v39, 44, v1 :: v_dual_bitop2_b32 v4, 15, v18 bitop3:0x40
	s_delay_alu instid0(VALU_DEP_4)
	v_cmp_ne_u32_e32 vcc_lo, 1, v15
	v_dual_add_nc_u32 v19, 32, v1 :: v_dual_add_nc_u32 v25, 36, v1
	s_set_vgpr_msb 64                       ;  msbs: dst=1 src0=0 src1=0 src2=0
	v_dual_add_nc_u32 v29 /*v285*/, 48, v1 :: v_dual_add_nc_u32 v30 /*v286*/, 52, v1
	s_set_vgpr_msb 0                        ;  msbs: dst=0 src0=0 src1=0 src2=0
	v_cndmask_b32_e64 v15, 0, 1, vcc_lo
	v_cmp_ne_u32_e32 vcc_lo, 1, v14
	s_set_vgpr_msb 64                       ;  msbs: dst=1 src0=0 src1=0 src2=0
	v_dual_add_nc_u32 v31 /*v287*/, 56, v1 :: v_dual_add_nc_u32 v32 /*v288*/, 60, v1
	s_wait_xcnt 0x0
	v_cmp_lt_u32_e64 s0, 1, v4
	s_set_vgpr_msb 0                        ;  msbs: dst=0 src0=0 src1=0 src2=0
	v_or_b32_e32 v15, v15, v27
	v_cndmask_b32_e64 v24, 0, 1, vcc_lo
	v_add_nc_u32_e32 v27, 40, v1
	v_min_u32_e32 v1, 0xe0, v0
	v_cmp_eq_u32_e32 vcc_lo, 0, v4
	v_and_b32_e32 v15, 0xffff, v15
	v_cmp_lt_u32_e64 s1, 3, v4
	v_mul_u32_u24_e32 v0, 17, v0
	v_cmp_lt_u32_e64 s2, 7, v4
	v_sub_co_u32 v4, s3, v18, 1
	v_or_b32_e32 v23, v15, v5
	v_and_b32_e32 v5, 16, v18
	v_dual_mov_b32 v1, 0 :: v_dual_bitop2_b32 v14, 31, v1 bitop3:0x54
	v_or_b32_e32 v0, v18, v0
	v_cmp_gt_i32_e64 s5, 0, v4
	s_delay_alu instid0(VALU_DEP_4) | instskip(SKIP_1) | instid1(VALU_DEP_3)
	v_cmp_eq_u32_e64 s4, 0, v5
	v_lshrrev_b32_e32 v15, 3, v26
	v_cndmask_b32_e64 v16, v4, v18, s5
	v_add_nc_u64_e32 v[4:5], v[12:13], v[0:1]
	v_cmp_eq_u32_e64 s5, v26, v14
	s_delay_alu instid0(VALU_DEP_4)
	v_and_b32_e32 v14, 0x7c, v15
	v_and_b32_e32 v15, 7, v18
	s_set_vgpr_msb 64                       ;  msbs: dst=1 src0=0 src1=0 src2=0
	v_dual_lshrrev_b32 v33 /*v289*/, 5, v38 :: v_dual_lshlrev_b32 v34 /*v290*/, 2, v16
	s_set_vgpr_msb 0                        ;  msbs: dst=0 src0=0 src1=0 src2=0
	v_mad_nc_u64_u32 v[28:29], v0, 7, v[4:5]
	v_add_nc_u32_e32 v5, v12, v14
	v_lshl_add_u32 v29, v26, 2, v12
	v_cmp_eq_u32_e64 s11, 0, v15
	v_cmp_lt_u32_e64 s12, 1, v15
	v_cmp_lt_u32_e64 s13, 3, v15
	s_set_vgpr_msb 64                       ;  msbs: dst=1 src0=0 src1=0 src2=0
	v_add_nc_u32_e32 v35 /*v291*/, 0x1a0, v4
	v_add_nc_u32_e32 v36 /*v292*/, 0x1c0, v4
	v_add_nc_u32_e32 v37 /*v293*/, 0x1e0, v4
	v_add_nc_u32_e32 v38 /*v294*/, 0x200, v4
	v_add_nc_u32_e32 v39 /*v295*/, 0x100, v28
	v_add_nc_u32_e32 v40 /*v296*/, 0x200, v28
	v_add_nc_u32_e32 v41 /*v297*/, 0x300, v28
	v_add_nc_u32_e32 v42 /*v298*/, 0x400, v28
	v_add_nc_u32_e32 v43 /*v299*/, 0x500, v28
	v_add_nc_u32_e32 v44 /*v300*/, 0x600, v28
	v_add_nc_u32_e32 v45 /*v301*/, 0x700, v28
	v_add_nc_u32_e32 v46 /*v302*/, 0x800, v28
	v_add_nc_u32_e32 v47 /*v303*/, 0x900, v28
	v_add_nc_u32_e32 v48 /*v304*/, 0xa00, v28
	v_add_nc_u32_e32 v49 /*v305*/, 0xb00, v28
	v_add_nc_u32_e32 v50 /*v306*/, 0xc00, v28
	v_add_nc_u32_e32 v51 /*v307*/, 0xd00, v28
	v_add_nc_u32_e32 v52 /*v308*/, 0xe00, v28
	v_add_nc_u32_e32 v53 /*v309*/, 0xf00, v28
	v_add_nc_u32_e32 v54 /*v310*/, 0x1000, v28
	s_set_vgpr_msb 0                        ;  msbs: dst=0 src0=0 src1=0 src2=0
	s_branch .LBB1524_56
.LBB1524_55:                            ;   in Loop: Header=BB1524_56 Depth=1
	s_or_b32 exec_lo, exec_lo, s15
	s_delay_alu instid0(SALU_CYCLE_1) | instskip(NEXT) | instid1(SALU_CYCLE_1)
	s_and_b32 s14, exec_lo, s21
	s_or_b32 s17, s14, s17
	s_delay_alu instid0(SALU_CYCLE_1)
	s_and_not1_b32 exec_lo, exec_lo, s17
	s_cbranch_execz .LBB1524_98
.LBB1524_56:                            ; =>This Inner Loop Header: Depth=1
	v_dual_mov_b32 v14, v20 :: v_dual_mov_b32 v15, v21
	v_dual_mov_b32 v16, v22 :: v_dual_mov_b32 v17, v23
	v_mov_b32_e32 v18, v24
	s_wait_kmcnt 0x0
	s_set_vgpr_msb 4                        ;  msbs: dst=0 src0=0 src1=1 src2=0
	v_min_u32_e32 v0, s16, v55 /*v311*/
	s_set_vgpr_msb 0                        ;  msbs: dst=0 src0=0 src1=0 src2=0
	v_and_b32_e32 v20, 0xff, v14
	v_mov_b64_e32 v[98:99], v[100:101]
	v_mov_b64_e32 v[96:97], v[102:103]
	;; [unrolled: 1-line block ×3, first 2 shown]
	v_lshlrev_b32_e64 v22, v0, -1
	v_lshrrev_b32_e32 v0, v10, v20
	v_mov_b64_e32 v[66:67], v[114:115]
	v_mov_b64_e32 v[64:65], v[116:117]
	;; [unrolled: 1-line block ×4, first 2 shown]
	v_bitop3_b32 v0, v0, v22, v0 bitop3:0x30
	v_mov_b64_e32 v[70:71], v[130:131]
	v_mov_b64_e32 v[50:51], v[132:133]
	;; [unrolled: 1-line block ×4, first 2 shown]
	v_add_co_u32 v20, s14, v0, -1
	s_delay_alu instid0(VALU_DEP_1)
	v_cndmask_b32_e64 v21, 0, 1, s14
	v_lshlrev_b32_e32 v0, 3, v0
	v_mov_b64_e32 v[82:83], v[146:147]
	v_mov_b64_e32 v[80:81], v[148:149]
	;; [unrolled: 1-line block ×3, first 2 shown]
	v_cmp_ne_u32_e64 s14, 0, v21
	s_set_vgpr_msb 4                        ;  msbs: dst=0 src0=0 src1=1 src2=0
	v_add_lshl_u32 v0, v0, v33 /*v289*/, 2
	v_mov_b64_e32 v[34:35], v[160:161]
	v_mov_b64_e32 v[32:33], v[162:163]
	;; [unrolled: 1-line block ×3, first 2 shown]
	v_bitop3_b32 v23, s14, exec_lo, v20 bitop3:0x48
	s_set_vgpr_msb 0                        ;  msbs: dst=0 src0=0 src1=0 src2=0
	v_add_nc_u64_e32 v[20:21], v[12:13], v[0:1]
	ds_store_b64 v19, v[84:85]
	ds_store_b64 v27, v[84:85]
	s_set_vgpr_msb 1                        ;  msbs: dst=0 src0=1 src1=0 src2=0
	ds_store_b64 v29 /*v285*/, v[84:85]
	ds_store_b64 v31 /*v287*/, v[84:85]
	s_wait_dscnt 0x0
	s_set_vgpr_msb 0                        ;  msbs: dst=0 src0=0 src1=0 src2=0
	v_mbcnt_lo_u32_b32 v0, v23, 0
	v_cmp_ne_u32_e64 s15, 0, v23
	s_barrier_signal -1
	v_add_nc_u64_e32 v[20:21], 32, v[20:21]
	s_barrier_wait -1
	v_cmp_eq_u32_e64 s14, 0, v0
	; wave barrier
	s_and_b32 s15, s15, s14
	s_delay_alu instid0(SALU_CYCLE_1)
	s_and_saveexec_b32 s14, s15
; %bb.57:                               ;   in Loop: Header=BB1524_56 Depth=1
	v_bcnt_u32_b32 v21, v23, 0
	ds_store_b32 v20, v21
; %bb.58:                               ;   in Loop: Header=BB1524_56 Depth=1
	s_or_b32 exec_lo, exec_lo, s14
	v_bfe_u32 v21, v14, 8, 8
	v_not_b32_e32 v132, v22
	; wave barrier
	s_delay_alu instid0(VALU_DEP_2) | instskip(NEXT) | instid1(VALU_DEP_1)
	v_lshrrev_b32_e32 v21, v10, v21
	v_and_b32_e32 v21, v21, v132
	s_set_vgpr_msb 16                       ;  msbs: dst=0 src0=0 src1=0 src2=1
	s_delay_alu instid0(VALU_DEP_1) | instskip(SKIP_1) | instid1(VALU_DEP_1)
	v_lshl_add_u32 v22, v21, 3, v33 /*v289*/
	v_add_co_u32 v23, s14, v21, -1
	v_cndmask_b32_e64 v21, 0, 1, s14
	s_set_vgpr_msb 0                        ;  msbs: dst=0 src0=0 src1=0 src2=0
	s_delay_alu instid0(VALU_DEP_3) | instskip(NEXT) | instid1(VALU_DEP_2)
	v_lshl_add_u32 v100, v22, 2, v12
	v_cmp_ne_u32_e64 s14, 0, v21
	ds_load_b32 v21, v100 offset:32
	; wave barrier
	v_bitop3_b32 v24, s14, exec_lo, v23 bitop3:0x48
	v_add_nc_u32_e32 v23, 32, v100
	s_delay_alu instid0(VALU_DEP_2) | instskip(SKIP_1) | instid1(VALU_DEP_2)
	v_mbcnt_lo_u32_b32 v22, v24, 0
	v_cmp_ne_u32_e64 s15, 0, v24
	v_cmp_eq_u32_e64 s14, 0, v22
	s_and_b32 s15, s15, s14
	s_delay_alu instid0(SALU_CYCLE_1)
	s_and_saveexec_b32 s14, s15
	s_cbranch_execz .LBB1524_60
; %bb.59:                               ;   in Loop: Header=BB1524_56 Depth=1
	s_wait_dscnt 0x0
	v_bcnt_u32_b32 v24, v24, v21
	ds_store_b32 v23, v24
.LBB1524_60:                            ;   in Loop: Header=BB1524_56 Depth=1
	s_or_b32 exec_lo, exec_lo, s14
	v_bfe_u32 v24, v14, 16, 8
	; wave barrier
	s_delay_alu instid0(VALU_DEP_1) | instskip(NEXT) | instid1(VALU_DEP_1)
	v_lshrrev_b32_e32 v24, v10, v24
	v_and_b32_e32 v24, v24, v132
	s_set_vgpr_msb 16                       ;  msbs: dst=0 src0=0 src1=0 src2=1
	s_delay_alu instid0(VALU_DEP_1) | instskip(SKIP_1) | instid1(VALU_DEP_1)
	v_lshl_add_u32 v100, v24, 3, v33 /*v289*/
	v_add_co_u32 v101, s14, v24, -1
	v_cndmask_b32_e64 v24, 0, 1, s14
	s_set_vgpr_msb 0                        ;  msbs: dst=0 src0=0 src1=0 src2=0
	s_delay_alu instid0(VALU_DEP_3) | instskip(NEXT) | instid1(VALU_DEP_2)
	v_lshl_add_u32 v103, v100, 2, v12
	v_cmp_ne_u32_e64 s14, 0, v24
	ds_load_b32 v24, v103 offset:32
	; wave barrier
	v_bitop3_b32 v102, s14, exec_lo, v101 bitop3:0x48
	v_add_nc_u32_e32 v101, 32, v103
	s_delay_alu instid0(VALU_DEP_2) | instskip(SKIP_1) | instid1(VALU_DEP_2)
	v_mbcnt_lo_u32_b32 v100, v102, 0
	v_cmp_ne_u32_e64 s15, 0, v102
	v_cmp_eq_u32_e64 s14, 0, v100
	s_and_b32 s15, s15, s14
	s_delay_alu instid0(SALU_CYCLE_1)
	s_and_saveexec_b32 s14, s15
	s_cbranch_execz .LBB1524_62
; %bb.61:                               ;   in Loop: Header=BB1524_56 Depth=1
	s_wait_dscnt 0x0
	v_bcnt_u32_b32 v102, v102, v24
	ds_store_b32 v101, v102
.LBB1524_62:                            ;   in Loop: Header=BB1524_56 Depth=1
	s_or_b32 exec_lo, exec_lo, s14
	v_alignbit_b32 v102, v15, v14, 24
	; wave barrier
	s_delay_alu instid0(VALU_DEP_1) | instskip(NEXT) | instid1(VALU_DEP_1)
	v_and_b32_e32 v102, 0xff, v102
	v_lshrrev_b32_e32 v102, v10, v102
	s_delay_alu instid0(VALU_DEP_1) | instskip(SKIP_1) | instid1(VALU_DEP_1)
	v_and_b32_e32 v102, v102, v132
	s_set_vgpr_msb 16                       ;  msbs: dst=0 src0=0 src1=0 src2=1
	v_lshl_add_u32 v103, v102, 3, v33 /*v289*/
	v_add_co_u32 v112, s14, v102, -1
	s_delay_alu instid0(VALU_DEP_1) | instskip(SKIP_1) | instid1(VALU_DEP_3)
	v_cndmask_b32_e64 v102, 0, 1, s14
	s_set_vgpr_msb 0                        ;  msbs: dst=0 src0=0 src1=0 src2=0
	v_lshl_add_u32 v114, v103, 2, v12
	s_delay_alu instid0(VALU_DEP_2) | instskip(SKIP_3) | instid1(VALU_DEP_2)
	v_cmp_ne_u32_e64 s14, 0, v102
	ds_load_b32 v102, v114 offset:32
	; wave barrier
	v_bitop3_b32 v113, s14, exec_lo, v112 bitop3:0x48
	v_add_nc_u32_e32 v112, 32, v114
	v_mbcnt_lo_u32_b32 v103, v113, 0
	v_cmp_ne_u32_e64 s15, 0, v113
	s_delay_alu instid0(VALU_DEP_2) | instskip(SKIP_1) | instid1(SALU_CYCLE_1)
	v_cmp_eq_u32_e64 s14, 0, v103
	s_and_b32 s15, s15, s14
	s_and_saveexec_b32 s14, s15
	s_cbranch_execz .LBB1524_64
; %bb.63:                               ;   in Loop: Header=BB1524_56 Depth=1
	s_wait_dscnt 0x0
	v_bcnt_u32_b32 v113, v113, v102
	ds_store_b32 v112, v113
.LBB1524_64:                            ;   in Loop: Header=BB1524_56 Depth=1
	s_or_b32 exec_lo, exec_lo, s14
	v_and_b32_e32 v113, 0xff, v15
	; wave barrier
	s_delay_alu instid0(VALU_DEP_1) | instskip(NEXT) | instid1(VALU_DEP_1)
	v_lshrrev_b32_e32 v113, v10, v113
	v_and_b32_e32 v113, v113, v132
	s_set_vgpr_msb 16                       ;  msbs: dst=0 src0=0 src1=0 src2=1
	s_delay_alu instid0(VALU_DEP_1) | instskip(SKIP_1) | instid1(VALU_DEP_1)
	v_lshl_add_u32 v114, v113, 3, v33 /*v289*/
	v_add_co_u32 v115, s14, v113, -1
	v_cndmask_b32_e64 v113, 0, 1, s14
	s_set_vgpr_msb 0                        ;  msbs: dst=0 src0=0 src1=0 src2=0
	s_delay_alu instid0(VALU_DEP_3) | instskip(NEXT) | instid1(VALU_DEP_2)
	v_lshl_add_u32 v117, v114, 2, v12
	v_cmp_ne_u32_e64 s14, 0, v113
	ds_load_b32 v113, v117 offset:32
	; wave barrier
	v_bitop3_b32 v116, s14, exec_lo, v115 bitop3:0x48
	v_add_nc_u32_e32 v115, 32, v117
	s_delay_alu instid0(VALU_DEP_2) | instskip(SKIP_1) | instid1(VALU_DEP_2)
	v_mbcnt_lo_u32_b32 v114, v116, 0
	v_cmp_ne_u32_e64 s15, 0, v116
	v_cmp_eq_u32_e64 s14, 0, v114
	s_and_b32 s15, s15, s14
	s_delay_alu instid0(SALU_CYCLE_1)
	s_and_saveexec_b32 s14, s15
	s_cbranch_execz .LBB1524_66
; %bb.65:                               ;   in Loop: Header=BB1524_56 Depth=1
	s_wait_dscnt 0x0
	v_bcnt_u32_b32 v116, v116, v113
	ds_store_b32 v115, v116
.LBB1524_66:                            ;   in Loop: Header=BB1524_56 Depth=1
	s_or_b32 exec_lo, exec_lo, s14
	v_bfe_u32 v116, v15, 8, 8
	; wave barrier
	s_delay_alu instid0(VALU_DEP_1) | instskip(NEXT) | instid1(VALU_DEP_1)
	v_lshrrev_b32_e32 v116, v10, v116
	v_and_b32_e32 v116, v116, v132
	s_set_vgpr_msb 16                       ;  msbs: dst=0 src0=0 src1=0 src2=1
	s_delay_alu instid0(VALU_DEP_1) | instskip(SKIP_1) | instid1(VALU_DEP_1)
	v_lshl_add_u32 v117, v116, 3, v33 /*v289*/
	v_add_co_u32 v118, s14, v116, -1
	v_cndmask_b32_e64 v116, 0, 1, s14
	s_set_vgpr_msb 0                        ;  msbs: dst=0 src0=0 src1=0 src2=0
	s_delay_alu instid0(VALU_DEP_3) | instskip(NEXT) | instid1(VALU_DEP_2)
	v_lshl_add_u32 v128, v117, 2, v12
	v_cmp_ne_u32_e64 s14, 0, v116
	ds_load_b32 v116, v128 offset:32
	; wave barrier
	v_bitop3_b32 v119, s14, exec_lo, v118 bitop3:0x48
	v_add_nc_u32_e32 v118, 32, v128
	s_delay_alu instid0(VALU_DEP_2) | instskip(SKIP_1) | instid1(VALU_DEP_2)
	v_mbcnt_lo_u32_b32 v117, v119, 0
	v_cmp_ne_u32_e64 s15, 0, v119
	v_cmp_eq_u32_e64 s14, 0, v117
	s_and_b32 s15, s15, s14
	s_delay_alu instid0(SALU_CYCLE_1)
	s_and_saveexec_b32 s14, s15
	s_cbranch_execz .LBB1524_68
; %bb.67:                               ;   in Loop: Header=BB1524_56 Depth=1
	s_wait_dscnt 0x0
	v_bcnt_u32_b32 v119, v119, v116
	ds_store_b32 v118, v119
.LBB1524_68:                            ;   in Loop: Header=BB1524_56 Depth=1
	s_or_b32 exec_lo, exec_lo, s14
	v_bfe_u32 v119, v15, 16, 8
	; wave barrier
	s_delay_alu instid0(VALU_DEP_1) | instskip(NEXT) | instid1(VALU_DEP_1)
	v_lshrrev_b32_e32 v119, v10, v119
	v_and_b32_e32 v119, v119, v132
	s_set_vgpr_msb 16                       ;  msbs: dst=0 src0=0 src1=0 src2=1
	s_delay_alu instid0(VALU_DEP_1) | instskip(SKIP_1) | instid1(VALU_DEP_1)
	v_lshl_add_u32 v128, v119, 3, v33 /*v289*/
	v_add_co_u32 v129, s14, v119, -1
	v_cndmask_b32_e64 v119, 0, 1, s14
	s_set_vgpr_msb 0                        ;  msbs: dst=0 src0=0 src1=0 src2=0
	s_delay_alu instid0(VALU_DEP_3) | instskip(NEXT) | instid1(VALU_DEP_2)
	v_lshl_add_u32 v131, v128, 2, v12
	v_cmp_ne_u32_e64 s14, 0, v119
	ds_load_b32 v119, v131 offset:32
	; wave barrier
	v_bitop3_b32 v130, s14, exec_lo, v129 bitop3:0x48
	v_add_nc_u32_e32 v129, 32, v131
	s_delay_alu instid0(VALU_DEP_2) | instskip(SKIP_1) | instid1(VALU_DEP_2)
	v_mbcnt_lo_u32_b32 v128, v130, 0
	v_cmp_ne_u32_e64 s15, 0, v130
	v_cmp_eq_u32_e64 s14, 0, v128
	s_and_b32 s15, s15, s14
	s_delay_alu instid0(SALU_CYCLE_1)
	s_and_saveexec_b32 s14, s15
	s_cbranch_execz .LBB1524_70
; %bb.69:                               ;   in Loop: Header=BB1524_56 Depth=1
	s_wait_dscnt 0x0
	v_bcnt_u32_b32 v130, v130, v119
	ds_store_b32 v129, v130
.LBB1524_70:                            ;   in Loop: Header=BB1524_56 Depth=1
	s_or_b32 exec_lo, exec_lo, s14
	s_set_vgpr_msb 64                       ;  msbs: dst=1 src0=0 src1=0 src2=0
	v_lshrrev_b32_e32 v56 /*v312*/, 24, v15
	; wave barrier
	s_set_vgpr_msb 4                        ;  msbs: dst=0 src0=0 src1=1 src2=0
	s_delay_alu instid0(VALU_DEP_1) | instskip(SKIP_1) | instid1(VALU_DEP_1)
	v_lshrrev_b32_e32 v130, v10, v56 /*v312*/
	s_set_vgpr_msb 16                       ;  msbs: dst=0 src0=0 src1=0 src2=1
	v_and_b32_e32 v130, v130, v132
	s_delay_alu instid0(VALU_DEP_1) | instskip(SKIP_1) | instid1(VALU_DEP_1)
	v_lshl_add_u32 v131, v130, 3, v33 /*v289*/
	v_add_co_u32 v133, s14, v130, -1
	v_cndmask_b32_e64 v130, 0, 1, s14
	s_set_vgpr_msb 0                        ;  msbs: dst=0 src0=0 src1=0 src2=0
	s_delay_alu instid0(VALU_DEP_3) | instskip(NEXT) | instid1(VALU_DEP_2)
	v_lshl_add_u32 v135, v131, 2, v12
	v_cmp_ne_u32_e64 s14, 0, v130
	ds_load_b32 v130, v135 offset:32
	; wave barrier
	v_bitop3_b32 v134, s14, exec_lo, v133 bitop3:0x48
	v_add_nc_u32_e32 v133, 32, v135
	s_delay_alu instid0(VALU_DEP_2) | instskip(SKIP_1) | instid1(VALU_DEP_2)
	v_mbcnt_lo_u32_b32 v131, v134, 0
	v_cmp_ne_u32_e64 s15, 0, v134
	v_cmp_eq_u32_e64 s14, 0, v131
	s_and_b32 s15, s15, s14
	s_delay_alu instid0(SALU_CYCLE_1)
	s_and_saveexec_b32 s14, s15
	s_cbranch_execz .LBB1524_72
; %bb.71:                               ;   in Loop: Header=BB1524_56 Depth=1
	s_wait_dscnt 0x0
	v_bcnt_u32_b32 v134, v134, v130
	ds_store_b32 v133, v134
.LBB1524_72:                            ;   in Loop: Header=BB1524_56 Depth=1
	s_or_b32 exec_lo, exec_lo, s14
	v_and_b32_e32 v134, 0xff, v16
	; wave barrier
	s_delay_alu instid0(VALU_DEP_1) | instskip(NEXT) | instid1(VALU_DEP_1)
	v_lshrrev_b32_e32 v134, v10, v134
	v_and_b32_e32 v134, v134, v132
	s_set_vgpr_msb 16                       ;  msbs: dst=0 src0=0 src1=0 src2=1
	s_delay_alu instid0(VALU_DEP_1) | instskip(SKIP_1) | instid1(VALU_DEP_1)
	v_lshl_add_u32 v135, v134, 3, v33 /*v289*/
	v_add_co_u32 v144, s14, v134, -1
	v_cndmask_b32_e64 v134, 0, 1, s14
	s_set_vgpr_msb 0                        ;  msbs: dst=0 src0=0 src1=0 src2=0
	s_delay_alu instid0(VALU_DEP_3) | instskip(NEXT) | instid1(VALU_DEP_2)
	v_lshl_add_u32 v146, v135, 2, v12
	v_cmp_ne_u32_e64 s14, 0, v134
	ds_load_b32 v134, v146 offset:32
	; wave barrier
	v_bitop3_b32 v145, s14, exec_lo, v144 bitop3:0x48
	v_add_nc_u32_e32 v144, 32, v146
	s_delay_alu instid0(VALU_DEP_2) | instskip(SKIP_1) | instid1(VALU_DEP_2)
	v_mbcnt_lo_u32_b32 v135, v145, 0
	v_cmp_ne_u32_e64 s15, 0, v145
	v_cmp_eq_u32_e64 s14, 0, v135
	s_and_b32 s15, s15, s14
	s_delay_alu instid0(SALU_CYCLE_1)
	s_and_saveexec_b32 s14, s15
	s_cbranch_execz .LBB1524_74
; %bb.73:                               ;   in Loop: Header=BB1524_56 Depth=1
	s_wait_dscnt 0x0
	v_bcnt_u32_b32 v145, v145, v134
	ds_store_b32 v144, v145
.LBB1524_74:                            ;   in Loop: Header=BB1524_56 Depth=1
	s_or_b32 exec_lo, exec_lo, s14
	v_bfe_u32 v145, v16, 8, 8
	; wave barrier
	s_delay_alu instid0(VALU_DEP_1) | instskip(NEXT) | instid1(VALU_DEP_1)
	v_lshrrev_b32_e32 v145, v10, v145
	v_and_b32_e32 v145, v145, v132
	s_set_vgpr_msb 16                       ;  msbs: dst=0 src0=0 src1=0 src2=1
	s_delay_alu instid0(VALU_DEP_1) | instskip(SKIP_1) | instid1(VALU_DEP_1)
	v_lshl_add_u32 v146, v145, 3, v33 /*v289*/
	v_add_co_u32 v147, s14, v145, -1
	v_cndmask_b32_e64 v145, 0, 1, s14
	s_set_vgpr_msb 0                        ;  msbs: dst=0 src0=0 src1=0 src2=0
	s_delay_alu instid0(VALU_DEP_3) | instskip(NEXT) | instid1(VALU_DEP_2)
	v_lshl_add_u32 v149, v146, 2, v12
	v_cmp_ne_u32_e64 s14, 0, v145
	ds_load_b32 v145, v149 offset:32
	; wave barrier
	v_bitop3_b32 v148, s14, exec_lo, v147 bitop3:0x48
	v_add_nc_u32_e32 v147, 32, v149
	s_delay_alu instid0(VALU_DEP_2) | instskip(SKIP_1) | instid1(VALU_DEP_2)
	v_mbcnt_lo_u32_b32 v146, v148, 0
	v_cmp_ne_u32_e64 s15, 0, v148
	v_cmp_eq_u32_e64 s14, 0, v146
	s_and_b32 s15, s15, s14
	s_delay_alu instid0(SALU_CYCLE_1)
	s_and_saveexec_b32 s14, s15
	s_cbranch_execz .LBB1524_76
; %bb.75:                               ;   in Loop: Header=BB1524_56 Depth=1
	s_wait_dscnt 0x0
	v_bcnt_u32_b32 v148, v148, v145
	ds_store_b32 v147, v148
.LBB1524_76:                            ;   in Loop: Header=BB1524_56 Depth=1
	s_or_b32 exec_lo, exec_lo, s14
	v_bfe_u32 v148, v16, 16, 8
	; wave barrier
	s_delay_alu instid0(VALU_DEP_1) | instskip(NEXT) | instid1(VALU_DEP_1)
	v_lshrrev_b32_e32 v148, v10, v148
	v_and_b32_e32 v148, v148, v132
	s_set_vgpr_msb 16                       ;  msbs: dst=0 src0=0 src1=0 src2=1
	s_delay_alu instid0(VALU_DEP_1) | instskip(SKIP_1) | instid1(VALU_DEP_1)
	v_lshl_add_u32 v149, v148, 3, v33 /*v289*/
	v_add_co_u32 v150, s14, v148, -1
	v_cndmask_b32_e64 v148, 0, 1, s14
	s_set_vgpr_msb 0                        ;  msbs: dst=0 src0=0 src1=0 src2=0
	s_delay_alu instid0(VALU_DEP_3) | instskip(NEXT) | instid1(VALU_DEP_2)
	v_lshl_add_u32 v160, v149, 2, v12
	v_cmp_ne_u32_e64 s14, 0, v148
	ds_load_b32 v148, v160 offset:32
	; wave barrier
	v_bitop3_b32 v151, s14, exec_lo, v150 bitop3:0x48
	v_add_nc_u32_e32 v150, 32, v160
	s_delay_alu instid0(VALU_DEP_2) | instskip(SKIP_1) | instid1(VALU_DEP_2)
	v_mbcnt_lo_u32_b32 v149, v151, 0
	v_cmp_ne_u32_e64 s15, 0, v151
	v_cmp_eq_u32_e64 s14, 0, v149
	s_and_b32 s15, s15, s14
	s_delay_alu instid0(SALU_CYCLE_1)
	s_and_saveexec_b32 s14, s15
	s_cbranch_execz .LBB1524_78
; %bb.77:                               ;   in Loop: Header=BB1524_56 Depth=1
	s_wait_dscnt 0x0
	v_bcnt_u32_b32 v151, v151, v148
	ds_store_b32 v150, v151
.LBB1524_78:                            ;   in Loop: Header=BB1524_56 Depth=1
	s_or_b32 exec_lo, exec_lo, s14
	v_alignbit_b32 v151, v17, v16, 24
	; wave barrier
	s_delay_alu instid0(VALU_DEP_1) | instskip(NEXT) | instid1(VALU_DEP_1)
	v_and_b32_e32 v151, 0xff, v151
	v_lshrrev_b32_e32 v151, v10, v151
	s_delay_alu instid0(VALU_DEP_1) | instskip(SKIP_1) | instid1(VALU_DEP_1)
	v_and_b32_e32 v151, v151, v132
	s_set_vgpr_msb 16                       ;  msbs: dst=0 src0=0 src1=0 src2=1
	v_lshl_add_u32 v160, v151, 3, v33 /*v289*/
	v_add_co_u32 v161, s14, v151, -1
	s_delay_alu instid0(VALU_DEP_1) | instskip(SKIP_1) | instid1(VALU_DEP_3)
	v_cndmask_b32_e64 v151, 0, 1, s14
	s_set_vgpr_msb 0                        ;  msbs: dst=0 src0=0 src1=0 src2=0
	v_lshl_add_u32 v163, v160, 2, v12
	s_delay_alu instid0(VALU_DEP_2) | instskip(SKIP_3) | instid1(VALU_DEP_2)
	v_cmp_ne_u32_e64 s14, 0, v151
	ds_load_b32 v151, v163 offset:32
	; wave barrier
	v_bitop3_b32 v162, s14, exec_lo, v161 bitop3:0x48
	v_add_nc_u32_e32 v161, 32, v163
	v_mbcnt_lo_u32_b32 v160, v162, 0
	v_cmp_ne_u32_e64 s15, 0, v162
	s_delay_alu instid0(VALU_DEP_2) | instskip(SKIP_1) | instid1(SALU_CYCLE_1)
	v_cmp_eq_u32_e64 s14, 0, v160
	s_and_b32 s15, s15, s14
	s_and_saveexec_b32 s14, s15
	s_cbranch_execz .LBB1524_80
; %bb.79:                               ;   in Loop: Header=BB1524_56 Depth=1
	s_wait_dscnt 0x0
	v_bcnt_u32_b32 v162, v162, v151
	ds_store_b32 v161, v162
.LBB1524_80:                            ;   in Loop: Header=BB1524_56 Depth=1
	s_or_b32 exec_lo, exec_lo, s14
	v_and_b32_e32 v162, 0xff, v17
	; wave barrier
	s_delay_alu instid0(VALU_DEP_1) | instskip(NEXT) | instid1(VALU_DEP_1)
	v_lshrrev_b32_e32 v162, v10, v162
	v_and_b32_e32 v162, v162, v132
	s_set_vgpr_msb 16                       ;  msbs: dst=0 src0=0 src1=0 src2=1
	s_delay_alu instid0(VALU_DEP_1) | instskip(SKIP_1) | instid1(VALU_DEP_1)
	v_lshl_add_u32 v163, v162, 3, v33 /*v289*/
	v_add_co_u32 v164, s14, v162, -1
	v_cndmask_b32_e64 v162, 0, 1, s14
	s_set_vgpr_msb 0                        ;  msbs: dst=0 src0=0 src1=0 src2=0
	s_delay_alu instid0(VALU_DEP_3) | instskip(NEXT) | instid1(VALU_DEP_2)
	v_lshl_add_u32 v166, v163, 2, v12
	v_cmp_ne_u32_e64 s14, 0, v162
	ds_load_b32 v162, v166 offset:32
	; wave barrier
	v_bitop3_b32 v165, s14, exec_lo, v164 bitop3:0x48
	v_add_nc_u32_e32 v164, 32, v166
	s_delay_alu instid0(VALU_DEP_2) | instskip(SKIP_1) | instid1(VALU_DEP_2)
	v_mbcnt_lo_u32_b32 v163, v165, 0
	v_cmp_ne_u32_e64 s15, 0, v165
	v_cmp_eq_u32_e64 s14, 0, v163
	s_and_b32 s15, s15, s14
	s_delay_alu instid0(SALU_CYCLE_1)
	s_and_saveexec_b32 s14, s15
	s_cbranch_execz .LBB1524_82
; %bb.81:                               ;   in Loop: Header=BB1524_56 Depth=1
	s_wait_dscnt 0x0
	v_bcnt_u32_b32 v165, v165, v162
	ds_store_b32 v164, v165
.LBB1524_82:                            ;   in Loop: Header=BB1524_56 Depth=1
	s_or_b32 exec_lo, exec_lo, s14
	v_bfe_u32 v165, v17, 8, 8
	; wave barrier
	s_delay_alu instid0(VALU_DEP_1) | instskip(NEXT) | instid1(VALU_DEP_1)
	v_lshrrev_b32_e32 v165, v10, v165
	v_and_b32_e32 v165, v165, v132
	s_set_vgpr_msb 16                       ;  msbs: dst=0 src0=0 src1=0 src2=1
	s_delay_alu instid0(VALU_DEP_1) | instskip(SKIP_1) | instid1(VALU_DEP_1)
	v_lshl_add_u32 v166, v165, 3, v33 /*v289*/
	v_add_co_u32 v167, s14, v165, -1
	v_cndmask_b32_e64 v165, 0, 1, s14
	s_set_vgpr_msb 0                        ;  msbs: dst=0 src0=0 src1=0 src2=0
	s_delay_alu instid0(VALU_DEP_3) | instskip(NEXT) | instid1(VALU_DEP_2)
	v_lshl_add_u32 v176, v166, 2, v12
	v_cmp_ne_u32_e64 s14, 0, v165
	ds_load_b32 v165, v176 offset:32
	v_add_nc_u32_e32 v178, 32, v176
	v_bitop3_b32 v166, s14, exec_lo, v167 bitop3:0x48
	; wave barrier
	s_delay_alu instid0(VALU_DEP_1) | instskip(SKIP_1) | instid1(VALU_DEP_2)
	v_mbcnt_lo_u32_b32 v210, v166, 0
	v_cmp_ne_u32_e64 s15, 0, v166
	v_cmp_eq_u32_e64 s14, 0, v210
	s_and_b32 s15, s15, s14
	s_delay_alu instid0(SALU_CYCLE_1)
	s_and_saveexec_b32 s14, s15
	s_cbranch_execz .LBB1524_84
; %bb.83:                               ;   in Loop: Header=BB1524_56 Depth=1
	s_wait_dscnt 0x0
	v_bcnt_u32_b32 v166, v166, v165
	ds_store_b32 v178, v166
.LBB1524_84:                            ;   in Loop: Header=BB1524_56 Depth=1
	s_or_b32 exec_lo, exec_lo, s14
	v_bfe_u32 v166, v17, 16, 8
	; wave barrier
	s_delay_alu instid0(VALU_DEP_1) | instskip(NEXT) | instid1(VALU_DEP_1)
	v_lshrrev_b32_e32 v166, v10, v166
	v_and_b32_e32 v166, v166, v132
	s_set_vgpr_msb 16                       ;  msbs: dst=0 src0=0 src1=0 src2=1
	s_delay_alu instid0(VALU_DEP_1) | instskip(SKIP_1) | instid1(VALU_DEP_1)
	v_lshl_add_u32 v167, v166, 3, v33 /*v289*/
	v_add_co_u32 v166, s14, v166, -1
	v_cndmask_b32_e64 v176, 0, 1, s14
	s_set_vgpr_msb 0                        ;  msbs: dst=0 src0=0 src1=0 src2=0
	s_delay_alu instid0(VALU_DEP_3) | instskip(NEXT) | instid1(VALU_DEP_2)
	v_lshl_add_u32 v167, v167, 2, v12
	v_cmp_ne_u32_e64 s14, 0, v176
	ds_load_b32 v228, v167 offset:32
	v_add_nc_u32_e32 v180, 32, v167
	v_bitop3_b32 v166, s14, exec_lo, v166 bitop3:0x48
	; wave barrier
	s_delay_alu instid0(VALU_DEP_1) | instskip(SKIP_1) | instid1(VALU_DEP_2)
	v_mbcnt_lo_u32_b32 v230, v166, 0
	v_cmp_ne_u32_e64 s15, 0, v166
	v_cmp_eq_u32_e64 s14, 0, v230
	s_and_b32 s15, s15, s14
	s_delay_alu instid0(SALU_CYCLE_1)
	s_and_saveexec_b32 s14, s15
	s_cbranch_execz .LBB1524_86
; %bb.85:                               ;   in Loop: Header=BB1524_56 Depth=1
	s_wait_dscnt 0x0
	v_bcnt_u32_b32 v166, v166, v228
	ds_store_b32 v180, v166
.LBB1524_86:                            ;   in Loop: Header=BB1524_56 Depth=1
	s_or_b32 exec_lo, exec_lo, s14
	s_set_vgpr_msb 64                       ;  msbs: dst=1 src0=0 src1=0 src2=0
	v_lshrrev_b32_e32 v57 /*v313*/, 24, v17
	; wave barrier
	s_set_vgpr_msb 4                        ;  msbs: dst=0 src0=0 src1=1 src2=0
	s_delay_alu instid0(VALU_DEP_1) | instskip(SKIP_1) | instid1(VALU_DEP_1)
	v_lshrrev_b32_e32 v166, v10, v57 /*v313*/
	s_set_vgpr_msb 16                       ;  msbs: dst=0 src0=0 src1=0 src2=1
	v_and_b32_e32 v166, v166, v132
	s_delay_alu instid0(VALU_DEP_1) | instskip(SKIP_1) | instid1(VALU_DEP_1)
	v_lshl_add_u32 v167, v166, 3, v33 /*v289*/
	s_set_vgpr_msb 0                        ;  msbs: dst=0 src0=0 src1=0 src2=0
	v_lshl_add_u32 v167, v167, 2, v12
	s_delay_alu instid0(VALU_DEP_1) | instskip(SKIP_1) | instid1(VALU_DEP_1)
	v_add_nc_u32_e32 v182, 32, v167
	v_add_co_u32 v166, s14, v166, -1
	v_cndmask_b32_e64 v176, 0, 1, s14
	ds_load_b32 v240, v167 offset:32
	; wave barrier
	v_cmp_ne_u32_e64 s14, 0, v176
	s_delay_alu instid0(VALU_DEP_1) | instskip(NEXT) | instid1(VALU_DEP_1)
	v_bitop3_b32 v166, s14, exec_lo, v166 bitop3:0x48
	v_mbcnt_lo_u32_b32 v242, v166, 0
	v_cmp_ne_u32_e64 s15, 0, v166
	s_delay_alu instid0(VALU_DEP_2) | instskip(SKIP_1) | instid1(SALU_CYCLE_1)
	v_cmp_eq_u32_e64 s14, 0, v242
	s_and_b32 s15, s15, s14
	s_and_saveexec_b32 s14, s15
	s_cbranch_execz .LBB1524_88
; %bb.87:                               ;   in Loop: Header=BB1524_56 Depth=1
	s_wait_dscnt 0x0
	v_bcnt_u32_b32 v166, v166, v240
	ds_store_b32 v182, v166
.LBB1524_88:                            ;   in Loop: Header=BB1524_56 Depth=1
	s_or_b32 exec_lo, exec_lo, s14
	v_and_b32_e32 v166, 0xff, v18
	; wave barrier
	s_delay_alu instid0(VALU_DEP_1) | instskip(NEXT) | instid1(VALU_DEP_1)
	v_lshrrev_b32_e32 v166, v10, v166
	v_and_b32_e32 v132, v166, v132
	s_set_vgpr_msb 16                       ;  msbs: dst=0 src0=0 src1=0 src2=1
	s_delay_alu instid0(VALU_DEP_1) | instskip(SKIP_1) | instid1(VALU_DEP_1)
	v_lshl_add_u32 v166, v132, 3, v33 /*v289*/
	v_add_co_u32 v167, s14, v132, -1
	v_cndmask_b32_e64 v132, 0, 1, s14
	s_set_vgpr_msb 0                        ;  msbs: dst=0 src0=0 src1=0 src2=0
	s_delay_alu instid0(VALU_DEP_3) | instskip(NEXT) | instid1(VALU_DEP_2)
	v_lshl_add_u32 v176, v166, 2, v12
	v_cmp_ne_u32_e64 s14, 0, v132
	ds_load_b32 v132, v176 offset:32
	v_add_nc_u32_e32 v192, 32, v176
	v_bitop3_b32 v166, s14, exec_lo, v167 bitop3:0x48
	; wave barrier
	s_delay_alu instid0(VALU_DEP_1) | instskip(SKIP_1) | instid1(VALU_DEP_2)
	v_mbcnt_lo_u32_b32 v243, v166, 0
	v_cmp_ne_u32_e64 s15, 0, v166
	v_cmp_eq_u32_e64 s14, 0, v243
	s_and_b32 s15, s15, s14
	s_delay_alu instid0(SALU_CYCLE_1)
	s_and_saveexec_b32 s14, s15
	s_cbranch_execz .LBB1524_90
; %bb.89:                               ;   in Loop: Header=BB1524_56 Depth=1
	s_wait_dscnt 0x0
	v_bcnt_u32_b32 v166, v166, v132
	ds_store_b32 v192, v166
.LBB1524_90:                            ;   in Loop: Header=BB1524_56 Depth=1
	s_or_b32 exec_lo, exec_lo, s14
	; wave barrier
	s_wait_dscnt 0x0
	s_barrier_signal -1
	s_barrier_wait -1
	ds_load_b32 v167, v19
	ds_load_b32 v166, v25
	;; [unrolled: 1-line block ×4, first 2 shown]
	s_set_vgpr_msb 1                        ;  msbs: dst=0 src0=1 src1=0 src2=0
	ds_load_b32 v198, v29 /*v285*/
	ds_load_b32 v196, v30 /*v286*/
	;; [unrolled: 1-line block ×4, first 2 shown]
	s_wait_dscnt 0x6
	s_set_vgpr_msb 0                        ;  msbs: dst=0 src0=0 src1=0 src2=0
	v_add_nc_u32_e32 v177, v166, v167
	s_wait_dscnt 0x4
	s_delay_alu instid0(VALU_DEP_1) | instskip(SKIP_1) | instid1(VALU_DEP_1)
	v_add3_u32 v177, v177, v179, v183
	s_wait_dscnt 0x2
	v_add3_u32 v177, v177, v198, v196
	s_wait_dscnt 0x0
	s_delay_alu instid0(VALU_DEP_1) | instskip(NEXT) | instid1(VALU_DEP_1)
	v_add3_u32 v176, v177, v194, v176
	v_mov_b32_dpp v177, v176 row_shr:1 row_mask:0xf bank_mask:0xf
	s_delay_alu instid0(VALU_DEP_1) | instskip(NEXT) | instid1(VALU_DEP_1)
	v_cndmask_b32_e64 v177, v177, 0, vcc_lo
	v_add_nc_u32_e32 v176, v177, v176
	s_delay_alu instid0(VALU_DEP_1) | instskip(NEXT) | instid1(VALU_DEP_1)
	v_mov_b32_dpp v177, v176 row_shr:2 row_mask:0xf bank_mask:0xf
	v_cndmask_b32_e64 v177, 0, v177, s0
	s_delay_alu instid0(VALU_DEP_1) | instskip(NEXT) | instid1(VALU_DEP_1)
	v_add_nc_u32_e32 v176, v176, v177
	v_mov_b32_dpp v177, v176 row_shr:4 row_mask:0xf bank_mask:0xf
	s_delay_alu instid0(VALU_DEP_1) | instskip(NEXT) | instid1(VALU_DEP_1)
	v_cndmask_b32_e64 v177, 0, v177, s1
	v_add_nc_u32_e32 v176, v176, v177
	s_delay_alu instid0(VALU_DEP_1) | instskip(NEXT) | instid1(VALU_DEP_1)
	v_mov_b32_dpp v177, v176 row_shr:8 row_mask:0xf bank_mask:0xf
	v_cndmask_b32_e64 v177, 0, v177, s2
	s_delay_alu instid0(VALU_DEP_1) | instskip(SKIP_3) | instid1(VALU_DEP_1)
	v_add_nc_u32_e32 v176, v176, v177
	ds_swizzle_b32 v177, v176 offset:swizzle(BROADCAST,32,15)
	s_wait_dscnt 0x0
	v_cndmask_b32_e64 v177, v177, 0, s4
	v_add_nc_u32_e32 v176, v176, v177
	s_and_saveexec_b32 s14, s5
; %bb.91:                               ;   in Loop: Header=BB1524_56 Depth=1
	ds_store_b32 v5, v176
; %bb.92:                               ;   in Loop: Header=BB1524_56 Depth=1
	s_or_b32 exec_lo, exec_lo, s14
	s_wait_dscnt 0x0
	s_barrier_signal -1
	s_barrier_wait -1
	s_and_saveexec_b32 s14, s6
	s_cbranch_execz .LBB1524_94
; %bb.93:                               ;   in Loop: Header=BB1524_56 Depth=1
	ds_load_b32 v177, v29
	s_wait_dscnt 0x0
	v_mov_b32_dpp v181, v177 row_shr:1 row_mask:0xf bank_mask:0xf
	s_delay_alu instid0(VALU_DEP_1) | instskip(NEXT) | instid1(VALU_DEP_1)
	v_cndmask_b32_e64 v181, v181, 0, s11
	v_add_nc_u32_e32 v177, v181, v177
	s_delay_alu instid0(VALU_DEP_1) | instskip(NEXT) | instid1(VALU_DEP_1)
	v_mov_b32_dpp v181, v177 row_shr:2 row_mask:0xf bank_mask:0xf
	v_cndmask_b32_e64 v181, 0, v181, s12
	s_delay_alu instid0(VALU_DEP_1) | instskip(NEXT) | instid1(VALU_DEP_1)
	v_add_nc_u32_e32 v177, v177, v181
	v_mov_b32_dpp v181, v177 row_shr:4 row_mask:0xf bank_mask:0xf
	s_delay_alu instid0(VALU_DEP_1) | instskip(NEXT) | instid1(VALU_DEP_1)
	v_cndmask_b32_e64 v181, 0, v181, s13
	v_add_nc_u32_e32 v177, v177, v181
	ds_store_b32 v29, v177
.LBB1524_94:                            ;   in Loop: Header=BB1524_56 Depth=1
	s_or_b32 exec_lo, exec_lo, s14
	v_mov_b32_e32 v177, 0
	s_wait_dscnt 0x0
	s_barrier_signal -1
	s_barrier_wait -1
	s_and_saveexec_b32 s14, s7
; %bb.95:                               ;   in Loop: Header=BB1524_56 Depth=1
	v_add_nc_u32_e32 v177, -4, v5
	ds_load_b32 v177, v177
; %bb.96:                               ;   in Loop: Header=BB1524_56 Depth=1
	s_or_b32 exec_lo, exec_lo, s14
	s_wait_dscnt 0x0
	v_add_nc_u32_e32 v176, v177, v176
	v_dual_mov_b32 v193, v1 :: v_dual_mov_b32 v197, v1
	v_dual_mov_b32 v209, v1 :: v_dual_mov_b32 v215, v1
	s_set_vgpr_msb 1                        ;  msbs: dst=0 src0=1 src1=0 src2=0
	ds_bpermute_b32 v176, v34 /*v290*/, v176
	s_set_vgpr_msb 0                        ;  msbs: dst=0 src0=0 src1=0 src2=0
	v_dual_mov_b32 v199, v1 :: v_dual_mov_b32 v213, v1
	v_dual_mov_b32 v225, v1 :: v_dual_mov_b32 v227, v1
	;; [unrolled: 1-line block ×3, first 2 shown]
	s_set_vgpr_msb 64                       ;  msbs: dst=1 src0=0 src1=0 src2=0
	v_dual_lshrrev_b32 v59 /*v315*/, 8, v14 :: v_dual_lshrrev_b32 v60 /*v316*/, 16, v14
	v_dual_lshrrev_b32 v61 /*v317*/, 8, v15 :: v_dual_lshrrev_b32 v62 /*v318*/, 16, v15
	v_lshrrev_b32_e32 v58 /*v314*/, 16, v16
	s_mov_b32 s21, -1
	s_set_vgpr_msb 0                        ;  msbs: dst=0 src0=0 src1=0 src2=0
	v_dual_mov_b32 v181, v1 :: v_dual_mov_b32 v195, v1
	v_dual_mov_b32 v211, v1 :: v_dual_mov_b32 v229, v1
	s_wait_dscnt 0x0
	v_cndmask_b32_e64 v176, v176, v177, s3
	s_delay_alu instid0(VALU_DEP_1) | instskip(SKIP_1) | instid1(VALU_DEP_2)
	v_cndmask_b32_e64 v208, v176, 0, s10
	v_lshrrev_b64 v[176:177], 24, v[14:15]
	v_dual_lshrrev_b32 v177, 8, v16 :: v_dual_add_nc_u32 v212, v208, v167
	s_delay_alu instid0(VALU_DEP_1)
	v_add_nc_u32_e32 v214, v212, v166
	v_lshrrev_b64 v[166:167], 24, v[16:17]
	v_dual_lshrrev_b32 v167, 8, v17 :: v_dual_add_nc_u32 v10, 8, v10
	ds_store_b32 v19, v208
	ds_store_b32 v25, v212
	;; [unrolled: 1-line block ×3, first 2 shown]
	v_dual_mov_b32 v179, v1 :: v_dual_add_nc_u32 v224, v214, v179
	v_cmp_lt_u32_e64 s14, v10, v11
	s_delay_alu instid0(VALU_DEP_2) | instskip(NEXT) | instid1(VALU_DEP_1)
	v_dual_mov_b32 v183, v1 :: v_dual_add_nc_u32 v226, v224, v183
	v_add_nc_u32_e32 v198, v226, v198
	s_delay_alu instid0(VALU_DEP_1) | instskip(NEXT) | instid1(VALU_DEP_1)
	v_add_nc_u32_e32 v196, v198, v196
	v_add_nc_u32_e32 v194, v196, v194
	ds_store_b32 v39, v224
	s_set_vgpr_msb 1                        ;  msbs: dst=0 src0=1 src1=0 src2=0
	ds_store_b32 v29 /*v285*/, v226
	ds_store_b32 v30 /*v286*/, v198
	;; [unrolled: 1-line block ×4, first 2 shown]
	s_wait_dscnt 0x0
	s_barrier_signal -1
	s_barrier_wait -1
	s_set_vgpr_msb 0                        ;  msbs: dst=0 src0=0 src1=0 src2=0
	ds_load_b32 v20, v20
	ds_load_b32 v23, v23
	;; [unrolled: 1-line block ×17, first 2 shown]
	s_wait_dscnt 0x0
	v_add_nc_u32_e32 v0, v20, v0
	v_add3_u32 v192, v22, v21, v23
	v_add3_u32 v196, v100, v24, v101
	;; [unrolled: 1-line block ×16, first 2 shown]
	v_add_nc_u64_e32 v[244:245], v[12:13], v[192:193]
	v_add_nc_u64_e32 v[246:247], v[12:13], v[196:197]
	s_set_vgpr_msb 64                       ;  msbs: dst=1 src0=0 src1=0 src2=0
	v_add_nc_u64_e32 v[0:1] /*v[256:257]*/, v[12:13], v[178:179]
	v_add_nc_u64_e32 v[2:3] /*v[258:259]*/, v[12:13], v[180:181]
	;; [unrolled: 1-line block ×14, first 2 shown]
	s_set_vgpr_msb 0                        ;  msbs: dst=0 src0=0 src1=0 src2=0
	v_lshrrev_b32_e32 v179, 16, v17
	v_add_nc_u64_e32 v[242:243], v[12:13], v[0:1]
                                        ; implicit-def: $vgpr20_vgpr21_vgpr22_vgpr23_vgpr24
                                        ; implicit-def: $vgpr100_vgpr101
                                        ; implicit-def: $vgpr102_vgpr103
                                        ; implicit-def: $vgpr112_vgpr113
                                        ; implicit-def: $vgpr114_vgpr115
                                        ; implicit-def: $vgpr116_vgpr117
                                        ; implicit-def: $vgpr118_vgpr119
                                        ; implicit-def: $vgpr128_vgpr129
                                        ; implicit-def: $vgpr130_vgpr131
                                        ; implicit-def: $vgpr132_vgpr133
                                        ; implicit-def: $vgpr134_vgpr135
                                        ; implicit-def: $vgpr144_vgpr145
                                        ; implicit-def: $vgpr146_vgpr147
                                        ; implicit-def: $vgpr148_vgpr149
                                        ; implicit-def: $vgpr150_vgpr151
                                        ; implicit-def: $vgpr160_vgpr161
                                        ; implicit-def: $vgpr162_vgpr163
                                        ; implicit-def: $vgpr164_vgpr165
	s_and_saveexec_b32 s15, s14
	s_cbranch_execz .LBB1524_55
; %bb.97:                               ;   in Loop: Header=BB1524_56 Depth=1
	v_add_nc_u32_e32 v20, 0x180, v4
	s_barrier_signal -1
	s_barrier_wait -1
	ds_store_b8 v242, v14
	s_set_vgpr_msb 4                        ;  msbs: dst=0 src0=0 src1=1 src2=0
	ds_store_b8 v244, v59 /*v315*/
	ds_store_b8 v246, v60 /*v316*/
	s_set_vgpr_msb 1                        ;  msbs: dst=0 src0=1 src1=0 src2=0
	ds_store_b8 v0 /*v256*/, v176
	ds_store_b8 v2 /*v258*/, v15
	s_set_vgpr_msb 5                        ;  msbs: dst=0 src0=1 src1=1 src2=0
	ds_store_b8 v4 /*v260*/, v61 /*v317*/
	ds_store_b8 v6 /*v262*/, v62 /*v318*/
	;; [unrolled: 1-line block ×3, first 2 shown]
	s_set_vgpr_msb 1                        ;  msbs: dst=0 src0=1 src1=0 src2=0
	ds_store_b8 v10 /*v266*/, v16
	ds_store_b8 v12 /*v268*/, v177
	s_set_vgpr_msb 5                        ;  msbs: dst=0 src0=1 src1=1 src2=0
	ds_store_b8 v14 /*v270*/, v58 /*v314*/
	s_set_vgpr_msb 1                        ;  msbs: dst=0 src0=1 src1=0 src2=0
	ds_store_b8 v16 /*v272*/, v166
	ds_store_b8 v18 /*v274*/, v17
	ds_store_b8 v20 /*v276*/, v167
	ds_store_b8 v22 /*v278*/, v179
	s_set_vgpr_msb 5                        ;  msbs: dst=0 src0=1 src1=1 src2=0
	ds_store_b8 v24 /*v280*/, v57 /*v313*/
	s_set_vgpr_msb 1                        ;  msbs: dst=0 src0=1 src1=0 src2=0
	ds_store_b8 v26 /*v282*/, v18
	s_wait_dscnt 0x0
	s_barrier_signal -1
	s_barrier_wait -1
	ds_load_u8 v24, v38 /*v294*/
	ds_load_u8 v144, v35 /*v291*/
	s_set_vgpr_msb 0                        ;  msbs: dst=0 src0=0 src1=0 src2=0
	ds_load_u8 v145, v20
	s_set_vgpr_msb 1                        ;  msbs: dst=0 src0=1 src1=0 src2=0
	ds_load_u8 v146, v37 /*v293*/
	v_add_nc_u32_e32 v20, 0x120, v4
	v_add_nc_u32_e32 v21, 0x100, v4
	;; [unrolled: 1-line block ×4, first 2 shown]
	ds_load_u8 v147, v36 /*v292*/
	s_set_vgpr_msb 0                        ;  msbs: dst=0 src0=0 src1=0 src2=0
	ds_load_u8 v148, v20
	v_add_nc_u32_e32 v20, 0xa0, v4
	ds_load_u8 v149, v21
	ds_load_u8 v150, v22
	;; [unrolled: 1-line block ×3, first 2 shown]
	v_add_nc_u32_e32 v21, 0x80, v4
	v_add_nc_u32_e32 v22, 0xc0, v4
	;; [unrolled: 1-line block ×3, first 2 shown]
	ds_load_u8 v160, v20
	v_add_nc_u32_e32 v20, 0xe0, v4
	ds_load_u8 v161, v21
	v_add_nc_u32_e32 v21, 0x60, v4
	ds_load_u8 v162, v20
	ds_load_u8 v163, v22
	ds_load_u8 v164, v23
	ds_load_u8 v165, v4
	ds_load_u8 v181, v21
	v_mad_nc_u64_u32 v[20:21], v0, 7, v[242:243]
	v_mad_nc_u64_u32 v[22:23], v192, 7, v[244:245]
	;; [unrolled: 1-line block ×3, first 2 shown]
	s_set_vgpr_msb 16                       ;  msbs: dst=0 src0=0 src1=0 src2=1
	v_mad_nc_u64_u32 v[102:103], v178, 7, v[0:1] /*v[256:257]*/
	v_mad_nc_u64_u32 v[112:113], v180, 7, v[2:3] /*v[258:259]*/
	v_add_nc_u32_e32 v21, 64, v4
	v_mad_nc_u64_u32 v[114:115], v194, 7, v[4:5] /*v[260:261]*/
	v_mad_nc_u64_u32 v[116:117], v226, 7, v[18:19] /*v[274:275]*/
	;; [unrolled: 1-line block ×4, first 2 shown]
	ds_load_u8 v183, v21
	s_wait_dscnt 0x0
	s_barrier_signal -1
	s_barrier_wait -1
	ds_store_b64 v20, v[98:99]
	ds_store_b64 v22, v[96:97]
	;; [unrolled: 1-line block ×5, first 2 shown]
	v_mad_nc_u64_u32 v[20:21], v208, 7, v[6:7] /*v[262:263]*/
	v_mad_nc_u64_u32 v[22:23], v214, 7, v[8:9] /*v[264:265]*/
	;; [unrolled: 1-line block ×5, first 2 shown]
	ds_store_b64 v114, v[54:55]
	v_mad_nc_u64_u32 v[114:115], v224, 7, v[16:17] /*v[272:273]*/
	v_mad_nc_u64_u32 v[130:131], v230, 7, v[24:25] /*v[280:281]*/
	v_perm_b32 v193, v151, v150, 0xc0c0004
	v_perm_b32 v195, v161, v160, 0xc0c0004
	;; [unrolled: 1-line block ×3, first 2 shown]
	ds_store_b64 v20, v[52:53]
	v_mad_nc_u64_u32 v[20:21], v240, 7, v[26:27] /*v[282:283]*/
	ds_store_b64 v22, v[70:71]
	ds_store_b64 v100, v[50:51]
	;; [unrolled: 1-line block ×10, first 2 shown]
	s_wait_dscnt 0x0
	s_barrier_signal -1
	s_barrier_wait -1
	ds_load_b64 v[100:101], v28
	s_set_vgpr_msb 1                        ;  msbs: dst=0 src0=1 src1=0 src2=0
	ds_load_b64 v[102:103], v39 /*v295*/
	ds_load_b64 v[112:113], v40 /*v296*/
	;; [unrolled: 1-line block ×9, first 2 shown]
	s_set_vgpr_msb 0                        ;  msbs: dst=0 src0=0 src1=0 src2=0
	v_perm_b32 v20, v145, v144, 0xc0c0004
	s_set_vgpr_msb 1                        ;  msbs: dst=0 src0=1 src1=0 src2=0
	ds_load_b64 v[144:145], v48 /*v304*/
	s_set_vgpr_msb 0                        ;  msbs: dst=0 src0=0 src1=0 src2=0
	v_perm_b32 v21, v147, v146, 0xc0c0004
	v_perm_b32 v22, v149, v148, 0xc0c0004
	s_set_vgpr_msb 1                        ;  msbs: dst=0 src0=1 src1=0 src2=0
	ds_load_b64 v[146:147], v49 /*v305*/
	ds_load_b64 v[148:149], v50 /*v306*/
	s_set_vgpr_msb 0                        ;  msbs: dst=0 src0=0 src1=0 src2=0
	v_perm_b32 v199, v165, v164, 0xc0c0004
	s_set_vgpr_msb 1                        ;  msbs: dst=0 src0=1 src1=0 src2=0
	ds_load_b64 v[150:151], v51 /*v307*/
	ds_load_b64 v[160:161], v52 /*v308*/
	;; [unrolled: 1-line block ×4, first 2 shown]
	s_set_vgpr_msb 0                        ;  msbs: dst=0 src0=0 src1=0 src2=0
	v_lshl_or_b32 v23, v21, 16, v20
	v_perm_b32 v20, v183, v181, 0xc0c0004
	v_lshl_or_b32 v22, v193, 16, v22
	v_lshl_or_b32 v21, v197, 16, v195
	s_set_vgpr_msb 0x44                     ;  msbs: dst=1 src0=0 src1=1 src2=0
	v_add_nc_u32_e32 v55 /*v311*/, -8, v55 /*v311*/
	s_xor_b32 s21, exec_lo, -1
	s_set_vgpr_msb 0                        ;  msbs: dst=0 src0=0 src1=0 src2=0
	v_lshl_or_b32 v20, v20, 16, v199
	s_wait_dscnt 0x0
	s_barrier_signal -1
	s_barrier_wait -1
	s_branch .LBB1524_55
.LBB1524_98:
	s_or_b32 exec_lo, exec_lo, s17
	v_dual_add_nc_u32 v1, v12, v26 :: v_dual_mov_b32 v39, 0
	v_lshl_add_u32 v0, v0, 3, v12
	v_lshl_add_u32 v10, v192, 3, v12
	;; [unrolled: 1-line block ×3, first 2 shown]
	s_barrier_signal -1
	s_barrier_wait -1
	ds_store_b8 v242, v14
	s_set_vgpr_msb 4                        ;  msbs: dst=0 src0=0 src1=1 src2=0
	ds_store_b8 v244, v59 /*v315*/
	ds_store_b8 v246, v60 /*v316*/
	s_set_vgpr_msb 1                        ;  msbs: dst=0 src0=1 src1=0 src2=0
	ds_store_b8 v0 /*v256*/, v176
	ds_store_b8 v2 /*v258*/, v15
	s_set_vgpr_msb 5                        ;  msbs: dst=0 src0=1 src1=1 src2=0
	ds_store_b8 v4 /*v260*/, v61 /*v317*/
	ds_store_b8 v6 /*v262*/, v62 /*v318*/
	;; [unrolled: 1-line block ×3, first 2 shown]
	s_set_vgpr_msb 1                        ;  msbs: dst=0 src0=1 src1=0 src2=0
	ds_store_b8 v10 /*v266*/, v16
	ds_store_b8 v12 /*v268*/, v177
	s_set_vgpr_msb 5                        ;  msbs: dst=0 src0=1 src1=1 src2=0
	ds_store_b8 v14 /*v270*/, v58 /*v314*/
	s_set_vgpr_msb 1                        ;  msbs: dst=0 src0=1 src1=0 src2=0
	ds_store_b8 v16 /*v272*/, v166
	ds_store_b8 v18 /*v274*/, v17
	;; [unrolled: 1-line block ×4, first 2 shown]
	s_set_vgpr_msb 5                        ;  msbs: dst=0 src0=1 src1=1 src2=0
	ds_store_b8 v24 /*v280*/, v57 /*v313*/
	s_set_vgpr_msb 1                        ;  msbs: dst=0 src0=1 src1=0 src2=0
	ds_store_b8 v26 /*v282*/, v18
	s_wait_dscnt 0x0
	s_barrier_signal -1
	s_barrier_wait -1
	s_set_vgpr_msb 0                        ;  msbs: dst=0 src0=0 src1=0 src2=0
	ds_load_u8 v128, v1
	ds_load_u8 v119, v1 offset:256
	ds_load_u8 v118, v1 offset:512
	;; [unrolled: 1-line block ×16, first 2 shown]
	s_wait_dscnt 0x0
	s_barrier_signal -1
	s_barrier_wait -1
	ds_store_b64 v0, v[98:99]
	ds_store_b64 v10, v[96:97]
	;; [unrolled: 1-line block ×3, first 2 shown]
	v_lshl_add_u32 v0, v178, 3, v12
	v_lshl_add_u32 v10, v180, 3, v12
	;; [unrolled: 1-line block ×5, first 2 shown]
	ds_store_b64 v0, v[66:67]
	ds_store_b64 v10, v[64:65]
	;; [unrolled: 1-line block ×5, first 2 shown]
	v_lshl_add_u32 v0, v182, 3, v12
	v_lshl_add_u32 v10, v198, 3, v12
	;; [unrolled: 1-line block ×5, first 2 shown]
	ds_store_b64 v0, v[50:51]
	ds_store_b64 v10, v[48:49]
	;; [unrolled: 1-line block ×5, first 2 shown]
	v_lshl_add_u32 v0, v210, 3, v12
	v_mul_u32_u24_e32 v13, 7, v26
	v_lshl_add_u32 v10, v228, 3, v12
	v_lshl_add_u32 v11, v230, 3, v12
	;; [unrolled: 1-line block ×3, first 2 shown]
	ds_store_b64 v0, v[30:31]
	ds_store_b64 v10, v[34:35]
	;; [unrolled: 1-line block ×4, first 2 shown]
	v_add_nc_u32_e32 v0, v1, v13
	s_wait_dscnt 0x0
	s_barrier_signal -1
	s_barrier_wait -1
	ds_load_2addr_stride64_b64 v[48:51], v0 offset1:4
	ds_load_2addr_stride64_b64 v[34:37], v0 offset0:8 offset1:12
	ds_load_2addr_stride64_b64 v[30:33], v0 offset0:16 offset1:20
	;; [unrolled: 1-line block ×7, first 2 shown]
	ds_load_b64 v[0:1], v0 offset:32768
	v_add_nc_u64_e32 v[2:3], v[2:3], v[8:9]
	s_set_vgpr_msb 4                        ;  msbs: dst=0 src0=0 src1=1 src2=0
	v_cmp_lt_u32_e32 vcc_lo, v38, v28 /*v284*/
	s_wait_dscnt 0x0
	s_barrier_signal -1
	s_barrier_wait -1
	s_set_vgpr_msb 0                        ;  msbs: dst=0 src0=0 src1=0 src2=0
	v_add_nc_u64_e32 v[2:3], v[2:3], v[38:39]
	s_and_saveexec_b32 s0, vcc_lo
	s_cbranch_execz .LBB1524_100
; %bb.99:
	v_xor_b32_e32 v52, 1, v128
	flat_store_b8 v[2:3], v52
.LBB1524_100:
	s_wait_xcnt 0x0
	s_or_b32 exec_lo, exec_lo, s0
	v_add_nc_u32_e32 v52, 0x100, v38
	s_set_vgpr_msb 4                        ;  msbs: dst=0 src0=0 src1=1 src2=0
	s_delay_alu instid0(VALU_DEP_1)
	v_cmp_lt_u32_e64 s0, v52, v28 /*v284*/
	s_and_saveexec_b32 s1, s0
	s_set_vgpr_msb 0                        ;  msbs: dst=0 src0=0 src1=0 src2=0
	s_cbranch_execz .LBB1524_102
; %bb.101:
	v_xor_b32_e32 v52, 1, v119
	flat_store_b8 v[2:3], v52 offset:256
.LBB1524_102:
	s_wait_xcnt 0x0
	s_or_b32 exec_lo, exec_lo, s1
	v_add_nc_u32_e32 v52, 0x200, v38
	s_set_vgpr_msb 4                        ;  msbs: dst=0 src0=0 src1=1 src2=0
	s_delay_alu instid0(VALU_DEP_1)
	v_cmp_lt_u32_e64 s1, v52, v28 /*v284*/
	s_and_saveexec_b32 s2, s1
	s_set_vgpr_msb 0                        ;  msbs: dst=0 src0=0 src1=0 src2=0
	s_cbranch_execz .LBB1524_104
; %bb.103:
	v_xor_b32_e32 v52, 1, v118
	flat_store_b8 v[2:3], v52 offset:512
.LBB1524_104:
	;; [unrolled: 13-line block ×16, first 2 shown]
	s_wait_xcnt 0x0
	s_or_b32 exec_lo, exec_lo, s21
	v_lshl_add_u64 v[2:3], v[8:9], 3, v[6:7]
	s_delay_alu instid0(VALU_DEP_1)
	v_lshl_add_u64 v[2:3], v[38:39], 3, v[2:3]
	s_and_saveexec_b32 s21, vcc_lo
	s_cbranch_execnz .LBB1524_220
; %bb.133:
	s_or_b32 exec_lo, exec_lo, s21
	s_and_saveexec_b32 s21, s0
	s_cbranch_execnz .LBB1524_221
.LBB1524_134:
	s_or_b32 exec_lo, exec_lo, s21
	s_and_saveexec_b32 s0, s1
	s_cbranch_execnz .LBB1524_222
.LBB1524_135:
	s_or_b32 exec_lo, exec_lo, s0
	s_and_saveexec_b32 s0, s2
	s_cbranch_execnz .LBB1524_223
.LBB1524_136:
	s_or_b32 exec_lo, exec_lo, s0
	s_and_saveexec_b32 s0, s3
	s_cbranch_execnz .LBB1524_224
.LBB1524_137:
	s_or_b32 exec_lo, exec_lo, s0
	s_and_saveexec_b32 s0, s4
	s_cbranch_execnz .LBB1524_225
.LBB1524_138:
	s_or_b32 exec_lo, exec_lo, s0
	s_and_saveexec_b32 s0, s5
	s_cbranch_execnz .LBB1524_226
.LBB1524_139:
	s_or_b32 exec_lo, exec_lo, s0
	s_and_saveexec_b32 s0, s6
	s_cbranch_execnz .LBB1524_227
.LBB1524_140:
	s_or_b32 exec_lo, exec_lo, s0
	s_and_saveexec_b32 s0, s7
	s_cbranch_execnz .LBB1524_228
.LBB1524_141:
	s_or_b32 exec_lo, exec_lo, s0
	s_and_saveexec_b32 s0, s10
	s_cbranch_execnz .LBB1524_229
.LBB1524_142:
	s_or_b32 exec_lo, exec_lo, s0
	s_and_saveexec_b32 s0, s11
	s_cbranch_execnz .LBB1524_230
.LBB1524_143:
	s_or_b32 exec_lo, exec_lo, s0
	s_and_saveexec_b32 s0, s12
	s_cbranch_execnz .LBB1524_231
.LBB1524_144:
	s_or_b32 exec_lo, exec_lo, s0
	s_and_saveexec_b32 s0, s13
	s_cbranch_execnz .LBB1524_232
.LBB1524_145:
	s_or_b32 exec_lo, exec_lo, s0
	s_and_saveexec_b32 s0, s14
	s_cbranch_execnz .LBB1524_233
.LBB1524_146:
	s_or_b32 exec_lo, exec_lo, s0
	s_and_saveexec_b32 s0, s15
	s_cbranch_execnz .LBB1524_234
.LBB1524_147:
	s_or_b32 exec_lo, exec_lo, s0
	s_and_saveexec_b32 s0, s16
	s_cbranch_execnz .LBB1524_235
.LBB1524_148:
	s_or_b32 exec_lo, exec_lo, s0
	s_and_saveexec_b32 s0, s17
	s_cbranch_execz .LBB1524_150
.LBB1524_149:
	flat_store_b64 v[2:3], v[0:1] offset:32768
.LBB1524_150:
	s_wait_xcnt 0x0
	s_or_b32 exec_lo, exec_lo, s0
                                        ; implicit-def: $vgpr284
                                        ; implicit-def: $vgpr8
                                        ; implicit-def: $vgpr10
                                        ; implicit-def: $vgpr11
                                        ; implicit-def: $vgpr0_vgpr1
                                        ; implicit-def: $vgpr2_vgpr3
                                        ; implicit-def: $vgpr4_vgpr5
                                        ; implicit-def: $vgpr6_vgpr7
                                        ; implicit-def: $vgpr12_vgpr13
                                        ; implicit-def: $vgpr9
                                        ; implicit-def: $vgpr14
                                        ; implicit-def: $vgpr26
                                        ; implicit-def: $vgpr18
.LBB1524_151:
	s_and_not1_saveexec_b32 s0, s20
	s_cbranch_execz .LBB1524_382
; %bb.152:
	s_mov_b32 s0, exec_lo
	s_set_vgpr_msb 4                        ;  msbs: dst=0 src0=0 src1=1 src2=0
	v_cmpx_lt_u32_e32 0x400, v28 /*v284*/
	s_xor_b32 s16, exec_lo, s0
	s_set_vgpr_msb 0                        ;  msbs: dst=0 src0=0 src1=0 src2=0
	s_cbranch_execz .LBB1524_262
; %bb.153:
	s_load_b64 s[0:1], s[8:9], 0x0
	s_bfe_u32 s3, ttmp6, 0x4000c
	s_bfe_u32 s5, ttmp6, 0x40010
	s_and_b32 s4, ttmp7, 0xffff
	s_add_co_i32 s3, s3, 1
	s_add_co_i32 s5, s5, 1
	s_and_b32 s2, ttmp6, 15
	s_bfe_u32 s6, ttmp6, 0x40004
	s_mul_i32 s3, ttmp9, s3
	s_mul_i32 s5, s4, s5
	s_add_co_i32 s2, s2, s3
	s_add_co_i32 s6, s6, s5
	s_cmp_eq_u32 s19, 0
	s_mov_b32 s3, 0
	s_cselect_b32 s2, ttmp9, s2
	s_cselect_b32 s4, s4, s6
	s_wait_kmcnt 0x0
	s_cmp_lt_u32 s2, s0
	s_cselect_b32 s2, 12, 18
	s_cmp_lt_u32 s4, s1
	s_mov_b32 s1, s3
	s_cselect_b32 s0, 14, 20
	s_delay_alu instid0(SALU_CYCLE_1)
	s_add_nc_u64 s[0:1], s[8:9], s[0:1]
	s_load_u16 s4, s[0:1], 0x0
	s_wait_xcnt 0x0
	s_add_nc_u64 s[0:1], s[8:9], s[2:3]
	s_load_u16 s0, s[0:1], 0x0
	s_wait_kmcnt 0x0
	v_mad_u32_u24 v9, v14, s4, v9
	s_delay_alu instid0(VALU_DEP_1) | instskip(SKIP_1) | instid1(VALU_DEP_1)
	v_mad_u32 v28, v9, s0, v26
	v_mov_b32_e32 v9, 0
	v_add_nc_u64_e32 v[14:15], v[0:1], v[8:9]
	s_delay_alu instid0(VALU_DEP_3) | instskip(SKIP_2) | instid1(VALU_DEP_3)
	v_dual_mov_b32 v19, v9 :: v_dual_lshlrev_b32 v0, 3, v28
	v_dual_mov_b32 v1, v9 :: v_dual_mov_b32 v16, v9
	v_mov_b32_e32 v17, v9
	v_and_b32_e32 v0, 0xffffff00, v0
	s_delay_alu instid0(VALU_DEP_4) | instskip(SKIP_1) | instid1(VALU_DEP_3)
	v_add_nc_u64_e32 v[14:15], v[14:15], v[18:19]
	v_dual_mov_b32 v21, v9 :: v_dual_mov_b32 v22, v9
	v_dual_mov_b32 v20, v9 :: v_dual_bitop2_b32 v25, v0, v18 bitop3:0x54
	v_mov_b32_e32 v23, v9
	s_delay_alu instid0(VALU_DEP_4) | instskip(SKIP_1) | instid1(VALU_DEP_3)
	v_add_nc_u64_e32 v[14:15], v[14:15], v[0:1]
	s_set_vgpr_msb 4                        ;  msbs: dst=0 src0=0 src1=1 src2=0
	v_cmp_lt_u32_e32 vcc_lo, v25, v28 /*v284*/
	s_and_saveexec_b32 s0, vcc_lo
	s_set_vgpr_msb 0                        ;  msbs: dst=0 src0=0 src1=0 src2=0
	s_cbranch_execz .LBB1524_155
; %bb.154:
	flat_load_u8 v16, v[14:15]
	v_dual_mov_b32 v17, v9 :: v_dual_mov_b32 v19, v9
	v_dual_mov_b32 v20, v9 :: v_dual_mov_b32 v21, v9
	;; [unrolled: 1-line block ×3, first 2 shown]
.LBB1524_155:
	s_wait_xcnt 0x0
	s_or_b32 exec_lo, exec_lo, s0
	v_or_b32_e32 v24, 32, v25
	s_set_vgpr_msb 4                        ;  msbs: dst=0 src0=0 src1=1 src2=0
	s_delay_alu instid0(VALU_DEP_1)
	v_cmp_lt_u32_e64 s0, v24, v28 /*v284*/
	v_mov_b32_e32 v24, v9
	s_and_saveexec_b32 s1, s0
	s_set_vgpr_msb 0                        ;  msbs: dst=0 src0=0 src1=0 src2=0
	s_cbranch_execz .LBB1524_157
; %bb.156:
	flat_load_u8 v24, v[14:15] offset:32
.LBB1524_157:
	s_wait_xcnt 0x0
	s_or_b32 exec_lo, exec_lo, s1
	v_or_b32_e32 v27, 64, v25
	s_set_vgpr_msb 4                        ;  msbs: dst=0 src0=0 src1=1 src2=0
	s_delay_alu instid0(VALU_DEP_1)
	v_cmp_lt_u32_e64 s1, v27, v28 /*v284*/
	s_and_saveexec_b32 s2, s1
	s_set_vgpr_msb 0                        ;  msbs: dst=0 src0=0 src1=0 src2=0
	s_cbranch_execz .LBB1524_159
; %bb.158:
	flat_load_u8 v17, v[14:15] offset:64
.LBB1524_159:
	s_wait_xcnt 0x0
	s_or_b32 exec_lo, exec_lo, s2
	v_or_b32_e32 v27, 0x60, v25
	s_set_vgpr_msb 4                        ;  msbs: dst=0 src0=0 src1=1 src2=0
	s_delay_alu instid0(VALU_DEP_1)
	v_cmp_lt_u32_e64 s2, v27, v28 /*v284*/
	;; [unrolled: 12-line block ×6, first 2 shown]
	s_and_saveexec_b32 s7, s6
	s_set_vgpr_msb 0                        ;  msbs: dst=0 src0=0 src1=0 src2=0
	s_cbranch_execz .LBB1524_169
; %bb.168:
	flat_load_u8 v23, v[14:15] offset:224
.LBB1524_169:
	s_wait_xcnt 0x0
	s_or_b32 exec_lo, exec_lo, s7
	v_lshl_add_u64 v[4:5], v[8:9], 3, v[4:5]
	v_dual_mov_b32 v15, 0 :: v_dual_lshlrev_b32 v14, 3, v18
                                        ; implicit-def: $vgpr36_vgpr37
	s_delay_alu instid0(VALU_DEP_1) | instskip(NEXT) | instid1(VALU_DEP_1)
	v_add_nc_u64_e32 v[4:5], v[4:5], v[14:15]
	v_lshl_add_u64 v[0:1], v[0:1], 3, v[4:5]
	s_and_saveexec_b32 s7, vcc_lo
	s_cbranch_execnz .LBB1524_295
; %bb.170:
	s_or_b32 exec_lo, exec_lo, s7
                                        ; implicit-def: $vgpr38_vgpr39
	s_and_saveexec_b32 s7, s0
	s_cbranch_execnz .LBB1524_296
.LBB1524_171:
	s_or_b32 exec_lo, exec_lo, s7
                                        ; implicit-def: $vgpr48_vgpr49
	s_and_saveexec_b32 s0, s1
	s_cbranch_execnz .LBB1524_297
.LBB1524_172:
	s_or_b32 exec_lo, exec_lo, s0
                                        ; implicit-def: $vgpr50_vgpr51
	s_and_saveexec_b32 s0, s2
	s_cbranch_execnz .LBB1524_298
.LBB1524_173:
	s_or_b32 exec_lo, exec_lo, s0
                                        ; implicit-def: $vgpr52_vgpr53
	s_and_saveexec_b32 s0, s3
	s_cbranch_execnz .LBB1524_299
.LBB1524_174:
	s_or_b32 exec_lo, exec_lo, s0
                                        ; implicit-def: $vgpr54_vgpr55
	s_and_saveexec_b32 s0, s4
	s_cbranch_execnz .LBB1524_300
.LBB1524_175:
	s_or_b32 exec_lo, exec_lo, s0
                                        ; implicit-def: $vgpr64_vgpr65
	s_and_saveexec_b32 s0, s5
	s_cbranch_execnz .LBB1524_301
.LBB1524_176:
	s_or_b32 exec_lo, exec_lo, s0
                                        ; implicit-def: $vgpr66_vgpr67
	s_and_saveexec_b32 s0, s6
	s_cbranch_execz .LBB1524_178
.LBB1524_177:
	flat_load_b64 v[66:67], v[0:1] offset:1792
.LBB1524_178:
	s_wait_xcnt 0x0
	s_or_b32 exec_lo, exec_lo, s0
	s_wait_loadcnt_dscnt 0x0
	v_dual_lshrrev_b32 v146, 5, v28 :: v_dual_bitop2_b32 v1, 1, v22 bitop3:0x40
	v_and_b32_e32 v0, 1, v23
	v_and_b32_e32 v4, 1, v21
	;; [unrolled: 1-line block ×3, first 2 shown]
	s_delay_alu instid0(VALU_DEP_4) | instskip(SKIP_4) | instid1(VALU_DEP_4)
	v_cmp_eq_u32_e64 s0, 1, v1
	v_dual_lshlrev_b32 v20, 3, v26 :: v_dual_bitop2_b32 v1, 1, v20 bitop3:0x40
	v_cmp_eq_u32_e32 vcc_lo, 1, v0
	v_cmp_eq_u32_e64 s1, 1, v4
	v_cmp_eq_u32_e64 s6, 1, v14
	;; [unrolled: 1-line block ×3, first 2 shown]
	v_lshl_add_u32 v1, v26, 5, v12
	v_and_b32_e32 v0, 1, v16
	v_and_b32_e32 v4, 1, v24
	;; [unrolled: 1-line block ×3, first 2 shown]
	s_delay_alu instid0(VALU_DEP_4)
	v_dual_add_nc_u32 v135, 52, v1 :: v_dual_bitop2_b32 v21, 15, v18 bitop3:0x40
	v_add_nc_u32_e32 v27, 32, v1
	v_cmp_eq_u32_e64 s2, 1, v0
	v_add_nc_u32_e32 v29, 36, v1
	v_cmp_eq_u32_e64 s4, 1, v4
	;; [unrolled: 2-line block ×3, first 2 shown]
	s_xor_b32 s2, s2, -1
	v_dual_add_nc_u32 v133, 44, v1 :: v_dual_add_nc_u32 v134, 48, v1
	v_cndmask_b32_e64 v0, 0, 1, s2
	s_xor_b32 s2, s4, -1
	v_dual_add_nc_u32 v144, 56, v1 :: v_dual_add_nc_u32 v145, 60, v1
	v_cndmask_b32_e64 v4, 0, 1, s2
	s_xor_b32 s2, s6, -1
	v_and_b32_e32 v1, 0x3e0, v26
	v_cndmask_b32_e64 v5, 0, 1, s2
	s_xor_b32 s2, s5, -1
	s_xor_b32 s0, s0, -1
	v_cndmask_b32_e64 v14, 0, 1, s2
	s_xor_b32 s2, s3, -1
	v_min_u32_e32 v1, 0xe0, v1
	v_cndmask_b32_e64 v15, 0, 1, s2
	s_get_pc_i64 s[2:3]
	s_add_nc_u64 s[2:3], s[2:3], _ZN7rocprim17ROCPRIM_400000_NS16block_radix_sortIbLj256ELj8ElLj1ELj1ELj8ELNS0_26block_radix_rank_algorithmE2ELNS0_18block_padding_hintE2ELNS0_4arch9wavefront6targetE0EE19radix_bits_per_passE@rel64+4
	s_xor_b32 s1, s1, -1
	s_load_b32 s17, s[2:3], 0x0
	s_wait_xcnt 0x0
	v_sub_co_u32 v23, s2, v18, 1
	v_cndmask_b32_e64 v17, 0, 1, s0
	s_xor_b32 s0, vcc_lo, -1
	v_cndmask_b32_e64 v16, 0, 1, s1
	v_cndmask_b32_e64 v19, 0, 1, s0
	v_cmp_eq_u32_e32 vcc_lo, 0, v21
	v_cmp_lt_u32_e64 s0, 1, v21
	v_cmp_lt_u32_e64 s1, 3, v21
	v_and_b32_e32 v22, 16, v18
	v_cmp_lt_u32_e64 s3, 7, v21
	v_dual_lshrrev_b32 v21, 3, v26 :: v_dual_bitop2_b32 v1, 31, v1 bitop3:0x54
	v_cmp_gt_i32_e64 s5, 0, v23
	s_delay_alu instid0(VALU_DEP_4)
	v_cmp_eq_u32_e64 s4, 0, v22
	v_lshlrev_b16 v4, 8, v4
	v_lshlrev_b16 v14, 8, v14
	;; [unrolled: 1-line block ×3, first 2 shown]
	v_cndmask_b32_e64 v22, v23, v18, s5
	v_cmp_eq_u32_e64 s5, v26, v1
	v_and_b32_e32 v1, 0x7c, v21
	v_and_b32_e32 v21, 7, v18
	v_and_or_b32 v18, 0x1f00, v20, v18
	v_or_b32_e32 v0, v0, v4
	v_or_b32_e32 v4, v5, v14
	v_dual_add_nc_u32 v148, v12, v1 :: v_dual_bitop2_b32 v5, v15, v16 bitop3:0x54
	s_delay_alu instid0(VALU_DEP_4) | instskip(SKIP_2) | instid1(VALU_DEP_4)
	v_add_nc_u32_e32 v150, v12, v18
	v_mul_u32_u24_e32 v18, 7, v18
	v_and_b32_e32 v0, 0xffff, v0
	v_and_b32_e32 v5, 0xffff, v5
	v_cmp_gt_u32_e64 s6, 8, v26
	v_add_nc_u32_e32 v161, 64, v150
	v_add_nc_u32_e32 v163, v150, v18
	v_lshlrev_b16 v18, 8, v19
	v_cmp_lt_u32_e64 s7, 31, v26
	v_lshlrev_b32_e32 v147, 2, v22
	v_cmp_eq_u32_e64 s10, 0, v26
	s_delay_alu instid0(VALU_DEP_4)
	v_dual_mov_b32 v1, 0 :: v_dual_bitop2_b32 v14, v17, v18 bitop3:0x54
	v_mov_b64_e32 v[16:17], 0
	v_lshl_add_u32 v149, v26, 2, v12
	v_cmp_eq_u32_e64 s11, 0, v21
	v_cmp_lt_u32_e64 s12, 1, v21
	v_dual_lshlrev_b32 v14, 16, v14 :: v_dual_lshlrev_b32 v4, 16, v4
	v_cmp_lt_u32_e64 s13, 3, v21
	v_dual_add_nc_u32 v151, -4, v148 :: v_dual_add_nc_u32 v160, 32, v150
	v_add_nc_u32_e32 v162, 0x60, v150
	v_add_nc_u32_e32 v164, 0x80, v150
	;; [unrolled: 1-line block ×12, first 2 shown]
	v_dual_sub_nc_u32 v183, v11, v10 :: v_dual_bitop2_b32 v4, v0, v4 bitop3:0x54
	v_or_b32_e32 v69, v5, v14
	s_mov_b32 s20, 0
	s_wait_storecnt 0x0
	s_barrier_signal -1
	s_barrier_wait -1
	s_branch .LBB1524_180
.LBB1524_179:                           ;   in Loop: Header=BB1524_180 Depth=1
	s_or_b32 exec_lo, exec_lo, s15
	s_delay_alu instid0(SALU_CYCLE_1) | instskip(NEXT) | instid1(SALU_CYCLE_1)
	s_and_b32 s14, exec_lo, s21
	s_or_b32 s20, s14, s20
	s_delay_alu instid0(SALU_CYCLE_1)
	s_and_not1_b32 exec_lo, exec_lo, s20
	s_cbranch_execz .LBB1524_236
.LBB1524_180:                           ; =>This Inner Loop Header: Depth=1
	s_wait_kmcnt 0x0
	v_min_u32_e32 v0, s17, v183
	v_and_b32_e32 v14, 0xff, v4
	v_mov_b64_e32 v[30:31], v[38:39]
	v_mov_b64_e32 v[34:35], v[48:49]
	;; [unrolled: 1-line block ×3, first 2 shown]
	v_lshlrev_b32_e64 v5, v0, -1
	v_lshrrev_b32_e32 v0, v10, v14
	v_mov_b64_e32 v[14:15], v[36:37]
	v_mov_b64_e32 v[22:23], v[54:55]
	v_mov_b64_e32 v[20:21], v[64:65]
	ds_store_b64 v27, v[16:17]
	ds_store_b64 v132, v[16:17]
	v_bitop3_b32 v0, v0, v5, v0 bitop3:0x30
	ds_store_b64 v134, v[16:17]
	ds_store_b64 v144, v[16:17]
	s_wait_dscnt 0x0
	s_barrier_signal -1
	s_barrier_wait -1
	v_add_co_u32 v24, s14, v0, -1
	s_delay_alu instid0(VALU_DEP_1) | instskip(SKIP_1) | instid1(VALU_DEP_2)
	v_cndmask_b32_e64 v18, 0, 1, s14
	v_lshlrev_b32_e32 v0, 3, v0
	; wave barrier
	v_cmp_ne_u32_e64 s14, 0, v18
	s_delay_alu instid0(VALU_DEP_2) | instskip(SKIP_1) | instid1(VALU_DEP_3)
	v_add_lshl_u32 v0, v0, v146, 2
	v_mov_b64_e32 v[18:19], v[52:53]
	v_bitop3_b32 v38, s14, exec_lo, v24 bitop3:0x48
	s_delay_alu instid0(VALU_DEP_3) | instskip(SKIP_1) | instid1(VALU_DEP_3)
	v_add_nc_u64_e32 v[36:37], v[12:13], v[0:1]
	v_mov_b64_e32 v[24:25], v[66:67]
	v_mbcnt_lo_u32_b32 v0, v38, 0
	v_cmp_ne_u32_e64 s15, 0, v38
	s_delay_alu instid0(VALU_DEP_4) | instskip(NEXT) | instid1(VALU_DEP_3)
	v_add_nc_u64_e32 v[36:37], 32, v[36:37]
	v_cmp_eq_u32_e64 s14, 0, v0
	s_and_b32 s15, s15, s14
	s_delay_alu instid0(SALU_CYCLE_1)
	s_and_saveexec_b32 s14, s15
; %bb.181:                              ;   in Loop: Header=BB1524_180 Depth=1
	v_bcnt_u32_b32 v37, v38, 0
	ds_store_b32 v36, v37
; %bb.182:                              ;   in Loop: Header=BB1524_180 Depth=1
	s_or_b32 exec_lo, exec_lo, s14
	v_bfe_u32 v37, v4, 8, 8
	v_not_b32_e32 v67, v5
	; wave barrier
	s_delay_alu instid0(VALU_DEP_2) | instskip(NEXT) | instid1(VALU_DEP_1)
	v_lshrrev_b32_e32 v5, v10, v37
	v_and_b32_e32 v5, v5, v67
	s_delay_alu instid0(VALU_DEP_1) | instskip(SKIP_1) | instid1(VALU_DEP_1)
	v_lshl_add_u32 v37, v5, 3, v146
	v_add_co_u32 v5, s14, v5, -1
	v_cndmask_b32_e64 v38, 0, 1, s14
	s_delay_alu instid0(VALU_DEP_3) | instskip(NEXT) | instid1(VALU_DEP_2)
	v_lshl_add_u32 v48, v37, 2, v12
	v_cmp_ne_u32_e64 s14, 0, v38
	ds_load_b32 v37, v48 offset:32
	v_add_nc_u32_e32 v49, 32, v48
	v_bitop3_b32 v39, s14, exec_lo, v5 bitop3:0x48
	v_mov_b32_e32 v5, v69
	; wave barrier
	s_delay_alu instid0(VALU_DEP_2) | instskip(SKIP_1) | instid1(VALU_DEP_2)
	v_mbcnt_lo_u32_b32 v38, v39, 0
	v_cmp_ne_u32_e64 s15, 0, v39
	v_cmp_eq_u32_e64 s14, 0, v38
	s_and_b32 s15, s15, s14
	s_delay_alu instid0(SALU_CYCLE_1)
	s_and_saveexec_b32 s14, s15
	s_cbranch_execz .LBB1524_184
; %bb.183:                              ;   in Loop: Header=BB1524_180 Depth=1
	s_wait_dscnt 0x0
	v_bcnt_u32_b32 v39, v39, v37
	ds_store_b32 v49, v39
.LBB1524_184:                           ;   in Loop: Header=BB1524_180 Depth=1
	s_or_b32 exec_lo, exec_lo, s14
	v_bfe_u32 v39, v4, 16, 8
	; wave barrier
	s_delay_alu instid0(VALU_DEP_1) | instskip(NEXT) | instid1(VALU_DEP_1)
	v_lshrrev_b32_e32 v39, v10, v39
	v_and_b32_e32 v39, v39, v67
	s_delay_alu instid0(VALU_DEP_1) | instskip(SKIP_1) | instid1(VALU_DEP_1)
	v_lshl_add_u32 v48, v39, 3, v146
	v_add_co_u32 v50, s14, v39, -1
	v_cndmask_b32_e64 v39, 0, 1, s14
	s_delay_alu instid0(VALU_DEP_3) | instskip(NEXT) | instid1(VALU_DEP_2)
	v_lshl_add_u32 v51, v48, 2, v12
	v_cmp_ne_u32_e64 s14, 0, v39
	ds_load_b32 v39, v51 offset:32
	v_add_nc_u32_e32 v52, 32, v51
	v_bitop3_b32 v50, s14, exec_lo, v50 bitop3:0x48
	; wave barrier
	s_delay_alu instid0(VALU_DEP_1) | instskip(SKIP_1) | instid1(VALU_DEP_2)
	v_mbcnt_lo_u32_b32 v48, v50, 0
	v_cmp_ne_u32_e64 s15, 0, v50
	v_cmp_eq_u32_e64 s14, 0, v48
	s_and_b32 s15, s15, s14
	s_delay_alu instid0(SALU_CYCLE_1)
	s_and_saveexec_b32 s14, s15
	s_cbranch_execz .LBB1524_186
; %bb.185:                              ;   in Loop: Header=BB1524_180 Depth=1
	s_wait_dscnt 0x0
	v_bcnt_u32_b32 v50, v50, v39
	ds_store_b32 v52, v50
.LBB1524_186:                           ;   in Loop: Header=BB1524_180 Depth=1
	s_or_b32 exec_lo, exec_lo, s14
	v_alignbit_b32 v50, v5, v4, 24
	; wave barrier
	s_delay_alu instid0(VALU_DEP_1) | instskip(NEXT) | instid1(VALU_DEP_1)
	v_and_b32_e32 v50, 0xff, v50
	v_lshrrev_b32_e32 v50, v10, v50
	s_delay_alu instid0(VALU_DEP_1) | instskip(NEXT) | instid1(VALU_DEP_1)
	v_and_b32_e32 v50, v50, v67
	v_lshl_add_u32 v51, v50, 3, v146
	s_delay_alu instid0(VALU_DEP_1) | instskip(NEXT) | instid1(VALU_DEP_1)
	v_lshl_add_u32 v54, v51, 2, v12
	v_add_nc_u32_e32 v55, 32, v54
	v_add_co_u32 v53, s14, v50, -1
	s_delay_alu instid0(VALU_DEP_1) | instskip(NEXT) | instid1(VALU_DEP_1)
	v_cndmask_b32_e64 v50, 0, 1, s14
	v_cmp_ne_u32_e64 s14, 0, v50
	ds_load_b32 v50, v54 offset:32
	; wave barrier
	v_bitop3_b32 v53, s14, exec_lo, v53 bitop3:0x48
	s_delay_alu instid0(VALU_DEP_1) | instskip(SKIP_1) | instid1(VALU_DEP_2)
	v_mbcnt_lo_u32_b32 v51, v53, 0
	v_cmp_ne_u32_e64 s15, 0, v53
	v_cmp_eq_u32_e64 s14, 0, v51
	s_and_b32 s15, s15, s14
	s_delay_alu instid0(SALU_CYCLE_1)
	s_and_saveexec_b32 s14, s15
	s_cbranch_execz .LBB1524_188
; %bb.187:                              ;   in Loop: Header=BB1524_180 Depth=1
	s_wait_dscnt 0x0
	v_bcnt_u32_b32 v53, v53, v50
	ds_store_b32 v55, v53
.LBB1524_188:                           ;   in Loop: Header=BB1524_180 Depth=1
	s_or_b32 exec_lo, exec_lo, s14
	v_and_b32_e32 v53, 0xff, v5
	; wave barrier
	s_delay_alu instid0(VALU_DEP_1) | instskip(NEXT) | instid1(VALU_DEP_1)
	v_lshrrev_b32_e32 v53, v10, v53
	v_and_b32_e32 v53, v53, v67
	s_delay_alu instid0(VALU_DEP_1) | instskip(NEXT) | instid1(VALU_DEP_1)
	v_lshl_add_u32 v54, v53, 3, v146
	v_lshl_add_u32 v65, v54, 2, v12
	s_delay_alu instid0(VALU_DEP_1) | instskip(SKIP_1) | instid1(VALU_DEP_1)
	v_add_nc_u32_e32 v66, 32, v65
	v_add_co_u32 v64, s14, v53, -1
	v_cndmask_b32_e64 v53, 0, 1, s14
	s_delay_alu instid0(VALU_DEP_1) | instskip(SKIP_2) | instid1(VALU_DEP_1)
	v_cmp_ne_u32_e64 s14, 0, v53
	ds_load_b32 v53, v65 offset:32
	; wave barrier
	v_bitop3_b32 v64, s14, exec_lo, v64 bitop3:0x48
	v_mbcnt_lo_u32_b32 v54, v64, 0
	v_cmp_ne_u32_e64 s15, 0, v64
	s_delay_alu instid0(VALU_DEP_2) | instskip(SKIP_1) | instid1(SALU_CYCLE_1)
	v_cmp_eq_u32_e64 s14, 0, v54
	s_and_b32 s15, s15, s14
	s_and_saveexec_b32 s14, s15
	s_cbranch_execz .LBB1524_190
; %bb.189:                              ;   in Loop: Header=BB1524_180 Depth=1
	s_wait_dscnt 0x0
	v_bcnt_u32_b32 v64, v64, v53
	ds_store_b32 v66, v64
.LBB1524_190:                           ;   in Loop: Header=BB1524_180 Depth=1
	s_or_b32 exec_lo, exec_lo, s14
	v_bfe_u32 v64, v5, 8, 8
	; wave barrier
	s_delay_alu instid0(VALU_DEP_1) | instskip(NEXT) | instid1(VALU_DEP_1)
	v_lshrrev_b32_e32 v64, v10, v64
	v_and_b32_e32 v64, v64, v67
	s_delay_alu instid0(VALU_DEP_1) | instskip(SKIP_1) | instid1(VALU_DEP_1)
	v_lshl_add_u32 v65, v64, 3, v146
	v_add_co_u32 v68, s14, v64, -1
	v_cndmask_b32_e64 v64, 0, 1, s14
	s_delay_alu instid0(VALU_DEP_3) | instskip(NEXT) | instid1(VALU_DEP_2)
	v_lshl_add_u32 v70, v65, 2, v12
	v_cmp_ne_u32_e64 s14, 0, v64
	ds_load_b32 v64, v70 offset:32
	; wave barrier
	v_bitop3_b32 v69, s14, exec_lo, v68 bitop3:0x48
	v_add_nc_u32_e32 v68, 32, v70
	s_delay_alu instid0(VALU_DEP_2) | instskip(SKIP_1) | instid1(VALU_DEP_2)
	v_mbcnt_lo_u32_b32 v65, v69, 0
	v_cmp_ne_u32_e64 s15, 0, v69
	v_cmp_eq_u32_e64 s14, 0, v65
	s_and_b32 s15, s15, s14
	s_delay_alu instid0(SALU_CYCLE_1)
	s_and_saveexec_b32 s14, s15
	s_cbranch_execz .LBB1524_192
; %bb.191:                              ;   in Loop: Header=BB1524_180 Depth=1
	s_wait_dscnt 0x0
	v_bcnt_u32_b32 v69, v69, v64
	ds_store_b32 v68, v69
.LBB1524_192:                           ;   in Loop: Header=BB1524_180 Depth=1
	s_or_b32 exec_lo, exec_lo, s14
	v_bfe_u32 v69, v5, 16, 8
	; wave barrier
	s_delay_alu instid0(VALU_DEP_1) | instskip(NEXT) | instid1(VALU_DEP_1)
	v_lshrrev_b32_e32 v69, v10, v69
	v_and_b32_e32 v69, v69, v67
	s_delay_alu instid0(VALU_DEP_1) | instskip(SKIP_1) | instid1(VALU_DEP_1)
	v_lshl_add_u32 v70, v69, 3, v146
	v_add_co_u32 v69, s14, v69, -1
	v_cndmask_b32_e64 v71, 0, 1, s14
	s_delay_alu instid0(VALU_DEP_3) | instskip(NEXT) | instid1(VALU_DEP_2)
	v_lshl_add_u32 v80, v70, 2, v12
	v_cmp_ne_u32_e64 s14, 0, v71
	ds_load_b32 v86, v80 offset:32
	; wave barrier
	v_bitop3_b32 v70, s14, exec_lo, v69 bitop3:0x48
	v_add_nc_u32_e32 v69, 32, v80
	s_delay_alu instid0(VALU_DEP_2) | instskip(SKIP_1) | instid1(VALU_DEP_2)
	v_mbcnt_lo_u32_b32 v96, v70, 0
	v_cmp_ne_u32_e64 s15, 0, v70
	v_cmp_eq_u32_e64 s14, 0, v96
	s_and_b32 s15, s15, s14
	s_delay_alu instid0(SALU_CYCLE_1)
	s_and_saveexec_b32 s14, s15
	s_cbranch_execz .LBB1524_194
; %bb.193:                              ;   in Loop: Header=BB1524_180 Depth=1
	s_wait_dscnt 0x0
	v_bcnt_u32_b32 v70, v70, v86
	ds_store_b32 v69, v70
.LBB1524_194:                           ;   in Loop: Header=BB1524_180 Depth=1
	s_or_b32 exec_lo, exec_lo, s14
	v_lshrrev_b32_e32 v192, 24, v5
	; wave barrier
	s_delay_alu instid0(VALU_DEP_1) | instskip(NEXT) | instid1(VALU_DEP_1)
	v_lshrrev_b32_e32 v70, v10, v192
	v_and_b32_e32 v67, v70, v67
	s_delay_alu instid0(VALU_DEP_1) | instskip(SKIP_1) | instid1(VALU_DEP_1)
	v_lshl_add_u32 v70, v67, 3, v146
	v_add_co_u32 v71, s14, v67, -1
	v_cndmask_b32_e64 v67, 0, 1, s14
	s_delay_alu instid0(VALU_DEP_3) | instskip(NEXT) | instid1(VALU_DEP_2)
	v_lshl_add_u32 v70, v70, 2, v12
	v_cmp_ne_u32_e64 s14, 0, v67
	ds_load_b32 v67, v70 offset:32
	v_add_nc_u32_e32 v70, 32, v70
	v_bitop3_b32 v71, s14, exec_lo, v71 bitop3:0x48
	; wave barrier
	s_delay_alu instid0(VALU_DEP_1) | instskip(SKIP_1) | instid1(VALU_DEP_2)
	v_mbcnt_lo_u32_b32 v100, v71, 0
	v_cmp_ne_u32_e64 s15, 0, v71
	v_cmp_eq_u32_e64 s14, 0, v100
	s_and_b32 s15, s15, s14
	s_delay_alu instid0(SALU_CYCLE_1)
	s_and_saveexec_b32 s14, s15
	s_cbranch_execz .LBB1524_196
; %bb.195:                              ;   in Loop: Header=BB1524_180 Depth=1
	s_wait_dscnt 0x0
	v_bcnt_u32_b32 v71, v71, v67
	ds_store_b32 v70, v71
.LBB1524_196:                           ;   in Loop: Header=BB1524_180 Depth=1
	s_or_b32 exec_lo, exec_lo, s14
	; wave barrier
	s_wait_dscnt 0x0
	s_barrier_signal -1
	s_barrier_wait -1
	ds_load_b32 v80, v27
	ds_load_b32 v81, v29
	;; [unrolled: 1-line block ×8, first 2 shown]
	s_wait_dscnt 0x6
	v_add_nc_u32_e32 v97, v81, v80
	s_wait_dscnt 0x4
	s_delay_alu instid0(VALU_DEP_1) | instskip(SKIP_1) | instid1(VALU_DEP_1)
	v_add3_u32 v97, v97, v82, v83
	s_wait_dscnt 0x2
	v_add3_u32 v97, v97, v84, v85
	s_wait_dscnt 0x0
	s_delay_alu instid0(VALU_DEP_1) | instskip(NEXT) | instid1(VALU_DEP_1)
	v_add3_u32 v87, v97, v71, v87
	v_mov_b32_dpp v97, v87 row_shr:1 row_mask:0xf bank_mask:0xf
	s_delay_alu instid0(VALU_DEP_1) | instskip(NEXT) | instid1(VALU_DEP_1)
	v_cndmask_b32_e64 v97, v97, 0, vcc_lo
	v_add_nc_u32_e32 v87, v97, v87
	s_delay_alu instid0(VALU_DEP_1) | instskip(NEXT) | instid1(VALU_DEP_1)
	v_mov_b32_dpp v97, v87 row_shr:2 row_mask:0xf bank_mask:0xf
	v_cndmask_b32_e64 v97, 0, v97, s0
	s_delay_alu instid0(VALU_DEP_1) | instskip(NEXT) | instid1(VALU_DEP_1)
	v_add_nc_u32_e32 v87, v87, v97
	v_mov_b32_dpp v97, v87 row_shr:4 row_mask:0xf bank_mask:0xf
	s_delay_alu instid0(VALU_DEP_1) | instskip(NEXT) | instid1(VALU_DEP_1)
	v_cndmask_b32_e64 v97, 0, v97, s1
	v_add_nc_u32_e32 v87, v87, v97
	s_delay_alu instid0(VALU_DEP_1) | instskip(NEXT) | instid1(VALU_DEP_1)
	v_mov_b32_dpp v97, v87 row_shr:8 row_mask:0xf bank_mask:0xf
	v_cndmask_b32_e64 v97, 0, v97, s3
	s_delay_alu instid0(VALU_DEP_1) | instskip(SKIP_3) | instid1(VALU_DEP_1)
	v_add_nc_u32_e32 v87, v87, v97
	ds_swizzle_b32 v97, v87 offset:swizzle(BROADCAST,32,15)
	s_wait_dscnt 0x0
	v_cndmask_b32_e64 v97, v97, 0, s4
	v_add_nc_u32_e32 v87, v87, v97
	s_and_saveexec_b32 s14, s5
; %bb.197:                              ;   in Loop: Header=BB1524_180 Depth=1
	ds_store_b32 v148, v87
; %bb.198:                              ;   in Loop: Header=BB1524_180 Depth=1
	s_or_b32 exec_lo, exec_lo, s14
	s_wait_dscnt 0x0
	s_barrier_signal -1
	s_barrier_wait -1
	s_and_saveexec_b32 s14, s6
	s_cbranch_execz .LBB1524_200
; %bb.199:                              ;   in Loop: Header=BB1524_180 Depth=1
	ds_load_b32 v97, v149
	s_wait_dscnt 0x0
	v_mov_b32_dpp v98, v97 row_shr:1 row_mask:0xf bank_mask:0xf
	s_delay_alu instid0(VALU_DEP_1) | instskip(NEXT) | instid1(VALU_DEP_1)
	v_cndmask_b32_e64 v98, v98, 0, s11
	v_add_nc_u32_e32 v97, v98, v97
	s_delay_alu instid0(VALU_DEP_1) | instskip(NEXT) | instid1(VALU_DEP_1)
	v_mov_b32_dpp v98, v97 row_shr:2 row_mask:0xf bank_mask:0xf
	v_cndmask_b32_e64 v98, 0, v98, s12
	s_delay_alu instid0(VALU_DEP_1) | instskip(NEXT) | instid1(VALU_DEP_1)
	v_add_nc_u32_e32 v97, v97, v98
	v_mov_b32_dpp v98, v97 row_shr:4 row_mask:0xf bank_mask:0xf
	s_delay_alu instid0(VALU_DEP_1) | instskip(NEXT) | instid1(VALU_DEP_1)
	v_cndmask_b32_e64 v98, 0, v98, s13
	v_add_nc_u32_e32 v97, v97, v98
	ds_store_b32 v149, v97
.LBB1524_200:                           ;   in Loop: Header=BB1524_180 Depth=1
	s_or_b32 exec_lo, exec_lo, s14
	v_mov_b32_e32 v97, 0
	s_wait_dscnt 0x0
	s_barrier_signal -1
	s_barrier_wait -1
	s_and_saveexec_b32 s14, s7
; %bb.201:                              ;   in Loop: Header=BB1524_180 Depth=1
	ds_load_b32 v97, v151
; %bb.202:                              ;   in Loop: Header=BB1524_180 Depth=1
	s_or_b32 exec_lo, exec_lo, s14
	s_wait_dscnt 0x0
	v_add_nc_u32_e32 v87, v97, v87
	v_lshrrev_b64 v[98:99], 24, v[4:5]
	v_dual_lshrrev_b32 v99, 8, v5 :: v_dual_add_nc_u32 v10, 8, v10
	s_mov_b32 s21, -1
	ds_bpermute_b32 v87, v147, v87
	s_mov_b32 s15, exec_lo
	v_dual_mov_b32 v193, v4 :: v_dual_lshrrev_b32 v194, 8, v4
	s_wait_dscnt 0x0
	v_dual_lshrrev_b32 v195, 16, v4 :: v_dual_cndmask_b32 v87, v87, v97, s2
	s_delay_alu instid0(VALU_DEP_1) | instskip(NEXT) | instid1(VALU_DEP_1)
	v_cndmask_b32_e64 v87, v87, 0, s10
	v_add_nc_u32_e32 v80, v87, v80
	s_delay_alu instid0(VALU_DEP_1) | instskip(NEXT) | instid1(VALU_DEP_1)
	v_add_nc_u32_e32 v81, v80, v81
	v_add_nc_u32_e32 v82, v81, v82
	s_delay_alu instid0(VALU_DEP_1)
	v_add_nc_u32_e32 v83, v82, v83
	ds_store_b32 v27, v87
	ds_store_b32 v29, v80
	;; [unrolled: 1-line block ×3, first 2 shown]
	v_dual_mov_b32 v81, v1 :: v_dual_mov_b32 v87, v1
	v_add_nc_u32_e32 v84, v83, v84
	s_delay_alu instid0(VALU_DEP_1) | instskip(NEXT) | instid1(VALU_DEP_1)
	v_add_nc_u32_e32 v85, v84, v85
	v_add_nc_u32_e32 v71, v85, v71
	ds_store_b32 v133, v82
	ds_store_b32 v134, v83
	;; [unrolled: 1-line block ×5, first 2 shown]
	s_wait_dscnt 0x0
	s_barrier_signal -1
	s_barrier_wait -1
	ds_load_b32 v36, v36
	ds_load_b32 v49, v49
	;; [unrolled: 1-line block ×8, first 2 shown]
	v_dual_mov_b32 v69, v1 :: v_dual_mov_b32 v71, v1
	v_dual_mov_b32 v83, v1 :: v_dual_mov_b32 v85, v1
	v_mov_b32_e32 v97, v1
	s_wait_dscnt 0x0
	v_add_nc_u32_e32 v0, v36, v0
	v_add3_u32 v68, v38, v37, v49
	v_add3_u32 v70, v48, v39, v52
	;; [unrolled: 1-line block ×7, first 2 shown]
	v_add_nc_u64_e32 v[130:131], v[12:13], v[0:1]
	v_add_nc_u64_e32 v[128:129], v[12:13], v[68:69]
	;; [unrolled: 1-line block ×8, first 2 shown]
	v_lshrrev_b32_e32 v71, 16, v5
                                        ; implicit-def: $vgpr69
                                        ; implicit-def: $vgpr36_vgpr37
                                        ; implicit-def: $vgpr38_vgpr39
                                        ; implicit-def: $vgpr48_vgpr49
                                        ; implicit-def: $vgpr50_vgpr51
                                        ; implicit-def: $vgpr52_vgpr53
                                        ; implicit-def: $vgpr54_vgpr55
                                        ; implicit-def: $vgpr64_vgpr65
                                        ; implicit-def: $vgpr66_vgpr67
	v_cmpx_lt_u32_e64 v10, v11
	s_cbranch_execz .LBB1524_179
; %bb.203:                              ;   in Loop: Header=BB1524_180 Depth=1
	v_mad_nc_u64_u32 v[36:37], v0, 7, v[130:131]
	v_mad_nc_u64_u32 v[38:39], v68, 7, v[128:129]
	v_mad_nc_u64_u32 v[48:49], v70, 7, v[118:119]
	v_mad_nc_u64_u32 v[50:51], v82, 7, v[116:117]
	v_mad_nc_u64_u32 v[52:53], v80, 7, v[114:115]
	v_mad_nc_u64_u32 v[54:55], v84, 7, v[112:113]
	v_mad_nc_u64_u32 v[64:65], v86, 7, v[102:103]
	s_barrier_signal -1
	s_barrier_wait -1
	ds_store_b8 v130, v4
	ds_store_b8 v128, v194
	;; [unrolled: 1-line block ×8, first 2 shown]
	s_wait_dscnt 0x0
	s_barrier_signal -1
	s_barrier_wait -1
	ds_load_u8 v4, v162
	ds_load_u8 v69, v161
	ds_load_u8 v81, v160
	ds_load_u8 v83, v150
	ds_load_u8 v85, v167
	ds_load_u8 v87, v166
	ds_load_u8 v97, v165
	ds_load_u8 v196, v164
	v_mad_nc_u64_u32 v[66:67], v96, 7, v[100:101]
	s_wait_dscnt 0x0
	s_barrier_signal -1
	s_barrier_wait -1
	ds_store_b64 v36, v[14:15]
	ds_store_b64 v38, v[30:31]
	;; [unrolled: 1-line block ×8, first 2 shown]
	s_wait_dscnt 0x0
	s_barrier_signal -1
	s_barrier_wait -1
	ds_load_b64 v[36:37], v163
	ds_load_b64 v[38:39], v176
	;; [unrolled: 1-line block ×8, first 2 shown]
	v_add_nc_u32_e32 v183, -8, v183
	s_xor_b32 s21, exec_lo, -1
	v_perm_b32 v4, v69, v4, 0xc0c0004
	s_wait_dscnt 0x0
	v_perm_b32 v81, v83, v81, 0xc0c0004
	s_barrier_signal -1
	v_perm_b32 v83, v87, v85, 0xc0c0004
	s_barrier_wait -1
	v_perm_b32 v69, v196, v97, 0xc0c0004
	v_lshl_or_b32 v4, v4, 16, v81
	s_delay_alu instid0(VALU_DEP_2)
	v_lshl_or_b32 v69, v83, 16, v69
	s_branch .LBB1524_179
.LBB1524_204:
	flat_load_b64 v[100:101], v[4:5]
	s_wait_xcnt 0x0
	s_or_b32 exec_lo, exec_lo, s21
                                        ; implicit-def: $vgpr102_vgpr103
	s_and_saveexec_b32 s21, s0
	s_cbranch_execz .LBB1524_38
.LBB1524_205:
	flat_load_b64 v[102:103], v[4:5] offset:256
	s_wait_xcnt 0x0
	s_or_b32 exec_lo, exec_lo, s21
                                        ; implicit-def: $vgpr112_vgpr113
	s_and_saveexec_b32 s0, s1
	s_cbranch_execz .LBB1524_39
.LBB1524_206:
	flat_load_b64 v[112:113], v[4:5] offset:512
	s_wait_xcnt 0x0
	s_or_b32 exec_lo, exec_lo, s0
                                        ; implicit-def: $vgpr114_vgpr115
	s_and_saveexec_b32 s0, s2
	s_cbranch_execz .LBB1524_40
.LBB1524_207:
	flat_load_b64 v[114:115], v[4:5] offset:768
	s_wait_xcnt 0x0
	s_or_b32 exec_lo, exec_lo, s0
                                        ; implicit-def: $vgpr116_vgpr117
	s_and_saveexec_b32 s0, s3
	s_cbranch_execz .LBB1524_41
.LBB1524_208:
	flat_load_b64 v[116:117], v[4:5] offset:1024
	s_wait_xcnt 0x0
	s_or_b32 exec_lo, exec_lo, s0
                                        ; implicit-def: $vgpr118_vgpr119
	s_and_saveexec_b32 s0, s4
	s_cbranch_execz .LBB1524_42
.LBB1524_209:
	flat_load_b64 v[118:119], v[4:5] offset:1280
	s_wait_xcnt 0x0
	s_or_b32 exec_lo, exec_lo, s0
                                        ; implicit-def: $vgpr128_vgpr129
	s_and_saveexec_b32 s0, s5
	s_cbranch_execz .LBB1524_43
.LBB1524_210:
	flat_load_b64 v[128:129], v[4:5] offset:1536
	s_wait_xcnt 0x0
	s_or_b32 exec_lo, exec_lo, s0
                                        ; implicit-def: $vgpr130_vgpr131
	s_and_saveexec_b32 s0, s6
	s_cbranch_execz .LBB1524_44
.LBB1524_211:
	flat_load_b64 v[130:131], v[4:5] offset:1792
	s_wait_xcnt 0x0
	s_or_b32 exec_lo, exec_lo, s0
                                        ; implicit-def: $vgpr132_vgpr133
	s_and_saveexec_b32 s0, s7
	s_cbranch_execz .LBB1524_45
.LBB1524_212:
	flat_load_b64 v[132:133], v[4:5] offset:2048
	s_wait_xcnt 0x0
	s_or_b32 exec_lo, exec_lo, s0
                                        ; implicit-def: $vgpr134_vgpr135
	s_and_saveexec_b32 s0, s10
	s_cbranch_execz .LBB1524_46
.LBB1524_213:
	flat_load_b64 v[134:135], v[4:5] offset:2304
	s_wait_xcnt 0x0
	s_or_b32 exec_lo, exec_lo, s0
                                        ; implicit-def: $vgpr144_vgpr145
	s_and_saveexec_b32 s0, s11
	s_cbranch_execz .LBB1524_47
.LBB1524_214:
	flat_load_b64 v[144:145], v[4:5] offset:2560
	s_wait_xcnt 0x0
	s_or_b32 exec_lo, exec_lo, s0
                                        ; implicit-def: $vgpr146_vgpr147
	s_and_saveexec_b32 s0, s12
	s_cbranch_execz .LBB1524_48
.LBB1524_215:
	flat_load_b64 v[146:147], v[4:5] offset:2816
	s_wait_xcnt 0x0
	s_or_b32 exec_lo, exec_lo, s0
                                        ; implicit-def: $vgpr148_vgpr149
	s_and_saveexec_b32 s0, s13
	s_cbranch_execz .LBB1524_49
.LBB1524_216:
	flat_load_b64 v[148:149], v[4:5] offset:3072
	s_wait_xcnt 0x0
	s_or_b32 exec_lo, exec_lo, s0
                                        ; implicit-def: $vgpr150_vgpr151
	s_and_saveexec_b32 s0, s14
	s_cbranch_execz .LBB1524_50
.LBB1524_217:
	flat_load_b64 v[150:151], v[4:5] offset:3328
	s_wait_xcnt 0x0
	s_or_b32 exec_lo, exec_lo, s0
                                        ; implicit-def: $vgpr160_vgpr161
	s_and_saveexec_b32 s0, s15
	s_cbranch_execz .LBB1524_51
.LBB1524_218:
	flat_load_b64 v[160:161], v[4:5] offset:3584
	s_wait_xcnt 0x0
	s_or_b32 exec_lo, exec_lo, s0
                                        ; implicit-def: $vgpr162_vgpr163
	s_and_saveexec_b32 s0, s16
	s_cbranch_execz .LBB1524_52
.LBB1524_219:
	flat_load_b64 v[162:163], v[4:5] offset:3840
	s_wait_xcnt 0x0
	s_or_b32 exec_lo, exec_lo, s0
                                        ; implicit-def: $vgpr164_vgpr165
	s_and_saveexec_b32 s0, s17
	s_cbranch_execnz .LBB1524_53
	s_branch .LBB1524_54
.LBB1524_220:
	flat_store_b64 v[2:3], v[48:49]
	s_wait_xcnt 0x0
	s_or_b32 exec_lo, exec_lo, s21
	s_and_saveexec_b32 s21, s0
	s_cbranch_execz .LBB1524_134
.LBB1524_221:
	flat_store_b64 v[2:3], v[50:51] offset:2048
	s_wait_xcnt 0x0
	s_or_b32 exec_lo, exec_lo, s21
	s_and_saveexec_b32 s0, s1
	s_cbranch_execz .LBB1524_135
.LBB1524_222:
	flat_store_b64 v[2:3], v[34:35] offset:4096
	s_wait_xcnt 0x0
	s_or_b32 exec_lo, exec_lo, s0
	s_and_saveexec_b32 s0, s2
	s_cbranch_execz .LBB1524_136
.LBB1524_223:
	flat_store_b64 v[2:3], v[36:37] offset:6144
	s_wait_xcnt 0x0
	s_or_b32 exec_lo, exec_lo, s0
	s_and_saveexec_b32 s0, s3
	s_cbranch_execz .LBB1524_137
.LBB1524_224:
	flat_store_b64 v[2:3], v[30:31] offset:8192
	s_wait_xcnt 0x0
	s_or_b32 exec_lo, exec_lo, s0
	s_and_saveexec_b32 s0, s4
	s_cbranch_execz .LBB1524_138
.LBB1524_225:
	flat_store_b64 v[2:3], v[32:33] offset:10240
	s_wait_xcnt 0x0
	s_or_b32 exec_lo, exec_lo, s0
	s_and_saveexec_b32 s0, s5
	s_cbranch_execz .LBB1524_139
.LBB1524_226:
	flat_store_b64 v[2:3], v[26:27] offset:12288
	s_wait_xcnt 0x0
	s_or_b32 exec_lo, exec_lo, s0
	s_and_saveexec_b32 s0, s6
	s_cbranch_execz .LBB1524_140
.LBB1524_227:
	flat_store_b64 v[2:3], v[28:29] offset:14336
	s_wait_xcnt 0x0
	s_or_b32 exec_lo, exec_lo, s0
	s_and_saveexec_b32 s0, s7
	s_cbranch_execz .LBB1524_141
.LBB1524_228:
	flat_store_b64 v[2:3], v[22:23] offset:16384
	s_wait_xcnt 0x0
	s_or_b32 exec_lo, exec_lo, s0
	s_and_saveexec_b32 s0, s10
	s_cbranch_execz .LBB1524_142
.LBB1524_229:
	flat_store_b64 v[2:3], v[24:25] offset:18432
	s_wait_xcnt 0x0
	s_or_b32 exec_lo, exec_lo, s0
	s_and_saveexec_b32 s0, s11
	s_cbranch_execz .LBB1524_143
.LBB1524_230:
	flat_store_b64 v[2:3], v[18:19] offset:20480
	s_wait_xcnt 0x0
	s_or_b32 exec_lo, exec_lo, s0
	s_and_saveexec_b32 s0, s12
	s_cbranch_execz .LBB1524_144
.LBB1524_231:
	flat_store_b64 v[2:3], v[20:21] offset:22528
	s_wait_xcnt 0x0
	s_or_b32 exec_lo, exec_lo, s0
	s_and_saveexec_b32 s0, s13
	s_cbranch_execz .LBB1524_145
.LBB1524_232:
	flat_store_b64 v[2:3], v[14:15] offset:24576
	s_wait_xcnt 0x0
	s_or_b32 exec_lo, exec_lo, s0
	s_and_saveexec_b32 s0, s14
	s_cbranch_execz .LBB1524_146
.LBB1524_233:
	flat_store_b64 v[2:3], v[16:17] offset:26624
	s_wait_xcnt 0x0
	s_or_b32 exec_lo, exec_lo, s0
	s_and_saveexec_b32 s0, s15
	s_cbranch_execz .LBB1524_147
.LBB1524_234:
	flat_store_b64 v[2:3], v[10:11] offset:28672
	s_wait_xcnt 0x0
	s_or_b32 exec_lo, exec_lo, s0
	s_and_saveexec_b32 s0, s16
	s_cbranch_execz .LBB1524_148
.LBB1524_235:
	flat_store_b64 v[2:3], v[12:13] offset:30720
	s_wait_xcnt 0x0
	s_or_b32 exec_lo, exec_lo, s0
	s_and_saveexec_b32 s0, s17
	s_cbranch_execnz .LBB1524_149
	s_branch .LBB1524_150
.LBB1524_236:
	s_or_b32 exec_lo, exec_lo, s20
	v_mad_nc_u64_u32 v[0:1], v0, 7, v[130:131]
	v_mad_nc_u64_u32 v[10:11], v68, 7, v[128:129]
	v_add_nc_u32_e32 v29, v12, v26
	v_mad_nc_u64_u32 v[12:13], v70, 7, v[118:119]
	v_mad_nc_u64_u32 v[16:17], v82, 7, v[116:117]
	;; [unrolled: 1-line block ×3, first 2 shown]
	s_barrier_signal -1
	s_barrier_wait -1
	ds_store_b8 v130, v193
	ds_store_b8 v128, v194
	;; [unrolled: 1-line block ×8, first 2 shown]
	s_wait_dscnt 0x0
	s_barrier_signal -1
	s_barrier_wait -1
	ds_load_u8 v48, v29
	ds_load_u8 v39, v29 offset:256
	ds_load_u8 v38, v29 offset:512
	;; [unrolled: 1-line block ×7, first 2 shown]
	s_wait_dscnt 0x0
	s_barrier_signal -1
	v_mad_nc_u64_u32 v[52:53], v84, 7, v[112:113]
	s_barrier_wait -1
	ds_store_b64 v0, v[14:15]
	ds_store_b64 v10, v[30:31]
	ds_store_b64 v12, v[34:35]
	ds_store_b64 v16, v[32:33]
	v_mul_u32_u24_e32 v0, 7, v26
	v_mad_nc_u64_u32 v[54:55], v86, 7, v[102:103]
	v_mad_nc_u64_u32 v[64:65], v96, 7, v[100:101]
	ds_store_b64 v50, v[18:19]
	ds_store_b64 v52, v[22:23]
	;; [unrolled: 1-line block ×4, first 2 shown]
	v_dual_mov_b32 v29, 0 :: v_dual_add_nc_u32 v0, v29, v0
	s_wait_dscnt 0x0
	s_barrier_signal -1
	s_barrier_wait -1
	ds_load_2addr_stride64_b64 v[22:25], v0 offset1:4
	ds_load_2addr_stride64_b64 v[18:21], v0 offset0:8 offset1:12
	ds_load_2addr_stride64_b64 v[14:17], v0 offset0:16 offset1:20
	;; [unrolled: 1-line block ×3, first 2 shown]
	v_add_nc_u64_e32 v[0:1], v[2:3], v[8:9]
	s_set_vgpr_msb 4                        ;  msbs: dst=0 src0=0 src1=1 src2=0
	v_cmp_lt_u32_e32 vcc_lo, v28, v28 /*v284*/
	s_wait_dscnt 0x0
	s_barrier_signal -1
	s_barrier_wait -1
	s_set_vgpr_msb 0                        ;  msbs: dst=0 src0=0 src1=0 src2=0
	v_add_nc_u64_e32 v[0:1], v[0:1], v[28:29]
	s_and_saveexec_b32 s0, vcc_lo
	s_cbranch_execz .LBB1524_238
; %bb.237:
	v_xor_b32_e32 v2, 1, v48
	flat_store_b8 v[0:1], v2
.LBB1524_238:
	s_wait_xcnt 0x0
	s_or_b32 exec_lo, exec_lo, s0
	v_add_nc_u32_e32 v2, 0x100, v28
	s_set_vgpr_msb 4                        ;  msbs: dst=0 src0=0 src1=1 src2=0
	s_delay_alu instid0(VALU_DEP_1)
	v_cmp_lt_u32_e64 s0, v2, v28 /*v284*/
	s_and_saveexec_b32 s1, s0
	s_set_vgpr_msb 0                        ;  msbs: dst=0 src0=0 src1=0 src2=0
	s_cbranch_execz .LBB1524_240
; %bb.239:
	v_xor_b32_e32 v2, 1, v39
	flat_store_b8 v[0:1], v2 offset:256
.LBB1524_240:
	s_wait_xcnt 0x0
	s_or_b32 exec_lo, exec_lo, s1
	v_add_nc_u32_e32 v2, 0x200, v28
	s_set_vgpr_msb 4                        ;  msbs: dst=0 src0=0 src1=1 src2=0
	s_delay_alu instid0(VALU_DEP_1)
	v_cmp_lt_u32_e64 s1, v2, v28 /*v284*/
	s_and_saveexec_b32 s2, s1
	s_set_vgpr_msb 0                        ;  msbs: dst=0 src0=0 src1=0 src2=0
	s_cbranch_execz .LBB1524_242
; %bb.241:
	v_xor_b32_e32 v2, 1, v38
	flat_store_b8 v[0:1], v2 offset:512
.LBB1524_242:
	s_wait_xcnt 0x0
	s_or_b32 exec_lo, exec_lo, s2
	v_add_nc_u32_e32 v2, 0x300, v28
	s_set_vgpr_msb 4                        ;  msbs: dst=0 src0=0 src1=1 src2=0
	s_delay_alu instid0(VALU_DEP_1)
	v_cmp_lt_u32_e64 s2, v2, v28 /*v284*/
	s_and_saveexec_b32 s3, s2
	s_set_vgpr_msb 0                        ;  msbs: dst=0 src0=0 src1=0 src2=0
	s_cbranch_execz .LBB1524_244
; %bb.243:
	v_xor_b32_e32 v2, 1, v37
	flat_store_b8 v[0:1], v2 offset:768
.LBB1524_244:
	s_wait_xcnt 0x0
	s_or_b32 exec_lo, exec_lo, s3
	v_add_nc_u32_e32 v2, 0x400, v28
	s_set_vgpr_msb 4                        ;  msbs: dst=0 src0=0 src1=1 src2=0
	s_delay_alu instid0(VALU_DEP_1)
	v_cmp_lt_u32_e64 s3, v2, v28 /*v284*/
	s_and_saveexec_b32 s4, s3
	s_set_vgpr_msb 0                        ;  msbs: dst=0 src0=0 src1=0 src2=0
	s_cbranch_execz .LBB1524_246
; %bb.245:
	v_xor_b32_e32 v2, 1, v36
	flat_store_b8 v[0:1], v2 offset:1024
.LBB1524_246:
	s_wait_xcnt 0x0
	s_or_b32 exec_lo, exec_lo, s4
	v_add_nc_u32_e32 v2, 0x500, v28
	s_set_vgpr_msb 4                        ;  msbs: dst=0 src0=0 src1=1 src2=0
	s_delay_alu instid0(VALU_DEP_1)
	v_cmp_lt_u32_e64 s4, v2, v28 /*v284*/
	s_and_saveexec_b32 s5, s4
	s_set_vgpr_msb 0                        ;  msbs: dst=0 src0=0 src1=0 src2=0
	s_cbranch_execz .LBB1524_248
; %bb.247:
	v_xor_b32_e32 v2, 1, v27
	flat_store_b8 v[0:1], v2 offset:1280
.LBB1524_248:
	s_wait_xcnt 0x0
	s_or_b32 exec_lo, exec_lo, s5
	v_add_nc_u32_e32 v2, 0x600, v28
	s_set_vgpr_msb 4                        ;  msbs: dst=0 src0=0 src1=1 src2=0
	s_delay_alu instid0(VALU_DEP_1)
	v_cmp_lt_u32_e64 s5, v2, v28 /*v284*/
	s_and_saveexec_b32 s6, s5
	s_set_vgpr_msb 0                        ;  msbs: dst=0 src0=0 src1=0 src2=0
	s_cbranch_execz .LBB1524_250
; %bb.249:
	v_xor_b32_e32 v2, 1, v5
	flat_store_b8 v[0:1], v2 offset:1536
.LBB1524_250:
	s_wait_xcnt 0x0
	s_or_b32 exec_lo, exec_lo, s6
	v_add_nc_u32_e32 v2, 0x700, v28
	s_set_vgpr_msb 4                        ;  msbs: dst=0 src0=0 src1=1 src2=0
	s_delay_alu instid0(VALU_DEP_1)
	v_cmp_lt_u32_e64 s6, v2, v28 /*v284*/
	s_and_saveexec_b32 s7, s6
	s_set_vgpr_msb 0                        ;  msbs: dst=0 src0=0 src1=0 src2=0
	s_cbranch_execz .LBB1524_252
; %bb.251:
	v_xor_b32_e32 v2, 1, v4
	flat_store_b8 v[0:1], v2 offset:1792
.LBB1524_252:
	s_wait_xcnt 0x0
	s_or_b32 exec_lo, exec_lo, s7
	v_lshl_add_u64 v[0:1], v[8:9], 3, v[6:7]
	s_delay_alu instid0(VALU_DEP_1)
	v_lshl_add_u64 v[0:1], v[28:29], 3, v[0:1]
	s_and_saveexec_b32 s7, vcc_lo
	s_cbranch_execnz .LBB1524_302
; %bb.253:
	s_or_b32 exec_lo, exec_lo, s7
	s_and_saveexec_b32 s7, s0
	s_cbranch_execnz .LBB1524_303
.LBB1524_254:
	s_or_b32 exec_lo, exec_lo, s7
	s_and_saveexec_b32 s0, s1
	s_cbranch_execnz .LBB1524_304
.LBB1524_255:
	s_or_b32 exec_lo, exec_lo, s0
	s_and_saveexec_b32 s0, s2
	s_cbranch_execnz .LBB1524_305
.LBB1524_256:
	s_or_b32 exec_lo, exec_lo, s0
	s_and_saveexec_b32 s0, s3
	s_cbranch_execnz .LBB1524_306
.LBB1524_257:
	s_or_b32 exec_lo, exec_lo, s0
	s_and_saveexec_b32 s0, s4
	s_cbranch_execnz .LBB1524_307
.LBB1524_258:
	s_or_b32 exec_lo, exec_lo, s0
	s_and_saveexec_b32 s0, s5
	s_cbranch_execnz .LBB1524_308
.LBB1524_259:
	s_or_b32 exec_lo, exec_lo, s0
	s_and_saveexec_b32 s0, s6
	s_cbranch_execz .LBB1524_261
.LBB1524_260:
	flat_store_b64 v[0:1], v[12:13] offset:14336
.LBB1524_261:
	s_wait_xcnt 0x0
	s_or_b32 exec_lo, exec_lo, s0
                                        ; implicit-def: $vgpr284
                                        ; implicit-def: $vgpr8
                                        ; implicit-def: $vgpr10
                                        ; implicit-def: $vgpr11
                                        ; implicit-def: $vgpr0_vgpr1
                                        ; implicit-def: $vgpr2_vgpr3
                                        ; implicit-def: $vgpr4_vgpr5
                                        ; implicit-def: $vgpr6_vgpr7
                                        ; implicit-def: $vgpr12_vgpr13
                                        ; implicit-def: $vgpr9
                                        ; implicit-def: $vgpr14
                                        ; implicit-def: $vgpr26
                                        ; implicit-def: $vgpr18
.LBB1524_262:
	s_and_not1_saveexec_b32 s0, s16
	s_cbranch_execz .LBB1524_382
; %bb.263:
	s_mov_b32 s0, exec_lo
	s_set_vgpr_msb 4                        ;  msbs: dst=0 src0=0 src1=1 src2=0
	v_cmpx_lt_u32_e32 0x200, v28 /*v284*/
	s_xor_b32 s16, exec_lo, s0
	s_set_vgpr_msb 0                        ;  msbs: dst=0 src0=0 src1=0 src2=0
	s_cbranch_execz .LBB1524_323
; %bb.264:
	s_load_b64 s[0:1], s[8:9], 0x0
	s_bfe_u32 s3, ttmp6, 0x4000c
	s_bfe_u32 s5, ttmp6, 0x40010
	s_and_b32 s4, ttmp7, 0xffff
	s_add_co_i32 s3, s3, 1
	s_add_co_i32 s5, s5, 1
	s_and_b32 s2, ttmp6, 15
	s_bfe_u32 s6, ttmp6, 0x40004
	s_mul_i32 s3, ttmp9, s3
	s_mul_i32 s5, s4, s5
	s_add_co_i32 s2, s2, s3
	s_add_co_i32 s6, s6, s5
	s_cmp_eq_u32 s19, 0
	s_mov_b32 s3, 0
	s_cselect_b32 s2, ttmp9, s2
	s_cselect_b32 s4, s4, s6
	s_wait_kmcnt 0x0
	s_cmp_lt_u32 s2, s0
	s_cselect_b32 s2, 12, 18
	s_cmp_lt_u32 s4, s1
	s_mov_b32 s1, s3
	s_cselect_b32 s0, 14, 20
	s_delay_alu instid0(SALU_CYCLE_1)
	s_add_nc_u64 s[0:1], s[8:9], s[0:1]
	s_load_u16 s4, s[0:1], 0x0
	s_wait_xcnt 0x0
	s_add_nc_u64 s[0:1], s[8:9], s[2:3]
	s_load_u16 s0, s[0:1], 0x0
	s_wait_kmcnt 0x0
	v_mad_u32_u24 v9, v14, s4, v9
	s_delay_alu instid0(VALU_DEP_1) | instskip(SKIP_1) | instid1(VALU_DEP_1)
	v_mad_u32 v20, v9, s0, v26
	v_mov_b32_e32 v9, 0
	v_add_nc_u64_e32 v[14:15], v[0:1], v[8:9]
	s_delay_alu instid0(VALU_DEP_3) | instskip(SKIP_2) | instid1(VALU_DEP_3)
	v_dual_mov_b32 v19, v9 :: v_dual_lshlrev_b32 v0, 2, v20
	v_dual_mov_b32 v1, v9 :: v_dual_mov_b32 v17, v9
	v_mov_b32_e32 v16, v9
	v_and_b32_e32 v0, 0xffffff80, v0
	s_delay_alu instid0(VALU_DEP_4) | instskip(NEXT) | instid1(VALU_DEP_2)
	v_add_nc_u64_e32 v[14:15], v[14:15], v[18:19]
	v_or_b32_e32 v22, v0, v18
	s_delay_alu instid0(VALU_DEP_2) | instskip(SKIP_1) | instid1(VALU_DEP_2)
	v_add_nc_u64_e32 v[14:15], v[14:15], v[0:1]
	s_set_vgpr_msb 4                        ;  msbs: dst=0 src0=0 src1=1 src2=0
	v_cmp_lt_u32_e32 vcc_lo, v22, v28 /*v284*/
	s_and_saveexec_b32 s0, vcc_lo
	s_set_vgpr_msb 0                        ;  msbs: dst=0 src0=0 src1=0 src2=0
	s_cbranch_execz .LBB1524_266
; %bb.265:
	flat_load_u8 v16, v[14:15]
	v_dual_mov_b32 v17, v9 :: v_dual_mov_b32 v19, v9
.LBB1524_266:
	s_wait_xcnt 0x0
	s_or_b32 exec_lo, exec_lo, s0
	v_or_b32_e32 v21, 32, v22
	s_set_vgpr_msb 4                        ;  msbs: dst=0 src0=0 src1=1 src2=0
	s_delay_alu instid0(VALU_DEP_1)
	v_cmp_lt_u32_e64 s0, v21, v28 /*v284*/
	v_mov_b32_e32 v21, v9
	s_and_saveexec_b32 s1, s0
	s_set_vgpr_msb 0                        ;  msbs: dst=0 src0=0 src1=0 src2=0
	s_cbranch_execz .LBB1524_268
; %bb.267:
	flat_load_u8 v21, v[14:15] offset:32
.LBB1524_268:
	s_wait_xcnt 0x0
	s_or_b32 exec_lo, exec_lo, s1
	v_or_b32_e32 v23, 64, v22
	s_set_vgpr_msb 4                        ;  msbs: dst=0 src0=0 src1=1 src2=0
	s_delay_alu instid0(VALU_DEP_1)
	v_cmp_lt_u32_e64 s1, v23, v28 /*v284*/
	s_and_saveexec_b32 s2, s1
	s_set_vgpr_msb 0                        ;  msbs: dst=0 src0=0 src1=0 src2=0
	s_cbranch_execz .LBB1524_270
; %bb.269:
	flat_load_u8 v17, v[14:15] offset:64
.LBB1524_270:
	s_wait_xcnt 0x0
	s_or_b32 exec_lo, exec_lo, s2
	v_or_b32_e32 v22, 0x60, v22
	s_set_vgpr_msb 4                        ;  msbs: dst=0 src0=0 src1=1 src2=0
	s_delay_alu instid0(VALU_DEP_1)
	v_cmp_lt_u32_e64 s2, v22, v28 /*v284*/
	s_and_saveexec_b32 s3, s2
	s_set_vgpr_msb 0                        ;  msbs: dst=0 src0=0 src1=0 src2=0
	s_cbranch_execz .LBB1524_272
; %bb.271:
	flat_load_u8 v19, v[14:15] offset:96
.LBB1524_272:
	s_wait_xcnt 0x0
	s_or_b32 exec_lo, exec_lo, s3
	v_lshl_add_u64 v[4:5], v[8:9], 3, v[4:5]
	v_dual_mov_b32 v15, 0 :: v_dual_lshlrev_b32 v14, 3, v18
                                        ; implicit-def: $vgpr24_vgpr25
	s_delay_alu instid0(VALU_DEP_1) | instskip(NEXT) | instid1(VALU_DEP_1)
	v_add_nc_u64_e32 v[4:5], v[4:5], v[14:15]
	v_lshl_add_u64 v[0:1], v[0:1], 3, v[4:5]
	s_and_saveexec_b32 s3, vcc_lo
	s_cbranch_execnz .LBB1524_347
; %bb.273:
	s_or_b32 exec_lo, exec_lo, s3
                                        ; implicit-def: $vgpr28_vgpr29
	s_and_saveexec_b32 s3, s0
	s_cbranch_execnz .LBB1524_348
.LBB1524_274:
	s_or_b32 exec_lo, exec_lo, s3
                                        ; implicit-def: $vgpr30_vgpr31
	s_and_saveexec_b32 s0, s1
	s_cbranch_execnz .LBB1524_349
.LBB1524_275:
	s_or_b32 exec_lo, exec_lo, s0
                                        ; implicit-def: $vgpr32_vgpr33
	s_and_saveexec_b32 s0, s2
	s_cbranch_execz .LBB1524_277
.LBB1524_276:
	flat_load_b64 v[32:33], v[0:1] offset:768
.LBB1524_277:
	s_wait_xcnt 0x0
	s_or_b32 exec_lo, exec_lo, s0
	s_wait_loadcnt_dscnt 0x0
	v_and_b32_e32 v1, 1, v19
	v_and_b32_e32 v5, 1, v16
	;; [unrolled: 1-line block ×3, first 2 shown]
	v_dual_lshrrev_b32 v70, 5, v20 :: v_dual_bitop2_b32 v4, 1, v17 bitop3:0x40
	s_delay_alu instid0(VALU_DEP_4) | instskip(NEXT) | instid1(VALU_DEP_4)
	v_cmp_eq_u32_e64 s0, 1, v1
	v_cmp_eq_u32_e64 s2, 1, v5
	s_delay_alu instid0(VALU_DEP_4) | instskip(NEXT) | instid1(VALU_DEP_4)
	v_cmp_eq_u32_e32 vcc_lo, 1, v0
	v_cmp_eq_u32_e64 s1, 1, v4
	v_cmp_lt_u32_e64 s7, 31, v26
	s_xor_b32 s0, s0, -1
	v_cmp_eq_u32_e64 s10, 0, v26
	v_cndmask_b32_e64 v1, 0, 1, s0
	s_xor_b32 s0, s2, -1
	s_xor_b32 s3, vcc_lo, -1
	v_cndmask_b32_e64 v4, 0, 1, s0
	s_xor_b32 s0, s1, -1
	v_cndmask_b32_e64 v0, 0, 1, s3
	v_cndmask_b32_e64 v5, 0, 1, s0
	v_lshlrev_b16 v1, 8, v1
	s_get_pc_i64 s[0:1]
	s_add_nc_u64 s[0:1], s[0:1], _ZN7rocprim17ROCPRIM_400000_NS16block_radix_sortIbLj256ELj4ElLj1ELj1ELj8ELNS0_26block_radix_rank_algorithmE2ELNS0_18block_padding_hintE2ELNS0_4arch9wavefront6targetE0EE19radix_bits_per_passE@rel64+4
	v_sub_nc_u32_e32 v100, v11, v10
	v_lshlrev_b16 v0, 8, v0
	s_load_b32 s17, s[0:1], 0x0
	v_or_b32_e32 v1, v5, v1
	v_sub_co_u32 v5, s2, v18, 1
	s_mov_b32 s20, 0
	s_wait_storecnt 0x0
	s_barrier_signal -1
	v_cmp_gt_i32_e64 s6, 0, v5
	v_or_b32_e32 v0, v4, v0
	v_lshl_add_u32 v4, v26, 5, v12
	s_barrier_wait -1
	s_delay_alu instid0(VALU_DEP_2) | instskip(NEXT) | instid1(VALU_DEP_2)
	v_and_b32_e32 v0, 0xffff, v0
	v_dual_add_nc_u32 v64, 40, v4 :: v_dual_lshlrev_b32 v1, 16, v1
	v_dual_add_nc_u32 v65, 44, v4 :: v_dual_add_nc_u32 v21, 32, v4
	v_dual_add_nc_u32 v27, 36, v4 :: v_dual_add_nc_u32 v66, 48, v4
	s_delay_alu instid0(VALU_DEP_3) | instskip(SKIP_3) | instid1(VALU_DEP_3)
	v_dual_add_nc_u32 v67, 52, v4 :: v_dual_bitop2_b32 v71, v0, v1 bitop3:0x54
	v_and_b32_e32 v0, 0x3e0, v26
	v_dual_add_nc_u32 v68, 56, v4 :: v_dual_bitop2_b32 v1, 15, v18 bitop3:0x40
	v_dual_add_nc_u32 v69, 60, v4 :: v_dual_bitop2_b32 v4, 16, v18 bitop3:0x40
	v_min_u32_e32 v0, 0xe0, v0
	s_delay_alu instid0(VALU_DEP_3)
	v_cmp_eq_u32_e32 vcc_lo, 0, v1
	s_wait_xcnt 0x0
	v_cmp_lt_u32_e64 s0, 1, v1
	v_cmp_lt_u32_e64 s1, 3, v1
	v_cmp_eq_u32_e64 s4, 0, v4
	v_dual_lshlrev_b32 v4, 2, v26 :: v_dual_bitop2_b32 v0, 31, v0 bitop3:0x54
	v_cmp_lt_u32_e64 s3, 7, v1
	v_cndmask_b32_e64 v1, v5, v18, s6
	v_cmp_gt_u32_e64 s6, 8, v26
	s_delay_alu instid0(VALU_DEP_4) | instskip(SKIP_3) | instid1(VALU_DEP_3)
	v_cmp_eq_u32_e64 s5, v26, v0
	v_lshrrev_b32_e32 v0, 3, v26
	v_and_or_b32 v5, 0xf80, v4, v18
	v_dual_mov_b32 v1, 0 :: v_dual_lshlrev_b32 v80, 2, v1
	v_and_b32_e32 v0, 0x7c, v0
	s_delay_alu instid0(VALU_DEP_3) | instskip(SKIP_2) | instid1(VALU_DEP_4)
	v_add_nc_u32_e32 v82, v12, v5
	v_mul_u32_u24_e32 v5, 7, v5
	v_add_nc_u32_e32 v83, v12, v4
	v_dual_add_nc_u32 v81, v12, v0 :: v_dual_bitop2_b32 v0, 7, v18 bitop3:0x40
	s_delay_alu instid0(VALU_DEP_3) | instskip(SKIP_1) | instid1(VALU_DEP_3)
	v_add_nc_u32_e32 v84, v82, v5
	v_mov_b64_e32 v[4:5], 0
	v_dual_add_nc_u32 v86, 32, v82 :: v_dual_add_nc_u32 v85, -4, v81
	s_delay_alu instid0(VALU_DEP_4)
	v_cmp_eq_u32_e64 s11, 0, v0
	v_cmp_lt_u32_e64 s12, 1, v0
	v_cmp_lt_u32_e64 s13, 3, v0
	v_add_nc_u32_e32 v87, 64, v82
	v_add_nc_u32_e32 v96, 0x60, v82
	;; [unrolled: 1-line block ×5, first 2 shown]
	s_branch .LBB1524_279
.LBB1524_278:                           ;   in Loop: Header=BB1524_279 Depth=1
	s_or_b32 exec_lo, exec_lo, s15
	s_delay_alu instid0(SALU_CYCLE_1) | instskip(NEXT) | instid1(SALU_CYCLE_1)
	s_and_b32 s14, exec_lo, s21
	s_or_b32 s20, s14, s20
	s_delay_alu instid0(SALU_CYCLE_1)
	s_and_not1_b32 exec_lo, exec_lo, s20
	s_cbranch_execz .LBB1524_309
.LBB1524_279:                           ; =>This Inner Loop Header: Depth=1
	s_wait_kmcnt 0x0
	v_min_u32_e32 v0, s17, v100
	v_and_b32_e32 v14, 0xff, v71
	v_mov_b64_e32 v[18:19], v[28:29]
	v_mov_b64_e32 v[16:17], v[30:31]
	ds_store_b64 v21, v[4:5]
	ds_store_b64 v64, v[4:5]
	v_lshlrev_b32_e64 v34, v0, -1
	v_lshrrev_b32_e32 v0, v10, v14
	ds_store_b64 v66, v[4:5]
	ds_store_b64 v68, v[4:5]
	s_wait_dscnt 0x0
	s_barrier_signal -1
	s_barrier_wait -1
	v_bitop3_b32 v0, v0, v34, v0 bitop3:0x30
	; wave barrier
	s_delay_alu instid0(VALU_DEP_1) | instskip(NEXT) | instid1(VALU_DEP_1)
	v_add_co_u32 v22, s14, v0, -1
	v_cndmask_b32_e64 v14, 0, 1, s14
	v_lshlrev_b32_e32 v0, 3, v0
	s_delay_alu instid0(VALU_DEP_2) | instskip(NEXT) | instid1(VALU_DEP_2)
	v_cmp_ne_u32_e64 s14, 0, v14
	v_add_lshl_u32 v0, v0, v70, 2
	v_mov_b64_e32 v[14:15], v[24:25]
	s_delay_alu instid0(VALU_DEP_3) | instskip(NEXT) | instid1(VALU_DEP_3)
	v_bitop3_b32 v28, s14, exec_lo, v22 bitop3:0x48
	v_add_nc_u64_e32 v[24:25], v[12:13], v[0:1]
	v_mov_b64_e32 v[22:23], v[32:33]
	s_delay_alu instid0(VALU_DEP_3) | instskip(SKIP_1) | instid1(VALU_DEP_4)
	v_mbcnt_lo_u32_b32 v0, v28, 0
	v_cmp_ne_u32_e64 s15, 0, v28
	v_add_nc_u64_e32 v[24:25], 32, v[24:25]
	s_delay_alu instid0(VALU_DEP_3) | instskip(SKIP_1) | instid1(SALU_CYCLE_1)
	v_cmp_eq_u32_e64 s14, 0, v0
	s_and_b32 s15, s15, s14
	s_and_saveexec_b32 s14, s15
; %bb.280:                              ;   in Loop: Header=BB1524_279 Depth=1
	v_bcnt_u32_b32 v25, v28, 0
	ds_store_b32 v24, v25
; %bb.281:                              ;   in Loop: Header=BB1524_279 Depth=1
	s_or_b32 exec_lo, exec_lo, s14
	v_bfe_u32 v25, v71, 8, 8
	v_not_b32_e32 v33, v34
	; wave barrier
	s_delay_alu instid0(VALU_DEP_2) | instskip(NEXT) | instid1(VALU_DEP_1)
	v_lshrrev_b32_e32 v25, v10, v25
	v_and_b32_e32 v25, v25, v33
	s_delay_alu instid0(VALU_DEP_1) | instskip(SKIP_1) | instid1(VALU_DEP_1)
	v_lshl_add_u32 v28, v25, 3, v70
	v_add_co_u32 v29, s14, v25, -1
	v_cndmask_b32_e64 v25, 0, 1, s14
	s_delay_alu instid0(VALU_DEP_3) | instskip(NEXT) | instid1(VALU_DEP_2)
	v_lshl_add_u32 v31, v28, 2, v12
	v_cmp_ne_u32_e64 s14, 0, v25
	ds_load_b32 v25, v31 offset:32
	; wave barrier
	v_bitop3_b32 v30, s14, exec_lo, v29 bitop3:0x48
	v_add_nc_u32_e32 v29, 32, v31
	s_delay_alu instid0(VALU_DEP_2) | instskip(SKIP_1) | instid1(VALU_DEP_2)
	v_mbcnt_lo_u32_b32 v28, v30, 0
	v_cmp_ne_u32_e64 s15, 0, v30
	v_cmp_eq_u32_e64 s14, 0, v28
	s_and_b32 s15, s15, s14
	s_delay_alu instid0(SALU_CYCLE_1)
	s_and_saveexec_b32 s14, s15
	s_cbranch_execz .LBB1524_283
; %bb.282:                              ;   in Loop: Header=BB1524_279 Depth=1
	s_wait_dscnt 0x0
	v_bcnt_u32_b32 v30, v30, v25
	ds_store_b32 v29, v30
.LBB1524_283:                           ;   in Loop: Header=BB1524_279 Depth=1
	s_or_b32 exec_lo, exec_lo, s14
	v_bfe_u32 v30, v71, 16, 8
	; wave barrier
	s_delay_alu instid0(VALU_DEP_1) | instskip(NEXT) | instid1(VALU_DEP_1)
	v_lshrrev_b32_e32 v30, v10, v30
	v_and_b32_e32 v30, v30, v33
	s_delay_alu instid0(VALU_DEP_1) | instskip(SKIP_1) | instid1(VALU_DEP_1)
	v_lshl_add_u32 v31, v30, 3, v70
	v_add_co_u32 v32, s14, v30, -1
	v_cndmask_b32_e64 v30, 0, 1, s14
	s_delay_alu instid0(VALU_DEP_3) | instskip(NEXT) | instid1(VALU_DEP_2)
	v_lshl_add_u32 v35, v31, 2, v12
	v_cmp_ne_u32_e64 s14, 0, v30
	ds_load_b32 v30, v35 offset:32
	; wave barrier
	v_bitop3_b32 v34, s14, exec_lo, v32 bitop3:0x48
	v_add_nc_u32_e32 v32, 32, v35
	s_delay_alu instid0(VALU_DEP_2) | instskip(SKIP_1) | instid1(VALU_DEP_2)
	v_mbcnt_lo_u32_b32 v31, v34, 0
	v_cmp_ne_u32_e64 s15, 0, v34
	v_cmp_eq_u32_e64 s14, 0, v31
	s_and_b32 s15, s15, s14
	s_delay_alu instid0(SALU_CYCLE_1)
	s_and_saveexec_b32 s14, s15
	s_cbranch_execz .LBB1524_285
; %bb.284:                              ;   in Loop: Header=BB1524_279 Depth=1
	s_wait_dscnt 0x0
	v_bcnt_u32_b32 v34, v34, v30
	ds_store_b32 v32, v34
.LBB1524_285:                           ;   in Loop: Header=BB1524_279 Depth=1
	s_or_b32 exec_lo, exec_lo, s14
	v_lshrrev_b32_e32 v101, 24, v71
	; wave barrier
	s_delay_alu instid0(VALU_DEP_1) | instskip(NEXT) | instid1(VALU_DEP_1)
	v_lshrrev_b32_e32 v34, v10, v101
	v_and_b32_e32 v33, v34, v33
	s_delay_alu instid0(VALU_DEP_1) | instskip(SKIP_1) | instid1(VALU_DEP_1)
	v_lshl_add_u32 v34, v33, 3, v70
	v_add_co_u32 v35, s14, v33, -1
	v_cndmask_b32_e64 v33, 0, 1, s14
	s_delay_alu instid0(VALU_DEP_3) | instskip(NEXT) | instid1(VALU_DEP_2)
	v_lshl_add_u32 v37, v34, 2, v12
	v_cmp_ne_u32_e64 s14, 0, v33
	ds_load_b32 v33, v37 offset:32
	; wave barrier
	v_bitop3_b32 v36, s14, exec_lo, v35 bitop3:0x48
	v_add_nc_u32_e32 v35, 32, v37
	s_delay_alu instid0(VALU_DEP_2) | instskip(SKIP_1) | instid1(VALU_DEP_2)
	v_mbcnt_lo_u32_b32 v34, v36, 0
	v_cmp_ne_u32_e64 s15, 0, v36
	v_cmp_eq_u32_e64 s14, 0, v34
	s_and_b32 s15, s15, s14
	s_delay_alu instid0(SALU_CYCLE_1)
	s_and_saveexec_b32 s14, s15
	s_cbranch_execz .LBB1524_287
; %bb.286:                              ;   in Loop: Header=BB1524_279 Depth=1
	s_wait_dscnt 0x0
	v_bcnt_u32_b32 v36, v36, v33
	ds_store_b32 v35, v36
.LBB1524_287:                           ;   in Loop: Header=BB1524_279 Depth=1
	s_or_b32 exec_lo, exec_lo, s14
	; wave barrier
	s_wait_dscnt 0x0
	s_barrier_signal -1
	s_barrier_wait -1
	ds_load_b32 v37, v21
	ds_load_b32 v38, v27
	;; [unrolled: 1-line block ×8, first 2 shown]
	s_wait_dscnt 0x6
	v_add_nc_u32_e32 v52, v38, v37
	s_wait_dscnt 0x4
	s_delay_alu instid0(VALU_DEP_1) | instskip(SKIP_1) | instid1(VALU_DEP_1)
	v_add3_u32 v52, v52, v39, v48
	s_wait_dscnt 0x2
	v_add3_u32 v52, v52, v49, v50
	s_wait_dscnt 0x0
	s_delay_alu instid0(VALU_DEP_1) | instskip(NEXT) | instid1(VALU_DEP_1)
	v_add3_u32 v51, v52, v36, v51
	v_mov_b32_dpp v52, v51 row_shr:1 row_mask:0xf bank_mask:0xf
	s_delay_alu instid0(VALU_DEP_1) | instskip(NEXT) | instid1(VALU_DEP_1)
	v_cndmask_b32_e64 v52, v52, 0, vcc_lo
	v_add_nc_u32_e32 v51, v52, v51
	s_delay_alu instid0(VALU_DEP_1) | instskip(NEXT) | instid1(VALU_DEP_1)
	v_mov_b32_dpp v52, v51 row_shr:2 row_mask:0xf bank_mask:0xf
	v_cndmask_b32_e64 v52, 0, v52, s0
	s_delay_alu instid0(VALU_DEP_1) | instskip(NEXT) | instid1(VALU_DEP_1)
	v_add_nc_u32_e32 v51, v51, v52
	v_mov_b32_dpp v52, v51 row_shr:4 row_mask:0xf bank_mask:0xf
	s_delay_alu instid0(VALU_DEP_1) | instskip(NEXT) | instid1(VALU_DEP_1)
	v_cndmask_b32_e64 v52, 0, v52, s1
	v_add_nc_u32_e32 v51, v51, v52
	s_delay_alu instid0(VALU_DEP_1) | instskip(NEXT) | instid1(VALU_DEP_1)
	v_mov_b32_dpp v52, v51 row_shr:8 row_mask:0xf bank_mask:0xf
	v_cndmask_b32_e64 v52, 0, v52, s3
	s_delay_alu instid0(VALU_DEP_1) | instskip(SKIP_3) | instid1(VALU_DEP_1)
	v_add_nc_u32_e32 v51, v51, v52
	ds_swizzle_b32 v52, v51 offset:swizzle(BROADCAST,32,15)
	s_wait_dscnt 0x0
	v_cndmask_b32_e64 v52, v52, 0, s4
	v_add_nc_u32_e32 v51, v51, v52
	s_and_saveexec_b32 s14, s5
; %bb.288:                              ;   in Loop: Header=BB1524_279 Depth=1
	ds_store_b32 v81, v51
; %bb.289:                              ;   in Loop: Header=BB1524_279 Depth=1
	s_or_b32 exec_lo, exec_lo, s14
	s_wait_dscnt 0x0
	s_barrier_signal -1
	s_barrier_wait -1
	s_and_saveexec_b32 s14, s6
	s_cbranch_execz .LBB1524_291
; %bb.290:                              ;   in Loop: Header=BB1524_279 Depth=1
	ds_load_b32 v52, v83
	s_wait_dscnt 0x0
	v_mov_b32_dpp v53, v52 row_shr:1 row_mask:0xf bank_mask:0xf
	s_delay_alu instid0(VALU_DEP_1) | instskip(NEXT) | instid1(VALU_DEP_1)
	v_cndmask_b32_e64 v53, v53, 0, s11
	v_add_nc_u32_e32 v52, v53, v52
	s_delay_alu instid0(VALU_DEP_1) | instskip(NEXT) | instid1(VALU_DEP_1)
	v_mov_b32_dpp v53, v52 row_shr:2 row_mask:0xf bank_mask:0xf
	v_cndmask_b32_e64 v53, 0, v53, s12
	s_delay_alu instid0(VALU_DEP_1) | instskip(NEXT) | instid1(VALU_DEP_1)
	v_add_nc_u32_e32 v52, v52, v53
	v_mov_b32_dpp v53, v52 row_shr:4 row_mask:0xf bank_mask:0xf
	s_delay_alu instid0(VALU_DEP_1) | instskip(NEXT) | instid1(VALU_DEP_1)
	v_cndmask_b32_e64 v53, 0, v53, s13
	v_add_nc_u32_e32 v52, v52, v53
	ds_store_b32 v83, v52
.LBB1524_291:                           ;   in Loop: Header=BB1524_279 Depth=1
	s_or_b32 exec_lo, exec_lo, s14
	v_mov_b32_e32 v52, 0
	s_wait_dscnt 0x0
	s_barrier_signal -1
	s_barrier_wait -1
	s_and_saveexec_b32 s14, s7
; %bb.292:                              ;   in Loop: Header=BB1524_279 Depth=1
	ds_load_b32 v52, v85
; %bb.293:                              ;   in Loop: Header=BB1524_279 Depth=1
	s_or_b32 exec_lo, exec_lo, s14
	s_wait_dscnt 0x0
	v_add_nc_u32_e32 v51, v52, v51
	v_lshrrev_b32_e32 v103, 8, v71
	s_mov_b32 s21, -1
	s_mov_b32 s15, exec_lo
	v_add_nc_u32_e32 v10, 8, v10
	ds_bpermute_b32 v51, v80, v51
	v_mov_b32_e32 v102, v71
	s_wait_dscnt 0x0
	v_cndmask_b32_e64 v51, v51, v52, s2
	s_delay_alu instid0(VALU_DEP_1) | instskip(NEXT) | instid1(VALU_DEP_1)
	v_cndmask_b32_e64 v51, v51, 0, s10
	v_add_nc_u32_e32 v37, v51, v37
	s_delay_alu instid0(VALU_DEP_1) | instskip(NEXT) | instid1(VALU_DEP_1)
	v_add_nc_u32_e32 v38, v37, v38
	v_add_nc_u32_e32 v39, v38, v39
	s_delay_alu instid0(VALU_DEP_1) | instskip(NEXT) | instid1(VALU_DEP_1)
	v_add_nc_u32_e32 v48, v39, v48
	v_add_nc_u32_e32 v49, v48, v49
	s_delay_alu instid0(VALU_DEP_1)
	v_add_nc_u32_e32 v50, v49, v50
	ds_store_b32 v21, v51
	ds_store_b32 v27, v37
	;; [unrolled: 1-line block ×3, first 2 shown]
	v_dual_mov_b32 v37, v1 :: v_dual_add_nc_u32 v36, v50, v36
	ds_store_b32 v65, v39
	ds_store_b32 v66, v48
	;; [unrolled: 1-line block ×5, first 2 shown]
	s_wait_dscnt 0x0
	s_barrier_signal -1
	s_barrier_wait -1
	ds_load_b32 v24, v24
	ds_load_b32 v29, v29
	;; [unrolled: 1-line block ×4, first 2 shown]
	v_dual_mov_b32 v49, v1 :: v_dual_mov_b32 v39, v1
	s_wait_dscnt 0x0
	v_add_nc_u32_e32 v48, v24, v0
	v_add3_u32 v0, v28, v25, v29
	v_add3_u32 v38, v31, v30, v32
	;; [unrolled: 1-line block ×3, first 2 shown]
                                        ; implicit-def: $vgpr24_vgpr25
                                        ; implicit-def: $vgpr28_vgpr29
                                        ; implicit-def: $vgpr30_vgpr31
                                        ; implicit-def: $vgpr32_vgpr33
	s_delay_alu instid0(VALU_DEP_4) | instskip(NEXT) | instid1(VALU_DEP_4)
	v_add_nc_u64_e32 v[54:55], v[12:13], v[48:49]
	v_add_nc_u64_e32 v[52:53], v[12:13], v[0:1]
	s_delay_alu instid0(VALU_DEP_4) | instskip(NEXT) | instid1(VALU_DEP_3)
	v_add_nc_u64_e32 v[50:51], v[12:13], v[38:39]
	v_mad_nc_u64_u32 v[34:35], v48, 7, v[54:55]
	v_add_nc_u64_e32 v[48:49], v[12:13], v[36:37]
	v_lshrrev_b32_e32 v35, 16, v71
	v_cmpx_lt_u32_e64 v10, v11
	s_cbranch_execz .LBB1524_278
; %bb.294:                              ;   in Loop: Header=BB1524_279 Depth=1
	v_mad_nc_u64_u32 v[24:25], v0, 7, v[52:53]
	v_mad_nc_u64_u32 v[28:29], v38, 7, v[50:51]
	s_barrier_signal -1
	s_barrier_wait -1
	ds_store_b8 v54, v71
	ds_store_b8 v52, v103
	;; [unrolled: 1-line block ×4, first 2 shown]
	s_wait_dscnt 0x0
	s_barrier_signal -1
	s_barrier_wait -1
	ds_load_u8 v37, v86
	v_mad_nc_u64_u32 v[30:31], v36, 7, v[48:49]
	ds_load_u8 v39, v82
	ds_load_u8 v55, v96
	;; [unrolled: 1-line block ×3, first 2 shown]
	s_wait_dscnt 0x0
	s_barrier_signal -1
	s_barrier_wait -1
	ds_store_b64 v34, v[14:15]
	ds_store_b64 v24, v[18:19]
	;; [unrolled: 1-line block ×4, first 2 shown]
	s_wait_dscnt 0x0
	s_barrier_signal -1
	s_barrier_wait -1
	ds_load_b64 v[24:25], v84
	ds_load_b64 v[28:29], v97
	;; [unrolled: 1-line block ×4, first 2 shown]
	v_add_nc_u32_e32 v100, -8, v100
	s_xor_b32 s21, exec_lo, -1
	s_wait_dscnt 0x0
	s_barrier_signal -1
	s_barrier_wait -1
	v_perm_b32 v37, v39, v37, 0xc0c0004
	v_perm_b32 v39, v71, v55, 0xc0c0004
	s_delay_alu instid0(VALU_DEP_1)
	v_lshl_or_b32 v71, v39, 16, v37
	s_branch .LBB1524_278
.LBB1524_295:
	flat_load_b64 v[36:37], v[0:1]
	s_wait_xcnt 0x0
	s_or_b32 exec_lo, exec_lo, s7
                                        ; implicit-def: $vgpr38_vgpr39
	s_and_saveexec_b32 s7, s0
	s_cbranch_execz .LBB1524_171
.LBB1524_296:
	flat_load_b64 v[38:39], v[0:1] offset:256
	s_wait_xcnt 0x0
	s_or_b32 exec_lo, exec_lo, s7
                                        ; implicit-def: $vgpr48_vgpr49
	s_and_saveexec_b32 s0, s1
	s_cbranch_execz .LBB1524_172
.LBB1524_297:
	flat_load_b64 v[48:49], v[0:1] offset:512
	s_wait_xcnt 0x0
	s_or_b32 exec_lo, exec_lo, s0
                                        ; implicit-def: $vgpr50_vgpr51
	s_and_saveexec_b32 s0, s2
	s_cbranch_execz .LBB1524_173
.LBB1524_298:
	flat_load_b64 v[50:51], v[0:1] offset:768
	s_wait_xcnt 0x0
	s_or_b32 exec_lo, exec_lo, s0
                                        ; implicit-def: $vgpr52_vgpr53
	s_and_saveexec_b32 s0, s3
	s_cbranch_execz .LBB1524_174
.LBB1524_299:
	flat_load_b64 v[52:53], v[0:1] offset:1024
	s_wait_xcnt 0x0
	s_or_b32 exec_lo, exec_lo, s0
                                        ; implicit-def: $vgpr54_vgpr55
	s_and_saveexec_b32 s0, s4
	s_cbranch_execz .LBB1524_175
.LBB1524_300:
	flat_load_b64 v[54:55], v[0:1] offset:1280
	s_wait_xcnt 0x0
	s_or_b32 exec_lo, exec_lo, s0
                                        ; implicit-def: $vgpr64_vgpr65
	s_and_saveexec_b32 s0, s5
	s_cbranch_execz .LBB1524_176
.LBB1524_301:
	flat_load_b64 v[64:65], v[0:1] offset:1536
	s_wait_xcnt 0x0
	s_or_b32 exec_lo, exec_lo, s0
                                        ; implicit-def: $vgpr66_vgpr67
	s_and_saveexec_b32 s0, s6
	s_cbranch_execnz .LBB1524_177
	s_branch .LBB1524_178
.LBB1524_302:
	flat_store_b64 v[0:1], v[22:23]
	s_wait_xcnt 0x0
	s_or_b32 exec_lo, exec_lo, s7
	s_and_saveexec_b32 s7, s0
	s_cbranch_execz .LBB1524_254
.LBB1524_303:
	flat_store_b64 v[0:1], v[24:25] offset:2048
	s_wait_xcnt 0x0
	s_or_b32 exec_lo, exec_lo, s7
	s_and_saveexec_b32 s0, s1
	s_cbranch_execz .LBB1524_255
.LBB1524_304:
	flat_store_b64 v[0:1], v[18:19] offset:4096
	s_wait_xcnt 0x0
	s_or_b32 exec_lo, exec_lo, s0
	s_and_saveexec_b32 s0, s2
	s_cbranch_execz .LBB1524_256
.LBB1524_305:
	flat_store_b64 v[0:1], v[20:21] offset:6144
	s_wait_xcnt 0x0
	s_or_b32 exec_lo, exec_lo, s0
	s_and_saveexec_b32 s0, s3
	s_cbranch_execz .LBB1524_257
.LBB1524_306:
	flat_store_b64 v[0:1], v[14:15] offset:8192
	s_wait_xcnt 0x0
	s_or_b32 exec_lo, exec_lo, s0
	s_and_saveexec_b32 s0, s4
	s_cbranch_execz .LBB1524_258
.LBB1524_307:
	flat_store_b64 v[0:1], v[16:17] offset:10240
	s_wait_xcnt 0x0
	s_or_b32 exec_lo, exec_lo, s0
	s_and_saveexec_b32 s0, s5
	s_cbranch_execz .LBB1524_259
.LBB1524_308:
	flat_store_b64 v[0:1], v[10:11] offset:12288
	s_wait_xcnt 0x0
	s_or_b32 exec_lo, exec_lo, s0
	s_and_saveexec_b32 s0, s6
	s_cbranch_execnz .LBB1524_260
	s_branch .LBB1524_261
.LBB1524_309:
	s_or_b32 exec_lo, exec_lo, s20
	v_mad_nc_u64_u32 v[0:1], v0, 7, v[52:53]
	v_mad_nc_u64_u32 v[10:11], v38, 7, v[50:51]
	v_add_nc_u32_e32 v21, v12, v26
	v_mad_nc_u64_u32 v[12:13], v36, 7, v[48:49]
	v_mul_u32_u24_e32 v1, 7, v26
	s_barrier_signal -1
	s_barrier_wait -1
	ds_store_b8 v54, v102
	ds_store_b8 v52, v103
	;; [unrolled: 1-line block ×4, first 2 shown]
	s_wait_dscnt 0x0
	s_barrier_signal -1
	s_barrier_wait -1
	ds_load_u8 v25, v21
	ds_load_u8 v24, v21 offset:256
	ds_load_u8 v5, v21 offset:512
	;; [unrolled: 1-line block ×3, first 2 shown]
	s_wait_dscnt 0x0
	s_barrier_signal -1
	s_barrier_wait -1
	ds_store_b64 v34, v[14:15]
	ds_store_b64 v0, v[18:19]
	;; [unrolled: 1-line block ×4, first 2 shown]
	v_dual_mov_b32 v21, 0 :: v_dual_add_nc_u32 v0, v21, v1
	s_wait_dscnt 0x0
	s_barrier_signal -1
	s_barrier_wait -1
	ds_load_2addr_stride64_b64 v[14:17], v0 offset1:4
	ds_load_2addr_stride64_b64 v[10:13], v0 offset0:8 offset1:12
	v_add_nc_u64_e32 v[0:1], v[2:3], v[8:9]
	s_set_vgpr_msb 4                        ;  msbs: dst=0 src0=0 src1=1 src2=0
	v_cmp_lt_u32_e32 vcc_lo, v20, v28 /*v284*/
	s_wait_dscnt 0x0
	s_barrier_signal -1
	s_barrier_wait -1
	s_set_vgpr_msb 0                        ;  msbs: dst=0 src0=0 src1=0 src2=0
	v_add_nc_u64_e32 v[0:1], v[0:1], v[20:21]
	s_and_saveexec_b32 s0, vcc_lo
	s_cbranch_execz .LBB1524_311
; %bb.310:
	v_xor_b32_e32 v2, 1, v25
	flat_store_b8 v[0:1], v2
.LBB1524_311:
	s_wait_xcnt 0x0
	s_or_b32 exec_lo, exec_lo, s0
	v_add_nc_u32_e32 v2, 0x100, v20
	s_set_vgpr_msb 4                        ;  msbs: dst=0 src0=0 src1=1 src2=0
	s_delay_alu instid0(VALU_DEP_1)
	v_cmp_lt_u32_e64 s0, v2, v28 /*v284*/
	s_and_saveexec_b32 s1, s0
	s_set_vgpr_msb 0                        ;  msbs: dst=0 src0=0 src1=0 src2=0
	s_cbranch_execz .LBB1524_313
; %bb.312:
	v_xor_b32_e32 v2, 1, v24
	flat_store_b8 v[0:1], v2 offset:256
.LBB1524_313:
	s_wait_xcnt 0x0
	s_or_b32 exec_lo, exec_lo, s1
	v_add_nc_u32_e32 v2, 0x200, v20
	s_set_vgpr_msb 4                        ;  msbs: dst=0 src0=0 src1=1 src2=0
	s_delay_alu instid0(VALU_DEP_1)
	v_cmp_lt_u32_e64 s1, v2, v28 /*v284*/
	s_and_saveexec_b32 s2, s1
	s_set_vgpr_msb 0                        ;  msbs: dst=0 src0=0 src1=0 src2=0
	s_cbranch_execz .LBB1524_315
; %bb.314:
	v_xor_b32_e32 v2, 1, v5
	flat_store_b8 v[0:1], v2 offset:512
.LBB1524_315:
	;; [unrolled: 13-line block ×3, first 2 shown]
	s_wait_xcnt 0x0
	s_or_b32 exec_lo, exec_lo, s3
	v_lshl_add_u64 v[0:1], v[8:9], 3, v[6:7]
	s_delay_alu instid0(VALU_DEP_1)
	v_lshl_add_u64 v[0:1], v[20:21], 3, v[0:1]
	s_and_saveexec_b32 s3, vcc_lo
	s_cbranch_execnz .LBB1524_350
; %bb.318:
	s_or_b32 exec_lo, exec_lo, s3
	s_and_saveexec_b32 s3, s0
	s_cbranch_execnz .LBB1524_351
.LBB1524_319:
	s_or_b32 exec_lo, exec_lo, s3
	s_and_saveexec_b32 s0, s1
	s_cbranch_execnz .LBB1524_352
.LBB1524_320:
	s_or_b32 exec_lo, exec_lo, s0
	s_and_saveexec_b32 s0, s2
	s_cbranch_execz .LBB1524_322
.LBB1524_321:
	flat_store_b64 v[0:1], v[12:13] offset:6144
.LBB1524_322:
	s_wait_xcnt 0x0
	s_or_b32 exec_lo, exec_lo, s0
                                        ; implicit-def: $vgpr284
                                        ; implicit-def: $vgpr8
                                        ; implicit-def: $vgpr10
                                        ; implicit-def: $vgpr11
                                        ; implicit-def: $vgpr0_vgpr1
                                        ; implicit-def: $vgpr2_vgpr3
                                        ; implicit-def: $vgpr4_vgpr5
                                        ; implicit-def: $vgpr6_vgpr7
                                        ; implicit-def: $vgpr12_vgpr13
                                        ; implicit-def: $vgpr9
                                        ; implicit-def: $vgpr14
                                        ; implicit-def: $vgpr26
                                        ; implicit-def: $vgpr18
.LBB1524_323:
	s_and_not1_saveexec_b32 s0, s16
	s_cbranch_execz .LBB1524_382
; %bb.324:
	s_load_b64 s[0:1], s[8:9], 0x0
	s_bfe_u32 s3, ttmp6, 0x4000c
	s_bfe_u32 s5, ttmp6, 0x40010
	s_and_b32 s4, ttmp7, 0xffff
	s_add_co_i32 s3, s3, 1
	s_add_co_i32 s5, s5, 1
	s_and_b32 s2, ttmp6, 15
	s_bfe_u32 s6, ttmp6, 0x40004
	s_mul_i32 s3, ttmp9, s3
	s_mul_i32 s5, s4, s5
	s_add_co_i32 s2, s2, s3
	s_add_co_i32 s6, s6, s5
	s_cmp_eq_u32 s19, 0
	s_cselect_b32 s2, ttmp9, s2
	s_cselect_b32 s3, s4, s6
	s_wait_kmcnt 0x0
	s_cmp_lt_u32 s2, s0
	s_cselect_b32 s0, 12, 18
	s_cmp_lt_u32 s3, s1
	s_mov_b32 s1, 0
	s_cselect_b32 s2, 14, 20
	s_mov_b32 s3, s1
	s_add_nc_u64 s[0:1], s[8:9], s[0:1]
	s_add_nc_u64 s[2:3], s[8:9], s[2:3]
	s_clause 0x1
	s_load_u16 s0, s[0:1], 0x0
	s_nop 0
	s_load_u16 s2, s[2:3], 0x0
	s_wait_kmcnt 0x0
	v_mad_u32_u24 v9, v14, s2, v9
	s_delay_alu instid0(VALU_DEP_1)
	v_mad_u32 v14, v9, s0, v26
	v_mov_b32_e32 v9, 0
	s_mov_b32 s0, exec_lo
	s_set_vgpr_msb 4                        ;  msbs: dst=0 src0=0 src1=1 src2=0
	v_cmpx_lt_u32_e32 0x100, v28 /*v284*/
	s_xor_b32 s14, exec_lo, s0
	s_set_vgpr_msb 0                        ;  msbs: dst=0 src0=0 src1=0 src2=0
	s_cbranch_execz .LBB1524_362
; %bb.325:
	v_add_nc_u64_e32 v[16:17], v[0:1], v[8:9]
	s_delay_alu instid0(VALU_DEP_4) | instskip(SKIP_1) | instid1(VALU_DEP_2)
	v_dual_mov_b32 v19, v9 :: v_dual_lshlrev_b32 v0, 1, v14
	v_mov_b32_e32 v15, v9
	v_and_b32_e32 v0, 0xffffffc0, v0
	s_delay_alu instid0(VALU_DEP_3) | instskip(NEXT) | instid1(VALU_DEP_2)
	v_add_nc_u64_e32 v[16:17], v[16:17], v[18:19]
	v_dual_mov_b32 v1, v9 :: v_dual_bitop2_b32 v19, v18, v0 bitop3:0x54
	s_delay_alu instid0(VALU_DEP_1) | instskip(SKIP_1) | instid1(VALU_DEP_2)
	v_add_nc_u64_e32 v[16:17], v[16:17], v[0:1]
	s_set_vgpr_msb 4                        ;  msbs: dst=0 src0=0 src1=1 src2=0
	v_cmp_lt_u32_e32 vcc_lo, v19, v28 /*v284*/
	s_and_saveexec_b32 s0, vcc_lo
	s_set_vgpr_msb 0                        ;  msbs: dst=0 src0=0 src1=0 src2=0
	s_cbranch_execz .LBB1524_327
; %bb.326:
	flat_load_u8 v15, v[16:17]
.LBB1524_327:
	s_wait_xcnt 0x0
	s_or_b32 exec_lo, exec_lo, s0
	v_or_b32_e32 v19, 32, v19
	s_set_vgpr_msb 4                        ;  msbs: dst=0 src0=0 src1=1 src2=0
	s_delay_alu instid0(VALU_DEP_1)
	v_cmp_lt_u32_e64 s0, v19, v28 /*v284*/
	v_mov_b32_e32 v19, v9
	s_and_saveexec_b32 s1, s0
	s_set_vgpr_msb 0                        ;  msbs: dst=0 src0=0 src1=0 src2=0
	s_cbranch_execz .LBB1524_329
; %bb.328:
	flat_load_u8 v19, v[16:17] offset:32
.LBB1524_329:
	s_wait_xcnt 0x0
	s_or_b32 exec_lo, exec_lo, s1
	v_lshl_add_u64 v[4:5], v[8:9], 3, v[4:5]
	v_dual_mov_b32 v17, 0 :: v_dual_lshlrev_b32 v16, 3, v18
	v_mov_b64_e32 v[22:23], 0
	v_mov_b64_e32 v[20:21], 0
	s_delay_alu instid0(VALU_DEP_3) | instskip(NEXT) | instid1(VALU_DEP_1)
	v_add_nc_u64_e32 v[4:5], v[4:5], v[16:17]
	v_lshl_add_u64 v[0:1], v[0:1], 3, v[4:5]
	s_and_saveexec_b32 s1, vcc_lo
	s_cbranch_execz .LBB1524_331
; %bb.330:
	flat_load_b64 v[20:21], v[0:1]
.LBB1524_331:
	s_wait_xcnt 0x0
	s_or_b32 exec_lo, exec_lo, s1
	s_and_saveexec_b32 s1, s0
	s_cbranch_execz .LBB1524_333
; %bb.332:
	flat_load_b64 v[22:23], v[0:1] offset:256
.LBB1524_333:
	s_wait_xcnt 0x0
	s_or_b32 exec_lo, exec_lo, s1
	s_wait_loadcnt_dscnt 0x0
	v_and_b32_e32 v0, 1, v19
	v_dual_lshrrev_b32 v15, 5, v14 :: v_dual_bitop2_b32 v1, 1, v15 bitop3:0x40
	v_and_b32_e32 v5, 0x3e0, v26
	s_get_pc_i64 s[2:3]
	s_add_nc_u64 s[2:3], s[2:3], _ZN7rocprim17ROCPRIM_400000_NS16block_radix_sortIbLj256ELj2ElLj1ELj1ELj8ELNS0_26block_radix_rank_algorithmE2ELNS0_18block_padding_hintE2ELNS0_4arch9wavefront6targetE0EE19radix_bits_per_passE@rel64+4
	v_cmp_eq_u32_e32 vcc_lo, 1, v0
	v_lshl_add_u32 v0, v26, 5, v12
	v_and_b32_e32 v4, 15, v18
	s_load_b32 s15, s[2:3], 0x0
	v_cmp_lt_u32_e64 s7, 31, v26
	s_xor_b32 s1, vcc_lo, -1
	v_add_nc_u32_e32 v27, 32, v0
	v_cmp_eq_u32_e64 s0, 1, v1
	v_cndmask_b32_e64 v1, 0, 1, s1
	v_dual_add_nc_u32 v34, 36, v0 :: v_dual_add_nc_u32 v35, 40, v0
	v_add_nc_u32_e32 v36, 44, v0
	s_xor_b32 s0, s0, -1
	s_delay_alu instid0(VALU_DEP_3) | instskip(SKIP_3) | instid1(VALU_DEP_3)
	v_lshlrev_b16 v1, 8, v1
	v_cndmask_b32_e64 v16, 0, 1, s0
	v_dual_add_nc_u32 v38, 52, v0 :: v_dual_add_nc_u32 v39, 56, v0
	v_dual_add_nc_u32 v37, 48, v0 :: v_dual_add_nc_u32 v48, 60, v0
	v_or_b32_e32 v1, v16, v1
	v_min_u32_e32 v0, 0xe0, v5
	v_cmp_eq_u32_e32 vcc_lo, 0, v4
	v_cmp_lt_u32_e64 s0, 1, v4
	v_cmp_lt_u32_e64 s1, 3, v4
	s_wait_xcnt 0x0
	v_cmp_lt_u32_e64 s2, 7, v4
	v_sub_co_u32 v4, s3, v18, 1
	v_and_b32_e32 v49, 0xffff, v1
	v_and_b32_e32 v1, 16, v18
	v_or_b32_e32 v0, 31, v0
	s_delay_alu instid0(VALU_DEP_4)
	v_cmp_gt_i32_e64 s6, 0, v4
	v_cmp_eq_u32_e64 s8, 0, v26
	v_lshl_add_u32 v53, v26, 2, v12
	v_cmp_eq_u32_e64 s4, 0, v1
	v_lshlrev_b32_e32 v1, 1, v26
	v_cmp_eq_u32_e64 s5, v26, v0
	v_cndmask_b32_e64 v4, v4, v18, s6
	v_lshrrev_b32_e32 v0, 3, v26
	v_cmp_gt_u32_e64 s6, 8, v26
	v_and_or_b32 v1, 0x7c0, v1, v18
	s_delay_alu instid0(VALU_DEP_4) | instskip(NEXT) | instid1(VALU_DEP_4)
	v_dual_sub_nc_u32 v66, v11, v10 :: v_dual_lshlrev_b32 v50, 2, v4
	v_and_b32_e32 v0, 0x7c, v0
	s_mov_b32 s16, 0
	s_delay_alu instid0(VALU_DEP_3) | instskip(SKIP_1) | instid1(VALU_DEP_3)
	v_add_nc_u32_e32 v52, v12, v1
	v_mul_u32_u24_e32 v4, 7, v1
	v_dual_mov_b32 v1, 0 :: v_dual_add_nc_u32 v51, v12, v0
	s_delay_alu instid0(VALU_DEP_3) | instskip(NEXT) | instid1(VALU_DEP_3)
	v_dual_add_nc_u32 v64, 32, v52 :: v_dual_bitop2_b32 v0, 7, v18 bitop3:0x40
	v_add_nc_u32_e32 v54, v52, v4
	v_mov_b64_e32 v[4:5], 0
	s_delay_alu instid0(VALU_DEP_4) | instskip(NEXT) | instid1(VALU_DEP_4)
	v_add_nc_u32_e32 v55, -4, v51
	v_cmp_eq_u32_e64 s9, 0, v0
	v_cmp_lt_u32_e64 s10, 1, v0
	v_cmp_lt_u32_e64 s11, 3, v0
	v_add_nc_u32_e32 v65, 0x100, v54
	s_wait_storecnt 0x0
	s_barrier_signal -1
	s_barrier_wait -1
	s_branch .LBB1524_335
.LBB1524_334:                           ;   in Loop: Header=BB1524_335 Depth=1
	s_or_b32 exec_lo, exec_lo, s13
	s_delay_alu instid0(SALU_CYCLE_1) | instskip(NEXT) | instid1(SALU_CYCLE_1)
	s_and_b32 s12, exec_lo, s17
	s_or_b32 s16, s12, s16
	s_delay_alu instid0(SALU_CYCLE_1)
	s_and_not1_b32 exec_lo, exec_lo, s16
	s_cbranch_execz .LBB1524_353
.LBB1524_335:                           ; =>This Inner Loop Header: Depth=1
	s_wait_kmcnt 0x0
	v_min_u32_e32 v0, s15, v66
	v_and_b32_e32 v16, 0xff, v49
	ds_store_b64 v27, v[4:5]
	ds_store_b64 v35, v[4:5]
	;; [unrolled: 1-line block ×4, first 2 shown]
	s_wait_dscnt 0x0
	v_lshlrev_b32_e64 v24, v0, -1
	v_lshrrev_b32_e32 v0, v10, v16
	s_barrier_signal -1
	s_barrier_wait -1
	s_delay_alu instid0(VALU_DEP_1) | instskip(NEXT) | instid1(VALU_DEP_1)
	v_bitop3_b32 v0, v0, v24, v0 bitop3:0x30
	; wave barrier
	v_add_co_u32 v18, s12, v0, -1
	s_delay_alu instid0(VALU_DEP_1) | instskip(SKIP_1) | instid1(VALU_DEP_2)
	v_cndmask_b32_e64 v16, 0, 1, s12
	v_lshlrev_b32_e32 v0, 3, v0
	v_cmp_ne_u32_e64 s12, 0, v16
	s_delay_alu instid0(VALU_DEP_2) | instskip(SKIP_1) | instid1(VALU_DEP_3)
	v_add_lshl_u32 v0, v0, v15, 2
	v_mov_b64_e32 v[16:17], v[22:23]
	v_bitop3_b32 v22, s12, exec_lo, v18 bitop3:0x48
	v_mov_b64_e32 v[18:19], v[20:21]
	s_delay_alu instid0(VALU_DEP_4) | instskip(NEXT) | instid1(VALU_DEP_3)
	v_add_nc_u64_e32 v[20:21], v[12:13], v[0:1]
	v_mbcnt_lo_u32_b32 v0, v22, 0
	v_cmp_ne_u32_e64 s13, 0, v22
	s_delay_alu instid0(VALU_DEP_3) | instskip(NEXT) | instid1(VALU_DEP_3)
	v_add_nc_u64_e32 v[20:21], 32, v[20:21]
	v_cmp_eq_u32_e64 s12, 0, v0
	s_and_b32 s13, s13, s12
	s_delay_alu instid0(SALU_CYCLE_1)
	s_and_saveexec_b32 s12, s13
; %bb.336:                              ;   in Loop: Header=BB1524_335 Depth=1
	v_bcnt_u32_b32 v21, v22, 0
	ds_store_b32 v20, v21
; %bb.337:                              ;   in Loop: Header=BB1524_335 Depth=1
	s_or_b32 exec_lo, exec_lo, s12
	v_lshrrev_b16 v67, 8, v49
	v_not_b32_e32 v22, v24
	; wave barrier
	s_delay_alu instid0(VALU_DEP_2) | instskip(NEXT) | instid1(VALU_DEP_1)
	v_and_b32_e32 v21, 0xffff, v67
	v_lshrrev_b32_e32 v21, v10, v21
	s_delay_alu instid0(VALU_DEP_1) | instskip(NEXT) | instid1(VALU_DEP_1)
	v_and_b32_e32 v21, v21, v22
	v_lshl_add_u32 v22, v21, 3, v15
	v_add_co_u32 v23, s12, v21, -1
	s_delay_alu instid0(VALU_DEP_1) | instskip(NEXT) | instid1(VALU_DEP_3)
	v_cndmask_b32_e64 v21, 0, 1, s12
	v_lshl_add_u32 v25, v22, 2, v12
	s_delay_alu instid0(VALU_DEP_2) | instskip(SKIP_3) | instid1(VALU_DEP_2)
	v_cmp_ne_u32_e64 s12, 0, v21
	ds_load_b32 v21, v25 offset:32
	; wave barrier
	v_bitop3_b32 v24, s12, exec_lo, v23 bitop3:0x48
	v_add_nc_u32_e32 v23, 32, v25
	v_mbcnt_lo_u32_b32 v22, v24, 0
	v_cmp_ne_u32_e64 s13, 0, v24
	s_delay_alu instid0(VALU_DEP_2) | instskip(SKIP_1) | instid1(SALU_CYCLE_1)
	v_cmp_eq_u32_e64 s12, 0, v22
	s_and_b32 s13, s13, s12
	s_and_saveexec_b32 s12, s13
	s_cbranch_execz .LBB1524_339
; %bb.338:                              ;   in Loop: Header=BB1524_335 Depth=1
	s_wait_dscnt 0x0
	v_bcnt_u32_b32 v24, v24, v21
	ds_store_b32 v23, v24
.LBB1524_339:                           ;   in Loop: Header=BB1524_335 Depth=1
	s_or_b32 exec_lo, exec_lo, s12
	; wave barrier
	s_wait_dscnt 0x0
	s_barrier_signal -1
	s_barrier_wait -1
	ds_load_b32 v25, v27
	ds_load_b32 v28, v34
	ds_load_b32 v29, v35
	ds_load_b32 v30, v36
	ds_load_b32 v31, v37
	ds_load_b32 v32, v38
	ds_load_b32 v24, v39
	ds_load_b32 v33, v48
	s_wait_dscnt 0x6
	v_add_nc_u32_e32 v68, v28, v25
	s_wait_dscnt 0x4
	s_delay_alu instid0(VALU_DEP_1) | instskip(SKIP_1) | instid1(VALU_DEP_1)
	v_add3_u32 v68, v68, v29, v30
	s_wait_dscnt 0x2
	v_add3_u32 v68, v68, v31, v32
	s_wait_dscnt 0x0
	s_delay_alu instid0(VALU_DEP_1) | instskip(NEXT) | instid1(VALU_DEP_1)
	v_add3_u32 v33, v68, v24, v33
	v_mov_b32_dpp v68, v33 row_shr:1 row_mask:0xf bank_mask:0xf
	s_delay_alu instid0(VALU_DEP_1) | instskip(NEXT) | instid1(VALU_DEP_1)
	v_cndmask_b32_e64 v68, v68, 0, vcc_lo
	v_add_nc_u32_e32 v33, v68, v33
	s_delay_alu instid0(VALU_DEP_1) | instskip(NEXT) | instid1(VALU_DEP_1)
	v_mov_b32_dpp v68, v33 row_shr:2 row_mask:0xf bank_mask:0xf
	v_cndmask_b32_e64 v68, 0, v68, s0
	s_delay_alu instid0(VALU_DEP_1) | instskip(NEXT) | instid1(VALU_DEP_1)
	v_add_nc_u32_e32 v33, v33, v68
	v_mov_b32_dpp v68, v33 row_shr:4 row_mask:0xf bank_mask:0xf
	s_delay_alu instid0(VALU_DEP_1) | instskip(NEXT) | instid1(VALU_DEP_1)
	v_cndmask_b32_e64 v68, 0, v68, s1
	v_add_nc_u32_e32 v33, v33, v68
	s_delay_alu instid0(VALU_DEP_1) | instskip(NEXT) | instid1(VALU_DEP_1)
	v_mov_b32_dpp v68, v33 row_shr:8 row_mask:0xf bank_mask:0xf
	v_cndmask_b32_e64 v68, 0, v68, s2
	s_delay_alu instid0(VALU_DEP_1) | instskip(SKIP_3) | instid1(VALU_DEP_1)
	v_add_nc_u32_e32 v33, v33, v68
	ds_swizzle_b32 v68, v33 offset:swizzle(BROADCAST,32,15)
	s_wait_dscnt 0x0
	v_cndmask_b32_e64 v68, v68, 0, s4
	v_add_nc_u32_e32 v33, v33, v68
	s_and_saveexec_b32 s12, s5
; %bb.340:                              ;   in Loop: Header=BB1524_335 Depth=1
	ds_store_b32 v51, v33
; %bb.341:                              ;   in Loop: Header=BB1524_335 Depth=1
	s_or_b32 exec_lo, exec_lo, s12
	s_wait_dscnt 0x0
	s_barrier_signal -1
	s_barrier_wait -1
	s_and_saveexec_b32 s12, s6
	s_cbranch_execz .LBB1524_343
; %bb.342:                              ;   in Loop: Header=BB1524_335 Depth=1
	ds_load_b32 v68, v53
	s_wait_dscnt 0x0
	v_mov_b32_dpp v69, v68 row_shr:1 row_mask:0xf bank_mask:0xf
	s_delay_alu instid0(VALU_DEP_1) | instskip(NEXT) | instid1(VALU_DEP_1)
	v_cndmask_b32_e64 v69, v69, 0, s9
	v_add_nc_u32_e32 v68, v69, v68
	s_delay_alu instid0(VALU_DEP_1) | instskip(NEXT) | instid1(VALU_DEP_1)
	v_mov_b32_dpp v69, v68 row_shr:2 row_mask:0xf bank_mask:0xf
	v_cndmask_b32_e64 v69, 0, v69, s10
	s_delay_alu instid0(VALU_DEP_1) | instskip(NEXT) | instid1(VALU_DEP_1)
	v_add_nc_u32_e32 v68, v68, v69
	v_mov_b32_dpp v69, v68 row_shr:4 row_mask:0xf bank_mask:0xf
	s_delay_alu instid0(VALU_DEP_1) | instskip(NEXT) | instid1(VALU_DEP_1)
	v_cndmask_b32_e64 v69, 0, v69, s11
	v_add_nc_u32_e32 v68, v68, v69
	ds_store_b32 v53, v68
.LBB1524_343:                           ;   in Loop: Header=BB1524_335 Depth=1
	s_or_b32 exec_lo, exec_lo, s12
	v_mov_b32_e32 v68, 0
	s_wait_dscnt 0x0
	s_barrier_signal -1
	s_barrier_wait -1
	s_and_saveexec_b32 s12, s7
; %bb.344:                              ;   in Loop: Header=BB1524_335 Depth=1
	ds_load_b32 v68, v55
; %bb.345:                              ;   in Loop: Header=BB1524_335 Depth=1
	s_or_b32 exec_lo, exec_lo, s12
	s_wait_dscnt 0x0
	v_add_nc_u32_e32 v33, v68, v33
	s_mov_b32 s17, -1
	s_mov_b32 s13, exec_lo
	v_add_nc_u32_e32 v10, 8, v10
	ds_bpermute_b32 v33, v50, v33
	s_wait_dscnt 0x0
	v_cndmask_b32_e64 v33, v33, v68, s3
	s_delay_alu instid0(VALU_DEP_1) | instskip(NEXT) | instid1(VALU_DEP_1)
	v_cndmask_b32_e64 v33, v33, 0, s8
	v_add_nc_u32_e32 v25, v33, v25
	s_delay_alu instid0(VALU_DEP_1) | instskip(NEXT) | instid1(VALU_DEP_1)
	v_add_nc_u32_e32 v28, v25, v28
	v_add_nc_u32_e32 v29, v28, v29
	s_delay_alu instid0(VALU_DEP_1) | instskip(NEXT) | instid1(VALU_DEP_1)
	v_add_nc_u32_e32 v30, v29, v30
	v_add_nc_u32_e32 v31, v30, v31
	ds_store_b32 v27, v33
	ds_store_b32 v34, v25
	;; [unrolled: 1-line block ×3, first 2 shown]
	v_add_nc_u32_e32 v32, v31, v32
	s_delay_alu instid0(VALU_DEP_1)
	v_add_nc_u32_e32 v24, v32, v24
	ds_store_b32 v36, v29
	ds_store_b32 v37, v30
	;; [unrolled: 1-line block ×5, first 2 shown]
	s_wait_dscnt 0x0
	s_barrier_signal -1
	s_barrier_wait -1
	ds_load_b32 v20, v20
	ds_load_b32 v24, v23
	v_mov_b32_e32 v23, v1
	s_wait_dscnt 0x0
	v_add_nc_u32_e32 v0, v20, v0
	v_add3_u32 v22, v22, v21, v24
                                        ; implicit-def: $vgpr20_vgpr21
	s_delay_alu instid0(VALU_DEP_2) | instskip(NEXT) | instid1(VALU_DEP_2)
	v_add_nc_u64_e32 v[30:31], v[12:13], v[0:1]
	v_add_nc_u64_e32 v[32:33], v[12:13], v[22:23]
	s_delay_alu instid0(VALU_DEP_2) | instskip(NEXT) | instid1(VALU_DEP_2)
	v_mad_nc_u64_u32 v[24:25], v0, 7, v[30:31]
	v_mad_nc_u64_u32 v[28:29], v22, 7, v[32:33]
	v_mov_b32_e32 v0, v49
                                        ; implicit-def: $vgpr22_vgpr23
	v_cmpx_lt_u32_e64 v10, v11
	s_cbranch_execz .LBB1524_334
; %bb.346:                              ;   in Loop: Header=BB1524_335 Depth=1
	s_barrier_signal -1
	s_barrier_wait -1
	ds_store_b8 v30, v49
	ds_store_b8 v32, v67
	s_wait_dscnt 0x0
	s_barrier_signal -1
	s_barrier_wait -1
	ds_load_u8 v25, v64
	ds_load_u8 v29, v52
	s_wait_dscnt 0x0
	s_barrier_signal -1
	s_barrier_wait -1
	ds_store_b64 v24, v[18:19]
	ds_store_b64 v28, v[16:17]
	s_wait_dscnt 0x0
	s_barrier_signal -1
	s_barrier_wait -1
	ds_load_b64 v[20:21], v54
	ds_load_b64 v[22:23], v65
	v_add_nc_u32_e32 v66, -8, v66
	s_xor_b32 s17, exec_lo, -1
	s_wait_dscnt 0x0
	s_barrier_signal -1
	s_barrier_wait -1
	v_perm_b32 v49, v29, v25, 0xc0c0004
	s_branch .LBB1524_334
.LBB1524_347:
	flat_load_b64 v[24:25], v[0:1]
	s_wait_xcnt 0x0
	s_or_b32 exec_lo, exec_lo, s3
                                        ; implicit-def: $vgpr28_vgpr29
	s_and_saveexec_b32 s3, s0
	s_cbranch_execz .LBB1524_274
.LBB1524_348:
	flat_load_b64 v[28:29], v[0:1] offset:256
	s_wait_xcnt 0x0
	s_or_b32 exec_lo, exec_lo, s3
                                        ; implicit-def: $vgpr30_vgpr31
	s_and_saveexec_b32 s0, s1
	s_cbranch_execz .LBB1524_275
.LBB1524_349:
	flat_load_b64 v[30:31], v[0:1] offset:512
	s_wait_xcnt 0x0
	s_or_b32 exec_lo, exec_lo, s0
                                        ; implicit-def: $vgpr32_vgpr33
	s_and_saveexec_b32 s0, s2
	s_cbranch_execnz .LBB1524_276
	s_branch .LBB1524_277
.LBB1524_350:
	flat_store_b64 v[0:1], v[14:15]
	s_wait_xcnt 0x0
	s_or_b32 exec_lo, exec_lo, s3
	s_and_saveexec_b32 s3, s0
	s_cbranch_execz .LBB1524_319
.LBB1524_351:
	flat_store_b64 v[0:1], v[16:17] offset:2048
	s_wait_xcnt 0x0
	s_or_b32 exec_lo, exec_lo, s3
	s_and_saveexec_b32 s0, s1
	s_cbranch_execz .LBB1524_320
.LBB1524_352:
	flat_store_b64 v[0:1], v[10:11] offset:4096
	s_wait_xcnt 0x0
	s_or_b32 exec_lo, exec_lo, s0
	s_and_saveexec_b32 s0, s2
	s_cbranch_execnz .LBB1524_321
	s_branch .LBB1524_322
.LBB1524_353:
	s_or_b32 exec_lo, exec_lo, s16
	s_barrier_signal -1
	s_barrier_wait -1
	ds_store_b8 v30, v0
	ds_store_b8 v32, v67
	v_dual_mov_b32 v15, 0 :: v_dual_add_nc_u32 v0, v12, v26
	v_mul_u32_u24_e32 v1, 7, v26
	s_wait_dscnt 0x0
	s_barrier_signal -1
	s_barrier_wait -1
	ds_load_u8 v5, v0
	ds_load_u8 v4, v0 offset:256
	v_add_nc_u32_e32 v0, v0, v1
	s_wait_dscnt 0x0
	s_barrier_signal -1
	s_barrier_wait -1
	ds_store_b64 v24, v[18:19]
	ds_store_b64 v28, v[16:17]
	s_wait_dscnt 0x0
	s_barrier_signal -1
	s_barrier_wait -1
	ds_load_2addr_stride64_b64 v[10:13], v0 offset1:4
	v_add_nc_u64_e32 v[0:1], v[2:3], v[8:9]
	s_set_vgpr_msb 4                        ;  msbs: dst=0 src0=0 src1=1 src2=0
	v_cmp_lt_u32_e32 vcc_lo, v14, v28 /*v284*/
	s_wait_dscnt 0x0
	s_barrier_signal -1
	s_barrier_wait -1
	s_set_vgpr_msb 0                        ;  msbs: dst=0 src0=0 src1=0 src2=0
	v_add_nc_u64_e32 v[0:1], v[0:1], v[14:15]
	s_and_saveexec_b32 s0, vcc_lo
	s_cbranch_execz .LBB1524_355
; %bb.354:
	v_xor_b32_e32 v2, 1, v5
	flat_store_b8 v[0:1], v2
.LBB1524_355:
	s_wait_xcnt 0x0
	s_or_b32 exec_lo, exec_lo, s0
	v_add_nc_u32_e32 v2, 0x100, v14
	s_set_vgpr_msb 4                        ;  msbs: dst=0 src0=0 src1=1 src2=0
	s_delay_alu instid0(VALU_DEP_1)
	v_cmp_lt_u32_e64 s0, v2, v28 /*v284*/
	s_and_saveexec_b32 s1, s0
	s_set_vgpr_msb 0                        ;  msbs: dst=0 src0=0 src1=0 src2=0
	s_cbranch_execz .LBB1524_357
; %bb.356:
	v_xor_b32_e32 v2, 1, v4
	flat_store_b8 v[0:1], v2 offset:256
.LBB1524_357:
	s_wait_xcnt 0x0
	s_or_b32 exec_lo, exec_lo, s1
	v_lshl_add_u64 v[0:1], v[8:9], 3, v[6:7]
	s_delay_alu instid0(VALU_DEP_1)
	v_lshl_add_u64 v[0:1], v[14:15], 3, v[0:1]
	s_and_saveexec_b32 s1, vcc_lo
	s_cbranch_execz .LBB1524_359
; %bb.358:
	flat_store_b64 v[0:1], v[10:11]
.LBB1524_359:
	s_wait_xcnt 0x0
	s_or_b32 exec_lo, exec_lo, s1
	s_and_saveexec_b32 s1, s0
	s_cbranch_execz .LBB1524_361
; %bb.360:
	flat_store_b64 v[0:1], v[12:13] offset:2048
.LBB1524_361:
	s_wait_xcnt 0x0
	s_or_b32 exec_lo, exec_lo, s1
                                        ; implicit-def: $vgpr14
                                        ; implicit-def: $vgpr8_vgpr9
                                        ; implicit-def: $vgpr284
                                        ; implicit-def: $vgpr10
                                        ; implicit-def: $vgpr11
                                        ; implicit-def: $vgpr0_vgpr1
                                        ; implicit-def: $vgpr2_vgpr3
                                        ; implicit-def: $vgpr4_vgpr5
                                        ; implicit-def: $vgpr6_vgpr7
                                        ; implicit-def: $vgpr12_vgpr13
                                        ; implicit-def: $vgpr26
                                        ; implicit-def: $vgpr18
.LBB1524_362:
	s_and_not1_saveexec_b32 s0, s14
	s_cbranch_execz .LBB1524_382
; %bb.363:
	s_delay_alu instid0(VALU_DEP_3) | instskip(SKIP_1) | instid1(VALU_DEP_1)
	v_and_b32_e32 v16, 0xffffffe0, v14
	s_mov_b32 s0, -1
	v_or_b32_e32 v15, v18, v16
	s_set_vgpr_msb 4                        ;  msbs: dst=0 src0=0 src1=1 src2=0
	s_delay_alu instid0(VALU_DEP_1)
	v_cmp_lt_u32_e32 vcc_lo, v15, v28 /*v284*/
	s_and_saveexec_b32 s1, vcc_lo
	s_set_vgpr_msb 0                        ;  msbs: dst=0 src0=0 src1=0 src2=0
	s_cbranch_execz .LBB1524_365
; %bb.364:
	v_add_nc_u64_e32 v[0:1], v[0:1], v[8:9]
	v_mov_b32_e32 v19, 0
	s_delay_alu instid0(VALU_DEP_1) | instskip(NEXT) | instid1(VALU_DEP_3)
	v_mov_b32_e32 v17, v19
	v_add_nc_u64_e32 v[0:1], v[0:1], v[18:19]
	s_delay_alu instid0(VALU_DEP_1) | instskip(SKIP_3) | instid1(VALU_DEP_1)
	v_add_nc_u64_e32 v[0:1], v[0:1], v[16:17]
	flat_load_u8 v0, v[0:1]
	s_wait_loadcnt_dscnt 0x0
	v_and_b32_e32 v0, 1, v0
	v_cmp_eq_u32_e64 s0, 1, v0
	s_xor_b32 s0, s0, -1
	s_delay_alu instid0(SALU_CYCLE_1)
	s_or_not1_b32 s0, s0, exec_lo
.LBB1524_365:
	s_or_b32 exec_lo, exec_lo, s1
                                        ; implicit-def: $vgpr20_vgpr21
	s_and_saveexec_b32 s1, vcc_lo
	s_cbranch_execz .LBB1524_367
; %bb.366:
	v_lshl_add_u64 v[0:1], v[8:9], 3, v[4:5]
	v_dual_mov_b32 v5, 0 :: v_dual_lshlrev_b32 v4, 3, v18
	s_delay_alu instid0(VALU_DEP_1) | instskip(SKIP_1) | instid1(VALU_DEP_1)
	v_add_nc_u64_e32 v[0:1], v[0:1], v[4:5]
	v_mov_b32_e32 v17, v5
	v_lshl_add_u64 v[0:1], v[16:17], 3, v[0:1]
	flat_load_b64 v[20:21], v[0:1]
.LBB1524_367:
	s_wait_xcnt 0x0
	s_or_b32 exec_lo, exec_lo, s1
	v_lshl_add_u32 v0, v26, 5, v12
	s_get_pc_i64 s[2:3]
	s_add_nc_u64 s[2:3], s[2:3], _ZN7rocprim17ROCPRIM_400000_NS16block_radix_sortIbLj256ELj1ElLj1ELj1ELj8ELNS0_26block_radix_rank_algorithmE2ELNS0_18block_padding_hintE2ELNS0_4arch9wavefront6targetE0EE19radix_bits_per_passE@rel64+4
	v_and_b32_e32 v1, 15, v18
	s_load_b32 s14, s[2:3], 0x0
	s_wait_xcnt 0x0
	v_sub_co_u32 v16, s2, v18, 1
	v_dual_add_nc_u32 v15, 32, v0 :: v_dual_add_nc_u32 v22, 36, v0
	v_dual_add_nc_u32 v23, 40, v0 :: v_dual_add_nc_u32 v24, 44, v0
	;; [unrolled: 1-line block ×4, first 2 shown]
	v_lshrrev_b32_e32 v30, 5, v14
	v_and_b32_e32 v0, 0x3e0, v26
	v_and_b32_e32 v5, 16, v18
	v_cmp_gt_i32_e64 s5, 0, v16
	v_cndmask_b32_e64 v39, 0, 1, s0
	v_cmp_eq_u32_e32 vcc_lo, 0, v1
	v_min_u32_e32 v4, 0xe0, v0
	v_cmp_lt_u32_e64 s0, 1, v1
	v_cmp_lt_u32_e64 s1, 3, v1
	v_cmp_lt_u32_e64 s3, 7, v1
	v_cmp_eq_u32_e64 s4, 0, v5
	v_dual_lshrrev_b32 v4, 3, v26 :: v_dual_bitop2_b32 v1, 31, v4 bitop3:0x54
	v_dual_cndmask_b32 v5, v16, v18, s5 :: v_dual_bitop2_b32 v0, v18, v0 bitop3:0x54
	v_cmp_gt_u32_e64 s6, 8, v26
	s_delay_alu instid0(VALU_DEP_3) | instskip(NEXT) | instid1(VALU_DEP_4)
	v_cmp_eq_u32_e64 s5, v26, v1
	v_and_b32_e32 v1, 0x7c, v4
	s_delay_alu instid0(VALU_DEP_4) | instskip(SKIP_2) | instid1(VALU_DEP_4)
	v_dual_lshlrev_b32 v31, 2, v5 :: v_dual_bitop2_b32 v4, 7, v18 bitop3:0x40
	v_add_nc_u32_e32 v34, v12, v0
	v_mul_u32_u24_e32 v0, 7, v0
	v_dual_mov_b32 v1, 0 :: v_dual_add_nc_u32 v32, v12, v1
	s_delay_alu instid0(VALU_DEP_4)
	v_cmp_eq_u32_e64 s9, 0, v4
	v_cmp_lt_u32_e64 s10, 1, v4
	v_cmp_lt_u32_e64 s11, 3, v4
	v_mov_b64_e32 v[4:5], 0
	v_cmp_lt_u32_e64 s7, 31, v26
	v_cmp_eq_u32_e64 s8, 0, v26
	v_lshl_add_u32 v33, v26, 2, v12
	v_dual_add_nc_u32 v35, -4, v32 :: v_dual_sub_nc_u32 v37, v11, v10
	v_add_nc_u32_e32 v36, v34, v0
	s_mov_b32 s15, 0
	s_wait_storecnt 0x0
	s_wait_loadcnt_dscnt 0x0
	s_barrier_signal -1
	s_barrier_wait -1
	s_branch .LBB1524_369
.LBB1524_368:                           ;   in Loop: Header=BB1524_369 Depth=1
	s_or_b32 exec_lo, exec_lo, s13
	s_delay_alu instid0(SALU_CYCLE_1) | instskip(NEXT) | instid1(SALU_CYCLE_1)
	s_and_b32 s12, exec_lo, s16
	s_or_b32 s15, s12, s15
	s_delay_alu instid0(SALU_CYCLE_1)
	s_and_not1_b32 exec_lo, exec_lo, s15
	s_cbranch_execz .LBB1524_379
.LBB1524_369:                           ; =>This Inner Loop Header: Depth=1
	v_mov_b32_e32 v38, v39
	s_wait_kmcnt 0x0
	v_min_u32_e32 v16, s14, v37
	ds_store_b64 v15, v[4:5]
	ds_store_b64 v23, v[4:5]
	;; [unrolled: 1-line block ×4, first 2 shown]
	s_wait_dscnt 0x0
	v_and_b32_e32 v0, 0xff, v38
	s_barrier_signal -1
	s_barrier_wait -1
	s_delay_alu instid0(VALU_DEP_1) | instskip(NEXT) | instid1(VALU_DEP_1)
	v_lshrrev_b32_e32 v0, v10, v0
	; wave barrier
	v_bfe_u32 v0, v0, 0, v16
	s_delay_alu instid0(VALU_DEP_1) | instskip(NEXT) | instid1(VALU_DEP_1)
	v_add_co_u32 v16, s12, v0, -1
	v_cndmask_b32_e64 v17, 0, 1, s12
	v_lshlrev_b32_e32 v0, 3, v0
	s_delay_alu instid0(VALU_DEP_2) | instskip(NEXT) | instid1(VALU_DEP_2)
	v_cmp_ne_u32_e64 s12, 0, v17
	v_add_lshl_u32 v0, v0, v30, 2
	s_delay_alu instid0(VALU_DEP_2) | instskip(NEXT) | instid1(VALU_DEP_2)
	v_bitop3_b32 v39, s12, exec_lo, v16 bitop3:0x48
	v_add_nc_u64_e32 v[18:19], v[12:13], v[0:1]
	v_mov_b64_e32 v[16:17], v[20:21]
	s_delay_alu instid0(VALU_DEP_3) | instskip(SKIP_1) | instid1(VALU_DEP_4)
	v_mbcnt_lo_u32_b32 v0, v39, 0
	v_cmp_ne_u32_e64 s13, 0, v39
	v_add_nc_u64_e32 v[18:19], 32, v[18:19]
	s_delay_alu instid0(VALU_DEP_3) | instskip(SKIP_1) | instid1(SALU_CYCLE_1)
	v_cmp_eq_u32_e64 s12, 0, v0
	s_and_b32 s13, s13, s12
	s_and_saveexec_b32 s12, s13
; %bb.370:                              ;   in Loop: Header=BB1524_369 Depth=1
	v_bcnt_u32_b32 v19, v39, 0
	ds_store_b32 v18, v19
; %bb.371:                              ;   in Loop: Header=BB1524_369 Depth=1
	s_or_b32 exec_lo, exec_lo, s12
	; wave barrier
	s_wait_dscnt 0x0
	s_barrier_signal -1
	s_barrier_wait -1
	ds_load_b32 v20, v15
	ds_load_b32 v21, v22
	;; [unrolled: 1-line block ×8, first 2 shown]
	s_wait_dscnt 0x6
	v_add_nc_u32_e32 v52, v21, v20
	s_wait_dscnt 0x4
	s_delay_alu instid0(VALU_DEP_1) | instskip(SKIP_1) | instid1(VALU_DEP_1)
	v_add3_u32 v52, v52, v39, v48
	s_wait_dscnt 0x2
	v_add3_u32 v52, v52, v49, v50
	s_wait_dscnt 0x0
	s_delay_alu instid0(VALU_DEP_1) | instskip(NEXT) | instid1(VALU_DEP_1)
	v_add3_u32 v51, v52, v19, v51
	v_mov_b32_dpp v52, v51 row_shr:1 row_mask:0xf bank_mask:0xf
	s_delay_alu instid0(VALU_DEP_1) | instskip(NEXT) | instid1(VALU_DEP_1)
	v_cndmask_b32_e64 v52, v52, 0, vcc_lo
	v_add_nc_u32_e32 v51, v52, v51
	s_delay_alu instid0(VALU_DEP_1) | instskip(NEXT) | instid1(VALU_DEP_1)
	v_mov_b32_dpp v52, v51 row_shr:2 row_mask:0xf bank_mask:0xf
	v_cndmask_b32_e64 v52, 0, v52, s0
	s_delay_alu instid0(VALU_DEP_1) | instskip(NEXT) | instid1(VALU_DEP_1)
	v_add_nc_u32_e32 v51, v51, v52
	v_mov_b32_dpp v52, v51 row_shr:4 row_mask:0xf bank_mask:0xf
	s_delay_alu instid0(VALU_DEP_1) | instskip(NEXT) | instid1(VALU_DEP_1)
	v_cndmask_b32_e64 v52, 0, v52, s1
	v_add_nc_u32_e32 v51, v51, v52
	s_delay_alu instid0(VALU_DEP_1) | instskip(NEXT) | instid1(VALU_DEP_1)
	v_mov_b32_dpp v52, v51 row_shr:8 row_mask:0xf bank_mask:0xf
	v_cndmask_b32_e64 v52, 0, v52, s3
	s_delay_alu instid0(VALU_DEP_1) | instskip(SKIP_3) | instid1(VALU_DEP_1)
	v_add_nc_u32_e32 v51, v51, v52
	ds_swizzle_b32 v52, v51 offset:swizzle(BROADCAST,32,15)
	s_wait_dscnt 0x0
	v_cndmask_b32_e64 v52, v52, 0, s4
	v_add_nc_u32_e32 v51, v51, v52
	s_and_saveexec_b32 s12, s5
; %bb.372:                              ;   in Loop: Header=BB1524_369 Depth=1
	ds_store_b32 v32, v51
; %bb.373:                              ;   in Loop: Header=BB1524_369 Depth=1
	s_or_b32 exec_lo, exec_lo, s12
	s_wait_dscnt 0x0
	s_barrier_signal -1
	s_barrier_wait -1
	s_and_saveexec_b32 s12, s6
	s_cbranch_execz .LBB1524_375
; %bb.374:                              ;   in Loop: Header=BB1524_369 Depth=1
	ds_load_b32 v52, v33
	s_wait_dscnt 0x0
	v_mov_b32_dpp v53, v52 row_shr:1 row_mask:0xf bank_mask:0xf
	s_delay_alu instid0(VALU_DEP_1) | instskip(NEXT) | instid1(VALU_DEP_1)
	v_cndmask_b32_e64 v53, v53, 0, s9
	v_add_nc_u32_e32 v52, v53, v52
	s_delay_alu instid0(VALU_DEP_1) | instskip(NEXT) | instid1(VALU_DEP_1)
	v_mov_b32_dpp v53, v52 row_shr:2 row_mask:0xf bank_mask:0xf
	v_cndmask_b32_e64 v53, 0, v53, s10
	s_delay_alu instid0(VALU_DEP_1) | instskip(NEXT) | instid1(VALU_DEP_1)
	v_add_nc_u32_e32 v52, v52, v53
	v_mov_b32_dpp v53, v52 row_shr:4 row_mask:0xf bank_mask:0xf
	s_delay_alu instid0(VALU_DEP_1) | instskip(NEXT) | instid1(VALU_DEP_1)
	v_cndmask_b32_e64 v53, 0, v53, s11
	v_add_nc_u32_e32 v52, v52, v53
	ds_store_b32 v33, v52
.LBB1524_375:                           ;   in Loop: Header=BB1524_369 Depth=1
	s_or_b32 exec_lo, exec_lo, s12
	v_mov_b32_e32 v52, 0
	s_wait_dscnt 0x0
	s_barrier_signal -1
	s_barrier_wait -1
	s_and_saveexec_b32 s12, s7
; %bb.376:                              ;   in Loop: Header=BB1524_369 Depth=1
	ds_load_b32 v52, v35
; %bb.377:                              ;   in Loop: Header=BB1524_369 Depth=1
	s_or_b32 exec_lo, exec_lo, s12
	s_wait_dscnt 0x0
	v_dual_add_nc_u32 v51, v52, v51 :: v_dual_add_nc_u32 v10, 8, v10
	s_mov_b32 s16, -1
	s_mov_b32 s13, exec_lo
	ds_bpermute_b32 v51, v31, v51
	s_wait_dscnt 0x0
	v_cndmask_b32_e64 v51, v51, v52, s2
	s_delay_alu instid0(VALU_DEP_1) | instskip(NEXT) | instid1(VALU_DEP_1)
	v_cndmask_b32_e64 v51, v51, 0, s8
	v_add_nc_u32_e32 v20, v51, v20
	s_delay_alu instid0(VALU_DEP_1) | instskip(NEXT) | instid1(VALU_DEP_1)
	v_add_nc_u32_e32 v21, v20, v21
	v_add_nc_u32_e32 v39, v21, v39
	ds_store_b32 v15, v51
	ds_store_b32 v22, v20
	;; [unrolled: 1-line block ×3, first 2 shown]
                                        ; implicit-def: $vgpr20_vgpr21
	v_add_nc_u32_e32 v48, v39, v48
	s_delay_alu instid0(VALU_DEP_1) | instskip(NEXT) | instid1(VALU_DEP_1)
	v_add_nc_u32_e32 v49, v48, v49
	v_add_nc_u32_e32 v50, v49, v50
	s_delay_alu instid0(VALU_DEP_1)
	v_add_nc_u32_e32 v19, v50, v19
	ds_store_b32 v24, v39
	ds_store_b32 v25, v48
	;; [unrolled: 1-line block ×5, first 2 shown]
	s_wait_dscnt 0x0
	s_barrier_signal -1
	s_barrier_wait -1
	ds_load_b32 v18, v18
	s_wait_dscnt 0x0
                                        ; implicit-def: $vgpr39
	v_add_nc_u32_e32 v0, v18, v0
	s_delay_alu instid0(VALU_DEP_1)
	v_add_nc_u64_e32 v[18:19], v[12:13], v[0:1]
	v_cmpx_lt_u32_e64 v10, v11
	s_cbranch_execz .LBB1524_368
; %bb.378:                              ;   in Loop: Header=BB1524_369 Depth=1
	s_delay_alu instid0(VALU_DEP_2)
	v_mad_nc_u64_u32 v[20:21], v0, 7, v[18:19]
	s_barrier_signal -1
	s_barrier_wait -1
	ds_store_b8 v18, v38
	s_wait_dscnt 0x0
	s_barrier_signal -1
	s_barrier_wait -1
	ds_load_u8 v39, v34
	s_wait_dscnt 0x0
	s_barrier_signal -1
	s_barrier_wait -1
	ds_store_b64 v20, v[16:17]
	s_wait_dscnt 0x0
	s_barrier_signal -1
	s_barrier_wait -1
	ds_load_b64 v[20:21], v36
	v_add_nc_u32_e32 v37, -8, v37
	s_xor_b32 s16, exec_lo, -1
	s_wait_dscnt 0x0
	s_barrier_signal -1
	s_barrier_wait -1
	s_branch .LBB1524_368
.LBB1524_379:
	s_or_b32 exec_lo, exec_lo, s15
	v_mad_nc_u64_u32 v[0:1], v0, 7, v[18:19]
	v_add_nc_u32_e32 v5, v12, v26
	v_mul_u32_u24_e32 v1, 7, v26
	s_barrier_signal -1
	s_barrier_wait -1
	ds_store_b8 v18, v38
	s_wait_dscnt 0x0
	s_barrier_signal -1
	s_barrier_wait -1
	ds_load_u8 v4, v5
	s_wait_dscnt 0x0
	s_barrier_signal -1
	s_barrier_wait -1
	ds_store_b64 v0, v[16:17]
	v_add_nc_u32_e32 v0, v5, v1
	s_wait_dscnt 0x0
	s_barrier_signal -1
	s_barrier_wait -1
	ds_load_b64 v[0:1], v0
	s_mov_b32 s0, exec_lo
	s_wait_dscnt 0x0
	s_barrier_signal -1
	s_barrier_wait -1
	s_set_vgpr_msb 4                        ;  msbs: dst=0 src0=0 src1=1 src2=0
	v_cmpx_lt_u32_e64 v14, v28 /*v284*/
	s_set_vgpr_msb 0                        ;  msbs: dst=0 src0=0 src1=0 src2=0
	s_cbranch_execz .LBB1524_381
; %bb.380:
	v_add_nc_u64_e32 v[2:3], v[2:3], v[8:9]
	v_mov_b32_e32 v15, 0
	v_lshl_add_u64 v[6:7], v[8:9], 3, v[6:7]
	v_xor_b32_e32 v8, 1, v4
	s_delay_alu instid0(VALU_DEP_2)
	v_lshl_add_u64 v[4:5], v[14:15], 3, v[6:7]
	v_add_nc_u64_e32 v[2:3], v[2:3], v[14:15]
	flat_store_b8 v[2:3], v8
	flat_store_b64 v[4:5], v[0:1]
.LBB1524_381:
	s_wait_xcnt 0x0
	s_or_b32 exec_lo, exec_lo, s0
.LBB1524_382:
	s_delay_alu instid0(SALU_CYCLE_1)
	s_or_b32 exec_lo, exec_lo, s18
	s_wait_dscnt 0x0
	s_set_pc_i64 s[30:31]
.Lfunc_end1524:
	.size	_ZN7rocprim17ROCPRIM_400000_NS6detail40segmented_radix_sort_single_block_helperIblLj256ELj17ELb1EE4sortIPKbPbPKlPlEEbT_T0_T1_T2_jjjjRNS3_12storage_typeE, .Lfunc_end1524-_ZN7rocprim17ROCPRIM_400000_NS6detail40segmented_radix_sort_single_block_helperIblLj256ELj17ELb1EE4sortIPKbPbPKlPlEEbT_T0_T1_T2_jjjjRNS3_12storage_typeE
                                        ; -- End function
	.set .L_ZN7rocprim17ROCPRIM_400000_NS6detail40segmented_radix_sort_single_block_helperIblLj256ELj17ELb1EE4sortIPKbPbPKlPlEEbT_T0_T1_T2_jjjjRNS3_12storage_typeE.num_vgpr, 319
	.set .L_ZN7rocprim17ROCPRIM_400000_NS6detail40segmented_radix_sort_single_block_helperIblLj256ELj17ELb1EE4sortIPKbPbPKlPlEEbT_T0_T1_T2_jjjjRNS3_12storage_typeE.num_agpr, 0
	.set .L_ZN7rocprim17ROCPRIM_400000_NS6detail40segmented_radix_sort_single_block_helperIblLj256ELj17ELb1EE4sortIPKbPbPKlPlEEbT_T0_T1_T2_jjjjRNS3_12storage_typeE.numbered_sgpr, 32
	.set .L_ZN7rocprim17ROCPRIM_400000_NS6detail40segmented_radix_sort_single_block_helperIblLj256ELj17ELb1EE4sortIPKbPbPKlPlEEbT_T0_T1_T2_jjjjRNS3_12storage_typeE.num_named_barrier, 0
	.set .L_ZN7rocprim17ROCPRIM_400000_NS6detail40segmented_radix_sort_single_block_helperIblLj256ELj17ELb1EE4sortIPKbPbPKlPlEEbT_T0_T1_T2_jjjjRNS3_12storage_typeE.private_seg_size, 0
	.set .L_ZN7rocprim17ROCPRIM_400000_NS6detail40segmented_radix_sort_single_block_helperIblLj256ELj17ELb1EE4sortIPKbPbPKlPlEEbT_T0_T1_T2_jjjjRNS3_12storage_typeE.uses_vcc, 1
	.set .L_ZN7rocprim17ROCPRIM_400000_NS6detail40segmented_radix_sort_single_block_helperIblLj256ELj17ELb1EE4sortIPKbPbPKlPlEEbT_T0_T1_T2_jjjjRNS3_12storage_typeE.uses_flat_scratch, 0
	.set .L_ZN7rocprim17ROCPRIM_400000_NS6detail40segmented_radix_sort_single_block_helperIblLj256ELj17ELb1EE4sortIPKbPbPKlPlEEbT_T0_T1_T2_jjjjRNS3_12storage_typeE.has_dyn_sized_stack, 0
	.set .L_ZN7rocprim17ROCPRIM_400000_NS6detail40segmented_radix_sort_single_block_helperIblLj256ELj17ELb1EE4sortIPKbPbPKlPlEEbT_T0_T1_T2_jjjjRNS3_12storage_typeE.has_recursion, 0
	.set .L_ZN7rocprim17ROCPRIM_400000_NS6detail40segmented_radix_sort_single_block_helperIblLj256ELj17ELb1EE4sortIPKbPbPKlPlEEbT_T0_T1_T2_jjjjRNS3_12storage_typeE.has_indirect_call, 0
	.section	.AMDGPU.csdata,"",@progbits
; Function info:
; codeLenInByte = 24540
; TotalNumSgprs: 34
; NumVgprs: 319
; ScratchSize: 0
; MemoryBound: 1
	.section	.text._ZN7rocprim17ROCPRIM_400000_NS6detail17trampoline_kernelINS0_14default_configENS1_36segmented_radix_sort_config_selectorIblEEZNS1_25segmented_radix_sort_implIS3_Lb1EPKbPbPKlPlN2at6native12_GLOBAL__N_18offset_tEEE10hipError_tPvRmT1_PNSt15iterator_traitsISK_E10value_typeET2_T3_PNSL_ISQ_E10value_typeET4_jRbjT5_SW_jjP12ihipStream_tbEUlT_E_NS1_11comp_targetILNS1_3genE0ELNS1_11target_archE4294967295ELNS1_3gpuE0ELNS1_3repE0EEENS1_30default_config_static_selectorELNS0_4arch9wavefront6targetE0EEEvSK_,"axG",@progbits,_ZN7rocprim17ROCPRIM_400000_NS6detail17trampoline_kernelINS0_14default_configENS1_36segmented_radix_sort_config_selectorIblEEZNS1_25segmented_radix_sort_implIS3_Lb1EPKbPbPKlPlN2at6native12_GLOBAL__N_18offset_tEEE10hipError_tPvRmT1_PNSt15iterator_traitsISK_E10value_typeET2_T3_PNSL_ISQ_E10value_typeET4_jRbjT5_SW_jjP12ihipStream_tbEUlT_E_NS1_11comp_targetILNS1_3genE0ELNS1_11target_archE4294967295ELNS1_3gpuE0ELNS1_3repE0EEENS1_30default_config_static_selectorELNS0_4arch9wavefront6targetE0EEEvSK_,comdat
	.globl	_ZN7rocprim17ROCPRIM_400000_NS6detail17trampoline_kernelINS0_14default_configENS1_36segmented_radix_sort_config_selectorIblEEZNS1_25segmented_radix_sort_implIS3_Lb1EPKbPbPKlPlN2at6native12_GLOBAL__N_18offset_tEEE10hipError_tPvRmT1_PNSt15iterator_traitsISK_E10value_typeET2_T3_PNSL_ISQ_E10value_typeET4_jRbjT5_SW_jjP12ihipStream_tbEUlT_E_NS1_11comp_targetILNS1_3genE0ELNS1_11target_archE4294967295ELNS1_3gpuE0ELNS1_3repE0EEENS1_30default_config_static_selectorELNS0_4arch9wavefront6targetE0EEEvSK_ ; -- Begin function _ZN7rocprim17ROCPRIM_400000_NS6detail17trampoline_kernelINS0_14default_configENS1_36segmented_radix_sort_config_selectorIblEEZNS1_25segmented_radix_sort_implIS3_Lb1EPKbPbPKlPlN2at6native12_GLOBAL__N_18offset_tEEE10hipError_tPvRmT1_PNSt15iterator_traitsISK_E10value_typeET2_T3_PNSL_ISQ_E10value_typeET4_jRbjT5_SW_jjP12ihipStream_tbEUlT_E_NS1_11comp_targetILNS1_3genE0ELNS1_11target_archE4294967295ELNS1_3gpuE0ELNS1_3repE0EEENS1_30default_config_static_selectorELNS0_4arch9wavefront6targetE0EEEvSK_
	.p2align	8
	.type	_ZN7rocprim17ROCPRIM_400000_NS6detail17trampoline_kernelINS0_14default_configENS1_36segmented_radix_sort_config_selectorIblEEZNS1_25segmented_radix_sort_implIS3_Lb1EPKbPbPKlPlN2at6native12_GLOBAL__N_18offset_tEEE10hipError_tPvRmT1_PNSt15iterator_traitsISK_E10value_typeET2_T3_PNSL_ISQ_E10value_typeET4_jRbjT5_SW_jjP12ihipStream_tbEUlT_E_NS1_11comp_targetILNS1_3genE0ELNS1_11target_archE4294967295ELNS1_3gpuE0ELNS1_3repE0EEENS1_30default_config_static_selectorELNS0_4arch9wavefront6targetE0EEEvSK_,@function
_ZN7rocprim17ROCPRIM_400000_NS6detail17trampoline_kernelINS0_14default_configENS1_36segmented_radix_sort_config_selectorIblEEZNS1_25segmented_radix_sort_implIS3_Lb1EPKbPbPKlPlN2at6native12_GLOBAL__N_18offset_tEEE10hipError_tPvRmT1_PNSt15iterator_traitsISK_E10value_typeET2_T3_PNSL_ISQ_E10value_typeET4_jRbjT5_SW_jjP12ihipStream_tbEUlT_E_NS1_11comp_targetILNS1_3genE0ELNS1_11target_archE4294967295ELNS1_3gpuE0ELNS1_3repE0EEENS1_30default_config_static_selectorELNS0_4arch9wavefront6targetE0EEEvSK_: ; @_ZN7rocprim17ROCPRIM_400000_NS6detail17trampoline_kernelINS0_14default_configENS1_36segmented_radix_sort_config_selectorIblEEZNS1_25segmented_radix_sort_implIS3_Lb1EPKbPbPKlPlN2at6native12_GLOBAL__N_18offset_tEEE10hipError_tPvRmT1_PNSt15iterator_traitsISK_E10value_typeET2_T3_PNSL_ISQ_E10value_typeET4_jRbjT5_SW_jjP12ihipStream_tbEUlT_E_NS1_11comp_targetILNS1_3genE0ELNS1_11target_archE4294967295ELNS1_3gpuE0ELNS1_3repE0EEENS1_30default_config_static_selectorELNS0_4arch9wavefront6targetE0EEEvSK_
; %bb.0:
	s_load_b64 s[8:9], s[2:3], 0x38
	s_bfe_u32 s4, ttmp6, 0x4000c
	s_and_b32 s5, ttmp6, 15
	s_add_co_i32 s4, s4, 1
	s_getreg_b32 s28, hwreg(HW_REG_IB_STS2, 6, 4)
	s_mul_i32 s4, ttmp9, s4
	s_mov_b32 s32, 0
	s_add_co_i32 s5, s5, s4
	s_cmp_eq_u32 s28, 0
	s_cselect_b32 s35, ttmp9, s5
	s_load_b128 s[4:7], s[2:3], 0x40
	s_wait_kmcnt 0x0
	s_load_b32 s10, s[8:9], s35 offset:0x0 scale_offset
	s_wait_kmcnt 0x0
	s_add_co_i32 s51, s10, s7
	s_add_co_i32 s54, s10, s5
	s_mul_i32 s51, s51, s6
	s_mul_i32 s54, s54, s4
	s_delay_alu instid0(SALU_CYCLE_1)
	s_cmp_le_u32 s51, s54
	s_cbranch_scc1 .LBB1525_1254
; %bb.1:
	s_clause 0x3
	s_load_b32 s4, s[2:3], 0x30
	s_load_b128 s[44:47], s[2:3], 0x20
	s_load_b96 s[48:50], s[2:3], 0x50
	s_load_b256 s[36:43], s[2:3], 0x0
	s_wait_kmcnt 0x0
	s_bitcmp1_b32 s4, 0
	s_mov_b32 s4, -1
	s_cselect_b32 s55, -1, 0
	s_sub_co_i32 s56, s51, s54
	s_delay_alu instid0(SALU_CYCLE_1)
	s_cmp_lt_u32 s56, 0x1101
	s_cbranch_scc0 .LBB1525_7
; %bb.2:
	v_cndmask_b32_e64 v1, 0, 1, s55
	s_and_b32 s4, s48, 1
	s_get_pc_i64 s[22:23]
	s_add_nc_u64 s[22:23], s[22:23], _ZN7rocprim17ROCPRIM_400000_NS6detail40segmented_radix_sort_single_block_helperIblLj256ELj17ELb1EE4sortIPKbPbPKlPlEEbT_T0_T1_T2_jjjjRNS3_12storage_typeE@rel64+4
	s_delay_alu instid0(VALU_DEP_1)
	v_cmp_ne_u32_e32 vcc_lo, s4, v1
	s_mov_b32 s4, -1
	s_cbranch_vccnz .LBB1525_4
; %bb.3:
	s_mov_b64 s[4:5], src_shared_base
	v_dual_mov_b32 v31, v0 :: v_dual_mov_b32 v40, v0
	v_dual_mov_b32 v0, s36 :: v_dual_mov_b32 v1, s37
	;; [unrolled: 1-line block ×8, first 2 shown]
	s_add_nc_u64 s[8:9], s[2:3], 0x60
	s_mov_b64 s[6:7], s[0:1]
	s_mov_b64 s[24:25], s[2:3]
	;; [unrolled: 1-line block ×3, first 2 shown]
	s_swap_pc_i64 s[30:31], s[22:23]
	v_mov_b32_e32 v0, v40
	s_mov_b64 s[0:1], s[26:27]
	s_mov_b64 s[2:3], s[24:25]
	s_mov_b32 s4, 0
.LBB1525_4:
	s_delay_alu instid0(SALU_CYCLE_1)
	s_and_not1_b32 vcc_lo, exec_lo, s4
	s_cbranch_vccnz .LBB1525_6
; %bb.5:
	s_mov_b64 s[4:5], src_shared_base
	v_dual_mov_b32 v31, v0 :: v_dual_mov_b32 v40, v0
	v_dual_mov_b32 v0, s36 :: v_dual_mov_b32 v1, s37
	v_dual_mov_b32 v2, s38 :: v_dual_mov_b32 v3, s39
	v_dual_mov_b32 v4, s42 :: v_dual_mov_b32 v5, s43
	v_dual_mov_b32 v6, s44 :: v_dual_mov_b32 v7, s45
	v_dual_mov_b32 v8, s54 :: v_dual_mov_b32 v9, s51
	v_dual_mov_b32 v10, s49 :: v_dual_mov_b32 v11, s50
	v_dual_mov_b32 v12, 0 :: v_dual_mov_b32 v13, s5
	s_add_nc_u64 s[8:9], s[2:3], 0x60
	s_mov_b64 s[6:7], s[0:1]
	s_mov_b64 s[24:25], s[2:3]
	s_swap_pc_i64 s[30:31], s[22:23]
	v_mov_b32_e32 v0, v40
	s_mov_b64 s[2:3], s[24:25]
.LBB1525_6:
	s_mov_b32 s4, 0
.LBB1525_7:
	s_delay_alu instid0(SALU_CYCLE_1)
	s_and_not1_b32 vcc_lo, exec_lo, s4
	s_cbranch_vccnz .LBB1525_1254
; %bb.8:
	s_cmp_ge_u32 s49, s50
	s_cbranch_scc1 .LBB1525_1254
; %bb.9:
	v_dual_mov_b32 v2, 0 :: v_dual_bitop2_b32 v1, 3, v0 bitop3:0x40
	v_and_b32_e32 v10, 0x3ff, v0
	v_and_b32_e32 v3, 0xe0, v0
	s_delay_alu instid0(VALU_DEP_3) | instskip(SKIP_1) | instid1(VALU_DEP_3)
	v_dual_lshrrev_b32 v5, 3, v0 :: v_dual_mov_b32 v11, v2
	s_bfe_u32 s6, ttmp6, 0x40010
	v_lshlrev_b32_e32 v9, 2, v10
	s_delay_alu instid0(VALU_DEP_3)
	v_min_u32_e32 v4, 0x60, v3
	v_mul_u32_u24_e32 v14, 17, v3
	v_lshlrev_b32_e32 v89, 2, v1
	v_and_b32_e32 v88, 28, v5
	v_mad_u32_u24 v90, v10, 12, v9
	v_dual_mov_b32 v15, v2 :: v_dual_bitop2_b32 v4, 31, v4 bitop3:0x54
	v_dual_mov_b32 v5, v2 :: v_dual_add_nc_u32 v92, 0x8a00, v9
	v_bfe_u32 v94, v0, 20, 10
	s_delay_alu instid0(VALU_DEP_3)
	v_cmp_eq_u32_e64 s1, v10, v4
	v_dual_add_nc_u32 v95, v90, v9 :: v_dual_bitop2_b32 v1, 31, v3 bitop3:0x54
	v_lshlrev_b32_e32 v3, 4, v10
	v_bfe_u32 v96, v0, 10, 10
	v_add_nc_u32_e32 v0, 1, v10
	v_lshlrev_b32_e32 v4, 3, v14
	s_add_co_i32 s6, s6, 1
	s_bfe_u32 s7, ttmp6, 0x40004
	s_mul_i32 s6, ttmp7, s6
	v_add_nc_u64_e32 v[12:13], s[40:41], v[10:11]
	s_add_nc_u64 s[52:53], s[2:3], 0x60
	s_add_co_i32 s8, s7, s6
	v_cmp_eq_u32_e64 s2, v10, v1
	v_sub_nc_u32_e32 v97, v95, v3
	v_mul_u32_u24_e32 v98, 36, v0
	v_cmp_ne_u32_e64 s7, 0x80, v0
	v_add_nc_u64_e32 v[16:17], s[40:41], v[14:15]
	v_add_nc_u64_e32 v[18:19], s[38:39], v[10:11]
	;; [unrolled: 1-line block ×5, first 2 shown]
	v_mov_b32_e32 v15, 1
	v_add_nc_u64_e32 v[0:1], s[46:47], v[4:5]
	v_add_nc_u64_e32 v[20:21], s[44:45], v[4:5]
	;; [unrolled: 1-line block ×3, first 2 shown]
	v_or_b32_e32 v72, 0x100, v10
	v_or_b32_e32 v73, 0x200, v10
	;; [unrolled: 1-line block ×16, first 2 shown]
	v_cmp_gt_u32_e64 s0, 0x80, v10
	v_or_b32_e32 v91, 0x8a00, v88
	v_cmp_gt_u32_e64 s4, 4, v10
	v_cmp_lt_u32_e64 s5, 31, v10
	v_add_nc_u32_e32 v93, 0x89fc, v88
	v_cmp_gt_u32_e64 s3, 8, v10
	v_cmp_eq_u32_e64 s6, 0, v10
	v_lshlrev_b32_e32 v99, 5, v10
	v_mul_u32_u24_e32 v100, 7, v10
	v_mbcnt_lo_u32_b32 v30, -1, 0
	s_cmp_eq_u32 s28, 0
	s_mov_b32 s43, 0
	s_cselect_b32 s48, ttmp7, s8
	s_mov_b32 s57, s49
	s_branch .LBB1525_12
.LBB1525_10:                            ;   in Loop: Header=BB1525_12 Depth=1
	s_wait_dscnt 0x0
	s_barrier_signal -1
	s_barrier_wait -1
.LBB1525_11:                            ;   in Loop: Header=BB1525_12 Depth=1
	s_add_co_i32 s57, s57, 7
	s_delay_alu instid0(SALU_CYCLE_1)
	s_cmp_ge_u32 s57, s50
	s_cbranch_scc1 .LBB1525_1254
.LBB1525_12:                            ; =>This Loop Header: Depth=1
                                        ;     Child Loop BB1525_16 Depth 2
                                        ;     Child Loop BB1525_100 Depth 2
	;; [unrolled: 1-line block ×8, first 2 shown]
	s_sub_co_i32 s8, s50, s57
	s_xor_b32 s55, s55, -1
	s_min_u32 s8, s8, 7
	ds_store_2addr_stride64_b32 v9, v2, v2 offset1:4
	s_lshl_b32 s8, -1, s8
	s_wait_storecnt_dscnt 0x0
	s_not_b32 s58, s8
	s_cmp_lg_u32 s57, s49
	s_mov_b32 s8, -1
	s_cbranch_scc0 .LBB1525_634
; %bb.13:                               ;   in Loop: Header=BB1525_12 Depth=1
	s_and_b32 vcc_lo, exec_lo, s55
	s_cbranch_vccz .LBB1525_323
; %bb.14:                               ;   in Loop: Header=BB1525_12 Depth=1
	v_dual_mov_b32 v40, 0 :: v_dual_mov_b32 v43, 0
	v_dual_mov_b32 v42, 0 :: v_dual_mov_b32 v41, 0
	;; [unrolled: 1-line block ×8, first 2 shown]
	v_mov_b32_e32 v3, 0
	s_mov_b32 s8, s56
	s_mov_b32 s42, s54
	s_barrier_signal -1
	s_barrier_wait -1
	s_branch .LBB1525_16
.LBB1525_15:                            ;   in Loop: Header=BB1525_16 Depth=2
	s_or_b32 exec_lo, exec_lo, s10
	s_addk_co_i32 s8, 0xef00
	s_cmp_ge_u32 s9, s51
	s_mov_b32 s42, s9
	s_cbranch_scc1 .LBB1525_88
.LBB1525_16:                            ;   Parent Loop BB1525_12 Depth=1
                                        ; =>  This Inner Loop Header: Depth=2
	s_add_co_i32 s9, s42, 0x1100
	s_mov_b32 s10, -1
	s_cmp_gt_u32 s9, s51
                                        ; implicit-def: $vgpr4
                                        ; implicit-def: $vgpr5
                                        ; implicit-def: $vgpr44
                                        ; implicit-def: $vgpr45
                                        ; implicit-def: $vgpr46
                                        ; implicit-def: $vgpr47
                                        ; implicit-def: $vgpr48
                                        ; implicit-def: $vgpr49
                                        ; implicit-def: $vgpr50
                                        ; implicit-def: $vgpr51
                                        ; implicit-def: $vgpr52
                                        ; implicit-def: $vgpr53
                                        ; implicit-def: $vgpr54
                                        ; implicit-def: $vgpr55
                                        ; implicit-def: $vgpr56
                                        ; implicit-def: $vgpr57
                                        ; implicit-def: $vgpr58
	s_cbranch_scc1 .LBB1525_18
; %bb.17:                               ;   in Loop: Header=BB1525_16 Depth=2
	v_add_nc_u64_e32 v[60:61], s[42:43], v[12:13]
	s_mov_b32 s10, 0
	s_clause 0x10
	global_load_u8 v58, v[60:61], off offset:4096
	global_load_u8 v57, v[60:61], off offset:3840
	;; [unrolled: 1-line block ×16, first 2 shown]
	global_load_u8 v4, v[60:61], off
.LBB1525_18:                            ;   in Loop: Header=BB1525_16 Depth=2
	s_and_not1_b32 vcc_lo, exec_lo, s10
	s_movk_i32 s10, 0x1100
	s_cbranch_vccnz .LBB1525_38
; %bb.19:                               ;   in Loop: Header=BB1525_16 Depth=2
	s_add_nc_u64 s[10:11], s[40:41], s[42:43]
	s_wait_loadcnt 0x0
	v_add_nc_u64_e32 v[4:5], s[10:11], v[10:11]
	s_mov_b32 s10, exec_lo
	s_wait_xcnt 0x0
	v_cmpx_gt_u32_e64 s8, v10
	s_cbranch_execnz .LBB1525_72
; %bb.20:                               ;   in Loop: Header=BB1525_16 Depth=2
	s_or_b32 exec_lo, exec_lo, s10
	s_delay_alu instid0(SALU_CYCLE_1)
	s_mov_b32 s10, exec_lo
	v_cmpx_gt_u32_e64 s8, v72
	s_cbranch_execnz .LBB1525_73
.LBB1525_21:                            ;   in Loop: Header=BB1525_16 Depth=2
	s_or_b32 exec_lo, exec_lo, s10
	s_delay_alu instid0(SALU_CYCLE_1)
	s_mov_b32 s10, exec_lo
	v_cmpx_gt_u32_e64 s8, v73
	s_cbranch_execnz .LBB1525_74
.LBB1525_22:                            ;   in Loop: Header=BB1525_16 Depth=2
	s_or_b32 exec_lo, exec_lo, s10
	s_delay_alu instid0(SALU_CYCLE_1)
	s_mov_b32 s10, exec_lo
	v_cmpx_gt_u32_e64 s8, v74
	s_cbranch_execnz .LBB1525_75
.LBB1525_23:                            ;   in Loop: Header=BB1525_16 Depth=2
	s_or_b32 exec_lo, exec_lo, s10
	s_delay_alu instid0(SALU_CYCLE_1)
	s_mov_b32 s10, exec_lo
	v_cmpx_gt_u32_e64 s8, v75
	s_cbranch_execnz .LBB1525_76
.LBB1525_24:                            ;   in Loop: Header=BB1525_16 Depth=2
	s_or_b32 exec_lo, exec_lo, s10
	s_delay_alu instid0(SALU_CYCLE_1)
	s_mov_b32 s10, exec_lo
	v_cmpx_gt_u32_e64 s8, v76
	s_cbranch_execnz .LBB1525_77
.LBB1525_25:                            ;   in Loop: Header=BB1525_16 Depth=2
	s_or_b32 exec_lo, exec_lo, s10
	s_delay_alu instid0(SALU_CYCLE_1)
	s_mov_b32 s10, exec_lo
	v_cmpx_gt_u32_e64 s8, v77
	s_cbranch_execnz .LBB1525_78
.LBB1525_26:                            ;   in Loop: Header=BB1525_16 Depth=2
	s_or_b32 exec_lo, exec_lo, s10
	s_delay_alu instid0(SALU_CYCLE_1)
	s_mov_b32 s10, exec_lo
	v_cmpx_gt_u32_e64 s8, v78
	s_cbranch_execnz .LBB1525_79
.LBB1525_27:                            ;   in Loop: Header=BB1525_16 Depth=2
	s_or_b32 exec_lo, exec_lo, s10
	s_delay_alu instid0(SALU_CYCLE_1)
	s_mov_b32 s10, exec_lo
	v_cmpx_gt_u32_e64 s8, v79
	s_cbranch_execnz .LBB1525_80
.LBB1525_28:                            ;   in Loop: Header=BB1525_16 Depth=2
	s_or_b32 exec_lo, exec_lo, s10
	s_delay_alu instid0(SALU_CYCLE_1)
	s_mov_b32 s10, exec_lo
	v_cmpx_gt_u32_e64 s8, v80
	s_cbranch_execnz .LBB1525_81
.LBB1525_29:                            ;   in Loop: Header=BB1525_16 Depth=2
	s_or_b32 exec_lo, exec_lo, s10
	s_delay_alu instid0(SALU_CYCLE_1)
	s_mov_b32 s10, exec_lo
	v_cmpx_gt_u32_e64 s8, v81
	s_cbranch_execnz .LBB1525_82
.LBB1525_30:                            ;   in Loop: Header=BB1525_16 Depth=2
	s_or_b32 exec_lo, exec_lo, s10
	s_delay_alu instid0(SALU_CYCLE_1)
	s_mov_b32 s10, exec_lo
	v_cmpx_gt_u32_e64 s8, v82
	s_cbranch_execnz .LBB1525_83
.LBB1525_31:                            ;   in Loop: Header=BB1525_16 Depth=2
	s_or_b32 exec_lo, exec_lo, s10
	s_delay_alu instid0(SALU_CYCLE_1)
	s_mov_b32 s10, exec_lo
	v_cmpx_gt_u32_e64 s8, v83
	s_cbranch_execnz .LBB1525_84
.LBB1525_32:                            ;   in Loop: Header=BB1525_16 Depth=2
	s_or_b32 exec_lo, exec_lo, s10
	s_delay_alu instid0(SALU_CYCLE_1)
	s_mov_b32 s10, exec_lo
	v_cmpx_gt_u32_e64 s8, v84
	s_cbranch_execnz .LBB1525_85
.LBB1525_33:                            ;   in Loop: Header=BB1525_16 Depth=2
	s_or_b32 exec_lo, exec_lo, s10
	s_delay_alu instid0(SALU_CYCLE_1)
	s_mov_b32 s10, exec_lo
	v_cmpx_gt_u32_e64 s8, v85
	s_cbranch_execnz .LBB1525_86
.LBB1525_34:                            ;   in Loop: Header=BB1525_16 Depth=2
	s_or_b32 exec_lo, exec_lo, s10
	s_delay_alu instid0(SALU_CYCLE_1)
	s_mov_b32 s10, exec_lo
	v_cmpx_gt_u32_e64 s8, v86
	s_cbranch_execnz .LBB1525_87
.LBB1525_35:                            ;   in Loop: Header=BB1525_16 Depth=2
	s_or_b32 exec_lo, exec_lo, s10
	s_delay_alu instid0(SALU_CYCLE_1)
	s_mov_b32 s10, exec_lo
	v_cmpx_gt_u32_e64 s8, v87
	s_cbranch_execz .LBB1525_37
.LBB1525_36:                            ;   in Loop: Header=BB1525_16 Depth=2
	global_load_u8 v3, v[4:5], off offset:4096
.LBB1525_37:                            ;   in Loop: Header=BB1525_16 Depth=2
	s_wait_xcnt 0x0
	s_or_b32 exec_lo, exec_lo, s10
	s_wait_loadcnt 0x0
	v_dual_mov_b32 v4, v40 :: v_dual_mov_b32 v5, v43
	v_dual_mov_b32 v44, v42 :: v_dual_mov_b32 v45, v41
	;; [unrolled: 1-line block ×8, first 2 shown]
	v_mov_b32_e32 v58, v3
	s_mov_b32 s10, s8
.LBB1525_38:                            ;   in Loop: Header=BB1525_16 Depth=2
	s_wait_loadcnt 0xf
	s_delay_alu instid0(VALU_DEP_1)
	v_dual_mov_b32 v3, v58 :: v_dual_mov_b32 v6, v57
	s_wait_loadcnt 0xd
	v_dual_mov_b32 v7, v56 :: v_dual_mov_b32 v8, v55
	s_wait_loadcnt 0xb
	;; [unrolled: 2-line block ×8, first 2 shown]
	v_mov_b32_e32 v40, v4
	s_mov_b32 s11, exec_lo
	s_wait_xcnt 0x0
	v_cmpx_gt_u32_e64 s10, v10
	s_cbranch_execnz .LBB1525_55
; %bb.39:                               ;   in Loop: Header=BB1525_16 Depth=2
	s_or_b32 exec_lo, exec_lo, s11
	s_delay_alu instid0(SALU_CYCLE_1)
	s_mov_b32 s11, exec_lo
	v_cmpx_gt_u32_e64 s10, v72
	s_cbranch_execnz .LBB1525_56
.LBB1525_40:                            ;   in Loop: Header=BB1525_16 Depth=2
	s_or_b32 exec_lo, exec_lo, s11
	s_delay_alu instid0(SALU_CYCLE_1)
	s_mov_b32 s11, exec_lo
	v_cmpx_gt_u32_e64 s10, v73
	s_cbranch_execnz .LBB1525_57
.LBB1525_41:                            ;   in Loop: Header=BB1525_16 Depth=2
	s_or_b32 exec_lo, exec_lo, s11
	s_delay_alu instid0(SALU_CYCLE_1)
	s_mov_b32 s11, exec_lo
	v_cmpx_gt_u32_e64 s10, v74
	s_cbranch_execnz .LBB1525_58
.LBB1525_42:                            ;   in Loop: Header=BB1525_16 Depth=2
	s_or_b32 exec_lo, exec_lo, s11
	s_delay_alu instid0(SALU_CYCLE_1)
	s_mov_b32 s11, exec_lo
	v_cmpx_gt_u32_e64 s10, v75
	s_cbranch_execnz .LBB1525_59
.LBB1525_43:                            ;   in Loop: Header=BB1525_16 Depth=2
	s_or_b32 exec_lo, exec_lo, s11
	s_delay_alu instid0(SALU_CYCLE_1)
	s_mov_b32 s11, exec_lo
	v_cmpx_gt_u32_e64 s10, v76
	s_cbranch_execnz .LBB1525_60
.LBB1525_44:                            ;   in Loop: Header=BB1525_16 Depth=2
	s_or_b32 exec_lo, exec_lo, s11
	s_delay_alu instid0(SALU_CYCLE_1)
	s_mov_b32 s11, exec_lo
	v_cmpx_gt_u32_e64 s10, v77
	s_cbranch_execnz .LBB1525_61
.LBB1525_45:                            ;   in Loop: Header=BB1525_16 Depth=2
	s_or_b32 exec_lo, exec_lo, s11
	s_delay_alu instid0(SALU_CYCLE_1)
	s_mov_b32 s11, exec_lo
	v_cmpx_gt_u32_e64 s10, v78
	s_cbranch_execnz .LBB1525_62
.LBB1525_46:                            ;   in Loop: Header=BB1525_16 Depth=2
	s_or_b32 exec_lo, exec_lo, s11
	s_delay_alu instid0(SALU_CYCLE_1)
	s_mov_b32 s11, exec_lo
	v_cmpx_gt_u32_e64 s10, v79
	s_cbranch_execnz .LBB1525_63
.LBB1525_47:                            ;   in Loop: Header=BB1525_16 Depth=2
	s_or_b32 exec_lo, exec_lo, s11
	s_delay_alu instid0(SALU_CYCLE_1)
	s_mov_b32 s11, exec_lo
	v_cmpx_gt_u32_e64 s10, v80
	s_cbranch_execnz .LBB1525_64
.LBB1525_48:                            ;   in Loop: Header=BB1525_16 Depth=2
	s_or_b32 exec_lo, exec_lo, s11
	s_delay_alu instid0(SALU_CYCLE_1)
	s_mov_b32 s11, exec_lo
	v_cmpx_gt_u32_e64 s10, v81
	s_cbranch_execnz .LBB1525_65
.LBB1525_49:                            ;   in Loop: Header=BB1525_16 Depth=2
	s_or_b32 exec_lo, exec_lo, s11
	s_delay_alu instid0(SALU_CYCLE_1)
	s_mov_b32 s11, exec_lo
	v_cmpx_gt_u32_e64 s10, v82
	s_cbranch_execnz .LBB1525_66
.LBB1525_50:                            ;   in Loop: Header=BB1525_16 Depth=2
	s_or_b32 exec_lo, exec_lo, s11
	s_delay_alu instid0(SALU_CYCLE_1)
	s_mov_b32 s11, exec_lo
	v_cmpx_gt_u32_e64 s10, v83
	s_cbranch_execnz .LBB1525_67
.LBB1525_51:                            ;   in Loop: Header=BB1525_16 Depth=2
	s_or_b32 exec_lo, exec_lo, s11
	s_delay_alu instid0(SALU_CYCLE_1)
	s_mov_b32 s11, exec_lo
	v_cmpx_gt_u32_e64 s10, v84
	s_cbranch_execnz .LBB1525_68
.LBB1525_52:                            ;   in Loop: Header=BB1525_16 Depth=2
	s_or_b32 exec_lo, exec_lo, s11
	s_delay_alu instid0(SALU_CYCLE_1)
	s_mov_b32 s11, exec_lo
	v_cmpx_gt_u32_e64 s10, v85
	s_cbranch_execnz .LBB1525_69
.LBB1525_53:                            ;   in Loop: Header=BB1525_16 Depth=2
	s_or_b32 exec_lo, exec_lo, s11
	s_delay_alu instid0(SALU_CYCLE_1)
	s_mov_b32 s11, exec_lo
	v_cmpx_gt_u32_e64 s10, v86
	s_cbranch_execnz .LBB1525_70
.LBB1525_54:                            ;   in Loop: Header=BB1525_16 Depth=2
	s_or_b32 exec_lo, exec_lo, s11
	v_cmp_gt_u32_e32 vcc_lo, s10, v87
	s_and_saveexec_b32 s10, vcc_lo
	s_cbranch_execz .LBB1525_15
	s_branch .LBB1525_71
.LBB1525_55:                            ;   in Loop: Header=BB1525_16 Depth=2
	v_bitop3_b16 v4, v40, 1, v40 bitop3:0xc
	s_delay_alu instid0(VALU_DEP_1) | instskip(NEXT) | instid1(VALU_DEP_1)
	v_and_b32_e32 v4, 0xffff, v4
	v_lshrrev_b32_e32 v4, s57, v4
	s_delay_alu instid0(VALU_DEP_1) | instskip(NEXT) | instid1(VALU_DEP_1)
	v_and_b32_e32 v4, s58, v4
	v_lshl_or_b32 v4, v4, 4, v89
	ds_add_u32 v4, v15
	s_or_b32 exec_lo, exec_lo, s11
	s_delay_alu instid0(SALU_CYCLE_1)
	s_mov_b32 s11, exec_lo
	v_cmpx_gt_u32_e64 s10, v72
	s_cbranch_execz .LBB1525_40
.LBB1525_56:                            ;   in Loop: Header=BB1525_16 Depth=2
	v_bitop3_b16 v4, v43, 1, v43 bitop3:0xc
	s_delay_alu instid0(VALU_DEP_1) | instskip(NEXT) | instid1(VALU_DEP_1)
	v_and_b32_e32 v4, 0xffff, v4
	v_lshrrev_b32_e32 v4, s57, v4
	s_delay_alu instid0(VALU_DEP_1) | instskip(NEXT) | instid1(VALU_DEP_1)
	v_and_b32_e32 v4, s58, v4
	v_lshl_or_b32 v4, v4, 4, v89
	ds_add_u32 v4, v15
	s_or_b32 exec_lo, exec_lo, s11
	s_delay_alu instid0(SALU_CYCLE_1)
	s_mov_b32 s11, exec_lo
	v_cmpx_gt_u32_e64 s10, v73
	s_cbranch_execz .LBB1525_41
.LBB1525_57:                            ;   in Loop: Header=BB1525_16 Depth=2
	v_bitop3_b16 v4, v42, 1, v42 bitop3:0xc
	s_delay_alu instid0(VALU_DEP_1) | instskip(NEXT) | instid1(VALU_DEP_1)
	v_and_b32_e32 v4, 0xffff, v4
	v_lshrrev_b32_e32 v4, s57, v4
	s_delay_alu instid0(VALU_DEP_1) | instskip(NEXT) | instid1(VALU_DEP_1)
	v_and_b32_e32 v4, s58, v4
	v_lshl_or_b32 v4, v4, 4, v89
	ds_add_u32 v4, v15
	s_or_b32 exec_lo, exec_lo, s11
	s_delay_alu instid0(SALU_CYCLE_1)
	s_mov_b32 s11, exec_lo
	v_cmpx_gt_u32_e64 s10, v74
	s_cbranch_execz .LBB1525_42
.LBB1525_58:                            ;   in Loop: Header=BB1525_16 Depth=2
	v_bitop3_b16 v4, v41, 1, v41 bitop3:0xc
	s_delay_alu instid0(VALU_DEP_1) | instskip(NEXT) | instid1(VALU_DEP_1)
	v_and_b32_e32 v4, 0xffff, v4
	v_lshrrev_b32_e32 v4, s57, v4
	s_delay_alu instid0(VALU_DEP_1) | instskip(NEXT) | instid1(VALU_DEP_1)
	v_and_b32_e32 v4, s58, v4
	v_lshl_or_b32 v4, v4, 4, v89
	ds_add_u32 v4, v15
	s_or_b32 exec_lo, exec_lo, s11
	s_delay_alu instid0(SALU_CYCLE_1)
	s_mov_b32 s11, exec_lo
	v_cmpx_gt_u32_e64 s10, v75
	s_cbranch_execz .LBB1525_43
.LBB1525_59:                            ;   in Loop: Header=BB1525_16 Depth=2
	v_bitop3_b16 v4, v39, 1, v39 bitop3:0xc
	s_delay_alu instid0(VALU_DEP_1) | instskip(NEXT) | instid1(VALU_DEP_1)
	v_and_b32_e32 v4, 0xffff, v4
	v_lshrrev_b32_e32 v4, s57, v4
	s_delay_alu instid0(VALU_DEP_1) | instskip(NEXT) | instid1(VALU_DEP_1)
	v_and_b32_e32 v4, s58, v4
	v_lshl_or_b32 v4, v4, 4, v89
	ds_add_u32 v4, v15
	s_or_b32 exec_lo, exec_lo, s11
	s_delay_alu instid0(SALU_CYCLE_1)
	s_mov_b32 s11, exec_lo
	v_cmpx_gt_u32_e64 s10, v76
	s_cbranch_execz .LBB1525_44
.LBB1525_60:                            ;   in Loop: Header=BB1525_16 Depth=2
	v_bitop3_b16 v4, v38, 1, v38 bitop3:0xc
	s_delay_alu instid0(VALU_DEP_1) | instskip(NEXT) | instid1(VALU_DEP_1)
	v_and_b32_e32 v4, 0xffff, v4
	v_lshrrev_b32_e32 v4, s57, v4
	s_delay_alu instid0(VALU_DEP_1) | instskip(NEXT) | instid1(VALU_DEP_1)
	v_and_b32_e32 v4, s58, v4
	v_lshl_or_b32 v4, v4, 4, v89
	ds_add_u32 v4, v15
	s_or_b32 exec_lo, exec_lo, s11
	s_delay_alu instid0(SALU_CYCLE_1)
	s_mov_b32 s11, exec_lo
	v_cmpx_gt_u32_e64 s10, v77
	s_cbranch_execz .LBB1525_45
.LBB1525_61:                            ;   in Loop: Header=BB1525_16 Depth=2
	v_bitop3_b16 v4, v37, 1, v37 bitop3:0xc
	s_delay_alu instid0(VALU_DEP_1) | instskip(NEXT) | instid1(VALU_DEP_1)
	v_and_b32_e32 v4, 0xffff, v4
	v_lshrrev_b32_e32 v4, s57, v4
	s_delay_alu instid0(VALU_DEP_1) | instskip(NEXT) | instid1(VALU_DEP_1)
	v_and_b32_e32 v4, s58, v4
	v_lshl_or_b32 v4, v4, 4, v89
	ds_add_u32 v4, v15
	s_or_b32 exec_lo, exec_lo, s11
	s_delay_alu instid0(SALU_CYCLE_1)
	s_mov_b32 s11, exec_lo
	v_cmpx_gt_u32_e64 s10, v78
	s_cbranch_execz .LBB1525_46
.LBB1525_62:                            ;   in Loop: Header=BB1525_16 Depth=2
	v_bitop3_b16 v4, v36, 1, v36 bitop3:0xc
	s_delay_alu instid0(VALU_DEP_1) | instskip(NEXT) | instid1(VALU_DEP_1)
	v_and_b32_e32 v4, 0xffff, v4
	v_lshrrev_b32_e32 v4, s57, v4
	s_delay_alu instid0(VALU_DEP_1) | instskip(NEXT) | instid1(VALU_DEP_1)
	v_and_b32_e32 v4, s58, v4
	v_lshl_or_b32 v4, v4, 4, v89
	ds_add_u32 v4, v15
	s_or_b32 exec_lo, exec_lo, s11
	s_delay_alu instid0(SALU_CYCLE_1)
	s_mov_b32 s11, exec_lo
	v_cmpx_gt_u32_e64 s10, v79
	s_cbranch_execz .LBB1525_47
.LBB1525_63:                            ;   in Loop: Header=BB1525_16 Depth=2
	v_bitop3_b16 v4, v35, 1, v35 bitop3:0xc
	s_delay_alu instid0(VALU_DEP_1) | instskip(NEXT) | instid1(VALU_DEP_1)
	v_and_b32_e32 v4, 0xffff, v4
	v_lshrrev_b32_e32 v4, s57, v4
	s_delay_alu instid0(VALU_DEP_1) | instskip(NEXT) | instid1(VALU_DEP_1)
	v_and_b32_e32 v4, s58, v4
	v_lshl_or_b32 v4, v4, 4, v89
	ds_add_u32 v4, v15
	s_or_b32 exec_lo, exec_lo, s11
	s_delay_alu instid0(SALU_CYCLE_1)
	s_mov_b32 s11, exec_lo
	v_cmpx_gt_u32_e64 s10, v80
	s_cbranch_execz .LBB1525_48
.LBB1525_64:                            ;   in Loop: Header=BB1525_16 Depth=2
	v_bitop3_b16 v4, v34, 1, v34 bitop3:0xc
	s_delay_alu instid0(VALU_DEP_1) | instskip(NEXT) | instid1(VALU_DEP_1)
	v_and_b32_e32 v4, 0xffff, v4
	v_lshrrev_b32_e32 v4, s57, v4
	s_delay_alu instid0(VALU_DEP_1) | instskip(NEXT) | instid1(VALU_DEP_1)
	v_and_b32_e32 v4, s58, v4
	v_lshl_or_b32 v4, v4, 4, v89
	ds_add_u32 v4, v15
	s_or_b32 exec_lo, exec_lo, s11
	s_delay_alu instid0(SALU_CYCLE_1)
	s_mov_b32 s11, exec_lo
	v_cmpx_gt_u32_e64 s10, v81
	s_cbranch_execz .LBB1525_49
.LBB1525_65:                            ;   in Loop: Header=BB1525_16 Depth=2
	v_bitop3_b16 v4, v33, 1, v33 bitop3:0xc
	s_delay_alu instid0(VALU_DEP_1) | instskip(NEXT) | instid1(VALU_DEP_1)
	v_and_b32_e32 v4, 0xffff, v4
	v_lshrrev_b32_e32 v4, s57, v4
	s_delay_alu instid0(VALU_DEP_1) | instskip(NEXT) | instid1(VALU_DEP_1)
	v_and_b32_e32 v4, s58, v4
	v_lshl_or_b32 v4, v4, 4, v89
	ds_add_u32 v4, v15
	s_or_b32 exec_lo, exec_lo, s11
	s_delay_alu instid0(SALU_CYCLE_1)
	s_mov_b32 s11, exec_lo
	v_cmpx_gt_u32_e64 s10, v82
	s_cbranch_execz .LBB1525_50
.LBB1525_66:                            ;   in Loop: Header=BB1525_16 Depth=2
	v_bitop3_b16 v4, v32, 1, v32 bitop3:0xc
	s_delay_alu instid0(VALU_DEP_1) | instskip(NEXT) | instid1(VALU_DEP_1)
	v_and_b32_e32 v4, 0xffff, v4
	v_lshrrev_b32_e32 v4, s57, v4
	s_delay_alu instid0(VALU_DEP_1) | instskip(NEXT) | instid1(VALU_DEP_1)
	v_and_b32_e32 v4, s58, v4
	v_lshl_or_b32 v4, v4, 4, v89
	ds_add_u32 v4, v15
	s_or_b32 exec_lo, exec_lo, s11
	s_delay_alu instid0(SALU_CYCLE_1)
	s_mov_b32 s11, exec_lo
	v_cmpx_gt_u32_e64 s10, v83
	s_cbranch_execz .LBB1525_51
.LBB1525_67:                            ;   in Loop: Header=BB1525_16 Depth=2
	v_bitop3_b16 v4, v31, 1, v31 bitop3:0xc
	s_delay_alu instid0(VALU_DEP_1) | instskip(NEXT) | instid1(VALU_DEP_1)
	v_and_b32_e32 v4, 0xffff, v4
	v_lshrrev_b32_e32 v4, s57, v4
	s_delay_alu instid0(VALU_DEP_1) | instskip(NEXT) | instid1(VALU_DEP_1)
	v_and_b32_e32 v4, s58, v4
	v_lshl_or_b32 v4, v4, 4, v89
	ds_add_u32 v4, v15
	s_or_b32 exec_lo, exec_lo, s11
	s_delay_alu instid0(SALU_CYCLE_1)
	s_mov_b32 s11, exec_lo
	v_cmpx_gt_u32_e64 s10, v84
	s_cbranch_execz .LBB1525_52
.LBB1525_68:                            ;   in Loop: Header=BB1525_16 Depth=2
	v_bitop3_b16 v4, v8, 1, v8 bitop3:0xc
	s_delay_alu instid0(VALU_DEP_1) | instskip(NEXT) | instid1(VALU_DEP_1)
	v_and_b32_e32 v4, 0xffff, v4
	v_lshrrev_b32_e32 v4, s57, v4
	s_delay_alu instid0(VALU_DEP_1) | instskip(NEXT) | instid1(VALU_DEP_1)
	v_and_b32_e32 v4, s58, v4
	v_lshl_or_b32 v4, v4, 4, v89
	ds_add_u32 v4, v15
	s_or_b32 exec_lo, exec_lo, s11
	s_delay_alu instid0(SALU_CYCLE_1)
	s_mov_b32 s11, exec_lo
	v_cmpx_gt_u32_e64 s10, v85
	s_cbranch_execz .LBB1525_53
.LBB1525_69:                            ;   in Loop: Header=BB1525_16 Depth=2
	v_bitop3_b16 v4, v7, 1, v7 bitop3:0xc
	s_delay_alu instid0(VALU_DEP_1) | instskip(NEXT) | instid1(VALU_DEP_1)
	v_and_b32_e32 v4, 0xffff, v4
	v_lshrrev_b32_e32 v4, s57, v4
	s_delay_alu instid0(VALU_DEP_1) | instskip(NEXT) | instid1(VALU_DEP_1)
	v_and_b32_e32 v4, s58, v4
	v_lshl_or_b32 v4, v4, 4, v89
	ds_add_u32 v4, v15
	s_or_b32 exec_lo, exec_lo, s11
	s_delay_alu instid0(SALU_CYCLE_1)
	s_mov_b32 s11, exec_lo
	v_cmpx_gt_u32_e64 s10, v86
	s_cbranch_execz .LBB1525_54
.LBB1525_70:                            ;   in Loop: Header=BB1525_16 Depth=2
	v_bitop3_b16 v4, v6, 1, v6 bitop3:0xc
	s_delay_alu instid0(VALU_DEP_1) | instskip(NEXT) | instid1(VALU_DEP_1)
	v_and_b32_e32 v4, 0xffff, v4
	v_lshrrev_b32_e32 v4, s57, v4
	s_delay_alu instid0(VALU_DEP_1) | instskip(NEXT) | instid1(VALU_DEP_1)
	v_and_b32_e32 v4, s58, v4
	v_lshl_or_b32 v4, v4, 4, v89
	ds_add_u32 v4, v15
	s_or_b32 exec_lo, exec_lo, s11
	v_cmp_gt_u32_e32 vcc_lo, s10, v87
	s_and_saveexec_b32 s10, vcc_lo
	s_cbranch_execz .LBB1525_15
.LBB1525_71:                            ;   in Loop: Header=BB1525_16 Depth=2
	v_bitop3_b16 v4, v3, 1, v3 bitop3:0xc
	s_delay_alu instid0(VALU_DEP_1) | instskip(NEXT) | instid1(VALU_DEP_1)
	v_and_b32_e32 v4, 0xffff, v4
	v_lshrrev_b32_e32 v4, s57, v4
	s_delay_alu instid0(VALU_DEP_1) | instskip(NEXT) | instid1(VALU_DEP_1)
	v_and_b32_e32 v4, s58, v4
	v_lshl_or_b32 v4, v4, 4, v89
	ds_add_u32 v4, v15
	s_branch .LBB1525_15
.LBB1525_72:                            ;   in Loop: Header=BB1525_16 Depth=2
	global_load_u8 v40, v[4:5], off
	s_wait_xcnt 0x0
	s_or_b32 exec_lo, exec_lo, s10
	s_delay_alu instid0(SALU_CYCLE_1)
	s_mov_b32 s10, exec_lo
	v_cmpx_gt_u32_e64 s8, v72
	s_cbranch_execz .LBB1525_21
.LBB1525_73:                            ;   in Loop: Header=BB1525_16 Depth=2
	global_load_u8 v43, v[4:5], off offset:256
	s_wait_xcnt 0x0
	s_or_b32 exec_lo, exec_lo, s10
	s_delay_alu instid0(SALU_CYCLE_1)
	s_mov_b32 s10, exec_lo
	v_cmpx_gt_u32_e64 s8, v73
	s_cbranch_execz .LBB1525_22
.LBB1525_74:                            ;   in Loop: Header=BB1525_16 Depth=2
	global_load_u8 v42, v[4:5], off offset:512
	s_wait_xcnt 0x0
	s_or_b32 exec_lo, exec_lo, s10
	s_delay_alu instid0(SALU_CYCLE_1)
	s_mov_b32 s10, exec_lo
	v_cmpx_gt_u32_e64 s8, v74
	s_cbranch_execz .LBB1525_23
.LBB1525_75:                            ;   in Loop: Header=BB1525_16 Depth=2
	global_load_u8 v41, v[4:5], off offset:768
	s_wait_xcnt 0x0
	s_or_b32 exec_lo, exec_lo, s10
	s_delay_alu instid0(SALU_CYCLE_1)
	s_mov_b32 s10, exec_lo
	v_cmpx_gt_u32_e64 s8, v75
	s_cbranch_execz .LBB1525_24
.LBB1525_76:                            ;   in Loop: Header=BB1525_16 Depth=2
	global_load_u8 v39, v[4:5], off offset:1024
	s_wait_xcnt 0x0
	s_or_b32 exec_lo, exec_lo, s10
	s_delay_alu instid0(SALU_CYCLE_1)
	s_mov_b32 s10, exec_lo
	v_cmpx_gt_u32_e64 s8, v76
	s_cbranch_execz .LBB1525_25
.LBB1525_77:                            ;   in Loop: Header=BB1525_16 Depth=2
	global_load_u8 v38, v[4:5], off offset:1280
	s_wait_xcnt 0x0
	s_or_b32 exec_lo, exec_lo, s10
	s_delay_alu instid0(SALU_CYCLE_1)
	s_mov_b32 s10, exec_lo
	v_cmpx_gt_u32_e64 s8, v77
	s_cbranch_execz .LBB1525_26
.LBB1525_78:                            ;   in Loop: Header=BB1525_16 Depth=2
	global_load_u8 v37, v[4:5], off offset:1536
	s_wait_xcnt 0x0
	s_or_b32 exec_lo, exec_lo, s10
	s_delay_alu instid0(SALU_CYCLE_1)
	s_mov_b32 s10, exec_lo
	v_cmpx_gt_u32_e64 s8, v78
	s_cbranch_execz .LBB1525_27
.LBB1525_79:                            ;   in Loop: Header=BB1525_16 Depth=2
	global_load_u8 v36, v[4:5], off offset:1792
	s_wait_xcnt 0x0
	s_or_b32 exec_lo, exec_lo, s10
	s_delay_alu instid0(SALU_CYCLE_1)
	s_mov_b32 s10, exec_lo
	v_cmpx_gt_u32_e64 s8, v79
	s_cbranch_execz .LBB1525_28
.LBB1525_80:                            ;   in Loop: Header=BB1525_16 Depth=2
	global_load_u8 v35, v[4:5], off offset:2048
	s_wait_xcnt 0x0
	s_or_b32 exec_lo, exec_lo, s10
	s_delay_alu instid0(SALU_CYCLE_1)
	s_mov_b32 s10, exec_lo
	v_cmpx_gt_u32_e64 s8, v80
	s_cbranch_execz .LBB1525_29
.LBB1525_81:                            ;   in Loop: Header=BB1525_16 Depth=2
	global_load_u8 v34, v[4:5], off offset:2304
	s_wait_xcnt 0x0
	s_or_b32 exec_lo, exec_lo, s10
	s_delay_alu instid0(SALU_CYCLE_1)
	s_mov_b32 s10, exec_lo
	v_cmpx_gt_u32_e64 s8, v81
	s_cbranch_execz .LBB1525_30
.LBB1525_82:                            ;   in Loop: Header=BB1525_16 Depth=2
	global_load_u8 v33, v[4:5], off offset:2560
	s_wait_xcnt 0x0
	s_or_b32 exec_lo, exec_lo, s10
	s_delay_alu instid0(SALU_CYCLE_1)
	s_mov_b32 s10, exec_lo
	v_cmpx_gt_u32_e64 s8, v82
	s_cbranch_execz .LBB1525_31
.LBB1525_83:                            ;   in Loop: Header=BB1525_16 Depth=2
	global_load_u8 v32, v[4:5], off offset:2816
	s_wait_xcnt 0x0
	s_or_b32 exec_lo, exec_lo, s10
	s_delay_alu instid0(SALU_CYCLE_1)
	s_mov_b32 s10, exec_lo
	v_cmpx_gt_u32_e64 s8, v83
	s_cbranch_execz .LBB1525_32
.LBB1525_84:                            ;   in Loop: Header=BB1525_16 Depth=2
	global_load_u8 v31, v[4:5], off offset:3072
	s_wait_xcnt 0x0
	s_or_b32 exec_lo, exec_lo, s10
	s_delay_alu instid0(SALU_CYCLE_1)
	s_mov_b32 s10, exec_lo
	v_cmpx_gt_u32_e64 s8, v84
	s_cbranch_execz .LBB1525_33
.LBB1525_85:                            ;   in Loop: Header=BB1525_16 Depth=2
	global_load_u8 v8, v[4:5], off offset:3328
	s_wait_xcnt 0x0
	s_or_b32 exec_lo, exec_lo, s10
	s_delay_alu instid0(SALU_CYCLE_1)
	s_mov_b32 s10, exec_lo
	v_cmpx_gt_u32_e64 s8, v85
	s_cbranch_execz .LBB1525_34
.LBB1525_86:                            ;   in Loop: Header=BB1525_16 Depth=2
	global_load_u8 v7, v[4:5], off offset:3584
	s_wait_xcnt 0x0
	s_or_b32 exec_lo, exec_lo, s10
	s_delay_alu instid0(SALU_CYCLE_1)
	s_mov_b32 s10, exec_lo
	v_cmpx_gt_u32_e64 s8, v86
	s_cbranch_execz .LBB1525_35
.LBB1525_87:                            ;   in Loop: Header=BB1525_16 Depth=2
	global_load_u8 v6, v[4:5], off offset:3840
	s_wait_xcnt 0x0
	s_or_b32 exec_lo, exec_lo, s10
	s_delay_alu instid0(SALU_CYCLE_1)
	s_mov_b32 s10, exec_lo
	v_cmpx_gt_u32_e64 s8, v87
	s_cbranch_execnz .LBB1525_36
	s_branch .LBB1525_37
.LBB1525_88:                            ;   in Loop: Header=BB1525_12 Depth=1
	v_mov_b32_e32 v3, 0
	s_wait_dscnt 0x0
	s_barrier_signal -1
	s_barrier_wait -1
	s_and_saveexec_b32 s8, s0
	s_cbranch_execz .LBB1525_90
; %bb.89:                               ;   in Loop: Header=BB1525_12 Depth=1
	ds_load_2addr_b64 v[4:7], v90 offset1:1
	s_wait_dscnt 0x0
	v_add_nc_u32_e32 v3, v5, v4
	s_delay_alu instid0(VALU_DEP_1)
	v_add3_u32 v3, v3, v6, v7
.LBB1525_90:                            ;   in Loop: Header=BB1525_12 Depth=1
	s_or_b32 exec_lo, exec_lo, s8
	v_and_b32_e32 v4, 15, v30
	s_delay_alu instid0(VALU_DEP_2) | instskip(NEXT) | instid1(VALU_DEP_2)
	v_mov_b32_dpp v5, v3 row_shr:1 row_mask:0xf bank_mask:0xf
	v_cmp_eq_u32_e64 s8, 0, v4
	s_delay_alu instid0(VALU_DEP_1) | instskip(NEXT) | instid1(VALU_DEP_1)
	v_cndmask_b32_e64 v5, v5, 0, s8
	v_add_nc_u32_e32 v3, v5, v3
	v_cmp_lt_u32_e64 s9, 1, v4
	v_cmp_lt_u32_e64 s10, 3, v4
	;; [unrolled: 1-line block ×3, first 2 shown]
	s_delay_alu instid0(VALU_DEP_4) | instskip(NEXT) | instid1(VALU_DEP_1)
	v_mov_b32_dpp v5, v3 row_shr:2 row_mask:0xf bank_mask:0xf
	v_cndmask_b32_e64 v5, 0, v5, s9
	s_delay_alu instid0(VALU_DEP_1) | instskip(NEXT) | instid1(VALU_DEP_1)
	v_add_nc_u32_e32 v3, v3, v5
	v_mov_b32_dpp v5, v3 row_shr:4 row_mask:0xf bank_mask:0xf
	s_delay_alu instid0(VALU_DEP_1) | instskip(NEXT) | instid1(VALU_DEP_1)
	v_cndmask_b32_e64 v5, 0, v5, s10
	v_add_nc_u32_e32 v3, v3, v5
	s_delay_alu instid0(VALU_DEP_1) | instskip(NEXT) | instid1(VALU_DEP_1)
	v_mov_b32_dpp v5, v3 row_shr:8 row_mask:0xf bank_mask:0xf
	v_cndmask_b32_e64 v4, 0, v5, s11
	v_bfe_i32 v5, v30, 4, 1
	s_delay_alu instid0(VALU_DEP_2) | instskip(SKIP_3) | instid1(VALU_DEP_1)
	v_add_nc_u32_e32 v3, v3, v4
	ds_swizzle_b32 v4, v3 offset:swizzle(BROADCAST,32,15)
	s_wait_dscnt 0x0
	v_and_b32_e32 v4, v5, v4
	v_dual_add_nc_u32 v3, v3, v4 :: v_dual_bitop2_b32 v6, 16, v30 bitop3:0x40
	s_delay_alu instid0(VALU_DEP_1)
	v_cmp_eq_u32_e64 s12, 0, v6
	s_and_saveexec_b32 s13, s1
; %bb.91:                               ;   in Loop: Header=BB1525_12 Depth=1
	ds_store_b32 v91, v3
; %bb.92:                               ;   in Loop: Header=BB1525_12 Depth=1
	s_or_b32 exec_lo, exec_lo, s13
	s_wait_dscnt 0x0
	s_barrier_signal -1
	s_barrier_wait -1
	s_and_saveexec_b32 s13, s4
	s_cbranch_execz .LBB1525_94
; %bb.93:                               ;   in Loop: Header=BB1525_12 Depth=1
	ds_load_b32 v4, v92
	v_and_b32_e32 v5, 3, v30
	s_delay_alu instid0(VALU_DEP_1) | instskip(SKIP_2) | instid1(VALU_DEP_1)
	v_cmp_ne_u32_e32 vcc_lo, 0, v5
	s_wait_dscnt 0x0
	v_mov_b32_dpp v6, v4 row_shr:1 row_mask:0xf bank_mask:0xf
	v_cndmask_b32_e32 v6, 0, v6, vcc_lo
	s_delay_alu instid0(VALU_DEP_1) | instskip(SKIP_1) | instid1(VALU_DEP_2)
	v_add_nc_u32_e32 v4, v6, v4
	v_cmp_lt_u32_e32 vcc_lo, 1, v5
	v_mov_b32_dpp v6, v4 row_shr:2 row_mask:0xf bank_mask:0xf
	s_delay_alu instid0(VALU_DEP_1) | instskip(NEXT) | instid1(VALU_DEP_1)
	v_cndmask_b32_e32 v5, 0, v6, vcc_lo
	v_add_nc_u32_e32 v4, v4, v5
	ds_store_b32 v92, v4
.LBB1525_94:                            ;   in Loop: Header=BB1525_12 Depth=1
	s_or_b32 exec_lo, exec_lo, s13
	v_mov_b32_e32 v4, 0
	s_wait_dscnt 0x0
	s_barrier_signal -1
	s_barrier_wait -1
	s_and_saveexec_b32 s13, s5
; %bb.95:                               ;   in Loop: Header=BB1525_12 Depth=1
	ds_load_b32 v4, v93
; %bb.96:                               ;   in Loop: Header=BB1525_12 Depth=1
	s_or_b32 exec_lo, exec_lo, s13
	v_sub_co_u32 v5, s13, v30, 1
	s_wait_dscnt 0x0
	s_barrier_signal -1
	s_barrier_wait -1
	s_delay_alu instid0(VALU_DEP_1) | instskip(SKIP_1) | instid1(VALU_DEP_1)
	v_cmp_gt_i32_e32 vcc_lo, 0, v5
	v_dual_add_nc_u32 v3, v4, v3 :: v_dual_cndmask_b32 v5, v5, v30, vcc_lo
	v_lshlrev_b32_e32 v101, 2, v5
	ds_bpermute_b32 v3, v101, v3
	s_and_saveexec_b32 s14, s0
	s_cbranch_execz .LBB1525_98
; %bb.97:                               ;   in Loop: Header=BB1525_12 Depth=1
	s_wait_dscnt 0x0
	v_cndmask_b32_e64 v3, v3, v4, s13
	s_delay_alu instid0(VALU_DEP_1)
	v_add_nc_u32_e32 v3, s54, v3
	ds_store_b32 v9, v3
.LBB1525_98:                            ;   in Loop: Header=BB1525_12 Depth=1
	s_or_b32 exec_lo, exec_lo, s14
	s_clause 0x1
	s_load_b32 s14, s[52:53], 0x4
	s_load_b32 s17, s[52:53], 0xc
	s_wait_dscnt 0x0
	v_dual_mov_b32 v31, v2 :: v_dual_bitop2_b32 v3, 7, v30 bitop3:0x40
	v_dual_mov_b32 v5, v2 :: v_dual_lshlrev_b32 v4, 3, v30
	s_mov_b32 s59, s56
	s_delay_alu instid0(VALU_DEP_2) | instskip(NEXT) | instid1(VALU_DEP_3)
	v_cmp_lt_u32_e64 s16, 3, v3
	v_add_nc_u64_e32 v[34:35], v[16:17], v[30:31]
                                        ; implicit-def: $vgpr36_vgpr37
                                        ; implicit-def: $vgpr38_vgpr39
                                        ; implicit-def: $vgpr40_vgpr41
                                        ; implicit-def: $vgpr42_vgpr43
                                        ; implicit-def: $vgpr44_vgpr45
                                        ; implicit-def: $vgpr46_vgpr47
                                        ; implicit-def: $vgpr48_vgpr49
                                        ; implicit-def: $vgpr50_vgpr51
                                        ; implicit-def: $vgpr52_vgpr53
                                        ; implicit-def: $vgpr54_vgpr55
                                        ; implicit-def: $vgpr56_vgpr57
                                        ; implicit-def: $vgpr58_vgpr59
                                        ; implicit-def: $vgpr60_vgpr61
                                        ; implicit-def: $vgpr62_vgpr63
                                        ; implicit-def: $vgpr64_vgpr65
                                        ; implicit-def: $vgpr66_vgpr67
                                        ; implicit-def: $vgpr68_vgpr69
                                        ; implicit-def: $vgpr119
                                        ; implicit-def: $vgpr120
                                        ; implicit-def: $vgpr121
                                        ; implicit-def: $vgpr122
                                        ; implicit-def: $vgpr123
                                        ; implicit-def: $vgpr124
                                        ; implicit-def: $vgpr125
                                        ; implicit-def: $vgpr126
                                        ; implicit-def: $vgpr127
                                        ; implicit-def: $vgpr128
                                        ; implicit-def: $vgpr129
                                        ; implicit-def: $vgpr130
                                        ; implicit-def: $vgpr131
                                        ; implicit-def: $vgpr132
                                        ; implicit-def: $vgpr133
                                        ; implicit-def: $vgpr134
                                        ; implicit-def: $vgpr135
                                        ; implicit-def: $vgpr136
                                        ; implicit-def: $vgpr137
	s_delay_alu instid0(VALU_DEP_3)
	v_add_nc_u64_e32 v[32:33], v[0:1], v[4:5]
	s_wait_kmcnt 0x0
	s_cmp_lt_u32 s48, s14
	s_cselect_b32 s42, 14, 20
	s_and_b32 s17, s17, 0xffff
	s_add_nc_u64 s[14:15], s[52:53], s[42:43]
	s_mov_b32 s42, s54
	s_load_u16 s18, s[14:15], 0x0
	s_wait_xcnt 0x0
	v_cmp_eq_u32_e64 s14, 0, v3
	v_cmp_lt_u32_e64 s15, 1, v3
	s_wait_kmcnt 0x0
	v_mad_u32_u24 v3, v94, s18, v96
	s_delay_alu instid0(VALU_DEP_1) | instskip(NEXT) | instid1(VALU_DEP_1)
	v_mad_u32 v3, v3, s17, v10
	v_dual_lshrrev_b32 v3, 3, v3 :: v_dual_bitop2_b32 v102, v30, v14 bitop3:0x54
	s_delay_alu instid0(VALU_DEP_1)
	v_dual_add_nc_u32 v103, 32, v102 :: v_dual_add_nc_u32 v104, 64, v102
	v_add_nc_u32_e32 v105, 0x60, v102
	v_add_nc_u32_e32 v106, 0x80, v102
	v_add_nc_u32_e32 v107, 0xa0, v102
	v_add_nc_u32_e32 v108, 0xc0, v102
	v_add_nc_u32_e32 v109, 0xe0, v102
	v_add_nc_u32_e32 v110, 0x100, v102
	v_add_nc_u32_e32 v111, 0x120, v102
	v_add_nc_u32_e32 v112, 0x140, v102
	v_add_nc_u32_e32 v113, 0x160, v102
	v_add_nc_u32_e32 v114, 0x180, v102
	v_add_nc_u32_e32 v115, 0x1a0, v102
	v_add_nc_u32_e32 v116, 0x1c0, v102
	v_add_nc_u32_e32 v117, 0x1e0, v102
	v_add_nc_u32_e32 v118, 0x200, v102
	v_and_b32_e32 v31, 0x1ffffffc, v3
	v_mov_b32_e32 v3, 0
	s_branch .LBB1525_100
.LBB1525_99:                            ;   in Loop: Header=BB1525_100 Depth=2
	s_or_b32 exec_lo, exec_lo, s17
	s_addk_co_i32 s59, 0xef00
	s_cmp_lt_u32 s60, s51
	s_mov_b32 s42, s60
	s_cbranch_scc0 .LBB1525_322
.LBB1525_100:                           ;   Parent Loop BB1525_12 Depth=1
                                        ; =>  This Inner Loop Header: Depth=2
	s_add_co_i32 s60, s42, 0x1100
	s_delay_alu instid0(SALU_CYCLE_1)
	s_cmp_gt_u32 s60, s51
	s_cbranch_scc1 .LBB1525_102
; %bb.101:                              ;   in Loop: Header=BB1525_100 Depth=2
	v_add_nc_u64_e32 v[4:5], s[42:43], v[34:35]
	v_and_b32_e32 v3, 0xff, v3
	s_mov_b32 s17, -1
	s_clause 0xf
	global_load_u8 v6, v[4:5], off offset:416
	global_load_u8 v7, v[4:5], off offset:480
	;; [unrolled: 1-line block ×14, first 2 shown]
	global_load_u8 v147, v[4:5], off
	global_load_u8 v4, v[4:5], off offset:96
	s_wait_loadcnt 0xc
	s_wait_xcnt 0x0
	v_perm_b32 v5, v70, v6, 0xc0c0004
	v_perm_b32 v6, v8, v7, 0xc0c0004
	s_wait_loadcnt 0x9
	v_perm_b32 v70, v139, v138, 0xc0c0004
	s_wait_loadcnt 0x8
	v_perm_b32 v8, v140, v71, 0xc0c0004
	v_lshl_or_b32 v7, v6, 16, v5
	s_wait_loadcnt 0x5
	v_perm_b32 v138, v143, v142, 0xc0c0004
	s_wait_loadcnt 0x4
	v_perm_b32 v71, v144, v141, 0xc0c0004
	v_lshl_or_b32 v6, v70, 16, v8
	v_and_b32_e32 v8, 0xffff, v3
	s_wait_loadcnt 0x1
	v_perm_b32 v139, v147, v145, 0xc0c0004
	s_wait_loadcnt 0x0
	v_perm_b32 v4, v146, v4, 0xc0c0004
	v_lshl_or_b32 v5, v138, 16, v71
	s_delay_alu instid0(VALU_DEP_2)
	v_lshl_or_b32 v4, v4, 16, v139
	s_movk_i32 s18, 0x1100
	s_cbranch_execz .LBB1525_103
	s_branch .LBB1525_121
.LBB1525_102:                           ;   in Loop: Header=BB1525_100 Depth=2
	s_mov_b32 s17, 0
                                        ; implicit-def: $vgpr4_vgpr5_vgpr6_vgpr7_vgpr8
	s_movk_i32 s18, 0x1100
.LBB1525_103:                           ;   in Loop: Header=BB1525_100 Depth=2
	v_dual_mov_b32 v5, v2 :: v_dual_mov_b32 v6, v2
	v_dual_mov_b32 v3, v2 :: v_dual_mov_b32 v4, v2
	v_add_nc_u64_e32 v[70:71], s[42:43], v[34:35]
	s_mov_b32 s17, exec_lo
	s_delay_alu instid0(VALU_DEP_3) | instskip(NEXT) | instid1(VALU_DEP_3)
	v_mov_b32_e32 v8, v6
	v_dual_mov_b32 v7, v5 :: v_dual_mov_b32 v6, v4
	v_mov_b32_e32 v5, v3
	v_mov_b32_e32 v4, v2
	v_cmpx_gt_u32_e64 s59, v102
	s_cbranch_execnz .LBB1525_307
; %bb.104:                              ;   in Loop: Header=BB1525_100 Depth=2
	s_or_b32 exec_lo, exec_lo, s17
	s_delay_alu instid0(SALU_CYCLE_1)
	s_mov_b32 s17, exec_lo
	v_cmpx_gt_u32_e64 s59, v103
	s_cbranch_execnz .LBB1525_308
.LBB1525_105:                           ;   in Loop: Header=BB1525_100 Depth=2
	s_or_b32 exec_lo, exec_lo, s17
	s_delay_alu instid0(SALU_CYCLE_1)
	s_mov_b32 s17, exec_lo
	v_cmpx_gt_u32_e64 s59, v104
	s_cbranch_execnz .LBB1525_309
.LBB1525_106:                           ;   in Loop: Header=BB1525_100 Depth=2
	s_or_b32 exec_lo, exec_lo, s17
	s_delay_alu instid0(SALU_CYCLE_1)
	s_mov_b32 s17, exec_lo
	v_cmpx_gt_u32_e64 s59, v105
	s_cbranch_execnz .LBB1525_310
.LBB1525_107:                           ;   in Loop: Header=BB1525_100 Depth=2
	s_or_b32 exec_lo, exec_lo, s17
	s_delay_alu instid0(SALU_CYCLE_1)
	s_mov_b32 s17, exec_lo
	v_cmpx_gt_u32_e64 s59, v106
	s_cbranch_execnz .LBB1525_311
.LBB1525_108:                           ;   in Loop: Header=BB1525_100 Depth=2
	s_or_b32 exec_lo, exec_lo, s17
	s_delay_alu instid0(SALU_CYCLE_1)
	s_mov_b32 s17, exec_lo
	v_cmpx_gt_u32_e64 s59, v107
	s_cbranch_execnz .LBB1525_312
.LBB1525_109:                           ;   in Loop: Header=BB1525_100 Depth=2
	s_or_b32 exec_lo, exec_lo, s17
	s_delay_alu instid0(SALU_CYCLE_1)
	s_mov_b32 s17, exec_lo
	v_cmpx_gt_u32_e64 s59, v108
	s_cbranch_execnz .LBB1525_313
.LBB1525_110:                           ;   in Loop: Header=BB1525_100 Depth=2
	s_or_b32 exec_lo, exec_lo, s17
	s_delay_alu instid0(SALU_CYCLE_1)
	s_mov_b32 s17, exec_lo
	v_cmpx_gt_u32_e64 s59, v109
	s_cbranch_execnz .LBB1525_314
.LBB1525_111:                           ;   in Loop: Header=BB1525_100 Depth=2
	s_or_b32 exec_lo, exec_lo, s17
	s_delay_alu instid0(SALU_CYCLE_1)
	s_mov_b32 s17, exec_lo
	v_cmpx_gt_u32_e64 s59, v110
	s_cbranch_execnz .LBB1525_315
.LBB1525_112:                           ;   in Loop: Header=BB1525_100 Depth=2
	s_or_b32 exec_lo, exec_lo, s17
	s_delay_alu instid0(SALU_CYCLE_1)
	s_mov_b32 s17, exec_lo
	v_cmpx_gt_u32_e64 s59, v111
	s_cbranch_execnz .LBB1525_316
.LBB1525_113:                           ;   in Loop: Header=BB1525_100 Depth=2
	s_or_b32 exec_lo, exec_lo, s17
	s_delay_alu instid0(SALU_CYCLE_1)
	s_mov_b32 s17, exec_lo
	v_cmpx_gt_u32_e64 s59, v112
	s_cbranch_execnz .LBB1525_317
.LBB1525_114:                           ;   in Loop: Header=BB1525_100 Depth=2
	s_or_b32 exec_lo, exec_lo, s17
	s_delay_alu instid0(SALU_CYCLE_1)
	s_mov_b32 s17, exec_lo
	v_cmpx_gt_u32_e64 s59, v113
	s_cbranch_execnz .LBB1525_318
.LBB1525_115:                           ;   in Loop: Header=BB1525_100 Depth=2
	s_or_b32 exec_lo, exec_lo, s17
	s_delay_alu instid0(SALU_CYCLE_1)
	s_mov_b32 s17, exec_lo
	v_cmpx_gt_u32_e64 s59, v114
	s_cbranch_execnz .LBB1525_319
.LBB1525_116:                           ;   in Loop: Header=BB1525_100 Depth=2
	s_or_b32 exec_lo, exec_lo, s17
	s_delay_alu instid0(SALU_CYCLE_1)
	s_mov_b32 s17, exec_lo
	v_cmpx_gt_u32_e64 s59, v115
	s_cbranch_execnz .LBB1525_320
.LBB1525_117:                           ;   in Loop: Header=BB1525_100 Depth=2
	s_or_b32 exec_lo, exec_lo, s17
	s_delay_alu instid0(SALU_CYCLE_1)
	s_mov_b32 s17, exec_lo
	v_cmpx_gt_u32_e64 s59, v116
	s_cbranch_execnz .LBB1525_321
.LBB1525_118:                           ;   in Loop: Header=BB1525_100 Depth=2
	s_or_b32 exec_lo, exec_lo, s17
	s_delay_alu instid0(SALU_CYCLE_1)
	s_mov_b32 s17, exec_lo
	v_cmpx_gt_u32_e64 s59, v117
	s_cbranch_execz .LBB1525_120
.LBB1525_119:                           ;   in Loop: Header=BB1525_100 Depth=2
	global_load_u8 v3, v[70:71], off offset:480
	v_and_b32_e32 v8, 0xff, v8
	s_wait_loadcnt 0x0
	v_perm_b32 v7, v7, v3, 0x60504
.LBB1525_120:                           ;   in Loop: Header=BB1525_100 Depth=2
	s_wait_xcnt 0x0
	s_or_b32 exec_lo, exec_lo, s17
	v_cmp_gt_u32_e64 s17, s59, v118
	s_sub_co_i32 s18, s51, s42
.LBB1525_121:                           ;   in Loop: Header=BB1525_100 Depth=2
	v_mov_b32_e32 v70, s59
	s_and_saveexec_b32 s19, s17
	s_cbranch_execz .LBB1525_123
; %bb.122:                              ;   in Loop: Header=BB1525_100 Depth=2
	v_add_nc_u64_e32 v[70:71], s[42:43], v[34:35]
	global_load_u8 v8, v[70:71], off offset:512
	s_wait_xcnt 0x0
	v_mov_b32_e32 v70, s18
.LBB1525_123:                           ;   in Loop: Header=BB1525_100 Depth=2
	s_or_b32 exec_lo, exec_lo, s19
	s_wait_loadcnt 0x0
	v_and_b32_e32 v140, 1, v4
	v_lshrrev_b16 v3, 8, v7
	v_lshrrev_b16 v138, 8, v5
	;; [unrolled: 1-line block ×4, first 2 shown]
	v_cmp_eq_u32_e32 vcc_lo, 1, v140
	v_and_b32_e32 v3, 1, v3
	v_and_b32_e32 v138, 1, v138
	ds_store_2addr_b32 v95, v2, v2 offset0:136 offset1:137
	ds_store_2addr_b32 v95, v2, v2 offset0:138 offset1:139
	ds_store_b32 v95, v2 offset:560
	v_and_b32_e32 v139, 1, v139
	s_xor_b32 s17, vcc_lo, -1
	v_cmp_eq_u32_e64 s19, 1, v3
	v_and_b32_e32 v3, 1, v8
	v_cndmask_b32_e64 v8, 0, 1, s17
	v_and_b32_e32 v71, 1, v71
	v_cmp_eq_u32_e64 s27, 1, v138
	v_and_b32_e32 v138, 0x10000, v7
	v_cmp_eq_u32_e32 vcc_lo, 1, v3
	v_lshrrev_b32_e32 v3, s57, v8
	v_cmp_eq_u32_e64 s31, 1, v139
	v_cmp_eq_u32_e64 s23, 1, v71
	v_cmp_ne_u32_e64 s18, 0, v138
	v_and_b32_e32 v71, 0x1000000, v7
	v_and_b32_e32 v138, s58, v3
	;; [unrolled: 1-line block ×4, first 2 shown]
	s_wait_dscnt 0x0
	v_cmp_ne_u32_e64 s17, 0, v71
	v_add_co_u32 v139, s21, v138, -1
	s_delay_alu instid0(VALU_DEP_1)
	v_cndmask_b32_e64 v140, 0, 1, s21
	v_cmp_eq_u32_e64 s20, 1, v7
	v_and_b32_e32 v7, 0x1000000, v6
	v_and_b32_e32 v71, 0x1000000, v5
	v_cmp_ne_u32_e64 s22, 0, v3
	v_cmp_ne_u32_e64 s26, 0, v140
	v_and_b32_e32 v6, 1, v6
	v_cmp_ne_u32_e64 s21, 0, v7
	v_and_b32_e32 v7, 0x1000000, v4
	v_and_b32_e32 v4, 0x10000, v4
	v_bitop3_b32 v3, s26, exec_lo, v139 bitop3:0x48
	v_cmp_ne_u32_e64 s25, 0, v71
	v_cmp_eq_u32_e64 s24, 1, v6
	v_and_b32_e32 v6, 0x10000, v5
	v_and_b32_e32 v5, 1, v5
	v_mbcnt_lo_u32_b32 v71, v3, 0
	v_cmp_ne_u32_e64 s30, 0, v4
	v_mul_u32_u24_e32 v4, 36, v138
	v_cmp_ne_u32_e64 s34, 0, v3
	v_cmp_ne_u32_e64 s26, 0, v6
	v_cmp_eq_u32_e64 s33, 0, v71
	v_cmp_eq_u32_e64 s28, 1, v5
	v_cmp_ne_u32_e64 s29, 0, v7
	v_add_nc_u32_e32 v141, v31, v4
	s_barrier_signal -1
	s_and_b32 s34, s34, s33
	s_barrier_wait -1
	; wave barrier
	s_and_saveexec_b32 s33, s34
; %bb.124:                              ;   in Loop: Header=BB1525_100 Depth=2
	v_bcnt_u32_b32 v3, v3, 0
	ds_store_b32 v141, v3 offset:544
; %bb.125:                              ;   in Loop: Header=BB1525_100 Depth=2
	s_or_b32 exec_lo, exec_lo, s33
	s_xor_b32 s31, s31, -1
	s_delay_alu instid0(SALU_CYCLE_1) | instskip(NEXT) | instid1(VALU_DEP_1)
	v_cndmask_b32_e64 v138, 0, 1, s31
	; wave barrier
	v_lshrrev_b32_e32 v3, s57, v138
	s_delay_alu instid0(VALU_DEP_1) | instskip(NEXT) | instid1(VALU_DEP_1)
	v_and_b32_e32 v4, s58, v3
	v_add_co_u32 v3, s31, v4, -1
	s_delay_alu instid0(VALU_DEP_1) | instskip(SKIP_2) | instid1(VALU_DEP_3)
	v_cndmask_b32_e64 v5, 0, 1, s31
	v_mad_u32_u24 v6, v4, 36, v31
	v_mul_u32_u24_e32 v4, 36, v4
	v_cmp_ne_u32_e64 s31, 0, v5
	ds_load_b32 v139, v6 offset:544
	v_add_nc_u32_e32 v144, v31, v4
	; wave barrier
	v_bitop3_b32 v3, s31, exec_lo, v3 bitop3:0x48
	s_delay_alu instid0(VALU_DEP_1) | instskip(SKIP_1) | instid1(VALU_DEP_2)
	v_mbcnt_lo_u32_b32 v140, v3, 0
	v_cmp_ne_u32_e64 s33, 0, v3
	v_cmp_eq_u32_e64 s31, 0, v140
	s_and_b32 s33, s33, s31
	s_delay_alu instid0(SALU_CYCLE_1)
	s_and_saveexec_b32 s31, s33
	s_cbranch_execz .LBB1525_127
; %bb.126:                              ;   in Loop: Header=BB1525_100 Depth=2
	s_wait_dscnt 0x0
	v_bcnt_u32_b32 v3, v3, v139
	ds_store_b32 v144, v3 offset:544
.LBB1525_127:                           ;   in Loop: Header=BB1525_100 Depth=2
	s_or_b32 exec_lo, exec_lo, s31
	s_xor_b32 s30, s30, -1
	s_delay_alu instid0(SALU_CYCLE_1) | instskip(NEXT) | instid1(VALU_DEP_1)
	v_cndmask_b32_e64 v153, 0, 1, s30
	; wave barrier
	v_lshrrev_b32_e32 v3, s57, v153
	s_delay_alu instid0(VALU_DEP_1) | instskip(NEXT) | instid1(VALU_DEP_1)
	v_and_b32_e32 v4, s58, v3
	v_add_co_u32 v3, s30, v4, -1
	s_delay_alu instid0(VALU_DEP_1) | instskip(SKIP_2) | instid1(VALU_DEP_3)
	v_cndmask_b32_e64 v5, 0, 1, s30
	v_mad_u32_u24 v6, v4, 36, v31
	v_mul_u32_u24_e32 v4, 36, v4
	v_cmp_ne_u32_e64 s30, 0, v5
	ds_load_b32 v142, v6 offset:544
	v_add_nc_u32_e32 v147, v31, v4
	; wave barrier
	v_bitop3_b32 v3, s30, exec_lo, v3 bitop3:0x48
	s_delay_alu instid0(VALU_DEP_1) | instskip(SKIP_1) | instid1(VALU_DEP_2)
	v_mbcnt_lo_u32_b32 v143, v3, 0
	v_cmp_ne_u32_e64 s31, 0, v3
	v_cmp_eq_u32_e64 s30, 0, v143
	s_and_b32 s31, s31, s30
	s_delay_alu instid0(SALU_CYCLE_1)
	s_and_saveexec_b32 s30, s31
	s_cbranch_execz .LBB1525_129
; %bb.128:                              ;   in Loop: Header=BB1525_100 Depth=2
	s_wait_dscnt 0x0
	v_bcnt_u32_b32 v3, v3, v142
	ds_store_b32 v147, v3 offset:544
.LBB1525_129:                           ;   in Loop: Header=BB1525_100 Depth=2
	;; [unrolled: 31-line block ×15, first 2 shown]
	s_or_b32 exec_lo, exec_lo, s17
	s_xor_b32 s17, vcc_lo, -1
	s_delay_alu instid0(SALU_CYCLE_1) | instskip(NEXT) | instid1(VALU_DEP_1)
	v_cndmask_b32_e64 v3, 0, 1, s17
	; wave barrier
	v_lshrrev_b32_e32 v4, s57, v3
	s_delay_alu instid0(VALU_DEP_1) | instskip(NEXT) | instid1(VALU_DEP_1)
	v_and_b32_e32 v5, s58, v4
	v_add_co_u32 v4, s17, v5, -1
	s_delay_alu instid0(VALU_DEP_1) | instskip(SKIP_2) | instid1(VALU_DEP_3)
	v_cndmask_b32_e64 v6, 0, 1, s17
	v_mad_u32_u24 v7, v5, 36, v31
	v_mul_u32_u24_e32 v5, 36, v5
	v_cmp_ne_u32_e32 vcc_lo, 0, v6
	ds_load_b32 v198, v7 offset:544
	v_add_nc_u32_e32 v201, v31, v5
	; wave barrier
	v_bitop3_b32 v4, vcc_lo, exec_lo, v4 bitop3:0x48
	s_delay_alu instid0(VALU_DEP_1) | instskip(SKIP_1) | instid1(VALU_DEP_2)
	v_mbcnt_lo_u32_b32 v199, v4, 0
	v_cmp_ne_u32_e64 s17, 0, v4
	v_cmp_eq_u32_e32 vcc_lo, 0, v199
	s_and_b32 s18, s17, vcc_lo
	s_delay_alu instid0(SALU_CYCLE_1)
	s_and_saveexec_b32 s17, s18
	s_cbranch_execz .LBB1525_157
; %bb.156:                              ;   in Loop: Header=BB1525_100 Depth=2
	s_wait_dscnt 0x0
	v_bcnt_u32_b32 v4, v4, v198
	ds_store_b32 v201, v4 offset:544
.LBB1525_157:                           ;   in Loop: Header=BB1525_100 Depth=2
	s_or_b32 exec_lo, exec_lo, s17
	; wave barrier
	s_wait_dscnt 0x0
	s_barrier_signal -1
	s_barrier_wait -1
	ds_load_2addr_b32 v[6:7], v95 offset0:136 offset1:137
	ds_load_2addr_b32 v[4:5], v95 offset0:138 offset1:139
	ds_load_b32 v202, v95 offset:560
	s_wait_dscnt 0x1
	v_add3_u32 v203, v7, v6, v4
	s_wait_dscnt 0x0
	s_delay_alu instid0(VALU_DEP_1) | instskip(NEXT) | instid1(VALU_DEP_1)
	v_add3_u32 v202, v203, v5, v202
	v_mov_b32_dpp v203, v202 row_shr:1 row_mask:0xf bank_mask:0xf
	s_delay_alu instid0(VALU_DEP_1) | instskip(NEXT) | instid1(VALU_DEP_1)
	v_cndmask_b32_e64 v203, v203, 0, s8
	v_add_nc_u32_e32 v202, v203, v202
	s_delay_alu instid0(VALU_DEP_1) | instskip(NEXT) | instid1(VALU_DEP_1)
	v_mov_b32_dpp v203, v202 row_shr:2 row_mask:0xf bank_mask:0xf
	v_cndmask_b32_e64 v203, 0, v203, s9
	s_delay_alu instid0(VALU_DEP_1) | instskip(NEXT) | instid1(VALU_DEP_1)
	v_add_nc_u32_e32 v202, v202, v203
	v_mov_b32_dpp v203, v202 row_shr:4 row_mask:0xf bank_mask:0xf
	s_delay_alu instid0(VALU_DEP_1) | instskip(NEXT) | instid1(VALU_DEP_1)
	v_cndmask_b32_e64 v203, 0, v203, s10
	v_add_nc_u32_e32 v202, v202, v203
	s_delay_alu instid0(VALU_DEP_1) | instskip(NEXT) | instid1(VALU_DEP_1)
	v_mov_b32_dpp v203, v202 row_shr:8 row_mask:0xf bank_mask:0xf
	v_cndmask_b32_e64 v203, 0, v203, s11
	s_delay_alu instid0(VALU_DEP_1) | instskip(SKIP_3) | instid1(VALU_DEP_1)
	v_add_nc_u32_e32 v202, v202, v203
	ds_swizzle_b32 v203, v202 offset:swizzle(BROADCAST,32,15)
	s_wait_dscnt 0x0
	v_cndmask_b32_e64 v203, v203, 0, s12
	v_add_nc_u32_e32 v202, v202, v203
	s_and_saveexec_b32 s17, s2
; %bb.158:                              ;   in Loop: Header=BB1525_100 Depth=2
	ds_store_b32 v88, v202 offset:512
; %bb.159:                              ;   in Loop: Header=BB1525_100 Depth=2
	s_or_b32 exec_lo, exec_lo, s17
	s_wait_dscnt 0x0
	s_barrier_signal -1
	s_barrier_wait -1
	s_and_saveexec_b32 s17, s3
	s_cbranch_execz .LBB1525_161
; %bb.160:                              ;   in Loop: Header=BB1525_100 Depth=2
	ds_load_b32 v203, v97 offset:512
	s_wait_dscnt 0x0
	v_mov_b32_dpp v204, v203 row_shr:1 row_mask:0xf bank_mask:0xf
	s_delay_alu instid0(VALU_DEP_1) | instskip(NEXT) | instid1(VALU_DEP_1)
	v_cndmask_b32_e64 v204, v204, 0, s14
	v_add_nc_u32_e32 v203, v204, v203
	s_delay_alu instid0(VALU_DEP_1) | instskip(NEXT) | instid1(VALU_DEP_1)
	v_mov_b32_dpp v204, v203 row_shr:2 row_mask:0xf bank_mask:0xf
	v_cndmask_b32_e64 v204, 0, v204, s15
	s_delay_alu instid0(VALU_DEP_1) | instskip(NEXT) | instid1(VALU_DEP_1)
	v_add_nc_u32_e32 v203, v203, v204
	v_mov_b32_dpp v204, v203 row_shr:4 row_mask:0xf bank_mask:0xf
	s_delay_alu instid0(VALU_DEP_1) | instskip(NEXT) | instid1(VALU_DEP_1)
	v_cndmask_b32_e64 v204, 0, v204, s16
	v_add_nc_u32_e32 v203, v203, v204
	ds_store_b32 v97, v203 offset:512
.LBB1525_161:                           ;   in Loop: Header=BB1525_100 Depth=2
	s_or_b32 exec_lo, exec_lo, s17
	v_mov_b32_e32 v203, 0
	s_wait_dscnt 0x0
	s_barrier_signal -1
	s_barrier_wait -1
	s_and_saveexec_b32 s17, s5
; %bb.162:                              ;   in Loop: Header=BB1525_100 Depth=2
	ds_load_b32 v203, v88 offset:508
; %bb.163:                              ;   in Loop: Header=BB1525_100 Depth=2
	s_or_b32 exec_lo, exec_lo, s17
	s_wait_dscnt 0x0
	v_add_nc_u32_e32 v202, v203, v202
	ds_bpermute_b32 v202, v101, v202
	s_wait_dscnt 0x0
	v_cndmask_b32_e64 v202, v202, v203, s13
	s_delay_alu instid0(VALU_DEP_1) | instskip(NEXT) | instid1(VALU_DEP_1)
	v_cndmask_b32_e64 v202, v202, 0, s6
	v_add_nc_u32_e32 v6, v202, v6
	s_delay_alu instid0(VALU_DEP_1) | instskip(NEXT) | instid1(VALU_DEP_1)
	v_add_nc_u32_e32 v7, v6, v7
	v_add_nc_u32_e32 v4, v7, v4
	s_delay_alu instid0(VALU_DEP_1)
	v_add_nc_u32_e32 v5, v4, v5
	ds_store_2addr_b32 v95, v202, v6 offset0:136 offset1:137
	ds_store_2addr_b32 v95, v7, v4 offset0:138 offset1:139
	ds_store_b32 v95, v5 offset:560
	s_wait_dscnt 0x0
	s_barrier_signal -1
	s_barrier_wait -1
	ds_load_b32 v4, v141 offset:544
	ds_load_b32 v5, v144 offset:544
	;; [unrolled: 1-line block ×17, first 2 shown]
	s_and_saveexec_b32 s17, s0
	s_cbranch_execz .LBB1525_167
; %bb.164:                              ;   in Loop: Header=BB1525_100 Depth=2
	v_dual_mov_b32 v137, 0x1100 :: v_dual_add_nc_u32 v136, v97, v99
	ds_load_b32 v136, v136 offset:544
	s_and_saveexec_b32 s18, s7
; %bb.165:                              ;   in Loop: Header=BB1525_100 Depth=2
	ds_load_b32 v137, v98 offset:544
; %bb.166:                              ;   in Loop: Header=BB1525_100 Depth=2
	s_or_b32 exec_lo, exec_lo, s18
	s_wait_dscnt 0x0
	v_sub_nc_u32_e32 v137, v137, v136
.LBB1525_167:                           ;   in Loop: Header=BB1525_100 Depth=2
	s_or_b32 exec_lo, exec_lo, s17
	s_wait_dscnt 0x0
	s_barrier_signal -1
	s_barrier_wait -1
	s_and_saveexec_b32 s17, s0
	s_cbranch_execz .LBB1525_169
; %bb.168:                              ;   in Loop: Header=BB1525_100 Depth=2
	ds_load_b32 v147, v9
	s_wait_dscnt 0x0
	v_sub_nc_u32_e32 v147, v147, v136
	ds_store_b32 v9, v147
.LBB1525_169:                           ;   in Loop: Header=BB1525_100 Depth=2
	s_or_b32 exec_lo, exec_lo, s17
	v_add_nc_u32_e32 v152, v4, v71
	v_add3_u32 v151, v140, v139, v5
	v_add3_u32 v150, v143, v142, v6
	;; [unrolled: 1-line block ×16, first 2 shown]
	v_cmp_lt_u32_e32 vcc_lo, v10, v70
	ds_store_b8 v152, v8 offset:512
	ds_store_b8 v151, v138 offset:512
	;; [unrolled: 1-line block ×17, first 2 shown]
	s_wait_dscnt 0x0
	s_barrier_signal -1
	s_barrier_wait -1
	s_and_saveexec_b32 s17, vcc_lo
	s_cbranch_execnz .LBB1525_242
; %bb.170:                              ;   in Loop: Header=BB1525_100 Depth=2
	s_or_b32 exec_lo, exec_lo, s17
	v_cmp_lt_u32_e64 s17, v72, v70
	s_and_saveexec_b32 s18, s17
	s_cbranch_execnz .LBB1525_243
.LBB1525_171:                           ;   in Loop: Header=BB1525_100 Depth=2
	s_or_b32 exec_lo, exec_lo, s18
	v_cmp_lt_u32_e64 s18, v73, v70
	s_and_saveexec_b32 s19, s18
	s_cbranch_execnz .LBB1525_244
.LBB1525_172:                           ;   in Loop: Header=BB1525_100 Depth=2
	s_or_b32 exec_lo, exec_lo, s19
	v_cmp_lt_u32_e64 s19, v74, v70
	s_and_saveexec_b32 s20, s19
	s_cbranch_execnz .LBB1525_245
.LBB1525_173:                           ;   in Loop: Header=BB1525_100 Depth=2
	s_or_b32 exec_lo, exec_lo, s20
	v_cmp_lt_u32_e64 s20, v75, v70
	s_and_saveexec_b32 s21, s20
	s_cbranch_execnz .LBB1525_246
.LBB1525_174:                           ;   in Loop: Header=BB1525_100 Depth=2
	s_or_b32 exec_lo, exec_lo, s21
	v_cmp_lt_u32_e64 s21, v76, v70
	s_and_saveexec_b32 s22, s21
	s_cbranch_execnz .LBB1525_247
.LBB1525_175:                           ;   in Loop: Header=BB1525_100 Depth=2
	s_or_b32 exec_lo, exec_lo, s22
	v_cmp_lt_u32_e64 s22, v77, v70
	s_and_saveexec_b32 s23, s22
	s_cbranch_execnz .LBB1525_248
.LBB1525_176:                           ;   in Loop: Header=BB1525_100 Depth=2
	s_or_b32 exec_lo, exec_lo, s23
	v_cmp_lt_u32_e64 s23, v78, v70
	s_and_saveexec_b32 s24, s23
	s_cbranch_execnz .LBB1525_249
.LBB1525_177:                           ;   in Loop: Header=BB1525_100 Depth=2
	s_or_b32 exec_lo, exec_lo, s24
	v_cmp_lt_u32_e64 s24, v79, v70
	s_and_saveexec_b32 s25, s24
	s_cbranch_execnz .LBB1525_250
.LBB1525_178:                           ;   in Loop: Header=BB1525_100 Depth=2
	s_or_b32 exec_lo, exec_lo, s25
	v_cmp_lt_u32_e64 s25, v80, v70
	s_and_saveexec_b32 s26, s25
	s_cbranch_execnz .LBB1525_251
.LBB1525_179:                           ;   in Loop: Header=BB1525_100 Depth=2
	s_or_b32 exec_lo, exec_lo, s26
	v_cmp_lt_u32_e64 s26, v81, v70
	s_and_saveexec_b32 s27, s26
	s_cbranch_execnz .LBB1525_252
.LBB1525_180:                           ;   in Loop: Header=BB1525_100 Depth=2
	s_or_b32 exec_lo, exec_lo, s27
	v_cmp_lt_u32_e64 s27, v82, v70
	s_and_saveexec_b32 s28, s27
	s_cbranch_execnz .LBB1525_253
.LBB1525_181:                           ;   in Loop: Header=BB1525_100 Depth=2
	s_or_b32 exec_lo, exec_lo, s28
	v_cmp_lt_u32_e64 s28, v83, v70
	s_and_saveexec_b32 s29, s28
	s_cbranch_execnz .LBB1525_254
.LBB1525_182:                           ;   in Loop: Header=BB1525_100 Depth=2
	s_or_b32 exec_lo, exec_lo, s29
	v_cmp_lt_u32_e64 s29, v84, v70
	s_and_saveexec_b32 s30, s29
	s_cbranch_execnz .LBB1525_255
.LBB1525_183:                           ;   in Loop: Header=BB1525_100 Depth=2
	s_or_b32 exec_lo, exec_lo, s30
	v_cmp_lt_u32_e64 s30, v85, v70
	s_and_saveexec_b32 s31, s30
	s_cbranch_execnz .LBB1525_256
.LBB1525_184:                           ;   in Loop: Header=BB1525_100 Depth=2
	s_or_b32 exec_lo, exec_lo, s31
	v_cmp_lt_u32_e64 s31, v86, v70
	s_and_saveexec_b32 s33, s31
	s_cbranch_execnz .LBB1525_257
.LBB1525_185:                           ;   in Loop: Header=BB1525_100 Depth=2
	s_or_b32 exec_lo, exec_lo, s33
	v_cmp_lt_u32_e64 s33, v87, v70
	s_and_saveexec_b32 s34, s33
	s_cbranch_execz .LBB1525_187
.LBB1525_186:                           ;   in Loop: Header=BB1525_100 Depth=2
	ds_load_u8 v4, v10 offset:4608
	s_wait_dscnt 0x0
	v_and_b32_e32 v5, 1, v4
	s_delay_alu instid0(VALU_DEP_1) | instskip(NEXT) | instid1(VALU_DEP_1)
	v_dual_lshrrev_b32 v5, s57, v5 :: v_dual_bitop2_b32 v4, 1, v4 bitop3:0x14
	v_and_b32_e32 v5, s58, v5
	s_delay_alu instid0(VALU_DEP_1)
	v_lshlrev_b32_e32 v5, 2, v5
	ds_load_b32 v5, v5
	s_wait_dscnt 0x0
	v_add_nc_u32_e32 v5, v5, v87
	global_store_b8 v5, v4, s[38:39]
.LBB1525_187:                           ;   in Loop: Header=BB1525_100 Depth=2
	s_wait_xcnt 0x0
	s_or_b32 exec_lo, exec_lo, s34
	v_lshl_add_u64 v[4:5], s[42:43], 3, v[32:33]
	v_cmp_lt_u32_e64 s34, v102, v70
	s_and_saveexec_b32 s42, s34
	s_delay_alu instid0(SALU_CYCLE_1)
	s_xor_b32 s34, exec_lo, s42
	s_cbranch_execnz .LBB1525_258
; %bb.188:                              ;   in Loop: Header=BB1525_100 Depth=2
	s_or_b32 exec_lo, exec_lo, s34
	s_delay_alu instid0(SALU_CYCLE_1)
	s_mov_b32 s42, exec_lo
	v_cmpx_lt_u32_e64 v103, v70
	s_cbranch_execnz .LBB1525_259
.LBB1525_189:                           ;   in Loop: Header=BB1525_100 Depth=2
	s_or_b32 exec_lo, exec_lo, s42
	s_delay_alu instid0(SALU_CYCLE_1)
	s_mov_b32 s42, exec_lo
	v_cmpx_lt_u32_e64 v104, v70
	s_cbranch_execnz .LBB1525_260
.LBB1525_190:                           ;   in Loop: Header=BB1525_100 Depth=2
	s_or_b32 exec_lo, exec_lo, s42
	s_delay_alu instid0(SALU_CYCLE_1)
	s_mov_b32 s42, exec_lo
	v_cmpx_lt_u32_e64 v105, v70
	s_cbranch_execnz .LBB1525_261
.LBB1525_191:                           ;   in Loop: Header=BB1525_100 Depth=2
	s_or_b32 exec_lo, exec_lo, s42
	s_delay_alu instid0(SALU_CYCLE_1)
	s_mov_b32 s42, exec_lo
	v_cmpx_lt_u32_e64 v106, v70
	s_cbranch_execnz .LBB1525_262
.LBB1525_192:                           ;   in Loop: Header=BB1525_100 Depth=2
	s_or_b32 exec_lo, exec_lo, s42
	s_delay_alu instid0(SALU_CYCLE_1)
	s_mov_b32 s42, exec_lo
	v_cmpx_lt_u32_e64 v107, v70
	s_cbranch_execnz .LBB1525_263
.LBB1525_193:                           ;   in Loop: Header=BB1525_100 Depth=2
	s_or_b32 exec_lo, exec_lo, s42
	s_delay_alu instid0(SALU_CYCLE_1)
	s_mov_b32 s42, exec_lo
	v_cmpx_lt_u32_e64 v108, v70
	s_cbranch_execnz .LBB1525_264
.LBB1525_194:                           ;   in Loop: Header=BB1525_100 Depth=2
	s_or_b32 exec_lo, exec_lo, s42
	s_delay_alu instid0(SALU_CYCLE_1)
	s_mov_b32 s42, exec_lo
	v_cmpx_lt_u32_e64 v109, v70
	s_cbranch_execnz .LBB1525_265
.LBB1525_195:                           ;   in Loop: Header=BB1525_100 Depth=2
	s_or_b32 exec_lo, exec_lo, s42
	s_delay_alu instid0(SALU_CYCLE_1)
	s_mov_b32 s42, exec_lo
	v_cmpx_lt_u32_e64 v110, v70
	s_cbranch_execnz .LBB1525_266
.LBB1525_196:                           ;   in Loop: Header=BB1525_100 Depth=2
	s_or_b32 exec_lo, exec_lo, s42
	s_delay_alu instid0(SALU_CYCLE_1)
	s_mov_b32 s42, exec_lo
	v_cmpx_lt_u32_e64 v111, v70
	s_cbranch_execnz .LBB1525_267
.LBB1525_197:                           ;   in Loop: Header=BB1525_100 Depth=2
	s_or_b32 exec_lo, exec_lo, s42
	s_delay_alu instid0(SALU_CYCLE_1)
	s_mov_b32 s42, exec_lo
	v_cmpx_lt_u32_e64 v112, v70
	s_cbranch_execnz .LBB1525_268
.LBB1525_198:                           ;   in Loop: Header=BB1525_100 Depth=2
	s_or_b32 exec_lo, exec_lo, s42
	s_delay_alu instid0(SALU_CYCLE_1)
	s_mov_b32 s42, exec_lo
	v_cmpx_lt_u32_e64 v113, v70
	s_cbranch_execnz .LBB1525_269
.LBB1525_199:                           ;   in Loop: Header=BB1525_100 Depth=2
	s_or_b32 exec_lo, exec_lo, s42
	s_delay_alu instid0(SALU_CYCLE_1)
	s_mov_b32 s42, exec_lo
	v_cmpx_lt_u32_e64 v114, v70
	s_cbranch_execnz .LBB1525_270
.LBB1525_200:                           ;   in Loop: Header=BB1525_100 Depth=2
	s_or_b32 exec_lo, exec_lo, s42
	s_delay_alu instid0(SALU_CYCLE_1)
	s_mov_b32 s42, exec_lo
	v_cmpx_lt_u32_e64 v115, v70
	s_cbranch_execnz .LBB1525_271
.LBB1525_201:                           ;   in Loop: Header=BB1525_100 Depth=2
	s_or_b32 exec_lo, exec_lo, s42
	s_delay_alu instid0(SALU_CYCLE_1)
	s_mov_b32 s42, exec_lo
	v_cmpx_lt_u32_e64 v116, v70
	s_cbranch_execnz .LBB1525_272
.LBB1525_202:                           ;   in Loop: Header=BB1525_100 Depth=2
	s_or_b32 exec_lo, exec_lo, s42
	s_delay_alu instid0(SALU_CYCLE_1)
	s_mov_b32 s42, exec_lo
	v_cmpx_lt_u32_e64 v117, v70
	s_cbranch_execnz .LBB1525_273
.LBB1525_203:                           ;   in Loop: Header=BB1525_100 Depth=2
	s_or_b32 exec_lo, exec_lo, s42
	s_delay_alu instid0(SALU_CYCLE_1)
	s_mov_b32 s42, exec_lo
	v_cmpx_lt_u32_e64 v118, v70
	s_cbranch_execnz .LBB1525_274
.LBB1525_204:                           ;   in Loop: Header=BB1525_100 Depth=2
	s_or_b32 exec_lo, exec_lo, s42
	s_and_saveexec_b32 s34, vcc_lo
	s_cbranch_execnz .LBB1525_275
.LBB1525_205:                           ;   in Loop: Header=BB1525_100 Depth=2
	s_or_b32 exec_lo, exec_lo, s34
	s_and_saveexec_b32 s34, s17
	s_cbranch_execnz .LBB1525_276
.LBB1525_206:                           ;   in Loop: Header=BB1525_100 Depth=2
	s_or_b32 exec_lo, exec_lo, s34
	s_and_saveexec_b32 s34, s18
	s_cbranch_execnz .LBB1525_277
.LBB1525_207:                           ;   in Loop: Header=BB1525_100 Depth=2
	s_or_b32 exec_lo, exec_lo, s34
	s_and_saveexec_b32 s34, s19
	s_cbranch_execnz .LBB1525_278
.LBB1525_208:                           ;   in Loop: Header=BB1525_100 Depth=2
	s_or_b32 exec_lo, exec_lo, s34
	s_and_saveexec_b32 s34, s20
	s_cbranch_execnz .LBB1525_279
.LBB1525_209:                           ;   in Loop: Header=BB1525_100 Depth=2
	s_or_b32 exec_lo, exec_lo, s34
	s_and_saveexec_b32 s34, s21
	s_cbranch_execnz .LBB1525_280
.LBB1525_210:                           ;   in Loop: Header=BB1525_100 Depth=2
	s_or_b32 exec_lo, exec_lo, s34
	s_and_saveexec_b32 s34, s22
	s_cbranch_execnz .LBB1525_281
.LBB1525_211:                           ;   in Loop: Header=BB1525_100 Depth=2
	s_or_b32 exec_lo, exec_lo, s34
	s_and_saveexec_b32 s34, s23
	s_cbranch_execnz .LBB1525_282
.LBB1525_212:                           ;   in Loop: Header=BB1525_100 Depth=2
	s_or_b32 exec_lo, exec_lo, s34
	s_and_saveexec_b32 s34, s24
	s_cbranch_execnz .LBB1525_283
.LBB1525_213:                           ;   in Loop: Header=BB1525_100 Depth=2
	s_or_b32 exec_lo, exec_lo, s34
	s_and_saveexec_b32 s34, s25
	s_cbranch_execnz .LBB1525_284
.LBB1525_214:                           ;   in Loop: Header=BB1525_100 Depth=2
	s_or_b32 exec_lo, exec_lo, s34
	s_and_saveexec_b32 s34, s26
	s_cbranch_execnz .LBB1525_285
.LBB1525_215:                           ;   in Loop: Header=BB1525_100 Depth=2
	s_or_b32 exec_lo, exec_lo, s34
	s_and_saveexec_b32 s34, s27
	s_cbranch_execnz .LBB1525_286
.LBB1525_216:                           ;   in Loop: Header=BB1525_100 Depth=2
	s_or_b32 exec_lo, exec_lo, s34
	s_and_saveexec_b32 s34, s28
	s_cbranch_execnz .LBB1525_287
.LBB1525_217:                           ;   in Loop: Header=BB1525_100 Depth=2
	s_or_b32 exec_lo, exec_lo, s34
	s_and_saveexec_b32 s34, s29
	s_cbranch_execnz .LBB1525_288
.LBB1525_218:                           ;   in Loop: Header=BB1525_100 Depth=2
	s_or_b32 exec_lo, exec_lo, s34
	s_and_saveexec_b32 s34, s30
	s_cbranch_execnz .LBB1525_289
.LBB1525_219:                           ;   in Loop: Header=BB1525_100 Depth=2
	s_or_b32 exec_lo, exec_lo, s34
	s_and_saveexec_b32 s34, s31
	s_cbranch_execnz .LBB1525_290
.LBB1525_220:                           ;   in Loop: Header=BB1525_100 Depth=2
	s_or_b32 exec_lo, exec_lo, s34
	s_and_saveexec_b32 s34, s33
	s_cbranch_execz .LBB1525_222
.LBB1525_221:                           ;   in Loop: Header=BB1525_100 Depth=2
	ds_load_u8 v4, v10 offset:4608
	s_wait_dscnt 0x0
	v_lshrrev_b32_e32 v4, s57, v4
	s_delay_alu instid0(VALU_DEP_1)
	v_and_b32_e32 v119, s58, v4
.LBB1525_222:                           ;   in Loop: Header=BB1525_100 Depth=2
	s_or_b32 exec_lo, exec_lo, s34
	v_dual_lshlrev_b32 v4, 3, v152 :: v_dual_lshlrev_b32 v5, 3, v151
	s_wait_loadcnt 0x0
	s_wait_storecnt 0x0
	s_barrier_signal -1
	s_barrier_wait -1
	ds_store_b64 v4, v[68:69] offset:512
	ds_store_b64 v5, v[66:67] offset:512
	v_dual_lshlrev_b32 v4, 3, v150 :: v_dual_lshlrev_b32 v5, 3, v149
	v_dual_lshlrev_b32 v8, 3, v148 :: v_dual_lshlrev_b32 v70, 3, v147
	v_lshlrev_b32_e32 v138, 3, v146
	ds_store_b64 v4, v[64:65] offset:512
	ds_store_b64 v5, v[62:63] offset:512
	ds_store_b64 v8, v[60:61] offset:512
	ds_store_b64 v70, v[58:59] offset:512
	ds_store_b64 v138, v[56:57] offset:512
	v_dual_lshlrev_b32 v4, 3, v145 :: v_dual_lshlrev_b32 v5, 3, v144
	v_dual_lshlrev_b32 v8, 3, v143 :: v_dual_lshlrev_b32 v70, 3, v142
	v_lshlrev_b32_e32 v138, 3, v141
	ds_store_b64 v4, v[54:55] offset:512
	ds_store_b64 v5, v[52:53] offset:512
	ds_store_b64 v8, v[50:51] offset:512
	;; [unrolled: 8-line block ×3, first 2 shown]
	ds_store_b64 v7, v[38:39] offset:512
	ds_store_b64 v6, v[36:37] offset:512
	s_wait_dscnt 0x0
	s_barrier_signal -1
	s_barrier_wait -1
	s_and_saveexec_b32 s34, vcc_lo
	s_cbranch_execnz .LBB1525_291
; %bb.223:                              ;   in Loop: Header=BB1525_100 Depth=2
	s_or_b32 exec_lo, exec_lo, s34
	s_and_saveexec_b32 s34, s17
	s_cbranch_execnz .LBB1525_292
.LBB1525_224:                           ;   in Loop: Header=BB1525_100 Depth=2
	s_or_b32 exec_lo, exec_lo, s34
	s_and_saveexec_b32 s17, s18
	s_cbranch_execnz .LBB1525_293
.LBB1525_225:                           ;   in Loop: Header=BB1525_100 Depth=2
	s_or_b32 exec_lo, exec_lo, s17
	s_and_saveexec_b32 s17, s19
	s_cbranch_execnz .LBB1525_294
.LBB1525_226:                           ;   in Loop: Header=BB1525_100 Depth=2
	s_or_b32 exec_lo, exec_lo, s17
	s_and_saveexec_b32 s17, s20
	s_cbranch_execnz .LBB1525_295
.LBB1525_227:                           ;   in Loop: Header=BB1525_100 Depth=2
	s_or_b32 exec_lo, exec_lo, s17
	s_and_saveexec_b32 s17, s21
	s_cbranch_execnz .LBB1525_296
.LBB1525_228:                           ;   in Loop: Header=BB1525_100 Depth=2
	s_or_b32 exec_lo, exec_lo, s17
	s_and_saveexec_b32 s17, s22
	s_cbranch_execnz .LBB1525_297
.LBB1525_229:                           ;   in Loop: Header=BB1525_100 Depth=2
	s_or_b32 exec_lo, exec_lo, s17
	s_and_saveexec_b32 s17, s23
	s_cbranch_execnz .LBB1525_298
.LBB1525_230:                           ;   in Loop: Header=BB1525_100 Depth=2
	s_or_b32 exec_lo, exec_lo, s17
	s_and_saveexec_b32 s17, s24
	s_cbranch_execnz .LBB1525_299
.LBB1525_231:                           ;   in Loop: Header=BB1525_100 Depth=2
	s_or_b32 exec_lo, exec_lo, s17
	s_and_saveexec_b32 s17, s25
	s_cbranch_execnz .LBB1525_300
.LBB1525_232:                           ;   in Loop: Header=BB1525_100 Depth=2
	s_or_b32 exec_lo, exec_lo, s17
	s_and_saveexec_b32 s17, s26
	s_cbranch_execnz .LBB1525_301
.LBB1525_233:                           ;   in Loop: Header=BB1525_100 Depth=2
	s_or_b32 exec_lo, exec_lo, s17
	s_and_saveexec_b32 s17, s27
	s_cbranch_execnz .LBB1525_302
.LBB1525_234:                           ;   in Loop: Header=BB1525_100 Depth=2
	s_or_b32 exec_lo, exec_lo, s17
	s_and_saveexec_b32 s17, s28
	s_cbranch_execnz .LBB1525_303
.LBB1525_235:                           ;   in Loop: Header=BB1525_100 Depth=2
	s_or_b32 exec_lo, exec_lo, s17
	s_and_saveexec_b32 s17, s29
	s_cbranch_execnz .LBB1525_304
.LBB1525_236:                           ;   in Loop: Header=BB1525_100 Depth=2
	s_or_b32 exec_lo, exec_lo, s17
	s_and_saveexec_b32 s17, s30
	s_cbranch_execnz .LBB1525_305
.LBB1525_237:                           ;   in Loop: Header=BB1525_100 Depth=2
	s_or_b32 exec_lo, exec_lo, s17
	s_and_saveexec_b32 s17, s31
	s_cbranch_execnz .LBB1525_306
.LBB1525_238:                           ;   in Loop: Header=BB1525_100 Depth=2
	s_or_b32 exec_lo, exec_lo, s17
	s_and_saveexec_b32 s17, s33
	s_cbranch_execz .LBB1525_240
.LBB1525_239:                           ;   in Loop: Header=BB1525_100 Depth=2
	v_dual_lshlrev_b32 v4, 2, v119 :: v_dual_add_nc_u32 v5, v10, v100
	ds_load_b32 v6, v4
	ds_load_b64 v[4:5], v5 offset:33280
	s_wait_dscnt 0x1
	v_add_nc_u32_e32 v6, v6, v87
	s_wait_dscnt 0x0
	global_store_b64 v6, v[4:5], s[44:45] scale_offset
.LBB1525_240:                           ;   in Loop: Header=BB1525_100 Depth=2
	s_wait_xcnt 0x0
	s_or_b32 exec_lo, exec_lo, s17
	s_wait_storecnt 0x0
	s_barrier_signal -1
	s_barrier_wait -1
	s_and_saveexec_b32 s17, s0
	s_cbranch_execz .LBB1525_99
; %bb.241:                              ;   in Loop: Header=BB1525_100 Depth=2
	ds_load_b32 v4, v9
	s_wait_dscnt 0x0
	v_add3_u32 v4, v136, v137, v4
	ds_store_b32 v9, v4
	s_branch .LBB1525_99
.LBB1525_242:                           ;   in Loop: Header=BB1525_100 Depth=2
	ds_load_u8 v4, v10 offset:512
	s_wait_dscnt 0x0
	v_and_b32_e32 v5, 1, v4
	s_delay_alu instid0(VALU_DEP_1) | instskip(NEXT) | instid1(VALU_DEP_1)
	v_dual_lshrrev_b32 v5, s57, v5 :: v_dual_bitop2_b32 v4, 1, v4 bitop3:0x14
	v_and_b32_e32 v5, s58, v5
	s_delay_alu instid0(VALU_DEP_1)
	v_lshlrev_b32_e32 v5, 2, v5
	ds_load_b32 v5, v5
	s_wait_dscnt 0x0
	v_add_nc_u32_e32 v5, v5, v10
	global_store_b8 v5, v4, s[38:39]
	s_wait_xcnt 0x0
	s_or_b32 exec_lo, exec_lo, s17
	v_cmp_lt_u32_e64 s17, v72, v70
	s_and_saveexec_b32 s18, s17
	s_cbranch_execz .LBB1525_171
.LBB1525_243:                           ;   in Loop: Header=BB1525_100 Depth=2
	ds_load_u8 v4, v10 offset:768
	s_wait_dscnt 0x0
	v_and_b32_e32 v5, 1, v4
	s_delay_alu instid0(VALU_DEP_1) | instskip(NEXT) | instid1(VALU_DEP_1)
	v_dual_lshrrev_b32 v5, s57, v5 :: v_dual_bitop2_b32 v4, 1, v4 bitop3:0x14
	v_and_b32_e32 v5, s58, v5
	s_delay_alu instid0(VALU_DEP_1)
	v_lshlrev_b32_e32 v5, 2, v5
	ds_load_b32 v5, v5
	s_wait_dscnt 0x0
	v_add_nc_u32_e32 v5, v5, v72
	global_store_b8 v5, v4, s[38:39]
	s_wait_xcnt 0x0
	s_or_b32 exec_lo, exec_lo, s18
	v_cmp_lt_u32_e64 s18, v73, v70
	s_and_saveexec_b32 s19, s18
	s_cbranch_execz .LBB1525_172
.LBB1525_244:                           ;   in Loop: Header=BB1525_100 Depth=2
	ds_load_u8 v4, v10 offset:1024
	s_wait_dscnt 0x0
	v_and_b32_e32 v5, 1, v4
	s_delay_alu instid0(VALU_DEP_1) | instskip(NEXT) | instid1(VALU_DEP_1)
	v_dual_lshrrev_b32 v5, s57, v5 :: v_dual_bitop2_b32 v4, 1, v4 bitop3:0x14
	v_and_b32_e32 v5, s58, v5
	s_delay_alu instid0(VALU_DEP_1)
	v_lshlrev_b32_e32 v5, 2, v5
	ds_load_b32 v5, v5
	s_wait_dscnt 0x0
	v_add_nc_u32_e32 v5, v5, v73
	global_store_b8 v5, v4, s[38:39]
	s_wait_xcnt 0x0
	s_or_b32 exec_lo, exec_lo, s19
	v_cmp_lt_u32_e64 s19, v74, v70
	s_and_saveexec_b32 s20, s19
	s_cbranch_execz .LBB1525_173
.LBB1525_245:                           ;   in Loop: Header=BB1525_100 Depth=2
	ds_load_u8 v4, v10 offset:1280
	s_wait_dscnt 0x0
	v_and_b32_e32 v5, 1, v4
	s_delay_alu instid0(VALU_DEP_1) | instskip(NEXT) | instid1(VALU_DEP_1)
	v_dual_lshrrev_b32 v5, s57, v5 :: v_dual_bitop2_b32 v4, 1, v4 bitop3:0x14
	v_and_b32_e32 v5, s58, v5
	s_delay_alu instid0(VALU_DEP_1)
	v_lshlrev_b32_e32 v5, 2, v5
	ds_load_b32 v5, v5
	s_wait_dscnt 0x0
	v_add_nc_u32_e32 v5, v5, v74
	global_store_b8 v5, v4, s[38:39]
	s_wait_xcnt 0x0
	s_or_b32 exec_lo, exec_lo, s20
	v_cmp_lt_u32_e64 s20, v75, v70
	s_and_saveexec_b32 s21, s20
	s_cbranch_execz .LBB1525_174
.LBB1525_246:                           ;   in Loop: Header=BB1525_100 Depth=2
	ds_load_u8 v4, v10 offset:1536
	s_wait_dscnt 0x0
	v_and_b32_e32 v5, 1, v4
	s_delay_alu instid0(VALU_DEP_1) | instskip(NEXT) | instid1(VALU_DEP_1)
	v_dual_lshrrev_b32 v5, s57, v5 :: v_dual_bitop2_b32 v4, 1, v4 bitop3:0x14
	v_and_b32_e32 v5, s58, v5
	s_delay_alu instid0(VALU_DEP_1)
	v_lshlrev_b32_e32 v5, 2, v5
	ds_load_b32 v5, v5
	s_wait_dscnt 0x0
	v_add_nc_u32_e32 v5, v5, v75
	global_store_b8 v5, v4, s[38:39]
	s_wait_xcnt 0x0
	s_or_b32 exec_lo, exec_lo, s21
	v_cmp_lt_u32_e64 s21, v76, v70
	s_and_saveexec_b32 s22, s21
	s_cbranch_execz .LBB1525_175
.LBB1525_247:                           ;   in Loop: Header=BB1525_100 Depth=2
	ds_load_u8 v4, v10 offset:1792
	s_wait_dscnt 0x0
	v_and_b32_e32 v5, 1, v4
	s_delay_alu instid0(VALU_DEP_1) | instskip(NEXT) | instid1(VALU_DEP_1)
	v_dual_lshrrev_b32 v5, s57, v5 :: v_dual_bitop2_b32 v4, 1, v4 bitop3:0x14
	v_and_b32_e32 v5, s58, v5
	s_delay_alu instid0(VALU_DEP_1)
	v_lshlrev_b32_e32 v5, 2, v5
	ds_load_b32 v5, v5
	s_wait_dscnt 0x0
	v_add_nc_u32_e32 v5, v5, v76
	global_store_b8 v5, v4, s[38:39]
	s_wait_xcnt 0x0
	s_or_b32 exec_lo, exec_lo, s22
	v_cmp_lt_u32_e64 s22, v77, v70
	s_and_saveexec_b32 s23, s22
	s_cbranch_execz .LBB1525_176
.LBB1525_248:                           ;   in Loop: Header=BB1525_100 Depth=2
	ds_load_u8 v4, v10 offset:2048
	s_wait_dscnt 0x0
	v_and_b32_e32 v5, 1, v4
	s_delay_alu instid0(VALU_DEP_1) | instskip(NEXT) | instid1(VALU_DEP_1)
	v_dual_lshrrev_b32 v5, s57, v5 :: v_dual_bitop2_b32 v4, 1, v4 bitop3:0x14
	v_and_b32_e32 v5, s58, v5
	s_delay_alu instid0(VALU_DEP_1)
	v_lshlrev_b32_e32 v5, 2, v5
	ds_load_b32 v5, v5
	s_wait_dscnt 0x0
	v_add_nc_u32_e32 v5, v5, v77
	global_store_b8 v5, v4, s[38:39]
	s_wait_xcnt 0x0
	s_or_b32 exec_lo, exec_lo, s23
	v_cmp_lt_u32_e64 s23, v78, v70
	s_and_saveexec_b32 s24, s23
	s_cbranch_execz .LBB1525_177
.LBB1525_249:                           ;   in Loop: Header=BB1525_100 Depth=2
	ds_load_u8 v4, v10 offset:2304
	s_wait_dscnt 0x0
	v_and_b32_e32 v5, 1, v4
	s_delay_alu instid0(VALU_DEP_1) | instskip(NEXT) | instid1(VALU_DEP_1)
	v_dual_lshrrev_b32 v5, s57, v5 :: v_dual_bitop2_b32 v4, 1, v4 bitop3:0x14
	v_and_b32_e32 v5, s58, v5
	s_delay_alu instid0(VALU_DEP_1)
	v_lshlrev_b32_e32 v5, 2, v5
	ds_load_b32 v5, v5
	s_wait_dscnt 0x0
	v_add_nc_u32_e32 v5, v5, v78
	global_store_b8 v5, v4, s[38:39]
	s_wait_xcnt 0x0
	s_or_b32 exec_lo, exec_lo, s24
	v_cmp_lt_u32_e64 s24, v79, v70
	s_and_saveexec_b32 s25, s24
	s_cbranch_execz .LBB1525_178
.LBB1525_250:                           ;   in Loop: Header=BB1525_100 Depth=2
	ds_load_u8 v4, v10 offset:2560
	s_wait_dscnt 0x0
	v_and_b32_e32 v5, 1, v4
	s_delay_alu instid0(VALU_DEP_1) | instskip(NEXT) | instid1(VALU_DEP_1)
	v_dual_lshrrev_b32 v5, s57, v5 :: v_dual_bitop2_b32 v4, 1, v4 bitop3:0x14
	v_and_b32_e32 v5, s58, v5
	s_delay_alu instid0(VALU_DEP_1)
	v_lshlrev_b32_e32 v5, 2, v5
	ds_load_b32 v5, v5
	s_wait_dscnt 0x0
	v_add_nc_u32_e32 v5, v5, v79
	global_store_b8 v5, v4, s[38:39]
	s_wait_xcnt 0x0
	s_or_b32 exec_lo, exec_lo, s25
	v_cmp_lt_u32_e64 s25, v80, v70
	s_and_saveexec_b32 s26, s25
	s_cbranch_execz .LBB1525_179
.LBB1525_251:                           ;   in Loop: Header=BB1525_100 Depth=2
	ds_load_u8 v4, v10 offset:2816
	s_wait_dscnt 0x0
	v_and_b32_e32 v5, 1, v4
	s_delay_alu instid0(VALU_DEP_1) | instskip(NEXT) | instid1(VALU_DEP_1)
	v_dual_lshrrev_b32 v5, s57, v5 :: v_dual_bitop2_b32 v4, 1, v4 bitop3:0x14
	v_and_b32_e32 v5, s58, v5
	s_delay_alu instid0(VALU_DEP_1)
	v_lshlrev_b32_e32 v5, 2, v5
	ds_load_b32 v5, v5
	s_wait_dscnt 0x0
	v_add_nc_u32_e32 v5, v5, v80
	global_store_b8 v5, v4, s[38:39]
	s_wait_xcnt 0x0
	s_or_b32 exec_lo, exec_lo, s26
	v_cmp_lt_u32_e64 s26, v81, v70
	s_and_saveexec_b32 s27, s26
	s_cbranch_execz .LBB1525_180
.LBB1525_252:                           ;   in Loop: Header=BB1525_100 Depth=2
	ds_load_u8 v4, v10 offset:3072
	s_wait_dscnt 0x0
	v_and_b32_e32 v5, 1, v4
	s_delay_alu instid0(VALU_DEP_1) | instskip(NEXT) | instid1(VALU_DEP_1)
	v_dual_lshrrev_b32 v5, s57, v5 :: v_dual_bitop2_b32 v4, 1, v4 bitop3:0x14
	v_and_b32_e32 v5, s58, v5
	s_delay_alu instid0(VALU_DEP_1)
	v_lshlrev_b32_e32 v5, 2, v5
	ds_load_b32 v5, v5
	s_wait_dscnt 0x0
	v_add_nc_u32_e32 v5, v5, v81
	global_store_b8 v5, v4, s[38:39]
	s_wait_xcnt 0x0
	s_or_b32 exec_lo, exec_lo, s27
	v_cmp_lt_u32_e64 s27, v82, v70
	s_and_saveexec_b32 s28, s27
	s_cbranch_execz .LBB1525_181
.LBB1525_253:                           ;   in Loop: Header=BB1525_100 Depth=2
	ds_load_u8 v4, v10 offset:3328
	s_wait_dscnt 0x0
	v_and_b32_e32 v5, 1, v4
	s_delay_alu instid0(VALU_DEP_1) | instskip(NEXT) | instid1(VALU_DEP_1)
	v_dual_lshrrev_b32 v5, s57, v5 :: v_dual_bitop2_b32 v4, 1, v4 bitop3:0x14
	v_and_b32_e32 v5, s58, v5
	s_delay_alu instid0(VALU_DEP_1)
	v_lshlrev_b32_e32 v5, 2, v5
	ds_load_b32 v5, v5
	s_wait_dscnt 0x0
	v_add_nc_u32_e32 v5, v5, v82
	global_store_b8 v5, v4, s[38:39]
	s_wait_xcnt 0x0
	s_or_b32 exec_lo, exec_lo, s28
	v_cmp_lt_u32_e64 s28, v83, v70
	s_and_saveexec_b32 s29, s28
	s_cbranch_execz .LBB1525_182
.LBB1525_254:                           ;   in Loop: Header=BB1525_100 Depth=2
	ds_load_u8 v4, v10 offset:3584
	s_wait_dscnt 0x0
	v_and_b32_e32 v5, 1, v4
	s_delay_alu instid0(VALU_DEP_1) | instskip(NEXT) | instid1(VALU_DEP_1)
	v_dual_lshrrev_b32 v5, s57, v5 :: v_dual_bitop2_b32 v4, 1, v4 bitop3:0x14
	v_and_b32_e32 v5, s58, v5
	s_delay_alu instid0(VALU_DEP_1)
	v_lshlrev_b32_e32 v5, 2, v5
	ds_load_b32 v5, v5
	s_wait_dscnt 0x0
	v_add_nc_u32_e32 v5, v5, v83
	global_store_b8 v5, v4, s[38:39]
	s_wait_xcnt 0x0
	s_or_b32 exec_lo, exec_lo, s29
	v_cmp_lt_u32_e64 s29, v84, v70
	s_and_saveexec_b32 s30, s29
	s_cbranch_execz .LBB1525_183
.LBB1525_255:                           ;   in Loop: Header=BB1525_100 Depth=2
	ds_load_u8 v4, v10 offset:3840
	s_wait_dscnt 0x0
	v_and_b32_e32 v5, 1, v4
	s_delay_alu instid0(VALU_DEP_1) | instskip(NEXT) | instid1(VALU_DEP_1)
	v_dual_lshrrev_b32 v5, s57, v5 :: v_dual_bitop2_b32 v4, 1, v4 bitop3:0x14
	v_and_b32_e32 v5, s58, v5
	s_delay_alu instid0(VALU_DEP_1)
	v_lshlrev_b32_e32 v5, 2, v5
	ds_load_b32 v5, v5
	s_wait_dscnt 0x0
	v_add_nc_u32_e32 v5, v5, v84
	global_store_b8 v5, v4, s[38:39]
	s_wait_xcnt 0x0
	s_or_b32 exec_lo, exec_lo, s30
	v_cmp_lt_u32_e64 s30, v85, v70
	s_and_saveexec_b32 s31, s30
	s_cbranch_execz .LBB1525_184
.LBB1525_256:                           ;   in Loop: Header=BB1525_100 Depth=2
	ds_load_u8 v4, v10 offset:4096
	s_wait_dscnt 0x0
	v_and_b32_e32 v5, 1, v4
	s_delay_alu instid0(VALU_DEP_1) | instskip(NEXT) | instid1(VALU_DEP_1)
	v_dual_lshrrev_b32 v5, s57, v5 :: v_dual_bitop2_b32 v4, 1, v4 bitop3:0x14
	v_and_b32_e32 v5, s58, v5
	s_delay_alu instid0(VALU_DEP_1)
	v_lshlrev_b32_e32 v5, 2, v5
	ds_load_b32 v5, v5
	s_wait_dscnt 0x0
	v_add_nc_u32_e32 v5, v5, v85
	global_store_b8 v5, v4, s[38:39]
	s_wait_xcnt 0x0
	s_or_b32 exec_lo, exec_lo, s31
	v_cmp_lt_u32_e64 s31, v86, v70
	s_and_saveexec_b32 s33, s31
	s_cbranch_execz .LBB1525_185
.LBB1525_257:                           ;   in Loop: Header=BB1525_100 Depth=2
	ds_load_u8 v4, v10 offset:4352
	s_wait_dscnt 0x0
	v_and_b32_e32 v5, 1, v4
	s_delay_alu instid0(VALU_DEP_1) | instskip(NEXT) | instid1(VALU_DEP_1)
	v_dual_lshrrev_b32 v5, s57, v5 :: v_dual_bitop2_b32 v4, 1, v4 bitop3:0x14
	v_and_b32_e32 v5, s58, v5
	s_delay_alu instid0(VALU_DEP_1)
	v_lshlrev_b32_e32 v5, 2, v5
	ds_load_b32 v5, v5
	s_wait_dscnt 0x0
	v_add_nc_u32_e32 v5, v5, v86
	global_store_b8 v5, v4, s[38:39]
	s_wait_xcnt 0x0
	s_or_b32 exec_lo, exec_lo, s33
	v_cmp_lt_u32_e64 s33, v87, v70
	s_and_saveexec_b32 s34, s33
	s_cbranch_execnz .LBB1525_186
	s_branch .LBB1525_187
.LBB1525_258:                           ;   in Loop: Header=BB1525_100 Depth=2
	global_load_b64 v[68:69], v[4:5], off
	s_wait_xcnt 0x0
	s_or_b32 exec_lo, exec_lo, s34
	s_delay_alu instid0(SALU_CYCLE_1)
	s_mov_b32 s42, exec_lo
	v_cmpx_lt_u32_e64 v103, v70
	s_cbranch_execz .LBB1525_189
.LBB1525_259:                           ;   in Loop: Header=BB1525_100 Depth=2
	global_load_b64 v[66:67], v[4:5], off offset:256
	s_wait_xcnt 0x0
	s_or_b32 exec_lo, exec_lo, s42
	s_delay_alu instid0(SALU_CYCLE_1)
	s_mov_b32 s42, exec_lo
	v_cmpx_lt_u32_e64 v104, v70
	s_cbranch_execz .LBB1525_190
.LBB1525_260:                           ;   in Loop: Header=BB1525_100 Depth=2
	global_load_b64 v[64:65], v[4:5], off offset:512
	s_wait_xcnt 0x0
	s_or_b32 exec_lo, exec_lo, s42
	s_delay_alu instid0(SALU_CYCLE_1)
	s_mov_b32 s42, exec_lo
	v_cmpx_lt_u32_e64 v105, v70
	s_cbranch_execz .LBB1525_191
.LBB1525_261:                           ;   in Loop: Header=BB1525_100 Depth=2
	global_load_b64 v[62:63], v[4:5], off offset:768
	s_wait_xcnt 0x0
	s_or_b32 exec_lo, exec_lo, s42
	s_delay_alu instid0(SALU_CYCLE_1)
	s_mov_b32 s42, exec_lo
	v_cmpx_lt_u32_e64 v106, v70
	s_cbranch_execz .LBB1525_192
.LBB1525_262:                           ;   in Loop: Header=BB1525_100 Depth=2
	global_load_b64 v[60:61], v[4:5], off offset:1024
	s_wait_xcnt 0x0
	s_or_b32 exec_lo, exec_lo, s42
	s_delay_alu instid0(SALU_CYCLE_1)
	s_mov_b32 s42, exec_lo
	v_cmpx_lt_u32_e64 v107, v70
	s_cbranch_execz .LBB1525_193
.LBB1525_263:                           ;   in Loop: Header=BB1525_100 Depth=2
	global_load_b64 v[58:59], v[4:5], off offset:1280
	s_wait_xcnt 0x0
	s_or_b32 exec_lo, exec_lo, s42
	s_delay_alu instid0(SALU_CYCLE_1)
	s_mov_b32 s42, exec_lo
	v_cmpx_lt_u32_e64 v108, v70
	s_cbranch_execz .LBB1525_194
.LBB1525_264:                           ;   in Loop: Header=BB1525_100 Depth=2
	global_load_b64 v[56:57], v[4:5], off offset:1536
	s_wait_xcnt 0x0
	s_or_b32 exec_lo, exec_lo, s42
	s_delay_alu instid0(SALU_CYCLE_1)
	s_mov_b32 s42, exec_lo
	v_cmpx_lt_u32_e64 v109, v70
	s_cbranch_execz .LBB1525_195
.LBB1525_265:                           ;   in Loop: Header=BB1525_100 Depth=2
	global_load_b64 v[54:55], v[4:5], off offset:1792
	s_wait_xcnt 0x0
	s_or_b32 exec_lo, exec_lo, s42
	s_delay_alu instid0(SALU_CYCLE_1)
	s_mov_b32 s42, exec_lo
	v_cmpx_lt_u32_e64 v110, v70
	s_cbranch_execz .LBB1525_196
.LBB1525_266:                           ;   in Loop: Header=BB1525_100 Depth=2
	global_load_b64 v[52:53], v[4:5], off offset:2048
	s_wait_xcnt 0x0
	s_or_b32 exec_lo, exec_lo, s42
	s_delay_alu instid0(SALU_CYCLE_1)
	s_mov_b32 s42, exec_lo
	v_cmpx_lt_u32_e64 v111, v70
	s_cbranch_execz .LBB1525_197
.LBB1525_267:                           ;   in Loop: Header=BB1525_100 Depth=2
	global_load_b64 v[50:51], v[4:5], off offset:2304
	s_wait_xcnt 0x0
	s_or_b32 exec_lo, exec_lo, s42
	s_delay_alu instid0(SALU_CYCLE_1)
	s_mov_b32 s42, exec_lo
	v_cmpx_lt_u32_e64 v112, v70
	s_cbranch_execz .LBB1525_198
.LBB1525_268:                           ;   in Loop: Header=BB1525_100 Depth=2
	global_load_b64 v[48:49], v[4:5], off offset:2560
	s_wait_xcnt 0x0
	s_or_b32 exec_lo, exec_lo, s42
	s_delay_alu instid0(SALU_CYCLE_1)
	s_mov_b32 s42, exec_lo
	v_cmpx_lt_u32_e64 v113, v70
	s_cbranch_execz .LBB1525_199
.LBB1525_269:                           ;   in Loop: Header=BB1525_100 Depth=2
	global_load_b64 v[46:47], v[4:5], off offset:2816
	s_wait_xcnt 0x0
	s_or_b32 exec_lo, exec_lo, s42
	s_delay_alu instid0(SALU_CYCLE_1)
	s_mov_b32 s42, exec_lo
	v_cmpx_lt_u32_e64 v114, v70
	s_cbranch_execz .LBB1525_200
.LBB1525_270:                           ;   in Loop: Header=BB1525_100 Depth=2
	global_load_b64 v[44:45], v[4:5], off offset:3072
	s_wait_xcnt 0x0
	s_or_b32 exec_lo, exec_lo, s42
	s_delay_alu instid0(SALU_CYCLE_1)
	s_mov_b32 s42, exec_lo
	v_cmpx_lt_u32_e64 v115, v70
	s_cbranch_execz .LBB1525_201
.LBB1525_271:                           ;   in Loop: Header=BB1525_100 Depth=2
	global_load_b64 v[42:43], v[4:5], off offset:3328
	s_wait_xcnt 0x0
	s_or_b32 exec_lo, exec_lo, s42
	s_delay_alu instid0(SALU_CYCLE_1)
	s_mov_b32 s42, exec_lo
	v_cmpx_lt_u32_e64 v116, v70
	s_cbranch_execz .LBB1525_202
.LBB1525_272:                           ;   in Loop: Header=BB1525_100 Depth=2
	global_load_b64 v[40:41], v[4:5], off offset:3584
	s_wait_xcnt 0x0
	s_or_b32 exec_lo, exec_lo, s42
	s_delay_alu instid0(SALU_CYCLE_1)
	s_mov_b32 s42, exec_lo
	v_cmpx_lt_u32_e64 v117, v70
	s_cbranch_execz .LBB1525_203
.LBB1525_273:                           ;   in Loop: Header=BB1525_100 Depth=2
	global_load_b64 v[38:39], v[4:5], off offset:3840
	s_wait_xcnt 0x0
	s_or_b32 exec_lo, exec_lo, s42
	s_delay_alu instid0(SALU_CYCLE_1)
	s_mov_b32 s42, exec_lo
	v_cmpx_lt_u32_e64 v118, v70
	s_cbranch_execz .LBB1525_204
.LBB1525_274:                           ;   in Loop: Header=BB1525_100 Depth=2
	global_load_b64 v[36:37], v[4:5], off offset:4096
	s_wait_xcnt 0x0
	s_or_b32 exec_lo, exec_lo, s42
	s_and_saveexec_b32 s34, vcc_lo
	s_cbranch_execz .LBB1525_205
.LBB1525_275:                           ;   in Loop: Header=BB1525_100 Depth=2
	ds_load_u8 v4, v10 offset:512
	s_wait_dscnt 0x0
	v_lshrrev_b32_e32 v4, s57, v4
	s_delay_alu instid0(VALU_DEP_1)
	v_and_b32_e32 v135, s58, v4
	s_or_b32 exec_lo, exec_lo, s34
	s_and_saveexec_b32 s34, s17
	s_cbranch_execz .LBB1525_206
.LBB1525_276:                           ;   in Loop: Header=BB1525_100 Depth=2
	ds_load_u8 v4, v10 offset:768
	s_wait_dscnt 0x0
	v_lshrrev_b32_e32 v4, s57, v4
	s_delay_alu instid0(VALU_DEP_1)
	v_and_b32_e32 v134, s58, v4
	s_or_b32 exec_lo, exec_lo, s34
	s_and_saveexec_b32 s34, s18
	s_cbranch_execz .LBB1525_207
.LBB1525_277:                           ;   in Loop: Header=BB1525_100 Depth=2
	ds_load_u8 v4, v10 offset:1024
	s_wait_dscnt 0x0
	v_lshrrev_b32_e32 v4, s57, v4
	s_delay_alu instid0(VALU_DEP_1)
	v_and_b32_e32 v133, s58, v4
	s_or_b32 exec_lo, exec_lo, s34
	s_and_saveexec_b32 s34, s19
	s_cbranch_execz .LBB1525_208
.LBB1525_278:                           ;   in Loop: Header=BB1525_100 Depth=2
	ds_load_u8 v4, v10 offset:1280
	s_wait_dscnt 0x0
	v_lshrrev_b32_e32 v4, s57, v4
	s_delay_alu instid0(VALU_DEP_1)
	v_and_b32_e32 v132, s58, v4
	s_or_b32 exec_lo, exec_lo, s34
	s_and_saveexec_b32 s34, s20
	s_cbranch_execz .LBB1525_209
.LBB1525_279:                           ;   in Loop: Header=BB1525_100 Depth=2
	ds_load_u8 v4, v10 offset:1536
	s_wait_dscnt 0x0
	v_lshrrev_b32_e32 v4, s57, v4
	s_delay_alu instid0(VALU_DEP_1)
	v_and_b32_e32 v131, s58, v4
	s_or_b32 exec_lo, exec_lo, s34
	s_and_saveexec_b32 s34, s21
	s_cbranch_execz .LBB1525_210
.LBB1525_280:                           ;   in Loop: Header=BB1525_100 Depth=2
	ds_load_u8 v4, v10 offset:1792
	s_wait_dscnt 0x0
	v_lshrrev_b32_e32 v4, s57, v4
	s_delay_alu instid0(VALU_DEP_1)
	v_and_b32_e32 v130, s58, v4
	s_or_b32 exec_lo, exec_lo, s34
	s_and_saveexec_b32 s34, s22
	s_cbranch_execz .LBB1525_211
.LBB1525_281:                           ;   in Loop: Header=BB1525_100 Depth=2
	ds_load_u8 v4, v10 offset:2048
	s_wait_dscnt 0x0
	v_lshrrev_b32_e32 v4, s57, v4
	s_delay_alu instid0(VALU_DEP_1)
	v_and_b32_e32 v129, s58, v4
	s_or_b32 exec_lo, exec_lo, s34
	s_and_saveexec_b32 s34, s23
	s_cbranch_execz .LBB1525_212
.LBB1525_282:                           ;   in Loop: Header=BB1525_100 Depth=2
	ds_load_u8 v4, v10 offset:2304
	s_wait_dscnt 0x0
	v_lshrrev_b32_e32 v4, s57, v4
	s_delay_alu instid0(VALU_DEP_1)
	v_and_b32_e32 v128, s58, v4
	s_or_b32 exec_lo, exec_lo, s34
	s_and_saveexec_b32 s34, s24
	s_cbranch_execz .LBB1525_213
.LBB1525_283:                           ;   in Loop: Header=BB1525_100 Depth=2
	ds_load_u8 v4, v10 offset:2560
	s_wait_dscnt 0x0
	v_lshrrev_b32_e32 v4, s57, v4
	s_delay_alu instid0(VALU_DEP_1)
	v_and_b32_e32 v127, s58, v4
	s_or_b32 exec_lo, exec_lo, s34
	s_and_saveexec_b32 s34, s25
	s_cbranch_execz .LBB1525_214
.LBB1525_284:                           ;   in Loop: Header=BB1525_100 Depth=2
	ds_load_u8 v4, v10 offset:2816
	s_wait_dscnt 0x0
	v_lshrrev_b32_e32 v4, s57, v4
	s_delay_alu instid0(VALU_DEP_1)
	v_and_b32_e32 v126, s58, v4
	s_or_b32 exec_lo, exec_lo, s34
	s_and_saveexec_b32 s34, s26
	s_cbranch_execz .LBB1525_215
.LBB1525_285:                           ;   in Loop: Header=BB1525_100 Depth=2
	ds_load_u8 v4, v10 offset:3072
	s_wait_dscnt 0x0
	v_lshrrev_b32_e32 v4, s57, v4
	s_delay_alu instid0(VALU_DEP_1)
	v_and_b32_e32 v125, s58, v4
	s_or_b32 exec_lo, exec_lo, s34
	s_and_saveexec_b32 s34, s27
	s_cbranch_execz .LBB1525_216
.LBB1525_286:                           ;   in Loop: Header=BB1525_100 Depth=2
	ds_load_u8 v4, v10 offset:3328
	s_wait_dscnt 0x0
	v_lshrrev_b32_e32 v4, s57, v4
	s_delay_alu instid0(VALU_DEP_1)
	v_and_b32_e32 v124, s58, v4
	s_or_b32 exec_lo, exec_lo, s34
	s_and_saveexec_b32 s34, s28
	s_cbranch_execz .LBB1525_217
.LBB1525_287:                           ;   in Loop: Header=BB1525_100 Depth=2
	ds_load_u8 v4, v10 offset:3584
	s_wait_dscnt 0x0
	v_lshrrev_b32_e32 v4, s57, v4
	s_delay_alu instid0(VALU_DEP_1)
	v_and_b32_e32 v123, s58, v4
	s_or_b32 exec_lo, exec_lo, s34
	s_and_saveexec_b32 s34, s29
	s_cbranch_execz .LBB1525_218
.LBB1525_288:                           ;   in Loop: Header=BB1525_100 Depth=2
	ds_load_u8 v4, v10 offset:3840
	s_wait_dscnt 0x0
	v_lshrrev_b32_e32 v4, s57, v4
	s_delay_alu instid0(VALU_DEP_1)
	v_and_b32_e32 v122, s58, v4
	s_or_b32 exec_lo, exec_lo, s34
	s_and_saveexec_b32 s34, s30
	s_cbranch_execz .LBB1525_219
.LBB1525_289:                           ;   in Loop: Header=BB1525_100 Depth=2
	ds_load_u8 v4, v10 offset:4096
	s_wait_dscnt 0x0
	v_lshrrev_b32_e32 v4, s57, v4
	s_delay_alu instid0(VALU_DEP_1)
	v_and_b32_e32 v121, s58, v4
	s_or_b32 exec_lo, exec_lo, s34
	s_and_saveexec_b32 s34, s31
	s_cbranch_execz .LBB1525_220
.LBB1525_290:                           ;   in Loop: Header=BB1525_100 Depth=2
	ds_load_u8 v4, v10 offset:4352
	s_wait_dscnt 0x0
	v_lshrrev_b32_e32 v4, s57, v4
	s_delay_alu instid0(VALU_DEP_1)
	v_and_b32_e32 v120, s58, v4
	s_or_b32 exec_lo, exec_lo, s34
	s_and_saveexec_b32 s34, s33
	s_cbranch_execnz .LBB1525_221
	s_branch .LBB1525_222
.LBB1525_291:                           ;   in Loop: Header=BB1525_100 Depth=2
	v_dual_lshlrev_b32 v4, 2, v135 :: v_dual_add_nc_u32 v5, v10, v100
	ds_load_b32 v6, v4
	ds_load_b64 v[4:5], v5 offset:512
	s_wait_dscnt 0x1
	v_add_nc_u32_e32 v6, v6, v10
	s_wait_dscnt 0x0
	global_store_b64 v6, v[4:5], s[44:45] scale_offset
	s_wait_xcnt 0x0
	s_or_b32 exec_lo, exec_lo, s34
	s_and_saveexec_b32 s34, s17
	s_cbranch_execz .LBB1525_224
.LBB1525_292:                           ;   in Loop: Header=BB1525_100 Depth=2
	v_dual_lshlrev_b32 v4, 2, v134 :: v_dual_add_nc_u32 v5, v10, v100
	ds_load_b32 v6, v4
	ds_load_b64 v[4:5], v5 offset:2560
	s_wait_dscnt 0x1
	v_add_nc_u32_e32 v6, v6, v72
	s_wait_dscnt 0x0
	global_store_b64 v6, v[4:5], s[44:45] scale_offset
	s_wait_xcnt 0x0
	s_or_b32 exec_lo, exec_lo, s34
	s_and_saveexec_b32 s17, s18
	s_cbranch_execz .LBB1525_225
.LBB1525_293:                           ;   in Loop: Header=BB1525_100 Depth=2
	v_dual_lshlrev_b32 v4, 2, v133 :: v_dual_add_nc_u32 v5, v10, v100
	ds_load_b32 v6, v4
	ds_load_b64 v[4:5], v5 offset:4608
	s_wait_dscnt 0x1
	v_add_nc_u32_e32 v6, v6, v73
	s_wait_dscnt 0x0
	global_store_b64 v6, v[4:5], s[44:45] scale_offset
	s_wait_xcnt 0x0
	s_or_b32 exec_lo, exec_lo, s17
	s_and_saveexec_b32 s17, s19
	s_cbranch_execz .LBB1525_226
.LBB1525_294:                           ;   in Loop: Header=BB1525_100 Depth=2
	v_lshlrev_b32_e32 v4, 2, v132
	v_add_nc_u32_e32 v5, v10, v100
	ds_load_b32 v6, v4
	ds_load_b64 v[4:5], v5 offset:6656
	s_wait_dscnt 0x1
	v_add_nc_u32_e32 v6, v6, v74
	s_wait_dscnt 0x0
	global_store_b64 v6, v[4:5], s[44:45] scale_offset
	s_wait_xcnt 0x0
	s_or_b32 exec_lo, exec_lo, s17
	s_and_saveexec_b32 s17, s20
	s_cbranch_execz .LBB1525_227
.LBB1525_295:                           ;   in Loop: Header=BB1525_100 Depth=2
	v_dual_lshlrev_b32 v4, 2, v131 :: v_dual_add_nc_u32 v5, v10, v100
	ds_load_b32 v6, v4
	ds_load_b64 v[4:5], v5 offset:8704
	s_wait_dscnt 0x1
	v_add_nc_u32_e32 v6, v6, v75
	s_wait_dscnt 0x0
	global_store_b64 v6, v[4:5], s[44:45] scale_offset
	s_wait_xcnt 0x0
	s_or_b32 exec_lo, exec_lo, s17
	s_and_saveexec_b32 s17, s21
	s_cbranch_execz .LBB1525_228
.LBB1525_296:                           ;   in Loop: Header=BB1525_100 Depth=2
	v_dual_lshlrev_b32 v4, 2, v130 :: v_dual_add_nc_u32 v5, v10, v100
	ds_load_b32 v6, v4
	ds_load_b64 v[4:5], v5 offset:10752
	s_wait_dscnt 0x1
	v_add_nc_u32_e32 v6, v6, v76
	s_wait_dscnt 0x0
	global_store_b64 v6, v[4:5], s[44:45] scale_offset
	s_wait_xcnt 0x0
	s_or_b32 exec_lo, exec_lo, s17
	s_and_saveexec_b32 s17, s22
	s_cbranch_execz .LBB1525_229
.LBB1525_297:                           ;   in Loop: Header=BB1525_100 Depth=2
	v_dual_lshlrev_b32 v4, 2, v129 :: v_dual_add_nc_u32 v5, v10, v100
	ds_load_b32 v6, v4
	ds_load_b64 v[4:5], v5 offset:12800
	s_wait_dscnt 0x1
	v_add_nc_u32_e32 v6, v6, v77
	s_wait_dscnt 0x0
	global_store_b64 v6, v[4:5], s[44:45] scale_offset
	s_wait_xcnt 0x0
	s_or_b32 exec_lo, exec_lo, s17
	s_and_saveexec_b32 s17, s23
	s_cbranch_execz .LBB1525_230
.LBB1525_298:                           ;   in Loop: Header=BB1525_100 Depth=2
	v_lshlrev_b32_e32 v4, 2, v128
	v_add_nc_u32_e32 v5, v10, v100
	ds_load_b32 v6, v4
	ds_load_b64 v[4:5], v5 offset:14848
	s_wait_dscnt 0x1
	v_add_nc_u32_e32 v6, v6, v78
	s_wait_dscnt 0x0
	global_store_b64 v6, v[4:5], s[44:45] scale_offset
	s_wait_xcnt 0x0
	s_or_b32 exec_lo, exec_lo, s17
	s_and_saveexec_b32 s17, s24
	s_cbranch_execz .LBB1525_231
.LBB1525_299:                           ;   in Loop: Header=BB1525_100 Depth=2
	v_dual_lshlrev_b32 v4, 2, v127 :: v_dual_add_nc_u32 v5, v10, v100
	ds_load_b32 v6, v4
	ds_load_b64 v[4:5], v5 offset:16896
	s_wait_dscnt 0x1
	v_add_nc_u32_e32 v6, v6, v79
	s_wait_dscnt 0x0
	global_store_b64 v6, v[4:5], s[44:45] scale_offset
	s_wait_xcnt 0x0
	s_or_b32 exec_lo, exec_lo, s17
	s_and_saveexec_b32 s17, s25
	s_cbranch_execz .LBB1525_232
.LBB1525_300:                           ;   in Loop: Header=BB1525_100 Depth=2
	v_dual_lshlrev_b32 v4, 2, v126 :: v_dual_add_nc_u32 v5, v10, v100
	ds_load_b32 v6, v4
	ds_load_b64 v[4:5], v5 offset:18944
	s_wait_dscnt 0x1
	v_add_nc_u32_e32 v6, v6, v80
	s_wait_dscnt 0x0
	global_store_b64 v6, v[4:5], s[44:45] scale_offset
	s_wait_xcnt 0x0
	s_or_b32 exec_lo, exec_lo, s17
	s_and_saveexec_b32 s17, s26
	s_cbranch_execz .LBB1525_233
.LBB1525_301:                           ;   in Loop: Header=BB1525_100 Depth=2
	v_dual_lshlrev_b32 v4, 2, v125 :: v_dual_add_nc_u32 v5, v10, v100
	ds_load_b32 v6, v4
	ds_load_b64 v[4:5], v5 offset:20992
	s_wait_dscnt 0x1
	v_add_nc_u32_e32 v6, v6, v81
	s_wait_dscnt 0x0
	global_store_b64 v6, v[4:5], s[44:45] scale_offset
	s_wait_xcnt 0x0
	s_or_b32 exec_lo, exec_lo, s17
	s_and_saveexec_b32 s17, s27
	s_cbranch_execz .LBB1525_234
.LBB1525_302:                           ;   in Loop: Header=BB1525_100 Depth=2
	v_lshlrev_b32_e32 v4, 2, v124
	v_add_nc_u32_e32 v5, v10, v100
	ds_load_b32 v6, v4
	ds_load_b64 v[4:5], v5 offset:23040
	s_wait_dscnt 0x1
	v_add_nc_u32_e32 v6, v6, v82
	s_wait_dscnt 0x0
	global_store_b64 v6, v[4:5], s[44:45] scale_offset
	s_wait_xcnt 0x0
	s_or_b32 exec_lo, exec_lo, s17
	s_and_saveexec_b32 s17, s28
	s_cbranch_execz .LBB1525_235
.LBB1525_303:                           ;   in Loop: Header=BB1525_100 Depth=2
	v_dual_lshlrev_b32 v4, 2, v123 :: v_dual_add_nc_u32 v5, v10, v100
	ds_load_b32 v6, v4
	ds_load_b64 v[4:5], v5 offset:25088
	s_wait_dscnt 0x1
	v_add_nc_u32_e32 v6, v6, v83
	s_wait_dscnt 0x0
	global_store_b64 v6, v[4:5], s[44:45] scale_offset
	s_wait_xcnt 0x0
	s_or_b32 exec_lo, exec_lo, s17
	s_and_saveexec_b32 s17, s29
	s_cbranch_execz .LBB1525_236
.LBB1525_304:                           ;   in Loop: Header=BB1525_100 Depth=2
	v_dual_lshlrev_b32 v4, 2, v122 :: v_dual_add_nc_u32 v5, v10, v100
	ds_load_b32 v6, v4
	ds_load_b64 v[4:5], v5 offset:27136
	s_wait_dscnt 0x1
	v_add_nc_u32_e32 v6, v6, v84
	s_wait_dscnt 0x0
	global_store_b64 v6, v[4:5], s[44:45] scale_offset
	s_wait_xcnt 0x0
	s_or_b32 exec_lo, exec_lo, s17
	s_and_saveexec_b32 s17, s30
	s_cbranch_execz .LBB1525_237
.LBB1525_305:                           ;   in Loop: Header=BB1525_100 Depth=2
	v_dual_lshlrev_b32 v4, 2, v121 :: v_dual_add_nc_u32 v5, v10, v100
	ds_load_b32 v6, v4
	ds_load_b64 v[4:5], v5 offset:29184
	s_wait_dscnt 0x1
	v_add_nc_u32_e32 v6, v6, v85
	s_wait_dscnt 0x0
	global_store_b64 v6, v[4:5], s[44:45] scale_offset
	s_wait_xcnt 0x0
	s_or_b32 exec_lo, exec_lo, s17
	s_and_saveexec_b32 s17, s31
	s_cbranch_execz .LBB1525_238
.LBB1525_306:                           ;   in Loop: Header=BB1525_100 Depth=2
	v_lshlrev_b32_e32 v4, 2, v120
	v_add_nc_u32_e32 v5, v10, v100
	ds_load_b32 v6, v4
	ds_load_b64 v[4:5], v5 offset:31232
	s_wait_dscnt 0x1
	v_add_nc_u32_e32 v6, v6, v86
	s_wait_dscnt 0x0
	global_store_b64 v6, v[4:5], s[44:45] scale_offset
	s_wait_xcnt 0x0
	s_or_b32 exec_lo, exec_lo, s17
	s_and_saveexec_b32 s17, s33
	s_cbranch_execnz .LBB1525_239
	s_branch .LBB1525_240
.LBB1525_307:                           ;   in Loop: Header=BB1525_100 Depth=2
	global_load_u8 v4, v[70:71], off
	v_dual_mov_b32 v5, v2 :: v_dual_mov_b32 v6, v2
	v_dual_mov_b32 v7, v2 :: v_dual_mov_b32 v8, v2
	s_wait_xcnt 0x0
	s_or_b32 exec_lo, exec_lo, s17
	s_delay_alu instid0(SALU_CYCLE_1)
	s_mov_b32 s17, exec_lo
	v_cmpx_gt_u32_e64 s59, v103
	s_cbranch_execz .LBB1525_105
.LBB1525_308:                           ;   in Loop: Header=BB1525_100 Depth=2
	global_load_u8 v3, v[70:71], off offset:32
	v_and_b32_e32 v8, 0xff, v8
	s_wait_loadcnt 0x0
	v_perm_b32 v4, v4, v3, 0x7060004
	s_wait_xcnt 0x0
	s_or_b32 exec_lo, exec_lo, s17
	s_delay_alu instid0(SALU_CYCLE_1)
	s_mov_b32 s17, exec_lo
	v_cmpx_gt_u32_e64 s59, v104
	s_cbranch_execz .LBB1525_106
.LBB1525_309:                           ;   in Loop: Header=BB1525_100 Depth=2
	global_load_u8 v3, v[70:71], off offset:64
	v_and_b32_e32 v8, 0xff, v8
	s_wait_loadcnt 0x0
	v_perm_b32 v4, v4, v3, 0x7000504
	s_wait_xcnt 0x0
	s_or_b32 exec_lo, exec_lo, s17
	s_delay_alu instid0(SALU_CYCLE_1)
	s_mov_b32 s17, exec_lo
	v_cmpx_gt_u32_e64 s59, v105
	s_cbranch_execz .LBB1525_107
.LBB1525_310:                           ;   in Loop: Header=BB1525_100 Depth=2
	global_load_u8 v3, v[70:71], off offset:96
	v_and_b32_e32 v8, 0xff, v8
	s_wait_loadcnt 0x0
	v_perm_b32 v4, v4, v3, 0x60504
	s_wait_xcnt 0x0
	s_or_b32 exec_lo, exec_lo, s17
	s_delay_alu instid0(SALU_CYCLE_1)
	s_mov_b32 s17, exec_lo
	v_cmpx_gt_u32_e64 s59, v106
	s_cbranch_execz .LBB1525_108
.LBB1525_311:                           ;   in Loop: Header=BB1525_100 Depth=2
	global_load_u8 v3, v[70:71], off offset:128
	v_and_b32_e32 v8, 0xff, v8
	s_wait_loadcnt 0x0
	v_perm_b32 v5, v3, v5, 0x3020104
	s_wait_xcnt 0x0
	s_or_b32 exec_lo, exec_lo, s17
	s_delay_alu instid0(SALU_CYCLE_1)
	s_mov_b32 s17, exec_lo
	v_cmpx_gt_u32_e64 s59, v107
	s_cbranch_execz .LBB1525_109
.LBB1525_312:                           ;   in Loop: Header=BB1525_100 Depth=2
	global_load_u8 v3, v[70:71], off offset:160
	v_and_b32_e32 v8, 0xff, v8
	s_wait_loadcnt 0x0
	v_perm_b32 v5, v5, v3, 0x7060004
	s_wait_xcnt 0x0
	s_or_b32 exec_lo, exec_lo, s17
	s_delay_alu instid0(SALU_CYCLE_1)
	s_mov_b32 s17, exec_lo
	v_cmpx_gt_u32_e64 s59, v108
	s_cbranch_execz .LBB1525_110
.LBB1525_313:                           ;   in Loop: Header=BB1525_100 Depth=2
	global_load_u8 v3, v[70:71], off offset:192
	v_and_b32_e32 v8, 0xff, v8
	s_wait_loadcnt 0x0
	v_perm_b32 v5, v5, v3, 0x7000504
	s_wait_xcnt 0x0
	s_or_b32 exec_lo, exec_lo, s17
	s_delay_alu instid0(SALU_CYCLE_1)
	s_mov_b32 s17, exec_lo
	v_cmpx_gt_u32_e64 s59, v109
	s_cbranch_execz .LBB1525_111
.LBB1525_314:                           ;   in Loop: Header=BB1525_100 Depth=2
	global_load_u8 v3, v[70:71], off offset:224
	v_and_b32_e32 v8, 0xff, v8
	s_wait_loadcnt 0x0
	v_perm_b32 v5, v5, v3, 0x60504
	s_wait_xcnt 0x0
	s_or_b32 exec_lo, exec_lo, s17
	s_delay_alu instid0(SALU_CYCLE_1)
	s_mov_b32 s17, exec_lo
	v_cmpx_gt_u32_e64 s59, v110
	s_cbranch_execz .LBB1525_112
.LBB1525_315:                           ;   in Loop: Header=BB1525_100 Depth=2
	global_load_u8 v3, v[70:71], off offset:256
	v_and_b32_e32 v8, 0xff, v8
	s_wait_loadcnt 0x0
	v_perm_b32 v6, v3, v6, 0x3020104
	s_wait_xcnt 0x0
	s_or_b32 exec_lo, exec_lo, s17
	s_delay_alu instid0(SALU_CYCLE_1)
	s_mov_b32 s17, exec_lo
	v_cmpx_gt_u32_e64 s59, v111
	s_cbranch_execz .LBB1525_113
.LBB1525_316:                           ;   in Loop: Header=BB1525_100 Depth=2
	global_load_u8 v3, v[70:71], off offset:288
	v_and_b32_e32 v8, 0xff, v8
	s_wait_loadcnt 0x0
	v_perm_b32 v6, v6, v3, 0x7060004
	s_wait_xcnt 0x0
	s_or_b32 exec_lo, exec_lo, s17
	s_delay_alu instid0(SALU_CYCLE_1)
	s_mov_b32 s17, exec_lo
	v_cmpx_gt_u32_e64 s59, v112
	s_cbranch_execz .LBB1525_114
.LBB1525_317:                           ;   in Loop: Header=BB1525_100 Depth=2
	global_load_u8 v3, v[70:71], off offset:320
	v_and_b32_e32 v8, 0xff, v8
	s_wait_loadcnt 0x0
	v_perm_b32 v6, v6, v3, 0x7000504
	s_wait_xcnt 0x0
	s_or_b32 exec_lo, exec_lo, s17
	s_delay_alu instid0(SALU_CYCLE_1)
	s_mov_b32 s17, exec_lo
	v_cmpx_gt_u32_e64 s59, v113
	s_cbranch_execz .LBB1525_115
.LBB1525_318:                           ;   in Loop: Header=BB1525_100 Depth=2
	global_load_u8 v3, v[70:71], off offset:352
	v_and_b32_e32 v8, 0xff, v8
	s_wait_loadcnt 0x0
	v_perm_b32 v6, v6, v3, 0x60504
	s_wait_xcnt 0x0
	s_or_b32 exec_lo, exec_lo, s17
	s_delay_alu instid0(SALU_CYCLE_1)
	s_mov_b32 s17, exec_lo
	v_cmpx_gt_u32_e64 s59, v114
	s_cbranch_execz .LBB1525_116
.LBB1525_319:                           ;   in Loop: Header=BB1525_100 Depth=2
	global_load_u8 v3, v[70:71], off offset:384
	v_and_b32_e32 v8, 0xff, v8
	s_wait_loadcnt 0x0
	v_perm_b32 v7, v3, v7, 0x3020104
	s_wait_xcnt 0x0
	s_or_b32 exec_lo, exec_lo, s17
	s_delay_alu instid0(SALU_CYCLE_1)
	s_mov_b32 s17, exec_lo
	v_cmpx_gt_u32_e64 s59, v115
	s_cbranch_execz .LBB1525_117
.LBB1525_320:                           ;   in Loop: Header=BB1525_100 Depth=2
	global_load_u8 v3, v[70:71], off offset:416
	v_and_b32_e32 v8, 0xff, v8
	s_wait_loadcnt 0x0
	v_perm_b32 v7, v7, v3, 0x7060004
	s_wait_xcnt 0x0
	s_or_b32 exec_lo, exec_lo, s17
	s_delay_alu instid0(SALU_CYCLE_1)
	s_mov_b32 s17, exec_lo
	v_cmpx_gt_u32_e64 s59, v116
	s_cbranch_execz .LBB1525_118
.LBB1525_321:                           ;   in Loop: Header=BB1525_100 Depth=2
	global_load_u8 v3, v[70:71], off offset:448
	v_and_b32_e32 v8, 0xff, v8
	s_wait_loadcnt 0x0
	v_perm_b32 v7, v7, v3, 0x7000504
	s_wait_xcnt 0x0
	s_or_b32 exec_lo, exec_lo, s17
	s_delay_alu instid0(SALU_CYCLE_1)
	s_mov_b32 s17, exec_lo
	v_cmpx_gt_u32_e64 s59, v117
	s_cbranch_execnz .LBB1525_119
	s_branch .LBB1525_120
.LBB1525_322:                           ;   in Loop: Header=BB1525_12 Depth=1
	s_wait_dscnt 0x0
	s_barrier_signal -1
	s_mov_b32 s8, 0
	s_barrier_wait -1
.LBB1525_323:                           ;   in Loop: Header=BB1525_12 Depth=1
	s_and_b32 vcc_lo, exec_lo, s8
	s_cbranch_vccz .LBB1525_633
; %bb.324:                              ;   in Loop: Header=BB1525_12 Depth=1
	v_dual_mov_b32 v40, 0 :: v_dual_mov_b32 v43, 0
	v_dual_mov_b32 v42, 0 :: v_dual_mov_b32 v41, 0
	;; [unrolled: 1-line block ×8, first 2 shown]
	v_mov_b32_e32 v3, 0
	s_mov_b32 s8, s56
	s_mov_b32 s42, s54
	s_barrier_signal -1
	s_barrier_wait -1
	s_branch .LBB1525_326
.LBB1525_325:                           ;   in Loop: Header=BB1525_326 Depth=2
	s_or_b32 exec_lo, exec_lo, s10
	s_addk_co_i32 s8, 0xef00
	s_cmp_ge_u32 s9, s51
	s_mov_b32 s42, s9
	s_cbranch_scc1 .LBB1525_398
.LBB1525_326:                           ;   Parent Loop BB1525_12 Depth=1
                                        ; =>  This Inner Loop Header: Depth=2
	s_add_co_i32 s9, s42, 0x1100
	s_mov_b32 s10, -1
	s_cmp_gt_u32 s9, s51
                                        ; implicit-def: $vgpr4
                                        ; implicit-def: $vgpr5
                                        ; implicit-def: $vgpr44
                                        ; implicit-def: $vgpr45
                                        ; implicit-def: $vgpr46
                                        ; implicit-def: $vgpr47
                                        ; implicit-def: $vgpr48
                                        ; implicit-def: $vgpr49
                                        ; implicit-def: $vgpr50
                                        ; implicit-def: $vgpr51
                                        ; implicit-def: $vgpr52
                                        ; implicit-def: $vgpr53
                                        ; implicit-def: $vgpr54
                                        ; implicit-def: $vgpr55
                                        ; implicit-def: $vgpr56
                                        ; implicit-def: $vgpr57
                                        ; implicit-def: $vgpr58
	s_cbranch_scc1 .LBB1525_328
; %bb.327:                              ;   in Loop: Header=BB1525_326 Depth=2
	v_add_nc_u64_e32 v[60:61], s[42:43], v[18:19]
	s_mov_b32 s10, 0
	s_clause 0x10
	global_load_u8 v58, v[60:61], off offset:4096
	global_load_u8 v57, v[60:61], off offset:3840
	;; [unrolled: 1-line block ×16, first 2 shown]
	global_load_u8 v4, v[60:61], off
.LBB1525_328:                           ;   in Loop: Header=BB1525_326 Depth=2
	s_and_not1_b32 vcc_lo, exec_lo, s10
	s_movk_i32 s10, 0x1100
	s_cbranch_vccnz .LBB1525_348
; %bb.329:                              ;   in Loop: Header=BB1525_326 Depth=2
	s_add_nc_u64 s[10:11], s[38:39], s[42:43]
	s_wait_loadcnt 0x0
	v_add_nc_u64_e32 v[4:5], s[10:11], v[10:11]
	s_mov_b32 s10, exec_lo
	s_wait_xcnt 0x0
	v_cmpx_gt_u32_e64 s8, v10
	s_cbranch_execnz .LBB1525_382
; %bb.330:                              ;   in Loop: Header=BB1525_326 Depth=2
	s_or_b32 exec_lo, exec_lo, s10
	s_delay_alu instid0(SALU_CYCLE_1)
	s_mov_b32 s10, exec_lo
	v_cmpx_gt_u32_e64 s8, v72
	s_cbranch_execnz .LBB1525_383
.LBB1525_331:                           ;   in Loop: Header=BB1525_326 Depth=2
	s_or_b32 exec_lo, exec_lo, s10
	s_delay_alu instid0(SALU_CYCLE_1)
	s_mov_b32 s10, exec_lo
	v_cmpx_gt_u32_e64 s8, v73
	s_cbranch_execnz .LBB1525_384
.LBB1525_332:                           ;   in Loop: Header=BB1525_326 Depth=2
	s_or_b32 exec_lo, exec_lo, s10
	s_delay_alu instid0(SALU_CYCLE_1)
	s_mov_b32 s10, exec_lo
	v_cmpx_gt_u32_e64 s8, v74
	s_cbranch_execnz .LBB1525_385
.LBB1525_333:                           ;   in Loop: Header=BB1525_326 Depth=2
	s_or_b32 exec_lo, exec_lo, s10
	s_delay_alu instid0(SALU_CYCLE_1)
	s_mov_b32 s10, exec_lo
	v_cmpx_gt_u32_e64 s8, v75
	s_cbranch_execnz .LBB1525_386
.LBB1525_334:                           ;   in Loop: Header=BB1525_326 Depth=2
	s_or_b32 exec_lo, exec_lo, s10
	s_delay_alu instid0(SALU_CYCLE_1)
	s_mov_b32 s10, exec_lo
	v_cmpx_gt_u32_e64 s8, v76
	s_cbranch_execnz .LBB1525_387
.LBB1525_335:                           ;   in Loop: Header=BB1525_326 Depth=2
	s_or_b32 exec_lo, exec_lo, s10
	s_delay_alu instid0(SALU_CYCLE_1)
	s_mov_b32 s10, exec_lo
	v_cmpx_gt_u32_e64 s8, v77
	s_cbranch_execnz .LBB1525_388
.LBB1525_336:                           ;   in Loop: Header=BB1525_326 Depth=2
	s_or_b32 exec_lo, exec_lo, s10
	s_delay_alu instid0(SALU_CYCLE_1)
	s_mov_b32 s10, exec_lo
	v_cmpx_gt_u32_e64 s8, v78
	s_cbranch_execnz .LBB1525_389
.LBB1525_337:                           ;   in Loop: Header=BB1525_326 Depth=2
	s_or_b32 exec_lo, exec_lo, s10
	s_delay_alu instid0(SALU_CYCLE_1)
	s_mov_b32 s10, exec_lo
	v_cmpx_gt_u32_e64 s8, v79
	s_cbranch_execnz .LBB1525_390
.LBB1525_338:                           ;   in Loop: Header=BB1525_326 Depth=2
	s_or_b32 exec_lo, exec_lo, s10
	s_delay_alu instid0(SALU_CYCLE_1)
	s_mov_b32 s10, exec_lo
	v_cmpx_gt_u32_e64 s8, v80
	s_cbranch_execnz .LBB1525_391
.LBB1525_339:                           ;   in Loop: Header=BB1525_326 Depth=2
	s_or_b32 exec_lo, exec_lo, s10
	s_delay_alu instid0(SALU_CYCLE_1)
	s_mov_b32 s10, exec_lo
	v_cmpx_gt_u32_e64 s8, v81
	s_cbranch_execnz .LBB1525_392
.LBB1525_340:                           ;   in Loop: Header=BB1525_326 Depth=2
	s_or_b32 exec_lo, exec_lo, s10
	s_delay_alu instid0(SALU_CYCLE_1)
	s_mov_b32 s10, exec_lo
	v_cmpx_gt_u32_e64 s8, v82
	s_cbranch_execnz .LBB1525_393
.LBB1525_341:                           ;   in Loop: Header=BB1525_326 Depth=2
	s_or_b32 exec_lo, exec_lo, s10
	s_delay_alu instid0(SALU_CYCLE_1)
	s_mov_b32 s10, exec_lo
	v_cmpx_gt_u32_e64 s8, v83
	s_cbranch_execnz .LBB1525_394
.LBB1525_342:                           ;   in Loop: Header=BB1525_326 Depth=2
	s_or_b32 exec_lo, exec_lo, s10
	s_delay_alu instid0(SALU_CYCLE_1)
	s_mov_b32 s10, exec_lo
	v_cmpx_gt_u32_e64 s8, v84
	s_cbranch_execnz .LBB1525_395
.LBB1525_343:                           ;   in Loop: Header=BB1525_326 Depth=2
	s_or_b32 exec_lo, exec_lo, s10
	s_delay_alu instid0(SALU_CYCLE_1)
	s_mov_b32 s10, exec_lo
	v_cmpx_gt_u32_e64 s8, v85
	s_cbranch_execnz .LBB1525_396
.LBB1525_344:                           ;   in Loop: Header=BB1525_326 Depth=2
	s_or_b32 exec_lo, exec_lo, s10
	s_delay_alu instid0(SALU_CYCLE_1)
	s_mov_b32 s10, exec_lo
	v_cmpx_gt_u32_e64 s8, v86
	s_cbranch_execnz .LBB1525_397
.LBB1525_345:                           ;   in Loop: Header=BB1525_326 Depth=2
	s_or_b32 exec_lo, exec_lo, s10
	s_delay_alu instid0(SALU_CYCLE_1)
	s_mov_b32 s10, exec_lo
	v_cmpx_gt_u32_e64 s8, v87
	s_cbranch_execz .LBB1525_347
.LBB1525_346:                           ;   in Loop: Header=BB1525_326 Depth=2
	global_load_u8 v3, v[4:5], off offset:4096
.LBB1525_347:                           ;   in Loop: Header=BB1525_326 Depth=2
	s_wait_xcnt 0x0
	s_or_b32 exec_lo, exec_lo, s10
	s_wait_loadcnt 0x0
	v_dual_mov_b32 v4, v40 :: v_dual_mov_b32 v5, v43
	v_dual_mov_b32 v44, v42 :: v_dual_mov_b32 v45, v41
	;; [unrolled: 1-line block ×8, first 2 shown]
	v_mov_b32_e32 v58, v3
	s_mov_b32 s10, s8
.LBB1525_348:                           ;   in Loop: Header=BB1525_326 Depth=2
	s_wait_loadcnt 0xf
	s_delay_alu instid0(VALU_DEP_1)
	v_dual_mov_b32 v3, v58 :: v_dual_mov_b32 v6, v57
	s_wait_loadcnt 0xd
	v_dual_mov_b32 v7, v56 :: v_dual_mov_b32 v8, v55
	s_wait_loadcnt 0xb
	;; [unrolled: 2-line block ×8, first 2 shown]
	v_mov_b32_e32 v40, v4
	s_mov_b32 s11, exec_lo
	s_wait_xcnt 0x0
	v_cmpx_gt_u32_e64 s10, v10
	s_cbranch_execnz .LBB1525_365
; %bb.349:                              ;   in Loop: Header=BB1525_326 Depth=2
	s_or_b32 exec_lo, exec_lo, s11
	s_delay_alu instid0(SALU_CYCLE_1)
	s_mov_b32 s11, exec_lo
	v_cmpx_gt_u32_e64 s10, v72
	s_cbranch_execnz .LBB1525_366
.LBB1525_350:                           ;   in Loop: Header=BB1525_326 Depth=2
	s_or_b32 exec_lo, exec_lo, s11
	s_delay_alu instid0(SALU_CYCLE_1)
	s_mov_b32 s11, exec_lo
	v_cmpx_gt_u32_e64 s10, v73
	s_cbranch_execnz .LBB1525_367
.LBB1525_351:                           ;   in Loop: Header=BB1525_326 Depth=2
	s_or_b32 exec_lo, exec_lo, s11
	s_delay_alu instid0(SALU_CYCLE_1)
	s_mov_b32 s11, exec_lo
	v_cmpx_gt_u32_e64 s10, v74
	s_cbranch_execnz .LBB1525_368
.LBB1525_352:                           ;   in Loop: Header=BB1525_326 Depth=2
	s_or_b32 exec_lo, exec_lo, s11
	s_delay_alu instid0(SALU_CYCLE_1)
	s_mov_b32 s11, exec_lo
	v_cmpx_gt_u32_e64 s10, v75
	s_cbranch_execnz .LBB1525_369
.LBB1525_353:                           ;   in Loop: Header=BB1525_326 Depth=2
	s_or_b32 exec_lo, exec_lo, s11
	s_delay_alu instid0(SALU_CYCLE_1)
	s_mov_b32 s11, exec_lo
	v_cmpx_gt_u32_e64 s10, v76
	s_cbranch_execnz .LBB1525_370
.LBB1525_354:                           ;   in Loop: Header=BB1525_326 Depth=2
	s_or_b32 exec_lo, exec_lo, s11
	s_delay_alu instid0(SALU_CYCLE_1)
	s_mov_b32 s11, exec_lo
	v_cmpx_gt_u32_e64 s10, v77
	s_cbranch_execnz .LBB1525_371
.LBB1525_355:                           ;   in Loop: Header=BB1525_326 Depth=2
	s_or_b32 exec_lo, exec_lo, s11
	s_delay_alu instid0(SALU_CYCLE_1)
	s_mov_b32 s11, exec_lo
	v_cmpx_gt_u32_e64 s10, v78
	s_cbranch_execnz .LBB1525_372
.LBB1525_356:                           ;   in Loop: Header=BB1525_326 Depth=2
	s_or_b32 exec_lo, exec_lo, s11
	s_delay_alu instid0(SALU_CYCLE_1)
	s_mov_b32 s11, exec_lo
	v_cmpx_gt_u32_e64 s10, v79
	s_cbranch_execnz .LBB1525_373
.LBB1525_357:                           ;   in Loop: Header=BB1525_326 Depth=2
	s_or_b32 exec_lo, exec_lo, s11
	s_delay_alu instid0(SALU_CYCLE_1)
	s_mov_b32 s11, exec_lo
	v_cmpx_gt_u32_e64 s10, v80
	s_cbranch_execnz .LBB1525_374
.LBB1525_358:                           ;   in Loop: Header=BB1525_326 Depth=2
	s_or_b32 exec_lo, exec_lo, s11
	s_delay_alu instid0(SALU_CYCLE_1)
	s_mov_b32 s11, exec_lo
	v_cmpx_gt_u32_e64 s10, v81
	s_cbranch_execnz .LBB1525_375
.LBB1525_359:                           ;   in Loop: Header=BB1525_326 Depth=2
	s_or_b32 exec_lo, exec_lo, s11
	s_delay_alu instid0(SALU_CYCLE_1)
	s_mov_b32 s11, exec_lo
	v_cmpx_gt_u32_e64 s10, v82
	s_cbranch_execnz .LBB1525_376
.LBB1525_360:                           ;   in Loop: Header=BB1525_326 Depth=2
	s_or_b32 exec_lo, exec_lo, s11
	s_delay_alu instid0(SALU_CYCLE_1)
	s_mov_b32 s11, exec_lo
	v_cmpx_gt_u32_e64 s10, v83
	s_cbranch_execnz .LBB1525_377
.LBB1525_361:                           ;   in Loop: Header=BB1525_326 Depth=2
	s_or_b32 exec_lo, exec_lo, s11
	s_delay_alu instid0(SALU_CYCLE_1)
	s_mov_b32 s11, exec_lo
	v_cmpx_gt_u32_e64 s10, v84
	s_cbranch_execnz .LBB1525_378
.LBB1525_362:                           ;   in Loop: Header=BB1525_326 Depth=2
	s_or_b32 exec_lo, exec_lo, s11
	s_delay_alu instid0(SALU_CYCLE_1)
	s_mov_b32 s11, exec_lo
	v_cmpx_gt_u32_e64 s10, v85
	s_cbranch_execnz .LBB1525_379
.LBB1525_363:                           ;   in Loop: Header=BB1525_326 Depth=2
	s_or_b32 exec_lo, exec_lo, s11
	s_delay_alu instid0(SALU_CYCLE_1)
	s_mov_b32 s11, exec_lo
	v_cmpx_gt_u32_e64 s10, v86
	s_cbranch_execnz .LBB1525_380
.LBB1525_364:                           ;   in Loop: Header=BB1525_326 Depth=2
	s_or_b32 exec_lo, exec_lo, s11
	v_cmp_gt_u32_e32 vcc_lo, s10, v87
	s_and_saveexec_b32 s10, vcc_lo
	s_cbranch_execz .LBB1525_325
	s_branch .LBB1525_381
.LBB1525_365:                           ;   in Loop: Header=BB1525_326 Depth=2
	v_bitop3_b16 v4, v40, 1, v40 bitop3:0xc
	s_delay_alu instid0(VALU_DEP_1) | instskip(NEXT) | instid1(VALU_DEP_1)
	v_and_b32_e32 v4, 0xffff, v4
	v_lshrrev_b32_e32 v4, s57, v4
	s_delay_alu instid0(VALU_DEP_1) | instskip(NEXT) | instid1(VALU_DEP_1)
	v_and_b32_e32 v4, s58, v4
	v_lshl_or_b32 v4, v4, 4, v89
	ds_add_u32 v4, v15
	s_or_b32 exec_lo, exec_lo, s11
	s_delay_alu instid0(SALU_CYCLE_1)
	s_mov_b32 s11, exec_lo
	v_cmpx_gt_u32_e64 s10, v72
	s_cbranch_execz .LBB1525_350
.LBB1525_366:                           ;   in Loop: Header=BB1525_326 Depth=2
	v_bitop3_b16 v4, v43, 1, v43 bitop3:0xc
	s_delay_alu instid0(VALU_DEP_1) | instskip(NEXT) | instid1(VALU_DEP_1)
	v_and_b32_e32 v4, 0xffff, v4
	v_lshrrev_b32_e32 v4, s57, v4
	s_delay_alu instid0(VALU_DEP_1) | instskip(NEXT) | instid1(VALU_DEP_1)
	v_and_b32_e32 v4, s58, v4
	v_lshl_or_b32 v4, v4, 4, v89
	ds_add_u32 v4, v15
	s_or_b32 exec_lo, exec_lo, s11
	s_delay_alu instid0(SALU_CYCLE_1)
	s_mov_b32 s11, exec_lo
	v_cmpx_gt_u32_e64 s10, v73
	s_cbranch_execz .LBB1525_351
.LBB1525_367:                           ;   in Loop: Header=BB1525_326 Depth=2
	v_bitop3_b16 v4, v42, 1, v42 bitop3:0xc
	s_delay_alu instid0(VALU_DEP_1) | instskip(NEXT) | instid1(VALU_DEP_1)
	v_and_b32_e32 v4, 0xffff, v4
	v_lshrrev_b32_e32 v4, s57, v4
	s_delay_alu instid0(VALU_DEP_1) | instskip(NEXT) | instid1(VALU_DEP_1)
	v_and_b32_e32 v4, s58, v4
	v_lshl_or_b32 v4, v4, 4, v89
	ds_add_u32 v4, v15
	s_or_b32 exec_lo, exec_lo, s11
	s_delay_alu instid0(SALU_CYCLE_1)
	s_mov_b32 s11, exec_lo
	v_cmpx_gt_u32_e64 s10, v74
	s_cbranch_execz .LBB1525_352
.LBB1525_368:                           ;   in Loop: Header=BB1525_326 Depth=2
	v_bitop3_b16 v4, v41, 1, v41 bitop3:0xc
	s_delay_alu instid0(VALU_DEP_1) | instskip(NEXT) | instid1(VALU_DEP_1)
	v_and_b32_e32 v4, 0xffff, v4
	v_lshrrev_b32_e32 v4, s57, v4
	s_delay_alu instid0(VALU_DEP_1) | instskip(NEXT) | instid1(VALU_DEP_1)
	v_and_b32_e32 v4, s58, v4
	v_lshl_or_b32 v4, v4, 4, v89
	ds_add_u32 v4, v15
	s_or_b32 exec_lo, exec_lo, s11
	s_delay_alu instid0(SALU_CYCLE_1)
	s_mov_b32 s11, exec_lo
	v_cmpx_gt_u32_e64 s10, v75
	s_cbranch_execz .LBB1525_353
.LBB1525_369:                           ;   in Loop: Header=BB1525_326 Depth=2
	v_bitop3_b16 v4, v39, 1, v39 bitop3:0xc
	s_delay_alu instid0(VALU_DEP_1) | instskip(NEXT) | instid1(VALU_DEP_1)
	v_and_b32_e32 v4, 0xffff, v4
	v_lshrrev_b32_e32 v4, s57, v4
	s_delay_alu instid0(VALU_DEP_1) | instskip(NEXT) | instid1(VALU_DEP_1)
	v_and_b32_e32 v4, s58, v4
	v_lshl_or_b32 v4, v4, 4, v89
	ds_add_u32 v4, v15
	s_or_b32 exec_lo, exec_lo, s11
	s_delay_alu instid0(SALU_CYCLE_1)
	s_mov_b32 s11, exec_lo
	v_cmpx_gt_u32_e64 s10, v76
	s_cbranch_execz .LBB1525_354
.LBB1525_370:                           ;   in Loop: Header=BB1525_326 Depth=2
	v_bitop3_b16 v4, v38, 1, v38 bitop3:0xc
	s_delay_alu instid0(VALU_DEP_1) | instskip(NEXT) | instid1(VALU_DEP_1)
	v_and_b32_e32 v4, 0xffff, v4
	v_lshrrev_b32_e32 v4, s57, v4
	s_delay_alu instid0(VALU_DEP_1) | instskip(NEXT) | instid1(VALU_DEP_1)
	v_and_b32_e32 v4, s58, v4
	v_lshl_or_b32 v4, v4, 4, v89
	ds_add_u32 v4, v15
	s_or_b32 exec_lo, exec_lo, s11
	s_delay_alu instid0(SALU_CYCLE_1)
	s_mov_b32 s11, exec_lo
	v_cmpx_gt_u32_e64 s10, v77
	s_cbranch_execz .LBB1525_355
.LBB1525_371:                           ;   in Loop: Header=BB1525_326 Depth=2
	v_bitop3_b16 v4, v37, 1, v37 bitop3:0xc
	s_delay_alu instid0(VALU_DEP_1) | instskip(NEXT) | instid1(VALU_DEP_1)
	v_and_b32_e32 v4, 0xffff, v4
	v_lshrrev_b32_e32 v4, s57, v4
	s_delay_alu instid0(VALU_DEP_1) | instskip(NEXT) | instid1(VALU_DEP_1)
	v_and_b32_e32 v4, s58, v4
	v_lshl_or_b32 v4, v4, 4, v89
	ds_add_u32 v4, v15
	s_or_b32 exec_lo, exec_lo, s11
	s_delay_alu instid0(SALU_CYCLE_1)
	s_mov_b32 s11, exec_lo
	v_cmpx_gt_u32_e64 s10, v78
	s_cbranch_execz .LBB1525_356
.LBB1525_372:                           ;   in Loop: Header=BB1525_326 Depth=2
	v_bitop3_b16 v4, v36, 1, v36 bitop3:0xc
	s_delay_alu instid0(VALU_DEP_1) | instskip(NEXT) | instid1(VALU_DEP_1)
	v_and_b32_e32 v4, 0xffff, v4
	v_lshrrev_b32_e32 v4, s57, v4
	s_delay_alu instid0(VALU_DEP_1) | instskip(NEXT) | instid1(VALU_DEP_1)
	v_and_b32_e32 v4, s58, v4
	v_lshl_or_b32 v4, v4, 4, v89
	ds_add_u32 v4, v15
	s_or_b32 exec_lo, exec_lo, s11
	s_delay_alu instid0(SALU_CYCLE_1)
	s_mov_b32 s11, exec_lo
	v_cmpx_gt_u32_e64 s10, v79
	s_cbranch_execz .LBB1525_357
.LBB1525_373:                           ;   in Loop: Header=BB1525_326 Depth=2
	v_bitop3_b16 v4, v35, 1, v35 bitop3:0xc
	s_delay_alu instid0(VALU_DEP_1) | instskip(NEXT) | instid1(VALU_DEP_1)
	v_and_b32_e32 v4, 0xffff, v4
	v_lshrrev_b32_e32 v4, s57, v4
	s_delay_alu instid0(VALU_DEP_1) | instskip(NEXT) | instid1(VALU_DEP_1)
	v_and_b32_e32 v4, s58, v4
	v_lshl_or_b32 v4, v4, 4, v89
	ds_add_u32 v4, v15
	s_or_b32 exec_lo, exec_lo, s11
	s_delay_alu instid0(SALU_CYCLE_1)
	s_mov_b32 s11, exec_lo
	v_cmpx_gt_u32_e64 s10, v80
	s_cbranch_execz .LBB1525_358
.LBB1525_374:                           ;   in Loop: Header=BB1525_326 Depth=2
	v_bitop3_b16 v4, v34, 1, v34 bitop3:0xc
	s_delay_alu instid0(VALU_DEP_1) | instskip(NEXT) | instid1(VALU_DEP_1)
	v_and_b32_e32 v4, 0xffff, v4
	v_lshrrev_b32_e32 v4, s57, v4
	s_delay_alu instid0(VALU_DEP_1) | instskip(NEXT) | instid1(VALU_DEP_1)
	v_and_b32_e32 v4, s58, v4
	v_lshl_or_b32 v4, v4, 4, v89
	ds_add_u32 v4, v15
	s_or_b32 exec_lo, exec_lo, s11
	s_delay_alu instid0(SALU_CYCLE_1)
	s_mov_b32 s11, exec_lo
	v_cmpx_gt_u32_e64 s10, v81
	s_cbranch_execz .LBB1525_359
.LBB1525_375:                           ;   in Loop: Header=BB1525_326 Depth=2
	v_bitop3_b16 v4, v33, 1, v33 bitop3:0xc
	s_delay_alu instid0(VALU_DEP_1) | instskip(NEXT) | instid1(VALU_DEP_1)
	v_and_b32_e32 v4, 0xffff, v4
	v_lshrrev_b32_e32 v4, s57, v4
	s_delay_alu instid0(VALU_DEP_1) | instskip(NEXT) | instid1(VALU_DEP_1)
	v_and_b32_e32 v4, s58, v4
	v_lshl_or_b32 v4, v4, 4, v89
	ds_add_u32 v4, v15
	s_or_b32 exec_lo, exec_lo, s11
	s_delay_alu instid0(SALU_CYCLE_1)
	s_mov_b32 s11, exec_lo
	v_cmpx_gt_u32_e64 s10, v82
	s_cbranch_execz .LBB1525_360
.LBB1525_376:                           ;   in Loop: Header=BB1525_326 Depth=2
	v_bitop3_b16 v4, v32, 1, v32 bitop3:0xc
	s_delay_alu instid0(VALU_DEP_1) | instskip(NEXT) | instid1(VALU_DEP_1)
	v_and_b32_e32 v4, 0xffff, v4
	v_lshrrev_b32_e32 v4, s57, v4
	s_delay_alu instid0(VALU_DEP_1) | instskip(NEXT) | instid1(VALU_DEP_1)
	v_and_b32_e32 v4, s58, v4
	v_lshl_or_b32 v4, v4, 4, v89
	ds_add_u32 v4, v15
	s_or_b32 exec_lo, exec_lo, s11
	s_delay_alu instid0(SALU_CYCLE_1)
	s_mov_b32 s11, exec_lo
	v_cmpx_gt_u32_e64 s10, v83
	s_cbranch_execz .LBB1525_361
.LBB1525_377:                           ;   in Loop: Header=BB1525_326 Depth=2
	v_bitop3_b16 v4, v31, 1, v31 bitop3:0xc
	s_delay_alu instid0(VALU_DEP_1) | instskip(NEXT) | instid1(VALU_DEP_1)
	v_and_b32_e32 v4, 0xffff, v4
	v_lshrrev_b32_e32 v4, s57, v4
	s_delay_alu instid0(VALU_DEP_1) | instskip(NEXT) | instid1(VALU_DEP_1)
	v_and_b32_e32 v4, s58, v4
	v_lshl_or_b32 v4, v4, 4, v89
	ds_add_u32 v4, v15
	s_or_b32 exec_lo, exec_lo, s11
	s_delay_alu instid0(SALU_CYCLE_1)
	s_mov_b32 s11, exec_lo
	v_cmpx_gt_u32_e64 s10, v84
	s_cbranch_execz .LBB1525_362
.LBB1525_378:                           ;   in Loop: Header=BB1525_326 Depth=2
	v_bitop3_b16 v4, v8, 1, v8 bitop3:0xc
	s_delay_alu instid0(VALU_DEP_1) | instskip(NEXT) | instid1(VALU_DEP_1)
	v_and_b32_e32 v4, 0xffff, v4
	v_lshrrev_b32_e32 v4, s57, v4
	s_delay_alu instid0(VALU_DEP_1) | instskip(NEXT) | instid1(VALU_DEP_1)
	v_and_b32_e32 v4, s58, v4
	v_lshl_or_b32 v4, v4, 4, v89
	ds_add_u32 v4, v15
	s_or_b32 exec_lo, exec_lo, s11
	s_delay_alu instid0(SALU_CYCLE_1)
	s_mov_b32 s11, exec_lo
	v_cmpx_gt_u32_e64 s10, v85
	s_cbranch_execz .LBB1525_363
.LBB1525_379:                           ;   in Loop: Header=BB1525_326 Depth=2
	v_bitop3_b16 v4, v7, 1, v7 bitop3:0xc
	s_delay_alu instid0(VALU_DEP_1) | instskip(NEXT) | instid1(VALU_DEP_1)
	v_and_b32_e32 v4, 0xffff, v4
	v_lshrrev_b32_e32 v4, s57, v4
	s_delay_alu instid0(VALU_DEP_1) | instskip(NEXT) | instid1(VALU_DEP_1)
	v_and_b32_e32 v4, s58, v4
	v_lshl_or_b32 v4, v4, 4, v89
	ds_add_u32 v4, v15
	s_or_b32 exec_lo, exec_lo, s11
	s_delay_alu instid0(SALU_CYCLE_1)
	s_mov_b32 s11, exec_lo
	v_cmpx_gt_u32_e64 s10, v86
	s_cbranch_execz .LBB1525_364
.LBB1525_380:                           ;   in Loop: Header=BB1525_326 Depth=2
	v_bitop3_b16 v4, v6, 1, v6 bitop3:0xc
	s_delay_alu instid0(VALU_DEP_1) | instskip(NEXT) | instid1(VALU_DEP_1)
	v_and_b32_e32 v4, 0xffff, v4
	v_lshrrev_b32_e32 v4, s57, v4
	s_delay_alu instid0(VALU_DEP_1) | instskip(NEXT) | instid1(VALU_DEP_1)
	v_and_b32_e32 v4, s58, v4
	v_lshl_or_b32 v4, v4, 4, v89
	ds_add_u32 v4, v15
	s_or_b32 exec_lo, exec_lo, s11
	v_cmp_gt_u32_e32 vcc_lo, s10, v87
	s_and_saveexec_b32 s10, vcc_lo
	s_cbranch_execz .LBB1525_325
.LBB1525_381:                           ;   in Loop: Header=BB1525_326 Depth=2
	v_bitop3_b16 v4, v3, 1, v3 bitop3:0xc
	s_delay_alu instid0(VALU_DEP_1) | instskip(NEXT) | instid1(VALU_DEP_1)
	v_and_b32_e32 v4, 0xffff, v4
	v_lshrrev_b32_e32 v4, s57, v4
	s_delay_alu instid0(VALU_DEP_1) | instskip(NEXT) | instid1(VALU_DEP_1)
	v_and_b32_e32 v4, s58, v4
	v_lshl_or_b32 v4, v4, 4, v89
	ds_add_u32 v4, v15
	s_branch .LBB1525_325
.LBB1525_382:                           ;   in Loop: Header=BB1525_326 Depth=2
	global_load_u8 v40, v[4:5], off
	s_wait_xcnt 0x0
	s_or_b32 exec_lo, exec_lo, s10
	s_delay_alu instid0(SALU_CYCLE_1)
	s_mov_b32 s10, exec_lo
	v_cmpx_gt_u32_e64 s8, v72
	s_cbranch_execz .LBB1525_331
.LBB1525_383:                           ;   in Loop: Header=BB1525_326 Depth=2
	global_load_u8 v43, v[4:5], off offset:256
	s_wait_xcnt 0x0
	s_or_b32 exec_lo, exec_lo, s10
	s_delay_alu instid0(SALU_CYCLE_1)
	s_mov_b32 s10, exec_lo
	v_cmpx_gt_u32_e64 s8, v73
	s_cbranch_execz .LBB1525_332
.LBB1525_384:                           ;   in Loop: Header=BB1525_326 Depth=2
	global_load_u8 v42, v[4:5], off offset:512
	s_wait_xcnt 0x0
	s_or_b32 exec_lo, exec_lo, s10
	s_delay_alu instid0(SALU_CYCLE_1)
	s_mov_b32 s10, exec_lo
	v_cmpx_gt_u32_e64 s8, v74
	s_cbranch_execz .LBB1525_333
.LBB1525_385:                           ;   in Loop: Header=BB1525_326 Depth=2
	global_load_u8 v41, v[4:5], off offset:768
	s_wait_xcnt 0x0
	s_or_b32 exec_lo, exec_lo, s10
	s_delay_alu instid0(SALU_CYCLE_1)
	s_mov_b32 s10, exec_lo
	v_cmpx_gt_u32_e64 s8, v75
	s_cbranch_execz .LBB1525_334
.LBB1525_386:                           ;   in Loop: Header=BB1525_326 Depth=2
	global_load_u8 v39, v[4:5], off offset:1024
	s_wait_xcnt 0x0
	s_or_b32 exec_lo, exec_lo, s10
	s_delay_alu instid0(SALU_CYCLE_1)
	s_mov_b32 s10, exec_lo
	v_cmpx_gt_u32_e64 s8, v76
	s_cbranch_execz .LBB1525_335
.LBB1525_387:                           ;   in Loop: Header=BB1525_326 Depth=2
	global_load_u8 v38, v[4:5], off offset:1280
	s_wait_xcnt 0x0
	s_or_b32 exec_lo, exec_lo, s10
	s_delay_alu instid0(SALU_CYCLE_1)
	s_mov_b32 s10, exec_lo
	v_cmpx_gt_u32_e64 s8, v77
	s_cbranch_execz .LBB1525_336
.LBB1525_388:                           ;   in Loop: Header=BB1525_326 Depth=2
	global_load_u8 v37, v[4:5], off offset:1536
	s_wait_xcnt 0x0
	s_or_b32 exec_lo, exec_lo, s10
	s_delay_alu instid0(SALU_CYCLE_1)
	s_mov_b32 s10, exec_lo
	v_cmpx_gt_u32_e64 s8, v78
	s_cbranch_execz .LBB1525_337
.LBB1525_389:                           ;   in Loop: Header=BB1525_326 Depth=2
	global_load_u8 v36, v[4:5], off offset:1792
	s_wait_xcnt 0x0
	s_or_b32 exec_lo, exec_lo, s10
	s_delay_alu instid0(SALU_CYCLE_1)
	s_mov_b32 s10, exec_lo
	v_cmpx_gt_u32_e64 s8, v79
	s_cbranch_execz .LBB1525_338
.LBB1525_390:                           ;   in Loop: Header=BB1525_326 Depth=2
	global_load_u8 v35, v[4:5], off offset:2048
	s_wait_xcnt 0x0
	s_or_b32 exec_lo, exec_lo, s10
	s_delay_alu instid0(SALU_CYCLE_1)
	s_mov_b32 s10, exec_lo
	v_cmpx_gt_u32_e64 s8, v80
	s_cbranch_execz .LBB1525_339
.LBB1525_391:                           ;   in Loop: Header=BB1525_326 Depth=2
	global_load_u8 v34, v[4:5], off offset:2304
	s_wait_xcnt 0x0
	s_or_b32 exec_lo, exec_lo, s10
	s_delay_alu instid0(SALU_CYCLE_1)
	s_mov_b32 s10, exec_lo
	v_cmpx_gt_u32_e64 s8, v81
	s_cbranch_execz .LBB1525_340
.LBB1525_392:                           ;   in Loop: Header=BB1525_326 Depth=2
	global_load_u8 v33, v[4:5], off offset:2560
	s_wait_xcnt 0x0
	s_or_b32 exec_lo, exec_lo, s10
	s_delay_alu instid0(SALU_CYCLE_1)
	s_mov_b32 s10, exec_lo
	v_cmpx_gt_u32_e64 s8, v82
	s_cbranch_execz .LBB1525_341
.LBB1525_393:                           ;   in Loop: Header=BB1525_326 Depth=2
	global_load_u8 v32, v[4:5], off offset:2816
	s_wait_xcnt 0x0
	s_or_b32 exec_lo, exec_lo, s10
	s_delay_alu instid0(SALU_CYCLE_1)
	s_mov_b32 s10, exec_lo
	v_cmpx_gt_u32_e64 s8, v83
	s_cbranch_execz .LBB1525_342
.LBB1525_394:                           ;   in Loop: Header=BB1525_326 Depth=2
	global_load_u8 v31, v[4:5], off offset:3072
	s_wait_xcnt 0x0
	s_or_b32 exec_lo, exec_lo, s10
	s_delay_alu instid0(SALU_CYCLE_1)
	s_mov_b32 s10, exec_lo
	v_cmpx_gt_u32_e64 s8, v84
	s_cbranch_execz .LBB1525_343
.LBB1525_395:                           ;   in Loop: Header=BB1525_326 Depth=2
	global_load_u8 v8, v[4:5], off offset:3328
	s_wait_xcnt 0x0
	s_or_b32 exec_lo, exec_lo, s10
	s_delay_alu instid0(SALU_CYCLE_1)
	s_mov_b32 s10, exec_lo
	v_cmpx_gt_u32_e64 s8, v85
	s_cbranch_execz .LBB1525_344
.LBB1525_396:                           ;   in Loop: Header=BB1525_326 Depth=2
	global_load_u8 v7, v[4:5], off offset:3584
	s_wait_xcnt 0x0
	s_or_b32 exec_lo, exec_lo, s10
	s_delay_alu instid0(SALU_CYCLE_1)
	s_mov_b32 s10, exec_lo
	v_cmpx_gt_u32_e64 s8, v86
	s_cbranch_execz .LBB1525_345
.LBB1525_397:                           ;   in Loop: Header=BB1525_326 Depth=2
	global_load_u8 v6, v[4:5], off offset:3840
	s_wait_xcnt 0x0
	s_or_b32 exec_lo, exec_lo, s10
	s_delay_alu instid0(SALU_CYCLE_1)
	s_mov_b32 s10, exec_lo
	v_cmpx_gt_u32_e64 s8, v87
	s_cbranch_execnz .LBB1525_346
	s_branch .LBB1525_347
.LBB1525_398:                           ;   in Loop: Header=BB1525_12 Depth=1
	v_mov_b32_e32 v3, 0
	s_wait_dscnt 0x0
	s_barrier_signal -1
	s_barrier_wait -1
	s_and_saveexec_b32 s8, s0
	s_cbranch_execz .LBB1525_400
; %bb.399:                              ;   in Loop: Header=BB1525_12 Depth=1
	ds_load_2addr_b64 v[4:7], v90 offset1:1
	s_wait_dscnt 0x0
	v_add_nc_u32_e32 v3, v5, v4
	s_delay_alu instid0(VALU_DEP_1)
	v_add3_u32 v3, v3, v6, v7
.LBB1525_400:                           ;   in Loop: Header=BB1525_12 Depth=1
	s_or_b32 exec_lo, exec_lo, s8
	v_and_b32_e32 v4, 15, v30
	s_delay_alu instid0(VALU_DEP_2) | instskip(NEXT) | instid1(VALU_DEP_2)
	v_mov_b32_dpp v5, v3 row_shr:1 row_mask:0xf bank_mask:0xf
	v_cmp_eq_u32_e64 s8, 0, v4
	s_delay_alu instid0(VALU_DEP_1) | instskip(NEXT) | instid1(VALU_DEP_1)
	v_cndmask_b32_e64 v5, v5, 0, s8
	v_add_nc_u32_e32 v3, v5, v3
	v_cmp_lt_u32_e64 s9, 1, v4
	v_cmp_lt_u32_e64 s10, 3, v4
	;; [unrolled: 1-line block ×3, first 2 shown]
	s_delay_alu instid0(VALU_DEP_4) | instskip(NEXT) | instid1(VALU_DEP_1)
	v_mov_b32_dpp v5, v3 row_shr:2 row_mask:0xf bank_mask:0xf
	v_cndmask_b32_e64 v5, 0, v5, s9
	s_delay_alu instid0(VALU_DEP_1) | instskip(NEXT) | instid1(VALU_DEP_1)
	v_add_nc_u32_e32 v3, v3, v5
	v_mov_b32_dpp v5, v3 row_shr:4 row_mask:0xf bank_mask:0xf
	s_delay_alu instid0(VALU_DEP_1) | instskip(NEXT) | instid1(VALU_DEP_1)
	v_cndmask_b32_e64 v5, 0, v5, s10
	v_add_nc_u32_e32 v3, v3, v5
	s_delay_alu instid0(VALU_DEP_1) | instskip(NEXT) | instid1(VALU_DEP_1)
	v_mov_b32_dpp v5, v3 row_shr:8 row_mask:0xf bank_mask:0xf
	v_cndmask_b32_e64 v4, 0, v5, s11
	v_bfe_i32 v5, v30, 4, 1
	s_delay_alu instid0(VALU_DEP_2) | instskip(SKIP_3) | instid1(VALU_DEP_1)
	v_add_nc_u32_e32 v3, v3, v4
	ds_swizzle_b32 v4, v3 offset:swizzle(BROADCAST,32,15)
	s_wait_dscnt 0x0
	v_and_b32_e32 v4, v5, v4
	v_dual_add_nc_u32 v3, v3, v4 :: v_dual_bitop2_b32 v6, 16, v30 bitop3:0x40
	s_delay_alu instid0(VALU_DEP_1)
	v_cmp_eq_u32_e64 s12, 0, v6
	s_and_saveexec_b32 s13, s1
; %bb.401:                              ;   in Loop: Header=BB1525_12 Depth=1
	ds_store_b32 v91, v3
; %bb.402:                              ;   in Loop: Header=BB1525_12 Depth=1
	s_or_b32 exec_lo, exec_lo, s13
	s_wait_dscnt 0x0
	s_barrier_signal -1
	s_barrier_wait -1
	s_and_saveexec_b32 s13, s4
	s_cbranch_execz .LBB1525_404
; %bb.403:                              ;   in Loop: Header=BB1525_12 Depth=1
	ds_load_b32 v4, v92
	v_and_b32_e32 v5, 3, v30
	s_delay_alu instid0(VALU_DEP_1) | instskip(SKIP_2) | instid1(VALU_DEP_1)
	v_cmp_ne_u32_e32 vcc_lo, 0, v5
	s_wait_dscnt 0x0
	v_mov_b32_dpp v6, v4 row_shr:1 row_mask:0xf bank_mask:0xf
	v_cndmask_b32_e32 v6, 0, v6, vcc_lo
	s_delay_alu instid0(VALU_DEP_1) | instskip(SKIP_1) | instid1(VALU_DEP_2)
	v_add_nc_u32_e32 v4, v6, v4
	v_cmp_lt_u32_e32 vcc_lo, 1, v5
	v_mov_b32_dpp v6, v4 row_shr:2 row_mask:0xf bank_mask:0xf
	s_delay_alu instid0(VALU_DEP_1) | instskip(NEXT) | instid1(VALU_DEP_1)
	v_cndmask_b32_e32 v5, 0, v6, vcc_lo
	v_add_nc_u32_e32 v4, v4, v5
	ds_store_b32 v92, v4
.LBB1525_404:                           ;   in Loop: Header=BB1525_12 Depth=1
	s_or_b32 exec_lo, exec_lo, s13
	v_mov_b32_e32 v4, 0
	s_wait_dscnt 0x0
	s_barrier_signal -1
	s_barrier_wait -1
	s_and_saveexec_b32 s13, s5
; %bb.405:                              ;   in Loop: Header=BB1525_12 Depth=1
	ds_load_b32 v4, v93
; %bb.406:                              ;   in Loop: Header=BB1525_12 Depth=1
	s_or_b32 exec_lo, exec_lo, s13
	v_sub_co_u32 v5, s13, v30, 1
	s_wait_dscnt 0x0
	s_barrier_signal -1
	s_barrier_wait -1
	s_delay_alu instid0(VALU_DEP_1) | instskip(SKIP_1) | instid1(VALU_DEP_1)
	v_cmp_gt_i32_e32 vcc_lo, 0, v5
	v_dual_add_nc_u32 v3, v4, v3 :: v_dual_cndmask_b32 v5, v5, v30, vcc_lo
	v_lshlrev_b32_e32 v101, 2, v5
	ds_bpermute_b32 v3, v101, v3
	s_and_saveexec_b32 s14, s0
	s_cbranch_execz .LBB1525_408
; %bb.407:                              ;   in Loop: Header=BB1525_12 Depth=1
	s_wait_dscnt 0x0
	v_cndmask_b32_e64 v3, v3, v4, s13
	s_delay_alu instid0(VALU_DEP_1)
	v_add_nc_u32_e32 v3, s54, v3
	ds_store_b32 v9, v3
.LBB1525_408:                           ;   in Loop: Header=BB1525_12 Depth=1
	s_or_b32 exec_lo, exec_lo, s14
	s_load_b64 s[14:15], s[52:53], 0x0
	s_wait_dscnt 0x0
	v_dual_mov_b32 v31, v2 :: v_dual_bitop2_b32 v3, 7, v30 bitop3:0x40
	v_dual_mov_b32 v5, v2 :: v_dual_lshlrev_b32 v4, 3, v30
	s_mov_b32 s59, s56
	s_delay_alu instid0(VALU_DEP_2) | instskip(NEXT) | instid1(VALU_DEP_3)
	v_cmp_lt_u32_e64 s16, 3, v3
	v_add_nc_u64_e32 v[34:35], v[22:23], v[30:31]
                                        ; implicit-def: $vgpr36_vgpr37
                                        ; implicit-def: $vgpr38_vgpr39
                                        ; implicit-def: $vgpr40_vgpr41
                                        ; implicit-def: $vgpr42_vgpr43
                                        ; implicit-def: $vgpr44_vgpr45
                                        ; implicit-def: $vgpr46_vgpr47
                                        ; implicit-def: $vgpr48_vgpr49
                                        ; implicit-def: $vgpr50_vgpr51
                                        ; implicit-def: $vgpr52_vgpr53
                                        ; implicit-def: $vgpr54_vgpr55
                                        ; implicit-def: $vgpr56_vgpr57
                                        ; implicit-def: $vgpr58_vgpr59
                                        ; implicit-def: $vgpr60_vgpr61
                                        ; implicit-def: $vgpr62_vgpr63
                                        ; implicit-def: $vgpr64_vgpr65
                                        ; implicit-def: $vgpr66_vgpr67
                                        ; implicit-def: $vgpr68_vgpr69
                                        ; implicit-def: $vgpr119
                                        ; implicit-def: $vgpr120
                                        ; implicit-def: $vgpr121
                                        ; implicit-def: $vgpr122
                                        ; implicit-def: $vgpr123
                                        ; implicit-def: $vgpr124
                                        ; implicit-def: $vgpr125
                                        ; implicit-def: $vgpr126
                                        ; implicit-def: $vgpr127
                                        ; implicit-def: $vgpr128
                                        ; implicit-def: $vgpr129
                                        ; implicit-def: $vgpr130
                                        ; implicit-def: $vgpr131
                                        ; implicit-def: $vgpr132
                                        ; implicit-def: $vgpr133
                                        ; implicit-def: $vgpr134
                                        ; implicit-def: $vgpr135
                                        ; implicit-def: $vgpr136
                                        ; implicit-def: $vgpr137
	s_delay_alu instid0(VALU_DEP_3)
	v_add_nc_u64_e32 v[32:33], v[20:21], v[4:5]
	s_wait_kmcnt 0x0
	s_cmp_lt_u32 s35, s14
	s_cselect_b32 s42, 12, 18
	s_cmp_lt_u32 s48, s15
	s_mov_b32 s15, s43
	s_cselect_b32 s14, 14, 20
	s_delay_alu instid0(SALU_CYCLE_1)
	s_add_nc_u64 s[14:15], s[52:53], s[14:15]
	s_load_u16 s17, s[14:15], 0x0
	s_wait_xcnt 0x0
	s_add_nc_u64 s[14:15], s[52:53], s[42:43]
	s_mov_b32 s42, s54
	s_load_u16 s18, s[14:15], 0x0
	s_wait_xcnt 0x0
	v_cmp_eq_u32_e64 s14, 0, v3
	v_cmp_lt_u32_e64 s15, 1, v3
	s_wait_kmcnt 0x0
	v_mad_u32_u24 v3, v94, s17, v96
	s_delay_alu instid0(VALU_DEP_1) | instskip(NEXT) | instid1(VALU_DEP_1)
	v_mad_u32 v3, v3, s18, v10
	v_dual_lshrrev_b32 v3, 3, v3 :: v_dual_bitop2_b32 v102, v30, v14 bitop3:0x54
	s_delay_alu instid0(VALU_DEP_1)
	v_dual_add_nc_u32 v103, 32, v102 :: v_dual_add_nc_u32 v104, 64, v102
	v_add_nc_u32_e32 v105, 0x60, v102
	v_add_nc_u32_e32 v106, 0x80, v102
	;; [unrolled: 1-line block ×14, first 2 shown]
	v_and_b32_e32 v31, 0x1ffffffc, v3
	v_mov_b32_e32 v3, 0
	s_branch .LBB1525_410
.LBB1525_409:                           ;   in Loop: Header=BB1525_410 Depth=2
	s_or_b32 exec_lo, exec_lo, s17
	s_addk_co_i32 s59, 0xef00
	s_cmp_lt_u32 s60, s51
	s_mov_b32 s42, s60
	s_cbranch_scc0 .LBB1525_632
.LBB1525_410:                           ;   Parent Loop BB1525_12 Depth=1
                                        ; =>  This Inner Loop Header: Depth=2
	s_add_co_i32 s60, s42, 0x1100
	s_delay_alu instid0(SALU_CYCLE_1)
	s_cmp_gt_u32 s60, s51
	s_cbranch_scc1 .LBB1525_412
; %bb.411:                              ;   in Loop: Header=BB1525_410 Depth=2
	v_add_nc_u64_e32 v[4:5], s[42:43], v[34:35]
	v_and_b32_e32 v3, 0xff, v3
	s_mov_b32 s17, -1
	s_clause 0xf
	global_load_u8 v6, v[4:5], off offset:416
	global_load_u8 v7, v[4:5], off offset:480
	;; [unrolled: 1-line block ×14, first 2 shown]
	global_load_u8 v147, v[4:5], off
	global_load_u8 v4, v[4:5], off offset:96
	s_wait_loadcnt 0xc
	s_wait_xcnt 0x0
	v_perm_b32 v5, v70, v6, 0xc0c0004
	v_perm_b32 v6, v8, v7, 0xc0c0004
	s_wait_loadcnt 0x9
	v_perm_b32 v70, v139, v138, 0xc0c0004
	s_wait_loadcnt 0x8
	v_perm_b32 v8, v140, v71, 0xc0c0004
	v_lshl_or_b32 v7, v6, 16, v5
	s_wait_loadcnt 0x5
	v_perm_b32 v138, v143, v142, 0xc0c0004
	s_wait_loadcnt 0x4
	v_perm_b32 v71, v144, v141, 0xc0c0004
	v_lshl_or_b32 v6, v70, 16, v8
	v_and_b32_e32 v8, 0xffff, v3
	s_wait_loadcnt 0x1
	v_perm_b32 v139, v147, v145, 0xc0c0004
	s_wait_loadcnt 0x0
	v_perm_b32 v4, v146, v4, 0xc0c0004
	v_lshl_or_b32 v5, v138, 16, v71
	s_delay_alu instid0(VALU_DEP_2)
	v_lshl_or_b32 v4, v4, 16, v139
	s_movk_i32 s18, 0x1100
	s_cbranch_execz .LBB1525_413
	s_branch .LBB1525_431
.LBB1525_412:                           ;   in Loop: Header=BB1525_410 Depth=2
	s_mov_b32 s17, 0
                                        ; implicit-def: $vgpr4_vgpr5_vgpr6_vgpr7_vgpr8
	s_movk_i32 s18, 0x1100
.LBB1525_413:                           ;   in Loop: Header=BB1525_410 Depth=2
	v_dual_mov_b32 v5, v2 :: v_dual_mov_b32 v6, v2
	v_dual_mov_b32 v3, v2 :: v_dual_mov_b32 v4, v2
	v_add_nc_u64_e32 v[70:71], s[42:43], v[34:35]
	s_mov_b32 s17, exec_lo
	s_delay_alu instid0(VALU_DEP_3) | instskip(NEXT) | instid1(VALU_DEP_3)
	v_mov_b32_e32 v8, v6
	v_dual_mov_b32 v7, v5 :: v_dual_mov_b32 v6, v4
	v_mov_b32_e32 v5, v3
	v_mov_b32_e32 v4, v2
	v_cmpx_gt_u32_e64 s59, v102
	s_cbranch_execnz .LBB1525_617
; %bb.414:                              ;   in Loop: Header=BB1525_410 Depth=2
	s_or_b32 exec_lo, exec_lo, s17
	s_delay_alu instid0(SALU_CYCLE_1)
	s_mov_b32 s17, exec_lo
	v_cmpx_gt_u32_e64 s59, v103
	s_cbranch_execnz .LBB1525_618
.LBB1525_415:                           ;   in Loop: Header=BB1525_410 Depth=2
	s_or_b32 exec_lo, exec_lo, s17
	s_delay_alu instid0(SALU_CYCLE_1)
	s_mov_b32 s17, exec_lo
	v_cmpx_gt_u32_e64 s59, v104
	s_cbranch_execnz .LBB1525_619
.LBB1525_416:                           ;   in Loop: Header=BB1525_410 Depth=2
	s_or_b32 exec_lo, exec_lo, s17
	s_delay_alu instid0(SALU_CYCLE_1)
	s_mov_b32 s17, exec_lo
	v_cmpx_gt_u32_e64 s59, v105
	s_cbranch_execnz .LBB1525_620
.LBB1525_417:                           ;   in Loop: Header=BB1525_410 Depth=2
	s_or_b32 exec_lo, exec_lo, s17
	s_delay_alu instid0(SALU_CYCLE_1)
	s_mov_b32 s17, exec_lo
	v_cmpx_gt_u32_e64 s59, v106
	s_cbranch_execnz .LBB1525_621
.LBB1525_418:                           ;   in Loop: Header=BB1525_410 Depth=2
	s_or_b32 exec_lo, exec_lo, s17
	s_delay_alu instid0(SALU_CYCLE_1)
	s_mov_b32 s17, exec_lo
	v_cmpx_gt_u32_e64 s59, v107
	s_cbranch_execnz .LBB1525_622
.LBB1525_419:                           ;   in Loop: Header=BB1525_410 Depth=2
	s_or_b32 exec_lo, exec_lo, s17
	s_delay_alu instid0(SALU_CYCLE_1)
	s_mov_b32 s17, exec_lo
	v_cmpx_gt_u32_e64 s59, v108
	s_cbranch_execnz .LBB1525_623
.LBB1525_420:                           ;   in Loop: Header=BB1525_410 Depth=2
	s_or_b32 exec_lo, exec_lo, s17
	s_delay_alu instid0(SALU_CYCLE_1)
	s_mov_b32 s17, exec_lo
	v_cmpx_gt_u32_e64 s59, v109
	s_cbranch_execnz .LBB1525_624
.LBB1525_421:                           ;   in Loop: Header=BB1525_410 Depth=2
	s_or_b32 exec_lo, exec_lo, s17
	s_delay_alu instid0(SALU_CYCLE_1)
	s_mov_b32 s17, exec_lo
	v_cmpx_gt_u32_e64 s59, v110
	s_cbranch_execnz .LBB1525_625
.LBB1525_422:                           ;   in Loop: Header=BB1525_410 Depth=2
	s_or_b32 exec_lo, exec_lo, s17
	s_delay_alu instid0(SALU_CYCLE_1)
	s_mov_b32 s17, exec_lo
	v_cmpx_gt_u32_e64 s59, v111
	s_cbranch_execnz .LBB1525_626
.LBB1525_423:                           ;   in Loop: Header=BB1525_410 Depth=2
	s_or_b32 exec_lo, exec_lo, s17
	s_delay_alu instid0(SALU_CYCLE_1)
	s_mov_b32 s17, exec_lo
	v_cmpx_gt_u32_e64 s59, v112
	s_cbranch_execnz .LBB1525_627
.LBB1525_424:                           ;   in Loop: Header=BB1525_410 Depth=2
	s_or_b32 exec_lo, exec_lo, s17
	s_delay_alu instid0(SALU_CYCLE_1)
	s_mov_b32 s17, exec_lo
	v_cmpx_gt_u32_e64 s59, v113
	s_cbranch_execnz .LBB1525_628
.LBB1525_425:                           ;   in Loop: Header=BB1525_410 Depth=2
	s_or_b32 exec_lo, exec_lo, s17
	s_delay_alu instid0(SALU_CYCLE_1)
	s_mov_b32 s17, exec_lo
	v_cmpx_gt_u32_e64 s59, v114
	s_cbranch_execnz .LBB1525_629
.LBB1525_426:                           ;   in Loop: Header=BB1525_410 Depth=2
	s_or_b32 exec_lo, exec_lo, s17
	s_delay_alu instid0(SALU_CYCLE_1)
	s_mov_b32 s17, exec_lo
	v_cmpx_gt_u32_e64 s59, v115
	s_cbranch_execnz .LBB1525_630
.LBB1525_427:                           ;   in Loop: Header=BB1525_410 Depth=2
	s_or_b32 exec_lo, exec_lo, s17
	s_delay_alu instid0(SALU_CYCLE_1)
	s_mov_b32 s17, exec_lo
	v_cmpx_gt_u32_e64 s59, v116
	s_cbranch_execnz .LBB1525_631
.LBB1525_428:                           ;   in Loop: Header=BB1525_410 Depth=2
	s_or_b32 exec_lo, exec_lo, s17
	s_delay_alu instid0(SALU_CYCLE_1)
	s_mov_b32 s17, exec_lo
	v_cmpx_gt_u32_e64 s59, v117
	s_cbranch_execz .LBB1525_430
.LBB1525_429:                           ;   in Loop: Header=BB1525_410 Depth=2
	global_load_u8 v3, v[70:71], off offset:480
	v_and_b32_e32 v8, 0xff, v8
	s_wait_loadcnt 0x0
	v_perm_b32 v7, v7, v3, 0x60504
.LBB1525_430:                           ;   in Loop: Header=BB1525_410 Depth=2
	s_wait_xcnt 0x0
	s_or_b32 exec_lo, exec_lo, s17
	v_cmp_gt_u32_e64 s17, s59, v118
	s_sub_co_i32 s18, s51, s42
.LBB1525_431:                           ;   in Loop: Header=BB1525_410 Depth=2
	v_mov_b32_e32 v70, s59
	s_and_saveexec_b32 s19, s17
	s_cbranch_execz .LBB1525_433
; %bb.432:                              ;   in Loop: Header=BB1525_410 Depth=2
	v_add_nc_u64_e32 v[70:71], s[42:43], v[34:35]
	global_load_u8 v8, v[70:71], off offset:512
	s_wait_xcnt 0x0
	v_mov_b32_e32 v70, s18
.LBB1525_433:                           ;   in Loop: Header=BB1525_410 Depth=2
	s_or_b32 exec_lo, exec_lo, s19
	s_wait_loadcnt 0x0
	v_and_b32_e32 v140, 1, v4
	v_lshrrev_b16 v3, 8, v7
	v_lshrrev_b16 v138, 8, v5
	;; [unrolled: 1-line block ×4, first 2 shown]
	v_cmp_eq_u32_e32 vcc_lo, 1, v140
	v_and_b32_e32 v3, 1, v3
	v_and_b32_e32 v138, 1, v138
	ds_store_2addr_b32 v95, v2, v2 offset0:136 offset1:137
	ds_store_2addr_b32 v95, v2, v2 offset0:138 offset1:139
	ds_store_b32 v95, v2 offset:560
	v_and_b32_e32 v139, 1, v139
	s_xor_b32 s17, vcc_lo, -1
	v_cmp_eq_u32_e64 s19, 1, v3
	v_and_b32_e32 v3, 1, v8
	v_cndmask_b32_e64 v8, 0, 1, s17
	v_and_b32_e32 v71, 1, v71
	v_cmp_eq_u32_e64 s27, 1, v138
	v_and_b32_e32 v138, 0x10000, v7
	v_cmp_eq_u32_e32 vcc_lo, 1, v3
	v_lshrrev_b32_e32 v3, s57, v8
	v_cmp_eq_u32_e64 s31, 1, v139
	v_cmp_eq_u32_e64 s23, 1, v71
	v_cmp_ne_u32_e64 s18, 0, v138
	v_and_b32_e32 v71, 0x1000000, v7
	v_and_b32_e32 v138, s58, v3
	;; [unrolled: 1-line block ×4, first 2 shown]
	s_wait_dscnt 0x0
	v_cmp_ne_u32_e64 s17, 0, v71
	v_add_co_u32 v139, s21, v138, -1
	s_delay_alu instid0(VALU_DEP_1)
	v_cndmask_b32_e64 v140, 0, 1, s21
	v_cmp_eq_u32_e64 s20, 1, v7
	v_and_b32_e32 v7, 0x1000000, v6
	v_and_b32_e32 v71, 0x1000000, v5
	v_cmp_ne_u32_e64 s22, 0, v3
	v_cmp_ne_u32_e64 s26, 0, v140
	v_and_b32_e32 v6, 1, v6
	v_cmp_ne_u32_e64 s21, 0, v7
	v_and_b32_e32 v7, 0x1000000, v4
	v_and_b32_e32 v4, 0x10000, v4
	v_bitop3_b32 v3, s26, exec_lo, v139 bitop3:0x48
	v_cmp_ne_u32_e64 s25, 0, v71
	v_cmp_eq_u32_e64 s24, 1, v6
	v_and_b32_e32 v6, 0x10000, v5
	v_and_b32_e32 v5, 1, v5
	v_mbcnt_lo_u32_b32 v71, v3, 0
	v_cmp_ne_u32_e64 s30, 0, v4
	v_mul_u32_u24_e32 v4, 36, v138
	v_cmp_ne_u32_e64 s34, 0, v3
	v_cmp_ne_u32_e64 s26, 0, v6
	v_cmp_eq_u32_e64 s33, 0, v71
	v_cmp_eq_u32_e64 s28, 1, v5
	v_cmp_ne_u32_e64 s29, 0, v7
	v_add_nc_u32_e32 v141, v31, v4
	s_barrier_signal -1
	s_and_b32 s34, s34, s33
	s_barrier_wait -1
	; wave barrier
	s_and_saveexec_b32 s33, s34
; %bb.434:                              ;   in Loop: Header=BB1525_410 Depth=2
	v_bcnt_u32_b32 v3, v3, 0
	ds_store_b32 v141, v3 offset:544
; %bb.435:                              ;   in Loop: Header=BB1525_410 Depth=2
	s_or_b32 exec_lo, exec_lo, s33
	s_xor_b32 s31, s31, -1
	s_delay_alu instid0(SALU_CYCLE_1) | instskip(NEXT) | instid1(VALU_DEP_1)
	v_cndmask_b32_e64 v138, 0, 1, s31
	; wave barrier
	v_lshrrev_b32_e32 v3, s57, v138
	s_delay_alu instid0(VALU_DEP_1) | instskip(NEXT) | instid1(VALU_DEP_1)
	v_and_b32_e32 v4, s58, v3
	v_add_co_u32 v3, s31, v4, -1
	s_delay_alu instid0(VALU_DEP_1) | instskip(SKIP_2) | instid1(VALU_DEP_3)
	v_cndmask_b32_e64 v5, 0, 1, s31
	v_mad_u32_u24 v6, v4, 36, v31
	v_mul_u32_u24_e32 v4, 36, v4
	v_cmp_ne_u32_e64 s31, 0, v5
	ds_load_b32 v139, v6 offset:544
	v_add_nc_u32_e32 v144, v31, v4
	; wave barrier
	v_bitop3_b32 v3, s31, exec_lo, v3 bitop3:0x48
	s_delay_alu instid0(VALU_DEP_1) | instskip(SKIP_1) | instid1(VALU_DEP_2)
	v_mbcnt_lo_u32_b32 v140, v3, 0
	v_cmp_ne_u32_e64 s33, 0, v3
	v_cmp_eq_u32_e64 s31, 0, v140
	s_and_b32 s33, s33, s31
	s_delay_alu instid0(SALU_CYCLE_1)
	s_and_saveexec_b32 s31, s33
	s_cbranch_execz .LBB1525_437
; %bb.436:                              ;   in Loop: Header=BB1525_410 Depth=2
	s_wait_dscnt 0x0
	v_bcnt_u32_b32 v3, v3, v139
	ds_store_b32 v144, v3 offset:544
.LBB1525_437:                           ;   in Loop: Header=BB1525_410 Depth=2
	s_or_b32 exec_lo, exec_lo, s31
	s_xor_b32 s30, s30, -1
	s_delay_alu instid0(SALU_CYCLE_1) | instskip(NEXT) | instid1(VALU_DEP_1)
	v_cndmask_b32_e64 v153, 0, 1, s30
	; wave barrier
	v_lshrrev_b32_e32 v3, s57, v153
	s_delay_alu instid0(VALU_DEP_1) | instskip(NEXT) | instid1(VALU_DEP_1)
	v_and_b32_e32 v4, s58, v3
	v_add_co_u32 v3, s30, v4, -1
	s_delay_alu instid0(VALU_DEP_1) | instskip(SKIP_2) | instid1(VALU_DEP_3)
	v_cndmask_b32_e64 v5, 0, 1, s30
	v_mad_u32_u24 v6, v4, 36, v31
	v_mul_u32_u24_e32 v4, 36, v4
	v_cmp_ne_u32_e64 s30, 0, v5
	ds_load_b32 v142, v6 offset:544
	v_add_nc_u32_e32 v147, v31, v4
	; wave barrier
	v_bitop3_b32 v3, s30, exec_lo, v3 bitop3:0x48
	s_delay_alu instid0(VALU_DEP_1) | instskip(SKIP_1) | instid1(VALU_DEP_2)
	v_mbcnt_lo_u32_b32 v143, v3, 0
	v_cmp_ne_u32_e64 s31, 0, v3
	v_cmp_eq_u32_e64 s30, 0, v143
	s_and_b32 s31, s31, s30
	s_delay_alu instid0(SALU_CYCLE_1)
	s_and_saveexec_b32 s30, s31
	s_cbranch_execz .LBB1525_439
; %bb.438:                              ;   in Loop: Header=BB1525_410 Depth=2
	s_wait_dscnt 0x0
	v_bcnt_u32_b32 v3, v3, v142
	ds_store_b32 v147, v3 offset:544
.LBB1525_439:                           ;   in Loop: Header=BB1525_410 Depth=2
	;; [unrolled: 31-line block ×15, first 2 shown]
	s_or_b32 exec_lo, exec_lo, s17
	s_xor_b32 s17, vcc_lo, -1
	s_delay_alu instid0(SALU_CYCLE_1) | instskip(NEXT) | instid1(VALU_DEP_1)
	v_cndmask_b32_e64 v3, 0, 1, s17
	; wave barrier
	v_lshrrev_b32_e32 v4, s57, v3
	s_delay_alu instid0(VALU_DEP_1) | instskip(NEXT) | instid1(VALU_DEP_1)
	v_and_b32_e32 v5, s58, v4
	v_add_co_u32 v4, s17, v5, -1
	s_delay_alu instid0(VALU_DEP_1) | instskip(SKIP_2) | instid1(VALU_DEP_3)
	v_cndmask_b32_e64 v6, 0, 1, s17
	v_mad_u32_u24 v7, v5, 36, v31
	v_mul_u32_u24_e32 v5, 36, v5
	v_cmp_ne_u32_e32 vcc_lo, 0, v6
	ds_load_b32 v198, v7 offset:544
	v_add_nc_u32_e32 v201, v31, v5
	; wave barrier
	v_bitop3_b32 v4, vcc_lo, exec_lo, v4 bitop3:0x48
	s_delay_alu instid0(VALU_DEP_1) | instskip(SKIP_1) | instid1(VALU_DEP_2)
	v_mbcnt_lo_u32_b32 v199, v4, 0
	v_cmp_ne_u32_e64 s17, 0, v4
	v_cmp_eq_u32_e32 vcc_lo, 0, v199
	s_and_b32 s18, s17, vcc_lo
	s_delay_alu instid0(SALU_CYCLE_1)
	s_and_saveexec_b32 s17, s18
	s_cbranch_execz .LBB1525_467
; %bb.466:                              ;   in Loop: Header=BB1525_410 Depth=2
	s_wait_dscnt 0x0
	v_bcnt_u32_b32 v4, v4, v198
	ds_store_b32 v201, v4 offset:544
.LBB1525_467:                           ;   in Loop: Header=BB1525_410 Depth=2
	s_or_b32 exec_lo, exec_lo, s17
	; wave barrier
	s_wait_dscnt 0x0
	s_barrier_signal -1
	s_barrier_wait -1
	ds_load_2addr_b32 v[6:7], v95 offset0:136 offset1:137
	ds_load_2addr_b32 v[4:5], v95 offset0:138 offset1:139
	ds_load_b32 v202, v95 offset:560
	s_wait_dscnt 0x1
	v_add3_u32 v203, v7, v6, v4
	s_wait_dscnt 0x0
	s_delay_alu instid0(VALU_DEP_1) | instskip(NEXT) | instid1(VALU_DEP_1)
	v_add3_u32 v202, v203, v5, v202
	v_mov_b32_dpp v203, v202 row_shr:1 row_mask:0xf bank_mask:0xf
	s_delay_alu instid0(VALU_DEP_1) | instskip(NEXT) | instid1(VALU_DEP_1)
	v_cndmask_b32_e64 v203, v203, 0, s8
	v_add_nc_u32_e32 v202, v203, v202
	s_delay_alu instid0(VALU_DEP_1) | instskip(NEXT) | instid1(VALU_DEP_1)
	v_mov_b32_dpp v203, v202 row_shr:2 row_mask:0xf bank_mask:0xf
	v_cndmask_b32_e64 v203, 0, v203, s9
	s_delay_alu instid0(VALU_DEP_1) | instskip(NEXT) | instid1(VALU_DEP_1)
	v_add_nc_u32_e32 v202, v202, v203
	v_mov_b32_dpp v203, v202 row_shr:4 row_mask:0xf bank_mask:0xf
	s_delay_alu instid0(VALU_DEP_1) | instskip(NEXT) | instid1(VALU_DEP_1)
	v_cndmask_b32_e64 v203, 0, v203, s10
	v_add_nc_u32_e32 v202, v202, v203
	s_delay_alu instid0(VALU_DEP_1) | instskip(NEXT) | instid1(VALU_DEP_1)
	v_mov_b32_dpp v203, v202 row_shr:8 row_mask:0xf bank_mask:0xf
	v_cndmask_b32_e64 v203, 0, v203, s11
	s_delay_alu instid0(VALU_DEP_1) | instskip(SKIP_3) | instid1(VALU_DEP_1)
	v_add_nc_u32_e32 v202, v202, v203
	ds_swizzle_b32 v203, v202 offset:swizzle(BROADCAST,32,15)
	s_wait_dscnt 0x0
	v_cndmask_b32_e64 v203, v203, 0, s12
	v_add_nc_u32_e32 v202, v202, v203
	s_and_saveexec_b32 s17, s2
; %bb.468:                              ;   in Loop: Header=BB1525_410 Depth=2
	ds_store_b32 v88, v202 offset:512
; %bb.469:                              ;   in Loop: Header=BB1525_410 Depth=2
	s_or_b32 exec_lo, exec_lo, s17
	s_wait_dscnt 0x0
	s_barrier_signal -1
	s_barrier_wait -1
	s_and_saveexec_b32 s17, s3
	s_cbranch_execz .LBB1525_471
; %bb.470:                              ;   in Loop: Header=BB1525_410 Depth=2
	ds_load_b32 v203, v97 offset:512
	s_wait_dscnt 0x0
	v_mov_b32_dpp v204, v203 row_shr:1 row_mask:0xf bank_mask:0xf
	s_delay_alu instid0(VALU_DEP_1) | instskip(NEXT) | instid1(VALU_DEP_1)
	v_cndmask_b32_e64 v204, v204, 0, s14
	v_add_nc_u32_e32 v203, v204, v203
	s_delay_alu instid0(VALU_DEP_1) | instskip(NEXT) | instid1(VALU_DEP_1)
	v_mov_b32_dpp v204, v203 row_shr:2 row_mask:0xf bank_mask:0xf
	v_cndmask_b32_e64 v204, 0, v204, s15
	s_delay_alu instid0(VALU_DEP_1) | instskip(NEXT) | instid1(VALU_DEP_1)
	v_add_nc_u32_e32 v203, v203, v204
	v_mov_b32_dpp v204, v203 row_shr:4 row_mask:0xf bank_mask:0xf
	s_delay_alu instid0(VALU_DEP_1) | instskip(NEXT) | instid1(VALU_DEP_1)
	v_cndmask_b32_e64 v204, 0, v204, s16
	v_add_nc_u32_e32 v203, v203, v204
	ds_store_b32 v97, v203 offset:512
.LBB1525_471:                           ;   in Loop: Header=BB1525_410 Depth=2
	s_or_b32 exec_lo, exec_lo, s17
	v_mov_b32_e32 v203, 0
	s_wait_dscnt 0x0
	s_barrier_signal -1
	s_barrier_wait -1
	s_and_saveexec_b32 s17, s5
; %bb.472:                              ;   in Loop: Header=BB1525_410 Depth=2
	ds_load_b32 v203, v88 offset:508
; %bb.473:                              ;   in Loop: Header=BB1525_410 Depth=2
	s_or_b32 exec_lo, exec_lo, s17
	s_wait_dscnt 0x0
	v_add_nc_u32_e32 v202, v203, v202
	ds_bpermute_b32 v202, v101, v202
	s_wait_dscnt 0x0
	v_cndmask_b32_e64 v202, v202, v203, s13
	s_delay_alu instid0(VALU_DEP_1) | instskip(NEXT) | instid1(VALU_DEP_1)
	v_cndmask_b32_e64 v202, v202, 0, s6
	v_add_nc_u32_e32 v6, v202, v6
	s_delay_alu instid0(VALU_DEP_1) | instskip(NEXT) | instid1(VALU_DEP_1)
	v_add_nc_u32_e32 v7, v6, v7
	v_add_nc_u32_e32 v4, v7, v4
	s_delay_alu instid0(VALU_DEP_1)
	v_add_nc_u32_e32 v5, v4, v5
	ds_store_2addr_b32 v95, v202, v6 offset0:136 offset1:137
	ds_store_2addr_b32 v95, v7, v4 offset0:138 offset1:139
	ds_store_b32 v95, v5 offset:560
	s_wait_dscnt 0x0
	s_barrier_signal -1
	s_barrier_wait -1
	ds_load_b32 v4, v141 offset:544
	ds_load_b32 v5, v144 offset:544
	;; [unrolled: 1-line block ×17, first 2 shown]
	s_and_saveexec_b32 s17, s0
	s_cbranch_execz .LBB1525_477
; %bb.474:                              ;   in Loop: Header=BB1525_410 Depth=2
	v_dual_mov_b32 v137, 0x1100 :: v_dual_add_nc_u32 v136, v97, v99
	ds_load_b32 v136, v136 offset:544
	s_and_saveexec_b32 s18, s7
; %bb.475:                              ;   in Loop: Header=BB1525_410 Depth=2
	ds_load_b32 v137, v98 offset:544
; %bb.476:                              ;   in Loop: Header=BB1525_410 Depth=2
	s_or_b32 exec_lo, exec_lo, s18
	s_wait_dscnt 0x0
	v_sub_nc_u32_e32 v137, v137, v136
.LBB1525_477:                           ;   in Loop: Header=BB1525_410 Depth=2
	s_or_b32 exec_lo, exec_lo, s17
	s_wait_dscnt 0x0
	s_barrier_signal -1
	s_barrier_wait -1
	s_and_saveexec_b32 s17, s0
	s_cbranch_execz .LBB1525_479
; %bb.478:                              ;   in Loop: Header=BB1525_410 Depth=2
	ds_load_b32 v147, v9
	s_wait_dscnt 0x0
	v_sub_nc_u32_e32 v147, v147, v136
	ds_store_b32 v9, v147
.LBB1525_479:                           ;   in Loop: Header=BB1525_410 Depth=2
	s_or_b32 exec_lo, exec_lo, s17
	v_add_nc_u32_e32 v152, v4, v71
	v_add3_u32 v151, v140, v139, v5
	v_add3_u32 v150, v143, v142, v6
	v_add3_u32 v149, v146, v145, v7
	v_add3_u32 v148, v156, v148, v141
	v_add3_u32 v147, v159, v158, v144
	v_add3_u32 v146, v162, v161, v202
	v_add3_u32 v145, v165, v164, v170
	v_add3_u32 v144, v168, v167, v174
	v_add3_u32 v143, v172, v171, v178
	v_add3_u32 v142, v176, v175, v182
	v_add3_u32 v141, v180, v179, v186
	v_add3_u32 v140, v184, v183, v190
	v_add3_u32 v139, v188, v187, v194
	v_add3_u32 v71, v192, v191, v197
	v_add3_u32 v7, v196, v195, v200
	v_add3_u32 v6, v199, v198, v201
	v_cmp_lt_u32_e32 vcc_lo, v10, v70
	ds_store_b8 v152, v8 offset:512
	ds_store_b8 v151, v138 offset:512
	;; [unrolled: 1-line block ×17, first 2 shown]
	s_wait_dscnt 0x0
	s_barrier_signal -1
	s_barrier_wait -1
	s_and_saveexec_b32 s17, vcc_lo
	s_cbranch_execnz .LBB1525_552
; %bb.480:                              ;   in Loop: Header=BB1525_410 Depth=2
	s_or_b32 exec_lo, exec_lo, s17
	v_cmp_lt_u32_e64 s17, v72, v70
	s_and_saveexec_b32 s18, s17
	s_cbranch_execnz .LBB1525_553
.LBB1525_481:                           ;   in Loop: Header=BB1525_410 Depth=2
	s_or_b32 exec_lo, exec_lo, s18
	v_cmp_lt_u32_e64 s18, v73, v70
	s_and_saveexec_b32 s19, s18
	s_cbranch_execnz .LBB1525_554
.LBB1525_482:                           ;   in Loop: Header=BB1525_410 Depth=2
	s_or_b32 exec_lo, exec_lo, s19
	v_cmp_lt_u32_e64 s19, v74, v70
	s_and_saveexec_b32 s20, s19
	s_cbranch_execnz .LBB1525_555
.LBB1525_483:                           ;   in Loop: Header=BB1525_410 Depth=2
	s_or_b32 exec_lo, exec_lo, s20
	v_cmp_lt_u32_e64 s20, v75, v70
	s_and_saveexec_b32 s21, s20
	s_cbranch_execnz .LBB1525_556
.LBB1525_484:                           ;   in Loop: Header=BB1525_410 Depth=2
	s_or_b32 exec_lo, exec_lo, s21
	v_cmp_lt_u32_e64 s21, v76, v70
	s_and_saveexec_b32 s22, s21
	s_cbranch_execnz .LBB1525_557
.LBB1525_485:                           ;   in Loop: Header=BB1525_410 Depth=2
	s_or_b32 exec_lo, exec_lo, s22
	v_cmp_lt_u32_e64 s22, v77, v70
	s_and_saveexec_b32 s23, s22
	s_cbranch_execnz .LBB1525_558
.LBB1525_486:                           ;   in Loop: Header=BB1525_410 Depth=2
	s_or_b32 exec_lo, exec_lo, s23
	v_cmp_lt_u32_e64 s23, v78, v70
	s_and_saveexec_b32 s24, s23
	s_cbranch_execnz .LBB1525_559
.LBB1525_487:                           ;   in Loop: Header=BB1525_410 Depth=2
	s_or_b32 exec_lo, exec_lo, s24
	v_cmp_lt_u32_e64 s24, v79, v70
	s_and_saveexec_b32 s25, s24
	s_cbranch_execnz .LBB1525_560
.LBB1525_488:                           ;   in Loop: Header=BB1525_410 Depth=2
	s_or_b32 exec_lo, exec_lo, s25
	v_cmp_lt_u32_e64 s25, v80, v70
	s_and_saveexec_b32 s26, s25
	s_cbranch_execnz .LBB1525_561
.LBB1525_489:                           ;   in Loop: Header=BB1525_410 Depth=2
	s_or_b32 exec_lo, exec_lo, s26
	v_cmp_lt_u32_e64 s26, v81, v70
	s_and_saveexec_b32 s27, s26
	s_cbranch_execnz .LBB1525_562
.LBB1525_490:                           ;   in Loop: Header=BB1525_410 Depth=2
	s_or_b32 exec_lo, exec_lo, s27
	v_cmp_lt_u32_e64 s27, v82, v70
	s_and_saveexec_b32 s28, s27
	s_cbranch_execnz .LBB1525_563
.LBB1525_491:                           ;   in Loop: Header=BB1525_410 Depth=2
	s_or_b32 exec_lo, exec_lo, s28
	v_cmp_lt_u32_e64 s28, v83, v70
	s_and_saveexec_b32 s29, s28
	s_cbranch_execnz .LBB1525_564
.LBB1525_492:                           ;   in Loop: Header=BB1525_410 Depth=2
	s_or_b32 exec_lo, exec_lo, s29
	v_cmp_lt_u32_e64 s29, v84, v70
	s_and_saveexec_b32 s30, s29
	s_cbranch_execnz .LBB1525_565
.LBB1525_493:                           ;   in Loop: Header=BB1525_410 Depth=2
	s_or_b32 exec_lo, exec_lo, s30
	v_cmp_lt_u32_e64 s30, v85, v70
	s_and_saveexec_b32 s31, s30
	s_cbranch_execnz .LBB1525_566
.LBB1525_494:                           ;   in Loop: Header=BB1525_410 Depth=2
	s_or_b32 exec_lo, exec_lo, s31
	v_cmp_lt_u32_e64 s31, v86, v70
	s_and_saveexec_b32 s33, s31
	s_cbranch_execnz .LBB1525_567
.LBB1525_495:                           ;   in Loop: Header=BB1525_410 Depth=2
	s_or_b32 exec_lo, exec_lo, s33
	v_cmp_lt_u32_e64 s33, v87, v70
	s_and_saveexec_b32 s34, s33
	s_cbranch_execz .LBB1525_497
.LBB1525_496:                           ;   in Loop: Header=BB1525_410 Depth=2
	ds_load_u8 v4, v10 offset:4608
	s_wait_dscnt 0x0
	v_and_b32_e32 v5, 1, v4
	s_delay_alu instid0(VALU_DEP_1) | instskip(NEXT) | instid1(VALU_DEP_1)
	v_dual_lshrrev_b32 v5, s57, v5 :: v_dual_bitop2_b32 v4, 1, v4 bitop3:0x14
	v_and_b32_e32 v5, s58, v5
	s_delay_alu instid0(VALU_DEP_1)
	v_lshlrev_b32_e32 v5, 2, v5
	ds_load_b32 v5, v5
	s_wait_dscnt 0x0
	v_add_nc_u32_e32 v5, v5, v87
	global_store_b8 v5, v4, s[40:41]
.LBB1525_497:                           ;   in Loop: Header=BB1525_410 Depth=2
	s_wait_xcnt 0x0
	s_or_b32 exec_lo, exec_lo, s34
	v_lshl_add_u64 v[4:5], s[42:43], 3, v[32:33]
	v_cmp_lt_u32_e64 s34, v102, v70
	s_and_saveexec_b32 s42, s34
	s_delay_alu instid0(SALU_CYCLE_1)
	s_xor_b32 s34, exec_lo, s42
	s_cbranch_execnz .LBB1525_568
; %bb.498:                              ;   in Loop: Header=BB1525_410 Depth=2
	s_or_b32 exec_lo, exec_lo, s34
	s_delay_alu instid0(SALU_CYCLE_1)
	s_mov_b32 s42, exec_lo
	v_cmpx_lt_u32_e64 v103, v70
	s_cbranch_execnz .LBB1525_569
.LBB1525_499:                           ;   in Loop: Header=BB1525_410 Depth=2
	s_or_b32 exec_lo, exec_lo, s42
	s_delay_alu instid0(SALU_CYCLE_1)
	s_mov_b32 s42, exec_lo
	v_cmpx_lt_u32_e64 v104, v70
	s_cbranch_execnz .LBB1525_570
.LBB1525_500:                           ;   in Loop: Header=BB1525_410 Depth=2
	s_or_b32 exec_lo, exec_lo, s42
	s_delay_alu instid0(SALU_CYCLE_1)
	s_mov_b32 s42, exec_lo
	v_cmpx_lt_u32_e64 v105, v70
	s_cbranch_execnz .LBB1525_571
.LBB1525_501:                           ;   in Loop: Header=BB1525_410 Depth=2
	s_or_b32 exec_lo, exec_lo, s42
	s_delay_alu instid0(SALU_CYCLE_1)
	s_mov_b32 s42, exec_lo
	v_cmpx_lt_u32_e64 v106, v70
	s_cbranch_execnz .LBB1525_572
.LBB1525_502:                           ;   in Loop: Header=BB1525_410 Depth=2
	s_or_b32 exec_lo, exec_lo, s42
	s_delay_alu instid0(SALU_CYCLE_1)
	s_mov_b32 s42, exec_lo
	v_cmpx_lt_u32_e64 v107, v70
	s_cbranch_execnz .LBB1525_573
.LBB1525_503:                           ;   in Loop: Header=BB1525_410 Depth=2
	s_or_b32 exec_lo, exec_lo, s42
	s_delay_alu instid0(SALU_CYCLE_1)
	s_mov_b32 s42, exec_lo
	v_cmpx_lt_u32_e64 v108, v70
	s_cbranch_execnz .LBB1525_574
.LBB1525_504:                           ;   in Loop: Header=BB1525_410 Depth=2
	s_or_b32 exec_lo, exec_lo, s42
	s_delay_alu instid0(SALU_CYCLE_1)
	s_mov_b32 s42, exec_lo
	v_cmpx_lt_u32_e64 v109, v70
	s_cbranch_execnz .LBB1525_575
.LBB1525_505:                           ;   in Loop: Header=BB1525_410 Depth=2
	s_or_b32 exec_lo, exec_lo, s42
	s_delay_alu instid0(SALU_CYCLE_1)
	s_mov_b32 s42, exec_lo
	v_cmpx_lt_u32_e64 v110, v70
	s_cbranch_execnz .LBB1525_576
.LBB1525_506:                           ;   in Loop: Header=BB1525_410 Depth=2
	s_or_b32 exec_lo, exec_lo, s42
	s_delay_alu instid0(SALU_CYCLE_1)
	s_mov_b32 s42, exec_lo
	v_cmpx_lt_u32_e64 v111, v70
	s_cbranch_execnz .LBB1525_577
.LBB1525_507:                           ;   in Loop: Header=BB1525_410 Depth=2
	s_or_b32 exec_lo, exec_lo, s42
	s_delay_alu instid0(SALU_CYCLE_1)
	s_mov_b32 s42, exec_lo
	v_cmpx_lt_u32_e64 v112, v70
	s_cbranch_execnz .LBB1525_578
.LBB1525_508:                           ;   in Loop: Header=BB1525_410 Depth=2
	s_or_b32 exec_lo, exec_lo, s42
	s_delay_alu instid0(SALU_CYCLE_1)
	s_mov_b32 s42, exec_lo
	v_cmpx_lt_u32_e64 v113, v70
	s_cbranch_execnz .LBB1525_579
.LBB1525_509:                           ;   in Loop: Header=BB1525_410 Depth=2
	s_or_b32 exec_lo, exec_lo, s42
	s_delay_alu instid0(SALU_CYCLE_1)
	s_mov_b32 s42, exec_lo
	v_cmpx_lt_u32_e64 v114, v70
	s_cbranch_execnz .LBB1525_580
.LBB1525_510:                           ;   in Loop: Header=BB1525_410 Depth=2
	s_or_b32 exec_lo, exec_lo, s42
	s_delay_alu instid0(SALU_CYCLE_1)
	s_mov_b32 s42, exec_lo
	v_cmpx_lt_u32_e64 v115, v70
	s_cbranch_execnz .LBB1525_581
.LBB1525_511:                           ;   in Loop: Header=BB1525_410 Depth=2
	s_or_b32 exec_lo, exec_lo, s42
	s_delay_alu instid0(SALU_CYCLE_1)
	s_mov_b32 s42, exec_lo
	v_cmpx_lt_u32_e64 v116, v70
	s_cbranch_execnz .LBB1525_582
.LBB1525_512:                           ;   in Loop: Header=BB1525_410 Depth=2
	s_or_b32 exec_lo, exec_lo, s42
	s_delay_alu instid0(SALU_CYCLE_1)
	s_mov_b32 s42, exec_lo
	v_cmpx_lt_u32_e64 v117, v70
	s_cbranch_execnz .LBB1525_583
.LBB1525_513:                           ;   in Loop: Header=BB1525_410 Depth=2
	s_or_b32 exec_lo, exec_lo, s42
	s_delay_alu instid0(SALU_CYCLE_1)
	s_mov_b32 s42, exec_lo
	v_cmpx_lt_u32_e64 v118, v70
	s_cbranch_execnz .LBB1525_584
.LBB1525_514:                           ;   in Loop: Header=BB1525_410 Depth=2
	s_or_b32 exec_lo, exec_lo, s42
	s_and_saveexec_b32 s34, vcc_lo
	s_cbranch_execnz .LBB1525_585
.LBB1525_515:                           ;   in Loop: Header=BB1525_410 Depth=2
	s_or_b32 exec_lo, exec_lo, s34
	s_and_saveexec_b32 s34, s17
	s_cbranch_execnz .LBB1525_586
.LBB1525_516:                           ;   in Loop: Header=BB1525_410 Depth=2
	s_or_b32 exec_lo, exec_lo, s34
	s_and_saveexec_b32 s34, s18
	s_cbranch_execnz .LBB1525_587
.LBB1525_517:                           ;   in Loop: Header=BB1525_410 Depth=2
	s_or_b32 exec_lo, exec_lo, s34
	s_and_saveexec_b32 s34, s19
	s_cbranch_execnz .LBB1525_588
.LBB1525_518:                           ;   in Loop: Header=BB1525_410 Depth=2
	s_or_b32 exec_lo, exec_lo, s34
	s_and_saveexec_b32 s34, s20
	s_cbranch_execnz .LBB1525_589
.LBB1525_519:                           ;   in Loop: Header=BB1525_410 Depth=2
	s_or_b32 exec_lo, exec_lo, s34
	s_and_saveexec_b32 s34, s21
	s_cbranch_execnz .LBB1525_590
.LBB1525_520:                           ;   in Loop: Header=BB1525_410 Depth=2
	s_or_b32 exec_lo, exec_lo, s34
	s_and_saveexec_b32 s34, s22
	s_cbranch_execnz .LBB1525_591
.LBB1525_521:                           ;   in Loop: Header=BB1525_410 Depth=2
	s_or_b32 exec_lo, exec_lo, s34
	s_and_saveexec_b32 s34, s23
	s_cbranch_execnz .LBB1525_592
.LBB1525_522:                           ;   in Loop: Header=BB1525_410 Depth=2
	s_or_b32 exec_lo, exec_lo, s34
	s_and_saveexec_b32 s34, s24
	s_cbranch_execnz .LBB1525_593
.LBB1525_523:                           ;   in Loop: Header=BB1525_410 Depth=2
	s_or_b32 exec_lo, exec_lo, s34
	s_and_saveexec_b32 s34, s25
	s_cbranch_execnz .LBB1525_594
.LBB1525_524:                           ;   in Loop: Header=BB1525_410 Depth=2
	s_or_b32 exec_lo, exec_lo, s34
	s_and_saveexec_b32 s34, s26
	s_cbranch_execnz .LBB1525_595
.LBB1525_525:                           ;   in Loop: Header=BB1525_410 Depth=2
	s_or_b32 exec_lo, exec_lo, s34
	s_and_saveexec_b32 s34, s27
	s_cbranch_execnz .LBB1525_596
.LBB1525_526:                           ;   in Loop: Header=BB1525_410 Depth=2
	s_or_b32 exec_lo, exec_lo, s34
	s_and_saveexec_b32 s34, s28
	s_cbranch_execnz .LBB1525_597
.LBB1525_527:                           ;   in Loop: Header=BB1525_410 Depth=2
	s_or_b32 exec_lo, exec_lo, s34
	s_and_saveexec_b32 s34, s29
	s_cbranch_execnz .LBB1525_598
.LBB1525_528:                           ;   in Loop: Header=BB1525_410 Depth=2
	s_or_b32 exec_lo, exec_lo, s34
	s_and_saveexec_b32 s34, s30
	s_cbranch_execnz .LBB1525_599
.LBB1525_529:                           ;   in Loop: Header=BB1525_410 Depth=2
	s_or_b32 exec_lo, exec_lo, s34
	s_and_saveexec_b32 s34, s31
	s_cbranch_execnz .LBB1525_600
.LBB1525_530:                           ;   in Loop: Header=BB1525_410 Depth=2
	s_or_b32 exec_lo, exec_lo, s34
	s_and_saveexec_b32 s34, s33
	s_cbranch_execz .LBB1525_532
.LBB1525_531:                           ;   in Loop: Header=BB1525_410 Depth=2
	ds_load_u8 v4, v10 offset:4608
	s_wait_dscnt 0x0
	v_lshrrev_b32_e32 v4, s57, v4
	s_delay_alu instid0(VALU_DEP_1)
	v_and_b32_e32 v119, s58, v4
.LBB1525_532:                           ;   in Loop: Header=BB1525_410 Depth=2
	s_or_b32 exec_lo, exec_lo, s34
	v_dual_lshlrev_b32 v4, 3, v152 :: v_dual_lshlrev_b32 v5, 3, v151
	s_wait_loadcnt 0x0
	s_wait_storecnt 0x0
	s_barrier_signal -1
	s_barrier_wait -1
	ds_store_b64 v4, v[68:69] offset:512
	ds_store_b64 v5, v[66:67] offset:512
	v_dual_lshlrev_b32 v4, 3, v150 :: v_dual_lshlrev_b32 v5, 3, v149
	v_dual_lshlrev_b32 v8, 3, v148 :: v_dual_lshlrev_b32 v70, 3, v147
	v_lshlrev_b32_e32 v138, 3, v146
	ds_store_b64 v4, v[64:65] offset:512
	ds_store_b64 v5, v[62:63] offset:512
	ds_store_b64 v8, v[60:61] offset:512
	ds_store_b64 v70, v[58:59] offset:512
	ds_store_b64 v138, v[56:57] offset:512
	v_dual_lshlrev_b32 v4, 3, v145 :: v_dual_lshlrev_b32 v5, 3, v144
	v_dual_lshlrev_b32 v8, 3, v143 :: v_dual_lshlrev_b32 v70, 3, v142
	v_lshlrev_b32_e32 v138, 3, v141
	ds_store_b64 v4, v[54:55] offset:512
	ds_store_b64 v5, v[52:53] offset:512
	ds_store_b64 v8, v[50:51] offset:512
	;; [unrolled: 8-line block ×3, first 2 shown]
	ds_store_b64 v7, v[38:39] offset:512
	ds_store_b64 v6, v[36:37] offset:512
	s_wait_dscnt 0x0
	s_barrier_signal -1
	s_barrier_wait -1
	s_and_saveexec_b32 s34, vcc_lo
	s_cbranch_execnz .LBB1525_601
; %bb.533:                              ;   in Loop: Header=BB1525_410 Depth=2
	s_or_b32 exec_lo, exec_lo, s34
	s_and_saveexec_b32 s34, s17
	s_cbranch_execnz .LBB1525_602
.LBB1525_534:                           ;   in Loop: Header=BB1525_410 Depth=2
	s_or_b32 exec_lo, exec_lo, s34
	s_and_saveexec_b32 s17, s18
	s_cbranch_execnz .LBB1525_603
.LBB1525_535:                           ;   in Loop: Header=BB1525_410 Depth=2
	s_or_b32 exec_lo, exec_lo, s17
	s_and_saveexec_b32 s17, s19
	s_cbranch_execnz .LBB1525_604
.LBB1525_536:                           ;   in Loop: Header=BB1525_410 Depth=2
	s_or_b32 exec_lo, exec_lo, s17
	s_and_saveexec_b32 s17, s20
	s_cbranch_execnz .LBB1525_605
.LBB1525_537:                           ;   in Loop: Header=BB1525_410 Depth=2
	s_or_b32 exec_lo, exec_lo, s17
	s_and_saveexec_b32 s17, s21
	s_cbranch_execnz .LBB1525_606
.LBB1525_538:                           ;   in Loop: Header=BB1525_410 Depth=2
	s_or_b32 exec_lo, exec_lo, s17
	s_and_saveexec_b32 s17, s22
	s_cbranch_execnz .LBB1525_607
.LBB1525_539:                           ;   in Loop: Header=BB1525_410 Depth=2
	s_or_b32 exec_lo, exec_lo, s17
	s_and_saveexec_b32 s17, s23
	s_cbranch_execnz .LBB1525_608
.LBB1525_540:                           ;   in Loop: Header=BB1525_410 Depth=2
	s_or_b32 exec_lo, exec_lo, s17
	s_and_saveexec_b32 s17, s24
	s_cbranch_execnz .LBB1525_609
.LBB1525_541:                           ;   in Loop: Header=BB1525_410 Depth=2
	s_or_b32 exec_lo, exec_lo, s17
	s_and_saveexec_b32 s17, s25
	s_cbranch_execnz .LBB1525_610
.LBB1525_542:                           ;   in Loop: Header=BB1525_410 Depth=2
	s_or_b32 exec_lo, exec_lo, s17
	s_and_saveexec_b32 s17, s26
	s_cbranch_execnz .LBB1525_611
.LBB1525_543:                           ;   in Loop: Header=BB1525_410 Depth=2
	s_or_b32 exec_lo, exec_lo, s17
	s_and_saveexec_b32 s17, s27
	s_cbranch_execnz .LBB1525_612
.LBB1525_544:                           ;   in Loop: Header=BB1525_410 Depth=2
	s_or_b32 exec_lo, exec_lo, s17
	s_and_saveexec_b32 s17, s28
	s_cbranch_execnz .LBB1525_613
.LBB1525_545:                           ;   in Loop: Header=BB1525_410 Depth=2
	s_or_b32 exec_lo, exec_lo, s17
	s_and_saveexec_b32 s17, s29
	s_cbranch_execnz .LBB1525_614
.LBB1525_546:                           ;   in Loop: Header=BB1525_410 Depth=2
	s_or_b32 exec_lo, exec_lo, s17
	s_and_saveexec_b32 s17, s30
	s_cbranch_execnz .LBB1525_615
.LBB1525_547:                           ;   in Loop: Header=BB1525_410 Depth=2
	s_or_b32 exec_lo, exec_lo, s17
	s_and_saveexec_b32 s17, s31
	s_cbranch_execnz .LBB1525_616
.LBB1525_548:                           ;   in Loop: Header=BB1525_410 Depth=2
	s_or_b32 exec_lo, exec_lo, s17
	s_and_saveexec_b32 s17, s33
	s_cbranch_execz .LBB1525_550
.LBB1525_549:                           ;   in Loop: Header=BB1525_410 Depth=2
	v_dual_lshlrev_b32 v4, 2, v119 :: v_dual_add_nc_u32 v5, v10, v100
	ds_load_b32 v6, v4
	ds_load_b64 v[4:5], v5 offset:33280
	s_wait_dscnt 0x1
	v_add_nc_u32_e32 v6, v6, v87
	s_wait_dscnt 0x0
	global_store_b64 v6, v[4:5], s[46:47] scale_offset
.LBB1525_550:                           ;   in Loop: Header=BB1525_410 Depth=2
	s_wait_xcnt 0x0
	s_or_b32 exec_lo, exec_lo, s17
	s_wait_storecnt 0x0
	s_barrier_signal -1
	s_barrier_wait -1
	s_and_saveexec_b32 s17, s0
	s_cbranch_execz .LBB1525_409
; %bb.551:                              ;   in Loop: Header=BB1525_410 Depth=2
	ds_load_b32 v4, v9
	s_wait_dscnt 0x0
	v_add3_u32 v4, v136, v137, v4
	ds_store_b32 v9, v4
	s_branch .LBB1525_409
.LBB1525_552:                           ;   in Loop: Header=BB1525_410 Depth=2
	ds_load_u8 v4, v10 offset:512
	s_wait_dscnt 0x0
	v_and_b32_e32 v5, 1, v4
	s_delay_alu instid0(VALU_DEP_1) | instskip(NEXT) | instid1(VALU_DEP_1)
	v_dual_lshrrev_b32 v5, s57, v5 :: v_dual_bitop2_b32 v4, 1, v4 bitop3:0x14
	v_and_b32_e32 v5, s58, v5
	s_delay_alu instid0(VALU_DEP_1)
	v_lshlrev_b32_e32 v5, 2, v5
	ds_load_b32 v5, v5
	s_wait_dscnt 0x0
	v_add_nc_u32_e32 v5, v5, v10
	global_store_b8 v5, v4, s[40:41]
	s_wait_xcnt 0x0
	s_or_b32 exec_lo, exec_lo, s17
	v_cmp_lt_u32_e64 s17, v72, v70
	s_and_saveexec_b32 s18, s17
	s_cbranch_execz .LBB1525_481
.LBB1525_553:                           ;   in Loop: Header=BB1525_410 Depth=2
	ds_load_u8 v4, v10 offset:768
	s_wait_dscnt 0x0
	v_and_b32_e32 v5, 1, v4
	s_delay_alu instid0(VALU_DEP_1) | instskip(NEXT) | instid1(VALU_DEP_1)
	v_dual_lshrrev_b32 v5, s57, v5 :: v_dual_bitop2_b32 v4, 1, v4 bitop3:0x14
	v_and_b32_e32 v5, s58, v5
	s_delay_alu instid0(VALU_DEP_1)
	v_lshlrev_b32_e32 v5, 2, v5
	ds_load_b32 v5, v5
	s_wait_dscnt 0x0
	v_add_nc_u32_e32 v5, v5, v72
	global_store_b8 v5, v4, s[40:41]
	s_wait_xcnt 0x0
	s_or_b32 exec_lo, exec_lo, s18
	v_cmp_lt_u32_e64 s18, v73, v70
	s_and_saveexec_b32 s19, s18
	s_cbranch_execz .LBB1525_482
.LBB1525_554:                           ;   in Loop: Header=BB1525_410 Depth=2
	ds_load_u8 v4, v10 offset:1024
	s_wait_dscnt 0x0
	v_and_b32_e32 v5, 1, v4
	s_delay_alu instid0(VALU_DEP_1) | instskip(NEXT) | instid1(VALU_DEP_1)
	v_dual_lshrrev_b32 v5, s57, v5 :: v_dual_bitop2_b32 v4, 1, v4 bitop3:0x14
	v_and_b32_e32 v5, s58, v5
	s_delay_alu instid0(VALU_DEP_1)
	v_lshlrev_b32_e32 v5, 2, v5
	ds_load_b32 v5, v5
	s_wait_dscnt 0x0
	v_add_nc_u32_e32 v5, v5, v73
	global_store_b8 v5, v4, s[40:41]
	s_wait_xcnt 0x0
	s_or_b32 exec_lo, exec_lo, s19
	v_cmp_lt_u32_e64 s19, v74, v70
	s_and_saveexec_b32 s20, s19
	s_cbranch_execz .LBB1525_483
.LBB1525_555:                           ;   in Loop: Header=BB1525_410 Depth=2
	ds_load_u8 v4, v10 offset:1280
	s_wait_dscnt 0x0
	v_and_b32_e32 v5, 1, v4
	s_delay_alu instid0(VALU_DEP_1) | instskip(NEXT) | instid1(VALU_DEP_1)
	v_dual_lshrrev_b32 v5, s57, v5 :: v_dual_bitop2_b32 v4, 1, v4 bitop3:0x14
	v_and_b32_e32 v5, s58, v5
	s_delay_alu instid0(VALU_DEP_1)
	v_lshlrev_b32_e32 v5, 2, v5
	ds_load_b32 v5, v5
	s_wait_dscnt 0x0
	v_add_nc_u32_e32 v5, v5, v74
	global_store_b8 v5, v4, s[40:41]
	s_wait_xcnt 0x0
	s_or_b32 exec_lo, exec_lo, s20
	v_cmp_lt_u32_e64 s20, v75, v70
	s_and_saveexec_b32 s21, s20
	s_cbranch_execz .LBB1525_484
.LBB1525_556:                           ;   in Loop: Header=BB1525_410 Depth=2
	ds_load_u8 v4, v10 offset:1536
	s_wait_dscnt 0x0
	v_and_b32_e32 v5, 1, v4
	s_delay_alu instid0(VALU_DEP_1) | instskip(NEXT) | instid1(VALU_DEP_1)
	v_dual_lshrrev_b32 v5, s57, v5 :: v_dual_bitop2_b32 v4, 1, v4 bitop3:0x14
	v_and_b32_e32 v5, s58, v5
	s_delay_alu instid0(VALU_DEP_1)
	v_lshlrev_b32_e32 v5, 2, v5
	ds_load_b32 v5, v5
	s_wait_dscnt 0x0
	v_add_nc_u32_e32 v5, v5, v75
	global_store_b8 v5, v4, s[40:41]
	s_wait_xcnt 0x0
	s_or_b32 exec_lo, exec_lo, s21
	v_cmp_lt_u32_e64 s21, v76, v70
	s_and_saveexec_b32 s22, s21
	s_cbranch_execz .LBB1525_485
.LBB1525_557:                           ;   in Loop: Header=BB1525_410 Depth=2
	ds_load_u8 v4, v10 offset:1792
	s_wait_dscnt 0x0
	v_and_b32_e32 v5, 1, v4
	s_delay_alu instid0(VALU_DEP_1) | instskip(NEXT) | instid1(VALU_DEP_1)
	v_dual_lshrrev_b32 v5, s57, v5 :: v_dual_bitop2_b32 v4, 1, v4 bitop3:0x14
	v_and_b32_e32 v5, s58, v5
	s_delay_alu instid0(VALU_DEP_1)
	v_lshlrev_b32_e32 v5, 2, v5
	ds_load_b32 v5, v5
	s_wait_dscnt 0x0
	v_add_nc_u32_e32 v5, v5, v76
	global_store_b8 v5, v4, s[40:41]
	s_wait_xcnt 0x0
	s_or_b32 exec_lo, exec_lo, s22
	v_cmp_lt_u32_e64 s22, v77, v70
	s_and_saveexec_b32 s23, s22
	s_cbranch_execz .LBB1525_486
.LBB1525_558:                           ;   in Loop: Header=BB1525_410 Depth=2
	ds_load_u8 v4, v10 offset:2048
	s_wait_dscnt 0x0
	v_and_b32_e32 v5, 1, v4
	s_delay_alu instid0(VALU_DEP_1) | instskip(NEXT) | instid1(VALU_DEP_1)
	v_dual_lshrrev_b32 v5, s57, v5 :: v_dual_bitop2_b32 v4, 1, v4 bitop3:0x14
	v_and_b32_e32 v5, s58, v5
	s_delay_alu instid0(VALU_DEP_1)
	v_lshlrev_b32_e32 v5, 2, v5
	ds_load_b32 v5, v5
	s_wait_dscnt 0x0
	v_add_nc_u32_e32 v5, v5, v77
	global_store_b8 v5, v4, s[40:41]
	s_wait_xcnt 0x0
	s_or_b32 exec_lo, exec_lo, s23
	v_cmp_lt_u32_e64 s23, v78, v70
	s_and_saveexec_b32 s24, s23
	s_cbranch_execz .LBB1525_487
.LBB1525_559:                           ;   in Loop: Header=BB1525_410 Depth=2
	ds_load_u8 v4, v10 offset:2304
	s_wait_dscnt 0x0
	v_and_b32_e32 v5, 1, v4
	s_delay_alu instid0(VALU_DEP_1) | instskip(NEXT) | instid1(VALU_DEP_1)
	v_dual_lshrrev_b32 v5, s57, v5 :: v_dual_bitop2_b32 v4, 1, v4 bitop3:0x14
	v_and_b32_e32 v5, s58, v5
	s_delay_alu instid0(VALU_DEP_1)
	v_lshlrev_b32_e32 v5, 2, v5
	ds_load_b32 v5, v5
	s_wait_dscnt 0x0
	v_add_nc_u32_e32 v5, v5, v78
	global_store_b8 v5, v4, s[40:41]
	s_wait_xcnt 0x0
	s_or_b32 exec_lo, exec_lo, s24
	v_cmp_lt_u32_e64 s24, v79, v70
	s_and_saveexec_b32 s25, s24
	s_cbranch_execz .LBB1525_488
.LBB1525_560:                           ;   in Loop: Header=BB1525_410 Depth=2
	ds_load_u8 v4, v10 offset:2560
	s_wait_dscnt 0x0
	v_and_b32_e32 v5, 1, v4
	s_delay_alu instid0(VALU_DEP_1) | instskip(NEXT) | instid1(VALU_DEP_1)
	v_dual_lshrrev_b32 v5, s57, v5 :: v_dual_bitop2_b32 v4, 1, v4 bitop3:0x14
	v_and_b32_e32 v5, s58, v5
	s_delay_alu instid0(VALU_DEP_1)
	v_lshlrev_b32_e32 v5, 2, v5
	ds_load_b32 v5, v5
	s_wait_dscnt 0x0
	v_add_nc_u32_e32 v5, v5, v79
	global_store_b8 v5, v4, s[40:41]
	s_wait_xcnt 0x0
	s_or_b32 exec_lo, exec_lo, s25
	v_cmp_lt_u32_e64 s25, v80, v70
	s_and_saveexec_b32 s26, s25
	s_cbranch_execz .LBB1525_489
.LBB1525_561:                           ;   in Loop: Header=BB1525_410 Depth=2
	ds_load_u8 v4, v10 offset:2816
	s_wait_dscnt 0x0
	v_and_b32_e32 v5, 1, v4
	s_delay_alu instid0(VALU_DEP_1) | instskip(NEXT) | instid1(VALU_DEP_1)
	v_dual_lshrrev_b32 v5, s57, v5 :: v_dual_bitop2_b32 v4, 1, v4 bitop3:0x14
	v_and_b32_e32 v5, s58, v5
	s_delay_alu instid0(VALU_DEP_1)
	v_lshlrev_b32_e32 v5, 2, v5
	ds_load_b32 v5, v5
	s_wait_dscnt 0x0
	v_add_nc_u32_e32 v5, v5, v80
	global_store_b8 v5, v4, s[40:41]
	s_wait_xcnt 0x0
	s_or_b32 exec_lo, exec_lo, s26
	v_cmp_lt_u32_e64 s26, v81, v70
	s_and_saveexec_b32 s27, s26
	s_cbranch_execz .LBB1525_490
.LBB1525_562:                           ;   in Loop: Header=BB1525_410 Depth=2
	ds_load_u8 v4, v10 offset:3072
	s_wait_dscnt 0x0
	v_and_b32_e32 v5, 1, v4
	s_delay_alu instid0(VALU_DEP_1) | instskip(NEXT) | instid1(VALU_DEP_1)
	v_dual_lshrrev_b32 v5, s57, v5 :: v_dual_bitop2_b32 v4, 1, v4 bitop3:0x14
	v_and_b32_e32 v5, s58, v5
	s_delay_alu instid0(VALU_DEP_1)
	v_lshlrev_b32_e32 v5, 2, v5
	ds_load_b32 v5, v5
	s_wait_dscnt 0x0
	v_add_nc_u32_e32 v5, v5, v81
	global_store_b8 v5, v4, s[40:41]
	s_wait_xcnt 0x0
	s_or_b32 exec_lo, exec_lo, s27
	v_cmp_lt_u32_e64 s27, v82, v70
	s_and_saveexec_b32 s28, s27
	s_cbranch_execz .LBB1525_491
.LBB1525_563:                           ;   in Loop: Header=BB1525_410 Depth=2
	ds_load_u8 v4, v10 offset:3328
	s_wait_dscnt 0x0
	v_and_b32_e32 v5, 1, v4
	s_delay_alu instid0(VALU_DEP_1) | instskip(NEXT) | instid1(VALU_DEP_1)
	v_dual_lshrrev_b32 v5, s57, v5 :: v_dual_bitop2_b32 v4, 1, v4 bitop3:0x14
	v_and_b32_e32 v5, s58, v5
	s_delay_alu instid0(VALU_DEP_1)
	v_lshlrev_b32_e32 v5, 2, v5
	ds_load_b32 v5, v5
	s_wait_dscnt 0x0
	v_add_nc_u32_e32 v5, v5, v82
	global_store_b8 v5, v4, s[40:41]
	s_wait_xcnt 0x0
	s_or_b32 exec_lo, exec_lo, s28
	v_cmp_lt_u32_e64 s28, v83, v70
	s_and_saveexec_b32 s29, s28
	s_cbranch_execz .LBB1525_492
.LBB1525_564:                           ;   in Loop: Header=BB1525_410 Depth=2
	ds_load_u8 v4, v10 offset:3584
	s_wait_dscnt 0x0
	v_and_b32_e32 v5, 1, v4
	s_delay_alu instid0(VALU_DEP_1) | instskip(NEXT) | instid1(VALU_DEP_1)
	v_dual_lshrrev_b32 v5, s57, v5 :: v_dual_bitop2_b32 v4, 1, v4 bitop3:0x14
	v_and_b32_e32 v5, s58, v5
	s_delay_alu instid0(VALU_DEP_1)
	v_lshlrev_b32_e32 v5, 2, v5
	ds_load_b32 v5, v5
	s_wait_dscnt 0x0
	v_add_nc_u32_e32 v5, v5, v83
	global_store_b8 v5, v4, s[40:41]
	s_wait_xcnt 0x0
	s_or_b32 exec_lo, exec_lo, s29
	v_cmp_lt_u32_e64 s29, v84, v70
	s_and_saveexec_b32 s30, s29
	s_cbranch_execz .LBB1525_493
.LBB1525_565:                           ;   in Loop: Header=BB1525_410 Depth=2
	ds_load_u8 v4, v10 offset:3840
	s_wait_dscnt 0x0
	v_and_b32_e32 v5, 1, v4
	s_delay_alu instid0(VALU_DEP_1) | instskip(NEXT) | instid1(VALU_DEP_1)
	v_dual_lshrrev_b32 v5, s57, v5 :: v_dual_bitop2_b32 v4, 1, v4 bitop3:0x14
	v_and_b32_e32 v5, s58, v5
	s_delay_alu instid0(VALU_DEP_1)
	v_lshlrev_b32_e32 v5, 2, v5
	ds_load_b32 v5, v5
	s_wait_dscnt 0x0
	v_add_nc_u32_e32 v5, v5, v84
	global_store_b8 v5, v4, s[40:41]
	s_wait_xcnt 0x0
	s_or_b32 exec_lo, exec_lo, s30
	v_cmp_lt_u32_e64 s30, v85, v70
	s_and_saveexec_b32 s31, s30
	s_cbranch_execz .LBB1525_494
.LBB1525_566:                           ;   in Loop: Header=BB1525_410 Depth=2
	ds_load_u8 v4, v10 offset:4096
	s_wait_dscnt 0x0
	v_and_b32_e32 v5, 1, v4
	s_delay_alu instid0(VALU_DEP_1) | instskip(NEXT) | instid1(VALU_DEP_1)
	v_dual_lshrrev_b32 v5, s57, v5 :: v_dual_bitop2_b32 v4, 1, v4 bitop3:0x14
	v_and_b32_e32 v5, s58, v5
	s_delay_alu instid0(VALU_DEP_1)
	v_lshlrev_b32_e32 v5, 2, v5
	ds_load_b32 v5, v5
	s_wait_dscnt 0x0
	v_add_nc_u32_e32 v5, v5, v85
	global_store_b8 v5, v4, s[40:41]
	s_wait_xcnt 0x0
	s_or_b32 exec_lo, exec_lo, s31
	v_cmp_lt_u32_e64 s31, v86, v70
	s_and_saveexec_b32 s33, s31
	s_cbranch_execz .LBB1525_495
.LBB1525_567:                           ;   in Loop: Header=BB1525_410 Depth=2
	ds_load_u8 v4, v10 offset:4352
	s_wait_dscnt 0x0
	v_and_b32_e32 v5, 1, v4
	s_delay_alu instid0(VALU_DEP_1) | instskip(NEXT) | instid1(VALU_DEP_1)
	v_dual_lshrrev_b32 v5, s57, v5 :: v_dual_bitop2_b32 v4, 1, v4 bitop3:0x14
	v_and_b32_e32 v5, s58, v5
	s_delay_alu instid0(VALU_DEP_1)
	v_lshlrev_b32_e32 v5, 2, v5
	ds_load_b32 v5, v5
	s_wait_dscnt 0x0
	v_add_nc_u32_e32 v5, v5, v86
	global_store_b8 v5, v4, s[40:41]
	s_wait_xcnt 0x0
	s_or_b32 exec_lo, exec_lo, s33
	v_cmp_lt_u32_e64 s33, v87, v70
	s_and_saveexec_b32 s34, s33
	s_cbranch_execnz .LBB1525_496
	s_branch .LBB1525_497
.LBB1525_568:                           ;   in Loop: Header=BB1525_410 Depth=2
	global_load_b64 v[68:69], v[4:5], off
	s_wait_xcnt 0x0
	s_or_b32 exec_lo, exec_lo, s34
	s_delay_alu instid0(SALU_CYCLE_1)
	s_mov_b32 s42, exec_lo
	v_cmpx_lt_u32_e64 v103, v70
	s_cbranch_execz .LBB1525_499
.LBB1525_569:                           ;   in Loop: Header=BB1525_410 Depth=2
	global_load_b64 v[66:67], v[4:5], off offset:256
	s_wait_xcnt 0x0
	s_or_b32 exec_lo, exec_lo, s42
	s_delay_alu instid0(SALU_CYCLE_1)
	s_mov_b32 s42, exec_lo
	v_cmpx_lt_u32_e64 v104, v70
	s_cbranch_execz .LBB1525_500
.LBB1525_570:                           ;   in Loop: Header=BB1525_410 Depth=2
	global_load_b64 v[64:65], v[4:5], off offset:512
	s_wait_xcnt 0x0
	s_or_b32 exec_lo, exec_lo, s42
	s_delay_alu instid0(SALU_CYCLE_1)
	s_mov_b32 s42, exec_lo
	v_cmpx_lt_u32_e64 v105, v70
	s_cbranch_execz .LBB1525_501
.LBB1525_571:                           ;   in Loop: Header=BB1525_410 Depth=2
	global_load_b64 v[62:63], v[4:5], off offset:768
	s_wait_xcnt 0x0
	s_or_b32 exec_lo, exec_lo, s42
	s_delay_alu instid0(SALU_CYCLE_1)
	s_mov_b32 s42, exec_lo
	v_cmpx_lt_u32_e64 v106, v70
	s_cbranch_execz .LBB1525_502
.LBB1525_572:                           ;   in Loop: Header=BB1525_410 Depth=2
	global_load_b64 v[60:61], v[4:5], off offset:1024
	s_wait_xcnt 0x0
	s_or_b32 exec_lo, exec_lo, s42
	s_delay_alu instid0(SALU_CYCLE_1)
	s_mov_b32 s42, exec_lo
	v_cmpx_lt_u32_e64 v107, v70
	s_cbranch_execz .LBB1525_503
.LBB1525_573:                           ;   in Loop: Header=BB1525_410 Depth=2
	global_load_b64 v[58:59], v[4:5], off offset:1280
	s_wait_xcnt 0x0
	s_or_b32 exec_lo, exec_lo, s42
	s_delay_alu instid0(SALU_CYCLE_1)
	s_mov_b32 s42, exec_lo
	v_cmpx_lt_u32_e64 v108, v70
	s_cbranch_execz .LBB1525_504
.LBB1525_574:                           ;   in Loop: Header=BB1525_410 Depth=2
	global_load_b64 v[56:57], v[4:5], off offset:1536
	s_wait_xcnt 0x0
	s_or_b32 exec_lo, exec_lo, s42
	s_delay_alu instid0(SALU_CYCLE_1)
	s_mov_b32 s42, exec_lo
	v_cmpx_lt_u32_e64 v109, v70
	s_cbranch_execz .LBB1525_505
.LBB1525_575:                           ;   in Loop: Header=BB1525_410 Depth=2
	global_load_b64 v[54:55], v[4:5], off offset:1792
	s_wait_xcnt 0x0
	s_or_b32 exec_lo, exec_lo, s42
	s_delay_alu instid0(SALU_CYCLE_1)
	s_mov_b32 s42, exec_lo
	v_cmpx_lt_u32_e64 v110, v70
	s_cbranch_execz .LBB1525_506
.LBB1525_576:                           ;   in Loop: Header=BB1525_410 Depth=2
	global_load_b64 v[52:53], v[4:5], off offset:2048
	s_wait_xcnt 0x0
	s_or_b32 exec_lo, exec_lo, s42
	s_delay_alu instid0(SALU_CYCLE_1)
	s_mov_b32 s42, exec_lo
	v_cmpx_lt_u32_e64 v111, v70
	s_cbranch_execz .LBB1525_507
.LBB1525_577:                           ;   in Loop: Header=BB1525_410 Depth=2
	global_load_b64 v[50:51], v[4:5], off offset:2304
	s_wait_xcnt 0x0
	s_or_b32 exec_lo, exec_lo, s42
	s_delay_alu instid0(SALU_CYCLE_1)
	s_mov_b32 s42, exec_lo
	v_cmpx_lt_u32_e64 v112, v70
	s_cbranch_execz .LBB1525_508
.LBB1525_578:                           ;   in Loop: Header=BB1525_410 Depth=2
	global_load_b64 v[48:49], v[4:5], off offset:2560
	s_wait_xcnt 0x0
	s_or_b32 exec_lo, exec_lo, s42
	s_delay_alu instid0(SALU_CYCLE_1)
	s_mov_b32 s42, exec_lo
	v_cmpx_lt_u32_e64 v113, v70
	s_cbranch_execz .LBB1525_509
.LBB1525_579:                           ;   in Loop: Header=BB1525_410 Depth=2
	global_load_b64 v[46:47], v[4:5], off offset:2816
	s_wait_xcnt 0x0
	s_or_b32 exec_lo, exec_lo, s42
	s_delay_alu instid0(SALU_CYCLE_1)
	s_mov_b32 s42, exec_lo
	v_cmpx_lt_u32_e64 v114, v70
	s_cbranch_execz .LBB1525_510
.LBB1525_580:                           ;   in Loop: Header=BB1525_410 Depth=2
	global_load_b64 v[44:45], v[4:5], off offset:3072
	s_wait_xcnt 0x0
	s_or_b32 exec_lo, exec_lo, s42
	s_delay_alu instid0(SALU_CYCLE_1)
	s_mov_b32 s42, exec_lo
	v_cmpx_lt_u32_e64 v115, v70
	s_cbranch_execz .LBB1525_511
.LBB1525_581:                           ;   in Loop: Header=BB1525_410 Depth=2
	global_load_b64 v[42:43], v[4:5], off offset:3328
	s_wait_xcnt 0x0
	s_or_b32 exec_lo, exec_lo, s42
	s_delay_alu instid0(SALU_CYCLE_1)
	s_mov_b32 s42, exec_lo
	v_cmpx_lt_u32_e64 v116, v70
	s_cbranch_execz .LBB1525_512
.LBB1525_582:                           ;   in Loop: Header=BB1525_410 Depth=2
	global_load_b64 v[40:41], v[4:5], off offset:3584
	s_wait_xcnt 0x0
	s_or_b32 exec_lo, exec_lo, s42
	s_delay_alu instid0(SALU_CYCLE_1)
	s_mov_b32 s42, exec_lo
	v_cmpx_lt_u32_e64 v117, v70
	s_cbranch_execz .LBB1525_513
.LBB1525_583:                           ;   in Loop: Header=BB1525_410 Depth=2
	global_load_b64 v[38:39], v[4:5], off offset:3840
	s_wait_xcnt 0x0
	s_or_b32 exec_lo, exec_lo, s42
	s_delay_alu instid0(SALU_CYCLE_1)
	s_mov_b32 s42, exec_lo
	v_cmpx_lt_u32_e64 v118, v70
	s_cbranch_execz .LBB1525_514
.LBB1525_584:                           ;   in Loop: Header=BB1525_410 Depth=2
	global_load_b64 v[36:37], v[4:5], off offset:4096
	s_wait_xcnt 0x0
	s_or_b32 exec_lo, exec_lo, s42
	s_and_saveexec_b32 s34, vcc_lo
	s_cbranch_execz .LBB1525_515
.LBB1525_585:                           ;   in Loop: Header=BB1525_410 Depth=2
	ds_load_u8 v4, v10 offset:512
	s_wait_dscnt 0x0
	v_lshrrev_b32_e32 v4, s57, v4
	s_delay_alu instid0(VALU_DEP_1)
	v_and_b32_e32 v135, s58, v4
	s_or_b32 exec_lo, exec_lo, s34
	s_and_saveexec_b32 s34, s17
	s_cbranch_execz .LBB1525_516
.LBB1525_586:                           ;   in Loop: Header=BB1525_410 Depth=2
	ds_load_u8 v4, v10 offset:768
	s_wait_dscnt 0x0
	v_lshrrev_b32_e32 v4, s57, v4
	s_delay_alu instid0(VALU_DEP_1)
	v_and_b32_e32 v134, s58, v4
	s_or_b32 exec_lo, exec_lo, s34
	s_and_saveexec_b32 s34, s18
	s_cbranch_execz .LBB1525_517
.LBB1525_587:                           ;   in Loop: Header=BB1525_410 Depth=2
	ds_load_u8 v4, v10 offset:1024
	s_wait_dscnt 0x0
	v_lshrrev_b32_e32 v4, s57, v4
	s_delay_alu instid0(VALU_DEP_1)
	v_and_b32_e32 v133, s58, v4
	s_or_b32 exec_lo, exec_lo, s34
	s_and_saveexec_b32 s34, s19
	s_cbranch_execz .LBB1525_518
.LBB1525_588:                           ;   in Loop: Header=BB1525_410 Depth=2
	ds_load_u8 v4, v10 offset:1280
	s_wait_dscnt 0x0
	v_lshrrev_b32_e32 v4, s57, v4
	s_delay_alu instid0(VALU_DEP_1)
	v_and_b32_e32 v132, s58, v4
	s_or_b32 exec_lo, exec_lo, s34
	s_and_saveexec_b32 s34, s20
	s_cbranch_execz .LBB1525_519
.LBB1525_589:                           ;   in Loop: Header=BB1525_410 Depth=2
	ds_load_u8 v4, v10 offset:1536
	s_wait_dscnt 0x0
	v_lshrrev_b32_e32 v4, s57, v4
	s_delay_alu instid0(VALU_DEP_1)
	v_and_b32_e32 v131, s58, v4
	s_or_b32 exec_lo, exec_lo, s34
	s_and_saveexec_b32 s34, s21
	s_cbranch_execz .LBB1525_520
.LBB1525_590:                           ;   in Loop: Header=BB1525_410 Depth=2
	ds_load_u8 v4, v10 offset:1792
	s_wait_dscnt 0x0
	v_lshrrev_b32_e32 v4, s57, v4
	s_delay_alu instid0(VALU_DEP_1)
	v_and_b32_e32 v130, s58, v4
	s_or_b32 exec_lo, exec_lo, s34
	s_and_saveexec_b32 s34, s22
	s_cbranch_execz .LBB1525_521
.LBB1525_591:                           ;   in Loop: Header=BB1525_410 Depth=2
	ds_load_u8 v4, v10 offset:2048
	s_wait_dscnt 0x0
	v_lshrrev_b32_e32 v4, s57, v4
	s_delay_alu instid0(VALU_DEP_1)
	v_and_b32_e32 v129, s58, v4
	s_or_b32 exec_lo, exec_lo, s34
	s_and_saveexec_b32 s34, s23
	s_cbranch_execz .LBB1525_522
.LBB1525_592:                           ;   in Loop: Header=BB1525_410 Depth=2
	ds_load_u8 v4, v10 offset:2304
	s_wait_dscnt 0x0
	v_lshrrev_b32_e32 v4, s57, v4
	s_delay_alu instid0(VALU_DEP_1)
	v_and_b32_e32 v128, s58, v4
	s_or_b32 exec_lo, exec_lo, s34
	s_and_saveexec_b32 s34, s24
	s_cbranch_execz .LBB1525_523
.LBB1525_593:                           ;   in Loop: Header=BB1525_410 Depth=2
	ds_load_u8 v4, v10 offset:2560
	s_wait_dscnt 0x0
	v_lshrrev_b32_e32 v4, s57, v4
	s_delay_alu instid0(VALU_DEP_1)
	v_and_b32_e32 v127, s58, v4
	s_or_b32 exec_lo, exec_lo, s34
	s_and_saveexec_b32 s34, s25
	s_cbranch_execz .LBB1525_524
.LBB1525_594:                           ;   in Loop: Header=BB1525_410 Depth=2
	ds_load_u8 v4, v10 offset:2816
	s_wait_dscnt 0x0
	v_lshrrev_b32_e32 v4, s57, v4
	s_delay_alu instid0(VALU_DEP_1)
	v_and_b32_e32 v126, s58, v4
	s_or_b32 exec_lo, exec_lo, s34
	s_and_saveexec_b32 s34, s26
	s_cbranch_execz .LBB1525_525
.LBB1525_595:                           ;   in Loop: Header=BB1525_410 Depth=2
	ds_load_u8 v4, v10 offset:3072
	s_wait_dscnt 0x0
	v_lshrrev_b32_e32 v4, s57, v4
	s_delay_alu instid0(VALU_DEP_1)
	v_and_b32_e32 v125, s58, v4
	s_or_b32 exec_lo, exec_lo, s34
	s_and_saveexec_b32 s34, s27
	s_cbranch_execz .LBB1525_526
.LBB1525_596:                           ;   in Loop: Header=BB1525_410 Depth=2
	ds_load_u8 v4, v10 offset:3328
	s_wait_dscnt 0x0
	v_lshrrev_b32_e32 v4, s57, v4
	s_delay_alu instid0(VALU_DEP_1)
	v_and_b32_e32 v124, s58, v4
	s_or_b32 exec_lo, exec_lo, s34
	s_and_saveexec_b32 s34, s28
	s_cbranch_execz .LBB1525_527
.LBB1525_597:                           ;   in Loop: Header=BB1525_410 Depth=2
	ds_load_u8 v4, v10 offset:3584
	s_wait_dscnt 0x0
	v_lshrrev_b32_e32 v4, s57, v4
	s_delay_alu instid0(VALU_DEP_1)
	v_and_b32_e32 v123, s58, v4
	s_or_b32 exec_lo, exec_lo, s34
	s_and_saveexec_b32 s34, s29
	s_cbranch_execz .LBB1525_528
.LBB1525_598:                           ;   in Loop: Header=BB1525_410 Depth=2
	ds_load_u8 v4, v10 offset:3840
	s_wait_dscnt 0x0
	v_lshrrev_b32_e32 v4, s57, v4
	s_delay_alu instid0(VALU_DEP_1)
	v_and_b32_e32 v122, s58, v4
	s_or_b32 exec_lo, exec_lo, s34
	s_and_saveexec_b32 s34, s30
	s_cbranch_execz .LBB1525_529
.LBB1525_599:                           ;   in Loop: Header=BB1525_410 Depth=2
	ds_load_u8 v4, v10 offset:4096
	s_wait_dscnt 0x0
	v_lshrrev_b32_e32 v4, s57, v4
	s_delay_alu instid0(VALU_DEP_1)
	v_and_b32_e32 v121, s58, v4
	s_or_b32 exec_lo, exec_lo, s34
	s_and_saveexec_b32 s34, s31
	s_cbranch_execz .LBB1525_530
.LBB1525_600:                           ;   in Loop: Header=BB1525_410 Depth=2
	ds_load_u8 v4, v10 offset:4352
	s_wait_dscnt 0x0
	v_lshrrev_b32_e32 v4, s57, v4
	s_delay_alu instid0(VALU_DEP_1)
	v_and_b32_e32 v120, s58, v4
	s_or_b32 exec_lo, exec_lo, s34
	s_and_saveexec_b32 s34, s33
	s_cbranch_execnz .LBB1525_531
	s_branch .LBB1525_532
.LBB1525_601:                           ;   in Loop: Header=BB1525_410 Depth=2
	v_dual_lshlrev_b32 v4, 2, v135 :: v_dual_add_nc_u32 v5, v10, v100
	ds_load_b32 v6, v4
	ds_load_b64 v[4:5], v5 offset:512
	s_wait_dscnt 0x1
	v_add_nc_u32_e32 v6, v6, v10
	s_wait_dscnt 0x0
	global_store_b64 v6, v[4:5], s[46:47] scale_offset
	s_wait_xcnt 0x0
	s_or_b32 exec_lo, exec_lo, s34
	s_and_saveexec_b32 s34, s17
	s_cbranch_execz .LBB1525_534
.LBB1525_602:                           ;   in Loop: Header=BB1525_410 Depth=2
	v_dual_lshlrev_b32 v4, 2, v134 :: v_dual_add_nc_u32 v5, v10, v100
	ds_load_b32 v6, v4
	ds_load_b64 v[4:5], v5 offset:2560
	s_wait_dscnt 0x1
	v_add_nc_u32_e32 v6, v6, v72
	s_wait_dscnt 0x0
	global_store_b64 v6, v[4:5], s[46:47] scale_offset
	s_wait_xcnt 0x0
	s_or_b32 exec_lo, exec_lo, s34
	s_and_saveexec_b32 s17, s18
	s_cbranch_execz .LBB1525_535
.LBB1525_603:                           ;   in Loop: Header=BB1525_410 Depth=2
	v_dual_lshlrev_b32 v4, 2, v133 :: v_dual_add_nc_u32 v5, v10, v100
	ds_load_b32 v6, v4
	ds_load_b64 v[4:5], v5 offset:4608
	s_wait_dscnt 0x1
	v_add_nc_u32_e32 v6, v6, v73
	s_wait_dscnt 0x0
	global_store_b64 v6, v[4:5], s[46:47] scale_offset
	s_wait_xcnt 0x0
	s_or_b32 exec_lo, exec_lo, s17
	s_and_saveexec_b32 s17, s19
	s_cbranch_execz .LBB1525_536
.LBB1525_604:                           ;   in Loop: Header=BB1525_410 Depth=2
	v_lshlrev_b32_e32 v4, 2, v132
	v_add_nc_u32_e32 v5, v10, v100
	ds_load_b32 v6, v4
	ds_load_b64 v[4:5], v5 offset:6656
	s_wait_dscnt 0x1
	v_add_nc_u32_e32 v6, v6, v74
	s_wait_dscnt 0x0
	global_store_b64 v6, v[4:5], s[46:47] scale_offset
	s_wait_xcnt 0x0
	s_or_b32 exec_lo, exec_lo, s17
	s_and_saveexec_b32 s17, s20
	s_cbranch_execz .LBB1525_537
.LBB1525_605:                           ;   in Loop: Header=BB1525_410 Depth=2
	v_dual_lshlrev_b32 v4, 2, v131 :: v_dual_add_nc_u32 v5, v10, v100
	ds_load_b32 v6, v4
	ds_load_b64 v[4:5], v5 offset:8704
	s_wait_dscnt 0x1
	v_add_nc_u32_e32 v6, v6, v75
	s_wait_dscnt 0x0
	global_store_b64 v6, v[4:5], s[46:47] scale_offset
	s_wait_xcnt 0x0
	s_or_b32 exec_lo, exec_lo, s17
	s_and_saveexec_b32 s17, s21
	s_cbranch_execz .LBB1525_538
.LBB1525_606:                           ;   in Loop: Header=BB1525_410 Depth=2
	v_dual_lshlrev_b32 v4, 2, v130 :: v_dual_add_nc_u32 v5, v10, v100
	ds_load_b32 v6, v4
	ds_load_b64 v[4:5], v5 offset:10752
	s_wait_dscnt 0x1
	v_add_nc_u32_e32 v6, v6, v76
	s_wait_dscnt 0x0
	global_store_b64 v6, v[4:5], s[46:47] scale_offset
	s_wait_xcnt 0x0
	s_or_b32 exec_lo, exec_lo, s17
	s_and_saveexec_b32 s17, s22
	s_cbranch_execz .LBB1525_539
.LBB1525_607:                           ;   in Loop: Header=BB1525_410 Depth=2
	v_dual_lshlrev_b32 v4, 2, v129 :: v_dual_add_nc_u32 v5, v10, v100
	ds_load_b32 v6, v4
	ds_load_b64 v[4:5], v5 offset:12800
	s_wait_dscnt 0x1
	v_add_nc_u32_e32 v6, v6, v77
	s_wait_dscnt 0x0
	global_store_b64 v6, v[4:5], s[46:47] scale_offset
	s_wait_xcnt 0x0
	s_or_b32 exec_lo, exec_lo, s17
	s_and_saveexec_b32 s17, s23
	s_cbranch_execz .LBB1525_540
.LBB1525_608:                           ;   in Loop: Header=BB1525_410 Depth=2
	v_lshlrev_b32_e32 v4, 2, v128
	v_add_nc_u32_e32 v5, v10, v100
	ds_load_b32 v6, v4
	ds_load_b64 v[4:5], v5 offset:14848
	s_wait_dscnt 0x1
	v_add_nc_u32_e32 v6, v6, v78
	s_wait_dscnt 0x0
	global_store_b64 v6, v[4:5], s[46:47] scale_offset
	s_wait_xcnt 0x0
	s_or_b32 exec_lo, exec_lo, s17
	s_and_saveexec_b32 s17, s24
	s_cbranch_execz .LBB1525_541
.LBB1525_609:                           ;   in Loop: Header=BB1525_410 Depth=2
	v_dual_lshlrev_b32 v4, 2, v127 :: v_dual_add_nc_u32 v5, v10, v100
	ds_load_b32 v6, v4
	ds_load_b64 v[4:5], v5 offset:16896
	s_wait_dscnt 0x1
	v_add_nc_u32_e32 v6, v6, v79
	s_wait_dscnt 0x0
	global_store_b64 v6, v[4:5], s[46:47] scale_offset
	s_wait_xcnt 0x0
	s_or_b32 exec_lo, exec_lo, s17
	s_and_saveexec_b32 s17, s25
	s_cbranch_execz .LBB1525_542
.LBB1525_610:                           ;   in Loop: Header=BB1525_410 Depth=2
	v_dual_lshlrev_b32 v4, 2, v126 :: v_dual_add_nc_u32 v5, v10, v100
	ds_load_b32 v6, v4
	ds_load_b64 v[4:5], v5 offset:18944
	s_wait_dscnt 0x1
	v_add_nc_u32_e32 v6, v6, v80
	s_wait_dscnt 0x0
	global_store_b64 v6, v[4:5], s[46:47] scale_offset
	s_wait_xcnt 0x0
	s_or_b32 exec_lo, exec_lo, s17
	s_and_saveexec_b32 s17, s26
	s_cbranch_execz .LBB1525_543
.LBB1525_611:                           ;   in Loop: Header=BB1525_410 Depth=2
	v_dual_lshlrev_b32 v4, 2, v125 :: v_dual_add_nc_u32 v5, v10, v100
	ds_load_b32 v6, v4
	ds_load_b64 v[4:5], v5 offset:20992
	s_wait_dscnt 0x1
	v_add_nc_u32_e32 v6, v6, v81
	s_wait_dscnt 0x0
	global_store_b64 v6, v[4:5], s[46:47] scale_offset
	s_wait_xcnt 0x0
	s_or_b32 exec_lo, exec_lo, s17
	s_and_saveexec_b32 s17, s27
	s_cbranch_execz .LBB1525_544
.LBB1525_612:                           ;   in Loop: Header=BB1525_410 Depth=2
	v_lshlrev_b32_e32 v4, 2, v124
	v_add_nc_u32_e32 v5, v10, v100
	ds_load_b32 v6, v4
	ds_load_b64 v[4:5], v5 offset:23040
	s_wait_dscnt 0x1
	v_add_nc_u32_e32 v6, v6, v82
	s_wait_dscnt 0x0
	global_store_b64 v6, v[4:5], s[46:47] scale_offset
	s_wait_xcnt 0x0
	s_or_b32 exec_lo, exec_lo, s17
	s_and_saveexec_b32 s17, s28
	s_cbranch_execz .LBB1525_545
.LBB1525_613:                           ;   in Loop: Header=BB1525_410 Depth=2
	v_dual_lshlrev_b32 v4, 2, v123 :: v_dual_add_nc_u32 v5, v10, v100
	ds_load_b32 v6, v4
	ds_load_b64 v[4:5], v5 offset:25088
	s_wait_dscnt 0x1
	v_add_nc_u32_e32 v6, v6, v83
	s_wait_dscnt 0x0
	global_store_b64 v6, v[4:5], s[46:47] scale_offset
	s_wait_xcnt 0x0
	s_or_b32 exec_lo, exec_lo, s17
	s_and_saveexec_b32 s17, s29
	s_cbranch_execz .LBB1525_546
.LBB1525_614:                           ;   in Loop: Header=BB1525_410 Depth=2
	v_dual_lshlrev_b32 v4, 2, v122 :: v_dual_add_nc_u32 v5, v10, v100
	ds_load_b32 v6, v4
	ds_load_b64 v[4:5], v5 offset:27136
	s_wait_dscnt 0x1
	v_add_nc_u32_e32 v6, v6, v84
	s_wait_dscnt 0x0
	global_store_b64 v6, v[4:5], s[46:47] scale_offset
	s_wait_xcnt 0x0
	s_or_b32 exec_lo, exec_lo, s17
	s_and_saveexec_b32 s17, s30
	s_cbranch_execz .LBB1525_547
.LBB1525_615:                           ;   in Loop: Header=BB1525_410 Depth=2
	v_dual_lshlrev_b32 v4, 2, v121 :: v_dual_add_nc_u32 v5, v10, v100
	ds_load_b32 v6, v4
	ds_load_b64 v[4:5], v5 offset:29184
	s_wait_dscnt 0x1
	v_add_nc_u32_e32 v6, v6, v85
	s_wait_dscnt 0x0
	global_store_b64 v6, v[4:5], s[46:47] scale_offset
	s_wait_xcnt 0x0
	s_or_b32 exec_lo, exec_lo, s17
	s_and_saveexec_b32 s17, s31
	s_cbranch_execz .LBB1525_548
.LBB1525_616:                           ;   in Loop: Header=BB1525_410 Depth=2
	v_lshlrev_b32_e32 v4, 2, v120
	v_add_nc_u32_e32 v5, v10, v100
	ds_load_b32 v6, v4
	ds_load_b64 v[4:5], v5 offset:31232
	s_wait_dscnt 0x1
	v_add_nc_u32_e32 v6, v6, v86
	s_wait_dscnt 0x0
	global_store_b64 v6, v[4:5], s[46:47] scale_offset
	s_wait_xcnt 0x0
	s_or_b32 exec_lo, exec_lo, s17
	s_and_saveexec_b32 s17, s33
	s_cbranch_execnz .LBB1525_549
	s_branch .LBB1525_550
.LBB1525_617:                           ;   in Loop: Header=BB1525_410 Depth=2
	global_load_u8 v4, v[70:71], off
	v_dual_mov_b32 v5, v2 :: v_dual_mov_b32 v6, v2
	v_dual_mov_b32 v7, v2 :: v_dual_mov_b32 v8, v2
	s_wait_xcnt 0x0
	s_or_b32 exec_lo, exec_lo, s17
	s_delay_alu instid0(SALU_CYCLE_1)
	s_mov_b32 s17, exec_lo
	v_cmpx_gt_u32_e64 s59, v103
	s_cbranch_execz .LBB1525_415
.LBB1525_618:                           ;   in Loop: Header=BB1525_410 Depth=2
	global_load_u8 v3, v[70:71], off offset:32
	v_and_b32_e32 v8, 0xff, v8
	s_wait_loadcnt 0x0
	v_perm_b32 v4, v4, v3, 0x7060004
	s_wait_xcnt 0x0
	s_or_b32 exec_lo, exec_lo, s17
	s_delay_alu instid0(SALU_CYCLE_1)
	s_mov_b32 s17, exec_lo
	v_cmpx_gt_u32_e64 s59, v104
	s_cbranch_execz .LBB1525_416
.LBB1525_619:                           ;   in Loop: Header=BB1525_410 Depth=2
	global_load_u8 v3, v[70:71], off offset:64
	v_and_b32_e32 v8, 0xff, v8
	s_wait_loadcnt 0x0
	v_perm_b32 v4, v4, v3, 0x7000504
	s_wait_xcnt 0x0
	s_or_b32 exec_lo, exec_lo, s17
	s_delay_alu instid0(SALU_CYCLE_1)
	s_mov_b32 s17, exec_lo
	v_cmpx_gt_u32_e64 s59, v105
	s_cbranch_execz .LBB1525_417
.LBB1525_620:                           ;   in Loop: Header=BB1525_410 Depth=2
	global_load_u8 v3, v[70:71], off offset:96
	v_and_b32_e32 v8, 0xff, v8
	s_wait_loadcnt 0x0
	v_perm_b32 v4, v4, v3, 0x60504
	s_wait_xcnt 0x0
	s_or_b32 exec_lo, exec_lo, s17
	s_delay_alu instid0(SALU_CYCLE_1)
	s_mov_b32 s17, exec_lo
	v_cmpx_gt_u32_e64 s59, v106
	s_cbranch_execz .LBB1525_418
.LBB1525_621:                           ;   in Loop: Header=BB1525_410 Depth=2
	global_load_u8 v3, v[70:71], off offset:128
	v_and_b32_e32 v8, 0xff, v8
	s_wait_loadcnt 0x0
	v_perm_b32 v5, v3, v5, 0x3020104
	s_wait_xcnt 0x0
	s_or_b32 exec_lo, exec_lo, s17
	s_delay_alu instid0(SALU_CYCLE_1)
	s_mov_b32 s17, exec_lo
	v_cmpx_gt_u32_e64 s59, v107
	s_cbranch_execz .LBB1525_419
.LBB1525_622:                           ;   in Loop: Header=BB1525_410 Depth=2
	global_load_u8 v3, v[70:71], off offset:160
	v_and_b32_e32 v8, 0xff, v8
	s_wait_loadcnt 0x0
	v_perm_b32 v5, v5, v3, 0x7060004
	s_wait_xcnt 0x0
	s_or_b32 exec_lo, exec_lo, s17
	s_delay_alu instid0(SALU_CYCLE_1)
	s_mov_b32 s17, exec_lo
	v_cmpx_gt_u32_e64 s59, v108
	s_cbranch_execz .LBB1525_420
.LBB1525_623:                           ;   in Loop: Header=BB1525_410 Depth=2
	global_load_u8 v3, v[70:71], off offset:192
	v_and_b32_e32 v8, 0xff, v8
	s_wait_loadcnt 0x0
	v_perm_b32 v5, v5, v3, 0x7000504
	s_wait_xcnt 0x0
	s_or_b32 exec_lo, exec_lo, s17
	s_delay_alu instid0(SALU_CYCLE_1)
	s_mov_b32 s17, exec_lo
	v_cmpx_gt_u32_e64 s59, v109
	s_cbranch_execz .LBB1525_421
.LBB1525_624:                           ;   in Loop: Header=BB1525_410 Depth=2
	global_load_u8 v3, v[70:71], off offset:224
	v_and_b32_e32 v8, 0xff, v8
	s_wait_loadcnt 0x0
	v_perm_b32 v5, v5, v3, 0x60504
	s_wait_xcnt 0x0
	s_or_b32 exec_lo, exec_lo, s17
	s_delay_alu instid0(SALU_CYCLE_1)
	s_mov_b32 s17, exec_lo
	v_cmpx_gt_u32_e64 s59, v110
	s_cbranch_execz .LBB1525_422
.LBB1525_625:                           ;   in Loop: Header=BB1525_410 Depth=2
	global_load_u8 v3, v[70:71], off offset:256
	v_and_b32_e32 v8, 0xff, v8
	s_wait_loadcnt 0x0
	v_perm_b32 v6, v3, v6, 0x3020104
	s_wait_xcnt 0x0
	s_or_b32 exec_lo, exec_lo, s17
	s_delay_alu instid0(SALU_CYCLE_1)
	s_mov_b32 s17, exec_lo
	v_cmpx_gt_u32_e64 s59, v111
	s_cbranch_execz .LBB1525_423
.LBB1525_626:                           ;   in Loop: Header=BB1525_410 Depth=2
	global_load_u8 v3, v[70:71], off offset:288
	v_and_b32_e32 v8, 0xff, v8
	s_wait_loadcnt 0x0
	v_perm_b32 v6, v6, v3, 0x7060004
	s_wait_xcnt 0x0
	s_or_b32 exec_lo, exec_lo, s17
	s_delay_alu instid0(SALU_CYCLE_1)
	s_mov_b32 s17, exec_lo
	v_cmpx_gt_u32_e64 s59, v112
	s_cbranch_execz .LBB1525_424
.LBB1525_627:                           ;   in Loop: Header=BB1525_410 Depth=2
	global_load_u8 v3, v[70:71], off offset:320
	v_and_b32_e32 v8, 0xff, v8
	s_wait_loadcnt 0x0
	v_perm_b32 v6, v6, v3, 0x7000504
	s_wait_xcnt 0x0
	s_or_b32 exec_lo, exec_lo, s17
	s_delay_alu instid0(SALU_CYCLE_1)
	s_mov_b32 s17, exec_lo
	v_cmpx_gt_u32_e64 s59, v113
	s_cbranch_execz .LBB1525_425
.LBB1525_628:                           ;   in Loop: Header=BB1525_410 Depth=2
	global_load_u8 v3, v[70:71], off offset:352
	v_and_b32_e32 v8, 0xff, v8
	s_wait_loadcnt 0x0
	v_perm_b32 v6, v6, v3, 0x60504
	s_wait_xcnt 0x0
	s_or_b32 exec_lo, exec_lo, s17
	s_delay_alu instid0(SALU_CYCLE_1)
	s_mov_b32 s17, exec_lo
	v_cmpx_gt_u32_e64 s59, v114
	s_cbranch_execz .LBB1525_426
.LBB1525_629:                           ;   in Loop: Header=BB1525_410 Depth=2
	global_load_u8 v3, v[70:71], off offset:384
	v_and_b32_e32 v8, 0xff, v8
	s_wait_loadcnt 0x0
	v_perm_b32 v7, v3, v7, 0x3020104
	s_wait_xcnt 0x0
	s_or_b32 exec_lo, exec_lo, s17
	s_delay_alu instid0(SALU_CYCLE_1)
	s_mov_b32 s17, exec_lo
	v_cmpx_gt_u32_e64 s59, v115
	s_cbranch_execz .LBB1525_427
.LBB1525_630:                           ;   in Loop: Header=BB1525_410 Depth=2
	global_load_u8 v3, v[70:71], off offset:416
	v_and_b32_e32 v8, 0xff, v8
	s_wait_loadcnt 0x0
	v_perm_b32 v7, v7, v3, 0x7060004
	s_wait_xcnt 0x0
	s_or_b32 exec_lo, exec_lo, s17
	s_delay_alu instid0(SALU_CYCLE_1)
	s_mov_b32 s17, exec_lo
	v_cmpx_gt_u32_e64 s59, v116
	s_cbranch_execz .LBB1525_428
.LBB1525_631:                           ;   in Loop: Header=BB1525_410 Depth=2
	global_load_u8 v3, v[70:71], off offset:448
	v_and_b32_e32 v8, 0xff, v8
	s_wait_loadcnt 0x0
	v_perm_b32 v7, v7, v3, 0x7000504
	s_wait_xcnt 0x0
	s_or_b32 exec_lo, exec_lo, s17
	s_delay_alu instid0(SALU_CYCLE_1)
	s_mov_b32 s17, exec_lo
	v_cmpx_gt_u32_e64 s59, v117
	s_cbranch_execnz .LBB1525_429
	s_branch .LBB1525_430
.LBB1525_632:                           ;   in Loop: Header=BB1525_12 Depth=1
	s_wait_dscnt 0x0
	s_barrier_signal -1
	s_barrier_wait -1
.LBB1525_633:                           ;   in Loop: Header=BB1525_12 Depth=1
	s_mov_b32 s8, 0
.LBB1525_634:                           ;   in Loop: Header=BB1525_12 Depth=1
	s_delay_alu instid0(SALU_CYCLE_1)
	s_and_not1_b32 vcc_lo, exec_lo, s8
	s_cbranch_vccnz .LBB1525_11
; %bb.635:                              ;   in Loop: Header=BB1525_12 Depth=1
	s_and_b32 vcc_lo, exec_lo, s55
	s_mov_b32 s8, -1
	s_cbranch_vccz .LBB1525_945
; %bb.636:                              ;   in Loop: Header=BB1525_12 Depth=1
	v_dual_mov_b32 v40, 0 :: v_dual_mov_b32 v43, 0
	v_dual_mov_b32 v42, 0 :: v_dual_mov_b32 v41, 0
	;; [unrolled: 1-line block ×8, first 2 shown]
	v_mov_b32_e32 v3, 0
	s_mov_b32 s8, s56
	s_mov_b32 s42, s54
	s_barrier_signal -1
	s_barrier_wait -1
	s_branch .LBB1525_638
.LBB1525_637:                           ;   in Loop: Header=BB1525_638 Depth=2
	s_or_b32 exec_lo, exec_lo, s10
	s_addk_co_i32 s8, 0xef00
	s_cmp_ge_u32 s9, s51
	s_mov_b32 s42, s9
	s_cbranch_scc1 .LBB1525_710
.LBB1525_638:                           ;   Parent Loop BB1525_12 Depth=1
                                        ; =>  This Inner Loop Header: Depth=2
	s_add_co_i32 s9, s42, 0x1100
	s_mov_b32 s10, -1
	s_cmp_gt_u32 s9, s51
                                        ; implicit-def: $vgpr4
                                        ; implicit-def: $vgpr5
                                        ; implicit-def: $vgpr44
                                        ; implicit-def: $vgpr45
                                        ; implicit-def: $vgpr46
                                        ; implicit-def: $vgpr47
                                        ; implicit-def: $vgpr48
                                        ; implicit-def: $vgpr49
                                        ; implicit-def: $vgpr50
                                        ; implicit-def: $vgpr51
                                        ; implicit-def: $vgpr52
                                        ; implicit-def: $vgpr53
                                        ; implicit-def: $vgpr54
                                        ; implicit-def: $vgpr55
                                        ; implicit-def: $vgpr56
                                        ; implicit-def: $vgpr57
                                        ; implicit-def: $vgpr58
	s_cbranch_scc1 .LBB1525_640
; %bb.639:                              ;   in Loop: Header=BB1525_638 Depth=2
	v_add_nc_u64_e32 v[60:61], s[42:43], v[24:25]
	s_mov_b32 s10, 0
	s_clause 0x10
	global_load_u8 v58, v[60:61], off offset:4096
	global_load_u8 v57, v[60:61], off offset:3840
	;; [unrolled: 1-line block ×16, first 2 shown]
	global_load_u8 v4, v[60:61], off
.LBB1525_640:                           ;   in Loop: Header=BB1525_638 Depth=2
	s_and_not1_b32 vcc_lo, exec_lo, s10
	s_movk_i32 s10, 0x1100
	s_cbranch_vccnz .LBB1525_660
; %bb.641:                              ;   in Loop: Header=BB1525_638 Depth=2
	s_add_nc_u64 s[10:11], s[36:37], s[42:43]
	s_wait_loadcnt 0x0
	v_add_nc_u64_e32 v[4:5], s[10:11], v[10:11]
	s_mov_b32 s10, exec_lo
	s_wait_xcnt 0x0
	v_cmpx_gt_u32_e64 s8, v10
	s_cbranch_execnz .LBB1525_694
; %bb.642:                              ;   in Loop: Header=BB1525_638 Depth=2
	s_or_b32 exec_lo, exec_lo, s10
	s_delay_alu instid0(SALU_CYCLE_1)
	s_mov_b32 s10, exec_lo
	v_cmpx_gt_u32_e64 s8, v72
	s_cbranch_execnz .LBB1525_695
.LBB1525_643:                           ;   in Loop: Header=BB1525_638 Depth=2
	s_or_b32 exec_lo, exec_lo, s10
	s_delay_alu instid0(SALU_CYCLE_1)
	s_mov_b32 s10, exec_lo
	v_cmpx_gt_u32_e64 s8, v73
	s_cbranch_execnz .LBB1525_696
.LBB1525_644:                           ;   in Loop: Header=BB1525_638 Depth=2
	s_or_b32 exec_lo, exec_lo, s10
	s_delay_alu instid0(SALU_CYCLE_1)
	s_mov_b32 s10, exec_lo
	v_cmpx_gt_u32_e64 s8, v74
	s_cbranch_execnz .LBB1525_697
.LBB1525_645:                           ;   in Loop: Header=BB1525_638 Depth=2
	s_or_b32 exec_lo, exec_lo, s10
	s_delay_alu instid0(SALU_CYCLE_1)
	s_mov_b32 s10, exec_lo
	v_cmpx_gt_u32_e64 s8, v75
	s_cbranch_execnz .LBB1525_698
.LBB1525_646:                           ;   in Loop: Header=BB1525_638 Depth=2
	s_or_b32 exec_lo, exec_lo, s10
	s_delay_alu instid0(SALU_CYCLE_1)
	s_mov_b32 s10, exec_lo
	v_cmpx_gt_u32_e64 s8, v76
	s_cbranch_execnz .LBB1525_699
.LBB1525_647:                           ;   in Loop: Header=BB1525_638 Depth=2
	s_or_b32 exec_lo, exec_lo, s10
	s_delay_alu instid0(SALU_CYCLE_1)
	s_mov_b32 s10, exec_lo
	v_cmpx_gt_u32_e64 s8, v77
	s_cbranch_execnz .LBB1525_700
.LBB1525_648:                           ;   in Loop: Header=BB1525_638 Depth=2
	s_or_b32 exec_lo, exec_lo, s10
	s_delay_alu instid0(SALU_CYCLE_1)
	s_mov_b32 s10, exec_lo
	v_cmpx_gt_u32_e64 s8, v78
	s_cbranch_execnz .LBB1525_701
.LBB1525_649:                           ;   in Loop: Header=BB1525_638 Depth=2
	s_or_b32 exec_lo, exec_lo, s10
	s_delay_alu instid0(SALU_CYCLE_1)
	s_mov_b32 s10, exec_lo
	v_cmpx_gt_u32_e64 s8, v79
	s_cbranch_execnz .LBB1525_702
.LBB1525_650:                           ;   in Loop: Header=BB1525_638 Depth=2
	s_or_b32 exec_lo, exec_lo, s10
	s_delay_alu instid0(SALU_CYCLE_1)
	s_mov_b32 s10, exec_lo
	v_cmpx_gt_u32_e64 s8, v80
	s_cbranch_execnz .LBB1525_703
.LBB1525_651:                           ;   in Loop: Header=BB1525_638 Depth=2
	s_or_b32 exec_lo, exec_lo, s10
	s_delay_alu instid0(SALU_CYCLE_1)
	s_mov_b32 s10, exec_lo
	v_cmpx_gt_u32_e64 s8, v81
	s_cbranch_execnz .LBB1525_704
.LBB1525_652:                           ;   in Loop: Header=BB1525_638 Depth=2
	s_or_b32 exec_lo, exec_lo, s10
	s_delay_alu instid0(SALU_CYCLE_1)
	s_mov_b32 s10, exec_lo
	v_cmpx_gt_u32_e64 s8, v82
	s_cbranch_execnz .LBB1525_705
.LBB1525_653:                           ;   in Loop: Header=BB1525_638 Depth=2
	s_or_b32 exec_lo, exec_lo, s10
	s_delay_alu instid0(SALU_CYCLE_1)
	s_mov_b32 s10, exec_lo
	v_cmpx_gt_u32_e64 s8, v83
	s_cbranch_execnz .LBB1525_706
.LBB1525_654:                           ;   in Loop: Header=BB1525_638 Depth=2
	s_or_b32 exec_lo, exec_lo, s10
	s_delay_alu instid0(SALU_CYCLE_1)
	s_mov_b32 s10, exec_lo
	v_cmpx_gt_u32_e64 s8, v84
	s_cbranch_execnz .LBB1525_707
.LBB1525_655:                           ;   in Loop: Header=BB1525_638 Depth=2
	s_or_b32 exec_lo, exec_lo, s10
	s_delay_alu instid0(SALU_CYCLE_1)
	s_mov_b32 s10, exec_lo
	v_cmpx_gt_u32_e64 s8, v85
	s_cbranch_execnz .LBB1525_708
.LBB1525_656:                           ;   in Loop: Header=BB1525_638 Depth=2
	s_or_b32 exec_lo, exec_lo, s10
	s_delay_alu instid0(SALU_CYCLE_1)
	s_mov_b32 s10, exec_lo
	v_cmpx_gt_u32_e64 s8, v86
	s_cbranch_execnz .LBB1525_709
.LBB1525_657:                           ;   in Loop: Header=BB1525_638 Depth=2
	s_or_b32 exec_lo, exec_lo, s10
	s_delay_alu instid0(SALU_CYCLE_1)
	s_mov_b32 s10, exec_lo
	v_cmpx_gt_u32_e64 s8, v87
	s_cbranch_execz .LBB1525_659
.LBB1525_658:                           ;   in Loop: Header=BB1525_638 Depth=2
	global_load_u8 v3, v[4:5], off offset:4096
.LBB1525_659:                           ;   in Loop: Header=BB1525_638 Depth=2
	s_wait_xcnt 0x0
	s_or_b32 exec_lo, exec_lo, s10
	s_wait_loadcnt 0x0
	v_dual_mov_b32 v4, v40 :: v_dual_mov_b32 v5, v43
	v_dual_mov_b32 v44, v42 :: v_dual_mov_b32 v45, v41
	;; [unrolled: 1-line block ×8, first 2 shown]
	v_mov_b32_e32 v58, v3
	s_mov_b32 s10, s8
.LBB1525_660:                           ;   in Loop: Header=BB1525_638 Depth=2
	s_wait_loadcnt 0xf
	s_delay_alu instid0(VALU_DEP_1)
	v_dual_mov_b32 v3, v58 :: v_dual_mov_b32 v6, v57
	s_wait_loadcnt 0xd
	v_dual_mov_b32 v7, v56 :: v_dual_mov_b32 v8, v55
	s_wait_loadcnt 0xb
	;; [unrolled: 2-line block ×8, first 2 shown]
	v_mov_b32_e32 v40, v4
	s_mov_b32 s11, exec_lo
	s_wait_xcnt 0x0
	v_cmpx_gt_u32_e64 s10, v10
	s_cbranch_execnz .LBB1525_677
; %bb.661:                              ;   in Loop: Header=BB1525_638 Depth=2
	s_or_b32 exec_lo, exec_lo, s11
	s_delay_alu instid0(SALU_CYCLE_1)
	s_mov_b32 s11, exec_lo
	v_cmpx_gt_u32_e64 s10, v72
	s_cbranch_execnz .LBB1525_678
.LBB1525_662:                           ;   in Loop: Header=BB1525_638 Depth=2
	s_or_b32 exec_lo, exec_lo, s11
	s_delay_alu instid0(SALU_CYCLE_1)
	s_mov_b32 s11, exec_lo
	v_cmpx_gt_u32_e64 s10, v73
	s_cbranch_execnz .LBB1525_679
.LBB1525_663:                           ;   in Loop: Header=BB1525_638 Depth=2
	s_or_b32 exec_lo, exec_lo, s11
	s_delay_alu instid0(SALU_CYCLE_1)
	s_mov_b32 s11, exec_lo
	v_cmpx_gt_u32_e64 s10, v74
	s_cbranch_execnz .LBB1525_680
.LBB1525_664:                           ;   in Loop: Header=BB1525_638 Depth=2
	s_or_b32 exec_lo, exec_lo, s11
	s_delay_alu instid0(SALU_CYCLE_1)
	s_mov_b32 s11, exec_lo
	v_cmpx_gt_u32_e64 s10, v75
	s_cbranch_execnz .LBB1525_681
.LBB1525_665:                           ;   in Loop: Header=BB1525_638 Depth=2
	s_or_b32 exec_lo, exec_lo, s11
	s_delay_alu instid0(SALU_CYCLE_1)
	s_mov_b32 s11, exec_lo
	v_cmpx_gt_u32_e64 s10, v76
	s_cbranch_execnz .LBB1525_682
.LBB1525_666:                           ;   in Loop: Header=BB1525_638 Depth=2
	s_or_b32 exec_lo, exec_lo, s11
	s_delay_alu instid0(SALU_CYCLE_1)
	s_mov_b32 s11, exec_lo
	v_cmpx_gt_u32_e64 s10, v77
	s_cbranch_execnz .LBB1525_683
.LBB1525_667:                           ;   in Loop: Header=BB1525_638 Depth=2
	s_or_b32 exec_lo, exec_lo, s11
	s_delay_alu instid0(SALU_CYCLE_1)
	s_mov_b32 s11, exec_lo
	v_cmpx_gt_u32_e64 s10, v78
	s_cbranch_execnz .LBB1525_684
.LBB1525_668:                           ;   in Loop: Header=BB1525_638 Depth=2
	s_or_b32 exec_lo, exec_lo, s11
	s_delay_alu instid0(SALU_CYCLE_1)
	s_mov_b32 s11, exec_lo
	v_cmpx_gt_u32_e64 s10, v79
	s_cbranch_execnz .LBB1525_685
.LBB1525_669:                           ;   in Loop: Header=BB1525_638 Depth=2
	s_or_b32 exec_lo, exec_lo, s11
	s_delay_alu instid0(SALU_CYCLE_1)
	s_mov_b32 s11, exec_lo
	v_cmpx_gt_u32_e64 s10, v80
	s_cbranch_execnz .LBB1525_686
.LBB1525_670:                           ;   in Loop: Header=BB1525_638 Depth=2
	s_or_b32 exec_lo, exec_lo, s11
	s_delay_alu instid0(SALU_CYCLE_1)
	s_mov_b32 s11, exec_lo
	v_cmpx_gt_u32_e64 s10, v81
	s_cbranch_execnz .LBB1525_687
.LBB1525_671:                           ;   in Loop: Header=BB1525_638 Depth=2
	s_or_b32 exec_lo, exec_lo, s11
	s_delay_alu instid0(SALU_CYCLE_1)
	s_mov_b32 s11, exec_lo
	v_cmpx_gt_u32_e64 s10, v82
	s_cbranch_execnz .LBB1525_688
.LBB1525_672:                           ;   in Loop: Header=BB1525_638 Depth=2
	s_or_b32 exec_lo, exec_lo, s11
	s_delay_alu instid0(SALU_CYCLE_1)
	s_mov_b32 s11, exec_lo
	v_cmpx_gt_u32_e64 s10, v83
	s_cbranch_execnz .LBB1525_689
.LBB1525_673:                           ;   in Loop: Header=BB1525_638 Depth=2
	s_or_b32 exec_lo, exec_lo, s11
	s_delay_alu instid0(SALU_CYCLE_1)
	s_mov_b32 s11, exec_lo
	v_cmpx_gt_u32_e64 s10, v84
	s_cbranch_execnz .LBB1525_690
.LBB1525_674:                           ;   in Loop: Header=BB1525_638 Depth=2
	s_or_b32 exec_lo, exec_lo, s11
	s_delay_alu instid0(SALU_CYCLE_1)
	s_mov_b32 s11, exec_lo
	v_cmpx_gt_u32_e64 s10, v85
	s_cbranch_execnz .LBB1525_691
.LBB1525_675:                           ;   in Loop: Header=BB1525_638 Depth=2
	s_or_b32 exec_lo, exec_lo, s11
	s_delay_alu instid0(SALU_CYCLE_1)
	s_mov_b32 s11, exec_lo
	v_cmpx_gt_u32_e64 s10, v86
	s_cbranch_execnz .LBB1525_692
.LBB1525_676:                           ;   in Loop: Header=BB1525_638 Depth=2
	s_or_b32 exec_lo, exec_lo, s11
	v_cmp_gt_u32_e32 vcc_lo, s10, v87
	s_and_saveexec_b32 s10, vcc_lo
	s_cbranch_execz .LBB1525_637
	s_branch .LBB1525_693
.LBB1525_677:                           ;   in Loop: Header=BB1525_638 Depth=2
	v_bitop3_b16 v4, v40, 1, v40 bitop3:0xc
	s_delay_alu instid0(VALU_DEP_1) | instskip(NEXT) | instid1(VALU_DEP_1)
	v_and_b32_e32 v4, 0xffff, v4
	v_lshrrev_b32_e32 v4, s49, v4
	s_delay_alu instid0(VALU_DEP_1) | instskip(NEXT) | instid1(VALU_DEP_1)
	v_and_b32_e32 v4, s58, v4
	v_lshl_or_b32 v4, v4, 4, v89
	ds_add_u32 v4, v15
	s_or_b32 exec_lo, exec_lo, s11
	s_delay_alu instid0(SALU_CYCLE_1)
	s_mov_b32 s11, exec_lo
	v_cmpx_gt_u32_e64 s10, v72
	s_cbranch_execz .LBB1525_662
.LBB1525_678:                           ;   in Loop: Header=BB1525_638 Depth=2
	v_bitop3_b16 v4, v43, 1, v43 bitop3:0xc
	s_delay_alu instid0(VALU_DEP_1) | instskip(NEXT) | instid1(VALU_DEP_1)
	v_and_b32_e32 v4, 0xffff, v4
	v_lshrrev_b32_e32 v4, s49, v4
	s_delay_alu instid0(VALU_DEP_1) | instskip(NEXT) | instid1(VALU_DEP_1)
	v_and_b32_e32 v4, s58, v4
	v_lshl_or_b32 v4, v4, 4, v89
	ds_add_u32 v4, v15
	s_or_b32 exec_lo, exec_lo, s11
	s_delay_alu instid0(SALU_CYCLE_1)
	s_mov_b32 s11, exec_lo
	v_cmpx_gt_u32_e64 s10, v73
	s_cbranch_execz .LBB1525_663
.LBB1525_679:                           ;   in Loop: Header=BB1525_638 Depth=2
	v_bitop3_b16 v4, v42, 1, v42 bitop3:0xc
	s_delay_alu instid0(VALU_DEP_1) | instskip(NEXT) | instid1(VALU_DEP_1)
	v_and_b32_e32 v4, 0xffff, v4
	v_lshrrev_b32_e32 v4, s49, v4
	s_delay_alu instid0(VALU_DEP_1) | instskip(NEXT) | instid1(VALU_DEP_1)
	v_and_b32_e32 v4, s58, v4
	v_lshl_or_b32 v4, v4, 4, v89
	ds_add_u32 v4, v15
	s_or_b32 exec_lo, exec_lo, s11
	s_delay_alu instid0(SALU_CYCLE_1)
	s_mov_b32 s11, exec_lo
	v_cmpx_gt_u32_e64 s10, v74
	s_cbranch_execz .LBB1525_664
.LBB1525_680:                           ;   in Loop: Header=BB1525_638 Depth=2
	v_bitop3_b16 v4, v41, 1, v41 bitop3:0xc
	s_delay_alu instid0(VALU_DEP_1) | instskip(NEXT) | instid1(VALU_DEP_1)
	v_and_b32_e32 v4, 0xffff, v4
	v_lshrrev_b32_e32 v4, s49, v4
	s_delay_alu instid0(VALU_DEP_1) | instskip(NEXT) | instid1(VALU_DEP_1)
	v_and_b32_e32 v4, s58, v4
	v_lshl_or_b32 v4, v4, 4, v89
	ds_add_u32 v4, v15
	s_or_b32 exec_lo, exec_lo, s11
	s_delay_alu instid0(SALU_CYCLE_1)
	s_mov_b32 s11, exec_lo
	v_cmpx_gt_u32_e64 s10, v75
	s_cbranch_execz .LBB1525_665
.LBB1525_681:                           ;   in Loop: Header=BB1525_638 Depth=2
	v_bitop3_b16 v4, v39, 1, v39 bitop3:0xc
	s_delay_alu instid0(VALU_DEP_1) | instskip(NEXT) | instid1(VALU_DEP_1)
	v_and_b32_e32 v4, 0xffff, v4
	v_lshrrev_b32_e32 v4, s49, v4
	s_delay_alu instid0(VALU_DEP_1) | instskip(NEXT) | instid1(VALU_DEP_1)
	v_and_b32_e32 v4, s58, v4
	v_lshl_or_b32 v4, v4, 4, v89
	ds_add_u32 v4, v15
	s_or_b32 exec_lo, exec_lo, s11
	s_delay_alu instid0(SALU_CYCLE_1)
	s_mov_b32 s11, exec_lo
	v_cmpx_gt_u32_e64 s10, v76
	s_cbranch_execz .LBB1525_666
.LBB1525_682:                           ;   in Loop: Header=BB1525_638 Depth=2
	v_bitop3_b16 v4, v38, 1, v38 bitop3:0xc
	s_delay_alu instid0(VALU_DEP_1) | instskip(NEXT) | instid1(VALU_DEP_1)
	v_and_b32_e32 v4, 0xffff, v4
	v_lshrrev_b32_e32 v4, s49, v4
	s_delay_alu instid0(VALU_DEP_1) | instskip(NEXT) | instid1(VALU_DEP_1)
	v_and_b32_e32 v4, s58, v4
	v_lshl_or_b32 v4, v4, 4, v89
	ds_add_u32 v4, v15
	s_or_b32 exec_lo, exec_lo, s11
	s_delay_alu instid0(SALU_CYCLE_1)
	s_mov_b32 s11, exec_lo
	v_cmpx_gt_u32_e64 s10, v77
	s_cbranch_execz .LBB1525_667
.LBB1525_683:                           ;   in Loop: Header=BB1525_638 Depth=2
	v_bitop3_b16 v4, v37, 1, v37 bitop3:0xc
	s_delay_alu instid0(VALU_DEP_1) | instskip(NEXT) | instid1(VALU_DEP_1)
	v_and_b32_e32 v4, 0xffff, v4
	v_lshrrev_b32_e32 v4, s49, v4
	s_delay_alu instid0(VALU_DEP_1) | instskip(NEXT) | instid1(VALU_DEP_1)
	v_and_b32_e32 v4, s58, v4
	v_lshl_or_b32 v4, v4, 4, v89
	ds_add_u32 v4, v15
	s_or_b32 exec_lo, exec_lo, s11
	s_delay_alu instid0(SALU_CYCLE_1)
	s_mov_b32 s11, exec_lo
	v_cmpx_gt_u32_e64 s10, v78
	s_cbranch_execz .LBB1525_668
.LBB1525_684:                           ;   in Loop: Header=BB1525_638 Depth=2
	v_bitop3_b16 v4, v36, 1, v36 bitop3:0xc
	s_delay_alu instid0(VALU_DEP_1) | instskip(NEXT) | instid1(VALU_DEP_1)
	v_and_b32_e32 v4, 0xffff, v4
	v_lshrrev_b32_e32 v4, s49, v4
	s_delay_alu instid0(VALU_DEP_1) | instskip(NEXT) | instid1(VALU_DEP_1)
	v_and_b32_e32 v4, s58, v4
	v_lshl_or_b32 v4, v4, 4, v89
	ds_add_u32 v4, v15
	s_or_b32 exec_lo, exec_lo, s11
	s_delay_alu instid0(SALU_CYCLE_1)
	s_mov_b32 s11, exec_lo
	v_cmpx_gt_u32_e64 s10, v79
	s_cbranch_execz .LBB1525_669
.LBB1525_685:                           ;   in Loop: Header=BB1525_638 Depth=2
	v_bitop3_b16 v4, v35, 1, v35 bitop3:0xc
	s_delay_alu instid0(VALU_DEP_1) | instskip(NEXT) | instid1(VALU_DEP_1)
	v_and_b32_e32 v4, 0xffff, v4
	v_lshrrev_b32_e32 v4, s49, v4
	s_delay_alu instid0(VALU_DEP_1) | instskip(NEXT) | instid1(VALU_DEP_1)
	v_and_b32_e32 v4, s58, v4
	v_lshl_or_b32 v4, v4, 4, v89
	ds_add_u32 v4, v15
	s_or_b32 exec_lo, exec_lo, s11
	s_delay_alu instid0(SALU_CYCLE_1)
	s_mov_b32 s11, exec_lo
	v_cmpx_gt_u32_e64 s10, v80
	s_cbranch_execz .LBB1525_670
.LBB1525_686:                           ;   in Loop: Header=BB1525_638 Depth=2
	v_bitop3_b16 v4, v34, 1, v34 bitop3:0xc
	s_delay_alu instid0(VALU_DEP_1) | instskip(NEXT) | instid1(VALU_DEP_1)
	v_and_b32_e32 v4, 0xffff, v4
	v_lshrrev_b32_e32 v4, s49, v4
	s_delay_alu instid0(VALU_DEP_1) | instskip(NEXT) | instid1(VALU_DEP_1)
	v_and_b32_e32 v4, s58, v4
	v_lshl_or_b32 v4, v4, 4, v89
	ds_add_u32 v4, v15
	s_or_b32 exec_lo, exec_lo, s11
	s_delay_alu instid0(SALU_CYCLE_1)
	s_mov_b32 s11, exec_lo
	v_cmpx_gt_u32_e64 s10, v81
	s_cbranch_execz .LBB1525_671
.LBB1525_687:                           ;   in Loop: Header=BB1525_638 Depth=2
	v_bitop3_b16 v4, v33, 1, v33 bitop3:0xc
	s_delay_alu instid0(VALU_DEP_1) | instskip(NEXT) | instid1(VALU_DEP_1)
	v_and_b32_e32 v4, 0xffff, v4
	v_lshrrev_b32_e32 v4, s49, v4
	s_delay_alu instid0(VALU_DEP_1) | instskip(NEXT) | instid1(VALU_DEP_1)
	v_and_b32_e32 v4, s58, v4
	v_lshl_or_b32 v4, v4, 4, v89
	ds_add_u32 v4, v15
	s_or_b32 exec_lo, exec_lo, s11
	s_delay_alu instid0(SALU_CYCLE_1)
	s_mov_b32 s11, exec_lo
	v_cmpx_gt_u32_e64 s10, v82
	s_cbranch_execz .LBB1525_672
.LBB1525_688:                           ;   in Loop: Header=BB1525_638 Depth=2
	v_bitop3_b16 v4, v32, 1, v32 bitop3:0xc
	s_delay_alu instid0(VALU_DEP_1) | instskip(NEXT) | instid1(VALU_DEP_1)
	v_and_b32_e32 v4, 0xffff, v4
	v_lshrrev_b32_e32 v4, s49, v4
	s_delay_alu instid0(VALU_DEP_1) | instskip(NEXT) | instid1(VALU_DEP_1)
	v_and_b32_e32 v4, s58, v4
	v_lshl_or_b32 v4, v4, 4, v89
	ds_add_u32 v4, v15
	s_or_b32 exec_lo, exec_lo, s11
	s_delay_alu instid0(SALU_CYCLE_1)
	s_mov_b32 s11, exec_lo
	v_cmpx_gt_u32_e64 s10, v83
	s_cbranch_execz .LBB1525_673
.LBB1525_689:                           ;   in Loop: Header=BB1525_638 Depth=2
	v_bitop3_b16 v4, v31, 1, v31 bitop3:0xc
	s_delay_alu instid0(VALU_DEP_1) | instskip(NEXT) | instid1(VALU_DEP_1)
	v_and_b32_e32 v4, 0xffff, v4
	v_lshrrev_b32_e32 v4, s49, v4
	s_delay_alu instid0(VALU_DEP_1) | instskip(NEXT) | instid1(VALU_DEP_1)
	v_and_b32_e32 v4, s58, v4
	v_lshl_or_b32 v4, v4, 4, v89
	ds_add_u32 v4, v15
	s_or_b32 exec_lo, exec_lo, s11
	s_delay_alu instid0(SALU_CYCLE_1)
	s_mov_b32 s11, exec_lo
	v_cmpx_gt_u32_e64 s10, v84
	s_cbranch_execz .LBB1525_674
.LBB1525_690:                           ;   in Loop: Header=BB1525_638 Depth=2
	v_bitop3_b16 v4, v8, 1, v8 bitop3:0xc
	s_delay_alu instid0(VALU_DEP_1) | instskip(NEXT) | instid1(VALU_DEP_1)
	v_and_b32_e32 v4, 0xffff, v4
	v_lshrrev_b32_e32 v4, s49, v4
	s_delay_alu instid0(VALU_DEP_1) | instskip(NEXT) | instid1(VALU_DEP_1)
	v_and_b32_e32 v4, s58, v4
	v_lshl_or_b32 v4, v4, 4, v89
	ds_add_u32 v4, v15
	s_or_b32 exec_lo, exec_lo, s11
	s_delay_alu instid0(SALU_CYCLE_1)
	s_mov_b32 s11, exec_lo
	v_cmpx_gt_u32_e64 s10, v85
	s_cbranch_execz .LBB1525_675
.LBB1525_691:                           ;   in Loop: Header=BB1525_638 Depth=2
	v_bitop3_b16 v4, v7, 1, v7 bitop3:0xc
	s_delay_alu instid0(VALU_DEP_1) | instskip(NEXT) | instid1(VALU_DEP_1)
	v_and_b32_e32 v4, 0xffff, v4
	v_lshrrev_b32_e32 v4, s49, v4
	s_delay_alu instid0(VALU_DEP_1) | instskip(NEXT) | instid1(VALU_DEP_1)
	v_and_b32_e32 v4, s58, v4
	v_lshl_or_b32 v4, v4, 4, v89
	ds_add_u32 v4, v15
	s_or_b32 exec_lo, exec_lo, s11
	s_delay_alu instid0(SALU_CYCLE_1)
	s_mov_b32 s11, exec_lo
	v_cmpx_gt_u32_e64 s10, v86
	s_cbranch_execz .LBB1525_676
.LBB1525_692:                           ;   in Loop: Header=BB1525_638 Depth=2
	v_bitop3_b16 v4, v6, 1, v6 bitop3:0xc
	s_delay_alu instid0(VALU_DEP_1) | instskip(NEXT) | instid1(VALU_DEP_1)
	v_and_b32_e32 v4, 0xffff, v4
	v_lshrrev_b32_e32 v4, s49, v4
	s_delay_alu instid0(VALU_DEP_1) | instskip(NEXT) | instid1(VALU_DEP_1)
	v_and_b32_e32 v4, s58, v4
	v_lshl_or_b32 v4, v4, 4, v89
	ds_add_u32 v4, v15
	s_or_b32 exec_lo, exec_lo, s11
	v_cmp_gt_u32_e32 vcc_lo, s10, v87
	s_and_saveexec_b32 s10, vcc_lo
	s_cbranch_execz .LBB1525_637
.LBB1525_693:                           ;   in Loop: Header=BB1525_638 Depth=2
	v_bitop3_b16 v4, v3, 1, v3 bitop3:0xc
	s_delay_alu instid0(VALU_DEP_1) | instskip(NEXT) | instid1(VALU_DEP_1)
	v_and_b32_e32 v4, 0xffff, v4
	v_lshrrev_b32_e32 v4, s49, v4
	s_delay_alu instid0(VALU_DEP_1) | instskip(NEXT) | instid1(VALU_DEP_1)
	v_and_b32_e32 v4, s58, v4
	v_lshl_or_b32 v4, v4, 4, v89
	ds_add_u32 v4, v15
	s_branch .LBB1525_637
.LBB1525_694:                           ;   in Loop: Header=BB1525_638 Depth=2
	global_load_u8 v40, v[4:5], off
	s_wait_xcnt 0x0
	s_or_b32 exec_lo, exec_lo, s10
	s_delay_alu instid0(SALU_CYCLE_1)
	s_mov_b32 s10, exec_lo
	v_cmpx_gt_u32_e64 s8, v72
	s_cbranch_execz .LBB1525_643
.LBB1525_695:                           ;   in Loop: Header=BB1525_638 Depth=2
	global_load_u8 v43, v[4:5], off offset:256
	s_wait_xcnt 0x0
	s_or_b32 exec_lo, exec_lo, s10
	s_delay_alu instid0(SALU_CYCLE_1)
	s_mov_b32 s10, exec_lo
	v_cmpx_gt_u32_e64 s8, v73
	s_cbranch_execz .LBB1525_644
.LBB1525_696:                           ;   in Loop: Header=BB1525_638 Depth=2
	global_load_u8 v42, v[4:5], off offset:512
	s_wait_xcnt 0x0
	s_or_b32 exec_lo, exec_lo, s10
	s_delay_alu instid0(SALU_CYCLE_1)
	s_mov_b32 s10, exec_lo
	v_cmpx_gt_u32_e64 s8, v74
	s_cbranch_execz .LBB1525_645
.LBB1525_697:                           ;   in Loop: Header=BB1525_638 Depth=2
	global_load_u8 v41, v[4:5], off offset:768
	s_wait_xcnt 0x0
	s_or_b32 exec_lo, exec_lo, s10
	s_delay_alu instid0(SALU_CYCLE_1)
	s_mov_b32 s10, exec_lo
	v_cmpx_gt_u32_e64 s8, v75
	s_cbranch_execz .LBB1525_646
.LBB1525_698:                           ;   in Loop: Header=BB1525_638 Depth=2
	global_load_u8 v39, v[4:5], off offset:1024
	s_wait_xcnt 0x0
	s_or_b32 exec_lo, exec_lo, s10
	s_delay_alu instid0(SALU_CYCLE_1)
	s_mov_b32 s10, exec_lo
	v_cmpx_gt_u32_e64 s8, v76
	s_cbranch_execz .LBB1525_647
.LBB1525_699:                           ;   in Loop: Header=BB1525_638 Depth=2
	global_load_u8 v38, v[4:5], off offset:1280
	s_wait_xcnt 0x0
	s_or_b32 exec_lo, exec_lo, s10
	s_delay_alu instid0(SALU_CYCLE_1)
	s_mov_b32 s10, exec_lo
	v_cmpx_gt_u32_e64 s8, v77
	s_cbranch_execz .LBB1525_648
.LBB1525_700:                           ;   in Loop: Header=BB1525_638 Depth=2
	global_load_u8 v37, v[4:5], off offset:1536
	s_wait_xcnt 0x0
	s_or_b32 exec_lo, exec_lo, s10
	s_delay_alu instid0(SALU_CYCLE_1)
	s_mov_b32 s10, exec_lo
	v_cmpx_gt_u32_e64 s8, v78
	s_cbranch_execz .LBB1525_649
.LBB1525_701:                           ;   in Loop: Header=BB1525_638 Depth=2
	global_load_u8 v36, v[4:5], off offset:1792
	s_wait_xcnt 0x0
	s_or_b32 exec_lo, exec_lo, s10
	s_delay_alu instid0(SALU_CYCLE_1)
	s_mov_b32 s10, exec_lo
	v_cmpx_gt_u32_e64 s8, v79
	s_cbranch_execz .LBB1525_650
.LBB1525_702:                           ;   in Loop: Header=BB1525_638 Depth=2
	global_load_u8 v35, v[4:5], off offset:2048
	s_wait_xcnt 0x0
	s_or_b32 exec_lo, exec_lo, s10
	s_delay_alu instid0(SALU_CYCLE_1)
	s_mov_b32 s10, exec_lo
	v_cmpx_gt_u32_e64 s8, v80
	s_cbranch_execz .LBB1525_651
.LBB1525_703:                           ;   in Loop: Header=BB1525_638 Depth=2
	global_load_u8 v34, v[4:5], off offset:2304
	s_wait_xcnt 0x0
	s_or_b32 exec_lo, exec_lo, s10
	s_delay_alu instid0(SALU_CYCLE_1)
	s_mov_b32 s10, exec_lo
	v_cmpx_gt_u32_e64 s8, v81
	s_cbranch_execz .LBB1525_652
.LBB1525_704:                           ;   in Loop: Header=BB1525_638 Depth=2
	global_load_u8 v33, v[4:5], off offset:2560
	s_wait_xcnt 0x0
	s_or_b32 exec_lo, exec_lo, s10
	s_delay_alu instid0(SALU_CYCLE_1)
	s_mov_b32 s10, exec_lo
	v_cmpx_gt_u32_e64 s8, v82
	s_cbranch_execz .LBB1525_653
.LBB1525_705:                           ;   in Loop: Header=BB1525_638 Depth=2
	global_load_u8 v32, v[4:5], off offset:2816
	s_wait_xcnt 0x0
	s_or_b32 exec_lo, exec_lo, s10
	s_delay_alu instid0(SALU_CYCLE_1)
	s_mov_b32 s10, exec_lo
	v_cmpx_gt_u32_e64 s8, v83
	s_cbranch_execz .LBB1525_654
.LBB1525_706:                           ;   in Loop: Header=BB1525_638 Depth=2
	global_load_u8 v31, v[4:5], off offset:3072
	s_wait_xcnt 0x0
	s_or_b32 exec_lo, exec_lo, s10
	s_delay_alu instid0(SALU_CYCLE_1)
	s_mov_b32 s10, exec_lo
	v_cmpx_gt_u32_e64 s8, v84
	s_cbranch_execz .LBB1525_655
.LBB1525_707:                           ;   in Loop: Header=BB1525_638 Depth=2
	global_load_u8 v8, v[4:5], off offset:3328
	s_wait_xcnt 0x0
	s_or_b32 exec_lo, exec_lo, s10
	s_delay_alu instid0(SALU_CYCLE_1)
	s_mov_b32 s10, exec_lo
	v_cmpx_gt_u32_e64 s8, v85
	s_cbranch_execz .LBB1525_656
.LBB1525_708:                           ;   in Loop: Header=BB1525_638 Depth=2
	global_load_u8 v7, v[4:5], off offset:3584
	s_wait_xcnt 0x0
	s_or_b32 exec_lo, exec_lo, s10
	s_delay_alu instid0(SALU_CYCLE_1)
	s_mov_b32 s10, exec_lo
	v_cmpx_gt_u32_e64 s8, v86
	s_cbranch_execz .LBB1525_657
.LBB1525_709:                           ;   in Loop: Header=BB1525_638 Depth=2
	global_load_u8 v6, v[4:5], off offset:3840
	s_wait_xcnt 0x0
	s_or_b32 exec_lo, exec_lo, s10
	s_delay_alu instid0(SALU_CYCLE_1)
	s_mov_b32 s10, exec_lo
	v_cmpx_gt_u32_e64 s8, v87
	s_cbranch_execnz .LBB1525_658
	s_branch .LBB1525_659
.LBB1525_710:                           ;   in Loop: Header=BB1525_12 Depth=1
	v_mov_b32_e32 v3, 0
	s_wait_dscnt 0x0
	s_barrier_signal -1
	s_barrier_wait -1
	s_and_saveexec_b32 s8, s0
	s_cbranch_execz .LBB1525_712
; %bb.711:                              ;   in Loop: Header=BB1525_12 Depth=1
	ds_load_2addr_b64 v[4:7], v90 offset1:1
	s_wait_dscnt 0x0
	v_add_nc_u32_e32 v3, v5, v4
	s_delay_alu instid0(VALU_DEP_1)
	v_add3_u32 v3, v3, v6, v7
.LBB1525_712:                           ;   in Loop: Header=BB1525_12 Depth=1
	s_or_b32 exec_lo, exec_lo, s8
	v_and_b32_e32 v4, 15, v30
	s_delay_alu instid0(VALU_DEP_2) | instskip(NEXT) | instid1(VALU_DEP_2)
	v_mov_b32_dpp v5, v3 row_shr:1 row_mask:0xf bank_mask:0xf
	v_cmp_eq_u32_e64 s8, 0, v4
	s_delay_alu instid0(VALU_DEP_1) | instskip(NEXT) | instid1(VALU_DEP_1)
	v_cndmask_b32_e64 v5, v5, 0, s8
	v_add_nc_u32_e32 v3, v5, v3
	v_cmp_lt_u32_e64 s9, 1, v4
	v_cmp_lt_u32_e64 s10, 3, v4
	;; [unrolled: 1-line block ×3, first 2 shown]
	s_delay_alu instid0(VALU_DEP_4) | instskip(NEXT) | instid1(VALU_DEP_1)
	v_mov_b32_dpp v5, v3 row_shr:2 row_mask:0xf bank_mask:0xf
	v_cndmask_b32_e64 v5, 0, v5, s9
	s_delay_alu instid0(VALU_DEP_1) | instskip(NEXT) | instid1(VALU_DEP_1)
	v_add_nc_u32_e32 v3, v3, v5
	v_mov_b32_dpp v5, v3 row_shr:4 row_mask:0xf bank_mask:0xf
	s_delay_alu instid0(VALU_DEP_1) | instskip(NEXT) | instid1(VALU_DEP_1)
	v_cndmask_b32_e64 v5, 0, v5, s10
	v_add_nc_u32_e32 v3, v3, v5
	s_delay_alu instid0(VALU_DEP_1) | instskip(NEXT) | instid1(VALU_DEP_1)
	v_mov_b32_dpp v5, v3 row_shr:8 row_mask:0xf bank_mask:0xf
	v_cndmask_b32_e64 v4, 0, v5, s11
	v_bfe_i32 v5, v30, 4, 1
	s_delay_alu instid0(VALU_DEP_2) | instskip(SKIP_3) | instid1(VALU_DEP_1)
	v_add_nc_u32_e32 v3, v3, v4
	ds_swizzle_b32 v4, v3 offset:swizzle(BROADCAST,32,15)
	s_wait_dscnt 0x0
	v_and_b32_e32 v4, v5, v4
	v_dual_add_nc_u32 v3, v3, v4 :: v_dual_bitop2_b32 v6, 16, v30 bitop3:0x40
	s_delay_alu instid0(VALU_DEP_1)
	v_cmp_eq_u32_e64 s12, 0, v6
	s_and_saveexec_b32 s13, s1
; %bb.713:                              ;   in Loop: Header=BB1525_12 Depth=1
	ds_store_b32 v91, v3
; %bb.714:                              ;   in Loop: Header=BB1525_12 Depth=1
	s_or_b32 exec_lo, exec_lo, s13
	s_wait_dscnt 0x0
	s_barrier_signal -1
	s_barrier_wait -1
	s_and_saveexec_b32 s13, s4
	s_cbranch_execz .LBB1525_716
; %bb.715:                              ;   in Loop: Header=BB1525_12 Depth=1
	ds_load_b32 v4, v92
	v_and_b32_e32 v5, 3, v30
	s_delay_alu instid0(VALU_DEP_1) | instskip(SKIP_2) | instid1(VALU_DEP_1)
	v_cmp_ne_u32_e32 vcc_lo, 0, v5
	s_wait_dscnt 0x0
	v_mov_b32_dpp v6, v4 row_shr:1 row_mask:0xf bank_mask:0xf
	v_cndmask_b32_e32 v6, 0, v6, vcc_lo
	s_delay_alu instid0(VALU_DEP_1) | instskip(SKIP_1) | instid1(VALU_DEP_2)
	v_add_nc_u32_e32 v4, v6, v4
	v_cmp_lt_u32_e32 vcc_lo, 1, v5
	v_mov_b32_dpp v6, v4 row_shr:2 row_mask:0xf bank_mask:0xf
	s_delay_alu instid0(VALU_DEP_1) | instskip(NEXT) | instid1(VALU_DEP_1)
	v_cndmask_b32_e32 v5, 0, v6, vcc_lo
	v_add_nc_u32_e32 v4, v4, v5
	ds_store_b32 v92, v4
.LBB1525_716:                           ;   in Loop: Header=BB1525_12 Depth=1
	s_or_b32 exec_lo, exec_lo, s13
	v_mov_b32_e32 v4, 0
	s_wait_dscnt 0x0
	s_barrier_signal -1
	s_barrier_wait -1
	s_and_saveexec_b32 s13, s5
; %bb.717:                              ;   in Loop: Header=BB1525_12 Depth=1
	ds_load_b32 v4, v93
; %bb.718:                              ;   in Loop: Header=BB1525_12 Depth=1
	s_or_b32 exec_lo, exec_lo, s13
	v_sub_co_u32 v5, s13, v30, 1
	s_wait_dscnt 0x0
	s_barrier_signal -1
	s_barrier_wait -1
	s_delay_alu instid0(VALU_DEP_1) | instskip(SKIP_1) | instid1(VALU_DEP_1)
	v_cmp_gt_i32_e32 vcc_lo, 0, v5
	v_dual_add_nc_u32 v3, v4, v3 :: v_dual_cndmask_b32 v5, v5, v30, vcc_lo
	v_lshlrev_b32_e32 v101, 2, v5
	ds_bpermute_b32 v3, v101, v3
	s_and_saveexec_b32 s14, s0
	s_cbranch_execz .LBB1525_720
; %bb.719:                              ;   in Loop: Header=BB1525_12 Depth=1
	s_wait_dscnt 0x0
	v_cndmask_b32_e64 v3, v3, v4, s13
	s_delay_alu instid0(VALU_DEP_1)
	v_add_nc_u32_e32 v3, s54, v3
	ds_store_b32 v9, v3
.LBB1525_720:                           ;   in Loop: Header=BB1525_12 Depth=1
	s_or_b32 exec_lo, exec_lo, s14
	s_load_b64 s[14:15], s[52:53], 0x0
	s_wait_dscnt 0x0
	v_dual_mov_b32 v31, v2 :: v_dual_bitop2_b32 v3, 7, v30 bitop3:0x40
	v_dual_mov_b32 v5, v2 :: v_dual_lshlrev_b32 v4, 3, v30
	s_mov_b32 s59, s56
	s_delay_alu instid0(VALU_DEP_2) | instskip(NEXT) | instid1(VALU_DEP_3)
	v_cmp_lt_u32_e64 s16, 3, v3
	v_add_nc_u64_e32 v[34:35], v[28:29], v[30:31]
                                        ; implicit-def: $vgpr36_vgpr37
                                        ; implicit-def: $vgpr38_vgpr39
                                        ; implicit-def: $vgpr40_vgpr41
                                        ; implicit-def: $vgpr42_vgpr43
                                        ; implicit-def: $vgpr44_vgpr45
                                        ; implicit-def: $vgpr46_vgpr47
                                        ; implicit-def: $vgpr48_vgpr49
                                        ; implicit-def: $vgpr50_vgpr51
                                        ; implicit-def: $vgpr52_vgpr53
                                        ; implicit-def: $vgpr54_vgpr55
                                        ; implicit-def: $vgpr56_vgpr57
                                        ; implicit-def: $vgpr58_vgpr59
                                        ; implicit-def: $vgpr60_vgpr61
                                        ; implicit-def: $vgpr62_vgpr63
                                        ; implicit-def: $vgpr64_vgpr65
                                        ; implicit-def: $vgpr66_vgpr67
                                        ; implicit-def: $vgpr68_vgpr69
                                        ; implicit-def: $vgpr119
                                        ; implicit-def: $vgpr120
                                        ; implicit-def: $vgpr121
                                        ; implicit-def: $vgpr122
                                        ; implicit-def: $vgpr123
                                        ; implicit-def: $vgpr124
                                        ; implicit-def: $vgpr125
                                        ; implicit-def: $vgpr126
                                        ; implicit-def: $vgpr127
                                        ; implicit-def: $vgpr128
                                        ; implicit-def: $vgpr129
                                        ; implicit-def: $vgpr130
                                        ; implicit-def: $vgpr131
                                        ; implicit-def: $vgpr132
                                        ; implicit-def: $vgpr133
                                        ; implicit-def: $vgpr134
                                        ; implicit-def: $vgpr135
                                        ; implicit-def: $vgpr136
                                        ; implicit-def: $vgpr137
	s_delay_alu instid0(VALU_DEP_3)
	v_add_nc_u64_e32 v[32:33], v[26:27], v[4:5]
	s_wait_kmcnt 0x0
	s_cmp_lt_u32 s35, s14
	s_cselect_b32 s42, 12, 18
	s_cmp_lt_u32 s48, s15
	s_mov_b32 s15, s43
	s_cselect_b32 s14, 14, 20
	s_delay_alu instid0(SALU_CYCLE_1)
	s_add_nc_u64 s[14:15], s[52:53], s[14:15]
	s_load_u16 s17, s[14:15], 0x0
	s_wait_xcnt 0x0
	s_add_nc_u64 s[14:15], s[52:53], s[42:43]
	s_mov_b32 s42, s54
	s_load_u16 s18, s[14:15], 0x0
	s_wait_xcnt 0x0
	v_cmp_eq_u32_e64 s14, 0, v3
	v_cmp_lt_u32_e64 s15, 1, v3
	s_wait_kmcnt 0x0
	v_mad_u32_u24 v3, v94, s17, v96
	s_delay_alu instid0(VALU_DEP_1) | instskip(NEXT) | instid1(VALU_DEP_1)
	v_mad_u32 v3, v3, s18, v10
	v_dual_lshrrev_b32 v3, 3, v3 :: v_dual_bitop2_b32 v102, v30, v14 bitop3:0x54
	s_delay_alu instid0(VALU_DEP_1)
	v_dual_add_nc_u32 v103, 32, v102 :: v_dual_add_nc_u32 v104, 64, v102
	v_add_nc_u32_e32 v105, 0x60, v102
	v_add_nc_u32_e32 v106, 0x80, v102
	;; [unrolled: 1-line block ×14, first 2 shown]
	v_and_b32_e32 v31, 0x1ffffffc, v3
	v_mov_b32_e32 v3, 0
	s_branch .LBB1525_722
.LBB1525_721:                           ;   in Loop: Header=BB1525_722 Depth=2
	s_or_b32 exec_lo, exec_lo, s17
	s_addk_co_i32 s59, 0xef00
	s_cmp_lt_u32 s60, s51
	s_mov_b32 s42, s60
	s_cbranch_scc0 .LBB1525_944
.LBB1525_722:                           ;   Parent Loop BB1525_12 Depth=1
                                        ; =>  This Inner Loop Header: Depth=2
	s_add_co_i32 s60, s42, 0x1100
	s_delay_alu instid0(SALU_CYCLE_1)
	s_cmp_gt_u32 s60, s51
	s_cbranch_scc1 .LBB1525_724
; %bb.723:                              ;   in Loop: Header=BB1525_722 Depth=2
	v_add_nc_u64_e32 v[4:5], s[42:43], v[34:35]
	v_and_b32_e32 v3, 0xff, v3
	s_mov_b32 s17, -1
	s_clause 0xf
	global_load_u8 v6, v[4:5], off offset:416
	global_load_u8 v7, v[4:5], off offset:480
	;; [unrolled: 1-line block ×14, first 2 shown]
	global_load_u8 v147, v[4:5], off
	global_load_u8 v4, v[4:5], off offset:96
	s_wait_loadcnt 0xc
	s_wait_xcnt 0x0
	v_perm_b32 v5, v70, v6, 0xc0c0004
	v_perm_b32 v6, v8, v7, 0xc0c0004
	s_wait_loadcnt 0x9
	v_perm_b32 v70, v139, v138, 0xc0c0004
	s_wait_loadcnt 0x8
	v_perm_b32 v8, v140, v71, 0xc0c0004
	v_lshl_or_b32 v7, v6, 16, v5
	s_wait_loadcnt 0x5
	v_perm_b32 v138, v143, v142, 0xc0c0004
	s_wait_loadcnt 0x4
	v_perm_b32 v71, v144, v141, 0xc0c0004
	v_lshl_or_b32 v6, v70, 16, v8
	v_and_b32_e32 v8, 0xffff, v3
	s_wait_loadcnt 0x1
	v_perm_b32 v139, v147, v145, 0xc0c0004
	s_wait_loadcnt 0x0
	v_perm_b32 v4, v146, v4, 0xc0c0004
	v_lshl_or_b32 v5, v138, 16, v71
	s_delay_alu instid0(VALU_DEP_2)
	v_lshl_or_b32 v4, v4, 16, v139
	s_movk_i32 s18, 0x1100
	s_cbranch_execz .LBB1525_725
	s_branch .LBB1525_743
.LBB1525_724:                           ;   in Loop: Header=BB1525_722 Depth=2
	s_mov_b32 s17, 0
                                        ; implicit-def: $vgpr4_vgpr5_vgpr6_vgpr7_vgpr8
	s_movk_i32 s18, 0x1100
.LBB1525_725:                           ;   in Loop: Header=BB1525_722 Depth=2
	v_dual_mov_b32 v5, v2 :: v_dual_mov_b32 v6, v2
	v_dual_mov_b32 v3, v2 :: v_dual_mov_b32 v4, v2
	v_add_nc_u64_e32 v[70:71], s[42:43], v[34:35]
	s_mov_b32 s17, exec_lo
	s_delay_alu instid0(VALU_DEP_3) | instskip(NEXT) | instid1(VALU_DEP_3)
	v_mov_b32_e32 v8, v6
	v_dual_mov_b32 v7, v5 :: v_dual_mov_b32 v6, v4
	v_mov_b32_e32 v5, v3
	v_mov_b32_e32 v4, v2
	v_cmpx_gt_u32_e64 s59, v102
	s_cbranch_execnz .LBB1525_929
; %bb.726:                              ;   in Loop: Header=BB1525_722 Depth=2
	s_or_b32 exec_lo, exec_lo, s17
	s_delay_alu instid0(SALU_CYCLE_1)
	s_mov_b32 s17, exec_lo
	v_cmpx_gt_u32_e64 s59, v103
	s_cbranch_execnz .LBB1525_930
.LBB1525_727:                           ;   in Loop: Header=BB1525_722 Depth=2
	s_or_b32 exec_lo, exec_lo, s17
	s_delay_alu instid0(SALU_CYCLE_1)
	s_mov_b32 s17, exec_lo
	v_cmpx_gt_u32_e64 s59, v104
	s_cbranch_execnz .LBB1525_931
.LBB1525_728:                           ;   in Loop: Header=BB1525_722 Depth=2
	s_or_b32 exec_lo, exec_lo, s17
	s_delay_alu instid0(SALU_CYCLE_1)
	s_mov_b32 s17, exec_lo
	v_cmpx_gt_u32_e64 s59, v105
	s_cbranch_execnz .LBB1525_932
.LBB1525_729:                           ;   in Loop: Header=BB1525_722 Depth=2
	s_or_b32 exec_lo, exec_lo, s17
	s_delay_alu instid0(SALU_CYCLE_1)
	s_mov_b32 s17, exec_lo
	v_cmpx_gt_u32_e64 s59, v106
	s_cbranch_execnz .LBB1525_933
.LBB1525_730:                           ;   in Loop: Header=BB1525_722 Depth=2
	s_or_b32 exec_lo, exec_lo, s17
	s_delay_alu instid0(SALU_CYCLE_1)
	s_mov_b32 s17, exec_lo
	v_cmpx_gt_u32_e64 s59, v107
	s_cbranch_execnz .LBB1525_934
.LBB1525_731:                           ;   in Loop: Header=BB1525_722 Depth=2
	s_or_b32 exec_lo, exec_lo, s17
	s_delay_alu instid0(SALU_CYCLE_1)
	s_mov_b32 s17, exec_lo
	v_cmpx_gt_u32_e64 s59, v108
	s_cbranch_execnz .LBB1525_935
.LBB1525_732:                           ;   in Loop: Header=BB1525_722 Depth=2
	s_or_b32 exec_lo, exec_lo, s17
	s_delay_alu instid0(SALU_CYCLE_1)
	s_mov_b32 s17, exec_lo
	v_cmpx_gt_u32_e64 s59, v109
	s_cbranch_execnz .LBB1525_936
.LBB1525_733:                           ;   in Loop: Header=BB1525_722 Depth=2
	s_or_b32 exec_lo, exec_lo, s17
	s_delay_alu instid0(SALU_CYCLE_1)
	s_mov_b32 s17, exec_lo
	v_cmpx_gt_u32_e64 s59, v110
	s_cbranch_execnz .LBB1525_937
.LBB1525_734:                           ;   in Loop: Header=BB1525_722 Depth=2
	s_or_b32 exec_lo, exec_lo, s17
	s_delay_alu instid0(SALU_CYCLE_1)
	s_mov_b32 s17, exec_lo
	v_cmpx_gt_u32_e64 s59, v111
	s_cbranch_execnz .LBB1525_938
.LBB1525_735:                           ;   in Loop: Header=BB1525_722 Depth=2
	s_or_b32 exec_lo, exec_lo, s17
	s_delay_alu instid0(SALU_CYCLE_1)
	s_mov_b32 s17, exec_lo
	v_cmpx_gt_u32_e64 s59, v112
	s_cbranch_execnz .LBB1525_939
.LBB1525_736:                           ;   in Loop: Header=BB1525_722 Depth=2
	s_or_b32 exec_lo, exec_lo, s17
	s_delay_alu instid0(SALU_CYCLE_1)
	s_mov_b32 s17, exec_lo
	v_cmpx_gt_u32_e64 s59, v113
	s_cbranch_execnz .LBB1525_940
.LBB1525_737:                           ;   in Loop: Header=BB1525_722 Depth=2
	s_or_b32 exec_lo, exec_lo, s17
	s_delay_alu instid0(SALU_CYCLE_1)
	s_mov_b32 s17, exec_lo
	v_cmpx_gt_u32_e64 s59, v114
	s_cbranch_execnz .LBB1525_941
.LBB1525_738:                           ;   in Loop: Header=BB1525_722 Depth=2
	s_or_b32 exec_lo, exec_lo, s17
	s_delay_alu instid0(SALU_CYCLE_1)
	s_mov_b32 s17, exec_lo
	v_cmpx_gt_u32_e64 s59, v115
	s_cbranch_execnz .LBB1525_942
.LBB1525_739:                           ;   in Loop: Header=BB1525_722 Depth=2
	s_or_b32 exec_lo, exec_lo, s17
	s_delay_alu instid0(SALU_CYCLE_1)
	s_mov_b32 s17, exec_lo
	v_cmpx_gt_u32_e64 s59, v116
	s_cbranch_execnz .LBB1525_943
.LBB1525_740:                           ;   in Loop: Header=BB1525_722 Depth=2
	s_or_b32 exec_lo, exec_lo, s17
	s_delay_alu instid0(SALU_CYCLE_1)
	s_mov_b32 s17, exec_lo
	v_cmpx_gt_u32_e64 s59, v117
	s_cbranch_execz .LBB1525_742
.LBB1525_741:                           ;   in Loop: Header=BB1525_722 Depth=2
	global_load_u8 v3, v[70:71], off offset:480
	v_and_b32_e32 v8, 0xff, v8
	s_wait_loadcnt 0x0
	v_perm_b32 v7, v7, v3, 0x60504
.LBB1525_742:                           ;   in Loop: Header=BB1525_722 Depth=2
	s_wait_xcnt 0x0
	s_or_b32 exec_lo, exec_lo, s17
	v_cmp_gt_u32_e64 s17, s59, v118
	s_sub_co_i32 s18, s51, s42
.LBB1525_743:                           ;   in Loop: Header=BB1525_722 Depth=2
	v_mov_b32_e32 v70, s59
	s_and_saveexec_b32 s19, s17
	s_cbranch_execz .LBB1525_745
; %bb.744:                              ;   in Loop: Header=BB1525_722 Depth=2
	v_add_nc_u64_e32 v[70:71], s[42:43], v[34:35]
	global_load_u8 v8, v[70:71], off offset:512
	s_wait_xcnt 0x0
	v_mov_b32_e32 v70, s18
.LBB1525_745:                           ;   in Loop: Header=BB1525_722 Depth=2
	s_or_b32 exec_lo, exec_lo, s19
	s_wait_loadcnt 0x0
	v_and_b32_e32 v140, 1, v4
	v_lshrrev_b16 v3, 8, v7
	v_lshrrev_b16 v138, 8, v5
	;; [unrolled: 1-line block ×4, first 2 shown]
	v_cmp_eq_u32_e32 vcc_lo, 1, v140
	v_and_b32_e32 v3, 1, v3
	v_and_b32_e32 v138, 1, v138
	ds_store_2addr_b32 v95, v2, v2 offset0:136 offset1:137
	ds_store_2addr_b32 v95, v2, v2 offset0:138 offset1:139
	ds_store_b32 v95, v2 offset:560
	v_and_b32_e32 v139, 1, v139
	s_xor_b32 s17, vcc_lo, -1
	v_cmp_eq_u32_e64 s19, 1, v3
	v_and_b32_e32 v3, 1, v8
	v_cndmask_b32_e64 v8, 0, 1, s17
	v_and_b32_e32 v71, 1, v71
	v_cmp_eq_u32_e64 s27, 1, v138
	v_and_b32_e32 v138, 0x10000, v7
	v_cmp_eq_u32_e32 vcc_lo, 1, v3
	v_lshrrev_b32_e32 v3, s49, v8
	v_cmp_eq_u32_e64 s31, 1, v139
	v_cmp_eq_u32_e64 s23, 1, v71
	v_cmp_ne_u32_e64 s18, 0, v138
	v_and_b32_e32 v71, 0x1000000, v7
	v_and_b32_e32 v138, s58, v3
	;; [unrolled: 1-line block ×4, first 2 shown]
	s_wait_dscnt 0x0
	v_cmp_ne_u32_e64 s17, 0, v71
	v_add_co_u32 v139, s21, v138, -1
	s_delay_alu instid0(VALU_DEP_1)
	v_cndmask_b32_e64 v140, 0, 1, s21
	v_cmp_eq_u32_e64 s20, 1, v7
	v_and_b32_e32 v7, 0x1000000, v6
	v_and_b32_e32 v71, 0x1000000, v5
	v_cmp_ne_u32_e64 s22, 0, v3
	v_cmp_ne_u32_e64 s26, 0, v140
	v_and_b32_e32 v6, 1, v6
	v_cmp_ne_u32_e64 s21, 0, v7
	v_and_b32_e32 v7, 0x1000000, v4
	v_and_b32_e32 v4, 0x10000, v4
	v_bitop3_b32 v3, s26, exec_lo, v139 bitop3:0x48
	v_cmp_ne_u32_e64 s25, 0, v71
	v_cmp_eq_u32_e64 s24, 1, v6
	v_and_b32_e32 v6, 0x10000, v5
	v_and_b32_e32 v5, 1, v5
	v_mbcnt_lo_u32_b32 v71, v3, 0
	v_cmp_ne_u32_e64 s30, 0, v4
	v_mul_u32_u24_e32 v4, 36, v138
	v_cmp_ne_u32_e64 s34, 0, v3
	v_cmp_ne_u32_e64 s26, 0, v6
	v_cmp_eq_u32_e64 s33, 0, v71
	v_cmp_eq_u32_e64 s28, 1, v5
	v_cmp_ne_u32_e64 s29, 0, v7
	v_add_nc_u32_e32 v141, v31, v4
	s_barrier_signal -1
	s_and_b32 s34, s34, s33
	s_barrier_wait -1
	; wave barrier
	s_and_saveexec_b32 s33, s34
; %bb.746:                              ;   in Loop: Header=BB1525_722 Depth=2
	v_bcnt_u32_b32 v3, v3, 0
	ds_store_b32 v141, v3 offset:544
; %bb.747:                              ;   in Loop: Header=BB1525_722 Depth=2
	s_or_b32 exec_lo, exec_lo, s33
	s_xor_b32 s31, s31, -1
	s_delay_alu instid0(SALU_CYCLE_1) | instskip(NEXT) | instid1(VALU_DEP_1)
	v_cndmask_b32_e64 v138, 0, 1, s31
	; wave barrier
	v_lshrrev_b32_e32 v3, s49, v138
	s_delay_alu instid0(VALU_DEP_1) | instskip(NEXT) | instid1(VALU_DEP_1)
	v_and_b32_e32 v4, s58, v3
	v_add_co_u32 v3, s31, v4, -1
	s_delay_alu instid0(VALU_DEP_1) | instskip(SKIP_2) | instid1(VALU_DEP_3)
	v_cndmask_b32_e64 v5, 0, 1, s31
	v_mad_u32_u24 v6, v4, 36, v31
	v_mul_u32_u24_e32 v4, 36, v4
	v_cmp_ne_u32_e64 s31, 0, v5
	ds_load_b32 v139, v6 offset:544
	v_add_nc_u32_e32 v144, v31, v4
	; wave barrier
	v_bitop3_b32 v3, s31, exec_lo, v3 bitop3:0x48
	s_delay_alu instid0(VALU_DEP_1) | instskip(SKIP_1) | instid1(VALU_DEP_2)
	v_mbcnt_lo_u32_b32 v140, v3, 0
	v_cmp_ne_u32_e64 s33, 0, v3
	v_cmp_eq_u32_e64 s31, 0, v140
	s_and_b32 s33, s33, s31
	s_delay_alu instid0(SALU_CYCLE_1)
	s_and_saveexec_b32 s31, s33
	s_cbranch_execz .LBB1525_749
; %bb.748:                              ;   in Loop: Header=BB1525_722 Depth=2
	s_wait_dscnt 0x0
	v_bcnt_u32_b32 v3, v3, v139
	ds_store_b32 v144, v3 offset:544
.LBB1525_749:                           ;   in Loop: Header=BB1525_722 Depth=2
	s_or_b32 exec_lo, exec_lo, s31
	s_xor_b32 s30, s30, -1
	s_delay_alu instid0(SALU_CYCLE_1) | instskip(NEXT) | instid1(VALU_DEP_1)
	v_cndmask_b32_e64 v153, 0, 1, s30
	; wave barrier
	v_lshrrev_b32_e32 v3, s49, v153
	s_delay_alu instid0(VALU_DEP_1) | instskip(NEXT) | instid1(VALU_DEP_1)
	v_and_b32_e32 v4, s58, v3
	v_add_co_u32 v3, s30, v4, -1
	s_delay_alu instid0(VALU_DEP_1) | instskip(SKIP_2) | instid1(VALU_DEP_3)
	v_cndmask_b32_e64 v5, 0, 1, s30
	v_mad_u32_u24 v6, v4, 36, v31
	v_mul_u32_u24_e32 v4, 36, v4
	v_cmp_ne_u32_e64 s30, 0, v5
	ds_load_b32 v142, v6 offset:544
	v_add_nc_u32_e32 v147, v31, v4
	; wave barrier
	v_bitop3_b32 v3, s30, exec_lo, v3 bitop3:0x48
	s_delay_alu instid0(VALU_DEP_1) | instskip(SKIP_1) | instid1(VALU_DEP_2)
	v_mbcnt_lo_u32_b32 v143, v3, 0
	v_cmp_ne_u32_e64 s31, 0, v3
	v_cmp_eq_u32_e64 s30, 0, v143
	s_and_b32 s31, s31, s30
	s_delay_alu instid0(SALU_CYCLE_1)
	s_and_saveexec_b32 s30, s31
	s_cbranch_execz .LBB1525_751
; %bb.750:                              ;   in Loop: Header=BB1525_722 Depth=2
	s_wait_dscnt 0x0
	v_bcnt_u32_b32 v3, v3, v142
	ds_store_b32 v147, v3 offset:544
.LBB1525_751:                           ;   in Loop: Header=BB1525_722 Depth=2
	;; [unrolled: 31-line block ×15, first 2 shown]
	s_or_b32 exec_lo, exec_lo, s17
	s_xor_b32 s17, vcc_lo, -1
	s_delay_alu instid0(SALU_CYCLE_1) | instskip(NEXT) | instid1(VALU_DEP_1)
	v_cndmask_b32_e64 v3, 0, 1, s17
	; wave barrier
	v_lshrrev_b32_e32 v4, s49, v3
	s_delay_alu instid0(VALU_DEP_1) | instskip(NEXT) | instid1(VALU_DEP_1)
	v_and_b32_e32 v5, s58, v4
	v_add_co_u32 v4, s17, v5, -1
	s_delay_alu instid0(VALU_DEP_1) | instskip(SKIP_2) | instid1(VALU_DEP_3)
	v_cndmask_b32_e64 v6, 0, 1, s17
	v_mad_u32_u24 v7, v5, 36, v31
	v_mul_u32_u24_e32 v5, 36, v5
	v_cmp_ne_u32_e32 vcc_lo, 0, v6
	ds_load_b32 v198, v7 offset:544
	v_add_nc_u32_e32 v201, v31, v5
	; wave barrier
	v_bitop3_b32 v4, vcc_lo, exec_lo, v4 bitop3:0x48
	s_delay_alu instid0(VALU_DEP_1) | instskip(SKIP_1) | instid1(VALU_DEP_2)
	v_mbcnt_lo_u32_b32 v199, v4, 0
	v_cmp_ne_u32_e64 s17, 0, v4
	v_cmp_eq_u32_e32 vcc_lo, 0, v199
	s_and_b32 s18, s17, vcc_lo
	s_delay_alu instid0(SALU_CYCLE_1)
	s_and_saveexec_b32 s17, s18
	s_cbranch_execz .LBB1525_779
; %bb.778:                              ;   in Loop: Header=BB1525_722 Depth=2
	s_wait_dscnt 0x0
	v_bcnt_u32_b32 v4, v4, v198
	ds_store_b32 v201, v4 offset:544
.LBB1525_779:                           ;   in Loop: Header=BB1525_722 Depth=2
	s_or_b32 exec_lo, exec_lo, s17
	; wave barrier
	s_wait_dscnt 0x0
	s_barrier_signal -1
	s_barrier_wait -1
	ds_load_2addr_b32 v[6:7], v95 offset0:136 offset1:137
	ds_load_2addr_b32 v[4:5], v95 offset0:138 offset1:139
	ds_load_b32 v202, v95 offset:560
	s_wait_dscnt 0x1
	v_add3_u32 v203, v7, v6, v4
	s_wait_dscnt 0x0
	s_delay_alu instid0(VALU_DEP_1) | instskip(NEXT) | instid1(VALU_DEP_1)
	v_add3_u32 v202, v203, v5, v202
	v_mov_b32_dpp v203, v202 row_shr:1 row_mask:0xf bank_mask:0xf
	s_delay_alu instid0(VALU_DEP_1) | instskip(NEXT) | instid1(VALU_DEP_1)
	v_cndmask_b32_e64 v203, v203, 0, s8
	v_add_nc_u32_e32 v202, v203, v202
	s_delay_alu instid0(VALU_DEP_1) | instskip(NEXT) | instid1(VALU_DEP_1)
	v_mov_b32_dpp v203, v202 row_shr:2 row_mask:0xf bank_mask:0xf
	v_cndmask_b32_e64 v203, 0, v203, s9
	s_delay_alu instid0(VALU_DEP_1) | instskip(NEXT) | instid1(VALU_DEP_1)
	v_add_nc_u32_e32 v202, v202, v203
	v_mov_b32_dpp v203, v202 row_shr:4 row_mask:0xf bank_mask:0xf
	s_delay_alu instid0(VALU_DEP_1) | instskip(NEXT) | instid1(VALU_DEP_1)
	v_cndmask_b32_e64 v203, 0, v203, s10
	v_add_nc_u32_e32 v202, v202, v203
	s_delay_alu instid0(VALU_DEP_1) | instskip(NEXT) | instid1(VALU_DEP_1)
	v_mov_b32_dpp v203, v202 row_shr:8 row_mask:0xf bank_mask:0xf
	v_cndmask_b32_e64 v203, 0, v203, s11
	s_delay_alu instid0(VALU_DEP_1) | instskip(SKIP_3) | instid1(VALU_DEP_1)
	v_add_nc_u32_e32 v202, v202, v203
	ds_swizzle_b32 v203, v202 offset:swizzle(BROADCAST,32,15)
	s_wait_dscnt 0x0
	v_cndmask_b32_e64 v203, v203, 0, s12
	v_add_nc_u32_e32 v202, v202, v203
	s_and_saveexec_b32 s17, s2
; %bb.780:                              ;   in Loop: Header=BB1525_722 Depth=2
	ds_store_b32 v88, v202 offset:512
; %bb.781:                              ;   in Loop: Header=BB1525_722 Depth=2
	s_or_b32 exec_lo, exec_lo, s17
	s_wait_dscnt 0x0
	s_barrier_signal -1
	s_barrier_wait -1
	s_and_saveexec_b32 s17, s3
	s_cbranch_execz .LBB1525_783
; %bb.782:                              ;   in Loop: Header=BB1525_722 Depth=2
	ds_load_b32 v203, v97 offset:512
	s_wait_dscnt 0x0
	v_mov_b32_dpp v204, v203 row_shr:1 row_mask:0xf bank_mask:0xf
	s_delay_alu instid0(VALU_DEP_1) | instskip(NEXT) | instid1(VALU_DEP_1)
	v_cndmask_b32_e64 v204, v204, 0, s14
	v_add_nc_u32_e32 v203, v204, v203
	s_delay_alu instid0(VALU_DEP_1) | instskip(NEXT) | instid1(VALU_DEP_1)
	v_mov_b32_dpp v204, v203 row_shr:2 row_mask:0xf bank_mask:0xf
	v_cndmask_b32_e64 v204, 0, v204, s15
	s_delay_alu instid0(VALU_DEP_1) | instskip(NEXT) | instid1(VALU_DEP_1)
	v_add_nc_u32_e32 v203, v203, v204
	v_mov_b32_dpp v204, v203 row_shr:4 row_mask:0xf bank_mask:0xf
	s_delay_alu instid0(VALU_DEP_1) | instskip(NEXT) | instid1(VALU_DEP_1)
	v_cndmask_b32_e64 v204, 0, v204, s16
	v_add_nc_u32_e32 v203, v203, v204
	ds_store_b32 v97, v203 offset:512
.LBB1525_783:                           ;   in Loop: Header=BB1525_722 Depth=2
	s_or_b32 exec_lo, exec_lo, s17
	v_mov_b32_e32 v203, 0
	s_wait_dscnt 0x0
	s_barrier_signal -1
	s_barrier_wait -1
	s_and_saveexec_b32 s17, s5
; %bb.784:                              ;   in Loop: Header=BB1525_722 Depth=2
	ds_load_b32 v203, v88 offset:508
; %bb.785:                              ;   in Loop: Header=BB1525_722 Depth=2
	s_or_b32 exec_lo, exec_lo, s17
	s_wait_dscnt 0x0
	v_add_nc_u32_e32 v202, v203, v202
	ds_bpermute_b32 v202, v101, v202
	s_wait_dscnt 0x0
	v_cndmask_b32_e64 v202, v202, v203, s13
	s_delay_alu instid0(VALU_DEP_1) | instskip(NEXT) | instid1(VALU_DEP_1)
	v_cndmask_b32_e64 v202, v202, 0, s6
	v_add_nc_u32_e32 v6, v202, v6
	s_delay_alu instid0(VALU_DEP_1) | instskip(NEXT) | instid1(VALU_DEP_1)
	v_add_nc_u32_e32 v7, v6, v7
	v_add_nc_u32_e32 v4, v7, v4
	s_delay_alu instid0(VALU_DEP_1)
	v_add_nc_u32_e32 v5, v4, v5
	ds_store_2addr_b32 v95, v202, v6 offset0:136 offset1:137
	ds_store_2addr_b32 v95, v7, v4 offset0:138 offset1:139
	ds_store_b32 v95, v5 offset:560
	s_wait_dscnt 0x0
	s_barrier_signal -1
	s_barrier_wait -1
	ds_load_b32 v4, v141 offset:544
	ds_load_b32 v5, v144 offset:544
	;; [unrolled: 1-line block ×17, first 2 shown]
	s_and_saveexec_b32 s17, s0
	s_cbranch_execz .LBB1525_789
; %bb.786:                              ;   in Loop: Header=BB1525_722 Depth=2
	v_dual_mov_b32 v137, 0x1100 :: v_dual_add_nc_u32 v136, v97, v99
	ds_load_b32 v136, v136 offset:544
	s_and_saveexec_b32 s18, s7
; %bb.787:                              ;   in Loop: Header=BB1525_722 Depth=2
	ds_load_b32 v137, v98 offset:544
; %bb.788:                              ;   in Loop: Header=BB1525_722 Depth=2
	s_or_b32 exec_lo, exec_lo, s18
	s_wait_dscnt 0x0
	v_sub_nc_u32_e32 v137, v137, v136
.LBB1525_789:                           ;   in Loop: Header=BB1525_722 Depth=2
	s_or_b32 exec_lo, exec_lo, s17
	s_wait_dscnt 0x0
	s_barrier_signal -1
	s_barrier_wait -1
	s_and_saveexec_b32 s17, s0
	s_cbranch_execz .LBB1525_791
; %bb.790:                              ;   in Loop: Header=BB1525_722 Depth=2
	ds_load_b32 v147, v9
	s_wait_dscnt 0x0
	v_sub_nc_u32_e32 v147, v147, v136
	ds_store_b32 v9, v147
.LBB1525_791:                           ;   in Loop: Header=BB1525_722 Depth=2
	s_or_b32 exec_lo, exec_lo, s17
	v_add_nc_u32_e32 v152, v4, v71
	v_add3_u32 v151, v140, v139, v5
	v_add3_u32 v150, v143, v142, v6
	;; [unrolled: 1-line block ×16, first 2 shown]
	v_cmp_lt_u32_e32 vcc_lo, v10, v70
	ds_store_b8 v152, v8 offset:512
	ds_store_b8 v151, v138 offset:512
	;; [unrolled: 1-line block ×17, first 2 shown]
	s_wait_dscnt 0x0
	s_barrier_signal -1
	s_barrier_wait -1
	s_and_saveexec_b32 s17, vcc_lo
	s_cbranch_execnz .LBB1525_864
; %bb.792:                              ;   in Loop: Header=BB1525_722 Depth=2
	s_or_b32 exec_lo, exec_lo, s17
	v_cmp_lt_u32_e64 s17, v72, v70
	s_and_saveexec_b32 s18, s17
	s_cbranch_execnz .LBB1525_865
.LBB1525_793:                           ;   in Loop: Header=BB1525_722 Depth=2
	s_or_b32 exec_lo, exec_lo, s18
	v_cmp_lt_u32_e64 s18, v73, v70
	s_and_saveexec_b32 s19, s18
	s_cbranch_execnz .LBB1525_866
.LBB1525_794:                           ;   in Loop: Header=BB1525_722 Depth=2
	s_or_b32 exec_lo, exec_lo, s19
	v_cmp_lt_u32_e64 s19, v74, v70
	s_and_saveexec_b32 s20, s19
	s_cbranch_execnz .LBB1525_867
.LBB1525_795:                           ;   in Loop: Header=BB1525_722 Depth=2
	s_or_b32 exec_lo, exec_lo, s20
	v_cmp_lt_u32_e64 s20, v75, v70
	s_and_saveexec_b32 s21, s20
	s_cbranch_execnz .LBB1525_868
.LBB1525_796:                           ;   in Loop: Header=BB1525_722 Depth=2
	s_or_b32 exec_lo, exec_lo, s21
	v_cmp_lt_u32_e64 s21, v76, v70
	s_and_saveexec_b32 s22, s21
	s_cbranch_execnz .LBB1525_869
.LBB1525_797:                           ;   in Loop: Header=BB1525_722 Depth=2
	s_or_b32 exec_lo, exec_lo, s22
	v_cmp_lt_u32_e64 s22, v77, v70
	s_and_saveexec_b32 s23, s22
	s_cbranch_execnz .LBB1525_870
.LBB1525_798:                           ;   in Loop: Header=BB1525_722 Depth=2
	s_or_b32 exec_lo, exec_lo, s23
	v_cmp_lt_u32_e64 s23, v78, v70
	s_and_saveexec_b32 s24, s23
	s_cbranch_execnz .LBB1525_871
.LBB1525_799:                           ;   in Loop: Header=BB1525_722 Depth=2
	s_or_b32 exec_lo, exec_lo, s24
	v_cmp_lt_u32_e64 s24, v79, v70
	s_and_saveexec_b32 s25, s24
	s_cbranch_execnz .LBB1525_872
.LBB1525_800:                           ;   in Loop: Header=BB1525_722 Depth=2
	s_or_b32 exec_lo, exec_lo, s25
	v_cmp_lt_u32_e64 s25, v80, v70
	s_and_saveexec_b32 s26, s25
	s_cbranch_execnz .LBB1525_873
.LBB1525_801:                           ;   in Loop: Header=BB1525_722 Depth=2
	s_or_b32 exec_lo, exec_lo, s26
	v_cmp_lt_u32_e64 s26, v81, v70
	s_and_saveexec_b32 s27, s26
	s_cbranch_execnz .LBB1525_874
.LBB1525_802:                           ;   in Loop: Header=BB1525_722 Depth=2
	s_or_b32 exec_lo, exec_lo, s27
	v_cmp_lt_u32_e64 s27, v82, v70
	s_and_saveexec_b32 s28, s27
	s_cbranch_execnz .LBB1525_875
.LBB1525_803:                           ;   in Loop: Header=BB1525_722 Depth=2
	s_or_b32 exec_lo, exec_lo, s28
	v_cmp_lt_u32_e64 s28, v83, v70
	s_and_saveexec_b32 s29, s28
	s_cbranch_execnz .LBB1525_876
.LBB1525_804:                           ;   in Loop: Header=BB1525_722 Depth=2
	s_or_b32 exec_lo, exec_lo, s29
	v_cmp_lt_u32_e64 s29, v84, v70
	s_and_saveexec_b32 s30, s29
	s_cbranch_execnz .LBB1525_877
.LBB1525_805:                           ;   in Loop: Header=BB1525_722 Depth=2
	s_or_b32 exec_lo, exec_lo, s30
	v_cmp_lt_u32_e64 s30, v85, v70
	s_and_saveexec_b32 s31, s30
	s_cbranch_execnz .LBB1525_878
.LBB1525_806:                           ;   in Loop: Header=BB1525_722 Depth=2
	s_or_b32 exec_lo, exec_lo, s31
	v_cmp_lt_u32_e64 s31, v86, v70
	s_and_saveexec_b32 s33, s31
	s_cbranch_execnz .LBB1525_879
.LBB1525_807:                           ;   in Loop: Header=BB1525_722 Depth=2
	s_or_b32 exec_lo, exec_lo, s33
	v_cmp_lt_u32_e64 s33, v87, v70
	s_and_saveexec_b32 s34, s33
	s_cbranch_execz .LBB1525_809
.LBB1525_808:                           ;   in Loop: Header=BB1525_722 Depth=2
	ds_load_u8 v4, v10 offset:4608
	s_wait_dscnt 0x0
	v_and_b32_e32 v5, 1, v4
	s_delay_alu instid0(VALU_DEP_1) | instskip(NEXT) | instid1(VALU_DEP_1)
	v_dual_lshrrev_b32 v5, s49, v5 :: v_dual_bitop2_b32 v4, 1, v4 bitop3:0x14
	v_and_b32_e32 v5, s58, v5
	s_delay_alu instid0(VALU_DEP_1)
	v_lshlrev_b32_e32 v5, 2, v5
	ds_load_b32 v5, v5
	s_wait_dscnt 0x0
	v_add_nc_u32_e32 v5, v5, v87
	global_store_b8 v5, v4, s[38:39]
.LBB1525_809:                           ;   in Loop: Header=BB1525_722 Depth=2
	s_wait_xcnt 0x0
	s_or_b32 exec_lo, exec_lo, s34
	v_lshl_add_u64 v[4:5], s[42:43], 3, v[32:33]
	v_cmp_lt_u32_e64 s34, v102, v70
	s_and_saveexec_b32 s42, s34
	s_delay_alu instid0(SALU_CYCLE_1)
	s_xor_b32 s34, exec_lo, s42
	s_cbranch_execnz .LBB1525_880
; %bb.810:                              ;   in Loop: Header=BB1525_722 Depth=2
	s_or_b32 exec_lo, exec_lo, s34
	s_delay_alu instid0(SALU_CYCLE_1)
	s_mov_b32 s42, exec_lo
	v_cmpx_lt_u32_e64 v103, v70
	s_cbranch_execnz .LBB1525_881
.LBB1525_811:                           ;   in Loop: Header=BB1525_722 Depth=2
	s_or_b32 exec_lo, exec_lo, s42
	s_delay_alu instid0(SALU_CYCLE_1)
	s_mov_b32 s42, exec_lo
	v_cmpx_lt_u32_e64 v104, v70
	s_cbranch_execnz .LBB1525_882
.LBB1525_812:                           ;   in Loop: Header=BB1525_722 Depth=2
	s_or_b32 exec_lo, exec_lo, s42
	s_delay_alu instid0(SALU_CYCLE_1)
	s_mov_b32 s42, exec_lo
	v_cmpx_lt_u32_e64 v105, v70
	s_cbranch_execnz .LBB1525_883
.LBB1525_813:                           ;   in Loop: Header=BB1525_722 Depth=2
	s_or_b32 exec_lo, exec_lo, s42
	s_delay_alu instid0(SALU_CYCLE_1)
	s_mov_b32 s42, exec_lo
	v_cmpx_lt_u32_e64 v106, v70
	s_cbranch_execnz .LBB1525_884
.LBB1525_814:                           ;   in Loop: Header=BB1525_722 Depth=2
	s_or_b32 exec_lo, exec_lo, s42
	s_delay_alu instid0(SALU_CYCLE_1)
	s_mov_b32 s42, exec_lo
	v_cmpx_lt_u32_e64 v107, v70
	s_cbranch_execnz .LBB1525_885
.LBB1525_815:                           ;   in Loop: Header=BB1525_722 Depth=2
	s_or_b32 exec_lo, exec_lo, s42
	s_delay_alu instid0(SALU_CYCLE_1)
	s_mov_b32 s42, exec_lo
	v_cmpx_lt_u32_e64 v108, v70
	s_cbranch_execnz .LBB1525_886
.LBB1525_816:                           ;   in Loop: Header=BB1525_722 Depth=2
	s_or_b32 exec_lo, exec_lo, s42
	s_delay_alu instid0(SALU_CYCLE_1)
	s_mov_b32 s42, exec_lo
	v_cmpx_lt_u32_e64 v109, v70
	s_cbranch_execnz .LBB1525_887
.LBB1525_817:                           ;   in Loop: Header=BB1525_722 Depth=2
	s_or_b32 exec_lo, exec_lo, s42
	s_delay_alu instid0(SALU_CYCLE_1)
	s_mov_b32 s42, exec_lo
	v_cmpx_lt_u32_e64 v110, v70
	s_cbranch_execnz .LBB1525_888
.LBB1525_818:                           ;   in Loop: Header=BB1525_722 Depth=2
	s_or_b32 exec_lo, exec_lo, s42
	s_delay_alu instid0(SALU_CYCLE_1)
	s_mov_b32 s42, exec_lo
	v_cmpx_lt_u32_e64 v111, v70
	s_cbranch_execnz .LBB1525_889
.LBB1525_819:                           ;   in Loop: Header=BB1525_722 Depth=2
	s_or_b32 exec_lo, exec_lo, s42
	s_delay_alu instid0(SALU_CYCLE_1)
	s_mov_b32 s42, exec_lo
	v_cmpx_lt_u32_e64 v112, v70
	s_cbranch_execnz .LBB1525_890
.LBB1525_820:                           ;   in Loop: Header=BB1525_722 Depth=2
	s_or_b32 exec_lo, exec_lo, s42
	s_delay_alu instid0(SALU_CYCLE_1)
	s_mov_b32 s42, exec_lo
	v_cmpx_lt_u32_e64 v113, v70
	s_cbranch_execnz .LBB1525_891
.LBB1525_821:                           ;   in Loop: Header=BB1525_722 Depth=2
	s_or_b32 exec_lo, exec_lo, s42
	s_delay_alu instid0(SALU_CYCLE_1)
	s_mov_b32 s42, exec_lo
	v_cmpx_lt_u32_e64 v114, v70
	s_cbranch_execnz .LBB1525_892
.LBB1525_822:                           ;   in Loop: Header=BB1525_722 Depth=2
	s_or_b32 exec_lo, exec_lo, s42
	s_delay_alu instid0(SALU_CYCLE_1)
	s_mov_b32 s42, exec_lo
	v_cmpx_lt_u32_e64 v115, v70
	s_cbranch_execnz .LBB1525_893
.LBB1525_823:                           ;   in Loop: Header=BB1525_722 Depth=2
	s_or_b32 exec_lo, exec_lo, s42
	s_delay_alu instid0(SALU_CYCLE_1)
	s_mov_b32 s42, exec_lo
	v_cmpx_lt_u32_e64 v116, v70
	s_cbranch_execnz .LBB1525_894
.LBB1525_824:                           ;   in Loop: Header=BB1525_722 Depth=2
	s_or_b32 exec_lo, exec_lo, s42
	s_delay_alu instid0(SALU_CYCLE_1)
	s_mov_b32 s42, exec_lo
	v_cmpx_lt_u32_e64 v117, v70
	s_cbranch_execnz .LBB1525_895
.LBB1525_825:                           ;   in Loop: Header=BB1525_722 Depth=2
	s_or_b32 exec_lo, exec_lo, s42
	s_delay_alu instid0(SALU_CYCLE_1)
	s_mov_b32 s42, exec_lo
	v_cmpx_lt_u32_e64 v118, v70
	s_cbranch_execnz .LBB1525_896
.LBB1525_826:                           ;   in Loop: Header=BB1525_722 Depth=2
	s_or_b32 exec_lo, exec_lo, s42
	s_and_saveexec_b32 s34, vcc_lo
	s_cbranch_execnz .LBB1525_897
.LBB1525_827:                           ;   in Loop: Header=BB1525_722 Depth=2
	s_or_b32 exec_lo, exec_lo, s34
	s_and_saveexec_b32 s34, s17
	s_cbranch_execnz .LBB1525_898
.LBB1525_828:                           ;   in Loop: Header=BB1525_722 Depth=2
	s_or_b32 exec_lo, exec_lo, s34
	s_and_saveexec_b32 s34, s18
	s_cbranch_execnz .LBB1525_899
.LBB1525_829:                           ;   in Loop: Header=BB1525_722 Depth=2
	s_or_b32 exec_lo, exec_lo, s34
	s_and_saveexec_b32 s34, s19
	s_cbranch_execnz .LBB1525_900
.LBB1525_830:                           ;   in Loop: Header=BB1525_722 Depth=2
	s_or_b32 exec_lo, exec_lo, s34
	s_and_saveexec_b32 s34, s20
	s_cbranch_execnz .LBB1525_901
.LBB1525_831:                           ;   in Loop: Header=BB1525_722 Depth=2
	s_or_b32 exec_lo, exec_lo, s34
	s_and_saveexec_b32 s34, s21
	s_cbranch_execnz .LBB1525_902
.LBB1525_832:                           ;   in Loop: Header=BB1525_722 Depth=2
	s_or_b32 exec_lo, exec_lo, s34
	s_and_saveexec_b32 s34, s22
	s_cbranch_execnz .LBB1525_903
.LBB1525_833:                           ;   in Loop: Header=BB1525_722 Depth=2
	s_or_b32 exec_lo, exec_lo, s34
	s_and_saveexec_b32 s34, s23
	s_cbranch_execnz .LBB1525_904
.LBB1525_834:                           ;   in Loop: Header=BB1525_722 Depth=2
	s_or_b32 exec_lo, exec_lo, s34
	s_and_saveexec_b32 s34, s24
	s_cbranch_execnz .LBB1525_905
.LBB1525_835:                           ;   in Loop: Header=BB1525_722 Depth=2
	s_or_b32 exec_lo, exec_lo, s34
	s_and_saveexec_b32 s34, s25
	s_cbranch_execnz .LBB1525_906
.LBB1525_836:                           ;   in Loop: Header=BB1525_722 Depth=2
	s_or_b32 exec_lo, exec_lo, s34
	s_and_saveexec_b32 s34, s26
	s_cbranch_execnz .LBB1525_907
.LBB1525_837:                           ;   in Loop: Header=BB1525_722 Depth=2
	s_or_b32 exec_lo, exec_lo, s34
	s_and_saveexec_b32 s34, s27
	s_cbranch_execnz .LBB1525_908
.LBB1525_838:                           ;   in Loop: Header=BB1525_722 Depth=2
	s_or_b32 exec_lo, exec_lo, s34
	s_and_saveexec_b32 s34, s28
	s_cbranch_execnz .LBB1525_909
.LBB1525_839:                           ;   in Loop: Header=BB1525_722 Depth=2
	s_or_b32 exec_lo, exec_lo, s34
	s_and_saveexec_b32 s34, s29
	s_cbranch_execnz .LBB1525_910
.LBB1525_840:                           ;   in Loop: Header=BB1525_722 Depth=2
	s_or_b32 exec_lo, exec_lo, s34
	s_and_saveexec_b32 s34, s30
	s_cbranch_execnz .LBB1525_911
.LBB1525_841:                           ;   in Loop: Header=BB1525_722 Depth=2
	s_or_b32 exec_lo, exec_lo, s34
	s_and_saveexec_b32 s34, s31
	s_cbranch_execnz .LBB1525_912
.LBB1525_842:                           ;   in Loop: Header=BB1525_722 Depth=2
	s_or_b32 exec_lo, exec_lo, s34
	s_and_saveexec_b32 s34, s33
	s_cbranch_execz .LBB1525_844
.LBB1525_843:                           ;   in Loop: Header=BB1525_722 Depth=2
	ds_load_u8 v4, v10 offset:4608
	s_wait_dscnt 0x0
	v_lshrrev_b32_e32 v4, s49, v4
	s_delay_alu instid0(VALU_DEP_1)
	v_and_b32_e32 v119, s58, v4
.LBB1525_844:                           ;   in Loop: Header=BB1525_722 Depth=2
	s_or_b32 exec_lo, exec_lo, s34
	v_dual_lshlrev_b32 v4, 3, v152 :: v_dual_lshlrev_b32 v5, 3, v151
	s_wait_loadcnt 0x0
	s_wait_storecnt 0x0
	s_barrier_signal -1
	s_barrier_wait -1
	ds_store_b64 v4, v[68:69] offset:512
	ds_store_b64 v5, v[66:67] offset:512
	v_dual_lshlrev_b32 v4, 3, v150 :: v_dual_lshlrev_b32 v5, 3, v149
	v_dual_lshlrev_b32 v8, 3, v148 :: v_dual_lshlrev_b32 v70, 3, v147
	v_lshlrev_b32_e32 v138, 3, v146
	ds_store_b64 v4, v[64:65] offset:512
	ds_store_b64 v5, v[62:63] offset:512
	ds_store_b64 v8, v[60:61] offset:512
	ds_store_b64 v70, v[58:59] offset:512
	ds_store_b64 v138, v[56:57] offset:512
	v_dual_lshlrev_b32 v4, 3, v145 :: v_dual_lshlrev_b32 v5, 3, v144
	v_dual_lshlrev_b32 v8, 3, v143 :: v_dual_lshlrev_b32 v70, 3, v142
	v_lshlrev_b32_e32 v138, 3, v141
	ds_store_b64 v4, v[54:55] offset:512
	ds_store_b64 v5, v[52:53] offset:512
	ds_store_b64 v8, v[50:51] offset:512
	ds_store_b64 v70, v[48:49] offset:512
	ds_store_b64 v138, v[46:47] offset:512
	v_dual_lshlrev_b32 v4, 3, v140 :: v_dual_lshlrev_b32 v5, 3, v139
	v_dual_lshlrev_b32 v8, 3, v71 :: v_dual_lshlrev_b32 v6, 3, v6
	v_lshlrev_b32_e32 v7, 3, v7
	ds_store_b64 v4, v[44:45] offset:512
	ds_store_b64 v5, v[42:43] offset:512
	ds_store_b64 v8, v[40:41] offset:512
	ds_store_b64 v7, v[38:39] offset:512
	ds_store_b64 v6, v[36:37] offset:512
	s_wait_dscnt 0x0
	s_barrier_signal -1
	s_barrier_wait -1
	s_and_saveexec_b32 s34, vcc_lo
	s_cbranch_execnz .LBB1525_913
; %bb.845:                              ;   in Loop: Header=BB1525_722 Depth=2
	s_or_b32 exec_lo, exec_lo, s34
	s_and_saveexec_b32 s34, s17
	s_cbranch_execnz .LBB1525_914
.LBB1525_846:                           ;   in Loop: Header=BB1525_722 Depth=2
	s_or_b32 exec_lo, exec_lo, s34
	s_and_saveexec_b32 s17, s18
	s_cbranch_execnz .LBB1525_915
.LBB1525_847:                           ;   in Loop: Header=BB1525_722 Depth=2
	s_or_b32 exec_lo, exec_lo, s17
	s_and_saveexec_b32 s17, s19
	s_cbranch_execnz .LBB1525_916
.LBB1525_848:                           ;   in Loop: Header=BB1525_722 Depth=2
	s_or_b32 exec_lo, exec_lo, s17
	s_and_saveexec_b32 s17, s20
	s_cbranch_execnz .LBB1525_917
.LBB1525_849:                           ;   in Loop: Header=BB1525_722 Depth=2
	s_or_b32 exec_lo, exec_lo, s17
	s_and_saveexec_b32 s17, s21
	s_cbranch_execnz .LBB1525_918
.LBB1525_850:                           ;   in Loop: Header=BB1525_722 Depth=2
	s_or_b32 exec_lo, exec_lo, s17
	s_and_saveexec_b32 s17, s22
	s_cbranch_execnz .LBB1525_919
.LBB1525_851:                           ;   in Loop: Header=BB1525_722 Depth=2
	s_or_b32 exec_lo, exec_lo, s17
	s_and_saveexec_b32 s17, s23
	s_cbranch_execnz .LBB1525_920
.LBB1525_852:                           ;   in Loop: Header=BB1525_722 Depth=2
	s_or_b32 exec_lo, exec_lo, s17
	s_and_saveexec_b32 s17, s24
	s_cbranch_execnz .LBB1525_921
.LBB1525_853:                           ;   in Loop: Header=BB1525_722 Depth=2
	s_or_b32 exec_lo, exec_lo, s17
	s_and_saveexec_b32 s17, s25
	s_cbranch_execnz .LBB1525_922
.LBB1525_854:                           ;   in Loop: Header=BB1525_722 Depth=2
	s_or_b32 exec_lo, exec_lo, s17
	s_and_saveexec_b32 s17, s26
	s_cbranch_execnz .LBB1525_923
.LBB1525_855:                           ;   in Loop: Header=BB1525_722 Depth=2
	s_or_b32 exec_lo, exec_lo, s17
	s_and_saveexec_b32 s17, s27
	s_cbranch_execnz .LBB1525_924
.LBB1525_856:                           ;   in Loop: Header=BB1525_722 Depth=2
	s_or_b32 exec_lo, exec_lo, s17
	s_and_saveexec_b32 s17, s28
	s_cbranch_execnz .LBB1525_925
.LBB1525_857:                           ;   in Loop: Header=BB1525_722 Depth=2
	s_or_b32 exec_lo, exec_lo, s17
	s_and_saveexec_b32 s17, s29
	s_cbranch_execnz .LBB1525_926
.LBB1525_858:                           ;   in Loop: Header=BB1525_722 Depth=2
	s_or_b32 exec_lo, exec_lo, s17
	s_and_saveexec_b32 s17, s30
	s_cbranch_execnz .LBB1525_927
.LBB1525_859:                           ;   in Loop: Header=BB1525_722 Depth=2
	s_or_b32 exec_lo, exec_lo, s17
	s_and_saveexec_b32 s17, s31
	s_cbranch_execnz .LBB1525_928
.LBB1525_860:                           ;   in Loop: Header=BB1525_722 Depth=2
	s_or_b32 exec_lo, exec_lo, s17
	s_and_saveexec_b32 s17, s33
	s_cbranch_execz .LBB1525_862
.LBB1525_861:                           ;   in Loop: Header=BB1525_722 Depth=2
	v_dual_lshlrev_b32 v4, 2, v119 :: v_dual_add_nc_u32 v5, v10, v100
	ds_load_b32 v6, v4
	ds_load_b64 v[4:5], v5 offset:33280
	s_wait_dscnt 0x1
	v_add_nc_u32_e32 v6, v6, v87
	s_wait_dscnt 0x0
	global_store_b64 v6, v[4:5], s[44:45] scale_offset
.LBB1525_862:                           ;   in Loop: Header=BB1525_722 Depth=2
	s_wait_xcnt 0x0
	s_or_b32 exec_lo, exec_lo, s17
	s_wait_storecnt 0x0
	s_barrier_signal -1
	s_barrier_wait -1
	s_and_saveexec_b32 s17, s0
	s_cbranch_execz .LBB1525_721
; %bb.863:                              ;   in Loop: Header=BB1525_722 Depth=2
	ds_load_b32 v4, v9
	s_wait_dscnt 0x0
	v_add3_u32 v4, v136, v137, v4
	ds_store_b32 v9, v4
	s_branch .LBB1525_721
.LBB1525_864:                           ;   in Loop: Header=BB1525_722 Depth=2
	ds_load_u8 v4, v10 offset:512
	s_wait_dscnt 0x0
	v_and_b32_e32 v5, 1, v4
	s_delay_alu instid0(VALU_DEP_1) | instskip(NEXT) | instid1(VALU_DEP_1)
	v_dual_lshrrev_b32 v5, s49, v5 :: v_dual_bitop2_b32 v4, 1, v4 bitop3:0x14
	v_and_b32_e32 v5, s58, v5
	s_delay_alu instid0(VALU_DEP_1)
	v_lshlrev_b32_e32 v5, 2, v5
	ds_load_b32 v5, v5
	s_wait_dscnt 0x0
	v_add_nc_u32_e32 v5, v5, v10
	global_store_b8 v5, v4, s[38:39]
	s_wait_xcnt 0x0
	s_or_b32 exec_lo, exec_lo, s17
	v_cmp_lt_u32_e64 s17, v72, v70
	s_and_saveexec_b32 s18, s17
	s_cbranch_execz .LBB1525_793
.LBB1525_865:                           ;   in Loop: Header=BB1525_722 Depth=2
	ds_load_u8 v4, v10 offset:768
	s_wait_dscnt 0x0
	v_and_b32_e32 v5, 1, v4
	s_delay_alu instid0(VALU_DEP_1) | instskip(NEXT) | instid1(VALU_DEP_1)
	v_dual_lshrrev_b32 v5, s49, v5 :: v_dual_bitop2_b32 v4, 1, v4 bitop3:0x14
	v_and_b32_e32 v5, s58, v5
	s_delay_alu instid0(VALU_DEP_1)
	v_lshlrev_b32_e32 v5, 2, v5
	ds_load_b32 v5, v5
	s_wait_dscnt 0x0
	v_add_nc_u32_e32 v5, v5, v72
	global_store_b8 v5, v4, s[38:39]
	s_wait_xcnt 0x0
	s_or_b32 exec_lo, exec_lo, s18
	v_cmp_lt_u32_e64 s18, v73, v70
	s_and_saveexec_b32 s19, s18
	s_cbranch_execz .LBB1525_794
.LBB1525_866:                           ;   in Loop: Header=BB1525_722 Depth=2
	ds_load_u8 v4, v10 offset:1024
	s_wait_dscnt 0x0
	v_and_b32_e32 v5, 1, v4
	s_delay_alu instid0(VALU_DEP_1) | instskip(NEXT) | instid1(VALU_DEP_1)
	v_dual_lshrrev_b32 v5, s49, v5 :: v_dual_bitop2_b32 v4, 1, v4 bitop3:0x14
	v_and_b32_e32 v5, s58, v5
	s_delay_alu instid0(VALU_DEP_1)
	v_lshlrev_b32_e32 v5, 2, v5
	ds_load_b32 v5, v5
	s_wait_dscnt 0x0
	v_add_nc_u32_e32 v5, v5, v73
	global_store_b8 v5, v4, s[38:39]
	s_wait_xcnt 0x0
	s_or_b32 exec_lo, exec_lo, s19
	v_cmp_lt_u32_e64 s19, v74, v70
	s_and_saveexec_b32 s20, s19
	s_cbranch_execz .LBB1525_795
.LBB1525_867:                           ;   in Loop: Header=BB1525_722 Depth=2
	ds_load_u8 v4, v10 offset:1280
	s_wait_dscnt 0x0
	v_and_b32_e32 v5, 1, v4
	s_delay_alu instid0(VALU_DEP_1) | instskip(NEXT) | instid1(VALU_DEP_1)
	v_dual_lshrrev_b32 v5, s49, v5 :: v_dual_bitop2_b32 v4, 1, v4 bitop3:0x14
	v_and_b32_e32 v5, s58, v5
	s_delay_alu instid0(VALU_DEP_1)
	v_lshlrev_b32_e32 v5, 2, v5
	ds_load_b32 v5, v5
	s_wait_dscnt 0x0
	v_add_nc_u32_e32 v5, v5, v74
	global_store_b8 v5, v4, s[38:39]
	s_wait_xcnt 0x0
	s_or_b32 exec_lo, exec_lo, s20
	v_cmp_lt_u32_e64 s20, v75, v70
	s_and_saveexec_b32 s21, s20
	s_cbranch_execz .LBB1525_796
.LBB1525_868:                           ;   in Loop: Header=BB1525_722 Depth=2
	ds_load_u8 v4, v10 offset:1536
	s_wait_dscnt 0x0
	v_and_b32_e32 v5, 1, v4
	s_delay_alu instid0(VALU_DEP_1) | instskip(NEXT) | instid1(VALU_DEP_1)
	v_dual_lshrrev_b32 v5, s49, v5 :: v_dual_bitop2_b32 v4, 1, v4 bitop3:0x14
	v_and_b32_e32 v5, s58, v5
	s_delay_alu instid0(VALU_DEP_1)
	v_lshlrev_b32_e32 v5, 2, v5
	ds_load_b32 v5, v5
	s_wait_dscnt 0x0
	v_add_nc_u32_e32 v5, v5, v75
	global_store_b8 v5, v4, s[38:39]
	s_wait_xcnt 0x0
	s_or_b32 exec_lo, exec_lo, s21
	v_cmp_lt_u32_e64 s21, v76, v70
	s_and_saveexec_b32 s22, s21
	s_cbranch_execz .LBB1525_797
.LBB1525_869:                           ;   in Loop: Header=BB1525_722 Depth=2
	ds_load_u8 v4, v10 offset:1792
	s_wait_dscnt 0x0
	v_and_b32_e32 v5, 1, v4
	s_delay_alu instid0(VALU_DEP_1) | instskip(NEXT) | instid1(VALU_DEP_1)
	v_dual_lshrrev_b32 v5, s49, v5 :: v_dual_bitop2_b32 v4, 1, v4 bitop3:0x14
	v_and_b32_e32 v5, s58, v5
	s_delay_alu instid0(VALU_DEP_1)
	v_lshlrev_b32_e32 v5, 2, v5
	ds_load_b32 v5, v5
	s_wait_dscnt 0x0
	v_add_nc_u32_e32 v5, v5, v76
	global_store_b8 v5, v4, s[38:39]
	s_wait_xcnt 0x0
	s_or_b32 exec_lo, exec_lo, s22
	v_cmp_lt_u32_e64 s22, v77, v70
	s_and_saveexec_b32 s23, s22
	s_cbranch_execz .LBB1525_798
.LBB1525_870:                           ;   in Loop: Header=BB1525_722 Depth=2
	ds_load_u8 v4, v10 offset:2048
	s_wait_dscnt 0x0
	v_and_b32_e32 v5, 1, v4
	s_delay_alu instid0(VALU_DEP_1) | instskip(NEXT) | instid1(VALU_DEP_1)
	v_dual_lshrrev_b32 v5, s49, v5 :: v_dual_bitop2_b32 v4, 1, v4 bitop3:0x14
	v_and_b32_e32 v5, s58, v5
	s_delay_alu instid0(VALU_DEP_1)
	v_lshlrev_b32_e32 v5, 2, v5
	ds_load_b32 v5, v5
	s_wait_dscnt 0x0
	v_add_nc_u32_e32 v5, v5, v77
	global_store_b8 v5, v4, s[38:39]
	s_wait_xcnt 0x0
	s_or_b32 exec_lo, exec_lo, s23
	v_cmp_lt_u32_e64 s23, v78, v70
	s_and_saveexec_b32 s24, s23
	s_cbranch_execz .LBB1525_799
.LBB1525_871:                           ;   in Loop: Header=BB1525_722 Depth=2
	ds_load_u8 v4, v10 offset:2304
	s_wait_dscnt 0x0
	v_and_b32_e32 v5, 1, v4
	s_delay_alu instid0(VALU_DEP_1) | instskip(NEXT) | instid1(VALU_DEP_1)
	v_dual_lshrrev_b32 v5, s49, v5 :: v_dual_bitop2_b32 v4, 1, v4 bitop3:0x14
	v_and_b32_e32 v5, s58, v5
	s_delay_alu instid0(VALU_DEP_1)
	v_lshlrev_b32_e32 v5, 2, v5
	ds_load_b32 v5, v5
	s_wait_dscnt 0x0
	v_add_nc_u32_e32 v5, v5, v78
	global_store_b8 v5, v4, s[38:39]
	s_wait_xcnt 0x0
	s_or_b32 exec_lo, exec_lo, s24
	v_cmp_lt_u32_e64 s24, v79, v70
	s_and_saveexec_b32 s25, s24
	s_cbranch_execz .LBB1525_800
.LBB1525_872:                           ;   in Loop: Header=BB1525_722 Depth=2
	ds_load_u8 v4, v10 offset:2560
	s_wait_dscnt 0x0
	v_and_b32_e32 v5, 1, v4
	s_delay_alu instid0(VALU_DEP_1) | instskip(NEXT) | instid1(VALU_DEP_1)
	v_dual_lshrrev_b32 v5, s49, v5 :: v_dual_bitop2_b32 v4, 1, v4 bitop3:0x14
	v_and_b32_e32 v5, s58, v5
	s_delay_alu instid0(VALU_DEP_1)
	v_lshlrev_b32_e32 v5, 2, v5
	ds_load_b32 v5, v5
	s_wait_dscnt 0x0
	v_add_nc_u32_e32 v5, v5, v79
	global_store_b8 v5, v4, s[38:39]
	s_wait_xcnt 0x0
	s_or_b32 exec_lo, exec_lo, s25
	v_cmp_lt_u32_e64 s25, v80, v70
	s_and_saveexec_b32 s26, s25
	s_cbranch_execz .LBB1525_801
.LBB1525_873:                           ;   in Loop: Header=BB1525_722 Depth=2
	ds_load_u8 v4, v10 offset:2816
	s_wait_dscnt 0x0
	v_and_b32_e32 v5, 1, v4
	s_delay_alu instid0(VALU_DEP_1) | instskip(NEXT) | instid1(VALU_DEP_1)
	v_dual_lshrrev_b32 v5, s49, v5 :: v_dual_bitop2_b32 v4, 1, v4 bitop3:0x14
	v_and_b32_e32 v5, s58, v5
	s_delay_alu instid0(VALU_DEP_1)
	v_lshlrev_b32_e32 v5, 2, v5
	ds_load_b32 v5, v5
	s_wait_dscnt 0x0
	v_add_nc_u32_e32 v5, v5, v80
	global_store_b8 v5, v4, s[38:39]
	s_wait_xcnt 0x0
	s_or_b32 exec_lo, exec_lo, s26
	v_cmp_lt_u32_e64 s26, v81, v70
	s_and_saveexec_b32 s27, s26
	s_cbranch_execz .LBB1525_802
.LBB1525_874:                           ;   in Loop: Header=BB1525_722 Depth=2
	ds_load_u8 v4, v10 offset:3072
	s_wait_dscnt 0x0
	v_and_b32_e32 v5, 1, v4
	s_delay_alu instid0(VALU_DEP_1) | instskip(NEXT) | instid1(VALU_DEP_1)
	v_dual_lshrrev_b32 v5, s49, v5 :: v_dual_bitop2_b32 v4, 1, v4 bitop3:0x14
	v_and_b32_e32 v5, s58, v5
	s_delay_alu instid0(VALU_DEP_1)
	v_lshlrev_b32_e32 v5, 2, v5
	ds_load_b32 v5, v5
	s_wait_dscnt 0x0
	v_add_nc_u32_e32 v5, v5, v81
	global_store_b8 v5, v4, s[38:39]
	s_wait_xcnt 0x0
	s_or_b32 exec_lo, exec_lo, s27
	v_cmp_lt_u32_e64 s27, v82, v70
	s_and_saveexec_b32 s28, s27
	s_cbranch_execz .LBB1525_803
.LBB1525_875:                           ;   in Loop: Header=BB1525_722 Depth=2
	ds_load_u8 v4, v10 offset:3328
	s_wait_dscnt 0x0
	v_and_b32_e32 v5, 1, v4
	s_delay_alu instid0(VALU_DEP_1) | instskip(NEXT) | instid1(VALU_DEP_1)
	v_dual_lshrrev_b32 v5, s49, v5 :: v_dual_bitop2_b32 v4, 1, v4 bitop3:0x14
	v_and_b32_e32 v5, s58, v5
	s_delay_alu instid0(VALU_DEP_1)
	v_lshlrev_b32_e32 v5, 2, v5
	ds_load_b32 v5, v5
	s_wait_dscnt 0x0
	v_add_nc_u32_e32 v5, v5, v82
	global_store_b8 v5, v4, s[38:39]
	s_wait_xcnt 0x0
	s_or_b32 exec_lo, exec_lo, s28
	v_cmp_lt_u32_e64 s28, v83, v70
	s_and_saveexec_b32 s29, s28
	s_cbranch_execz .LBB1525_804
.LBB1525_876:                           ;   in Loop: Header=BB1525_722 Depth=2
	ds_load_u8 v4, v10 offset:3584
	s_wait_dscnt 0x0
	v_and_b32_e32 v5, 1, v4
	s_delay_alu instid0(VALU_DEP_1) | instskip(NEXT) | instid1(VALU_DEP_1)
	v_dual_lshrrev_b32 v5, s49, v5 :: v_dual_bitop2_b32 v4, 1, v4 bitop3:0x14
	v_and_b32_e32 v5, s58, v5
	s_delay_alu instid0(VALU_DEP_1)
	v_lshlrev_b32_e32 v5, 2, v5
	ds_load_b32 v5, v5
	s_wait_dscnt 0x0
	v_add_nc_u32_e32 v5, v5, v83
	global_store_b8 v5, v4, s[38:39]
	s_wait_xcnt 0x0
	s_or_b32 exec_lo, exec_lo, s29
	v_cmp_lt_u32_e64 s29, v84, v70
	s_and_saveexec_b32 s30, s29
	s_cbranch_execz .LBB1525_805
.LBB1525_877:                           ;   in Loop: Header=BB1525_722 Depth=2
	ds_load_u8 v4, v10 offset:3840
	s_wait_dscnt 0x0
	v_and_b32_e32 v5, 1, v4
	s_delay_alu instid0(VALU_DEP_1) | instskip(NEXT) | instid1(VALU_DEP_1)
	v_dual_lshrrev_b32 v5, s49, v5 :: v_dual_bitop2_b32 v4, 1, v4 bitop3:0x14
	v_and_b32_e32 v5, s58, v5
	s_delay_alu instid0(VALU_DEP_1)
	v_lshlrev_b32_e32 v5, 2, v5
	ds_load_b32 v5, v5
	s_wait_dscnt 0x0
	v_add_nc_u32_e32 v5, v5, v84
	global_store_b8 v5, v4, s[38:39]
	s_wait_xcnt 0x0
	s_or_b32 exec_lo, exec_lo, s30
	v_cmp_lt_u32_e64 s30, v85, v70
	s_and_saveexec_b32 s31, s30
	s_cbranch_execz .LBB1525_806
.LBB1525_878:                           ;   in Loop: Header=BB1525_722 Depth=2
	ds_load_u8 v4, v10 offset:4096
	s_wait_dscnt 0x0
	v_and_b32_e32 v5, 1, v4
	s_delay_alu instid0(VALU_DEP_1) | instskip(NEXT) | instid1(VALU_DEP_1)
	v_dual_lshrrev_b32 v5, s49, v5 :: v_dual_bitop2_b32 v4, 1, v4 bitop3:0x14
	v_and_b32_e32 v5, s58, v5
	s_delay_alu instid0(VALU_DEP_1)
	v_lshlrev_b32_e32 v5, 2, v5
	ds_load_b32 v5, v5
	s_wait_dscnt 0x0
	v_add_nc_u32_e32 v5, v5, v85
	global_store_b8 v5, v4, s[38:39]
	s_wait_xcnt 0x0
	s_or_b32 exec_lo, exec_lo, s31
	v_cmp_lt_u32_e64 s31, v86, v70
	s_and_saveexec_b32 s33, s31
	s_cbranch_execz .LBB1525_807
.LBB1525_879:                           ;   in Loop: Header=BB1525_722 Depth=2
	ds_load_u8 v4, v10 offset:4352
	s_wait_dscnt 0x0
	v_and_b32_e32 v5, 1, v4
	s_delay_alu instid0(VALU_DEP_1) | instskip(NEXT) | instid1(VALU_DEP_1)
	v_dual_lshrrev_b32 v5, s49, v5 :: v_dual_bitop2_b32 v4, 1, v4 bitop3:0x14
	v_and_b32_e32 v5, s58, v5
	s_delay_alu instid0(VALU_DEP_1)
	v_lshlrev_b32_e32 v5, 2, v5
	ds_load_b32 v5, v5
	s_wait_dscnt 0x0
	v_add_nc_u32_e32 v5, v5, v86
	global_store_b8 v5, v4, s[38:39]
	s_wait_xcnt 0x0
	s_or_b32 exec_lo, exec_lo, s33
	v_cmp_lt_u32_e64 s33, v87, v70
	s_and_saveexec_b32 s34, s33
	s_cbranch_execnz .LBB1525_808
	s_branch .LBB1525_809
.LBB1525_880:                           ;   in Loop: Header=BB1525_722 Depth=2
	global_load_b64 v[68:69], v[4:5], off
	s_wait_xcnt 0x0
	s_or_b32 exec_lo, exec_lo, s34
	s_delay_alu instid0(SALU_CYCLE_1)
	s_mov_b32 s42, exec_lo
	v_cmpx_lt_u32_e64 v103, v70
	s_cbranch_execz .LBB1525_811
.LBB1525_881:                           ;   in Loop: Header=BB1525_722 Depth=2
	global_load_b64 v[66:67], v[4:5], off offset:256
	s_wait_xcnt 0x0
	s_or_b32 exec_lo, exec_lo, s42
	s_delay_alu instid0(SALU_CYCLE_1)
	s_mov_b32 s42, exec_lo
	v_cmpx_lt_u32_e64 v104, v70
	s_cbranch_execz .LBB1525_812
.LBB1525_882:                           ;   in Loop: Header=BB1525_722 Depth=2
	global_load_b64 v[64:65], v[4:5], off offset:512
	s_wait_xcnt 0x0
	s_or_b32 exec_lo, exec_lo, s42
	s_delay_alu instid0(SALU_CYCLE_1)
	s_mov_b32 s42, exec_lo
	v_cmpx_lt_u32_e64 v105, v70
	s_cbranch_execz .LBB1525_813
.LBB1525_883:                           ;   in Loop: Header=BB1525_722 Depth=2
	global_load_b64 v[62:63], v[4:5], off offset:768
	s_wait_xcnt 0x0
	s_or_b32 exec_lo, exec_lo, s42
	s_delay_alu instid0(SALU_CYCLE_1)
	s_mov_b32 s42, exec_lo
	v_cmpx_lt_u32_e64 v106, v70
	s_cbranch_execz .LBB1525_814
.LBB1525_884:                           ;   in Loop: Header=BB1525_722 Depth=2
	global_load_b64 v[60:61], v[4:5], off offset:1024
	s_wait_xcnt 0x0
	s_or_b32 exec_lo, exec_lo, s42
	s_delay_alu instid0(SALU_CYCLE_1)
	s_mov_b32 s42, exec_lo
	v_cmpx_lt_u32_e64 v107, v70
	s_cbranch_execz .LBB1525_815
.LBB1525_885:                           ;   in Loop: Header=BB1525_722 Depth=2
	global_load_b64 v[58:59], v[4:5], off offset:1280
	s_wait_xcnt 0x0
	s_or_b32 exec_lo, exec_lo, s42
	s_delay_alu instid0(SALU_CYCLE_1)
	s_mov_b32 s42, exec_lo
	v_cmpx_lt_u32_e64 v108, v70
	s_cbranch_execz .LBB1525_816
.LBB1525_886:                           ;   in Loop: Header=BB1525_722 Depth=2
	global_load_b64 v[56:57], v[4:5], off offset:1536
	s_wait_xcnt 0x0
	s_or_b32 exec_lo, exec_lo, s42
	s_delay_alu instid0(SALU_CYCLE_1)
	s_mov_b32 s42, exec_lo
	v_cmpx_lt_u32_e64 v109, v70
	s_cbranch_execz .LBB1525_817
.LBB1525_887:                           ;   in Loop: Header=BB1525_722 Depth=2
	global_load_b64 v[54:55], v[4:5], off offset:1792
	s_wait_xcnt 0x0
	s_or_b32 exec_lo, exec_lo, s42
	s_delay_alu instid0(SALU_CYCLE_1)
	s_mov_b32 s42, exec_lo
	v_cmpx_lt_u32_e64 v110, v70
	s_cbranch_execz .LBB1525_818
.LBB1525_888:                           ;   in Loop: Header=BB1525_722 Depth=2
	global_load_b64 v[52:53], v[4:5], off offset:2048
	s_wait_xcnt 0x0
	s_or_b32 exec_lo, exec_lo, s42
	s_delay_alu instid0(SALU_CYCLE_1)
	s_mov_b32 s42, exec_lo
	v_cmpx_lt_u32_e64 v111, v70
	s_cbranch_execz .LBB1525_819
.LBB1525_889:                           ;   in Loop: Header=BB1525_722 Depth=2
	global_load_b64 v[50:51], v[4:5], off offset:2304
	s_wait_xcnt 0x0
	s_or_b32 exec_lo, exec_lo, s42
	s_delay_alu instid0(SALU_CYCLE_1)
	s_mov_b32 s42, exec_lo
	v_cmpx_lt_u32_e64 v112, v70
	s_cbranch_execz .LBB1525_820
.LBB1525_890:                           ;   in Loop: Header=BB1525_722 Depth=2
	global_load_b64 v[48:49], v[4:5], off offset:2560
	s_wait_xcnt 0x0
	s_or_b32 exec_lo, exec_lo, s42
	s_delay_alu instid0(SALU_CYCLE_1)
	s_mov_b32 s42, exec_lo
	v_cmpx_lt_u32_e64 v113, v70
	s_cbranch_execz .LBB1525_821
.LBB1525_891:                           ;   in Loop: Header=BB1525_722 Depth=2
	global_load_b64 v[46:47], v[4:5], off offset:2816
	s_wait_xcnt 0x0
	s_or_b32 exec_lo, exec_lo, s42
	s_delay_alu instid0(SALU_CYCLE_1)
	s_mov_b32 s42, exec_lo
	v_cmpx_lt_u32_e64 v114, v70
	s_cbranch_execz .LBB1525_822
.LBB1525_892:                           ;   in Loop: Header=BB1525_722 Depth=2
	global_load_b64 v[44:45], v[4:5], off offset:3072
	s_wait_xcnt 0x0
	s_or_b32 exec_lo, exec_lo, s42
	s_delay_alu instid0(SALU_CYCLE_1)
	s_mov_b32 s42, exec_lo
	v_cmpx_lt_u32_e64 v115, v70
	s_cbranch_execz .LBB1525_823
.LBB1525_893:                           ;   in Loop: Header=BB1525_722 Depth=2
	global_load_b64 v[42:43], v[4:5], off offset:3328
	s_wait_xcnt 0x0
	s_or_b32 exec_lo, exec_lo, s42
	s_delay_alu instid0(SALU_CYCLE_1)
	s_mov_b32 s42, exec_lo
	v_cmpx_lt_u32_e64 v116, v70
	s_cbranch_execz .LBB1525_824
.LBB1525_894:                           ;   in Loop: Header=BB1525_722 Depth=2
	global_load_b64 v[40:41], v[4:5], off offset:3584
	s_wait_xcnt 0x0
	s_or_b32 exec_lo, exec_lo, s42
	s_delay_alu instid0(SALU_CYCLE_1)
	s_mov_b32 s42, exec_lo
	v_cmpx_lt_u32_e64 v117, v70
	s_cbranch_execz .LBB1525_825
.LBB1525_895:                           ;   in Loop: Header=BB1525_722 Depth=2
	global_load_b64 v[38:39], v[4:5], off offset:3840
	s_wait_xcnt 0x0
	s_or_b32 exec_lo, exec_lo, s42
	s_delay_alu instid0(SALU_CYCLE_1)
	s_mov_b32 s42, exec_lo
	v_cmpx_lt_u32_e64 v118, v70
	s_cbranch_execz .LBB1525_826
.LBB1525_896:                           ;   in Loop: Header=BB1525_722 Depth=2
	global_load_b64 v[36:37], v[4:5], off offset:4096
	s_wait_xcnt 0x0
	s_or_b32 exec_lo, exec_lo, s42
	s_and_saveexec_b32 s34, vcc_lo
	s_cbranch_execz .LBB1525_827
.LBB1525_897:                           ;   in Loop: Header=BB1525_722 Depth=2
	ds_load_u8 v4, v10 offset:512
	s_wait_dscnt 0x0
	v_lshrrev_b32_e32 v4, s49, v4
	s_delay_alu instid0(VALU_DEP_1)
	v_and_b32_e32 v135, s58, v4
	s_or_b32 exec_lo, exec_lo, s34
	s_and_saveexec_b32 s34, s17
	s_cbranch_execz .LBB1525_828
.LBB1525_898:                           ;   in Loop: Header=BB1525_722 Depth=2
	ds_load_u8 v4, v10 offset:768
	s_wait_dscnt 0x0
	v_lshrrev_b32_e32 v4, s49, v4
	s_delay_alu instid0(VALU_DEP_1)
	v_and_b32_e32 v134, s58, v4
	s_or_b32 exec_lo, exec_lo, s34
	s_and_saveexec_b32 s34, s18
	s_cbranch_execz .LBB1525_829
.LBB1525_899:                           ;   in Loop: Header=BB1525_722 Depth=2
	ds_load_u8 v4, v10 offset:1024
	s_wait_dscnt 0x0
	v_lshrrev_b32_e32 v4, s49, v4
	s_delay_alu instid0(VALU_DEP_1)
	v_and_b32_e32 v133, s58, v4
	s_or_b32 exec_lo, exec_lo, s34
	s_and_saveexec_b32 s34, s19
	s_cbranch_execz .LBB1525_830
.LBB1525_900:                           ;   in Loop: Header=BB1525_722 Depth=2
	ds_load_u8 v4, v10 offset:1280
	s_wait_dscnt 0x0
	v_lshrrev_b32_e32 v4, s49, v4
	s_delay_alu instid0(VALU_DEP_1)
	v_and_b32_e32 v132, s58, v4
	s_or_b32 exec_lo, exec_lo, s34
	s_and_saveexec_b32 s34, s20
	s_cbranch_execz .LBB1525_831
.LBB1525_901:                           ;   in Loop: Header=BB1525_722 Depth=2
	ds_load_u8 v4, v10 offset:1536
	s_wait_dscnt 0x0
	v_lshrrev_b32_e32 v4, s49, v4
	s_delay_alu instid0(VALU_DEP_1)
	v_and_b32_e32 v131, s58, v4
	s_or_b32 exec_lo, exec_lo, s34
	s_and_saveexec_b32 s34, s21
	s_cbranch_execz .LBB1525_832
.LBB1525_902:                           ;   in Loop: Header=BB1525_722 Depth=2
	ds_load_u8 v4, v10 offset:1792
	s_wait_dscnt 0x0
	v_lshrrev_b32_e32 v4, s49, v4
	s_delay_alu instid0(VALU_DEP_1)
	v_and_b32_e32 v130, s58, v4
	s_or_b32 exec_lo, exec_lo, s34
	s_and_saveexec_b32 s34, s22
	s_cbranch_execz .LBB1525_833
.LBB1525_903:                           ;   in Loop: Header=BB1525_722 Depth=2
	ds_load_u8 v4, v10 offset:2048
	s_wait_dscnt 0x0
	v_lshrrev_b32_e32 v4, s49, v4
	s_delay_alu instid0(VALU_DEP_1)
	v_and_b32_e32 v129, s58, v4
	s_or_b32 exec_lo, exec_lo, s34
	s_and_saveexec_b32 s34, s23
	s_cbranch_execz .LBB1525_834
.LBB1525_904:                           ;   in Loop: Header=BB1525_722 Depth=2
	ds_load_u8 v4, v10 offset:2304
	s_wait_dscnt 0x0
	v_lshrrev_b32_e32 v4, s49, v4
	s_delay_alu instid0(VALU_DEP_1)
	v_and_b32_e32 v128, s58, v4
	s_or_b32 exec_lo, exec_lo, s34
	s_and_saveexec_b32 s34, s24
	s_cbranch_execz .LBB1525_835
.LBB1525_905:                           ;   in Loop: Header=BB1525_722 Depth=2
	ds_load_u8 v4, v10 offset:2560
	s_wait_dscnt 0x0
	v_lshrrev_b32_e32 v4, s49, v4
	s_delay_alu instid0(VALU_DEP_1)
	v_and_b32_e32 v127, s58, v4
	s_or_b32 exec_lo, exec_lo, s34
	s_and_saveexec_b32 s34, s25
	s_cbranch_execz .LBB1525_836
.LBB1525_906:                           ;   in Loop: Header=BB1525_722 Depth=2
	ds_load_u8 v4, v10 offset:2816
	s_wait_dscnt 0x0
	v_lshrrev_b32_e32 v4, s49, v4
	s_delay_alu instid0(VALU_DEP_1)
	v_and_b32_e32 v126, s58, v4
	s_or_b32 exec_lo, exec_lo, s34
	s_and_saveexec_b32 s34, s26
	s_cbranch_execz .LBB1525_837
.LBB1525_907:                           ;   in Loop: Header=BB1525_722 Depth=2
	ds_load_u8 v4, v10 offset:3072
	s_wait_dscnt 0x0
	v_lshrrev_b32_e32 v4, s49, v4
	s_delay_alu instid0(VALU_DEP_1)
	v_and_b32_e32 v125, s58, v4
	s_or_b32 exec_lo, exec_lo, s34
	s_and_saveexec_b32 s34, s27
	s_cbranch_execz .LBB1525_838
.LBB1525_908:                           ;   in Loop: Header=BB1525_722 Depth=2
	ds_load_u8 v4, v10 offset:3328
	s_wait_dscnt 0x0
	v_lshrrev_b32_e32 v4, s49, v4
	s_delay_alu instid0(VALU_DEP_1)
	v_and_b32_e32 v124, s58, v4
	s_or_b32 exec_lo, exec_lo, s34
	s_and_saveexec_b32 s34, s28
	s_cbranch_execz .LBB1525_839
.LBB1525_909:                           ;   in Loop: Header=BB1525_722 Depth=2
	ds_load_u8 v4, v10 offset:3584
	s_wait_dscnt 0x0
	v_lshrrev_b32_e32 v4, s49, v4
	s_delay_alu instid0(VALU_DEP_1)
	v_and_b32_e32 v123, s58, v4
	s_or_b32 exec_lo, exec_lo, s34
	s_and_saveexec_b32 s34, s29
	s_cbranch_execz .LBB1525_840
.LBB1525_910:                           ;   in Loop: Header=BB1525_722 Depth=2
	ds_load_u8 v4, v10 offset:3840
	s_wait_dscnt 0x0
	v_lshrrev_b32_e32 v4, s49, v4
	s_delay_alu instid0(VALU_DEP_1)
	v_and_b32_e32 v122, s58, v4
	s_or_b32 exec_lo, exec_lo, s34
	s_and_saveexec_b32 s34, s30
	s_cbranch_execz .LBB1525_841
.LBB1525_911:                           ;   in Loop: Header=BB1525_722 Depth=2
	ds_load_u8 v4, v10 offset:4096
	s_wait_dscnt 0x0
	v_lshrrev_b32_e32 v4, s49, v4
	s_delay_alu instid0(VALU_DEP_1)
	v_and_b32_e32 v121, s58, v4
	s_or_b32 exec_lo, exec_lo, s34
	s_and_saveexec_b32 s34, s31
	s_cbranch_execz .LBB1525_842
.LBB1525_912:                           ;   in Loop: Header=BB1525_722 Depth=2
	ds_load_u8 v4, v10 offset:4352
	s_wait_dscnt 0x0
	v_lshrrev_b32_e32 v4, s49, v4
	s_delay_alu instid0(VALU_DEP_1)
	v_and_b32_e32 v120, s58, v4
	s_or_b32 exec_lo, exec_lo, s34
	s_and_saveexec_b32 s34, s33
	s_cbranch_execnz .LBB1525_843
	s_branch .LBB1525_844
.LBB1525_913:                           ;   in Loop: Header=BB1525_722 Depth=2
	v_dual_lshlrev_b32 v4, 2, v135 :: v_dual_add_nc_u32 v5, v10, v100
	ds_load_b32 v6, v4
	ds_load_b64 v[4:5], v5 offset:512
	s_wait_dscnt 0x1
	v_add_nc_u32_e32 v6, v6, v10
	s_wait_dscnt 0x0
	global_store_b64 v6, v[4:5], s[44:45] scale_offset
	s_wait_xcnt 0x0
	s_or_b32 exec_lo, exec_lo, s34
	s_and_saveexec_b32 s34, s17
	s_cbranch_execz .LBB1525_846
.LBB1525_914:                           ;   in Loop: Header=BB1525_722 Depth=2
	v_dual_lshlrev_b32 v4, 2, v134 :: v_dual_add_nc_u32 v5, v10, v100
	ds_load_b32 v6, v4
	ds_load_b64 v[4:5], v5 offset:2560
	s_wait_dscnt 0x1
	v_add_nc_u32_e32 v6, v6, v72
	s_wait_dscnt 0x0
	global_store_b64 v6, v[4:5], s[44:45] scale_offset
	s_wait_xcnt 0x0
	s_or_b32 exec_lo, exec_lo, s34
	s_and_saveexec_b32 s17, s18
	s_cbranch_execz .LBB1525_847
.LBB1525_915:                           ;   in Loop: Header=BB1525_722 Depth=2
	v_dual_lshlrev_b32 v4, 2, v133 :: v_dual_add_nc_u32 v5, v10, v100
	ds_load_b32 v6, v4
	ds_load_b64 v[4:5], v5 offset:4608
	s_wait_dscnt 0x1
	v_add_nc_u32_e32 v6, v6, v73
	s_wait_dscnt 0x0
	global_store_b64 v6, v[4:5], s[44:45] scale_offset
	s_wait_xcnt 0x0
	s_or_b32 exec_lo, exec_lo, s17
	s_and_saveexec_b32 s17, s19
	s_cbranch_execz .LBB1525_848
.LBB1525_916:                           ;   in Loop: Header=BB1525_722 Depth=2
	v_lshlrev_b32_e32 v4, 2, v132
	v_add_nc_u32_e32 v5, v10, v100
	ds_load_b32 v6, v4
	ds_load_b64 v[4:5], v5 offset:6656
	s_wait_dscnt 0x1
	v_add_nc_u32_e32 v6, v6, v74
	s_wait_dscnt 0x0
	global_store_b64 v6, v[4:5], s[44:45] scale_offset
	s_wait_xcnt 0x0
	s_or_b32 exec_lo, exec_lo, s17
	s_and_saveexec_b32 s17, s20
	s_cbranch_execz .LBB1525_849
.LBB1525_917:                           ;   in Loop: Header=BB1525_722 Depth=2
	v_dual_lshlrev_b32 v4, 2, v131 :: v_dual_add_nc_u32 v5, v10, v100
	ds_load_b32 v6, v4
	ds_load_b64 v[4:5], v5 offset:8704
	s_wait_dscnt 0x1
	v_add_nc_u32_e32 v6, v6, v75
	s_wait_dscnt 0x0
	global_store_b64 v6, v[4:5], s[44:45] scale_offset
	s_wait_xcnt 0x0
	s_or_b32 exec_lo, exec_lo, s17
	s_and_saveexec_b32 s17, s21
	s_cbranch_execz .LBB1525_850
.LBB1525_918:                           ;   in Loop: Header=BB1525_722 Depth=2
	v_dual_lshlrev_b32 v4, 2, v130 :: v_dual_add_nc_u32 v5, v10, v100
	ds_load_b32 v6, v4
	ds_load_b64 v[4:5], v5 offset:10752
	s_wait_dscnt 0x1
	v_add_nc_u32_e32 v6, v6, v76
	s_wait_dscnt 0x0
	global_store_b64 v6, v[4:5], s[44:45] scale_offset
	s_wait_xcnt 0x0
	s_or_b32 exec_lo, exec_lo, s17
	s_and_saveexec_b32 s17, s22
	s_cbranch_execz .LBB1525_851
.LBB1525_919:                           ;   in Loop: Header=BB1525_722 Depth=2
	v_dual_lshlrev_b32 v4, 2, v129 :: v_dual_add_nc_u32 v5, v10, v100
	ds_load_b32 v6, v4
	ds_load_b64 v[4:5], v5 offset:12800
	s_wait_dscnt 0x1
	v_add_nc_u32_e32 v6, v6, v77
	s_wait_dscnt 0x0
	global_store_b64 v6, v[4:5], s[44:45] scale_offset
	s_wait_xcnt 0x0
	s_or_b32 exec_lo, exec_lo, s17
	s_and_saveexec_b32 s17, s23
	s_cbranch_execz .LBB1525_852
.LBB1525_920:                           ;   in Loop: Header=BB1525_722 Depth=2
	v_lshlrev_b32_e32 v4, 2, v128
	v_add_nc_u32_e32 v5, v10, v100
	ds_load_b32 v6, v4
	ds_load_b64 v[4:5], v5 offset:14848
	s_wait_dscnt 0x1
	v_add_nc_u32_e32 v6, v6, v78
	s_wait_dscnt 0x0
	global_store_b64 v6, v[4:5], s[44:45] scale_offset
	s_wait_xcnt 0x0
	s_or_b32 exec_lo, exec_lo, s17
	s_and_saveexec_b32 s17, s24
	s_cbranch_execz .LBB1525_853
.LBB1525_921:                           ;   in Loop: Header=BB1525_722 Depth=2
	v_dual_lshlrev_b32 v4, 2, v127 :: v_dual_add_nc_u32 v5, v10, v100
	ds_load_b32 v6, v4
	ds_load_b64 v[4:5], v5 offset:16896
	s_wait_dscnt 0x1
	v_add_nc_u32_e32 v6, v6, v79
	s_wait_dscnt 0x0
	global_store_b64 v6, v[4:5], s[44:45] scale_offset
	s_wait_xcnt 0x0
	s_or_b32 exec_lo, exec_lo, s17
	s_and_saveexec_b32 s17, s25
	s_cbranch_execz .LBB1525_854
.LBB1525_922:                           ;   in Loop: Header=BB1525_722 Depth=2
	v_dual_lshlrev_b32 v4, 2, v126 :: v_dual_add_nc_u32 v5, v10, v100
	ds_load_b32 v6, v4
	ds_load_b64 v[4:5], v5 offset:18944
	s_wait_dscnt 0x1
	v_add_nc_u32_e32 v6, v6, v80
	s_wait_dscnt 0x0
	global_store_b64 v6, v[4:5], s[44:45] scale_offset
	s_wait_xcnt 0x0
	s_or_b32 exec_lo, exec_lo, s17
	s_and_saveexec_b32 s17, s26
	s_cbranch_execz .LBB1525_855
.LBB1525_923:                           ;   in Loop: Header=BB1525_722 Depth=2
	v_dual_lshlrev_b32 v4, 2, v125 :: v_dual_add_nc_u32 v5, v10, v100
	ds_load_b32 v6, v4
	ds_load_b64 v[4:5], v5 offset:20992
	s_wait_dscnt 0x1
	v_add_nc_u32_e32 v6, v6, v81
	s_wait_dscnt 0x0
	global_store_b64 v6, v[4:5], s[44:45] scale_offset
	s_wait_xcnt 0x0
	s_or_b32 exec_lo, exec_lo, s17
	s_and_saveexec_b32 s17, s27
	s_cbranch_execz .LBB1525_856
.LBB1525_924:                           ;   in Loop: Header=BB1525_722 Depth=2
	v_lshlrev_b32_e32 v4, 2, v124
	v_add_nc_u32_e32 v5, v10, v100
	ds_load_b32 v6, v4
	ds_load_b64 v[4:5], v5 offset:23040
	s_wait_dscnt 0x1
	v_add_nc_u32_e32 v6, v6, v82
	s_wait_dscnt 0x0
	global_store_b64 v6, v[4:5], s[44:45] scale_offset
	s_wait_xcnt 0x0
	s_or_b32 exec_lo, exec_lo, s17
	s_and_saveexec_b32 s17, s28
	s_cbranch_execz .LBB1525_857
.LBB1525_925:                           ;   in Loop: Header=BB1525_722 Depth=2
	v_dual_lshlrev_b32 v4, 2, v123 :: v_dual_add_nc_u32 v5, v10, v100
	ds_load_b32 v6, v4
	ds_load_b64 v[4:5], v5 offset:25088
	s_wait_dscnt 0x1
	v_add_nc_u32_e32 v6, v6, v83
	s_wait_dscnt 0x0
	global_store_b64 v6, v[4:5], s[44:45] scale_offset
	s_wait_xcnt 0x0
	s_or_b32 exec_lo, exec_lo, s17
	s_and_saveexec_b32 s17, s29
	s_cbranch_execz .LBB1525_858
.LBB1525_926:                           ;   in Loop: Header=BB1525_722 Depth=2
	v_dual_lshlrev_b32 v4, 2, v122 :: v_dual_add_nc_u32 v5, v10, v100
	ds_load_b32 v6, v4
	ds_load_b64 v[4:5], v5 offset:27136
	s_wait_dscnt 0x1
	v_add_nc_u32_e32 v6, v6, v84
	s_wait_dscnt 0x0
	global_store_b64 v6, v[4:5], s[44:45] scale_offset
	s_wait_xcnt 0x0
	s_or_b32 exec_lo, exec_lo, s17
	s_and_saveexec_b32 s17, s30
	s_cbranch_execz .LBB1525_859
.LBB1525_927:                           ;   in Loop: Header=BB1525_722 Depth=2
	v_dual_lshlrev_b32 v4, 2, v121 :: v_dual_add_nc_u32 v5, v10, v100
	ds_load_b32 v6, v4
	ds_load_b64 v[4:5], v5 offset:29184
	s_wait_dscnt 0x1
	v_add_nc_u32_e32 v6, v6, v85
	s_wait_dscnt 0x0
	global_store_b64 v6, v[4:5], s[44:45] scale_offset
	s_wait_xcnt 0x0
	s_or_b32 exec_lo, exec_lo, s17
	s_and_saveexec_b32 s17, s31
	s_cbranch_execz .LBB1525_860
.LBB1525_928:                           ;   in Loop: Header=BB1525_722 Depth=2
	v_lshlrev_b32_e32 v4, 2, v120
	v_add_nc_u32_e32 v5, v10, v100
	ds_load_b32 v6, v4
	ds_load_b64 v[4:5], v5 offset:31232
	s_wait_dscnt 0x1
	v_add_nc_u32_e32 v6, v6, v86
	s_wait_dscnt 0x0
	global_store_b64 v6, v[4:5], s[44:45] scale_offset
	s_wait_xcnt 0x0
	s_or_b32 exec_lo, exec_lo, s17
	s_and_saveexec_b32 s17, s33
	s_cbranch_execnz .LBB1525_861
	s_branch .LBB1525_862
.LBB1525_929:                           ;   in Loop: Header=BB1525_722 Depth=2
	global_load_u8 v4, v[70:71], off
	v_dual_mov_b32 v5, v2 :: v_dual_mov_b32 v6, v2
	v_dual_mov_b32 v7, v2 :: v_dual_mov_b32 v8, v2
	s_wait_xcnt 0x0
	s_or_b32 exec_lo, exec_lo, s17
	s_delay_alu instid0(SALU_CYCLE_1)
	s_mov_b32 s17, exec_lo
	v_cmpx_gt_u32_e64 s59, v103
	s_cbranch_execz .LBB1525_727
.LBB1525_930:                           ;   in Loop: Header=BB1525_722 Depth=2
	global_load_u8 v3, v[70:71], off offset:32
	v_and_b32_e32 v8, 0xff, v8
	s_wait_loadcnt 0x0
	v_perm_b32 v4, v4, v3, 0x7060004
	s_wait_xcnt 0x0
	s_or_b32 exec_lo, exec_lo, s17
	s_delay_alu instid0(SALU_CYCLE_1)
	s_mov_b32 s17, exec_lo
	v_cmpx_gt_u32_e64 s59, v104
	s_cbranch_execz .LBB1525_728
.LBB1525_931:                           ;   in Loop: Header=BB1525_722 Depth=2
	global_load_u8 v3, v[70:71], off offset:64
	v_and_b32_e32 v8, 0xff, v8
	s_wait_loadcnt 0x0
	v_perm_b32 v4, v4, v3, 0x7000504
	s_wait_xcnt 0x0
	s_or_b32 exec_lo, exec_lo, s17
	s_delay_alu instid0(SALU_CYCLE_1)
	s_mov_b32 s17, exec_lo
	v_cmpx_gt_u32_e64 s59, v105
	s_cbranch_execz .LBB1525_729
.LBB1525_932:                           ;   in Loop: Header=BB1525_722 Depth=2
	global_load_u8 v3, v[70:71], off offset:96
	v_and_b32_e32 v8, 0xff, v8
	s_wait_loadcnt 0x0
	v_perm_b32 v4, v4, v3, 0x60504
	s_wait_xcnt 0x0
	s_or_b32 exec_lo, exec_lo, s17
	s_delay_alu instid0(SALU_CYCLE_1)
	s_mov_b32 s17, exec_lo
	v_cmpx_gt_u32_e64 s59, v106
	s_cbranch_execz .LBB1525_730
.LBB1525_933:                           ;   in Loop: Header=BB1525_722 Depth=2
	global_load_u8 v3, v[70:71], off offset:128
	v_and_b32_e32 v8, 0xff, v8
	s_wait_loadcnt 0x0
	v_perm_b32 v5, v3, v5, 0x3020104
	s_wait_xcnt 0x0
	s_or_b32 exec_lo, exec_lo, s17
	s_delay_alu instid0(SALU_CYCLE_1)
	s_mov_b32 s17, exec_lo
	v_cmpx_gt_u32_e64 s59, v107
	s_cbranch_execz .LBB1525_731
.LBB1525_934:                           ;   in Loop: Header=BB1525_722 Depth=2
	global_load_u8 v3, v[70:71], off offset:160
	v_and_b32_e32 v8, 0xff, v8
	s_wait_loadcnt 0x0
	v_perm_b32 v5, v5, v3, 0x7060004
	s_wait_xcnt 0x0
	s_or_b32 exec_lo, exec_lo, s17
	s_delay_alu instid0(SALU_CYCLE_1)
	s_mov_b32 s17, exec_lo
	v_cmpx_gt_u32_e64 s59, v108
	s_cbranch_execz .LBB1525_732
.LBB1525_935:                           ;   in Loop: Header=BB1525_722 Depth=2
	global_load_u8 v3, v[70:71], off offset:192
	v_and_b32_e32 v8, 0xff, v8
	s_wait_loadcnt 0x0
	v_perm_b32 v5, v5, v3, 0x7000504
	s_wait_xcnt 0x0
	s_or_b32 exec_lo, exec_lo, s17
	s_delay_alu instid0(SALU_CYCLE_1)
	s_mov_b32 s17, exec_lo
	v_cmpx_gt_u32_e64 s59, v109
	s_cbranch_execz .LBB1525_733
.LBB1525_936:                           ;   in Loop: Header=BB1525_722 Depth=2
	global_load_u8 v3, v[70:71], off offset:224
	v_and_b32_e32 v8, 0xff, v8
	s_wait_loadcnt 0x0
	v_perm_b32 v5, v5, v3, 0x60504
	s_wait_xcnt 0x0
	s_or_b32 exec_lo, exec_lo, s17
	s_delay_alu instid0(SALU_CYCLE_1)
	s_mov_b32 s17, exec_lo
	v_cmpx_gt_u32_e64 s59, v110
	s_cbranch_execz .LBB1525_734
.LBB1525_937:                           ;   in Loop: Header=BB1525_722 Depth=2
	global_load_u8 v3, v[70:71], off offset:256
	v_and_b32_e32 v8, 0xff, v8
	s_wait_loadcnt 0x0
	v_perm_b32 v6, v3, v6, 0x3020104
	s_wait_xcnt 0x0
	s_or_b32 exec_lo, exec_lo, s17
	s_delay_alu instid0(SALU_CYCLE_1)
	s_mov_b32 s17, exec_lo
	v_cmpx_gt_u32_e64 s59, v111
	s_cbranch_execz .LBB1525_735
.LBB1525_938:                           ;   in Loop: Header=BB1525_722 Depth=2
	global_load_u8 v3, v[70:71], off offset:288
	v_and_b32_e32 v8, 0xff, v8
	s_wait_loadcnt 0x0
	v_perm_b32 v6, v6, v3, 0x7060004
	s_wait_xcnt 0x0
	s_or_b32 exec_lo, exec_lo, s17
	s_delay_alu instid0(SALU_CYCLE_1)
	s_mov_b32 s17, exec_lo
	v_cmpx_gt_u32_e64 s59, v112
	s_cbranch_execz .LBB1525_736
.LBB1525_939:                           ;   in Loop: Header=BB1525_722 Depth=2
	global_load_u8 v3, v[70:71], off offset:320
	v_and_b32_e32 v8, 0xff, v8
	s_wait_loadcnt 0x0
	v_perm_b32 v6, v6, v3, 0x7000504
	s_wait_xcnt 0x0
	s_or_b32 exec_lo, exec_lo, s17
	s_delay_alu instid0(SALU_CYCLE_1)
	s_mov_b32 s17, exec_lo
	v_cmpx_gt_u32_e64 s59, v113
	s_cbranch_execz .LBB1525_737
.LBB1525_940:                           ;   in Loop: Header=BB1525_722 Depth=2
	global_load_u8 v3, v[70:71], off offset:352
	v_and_b32_e32 v8, 0xff, v8
	s_wait_loadcnt 0x0
	v_perm_b32 v6, v6, v3, 0x60504
	s_wait_xcnt 0x0
	s_or_b32 exec_lo, exec_lo, s17
	s_delay_alu instid0(SALU_CYCLE_1)
	s_mov_b32 s17, exec_lo
	v_cmpx_gt_u32_e64 s59, v114
	s_cbranch_execz .LBB1525_738
.LBB1525_941:                           ;   in Loop: Header=BB1525_722 Depth=2
	global_load_u8 v3, v[70:71], off offset:384
	v_and_b32_e32 v8, 0xff, v8
	s_wait_loadcnt 0x0
	v_perm_b32 v7, v3, v7, 0x3020104
	s_wait_xcnt 0x0
	s_or_b32 exec_lo, exec_lo, s17
	s_delay_alu instid0(SALU_CYCLE_1)
	s_mov_b32 s17, exec_lo
	v_cmpx_gt_u32_e64 s59, v115
	s_cbranch_execz .LBB1525_739
.LBB1525_942:                           ;   in Loop: Header=BB1525_722 Depth=2
	global_load_u8 v3, v[70:71], off offset:416
	v_and_b32_e32 v8, 0xff, v8
	s_wait_loadcnt 0x0
	v_perm_b32 v7, v7, v3, 0x7060004
	s_wait_xcnt 0x0
	s_or_b32 exec_lo, exec_lo, s17
	s_delay_alu instid0(SALU_CYCLE_1)
	s_mov_b32 s17, exec_lo
	v_cmpx_gt_u32_e64 s59, v116
	s_cbranch_execz .LBB1525_740
.LBB1525_943:                           ;   in Loop: Header=BB1525_722 Depth=2
	global_load_u8 v3, v[70:71], off offset:448
	v_and_b32_e32 v8, 0xff, v8
	s_wait_loadcnt 0x0
	v_perm_b32 v7, v7, v3, 0x7000504
	s_wait_xcnt 0x0
	s_or_b32 exec_lo, exec_lo, s17
	s_delay_alu instid0(SALU_CYCLE_1)
	s_mov_b32 s17, exec_lo
	v_cmpx_gt_u32_e64 s59, v117
	s_cbranch_execnz .LBB1525_741
	s_branch .LBB1525_742
.LBB1525_944:                           ;   in Loop: Header=BB1525_12 Depth=1
	s_wait_dscnt 0x0
	s_barrier_signal -1
	s_mov_b32 s8, 0
	s_barrier_wait -1
.LBB1525_945:                           ;   in Loop: Header=BB1525_12 Depth=1
	s_and_b32 vcc_lo, exec_lo, s8
	s_cbranch_vccz .LBB1525_11
; %bb.946:                              ;   in Loop: Header=BB1525_12 Depth=1
	v_dual_mov_b32 v40, 0 :: v_dual_mov_b32 v43, 0
	v_dual_mov_b32 v42, 0 :: v_dual_mov_b32 v41, 0
	v_dual_mov_b32 v39, 0 :: v_dual_mov_b32 v38, 0
	v_dual_mov_b32 v37, 0 :: v_dual_mov_b32 v36, 0
	v_dual_mov_b32 v35, 0 :: v_dual_mov_b32 v34, 0
	v_dual_mov_b32 v33, 0 :: v_dual_mov_b32 v32, 0
	v_dual_mov_b32 v31, 0 :: v_dual_mov_b32 v8, 0
	v_dual_mov_b32 v7, 0 :: v_dual_mov_b32 v6, 0
	v_mov_b32_e32 v3, 0
	s_mov_b32 s8, s56
	s_mov_b32 s42, s54
	s_barrier_signal -1
	s_barrier_wait -1
	s_branch .LBB1525_948
.LBB1525_947:                           ;   in Loop: Header=BB1525_948 Depth=2
	s_or_b32 exec_lo, exec_lo, s10
	s_addk_co_i32 s8, 0xef00
	s_cmp_ge_u32 s9, s51
	s_mov_b32 s42, s9
	s_cbranch_scc1 .LBB1525_1020
.LBB1525_948:                           ;   Parent Loop BB1525_12 Depth=1
                                        ; =>  This Inner Loop Header: Depth=2
	s_add_co_i32 s9, s42, 0x1100
	s_mov_b32 s10, -1
	s_cmp_gt_u32 s9, s51
                                        ; implicit-def: $vgpr4
                                        ; implicit-def: $vgpr5
                                        ; implicit-def: $vgpr44
                                        ; implicit-def: $vgpr45
                                        ; implicit-def: $vgpr46
                                        ; implicit-def: $vgpr47
                                        ; implicit-def: $vgpr48
                                        ; implicit-def: $vgpr49
                                        ; implicit-def: $vgpr50
                                        ; implicit-def: $vgpr51
                                        ; implicit-def: $vgpr52
                                        ; implicit-def: $vgpr53
                                        ; implicit-def: $vgpr54
                                        ; implicit-def: $vgpr55
                                        ; implicit-def: $vgpr56
                                        ; implicit-def: $vgpr57
                                        ; implicit-def: $vgpr58
	s_cbranch_scc1 .LBB1525_950
; %bb.949:                              ;   in Loop: Header=BB1525_948 Depth=2
	v_add_nc_u64_e32 v[60:61], s[42:43], v[24:25]
	s_mov_b32 s10, 0
	s_clause 0x10
	global_load_u8 v58, v[60:61], off offset:4096
	global_load_u8 v57, v[60:61], off offset:3840
	;; [unrolled: 1-line block ×16, first 2 shown]
	global_load_u8 v4, v[60:61], off
.LBB1525_950:                           ;   in Loop: Header=BB1525_948 Depth=2
	s_and_not1_b32 vcc_lo, exec_lo, s10
	s_movk_i32 s10, 0x1100
	s_cbranch_vccnz .LBB1525_970
; %bb.951:                              ;   in Loop: Header=BB1525_948 Depth=2
	s_add_nc_u64 s[10:11], s[36:37], s[42:43]
	s_wait_loadcnt 0x0
	v_add_nc_u64_e32 v[4:5], s[10:11], v[10:11]
	s_mov_b32 s10, exec_lo
	s_wait_xcnt 0x0
	v_cmpx_gt_u32_e64 s8, v10
	s_cbranch_execnz .LBB1525_1004
; %bb.952:                              ;   in Loop: Header=BB1525_948 Depth=2
	s_or_b32 exec_lo, exec_lo, s10
	s_delay_alu instid0(SALU_CYCLE_1)
	s_mov_b32 s10, exec_lo
	v_cmpx_gt_u32_e64 s8, v72
	s_cbranch_execnz .LBB1525_1005
.LBB1525_953:                           ;   in Loop: Header=BB1525_948 Depth=2
	s_or_b32 exec_lo, exec_lo, s10
	s_delay_alu instid0(SALU_CYCLE_1)
	s_mov_b32 s10, exec_lo
	v_cmpx_gt_u32_e64 s8, v73
	s_cbranch_execnz .LBB1525_1006
.LBB1525_954:                           ;   in Loop: Header=BB1525_948 Depth=2
	s_or_b32 exec_lo, exec_lo, s10
	s_delay_alu instid0(SALU_CYCLE_1)
	s_mov_b32 s10, exec_lo
	v_cmpx_gt_u32_e64 s8, v74
	s_cbranch_execnz .LBB1525_1007
.LBB1525_955:                           ;   in Loop: Header=BB1525_948 Depth=2
	s_or_b32 exec_lo, exec_lo, s10
	s_delay_alu instid0(SALU_CYCLE_1)
	s_mov_b32 s10, exec_lo
	v_cmpx_gt_u32_e64 s8, v75
	s_cbranch_execnz .LBB1525_1008
.LBB1525_956:                           ;   in Loop: Header=BB1525_948 Depth=2
	s_or_b32 exec_lo, exec_lo, s10
	s_delay_alu instid0(SALU_CYCLE_1)
	s_mov_b32 s10, exec_lo
	v_cmpx_gt_u32_e64 s8, v76
	s_cbranch_execnz .LBB1525_1009
.LBB1525_957:                           ;   in Loop: Header=BB1525_948 Depth=2
	s_or_b32 exec_lo, exec_lo, s10
	s_delay_alu instid0(SALU_CYCLE_1)
	s_mov_b32 s10, exec_lo
	v_cmpx_gt_u32_e64 s8, v77
	s_cbranch_execnz .LBB1525_1010
.LBB1525_958:                           ;   in Loop: Header=BB1525_948 Depth=2
	s_or_b32 exec_lo, exec_lo, s10
	s_delay_alu instid0(SALU_CYCLE_1)
	s_mov_b32 s10, exec_lo
	v_cmpx_gt_u32_e64 s8, v78
	s_cbranch_execnz .LBB1525_1011
.LBB1525_959:                           ;   in Loop: Header=BB1525_948 Depth=2
	s_or_b32 exec_lo, exec_lo, s10
	s_delay_alu instid0(SALU_CYCLE_1)
	s_mov_b32 s10, exec_lo
	v_cmpx_gt_u32_e64 s8, v79
	s_cbranch_execnz .LBB1525_1012
.LBB1525_960:                           ;   in Loop: Header=BB1525_948 Depth=2
	s_or_b32 exec_lo, exec_lo, s10
	s_delay_alu instid0(SALU_CYCLE_1)
	s_mov_b32 s10, exec_lo
	v_cmpx_gt_u32_e64 s8, v80
	s_cbranch_execnz .LBB1525_1013
.LBB1525_961:                           ;   in Loop: Header=BB1525_948 Depth=2
	s_or_b32 exec_lo, exec_lo, s10
	s_delay_alu instid0(SALU_CYCLE_1)
	s_mov_b32 s10, exec_lo
	v_cmpx_gt_u32_e64 s8, v81
	s_cbranch_execnz .LBB1525_1014
.LBB1525_962:                           ;   in Loop: Header=BB1525_948 Depth=2
	s_or_b32 exec_lo, exec_lo, s10
	s_delay_alu instid0(SALU_CYCLE_1)
	s_mov_b32 s10, exec_lo
	v_cmpx_gt_u32_e64 s8, v82
	s_cbranch_execnz .LBB1525_1015
.LBB1525_963:                           ;   in Loop: Header=BB1525_948 Depth=2
	s_or_b32 exec_lo, exec_lo, s10
	s_delay_alu instid0(SALU_CYCLE_1)
	s_mov_b32 s10, exec_lo
	v_cmpx_gt_u32_e64 s8, v83
	s_cbranch_execnz .LBB1525_1016
.LBB1525_964:                           ;   in Loop: Header=BB1525_948 Depth=2
	s_or_b32 exec_lo, exec_lo, s10
	s_delay_alu instid0(SALU_CYCLE_1)
	s_mov_b32 s10, exec_lo
	v_cmpx_gt_u32_e64 s8, v84
	s_cbranch_execnz .LBB1525_1017
.LBB1525_965:                           ;   in Loop: Header=BB1525_948 Depth=2
	s_or_b32 exec_lo, exec_lo, s10
	s_delay_alu instid0(SALU_CYCLE_1)
	s_mov_b32 s10, exec_lo
	v_cmpx_gt_u32_e64 s8, v85
	s_cbranch_execnz .LBB1525_1018
.LBB1525_966:                           ;   in Loop: Header=BB1525_948 Depth=2
	s_or_b32 exec_lo, exec_lo, s10
	s_delay_alu instid0(SALU_CYCLE_1)
	s_mov_b32 s10, exec_lo
	v_cmpx_gt_u32_e64 s8, v86
	s_cbranch_execnz .LBB1525_1019
.LBB1525_967:                           ;   in Loop: Header=BB1525_948 Depth=2
	s_or_b32 exec_lo, exec_lo, s10
	s_delay_alu instid0(SALU_CYCLE_1)
	s_mov_b32 s10, exec_lo
	v_cmpx_gt_u32_e64 s8, v87
	s_cbranch_execz .LBB1525_969
.LBB1525_968:                           ;   in Loop: Header=BB1525_948 Depth=2
	global_load_u8 v3, v[4:5], off offset:4096
.LBB1525_969:                           ;   in Loop: Header=BB1525_948 Depth=2
	s_wait_xcnt 0x0
	s_or_b32 exec_lo, exec_lo, s10
	s_wait_loadcnt 0x0
	v_dual_mov_b32 v4, v40 :: v_dual_mov_b32 v5, v43
	v_dual_mov_b32 v44, v42 :: v_dual_mov_b32 v45, v41
	;; [unrolled: 1-line block ×8, first 2 shown]
	v_mov_b32_e32 v58, v3
	s_mov_b32 s10, s8
.LBB1525_970:                           ;   in Loop: Header=BB1525_948 Depth=2
	s_wait_loadcnt 0xf
	s_delay_alu instid0(VALU_DEP_1)
	v_dual_mov_b32 v3, v58 :: v_dual_mov_b32 v6, v57
	s_wait_loadcnt 0xd
	v_dual_mov_b32 v7, v56 :: v_dual_mov_b32 v8, v55
	s_wait_loadcnt 0xb
	;; [unrolled: 2-line block ×8, first 2 shown]
	v_mov_b32_e32 v40, v4
	s_mov_b32 s11, exec_lo
	s_wait_xcnt 0x0
	v_cmpx_gt_u32_e64 s10, v10
	s_cbranch_execnz .LBB1525_987
; %bb.971:                              ;   in Loop: Header=BB1525_948 Depth=2
	s_or_b32 exec_lo, exec_lo, s11
	s_delay_alu instid0(SALU_CYCLE_1)
	s_mov_b32 s11, exec_lo
	v_cmpx_gt_u32_e64 s10, v72
	s_cbranch_execnz .LBB1525_988
.LBB1525_972:                           ;   in Loop: Header=BB1525_948 Depth=2
	s_or_b32 exec_lo, exec_lo, s11
	s_delay_alu instid0(SALU_CYCLE_1)
	s_mov_b32 s11, exec_lo
	v_cmpx_gt_u32_e64 s10, v73
	s_cbranch_execnz .LBB1525_989
.LBB1525_973:                           ;   in Loop: Header=BB1525_948 Depth=2
	s_or_b32 exec_lo, exec_lo, s11
	s_delay_alu instid0(SALU_CYCLE_1)
	s_mov_b32 s11, exec_lo
	v_cmpx_gt_u32_e64 s10, v74
	s_cbranch_execnz .LBB1525_990
.LBB1525_974:                           ;   in Loop: Header=BB1525_948 Depth=2
	s_or_b32 exec_lo, exec_lo, s11
	s_delay_alu instid0(SALU_CYCLE_1)
	s_mov_b32 s11, exec_lo
	v_cmpx_gt_u32_e64 s10, v75
	s_cbranch_execnz .LBB1525_991
.LBB1525_975:                           ;   in Loop: Header=BB1525_948 Depth=2
	s_or_b32 exec_lo, exec_lo, s11
	s_delay_alu instid0(SALU_CYCLE_1)
	s_mov_b32 s11, exec_lo
	v_cmpx_gt_u32_e64 s10, v76
	s_cbranch_execnz .LBB1525_992
.LBB1525_976:                           ;   in Loop: Header=BB1525_948 Depth=2
	s_or_b32 exec_lo, exec_lo, s11
	s_delay_alu instid0(SALU_CYCLE_1)
	s_mov_b32 s11, exec_lo
	v_cmpx_gt_u32_e64 s10, v77
	s_cbranch_execnz .LBB1525_993
.LBB1525_977:                           ;   in Loop: Header=BB1525_948 Depth=2
	s_or_b32 exec_lo, exec_lo, s11
	s_delay_alu instid0(SALU_CYCLE_1)
	s_mov_b32 s11, exec_lo
	v_cmpx_gt_u32_e64 s10, v78
	s_cbranch_execnz .LBB1525_994
.LBB1525_978:                           ;   in Loop: Header=BB1525_948 Depth=2
	s_or_b32 exec_lo, exec_lo, s11
	s_delay_alu instid0(SALU_CYCLE_1)
	s_mov_b32 s11, exec_lo
	v_cmpx_gt_u32_e64 s10, v79
	s_cbranch_execnz .LBB1525_995
.LBB1525_979:                           ;   in Loop: Header=BB1525_948 Depth=2
	s_or_b32 exec_lo, exec_lo, s11
	s_delay_alu instid0(SALU_CYCLE_1)
	s_mov_b32 s11, exec_lo
	v_cmpx_gt_u32_e64 s10, v80
	s_cbranch_execnz .LBB1525_996
.LBB1525_980:                           ;   in Loop: Header=BB1525_948 Depth=2
	s_or_b32 exec_lo, exec_lo, s11
	s_delay_alu instid0(SALU_CYCLE_1)
	s_mov_b32 s11, exec_lo
	v_cmpx_gt_u32_e64 s10, v81
	s_cbranch_execnz .LBB1525_997
.LBB1525_981:                           ;   in Loop: Header=BB1525_948 Depth=2
	s_or_b32 exec_lo, exec_lo, s11
	s_delay_alu instid0(SALU_CYCLE_1)
	s_mov_b32 s11, exec_lo
	v_cmpx_gt_u32_e64 s10, v82
	s_cbranch_execnz .LBB1525_998
.LBB1525_982:                           ;   in Loop: Header=BB1525_948 Depth=2
	s_or_b32 exec_lo, exec_lo, s11
	s_delay_alu instid0(SALU_CYCLE_1)
	s_mov_b32 s11, exec_lo
	v_cmpx_gt_u32_e64 s10, v83
	s_cbranch_execnz .LBB1525_999
.LBB1525_983:                           ;   in Loop: Header=BB1525_948 Depth=2
	s_or_b32 exec_lo, exec_lo, s11
	s_delay_alu instid0(SALU_CYCLE_1)
	s_mov_b32 s11, exec_lo
	v_cmpx_gt_u32_e64 s10, v84
	s_cbranch_execnz .LBB1525_1000
.LBB1525_984:                           ;   in Loop: Header=BB1525_948 Depth=2
	s_or_b32 exec_lo, exec_lo, s11
	s_delay_alu instid0(SALU_CYCLE_1)
	s_mov_b32 s11, exec_lo
	v_cmpx_gt_u32_e64 s10, v85
	s_cbranch_execnz .LBB1525_1001
.LBB1525_985:                           ;   in Loop: Header=BB1525_948 Depth=2
	s_or_b32 exec_lo, exec_lo, s11
	s_delay_alu instid0(SALU_CYCLE_1)
	s_mov_b32 s11, exec_lo
	v_cmpx_gt_u32_e64 s10, v86
	s_cbranch_execnz .LBB1525_1002
.LBB1525_986:                           ;   in Loop: Header=BB1525_948 Depth=2
	s_or_b32 exec_lo, exec_lo, s11
	v_cmp_gt_u32_e32 vcc_lo, s10, v87
	s_and_saveexec_b32 s10, vcc_lo
	s_cbranch_execz .LBB1525_947
	s_branch .LBB1525_1003
.LBB1525_987:                           ;   in Loop: Header=BB1525_948 Depth=2
	v_bitop3_b16 v4, v40, 1, v40 bitop3:0xc
	s_delay_alu instid0(VALU_DEP_1) | instskip(NEXT) | instid1(VALU_DEP_1)
	v_and_b32_e32 v4, 0xffff, v4
	v_lshrrev_b32_e32 v4, s49, v4
	s_delay_alu instid0(VALU_DEP_1) | instskip(NEXT) | instid1(VALU_DEP_1)
	v_and_b32_e32 v4, s58, v4
	v_lshl_or_b32 v4, v4, 4, v89
	ds_add_u32 v4, v15
	s_or_b32 exec_lo, exec_lo, s11
	s_delay_alu instid0(SALU_CYCLE_1)
	s_mov_b32 s11, exec_lo
	v_cmpx_gt_u32_e64 s10, v72
	s_cbranch_execz .LBB1525_972
.LBB1525_988:                           ;   in Loop: Header=BB1525_948 Depth=2
	v_bitop3_b16 v4, v43, 1, v43 bitop3:0xc
	s_delay_alu instid0(VALU_DEP_1) | instskip(NEXT) | instid1(VALU_DEP_1)
	v_and_b32_e32 v4, 0xffff, v4
	v_lshrrev_b32_e32 v4, s49, v4
	s_delay_alu instid0(VALU_DEP_1) | instskip(NEXT) | instid1(VALU_DEP_1)
	v_and_b32_e32 v4, s58, v4
	v_lshl_or_b32 v4, v4, 4, v89
	ds_add_u32 v4, v15
	s_or_b32 exec_lo, exec_lo, s11
	s_delay_alu instid0(SALU_CYCLE_1)
	s_mov_b32 s11, exec_lo
	v_cmpx_gt_u32_e64 s10, v73
	s_cbranch_execz .LBB1525_973
.LBB1525_989:                           ;   in Loop: Header=BB1525_948 Depth=2
	v_bitop3_b16 v4, v42, 1, v42 bitop3:0xc
	s_delay_alu instid0(VALU_DEP_1) | instskip(NEXT) | instid1(VALU_DEP_1)
	v_and_b32_e32 v4, 0xffff, v4
	v_lshrrev_b32_e32 v4, s49, v4
	s_delay_alu instid0(VALU_DEP_1) | instskip(NEXT) | instid1(VALU_DEP_1)
	v_and_b32_e32 v4, s58, v4
	v_lshl_or_b32 v4, v4, 4, v89
	ds_add_u32 v4, v15
	s_or_b32 exec_lo, exec_lo, s11
	s_delay_alu instid0(SALU_CYCLE_1)
	s_mov_b32 s11, exec_lo
	v_cmpx_gt_u32_e64 s10, v74
	s_cbranch_execz .LBB1525_974
.LBB1525_990:                           ;   in Loop: Header=BB1525_948 Depth=2
	v_bitop3_b16 v4, v41, 1, v41 bitop3:0xc
	s_delay_alu instid0(VALU_DEP_1) | instskip(NEXT) | instid1(VALU_DEP_1)
	v_and_b32_e32 v4, 0xffff, v4
	v_lshrrev_b32_e32 v4, s49, v4
	s_delay_alu instid0(VALU_DEP_1) | instskip(NEXT) | instid1(VALU_DEP_1)
	v_and_b32_e32 v4, s58, v4
	v_lshl_or_b32 v4, v4, 4, v89
	ds_add_u32 v4, v15
	s_or_b32 exec_lo, exec_lo, s11
	s_delay_alu instid0(SALU_CYCLE_1)
	s_mov_b32 s11, exec_lo
	v_cmpx_gt_u32_e64 s10, v75
	s_cbranch_execz .LBB1525_975
.LBB1525_991:                           ;   in Loop: Header=BB1525_948 Depth=2
	v_bitop3_b16 v4, v39, 1, v39 bitop3:0xc
	s_delay_alu instid0(VALU_DEP_1) | instskip(NEXT) | instid1(VALU_DEP_1)
	v_and_b32_e32 v4, 0xffff, v4
	v_lshrrev_b32_e32 v4, s49, v4
	s_delay_alu instid0(VALU_DEP_1) | instskip(NEXT) | instid1(VALU_DEP_1)
	v_and_b32_e32 v4, s58, v4
	v_lshl_or_b32 v4, v4, 4, v89
	ds_add_u32 v4, v15
	s_or_b32 exec_lo, exec_lo, s11
	s_delay_alu instid0(SALU_CYCLE_1)
	s_mov_b32 s11, exec_lo
	v_cmpx_gt_u32_e64 s10, v76
	s_cbranch_execz .LBB1525_976
.LBB1525_992:                           ;   in Loop: Header=BB1525_948 Depth=2
	v_bitop3_b16 v4, v38, 1, v38 bitop3:0xc
	s_delay_alu instid0(VALU_DEP_1) | instskip(NEXT) | instid1(VALU_DEP_1)
	v_and_b32_e32 v4, 0xffff, v4
	v_lshrrev_b32_e32 v4, s49, v4
	s_delay_alu instid0(VALU_DEP_1) | instskip(NEXT) | instid1(VALU_DEP_1)
	v_and_b32_e32 v4, s58, v4
	v_lshl_or_b32 v4, v4, 4, v89
	ds_add_u32 v4, v15
	s_or_b32 exec_lo, exec_lo, s11
	s_delay_alu instid0(SALU_CYCLE_1)
	s_mov_b32 s11, exec_lo
	v_cmpx_gt_u32_e64 s10, v77
	s_cbranch_execz .LBB1525_977
.LBB1525_993:                           ;   in Loop: Header=BB1525_948 Depth=2
	v_bitop3_b16 v4, v37, 1, v37 bitop3:0xc
	s_delay_alu instid0(VALU_DEP_1) | instskip(NEXT) | instid1(VALU_DEP_1)
	v_and_b32_e32 v4, 0xffff, v4
	v_lshrrev_b32_e32 v4, s49, v4
	s_delay_alu instid0(VALU_DEP_1) | instskip(NEXT) | instid1(VALU_DEP_1)
	v_and_b32_e32 v4, s58, v4
	v_lshl_or_b32 v4, v4, 4, v89
	ds_add_u32 v4, v15
	s_or_b32 exec_lo, exec_lo, s11
	s_delay_alu instid0(SALU_CYCLE_1)
	s_mov_b32 s11, exec_lo
	v_cmpx_gt_u32_e64 s10, v78
	s_cbranch_execz .LBB1525_978
.LBB1525_994:                           ;   in Loop: Header=BB1525_948 Depth=2
	v_bitop3_b16 v4, v36, 1, v36 bitop3:0xc
	s_delay_alu instid0(VALU_DEP_1) | instskip(NEXT) | instid1(VALU_DEP_1)
	v_and_b32_e32 v4, 0xffff, v4
	v_lshrrev_b32_e32 v4, s49, v4
	s_delay_alu instid0(VALU_DEP_1) | instskip(NEXT) | instid1(VALU_DEP_1)
	v_and_b32_e32 v4, s58, v4
	v_lshl_or_b32 v4, v4, 4, v89
	ds_add_u32 v4, v15
	s_or_b32 exec_lo, exec_lo, s11
	s_delay_alu instid0(SALU_CYCLE_1)
	s_mov_b32 s11, exec_lo
	v_cmpx_gt_u32_e64 s10, v79
	s_cbranch_execz .LBB1525_979
.LBB1525_995:                           ;   in Loop: Header=BB1525_948 Depth=2
	v_bitop3_b16 v4, v35, 1, v35 bitop3:0xc
	s_delay_alu instid0(VALU_DEP_1) | instskip(NEXT) | instid1(VALU_DEP_1)
	v_and_b32_e32 v4, 0xffff, v4
	v_lshrrev_b32_e32 v4, s49, v4
	s_delay_alu instid0(VALU_DEP_1) | instskip(NEXT) | instid1(VALU_DEP_1)
	v_and_b32_e32 v4, s58, v4
	v_lshl_or_b32 v4, v4, 4, v89
	ds_add_u32 v4, v15
	s_or_b32 exec_lo, exec_lo, s11
	s_delay_alu instid0(SALU_CYCLE_1)
	s_mov_b32 s11, exec_lo
	v_cmpx_gt_u32_e64 s10, v80
	s_cbranch_execz .LBB1525_980
.LBB1525_996:                           ;   in Loop: Header=BB1525_948 Depth=2
	v_bitop3_b16 v4, v34, 1, v34 bitop3:0xc
	s_delay_alu instid0(VALU_DEP_1) | instskip(NEXT) | instid1(VALU_DEP_1)
	v_and_b32_e32 v4, 0xffff, v4
	v_lshrrev_b32_e32 v4, s49, v4
	s_delay_alu instid0(VALU_DEP_1) | instskip(NEXT) | instid1(VALU_DEP_1)
	v_and_b32_e32 v4, s58, v4
	v_lshl_or_b32 v4, v4, 4, v89
	ds_add_u32 v4, v15
	s_or_b32 exec_lo, exec_lo, s11
	s_delay_alu instid0(SALU_CYCLE_1)
	s_mov_b32 s11, exec_lo
	v_cmpx_gt_u32_e64 s10, v81
	s_cbranch_execz .LBB1525_981
.LBB1525_997:                           ;   in Loop: Header=BB1525_948 Depth=2
	v_bitop3_b16 v4, v33, 1, v33 bitop3:0xc
	s_delay_alu instid0(VALU_DEP_1) | instskip(NEXT) | instid1(VALU_DEP_1)
	v_and_b32_e32 v4, 0xffff, v4
	v_lshrrev_b32_e32 v4, s49, v4
	s_delay_alu instid0(VALU_DEP_1) | instskip(NEXT) | instid1(VALU_DEP_1)
	v_and_b32_e32 v4, s58, v4
	v_lshl_or_b32 v4, v4, 4, v89
	ds_add_u32 v4, v15
	s_or_b32 exec_lo, exec_lo, s11
	s_delay_alu instid0(SALU_CYCLE_1)
	s_mov_b32 s11, exec_lo
	v_cmpx_gt_u32_e64 s10, v82
	s_cbranch_execz .LBB1525_982
.LBB1525_998:                           ;   in Loop: Header=BB1525_948 Depth=2
	v_bitop3_b16 v4, v32, 1, v32 bitop3:0xc
	s_delay_alu instid0(VALU_DEP_1) | instskip(NEXT) | instid1(VALU_DEP_1)
	v_and_b32_e32 v4, 0xffff, v4
	v_lshrrev_b32_e32 v4, s49, v4
	s_delay_alu instid0(VALU_DEP_1) | instskip(NEXT) | instid1(VALU_DEP_1)
	v_and_b32_e32 v4, s58, v4
	v_lshl_or_b32 v4, v4, 4, v89
	ds_add_u32 v4, v15
	s_or_b32 exec_lo, exec_lo, s11
	s_delay_alu instid0(SALU_CYCLE_1)
	s_mov_b32 s11, exec_lo
	v_cmpx_gt_u32_e64 s10, v83
	s_cbranch_execz .LBB1525_983
.LBB1525_999:                           ;   in Loop: Header=BB1525_948 Depth=2
	v_bitop3_b16 v4, v31, 1, v31 bitop3:0xc
	s_delay_alu instid0(VALU_DEP_1) | instskip(NEXT) | instid1(VALU_DEP_1)
	v_and_b32_e32 v4, 0xffff, v4
	v_lshrrev_b32_e32 v4, s49, v4
	s_delay_alu instid0(VALU_DEP_1) | instskip(NEXT) | instid1(VALU_DEP_1)
	v_and_b32_e32 v4, s58, v4
	v_lshl_or_b32 v4, v4, 4, v89
	ds_add_u32 v4, v15
	s_or_b32 exec_lo, exec_lo, s11
	s_delay_alu instid0(SALU_CYCLE_1)
	s_mov_b32 s11, exec_lo
	v_cmpx_gt_u32_e64 s10, v84
	s_cbranch_execz .LBB1525_984
.LBB1525_1000:                          ;   in Loop: Header=BB1525_948 Depth=2
	v_bitop3_b16 v4, v8, 1, v8 bitop3:0xc
	s_delay_alu instid0(VALU_DEP_1) | instskip(NEXT) | instid1(VALU_DEP_1)
	v_and_b32_e32 v4, 0xffff, v4
	v_lshrrev_b32_e32 v4, s49, v4
	s_delay_alu instid0(VALU_DEP_1) | instskip(NEXT) | instid1(VALU_DEP_1)
	v_and_b32_e32 v4, s58, v4
	v_lshl_or_b32 v4, v4, 4, v89
	ds_add_u32 v4, v15
	s_or_b32 exec_lo, exec_lo, s11
	s_delay_alu instid0(SALU_CYCLE_1)
	s_mov_b32 s11, exec_lo
	v_cmpx_gt_u32_e64 s10, v85
	s_cbranch_execz .LBB1525_985
.LBB1525_1001:                          ;   in Loop: Header=BB1525_948 Depth=2
	v_bitop3_b16 v4, v7, 1, v7 bitop3:0xc
	s_delay_alu instid0(VALU_DEP_1) | instskip(NEXT) | instid1(VALU_DEP_1)
	v_and_b32_e32 v4, 0xffff, v4
	v_lshrrev_b32_e32 v4, s49, v4
	s_delay_alu instid0(VALU_DEP_1) | instskip(NEXT) | instid1(VALU_DEP_1)
	v_and_b32_e32 v4, s58, v4
	v_lshl_or_b32 v4, v4, 4, v89
	ds_add_u32 v4, v15
	s_or_b32 exec_lo, exec_lo, s11
	s_delay_alu instid0(SALU_CYCLE_1)
	s_mov_b32 s11, exec_lo
	v_cmpx_gt_u32_e64 s10, v86
	s_cbranch_execz .LBB1525_986
.LBB1525_1002:                          ;   in Loop: Header=BB1525_948 Depth=2
	v_bitop3_b16 v4, v6, 1, v6 bitop3:0xc
	s_delay_alu instid0(VALU_DEP_1) | instskip(NEXT) | instid1(VALU_DEP_1)
	v_and_b32_e32 v4, 0xffff, v4
	v_lshrrev_b32_e32 v4, s49, v4
	s_delay_alu instid0(VALU_DEP_1) | instskip(NEXT) | instid1(VALU_DEP_1)
	v_and_b32_e32 v4, s58, v4
	v_lshl_or_b32 v4, v4, 4, v89
	ds_add_u32 v4, v15
	s_or_b32 exec_lo, exec_lo, s11
	v_cmp_gt_u32_e32 vcc_lo, s10, v87
	s_and_saveexec_b32 s10, vcc_lo
	s_cbranch_execz .LBB1525_947
.LBB1525_1003:                          ;   in Loop: Header=BB1525_948 Depth=2
	v_bitop3_b16 v4, v3, 1, v3 bitop3:0xc
	s_delay_alu instid0(VALU_DEP_1) | instskip(NEXT) | instid1(VALU_DEP_1)
	v_and_b32_e32 v4, 0xffff, v4
	v_lshrrev_b32_e32 v4, s49, v4
	s_delay_alu instid0(VALU_DEP_1) | instskip(NEXT) | instid1(VALU_DEP_1)
	v_and_b32_e32 v4, s58, v4
	v_lshl_or_b32 v4, v4, 4, v89
	ds_add_u32 v4, v15
	s_branch .LBB1525_947
.LBB1525_1004:                          ;   in Loop: Header=BB1525_948 Depth=2
	global_load_u8 v40, v[4:5], off
	s_wait_xcnt 0x0
	s_or_b32 exec_lo, exec_lo, s10
	s_delay_alu instid0(SALU_CYCLE_1)
	s_mov_b32 s10, exec_lo
	v_cmpx_gt_u32_e64 s8, v72
	s_cbranch_execz .LBB1525_953
.LBB1525_1005:                          ;   in Loop: Header=BB1525_948 Depth=2
	global_load_u8 v43, v[4:5], off offset:256
	s_wait_xcnt 0x0
	s_or_b32 exec_lo, exec_lo, s10
	s_delay_alu instid0(SALU_CYCLE_1)
	s_mov_b32 s10, exec_lo
	v_cmpx_gt_u32_e64 s8, v73
	s_cbranch_execz .LBB1525_954
.LBB1525_1006:                          ;   in Loop: Header=BB1525_948 Depth=2
	global_load_u8 v42, v[4:5], off offset:512
	s_wait_xcnt 0x0
	s_or_b32 exec_lo, exec_lo, s10
	s_delay_alu instid0(SALU_CYCLE_1)
	s_mov_b32 s10, exec_lo
	v_cmpx_gt_u32_e64 s8, v74
	s_cbranch_execz .LBB1525_955
.LBB1525_1007:                          ;   in Loop: Header=BB1525_948 Depth=2
	global_load_u8 v41, v[4:5], off offset:768
	s_wait_xcnt 0x0
	s_or_b32 exec_lo, exec_lo, s10
	s_delay_alu instid0(SALU_CYCLE_1)
	s_mov_b32 s10, exec_lo
	v_cmpx_gt_u32_e64 s8, v75
	s_cbranch_execz .LBB1525_956
.LBB1525_1008:                          ;   in Loop: Header=BB1525_948 Depth=2
	global_load_u8 v39, v[4:5], off offset:1024
	s_wait_xcnt 0x0
	s_or_b32 exec_lo, exec_lo, s10
	s_delay_alu instid0(SALU_CYCLE_1)
	s_mov_b32 s10, exec_lo
	v_cmpx_gt_u32_e64 s8, v76
	s_cbranch_execz .LBB1525_957
.LBB1525_1009:                          ;   in Loop: Header=BB1525_948 Depth=2
	global_load_u8 v38, v[4:5], off offset:1280
	s_wait_xcnt 0x0
	s_or_b32 exec_lo, exec_lo, s10
	s_delay_alu instid0(SALU_CYCLE_1)
	s_mov_b32 s10, exec_lo
	v_cmpx_gt_u32_e64 s8, v77
	s_cbranch_execz .LBB1525_958
.LBB1525_1010:                          ;   in Loop: Header=BB1525_948 Depth=2
	global_load_u8 v37, v[4:5], off offset:1536
	s_wait_xcnt 0x0
	s_or_b32 exec_lo, exec_lo, s10
	s_delay_alu instid0(SALU_CYCLE_1)
	s_mov_b32 s10, exec_lo
	v_cmpx_gt_u32_e64 s8, v78
	s_cbranch_execz .LBB1525_959
.LBB1525_1011:                          ;   in Loop: Header=BB1525_948 Depth=2
	global_load_u8 v36, v[4:5], off offset:1792
	s_wait_xcnt 0x0
	s_or_b32 exec_lo, exec_lo, s10
	s_delay_alu instid0(SALU_CYCLE_1)
	s_mov_b32 s10, exec_lo
	v_cmpx_gt_u32_e64 s8, v79
	s_cbranch_execz .LBB1525_960
.LBB1525_1012:                          ;   in Loop: Header=BB1525_948 Depth=2
	global_load_u8 v35, v[4:5], off offset:2048
	s_wait_xcnt 0x0
	s_or_b32 exec_lo, exec_lo, s10
	s_delay_alu instid0(SALU_CYCLE_1)
	s_mov_b32 s10, exec_lo
	v_cmpx_gt_u32_e64 s8, v80
	s_cbranch_execz .LBB1525_961
.LBB1525_1013:                          ;   in Loop: Header=BB1525_948 Depth=2
	global_load_u8 v34, v[4:5], off offset:2304
	s_wait_xcnt 0x0
	s_or_b32 exec_lo, exec_lo, s10
	s_delay_alu instid0(SALU_CYCLE_1)
	s_mov_b32 s10, exec_lo
	v_cmpx_gt_u32_e64 s8, v81
	s_cbranch_execz .LBB1525_962
.LBB1525_1014:                          ;   in Loop: Header=BB1525_948 Depth=2
	global_load_u8 v33, v[4:5], off offset:2560
	s_wait_xcnt 0x0
	s_or_b32 exec_lo, exec_lo, s10
	s_delay_alu instid0(SALU_CYCLE_1)
	s_mov_b32 s10, exec_lo
	v_cmpx_gt_u32_e64 s8, v82
	s_cbranch_execz .LBB1525_963
.LBB1525_1015:                          ;   in Loop: Header=BB1525_948 Depth=2
	global_load_u8 v32, v[4:5], off offset:2816
	s_wait_xcnt 0x0
	s_or_b32 exec_lo, exec_lo, s10
	s_delay_alu instid0(SALU_CYCLE_1)
	s_mov_b32 s10, exec_lo
	v_cmpx_gt_u32_e64 s8, v83
	s_cbranch_execz .LBB1525_964
.LBB1525_1016:                          ;   in Loop: Header=BB1525_948 Depth=2
	global_load_u8 v31, v[4:5], off offset:3072
	s_wait_xcnt 0x0
	s_or_b32 exec_lo, exec_lo, s10
	s_delay_alu instid0(SALU_CYCLE_1)
	s_mov_b32 s10, exec_lo
	v_cmpx_gt_u32_e64 s8, v84
	s_cbranch_execz .LBB1525_965
.LBB1525_1017:                          ;   in Loop: Header=BB1525_948 Depth=2
	global_load_u8 v8, v[4:5], off offset:3328
	s_wait_xcnt 0x0
	s_or_b32 exec_lo, exec_lo, s10
	s_delay_alu instid0(SALU_CYCLE_1)
	s_mov_b32 s10, exec_lo
	v_cmpx_gt_u32_e64 s8, v85
	s_cbranch_execz .LBB1525_966
.LBB1525_1018:                          ;   in Loop: Header=BB1525_948 Depth=2
	global_load_u8 v7, v[4:5], off offset:3584
	s_wait_xcnt 0x0
	s_or_b32 exec_lo, exec_lo, s10
	s_delay_alu instid0(SALU_CYCLE_1)
	s_mov_b32 s10, exec_lo
	v_cmpx_gt_u32_e64 s8, v86
	s_cbranch_execz .LBB1525_967
.LBB1525_1019:                          ;   in Loop: Header=BB1525_948 Depth=2
	global_load_u8 v6, v[4:5], off offset:3840
	s_wait_xcnt 0x0
	s_or_b32 exec_lo, exec_lo, s10
	s_delay_alu instid0(SALU_CYCLE_1)
	s_mov_b32 s10, exec_lo
	v_cmpx_gt_u32_e64 s8, v87
	s_cbranch_execnz .LBB1525_968
	s_branch .LBB1525_969
.LBB1525_1020:                          ;   in Loop: Header=BB1525_12 Depth=1
	v_mov_b32_e32 v3, 0
	s_wait_dscnt 0x0
	s_barrier_signal -1
	s_barrier_wait -1
	s_and_saveexec_b32 s8, s0
	s_cbranch_execz .LBB1525_1022
; %bb.1021:                             ;   in Loop: Header=BB1525_12 Depth=1
	ds_load_2addr_b64 v[4:7], v90 offset1:1
	s_wait_dscnt 0x0
	v_add_nc_u32_e32 v3, v5, v4
	s_delay_alu instid0(VALU_DEP_1)
	v_add3_u32 v3, v3, v6, v7
.LBB1525_1022:                          ;   in Loop: Header=BB1525_12 Depth=1
	s_or_b32 exec_lo, exec_lo, s8
	v_and_b32_e32 v4, 15, v30
	s_delay_alu instid0(VALU_DEP_2) | instskip(NEXT) | instid1(VALU_DEP_2)
	v_mov_b32_dpp v5, v3 row_shr:1 row_mask:0xf bank_mask:0xf
	v_cmp_eq_u32_e64 s8, 0, v4
	s_delay_alu instid0(VALU_DEP_1) | instskip(NEXT) | instid1(VALU_DEP_1)
	v_cndmask_b32_e64 v5, v5, 0, s8
	v_add_nc_u32_e32 v3, v5, v3
	v_cmp_lt_u32_e64 s9, 1, v4
	v_cmp_lt_u32_e64 s10, 3, v4
	;; [unrolled: 1-line block ×3, first 2 shown]
	s_delay_alu instid0(VALU_DEP_4) | instskip(NEXT) | instid1(VALU_DEP_1)
	v_mov_b32_dpp v5, v3 row_shr:2 row_mask:0xf bank_mask:0xf
	v_cndmask_b32_e64 v5, 0, v5, s9
	s_delay_alu instid0(VALU_DEP_1) | instskip(NEXT) | instid1(VALU_DEP_1)
	v_add_nc_u32_e32 v3, v3, v5
	v_mov_b32_dpp v5, v3 row_shr:4 row_mask:0xf bank_mask:0xf
	s_delay_alu instid0(VALU_DEP_1) | instskip(NEXT) | instid1(VALU_DEP_1)
	v_cndmask_b32_e64 v5, 0, v5, s10
	v_add_nc_u32_e32 v3, v3, v5
	s_delay_alu instid0(VALU_DEP_1) | instskip(NEXT) | instid1(VALU_DEP_1)
	v_mov_b32_dpp v5, v3 row_shr:8 row_mask:0xf bank_mask:0xf
	v_cndmask_b32_e64 v4, 0, v5, s11
	v_bfe_i32 v5, v30, 4, 1
	s_delay_alu instid0(VALU_DEP_2) | instskip(SKIP_3) | instid1(VALU_DEP_1)
	v_add_nc_u32_e32 v3, v3, v4
	ds_swizzle_b32 v4, v3 offset:swizzle(BROADCAST,32,15)
	s_wait_dscnt 0x0
	v_and_b32_e32 v4, v5, v4
	v_dual_add_nc_u32 v3, v3, v4 :: v_dual_bitop2_b32 v6, 16, v30 bitop3:0x40
	s_delay_alu instid0(VALU_DEP_1)
	v_cmp_eq_u32_e64 s12, 0, v6
	s_and_saveexec_b32 s13, s1
; %bb.1023:                             ;   in Loop: Header=BB1525_12 Depth=1
	ds_store_b32 v91, v3
; %bb.1024:                             ;   in Loop: Header=BB1525_12 Depth=1
	s_or_b32 exec_lo, exec_lo, s13
	s_wait_dscnt 0x0
	s_barrier_signal -1
	s_barrier_wait -1
	s_and_saveexec_b32 s13, s4
	s_cbranch_execz .LBB1525_1026
; %bb.1025:                             ;   in Loop: Header=BB1525_12 Depth=1
	ds_load_b32 v4, v92
	v_and_b32_e32 v5, 3, v30
	s_delay_alu instid0(VALU_DEP_1) | instskip(SKIP_2) | instid1(VALU_DEP_1)
	v_cmp_ne_u32_e32 vcc_lo, 0, v5
	s_wait_dscnt 0x0
	v_mov_b32_dpp v6, v4 row_shr:1 row_mask:0xf bank_mask:0xf
	v_cndmask_b32_e32 v6, 0, v6, vcc_lo
	s_delay_alu instid0(VALU_DEP_1) | instskip(SKIP_1) | instid1(VALU_DEP_2)
	v_add_nc_u32_e32 v4, v6, v4
	v_cmp_lt_u32_e32 vcc_lo, 1, v5
	v_mov_b32_dpp v6, v4 row_shr:2 row_mask:0xf bank_mask:0xf
	s_delay_alu instid0(VALU_DEP_1) | instskip(NEXT) | instid1(VALU_DEP_1)
	v_cndmask_b32_e32 v5, 0, v6, vcc_lo
	v_add_nc_u32_e32 v4, v4, v5
	ds_store_b32 v92, v4
.LBB1525_1026:                          ;   in Loop: Header=BB1525_12 Depth=1
	s_or_b32 exec_lo, exec_lo, s13
	v_mov_b32_e32 v4, 0
	s_wait_dscnt 0x0
	s_barrier_signal -1
	s_barrier_wait -1
	s_and_saveexec_b32 s13, s5
; %bb.1027:                             ;   in Loop: Header=BB1525_12 Depth=1
	ds_load_b32 v4, v93
; %bb.1028:                             ;   in Loop: Header=BB1525_12 Depth=1
	s_or_b32 exec_lo, exec_lo, s13
	v_sub_co_u32 v5, s13, v30, 1
	s_wait_dscnt 0x0
	s_barrier_signal -1
	s_barrier_wait -1
	s_delay_alu instid0(VALU_DEP_1) | instskip(SKIP_1) | instid1(VALU_DEP_1)
	v_cmp_gt_i32_e32 vcc_lo, 0, v5
	v_dual_add_nc_u32 v3, v4, v3 :: v_dual_cndmask_b32 v5, v5, v30, vcc_lo
	v_lshlrev_b32_e32 v101, 2, v5
	ds_bpermute_b32 v3, v101, v3
	s_and_saveexec_b32 s14, s0
	s_cbranch_execz .LBB1525_1030
; %bb.1029:                             ;   in Loop: Header=BB1525_12 Depth=1
	s_wait_dscnt 0x0
	v_cndmask_b32_e64 v3, v3, v4, s13
	s_delay_alu instid0(VALU_DEP_1)
	v_add_nc_u32_e32 v3, s54, v3
	ds_store_b32 v9, v3
.LBB1525_1030:                          ;   in Loop: Header=BB1525_12 Depth=1
	s_or_b32 exec_lo, exec_lo, s14
	s_load_b64 s[14:15], s[52:53], 0x0
	s_wait_dscnt 0x0
	v_dual_mov_b32 v31, v2 :: v_dual_bitop2_b32 v3, 7, v30 bitop3:0x40
	v_dual_mov_b32 v5, v2 :: v_dual_lshlrev_b32 v4, 3, v30
	s_mov_b32 s59, s56
	s_delay_alu instid0(VALU_DEP_2) | instskip(NEXT) | instid1(VALU_DEP_3)
	v_cmp_lt_u32_e64 s16, 3, v3
	v_add_nc_u64_e32 v[34:35], v[28:29], v[30:31]
                                        ; implicit-def: $vgpr36_vgpr37
                                        ; implicit-def: $vgpr38_vgpr39
                                        ; implicit-def: $vgpr40_vgpr41
                                        ; implicit-def: $vgpr42_vgpr43
                                        ; implicit-def: $vgpr44_vgpr45
                                        ; implicit-def: $vgpr46_vgpr47
                                        ; implicit-def: $vgpr48_vgpr49
                                        ; implicit-def: $vgpr50_vgpr51
                                        ; implicit-def: $vgpr52_vgpr53
                                        ; implicit-def: $vgpr54_vgpr55
                                        ; implicit-def: $vgpr56_vgpr57
                                        ; implicit-def: $vgpr58_vgpr59
                                        ; implicit-def: $vgpr60_vgpr61
                                        ; implicit-def: $vgpr62_vgpr63
                                        ; implicit-def: $vgpr64_vgpr65
                                        ; implicit-def: $vgpr66_vgpr67
                                        ; implicit-def: $vgpr68_vgpr69
                                        ; implicit-def: $vgpr119
                                        ; implicit-def: $vgpr120
                                        ; implicit-def: $vgpr121
                                        ; implicit-def: $vgpr122
                                        ; implicit-def: $vgpr123
                                        ; implicit-def: $vgpr124
                                        ; implicit-def: $vgpr125
                                        ; implicit-def: $vgpr126
                                        ; implicit-def: $vgpr127
                                        ; implicit-def: $vgpr128
                                        ; implicit-def: $vgpr129
                                        ; implicit-def: $vgpr130
                                        ; implicit-def: $vgpr131
                                        ; implicit-def: $vgpr132
                                        ; implicit-def: $vgpr133
                                        ; implicit-def: $vgpr134
                                        ; implicit-def: $vgpr135
                                        ; implicit-def: $vgpr136
                                        ; implicit-def: $vgpr137
	v_mov_b32_e32 v8, 0
	v_add_nc_u64_e32 v[32:33], v[26:27], v[4:5]
	s_wait_kmcnt 0x0
	s_cmp_lt_u32 s35, s14
	s_cselect_b32 s42, 12, 18
	s_cmp_lt_u32 s48, s15
	s_mov_b32 s15, s43
	s_cselect_b32 s14, 14, 20
	s_delay_alu instid0(SALU_CYCLE_1)
	s_add_nc_u64 s[14:15], s[52:53], s[14:15]
	s_load_u16 s17, s[14:15], 0x0
	s_wait_xcnt 0x0
	s_add_nc_u64 s[14:15], s[52:53], s[42:43]
	s_mov_b32 s42, s54
	s_load_u16 s18, s[14:15], 0x0
	s_wait_xcnt 0x0
	v_cmp_eq_u32_e64 s14, 0, v3
	v_cmp_lt_u32_e64 s15, 1, v3
	s_wait_kmcnt 0x0
	v_mad_u32_u24 v3, v94, s17, v96
	s_delay_alu instid0(VALU_DEP_1) | instskip(NEXT) | instid1(VALU_DEP_1)
	v_mad_u32 v3, v3, s18, v10
	v_dual_lshrrev_b32 v3, 3, v3 :: v_dual_bitop2_b32 v102, v30, v14 bitop3:0x54
	s_delay_alu instid0(VALU_DEP_1)
	v_dual_add_nc_u32 v103, 32, v102 :: v_dual_add_nc_u32 v104, 64, v102
	v_add_nc_u32_e32 v105, 0x60, v102
	v_add_nc_u32_e32 v106, 0x80, v102
	v_add_nc_u32_e32 v107, 0xa0, v102
	v_add_nc_u32_e32 v108, 0xc0, v102
	v_add_nc_u32_e32 v109, 0xe0, v102
	v_add_nc_u32_e32 v110, 0x100, v102
	v_add_nc_u32_e32 v111, 0x120, v102
	v_add_nc_u32_e32 v112, 0x140, v102
	v_add_nc_u32_e32 v113, 0x160, v102
	v_add_nc_u32_e32 v114, 0x180, v102
	v_add_nc_u32_e32 v115, 0x1a0, v102
	v_add_nc_u32_e32 v116, 0x1c0, v102
	v_add_nc_u32_e32 v117, 0x1e0, v102
	v_add_nc_u32_e32 v118, 0x200, v102
	v_and_b32_e32 v31, 0x1ffffffc, v3
	s_branch .LBB1525_1032
.LBB1525_1031:                          ;   in Loop: Header=BB1525_1032 Depth=2
	s_or_b32 exec_lo, exec_lo, s17
	s_addk_co_i32 s59, 0xef00
	s_cmp_lt_u32 s60, s51
	s_mov_b32 s42, s60
	s_cbranch_scc0 .LBB1525_10
.LBB1525_1032:                          ;   Parent Loop BB1525_12 Depth=1
                                        ; =>  This Inner Loop Header: Depth=2
	s_add_co_i32 s60, s42, 0x1100
	s_delay_alu instid0(SALU_CYCLE_1)
	s_cmp_gt_u32 s60, s51
	s_cbranch_scc1 .LBB1525_1034
; %bb.1033:                             ;   in Loop: Header=BB1525_1032 Depth=2
	v_add_nc_u64_e32 v[4:5], s[42:43], v[34:35]
	v_and_b32_e32 v8, 0xff, v8
	s_mov_b32 s17, -1
	s_clause 0xf
	global_load_u8 v3, v[4:5], off offset:416
	global_load_u8 v6, v[4:5], off offset:480
	;; [unrolled: 1-line block ×14, first 2 shown]
	global_load_u8 v147, v[4:5], off
	global_load_u8 v4, v[4:5], off offset:96
	v_and_b32_e32 v8, 0xffff, v8
	s_wait_loadcnt 0xd
	s_wait_xcnt 0x0
	v_perm_b32 v5, v7, v6, 0xc0c0004
	s_wait_loadcnt 0xc
	v_perm_b32 v3, v70, v3, 0xc0c0004
	s_wait_loadcnt 0x9
	;; [unrolled: 2-line block ×3, first 2 shown]
	v_perm_b32 v6, v140, v71, 0xc0c0004
	v_lshl_or_b32 v7, v5, 16, v3
	s_wait_loadcnt 0x5
	v_perm_b32 v138, v143, v142, 0xc0c0004
	s_wait_loadcnt 0x4
	v_perm_b32 v71, v144, v141, 0xc0c0004
	v_lshl_or_b32 v6, v70, 16, v6
	s_wait_loadcnt 0x1
	v_perm_b32 v139, v147, v145, 0xc0c0004
	s_wait_loadcnt 0x0
	v_perm_b32 v4, v146, v4, 0xc0c0004
	v_lshl_or_b32 v5, v138, 16, v71
	s_delay_alu instid0(VALU_DEP_2)
	v_lshl_or_b32 v4, v4, 16, v139
	s_movk_i32 s18, 0x1100
	s_cbranch_execz .LBB1525_1035
	s_branch .LBB1525_1053
.LBB1525_1034:                          ;   in Loop: Header=BB1525_1032 Depth=2
	s_mov_b32 s17, 0
                                        ; implicit-def: $vgpr4_vgpr5_vgpr6_vgpr7_vgpr8
	s_movk_i32 s18, 0x1100
.LBB1525_1035:                          ;   in Loop: Header=BB1525_1032 Depth=2
	v_dual_mov_b32 v5, v2 :: v_dual_mov_b32 v6, v2
	v_dual_mov_b32 v3, v2 :: v_dual_mov_b32 v4, v2
	v_add_nc_u64_e32 v[70:71], s[42:43], v[34:35]
	s_mov_b32 s17, exec_lo
	s_delay_alu instid0(VALU_DEP_3) | instskip(NEXT) | instid1(VALU_DEP_3)
	v_mov_b32_e32 v8, v6
	v_dual_mov_b32 v7, v5 :: v_dual_mov_b32 v6, v4
	v_mov_b32_e32 v5, v3
	v_mov_b32_e32 v4, v2
	v_cmpx_gt_u32_e64 s59, v102
	s_cbranch_execnz .LBB1525_1239
; %bb.1036:                             ;   in Loop: Header=BB1525_1032 Depth=2
	s_or_b32 exec_lo, exec_lo, s17
	s_delay_alu instid0(SALU_CYCLE_1)
	s_mov_b32 s17, exec_lo
	v_cmpx_gt_u32_e64 s59, v103
	s_cbranch_execnz .LBB1525_1240
.LBB1525_1037:                          ;   in Loop: Header=BB1525_1032 Depth=2
	s_or_b32 exec_lo, exec_lo, s17
	s_delay_alu instid0(SALU_CYCLE_1)
	s_mov_b32 s17, exec_lo
	v_cmpx_gt_u32_e64 s59, v104
	s_cbranch_execnz .LBB1525_1241
.LBB1525_1038:                          ;   in Loop: Header=BB1525_1032 Depth=2
	s_or_b32 exec_lo, exec_lo, s17
	s_delay_alu instid0(SALU_CYCLE_1)
	s_mov_b32 s17, exec_lo
	v_cmpx_gt_u32_e64 s59, v105
	s_cbranch_execnz .LBB1525_1242
.LBB1525_1039:                          ;   in Loop: Header=BB1525_1032 Depth=2
	s_or_b32 exec_lo, exec_lo, s17
	s_delay_alu instid0(SALU_CYCLE_1)
	s_mov_b32 s17, exec_lo
	v_cmpx_gt_u32_e64 s59, v106
	s_cbranch_execnz .LBB1525_1243
.LBB1525_1040:                          ;   in Loop: Header=BB1525_1032 Depth=2
	s_or_b32 exec_lo, exec_lo, s17
	s_delay_alu instid0(SALU_CYCLE_1)
	s_mov_b32 s17, exec_lo
	v_cmpx_gt_u32_e64 s59, v107
	s_cbranch_execnz .LBB1525_1244
.LBB1525_1041:                          ;   in Loop: Header=BB1525_1032 Depth=2
	s_or_b32 exec_lo, exec_lo, s17
	s_delay_alu instid0(SALU_CYCLE_1)
	s_mov_b32 s17, exec_lo
	v_cmpx_gt_u32_e64 s59, v108
	s_cbranch_execnz .LBB1525_1245
.LBB1525_1042:                          ;   in Loop: Header=BB1525_1032 Depth=2
	s_or_b32 exec_lo, exec_lo, s17
	s_delay_alu instid0(SALU_CYCLE_1)
	s_mov_b32 s17, exec_lo
	v_cmpx_gt_u32_e64 s59, v109
	s_cbranch_execnz .LBB1525_1246
.LBB1525_1043:                          ;   in Loop: Header=BB1525_1032 Depth=2
	s_or_b32 exec_lo, exec_lo, s17
	s_delay_alu instid0(SALU_CYCLE_1)
	s_mov_b32 s17, exec_lo
	v_cmpx_gt_u32_e64 s59, v110
	s_cbranch_execnz .LBB1525_1247
.LBB1525_1044:                          ;   in Loop: Header=BB1525_1032 Depth=2
	s_or_b32 exec_lo, exec_lo, s17
	s_delay_alu instid0(SALU_CYCLE_1)
	s_mov_b32 s17, exec_lo
	v_cmpx_gt_u32_e64 s59, v111
	s_cbranch_execnz .LBB1525_1248
.LBB1525_1045:                          ;   in Loop: Header=BB1525_1032 Depth=2
	s_or_b32 exec_lo, exec_lo, s17
	s_delay_alu instid0(SALU_CYCLE_1)
	s_mov_b32 s17, exec_lo
	v_cmpx_gt_u32_e64 s59, v112
	s_cbranch_execnz .LBB1525_1249
.LBB1525_1046:                          ;   in Loop: Header=BB1525_1032 Depth=2
	s_or_b32 exec_lo, exec_lo, s17
	s_delay_alu instid0(SALU_CYCLE_1)
	s_mov_b32 s17, exec_lo
	v_cmpx_gt_u32_e64 s59, v113
	s_cbranch_execnz .LBB1525_1250
.LBB1525_1047:                          ;   in Loop: Header=BB1525_1032 Depth=2
	s_or_b32 exec_lo, exec_lo, s17
	s_delay_alu instid0(SALU_CYCLE_1)
	s_mov_b32 s17, exec_lo
	v_cmpx_gt_u32_e64 s59, v114
	s_cbranch_execnz .LBB1525_1251
.LBB1525_1048:                          ;   in Loop: Header=BB1525_1032 Depth=2
	s_or_b32 exec_lo, exec_lo, s17
	s_delay_alu instid0(SALU_CYCLE_1)
	s_mov_b32 s17, exec_lo
	v_cmpx_gt_u32_e64 s59, v115
	s_cbranch_execnz .LBB1525_1252
.LBB1525_1049:                          ;   in Loop: Header=BB1525_1032 Depth=2
	s_or_b32 exec_lo, exec_lo, s17
	s_delay_alu instid0(SALU_CYCLE_1)
	s_mov_b32 s17, exec_lo
	v_cmpx_gt_u32_e64 s59, v116
	s_cbranch_execnz .LBB1525_1253
.LBB1525_1050:                          ;   in Loop: Header=BB1525_1032 Depth=2
	s_or_b32 exec_lo, exec_lo, s17
	s_delay_alu instid0(SALU_CYCLE_1)
	s_mov_b32 s17, exec_lo
	v_cmpx_gt_u32_e64 s59, v117
	s_cbranch_execz .LBB1525_1052
.LBB1525_1051:                          ;   in Loop: Header=BB1525_1032 Depth=2
	global_load_u8 v3, v[70:71], off offset:480
	v_and_b32_e32 v8, 0xff, v8
	s_wait_loadcnt 0x0
	v_perm_b32 v7, v7, v3, 0x60504
.LBB1525_1052:                          ;   in Loop: Header=BB1525_1032 Depth=2
	s_wait_xcnt 0x0
	s_or_b32 exec_lo, exec_lo, s17
	v_cmp_gt_u32_e64 s17, s59, v118
	s_sub_co_i32 s18, s51, s42
.LBB1525_1053:                          ;   in Loop: Header=BB1525_1032 Depth=2
	v_mov_b32_e32 v3, s59
	s_and_saveexec_b32 s19, s17
	s_cbranch_execz .LBB1525_1055
; %bb.1054:                             ;   in Loop: Header=BB1525_1032 Depth=2
	v_add_nc_u64_e32 v[70:71], s[42:43], v[34:35]
	v_mov_b32_e32 v3, s18
	global_load_u8 v8, v[70:71], off offset:512
.LBB1525_1055:                          ;   in Loop: Header=BB1525_1032 Depth=2
	s_wait_xcnt 0x0
	s_or_b32 exec_lo, exec_lo, s19
	s_wait_loadcnt 0x0
	v_and_b32_e32 v140, 1, v4
	v_lshrrev_b16 v70, 8, v7
	v_and_b32_e32 v8, 1, v8
	v_lshrrev_b16 v139, 8, v4
	v_lshrrev_b16 v71, 8, v6
	v_cmp_eq_u32_e32 vcc_lo, 1, v140
	v_and_b32_e32 v70, 1, v70
	v_lshrrev_b16 v138, 8, v5
	v_and_b32_e32 v139, 1, v139
	v_and_b32_e32 v71, 1, v71
	s_xor_b32 s17, vcc_lo, -1
	v_cmp_eq_u32_e64 s19, 1, v70
	v_cndmask_b32_e64 v70, 0, 1, s17
	v_cmp_eq_u32_e32 vcc_lo, 1, v8
	v_and_b32_e32 v138, 1, v138
	v_cmp_eq_u32_e64 s31, 1, v139
	v_cmp_eq_u32_e64 s23, 1, v71
	v_lshrrev_b32_e32 v8, s49, v70
	v_and_b32_e32 v71, 0x1000000, v7
	v_cmp_eq_u32_e64 s27, 1, v138
	v_and_b32_e32 v138, 0x10000, v7
	v_and_b32_e32 v7, 1, v7
	;; [unrolled: 1-line block ×3, first 2 shown]
	v_cmp_ne_u32_e64 s17, 0, v71
	v_and_b32_e32 v71, 0x10000, v6
	v_cmp_ne_u32_e64 s18, 0, v138
	v_cmp_eq_u32_e64 s20, 1, v7
	v_add_co_u32 v139, s21, v8, -1
	s_delay_alu instid0(VALU_DEP_1)
	v_cndmask_b32_e64 v140, 0, 1, s21
	v_and_b32_e32 v7, 0x1000000, v6
	v_and_b32_e32 v6, 1, v6
	v_cmp_ne_u32_e64 s22, 0, v71
	v_and_b32_e32 v71, 0x10000, v4
	v_cmp_ne_u32_e64 s26, 0, v140
	v_cmp_ne_u32_e64 s21, 0, v7
	v_and_b32_e32 v7, 0x1000000, v4
	v_and_b32_e32 v138, 0x1000000, v5
	v_cmp_eq_u32_e64 s24, 1, v6
	v_bitop3_b32 v4, s26, exec_lo, v139 bitop3:0x48
	v_and_b32_e32 v6, 0x10000, v5
	v_and_b32_e32 v5, 1, v5
	v_cmp_ne_u32_e64 s30, 0, v71
	v_cmp_ne_u32_e64 s25, 0, v138
	v_mbcnt_lo_u32_b32 v71, v4, 0
	v_cmp_ne_u32_e64 s34, 0, v4
	v_cmp_eq_u32_e64 s28, 1, v5
	v_mul_u32_u24_e32 v5, 36, v8
	v_cmp_ne_u32_e64 s26, 0, v6
	v_cmp_eq_u32_e64 s33, 0, v71
	v_cmp_ne_u32_e64 s29, 0, v7
	ds_store_2addr_b32 v95, v2, v2 offset0:136 offset1:137
	ds_store_2addr_b32 v95, v2, v2 offset0:138 offset1:139
	ds_store_b32 v95, v2 offset:560
	v_add_nc_u32_e32 v141, v31, v5
	s_wait_dscnt 0x0
	s_and_b32 s34, s34, s33
	s_barrier_signal -1
	s_barrier_wait -1
	; wave barrier
	s_and_saveexec_b32 s33, s34
; %bb.1056:                             ;   in Loop: Header=BB1525_1032 Depth=2
	v_bcnt_u32_b32 v4, v4, 0
	ds_store_b32 v141, v4 offset:544
; %bb.1057:                             ;   in Loop: Header=BB1525_1032 Depth=2
	s_or_b32 exec_lo, exec_lo, s33
	s_xor_b32 s31, s31, -1
	s_delay_alu instid0(SALU_CYCLE_1) | instskip(NEXT) | instid1(VALU_DEP_1)
	v_cndmask_b32_e64 v138, 0, 1, s31
	; wave barrier
	v_lshrrev_b32_e32 v4, s49, v138
	s_delay_alu instid0(VALU_DEP_1) | instskip(NEXT) | instid1(VALU_DEP_1)
	v_and_b32_e32 v5, s58, v4
	v_add_co_u32 v4, s31, v5, -1
	s_delay_alu instid0(VALU_DEP_1) | instskip(SKIP_2) | instid1(VALU_DEP_3)
	v_cndmask_b32_e64 v6, 0, 1, s31
	v_mad_u32_u24 v7, v5, 36, v31
	v_mul_u32_u24_e32 v5, 36, v5
	v_cmp_ne_u32_e64 s31, 0, v6
	ds_load_b32 v139, v7 offset:544
	v_add_nc_u32_e32 v144, v31, v5
	; wave barrier
	v_bitop3_b32 v4, s31, exec_lo, v4 bitop3:0x48
	s_delay_alu instid0(VALU_DEP_1) | instskip(SKIP_1) | instid1(VALU_DEP_2)
	v_mbcnt_lo_u32_b32 v140, v4, 0
	v_cmp_ne_u32_e64 s33, 0, v4
	v_cmp_eq_u32_e64 s31, 0, v140
	s_and_b32 s33, s33, s31
	s_delay_alu instid0(SALU_CYCLE_1)
	s_and_saveexec_b32 s31, s33
	s_cbranch_execz .LBB1525_1059
; %bb.1058:                             ;   in Loop: Header=BB1525_1032 Depth=2
	s_wait_dscnt 0x0
	v_bcnt_u32_b32 v4, v4, v139
	ds_store_b32 v144, v4 offset:544
.LBB1525_1059:                          ;   in Loop: Header=BB1525_1032 Depth=2
	s_or_b32 exec_lo, exec_lo, s31
	s_xor_b32 s30, s30, -1
	s_delay_alu instid0(SALU_CYCLE_1) | instskip(NEXT) | instid1(VALU_DEP_1)
	v_cndmask_b32_e64 v153, 0, 1, s30
	; wave barrier
	v_lshrrev_b32_e32 v4, s49, v153
	s_delay_alu instid0(VALU_DEP_1) | instskip(NEXT) | instid1(VALU_DEP_1)
	v_and_b32_e32 v5, s58, v4
	v_add_co_u32 v4, s30, v5, -1
	s_delay_alu instid0(VALU_DEP_1) | instskip(SKIP_2) | instid1(VALU_DEP_3)
	v_cndmask_b32_e64 v6, 0, 1, s30
	v_mad_u32_u24 v7, v5, 36, v31
	v_mul_u32_u24_e32 v5, 36, v5
	v_cmp_ne_u32_e64 s30, 0, v6
	ds_load_b32 v142, v7 offset:544
	v_add_nc_u32_e32 v147, v31, v5
	; wave barrier
	v_bitop3_b32 v4, s30, exec_lo, v4 bitop3:0x48
	s_delay_alu instid0(VALU_DEP_1) | instskip(SKIP_1) | instid1(VALU_DEP_2)
	v_mbcnt_lo_u32_b32 v143, v4, 0
	v_cmp_ne_u32_e64 s31, 0, v4
	v_cmp_eq_u32_e64 s30, 0, v143
	s_and_b32 s31, s31, s30
	s_delay_alu instid0(SALU_CYCLE_1)
	s_and_saveexec_b32 s30, s31
	s_cbranch_execz .LBB1525_1061
; %bb.1060:                             ;   in Loop: Header=BB1525_1032 Depth=2
	s_wait_dscnt 0x0
	v_bcnt_u32_b32 v4, v4, v142
	ds_store_b32 v147, v4 offset:544
.LBB1525_1061:                          ;   in Loop: Header=BB1525_1032 Depth=2
	;; [unrolled: 31-line block ×15, first 2 shown]
	s_or_b32 exec_lo, exec_lo, s17
	s_xor_b32 s17, vcc_lo, -1
	s_delay_alu instid0(SALU_CYCLE_1) | instskip(NEXT) | instid1(VALU_DEP_1)
	v_cndmask_b32_e64 v8, 0, 1, s17
	; wave barrier
	v_lshrrev_b32_e32 v4, s49, v8
	s_delay_alu instid0(VALU_DEP_1) | instskip(NEXT) | instid1(VALU_DEP_1)
	v_and_b32_e32 v5, s58, v4
	v_add_co_u32 v4, s17, v5, -1
	s_delay_alu instid0(VALU_DEP_1) | instskip(SKIP_2) | instid1(VALU_DEP_3)
	v_cndmask_b32_e64 v6, 0, 1, s17
	v_mad_u32_u24 v7, v5, 36, v31
	v_mul_u32_u24_e32 v5, 36, v5
	v_cmp_ne_u32_e32 vcc_lo, 0, v6
	ds_load_b32 v198, v7 offset:544
	v_add_nc_u32_e32 v201, v31, v5
	; wave barrier
	v_bitop3_b32 v4, vcc_lo, exec_lo, v4 bitop3:0x48
	s_delay_alu instid0(VALU_DEP_1) | instskip(SKIP_1) | instid1(VALU_DEP_2)
	v_mbcnt_lo_u32_b32 v199, v4, 0
	v_cmp_ne_u32_e64 s17, 0, v4
	v_cmp_eq_u32_e32 vcc_lo, 0, v199
	s_and_b32 s18, s17, vcc_lo
	s_delay_alu instid0(SALU_CYCLE_1)
	s_and_saveexec_b32 s17, s18
	s_cbranch_execz .LBB1525_1089
; %bb.1088:                             ;   in Loop: Header=BB1525_1032 Depth=2
	s_wait_dscnt 0x0
	v_bcnt_u32_b32 v4, v4, v198
	ds_store_b32 v201, v4 offset:544
.LBB1525_1089:                          ;   in Loop: Header=BB1525_1032 Depth=2
	s_or_b32 exec_lo, exec_lo, s17
	; wave barrier
	s_wait_dscnt 0x0
	s_barrier_signal -1
	s_barrier_wait -1
	ds_load_2addr_b32 v[6:7], v95 offset0:136 offset1:137
	ds_load_2addr_b32 v[4:5], v95 offset0:138 offset1:139
	ds_load_b32 v202, v95 offset:560
	s_wait_dscnt 0x1
	v_add3_u32 v203, v7, v6, v4
	s_wait_dscnt 0x0
	s_delay_alu instid0(VALU_DEP_1) | instskip(NEXT) | instid1(VALU_DEP_1)
	v_add3_u32 v202, v203, v5, v202
	v_mov_b32_dpp v203, v202 row_shr:1 row_mask:0xf bank_mask:0xf
	s_delay_alu instid0(VALU_DEP_1) | instskip(NEXT) | instid1(VALU_DEP_1)
	v_cndmask_b32_e64 v203, v203, 0, s8
	v_add_nc_u32_e32 v202, v203, v202
	s_delay_alu instid0(VALU_DEP_1) | instskip(NEXT) | instid1(VALU_DEP_1)
	v_mov_b32_dpp v203, v202 row_shr:2 row_mask:0xf bank_mask:0xf
	v_cndmask_b32_e64 v203, 0, v203, s9
	s_delay_alu instid0(VALU_DEP_1) | instskip(NEXT) | instid1(VALU_DEP_1)
	v_add_nc_u32_e32 v202, v202, v203
	v_mov_b32_dpp v203, v202 row_shr:4 row_mask:0xf bank_mask:0xf
	s_delay_alu instid0(VALU_DEP_1) | instskip(NEXT) | instid1(VALU_DEP_1)
	v_cndmask_b32_e64 v203, 0, v203, s10
	v_add_nc_u32_e32 v202, v202, v203
	s_delay_alu instid0(VALU_DEP_1) | instskip(NEXT) | instid1(VALU_DEP_1)
	v_mov_b32_dpp v203, v202 row_shr:8 row_mask:0xf bank_mask:0xf
	v_cndmask_b32_e64 v203, 0, v203, s11
	s_delay_alu instid0(VALU_DEP_1) | instskip(SKIP_3) | instid1(VALU_DEP_1)
	v_add_nc_u32_e32 v202, v202, v203
	ds_swizzle_b32 v203, v202 offset:swizzle(BROADCAST,32,15)
	s_wait_dscnt 0x0
	v_cndmask_b32_e64 v203, v203, 0, s12
	v_add_nc_u32_e32 v202, v202, v203
	s_and_saveexec_b32 s17, s2
; %bb.1090:                             ;   in Loop: Header=BB1525_1032 Depth=2
	ds_store_b32 v88, v202 offset:512
; %bb.1091:                             ;   in Loop: Header=BB1525_1032 Depth=2
	s_or_b32 exec_lo, exec_lo, s17
	s_wait_dscnt 0x0
	s_barrier_signal -1
	s_barrier_wait -1
	s_and_saveexec_b32 s17, s3
	s_cbranch_execz .LBB1525_1093
; %bb.1092:                             ;   in Loop: Header=BB1525_1032 Depth=2
	ds_load_b32 v203, v97 offset:512
	s_wait_dscnt 0x0
	v_mov_b32_dpp v204, v203 row_shr:1 row_mask:0xf bank_mask:0xf
	s_delay_alu instid0(VALU_DEP_1) | instskip(NEXT) | instid1(VALU_DEP_1)
	v_cndmask_b32_e64 v204, v204, 0, s14
	v_add_nc_u32_e32 v203, v204, v203
	s_delay_alu instid0(VALU_DEP_1) | instskip(NEXT) | instid1(VALU_DEP_1)
	v_mov_b32_dpp v204, v203 row_shr:2 row_mask:0xf bank_mask:0xf
	v_cndmask_b32_e64 v204, 0, v204, s15
	s_delay_alu instid0(VALU_DEP_1) | instskip(NEXT) | instid1(VALU_DEP_1)
	v_add_nc_u32_e32 v203, v203, v204
	v_mov_b32_dpp v204, v203 row_shr:4 row_mask:0xf bank_mask:0xf
	s_delay_alu instid0(VALU_DEP_1) | instskip(NEXT) | instid1(VALU_DEP_1)
	v_cndmask_b32_e64 v204, 0, v204, s16
	v_add_nc_u32_e32 v203, v203, v204
	ds_store_b32 v97, v203 offset:512
.LBB1525_1093:                          ;   in Loop: Header=BB1525_1032 Depth=2
	s_or_b32 exec_lo, exec_lo, s17
	v_mov_b32_e32 v203, 0
	s_wait_dscnt 0x0
	s_barrier_signal -1
	s_barrier_wait -1
	s_and_saveexec_b32 s17, s5
; %bb.1094:                             ;   in Loop: Header=BB1525_1032 Depth=2
	ds_load_b32 v203, v88 offset:508
; %bb.1095:                             ;   in Loop: Header=BB1525_1032 Depth=2
	s_or_b32 exec_lo, exec_lo, s17
	s_wait_dscnt 0x0
	v_add_nc_u32_e32 v202, v203, v202
	ds_bpermute_b32 v202, v101, v202
	s_wait_dscnt 0x0
	v_cndmask_b32_e64 v202, v202, v203, s13
	s_delay_alu instid0(VALU_DEP_1) | instskip(NEXT) | instid1(VALU_DEP_1)
	v_cndmask_b32_e64 v202, v202, 0, s6
	v_add_nc_u32_e32 v6, v202, v6
	s_delay_alu instid0(VALU_DEP_1) | instskip(NEXT) | instid1(VALU_DEP_1)
	v_add_nc_u32_e32 v7, v6, v7
	v_add_nc_u32_e32 v4, v7, v4
	s_delay_alu instid0(VALU_DEP_1)
	v_add_nc_u32_e32 v5, v4, v5
	ds_store_2addr_b32 v95, v202, v6 offset0:136 offset1:137
	ds_store_2addr_b32 v95, v7, v4 offset0:138 offset1:139
	ds_store_b32 v95, v5 offset:560
	s_wait_dscnt 0x0
	s_barrier_signal -1
	s_barrier_wait -1
	ds_load_b32 v4, v141 offset:544
	ds_load_b32 v5, v144 offset:544
	;; [unrolled: 1-line block ×17, first 2 shown]
	s_and_saveexec_b32 s17, s0
	s_cbranch_execz .LBB1525_1099
; %bb.1096:                             ;   in Loop: Header=BB1525_1032 Depth=2
	v_dual_mov_b32 v137, 0x1100 :: v_dual_add_nc_u32 v136, v97, v99
	ds_load_b32 v136, v136 offset:544
	s_and_saveexec_b32 s18, s7
; %bb.1097:                             ;   in Loop: Header=BB1525_1032 Depth=2
	ds_load_b32 v137, v98 offset:544
; %bb.1098:                             ;   in Loop: Header=BB1525_1032 Depth=2
	s_or_b32 exec_lo, exec_lo, s18
	s_wait_dscnt 0x0
	v_sub_nc_u32_e32 v137, v137, v136
.LBB1525_1099:                          ;   in Loop: Header=BB1525_1032 Depth=2
	s_or_b32 exec_lo, exec_lo, s17
	s_wait_dscnt 0x0
	s_barrier_signal -1
	s_barrier_wait -1
	s_and_saveexec_b32 s17, s0
	s_cbranch_execz .LBB1525_1101
; %bb.1100:                             ;   in Loop: Header=BB1525_1032 Depth=2
	ds_load_b32 v147, v9
	s_wait_dscnt 0x0
	v_sub_nc_u32_e32 v147, v147, v136
	ds_store_b32 v9, v147
.LBB1525_1101:                          ;   in Loop: Header=BB1525_1032 Depth=2
	s_or_b32 exec_lo, exec_lo, s17
	v_add_nc_u32_e32 v152, v4, v71
	v_add3_u32 v151, v140, v139, v5
	v_add3_u32 v150, v143, v142, v6
	;; [unrolled: 1-line block ×16, first 2 shown]
	v_cmp_lt_u32_e32 vcc_lo, v10, v3
	ds_store_b8 v152, v70 offset:512
	ds_store_b8 v151, v138 offset:512
	;; [unrolled: 1-line block ×17, first 2 shown]
	s_wait_dscnt 0x0
	s_barrier_signal -1
	s_barrier_wait -1
	s_and_saveexec_b32 s17, vcc_lo
	s_cbranch_execnz .LBB1525_1174
; %bb.1102:                             ;   in Loop: Header=BB1525_1032 Depth=2
	s_or_b32 exec_lo, exec_lo, s17
	v_cmp_lt_u32_e64 s17, v72, v3
	s_and_saveexec_b32 s18, s17
	s_cbranch_execnz .LBB1525_1175
.LBB1525_1103:                          ;   in Loop: Header=BB1525_1032 Depth=2
	s_or_b32 exec_lo, exec_lo, s18
	v_cmp_lt_u32_e64 s18, v73, v3
	s_and_saveexec_b32 s19, s18
	s_cbranch_execnz .LBB1525_1176
.LBB1525_1104:                          ;   in Loop: Header=BB1525_1032 Depth=2
	s_or_b32 exec_lo, exec_lo, s19
	v_cmp_lt_u32_e64 s19, v74, v3
	s_and_saveexec_b32 s20, s19
	s_cbranch_execnz .LBB1525_1177
.LBB1525_1105:                          ;   in Loop: Header=BB1525_1032 Depth=2
	s_or_b32 exec_lo, exec_lo, s20
	v_cmp_lt_u32_e64 s20, v75, v3
	s_and_saveexec_b32 s21, s20
	s_cbranch_execnz .LBB1525_1178
.LBB1525_1106:                          ;   in Loop: Header=BB1525_1032 Depth=2
	s_or_b32 exec_lo, exec_lo, s21
	v_cmp_lt_u32_e64 s21, v76, v3
	s_and_saveexec_b32 s22, s21
	s_cbranch_execnz .LBB1525_1179
.LBB1525_1107:                          ;   in Loop: Header=BB1525_1032 Depth=2
	s_or_b32 exec_lo, exec_lo, s22
	v_cmp_lt_u32_e64 s22, v77, v3
	s_and_saveexec_b32 s23, s22
	s_cbranch_execnz .LBB1525_1180
.LBB1525_1108:                          ;   in Loop: Header=BB1525_1032 Depth=2
	s_or_b32 exec_lo, exec_lo, s23
	v_cmp_lt_u32_e64 s23, v78, v3
	s_and_saveexec_b32 s24, s23
	s_cbranch_execnz .LBB1525_1181
.LBB1525_1109:                          ;   in Loop: Header=BB1525_1032 Depth=2
	s_or_b32 exec_lo, exec_lo, s24
	v_cmp_lt_u32_e64 s24, v79, v3
	s_and_saveexec_b32 s25, s24
	s_cbranch_execnz .LBB1525_1182
.LBB1525_1110:                          ;   in Loop: Header=BB1525_1032 Depth=2
	s_or_b32 exec_lo, exec_lo, s25
	v_cmp_lt_u32_e64 s25, v80, v3
	s_and_saveexec_b32 s26, s25
	s_cbranch_execnz .LBB1525_1183
.LBB1525_1111:                          ;   in Loop: Header=BB1525_1032 Depth=2
	s_or_b32 exec_lo, exec_lo, s26
	v_cmp_lt_u32_e64 s26, v81, v3
	s_and_saveexec_b32 s27, s26
	s_cbranch_execnz .LBB1525_1184
.LBB1525_1112:                          ;   in Loop: Header=BB1525_1032 Depth=2
	s_or_b32 exec_lo, exec_lo, s27
	v_cmp_lt_u32_e64 s27, v82, v3
	s_and_saveexec_b32 s28, s27
	s_cbranch_execnz .LBB1525_1185
.LBB1525_1113:                          ;   in Loop: Header=BB1525_1032 Depth=2
	s_or_b32 exec_lo, exec_lo, s28
	v_cmp_lt_u32_e64 s28, v83, v3
	s_and_saveexec_b32 s29, s28
	s_cbranch_execnz .LBB1525_1186
.LBB1525_1114:                          ;   in Loop: Header=BB1525_1032 Depth=2
	s_or_b32 exec_lo, exec_lo, s29
	v_cmp_lt_u32_e64 s29, v84, v3
	s_and_saveexec_b32 s30, s29
	s_cbranch_execnz .LBB1525_1187
.LBB1525_1115:                          ;   in Loop: Header=BB1525_1032 Depth=2
	s_or_b32 exec_lo, exec_lo, s30
	v_cmp_lt_u32_e64 s30, v85, v3
	s_and_saveexec_b32 s31, s30
	s_cbranch_execnz .LBB1525_1188
.LBB1525_1116:                          ;   in Loop: Header=BB1525_1032 Depth=2
	s_or_b32 exec_lo, exec_lo, s31
	v_cmp_lt_u32_e64 s31, v86, v3
	s_and_saveexec_b32 s33, s31
	s_cbranch_execnz .LBB1525_1189
.LBB1525_1117:                          ;   in Loop: Header=BB1525_1032 Depth=2
	s_or_b32 exec_lo, exec_lo, s33
	v_cmp_lt_u32_e64 s33, v87, v3
	s_and_saveexec_b32 s34, s33
	s_cbranch_execz .LBB1525_1119
.LBB1525_1118:                          ;   in Loop: Header=BB1525_1032 Depth=2
	ds_load_u8 v4, v10 offset:4608
	s_wait_dscnt 0x0
	v_and_b32_e32 v5, 1, v4
	s_delay_alu instid0(VALU_DEP_1) | instskip(NEXT) | instid1(VALU_DEP_1)
	v_dual_lshrrev_b32 v5, s49, v5 :: v_dual_bitop2_b32 v4, 1, v4 bitop3:0x14
	v_and_b32_e32 v5, s58, v5
	s_delay_alu instid0(VALU_DEP_1)
	v_lshlrev_b32_e32 v5, 2, v5
	ds_load_b32 v5, v5
	s_wait_dscnt 0x0
	v_add_nc_u32_e32 v5, v5, v87
	global_store_b8 v5, v4, s[40:41]
.LBB1525_1119:                          ;   in Loop: Header=BB1525_1032 Depth=2
	s_wait_xcnt 0x0
	s_or_b32 exec_lo, exec_lo, s34
	v_lshl_add_u64 v[4:5], s[42:43], 3, v[32:33]
	v_cmp_lt_u32_e64 s34, v102, v3
	s_and_saveexec_b32 s42, s34
	s_delay_alu instid0(SALU_CYCLE_1)
	s_xor_b32 s34, exec_lo, s42
	s_cbranch_execnz .LBB1525_1190
; %bb.1120:                             ;   in Loop: Header=BB1525_1032 Depth=2
	s_or_b32 exec_lo, exec_lo, s34
	s_delay_alu instid0(SALU_CYCLE_1)
	s_mov_b32 s42, exec_lo
	v_cmpx_lt_u32_e64 v103, v3
	s_cbranch_execnz .LBB1525_1191
.LBB1525_1121:                          ;   in Loop: Header=BB1525_1032 Depth=2
	s_or_b32 exec_lo, exec_lo, s42
	s_delay_alu instid0(SALU_CYCLE_1)
	s_mov_b32 s42, exec_lo
	v_cmpx_lt_u32_e64 v104, v3
	s_cbranch_execnz .LBB1525_1192
.LBB1525_1122:                          ;   in Loop: Header=BB1525_1032 Depth=2
	s_or_b32 exec_lo, exec_lo, s42
	s_delay_alu instid0(SALU_CYCLE_1)
	s_mov_b32 s42, exec_lo
	v_cmpx_lt_u32_e64 v105, v3
	s_cbranch_execnz .LBB1525_1193
.LBB1525_1123:                          ;   in Loop: Header=BB1525_1032 Depth=2
	s_or_b32 exec_lo, exec_lo, s42
	s_delay_alu instid0(SALU_CYCLE_1)
	s_mov_b32 s42, exec_lo
	v_cmpx_lt_u32_e64 v106, v3
	s_cbranch_execnz .LBB1525_1194
.LBB1525_1124:                          ;   in Loop: Header=BB1525_1032 Depth=2
	s_or_b32 exec_lo, exec_lo, s42
	s_delay_alu instid0(SALU_CYCLE_1)
	s_mov_b32 s42, exec_lo
	v_cmpx_lt_u32_e64 v107, v3
	s_cbranch_execnz .LBB1525_1195
.LBB1525_1125:                          ;   in Loop: Header=BB1525_1032 Depth=2
	s_or_b32 exec_lo, exec_lo, s42
	s_delay_alu instid0(SALU_CYCLE_1)
	s_mov_b32 s42, exec_lo
	v_cmpx_lt_u32_e64 v108, v3
	s_cbranch_execnz .LBB1525_1196
.LBB1525_1126:                          ;   in Loop: Header=BB1525_1032 Depth=2
	s_or_b32 exec_lo, exec_lo, s42
	s_delay_alu instid0(SALU_CYCLE_1)
	s_mov_b32 s42, exec_lo
	v_cmpx_lt_u32_e64 v109, v3
	s_cbranch_execnz .LBB1525_1197
.LBB1525_1127:                          ;   in Loop: Header=BB1525_1032 Depth=2
	s_or_b32 exec_lo, exec_lo, s42
	s_delay_alu instid0(SALU_CYCLE_1)
	s_mov_b32 s42, exec_lo
	v_cmpx_lt_u32_e64 v110, v3
	s_cbranch_execnz .LBB1525_1198
.LBB1525_1128:                          ;   in Loop: Header=BB1525_1032 Depth=2
	s_or_b32 exec_lo, exec_lo, s42
	s_delay_alu instid0(SALU_CYCLE_1)
	s_mov_b32 s42, exec_lo
	v_cmpx_lt_u32_e64 v111, v3
	s_cbranch_execnz .LBB1525_1199
.LBB1525_1129:                          ;   in Loop: Header=BB1525_1032 Depth=2
	s_or_b32 exec_lo, exec_lo, s42
	s_delay_alu instid0(SALU_CYCLE_1)
	s_mov_b32 s42, exec_lo
	v_cmpx_lt_u32_e64 v112, v3
	s_cbranch_execnz .LBB1525_1200
.LBB1525_1130:                          ;   in Loop: Header=BB1525_1032 Depth=2
	s_or_b32 exec_lo, exec_lo, s42
	s_delay_alu instid0(SALU_CYCLE_1)
	s_mov_b32 s42, exec_lo
	v_cmpx_lt_u32_e64 v113, v3
	s_cbranch_execnz .LBB1525_1201
.LBB1525_1131:                          ;   in Loop: Header=BB1525_1032 Depth=2
	s_or_b32 exec_lo, exec_lo, s42
	s_delay_alu instid0(SALU_CYCLE_1)
	s_mov_b32 s42, exec_lo
	v_cmpx_lt_u32_e64 v114, v3
	s_cbranch_execnz .LBB1525_1202
.LBB1525_1132:                          ;   in Loop: Header=BB1525_1032 Depth=2
	s_or_b32 exec_lo, exec_lo, s42
	s_delay_alu instid0(SALU_CYCLE_1)
	s_mov_b32 s42, exec_lo
	v_cmpx_lt_u32_e64 v115, v3
	s_cbranch_execnz .LBB1525_1203
.LBB1525_1133:                          ;   in Loop: Header=BB1525_1032 Depth=2
	s_or_b32 exec_lo, exec_lo, s42
	s_delay_alu instid0(SALU_CYCLE_1)
	s_mov_b32 s42, exec_lo
	v_cmpx_lt_u32_e64 v116, v3
	s_cbranch_execnz .LBB1525_1204
.LBB1525_1134:                          ;   in Loop: Header=BB1525_1032 Depth=2
	s_or_b32 exec_lo, exec_lo, s42
	s_delay_alu instid0(SALU_CYCLE_1)
	s_mov_b32 s42, exec_lo
	v_cmpx_lt_u32_e64 v117, v3
	s_cbranch_execnz .LBB1525_1205
.LBB1525_1135:                          ;   in Loop: Header=BB1525_1032 Depth=2
	s_or_b32 exec_lo, exec_lo, s42
	s_delay_alu instid0(SALU_CYCLE_1)
	s_mov_b32 s42, exec_lo
	v_cmpx_lt_u32_e64 v118, v3
	s_cbranch_execnz .LBB1525_1206
.LBB1525_1136:                          ;   in Loop: Header=BB1525_1032 Depth=2
	s_or_b32 exec_lo, exec_lo, s42
	s_and_saveexec_b32 s34, vcc_lo
	s_cbranch_execnz .LBB1525_1207
.LBB1525_1137:                          ;   in Loop: Header=BB1525_1032 Depth=2
	s_or_b32 exec_lo, exec_lo, s34
	s_and_saveexec_b32 s34, s17
	s_cbranch_execnz .LBB1525_1208
.LBB1525_1138:                          ;   in Loop: Header=BB1525_1032 Depth=2
	s_or_b32 exec_lo, exec_lo, s34
	s_and_saveexec_b32 s34, s18
	s_cbranch_execnz .LBB1525_1209
.LBB1525_1139:                          ;   in Loop: Header=BB1525_1032 Depth=2
	s_or_b32 exec_lo, exec_lo, s34
	s_and_saveexec_b32 s34, s19
	s_cbranch_execnz .LBB1525_1210
.LBB1525_1140:                          ;   in Loop: Header=BB1525_1032 Depth=2
	s_or_b32 exec_lo, exec_lo, s34
	s_and_saveexec_b32 s34, s20
	s_cbranch_execnz .LBB1525_1211
.LBB1525_1141:                          ;   in Loop: Header=BB1525_1032 Depth=2
	s_or_b32 exec_lo, exec_lo, s34
	s_and_saveexec_b32 s34, s21
	s_cbranch_execnz .LBB1525_1212
.LBB1525_1142:                          ;   in Loop: Header=BB1525_1032 Depth=2
	s_or_b32 exec_lo, exec_lo, s34
	s_and_saveexec_b32 s34, s22
	s_cbranch_execnz .LBB1525_1213
.LBB1525_1143:                          ;   in Loop: Header=BB1525_1032 Depth=2
	s_or_b32 exec_lo, exec_lo, s34
	s_and_saveexec_b32 s34, s23
	s_cbranch_execnz .LBB1525_1214
.LBB1525_1144:                          ;   in Loop: Header=BB1525_1032 Depth=2
	s_or_b32 exec_lo, exec_lo, s34
	s_and_saveexec_b32 s34, s24
	s_cbranch_execnz .LBB1525_1215
.LBB1525_1145:                          ;   in Loop: Header=BB1525_1032 Depth=2
	s_or_b32 exec_lo, exec_lo, s34
	s_and_saveexec_b32 s34, s25
	s_cbranch_execnz .LBB1525_1216
.LBB1525_1146:                          ;   in Loop: Header=BB1525_1032 Depth=2
	s_or_b32 exec_lo, exec_lo, s34
	s_and_saveexec_b32 s34, s26
	s_cbranch_execnz .LBB1525_1217
.LBB1525_1147:                          ;   in Loop: Header=BB1525_1032 Depth=2
	s_or_b32 exec_lo, exec_lo, s34
	s_and_saveexec_b32 s34, s27
	s_cbranch_execnz .LBB1525_1218
.LBB1525_1148:                          ;   in Loop: Header=BB1525_1032 Depth=2
	s_or_b32 exec_lo, exec_lo, s34
	s_and_saveexec_b32 s34, s28
	s_cbranch_execnz .LBB1525_1219
.LBB1525_1149:                          ;   in Loop: Header=BB1525_1032 Depth=2
	s_or_b32 exec_lo, exec_lo, s34
	s_and_saveexec_b32 s34, s29
	s_cbranch_execnz .LBB1525_1220
.LBB1525_1150:                          ;   in Loop: Header=BB1525_1032 Depth=2
	s_or_b32 exec_lo, exec_lo, s34
	s_and_saveexec_b32 s34, s30
	s_cbranch_execnz .LBB1525_1221
.LBB1525_1151:                          ;   in Loop: Header=BB1525_1032 Depth=2
	s_or_b32 exec_lo, exec_lo, s34
	s_and_saveexec_b32 s34, s31
	s_cbranch_execnz .LBB1525_1222
.LBB1525_1152:                          ;   in Loop: Header=BB1525_1032 Depth=2
	s_or_b32 exec_lo, exec_lo, s34
	s_and_saveexec_b32 s34, s33
	s_cbranch_execz .LBB1525_1154
.LBB1525_1153:                          ;   in Loop: Header=BB1525_1032 Depth=2
	ds_load_u8 v3, v10 offset:4608
	s_wait_dscnt 0x0
	v_lshrrev_b32_e32 v3, s49, v3
	s_delay_alu instid0(VALU_DEP_1)
	v_and_b32_e32 v119, s58, v3
.LBB1525_1154:                          ;   in Loop: Header=BB1525_1032 Depth=2
	s_or_b32 exec_lo, exec_lo, s34
	v_dual_lshlrev_b32 v3, 3, v152 :: v_dual_lshlrev_b32 v4, 3, v151
	s_wait_loadcnt 0x0
	s_wait_storecnt 0x0
	s_barrier_signal -1
	s_barrier_wait -1
	ds_store_b64 v3, v[68:69] offset:512
	ds_store_b64 v4, v[66:67] offset:512
	v_dual_lshlrev_b32 v3, 3, v150 :: v_dual_lshlrev_b32 v4, 3, v149
	v_dual_lshlrev_b32 v5, 3, v148 :: v_dual_lshlrev_b32 v70, 3, v147
	v_lshlrev_b32_e32 v138, 3, v146
	ds_store_b64 v3, v[64:65] offset:512
	ds_store_b64 v4, v[62:63] offset:512
	ds_store_b64 v5, v[60:61] offset:512
	ds_store_b64 v70, v[58:59] offset:512
	ds_store_b64 v138, v[56:57] offset:512
	v_dual_lshlrev_b32 v3, 3, v145 :: v_dual_lshlrev_b32 v4, 3, v144
	v_dual_lshlrev_b32 v5, 3, v143 :: v_dual_lshlrev_b32 v70, 3, v142
	v_lshlrev_b32_e32 v138, 3, v141
	ds_store_b64 v3, v[54:55] offset:512
	ds_store_b64 v4, v[52:53] offset:512
	ds_store_b64 v5, v[50:51] offset:512
	;; [unrolled: 8-line block ×3, first 2 shown]
	ds_store_b64 v7, v[38:39] offset:512
	ds_store_b64 v6, v[36:37] offset:512
	v_add_nc_u32_e32 v3, v10, v100
	s_wait_dscnt 0x0
	s_barrier_signal -1
	s_barrier_wait -1
	s_and_saveexec_b32 s34, vcc_lo
	s_cbranch_execnz .LBB1525_1223
; %bb.1155:                             ;   in Loop: Header=BB1525_1032 Depth=2
	s_or_b32 exec_lo, exec_lo, s34
	s_and_saveexec_b32 s34, s17
	s_cbranch_execnz .LBB1525_1224
.LBB1525_1156:                          ;   in Loop: Header=BB1525_1032 Depth=2
	s_or_b32 exec_lo, exec_lo, s34
	s_and_saveexec_b32 s17, s18
	s_cbranch_execnz .LBB1525_1225
.LBB1525_1157:                          ;   in Loop: Header=BB1525_1032 Depth=2
	s_or_b32 exec_lo, exec_lo, s17
	s_and_saveexec_b32 s17, s19
	s_cbranch_execnz .LBB1525_1226
.LBB1525_1158:                          ;   in Loop: Header=BB1525_1032 Depth=2
	s_or_b32 exec_lo, exec_lo, s17
	s_and_saveexec_b32 s17, s20
	s_cbranch_execnz .LBB1525_1227
.LBB1525_1159:                          ;   in Loop: Header=BB1525_1032 Depth=2
	s_or_b32 exec_lo, exec_lo, s17
	s_and_saveexec_b32 s17, s21
	s_cbranch_execnz .LBB1525_1228
.LBB1525_1160:                          ;   in Loop: Header=BB1525_1032 Depth=2
	s_or_b32 exec_lo, exec_lo, s17
	s_and_saveexec_b32 s17, s22
	s_cbranch_execnz .LBB1525_1229
.LBB1525_1161:                          ;   in Loop: Header=BB1525_1032 Depth=2
	s_or_b32 exec_lo, exec_lo, s17
	s_and_saveexec_b32 s17, s23
	s_cbranch_execnz .LBB1525_1230
.LBB1525_1162:                          ;   in Loop: Header=BB1525_1032 Depth=2
	s_or_b32 exec_lo, exec_lo, s17
	s_and_saveexec_b32 s17, s24
	s_cbranch_execnz .LBB1525_1231
.LBB1525_1163:                          ;   in Loop: Header=BB1525_1032 Depth=2
	s_or_b32 exec_lo, exec_lo, s17
	s_and_saveexec_b32 s17, s25
	s_cbranch_execnz .LBB1525_1232
.LBB1525_1164:                          ;   in Loop: Header=BB1525_1032 Depth=2
	s_or_b32 exec_lo, exec_lo, s17
	s_and_saveexec_b32 s17, s26
	s_cbranch_execnz .LBB1525_1233
.LBB1525_1165:                          ;   in Loop: Header=BB1525_1032 Depth=2
	s_or_b32 exec_lo, exec_lo, s17
	s_and_saveexec_b32 s17, s27
	s_cbranch_execnz .LBB1525_1234
.LBB1525_1166:                          ;   in Loop: Header=BB1525_1032 Depth=2
	s_or_b32 exec_lo, exec_lo, s17
	s_and_saveexec_b32 s17, s28
	s_cbranch_execnz .LBB1525_1235
.LBB1525_1167:                          ;   in Loop: Header=BB1525_1032 Depth=2
	s_or_b32 exec_lo, exec_lo, s17
	s_and_saveexec_b32 s17, s29
	s_cbranch_execnz .LBB1525_1236
.LBB1525_1168:                          ;   in Loop: Header=BB1525_1032 Depth=2
	s_or_b32 exec_lo, exec_lo, s17
	s_and_saveexec_b32 s17, s30
	s_cbranch_execnz .LBB1525_1237
.LBB1525_1169:                          ;   in Loop: Header=BB1525_1032 Depth=2
	s_or_b32 exec_lo, exec_lo, s17
	s_and_saveexec_b32 s17, s31
	s_cbranch_execnz .LBB1525_1238
.LBB1525_1170:                          ;   in Loop: Header=BB1525_1032 Depth=2
	s_or_b32 exec_lo, exec_lo, s17
	s_and_saveexec_b32 s17, s33
	s_cbranch_execz .LBB1525_1172
.LBB1525_1171:                          ;   in Loop: Header=BB1525_1032 Depth=2
	v_lshlrev_b32_e32 v4, 2, v119
	ds_load_b32 v6, v4
	ds_load_b64 v[4:5], v3 offset:33280
	s_wait_dscnt 0x1
	v_add_nc_u32_e32 v3, v6, v87
	s_wait_dscnt 0x0
	global_store_b64 v3, v[4:5], s[46:47] scale_offset
.LBB1525_1172:                          ;   in Loop: Header=BB1525_1032 Depth=2
	s_wait_xcnt 0x0
	s_or_b32 exec_lo, exec_lo, s17
	s_wait_storecnt 0x0
	s_barrier_signal -1
	s_barrier_wait -1
	s_and_saveexec_b32 s17, s0
	s_cbranch_execz .LBB1525_1031
; %bb.1173:                             ;   in Loop: Header=BB1525_1032 Depth=2
	ds_load_b32 v3, v9
	s_wait_dscnt 0x0
	v_add3_u32 v3, v136, v137, v3
	ds_store_b32 v9, v3
	s_branch .LBB1525_1031
.LBB1525_1174:                          ;   in Loop: Header=BB1525_1032 Depth=2
	ds_load_u8 v4, v10 offset:512
	s_wait_dscnt 0x0
	v_and_b32_e32 v5, 1, v4
	s_delay_alu instid0(VALU_DEP_1) | instskip(NEXT) | instid1(VALU_DEP_1)
	v_dual_lshrrev_b32 v5, s49, v5 :: v_dual_bitop2_b32 v4, 1, v4 bitop3:0x14
	v_and_b32_e32 v5, s58, v5
	s_delay_alu instid0(VALU_DEP_1)
	v_lshlrev_b32_e32 v5, 2, v5
	ds_load_b32 v5, v5
	s_wait_dscnt 0x0
	v_add_nc_u32_e32 v5, v5, v10
	global_store_b8 v5, v4, s[40:41]
	s_wait_xcnt 0x0
	s_or_b32 exec_lo, exec_lo, s17
	v_cmp_lt_u32_e64 s17, v72, v3
	s_and_saveexec_b32 s18, s17
	s_cbranch_execz .LBB1525_1103
.LBB1525_1175:                          ;   in Loop: Header=BB1525_1032 Depth=2
	ds_load_u8 v4, v10 offset:768
	s_wait_dscnt 0x0
	v_and_b32_e32 v5, 1, v4
	s_delay_alu instid0(VALU_DEP_1) | instskip(NEXT) | instid1(VALU_DEP_1)
	v_dual_lshrrev_b32 v5, s49, v5 :: v_dual_bitop2_b32 v4, 1, v4 bitop3:0x14
	v_and_b32_e32 v5, s58, v5
	s_delay_alu instid0(VALU_DEP_1)
	v_lshlrev_b32_e32 v5, 2, v5
	ds_load_b32 v5, v5
	s_wait_dscnt 0x0
	v_add_nc_u32_e32 v5, v5, v72
	global_store_b8 v5, v4, s[40:41]
	s_wait_xcnt 0x0
	s_or_b32 exec_lo, exec_lo, s18
	v_cmp_lt_u32_e64 s18, v73, v3
	s_and_saveexec_b32 s19, s18
	s_cbranch_execz .LBB1525_1104
.LBB1525_1176:                          ;   in Loop: Header=BB1525_1032 Depth=2
	ds_load_u8 v4, v10 offset:1024
	s_wait_dscnt 0x0
	v_and_b32_e32 v5, 1, v4
	s_delay_alu instid0(VALU_DEP_1) | instskip(NEXT) | instid1(VALU_DEP_1)
	v_dual_lshrrev_b32 v5, s49, v5 :: v_dual_bitop2_b32 v4, 1, v4 bitop3:0x14
	v_and_b32_e32 v5, s58, v5
	s_delay_alu instid0(VALU_DEP_1)
	v_lshlrev_b32_e32 v5, 2, v5
	ds_load_b32 v5, v5
	s_wait_dscnt 0x0
	v_add_nc_u32_e32 v5, v5, v73
	global_store_b8 v5, v4, s[40:41]
	s_wait_xcnt 0x0
	s_or_b32 exec_lo, exec_lo, s19
	v_cmp_lt_u32_e64 s19, v74, v3
	s_and_saveexec_b32 s20, s19
	s_cbranch_execz .LBB1525_1105
.LBB1525_1177:                          ;   in Loop: Header=BB1525_1032 Depth=2
	ds_load_u8 v4, v10 offset:1280
	s_wait_dscnt 0x0
	v_and_b32_e32 v5, 1, v4
	s_delay_alu instid0(VALU_DEP_1) | instskip(NEXT) | instid1(VALU_DEP_1)
	v_dual_lshrrev_b32 v5, s49, v5 :: v_dual_bitop2_b32 v4, 1, v4 bitop3:0x14
	v_and_b32_e32 v5, s58, v5
	s_delay_alu instid0(VALU_DEP_1)
	v_lshlrev_b32_e32 v5, 2, v5
	ds_load_b32 v5, v5
	s_wait_dscnt 0x0
	v_add_nc_u32_e32 v5, v5, v74
	global_store_b8 v5, v4, s[40:41]
	s_wait_xcnt 0x0
	s_or_b32 exec_lo, exec_lo, s20
	v_cmp_lt_u32_e64 s20, v75, v3
	s_and_saveexec_b32 s21, s20
	s_cbranch_execz .LBB1525_1106
.LBB1525_1178:                          ;   in Loop: Header=BB1525_1032 Depth=2
	ds_load_u8 v4, v10 offset:1536
	s_wait_dscnt 0x0
	v_and_b32_e32 v5, 1, v4
	s_delay_alu instid0(VALU_DEP_1) | instskip(NEXT) | instid1(VALU_DEP_1)
	v_dual_lshrrev_b32 v5, s49, v5 :: v_dual_bitop2_b32 v4, 1, v4 bitop3:0x14
	v_and_b32_e32 v5, s58, v5
	s_delay_alu instid0(VALU_DEP_1)
	v_lshlrev_b32_e32 v5, 2, v5
	ds_load_b32 v5, v5
	s_wait_dscnt 0x0
	v_add_nc_u32_e32 v5, v5, v75
	global_store_b8 v5, v4, s[40:41]
	s_wait_xcnt 0x0
	s_or_b32 exec_lo, exec_lo, s21
	v_cmp_lt_u32_e64 s21, v76, v3
	s_and_saveexec_b32 s22, s21
	s_cbranch_execz .LBB1525_1107
.LBB1525_1179:                          ;   in Loop: Header=BB1525_1032 Depth=2
	ds_load_u8 v4, v10 offset:1792
	s_wait_dscnt 0x0
	v_and_b32_e32 v5, 1, v4
	s_delay_alu instid0(VALU_DEP_1) | instskip(NEXT) | instid1(VALU_DEP_1)
	v_dual_lshrrev_b32 v5, s49, v5 :: v_dual_bitop2_b32 v4, 1, v4 bitop3:0x14
	v_and_b32_e32 v5, s58, v5
	s_delay_alu instid0(VALU_DEP_1)
	v_lshlrev_b32_e32 v5, 2, v5
	ds_load_b32 v5, v5
	s_wait_dscnt 0x0
	v_add_nc_u32_e32 v5, v5, v76
	global_store_b8 v5, v4, s[40:41]
	s_wait_xcnt 0x0
	s_or_b32 exec_lo, exec_lo, s22
	v_cmp_lt_u32_e64 s22, v77, v3
	s_and_saveexec_b32 s23, s22
	s_cbranch_execz .LBB1525_1108
.LBB1525_1180:                          ;   in Loop: Header=BB1525_1032 Depth=2
	ds_load_u8 v4, v10 offset:2048
	s_wait_dscnt 0x0
	v_and_b32_e32 v5, 1, v4
	s_delay_alu instid0(VALU_DEP_1) | instskip(NEXT) | instid1(VALU_DEP_1)
	v_dual_lshrrev_b32 v5, s49, v5 :: v_dual_bitop2_b32 v4, 1, v4 bitop3:0x14
	v_and_b32_e32 v5, s58, v5
	s_delay_alu instid0(VALU_DEP_1)
	v_lshlrev_b32_e32 v5, 2, v5
	ds_load_b32 v5, v5
	s_wait_dscnt 0x0
	v_add_nc_u32_e32 v5, v5, v77
	global_store_b8 v5, v4, s[40:41]
	s_wait_xcnt 0x0
	s_or_b32 exec_lo, exec_lo, s23
	v_cmp_lt_u32_e64 s23, v78, v3
	s_and_saveexec_b32 s24, s23
	s_cbranch_execz .LBB1525_1109
.LBB1525_1181:                          ;   in Loop: Header=BB1525_1032 Depth=2
	ds_load_u8 v4, v10 offset:2304
	s_wait_dscnt 0x0
	v_and_b32_e32 v5, 1, v4
	s_delay_alu instid0(VALU_DEP_1) | instskip(NEXT) | instid1(VALU_DEP_1)
	v_dual_lshrrev_b32 v5, s49, v5 :: v_dual_bitop2_b32 v4, 1, v4 bitop3:0x14
	v_and_b32_e32 v5, s58, v5
	s_delay_alu instid0(VALU_DEP_1)
	v_lshlrev_b32_e32 v5, 2, v5
	ds_load_b32 v5, v5
	s_wait_dscnt 0x0
	v_add_nc_u32_e32 v5, v5, v78
	global_store_b8 v5, v4, s[40:41]
	s_wait_xcnt 0x0
	s_or_b32 exec_lo, exec_lo, s24
	v_cmp_lt_u32_e64 s24, v79, v3
	s_and_saveexec_b32 s25, s24
	s_cbranch_execz .LBB1525_1110
.LBB1525_1182:                          ;   in Loop: Header=BB1525_1032 Depth=2
	ds_load_u8 v4, v10 offset:2560
	s_wait_dscnt 0x0
	v_and_b32_e32 v5, 1, v4
	s_delay_alu instid0(VALU_DEP_1) | instskip(NEXT) | instid1(VALU_DEP_1)
	v_dual_lshrrev_b32 v5, s49, v5 :: v_dual_bitop2_b32 v4, 1, v4 bitop3:0x14
	v_and_b32_e32 v5, s58, v5
	s_delay_alu instid0(VALU_DEP_1)
	v_lshlrev_b32_e32 v5, 2, v5
	ds_load_b32 v5, v5
	s_wait_dscnt 0x0
	v_add_nc_u32_e32 v5, v5, v79
	global_store_b8 v5, v4, s[40:41]
	s_wait_xcnt 0x0
	s_or_b32 exec_lo, exec_lo, s25
	v_cmp_lt_u32_e64 s25, v80, v3
	s_and_saveexec_b32 s26, s25
	s_cbranch_execz .LBB1525_1111
.LBB1525_1183:                          ;   in Loop: Header=BB1525_1032 Depth=2
	ds_load_u8 v4, v10 offset:2816
	s_wait_dscnt 0x0
	v_and_b32_e32 v5, 1, v4
	s_delay_alu instid0(VALU_DEP_1) | instskip(NEXT) | instid1(VALU_DEP_1)
	v_dual_lshrrev_b32 v5, s49, v5 :: v_dual_bitop2_b32 v4, 1, v4 bitop3:0x14
	v_and_b32_e32 v5, s58, v5
	s_delay_alu instid0(VALU_DEP_1)
	v_lshlrev_b32_e32 v5, 2, v5
	ds_load_b32 v5, v5
	s_wait_dscnt 0x0
	v_add_nc_u32_e32 v5, v5, v80
	global_store_b8 v5, v4, s[40:41]
	s_wait_xcnt 0x0
	s_or_b32 exec_lo, exec_lo, s26
	v_cmp_lt_u32_e64 s26, v81, v3
	s_and_saveexec_b32 s27, s26
	s_cbranch_execz .LBB1525_1112
.LBB1525_1184:                          ;   in Loop: Header=BB1525_1032 Depth=2
	ds_load_u8 v4, v10 offset:3072
	s_wait_dscnt 0x0
	v_and_b32_e32 v5, 1, v4
	s_delay_alu instid0(VALU_DEP_1) | instskip(NEXT) | instid1(VALU_DEP_1)
	v_dual_lshrrev_b32 v5, s49, v5 :: v_dual_bitop2_b32 v4, 1, v4 bitop3:0x14
	v_and_b32_e32 v5, s58, v5
	s_delay_alu instid0(VALU_DEP_1)
	v_lshlrev_b32_e32 v5, 2, v5
	ds_load_b32 v5, v5
	s_wait_dscnt 0x0
	v_add_nc_u32_e32 v5, v5, v81
	global_store_b8 v5, v4, s[40:41]
	s_wait_xcnt 0x0
	s_or_b32 exec_lo, exec_lo, s27
	v_cmp_lt_u32_e64 s27, v82, v3
	s_and_saveexec_b32 s28, s27
	s_cbranch_execz .LBB1525_1113
.LBB1525_1185:                          ;   in Loop: Header=BB1525_1032 Depth=2
	ds_load_u8 v4, v10 offset:3328
	s_wait_dscnt 0x0
	v_and_b32_e32 v5, 1, v4
	s_delay_alu instid0(VALU_DEP_1) | instskip(NEXT) | instid1(VALU_DEP_1)
	v_dual_lshrrev_b32 v5, s49, v5 :: v_dual_bitop2_b32 v4, 1, v4 bitop3:0x14
	v_and_b32_e32 v5, s58, v5
	s_delay_alu instid0(VALU_DEP_1)
	v_lshlrev_b32_e32 v5, 2, v5
	ds_load_b32 v5, v5
	s_wait_dscnt 0x0
	v_add_nc_u32_e32 v5, v5, v82
	global_store_b8 v5, v4, s[40:41]
	s_wait_xcnt 0x0
	s_or_b32 exec_lo, exec_lo, s28
	v_cmp_lt_u32_e64 s28, v83, v3
	s_and_saveexec_b32 s29, s28
	s_cbranch_execz .LBB1525_1114
.LBB1525_1186:                          ;   in Loop: Header=BB1525_1032 Depth=2
	ds_load_u8 v4, v10 offset:3584
	s_wait_dscnt 0x0
	v_and_b32_e32 v5, 1, v4
	s_delay_alu instid0(VALU_DEP_1) | instskip(NEXT) | instid1(VALU_DEP_1)
	v_dual_lshrrev_b32 v5, s49, v5 :: v_dual_bitop2_b32 v4, 1, v4 bitop3:0x14
	v_and_b32_e32 v5, s58, v5
	s_delay_alu instid0(VALU_DEP_1)
	v_lshlrev_b32_e32 v5, 2, v5
	ds_load_b32 v5, v5
	s_wait_dscnt 0x0
	v_add_nc_u32_e32 v5, v5, v83
	global_store_b8 v5, v4, s[40:41]
	s_wait_xcnt 0x0
	s_or_b32 exec_lo, exec_lo, s29
	v_cmp_lt_u32_e64 s29, v84, v3
	s_and_saveexec_b32 s30, s29
	s_cbranch_execz .LBB1525_1115
.LBB1525_1187:                          ;   in Loop: Header=BB1525_1032 Depth=2
	ds_load_u8 v4, v10 offset:3840
	s_wait_dscnt 0x0
	v_and_b32_e32 v5, 1, v4
	s_delay_alu instid0(VALU_DEP_1) | instskip(NEXT) | instid1(VALU_DEP_1)
	v_dual_lshrrev_b32 v5, s49, v5 :: v_dual_bitop2_b32 v4, 1, v4 bitop3:0x14
	v_and_b32_e32 v5, s58, v5
	s_delay_alu instid0(VALU_DEP_1)
	v_lshlrev_b32_e32 v5, 2, v5
	ds_load_b32 v5, v5
	s_wait_dscnt 0x0
	v_add_nc_u32_e32 v5, v5, v84
	global_store_b8 v5, v4, s[40:41]
	s_wait_xcnt 0x0
	s_or_b32 exec_lo, exec_lo, s30
	v_cmp_lt_u32_e64 s30, v85, v3
	s_and_saveexec_b32 s31, s30
	s_cbranch_execz .LBB1525_1116
.LBB1525_1188:                          ;   in Loop: Header=BB1525_1032 Depth=2
	ds_load_u8 v4, v10 offset:4096
	s_wait_dscnt 0x0
	v_and_b32_e32 v5, 1, v4
	s_delay_alu instid0(VALU_DEP_1) | instskip(NEXT) | instid1(VALU_DEP_1)
	v_dual_lshrrev_b32 v5, s49, v5 :: v_dual_bitop2_b32 v4, 1, v4 bitop3:0x14
	v_and_b32_e32 v5, s58, v5
	s_delay_alu instid0(VALU_DEP_1)
	v_lshlrev_b32_e32 v5, 2, v5
	ds_load_b32 v5, v5
	s_wait_dscnt 0x0
	v_add_nc_u32_e32 v5, v5, v85
	global_store_b8 v5, v4, s[40:41]
	s_wait_xcnt 0x0
	s_or_b32 exec_lo, exec_lo, s31
	v_cmp_lt_u32_e64 s31, v86, v3
	s_and_saveexec_b32 s33, s31
	s_cbranch_execz .LBB1525_1117
.LBB1525_1189:                          ;   in Loop: Header=BB1525_1032 Depth=2
	ds_load_u8 v4, v10 offset:4352
	s_wait_dscnt 0x0
	v_and_b32_e32 v5, 1, v4
	s_delay_alu instid0(VALU_DEP_1) | instskip(NEXT) | instid1(VALU_DEP_1)
	v_dual_lshrrev_b32 v5, s49, v5 :: v_dual_bitop2_b32 v4, 1, v4 bitop3:0x14
	v_and_b32_e32 v5, s58, v5
	s_delay_alu instid0(VALU_DEP_1)
	v_lshlrev_b32_e32 v5, 2, v5
	ds_load_b32 v5, v5
	s_wait_dscnt 0x0
	v_add_nc_u32_e32 v5, v5, v86
	global_store_b8 v5, v4, s[40:41]
	s_wait_xcnt 0x0
	s_or_b32 exec_lo, exec_lo, s33
	v_cmp_lt_u32_e64 s33, v87, v3
	s_and_saveexec_b32 s34, s33
	s_cbranch_execnz .LBB1525_1118
	s_branch .LBB1525_1119
.LBB1525_1190:                          ;   in Loop: Header=BB1525_1032 Depth=2
	global_load_b64 v[68:69], v[4:5], off
	s_wait_xcnt 0x0
	s_or_b32 exec_lo, exec_lo, s34
	s_delay_alu instid0(SALU_CYCLE_1)
	s_mov_b32 s42, exec_lo
	v_cmpx_lt_u32_e64 v103, v3
	s_cbranch_execz .LBB1525_1121
.LBB1525_1191:                          ;   in Loop: Header=BB1525_1032 Depth=2
	global_load_b64 v[66:67], v[4:5], off offset:256
	s_wait_xcnt 0x0
	s_or_b32 exec_lo, exec_lo, s42
	s_delay_alu instid0(SALU_CYCLE_1)
	s_mov_b32 s42, exec_lo
	v_cmpx_lt_u32_e64 v104, v3
	s_cbranch_execz .LBB1525_1122
.LBB1525_1192:                          ;   in Loop: Header=BB1525_1032 Depth=2
	global_load_b64 v[64:65], v[4:5], off offset:512
	s_wait_xcnt 0x0
	s_or_b32 exec_lo, exec_lo, s42
	s_delay_alu instid0(SALU_CYCLE_1)
	s_mov_b32 s42, exec_lo
	v_cmpx_lt_u32_e64 v105, v3
	s_cbranch_execz .LBB1525_1123
.LBB1525_1193:                          ;   in Loop: Header=BB1525_1032 Depth=2
	global_load_b64 v[62:63], v[4:5], off offset:768
	s_wait_xcnt 0x0
	s_or_b32 exec_lo, exec_lo, s42
	s_delay_alu instid0(SALU_CYCLE_1)
	s_mov_b32 s42, exec_lo
	v_cmpx_lt_u32_e64 v106, v3
	s_cbranch_execz .LBB1525_1124
.LBB1525_1194:                          ;   in Loop: Header=BB1525_1032 Depth=2
	global_load_b64 v[60:61], v[4:5], off offset:1024
	s_wait_xcnt 0x0
	s_or_b32 exec_lo, exec_lo, s42
	s_delay_alu instid0(SALU_CYCLE_1)
	s_mov_b32 s42, exec_lo
	v_cmpx_lt_u32_e64 v107, v3
	s_cbranch_execz .LBB1525_1125
.LBB1525_1195:                          ;   in Loop: Header=BB1525_1032 Depth=2
	global_load_b64 v[58:59], v[4:5], off offset:1280
	s_wait_xcnt 0x0
	s_or_b32 exec_lo, exec_lo, s42
	s_delay_alu instid0(SALU_CYCLE_1)
	s_mov_b32 s42, exec_lo
	v_cmpx_lt_u32_e64 v108, v3
	s_cbranch_execz .LBB1525_1126
.LBB1525_1196:                          ;   in Loop: Header=BB1525_1032 Depth=2
	global_load_b64 v[56:57], v[4:5], off offset:1536
	s_wait_xcnt 0x0
	s_or_b32 exec_lo, exec_lo, s42
	s_delay_alu instid0(SALU_CYCLE_1)
	s_mov_b32 s42, exec_lo
	v_cmpx_lt_u32_e64 v109, v3
	s_cbranch_execz .LBB1525_1127
.LBB1525_1197:                          ;   in Loop: Header=BB1525_1032 Depth=2
	global_load_b64 v[54:55], v[4:5], off offset:1792
	s_wait_xcnt 0x0
	s_or_b32 exec_lo, exec_lo, s42
	s_delay_alu instid0(SALU_CYCLE_1)
	s_mov_b32 s42, exec_lo
	v_cmpx_lt_u32_e64 v110, v3
	s_cbranch_execz .LBB1525_1128
.LBB1525_1198:                          ;   in Loop: Header=BB1525_1032 Depth=2
	global_load_b64 v[52:53], v[4:5], off offset:2048
	s_wait_xcnt 0x0
	s_or_b32 exec_lo, exec_lo, s42
	s_delay_alu instid0(SALU_CYCLE_1)
	s_mov_b32 s42, exec_lo
	v_cmpx_lt_u32_e64 v111, v3
	s_cbranch_execz .LBB1525_1129
.LBB1525_1199:                          ;   in Loop: Header=BB1525_1032 Depth=2
	global_load_b64 v[50:51], v[4:5], off offset:2304
	s_wait_xcnt 0x0
	s_or_b32 exec_lo, exec_lo, s42
	s_delay_alu instid0(SALU_CYCLE_1)
	s_mov_b32 s42, exec_lo
	v_cmpx_lt_u32_e64 v112, v3
	s_cbranch_execz .LBB1525_1130
.LBB1525_1200:                          ;   in Loop: Header=BB1525_1032 Depth=2
	global_load_b64 v[48:49], v[4:5], off offset:2560
	s_wait_xcnt 0x0
	s_or_b32 exec_lo, exec_lo, s42
	s_delay_alu instid0(SALU_CYCLE_1)
	s_mov_b32 s42, exec_lo
	v_cmpx_lt_u32_e64 v113, v3
	s_cbranch_execz .LBB1525_1131
.LBB1525_1201:                          ;   in Loop: Header=BB1525_1032 Depth=2
	global_load_b64 v[46:47], v[4:5], off offset:2816
	s_wait_xcnt 0x0
	s_or_b32 exec_lo, exec_lo, s42
	s_delay_alu instid0(SALU_CYCLE_1)
	s_mov_b32 s42, exec_lo
	v_cmpx_lt_u32_e64 v114, v3
	s_cbranch_execz .LBB1525_1132
.LBB1525_1202:                          ;   in Loop: Header=BB1525_1032 Depth=2
	global_load_b64 v[44:45], v[4:5], off offset:3072
	s_wait_xcnt 0x0
	s_or_b32 exec_lo, exec_lo, s42
	s_delay_alu instid0(SALU_CYCLE_1)
	s_mov_b32 s42, exec_lo
	v_cmpx_lt_u32_e64 v115, v3
	s_cbranch_execz .LBB1525_1133
.LBB1525_1203:                          ;   in Loop: Header=BB1525_1032 Depth=2
	global_load_b64 v[42:43], v[4:5], off offset:3328
	s_wait_xcnt 0x0
	s_or_b32 exec_lo, exec_lo, s42
	s_delay_alu instid0(SALU_CYCLE_1)
	s_mov_b32 s42, exec_lo
	v_cmpx_lt_u32_e64 v116, v3
	s_cbranch_execz .LBB1525_1134
.LBB1525_1204:                          ;   in Loop: Header=BB1525_1032 Depth=2
	global_load_b64 v[40:41], v[4:5], off offset:3584
	s_wait_xcnt 0x0
	s_or_b32 exec_lo, exec_lo, s42
	s_delay_alu instid0(SALU_CYCLE_1)
	s_mov_b32 s42, exec_lo
	v_cmpx_lt_u32_e64 v117, v3
	s_cbranch_execz .LBB1525_1135
.LBB1525_1205:                          ;   in Loop: Header=BB1525_1032 Depth=2
	global_load_b64 v[38:39], v[4:5], off offset:3840
	s_wait_xcnt 0x0
	s_or_b32 exec_lo, exec_lo, s42
	s_delay_alu instid0(SALU_CYCLE_1)
	s_mov_b32 s42, exec_lo
	v_cmpx_lt_u32_e64 v118, v3
	s_cbranch_execz .LBB1525_1136
.LBB1525_1206:                          ;   in Loop: Header=BB1525_1032 Depth=2
	global_load_b64 v[36:37], v[4:5], off offset:4096
	s_wait_xcnt 0x0
	s_or_b32 exec_lo, exec_lo, s42
	s_and_saveexec_b32 s34, vcc_lo
	s_cbranch_execz .LBB1525_1137
.LBB1525_1207:                          ;   in Loop: Header=BB1525_1032 Depth=2
	ds_load_u8 v3, v10 offset:512
	s_wait_dscnt 0x0
	v_lshrrev_b32_e32 v3, s49, v3
	s_delay_alu instid0(VALU_DEP_1)
	v_and_b32_e32 v135, s58, v3
	s_or_b32 exec_lo, exec_lo, s34
	s_and_saveexec_b32 s34, s17
	s_cbranch_execz .LBB1525_1138
.LBB1525_1208:                          ;   in Loop: Header=BB1525_1032 Depth=2
	ds_load_u8 v3, v10 offset:768
	s_wait_dscnt 0x0
	v_lshrrev_b32_e32 v3, s49, v3
	s_delay_alu instid0(VALU_DEP_1)
	v_and_b32_e32 v134, s58, v3
	s_or_b32 exec_lo, exec_lo, s34
	s_and_saveexec_b32 s34, s18
	s_cbranch_execz .LBB1525_1139
.LBB1525_1209:                          ;   in Loop: Header=BB1525_1032 Depth=2
	ds_load_u8 v3, v10 offset:1024
	s_wait_dscnt 0x0
	v_lshrrev_b32_e32 v3, s49, v3
	s_delay_alu instid0(VALU_DEP_1)
	v_and_b32_e32 v133, s58, v3
	s_or_b32 exec_lo, exec_lo, s34
	s_and_saveexec_b32 s34, s19
	s_cbranch_execz .LBB1525_1140
.LBB1525_1210:                          ;   in Loop: Header=BB1525_1032 Depth=2
	ds_load_u8 v3, v10 offset:1280
	s_wait_dscnt 0x0
	v_lshrrev_b32_e32 v3, s49, v3
	s_delay_alu instid0(VALU_DEP_1)
	v_and_b32_e32 v132, s58, v3
	s_or_b32 exec_lo, exec_lo, s34
	s_and_saveexec_b32 s34, s20
	s_cbranch_execz .LBB1525_1141
.LBB1525_1211:                          ;   in Loop: Header=BB1525_1032 Depth=2
	ds_load_u8 v3, v10 offset:1536
	s_wait_dscnt 0x0
	v_lshrrev_b32_e32 v3, s49, v3
	s_delay_alu instid0(VALU_DEP_1)
	v_and_b32_e32 v131, s58, v3
	s_or_b32 exec_lo, exec_lo, s34
	s_and_saveexec_b32 s34, s21
	s_cbranch_execz .LBB1525_1142
.LBB1525_1212:                          ;   in Loop: Header=BB1525_1032 Depth=2
	ds_load_u8 v3, v10 offset:1792
	s_wait_dscnt 0x0
	v_lshrrev_b32_e32 v3, s49, v3
	s_delay_alu instid0(VALU_DEP_1)
	v_and_b32_e32 v130, s58, v3
	s_or_b32 exec_lo, exec_lo, s34
	s_and_saveexec_b32 s34, s22
	s_cbranch_execz .LBB1525_1143
.LBB1525_1213:                          ;   in Loop: Header=BB1525_1032 Depth=2
	ds_load_u8 v3, v10 offset:2048
	s_wait_dscnt 0x0
	v_lshrrev_b32_e32 v3, s49, v3
	s_delay_alu instid0(VALU_DEP_1)
	v_and_b32_e32 v129, s58, v3
	s_or_b32 exec_lo, exec_lo, s34
	s_and_saveexec_b32 s34, s23
	s_cbranch_execz .LBB1525_1144
.LBB1525_1214:                          ;   in Loop: Header=BB1525_1032 Depth=2
	ds_load_u8 v3, v10 offset:2304
	s_wait_dscnt 0x0
	v_lshrrev_b32_e32 v3, s49, v3
	s_delay_alu instid0(VALU_DEP_1)
	v_and_b32_e32 v128, s58, v3
	s_or_b32 exec_lo, exec_lo, s34
	s_and_saveexec_b32 s34, s24
	s_cbranch_execz .LBB1525_1145
.LBB1525_1215:                          ;   in Loop: Header=BB1525_1032 Depth=2
	ds_load_u8 v3, v10 offset:2560
	s_wait_dscnt 0x0
	v_lshrrev_b32_e32 v3, s49, v3
	s_delay_alu instid0(VALU_DEP_1)
	v_and_b32_e32 v127, s58, v3
	s_or_b32 exec_lo, exec_lo, s34
	s_and_saveexec_b32 s34, s25
	s_cbranch_execz .LBB1525_1146
.LBB1525_1216:                          ;   in Loop: Header=BB1525_1032 Depth=2
	ds_load_u8 v3, v10 offset:2816
	s_wait_dscnt 0x0
	v_lshrrev_b32_e32 v3, s49, v3
	s_delay_alu instid0(VALU_DEP_1)
	v_and_b32_e32 v126, s58, v3
	s_or_b32 exec_lo, exec_lo, s34
	s_and_saveexec_b32 s34, s26
	s_cbranch_execz .LBB1525_1147
.LBB1525_1217:                          ;   in Loop: Header=BB1525_1032 Depth=2
	ds_load_u8 v3, v10 offset:3072
	s_wait_dscnt 0x0
	v_lshrrev_b32_e32 v3, s49, v3
	s_delay_alu instid0(VALU_DEP_1)
	v_and_b32_e32 v125, s58, v3
	s_or_b32 exec_lo, exec_lo, s34
	s_and_saveexec_b32 s34, s27
	s_cbranch_execz .LBB1525_1148
.LBB1525_1218:                          ;   in Loop: Header=BB1525_1032 Depth=2
	ds_load_u8 v3, v10 offset:3328
	s_wait_dscnt 0x0
	v_lshrrev_b32_e32 v3, s49, v3
	s_delay_alu instid0(VALU_DEP_1)
	v_and_b32_e32 v124, s58, v3
	s_or_b32 exec_lo, exec_lo, s34
	s_and_saveexec_b32 s34, s28
	s_cbranch_execz .LBB1525_1149
.LBB1525_1219:                          ;   in Loop: Header=BB1525_1032 Depth=2
	ds_load_u8 v3, v10 offset:3584
	s_wait_dscnt 0x0
	v_lshrrev_b32_e32 v3, s49, v3
	s_delay_alu instid0(VALU_DEP_1)
	v_and_b32_e32 v123, s58, v3
	s_or_b32 exec_lo, exec_lo, s34
	s_and_saveexec_b32 s34, s29
	s_cbranch_execz .LBB1525_1150
.LBB1525_1220:                          ;   in Loop: Header=BB1525_1032 Depth=2
	ds_load_u8 v3, v10 offset:3840
	s_wait_dscnt 0x0
	v_lshrrev_b32_e32 v3, s49, v3
	s_delay_alu instid0(VALU_DEP_1)
	v_and_b32_e32 v122, s58, v3
	s_or_b32 exec_lo, exec_lo, s34
	s_and_saveexec_b32 s34, s30
	s_cbranch_execz .LBB1525_1151
.LBB1525_1221:                          ;   in Loop: Header=BB1525_1032 Depth=2
	ds_load_u8 v3, v10 offset:4096
	s_wait_dscnt 0x0
	v_lshrrev_b32_e32 v3, s49, v3
	s_delay_alu instid0(VALU_DEP_1)
	v_and_b32_e32 v121, s58, v3
	s_or_b32 exec_lo, exec_lo, s34
	s_and_saveexec_b32 s34, s31
	s_cbranch_execz .LBB1525_1152
.LBB1525_1222:                          ;   in Loop: Header=BB1525_1032 Depth=2
	ds_load_u8 v3, v10 offset:4352
	s_wait_dscnt 0x0
	v_lshrrev_b32_e32 v3, s49, v3
	s_delay_alu instid0(VALU_DEP_1)
	v_and_b32_e32 v120, s58, v3
	s_or_b32 exec_lo, exec_lo, s34
	s_and_saveexec_b32 s34, s33
	s_cbranch_execnz .LBB1525_1153
	s_branch .LBB1525_1154
.LBB1525_1223:                          ;   in Loop: Header=BB1525_1032 Depth=2
	v_lshlrev_b32_e32 v4, 2, v135
	ds_load_b32 v6, v4
	ds_load_b64 v[4:5], v3 offset:512
	s_wait_dscnt 0x1
	v_add_nc_u32_e32 v6, v6, v10
	s_wait_dscnt 0x0
	global_store_b64 v6, v[4:5], s[46:47] scale_offset
	s_wait_xcnt 0x0
	s_or_b32 exec_lo, exec_lo, s34
	s_and_saveexec_b32 s34, s17
	s_cbranch_execz .LBB1525_1156
.LBB1525_1224:                          ;   in Loop: Header=BB1525_1032 Depth=2
	v_lshlrev_b32_e32 v4, 2, v134
	ds_load_b32 v6, v4
	ds_load_b64 v[4:5], v3 offset:2560
	s_wait_dscnt 0x1
	v_add_nc_u32_e32 v6, v6, v72
	s_wait_dscnt 0x0
	global_store_b64 v6, v[4:5], s[46:47] scale_offset
	s_wait_xcnt 0x0
	s_or_b32 exec_lo, exec_lo, s34
	s_and_saveexec_b32 s17, s18
	s_cbranch_execz .LBB1525_1157
.LBB1525_1225:                          ;   in Loop: Header=BB1525_1032 Depth=2
	v_lshlrev_b32_e32 v4, 2, v133
	ds_load_b32 v6, v4
	ds_load_b64 v[4:5], v3 offset:4608
	s_wait_dscnt 0x1
	v_add_nc_u32_e32 v6, v6, v73
	s_wait_dscnt 0x0
	global_store_b64 v6, v[4:5], s[46:47] scale_offset
	s_wait_xcnt 0x0
	s_or_b32 exec_lo, exec_lo, s17
	s_and_saveexec_b32 s17, s19
	s_cbranch_execz .LBB1525_1158
.LBB1525_1226:                          ;   in Loop: Header=BB1525_1032 Depth=2
	v_lshlrev_b32_e32 v4, 2, v132
	ds_load_b32 v6, v4
	ds_load_b64 v[4:5], v3 offset:6656
	s_wait_dscnt 0x1
	v_add_nc_u32_e32 v6, v6, v74
	s_wait_dscnt 0x0
	global_store_b64 v6, v[4:5], s[46:47] scale_offset
	s_wait_xcnt 0x0
	s_or_b32 exec_lo, exec_lo, s17
	s_and_saveexec_b32 s17, s20
	s_cbranch_execz .LBB1525_1159
.LBB1525_1227:                          ;   in Loop: Header=BB1525_1032 Depth=2
	v_lshlrev_b32_e32 v4, 2, v131
	ds_load_b32 v6, v4
	ds_load_b64 v[4:5], v3 offset:8704
	s_wait_dscnt 0x1
	v_add_nc_u32_e32 v6, v6, v75
	s_wait_dscnt 0x0
	global_store_b64 v6, v[4:5], s[46:47] scale_offset
	s_wait_xcnt 0x0
	s_or_b32 exec_lo, exec_lo, s17
	s_and_saveexec_b32 s17, s21
	s_cbranch_execz .LBB1525_1160
.LBB1525_1228:                          ;   in Loop: Header=BB1525_1032 Depth=2
	v_lshlrev_b32_e32 v4, 2, v130
	ds_load_b32 v6, v4
	ds_load_b64 v[4:5], v3 offset:10752
	s_wait_dscnt 0x1
	v_add_nc_u32_e32 v6, v6, v76
	s_wait_dscnt 0x0
	global_store_b64 v6, v[4:5], s[46:47] scale_offset
	s_wait_xcnt 0x0
	s_or_b32 exec_lo, exec_lo, s17
	s_and_saveexec_b32 s17, s22
	s_cbranch_execz .LBB1525_1161
.LBB1525_1229:                          ;   in Loop: Header=BB1525_1032 Depth=2
	v_lshlrev_b32_e32 v4, 2, v129
	ds_load_b32 v6, v4
	ds_load_b64 v[4:5], v3 offset:12800
	s_wait_dscnt 0x1
	v_add_nc_u32_e32 v6, v6, v77
	s_wait_dscnt 0x0
	global_store_b64 v6, v[4:5], s[46:47] scale_offset
	s_wait_xcnt 0x0
	s_or_b32 exec_lo, exec_lo, s17
	s_and_saveexec_b32 s17, s23
	s_cbranch_execz .LBB1525_1162
.LBB1525_1230:                          ;   in Loop: Header=BB1525_1032 Depth=2
	v_lshlrev_b32_e32 v4, 2, v128
	ds_load_b32 v6, v4
	ds_load_b64 v[4:5], v3 offset:14848
	s_wait_dscnt 0x1
	v_add_nc_u32_e32 v6, v6, v78
	s_wait_dscnt 0x0
	global_store_b64 v6, v[4:5], s[46:47] scale_offset
	s_wait_xcnt 0x0
	s_or_b32 exec_lo, exec_lo, s17
	s_and_saveexec_b32 s17, s24
	s_cbranch_execz .LBB1525_1163
.LBB1525_1231:                          ;   in Loop: Header=BB1525_1032 Depth=2
	v_lshlrev_b32_e32 v4, 2, v127
	ds_load_b32 v6, v4
	ds_load_b64 v[4:5], v3 offset:16896
	s_wait_dscnt 0x1
	v_add_nc_u32_e32 v6, v6, v79
	s_wait_dscnt 0x0
	global_store_b64 v6, v[4:5], s[46:47] scale_offset
	s_wait_xcnt 0x0
	s_or_b32 exec_lo, exec_lo, s17
	s_and_saveexec_b32 s17, s25
	s_cbranch_execz .LBB1525_1164
.LBB1525_1232:                          ;   in Loop: Header=BB1525_1032 Depth=2
	v_lshlrev_b32_e32 v4, 2, v126
	ds_load_b32 v6, v4
	ds_load_b64 v[4:5], v3 offset:18944
	s_wait_dscnt 0x1
	v_add_nc_u32_e32 v6, v6, v80
	s_wait_dscnt 0x0
	global_store_b64 v6, v[4:5], s[46:47] scale_offset
	s_wait_xcnt 0x0
	s_or_b32 exec_lo, exec_lo, s17
	s_and_saveexec_b32 s17, s26
	s_cbranch_execz .LBB1525_1165
.LBB1525_1233:                          ;   in Loop: Header=BB1525_1032 Depth=2
	v_lshlrev_b32_e32 v4, 2, v125
	ds_load_b32 v6, v4
	ds_load_b64 v[4:5], v3 offset:20992
	s_wait_dscnt 0x1
	v_add_nc_u32_e32 v6, v6, v81
	s_wait_dscnt 0x0
	global_store_b64 v6, v[4:5], s[46:47] scale_offset
	s_wait_xcnt 0x0
	s_or_b32 exec_lo, exec_lo, s17
	s_and_saveexec_b32 s17, s27
	s_cbranch_execz .LBB1525_1166
.LBB1525_1234:                          ;   in Loop: Header=BB1525_1032 Depth=2
	v_lshlrev_b32_e32 v4, 2, v124
	ds_load_b32 v6, v4
	ds_load_b64 v[4:5], v3 offset:23040
	s_wait_dscnt 0x1
	v_add_nc_u32_e32 v6, v6, v82
	s_wait_dscnt 0x0
	global_store_b64 v6, v[4:5], s[46:47] scale_offset
	s_wait_xcnt 0x0
	s_or_b32 exec_lo, exec_lo, s17
	s_and_saveexec_b32 s17, s28
	s_cbranch_execz .LBB1525_1167
.LBB1525_1235:                          ;   in Loop: Header=BB1525_1032 Depth=2
	v_lshlrev_b32_e32 v4, 2, v123
	ds_load_b32 v6, v4
	ds_load_b64 v[4:5], v3 offset:25088
	s_wait_dscnt 0x1
	v_add_nc_u32_e32 v6, v6, v83
	s_wait_dscnt 0x0
	global_store_b64 v6, v[4:5], s[46:47] scale_offset
	s_wait_xcnt 0x0
	s_or_b32 exec_lo, exec_lo, s17
	s_and_saveexec_b32 s17, s29
	s_cbranch_execz .LBB1525_1168
.LBB1525_1236:                          ;   in Loop: Header=BB1525_1032 Depth=2
	v_lshlrev_b32_e32 v4, 2, v122
	ds_load_b32 v6, v4
	ds_load_b64 v[4:5], v3 offset:27136
	s_wait_dscnt 0x1
	v_add_nc_u32_e32 v6, v6, v84
	s_wait_dscnt 0x0
	global_store_b64 v6, v[4:5], s[46:47] scale_offset
	s_wait_xcnt 0x0
	s_or_b32 exec_lo, exec_lo, s17
	s_and_saveexec_b32 s17, s30
	s_cbranch_execz .LBB1525_1169
.LBB1525_1237:                          ;   in Loop: Header=BB1525_1032 Depth=2
	v_lshlrev_b32_e32 v4, 2, v121
	ds_load_b32 v6, v4
	ds_load_b64 v[4:5], v3 offset:29184
	s_wait_dscnt 0x1
	v_add_nc_u32_e32 v6, v6, v85
	s_wait_dscnt 0x0
	global_store_b64 v6, v[4:5], s[46:47] scale_offset
	s_wait_xcnt 0x0
	s_or_b32 exec_lo, exec_lo, s17
	s_and_saveexec_b32 s17, s31
	s_cbranch_execz .LBB1525_1170
.LBB1525_1238:                          ;   in Loop: Header=BB1525_1032 Depth=2
	v_lshlrev_b32_e32 v4, 2, v120
	ds_load_b32 v6, v4
	ds_load_b64 v[4:5], v3 offset:31232
	s_wait_dscnt 0x1
	v_add_nc_u32_e32 v6, v6, v86
	s_wait_dscnt 0x0
	global_store_b64 v6, v[4:5], s[46:47] scale_offset
	s_wait_xcnt 0x0
	s_or_b32 exec_lo, exec_lo, s17
	s_and_saveexec_b32 s17, s33
	s_cbranch_execnz .LBB1525_1171
	s_branch .LBB1525_1172
.LBB1525_1239:                          ;   in Loop: Header=BB1525_1032 Depth=2
	global_load_u8 v4, v[70:71], off
	v_dual_mov_b32 v5, v2 :: v_dual_mov_b32 v6, v2
	v_dual_mov_b32 v7, v2 :: v_dual_mov_b32 v8, v2
	s_wait_xcnt 0x0
	s_or_b32 exec_lo, exec_lo, s17
	s_delay_alu instid0(SALU_CYCLE_1)
	s_mov_b32 s17, exec_lo
	v_cmpx_gt_u32_e64 s59, v103
	s_cbranch_execz .LBB1525_1037
.LBB1525_1240:                          ;   in Loop: Header=BB1525_1032 Depth=2
	global_load_u8 v3, v[70:71], off offset:32
	v_and_b32_e32 v8, 0xff, v8
	s_wait_loadcnt 0x0
	v_perm_b32 v4, v4, v3, 0x7060004
	s_wait_xcnt 0x0
	s_or_b32 exec_lo, exec_lo, s17
	s_delay_alu instid0(SALU_CYCLE_1)
	s_mov_b32 s17, exec_lo
	v_cmpx_gt_u32_e64 s59, v104
	s_cbranch_execz .LBB1525_1038
.LBB1525_1241:                          ;   in Loop: Header=BB1525_1032 Depth=2
	global_load_u8 v3, v[70:71], off offset:64
	v_and_b32_e32 v8, 0xff, v8
	s_wait_loadcnt 0x0
	v_perm_b32 v4, v4, v3, 0x7000504
	s_wait_xcnt 0x0
	s_or_b32 exec_lo, exec_lo, s17
	s_delay_alu instid0(SALU_CYCLE_1)
	s_mov_b32 s17, exec_lo
	v_cmpx_gt_u32_e64 s59, v105
	s_cbranch_execz .LBB1525_1039
.LBB1525_1242:                          ;   in Loop: Header=BB1525_1032 Depth=2
	global_load_u8 v3, v[70:71], off offset:96
	v_and_b32_e32 v8, 0xff, v8
	s_wait_loadcnt 0x0
	v_perm_b32 v4, v4, v3, 0x60504
	s_wait_xcnt 0x0
	s_or_b32 exec_lo, exec_lo, s17
	s_delay_alu instid0(SALU_CYCLE_1)
	s_mov_b32 s17, exec_lo
	v_cmpx_gt_u32_e64 s59, v106
	s_cbranch_execz .LBB1525_1040
.LBB1525_1243:                          ;   in Loop: Header=BB1525_1032 Depth=2
	global_load_u8 v3, v[70:71], off offset:128
	v_and_b32_e32 v8, 0xff, v8
	s_wait_loadcnt 0x0
	v_perm_b32 v5, v3, v5, 0x3020104
	s_wait_xcnt 0x0
	s_or_b32 exec_lo, exec_lo, s17
	s_delay_alu instid0(SALU_CYCLE_1)
	s_mov_b32 s17, exec_lo
	v_cmpx_gt_u32_e64 s59, v107
	s_cbranch_execz .LBB1525_1041
.LBB1525_1244:                          ;   in Loop: Header=BB1525_1032 Depth=2
	global_load_u8 v3, v[70:71], off offset:160
	v_and_b32_e32 v8, 0xff, v8
	s_wait_loadcnt 0x0
	v_perm_b32 v5, v5, v3, 0x7060004
	s_wait_xcnt 0x0
	s_or_b32 exec_lo, exec_lo, s17
	s_delay_alu instid0(SALU_CYCLE_1)
	s_mov_b32 s17, exec_lo
	v_cmpx_gt_u32_e64 s59, v108
	s_cbranch_execz .LBB1525_1042
.LBB1525_1245:                          ;   in Loop: Header=BB1525_1032 Depth=2
	global_load_u8 v3, v[70:71], off offset:192
	v_and_b32_e32 v8, 0xff, v8
	s_wait_loadcnt 0x0
	v_perm_b32 v5, v5, v3, 0x7000504
	s_wait_xcnt 0x0
	s_or_b32 exec_lo, exec_lo, s17
	s_delay_alu instid0(SALU_CYCLE_1)
	s_mov_b32 s17, exec_lo
	v_cmpx_gt_u32_e64 s59, v109
	s_cbranch_execz .LBB1525_1043
.LBB1525_1246:                          ;   in Loop: Header=BB1525_1032 Depth=2
	global_load_u8 v3, v[70:71], off offset:224
	v_and_b32_e32 v8, 0xff, v8
	s_wait_loadcnt 0x0
	v_perm_b32 v5, v5, v3, 0x60504
	s_wait_xcnt 0x0
	s_or_b32 exec_lo, exec_lo, s17
	s_delay_alu instid0(SALU_CYCLE_1)
	s_mov_b32 s17, exec_lo
	v_cmpx_gt_u32_e64 s59, v110
	s_cbranch_execz .LBB1525_1044
.LBB1525_1247:                          ;   in Loop: Header=BB1525_1032 Depth=2
	global_load_u8 v3, v[70:71], off offset:256
	v_and_b32_e32 v8, 0xff, v8
	s_wait_loadcnt 0x0
	v_perm_b32 v6, v3, v6, 0x3020104
	s_wait_xcnt 0x0
	s_or_b32 exec_lo, exec_lo, s17
	s_delay_alu instid0(SALU_CYCLE_1)
	s_mov_b32 s17, exec_lo
	v_cmpx_gt_u32_e64 s59, v111
	s_cbranch_execz .LBB1525_1045
.LBB1525_1248:                          ;   in Loop: Header=BB1525_1032 Depth=2
	global_load_u8 v3, v[70:71], off offset:288
	v_and_b32_e32 v8, 0xff, v8
	s_wait_loadcnt 0x0
	v_perm_b32 v6, v6, v3, 0x7060004
	s_wait_xcnt 0x0
	s_or_b32 exec_lo, exec_lo, s17
	s_delay_alu instid0(SALU_CYCLE_1)
	s_mov_b32 s17, exec_lo
	v_cmpx_gt_u32_e64 s59, v112
	s_cbranch_execz .LBB1525_1046
.LBB1525_1249:                          ;   in Loop: Header=BB1525_1032 Depth=2
	global_load_u8 v3, v[70:71], off offset:320
	v_and_b32_e32 v8, 0xff, v8
	s_wait_loadcnt 0x0
	v_perm_b32 v6, v6, v3, 0x7000504
	s_wait_xcnt 0x0
	s_or_b32 exec_lo, exec_lo, s17
	s_delay_alu instid0(SALU_CYCLE_1)
	s_mov_b32 s17, exec_lo
	v_cmpx_gt_u32_e64 s59, v113
	s_cbranch_execz .LBB1525_1047
.LBB1525_1250:                          ;   in Loop: Header=BB1525_1032 Depth=2
	global_load_u8 v3, v[70:71], off offset:352
	v_and_b32_e32 v8, 0xff, v8
	s_wait_loadcnt 0x0
	v_perm_b32 v6, v6, v3, 0x60504
	s_wait_xcnt 0x0
	s_or_b32 exec_lo, exec_lo, s17
	s_delay_alu instid0(SALU_CYCLE_1)
	s_mov_b32 s17, exec_lo
	v_cmpx_gt_u32_e64 s59, v114
	s_cbranch_execz .LBB1525_1048
.LBB1525_1251:                          ;   in Loop: Header=BB1525_1032 Depth=2
	global_load_u8 v3, v[70:71], off offset:384
	v_and_b32_e32 v8, 0xff, v8
	s_wait_loadcnt 0x0
	v_perm_b32 v7, v3, v7, 0x3020104
	s_wait_xcnt 0x0
	s_or_b32 exec_lo, exec_lo, s17
	s_delay_alu instid0(SALU_CYCLE_1)
	s_mov_b32 s17, exec_lo
	v_cmpx_gt_u32_e64 s59, v115
	s_cbranch_execz .LBB1525_1049
.LBB1525_1252:                          ;   in Loop: Header=BB1525_1032 Depth=2
	global_load_u8 v3, v[70:71], off offset:416
	v_and_b32_e32 v8, 0xff, v8
	s_wait_loadcnt 0x0
	v_perm_b32 v7, v7, v3, 0x7060004
	s_wait_xcnt 0x0
	s_or_b32 exec_lo, exec_lo, s17
	s_delay_alu instid0(SALU_CYCLE_1)
	s_mov_b32 s17, exec_lo
	v_cmpx_gt_u32_e64 s59, v116
	s_cbranch_execz .LBB1525_1050
.LBB1525_1253:                          ;   in Loop: Header=BB1525_1032 Depth=2
	global_load_u8 v3, v[70:71], off offset:448
	v_and_b32_e32 v8, 0xff, v8
	s_wait_loadcnt 0x0
	v_perm_b32 v7, v7, v3, 0x7000504
	s_wait_xcnt 0x0
	s_or_b32 exec_lo, exec_lo, s17
	s_delay_alu instid0(SALU_CYCLE_1)
	s_mov_b32 s17, exec_lo
	v_cmpx_gt_u32_e64 s59, v117
	s_cbranch_execnz .LBB1525_1051
	s_branch .LBB1525_1052
.LBB1525_1254:
	s_endpgm
	.section	.rodata,"a",@progbits
	.p2align	6, 0x0
	.amdhsa_kernel _ZN7rocprim17ROCPRIM_400000_NS6detail17trampoline_kernelINS0_14default_configENS1_36segmented_radix_sort_config_selectorIblEEZNS1_25segmented_radix_sort_implIS3_Lb1EPKbPbPKlPlN2at6native12_GLOBAL__N_18offset_tEEE10hipError_tPvRmT1_PNSt15iterator_traitsISK_E10value_typeET2_T3_PNSL_ISQ_E10value_typeET4_jRbjT5_SW_jjP12ihipStream_tbEUlT_E_NS1_11comp_targetILNS1_3genE0ELNS1_11target_archE4294967295ELNS1_3gpuE0ELNS1_3repE0EEENS1_30default_config_static_selectorELNS0_4arch9wavefront6targetE0EEEvSK_
		.amdhsa_group_segment_fixed_size 35344
		.amdhsa_private_segment_fixed_size 0
		.amdhsa_kernarg_size 352
		.amdhsa_user_sgpr_count 4
		.amdhsa_user_sgpr_dispatch_ptr 0
		.amdhsa_user_sgpr_queue_ptr 1
		.amdhsa_user_sgpr_kernarg_segment_ptr 1
		.amdhsa_user_sgpr_dispatch_id 0
		.amdhsa_user_sgpr_kernarg_preload_length 0
		.amdhsa_user_sgpr_kernarg_preload_offset 0
		.amdhsa_user_sgpr_private_segment_size 0
		.amdhsa_wavefront_size32 1
		.amdhsa_uses_dynamic_stack 0
		.amdhsa_enable_private_segment 0
		.amdhsa_system_sgpr_workgroup_id_x 1
		.amdhsa_system_sgpr_workgroup_id_y 1
		.amdhsa_system_sgpr_workgroup_id_z 0
		.amdhsa_system_sgpr_workgroup_info 0
		.amdhsa_system_vgpr_workitem_id 2
		.amdhsa_next_free_vgpr 319
		.amdhsa_next_free_sgpr 61
		.amdhsa_named_barrier_count 0
		.amdhsa_reserve_vcc 1
		.amdhsa_float_round_mode_32 0
		.amdhsa_float_round_mode_16_64 0
		.amdhsa_float_denorm_mode_32 3
		.amdhsa_float_denorm_mode_16_64 3
		.amdhsa_fp16_overflow 0
		.amdhsa_memory_ordered 1
		.amdhsa_forward_progress 1
		.amdhsa_inst_pref_size 255
		.amdhsa_round_robin_scheduling 0
		.amdhsa_exception_fp_ieee_invalid_op 0
		.amdhsa_exception_fp_denorm_src 0
		.amdhsa_exception_fp_ieee_div_zero 0
		.amdhsa_exception_fp_ieee_overflow 0
		.amdhsa_exception_fp_ieee_underflow 0
		.amdhsa_exception_fp_ieee_inexact 0
		.amdhsa_exception_int_div_zero 0
	.end_amdhsa_kernel
	.section	.text._ZN7rocprim17ROCPRIM_400000_NS6detail17trampoline_kernelINS0_14default_configENS1_36segmented_radix_sort_config_selectorIblEEZNS1_25segmented_radix_sort_implIS3_Lb1EPKbPbPKlPlN2at6native12_GLOBAL__N_18offset_tEEE10hipError_tPvRmT1_PNSt15iterator_traitsISK_E10value_typeET2_T3_PNSL_ISQ_E10value_typeET4_jRbjT5_SW_jjP12ihipStream_tbEUlT_E_NS1_11comp_targetILNS1_3genE0ELNS1_11target_archE4294967295ELNS1_3gpuE0ELNS1_3repE0EEENS1_30default_config_static_selectorELNS0_4arch9wavefront6targetE0EEEvSK_,"axG",@progbits,_ZN7rocprim17ROCPRIM_400000_NS6detail17trampoline_kernelINS0_14default_configENS1_36segmented_radix_sort_config_selectorIblEEZNS1_25segmented_radix_sort_implIS3_Lb1EPKbPbPKlPlN2at6native12_GLOBAL__N_18offset_tEEE10hipError_tPvRmT1_PNSt15iterator_traitsISK_E10value_typeET2_T3_PNSL_ISQ_E10value_typeET4_jRbjT5_SW_jjP12ihipStream_tbEUlT_E_NS1_11comp_targetILNS1_3genE0ELNS1_11target_archE4294967295ELNS1_3gpuE0ELNS1_3repE0EEENS1_30default_config_static_selectorELNS0_4arch9wavefront6targetE0EEEvSK_,comdat
.Lfunc_end1525:
	.size	_ZN7rocprim17ROCPRIM_400000_NS6detail17trampoline_kernelINS0_14default_configENS1_36segmented_radix_sort_config_selectorIblEEZNS1_25segmented_radix_sort_implIS3_Lb1EPKbPbPKlPlN2at6native12_GLOBAL__N_18offset_tEEE10hipError_tPvRmT1_PNSt15iterator_traitsISK_E10value_typeET2_T3_PNSL_ISQ_E10value_typeET4_jRbjT5_SW_jjP12ihipStream_tbEUlT_E_NS1_11comp_targetILNS1_3genE0ELNS1_11target_archE4294967295ELNS1_3gpuE0ELNS1_3repE0EEENS1_30default_config_static_selectorELNS0_4arch9wavefront6targetE0EEEvSK_, .Lfunc_end1525-_ZN7rocprim17ROCPRIM_400000_NS6detail17trampoline_kernelINS0_14default_configENS1_36segmented_radix_sort_config_selectorIblEEZNS1_25segmented_radix_sort_implIS3_Lb1EPKbPbPKlPlN2at6native12_GLOBAL__N_18offset_tEEE10hipError_tPvRmT1_PNSt15iterator_traitsISK_E10value_typeET2_T3_PNSL_ISQ_E10value_typeET4_jRbjT5_SW_jjP12ihipStream_tbEUlT_E_NS1_11comp_targetILNS1_3genE0ELNS1_11target_archE4294967295ELNS1_3gpuE0ELNS1_3repE0EEENS1_30default_config_static_selectorELNS0_4arch9wavefront6targetE0EEEvSK_
                                        ; -- End function
	.set _ZN7rocprim17ROCPRIM_400000_NS6detail17trampoline_kernelINS0_14default_configENS1_36segmented_radix_sort_config_selectorIblEEZNS1_25segmented_radix_sort_implIS3_Lb1EPKbPbPKlPlN2at6native12_GLOBAL__N_18offset_tEEE10hipError_tPvRmT1_PNSt15iterator_traitsISK_E10value_typeET2_T3_PNSL_ISQ_E10value_typeET4_jRbjT5_SW_jjP12ihipStream_tbEUlT_E_NS1_11comp_targetILNS1_3genE0ELNS1_11target_archE4294967295ELNS1_3gpuE0ELNS1_3repE0EEENS1_30default_config_static_selectorELNS0_4arch9wavefront6targetE0EEEvSK_.num_vgpr, max(205, .L_ZN7rocprim17ROCPRIM_400000_NS6detail40segmented_radix_sort_single_block_helperIblLj256ELj17ELb1EE4sortIPKbPbPKlPlEEbT_T0_T1_T2_jjjjRNS3_12storage_typeE.num_vgpr)
	.set _ZN7rocprim17ROCPRIM_400000_NS6detail17trampoline_kernelINS0_14default_configENS1_36segmented_radix_sort_config_selectorIblEEZNS1_25segmented_radix_sort_implIS3_Lb1EPKbPbPKlPlN2at6native12_GLOBAL__N_18offset_tEEE10hipError_tPvRmT1_PNSt15iterator_traitsISK_E10value_typeET2_T3_PNSL_ISQ_E10value_typeET4_jRbjT5_SW_jjP12ihipStream_tbEUlT_E_NS1_11comp_targetILNS1_3genE0ELNS1_11target_archE4294967295ELNS1_3gpuE0ELNS1_3repE0EEENS1_30default_config_static_selectorELNS0_4arch9wavefront6targetE0EEEvSK_.num_agpr, max(0, .L_ZN7rocprim17ROCPRIM_400000_NS6detail40segmented_radix_sort_single_block_helperIblLj256ELj17ELb1EE4sortIPKbPbPKlPlEEbT_T0_T1_T2_jjjjRNS3_12storage_typeE.num_agpr)
	.set _ZN7rocprim17ROCPRIM_400000_NS6detail17trampoline_kernelINS0_14default_configENS1_36segmented_radix_sort_config_selectorIblEEZNS1_25segmented_radix_sort_implIS3_Lb1EPKbPbPKlPlN2at6native12_GLOBAL__N_18offset_tEEE10hipError_tPvRmT1_PNSt15iterator_traitsISK_E10value_typeET2_T3_PNSL_ISQ_E10value_typeET4_jRbjT5_SW_jjP12ihipStream_tbEUlT_E_NS1_11comp_targetILNS1_3genE0ELNS1_11target_archE4294967295ELNS1_3gpuE0ELNS1_3repE0EEENS1_30default_config_static_selectorELNS0_4arch9wavefront6targetE0EEEvSK_.numbered_sgpr, max(61, .L_ZN7rocprim17ROCPRIM_400000_NS6detail40segmented_radix_sort_single_block_helperIblLj256ELj17ELb1EE4sortIPKbPbPKlPlEEbT_T0_T1_T2_jjjjRNS3_12storage_typeE.numbered_sgpr)
	.set _ZN7rocprim17ROCPRIM_400000_NS6detail17trampoline_kernelINS0_14default_configENS1_36segmented_radix_sort_config_selectorIblEEZNS1_25segmented_radix_sort_implIS3_Lb1EPKbPbPKlPlN2at6native12_GLOBAL__N_18offset_tEEE10hipError_tPvRmT1_PNSt15iterator_traitsISK_E10value_typeET2_T3_PNSL_ISQ_E10value_typeET4_jRbjT5_SW_jjP12ihipStream_tbEUlT_E_NS1_11comp_targetILNS1_3genE0ELNS1_11target_archE4294967295ELNS1_3gpuE0ELNS1_3repE0EEENS1_30default_config_static_selectorELNS0_4arch9wavefront6targetE0EEEvSK_.num_named_barrier, max(0, .L_ZN7rocprim17ROCPRIM_400000_NS6detail40segmented_radix_sort_single_block_helperIblLj256ELj17ELb1EE4sortIPKbPbPKlPlEEbT_T0_T1_T2_jjjjRNS3_12storage_typeE.num_named_barrier)
	.set _ZN7rocprim17ROCPRIM_400000_NS6detail17trampoline_kernelINS0_14default_configENS1_36segmented_radix_sort_config_selectorIblEEZNS1_25segmented_radix_sort_implIS3_Lb1EPKbPbPKlPlN2at6native12_GLOBAL__N_18offset_tEEE10hipError_tPvRmT1_PNSt15iterator_traitsISK_E10value_typeET2_T3_PNSL_ISQ_E10value_typeET4_jRbjT5_SW_jjP12ihipStream_tbEUlT_E_NS1_11comp_targetILNS1_3genE0ELNS1_11target_archE4294967295ELNS1_3gpuE0ELNS1_3repE0EEENS1_30default_config_static_selectorELNS0_4arch9wavefront6targetE0EEEvSK_.private_seg_size, 0+max(.L_ZN7rocprim17ROCPRIM_400000_NS6detail40segmented_radix_sort_single_block_helperIblLj256ELj17ELb1EE4sortIPKbPbPKlPlEEbT_T0_T1_T2_jjjjRNS3_12storage_typeE.private_seg_size)
	.set _ZN7rocprim17ROCPRIM_400000_NS6detail17trampoline_kernelINS0_14default_configENS1_36segmented_radix_sort_config_selectorIblEEZNS1_25segmented_radix_sort_implIS3_Lb1EPKbPbPKlPlN2at6native12_GLOBAL__N_18offset_tEEE10hipError_tPvRmT1_PNSt15iterator_traitsISK_E10value_typeET2_T3_PNSL_ISQ_E10value_typeET4_jRbjT5_SW_jjP12ihipStream_tbEUlT_E_NS1_11comp_targetILNS1_3genE0ELNS1_11target_archE4294967295ELNS1_3gpuE0ELNS1_3repE0EEENS1_30default_config_static_selectorELNS0_4arch9wavefront6targetE0EEEvSK_.uses_vcc, or(1, .L_ZN7rocprim17ROCPRIM_400000_NS6detail40segmented_radix_sort_single_block_helperIblLj256ELj17ELb1EE4sortIPKbPbPKlPlEEbT_T0_T1_T2_jjjjRNS3_12storage_typeE.uses_vcc)
	.set _ZN7rocprim17ROCPRIM_400000_NS6detail17trampoline_kernelINS0_14default_configENS1_36segmented_radix_sort_config_selectorIblEEZNS1_25segmented_radix_sort_implIS3_Lb1EPKbPbPKlPlN2at6native12_GLOBAL__N_18offset_tEEE10hipError_tPvRmT1_PNSt15iterator_traitsISK_E10value_typeET2_T3_PNSL_ISQ_E10value_typeET4_jRbjT5_SW_jjP12ihipStream_tbEUlT_E_NS1_11comp_targetILNS1_3genE0ELNS1_11target_archE4294967295ELNS1_3gpuE0ELNS1_3repE0EEENS1_30default_config_static_selectorELNS0_4arch9wavefront6targetE0EEEvSK_.uses_flat_scratch, or(0, .L_ZN7rocprim17ROCPRIM_400000_NS6detail40segmented_radix_sort_single_block_helperIblLj256ELj17ELb1EE4sortIPKbPbPKlPlEEbT_T0_T1_T2_jjjjRNS3_12storage_typeE.uses_flat_scratch)
	.set _ZN7rocprim17ROCPRIM_400000_NS6detail17trampoline_kernelINS0_14default_configENS1_36segmented_radix_sort_config_selectorIblEEZNS1_25segmented_radix_sort_implIS3_Lb1EPKbPbPKlPlN2at6native12_GLOBAL__N_18offset_tEEE10hipError_tPvRmT1_PNSt15iterator_traitsISK_E10value_typeET2_T3_PNSL_ISQ_E10value_typeET4_jRbjT5_SW_jjP12ihipStream_tbEUlT_E_NS1_11comp_targetILNS1_3genE0ELNS1_11target_archE4294967295ELNS1_3gpuE0ELNS1_3repE0EEENS1_30default_config_static_selectorELNS0_4arch9wavefront6targetE0EEEvSK_.has_dyn_sized_stack, or(0, .L_ZN7rocprim17ROCPRIM_400000_NS6detail40segmented_radix_sort_single_block_helperIblLj256ELj17ELb1EE4sortIPKbPbPKlPlEEbT_T0_T1_T2_jjjjRNS3_12storage_typeE.has_dyn_sized_stack)
	.set _ZN7rocprim17ROCPRIM_400000_NS6detail17trampoline_kernelINS0_14default_configENS1_36segmented_radix_sort_config_selectorIblEEZNS1_25segmented_radix_sort_implIS3_Lb1EPKbPbPKlPlN2at6native12_GLOBAL__N_18offset_tEEE10hipError_tPvRmT1_PNSt15iterator_traitsISK_E10value_typeET2_T3_PNSL_ISQ_E10value_typeET4_jRbjT5_SW_jjP12ihipStream_tbEUlT_E_NS1_11comp_targetILNS1_3genE0ELNS1_11target_archE4294967295ELNS1_3gpuE0ELNS1_3repE0EEENS1_30default_config_static_selectorELNS0_4arch9wavefront6targetE0EEEvSK_.has_recursion, or(0, .L_ZN7rocprim17ROCPRIM_400000_NS6detail40segmented_radix_sort_single_block_helperIblLj256ELj17ELb1EE4sortIPKbPbPKlPlEEbT_T0_T1_T2_jjjjRNS3_12storage_typeE.has_recursion)
	.set _ZN7rocprim17ROCPRIM_400000_NS6detail17trampoline_kernelINS0_14default_configENS1_36segmented_radix_sort_config_selectorIblEEZNS1_25segmented_radix_sort_implIS3_Lb1EPKbPbPKlPlN2at6native12_GLOBAL__N_18offset_tEEE10hipError_tPvRmT1_PNSt15iterator_traitsISK_E10value_typeET2_T3_PNSL_ISQ_E10value_typeET4_jRbjT5_SW_jjP12ihipStream_tbEUlT_E_NS1_11comp_targetILNS1_3genE0ELNS1_11target_archE4294967295ELNS1_3gpuE0ELNS1_3repE0EEENS1_30default_config_static_selectorELNS0_4arch9wavefront6targetE0EEEvSK_.has_indirect_call, or(0, .L_ZN7rocprim17ROCPRIM_400000_NS6detail40segmented_radix_sort_single_block_helperIblLj256ELj17ELb1EE4sortIPKbPbPKlPlEEbT_T0_T1_T2_jjjjRNS3_12storage_typeE.has_indirect_call)
	.section	.AMDGPU.csdata,"",@progbits
; Kernel info:
; codeLenInByte = 62280
; TotalNumSgprs: 63
; NumVgprs: 319
; ScratchSize: 0
; MemoryBound: 0
; FloatMode: 240
; IeeeMode: 1
; LDSByteSize: 35344 bytes/workgroup (compile time only)
; SGPRBlocks: 0
; VGPRBlocks: 19
; NumSGPRsForWavesPerEU: 63
; NumVGPRsForWavesPerEU: 319
; NamedBarCnt: 0
; Occupancy: 3
; WaveLimiterHint : 1
; COMPUTE_PGM_RSRC2:SCRATCH_EN: 0
; COMPUTE_PGM_RSRC2:USER_SGPR: 4
; COMPUTE_PGM_RSRC2:TRAP_HANDLER: 0
; COMPUTE_PGM_RSRC2:TGID_X_EN: 1
; COMPUTE_PGM_RSRC2:TGID_Y_EN: 1
; COMPUTE_PGM_RSRC2:TGID_Z_EN: 0
; COMPUTE_PGM_RSRC2:TIDIG_COMP_CNT: 2
	.section	.text._ZN7rocprim17ROCPRIM_400000_NS6detail17trampoline_kernelINS0_14default_configENS1_36segmented_radix_sort_config_selectorIblEEZNS1_25segmented_radix_sort_implIS3_Lb1EPKbPbPKlPlN2at6native12_GLOBAL__N_18offset_tEEE10hipError_tPvRmT1_PNSt15iterator_traitsISK_E10value_typeET2_T3_PNSL_ISQ_E10value_typeET4_jRbjT5_SW_jjP12ihipStream_tbEUlT_E_NS1_11comp_targetILNS1_3genE5ELNS1_11target_archE942ELNS1_3gpuE9ELNS1_3repE0EEENS1_30default_config_static_selectorELNS0_4arch9wavefront6targetE0EEEvSK_,"axG",@progbits,_ZN7rocprim17ROCPRIM_400000_NS6detail17trampoline_kernelINS0_14default_configENS1_36segmented_radix_sort_config_selectorIblEEZNS1_25segmented_radix_sort_implIS3_Lb1EPKbPbPKlPlN2at6native12_GLOBAL__N_18offset_tEEE10hipError_tPvRmT1_PNSt15iterator_traitsISK_E10value_typeET2_T3_PNSL_ISQ_E10value_typeET4_jRbjT5_SW_jjP12ihipStream_tbEUlT_E_NS1_11comp_targetILNS1_3genE5ELNS1_11target_archE942ELNS1_3gpuE9ELNS1_3repE0EEENS1_30default_config_static_selectorELNS0_4arch9wavefront6targetE0EEEvSK_,comdat
	.globl	_ZN7rocprim17ROCPRIM_400000_NS6detail17trampoline_kernelINS0_14default_configENS1_36segmented_radix_sort_config_selectorIblEEZNS1_25segmented_radix_sort_implIS3_Lb1EPKbPbPKlPlN2at6native12_GLOBAL__N_18offset_tEEE10hipError_tPvRmT1_PNSt15iterator_traitsISK_E10value_typeET2_T3_PNSL_ISQ_E10value_typeET4_jRbjT5_SW_jjP12ihipStream_tbEUlT_E_NS1_11comp_targetILNS1_3genE5ELNS1_11target_archE942ELNS1_3gpuE9ELNS1_3repE0EEENS1_30default_config_static_selectorELNS0_4arch9wavefront6targetE0EEEvSK_ ; -- Begin function _ZN7rocprim17ROCPRIM_400000_NS6detail17trampoline_kernelINS0_14default_configENS1_36segmented_radix_sort_config_selectorIblEEZNS1_25segmented_radix_sort_implIS3_Lb1EPKbPbPKlPlN2at6native12_GLOBAL__N_18offset_tEEE10hipError_tPvRmT1_PNSt15iterator_traitsISK_E10value_typeET2_T3_PNSL_ISQ_E10value_typeET4_jRbjT5_SW_jjP12ihipStream_tbEUlT_E_NS1_11comp_targetILNS1_3genE5ELNS1_11target_archE942ELNS1_3gpuE9ELNS1_3repE0EEENS1_30default_config_static_selectorELNS0_4arch9wavefront6targetE0EEEvSK_
	.p2align	8
	.type	_ZN7rocprim17ROCPRIM_400000_NS6detail17trampoline_kernelINS0_14default_configENS1_36segmented_radix_sort_config_selectorIblEEZNS1_25segmented_radix_sort_implIS3_Lb1EPKbPbPKlPlN2at6native12_GLOBAL__N_18offset_tEEE10hipError_tPvRmT1_PNSt15iterator_traitsISK_E10value_typeET2_T3_PNSL_ISQ_E10value_typeET4_jRbjT5_SW_jjP12ihipStream_tbEUlT_E_NS1_11comp_targetILNS1_3genE5ELNS1_11target_archE942ELNS1_3gpuE9ELNS1_3repE0EEENS1_30default_config_static_selectorELNS0_4arch9wavefront6targetE0EEEvSK_,@function
_ZN7rocprim17ROCPRIM_400000_NS6detail17trampoline_kernelINS0_14default_configENS1_36segmented_radix_sort_config_selectorIblEEZNS1_25segmented_radix_sort_implIS3_Lb1EPKbPbPKlPlN2at6native12_GLOBAL__N_18offset_tEEE10hipError_tPvRmT1_PNSt15iterator_traitsISK_E10value_typeET2_T3_PNSL_ISQ_E10value_typeET4_jRbjT5_SW_jjP12ihipStream_tbEUlT_E_NS1_11comp_targetILNS1_3genE5ELNS1_11target_archE942ELNS1_3gpuE9ELNS1_3repE0EEENS1_30default_config_static_selectorELNS0_4arch9wavefront6targetE0EEEvSK_: ; @_ZN7rocprim17ROCPRIM_400000_NS6detail17trampoline_kernelINS0_14default_configENS1_36segmented_radix_sort_config_selectorIblEEZNS1_25segmented_radix_sort_implIS3_Lb1EPKbPbPKlPlN2at6native12_GLOBAL__N_18offset_tEEE10hipError_tPvRmT1_PNSt15iterator_traitsISK_E10value_typeET2_T3_PNSL_ISQ_E10value_typeET4_jRbjT5_SW_jjP12ihipStream_tbEUlT_E_NS1_11comp_targetILNS1_3genE5ELNS1_11target_archE942ELNS1_3gpuE9ELNS1_3repE0EEENS1_30default_config_static_selectorELNS0_4arch9wavefront6targetE0EEEvSK_
; %bb.0:
	.section	.rodata,"a",@progbits
	.p2align	6, 0x0
	.amdhsa_kernel _ZN7rocprim17ROCPRIM_400000_NS6detail17trampoline_kernelINS0_14default_configENS1_36segmented_radix_sort_config_selectorIblEEZNS1_25segmented_radix_sort_implIS3_Lb1EPKbPbPKlPlN2at6native12_GLOBAL__N_18offset_tEEE10hipError_tPvRmT1_PNSt15iterator_traitsISK_E10value_typeET2_T3_PNSL_ISQ_E10value_typeET4_jRbjT5_SW_jjP12ihipStream_tbEUlT_E_NS1_11comp_targetILNS1_3genE5ELNS1_11target_archE942ELNS1_3gpuE9ELNS1_3repE0EEENS1_30default_config_static_selectorELNS0_4arch9wavefront6targetE0EEEvSK_
		.amdhsa_group_segment_fixed_size 0
		.amdhsa_private_segment_fixed_size 0
		.amdhsa_kernarg_size 96
		.amdhsa_user_sgpr_count 2
		.amdhsa_user_sgpr_dispatch_ptr 0
		.amdhsa_user_sgpr_queue_ptr 0
		.amdhsa_user_sgpr_kernarg_segment_ptr 1
		.amdhsa_user_sgpr_dispatch_id 0
		.amdhsa_user_sgpr_kernarg_preload_length 0
		.amdhsa_user_sgpr_kernarg_preload_offset 0
		.amdhsa_user_sgpr_private_segment_size 0
		.amdhsa_wavefront_size32 1
		.amdhsa_uses_dynamic_stack 0
		.amdhsa_enable_private_segment 0
		.amdhsa_system_sgpr_workgroup_id_x 1
		.amdhsa_system_sgpr_workgroup_id_y 0
		.amdhsa_system_sgpr_workgroup_id_z 0
		.amdhsa_system_sgpr_workgroup_info 0
		.amdhsa_system_vgpr_workitem_id 0
		.amdhsa_next_free_vgpr 1
		.amdhsa_next_free_sgpr 1
		.amdhsa_named_barrier_count 0
		.amdhsa_reserve_vcc 0
		.amdhsa_float_round_mode_32 0
		.amdhsa_float_round_mode_16_64 0
		.amdhsa_float_denorm_mode_32 3
		.amdhsa_float_denorm_mode_16_64 3
		.amdhsa_fp16_overflow 0
		.amdhsa_memory_ordered 1
		.amdhsa_forward_progress 1
		.amdhsa_inst_pref_size 0
		.amdhsa_round_robin_scheduling 0
		.amdhsa_exception_fp_ieee_invalid_op 0
		.amdhsa_exception_fp_denorm_src 0
		.amdhsa_exception_fp_ieee_div_zero 0
		.amdhsa_exception_fp_ieee_overflow 0
		.amdhsa_exception_fp_ieee_underflow 0
		.amdhsa_exception_fp_ieee_inexact 0
		.amdhsa_exception_int_div_zero 0
	.end_amdhsa_kernel
	.section	.text._ZN7rocprim17ROCPRIM_400000_NS6detail17trampoline_kernelINS0_14default_configENS1_36segmented_radix_sort_config_selectorIblEEZNS1_25segmented_radix_sort_implIS3_Lb1EPKbPbPKlPlN2at6native12_GLOBAL__N_18offset_tEEE10hipError_tPvRmT1_PNSt15iterator_traitsISK_E10value_typeET2_T3_PNSL_ISQ_E10value_typeET4_jRbjT5_SW_jjP12ihipStream_tbEUlT_E_NS1_11comp_targetILNS1_3genE5ELNS1_11target_archE942ELNS1_3gpuE9ELNS1_3repE0EEENS1_30default_config_static_selectorELNS0_4arch9wavefront6targetE0EEEvSK_,"axG",@progbits,_ZN7rocprim17ROCPRIM_400000_NS6detail17trampoline_kernelINS0_14default_configENS1_36segmented_radix_sort_config_selectorIblEEZNS1_25segmented_radix_sort_implIS3_Lb1EPKbPbPKlPlN2at6native12_GLOBAL__N_18offset_tEEE10hipError_tPvRmT1_PNSt15iterator_traitsISK_E10value_typeET2_T3_PNSL_ISQ_E10value_typeET4_jRbjT5_SW_jjP12ihipStream_tbEUlT_E_NS1_11comp_targetILNS1_3genE5ELNS1_11target_archE942ELNS1_3gpuE9ELNS1_3repE0EEENS1_30default_config_static_selectorELNS0_4arch9wavefront6targetE0EEEvSK_,comdat
.Lfunc_end1526:
	.size	_ZN7rocprim17ROCPRIM_400000_NS6detail17trampoline_kernelINS0_14default_configENS1_36segmented_radix_sort_config_selectorIblEEZNS1_25segmented_radix_sort_implIS3_Lb1EPKbPbPKlPlN2at6native12_GLOBAL__N_18offset_tEEE10hipError_tPvRmT1_PNSt15iterator_traitsISK_E10value_typeET2_T3_PNSL_ISQ_E10value_typeET4_jRbjT5_SW_jjP12ihipStream_tbEUlT_E_NS1_11comp_targetILNS1_3genE5ELNS1_11target_archE942ELNS1_3gpuE9ELNS1_3repE0EEENS1_30default_config_static_selectorELNS0_4arch9wavefront6targetE0EEEvSK_, .Lfunc_end1526-_ZN7rocprim17ROCPRIM_400000_NS6detail17trampoline_kernelINS0_14default_configENS1_36segmented_radix_sort_config_selectorIblEEZNS1_25segmented_radix_sort_implIS3_Lb1EPKbPbPKlPlN2at6native12_GLOBAL__N_18offset_tEEE10hipError_tPvRmT1_PNSt15iterator_traitsISK_E10value_typeET2_T3_PNSL_ISQ_E10value_typeET4_jRbjT5_SW_jjP12ihipStream_tbEUlT_E_NS1_11comp_targetILNS1_3genE5ELNS1_11target_archE942ELNS1_3gpuE9ELNS1_3repE0EEENS1_30default_config_static_selectorELNS0_4arch9wavefront6targetE0EEEvSK_
                                        ; -- End function
	.set _ZN7rocprim17ROCPRIM_400000_NS6detail17trampoline_kernelINS0_14default_configENS1_36segmented_radix_sort_config_selectorIblEEZNS1_25segmented_radix_sort_implIS3_Lb1EPKbPbPKlPlN2at6native12_GLOBAL__N_18offset_tEEE10hipError_tPvRmT1_PNSt15iterator_traitsISK_E10value_typeET2_T3_PNSL_ISQ_E10value_typeET4_jRbjT5_SW_jjP12ihipStream_tbEUlT_E_NS1_11comp_targetILNS1_3genE5ELNS1_11target_archE942ELNS1_3gpuE9ELNS1_3repE0EEENS1_30default_config_static_selectorELNS0_4arch9wavefront6targetE0EEEvSK_.num_vgpr, 0
	.set _ZN7rocprim17ROCPRIM_400000_NS6detail17trampoline_kernelINS0_14default_configENS1_36segmented_radix_sort_config_selectorIblEEZNS1_25segmented_radix_sort_implIS3_Lb1EPKbPbPKlPlN2at6native12_GLOBAL__N_18offset_tEEE10hipError_tPvRmT1_PNSt15iterator_traitsISK_E10value_typeET2_T3_PNSL_ISQ_E10value_typeET4_jRbjT5_SW_jjP12ihipStream_tbEUlT_E_NS1_11comp_targetILNS1_3genE5ELNS1_11target_archE942ELNS1_3gpuE9ELNS1_3repE0EEENS1_30default_config_static_selectorELNS0_4arch9wavefront6targetE0EEEvSK_.num_agpr, 0
	.set _ZN7rocprim17ROCPRIM_400000_NS6detail17trampoline_kernelINS0_14default_configENS1_36segmented_radix_sort_config_selectorIblEEZNS1_25segmented_radix_sort_implIS3_Lb1EPKbPbPKlPlN2at6native12_GLOBAL__N_18offset_tEEE10hipError_tPvRmT1_PNSt15iterator_traitsISK_E10value_typeET2_T3_PNSL_ISQ_E10value_typeET4_jRbjT5_SW_jjP12ihipStream_tbEUlT_E_NS1_11comp_targetILNS1_3genE5ELNS1_11target_archE942ELNS1_3gpuE9ELNS1_3repE0EEENS1_30default_config_static_selectorELNS0_4arch9wavefront6targetE0EEEvSK_.numbered_sgpr, 0
	.set _ZN7rocprim17ROCPRIM_400000_NS6detail17trampoline_kernelINS0_14default_configENS1_36segmented_radix_sort_config_selectorIblEEZNS1_25segmented_radix_sort_implIS3_Lb1EPKbPbPKlPlN2at6native12_GLOBAL__N_18offset_tEEE10hipError_tPvRmT1_PNSt15iterator_traitsISK_E10value_typeET2_T3_PNSL_ISQ_E10value_typeET4_jRbjT5_SW_jjP12ihipStream_tbEUlT_E_NS1_11comp_targetILNS1_3genE5ELNS1_11target_archE942ELNS1_3gpuE9ELNS1_3repE0EEENS1_30default_config_static_selectorELNS0_4arch9wavefront6targetE0EEEvSK_.num_named_barrier, 0
	.set _ZN7rocprim17ROCPRIM_400000_NS6detail17trampoline_kernelINS0_14default_configENS1_36segmented_radix_sort_config_selectorIblEEZNS1_25segmented_radix_sort_implIS3_Lb1EPKbPbPKlPlN2at6native12_GLOBAL__N_18offset_tEEE10hipError_tPvRmT1_PNSt15iterator_traitsISK_E10value_typeET2_T3_PNSL_ISQ_E10value_typeET4_jRbjT5_SW_jjP12ihipStream_tbEUlT_E_NS1_11comp_targetILNS1_3genE5ELNS1_11target_archE942ELNS1_3gpuE9ELNS1_3repE0EEENS1_30default_config_static_selectorELNS0_4arch9wavefront6targetE0EEEvSK_.private_seg_size, 0
	.set _ZN7rocprim17ROCPRIM_400000_NS6detail17trampoline_kernelINS0_14default_configENS1_36segmented_radix_sort_config_selectorIblEEZNS1_25segmented_radix_sort_implIS3_Lb1EPKbPbPKlPlN2at6native12_GLOBAL__N_18offset_tEEE10hipError_tPvRmT1_PNSt15iterator_traitsISK_E10value_typeET2_T3_PNSL_ISQ_E10value_typeET4_jRbjT5_SW_jjP12ihipStream_tbEUlT_E_NS1_11comp_targetILNS1_3genE5ELNS1_11target_archE942ELNS1_3gpuE9ELNS1_3repE0EEENS1_30default_config_static_selectorELNS0_4arch9wavefront6targetE0EEEvSK_.uses_vcc, 0
	.set _ZN7rocprim17ROCPRIM_400000_NS6detail17trampoline_kernelINS0_14default_configENS1_36segmented_radix_sort_config_selectorIblEEZNS1_25segmented_radix_sort_implIS3_Lb1EPKbPbPKlPlN2at6native12_GLOBAL__N_18offset_tEEE10hipError_tPvRmT1_PNSt15iterator_traitsISK_E10value_typeET2_T3_PNSL_ISQ_E10value_typeET4_jRbjT5_SW_jjP12ihipStream_tbEUlT_E_NS1_11comp_targetILNS1_3genE5ELNS1_11target_archE942ELNS1_3gpuE9ELNS1_3repE0EEENS1_30default_config_static_selectorELNS0_4arch9wavefront6targetE0EEEvSK_.uses_flat_scratch, 0
	.set _ZN7rocprim17ROCPRIM_400000_NS6detail17trampoline_kernelINS0_14default_configENS1_36segmented_radix_sort_config_selectorIblEEZNS1_25segmented_radix_sort_implIS3_Lb1EPKbPbPKlPlN2at6native12_GLOBAL__N_18offset_tEEE10hipError_tPvRmT1_PNSt15iterator_traitsISK_E10value_typeET2_T3_PNSL_ISQ_E10value_typeET4_jRbjT5_SW_jjP12ihipStream_tbEUlT_E_NS1_11comp_targetILNS1_3genE5ELNS1_11target_archE942ELNS1_3gpuE9ELNS1_3repE0EEENS1_30default_config_static_selectorELNS0_4arch9wavefront6targetE0EEEvSK_.has_dyn_sized_stack, 0
	.set _ZN7rocprim17ROCPRIM_400000_NS6detail17trampoline_kernelINS0_14default_configENS1_36segmented_radix_sort_config_selectorIblEEZNS1_25segmented_radix_sort_implIS3_Lb1EPKbPbPKlPlN2at6native12_GLOBAL__N_18offset_tEEE10hipError_tPvRmT1_PNSt15iterator_traitsISK_E10value_typeET2_T3_PNSL_ISQ_E10value_typeET4_jRbjT5_SW_jjP12ihipStream_tbEUlT_E_NS1_11comp_targetILNS1_3genE5ELNS1_11target_archE942ELNS1_3gpuE9ELNS1_3repE0EEENS1_30default_config_static_selectorELNS0_4arch9wavefront6targetE0EEEvSK_.has_recursion, 0
	.set _ZN7rocprim17ROCPRIM_400000_NS6detail17trampoline_kernelINS0_14default_configENS1_36segmented_radix_sort_config_selectorIblEEZNS1_25segmented_radix_sort_implIS3_Lb1EPKbPbPKlPlN2at6native12_GLOBAL__N_18offset_tEEE10hipError_tPvRmT1_PNSt15iterator_traitsISK_E10value_typeET2_T3_PNSL_ISQ_E10value_typeET4_jRbjT5_SW_jjP12ihipStream_tbEUlT_E_NS1_11comp_targetILNS1_3genE5ELNS1_11target_archE942ELNS1_3gpuE9ELNS1_3repE0EEENS1_30default_config_static_selectorELNS0_4arch9wavefront6targetE0EEEvSK_.has_indirect_call, 0
	.section	.AMDGPU.csdata,"",@progbits
; Kernel info:
; codeLenInByte = 0
; TotalNumSgprs: 0
; NumVgprs: 0
; ScratchSize: 0
; MemoryBound: 0
; FloatMode: 240
; IeeeMode: 1
; LDSByteSize: 0 bytes/workgroup (compile time only)
; SGPRBlocks: 0
; VGPRBlocks: 0
; NumSGPRsForWavesPerEU: 1
; NumVGPRsForWavesPerEU: 1
; NamedBarCnt: 0
; Occupancy: 16
; WaveLimiterHint : 0
; COMPUTE_PGM_RSRC2:SCRATCH_EN: 0
; COMPUTE_PGM_RSRC2:USER_SGPR: 2
; COMPUTE_PGM_RSRC2:TRAP_HANDLER: 0
; COMPUTE_PGM_RSRC2:TGID_X_EN: 1
; COMPUTE_PGM_RSRC2:TGID_Y_EN: 0
; COMPUTE_PGM_RSRC2:TGID_Z_EN: 0
; COMPUTE_PGM_RSRC2:TIDIG_COMP_CNT: 0
	.section	.text._ZN7rocprim17ROCPRIM_400000_NS6detail17trampoline_kernelINS0_14default_configENS1_36segmented_radix_sort_config_selectorIblEEZNS1_25segmented_radix_sort_implIS3_Lb1EPKbPbPKlPlN2at6native12_GLOBAL__N_18offset_tEEE10hipError_tPvRmT1_PNSt15iterator_traitsISK_E10value_typeET2_T3_PNSL_ISQ_E10value_typeET4_jRbjT5_SW_jjP12ihipStream_tbEUlT_E_NS1_11comp_targetILNS1_3genE4ELNS1_11target_archE910ELNS1_3gpuE8ELNS1_3repE0EEENS1_30default_config_static_selectorELNS0_4arch9wavefront6targetE0EEEvSK_,"axG",@progbits,_ZN7rocprim17ROCPRIM_400000_NS6detail17trampoline_kernelINS0_14default_configENS1_36segmented_radix_sort_config_selectorIblEEZNS1_25segmented_radix_sort_implIS3_Lb1EPKbPbPKlPlN2at6native12_GLOBAL__N_18offset_tEEE10hipError_tPvRmT1_PNSt15iterator_traitsISK_E10value_typeET2_T3_PNSL_ISQ_E10value_typeET4_jRbjT5_SW_jjP12ihipStream_tbEUlT_E_NS1_11comp_targetILNS1_3genE4ELNS1_11target_archE910ELNS1_3gpuE8ELNS1_3repE0EEENS1_30default_config_static_selectorELNS0_4arch9wavefront6targetE0EEEvSK_,comdat
	.globl	_ZN7rocprim17ROCPRIM_400000_NS6detail17trampoline_kernelINS0_14default_configENS1_36segmented_radix_sort_config_selectorIblEEZNS1_25segmented_radix_sort_implIS3_Lb1EPKbPbPKlPlN2at6native12_GLOBAL__N_18offset_tEEE10hipError_tPvRmT1_PNSt15iterator_traitsISK_E10value_typeET2_T3_PNSL_ISQ_E10value_typeET4_jRbjT5_SW_jjP12ihipStream_tbEUlT_E_NS1_11comp_targetILNS1_3genE4ELNS1_11target_archE910ELNS1_3gpuE8ELNS1_3repE0EEENS1_30default_config_static_selectorELNS0_4arch9wavefront6targetE0EEEvSK_ ; -- Begin function _ZN7rocprim17ROCPRIM_400000_NS6detail17trampoline_kernelINS0_14default_configENS1_36segmented_radix_sort_config_selectorIblEEZNS1_25segmented_radix_sort_implIS3_Lb1EPKbPbPKlPlN2at6native12_GLOBAL__N_18offset_tEEE10hipError_tPvRmT1_PNSt15iterator_traitsISK_E10value_typeET2_T3_PNSL_ISQ_E10value_typeET4_jRbjT5_SW_jjP12ihipStream_tbEUlT_E_NS1_11comp_targetILNS1_3genE4ELNS1_11target_archE910ELNS1_3gpuE8ELNS1_3repE0EEENS1_30default_config_static_selectorELNS0_4arch9wavefront6targetE0EEEvSK_
	.p2align	8
	.type	_ZN7rocprim17ROCPRIM_400000_NS6detail17trampoline_kernelINS0_14default_configENS1_36segmented_radix_sort_config_selectorIblEEZNS1_25segmented_radix_sort_implIS3_Lb1EPKbPbPKlPlN2at6native12_GLOBAL__N_18offset_tEEE10hipError_tPvRmT1_PNSt15iterator_traitsISK_E10value_typeET2_T3_PNSL_ISQ_E10value_typeET4_jRbjT5_SW_jjP12ihipStream_tbEUlT_E_NS1_11comp_targetILNS1_3genE4ELNS1_11target_archE910ELNS1_3gpuE8ELNS1_3repE0EEENS1_30default_config_static_selectorELNS0_4arch9wavefront6targetE0EEEvSK_,@function
_ZN7rocprim17ROCPRIM_400000_NS6detail17trampoline_kernelINS0_14default_configENS1_36segmented_radix_sort_config_selectorIblEEZNS1_25segmented_radix_sort_implIS3_Lb1EPKbPbPKlPlN2at6native12_GLOBAL__N_18offset_tEEE10hipError_tPvRmT1_PNSt15iterator_traitsISK_E10value_typeET2_T3_PNSL_ISQ_E10value_typeET4_jRbjT5_SW_jjP12ihipStream_tbEUlT_E_NS1_11comp_targetILNS1_3genE4ELNS1_11target_archE910ELNS1_3gpuE8ELNS1_3repE0EEENS1_30default_config_static_selectorELNS0_4arch9wavefront6targetE0EEEvSK_: ; @_ZN7rocprim17ROCPRIM_400000_NS6detail17trampoline_kernelINS0_14default_configENS1_36segmented_radix_sort_config_selectorIblEEZNS1_25segmented_radix_sort_implIS3_Lb1EPKbPbPKlPlN2at6native12_GLOBAL__N_18offset_tEEE10hipError_tPvRmT1_PNSt15iterator_traitsISK_E10value_typeET2_T3_PNSL_ISQ_E10value_typeET4_jRbjT5_SW_jjP12ihipStream_tbEUlT_E_NS1_11comp_targetILNS1_3genE4ELNS1_11target_archE910ELNS1_3gpuE8ELNS1_3repE0EEENS1_30default_config_static_selectorELNS0_4arch9wavefront6targetE0EEEvSK_
; %bb.0:
	.section	.rodata,"a",@progbits
	.p2align	6, 0x0
	.amdhsa_kernel _ZN7rocprim17ROCPRIM_400000_NS6detail17trampoline_kernelINS0_14default_configENS1_36segmented_radix_sort_config_selectorIblEEZNS1_25segmented_radix_sort_implIS3_Lb1EPKbPbPKlPlN2at6native12_GLOBAL__N_18offset_tEEE10hipError_tPvRmT1_PNSt15iterator_traitsISK_E10value_typeET2_T3_PNSL_ISQ_E10value_typeET4_jRbjT5_SW_jjP12ihipStream_tbEUlT_E_NS1_11comp_targetILNS1_3genE4ELNS1_11target_archE910ELNS1_3gpuE8ELNS1_3repE0EEENS1_30default_config_static_selectorELNS0_4arch9wavefront6targetE0EEEvSK_
		.amdhsa_group_segment_fixed_size 0
		.amdhsa_private_segment_fixed_size 0
		.amdhsa_kernarg_size 96
		.amdhsa_user_sgpr_count 2
		.amdhsa_user_sgpr_dispatch_ptr 0
		.amdhsa_user_sgpr_queue_ptr 0
		.amdhsa_user_sgpr_kernarg_segment_ptr 1
		.amdhsa_user_sgpr_dispatch_id 0
		.amdhsa_user_sgpr_kernarg_preload_length 0
		.amdhsa_user_sgpr_kernarg_preload_offset 0
		.amdhsa_user_sgpr_private_segment_size 0
		.amdhsa_wavefront_size32 1
		.amdhsa_uses_dynamic_stack 0
		.amdhsa_enable_private_segment 0
		.amdhsa_system_sgpr_workgroup_id_x 1
		.amdhsa_system_sgpr_workgroup_id_y 0
		.amdhsa_system_sgpr_workgroup_id_z 0
		.amdhsa_system_sgpr_workgroup_info 0
		.amdhsa_system_vgpr_workitem_id 0
		.amdhsa_next_free_vgpr 1
		.amdhsa_next_free_sgpr 1
		.amdhsa_named_barrier_count 0
		.amdhsa_reserve_vcc 0
		.amdhsa_float_round_mode_32 0
		.amdhsa_float_round_mode_16_64 0
		.amdhsa_float_denorm_mode_32 3
		.amdhsa_float_denorm_mode_16_64 3
		.amdhsa_fp16_overflow 0
		.amdhsa_memory_ordered 1
		.amdhsa_forward_progress 1
		.amdhsa_inst_pref_size 0
		.amdhsa_round_robin_scheduling 0
		.amdhsa_exception_fp_ieee_invalid_op 0
		.amdhsa_exception_fp_denorm_src 0
		.amdhsa_exception_fp_ieee_div_zero 0
		.amdhsa_exception_fp_ieee_overflow 0
		.amdhsa_exception_fp_ieee_underflow 0
		.amdhsa_exception_fp_ieee_inexact 0
		.amdhsa_exception_int_div_zero 0
	.end_amdhsa_kernel
	.section	.text._ZN7rocprim17ROCPRIM_400000_NS6detail17trampoline_kernelINS0_14default_configENS1_36segmented_radix_sort_config_selectorIblEEZNS1_25segmented_radix_sort_implIS3_Lb1EPKbPbPKlPlN2at6native12_GLOBAL__N_18offset_tEEE10hipError_tPvRmT1_PNSt15iterator_traitsISK_E10value_typeET2_T3_PNSL_ISQ_E10value_typeET4_jRbjT5_SW_jjP12ihipStream_tbEUlT_E_NS1_11comp_targetILNS1_3genE4ELNS1_11target_archE910ELNS1_3gpuE8ELNS1_3repE0EEENS1_30default_config_static_selectorELNS0_4arch9wavefront6targetE0EEEvSK_,"axG",@progbits,_ZN7rocprim17ROCPRIM_400000_NS6detail17trampoline_kernelINS0_14default_configENS1_36segmented_radix_sort_config_selectorIblEEZNS1_25segmented_radix_sort_implIS3_Lb1EPKbPbPKlPlN2at6native12_GLOBAL__N_18offset_tEEE10hipError_tPvRmT1_PNSt15iterator_traitsISK_E10value_typeET2_T3_PNSL_ISQ_E10value_typeET4_jRbjT5_SW_jjP12ihipStream_tbEUlT_E_NS1_11comp_targetILNS1_3genE4ELNS1_11target_archE910ELNS1_3gpuE8ELNS1_3repE0EEENS1_30default_config_static_selectorELNS0_4arch9wavefront6targetE0EEEvSK_,comdat
.Lfunc_end1527:
	.size	_ZN7rocprim17ROCPRIM_400000_NS6detail17trampoline_kernelINS0_14default_configENS1_36segmented_radix_sort_config_selectorIblEEZNS1_25segmented_radix_sort_implIS3_Lb1EPKbPbPKlPlN2at6native12_GLOBAL__N_18offset_tEEE10hipError_tPvRmT1_PNSt15iterator_traitsISK_E10value_typeET2_T3_PNSL_ISQ_E10value_typeET4_jRbjT5_SW_jjP12ihipStream_tbEUlT_E_NS1_11comp_targetILNS1_3genE4ELNS1_11target_archE910ELNS1_3gpuE8ELNS1_3repE0EEENS1_30default_config_static_selectorELNS0_4arch9wavefront6targetE0EEEvSK_, .Lfunc_end1527-_ZN7rocprim17ROCPRIM_400000_NS6detail17trampoline_kernelINS0_14default_configENS1_36segmented_radix_sort_config_selectorIblEEZNS1_25segmented_radix_sort_implIS3_Lb1EPKbPbPKlPlN2at6native12_GLOBAL__N_18offset_tEEE10hipError_tPvRmT1_PNSt15iterator_traitsISK_E10value_typeET2_T3_PNSL_ISQ_E10value_typeET4_jRbjT5_SW_jjP12ihipStream_tbEUlT_E_NS1_11comp_targetILNS1_3genE4ELNS1_11target_archE910ELNS1_3gpuE8ELNS1_3repE0EEENS1_30default_config_static_selectorELNS0_4arch9wavefront6targetE0EEEvSK_
                                        ; -- End function
	.set _ZN7rocprim17ROCPRIM_400000_NS6detail17trampoline_kernelINS0_14default_configENS1_36segmented_radix_sort_config_selectorIblEEZNS1_25segmented_radix_sort_implIS3_Lb1EPKbPbPKlPlN2at6native12_GLOBAL__N_18offset_tEEE10hipError_tPvRmT1_PNSt15iterator_traitsISK_E10value_typeET2_T3_PNSL_ISQ_E10value_typeET4_jRbjT5_SW_jjP12ihipStream_tbEUlT_E_NS1_11comp_targetILNS1_3genE4ELNS1_11target_archE910ELNS1_3gpuE8ELNS1_3repE0EEENS1_30default_config_static_selectorELNS0_4arch9wavefront6targetE0EEEvSK_.num_vgpr, 0
	.set _ZN7rocprim17ROCPRIM_400000_NS6detail17trampoline_kernelINS0_14default_configENS1_36segmented_radix_sort_config_selectorIblEEZNS1_25segmented_radix_sort_implIS3_Lb1EPKbPbPKlPlN2at6native12_GLOBAL__N_18offset_tEEE10hipError_tPvRmT1_PNSt15iterator_traitsISK_E10value_typeET2_T3_PNSL_ISQ_E10value_typeET4_jRbjT5_SW_jjP12ihipStream_tbEUlT_E_NS1_11comp_targetILNS1_3genE4ELNS1_11target_archE910ELNS1_3gpuE8ELNS1_3repE0EEENS1_30default_config_static_selectorELNS0_4arch9wavefront6targetE0EEEvSK_.num_agpr, 0
	.set _ZN7rocprim17ROCPRIM_400000_NS6detail17trampoline_kernelINS0_14default_configENS1_36segmented_radix_sort_config_selectorIblEEZNS1_25segmented_radix_sort_implIS3_Lb1EPKbPbPKlPlN2at6native12_GLOBAL__N_18offset_tEEE10hipError_tPvRmT1_PNSt15iterator_traitsISK_E10value_typeET2_T3_PNSL_ISQ_E10value_typeET4_jRbjT5_SW_jjP12ihipStream_tbEUlT_E_NS1_11comp_targetILNS1_3genE4ELNS1_11target_archE910ELNS1_3gpuE8ELNS1_3repE0EEENS1_30default_config_static_selectorELNS0_4arch9wavefront6targetE0EEEvSK_.numbered_sgpr, 0
	.set _ZN7rocprim17ROCPRIM_400000_NS6detail17trampoline_kernelINS0_14default_configENS1_36segmented_radix_sort_config_selectorIblEEZNS1_25segmented_radix_sort_implIS3_Lb1EPKbPbPKlPlN2at6native12_GLOBAL__N_18offset_tEEE10hipError_tPvRmT1_PNSt15iterator_traitsISK_E10value_typeET2_T3_PNSL_ISQ_E10value_typeET4_jRbjT5_SW_jjP12ihipStream_tbEUlT_E_NS1_11comp_targetILNS1_3genE4ELNS1_11target_archE910ELNS1_3gpuE8ELNS1_3repE0EEENS1_30default_config_static_selectorELNS0_4arch9wavefront6targetE0EEEvSK_.num_named_barrier, 0
	.set _ZN7rocprim17ROCPRIM_400000_NS6detail17trampoline_kernelINS0_14default_configENS1_36segmented_radix_sort_config_selectorIblEEZNS1_25segmented_radix_sort_implIS3_Lb1EPKbPbPKlPlN2at6native12_GLOBAL__N_18offset_tEEE10hipError_tPvRmT1_PNSt15iterator_traitsISK_E10value_typeET2_T3_PNSL_ISQ_E10value_typeET4_jRbjT5_SW_jjP12ihipStream_tbEUlT_E_NS1_11comp_targetILNS1_3genE4ELNS1_11target_archE910ELNS1_3gpuE8ELNS1_3repE0EEENS1_30default_config_static_selectorELNS0_4arch9wavefront6targetE0EEEvSK_.private_seg_size, 0
	.set _ZN7rocprim17ROCPRIM_400000_NS6detail17trampoline_kernelINS0_14default_configENS1_36segmented_radix_sort_config_selectorIblEEZNS1_25segmented_radix_sort_implIS3_Lb1EPKbPbPKlPlN2at6native12_GLOBAL__N_18offset_tEEE10hipError_tPvRmT1_PNSt15iterator_traitsISK_E10value_typeET2_T3_PNSL_ISQ_E10value_typeET4_jRbjT5_SW_jjP12ihipStream_tbEUlT_E_NS1_11comp_targetILNS1_3genE4ELNS1_11target_archE910ELNS1_3gpuE8ELNS1_3repE0EEENS1_30default_config_static_selectorELNS0_4arch9wavefront6targetE0EEEvSK_.uses_vcc, 0
	.set _ZN7rocprim17ROCPRIM_400000_NS6detail17trampoline_kernelINS0_14default_configENS1_36segmented_radix_sort_config_selectorIblEEZNS1_25segmented_radix_sort_implIS3_Lb1EPKbPbPKlPlN2at6native12_GLOBAL__N_18offset_tEEE10hipError_tPvRmT1_PNSt15iterator_traitsISK_E10value_typeET2_T3_PNSL_ISQ_E10value_typeET4_jRbjT5_SW_jjP12ihipStream_tbEUlT_E_NS1_11comp_targetILNS1_3genE4ELNS1_11target_archE910ELNS1_3gpuE8ELNS1_3repE0EEENS1_30default_config_static_selectorELNS0_4arch9wavefront6targetE0EEEvSK_.uses_flat_scratch, 0
	.set _ZN7rocprim17ROCPRIM_400000_NS6detail17trampoline_kernelINS0_14default_configENS1_36segmented_radix_sort_config_selectorIblEEZNS1_25segmented_radix_sort_implIS3_Lb1EPKbPbPKlPlN2at6native12_GLOBAL__N_18offset_tEEE10hipError_tPvRmT1_PNSt15iterator_traitsISK_E10value_typeET2_T3_PNSL_ISQ_E10value_typeET4_jRbjT5_SW_jjP12ihipStream_tbEUlT_E_NS1_11comp_targetILNS1_3genE4ELNS1_11target_archE910ELNS1_3gpuE8ELNS1_3repE0EEENS1_30default_config_static_selectorELNS0_4arch9wavefront6targetE0EEEvSK_.has_dyn_sized_stack, 0
	.set _ZN7rocprim17ROCPRIM_400000_NS6detail17trampoline_kernelINS0_14default_configENS1_36segmented_radix_sort_config_selectorIblEEZNS1_25segmented_radix_sort_implIS3_Lb1EPKbPbPKlPlN2at6native12_GLOBAL__N_18offset_tEEE10hipError_tPvRmT1_PNSt15iterator_traitsISK_E10value_typeET2_T3_PNSL_ISQ_E10value_typeET4_jRbjT5_SW_jjP12ihipStream_tbEUlT_E_NS1_11comp_targetILNS1_3genE4ELNS1_11target_archE910ELNS1_3gpuE8ELNS1_3repE0EEENS1_30default_config_static_selectorELNS0_4arch9wavefront6targetE0EEEvSK_.has_recursion, 0
	.set _ZN7rocprim17ROCPRIM_400000_NS6detail17trampoline_kernelINS0_14default_configENS1_36segmented_radix_sort_config_selectorIblEEZNS1_25segmented_radix_sort_implIS3_Lb1EPKbPbPKlPlN2at6native12_GLOBAL__N_18offset_tEEE10hipError_tPvRmT1_PNSt15iterator_traitsISK_E10value_typeET2_T3_PNSL_ISQ_E10value_typeET4_jRbjT5_SW_jjP12ihipStream_tbEUlT_E_NS1_11comp_targetILNS1_3genE4ELNS1_11target_archE910ELNS1_3gpuE8ELNS1_3repE0EEENS1_30default_config_static_selectorELNS0_4arch9wavefront6targetE0EEEvSK_.has_indirect_call, 0
	.section	.AMDGPU.csdata,"",@progbits
; Kernel info:
; codeLenInByte = 0
; TotalNumSgprs: 0
; NumVgprs: 0
; ScratchSize: 0
; MemoryBound: 0
; FloatMode: 240
; IeeeMode: 1
; LDSByteSize: 0 bytes/workgroup (compile time only)
; SGPRBlocks: 0
; VGPRBlocks: 0
; NumSGPRsForWavesPerEU: 1
; NumVGPRsForWavesPerEU: 1
; NamedBarCnt: 0
; Occupancy: 16
; WaveLimiterHint : 0
; COMPUTE_PGM_RSRC2:SCRATCH_EN: 0
; COMPUTE_PGM_RSRC2:USER_SGPR: 2
; COMPUTE_PGM_RSRC2:TRAP_HANDLER: 0
; COMPUTE_PGM_RSRC2:TGID_X_EN: 1
; COMPUTE_PGM_RSRC2:TGID_Y_EN: 0
; COMPUTE_PGM_RSRC2:TGID_Z_EN: 0
; COMPUTE_PGM_RSRC2:TIDIG_COMP_CNT: 0
	.section	.text._ZN7rocprim17ROCPRIM_400000_NS6detail17trampoline_kernelINS0_14default_configENS1_36segmented_radix_sort_config_selectorIblEEZNS1_25segmented_radix_sort_implIS3_Lb1EPKbPbPKlPlN2at6native12_GLOBAL__N_18offset_tEEE10hipError_tPvRmT1_PNSt15iterator_traitsISK_E10value_typeET2_T3_PNSL_ISQ_E10value_typeET4_jRbjT5_SW_jjP12ihipStream_tbEUlT_E_NS1_11comp_targetILNS1_3genE3ELNS1_11target_archE908ELNS1_3gpuE7ELNS1_3repE0EEENS1_30default_config_static_selectorELNS0_4arch9wavefront6targetE0EEEvSK_,"axG",@progbits,_ZN7rocprim17ROCPRIM_400000_NS6detail17trampoline_kernelINS0_14default_configENS1_36segmented_radix_sort_config_selectorIblEEZNS1_25segmented_radix_sort_implIS3_Lb1EPKbPbPKlPlN2at6native12_GLOBAL__N_18offset_tEEE10hipError_tPvRmT1_PNSt15iterator_traitsISK_E10value_typeET2_T3_PNSL_ISQ_E10value_typeET4_jRbjT5_SW_jjP12ihipStream_tbEUlT_E_NS1_11comp_targetILNS1_3genE3ELNS1_11target_archE908ELNS1_3gpuE7ELNS1_3repE0EEENS1_30default_config_static_selectorELNS0_4arch9wavefront6targetE0EEEvSK_,comdat
	.globl	_ZN7rocprim17ROCPRIM_400000_NS6detail17trampoline_kernelINS0_14default_configENS1_36segmented_radix_sort_config_selectorIblEEZNS1_25segmented_radix_sort_implIS3_Lb1EPKbPbPKlPlN2at6native12_GLOBAL__N_18offset_tEEE10hipError_tPvRmT1_PNSt15iterator_traitsISK_E10value_typeET2_T3_PNSL_ISQ_E10value_typeET4_jRbjT5_SW_jjP12ihipStream_tbEUlT_E_NS1_11comp_targetILNS1_3genE3ELNS1_11target_archE908ELNS1_3gpuE7ELNS1_3repE0EEENS1_30default_config_static_selectorELNS0_4arch9wavefront6targetE0EEEvSK_ ; -- Begin function _ZN7rocprim17ROCPRIM_400000_NS6detail17trampoline_kernelINS0_14default_configENS1_36segmented_radix_sort_config_selectorIblEEZNS1_25segmented_radix_sort_implIS3_Lb1EPKbPbPKlPlN2at6native12_GLOBAL__N_18offset_tEEE10hipError_tPvRmT1_PNSt15iterator_traitsISK_E10value_typeET2_T3_PNSL_ISQ_E10value_typeET4_jRbjT5_SW_jjP12ihipStream_tbEUlT_E_NS1_11comp_targetILNS1_3genE3ELNS1_11target_archE908ELNS1_3gpuE7ELNS1_3repE0EEENS1_30default_config_static_selectorELNS0_4arch9wavefront6targetE0EEEvSK_
	.p2align	8
	.type	_ZN7rocprim17ROCPRIM_400000_NS6detail17trampoline_kernelINS0_14default_configENS1_36segmented_radix_sort_config_selectorIblEEZNS1_25segmented_radix_sort_implIS3_Lb1EPKbPbPKlPlN2at6native12_GLOBAL__N_18offset_tEEE10hipError_tPvRmT1_PNSt15iterator_traitsISK_E10value_typeET2_T3_PNSL_ISQ_E10value_typeET4_jRbjT5_SW_jjP12ihipStream_tbEUlT_E_NS1_11comp_targetILNS1_3genE3ELNS1_11target_archE908ELNS1_3gpuE7ELNS1_3repE0EEENS1_30default_config_static_selectorELNS0_4arch9wavefront6targetE0EEEvSK_,@function
_ZN7rocprim17ROCPRIM_400000_NS6detail17trampoline_kernelINS0_14default_configENS1_36segmented_radix_sort_config_selectorIblEEZNS1_25segmented_radix_sort_implIS3_Lb1EPKbPbPKlPlN2at6native12_GLOBAL__N_18offset_tEEE10hipError_tPvRmT1_PNSt15iterator_traitsISK_E10value_typeET2_T3_PNSL_ISQ_E10value_typeET4_jRbjT5_SW_jjP12ihipStream_tbEUlT_E_NS1_11comp_targetILNS1_3genE3ELNS1_11target_archE908ELNS1_3gpuE7ELNS1_3repE0EEENS1_30default_config_static_selectorELNS0_4arch9wavefront6targetE0EEEvSK_: ; @_ZN7rocprim17ROCPRIM_400000_NS6detail17trampoline_kernelINS0_14default_configENS1_36segmented_radix_sort_config_selectorIblEEZNS1_25segmented_radix_sort_implIS3_Lb1EPKbPbPKlPlN2at6native12_GLOBAL__N_18offset_tEEE10hipError_tPvRmT1_PNSt15iterator_traitsISK_E10value_typeET2_T3_PNSL_ISQ_E10value_typeET4_jRbjT5_SW_jjP12ihipStream_tbEUlT_E_NS1_11comp_targetILNS1_3genE3ELNS1_11target_archE908ELNS1_3gpuE7ELNS1_3repE0EEENS1_30default_config_static_selectorELNS0_4arch9wavefront6targetE0EEEvSK_
; %bb.0:
	.section	.rodata,"a",@progbits
	.p2align	6, 0x0
	.amdhsa_kernel _ZN7rocprim17ROCPRIM_400000_NS6detail17trampoline_kernelINS0_14default_configENS1_36segmented_radix_sort_config_selectorIblEEZNS1_25segmented_radix_sort_implIS3_Lb1EPKbPbPKlPlN2at6native12_GLOBAL__N_18offset_tEEE10hipError_tPvRmT1_PNSt15iterator_traitsISK_E10value_typeET2_T3_PNSL_ISQ_E10value_typeET4_jRbjT5_SW_jjP12ihipStream_tbEUlT_E_NS1_11comp_targetILNS1_3genE3ELNS1_11target_archE908ELNS1_3gpuE7ELNS1_3repE0EEENS1_30default_config_static_selectorELNS0_4arch9wavefront6targetE0EEEvSK_
		.amdhsa_group_segment_fixed_size 0
		.amdhsa_private_segment_fixed_size 0
		.amdhsa_kernarg_size 96
		.amdhsa_user_sgpr_count 2
		.amdhsa_user_sgpr_dispatch_ptr 0
		.amdhsa_user_sgpr_queue_ptr 0
		.amdhsa_user_sgpr_kernarg_segment_ptr 1
		.amdhsa_user_sgpr_dispatch_id 0
		.amdhsa_user_sgpr_kernarg_preload_length 0
		.amdhsa_user_sgpr_kernarg_preload_offset 0
		.amdhsa_user_sgpr_private_segment_size 0
		.amdhsa_wavefront_size32 1
		.amdhsa_uses_dynamic_stack 0
		.amdhsa_enable_private_segment 0
		.amdhsa_system_sgpr_workgroup_id_x 1
		.amdhsa_system_sgpr_workgroup_id_y 0
		.amdhsa_system_sgpr_workgroup_id_z 0
		.amdhsa_system_sgpr_workgroup_info 0
		.amdhsa_system_vgpr_workitem_id 0
		.amdhsa_next_free_vgpr 1
		.amdhsa_next_free_sgpr 1
		.amdhsa_named_barrier_count 0
		.amdhsa_reserve_vcc 0
		.amdhsa_float_round_mode_32 0
		.amdhsa_float_round_mode_16_64 0
		.amdhsa_float_denorm_mode_32 3
		.amdhsa_float_denorm_mode_16_64 3
		.amdhsa_fp16_overflow 0
		.amdhsa_memory_ordered 1
		.amdhsa_forward_progress 1
		.amdhsa_inst_pref_size 0
		.amdhsa_round_robin_scheduling 0
		.amdhsa_exception_fp_ieee_invalid_op 0
		.amdhsa_exception_fp_denorm_src 0
		.amdhsa_exception_fp_ieee_div_zero 0
		.amdhsa_exception_fp_ieee_overflow 0
		.amdhsa_exception_fp_ieee_underflow 0
		.amdhsa_exception_fp_ieee_inexact 0
		.amdhsa_exception_int_div_zero 0
	.end_amdhsa_kernel
	.section	.text._ZN7rocprim17ROCPRIM_400000_NS6detail17trampoline_kernelINS0_14default_configENS1_36segmented_radix_sort_config_selectorIblEEZNS1_25segmented_radix_sort_implIS3_Lb1EPKbPbPKlPlN2at6native12_GLOBAL__N_18offset_tEEE10hipError_tPvRmT1_PNSt15iterator_traitsISK_E10value_typeET2_T3_PNSL_ISQ_E10value_typeET4_jRbjT5_SW_jjP12ihipStream_tbEUlT_E_NS1_11comp_targetILNS1_3genE3ELNS1_11target_archE908ELNS1_3gpuE7ELNS1_3repE0EEENS1_30default_config_static_selectorELNS0_4arch9wavefront6targetE0EEEvSK_,"axG",@progbits,_ZN7rocprim17ROCPRIM_400000_NS6detail17trampoline_kernelINS0_14default_configENS1_36segmented_radix_sort_config_selectorIblEEZNS1_25segmented_radix_sort_implIS3_Lb1EPKbPbPKlPlN2at6native12_GLOBAL__N_18offset_tEEE10hipError_tPvRmT1_PNSt15iterator_traitsISK_E10value_typeET2_T3_PNSL_ISQ_E10value_typeET4_jRbjT5_SW_jjP12ihipStream_tbEUlT_E_NS1_11comp_targetILNS1_3genE3ELNS1_11target_archE908ELNS1_3gpuE7ELNS1_3repE0EEENS1_30default_config_static_selectorELNS0_4arch9wavefront6targetE0EEEvSK_,comdat
.Lfunc_end1528:
	.size	_ZN7rocprim17ROCPRIM_400000_NS6detail17trampoline_kernelINS0_14default_configENS1_36segmented_radix_sort_config_selectorIblEEZNS1_25segmented_radix_sort_implIS3_Lb1EPKbPbPKlPlN2at6native12_GLOBAL__N_18offset_tEEE10hipError_tPvRmT1_PNSt15iterator_traitsISK_E10value_typeET2_T3_PNSL_ISQ_E10value_typeET4_jRbjT5_SW_jjP12ihipStream_tbEUlT_E_NS1_11comp_targetILNS1_3genE3ELNS1_11target_archE908ELNS1_3gpuE7ELNS1_3repE0EEENS1_30default_config_static_selectorELNS0_4arch9wavefront6targetE0EEEvSK_, .Lfunc_end1528-_ZN7rocprim17ROCPRIM_400000_NS6detail17trampoline_kernelINS0_14default_configENS1_36segmented_radix_sort_config_selectorIblEEZNS1_25segmented_radix_sort_implIS3_Lb1EPKbPbPKlPlN2at6native12_GLOBAL__N_18offset_tEEE10hipError_tPvRmT1_PNSt15iterator_traitsISK_E10value_typeET2_T3_PNSL_ISQ_E10value_typeET4_jRbjT5_SW_jjP12ihipStream_tbEUlT_E_NS1_11comp_targetILNS1_3genE3ELNS1_11target_archE908ELNS1_3gpuE7ELNS1_3repE0EEENS1_30default_config_static_selectorELNS0_4arch9wavefront6targetE0EEEvSK_
                                        ; -- End function
	.set _ZN7rocprim17ROCPRIM_400000_NS6detail17trampoline_kernelINS0_14default_configENS1_36segmented_radix_sort_config_selectorIblEEZNS1_25segmented_radix_sort_implIS3_Lb1EPKbPbPKlPlN2at6native12_GLOBAL__N_18offset_tEEE10hipError_tPvRmT1_PNSt15iterator_traitsISK_E10value_typeET2_T3_PNSL_ISQ_E10value_typeET4_jRbjT5_SW_jjP12ihipStream_tbEUlT_E_NS1_11comp_targetILNS1_3genE3ELNS1_11target_archE908ELNS1_3gpuE7ELNS1_3repE0EEENS1_30default_config_static_selectorELNS0_4arch9wavefront6targetE0EEEvSK_.num_vgpr, 0
	.set _ZN7rocprim17ROCPRIM_400000_NS6detail17trampoline_kernelINS0_14default_configENS1_36segmented_radix_sort_config_selectorIblEEZNS1_25segmented_radix_sort_implIS3_Lb1EPKbPbPKlPlN2at6native12_GLOBAL__N_18offset_tEEE10hipError_tPvRmT1_PNSt15iterator_traitsISK_E10value_typeET2_T3_PNSL_ISQ_E10value_typeET4_jRbjT5_SW_jjP12ihipStream_tbEUlT_E_NS1_11comp_targetILNS1_3genE3ELNS1_11target_archE908ELNS1_3gpuE7ELNS1_3repE0EEENS1_30default_config_static_selectorELNS0_4arch9wavefront6targetE0EEEvSK_.num_agpr, 0
	.set _ZN7rocprim17ROCPRIM_400000_NS6detail17trampoline_kernelINS0_14default_configENS1_36segmented_radix_sort_config_selectorIblEEZNS1_25segmented_radix_sort_implIS3_Lb1EPKbPbPKlPlN2at6native12_GLOBAL__N_18offset_tEEE10hipError_tPvRmT1_PNSt15iterator_traitsISK_E10value_typeET2_T3_PNSL_ISQ_E10value_typeET4_jRbjT5_SW_jjP12ihipStream_tbEUlT_E_NS1_11comp_targetILNS1_3genE3ELNS1_11target_archE908ELNS1_3gpuE7ELNS1_3repE0EEENS1_30default_config_static_selectorELNS0_4arch9wavefront6targetE0EEEvSK_.numbered_sgpr, 0
	.set _ZN7rocprim17ROCPRIM_400000_NS6detail17trampoline_kernelINS0_14default_configENS1_36segmented_radix_sort_config_selectorIblEEZNS1_25segmented_radix_sort_implIS3_Lb1EPKbPbPKlPlN2at6native12_GLOBAL__N_18offset_tEEE10hipError_tPvRmT1_PNSt15iterator_traitsISK_E10value_typeET2_T3_PNSL_ISQ_E10value_typeET4_jRbjT5_SW_jjP12ihipStream_tbEUlT_E_NS1_11comp_targetILNS1_3genE3ELNS1_11target_archE908ELNS1_3gpuE7ELNS1_3repE0EEENS1_30default_config_static_selectorELNS0_4arch9wavefront6targetE0EEEvSK_.num_named_barrier, 0
	.set _ZN7rocprim17ROCPRIM_400000_NS6detail17trampoline_kernelINS0_14default_configENS1_36segmented_radix_sort_config_selectorIblEEZNS1_25segmented_radix_sort_implIS3_Lb1EPKbPbPKlPlN2at6native12_GLOBAL__N_18offset_tEEE10hipError_tPvRmT1_PNSt15iterator_traitsISK_E10value_typeET2_T3_PNSL_ISQ_E10value_typeET4_jRbjT5_SW_jjP12ihipStream_tbEUlT_E_NS1_11comp_targetILNS1_3genE3ELNS1_11target_archE908ELNS1_3gpuE7ELNS1_3repE0EEENS1_30default_config_static_selectorELNS0_4arch9wavefront6targetE0EEEvSK_.private_seg_size, 0
	.set _ZN7rocprim17ROCPRIM_400000_NS6detail17trampoline_kernelINS0_14default_configENS1_36segmented_radix_sort_config_selectorIblEEZNS1_25segmented_radix_sort_implIS3_Lb1EPKbPbPKlPlN2at6native12_GLOBAL__N_18offset_tEEE10hipError_tPvRmT1_PNSt15iterator_traitsISK_E10value_typeET2_T3_PNSL_ISQ_E10value_typeET4_jRbjT5_SW_jjP12ihipStream_tbEUlT_E_NS1_11comp_targetILNS1_3genE3ELNS1_11target_archE908ELNS1_3gpuE7ELNS1_3repE0EEENS1_30default_config_static_selectorELNS0_4arch9wavefront6targetE0EEEvSK_.uses_vcc, 0
	.set _ZN7rocprim17ROCPRIM_400000_NS6detail17trampoline_kernelINS0_14default_configENS1_36segmented_radix_sort_config_selectorIblEEZNS1_25segmented_radix_sort_implIS3_Lb1EPKbPbPKlPlN2at6native12_GLOBAL__N_18offset_tEEE10hipError_tPvRmT1_PNSt15iterator_traitsISK_E10value_typeET2_T3_PNSL_ISQ_E10value_typeET4_jRbjT5_SW_jjP12ihipStream_tbEUlT_E_NS1_11comp_targetILNS1_3genE3ELNS1_11target_archE908ELNS1_3gpuE7ELNS1_3repE0EEENS1_30default_config_static_selectorELNS0_4arch9wavefront6targetE0EEEvSK_.uses_flat_scratch, 0
	.set _ZN7rocprim17ROCPRIM_400000_NS6detail17trampoline_kernelINS0_14default_configENS1_36segmented_radix_sort_config_selectorIblEEZNS1_25segmented_radix_sort_implIS3_Lb1EPKbPbPKlPlN2at6native12_GLOBAL__N_18offset_tEEE10hipError_tPvRmT1_PNSt15iterator_traitsISK_E10value_typeET2_T3_PNSL_ISQ_E10value_typeET4_jRbjT5_SW_jjP12ihipStream_tbEUlT_E_NS1_11comp_targetILNS1_3genE3ELNS1_11target_archE908ELNS1_3gpuE7ELNS1_3repE0EEENS1_30default_config_static_selectorELNS0_4arch9wavefront6targetE0EEEvSK_.has_dyn_sized_stack, 0
	.set _ZN7rocprim17ROCPRIM_400000_NS6detail17trampoline_kernelINS0_14default_configENS1_36segmented_radix_sort_config_selectorIblEEZNS1_25segmented_radix_sort_implIS3_Lb1EPKbPbPKlPlN2at6native12_GLOBAL__N_18offset_tEEE10hipError_tPvRmT1_PNSt15iterator_traitsISK_E10value_typeET2_T3_PNSL_ISQ_E10value_typeET4_jRbjT5_SW_jjP12ihipStream_tbEUlT_E_NS1_11comp_targetILNS1_3genE3ELNS1_11target_archE908ELNS1_3gpuE7ELNS1_3repE0EEENS1_30default_config_static_selectorELNS0_4arch9wavefront6targetE0EEEvSK_.has_recursion, 0
	.set _ZN7rocprim17ROCPRIM_400000_NS6detail17trampoline_kernelINS0_14default_configENS1_36segmented_radix_sort_config_selectorIblEEZNS1_25segmented_radix_sort_implIS3_Lb1EPKbPbPKlPlN2at6native12_GLOBAL__N_18offset_tEEE10hipError_tPvRmT1_PNSt15iterator_traitsISK_E10value_typeET2_T3_PNSL_ISQ_E10value_typeET4_jRbjT5_SW_jjP12ihipStream_tbEUlT_E_NS1_11comp_targetILNS1_3genE3ELNS1_11target_archE908ELNS1_3gpuE7ELNS1_3repE0EEENS1_30default_config_static_selectorELNS0_4arch9wavefront6targetE0EEEvSK_.has_indirect_call, 0
	.section	.AMDGPU.csdata,"",@progbits
; Kernel info:
; codeLenInByte = 0
; TotalNumSgprs: 0
; NumVgprs: 0
; ScratchSize: 0
; MemoryBound: 0
; FloatMode: 240
; IeeeMode: 1
; LDSByteSize: 0 bytes/workgroup (compile time only)
; SGPRBlocks: 0
; VGPRBlocks: 0
; NumSGPRsForWavesPerEU: 1
; NumVGPRsForWavesPerEU: 1
; NamedBarCnt: 0
; Occupancy: 16
; WaveLimiterHint : 0
; COMPUTE_PGM_RSRC2:SCRATCH_EN: 0
; COMPUTE_PGM_RSRC2:USER_SGPR: 2
; COMPUTE_PGM_RSRC2:TRAP_HANDLER: 0
; COMPUTE_PGM_RSRC2:TGID_X_EN: 1
; COMPUTE_PGM_RSRC2:TGID_Y_EN: 0
; COMPUTE_PGM_RSRC2:TGID_Z_EN: 0
; COMPUTE_PGM_RSRC2:TIDIG_COMP_CNT: 0
	.section	.text._ZN7rocprim17ROCPRIM_400000_NS6detail17trampoline_kernelINS0_14default_configENS1_36segmented_radix_sort_config_selectorIblEEZNS1_25segmented_radix_sort_implIS3_Lb1EPKbPbPKlPlN2at6native12_GLOBAL__N_18offset_tEEE10hipError_tPvRmT1_PNSt15iterator_traitsISK_E10value_typeET2_T3_PNSL_ISQ_E10value_typeET4_jRbjT5_SW_jjP12ihipStream_tbEUlT_E_NS1_11comp_targetILNS1_3genE2ELNS1_11target_archE906ELNS1_3gpuE6ELNS1_3repE0EEENS1_30default_config_static_selectorELNS0_4arch9wavefront6targetE0EEEvSK_,"axG",@progbits,_ZN7rocprim17ROCPRIM_400000_NS6detail17trampoline_kernelINS0_14default_configENS1_36segmented_radix_sort_config_selectorIblEEZNS1_25segmented_radix_sort_implIS3_Lb1EPKbPbPKlPlN2at6native12_GLOBAL__N_18offset_tEEE10hipError_tPvRmT1_PNSt15iterator_traitsISK_E10value_typeET2_T3_PNSL_ISQ_E10value_typeET4_jRbjT5_SW_jjP12ihipStream_tbEUlT_E_NS1_11comp_targetILNS1_3genE2ELNS1_11target_archE906ELNS1_3gpuE6ELNS1_3repE0EEENS1_30default_config_static_selectorELNS0_4arch9wavefront6targetE0EEEvSK_,comdat
	.globl	_ZN7rocprim17ROCPRIM_400000_NS6detail17trampoline_kernelINS0_14default_configENS1_36segmented_radix_sort_config_selectorIblEEZNS1_25segmented_radix_sort_implIS3_Lb1EPKbPbPKlPlN2at6native12_GLOBAL__N_18offset_tEEE10hipError_tPvRmT1_PNSt15iterator_traitsISK_E10value_typeET2_T3_PNSL_ISQ_E10value_typeET4_jRbjT5_SW_jjP12ihipStream_tbEUlT_E_NS1_11comp_targetILNS1_3genE2ELNS1_11target_archE906ELNS1_3gpuE6ELNS1_3repE0EEENS1_30default_config_static_selectorELNS0_4arch9wavefront6targetE0EEEvSK_ ; -- Begin function _ZN7rocprim17ROCPRIM_400000_NS6detail17trampoline_kernelINS0_14default_configENS1_36segmented_radix_sort_config_selectorIblEEZNS1_25segmented_radix_sort_implIS3_Lb1EPKbPbPKlPlN2at6native12_GLOBAL__N_18offset_tEEE10hipError_tPvRmT1_PNSt15iterator_traitsISK_E10value_typeET2_T3_PNSL_ISQ_E10value_typeET4_jRbjT5_SW_jjP12ihipStream_tbEUlT_E_NS1_11comp_targetILNS1_3genE2ELNS1_11target_archE906ELNS1_3gpuE6ELNS1_3repE0EEENS1_30default_config_static_selectorELNS0_4arch9wavefront6targetE0EEEvSK_
	.p2align	8
	.type	_ZN7rocprim17ROCPRIM_400000_NS6detail17trampoline_kernelINS0_14default_configENS1_36segmented_radix_sort_config_selectorIblEEZNS1_25segmented_radix_sort_implIS3_Lb1EPKbPbPKlPlN2at6native12_GLOBAL__N_18offset_tEEE10hipError_tPvRmT1_PNSt15iterator_traitsISK_E10value_typeET2_T3_PNSL_ISQ_E10value_typeET4_jRbjT5_SW_jjP12ihipStream_tbEUlT_E_NS1_11comp_targetILNS1_3genE2ELNS1_11target_archE906ELNS1_3gpuE6ELNS1_3repE0EEENS1_30default_config_static_selectorELNS0_4arch9wavefront6targetE0EEEvSK_,@function
_ZN7rocprim17ROCPRIM_400000_NS6detail17trampoline_kernelINS0_14default_configENS1_36segmented_radix_sort_config_selectorIblEEZNS1_25segmented_radix_sort_implIS3_Lb1EPKbPbPKlPlN2at6native12_GLOBAL__N_18offset_tEEE10hipError_tPvRmT1_PNSt15iterator_traitsISK_E10value_typeET2_T3_PNSL_ISQ_E10value_typeET4_jRbjT5_SW_jjP12ihipStream_tbEUlT_E_NS1_11comp_targetILNS1_3genE2ELNS1_11target_archE906ELNS1_3gpuE6ELNS1_3repE0EEENS1_30default_config_static_selectorELNS0_4arch9wavefront6targetE0EEEvSK_: ; @_ZN7rocprim17ROCPRIM_400000_NS6detail17trampoline_kernelINS0_14default_configENS1_36segmented_radix_sort_config_selectorIblEEZNS1_25segmented_radix_sort_implIS3_Lb1EPKbPbPKlPlN2at6native12_GLOBAL__N_18offset_tEEE10hipError_tPvRmT1_PNSt15iterator_traitsISK_E10value_typeET2_T3_PNSL_ISQ_E10value_typeET4_jRbjT5_SW_jjP12ihipStream_tbEUlT_E_NS1_11comp_targetILNS1_3genE2ELNS1_11target_archE906ELNS1_3gpuE6ELNS1_3repE0EEENS1_30default_config_static_selectorELNS0_4arch9wavefront6targetE0EEEvSK_
; %bb.0:
	.section	.rodata,"a",@progbits
	.p2align	6, 0x0
	.amdhsa_kernel _ZN7rocprim17ROCPRIM_400000_NS6detail17trampoline_kernelINS0_14default_configENS1_36segmented_radix_sort_config_selectorIblEEZNS1_25segmented_radix_sort_implIS3_Lb1EPKbPbPKlPlN2at6native12_GLOBAL__N_18offset_tEEE10hipError_tPvRmT1_PNSt15iterator_traitsISK_E10value_typeET2_T3_PNSL_ISQ_E10value_typeET4_jRbjT5_SW_jjP12ihipStream_tbEUlT_E_NS1_11comp_targetILNS1_3genE2ELNS1_11target_archE906ELNS1_3gpuE6ELNS1_3repE0EEENS1_30default_config_static_selectorELNS0_4arch9wavefront6targetE0EEEvSK_
		.amdhsa_group_segment_fixed_size 0
		.amdhsa_private_segment_fixed_size 0
		.amdhsa_kernarg_size 96
		.amdhsa_user_sgpr_count 2
		.amdhsa_user_sgpr_dispatch_ptr 0
		.amdhsa_user_sgpr_queue_ptr 0
		.amdhsa_user_sgpr_kernarg_segment_ptr 1
		.amdhsa_user_sgpr_dispatch_id 0
		.amdhsa_user_sgpr_kernarg_preload_length 0
		.amdhsa_user_sgpr_kernarg_preload_offset 0
		.amdhsa_user_sgpr_private_segment_size 0
		.amdhsa_wavefront_size32 1
		.amdhsa_uses_dynamic_stack 0
		.amdhsa_enable_private_segment 0
		.amdhsa_system_sgpr_workgroup_id_x 1
		.amdhsa_system_sgpr_workgroup_id_y 0
		.amdhsa_system_sgpr_workgroup_id_z 0
		.amdhsa_system_sgpr_workgroup_info 0
		.amdhsa_system_vgpr_workitem_id 0
		.amdhsa_next_free_vgpr 1
		.amdhsa_next_free_sgpr 1
		.amdhsa_named_barrier_count 0
		.amdhsa_reserve_vcc 0
		.amdhsa_float_round_mode_32 0
		.amdhsa_float_round_mode_16_64 0
		.amdhsa_float_denorm_mode_32 3
		.amdhsa_float_denorm_mode_16_64 3
		.amdhsa_fp16_overflow 0
		.amdhsa_memory_ordered 1
		.amdhsa_forward_progress 1
		.amdhsa_inst_pref_size 0
		.amdhsa_round_robin_scheduling 0
		.amdhsa_exception_fp_ieee_invalid_op 0
		.amdhsa_exception_fp_denorm_src 0
		.amdhsa_exception_fp_ieee_div_zero 0
		.amdhsa_exception_fp_ieee_overflow 0
		.amdhsa_exception_fp_ieee_underflow 0
		.amdhsa_exception_fp_ieee_inexact 0
		.amdhsa_exception_int_div_zero 0
	.end_amdhsa_kernel
	.section	.text._ZN7rocprim17ROCPRIM_400000_NS6detail17trampoline_kernelINS0_14default_configENS1_36segmented_radix_sort_config_selectorIblEEZNS1_25segmented_radix_sort_implIS3_Lb1EPKbPbPKlPlN2at6native12_GLOBAL__N_18offset_tEEE10hipError_tPvRmT1_PNSt15iterator_traitsISK_E10value_typeET2_T3_PNSL_ISQ_E10value_typeET4_jRbjT5_SW_jjP12ihipStream_tbEUlT_E_NS1_11comp_targetILNS1_3genE2ELNS1_11target_archE906ELNS1_3gpuE6ELNS1_3repE0EEENS1_30default_config_static_selectorELNS0_4arch9wavefront6targetE0EEEvSK_,"axG",@progbits,_ZN7rocprim17ROCPRIM_400000_NS6detail17trampoline_kernelINS0_14default_configENS1_36segmented_radix_sort_config_selectorIblEEZNS1_25segmented_radix_sort_implIS3_Lb1EPKbPbPKlPlN2at6native12_GLOBAL__N_18offset_tEEE10hipError_tPvRmT1_PNSt15iterator_traitsISK_E10value_typeET2_T3_PNSL_ISQ_E10value_typeET4_jRbjT5_SW_jjP12ihipStream_tbEUlT_E_NS1_11comp_targetILNS1_3genE2ELNS1_11target_archE906ELNS1_3gpuE6ELNS1_3repE0EEENS1_30default_config_static_selectorELNS0_4arch9wavefront6targetE0EEEvSK_,comdat
.Lfunc_end1529:
	.size	_ZN7rocprim17ROCPRIM_400000_NS6detail17trampoline_kernelINS0_14default_configENS1_36segmented_radix_sort_config_selectorIblEEZNS1_25segmented_radix_sort_implIS3_Lb1EPKbPbPKlPlN2at6native12_GLOBAL__N_18offset_tEEE10hipError_tPvRmT1_PNSt15iterator_traitsISK_E10value_typeET2_T3_PNSL_ISQ_E10value_typeET4_jRbjT5_SW_jjP12ihipStream_tbEUlT_E_NS1_11comp_targetILNS1_3genE2ELNS1_11target_archE906ELNS1_3gpuE6ELNS1_3repE0EEENS1_30default_config_static_selectorELNS0_4arch9wavefront6targetE0EEEvSK_, .Lfunc_end1529-_ZN7rocprim17ROCPRIM_400000_NS6detail17trampoline_kernelINS0_14default_configENS1_36segmented_radix_sort_config_selectorIblEEZNS1_25segmented_radix_sort_implIS3_Lb1EPKbPbPKlPlN2at6native12_GLOBAL__N_18offset_tEEE10hipError_tPvRmT1_PNSt15iterator_traitsISK_E10value_typeET2_T3_PNSL_ISQ_E10value_typeET4_jRbjT5_SW_jjP12ihipStream_tbEUlT_E_NS1_11comp_targetILNS1_3genE2ELNS1_11target_archE906ELNS1_3gpuE6ELNS1_3repE0EEENS1_30default_config_static_selectorELNS0_4arch9wavefront6targetE0EEEvSK_
                                        ; -- End function
	.set _ZN7rocprim17ROCPRIM_400000_NS6detail17trampoline_kernelINS0_14default_configENS1_36segmented_radix_sort_config_selectorIblEEZNS1_25segmented_radix_sort_implIS3_Lb1EPKbPbPKlPlN2at6native12_GLOBAL__N_18offset_tEEE10hipError_tPvRmT1_PNSt15iterator_traitsISK_E10value_typeET2_T3_PNSL_ISQ_E10value_typeET4_jRbjT5_SW_jjP12ihipStream_tbEUlT_E_NS1_11comp_targetILNS1_3genE2ELNS1_11target_archE906ELNS1_3gpuE6ELNS1_3repE0EEENS1_30default_config_static_selectorELNS0_4arch9wavefront6targetE0EEEvSK_.num_vgpr, 0
	.set _ZN7rocprim17ROCPRIM_400000_NS6detail17trampoline_kernelINS0_14default_configENS1_36segmented_radix_sort_config_selectorIblEEZNS1_25segmented_radix_sort_implIS3_Lb1EPKbPbPKlPlN2at6native12_GLOBAL__N_18offset_tEEE10hipError_tPvRmT1_PNSt15iterator_traitsISK_E10value_typeET2_T3_PNSL_ISQ_E10value_typeET4_jRbjT5_SW_jjP12ihipStream_tbEUlT_E_NS1_11comp_targetILNS1_3genE2ELNS1_11target_archE906ELNS1_3gpuE6ELNS1_3repE0EEENS1_30default_config_static_selectorELNS0_4arch9wavefront6targetE0EEEvSK_.num_agpr, 0
	.set _ZN7rocprim17ROCPRIM_400000_NS6detail17trampoline_kernelINS0_14default_configENS1_36segmented_radix_sort_config_selectorIblEEZNS1_25segmented_radix_sort_implIS3_Lb1EPKbPbPKlPlN2at6native12_GLOBAL__N_18offset_tEEE10hipError_tPvRmT1_PNSt15iterator_traitsISK_E10value_typeET2_T3_PNSL_ISQ_E10value_typeET4_jRbjT5_SW_jjP12ihipStream_tbEUlT_E_NS1_11comp_targetILNS1_3genE2ELNS1_11target_archE906ELNS1_3gpuE6ELNS1_3repE0EEENS1_30default_config_static_selectorELNS0_4arch9wavefront6targetE0EEEvSK_.numbered_sgpr, 0
	.set _ZN7rocprim17ROCPRIM_400000_NS6detail17trampoline_kernelINS0_14default_configENS1_36segmented_radix_sort_config_selectorIblEEZNS1_25segmented_radix_sort_implIS3_Lb1EPKbPbPKlPlN2at6native12_GLOBAL__N_18offset_tEEE10hipError_tPvRmT1_PNSt15iterator_traitsISK_E10value_typeET2_T3_PNSL_ISQ_E10value_typeET4_jRbjT5_SW_jjP12ihipStream_tbEUlT_E_NS1_11comp_targetILNS1_3genE2ELNS1_11target_archE906ELNS1_3gpuE6ELNS1_3repE0EEENS1_30default_config_static_selectorELNS0_4arch9wavefront6targetE0EEEvSK_.num_named_barrier, 0
	.set _ZN7rocprim17ROCPRIM_400000_NS6detail17trampoline_kernelINS0_14default_configENS1_36segmented_radix_sort_config_selectorIblEEZNS1_25segmented_radix_sort_implIS3_Lb1EPKbPbPKlPlN2at6native12_GLOBAL__N_18offset_tEEE10hipError_tPvRmT1_PNSt15iterator_traitsISK_E10value_typeET2_T3_PNSL_ISQ_E10value_typeET4_jRbjT5_SW_jjP12ihipStream_tbEUlT_E_NS1_11comp_targetILNS1_3genE2ELNS1_11target_archE906ELNS1_3gpuE6ELNS1_3repE0EEENS1_30default_config_static_selectorELNS0_4arch9wavefront6targetE0EEEvSK_.private_seg_size, 0
	.set _ZN7rocprim17ROCPRIM_400000_NS6detail17trampoline_kernelINS0_14default_configENS1_36segmented_radix_sort_config_selectorIblEEZNS1_25segmented_radix_sort_implIS3_Lb1EPKbPbPKlPlN2at6native12_GLOBAL__N_18offset_tEEE10hipError_tPvRmT1_PNSt15iterator_traitsISK_E10value_typeET2_T3_PNSL_ISQ_E10value_typeET4_jRbjT5_SW_jjP12ihipStream_tbEUlT_E_NS1_11comp_targetILNS1_3genE2ELNS1_11target_archE906ELNS1_3gpuE6ELNS1_3repE0EEENS1_30default_config_static_selectorELNS0_4arch9wavefront6targetE0EEEvSK_.uses_vcc, 0
	.set _ZN7rocprim17ROCPRIM_400000_NS6detail17trampoline_kernelINS0_14default_configENS1_36segmented_radix_sort_config_selectorIblEEZNS1_25segmented_radix_sort_implIS3_Lb1EPKbPbPKlPlN2at6native12_GLOBAL__N_18offset_tEEE10hipError_tPvRmT1_PNSt15iterator_traitsISK_E10value_typeET2_T3_PNSL_ISQ_E10value_typeET4_jRbjT5_SW_jjP12ihipStream_tbEUlT_E_NS1_11comp_targetILNS1_3genE2ELNS1_11target_archE906ELNS1_3gpuE6ELNS1_3repE0EEENS1_30default_config_static_selectorELNS0_4arch9wavefront6targetE0EEEvSK_.uses_flat_scratch, 0
	.set _ZN7rocprim17ROCPRIM_400000_NS6detail17trampoline_kernelINS0_14default_configENS1_36segmented_radix_sort_config_selectorIblEEZNS1_25segmented_radix_sort_implIS3_Lb1EPKbPbPKlPlN2at6native12_GLOBAL__N_18offset_tEEE10hipError_tPvRmT1_PNSt15iterator_traitsISK_E10value_typeET2_T3_PNSL_ISQ_E10value_typeET4_jRbjT5_SW_jjP12ihipStream_tbEUlT_E_NS1_11comp_targetILNS1_3genE2ELNS1_11target_archE906ELNS1_3gpuE6ELNS1_3repE0EEENS1_30default_config_static_selectorELNS0_4arch9wavefront6targetE0EEEvSK_.has_dyn_sized_stack, 0
	.set _ZN7rocprim17ROCPRIM_400000_NS6detail17trampoline_kernelINS0_14default_configENS1_36segmented_radix_sort_config_selectorIblEEZNS1_25segmented_radix_sort_implIS3_Lb1EPKbPbPKlPlN2at6native12_GLOBAL__N_18offset_tEEE10hipError_tPvRmT1_PNSt15iterator_traitsISK_E10value_typeET2_T3_PNSL_ISQ_E10value_typeET4_jRbjT5_SW_jjP12ihipStream_tbEUlT_E_NS1_11comp_targetILNS1_3genE2ELNS1_11target_archE906ELNS1_3gpuE6ELNS1_3repE0EEENS1_30default_config_static_selectorELNS0_4arch9wavefront6targetE0EEEvSK_.has_recursion, 0
	.set _ZN7rocprim17ROCPRIM_400000_NS6detail17trampoline_kernelINS0_14default_configENS1_36segmented_radix_sort_config_selectorIblEEZNS1_25segmented_radix_sort_implIS3_Lb1EPKbPbPKlPlN2at6native12_GLOBAL__N_18offset_tEEE10hipError_tPvRmT1_PNSt15iterator_traitsISK_E10value_typeET2_T3_PNSL_ISQ_E10value_typeET4_jRbjT5_SW_jjP12ihipStream_tbEUlT_E_NS1_11comp_targetILNS1_3genE2ELNS1_11target_archE906ELNS1_3gpuE6ELNS1_3repE0EEENS1_30default_config_static_selectorELNS0_4arch9wavefront6targetE0EEEvSK_.has_indirect_call, 0
	.section	.AMDGPU.csdata,"",@progbits
; Kernel info:
; codeLenInByte = 0
; TotalNumSgprs: 0
; NumVgprs: 0
; ScratchSize: 0
; MemoryBound: 0
; FloatMode: 240
; IeeeMode: 1
; LDSByteSize: 0 bytes/workgroup (compile time only)
; SGPRBlocks: 0
; VGPRBlocks: 0
; NumSGPRsForWavesPerEU: 1
; NumVGPRsForWavesPerEU: 1
; NamedBarCnt: 0
; Occupancy: 16
; WaveLimiterHint : 0
; COMPUTE_PGM_RSRC2:SCRATCH_EN: 0
; COMPUTE_PGM_RSRC2:USER_SGPR: 2
; COMPUTE_PGM_RSRC2:TRAP_HANDLER: 0
; COMPUTE_PGM_RSRC2:TGID_X_EN: 1
; COMPUTE_PGM_RSRC2:TGID_Y_EN: 0
; COMPUTE_PGM_RSRC2:TGID_Z_EN: 0
; COMPUTE_PGM_RSRC2:TIDIG_COMP_CNT: 0
	.section	.text._ZN7rocprim17ROCPRIM_400000_NS6detail17trampoline_kernelINS0_14default_configENS1_36segmented_radix_sort_config_selectorIblEEZNS1_25segmented_radix_sort_implIS3_Lb1EPKbPbPKlPlN2at6native12_GLOBAL__N_18offset_tEEE10hipError_tPvRmT1_PNSt15iterator_traitsISK_E10value_typeET2_T3_PNSL_ISQ_E10value_typeET4_jRbjT5_SW_jjP12ihipStream_tbEUlT_E_NS1_11comp_targetILNS1_3genE10ELNS1_11target_archE1201ELNS1_3gpuE5ELNS1_3repE0EEENS1_30default_config_static_selectorELNS0_4arch9wavefront6targetE0EEEvSK_,"axG",@progbits,_ZN7rocprim17ROCPRIM_400000_NS6detail17trampoline_kernelINS0_14default_configENS1_36segmented_radix_sort_config_selectorIblEEZNS1_25segmented_radix_sort_implIS3_Lb1EPKbPbPKlPlN2at6native12_GLOBAL__N_18offset_tEEE10hipError_tPvRmT1_PNSt15iterator_traitsISK_E10value_typeET2_T3_PNSL_ISQ_E10value_typeET4_jRbjT5_SW_jjP12ihipStream_tbEUlT_E_NS1_11comp_targetILNS1_3genE10ELNS1_11target_archE1201ELNS1_3gpuE5ELNS1_3repE0EEENS1_30default_config_static_selectorELNS0_4arch9wavefront6targetE0EEEvSK_,comdat
	.globl	_ZN7rocprim17ROCPRIM_400000_NS6detail17trampoline_kernelINS0_14default_configENS1_36segmented_radix_sort_config_selectorIblEEZNS1_25segmented_radix_sort_implIS3_Lb1EPKbPbPKlPlN2at6native12_GLOBAL__N_18offset_tEEE10hipError_tPvRmT1_PNSt15iterator_traitsISK_E10value_typeET2_T3_PNSL_ISQ_E10value_typeET4_jRbjT5_SW_jjP12ihipStream_tbEUlT_E_NS1_11comp_targetILNS1_3genE10ELNS1_11target_archE1201ELNS1_3gpuE5ELNS1_3repE0EEENS1_30default_config_static_selectorELNS0_4arch9wavefront6targetE0EEEvSK_ ; -- Begin function _ZN7rocprim17ROCPRIM_400000_NS6detail17trampoline_kernelINS0_14default_configENS1_36segmented_radix_sort_config_selectorIblEEZNS1_25segmented_radix_sort_implIS3_Lb1EPKbPbPKlPlN2at6native12_GLOBAL__N_18offset_tEEE10hipError_tPvRmT1_PNSt15iterator_traitsISK_E10value_typeET2_T3_PNSL_ISQ_E10value_typeET4_jRbjT5_SW_jjP12ihipStream_tbEUlT_E_NS1_11comp_targetILNS1_3genE10ELNS1_11target_archE1201ELNS1_3gpuE5ELNS1_3repE0EEENS1_30default_config_static_selectorELNS0_4arch9wavefront6targetE0EEEvSK_
	.p2align	8
	.type	_ZN7rocprim17ROCPRIM_400000_NS6detail17trampoline_kernelINS0_14default_configENS1_36segmented_radix_sort_config_selectorIblEEZNS1_25segmented_radix_sort_implIS3_Lb1EPKbPbPKlPlN2at6native12_GLOBAL__N_18offset_tEEE10hipError_tPvRmT1_PNSt15iterator_traitsISK_E10value_typeET2_T3_PNSL_ISQ_E10value_typeET4_jRbjT5_SW_jjP12ihipStream_tbEUlT_E_NS1_11comp_targetILNS1_3genE10ELNS1_11target_archE1201ELNS1_3gpuE5ELNS1_3repE0EEENS1_30default_config_static_selectorELNS0_4arch9wavefront6targetE0EEEvSK_,@function
_ZN7rocprim17ROCPRIM_400000_NS6detail17trampoline_kernelINS0_14default_configENS1_36segmented_radix_sort_config_selectorIblEEZNS1_25segmented_radix_sort_implIS3_Lb1EPKbPbPKlPlN2at6native12_GLOBAL__N_18offset_tEEE10hipError_tPvRmT1_PNSt15iterator_traitsISK_E10value_typeET2_T3_PNSL_ISQ_E10value_typeET4_jRbjT5_SW_jjP12ihipStream_tbEUlT_E_NS1_11comp_targetILNS1_3genE10ELNS1_11target_archE1201ELNS1_3gpuE5ELNS1_3repE0EEENS1_30default_config_static_selectorELNS0_4arch9wavefront6targetE0EEEvSK_: ; @_ZN7rocprim17ROCPRIM_400000_NS6detail17trampoline_kernelINS0_14default_configENS1_36segmented_radix_sort_config_selectorIblEEZNS1_25segmented_radix_sort_implIS3_Lb1EPKbPbPKlPlN2at6native12_GLOBAL__N_18offset_tEEE10hipError_tPvRmT1_PNSt15iterator_traitsISK_E10value_typeET2_T3_PNSL_ISQ_E10value_typeET4_jRbjT5_SW_jjP12ihipStream_tbEUlT_E_NS1_11comp_targetILNS1_3genE10ELNS1_11target_archE1201ELNS1_3gpuE5ELNS1_3repE0EEENS1_30default_config_static_selectorELNS0_4arch9wavefront6targetE0EEEvSK_
; %bb.0:
	.section	.rodata,"a",@progbits
	.p2align	6, 0x0
	.amdhsa_kernel _ZN7rocprim17ROCPRIM_400000_NS6detail17trampoline_kernelINS0_14default_configENS1_36segmented_radix_sort_config_selectorIblEEZNS1_25segmented_radix_sort_implIS3_Lb1EPKbPbPKlPlN2at6native12_GLOBAL__N_18offset_tEEE10hipError_tPvRmT1_PNSt15iterator_traitsISK_E10value_typeET2_T3_PNSL_ISQ_E10value_typeET4_jRbjT5_SW_jjP12ihipStream_tbEUlT_E_NS1_11comp_targetILNS1_3genE10ELNS1_11target_archE1201ELNS1_3gpuE5ELNS1_3repE0EEENS1_30default_config_static_selectorELNS0_4arch9wavefront6targetE0EEEvSK_
		.amdhsa_group_segment_fixed_size 0
		.amdhsa_private_segment_fixed_size 0
		.amdhsa_kernarg_size 96
		.amdhsa_user_sgpr_count 2
		.amdhsa_user_sgpr_dispatch_ptr 0
		.amdhsa_user_sgpr_queue_ptr 0
		.amdhsa_user_sgpr_kernarg_segment_ptr 1
		.amdhsa_user_sgpr_dispatch_id 0
		.amdhsa_user_sgpr_kernarg_preload_length 0
		.amdhsa_user_sgpr_kernarg_preload_offset 0
		.amdhsa_user_sgpr_private_segment_size 0
		.amdhsa_wavefront_size32 1
		.amdhsa_uses_dynamic_stack 0
		.amdhsa_enable_private_segment 0
		.amdhsa_system_sgpr_workgroup_id_x 1
		.amdhsa_system_sgpr_workgroup_id_y 0
		.amdhsa_system_sgpr_workgroup_id_z 0
		.amdhsa_system_sgpr_workgroup_info 0
		.amdhsa_system_vgpr_workitem_id 0
		.amdhsa_next_free_vgpr 1
		.amdhsa_next_free_sgpr 1
		.amdhsa_named_barrier_count 0
		.amdhsa_reserve_vcc 0
		.amdhsa_float_round_mode_32 0
		.amdhsa_float_round_mode_16_64 0
		.amdhsa_float_denorm_mode_32 3
		.amdhsa_float_denorm_mode_16_64 3
		.amdhsa_fp16_overflow 0
		.amdhsa_memory_ordered 1
		.amdhsa_forward_progress 1
		.amdhsa_inst_pref_size 0
		.amdhsa_round_robin_scheduling 0
		.amdhsa_exception_fp_ieee_invalid_op 0
		.amdhsa_exception_fp_denorm_src 0
		.amdhsa_exception_fp_ieee_div_zero 0
		.amdhsa_exception_fp_ieee_overflow 0
		.amdhsa_exception_fp_ieee_underflow 0
		.amdhsa_exception_fp_ieee_inexact 0
		.amdhsa_exception_int_div_zero 0
	.end_amdhsa_kernel
	.section	.text._ZN7rocprim17ROCPRIM_400000_NS6detail17trampoline_kernelINS0_14default_configENS1_36segmented_radix_sort_config_selectorIblEEZNS1_25segmented_radix_sort_implIS3_Lb1EPKbPbPKlPlN2at6native12_GLOBAL__N_18offset_tEEE10hipError_tPvRmT1_PNSt15iterator_traitsISK_E10value_typeET2_T3_PNSL_ISQ_E10value_typeET4_jRbjT5_SW_jjP12ihipStream_tbEUlT_E_NS1_11comp_targetILNS1_3genE10ELNS1_11target_archE1201ELNS1_3gpuE5ELNS1_3repE0EEENS1_30default_config_static_selectorELNS0_4arch9wavefront6targetE0EEEvSK_,"axG",@progbits,_ZN7rocprim17ROCPRIM_400000_NS6detail17trampoline_kernelINS0_14default_configENS1_36segmented_radix_sort_config_selectorIblEEZNS1_25segmented_radix_sort_implIS3_Lb1EPKbPbPKlPlN2at6native12_GLOBAL__N_18offset_tEEE10hipError_tPvRmT1_PNSt15iterator_traitsISK_E10value_typeET2_T3_PNSL_ISQ_E10value_typeET4_jRbjT5_SW_jjP12ihipStream_tbEUlT_E_NS1_11comp_targetILNS1_3genE10ELNS1_11target_archE1201ELNS1_3gpuE5ELNS1_3repE0EEENS1_30default_config_static_selectorELNS0_4arch9wavefront6targetE0EEEvSK_,comdat
.Lfunc_end1530:
	.size	_ZN7rocprim17ROCPRIM_400000_NS6detail17trampoline_kernelINS0_14default_configENS1_36segmented_radix_sort_config_selectorIblEEZNS1_25segmented_radix_sort_implIS3_Lb1EPKbPbPKlPlN2at6native12_GLOBAL__N_18offset_tEEE10hipError_tPvRmT1_PNSt15iterator_traitsISK_E10value_typeET2_T3_PNSL_ISQ_E10value_typeET4_jRbjT5_SW_jjP12ihipStream_tbEUlT_E_NS1_11comp_targetILNS1_3genE10ELNS1_11target_archE1201ELNS1_3gpuE5ELNS1_3repE0EEENS1_30default_config_static_selectorELNS0_4arch9wavefront6targetE0EEEvSK_, .Lfunc_end1530-_ZN7rocprim17ROCPRIM_400000_NS6detail17trampoline_kernelINS0_14default_configENS1_36segmented_radix_sort_config_selectorIblEEZNS1_25segmented_radix_sort_implIS3_Lb1EPKbPbPKlPlN2at6native12_GLOBAL__N_18offset_tEEE10hipError_tPvRmT1_PNSt15iterator_traitsISK_E10value_typeET2_T3_PNSL_ISQ_E10value_typeET4_jRbjT5_SW_jjP12ihipStream_tbEUlT_E_NS1_11comp_targetILNS1_3genE10ELNS1_11target_archE1201ELNS1_3gpuE5ELNS1_3repE0EEENS1_30default_config_static_selectorELNS0_4arch9wavefront6targetE0EEEvSK_
                                        ; -- End function
	.set _ZN7rocprim17ROCPRIM_400000_NS6detail17trampoline_kernelINS0_14default_configENS1_36segmented_radix_sort_config_selectorIblEEZNS1_25segmented_radix_sort_implIS3_Lb1EPKbPbPKlPlN2at6native12_GLOBAL__N_18offset_tEEE10hipError_tPvRmT1_PNSt15iterator_traitsISK_E10value_typeET2_T3_PNSL_ISQ_E10value_typeET4_jRbjT5_SW_jjP12ihipStream_tbEUlT_E_NS1_11comp_targetILNS1_3genE10ELNS1_11target_archE1201ELNS1_3gpuE5ELNS1_3repE0EEENS1_30default_config_static_selectorELNS0_4arch9wavefront6targetE0EEEvSK_.num_vgpr, 0
	.set _ZN7rocprim17ROCPRIM_400000_NS6detail17trampoline_kernelINS0_14default_configENS1_36segmented_radix_sort_config_selectorIblEEZNS1_25segmented_radix_sort_implIS3_Lb1EPKbPbPKlPlN2at6native12_GLOBAL__N_18offset_tEEE10hipError_tPvRmT1_PNSt15iterator_traitsISK_E10value_typeET2_T3_PNSL_ISQ_E10value_typeET4_jRbjT5_SW_jjP12ihipStream_tbEUlT_E_NS1_11comp_targetILNS1_3genE10ELNS1_11target_archE1201ELNS1_3gpuE5ELNS1_3repE0EEENS1_30default_config_static_selectorELNS0_4arch9wavefront6targetE0EEEvSK_.num_agpr, 0
	.set _ZN7rocprim17ROCPRIM_400000_NS6detail17trampoline_kernelINS0_14default_configENS1_36segmented_radix_sort_config_selectorIblEEZNS1_25segmented_radix_sort_implIS3_Lb1EPKbPbPKlPlN2at6native12_GLOBAL__N_18offset_tEEE10hipError_tPvRmT1_PNSt15iterator_traitsISK_E10value_typeET2_T3_PNSL_ISQ_E10value_typeET4_jRbjT5_SW_jjP12ihipStream_tbEUlT_E_NS1_11comp_targetILNS1_3genE10ELNS1_11target_archE1201ELNS1_3gpuE5ELNS1_3repE0EEENS1_30default_config_static_selectorELNS0_4arch9wavefront6targetE0EEEvSK_.numbered_sgpr, 0
	.set _ZN7rocprim17ROCPRIM_400000_NS6detail17trampoline_kernelINS0_14default_configENS1_36segmented_radix_sort_config_selectorIblEEZNS1_25segmented_radix_sort_implIS3_Lb1EPKbPbPKlPlN2at6native12_GLOBAL__N_18offset_tEEE10hipError_tPvRmT1_PNSt15iterator_traitsISK_E10value_typeET2_T3_PNSL_ISQ_E10value_typeET4_jRbjT5_SW_jjP12ihipStream_tbEUlT_E_NS1_11comp_targetILNS1_3genE10ELNS1_11target_archE1201ELNS1_3gpuE5ELNS1_3repE0EEENS1_30default_config_static_selectorELNS0_4arch9wavefront6targetE0EEEvSK_.num_named_barrier, 0
	.set _ZN7rocprim17ROCPRIM_400000_NS6detail17trampoline_kernelINS0_14default_configENS1_36segmented_radix_sort_config_selectorIblEEZNS1_25segmented_radix_sort_implIS3_Lb1EPKbPbPKlPlN2at6native12_GLOBAL__N_18offset_tEEE10hipError_tPvRmT1_PNSt15iterator_traitsISK_E10value_typeET2_T3_PNSL_ISQ_E10value_typeET4_jRbjT5_SW_jjP12ihipStream_tbEUlT_E_NS1_11comp_targetILNS1_3genE10ELNS1_11target_archE1201ELNS1_3gpuE5ELNS1_3repE0EEENS1_30default_config_static_selectorELNS0_4arch9wavefront6targetE0EEEvSK_.private_seg_size, 0
	.set _ZN7rocprim17ROCPRIM_400000_NS6detail17trampoline_kernelINS0_14default_configENS1_36segmented_radix_sort_config_selectorIblEEZNS1_25segmented_radix_sort_implIS3_Lb1EPKbPbPKlPlN2at6native12_GLOBAL__N_18offset_tEEE10hipError_tPvRmT1_PNSt15iterator_traitsISK_E10value_typeET2_T3_PNSL_ISQ_E10value_typeET4_jRbjT5_SW_jjP12ihipStream_tbEUlT_E_NS1_11comp_targetILNS1_3genE10ELNS1_11target_archE1201ELNS1_3gpuE5ELNS1_3repE0EEENS1_30default_config_static_selectorELNS0_4arch9wavefront6targetE0EEEvSK_.uses_vcc, 0
	.set _ZN7rocprim17ROCPRIM_400000_NS6detail17trampoline_kernelINS0_14default_configENS1_36segmented_radix_sort_config_selectorIblEEZNS1_25segmented_radix_sort_implIS3_Lb1EPKbPbPKlPlN2at6native12_GLOBAL__N_18offset_tEEE10hipError_tPvRmT1_PNSt15iterator_traitsISK_E10value_typeET2_T3_PNSL_ISQ_E10value_typeET4_jRbjT5_SW_jjP12ihipStream_tbEUlT_E_NS1_11comp_targetILNS1_3genE10ELNS1_11target_archE1201ELNS1_3gpuE5ELNS1_3repE0EEENS1_30default_config_static_selectorELNS0_4arch9wavefront6targetE0EEEvSK_.uses_flat_scratch, 0
	.set _ZN7rocprim17ROCPRIM_400000_NS6detail17trampoline_kernelINS0_14default_configENS1_36segmented_radix_sort_config_selectorIblEEZNS1_25segmented_radix_sort_implIS3_Lb1EPKbPbPKlPlN2at6native12_GLOBAL__N_18offset_tEEE10hipError_tPvRmT1_PNSt15iterator_traitsISK_E10value_typeET2_T3_PNSL_ISQ_E10value_typeET4_jRbjT5_SW_jjP12ihipStream_tbEUlT_E_NS1_11comp_targetILNS1_3genE10ELNS1_11target_archE1201ELNS1_3gpuE5ELNS1_3repE0EEENS1_30default_config_static_selectorELNS0_4arch9wavefront6targetE0EEEvSK_.has_dyn_sized_stack, 0
	.set _ZN7rocprim17ROCPRIM_400000_NS6detail17trampoline_kernelINS0_14default_configENS1_36segmented_radix_sort_config_selectorIblEEZNS1_25segmented_radix_sort_implIS3_Lb1EPKbPbPKlPlN2at6native12_GLOBAL__N_18offset_tEEE10hipError_tPvRmT1_PNSt15iterator_traitsISK_E10value_typeET2_T3_PNSL_ISQ_E10value_typeET4_jRbjT5_SW_jjP12ihipStream_tbEUlT_E_NS1_11comp_targetILNS1_3genE10ELNS1_11target_archE1201ELNS1_3gpuE5ELNS1_3repE0EEENS1_30default_config_static_selectorELNS0_4arch9wavefront6targetE0EEEvSK_.has_recursion, 0
	.set _ZN7rocprim17ROCPRIM_400000_NS6detail17trampoline_kernelINS0_14default_configENS1_36segmented_radix_sort_config_selectorIblEEZNS1_25segmented_radix_sort_implIS3_Lb1EPKbPbPKlPlN2at6native12_GLOBAL__N_18offset_tEEE10hipError_tPvRmT1_PNSt15iterator_traitsISK_E10value_typeET2_T3_PNSL_ISQ_E10value_typeET4_jRbjT5_SW_jjP12ihipStream_tbEUlT_E_NS1_11comp_targetILNS1_3genE10ELNS1_11target_archE1201ELNS1_3gpuE5ELNS1_3repE0EEENS1_30default_config_static_selectorELNS0_4arch9wavefront6targetE0EEEvSK_.has_indirect_call, 0
	.section	.AMDGPU.csdata,"",@progbits
; Kernel info:
; codeLenInByte = 0
; TotalNumSgprs: 0
; NumVgprs: 0
; ScratchSize: 0
; MemoryBound: 0
; FloatMode: 240
; IeeeMode: 1
; LDSByteSize: 0 bytes/workgroup (compile time only)
; SGPRBlocks: 0
; VGPRBlocks: 0
; NumSGPRsForWavesPerEU: 1
; NumVGPRsForWavesPerEU: 1
; NamedBarCnt: 0
; Occupancy: 16
; WaveLimiterHint : 0
; COMPUTE_PGM_RSRC2:SCRATCH_EN: 0
; COMPUTE_PGM_RSRC2:USER_SGPR: 2
; COMPUTE_PGM_RSRC2:TRAP_HANDLER: 0
; COMPUTE_PGM_RSRC2:TGID_X_EN: 1
; COMPUTE_PGM_RSRC2:TGID_Y_EN: 0
; COMPUTE_PGM_RSRC2:TGID_Z_EN: 0
; COMPUTE_PGM_RSRC2:TIDIG_COMP_CNT: 0
	.section	.text._ZN7rocprim17ROCPRIM_400000_NS6detail17trampoline_kernelINS0_14default_configENS1_36segmented_radix_sort_config_selectorIblEEZNS1_25segmented_radix_sort_implIS3_Lb1EPKbPbPKlPlN2at6native12_GLOBAL__N_18offset_tEEE10hipError_tPvRmT1_PNSt15iterator_traitsISK_E10value_typeET2_T3_PNSL_ISQ_E10value_typeET4_jRbjT5_SW_jjP12ihipStream_tbEUlT_E_NS1_11comp_targetILNS1_3genE10ELNS1_11target_archE1200ELNS1_3gpuE4ELNS1_3repE0EEENS1_30default_config_static_selectorELNS0_4arch9wavefront6targetE0EEEvSK_,"axG",@progbits,_ZN7rocprim17ROCPRIM_400000_NS6detail17trampoline_kernelINS0_14default_configENS1_36segmented_radix_sort_config_selectorIblEEZNS1_25segmented_radix_sort_implIS3_Lb1EPKbPbPKlPlN2at6native12_GLOBAL__N_18offset_tEEE10hipError_tPvRmT1_PNSt15iterator_traitsISK_E10value_typeET2_T3_PNSL_ISQ_E10value_typeET4_jRbjT5_SW_jjP12ihipStream_tbEUlT_E_NS1_11comp_targetILNS1_3genE10ELNS1_11target_archE1200ELNS1_3gpuE4ELNS1_3repE0EEENS1_30default_config_static_selectorELNS0_4arch9wavefront6targetE0EEEvSK_,comdat
	.globl	_ZN7rocprim17ROCPRIM_400000_NS6detail17trampoline_kernelINS0_14default_configENS1_36segmented_radix_sort_config_selectorIblEEZNS1_25segmented_radix_sort_implIS3_Lb1EPKbPbPKlPlN2at6native12_GLOBAL__N_18offset_tEEE10hipError_tPvRmT1_PNSt15iterator_traitsISK_E10value_typeET2_T3_PNSL_ISQ_E10value_typeET4_jRbjT5_SW_jjP12ihipStream_tbEUlT_E_NS1_11comp_targetILNS1_3genE10ELNS1_11target_archE1200ELNS1_3gpuE4ELNS1_3repE0EEENS1_30default_config_static_selectorELNS0_4arch9wavefront6targetE0EEEvSK_ ; -- Begin function _ZN7rocprim17ROCPRIM_400000_NS6detail17trampoline_kernelINS0_14default_configENS1_36segmented_radix_sort_config_selectorIblEEZNS1_25segmented_radix_sort_implIS3_Lb1EPKbPbPKlPlN2at6native12_GLOBAL__N_18offset_tEEE10hipError_tPvRmT1_PNSt15iterator_traitsISK_E10value_typeET2_T3_PNSL_ISQ_E10value_typeET4_jRbjT5_SW_jjP12ihipStream_tbEUlT_E_NS1_11comp_targetILNS1_3genE10ELNS1_11target_archE1200ELNS1_3gpuE4ELNS1_3repE0EEENS1_30default_config_static_selectorELNS0_4arch9wavefront6targetE0EEEvSK_
	.p2align	8
	.type	_ZN7rocprim17ROCPRIM_400000_NS6detail17trampoline_kernelINS0_14default_configENS1_36segmented_radix_sort_config_selectorIblEEZNS1_25segmented_radix_sort_implIS3_Lb1EPKbPbPKlPlN2at6native12_GLOBAL__N_18offset_tEEE10hipError_tPvRmT1_PNSt15iterator_traitsISK_E10value_typeET2_T3_PNSL_ISQ_E10value_typeET4_jRbjT5_SW_jjP12ihipStream_tbEUlT_E_NS1_11comp_targetILNS1_3genE10ELNS1_11target_archE1200ELNS1_3gpuE4ELNS1_3repE0EEENS1_30default_config_static_selectorELNS0_4arch9wavefront6targetE0EEEvSK_,@function
_ZN7rocprim17ROCPRIM_400000_NS6detail17trampoline_kernelINS0_14default_configENS1_36segmented_radix_sort_config_selectorIblEEZNS1_25segmented_radix_sort_implIS3_Lb1EPKbPbPKlPlN2at6native12_GLOBAL__N_18offset_tEEE10hipError_tPvRmT1_PNSt15iterator_traitsISK_E10value_typeET2_T3_PNSL_ISQ_E10value_typeET4_jRbjT5_SW_jjP12ihipStream_tbEUlT_E_NS1_11comp_targetILNS1_3genE10ELNS1_11target_archE1200ELNS1_3gpuE4ELNS1_3repE0EEENS1_30default_config_static_selectorELNS0_4arch9wavefront6targetE0EEEvSK_: ; @_ZN7rocprim17ROCPRIM_400000_NS6detail17trampoline_kernelINS0_14default_configENS1_36segmented_radix_sort_config_selectorIblEEZNS1_25segmented_radix_sort_implIS3_Lb1EPKbPbPKlPlN2at6native12_GLOBAL__N_18offset_tEEE10hipError_tPvRmT1_PNSt15iterator_traitsISK_E10value_typeET2_T3_PNSL_ISQ_E10value_typeET4_jRbjT5_SW_jjP12ihipStream_tbEUlT_E_NS1_11comp_targetILNS1_3genE10ELNS1_11target_archE1200ELNS1_3gpuE4ELNS1_3repE0EEENS1_30default_config_static_selectorELNS0_4arch9wavefront6targetE0EEEvSK_
; %bb.0:
	.section	.rodata,"a",@progbits
	.p2align	6, 0x0
	.amdhsa_kernel _ZN7rocprim17ROCPRIM_400000_NS6detail17trampoline_kernelINS0_14default_configENS1_36segmented_radix_sort_config_selectorIblEEZNS1_25segmented_radix_sort_implIS3_Lb1EPKbPbPKlPlN2at6native12_GLOBAL__N_18offset_tEEE10hipError_tPvRmT1_PNSt15iterator_traitsISK_E10value_typeET2_T3_PNSL_ISQ_E10value_typeET4_jRbjT5_SW_jjP12ihipStream_tbEUlT_E_NS1_11comp_targetILNS1_3genE10ELNS1_11target_archE1200ELNS1_3gpuE4ELNS1_3repE0EEENS1_30default_config_static_selectorELNS0_4arch9wavefront6targetE0EEEvSK_
		.amdhsa_group_segment_fixed_size 0
		.amdhsa_private_segment_fixed_size 0
		.amdhsa_kernarg_size 96
		.amdhsa_user_sgpr_count 2
		.amdhsa_user_sgpr_dispatch_ptr 0
		.amdhsa_user_sgpr_queue_ptr 0
		.amdhsa_user_sgpr_kernarg_segment_ptr 1
		.amdhsa_user_sgpr_dispatch_id 0
		.amdhsa_user_sgpr_kernarg_preload_length 0
		.amdhsa_user_sgpr_kernarg_preload_offset 0
		.amdhsa_user_sgpr_private_segment_size 0
		.amdhsa_wavefront_size32 1
		.amdhsa_uses_dynamic_stack 0
		.amdhsa_enable_private_segment 0
		.amdhsa_system_sgpr_workgroup_id_x 1
		.amdhsa_system_sgpr_workgroup_id_y 0
		.amdhsa_system_sgpr_workgroup_id_z 0
		.amdhsa_system_sgpr_workgroup_info 0
		.amdhsa_system_vgpr_workitem_id 0
		.amdhsa_next_free_vgpr 1
		.amdhsa_next_free_sgpr 1
		.amdhsa_named_barrier_count 0
		.amdhsa_reserve_vcc 0
		.amdhsa_float_round_mode_32 0
		.amdhsa_float_round_mode_16_64 0
		.amdhsa_float_denorm_mode_32 3
		.amdhsa_float_denorm_mode_16_64 3
		.amdhsa_fp16_overflow 0
		.amdhsa_memory_ordered 1
		.amdhsa_forward_progress 1
		.amdhsa_inst_pref_size 0
		.amdhsa_round_robin_scheduling 0
		.amdhsa_exception_fp_ieee_invalid_op 0
		.amdhsa_exception_fp_denorm_src 0
		.amdhsa_exception_fp_ieee_div_zero 0
		.amdhsa_exception_fp_ieee_overflow 0
		.amdhsa_exception_fp_ieee_underflow 0
		.amdhsa_exception_fp_ieee_inexact 0
		.amdhsa_exception_int_div_zero 0
	.end_amdhsa_kernel
	.section	.text._ZN7rocprim17ROCPRIM_400000_NS6detail17trampoline_kernelINS0_14default_configENS1_36segmented_radix_sort_config_selectorIblEEZNS1_25segmented_radix_sort_implIS3_Lb1EPKbPbPKlPlN2at6native12_GLOBAL__N_18offset_tEEE10hipError_tPvRmT1_PNSt15iterator_traitsISK_E10value_typeET2_T3_PNSL_ISQ_E10value_typeET4_jRbjT5_SW_jjP12ihipStream_tbEUlT_E_NS1_11comp_targetILNS1_3genE10ELNS1_11target_archE1200ELNS1_3gpuE4ELNS1_3repE0EEENS1_30default_config_static_selectorELNS0_4arch9wavefront6targetE0EEEvSK_,"axG",@progbits,_ZN7rocprim17ROCPRIM_400000_NS6detail17trampoline_kernelINS0_14default_configENS1_36segmented_radix_sort_config_selectorIblEEZNS1_25segmented_radix_sort_implIS3_Lb1EPKbPbPKlPlN2at6native12_GLOBAL__N_18offset_tEEE10hipError_tPvRmT1_PNSt15iterator_traitsISK_E10value_typeET2_T3_PNSL_ISQ_E10value_typeET4_jRbjT5_SW_jjP12ihipStream_tbEUlT_E_NS1_11comp_targetILNS1_3genE10ELNS1_11target_archE1200ELNS1_3gpuE4ELNS1_3repE0EEENS1_30default_config_static_selectorELNS0_4arch9wavefront6targetE0EEEvSK_,comdat
.Lfunc_end1531:
	.size	_ZN7rocprim17ROCPRIM_400000_NS6detail17trampoline_kernelINS0_14default_configENS1_36segmented_radix_sort_config_selectorIblEEZNS1_25segmented_radix_sort_implIS3_Lb1EPKbPbPKlPlN2at6native12_GLOBAL__N_18offset_tEEE10hipError_tPvRmT1_PNSt15iterator_traitsISK_E10value_typeET2_T3_PNSL_ISQ_E10value_typeET4_jRbjT5_SW_jjP12ihipStream_tbEUlT_E_NS1_11comp_targetILNS1_3genE10ELNS1_11target_archE1200ELNS1_3gpuE4ELNS1_3repE0EEENS1_30default_config_static_selectorELNS0_4arch9wavefront6targetE0EEEvSK_, .Lfunc_end1531-_ZN7rocprim17ROCPRIM_400000_NS6detail17trampoline_kernelINS0_14default_configENS1_36segmented_radix_sort_config_selectorIblEEZNS1_25segmented_radix_sort_implIS3_Lb1EPKbPbPKlPlN2at6native12_GLOBAL__N_18offset_tEEE10hipError_tPvRmT1_PNSt15iterator_traitsISK_E10value_typeET2_T3_PNSL_ISQ_E10value_typeET4_jRbjT5_SW_jjP12ihipStream_tbEUlT_E_NS1_11comp_targetILNS1_3genE10ELNS1_11target_archE1200ELNS1_3gpuE4ELNS1_3repE0EEENS1_30default_config_static_selectorELNS0_4arch9wavefront6targetE0EEEvSK_
                                        ; -- End function
	.set _ZN7rocprim17ROCPRIM_400000_NS6detail17trampoline_kernelINS0_14default_configENS1_36segmented_radix_sort_config_selectorIblEEZNS1_25segmented_radix_sort_implIS3_Lb1EPKbPbPKlPlN2at6native12_GLOBAL__N_18offset_tEEE10hipError_tPvRmT1_PNSt15iterator_traitsISK_E10value_typeET2_T3_PNSL_ISQ_E10value_typeET4_jRbjT5_SW_jjP12ihipStream_tbEUlT_E_NS1_11comp_targetILNS1_3genE10ELNS1_11target_archE1200ELNS1_3gpuE4ELNS1_3repE0EEENS1_30default_config_static_selectorELNS0_4arch9wavefront6targetE0EEEvSK_.num_vgpr, 0
	.set _ZN7rocprim17ROCPRIM_400000_NS6detail17trampoline_kernelINS0_14default_configENS1_36segmented_radix_sort_config_selectorIblEEZNS1_25segmented_radix_sort_implIS3_Lb1EPKbPbPKlPlN2at6native12_GLOBAL__N_18offset_tEEE10hipError_tPvRmT1_PNSt15iterator_traitsISK_E10value_typeET2_T3_PNSL_ISQ_E10value_typeET4_jRbjT5_SW_jjP12ihipStream_tbEUlT_E_NS1_11comp_targetILNS1_3genE10ELNS1_11target_archE1200ELNS1_3gpuE4ELNS1_3repE0EEENS1_30default_config_static_selectorELNS0_4arch9wavefront6targetE0EEEvSK_.num_agpr, 0
	.set _ZN7rocprim17ROCPRIM_400000_NS6detail17trampoline_kernelINS0_14default_configENS1_36segmented_radix_sort_config_selectorIblEEZNS1_25segmented_radix_sort_implIS3_Lb1EPKbPbPKlPlN2at6native12_GLOBAL__N_18offset_tEEE10hipError_tPvRmT1_PNSt15iterator_traitsISK_E10value_typeET2_T3_PNSL_ISQ_E10value_typeET4_jRbjT5_SW_jjP12ihipStream_tbEUlT_E_NS1_11comp_targetILNS1_3genE10ELNS1_11target_archE1200ELNS1_3gpuE4ELNS1_3repE0EEENS1_30default_config_static_selectorELNS0_4arch9wavefront6targetE0EEEvSK_.numbered_sgpr, 0
	.set _ZN7rocprim17ROCPRIM_400000_NS6detail17trampoline_kernelINS0_14default_configENS1_36segmented_radix_sort_config_selectorIblEEZNS1_25segmented_radix_sort_implIS3_Lb1EPKbPbPKlPlN2at6native12_GLOBAL__N_18offset_tEEE10hipError_tPvRmT1_PNSt15iterator_traitsISK_E10value_typeET2_T3_PNSL_ISQ_E10value_typeET4_jRbjT5_SW_jjP12ihipStream_tbEUlT_E_NS1_11comp_targetILNS1_3genE10ELNS1_11target_archE1200ELNS1_3gpuE4ELNS1_3repE0EEENS1_30default_config_static_selectorELNS0_4arch9wavefront6targetE0EEEvSK_.num_named_barrier, 0
	.set _ZN7rocprim17ROCPRIM_400000_NS6detail17trampoline_kernelINS0_14default_configENS1_36segmented_radix_sort_config_selectorIblEEZNS1_25segmented_radix_sort_implIS3_Lb1EPKbPbPKlPlN2at6native12_GLOBAL__N_18offset_tEEE10hipError_tPvRmT1_PNSt15iterator_traitsISK_E10value_typeET2_T3_PNSL_ISQ_E10value_typeET4_jRbjT5_SW_jjP12ihipStream_tbEUlT_E_NS1_11comp_targetILNS1_3genE10ELNS1_11target_archE1200ELNS1_3gpuE4ELNS1_3repE0EEENS1_30default_config_static_selectorELNS0_4arch9wavefront6targetE0EEEvSK_.private_seg_size, 0
	.set _ZN7rocprim17ROCPRIM_400000_NS6detail17trampoline_kernelINS0_14default_configENS1_36segmented_radix_sort_config_selectorIblEEZNS1_25segmented_radix_sort_implIS3_Lb1EPKbPbPKlPlN2at6native12_GLOBAL__N_18offset_tEEE10hipError_tPvRmT1_PNSt15iterator_traitsISK_E10value_typeET2_T3_PNSL_ISQ_E10value_typeET4_jRbjT5_SW_jjP12ihipStream_tbEUlT_E_NS1_11comp_targetILNS1_3genE10ELNS1_11target_archE1200ELNS1_3gpuE4ELNS1_3repE0EEENS1_30default_config_static_selectorELNS0_4arch9wavefront6targetE0EEEvSK_.uses_vcc, 0
	.set _ZN7rocprim17ROCPRIM_400000_NS6detail17trampoline_kernelINS0_14default_configENS1_36segmented_radix_sort_config_selectorIblEEZNS1_25segmented_radix_sort_implIS3_Lb1EPKbPbPKlPlN2at6native12_GLOBAL__N_18offset_tEEE10hipError_tPvRmT1_PNSt15iterator_traitsISK_E10value_typeET2_T3_PNSL_ISQ_E10value_typeET4_jRbjT5_SW_jjP12ihipStream_tbEUlT_E_NS1_11comp_targetILNS1_3genE10ELNS1_11target_archE1200ELNS1_3gpuE4ELNS1_3repE0EEENS1_30default_config_static_selectorELNS0_4arch9wavefront6targetE0EEEvSK_.uses_flat_scratch, 0
	.set _ZN7rocprim17ROCPRIM_400000_NS6detail17trampoline_kernelINS0_14default_configENS1_36segmented_radix_sort_config_selectorIblEEZNS1_25segmented_radix_sort_implIS3_Lb1EPKbPbPKlPlN2at6native12_GLOBAL__N_18offset_tEEE10hipError_tPvRmT1_PNSt15iterator_traitsISK_E10value_typeET2_T3_PNSL_ISQ_E10value_typeET4_jRbjT5_SW_jjP12ihipStream_tbEUlT_E_NS1_11comp_targetILNS1_3genE10ELNS1_11target_archE1200ELNS1_3gpuE4ELNS1_3repE0EEENS1_30default_config_static_selectorELNS0_4arch9wavefront6targetE0EEEvSK_.has_dyn_sized_stack, 0
	.set _ZN7rocprim17ROCPRIM_400000_NS6detail17trampoline_kernelINS0_14default_configENS1_36segmented_radix_sort_config_selectorIblEEZNS1_25segmented_radix_sort_implIS3_Lb1EPKbPbPKlPlN2at6native12_GLOBAL__N_18offset_tEEE10hipError_tPvRmT1_PNSt15iterator_traitsISK_E10value_typeET2_T3_PNSL_ISQ_E10value_typeET4_jRbjT5_SW_jjP12ihipStream_tbEUlT_E_NS1_11comp_targetILNS1_3genE10ELNS1_11target_archE1200ELNS1_3gpuE4ELNS1_3repE0EEENS1_30default_config_static_selectorELNS0_4arch9wavefront6targetE0EEEvSK_.has_recursion, 0
	.set _ZN7rocprim17ROCPRIM_400000_NS6detail17trampoline_kernelINS0_14default_configENS1_36segmented_radix_sort_config_selectorIblEEZNS1_25segmented_radix_sort_implIS3_Lb1EPKbPbPKlPlN2at6native12_GLOBAL__N_18offset_tEEE10hipError_tPvRmT1_PNSt15iterator_traitsISK_E10value_typeET2_T3_PNSL_ISQ_E10value_typeET4_jRbjT5_SW_jjP12ihipStream_tbEUlT_E_NS1_11comp_targetILNS1_3genE10ELNS1_11target_archE1200ELNS1_3gpuE4ELNS1_3repE0EEENS1_30default_config_static_selectorELNS0_4arch9wavefront6targetE0EEEvSK_.has_indirect_call, 0
	.section	.AMDGPU.csdata,"",@progbits
; Kernel info:
; codeLenInByte = 0
; TotalNumSgprs: 0
; NumVgprs: 0
; ScratchSize: 0
; MemoryBound: 0
; FloatMode: 240
; IeeeMode: 1
; LDSByteSize: 0 bytes/workgroup (compile time only)
; SGPRBlocks: 0
; VGPRBlocks: 0
; NumSGPRsForWavesPerEU: 1
; NumVGPRsForWavesPerEU: 1
; NamedBarCnt: 0
; Occupancy: 16
; WaveLimiterHint : 0
; COMPUTE_PGM_RSRC2:SCRATCH_EN: 0
; COMPUTE_PGM_RSRC2:USER_SGPR: 2
; COMPUTE_PGM_RSRC2:TRAP_HANDLER: 0
; COMPUTE_PGM_RSRC2:TGID_X_EN: 1
; COMPUTE_PGM_RSRC2:TGID_Y_EN: 0
; COMPUTE_PGM_RSRC2:TGID_Z_EN: 0
; COMPUTE_PGM_RSRC2:TIDIG_COMP_CNT: 0
	.section	.text._ZN7rocprim17ROCPRIM_400000_NS6detail17trampoline_kernelINS0_14default_configENS1_36segmented_radix_sort_config_selectorIblEEZNS1_25segmented_radix_sort_implIS3_Lb1EPKbPbPKlPlN2at6native12_GLOBAL__N_18offset_tEEE10hipError_tPvRmT1_PNSt15iterator_traitsISK_E10value_typeET2_T3_PNSL_ISQ_E10value_typeET4_jRbjT5_SW_jjP12ihipStream_tbEUlT_E_NS1_11comp_targetILNS1_3genE9ELNS1_11target_archE1100ELNS1_3gpuE3ELNS1_3repE0EEENS1_30default_config_static_selectorELNS0_4arch9wavefront6targetE0EEEvSK_,"axG",@progbits,_ZN7rocprim17ROCPRIM_400000_NS6detail17trampoline_kernelINS0_14default_configENS1_36segmented_radix_sort_config_selectorIblEEZNS1_25segmented_radix_sort_implIS3_Lb1EPKbPbPKlPlN2at6native12_GLOBAL__N_18offset_tEEE10hipError_tPvRmT1_PNSt15iterator_traitsISK_E10value_typeET2_T3_PNSL_ISQ_E10value_typeET4_jRbjT5_SW_jjP12ihipStream_tbEUlT_E_NS1_11comp_targetILNS1_3genE9ELNS1_11target_archE1100ELNS1_3gpuE3ELNS1_3repE0EEENS1_30default_config_static_selectorELNS0_4arch9wavefront6targetE0EEEvSK_,comdat
	.globl	_ZN7rocprim17ROCPRIM_400000_NS6detail17trampoline_kernelINS0_14default_configENS1_36segmented_radix_sort_config_selectorIblEEZNS1_25segmented_radix_sort_implIS3_Lb1EPKbPbPKlPlN2at6native12_GLOBAL__N_18offset_tEEE10hipError_tPvRmT1_PNSt15iterator_traitsISK_E10value_typeET2_T3_PNSL_ISQ_E10value_typeET4_jRbjT5_SW_jjP12ihipStream_tbEUlT_E_NS1_11comp_targetILNS1_3genE9ELNS1_11target_archE1100ELNS1_3gpuE3ELNS1_3repE0EEENS1_30default_config_static_selectorELNS0_4arch9wavefront6targetE0EEEvSK_ ; -- Begin function _ZN7rocprim17ROCPRIM_400000_NS6detail17trampoline_kernelINS0_14default_configENS1_36segmented_radix_sort_config_selectorIblEEZNS1_25segmented_radix_sort_implIS3_Lb1EPKbPbPKlPlN2at6native12_GLOBAL__N_18offset_tEEE10hipError_tPvRmT1_PNSt15iterator_traitsISK_E10value_typeET2_T3_PNSL_ISQ_E10value_typeET4_jRbjT5_SW_jjP12ihipStream_tbEUlT_E_NS1_11comp_targetILNS1_3genE9ELNS1_11target_archE1100ELNS1_3gpuE3ELNS1_3repE0EEENS1_30default_config_static_selectorELNS0_4arch9wavefront6targetE0EEEvSK_
	.p2align	8
	.type	_ZN7rocprim17ROCPRIM_400000_NS6detail17trampoline_kernelINS0_14default_configENS1_36segmented_radix_sort_config_selectorIblEEZNS1_25segmented_radix_sort_implIS3_Lb1EPKbPbPKlPlN2at6native12_GLOBAL__N_18offset_tEEE10hipError_tPvRmT1_PNSt15iterator_traitsISK_E10value_typeET2_T3_PNSL_ISQ_E10value_typeET4_jRbjT5_SW_jjP12ihipStream_tbEUlT_E_NS1_11comp_targetILNS1_3genE9ELNS1_11target_archE1100ELNS1_3gpuE3ELNS1_3repE0EEENS1_30default_config_static_selectorELNS0_4arch9wavefront6targetE0EEEvSK_,@function
_ZN7rocprim17ROCPRIM_400000_NS6detail17trampoline_kernelINS0_14default_configENS1_36segmented_radix_sort_config_selectorIblEEZNS1_25segmented_radix_sort_implIS3_Lb1EPKbPbPKlPlN2at6native12_GLOBAL__N_18offset_tEEE10hipError_tPvRmT1_PNSt15iterator_traitsISK_E10value_typeET2_T3_PNSL_ISQ_E10value_typeET4_jRbjT5_SW_jjP12ihipStream_tbEUlT_E_NS1_11comp_targetILNS1_3genE9ELNS1_11target_archE1100ELNS1_3gpuE3ELNS1_3repE0EEENS1_30default_config_static_selectorELNS0_4arch9wavefront6targetE0EEEvSK_: ; @_ZN7rocprim17ROCPRIM_400000_NS6detail17trampoline_kernelINS0_14default_configENS1_36segmented_radix_sort_config_selectorIblEEZNS1_25segmented_radix_sort_implIS3_Lb1EPKbPbPKlPlN2at6native12_GLOBAL__N_18offset_tEEE10hipError_tPvRmT1_PNSt15iterator_traitsISK_E10value_typeET2_T3_PNSL_ISQ_E10value_typeET4_jRbjT5_SW_jjP12ihipStream_tbEUlT_E_NS1_11comp_targetILNS1_3genE9ELNS1_11target_archE1100ELNS1_3gpuE3ELNS1_3repE0EEENS1_30default_config_static_selectorELNS0_4arch9wavefront6targetE0EEEvSK_
; %bb.0:
	.section	.rodata,"a",@progbits
	.p2align	6, 0x0
	.amdhsa_kernel _ZN7rocprim17ROCPRIM_400000_NS6detail17trampoline_kernelINS0_14default_configENS1_36segmented_radix_sort_config_selectorIblEEZNS1_25segmented_radix_sort_implIS3_Lb1EPKbPbPKlPlN2at6native12_GLOBAL__N_18offset_tEEE10hipError_tPvRmT1_PNSt15iterator_traitsISK_E10value_typeET2_T3_PNSL_ISQ_E10value_typeET4_jRbjT5_SW_jjP12ihipStream_tbEUlT_E_NS1_11comp_targetILNS1_3genE9ELNS1_11target_archE1100ELNS1_3gpuE3ELNS1_3repE0EEENS1_30default_config_static_selectorELNS0_4arch9wavefront6targetE0EEEvSK_
		.amdhsa_group_segment_fixed_size 0
		.amdhsa_private_segment_fixed_size 0
		.amdhsa_kernarg_size 96
		.amdhsa_user_sgpr_count 2
		.amdhsa_user_sgpr_dispatch_ptr 0
		.amdhsa_user_sgpr_queue_ptr 0
		.amdhsa_user_sgpr_kernarg_segment_ptr 1
		.amdhsa_user_sgpr_dispatch_id 0
		.amdhsa_user_sgpr_kernarg_preload_length 0
		.amdhsa_user_sgpr_kernarg_preload_offset 0
		.amdhsa_user_sgpr_private_segment_size 0
		.amdhsa_wavefront_size32 1
		.amdhsa_uses_dynamic_stack 0
		.amdhsa_enable_private_segment 0
		.amdhsa_system_sgpr_workgroup_id_x 1
		.amdhsa_system_sgpr_workgroup_id_y 0
		.amdhsa_system_sgpr_workgroup_id_z 0
		.amdhsa_system_sgpr_workgroup_info 0
		.amdhsa_system_vgpr_workitem_id 0
		.amdhsa_next_free_vgpr 1
		.amdhsa_next_free_sgpr 1
		.amdhsa_named_barrier_count 0
		.amdhsa_reserve_vcc 0
		.amdhsa_float_round_mode_32 0
		.amdhsa_float_round_mode_16_64 0
		.amdhsa_float_denorm_mode_32 3
		.amdhsa_float_denorm_mode_16_64 3
		.amdhsa_fp16_overflow 0
		.amdhsa_memory_ordered 1
		.amdhsa_forward_progress 1
		.amdhsa_inst_pref_size 0
		.amdhsa_round_robin_scheduling 0
		.amdhsa_exception_fp_ieee_invalid_op 0
		.amdhsa_exception_fp_denorm_src 0
		.amdhsa_exception_fp_ieee_div_zero 0
		.amdhsa_exception_fp_ieee_overflow 0
		.amdhsa_exception_fp_ieee_underflow 0
		.amdhsa_exception_fp_ieee_inexact 0
		.amdhsa_exception_int_div_zero 0
	.end_amdhsa_kernel
	.section	.text._ZN7rocprim17ROCPRIM_400000_NS6detail17trampoline_kernelINS0_14default_configENS1_36segmented_radix_sort_config_selectorIblEEZNS1_25segmented_radix_sort_implIS3_Lb1EPKbPbPKlPlN2at6native12_GLOBAL__N_18offset_tEEE10hipError_tPvRmT1_PNSt15iterator_traitsISK_E10value_typeET2_T3_PNSL_ISQ_E10value_typeET4_jRbjT5_SW_jjP12ihipStream_tbEUlT_E_NS1_11comp_targetILNS1_3genE9ELNS1_11target_archE1100ELNS1_3gpuE3ELNS1_3repE0EEENS1_30default_config_static_selectorELNS0_4arch9wavefront6targetE0EEEvSK_,"axG",@progbits,_ZN7rocprim17ROCPRIM_400000_NS6detail17trampoline_kernelINS0_14default_configENS1_36segmented_radix_sort_config_selectorIblEEZNS1_25segmented_radix_sort_implIS3_Lb1EPKbPbPKlPlN2at6native12_GLOBAL__N_18offset_tEEE10hipError_tPvRmT1_PNSt15iterator_traitsISK_E10value_typeET2_T3_PNSL_ISQ_E10value_typeET4_jRbjT5_SW_jjP12ihipStream_tbEUlT_E_NS1_11comp_targetILNS1_3genE9ELNS1_11target_archE1100ELNS1_3gpuE3ELNS1_3repE0EEENS1_30default_config_static_selectorELNS0_4arch9wavefront6targetE0EEEvSK_,comdat
.Lfunc_end1532:
	.size	_ZN7rocprim17ROCPRIM_400000_NS6detail17trampoline_kernelINS0_14default_configENS1_36segmented_radix_sort_config_selectorIblEEZNS1_25segmented_radix_sort_implIS3_Lb1EPKbPbPKlPlN2at6native12_GLOBAL__N_18offset_tEEE10hipError_tPvRmT1_PNSt15iterator_traitsISK_E10value_typeET2_T3_PNSL_ISQ_E10value_typeET4_jRbjT5_SW_jjP12ihipStream_tbEUlT_E_NS1_11comp_targetILNS1_3genE9ELNS1_11target_archE1100ELNS1_3gpuE3ELNS1_3repE0EEENS1_30default_config_static_selectorELNS0_4arch9wavefront6targetE0EEEvSK_, .Lfunc_end1532-_ZN7rocprim17ROCPRIM_400000_NS6detail17trampoline_kernelINS0_14default_configENS1_36segmented_radix_sort_config_selectorIblEEZNS1_25segmented_radix_sort_implIS3_Lb1EPKbPbPKlPlN2at6native12_GLOBAL__N_18offset_tEEE10hipError_tPvRmT1_PNSt15iterator_traitsISK_E10value_typeET2_T3_PNSL_ISQ_E10value_typeET4_jRbjT5_SW_jjP12ihipStream_tbEUlT_E_NS1_11comp_targetILNS1_3genE9ELNS1_11target_archE1100ELNS1_3gpuE3ELNS1_3repE0EEENS1_30default_config_static_selectorELNS0_4arch9wavefront6targetE0EEEvSK_
                                        ; -- End function
	.set _ZN7rocprim17ROCPRIM_400000_NS6detail17trampoline_kernelINS0_14default_configENS1_36segmented_radix_sort_config_selectorIblEEZNS1_25segmented_radix_sort_implIS3_Lb1EPKbPbPKlPlN2at6native12_GLOBAL__N_18offset_tEEE10hipError_tPvRmT1_PNSt15iterator_traitsISK_E10value_typeET2_T3_PNSL_ISQ_E10value_typeET4_jRbjT5_SW_jjP12ihipStream_tbEUlT_E_NS1_11comp_targetILNS1_3genE9ELNS1_11target_archE1100ELNS1_3gpuE3ELNS1_3repE0EEENS1_30default_config_static_selectorELNS0_4arch9wavefront6targetE0EEEvSK_.num_vgpr, 0
	.set _ZN7rocprim17ROCPRIM_400000_NS6detail17trampoline_kernelINS0_14default_configENS1_36segmented_radix_sort_config_selectorIblEEZNS1_25segmented_radix_sort_implIS3_Lb1EPKbPbPKlPlN2at6native12_GLOBAL__N_18offset_tEEE10hipError_tPvRmT1_PNSt15iterator_traitsISK_E10value_typeET2_T3_PNSL_ISQ_E10value_typeET4_jRbjT5_SW_jjP12ihipStream_tbEUlT_E_NS1_11comp_targetILNS1_3genE9ELNS1_11target_archE1100ELNS1_3gpuE3ELNS1_3repE0EEENS1_30default_config_static_selectorELNS0_4arch9wavefront6targetE0EEEvSK_.num_agpr, 0
	.set _ZN7rocprim17ROCPRIM_400000_NS6detail17trampoline_kernelINS0_14default_configENS1_36segmented_radix_sort_config_selectorIblEEZNS1_25segmented_radix_sort_implIS3_Lb1EPKbPbPKlPlN2at6native12_GLOBAL__N_18offset_tEEE10hipError_tPvRmT1_PNSt15iterator_traitsISK_E10value_typeET2_T3_PNSL_ISQ_E10value_typeET4_jRbjT5_SW_jjP12ihipStream_tbEUlT_E_NS1_11comp_targetILNS1_3genE9ELNS1_11target_archE1100ELNS1_3gpuE3ELNS1_3repE0EEENS1_30default_config_static_selectorELNS0_4arch9wavefront6targetE0EEEvSK_.numbered_sgpr, 0
	.set _ZN7rocprim17ROCPRIM_400000_NS6detail17trampoline_kernelINS0_14default_configENS1_36segmented_radix_sort_config_selectorIblEEZNS1_25segmented_radix_sort_implIS3_Lb1EPKbPbPKlPlN2at6native12_GLOBAL__N_18offset_tEEE10hipError_tPvRmT1_PNSt15iterator_traitsISK_E10value_typeET2_T3_PNSL_ISQ_E10value_typeET4_jRbjT5_SW_jjP12ihipStream_tbEUlT_E_NS1_11comp_targetILNS1_3genE9ELNS1_11target_archE1100ELNS1_3gpuE3ELNS1_3repE0EEENS1_30default_config_static_selectorELNS0_4arch9wavefront6targetE0EEEvSK_.num_named_barrier, 0
	.set _ZN7rocprim17ROCPRIM_400000_NS6detail17trampoline_kernelINS0_14default_configENS1_36segmented_radix_sort_config_selectorIblEEZNS1_25segmented_radix_sort_implIS3_Lb1EPKbPbPKlPlN2at6native12_GLOBAL__N_18offset_tEEE10hipError_tPvRmT1_PNSt15iterator_traitsISK_E10value_typeET2_T3_PNSL_ISQ_E10value_typeET4_jRbjT5_SW_jjP12ihipStream_tbEUlT_E_NS1_11comp_targetILNS1_3genE9ELNS1_11target_archE1100ELNS1_3gpuE3ELNS1_3repE0EEENS1_30default_config_static_selectorELNS0_4arch9wavefront6targetE0EEEvSK_.private_seg_size, 0
	.set _ZN7rocprim17ROCPRIM_400000_NS6detail17trampoline_kernelINS0_14default_configENS1_36segmented_radix_sort_config_selectorIblEEZNS1_25segmented_radix_sort_implIS3_Lb1EPKbPbPKlPlN2at6native12_GLOBAL__N_18offset_tEEE10hipError_tPvRmT1_PNSt15iterator_traitsISK_E10value_typeET2_T3_PNSL_ISQ_E10value_typeET4_jRbjT5_SW_jjP12ihipStream_tbEUlT_E_NS1_11comp_targetILNS1_3genE9ELNS1_11target_archE1100ELNS1_3gpuE3ELNS1_3repE0EEENS1_30default_config_static_selectorELNS0_4arch9wavefront6targetE0EEEvSK_.uses_vcc, 0
	.set _ZN7rocprim17ROCPRIM_400000_NS6detail17trampoline_kernelINS0_14default_configENS1_36segmented_radix_sort_config_selectorIblEEZNS1_25segmented_radix_sort_implIS3_Lb1EPKbPbPKlPlN2at6native12_GLOBAL__N_18offset_tEEE10hipError_tPvRmT1_PNSt15iterator_traitsISK_E10value_typeET2_T3_PNSL_ISQ_E10value_typeET4_jRbjT5_SW_jjP12ihipStream_tbEUlT_E_NS1_11comp_targetILNS1_3genE9ELNS1_11target_archE1100ELNS1_3gpuE3ELNS1_3repE0EEENS1_30default_config_static_selectorELNS0_4arch9wavefront6targetE0EEEvSK_.uses_flat_scratch, 0
	.set _ZN7rocprim17ROCPRIM_400000_NS6detail17trampoline_kernelINS0_14default_configENS1_36segmented_radix_sort_config_selectorIblEEZNS1_25segmented_radix_sort_implIS3_Lb1EPKbPbPKlPlN2at6native12_GLOBAL__N_18offset_tEEE10hipError_tPvRmT1_PNSt15iterator_traitsISK_E10value_typeET2_T3_PNSL_ISQ_E10value_typeET4_jRbjT5_SW_jjP12ihipStream_tbEUlT_E_NS1_11comp_targetILNS1_3genE9ELNS1_11target_archE1100ELNS1_3gpuE3ELNS1_3repE0EEENS1_30default_config_static_selectorELNS0_4arch9wavefront6targetE0EEEvSK_.has_dyn_sized_stack, 0
	.set _ZN7rocprim17ROCPRIM_400000_NS6detail17trampoline_kernelINS0_14default_configENS1_36segmented_radix_sort_config_selectorIblEEZNS1_25segmented_radix_sort_implIS3_Lb1EPKbPbPKlPlN2at6native12_GLOBAL__N_18offset_tEEE10hipError_tPvRmT1_PNSt15iterator_traitsISK_E10value_typeET2_T3_PNSL_ISQ_E10value_typeET4_jRbjT5_SW_jjP12ihipStream_tbEUlT_E_NS1_11comp_targetILNS1_3genE9ELNS1_11target_archE1100ELNS1_3gpuE3ELNS1_3repE0EEENS1_30default_config_static_selectorELNS0_4arch9wavefront6targetE0EEEvSK_.has_recursion, 0
	.set _ZN7rocprim17ROCPRIM_400000_NS6detail17trampoline_kernelINS0_14default_configENS1_36segmented_radix_sort_config_selectorIblEEZNS1_25segmented_radix_sort_implIS3_Lb1EPKbPbPKlPlN2at6native12_GLOBAL__N_18offset_tEEE10hipError_tPvRmT1_PNSt15iterator_traitsISK_E10value_typeET2_T3_PNSL_ISQ_E10value_typeET4_jRbjT5_SW_jjP12ihipStream_tbEUlT_E_NS1_11comp_targetILNS1_3genE9ELNS1_11target_archE1100ELNS1_3gpuE3ELNS1_3repE0EEENS1_30default_config_static_selectorELNS0_4arch9wavefront6targetE0EEEvSK_.has_indirect_call, 0
	.section	.AMDGPU.csdata,"",@progbits
; Kernel info:
; codeLenInByte = 0
; TotalNumSgprs: 0
; NumVgprs: 0
; ScratchSize: 0
; MemoryBound: 0
; FloatMode: 240
; IeeeMode: 1
; LDSByteSize: 0 bytes/workgroup (compile time only)
; SGPRBlocks: 0
; VGPRBlocks: 0
; NumSGPRsForWavesPerEU: 1
; NumVGPRsForWavesPerEU: 1
; NamedBarCnt: 0
; Occupancy: 16
; WaveLimiterHint : 0
; COMPUTE_PGM_RSRC2:SCRATCH_EN: 0
; COMPUTE_PGM_RSRC2:USER_SGPR: 2
; COMPUTE_PGM_RSRC2:TRAP_HANDLER: 0
; COMPUTE_PGM_RSRC2:TGID_X_EN: 1
; COMPUTE_PGM_RSRC2:TGID_Y_EN: 0
; COMPUTE_PGM_RSRC2:TGID_Z_EN: 0
; COMPUTE_PGM_RSRC2:TIDIG_COMP_CNT: 0
	.section	.text._ZN7rocprim17ROCPRIM_400000_NS6detail17trampoline_kernelINS0_14default_configENS1_36segmented_radix_sort_config_selectorIblEEZNS1_25segmented_radix_sort_implIS3_Lb1EPKbPbPKlPlN2at6native12_GLOBAL__N_18offset_tEEE10hipError_tPvRmT1_PNSt15iterator_traitsISK_E10value_typeET2_T3_PNSL_ISQ_E10value_typeET4_jRbjT5_SW_jjP12ihipStream_tbEUlT_E_NS1_11comp_targetILNS1_3genE8ELNS1_11target_archE1030ELNS1_3gpuE2ELNS1_3repE0EEENS1_30default_config_static_selectorELNS0_4arch9wavefront6targetE0EEEvSK_,"axG",@progbits,_ZN7rocprim17ROCPRIM_400000_NS6detail17trampoline_kernelINS0_14default_configENS1_36segmented_radix_sort_config_selectorIblEEZNS1_25segmented_radix_sort_implIS3_Lb1EPKbPbPKlPlN2at6native12_GLOBAL__N_18offset_tEEE10hipError_tPvRmT1_PNSt15iterator_traitsISK_E10value_typeET2_T3_PNSL_ISQ_E10value_typeET4_jRbjT5_SW_jjP12ihipStream_tbEUlT_E_NS1_11comp_targetILNS1_3genE8ELNS1_11target_archE1030ELNS1_3gpuE2ELNS1_3repE0EEENS1_30default_config_static_selectorELNS0_4arch9wavefront6targetE0EEEvSK_,comdat
	.globl	_ZN7rocprim17ROCPRIM_400000_NS6detail17trampoline_kernelINS0_14default_configENS1_36segmented_radix_sort_config_selectorIblEEZNS1_25segmented_radix_sort_implIS3_Lb1EPKbPbPKlPlN2at6native12_GLOBAL__N_18offset_tEEE10hipError_tPvRmT1_PNSt15iterator_traitsISK_E10value_typeET2_T3_PNSL_ISQ_E10value_typeET4_jRbjT5_SW_jjP12ihipStream_tbEUlT_E_NS1_11comp_targetILNS1_3genE8ELNS1_11target_archE1030ELNS1_3gpuE2ELNS1_3repE0EEENS1_30default_config_static_selectorELNS0_4arch9wavefront6targetE0EEEvSK_ ; -- Begin function _ZN7rocprim17ROCPRIM_400000_NS6detail17trampoline_kernelINS0_14default_configENS1_36segmented_radix_sort_config_selectorIblEEZNS1_25segmented_radix_sort_implIS3_Lb1EPKbPbPKlPlN2at6native12_GLOBAL__N_18offset_tEEE10hipError_tPvRmT1_PNSt15iterator_traitsISK_E10value_typeET2_T3_PNSL_ISQ_E10value_typeET4_jRbjT5_SW_jjP12ihipStream_tbEUlT_E_NS1_11comp_targetILNS1_3genE8ELNS1_11target_archE1030ELNS1_3gpuE2ELNS1_3repE0EEENS1_30default_config_static_selectorELNS0_4arch9wavefront6targetE0EEEvSK_
	.p2align	8
	.type	_ZN7rocprim17ROCPRIM_400000_NS6detail17trampoline_kernelINS0_14default_configENS1_36segmented_radix_sort_config_selectorIblEEZNS1_25segmented_radix_sort_implIS3_Lb1EPKbPbPKlPlN2at6native12_GLOBAL__N_18offset_tEEE10hipError_tPvRmT1_PNSt15iterator_traitsISK_E10value_typeET2_T3_PNSL_ISQ_E10value_typeET4_jRbjT5_SW_jjP12ihipStream_tbEUlT_E_NS1_11comp_targetILNS1_3genE8ELNS1_11target_archE1030ELNS1_3gpuE2ELNS1_3repE0EEENS1_30default_config_static_selectorELNS0_4arch9wavefront6targetE0EEEvSK_,@function
_ZN7rocprim17ROCPRIM_400000_NS6detail17trampoline_kernelINS0_14default_configENS1_36segmented_radix_sort_config_selectorIblEEZNS1_25segmented_radix_sort_implIS3_Lb1EPKbPbPKlPlN2at6native12_GLOBAL__N_18offset_tEEE10hipError_tPvRmT1_PNSt15iterator_traitsISK_E10value_typeET2_T3_PNSL_ISQ_E10value_typeET4_jRbjT5_SW_jjP12ihipStream_tbEUlT_E_NS1_11comp_targetILNS1_3genE8ELNS1_11target_archE1030ELNS1_3gpuE2ELNS1_3repE0EEENS1_30default_config_static_selectorELNS0_4arch9wavefront6targetE0EEEvSK_: ; @_ZN7rocprim17ROCPRIM_400000_NS6detail17trampoline_kernelINS0_14default_configENS1_36segmented_radix_sort_config_selectorIblEEZNS1_25segmented_radix_sort_implIS3_Lb1EPKbPbPKlPlN2at6native12_GLOBAL__N_18offset_tEEE10hipError_tPvRmT1_PNSt15iterator_traitsISK_E10value_typeET2_T3_PNSL_ISQ_E10value_typeET4_jRbjT5_SW_jjP12ihipStream_tbEUlT_E_NS1_11comp_targetILNS1_3genE8ELNS1_11target_archE1030ELNS1_3gpuE2ELNS1_3repE0EEENS1_30default_config_static_selectorELNS0_4arch9wavefront6targetE0EEEvSK_
; %bb.0:
	.section	.rodata,"a",@progbits
	.p2align	6, 0x0
	.amdhsa_kernel _ZN7rocprim17ROCPRIM_400000_NS6detail17trampoline_kernelINS0_14default_configENS1_36segmented_radix_sort_config_selectorIblEEZNS1_25segmented_radix_sort_implIS3_Lb1EPKbPbPKlPlN2at6native12_GLOBAL__N_18offset_tEEE10hipError_tPvRmT1_PNSt15iterator_traitsISK_E10value_typeET2_T3_PNSL_ISQ_E10value_typeET4_jRbjT5_SW_jjP12ihipStream_tbEUlT_E_NS1_11comp_targetILNS1_3genE8ELNS1_11target_archE1030ELNS1_3gpuE2ELNS1_3repE0EEENS1_30default_config_static_selectorELNS0_4arch9wavefront6targetE0EEEvSK_
		.amdhsa_group_segment_fixed_size 0
		.amdhsa_private_segment_fixed_size 0
		.amdhsa_kernarg_size 96
		.amdhsa_user_sgpr_count 2
		.amdhsa_user_sgpr_dispatch_ptr 0
		.amdhsa_user_sgpr_queue_ptr 0
		.amdhsa_user_sgpr_kernarg_segment_ptr 1
		.amdhsa_user_sgpr_dispatch_id 0
		.amdhsa_user_sgpr_kernarg_preload_length 0
		.amdhsa_user_sgpr_kernarg_preload_offset 0
		.amdhsa_user_sgpr_private_segment_size 0
		.amdhsa_wavefront_size32 1
		.amdhsa_uses_dynamic_stack 0
		.amdhsa_enable_private_segment 0
		.amdhsa_system_sgpr_workgroup_id_x 1
		.amdhsa_system_sgpr_workgroup_id_y 0
		.amdhsa_system_sgpr_workgroup_id_z 0
		.amdhsa_system_sgpr_workgroup_info 0
		.amdhsa_system_vgpr_workitem_id 0
		.amdhsa_next_free_vgpr 1
		.amdhsa_next_free_sgpr 1
		.amdhsa_named_barrier_count 0
		.amdhsa_reserve_vcc 0
		.amdhsa_float_round_mode_32 0
		.amdhsa_float_round_mode_16_64 0
		.amdhsa_float_denorm_mode_32 3
		.amdhsa_float_denorm_mode_16_64 3
		.amdhsa_fp16_overflow 0
		.amdhsa_memory_ordered 1
		.amdhsa_forward_progress 1
		.amdhsa_inst_pref_size 0
		.amdhsa_round_robin_scheduling 0
		.amdhsa_exception_fp_ieee_invalid_op 0
		.amdhsa_exception_fp_denorm_src 0
		.amdhsa_exception_fp_ieee_div_zero 0
		.amdhsa_exception_fp_ieee_overflow 0
		.amdhsa_exception_fp_ieee_underflow 0
		.amdhsa_exception_fp_ieee_inexact 0
		.amdhsa_exception_int_div_zero 0
	.end_amdhsa_kernel
	.section	.text._ZN7rocprim17ROCPRIM_400000_NS6detail17trampoline_kernelINS0_14default_configENS1_36segmented_radix_sort_config_selectorIblEEZNS1_25segmented_radix_sort_implIS3_Lb1EPKbPbPKlPlN2at6native12_GLOBAL__N_18offset_tEEE10hipError_tPvRmT1_PNSt15iterator_traitsISK_E10value_typeET2_T3_PNSL_ISQ_E10value_typeET4_jRbjT5_SW_jjP12ihipStream_tbEUlT_E_NS1_11comp_targetILNS1_3genE8ELNS1_11target_archE1030ELNS1_3gpuE2ELNS1_3repE0EEENS1_30default_config_static_selectorELNS0_4arch9wavefront6targetE0EEEvSK_,"axG",@progbits,_ZN7rocprim17ROCPRIM_400000_NS6detail17trampoline_kernelINS0_14default_configENS1_36segmented_radix_sort_config_selectorIblEEZNS1_25segmented_radix_sort_implIS3_Lb1EPKbPbPKlPlN2at6native12_GLOBAL__N_18offset_tEEE10hipError_tPvRmT1_PNSt15iterator_traitsISK_E10value_typeET2_T3_PNSL_ISQ_E10value_typeET4_jRbjT5_SW_jjP12ihipStream_tbEUlT_E_NS1_11comp_targetILNS1_3genE8ELNS1_11target_archE1030ELNS1_3gpuE2ELNS1_3repE0EEENS1_30default_config_static_selectorELNS0_4arch9wavefront6targetE0EEEvSK_,comdat
.Lfunc_end1533:
	.size	_ZN7rocprim17ROCPRIM_400000_NS6detail17trampoline_kernelINS0_14default_configENS1_36segmented_radix_sort_config_selectorIblEEZNS1_25segmented_radix_sort_implIS3_Lb1EPKbPbPKlPlN2at6native12_GLOBAL__N_18offset_tEEE10hipError_tPvRmT1_PNSt15iterator_traitsISK_E10value_typeET2_T3_PNSL_ISQ_E10value_typeET4_jRbjT5_SW_jjP12ihipStream_tbEUlT_E_NS1_11comp_targetILNS1_3genE8ELNS1_11target_archE1030ELNS1_3gpuE2ELNS1_3repE0EEENS1_30default_config_static_selectorELNS0_4arch9wavefront6targetE0EEEvSK_, .Lfunc_end1533-_ZN7rocprim17ROCPRIM_400000_NS6detail17trampoline_kernelINS0_14default_configENS1_36segmented_radix_sort_config_selectorIblEEZNS1_25segmented_radix_sort_implIS3_Lb1EPKbPbPKlPlN2at6native12_GLOBAL__N_18offset_tEEE10hipError_tPvRmT1_PNSt15iterator_traitsISK_E10value_typeET2_T3_PNSL_ISQ_E10value_typeET4_jRbjT5_SW_jjP12ihipStream_tbEUlT_E_NS1_11comp_targetILNS1_3genE8ELNS1_11target_archE1030ELNS1_3gpuE2ELNS1_3repE0EEENS1_30default_config_static_selectorELNS0_4arch9wavefront6targetE0EEEvSK_
                                        ; -- End function
	.set _ZN7rocprim17ROCPRIM_400000_NS6detail17trampoline_kernelINS0_14default_configENS1_36segmented_radix_sort_config_selectorIblEEZNS1_25segmented_radix_sort_implIS3_Lb1EPKbPbPKlPlN2at6native12_GLOBAL__N_18offset_tEEE10hipError_tPvRmT1_PNSt15iterator_traitsISK_E10value_typeET2_T3_PNSL_ISQ_E10value_typeET4_jRbjT5_SW_jjP12ihipStream_tbEUlT_E_NS1_11comp_targetILNS1_3genE8ELNS1_11target_archE1030ELNS1_3gpuE2ELNS1_3repE0EEENS1_30default_config_static_selectorELNS0_4arch9wavefront6targetE0EEEvSK_.num_vgpr, 0
	.set _ZN7rocprim17ROCPRIM_400000_NS6detail17trampoline_kernelINS0_14default_configENS1_36segmented_radix_sort_config_selectorIblEEZNS1_25segmented_radix_sort_implIS3_Lb1EPKbPbPKlPlN2at6native12_GLOBAL__N_18offset_tEEE10hipError_tPvRmT1_PNSt15iterator_traitsISK_E10value_typeET2_T3_PNSL_ISQ_E10value_typeET4_jRbjT5_SW_jjP12ihipStream_tbEUlT_E_NS1_11comp_targetILNS1_3genE8ELNS1_11target_archE1030ELNS1_3gpuE2ELNS1_3repE0EEENS1_30default_config_static_selectorELNS0_4arch9wavefront6targetE0EEEvSK_.num_agpr, 0
	.set _ZN7rocprim17ROCPRIM_400000_NS6detail17trampoline_kernelINS0_14default_configENS1_36segmented_radix_sort_config_selectorIblEEZNS1_25segmented_radix_sort_implIS3_Lb1EPKbPbPKlPlN2at6native12_GLOBAL__N_18offset_tEEE10hipError_tPvRmT1_PNSt15iterator_traitsISK_E10value_typeET2_T3_PNSL_ISQ_E10value_typeET4_jRbjT5_SW_jjP12ihipStream_tbEUlT_E_NS1_11comp_targetILNS1_3genE8ELNS1_11target_archE1030ELNS1_3gpuE2ELNS1_3repE0EEENS1_30default_config_static_selectorELNS0_4arch9wavefront6targetE0EEEvSK_.numbered_sgpr, 0
	.set _ZN7rocprim17ROCPRIM_400000_NS6detail17trampoline_kernelINS0_14default_configENS1_36segmented_radix_sort_config_selectorIblEEZNS1_25segmented_radix_sort_implIS3_Lb1EPKbPbPKlPlN2at6native12_GLOBAL__N_18offset_tEEE10hipError_tPvRmT1_PNSt15iterator_traitsISK_E10value_typeET2_T3_PNSL_ISQ_E10value_typeET4_jRbjT5_SW_jjP12ihipStream_tbEUlT_E_NS1_11comp_targetILNS1_3genE8ELNS1_11target_archE1030ELNS1_3gpuE2ELNS1_3repE0EEENS1_30default_config_static_selectorELNS0_4arch9wavefront6targetE0EEEvSK_.num_named_barrier, 0
	.set _ZN7rocprim17ROCPRIM_400000_NS6detail17trampoline_kernelINS0_14default_configENS1_36segmented_radix_sort_config_selectorIblEEZNS1_25segmented_radix_sort_implIS3_Lb1EPKbPbPKlPlN2at6native12_GLOBAL__N_18offset_tEEE10hipError_tPvRmT1_PNSt15iterator_traitsISK_E10value_typeET2_T3_PNSL_ISQ_E10value_typeET4_jRbjT5_SW_jjP12ihipStream_tbEUlT_E_NS1_11comp_targetILNS1_3genE8ELNS1_11target_archE1030ELNS1_3gpuE2ELNS1_3repE0EEENS1_30default_config_static_selectorELNS0_4arch9wavefront6targetE0EEEvSK_.private_seg_size, 0
	.set _ZN7rocprim17ROCPRIM_400000_NS6detail17trampoline_kernelINS0_14default_configENS1_36segmented_radix_sort_config_selectorIblEEZNS1_25segmented_radix_sort_implIS3_Lb1EPKbPbPKlPlN2at6native12_GLOBAL__N_18offset_tEEE10hipError_tPvRmT1_PNSt15iterator_traitsISK_E10value_typeET2_T3_PNSL_ISQ_E10value_typeET4_jRbjT5_SW_jjP12ihipStream_tbEUlT_E_NS1_11comp_targetILNS1_3genE8ELNS1_11target_archE1030ELNS1_3gpuE2ELNS1_3repE0EEENS1_30default_config_static_selectorELNS0_4arch9wavefront6targetE0EEEvSK_.uses_vcc, 0
	.set _ZN7rocprim17ROCPRIM_400000_NS6detail17trampoline_kernelINS0_14default_configENS1_36segmented_radix_sort_config_selectorIblEEZNS1_25segmented_radix_sort_implIS3_Lb1EPKbPbPKlPlN2at6native12_GLOBAL__N_18offset_tEEE10hipError_tPvRmT1_PNSt15iterator_traitsISK_E10value_typeET2_T3_PNSL_ISQ_E10value_typeET4_jRbjT5_SW_jjP12ihipStream_tbEUlT_E_NS1_11comp_targetILNS1_3genE8ELNS1_11target_archE1030ELNS1_3gpuE2ELNS1_3repE0EEENS1_30default_config_static_selectorELNS0_4arch9wavefront6targetE0EEEvSK_.uses_flat_scratch, 0
	.set _ZN7rocprim17ROCPRIM_400000_NS6detail17trampoline_kernelINS0_14default_configENS1_36segmented_radix_sort_config_selectorIblEEZNS1_25segmented_radix_sort_implIS3_Lb1EPKbPbPKlPlN2at6native12_GLOBAL__N_18offset_tEEE10hipError_tPvRmT1_PNSt15iterator_traitsISK_E10value_typeET2_T3_PNSL_ISQ_E10value_typeET4_jRbjT5_SW_jjP12ihipStream_tbEUlT_E_NS1_11comp_targetILNS1_3genE8ELNS1_11target_archE1030ELNS1_3gpuE2ELNS1_3repE0EEENS1_30default_config_static_selectorELNS0_4arch9wavefront6targetE0EEEvSK_.has_dyn_sized_stack, 0
	.set _ZN7rocprim17ROCPRIM_400000_NS6detail17trampoline_kernelINS0_14default_configENS1_36segmented_radix_sort_config_selectorIblEEZNS1_25segmented_radix_sort_implIS3_Lb1EPKbPbPKlPlN2at6native12_GLOBAL__N_18offset_tEEE10hipError_tPvRmT1_PNSt15iterator_traitsISK_E10value_typeET2_T3_PNSL_ISQ_E10value_typeET4_jRbjT5_SW_jjP12ihipStream_tbEUlT_E_NS1_11comp_targetILNS1_3genE8ELNS1_11target_archE1030ELNS1_3gpuE2ELNS1_3repE0EEENS1_30default_config_static_selectorELNS0_4arch9wavefront6targetE0EEEvSK_.has_recursion, 0
	.set _ZN7rocprim17ROCPRIM_400000_NS6detail17trampoline_kernelINS0_14default_configENS1_36segmented_radix_sort_config_selectorIblEEZNS1_25segmented_radix_sort_implIS3_Lb1EPKbPbPKlPlN2at6native12_GLOBAL__N_18offset_tEEE10hipError_tPvRmT1_PNSt15iterator_traitsISK_E10value_typeET2_T3_PNSL_ISQ_E10value_typeET4_jRbjT5_SW_jjP12ihipStream_tbEUlT_E_NS1_11comp_targetILNS1_3genE8ELNS1_11target_archE1030ELNS1_3gpuE2ELNS1_3repE0EEENS1_30default_config_static_selectorELNS0_4arch9wavefront6targetE0EEEvSK_.has_indirect_call, 0
	.section	.AMDGPU.csdata,"",@progbits
; Kernel info:
; codeLenInByte = 0
; TotalNumSgprs: 0
; NumVgprs: 0
; ScratchSize: 0
; MemoryBound: 0
; FloatMode: 240
; IeeeMode: 1
; LDSByteSize: 0 bytes/workgroup (compile time only)
; SGPRBlocks: 0
; VGPRBlocks: 0
; NumSGPRsForWavesPerEU: 1
; NumVGPRsForWavesPerEU: 1
; NamedBarCnt: 0
; Occupancy: 16
; WaveLimiterHint : 0
; COMPUTE_PGM_RSRC2:SCRATCH_EN: 0
; COMPUTE_PGM_RSRC2:USER_SGPR: 2
; COMPUTE_PGM_RSRC2:TRAP_HANDLER: 0
; COMPUTE_PGM_RSRC2:TGID_X_EN: 1
; COMPUTE_PGM_RSRC2:TGID_Y_EN: 0
; COMPUTE_PGM_RSRC2:TGID_Z_EN: 0
; COMPUTE_PGM_RSRC2:TIDIG_COMP_CNT: 0
	.text
	.p2align	2                               ; -- Begin function _ZN7rocprim17ROCPRIM_400000_NS6detail26segmented_warp_sort_helperINS1_20WarpSortHelperConfigILj32ELj4ELj256EEEblLi256ELb1EvE4sortIPKbPbPKlPlEEvT_T0_T1_T2_jjjjRNS5_12storage_typeE
	.type	_ZN7rocprim17ROCPRIM_400000_NS6detail26segmented_warp_sort_helperINS1_20WarpSortHelperConfigILj32ELj4ELj256EEEblLi256ELb1EvE4sortIPKbPbPKlPlEEvT_T0_T1_T2_jjjjRNS5_12storage_typeE,@function
_ZN7rocprim17ROCPRIM_400000_NS6detail26segmented_warp_sort_helperINS1_20WarpSortHelperConfigILj32ELj4ELj256EEEblLi256ELb1EvE4sortIPKbPbPKlPlEEvT_T0_T1_T2_jjjjRNS5_12storage_typeE: ; @_ZN7rocprim17ROCPRIM_400000_NS6detail26segmented_warp_sort_helperINS1_20WarpSortHelperConfigILj32ELj4ELj256EEEblLi256ELb1EvE4sortIPKbPbPKlPlEEvT_T0_T1_T2_jjjjRNS5_12storage_typeE
; %bb.0:
	s_wait_loadcnt_dscnt 0x0
	s_wait_kmcnt 0x0
	v_dual_mov_b32 v14, v9 :: v_dual_mov_b32 v34, 0
	v_mbcnt_lo_u32_b32 v15, -1, 0
	s_delay_alu instid0(VALU_DEP_2) | instskip(NEXT) | instid1(VALU_DEP_3)
	v_dual_mov_b32 v35, 0 :: v_dual_sub_nc_u32 v16, v14, v8
	v_mov_b32_e32 v9, v34
	s_delay_alu instid0(VALU_DEP_1) | instskip(NEXT) | instid1(VALU_DEP_4)
	v_add_nc_u64_e32 v[18:19], v[0:1], v[8:9]
	v_dual_mov_b32 v1, v34 :: v_dual_lshlrev_b32 v0, 2, v15
	s_delay_alu instid0(VALU_DEP_1) | instskip(NEXT) | instid1(VALU_DEP_2)
	v_cmp_lt_u32_e32 vcc_lo, v0, v16
	v_add_nc_u64_e32 v[14:15], v[18:19], v[0:1]
	s_and_saveexec_b32 s0, vcc_lo
	s_cbranch_execz .LBB1534_2
; %bb.1:
	flat_load_u8 v35, v[14:15]
.LBB1534_2:
	s_wait_xcnt 0x0
	s_or_b32 exec_lo, exec_lo, s0
	v_or_b32_e32 v17, 1, v0
	s_delay_alu instid0(VALU_DEP_1)
	v_cmp_lt_u32_e64 s0, v17, v16
	s_and_saveexec_b32 s1, s0
	s_cbranch_execz .LBB1534_4
; %bb.3:
	flat_load_u8 v34, v[14:15] offset:1
.LBB1534_4:
	s_wait_xcnt 0x0
	s_or_b32 exec_lo, exec_lo, s1
	v_dual_mov_b32 v30, 0 :: v_dual_bitop2_b32 v17, 2, v0 bitop3:0x54
	v_mov_b32_e32 v36, 0
	s_delay_alu instid0(VALU_DEP_2)
	v_cmp_lt_u32_e64 s1, v17, v16
	s_and_saveexec_b32 s2, s1
	s_cbranch_execz .LBB1534_6
; %bb.5:
	flat_load_u8 v36, v[14:15] offset:2
.LBB1534_6:
	s_wait_xcnt 0x0
	s_or_b32 exec_lo, exec_lo, s2
	v_or_b32_e32 v17, 3, v0
	s_delay_alu instid0(VALU_DEP_1)
	v_cmp_lt_u32_e64 s2, v17, v16
	s_and_saveexec_b32 s3, s2
	s_cbranch_execz .LBB1534_8
; %bb.7:
	flat_load_u8 v30, v[14:15] offset:3
.LBB1534_8:
	s_wait_xcnt 0x0
	s_or_b32 exec_lo, exec_lo, s3
	v_lshl_add_u64 v[14:15], v[8:9], 3, v[4:5]
	v_dual_mov_b32 v5, 0 :: v_dual_lshlrev_b32 v4, 3, v0
	v_mov_b64_e32 v[22:23], 0
	; wave barrier
	s_delay_alu instid0(VALU_DEP_2)
	v_add_nc_u64_e32 v[26:27], v[14:15], v[4:5]
	v_mov_b64_e32 v[14:15], 0
	s_and_saveexec_b32 s3, vcc_lo
	s_cbranch_execz .LBB1534_10
; %bb.9:
	flat_load_b64 v[14:15], v[26:27]
.LBB1534_10:
	s_wait_xcnt 0x0
	s_or_b32 exec_lo, exec_lo, s3
	s_mov_b32 s3, 0
	s_delay_alu instid0(SALU_CYCLE_1)
	v_dual_mov_b32 v18, s3 :: v_dual_mov_b32 v19, s3
	v_dual_mov_b32 v24, s3 :: v_dual_mov_b32 v25, s3
	;; [unrolled: 1-line block ×3, first 2 shown]
	s_and_saveexec_b32 s4, s0
	s_cbranch_execz .LBB1534_12
; %bb.11:
	flat_load_b64 v[18:19], v[26:27] offset:8
	v_dual_mov_b32 v24, s3 :: v_dual_mov_b32 v25, s3
	v_dual_mov_b32 v32, s3 :: v_dual_mov_b32 v33, s3
	s_wait_loadcnt_dscnt 0x0
	v_mov_b64_e32 v[22:23], v[18:19]
.LBB1534_12:
	s_wait_xcnt 0x0
	s_or_b32 exec_lo, exec_lo, s4
	v_mov_b64_e32 v[20:21], 0
	v_mov_b64_e32 v[16:17], 0
	s_and_saveexec_b32 s3, s1
	s_cbranch_execz .LBB1534_14
; %bb.13:
	flat_load_b64 v[24:25], v[26:27] offset:16
	s_mov_b32 s4, 0
	s_delay_alu instid0(SALU_CYCLE_1)
	v_dual_mov_b32 v32, s4 :: v_dual_mov_b32 v33, s4
	s_wait_loadcnt_dscnt 0x0
	v_mov_b64_e32 v[16:17], v[24:25]
.LBB1534_14:
	s_wait_xcnt 0x0
	s_or_b32 exec_lo, exec_lo, s3
	s_and_saveexec_b32 s3, s2
	s_cbranch_execz .LBB1534_16
; %bb.15:
	flat_load_b64 v[32:33], v[26:27] offset:24
	s_wait_loadcnt_dscnt 0x0
	v_mov_b64_e32 v[20:21], v[32:33]
.LBB1534_16:
	s_wait_xcnt 0x0
	s_or_b32 exec_lo, exec_lo, s3
	v_cmp_ne_u32_e64 s3, 0, v10
	v_cmp_ne_u32_e64 s4, 8, v11
	v_bfe_u32 v5, v31, 10, 10
	v_bfe_u32 v27, v31, 20, 10
	v_and_b32_e32 v26, 0x3ff, v31
	s_mov_b32 s5, 0
	s_or_b32 s3, s3, s4
	s_getreg_b32 s11, hwreg(HW_REG_IB_STS2, 6, 4)
	; wave barrier
	s_and_saveexec_b32 s4, s3
	s_delay_alu instid0(SALU_CYCLE_1)
	s_xor_b32 s12, exec_lo, s4
	s_cbranch_execz .LBB1534_80
; %bb.17:
	v_cmp_ne_u32_e64 s3, 0, v11
	v_cmp_ne_u32_e64 s4, 0, v10
	s_load_b64 s[6:7], s[8:9], 0x0
	s_bfe_u32 s13, ttmp6, 0x40010
	s_and_b32 s10, ttmp7, 0xffff
	s_add_co_i32 s13, s13, 1
	s_xor_b32 s3, s4, s3
	s_bfe_u32 s4, ttmp6, 0x4000c
	v_cndmask_b32_e64 v10, 0, 1, s3
	s_add_co_i32 s4, s4, 1
	s_and_b32 s3, ttmp6, 15
	s_bfe_u32 s14, ttmp6, 0x40004
	s_mul_i32 s4, ttmp9, s4
	s_clause 0x1
	scratch_store_b8 off, v10, s32 offset:6
	scratch_load_u8 v10, off, s32 offset:6
	s_mul_i32 s13, s10, s13
	s_add_co_i32 s3, s3, s4
	s_add_co_i32 s14, s14, s13
	s_cmp_eq_u32 s11, 0
	s_cselect_b32 s3, ttmp9, s3
	s_cselect_b32 s10, s10, s14
	s_wait_kmcnt 0x0
	s_cmp_lt_u32 s3, s6
	s_cselect_b32 s4, 12, 18
	s_cmp_lt_u32 s10, s7
	s_mov_b32 s7, s5
	s_cselect_b32 s6, 14, 20
	s_add_nc_u64 s[4:5], s[8:9], s[4:5]
	s_add_nc_u64 s[6:7], s[8:9], s[6:7]
	s_load_u16 s4, s[4:5], 0x0
	s_wait_loadcnt 0x0
	v_and_b32_e32 v10, 1, v10
	s_load_u16 s3, s[6:7], 0x0
	s_wait_xcnt 0x0
	s_mov_b32 s6, exec_lo
	s_delay_alu instid0(VALU_DEP_1)
	v_and_b32_e32 v11, 1, v10
	s_clause 0x1
	scratch_store_b8 off, v10, s32 offset:5
	scratch_store_b8 off, v11, s32 offset:4
	s_wait_kmcnt 0x0
	v_mad_u32_u24 v5, v27, s3, v5
	v_cmp_eq_u32_e64 s3, 1, v10
	s_delay_alu instid0(VALU_DEP_2) | instskip(NEXT) | instid1(VALU_DEP_1)
	v_mul_lo_u32 v5, v5, s4
	v_add_lshl_u32 v5, v5, v26, 2
	s_wait_xcnt 0x0
	s_delay_alu instid0(VALU_DEP_1)
	v_cmpx_gt_u32_e32 0x400, v5
	s_cbranch_execz .LBB1534_29
; %bb.18:
	scratch_load_u8 v10, off, s32 offset:4
	s_mov_b32 s7, exec_lo
	s_wait_loadcnt_dscnt 0x0
	v_bitop3_b16 v11, v10, 1, v34 bitop3:0x80
	v_bitop3_b16 v16, v10, 1, v35 bitop3:0x80
	;; [unrolled: 1-line block ×4, first 2 shown]
	v_and_b32_e32 v20, v10, v36
	s_delay_alu instid0(VALU_DEP_4) | instskip(NEXT) | instid1(VALU_DEP_1)
	v_cmp_gt_u16_e64 s4, v11, v16
	v_dual_mov_b32 v11, v36 :: v_dual_cndmask_b32 v17, v19, v15, s4
	v_dual_cndmask_b32 v16, v18, v14, s4 :: v_dual_cndmask_b32 v15, v15, v19, s4
	v_cndmask_b32_e64 v14, v14, v18, s4
	v_mov_b64_e32 v[18:19], v[24:25]
	s_wait_xcnt 0x0
	v_cmpx_gt_u16_e64 v21, v22
; %bb.19:
	v_mov_b64_e32 v[18:19], v[32:33]
	v_mov_b64_e32 v[32:33], v[24:25]
	v_dual_mov_b32 v11, 1 :: v_dual_mov_b32 v30, v36
	v_mov_b32_e32 v20, 1
; %bb.20:
	s_or_b32 exec_lo, exec_lo, s7
	v_cndmask_b32_e64 v34, v34, v35, s4
	s_delay_alu instid0(VALU_DEP_2) | instskip(SKIP_1) | instid1(VALU_DEP_3)
	v_and_b32_e32 v21, 0xff, v20
	v_mov_b32_e32 v20, v32
                                        ; implicit-def: $vgpr31
	v_bitop3_b16 v22, v34, 0xff, v10 bitop3:0x80
	s_delay_alu instid0(VALU_DEP_1) | instskip(NEXT) | instid1(VALU_DEP_3)
	v_cmp_le_u16_e64 s5, v21, v22
	v_mov_b64_e32 v[28:29], v[20:21]
	v_mov_b64_e32 v[22:23], v[14:15]
	;; [unrolled: 1-line block ×4, first 2 shown]
	s_and_saveexec_b32 s7, s5
	s_delay_alu instid0(SALU_CYCLE_1)
	s_xor_b32 s5, exec_lo, s7
; %bb.21:
	v_and_b32_e32 v31, v11, v10
                                        ; implicit-def: $vgpr22_vgpr23_vgpr24_vgpr25_vgpr26_vgpr27_vgpr28_vgpr29
; %bb.22:
	s_or_saveexec_b32 s5, s5
	v_dual_mov_b32 v21, v33 :: v_dual_bitop2_b32 v36, v34, v10 bitop3:0x40
	v_mov_b32_e32 v24, v34
	s_xor_b32 exec_lo, exec_lo, s5
	s_cbranch_execz .LBB1534_24
; %bb.23:
	v_dual_mov_b32 v24, v18 :: v_dual_mov_b32 v25, v19
	v_dual_mov_b32 v26, v16 :: v_dual_mov_b32 v27, v17
	;; [unrolled: 1-line block ×3, first 2 shown]
	v_mov_b64_e32 v[14:15], v[22:23]
	s_delay_alu instid0(VALU_DEP_4) | instskip(NEXT) | instid1(VALU_DEP_4)
	v_mov_b64_e32 v[16:17], v[24:25]
	v_mov_b64_e32 v[18:19], v[26:27]
	v_dual_mov_b32 v36, 1 :: v_dual_mov_b32 v31, 0
	v_mov_b64_e32 v[20:21], v[28:29]
	v_dual_mov_b32 v24, v11 :: v_dual_mov_b32 v11, v34
.LBB1534_24:
	s_or_b32 exec_lo, exec_lo, s5
	v_cndmask_b32_e64 v25, v35, 1, s4
	v_and_b32_e32 v22, 0xff, v36
	v_bitop3_b16 v26, v30, 0xff, v10 bitop3:0x80
	v_and_b32_e32 v27, 0xff, v31
	s_delay_alu instid0(VALU_DEP_4) | instskip(NEXT) | instid1(VALU_DEP_2)
	v_bitop3_b16 v23, v25, 0xff, v10 bitop3:0x80
	v_cmp_gt_u16_e64 s5, v26, v27
	v_mov_b32_e32 v26, v11
	s_delay_alu instid0(VALU_DEP_3) | instskip(NEXT) | instid1(VALU_DEP_1)
	v_cmp_gt_u16_e64 s4, v22, v23
	v_dual_cndmask_b32 v23, v17, v15, s4 :: v_dual_cndmask_b32 v22, v16, v14, s4
	v_dual_cndmask_b32 v15, v15, v17, s4 :: v_dual_cndmask_b32 v14, v14, v16, s4
	s_and_saveexec_b32 s7, s5
; %bb.25:
	v_mov_b64_e32 v[16:17], v[18:19]
	v_mov_b64_e32 v[18:19], v[20:21]
	v_dual_mov_b32 v26, 1 :: v_dual_mov_b32 v30, v11
	v_mov_b32_e32 v31, 1
	s_delay_alu instid0(VALU_DEP_4)
	v_mov_b64_e32 v[20:21], v[16:17]
; %bb.26:
	s_or_b32 exec_lo, exec_lo, s7
	s_delay_alu instid0(VALU_DEP_3) | instskip(SKIP_3) | instid1(VALU_DEP_3)
	v_dual_cndmask_b32 v34, v24, v25, s4 :: v_dual_mov_b32 v36, v26
	v_mov_b64_e32 v[16:17], v[18:19]
	v_and_b32_e32 v11, 0xff, v31
	s_mov_b32 s7, exec_lo
	v_bitop3_b16 v10, v34, 0xff, v10 bitop3:0x80
	s_delay_alu instid0(VALU_DEP_1)
	v_cmpx_gt_u16_e64 v11, v10
; %bb.27:
	v_mov_b64_e32 v[16:17], v[22:23]
	v_mov_b64_e32 v[22:23], v[18:19]
	v_dual_mov_b32 v36, v34 :: v_dual_mov_b32 v34, v26
; %bb.28:
	s_or_b32 exec_lo, exec_lo, s7
	v_cndmask_b32_e64 v35, v25, v24, s4
.LBB1534_29:
	s_or_b32 exec_lo, exec_lo, s6
	v_and_b32_e32 v24, 0xffffff80, v5
	v_dual_mov_b32 v25, 0 :: v_dual_bitop2_b32 v18, 4, v0 bitop3:0x54
	s_mov_b32 s5, exec_lo
	s_delay_alu instid0(VALU_DEP_1) | instskip(NEXT) | instid1(VALU_DEP_1)
	v_add_nc_u64_e32 v[12:13], v[12:13], v[24:25]
	v_mad_nc_u64_u32 v[10:11], v24, 7, v[12:13]
	v_cndmask_b32_e64 v11, 0, 1, s3
	v_add_nc_u32_e32 v5, v12, v0
	scratch_store_b8 off, v11, s32 offset:3
	s_wait_xcnt 0x0
	v_sub_nc_u32_e64 v11, 0x400, v24 clamp
	v_and_b32_e32 v24, 0x78, v0
	v_lshl_add_u32 v48, v0, 3, v10
	s_wait_dscnt 0x0
	ds_store_b8 v5, v35
	ds_store_b8 v5, v34 offset:1
	ds_store_b8 v5, v36 offset:2
	;; [unrolled: 1-line block ×3, first 2 shown]
	ds_store_2addr_b64 v48, v[14:15], v[22:23] offset0:128 offset1:129
	ds_store_2addr_b64 v48, v[16:17], v[20:21] offset0:130 offset1:131
	; wave barrier
	scratch_load_u8 v19, off, s32 offset:3
	v_min_u32_e32 v18, v11, v18
	s_delay_alu instid0(VALU_DEP_1) | instskip(NEXT) | instid1(VALU_DEP_1)
	v_add_min_u32_e64 v49, v18, 4, v11
	v_dual_sub_nc_u32 v27, v49, v18 :: v_dual_bitop2_b32 v26, 4, v0 bitop3:0x40
	s_delay_alu instid0(VALU_DEP_1) | instskip(SKIP_1) | instid1(VALU_DEP_2)
	v_min_u32_e32 v50, v11, v26
	v_sub_nc_u32_e32 v26, v18, v24
	v_sub_nc_u32_e64 v51, v50, v27 clamp
	s_wait_loadcnt 0x0
	v_and_b32_e32 v19, 1, v19
	s_delay_alu instid0(VALU_DEP_3) | instskip(NEXT) | instid1(VALU_DEP_2)
	v_min_u32_e32 v31, v50, v26
	v_cmp_eq_u32_e64 s3, 1, v19
	scratch_store_b8 off, v19, s32 offset:2
	s_wait_xcnt 0x0
	v_cmpx_lt_u32_e64 v51, v31
	s_cbranch_execz .LBB1534_33
; %bb.30:
	scratch_load_u8 v32, off, s32 offset:2
	v_mov_b32_e32 v19, v25
	v_add_nc_u64_e32 v[26:27], v[12:13], v[24:25]
	s_mov_b32 s6, 0
	s_delay_alu instid0(VALU_DEP_2)
	v_add_nc_u64_e32 v[28:29], v[12:13], v[18:19]
.LBB1534_31:                            ; =>This Inner Loop Header: Depth=1
	v_add_nc_u32_e32 v19, v31, v51
	s_delay_alu instid0(VALU_DEP_1) | instskip(NEXT) | instid1(VALU_DEP_1)
	v_lshrrev_b32_e32 v19, 1, v19
	v_not_b32_e32 v25, v19
	v_dual_add_nc_u32 v27, v26, v19 :: v_dual_add_nc_u32 v29, 1, v19
	s_delay_alu instid0(VALU_DEP_2)
	v_add3_u32 v25, v50, v25, v28
	ds_load_u8 v27, v27
	ds_load_u8 v25, v25
	s_wait_loadcnt_dscnt 0x1
	v_bitop3_b16 v27, v27, 1, v32 bitop3:0x80
	s_wait_dscnt 0x0
	v_bitop3_b16 v25, v25, 1, v32 bitop3:0x80
	s_delay_alu instid0(VALU_DEP_1) | instskip(NEXT) | instid1(VALU_DEP_1)
	v_cmp_gt_u16_e64 s4, v25, v27
	v_cndmask_b32_e64 v31, v31, v19, s4
	v_cndmask_b32_e64 v51, v29, v51, s4
	s_delay_alu instid0(VALU_DEP_1)
	v_cmp_ge_u32_e64 s4, v51, v31
	s_or_b32 s6, s4, s6
	s_wait_xcnt 0x0
	s_and_not1_b32 exec_lo, exec_lo, s6
	s_cbranch_execnz .LBB1534_31
; %bb.32:
	s_or_b32 exec_lo, exec_lo, s6
.LBB1534_33:
	s_delay_alu instid0(SALU_CYCLE_1)
	s_or_b32 exec_lo, exec_lo, s5
	v_cndmask_b32_e64 v19, 0, 1, s3
	v_dual_add_nc_u32 v39, 3, v5 :: v_dual_add_nc_u32 v25, v18, v50
	v_add_nc_u32_e32 v26, v51, v24
	v_add_nc_u32_e32 v31, 0x400, v48
	s_clause 0x1
	scratch_store_b8 off, v19, s32 offset:1
	scratch_load_u8 v19, off, s32 offset:1
	v_sub_nc_u32_e32 v25, v25, v51
	v_cmp_le_u32_e64 s3, v26, v18
	v_dual_add_nc_u32 v32, 1, v5 :: v_dual_add_nc_u32 v37, 2, v5
	v_add_nc_u32_e32 v33, 0x408, v48
	s_delay_alu instid0(VALU_DEP_4)
	v_cmp_le_u32_e64 s4, v25, v49
	v_add_nc_u32_e32 v38, 0x410, v48
	v_add_nc_u32_e32 v48, 0x418, v48
	s_or_b32 s3, s3, s4
	s_wait_loadcnt 0x0
	v_and_b32_e32 v19, 1, v19
	scratch_store_b8 off, v19, s32
	s_wait_xcnt 0x0
	s_and_saveexec_b32 s13, s3
	s_cbranch_execz .LBB1534_39
; %bb.34:
	v_cmp_ge_u32_e64 s3, v26, v18
	s_mov_b32 s5, exec_lo
                                        ; implicit-def: $vgpr19
	v_cmpx_lt_u32_e64 v26, v18
; %bb.35:
	v_add_nc_u32_e32 v14, v12, v26
	ds_load_u8 v19, v14
; %bb.36:
	s_or_b32 exec_lo, exec_lo, s5
	v_cmp_ge_u32_e64 s4, v25, v49
	s_mov_b32 s6, exec_lo
                                        ; implicit-def: $vgpr24
	v_cmpx_lt_u32_e64 v25, v49
; %bb.37:
	v_add_nc_u32_e32 v14, v12, v25
	ds_load_u8 v24, v14
; %bb.38:
	s_or_b32 exec_lo, exec_lo, s6
	scratch_load_u8 v14, off, s32
	v_cndmask_b32_e64 v17, 0, 1, s4
	s_or_b32 s3, s3, s4
	s_wait_loadcnt_dscnt 0x0
	v_bitop3_b16 v15, v14, 1, v24 bitop3:0x80
	v_bitop3_b16 v16, v14, 1, v19 bitop3:0x80
	s_delay_alu instid0(VALU_DEP_1) | instskip(NEXT) | instid1(VALU_DEP_1)
	v_cmp_le_u16_e64 s5, v15, v16
	v_cndmask_b32_e64 v15, 0, 1, s5
	s_delay_alu instid0(VALU_DEP_1) | instskip(NEXT) | instid1(VALU_DEP_1)
	v_cndmask_b32_e64 v15, v15, v17, s3
	v_and_b32_e32 v15, 1, v15
	s_delay_alu instid0(VALU_DEP_1) | instskip(NEXT) | instid1(VALU_DEP_1)
	v_cmp_eq_u32_e64 s3, 1, v15
	v_cndmask_b32_e64 v15, v25, v26, s3
	v_dual_cndmask_b32 v16, v49, v18, s3 :: v_dual_cndmask_b32 v35, v24, v19, s3
	s_delay_alu instid0(VALU_DEP_2) | instskip(NEXT) | instid1(VALU_DEP_1)
	v_add_nc_u32_e32 v17, 1, v15
	v_add_min_u32_e64 v16, v16, -1, v17
	s_delay_alu instid0(VALU_DEP_1)
	v_add_nc_u32_e32 v16, v12, v16
	ds_load_u8 v16, v16
	s_wait_dscnt 0x0
	v_cndmask_b32_e64 v27, v16, v24, s3
	v_dual_cndmask_b32 v28, v19, v16, s3 :: v_dual_cndmask_b32 v21, v26, v17, s3
	v_cndmask_b32_e64 v17, v17, v25, s3
	v_lshl_add_u32 v15, v15, 3, v10
	s_delay_alu instid0(VALU_DEP_4) | instskip(NEXT) | instid1(VALU_DEP_4)
	v_and_b32_e32 v16, v27, v14
	v_and_b32_e32 v20, v28, v14
	v_cmp_lt_u32_e64 s4, v21, v18
	v_cmp_ge_u32_e64 s6, v17, v49
	s_delay_alu instid0(VALU_DEP_4) | instskip(NEXT) | instid1(VALU_DEP_4)
	v_and_b32_e32 v16, 0xff, v16
	v_and_b32_e32 v20, 0xff, v20
	s_delay_alu instid0(VALU_DEP_1) | instskip(SKIP_1) | instid1(SALU_CYCLE_1)
	v_cmp_le_u16_e64 s5, v16, v20
	s_and_b32 s4, s4, s5
	s_or_b32 s4, s6, s4
	s_delay_alu instid0(SALU_CYCLE_1) | instskip(SKIP_1) | instid1(VALU_DEP_2)
	v_cndmask_b32_e64 v16, v17, v21, s4
	v_dual_cndmask_b32 v20, v49, v18, s4 :: v_dual_cndmask_b32 v34, v27, v28, s4
	v_add_nc_u32_e32 v22, 1, v16
	s_delay_alu instid0(VALU_DEP_1) | instskip(SKIP_1) | instid1(VALU_DEP_2)
	v_add_min_u32_e64 v20, v20, -1, v22
	v_dual_cndmask_b32 v21, v21, v22, s4 :: v_dual_cndmask_b32 v17, v22, v17, s4
	v_add_nc_u32_e32 v20, v12, v20
	s_delay_alu instid0(VALU_DEP_2) | instskip(NEXT) | instid1(VALU_DEP_3)
	v_cmp_lt_u32_e64 s5, v21, v18
	v_cmp_ge_u32_e64 s7, v17, v49
	v_lshl_add_u32 v16, v16, 3, v10
	ds_load_u8 v20, v20
	s_wait_dscnt 0x0
	v_cndmask_b32_e64 v26, v28, v20, s4
	s_delay_alu instid0(VALU_DEP_1) | instskip(NEXT) | instid1(VALU_DEP_1)
	v_dual_cndmask_b32 v25, v20, v27, s4 :: v_dual_bitop2_b32 v23, v26, v14 bitop3:0x40
	v_and_b32_e32 v20, v25, v14
	s_delay_alu instid0(VALU_DEP_2) | instskip(NEXT) | instid1(VALU_DEP_2)
	v_and_b32_e32 v23, 0xff, v23
	v_and_b32_e32 v20, 0xff, v20
	s_delay_alu instid0(VALU_DEP_1) | instskip(SKIP_1) | instid1(SALU_CYCLE_1)
	v_cmp_le_u16_e64 s6, v20, v23
	s_and_b32 s5, s5, s6
	s_or_b32 s5, s7, s5
	s_delay_alu instid0(SALU_CYCLE_1) | instskip(SKIP_1) | instid1(VALU_DEP_2)
	v_cndmask_b32_e64 v20, v17, v21, s5
	v_cndmask_b32_e64 v22, v49, v18, s5
	v_dual_cndmask_b32 v36, v25, v26, s5 :: v_dual_add_nc_u32 v23, 1, v20
	s_delay_alu instid0(VALU_DEP_1) | instskip(SKIP_1) | instid1(VALU_DEP_2)
	v_add_min_u32_e64 v22, v22, -1, v23
	v_dual_cndmask_b32 v21, v21, v23, s5 :: v_dual_cndmask_b32 v17, v23, v17, s5
	v_add_nc_u32_e32 v22, v12, v22
	s_delay_alu instid0(VALU_DEP_2) | instskip(NEXT) | instid1(VALU_DEP_3)
	v_cmp_lt_u32_e64 s6, v21, v18
	v_cmp_ge_u32_e64 s10, v17, v49
	ds_load_u8 v22, v22
	s_wait_dscnt 0x0
	v_cndmask_b32_e64 v29, v22, v25, s5
	v_cndmask_b32_e64 v30, v26, v22, s5
	s_delay_alu instid0(VALU_DEP_2) | instskip(NEXT) | instid1(VALU_DEP_2)
	v_and_b32_e32 v22, v29, v14
	v_and_b32_e32 v14, v30, v14
	s_delay_alu instid0(VALU_DEP_2) | instskip(NEXT) | instid1(VALU_DEP_2)
	v_and_b32_e32 v22, 0xff, v22
	v_and_b32_e32 v14, 0xff, v14
	s_delay_alu instid0(VALU_DEP_1) | instskip(SKIP_1) | instid1(SALU_CYCLE_1)
	v_cmp_le_u16_e64 s7, v22, v14
	s_and_b32 s6, s6, s7
	s_or_b32 s6, s10, s6
	s_delay_alu instid0(SALU_CYCLE_1) | instskip(SKIP_2) | instid1(VALU_DEP_3)
	v_cndmask_b32_e64 v14, v17, v21, s6
	v_lshl_add_u32 v17, v20, 3, v10
	v_cndmask_b32_e64 v30, v29, v30, s6
	v_lshl_add_u32 v18, v14, 3, v10
	ds_load_b64 v[14:15], v15 offset:1024
	ds_load_b64 v[22:23], v16 offset:1024
	;; [unrolled: 1-line block ×4, first 2 shown]
.LBB1534_39:
	s_wait_xcnt 0x0
	s_or_b32 exec_lo, exec_lo, s13
	; wave barrier
	ds_store_b8 v5, v35
	s_wait_dscnt 0x4
	ds_store_b64 v31, v[14:15]
	ds_store_b8 v32, v34
	s_wait_dscnt 0x5
	ds_store_b64 v33, v[22:23]
	;; [unrolled: 3-line block ×4, first 2 shown]
	; wave barrier
	scratch_load_u8 v19, off, s32 offset:3
	v_and_b32_e32 v24, 0x70, v0
	s_mov_b32 s5, exec_lo
	s_delay_alu instid0(VALU_DEP_1) | instskip(NEXT) | instid1(VALU_DEP_1)
	v_or_b32_e32 v18, 8, v24
	v_min_u32_e32 v18, v11, v18
	s_delay_alu instid0(VALU_DEP_1) | instskip(NEXT) | instid1(VALU_DEP_1)
	v_add_min_u32_e64 v49, v18, 8, v11
	v_dual_sub_nc_u32 v26, v49, v18 :: v_dual_bitop2_b32 v25, 12, v0 bitop3:0x40
	s_delay_alu instid0(VALU_DEP_1) | instskip(SKIP_1) | instid1(VALU_DEP_2)
	v_min_u32_e32 v50, v11, v25
	v_sub_nc_u32_e32 v25, v18, v24
	v_sub_nc_u32_e64 v51, v50, v26 clamp
	s_wait_loadcnt 0x0
	v_and_b32_e32 v19, 1, v19
	s_delay_alu instid0(VALU_DEP_3) | instskip(NEXT) | instid1(VALU_DEP_2)
	v_min_u32_e32 v52, v50, v25
	v_cmp_eq_u32_e64 s3, 1, v19
	scratch_store_b8 off, v19, s32 offset:2
	s_wait_xcnt 0x0
	v_cmpx_lt_u32_e64 v51, v52
	s_cbranch_execz .LBB1534_43
; %bb.40:
	scratch_load_u8 v53, off, s32 offset:2
	v_mov_b32_e32 v25, 0
	s_mov_b32 s6, 0
	s_delay_alu instid0(VALU_DEP_1) | instskip(SKIP_1) | instid1(VALU_DEP_2)
	v_mov_b32_e32 v19, v25
	v_add_nc_u64_e32 v[26:27], v[12:13], v[24:25]
	v_add_nc_u64_e32 v[28:29], v[12:13], v[18:19]
.LBB1534_41:                            ; =>This Inner Loop Header: Depth=1
	v_add_nc_u32_e32 v19, v52, v51
	s_delay_alu instid0(VALU_DEP_1) | instskip(NEXT) | instid1(VALU_DEP_1)
	v_lshrrev_b32_e32 v19, 1, v19
	v_not_b32_e32 v25, v19
	v_dual_add_nc_u32 v27, v26, v19 :: v_dual_add_nc_u32 v29, 1, v19
	s_delay_alu instid0(VALU_DEP_2)
	v_add3_u32 v25, v50, v25, v28
	ds_load_u8 v27, v27
	ds_load_u8 v25, v25
	s_wait_loadcnt_dscnt 0x1
	v_bitop3_b16 v27, v27, 1, v53 bitop3:0x80
	s_wait_dscnt 0x0
	v_bitop3_b16 v25, v25, 1, v53 bitop3:0x80
	s_delay_alu instid0(VALU_DEP_1) | instskip(NEXT) | instid1(VALU_DEP_1)
	v_cmp_gt_u16_e64 s4, v25, v27
	v_cndmask_b32_e64 v52, v52, v19, s4
	v_cndmask_b32_e64 v51, v29, v51, s4
	s_delay_alu instid0(VALU_DEP_1)
	v_cmp_ge_u32_e64 s4, v51, v52
	s_or_b32 s6, s4, s6
	s_wait_xcnt 0x0
	s_and_not1_b32 exec_lo, exec_lo, s6
	s_cbranch_execnz .LBB1534_41
; %bb.42:
	s_or_b32 exec_lo, exec_lo, s6
.LBB1534_43:
	s_delay_alu instid0(SALU_CYCLE_1)
	s_or_b32 exec_lo, exec_lo, s5
	v_cndmask_b32_e64 v19, 0, 1, s3
	v_dual_add_nc_u32 v25, v18, v50 :: v_dual_add_nc_u32 v26, v51, v24
	s_clause 0x1
	scratch_store_b8 off, v19, s32 offset:1
	scratch_load_u8 v19, off, s32 offset:1
	v_sub_nc_u32_e32 v25, v25, v51
	v_cmp_le_u32_e64 s3, v26, v18
	s_delay_alu instid0(VALU_DEP_2)
	v_cmp_le_u32_e64 s4, v25, v49
	s_or_b32 s3, s3, s4
	s_wait_loadcnt 0x0
	v_and_b32_e32 v19, 1, v19
	scratch_store_b8 off, v19, s32
	s_wait_xcnt 0x0
	s_and_saveexec_b32 s13, s3
	s_cbranch_execz .LBB1534_49
; %bb.44:
	v_cmp_ge_u32_e64 s3, v26, v18
	s_mov_b32 s5, exec_lo
                                        ; implicit-def: $vgpr19
	v_cmpx_lt_u32_e64 v26, v18
; %bb.45:
	v_add_nc_u32_e32 v14, v12, v26
	ds_load_u8 v19, v14
; %bb.46:
	s_or_b32 exec_lo, exec_lo, s5
	v_cmp_ge_u32_e64 s4, v25, v49
	s_mov_b32 s6, exec_lo
                                        ; implicit-def: $vgpr24
	v_cmpx_lt_u32_e64 v25, v49
; %bb.47:
	v_add_nc_u32_e32 v14, v12, v25
	ds_load_u8 v24, v14
; %bb.48:
	s_or_b32 exec_lo, exec_lo, s6
	scratch_load_u8 v14, off, s32
	v_cndmask_b32_e64 v17, 0, 1, s4
	s_or_b32 s3, s3, s4
	s_wait_loadcnt_dscnt 0x0
	v_bitop3_b16 v15, v14, 1, v24 bitop3:0x80
	v_bitop3_b16 v16, v14, 1, v19 bitop3:0x80
	s_delay_alu instid0(VALU_DEP_1) | instskip(NEXT) | instid1(VALU_DEP_1)
	v_cmp_le_u16_e64 s5, v15, v16
	v_cndmask_b32_e64 v15, 0, 1, s5
	s_delay_alu instid0(VALU_DEP_1) | instskip(NEXT) | instid1(VALU_DEP_1)
	v_cndmask_b32_e64 v15, v15, v17, s3
	v_and_b32_e32 v15, 1, v15
	s_delay_alu instid0(VALU_DEP_1) | instskip(NEXT) | instid1(VALU_DEP_1)
	v_cmp_eq_u32_e64 s3, 1, v15
	v_cndmask_b32_e64 v15, v25, v26, s3
	v_dual_cndmask_b32 v16, v49, v18, s3 :: v_dual_cndmask_b32 v35, v24, v19, s3
	s_delay_alu instid0(VALU_DEP_2) | instskip(NEXT) | instid1(VALU_DEP_1)
	v_add_nc_u32_e32 v17, 1, v15
	v_add_min_u32_e64 v16, v16, -1, v17
	s_delay_alu instid0(VALU_DEP_1)
	v_add_nc_u32_e32 v16, v12, v16
	ds_load_u8 v16, v16
	s_wait_dscnt 0x0
	v_cndmask_b32_e64 v27, v16, v24, s3
	v_dual_cndmask_b32 v28, v19, v16, s3 :: v_dual_cndmask_b32 v21, v26, v17, s3
	v_cndmask_b32_e64 v17, v17, v25, s3
	v_lshl_add_u32 v15, v15, 3, v10
	s_delay_alu instid0(VALU_DEP_4) | instskip(NEXT) | instid1(VALU_DEP_4)
	v_and_b32_e32 v16, v27, v14
	v_and_b32_e32 v20, v28, v14
	v_cmp_lt_u32_e64 s4, v21, v18
	v_cmp_ge_u32_e64 s6, v17, v49
	s_delay_alu instid0(VALU_DEP_4) | instskip(NEXT) | instid1(VALU_DEP_4)
	v_and_b32_e32 v16, 0xff, v16
	v_and_b32_e32 v20, 0xff, v20
	s_delay_alu instid0(VALU_DEP_1) | instskip(SKIP_1) | instid1(SALU_CYCLE_1)
	v_cmp_le_u16_e64 s5, v16, v20
	s_and_b32 s4, s4, s5
	s_or_b32 s4, s6, s4
	s_delay_alu instid0(SALU_CYCLE_1) | instskip(SKIP_1) | instid1(VALU_DEP_2)
	v_cndmask_b32_e64 v16, v17, v21, s4
	v_dual_cndmask_b32 v20, v49, v18, s4 :: v_dual_cndmask_b32 v34, v27, v28, s4
	v_add_nc_u32_e32 v22, 1, v16
	s_delay_alu instid0(VALU_DEP_1) | instskip(SKIP_1) | instid1(VALU_DEP_2)
	v_add_min_u32_e64 v20, v20, -1, v22
	v_dual_cndmask_b32 v21, v21, v22, s4 :: v_dual_cndmask_b32 v17, v22, v17, s4
	v_add_nc_u32_e32 v20, v12, v20
	s_delay_alu instid0(VALU_DEP_2) | instskip(NEXT) | instid1(VALU_DEP_3)
	v_cmp_lt_u32_e64 s5, v21, v18
	v_cmp_ge_u32_e64 s7, v17, v49
	v_lshl_add_u32 v16, v16, 3, v10
	ds_load_u8 v20, v20
	s_wait_dscnt 0x0
	v_cndmask_b32_e64 v26, v28, v20, s4
	s_delay_alu instid0(VALU_DEP_1) | instskip(NEXT) | instid1(VALU_DEP_1)
	v_dual_cndmask_b32 v25, v20, v27, s4 :: v_dual_bitop2_b32 v23, v26, v14 bitop3:0x40
	v_and_b32_e32 v20, v25, v14
	s_delay_alu instid0(VALU_DEP_2) | instskip(NEXT) | instid1(VALU_DEP_2)
	v_and_b32_e32 v23, 0xff, v23
	v_and_b32_e32 v20, 0xff, v20
	s_delay_alu instid0(VALU_DEP_1) | instskip(SKIP_1) | instid1(SALU_CYCLE_1)
	v_cmp_le_u16_e64 s6, v20, v23
	s_and_b32 s5, s5, s6
	s_or_b32 s5, s7, s5
	s_delay_alu instid0(SALU_CYCLE_1) | instskip(SKIP_1) | instid1(VALU_DEP_2)
	v_cndmask_b32_e64 v20, v17, v21, s5
	v_cndmask_b32_e64 v22, v49, v18, s5
	v_dual_cndmask_b32 v36, v25, v26, s5 :: v_dual_add_nc_u32 v23, 1, v20
	s_delay_alu instid0(VALU_DEP_1) | instskip(SKIP_1) | instid1(VALU_DEP_2)
	v_add_min_u32_e64 v22, v22, -1, v23
	v_dual_cndmask_b32 v21, v21, v23, s5 :: v_dual_cndmask_b32 v17, v23, v17, s5
	v_add_nc_u32_e32 v22, v12, v22
	s_delay_alu instid0(VALU_DEP_2) | instskip(NEXT) | instid1(VALU_DEP_3)
	v_cmp_lt_u32_e64 s6, v21, v18
	v_cmp_ge_u32_e64 s10, v17, v49
	ds_load_u8 v22, v22
	s_wait_dscnt 0x0
	v_cndmask_b32_e64 v29, v22, v25, s5
	v_cndmask_b32_e64 v30, v26, v22, s5
	s_delay_alu instid0(VALU_DEP_2) | instskip(NEXT) | instid1(VALU_DEP_2)
	v_and_b32_e32 v22, v29, v14
	v_and_b32_e32 v14, v30, v14
	s_delay_alu instid0(VALU_DEP_2) | instskip(NEXT) | instid1(VALU_DEP_2)
	v_and_b32_e32 v22, 0xff, v22
	v_and_b32_e32 v14, 0xff, v14
	s_delay_alu instid0(VALU_DEP_1) | instskip(SKIP_1) | instid1(SALU_CYCLE_1)
	v_cmp_le_u16_e64 s7, v22, v14
	s_and_b32 s6, s6, s7
	s_or_b32 s6, s10, s6
	s_delay_alu instid0(SALU_CYCLE_1) | instskip(SKIP_2) | instid1(VALU_DEP_3)
	v_cndmask_b32_e64 v14, v17, v21, s6
	v_lshl_add_u32 v17, v20, 3, v10
	v_cndmask_b32_e64 v30, v29, v30, s6
	v_lshl_add_u32 v18, v14, 3, v10
	ds_load_b64 v[14:15], v15 offset:1024
	ds_load_b64 v[22:23], v16 offset:1024
	;; [unrolled: 1-line block ×4, first 2 shown]
.LBB1534_49:
	s_wait_xcnt 0x0
	s_or_b32 exec_lo, exec_lo, s13
	; wave barrier
	ds_store_b8 v5, v35
	s_wait_dscnt 0x4
	ds_store_b64 v31, v[14:15]
	ds_store_b8 v32, v34
	s_wait_dscnt 0x5
	ds_store_b64 v33, v[22:23]
	;; [unrolled: 3-line block ×4, first 2 shown]
	; wave barrier
	scratch_load_u8 v19, off, s32 offset:3
	v_and_b32_e32 v24, 0x60, v0
	s_mov_b32 s5, exec_lo
	s_delay_alu instid0(VALU_DEP_1) | instskip(NEXT) | instid1(VALU_DEP_1)
	v_or_b32_e32 v18, 16, v24
	v_min_u32_e32 v18, v11, v18
	s_delay_alu instid0(VALU_DEP_1) | instskip(NEXT) | instid1(VALU_DEP_1)
	v_add_min_u32_e64 v49, v18, 16, v11
	v_dual_sub_nc_u32 v26, v49, v18 :: v_dual_bitop2_b32 v25, 28, v0 bitop3:0x40
	s_delay_alu instid0(VALU_DEP_1) | instskip(SKIP_1) | instid1(VALU_DEP_2)
	v_min_u32_e32 v50, v11, v25
	v_sub_nc_u32_e32 v25, v18, v24
	v_sub_nc_u32_e64 v51, v50, v26 clamp
	s_wait_loadcnt 0x0
	v_and_b32_e32 v19, 1, v19
	s_delay_alu instid0(VALU_DEP_3) | instskip(NEXT) | instid1(VALU_DEP_2)
	v_min_u32_e32 v52, v50, v25
	v_cmp_eq_u32_e64 s3, 1, v19
	scratch_store_b8 off, v19, s32 offset:2
	s_wait_xcnt 0x0
	v_cmpx_lt_u32_e64 v51, v52
	s_cbranch_execz .LBB1534_53
; %bb.50:
	scratch_load_u8 v53, off, s32 offset:2
	v_mov_b32_e32 v25, 0
	s_mov_b32 s6, 0
	s_delay_alu instid0(VALU_DEP_1) | instskip(SKIP_1) | instid1(VALU_DEP_2)
	v_mov_b32_e32 v19, v25
	v_add_nc_u64_e32 v[26:27], v[12:13], v[24:25]
	v_add_nc_u64_e32 v[28:29], v[12:13], v[18:19]
.LBB1534_51:                            ; =>This Inner Loop Header: Depth=1
	v_add_nc_u32_e32 v19, v52, v51
	s_delay_alu instid0(VALU_DEP_1) | instskip(NEXT) | instid1(VALU_DEP_1)
	v_lshrrev_b32_e32 v19, 1, v19
	v_not_b32_e32 v25, v19
	v_dual_add_nc_u32 v27, v26, v19 :: v_dual_add_nc_u32 v29, 1, v19
	s_delay_alu instid0(VALU_DEP_2)
	v_add3_u32 v25, v50, v25, v28
	ds_load_u8 v27, v27
	ds_load_u8 v25, v25
	s_wait_loadcnt_dscnt 0x1
	v_bitop3_b16 v27, v27, 1, v53 bitop3:0x80
	s_wait_dscnt 0x0
	v_bitop3_b16 v25, v25, 1, v53 bitop3:0x80
	s_delay_alu instid0(VALU_DEP_1) | instskip(NEXT) | instid1(VALU_DEP_1)
	v_cmp_gt_u16_e64 s4, v25, v27
	v_cndmask_b32_e64 v52, v52, v19, s4
	v_cndmask_b32_e64 v51, v29, v51, s4
	s_delay_alu instid0(VALU_DEP_1)
	v_cmp_ge_u32_e64 s4, v51, v52
	s_or_b32 s6, s4, s6
	s_wait_xcnt 0x0
	s_and_not1_b32 exec_lo, exec_lo, s6
	s_cbranch_execnz .LBB1534_51
; %bb.52:
	s_or_b32 exec_lo, exec_lo, s6
.LBB1534_53:
	s_delay_alu instid0(SALU_CYCLE_1)
	s_or_b32 exec_lo, exec_lo, s5
	v_cndmask_b32_e64 v19, 0, 1, s3
	v_dual_add_nc_u32 v25, v18, v50 :: v_dual_add_nc_u32 v26, v51, v24
	s_clause 0x1
	scratch_store_b8 off, v19, s32 offset:1
	scratch_load_u8 v19, off, s32 offset:1
	v_sub_nc_u32_e32 v25, v25, v51
	v_cmp_le_u32_e64 s3, v26, v18
	s_delay_alu instid0(VALU_DEP_2)
	v_cmp_le_u32_e64 s4, v25, v49
	s_or_b32 s3, s3, s4
	s_wait_loadcnt 0x0
	v_and_b32_e32 v19, 1, v19
	scratch_store_b8 off, v19, s32
	s_wait_xcnt 0x0
	s_and_saveexec_b32 s13, s3
	s_cbranch_execz .LBB1534_59
; %bb.54:
	v_cmp_ge_u32_e64 s3, v26, v18
	s_mov_b32 s5, exec_lo
                                        ; implicit-def: $vgpr19
	v_cmpx_lt_u32_e64 v26, v18
; %bb.55:
	v_add_nc_u32_e32 v14, v12, v26
	ds_load_u8 v19, v14
; %bb.56:
	s_or_b32 exec_lo, exec_lo, s5
	v_cmp_ge_u32_e64 s4, v25, v49
	s_mov_b32 s6, exec_lo
                                        ; implicit-def: $vgpr24
	v_cmpx_lt_u32_e64 v25, v49
; %bb.57:
	v_add_nc_u32_e32 v14, v12, v25
	ds_load_u8 v24, v14
; %bb.58:
	s_or_b32 exec_lo, exec_lo, s6
	scratch_load_u8 v14, off, s32
	v_cndmask_b32_e64 v17, 0, 1, s4
	s_or_b32 s3, s3, s4
	s_wait_loadcnt_dscnt 0x0
	v_bitop3_b16 v15, v14, 1, v24 bitop3:0x80
	v_bitop3_b16 v16, v14, 1, v19 bitop3:0x80
	s_delay_alu instid0(VALU_DEP_1) | instskip(NEXT) | instid1(VALU_DEP_1)
	v_cmp_le_u16_e64 s5, v15, v16
	v_cndmask_b32_e64 v15, 0, 1, s5
	s_delay_alu instid0(VALU_DEP_1) | instskip(NEXT) | instid1(VALU_DEP_1)
	v_cndmask_b32_e64 v15, v15, v17, s3
	v_and_b32_e32 v15, 1, v15
	s_delay_alu instid0(VALU_DEP_1) | instskip(NEXT) | instid1(VALU_DEP_1)
	v_cmp_eq_u32_e64 s3, 1, v15
	v_cndmask_b32_e64 v15, v25, v26, s3
	v_dual_cndmask_b32 v16, v49, v18, s3 :: v_dual_cndmask_b32 v35, v24, v19, s3
	s_delay_alu instid0(VALU_DEP_2) | instskip(NEXT) | instid1(VALU_DEP_1)
	v_add_nc_u32_e32 v17, 1, v15
	v_add_min_u32_e64 v16, v16, -1, v17
	s_delay_alu instid0(VALU_DEP_1)
	v_add_nc_u32_e32 v16, v12, v16
	ds_load_u8 v16, v16
	s_wait_dscnt 0x0
	v_cndmask_b32_e64 v27, v16, v24, s3
	v_dual_cndmask_b32 v28, v19, v16, s3 :: v_dual_cndmask_b32 v21, v26, v17, s3
	v_cndmask_b32_e64 v17, v17, v25, s3
	v_lshl_add_u32 v15, v15, 3, v10
	s_delay_alu instid0(VALU_DEP_4) | instskip(NEXT) | instid1(VALU_DEP_4)
	v_and_b32_e32 v16, v27, v14
	v_and_b32_e32 v20, v28, v14
	v_cmp_lt_u32_e64 s4, v21, v18
	v_cmp_ge_u32_e64 s6, v17, v49
	s_delay_alu instid0(VALU_DEP_4) | instskip(NEXT) | instid1(VALU_DEP_4)
	v_and_b32_e32 v16, 0xff, v16
	v_and_b32_e32 v20, 0xff, v20
	s_delay_alu instid0(VALU_DEP_1) | instskip(SKIP_1) | instid1(SALU_CYCLE_1)
	v_cmp_le_u16_e64 s5, v16, v20
	s_and_b32 s4, s4, s5
	s_or_b32 s4, s6, s4
	s_delay_alu instid0(SALU_CYCLE_1) | instskip(SKIP_1) | instid1(VALU_DEP_2)
	v_cndmask_b32_e64 v16, v17, v21, s4
	v_dual_cndmask_b32 v20, v49, v18, s4 :: v_dual_cndmask_b32 v34, v27, v28, s4
	v_add_nc_u32_e32 v22, 1, v16
	s_delay_alu instid0(VALU_DEP_1) | instskip(SKIP_1) | instid1(VALU_DEP_2)
	v_add_min_u32_e64 v20, v20, -1, v22
	v_dual_cndmask_b32 v21, v21, v22, s4 :: v_dual_cndmask_b32 v17, v22, v17, s4
	v_add_nc_u32_e32 v20, v12, v20
	s_delay_alu instid0(VALU_DEP_2) | instskip(NEXT) | instid1(VALU_DEP_3)
	v_cmp_lt_u32_e64 s5, v21, v18
	v_cmp_ge_u32_e64 s7, v17, v49
	v_lshl_add_u32 v16, v16, 3, v10
	ds_load_u8 v20, v20
	s_wait_dscnt 0x0
	v_cndmask_b32_e64 v26, v28, v20, s4
	s_delay_alu instid0(VALU_DEP_1) | instskip(NEXT) | instid1(VALU_DEP_1)
	v_dual_cndmask_b32 v25, v20, v27, s4 :: v_dual_bitop2_b32 v23, v26, v14 bitop3:0x40
	v_and_b32_e32 v20, v25, v14
	s_delay_alu instid0(VALU_DEP_2) | instskip(NEXT) | instid1(VALU_DEP_2)
	v_and_b32_e32 v23, 0xff, v23
	v_and_b32_e32 v20, 0xff, v20
	s_delay_alu instid0(VALU_DEP_1) | instskip(SKIP_1) | instid1(SALU_CYCLE_1)
	v_cmp_le_u16_e64 s6, v20, v23
	s_and_b32 s5, s5, s6
	s_or_b32 s5, s7, s5
	s_delay_alu instid0(SALU_CYCLE_1) | instskip(SKIP_1) | instid1(VALU_DEP_2)
	v_cndmask_b32_e64 v20, v17, v21, s5
	v_cndmask_b32_e64 v22, v49, v18, s5
	v_dual_cndmask_b32 v36, v25, v26, s5 :: v_dual_add_nc_u32 v23, 1, v20
	s_delay_alu instid0(VALU_DEP_1) | instskip(SKIP_1) | instid1(VALU_DEP_2)
	v_add_min_u32_e64 v22, v22, -1, v23
	v_dual_cndmask_b32 v21, v21, v23, s5 :: v_dual_cndmask_b32 v17, v23, v17, s5
	v_add_nc_u32_e32 v22, v12, v22
	s_delay_alu instid0(VALU_DEP_2) | instskip(NEXT) | instid1(VALU_DEP_3)
	v_cmp_lt_u32_e64 s6, v21, v18
	v_cmp_ge_u32_e64 s10, v17, v49
	ds_load_u8 v22, v22
	s_wait_dscnt 0x0
	v_cndmask_b32_e64 v29, v22, v25, s5
	v_cndmask_b32_e64 v30, v26, v22, s5
	s_delay_alu instid0(VALU_DEP_2) | instskip(NEXT) | instid1(VALU_DEP_2)
	v_and_b32_e32 v22, v29, v14
	v_and_b32_e32 v14, v30, v14
	s_delay_alu instid0(VALU_DEP_2) | instskip(NEXT) | instid1(VALU_DEP_2)
	v_and_b32_e32 v22, 0xff, v22
	v_and_b32_e32 v14, 0xff, v14
	s_delay_alu instid0(VALU_DEP_1) | instskip(SKIP_1) | instid1(SALU_CYCLE_1)
	v_cmp_le_u16_e64 s7, v22, v14
	s_and_b32 s6, s6, s7
	s_or_b32 s6, s10, s6
	s_delay_alu instid0(SALU_CYCLE_1) | instskip(SKIP_2) | instid1(VALU_DEP_3)
	v_cndmask_b32_e64 v14, v17, v21, s6
	v_lshl_add_u32 v17, v20, 3, v10
	v_cndmask_b32_e64 v30, v29, v30, s6
	v_lshl_add_u32 v18, v14, 3, v10
	ds_load_b64 v[14:15], v15 offset:1024
	ds_load_b64 v[22:23], v16 offset:1024
	;; [unrolled: 1-line block ×4, first 2 shown]
.LBB1534_59:
	s_wait_xcnt 0x0
	s_or_b32 exec_lo, exec_lo, s13
	; wave barrier
	ds_store_b8 v5, v35
	s_wait_dscnt 0x4
	ds_store_b64 v31, v[14:15]
	ds_store_b8 v32, v34
	s_wait_dscnt 0x5
	ds_store_b64 v33, v[22:23]
	;; [unrolled: 3-line block ×4, first 2 shown]
	; wave barrier
	scratch_load_u8 v19, off, s32 offset:3
	v_and_b32_e32 v24, 64, v0
	v_and_b32_e32 v25, 60, v0
	s_mov_b32 s5, exec_lo
	s_delay_alu instid0(VALU_DEP_2) | instskip(NEXT) | instid1(VALU_DEP_2)
	v_or_b32_e32 v18, 32, v24
	v_min_u32_e32 v50, v11, v25
	s_delay_alu instid0(VALU_DEP_2) | instskip(NEXT) | instid1(VALU_DEP_1)
	v_min_u32_e32 v18, v11, v18
	v_add_min_u32_e64 v49, v18, 32, v11
	s_delay_alu instid0(VALU_DEP_1) | instskip(NEXT) | instid1(VALU_DEP_1)
	v_dual_sub_nc_u32 v26, v49, v18 :: v_dual_sub_nc_u32 v25, v18, v24
	v_sub_nc_u32_e64 v51, v50, v26 clamp
	s_wait_loadcnt 0x0
	v_and_b32_e32 v19, 1, v19
	s_delay_alu instid0(VALU_DEP_3) | instskip(NEXT) | instid1(VALU_DEP_2)
	v_min_u32_e32 v52, v50, v25
	v_cmp_eq_u32_e64 s3, 1, v19
	scratch_store_b8 off, v19, s32 offset:2
	s_wait_xcnt 0x0
	v_cmpx_lt_u32_e64 v51, v52
	s_cbranch_execz .LBB1534_63
; %bb.60:
	scratch_load_u8 v53, off, s32 offset:2
	v_mov_b32_e32 v25, 0
	s_mov_b32 s6, 0
	s_delay_alu instid0(VALU_DEP_1) | instskip(SKIP_1) | instid1(VALU_DEP_2)
	v_mov_b32_e32 v19, v25
	v_add_nc_u64_e32 v[26:27], v[12:13], v[24:25]
	v_add_nc_u64_e32 v[28:29], v[12:13], v[18:19]
.LBB1534_61:                            ; =>This Inner Loop Header: Depth=1
	v_add_nc_u32_e32 v19, v52, v51
	s_delay_alu instid0(VALU_DEP_1) | instskip(NEXT) | instid1(VALU_DEP_1)
	v_lshrrev_b32_e32 v19, 1, v19
	v_not_b32_e32 v25, v19
	v_dual_add_nc_u32 v27, v26, v19 :: v_dual_add_nc_u32 v29, 1, v19
	s_delay_alu instid0(VALU_DEP_2)
	v_add3_u32 v25, v50, v25, v28
	ds_load_u8 v27, v27
	ds_load_u8 v25, v25
	s_wait_loadcnt_dscnt 0x1
	v_bitop3_b16 v27, v27, 1, v53 bitop3:0x80
	s_wait_dscnt 0x0
	v_bitop3_b16 v25, v25, 1, v53 bitop3:0x80
	s_delay_alu instid0(VALU_DEP_1) | instskip(NEXT) | instid1(VALU_DEP_1)
	v_cmp_gt_u16_e64 s4, v25, v27
	v_cndmask_b32_e64 v52, v52, v19, s4
	v_cndmask_b32_e64 v51, v29, v51, s4
	s_delay_alu instid0(VALU_DEP_1)
	v_cmp_ge_u32_e64 s4, v51, v52
	s_or_b32 s6, s4, s6
	s_wait_xcnt 0x0
	s_and_not1_b32 exec_lo, exec_lo, s6
	s_cbranch_execnz .LBB1534_61
; %bb.62:
	s_or_b32 exec_lo, exec_lo, s6
.LBB1534_63:
	s_delay_alu instid0(SALU_CYCLE_1)
	s_or_b32 exec_lo, exec_lo, s5
	v_cndmask_b32_e64 v19, 0, 1, s3
	v_dual_add_nc_u32 v25, v18, v50 :: v_dual_add_nc_u32 v26, v51, v24
	s_clause 0x1
	scratch_store_b8 off, v19, s32 offset:1
	scratch_load_u8 v19, off, s32 offset:1
	v_sub_nc_u32_e32 v25, v25, v51
	v_cmp_le_u32_e64 s3, v26, v18
	s_delay_alu instid0(VALU_DEP_2)
	v_cmp_le_u32_e64 s4, v25, v49
	s_or_b32 s3, s3, s4
	s_wait_loadcnt 0x0
	v_and_b32_e32 v19, 1, v19
	scratch_store_b8 off, v19, s32
	s_wait_xcnt 0x0
	s_and_saveexec_b32 s13, s3
	s_cbranch_execz .LBB1534_69
; %bb.64:
	v_cmp_ge_u32_e64 s3, v26, v18
	s_mov_b32 s5, exec_lo
                                        ; implicit-def: $vgpr19
	v_cmpx_lt_u32_e64 v26, v18
; %bb.65:
	v_add_nc_u32_e32 v14, v12, v26
	ds_load_u8 v19, v14
; %bb.66:
	s_or_b32 exec_lo, exec_lo, s5
	v_cmp_ge_u32_e64 s4, v25, v49
	s_mov_b32 s6, exec_lo
                                        ; implicit-def: $vgpr24
	v_cmpx_lt_u32_e64 v25, v49
; %bb.67:
	v_add_nc_u32_e32 v14, v12, v25
	ds_load_u8 v24, v14
; %bb.68:
	s_or_b32 exec_lo, exec_lo, s6
	scratch_load_u8 v14, off, s32
	v_cndmask_b32_e64 v17, 0, 1, s4
	s_or_b32 s3, s3, s4
	s_wait_loadcnt_dscnt 0x0
	v_bitop3_b16 v15, v14, 1, v24 bitop3:0x80
	v_bitop3_b16 v16, v14, 1, v19 bitop3:0x80
	s_delay_alu instid0(VALU_DEP_1) | instskip(NEXT) | instid1(VALU_DEP_1)
	v_cmp_le_u16_e64 s5, v15, v16
	v_cndmask_b32_e64 v15, 0, 1, s5
	s_delay_alu instid0(VALU_DEP_1) | instskip(NEXT) | instid1(VALU_DEP_1)
	v_cndmask_b32_e64 v15, v15, v17, s3
	v_and_b32_e32 v15, 1, v15
	s_delay_alu instid0(VALU_DEP_1) | instskip(NEXT) | instid1(VALU_DEP_1)
	v_cmp_eq_u32_e64 s3, 1, v15
	v_cndmask_b32_e64 v15, v25, v26, s3
	v_dual_cndmask_b32 v16, v49, v18, s3 :: v_dual_cndmask_b32 v35, v24, v19, s3
	s_delay_alu instid0(VALU_DEP_2) | instskip(NEXT) | instid1(VALU_DEP_1)
	v_add_nc_u32_e32 v17, 1, v15
	v_add_min_u32_e64 v16, v16, -1, v17
	s_delay_alu instid0(VALU_DEP_1)
	v_add_nc_u32_e32 v16, v12, v16
	ds_load_u8 v16, v16
	s_wait_dscnt 0x0
	v_cndmask_b32_e64 v27, v16, v24, s3
	v_dual_cndmask_b32 v28, v19, v16, s3 :: v_dual_cndmask_b32 v21, v26, v17, s3
	v_cndmask_b32_e64 v17, v17, v25, s3
	v_lshl_add_u32 v15, v15, 3, v10
	s_delay_alu instid0(VALU_DEP_4) | instskip(NEXT) | instid1(VALU_DEP_4)
	v_and_b32_e32 v16, v27, v14
	v_and_b32_e32 v20, v28, v14
	v_cmp_lt_u32_e64 s4, v21, v18
	v_cmp_ge_u32_e64 s6, v17, v49
	s_delay_alu instid0(VALU_DEP_4) | instskip(NEXT) | instid1(VALU_DEP_4)
	v_and_b32_e32 v16, 0xff, v16
	v_and_b32_e32 v20, 0xff, v20
	s_delay_alu instid0(VALU_DEP_1) | instskip(SKIP_1) | instid1(SALU_CYCLE_1)
	v_cmp_le_u16_e64 s5, v16, v20
	s_and_b32 s4, s4, s5
	s_or_b32 s4, s6, s4
	s_delay_alu instid0(SALU_CYCLE_1) | instskip(SKIP_1) | instid1(VALU_DEP_2)
	v_cndmask_b32_e64 v16, v17, v21, s4
	v_dual_cndmask_b32 v20, v49, v18, s4 :: v_dual_cndmask_b32 v34, v27, v28, s4
	v_add_nc_u32_e32 v22, 1, v16
	s_delay_alu instid0(VALU_DEP_1) | instskip(SKIP_1) | instid1(VALU_DEP_2)
	v_add_min_u32_e64 v20, v20, -1, v22
	v_dual_cndmask_b32 v21, v21, v22, s4 :: v_dual_cndmask_b32 v17, v22, v17, s4
	v_add_nc_u32_e32 v20, v12, v20
	s_delay_alu instid0(VALU_DEP_2) | instskip(NEXT) | instid1(VALU_DEP_3)
	v_cmp_lt_u32_e64 s5, v21, v18
	v_cmp_ge_u32_e64 s7, v17, v49
	v_lshl_add_u32 v16, v16, 3, v10
	ds_load_u8 v20, v20
	s_wait_dscnt 0x0
	v_cndmask_b32_e64 v26, v28, v20, s4
	s_delay_alu instid0(VALU_DEP_1) | instskip(NEXT) | instid1(VALU_DEP_1)
	v_dual_cndmask_b32 v25, v20, v27, s4 :: v_dual_bitop2_b32 v23, v26, v14 bitop3:0x40
	v_and_b32_e32 v20, v25, v14
	s_delay_alu instid0(VALU_DEP_2) | instskip(NEXT) | instid1(VALU_DEP_2)
	v_and_b32_e32 v23, 0xff, v23
	v_and_b32_e32 v20, 0xff, v20
	s_delay_alu instid0(VALU_DEP_1) | instskip(SKIP_1) | instid1(SALU_CYCLE_1)
	v_cmp_le_u16_e64 s6, v20, v23
	s_and_b32 s5, s5, s6
	s_or_b32 s5, s7, s5
	s_delay_alu instid0(SALU_CYCLE_1) | instskip(SKIP_1) | instid1(VALU_DEP_2)
	v_cndmask_b32_e64 v20, v17, v21, s5
	v_cndmask_b32_e64 v22, v49, v18, s5
	v_dual_cndmask_b32 v36, v25, v26, s5 :: v_dual_add_nc_u32 v23, 1, v20
	s_delay_alu instid0(VALU_DEP_1) | instskip(SKIP_1) | instid1(VALU_DEP_2)
	v_add_min_u32_e64 v22, v22, -1, v23
	v_dual_cndmask_b32 v21, v21, v23, s5 :: v_dual_cndmask_b32 v17, v23, v17, s5
	v_add_nc_u32_e32 v22, v12, v22
	s_delay_alu instid0(VALU_DEP_2) | instskip(NEXT) | instid1(VALU_DEP_3)
	v_cmp_lt_u32_e64 s6, v21, v18
	v_cmp_ge_u32_e64 s10, v17, v49
	ds_load_u8 v22, v22
	s_wait_dscnt 0x0
	v_cndmask_b32_e64 v29, v22, v25, s5
	v_cndmask_b32_e64 v30, v26, v22, s5
	s_delay_alu instid0(VALU_DEP_2) | instskip(NEXT) | instid1(VALU_DEP_2)
	v_and_b32_e32 v22, v29, v14
	v_and_b32_e32 v14, v30, v14
	s_delay_alu instid0(VALU_DEP_2) | instskip(NEXT) | instid1(VALU_DEP_2)
	v_and_b32_e32 v22, 0xff, v22
	v_and_b32_e32 v14, 0xff, v14
	s_delay_alu instid0(VALU_DEP_1) | instskip(SKIP_1) | instid1(SALU_CYCLE_1)
	v_cmp_le_u16_e64 s7, v22, v14
	s_and_b32 s6, s6, s7
	s_or_b32 s6, s10, s6
	s_delay_alu instid0(SALU_CYCLE_1) | instskip(SKIP_2) | instid1(VALU_DEP_3)
	v_cndmask_b32_e64 v14, v17, v21, s6
	v_lshl_add_u32 v17, v20, 3, v10
	v_cndmask_b32_e64 v30, v29, v30, s6
	v_lshl_add_u32 v18, v14, 3, v10
	ds_load_b64 v[14:15], v15 offset:1024
	ds_load_b64 v[22:23], v16 offset:1024
	;; [unrolled: 1-line block ×4, first 2 shown]
.LBB1534_69:
	s_wait_xcnt 0x0
	s_or_b32 exec_lo, exec_lo, s13
	; wave barrier
	ds_store_b8 v5, v35
	s_wait_dscnt 0x4
	ds_store_b64 v31, v[14:15]
	ds_store_b8 v32, v34
	s_wait_dscnt 0x5
	ds_store_b64 v33, v[22:23]
	;; [unrolled: 3-line block ×4, first 2 shown]
	; wave barrier
	scratch_load_u8 v19, off, s32 offset:3
	v_min_u32_e32 v18, 64, v11
	v_min_u32_e32 v26, v11, v0
	s_mov_b32 s5, exec_lo
	s_delay_alu instid0(VALU_DEP_2) | instskip(NEXT) | instid1(VALU_DEP_2)
	v_add_min_u32_e64 v5, v18, 64, v11
	v_min_u32_e32 v27, v26, v18
	s_wait_loadcnt 0x0
	s_delay_alu instid0(VALU_DEP_2) | instskip(NEXT) | instid1(VALU_DEP_1)
	v_dual_sub_nc_u32 v11, v5, v18 :: v_dual_bitop2_b32 v19, 1, v19 bitop3:0x40
	v_sub_nc_u32_e64 v11, v26, v11 clamp
	s_delay_alu instid0(VALU_DEP_2)
	v_cmp_eq_u32_e64 s3, 1, v19
	scratch_store_b8 off, v19, s32 offset:2
	s_wait_xcnt 0x0
	v_cmpx_lt_u32_e64 v11, v27
	s_cbranch_execz .LBB1534_73
; %bb.70:
	scratch_load_u8 v28, off, s32 offset:2
	v_mov_b32_e32 v19, 0
	s_mov_b32 s6, 0
	s_delay_alu instid0(VALU_DEP_1)
	v_add_nc_u64_e32 v[24:25], v[12:13], v[18:19]
.LBB1534_71:                            ; =>This Inner Loop Header: Depth=1
	v_add_nc_u32_e32 v13, v27, v11
	s_delay_alu instid0(VALU_DEP_1) | instskip(NEXT) | instid1(VALU_DEP_1)
	v_lshrrev_b32_e32 v13, 1, v13
	v_not_b32_e32 v19, v13
	v_dual_add_nc_u32 v25, v12, v13 :: v_dual_add_nc_u32 v29, 1, v13
	s_delay_alu instid0(VALU_DEP_2)
	v_add3_u32 v19, v26, v19, v24
	ds_load_u8 v25, v25
	ds_load_u8 v19, v19
	s_wait_loadcnt_dscnt 0x1
	v_bitop3_b16 v25, v25, 1, v28 bitop3:0x80
	s_wait_dscnt 0x0
	v_bitop3_b16 v19, v19, 1, v28 bitop3:0x80
	s_delay_alu instid0(VALU_DEP_1) | instskip(NEXT) | instid1(VALU_DEP_1)
	v_cmp_gt_u16_e64 s4, v19, v25
	v_dual_cndmask_b32 v27, v27, v13, s4 :: v_dual_cndmask_b32 v11, v29, v11, s4
	s_delay_alu instid0(VALU_DEP_1)
	v_cmp_ge_u32_e64 s4, v11, v27
	s_or_b32 s6, s4, s6
	s_wait_xcnt 0x0
	s_and_not1_b32 exec_lo, exec_lo, s6
	s_cbranch_execnz .LBB1534_71
; %bb.72:
	s_or_b32 exec_lo, exec_lo, s6
.LBB1534_73:
	s_delay_alu instid0(SALU_CYCLE_1)
	s_or_b32 exec_lo, exec_lo, s5
	v_cndmask_b32_e64 v13, 0, 1, s3
	v_cmp_le_u32_e64 s3, v11, v18
	s_clause 0x1
	scratch_store_b8 off, v13, s32 offset:1
	scratch_load_u8 v13, off, s32 offset:1
	s_wait_loadcnt 0x0
	v_dual_add_nc_u32 v19, v18, v26 :: v_dual_bitop2_b32 v13, 1, v13 bitop3:0x40
	s_delay_alu instid0(VALU_DEP_1)
	v_sub_nc_u32_e32 v24, v19, v11
	scratch_store_b8 off, v13, s32
	v_cmp_le_u32_e64 s4, v24, v5
	s_or_b32 s3, s3, s4
	s_wait_xcnt 0x0
	s_and_saveexec_b32 s13, s3
	s_cbranch_execz .LBB1534_79
; %bb.74:
	v_cmp_ge_u32_e64 s3, v11, v18
	s_mov_b32 s5, exec_lo
                                        ; implicit-def: $vgpr13
	v_cmpx_lt_u32_e64 v11, v18
; %bb.75:
	v_add_nc_u32_e32 v13, v12, v11
	ds_load_u8 v13, v13
; %bb.76:
	s_or_b32 exec_lo, exec_lo, s5
	v_cmp_ge_u32_e64 s4, v24, v5
	s_mov_b32 s6, exec_lo
                                        ; implicit-def: $vgpr19
	v_cmpx_lt_u32_e64 v24, v5
; %bb.77:
	v_add_nc_u32_e32 v14, v12, v24
	ds_load_u8 v19, v14
; %bb.78:
	s_or_b32 exec_lo, exec_lo, s6
	scratch_load_u8 v14, off, s32
	v_cndmask_b32_e64 v17, 0, 1, s4
	s_or_b32 s3, s3, s4
	s_wait_loadcnt_dscnt 0x0
	v_bitop3_b16 v15, v14, 1, v19 bitop3:0x80
	v_bitop3_b16 v16, v14, 1, v13 bitop3:0x80
	s_delay_alu instid0(VALU_DEP_1) | instskip(NEXT) | instid1(VALU_DEP_1)
	v_cmp_le_u16_e64 s5, v15, v16
	v_cndmask_b32_e64 v15, 0, 1, s5
	s_delay_alu instid0(VALU_DEP_1) | instskip(NEXT) | instid1(VALU_DEP_1)
	v_cndmask_b32_e64 v15, v15, v17, s3
	v_and_b32_e32 v15, 1, v15
	s_delay_alu instid0(VALU_DEP_1) | instskip(NEXT) | instid1(VALU_DEP_1)
	v_cmp_eq_u32_e64 s3, 1, v15
	v_dual_cndmask_b32 v15, v24, v11, s3 :: v_dual_cndmask_b32 v16, v5, v18, s3
	s_delay_alu instid0(VALU_DEP_1) | instskip(NEXT) | instid1(VALU_DEP_1)
	v_dual_cndmask_b32 v35, v19, v13, s3 :: v_dual_add_nc_u32 v17, 1, v15
	v_add_min_u32_e64 v16, v16, -1, v17
	s_delay_alu instid0(VALU_DEP_1) | instskip(SKIP_3) | instid1(VALU_DEP_1)
	v_add_nc_u32_e32 v16, v12, v16
	ds_load_u8 v16, v16
	s_wait_dscnt 0x0
	v_dual_cndmask_b32 v26, v13, v16, s3 :: v_dual_cndmask_b32 v25, v16, v19, s3
	v_and_b32_e32 v20, v26, v14
	s_delay_alu instid0(VALU_DEP_2) | instskip(SKIP_1) | instid1(VALU_DEP_3)
	v_dual_cndmask_b32 v11, v11, v17, s3 :: v_dual_bitop2_b32 v16, v25, v14 bitop3:0x40
	v_cndmask_b32_e64 v17, v17, v24, s3
	v_and_b32_e32 v20, 0xff, v20
	s_delay_alu instid0(VALU_DEP_3) | instskip(NEXT) | instid1(VALU_DEP_4)
	v_and_b32_e32 v16, 0xff, v16
	v_cmp_lt_u32_e64 s4, v11, v18
	s_delay_alu instid0(VALU_DEP_4) | instskip(NEXT) | instid1(VALU_DEP_3)
	v_cmp_ge_u32_e64 s6, v17, v5
	v_cmp_le_u16_e64 s5, v16, v20
	s_and_b32 s4, s4, s5
	s_delay_alu instid0(SALU_CYCLE_1) | instskip(NEXT) | instid1(SALU_CYCLE_1)
	s_or_b32 s4, s6, s4
	v_cndmask_b32_e64 v16, v17, v11, s4
	s_delay_alu instid0(VALU_DEP_1) | instskip(NEXT) | instid1(VALU_DEP_1)
	v_dual_cndmask_b32 v20, v5, v18, s4 :: v_dual_add_nc_u32 v21, 1, v16
	v_add_min_u32_e64 v20, v20, -1, v21
	v_cndmask_b32_e64 v11, v11, v21, s4
	s_delay_alu instid0(VALU_DEP_2) | instskip(NEXT) | instid1(VALU_DEP_2)
	v_dual_cndmask_b32 v17, v21, v17, s4 :: v_dual_add_nc_u32 v20, v12, v20
	v_cmp_lt_u32_e64 s5, v11, v18
	s_delay_alu instid0(VALU_DEP_2) | instskip(SKIP_4) | instid1(VALU_DEP_1)
	v_cmp_ge_u32_e64 s7, v17, v5
	v_lshl_add_u32 v16, v16, 3, v10
	ds_load_u8 v20, v20
	s_wait_dscnt 0x0
	v_dual_cndmask_b32 v24, v20, v25, s4 :: v_dual_cndmask_b32 v27, v26, v20, s4
	v_and_b32_e32 v20, v24, v14
	s_delay_alu instid0(VALU_DEP_2) | instskip(NEXT) | instid1(VALU_DEP_2)
	v_and_b32_e32 v22, v27, v14
	v_and_b32_e32 v20, 0xff, v20
	s_delay_alu instid0(VALU_DEP_2) | instskip(NEXT) | instid1(VALU_DEP_1)
	v_and_b32_e32 v22, 0xff, v22
	v_cmp_le_u16_e64 s6, v20, v22
	s_and_b32 s5, s5, s6
	s_delay_alu instid0(SALU_CYCLE_1) | instskip(NEXT) | instid1(SALU_CYCLE_1)
	s_or_b32 s5, s7, s5
	v_dual_cndmask_b32 v34, v25, v26, s4 :: v_dual_cndmask_b32 v36, v24, v27, s5
	v_cndmask_b32_e64 v20, v17, v11, s5
	s_delay_alu instid0(VALU_DEP_1) | instskip(NEXT) | instid1(VALU_DEP_1)
	v_dual_cndmask_b32 v21, v5, v18, s5 :: v_dual_add_nc_u32 v22, 1, v20
	v_add_min_u32_e64 v21, v21, -1, v22
	v_dual_cndmask_b32 v11, v11, v22, s5 :: v_dual_cndmask_b32 v17, v22, v17, s5
	s_delay_alu instid0(VALU_DEP_2) | instskip(NEXT) | instid1(VALU_DEP_2)
	v_add_nc_u32_e32 v12, v12, v21
	v_cmp_lt_u32_e64 s6, v11, v18
	s_delay_alu instid0(VALU_DEP_3) | instskip(SKIP_3) | instid1(VALU_DEP_1)
	v_cmp_ge_u32_e64 s10, v17, v5
	ds_load_u8 v12, v12
	s_wait_dscnt 0x0
	v_cndmask_b32_e64 v28, v12, v24, s5
	v_dual_cndmask_b32 v12, v27, v12, s5 :: v_dual_bitop2_b32 v21, v28, v14 bitop3:0x40
	s_delay_alu instid0(VALU_DEP_1) | instskip(NEXT) | instid1(VALU_DEP_2)
	v_and_b32_e32 v14, v12, v14
	v_and_b32_e32 v21, 0xff, v21
	s_delay_alu instid0(VALU_DEP_2) | instskip(NEXT) | instid1(VALU_DEP_1)
	v_and_b32_e32 v14, 0xff, v14
	v_cmp_le_u16_e64 s7, v21, v14
	s_and_b32 s6, s6, s7
	s_delay_alu instid0(SALU_CYCLE_1) | instskip(NEXT) | instid1(SALU_CYCLE_1)
	s_or_b32 s6, s10, s6
	v_cndmask_b32_e64 v5, v17, v11, s6
	v_lshl_add_u32 v11, v15, 3, v10
	v_lshl_add_u32 v17, v20, 3, v10
	v_cndmask_b32_e64 v30, v28, v12, s6
	s_delay_alu instid0(VALU_DEP_4)
	v_lshl_add_u32 v5, v5, 3, v10
	ds_load_b64 v[14:15], v11 offset:1024
	ds_load_b64 v[22:23], v16 offset:1024
	;; [unrolled: 1-line block ×4, first 2 shown]
.LBB1534_79:
	s_wait_xcnt 0x0
	s_or_b32 exec_lo, exec_lo, s13
	; wave barrier
	s_wait_storecnt_dscnt 0x0
	s_barrier_signal -1
	s_barrier_wait -1
                                        ; implicit-def: $vgpr12_vgpr13
                                        ; implicit-def: $vgpr5
                                        ; implicit-def: $vgpr27
                                        ; implicit-def: $vgpr26
                                        ; implicit-def: $vgpr32_vgpr33
                                        ; implicit-def: $vgpr24_vgpr25
                                        ; implicit-def: $vgpr18_vgpr19
.LBB1534_80:
	s_and_not1_saveexec_b32 s10, s12
	s_cbranch_execz .LBB1534_136
; %bb.81:
	s_load_b64 s[4:5], s[8:9], 0x0
	s_bfe_u32 s6, ttmp6, 0x4000c
	s_bfe_u32 s12, ttmp6, 0x40010
	s_and_b32 s7, ttmp7, 0xffff
	s_add_co_i32 s6, s6, 1
	s_add_co_i32 s12, s12, 1
	s_and_b32 s3, ttmp6, 15
	s_bfe_u32 s13, ttmp6, 0x40004
	s_mul_i32 s6, ttmp9, s6
	s_mul_i32 s12, s7, s12
	s_add_co_i32 s3, s3, s6
	s_add_co_i32 s13, s13, s12
	s_cmp_eq_u32 s11, 0
	s_cselect_b32 s3, ttmp9, s3
	s_cselect_b32 s6, s7, s13
	s_wait_kmcnt 0x0
	s_cmp_lt_u32 s3, s4
	s_cselect_b32 s4, 12, 18
	s_cmp_lt_u32 s6, s5
	s_mov_b32 s5, 0
	s_cselect_b32 s6, 14, 20
	s_mov_b32 s7, s5
	s_add_nc_u64 s[4:5], s[8:9], s[4:5]
	s_add_nc_u64 s[6:7], s[8:9], s[6:7]
	s_clause 0x1
	s_load_u16 s4, s[4:5], 0x0
	s_nop 0
	s_load_u16 s3, s[6:7], 0x0
	s_wait_xcnt 0x0
	s_mov_b32 s6, exec_lo
	s_wait_kmcnt 0x0
	v_mad_u32_u24 v5, v27, s3, v5
	s_delay_alu instid0(VALU_DEP_1) | instskip(NEXT) | instid1(VALU_DEP_1)
	v_mul_lo_u32 v5, v5, s4
	v_add_lshl_u32 v5, v5, v26, 2
	s_delay_alu instid0(VALU_DEP_1)
	v_cmpx_gt_u32_e32 0x400, v5
	s_cbranch_execz .LBB1534_85
; %bb.82:
	s_wait_loadcnt_dscnt 0x0
	v_and_b32_e32 v10, 0xff, v35
	v_and_b32_e32 v11, 0xff, v34
	;; [unrolled: 1-line block ×4, first 2 shown]
	s_mov_b32 s7, exec_lo
	s_delay_alu instid0(VALU_DEP_3) | instskip(NEXT) | instid1(VALU_DEP_2)
	v_cmp_gt_u16_e64 s3, v11, v10
	v_cmp_gt_u16_e64 s4, v17, v16
	s_delay_alu instid0(VALU_DEP_2) | instskip(SKIP_1) | instid1(VALU_DEP_3)
	v_cndmask_b32_e64 v11, v34, 0, s3
	v_cndmask_b32_e64 v10, v35, 1, s3
	;; [unrolled: 1-line block ×3, first 2 shown]
	v_dual_cndmask_b32 v22, v14, v18, s3 :: v_dual_cndmask_b32 v23, v15, v19, s3
	s_delay_alu instid0(VALU_DEP_4) | instskip(SKIP_1) | instid1(VALU_DEP_4)
	v_and_b32_e32 v21, 0xff, v11
	v_dual_cndmask_b32 v15, v19, v15, s3 :: v_dual_cndmask_b32 v14, v18, v14, s3
	v_and_b32_e32 v20, 0xff, v16
	v_and_b32_e32 v17, 0xff, v10
	v_dual_cndmask_b32 v19, v32, v24, s4 :: v_dual_cndmask_b32 v26, v33, v25, s4
	s_delay_alu instid0(VALU_DEP_3) | instskip(SKIP_1) | instid1(VALU_DEP_2)
	v_cmp_gt_u16_e64 s5, v20, v21
	v_dual_cndmask_b32 v20, v24, v32, s4 :: v_dual_cndmask_b32 v24, v25, v33, s4
	v_cndmask_b32_e64 v18, v11, 1, s5
	v_cndmask_b32_e64 v11, v30, 0, s4
	;; [unrolled: 1-line block ×3, first 2 shown]
	s_delay_alu instid0(VALU_DEP_4) | instskip(NEXT) | instid1(VALU_DEP_4)
	v_dual_cndmask_b32 v27, v20, v14, s5 :: v_dual_cndmask_b32 v20, v14, v20, s5
	v_and_b32_e32 v21, 0xff, v18
	s_delay_alu instid0(VALU_DEP_4) | instskip(NEXT) | instid1(VALU_DEP_2)
	v_and_b32_e32 v25, 0xff, v11
	v_cmp_gt_u16_e64 s3, v21, v17
	v_and_b32_e32 v17, 0xff, v16
	v_cndmask_b32_e64 v21, v15, v24, s5
	s_delay_alu instid0(VALU_DEP_3) | instskip(NEXT) | instid1(VALU_DEP_3)
	v_cndmask_b32_e64 v34, v18, 0, s3
	v_cmp_gt_u16_e64 s4, v25, v17
	s_delay_alu instid0(VALU_DEP_3) | instskip(SKIP_1) | instid1(VALU_DEP_4)
	v_dual_cndmask_b32 v18, v24, v15, s5 :: v_dual_cndmask_b32 v15, v23, v21, s3
	v_cndmask_b32_e64 v14, v22, v20, s3
	v_and_b32_e32 v24, 0xff, v34
	s_delay_alu instid0(VALU_DEP_4) | instskip(SKIP_2) | instid1(VALU_DEP_3)
	v_cndmask_b32_e64 v36, v16, 1, s4
	v_dual_cndmask_b32 v23, v21, v23, s3 :: v_dual_cndmask_b32 v22, v20, v22, s3
	v_dual_cndmask_b32 v21, v26, v18, s4 :: v_dual_cndmask_b32 v20, v19, v27, s4
	v_and_b32_e32 v25, 0xff, v36
	v_dual_cndmask_b32 v17, v18, v26, s4 :: v_dual_cndmask_b32 v16, v27, v19, s4
	s_delay_alu instid0(VALU_DEP_2)
	v_cmpx_gt_u16_e64 v25, v24
; %bb.83:
	s_delay_alu instid0(VALU_DEP_2) | instskip(SKIP_2) | instid1(VALU_DEP_3)
	v_mov_b64_e32 v[18:19], v[16:17]
	v_mov_b64_e32 v[16:17], v[22:23]
	v_dual_mov_b32 v34, 1 :: v_dual_mov_b32 v36, 0
	v_mov_b64_e32 v[22:23], v[18:19]
; %bb.84:
	s_or_b32 exec_lo, exec_lo, s7
	v_cndmask_b32_e64 v35, v10, 1, s3
	v_cndmask_b32_e64 v30, v11, 0, s4
.LBB1534_85:
	s_or_b32 exec_lo, exec_lo, s6
	v_and_b32_e32 v24, 0xffffff80, v5
	v_dual_mov_b32 v25, 0 :: v_dual_bitop2_b32 v10, 4, v0 bitop3:0x54
	s_mov_b32 s4, exec_lo
	s_delay_alu instid0(VALU_DEP_2) | instskip(NEXT) | instid1(VALU_DEP_2)
	v_sub_nc_u32_e64 v5, 0x400, v24 clamp
	v_add_nc_u64_e32 v[12:13], v[12:13], v[24:25]
	v_and_b32_e32 v19, 4, v0
	s_delay_alu instid0(VALU_DEP_3) | instskip(NEXT) | instid1(VALU_DEP_2)
	v_min_u32_e32 v18, v5, v10
	v_min_u32_e32 v50, v5, v19
	s_delay_alu instid0(VALU_DEP_4) | instskip(SKIP_1) | instid1(VALU_DEP_4)
	v_mad_nc_u64_u32 v[10:11], v24, 7, v[12:13]
	v_and_b32_e32 v24, 0x78, v0
	v_add_min_u32_e64 v49, v18, 4, v5
	s_delay_alu instid0(VALU_DEP_1) | instskip(NEXT) | instid1(VALU_DEP_1)
	v_dual_sub_nc_u32 v11, v18, v24 :: v_dual_sub_nc_u32 v19, v49, v18
	v_min_u32_e32 v31, v50, v11
	v_lshl_add_u32 v32, v0, 3, v10
	s_delay_alu instid0(VALU_DEP_3)
	v_sub_nc_u32_e64 v51, v50, v19 clamp
	v_add_nc_u32_e32 v11, v12, v0
	s_wait_loadcnt_dscnt 0x0
	ds_store_2addr_b64 v32, v[14:15], v[22:23] offset0:128 offset1:129
	ds_store_b8 v11, v35
	ds_store_b8 v11, v34 offset:1
	ds_store_b8 v11, v36 offset:2
	;; [unrolled: 1-line block ×3, first 2 shown]
	ds_store_2addr_b64 v32, v[16:17], v[20:21] offset0:130 offset1:131
	; wave barrier
	v_cmpx_lt_u32_e64 v51, v31
	s_cbranch_execz .LBB1534_89
; %bb.86:
	v_mov_b32_e32 v19, v25
	v_add_nc_u64_e32 v[26:27], v[12:13], v[24:25]
	s_mov_b32 s5, 0
	s_delay_alu instid0(VALU_DEP_2)
	v_add_nc_u64_e32 v[28:29], v[12:13], v[18:19]
.LBB1534_87:                            ; =>This Inner Loop Header: Depth=1
	v_add_nc_u32_e32 v19, v31, v51
	s_delay_alu instid0(VALU_DEP_1) | instskip(NEXT) | instid1(VALU_DEP_1)
	v_lshrrev_b32_e32 v19, 1, v19
	v_not_b32_e32 v25, v19
	v_dual_add_nc_u32 v27, v26, v19 :: v_dual_add_nc_u32 v29, 1, v19
	s_delay_alu instid0(VALU_DEP_2) | instskip(SKIP_4) | instid1(VALU_DEP_1)
	v_add3_u32 v25, v50, v25, v28
	ds_load_u8 v27, v27
	ds_load_u8 v25, v25
	s_wait_dscnt 0x0
	v_cmp_gt_u16_e64 s3, v25, v27
	v_cndmask_b32_e64 v31, v31, v19, s3
	v_cndmask_b32_e64 v51, v29, v51, s3
	s_delay_alu instid0(VALU_DEP_1) | instskip(SKIP_1) | instid1(SALU_CYCLE_1)
	v_cmp_ge_u32_e64 s3, v51, v31
	s_or_b32 s5, s3, s5
	s_and_not1_b32 exec_lo, exec_lo, s5
	s_cbranch_execnz .LBB1534_87
; %bb.88:
	s_or_b32 exec_lo, exec_lo, s5
.LBB1534_89:
	s_delay_alu instid0(SALU_CYCLE_1) | instskip(SKIP_4) | instid1(VALU_DEP_4)
	s_or_b32 exec_lo, exec_lo, s4
	v_dual_add_nc_u32 v31, 3, v11 :: v_dual_add_nc_u32 v19, v18, v50
	v_add_nc_u32_e32 v26, v51, v24
	v_add_nc_u32_e32 v48, 0x400, v32
	v_dual_add_nc_u32 v33, 1, v11 :: v_dual_add_nc_u32 v38, 2, v11
	v_sub_nc_u32_e32 v25, v19, v51
	s_delay_alu instid0(VALU_DEP_4)
	v_cmp_le_u32_e64 s3, v26, v18
	v_add_nc_u32_e32 v37, 0x408, v32
	v_add_nc_u32_e32 v39, 0x410, v32
	v_add_nc_u32_e32 v32, 0x418, v32
	v_cmp_le_u32_e64 s4, v25, v49
	s_or_b32 s3, s3, s4
	s_delay_alu instid0(SALU_CYCLE_1)
	s_and_saveexec_b32 s9, s3
	s_cbranch_execz .LBB1534_95
; %bb.90:
	v_cmp_lt_u32_e64 s3, v26, v18
                                        ; implicit-def: $vgpr19
	s_and_saveexec_b32 s4, s3
; %bb.91:
	v_add_nc_u32_e32 v14, v12, v26
	ds_load_u8 v19, v14
; %bb.92:
	s_or_b32 exec_lo, exec_lo, s4
	v_cmp_ge_u32_e64 s4, v25, v49
	s_mov_b32 s6, exec_lo
                                        ; implicit-def: $vgpr24
	v_cmpx_lt_u32_e64 v25, v49
; %bb.93:
	v_add_nc_u32_e32 v14, v12, v25
	ds_load_u8 v24, v14
; %bb.94:
	s_or_b32 exec_lo, exec_lo, s6
	s_wait_dscnt 0x0
	v_and_b32_e32 v14, 0xff, v19
	v_and_b32_e32 v15, 0xff, v24
	s_delay_alu instid0(VALU_DEP_1) | instskip(SKIP_1) | instid1(SALU_CYCLE_1)
	v_cmp_le_u16_e64 s5, v15, v14
	s_and_b32 s3, s3, s5
	s_or_b32 s3, s4, s3
	s_delay_alu instid0(SALU_CYCLE_1) | instskip(NEXT) | instid1(VALU_DEP_1)
	v_cndmask_b32_e64 v14, v25, v26, s3
	v_add_nc_u32_e32 v16, 1, v14
	v_cndmask_b32_e64 v15, v49, v18, s3
	s_delay_alu instid0(VALU_DEP_1) | instskip(NEXT) | instid1(VALU_DEP_1)
	v_add_min_u32_e64 v15, v15, -1, v16
	v_add_nc_u32_e32 v15, v12, v15
	v_lshl_add_u32 v14, v14, 3, v10
	ds_load_u8 v15, v15
	s_wait_dscnt 0x0
	v_cndmask_b32_e64 v27, v15, v24, s3
	v_dual_cndmask_b32 v28, v19, v15, s3 :: v_dual_cndmask_b32 v15, v26, v16, s3
	v_cndmask_b32_e64 v16, v16, v25, s3
	s_delay_alu instid0(VALU_DEP_3) | instskip(NEXT) | instid1(VALU_DEP_3)
	v_and_b32_e32 v17, 0xff, v27
	v_and_b32_e32 v20, 0xff, v28
	s_delay_alu instid0(VALU_DEP_4) | instskip(NEXT) | instid1(VALU_DEP_4)
	v_cmp_lt_u32_e64 s4, v15, v18
	v_cmp_ge_u32_e64 s6, v16, v49
	s_delay_alu instid0(VALU_DEP_3) | instskip(SKIP_1) | instid1(SALU_CYCLE_1)
	v_cmp_le_u16_e64 s5, v17, v20
	s_and_b32 s4, s4, s5
	s_or_b32 s4, s6, s4
	s_delay_alu instid0(SALU_CYCLE_1) | instskip(NEXT) | instid1(VALU_DEP_1)
	v_dual_cndmask_b32 v17, v16, v15, s4 :: v_dual_cndmask_b32 v20, v49, v18, s4
	v_dual_cndmask_b32 v34, v27, v28, s4 :: v_dual_add_nc_u32 v21, 1, v17
	s_delay_alu instid0(VALU_DEP_1) | instskip(NEXT) | instid1(VALU_DEP_1)
	v_add_min_u32_e64 v20, v20, -1, v21
	v_dual_add_nc_u32 v20, v12, v20 :: v_dual_cndmask_b32 v15, v15, v21, s4
	v_cndmask_b32_e64 v16, v21, v16, s4
	ds_load_u8 v20, v20
	v_cmp_lt_u32_e64 s5, v15, v18
	v_cmp_ge_u32_e64 s7, v16, v49
	s_wait_dscnt 0x0
	v_cndmask_b32_e64 v25, v20, v27, s4
	v_cndmask_b32_e64 v26, v28, v20, s4
	s_delay_alu instid0(VALU_DEP_2) | instskip(NEXT) | instid1(VALU_DEP_2)
	v_and_b32_e32 v20, 0xff, v25
	v_and_b32_e32 v22, 0xff, v26
	s_delay_alu instid0(VALU_DEP_1) | instskip(SKIP_1) | instid1(SALU_CYCLE_1)
	v_cmp_le_u16_e64 s6, v20, v22
	s_and_b32 s5, s5, s6
	s_or_b32 s5, s7, s5
	s_delay_alu instid0(SALU_CYCLE_1) | instskip(SKIP_1) | instid1(VALU_DEP_2)
	v_dual_cndmask_b32 v20, v16, v15, s5 :: v_dual_cndmask_b32 v21, v49, v18, s5
	v_dual_cndmask_b32 v35, v24, v19, s3 :: v_dual_cndmask_b32 v36, v25, v26, s5
	v_add_nc_u32_e32 v22, 1, v20
	s_delay_alu instid0(VALU_DEP_1) | instskip(NEXT) | instid1(VALU_DEP_1)
	v_add_min_u32_e64 v21, v21, -1, v22
	v_add_nc_u32_e32 v21, v12, v21
	ds_load_u8 v21, v21
	s_wait_dscnt 0x0
	v_cndmask_b32_e64 v29, v21, v25, s5
	v_dual_cndmask_b32 v30, v26, v21, s5 :: v_dual_cndmask_b32 v15, v15, v22, s5
	v_cndmask_b32_e64 v16, v22, v16, s5
	s_delay_alu instid0(VALU_DEP_3) | instskip(NEXT) | instid1(VALU_DEP_3)
	v_and_b32_e32 v21, 0xff, v29
	v_and_b32_e32 v23, 0xff, v30
	s_delay_alu instid0(VALU_DEP_4) | instskip(NEXT) | instid1(VALU_DEP_4)
	v_cmp_lt_u32_e64 s6, v15, v18
	v_cmp_ge_u32_e64 s8, v16, v49
	s_delay_alu instid0(VALU_DEP_3) | instskip(SKIP_1) | instid1(SALU_CYCLE_1)
	v_cmp_le_u16_e64 s7, v21, v23
	s_and_b32 s6, s6, s7
	s_or_b32 s6, s8, s6
	s_delay_alu instid0(SALU_CYCLE_1) | instskip(SKIP_3) | instid1(VALU_DEP_4)
	v_cndmask_b32_e64 v15, v16, v15, s6
	v_lshl_add_u32 v16, v17, 3, v10
	v_lshl_add_u32 v17, v20, 3, v10
	v_cndmask_b32_e64 v30, v29, v30, s6
	v_lshl_add_u32 v18, v15, 3, v10
	ds_load_b64 v[14:15], v14 offset:1024
	ds_load_b64 v[22:23], v16 offset:1024
	;; [unrolled: 1-line block ×4, first 2 shown]
.LBB1534_95:
	s_or_b32 exec_lo, exec_lo, s9
	v_and_b32_e32 v24, 0x70, v0
	v_and_b32_e32 v19, 12, v0
	s_mov_b32 s4, exec_lo
	; wave barrier
	s_delay_alu instid0(VALU_DEP_2) | instskip(NEXT) | instid1(VALU_DEP_2)
	v_or_b32_e32 v18, 8, v24
	v_min_u32_e32 v50, v5, v19
	ds_store_b8 v11, v35
	s_wait_dscnt 0x4
	ds_store_b64 v48, v[14:15]
	ds_store_b8 v33, v34
	s_wait_dscnt 0x5
	ds_store_b64 v37, v[22:23]
	;; [unrolled: 3-line block ×4, first 2 shown]
	v_min_u32_e32 v18, v5, v18
	; wave barrier
	s_delay_alu instid0(VALU_DEP_1) | instskip(NEXT) | instid1(VALU_DEP_1)
	v_add_min_u32_e64 v49, v18, 8, v5
	v_dual_sub_nc_u32 v25, v18, v24 :: v_dual_sub_nc_u32 v19, v49, v18
	s_delay_alu instid0(VALU_DEP_1) | instskip(NEXT) | instid1(VALU_DEP_2)
	v_min_u32_e32 v52, v50, v25
	v_sub_nc_u32_e64 v51, v50, v19 clamp
	s_delay_alu instid0(VALU_DEP_1)
	v_cmpx_lt_u32_e64 v51, v52
	s_cbranch_execz .LBB1534_99
; %bb.96:
	v_mov_b32_e32 v25, 0
	s_mov_b32 s5, 0
	s_delay_alu instid0(VALU_DEP_1) | instskip(SKIP_1) | instid1(VALU_DEP_2)
	v_mov_b32_e32 v19, v25
	v_add_nc_u64_e32 v[26:27], v[12:13], v[24:25]
	v_add_nc_u64_e32 v[28:29], v[12:13], v[18:19]
.LBB1534_97:                            ; =>This Inner Loop Header: Depth=1
	v_add_nc_u32_e32 v19, v52, v51
	s_delay_alu instid0(VALU_DEP_1) | instskip(NEXT) | instid1(VALU_DEP_1)
	v_lshrrev_b32_e32 v19, 1, v19
	v_not_b32_e32 v25, v19
	v_dual_add_nc_u32 v27, v26, v19 :: v_dual_add_nc_u32 v29, 1, v19
	s_delay_alu instid0(VALU_DEP_2) | instskip(SKIP_4) | instid1(VALU_DEP_1)
	v_add3_u32 v25, v50, v25, v28
	ds_load_u8 v27, v27
	ds_load_u8 v25, v25
	s_wait_dscnt 0x0
	v_cmp_gt_u16_e64 s3, v25, v27
	v_cndmask_b32_e64 v52, v52, v19, s3
	v_cndmask_b32_e64 v51, v29, v51, s3
	s_delay_alu instid0(VALU_DEP_1) | instskip(SKIP_1) | instid1(SALU_CYCLE_1)
	v_cmp_ge_u32_e64 s3, v51, v52
	s_or_b32 s5, s3, s5
	s_and_not1_b32 exec_lo, exec_lo, s5
	s_cbranch_execnz .LBB1534_97
; %bb.98:
	s_or_b32 exec_lo, exec_lo, s5
.LBB1534_99:
	s_delay_alu instid0(SALU_CYCLE_1) | instskip(SKIP_1) | instid1(VALU_DEP_1)
	s_or_b32 exec_lo, exec_lo, s4
	v_dual_add_nc_u32 v19, v18, v50 :: v_dual_add_nc_u32 v26, v51, v24
	v_sub_nc_u32_e32 v25, v19, v51
	s_delay_alu instid0(VALU_DEP_2) | instskip(NEXT) | instid1(VALU_DEP_2)
	v_cmp_le_u32_e64 s3, v26, v18
	v_cmp_le_u32_e64 s4, v25, v49
	s_or_b32 s3, s3, s4
	s_delay_alu instid0(SALU_CYCLE_1)
	s_and_saveexec_b32 s9, s3
	s_cbranch_execz .LBB1534_105
; %bb.100:
	v_cmp_lt_u32_e64 s3, v26, v18
                                        ; implicit-def: $vgpr19
	s_and_saveexec_b32 s4, s3
; %bb.101:
	v_add_nc_u32_e32 v14, v12, v26
	ds_load_u8 v19, v14
; %bb.102:
	s_or_b32 exec_lo, exec_lo, s4
	v_cmp_ge_u32_e64 s4, v25, v49
	s_mov_b32 s6, exec_lo
                                        ; implicit-def: $vgpr24
	v_cmpx_lt_u32_e64 v25, v49
; %bb.103:
	v_add_nc_u32_e32 v14, v12, v25
	ds_load_u8 v24, v14
; %bb.104:
	s_or_b32 exec_lo, exec_lo, s6
	s_wait_dscnt 0x0
	v_and_b32_e32 v14, 0xff, v19
	v_and_b32_e32 v15, 0xff, v24
	s_delay_alu instid0(VALU_DEP_1) | instskip(SKIP_1) | instid1(SALU_CYCLE_1)
	v_cmp_le_u16_e64 s5, v15, v14
	s_and_b32 s3, s3, s5
	s_or_b32 s3, s4, s3
	s_delay_alu instid0(SALU_CYCLE_1) | instskip(NEXT) | instid1(VALU_DEP_1)
	v_cndmask_b32_e64 v14, v25, v26, s3
	v_add_nc_u32_e32 v16, 1, v14
	v_cndmask_b32_e64 v15, v49, v18, s3
	s_delay_alu instid0(VALU_DEP_1) | instskip(NEXT) | instid1(VALU_DEP_1)
	v_add_min_u32_e64 v15, v15, -1, v16
	v_add_nc_u32_e32 v15, v12, v15
	v_lshl_add_u32 v14, v14, 3, v10
	ds_load_u8 v15, v15
	s_wait_dscnt 0x0
	v_cndmask_b32_e64 v27, v15, v24, s3
	v_dual_cndmask_b32 v28, v19, v15, s3 :: v_dual_cndmask_b32 v15, v26, v16, s3
	v_cndmask_b32_e64 v16, v16, v25, s3
	s_delay_alu instid0(VALU_DEP_3) | instskip(NEXT) | instid1(VALU_DEP_3)
	v_and_b32_e32 v17, 0xff, v27
	v_and_b32_e32 v20, 0xff, v28
	s_delay_alu instid0(VALU_DEP_4) | instskip(NEXT) | instid1(VALU_DEP_4)
	v_cmp_lt_u32_e64 s4, v15, v18
	v_cmp_ge_u32_e64 s6, v16, v49
	s_delay_alu instid0(VALU_DEP_3) | instskip(SKIP_1) | instid1(SALU_CYCLE_1)
	v_cmp_le_u16_e64 s5, v17, v20
	s_and_b32 s4, s4, s5
	s_or_b32 s4, s6, s4
	s_delay_alu instid0(SALU_CYCLE_1) | instskip(NEXT) | instid1(VALU_DEP_1)
	v_dual_cndmask_b32 v17, v16, v15, s4 :: v_dual_cndmask_b32 v20, v49, v18, s4
	v_dual_cndmask_b32 v34, v27, v28, s4 :: v_dual_add_nc_u32 v21, 1, v17
	s_delay_alu instid0(VALU_DEP_1) | instskip(NEXT) | instid1(VALU_DEP_1)
	v_add_min_u32_e64 v20, v20, -1, v21
	v_dual_add_nc_u32 v20, v12, v20 :: v_dual_cndmask_b32 v15, v15, v21, s4
	v_cndmask_b32_e64 v16, v21, v16, s4
	ds_load_u8 v20, v20
	v_cmp_lt_u32_e64 s5, v15, v18
	v_cmp_ge_u32_e64 s7, v16, v49
	s_wait_dscnt 0x0
	v_cndmask_b32_e64 v25, v20, v27, s4
	v_cndmask_b32_e64 v26, v28, v20, s4
	s_delay_alu instid0(VALU_DEP_2) | instskip(NEXT) | instid1(VALU_DEP_2)
	v_and_b32_e32 v20, 0xff, v25
	v_and_b32_e32 v22, 0xff, v26
	s_delay_alu instid0(VALU_DEP_1) | instskip(SKIP_1) | instid1(SALU_CYCLE_1)
	v_cmp_le_u16_e64 s6, v20, v22
	s_and_b32 s5, s5, s6
	s_or_b32 s5, s7, s5
	s_delay_alu instid0(SALU_CYCLE_1) | instskip(SKIP_1) | instid1(VALU_DEP_2)
	v_dual_cndmask_b32 v20, v16, v15, s5 :: v_dual_cndmask_b32 v21, v49, v18, s5
	v_dual_cndmask_b32 v35, v24, v19, s3 :: v_dual_cndmask_b32 v36, v25, v26, s5
	v_add_nc_u32_e32 v22, 1, v20
	s_delay_alu instid0(VALU_DEP_1) | instskip(NEXT) | instid1(VALU_DEP_1)
	v_add_min_u32_e64 v21, v21, -1, v22
	v_add_nc_u32_e32 v21, v12, v21
	ds_load_u8 v21, v21
	s_wait_dscnt 0x0
	v_cndmask_b32_e64 v29, v21, v25, s5
	v_dual_cndmask_b32 v30, v26, v21, s5 :: v_dual_cndmask_b32 v15, v15, v22, s5
	v_cndmask_b32_e64 v16, v22, v16, s5
	s_delay_alu instid0(VALU_DEP_3) | instskip(NEXT) | instid1(VALU_DEP_3)
	v_and_b32_e32 v21, 0xff, v29
	v_and_b32_e32 v23, 0xff, v30
	s_delay_alu instid0(VALU_DEP_4) | instskip(NEXT) | instid1(VALU_DEP_4)
	v_cmp_lt_u32_e64 s6, v15, v18
	v_cmp_ge_u32_e64 s8, v16, v49
	s_delay_alu instid0(VALU_DEP_3) | instskip(SKIP_1) | instid1(SALU_CYCLE_1)
	v_cmp_le_u16_e64 s7, v21, v23
	s_and_b32 s6, s6, s7
	s_or_b32 s6, s8, s6
	s_delay_alu instid0(SALU_CYCLE_1) | instskip(SKIP_3) | instid1(VALU_DEP_4)
	v_cndmask_b32_e64 v15, v16, v15, s6
	v_lshl_add_u32 v16, v17, 3, v10
	v_lshl_add_u32 v17, v20, 3, v10
	v_cndmask_b32_e64 v30, v29, v30, s6
	v_lshl_add_u32 v18, v15, 3, v10
	ds_load_b64 v[14:15], v14 offset:1024
	ds_load_b64 v[22:23], v16 offset:1024
	;; [unrolled: 1-line block ×4, first 2 shown]
.LBB1534_105:
	s_or_b32 exec_lo, exec_lo, s9
	v_and_b32_e32 v24, 0x60, v0
	v_and_b32_e32 v19, 28, v0
	s_mov_b32 s4, exec_lo
	; wave barrier
	s_delay_alu instid0(VALU_DEP_2) | instskip(NEXT) | instid1(VALU_DEP_2)
	v_or_b32_e32 v18, 16, v24
	v_min_u32_e32 v50, v5, v19
	ds_store_b8 v11, v35
	s_wait_dscnt 0x4
	ds_store_b64 v48, v[14:15]
	ds_store_b8 v33, v34
	s_wait_dscnt 0x5
	ds_store_b64 v37, v[22:23]
	;; [unrolled: 3-line block ×4, first 2 shown]
	v_min_u32_e32 v18, v5, v18
	; wave barrier
	s_delay_alu instid0(VALU_DEP_1) | instskip(NEXT) | instid1(VALU_DEP_1)
	v_add_min_u32_e64 v49, v18, 16, v5
	v_dual_sub_nc_u32 v25, v18, v24 :: v_dual_sub_nc_u32 v19, v49, v18
	s_delay_alu instid0(VALU_DEP_1) | instskip(NEXT) | instid1(VALU_DEP_2)
	v_min_u32_e32 v52, v50, v25
	v_sub_nc_u32_e64 v51, v50, v19 clamp
	s_delay_alu instid0(VALU_DEP_1)
	v_cmpx_lt_u32_e64 v51, v52
	s_cbranch_execz .LBB1534_109
; %bb.106:
	v_mov_b32_e32 v25, 0
	s_mov_b32 s5, 0
	s_delay_alu instid0(VALU_DEP_1) | instskip(SKIP_1) | instid1(VALU_DEP_2)
	v_mov_b32_e32 v19, v25
	v_add_nc_u64_e32 v[26:27], v[12:13], v[24:25]
	v_add_nc_u64_e32 v[28:29], v[12:13], v[18:19]
.LBB1534_107:                           ; =>This Inner Loop Header: Depth=1
	v_add_nc_u32_e32 v19, v52, v51
	s_delay_alu instid0(VALU_DEP_1) | instskip(NEXT) | instid1(VALU_DEP_1)
	v_lshrrev_b32_e32 v19, 1, v19
	v_not_b32_e32 v25, v19
	v_dual_add_nc_u32 v27, v26, v19 :: v_dual_add_nc_u32 v29, 1, v19
	s_delay_alu instid0(VALU_DEP_2) | instskip(SKIP_4) | instid1(VALU_DEP_1)
	v_add3_u32 v25, v50, v25, v28
	ds_load_u8 v27, v27
	ds_load_u8 v25, v25
	s_wait_dscnt 0x0
	v_cmp_gt_u16_e64 s3, v25, v27
	v_cndmask_b32_e64 v52, v52, v19, s3
	v_cndmask_b32_e64 v51, v29, v51, s3
	s_delay_alu instid0(VALU_DEP_1) | instskip(SKIP_1) | instid1(SALU_CYCLE_1)
	v_cmp_ge_u32_e64 s3, v51, v52
	s_or_b32 s5, s3, s5
	s_and_not1_b32 exec_lo, exec_lo, s5
	s_cbranch_execnz .LBB1534_107
; %bb.108:
	s_or_b32 exec_lo, exec_lo, s5
.LBB1534_109:
	s_delay_alu instid0(SALU_CYCLE_1) | instskip(SKIP_1) | instid1(VALU_DEP_1)
	s_or_b32 exec_lo, exec_lo, s4
	v_dual_add_nc_u32 v19, v18, v50 :: v_dual_add_nc_u32 v26, v51, v24
	v_sub_nc_u32_e32 v25, v19, v51
	s_delay_alu instid0(VALU_DEP_2) | instskip(NEXT) | instid1(VALU_DEP_2)
	v_cmp_le_u32_e64 s3, v26, v18
	v_cmp_le_u32_e64 s4, v25, v49
	s_or_b32 s3, s3, s4
	s_delay_alu instid0(SALU_CYCLE_1)
	s_and_saveexec_b32 s9, s3
	s_cbranch_execz .LBB1534_115
; %bb.110:
	v_cmp_lt_u32_e64 s3, v26, v18
                                        ; implicit-def: $vgpr19
	s_and_saveexec_b32 s4, s3
; %bb.111:
	v_add_nc_u32_e32 v14, v12, v26
	ds_load_u8 v19, v14
; %bb.112:
	s_or_b32 exec_lo, exec_lo, s4
	v_cmp_ge_u32_e64 s4, v25, v49
	s_mov_b32 s6, exec_lo
                                        ; implicit-def: $vgpr24
	v_cmpx_lt_u32_e64 v25, v49
; %bb.113:
	v_add_nc_u32_e32 v14, v12, v25
	ds_load_u8 v24, v14
; %bb.114:
	s_or_b32 exec_lo, exec_lo, s6
	s_wait_dscnt 0x0
	v_and_b32_e32 v14, 0xff, v19
	v_and_b32_e32 v15, 0xff, v24
	s_delay_alu instid0(VALU_DEP_1) | instskip(SKIP_1) | instid1(SALU_CYCLE_1)
	v_cmp_le_u16_e64 s5, v15, v14
	s_and_b32 s3, s3, s5
	s_or_b32 s3, s4, s3
	s_delay_alu instid0(SALU_CYCLE_1) | instskip(NEXT) | instid1(VALU_DEP_1)
	v_cndmask_b32_e64 v14, v25, v26, s3
	v_add_nc_u32_e32 v16, 1, v14
	v_cndmask_b32_e64 v15, v49, v18, s3
	s_delay_alu instid0(VALU_DEP_1) | instskip(NEXT) | instid1(VALU_DEP_1)
	v_add_min_u32_e64 v15, v15, -1, v16
	v_add_nc_u32_e32 v15, v12, v15
	v_lshl_add_u32 v14, v14, 3, v10
	ds_load_u8 v15, v15
	s_wait_dscnt 0x0
	v_cndmask_b32_e64 v27, v15, v24, s3
	v_dual_cndmask_b32 v28, v19, v15, s3 :: v_dual_cndmask_b32 v15, v26, v16, s3
	v_cndmask_b32_e64 v16, v16, v25, s3
	s_delay_alu instid0(VALU_DEP_3) | instskip(NEXT) | instid1(VALU_DEP_3)
	v_and_b32_e32 v17, 0xff, v27
	v_and_b32_e32 v20, 0xff, v28
	s_delay_alu instid0(VALU_DEP_4) | instskip(NEXT) | instid1(VALU_DEP_4)
	v_cmp_lt_u32_e64 s4, v15, v18
	v_cmp_ge_u32_e64 s6, v16, v49
	s_delay_alu instid0(VALU_DEP_3) | instskip(SKIP_1) | instid1(SALU_CYCLE_1)
	v_cmp_le_u16_e64 s5, v17, v20
	s_and_b32 s4, s4, s5
	s_or_b32 s4, s6, s4
	s_delay_alu instid0(SALU_CYCLE_1) | instskip(NEXT) | instid1(VALU_DEP_1)
	v_dual_cndmask_b32 v17, v16, v15, s4 :: v_dual_cndmask_b32 v20, v49, v18, s4
	v_dual_cndmask_b32 v34, v27, v28, s4 :: v_dual_add_nc_u32 v21, 1, v17
	s_delay_alu instid0(VALU_DEP_1) | instskip(NEXT) | instid1(VALU_DEP_1)
	v_add_min_u32_e64 v20, v20, -1, v21
	v_dual_add_nc_u32 v20, v12, v20 :: v_dual_cndmask_b32 v15, v15, v21, s4
	v_cndmask_b32_e64 v16, v21, v16, s4
	ds_load_u8 v20, v20
	v_cmp_lt_u32_e64 s5, v15, v18
	v_cmp_ge_u32_e64 s7, v16, v49
	s_wait_dscnt 0x0
	v_cndmask_b32_e64 v25, v20, v27, s4
	v_cndmask_b32_e64 v26, v28, v20, s4
	s_delay_alu instid0(VALU_DEP_2) | instskip(NEXT) | instid1(VALU_DEP_2)
	v_and_b32_e32 v20, 0xff, v25
	v_and_b32_e32 v22, 0xff, v26
	s_delay_alu instid0(VALU_DEP_1) | instskip(SKIP_1) | instid1(SALU_CYCLE_1)
	v_cmp_le_u16_e64 s6, v20, v22
	s_and_b32 s5, s5, s6
	s_or_b32 s5, s7, s5
	s_delay_alu instid0(SALU_CYCLE_1) | instskip(SKIP_1) | instid1(VALU_DEP_2)
	v_dual_cndmask_b32 v20, v16, v15, s5 :: v_dual_cndmask_b32 v21, v49, v18, s5
	v_dual_cndmask_b32 v35, v24, v19, s3 :: v_dual_cndmask_b32 v36, v25, v26, s5
	v_add_nc_u32_e32 v22, 1, v20
	s_delay_alu instid0(VALU_DEP_1) | instskip(NEXT) | instid1(VALU_DEP_1)
	v_add_min_u32_e64 v21, v21, -1, v22
	v_add_nc_u32_e32 v21, v12, v21
	ds_load_u8 v21, v21
	s_wait_dscnt 0x0
	v_cndmask_b32_e64 v29, v21, v25, s5
	v_dual_cndmask_b32 v30, v26, v21, s5 :: v_dual_cndmask_b32 v15, v15, v22, s5
	v_cndmask_b32_e64 v16, v22, v16, s5
	s_delay_alu instid0(VALU_DEP_3) | instskip(NEXT) | instid1(VALU_DEP_3)
	v_and_b32_e32 v21, 0xff, v29
	v_and_b32_e32 v23, 0xff, v30
	s_delay_alu instid0(VALU_DEP_4) | instskip(NEXT) | instid1(VALU_DEP_4)
	v_cmp_lt_u32_e64 s6, v15, v18
	v_cmp_ge_u32_e64 s8, v16, v49
	s_delay_alu instid0(VALU_DEP_3) | instskip(SKIP_1) | instid1(SALU_CYCLE_1)
	v_cmp_le_u16_e64 s7, v21, v23
	s_and_b32 s6, s6, s7
	s_or_b32 s6, s8, s6
	s_delay_alu instid0(SALU_CYCLE_1) | instskip(SKIP_3) | instid1(VALU_DEP_4)
	v_cndmask_b32_e64 v15, v16, v15, s6
	v_lshl_add_u32 v16, v17, 3, v10
	v_lshl_add_u32 v17, v20, 3, v10
	v_cndmask_b32_e64 v30, v29, v30, s6
	v_lshl_add_u32 v18, v15, 3, v10
	ds_load_b64 v[14:15], v14 offset:1024
	ds_load_b64 v[22:23], v16 offset:1024
	;; [unrolled: 1-line block ×4, first 2 shown]
.LBB1534_115:
	s_or_b32 exec_lo, exec_lo, s9
	v_and_b32_e32 v24, 64, v0
	v_and_b32_e32 v19, 60, v0
	s_mov_b32 s4, exec_lo
	; wave barrier
	s_delay_alu instid0(VALU_DEP_2) | instskip(NEXT) | instid1(VALU_DEP_2)
	v_or_b32_e32 v18, 32, v24
	v_min_u32_e32 v50, v5, v19
	ds_store_b8 v11, v35
	s_wait_dscnt 0x4
	ds_store_b64 v48, v[14:15]
	ds_store_b8 v33, v34
	s_wait_dscnt 0x5
	ds_store_b64 v37, v[22:23]
	;; [unrolled: 3-line block ×4, first 2 shown]
	v_min_u32_e32 v18, v5, v18
	; wave barrier
	s_delay_alu instid0(VALU_DEP_1) | instskip(NEXT) | instid1(VALU_DEP_1)
	v_add_min_u32_e64 v49, v18, 32, v5
	v_dual_sub_nc_u32 v19, v49, v18 :: v_dual_sub_nc_u32 v25, v18, v24
	s_delay_alu instid0(VALU_DEP_1) | instskip(NEXT) | instid1(VALU_DEP_2)
	v_sub_nc_u32_e64 v51, v50, v19 clamp
	v_min_u32_e32 v52, v50, v25
	s_delay_alu instid0(VALU_DEP_1)
	v_cmpx_lt_u32_e64 v51, v52
	s_cbranch_execz .LBB1534_119
; %bb.116:
	v_mov_b32_e32 v25, 0
	s_mov_b32 s5, 0
	s_delay_alu instid0(VALU_DEP_1) | instskip(SKIP_1) | instid1(VALU_DEP_2)
	v_mov_b32_e32 v19, v25
	v_add_nc_u64_e32 v[26:27], v[12:13], v[24:25]
	v_add_nc_u64_e32 v[28:29], v[12:13], v[18:19]
.LBB1534_117:                           ; =>This Inner Loop Header: Depth=1
	v_add_nc_u32_e32 v19, v52, v51
	s_delay_alu instid0(VALU_DEP_1) | instskip(NEXT) | instid1(VALU_DEP_1)
	v_lshrrev_b32_e32 v19, 1, v19
	v_not_b32_e32 v25, v19
	v_dual_add_nc_u32 v27, v26, v19 :: v_dual_add_nc_u32 v29, 1, v19
	s_delay_alu instid0(VALU_DEP_2) | instskip(SKIP_4) | instid1(VALU_DEP_1)
	v_add3_u32 v25, v50, v25, v28
	ds_load_u8 v27, v27
	ds_load_u8 v25, v25
	s_wait_dscnt 0x0
	v_cmp_gt_u16_e64 s3, v25, v27
	v_cndmask_b32_e64 v52, v52, v19, s3
	v_cndmask_b32_e64 v51, v29, v51, s3
	s_delay_alu instid0(VALU_DEP_1) | instskip(SKIP_1) | instid1(SALU_CYCLE_1)
	v_cmp_ge_u32_e64 s3, v51, v52
	s_or_b32 s5, s3, s5
	s_and_not1_b32 exec_lo, exec_lo, s5
	s_cbranch_execnz .LBB1534_117
; %bb.118:
	s_or_b32 exec_lo, exec_lo, s5
.LBB1534_119:
	s_delay_alu instid0(SALU_CYCLE_1) | instskip(SKIP_1) | instid1(VALU_DEP_1)
	s_or_b32 exec_lo, exec_lo, s4
	v_dual_add_nc_u32 v19, v18, v50 :: v_dual_add_nc_u32 v26, v51, v24
	v_sub_nc_u32_e32 v25, v19, v51
	s_delay_alu instid0(VALU_DEP_2) | instskip(NEXT) | instid1(VALU_DEP_2)
	v_cmp_le_u32_e64 s3, v26, v18
	v_cmp_le_u32_e64 s4, v25, v49
	s_or_b32 s3, s3, s4
	s_delay_alu instid0(SALU_CYCLE_1)
	s_and_saveexec_b32 s9, s3
	s_cbranch_execz .LBB1534_125
; %bb.120:
	v_cmp_lt_u32_e64 s3, v26, v18
                                        ; implicit-def: $vgpr19
	s_and_saveexec_b32 s4, s3
; %bb.121:
	v_add_nc_u32_e32 v14, v12, v26
	ds_load_u8 v19, v14
; %bb.122:
	s_or_b32 exec_lo, exec_lo, s4
	v_cmp_ge_u32_e64 s4, v25, v49
	s_mov_b32 s6, exec_lo
                                        ; implicit-def: $vgpr24
	v_cmpx_lt_u32_e64 v25, v49
; %bb.123:
	v_add_nc_u32_e32 v14, v12, v25
	ds_load_u8 v24, v14
; %bb.124:
	s_or_b32 exec_lo, exec_lo, s6
	s_wait_dscnt 0x0
	v_and_b32_e32 v14, 0xff, v19
	v_and_b32_e32 v15, 0xff, v24
	s_delay_alu instid0(VALU_DEP_1) | instskip(SKIP_1) | instid1(SALU_CYCLE_1)
	v_cmp_le_u16_e64 s5, v15, v14
	s_and_b32 s3, s3, s5
	s_or_b32 s3, s4, s3
	s_delay_alu instid0(SALU_CYCLE_1) | instskip(NEXT) | instid1(VALU_DEP_1)
	v_cndmask_b32_e64 v14, v25, v26, s3
	v_add_nc_u32_e32 v16, 1, v14
	v_cndmask_b32_e64 v15, v49, v18, s3
	s_delay_alu instid0(VALU_DEP_1) | instskip(NEXT) | instid1(VALU_DEP_1)
	v_add_min_u32_e64 v15, v15, -1, v16
	v_add_nc_u32_e32 v15, v12, v15
	v_lshl_add_u32 v14, v14, 3, v10
	ds_load_u8 v15, v15
	s_wait_dscnt 0x0
	v_cndmask_b32_e64 v27, v15, v24, s3
	v_dual_cndmask_b32 v28, v19, v15, s3 :: v_dual_cndmask_b32 v15, v26, v16, s3
	v_cndmask_b32_e64 v16, v16, v25, s3
	s_delay_alu instid0(VALU_DEP_3) | instskip(NEXT) | instid1(VALU_DEP_3)
	v_and_b32_e32 v17, 0xff, v27
	v_and_b32_e32 v20, 0xff, v28
	s_delay_alu instid0(VALU_DEP_4) | instskip(NEXT) | instid1(VALU_DEP_4)
	v_cmp_lt_u32_e64 s4, v15, v18
	v_cmp_ge_u32_e64 s6, v16, v49
	s_delay_alu instid0(VALU_DEP_3) | instskip(SKIP_1) | instid1(SALU_CYCLE_1)
	v_cmp_le_u16_e64 s5, v17, v20
	s_and_b32 s4, s4, s5
	s_or_b32 s4, s6, s4
	s_delay_alu instid0(SALU_CYCLE_1) | instskip(NEXT) | instid1(VALU_DEP_1)
	v_dual_cndmask_b32 v17, v16, v15, s4 :: v_dual_cndmask_b32 v20, v49, v18, s4
	v_dual_cndmask_b32 v34, v27, v28, s4 :: v_dual_add_nc_u32 v21, 1, v17
	s_delay_alu instid0(VALU_DEP_1) | instskip(NEXT) | instid1(VALU_DEP_1)
	v_add_min_u32_e64 v20, v20, -1, v21
	v_dual_add_nc_u32 v20, v12, v20 :: v_dual_cndmask_b32 v15, v15, v21, s4
	v_cndmask_b32_e64 v16, v21, v16, s4
	ds_load_u8 v20, v20
	v_cmp_lt_u32_e64 s5, v15, v18
	v_cmp_ge_u32_e64 s7, v16, v49
	s_wait_dscnt 0x0
	v_cndmask_b32_e64 v25, v20, v27, s4
	v_cndmask_b32_e64 v26, v28, v20, s4
	s_delay_alu instid0(VALU_DEP_2) | instskip(NEXT) | instid1(VALU_DEP_2)
	v_and_b32_e32 v20, 0xff, v25
	v_and_b32_e32 v22, 0xff, v26
	s_delay_alu instid0(VALU_DEP_1) | instskip(SKIP_1) | instid1(SALU_CYCLE_1)
	v_cmp_le_u16_e64 s6, v20, v22
	s_and_b32 s5, s5, s6
	s_or_b32 s5, s7, s5
	s_delay_alu instid0(SALU_CYCLE_1) | instskip(SKIP_1) | instid1(VALU_DEP_2)
	v_dual_cndmask_b32 v20, v16, v15, s5 :: v_dual_cndmask_b32 v21, v49, v18, s5
	v_dual_cndmask_b32 v35, v24, v19, s3 :: v_dual_cndmask_b32 v36, v25, v26, s5
	v_add_nc_u32_e32 v22, 1, v20
	s_delay_alu instid0(VALU_DEP_1) | instskip(NEXT) | instid1(VALU_DEP_1)
	v_add_min_u32_e64 v21, v21, -1, v22
	v_add_nc_u32_e32 v21, v12, v21
	ds_load_u8 v21, v21
	s_wait_dscnt 0x0
	v_cndmask_b32_e64 v29, v21, v25, s5
	v_dual_cndmask_b32 v30, v26, v21, s5 :: v_dual_cndmask_b32 v15, v15, v22, s5
	v_cndmask_b32_e64 v16, v22, v16, s5
	s_delay_alu instid0(VALU_DEP_3) | instskip(NEXT) | instid1(VALU_DEP_3)
	v_and_b32_e32 v21, 0xff, v29
	v_and_b32_e32 v23, 0xff, v30
	s_delay_alu instid0(VALU_DEP_4) | instskip(NEXT) | instid1(VALU_DEP_4)
	v_cmp_lt_u32_e64 s6, v15, v18
	v_cmp_ge_u32_e64 s8, v16, v49
	s_delay_alu instid0(VALU_DEP_3) | instskip(SKIP_1) | instid1(SALU_CYCLE_1)
	v_cmp_le_u16_e64 s7, v21, v23
	s_and_b32 s6, s6, s7
	s_or_b32 s6, s8, s6
	s_delay_alu instid0(SALU_CYCLE_1) | instskip(SKIP_3) | instid1(VALU_DEP_4)
	v_cndmask_b32_e64 v15, v16, v15, s6
	v_lshl_add_u32 v16, v17, 3, v10
	v_lshl_add_u32 v17, v20, 3, v10
	v_cndmask_b32_e64 v30, v29, v30, s6
	v_lshl_add_u32 v18, v15, 3, v10
	ds_load_b64 v[14:15], v14 offset:1024
	ds_load_b64 v[22:23], v16 offset:1024
	;; [unrolled: 1-line block ×4, first 2 shown]
.LBB1534_125:
	s_or_b32 exec_lo, exec_lo, s9
	v_min_u32_e32 v18, 64, v5
	v_min_u32_e32 v27, v5, v0
	; wave barrier
	ds_store_b8 v11, v35
	s_wait_dscnt 0x4
	ds_store_b64 v48, v[14:15]
	v_add_min_u32_e64 v26, v18, 64, v5
	v_min_u32_e32 v11, v27, v18
	s_mov_b32 s4, exec_lo
	ds_store_b8 v33, v34
	s_wait_dscnt 0x5
	ds_store_b64 v37, v[22:23]
	ds_store_b8 v38, v36
	s_wait_dscnt 0x6
	ds_store_b64 v39, v[16:17]
	;; [unrolled: 3-line block ×3, first 2 shown]
	v_sub_nc_u32_e32 v5, v26, v18
	; wave barrier
	s_delay_alu instid0(VALU_DEP_1) | instskip(NEXT) | instid1(VALU_DEP_1)
	v_sub_nc_u32_e64 v5, v27, v5 clamp
	v_cmpx_lt_u32_e64 v5, v11
	s_cbranch_execz .LBB1534_129
; %bb.126:
	v_mov_b32_e32 v19, 0
	s_mov_b32 s5, 0
	s_delay_alu instid0(VALU_DEP_1)
	v_add_nc_u64_e32 v[24:25], v[12:13], v[18:19]
.LBB1534_127:                           ; =>This Inner Loop Header: Depth=1
	v_add_nc_u32_e32 v13, v11, v5
	s_delay_alu instid0(VALU_DEP_1) | instskip(NEXT) | instid1(VALU_DEP_1)
	v_lshrrev_b32_e32 v13, 1, v13
	v_not_b32_e32 v19, v13
	v_dual_add_nc_u32 v25, v12, v13 :: v_dual_add_nc_u32 v28, 1, v13
	s_delay_alu instid0(VALU_DEP_2) | instskip(SKIP_4) | instid1(VALU_DEP_1)
	v_add3_u32 v19, v27, v19, v24
	ds_load_u8 v25, v25
	ds_load_u8 v19, v19
	s_wait_dscnt 0x0
	v_cmp_gt_u16_e64 s3, v19, v25
	v_cndmask_b32_e64 v11, v11, v13, s3
	v_cndmask_b32_e64 v5, v28, v5, s3
	s_delay_alu instid0(VALU_DEP_1) | instskip(SKIP_1) | instid1(SALU_CYCLE_1)
	v_cmp_ge_u32_e64 s3, v5, v11
	s_or_b32 s5, s3, s5
	s_and_not1_b32 exec_lo, exec_lo, s5
	s_cbranch_execnz .LBB1534_127
; %bb.128:
	s_or_b32 exec_lo, exec_lo, s5
.LBB1534_129:
	s_delay_alu instid0(SALU_CYCLE_1) | instskip(SKIP_2) | instid1(VALU_DEP_2)
	s_or_b32 exec_lo, exec_lo, s4
	v_add_nc_u32_e32 v11, v18, v27
	v_cmp_le_u32_e64 s3, v5, v18
	v_sub_nc_u32_e32 v19, v11, v5
	s_delay_alu instid0(VALU_DEP_1) | instskip(SKIP_1) | instid1(SALU_CYCLE_1)
	v_cmp_le_u32_e64 s4, v19, v26
	s_or_b32 s3, s3, s4
	s_and_saveexec_b32 s9, s3
	s_cbranch_execz .LBB1534_135
; %bb.130:
	v_cmp_lt_u32_e64 s3, v5, v18
                                        ; implicit-def: $vgpr11
	s_and_saveexec_b32 s4, s3
; %bb.131:
	v_add_nc_u32_e32 v11, v12, v5
	ds_load_u8 v11, v11
; %bb.132:
	s_or_b32 exec_lo, exec_lo, s4
	v_cmp_ge_u32_e64 s4, v19, v26
	s_mov_b32 s6, exec_lo
                                        ; implicit-def: $vgpr13
	v_cmpx_lt_u32_e64 v19, v26
; %bb.133:
	v_add_nc_u32_e32 v13, v12, v19
	ds_load_u8 v13, v13
; %bb.134:
	s_or_b32 exec_lo, exec_lo, s6
	s_wait_dscnt 0x0
	v_and_b32_e32 v14, 0xff, v11
	v_and_b32_e32 v15, 0xff, v13
	s_delay_alu instid0(VALU_DEP_1) | instskip(SKIP_1) | instid1(SALU_CYCLE_1)
	v_cmp_le_u16_e64 s5, v15, v14
	s_and_b32 s3, s3, s5
	s_or_b32 s3, s4, s3
	s_delay_alu instid0(SALU_CYCLE_1) | instskip(NEXT) | instid1(VALU_DEP_1)
	v_dual_cndmask_b32 v14, v19, v5, s3 :: v_dual_cndmask_b32 v15, v26, v18, s3
	v_dual_cndmask_b32 v35, v13, v11, s3 :: v_dual_add_nc_u32 v16, 1, v14
	v_lshl_add_u32 v14, v14, 3, v10
	s_delay_alu instid0(VALU_DEP_2) | instskip(NEXT) | instid1(VALU_DEP_1)
	v_add_min_u32_e64 v15, v15, -1, v16
	v_dual_add_nc_u32 v15, v12, v15 :: v_dual_cndmask_b32 v5, v5, v16, s3
	v_cndmask_b32_e64 v16, v16, v19, s3
	ds_load_u8 v15, v15
	v_cmp_lt_u32_e64 s4, v5, v18
	v_cmp_ge_u32_e64 s6, v16, v26
	s_wait_dscnt 0x0
	v_cndmask_b32_e64 v24, v15, v13, s3
	v_cndmask_b32_e64 v25, v11, v15, s3
	s_delay_alu instid0(VALU_DEP_2) | instskip(NEXT) | instid1(VALU_DEP_2)
	v_and_b32_e32 v15, 0xff, v24
	v_and_b32_e32 v17, 0xff, v25
	s_delay_alu instid0(VALU_DEP_1) | instskip(SKIP_1) | instid1(SALU_CYCLE_1)
	v_cmp_le_u16_e64 s5, v15, v17
	s_and_b32 s4, s4, s5
	s_or_b32 s4, s6, s4
	s_delay_alu instid0(SALU_CYCLE_1) | instskip(NEXT) | instid1(VALU_DEP_1)
	v_dual_cndmask_b32 v17, v26, v18, s4 :: v_dual_cndmask_b32 v15, v16, v5, s4
	v_add_nc_u32_e32 v19, 1, v15
	s_delay_alu instid0(VALU_DEP_1) | instskip(NEXT) | instid1(VALU_DEP_1)
	v_add_min_u32_e64 v17, v17, -1, v19
	v_dual_add_nc_u32 v17, v12, v17 :: v_dual_cndmask_b32 v5, v5, v19, s4
	v_cndmask_b32_e64 v16, v19, v16, s4
	ds_load_u8 v17, v17
	v_cmp_lt_u32_e64 s5, v5, v18
	v_cmp_ge_u32_e64 s7, v16, v26
	s_wait_dscnt 0x0
	v_cndmask_b32_e64 v27, v17, v24, s4
	v_cndmask_b32_e64 v28, v25, v17, s4
	s_delay_alu instid0(VALU_DEP_2) | instskip(NEXT) | instid1(VALU_DEP_2)
	v_and_b32_e32 v17, 0xff, v27
	v_and_b32_e32 v20, 0xff, v28
	s_delay_alu instid0(VALU_DEP_1) | instskip(SKIP_1) | instid1(SALU_CYCLE_1)
	v_cmp_le_u16_e64 s6, v17, v20
	s_and_b32 s5, s5, s6
	s_or_b32 s5, s7, s5
	s_delay_alu instid0(SALU_CYCLE_1) | instskip(NEXT) | instid1(VALU_DEP_1)
	v_dual_cndmask_b32 v19, v26, v18, s5 :: v_dual_cndmask_b32 v17, v16, v5, s5
	v_dual_cndmask_b32 v36, v27, v28, s5 :: v_dual_add_nc_u32 v20, 1, v17
	v_lshl_add_u32 v17, v17, 3, v10
	s_delay_alu instid0(VALU_DEP_2) | instskip(NEXT) | instid1(VALU_DEP_1)
	v_add_min_u32_e64 v19, v19, -1, v20
	v_dual_add_nc_u32 v12, v12, v19 :: v_dual_cndmask_b32 v5, v5, v20, s5
	v_cndmask_b32_e64 v16, v20, v16, s5
	ds_load_u8 v12, v12
	v_cmp_lt_u32_e64 s6, v5, v18
	v_cmp_ge_u32_e64 s8, v16, v26
	s_wait_dscnt 0x0
	v_cndmask_b32_e64 v19, v12, v27, s5
	v_cndmask_b32_e64 v12, v28, v12, s5
	s_delay_alu instid0(VALU_DEP_2) | instskip(NEXT) | instid1(VALU_DEP_2)
	v_and_b32_e32 v21, 0xff, v19
	v_and_b32_e32 v22, 0xff, v12
	s_delay_alu instid0(VALU_DEP_1) | instskip(SKIP_1) | instid1(SALU_CYCLE_1)
	v_cmp_le_u16_e64 s7, v21, v22
	s_and_b32 s6, s6, s7
	s_or_b32 s6, s8, s6
	s_delay_alu instid0(SALU_CYCLE_1) | instskip(SKIP_2) | instid1(VALU_DEP_2)
	v_dual_cndmask_b32 v34, v24, v25, s4 :: v_dual_cndmask_b32 v30, v19, v12, s6
	v_cndmask_b32_e64 v5, v16, v5, s6
	v_lshl_add_u32 v16, v15, 3, v10
	v_lshl_add_u32 v5, v5, 3, v10
	ds_load_b64 v[14:15], v14 offset:1024
	ds_load_b64 v[22:23], v16 offset:1024
	;; [unrolled: 1-line block ×4, first 2 shown]
.LBB1534_135:
	s_or_b32 exec_lo, exec_lo, s9
	; wave barrier
	s_wait_storecnt_dscnt 0x0
	s_barrier_signal -1
	s_barrier_wait -1
.LBB1534_136:
	s_or_b32 exec_lo, exec_lo, s10
	v_add_nc_u64_e32 v[2:3], v[2:3], v[8:9]
	; wave barrier
	s_delay_alu instid0(VALU_DEP_1)
	v_add_nc_u64_e32 v[0:1], v[2:3], v[0:1]
	s_and_saveexec_b32 s3, vcc_lo
	s_cbranch_execnz .LBB1534_146
; %bb.137:
	s_or_b32 exec_lo, exec_lo, s3
	s_and_saveexec_b32 s3, s0
	s_cbranch_execnz .LBB1534_147
.LBB1534_138:
	s_or_b32 exec_lo, exec_lo, s3
	s_and_saveexec_b32 s3, s1
	s_cbranch_execnz .LBB1534_148
.LBB1534_139:
	s_or_b32 exec_lo, exec_lo, s3
	s_and_saveexec_b32 s3, s2
	s_cbranch_execz .LBB1534_141
.LBB1534_140:
	s_wait_loadcnt_dscnt 0x0
	flat_store_b8 v[0:1], v30 offset:3
.LBB1534_141:
	s_wait_xcnt 0x0
	s_or_b32 exec_lo, exec_lo, s3
	v_lshl_add_u64 v[0:1], v[8:9], 3, v[6:7]
	v_mov_b32_e32 v5, 0
	; wave barrier
	s_delay_alu instid0(VALU_DEP_1)
	v_add_nc_u64_e32 v[0:1], v[0:1], v[4:5]
	s_and_saveexec_b32 s3, vcc_lo
	s_cbranch_execnz .LBB1534_149
; %bb.142:
	s_or_b32 exec_lo, exec_lo, s3
	s_and_saveexec_b32 s3, s0
	s_cbranch_execnz .LBB1534_150
.LBB1534_143:
	s_or_b32 exec_lo, exec_lo, s3
	s_and_saveexec_b32 s0, s1
	s_cbranch_execnz .LBB1534_151
.LBB1534_144:
	s_or_b32 exec_lo, exec_lo, s0
	s_and_saveexec_b32 s0, s2
	s_cbranch_execnz .LBB1534_152
.LBB1534_145:
	s_or_b32 exec_lo, exec_lo, s0
	s_wait_loadcnt_dscnt 0x0
	s_set_pc_i64 s[30:31]
.LBB1534_146:
	s_wait_loadcnt_dscnt 0x0
	flat_store_b8 v[0:1], v35
	s_wait_xcnt 0x0
	s_or_b32 exec_lo, exec_lo, s3
	s_and_saveexec_b32 s3, s0
	s_cbranch_execz .LBB1534_138
.LBB1534_147:
	s_wait_loadcnt_dscnt 0x0
	flat_store_b8 v[0:1], v34 offset:1
	s_wait_xcnt 0x0
	s_or_b32 exec_lo, exec_lo, s3
	s_and_saveexec_b32 s3, s1
	s_cbranch_execz .LBB1534_139
.LBB1534_148:
	s_wait_loadcnt_dscnt 0x0
	flat_store_b8 v[0:1], v36 offset:2
	s_wait_xcnt 0x0
	s_or_b32 exec_lo, exec_lo, s3
	s_and_saveexec_b32 s3, s2
	s_cbranch_execnz .LBB1534_140
	s_branch .LBB1534_141
.LBB1534_149:
	s_wait_loadcnt_dscnt 0x0
	flat_store_b64 v[0:1], v[14:15]
	s_wait_xcnt 0x0
	s_or_b32 exec_lo, exec_lo, s3
	s_and_saveexec_b32 s3, s0
	s_cbranch_execz .LBB1534_143
.LBB1534_150:
	flat_store_b64 v[0:1], v[22:23] offset:8
	s_wait_xcnt 0x0
	s_or_b32 exec_lo, exec_lo, s3
	s_and_saveexec_b32 s0, s1
	s_cbranch_execz .LBB1534_144
.LBB1534_151:
	flat_store_b64 v[0:1], v[16:17] offset:16
	s_wait_xcnt 0x0
	s_or_b32 exec_lo, exec_lo, s0
	s_and_saveexec_b32 s0, s2
	s_cbranch_execz .LBB1534_145
.LBB1534_152:
	flat_store_b64 v[0:1], v[20:21] offset:24
	s_wait_xcnt 0x0
	s_or_b32 exec_lo, exec_lo, s0
	s_wait_loadcnt_dscnt 0x0
	s_set_pc_i64 s[30:31]
.Lfunc_end1534:
	.size	_ZN7rocprim17ROCPRIM_400000_NS6detail26segmented_warp_sort_helperINS1_20WarpSortHelperConfigILj32ELj4ELj256EEEblLi256ELb1EvE4sortIPKbPbPKlPlEEvT_T0_T1_T2_jjjjRNS5_12storage_typeE, .Lfunc_end1534-_ZN7rocprim17ROCPRIM_400000_NS6detail26segmented_warp_sort_helperINS1_20WarpSortHelperConfigILj32ELj4ELj256EEEblLi256ELb1EvE4sortIPKbPbPKlPlEEvT_T0_T1_T2_jjjjRNS5_12storage_typeE
                                        ; -- End function
	.set .L_ZN7rocprim17ROCPRIM_400000_NS6detail26segmented_warp_sort_helperINS1_20WarpSortHelperConfigILj32ELj4ELj256EEEblLi256ELb1EvE4sortIPKbPbPKlPlEEvT_T0_T1_T2_jjjjRNS5_12storage_typeE.num_vgpr, 54
	.set .L_ZN7rocprim17ROCPRIM_400000_NS6detail26segmented_warp_sort_helperINS1_20WarpSortHelperConfigILj32ELj4ELj256EEEblLi256ELb1EvE4sortIPKbPbPKlPlEEvT_T0_T1_T2_jjjjRNS5_12storage_typeE.num_agpr, 0
	.set .L_ZN7rocprim17ROCPRIM_400000_NS6detail26segmented_warp_sort_helperINS1_20WarpSortHelperConfigILj32ELj4ELj256EEEblLi256ELb1EvE4sortIPKbPbPKlPlEEvT_T0_T1_T2_jjjjRNS5_12storage_typeE.numbered_sgpr, 33
	.set .L_ZN7rocprim17ROCPRIM_400000_NS6detail26segmented_warp_sort_helperINS1_20WarpSortHelperConfigILj32ELj4ELj256EEEblLi256ELb1EvE4sortIPKbPbPKlPlEEvT_T0_T1_T2_jjjjRNS5_12storage_typeE.num_named_barrier, 0
	.set .L_ZN7rocprim17ROCPRIM_400000_NS6detail26segmented_warp_sort_helperINS1_20WarpSortHelperConfigILj32ELj4ELj256EEEblLi256ELb1EvE4sortIPKbPbPKlPlEEvT_T0_T1_T2_jjjjRNS5_12storage_typeE.private_seg_size, 12
	.set .L_ZN7rocprim17ROCPRIM_400000_NS6detail26segmented_warp_sort_helperINS1_20WarpSortHelperConfigILj32ELj4ELj256EEEblLi256ELb1EvE4sortIPKbPbPKlPlEEvT_T0_T1_T2_jjjjRNS5_12storage_typeE.uses_vcc, 1
	.set .L_ZN7rocprim17ROCPRIM_400000_NS6detail26segmented_warp_sort_helperINS1_20WarpSortHelperConfigILj32ELj4ELj256EEEblLi256ELb1EvE4sortIPKbPbPKlPlEEvT_T0_T1_T2_jjjjRNS5_12storage_typeE.uses_flat_scratch, 1
	.set .L_ZN7rocprim17ROCPRIM_400000_NS6detail26segmented_warp_sort_helperINS1_20WarpSortHelperConfigILj32ELj4ELj256EEEblLi256ELb1EvE4sortIPKbPbPKlPlEEvT_T0_T1_T2_jjjjRNS5_12storage_typeE.has_dyn_sized_stack, 0
	.set .L_ZN7rocprim17ROCPRIM_400000_NS6detail26segmented_warp_sort_helperINS1_20WarpSortHelperConfigILj32ELj4ELj256EEEblLi256ELb1EvE4sortIPKbPbPKlPlEEvT_T0_T1_T2_jjjjRNS5_12storage_typeE.has_recursion, 0
	.set .L_ZN7rocprim17ROCPRIM_400000_NS6detail26segmented_warp_sort_helperINS1_20WarpSortHelperConfigILj32ELj4ELj256EEEblLi256ELb1EvE4sortIPKbPbPKlPlEEvT_T0_T1_T2_jjjjRNS5_12storage_typeE.has_indirect_call, 0
	.section	.AMDGPU.csdata,"",@progbits
; Function info:
; codeLenInByte = 13568
; TotalNumSgprs: 35
; NumVgprs: 54
; ScratchSize: 12
; MemoryBound: 1
	.section	.text._ZN7rocprim17ROCPRIM_400000_NS6detail17trampoline_kernelINS0_14default_configENS1_36segmented_radix_sort_config_selectorIblEEZNS1_25segmented_radix_sort_implIS3_Lb1EPKbPbPKlPlN2at6native12_GLOBAL__N_18offset_tEEE10hipError_tPvRmT1_PNSt15iterator_traitsISK_E10value_typeET2_T3_PNSL_ISQ_E10value_typeET4_jRbjT5_SW_jjP12ihipStream_tbEUlT_E0_NS1_11comp_targetILNS1_3genE0ELNS1_11target_archE4294967295ELNS1_3gpuE0ELNS1_3repE0EEENS1_60segmented_radix_sort_warp_sort_medium_config_static_selectorELNS0_4arch9wavefront6targetE0EEEvSK_,"axG",@progbits,_ZN7rocprim17ROCPRIM_400000_NS6detail17trampoline_kernelINS0_14default_configENS1_36segmented_radix_sort_config_selectorIblEEZNS1_25segmented_radix_sort_implIS3_Lb1EPKbPbPKlPlN2at6native12_GLOBAL__N_18offset_tEEE10hipError_tPvRmT1_PNSt15iterator_traitsISK_E10value_typeET2_T3_PNSL_ISQ_E10value_typeET4_jRbjT5_SW_jjP12ihipStream_tbEUlT_E0_NS1_11comp_targetILNS1_3genE0ELNS1_11target_archE4294967295ELNS1_3gpuE0ELNS1_3repE0EEENS1_60segmented_radix_sort_warp_sort_medium_config_static_selectorELNS0_4arch9wavefront6targetE0EEEvSK_,comdat
	.globl	_ZN7rocprim17ROCPRIM_400000_NS6detail17trampoline_kernelINS0_14default_configENS1_36segmented_radix_sort_config_selectorIblEEZNS1_25segmented_radix_sort_implIS3_Lb1EPKbPbPKlPlN2at6native12_GLOBAL__N_18offset_tEEE10hipError_tPvRmT1_PNSt15iterator_traitsISK_E10value_typeET2_T3_PNSL_ISQ_E10value_typeET4_jRbjT5_SW_jjP12ihipStream_tbEUlT_E0_NS1_11comp_targetILNS1_3genE0ELNS1_11target_archE4294967295ELNS1_3gpuE0ELNS1_3repE0EEENS1_60segmented_radix_sort_warp_sort_medium_config_static_selectorELNS0_4arch9wavefront6targetE0EEEvSK_ ; -- Begin function _ZN7rocprim17ROCPRIM_400000_NS6detail17trampoline_kernelINS0_14default_configENS1_36segmented_radix_sort_config_selectorIblEEZNS1_25segmented_radix_sort_implIS3_Lb1EPKbPbPKlPlN2at6native12_GLOBAL__N_18offset_tEEE10hipError_tPvRmT1_PNSt15iterator_traitsISK_E10value_typeET2_T3_PNSL_ISQ_E10value_typeET4_jRbjT5_SW_jjP12ihipStream_tbEUlT_E0_NS1_11comp_targetILNS1_3genE0ELNS1_11target_archE4294967295ELNS1_3gpuE0ELNS1_3repE0EEENS1_60segmented_radix_sort_warp_sort_medium_config_static_selectorELNS0_4arch9wavefront6targetE0EEEvSK_
	.p2align	8
	.type	_ZN7rocprim17ROCPRIM_400000_NS6detail17trampoline_kernelINS0_14default_configENS1_36segmented_radix_sort_config_selectorIblEEZNS1_25segmented_radix_sort_implIS3_Lb1EPKbPbPKlPlN2at6native12_GLOBAL__N_18offset_tEEE10hipError_tPvRmT1_PNSt15iterator_traitsISK_E10value_typeET2_T3_PNSL_ISQ_E10value_typeET4_jRbjT5_SW_jjP12ihipStream_tbEUlT_E0_NS1_11comp_targetILNS1_3genE0ELNS1_11target_archE4294967295ELNS1_3gpuE0ELNS1_3repE0EEENS1_60segmented_radix_sort_warp_sort_medium_config_static_selectorELNS0_4arch9wavefront6targetE0EEEvSK_,@function
_ZN7rocprim17ROCPRIM_400000_NS6detail17trampoline_kernelINS0_14default_configENS1_36segmented_radix_sort_config_selectorIblEEZNS1_25segmented_radix_sort_implIS3_Lb1EPKbPbPKlPlN2at6native12_GLOBAL__N_18offset_tEEE10hipError_tPvRmT1_PNSt15iterator_traitsISK_E10value_typeET2_T3_PNSL_ISQ_E10value_typeET4_jRbjT5_SW_jjP12ihipStream_tbEUlT_E0_NS1_11comp_targetILNS1_3genE0ELNS1_11target_archE4294967295ELNS1_3gpuE0ELNS1_3repE0EEENS1_60segmented_radix_sort_warp_sort_medium_config_static_selectorELNS0_4arch9wavefront6targetE0EEEvSK_: ; @_ZN7rocprim17ROCPRIM_400000_NS6detail17trampoline_kernelINS0_14default_configENS1_36segmented_radix_sort_config_selectorIblEEZNS1_25segmented_radix_sort_implIS3_Lb1EPKbPbPKlPlN2at6native12_GLOBAL__N_18offset_tEEE10hipError_tPvRmT1_PNSt15iterator_traitsISK_E10value_typeET2_T3_PNSL_ISQ_E10value_typeET4_jRbjT5_SW_jjP12ihipStream_tbEUlT_E0_NS1_11comp_targetILNS1_3genE0ELNS1_11target_archE4294967295ELNS1_3gpuE0ELNS1_3repE0EEENS1_60segmented_radix_sort_warp_sort_medium_config_static_selectorELNS0_4arch9wavefront6targetE0EEEvSK_
; %bb.0:
	s_load_b32 s4, s[2:3], 0x64
	v_bfe_u32 v1, v0, 10, 10
	v_bfe_u32 v2, v0, 20, 10
	v_and_b32_e32 v3, 0x3ff, v0
	s_and_b32 s6, ttmp6, 15
	s_getreg_b32 s7, hwreg(HW_REG_IB_STS2, 6, 4)
	s_mov_b32 s32, 0
	s_wait_kmcnt 0x0
	s_lshr_b32 s5, s4, 16
	s_and_b32 s4, s4, 0xffff
	v_mad_u32_u24 v1, v2, s5, v1
	s_bfe_u32 s5, ttmp6, 0x4000c
	s_delay_alu instid0(SALU_CYCLE_1) | instskip(NEXT) | instid1(SALU_CYCLE_1)
	s_add_co_i32 s5, s5, 1
	s_mul_i32 s5, ttmp9, s5
	s_delay_alu instid0(VALU_DEP_1) | instskip(SKIP_4) | instid1(VALU_DEP_1)
	v_mad_u32 v1, v1, s4, v3
	s_load_b32 s4, s[2:3], 0x34
	s_add_co_i32 s6, s6, s5
	s_cmp_eq_u32 s7, 0
	s_cselect_b32 s5, ttmp9, s6
	v_lshrrev_b32_e32 v1, 5, v1
	s_delay_alu instid0(VALU_DEP_1) | instskip(SKIP_1) | instid1(VALU_DEP_1)
	v_lshl_add_u32 v1, s5, 3, v1
	s_wait_kmcnt 0x0
	v_cmp_gt_u32_e32 vcc_lo, s4, v1
	s_and_saveexec_b32 s4, vcc_lo
	s_cbranch_execz .LBB1535_6
; %bb.1:
	s_clause 0x1
	s_load_b64 s[8:9], s[2:3], 0x38
	s_load_b128 s[4:7], s[2:3], 0x40
	s_wait_kmcnt 0x0
	global_load_b32 v1, v1, s[8:9] scale_offset
	s_wait_loadcnt 0x0
	v_dual_add_nc_u32 v2, s5, v1 :: v_dual_add_nc_u32 v1, s7, v1
	s_delay_alu instid0(VALU_DEP_1) | instskip(NEXT) | instid1(VALU_DEP_2)
	v_mul_lo_u32 v8, v2, s4
	v_mul_lo_u32 v40, v1, s6
	s_delay_alu instid0(VALU_DEP_1)
	v_cmp_gt_u32_e32 vcc_lo, v40, v8
	s_and_b32 exec_lo, exec_lo, vcc_lo
	s_cbranch_execz .LBB1535_6
; %bb.2:
	s_clause 0x3
	s_load_b32 s4, s[2:3], 0x30
	s_load_b128 s[36:39], s[2:3], 0x20
	s_load_b256 s[20:27], s[2:3], 0x0
	s_load_b64 s[18:19], s[2:3], 0x50
	s_add_nc_u64 s[16:17], s[2:3], 0x58
	s_get_pc_i64 s[28:29]
	s_add_nc_u64 s[28:29], s[28:29], _ZN7rocprim17ROCPRIM_400000_NS6detail26segmented_warp_sort_helperINS1_20WarpSortHelperConfigILj32ELj4ELj256EEEblLi256ELb1EvE4sortIPKbPbPKlPlEEvT_T0_T1_T2_jjjjRNS5_12storage_typeE@rel64+4
	s_wait_kmcnt 0x0
	s_bitcmp0_b32 s4, 0
	s_mov_b32 s4, -1
	s_cbranch_scc0 .LBB1535_4
; %bb.3:
	s_mov_b64 s[2:3], src_shared_base
	v_dual_mov_b32 v31, v0 :: v_dual_mov_b32 v41, v0
	v_dual_mov_b32 v0, s20 :: v_dual_mov_b32 v1, s21
	;; [unrolled: 1-line block ×7, first 2 shown]
	v_mov_b32_e32 v13, s3
	s_mov_b64 s[6:7], s[0:1]
	s_mov_b64 s[8:9], s[16:17]
	;; [unrolled: 1-line block ×3, first 2 shown]
	s_swap_pc_i64 s[30:31], s[28:29]
	v_mov_b32_e32 v0, v41
	s_mov_b64 s[0:1], s[22:23]
	s_mov_b32 s4, 0
.LBB1535_4:
	s_delay_alu instid0(SALU_CYCLE_1)
	s_and_not1_b32 vcc_lo, exec_lo, s4
	s_cbranch_vccnz .LBB1535_6
; %bb.5:
	s_mov_b64 s[2:3], src_shared_base
	v_dual_mov_b32 v31, v0 :: v_dual_mov_b32 v0, s20
	v_dual_mov_b32 v1, s21 :: v_dual_mov_b32 v2, s24
	;; [unrolled: 1-line block ×7, first 2 shown]
	s_mov_b64 s[6:7], s[0:1]
	s_mov_b64 s[8:9], s[16:17]
	s_swap_pc_i64 s[30:31], s[28:29]
.LBB1535_6:
	s_endpgm
	.section	.rodata,"a",@progbits
	.p2align	6, 0x0
	.amdhsa_kernel _ZN7rocprim17ROCPRIM_400000_NS6detail17trampoline_kernelINS0_14default_configENS1_36segmented_radix_sort_config_selectorIblEEZNS1_25segmented_radix_sort_implIS3_Lb1EPKbPbPKlPlN2at6native12_GLOBAL__N_18offset_tEEE10hipError_tPvRmT1_PNSt15iterator_traitsISK_E10value_typeET2_T3_PNSL_ISQ_E10value_typeET4_jRbjT5_SW_jjP12ihipStream_tbEUlT_E0_NS1_11comp_targetILNS1_3genE0ELNS1_11target_archE4294967295ELNS1_3gpuE0ELNS1_3repE0EEENS1_60segmented_radix_sort_warp_sort_medium_config_static_selectorELNS0_4arch9wavefront6targetE0EEEvSK_
		.amdhsa_group_segment_fixed_size 9216
		.amdhsa_private_segment_fixed_size 12
		.amdhsa_kernarg_size 344
		.amdhsa_user_sgpr_count 4
		.amdhsa_user_sgpr_dispatch_ptr 0
		.amdhsa_user_sgpr_queue_ptr 1
		.amdhsa_user_sgpr_kernarg_segment_ptr 1
		.amdhsa_user_sgpr_dispatch_id 0
		.amdhsa_user_sgpr_kernarg_preload_length 0
		.amdhsa_user_sgpr_kernarg_preload_offset 0
		.amdhsa_user_sgpr_private_segment_size 0
		.amdhsa_wavefront_size32 1
		.amdhsa_uses_dynamic_stack 0
		.amdhsa_enable_private_segment 1
		.amdhsa_system_sgpr_workgroup_id_x 1
		.amdhsa_system_sgpr_workgroup_id_y 1
		.amdhsa_system_sgpr_workgroup_id_z 0
		.amdhsa_system_sgpr_workgroup_info 0
		.amdhsa_system_vgpr_workitem_id 2
		.amdhsa_next_free_vgpr 54
		.amdhsa_next_free_sgpr 40
		.amdhsa_named_barrier_count 0
		.amdhsa_reserve_vcc 1
		.amdhsa_float_round_mode_32 0
		.amdhsa_float_round_mode_16_64 0
		.amdhsa_float_denorm_mode_32 3
		.amdhsa_float_denorm_mode_16_64 3
		.amdhsa_fp16_overflow 0
		.amdhsa_memory_ordered 1
		.amdhsa_forward_progress 1
		.amdhsa_inst_pref_size 4
		.amdhsa_round_robin_scheduling 0
		.amdhsa_exception_fp_ieee_invalid_op 0
		.amdhsa_exception_fp_denorm_src 0
		.amdhsa_exception_fp_ieee_div_zero 0
		.amdhsa_exception_fp_ieee_overflow 0
		.amdhsa_exception_fp_ieee_underflow 0
		.amdhsa_exception_fp_ieee_inexact 0
		.amdhsa_exception_int_div_zero 0
	.end_amdhsa_kernel
	.section	.text._ZN7rocprim17ROCPRIM_400000_NS6detail17trampoline_kernelINS0_14default_configENS1_36segmented_radix_sort_config_selectorIblEEZNS1_25segmented_radix_sort_implIS3_Lb1EPKbPbPKlPlN2at6native12_GLOBAL__N_18offset_tEEE10hipError_tPvRmT1_PNSt15iterator_traitsISK_E10value_typeET2_T3_PNSL_ISQ_E10value_typeET4_jRbjT5_SW_jjP12ihipStream_tbEUlT_E0_NS1_11comp_targetILNS1_3genE0ELNS1_11target_archE4294967295ELNS1_3gpuE0ELNS1_3repE0EEENS1_60segmented_radix_sort_warp_sort_medium_config_static_selectorELNS0_4arch9wavefront6targetE0EEEvSK_,"axG",@progbits,_ZN7rocprim17ROCPRIM_400000_NS6detail17trampoline_kernelINS0_14default_configENS1_36segmented_radix_sort_config_selectorIblEEZNS1_25segmented_radix_sort_implIS3_Lb1EPKbPbPKlPlN2at6native12_GLOBAL__N_18offset_tEEE10hipError_tPvRmT1_PNSt15iterator_traitsISK_E10value_typeET2_T3_PNSL_ISQ_E10value_typeET4_jRbjT5_SW_jjP12ihipStream_tbEUlT_E0_NS1_11comp_targetILNS1_3genE0ELNS1_11target_archE4294967295ELNS1_3gpuE0ELNS1_3repE0EEENS1_60segmented_radix_sort_warp_sort_medium_config_static_selectorELNS0_4arch9wavefront6targetE0EEEvSK_,comdat
.Lfunc_end1535:
	.size	_ZN7rocprim17ROCPRIM_400000_NS6detail17trampoline_kernelINS0_14default_configENS1_36segmented_radix_sort_config_selectorIblEEZNS1_25segmented_radix_sort_implIS3_Lb1EPKbPbPKlPlN2at6native12_GLOBAL__N_18offset_tEEE10hipError_tPvRmT1_PNSt15iterator_traitsISK_E10value_typeET2_T3_PNSL_ISQ_E10value_typeET4_jRbjT5_SW_jjP12ihipStream_tbEUlT_E0_NS1_11comp_targetILNS1_3genE0ELNS1_11target_archE4294967295ELNS1_3gpuE0ELNS1_3repE0EEENS1_60segmented_radix_sort_warp_sort_medium_config_static_selectorELNS0_4arch9wavefront6targetE0EEEvSK_, .Lfunc_end1535-_ZN7rocprim17ROCPRIM_400000_NS6detail17trampoline_kernelINS0_14default_configENS1_36segmented_radix_sort_config_selectorIblEEZNS1_25segmented_radix_sort_implIS3_Lb1EPKbPbPKlPlN2at6native12_GLOBAL__N_18offset_tEEE10hipError_tPvRmT1_PNSt15iterator_traitsISK_E10value_typeET2_T3_PNSL_ISQ_E10value_typeET4_jRbjT5_SW_jjP12ihipStream_tbEUlT_E0_NS1_11comp_targetILNS1_3genE0ELNS1_11target_archE4294967295ELNS1_3gpuE0ELNS1_3repE0EEENS1_60segmented_radix_sort_warp_sort_medium_config_static_selectorELNS0_4arch9wavefront6targetE0EEEvSK_
                                        ; -- End function
	.set _ZN7rocprim17ROCPRIM_400000_NS6detail17trampoline_kernelINS0_14default_configENS1_36segmented_radix_sort_config_selectorIblEEZNS1_25segmented_radix_sort_implIS3_Lb1EPKbPbPKlPlN2at6native12_GLOBAL__N_18offset_tEEE10hipError_tPvRmT1_PNSt15iterator_traitsISK_E10value_typeET2_T3_PNSL_ISQ_E10value_typeET4_jRbjT5_SW_jjP12ihipStream_tbEUlT_E0_NS1_11comp_targetILNS1_3genE0ELNS1_11target_archE4294967295ELNS1_3gpuE0ELNS1_3repE0EEENS1_60segmented_radix_sort_warp_sort_medium_config_static_selectorELNS0_4arch9wavefront6targetE0EEEvSK_.num_vgpr, max(42, .L_ZN7rocprim17ROCPRIM_400000_NS6detail26segmented_warp_sort_helperINS1_20WarpSortHelperConfigILj32ELj4ELj256EEEblLi256ELb1EvE4sortIPKbPbPKlPlEEvT_T0_T1_T2_jjjjRNS5_12storage_typeE.num_vgpr)
	.set _ZN7rocprim17ROCPRIM_400000_NS6detail17trampoline_kernelINS0_14default_configENS1_36segmented_radix_sort_config_selectorIblEEZNS1_25segmented_radix_sort_implIS3_Lb1EPKbPbPKlPlN2at6native12_GLOBAL__N_18offset_tEEE10hipError_tPvRmT1_PNSt15iterator_traitsISK_E10value_typeET2_T3_PNSL_ISQ_E10value_typeET4_jRbjT5_SW_jjP12ihipStream_tbEUlT_E0_NS1_11comp_targetILNS1_3genE0ELNS1_11target_archE4294967295ELNS1_3gpuE0ELNS1_3repE0EEENS1_60segmented_radix_sort_warp_sort_medium_config_static_selectorELNS0_4arch9wavefront6targetE0EEEvSK_.num_agpr, max(0, .L_ZN7rocprim17ROCPRIM_400000_NS6detail26segmented_warp_sort_helperINS1_20WarpSortHelperConfigILj32ELj4ELj256EEEblLi256ELb1EvE4sortIPKbPbPKlPlEEvT_T0_T1_T2_jjjjRNS5_12storage_typeE.num_agpr)
	.set _ZN7rocprim17ROCPRIM_400000_NS6detail17trampoline_kernelINS0_14default_configENS1_36segmented_radix_sort_config_selectorIblEEZNS1_25segmented_radix_sort_implIS3_Lb1EPKbPbPKlPlN2at6native12_GLOBAL__N_18offset_tEEE10hipError_tPvRmT1_PNSt15iterator_traitsISK_E10value_typeET2_T3_PNSL_ISQ_E10value_typeET4_jRbjT5_SW_jjP12ihipStream_tbEUlT_E0_NS1_11comp_targetILNS1_3genE0ELNS1_11target_archE4294967295ELNS1_3gpuE0ELNS1_3repE0EEENS1_60segmented_radix_sort_warp_sort_medium_config_static_selectorELNS0_4arch9wavefront6targetE0EEEvSK_.numbered_sgpr, max(40, .L_ZN7rocprim17ROCPRIM_400000_NS6detail26segmented_warp_sort_helperINS1_20WarpSortHelperConfigILj32ELj4ELj256EEEblLi256ELb1EvE4sortIPKbPbPKlPlEEvT_T0_T1_T2_jjjjRNS5_12storage_typeE.numbered_sgpr)
	.set _ZN7rocprim17ROCPRIM_400000_NS6detail17trampoline_kernelINS0_14default_configENS1_36segmented_radix_sort_config_selectorIblEEZNS1_25segmented_radix_sort_implIS3_Lb1EPKbPbPKlPlN2at6native12_GLOBAL__N_18offset_tEEE10hipError_tPvRmT1_PNSt15iterator_traitsISK_E10value_typeET2_T3_PNSL_ISQ_E10value_typeET4_jRbjT5_SW_jjP12ihipStream_tbEUlT_E0_NS1_11comp_targetILNS1_3genE0ELNS1_11target_archE4294967295ELNS1_3gpuE0ELNS1_3repE0EEENS1_60segmented_radix_sort_warp_sort_medium_config_static_selectorELNS0_4arch9wavefront6targetE0EEEvSK_.num_named_barrier, max(0, .L_ZN7rocprim17ROCPRIM_400000_NS6detail26segmented_warp_sort_helperINS1_20WarpSortHelperConfigILj32ELj4ELj256EEEblLi256ELb1EvE4sortIPKbPbPKlPlEEvT_T0_T1_T2_jjjjRNS5_12storage_typeE.num_named_barrier)
	.set _ZN7rocprim17ROCPRIM_400000_NS6detail17trampoline_kernelINS0_14default_configENS1_36segmented_radix_sort_config_selectorIblEEZNS1_25segmented_radix_sort_implIS3_Lb1EPKbPbPKlPlN2at6native12_GLOBAL__N_18offset_tEEE10hipError_tPvRmT1_PNSt15iterator_traitsISK_E10value_typeET2_T3_PNSL_ISQ_E10value_typeET4_jRbjT5_SW_jjP12ihipStream_tbEUlT_E0_NS1_11comp_targetILNS1_3genE0ELNS1_11target_archE4294967295ELNS1_3gpuE0ELNS1_3repE0EEENS1_60segmented_radix_sort_warp_sort_medium_config_static_selectorELNS0_4arch9wavefront6targetE0EEEvSK_.private_seg_size, 0+max(.L_ZN7rocprim17ROCPRIM_400000_NS6detail26segmented_warp_sort_helperINS1_20WarpSortHelperConfigILj32ELj4ELj256EEEblLi256ELb1EvE4sortIPKbPbPKlPlEEvT_T0_T1_T2_jjjjRNS5_12storage_typeE.private_seg_size)
	.set _ZN7rocprim17ROCPRIM_400000_NS6detail17trampoline_kernelINS0_14default_configENS1_36segmented_radix_sort_config_selectorIblEEZNS1_25segmented_radix_sort_implIS3_Lb1EPKbPbPKlPlN2at6native12_GLOBAL__N_18offset_tEEE10hipError_tPvRmT1_PNSt15iterator_traitsISK_E10value_typeET2_T3_PNSL_ISQ_E10value_typeET4_jRbjT5_SW_jjP12ihipStream_tbEUlT_E0_NS1_11comp_targetILNS1_3genE0ELNS1_11target_archE4294967295ELNS1_3gpuE0ELNS1_3repE0EEENS1_60segmented_radix_sort_warp_sort_medium_config_static_selectorELNS0_4arch9wavefront6targetE0EEEvSK_.uses_vcc, or(1, .L_ZN7rocprim17ROCPRIM_400000_NS6detail26segmented_warp_sort_helperINS1_20WarpSortHelperConfigILj32ELj4ELj256EEEblLi256ELb1EvE4sortIPKbPbPKlPlEEvT_T0_T1_T2_jjjjRNS5_12storage_typeE.uses_vcc)
	.set _ZN7rocprim17ROCPRIM_400000_NS6detail17trampoline_kernelINS0_14default_configENS1_36segmented_radix_sort_config_selectorIblEEZNS1_25segmented_radix_sort_implIS3_Lb1EPKbPbPKlPlN2at6native12_GLOBAL__N_18offset_tEEE10hipError_tPvRmT1_PNSt15iterator_traitsISK_E10value_typeET2_T3_PNSL_ISQ_E10value_typeET4_jRbjT5_SW_jjP12ihipStream_tbEUlT_E0_NS1_11comp_targetILNS1_3genE0ELNS1_11target_archE4294967295ELNS1_3gpuE0ELNS1_3repE0EEENS1_60segmented_radix_sort_warp_sort_medium_config_static_selectorELNS0_4arch9wavefront6targetE0EEEvSK_.uses_flat_scratch, or(0, .L_ZN7rocprim17ROCPRIM_400000_NS6detail26segmented_warp_sort_helperINS1_20WarpSortHelperConfigILj32ELj4ELj256EEEblLi256ELb1EvE4sortIPKbPbPKlPlEEvT_T0_T1_T2_jjjjRNS5_12storage_typeE.uses_flat_scratch)
	.set _ZN7rocprim17ROCPRIM_400000_NS6detail17trampoline_kernelINS0_14default_configENS1_36segmented_radix_sort_config_selectorIblEEZNS1_25segmented_radix_sort_implIS3_Lb1EPKbPbPKlPlN2at6native12_GLOBAL__N_18offset_tEEE10hipError_tPvRmT1_PNSt15iterator_traitsISK_E10value_typeET2_T3_PNSL_ISQ_E10value_typeET4_jRbjT5_SW_jjP12ihipStream_tbEUlT_E0_NS1_11comp_targetILNS1_3genE0ELNS1_11target_archE4294967295ELNS1_3gpuE0ELNS1_3repE0EEENS1_60segmented_radix_sort_warp_sort_medium_config_static_selectorELNS0_4arch9wavefront6targetE0EEEvSK_.has_dyn_sized_stack, or(0, .L_ZN7rocprim17ROCPRIM_400000_NS6detail26segmented_warp_sort_helperINS1_20WarpSortHelperConfigILj32ELj4ELj256EEEblLi256ELb1EvE4sortIPKbPbPKlPlEEvT_T0_T1_T2_jjjjRNS5_12storage_typeE.has_dyn_sized_stack)
	.set _ZN7rocprim17ROCPRIM_400000_NS6detail17trampoline_kernelINS0_14default_configENS1_36segmented_radix_sort_config_selectorIblEEZNS1_25segmented_radix_sort_implIS3_Lb1EPKbPbPKlPlN2at6native12_GLOBAL__N_18offset_tEEE10hipError_tPvRmT1_PNSt15iterator_traitsISK_E10value_typeET2_T3_PNSL_ISQ_E10value_typeET4_jRbjT5_SW_jjP12ihipStream_tbEUlT_E0_NS1_11comp_targetILNS1_3genE0ELNS1_11target_archE4294967295ELNS1_3gpuE0ELNS1_3repE0EEENS1_60segmented_radix_sort_warp_sort_medium_config_static_selectorELNS0_4arch9wavefront6targetE0EEEvSK_.has_recursion, or(0, .L_ZN7rocprim17ROCPRIM_400000_NS6detail26segmented_warp_sort_helperINS1_20WarpSortHelperConfigILj32ELj4ELj256EEEblLi256ELb1EvE4sortIPKbPbPKlPlEEvT_T0_T1_T2_jjjjRNS5_12storage_typeE.has_recursion)
	.set _ZN7rocprim17ROCPRIM_400000_NS6detail17trampoline_kernelINS0_14default_configENS1_36segmented_radix_sort_config_selectorIblEEZNS1_25segmented_radix_sort_implIS3_Lb1EPKbPbPKlPlN2at6native12_GLOBAL__N_18offset_tEEE10hipError_tPvRmT1_PNSt15iterator_traitsISK_E10value_typeET2_T3_PNSL_ISQ_E10value_typeET4_jRbjT5_SW_jjP12ihipStream_tbEUlT_E0_NS1_11comp_targetILNS1_3genE0ELNS1_11target_archE4294967295ELNS1_3gpuE0ELNS1_3repE0EEENS1_60segmented_radix_sort_warp_sort_medium_config_static_selectorELNS0_4arch9wavefront6targetE0EEEvSK_.has_indirect_call, or(0, .L_ZN7rocprim17ROCPRIM_400000_NS6detail26segmented_warp_sort_helperINS1_20WarpSortHelperConfigILj32ELj4ELj256EEEblLi256ELb1EvE4sortIPKbPbPKlPlEEvT_T0_T1_T2_jjjjRNS5_12storage_typeE.has_indirect_call)
	.section	.AMDGPU.csdata,"",@progbits
; Kernel info:
; codeLenInByte = 504
; TotalNumSgprs: 42
; NumVgprs: 54
; ScratchSize: 12
; MemoryBound: 0
; FloatMode: 240
; IeeeMode: 1
; LDSByteSize: 9216 bytes/workgroup (compile time only)
; SGPRBlocks: 0
; VGPRBlocks: 3
; NumSGPRsForWavesPerEU: 42
; NumVGPRsForWavesPerEU: 54
; NamedBarCnt: 0
; Occupancy: 16
; WaveLimiterHint : 0
; COMPUTE_PGM_RSRC2:SCRATCH_EN: 1
; COMPUTE_PGM_RSRC2:USER_SGPR: 4
; COMPUTE_PGM_RSRC2:TRAP_HANDLER: 0
; COMPUTE_PGM_RSRC2:TGID_X_EN: 1
; COMPUTE_PGM_RSRC2:TGID_Y_EN: 1
; COMPUTE_PGM_RSRC2:TGID_Z_EN: 0
; COMPUTE_PGM_RSRC2:TIDIG_COMP_CNT: 2
	.section	.text._ZN7rocprim17ROCPRIM_400000_NS6detail17trampoline_kernelINS0_14default_configENS1_36segmented_radix_sort_config_selectorIblEEZNS1_25segmented_radix_sort_implIS3_Lb1EPKbPbPKlPlN2at6native12_GLOBAL__N_18offset_tEEE10hipError_tPvRmT1_PNSt15iterator_traitsISK_E10value_typeET2_T3_PNSL_ISQ_E10value_typeET4_jRbjT5_SW_jjP12ihipStream_tbEUlT_E0_NS1_11comp_targetILNS1_3genE5ELNS1_11target_archE942ELNS1_3gpuE9ELNS1_3repE0EEENS1_60segmented_radix_sort_warp_sort_medium_config_static_selectorELNS0_4arch9wavefront6targetE0EEEvSK_,"axG",@progbits,_ZN7rocprim17ROCPRIM_400000_NS6detail17trampoline_kernelINS0_14default_configENS1_36segmented_radix_sort_config_selectorIblEEZNS1_25segmented_radix_sort_implIS3_Lb1EPKbPbPKlPlN2at6native12_GLOBAL__N_18offset_tEEE10hipError_tPvRmT1_PNSt15iterator_traitsISK_E10value_typeET2_T3_PNSL_ISQ_E10value_typeET4_jRbjT5_SW_jjP12ihipStream_tbEUlT_E0_NS1_11comp_targetILNS1_3genE5ELNS1_11target_archE942ELNS1_3gpuE9ELNS1_3repE0EEENS1_60segmented_radix_sort_warp_sort_medium_config_static_selectorELNS0_4arch9wavefront6targetE0EEEvSK_,comdat
	.globl	_ZN7rocprim17ROCPRIM_400000_NS6detail17trampoline_kernelINS0_14default_configENS1_36segmented_radix_sort_config_selectorIblEEZNS1_25segmented_radix_sort_implIS3_Lb1EPKbPbPKlPlN2at6native12_GLOBAL__N_18offset_tEEE10hipError_tPvRmT1_PNSt15iterator_traitsISK_E10value_typeET2_T3_PNSL_ISQ_E10value_typeET4_jRbjT5_SW_jjP12ihipStream_tbEUlT_E0_NS1_11comp_targetILNS1_3genE5ELNS1_11target_archE942ELNS1_3gpuE9ELNS1_3repE0EEENS1_60segmented_radix_sort_warp_sort_medium_config_static_selectorELNS0_4arch9wavefront6targetE0EEEvSK_ ; -- Begin function _ZN7rocprim17ROCPRIM_400000_NS6detail17trampoline_kernelINS0_14default_configENS1_36segmented_radix_sort_config_selectorIblEEZNS1_25segmented_radix_sort_implIS3_Lb1EPKbPbPKlPlN2at6native12_GLOBAL__N_18offset_tEEE10hipError_tPvRmT1_PNSt15iterator_traitsISK_E10value_typeET2_T3_PNSL_ISQ_E10value_typeET4_jRbjT5_SW_jjP12ihipStream_tbEUlT_E0_NS1_11comp_targetILNS1_3genE5ELNS1_11target_archE942ELNS1_3gpuE9ELNS1_3repE0EEENS1_60segmented_radix_sort_warp_sort_medium_config_static_selectorELNS0_4arch9wavefront6targetE0EEEvSK_
	.p2align	8
	.type	_ZN7rocprim17ROCPRIM_400000_NS6detail17trampoline_kernelINS0_14default_configENS1_36segmented_radix_sort_config_selectorIblEEZNS1_25segmented_radix_sort_implIS3_Lb1EPKbPbPKlPlN2at6native12_GLOBAL__N_18offset_tEEE10hipError_tPvRmT1_PNSt15iterator_traitsISK_E10value_typeET2_T3_PNSL_ISQ_E10value_typeET4_jRbjT5_SW_jjP12ihipStream_tbEUlT_E0_NS1_11comp_targetILNS1_3genE5ELNS1_11target_archE942ELNS1_3gpuE9ELNS1_3repE0EEENS1_60segmented_radix_sort_warp_sort_medium_config_static_selectorELNS0_4arch9wavefront6targetE0EEEvSK_,@function
_ZN7rocprim17ROCPRIM_400000_NS6detail17trampoline_kernelINS0_14default_configENS1_36segmented_radix_sort_config_selectorIblEEZNS1_25segmented_radix_sort_implIS3_Lb1EPKbPbPKlPlN2at6native12_GLOBAL__N_18offset_tEEE10hipError_tPvRmT1_PNSt15iterator_traitsISK_E10value_typeET2_T3_PNSL_ISQ_E10value_typeET4_jRbjT5_SW_jjP12ihipStream_tbEUlT_E0_NS1_11comp_targetILNS1_3genE5ELNS1_11target_archE942ELNS1_3gpuE9ELNS1_3repE0EEENS1_60segmented_radix_sort_warp_sort_medium_config_static_selectorELNS0_4arch9wavefront6targetE0EEEvSK_: ; @_ZN7rocprim17ROCPRIM_400000_NS6detail17trampoline_kernelINS0_14default_configENS1_36segmented_radix_sort_config_selectorIblEEZNS1_25segmented_radix_sort_implIS3_Lb1EPKbPbPKlPlN2at6native12_GLOBAL__N_18offset_tEEE10hipError_tPvRmT1_PNSt15iterator_traitsISK_E10value_typeET2_T3_PNSL_ISQ_E10value_typeET4_jRbjT5_SW_jjP12ihipStream_tbEUlT_E0_NS1_11comp_targetILNS1_3genE5ELNS1_11target_archE942ELNS1_3gpuE9ELNS1_3repE0EEENS1_60segmented_radix_sort_warp_sort_medium_config_static_selectorELNS0_4arch9wavefront6targetE0EEEvSK_
; %bb.0:
	.section	.rodata,"a",@progbits
	.p2align	6, 0x0
	.amdhsa_kernel _ZN7rocprim17ROCPRIM_400000_NS6detail17trampoline_kernelINS0_14default_configENS1_36segmented_radix_sort_config_selectorIblEEZNS1_25segmented_radix_sort_implIS3_Lb1EPKbPbPKlPlN2at6native12_GLOBAL__N_18offset_tEEE10hipError_tPvRmT1_PNSt15iterator_traitsISK_E10value_typeET2_T3_PNSL_ISQ_E10value_typeET4_jRbjT5_SW_jjP12ihipStream_tbEUlT_E0_NS1_11comp_targetILNS1_3genE5ELNS1_11target_archE942ELNS1_3gpuE9ELNS1_3repE0EEENS1_60segmented_radix_sort_warp_sort_medium_config_static_selectorELNS0_4arch9wavefront6targetE0EEEvSK_
		.amdhsa_group_segment_fixed_size 0
		.amdhsa_private_segment_fixed_size 0
		.amdhsa_kernarg_size 88
		.amdhsa_user_sgpr_count 2
		.amdhsa_user_sgpr_dispatch_ptr 0
		.amdhsa_user_sgpr_queue_ptr 0
		.amdhsa_user_sgpr_kernarg_segment_ptr 1
		.amdhsa_user_sgpr_dispatch_id 0
		.amdhsa_user_sgpr_kernarg_preload_length 0
		.amdhsa_user_sgpr_kernarg_preload_offset 0
		.amdhsa_user_sgpr_private_segment_size 0
		.amdhsa_wavefront_size32 1
		.amdhsa_uses_dynamic_stack 0
		.amdhsa_enable_private_segment 0
		.amdhsa_system_sgpr_workgroup_id_x 1
		.amdhsa_system_sgpr_workgroup_id_y 0
		.amdhsa_system_sgpr_workgroup_id_z 0
		.amdhsa_system_sgpr_workgroup_info 0
		.amdhsa_system_vgpr_workitem_id 0
		.amdhsa_next_free_vgpr 1
		.amdhsa_next_free_sgpr 1
		.amdhsa_named_barrier_count 0
		.amdhsa_reserve_vcc 0
		.amdhsa_float_round_mode_32 0
		.amdhsa_float_round_mode_16_64 0
		.amdhsa_float_denorm_mode_32 3
		.amdhsa_float_denorm_mode_16_64 3
		.amdhsa_fp16_overflow 0
		.amdhsa_memory_ordered 1
		.amdhsa_forward_progress 1
		.amdhsa_inst_pref_size 0
		.amdhsa_round_robin_scheduling 0
		.amdhsa_exception_fp_ieee_invalid_op 0
		.amdhsa_exception_fp_denorm_src 0
		.amdhsa_exception_fp_ieee_div_zero 0
		.amdhsa_exception_fp_ieee_overflow 0
		.amdhsa_exception_fp_ieee_underflow 0
		.amdhsa_exception_fp_ieee_inexact 0
		.amdhsa_exception_int_div_zero 0
	.end_amdhsa_kernel
	.section	.text._ZN7rocprim17ROCPRIM_400000_NS6detail17trampoline_kernelINS0_14default_configENS1_36segmented_radix_sort_config_selectorIblEEZNS1_25segmented_radix_sort_implIS3_Lb1EPKbPbPKlPlN2at6native12_GLOBAL__N_18offset_tEEE10hipError_tPvRmT1_PNSt15iterator_traitsISK_E10value_typeET2_T3_PNSL_ISQ_E10value_typeET4_jRbjT5_SW_jjP12ihipStream_tbEUlT_E0_NS1_11comp_targetILNS1_3genE5ELNS1_11target_archE942ELNS1_3gpuE9ELNS1_3repE0EEENS1_60segmented_radix_sort_warp_sort_medium_config_static_selectorELNS0_4arch9wavefront6targetE0EEEvSK_,"axG",@progbits,_ZN7rocprim17ROCPRIM_400000_NS6detail17trampoline_kernelINS0_14default_configENS1_36segmented_radix_sort_config_selectorIblEEZNS1_25segmented_radix_sort_implIS3_Lb1EPKbPbPKlPlN2at6native12_GLOBAL__N_18offset_tEEE10hipError_tPvRmT1_PNSt15iterator_traitsISK_E10value_typeET2_T3_PNSL_ISQ_E10value_typeET4_jRbjT5_SW_jjP12ihipStream_tbEUlT_E0_NS1_11comp_targetILNS1_3genE5ELNS1_11target_archE942ELNS1_3gpuE9ELNS1_3repE0EEENS1_60segmented_radix_sort_warp_sort_medium_config_static_selectorELNS0_4arch9wavefront6targetE0EEEvSK_,comdat
.Lfunc_end1536:
	.size	_ZN7rocprim17ROCPRIM_400000_NS6detail17trampoline_kernelINS0_14default_configENS1_36segmented_radix_sort_config_selectorIblEEZNS1_25segmented_radix_sort_implIS3_Lb1EPKbPbPKlPlN2at6native12_GLOBAL__N_18offset_tEEE10hipError_tPvRmT1_PNSt15iterator_traitsISK_E10value_typeET2_T3_PNSL_ISQ_E10value_typeET4_jRbjT5_SW_jjP12ihipStream_tbEUlT_E0_NS1_11comp_targetILNS1_3genE5ELNS1_11target_archE942ELNS1_3gpuE9ELNS1_3repE0EEENS1_60segmented_radix_sort_warp_sort_medium_config_static_selectorELNS0_4arch9wavefront6targetE0EEEvSK_, .Lfunc_end1536-_ZN7rocprim17ROCPRIM_400000_NS6detail17trampoline_kernelINS0_14default_configENS1_36segmented_radix_sort_config_selectorIblEEZNS1_25segmented_radix_sort_implIS3_Lb1EPKbPbPKlPlN2at6native12_GLOBAL__N_18offset_tEEE10hipError_tPvRmT1_PNSt15iterator_traitsISK_E10value_typeET2_T3_PNSL_ISQ_E10value_typeET4_jRbjT5_SW_jjP12ihipStream_tbEUlT_E0_NS1_11comp_targetILNS1_3genE5ELNS1_11target_archE942ELNS1_3gpuE9ELNS1_3repE0EEENS1_60segmented_radix_sort_warp_sort_medium_config_static_selectorELNS0_4arch9wavefront6targetE0EEEvSK_
                                        ; -- End function
	.set _ZN7rocprim17ROCPRIM_400000_NS6detail17trampoline_kernelINS0_14default_configENS1_36segmented_radix_sort_config_selectorIblEEZNS1_25segmented_radix_sort_implIS3_Lb1EPKbPbPKlPlN2at6native12_GLOBAL__N_18offset_tEEE10hipError_tPvRmT1_PNSt15iterator_traitsISK_E10value_typeET2_T3_PNSL_ISQ_E10value_typeET4_jRbjT5_SW_jjP12ihipStream_tbEUlT_E0_NS1_11comp_targetILNS1_3genE5ELNS1_11target_archE942ELNS1_3gpuE9ELNS1_3repE0EEENS1_60segmented_radix_sort_warp_sort_medium_config_static_selectorELNS0_4arch9wavefront6targetE0EEEvSK_.num_vgpr, 0
	.set _ZN7rocprim17ROCPRIM_400000_NS6detail17trampoline_kernelINS0_14default_configENS1_36segmented_radix_sort_config_selectorIblEEZNS1_25segmented_radix_sort_implIS3_Lb1EPKbPbPKlPlN2at6native12_GLOBAL__N_18offset_tEEE10hipError_tPvRmT1_PNSt15iterator_traitsISK_E10value_typeET2_T3_PNSL_ISQ_E10value_typeET4_jRbjT5_SW_jjP12ihipStream_tbEUlT_E0_NS1_11comp_targetILNS1_3genE5ELNS1_11target_archE942ELNS1_3gpuE9ELNS1_3repE0EEENS1_60segmented_radix_sort_warp_sort_medium_config_static_selectorELNS0_4arch9wavefront6targetE0EEEvSK_.num_agpr, 0
	.set _ZN7rocprim17ROCPRIM_400000_NS6detail17trampoline_kernelINS0_14default_configENS1_36segmented_radix_sort_config_selectorIblEEZNS1_25segmented_radix_sort_implIS3_Lb1EPKbPbPKlPlN2at6native12_GLOBAL__N_18offset_tEEE10hipError_tPvRmT1_PNSt15iterator_traitsISK_E10value_typeET2_T3_PNSL_ISQ_E10value_typeET4_jRbjT5_SW_jjP12ihipStream_tbEUlT_E0_NS1_11comp_targetILNS1_3genE5ELNS1_11target_archE942ELNS1_3gpuE9ELNS1_3repE0EEENS1_60segmented_radix_sort_warp_sort_medium_config_static_selectorELNS0_4arch9wavefront6targetE0EEEvSK_.numbered_sgpr, 0
	.set _ZN7rocprim17ROCPRIM_400000_NS6detail17trampoline_kernelINS0_14default_configENS1_36segmented_radix_sort_config_selectorIblEEZNS1_25segmented_radix_sort_implIS3_Lb1EPKbPbPKlPlN2at6native12_GLOBAL__N_18offset_tEEE10hipError_tPvRmT1_PNSt15iterator_traitsISK_E10value_typeET2_T3_PNSL_ISQ_E10value_typeET4_jRbjT5_SW_jjP12ihipStream_tbEUlT_E0_NS1_11comp_targetILNS1_3genE5ELNS1_11target_archE942ELNS1_3gpuE9ELNS1_3repE0EEENS1_60segmented_radix_sort_warp_sort_medium_config_static_selectorELNS0_4arch9wavefront6targetE0EEEvSK_.num_named_barrier, 0
	.set _ZN7rocprim17ROCPRIM_400000_NS6detail17trampoline_kernelINS0_14default_configENS1_36segmented_radix_sort_config_selectorIblEEZNS1_25segmented_radix_sort_implIS3_Lb1EPKbPbPKlPlN2at6native12_GLOBAL__N_18offset_tEEE10hipError_tPvRmT1_PNSt15iterator_traitsISK_E10value_typeET2_T3_PNSL_ISQ_E10value_typeET4_jRbjT5_SW_jjP12ihipStream_tbEUlT_E0_NS1_11comp_targetILNS1_3genE5ELNS1_11target_archE942ELNS1_3gpuE9ELNS1_3repE0EEENS1_60segmented_radix_sort_warp_sort_medium_config_static_selectorELNS0_4arch9wavefront6targetE0EEEvSK_.private_seg_size, 0
	.set _ZN7rocprim17ROCPRIM_400000_NS6detail17trampoline_kernelINS0_14default_configENS1_36segmented_radix_sort_config_selectorIblEEZNS1_25segmented_radix_sort_implIS3_Lb1EPKbPbPKlPlN2at6native12_GLOBAL__N_18offset_tEEE10hipError_tPvRmT1_PNSt15iterator_traitsISK_E10value_typeET2_T3_PNSL_ISQ_E10value_typeET4_jRbjT5_SW_jjP12ihipStream_tbEUlT_E0_NS1_11comp_targetILNS1_3genE5ELNS1_11target_archE942ELNS1_3gpuE9ELNS1_3repE0EEENS1_60segmented_radix_sort_warp_sort_medium_config_static_selectorELNS0_4arch9wavefront6targetE0EEEvSK_.uses_vcc, 0
	.set _ZN7rocprim17ROCPRIM_400000_NS6detail17trampoline_kernelINS0_14default_configENS1_36segmented_radix_sort_config_selectorIblEEZNS1_25segmented_radix_sort_implIS3_Lb1EPKbPbPKlPlN2at6native12_GLOBAL__N_18offset_tEEE10hipError_tPvRmT1_PNSt15iterator_traitsISK_E10value_typeET2_T3_PNSL_ISQ_E10value_typeET4_jRbjT5_SW_jjP12ihipStream_tbEUlT_E0_NS1_11comp_targetILNS1_3genE5ELNS1_11target_archE942ELNS1_3gpuE9ELNS1_3repE0EEENS1_60segmented_radix_sort_warp_sort_medium_config_static_selectorELNS0_4arch9wavefront6targetE0EEEvSK_.uses_flat_scratch, 0
	.set _ZN7rocprim17ROCPRIM_400000_NS6detail17trampoline_kernelINS0_14default_configENS1_36segmented_radix_sort_config_selectorIblEEZNS1_25segmented_radix_sort_implIS3_Lb1EPKbPbPKlPlN2at6native12_GLOBAL__N_18offset_tEEE10hipError_tPvRmT1_PNSt15iterator_traitsISK_E10value_typeET2_T3_PNSL_ISQ_E10value_typeET4_jRbjT5_SW_jjP12ihipStream_tbEUlT_E0_NS1_11comp_targetILNS1_3genE5ELNS1_11target_archE942ELNS1_3gpuE9ELNS1_3repE0EEENS1_60segmented_radix_sort_warp_sort_medium_config_static_selectorELNS0_4arch9wavefront6targetE0EEEvSK_.has_dyn_sized_stack, 0
	.set _ZN7rocprim17ROCPRIM_400000_NS6detail17trampoline_kernelINS0_14default_configENS1_36segmented_radix_sort_config_selectorIblEEZNS1_25segmented_radix_sort_implIS3_Lb1EPKbPbPKlPlN2at6native12_GLOBAL__N_18offset_tEEE10hipError_tPvRmT1_PNSt15iterator_traitsISK_E10value_typeET2_T3_PNSL_ISQ_E10value_typeET4_jRbjT5_SW_jjP12ihipStream_tbEUlT_E0_NS1_11comp_targetILNS1_3genE5ELNS1_11target_archE942ELNS1_3gpuE9ELNS1_3repE0EEENS1_60segmented_radix_sort_warp_sort_medium_config_static_selectorELNS0_4arch9wavefront6targetE0EEEvSK_.has_recursion, 0
	.set _ZN7rocprim17ROCPRIM_400000_NS6detail17trampoline_kernelINS0_14default_configENS1_36segmented_radix_sort_config_selectorIblEEZNS1_25segmented_radix_sort_implIS3_Lb1EPKbPbPKlPlN2at6native12_GLOBAL__N_18offset_tEEE10hipError_tPvRmT1_PNSt15iterator_traitsISK_E10value_typeET2_T3_PNSL_ISQ_E10value_typeET4_jRbjT5_SW_jjP12ihipStream_tbEUlT_E0_NS1_11comp_targetILNS1_3genE5ELNS1_11target_archE942ELNS1_3gpuE9ELNS1_3repE0EEENS1_60segmented_radix_sort_warp_sort_medium_config_static_selectorELNS0_4arch9wavefront6targetE0EEEvSK_.has_indirect_call, 0
	.section	.AMDGPU.csdata,"",@progbits
; Kernel info:
; codeLenInByte = 0
; TotalNumSgprs: 0
; NumVgprs: 0
; ScratchSize: 0
; MemoryBound: 0
; FloatMode: 240
; IeeeMode: 1
; LDSByteSize: 0 bytes/workgroup (compile time only)
; SGPRBlocks: 0
; VGPRBlocks: 0
; NumSGPRsForWavesPerEU: 1
; NumVGPRsForWavesPerEU: 1
; NamedBarCnt: 0
; Occupancy: 16
; WaveLimiterHint : 0
; COMPUTE_PGM_RSRC2:SCRATCH_EN: 0
; COMPUTE_PGM_RSRC2:USER_SGPR: 2
; COMPUTE_PGM_RSRC2:TRAP_HANDLER: 0
; COMPUTE_PGM_RSRC2:TGID_X_EN: 1
; COMPUTE_PGM_RSRC2:TGID_Y_EN: 0
; COMPUTE_PGM_RSRC2:TGID_Z_EN: 0
; COMPUTE_PGM_RSRC2:TIDIG_COMP_CNT: 0
	.section	.text._ZN7rocprim17ROCPRIM_400000_NS6detail17trampoline_kernelINS0_14default_configENS1_36segmented_radix_sort_config_selectorIblEEZNS1_25segmented_radix_sort_implIS3_Lb1EPKbPbPKlPlN2at6native12_GLOBAL__N_18offset_tEEE10hipError_tPvRmT1_PNSt15iterator_traitsISK_E10value_typeET2_T3_PNSL_ISQ_E10value_typeET4_jRbjT5_SW_jjP12ihipStream_tbEUlT_E0_NS1_11comp_targetILNS1_3genE4ELNS1_11target_archE910ELNS1_3gpuE8ELNS1_3repE0EEENS1_60segmented_radix_sort_warp_sort_medium_config_static_selectorELNS0_4arch9wavefront6targetE0EEEvSK_,"axG",@progbits,_ZN7rocprim17ROCPRIM_400000_NS6detail17trampoline_kernelINS0_14default_configENS1_36segmented_radix_sort_config_selectorIblEEZNS1_25segmented_radix_sort_implIS3_Lb1EPKbPbPKlPlN2at6native12_GLOBAL__N_18offset_tEEE10hipError_tPvRmT1_PNSt15iterator_traitsISK_E10value_typeET2_T3_PNSL_ISQ_E10value_typeET4_jRbjT5_SW_jjP12ihipStream_tbEUlT_E0_NS1_11comp_targetILNS1_3genE4ELNS1_11target_archE910ELNS1_3gpuE8ELNS1_3repE0EEENS1_60segmented_radix_sort_warp_sort_medium_config_static_selectorELNS0_4arch9wavefront6targetE0EEEvSK_,comdat
	.globl	_ZN7rocprim17ROCPRIM_400000_NS6detail17trampoline_kernelINS0_14default_configENS1_36segmented_radix_sort_config_selectorIblEEZNS1_25segmented_radix_sort_implIS3_Lb1EPKbPbPKlPlN2at6native12_GLOBAL__N_18offset_tEEE10hipError_tPvRmT1_PNSt15iterator_traitsISK_E10value_typeET2_T3_PNSL_ISQ_E10value_typeET4_jRbjT5_SW_jjP12ihipStream_tbEUlT_E0_NS1_11comp_targetILNS1_3genE4ELNS1_11target_archE910ELNS1_3gpuE8ELNS1_3repE0EEENS1_60segmented_radix_sort_warp_sort_medium_config_static_selectorELNS0_4arch9wavefront6targetE0EEEvSK_ ; -- Begin function _ZN7rocprim17ROCPRIM_400000_NS6detail17trampoline_kernelINS0_14default_configENS1_36segmented_radix_sort_config_selectorIblEEZNS1_25segmented_radix_sort_implIS3_Lb1EPKbPbPKlPlN2at6native12_GLOBAL__N_18offset_tEEE10hipError_tPvRmT1_PNSt15iterator_traitsISK_E10value_typeET2_T3_PNSL_ISQ_E10value_typeET4_jRbjT5_SW_jjP12ihipStream_tbEUlT_E0_NS1_11comp_targetILNS1_3genE4ELNS1_11target_archE910ELNS1_3gpuE8ELNS1_3repE0EEENS1_60segmented_radix_sort_warp_sort_medium_config_static_selectorELNS0_4arch9wavefront6targetE0EEEvSK_
	.p2align	8
	.type	_ZN7rocprim17ROCPRIM_400000_NS6detail17trampoline_kernelINS0_14default_configENS1_36segmented_radix_sort_config_selectorIblEEZNS1_25segmented_radix_sort_implIS3_Lb1EPKbPbPKlPlN2at6native12_GLOBAL__N_18offset_tEEE10hipError_tPvRmT1_PNSt15iterator_traitsISK_E10value_typeET2_T3_PNSL_ISQ_E10value_typeET4_jRbjT5_SW_jjP12ihipStream_tbEUlT_E0_NS1_11comp_targetILNS1_3genE4ELNS1_11target_archE910ELNS1_3gpuE8ELNS1_3repE0EEENS1_60segmented_radix_sort_warp_sort_medium_config_static_selectorELNS0_4arch9wavefront6targetE0EEEvSK_,@function
_ZN7rocprim17ROCPRIM_400000_NS6detail17trampoline_kernelINS0_14default_configENS1_36segmented_radix_sort_config_selectorIblEEZNS1_25segmented_radix_sort_implIS3_Lb1EPKbPbPKlPlN2at6native12_GLOBAL__N_18offset_tEEE10hipError_tPvRmT1_PNSt15iterator_traitsISK_E10value_typeET2_T3_PNSL_ISQ_E10value_typeET4_jRbjT5_SW_jjP12ihipStream_tbEUlT_E0_NS1_11comp_targetILNS1_3genE4ELNS1_11target_archE910ELNS1_3gpuE8ELNS1_3repE0EEENS1_60segmented_radix_sort_warp_sort_medium_config_static_selectorELNS0_4arch9wavefront6targetE0EEEvSK_: ; @_ZN7rocprim17ROCPRIM_400000_NS6detail17trampoline_kernelINS0_14default_configENS1_36segmented_radix_sort_config_selectorIblEEZNS1_25segmented_radix_sort_implIS3_Lb1EPKbPbPKlPlN2at6native12_GLOBAL__N_18offset_tEEE10hipError_tPvRmT1_PNSt15iterator_traitsISK_E10value_typeET2_T3_PNSL_ISQ_E10value_typeET4_jRbjT5_SW_jjP12ihipStream_tbEUlT_E0_NS1_11comp_targetILNS1_3genE4ELNS1_11target_archE910ELNS1_3gpuE8ELNS1_3repE0EEENS1_60segmented_radix_sort_warp_sort_medium_config_static_selectorELNS0_4arch9wavefront6targetE0EEEvSK_
; %bb.0:
	.section	.rodata,"a",@progbits
	.p2align	6, 0x0
	.amdhsa_kernel _ZN7rocprim17ROCPRIM_400000_NS6detail17trampoline_kernelINS0_14default_configENS1_36segmented_radix_sort_config_selectorIblEEZNS1_25segmented_radix_sort_implIS3_Lb1EPKbPbPKlPlN2at6native12_GLOBAL__N_18offset_tEEE10hipError_tPvRmT1_PNSt15iterator_traitsISK_E10value_typeET2_T3_PNSL_ISQ_E10value_typeET4_jRbjT5_SW_jjP12ihipStream_tbEUlT_E0_NS1_11comp_targetILNS1_3genE4ELNS1_11target_archE910ELNS1_3gpuE8ELNS1_3repE0EEENS1_60segmented_radix_sort_warp_sort_medium_config_static_selectorELNS0_4arch9wavefront6targetE0EEEvSK_
		.amdhsa_group_segment_fixed_size 0
		.amdhsa_private_segment_fixed_size 0
		.amdhsa_kernarg_size 88
		.amdhsa_user_sgpr_count 2
		.amdhsa_user_sgpr_dispatch_ptr 0
		.amdhsa_user_sgpr_queue_ptr 0
		.amdhsa_user_sgpr_kernarg_segment_ptr 1
		.amdhsa_user_sgpr_dispatch_id 0
		.amdhsa_user_sgpr_kernarg_preload_length 0
		.amdhsa_user_sgpr_kernarg_preload_offset 0
		.amdhsa_user_sgpr_private_segment_size 0
		.amdhsa_wavefront_size32 1
		.amdhsa_uses_dynamic_stack 0
		.amdhsa_enable_private_segment 0
		.amdhsa_system_sgpr_workgroup_id_x 1
		.amdhsa_system_sgpr_workgroup_id_y 0
		.amdhsa_system_sgpr_workgroup_id_z 0
		.amdhsa_system_sgpr_workgroup_info 0
		.amdhsa_system_vgpr_workitem_id 0
		.amdhsa_next_free_vgpr 1
		.amdhsa_next_free_sgpr 1
		.amdhsa_named_barrier_count 0
		.amdhsa_reserve_vcc 0
		.amdhsa_float_round_mode_32 0
		.amdhsa_float_round_mode_16_64 0
		.amdhsa_float_denorm_mode_32 3
		.amdhsa_float_denorm_mode_16_64 3
		.amdhsa_fp16_overflow 0
		.amdhsa_memory_ordered 1
		.amdhsa_forward_progress 1
		.amdhsa_inst_pref_size 0
		.amdhsa_round_robin_scheduling 0
		.amdhsa_exception_fp_ieee_invalid_op 0
		.amdhsa_exception_fp_denorm_src 0
		.amdhsa_exception_fp_ieee_div_zero 0
		.amdhsa_exception_fp_ieee_overflow 0
		.amdhsa_exception_fp_ieee_underflow 0
		.amdhsa_exception_fp_ieee_inexact 0
		.amdhsa_exception_int_div_zero 0
	.end_amdhsa_kernel
	.section	.text._ZN7rocprim17ROCPRIM_400000_NS6detail17trampoline_kernelINS0_14default_configENS1_36segmented_radix_sort_config_selectorIblEEZNS1_25segmented_radix_sort_implIS3_Lb1EPKbPbPKlPlN2at6native12_GLOBAL__N_18offset_tEEE10hipError_tPvRmT1_PNSt15iterator_traitsISK_E10value_typeET2_T3_PNSL_ISQ_E10value_typeET4_jRbjT5_SW_jjP12ihipStream_tbEUlT_E0_NS1_11comp_targetILNS1_3genE4ELNS1_11target_archE910ELNS1_3gpuE8ELNS1_3repE0EEENS1_60segmented_radix_sort_warp_sort_medium_config_static_selectorELNS0_4arch9wavefront6targetE0EEEvSK_,"axG",@progbits,_ZN7rocprim17ROCPRIM_400000_NS6detail17trampoline_kernelINS0_14default_configENS1_36segmented_radix_sort_config_selectorIblEEZNS1_25segmented_radix_sort_implIS3_Lb1EPKbPbPKlPlN2at6native12_GLOBAL__N_18offset_tEEE10hipError_tPvRmT1_PNSt15iterator_traitsISK_E10value_typeET2_T3_PNSL_ISQ_E10value_typeET4_jRbjT5_SW_jjP12ihipStream_tbEUlT_E0_NS1_11comp_targetILNS1_3genE4ELNS1_11target_archE910ELNS1_3gpuE8ELNS1_3repE0EEENS1_60segmented_radix_sort_warp_sort_medium_config_static_selectorELNS0_4arch9wavefront6targetE0EEEvSK_,comdat
.Lfunc_end1537:
	.size	_ZN7rocprim17ROCPRIM_400000_NS6detail17trampoline_kernelINS0_14default_configENS1_36segmented_radix_sort_config_selectorIblEEZNS1_25segmented_radix_sort_implIS3_Lb1EPKbPbPKlPlN2at6native12_GLOBAL__N_18offset_tEEE10hipError_tPvRmT1_PNSt15iterator_traitsISK_E10value_typeET2_T3_PNSL_ISQ_E10value_typeET4_jRbjT5_SW_jjP12ihipStream_tbEUlT_E0_NS1_11comp_targetILNS1_3genE4ELNS1_11target_archE910ELNS1_3gpuE8ELNS1_3repE0EEENS1_60segmented_radix_sort_warp_sort_medium_config_static_selectorELNS0_4arch9wavefront6targetE0EEEvSK_, .Lfunc_end1537-_ZN7rocprim17ROCPRIM_400000_NS6detail17trampoline_kernelINS0_14default_configENS1_36segmented_radix_sort_config_selectorIblEEZNS1_25segmented_radix_sort_implIS3_Lb1EPKbPbPKlPlN2at6native12_GLOBAL__N_18offset_tEEE10hipError_tPvRmT1_PNSt15iterator_traitsISK_E10value_typeET2_T3_PNSL_ISQ_E10value_typeET4_jRbjT5_SW_jjP12ihipStream_tbEUlT_E0_NS1_11comp_targetILNS1_3genE4ELNS1_11target_archE910ELNS1_3gpuE8ELNS1_3repE0EEENS1_60segmented_radix_sort_warp_sort_medium_config_static_selectorELNS0_4arch9wavefront6targetE0EEEvSK_
                                        ; -- End function
	.set _ZN7rocprim17ROCPRIM_400000_NS6detail17trampoline_kernelINS0_14default_configENS1_36segmented_radix_sort_config_selectorIblEEZNS1_25segmented_radix_sort_implIS3_Lb1EPKbPbPKlPlN2at6native12_GLOBAL__N_18offset_tEEE10hipError_tPvRmT1_PNSt15iterator_traitsISK_E10value_typeET2_T3_PNSL_ISQ_E10value_typeET4_jRbjT5_SW_jjP12ihipStream_tbEUlT_E0_NS1_11comp_targetILNS1_3genE4ELNS1_11target_archE910ELNS1_3gpuE8ELNS1_3repE0EEENS1_60segmented_radix_sort_warp_sort_medium_config_static_selectorELNS0_4arch9wavefront6targetE0EEEvSK_.num_vgpr, 0
	.set _ZN7rocprim17ROCPRIM_400000_NS6detail17trampoline_kernelINS0_14default_configENS1_36segmented_radix_sort_config_selectorIblEEZNS1_25segmented_radix_sort_implIS3_Lb1EPKbPbPKlPlN2at6native12_GLOBAL__N_18offset_tEEE10hipError_tPvRmT1_PNSt15iterator_traitsISK_E10value_typeET2_T3_PNSL_ISQ_E10value_typeET4_jRbjT5_SW_jjP12ihipStream_tbEUlT_E0_NS1_11comp_targetILNS1_3genE4ELNS1_11target_archE910ELNS1_3gpuE8ELNS1_3repE0EEENS1_60segmented_radix_sort_warp_sort_medium_config_static_selectorELNS0_4arch9wavefront6targetE0EEEvSK_.num_agpr, 0
	.set _ZN7rocprim17ROCPRIM_400000_NS6detail17trampoline_kernelINS0_14default_configENS1_36segmented_radix_sort_config_selectorIblEEZNS1_25segmented_radix_sort_implIS3_Lb1EPKbPbPKlPlN2at6native12_GLOBAL__N_18offset_tEEE10hipError_tPvRmT1_PNSt15iterator_traitsISK_E10value_typeET2_T3_PNSL_ISQ_E10value_typeET4_jRbjT5_SW_jjP12ihipStream_tbEUlT_E0_NS1_11comp_targetILNS1_3genE4ELNS1_11target_archE910ELNS1_3gpuE8ELNS1_3repE0EEENS1_60segmented_radix_sort_warp_sort_medium_config_static_selectorELNS0_4arch9wavefront6targetE0EEEvSK_.numbered_sgpr, 0
	.set _ZN7rocprim17ROCPRIM_400000_NS6detail17trampoline_kernelINS0_14default_configENS1_36segmented_radix_sort_config_selectorIblEEZNS1_25segmented_radix_sort_implIS3_Lb1EPKbPbPKlPlN2at6native12_GLOBAL__N_18offset_tEEE10hipError_tPvRmT1_PNSt15iterator_traitsISK_E10value_typeET2_T3_PNSL_ISQ_E10value_typeET4_jRbjT5_SW_jjP12ihipStream_tbEUlT_E0_NS1_11comp_targetILNS1_3genE4ELNS1_11target_archE910ELNS1_3gpuE8ELNS1_3repE0EEENS1_60segmented_radix_sort_warp_sort_medium_config_static_selectorELNS0_4arch9wavefront6targetE0EEEvSK_.num_named_barrier, 0
	.set _ZN7rocprim17ROCPRIM_400000_NS6detail17trampoline_kernelINS0_14default_configENS1_36segmented_radix_sort_config_selectorIblEEZNS1_25segmented_radix_sort_implIS3_Lb1EPKbPbPKlPlN2at6native12_GLOBAL__N_18offset_tEEE10hipError_tPvRmT1_PNSt15iterator_traitsISK_E10value_typeET2_T3_PNSL_ISQ_E10value_typeET4_jRbjT5_SW_jjP12ihipStream_tbEUlT_E0_NS1_11comp_targetILNS1_3genE4ELNS1_11target_archE910ELNS1_3gpuE8ELNS1_3repE0EEENS1_60segmented_radix_sort_warp_sort_medium_config_static_selectorELNS0_4arch9wavefront6targetE0EEEvSK_.private_seg_size, 0
	.set _ZN7rocprim17ROCPRIM_400000_NS6detail17trampoline_kernelINS0_14default_configENS1_36segmented_radix_sort_config_selectorIblEEZNS1_25segmented_radix_sort_implIS3_Lb1EPKbPbPKlPlN2at6native12_GLOBAL__N_18offset_tEEE10hipError_tPvRmT1_PNSt15iterator_traitsISK_E10value_typeET2_T3_PNSL_ISQ_E10value_typeET4_jRbjT5_SW_jjP12ihipStream_tbEUlT_E0_NS1_11comp_targetILNS1_3genE4ELNS1_11target_archE910ELNS1_3gpuE8ELNS1_3repE0EEENS1_60segmented_radix_sort_warp_sort_medium_config_static_selectorELNS0_4arch9wavefront6targetE0EEEvSK_.uses_vcc, 0
	.set _ZN7rocprim17ROCPRIM_400000_NS6detail17trampoline_kernelINS0_14default_configENS1_36segmented_radix_sort_config_selectorIblEEZNS1_25segmented_radix_sort_implIS3_Lb1EPKbPbPKlPlN2at6native12_GLOBAL__N_18offset_tEEE10hipError_tPvRmT1_PNSt15iterator_traitsISK_E10value_typeET2_T3_PNSL_ISQ_E10value_typeET4_jRbjT5_SW_jjP12ihipStream_tbEUlT_E0_NS1_11comp_targetILNS1_3genE4ELNS1_11target_archE910ELNS1_3gpuE8ELNS1_3repE0EEENS1_60segmented_radix_sort_warp_sort_medium_config_static_selectorELNS0_4arch9wavefront6targetE0EEEvSK_.uses_flat_scratch, 0
	.set _ZN7rocprim17ROCPRIM_400000_NS6detail17trampoline_kernelINS0_14default_configENS1_36segmented_radix_sort_config_selectorIblEEZNS1_25segmented_radix_sort_implIS3_Lb1EPKbPbPKlPlN2at6native12_GLOBAL__N_18offset_tEEE10hipError_tPvRmT1_PNSt15iterator_traitsISK_E10value_typeET2_T3_PNSL_ISQ_E10value_typeET4_jRbjT5_SW_jjP12ihipStream_tbEUlT_E0_NS1_11comp_targetILNS1_3genE4ELNS1_11target_archE910ELNS1_3gpuE8ELNS1_3repE0EEENS1_60segmented_radix_sort_warp_sort_medium_config_static_selectorELNS0_4arch9wavefront6targetE0EEEvSK_.has_dyn_sized_stack, 0
	.set _ZN7rocprim17ROCPRIM_400000_NS6detail17trampoline_kernelINS0_14default_configENS1_36segmented_radix_sort_config_selectorIblEEZNS1_25segmented_radix_sort_implIS3_Lb1EPKbPbPKlPlN2at6native12_GLOBAL__N_18offset_tEEE10hipError_tPvRmT1_PNSt15iterator_traitsISK_E10value_typeET2_T3_PNSL_ISQ_E10value_typeET4_jRbjT5_SW_jjP12ihipStream_tbEUlT_E0_NS1_11comp_targetILNS1_3genE4ELNS1_11target_archE910ELNS1_3gpuE8ELNS1_3repE0EEENS1_60segmented_radix_sort_warp_sort_medium_config_static_selectorELNS0_4arch9wavefront6targetE0EEEvSK_.has_recursion, 0
	.set _ZN7rocprim17ROCPRIM_400000_NS6detail17trampoline_kernelINS0_14default_configENS1_36segmented_radix_sort_config_selectorIblEEZNS1_25segmented_radix_sort_implIS3_Lb1EPKbPbPKlPlN2at6native12_GLOBAL__N_18offset_tEEE10hipError_tPvRmT1_PNSt15iterator_traitsISK_E10value_typeET2_T3_PNSL_ISQ_E10value_typeET4_jRbjT5_SW_jjP12ihipStream_tbEUlT_E0_NS1_11comp_targetILNS1_3genE4ELNS1_11target_archE910ELNS1_3gpuE8ELNS1_3repE0EEENS1_60segmented_radix_sort_warp_sort_medium_config_static_selectorELNS0_4arch9wavefront6targetE0EEEvSK_.has_indirect_call, 0
	.section	.AMDGPU.csdata,"",@progbits
; Kernel info:
; codeLenInByte = 0
; TotalNumSgprs: 0
; NumVgprs: 0
; ScratchSize: 0
; MemoryBound: 0
; FloatMode: 240
; IeeeMode: 1
; LDSByteSize: 0 bytes/workgroup (compile time only)
; SGPRBlocks: 0
; VGPRBlocks: 0
; NumSGPRsForWavesPerEU: 1
; NumVGPRsForWavesPerEU: 1
; NamedBarCnt: 0
; Occupancy: 16
; WaveLimiterHint : 0
; COMPUTE_PGM_RSRC2:SCRATCH_EN: 0
; COMPUTE_PGM_RSRC2:USER_SGPR: 2
; COMPUTE_PGM_RSRC2:TRAP_HANDLER: 0
; COMPUTE_PGM_RSRC2:TGID_X_EN: 1
; COMPUTE_PGM_RSRC2:TGID_Y_EN: 0
; COMPUTE_PGM_RSRC2:TGID_Z_EN: 0
; COMPUTE_PGM_RSRC2:TIDIG_COMP_CNT: 0
	.section	.text._ZN7rocprim17ROCPRIM_400000_NS6detail17trampoline_kernelINS0_14default_configENS1_36segmented_radix_sort_config_selectorIblEEZNS1_25segmented_radix_sort_implIS3_Lb1EPKbPbPKlPlN2at6native12_GLOBAL__N_18offset_tEEE10hipError_tPvRmT1_PNSt15iterator_traitsISK_E10value_typeET2_T3_PNSL_ISQ_E10value_typeET4_jRbjT5_SW_jjP12ihipStream_tbEUlT_E0_NS1_11comp_targetILNS1_3genE3ELNS1_11target_archE908ELNS1_3gpuE7ELNS1_3repE0EEENS1_60segmented_radix_sort_warp_sort_medium_config_static_selectorELNS0_4arch9wavefront6targetE0EEEvSK_,"axG",@progbits,_ZN7rocprim17ROCPRIM_400000_NS6detail17trampoline_kernelINS0_14default_configENS1_36segmented_radix_sort_config_selectorIblEEZNS1_25segmented_radix_sort_implIS3_Lb1EPKbPbPKlPlN2at6native12_GLOBAL__N_18offset_tEEE10hipError_tPvRmT1_PNSt15iterator_traitsISK_E10value_typeET2_T3_PNSL_ISQ_E10value_typeET4_jRbjT5_SW_jjP12ihipStream_tbEUlT_E0_NS1_11comp_targetILNS1_3genE3ELNS1_11target_archE908ELNS1_3gpuE7ELNS1_3repE0EEENS1_60segmented_radix_sort_warp_sort_medium_config_static_selectorELNS0_4arch9wavefront6targetE0EEEvSK_,comdat
	.globl	_ZN7rocprim17ROCPRIM_400000_NS6detail17trampoline_kernelINS0_14default_configENS1_36segmented_radix_sort_config_selectorIblEEZNS1_25segmented_radix_sort_implIS3_Lb1EPKbPbPKlPlN2at6native12_GLOBAL__N_18offset_tEEE10hipError_tPvRmT1_PNSt15iterator_traitsISK_E10value_typeET2_T3_PNSL_ISQ_E10value_typeET4_jRbjT5_SW_jjP12ihipStream_tbEUlT_E0_NS1_11comp_targetILNS1_3genE3ELNS1_11target_archE908ELNS1_3gpuE7ELNS1_3repE0EEENS1_60segmented_radix_sort_warp_sort_medium_config_static_selectorELNS0_4arch9wavefront6targetE0EEEvSK_ ; -- Begin function _ZN7rocprim17ROCPRIM_400000_NS6detail17trampoline_kernelINS0_14default_configENS1_36segmented_radix_sort_config_selectorIblEEZNS1_25segmented_radix_sort_implIS3_Lb1EPKbPbPKlPlN2at6native12_GLOBAL__N_18offset_tEEE10hipError_tPvRmT1_PNSt15iterator_traitsISK_E10value_typeET2_T3_PNSL_ISQ_E10value_typeET4_jRbjT5_SW_jjP12ihipStream_tbEUlT_E0_NS1_11comp_targetILNS1_3genE3ELNS1_11target_archE908ELNS1_3gpuE7ELNS1_3repE0EEENS1_60segmented_radix_sort_warp_sort_medium_config_static_selectorELNS0_4arch9wavefront6targetE0EEEvSK_
	.p2align	8
	.type	_ZN7rocprim17ROCPRIM_400000_NS6detail17trampoline_kernelINS0_14default_configENS1_36segmented_radix_sort_config_selectorIblEEZNS1_25segmented_radix_sort_implIS3_Lb1EPKbPbPKlPlN2at6native12_GLOBAL__N_18offset_tEEE10hipError_tPvRmT1_PNSt15iterator_traitsISK_E10value_typeET2_T3_PNSL_ISQ_E10value_typeET4_jRbjT5_SW_jjP12ihipStream_tbEUlT_E0_NS1_11comp_targetILNS1_3genE3ELNS1_11target_archE908ELNS1_3gpuE7ELNS1_3repE0EEENS1_60segmented_radix_sort_warp_sort_medium_config_static_selectorELNS0_4arch9wavefront6targetE0EEEvSK_,@function
_ZN7rocprim17ROCPRIM_400000_NS6detail17trampoline_kernelINS0_14default_configENS1_36segmented_radix_sort_config_selectorIblEEZNS1_25segmented_radix_sort_implIS3_Lb1EPKbPbPKlPlN2at6native12_GLOBAL__N_18offset_tEEE10hipError_tPvRmT1_PNSt15iterator_traitsISK_E10value_typeET2_T3_PNSL_ISQ_E10value_typeET4_jRbjT5_SW_jjP12ihipStream_tbEUlT_E0_NS1_11comp_targetILNS1_3genE3ELNS1_11target_archE908ELNS1_3gpuE7ELNS1_3repE0EEENS1_60segmented_radix_sort_warp_sort_medium_config_static_selectorELNS0_4arch9wavefront6targetE0EEEvSK_: ; @_ZN7rocprim17ROCPRIM_400000_NS6detail17trampoline_kernelINS0_14default_configENS1_36segmented_radix_sort_config_selectorIblEEZNS1_25segmented_radix_sort_implIS3_Lb1EPKbPbPKlPlN2at6native12_GLOBAL__N_18offset_tEEE10hipError_tPvRmT1_PNSt15iterator_traitsISK_E10value_typeET2_T3_PNSL_ISQ_E10value_typeET4_jRbjT5_SW_jjP12ihipStream_tbEUlT_E0_NS1_11comp_targetILNS1_3genE3ELNS1_11target_archE908ELNS1_3gpuE7ELNS1_3repE0EEENS1_60segmented_radix_sort_warp_sort_medium_config_static_selectorELNS0_4arch9wavefront6targetE0EEEvSK_
; %bb.0:
	.section	.rodata,"a",@progbits
	.p2align	6, 0x0
	.amdhsa_kernel _ZN7rocprim17ROCPRIM_400000_NS6detail17trampoline_kernelINS0_14default_configENS1_36segmented_radix_sort_config_selectorIblEEZNS1_25segmented_radix_sort_implIS3_Lb1EPKbPbPKlPlN2at6native12_GLOBAL__N_18offset_tEEE10hipError_tPvRmT1_PNSt15iterator_traitsISK_E10value_typeET2_T3_PNSL_ISQ_E10value_typeET4_jRbjT5_SW_jjP12ihipStream_tbEUlT_E0_NS1_11comp_targetILNS1_3genE3ELNS1_11target_archE908ELNS1_3gpuE7ELNS1_3repE0EEENS1_60segmented_radix_sort_warp_sort_medium_config_static_selectorELNS0_4arch9wavefront6targetE0EEEvSK_
		.amdhsa_group_segment_fixed_size 0
		.amdhsa_private_segment_fixed_size 0
		.amdhsa_kernarg_size 88
		.amdhsa_user_sgpr_count 2
		.amdhsa_user_sgpr_dispatch_ptr 0
		.amdhsa_user_sgpr_queue_ptr 0
		.amdhsa_user_sgpr_kernarg_segment_ptr 1
		.amdhsa_user_sgpr_dispatch_id 0
		.amdhsa_user_sgpr_kernarg_preload_length 0
		.amdhsa_user_sgpr_kernarg_preload_offset 0
		.amdhsa_user_sgpr_private_segment_size 0
		.amdhsa_wavefront_size32 1
		.amdhsa_uses_dynamic_stack 0
		.amdhsa_enable_private_segment 0
		.amdhsa_system_sgpr_workgroup_id_x 1
		.amdhsa_system_sgpr_workgroup_id_y 0
		.amdhsa_system_sgpr_workgroup_id_z 0
		.amdhsa_system_sgpr_workgroup_info 0
		.amdhsa_system_vgpr_workitem_id 0
		.amdhsa_next_free_vgpr 1
		.amdhsa_next_free_sgpr 1
		.amdhsa_named_barrier_count 0
		.amdhsa_reserve_vcc 0
		.amdhsa_float_round_mode_32 0
		.amdhsa_float_round_mode_16_64 0
		.amdhsa_float_denorm_mode_32 3
		.amdhsa_float_denorm_mode_16_64 3
		.amdhsa_fp16_overflow 0
		.amdhsa_memory_ordered 1
		.amdhsa_forward_progress 1
		.amdhsa_inst_pref_size 0
		.amdhsa_round_robin_scheduling 0
		.amdhsa_exception_fp_ieee_invalid_op 0
		.amdhsa_exception_fp_denorm_src 0
		.amdhsa_exception_fp_ieee_div_zero 0
		.amdhsa_exception_fp_ieee_overflow 0
		.amdhsa_exception_fp_ieee_underflow 0
		.amdhsa_exception_fp_ieee_inexact 0
		.amdhsa_exception_int_div_zero 0
	.end_amdhsa_kernel
	.section	.text._ZN7rocprim17ROCPRIM_400000_NS6detail17trampoline_kernelINS0_14default_configENS1_36segmented_radix_sort_config_selectorIblEEZNS1_25segmented_radix_sort_implIS3_Lb1EPKbPbPKlPlN2at6native12_GLOBAL__N_18offset_tEEE10hipError_tPvRmT1_PNSt15iterator_traitsISK_E10value_typeET2_T3_PNSL_ISQ_E10value_typeET4_jRbjT5_SW_jjP12ihipStream_tbEUlT_E0_NS1_11comp_targetILNS1_3genE3ELNS1_11target_archE908ELNS1_3gpuE7ELNS1_3repE0EEENS1_60segmented_radix_sort_warp_sort_medium_config_static_selectorELNS0_4arch9wavefront6targetE0EEEvSK_,"axG",@progbits,_ZN7rocprim17ROCPRIM_400000_NS6detail17trampoline_kernelINS0_14default_configENS1_36segmented_radix_sort_config_selectorIblEEZNS1_25segmented_radix_sort_implIS3_Lb1EPKbPbPKlPlN2at6native12_GLOBAL__N_18offset_tEEE10hipError_tPvRmT1_PNSt15iterator_traitsISK_E10value_typeET2_T3_PNSL_ISQ_E10value_typeET4_jRbjT5_SW_jjP12ihipStream_tbEUlT_E0_NS1_11comp_targetILNS1_3genE3ELNS1_11target_archE908ELNS1_3gpuE7ELNS1_3repE0EEENS1_60segmented_radix_sort_warp_sort_medium_config_static_selectorELNS0_4arch9wavefront6targetE0EEEvSK_,comdat
.Lfunc_end1538:
	.size	_ZN7rocprim17ROCPRIM_400000_NS6detail17trampoline_kernelINS0_14default_configENS1_36segmented_radix_sort_config_selectorIblEEZNS1_25segmented_radix_sort_implIS3_Lb1EPKbPbPKlPlN2at6native12_GLOBAL__N_18offset_tEEE10hipError_tPvRmT1_PNSt15iterator_traitsISK_E10value_typeET2_T3_PNSL_ISQ_E10value_typeET4_jRbjT5_SW_jjP12ihipStream_tbEUlT_E0_NS1_11comp_targetILNS1_3genE3ELNS1_11target_archE908ELNS1_3gpuE7ELNS1_3repE0EEENS1_60segmented_radix_sort_warp_sort_medium_config_static_selectorELNS0_4arch9wavefront6targetE0EEEvSK_, .Lfunc_end1538-_ZN7rocprim17ROCPRIM_400000_NS6detail17trampoline_kernelINS0_14default_configENS1_36segmented_radix_sort_config_selectorIblEEZNS1_25segmented_radix_sort_implIS3_Lb1EPKbPbPKlPlN2at6native12_GLOBAL__N_18offset_tEEE10hipError_tPvRmT1_PNSt15iterator_traitsISK_E10value_typeET2_T3_PNSL_ISQ_E10value_typeET4_jRbjT5_SW_jjP12ihipStream_tbEUlT_E0_NS1_11comp_targetILNS1_3genE3ELNS1_11target_archE908ELNS1_3gpuE7ELNS1_3repE0EEENS1_60segmented_radix_sort_warp_sort_medium_config_static_selectorELNS0_4arch9wavefront6targetE0EEEvSK_
                                        ; -- End function
	.set _ZN7rocprim17ROCPRIM_400000_NS6detail17trampoline_kernelINS0_14default_configENS1_36segmented_radix_sort_config_selectorIblEEZNS1_25segmented_radix_sort_implIS3_Lb1EPKbPbPKlPlN2at6native12_GLOBAL__N_18offset_tEEE10hipError_tPvRmT1_PNSt15iterator_traitsISK_E10value_typeET2_T3_PNSL_ISQ_E10value_typeET4_jRbjT5_SW_jjP12ihipStream_tbEUlT_E0_NS1_11comp_targetILNS1_3genE3ELNS1_11target_archE908ELNS1_3gpuE7ELNS1_3repE0EEENS1_60segmented_radix_sort_warp_sort_medium_config_static_selectorELNS0_4arch9wavefront6targetE0EEEvSK_.num_vgpr, 0
	.set _ZN7rocprim17ROCPRIM_400000_NS6detail17trampoline_kernelINS0_14default_configENS1_36segmented_radix_sort_config_selectorIblEEZNS1_25segmented_radix_sort_implIS3_Lb1EPKbPbPKlPlN2at6native12_GLOBAL__N_18offset_tEEE10hipError_tPvRmT1_PNSt15iterator_traitsISK_E10value_typeET2_T3_PNSL_ISQ_E10value_typeET4_jRbjT5_SW_jjP12ihipStream_tbEUlT_E0_NS1_11comp_targetILNS1_3genE3ELNS1_11target_archE908ELNS1_3gpuE7ELNS1_3repE0EEENS1_60segmented_radix_sort_warp_sort_medium_config_static_selectorELNS0_4arch9wavefront6targetE0EEEvSK_.num_agpr, 0
	.set _ZN7rocprim17ROCPRIM_400000_NS6detail17trampoline_kernelINS0_14default_configENS1_36segmented_radix_sort_config_selectorIblEEZNS1_25segmented_radix_sort_implIS3_Lb1EPKbPbPKlPlN2at6native12_GLOBAL__N_18offset_tEEE10hipError_tPvRmT1_PNSt15iterator_traitsISK_E10value_typeET2_T3_PNSL_ISQ_E10value_typeET4_jRbjT5_SW_jjP12ihipStream_tbEUlT_E0_NS1_11comp_targetILNS1_3genE3ELNS1_11target_archE908ELNS1_3gpuE7ELNS1_3repE0EEENS1_60segmented_radix_sort_warp_sort_medium_config_static_selectorELNS0_4arch9wavefront6targetE0EEEvSK_.numbered_sgpr, 0
	.set _ZN7rocprim17ROCPRIM_400000_NS6detail17trampoline_kernelINS0_14default_configENS1_36segmented_radix_sort_config_selectorIblEEZNS1_25segmented_radix_sort_implIS3_Lb1EPKbPbPKlPlN2at6native12_GLOBAL__N_18offset_tEEE10hipError_tPvRmT1_PNSt15iterator_traitsISK_E10value_typeET2_T3_PNSL_ISQ_E10value_typeET4_jRbjT5_SW_jjP12ihipStream_tbEUlT_E0_NS1_11comp_targetILNS1_3genE3ELNS1_11target_archE908ELNS1_3gpuE7ELNS1_3repE0EEENS1_60segmented_radix_sort_warp_sort_medium_config_static_selectorELNS0_4arch9wavefront6targetE0EEEvSK_.num_named_barrier, 0
	.set _ZN7rocprim17ROCPRIM_400000_NS6detail17trampoline_kernelINS0_14default_configENS1_36segmented_radix_sort_config_selectorIblEEZNS1_25segmented_radix_sort_implIS3_Lb1EPKbPbPKlPlN2at6native12_GLOBAL__N_18offset_tEEE10hipError_tPvRmT1_PNSt15iterator_traitsISK_E10value_typeET2_T3_PNSL_ISQ_E10value_typeET4_jRbjT5_SW_jjP12ihipStream_tbEUlT_E0_NS1_11comp_targetILNS1_3genE3ELNS1_11target_archE908ELNS1_3gpuE7ELNS1_3repE0EEENS1_60segmented_radix_sort_warp_sort_medium_config_static_selectorELNS0_4arch9wavefront6targetE0EEEvSK_.private_seg_size, 0
	.set _ZN7rocprim17ROCPRIM_400000_NS6detail17trampoline_kernelINS0_14default_configENS1_36segmented_radix_sort_config_selectorIblEEZNS1_25segmented_radix_sort_implIS3_Lb1EPKbPbPKlPlN2at6native12_GLOBAL__N_18offset_tEEE10hipError_tPvRmT1_PNSt15iterator_traitsISK_E10value_typeET2_T3_PNSL_ISQ_E10value_typeET4_jRbjT5_SW_jjP12ihipStream_tbEUlT_E0_NS1_11comp_targetILNS1_3genE3ELNS1_11target_archE908ELNS1_3gpuE7ELNS1_3repE0EEENS1_60segmented_radix_sort_warp_sort_medium_config_static_selectorELNS0_4arch9wavefront6targetE0EEEvSK_.uses_vcc, 0
	.set _ZN7rocprim17ROCPRIM_400000_NS6detail17trampoline_kernelINS0_14default_configENS1_36segmented_radix_sort_config_selectorIblEEZNS1_25segmented_radix_sort_implIS3_Lb1EPKbPbPKlPlN2at6native12_GLOBAL__N_18offset_tEEE10hipError_tPvRmT1_PNSt15iterator_traitsISK_E10value_typeET2_T3_PNSL_ISQ_E10value_typeET4_jRbjT5_SW_jjP12ihipStream_tbEUlT_E0_NS1_11comp_targetILNS1_3genE3ELNS1_11target_archE908ELNS1_3gpuE7ELNS1_3repE0EEENS1_60segmented_radix_sort_warp_sort_medium_config_static_selectorELNS0_4arch9wavefront6targetE0EEEvSK_.uses_flat_scratch, 0
	.set _ZN7rocprim17ROCPRIM_400000_NS6detail17trampoline_kernelINS0_14default_configENS1_36segmented_radix_sort_config_selectorIblEEZNS1_25segmented_radix_sort_implIS3_Lb1EPKbPbPKlPlN2at6native12_GLOBAL__N_18offset_tEEE10hipError_tPvRmT1_PNSt15iterator_traitsISK_E10value_typeET2_T3_PNSL_ISQ_E10value_typeET4_jRbjT5_SW_jjP12ihipStream_tbEUlT_E0_NS1_11comp_targetILNS1_3genE3ELNS1_11target_archE908ELNS1_3gpuE7ELNS1_3repE0EEENS1_60segmented_radix_sort_warp_sort_medium_config_static_selectorELNS0_4arch9wavefront6targetE0EEEvSK_.has_dyn_sized_stack, 0
	.set _ZN7rocprim17ROCPRIM_400000_NS6detail17trampoline_kernelINS0_14default_configENS1_36segmented_radix_sort_config_selectorIblEEZNS1_25segmented_radix_sort_implIS3_Lb1EPKbPbPKlPlN2at6native12_GLOBAL__N_18offset_tEEE10hipError_tPvRmT1_PNSt15iterator_traitsISK_E10value_typeET2_T3_PNSL_ISQ_E10value_typeET4_jRbjT5_SW_jjP12ihipStream_tbEUlT_E0_NS1_11comp_targetILNS1_3genE3ELNS1_11target_archE908ELNS1_3gpuE7ELNS1_3repE0EEENS1_60segmented_radix_sort_warp_sort_medium_config_static_selectorELNS0_4arch9wavefront6targetE0EEEvSK_.has_recursion, 0
	.set _ZN7rocprim17ROCPRIM_400000_NS6detail17trampoline_kernelINS0_14default_configENS1_36segmented_radix_sort_config_selectorIblEEZNS1_25segmented_radix_sort_implIS3_Lb1EPKbPbPKlPlN2at6native12_GLOBAL__N_18offset_tEEE10hipError_tPvRmT1_PNSt15iterator_traitsISK_E10value_typeET2_T3_PNSL_ISQ_E10value_typeET4_jRbjT5_SW_jjP12ihipStream_tbEUlT_E0_NS1_11comp_targetILNS1_3genE3ELNS1_11target_archE908ELNS1_3gpuE7ELNS1_3repE0EEENS1_60segmented_radix_sort_warp_sort_medium_config_static_selectorELNS0_4arch9wavefront6targetE0EEEvSK_.has_indirect_call, 0
	.section	.AMDGPU.csdata,"",@progbits
; Kernel info:
; codeLenInByte = 0
; TotalNumSgprs: 0
; NumVgprs: 0
; ScratchSize: 0
; MemoryBound: 0
; FloatMode: 240
; IeeeMode: 1
; LDSByteSize: 0 bytes/workgroup (compile time only)
; SGPRBlocks: 0
; VGPRBlocks: 0
; NumSGPRsForWavesPerEU: 1
; NumVGPRsForWavesPerEU: 1
; NamedBarCnt: 0
; Occupancy: 16
; WaveLimiterHint : 0
; COMPUTE_PGM_RSRC2:SCRATCH_EN: 0
; COMPUTE_PGM_RSRC2:USER_SGPR: 2
; COMPUTE_PGM_RSRC2:TRAP_HANDLER: 0
; COMPUTE_PGM_RSRC2:TGID_X_EN: 1
; COMPUTE_PGM_RSRC2:TGID_Y_EN: 0
; COMPUTE_PGM_RSRC2:TGID_Z_EN: 0
; COMPUTE_PGM_RSRC2:TIDIG_COMP_CNT: 0
	.section	.text._ZN7rocprim17ROCPRIM_400000_NS6detail17trampoline_kernelINS0_14default_configENS1_36segmented_radix_sort_config_selectorIblEEZNS1_25segmented_radix_sort_implIS3_Lb1EPKbPbPKlPlN2at6native12_GLOBAL__N_18offset_tEEE10hipError_tPvRmT1_PNSt15iterator_traitsISK_E10value_typeET2_T3_PNSL_ISQ_E10value_typeET4_jRbjT5_SW_jjP12ihipStream_tbEUlT_E0_NS1_11comp_targetILNS1_3genE2ELNS1_11target_archE906ELNS1_3gpuE6ELNS1_3repE0EEENS1_60segmented_radix_sort_warp_sort_medium_config_static_selectorELNS0_4arch9wavefront6targetE0EEEvSK_,"axG",@progbits,_ZN7rocprim17ROCPRIM_400000_NS6detail17trampoline_kernelINS0_14default_configENS1_36segmented_radix_sort_config_selectorIblEEZNS1_25segmented_radix_sort_implIS3_Lb1EPKbPbPKlPlN2at6native12_GLOBAL__N_18offset_tEEE10hipError_tPvRmT1_PNSt15iterator_traitsISK_E10value_typeET2_T3_PNSL_ISQ_E10value_typeET4_jRbjT5_SW_jjP12ihipStream_tbEUlT_E0_NS1_11comp_targetILNS1_3genE2ELNS1_11target_archE906ELNS1_3gpuE6ELNS1_3repE0EEENS1_60segmented_radix_sort_warp_sort_medium_config_static_selectorELNS0_4arch9wavefront6targetE0EEEvSK_,comdat
	.globl	_ZN7rocprim17ROCPRIM_400000_NS6detail17trampoline_kernelINS0_14default_configENS1_36segmented_radix_sort_config_selectorIblEEZNS1_25segmented_radix_sort_implIS3_Lb1EPKbPbPKlPlN2at6native12_GLOBAL__N_18offset_tEEE10hipError_tPvRmT1_PNSt15iterator_traitsISK_E10value_typeET2_T3_PNSL_ISQ_E10value_typeET4_jRbjT5_SW_jjP12ihipStream_tbEUlT_E0_NS1_11comp_targetILNS1_3genE2ELNS1_11target_archE906ELNS1_3gpuE6ELNS1_3repE0EEENS1_60segmented_radix_sort_warp_sort_medium_config_static_selectorELNS0_4arch9wavefront6targetE0EEEvSK_ ; -- Begin function _ZN7rocprim17ROCPRIM_400000_NS6detail17trampoline_kernelINS0_14default_configENS1_36segmented_radix_sort_config_selectorIblEEZNS1_25segmented_radix_sort_implIS3_Lb1EPKbPbPKlPlN2at6native12_GLOBAL__N_18offset_tEEE10hipError_tPvRmT1_PNSt15iterator_traitsISK_E10value_typeET2_T3_PNSL_ISQ_E10value_typeET4_jRbjT5_SW_jjP12ihipStream_tbEUlT_E0_NS1_11comp_targetILNS1_3genE2ELNS1_11target_archE906ELNS1_3gpuE6ELNS1_3repE0EEENS1_60segmented_radix_sort_warp_sort_medium_config_static_selectorELNS0_4arch9wavefront6targetE0EEEvSK_
	.p2align	8
	.type	_ZN7rocprim17ROCPRIM_400000_NS6detail17trampoline_kernelINS0_14default_configENS1_36segmented_radix_sort_config_selectorIblEEZNS1_25segmented_radix_sort_implIS3_Lb1EPKbPbPKlPlN2at6native12_GLOBAL__N_18offset_tEEE10hipError_tPvRmT1_PNSt15iterator_traitsISK_E10value_typeET2_T3_PNSL_ISQ_E10value_typeET4_jRbjT5_SW_jjP12ihipStream_tbEUlT_E0_NS1_11comp_targetILNS1_3genE2ELNS1_11target_archE906ELNS1_3gpuE6ELNS1_3repE0EEENS1_60segmented_radix_sort_warp_sort_medium_config_static_selectorELNS0_4arch9wavefront6targetE0EEEvSK_,@function
_ZN7rocprim17ROCPRIM_400000_NS6detail17trampoline_kernelINS0_14default_configENS1_36segmented_radix_sort_config_selectorIblEEZNS1_25segmented_radix_sort_implIS3_Lb1EPKbPbPKlPlN2at6native12_GLOBAL__N_18offset_tEEE10hipError_tPvRmT1_PNSt15iterator_traitsISK_E10value_typeET2_T3_PNSL_ISQ_E10value_typeET4_jRbjT5_SW_jjP12ihipStream_tbEUlT_E0_NS1_11comp_targetILNS1_3genE2ELNS1_11target_archE906ELNS1_3gpuE6ELNS1_3repE0EEENS1_60segmented_radix_sort_warp_sort_medium_config_static_selectorELNS0_4arch9wavefront6targetE0EEEvSK_: ; @_ZN7rocprim17ROCPRIM_400000_NS6detail17trampoline_kernelINS0_14default_configENS1_36segmented_radix_sort_config_selectorIblEEZNS1_25segmented_radix_sort_implIS3_Lb1EPKbPbPKlPlN2at6native12_GLOBAL__N_18offset_tEEE10hipError_tPvRmT1_PNSt15iterator_traitsISK_E10value_typeET2_T3_PNSL_ISQ_E10value_typeET4_jRbjT5_SW_jjP12ihipStream_tbEUlT_E0_NS1_11comp_targetILNS1_3genE2ELNS1_11target_archE906ELNS1_3gpuE6ELNS1_3repE0EEENS1_60segmented_radix_sort_warp_sort_medium_config_static_selectorELNS0_4arch9wavefront6targetE0EEEvSK_
; %bb.0:
	.section	.rodata,"a",@progbits
	.p2align	6, 0x0
	.amdhsa_kernel _ZN7rocprim17ROCPRIM_400000_NS6detail17trampoline_kernelINS0_14default_configENS1_36segmented_radix_sort_config_selectorIblEEZNS1_25segmented_radix_sort_implIS3_Lb1EPKbPbPKlPlN2at6native12_GLOBAL__N_18offset_tEEE10hipError_tPvRmT1_PNSt15iterator_traitsISK_E10value_typeET2_T3_PNSL_ISQ_E10value_typeET4_jRbjT5_SW_jjP12ihipStream_tbEUlT_E0_NS1_11comp_targetILNS1_3genE2ELNS1_11target_archE906ELNS1_3gpuE6ELNS1_3repE0EEENS1_60segmented_radix_sort_warp_sort_medium_config_static_selectorELNS0_4arch9wavefront6targetE0EEEvSK_
		.amdhsa_group_segment_fixed_size 0
		.amdhsa_private_segment_fixed_size 0
		.amdhsa_kernarg_size 88
		.amdhsa_user_sgpr_count 2
		.amdhsa_user_sgpr_dispatch_ptr 0
		.amdhsa_user_sgpr_queue_ptr 0
		.amdhsa_user_sgpr_kernarg_segment_ptr 1
		.amdhsa_user_sgpr_dispatch_id 0
		.amdhsa_user_sgpr_kernarg_preload_length 0
		.amdhsa_user_sgpr_kernarg_preload_offset 0
		.amdhsa_user_sgpr_private_segment_size 0
		.amdhsa_wavefront_size32 1
		.amdhsa_uses_dynamic_stack 0
		.amdhsa_enable_private_segment 0
		.amdhsa_system_sgpr_workgroup_id_x 1
		.amdhsa_system_sgpr_workgroup_id_y 0
		.amdhsa_system_sgpr_workgroup_id_z 0
		.amdhsa_system_sgpr_workgroup_info 0
		.amdhsa_system_vgpr_workitem_id 0
		.amdhsa_next_free_vgpr 1
		.amdhsa_next_free_sgpr 1
		.amdhsa_named_barrier_count 0
		.amdhsa_reserve_vcc 0
		.amdhsa_float_round_mode_32 0
		.amdhsa_float_round_mode_16_64 0
		.amdhsa_float_denorm_mode_32 3
		.amdhsa_float_denorm_mode_16_64 3
		.amdhsa_fp16_overflow 0
		.amdhsa_memory_ordered 1
		.amdhsa_forward_progress 1
		.amdhsa_inst_pref_size 0
		.amdhsa_round_robin_scheduling 0
		.amdhsa_exception_fp_ieee_invalid_op 0
		.amdhsa_exception_fp_denorm_src 0
		.amdhsa_exception_fp_ieee_div_zero 0
		.amdhsa_exception_fp_ieee_overflow 0
		.amdhsa_exception_fp_ieee_underflow 0
		.amdhsa_exception_fp_ieee_inexact 0
		.amdhsa_exception_int_div_zero 0
	.end_amdhsa_kernel
	.section	.text._ZN7rocprim17ROCPRIM_400000_NS6detail17trampoline_kernelINS0_14default_configENS1_36segmented_radix_sort_config_selectorIblEEZNS1_25segmented_radix_sort_implIS3_Lb1EPKbPbPKlPlN2at6native12_GLOBAL__N_18offset_tEEE10hipError_tPvRmT1_PNSt15iterator_traitsISK_E10value_typeET2_T3_PNSL_ISQ_E10value_typeET4_jRbjT5_SW_jjP12ihipStream_tbEUlT_E0_NS1_11comp_targetILNS1_3genE2ELNS1_11target_archE906ELNS1_3gpuE6ELNS1_3repE0EEENS1_60segmented_radix_sort_warp_sort_medium_config_static_selectorELNS0_4arch9wavefront6targetE0EEEvSK_,"axG",@progbits,_ZN7rocprim17ROCPRIM_400000_NS6detail17trampoline_kernelINS0_14default_configENS1_36segmented_radix_sort_config_selectorIblEEZNS1_25segmented_radix_sort_implIS3_Lb1EPKbPbPKlPlN2at6native12_GLOBAL__N_18offset_tEEE10hipError_tPvRmT1_PNSt15iterator_traitsISK_E10value_typeET2_T3_PNSL_ISQ_E10value_typeET4_jRbjT5_SW_jjP12ihipStream_tbEUlT_E0_NS1_11comp_targetILNS1_3genE2ELNS1_11target_archE906ELNS1_3gpuE6ELNS1_3repE0EEENS1_60segmented_radix_sort_warp_sort_medium_config_static_selectorELNS0_4arch9wavefront6targetE0EEEvSK_,comdat
.Lfunc_end1539:
	.size	_ZN7rocprim17ROCPRIM_400000_NS6detail17trampoline_kernelINS0_14default_configENS1_36segmented_radix_sort_config_selectorIblEEZNS1_25segmented_radix_sort_implIS3_Lb1EPKbPbPKlPlN2at6native12_GLOBAL__N_18offset_tEEE10hipError_tPvRmT1_PNSt15iterator_traitsISK_E10value_typeET2_T3_PNSL_ISQ_E10value_typeET4_jRbjT5_SW_jjP12ihipStream_tbEUlT_E0_NS1_11comp_targetILNS1_3genE2ELNS1_11target_archE906ELNS1_3gpuE6ELNS1_3repE0EEENS1_60segmented_radix_sort_warp_sort_medium_config_static_selectorELNS0_4arch9wavefront6targetE0EEEvSK_, .Lfunc_end1539-_ZN7rocprim17ROCPRIM_400000_NS6detail17trampoline_kernelINS0_14default_configENS1_36segmented_radix_sort_config_selectorIblEEZNS1_25segmented_radix_sort_implIS3_Lb1EPKbPbPKlPlN2at6native12_GLOBAL__N_18offset_tEEE10hipError_tPvRmT1_PNSt15iterator_traitsISK_E10value_typeET2_T3_PNSL_ISQ_E10value_typeET4_jRbjT5_SW_jjP12ihipStream_tbEUlT_E0_NS1_11comp_targetILNS1_3genE2ELNS1_11target_archE906ELNS1_3gpuE6ELNS1_3repE0EEENS1_60segmented_radix_sort_warp_sort_medium_config_static_selectorELNS0_4arch9wavefront6targetE0EEEvSK_
                                        ; -- End function
	.set _ZN7rocprim17ROCPRIM_400000_NS6detail17trampoline_kernelINS0_14default_configENS1_36segmented_radix_sort_config_selectorIblEEZNS1_25segmented_radix_sort_implIS3_Lb1EPKbPbPKlPlN2at6native12_GLOBAL__N_18offset_tEEE10hipError_tPvRmT1_PNSt15iterator_traitsISK_E10value_typeET2_T3_PNSL_ISQ_E10value_typeET4_jRbjT5_SW_jjP12ihipStream_tbEUlT_E0_NS1_11comp_targetILNS1_3genE2ELNS1_11target_archE906ELNS1_3gpuE6ELNS1_3repE0EEENS1_60segmented_radix_sort_warp_sort_medium_config_static_selectorELNS0_4arch9wavefront6targetE0EEEvSK_.num_vgpr, 0
	.set _ZN7rocprim17ROCPRIM_400000_NS6detail17trampoline_kernelINS0_14default_configENS1_36segmented_radix_sort_config_selectorIblEEZNS1_25segmented_radix_sort_implIS3_Lb1EPKbPbPKlPlN2at6native12_GLOBAL__N_18offset_tEEE10hipError_tPvRmT1_PNSt15iterator_traitsISK_E10value_typeET2_T3_PNSL_ISQ_E10value_typeET4_jRbjT5_SW_jjP12ihipStream_tbEUlT_E0_NS1_11comp_targetILNS1_3genE2ELNS1_11target_archE906ELNS1_3gpuE6ELNS1_3repE0EEENS1_60segmented_radix_sort_warp_sort_medium_config_static_selectorELNS0_4arch9wavefront6targetE0EEEvSK_.num_agpr, 0
	.set _ZN7rocprim17ROCPRIM_400000_NS6detail17trampoline_kernelINS0_14default_configENS1_36segmented_radix_sort_config_selectorIblEEZNS1_25segmented_radix_sort_implIS3_Lb1EPKbPbPKlPlN2at6native12_GLOBAL__N_18offset_tEEE10hipError_tPvRmT1_PNSt15iterator_traitsISK_E10value_typeET2_T3_PNSL_ISQ_E10value_typeET4_jRbjT5_SW_jjP12ihipStream_tbEUlT_E0_NS1_11comp_targetILNS1_3genE2ELNS1_11target_archE906ELNS1_3gpuE6ELNS1_3repE0EEENS1_60segmented_radix_sort_warp_sort_medium_config_static_selectorELNS0_4arch9wavefront6targetE0EEEvSK_.numbered_sgpr, 0
	.set _ZN7rocprim17ROCPRIM_400000_NS6detail17trampoline_kernelINS0_14default_configENS1_36segmented_radix_sort_config_selectorIblEEZNS1_25segmented_radix_sort_implIS3_Lb1EPKbPbPKlPlN2at6native12_GLOBAL__N_18offset_tEEE10hipError_tPvRmT1_PNSt15iterator_traitsISK_E10value_typeET2_T3_PNSL_ISQ_E10value_typeET4_jRbjT5_SW_jjP12ihipStream_tbEUlT_E0_NS1_11comp_targetILNS1_3genE2ELNS1_11target_archE906ELNS1_3gpuE6ELNS1_3repE0EEENS1_60segmented_radix_sort_warp_sort_medium_config_static_selectorELNS0_4arch9wavefront6targetE0EEEvSK_.num_named_barrier, 0
	.set _ZN7rocprim17ROCPRIM_400000_NS6detail17trampoline_kernelINS0_14default_configENS1_36segmented_radix_sort_config_selectorIblEEZNS1_25segmented_radix_sort_implIS3_Lb1EPKbPbPKlPlN2at6native12_GLOBAL__N_18offset_tEEE10hipError_tPvRmT1_PNSt15iterator_traitsISK_E10value_typeET2_T3_PNSL_ISQ_E10value_typeET4_jRbjT5_SW_jjP12ihipStream_tbEUlT_E0_NS1_11comp_targetILNS1_3genE2ELNS1_11target_archE906ELNS1_3gpuE6ELNS1_3repE0EEENS1_60segmented_radix_sort_warp_sort_medium_config_static_selectorELNS0_4arch9wavefront6targetE0EEEvSK_.private_seg_size, 0
	.set _ZN7rocprim17ROCPRIM_400000_NS6detail17trampoline_kernelINS0_14default_configENS1_36segmented_radix_sort_config_selectorIblEEZNS1_25segmented_radix_sort_implIS3_Lb1EPKbPbPKlPlN2at6native12_GLOBAL__N_18offset_tEEE10hipError_tPvRmT1_PNSt15iterator_traitsISK_E10value_typeET2_T3_PNSL_ISQ_E10value_typeET4_jRbjT5_SW_jjP12ihipStream_tbEUlT_E0_NS1_11comp_targetILNS1_3genE2ELNS1_11target_archE906ELNS1_3gpuE6ELNS1_3repE0EEENS1_60segmented_radix_sort_warp_sort_medium_config_static_selectorELNS0_4arch9wavefront6targetE0EEEvSK_.uses_vcc, 0
	.set _ZN7rocprim17ROCPRIM_400000_NS6detail17trampoline_kernelINS0_14default_configENS1_36segmented_radix_sort_config_selectorIblEEZNS1_25segmented_radix_sort_implIS3_Lb1EPKbPbPKlPlN2at6native12_GLOBAL__N_18offset_tEEE10hipError_tPvRmT1_PNSt15iterator_traitsISK_E10value_typeET2_T3_PNSL_ISQ_E10value_typeET4_jRbjT5_SW_jjP12ihipStream_tbEUlT_E0_NS1_11comp_targetILNS1_3genE2ELNS1_11target_archE906ELNS1_3gpuE6ELNS1_3repE0EEENS1_60segmented_radix_sort_warp_sort_medium_config_static_selectorELNS0_4arch9wavefront6targetE0EEEvSK_.uses_flat_scratch, 0
	.set _ZN7rocprim17ROCPRIM_400000_NS6detail17trampoline_kernelINS0_14default_configENS1_36segmented_radix_sort_config_selectorIblEEZNS1_25segmented_radix_sort_implIS3_Lb1EPKbPbPKlPlN2at6native12_GLOBAL__N_18offset_tEEE10hipError_tPvRmT1_PNSt15iterator_traitsISK_E10value_typeET2_T3_PNSL_ISQ_E10value_typeET4_jRbjT5_SW_jjP12ihipStream_tbEUlT_E0_NS1_11comp_targetILNS1_3genE2ELNS1_11target_archE906ELNS1_3gpuE6ELNS1_3repE0EEENS1_60segmented_radix_sort_warp_sort_medium_config_static_selectorELNS0_4arch9wavefront6targetE0EEEvSK_.has_dyn_sized_stack, 0
	.set _ZN7rocprim17ROCPRIM_400000_NS6detail17trampoline_kernelINS0_14default_configENS1_36segmented_radix_sort_config_selectorIblEEZNS1_25segmented_radix_sort_implIS3_Lb1EPKbPbPKlPlN2at6native12_GLOBAL__N_18offset_tEEE10hipError_tPvRmT1_PNSt15iterator_traitsISK_E10value_typeET2_T3_PNSL_ISQ_E10value_typeET4_jRbjT5_SW_jjP12ihipStream_tbEUlT_E0_NS1_11comp_targetILNS1_3genE2ELNS1_11target_archE906ELNS1_3gpuE6ELNS1_3repE0EEENS1_60segmented_radix_sort_warp_sort_medium_config_static_selectorELNS0_4arch9wavefront6targetE0EEEvSK_.has_recursion, 0
	.set _ZN7rocprim17ROCPRIM_400000_NS6detail17trampoline_kernelINS0_14default_configENS1_36segmented_radix_sort_config_selectorIblEEZNS1_25segmented_radix_sort_implIS3_Lb1EPKbPbPKlPlN2at6native12_GLOBAL__N_18offset_tEEE10hipError_tPvRmT1_PNSt15iterator_traitsISK_E10value_typeET2_T3_PNSL_ISQ_E10value_typeET4_jRbjT5_SW_jjP12ihipStream_tbEUlT_E0_NS1_11comp_targetILNS1_3genE2ELNS1_11target_archE906ELNS1_3gpuE6ELNS1_3repE0EEENS1_60segmented_radix_sort_warp_sort_medium_config_static_selectorELNS0_4arch9wavefront6targetE0EEEvSK_.has_indirect_call, 0
	.section	.AMDGPU.csdata,"",@progbits
; Kernel info:
; codeLenInByte = 0
; TotalNumSgprs: 0
; NumVgprs: 0
; ScratchSize: 0
; MemoryBound: 0
; FloatMode: 240
; IeeeMode: 1
; LDSByteSize: 0 bytes/workgroup (compile time only)
; SGPRBlocks: 0
; VGPRBlocks: 0
; NumSGPRsForWavesPerEU: 1
; NumVGPRsForWavesPerEU: 1
; NamedBarCnt: 0
; Occupancy: 16
; WaveLimiterHint : 0
; COMPUTE_PGM_RSRC2:SCRATCH_EN: 0
; COMPUTE_PGM_RSRC2:USER_SGPR: 2
; COMPUTE_PGM_RSRC2:TRAP_HANDLER: 0
; COMPUTE_PGM_RSRC2:TGID_X_EN: 1
; COMPUTE_PGM_RSRC2:TGID_Y_EN: 0
; COMPUTE_PGM_RSRC2:TGID_Z_EN: 0
; COMPUTE_PGM_RSRC2:TIDIG_COMP_CNT: 0
	.section	.text._ZN7rocprim17ROCPRIM_400000_NS6detail17trampoline_kernelINS0_14default_configENS1_36segmented_radix_sort_config_selectorIblEEZNS1_25segmented_radix_sort_implIS3_Lb1EPKbPbPKlPlN2at6native12_GLOBAL__N_18offset_tEEE10hipError_tPvRmT1_PNSt15iterator_traitsISK_E10value_typeET2_T3_PNSL_ISQ_E10value_typeET4_jRbjT5_SW_jjP12ihipStream_tbEUlT_E0_NS1_11comp_targetILNS1_3genE10ELNS1_11target_archE1201ELNS1_3gpuE5ELNS1_3repE0EEENS1_60segmented_radix_sort_warp_sort_medium_config_static_selectorELNS0_4arch9wavefront6targetE0EEEvSK_,"axG",@progbits,_ZN7rocprim17ROCPRIM_400000_NS6detail17trampoline_kernelINS0_14default_configENS1_36segmented_radix_sort_config_selectorIblEEZNS1_25segmented_radix_sort_implIS3_Lb1EPKbPbPKlPlN2at6native12_GLOBAL__N_18offset_tEEE10hipError_tPvRmT1_PNSt15iterator_traitsISK_E10value_typeET2_T3_PNSL_ISQ_E10value_typeET4_jRbjT5_SW_jjP12ihipStream_tbEUlT_E0_NS1_11comp_targetILNS1_3genE10ELNS1_11target_archE1201ELNS1_3gpuE5ELNS1_3repE0EEENS1_60segmented_radix_sort_warp_sort_medium_config_static_selectorELNS0_4arch9wavefront6targetE0EEEvSK_,comdat
	.globl	_ZN7rocprim17ROCPRIM_400000_NS6detail17trampoline_kernelINS0_14default_configENS1_36segmented_radix_sort_config_selectorIblEEZNS1_25segmented_radix_sort_implIS3_Lb1EPKbPbPKlPlN2at6native12_GLOBAL__N_18offset_tEEE10hipError_tPvRmT1_PNSt15iterator_traitsISK_E10value_typeET2_T3_PNSL_ISQ_E10value_typeET4_jRbjT5_SW_jjP12ihipStream_tbEUlT_E0_NS1_11comp_targetILNS1_3genE10ELNS1_11target_archE1201ELNS1_3gpuE5ELNS1_3repE0EEENS1_60segmented_radix_sort_warp_sort_medium_config_static_selectorELNS0_4arch9wavefront6targetE0EEEvSK_ ; -- Begin function _ZN7rocprim17ROCPRIM_400000_NS6detail17trampoline_kernelINS0_14default_configENS1_36segmented_radix_sort_config_selectorIblEEZNS1_25segmented_radix_sort_implIS3_Lb1EPKbPbPKlPlN2at6native12_GLOBAL__N_18offset_tEEE10hipError_tPvRmT1_PNSt15iterator_traitsISK_E10value_typeET2_T3_PNSL_ISQ_E10value_typeET4_jRbjT5_SW_jjP12ihipStream_tbEUlT_E0_NS1_11comp_targetILNS1_3genE10ELNS1_11target_archE1201ELNS1_3gpuE5ELNS1_3repE0EEENS1_60segmented_radix_sort_warp_sort_medium_config_static_selectorELNS0_4arch9wavefront6targetE0EEEvSK_
	.p2align	8
	.type	_ZN7rocprim17ROCPRIM_400000_NS6detail17trampoline_kernelINS0_14default_configENS1_36segmented_radix_sort_config_selectorIblEEZNS1_25segmented_radix_sort_implIS3_Lb1EPKbPbPKlPlN2at6native12_GLOBAL__N_18offset_tEEE10hipError_tPvRmT1_PNSt15iterator_traitsISK_E10value_typeET2_T3_PNSL_ISQ_E10value_typeET4_jRbjT5_SW_jjP12ihipStream_tbEUlT_E0_NS1_11comp_targetILNS1_3genE10ELNS1_11target_archE1201ELNS1_3gpuE5ELNS1_3repE0EEENS1_60segmented_radix_sort_warp_sort_medium_config_static_selectorELNS0_4arch9wavefront6targetE0EEEvSK_,@function
_ZN7rocprim17ROCPRIM_400000_NS6detail17trampoline_kernelINS0_14default_configENS1_36segmented_radix_sort_config_selectorIblEEZNS1_25segmented_radix_sort_implIS3_Lb1EPKbPbPKlPlN2at6native12_GLOBAL__N_18offset_tEEE10hipError_tPvRmT1_PNSt15iterator_traitsISK_E10value_typeET2_T3_PNSL_ISQ_E10value_typeET4_jRbjT5_SW_jjP12ihipStream_tbEUlT_E0_NS1_11comp_targetILNS1_3genE10ELNS1_11target_archE1201ELNS1_3gpuE5ELNS1_3repE0EEENS1_60segmented_radix_sort_warp_sort_medium_config_static_selectorELNS0_4arch9wavefront6targetE0EEEvSK_: ; @_ZN7rocprim17ROCPRIM_400000_NS6detail17trampoline_kernelINS0_14default_configENS1_36segmented_radix_sort_config_selectorIblEEZNS1_25segmented_radix_sort_implIS3_Lb1EPKbPbPKlPlN2at6native12_GLOBAL__N_18offset_tEEE10hipError_tPvRmT1_PNSt15iterator_traitsISK_E10value_typeET2_T3_PNSL_ISQ_E10value_typeET4_jRbjT5_SW_jjP12ihipStream_tbEUlT_E0_NS1_11comp_targetILNS1_3genE10ELNS1_11target_archE1201ELNS1_3gpuE5ELNS1_3repE0EEENS1_60segmented_radix_sort_warp_sort_medium_config_static_selectorELNS0_4arch9wavefront6targetE0EEEvSK_
; %bb.0:
	.section	.rodata,"a",@progbits
	.p2align	6, 0x0
	.amdhsa_kernel _ZN7rocprim17ROCPRIM_400000_NS6detail17trampoline_kernelINS0_14default_configENS1_36segmented_radix_sort_config_selectorIblEEZNS1_25segmented_radix_sort_implIS3_Lb1EPKbPbPKlPlN2at6native12_GLOBAL__N_18offset_tEEE10hipError_tPvRmT1_PNSt15iterator_traitsISK_E10value_typeET2_T3_PNSL_ISQ_E10value_typeET4_jRbjT5_SW_jjP12ihipStream_tbEUlT_E0_NS1_11comp_targetILNS1_3genE10ELNS1_11target_archE1201ELNS1_3gpuE5ELNS1_3repE0EEENS1_60segmented_radix_sort_warp_sort_medium_config_static_selectorELNS0_4arch9wavefront6targetE0EEEvSK_
		.amdhsa_group_segment_fixed_size 0
		.amdhsa_private_segment_fixed_size 0
		.amdhsa_kernarg_size 88
		.amdhsa_user_sgpr_count 2
		.amdhsa_user_sgpr_dispatch_ptr 0
		.amdhsa_user_sgpr_queue_ptr 0
		.amdhsa_user_sgpr_kernarg_segment_ptr 1
		.amdhsa_user_sgpr_dispatch_id 0
		.amdhsa_user_sgpr_kernarg_preload_length 0
		.amdhsa_user_sgpr_kernarg_preload_offset 0
		.amdhsa_user_sgpr_private_segment_size 0
		.amdhsa_wavefront_size32 1
		.amdhsa_uses_dynamic_stack 0
		.amdhsa_enable_private_segment 0
		.amdhsa_system_sgpr_workgroup_id_x 1
		.amdhsa_system_sgpr_workgroup_id_y 0
		.amdhsa_system_sgpr_workgroup_id_z 0
		.amdhsa_system_sgpr_workgroup_info 0
		.amdhsa_system_vgpr_workitem_id 0
		.amdhsa_next_free_vgpr 1
		.amdhsa_next_free_sgpr 1
		.amdhsa_named_barrier_count 0
		.amdhsa_reserve_vcc 0
		.amdhsa_float_round_mode_32 0
		.amdhsa_float_round_mode_16_64 0
		.amdhsa_float_denorm_mode_32 3
		.amdhsa_float_denorm_mode_16_64 3
		.amdhsa_fp16_overflow 0
		.amdhsa_memory_ordered 1
		.amdhsa_forward_progress 1
		.amdhsa_inst_pref_size 0
		.amdhsa_round_robin_scheduling 0
		.amdhsa_exception_fp_ieee_invalid_op 0
		.amdhsa_exception_fp_denorm_src 0
		.amdhsa_exception_fp_ieee_div_zero 0
		.amdhsa_exception_fp_ieee_overflow 0
		.amdhsa_exception_fp_ieee_underflow 0
		.amdhsa_exception_fp_ieee_inexact 0
		.amdhsa_exception_int_div_zero 0
	.end_amdhsa_kernel
	.section	.text._ZN7rocprim17ROCPRIM_400000_NS6detail17trampoline_kernelINS0_14default_configENS1_36segmented_radix_sort_config_selectorIblEEZNS1_25segmented_radix_sort_implIS3_Lb1EPKbPbPKlPlN2at6native12_GLOBAL__N_18offset_tEEE10hipError_tPvRmT1_PNSt15iterator_traitsISK_E10value_typeET2_T3_PNSL_ISQ_E10value_typeET4_jRbjT5_SW_jjP12ihipStream_tbEUlT_E0_NS1_11comp_targetILNS1_3genE10ELNS1_11target_archE1201ELNS1_3gpuE5ELNS1_3repE0EEENS1_60segmented_radix_sort_warp_sort_medium_config_static_selectorELNS0_4arch9wavefront6targetE0EEEvSK_,"axG",@progbits,_ZN7rocprim17ROCPRIM_400000_NS6detail17trampoline_kernelINS0_14default_configENS1_36segmented_radix_sort_config_selectorIblEEZNS1_25segmented_radix_sort_implIS3_Lb1EPKbPbPKlPlN2at6native12_GLOBAL__N_18offset_tEEE10hipError_tPvRmT1_PNSt15iterator_traitsISK_E10value_typeET2_T3_PNSL_ISQ_E10value_typeET4_jRbjT5_SW_jjP12ihipStream_tbEUlT_E0_NS1_11comp_targetILNS1_3genE10ELNS1_11target_archE1201ELNS1_3gpuE5ELNS1_3repE0EEENS1_60segmented_radix_sort_warp_sort_medium_config_static_selectorELNS0_4arch9wavefront6targetE0EEEvSK_,comdat
.Lfunc_end1540:
	.size	_ZN7rocprim17ROCPRIM_400000_NS6detail17trampoline_kernelINS0_14default_configENS1_36segmented_radix_sort_config_selectorIblEEZNS1_25segmented_radix_sort_implIS3_Lb1EPKbPbPKlPlN2at6native12_GLOBAL__N_18offset_tEEE10hipError_tPvRmT1_PNSt15iterator_traitsISK_E10value_typeET2_T3_PNSL_ISQ_E10value_typeET4_jRbjT5_SW_jjP12ihipStream_tbEUlT_E0_NS1_11comp_targetILNS1_3genE10ELNS1_11target_archE1201ELNS1_3gpuE5ELNS1_3repE0EEENS1_60segmented_radix_sort_warp_sort_medium_config_static_selectorELNS0_4arch9wavefront6targetE0EEEvSK_, .Lfunc_end1540-_ZN7rocprim17ROCPRIM_400000_NS6detail17trampoline_kernelINS0_14default_configENS1_36segmented_radix_sort_config_selectorIblEEZNS1_25segmented_radix_sort_implIS3_Lb1EPKbPbPKlPlN2at6native12_GLOBAL__N_18offset_tEEE10hipError_tPvRmT1_PNSt15iterator_traitsISK_E10value_typeET2_T3_PNSL_ISQ_E10value_typeET4_jRbjT5_SW_jjP12ihipStream_tbEUlT_E0_NS1_11comp_targetILNS1_3genE10ELNS1_11target_archE1201ELNS1_3gpuE5ELNS1_3repE0EEENS1_60segmented_radix_sort_warp_sort_medium_config_static_selectorELNS0_4arch9wavefront6targetE0EEEvSK_
                                        ; -- End function
	.set _ZN7rocprim17ROCPRIM_400000_NS6detail17trampoline_kernelINS0_14default_configENS1_36segmented_radix_sort_config_selectorIblEEZNS1_25segmented_radix_sort_implIS3_Lb1EPKbPbPKlPlN2at6native12_GLOBAL__N_18offset_tEEE10hipError_tPvRmT1_PNSt15iterator_traitsISK_E10value_typeET2_T3_PNSL_ISQ_E10value_typeET4_jRbjT5_SW_jjP12ihipStream_tbEUlT_E0_NS1_11comp_targetILNS1_3genE10ELNS1_11target_archE1201ELNS1_3gpuE5ELNS1_3repE0EEENS1_60segmented_radix_sort_warp_sort_medium_config_static_selectorELNS0_4arch9wavefront6targetE0EEEvSK_.num_vgpr, 0
	.set _ZN7rocprim17ROCPRIM_400000_NS6detail17trampoline_kernelINS0_14default_configENS1_36segmented_radix_sort_config_selectorIblEEZNS1_25segmented_radix_sort_implIS3_Lb1EPKbPbPKlPlN2at6native12_GLOBAL__N_18offset_tEEE10hipError_tPvRmT1_PNSt15iterator_traitsISK_E10value_typeET2_T3_PNSL_ISQ_E10value_typeET4_jRbjT5_SW_jjP12ihipStream_tbEUlT_E0_NS1_11comp_targetILNS1_3genE10ELNS1_11target_archE1201ELNS1_3gpuE5ELNS1_3repE0EEENS1_60segmented_radix_sort_warp_sort_medium_config_static_selectorELNS0_4arch9wavefront6targetE0EEEvSK_.num_agpr, 0
	.set _ZN7rocprim17ROCPRIM_400000_NS6detail17trampoline_kernelINS0_14default_configENS1_36segmented_radix_sort_config_selectorIblEEZNS1_25segmented_radix_sort_implIS3_Lb1EPKbPbPKlPlN2at6native12_GLOBAL__N_18offset_tEEE10hipError_tPvRmT1_PNSt15iterator_traitsISK_E10value_typeET2_T3_PNSL_ISQ_E10value_typeET4_jRbjT5_SW_jjP12ihipStream_tbEUlT_E0_NS1_11comp_targetILNS1_3genE10ELNS1_11target_archE1201ELNS1_3gpuE5ELNS1_3repE0EEENS1_60segmented_radix_sort_warp_sort_medium_config_static_selectorELNS0_4arch9wavefront6targetE0EEEvSK_.numbered_sgpr, 0
	.set _ZN7rocprim17ROCPRIM_400000_NS6detail17trampoline_kernelINS0_14default_configENS1_36segmented_radix_sort_config_selectorIblEEZNS1_25segmented_radix_sort_implIS3_Lb1EPKbPbPKlPlN2at6native12_GLOBAL__N_18offset_tEEE10hipError_tPvRmT1_PNSt15iterator_traitsISK_E10value_typeET2_T3_PNSL_ISQ_E10value_typeET4_jRbjT5_SW_jjP12ihipStream_tbEUlT_E0_NS1_11comp_targetILNS1_3genE10ELNS1_11target_archE1201ELNS1_3gpuE5ELNS1_3repE0EEENS1_60segmented_radix_sort_warp_sort_medium_config_static_selectorELNS0_4arch9wavefront6targetE0EEEvSK_.num_named_barrier, 0
	.set _ZN7rocprim17ROCPRIM_400000_NS6detail17trampoline_kernelINS0_14default_configENS1_36segmented_radix_sort_config_selectorIblEEZNS1_25segmented_radix_sort_implIS3_Lb1EPKbPbPKlPlN2at6native12_GLOBAL__N_18offset_tEEE10hipError_tPvRmT1_PNSt15iterator_traitsISK_E10value_typeET2_T3_PNSL_ISQ_E10value_typeET4_jRbjT5_SW_jjP12ihipStream_tbEUlT_E0_NS1_11comp_targetILNS1_3genE10ELNS1_11target_archE1201ELNS1_3gpuE5ELNS1_3repE0EEENS1_60segmented_radix_sort_warp_sort_medium_config_static_selectorELNS0_4arch9wavefront6targetE0EEEvSK_.private_seg_size, 0
	.set _ZN7rocprim17ROCPRIM_400000_NS6detail17trampoline_kernelINS0_14default_configENS1_36segmented_radix_sort_config_selectorIblEEZNS1_25segmented_radix_sort_implIS3_Lb1EPKbPbPKlPlN2at6native12_GLOBAL__N_18offset_tEEE10hipError_tPvRmT1_PNSt15iterator_traitsISK_E10value_typeET2_T3_PNSL_ISQ_E10value_typeET4_jRbjT5_SW_jjP12ihipStream_tbEUlT_E0_NS1_11comp_targetILNS1_3genE10ELNS1_11target_archE1201ELNS1_3gpuE5ELNS1_3repE0EEENS1_60segmented_radix_sort_warp_sort_medium_config_static_selectorELNS0_4arch9wavefront6targetE0EEEvSK_.uses_vcc, 0
	.set _ZN7rocprim17ROCPRIM_400000_NS6detail17trampoline_kernelINS0_14default_configENS1_36segmented_radix_sort_config_selectorIblEEZNS1_25segmented_radix_sort_implIS3_Lb1EPKbPbPKlPlN2at6native12_GLOBAL__N_18offset_tEEE10hipError_tPvRmT1_PNSt15iterator_traitsISK_E10value_typeET2_T3_PNSL_ISQ_E10value_typeET4_jRbjT5_SW_jjP12ihipStream_tbEUlT_E0_NS1_11comp_targetILNS1_3genE10ELNS1_11target_archE1201ELNS1_3gpuE5ELNS1_3repE0EEENS1_60segmented_radix_sort_warp_sort_medium_config_static_selectorELNS0_4arch9wavefront6targetE0EEEvSK_.uses_flat_scratch, 0
	.set _ZN7rocprim17ROCPRIM_400000_NS6detail17trampoline_kernelINS0_14default_configENS1_36segmented_radix_sort_config_selectorIblEEZNS1_25segmented_radix_sort_implIS3_Lb1EPKbPbPKlPlN2at6native12_GLOBAL__N_18offset_tEEE10hipError_tPvRmT1_PNSt15iterator_traitsISK_E10value_typeET2_T3_PNSL_ISQ_E10value_typeET4_jRbjT5_SW_jjP12ihipStream_tbEUlT_E0_NS1_11comp_targetILNS1_3genE10ELNS1_11target_archE1201ELNS1_3gpuE5ELNS1_3repE0EEENS1_60segmented_radix_sort_warp_sort_medium_config_static_selectorELNS0_4arch9wavefront6targetE0EEEvSK_.has_dyn_sized_stack, 0
	.set _ZN7rocprim17ROCPRIM_400000_NS6detail17trampoline_kernelINS0_14default_configENS1_36segmented_radix_sort_config_selectorIblEEZNS1_25segmented_radix_sort_implIS3_Lb1EPKbPbPKlPlN2at6native12_GLOBAL__N_18offset_tEEE10hipError_tPvRmT1_PNSt15iterator_traitsISK_E10value_typeET2_T3_PNSL_ISQ_E10value_typeET4_jRbjT5_SW_jjP12ihipStream_tbEUlT_E0_NS1_11comp_targetILNS1_3genE10ELNS1_11target_archE1201ELNS1_3gpuE5ELNS1_3repE0EEENS1_60segmented_radix_sort_warp_sort_medium_config_static_selectorELNS0_4arch9wavefront6targetE0EEEvSK_.has_recursion, 0
	.set _ZN7rocprim17ROCPRIM_400000_NS6detail17trampoline_kernelINS0_14default_configENS1_36segmented_radix_sort_config_selectorIblEEZNS1_25segmented_radix_sort_implIS3_Lb1EPKbPbPKlPlN2at6native12_GLOBAL__N_18offset_tEEE10hipError_tPvRmT1_PNSt15iterator_traitsISK_E10value_typeET2_T3_PNSL_ISQ_E10value_typeET4_jRbjT5_SW_jjP12ihipStream_tbEUlT_E0_NS1_11comp_targetILNS1_3genE10ELNS1_11target_archE1201ELNS1_3gpuE5ELNS1_3repE0EEENS1_60segmented_radix_sort_warp_sort_medium_config_static_selectorELNS0_4arch9wavefront6targetE0EEEvSK_.has_indirect_call, 0
	.section	.AMDGPU.csdata,"",@progbits
; Kernel info:
; codeLenInByte = 0
; TotalNumSgprs: 0
; NumVgprs: 0
; ScratchSize: 0
; MemoryBound: 0
; FloatMode: 240
; IeeeMode: 1
; LDSByteSize: 0 bytes/workgroup (compile time only)
; SGPRBlocks: 0
; VGPRBlocks: 0
; NumSGPRsForWavesPerEU: 1
; NumVGPRsForWavesPerEU: 1
; NamedBarCnt: 0
; Occupancy: 16
; WaveLimiterHint : 0
; COMPUTE_PGM_RSRC2:SCRATCH_EN: 0
; COMPUTE_PGM_RSRC2:USER_SGPR: 2
; COMPUTE_PGM_RSRC2:TRAP_HANDLER: 0
; COMPUTE_PGM_RSRC2:TGID_X_EN: 1
; COMPUTE_PGM_RSRC2:TGID_Y_EN: 0
; COMPUTE_PGM_RSRC2:TGID_Z_EN: 0
; COMPUTE_PGM_RSRC2:TIDIG_COMP_CNT: 0
	.section	.text._ZN7rocprim17ROCPRIM_400000_NS6detail17trampoline_kernelINS0_14default_configENS1_36segmented_radix_sort_config_selectorIblEEZNS1_25segmented_radix_sort_implIS3_Lb1EPKbPbPKlPlN2at6native12_GLOBAL__N_18offset_tEEE10hipError_tPvRmT1_PNSt15iterator_traitsISK_E10value_typeET2_T3_PNSL_ISQ_E10value_typeET4_jRbjT5_SW_jjP12ihipStream_tbEUlT_E0_NS1_11comp_targetILNS1_3genE10ELNS1_11target_archE1200ELNS1_3gpuE4ELNS1_3repE0EEENS1_60segmented_radix_sort_warp_sort_medium_config_static_selectorELNS0_4arch9wavefront6targetE0EEEvSK_,"axG",@progbits,_ZN7rocprim17ROCPRIM_400000_NS6detail17trampoline_kernelINS0_14default_configENS1_36segmented_radix_sort_config_selectorIblEEZNS1_25segmented_radix_sort_implIS3_Lb1EPKbPbPKlPlN2at6native12_GLOBAL__N_18offset_tEEE10hipError_tPvRmT1_PNSt15iterator_traitsISK_E10value_typeET2_T3_PNSL_ISQ_E10value_typeET4_jRbjT5_SW_jjP12ihipStream_tbEUlT_E0_NS1_11comp_targetILNS1_3genE10ELNS1_11target_archE1200ELNS1_3gpuE4ELNS1_3repE0EEENS1_60segmented_radix_sort_warp_sort_medium_config_static_selectorELNS0_4arch9wavefront6targetE0EEEvSK_,comdat
	.globl	_ZN7rocprim17ROCPRIM_400000_NS6detail17trampoline_kernelINS0_14default_configENS1_36segmented_radix_sort_config_selectorIblEEZNS1_25segmented_radix_sort_implIS3_Lb1EPKbPbPKlPlN2at6native12_GLOBAL__N_18offset_tEEE10hipError_tPvRmT1_PNSt15iterator_traitsISK_E10value_typeET2_T3_PNSL_ISQ_E10value_typeET4_jRbjT5_SW_jjP12ihipStream_tbEUlT_E0_NS1_11comp_targetILNS1_3genE10ELNS1_11target_archE1200ELNS1_3gpuE4ELNS1_3repE0EEENS1_60segmented_radix_sort_warp_sort_medium_config_static_selectorELNS0_4arch9wavefront6targetE0EEEvSK_ ; -- Begin function _ZN7rocprim17ROCPRIM_400000_NS6detail17trampoline_kernelINS0_14default_configENS1_36segmented_radix_sort_config_selectorIblEEZNS1_25segmented_radix_sort_implIS3_Lb1EPKbPbPKlPlN2at6native12_GLOBAL__N_18offset_tEEE10hipError_tPvRmT1_PNSt15iterator_traitsISK_E10value_typeET2_T3_PNSL_ISQ_E10value_typeET4_jRbjT5_SW_jjP12ihipStream_tbEUlT_E0_NS1_11comp_targetILNS1_3genE10ELNS1_11target_archE1200ELNS1_3gpuE4ELNS1_3repE0EEENS1_60segmented_radix_sort_warp_sort_medium_config_static_selectorELNS0_4arch9wavefront6targetE0EEEvSK_
	.p2align	8
	.type	_ZN7rocprim17ROCPRIM_400000_NS6detail17trampoline_kernelINS0_14default_configENS1_36segmented_radix_sort_config_selectorIblEEZNS1_25segmented_radix_sort_implIS3_Lb1EPKbPbPKlPlN2at6native12_GLOBAL__N_18offset_tEEE10hipError_tPvRmT1_PNSt15iterator_traitsISK_E10value_typeET2_T3_PNSL_ISQ_E10value_typeET4_jRbjT5_SW_jjP12ihipStream_tbEUlT_E0_NS1_11comp_targetILNS1_3genE10ELNS1_11target_archE1200ELNS1_3gpuE4ELNS1_3repE0EEENS1_60segmented_radix_sort_warp_sort_medium_config_static_selectorELNS0_4arch9wavefront6targetE0EEEvSK_,@function
_ZN7rocprim17ROCPRIM_400000_NS6detail17trampoline_kernelINS0_14default_configENS1_36segmented_radix_sort_config_selectorIblEEZNS1_25segmented_radix_sort_implIS3_Lb1EPKbPbPKlPlN2at6native12_GLOBAL__N_18offset_tEEE10hipError_tPvRmT1_PNSt15iterator_traitsISK_E10value_typeET2_T3_PNSL_ISQ_E10value_typeET4_jRbjT5_SW_jjP12ihipStream_tbEUlT_E0_NS1_11comp_targetILNS1_3genE10ELNS1_11target_archE1200ELNS1_3gpuE4ELNS1_3repE0EEENS1_60segmented_radix_sort_warp_sort_medium_config_static_selectorELNS0_4arch9wavefront6targetE0EEEvSK_: ; @_ZN7rocprim17ROCPRIM_400000_NS6detail17trampoline_kernelINS0_14default_configENS1_36segmented_radix_sort_config_selectorIblEEZNS1_25segmented_radix_sort_implIS3_Lb1EPKbPbPKlPlN2at6native12_GLOBAL__N_18offset_tEEE10hipError_tPvRmT1_PNSt15iterator_traitsISK_E10value_typeET2_T3_PNSL_ISQ_E10value_typeET4_jRbjT5_SW_jjP12ihipStream_tbEUlT_E0_NS1_11comp_targetILNS1_3genE10ELNS1_11target_archE1200ELNS1_3gpuE4ELNS1_3repE0EEENS1_60segmented_radix_sort_warp_sort_medium_config_static_selectorELNS0_4arch9wavefront6targetE0EEEvSK_
; %bb.0:
	.section	.rodata,"a",@progbits
	.p2align	6, 0x0
	.amdhsa_kernel _ZN7rocprim17ROCPRIM_400000_NS6detail17trampoline_kernelINS0_14default_configENS1_36segmented_radix_sort_config_selectorIblEEZNS1_25segmented_radix_sort_implIS3_Lb1EPKbPbPKlPlN2at6native12_GLOBAL__N_18offset_tEEE10hipError_tPvRmT1_PNSt15iterator_traitsISK_E10value_typeET2_T3_PNSL_ISQ_E10value_typeET4_jRbjT5_SW_jjP12ihipStream_tbEUlT_E0_NS1_11comp_targetILNS1_3genE10ELNS1_11target_archE1200ELNS1_3gpuE4ELNS1_3repE0EEENS1_60segmented_radix_sort_warp_sort_medium_config_static_selectorELNS0_4arch9wavefront6targetE0EEEvSK_
		.amdhsa_group_segment_fixed_size 0
		.amdhsa_private_segment_fixed_size 0
		.amdhsa_kernarg_size 88
		.amdhsa_user_sgpr_count 2
		.amdhsa_user_sgpr_dispatch_ptr 0
		.amdhsa_user_sgpr_queue_ptr 0
		.amdhsa_user_sgpr_kernarg_segment_ptr 1
		.amdhsa_user_sgpr_dispatch_id 0
		.amdhsa_user_sgpr_kernarg_preload_length 0
		.amdhsa_user_sgpr_kernarg_preload_offset 0
		.amdhsa_user_sgpr_private_segment_size 0
		.amdhsa_wavefront_size32 1
		.amdhsa_uses_dynamic_stack 0
		.amdhsa_enable_private_segment 0
		.amdhsa_system_sgpr_workgroup_id_x 1
		.amdhsa_system_sgpr_workgroup_id_y 0
		.amdhsa_system_sgpr_workgroup_id_z 0
		.amdhsa_system_sgpr_workgroup_info 0
		.amdhsa_system_vgpr_workitem_id 0
		.amdhsa_next_free_vgpr 1
		.amdhsa_next_free_sgpr 1
		.amdhsa_named_barrier_count 0
		.amdhsa_reserve_vcc 0
		.amdhsa_float_round_mode_32 0
		.amdhsa_float_round_mode_16_64 0
		.amdhsa_float_denorm_mode_32 3
		.amdhsa_float_denorm_mode_16_64 3
		.amdhsa_fp16_overflow 0
		.amdhsa_memory_ordered 1
		.amdhsa_forward_progress 1
		.amdhsa_inst_pref_size 0
		.amdhsa_round_robin_scheduling 0
		.amdhsa_exception_fp_ieee_invalid_op 0
		.amdhsa_exception_fp_denorm_src 0
		.amdhsa_exception_fp_ieee_div_zero 0
		.amdhsa_exception_fp_ieee_overflow 0
		.amdhsa_exception_fp_ieee_underflow 0
		.amdhsa_exception_fp_ieee_inexact 0
		.amdhsa_exception_int_div_zero 0
	.end_amdhsa_kernel
	.section	.text._ZN7rocprim17ROCPRIM_400000_NS6detail17trampoline_kernelINS0_14default_configENS1_36segmented_radix_sort_config_selectorIblEEZNS1_25segmented_radix_sort_implIS3_Lb1EPKbPbPKlPlN2at6native12_GLOBAL__N_18offset_tEEE10hipError_tPvRmT1_PNSt15iterator_traitsISK_E10value_typeET2_T3_PNSL_ISQ_E10value_typeET4_jRbjT5_SW_jjP12ihipStream_tbEUlT_E0_NS1_11comp_targetILNS1_3genE10ELNS1_11target_archE1200ELNS1_3gpuE4ELNS1_3repE0EEENS1_60segmented_radix_sort_warp_sort_medium_config_static_selectorELNS0_4arch9wavefront6targetE0EEEvSK_,"axG",@progbits,_ZN7rocprim17ROCPRIM_400000_NS6detail17trampoline_kernelINS0_14default_configENS1_36segmented_radix_sort_config_selectorIblEEZNS1_25segmented_radix_sort_implIS3_Lb1EPKbPbPKlPlN2at6native12_GLOBAL__N_18offset_tEEE10hipError_tPvRmT1_PNSt15iterator_traitsISK_E10value_typeET2_T3_PNSL_ISQ_E10value_typeET4_jRbjT5_SW_jjP12ihipStream_tbEUlT_E0_NS1_11comp_targetILNS1_3genE10ELNS1_11target_archE1200ELNS1_3gpuE4ELNS1_3repE0EEENS1_60segmented_radix_sort_warp_sort_medium_config_static_selectorELNS0_4arch9wavefront6targetE0EEEvSK_,comdat
.Lfunc_end1541:
	.size	_ZN7rocprim17ROCPRIM_400000_NS6detail17trampoline_kernelINS0_14default_configENS1_36segmented_radix_sort_config_selectorIblEEZNS1_25segmented_radix_sort_implIS3_Lb1EPKbPbPKlPlN2at6native12_GLOBAL__N_18offset_tEEE10hipError_tPvRmT1_PNSt15iterator_traitsISK_E10value_typeET2_T3_PNSL_ISQ_E10value_typeET4_jRbjT5_SW_jjP12ihipStream_tbEUlT_E0_NS1_11comp_targetILNS1_3genE10ELNS1_11target_archE1200ELNS1_3gpuE4ELNS1_3repE0EEENS1_60segmented_radix_sort_warp_sort_medium_config_static_selectorELNS0_4arch9wavefront6targetE0EEEvSK_, .Lfunc_end1541-_ZN7rocprim17ROCPRIM_400000_NS6detail17trampoline_kernelINS0_14default_configENS1_36segmented_radix_sort_config_selectorIblEEZNS1_25segmented_radix_sort_implIS3_Lb1EPKbPbPKlPlN2at6native12_GLOBAL__N_18offset_tEEE10hipError_tPvRmT1_PNSt15iterator_traitsISK_E10value_typeET2_T3_PNSL_ISQ_E10value_typeET4_jRbjT5_SW_jjP12ihipStream_tbEUlT_E0_NS1_11comp_targetILNS1_3genE10ELNS1_11target_archE1200ELNS1_3gpuE4ELNS1_3repE0EEENS1_60segmented_radix_sort_warp_sort_medium_config_static_selectorELNS0_4arch9wavefront6targetE0EEEvSK_
                                        ; -- End function
	.set _ZN7rocprim17ROCPRIM_400000_NS6detail17trampoline_kernelINS0_14default_configENS1_36segmented_radix_sort_config_selectorIblEEZNS1_25segmented_radix_sort_implIS3_Lb1EPKbPbPKlPlN2at6native12_GLOBAL__N_18offset_tEEE10hipError_tPvRmT1_PNSt15iterator_traitsISK_E10value_typeET2_T3_PNSL_ISQ_E10value_typeET4_jRbjT5_SW_jjP12ihipStream_tbEUlT_E0_NS1_11comp_targetILNS1_3genE10ELNS1_11target_archE1200ELNS1_3gpuE4ELNS1_3repE0EEENS1_60segmented_radix_sort_warp_sort_medium_config_static_selectorELNS0_4arch9wavefront6targetE0EEEvSK_.num_vgpr, 0
	.set _ZN7rocprim17ROCPRIM_400000_NS6detail17trampoline_kernelINS0_14default_configENS1_36segmented_radix_sort_config_selectorIblEEZNS1_25segmented_radix_sort_implIS3_Lb1EPKbPbPKlPlN2at6native12_GLOBAL__N_18offset_tEEE10hipError_tPvRmT1_PNSt15iterator_traitsISK_E10value_typeET2_T3_PNSL_ISQ_E10value_typeET4_jRbjT5_SW_jjP12ihipStream_tbEUlT_E0_NS1_11comp_targetILNS1_3genE10ELNS1_11target_archE1200ELNS1_3gpuE4ELNS1_3repE0EEENS1_60segmented_radix_sort_warp_sort_medium_config_static_selectorELNS0_4arch9wavefront6targetE0EEEvSK_.num_agpr, 0
	.set _ZN7rocprim17ROCPRIM_400000_NS6detail17trampoline_kernelINS0_14default_configENS1_36segmented_radix_sort_config_selectorIblEEZNS1_25segmented_radix_sort_implIS3_Lb1EPKbPbPKlPlN2at6native12_GLOBAL__N_18offset_tEEE10hipError_tPvRmT1_PNSt15iterator_traitsISK_E10value_typeET2_T3_PNSL_ISQ_E10value_typeET4_jRbjT5_SW_jjP12ihipStream_tbEUlT_E0_NS1_11comp_targetILNS1_3genE10ELNS1_11target_archE1200ELNS1_3gpuE4ELNS1_3repE0EEENS1_60segmented_radix_sort_warp_sort_medium_config_static_selectorELNS0_4arch9wavefront6targetE0EEEvSK_.numbered_sgpr, 0
	.set _ZN7rocprim17ROCPRIM_400000_NS6detail17trampoline_kernelINS0_14default_configENS1_36segmented_radix_sort_config_selectorIblEEZNS1_25segmented_radix_sort_implIS3_Lb1EPKbPbPKlPlN2at6native12_GLOBAL__N_18offset_tEEE10hipError_tPvRmT1_PNSt15iterator_traitsISK_E10value_typeET2_T3_PNSL_ISQ_E10value_typeET4_jRbjT5_SW_jjP12ihipStream_tbEUlT_E0_NS1_11comp_targetILNS1_3genE10ELNS1_11target_archE1200ELNS1_3gpuE4ELNS1_3repE0EEENS1_60segmented_radix_sort_warp_sort_medium_config_static_selectorELNS0_4arch9wavefront6targetE0EEEvSK_.num_named_barrier, 0
	.set _ZN7rocprim17ROCPRIM_400000_NS6detail17trampoline_kernelINS0_14default_configENS1_36segmented_radix_sort_config_selectorIblEEZNS1_25segmented_radix_sort_implIS3_Lb1EPKbPbPKlPlN2at6native12_GLOBAL__N_18offset_tEEE10hipError_tPvRmT1_PNSt15iterator_traitsISK_E10value_typeET2_T3_PNSL_ISQ_E10value_typeET4_jRbjT5_SW_jjP12ihipStream_tbEUlT_E0_NS1_11comp_targetILNS1_3genE10ELNS1_11target_archE1200ELNS1_3gpuE4ELNS1_3repE0EEENS1_60segmented_radix_sort_warp_sort_medium_config_static_selectorELNS0_4arch9wavefront6targetE0EEEvSK_.private_seg_size, 0
	.set _ZN7rocprim17ROCPRIM_400000_NS6detail17trampoline_kernelINS0_14default_configENS1_36segmented_radix_sort_config_selectorIblEEZNS1_25segmented_radix_sort_implIS3_Lb1EPKbPbPKlPlN2at6native12_GLOBAL__N_18offset_tEEE10hipError_tPvRmT1_PNSt15iterator_traitsISK_E10value_typeET2_T3_PNSL_ISQ_E10value_typeET4_jRbjT5_SW_jjP12ihipStream_tbEUlT_E0_NS1_11comp_targetILNS1_3genE10ELNS1_11target_archE1200ELNS1_3gpuE4ELNS1_3repE0EEENS1_60segmented_radix_sort_warp_sort_medium_config_static_selectorELNS0_4arch9wavefront6targetE0EEEvSK_.uses_vcc, 0
	.set _ZN7rocprim17ROCPRIM_400000_NS6detail17trampoline_kernelINS0_14default_configENS1_36segmented_radix_sort_config_selectorIblEEZNS1_25segmented_radix_sort_implIS3_Lb1EPKbPbPKlPlN2at6native12_GLOBAL__N_18offset_tEEE10hipError_tPvRmT1_PNSt15iterator_traitsISK_E10value_typeET2_T3_PNSL_ISQ_E10value_typeET4_jRbjT5_SW_jjP12ihipStream_tbEUlT_E0_NS1_11comp_targetILNS1_3genE10ELNS1_11target_archE1200ELNS1_3gpuE4ELNS1_3repE0EEENS1_60segmented_radix_sort_warp_sort_medium_config_static_selectorELNS0_4arch9wavefront6targetE0EEEvSK_.uses_flat_scratch, 0
	.set _ZN7rocprim17ROCPRIM_400000_NS6detail17trampoline_kernelINS0_14default_configENS1_36segmented_radix_sort_config_selectorIblEEZNS1_25segmented_radix_sort_implIS3_Lb1EPKbPbPKlPlN2at6native12_GLOBAL__N_18offset_tEEE10hipError_tPvRmT1_PNSt15iterator_traitsISK_E10value_typeET2_T3_PNSL_ISQ_E10value_typeET4_jRbjT5_SW_jjP12ihipStream_tbEUlT_E0_NS1_11comp_targetILNS1_3genE10ELNS1_11target_archE1200ELNS1_3gpuE4ELNS1_3repE0EEENS1_60segmented_radix_sort_warp_sort_medium_config_static_selectorELNS0_4arch9wavefront6targetE0EEEvSK_.has_dyn_sized_stack, 0
	.set _ZN7rocprim17ROCPRIM_400000_NS6detail17trampoline_kernelINS0_14default_configENS1_36segmented_radix_sort_config_selectorIblEEZNS1_25segmented_radix_sort_implIS3_Lb1EPKbPbPKlPlN2at6native12_GLOBAL__N_18offset_tEEE10hipError_tPvRmT1_PNSt15iterator_traitsISK_E10value_typeET2_T3_PNSL_ISQ_E10value_typeET4_jRbjT5_SW_jjP12ihipStream_tbEUlT_E0_NS1_11comp_targetILNS1_3genE10ELNS1_11target_archE1200ELNS1_3gpuE4ELNS1_3repE0EEENS1_60segmented_radix_sort_warp_sort_medium_config_static_selectorELNS0_4arch9wavefront6targetE0EEEvSK_.has_recursion, 0
	.set _ZN7rocprim17ROCPRIM_400000_NS6detail17trampoline_kernelINS0_14default_configENS1_36segmented_radix_sort_config_selectorIblEEZNS1_25segmented_radix_sort_implIS3_Lb1EPKbPbPKlPlN2at6native12_GLOBAL__N_18offset_tEEE10hipError_tPvRmT1_PNSt15iterator_traitsISK_E10value_typeET2_T3_PNSL_ISQ_E10value_typeET4_jRbjT5_SW_jjP12ihipStream_tbEUlT_E0_NS1_11comp_targetILNS1_3genE10ELNS1_11target_archE1200ELNS1_3gpuE4ELNS1_3repE0EEENS1_60segmented_radix_sort_warp_sort_medium_config_static_selectorELNS0_4arch9wavefront6targetE0EEEvSK_.has_indirect_call, 0
	.section	.AMDGPU.csdata,"",@progbits
; Kernel info:
; codeLenInByte = 0
; TotalNumSgprs: 0
; NumVgprs: 0
; ScratchSize: 0
; MemoryBound: 0
; FloatMode: 240
; IeeeMode: 1
; LDSByteSize: 0 bytes/workgroup (compile time only)
; SGPRBlocks: 0
; VGPRBlocks: 0
; NumSGPRsForWavesPerEU: 1
; NumVGPRsForWavesPerEU: 1
; NamedBarCnt: 0
; Occupancy: 16
; WaveLimiterHint : 0
; COMPUTE_PGM_RSRC2:SCRATCH_EN: 0
; COMPUTE_PGM_RSRC2:USER_SGPR: 2
; COMPUTE_PGM_RSRC2:TRAP_HANDLER: 0
; COMPUTE_PGM_RSRC2:TGID_X_EN: 1
; COMPUTE_PGM_RSRC2:TGID_Y_EN: 0
; COMPUTE_PGM_RSRC2:TGID_Z_EN: 0
; COMPUTE_PGM_RSRC2:TIDIG_COMP_CNT: 0
	.section	.text._ZN7rocprim17ROCPRIM_400000_NS6detail17trampoline_kernelINS0_14default_configENS1_36segmented_radix_sort_config_selectorIblEEZNS1_25segmented_radix_sort_implIS3_Lb1EPKbPbPKlPlN2at6native12_GLOBAL__N_18offset_tEEE10hipError_tPvRmT1_PNSt15iterator_traitsISK_E10value_typeET2_T3_PNSL_ISQ_E10value_typeET4_jRbjT5_SW_jjP12ihipStream_tbEUlT_E0_NS1_11comp_targetILNS1_3genE9ELNS1_11target_archE1100ELNS1_3gpuE3ELNS1_3repE0EEENS1_60segmented_radix_sort_warp_sort_medium_config_static_selectorELNS0_4arch9wavefront6targetE0EEEvSK_,"axG",@progbits,_ZN7rocprim17ROCPRIM_400000_NS6detail17trampoline_kernelINS0_14default_configENS1_36segmented_radix_sort_config_selectorIblEEZNS1_25segmented_radix_sort_implIS3_Lb1EPKbPbPKlPlN2at6native12_GLOBAL__N_18offset_tEEE10hipError_tPvRmT1_PNSt15iterator_traitsISK_E10value_typeET2_T3_PNSL_ISQ_E10value_typeET4_jRbjT5_SW_jjP12ihipStream_tbEUlT_E0_NS1_11comp_targetILNS1_3genE9ELNS1_11target_archE1100ELNS1_3gpuE3ELNS1_3repE0EEENS1_60segmented_radix_sort_warp_sort_medium_config_static_selectorELNS0_4arch9wavefront6targetE0EEEvSK_,comdat
	.globl	_ZN7rocprim17ROCPRIM_400000_NS6detail17trampoline_kernelINS0_14default_configENS1_36segmented_radix_sort_config_selectorIblEEZNS1_25segmented_radix_sort_implIS3_Lb1EPKbPbPKlPlN2at6native12_GLOBAL__N_18offset_tEEE10hipError_tPvRmT1_PNSt15iterator_traitsISK_E10value_typeET2_T3_PNSL_ISQ_E10value_typeET4_jRbjT5_SW_jjP12ihipStream_tbEUlT_E0_NS1_11comp_targetILNS1_3genE9ELNS1_11target_archE1100ELNS1_3gpuE3ELNS1_3repE0EEENS1_60segmented_radix_sort_warp_sort_medium_config_static_selectorELNS0_4arch9wavefront6targetE0EEEvSK_ ; -- Begin function _ZN7rocprim17ROCPRIM_400000_NS6detail17trampoline_kernelINS0_14default_configENS1_36segmented_radix_sort_config_selectorIblEEZNS1_25segmented_radix_sort_implIS3_Lb1EPKbPbPKlPlN2at6native12_GLOBAL__N_18offset_tEEE10hipError_tPvRmT1_PNSt15iterator_traitsISK_E10value_typeET2_T3_PNSL_ISQ_E10value_typeET4_jRbjT5_SW_jjP12ihipStream_tbEUlT_E0_NS1_11comp_targetILNS1_3genE9ELNS1_11target_archE1100ELNS1_3gpuE3ELNS1_3repE0EEENS1_60segmented_radix_sort_warp_sort_medium_config_static_selectorELNS0_4arch9wavefront6targetE0EEEvSK_
	.p2align	8
	.type	_ZN7rocprim17ROCPRIM_400000_NS6detail17trampoline_kernelINS0_14default_configENS1_36segmented_radix_sort_config_selectorIblEEZNS1_25segmented_radix_sort_implIS3_Lb1EPKbPbPKlPlN2at6native12_GLOBAL__N_18offset_tEEE10hipError_tPvRmT1_PNSt15iterator_traitsISK_E10value_typeET2_T3_PNSL_ISQ_E10value_typeET4_jRbjT5_SW_jjP12ihipStream_tbEUlT_E0_NS1_11comp_targetILNS1_3genE9ELNS1_11target_archE1100ELNS1_3gpuE3ELNS1_3repE0EEENS1_60segmented_radix_sort_warp_sort_medium_config_static_selectorELNS0_4arch9wavefront6targetE0EEEvSK_,@function
_ZN7rocprim17ROCPRIM_400000_NS6detail17trampoline_kernelINS0_14default_configENS1_36segmented_radix_sort_config_selectorIblEEZNS1_25segmented_radix_sort_implIS3_Lb1EPKbPbPKlPlN2at6native12_GLOBAL__N_18offset_tEEE10hipError_tPvRmT1_PNSt15iterator_traitsISK_E10value_typeET2_T3_PNSL_ISQ_E10value_typeET4_jRbjT5_SW_jjP12ihipStream_tbEUlT_E0_NS1_11comp_targetILNS1_3genE9ELNS1_11target_archE1100ELNS1_3gpuE3ELNS1_3repE0EEENS1_60segmented_radix_sort_warp_sort_medium_config_static_selectorELNS0_4arch9wavefront6targetE0EEEvSK_: ; @_ZN7rocprim17ROCPRIM_400000_NS6detail17trampoline_kernelINS0_14default_configENS1_36segmented_radix_sort_config_selectorIblEEZNS1_25segmented_radix_sort_implIS3_Lb1EPKbPbPKlPlN2at6native12_GLOBAL__N_18offset_tEEE10hipError_tPvRmT1_PNSt15iterator_traitsISK_E10value_typeET2_T3_PNSL_ISQ_E10value_typeET4_jRbjT5_SW_jjP12ihipStream_tbEUlT_E0_NS1_11comp_targetILNS1_3genE9ELNS1_11target_archE1100ELNS1_3gpuE3ELNS1_3repE0EEENS1_60segmented_radix_sort_warp_sort_medium_config_static_selectorELNS0_4arch9wavefront6targetE0EEEvSK_
; %bb.0:
	.section	.rodata,"a",@progbits
	.p2align	6, 0x0
	.amdhsa_kernel _ZN7rocprim17ROCPRIM_400000_NS6detail17trampoline_kernelINS0_14default_configENS1_36segmented_radix_sort_config_selectorIblEEZNS1_25segmented_radix_sort_implIS3_Lb1EPKbPbPKlPlN2at6native12_GLOBAL__N_18offset_tEEE10hipError_tPvRmT1_PNSt15iterator_traitsISK_E10value_typeET2_T3_PNSL_ISQ_E10value_typeET4_jRbjT5_SW_jjP12ihipStream_tbEUlT_E0_NS1_11comp_targetILNS1_3genE9ELNS1_11target_archE1100ELNS1_3gpuE3ELNS1_3repE0EEENS1_60segmented_radix_sort_warp_sort_medium_config_static_selectorELNS0_4arch9wavefront6targetE0EEEvSK_
		.amdhsa_group_segment_fixed_size 0
		.amdhsa_private_segment_fixed_size 0
		.amdhsa_kernarg_size 88
		.amdhsa_user_sgpr_count 2
		.amdhsa_user_sgpr_dispatch_ptr 0
		.amdhsa_user_sgpr_queue_ptr 0
		.amdhsa_user_sgpr_kernarg_segment_ptr 1
		.amdhsa_user_sgpr_dispatch_id 0
		.amdhsa_user_sgpr_kernarg_preload_length 0
		.amdhsa_user_sgpr_kernarg_preload_offset 0
		.amdhsa_user_sgpr_private_segment_size 0
		.amdhsa_wavefront_size32 1
		.amdhsa_uses_dynamic_stack 0
		.amdhsa_enable_private_segment 0
		.amdhsa_system_sgpr_workgroup_id_x 1
		.amdhsa_system_sgpr_workgroup_id_y 0
		.amdhsa_system_sgpr_workgroup_id_z 0
		.amdhsa_system_sgpr_workgroup_info 0
		.amdhsa_system_vgpr_workitem_id 0
		.amdhsa_next_free_vgpr 1
		.amdhsa_next_free_sgpr 1
		.amdhsa_named_barrier_count 0
		.amdhsa_reserve_vcc 0
		.amdhsa_float_round_mode_32 0
		.amdhsa_float_round_mode_16_64 0
		.amdhsa_float_denorm_mode_32 3
		.amdhsa_float_denorm_mode_16_64 3
		.amdhsa_fp16_overflow 0
		.amdhsa_memory_ordered 1
		.amdhsa_forward_progress 1
		.amdhsa_inst_pref_size 0
		.amdhsa_round_robin_scheduling 0
		.amdhsa_exception_fp_ieee_invalid_op 0
		.amdhsa_exception_fp_denorm_src 0
		.amdhsa_exception_fp_ieee_div_zero 0
		.amdhsa_exception_fp_ieee_overflow 0
		.amdhsa_exception_fp_ieee_underflow 0
		.amdhsa_exception_fp_ieee_inexact 0
		.amdhsa_exception_int_div_zero 0
	.end_amdhsa_kernel
	.section	.text._ZN7rocprim17ROCPRIM_400000_NS6detail17trampoline_kernelINS0_14default_configENS1_36segmented_radix_sort_config_selectorIblEEZNS1_25segmented_radix_sort_implIS3_Lb1EPKbPbPKlPlN2at6native12_GLOBAL__N_18offset_tEEE10hipError_tPvRmT1_PNSt15iterator_traitsISK_E10value_typeET2_T3_PNSL_ISQ_E10value_typeET4_jRbjT5_SW_jjP12ihipStream_tbEUlT_E0_NS1_11comp_targetILNS1_3genE9ELNS1_11target_archE1100ELNS1_3gpuE3ELNS1_3repE0EEENS1_60segmented_radix_sort_warp_sort_medium_config_static_selectorELNS0_4arch9wavefront6targetE0EEEvSK_,"axG",@progbits,_ZN7rocprim17ROCPRIM_400000_NS6detail17trampoline_kernelINS0_14default_configENS1_36segmented_radix_sort_config_selectorIblEEZNS1_25segmented_radix_sort_implIS3_Lb1EPKbPbPKlPlN2at6native12_GLOBAL__N_18offset_tEEE10hipError_tPvRmT1_PNSt15iterator_traitsISK_E10value_typeET2_T3_PNSL_ISQ_E10value_typeET4_jRbjT5_SW_jjP12ihipStream_tbEUlT_E0_NS1_11comp_targetILNS1_3genE9ELNS1_11target_archE1100ELNS1_3gpuE3ELNS1_3repE0EEENS1_60segmented_radix_sort_warp_sort_medium_config_static_selectorELNS0_4arch9wavefront6targetE0EEEvSK_,comdat
.Lfunc_end1542:
	.size	_ZN7rocprim17ROCPRIM_400000_NS6detail17trampoline_kernelINS0_14default_configENS1_36segmented_radix_sort_config_selectorIblEEZNS1_25segmented_radix_sort_implIS3_Lb1EPKbPbPKlPlN2at6native12_GLOBAL__N_18offset_tEEE10hipError_tPvRmT1_PNSt15iterator_traitsISK_E10value_typeET2_T3_PNSL_ISQ_E10value_typeET4_jRbjT5_SW_jjP12ihipStream_tbEUlT_E0_NS1_11comp_targetILNS1_3genE9ELNS1_11target_archE1100ELNS1_3gpuE3ELNS1_3repE0EEENS1_60segmented_radix_sort_warp_sort_medium_config_static_selectorELNS0_4arch9wavefront6targetE0EEEvSK_, .Lfunc_end1542-_ZN7rocprim17ROCPRIM_400000_NS6detail17trampoline_kernelINS0_14default_configENS1_36segmented_radix_sort_config_selectorIblEEZNS1_25segmented_radix_sort_implIS3_Lb1EPKbPbPKlPlN2at6native12_GLOBAL__N_18offset_tEEE10hipError_tPvRmT1_PNSt15iterator_traitsISK_E10value_typeET2_T3_PNSL_ISQ_E10value_typeET4_jRbjT5_SW_jjP12ihipStream_tbEUlT_E0_NS1_11comp_targetILNS1_3genE9ELNS1_11target_archE1100ELNS1_3gpuE3ELNS1_3repE0EEENS1_60segmented_radix_sort_warp_sort_medium_config_static_selectorELNS0_4arch9wavefront6targetE0EEEvSK_
                                        ; -- End function
	.set _ZN7rocprim17ROCPRIM_400000_NS6detail17trampoline_kernelINS0_14default_configENS1_36segmented_radix_sort_config_selectorIblEEZNS1_25segmented_radix_sort_implIS3_Lb1EPKbPbPKlPlN2at6native12_GLOBAL__N_18offset_tEEE10hipError_tPvRmT1_PNSt15iterator_traitsISK_E10value_typeET2_T3_PNSL_ISQ_E10value_typeET4_jRbjT5_SW_jjP12ihipStream_tbEUlT_E0_NS1_11comp_targetILNS1_3genE9ELNS1_11target_archE1100ELNS1_3gpuE3ELNS1_3repE0EEENS1_60segmented_radix_sort_warp_sort_medium_config_static_selectorELNS0_4arch9wavefront6targetE0EEEvSK_.num_vgpr, 0
	.set _ZN7rocprim17ROCPRIM_400000_NS6detail17trampoline_kernelINS0_14default_configENS1_36segmented_radix_sort_config_selectorIblEEZNS1_25segmented_radix_sort_implIS3_Lb1EPKbPbPKlPlN2at6native12_GLOBAL__N_18offset_tEEE10hipError_tPvRmT1_PNSt15iterator_traitsISK_E10value_typeET2_T3_PNSL_ISQ_E10value_typeET4_jRbjT5_SW_jjP12ihipStream_tbEUlT_E0_NS1_11comp_targetILNS1_3genE9ELNS1_11target_archE1100ELNS1_3gpuE3ELNS1_3repE0EEENS1_60segmented_radix_sort_warp_sort_medium_config_static_selectorELNS0_4arch9wavefront6targetE0EEEvSK_.num_agpr, 0
	.set _ZN7rocprim17ROCPRIM_400000_NS6detail17trampoline_kernelINS0_14default_configENS1_36segmented_radix_sort_config_selectorIblEEZNS1_25segmented_radix_sort_implIS3_Lb1EPKbPbPKlPlN2at6native12_GLOBAL__N_18offset_tEEE10hipError_tPvRmT1_PNSt15iterator_traitsISK_E10value_typeET2_T3_PNSL_ISQ_E10value_typeET4_jRbjT5_SW_jjP12ihipStream_tbEUlT_E0_NS1_11comp_targetILNS1_3genE9ELNS1_11target_archE1100ELNS1_3gpuE3ELNS1_3repE0EEENS1_60segmented_radix_sort_warp_sort_medium_config_static_selectorELNS0_4arch9wavefront6targetE0EEEvSK_.numbered_sgpr, 0
	.set _ZN7rocprim17ROCPRIM_400000_NS6detail17trampoline_kernelINS0_14default_configENS1_36segmented_radix_sort_config_selectorIblEEZNS1_25segmented_radix_sort_implIS3_Lb1EPKbPbPKlPlN2at6native12_GLOBAL__N_18offset_tEEE10hipError_tPvRmT1_PNSt15iterator_traitsISK_E10value_typeET2_T3_PNSL_ISQ_E10value_typeET4_jRbjT5_SW_jjP12ihipStream_tbEUlT_E0_NS1_11comp_targetILNS1_3genE9ELNS1_11target_archE1100ELNS1_3gpuE3ELNS1_3repE0EEENS1_60segmented_radix_sort_warp_sort_medium_config_static_selectorELNS0_4arch9wavefront6targetE0EEEvSK_.num_named_barrier, 0
	.set _ZN7rocprim17ROCPRIM_400000_NS6detail17trampoline_kernelINS0_14default_configENS1_36segmented_radix_sort_config_selectorIblEEZNS1_25segmented_radix_sort_implIS3_Lb1EPKbPbPKlPlN2at6native12_GLOBAL__N_18offset_tEEE10hipError_tPvRmT1_PNSt15iterator_traitsISK_E10value_typeET2_T3_PNSL_ISQ_E10value_typeET4_jRbjT5_SW_jjP12ihipStream_tbEUlT_E0_NS1_11comp_targetILNS1_3genE9ELNS1_11target_archE1100ELNS1_3gpuE3ELNS1_3repE0EEENS1_60segmented_radix_sort_warp_sort_medium_config_static_selectorELNS0_4arch9wavefront6targetE0EEEvSK_.private_seg_size, 0
	.set _ZN7rocprim17ROCPRIM_400000_NS6detail17trampoline_kernelINS0_14default_configENS1_36segmented_radix_sort_config_selectorIblEEZNS1_25segmented_radix_sort_implIS3_Lb1EPKbPbPKlPlN2at6native12_GLOBAL__N_18offset_tEEE10hipError_tPvRmT1_PNSt15iterator_traitsISK_E10value_typeET2_T3_PNSL_ISQ_E10value_typeET4_jRbjT5_SW_jjP12ihipStream_tbEUlT_E0_NS1_11comp_targetILNS1_3genE9ELNS1_11target_archE1100ELNS1_3gpuE3ELNS1_3repE0EEENS1_60segmented_radix_sort_warp_sort_medium_config_static_selectorELNS0_4arch9wavefront6targetE0EEEvSK_.uses_vcc, 0
	.set _ZN7rocprim17ROCPRIM_400000_NS6detail17trampoline_kernelINS0_14default_configENS1_36segmented_radix_sort_config_selectorIblEEZNS1_25segmented_radix_sort_implIS3_Lb1EPKbPbPKlPlN2at6native12_GLOBAL__N_18offset_tEEE10hipError_tPvRmT1_PNSt15iterator_traitsISK_E10value_typeET2_T3_PNSL_ISQ_E10value_typeET4_jRbjT5_SW_jjP12ihipStream_tbEUlT_E0_NS1_11comp_targetILNS1_3genE9ELNS1_11target_archE1100ELNS1_3gpuE3ELNS1_3repE0EEENS1_60segmented_radix_sort_warp_sort_medium_config_static_selectorELNS0_4arch9wavefront6targetE0EEEvSK_.uses_flat_scratch, 0
	.set _ZN7rocprim17ROCPRIM_400000_NS6detail17trampoline_kernelINS0_14default_configENS1_36segmented_radix_sort_config_selectorIblEEZNS1_25segmented_radix_sort_implIS3_Lb1EPKbPbPKlPlN2at6native12_GLOBAL__N_18offset_tEEE10hipError_tPvRmT1_PNSt15iterator_traitsISK_E10value_typeET2_T3_PNSL_ISQ_E10value_typeET4_jRbjT5_SW_jjP12ihipStream_tbEUlT_E0_NS1_11comp_targetILNS1_3genE9ELNS1_11target_archE1100ELNS1_3gpuE3ELNS1_3repE0EEENS1_60segmented_radix_sort_warp_sort_medium_config_static_selectorELNS0_4arch9wavefront6targetE0EEEvSK_.has_dyn_sized_stack, 0
	.set _ZN7rocprim17ROCPRIM_400000_NS6detail17trampoline_kernelINS0_14default_configENS1_36segmented_radix_sort_config_selectorIblEEZNS1_25segmented_radix_sort_implIS3_Lb1EPKbPbPKlPlN2at6native12_GLOBAL__N_18offset_tEEE10hipError_tPvRmT1_PNSt15iterator_traitsISK_E10value_typeET2_T3_PNSL_ISQ_E10value_typeET4_jRbjT5_SW_jjP12ihipStream_tbEUlT_E0_NS1_11comp_targetILNS1_3genE9ELNS1_11target_archE1100ELNS1_3gpuE3ELNS1_3repE0EEENS1_60segmented_radix_sort_warp_sort_medium_config_static_selectorELNS0_4arch9wavefront6targetE0EEEvSK_.has_recursion, 0
	.set _ZN7rocprim17ROCPRIM_400000_NS6detail17trampoline_kernelINS0_14default_configENS1_36segmented_radix_sort_config_selectorIblEEZNS1_25segmented_radix_sort_implIS3_Lb1EPKbPbPKlPlN2at6native12_GLOBAL__N_18offset_tEEE10hipError_tPvRmT1_PNSt15iterator_traitsISK_E10value_typeET2_T3_PNSL_ISQ_E10value_typeET4_jRbjT5_SW_jjP12ihipStream_tbEUlT_E0_NS1_11comp_targetILNS1_3genE9ELNS1_11target_archE1100ELNS1_3gpuE3ELNS1_3repE0EEENS1_60segmented_radix_sort_warp_sort_medium_config_static_selectorELNS0_4arch9wavefront6targetE0EEEvSK_.has_indirect_call, 0
	.section	.AMDGPU.csdata,"",@progbits
; Kernel info:
; codeLenInByte = 0
; TotalNumSgprs: 0
; NumVgprs: 0
; ScratchSize: 0
; MemoryBound: 0
; FloatMode: 240
; IeeeMode: 1
; LDSByteSize: 0 bytes/workgroup (compile time only)
; SGPRBlocks: 0
; VGPRBlocks: 0
; NumSGPRsForWavesPerEU: 1
; NumVGPRsForWavesPerEU: 1
; NamedBarCnt: 0
; Occupancy: 16
; WaveLimiterHint : 0
; COMPUTE_PGM_RSRC2:SCRATCH_EN: 0
; COMPUTE_PGM_RSRC2:USER_SGPR: 2
; COMPUTE_PGM_RSRC2:TRAP_HANDLER: 0
; COMPUTE_PGM_RSRC2:TGID_X_EN: 1
; COMPUTE_PGM_RSRC2:TGID_Y_EN: 0
; COMPUTE_PGM_RSRC2:TGID_Z_EN: 0
; COMPUTE_PGM_RSRC2:TIDIG_COMP_CNT: 0
	.section	.text._ZN7rocprim17ROCPRIM_400000_NS6detail17trampoline_kernelINS0_14default_configENS1_36segmented_radix_sort_config_selectorIblEEZNS1_25segmented_radix_sort_implIS3_Lb1EPKbPbPKlPlN2at6native12_GLOBAL__N_18offset_tEEE10hipError_tPvRmT1_PNSt15iterator_traitsISK_E10value_typeET2_T3_PNSL_ISQ_E10value_typeET4_jRbjT5_SW_jjP12ihipStream_tbEUlT_E0_NS1_11comp_targetILNS1_3genE8ELNS1_11target_archE1030ELNS1_3gpuE2ELNS1_3repE0EEENS1_60segmented_radix_sort_warp_sort_medium_config_static_selectorELNS0_4arch9wavefront6targetE0EEEvSK_,"axG",@progbits,_ZN7rocprim17ROCPRIM_400000_NS6detail17trampoline_kernelINS0_14default_configENS1_36segmented_radix_sort_config_selectorIblEEZNS1_25segmented_radix_sort_implIS3_Lb1EPKbPbPKlPlN2at6native12_GLOBAL__N_18offset_tEEE10hipError_tPvRmT1_PNSt15iterator_traitsISK_E10value_typeET2_T3_PNSL_ISQ_E10value_typeET4_jRbjT5_SW_jjP12ihipStream_tbEUlT_E0_NS1_11comp_targetILNS1_3genE8ELNS1_11target_archE1030ELNS1_3gpuE2ELNS1_3repE0EEENS1_60segmented_radix_sort_warp_sort_medium_config_static_selectorELNS0_4arch9wavefront6targetE0EEEvSK_,comdat
	.globl	_ZN7rocprim17ROCPRIM_400000_NS6detail17trampoline_kernelINS0_14default_configENS1_36segmented_radix_sort_config_selectorIblEEZNS1_25segmented_radix_sort_implIS3_Lb1EPKbPbPKlPlN2at6native12_GLOBAL__N_18offset_tEEE10hipError_tPvRmT1_PNSt15iterator_traitsISK_E10value_typeET2_T3_PNSL_ISQ_E10value_typeET4_jRbjT5_SW_jjP12ihipStream_tbEUlT_E0_NS1_11comp_targetILNS1_3genE8ELNS1_11target_archE1030ELNS1_3gpuE2ELNS1_3repE0EEENS1_60segmented_radix_sort_warp_sort_medium_config_static_selectorELNS0_4arch9wavefront6targetE0EEEvSK_ ; -- Begin function _ZN7rocprim17ROCPRIM_400000_NS6detail17trampoline_kernelINS0_14default_configENS1_36segmented_radix_sort_config_selectorIblEEZNS1_25segmented_radix_sort_implIS3_Lb1EPKbPbPKlPlN2at6native12_GLOBAL__N_18offset_tEEE10hipError_tPvRmT1_PNSt15iterator_traitsISK_E10value_typeET2_T3_PNSL_ISQ_E10value_typeET4_jRbjT5_SW_jjP12ihipStream_tbEUlT_E0_NS1_11comp_targetILNS1_3genE8ELNS1_11target_archE1030ELNS1_3gpuE2ELNS1_3repE0EEENS1_60segmented_radix_sort_warp_sort_medium_config_static_selectorELNS0_4arch9wavefront6targetE0EEEvSK_
	.p2align	8
	.type	_ZN7rocprim17ROCPRIM_400000_NS6detail17trampoline_kernelINS0_14default_configENS1_36segmented_radix_sort_config_selectorIblEEZNS1_25segmented_radix_sort_implIS3_Lb1EPKbPbPKlPlN2at6native12_GLOBAL__N_18offset_tEEE10hipError_tPvRmT1_PNSt15iterator_traitsISK_E10value_typeET2_T3_PNSL_ISQ_E10value_typeET4_jRbjT5_SW_jjP12ihipStream_tbEUlT_E0_NS1_11comp_targetILNS1_3genE8ELNS1_11target_archE1030ELNS1_3gpuE2ELNS1_3repE0EEENS1_60segmented_radix_sort_warp_sort_medium_config_static_selectorELNS0_4arch9wavefront6targetE0EEEvSK_,@function
_ZN7rocprim17ROCPRIM_400000_NS6detail17trampoline_kernelINS0_14default_configENS1_36segmented_radix_sort_config_selectorIblEEZNS1_25segmented_radix_sort_implIS3_Lb1EPKbPbPKlPlN2at6native12_GLOBAL__N_18offset_tEEE10hipError_tPvRmT1_PNSt15iterator_traitsISK_E10value_typeET2_T3_PNSL_ISQ_E10value_typeET4_jRbjT5_SW_jjP12ihipStream_tbEUlT_E0_NS1_11comp_targetILNS1_3genE8ELNS1_11target_archE1030ELNS1_3gpuE2ELNS1_3repE0EEENS1_60segmented_radix_sort_warp_sort_medium_config_static_selectorELNS0_4arch9wavefront6targetE0EEEvSK_: ; @_ZN7rocprim17ROCPRIM_400000_NS6detail17trampoline_kernelINS0_14default_configENS1_36segmented_radix_sort_config_selectorIblEEZNS1_25segmented_radix_sort_implIS3_Lb1EPKbPbPKlPlN2at6native12_GLOBAL__N_18offset_tEEE10hipError_tPvRmT1_PNSt15iterator_traitsISK_E10value_typeET2_T3_PNSL_ISQ_E10value_typeET4_jRbjT5_SW_jjP12ihipStream_tbEUlT_E0_NS1_11comp_targetILNS1_3genE8ELNS1_11target_archE1030ELNS1_3gpuE2ELNS1_3repE0EEENS1_60segmented_radix_sort_warp_sort_medium_config_static_selectorELNS0_4arch9wavefront6targetE0EEEvSK_
; %bb.0:
	.section	.rodata,"a",@progbits
	.p2align	6, 0x0
	.amdhsa_kernel _ZN7rocprim17ROCPRIM_400000_NS6detail17trampoline_kernelINS0_14default_configENS1_36segmented_radix_sort_config_selectorIblEEZNS1_25segmented_radix_sort_implIS3_Lb1EPKbPbPKlPlN2at6native12_GLOBAL__N_18offset_tEEE10hipError_tPvRmT1_PNSt15iterator_traitsISK_E10value_typeET2_T3_PNSL_ISQ_E10value_typeET4_jRbjT5_SW_jjP12ihipStream_tbEUlT_E0_NS1_11comp_targetILNS1_3genE8ELNS1_11target_archE1030ELNS1_3gpuE2ELNS1_3repE0EEENS1_60segmented_radix_sort_warp_sort_medium_config_static_selectorELNS0_4arch9wavefront6targetE0EEEvSK_
		.amdhsa_group_segment_fixed_size 0
		.amdhsa_private_segment_fixed_size 0
		.amdhsa_kernarg_size 88
		.amdhsa_user_sgpr_count 2
		.amdhsa_user_sgpr_dispatch_ptr 0
		.amdhsa_user_sgpr_queue_ptr 0
		.amdhsa_user_sgpr_kernarg_segment_ptr 1
		.amdhsa_user_sgpr_dispatch_id 0
		.amdhsa_user_sgpr_kernarg_preload_length 0
		.amdhsa_user_sgpr_kernarg_preload_offset 0
		.amdhsa_user_sgpr_private_segment_size 0
		.amdhsa_wavefront_size32 1
		.amdhsa_uses_dynamic_stack 0
		.amdhsa_enable_private_segment 0
		.amdhsa_system_sgpr_workgroup_id_x 1
		.amdhsa_system_sgpr_workgroup_id_y 0
		.amdhsa_system_sgpr_workgroup_id_z 0
		.amdhsa_system_sgpr_workgroup_info 0
		.amdhsa_system_vgpr_workitem_id 0
		.amdhsa_next_free_vgpr 1
		.amdhsa_next_free_sgpr 1
		.amdhsa_named_barrier_count 0
		.amdhsa_reserve_vcc 0
		.amdhsa_float_round_mode_32 0
		.amdhsa_float_round_mode_16_64 0
		.amdhsa_float_denorm_mode_32 3
		.amdhsa_float_denorm_mode_16_64 3
		.amdhsa_fp16_overflow 0
		.amdhsa_memory_ordered 1
		.amdhsa_forward_progress 1
		.amdhsa_inst_pref_size 0
		.amdhsa_round_robin_scheduling 0
		.amdhsa_exception_fp_ieee_invalid_op 0
		.amdhsa_exception_fp_denorm_src 0
		.amdhsa_exception_fp_ieee_div_zero 0
		.amdhsa_exception_fp_ieee_overflow 0
		.amdhsa_exception_fp_ieee_underflow 0
		.amdhsa_exception_fp_ieee_inexact 0
		.amdhsa_exception_int_div_zero 0
	.end_amdhsa_kernel
	.section	.text._ZN7rocprim17ROCPRIM_400000_NS6detail17trampoline_kernelINS0_14default_configENS1_36segmented_radix_sort_config_selectorIblEEZNS1_25segmented_radix_sort_implIS3_Lb1EPKbPbPKlPlN2at6native12_GLOBAL__N_18offset_tEEE10hipError_tPvRmT1_PNSt15iterator_traitsISK_E10value_typeET2_T3_PNSL_ISQ_E10value_typeET4_jRbjT5_SW_jjP12ihipStream_tbEUlT_E0_NS1_11comp_targetILNS1_3genE8ELNS1_11target_archE1030ELNS1_3gpuE2ELNS1_3repE0EEENS1_60segmented_radix_sort_warp_sort_medium_config_static_selectorELNS0_4arch9wavefront6targetE0EEEvSK_,"axG",@progbits,_ZN7rocprim17ROCPRIM_400000_NS6detail17trampoline_kernelINS0_14default_configENS1_36segmented_radix_sort_config_selectorIblEEZNS1_25segmented_radix_sort_implIS3_Lb1EPKbPbPKlPlN2at6native12_GLOBAL__N_18offset_tEEE10hipError_tPvRmT1_PNSt15iterator_traitsISK_E10value_typeET2_T3_PNSL_ISQ_E10value_typeET4_jRbjT5_SW_jjP12ihipStream_tbEUlT_E0_NS1_11comp_targetILNS1_3genE8ELNS1_11target_archE1030ELNS1_3gpuE2ELNS1_3repE0EEENS1_60segmented_radix_sort_warp_sort_medium_config_static_selectorELNS0_4arch9wavefront6targetE0EEEvSK_,comdat
.Lfunc_end1543:
	.size	_ZN7rocprim17ROCPRIM_400000_NS6detail17trampoline_kernelINS0_14default_configENS1_36segmented_radix_sort_config_selectorIblEEZNS1_25segmented_radix_sort_implIS3_Lb1EPKbPbPKlPlN2at6native12_GLOBAL__N_18offset_tEEE10hipError_tPvRmT1_PNSt15iterator_traitsISK_E10value_typeET2_T3_PNSL_ISQ_E10value_typeET4_jRbjT5_SW_jjP12ihipStream_tbEUlT_E0_NS1_11comp_targetILNS1_3genE8ELNS1_11target_archE1030ELNS1_3gpuE2ELNS1_3repE0EEENS1_60segmented_radix_sort_warp_sort_medium_config_static_selectorELNS0_4arch9wavefront6targetE0EEEvSK_, .Lfunc_end1543-_ZN7rocprim17ROCPRIM_400000_NS6detail17trampoline_kernelINS0_14default_configENS1_36segmented_radix_sort_config_selectorIblEEZNS1_25segmented_radix_sort_implIS3_Lb1EPKbPbPKlPlN2at6native12_GLOBAL__N_18offset_tEEE10hipError_tPvRmT1_PNSt15iterator_traitsISK_E10value_typeET2_T3_PNSL_ISQ_E10value_typeET4_jRbjT5_SW_jjP12ihipStream_tbEUlT_E0_NS1_11comp_targetILNS1_3genE8ELNS1_11target_archE1030ELNS1_3gpuE2ELNS1_3repE0EEENS1_60segmented_radix_sort_warp_sort_medium_config_static_selectorELNS0_4arch9wavefront6targetE0EEEvSK_
                                        ; -- End function
	.set _ZN7rocprim17ROCPRIM_400000_NS6detail17trampoline_kernelINS0_14default_configENS1_36segmented_radix_sort_config_selectorIblEEZNS1_25segmented_radix_sort_implIS3_Lb1EPKbPbPKlPlN2at6native12_GLOBAL__N_18offset_tEEE10hipError_tPvRmT1_PNSt15iterator_traitsISK_E10value_typeET2_T3_PNSL_ISQ_E10value_typeET4_jRbjT5_SW_jjP12ihipStream_tbEUlT_E0_NS1_11comp_targetILNS1_3genE8ELNS1_11target_archE1030ELNS1_3gpuE2ELNS1_3repE0EEENS1_60segmented_radix_sort_warp_sort_medium_config_static_selectorELNS0_4arch9wavefront6targetE0EEEvSK_.num_vgpr, 0
	.set _ZN7rocprim17ROCPRIM_400000_NS6detail17trampoline_kernelINS0_14default_configENS1_36segmented_radix_sort_config_selectorIblEEZNS1_25segmented_radix_sort_implIS3_Lb1EPKbPbPKlPlN2at6native12_GLOBAL__N_18offset_tEEE10hipError_tPvRmT1_PNSt15iterator_traitsISK_E10value_typeET2_T3_PNSL_ISQ_E10value_typeET4_jRbjT5_SW_jjP12ihipStream_tbEUlT_E0_NS1_11comp_targetILNS1_3genE8ELNS1_11target_archE1030ELNS1_3gpuE2ELNS1_3repE0EEENS1_60segmented_radix_sort_warp_sort_medium_config_static_selectorELNS0_4arch9wavefront6targetE0EEEvSK_.num_agpr, 0
	.set _ZN7rocprim17ROCPRIM_400000_NS6detail17trampoline_kernelINS0_14default_configENS1_36segmented_radix_sort_config_selectorIblEEZNS1_25segmented_radix_sort_implIS3_Lb1EPKbPbPKlPlN2at6native12_GLOBAL__N_18offset_tEEE10hipError_tPvRmT1_PNSt15iterator_traitsISK_E10value_typeET2_T3_PNSL_ISQ_E10value_typeET4_jRbjT5_SW_jjP12ihipStream_tbEUlT_E0_NS1_11comp_targetILNS1_3genE8ELNS1_11target_archE1030ELNS1_3gpuE2ELNS1_3repE0EEENS1_60segmented_radix_sort_warp_sort_medium_config_static_selectorELNS0_4arch9wavefront6targetE0EEEvSK_.numbered_sgpr, 0
	.set _ZN7rocprim17ROCPRIM_400000_NS6detail17trampoline_kernelINS0_14default_configENS1_36segmented_radix_sort_config_selectorIblEEZNS1_25segmented_radix_sort_implIS3_Lb1EPKbPbPKlPlN2at6native12_GLOBAL__N_18offset_tEEE10hipError_tPvRmT1_PNSt15iterator_traitsISK_E10value_typeET2_T3_PNSL_ISQ_E10value_typeET4_jRbjT5_SW_jjP12ihipStream_tbEUlT_E0_NS1_11comp_targetILNS1_3genE8ELNS1_11target_archE1030ELNS1_3gpuE2ELNS1_3repE0EEENS1_60segmented_radix_sort_warp_sort_medium_config_static_selectorELNS0_4arch9wavefront6targetE0EEEvSK_.num_named_barrier, 0
	.set _ZN7rocprim17ROCPRIM_400000_NS6detail17trampoline_kernelINS0_14default_configENS1_36segmented_radix_sort_config_selectorIblEEZNS1_25segmented_radix_sort_implIS3_Lb1EPKbPbPKlPlN2at6native12_GLOBAL__N_18offset_tEEE10hipError_tPvRmT1_PNSt15iterator_traitsISK_E10value_typeET2_T3_PNSL_ISQ_E10value_typeET4_jRbjT5_SW_jjP12ihipStream_tbEUlT_E0_NS1_11comp_targetILNS1_3genE8ELNS1_11target_archE1030ELNS1_3gpuE2ELNS1_3repE0EEENS1_60segmented_radix_sort_warp_sort_medium_config_static_selectorELNS0_4arch9wavefront6targetE0EEEvSK_.private_seg_size, 0
	.set _ZN7rocprim17ROCPRIM_400000_NS6detail17trampoline_kernelINS0_14default_configENS1_36segmented_radix_sort_config_selectorIblEEZNS1_25segmented_radix_sort_implIS3_Lb1EPKbPbPKlPlN2at6native12_GLOBAL__N_18offset_tEEE10hipError_tPvRmT1_PNSt15iterator_traitsISK_E10value_typeET2_T3_PNSL_ISQ_E10value_typeET4_jRbjT5_SW_jjP12ihipStream_tbEUlT_E0_NS1_11comp_targetILNS1_3genE8ELNS1_11target_archE1030ELNS1_3gpuE2ELNS1_3repE0EEENS1_60segmented_radix_sort_warp_sort_medium_config_static_selectorELNS0_4arch9wavefront6targetE0EEEvSK_.uses_vcc, 0
	.set _ZN7rocprim17ROCPRIM_400000_NS6detail17trampoline_kernelINS0_14default_configENS1_36segmented_radix_sort_config_selectorIblEEZNS1_25segmented_radix_sort_implIS3_Lb1EPKbPbPKlPlN2at6native12_GLOBAL__N_18offset_tEEE10hipError_tPvRmT1_PNSt15iterator_traitsISK_E10value_typeET2_T3_PNSL_ISQ_E10value_typeET4_jRbjT5_SW_jjP12ihipStream_tbEUlT_E0_NS1_11comp_targetILNS1_3genE8ELNS1_11target_archE1030ELNS1_3gpuE2ELNS1_3repE0EEENS1_60segmented_radix_sort_warp_sort_medium_config_static_selectorELNS0_4arch9wavefront6targetE0EEEvSK_.uses_flat_scratch, 0
	.set _ZN7rocprim17ROCPRIM_400000_NS6detail17trampoline_kernelINS0_14default_configENS1_36segmented_radix_sort_config_selectorIblEEZNS1_25segmented_radix_sort_implIS3_Lb1EPKbPbPKlPlN2at6native12_GLOBAL__N_18offset_tEEE10hipError_tPvRmT1_PNSt15iterator_traitsISK_E10value_typeET2_T3_PNSL_ISQ_E10value_typeET4_jRbjT5_SW_jjP12ihipStream_tbEUlT_E0_NS1_11comp_targetILNS1_3genE8ELNS1_11target_archE1030ELNS1_3gpuE2ELNS1_3repE0EEENS1_60segmented_radix_sort_warp_sort_medium_config_static_selectorELNS0_4arch9wavefront6targetE0EEEvSK_.has_dyn_sized_stack, 0
	.set _ZN7rocprim17ROCPRIM_400000_NS6detail17trampoline_kernelINS0_14default_configENS1_36segmented_radix_sort_config_selectorIblEEZNS1_25segmented_radix_sort_implIS3_Lb1EPKbPbPKlPlN2at6native12_GLOBAL__N_18offset_tEEE10hipError_tPvRmT1_PNSt15iterator_traitsISK_E10value_typeET2_T3_PNSL_ISQ_E10value_typeET4_jRbjT5_SW_jjP12ihipStream_tbEUlT_E0_NS1_11comp_targetILNS1_3genE8ELNS1_11target_archE1030ELNS1_3gpuE2ELNS1_3repE0EEENS1_60segmented_radix_sort_warp_sort_medium_config_static_selectorELNS0_4arch9wavefront6targetE0EEEvSK_.has_recursion, 0
	.set _ZN7rocprim17ROCPRIM_400000_NS6detail17trampoline_kernelINS0_14default_configENS1_36segmented_radix_sort_config_selectorIblEEZNS1_25segmented_radix_sort_implIS3_Lb1EPKbPbPKlPlN2at6native12_GLOBAL__N_18offset_tEEE10hipError_tPvRmT1_PNSt15iterator_traitsISK_E10value_typeET2_T3_PNSL_ISQ_E10value_typeET4_jRbjT5_SW_jjP12ihipStream_tbEUlT_E0_NS1_11comp_targetILNS1_3genE8ELNS1_11target_archE1030ELNS1_3gpuE2ELNS1_3repE0EEENS1_60segmented_radix_sort_warp_sort_medium_config_static_selectorELNS0_4arch9wavefront6targetE0EEEvSK_.has_indirect_call, 0
	.section	.AMDGPU.csdata,"",@progbits
; Kernel info:
; codeLenInByte = 0
; TotalNumSgprs: 0
; NumVgprs: 0
; ScratchSize: 0
; MemoryBound: 0
; FloatMode: 240
; IeeeMode: 1
; LDSByteSize: 0 bytes/workgroup (compile time only)
; SGPRBlocks: 0
; VGPRBlocks: 0
; NumSGPRsForWavesPerEU: 1
; NumVGPRsForWavesPerEU: 1
; NamedBarCnt: 0
; Occupancy: 16
; WaveLimiterHint : 0
; COMPUTE_PGM_RSRC2:SCRATCH_EN: 0
; COMPUTE_PGM_RSRC2:USER_SGPR: 2
; COMPUTE_PGM_RSRC2:TRAP_HANDLER: 0
; COMPUTE_PGM_RSRC2:TGID_X_EN: 1
; COMPUTE_PGM_RSRC2:TGID_Y_EN: 0
; COMPUTE_PGM_RSRC2:TGID_Z_EN: 0
; COMPUTE_PGM_RSRC2:TIDIG_COMP_CNT: 0
	.section	.text._ZN7rocprim17ROCPRIM_400000_NS6detail17trampoline_kernelINS0_14default_configENS1_36segmented_radix_sort_config_selectorIblEEZNS1_25segmented_radix_sort_implIS3_Lb1EPKbPbPKlPlN2at6native12_GLOBAL__N_18offset_tEEE10hipError_tPvRmT1_PNSt15iterator_traitsISK_E10value_typeET2_T3_PNSL_ISQ_E10value_typeET4_jRbjT5_SW_jjP12ihipStream_tbEUlT_E1_NS1_11comp_targetILNS1_3genE0ELNS1_11target_archE4294967295ELNS1_3gpuE0ELNS1_3repE0EEENS1_59segmented_radix_sort_warp_sort_small_config_static_selectorELNS0_4arch9wavefront6targetE0EEEvSK_,"axG",@progbits,_ZN7rocprim17ROCPRIM_400000_NS6detail17trampoline_kernelINS0_14default_configENS1_36segmented_radix_sort_config_selectorIblEEZNS1_25segmented_radix_sort_implIS3_Lb1EPKbPbPKlPlN2at6native12_GLOBAL__N_18offset_tEEE10hipError_tPvRmT1_PNSt15iterator_traitsISK_E10value_typeET2_T3_PNSL_ISQ_E10value_typeET4_jRbjT5_SW_jjP12ihipStream_tbEUlT_E1_NS1_11comp_targetILNS1_3genE0ELNS1_11target_archE4294967295ELNS1_3gpuE0ELNS1_3repE0EEENS1_59segmented_radix_sort_warp_sort_small_config_static_selectorELNS0_4arch9wavefront6targetE0EEEvSK_,comdat
	.globl	_ZN7rocprim17ROCPRIM_400000_NS6detail17trampoline_kernelINS0_14default_configENS1_36segmented_radix_sort_config_selectorIblEEZNS1_25segmented_radix_sort_implIS3_Lb1EPKbPbPKlPlN2at6native12_GLOBAL__N_18offset_tEEE10hipError_tPvRmT1_PNSt15iterator_traitsISK_E10value_typeET2_T3_PNSL_ISQ_E10value_typeET4_jRbjT5_SW_jjP12ihipStream_tbEUlT_E1_NS1_11comp_targetILNS1_3genE0ELNS1_11target_archE4294967295ELNS1_3gpuE0ELNS1_3repE0EEENS1_59segmented_radix_sort_warp_sort_small_config_static_selectorELNS0_4arch9wavefront6targetE0EEEvSK_ ; -- Begin function _ZN7rocprim17ROCPRIM_400000_NS6detail17trampoline_kernelINS0_14default_configENS1_36segmented_radix_sort_config_selectorIblEEZNS1_25segmented_radix_sort_implIS3_Lb1EPKbPbPKlPlN2at6native12_GLOBAL__N_18offset_tEEE10hipError_tPvRmT1_PNSt15iterator_traitsISK_E10value_typeET2_T3_PNSL_ISQ_E10value_typeET4_jRbjT5_SW_jjP12ihipStream_tbEUlT_E1_NS1_11comp_targetILNS1_3genE0ELNS1_11target_archE4294967295ELNS1_3gpuE0ELNS1_3repE0EEENS1_59segmented_radix_sort_warp_sort_small_config_static_selectorELNS0_4arch9wavefront6targetE0EEEvSK_
	.p2align	8
	.type	_ZN7rocprim17ROCPRIM_400000_NS6detail17trampoline_kernelINS0_14default_configENS1_36segmented_radix_sort_config_selectorIblEEZNS1_25segmented_radix_sort_implIS3_Lb1EPKbPbPKlPlN2at6native12_GLOBAL__N_18offset_tEEE10hipError_tPvRmT1_PNSt15iterator_traitsISK_E10value_typeET2_T3_PNSL_ISQ_E10value_typeET4_jRbjT5_SW_jjP12ihipStream_tbEUlT_E1_NS1_11comp_targetILNS1_3genE0ELNS1_11target_archE4294967295ELNS1_3gpuE0ELNS1_3repE0EEENS1_59segmented_radix_sort_warp_sort_small_config_static_selectorELNS0_4arch9wavefront6targetE0EEEvSK_,@function
_ZN7rocprim17ROCPRIM_400000_NS6detail17trampoline_kernelINS0_14default_configENS1_36segmented_radix_sort_config_selectorIblEEZNS1_25segmented_radix_sort_implIS3_Lb1EPKbPbPKlPlN2at6native12_GLOBAL__N_18offset_tEEE10hipError_tPvRmT1_PNSt15iterator_traitsISK_E10value_typeET2_T3_PNSL_ISQ_E10value_typeET4_jRbjT5_SW_jjP12ihipStream_tbEUlT_E1_NS1_11comp_targetILNS1_3genE0ELNS1_11target_archE4294967295ELNS1_3gpuE0ELNS1_3repE0EEENS1_59segmented_radix_sort_warp_sort_small_config_static_selectorELNS0_4arch9wavefront6targetE0EEEvSK_: ; @_ZN7rocprim17ROCPRIM_400000_NS6detail17trampoline_kernelINS0_14default_configENS1_36segmented_radix_sort_config_selectorIblEEZNS1_25segmented_radix_sort_implIS3_Lb1EPKbPbPKlPlN2at6native12_GLOBAL__N_18offset_tEEE10hipError_tPvRmT1_PNSt15iterator_traitsISK_E10value_typeET2_T3_PNSL_ISQ_E10value_typeET4_jRbjT5_SW_jjP12ihipStream_tbEUlT_E1_NS1_11comp_targetILNS1_3genE0ELNS1_11target_archE4294967295ELNS1_3gpuE0ELNS1_3repE0EEENS1_59segmented_radix_sort_warp_sort_small_config_static_selectorELNS0_4arch9wavefront6targetE0EEEvSK_
; %bb.0:
	s_load_b32 s4, s[2:3], 0x64
	v_bfe_u32 v1, v0, 10, 10
	v_bfe_u32 v2, v0, 20, 10
	v_and_b32_e32 v3, 0x3ff, v0
	s_and_b32 s6, ttmp6, 15
	s_getreg_b32 s7, hwreg(HW_REG_IB_STS2, 6, 4)
	s_mov_b32 s32, 0
	s_wait_kmcnt 0x0
	s_lshr_b32 s5, s4, 16
	s_and_b32 s4, s4, 0xffff
	v_mad_u32_u24 v1, v2, s5, v1
	s_bfe_u32 s5, ttmp6, 0x4000c
	s_delay_alu instid0(SALU_CYCLE_1) | instskip(NEXT) | instid1(SALU_CYCLE_1)
	s_add_co_i32 s5, s5, 1
	s_mul_i32 s5, ttmp9, s5
	s_delay_alu instid0(VALU_DEP_1) | instskip(SKIP_4) | instid1(VALU_DEP_1)
	v_mad_u32 v1, v1, s4, v3
	s_load_b32 s4, s[2:3], 0x34
	s_add_co_i32 s6, s6, s5
	s_cmp_eq_u32 s7, 0
	s_cselect_b32 s5, ttmp9, s6
	v_lshrrev_b32_e32 v1, 5, v1
	s_delay_alu instid0(VALU_DEP_1) | instskip(SKIP_1) | instid1(VALU_DEP_1)
	v_lshl_add_u32 v2, s5, 3, v1
	s_wait_kmcnt 0x0
	v_cmp_gt_u32_e32 vcc_lo, s4, v2
	s_and_saveexec_b32 s4, vcc_lo
	s_cbranch_execz .LBB1544_6
; %bb.1:
	s_clause 0x1
	s_load_b64 s[8:9], s[2:3], 0x38
	s_load_b128 s[4:7], s[2:3], 0x40
	v_mov_b32_e32 v3, 0
	s_delay_alu instid0(VALU_DEP_1) | instskip(SKIP_1) | instid1(VALU_DEP_1)
	v_lshlrev_b64_e32 v[2:3], 2, v[2:3]
	s_wait_kmcnt 0x0
	v_sub_nc_u64_e32 v[2:3], s[8:9], v[2:3]
	global_load_b32 v1, v[2:3], off offset:-4
	s_wait_loadcnt 0x0
	v_dual_add_nc_u32 v2, s5, v1 :: v_dual_add_nc_u32 v1, s7, v1
	s_delay_alu instid0(VALU_DEP_1) | instskip(NEXT) | instid1(VALU_DEP_2)
	v_mul_lo_u32 v8, v2, s4
	v_mul_lo_u32 v40, v1, s6
	s_delay_alu instid0(VALU_DEP_1)
	v_cmp_gt_u32_e32 vcc_lo, v40, v8
	s_and_b32 exec_lo, exec_lo, vcc_lo
	s_cbranch_execz .LBB1544_6
; %bb.2:
	s_clause 0x3
	s_load_b32 s4, s[2:3], 0x30
	s_load_b128 s[36:39], s[2:3], 0x20
	s_load_b256 s[20:27], s[2:3], 0x0
	s_load_b64 s[18:19], s[2:3], 0x50
	s_add_nc_u64 s[16:17], s[2:3], 0x58
	s_get_pc_i64 s[28:29]
	s_add_nc_u64 s[28:29], s[28:29], _ZN7rocprim17ROCPRIM_400000_NS6detail26segmented_warp_sort_helperINS1_20WarpSortHelperConfigILj32ELj4ELj256EEEblLi256ELb1EvE4sortIPKbPbPKlPlEEvT_T0_T1_T2_jjjjRNS5_12storage_typeE@rel64+4
	s_wait_kmcnt 0x0
	s_bitcmp0_b32 s4, 0
	s_mov_b32 s4, -1
	s_cbranch_scc0 .LBB1544_4
; %bb.3:
	s_mov_b64 s[2:3], src_shared_base
	v_dual_mov_b32 v31, v0 :: v_dual_mov_b32 v41, v0
	v_dual_mov_b32 v0, s20 :: v_dual_mov_b32 v1, s21
	;; [unrolled: 1-line block ×7, first 2 shown]
	v_mov_b32_e32 v13, s3
	s_mov_b64 s[6:7], s[0:1]
	s_mov_b64 s[8:9], s[16:17]
	;; [unrolled: 1-line block ×3, first 2 shown]
	s_swap_pc_i64 s[30:31], s[28:29]
	v_mov_b32_e32 v0, v41
	s_mov_b64 s[0:1], s[22:23]
	s_mov_b32 s4, 0
.LBB1544_4:
	s_delay_alu instid0(SALU_CYCLE_1)
	s_and_not1_b32 vcc_lo, exec_lo, s4
	s_cbranch_vccnz .LBB1544_6
; %bb.5:
	s_mov_b64 s[2:3], src_shared_base
	v_dual_mov_b32 v31, v0 :: v_dual_mov_b32 v0, s20
	v_dual_mov_b32 v1, s21 :: v_dual_mov_b32 v2, s24
	;; [unrolled: 1-line block ×7, first 2 shown]
	s_mov_b64 s[6:7], s[0:1]
	s_mov_b64 s[8:9], s[16:17]
	s_swap_pc_i64 s[30:31], s[28:29]
.LBB1544_6:
	s_endpgm
	.section	.rodata,"a",@progbits
	.p2align	6, 0x0
	.amdhsa_kernel _ZN7rocprim17ROCPRIM_400000_NS6detail17trampoline_kernelINS0_14default_configENS1_36segmented_radix_sort_config_selectorIblEEZNS1_25segmented_radix_sort_implIS3_Lb1EPKbPbPKlPlN2at6native12_GLOBAL__N_18offset_tEEE10hipError_tPvRmT1_PNSt15iterator_traitsISK_E10value_typeET2_T3_PNSL_ISQ_E10value_typeET4_jRbjT5_SW_jjP12ihipStream_tbEUlT_E1_NS1_11comp_targetILNS1_3genE0ELNS1_11target_archE4294967295ELNS1_3gpuE0ELNS1_3repE0EEENS1_59segmented_radix_sort_warp_sort_small_config_static_selectorELNS0_4arch9wavefront6targetE0EEEvSK_
		.amdhsa_group_segment_fixed_size 9216
		.amdhsa_private_segment_fixed_size 12
		.amdhsa_kernarg_size 344
		.amdhsa_user_sgpr_count 4
		.amdhsa_user_sgpr_dispatch_ptr 0
		.amdhsa_user_sgpr_queue_ptr 1
		.amdhsa_user_sgpr_kernarg_segment_ptr 1
		.amdhsa_user_sgpr_dispatch_id 0
		.amdhsa_user_sgpr_kernarg_preload_length 0
		.amdhsa_user_sgpr_kernarg_preload_offset 0
		.amdhsa_user_sgpr_private_segment_size 0
		.amdhsa_wavefront_size32 1
		.amdhsa_uses_dynamic_stack 0
		.amdhsa_enable_private_segment 1
		.amdhsa_system_sgpr_workgroup_id_x 1
		.amdhsa_system_sgpr_workgroup_id_y 1
		.amdhsa_system_sgpr_workgroup_id_z 0
		.amdhsa_system_sgpr_workgroup_info 0
		.amdhsa_system_vgpr_workitem_id 2
		.amdhsa_next_free_vgpr 54
		.amdhsa_next_free_sgpr 40
		.amdhsa_named_barrier_count 0
		.amdhsa_reserve_vcc 1
		.amdhsa_float_round_mode_32 0
		.amdhsa_float_round_mode_16_64 0
		.amdhsa_float_denorm_mode_32 3
		.amdhsa_float_denorm_mode_16_64 3
		.amdhsa_fp16_overflow 0
		.amdhsa_memory_ordered 1
		.amdhsa_forward_progress 1
		.amdhsa_inst_pref_size 5
		.amdhsa_round_robin_scheduling 0
		.amdhsa_exception_fp_ieee_invalid_op 0
		.amdhsa_exception_fp_denorm_src 0
		.amdhsa_exception_fp_ieee_div_zero 0
		.amdhsa_exception_fp_ieee_overflow 0
		.amdhsa_exception_fp_ieee_underflow 0
		.amdhsa_exception_fp_ieee_inexact 0
		.amdhsa_exception_int_div_zero 0
	.end_amdhsa_kernel
	.section	.text._ZN7rocprim17ROCPRIM_400000_NS6detail17trampoline_kernelINS0_14default_configENS1_36segmented_radix_sort_config_selectorIblEEZNS1_25segmented_radix_sort_implIS3_Lb1EPKbPbPKlPlN2at6native12_GLOBAL__N_18offset_tEEE10hipError_tPvRmT1_PNSt15iterator_traitsISK_E10value_typeET2_T3_PNSL_ISQ_E10value_typeET4_jRbjT5_SW_jjP12ihipStream_tbEUlT_E1_NS1_11comp_targetILNS1_3genE0ELNS1_11target_archE4294967295ELNS1_3gpuE0ELNS1_3repE0EEENS1_59segmented_radix_sort_warp_sort_small_config_static_selectorELNS0_4arch9wavefront6targetE0EEEvSK_,"axG",@progbits,_ZN7rocprim17ROCPRIM_400000_NS6detail17trampoline_kernelINS0_14default_configENS1_36segmented_radix_sort_config_selectorIblEEZNS1_25segmented_radix_sort_implIS3_Lb1EPKbPbPKlPlN2at6native12_GLOBAL__N_18offset_tEEE10hipError_tPvRmT1_PNSt15iterator_traitsISK_E10value_typeET2_T3_PNSL_ISQ_E10value_typeET4_jRbjT5_SW_jjP12ihipStream_tbEUlT_E1_NS1_11comp_targetILNS1_3genE0ELNS1_11target_archE4294967295ELNS1_3gpuE0ELNS1_3repE0EEENS1_59segmented_radix_sort_warp_sort_small_config_static_selectorELNS0_4arch9wavefront6targetE0EEEvSK_,comdat
.Lfunc_end1544:
	.size	_ZN7rocprim17ROCPRIM_400000_NS6detail17trampoline_kernelINS0_14default_configENS1_36segmented_radix_sort_config_selectorIblEEZNS1_25segmented_radix_sort_implIS3_Lb1EPKbPbPKlPlN2at6native12_GLOBAL__N_18offset_tEEE10hipError_tPvRmT1_PNSt15iterator_traitsISK_E10value_typeET2_T3_PNSL_ISQ_E10value_typeET4_jRbjT5_SW_jjP12ihipStream_tbEUlT_E1_NS1_11comp_targetILNS1_3genE0ELNS1_11target_archE4294967295ELNS1_3gpuE0ELNS1_3repE0EEENS1_59segmented_radix_sort_warp_sort_small_config_static_selectorELNS0_4arch9wavefront6targetE0EEEvSK_, .Lfunc_end1544-_ZN7rocprim17ROCPRIM_400000_NS6detail17trampoline_kernelINS0_14default_configENS1_36segmented_radix_sort_config_selectorIblEEZNS1_25segmented_radix_sort_implIS3_Lb1EPKbPbPKlPlN2at6native12_GLOBAL__N_18offset_tEEE10hipError_tPvRmT1_PNSt15iterator_traitsISK_E10value_typeET2_T3_PNSL_ISQ_E10value_typeET4_jRbjT5_SW_jjP12ihipStream_tbEUlT_E1_NS1_11comp_targetILNS1_3genE0ELNS1_11target_archE4294967295ELNS1_3gpuE0ELNS1_3repE0EEENS1_59segmented_radix_sort_warp_sort_small_config_static_selectorELNS0_4arch9wavefront6targetE0EEEvSK_
                                        ; -- End function
	.set _ZN7rocprim17ROCPRIM_400000_NS6detail17trampoline_kernelINS0_14default_configENS1_36segmented_radix_sort_config_selectorIblEEZNS1_25segmented_radix_sort_implIS3_Lb1EPKbPbPKlPlN2at6native12_GLOBAL__N_18offset_tEEE10hipError_tPvRmT1_PNSt15iterator_traitsISK_E10value_typeET2_T3_PNSL_ISQ_E10value_typeET4_jRbjT5_SW_jjP12ihipStream_tbEUlT_E1_NS1_11comp_targetILNS1_3genE0ELNS1_11target_archE4294967295ELNS1_3gpuE0ELNS1_3repE0EEENS1_59segmented_radix_sort_warp_sort_small_config_static_selectorELNS0_4arch9wavefront6targetE0EEEvSK_.num_vgpr, max(42, .L_ZN7rocprim17ROCPRIM_400000_NS6detail26segmented_warp_sort_helperINS1_20WarpSortHelperConfigILj32ELj4ELj256EEEblLi256ELb1EvE4sortIPKbPbPKlPlEEvT_T0_T1_T2_jjjjRNS5_12storage_typeE.num_vgpr)
	.set _ZN7rocprim17ROCPRIM_400000_NS6detail17trampoline_kernelINS0_14default_configENS1_36segmented_radix_sort_config_selectorIblEEZNS1_25segmented_radix_sort_implIS3_Lb1EPKbPbPKlPlN2at6native12_GLOBAL__N_18offset_tEEE10hipError_tPvRmT1_PNSt15iterator_traitsISK_E10value_typeET2_T3_PNSL_ISQ_E10value_typeET4_jRbjT5_SW_jjP12ihipStream_tbEUlT_E1_NS1_11comp_targetILNS1_3genE0ELNS1_11target_archE4294967295ELNS1_3gpuE0ELNS1_3repE0EEENS1_59segmented_radix_sort_warp_sort_small_config_static_selectorELNS0_4arch9wavefront6targetE0EEEvSK_.num_agpr, max(0, .L_ZN7rocprim17ROCPRIM_400000_NS6detail26segmented_warp_sort_helperINS1_20WarpSortHelperConfigILj32ELj4ELj256EEEblLi256ELb1EvE4sortIPKbPbPKlPlEEvT_T0_T1_T2_jjjjRNS5_12storage_typeE.num_agpr)
	.set _ZN7rocprim17ROCPRIM_400000_NS6detail17trampoline_kernelINS0_14default_configENS1_36segmented_radix_sort_config_selectorIblEEZNS1_25segmented_radix_sort_implIS3_Lb1EPKbPbPKlPlN2at6native12_GLOBAL__N_18offset_tEEE10hipError_tPvRmT1_PNSt15iterator_traitsISK_E10value_typeET2_T3_PNSL_ISQ_E10value_typeET4_jRbjT5_SW_jjP12ihipStream_tbEUlT_E1_NS1_11comp_targetILNS1_3genE0ELNS1_11target_archE4294967295ELNS1_3gpuE0ELNS1_3repE0EEENS1_59segmented_radix_sort_warp_sort_small_config_static_selectorELNS0_4arch9wavefront6targetE0EEEvSK_.numbered_sgpr, max(40, .L_ZN7rocprim17ROCPRIM_400000_NS6detail26segmented_warp_sort_helperINS1_20WarpSortHelperConfigILj32ELj4ELj256EEEblLi256ELb1EvE4sortIPKbPbPKlPlEEvT_T0_T1_T2_jjjjRNS5_12storage_typeE.numbered_sgpr)
	.set _ZN7rocprim17ROCPRIM_400000_NS6detail17trampoline_kernelINS0_14default_configENS1_36segmented_radix_sort_config_selectorIblEEZNS1_25segmented_radix_sort_implIS3_Lb1EPKbPbPKlPlN2at6native12_GLOBAL__N_18offset_tEEE10hipError_tPvRmT1_PNSt15iterator_traitsISK_E10value_typeET2_T3_PNSL_ISQ_E10value_typeET4_jRbjT5_SW_jjP12ihipStream_tbEUlT_E1_NS1_11comp_targetILNS1_3genE0ELNS1_11target_archE4294967295ELNS1_3gpuE0ELNS1_3repE0EEENS1_59segmented_radix_sort_warp_sort_small_config_static_selectorELNS0_4arch9wavefront6targetE0EEEvSK_.num_named_barrier, max(0, .L_ZN7rocprim17ROCPRIM_400000_NS6detail26segmented_warp_sort_helperINS1_20WarpSortHelperConfigILj32ELj4ELj256EEEblLi256ELb1EvE4sortIPKbPbPKlPlEEvT_T0_T1_T2_jjjjRNS5_12storage_typeE.num_named_barrier)
	.set _ZN7rocprim17ROCPRIM_400000_NS6detail17trampoline_kernelINS0_14default_configENS1_36segmented_radix_sort_config_selectorIblEEZNS1_25segmented_radix_sort_implIS3_Lb1EPKbPbPKlPlN2at6native12_GLOBAL__N_18offset_tEEE10hipError_tPvRmT1_PNSt15iterator_traitsISK_E10value_typeET2_T3_PNSL_ISQ_E10value_typeET4_jRbjT5_SW_jjP12ihipStream_tbEUlT_E1_NS1_11comp_targetILNS1_3genE0ELNS1_11target_archE4294967295ELNS1_3gpuE0ELNS1_3repE0EEENS1_59segmented_radix_sort_warp_sort_small_config_static_selectorELNS0_4arch9wavefront6targetE0EEEvSK_.private_seg_size, 0+max(.L_ZN7rocprim17ROCPRIM_400000_NS6detail26segmented_warp_sort_helperINS1_20WarpSortHelperConfigILj32ELj4ELj256EEEblLi256ELb1EvE4sortIPKbPbPKlPlEEvT_T0_T1_T2_jjjjRNS5_12storage_typeE.private_seg_size)
	.set _ZN7rocprim17ROCPRIM_400000_NS6detail17trampoline_kernelINS0_14default_configENS1_36segmented_radix_sort_config_selectorIblEEZNS1_25segmented_radix_sort_implIS3_Lb1EPKbPbPKlPlN2at6native12_GLOBAL__N_18offset_tEEE10hipError_tPvRmT1_PNSt15iterator_traitsISK_E10value_typeET2_T3_PNSL_ISQ_E10value_typeET4_jRbjT5_SW_jjP12ihipStream_tbEUlT_E1_NS1_11comp_targetILNS1_3genE0ELNS1_11target_archE4294967295ELNS1_3gpuE0ELNS1_3repE0EEENS1_59segmented_radix_sort_warp_sort_small_config_static_selectorELNS0_4arch9wavefront6targetE0EEEvSK_.uses_vcc, or(1, .L_ZN7rocprim17ROCPRIM_400000_NS6detail26segmented_warp_sort_helperINS1_20WarpSortHelperConfigILj32ELj4ELj256EEEblLi256ELb1EvE4sortIPKbPbPKlPlEEvT_T0_T1_T2_jjjjRNS5_12storage_typeE.uses_vcc)
	.set _ZN7rocprim17ROCPRIM_400000_NS6detail17trampoline_kernelINS0_14default_configENS1_36segmented_radix_sort_config_selectorIblEEZNS1_25segmented_radix_sort_implIS3_Lb1EPKbPbPKlPlN2at6native12_GLOBAL__N_18offset_tEEE10hipError_tPvRmT1_PNSt15iterator_traitsISK_E10value_typeET2_T3_PNSL_ISQ_E10value_typeET4_jRbjT5_SW_jjP12ihipStream_tbEUlT_E1_NS1_11comp_targetILNS1_3genE0ELNS1_11target_archE4294967295ELNS1_3gpuE0ELNS1_3repE0EEENS1_59segmented_radix_sort_warp_sort_small_config_static_selectorELNS0_4arch9wavefront6targetE0EEEvSK_.uses_flat_scratch, or(0, .L_ZN7rocprim17ROCPRIM_400000_NS6detail26segmented_warp_sort_helperINS1_20WarpSortHelperConfigILj32ELj4ELj256EEEblLi256ELb1EvE4sortIPKbPbPKlPlEEvT_T0_T1_T2_jjjjRNS5_12storage_typeE.uses_flat_scratch)
	.set _ZN7rocprim17ROCPRIM_400000_NS6detail17trampoline_kernelINS0_14default_configENS1_36segmented_radix_sort_config_selectorIblEEZNS1_25segmented_radix_sort_implIS3_Lb1EPKbPbPKlPlN2at6native12_GLOBAL__N_18offset_tEEE10hipError_tPvRmT1_PNSt15iterator_traitsISK_E10value_typeET2_T3_PNSL_ISQ_E10value_typeET4_jRbjT5_SW_jjP12ihipStream_tbEUlT_E1_NS1_11comp_targetILNS1_3genE0ELNS1_11target_archE4294967295ELNS1_3gpuE0ELNS1_3repE0EEENS1_59segmented_radix_sort_warp_sort_small_config_static_selectorELNS0_4arch9wavefront6targetE0EEEvSK_.has_dyn_sized_stack, or(0, .L_ZN7rocprim17ROCPRIM_400000_NS6detail26segmented_warp_sort_helperINS1_20WarpSortHelperConfigILj32ELj4ELj256EEEblLi256ELb1EvE4sortIPKbPbPKlPlEEvT_T0_T1_T2_jjjjRNS5_12storage_typeE.has_dyn_sized_stack)
	.set _ZN7rocprim17ROCPRIM_400000_NS6detail17trampoline_kernelINS0_14default_configENS1_36segmented_radix_sort_config_selectorIblEEZNS1_25segmented_radix_sort_implIS3_Lb1EPKbPbPKlPlN2at6native12_GLOBAL__N_18offset_tEEE10hipError_tPvRmT1_PNSt15iterator_traitsISK_E10value_typeET2_T3_PNSL_ISQ_E10value_typeET4_jRbjT5_SW_jjP12ihipStream_tbEUlT_E1_NS1_11comp_targetILNS1_3genE0ELNS1_11target_archE4294967295ELNS1_3gpuE0ELNS1_3repE0EEENS1_59segmented_radix_sort_warp_sort_small_config_static_selectorELNS0_4arch9wavefront6targetE0EEEvSK_.has_recursion, or(0, .L_ZN7rocprim17ROCPRIM_400000_NS6detail26segmented_warp_sort_helperINS1_20WarpSortHelperConfigILj32ELj4ELj256EEEblLi256ELb1EvE4sortIPKbPbPKlPlEEvT_T0_T1_T2_jjjjRNS5_12storage_typeE.has_recursion)
	.set _ZN7rocprim17ROCPRIM_400000_NS6detail17trampoline_kernelINS0_14default_configENS1_36segmented_radix_sort_config_selectorIblEEZNS1_25segmented_radix_sort_implIS3_Lb1EPKbPbPKlPlN2at6native12_GLOBAL__N_18offset_tEEE10hipError_tPvRmT1_PNSt15iterator_traitsISK_E10value_typeET2_T3_PNSL_ISQ_E10value_typeET4_jRbjT5_SW_jjP12ihipStream_tbEUlT_E1_NS1_11comp_targetILNS1_3genE0ELNS1_11target_archE4294967295ELNS1_3gpuE0ELNS1_3repE0EEENS1_59segmented_radix_sort_warp_sort_small_config_static_selectorELNS0_4arch9wavefront6targetE0EEEvSK_.has_indirect_call, or(0, .L_ZN7rocprim17ROCPRIM_400000_NS6detail26segmented_warp_sort_helperINS1_20WarpSortHelperConfigILj32ELj4ELj256EEEblLi256ELb1EvE4sortIPKbPbPKlPlEEvT_T0_T1_T2_jjjjRNS5_12storage_typeE.has_indirect_call)
	.section	.AMDGPU.csdata,"",@progbits
; Kernel info:
; codeLenInByte = 520
; TotalNumSgprs: 42
; NumVgprs: 54
; ScratchSize: 12
; MemoryBound: 0
; FloatMode: 240
; IeeeMode: 1
; LDSByteSize: 9216 bytes/workgroup (compile time only)
; SGPRBlocks: 0
; VGPRBlocks: 3
; NumSGPRsForWavesPerEU: 42
; NumVGPRsForWavesPerEU: 54
; NamedBarCnt: 0
; Occupancy: 16
; WaveLimiterHint : 0
; COMPUTE_PGM_RSRC2:SCRATCH_EN: 1
; COMPUTE_PGM_RSRC2:USER_SGPR: 4
; COMPUTE_PGM_RSRC2:TRAP_HANDLER: 0
; COMPUTE_PGM_RSRC2:TGID_X_EN: 1
; COMPUTE_PGM_RSRC2:TGID_Y_EN: 1
; COMPUTE_PGM_RSRC2:TGID_Z_EN: 0
; COMPUTE_PGM_RSRC2:TIDIG_COMP_CNT: 2
	.section	.text._ZN7rocprim17ROCPRIM_400000_NS6detail17trampoline_kernelINS0_14default_configENS1_36segmented_radix_sort_config_selectorIblEEZNS1_25segmented_radix_sort_implIS3_Lb1EPKbPbPKlPlN2at6native12_GLOBAL__N_18offset_tEEE10hipError_tPvRmT1_PNSt15iterator_traitsISK_E10value_typeET2_T3_PNSL_ISQ_E10value_typeET4_jRbjT5_SW_jjP12ihipStream_tbEUlT_E1_NS1_11comp_targetILNS1_3genE5ELNS1_11target_archE942ELNS1_3gpuE9ELNS1_3repE0EEENS1_59segmented_radix_sort_warp_sort_small_config_static_selectorELNS0_4arch9wavefront6targetE0EEEvSK_,"axG",@progbits,_ZN7rocprim17ROCPRIM_400000_NS6detail17trampoline_kernelINS0_14default_configENS1_36segmented_radix_sort_config_selectorIblEEZNS1_25segmented_radix_sort_implIS3_Lb1EPKbPbPKlPlN2at6native12_GLOBAL__N_18offset_tEEE10hipError_tPvRmT1_PNSt15iterator_traitsISK_E10value_typeET2_T3_PNSL_ISQ_E10value_typeET4_jRbjT5_SW_jjP12ihipStream_tbEUlT_E1_NS1_11comp_targetILNS1_3genE5ELNS1_11target_archE942ELNS1_3gpuE9ELNS1_3repE0EEENS1_59segmented_radix_sort_warp_sort_small_config_static_selectorELNS0_4arch9wavefront6targetE0EEEvSK_,comdat
	.globl	_ZN7rocprim17ROCPRIM_400000_NS6detail17trampoline_kernelINS0_14default_configENS1_36segmented_radix_sort_config_selectorIblEEZNS1_25segmented_radix_sort_implIS3_Lb1EPKbPbPKlPlN2at6native12_GLOBAL__N_18offset_tEEE10hipError_tPvRmT1_PNSt15iterator_traitsISK_E10value_typeET2_T3_PNSL_ISQ_E10value_typeET4_jRbjT5_SW_jjP12ihipStream_tbEUlT_E1_NS1_11comp_targetILNS1_3genE5ELNS1_11target_archE942ELNS1_3gpuE9ELNS1_3repE0EEENS1_59segmented_radix_sort_warp_sort_small_config_static_selectorELNS0_4arch9wavefront6targetE0EEEvSK_ ; -- Begin function _ZN7rocprim17ROCPRIM_400000_NS6detail17trampoline_kernelINS0_14default_configENS1_36segmented_radix_sort_config_selectorIblEEZNS1_25segmented_radix_sort_implIS3_Lb1EPKbPbPKlPlN2at6native12_GLOBAL__N_18offset_tEEE10hipError_tPvRmT1_PNSt15iterator_traitsISK_E10value_typeET2_T3_PNSL_ISQ_E10value_typeET4_jRbjT5_SW_jjP12ihipStream_tbEUlT_E1_NS1_11comp_targetILNS1_3genE5ELNS1_11target_archE942ELNS1_3gpuE9ELNS1_3repE0EEENS1_59segmented_radix_sort_warp_sort_small_config_static_selectorELNS0_4arch9wavefront6targetE0EEEvSK_
	.p2align	8
	.type	_ZN7rocprim17ROCPRIM_400000_NS6detail17trampoline_kernelINS0_14default_configENS1_36segmented_radix_sort_config_selectorIblEEZNS1_25segmented_radix_sort_implIS3_Lb1EPKbPbPKlPlN2at6native12_GLOBAL__N_18offset_tEEE10hipError_tPvRmT1_PNSt15iterator_traitsISK_E10value_typeET2_T3_PNSL_ISQ_E10value_typeET4_jRbjT5_SW_jjP12ihipStream_tbEUlT_E1_NS1_11comp_targetILNS1_3genE5ELNS1_11target_archE942ELNS1_3gpuE9ELNS1_3repE0EEENS1_59segmented_radix_sort_warp_sort_small_config_static_selectorELNS0_4arch9wavefront6targetE0EEEvSK_,@function
_ZN7rocprim17ROCPRIM_400000_NS6detail17trampoline_kernelINS0_14default_configENS1_36segmented_radix_sort_config_selectorIblEEZNS1_25segmented_radix_sort_implIS3_Lb1EPKbPbPKlPlN2at6native12_GLOBAL__N_18offset_tEEE10hipError_tPvRmT1_PNSt15iterator_traitsISK_E10value_typeET2_T3_PNSL_ISQ_E10value_typeET4_jRbjT5_SW_jjP12ihipStream_tbEUlT_E1_NS1_11comp_targetILNS1_3genE5ELNS1_11target_archE942ELNS1_3gpuE9ELNS1_3repE0EEENS1_59segmented_radix_sort_warp_sort_small_config_static_selectorELNS0_4arch9wavefront6targetE0EEEvSK_: ; @_ZN7rocprim17ROCPRIM_400000_NS6detail17trampoline_kernelINS0_14default_configENS1_36segmented_radix_sort_config_selectorIblEEZNS1_25segmented_radix_sort_implIS3_Lb1EPKbPbPKlPlN2at6native12_GLOBAL__N_18offset_tEEE10hipError_tPvRmT1_PNSt15iterator_traitsISK_E10value_typeET2_T3_PNSL_ISQ_E10value_typeET4_jRbjT5_SW_jjP12ihipStream_tbEUlT_E1_NS1_11comp_targetILNS1_3genE5ELNS1_11target_archE942ELNS1_3gpuE9ELNS1_3repE0EEENS1_59segmented_radix_sort_warp_sort_small_config_static_selectorELNS0_4arch9wavefront6targetE0EEEvSK_
; %bb.0:
	.section	.rodata,"a",@progbits
	.p2align	6, 0x0
	.amdhsa_kernel _ZN7rocprim17ROCPRIM_400000_NS6detail17trampoline_kernelINS0_14default_configENS1_36segmented_radix_sort_config_selectorIblEEZNS1_25segmented_radix_sort_implIS3_Lb1EPKbPbPKlPlN2at6native12_GLOBAL__N_18offset_tEEE10hipError_tPvRmT1_PNSt15iterator_traitsISK_E10value_typeET2_T3_PNSL_ISQ_E10value_typeET4_jRbjT5_SW_jjP12ihipStream_tbEUlT_E1_NS1_11comp_targetILNS1_3genE5ELNS1_11target_archE942ELNS1_3gpuE9ELNS1_3repE0EEENS1_59segmented_radix_sort_warp_sort_small_config_static_selectorELNS0_4arch9wavefront6targetE0EEEvSK_
		.amdhsa_group_segment_fixed_size 0
		.amdhsa_private_segment_fixed_size 0
		.amdhsa_kernarg_size 88
		.amdhsa_user_sgpr_count 2
		.amdhsa_user_sgpr_dispatch_ptr 0
		.amdhsa_user_sgpr_queue_ptr 0
		.amdhsa_user_sgpr_kernarg_segment_ptr 1
		.amdhsa_user_sgpr_dispatch_id 0
		.amdhsa_user_sgpr_kernarg_preload_length 0
		.amdhsa_user_sgpr_kernarg_preload_offset 0
		.amdhsa_user_sgpr_private_segment_size 0
		.amdhsa_wavefront_size32 1
		.amdhsa_uses_dynamic_stack 0
		.amdhsa_enable_private_segment 0
		.amdhsa_system_sgpr_workgroup_id_x 1
		.amdhsa_system_sgpr_workgroup_id_y 0
		.amdhsa_system_sgpr_workgroup_id_z 0
		.amdhsa_system_sgpr_workgroup_info 0
		.amdhsa_system_vgpr_workitem_id 0
		.amdhsa_next_free_vgpr 1
		.amdhsa_next_free_sgpr 1
		.amdhsa_named_barrier_count 0
		.amdhsa_reserve_vcc 0
		.amdhsa_float_round_mode_32 0
		.amdhsa_float_round_mode_16_64 0
		.amdhsa_float_denorm_mode_32 3
		.amdhsa_float_denorm_mode_16_64 3
		.amdhsa_fp16_overflow 0
		.amdhsa_memory_ordered 1
		.amdhsa_forward_progress 1
		.amdhsa_inst_pref_size 0
		.amdhsa_round_robin_scheduling 0
		.amdhsa_exception_fp_ieee_invalid_op 0
		.amdhsa_exception_fp_denorm_src 0
		.amdhsa_exception_fp_ieee_div_zero 0
		.amdhsa_exception_fp_ieee_overflow 0
		.amdhsa_exception_fp_ieee_underflow 0
		.amdhsa_exception_fp_ieee_inexact 0
		.amdhsa_exception_int_div_zero 0
	.end_amdhsa_kernel
	.section	.text._ZN7rocprim17ROCPRIM_400000_NS6detail17trampoline_kernelINS0_14default_configENS1_36segmented_radix_sort_config_selectorIblEEZNS1_25segmented_radix_sort_implIS3_Lb1EPKbPbPKlPlN2at6native12_GLOBAL__N_18offset_tEEE10hipError_tPvRmT1_PNSt15iterator_traitsISK_E10value_typeET2_T3_PNSL_ISQ_E10value_typeET4_jRbjT5_SW_jjP12ihipStream_tbEUlT_E1_NS1_11comp_targetILNS1_3genE5ELNS1_11target_archE942ELNS1_3gpuE9ELNS1_3repE0EEENS1_59segmented_radix_sort_warp_sort_small_config_static_selectorELNS0_4arch9wavefront6targetE0EEEvSK_,"axG",@progbits,_ZN7rocprim17ROCPRIM_400000_NS6detail17trampoline_kernelINS0_14default_configENS1_36segmented_radix_sort_config_selectorIblEEZNS1_25segmented_radix_sort_implIS3_Lb1EPKbPbPKlPlN2at6native12_GLOBAL__N_18offset_tEEE10hipError_tPvRmT1_PNSt15iterator_traitsISK_E10value_typeET2_T3_PNSL_ISQ_E10value_typeET4_jRbjT5_SW_jjP12ihipStream_tbEUlT_E1_NS1_11comp_targetILNS1_3genE5ELNS1_11target_archE942ELNS1_3gpuE9ELNS1_3repE0EEENS1_59segmented_radix_sort_warp_sort_small_config_static_selectorELNS0_4arch9wavefront6targetE0EEEvSK_,comdat
.Lfunc_end1545:
	.size	_ZN7rocprim17ROCPRIM_400000_NS6detail17trampoline_kernelINS0_14default_configENS1_36segmented_radix_sort_config_selectorIblEEZNS1_25segmented_radix_sort_implIS3_Lb1EPKbPbPKlPlN2at6native12_GLOBAL__N_18offset_tEEE10hipError_tPvRmT1_PNSt15iterator_traitsISK_E10value_typeET2_T3_PNSL_ISQ_E10value_typeET4_jRbjT5_SW_jjP12ihipStream_tbEUlT_E1_NS1_11comp_targetILNS1_3genE5ELNS1_11target_archE942ELNS1_3gpuE9ELNS1_3repE0EEENS1_59segmented_radix_sort_warp_sort_small_config_static_selectorELNS0_4arch9wavefront6targetE0EEEvSK_, .Lfunc_end1545-_ZN7rocprim17ROCPRIM_400000_NS6detail17trampoline_kernelINS0_14default_configENS1_36segmented_radix_sort_config_selectorIblEEZNS1_25segmented_radix_sort_implIS3_Lb1EPKbPbPKlPlN2at6native12_GLOBAL__N_18offset_tEEE10hipError_tPvRmT1_PNSt15iterator_traitsISK_E10value_typeET2_T3_PNSL_ISQ_E10value_typeET4_jRbjT5_SW_jjP12ihipStream_tbEUlT_E1_NS1_11comp_targetILNS1_3genE5ELNS1_11target_archE942ELNS1_3gpuE9ELNS1_3repE0EEENS1_59segmented_radix_sort_warp_sort_small_config_static_selectorELNS0_4arch9wavefront6targetE0EEEvSK_
                                        ; -- End function
	.set _ZN7rocprim17ROCPRIM_400000_NS6detail17trampoline_kernelINS0_14default_configENS1_36segmented_radix_sort_config_selectorIblEEZNS1_25segmented_radix_sort_implIS3_Lb1EPKbPbPKlPlN2at6native12_GLOBAL__N_18offset_tEEE10hipError_tPvRmT1_PNSt15iterator_traitsISK_E10value_typeET2_T3_PNSL_ISQ_E10value_typeET4_jRbjT5_SW_jjP12ihipStream_tbEUlT_E1_NS1_11comp_targetILNS1_3genE5ELNS1_11target_archE942ELNS1_3gpuE9ELNS1_3repE0EEENS1_59segmented_radix_sort_warp_sort_small_config_static_selectorELNS0_4arch9wavefront6targetE0EEEvSK_.num_vgpr, 0
	.set _ZN7rocprim17ROCPRIM_400000_NS6detail17trampoline_kernelINS0_14default_configENS1_36segmented_radix_sort_config_selectorIblEEZNS1_25segmented_radix_sort_implIS3_Lb1EPKbPbPKlPlN2at6native12_GLOBAL__N_18offset_tEEE10hipError_tPvRmT1_PNSt15iterator_traitsISK_E10value_typeET2_T3_PNSL_ISQ_E10value_typeET4_jRbjT5_SW_jjP12ihipStream_tbEUlT_E1_NS1_11comp_targetILNS1_3genE5ELNS1_11target_archE942ELNS1_3gpuE9ELNS1_3repE0EEENS1_59segmented_radix_sort_warp_sort_small_config_static_selectorELNS0_4arch9wavefront6targetE0EEEvSK_.num_agpr, 0
	.set _ZN7rocprim17ROCPRIM_400000_NS6detail17trampoline_kernelINS0_14default_configENS1_36segmented_radix_sort_config_selectorIblEEZNS1_25segmented_radix_sort_implIS3_Lb1EPKbPbPKlPlN2at6native12_GLOBAL__N_18offset_tEEE10hipError_tPvRmT1_PNSt15iterator_traitsISK_E10value_typeET2_T3_PNSL_ISQ_E10value_typeET4_jRbjT5_SW_jjP12ihipStream_tbEUlT_E1_NS1_11comp_targetILNS1_3genE5ELNS1_11target_archE942ELNS1_3gpuE9ELNS1_3repE0EEENS1_59segmented_radix_sort_warp_sort_small_config_static_selectorELNS0_4arch9wavefront6targetE0EEEvSK_.numbered_sgpr, 0
	.set _ZN7rocprim17ROCPRIM_400000_NS6detail17trampoline_kernelINS0_14default_configENS1_36segmented_radix_sort_config_selectorIblEEZNS1_25segmented_radix_sort_implIS3_Lb1EPKbPbPKlPlN2at6native12_GLOBAL__N_18offset_tEEE10hipError_tPvRmT1_PNSt15iterator_traitsISK_E10value_typeET2_T3_PNSL_ISQ_E10value_typeET4_jRbjT5_SW_jjP12ihipStream_tbEUlT_E1_NS1_11comp_targetILNS1_3genE5ELNS1_11target_archE942ELNS1_3gpuE9ELNS1_3repE0EEENS1_59segmented_radix_sort_warp_sort_small_config_static_selectorELNS0_4arch9wavefront6targetE0EEEvSK_.num_named_barrier, 0
	.set _ZN7rocprim17ROCPRIM_400000_NS6detail17trampoline_kernelINS0_14default_configENS1_36segmented_radix_sort_config_selectorIblEEZNS1_25segmented_radix_sort_implIS3_Lb1EPKbPbPKlPlN2at6native12_GLOBAL__N_18offset_tEEE10hipError_tPvRmT1_PNSt15iterator_traitsISK_E10value_typeET2_T3_PNSL_ISQ_E10value_typeET4_jRbjT5_SW_jjP12ihipStream_tbEUlT_E1_NS1_11comp_targetILNS1_3genE5ELNS1_11target_archE942ELNS1_3gpuE9ELNS1_3repE0EEENS1_59segmented_radix_sort_warp_sort_small_config_static_selectorELNS0_4arch9wavefront6targetE0EEEvSK_.private_seg_size, 0
	.set _ZN7rocprim17ROCPRIM_400000_NS6detail17trampoline_kernelINS0_14default_configENS1_36segmented_radix_sort_config_selectorIblEEZNS1_25segmented_radix_sort_implIS3_Lb1EPKbPbPKlPlN2at6native12_GLOBAL__N_18offset_tEEE10hipError_tPvRmT1_PNSt15iterator_traitsISK_E10value_typeET2_T3_PNSL_ISQ_E10value_typeET4_jRbjT5_SW_jjP12ihipStream_tbEUlT_E1_NS1_11comp_targetILNS1_3genE5ELNS1_11target_archE942ELNS1_3gpuE9ELNS1_3repE0EEENS1_59segmented_radix_sort_warp_sort_small_config_static_selectorELNS0_4arch9wavefront6targetE0EEEvSK_.uses_vcc, 0
	.set _ZN7rocprim17ROCPRIM_400000_NS6detail17trampoline_kernelINS0_14default_configENS1_36segmented_radix_sort_config_selectorIblEEZNS1_25segmented_radix_sort_implIS3_Lb1EPKbPbPKlPlN2at6native12_GLOBAL__N_18offset_tEEE10hipError_tPvRmT1_PNSt15iterator_traitsISK_E10value_typeET2_T3_PNSL_ISQ_E10value_typeET4_jRbjT5_SW_jjP12ihipStream_tbEUlT_E1_NS1_11comp_targetILNS1_3genE5ELNS1_11target_archE942ELNS1_3gpuE9ELNS1_3repE0EEENS1_59segmented_radix_sort_warp_sort_small_config_static_selectorELNS0_4arch9wavefront6targetE0EEEvSK_.uses_flat_scratch, 0
	.set _ZN7rocprim17ROCPRIM_400000_NS6detail17trampoline_kernelINS0_14default_configENS1_36segmented_radix_sort_config_selectorIblEEZNS1_25segmented_radix_sort_implIS3_Lb1EPKbPbPKlPlN2at6native12_GLOBAL__N_18offset_tEEE10hipError_tPvRmT1_PNSt15iterator_traitsISK_E10value_typeET2_T3_PNSL_ISQ_E10value_typeET4_jRbjT5_SW_jjP12ihipStream_tbEUlT_E1_NS1_11comp_targetILNS1_3genE5ELNS1_11target_archE942ELNS1_3gpuE9ELNS1_3repE0EEENS1_59segmented_radix_sort_warp_sort_small_config_static_selectorELNS0_4arch9wavefront6targetE0EEEvSK_.has_dyn_sized_stack, 0
	.set _ZN7rocprim17ROCPRIM_400000_NS6detail17trampoline_kernelINS0_14default_configENS1_36segmented_radix_sort_config_selectorIblEEZNS1_25segmented_radix_sort_implIS3_Lb1EPKbPbPKlPlN2at6native12_GLOBAL__N_18offset_tEEE10hipError_tPvRmT1_PNSt15iterator_traitsISK_E10value_typeET2_T3_PNSL_ISQ_E10value_typeET4_jRbjT5_SW_jjP12ihipStream_tbEUlT_E1_NS1_11comp_targetILNS1_3genE5ELNS1_11target_archE942ELNS1_3gpuE9ELNS1_3repE0EEENS1_59segmented_radix_sort_warp_sort_small_config_static_selectorELNS0_4arch9wavefront6targetE0EEEvSK_.has_recursion, 0
	.set _ZN7rocprim17ROCPRIM_400000_NS6detail17trampoline_kernelINS0_14default_configENS1_36segmented_radix_sort_config_selectorIblEEZNS1_25segmented_radix_sort_implIS3_Lb1EPKbPbPKlPlN2at6native12_GLOBAL__N_18offset_tEEE10hipError_tPvRmT1_PNSt15iterator_traitsISK_E10value_typeET2_T3_PNSL_ISQ_E10value_typeET4_jRbjT5_SW_jjP12ihipStream_tbEUlT_E1_NS1_11comp_targetILNS1_3genE5ELNS1_11target_archE942ELNS1_3gpuE9ELNS1_3repE0EEENS1_59segmented_radix_sort_warp_sort_small_config_static_selectorELNS0_4arch9wavefront6targetE0EEEvSK_.has_indirect_call, 0
	.section	.AMDGPU.csdata,"",@progbits
; Kernel info:
; codeLenInByte = 0
; TotalNumSgprs: 0
; NumVgprs: 0
; ScratchSize: 0
; MemoryBound: 0
; FloatMode: 240
; IeeeMode: 1
; LDSByteSize: 0 bytes/workgroup (compile time only)
; SGPRBlocks: 0
; VGPRBlocks: 0
; NumSGPRsForWavesPerEU: 1
; NumVGPRsForWavesPerEU: 1
; NamedBarCnt: 0
; Occupancy: 16
; WaveLimiterHint : 0
; COMPUTE_PGM_RSRC2:SCRATCH_EN: 0
; COMPUTE_PGM_RSRC2:USER_SGPR: 2
; COMPUTE_PGM_RSRC2:TRAP_HANDLER: 0
; COMPUTE_PGM_RSRC2:TGID_X_EN: 1
; COMPUTE_PGM_RSRC2:TGID_Y_EN: 0
; COMPUTE_PGM_RSRC2:TGID_Z_EN: 0
; COMPUTE_PGM_RSRC2:TIDIG_COMP_CNT: 0
	.section	.text._ZN7rocprim17ROCPRIM_400000_NS6detail17trampoline_kernelINS0_14default_configENS1_36segmented_radix_sort_config_selectorIblEEZNS1_25segmented_radix_sort_implIS3_Lb1EPKbPbPKlPlN2at6native12_GLOBAL__N_18offset_tEEE10hipError_tPvRmT1_PNSt15iterator_traitsISK_E10value_typeET2_T3_PNSL_ISQ_E10value_typeET4_jRbjT5_SW_jjP12ihipStream_tbEUlT_E1_NS1_11comp_targetILNS1_3genE4ELNS1_11target_archE910ELNS1_3gpuE8ELNS1_3repE0EEENS1_59segmented_radix_sort_warp_sort_small_config_static_selectorELNS0_4arch9wavefront6targetE0EEEvSK_,"axG",@progbits,_ZN7rocprim17ROCPRIM_400000_NS6detail17trampoline_kernelINS0_14default_configENS1_36segmented_radix_sort_config_selectorIblEEZNS1_25segmented_radix_sort_implIS3_Lb1EPKbPbPKlPlN2at6native12_GLOBAL__N_18offset_tEEE10hipError_tPvRmT1_PNSt15iterator_traitsISK_E10value_typeET2_T3_PNSL_ISQ_E10value_typeET4_jRbjT5_SW_jjP12ihipStream_tbEUlT_E1_NS1_11comp_targetILNS1_3genE4ELNS1_11target_archE910ELNS1_3gpuE8ELNS1_3repE0EEENS1_59segmented_radix_sort_warp_sort_small_config_static_selectorELNS0_4arch9wavefront6targetE0EEEvSK_,comdat
	.globl	_ZN7rocprim17ROCPRIM_400000_NS6detail17trampoline_kernelINS0_14default_configENS1_36segmented_radix_sort_config_selectorIblEEZNS1_25segmented_radix_sort_implIS3_Lb1EPKbPbPKlPlN2at6native12_GLOBAL__N_18offset_tEEE10hipError_tPvRmT1_PNSt15iterator_traitsISK_E10value_typeET2_T3_PNSL_ISQ_E10value_typeET4_jRbjT5_SW_jjP12ihipStream_tbEUlT_E1_NS1_11comp_targetILNS1_3genE4ELNS1_11target_archE910ELNS1_3gpuE8ELNS1_3repE0EEENS1_59segmented_radix_sort_warp_sort_small_config_static_selectorELNS0_4arch9wavefront6targetE0EEEvSK_ ; -- Begin function _ZN7rocprim17ROCPRIM_400000_NS6detail17trampoline_kernelINS0_14default_configENS1_36segmented_radix_sort_config_selectorIblEEZNS1_25segmented_radix_sort_implIS3_Lb1EPKbPbPKlPlN2at6native12_GLOBAL__N_18offset_tEEE10hipError_tPvRmT1_PNSt15iterator_traitsISK_E10value_typeET2_T3_PNSL_ISQ_E10value_typeET4_jRbjT5_SW_jjP12ihipStream_tbEUlT_E1_NS1_11comp_targetILNS1_3genE4ELNS1_11target_archE910ELNS1_3gpuE8ELNS1_3repE0EEENS1_59segmented_radix_sort_warp_sort_small_config_static_selectorELNS0_4arch9wavefront6targetE0EEEvSK_
	.p2align	8
	.type	_ZN7rocprim17ROCPRIM_400000_NS6detail17trampoline_kernelINS0_14default_configENS1_36segmented_radix_sort_config_selectorIblEEZNS1_25segmented_radix_sort_implIS3_Lb1EPKbPbPKlPlN2at6native12_GLOBAL__N_18offset_tEEE10hipError_tPvRmT1_PNSt15iterator_traitsISK_E10value_typeET2_T3_PNSL_ISQ_E10value_typeET4_jRbjT5_SW_jjP12ihipStream_tbEUlT_E1_NS1_11comp_targetILNS1_3genE4ELNS1_11target_archE910ELNS1_3gpuE8ELNS1_3repE0EEENS1_59segmented_radix_sort_warp_sort_small_config_static_selectorELNS0_4arch9wavefront6targetE0EEEvSK_,@function
_ZN7rocprim17ROCPRIM_400000_NS6detail17trampoline_kernelINS0_14default_configENS1_36segmented_radix_sort_config_selectorIblEEZNS1_25segmented_radix_sort_implIS3_Lb1EPKbPbPKlPlN2at6native12_GLOBAL__N_18offset_tEEE10hipError_tPvRmT1_PNSt15iterator_traitsISK_E10value_typeET2_T3_PNSL_ISQ_E10value_typeET4_jRbjT5_SW_jjP12ihipStream_tbEUlT_E1_NS1_11comp_targetILNS1_3genE4ELNS1_11target_archE910ELNS1_3gpuE8ELNS1_3repE0EEENS1_59segmented_radix_sort_warp_sort_small_config_static_selectorELNS0_4arch9wavefront6targetE0EEEvSK_: ; @_ZN7rocprim17ROCPRIM_400000_NS6detail17trampoline_kernelINS0_14default_configENS1_36segmented_radix_sort_config_selectorIblEEZNS1_25segmented_radix_sort_implIS3_Lb1EPKbPbPKlPlN2at6native12_GLOBAL__N_18offset_tEEE10hipError_tPvRmT1_PNSt15iterator_traitsISK_E10value_typeET2_T3_PNSL_ISQ_E10value_typeET4_jRbjT5_SW_jjP12ihipStream_tbEUlT_E1_NS1_11comp_targetILNS1_3genE4ELNS1_11target_archE910ELNS1_3gpuE8ELNS1_3repE0EEENS1_59segmented_radix_sort_warp_sort_small_config_static_selectorELNS0_4arch9wavefront6targetE0EEEvSK_
; %bb.0:
	.section	.rodata,"a",@progbits
	.p2align	6, 0x0
	.amdhsa_kernel _ZN7rocprim17ROCPRIM_400000_NS6detail17trampoline_kernelINS0_14default_configENS1_36segmented_radix_sort_config_selectorIblEEZNS1_25segmented_radix_sort_implIS3_Lb1EPKbPbPKlPlN2at6native12_GLOBAL__N_18offset_tEEE10hipError_tPvRmT1_PNSt15iterator_traitsISK_E10value_typeET2_T3_PNSL_ISQ_E10value_typeET4_jRbjT5_SW_jjP12ihipStream_tbEUlT_E1_NS1_11comp_targetILNS1_3genE4ELNS1_11target_archE910ELNS1_3gpuE8ELNS1_3repE0EEENS1_59segmented_radix_sort_warp_sort_small_config_static_selectorELNS0_4arch9wavefront6targetE0EEEvSK_
		.amdhsa_group_segment_fixed_size 0
		.amdhsa_private_segment_fixed_size 0
		.amdhsa_kernarg_size 88
		.amdhsa_user_sgpr_count 2
		.amdhsa_user_sgpr_dispatch_ptr 0
		.amdhsa_user_sgpr_queue_ptr 0
		.amdhsa_user_sgpr_kernarg_segment_ptr 1
		.amdhsa_user_sgpr_dispatch_id 0
		.amdhsa_user_sgpr_kernarg_preload_length 0
		.amdhsa_user_sgpr_kernarg_preload_offset 0
		.amdhsa_user_sgpr_private_segment_size 0
		.amdhsa_wavefront_size32 1
		.amdhsa_uses_dynamic_stack 0
		.amdhsa_enable_private_segment 0
		.amdhsa_system_sgpr_workgroup_id_x 1
		.amdhsa_system_sgpr_workgroup_id_y 0
		.amdhsa_system_sgpr_workgroup_id_z 0
		.amdhsa_system_sgpr_workgroup_info 0
		.amdhsa_system_vgpr_workitem_id 0
		.amdhsa_next_free_vgpr 1
		.amdhsa_next_free_sgpr 1
		.amdhsa_named_barrier_count 0
		.amdhsa_reserve_vcc 0
		.amdhsa_float_round_mode_32 0
		.amdhsa_float_round_mode_16_64 0
		.amdhsa_float_denorm_mode_32 3
		.amdhsa_float_denorm_mode_16_64 3
		.amdhsa_fp16_overflow 0
		.amdhsa_memory_ordered 1
		.amdhsa_forward_progress 1
		.amdhsa_inst_pref_size 0
		.amdhsa_round_robin_scheduling 0
		.amdhsa_exception_fp_ieee_invalid_op 0
		.amdhsa_exception_fp_denorm_src 0
		.amdhsa_exception_fp_ieee_div_zero 0
		.amdhsa_exception_fp_ieee_overflow 0
		.amdhsa_exception_fp_ieee_underflow 0
		.amdhsa_exception_fp_ieee_inexact 0
		.amdhsa_exception_int_div_zero 0
	.end_amdhsa_kernel
	.section	.text._ZN7rocprim17ROCPRIM_400000_NS6detail17trampoline_kernelINS0_14default_configENS1_36segmented_radix_sort_config_selectorIblEEZNS1_25segmented_radix_sort_implIS3_Lb1EPKbPbPKlPlN2at6native12_GLOBAL__N_18offset_tEEE10hipError_tPvRmT1_PNSt15iterator_traitsISK_E10value_typeET2_T3_PNSL_ISQ_E10value_typeET4_jRbjT5_SW_jjP12ihipStream_tbEUlT_E1_NS1_11comp_targetILNS1_3genE4ELNS1_11target_archE910ELNS1_3gpuE8ELNS1_3repE0EEENS1_59segmented_radix_sort_warp_sort_small_config_static_selectorELNS0_4arch9wavefront6targetE0EEEvSK_,"axG",@progbits,_ZN7rocprim17ROCPRIM_400000_NS6detail17trampoline_kernelINS0_14default_configENS1_36segmented_radix_sort_config_selectorIblEEZNS1_25segmented_radix_sort_implIS3_Lb1EPKbPbPKlPlN2at6native12_GLOBAL__N_18offset_tEEE10hipError_tPvRmT1_PNSt15iterator_traitsISK_E10value_typeET2_T3_PNSL_ISQ_E10value_typeET4_jRbjT5_SW_jjP12ihipStream_tbEUlT_E1_NS1_11comp_targetILNS1_3genE4ELNS1_11target_archE910ELNS1_3gpuE8ELNS1_3repE0EEENS1_59segmented_radix_sort_warp_sort_small_config_static_selectorELNS0_4arch9wavefront6targetE0EEEvSK_,comdat
.Lfunc_end1546:
	.size	_ZN7rocprim17ROCPRIM_400000_NS6detail17trampoline_kernelINS0_14default_configENS1_36segmented_radix_sort_config_selectorIblEEZNS1_25segmented_radix_sort_implIS3_Lb1EPKbPbPKlPlN2at6native12_GLOBAL__N_18offset_tEEE10hipError_tPvRmT1_PNSt15iterator_traitsISK_E10value_typeET2_T3_PNSL_ISQ_E10value_typeET4_jRbjT5_SW_jjP12ihipStream_tbEUlT_E1_NS1_11comp_targetILNS1_3genE4ELNS1_11target_archE910ELNS1_3gpuE8ELNS1_3repE0EEENS1_59segmented_radix_sort_warp_sort_small_config_static_selectorELNS0_4arch9wavefront6targetE0EEEvSK_, .Lfunc_end1546-_ZN7rocprim17ROCPRIM_400000_NS6detail17trampoline_kernelINS0_14default_configENS1_36segmented_radix_sort_config_selectorIblEEZNS1_25segmented_radix_sort_implIS3_Lb1EPKbPbPKlPlN2at6native12_GLOBAL__N_18offset_tEEE10hipError_tPvRmT1_PNSt15iterator_traitsISK_E10value_typeET2_T3_PNSL_ISQ_E10value_typeET4_jRbjT5_SW_jjP12ihipStream_tbEUlT_E1_NS1_11comp_targetILNS1_3genE4ELNS1_11target_archE910ELNS1_3gpuE8ELNS1_3repE0EEENS1_59segmented_radix_sort_warp_sort_small_config_static_selectorELNS0_4arch9wavefront6targetE0EEEvSK_
                                        ; -- End function
	.set _ZN7rocprim17ROCPRIM_400000_NS6detail17trampoline_kernelINS0_14default_configENS1_36segmented_radix_sort_config_selectorIblEEZNS1_25segmented_radix_sort_implIS3_Lb1EPKbPbPKlPlN2at6native12_GLOBAL__N_18offset_tEEE10hipError_tPvRmT1_PNSt15iterator_traitsISK_E10value_typeET2_T3_PNSL_ISQ_E10value_typeET4_jRbjT5_SW_jjP12ihipStream_tbEUlT_E1_NS1_11comp_targetILNS1_3genE4ELNS1_11target_archE910ELNS1_3gpuE8ELNS1_3repE0EEENS1_59segmented_radix_sort_warp_sort_small_config_static_selectorELNS0_4arch9wavefront6targetE0EEEvSK_.num_vgpr, 0
	.set _ZN7rocprim17ROCPRIM_400000_NS6detail17trampoline_kernelINS0_14default_configENS1_36segmented_radix_sort_config_selectorIblEEZNS1_25segmented_radix_sort_implIS3_Lb1EPKbPbPKlPlN2at6native12_GLOBAL__N_18offset_tEEE10hipError_tPvRmT1_PNSt15iterator_traitsISK_E10value_typeET2_T3_PNSL_ISQ_E10value_typeET4_jRbjT5_SW_jjP12ihipStream_tbEUlT_E1_NS1_11comp_targetILNS1_3genE4ELNS1_11target_archE910ELNS1_3gpuE8ELNS1_3repE0EEENS1_59segmented_radix_sort_warp_sort_small_config_static_selectorELNS0_4arch9wavefront6targetE0EEEvSK_.num_agpr, 0
	.set _ZN7rocprim17ROCPRIM_400000_NS6detail17trampoline_kernelINS0_14default_configENS1_36segmented_radix_sort_config_selectorIblEEZNS1_25segmented_radix_sort_implIS3_Lb1EPKbPbPKlPlN2at6native12_GLOBAL__N_18offset_tEEE10hipError_tPvRmT1_PNSt15iterator_traitsISK_E10value_typeET2_T3_PNSL_ISQ_E10value_typeET4_jRbjT5_SW_jjP12ihipStream_tbEUlT_E1_NS1_11comp_targetILNS1_3genE4ELNS1_11target_archE910ELNS1_3gpuE8ELNS1_3repE0EEENS1_59segmented_radix_sort_warp_sort_small_config_static_selectorELNS0_4arch9wavefront6targetE0EEEvSK_.numbered_sgpr, 0
	.set _ZN7rocprim17ROCPRIM_400000_NS6detail17trampoline_kernelINS0_14default_configENS1_36segmented_radix_sort_config_selectorIblEEZNS1_25segmented_radix_sort_implIS3_Lb1EPKbPbPKlPlN2at6native12_GLOBAL__N_18offset_tEEE10hipError_tPvRmT1_PNSt15iterator_traitsISK_E10value_typeET2_T3_PNSL_ISQ_E10value_typeET4_jRbjT5_SW_jjP12ihipStream_tbEUlT_E1_NS1_11comp_targetILNS1_3genE4ELNS1_11target_archE910ELNS1_3gpuE8ELNS1_3repE0EEENS1_59segmented_radix_sort_warp_sort_small_config_static_selectorELNS0_4arch9wavefront6targetE0EEEvSK_.num_named_barrier, 0
	.set _ZN7rocprim17ROCPRIM_400000_NS6detail17trampoline_kernelINS0_14default_configENS1_36segmented_radix_sort_config_selectorIblEEZNS1_25segmented_radix_sort_implIS3_Lb1EPKbPbPKlPlN2at6native12_GLOBAL__N_18offset_tEEE10hipError_tPvRmT1_PNSt15iterator_traitsISK_E10value_typeET2_T3_PNSL_ISQ_E10value_typeET4_jRbjT5_SW_jjP12ihipStream_tbEUlT_E1_NS1_11comp_targetILNS1_3genE4ELNS1_11target_archE910ELNS1_3gpuE8ELNS1_3repE0EEENS1_59segmented_radix_sort_warp_sort_small_config_static_selectorELNS0_4arch9wavefront6targetE0EEEvSK_.private_seg_size, 0
	.set _ZN7rocprim17ROCPRIM_400000_NS6detail17trampoline_kernelINS0_14default_configENS1_36segmented_radix_sort_config_selectorIblEEZNS1_25segmented_radix_sort_implIS3_Lb1EPKbPbPKlPlN2at6native12_GLOBAL__N_18offset_tEEE10hipError_tPvRmT1_PNSt15iterator_traitsISK_E10value_typeET2_T3_PNSL_ISQ_E10value_typeET4_jRbjT5_SW_jjP12ihipStream_tbEUlT_E1_NS1_11comp_targetILNS1_3genE4ELNS1_11target_archE910ELNS1_3gpuE8ELNS1_3repE0EEENS1_59segmented_radix_sort_warp_sort_small_config_static_selectorELNS0_4arch9wavefront6targetE0EEEvSK_.uses_vcc, 0
	.set _ZN7rocprim17ROCPRIM_400000_NS6detail17trampoline_kernelINS0_14default_configENS1_36segmented_radix_sort_config_selectorIblEEZNS1_25segmented_radix_sort_implIS3_Lb1EPKbPbPKlPlN2at6native12_GLOBAL__N_18offset_tEEE10hipError_tPvRmT1_PNSt15iterator_traitsISK_E10value_typeET2_T3_PNSL_ISQ_E10value_typeET4_jRbjT5_SW_jjP12ihipStream_tbEUlT_E1_NS1_11comp_targetILNS1_3genE4ELNS1_11target_archE910ELNS1_3gpuE8ELNS1_3repE0EEENS1_59segmented_radix_sort_warp_sort_small_config_static_selectorELNS0_4arch9wavefront6targetE0EEEvSK_.uses_flat_scratch, 0
	.set _ZN7rocprim17ROCPRIM_400000_NS6detail17trampoline_kernelINS0_14default_configENS1_36segmented_radix_sort_config_selectorIblEEZNS1_25segmented_radix_sort_implIS3_Lb1EPKbPbPKlPlN2at6native12_GLOBAL__N_18offset_tEEE10hipError_tPvRmT1_PNSt15iterator_traitsISK_E10value_typeET2_T3_PNSL_ISQ_E10value_typeET4_jRbjT5_SW_jjP12ihipStream_tbEUlT_E1_NS1_11comp_targetILNS1_3genE4ELNS1_11target_archE910ELNS1_3gpuE8ELNS1_3repE0EEENS1_59segmented_radix_sort_warp_sort_small_config_static_selectorELNS0_4arch9wavefront6targetE0EEEvSK_.has_dyn_sized_stack, 0
	.set _ZN7rocprim17ROCPRIM_400000_NS6detail17trampoline_kernelINS0_14default_configENS1_36segmented_radix_sort_config_selectorIblEEZNS1_25segmented_radix_sort_implIS3_Lb1EPKbPbPKlPlN2at6native12_GLOBAL__N_18offset_tEEE10hipError_tPvRmT1_PNSt15iterator_traitsISK_E10value_typeET2_T3_PNSL_ISQ_E10value_typeET4_jRbjT5_SW_jjP12ihipStream_tbEUlT_E1_NS1_11comp_targetILNS1_3genE4ELNS1_11target_archE910ELNS1_3gpuE8ELNS1_3repE0EEENS1_59segmented_radix_sort_warp_sort_small_config_static_selectorELNS0_4arch9wavefront6targetE0EEEvSK_.has_recursion, 0
	.set _ZN7rocprim17ROCPRIM_400000_NS6detail17trampoline_kernelINS0_14default_configENS1_36segmented_radix_sort_config_selectorIblEEZNS1_25segmented_radix_sort_implIS3_Lb1EPKbPbPKlPlN2at6native12_GLOBAL__N_18offset_tEEE10hipError_tPvRmT1_PNSt15iterator_traitsISK_E10value_typeET2_T3_PNSL_ISQ_E10value_typeET4_jRbjT5_SW_jjP12ihipStream_tbEUlT_E1_NS1_11comp_targetILNS1_3genE4ELNS1_11target_archE910ELNS1_3gpuE8ELNS1_3repE0EEENS1_59segmented_radix_sort_warp_sort_small_config_static_selectorELNS0_4arch9wavefront6targetE0EEEvSK_.has_indirect_call, 0
	.section	.AMDGPU.csdata,"",@progbits
; Kernel info:
; codeLenInByte = 0
; TotalNumSgprs: 0
; NumVgprs: 0
; ScratchSize: 0
; MemoryBound: 0
; FloatMode: 240
; IeeeMode: 1
; LDSByteSize: 0 bytes/workgroup (compile time only)
; SGPRBlocks: 0
; VGPRBlocks: 0
; NumSGPRsForWavesPerEU: 1
; NumVGPRsForWavesPerEU: 1
; NamedBarCnt: 0
; Occupancy: 16
; WaveLimiterHint : 0
; COMPUTE_PGM_RSRC2:SCRATCH_EN: 0
; COMPUTE_PGM_RSRC2:USER_SGPR: 2
; COMPUTE_PGM_RSRC2:TRAP_HANDLER: 0
; COMPUTE_PGM_RSRC2:TGID_X_EN: 1
; COMPUTE_PGM_RSRC2:TGID_Y_EN: 0
; COMPUTE_PGM_RSRC2:TGID_Z_EN: 0
; COMPUTE_PGM_RSRC2:TIDIG_COMP_CNT: 0
	.section	.text._ZN7rocprim17ROCPRIM_400000_NS6detail17trampoline_kernelINS0_14default_configENS1_36segmented_radix_sort_config_selectorIblEEZNS1_25segmented_radix_sort_implIS3_Lb1EPKbPbPKlPlN2at6native12_GLOBAL__N_18offset_tEEE10hipError_tPvRmT1_PNSt15iterator_traitsISK_E10value_typeET2_T3_PNSL_ISQ_E10value_typeET4_jRbjT5_SW_jjP12ihipStream_tbEUlT_E1_NS1_11comp_targetILNS1_3genE3ELNS1_11target_archE908ELNS1_3gpuE7ELNS1_3repE0EEENS1_59segmented_radix_sort_warp_sort_small_config_static_selectorELNS0_4arch9wavefront6targetE0EEEvSK_,"axG",@progbits,_ZN7rocprim17ROCPRIM_400000_NS6detail17trampoline_kernelINS0_14default_configENS1_36segmented_radix_sort_config_selectorIblEEZNS1_25segmented_radix_sort_implIS3_Lb1EPKbPbPKlPlN2at6native12_GLOBAL__N_18offset_tEEE10hipError_tPvRmT1_PNSt15iterator_traitsISK_E10value_typeET2_T3_PNSL_ISQ_E10value_typeET4_jRbjT5_SW_jjP12ihipStream_tbEUlT_E1_NS1_11comp_targetILNS1_3genE3ELNS1_11target_archE908ELNS1_3gpuE7ELNS1_3repE0EEENS1_59segmented_radix_sort_warp_sort_small_config_static_selectorELNS0_4arch9wavefront6targetE0EEEvSK_,comdat
	.globl	_ZN7rocprim17ROCPRIM_400000_NS6detail17trampoline_kernelINS0_14default_configENS1_36segmented_radix_sort_config_selectorIblEEZNS1_25segmented_radix_sort_implIS3_Lb1EPKbPbPKlPlN2at6native12_GLOBAL__N_18offset_tEEE10hipError_tPvRmT1_PNSt15iterator_traitsISK_E10value_typeET2_T3_PNSL_ISQ_E10value_typeET4_jRbjT5_SW_jjP12ihipStream_tbEUlT_E1_NS1_11comp_targetILNS1_3genE3ELNS1_11target_archE908ELNS1_3gpuE7ELNS1_3repE0EEENS1_59segmented_radix_sort_warp_sort_small_config_static_selectorELNS0_4arch9wavefront6targetE0EEEvSK_ ; -- Begin function _ZN7rocprim17ROCPRIM_400000_NS6detail17trampoline_kernelINS0_14default_configENS1_36segmented_radix_sort_config_selectorIblEEZNS1_25segmented_radix_sort_implIS3_Lb1EPKbPbPKlPlN2at6native12_GLOBAL__N_18offset_tEEE10hipError_tPvRmT1_PNSt15iterator_traitsISK_E10value_typeET2_T3_PNSL_ISQ_E10value_typeET4_jRbjT5_SW_jjP12ihipStream_tbEUlT_E1_NS1_11comp_targetILNS1_3genE3ELNS1_11target_archE908ELNS1_3gpuE7ELNS1_3repE0EEENS1_59segmented_radix_sort_warp_sort_small_config_static_selectorELNS0_4arch9wavefront6targetE0EEEvSK_
	.p2align	8
	.type	_ZN7rocprim17ROCPRIM_400000_NS6detail17trampoline_kernelINS0_14default_configENS1_36segmented_radix_sort_config_selectorIblEEZNS1_25segmented_radix_sort_implIS3_Lb1EPKbPbPKlPlN2at6native12_GLOBAL__N_18offset_tEEE10hipError_tPvRmT1_PNSt15iterator_traitsISK_E10value_typeET2_T3_PNSL_ISQ_E10value_typeET4_jRbjT5_SW_jjP12ihipStream_tbEUlT_E1_NS1_11comp_targetILNS1_3genE3ELNS1_11target_archE908ELNS1_3gpuE7ELNS1_3repE0EEENS1_59segmented_radix_sort_warp_sort_small_config_static_selectorELNS0_4arch9wavefront6targetE0EEEvSK_,@function
_ZN7rocprim17ROCPRIM_400000_NS6detail17trampoline_kernelINS0_14default_configENS1_36segmented_radix_sort_config_selectorIblEEZNS1_25segmented_radix_sort_implIS3_Lb1EPKbPbPKlPlN2at6native12_GLOBAL__N_18offset_tEEE10hipError_tPvRmT1_PNSt15iterator_traitsISK_E10value_typeET2_T3_PNSL_ISQ_E10value_typeET4_jRbjT5_SW_jjP12ihipStream_tbEUlT_E1_NS1_11comp_targetILNS1_3genE3ELNS1_11target_archE908ELNS1_3gpuE7ELNS1_3repE0EEENS1_59segmented_radix_sort_warp_sort_small_config_static_selectorELNS0_4arch9wavefront6targetE0EEEvSK_: ; @_ZN7rocprim17ROCPRIM_400000_NS6detail17trampoline_kernelINS0_14default_configENS1_36segmented_radix_sort_config_selectorIblEEZNS1_25segmented_radix_sort_implIS3_Lb1EPKbPbPKlPlN2at6native12_GLOBAL__N_18offset_tEEE10hipError_tPvRmT1_PNSt15iterator_traitsISK_E10value_typeET2_T3_PNSL_ISQ_E10value_typeET4_jRbjT5_SW_jjP12ihipStream_tbEUlT_E1_NS1_11comp_targetILNS1_3genE3ELNS1_11target_archE908ELNS1_3gpuE7ELNS1_3repE0EEENS1_59segmented_radix_sort_warp_sort_small_config_static_selectorELNS0_4arch9wavefront6targetE0EEEvSK_
; %bb.0:
	.section	.rodata,"a",@progbits
	.p2align	6, 0x0
	.amdhsa_kernel _ZN7rocprim17ROCPRIM_400000_NS6detail17trampoline_kernelINS0_14default_configENS1_36segmented_radix_sort_config_selectorIblEEZNS1_25segmented_radix_sort_implIS3_Lb1EPKbPbPKlPlN2at6native12_GLOBAL__N_18offset_tEEE10hipError_tPvRmT1_PNSt15iterator_traitsISK_E10value_typeET2_T3_PNSL_ISQ_E10value_typeET4_jRbjT5_SW_jjP12ihipStream_tbEUlT_E1_NS1_11comp_targetILNS1_3genE3ELNS1_11target_archE908ELNS1_3gpuE7ELNS1_3repE0EEENS1_59segmented_radix_sort_warp_sort_small_config_static_selectorELNS0_4arch9wavefront6targetE0EEEvSK_
		.amdhsa_group_segment_fixed_size 0
		.amdhsa_private_segment_fixed_size 0
		.amdhsa_kernarg_size 88
		.amdhsa_user_sgpr_count 2
		.amdhsa_user_sgpr_dispatch_ptr 0
		.amdhsa_user_sgpr_queue_ptr 0
		.amdhsa_user_sgpr_kernarg_segment_ptr 1
		.amdhsa_user_sgpr_dispatch_id 0
		.amdhsa_user_sgpr_kernarg_preload_length 0
		.amdhsa_user_sgpr_kernarg_preload_offset 0
		.amdhsa_user_sgpr_private_segment_size 0
		.amdhsa_wavefront_size32 1
		.amdhsa_uses_dynamic_stack 0
		.amdhsa_enable_private_segment 0
		.amdhsa_system_sgpr_workgroup_id_x 1
		.amdhsa_system_sgpr_workgroup_id_y 0
		.amdhsa_system_sgpr_workgroup_id_z 0
		.amdhsa_system_sgpr_workgroup_info 0
		.amdhsa_system_vgpr_workitem_id 0
		.amdhsa_next_free_vgpr 1
		.amdhsa_next_free_sgpr 1
		.amdhsa_named_barrier_count 0
		.amdhsa_reserve_vcc 0
		.amdhsa_float_round_mode_32 0
		.amdhsa_float_round_mode_16_64 0
		.amdhsa_float_denorm_mode_32 3
		.amdhsa_float_denorm_mode_16_64 3
		.amdhsa_fp16_overflow 0
		.amdhsa_memory_ordered 1
		.amdhsa_forward_progress 1
		.amdhsa_inst_pref_size 0
		.amdhsa_round_robin_scheduling 0
		.amdhsa_exception_fp_ieee_invalid_op 0
		.amdhsa_exception_fp_denorm_src 0
		.amdhsa_exception_fp_ieee_div_zero 0
		.amdhsa_exception_fp_ieee_overflow 0
		.amdhsa_exception_fp_ieee_underflow 0
		.amdhsa_exception_fp_ieee_inexact 0
		.amdhsa_exception_int_div_zero 0
	.end_amdhsa_kernel
	.section	.text._ZN7rocprim17ROCPRIM_400000_NS6detail17trampoline_kernelINS0_14default_configENS1_36segmented_radix_sort_config_selectorIblEEZNS1_25segmented_radix_sort_implIS3_Lb1EPKbPbPKlPlN2at6native12_GLOBAL__N_18offset_tEEE10hipError_tPvRmT1_PNSt15iterator_traitsISK_E10value_typeET2_T3_PNSL_ISQ_E10value_typeET4_jRbjT5_SW_jjP12ihipStream_tbEUlT_E1_NS1_11comp_targetILNS1_3genE3ELNS1_11target_archE908ELNS1_3gpuE7ELNS1_3repE0EEENS1_59segmented_radix_sort_warp_sort_small_config_static_selectorELNS0_4arch9wavefront6targetE0EEEvSK_,"axG",@progbits,_ZN7rocprim17ROCPRIM_400000_NS6detail17trampoline_kernelINS0_14default_configENS1_36segmented_radix_sort_config_selectorIblEEZNS1_25segmented_radix_sort_implIS3_Lb1EPKbPbPKlPlN2at6native12_GLOBAL__N_18offset_tEEE10hipError_tPvRmT1_PNSt15iterator_traitsISK_E10value_typeET2_T3_PNSL_ISQ_E10value_typeET4_jRbjT5_SW_jjP12ihipStream_tbEUlT_E1_NS1_11comp_targetILNS1_3genE3ELNS1_11target_archE908ELNS1_3gpuE7ELNS1_3repE0EEENS1_59segmented_radix_sort_warp_sort_small_config_static_selectorELNS0_4arch9wavefront6targetE0EEEvSK_,comdat
.Lfunc_end1547:
	.size	_ZN7rocprim17ROCPRIM_400000_NS6detail17trampoline_kernelINS0_14default_configENS1_36segmented_radix_sort_config_selectorIblEEZNS1_25segmented_radix_sort_implIS3_Lb1EPKbPbPKlPlN2at6native12_GLOBAL__N_18offset_tEEE10hipError_tPvRmT1_PNSt15iterator_traitsISK_E10value_typeET2_T3_PNSL_ISQ_E10value_typeET4_jRbjT5_SW_jjP12ihipStream_tbEUlT_E1_NS1_11comp_targetILNS1_3genE3ELNS1_11target_archE908ELNS1_3gpuE7ELNS1_3repE0EEENS1_59segmented_radix_sort_warp_sort_small_config_static_selectorELNS0_4arch9wavefront6targetE0EEEvSK_, .Lfunc_end1547-_ZN7rocprim17ROCPRIM_400000_NS6detail17trampoline_kernelINS0_14default_configENS1_36segmented_radix_sort_config_selectorIblEEZNS1_25segmented_radix_sort_implIS3_Lb1EPKbPbPKlPlN2at6native12_GLOBAL__N_18offset_tEEE10hipError_tPvRmT1_PNSt15iterator_traitsISK_E10value_typeET2_T3_PNSL_ISQ_E10value_typeET4_jRbjT5_SW_jjP12ihipStream_tbEUlT_E1_NS1_11comp_targetILNS1_3genE3ELNS1_11target_archE908ELNS1_3gpuE7ELNS1_3repE0EEENS1_59segmented_radix_sort_warp_sort_small_config_static_selectorELNS0_4arch9wavefront6targetE0EEEvSK_
                                        ; -- End function
	.set _ZN7rocprim17ROCPRIM_400000_NS6detail17trampoline_kernelINS0_14default_configENS1_36segmented_radix_sort_config_selectorIblEEZNS1_25segmented_radix_sort_implIS3_Lb1EPKbPbPKlPlN2at6native12_GLOBAL__N_18offset_tEEE10hipError_tPvRmT1_PNSt15iterator_traitsISK_E10value_typeET2_T3_PNSL_ISQ_E10value_typeET4_jRbjT5_SW_jjP12ihipStream_tbEUlT_E1_NS1_11comp_targetILNS1_3genE3ELNS1_11target_archE908ELNS1_3gpuE7ELNS1_3repE0EEENS1_59segmented_radix_sort_warp_sort_small_config_static_selectorELNS0_4arch9wavefront6targetE0EEEvSK_.num_vgpr, 0
	.set _ZN7rocprim17ROCPRIM_400000_NS6detail17trampoline_kernelINS0_14default_configENS1_36segmented_radix_sort_config_selectorIblEEZNS1_25segmented_radix_sort_implIS3_Lb1EPKbPbPKlPlN2at6native12_GLOBAL__N_18offset_tEEE10hipError_tPvRmT1_PNSt15iterator_traitsISK_E10value_typeET2_T3_PNSL_ISQ_E10value_typeET4_jRbjT5_SW_jjP12ihipStream_tbEUlT_E1_NS1_11comp_targetILNS1_3genE3ELNS1_11target_archE908ELNS1_3gpuE7ELNS1_3repE0EEENS1_59segmented_radix_sort_warp_sort_small_config_static_selectorELNS0_4arch9wavefront6targetE0EEEvSK_.num_agpr, 0
	.set _ZN7rocprim17ROCPRIM_400000_NS6detail17trampoline_kernelINS0_14default_configENS1_36segmented_radix_sort_config_selectorIblEEZNS1_25segmented_radix_sort_implIS3_Lb1EPKbPbPKlPlN2at6native12_GLOBAL__N_18offset_tEEE10hipError_tPvRmT1_PNSt15iterator_traitsISK_E10value_typeET2_T3_PNSL_ISQ_E10value_typeET4_jRbjT5_SW_jjP12ihipStream_tbEUlT_E1_NS1_11comp_targetILNS1_3genE3ELNS1_11target_archE908ELNS1_3gpuE7ELNS1_3repE0EEENS1_59segmented_radix_sort_warp_sort_small_config_static_selectorELNS0_4arch9wavefront6targetE0EEEvSK_.numbered_sgpr, 0
	.set _ZN7rocprim17ROCPRIM_400000_NS6detail17trampoline_kernelINS0_14default_configENS1_36segmented_radix_sort_config_selectorIblEEZNS1_25segmented_radix_sort_implIS3_Lb1EPKbPbPKlPlN2at6native12_GLOBAL__N_18offset_tEEE10hipError_tPvRmT1_PNSt15iterator_traitsISK_E10value_typeET2_T3_PNSL_ISQ_E10value_typeET4_jRbjT5_SW_jjP12ihipStream_tbEUlT_E1_NS1_11comp_targetILNS1_3genE3ELNS1_11target_archE908ELNS1_3gpuE7ELNS1_3repE0EEENS1_59segmented_radix_sort_warp_sort_small_config_static_selectorELNS0_4arch9wavefront6targetE0EEEvSK_.num_named_barrier, 0
	.set _ZN7rocprim17ROCPRIM_400000_NS6detail17trampoline_kernelINS0_14default_configENS1_36segmented_radix_sort_config_selectorIblEEZNS1_25segmented_radix_sort_implIS3_Lb1EPKbPbPKlPlN2at6native12_GLOBAL__N_18offset_tEEE10hipError_tPvRmT1_PNSt15iterator_traitsISK_E10value_typeET2_T3_PNSL_ISQ_E10value_typeET4_jRbjT5_SW_jjP12ihipStream_tbEUlT_E1_NS1_11comp_targetILNS1_3genE3ELNS1_11target_archE908ELNS1_3gpuE7ELNS1_3repE0EEENS1_59segmented_radix_sort_warp_sort_small_config_static_selectorELNS0_4arch9wavefront6targetE0EEEvSK_.private_seg_size, 0
	.set _ZN7rocprim17ROCPRIM_400000_NS6detail17trampoline_kernelINS0_14default_configENS1_36segmented_radix_sort_config_selectorIblEEZNS1_25segmented_radix_sort_implIS3_Lb1EPKbPbPKlPlN2at6native12_GLOBAL__N_18offset_tEEE10hipError_tPvRmT1_PNSt15iterator_traitsISK_E10value_typeET2_T3_PNSL_ISQ_E10value_typeET4_jRbjT5_SW_jjP12ihipStream_tbEUlT_E1_NS1_11comp_targetILNS1_3genE3ELNS1_11target_archE908ELNS1_3gpuE7ELNS1_3repE0EEENS1_59segmented_radix_sort_warp_sort_small_config_static_selectorELNS0_4arch9wavefront6targetE0EEEvSK_.uses_vcc, 0
	.set _ZN7rocprim17ROCPRIM_400000_NS6detail17trampoline_kernelINS0_14default_configENS1_36segmented_radix_sort_config_selectorIblEEZNS1_25segmented_radix_sort_implIS3_Lb1EPKbPbPKlPlN2at6native12_GLOBAL__N_18offset_tEEE10hipError_tPvRmT1_PNSt15iterator_traitsISK_E10value_typeET2_T3_PNSL_ISQ_E10value_typeET4_jRbjT5_SW_jjP12ihipStream_tbEUlT_E1_NS1_11comp_targetILNS1_3genE3ELNS1_11target_archE908ELNS1_3gpuE7ELNS1_3repE0EEENS1_59segmented_radix_sort_warp_sort_small_config_static_selectorELNS0_4arch9wavefront6targetE0EEEvSK_.uses_flat_scratch, 0
	.set _ZN7rocprim17ROCPRIM_400000_NS6detail17trampoline_kernelINS0_14default_configENS1_36segmented_radix_sort_config_selectorIblEEZNS1_25segmented_radix_sort_implIS3_Lb1EPKbPbPKlPlN2at6native12_GLOBAL__N_18offset_tEEE10hipError_tPvRmT1_PNSt15iterator_traitsISK_E10value_typeET2_T3_PNSL_ISQ_E10value_typeET4_jRbjT5_SW_jjP12ihipStream_tbEUlT_E1_NS1_11comp_targetILNS1_3genE3ELNS1_11target_archE908ELNS1_3gpuE7ELNS1_3repE0EEENS1_59segmented_radix_sort_warp_sort_small_config_static_selectorELNS0_4arch9wavefront6targetE0EEEvSK_.has_dyn_sized_stack, 0
	.set _ZN7rocprim17ROCPRIM_400000_NS6detail17trampoline_kernelINS0_14default_configENS1_36segmented_radix_sort_config_selectorIblEEZNS1_25segmented_radix_sort_implIS3_Lb1EPKbPbPKlPlN2at6native12_GLOBAL__N_18offset_tEEE10hipError_tPvRmT1_PNSt15iterator_traitsISK_E10value_typeET2_T3_PNSL_ISQ_E10value_typeET4_jRbjT5_SW_jjP12ihipStream_tbEUlT_E1_NS1_11comp_targetILNS1_3genE3ELNS1_11target_archE908ELNS1_3gpuE7ELNS1_3repE0EEENS1_59segmented_radix_sort_warp_sort_small_config_static_selectorELNS0_4arch9wavefront6targetE0EEEvSK_.has_recursion, 0
	.set _ZN7rocprim17ROCPRIM_400000_NS6detail17trampoline_kernelINS0_14default_configENS1_36segmented_radix_sort_config_selectorIblEEZNS1_25segmented_radix_sort_implIS3_Lb1EPKbPbPKlPlN2at6native12_GLOBAL__N_18offset_tEEE10hipError_tPvRmT1_PNSt15iterator_traitsISK_E10value_typeET2_T3_PNSL_ISQ_E10value_typeET4_jRbjT5_SW_jjP12ihipStream_tbEUlT_E1_NS1_11comp_targetILNS1_3genE3ELNS1_11target_archE908ELNS1_3gpuE7ELNS1_3repE0EEENS1_59segmented_radix_sort_warp_sort_small_config_static_selectorELNS0_4arch9wavefront6targetE0EEEvSK_.has_indirect_call, 0
	.section	.AMDGPU.csdata,"",@progbits
; Kernel info:
; codeLenInByte = 0
; TotalNumSgprs: 0
; NumVgprs: 0
; ScratchSize: 0
; MemoryBound: 0
; FloatMode: 240
; IeeeMode: 1
; LDSByteSize: 0 bytes/workgroup (compile time only)
; SGPRBlocks: 0
; VGPRBlocks: 0
; NumSGPRsForWavesPerEU: 1
; NumVGPRsForWavesPerEU: 1
; NamedBarCnt: 0
; Occupancy: 16
; WaveLimiterHint : 0
; COMPUTE_PGM_RSRC2:SCRATCH_EN: 0
; COMPUTE_PGM_RSRC2:USER_SGPR: 2
; COMPUTE_PGM_RSRC2:TRAP_HANDLER: 0
; COMPUTE_PGM_RSRC2:TGID_X_EN: 1
; COMPUTE_PGM_RSRC2:TGID_Y_EN: 0
; COMPUTE_PGM_RSRC2:TGID_Z_EN: 0
; COMPUTE_PGM_RSRC2:TIDIG_COMP_CNT: 0
	.section	.text._ZN7rocprim17ROCPRIM_400000_NS6detail17trampoline_kernelINS0_14default_configENS1_36segmented_radix_sort_config_selectorIblEEZNS1_25segmented_radix_sort_implIS3_Lb1EPKbPbPKlPlN2at6native12_GLOBAL__N_18offset_tEEE10hipError_tPvRmT1_PNSt15iterator_traitsISK_E10value_typeET2_T3_PNSL_ISQ_E10value_typeET4_jRbjT5_SW_jjP12ihipStream_tbEUlT_E1_NS1_11comp_targetILNS1_3genE2ELNS1_11target_archE906ELNS1_3gpuE6ELNS1_3repE0EEENS1_59segmented_radix_sort_warp_sort_small_config_static_selectorELNS0_4arch9wavefront6targetE0EEEvSK_,"axG",@progbits,_ZN7rocprim17ROCPRIM_400000_NS6detail17trampoline_kernelINS0_14default_configENS1_36segmented_radix_sort_config_selectorIblEEZNS1_25segmented_radix_sort_implIS3_Lb1EPKbPbPKlPlN2at6native12_GLOBAL__N_18offset_tEEE10hipError_tPvRmT1_PNSt15iterator_traitsISK_E10value_typeET2_T3_PNSL_ISQ_E10value_typeET4_jRbjT5_SW_jjP12ihipStream_tbEUlT_E1_NS1_11comp_targetILNS1_3genE2ELNS1_11target_archE906ELNS1_3gpuE6ELNS1_3repE0EEENS1_59segmented_radix_sort_warp_sort_small_config_static_selectorELNS0_4arch9wavefront6targetE0EEEvSK_,comdat
	.globl	_ZN7rocprim17ROCPRIM_400000_NS6detail17trampoline_kernelINS0_14default_configENS1_36segmented_radix_sort_config_selectorIblEEZNS1_25segmented_radix_sort_implIS3_Lb1EPKbPbPKlPlN2at6native12_GLOBAL__N_18offset_tEEE10hipError_tPvRmT1_PNSt15iterator_traitsISK_E10value_typeET2_T3_PNSL_ISQ_E10value_typeET4_jRbjT5_SW_jjP12ihipStream_tbEUlT_E1_NS1_11comp_targetILNS1_3genE2ELNS1_11target_archE906ELNS1_3gpuE6ELNS1_3repE0EEENS1_59segmented_radix_sort_warp_sort_small_config_static_selectorELNS0_4arch9wavefront6targetE0EEEvSK_ ; -- Begin function _ZN7rocprim17ROCPRIM_400000_NS6detail17trampoline_kernelINS0_14default_configENS1_36segmented_radix_sort_config_selectorIblEEZNS1_25segmented_radix_sort_implIS3_Lb1EPKbPbPKlPlN2at6native12_GLOBAL__N_18offset_tEEE10hipError_tPvRmT1_PNSt15iterator_traitsISK_E10value_typeET2_T3_PNSL_ISQ_E10value_typeET4_jRbjT5_SW_jjP12ihipStream_tbEUlT_E1_NS1_11comp_targetILNS1_3genE2ELNS1_11target_archE906ELNS1_3gpuE6ELNS1_3repE0EEENS1_59segmented_radix_sort_warp_sort_small_config_static_selectorELNS0_4arch9wavefront6targetE0EEEvSK_
	.p2align	8
	.type	_ZN7rocprim17ROCPRIM_400000_NS6detail17trampoline_kernelINS0_14default_configENS1_36segmented_radix_sort_config_selectorIblEEZNS1_25segmented_radix_sort_implIS3_Lb1EPKbPbPKlPlN2at6native12_GLOBAL__N_18offset_tEEE10hipError_tPvRmT1_PNSt15iterator_traitsISK_E10value_typeET2_T3_PNSL_ISQ_E10value_typeET4_jRbjT5_SW_jjP12ihipStream_tbEUlT_E1_NS1_11comp_targetILNS1_3genE2ELNS1_11target_archE906ELNS1_3gpuE6ELNS1_3repE0EEENS1_59segmented_radix_sort_warp_sort_small_config_static_selectorELNS0_4arch9wavefront6targetE0EEEvSK_,@function
_ZN7rocprim17ROCPRIM_400000_NS6detail17trampoline_kernelINS0_14default_configENS1_36segmented_radix_sort_config_selectorIblEEZNS1_25segmented_radix_sort_implIS3_Lb1EPKbPbPKlPlN2at6native12_GLOBAL__N_18offset_tEEE10hipError_tPvRmT1_PNSt15iterator_traitsISK_E10value_typeET2_T3_PNSL_ISQ_E10value_typeET4_jRbjT5_SW_jjP12ihipStream_tbEUlT_E1_NS1_11comp_targetILNS1_3genE2ELNS1_11target_archE906ELNS1_3gpuE6ELNS1_3repE0EEENS1_59segmented_radix_sort_warp_sort_small_config_static_selectorELNS0_4arch9wavefront6targetE0EEEvSK_: ; @_ZN7rocprim17ROCPRIM_400000_NS6detail17trampoline_kernelINS0_14default_configENS1_36segmented_radix_sort_config_selectorIblEEZNS1_25segmented_radix_sort_implIS3_Lb1EPKbPbPKlPlN2at6native12_GLOBAL__N_18offset_tEEE10hipError_tPvRmT1_PNSt15iterator_traitsISK_E10value_typeET2_T3_PNSL_ISQ_E10value_typeET4_jRbjT5_SW_jjP12ihipStream_tbEUlT_E1_NS1_11comp_targetILNS1_3genE2ELNS1_11target_archE906ELNS1_3gpuE6ELNS1_3repE0EEENS1_59segmented_radix_sort_warp_sort_small_config_static_selectorELNS0_4arch9wavefront6targetE0EEEvSK_
; %bb.0:
	.section	.rodata,"a",@progbits
	.p2align	6, 0x0
	.amdhsa_kernel _ZN7rocprim17ROCPRIM_400000_NS6detail17trampoline_kernelINS0_14default_configENS1_36segmented_radix_sort_config_selectorIblEEZNS1_25segmented_radix_sort_implIS3_Lb1EPKbPbPKlPlN2at6native12_GLOBAL__N_18offset_tEEE10hipError_tPvRmT1_PNSt15iterator_traitsISK_E10value_typeET2_T3_PNSL_ISQ_E10value_typeET4_jRbjT5_SW_jjP12ihipStream_tbEUlT_E1_NS1_11comp_targetILNS1_3genE2ELNS1_11target_archE906ELNS1_3gpuE6ELNS1_3repE0EEENS1_59segmented_radix_sort_warp_sort_small_config_static_selectorELNS0_4arch9wavefront6targetE0EEEvSK_
		.amdhsa_group_segment_fixed_size 0
		.amdhsa_private_segment_fixed_size 0
		.amdhsa_kernarg_size 88
		.amdhsa_user_sgpr_count 2
		.amdhsa_user_sgpr_dispatch_ptr 0
		.amdhsa_user_sgpr_queue_ptr 0
		.amdhsa_user_sgpr_kernarg_segment_ptr 1
		.amdhsa_user_sgpr_dispatch_id 0
		.amdhsa_user_sgpr_kernarg_preload_length 0
		.amdhsa_user_sgpr_kernarg_preload_offset 0
		.amdhsa_user_sgpr_private_segment_size 0
		.amdhsa_wavefront_size32 1
		.amdhsa_uses_dynamic_stack 0
		.amdhsa_enable_private_segment 0
		.amdhsa_system_sgpr_workgroup_id_x 1
		.amdhsa_system_sgpr_workgroup_id_y 0
		.amdhsa_system_sgpr_workgroup_id_z 0
		.amdhsa_system_sgpr_workgroup_info 0
		.amdhsa_system_vgpr_workitem_id 0
		.amdhsa_next_free_vgpr 1
		.amdhsa_next_free_sgpr 1
		.amdhsa_named_barrier_count 0
		.amdhsa_reserve_vcc 0
		.amdhsa_float_round_mode_32 0
		.amdhsa_float_round_mode_16_64 0
		.amdhsa_float_denorm_mode_32 3
		.amdhsa_float_denorm_mode_16_64 3
		.amdhsa_fp16_overflow 0
		.amdhsa_memory_ordered 1
		.amdhsa_forward_progress 1
		.amdhsa_inst_pref_size 0
		.amdhsa_round_robin_scheduling 0
		.amdhsa_exception_fp_ieee_invalid_op 0
		.amdhsa_exception_fp_denorm_src 0
		.amdhsa_exception_fp_ieee_div_zero 0
		.amdhsa_exception_fp_ieee_overflow 0
		.amdhsa_exception_fp_ieee_underflow 0
		.amdhsa_exception_fp_ieee_inexact 0
		.amdhsa_exception_int_div_zero 0
	.end_amdhsa_kernel
	.section	.text._ZN7rocprim17ROCPRIM_400000_NS6detail17trampoline_kernelINS0_14default_configENS1_36segmented_radix_sort_config_selectorIblEEZNS1_25segmented_radix_sort_implIS3_Lb1EPKbPbPKlPlN2at6native12_GLOBAL__N_18offset_tEEE10hipError_tPvRmT1_PNSt15iterator_traitsISK_E10value_typeET2_T3_PNSL_ISQ_E10value_typeET4_jRbjT5_SW_jjP12ihipStream_tbEUlT_E1_NS1_11comp_targetILNS1_3genE2ELNS1_11target_archE906ELNS1_3gpuE6ELNS1_3repE0EEENS1_59segmented_radix_sort_warp_sort_small_config_static_selectorELNS0_4arch9wavefront6targetE0EEEvSK_,"axG",@progbits,_ZN7rocprim17ROCPRIM_400000_NS6detail17trampoline_kernelINS0_14default_configENS1_36segmented_radix_sort_config_selectorIblEEZNS1_25segmented_radix_sort_implIS3_Lb1EPKbPbPKlPlN2at6native12_GLOBAL__N_18offset_tEEE10hipError_tPvRmT1_PNSt15iterator_traitsISK_E10value_typeET2_T3_PNSL_ISQ_E10value_typeET4_jRbjT5_SW_jjP12ihipStream_tbEUlT_E1_NS1_11comp_targetILNS1_3genE2ELNS1_11target_archE906ELNS1_3gpuE6ELNS1_3repE0EEENS1_59segmented_radix_sort_warp_sort_small_config_static_selectorELNS0_4arch9wavefront6targetE0EEEvSK_,comdat
.Lfunc_end1548:
	.size	_ZN7rocprim17ROCPRIM_400000_NS6detail17trampoline_kernelINS0_14default_configENS1_36segmented_radix_sort_config_selectorIblEEZNS1_25segmented_radix_sort_implIS3_Lb1EPKbPbPKlPlN2at6native12_GLOBAL__N_18offset_tEEE10hipError_tPvRmT1_PNSt15iterator_traitsISK_E10value_typeET2_T3_PNSL_ISQ_E10value_typeET4_jRbjT5_SW_jjP12ihipStream_tbEUlT_E1_NS1_11comp_targetILNS1_3genE2ELNS1_11target_archE906ELNS1_3gpuE6ELNS1_3repE0EEENS1_59segmented_radix_sort_warp_sort_small_config_static_selectorELNS0_4arch9wavefront6targetE0EEEvSK_, .Lfunc_end1548-_ZN7rocprim17ROCPRIM_400000_NS6detail17trampoline_kernelINS0_14default_configENS1_36segmented_radix_sort_config_selectorIblEEZNS1_25segmented_radix_sort_implIS3_Lb1EPKbPbPKlPlN2at6native12_GLOBAL__N_18offset_tEEE10hipError_tPvRmT1_PNSt15iterator_traitsISK_E10value_typeET2_T3_PNSL_ISQ_E10value_typeET4_jRbjT5_SW_jjP12ihipStream_tbEUlT_E1_NS1_11comp_targetILNS1_3genE2ELNS1_11target_archE906ELNS1_3gpuE6ELNS1_3repE0EEENS1_59segmented_radix_sort_warp_sort_small_config_static_selectorELNS0_4arch9wavefront6targetE0EEEvSK_
                                        ; -- End function
	.set _ZN7rocprim17ROCPRIM_400000_NS6detail17trampoline_kernelINS0_14default_configENS1_36segmented_radix_sort_config_selectorIblEEZNS1_25segmented_radix_sort_implIS3_Lb1EPKbPbPKlPlN2at6native12_GLOBAL__N_18offset_tEEE10hipError_tPvRmT1_PNSt15iterator_traitsISK_E10value_typeET2_T3_PNSL_ISQ_E10value_typeET4_jRbjT5_SW_jjP12ihipStream_tbEUlT_E1_NS1_11comp_targetILNS1_3genE2ELNS1_11target_archE906ELNS1_3gpuE6ELNS1_3repE0EEENS1_59segmented_radix_sort_warp_sort_small_config_static_selectorELNS0_4arch9wavefront6targetE0EEEvSK_.num_vgpr, 0
	.set _ZN7rocprim17ROCPRIM_400000_NS6detail17trampoline_kernelINS0_14default_configENS1_36segmented_radix_sort_config_selectorIblEEZNS1_25segmented_radix_sort_implIS3_Lb1EPKbPbPKlPlN2at6native12_GLOBAL__N_18offset_tEEE10hipError_tPvRmT1_PNSt15iterator_traitsISK_E10value_typeET2_T3_PNSL_ISQ_E10value_typeET4_jRbjT5_SW_jjP12ihipStream_tbEUlT_E1_NS1_11comp_targetILNS1_3genE2ELNS1_11target_archE906ELNS1_3gpuE6ELNS1_3repE0EEENS1_59segmented_radix_sort_warp_sort_small_config_static_selectorELNS0_4arch9wavefront6targetE0EEEvSK_.num_agpr, 0
	.set _ZN7rocprim17ROCPRIM_400000_NS6detail17trampoline_kernelINS0_14default_configENS1_36segmented_radix_sort_config_selectorIblEEZNS1_25segmented_radix_sort_implIS3_Lb1EPKbPbPKlPlN2at6native12_GLOBAL__N_18offset_tEEE10hipError_tPvRmT1_PNSt15iterator_traitsISK_E10value_typeET2_T3_PNSL_ISQ_E10value_typeET4_jRbjT5_SW_jjP12ihipStream_tbEUlT_E1_NS1_11comp_targetILNS1_3genE2ELNS1_11target_archE906ELNS1_3gpuE6ELNS1_3repE0EEENS1_59segmented_radix_sort_warp_sort_small_config_static_selectorELNS0_4arch9wavefront6targetE0EEEvSK_.numbered_sgpr, 0
	.set _ZN7rocprim17ROCPRIM_400000_NS6detail17trampoline_kernelINS0_14default_configENS1_36segmented_radix_sort_config_selectorIblEEZNS1_25segmented_radix_sort_implIS3_Lb1EPKbPbPKlPlN2at6native12_GLOBAL__N_18offset_tEEE10hipError_tPvRmT1_PNSt15iterator_traitsISK_E10value_typeET2_T3_PNSL_ISQ_E10value_typeET4_jRbjT5_SW_jjP12ihipStream_tbEUlT_E1_NS1_11comp_targetILNS1_3genE2ELNS1_11target_archE906ELNS1_3gpuE6ELNS1_3repE0EEENS1_59segmented_radix_sort_warp_sort_small_config_static_selectorELNS0_4arch9wavefront6targetE0EEEvSK_.num_named_barrier, 0
	.set _ZN7rocprim17ROCPRIM_400000_NS6detail17trampoline_kernelINS0_14default_configENS1_36segmented_radix_sort_config_selectorIblEEZNS1_25segmented_radix_sort_implIS3_Lb1EPKbPbPKlPlN2at6native12_GLOBAL__N_18offset_tEEE10hipError_tPvRmT1_PNSt15iterator_traitsISK_E10value_typeET2_T3_PNSL_ISQ_E10value_typeET4_jRbjT5_SW_jjP12ihipStream_tbEUlT_E1_NS1_11comp_targetILNS1_3genE2ELNS1_11target_archE906ELNS1_3gpuE6ELNS1_3repE0EEENS1_59segmented_radix_sort_warp_sort_small_config_static_selectorELNS0_4arch9wavefront6targetE0EEEvSK_.private_seg_size, 0
	.set _ZN7rocprim17ROCPRIM_400000_NS6detail17trampoline_kernelINS0_14default_configENS1_36segmented_radix_sort_config_selectorIblEEZNS1_25segmented_radix_sort_implIS3_Lb1EPKbPbPKlPlN2at6native12_GLOBAL__N_18offset_tEEE10hipError_tPvRmT1_PNSt15iterator_traitsISK_E10value_typeET2_T3_PNSL_ISQ_E10value_typeET4_jRbjT5_SW_jjP12ihipStream_tbEUlT_E1_NS1_11comp_targetILNS1_3genE2ELNS1_11target_archE906ELNS1_3gpuE6ELNS1_3repE0EEENS1_59segmented_radix_sort_warp_sort_small_config_static_selectorELNS0_4arch9wavefront6targetE0EEEvSK_.uses_vcc, 0
	.set _ZN7rocprim17ROCPRIM_400000_NS6detail17trampoline_kernelINS0_14default_configENS1_36segmented_radix_sort_config_selectorIblEEZNS1_25segmented_radix_sort_implIS3_Lb1EPKbPbPKlPlN2at6native12_GLOBAL__N_18offset_tEEE10hipError_tPvRmT1_PNSt15iterator_traitsISK_E10value_typeET2_T3_PNSL_ISQ_E10value_typeET4_jRbjT5_SW_jjP12ihipStream_tbEUlT_E1_NS1_11comp_targetILNS1_3genE2ELNS1_11target_archE906ELNS1_3gpuE6ELNS1_3repE0EEENS1_59segmented_radix_sort_warp_sort_small_config_static_selectorELNS0_4arch9wavefront6targetE0EEEvSK_.uses_flat_scratch, 0
	.set _ZN7rocprim17ROCPRIM_400000_NS6detail17trampoline_kernelINS0_14default_configENS1_36segmented_radix_sort_config_selectorIblEEZNS1_25segmented_radix_sort_implIS3_Lb1EPKbPbPKlPlN2at6native12_GLOBAL__N_18offset_tEEE10hipError_tPvRmT1_PNSt15iterator_traitsISK_E10value_typeET2_T3_PNSL_ISQ_E10value_typeET4_jRbjT5_SW_jjP12ihipStream_tbEUlT_E1_NS1_11comp_targetILNS1_3genE2ELNS1_11target_archE906ELNS1_3gpuE6ELNS1_3repE0EEENS1_59segmented_radix_sort_warp_sort_small_config_static_selectorELNS0_4arch9wavefront6targetE0EEEvSK_.has_dyn_sized_stack, 0
	.set _ZN7rocprim17ROCPRIM_400000_NS6detail17trampoline_kernelINS0_14default_configENS1_36segmented_radix_sort_config_selectorIblEEZNS1_25segmented_radix_sort_implIS3_Lb1EPKbPbPKlPlN2at6native12_GLOBAL__N_18offset_tEEE10hipError_tPvRmT1_PNSt15iterator_traitsISK_E10value_typeET2_T3_PNSL_ISQ_E10value_typeET4_jRbjT5_SW_jjP12ihipStream_tbEUlT_E1_NS1_11comp_targetILNS1_3genE2ELNS1_11target_archE906ELNS1_3gpuE6ELNS1_3repE0EEENS1_59segmented_radix_sort_warp_sort_small_config_static_selectorELNS0_4arch9wavefront6targetE0EEEvSK_.has_recursion, 0
	.set _ZN7rocprim17ROCPRIM_400000_NS6detail17trampoline_kernelINS0_14default_configENS1_36segmented_radix_sort_config_selectorIblEEZNS1_25segmented_radix_sort_implIS3_Lb1EPKbPbPKlPlN2at6native12_GLOBAL__N_18offset_tEEE10hipError_tPvRmT1_PNSt15iterator_traitsISK_E10value_typeET2_T3_PNSL_ISQ_E10value_typeET4_jRbjT5_SW_jjP12ihipStream_tbEUlT_E1_NS1_11comp_targetILNS1_3genE2ELNS1_11target_archE906ELNS1_3gpuE6ELNS1_3repE0EEENS1_59segmented_radix_sort_warp_sort_small_config_static_selectorELNS0_4arch9wavefront6targetE0EEEvSK_.has_indirect_call, 0
	.section	.AMDGPU.csdata,"",@progbits
; Kernel info:
; codeLenInByte = 0
; TotalNumSgprs: 0
; NumVgprs: 0
; ScratchSize: 0
; MemoryBound: 0
; FloatMode: 240
; IeeeMode: 1
; LDSByteSize: 0 bytes/workgroup (compile time only)
; SGPRBlocks: 0
; VGPRBlocks: 0
; NumSGPRsForWavesPerEU: 1
; NumVGPRsForWavesPerEU: 1
; NamedBarCnt: 0
; Occupancy: 16
; WaveLimiterHint : 0
; COMPUTE_PGM_RSRC2:SCRATCH_EN: 0
; COMPUTE_PGM_RSRC2:USER_SGPR: 2
; COMPUTE_PGM_RSRC2:TRAP_HANDLER: 0
; COMPUTE_PGM_RSRC2:TGID_X_EN: 1
; COMPUTE_PGM_RSRC2:TGID_Y_EN: 0
; COMPUTE_PGM_RSRC2:TGID_Z_EN: 0
; COMPUTE_PGM_RSRC2:TIDIG_COMP_CNT: 0
	.section	.text._ZN7rocprim17ROCPRIM_400000_NS6detail17trampoline_kernelINS0_14default_configENS1_36segmented_radix_sort_config_selectorIblEEZNS1_25segmented_radix_sort_implIS3_Lb1EPKbPbPKlPlN2at6native12_GLOBAL__N_18offset_tEEE10hipError_tPvRmT1_PNSt15iterator_traitsISK_E10value_typeET2_T3_PNSL_ISQ_E10value_typeET4_jRbjT5_SW_jjP12ihipStream_tbEUlT_E1_NS1_11comp_targetILNS1_3genE10ELNS1_11target_archE1201ELNS1_3gpuE5ELNS1_3repE0EEENS1_59segmented_radix_sort_warp_sort_small_config_static_selectorELNS0_4arch9wavefront6targetE0EEEvSK_,"axG",@progbits,_ZN7rocprim17ROCPRIM_400000_NS6detail17trampoline_kernelINS0_14default_configENS1_36segmented_radix_sort_config_selectorIblEEZNS1_25segmented_radix_sort_implIS3_Lb1EPKbPbPKlPlN2at6native12_GLOBAL__N_18offset_tEEE10hipError_tPvRmT1_PNSt15iterator_traitsISK_E10value_typeET2_T3_PNSL_ISQ_E10value_typeET4_jRbjT5_SW_jjP12ihipStream_tbEUlT_E1_NS1_11comp_targetILNS1_3genE10ELNS1_11target_archE1201ELNS1_3gpuE5ELNS1_3repE0EEENS1_59segmented_radix_sort_warp_sort_small_config_static_selectorELNS0_4arch9wavefront6targetE0EEEvSK_,comdat
	.globl	_ZN7rocprim17ROCPRIM_400000_NS6detail17trampoline_kernelINS0_14default_configENS1_36segmented_radix_sort_config_selectorIblEEZNS1_25segmented_radix_sort_implIS3_Lb1EPKbPbPKlPlN2at6native12_GLOBAL__N_18offset_tEEE10hipError_tPvRmT1_PNSt15iterator_traitsISK_E10value_typeET2_T3_PNSL_ISQ_E10value_typeET4_jRbjT5_SW_jjP12ihipStream_tbEUlT_E1_NS1_11comp_targetILNS1_3genE10ELNS1_11target_archE1201ELNS1_3gpuE5ELNS1_3repE0EEENS1_59segmented_radix_sort_warp_sort_small_config_static_selectorELNS0_4arch9wavefront6targetE0EEEvSK_ ; -- Begin function _ZN7rocprim17ROCPRIM_400000_NS6detail17trampoline_kernelINS0_14default_configENS1_36segmented_radix_sort_config_selectorIblEEZNS1_25segmented_radix_sort_implIS3_Lb1EPKbPbPKlPlN2at6native12_GLOBAL__N_18offset_tEEE10hipError_tPvRmT1_PNSt15iterator_traitsISK_E10value_typeET2_T3_PNSL_ISQ_E10value_typeET4_jRbjT5_SW_jjP12ihipStream_tbEUlT_E1_NS1_11comp_targetILNS1_3genE10ELNS1_11target_archE1201ELNS1_3gpuE5ELNS1_3repE0EEENS1_59segmented_radix_sort_warp_sort_small_config_static_selectorELNS0_4arch9wavefront6targetE0EEEvSK_
	.p2align	8
	.type	_ZN7rocprim17ROCPRIM_400000_NS6detail17trampoline_kernelINS0_14default_configENS1_36segmented_radix_sort_config_selectorIblEEZNS1_25segmented_radix_sort_implIS3_Lb1EPKbPbPKlPlN2at6native12_GLOBAL__N_18offset_tEEE10hipError_tPvRmT1_PNSt15iterator_traitsISK_E10value_typeET2_T3_PNSL_ISQ_E10value_typeET4_jRbjT5_SW_jjP12ihipStream_tbEUlT_E1_NS1_11comp_targetILNS1_3genE10ELNS1_11target_archE1201ELNS1_3gpuE5ELNS1_3repE0EEENS1_59segmented_radix_sort_warp_sort_small_config_static_selectorELNS0_4arch9wavefront6targetE0EEEvSK_,@function
_ZN7rocprim17ROCPRIM_400000_NS6detail17trampoline_kernelINS0_14default_configENS1_36segmented_radix_sort_config_selectorIblEEZNS1_25segmented_radix_sort_implIS3_Lb1EPKbPbPKlPlN2at6native12_GLOBAL__N_18offset_tEEE10hipError_tPvRmT1_PNSt15iterator_traitsISK_E10value_typeET2_T3_PNSL_ISQ_E10value_typeET4_jRbjT5_SW_jjP12ihipStream_tbEUlT_E1_NS1_11comp_targetILNS1_3genE10ELNS1_11target_archE1201ELNS1_3gpuE5ELNS1_3repE0EEENS1_59segmented_radix_sort_warp_sort_small_config_static_selectorELNS0_4arch9wavefront6targetE0EEEvSK_: ; @_ZN7rocprim17ROCPRIM_400000_NS6detail17trampoline_kernelINS0_14default_configENS1_36segmented_radix_sort_config_selectorIblEEZNS1_25segmented_radix_sort_implIS3_Lb1EPKbPbPKlPlN2at6native12_GLOBAL__N_18offset_tEEE10hipError_tPvRmT1_PNSt15iterator_traitsISK_E10value_typeET2_T3_PNSL_ISQ_E10value_typeET4_jRbjT5_SW_jjP12ihipStream_tbEUlT_E1_NS1_11comp_targetILNS1_3genE10ELNS1_11target_archE1201ELNS1_3gpuE5ELNS1_3repE0EEENS1_59segmented_radix_sort_warp_sort_small_config_static_selectorELNS0_4arch9wavefront6targetE0EEEvSK_
; %bb.0:
	.section	.rodata,"a",@progbits
	.p2align	6, 0x0
	.amdhsa_kernel _ZN7rocprim17ROCPRIM_400000_NS6detail17trampoline_kernelINS0_14default_configENS1_36segmented_radix_sort_config_selectorIblEEZNS1_25segmented_radix_sort_implIS3_Lb1EPKbPbPKlPlN2at6native12_GLOBAL__N_18offset_tEEE10hipError_tPvRmT1_PNSt15iterator_traitsISK_E10value_typeET2_T3_PNSL_ISQ_E10value_typeET4_jRbjT5_SW_jjP12ihipStream_tbEUlT_E1_NS1_11comp_targetILNS1_3genE10ELNS1_11target_archE1201ELNS1_3gpuE5ELNS1_3repE0EEENS1_59segmented_radix_sort_warp_sort_small_config_static_selectorELNS0_4arch9wavefront6targetE0EEEvSK_
		.amdhsa_group_segment_fixed_size 0
		.amdhsa_private_segment_fixed_size 0
		.amdhsa_kernarg_size 88
		.amdhsa_user_sgpr_count 2
		.amdhsa_user_sgpr_dispatch_ptr 0
		.amdhsa_user_sgpr_queue_ptr 0
		.amdhsa_user_sgpr_kernarg_segment_ptr 1
		.amdhsa_user_sgpr_dispatch_id 0
		.amdhsa_user_sgpr_kernarg_preload_length 0
		.amdhsa_user_sgpr_kernarg_preload_offset 0
		.amdhsa_user_sgpr_private_segment_size 0
		.amdhsa_wavefront_size32 1
		.amdhsa_uses_dynamic_stack 0
		.amdhsa_enable_private_segment 0
		.amdhsa_system_sgpr_workgroup_id_x 1
		.amdhsa_system_sgpr_workgroup_id_y 0
		.amdhsa_system_sgpr_workgroup_id_z 0
		.amdhsa_system_sgpr_workgroup_info 0
		.amdhsa_system_vgpr_workitem_id 0
		.amdhsa_next_free_vgpr 1
		.amdhsa_next_free_sgpr 1
		.amdhsa_named_barrier_count 0
		.amdhsa_reserve_vcc 0
		.amdhsa_float_round_mode_32 0
		.amdhsa_float_round_mode_16_64 0
		.amdhsa_float_denorm_mode_32 3
		.amdhsa_float_denorm_mode_16_64 3
		.amdhsa_fp16_overflow 0
		.amdhsa_memory_ordered 1
		.amdhsa_forward_progress 1
		.amdhsa_inst_pref_size 0
		.amdhsa_round_robin_scheduling 0
		.amdhsa_exception_fp_ieee_invalid_op 0
		.amdhsa_exception_fp_denorm_src 0
		.amdhsa_exception_fp_ieee_div_zero 0
		.amdhsa_exception_fp_ieee_overflow 0
		.amdhsa_exception_fp_ieee_underflow 0
		.amdhsa_exception_fp_ieee_inexact 0
		.amdhsa_exception_int_div_zero 0
	.end_amdhsa_kernel
	.section	.text._ZN7rocprim17ROCPRIM_400000_NS6detail17trampoline_kernelINS0_14default_configENS1_36segmented_radix_sort_config_selectorIblEEZNS1_25segmented_radix_sort_implIS3_Lb1EPKbPbPKlPlN2at6native12_GLOBAL__N_18offset_tEEE10hipError_tPvRmT1_PNSt15iterator_traitsISK_E10value_typeET2_T3_PNSL_ISQ_E10value_typeET4_jRbjT5_SW_jjP12ihipStream_tbEUlT_E1_NS1_11comp_targetILNS1_3genE10ELNS1_11target_archE1201ELNS1_3gpuE5ELNS1_3repE0EEENS1_59segmented_radix_sort_warp_sort_small_config_static_selectorELNS0_4arch9wavefront6targetE0EEEvSK_,"axG",@progbits,_ZN7rocprim17ROCPRIM_400000_NS6detail17trampoline_kernelINS0_14default_configENS1_36segmented_radix_sort_config_selectorIblEEZNS1_25segmented_radix_sort_implIS3_Lb1EPKbPbPKlPlN2at6native12_GLOBAL__N_18offset_tEEE10hipError_tPvRmT1_PNSt15iterator_traitsISK_E10value_typeET2_T3_PNSL_ISQ_E10value_typeET4_jRbjT5_SW_jjP12ihipStream_tbEUlT_E1_NS1_11comp_targetILNS1_3genE10ELNS1_11target_archE1201ELNS1_3gpuE5ELNS1_3repE0EEENS1_59segmented_radix_sort_warp_sort_small_config_static_selectorELNS0_4arch9wavefront6targetE0EEEvSK_,comdat
.Lfunc_end1549:
	.size	_ZN7rocprim17ROCPRIM_400000_NS6detail17trampoline_kernelINS0_14default_configENS1_36segmented_radix_sort_config_selectorIblEEZNS1_25segmented_radix_sort_implIS3_Lb1EPKbPbPKlPlN2at6native12_GLOBAL__N_18offset_tEEE10hipError_tPvRmT1_PNSt15iterator_traitsISK_E10value_typeET2_T3_PNSL_ISQ_E10value_typeET4_jRbjT5_SW_jjP12ihipStream_tbEUlT_E1_NS1_11comp_targetILNS1_3genE10ELNS1_11target_archE1201ELNS1_3gpuE5ELNS1_3repE0EEENS1_59segmented_radix_sort_warp_sort_small_config_static_selectorELNS0_4arch9wavefront6targetE0EEEvSK_, .Lfunc_end1549-_ZN7rocprim17ROCPRIM_400000_NS6detail17trampoline_kernelINS0_14default_configENS1_36segmented_radix_sort_config_selectorIblEEZNS1_25segmented_radix_sort_implIS3_Lb1EPKbPbPKlPlN2at6native12_GLOBAL__N_18offset_tEEE10hipError_tPvRmT1_PNSt15iterator_traitsISK_E10value_typeET2_T3_PNSL_ISQ_E10value_typeET4_jRbjT5_SW_jjP12ihipStream_tbEUlT_E1_NS1_11comp_targetILNS1_3genE10ELNS1_11target_archE1201ELNS1_3gpuE5ELNS1_3repE0EEENS1_59segmented_radix_sort_warp_sort_small_config_static_selectorELNS0_4arch9wavefront6targetE0EEEvSK_
                                        ; -- End function
	.set _ZN7rocprim17ROCPRIM_400000_NS6detail17trampoline_kernelINS0_14default_configENS1_36segmented_radix_sort_config_selectorIblEEZNS1_25segmented_radix_sort_implIS3_Lb1EPKbPbPKlPlN2at6native12_GLOBAL__N_18offset_tEEE10hipError_tPvRmT1_PNSt15iterator_traitsISK_E10value_typeET2_T3_PNSL_ISQ_E10value_typeET4_jRbjT5_SW_jjP12ihipStream_tbEUlT_E1_NS1_11comp_targetILNS1_3genE10ELNS1_11target_archE1201ELNS1_3gpuE5ELNS1_3repE0EEENS1_59segmented_radix_sort_warp_sort_small_config_static_selectorELNS0_4arch9wavefront6targetE0EEEvSK_.num_vgpr, 0
	.set _ZN7rocprim17ROCPRIM_400000_NS6detail17trampoline_kernelINS0_14default_configENS1_36segmented_radix_sort_config_selectorIblEEZNS1_25segmented_radix_sort_implIS3_Lb1EPKbPbPKlPlN2at6native12_GLOBAL__N_18offset_tEEE10hipError_tPvRmT1_PNSt15iterator_traitsISK_E10value_typeET2_T3_PNSL_ISQ_E10value_typeET4_jRbjT5_SW_jjP12ihipStream_tbEUlT_E1_NS1_11comp_targetILNS1_3genE10ELNS1_11target_archE1201ELNS1_3gpuE5ELNS1_3repE0EEENS1_59segmented_radix_sort_warp_sort_small_config_static_selectorELNS0_4arch9wavefront6targetE0EEEvSK_.num_agpr, 0
	.set _ZN7rocprim17ROCPRIM_400000_NS6detail17trampoline_kernelINS0_14default_configENS1_36segmented_radix_sort_config_selectorIblEEZNS1_25segmented_radix_sort_implIS3_Lb1EPKbPbPKlPlN2at6native12_GLOBAL__N_18offset_tEEE10hipError_tPvRmT1_PNSt15iterator_traitsISK_E10value_typeET2_T3_PNSL_ISQ_E10value_typeET4_jRbjT5_SW_jjP12ihipStream_tbEUlT_E1_NS1_11comp_targetILNS1_3genE10ELNS1_11target_archE1201ELNS1_3gpuE5ELNS1_3repE0EEENS1_59segmented_radix_sort_warp_sort_small_config_static_selectorELNS0_4arch9wavefront6targetE0EEEvSK_.numbered_sgpr, 0
	.set _ZN7rocprim17ROCPRIM_400000_NS6detail17trampoline_kernelINS0_14default_configENS1_36segmented_radix_sort_config_selectorIblEEZNS1_25segmented_radix_sort_implIS3_Lb1EPKbPbPKlPlN2at6native12_GLOBAL__N_18offset_tEEE10hipError_tPvRmT1_PNSt15iterator_traitsISK_E10value_typeET2_T3_PNSL_ISQ_E10value_typeET4_jRbjT5_SW_jjP12ihipStream_tbEUlT_E1_NS1_11comp_targetILNS1_3genE10ELNS1_11target_archE1201ELNS1_3gpuE5ELNS1_3repE0EEENS1_59segmented_radix_sort_warp_sort_small_config_static_selectorELNS0_4arch9wavefront6targetE0EEEvSK_.num_named_barrier, 0
	.set _ZN7rocprim17ROCPRIM_400000_NS6detail17trampoline_kernelINS0_14default_configENS1_36segmented_radix_sort_config_selectorIblEEZNS1_25segmented_radix_sort_implIS3_Lb1EPKbPbPKlPlN2at6native12_GLOBAL__N_18offset_tEEE10hipError_tPvRmT1_PNSt15iterator_traitsISK_E10value_typeET2_T3_PNSL_ISQ_E10value_typeET4_jRbjT5_SW_jjP12ihipStream_tbEUlT_E1_NS1_11comp_targetILNS1_3genE10ELNS1_11target_archE1201ELNS1_3gpuE5ELNS1_3repE0EEENS1_59segmented_radix_sort_warp_sort_small_config_static_selectorELNS0_4arch9wavefront6targetE0EEEvSK_.private_seg_size, 0
	.set _ZN7rocprim17ROCPRIM_400000_NS6detail17trampoline_kernelINS0_14default_configENS1_36segmented_radix_sort_config_selectorIblEEZNS1_25segmented_radix_sort_implIS3_Lb1EPKbPbPKlPlN2at6native12_GLOBAL__N_18offset_tEEE10hipError_tPvRmT1_PNSt15iterator_traitsISK_E10value_typeET2_T3_PNSL_ISQ_E10value_typeET4_jRbjT5_SW_jjP12ihipStream_tbEUlT_E1_NS1_11comp_targetILNS1_3genE10ELNS1_11target_archE1201ELNS1_3gpuE5ELNS1_3repE0EEENS1_59segmented_radix_sort_warp_sort_small_config_static_selectorELNS0_4arch9wavefront6targetE0EEEvSK_.uses_vcc, 0
	.set _ZN7rocprim17ROCPRIM_400000_NS6detail17trampoline_kernelINS0_14default_configENS1_36segmented_radix_sort_config_selectorIblEEZNS1_25segmented_radix_sort_implIS3_Lb1EPKbPbPKlPlN2at6native12_GLOBAL__N_18offset_tEEE10hipError_tPvRmT1_PNSt15iterator_traitsISK_E10value_typeET2_T3_PNSL_ISQ_E10value_typeET4_jRbjT5_SW_jjP12ihipStream_tbEUlT_E1_NS1_11comp_targetILNS1_3genE10ELNS1_11target_archE1201ELNS1_3gpuE5ELNS1_3repE0EEENS1_59segmented_radix_sort_warp_sort_small_config_static_selectorELNS0_4arch9wavefront6targetE0EEEvSK_.uses_flat_scratch, 0
	.set _ZN7rocprim17ROCPRIM_400000_NS6detail17trampoline_kernelINS0_14default_configENS1_36segmented_radix_sort_config_selectorIblEEZNS1_25segmented_radix_sort_implIS3_Lb1EPKbPbPKlPlN2at6native12_GLOBAL__N_18offset_tEEE10hipError_tPvRmT1_PNSt15iterator_traitsISK_E10value_typeET2_T3_PNSL_ISQ_E10value_typeET4_jRbjT5_SW_jjP12ihipStream_tbEUlT_E1_NS1_11comp_targetILNS1_3genE10ELNS1_11target_archE1201ELNS1_3gpuE5ELNS1_3repE0EEENS1_59segmented_radix_sort_warp_sort_small_config_static_selectorELNS0_4arch9wavefront6targetE0EEEvSK_.has_dyn_sized_stack, 0
	.set _ZN7rocprim17ROCPRIM_400000_NS6detail17trampoline_kernelINS0_14default_configENS1_36segmented_radix_sort_config_selectorIblEEZNS1_25segmented_radix_sort_implIS3_Lb1EPKbPbPKlPlN2at6native12_GLOBAL__N_18offset_tEEE10hipError_tPvRmT1_PNSt15iterator_traitsISK_E10value_typeET2_T3_PNSL_ISQ_E10value_typeET4_jRbjT5_SW_jjP12ihipStream_tbEUlT_E1_NS1_11comp_targetILNS1_3genE10ELNS1_11target_archE1201ELNS1_3gpuE5ELNS1_3repE0EEENS1_59segmented_radix_sort_warp_sort_small_config_static_selectorELNS0_4arch9wavefront6targetE0EEEvSK_.has_recursion, 0
	.set _ZN7rocprim17ROCPRIM_400000_NS6detail17trampoline_kernelINS0_14default_configENS1_36segmented_radix_sort_config_selectorIblEEZNS1_25segmented_radix_sort_implIS3_Lb1EPKbPbPKlPlN2at6native12_GLOBAL__N_18offset_tEEE10hipError_tPvRmT1_PNSt15iterator_traitsISK_E10value_typeET2_T3_PNSL_ISQ_E10value_typeET4_jRbjT5_SW_jjP12ihipStream_tbEUlT_E1_NS1_11comp_targetILNS1_3genE10ELNS1_11target_archE1201ELNS1_3gpuE5ELNS1_3repE0EEENS1_59segmented_radix_sort_warp_sort_small_config_static_selectorELNS0_4arch9wavefront6targetE0EEEvSK_.has_indirect_call, 0
	.section	.AMDGPU.csdata,"",@progbits
; Kernel info:
; codeLenInByte = 0
; TotalNumSgprs: 0
; NumVgprs: 0
; ScratchSize: 0
; MemoryBound: 0
; FloatMode: 240
; IeeeMode: 1
; LDSByteSize: 0 bytes/workgroup (compile time only)
; SGPRBlocks: 0
; VGPRBlocks: 0
; NumSGPRsForWavesPerEU: 1
; NumVGPRsForWavesPerEU: 1
; NamedBarCnt: 0
; Occupancy: 16
; WaveLimiterHint : 0
; COMPUTE_PGM_RSRC2:SCRATCH_EN: 0
; COMPUTE_PGM_RSRC2:USER_SGPR: 2
; COMPUTE_PGM_RSRC2:TRAP_HANDLER: 0
; COMPUTE_PGM_RSRC2:TGID_X_EN: 1
; COMPUTE_PGM_RSRC2:TGID_Y_EN: 0
; COMPUTE_PGM_RSRC2:TGID_Z_EN: 0
; COMPUTE_PGM_RSRC2:TIDIG_COMP_CNT: 0
	.section	.text._ZN7rocprim17ROCPRIM_400000_NS6detail17trampoline_kernelINS0_14default_configENS1_36segmented_radix_sort_config_selectorIblEEZNS1_25segmented_radix_sort_implIS3_Lb1EPKbPbPKlPlN2at6native12_GLOBAL__N_18offset_tEEE10hipError_tPvRmT1_PNSt15iterator_traitsISK_E10value_typeET2_T3_PNSL_ISQ_E10value_typeET4_jRbjT5_SW_jjP12ihipStream_tbEUlT_E1_NS1_11comp_targetILNS1_3genE10ELNS1_11target_archE1200ELNS1_3gpuE4ELNS1_3repE0EEENS1_59segmented_radix_sort_warp_sort_small_config_static_selectorELNS0_4arch9wavefront6targetE0EEEvSK_,"axG",@progbits,_ZN7rocprim17ROCPRIM_400000_NS6detail17trampoline_kernelINS0_14default_configENS1_36segmented_radix_sort_config_selectorIblEEZNS1_25segmented_radix_sort_implIS3_Lb1EPKbPbPKlPlN2at6native12_GLOBAL__N_18offset_tEEE10hipError_tPvRmT1_PNSt15iterator_traitsISK_E10value_typeET2_T3_PNSL_ISQ_E10value_typeET4_jRbjT5_SW_jjP12ihipStream_tbEUlT_E1_NS1_11comp_targetILNS1_3genE10ELNS1_11target_archE1200ELNS1_3gpuE4ELNS1_3repE0EEENS1_59segmented_radix_sort_warp_sort_small_config_static_selectorELNS0_4arch9wavefront6targetE0EEEvSK_,comdat
	.globl	_ZN7rocprim17ROCPRIM_400000_NS6detail17trampoline_kernelINS0_14default_configENS1_36segmented_radix_sort_config_selectorIblEEZNS1_25segmented_radix_sort_implIS3_Lb1EPKbPbPKlPlN2at6native12_GLOBAL__N_18offset_tEEE10hipError_tPvRmT1_PNSt15iterator_traitsISK_E10value_typeET2_T3_PNSL_ISQ_E10value_typeET4_jRbjT5_SW_jjP12ihipStream_tbEUlT_E1_NS1_11comp_targetILNS1_3genE10ELNS1_11target_archE1200ELNS1_3gpuE4ELNS1_3repE0EEENS1_59segmented_radix_sort_warp_sort_small_config_static_selectorELNS0_4arch9wavefront6targetE0EEEvSK_ ; -- Begin function _ZN7rocprim17ROCPRIM_400000_NS6detail17trampoline_kernelINS0_14default_configENS1_36segmented_radix_sort_config_selectorIblEEZNS1_25segmented_radix_sort_implIS3_Lb1EPKbPbPKlPlN2at6native12_GLOBAL__N_18offset_tEEE10hipError_tPvRmT1_PNSt15iterator_traitsISK_E10value_typeET2_T3_PNSL_ISQ_E10value_typeET4_jRbjT5_SW_jjP12ihipStream_tbEUlT_E1_NS1_11comp_targetILNS1_3genE10ELNS1_11target_archE1200ELNS1_3gpuE4ELNS1_3repE0EEENS1_59segmented_radix_sort_warp_sort_small_config_static_selectorELNS0_4arch9wavefront6targetE0EEEvSK_
	.p2align	8
	.type	_ZN7rocprim17ROCPRIM_400000_NS6detail17trampoline_kernelINS0_14default_configENS1_36segmented_radix_sort_config_selectorIblEEZNS1_25segmented_radix_sort_implIS3_Lb1EPKbPbPKlPlN2at6native12_GLOBAL__N_18offset_tEEE10hipError_tPvRmT1_PNSt15iterator_traitsISK_E10value_typeET2_T3_PNSL_ISQ_E10value_typeET4_jRbjT5_SW_jjP12ihipStream_tbEUlT_E1_NS1_11comp_targetILNS1_3genE10ELNS1_11target_archE1200ELNS1_3gpuE4ELNS1_3repE0EEENS1_59segmented_radix_sort_warp_sort_small_config_static_selectorELNS0_4arch9wavefront6targetE0EEEvSK_,@function
_ZN7rocprim17ROCPRIM_400000_NS6detail17trampoline_kernelINS0_14default_configENS1_36segmented_radix_sort_config_selectorIblEEZNS1_25segmented_radix_sort_implIS3_Lb1EPKbPbPKlPlN2at6native12_GLOBAL__N_18offset_tEEE10hipError_tPvRmT1_PNSt15iterator_traitsISK_E10value_typeET2_T3_PNSL_ISQ_E10value_typeET4_jRbjT5_SW_jjP12ihipStream_tbEUlT_E1_NS1_11comp_targetILNS1_3genE10ELNS1_11target_archE1200ELNS1_3gpuE4ELNS1_3repE0EEENS1_59segmented_radix_sort_warp_sort_small_config_static_selectorELNS0_4arch9wavefront6targetE0EEEvSK_: ; @_ZN7rocprim17ROCPRIM_400000_NS6detail17trampoline_kernelINS0_14default_configENS1_36segmented_radix_sort_config_selectorIblEEZNS1_25segmented_radix_sort_implIS3_Lb1EPKbPbPKlPlN2at6native12_GLOBAL__N_18offset_tEEE10hipError_tPvRmT1_PNSt15iterator_traitsISK_E10value_typeET2_T3_PNSL_ISQ_E10value_typeET4_jRbjT5_SW_jjP12ihipStream_tbEUlT_E1_NS1_11comp_targetILNS1_3genE10ELNS1_11target_archE1200ELNS1_3gpuE4ELNS1_3repE0EEENS1_59segmented_radix_sort_warp_sort_small_config_static_selectorELNS0_4arch9wavefront6targetE0EEEvSK_
; %bb.0:
	.section	.rodata,"a",@progbits
	.p2align	6, 0x0
	.amdhsa_kernel _ZN7rocprim17ROCPRIM_400000_NS6detail17trampoline_kernelINS0_14default_configENS1_36segmented_radix_sort_config_selectorIblEEZNS1_25segmented_radix_sort_implIS3_Lb1EPKbPbPKlPlN2at6native12_GLOBAL__N_18offset_tEEE10hipError_tPvRmT1_PNSt15iterator_traitsISK_E10value_typeET2_T3_PNSL_ISQ_E10value_typeET4_jRbjT5_SW_jjP12ihipStream_tbEUlT_E1_NS1_11comp_targetILNS1_3genE10ELNS1_11target_archE1200ELNS1_3gpuE4ELNS1_3repE0EEENS1_59segmented_radix_sort_warp_sort_small_config_static_selectorELNS0_4arch9wavefront6targetE0EEEvSK_
		.amdhsa_group_segment_fixed_size 0
		.amdhsa_private_segment_fixed_size 0
		.amdhsa_kernarg_size 88
		.amdhsa_user_sgpr_count 2
		.amdhsa_user_sgpr_dispatch_ptr 0
		.amdhsa_user_sgpr_queue_ptr 0
		.amdhsa_user_sgpr_kernarg_segment_ptr 1
		.amdhsa_user_sgpr_dispatch_id 0
		.amdhsa_user_sgpr_kernarg_preload_length 0
		.amdhsa_user_sgpr_kernarg_preload_offset 0
		.amdhsa_user_sgpr_private_segment_size 0
		.amdhsa_wavefront_size32 1
		.amdhsa_uses_dynamic_stack 0
		.amdhsa_enable_private_segment 0
		.amdhsa_system_sgpr_workgroup_id_x 1
		.amdhsa_system_sgpr_workgroup_id_y 0
		.amdhsa_system_sgpr_workgroup_id_z 0
		.amdhsa_system_sgpr_workgroup_info 0
		.amdhsa_system_vgpr_workitem_id 0
		.amdhsa_next_free_vgpr 1
		.amdhsa_next_free_sgpr 1
		.amdhsa_named_barrier_count 0
		.amdhsa_reserve_vcc 0
		.amdhsa_float_round_mode_32 0
		.amdhsa_float_round_mode_16_64 0
		.amdhsa_float_denorm_mode_32 3
		.amdhsa_float_denorm_mode_16_64 3
		.amdhsa_fp16_overflow 0
		.amdhsa_memory_ordered 1
		.amdhsa_forward_progress 1
		.amdhsa_inst_pref_size 0
		.amdhsa_round_robin_scheduling 0
		.amdhsa_exception_fp_ieee_invalid_op 0
		.amdhsa_exception_fp_denorm_src 0
		.amdhsa_exception_fp_ieee_div_zero 0
		.amdhsa_exception_fp_ieee_overflow 0
		.amdhsa_exception_fp_ieee_underflow 0
		.amdhsa_exception_fp_ieee_inexact 0
		.amdhsa_exception_int_div_zero 0
	.end_amdhsa_kernel
	.section	.text._ZN7rocprim17ROCPRIM_400000_NS6detail17trampoline_kernelINS0_14default_configENS1_36segmented_radix_sort_config_selectorIblEEZNS1_25segmented_radix_sort_implIS3_Lb1EPKbPbPKlPlN2at6native12_GLOBAL__N_18offset_tEEE10hipError_tPvRmT1_PNSt15iterator_traitsISK_E10value_typeET2_T3_PNSL_ISQ_E10value_typeET4_jRbjT5_SW_jjP12ihipStream_tbEUlT_E1_NS1_11comp_targetILNS1_3genE10ELNS1_11target_archE1200ELNS1_3gpuE4ELNS1_3repE0EEENS1_59segmented_radix_sort_warp_sort_small_config_static_selectorELNS0_4arch9wavefront6targetE0EEEvSK_,"axG",@progbits,_ZN7rocprim17ROCPRIM_400000_NS6detail17trampoline_kernelINS0_14default_configENS1_36segmented_radix_sort_config_selectorIblEEZNS1_25segmented_radix_sort_implIS3_Lb1EPKbPbPKlPlN2at6native12_GLOBAL__N_18offset_tEEE10hipError_tPvRmT1_PNSt15iterator_traitsISK_E10value_typeET2_T3_PNSL_ISQ_E10value_typeET4_jRbjT5_SW_jjP12ihipStream_tbEUlT_E1_NS1_11comp_targetILNS1_3genE10ELNS1_11target_archE1200ELNS1_3gpuE4ELNS1_3repE0EEENS1_59segmented_radix_sort_warp_sort_small_config_static_selectorELNS0_4arch9wavefront6targetE0EEEvSK_,comdat
.Lfunc_end1550:
	.size	_ZN7rocprim17ROCPRIM_400000_NS6detail17trampoline_kernelINS0_14default_configENS1_36segmented_radix_sort_config_selectorIblEEZNS1_25segmented_radix_sort_implIS3_Lb1EPKbPbPKlPlN2at6native12_GLOBAL__N_18offset_tEEE10hipError_tPvRmT1_PNSt15iterator_traitsISK_E10value_typeET2_T3_PNSL_ISQ_E10value_typeET4_jRbjT5_SW_jjP12ihipStream_tbEUlT_E1_NS1_11comp_targetILNS1_3genE10ELNS1_11target_archE1200ELNS1_3gpuE4ELNS1_3repE0EEENS1_59segmented_radix_sort_warp_sort_small_config_static_selectorELNS0_4arch9wavefront6targetE0EEEvSK_, .Lfunc_end1550-_ZN7rocprim17ROCPRIM_400000_NS6detail17trampoline_kernelINS0_14default_configENS1_36segmented_radix_sort_config_selectorIblEEZNS1_25segmented_radix_sort_implIS3_Lb1EPKbPbPKlPlN2at6native12_GLOBAL__N_18offset_tEEE10hipError_tPvRmT1_PNSt15iterator_traitsISK_E10value_typeET2_T3_PNSL_ISQ_E10value_typeET4_jRbjT5_SW_jjP12ihipStream_tbEUlT_E1_NS1_11comp_targetILNS1_3genE10ELNS1_11target_archE1200ELNS1_3gpuE4ELNS1_3repE0EEENS1_59segmented_radix_sort_warp_sort_small_config_static_selectorELNS0_4arch9wavefront6targetE0EEEvSK_
                                        ; -- End function
	.set _ZN7rocprim17ROCPRIM_400000_NS6detail17trampoline_kernelINS0_14default_configENS1_36segmented_radix_sort_config_selectorIblEEZNS1_25segmented_radix_sort_implIS3_Lb1EPKbPbPKlPlN2at6native12_GLOBAL__N_18offset_tEEE10hipError_tPvRmT1_PNSt15iterator_traitsISK_E10value_typeET2_T3_PNSL_ISQ_E10value_typeET4_jRbjT5_SW_jjP12ihipStream_tbEUlT_E1_NS1_11comp_targetILNS1_3genE10ELNS1_11target_archE1200ELNS1_3gpuE4ELNS1_3repE0EEENS1_59segmented_radix_sort_warp_sort_small_config_static_selectorELNS0_4arch9wavefront6targetE0EEEvSK_.num_vgpr, 0
	.set _ZN7rocprim17ROCPRIM_400000_NS6detail17trampoline_kernelINS0_14default_configENS1_36segmented_radix_sort_config_selectorIblEEZNS1_25segmented_radix_sort_implIS3_Lb1EPKbPbPKlPlN2at6native12_GLOBAL__N_18offset_tEEE10hipError_tPvRmT1_PNSt15iterator_traitsISK_E10value_typeET2_T3_PNSL_ISQ_E10value_typeET4_jRbjT5_SW_jjP12ihipStream_tbEUlT_E1_NS1_11comp_targetILNS1_3genE10ELNS1_11target_archE1200ELNS1_3gpuE4ELNS1_3repE0EEENS1_59segmented_radix_sort_warp_sort_small_config_static_selectorELNS0_4arch9wavefront6targetE0EEEvSK_.num_agpr, 0
	.set _ZN7rocprim17ROCPRIM_400000_NS6detail17trampoline_kernelINS0_14default_configENS1_36segmented_radix_sort_config_selectorIblEEZNS1_25segmented_radix_sort_implIS3_Lb1EPKbPbPKlPlN2at6native12_GLOBAL__N_18offset_tEEE10hipError_tPvRmT1_PNSt15iterator_traitsISK_E10value_typeET2_T3_PNSL_ISQ_E10value_typeET4_jRbjT5_SW_jjP12ihipStream_tbEUlT_E1_NS1_11comp_targetILNS1_3genE10ELNS1_11target_archE1200ELNS1_3gpuE4ELNS1_3repE0EEENS1_59segmented_radix_sort_warp_sort_small_config_static_selectorELNS0_4arch9wavefront6targetE0EEEvSK_.numbered_sgpr, 0
	.set _ZN7rocprim17ROCPRIM_400000_NS6detail17trampoline_kernelINS0_14default_configENS1_36segmented_radix_sort_config_selectorIblEEZNS1_25segmented_radix_sort_implIS3_Lb1EPKbPbPKlPlN2at6native12_GLOBAL__N_18offset_tEEE10hipError_tPvRmT1_PNSt15iterator_traitsISK_E10value_typeET2_T3_PNSL_ISQ_E10value_typeET4_jRbjT5_SW_jjP12ihipStream_tbEUlT_E1_NS1_11comp_targetILNS1_3genE10ELNS1_11target_archE1200ELNS1_3gpuE4ELNS1_3repE0EEENS1_59segmented_radix_sort_warp_sort_small_config_static_selectorELNS0_4arch9wavefront6targetE0EEEvSK_.num_named_barrier, 0
	.set _ZN7rocprim17ROCPRIM_400000_NS6detail17trampoline_kernelINS0_14default_configENS1_36segmented_radix_sort_config_selectorIblEEZNS1_25segmented_radix_sort_implIS3_Lb1EPKbPbPKlPlN2at6native12_GLOBAL__N_18offset_tEEE10hipError_tPvRmT1_PNSt15iterator_traitsISK_E10value_typeET2_T3_PNSL_ISQ_E10value_typeET4_jRbjT5_SW_jjP12ihipStream_tbEUlT_E1_NS1_11comp_targetILNS1_3genE10ELNS1_11target_archE1200ELNS1_3gpuE4ELNS1_3repE0EEENS1_59segmented_radix_sort_warp_sort_small_config_static_selectorELNS0_4arch9wavefront6targetE0EEEvSK_.private_seg_size, 0
	.set _ZN7rocprim17ROCPRIM_400000_NS6detail17trampoline_kernelINS0_14default_configENS1_36segmented_radix_sort_config_selectorIblEEZNS1_25segmented_radix_sort_implIS3_Lb1EPKbPbPKlPlN2at6native12_GLOBAL__N_18offset_tEEE10hipError_tPvRmT1_PNSt15iterator_traitsISK_E10value_typeET2_T3_PNSL_ISQ_E10value_typeET4_jRbjT5_SW_jjP12ihipStream_tbEUlT_E1_NS1_11comp_targetILNS1_3genE10ELNS1_11target_archE1200ELNS1_3gpuE4ELNS1_3repE0EEENS1_59segmented_radix_sort_warp_sort_small_config_static_selectorELNS0_4arch9wavefront6targetE0EEEvSK_.uses_vcc, 0
	.set _ZN7rocprim17ROCPRIM_400000_NS6detail17trampoline_kernelINS0_14default_configENS1_36segmented_radix_sort_config_selectorIblEEZNS1_25segmented_radix_sort_implIS3_Lb1EPKbPbPKlPlN2at6native12_GLOBAL__N_18offset_tEEE10hipError_tPvRmT1_PNSt15iterator_traitsISK_E10value_typeET2_T3_PNSL_ISQ_E10value_typeET4_jRbjT5_SW_jjP12ihipStream_tbEUlT_E1_NS1_11comp_targetILNS1_3genE10ELNS1_11target_archE1200ELNS1_3gpuE4ELNS1_3repE0EEENS1_59segmented_radix_sort_warp_sort_small_config_static_selectorELNS0_4arch9wavefront6targetE0EEEvSK_.uses_flat_scratch, 0
	.set _ZN7rocprim17ROCPRIM_400000_NS6detail17trampoline_kernelINS0_14default_configENS1_36segmented_radix_sort_config_selectorIblEEZNS1_25segmented_radix_sort_implIS3_Lb1EPKbPbPKlPlN2at6native12_GLOBAL__N_18offset_tEEE10hipError_tPvRmT1_PNSt15iterator_traitsISK_E10value_typeET2_T3_PNSL_ISQ_E10value_typeET4_jRbjT5_SW_jjP12ihipStream_tbEUlT_E1_NS1_11comp_targetILNS1_3genE10ELNS1_11target_archE1200ELNS1_3gpuE4ELNS1_3repE0EEENS1_59segmented_radix_sort_warp_sort_small_config_static_selectorELNS0_4arch9wavefront6targetE0EEEvSK_.has_dyn_sized_stack, 0
	.set _ZN7rocprim17ROCPRIM_400000_NS6detail17trampoline_kernelINS0_14default_configENS1_36segmented_radix_sort_config_selectorIblEEZNS1_25segmented_radix_sort_implIS3_Lb1EPKbPbPKlPlN2at6native12_GLOBAL__N_18offset_tEEE10hipError_tPvRmT1_PNSt15iterator_traitsISK_E10value_typeET2_T3_PNSL_ISQ_E10value_typeET4_jRbjT5_SW_jjP12ihipStream_tbEUlT_E1_NS1_11comp_targetILNS1_3genE10ELNS1_11target_archE1200ELNS1_3gpuE4ELNS1_3repE0EEENS1_59segmented_radix_sort_warp_sort_small_config_static_selectorELNS0_4arch9wavefront6targetE0EEEvSK_.has_recursion, 0
	.set _ZN7rocprim17ROCPRIM_400000_NS6detail17trampoline_kernelINS0_14default_configENS1_36segmented_radix_sort_config_selectorIblEEZNS1_25segmented_radix_sort_implIS3_Lb1EPKbPbPKlPlN2at6native12_GLOBAL__N_18offset_tEEE10hipError_tPvRmT1_PNSt15iterator_traitsISK_E10value_typeET2_T3_PNSL_ISQ_E10value_typeET4_jRbjT5_SW_jjP12ihipStream_tbEUlT_E1_NS1_11comp_targetILNS1_3genE10ELNS1_11target_archE1200ELNS1_3gpuE4ELNS1_3repE0EEENS1_59segmented_radix_sort_warp_sort_small_config_static_selectorELNS0_4arch9wavefront6targetE0EEEvSK_.has_indirect_call, 0
	.section	.AMDGPU.csdata,"",@progbits
; Kernel info:
; codeLenInByte = 0
; TotalNumSgprs: 0
; NumVgprs: 0
; ScratchSize: 0
; MemoryBound: 0
; FloatMode: 240
; IeeeMode: 1
; LDSByteSize: 0 bytes/workgroup (compile time only)
; SGPRBlocks: 0
; VGPRBlocks: 0
; NumSGPRsForWavesPerEU: 1
; NumVGPRsForWavesPerEU: 1
; NamedBarCnt: 0
; Occupancy: 16
; WaveLimiterHint : 0
; COMPUTE_PGM_RSRC2:SCRATCH_EN: 0
; COMPUTE_PGM_RSRC2:USER_SGPR: 2
; COMPUTE_PGM_RSRC2:TRAP_HANDLER: 0
; COMPUTE_PGM_RSRC2:TGID_X_EN: 1
; COMPUTE_PGM_RSRC2:TGID_Y_EN: 0
; COMPUTE_PGM_RSRC2:TGID_Z_EN: 0
; COMPUTE_PGM_RSRC2:TIDIG_COMP_CNT: 0
	.section	.text._ZN7rocprim17ROCPRIM_400000_NS6detail17trampoline_kernelINS0_14default_configENS1_36segmented_radix_sort_config_selectorIblEEZNS1_25segmented_radix_sort_implIS3_Lb1EPKbPbPKlPlN2at6native12_GLOBAL__N_18offset_tEEE10hipError_tPvRmT1_PNSt15iterator_traitsISK_E10value_typeET2_T3_PNSL_ISQ_E10value_typeET4_jRbjT5_SW_jjP12ihipStream_tbEUlT_E1_NS1_11comp_targetILNS1_3genE9ELNS1_11target_archE1100ELNS1_3gpuE3ELNS1_3repE0EEENS1_59segmented_radix_sort_warp_sort_small_config_static_selectorELNS0_4arch9wavefront6targetE0EEEvSK_,"axG",@progbits,_ZN7rocprim17ROCPRIM_400000_NS6detail17trampoline_kernelINS0_14default_configENS1_36segmented_radix_sort_config_selectorIblEEZNS1_25segmented_radix_sort_implIS3_Lb1EPKbPbPKlPlN2at6native12_GLOBAL__N_18offset_tEEE10hipError_tPvRmT1_PNSt15iterator_traitsISK_E10value_typeET2_T3_PNSL_ISQ_E10value_typeET4_jRbjT5_SW_jjP12ihipStream_tbEUlT_E1_NS1_11comp_targetILNS1_3genE9ELNS1_11target_archE1100ELNS1_3gpuE3ELNS1_3repE0EEENS1_59segmented_radix_sort_warp_sort_small_config_static_selectorELNS0_4arch9wavefront6targetE0EEEvSK_,comdat
	.globl	_ZN7rocprim17ROCPRIM_400000_NS6detail17trampoline_kernelINS0_14default_configENS1_36segmented_radix_sort_config_selectorIblEEZNS1_25segmented_radix_sort_implIS3_Lb1EPKbPbPKlPlN2at6native12_GLOBAL__N_18offset_tEEE10hipError_tPvRmT1_PNSt15iterator_traitsISK_E10value_typeET2_T3_PNSL_ISQ_E10value_typeET4_jRbjT5_SW_jjP12ihipStream_tbEUlT_E1_NS1_11comp_targetILNS1_3genE9ELNS1_11target_archE1100ELNS1_3gpuE3ELNS1_3repE0EEENS1_59segmented_radix_sort_warp_sort_small_config_static_selectorELNS0_4arch9wavefront6targetE0EEEvSK_ ; -- Begin function _ZN7rocprim17ROCPRIM_400000_NS6detail17trampoline_kernelINS0_14default_configENS1_36segmented_radix_sort_config_selectorIblEEZNS1_25segmented_radix_sort_implIS3_Lb1EPKbPbPKlPlN2at6native12_GLOBAL__N_18offset_tEEE10hipError_tPvRmT1_PNSt15iterator_traitsISK_E10value_typeET2_T3_PNSL_ISQ_E10value_typeET4_jRbjT5_SW_jjP12ihipStream_tbEUlT_E1_NS1_11comp_targetILNS1_3genE9ELNS1_11target_archE1100ELNS1_3gpuE3ELNS1_3repE0EEENS1_59segmented_radix_sort_warp_sort_small_config_static_selectorELNS0_4arch9wavefront6targetE0EEEvSK_
	.p2align	8
	.type	_ZN7rocprim17ROCPRIM_400000_NS6detail17trampoline_kernelINS0_14default_configENS1_36segmented_radix_sort_config_selectorIblEEZNS1_25segmented_radix_sort_implIS3_Lb1EPKbPbPKlPlN2at6native12_GLOBAL__N_18offset_tEEE10hipError_tPvRmT1_PNSt15iterator_traitsISK_E10value_typeET2_T3_PNSL_ISQ_E10value_typeET4_jRbjT5_SW_jjP12ihipStream_tbEUlT_E1_NS1_11comp_targetILNS1_3genE9ELNS1_11target_archE1100ELNS1_3gpuE3ELNS1_3repE0EEENS1_59segmented_radix_sort_warp_sort_small_config_static_selectorELNS0_4arch9wavefront6targetE0EEEvSK_,@function
_ZN7rocprim17ROCPRIM_400000_NS6detail17trampoline_kernelINS0_14default_configENS1_36segmented_radix_sort_config_selectorIblEEZNS1_25segmented_radix_sort_implIS3_Lb1EPKbPbPKlPlN2at6native12_GLOBAL__N_18offset_tEEE10hipError_tPvRmT1_PNSt15iterator_traitsISK_E10value_typeET2_T3_PNSL_ISQ_E10value_typeET4_jRbjT5_SW_jjP12ihipStream_tbEUlT_E1_NS1_11comp_targetILNS1_3genE9ELNS1_11target_archE1100ELNS1_3gpuE3ELNS1_3repE0EEENS1_59segmented_radix_sort_warp_sort_small_config_static_selectorELNS0_4arch9wavefront6targetE0EEEvSK_: ; @_ZN7rocprim17ROCPRIM_400000_NS6detail17trampoline_kernelINS0_14default_configENS1_36segmented_radix_sort_config_selectorIblEEZNS1_25segmented_radix_sort_implIS3_Lb1EPKbPbPKlPlN2at6native12_GLOBAL__N_18offset_tEEE10hipError_tPvRmT1_PNSt15iterator_traitsISK_E10value_typeET2_T3_PNSL_ISQ_E10value_typeET4_jRbjT5_SW_jjP12ihipStream_tbEUlT_E1_NS1_11comp_targetILNS1_3genE9ELNS1_11target_archE1100ELNS1_3gpuE3ELNS1_3repE0EEENS1_59segmented_radix_sort_warp_sort_small_config_static_selectorELNS0_4arch9wavefront6targetE0EEEvSK_
; %bb.0:
	.section	.rodata,"a",@progbits
	.p2align	6, 0x0
	.amdhsa_kernel _ZN7rocprim17ROCPRIM_400000_NS6detail17trampoline_kernelINS0_14default_configENS1_36segmented_radix_sort_config_selectorIblEEZNS1_25segmented_radix_sort_implIS3_Lb1EPKbPbPKlPlN2at6native12_GLOBAL__N_18offset_tEEE10hipError_tPvRmT1_PNSt15iterator_traitsISK_E10value_typeET2_T3_PNSL_ISQ_E10value_typeET4_jRbjT5_SW_jjP12ihipStream_tbEUlT_E1_NS1_11comp_targetILNS1_3genE9ELNS1_11target_archE1100ELNS1_3gpuE3ELNS1_3repE0EEENS1_59segmented_radix_sort_warp_sort_small_config_static_selectorELNS0_4arch9wavefront6targetE0EEEvSK_
		.amdhsa_group_segment_fixed_size 0
		.amdhsa_private_segment_fixed_size 0
		.amdhsa_kernarg_size 88
		.amdhsa_user_sgpr_count 2
		.amdhsa_user_sgpr_dispatch_ptr 0
		.amdhsa_user_sgpr_queue_ptr 0
		.amdhsa_user_sgpr_kernarg_segment_ptr 1
		.amdhsa_user_sgpr_dispatch_id 0
		.amdhsa_user_sgpr_kernarg_preload_length 0
		.amdhsa_user_sgpr_kernarg_preload_offset 0
		.amdhsa_user_sgpr_private_segment_size 0
		.amdhsa_wavefront_size32 1
		.amdhsa_uses_dynamic_stack 0
		.amdhsa_enable_private_segment 0
		.amdhsa_system_sgpr_workgroup_id_x 1
		.amdhsa_system_sgpr_workgroup_id_y 0
		.amdhsa_system_sgpr_workgroup_id_z 0
		.amdhsa_system_sgpr_workgroup_info 0
		.amdhsa_system_vgpr_workitem_id 0
		.amdhsa_next_free_vgpr 1
		.amdhsa_next_free_sgpr 1
		.amdhsa_named_barrier_count 0
		.amdhsa_reserve_vcc 0
		.amdhsa_float_round_mode_32 0
		.amdhsa_float_round_mode_16_64 0
		.amdhsa_float_denorm_mode_32 3
		.amdhsa_float_denorm_mode_16_64 3
		.amdhsa_fp16_overflow 0
		.amdhsa_memory_ordered 1
		.amdhsa_forward_progress 1
		.amdhsa_inst_pref_size 0
		.amdhsa_round_robin_scheduling 0
		.amdhsa_exception_fp_ieee_invalid_op 0
		.amdhsa_exception_fp_denorm_src 0
		.amdhsa_exception_fp_ieee_div_zero 0
		.amdhsa_exception_fp_ieee_overflow 0
		.amdhsa_exception_fp_ieee_underflow 0
		.amdhsa_exception_fp_ieee_inexact 0
		.amdhsa_exception_int_div_zero 0
	.end_amdhsa_kernel
	.section	.text._ZN7rocprim17ROCPRIM_400000_NS6detail17trampoline_kernelINS0_14default_configENS1_36segmented_radix_sort_config_selectorIblEEZNS1_25segmented_radix_sort_implIS3_Lb1EPKbPbPKlPlN2at6native12_GLOBAL__N_18offset_tEEE10hipError_tPvRmT1_PNSt15iterator_traitsISK_E10value_typeET2_T3_PNSL_ISQ_E10value_typeET4_jRbjT5_SW_jjP12ihipStream_tbEUlT_E1_NS1_11comp_targetILNS1_3genE9ELNS1_11target_archE1100ELNS1_3gpuE3ELNS1_3repE0EEENS1_59segmented_radix_sort_warp_sort_small_config_static_selectorELNS0_4arch9wavefront6targetE0EEEvSK_,"axG",@progbits,_ZN7rocprim17ROCPRIM_400000_NS6detail17trampoline_kernelINS0_14default_configENS1_36segmented_radix_sort_config_selectorIblEEZNS1_25segmented_radix_sort_implIS3_Lb1EPKbPbPKlPlN2at6native12_GLOBAL__N_18offset_tEEE10hipError_tPvRmT1_PNSt15iterator_traitsISK_E10value_typeET2_T3_PNSL_ISQ_E10value_typeET4_jRbjT5_SW_jjP12ihipStream_tbEUlT_E1_NS1_11comp_targetILNS1_3genE9ELNS1_11target_archE1100ELNS1_3gpuE3ELNS1_3repE0EEENS1_59segmented_radix_sort_warp_sort_small_config_static_selectorELNS0_4arch9wavefront6targetE0EEEvSK_,comdat
.Lfunc_end1551:
	.size	_ZN7rocprim17ROCPRIM_400000_NS6detail17trampoline_kernelINS0_14default_configENS1_36segmented_radix_sort_config_selectorIblEEZNS1_25segmented_radix_sort_implIS3_Lb1EPKbPbPKlPlN2at6native12_GLOBAL__N_18offset_tEEE10hipError_tPvRmT1_PNSt15iterator_traitsISK_E10value_typeET2_T3_PNSL_ISQ_E10value_typeET4_jRbjT5_SW_jjP12ihipStream_tbEUlT_E1_NS1_11comp_targetILNS1_3genE9ELNS1_11target_archE1100ELNS1_3gpuE3ELNS1_3repE0EEENS1_59segmented_radix_sort_warp_sort_small_config_static_selectorELNS0_4arch9wavefront6targetE0EEEvSK_, .Lfunc_end1551-_ZN7rocprim17ROCPRIM_400000_NS6detail17trampoline_kernelINS0_14default_configENS1_36segmented_radix_sort_config_selectorIblEEZNS1_25segmented_radix_sort_implIS3_Lb1EPKbPbPKlPlN2at6native12_GLOBAL__N_18offset_tEEE10hipError_tPvRmT1_PNSt15iterator_traitsISK_E10value_typeET2_T3_PNSL_ISQ_E10value_typeET4_jRbjT5_SW_jjP12ihipStream_tbEUlT_E1_NS1_11comp_targetILNS1_3genE9ELNS1_11target_archE1100ELNS1_3gpuE3ELNS1_3repE0EEENS1_59segmented_radix_sort_warp_sort_small_config_static_selectorELNS0_4arch9wavefront6targetE0EEEvSK_
                                        ; -- End function
	.set _ZN7rocprim17ROCPRIM_400000_NS6detail17trampoline_kernelINS0_14default_configENS1_36segmented_radix_sort_config_selectorIblEEZNS1_25segmented_radix_sort_implIS3_Lb1EPKbPbPKlPlN2at6native12_GLOBAL__N_18offset_tEEE10hipError_tPvRmT1_PNSt15iterator_traitsISK_E10value_typeET2_T3_PNSL_ISQ_E10value_typeET4_jRbjT5_SW_jjP12ihipStream_tbEUlT_E1_NS1_11comp_targetILNS1_3genE9ELNS1_11target_archE1100ELNS1_3gpuE3ELNS1_3repE0EEENS1_59segmented_radix_sort_warp_sort_small_config_static_selectorELNS0_4arch9wavefront6targetE0EEEvSK_.num_vgpr, 0
	.set _ZN7rocprim17ROCPRIM_400000_NS6detail17trampoline_kernelINS0_14default_configENS1_36segmented_radix_sort_config_selectorIblEEZNS1_25segmented_radix_sort_implIS3_Lb1EPKbPbPKlPlN2at6native12_GLOBAL__N_18offset_tEEE10hipError_tPvRmT1_PNSt15iterator_traitsISK_E10value_typeET2_T3_PNSL_ISQ_E10value_typeET4_jRbjT5_SW_jjP12ihipStream_tbEUlT_E1_NS1_11comp_targetILNS1_3genE9ELNS1_11target_archE1100ELNS1_3gpuE3ELNS1_3repE0EEENS1_59segmented_radix_sort_warp_sort_small_config_static_selectorELNS0_4arch9wavefront6targetE0EEEvSK_.num_agpr, 0
	.set _ZN7rocprim17ROCPRIM_400000_NS6detail17trampoline_kernelINS0_14default_configENS1_36segmented_radix_sort_config_selectorIblEEZNS1_25segmented_radix_sort_implIS3_Lb1EPKbPbPKlPlN2at6native12_GLOBAL__N_18offset_tEEE10hipError_tPvRmT1_PNSt15iterator_traitsISK_E10value_typeET2_T3_PNSL_ISQ_E10value_typeET4_jRbjT5_SW_jjP12ihipStream_tbEUlT_E1_NS1_11comp_targetILNS1_3genE9ELNS1_11target_archE1100ELNS1_3gpuE3ELNS1_3repE0EEENS1_59segmented_radix_sort_warp_sort_small_config_static_selectorELNS0_4arch9wavefront6targetE0EEEvSK_.numbered_sgpr, 0
	.set _ZN7rocprim17ROCPRIM_400000_NS6detail17trampoline_kernelINS0_14default_configENS1_36segmented_radix_sort_config_selectorIblEEZNS1_25segmented_radix_sort_implIS3_Lb1EPKbPbPKlPlN2at6native12_GLOBAL__N_18offset_tEEE10hipError_tPvRmT1_PNSt15iterator_traitsISK_E10value_typeET2_T3_PNSL_ISQ_E10value_typeET4_jRbjT5_SW_jjP12ihipStream_tbEUlT_E1_NS1_11comp_targetILNS1_3genE9ELNS1_11target_archE1100ELNS1_3gpuE3ELNS1_3repE0EEENS1_59segmented_radix_sort_warp_sort_small_config_static_selectorELNS0_4arch9wavefront6targetE0EEEvSK_.num_named_barrier, 0
	.set _ZN7rocprim17ROCPRIM_400000_NS6detail17trampoline_kernelINS0_14default_configENS1_36segmented_radix_sort_config_selectorIblEEZNS1_25segmented_radix_sort_implIS3_Lb1EPKbPbPKlPlN2at6native12_GLOBAL__N_18offset_tEEE10hipError_tPvRmT1_PNSt15iterator_traitsISK_E10value_typeET2_T3_PNSL_ISQ_E10value_typeET4_jRbjT5_SW_jjP12ihipStream_tbEUlT_E1_NS1_11comp_targetILNS1_3genE9ELNS1_11target_archE1100ELNS1_3gpuE3ELNS1_3repE0EEENS1_59segmented_radix_sort_warp_sort_small_config_static_selectorELNS0_4arch9wavefront6targetE0EEEvSK_.private_seg_size, 0
	.set _ZN7rocprim17ROCPRIM_400000_NS6detail17trampoline_kernelINS0_14default_configENS1_36segmented_radix_sort_config_selectorIblEEZNS1_25segmented_radix_sort_implIS3_Lb1EPKbPbPKlPlN2at6native12_GLOBAL__N_18offset_tEEE10hipError_tPvRmT1_PNSt15iterator_traitsISK_E10value_typeET2_T3_PNSL_ISQ_E10value_typeET4_jRbjT5_SW_jjP12ihipStream_tbEUlT_E1_NS1_11comp_targetILNS1_3genE9ELNS1_11target_archE1100ELNS1_3gpuE3ELNS1_3repE0EEENS1_59segmented_radix_sort_warp_sort_small_config_static_selectorELNS0_4arch9wavefront6targetE0EEEvSK_.uses_vcc, 0
	.set _ZN7rocprim17ROCPRIM_400000_NS6detail17trampoline_kernelINS0_14default_configENS1_36segmented_radix_sort_config_selectorIblEEZNS1_25segmented_radix_sort_implIS3_Lb1EPKbPbPKlPlN2at6native12_GLOBAL__N_18offset_tEEE10hipError_tPvRmT1_PNSt15iterator_traitsISK_E10value_typeET2_T3_PNSL_ISQ_E10value_typeET4_jRbjT5_SW_jjP12ihipStream_tbEUlT_E1_NS1_11comp_targetILNS1_3genE9ELNS1_11target_archE1100ELNS1_3gpuE3ELNS1_3repE0EEENS1_59segmented_radix_sort_warp_sort_small_config_static_selectorELNS0_4arch9wavefront6targetE0EEEvSK_.uses_flat_scratch, 0
	.set _ZN7rocprim17ROCPRIM_400000_NS6detail17trampoline_kernelINS0_14default_configENS1_36segmented_radix_sort_config_selectorIblEEZNS1_25segmented_radix_sort_implIS3_Lb1EPKbPbPKlPlN2at6native12_GLOBAL__N_18offset_tEEE10hipError_tPvRmT1_PNSt15iterator_traitsISK_E10value_typeET2_T3_PNSL_ISQ_E10value_typeET4_jRbjT5_SW_jjP12ihipStream_tbEUlT_E1_NS1_11comp_targetILNS1_3genE9ELNS1_11target_archE1100ELNS1_3gpuE3ELNS1_3repE0EEENS1_59segmented_radix_sort_warp_sort_small_config_static_selectorELNS0_4arch9wavefront6targetE0EEEvSK_.has_dyn_sized_stack, 0
	.set _ZN7rocprim17ROCPRIM_400000_NS6detail17trampoline_kernelINS0_14default_configENS1_36segmented_radix_sort_config_selectorIblEEZNS1_25segmented_radix_sort_implIS3_Lb1EPKbPbPKlPlN2at6native12_GLOBAL__N_18offset_tEEE10hipError_tPvRmT1_PNSt15iterator_traitsISK_E10value_typeET2_T3_PNSL_ISQ_E10value_typeET4_jRbjT5_SW_jjP12ihipStream_tbEUlT_E1_NS1_11comp_targetILNS1_3genE9ELNS1_11target_archE1100ELNS1_3gpuE3ELNS1_3repE0EEENS1_59segmented_radix_sort_warp_sort_small_config_static_selectorELNS0_4arch9wavefront6targetE0EEEvSK_.has_recursion, 0
	.set _ZN7rocprim17ROCPRIM_400000_NS6detail17trampoline_kernelINS0_14default_configENS1_36segmented_radix_sort_config_selectorIblEEZNS1_25segmented_radix_sort_implIS3_Lb1EPKbPbPKlPlN2at6native12_GLOBAL__N_18offset_tEEE10hipError_tPvRmT1_PNSt15iterator_traitsISK_E10value_typeET2_T3_PNSL_ISQ_E10value_typeET4_jRbjT5_SW_jjP12ihipStream_tbEUlT_E1_NS1_11comp_targetILNS1_3genE9ELNS1_11target_archE1100ELNS1_3gpuE3ELNS1_3repE0EEENS1_59segmented_radix_sort_warp_sort_small_config_static_selectorELNS0_4arch9wavefront6targetE0EEEvSK_.has_indirect_call, 0
	.section	.AMDGPU.csdata,"",@progbits
; Kernel info:
; codeLenInByte = 0
; TotalNumSgprs: 0
; NumVgprs: 0
; ScratchSize: 0
; MemoryBound: 0
; FloatMode: 240
; IeeeMode: 1
; LDSByteSize: 0 bytes/workgroup (compile time only)
; SGPRBlocks: 0
; VGPRBlocks: 0
; NumSGPRsForWavesPerEU: 1
; NumVGPRsForWavesPerEU: 1
; NamedBarCnt: 0
; Occupancy: 16
; WaveLimiterHint : 0
; COMPUTE_PGM_RSRC2:SCRATCH_EN: 0
; COMPUTE_PGM_RSRC2:USER_SGPR: 2
; COMPUTE_PGM_RSRC2:TRAP_HANDLER: 0
; COMPUTE_PGM_RSRC2:TGID_X_EN: 1
; COMPUTE_PGM_RSRC2:TGID_Y_EN: 0
; COMPUTE_PGM_RSRC2:TGID_Z_EN: 0
; COMPUTE_PGM_RSRC2:TIDIG_COMP_CNT: 0
	.section	.text._ZN7rocprim17ROCPRIM_400000_NS6detail17trampoline_kernelINS0_14default_configENS1_36segmented_radix_sort_config_selectorIblEEZNS1_25segmented_radix_sort_implIS3_Lb1EPKbPbPKlPlN2at6native12_GLOBAL__N_18offset_tEEE10hipError_tPvRmT1_PNSt15iterator_traitsISK_E10value_typeET2_T3_PNSL_ISQ_E10value_typeET4_jRbjT5_SW_jjP12ihipStream_tbEUlT_E1_NS1_11comp_targetILNS1_3genE8ELNS1_11target_archE1030ELNS1_3gpuE2ELNS1_3repE0EEENS1_59segmented_radix_sort_warp_sort_small_config_static_selectorELNS0_4arch9wavefront6targetE0EEEvSK_,"axG",@progbits,_ZN7rocprim17ROCPRIM_400000_NS6detail17trampoline_kernelINS0_14default_configENS1_36segmented_radix_sort_config_selectorIblEEZNS1_25segmented_radix_sort_implIS3_Lb1EPKbPbPKlPlN2at6native12_GLOBAL__N_18offset_tEEE10hipError_tPvRmT1_PNSt15iterator_traitsISK_E10value_typeET2_T3_PNSL_ISQ_E10value_typeET4_jRbjT5_SW_jjP12ihipStream_tbEUlT_E1_NS1_11comp_targetILNS1_3genE8ELNS1_11target_archE1030ELNS1_3gpuE2ELNS1_3repE0EEENS1_59segmented_radix_sort_warp_sort_small_config_static_selectorELNS0_4arch9wavefront6targetE0EEEvSK_,comdat
	.globl	_ZN7rocprim17ROCPRIM_400000_NS6detail17trampoline_kernelINS0_14default_configENS1_36segmented_radix_sort_config_selectorIblEEZNS1_25segmented_radix_sort_implIS3_Lb1EPKbPbPKlPlN2at6native12_GLOBAL__N_18offset_tEEE10hipError_tPvRmT1_PNSt15iterator_traitsISK_E10value_typeET2_T3_PNSL_ISQ_E10value_typeET4_jRbjT5_SW_jjP12ihipStream_tbEUlT_E1_NS1_11comp_targetILNS1_3genE8ELNS1_11target_archE1030ELNS1_3gpuE2ELNS1_3repE0EEENS1_59segmented_radix_sort_warp_sort_small_config_static_selectorELNS0_4arch9wavefront6targetE0EEEvSK_ ; -- Begin function _ZN7rocprim17ROCPRIM_400000_NS6detail17trampoline_kernelINS0_14default_configENS1_36segmented_radix_sort_config_selectorIblEEZNS1_25segmented_radix_sort_implIS3_Lb1EPKbPbPKlPlN2at6native12_GLOBAL__N_18offset_tEEE10hipError_tPvRmT1_PNSt15iterator_traitsISK_E10value_typeET2_T3_PNSL_ISQ_E10value_typeET4_jRbjT5_SW_jjP12ihipStream_tbEUlT_E1_NS1_11comp_targetILNS1_3genE8ELNS1_11target_archE1030ELNS1_3gpuE2ELNS1_3repE0EEENS1_59segmented_radix_sort_warp_sort_small_config_static_selectorELNS0_4arch9wavefront6targetE0EEEvSK_
	.p2align	8
	.type	_ZN7rocprim17ROCPRIM_400000_NS6detail17trampoline_kernelINS0_14default_configENS1_36segmented_radix_sort_config_selectorIblEEZNS1_25segmented_radix_sort_implIS3_Lb1EPKbPbPKlPlN2at6native12_GLOBAL__N_18offset_tEEE10hipError_tPvRmT1_PNSt15iterator_traitsISK_E10value_typeET2_T3_PNSL_ISQ_E10value_typeET4_jRbjT5_SW_jjP12ihipStream_tbEUlT_E1_NS1_11comp_targetILNS1_3genE8ELNS1_11target_archE1030ELNS1_3gpuE2ELNS1_3repE0EEENS1_59segmented_radix_sort_warp_sort_small_config_static_selectorELNS0_4arch9wavefront6targetE0EEEvSK_,@function
_ZN7rocprim17ROCPRIM_400000_NS6detail17trampoline_kernelINS0_14default_configENS1_36segmented_radix_sort_config_selectorIblEEZNS1_25segmented_radix_sort_implIS3_Lb1EPKbPbPKlPlN2at6native12_GLOBAL__N_18offset_tEEE10hipError_tPvRmT1_PNSt15iterator_traitsISK_E10value_typeET2_T3_PNSL_ISQ_E10value_typeET4_jRbjT5_SW_jjP12ihipStream_tbEUlT_E1_NS1_11comp_targetILNS1_3genE8ELNS1_11target_archE1030ELNS1_3gpuE2ELNS1_3repE0EEENS1_59segmented_radix_sort_warp_sort_small_config_static_selectorELNS0_4arch9wavefront6targetE0EEEvSK_: ; @_ZN7rocprim17ROCPRIM_400000_NS6detail17trampoline_kernelINS0_14default_configENS1_36segmented_radix_sort_config_selectorIblEEZNS1_25segmented_radix_sort_implIS3_Lb1EPKbPbPKlPlN2at6native12_GLOBAL__N_18offset_tEEE10hipError_tPvRmT1_PNSt15iterator_traitsISK_E10value_typeET2_T3_PNSL_ISQ_E10value_typeET4_jRbjT5_SW_jjP12ihipStream_tbEUlT_E1_NS1_11comp_targetILNS1_3genE8ELNS1_11target_archE1030ELNS1_3gpuE2ELNS1_3repE0EEENS1_59segmented_radix_sort_warp_sort_small_config_static_selectorELNS0_4arch9wavefront6targetE0EEEvSK_
; %bb.0:
	.section	.rodata,"a",@progbits
	.p2align	6, 0x0
	.amdhsa_kernel _ZN7rocprim17ROCPRIM_400000_NS6detail17trampoline_kernelINS0_14default_configENS1_36segmented_radix_sort_config_selectorIblEEZNS1_25segmented_radix_sort_implIS3_Lb1EPKbPbPKlPlN2at6native12_GLOBAL__N_18offset_tEEE10hipError_tPvRmT1_PNSt15iterator_traitsISK_E10value_typeET2_T3_PNSL_ISQ_E10value_typeET4_jRbjT5_SW_jjP12ihipStream_tbEUlT_E1_NS1_11comp_targetILNS1_3genE8ELNS1_11target_archE1030ELNS1_3gpuE2ELNS1_3repE0EEENS1_59segmented_radix_sort_warp_sort_small_config_static_selectorELNS0_4arch9wavefront6targetE0EEEvSK_
		.amdhsa_group_segment_fixed_size 0
		.amdhsa_private_segment_fixed_size 0
		.amdhsa_kernarg_size 88
		.amdhsa_user_sgpr_count 2
		.amdhsa_user_sgpr_dispatch_ptr 0
		.amdhsa_user_sgpr_queue_ptr 0
		.amdhsa_user_sgpr_kernarg_segment_ptr 1
		.amdhsa_user_sgpr_dispatch_id 0
		.amdhsa_user_sgpr_kernarg_preload_length 0
		.amdhsa_user_sgpr_kernarg_preload_offset 0
		.amdhsa_user_sgpr_private_segment_size 0
		.amdhsa_wavefront_size32 1
		.amdhsa_uses_dynamic_stack 0
		.amdhsa_enable_private_segment 0
		.amdhsa_system_sgpr_workgroup_id_x 1
		.amdhsa_system_sgpr_workgroup_id_y 0
		.amdhsa_system_sgpr_workgroup_id_z 0
		.amdhsa_system_sgpr_workgroup_info 0
		.amdhsa_system_vgpr_workitem_id 0
		.amdhsa_next_free_vgpr 1
		.amdhsa_next_free_sgpr 1
		.amdhsa_named_barrier_count 0
		.amdhsa_reserve_vcc 0
		.amdhsa_float_round_mode_32 0
		.amdhsa_float_round_mode_16_64 0
		.amdhsa_float_denorm_mode_32 3
		.amdhsa_float_denorm_mode_16_64 3
		.amdhsa_fp16_overflow 0
		.amdhsa_memory_ordered 1
		.amdhsa_forward_progress 1
		.amdhsa_inst_pref_size 0
		.amdhsa_round_robin_scheduling 0
		.amdhsa_exception_fp_ieee_invalid_op 0
		.amdhsa_exception_fp_denorm_src 0
		.amdhsa_exception_fp_ieee_div_zero 0
		.amdhsa_exception_fp_ieee_overflow 0
		.amdhsa_exception_fp_ieee_underflow 0
		.amdhsa_exception_fp_ieee_inexact 0
		.amdhsa_exception_int_div_zero 0
	.end_amdhsa_kernel
	.section	.text._ZN7rocprim17ROCPRIM_400000_NS6detail17trampoline_kernelINS0_14default_configENS1_36segmented_radix_sort_config_selectorIblEEZNS1_25segmented_radix_sort_implIS3_Lb1EPKbPbPKlPlN2at6native12_GLOBAL__N_18offset_tEEE10hipError_tPvRmT1_PNSt15iterator_traitsISK_E10value_typeET2_T3_PNSL_ISQ_E10value_typeET4_jRbjT5_SW_jjP12ihipStream_tbEUlT_E1_NS1_11comp_targetILNS1_3genE8ELNS1_11target_archE1030ELNS1_3gpuE2ELNS1_3repE0EEENS1_59segmented_radix_sort_warp_sort_small_config_static_selectorELNS0_4arch9wavefront6targetE0EEEvSK_,"axG",@progbits,_ZN7rocprim17ROCPRIM_400000_NS6detail17trampoline_kernelINS0_14default_configENS1_36segmented_radix_sort_config_selectorIblEEZNS1_25segmented_radix_sort_implIS3_Lb1EPKbPbPKlPlN2at6native12_GLOBAL__N_18offset_tEEE10hipError_tPvRmT1_PNSt15iterator_traitsISK_E10value_typeET2_T3_PNSL_ISQ_E10value_typeET4_jRbjT5_SW_jjP12ihipStream_tbEUlT_E1_NS1_11comp_targetILNS1_3genE8ELNS1_11target_archE1030ELNS1_3gpuE2ELNS1_3repE0EEENS1_59segmented_radix_sort_warp_sort_small_config_static_selectorELNS0_4arch9wavefront6targetE0EEEvSK_,comdat
.Lfunc_end1552:
	.size	_ZN7rocprim17ROCPRIM_400000_NS6detail17trampoline_kernelINS0_14default_configENS1_36segmented_radix_sort_config_selectorIblEEZNS1_25segmented_radix_sort_implIS3_Lb1EPKbPbPKlPlN2at6native12_GLOBAL__N_18offset_tEEE10hipError_tPvRmT1_PNSt15iterator_traitsISK_E10value_typeET2_T3_PNSL_ISQ_E10value_typeET4_jRbjT5_SW_jjP12ihipStream_tbEUlT_E1_NS1_11comp_targetILNS1_3genE8ELNS1_11target_archE1030ELNS1_3gpuE2ELNS1_3repE0EEENS1_59segmented_radix_sort_warp_sort_small_config_static_selectorELNS0_4arch9wavefront6targetE0EEEvSK_, .Lfunc_end1552-_ZN7rocprim17ROCPRIM_400000_NS6detail17trampoline_kernelINS0_14default_configENS1_36segmented_radix_sort_config_selectorIblEEZNS1_25segmented_radix_sort_implIS3_Lb1EPKbPbPKlPlN2at6native12_GLOBAL__N_18offset_tEEE10hipError_tPvRmT1_PNSt15iterator_traitsISK_E10value_typeET2_T3_PNSL_ISQ_E10value_typeET4_jRbjT5_SW_jjP12ihipStream_tbEUlT_E1_NS1_11comp_targetILNS1_3genE8ELNS1_11target_archE1030ELNS1_3gpuE2ELNS1_3repE0EEENS1_59segmented_radix_sort_warp_sort_small_config_static_selectorELNS0_4arch9wavefront6targetE0EEEvSK_
                                        ; -- End function
	.set _ZN7rocprim17ROCPRIM_400000_NS6detail17trampoline_kernelINS0_14default_configENS1_36segmented_radix_sort_config_selectorIblEEZNS1_25segmented_radix_sort_implIS3_Lb1EPKbPbPKlPlN2at6native12_GLOBAL__N_18offset_tEEE10hipError_tPvRmT1_PNSt15iterator_traitsISK_E10value_typeET2_T3_PNSL_ISQ_E10value_typeET4_jRbjT5_SW_jjP12ihipStream_tbEUlT_E1_NS1_11comp_targetILNS1_3genE8ELNS1_11target_archE1030ELNS1_3gpuE2ELNS1_3repE0EEENS1_59segmented_radix_sort_warp_sort_small_config_static_selectorELNS0_4arch9wavefront6targetE0EEEvSK_.num_vgpr, 0
	.set _ZN7rocprim17ROCPRIM_400000_NS6detail17trampoline_kernelINS0_14default_configENS1_36segmented_radix_sort_config_selectorIblEEZNS1_25segmented_radix_sort_implIS3_Lb1EPKbPbPKlPlN2at6native12_GLOBAL__N_18offset_tEEE10hipError_tPvRmT1_PNSt15iterator_traitsISK_E10value_typeET2_T3_PNSL_ISQ_E10value_typeET4_jRbjT5_SW_jjP12ihipStream_tbEUlT_E1_NS1_11comp_targetILNS1_3genE8ELNS1_11target_archE1030ELNS1_3gpuE2ELNS1_3repE0EEENS1_59segmented_radix_sort_warp_sort_small_config_static_selectorELNS0_4arch9wavefront6targetE0EEEvSK_.num_agpr, 0
	.set _ZN7rocprim17ROCPRIM_400000_NS6detail17trampoline_kernelINS0_14default_configENS1_36segmented_radix_sort_config_selectorIblEEZNS1_25segmented_radix_sort_implIS3_Lb1EPKbPbPKlPlN2at6native12_GLOBAL__N_18offset_tEEE10hipError_tPvRmT1_PNSt15iterator_traitsISK_E10value_typeET2_T3_PNSL_ISQ_E10value_typeET4_jRbjT5_SW_jjP12ihipStream_tbEUlT_E1_NS1_11comp_targetILNS1_3genE8ELNS1_11target_archE1030ELNS1_3gpuE2ELNS1_3repE0EEENS1_59segmented_radix_sort_warp_sort_small_config_static_selectorELNS0_4arch9wavefront6targetE0EEEvSK_.numbered_sgpr, 0
	.set _ZN7rocprim17ROCPRIM_400000_NS6detail17trampoline_kernelINS0_14default_configENS1_36segmented_radix_sort_config_selectorIblEEZNS1_25segmented_radix_sort_implIS3_Lb1EPKbPbPKlPlN2at6native12_GLOBAL__N_18offset_tEEE10hipError_tPvRmT1_PNSt15iterator_traitsISK_E10value_typeET2_T3_PNSL_ISQ_E10value_typeET4_jRbjT5_SW_jjP12ihipStream_tbEUlT_E1_NS1_11comp_targetILNS1_3genE8ELNS1_11target_archE1030ELNS1_3gpuE2ELNS1_3repE0EEENS1_59segmented_radix_sort_warp_sort_small_config_static_selectorELNS0_4arch9wavefront6targetE0EEEvSK_.num_named_barrier, 0
	.set _ZN7rocprim17ROCPRIM_400000_NS6detail17trampoline_kernelINS0_14default_configENS1_36segmented_radix_sort_config_selectorIblEEZNS1_25segmented_radix_sort_implIS3_Lb1EPKbPbPKlPlN2at6native12_GLOBAL__N_18offset_tEEE10hipError_tPvRmT1_PNSt15iterator_traitsISK_E10value_typeET2_T3_PNSL_ISQ_E10value_typeET4_jRbjT5_SW_jjP12ihipStream_tbEUlT_E1_NS1_11comp_targetILNS1_3genE8ELNS1_11target_archE1030ELNS1_3gpuE2ELNS1_3repE0EEENS1_59segmented_radix_sort_warp_sort_small_config_static_selectorELNS0_4arch9wavefront6targetE0EEEvSK_.private_seg_size, 0
	.set _ZN7rocprim17ROCPRIM_400000_NS6detail17trampoline_kernelINS0_14default_configENS1_36segmented_radix_sort_config_selectorIblEEZNS1_25segmented_radix_sort_implIS3_Lb1EPKbPbPKlPlN2at6native12_GLOBAL__N_18offset_tEEE10hipError_tPvRmT1_PNSt15iterator_traitsISK_E10value_typeET2_T3_PNSL_ISQ_E10value_typeET4_jRbjT5_SW_jjP12ihipStream_tbEUlT_E1_NS1_11comp_targetILNS1_3genE8ELNS1_11target_archE1030ELNS1_3gpuE2ELNS1_3repE0EEENS1_59segmented_radix_sort_warp_sort_small_config_static_selectorELNS0_4arch9wavefront6targetE0EEEvSK_.uses_vcc, 0
	.set _ZN7rocprim17ROCPRIM_400000_NS6detail17trampoline_kernelINS0_14default_configENS1_36segmented_radix_sort_config_selectorIblEEZNS1_25segmented_radix_sort_implIS3_Lb1EPKbPbPKlPlN2at6native12_GLOBAL__N_18offset_tEEE10hipError_tPvRmT1_PNSt15iterator_traitsISK_E10value_typeET2_T3_PNSL_ISQ_E10value_typeET4_jRbjT5_SW_jjP12ihipStream_tbEUlT_E1_NS1_11comp_targetILNS1_3genE8ELNS1_11target_archE1030ELNS1_3gpuE2ELNS1_3repE0EEENS1_59segmented_radix_sort_warp_sort_small_config_static_selectorELNS0_4arch9wavefront6targetE0EEEvSK_.uses_flat_scratch, 0
	.set _ZN7rocprim17ROCPRIM_400000_NS6detail17trampoline_kernelINS0_14default_configENS1_36segmented_radix_sort_config_selectorIblEEZNS1_25segmented_radix_sort_implIS3_Lb1EPKbPbPKlPlN2at6native12_GLOBAL__N_18offset_tEEE10hipError_tPvRmT1_PNSt15iterator_traitsISK_E10value_typeET2_T3_PNSL_ISQ_E10value_typeET4_jRbjT5_SW_jjP12ihipStream_tbEUlT_E1_NS1_11comp_targetILNS1_3genE8ELNS1_11target_archE1030ELNS1_3gpuE2ELNS1_3repE0EEENS1_59segmented_radix_sort_warp_sort_small_config_static_selectorELNS0_4arch9wavefront6targetE0EEEvSK_.has_dyn_sized_stack, 0
	.set _ZN7rocprim17ROCPRIM_400000_NS6detail17trampoline_kernelINS0_14default_configENS1_36segmented_radix_sort_config_selectorIblEEZNS1_25segmented_radix_sort_implIS3_Lb1EPKbPbPKlPlN2at6native12_GLOBAL__N_18offset_tEEE10hipError_tPvRmT1_PNSt15iterator_traitsISK_E10value_typeET2_T3_PNSL_ISQ_E10value_typeET4_jRbjT5_SW_jjP12ihipStream_tbEUlT_E1_NS1_11comp_targetILNS1_3genE8ELNS1_11target_archE1030ELNS1_3gpuE2ELNS1_3repE0EEENS1_59segmented_radix_sort_warp_sort_small_config_static_selectorELNS0_4arch9wavefront6targetE0EEEvSK_.has_recursion, 0
	.set _ZN7rocprim17ROCPRIM_400000_NS6detail17trampoline_kernelINS0_14default_configENS1_36segmented_radix_sort_config_selectorIblEEZNS1_25segmented_radix_sort_implIS3_Lb1EPKbPbPKlPlN2at6native12_GLOBAL__N_18offset_tEEE10hipError_tPvRmT1_PNSt15iterator_traitsISK_E10value_typeET2_T3_PNSL_ISQ_E10value_typeET4_jRbjT5_SW_jjP12ihipStream_tbEUlT_E1_NS1_11comp_targetILNS1_3genE8ELNS1_11target_archE1030ELNS1_3gpuE2ELNS1_3repE0EEENS1_59segmented_radix_sort_warp_sort_small_config_static_selectorELNS0_4arch9wavefront6targetE0EEEvSK_.has_indirect_call, 0
	.section	.AMDGPU.csdata,"",@progbits
; Kernel info:
; codeLenInByte = 0
; TotalNumSgprs: 0
; NumVgprs: 0
; ScratchSize: 0
; MemoryBound: 0
; FloatMode: 240
; IeeeMode: 1
; LDSByteSize: 0 bytes/workgroup (compile time only)
; SGPRBlocks: 0
; VGPRBlocks: 0
; NumSGPRsForWavesPerEU: 1
; NumVGPRsForWavesPerEU: 1
; NamedBarCnt: 0
; Occupancy: 16
; WaveLimiterHint : 0
; COMPUTE_PGM_RSRC2:SCRATCH_EN: 0
; COMPUTE_PGM_RSRC2:USER_SGPR: 2
; COMPUTE_PGM_RSRC2:TRAP_HANDLER: 0
; COMPUTE_PGM_RSRC2:TGID_X_EN: 1
; COMPUTE_PGM_RSRC2:TGID_Y_EN: 0
; COMPUTE_PGM_RSRC2:TGID_Z_EN: 0
; COMPUTE_PGM_RSRC2:TIDIG_COMP_CNT: 0
	.section	.text._ZN7rocprim17ROCPRIM_400000_NS6detail17trampoline_kernelINS0_14default_configENS1_36segmented_radix_sort_config_selectorIblEEZNS1_25segmented_radix_sort_implIS3_Lb1EPKbPbPKlPlN2at6native12_GLOBAL__N_18offset_tEEE10hipError_tPvRmT1_PNSt15iterator_traitsISK_E10value_typeET2_T3_PNSL_ISQ_E10value_typeET4_jRbjT5_SW_jjP12ihipStream_tbEUlT_E2_NS1_11comp_targetILNS1_3genE0ELNS1_11target_archE4294967295ELNS1_3gpuE0ELNS1_3repE0EEENS1_30default_config_static_selectorELNS0_4arch9wavefront6targetE0EEEvSK_,"axG",@progbits,_ZN7rocprim17ROCPRIM_400000_NS6detail17trampoline_kernelINS0_14default_configENS1_36segmented_radix_sort_config_selectorIblEEZNS1_25segmented_radix_sort_implIS3_Lb1EPKbPbPKlPlN2at6native12_GLOBAL__N_18offset_tEEE10hipError_tPvRmT1_PNSt15iterator_traitsISK_E10value_typeET2_T3_PNSL_ISQ_E10value_typeET4_jRbjT5_SW_jjP12ihipStream_tbEUlT_E2_NS1_11comp_targetILNS1_3genE0ELNS1_11target_archE4294967295ELNS1_3gpuE0ELNS1_3repE0EEENS1_30default_config_static_selectorELNS0_4arch9wavefront6targetE0EEEvSK_,comdat
	.globl	_ZN7rocprim17ROCPRIM_400000_NS6detail17trampoline_kernelINS0_14default_configENS1_36segmented_radix_sort_config_selectorIblEEZNS1_25segmented_radix_sort_implIS3_Lb1EPKbPbPKlPlN2at6native12_GLOBAL__N_18offset_tEEE10hipError_tPvRmT1_PNSt15iterator_traitsISK_E10value_typeET2_T3_PNSL_ISQ_E10value_typeET4_jRbjT5_SW_jjP12ihipStream_tbEUlT_E2_NS1_11comp_targetILNS1_3genE0ELNS1_11target_archE4294967295ELNS1_3gpuE0ELNS1_3repE0EEENS1_30default_config_static_selectorELNS0_4arch9wavefront6targetE0EEEvSK_ ; -- Begin function _ZN7rocprim17ROCPRIM_400000_NS6detail17trampoline_kernelINS0_14default_configENS1_36segmented_radix_sort_config_selectorIblEEZNS1_25segmented_radix_sort_implIS3_Lb1EPKbPbPKlPlN2at6native12_GLOBAL__N_18offset_tEEE10hipError_tPvRmT1_PNSt15iterator_traitsISK_E10value_typeET2_T3_PNSL_ISQ_E10value_typeET4_jRbjT5_SW_jjP12ihipStream_tbEUlT_E2_NS1_11comp_targetILNS1_3genE0ELNS1_11target_archE4294967295ELNS1_3gpuE0ELNS1_3repE0EEENS1_30default_config_static_selectorELNS0_4arch9wavefront6targetE0EEEvSK_
	.p2align	8
	.type	_ZN7rocprim17ROCPRIM_400000_NS6detail17trampoline_kernelINS0_14default_configENS1_36segmented_radix_sort_config_selectorIblEEZNS1_25segmented_radix_sort_implIS3_Lb1EPKbPbPKlPlN2at6native12_GLOBAL__N_18offset_tEEE10hipError_tPvRmT1_PNSt15iterator_traitsISK_E10value_typeET2_T3_PNSL_ISQ_E10value_typeET4_jRbjT5_SW_jjP12ihipStream_tbEUlT_E2_NS1_11comp_targetILNS1_3genE0ELNS1_11target_archE4294967295ELNS1_3gpuE0ELNS1_3repE0EEENS1_30default_config_static_selectorELNS0_4arch9wavefront6targetE0EEEvSK_,@function
_ZN7rocprim17ROCPRIM_400000_NS6detail17trampoline_kernelINS0_14default_configENS1_36segmented_radix_sort_config_selectorIblEEZNS1_25segmented_radix_sort_implIS3_Lb1EPKbPbPKlPlN2at6native12_GLOBAL__N_18offset_tEEE10hipError_tPvRmT1_PNSt15iterator_traitsISK_E10value_typeET2_T3_PNSL_ISQ_E10value_typeET4_jRbjT5_SW_jjP12ihipStream_tbEUlT_E2_NS1_11comp_targetILNS1_3genE0ELNS1_11target_archE4294967295ELNS1_3gpuE0ELNS1_3repE0EEENS1_30default_config_static_selectorELNS0_4arch9wavefront6targetE0EEEvSK_: ; @_ZN7rocprim17ROCPRIM_400000_NS6detail17trampoline_kernelINS0_14default_configENS1_36segmented_radix_sort_config_selectorIblEEZNS1_25segmented_radix_sort_implIS3_Lb1EPKbPbPKlPlN2at6native12_GLOBAL__N_18offset_tEEE10hipError_tPvRmT1_PNSt15iterator_traitsISK_E10value_typeET2_T3_PNSL_ISQ_E10value_typeET4_jRbjT5_SW_jjP12ihipStream_tbEUlT_E2_NS1_11comp_targetILNS1_3genE0ELNS1_11target_archE4294967295ELNS1_3gpuE0ELNS1_3repE0EEENS1_30default_config_static_selectorELNS0_4arch9wavefront6targetE0EEEvSK_
; %bb.0:
	s_load_b128 s[4:7], s[2:3], 0x34
	s_bfe_u32 s8, ttmp6, 0x4000c
	s_and_b32 s9, ttmp6, 15
	s_add_co_i32 s8, s8, 1
	s_getreg_b32 s28, hwreg(HW_REG_IB_STS2, 6, 4)
	s_mul_i32 s8, ttmp9, s8
	s_mov_b32 s32, 0
	s_add_co_i32 s9, s9, s8
	s_cmp_eq_u32 s28, 0
	s_cselect_b32 s35, ttmp9, s9
	s_wait_kmcnt 0x0
	s_add_co_i32 s51, s7, s35
	s_add_co_i32 s54, s5, s35
	s_mul_i32 s51, s51, s6
	s_mul_i32 s54, s54, s4
	s_delay_alu instid0(SALU_CYCLE_1)
	s_cmp_le_u32 s51, s54
	s_cbranch_scc1 .LBB1553_1262
; %bb.1:
	s_clause 0x3
	s_load_b32 s4, s[2:3], 0x30
	s_load_b128 s[44:47], s[2:3], 0x20
	s_load_b96 s[48:50], s[2:3], 0x44
	s_load_b256 s[36:43], s[2:3], 0x0
	s_wait_kmcnt 0x0
	s_bitcmp1_b32 s4, 0
	s_mov_b32 s4, -1
	s_cselect_b32 s55, -1, 0
	s_sub_co_i32 s56, s51, s54
	s_delay_alu instid0(SALU_CYCLE_1)
	s_cmp_lt_u32 s56, 0x1101
	s_cbranch_scc0 .LBB1553_15
; %bb.2:
	s_cmp_lt_u32 s56, 0x81
	s_cbranch_scc0 .LBB1553_9
; %bb.3:
	s_load_b32 s4, s[2:3], 0x5c
	v_bfe_u32 v1, v0, 10, 10
	v_bfe_u32 v2, v0, 20, 10
	s_mov_b32 s15, exec_lo
	s_wait_kmcnt 0x0
	s_lshr_b32 s5, s4, 16
	s_and_b32 s4, s4, 0xffff
	v_mad_u32_u24 v1, v2, s5, v1
	v_and_b32_e32 v2, 0x3ff, v0
	s_delay_alu instid0(VALU_DEP_1) | instskip(NEXT) | instid1(VALU_DEP_1)
	v_mad_u32 v1, v1, s4, v2
	v_cmpx_gt_u32_e32 32, v1
	s_cbranch_execz .LBB1553_8
; %bb.4:
	v_cndmask_b32_e64 v1, 0, 1, s55
	s_and_b32 s4, s48, 1
	s_get_pc_i64 s[16:17]
	s_add_nc_u64 s[16:17], s[16:17], _ZN7rocprim17ROCPRIM_400000_NS6detail26segmented_warp_sort_helperINS1_20WarpSortHelperConfigILj32ELj4ELj256EEEblLi256ELb1EvE4sortIPKbPbPKlPlEEvT_T0_T1_T2_jjjjRNS5_12storage_typeE@rel64+4
	s_delay_alu instid0(VALU_DEP_1)
	v_cmp_ne_u32_e32 vcc_lo, s4, v1
	s_mov_b32 s4, -1
	s_cbranch_vccnz .LBB1553_6
; %bb.5:
	s_mov_b64 s[4:5], src_shared_base
	v_dual_mov_b32 v31, v0 :: v_dual_mov_b32 v40, v0
	v_dual_mov_b32 v0, s36 :: v_dual_mov_b32 v1, s37
	;; [unrolled: 1-line block ×8, first 2 shown]
	s_add_nc_u64 s[8:9], s[2:3], 0x50
	s_mov_b64 s[6:7], s[0:1]
	s_mov_b64 s[18:19], s[2:3]
	;; [unrolled: 1-line block ×3, first 2 shown]
	s_swap_pc_i64 s[30:31], s[16:17]
	v_mov_b32_e32 v0, v40
	s_mov_b64 s[0:1], s[20:21]
	s_mov_b64 s[2:3], s[18:19]
	s_mov_b32 s4, 0
.LBB1553_6:
	s_delay_alu instid0(SALU_CYCLE_1)
	s_and_not1_b32 vcc_lo, exec_lo, s4
	s_cbranch_vccnz .LBB1553_8
; %bb.7:
	s_mov_b64 s[4:5], src_shared_base
	v_dual_mov_b32 v31, v0 :: v_dual_mov_b32 v40, v0
	v_dual_mov_b32 v0, s36 :: v_dual_mov_b32 v1, s37
	;; [unrolled: 1-line block ×8, first 2 shown]
	s_add_nc_u64 s[8:9], s[2:3], 0x50
	s_mov_b64 s[6:7], s[0:1]
	s_mov_b64 s[18:19], s[2:3]
	;; [unrolled: 1-line block ×3, first 2 shown]
	s_swap_pc_i64 s[30:31], s[16:17]
	v_mov_b32_e32 v0, v40
	s_mov_b64 s[0:1], s[20:21]
	s_mov_b64 s[2:3], s[18:19]
.LBB1553_8:
	s_or_b32 exec_lo, exec_lo, s15
	s_mov_b32 s4, 0
.LBB1553_9:
	s_delay_alu instid0(SALU_CYCLE_1)
	s_and_not1_b32 vcc_lo, exec_lo, s4
	s_cbranch_vccnz .LBB1553_14
; %bb.10:
	v_cndmask_b32_e64 v1, 0, 1, s55
	s_and_b32 s4, s48, 1
	s_get_pc_i64 s[22:23]
	s_add_nc_u64 s[22:23], s[22:23], _ZN7rocprim17ROCPRIM_400000_NS6detail40segmented_radix_sort_single_block_helperIblLj256ELj17ELb1EE4sortIPKbPbPKlPlEEbT_T0_T1_T2_jjjjRNS3_12storage_typeE@rel64+4
	s_delay_alu instid0(VALU_DEP_1)
	v_cmp_ne_u32_e32 vcc_lo, s4, v1
	s_mov_b32 s4, -1
	s_cbranch_vccnz .LBB1553_12
; %bb.11:
	s_mov_b64 s[4:5], src_shared_base
	v_dual_mov_b32 v31, v0 :: v_dual_mov_b32 v40, v0
	v_dual_mov_b32 v0, s36 :: v_dual_mov_b32 v1, s37
	;; [unrolled: 1-line block ×8, first 2 shown]
	s_add_nc_u64 s[8:9], s[2:3], 0x50
	s_mov_b64 s[6:7], s[0:1]
	s_mov_b64 s[24:25], s[2:3]
	;; [unrolled: 1-line block ×3, first 2 shown]
	s_swap_pc_i64 s[30:31], s[22:23]
	v_mov_b32_e32 v0, v40
	s_mov_b64 s[0:1], s[26:27]
	s_mov_b64 s[2:3], s[24:25]
	s_mov_b32 s4, 0
.LBB1553_12:
	s_delay_alu instid0(SALU_CYCLE_1)
	s_and_not1_b32 vcc_lo, exec_lo, s4
	s_cbranch_vccnz .LBB1553_14
; %bb.13:
	s_mov_b64 s[4:5], src_shared_base
	v_dual_mov_b32 v31, v0 :: v_dual_mov_b32 v40, v0
	v_dual_mov_b32 v0, s36 :: v_dual_mov_b32 v1, s37
	;; [unrolled: 1-line block ×8, first 2 shown]
	s_add_nc_u64 s[8:9], s[2:3], 0x50
	s_mov_b64 s[6:7], s[0:1]
	s_mov_b64 s[24:25], s[2:3]
	s_swap_pc_i64 s[30:31], s[22:23]
	v_mov_b32_e32 v0, v40
	s_mov_b64 s[2:3], s[24:25]
.LBB1553_14:
	s_mov_b32 s4, 0
.LBB1553_15:
	s_delay_alu instid0(SALU_CYCLE_1)
	s_and_not1_b32 vcc_lo, exec_lo, s4
	s_cbranch_vccnz .LBB1553_1262
; %bb.16:
	s_cmp_ge_u32 s49, s50
	s_cbranch_scc1 .LBB1553_1262
; %bb.17:
	v_dual_mov_b32 v2, 0 :: v_dual_bitop2_b32 v1, 3, v0 bitop3:0x40
	v_and_b32_e32 v10, 0x3ff, v0
	v_and_b32_e32 v3, 0xe0, v0
	s_delay_alu instid0(VALU_DEP_3) | instskip(SKIP_1) | instid1(VALU_DEP_3)
	v_dual_lshrrev_b32 v5, 3, v0 :: v_dual_mov_b32 v11, v2
	s_bfe_u32 s6, ttmp6, 0x40010
	v_lshlrev_b32_e32 v9, 2, v10
	s_delay_alu instid0(VALU_DEP_3)
	v_min_u32_e32 v4, 0x60, v3
	v_mul_u32_u24_e32 v14, 17, v3
	v_lshlrev_b32_e32 v89, 2, v1
	v_and_b32_e32 v88, 28, v5
	v_mad_u32_u24 v90, v10, 12, v9
	v_dual_mov_b32 v15, v2 :: v_dual_bitop2_b32 v4, 31, v4 bitop3:0x54
	v_dual_mov_b32 v5, v2 :: v_dual_add_nc_u32 v92, 0x8a00, v9
	v_bfe_u32 v94, v0, 20, 10
	s_delay_alu instid0(VALU_DEP_3)
	v_cmp_eq_u32_e64 s1, v10, v4
	v_dual_add_nc_u32 v95, v90, v9 :: v_dual_bitop2_b32 v1, 31, v3 bitop3:0x54
	v_lshlrev_b32_e32 v3, 4, v10
	v_bfe_u32 v96, v0, 10, 10
	v_add_nc_u32_e32 v0, 1, v10
	v_lshlrev_b32_e32 v4, 3, v14
	s_add_co_i32 s6, s6, 1
	s_bfe_u32 s7, ttmp6, 0x40004
	s_mul_i32 s6, ttmp7, s6
	v_add_nc_u64_e32 v[12:13], s[40:41], v[10:11]
	s_add_nc_u64 s[52:53], s[2:3], 0x50
	s_add_co_i32 s8, s7, s6
	v_cmp_eq_u32_e64 s2, v10, v1
	v_sub_nc_u32_e32 v97, v95, v3
	v_mul_u32_u24_e32 v98, 36, v0
	v_cmp_ne_u32_e64 s7, 0x80, v0
	v_add_nc_u64_e32 v[16:17], s[40:41], v[14:15]
	v_add_nc_u64_e32 v[18:19], s[38:39], v[10:11]
	;; [unrolled: 1-line block ×5, first 2 shown]
	v_mov_b32_e32 v15, 1
	v_add_nc_u64_e32 v[0:1], s[46:47], v[4:5]
	v_add_nc_u64_e32 v[20:21], s[44:45], v[4:5]
	;; [unrolled: 1-line block ×3, first 2 shown]
	v_or_b32_e32 v72, 0x100, v10
	v_or_b32_e32 v73, 0x200, v10
	;; [unrolled: 1-line block ×16, first 2 shown]
	v_cmp_gt_u32_e64 s0, 0x80, v10
	v_or_b32_e32 v91, 0x8a00, v88
	v_cmp_gt_u32_e64 s4, 4, v10
	v_cmp_lt_u32_e64 s5, 31, v10
	v_add_nc_u32_e32 v93, 0x89fc, v88
	v_cmp_gt_u32_e64 s3, 8, v10
	v_cmp_eq_u32_e64 s6, 0, v10
	v_lshlrev_b32_e32 v99, 5, v10
	v_mul_u32_u24_e32 v100, 7, v10
	v_mbcnt_lo_u32_b32 v30, -1, 0
	s_cmp_eq_u32 s28, 0
	s_mov_b32 s43, 0
	s_cselect_b32 s48, ttmp7, s8
	s_mov_b32 s57, s49
	s_branch .LBB1553_20
.LBB1553_18:                            ;   in Loop: Header=BB1553_20 Depth=1
	s_wait_dscnt 0x0
	s_barrier_signal -1
	s_barrier_wait -1
.LBB1553_19:                            ;   in Loop: Header=BB1553_20 Depth=1
	s_add_co_i32 s57, s57, 7
	s_delay_alu instid0(SALU_CYCLE_1)
	s_cmp_ge_u32 s57, s50
	s_cbranch_scc1 .LBB1553_1262
.LBB1553_20:                            ; =>This Loop Header: Depth=1
                                        ;     Child Loop BB1553_24 Depth 2
                                        ;     Child Loop BB1553_108 Depth 2
                                        ;     Child Loop BB1553_334 Depth 2
                                        ;     Child Loop BB1553_418 Depth 2
                                        ;     Child Loop BB1553_646 Depth 2
                                        ;     Child Loop BB1553_730 Depth 2
                                        ;     Child Loop BB1553_956 Depth 2
                                        ;     Child Loop BB1553_1040 Depth 2
	s_sub_co_i32 s8, s50, s57
	s_xor_b32 s55, s55, -1
	s_min_u32 s8, s8, 7
	ds_store_2addr_stride64_b32 v9, v2, v2 offset1:4
	s_lshl_b32 s8, -1, s8
	s_wait_storecnt_dscnt 0x0
	s_not_b32 s58, s8
	s_cmp_lg_u32 s57, s49
	s_mov_b32 s8, -1
	s_cbranch_scc0 .LBB1553_642
; %bb.21:                               ;   in Loop: Header=BB1553_20 Depth=1
	s_and_b32 vcc_lo, exec_lo, s55
	s_cbranch_vccz .LBB1553_331
; %bb.22:                               ;   in Loop: Header=BB1553_20 Depth=1
	v_dual_mov_b32 v40, 0 :: v_dual_mov_b32 v43, 0
	v_dual_mov_b32 v42, 0 :: v_dual_mov_b32 v41, 0
	;; [unrolled: 1-line block ×8, first 2 shown]
	v_mov_b32_e32 v3, 0
	s_mov_b32 s8, s56
	s_mov_b32 s42, s54
	s_barrier_signal -1
	s_barrier_wait -1
	s_branch .LBB1553_24
.LBB1553_23:                            ;   in Loop: Header=BB1553_24 Depth=2
	s_or_b32 exec_lo, exec_lo, s10
	s_addk_co_i32 s8, 0xef00
	s_cmp_ge_u32 s9, s51
	s_mov_b32 s42, s9
	s_cbranch_scc1 .LBB1553_96
.LBB1553_24:                            ;   Parent Loop BB1553_20 Depth=1
                                        ; =>  This Inner Loop Header: Depth=2
	s_add_co_i32 s9, s42, 0x1100
	s_mov_b32 s10, -1
	s_cmp_gt_u32 s9, s51
                                        ; implicit-def: $vgpr4
                                        ; implicit-def: $vgpr5
                                        ; implicit-def: $vgpr44
                                        ; implicit-def: $vgpr45
                                        ; implicit-def: $vgpr46
                                        ; implicit-def: $vgpr47
                                        ; implicit-def: $vgpr48
                                        ; implicit-def: $vgpr49
                                        ; implicit-def: $vgpr50
                                        ; implicit-def: $vgpr51
                                        ; implicit-def: $vgpr52
                                        ; implicit-def: $vgpr53
                                        ; implicit-def: $vgpr54
                                        ; implicit-def: $vgpr55
                                        ; implicit-def: $vgpr56
                                        ; implicit-def: $vgpr57
                                        ; implicit-def: $vgpr58
	s_cbranch_scc1 .LBB1553_26
; %bb.25:                               ;   in Loop: Header=BB1553_24 Depth=2
	v_add_nc_u64_e32 v[60:61], s[42:43], v[12:13]
	s_mov_b32 s10, 0
	s_clause 0x10
	global_load_u8 v58, v[60:61], off offset:4096
	global_load_u8 v57, v[60:61], off offset:3840
	;; [unrolled: 1-line block ×16, first 2 shown]
	global_load_u8 v4, v[60:61], off
.LBB1553_26:                            ;   in Loop: Header=BB1553_24 Depth=2
	s_and_not1_b32 vcc_lo, exec_lo, s10
	s_movk_i32 s10, 0x1100
	s_cbranch_vccnz .LBB1553_46
; %bb.27:                               ;   in Loop: Header=BB1553_24 Depth=2
	s_add_nc_u64 s[10:11], s[40:41], s[42:43]
	s_wait_loadcnt 0x0
	v_add_nc_u64_e32 v[4:5], s[10:11], v[10:11]
	s_mov_b32 s10, exec_lo
	s_wait_xcnt 0x0
	v_cmpx_gt_u32_e64 s8, v10
	s_cbranch_execnz .LBB1553_80
; %bb.28:                               ;   in Loop: Header=BB1553_24 Depth=2
	s_or_b32 exec_lo, exec_lo, s10
	s_delay_alu instid0(SALU_CYCLE_1)
	s_mov_b32 s10, exec_lo
	v_cmpx_gt_u32_e64 s8, v72
	s_cbranch_execnz .LBB1553_81
.LBB1553_29:                            ;   in Loop: Header=BB1553_24 Depth=2
	s_or_b32 exec_lo, exec_lo, s10
	s_delay_alu instid0(SALU_CYCLE_1)
	s_mov_b32 s10, exec_lo
	v_cmpx_gt_u32_e64 s8, v73
	s_cbranch_execnz .LBB1553_82
.LBB1553_30:                            ;   in Loop: Header=BB1553_24 Depth=2
	s_or_b32 exec_lo, exec_lo, s10
	s_delay_alu instid0(SALU_CYCLE_1)
	s_mov_b32 s10, exec_lo
	v_cmpx_gt_u32_e64 s8, v74
	s_cbranch_execnz .LBB1553_83
.LBB1553_31:                            ;   in Loop: Header=BB1553_24 Depth=2
	s_or_b32 exec_lo, exec_lo, s10
	s_delay_alu instid0(SALU_CYCLE_1)
	s_mov_b32 s10, exec_lo
	v_cmpx_gt_u32_e64 s8, v75
	s_cbranch_execnz .LBB1553_84
.LBB1553_32:                            ;   in Loop: Header=BB1553_24 Depth=2
	s_or_b32 exec_lo, exec_lo, s10
	s_delay_alu instid0(SALU_CYCLE_1)
	s_mov_b32 s10, exec_lo
	v_cmpx_gt_u32_e64 s8, v76
	s_cbranch_execnz .LBB1553_85
.LBB1553_33:                            ;   in Loop: Header=BB1553_24 Depth=2
	s_or_b32 exec_lo, exec_lo, s10
	s_delay_alu instid0(SALU_CYCLE_1)
	s_mov_b32 s10, exec_lo
	v_cmpx_gt_u32_e64 s8, v77
	s_cbranch_execnz .LBB1553_86
.LBB1553_34:                            ;   in Loop: Header=BB1553_24 Depth=2
	s_or_b32 exec_lo, exec_lo, s10
	s_delay_alu instid0(SALU_CYCLE_1)
	s_mov_b32 s10, exec_lo
	v_cmpx_gt_u32_e64 s8, v78
	s_cbranch_execnz .LBB1553_87
.LBB1553_35:                            ;   in Loop: Header=BB1553_24 Depth=2
	s_or_b32 exec_lo, exec_lo, s10
	s_delay_alu instid0(SALU_CYCLE_1)
	s_mov_b32 s10, exec_lo
	v_cmpx_gt_u32_e64 s8, v79
	s_cbranch_execnz .LBB1553_88
.LBB1553_36:                            ;   in Loop: Header=BB1553_24 Depth=2
	s_or_b32 exec_lo, exec_lo, s10
	s_delay_alu instid0(SALU_CYCLE_1)
	s_mov_b32 s10, exec_lo
	v_cmpx_gt_u32_e64 s8, v80
	s_cbranch_execnz .LBB1553_89
.LBB1553_37:                            ;   in Loop: Header=BB1553_24 Depth=2
	s_or_b32 exec_lo, exec_lo, s10
	s_delay_alu instid0(SALU_CYCLE_1)
	s_mov_b32 s10, exec_lo
	v_cmpx_gt_u32_e64 s8, v81
	s_cbranch_execnz .LBB1553_90
.LBB1553_38:                            ;   in Loop: Header=BB1553_24 Depth=2
	s_or_b32 exec_lo, exec_lo, s10
	s_delay_alu instid0(SALU_CYCLE_1)
	s_mov_b32 s10, exec_lo
	v_cmpx_gt_u32_e64 s8, v82
	s_cbranch_execnz .LBB1553_91
.LBB1553_39:                            ;   in Loop: Header=BB1553_24 Depth=2
	s_or_b32 exec_lo, exec_lo, s10
	s_delay_alu instid0(SALU_CYCLE_1)
	s_mov_b32 s10, exec_lo
	v_cmpx_gt_u32_e64 s8, v83
	s_cbranch_execnz .LBB1553_92
.LBB1553_40:                            ;   in Loop: Header=BB1553_24 Depth=2
	s_or_b32 exec_lo, exec_lo, s10
	s_delay_alu instid0(SALU_CYCLE_1)
	s_mov_b32 s10, exec_lo
	v_cmpx_gt_u32_e64 s8, v84
	s_cbranch_execnz .LBB1553_93
.LBB1553_41:                            ;   in Loop: Header=BB1553_24 Depth=2
	s_or_b32 exec_lo, exec_lo, s10
	s_delay_alu instid0(SALU_CYCLE_1)
	s_mov_b32 s10, exec_lo
	v_cmpx_gt_u32_e64 s8, v85
	s_cbranch_execnz .LBB1553_94
.LBB1553_42:                            ;   in Loop: Header=BB1553_24 Depth=2
	s_or_b32 exec_lo, exec_lo, s10
	s_delay_alu instid0(SALU_CYCLE_1)
	s_mov_b32 s10, exec_lo
	v_cmpx_gt_u32_e64 s8, v86
	s_cbranch_execnz .LBB1553_95
.LBB1553_43:                            ;   in Loop: Header=BB1553_24 Depth=2
	s_or_b32 exec_lo, exec_lo, s10
	s_delay_alu instid0(SALU_CYCLE_1)
	s_mov_b32 s10, exec_lo
	v_cmpx_gt_u32_e64 s8, v87
	s_cbranch_execz .LBB1553_45
.LBB1553_44:                            ;   in Loop: Header=BB1553_24 Depth=2
	global_load_u8 v3, v[4:5], off offset:4096
.LBB1553_45:                            ;   in Loop: Header=BB1553_24 Depth=2
	s_wait_xcnt 0x0
	s_or_b32 exec_lo, exec_lo, s10
	s_wait_loadcnt 0x0
	v_dual_mov_b32 v4, v40 :: v_dual_mov_b32 v5, v43
	v_dual_mov_b32 v44, v42 :: v_dual_mov_b32 v45, v41
	v_dual_mov_b32 v46, v39 :: v_dual_mov_b32 v47, v38
	v_dual_mov_b32 v48, v37 :: v_dual_mov_b32 v49, v36
	v_dual_mov_b32 v50, v35 :: v_dual_mov_b32 v51, v34
	v_dual_mov_b32 v52, v33 :: v_dual_mov_b32 v53, v32
	v_dual_mov_b32 v54, v31 :: v_dual_mov_b32 v55, v8
	v_dual_mov_b32 v56, v7 :: v_dual_mov_b32 v57, v6
	v_mov_b32_e32 v58, v3
	s_mov_b32 s10, s8
.LBB1553_46:                            ;   in Loop: Header=BB1553_24 Depth=2
	s_wait_loadcnt 0xf
	s_delay_alu instid0(VALU_DEP_1)
	v_dual_mov_b32 v3, v58 :: v_dual_mov_b32 v6, v57
	s_wait_loadcnt 0xd
	v_dual_mov_b32 v7, v56 :: v_dual_mov_b32 v8, v55
	s_wait_loadcnt 0xb
	;; [unrolled: 2-line block ×8, first 2 shown]
	v_mov_b32_e32 v40, v4
	s_mov_b32 s11, exec_lo
	s_wait_xcnt 0x0
	v_cmpx_gt_u32_e64 s10, v10
	s_cbranch_execnz .LBB1553_63
; %bb.47:                               ;   in Loop: Header=BB1553_24 Depth=2
	s_or_b32 exec_lo, exec_lo, s11
	s_delay_alu instid0(SALU_CYCLE_1)
	s_mov_b32 s11, exec_lo
	v_cmpx_gt_u32_e64 s10, v72
	s_cbranch_execnz .LBB1553_64
.LBB1553_48:                            ;   in Loop: Header=BB1553_24 Depth=2
	s_or_b32 exec_lo, exec_lo, s11
	s_delay_alu instid0(SALU_CYCLE_1)
	s_mov_b32 s11, exec_lo
	v_cmpx_gt_u32_e64 s10, v73
	s_cbranch_execnz .LBB1553_65
.LBB1553_49:                            ;   in Loop: Header=BB1553_24 Depth=2
	s_or_b32 exec_lo, exec_lo, s11
	s_delay_alu instid0(SALU_CYCLE_1)
	s_mov_b32 s11, exec_lo
	v_cmpx_gt_u32_e64 s10, v74
	s_cbranch_execnz .LBB1553_66
.LBB1553_50:                            ;   in Loop: Header=BB1553_24 Depth=2
	s_or_b32 exec_lo, exec_lo, s11
	s_delay_alu instid0(SALU_CYCLE_1)
	s_mov_b32 s11, exec_lo
	v_cmpx_gt_u32_e64 s10, v75
	s_cbranch_execnz .LBB1553_67
.LBB1553_51:                            ;   in Loop: Header=BB1553_24 Depth=2
	s_or_b32 exec_lo, exec_lo, s11
	s_delay_alu instid0(SALU_CYCLE_1)
	s_mov_b32 s11, exec_lo
	v_cmpx_gt_u32_e64 s10, v76
	s_cbranch_execnz .LBB1553_68
.LBB1553_52:                            ;   in Loop: Header=BB1553_24 Depth=2
	s_or_b32 exec_lo, exec_lo, s11
	s_delay_alu instid0(SALU_CYCLE_1)
	s_mov_b32 s11, exec_lo
	v_cmpx_gt_u32_e64 s10, v77
	s_cbranch_execnz .LBB1553_69
.LBB1553_53:                            ;   in Loop: Header=BB1553_24 Depth=2
	s_or_b32 exec_lo, exec_lo, s11
	s_delay_alu instid0(SALU_CYCLE_1)
	s_mov_b32 s11, exec_lo
	v_cmpx_gt_u32_e64 s10, v78
	s_cbranch_execnz .LBB1553_70
.LBB1553_54:                            ;   in Loop: Header=BB1553_24 Depth=2
	s_or_b32 exec_lo, exec_lo, s11
	s_delay_alu instid0(SALU_CYCLE_1)
	s_mov_b32 s11, exec_lo
	v_cmpx_gt_u32_e64 s10, v79
	s_cbranch_execnz .LBB1553_71
.LBB1553_55:                            ;   in Loop: Header=BB1553_24 Depth=2
	s_or_b32 exec_lo, exec_lo, s11
	s_delay_alu instid0(SALU_CYCLE_1)
	s_mov_b32 s11, exec_lo
	v_cmpx_gt_u32_e64 s10, v80
	s_cbranch_execnz .LBB1553_72
.LBB1553_56:                            ;   in Loop: Header=BB1553_24 Depth=2
	s_or_b32 exec_lo, exec_lo, s11
	s_delay_alu instid0(SALU_CYCLE_1)
	s_mov_b32 s11, exec_lo
	v_cmpx_gt_u32_e64 s10, v81
	s_cbranch_execnz .LBB1553_73
.LBB1553_57:                            ;   in Loop: Header=BB1553_24 Depth=2
	s_or_b32 exec_lo, exec_lo, s11
	s_delay_alu instid0(SALU_CYCLE_1)
	s_mov_b32 s11, exec_lo
	v_cmpx_gt_u32_e64 s10, v82
	s_cbranch_execnz .LBB1553_74
.LBB1553_58:                            ;   in Loop: Header=BB1553_24 Depth=2
	s_or_b32 exec_lo, exec_lo, s11
	s_delay_alu instid0(SALU_CYCLE_1)
	s_mov_b32 s11, exec_lo
	v_cmpx_gt_u32_e64 s10, v83
	s_cbranch_execnz .LBB1553_75
.LBB1553_59:                            ;   in Loop: Header=BB1553_24 Depth=2
	s_or_b32 exec_lo, exec_lo, s11
	s_delay_alu instid0(SALU_CYCLE_1)
	s_mov_b32 s11, exec_lo
	v_cmpx_gt_u32_e64 s10, v84
	s_cbranch_execnz .LBB1553_76
.LBB1553_60:                            ;   in Loop: Header=BB1553_24 Depth=2
	s_or_b32 exec_lo, exec_lo, s11
	s_delay_alu instid0(SALU_CYCLE_1)
	s_mov_b32 s11, exec_lo
	v_cmpx_gt_u32_e64 s10, v85
	s_cbranch_execnz .LBB1553_77
.LBB1553_61:                            ;   in Loop: Header=BB1553_24 Depth=2
	s_or_b32 exec_lo, exec_lo, s11
	s_delay_alu instid0(SALU_CYCLE_1)
	s_mov_b32 s11, exec_lo
	v_cmpx_gt_u32_e64 s10, v86
	s_cbranch_execnz .LBB1553_78
.LBB1553_62:                            ;   in Loop: Header=BB1553_24 Depth=2
	s_or_b32 exec_lo, exec_lo, s11
	v_cmp_gt_u32_e32 vcc_lo, s10, v87
	s_and_saveexec_b32 s10, vcc_lo
	s_cbranch_execz .LBB1553_23
	s_branch .LBB1553_79
.LBB1553_63:                            ;   in Loop: Header=BB1553_24 Depth=2
	v_bitop3_b16 v4, v40, 1, v40 bitop3:0xc
	s_delay_alu instid0(VALU_DEP_1) | instskip(NEXT) | instid1(VALU_DEP_1)
	v_and_b32_e32 v4, 0xffff, v4
	v_lshrrev_b32_e32 v4, s57, v4
	s_delay_alu instid0(VALU_DEP_1) | instskip(NEXT) | instid1(VALU_DEP_1)
	v_and_b32_e32 v4, s58, v4
	v_lshl_or_b32 v4, v4, 4, v89
	ds_add_u32 v4, v15
	s_or_b32 exec_lo, exec_lo, s11
	s_delay_alu instid0(SALU_CYCLE_1)
	s_mov_b32 s11, exec_lo
	v_cmpx_gt_u32_e64 s10, v72
	s_cbranch_execz .LBB1553_48
.LBB1553_64:                            ;   in Loop: Header=BB1553_24 Depth=2
	v_bitop3_b16 v4, v43, 1, v43 bitop3:0xc
	s_delay_alu instid0(VALU_DEP_1) | instskip(NEXT) | instid1(VALU_DEP_1)
	v_and_b32_e32 v4, 0xffff, v4
	v_lshrrev_b32_e32 v4, s57, v4
	s_delay_alu instid0(VALU_DEP_1) | instskip(NEXT) | instid1(VALU_DEP_1)
	v_and_b32_e32 v4, s58, v4
	v_lshl_or_b32 v4, v4, 4, v89
	ds_add_u32 v4, v15
	s_or_b32 exec_lo, exec_lo, s11
	s_delay_alu instid0(SALU_CYCLE_1)
	s_mov_b32 s11, exec_lo
	v_cmpx_gt_u32_e64 s10, v73
	s_cbranch_execz .LBB1553_49
.LBB1553_65:                            ;   in Loop: Header=BB1553_24 Depth=2
	v_bitop3_b16 v4, v42, 1, v42 bitop3:0xc
	s_delay_alu instid0(VALU_DEP_1) | instskip(NEXT) | instid1(VALU_DEP_1)
	v_and_b32_e32 v4, 0xffff, v4
	v_lshrrev_b32_e32 v4, s57, v4
	s_delay_alu instid0(VALU_DEP_1) | instskip(NEXT) | instid1(VALU_DEP_1)
	v_and_b32_e32 v4, s58, v4
	v_lshl_or_b32 v4, v4, 4, v89
	ds_add_u32 v4, v15
	s_or_b32 exec_lo, exec_lo, s11
	s_delay_alu instid0(SALU_CYCLE_1)
	s_mov_b32 s11, exec_lo
	v_cmpx_gt_u32_e64 s10, v74
	s_cbranch_execz .LBB1553_50
.LBB1553_66:                            ;   in Loop: Header=BB1553_24 Depth=2
	v_bitop3_b16 v4, v41, 1, v41 bitop3:0xc
	s_delay_alu instid0(VALU_DEP_1) | instskip(NEXT) | instid1(VALU_DEP_1)
	v_and_b32_e32 v4, 0xffff, v4
	v_lshrrev_b32_e32 v4, s57, v4
	s_delay_alu instid0(VALU_DEP_1) | instskip(NEXT) | instid1(VALU_DEP_1)
	v_and_b32_e32 v4, s58, v4
	v_lshl_or_b32 v4, v4, 4, v89
	ds_add_u32 v4, v15
	s_or_b32 exec_lo, exec_lo, s11
	s_delay_alu instid0(SALU_CYCLE_1)
	s_mov_b32 s11, exec_lo
	v_cmpx_gt_u32_e64 s10, v75
	s_cbranch_execz .LBB1553_51
.LBB1553_67:                            ;   in Loop: Header=BB1553_24 Depth=2
	v_bitop3_b16 v4, v39, 1, v39 bitop3:0xc
	s_delay_alu instid0(VALU_DEP_1) | instskip(NEXT) | instid1(VALU_DEP_1)
	v_and_b32_e32 v4, 0xffff, v4
	v_lshrrev_b32_e32 v4, s57, v4
	s_delay_alu instid0(VALU_DEP_1) | instskip(NEXT) | instid1(VALU_DEP_1)
	v_and_b32_e32 v4, s58, v4
	v_lshl_or_b32 v4, v4, 4, v89
	ds_add_u32 v4, v15
	s_or_b32 exec_lo, exec_lo, s11
	s_delay_alu instid0(SALU_CYCLE_1)
	s_mov_b32 s11, exec_lo
	v_cmpx_gt_u32_e64 s10, v76
	s_cbranch_execz .LBB1553_52
.LBB1553_68:                            ;   in Loop: Header=BB1553_24 Depth=2
	v_bitop3_b16 v4, v38, 1, v38 bitop3:0xc
	s_delay_alu instid0(VALU_DEP_1) | instskip(NEXT) | instid1(VALU_DEP_1)
	v_and_b32_e32 v4, 0xffff, v4
	v_lshrrev_b32_e32 v4, s57, v4
	s_delay_alu instid0(VALU_DEP_1) | instskip(NEXT) | instid1(VALU_DEP_1)
	v_and_b32_e32 v4, s58, v4
	v_lshl_or_b32 v4, v4, 4, v89
	ds_add_u32 v4, v15
	s_or_b32 exec_lo, exec_lo, s11
	s_delay_alu instid0(SALU_CYCLE_1)
	s_mov_b32 s11, exec_lo
	v_cmpx_gt_u32_e64 s10, v77
	s_cbranch_execz .LBB1553_53
.LBB1553_69:                            ;   in Loop: Header=BB1553_24 Depth=2
	v_bitop3_b16 v4, v37, 1, v37 bitop3:0xc
	s_delay_alu instid0(VALU_DEP_1) | instskip(NEXT) | instid1(VALU_DEP_1)
	v_and_b32_e32 v4, 0xffff, v4
	v_lshrrev_b32_e32 v4, s57, v4
	s_delay_alu instid0(VALU_DEP_1) | instskip(NEXT) | instid1(VALU_DEP_1)
	v_and_b32_e32 v4, s58, v4
	v_lshl_or_b32 v4, v4, 4, v89
	ds_add_u32 v4, v15
	s_or_b32 exec_lo, exec_lo, s11
	s_delay_alu instid0(SALU_CYCLE_1)
	s_mov_b32 s11, exec_lo
	v_cmpx_gt_u32_e64 s10, v78
	s_cbranch_execz .LBB1553_54
.LBB1553_70:                            ;   in Loop: Header=BB1553_24 Depth=2
	v_bitop3_b16 v4, v36, 1, v36 bitop3:0xc
	s_delay_alu instid0(VALU_DEP_1) | instskip(NEXT) | instid1(VALU_DEP_1)
	v_and_b32_e32 v4, 0xffff, v4
	v_lshrrev_b32_e32 v4, s57, v4
	s_delay_alu instid0(VALU_DEP_1) | instskip(NEXT) | instid1(VALU_DEP_1)
	v_and_b32_e32 v4, s58, v4
	v_lshl_or_b32 v4, v4, 4, v89
	ds_add_u32 v4, v15
	s_or_b32 exec_lo, exec_lo, s11
	s_delay_alu instid0(SALU_CYCLE_1)
	s_mov_b32 s11, exec_lo
	v_cmpx_gt_u32_e64 s10, v79
	s_cbranch_execz .LBB1553_55
.LBB1553_71:                            ;   in Loop: Header=BB1553_24 Depth=2
	v_bitop3_b16 v4, v35, 1, v35 bitop3:0xc
	s_delay_alu instid0(VALU_DEP_1) | instskip(NEXT) | instid1(VALU_DEP_1)
	v_and_b32_e32 v4, 0xffff, v4
	v_lshrrev_b32_e32 v4, s57, v4
	s_delay_alu instid0(VALU_DEP_1) | instskip(NEXT) | instid1(VALU_DEP_1)
	v_and_b32_e32 v4, s58, v4
	v_lshl_or_b32 v4, v4, 4, v89
	ds_add_u32 v4, v15
	s_or_b32 exec_lo, exec_lo, s11
	s_delay_alu instid0(SALU_CYCLE_1)
	s_mov_b32 s11, exec_lo
	v_cmpx_gt_u32_e64 s10, v80
	s_cbranch_execz .LBB1553_56
.LBB1553_72:                            ;   in Loop: Header=BB1553_24 Depth=2
	v_bitop3_b16 v4, v34, 1, v34 bitop3:0xc
	s_delay_alu instid0(VALU_DEP_1) | instskip(NEXT) | instid1(VALU_DEP_1)
	v_and_b32_e32 v4, 0xffff, v4
	v_lshrrev_b32_e32 v4, s57, v4
	s_delay_alu instid0(VALU_DEP_1) | instskip(NEXT) | instid1(VALU_DEP_1)
	v_and_b32_e32 v4, s58, v4
	v_lshl_or_b32 v4, v4, 4, v89
	ds_add_u32 v4, v15
	s_or_b32 exec_lo, exec_lo, s11
	s_delay_alu instid0(SALU_CYCLE_1)
	s_mov_b32 s11, exec_lo
	v_cmpx_gt_u32_e64 s10, v81
	s_cbranch_execz .LBB1553_57
.LBB1553_73:                            ;   in Loop: Header=BB1553_24 Depth=2
	v_bitop3_b16 v4, v33, 1, v33 bitop3:0xc
	s_delay_alu instid0(VALU_DEP_1) | instskip(NEXT) | instid1(VALU_DEP_1)
	v_and_b32_e32 v4, 0xffff, v4
	v_lshrrev_b32_e32 v4, s57, v4
	s_delay_alu instid0(VALU_DEP_1) | instskip(NEXT) | instid1(VALU_DEP_1)
	v_and_b32_e32 v4, s58, v4
	v_lshl_or_b32 v4, v4, 4, v89
	ds_add_u32 v4, v15
	s_or_b32 exec_lo, exec_lo, s11
	s_delay_alu instid0(SALU_CYCLE_1)
	s_mov_b32 s11, exec_lo
	v_cmpx_gt_u32_e64 s10, v82
	s_cbranch_execz .LBB1553_58
.LBB1553_74:                            ;   in Loop: Header=BB1553_24 Depth=2
	v_bitop3_b16 v4, v32, 1, v32 bitop3:0xc
	s_delay_alu instid0(VALU_DEP_1) | instskip(NEXT) | instid1(VALU_DEP_1)
	v_and_b32_e32 v4, 0xffff, v4
	v_lshrrev_b32_e32 v4, s57, v4
	s_delay_alu instid0(VALU_DEP_1) | instskip(NEXT) | instid1(VALU_DEP_1)
	v_and_b32_e32 v4, s58, v4
	v_lshl_or_b32 v4, v4, 4, v89
	ds_add_u32 v4, v15
	s_or_b32 exec_lo, exec_lo, s11
	s_delay_alu instid0(SALU_CYCLE_1)
	s_mov_b32 s11, exec_lo
	v_cmpx_gt_u32_e64 s10, v83
	s_cbranch_execz .LBB1553_59
.LBB1553_75:                            ;   in Loop: Header=BB1553_24 Depth=2
	v_bitop3_b16 v4, v31, 1, v31 bitop3:0xc
	s_delay_alu instid0(VALU_DEP_1) | instskip(NEXT) | instid1(VALU_DEP_1)
	v_and_b32_e32 v4, 0xffff, v4
	v_lshrrev_b32_e32 v4, s57, v4
	s_delay_alu instid0(VALU_DEP_1) | instskip(NEXT) | instid1(VALU_DEP_1)
	v_and_b32_e32 v4, s58, v4
	v_lshl_or_b32 v4, v4, 4, v89
	ds_add_u32 v4, v15
	s_or_b32 exec_lo, exec_lo, s11
	s_delay_alu instid0(SALU_CYCLE_1)
	s_mov_b32 s11, exec_lo
	v_cmpx_gt_u32_e64 s10, v84
	s_cbranch_execz .LBB1553_60
.LBB1553_76:                            ;   in Loop: Header=BB1553_24 Depth=2
	v_bitop3_b16 v4, v8, 1, v8 bitop3:0xc
	s_delay_alu instid0(VALU_DEP_1) | instskip(NEXT) | instid1(VALU_DEP_1)
	v_and_b32_e32 v4, 0xffff, v4
	v_lshrrev_b32_e32 v4, s57, v4
	s_delay_alu instid0(VALU_DEP_1) | instskip(NEXT) | instid1(VALU_DEP_1)
	v_and_b32_e32 v4, s58, v4
	v_lshl_or_b32 v4, v4, 4, v89
	ds_add_u32 v4, v15
	s_or_b32 exec_lo, exec_lo, s11
	s_delay_alu instid0(SALU_CYCLE_1)
	s_mov_b32 s11, exec_lo
	v_cmpx_gt_u32_e64 s10, v85
	s_cbranch_execz .LBB1553_61
.LBB1553_77:                            ;   in Loop: Header=BB1553_24 Depth=2
	v_bitop3_b16 v4, v7, 1, v7 bitop3:0xc
	s_delay_alu instid0(VALU_DEP_1) | instskip(NEXT) | instid1(VALU_DEP_1)
	v_and_b32_e32 v4, 0xffff, v4
	v_lshrrev_b32_e32 v4, s57, v4
	s_delay_alu instid0(VALU_DEP_1) | instskip(NEXT) | instid1(VALU_DEP_1)
	v_and_b32_e32 v4, s58, v4
	v_lshl_or_b32 v4, v4, 4, v89
	ds_add_u32 v4, v15
	s_or_b32 exec_lo, exec_lo, s11
	s_delay_alu instid0(SALU_CYCLE_1)
	s_mov_b32 s11, exec_lo
	v_cmpx_gt_u32_e64 s10, v86
	s_cbranch_execz .LBB1553_62
.LBB1553_78:                            ;   in Loop: Header=BB1553_24 Depth=2
	v_bitop3_b16 v4, v6, 1, v6 bitop3:0xc
	s_delay_alu instid0(VALU_DEP_1) | instskip(NEXT) | instid1(VALU_DEP_1)
	v_and_b32_e32 v4, 0xffff, v4
	v_lshrrev_b32_e32 v4, s57, v4
	s_delay_alu instid0(VALU_DEP_1) | instskip(NEXT) | instid1(VALU_DEP_1)
	v_and_b32_e32 v4, s58, v4
	v_lshl_or_b32 v4, v4, 4, v89
	ds_add_u32 v4, v15
	s_or_b32 exec_lo, exec_lo, s11
	v_cmp_gt_u32_e32 vcc_lo, s10, v87
	s_and_saveexec_b32 s10, vcc_lo
	s_cbranch_execz .LBB1553_23
.LBB1553_79:                            ;   in Loop: Header=BB1553_24 Depth=2
	v_bitop3_b16 v4, v3, 1, v3 bitop3:0xc
	s_delay_alu instid0(VALU_DEP_1) | instskip(NEXT) | instid1(VALU_DEP_1)
	v_and_b32_e32 v4, 0xffff, v4
	v_lshrrev_b32_e32 v4, s57, v4
	s_delay_alu instid0(VALU_DEP_1) | instskip(NEXT) | instid1(VALU_DEP_1)
	v_and_b32_e32 v4, s58, v4
	v_lshl_or_b32 v4, v4, 4, v89
	ds_add_u32 v4, v15
	s_branch .LBB1553_23
.LBB1553_80:                            ;   in Loop: Header=BB1553_24 Depth=2
	global_load_u8 v40, v[4:5], off
	s_wait_xcnt 0x0
	s_or_b32 exec_lo, exec_lo, s10
	s_delay_alu instid0(SALU_CYCLE_1)
	s_mov_b32 s10, exec_lo
	v_cmpx_gt_u32_e64 s8, v72
	s_cbranch_execz .LBB1553_29
.LBB1553_81:                            ;   in Loop: Header=BB1553_24 Depth=2
	global_load_u8 v43, v[4:5], off offset:256
	s_wait_xcnt 0x0
	s_or_b32 exec_lo, exec_lo, s10
	s_delay_alu instid0(SALU_CYCLE_1)
	s_mov_b32 s10, exec_lo
	v_cmpx_gt_u32_e64 s8, v73
	s_cbranch_execz .LBB1553_30
.LBB1553_82:                            ;   in Loop: Header=BB1553_24 Depth=2
	global_load_u8 v42, v[4:5], off offset:512
	s_wait_xcnt 0x0
	s_or_b32 exec_lo, exec_lo, s10
	s_delay_alu instid0(SALU_CYCLE_1)
	s_mov_b32 s10, exec_lo
	v_cmpx_gt_u32_e64 s8, v74
	s_cbranch_execz .LBB1553_31
.LBB1553_83:                            ;   in Loop: Header=BB1553_24 Depth=2
	global_load_u8 v41, v[4:5], off offset:768
	s_wait_xcnt 0x0
	s_or_b32 exec_lo, exec_lo, s10
	s_delay_alu instid0(SALU_CYCLE_1)
	s_mov_b32 s10, exec_lo
	v_cmpx_gt_u32_e64 s8, v75
	s_cbranch_execz .LBB1553_32
.LBB1553_84:                            ;   in Loop: Header=BB1553_24 Depth=2
	global_load_u8 v39, v[4:5], off offset:1024
	s_wait_xcnt 0x0
	s_or_b32 exec_lo, exec_lo, s10
	s_delay_alu instid0(SALU_CYCLE_1)
	s_mov_b32 s10, exec_lo
	v_cmpx_gt_u32_e64 s8, v76
	s_cbranch_execz .LBB1553_33
.LBB1553_85:                            ;   in Loop: Header=BB1553_24 Depth=2
	global_load_u8 v38, v[4:5], off offset:1280
	s_wait_xcnt 0x0
	s_or_b32 exec_lo, exec_lo, s10
	s_delay_alu instid0(SALU_CYCLE_1)
	s_mov_b32 s10, exec_lo
	v_cmpx_gt_u32_e64 s8, v77
	s_cbranch_execz .LBB1553_34
.LBB1553_86:                            ;   in Loop: Header=BB1553_24 Depth=2
	global_load_u8 v37, v[4:5], off offset:1536
	s_wait_xcnt 0x0
	s_or_b32 exec_lo, exec_lo, s10
	s_delay_alu instid0(SALU_CYCLE_1)
	s_mov_b32 s10, exec_lo
	v_cmpx_gt_u32_e64 s8, v78
	s_cbranch_execz .LBB1553_35
.LBB1553_87:                            ;   in Loop: Header=BB1553_24 Depth=2
	global_load_u8 v36, v[4:5], off offset:1792
	s_wait_xcnt 0x0
	s_or_b32 exec_lo, exec_lo, s10
	s_delay_alu instid0(SALU_CYCLE_1)
	s_mov_b32 s10, exec_lo
	v_cmpx_gt_u32_e64 s8, v79
	s_cbranch_execz .LBB1553_36
.LBB1553_88:                            ;   in Loop: Header=BB1553_24 Depth=2
	global_load_u8 v35, v[4:5], off offset:2048
	s_wait_xcnt 0x0
	s_or_b32 exec_lo, exec_lo, s10
	s_delay_alu instid0(SALU_CYCLE_1)
	s_mov_b32 s10, exec_lo
	v_cmpx_gt_u32_e64 s8, v80
	s_cbranch_execz .LBB1553_37
.LBB1553_89:                            ;   in Loop: Header=BB1553_24 Depth=2
	global_load_u8 v34, v[4:5], off offset:2304
	s_wait_xcnt 0x0
	s_or_b32 exec_lo, exec_lo, s10
	s_delay_alu instid0(SALU_CYCLE_1)
	s_mov_b32 s10, exec_lo
	v_cmpx_gt_u32_e64 s8, v81
	s_cbranch_execz .LBB1553_38
.LBB1553_90:                            ;   in Loop: Header=BB1553_24 Depth=2
	global_load_u8 v33, v[4:5], off offset:2560
	s_wait_xcnt 0x0
	s_or_b32 exec_lo, exec_lo, s10
	s_delay_alu instid0(SALU_CYCLE_1)
	s_mov_b32 s10, exec_lo
	v_cmpx_gt_u32_e64 s8, v82
	s_cbranch_execz .LBB1553_39
.LBB1553_91:                            ;   in Loop: Header=BB1553_24 Depth=2
	global_load_u8 v32, v[4:5], off offset:2816
	s_wait_xcnt 0x0
	s_or_b32 exec_lo, exec_lo, s10
	s_delay_alu instid0(SALU_CYCLE_1)
	s_mov_b32 s10, exec_lo
	v_cmpx_gt_u32_e64 s8, v83
	s_cbranch_execz .LBB1553_40
.LBB1553_92:                            ;   in Loop: Header=BB1553_24 Depth=2
	global_load_u8 v31, v[4:5], off offset:3072
	s_wait_xcnt 0x0
	s_or_b32 exec_lo, exec_lo, s10
	s_delay_alu instid0(SALU_CYCLE_1)
	s_mov_b32 s10, exec_lo
	v_cmpx_gt_u32_e64 s8, v84
	s_cbranch_execz .LBB1553_41
.LBB1553_93:                            ;   in Loop: Header=BB1553_24 Depth=2
	global_load_u8 v8, v[4:5], off offset:3328
	s_wait_xcnt 0x0
	s_or_b32 exec_lo, exec_lo, s10
	s_delay_alu instid0(SALU_CYCLE_1)
	s_mov_b32 s10, exec_lo
	v_cmpx_gt_u32_e64 s8, v85
	s_cbranch_execz .LBB1553_42
.LBB1553_94:                            ;   in Loop: Header=BB1553_24 Depth=2
	global_load_u8 v7, v[4:5], off offset:3584
	s_wait_xcnt 0x0
	s_or_b32 exec_lo, exec_lo, s10
	s_delay_alu instid0(SALU_CYCLE_1)
	s_mov_b32 s10, exec_lo
	v_cmpx_gt_u32_e64 s8, v86
	s_cbranch_execz .LBB1553_43
.LBB1553_95:                            ;   in Loop: Header=BB1553_24 Depth=2
	global_load_u8 v6, v[4:5], off offset:3840
	s_wait_xcnt 0x0
	s_or_b32 exec_lo, exec_lo, s10
	s_delay_alu instid0(SALU_CYCLE_1)
	s_mov_b32 s10, exec_lo
	v_cmpx_gt_u32_e64 s8, v87
	s_cbranch_execnz .LBB1553_44
	s_branch .LBB1553_45
.LBB1553_96:                            ;   in Loop: Header=BB1553_20 Depth=1
	v_mov_b32_e32 v3, 0
	s_wait_dscnt 0x0
	s_barrier_signal -1
	s_barrier_wait -1
	s_and_saveexec_b32 s8, s0
	s_cbranch_execz .LBB1553_98
; %bb.97:                               ;   in Loop: Header=BB1553_20 Depth=1
	ds_load_2addr_b64 v[4:7], v90 offset1:1
	s_wait_dscnt 0x0
	v_add_nc_u32_e32 v3, v5, v4
	s_delay_alu instid0(VALU_DEP_1)
	v_add3_u32 v3, v3, v6, v7
.LBB1553_98:                            ;   in Loop: Header=BB1553_20 Depth=1
	s_or_b32 exec_lo, exec_lo, s8
	v_and_b32_e32 v4, 15, v30
	s_delay_alu instid0(VALU_DEP_2) | instskip(NEXT) | instid1(VALU_DEP_2)
	v_mov_b32_dpp v5, v3 row_shr:1 row_mask:0xf bank_mask:0xf
	v_cmp_eq_u32_e64 s8, 0, v4
	s_delay_alu instid0(VALU_DEP_1) | instskip(NEXT) | instid1(VALU_DEP_1)
	v_cndmask_b32_e64 v5, v5, 0, s8
	v_add_nc_u32_e32 v3, v5, v3
	v_cmp_lt_u32_e64 s9, 1, v4
	v_cmp_lt_u32_e64 s10, 3, v4
	;; [unrolled: 1-line block ×3, first 2 shown]
	s_delay_alu instid0(VALU_DEP_4) | instskip(NEXT) | instid1(VALU_DEP_1)
	v_mov_b32_dpp v5, v3 row_shr:2 row_mask:0xf bank_mask:0xf
	v_cndmask_b32_e64 v5, 0, v5, s9
	s_delay_alu instid0(VALU_DEP_1) | instskip(NEXT) | instid1(VALU_DEP_1)
	v_add_nc_u32_e32 v3, v3, v5
	v_mov_b32_dpp v5, v3 row_shr:4 row_mask:0xf bank_mask:0xf
	s_delay_alu instid0(VALU_DEP_1) | instskip(NEXT) | instid1(VALU_DEP_1)
	v_cndmask_b32_e64 v5, 0, v5, s10
	v_add_nc_u32_e32 v3, v3, v5
	s_delay_alu instid0(VALU_DEP_1) | instskip(NEXT) | instid1(VALU_DEP_1)
	v_mov_b32_dpp v5, v3 row_shr:8 row_mask:0xf bank_mask:0xf
	v_cndmask_b32_e64 v4, 0, v5, s11
	v_bfe_i32 v5, v30, 4, 1
	s_delay_alu instid0(VALU_DEP_2) | instskip(SKIP_3) | instid1(VALU_DEP_1)
	v_add_nc_u32_e32 v3, v3, v4
	ds_swizzle_b32 v4, v3 offset:swizzle(BROADCAST,32,15)
	s_wait_dscnt 0x0
	v_and_b32_e32 v4, v5, v4
	v_dual_add_nc_u32 v3, v3, v4 :: v_dual_bitop2_b32 v6, 16, v30 bitop3:0x40
	s_delay_alu instid0(VALU_DEP_1)
	v_cmp_eq_u32_e64 s12, 0, v6
	s_and_saveexec_b32 s13, s1
; %bb.99:                               ;   in Loop: Header=BB1553_20 Depth=1
	ds_store_b32 v91, v3
; %bb.100:                              ;   in Loop: Header=BB1553_20 Depth=1
	s_or_b32 exec_lo, exec_lo, s13
	s_wait_dscnt 0x0
	s_barrier_signal -1
	s_barrier_wait -1
	s_and_saveexec_b32 s13, s4
	s_cbranch_execz .LBB1553_102
; %bb.101:                              ;   in Loop: Header=BB1553_20 Depth=1
	ds_load_b32 v4, v92
	v_and_b32_e32 v5, 3, v30
	s_delay_alu instid0(VALU_DEP_1) | instskip(SKIP_2) | instid1(VALU_DEP_1)
	v_cmp_ne_u32_e32 vcc_lo, 0, v5
	s_wait_dscnt 0x0
	v_mov_b32_dpp v6, v4 row_shr:1 row_mask:0xf bank_mask:0xf
	v_cndmask_b32_e32 v6, 0, v6, vcc_lo
	s_delay_alu instid0(VALU_DEP_1) | instskip(SKIP_1) | instid1(VALU_DEP_2)
	v_add_nc_u32_e32 v4, v6, v4
	v_cmp_lt_u32_e32 vcc_lo, 1, v5
	v_mov_b32_dpp v6, v4 row_shr:2 row_mask:0xf bank_mask:0xf
	s_delay_alu instid0(VALU_DEP_1) | instskip(NEXT) | instid1(VALU_DEP_1)
	v_cndmask_b32_e32 v5, 0, v6, vcc_lo
	v_add_nc_u32_e32 v4, v4, v5
	ds_store_b32 v92, v4
.LBB1553_102:                           ;   in Loop: Header=BB1553_20 Depth=1
	s_or_b32 exec_lo, exec_lo, s13
	v_mov_b32_e32 v4, 0
	s_wait_dscnt 0x0
	s_barrier_signal -1
	s_barrier_wait -1
	s_and_saveexec_b32 s13, s5
; %bb.103:                              ;   in Loop: Header=BB1553_20 Depth=1
	ds_load_b32 v4, v93
; %bb.104:                              ;   in Loop: Header=BB1553_20 Depth=1
	s_or_b32 exec_lo, exec_lo, s13
	v_sub_co_u32 v5, s13, v30, 1
	s_wait_dscnt 0x0
	s_barrier_signal -1
	s_barrier_wait -1
	s_delay_alu instid0(VALU_DEP_1) | instskip(SKIP_1) | instid1(VALU_DEP_1)
	v_cmp_gt_i32_e32 vcc_lo, 0, v5
	v_dual_add_nc_u32 v3, v4, v3 :: v_dual_cndmask_b32 v5, v5, v30, vcc_lo
	v_lshlrev_b32_e32 v101, 2, v5
	ds_bpermute_b32 v3, v101, v3
	s_and_saveexec_b32 s14, s0
	s_cbranch_execz .LBB1553_106
; %bb.105:                              ;   in Loop: Header=BB1553_20 Depth=1
	s_wait_dscnt 0x0
	v_cndmask_b32_e64 v3, v3, v4, s13
	s_delay_alu instid0(VALU_DEP_1)
	v_add_nc_u32_e32 v3, s54, v3
	ds_store_b32 v9, v3
.LBB1553_106:                           ;   in Loop: Header=BB1553_20 Depth=1
	s_or_b32 exec_lo, exec_lo, s14
	s_clause 0x1
	s_load_b32 s14, s[52:53], 0x4
	s_load_b32 s17, s[52:53], 0xc
	s_wait_dscnt 0x0
	v_dual_mov_b32 v31, v2 :: v_dual_bitop2_b32 v3, 7, v30 bitop3:0x40
	v_dual_mov_b32 v5, v2 :: v_dual_lshlrev_b32 v4, 3, v30
	s_mov_b32 s59, s56
	s_delay_alu instid0(VALU_DEP_2) | instskip(NEXT) | instid1(VALU_DEP_3)
	v_cmp_lt_u32_e64 s16, 3, v3
	v_add_nc_u64_e32 v[34:35], v[16:17], v[30:31]
                                        ; implicit-def: $vgpr36_vgpr37
                                        ; implicit-def: $vgpr38_vgpr39
                                        ; implicit-def: $vgpr40_vgpr41
                                        ; implicit-def: $vgpr42_vgpr43
                                        ; implicit-def: $vgpr44_vgpr45
                                        ; implicit-def: $vgpr46_vgpr47
                                        ; implicit-def: $vgpr48_vgpr49
                                        ; implicit-def: $vgpr50_vgpr51
                                        ; implicit-def: $vgpr52_vgpr53
                                        ; implicit-def: $vgpr54_vgpr55
                                        ; implicit-def: $vgpr56_vgpr57
                                        ; implicit-def: $vgpr58_vgpr59
                                        ; implicit-def: $vgpr60_vgpr61
                                        ; implicit-def: $vgpr62_vgpr63
                                        ; implicit-def: $vgpr64_vgpr65
                                        ; implicit-def: $vgpr66_vgpr67
                                        ; implicit-def: $vgpr68_vgpr69
                                        ; implicit-def: $vgpr119
                                        ; implicit-def: $vgpr120
                                        ; implicit-def: $vgpr121
                                        ; implicit-def: $vgpr122
                                        ; implicit-def: $vgpr123
                                        ; implicit-def: $vgpr124
                                        ; implicit-def: $vgpr125
                                        ; implicit-def: $vgpr126
                                        ; implicit-def: $vgpr127
                                        ; implicit-def: $vgpr128
                                        ; implicit-def: $vgpr129
                                        ; implicit-def: $vgpr130
                                        ; implicit-def: $vgpr131
                                        ; implicit-def: $vgpr132
                                        ; implicit-def: $vgpr133
                                        ; implicit-def: $vgpr134
                                        ; implicit-def: $vgpr135
                                        ; implicit-def: $vgpr136
                                        ; implicit-def: $vgpr137
	s_delay_alu instid0(VALU_DEP_3)
	v_add_nc_u64_e32 v[32:33], v[0:1], v[4:5]
	s_wait_kmcnt 0x0
	s_cmp_lt_u32 s48, s14
	s_cselect_b32 s42, 14, 20
	s_and_b32 s17, s17, 0xffff
	s_add_nc_u64 s[14:15], s[52:53], s[42:43]
	s_mov_b32 s42, s54
	s_load_u16 s18, s[14:15], 0x0
	s_wait_xcnt 0x0
	v_cmp_eq_u32_e64 s14, 0, v3
	v_cmp_lt_u32_e64 s15, 1, v3
	s_wait_kmcnt 0x0
	v_mad_u32_u24 v3, v94, s18, v96
	s_delay_alu instid0(VALU_DEP_1) | instskip(NEXT) | instid1(VALU_DEP_1)
	v_mad_u32 v3, v3, s17, v10
	v_dual_lshrrev_b32 v3, 3, v3 :: v_dual_bitop2_b32 v102, v30, v14 bitop3:0x54
	s_delay_alu instid0(VALU_DEP_1)
	v_dual_add_nc_u32 v103, 32, v102 :: v_dual_add_nc_u32 v104, 64, v102
	v_add_nc_u32_e32 v105, 0x60, v102
	v_add_nc_u32_e32 v106, 0x80, v102
	;; [unrolled: 1-line block ×14, first 2 shown]
	v_and_b32_e32 v31, 0x1ffffffc, v3
	v_mov_b32_e32 v3, 0
	s_branch .LBB1553_108
.LBB1553_107:                           ;   in Loop: Header=BB1553_108 Depth=2
	s_or_b32 exec_lo, exec_lo, s17
	s_addk_co_i32 s59, 0xef00
	s_cmp_lt_u32 s60, s51
	s_mov_b32 s42, s60
	s_cbranch_scc0 .LBB1553_330
.LBB1553_108:                           ;   Parent Loop BB1553_20 Depth=1
                                        ; =>  This Inner Loop Header: Depth=2
	s_add_co_i32 s60, s42, 0x1100
	s_delay_alu instid0(SALU_CYCLE_1)
	s_cmp_gt_u32 s60, s51
	s_cbranch_scc1 .LBB1553_110
; %bb.109:                              ;   in Loop: Header=BB1553_108 Depth=2
	v_add_nc_u64_e32 v[4:5], s[42:43], v[34:35]
	v_and_b32_e32 v3, 0xff, v3
	s_mov_b32 s17, -1
	s_clause 0xf
	global_load_u8 v6, v[4:5], off offset:416
	global_load_u8 v7, v[4:5], off offset:480
	;; [unrolled: 1-line block ×14, first 2 shown]
	global_load_u8 v147, v[4:5], off
	global_load_u8 v4, v[4:5], off offset:96
	s_wait_loadcnt 0xc
	s_wait_xcnt 0x0
	v_perm_b32 v5, v70, v6, 0xc0c0004
	v_perm_b32 v6, v8, v7, 0xc0c0004
	s_wait_loadcnt 0x9
	v_perm_b32 v70, v139, v138, 0xc0c0004
	s_wait_loadcnt 0x8
	v_perm_b32 v8, v140, v71, 0xc0c0004
	v_lshl_or_b32 v7, v6, 16, v5
	s_wait_loadcnt 0x5
	v_perm_b32 v138, v143, v142, 0xc0c0004
	s_wait_loadcnt 0x4
	v_perm_b32 v71, v144, v141, 0xc0c0004
	v_lshl_or_b32 v6, v70, 16, v8
	v_and_b32_e32 v8, 0xffff, v3
	s_wait_loadcnt 0x1
	v_perm_b32 v139, v147, v145, 0xc0c0004
	s_wait_loadcnt 0x0
	v_perm_b32 v4, v146, v4, 0xc0c0004
	v_lshl_or_b32 v5, v138, 16, v71
	s_delay_alu instid0(VALU_DEP_2)
	v_lshl_or_b32 v4, v4, 16, v139
	s_movk_i32 s18, 0x1100
	s_cbranch_execz .LBB1553_111
	s_branch .LBB1553_129
.LBB1553_110:                           ;   in Loop: Header=BB1553_108 Depth=2
	s_mov_b32 s17, 0
                                        ; implicit-def: $vgpr4_vgpr5_vgpr6_vgpr7_vgpr8
	s_movk_i32 s18, 0x1100
.LBB1553_111:                           ;   in Loop: Header=BB1553_108 Depth=2
	v_dual_mov_b32 v5, v2 :: v_dual_mov_b32 v6, v2
	v_dual_mov_b32 v3, v2 :: v_dual_mov_b32 v4, v2
	v_add_nc_u64_e32 v[70:71], s[42:43], v[34:35]
	s_mov_b32 s17, exec_lo
	s_delay_alu instid0(VALU_DEP_3) | instskip(NEXT) | instid1(VALU_DEP_3)
	v_mov_b32_e32 v8, v6
	v_dual_mov_b32 v7, v5 :: v_dual_mov_b32 v6, v4
	v_mov_b32_e32 v5, v3
	v_mov_b32_e32 v4, v2
	v_cmpx_gt_u32_e64 s59, v102
	s_cbranch_execnz .LBB1553_315
; %bb.112:                              ;   in Loop: Header=BB1553_108 Depth=2
	s_or_b32 exec_lo, exec_lo, s17
	s_delay_alu instid0(SALU_CYCLE_1)
	s_mov_b32 s17, exec_lo
	v_cmpx_gt_u32_e64 s59, v103
	s_cbranch_execnz .LBB1553_316
.LBB1553_113:                           ;   in Loop: Header=BB1553_108 Depth=2
	s_or_b32 exec_lo, exec_lo, s17
	s_delay_alu instid0(SALU_CYCLE_1)
	s_mov_b32 s17, exec_lo
	v_cmpx_gt_u32_e64 s59, v104
	s_cbranch_execnz .LBB1553_317
.LBB1553_114:                           ;   in Loop: Header=BB1553_108 Depth=2
	s_or_b32 exec_lo, exec_lo, s17
	s_delay_alu instid0(SALU_CYCLE_1)
	s_mov_b32 s17, exec_lo
	v_cmpx_gt_u32_e64 s59, v105
	s_cbranch_execnz .LBB1553_318
.LBB1553_115:                           ;   in Loop: Header=BB1553_108 Depth=2
	s_or_b32 exec_lo, exec_lo, s17
	s_delay_alu instid0(SALU_CYCLE_1)
	s_mov_b32 s17, exec_lo
	v_cmpx_gt_u32_e64 s59, v106
	s_cbranch_execnz .LBB1553_319
.LBB1553_116:                           ;   in Loop: Header=BB1553_108 Depth=2
	s_or_b32 exec_lo, exec_lo, s17
	s_delay_alu instid0(SALU_CYCLE_1)
	s_mov_b32 s17, exec_lo
	v_cmpx_gt_u32_e64 s59, v107
	s_cbranch_execnz .LBB1553_320
.LBB1553_117:                           ;   in Loop: Header=BB1553_108 Depth=2
	s_or_b32 exec_lo, exec_lo, s17
	s_delay_alu instid0(SALU_CYCLE_1)
	s_mov_b32 s17, exec_lo
	v_cmpx_gt_u32_e64 s59, v108
	s_cbranch_execnz .LBB1553_321
.LBB1553_118:                           ;   in Loop: Header=BB1553_108 Depth=2
	s_or_b32 exec_lo, exec_lo, s17
	s_delay_alu instid0(SALU_CYCLE_1)
	s_mov_b32 s17, exec_lo
	v_cmpx_gt_u32_e64 s59, v109
	s_cbranch_execnz .LBB1553_322
.LBB1553_119:                           ;   in Loop: Header=BB1553_108 Depth=2
	s_or_b32 exec_lo, exec_lo, s17
	s_delay_alu instid0(SALU_CYCLE_1)
	s_mov_b32 s17, exec_lo
	v_cmpx_gt_u32_e64 s59, v110
	s_cbranch_execnz .LBB1553_323
.LBB1553_120:                           ;   in Loop: Header=BB1553_108 Depth=2
	s_or_b32 exec_lo, exec_lo, s17
	s_delay_alu instid0(SALU_CYCLE_1)
	s_mov_b32 s17, exec_lo
	v_cmpx_gt_u32_e64 s59, v111
	s_cbranch_execnz .LBB1553_324
.LBB1553_121:                           ;   in Loop: Header=BB1553_108 Depth=2
	s_or_b32 exec_lo, exec_lo, s17
	s_delay_alu instid0(SALU_CYCLE_1)
	s_mov_b32 s17, exec_lo
	v_cmpx_gt_u32_e64 s59, v112
	s_cbranch_execnz .LBB1553_325
.LBB1553_122:                           ;   in Loop: Header=BB1553_108 Depth=2
	s_or_b32 exec_lo, exec_lo, s17
	s_delay_alu instid0(SALU_CYCLE_1)
	s_mov_b32 s17, exec_lo
	v_cmpx_gt_u32_e64 s59, v113
	s_cbranch_execnz .LBB1553_326
.LBB1553_123:                           ;   in Loop: Header=BB1553_108 Depth=2
	s_or_b32 exec_lo, exec_lo, s17
	s_delay_alu instid0(SALU_CYCLE_1)
	s_mov_b32 s17, exec_lo
	v_cmpx_gt_u32_e64 s59, v114
	s_cbranch_execnz .LBB1553_327
.LBB1553_124:                           ;   in Loop: Header=BB1553_108 Depth=2
	s_or_b32 exec_lo, exec_lo, s17
	s_delay_alu instid0(SALU_CYCLE_1)
	s_mov_b32 s17, exec_lo
	v_cmpx_gt_u32_e64 s59, v115
	s_cbranch_execnz .LBB1553_328
.LBB1553_125:                           ;   in Loop: Header=BB1553_108 Depth=2
	s_or_b32 exec_lo, exec_lo, s17
	s_delay_alu instid0(SALU_CYCLE_1)
	s_mov_b32 s17, exec_lo
	v_cmpx_gt_u32_e64 s59, v116
	s_cbranch_execnz .LBB1553_329
.LBB1553_126:                           ;   in Loop: Header=BB1553_108 Depth=2
	s_or_b32 exec_lo, exec_lo, s17
	s_delay_alu instid0(SALU_CYCLE_1)
	s_mov_b32 s17, exec_lo
	v_cmpx_gt_u32_e64 s59, v117
	s_cbranch_execz .LBB1553_128
.LBB1553_127:                           ;   in Loop: Header=BB1553_108 Depth=2
	global_load_u8 v3, v[70:71], off offset:480
	v_and_b32_e32 v8, 0xff, v8
	s_wait_loadcnt 0x0
	v_perm_b32 v7, v7, v3, 0x60504
.LBB1553_128:                           ;   in Loop: Header=BB1553_108 Depth=2
	s_wait_xcnt 0x0
	s_or_b32 exec_lo, exec_lo, s17
	v_cmp_gt_u32_e64 s17, s59, v118
	s_sub_co_i32 s18, s51, s42
.LBB1553_129:                           ;   in Loop: Header=BB1553_108 Depth=2
	v_mov_b32_e32 v70, s59
	s_and_saveexec_b32 s19, s17
	s_cbranch_execz .LBB1553_131
; %bb.130:                              ;   in Loop: Header=BB1553_108 Depth=2
	v_add_nc_u64_e32 v[70:71], s[42:43], v[34:35]
	global_load_u8 v8, v[70:71], off offset:512
	s_wait_xcnt 0x0
	v_mov_b32_e32 v70, s18
.LBB1553_131:                           ;   in Loop: Header=BB1553_108 Depth=2
	s_or_b32 exec_lo, exec_lo, s19
	s_wait_loadcnt 0x0
	v_and_b32_e32 v140, 1, v4
	v_lshrrev_b16 v3, 8, v7
	v_lshrrev_b16 v138, 8, v5
	v_lshrrev_b16 v71, 8, v6
	v_lshrrev_b16 v139, 8, v4
	v_cmp_eq_u32_e32 vcc_lo, 1, v140
	v_and_b32_e32 v3, 1, v3
	v_and_b32_e32 v138, 1, v138
	ds_store_2addr_b32 v95, v2, v2 offset0:136 offset1:137
	ds_store_2addr_b32 v95, v2, v2 offset0:138 offset1:139
	ds_store_b32 v95, v2 offset:560
	v_and_b32_e32 v139, 1, v139
	s_xor_b32 s17, vcc_lo, -1
	v_cmp_eq_u32_e64 s19, 1, v3
	v_and_b32_e32 v3, 1, v8
	v_cndmask_b32_e64 v8, 0, 1, s17
	v_and_b32_e32 v71, 1, v71
	v_cmp_eq_u32_e64 s27, 1, v138
	v_and_b32_e32 v138, 0x10000, v7
	v_cmp_eq_u32_e32 vcc_lo, 1, v3
	v_lshrrev_b32_e32 v3, s57, v8
	v_cmp_eq_u32_e64 s31, 1, v139
	v_cmp_eq_u32_e64 s23, 1, v71
	v_cmp_ne_u32_e64 s18, 0, v138
	v_and_b32_e32 v71, 0x1000000, v7
	v_and_b32_e32 v138, s58, v3
	;; [unrolled: 1-line block ×4, first 2 shown]
	s_wait_dscnt 0x0
	v_cmp_ne_u32_e64 s17, 0, v71
	v_add_co_u32 v139, s21, v138, -1
	s_delay_alu instid0(VALU_DEP_1)
	v_cndmask_b32_e64 v140, 0, 1, s21
	v_cmp_eq_u32_e64 s20, 1, v7
	v_and_b32_e32 v7, 0x1000000, v6
	v_and_b32_e32 v71, 0x1000000, v5
	v_cmp_ne_u32_e64 s22, 0, v3
	v_cmp_ne_u32_e64 s26, 0, v140
	v_and_b32_e32 v6, 1, v6
	v_cmp_ne_u32_e64 s21, 0, v7
	v_and_b32_e32 v7, 0x1000000, v4
	v_and_b32_e32 v4, 0x10000, v4
	v_bitop3_b32 v3, s26, exec_lo, v139 bitop3:0x48
	v_cmp_ne_u32_e64 s25, 0, v71
	v_cmp_eq_u32_e64 s24, 1, v6
	v_and_b32_e32 v6, 0x10000, v5
	v_and_b32_e32 v5, 1, v5
	v_mbcnt_lo_u32_b32 v71, v3, 0
	v_cmp_ne_u32_e64 s30, 0, v4
	v_mul_u32_u24_e32 v4, 36, v138
	v_cmp_ne_u32_e64 s34, 0, v3
	v_cmp_ne_u32_e64 s26, 0, v6
	v_cmp_eq_u32_e64 s33, 0, v71
	v_cmp_eq_u32_e64 s28, 1, v5
	v_cmp_ne_u32_e64 s29, 0, v7
	v_add_nc_u32_e32 v141, v31, v4
	s_barrier_signal -1
	s_and_b32 s34, s34, s33
	s_barrier_wait -1
	; wave barrier
	s_and_saveexec_b32 s33, s34
; %bb.132:                              ;   in Loop: Header=BB1553_108 Depth=2
	v_bcnt_u32_b32 v3, v3, 0
	ds_store_b32 v141, v3 offset:544
; %bb.133:                              ;   in Loop: Header=BB1553_108 Depth=2
	s_or_b32 exec_lo, exec_lo, s33
	s_xor_b32 s31, s31, -1
	s_delay_alu instid0(SALU_CYCLE_1) | instskip(NEXT) | instid1(VALU_DEP_1)
	v_cndmask_b32_e64 v138, 0, 1, s31
	; wave barrier
	v_lshrrev_b32_e32 v3, s57, v138
	s_delay_alu instid0(VALU_DEP_1) | instskip(NEXT) | instid1(VALU_DEP_1)
	v_and_b32_e32 v4, s58, v3
	v_add_co_u32 v3, s31, v4, -1
	s_delay_alu instid0(VALU_DEP_1) | instskip(SKIP_2) | instid1(VALU_DEP_3)
	v_cndmask_b32_e64 v5, 0, 1, s31
	v_mad_u32_u24 v6, v4, 36, v31
	v_mul_u32_u24_e32 v4, 36, v4
	v_cmp_ne_u32_e64 s31, 0, v5
	ds_load_b32 v139, v6 offset:544
	v_add_nc_u32_e32 v144, v31, v4
	; wave barrier
	v_bitop3_b32 v3, s31, exec_lo, v3 bitop3:0x48
	s_delay_alu instid0(VALU_DEP_1) | instskip(SKIP_1) | instid1(VALU_DEP_2)
	v_mbcnt_lo_u32_b32 v140, v3, 0
	v_cmp_ne_u32_e64 s33, 0, v3
	v_cmp_eq_u32_e64 s31, 0, v140
	s_and_b32 s33, s33, s31
	s_delay_alu instid0(SALU_CYCLE_1)
	s_and_saveexec_b32 s31, s33
	s_cbranch_execz .LBB1553_135
; %bb.134:                              ;   in Loop: Header=BB1553_108 Depth=2
	s_wait_dscnt 0x0
	v_bcnt_u32_b32 v3, v3, v139
	ds_store_b32 v144, v3 offset:544
.LBB1553_135:                           ;   in Loop: Header=BB1553_108 Depth=2
	s_or_b32 exec_lo, exec_lo, s31
	s_xor_b32 s30, s30, -1
	s_delay_alu instid0(SALU_CYCLE_1) | instskip(NEXT) | instid1(VALU_DEP_1)
	v_cndmask_b32_e64 v153, 0, 1, s30
	; wave barrier
	v_lshrrev_b32_e32 v3, s57, v153
	s_delay_alu instid0(VALU_DEP_1) | instskip(NEXT) | instid1(VALU_DEP_1)
	v_and_b32_e32 v4, s58, v3
	v_add_co_u32 v3, s30, v4, -1
	s_delay_alu instid0(VALU_DEP_1) | instskip(SKIP_2) | instid1(VALU_DEP_3)
	v_cndmask_b32_e64 v5, 0, 1, s30
	v_mad_u32_u24 v6, v4, 36, v31
	v_mul_u32_u24_e32 v4, 36, v4
	v_cmp_ne_u32_e64 s30, 0, v5
	ds_load_b32 v142, v6 offset:544
	v_add_nc_u32_e32 v147, v31, v4
	; wave barrier
	v_bitop3_b32 v3, s30, exec_lo, v3 bitop3:0x48
	s_delay_alu instid0(VALU_DEP_1) | instskip(SKIP_1) | instid1(VALU_DEP_2)
	v_mbcnt_lo_u32_b32 v143, v3, 0
	v_cmp_ne_u32_e64 s31, 0, v3
	v_cmp_eq_u32_e64 s30, 0, v143
	s_and_b32 s31, s31, s30
	s_delay_alu instid0(SALU_CYCLE_1)
	s_and_saveexec_b32 s30, s31
	s_cbranch_execz .LBB1553_137
; %bb.136:                              ;   in Loop: Header=BB1553_108 Depth=2
	s_wait_dscnt 0x0
	v_bcnt_u32_b32 v3, v3, v142
	ds_store_b32 v147, v3 offset:544
.LBB1553_137:                           ;   in Loop: Header=BB1553_108 Depth=2
	;; [unrolled: 31-line block ×15, first 2 shown]
	s_or_b32 exec_lo, exec_lo, s17
	s_xor_b32 s17, vcc_lo, -1
	s_delay_alu instid0(SALU_CYCLE_1) | instskip(NEXT) | instid1(VALU_DEP_1)
	v_cndmask_b32_e64 v3, 0, 1, s17
	; wave barrier
	v_lshrrev_b32_e32 v4, s57, v3
	s_delay_alu instid0(VALU_DEP_1) | instskip(NEXT) | instid1(VALU_DEP_1)
	v_and_b32_e32 v5, s58, v4
	v_add_co_u32 v4, s17, v5, -1
	s_delay_alu instid0(VALU_DEP_1) | instskip(SKIP_2) | instid1(VALU_DEP_3)
	v_cndmask_b32_e64 v6, 0, 1, s17
	v_mad_u32_u24 v7, v5, 36, v31
	v_mul_u32_u24_e32 v5, 36, v5
	v_cmp_ne_u32_e32 vcc_lo, 0, v6
	ds_load_b32 v198, v7 offset:544
	v_add_nc_u32_e32 v201, v31, v5
	; wave barrier
	v_bitop3_b32 v4, vcc_lo, exec_lo, v4 bitop3:0x48
	s_delay_alu instid0(VALU_DEP_1) | instskip(SKIP_1) | instid1(VALU_DEP_2)
	v_mbcnt_lo_u32_b32 v199, v4, 0
	v_cmp_ne_u32_e64 s17, 0, v4
	v_cmp_eq_u32_e32 vcc_lo, 0, v199
	s_and_b32 s18, s17, vcc_lo
	s_delay_alu instid0(SALU_CYCLE_1)
	s_and_saveexec_b32 s17, s18
	s_cbranch_execz .LBB1553_165
; %bb.164:                              ;   in Loop: Header=BB1553_108 Depth=2
	s_wait_dscnt 0x0
	v_bcnt_u32_b32 v4, v4, v198
	ds_store_b32 v201, v4 offset:544
.LBB1553_165:                           ;   in Loop: Header=BB1553_108 Depth=2
	s_or_b32 exec_lo, exec_lo, s17
	; wave barrier
	s_wait_dscnt 0x0
	s_barrier_signal -1
	s_barrier_wait -1
	ds_load_2addr_b32 v[6:7], v95 offset0:136 offset1:137
	ds_load_2addr_b32 v[4:5], v95 offset0:138 offset1:139
	ds_load_b32 v202, v95 offset:560
	s_wait_dscnt 0x1
	v_add3_u32 v203, v7, v6, v4
	s_wait_dscnt 0x0
	s_delay_alu instid0(VALU_DEP_1) | instskip(NEXT) | instid1(VALU_DEP_1)
	v_add3_u32 v202, v203, v5, v202
	v_mov_b32_dpp v203, v202 row_shr:1 row_mask:0xf bank_mask:0xf
	s_delay_alu instid0(VALU_DEP_1) | instskip(NEXT) | instid1(VALU_DEP_1)
	v_cndmask_b32_e64 v203, v203, 0, s8
	v_add_nc_u32_e32 v202, v203, v202
	s_delay_alu instid0(VALU_DEP_1) | instskip(NEXT) | instid1(VALU_DEP_1)
	v_mov_b32_dpp v203, v202 row_shr:2 row_mask:0xf bank_mask:0xf
	v_cndmask_b32_e64 v203, 0, v203, s9
	s_delay_alu instid0(VALU_DEP_1) | instskip(NEXT) | instid1(VALU_DEP_1)
	v_add_nc_u32_e32 v202, v202, v203
	v_mov_b32_dpp v203, v202 row_shr:4 row_mask:0xf bank_mask:0xf
	s_delay_alu instid0(VALU_DEP_1) | instskip(NEXT) | instid1(VALU_DEP_1)
	v_cndmask_b32_e64 v203, 0, v203, s10
	v_add_nc_u32_e32 v202, v202, v203
	s_delay_alu instid0(VALU_DEP_1) | instskip(NEXT) | instid1(VALU_DEP_1)
	v_mov_b32_dpp v203, v202 row_shr:8 row_mask:0xf bank_mask:0xf
	v_cndmask_b32_e64 v203, 0, v203, s11
	s_delay_alu instid0(VALU_DEP_1) | instskip(SKIP_3) | instid1(VALU_DEP_1)
	v_add_nc_u32_e32 v202, v202, v203
	ds_swizzle_b32 v203, v202 offset:swizzle(BROADCAST,32,15)
	s_wait_dscnt 0x0
	v_cndmask_b32_e64 v203, v203, 0, s12
	v_add_nc_u32_e32 v202, v202, v203
	s_and_saveexec_b32 s17, s2
; %bb.166:                              ;   in Loop: Header=BB1553_108 Depth=2
	ds_store_b32 v88, v202 offset:512
; %bb.167:                              ;   in Loop: Header=BB1553_108 Depth=2
	s_or_b32 exec_lo, exec_lo, s17
	s_wait_dscnt 0x0
	s_barrier_signal -1
	s_barrier_wait -1
	s_and_saveexec_b32 s17, s3
	s_cbranch_execz .LBB1553_169
; %bb.168:                              ;   in Loop: Header=BB1553_108 Depth=2
	ds_load_b32 v203, v97 offset:512
	s_wait_dscnt 0x0
	v_mov_b32_dpp v204, v203 row_shr:1 row_mask:0xf bank_mask:0xf
	s_delay_alu instid0(VALU_DEP_1) | instskip(NEXT) | instid1(VALU_DEP_1)
	v_cndmask_b32_e64 v204, v204, 0, s14
	v_add_nc_u32_e32 v203, v204, v203
	s_delay_alu instid0(VALU_DEP_1) | instskip(NEXT) | instid1(VALU_DEP_1)
	v_mov_b32_dpp v204, v203 row_shr:2 row_mask:0xf bank_mask:0xf
	v_cndmask_b32_e64 v204, 0, v204, s15
	s_delay_alu instid0(VALU_DEP_1) | instskip(NEXT) | instid1(VALU_DEP_1)
	v_add_nc_u32_e32 v203, v203, v204
	v_mov_b32_dpp v204, v203 row_shr:4 row_mask:0xf bank_mask:0xf
	s_delay_alu instid0(VALU_DEP_1) | instskip(NEXT) | instid1(VALU_DEP_1)
	v_cndmask_b32_e64 v204, 0, v204, s16
	v_add_nc_u32_e32 v203, v203, v204
	ds_store_b32 v97, v203 offset:512
.LBB1553_169:                           ;   in Loop: Header=BB1553_108 Depth=2
	s_or_b32 exec_lo, exec_lo, s17
	v_mov_b32_e32 v203, 0
	s_wait_dscnt 0x0
	s_barrier_signal -1
	s_barrier_wait -1
	s_and_saveexec_b32 s17, s5
; %bb.170:                              ;   in Loop: Header=BB1553_108 Depth=2
	ds_load_b32 v203, v88 offset:508
; %bb.171:                              ;   in Loop: Header=BB1553_108 Depth=2
	s_or_b32 exec_lo, exec_lo, s17
	s_wait_dscnt 0x0
	v_add_nc_u32_e32 v202, v203, v202
	ds_bpermute_b32 v202, v101, v202
	s_wait_dscnt 0x0
	v_cndmask_b32_e64 v202, v202, v203, s13
	s_delay_alu instid0(VALU_DEP_1) | instskip(NEXT) | instid1(VALU_DEP_1)
	v_cndmask_b32_e64 v202, v202, 0, s6
	v_add_nc_u32_e32 v6, v202, v6
	s_delay_alu instid0(VALU_DEP_1) | instskip(NEXT) | instid1(VALU_DEP_1)
	v_add_nc_u32_e32 v7, v6, v7
	v_add_nc_u32_e32 v4, v7, v4
	s_delay_alu instid0(VALU_DEP_1)
	v_add_nc_u32_e32 v5, v4, v5
	ds_store_2addr_b32 v95, v202, v6 offset0:136 offset1:137
	ds_store_2addr_b32 v95, v7, v4 offset0:138 offset1:139
	ds_store_b32 v95, v5 offset:560
	s_wait_dscnt 0x0
	s_barrier_signal -1
	s_barrier_wait -1
	ds_load_b32 v4, v141 offset:544
	ds_load_b32 v5, v144 offset:544
	;; [unrolled: 1-line block ×17, first 2 shown]
	s_and_saveexec_b32 s17, s0
	s_cbranch_execz .LBB1553_175
; %bb.172:                              ;   in Loop: Header=BB1553_108 Depth=2
	v_dual_mov_b32 v137, 0x1100 :: v_dual_add_nc_u32 v136, v97, v99
	ds_load_b32 v136, v136 offset:544
	s_and_saveexec_b32 s18, s7
; %bb.173:                              ;   in Loop: Header=BB1553_108 Depth=2
	ds_load_b32 v137, v98 offset:544
; %bb.174:                              ;   in Loop: Header=BB1553_108 Depth=2
	s_or_b32 exec_lo, exec_lo, s18
	s_wait_dscnt 0x0
	v_sub_nc_u32_e32 v137, v137, v136
.LBB1553_175:                           ;   in Loop: Header=BB1553_108 Depth=2
	s_or_b32 exec_lo, exec_lo, s17
	s_wait_dscnt 0x0
	s_barrier_signal -1
	s_barrier_wait -1
	s_and_saveexec_b32 s17, s0
	s_cbranch_execz .LBB1553_177
; %bb.176:                              ;   in Loop: Header=BB1553_108 Depth=2
	ds_load_b32 v147, v9
	s_wait_dscnt 0x0
	v_sub_nc_u32_e32 v147, v147, v136
	ds_store_b32 v9, v147
.LBB1553_177:                           ;   in Loop: Header=BB1553_108 Depth=2
	s_or_b32 exec_lo, exec_lo, s17
	v_add_nc_u32_e32 v152, v4, v71
	v_add3_u32 v151, v140, v139, v5
	v_add3_u32 v150, v143, v142, v6
	;; [unrolled: 1-line block ×16, first 2 shown]
	v_cmp_lt_u32_e32 vcc_lo, v10, v70
	ds_store_b8 v152, v8 offset:512
	ds_store_b8 v151, v138 offset:512
	;; [unrolled: 1-line block ×17, first 2 shown]
	s_wait_dscnt 0x0
	s_barrier_signal -1
	s_barrier_wait -1
	s_and_saveexec_b32 s17, vcc_lo
	s_cbranch_execnz .LBB1553_250
; %bb.178:                              ;   in Loop: Header=BB1553_108 Depth=2
	s_or_b32 exec_lo, exec_lo, s17
	v_cmp_lt_u32_e64 s17, v72, v70
	s_and_saveexec_b32 s18, s17
	s_cbranch_execnz .LBB1553_251
.LBB1553_179:                           ;   in Loop: Header=BB1553_108 Depth=2
	s_or_b32 exec_lo, exec_lo, s18
	v_cmp_lt_u32_e64 s18, v73, v70
	s_and_saveexec_b32 s19, s18
	s_cbranch_execnz .LBB1553_252
.LBB1553_180:                           ;   in Loop: Header=BB1553_108 Depth=2
	s_or_b32 exec_lo, exec_lo, s19
	v_cmp_lt_u32_e64 s19, v74, v70
	s_and_saveexec_b32 s20, s19
	s_cbranch_execnz .LBB1553_253
.LBB1553_181:                           ;   in Loop: Header=BB1553_108 Depth=2
	s_or_b32 exec_lo, exec_lo, s20
	v_cmp_lt_u32_e64 s20, v75, v70
	s_and_saveexec_b32 s21, s20
	s_cbranch_execnz .LBB1553_254
.LBB1553_182:                           ;   in Loop: Header=BB1553_108 Depth=2
	s_or_b32 exec_lo, exec_lo, s21
	v_cmp_lt_u32_e64 s21, v76, v70
	s_and_saveexec_b32 s22, s21
	s_cbranch_execnz .LBB1553_255
.LBB1553_183:                           ;   in Loop: Header=BB1553_108 Depth=2
	s_or_b32 exec_lo, exec_lo, s22
	v_cmp_lt_u32_e64 s22, v77, v70
	s_and_saveexec_b32 s23, s22
	s_cbranch_execnz .LBB1553_256
.LBB1553_184:                           ;   in Loop: Header=BB1553_108 Depth=2
	s_or_b32 exec_lo, exec_lo, s23
	v_cmp_lt_u32_e64 s23, v78, v70
	s_and_saveexec_b32 s24, s23
	s_cbranch_execnz .LBB1553_257
.LBB1553_185:                           ;   in Loop: Header=BB1553_108 Depth=2
	s_or_b32 exec_lo, exec_lo, s24
	v_cmp_lt_u32_e64 s24, v79, v70
	s_and_saveexec_b32 s25, s24
	s_cbranch_execnz .LBB1553_258
.LBB1553_186:                           ;   in Loop: Header=BB1553_108 Depth=2
	s_or_b32 exec_lo, exec_lo, s25
	v_cmp_lt_u32_e64 s25, v80, v70
	s_and_saveexec_b32 s26, s25
	s_cbranch_execnz .LBB1553_259
.LBB1553_187:                           ;   in Loop: Header=BB1553_108 Depth=2
	s_or_b32 exec_lo, exec_lo, s26
	v_cmp_lt_u32_e64 s26, v81, v70
	s_and_saveexec_b32 s27, s26
	s_cbranch_execnz .LBB1553_260
.LBB1553_188:                           ;   in Loop: Header=BB1553_108 Depth=2
	s_or_b32 exec_lo, exec_lo, s27
	v_cmp_lt_u32_e64 s27, v82, v70
	s_and_saveexec_b32 s28, s27
	s_cbranch_execnz .LBB1553_261
.LBB1553_189:                           ;   in Loop: Header=BB1553_108 Depth=2
	s_or_b32 exec_lo, exec_lo, s28
	v_cmp_lt_u32_e64 s28, v83, v70
	s_and_saveexec_b32 s29, s28
	s_cbranch_execnz .LBB1553_262
.LBB1553_190:                           ;   in Loop: Header=BB1553_108 Depth=2
	s_or_b32 exec_lo, exec_lo, s29
	v_cmp_lt_u32_e64 s29, v84, v70
	s_and_saveexec_b32 s30, s29
	s_cbranch_execnz .LBB1553_263
.LBB1553_191:                           ;   in Loop: Header=BB1553_108 Depth=2
	s_or_b32 exec_lo, exec_lo, s30
	v_cmp_lt_u32_e64 s30, v85, v70
	s_and_saveexec_b32 s31, s30
	s_cbranch_execnz .LBB1553_264
.LBB1553_192:                           ;   in Loop: Header=BB1553_108 Depth=2
	s_or_b32 exec_lo, exec_lo, s31
	v_cmp_lt_u32_e64 s31, v86, v70
	s_and_saveexec_b32 s33, s31
	s_cbranch_execnz .LBB1553_265
.LBB1553_193:                           ;   in Loop: Header=BB1553_108 Depth=2
	s_or_b32 exec_lo, exec_lo, s33
	v_cmp_lt_u32_e64 s33, v87, v70
	s_and_saveexec_b32 s34, s33
	s_cbranch_execz .LBB1553_195
.LBB1553_194:                           ;   in Loop: Header=BB1553_108 Depth=2
	ds_load_u8 v4, v10 offset:4608
	s_wait_dscnt 0x0
	v_and_b32_e32 v5, 1, v4
	s_delay_alu instid0(VALU_DEP_1) | instskip(NEXT) | instid1(VALU_DEP_1)
	v_dual_lshrrev_b32 v5, s57, v5 :: v_dual_bitop2_b32 v4, 1, v4 bitop3:0x14
	v_and_b32_e32 v5, s58, v5
	s_delay_alu instid0(VALU_DEP_1)
	v_lshlrev_b32_e32 v5, 2, v5
	ds_load_b32 v5, v5
	s_wait_dscnt 0x0
	v_add_nc_u32_e32 v5, v5, v87
	global_store_b8 v5, v4, s[38:39]
.LBB1553_195:                           ;   in Loop: Header=BB1553_108 Depth=2
	s_wait_xcnt 0x0
	s_or_b32 exec_lo, exec_lo, s34
	v_lshl_add_u64 v[4:5], s[42:43], 3, v[32:33]
	v_cmp_lt_u32_e64 s34, v102, v70
	s_and_saveexec_b32 s42, s34
	s_delay_alu instid0(SALU_CYCLE_1)
	s_xor_b32 s34, exec_lo, s42
	s_cbranch_execnz .LBB1553_266
; %bb.196:                              ;   in Loop: Header=BB1553_108 Depth=2
	s_or_b32 exec_lo, exec_lo, s34
	s_delay_alu instid0(SALU_CYCLE_1)
	s_mov_b32 s42, exec_lo
	v_cmpx_lt_u32_e64 v103, v70
	s_cbranch_execnz .LBB1553_267
.LBB1553_197:                           ;   in Loop: Header=BB1553_108 Depth=2
	s_or_b32 exec_lo, exec_lo, s42
	s_delay_alu instid0(SALU_CYCLE_1)
	s_mov_b32 s42, exec_lo
	v_cmpx_lt_u32_e64 v104, v70
	s_cbranch_execnz .LBB1553_268
.LBB1553_198:                           ;   in Loop: Header=BB1553_108 Depth=2
	s_or_b32 exec_lo, exec_lo, s42
	s_delay_alu instid0(SALU_CYCLE_1)
	s_mov_b32 s42, exec_lo
	v_cmpx_lt_u32_e64 v105, v70
	s_cbranch_execnz .LBB1553_269
.LBB1553_199:                           ;   in Loop: Header=BB1553_108 Depth=2
	s_or_b32 exec_lo, exec_lo, s42
	s_delay_alu instid0(SALU_CYCLE_1)
	s_mov_b32 s42, exec_lo
	v_cmpx_lt_u32_e64 v106, v70
	s_cbranch_execnz .LBB1553_270
.LBB1553_200:                           ;   in Loop: Header=BB1553_108 Depth=2
	s_or_b32 exec_lo, exec_lo, s42
	s_delay_alu instid0(SALU_CYCLE_1)
	s_mov_b32 s42, exec_lo
	v_cmpx_lt_u32_e64 v107, v70
	s_cbranch_execnz .LBB1553_271
.LBB1553_201:                           ;   in Loop: Header=BB1553_108 Depth=2
	s_or_b32 exec_lo, exec_lo, s42
	s_delay_alu instid0(SALU_CYCLE_1)
	s_mov_b32 s42, exec_lo
	v_cmpx_lt_u32_e64 v108, v70
	s_cbranch_execnz .LBB1553_272
.LBB1553_202:                           ;   in Loop: Header=BB1553_108 Depth=2
	s_or_b32 exec_lo, exec_lo, s42
	s_delay_alu instid0(SALU_CYCLE_1)
	s_mov_b32 s42, exec_lo
	v_cmpx_lt_u32_e64 v109, v70
	s_cbranch_execnz .LBB1553_273
.LBB1553_203:                           ;   in Loop: Header=BB1553_108 Depth=2
	s_or_b32 exec_lo, exec_lo, s42
	s_delay_alu instid0(SALU_CYCLE_1)
	s_mov_b32 s42, exec_lo
	v_cmpx_lt_u32_e64 v110, v70
	s_cbranch_execnz .LBB1553_274
.LBB1553_204:                           ;   in Loop: Header=BB1553_108 Depth=2
	s_or_b32 exec_lo, exec_lo, s42
	s_delay_alu instid0(SALU_CYCLE_1)
	s_mov_b32 s42, exec_lo
	v_cmpx_lt_u32_e64 v111, v70
	s_cbranch_execnz .LBB1553_275
.LBB1553_205:                           ;   in Loop: Header=BB1553_108 Depth=2
	s_or_b32 exec_lo, exec_lo, s42
	s_delay_alu instid0(SALU_CYCLE_1)
	s_mov_b32 s42, exec_lo
	v_cmpx_lt_u32_e64 v112, v70
	s_cbranch_execnz .LBB1553_276
.LBB1553_206:                           ;   in Loop: Header=BB1553_108 Depth=2
	s_or_b32 exec_lo, exec_lo, s42
	s_delay_alu instid0(SALU_CYCLE_1)
	s_mov_b32 s42, exec_lo
	v_cmpx_lt_u32_e64 v113, v70
	s_cbranch_execnz .LBB1553_277
.LBB1553_207:                           ;   in Loop: Header=BB1553_108 Depth=2
	s_or_b32 exec_lo, exec_lo, s42
	s_delay_alu instid0(SALU_CYCLE_1)
	s_mov_b32 s42, exec_lo
	v_cmpx_lt_u32_e64 v114, v70
	s_cbranch_execnz .LBB1553_278
.LBB1553_208:                           ;   in Loop: Header=BB1553_108 Depth=2
	s_or_b32 exec_lo, exec_lo, s42
	s_delay_alu instid0(SALU_CYCLE_1)
	s_mov_b32 s42, exec_lo
	v_cmpx_lt_u32_e64 v115, v70
	s_cbranch_execnz .LBB1553_279
.LBB1553_209:                           ;   in Loop: Header=BB1553_108 Depth=2
	s_or_b32 exec_lo, exec_lo, s42
	s_delay_alu instid0(SALU_CYCLE_1)
	s_mov_b32 s42, exec_lo
	v_cmpx_lt_u32_e64 v116, v70
	s_cbranch_execnz .LBB1553_280
.LBB1553_210:                           ;   in Loop: Header=BB1553_108 Depth=2
	s_or_b32 exec_lo, exec_lo, s42
	s_delay_alu instid0(SALU_CYCLE_1)
	s_mov_b32 s42, exec_lo
	v_cmpx_lt_u32_e64 v117, v70
	s_cbranch_execnz .LBB1553_281
.LBB1553_211:                           ;   in Loop: Header=BB1553_108 Depth=2
	s_or_b32 exec_lo, exec_lo, s42
	s_delay_alu instid0(SALU_CYCLE_1)
	s_mov_b32 s42, exec_lo
	v_cmpx_lt_u32_e64 v118, v70
	s_cbranch_execnz .LBB1553_282
.LBB1553_212:                           ;   in Loop: Header=BB1553_108 Depth=2
	s_or_b32 exec_lo, exec_lo, s42
	s_and_saveexec_b32 s34, vcc_lo
	s_cbranch_execnz .LBB1553_283
.LBB1553_213:                           ;   in Loop: Header=BB1553_108 Depth=2
	s_or_b32 exec_lo, exec_lo, s34
	s_and_saveexec_b32 s34, s17
	s_cbranch_execnz .LBB1553_284
.LBB1553_214:                           ;   in Loop: Header=BB1553_108 Depth=2
	s_or_b32 exec_lo, exec_lo, s34
	s_and_saveexec_b32 s34, s18
	s_cbranch_execnz .LBB1553_285
.LBB1553_215:                           ;   in Loop: Header=BB1553_108 Depth=2
	s_or_b32 exec_lo, exec_lo, s34
	s_and_saveexec_b32 s34, s19
	s_cbranch_execnz .LBB1553_286
.LBB1553_216:                           ;   in Loop: Header=BB1553_108 Depth=2
	s_or_b32 exec_lo, exec_lo, s34
	s_and_saveexec_b32 s34, s20
	s_cbranch_execnz .LBB1553_287
.LBB1553_217:                           ;   in Loop: Header=BB1553_108 Depth=2
	s_or_b32 exec_lo, exec_lo, s34
	s_and_saveexec_b32 s34, s21
	s_cbranch_execnz .LBB1553_288
.LBB1553_218:                           ;   in Loop: Header=BB1553_108 Depth=2
	s_or_b32 exec_lo, exec_lo, s34
	s_and_saveexec_b32 s34, s22
	s_cbranch_execnz .LBB1553_289
.LBB1553_219:                           ;   in Loop: Header=BB1553_108 Depth=2
	s_or_b32 exec_lo, exec_lo, s34
	s_and_saveexec_b32 s34, s23
	s_cbranch_execnz .LBB1553_290
.LBB1553_220:                           ;   in Loop: Header=BB1553_108 Depth=2
	s_or_b32 exec_lo, exec_lo, s34
	s_and_saveexec_b32 s34, s24
	s_cbranch_execnz .LBB1553_291
.LBB1553_221:                           ;   in Loop: Header=BB1553_108 Depth=2
	s_or_b32 exec_lo, exec_lo, s34
	s_and_saveexec_b32 s34, s25
	s_cbranch_execnz .LBB1553_292
.LBB1553_222:                           ;   in Loop: Header=BB1553_108 Depth=2
	s_or_b32 exec_lo, exec_lo, s34
	s_and_saveexec_b32 s34, s26
	s_cbranch_execnz .LBB1553_293
.LBB1553_223:                           ;   in Loop: Header=BB1553_108 Depth=2
	s_or_b32 exec_lo, exec_lo, s34
	s_and_saveexec_b32 s34, s27
	s_cbranch_execnz .LBB1553_294
.LBB1553_224:                           ;   in Loop: Header=BB1553_108 Depth=2
	s_or_b32 exec_lo, exec_lo, s34
	s_and_saveexec_b32 s34, s28
	s_cbranch_execnz .LBB1553_295
.LBB1553_225:                           ;   in Loop: Header=BB1553_108 Depth=2
	s_or_b32 exec_lo, exec_lo, s34
	s_and_saveexec_b32 s34, s29
	s_cbranch_execnz .LBB1553_296
.LBB1553_226:                           ;   in Loop: Header=BB1553_108 Depth=2
	s_or_b32 exec_lo, exec_lo, s34
	s_and_saveexec_b32 s34, s30
	s_cbranch_execnz .LBB1553_297
.LBB1553_227:                           ;   in Loop: Header=BB1553_108 Depth=2
	s_or_b32 exec_lo, exec_lo, s34
	s_and_saveexec_b32 s34, s31
	s_cbranch_execnz .LBB1553_298
.LBB1553_228:                           ;   in Loop: Header=BB1553_108 Depth=2
	s_or_b32 exec_lo, exec_lo, s34
	s_and_saveexec_b32 s34, s33
	s_cbranch_execz .LBB1553_230
.LBB1553_229:                           ;   in Loop: Header=BB1553_108 Depth=2
	ds_load_u8 v4, v10 offset:4608
	s_wait_dscnt 0x0
	v_lshrrev_b32_e32 v4, s57, v4
	s_delay_alu instid0(VALU_DEP_1)
	v_and_b32_e32 v119, s58, v4
.LBB1553_230:                           ;   in Loop: Header=BB1553_108 Depth=2
	s_or_b32 exec_lo, exec_lo, s34
	v_dual_lshlrev_b32 v4, 3, v152 :: v_dual_lshlrev_b32 v5, 3, v151
	s_wait_loadcnt 0x0
	s_wait_storecnt 0x0
	s_barrier_signal -1
	s_barrier_wait -1
	ds_store_b64 v4, v[68:69] offset:512
	ds_store_b64 v5, v[66:67] offset:512
	v_dual_lshlrev_b32 v4, 3, v150 :: v_dual_lshlrev_b32 v5, 3, v149
	v_dual_lshlrev_b32 v8, 3, v148 :: v_dual_lshlrev_b32 v70, 3, v147
	v_lshlrev_b32_e32 v138, 3, v146
	ds_store_b64 v4, v[64:65] offset:512
	ds_store_b64 v5, v[62:63] offset:512
	ds_store_b64 v8, v[60:61] offset:512
	ds_store_b64 v70, v[58:59] offset:512
	ds_store_b64 v138, v[56:57] offset:512
	v_dual_lshlrev_b32 v4, 3, v145 :: v_dual_lshlrev_b32 v5, 3, v144
	v_dual_lshlrev_b32 v8, 3, v143 :: v_dual_lshlrev_b32 v70, 3, v142
	v_lshlrev_b32_e32 v138, 3, v141
	ds_store_b64 v4, v[54:55] offset:512
	ds_store_b64 v5, v[52:53] offset:512
	ds_store_b64 v8, v[50:51] offset:512
	;; [unrolled: 8-line block ×3, first 2 shown]
	ds_store_b64 v7, v[38:39] offset:512
	ds_store_b64 v6, v[36:37] offset:512
	s_wait_dscnt 0x0
	s_barrier_signal -1
	s_barrier_wait -1
	s_and_saveexec_b32 s34, vcc_lo
	s_cbranch_execnz .LBB1553_299
; %bb.231:                              ;   in Loop: Header=BB1553_108 Depth=2
	s_or_b32 exec_lo, exec_lo, s34
	s_and_saveexec_b32 s34, s17
	s_cbranch_execnz .LBB1553_300
.LBB1553_232:                           ;   in Loop: Header=BB1553_108 Depth=2
	s_or_b32 exec_lo, exec_lo, s34
	s_and_saveexec_b32 s17, s18
	s_cbranch_execnz .LBB1553_301
.LBB1553_233:                           ;   in Loop: Header=BB1553_108 Depth=2
	s_or_b32 exec_lo, exec_lo, s17
	s_and_saveexec_b32 s17, s19
	s_cbranch_execnz .LBB1553_302
.LBB1553_234:                           ;   in Loop: Header=BB1553_108 Depth=2
	s_or_b32 exec_lo, exec_lo, s17
	s_and_saveexec_b32 s17, s20
	s_cbranch_execnz .LBB1553_303
.LBB1553_235:                           ;   in Loop: Header=BB1553_108 Depth=2
	s_or_b32 exec_lo, exec_lo, s17
	s_and_saveexec_b32 s17, s21
	s_cbranch_execnz .LBB1553_304
.LBB1553_236:                           ;   in Loop: Header=BB1553_108 Depth=2
	s_or_b32 exec_lo, exec_lo, s17
	s_and_saveexec_b32 s17, s22
	s_cbranch_execnz .LBB1553_305
.LBB1553_237:                           ;   in Loop: Header=BB1553_108 Depth=2
	s_or_b32 exec_lo, exec_lo, s17
	s_and_saveexec_b32 s17, s23
	s_cbranch_execnz .LBB1553_306
.LBB1553_238:                           ;   in Loop: Header=BB1553_108 Depth=2
	s_or_b32 exec_lo, exec_lo, s17
	s_and_saveexec_b32 s17, s24
	s_cbranch_execnz .LBB1553_307
.LBB1553_239:                           ;   in Loop: Header=BB1553_108 Depth=2
	s_or_b32 exec_lo, exec_lo, s17
	s_and_saveexec_b32 s17, s25
	s_cbranch_execnz .LBB1553_308
.LBB1553_240:                           ;   in Loop: Header=BB1553_108 Depth=2
	s_or_b32 exec_lo, exec_lo, s17
	s_and_saveexec_b32 s17, s26
	s_cbranch_execnz .LBB1553_309
.LBB1553_241:                           ;   in Loop: Header=BB1553_108 Depth=2
	s_or_b32 exec_lo, exec_lo, s17
	s_and_saveexec_b32 s17, s27
	s_cbranch_execnz .LBB1553_310
.LBB1553_242:                           ;   in Loop: Header=BB1553_108 Depth=2
	s_or_b32 exec_lo, exec_lo, s17
	s_and_saveexec_b32 s17, s28
	s_cbranch_execnz .LBB1553_311
.LBB1553_243:                           ;   in Loop: Header=BB1553_108 Depth=2
	s_or_b32 exec_lo, exec_lo, s17
	s_and_saveexec_b32 s17, s29
	s_cbranch_execnz .LBB1553_312
.LBB1553_244:                           ;   in Loop: Header=BB1553_108 Depth=2
	s_or_b32 exec_lo, exec_lo, s17
	s_and_saveexec_b32 s17, s30
	s_cbranch_execnz .LBB1553_313
.LBB1553_245:                           ;   in Loop: Header=BB1553_108 Depth=2
	s_or_b32 exec_lo, exec_lo, s17
	s_and_saveexec_b32 s17, s31
	s_cbranch_execnz .LBB1553_314
.LBB1553_246:                           ;   in Loop: Header=BB1553_108 Depth=2
	s_or_b32 exec_lo, exec_lo, s17
	s_and_saveexec_b32 s17, s33
	s_cbranch_execz .LBB1553_248
.LBB1553_247:                           ;   in Loop: Header=BB1553_108 Depth=2
	v_dual_lshlrev_b32 v4, 2, v119 :: v_dual_add_nc_u32 v5, v10, v100
	ds_load_b32 v6, v4
	ds_load_b64 v[4:5], v5 offset:33280
	s_wait_dscnt 0x1
	v_add_nc_u32_e32 v6, v6, v87
	s_wait_dscnt 0x0
	global_store_b64 v6, v[4:5], s[44:45] scale_offset
.LBB1553_248:                           ;   in Loop: Header=BB1553_108 Depth=2
	s_wait_xcnt 0x0
	s_or_b32 exec_lo, exec_lo, s17
	s_wait_storecnt 0x0
	s_barrier_signal -1
	s_barrier_wait -1
	s_and_saveexec_b32 s17, s0
	s_cbranch_execz .LBB1553_107
; %bb.249:                              ;   in Loop: Header=BB1553_108 Depth=2
	ds_load_b32 v4, v9
	s_wait_dscnt 0x0
	v_add3_u32 v4, v136, v137, v4
	ds_store_b32 v9, v4
	s_branch .LBB1553_107
.LBB1553_250:                           ;   in Loop: Header=BB1553_108 Depth=2
	ds_load_u8 v4, v10 offset:512
	s_wait_dscnt 0x0
	v_and_b32_e32 v5, 1, v4
	s_delay_alu instid0(VALU_DEP_1) | instskip(NEXT) | instid1(VALU_DEP_1)
	v_dual_lshrrev_b32 v5, s57, v5 :: v_dual_bitop2_b32 v4, 1, v4 bitop3:0x14
	v_and_b32_e32 v5, s58, v5
	s_delay_alu instid0(VALU_DEP_1)
	v_lshlrev_b32_e32 v5, 2, v5
	ds_load_b32 v5, v5
	s_wait_dscnt 0x0
	v_add_nc_u32_e32 v5, v5, v10
	global_store_b8 v5, v4, s[38:39]
	s_wait_xcnt 0x0
	s_or_b32 exec_lo, exec_lo, s17
	v_cmp_lt_u32_e64 s17, v72, v70
	s_and_saveexec_b32 s18, s17
	s_cbranch_execz .LBB1553_179
.LBB1553_251:                           ;   in Loop: Header=BB1553_108 Depth=2
	ds_load_u8 v4, v10 offset:768
	s_wait_dscnt 0x0
	v_and_b32_e32 v5, 1, v4
	s_delay_alu instid0(VALU_DEP_1) | instskip(NEXT) | instid1(VALU_DEP_1)
	v_dual_lshrrev_b32 v5, s57, v5 :: v_dual_bitop2_b32 v4, 1, v4 bitop3:0x14
	v_and_b32_e32 v5, s58, v5
	s_delay_alu instid0(VALU_DEP_1)
	v_lshlrev_b32_e32 v5, 2, v5
	ds_load_b32 v5, v5
	s_wait_dscnt 0x0
	v_add_nc_u32_e32 v5, v5, v72
	global_store_b8 v5, v4, s[38:39]
	s_wait_xcnt 0x0
	s_or_b32 exec_lo, exec_lo, s18
	v_cmp_lt_u32_e64 s18, v73, v70
	s_and_saveexec_b32 s19, s18
	s_cbranch_execz .LBB1553_180
.LBB1553_252:                           ;   in Loop: Header=BB1553_108 Depth=2
	ds_load_u8 v4, v10 offset:1024
	s_wait_dscnt 0x0
	v_and_b32_e32 v5, 1, v4
	s_delay_alu instid0(VALU_DEP_1) | instskip(NEXT) | instid1(VALU_DEP_1)
	v_dual_lshrrev_b32 v5, s57, v5 :: v_dual_bitop2_b32 v4, 1, v4 bitop3:0x14
	v_and_b32_e32 v5, s58, v5
	s_delay_alu instid0(VALU_DEP_1)
	v_lshlrev_b32_e32 v5, 2, v5
	ds_load_b32 v5, v5
	s_wait_dscnt 0x0
	v_add_nc_u32_e32 v5, v5, v73
	global_store_b8 v5, v4, s[38:39]
	s_wait_xcnt 0x0
	s_or_b32 exec_lo, exec_lo, s19
	v_cmp_lt_u32_e64 s19, v74, v70
	s_and_saveexec_b32 s20, s19
	s_cbranch_execz .LBB1553_181
.LBB1553_253:                           ;   in Loop: Header=BB1553_108 Depth=2
	ds_load_u8 v4, v10 offset:1280
	s_wait_dscnt 0x0
	v_and_b32_e32 v5, 1, v4
	s_delay_alu instid0(VALU_DEP_1) | instskip(NEXT) | instid1(VALU_DEP_1)
	v_dual_lshrrev_b32 v5, s57, v5 :: v_dual_bitop2_b32 v4, 1, v4 bitop3:0x14
	v_and_b32_e32 v5, s58, v5
	s_delay_alu instid0(VALU_DEP_1)
	v_lshlrev_b32_e32 v5, 2, v5
	ds_load_b32 v5, v5
	s_wait_dscnt 0x0
	v_add_nc_u32_e32 v5, v5, v74
	global_store_b8 v5, v4, s[38:39]
	s_wait_xcnt 0x0
	s_or_b32 exec_lo, exec_lo, s20
	v_cmp_lt_u32_e64 s20, v75, v70
	s_and_saveexec_b32 s21, s20
	s_cbranch_execz .LBB1553_182
.LBB1553_254:                           ;   in Loop: Header=BB1553_108 Depth=2
	ds_load_u8 v4, v10 offset:1536
	s_wait_dscnt 0x0
	v_and_b32_e32 v5, 1, v4
	s_delay_alu instid0(VALU_DEP_1) | instskip(NEXT) | instid1(VALU_DEP_1)
	v_dual_lshrrev_b32 v5, s57, v5 :: v_dual_bitop2_b32 v4, 1, v4 bitop3:0x14
	v_and_b32_e32 v5, s58, v5
	s_delay_alu instid0(VALU_DEP_1)
	v_lshlrev_b32_e32 v5, 2, v5
	ds_load_b32 v5, v5
	s_wait_dscnt 0x0
	v_add_nc_u32_e32 v5, v5, v75
	global_store_b8 v5, v4, s[38:39]
	s_wait_xcnt 0x0
	s_or_b32 exec_lo, exec_lo, s21
	v_cmp_lt_u32_e64 s21, v76, v70
	s_and_saveexec_b32 s22, s21
	s_cbranch_execz .LBB1553_183
.LBB1553_255:                           ;   in Loop: Header=BB1553_108 Depth=2
	ds_load_u8 v4, v10 offset:1792
	s_wait_dscnt 0x0
	v_and_b32_e32 v5, 1, v4
	s_delay_alu instid0(VALU_DEP_1) | instskip(NEXT) | instid1(VALU_DEP_1)
	v_dual_lshrrev_b32 v5, s57, v5 :: v_dual_bitop2_b32 v4, 1, v4 bitop3:0x14
	v_and_b32_e32 v5, s58, v5
	s_delay_alu instid0(VALU_DEP_1)
	v_lshlrev_b32_e32 v5, 2, v5
	ds_load_b32 v5, v5
	s_wait_dscnt 0x0
	v_add_nc_u32_e32 v5, v5, v76
	global_store_b8 v5, v4, s[38:39]
	s_wait_xcnt 0x0
	s_or_b32 exec_lo, exec_lo, s22
	v_cmp_lt_u32_e64 s22, v77, v70
	s_and_saveexec_b32 s23, s22
	s_cbranch_execz .LBB1553_184
.LBB1553_256:                           ;   in Loop: Header=BB1553_108 Depth=2
	ds_load_u8 v4, v10 offset:2048
	s_wait_dscnt 0x0
	v_and_b32_e32 v5, 1, v4
	s_delay_alu instid0(VALU_DEP_1) | instskip(NEXT) | instid1(VALU_DEP_1)
	v_dual_lshrrev_b32 v5, s57, v5 :: v_dual_bitop2_b32 v4, 1, v4 bitop3:0x14
	v_and_b32_e32 v5, s58, v5
	s_delay_alu instid0(VALU_DEP_1)
	v_lshlrev_b32_e32 v5, 2, v5
	ds_load_b32 v5, v5
	s_wait_dscnt 0x0
	v_add_nc_u32_e32 v5, v5, v77
	global_store_b8 v5, v4, s[38:39]
	s_wait_xcnt 0x0
	s_or_b32 exec_lo, exec_lo, s23
	v_cmp_lt_u32_e64 s23, v78, v70
	s_and_saveexec_b32 s24, s23
	s_cbranch_execz .LBB1553_185
.LBB1553_257:                           ;   in Loop: Header=BB1553_108 Depth=2
	ds_load_u8 v4, v10 offset:2304
	s_wait_dscnt 0x0
	v_and_b32_e32 v5, 1, v4
	s_delay_alu instid0(VALU_DEP_1) | instskip(NEXT) | instid1(VALU_DEP_1)
	v_dual_lshrrev_b32 v5, s57, v5 :: v_dual_bitop2_b32 v4, 1, v4 bitop3:0x14
	v_and_b32_e32 v5, s58, v5
	s_delay_alu instid0(VALU_DEP_1)
	v_lshlrev_b32_e32 v5, 2, v5
	ds_load_b32 v5, v5
	s_wait_dscnt 0x0
	v_add_nc_u32_e32 v5, v5, v78
	global_store_b8 v5, v4, s[38:39]
	s_wait_xcnt 0x0
	s_or_b32 exec_lo, exec_lo, s24
	v_cmp_lt_u32_e64 s24, v79, v70
	s_and_saveexec_b32 s25, s24
	s_cbranch_execz .LBB1553_186
.LBB1553_258:                           ;   in Loop: Header=BB1553_108 Depth=2
	ds_load_u8 v4, v10 offset:2560
	s_wait_dscnt 0x0
	v_and_b32_e32 v5, 1, v4
	s_delay_alu instid0(VALU_DEP_1) | instskip(NEXT) | instid1(VALU_DEP_1)
	v_dual_lshrrev_b32 v5, s57, v5 :: v_dual_bitop2_b32 v4, 1, v4 bitop3:0x14
	v_and_b32_e32 v5, s58, v5
	s_delay_alu instid0(VALU_DEP_1)
	v_lshlrev_b32_e32 v5, 2, v5
	ds_load_b32 v5, v5
	s_wait_dscnt 0x0
	v_add_nc_u32_e32 v5, v5, v79
	global_store_b8 v5, v4, s[38:39]
	s_wait_xcnt 0x0
	s_or_b32 exec_lo, exec_lo, s25
	v_cmp_lt_u32_e64 s25, v80, v70
	s_and_saveexec_b32 s26, s25
	s_cbranch_execz .LBB1553_187
.LBB1553_259:                           ;   in Loop: Header=BB1553_108 Depth=2
	ds_load_u8 v4, v10 offset:2816
	s_wait_dscnt 0x0
	v_and_b32_e32 v5, 1, v4
	s_delay_alu instid0(VALU_DEP_1) | instskip(NEXT) | instid1(VALU_DEP_1)
	v_dual_lshrrev_b32 v5, s57, v5 :: v_dual_bitop2_b32 v4, 1, v4 bitop3:0x14
	v_and_b32_e32 v5, s58, v5
	s_delay_alu instid0(VALU_DEP_1)
	v_lshlrev_b32_e32 v5, 2, v5
	ds_load_b32 v5, v5
	s_wait_dscnt 0x0
	v_add_nc_u32_e32 v5, v5, v80
	global_store_b8 v5, v4, s[38:39]
	s_wait_xcnt 0x0
	s_or_b32 exec_lo, exec_lo, s26
	v_cmp_lt_u32_e64 s26, v81, v70
	s_and_saveexec_b32 s27, s26
	s_cbranch_execz .LBB1553_188
.LBB1553_260:                           ;   in Loop: Header=BB1553_108 Depth=2
	ds_load_u8 v4, v10 offset:3072
	s_wait_dscnt 0x0
	v_and_b32_e32 v5, 1, v4
	s_delay_alu instid0(VALU_DEP_1) | instskip(NEXT) | instid1(VALU_DEP_1)
	v_dual_lshrrev_b32 v5, s57, v5 :: v_dual_bitop2_b32 v4, 1, v4 bitop3:0x14
	v_and_b32_e32 v5, s58, v5
	s_delay_alu instid0(VALU_DEP_1)
	v_lshlrev_b32_e32 v5, 2, v5
	ds_load_b32 v5, v5
	s_wait_dscnt 0x0
	v_add_nc_u32_e32 v5, v5, v81
	global_store_b8 v5, v4, s[38:39]
	s_wait_xcnt 0x0
	s_or_b32 exec_lo, exec_lo, s27
	v_cmp_lt_u32_e64 s27, v82, v70
	s_and_saveexec_b32 s28, s27
	s_cbranch_execz .LBB1553_189
.LBB1553_261:                           ;   in Loop: Header=BB1553_108 Depth=2
	ds_load_u8 v4, v10 offset:3328
	s_wait_dscnt 0x0
	v_and_b32_e32 v5, 1, v4
	s_delay_alu instid0(VALU_DEP_1) | instskip(NEXT) | instid1(VALU_DEP_1)
	v_dual_lshrrev_b32 v5, s57, v5 :: v_dual_bitop2_b32 v4, 1, v4 bitop3:0x14
	v_and_b32_e32 v5, s58, v5
	s_delay_alu instid0(VALU_DEP_1)
	v_lshlrev_b32_e32 v5, 2, v5
	ds_load_b32 v5, v5
	s_wait_dscnt 0x0
	v_add_nc_u32_e32 v5, v5, v82
	global_store_b8 v5, v4, s[38:39]
	s_wait_xcnt 0x0
	s_or_b32 exec_lo, exec_lo, s28
	v_cmp_lt_u32_e64 s28, v83, v70
	s_and_saveexec_b32 s29, s28
	s_cbranch_execz .LBB1553_190
.LBB1553_262:                           ;   in Loop: Header=BB1553_108 Depth=2
	ds_load_u8 v4, v10 offset:3584
	s_wait_dscnt 0x0
	v_and_b32_e32 v5, 1, v4
	s_delay_alu instid0(VALU_DEP_1) | instskip(NEXT) | instid1(VALU_DEP_1)
	v_dual_lshrrev_b32 v5, s57, v5 :: v_dual_bitop2_b32 v4, 1, v4 bitop3:0x14
	v_and_b32_e32 v5, s58, v5
	s_delay_alu instid0(VALU_DEP_1)
	v_lshlrev_b32_e32 v5, 2, v5
	ds_load_b32 v5, v5
	s_wait_dscnt 0x0
	v_add_nc_u32_e32 v5, v5, v83
	global_store_b8 v5, v4, s[38:39]
	s_wait_xcnt 0x0
	s_or_b32 exec_lo, exec_lo, s29
	v_cmp_lt_u32_e64 s29, v84, v70
	s_and_saveexec_b32 s30, s29
	s_cbranch_execz .LBB1553_191
.LBB1553_263:                           ;   in Loop: Header=BB1553_108 Depth=2
	ds_load_u8 v4, v10 offset:3840
	s_wait_dscnt 0x0
	v_and_b32_e32 v5, 1, v4
	s_delay_alu instid0(VALU_DEP_1) | instskip(NEXT) | instid1(VALU_DEP_1)
	v_dual_lshrrev_b32 v5, s57, v5 :: v_dual_bitop2_b32 v4, 1, v4 bitop3:0x14
	v_and_b32_e32 v5, s58, v5
	s_delay_alu instid0(VALU_DEP_1)
	v_lshlrev_b32_e32 v5, 2, v5
	ds_load_b32 v5, v5
	s_wait_dscnt 0x0
	v_add_nc_u32_e32 v5, v5, v84
	global_store_b8 v5, v4, s[38:39]
	s_wait_xcnt 0x0
	s_or_b32 exec_lo, exec_lo, s30
	v_cmp_lt_u32_e64 s30, v85, v70
	s_and_saveexec_b32 s31, s30
	s_cbranch_execz .LBB1553_192
.LBB1553_264:                           ;   in Loop: Header=BB1553_108 Depth=2
	ds_load_u8 v4, v10 offset:4096
	s_wait_dscnt 0x0
	v_and_b32_e32 v5, 1, v4
	s_delay_alu instid0(VALU_DEP_1) | instskip(NEXT) | instid1(VALU_DEP_1)
	v_dual_lshrrev_b32 v5, s57, v5 :: v_dual_bitop2_b32 v4, 1, v4 bitop3:0x14
	v_and_b32_e32 v5, s58, v5
	s_delay_alu instid0(VALU_DEP_1)
	v_lshlrev_b32_e32 v5, 2, v5
	ds_load_b32 v5, v5
	s_wait_dscnt 0x0
	v_add_nc_u32_e32 v5, v5, v85
	global_store_b8 v5, v4, s[38:39]
	s_wait_xcnt 0x0
	s_or_b32 exec_lo, exec_lo, s31
	v_cmp_lt_u32_e64 s31, v86, v70
	s_and_saveexec_b32 s33, s31
	s_cbranch_execz .LBB1553_193
.LBB1553_265:                           ;   in Loop: Header=BB1553_108 Depth=2
	ds_load_u8 v4, v10 offset:4352
	s_wait_dscnt 0x0
	v_and_b32_e32 v5, 1, v4
	s_delay_alu instid0(VALU_DEP_1) | instskip(NEXT) | instid1(VALU_DEP_1)
	v_dual_lshrrev_b32 v5, s57, v5 :: v_dual_bitop2_b32 v4, 1, v4 bitop3:0x14
	v_and_b32_e32 v5, s58, v5
	s_delay_alu instid0(VALU_DEP_1)
	v_lshlrev_b32_e32 v5, 2, v5
	ds_load_b32 v5, v5
	s_wait_dscnt 0x0
	v_add_nc_u32_e32 v5, v5, v86
	global_store_b8 v5, v4, s[38:39]
	s_wait_xcnt 0x0
	s_or_b32 exec_lo, exec_lo, s33
	v_cmp_lt_u32_e64 s33, v87, v70
	s_and_saveexec_b32 s34, s33
	s_cbranch_execnz .LBB1553_194
	s_branch .LBB1553_195
.LBB1553_266:                           ;   in Loop: Header=BB1553_108 Depth=2
	global_load_b64 v[68:69], v[4:5], off
	s_wait_xcnt 0x0
	s_or_b32 exec_lo, exec_lo, s34
	s_delay_alu instid0(SALU_CYCLE_1)
	s_mov_b32 s42, exec_lo
	v_cmpx_lt_u32_e64 v103, v70
	s_cbranch_execz .LBB1553_197
.LBB1553_267:                           ;   in Loop: Header=BB1553_108 Depth=2
	global_load_b64 v[66:67], v[4:5], off offset:256
	s_wait_xcnt 0x0
	s_or_b32 exec_lo, exec_lo, s42
	s_delay_alu instid0(SALU_CYCLE_1)
	s_mov_b32 s42, exec_lo
	v_cmpx_lt_u32_e64 v104, v70
	s_cbranch_execz .LBB1553_198
.LBB1553_268:                           ;   in Loop: Header=BB1553_108 Depth=2
	global_load_b64 v[64:65], v[4:5], off offset:512
	s_wait_xcnt 0x0
	s_or_b32 exec_lo, exec_lo, s42
	s_delay_alu instid0(SALU_CYCLE_1)
	s_mov_b32 s42, exec_lo
	v_cmpx_lt_u32_e64 v105, v70
	s_cbranch_execz .LBB1553_199
.LBB1553_269:                           ;   in Loop: Header=BB1553_108 Depth=2
	global_load_b64 v[62:63], v[4:5], off offset:768
	s_wait_xcnt 0x0
	s_or_b32 exec_lo, exec_lo, s42
	s_delay_alu instid0(SALU_CYCLE_1)
	s_mov_b32 s42, exec_lo
	v_cmpx_lt_u32_e64 v106, v70
	s_cbranch_execz .LBB1553_200
.LBB1553_270:                           ;   in Loop: Header=BB1553_108 Depth=2
	global_load_b64 v[60:61], v[4:5], off offset:1024
	s_wait_xcnt 0x0
	s_or_b32 exec_lo, exec_lo, s42
	s_delay_alu instid0(SALU_CYCLE_1)
	s_mov_b32 s42, exec_lo
	v_cmpx_lt_u32_e64 v107, v70
	s_cbranch_execz .LBB1553_201
.LBB1553_271:                           ;   in Loop: Header=BB1553_108 Depth=2
	global_load_b64 v[58:59], v[4:5], off offset:1280
	s_wait_xcnt 0x0
	s_or_b32 exec_lo, exec_lo, s42
	s_delay_alu instid0(SALU_CYCLE_1)
	s_mov_b32 s42, exec_lo
	v_cmpx_lt_u32_e64 v108, v70
	s_cbranch_execz .LBB1553_202
.LBB1553_272:                           ;   in Loop: Header=BB1553_108 Depth=2
	global_load_b64 v[56:57], v[4:5], off offset:1536
	s_wait_xcnt 0x0
	s_or_b32 exec_lo, exec_lo, s42
	s_delay_alu instid0(SALU_CYCLE_1)
	s_mov_b32 s42, exec_lo
	v_cmpx_lt_u32_e64 v109, v70
	s_cbranch_execz .LBB1553_203
.LBB1553_273:                           ;   in Loop: Header=BB1553_108 Depth=2
	global_load_b64 v[54:55], v[4:5], off offset:1792
	s_wait_xcnt 0x0
	s_or_b32 exec_lo, exec_lo, s42
	s_delay_alu instid0(SALU_CYCLE_1)
	s_mov_b32 s42, exec_lo
	v_cmpx_lt_u32_e64 v110, v70
	s_cbranch_execz .LBB1553_204
.LBB1553_274:                           ;   in Loop: Header=BB1553_108 Depth=2
	global_load_b64 v[52:53], v[4:5], off offset:2048
	s_wait_xcnt 0x0
	s_or_b32 exec_lo, exec_lo, s42
	s_delay_alu instid0(SALU_CYCLE_1)
	s_mov_b32 s42, exec_lo
	v_cmpx_lt_u32_e64 v111, v70
	s_cbranch_execz .LBB1553_205
.LBB1553_275:                           ;   in Loop: Header=BB1553_108 Depth=2
	global_load_b64 v[50:51], v[4:5], off offset:2304
	s_wait_xcnt 0x0
	s_or_b32 exec_lo, exec_lo, s42
	s_delay_alu instid0(SALU_CYCLE_1)
	s_mov_b32 s42, exec_lo
	v_cmpx_lt_u32_e64 v112, v70
	s_cbranch_execz .LBB1553_206
.LBB1553_276:                           ;   in Loop: Header=BB1553_108 Depth=2
	global_load_b64 v[48:49], v[4:5], off offset:2560
	s_wait_xcnt 0x0
	s_or_b32 exec_lo, exec_lo, s42
	s_delay_alu instid0(SALU_CYCLE_1)
	s_mov_b32 s42, exec_lo
	v_cmpx_lt_u32_e64 v113, v70
	s_cbranch_execz .LBB1553_207
.LBB1553_277:                           ;   in Loop: Header=BB1553_108 Depth=2
	global_load_b64 v[46:47], v[4:5], off offset:2816
	s_wait_xcnt 0x0
	s_or_b32 exec_lo, exec_lo, s42
	s_delay_alu instid0(SALU_CYCLE_1)
	s_mov_b32 s42, exec_lo
	v_cmpx_lt_u32_e64 v114, v70
	s_cbranch_execz .LBB1553_208
.LBB1553_278:                           ;   in Loop: Header=BB1553_108 Depth=2
	global_load_b64 v[44:45], v[4:5], off offset:3072
	s_wait_xcnt 0x0
	s_or_b32 exec_lo, exec_lo, s42
	s_delay_alu instid0(SALU_CYCLE_1)
	s_mov_b32 s42, exec_lo
	v_cmpx_lt_u32_e64 v115, v70
	s_cbranch_execz .LBB1553_209
.LBB1553_279:                           ;   in Loop: Header=BB1553_108 Depth=2
	global_load_b64 v[42:43], v[4:5], off offset:3328
	s_wait_xcnt 0x0
	s_or_b32 exec_lo, exec_lo, s42
	s_delay_alu instid0(SALU_CYCLE_1)
	s_mov_b32 s42, exec_lo
	v_cmpx_lt_u32_e64 v116, v70
	s_cbranch_execz .LBB1553_210
.LBB1553_280:                           ;   in Loop: Header=BB1553_108 Depth=2
	global_load_b64 v[40:41], v[4:5], off offset:3584
	s_wait_xcnt 0x0
	s_or_b32 exec_lo, exec_lo, s42
	s_delay_alu instid0(SALU_CYCLE_1)
	s_mov_b32 s42, exec_lo
	v_cmpx_lt_u32_e64 v117, v70
	s_cbranch_execz .LBB1553_211
.LBB1553_281:                           ;   in Loop: Header=BB1553_108 Depth=2
	global_load_b64 v[38:39], v[4:5], off offset:3840
	s_wait_xcnt 0x0
	s_or_b32 exec_lo, exec_lo, s42
	s_delay_alu instid0(SALU_CYCLE_1)
	s_mov_b32 s42, exec_lo
	v_cmpx_lt_u32_e64 v118, v70
	s_cbranch_execz .LBB1553_212
.LBB1553_282:                           ;   in Loop: Header=BB1553_108 Depth=2
	global_load_b64 v[36:37], v[4:5], off offset:4096
	s_wait_xcnt 0x0
	s_or_b32 exec_lo, exec_lo, s42
	s_and_saveexec_b32 s34, vcc_lo
	s_cbranch_execz .LBB1553_213
.LBB1553_283:                           ;   in Loop: Header=BB1553_108 Depth=2
	ds_load_u8 v4, v10 offset:512
	s_wait_dscnt 0x0
	v_lshrrev_b32_e32 v4, s57, v4
	s_delay_alu instid0(VALU_DEP_1)
	v_and_b32_e32 v135, s58, v4
	s_or_b32 exec_lo, exec_lo, s34
	s_and_saveexec_b32 s34, s17
	s_cbranch_execz .LBB1553_214
.LBB1553_284:                           ;   in Loop: Header=BB1553_108 Depth=2
	ds_load_u8 v4, v10 offset:768
	s_wait_dscnt 0x0
	v_lshrrev_b32_e32 v4, s57, v4
	s_delay_alu instid0(VALU_DEP_1)
	v_and_b32_e32 v134, s58, v4
	s_or_b32 exec_lo, exec_lo, s34
	s_and_saveexec_b32 s34, s18
	s_cbranch_execz .LBB1553_215
.LBB1553_285:                           ;   in Loop: Header=BB1553_108 Depth=2
	ds_load_u8 v4, v10 offset:1024
	s_wait_dscnt 0x0
	v_lshrrev_b32_e32 v4, s57, v4
	s_delay_alu instid0(VALU_DEP_1)
	v_and_b32_e32 v133, s58, v4
	s_or_b32 exec_lo, exec_lo, s34
	s_and_saveexec_b32 s34, s19
	s_cbranch_execz .LBB1553_216
.LBB1553_286:                           ;   in Loop: Header=BB1553_108 Depth=2
	ds_load_u8 v4, v10 offset:1280
	s_wait_dscnt 0x0
	v_lshrrev_b32_e32 v4, s57, v4
	s_delay_alu instid0(VALU_DEP_1)
	v_and_b32_e32 v132, s58, v4
	s_or_b32 exec_lo, exec_lo, s34
	s_and_saveexec_b32 s34, s20
	s_cbranch_execz .LBB1553_217
.LBB1553_287:                           ;   in Loop: Header=BB1553_108 Depth=2
	ds_load_u8 v4, v10 offset:1536
	s_wait_dscnt 0x0
	v_lshrrev_b32_e32 v4, s57, v4
	s_delay_alu instid0(VALU_DEP_1)
	v_and_b32_e32 v131, s58, v4
	s_or_b32 exec_lo, exec_lo, s34
	s_and_saveexec_b32 s34, s21
	s_cbranch_execz .LBB1553_218
.LBB1553_288:                           ;   in Loop: Header=BB1553_108 Depth=2
	ds_load_u8 v4, v10 offset:1792
	s_wait_dscnt 0x0
	v_lshrrev_b32_e32 v4, s57, v4
	s_delay_alu instid0(VALU_DEP_1)
	v_and_b32_e32 v130, s58, v4
	s_or_b32 exec_lo, exec_lo, s34
	s_and_saveexec_b32 s34, s22
	s_cbranch_execz .LBB1553_219
.LBB1553_289:                           ;   in Loop: Header=BB1553_108 Depth=2
	ds_load_u8 v4, v10 offset:2048
	s_wait_dscnt 0x0
	v_lshrrev_b32_e32 v4, s57, v4
	s_delay_alu instid0(VALU_DEP_1)
	v_and_b32_e32 v129, s58, v4
	s_or_b32 exec_lo, exec_lo, s34
	s_and_saveexec_b32 s34, s23
	s_cbranch_execz .LBB1553_220
.LBB1553_290:                           ;   in Loop: Header=BB1553_108 Depth=2
	ds_load_u8 v4, v10 offset:2304
	s_wait_dscnt 0x0
	v_lshrrev_b32_e32 v4, s57, v4
	s_delay_alu instid0(VALU_DEP_1)
	v_and_b32_e32 v128, s58, v4
	s_or_b32 exec_lo, exec_lo, s34
	s_and_saveexec_b32 s34, s24
	s_cbranch_execz .LBB1553_221
.LBB1553_291:                           ;   in Loop: Header=BB1553_108 Depth=2
	ds_load_u8 v4, v10 offset:2560
	s_wait_dscnt 0x0
	v_lshrrev_b32_e32 v4, s57, v4
	s_delay_alu instid0(VALU_DEP_1)
	v_and_b32_e32 v127, s58, v4
	s_or_b32 exec_lo, exec_lo, s34
	s_and_saveexec_b32 s34, s25
	s_cbranch_execz .LBB1553_222
.LBB1553_292:                           ;   in Loop: Header=BB1553_108 Depth=2
	ds_load_u8 v4, v10 offset:2816
	s_wait_dscnt 0x0
	v_lshrrev_b32_e32 v4, s57, v4
	s_delay_alu instid0(VALU_DEP_1)
	v_and_b32_e32 v126, s58, v4
	s_or_b32 exec_lo, exec_lo, s34
	s_and_saveexec_b32 s34, s26
	s_cbranch_execz .LBB1553_223
.LBB1553_293:                           ;   in Loop: Header=BB1553_108 Depth=2
	ds_load_u8 v4, v10 offset:3072
	s_wait_dscnt 0x0
	v_lshrrev_b32_e32 v4, s57, v4
	s_delay_alu instid0(VALU_DEP_1)
	v_and_b32_e32 v125, s58, v4
	s_or_b32 exec_lo, exec_lo, s34
	s_and_saveexec_b32 s34, s27
	s_cbranch_execz .LBB1553_224
.LBB1553_294:                           ;   in Loop: Header=BB1553_108 Depth=2
	ds_load_u8 v4, v10 offset:3328
	s_wait_dscnt 0x0
	v_lshrrev_b32_e32 v4, s57, v4
	s_delay_alu instid0(VALU_DEP_1)
	v_and_b32_e32 v124, s58, v4
	s_or_b32 exec_lo, exec_lo, s34
	s_and_saveexec_b32 s34, s28
	s_cbranch_execz .LBB1553_225
.LBB1553_295:                           ;   in Loop: Header=BB1553_108 Depth=2
	ds_load_u8 v4, v10 offset:3584
	s_wait_dscnt 0x0
	v_lshrrev_b32_e32 v4, s57, v4
	s_delay_alu instid0(VALU_DEP_1)
	v_and_b32_e32 v123, s58, v4
	s_or_b32 exec_lo, exec_lo, s34
	s_and_saveexec_b32 s34, s29
	s_cbranch_execz .LBB1553_226
.LBB1553_296:                           ;   in Loop: Header=BB1553_108 Depth=2
	ds_load_u8 v4, v10 offset:3840
	s_wait_dscnt 0x0
	v_lshrrev_b32_e32 v4, s57, v4
	s_delay_alu instid0(VALU_DEP_1)
	v_and_b32_e32 v122, s58, v4
	s_or_b32 exec_lo, exec_lo, s34
	s_and_saveexec_b32 s34, s30
	s_cbranch_execz .LBB1553_227
.LBB1553_297:                           ;   in Loop: Header=BB1553_108 Depth=2
	ds_load_u8 v4, v10 offset:4096
	s_wait_dscnt 0x0
	v_lshrrev_b32_e32 v4, s57, v4
	s_delay_alu instid0(VALU_DEP_1)
	v_and_b32_e32 v121, s58, v4
	s_or_b32 exec_lo, exec_lo, s34
	s_and_saveexec_b32 s34, s31
	s_cbranch_execz .LBB1553_228
.LBB1553_298:                           ;   in Loop: Header=BB1553_108 Depth=2
	ds_load_u8 v4, v10 offset:4352
	s_wait_dscnt 0x0
	v_lshrrev_b32_e32 v4, s57, v4
	s_delay_alu instid0(VALU_DEP_1)
	v_and_b32_e32 v120, s58, v4
	s_or_b32 exec_lo, exec_lo, s34
	s_and_saveexec_b32 s34, s33
	s_cbranch_execnz .LBB1553_229
	s_branch .LBB1553_230
.LBB1553_299:                           ;   in Loop: Header=BB1553_108 Depth=2
	v_dual_lshlrev_b32 v4, 2, v135 :: v_dual_add_nc_u32 v5, v10, v100
	ds_load_b32 v6, v4
	ds_load_b64 v[4:5], v5 offset:512
	s_wait_dscnt 0x1
	v_add_nc_u32_e32 v6, v6, v10
	s_wait_dscnt 0x0
	global_store_b64 v6, v[4:5], s[44:45] scale_offset
	s_wait_xcnt 0x0
	s_or_b32 exec_lo, exec_lo, s34
	s_and_saveexec_b32 s34, s17
	s_cbranch_execz .LBB1553_232
.LBB1553_300:                           ;   in Loop: Header=BB1553_108 Depth=2
	v_dual_lshlrev_b32 v4, 2, v134 :: v_dual_add_nc_u32 v5, v10, v100
	ds_load_b32 v6, v4
	ds_load_b64 v[4:5], v5 offset:2560
	s_wait_dscnt 0x1
	v_add_nc_u32_e32 v6, v6, v72
	s_wait_dscnt 0x0
	global_store_b64 v6, v[4:5], s[44:45] scale_offset
	s_wait_xcnt 0x0
	s_or_b32 exec_lo, exec_lo, s34
	s_and_saveexec_b32 s17, s18
	s_cbranch_execz .LBB1553_233
.LBB1553_301:                           ;   in Loop: Header=BB1553_108 Depth=2
	v_dual_lshlrev_b32 v4, 2, v133 :: v_dual_add_nc_u32 v5, v10, v100
	ds_load_b32 v6, v4
	ds_load_b64 v[4:5], v5 offset:4608
	s_wait_dscnt 0x1
	v_add_nc_u32_e32 v6, v6, v73
	s_wait_dscnt 0x0
	global_store_b64 v6, v[4:5], s[44:45] scale_offset
	s_wait_xcnt 0x0
	s_or_b32 exec_lo, exec_lo, s17
	s_and_saveexec_b32 s17, s19
	s_cbranch_execz .LBB1553_234
.LBB1553_302:                           ;   in Loop: Header=BB1553_108 Depth=2
	v_lshlrev_b32_e32 v4, 2, v132
	v_add_nc_u32_e32 v5, v10, v100
	ds_load_b32 v6, v4
	ds_load_b64 v[4:5], v5 offset:6656
	s_wait_dscnt 0x1
	v_add_nc_u32_e32 v6, v6, v74
	s_wait_dscnt 0x0
	global_store_b64 v6, v[4:5], s[44:45] scale_offset
	s_wait_xcnt 0x0
	s_or_b32 exec_lo, exec_lo, s17
	s_and_saveexec_b32 s17, s20
	s_cbranch_execz .LBB1553_235
.LBB1553_303:                           ;   in Loop: Header=BB1553_108 Depth=2
	v_dual_lshlrev_b32 v4, 2, v131 :: v_dual_add_nc_u32 v5, v10, v100
	ds_load_b32 v6, v4
	ds_load_b64 v[4:5], v5 offset:8704
	s_wait_dscnt 0x1
	v_add_nc_u32_e32 v6, v6, v75
	s_wait_dscnt 0x0
	global_store_b64 v6, v[4:5], s[44:45] scale_offset
	s_wait_xcnt 0x0
	s_or_b32 exec_lo, exec_lo, s17
	s_and_saveexec_b32 s17, s21
	s_cbranch_execz .LBB1553_236
.LBB1553_304:                           ;   in Loop: Header=BB1553_108 Depth=2
	v_dual_lshlrev_b32 v4, 2, v130 :: v_dual_add_nc_u32 v5, v10, v100
	ds_load_b32 v6, v4
	ds_load_b64 v[4:5], v5 offset:10752
	s_wait_dscnt 0x1
	v_add_nc_u32_e32 v6, v6, v76
	s_wait_dscnt 0x0
	global_store_b64 v6, v[4:5], s[44:45] scale_offset
	s_wait_xcnt 0x0
	s_or_b32 exec_lo, exec_lo, s17
	s_and_saveexec_b32 s17, s22
	s_cbranch_execz .LBB1553_237
.LBB1553_305:                           ;   in Loop: Header=BB1553_108 Depth=2
	v_dual_lshlrev_b32 v4, 2, v129 :: v_dual_add_nc_u32 v5, v10, v100
	ds_load_b32 v6, v4
	ds_load_b64 v[4:5], v5 offset:12800
	s_wait_dscnt 0x1
	v_add_nc_u32_e32 v6, v6, v77
	s_wait_dscnt 0x0
	global_store_b64 v6, v[4:5], s[44:45] scale_offset
	s_wait_xcnt 0x0
	s_or_b32 exec_lo, exec_lo, s17
	s_and_saveexec_b32 s17, s23
	s_cbranch_execz .LBB1553_238
.LBB1553_306:                           ;   in Loop: Header=BB1553_108 Depth=2
	v_lshlrev_b32_e32 v4, 2, v128
	v_add_nc_u32_e32 v5, v10, v100
	ds_load_b32 v6, v4
	ds_load_b64 v[4:5], v5 offset:14848
	s_wait_dscnt 0x1
	v_add_nc_u32_e32 v6, v6, v78
	s_wait_dscnt 0x0
	global_store_b64 v6, v[4:5], s[44:45] scale_offset
	s_wait_xcnt 0x0
	s_or_b32 exec_lo, exec_lo, s17
	s_and_saveexec_b32 s17, s24
	s_cbranch_execz .LBB1553_239
.LBB1553_307:                           ;   in Loop: Header=BB1553_108 Depth=2
	v_dual_lshlrev_b32 v4, 2, v127 :: v_dual_add_nc_u32 v5, v10, v100
	ds_load_b32 v6, v4
	ds_load_b64 v[4:5], v5 offset:16896
	s_wait_dscnt 0x1
	v_add_nc_u32_e32 v6, v6, v79
	s_wait_dscnt 0x0
	global_store_b64 v6, v[4:5], s[44:45] scale_offset
	s_wait_xcnt 0x0
	s_or_b32 exec_lo, exec_lo, s17
	s_and_saveexec_b32 s17, s25
	s_cbranch_execz .LBB1553_240
.LBB1553_308:                           ;   in Loop: Header=BB1553_108 Depth=2
	v_dual_lshlrev_b32 v4, 2, v126 :: v_dual_add_nc_u32 v5, v10, v100
	ds_load_b32 v6, v4
	ds_load_b64 v[4:5], v5 offset:18944
	s_wait_dscnt 0x1
	v_add_nc_u32_e32 v6, v6, v80
	s_wait_dscnt 0x0
	global_store_b64 v6, v[4:5], s[44:45] scale_offset
	s_wait_xcnt 0x0
	s_or_b32 exec_lo, exec_lo, s17
	s_and_saveexec_b32 s17, s26
	s_cbranch_execz .LBB1553_241
.LBB1553_309:                           ;   in Loop: Header=BB1553_108 Depth=2
	v_dual_lshlrev_b32 v4, 2, v125 :: v_dual_add_nc_u32 v5, v10, v100
	ds_load_b32 v6, v4
	ds_load_b64 v[4:5], v5 offset:20992
	s_wait_dscnt 0x1
	v_add_nc_u32_e32 v6, v6, v81
	s_wait_dscnt 0x0
	global_store_b64 v6, v[4:5], s[44:45] scale_offset
	s_wait_xcnt 0x0
	s_or_b32 exec_lo, exec_lo, s17
	s_and_saveexec_b32 s17, s27
	s_cbranch_execz .LBB1553_242
.LBB1553_310:                           ;   in Loop: Header=BB1553_108 Depth=2
	v_lshlrev_b32_e32 v4, 2, v124
	v_add_nc_u32_e32 v5, v10, v100
	ds_load_b32 v6, v4
	ds_load_b64 v[4:5], v5 offset:23040
	s_wait_dscnt 0x1
	v_add_nc_u32_e32 v6, v6, v82
	s_wait_dscnt 0x0
	global_store_b64 v6, v[4:5], s[44:45] scale_offset
	s_wait_xcnt 0x0
	s_or_b32 exec_lo, exec_lo, s17
	s_and_saveexec_b32 s17, s28
	s_cbranch_execz .LBB1553_243
.LBB1553_311:                           ;   in Loop: Header=BB1553_108 Depth=2
	v_dual_lshlrev_b32 v4, 2, v123 :: v_dual_add_nc_u32 v5, v10, v100
	ds_load_b32 v6, v4
	ds_load_b64 v[4:5], v5 offset:25088
	s_wait_dscnt 0x1
	v_add_nc_u32_e32 v6, v6, v83
	s_wait_dscnt 0x0
	global_store_b64 v6, v[4:5], s[44:45] scale_offset
	s_wait_xcnt 0x0
	s_or_b32 exec_lo, exec_lo, s17
	s_and_saveexec_b32 s17, s29
	s_cbranch_execz .LBB1553_244
.LBB1553_312:                           ;   in Loop: Header=BB1553_108 Depth=2
	v_dual_lshlrev_b32 v4, 2, v122 :: v_dual_add_nc_u32 v5, v10, v100
	ds_load_b32 v6, v4
	ds_load_b64 v[4:5], v5 offset:27136
	s_wait_dscnt 0x1
	v_add_nc_u32_e32 v6, v6, v84
	s_wait_dscnt 0x0
	global_store_b64 v6, v[4:5], s[44:45] scale_offset
	s_wait_xcnt 0x0
	s_or_b32 exec_lo, exec_lo, s17
	s_and_saveexec_b32 s17, s30
	s_cbranch_execz .LBB1553_245
.LBB1553_313:                           ;   in Loop: Header=BB1553_108 Depth=2
	v_dual_lshlrev_b32 v4, 2, v121 :: v_dual_add_nc_u32 v5, v10, v100
	ds_load_b32 v6, v4
	ds_load_b64 v[4:5], v5 offset:29184
	s_wait_dscnt 0x1
	v_add_nc_u32_e32 v6, v6, v85
	s_wait_dscnt 0x0
	global_store_b64 v6, v[4:5], s[44:45] scale_offset
	s_wait_xcnt 0x0
	s_or_b32 exec_lo, exec_lo, s17
	s_and_saveexec_b32 s17, s31
	s_cbranch_execz .LBB1553_246
.LBB1553_314:                           ;   in Loop: Header=BB1553_108 Depth=2
	v_lshlrev_b32_e32 v4, 2, v120
	v_add_nc_u32_e32 v5, v10, v100
	ds_load_b32 v6, v4
	ds_load_b64 v[4:5], v5 offset:31232
	s_wait_dscnt 0x1
	v_add_nc_u32_e32 v6, v6, v86
	s_wait_dscnt 0x0
	global_store_b64 v6, v[4:5], s[44:45] scale_offset
	s_wait_xcnt 0x0
	s_or_b32 exec_lo, exec_lo, s17
	s_and_saveexec_b32 s17, s33
	s_cbranch_execnz .LBB1553_247
	s_branch .LBB1553_248
.LBB1553_315:                           ;   in Loop: Header=BB1553_108 Depth=2
	global_load_u8 v4, v[70:71], off
	v_dual_mov_b32 v5, v2 :: v_dual_mov_b32 v6, v2
	v_dual_mov_b32 v7, v2 :: v_dual_mov_b32 v8, v2
	s_wait_xcnt 0x0
	s_or_b32 exec_lo, exec_lo, s17
	s_delay_alu instid0(SALU_CYCLE_1)
	s_mov_b32 s17, exec_lo
	v_cmpx_gt_u32_e64 s59, v103
	s_cbranch_execz .LBB1553_113
.LBB1553_316:                           ;   in Loop: Header=BB1553_108 Depth=2
	global_load_u8 v3, v[70:71], off offset:32
	v_and_b32_e32 v8, 0xff, v8
	s_wait_loadcnt 0x0
	v_perm_b32 v4, v4, v3, 0x7060004
	s_wait_xcnt 0x0
	s_or_b32 exec_lo, exec_lo, s17
	s_delay_alu instid0(SALU_CYCLE_1)
	s_mov_b32 s17, exec_lo
	v_cmpx_gt_u32_e64 s59, v104
	s_cbranch_execz .LBB1553_114
.LBB1553_317:                           ;   in Loop: Header=BB1553_108 Depth=2
	global_load_u8 v3, v[70:71], off offset:64
	v_and_b32_e32 v8, 0xff, v8
	s_wait_loadcnt 0x0
	v_perm_b32 v4, v4, v3, 0x7000504
	s_wait_xcnt 0x0
	s_or_b32 exec_lo, exec_lo, s17
	s_delay_alu instid0(SALU_CYCLE_1)
	s_mov_b32 s17, exec_lo
	v_cmpx_gt_u32_e64 s59, v105
	s_cbranch_execz .LBB1553_115
.LBB1553_318:                           ;   in Loop: Header=BB1553_108 Depth=2
	global_load_u8 v3, v[70:71], off offset:96
	v_and_b32_e32 v8, 0xff, v8
	s_wait_loadcnt 0x0
	v_perm_b32 v4, v4, v3, 0x60504
	s_wait_xcnt 0x0
	s_or_b32 exec_lo, exec_lo, s17
	s_delay_alu instid0(SALU_CYCLE_1)
	s_mov_b32 s17, exec_lo
	v_cmpx_gt_u32_e64 s59, v106
	s_cbranch_execz .LBB1553_116
.LBB1553_319:                           ;   in Loop: Header=BB1553_108 Depth=2
	global_load_u8 v3, v[70:71], off offset:128
	v_and_b32_e32 v8, 0xff, v8
	s_wait_loadcnt 0x0
	v_perm_b32 v5, v3, v5, 0x3020104
	s_wait_xcnt 0x0
	s_or_b32 exec_lo, exec_lo, s17
	s_delay_alu instid0(SALU_CYCLE_1)
	s_mov_b32 s17, exec_lo
	v_cmpx_gt_u32_e64 s59, v107
	s_cbranch_execz .LBB1553_117
.LBB1553_320:                           ;   in Loop: Header=BB1553_108 Depth=2
	global_load_u8 v3, v[70:71], off offset:160
	v_and_b32_e32 v8, 0xff, v8
	s_wait_loadcnt 0x0
	v_perm_b32 v5, v5, v3, 0x7060004
	s_wait_xcnt 0x0
	s_or_b32 exec_lo, exec_lo, s17
	s_delay_alu instid0(SALU_CYCLE_1)
	s_mov_b32 s17, exec_lo
	v_cmpx_gt_u32_e64 s59, v108
	s_cbranch_execz .LBB1553_118
.LBB1553_321:                           ;   in Loop: Header=BB1553_108 Depth=2
	global_load_u8 v3, v[70:71], off offset:192
	v_and_b32_e32 v8, 0xff, v8
	s_wait_loadcnt 0x0
	v_perm_b32 v5, v5, v3, 0x7000504
	s_wait_xcnt 0x0
	s_or_b32 exec_lo, exec_lo, s17
	s_delay_alu instid0(SALU_CYCLE_1)
	s_mov_b32 s17, exec_lo
	v_cmpx_gt_u32_e64 s59, v109
	s_cbranch_execz .LBB1553_119
.LBB1553_322:                           ;   in Loop: Header=BB1553_108 Depth=2
	global_load_u8 v3, v[70:71], off offset:224
	v_and_b32_e32 v8, 0xff, v8
	s_wait_loadcnt 0x0
	v_perm_b32 v5, v5, v3, 0x60504
	s_wait_xcnt 0x0
	s_or_b32 exec_lo, exec_lo, s17
	s_delay_alu instid0(SALU_CYCLE_1)
	s_mov_b32 s17, exec_lo
	v_cmpx_gt_u32_e64 s59, v110
	s_cbranch_execz .LBB1553_120
.LBB1553_323:                           ;   in Loop: Header=BB1553_108 Depth=2
	global_load_u8 v3, v[70:71], off offset:256
	v_and_b32_e32 v8, 0xff, v8
	s_wait_loadcnt 0x0
	v_perm_b32 v6, v3, v6, 0x3020104
	s_wait_xcnt 0x0
	s_or_b32 exec_lo, exec_lo, s17
	s_delay_alu instid0(SALU_CYCLE_1)
	s_mov_b32 s17, exec_lo
	v_cmpx_gt_u32_e64 s59, v111
	s_cbranch_execz .LBB1553_121
.LBB1553_324:                           ;   in Loop: Header=BB1553_108 Depth=2
	global_load_u8 v3, v[70:71], off offset:288
	v_and_b32_e32 v8, 0xff, v8
	s_wait_loadcnt 0x0
	v_perm_b32 v6, v6, v3, 0x7060004
	s_wait_xcnt 0x0
	s_or_b32 exec_lo, exec_lo, s17
	s_delay_alu instid0(SALU_CYCLE_1)
	s_mov_b32 s17, exec_lo
	v_cmpx_gt_u32_e64 s59, v112
	s_cbranch_execz .LBB1553_122
.LBB1553_325:                           ;   in Loop: Header=BB1553_108 Depth=2
	global_load_u8 v3, v[70:71], off offset:320
	v_and_b32_e32 v8, 0xff, v8
	s_wait_loadcnt 0x0
	v_perm_b32 v6, v6, v3, 0x7000504
	s_wait_xcnt 0x0
	s_or_b32 exec_lo, exec_lo, s17
	s_delay_alu instid0(SALU_CYCLE_1)
	s_mov_b32 s17, exec_lo
	v_cmpx_gt_u32_e64 s59, v113
	s_cbranch_execz .LBB1553_123
.LBB1553_326:                           ;   in Loop: Header=BB1553_108 Depth=2
	global_load_u8 v3, v[70:71], off offset:352
	v_and_b32_e32 v8, 0xff, v8
	s_wait_loadcnt 0x0
	v_perm_b32 v6, v6, v3, 0x60504
	s_wait_xcnt 0x0
	s_or_b32 exec_lo, exec_lo, s17
	s_delay_alu instid0(SALU_CYCLE_1)
	s_mov_b32 s17, exec_lo
	v_cmpx_gt_u32_e64 s59, v114
	s_cbranch_execz .LBB1553_124
.LBB1553_327:                           ;   in Loop: Header=BB1553_108 Depth=2
	global_load_u8 v3, v[70:71], off offset:384
	v_and_b32_e32 v8, 0xff, v8
	s_wait_loadcnt 0x0
	v_perm_b32 v7, v3, v7, 0x3020104
	s_wait_xcnt 0x0
	s_or_b32 exec_lo, exec_lo, s17
	s_delay_alu instid0(SALU_CYCLE_1)
	s_mov_b32 s17, exec_lo
	v_cmpx_gt_u32_e64 s59, v115
	s_cbranch_execz .LBB1553_125
.LBB1553_328:                           ;   in Loop: Header=BB1553_108 Depth=2
	global_load_u8 v3, v[70:71], off offset:416
	v_and_b32_e32 v8, 0xff, v8
	s_wait_loadcnt 0x0
	v_perm_b32 v7, v7, v3, 0x7060004
	s_wait_xcnt 0x0
	s_or_b32 exec_lo, exec_lo, s17
	s_delay_alu instid0(SALU_CYCLE_1)
	s_mov_b32 s17, exec_lo
	v_cmpx_gt_u32_e64 s59, v116
	s_cbranch_execz .LBB1553_126
.LBB1553_329:                           ;   in Loop: Header=BB1553_108 Depth=2
	global_load_u8 v3, v[70:71], off offset:448
	v_and_b32_e32 v8, 0xff, v8
	s_wait_loadcnt 0x0
	v_perm_b32 v7, v7, v3, 0x7000504
	s_wait_xcnt 0x0
	s_or_b32 exec_lo, exec_lo, s17
	s_delay_alu instid0(SALU_CYCLE_1)
	s_mov_b32 s17, exec_lo
	v_cmpx_gt_u32_e64 s59, v117
	s_cbranch_execnz .LBB1553_127
	s_branch .LBB1553_128
.LBB1553_330:                           ;   in Loop: Header=BB1553_20 Depth=1
	s_wait_dscnt 0x0
	s_barrier_signal -1
	s_mov_b32 s8, 0
	s_barrier_wait -1
.LBB1553_331:                           ;   in Loop: Header=BB1553_20 Depth=1
	s_and_b32 vcc_lo, exec_lo, s8
	s_cbranch_vccz .LBB1553_641
; %bb.332:                              ;   in Loop: Header=BB1553_20 Depth=1
	v_dual_mov_b32 v40, 0 :: v_dual_mov_b32 v43, 0
	v_dual_mov_b32 v42, 0 :: v_dual_mov_b32 v41, 0
	;; [unrolled: 1-line block ×8, first 2 shown]
	v_mov_b32_e32 v3, 0
	s_mov_b32 s8, s56
	s_mov_b32 s42, s54
	s_barrier_signal -1
	s_barrier_wait -1
	s_branch .LBB1553_334
.LBB1553_333:                           ;   in Loop: Header=BB1553_334 Depth=2
	s_or_b32 exec_lo, exec_lo, s10
	s_addk_co_i32 s8, 0xef00
	s_cmp_ge_u32 s9, s51
	s_mov_b32 s42, s9
	s_cbranch_scc1 .LBB1553_406
.LBB1553_334:                           ;   Parent Loop BB1553_20 Depth=1
                                        ; =>  This Inner Loop Header: Depth=2
	s_add_co_i32 s9, s42, 0x1100
	s_mov_b32 s10, -1
	s_cmp_gt_u32 s9, s51
                                        ; implicit-def: $vgpr4
                                        ; implicit-def: $vgpr5
                                        ; implicit-def: $vgpr44
                                        ; implicit-def: $vgpr45
                                        ; implicit-def: $vgpr46
                                        ; implicit-def: $vgpr47
                                        ; implicit-def: $vgpr48
                                        ; implicit-def: $vgpr49
                                        ; implicit-def: $vgpr50
                                        ; implicit-def: $vgpr51
                                        ; implicit-def: $vgpr52
                                        ; implicit-def: $vgpr53
                                        ; implicit-def: $vgpr54
                                        ; implicit-def: $vgpr55
                                        ; implicit-def: $vgpr56
                                        ; implicit-def: $vgpr57
                                        ; implicit-def: $vgpr58
	s_cbranch_scc1 .LBB1553_336
; %bb.335:                              ;   in Loop: Header=BB1553_334 Depth=2
	v_add_nc_u64_e32 v[60:61], s[42:43], v[18:19]
	s_mov_b32 s10, 0
	s_clause 0x10
	global_load_u8 v58, v[60:61], off offset:4096
	global_load_u8 v57, v[60:61], off offset:3840
	;; [unrolled: 1-line block ×16, first 2 shown]
	global_load_u8 v4, v[60:61], off
.LBB1553_336:                           ;   in Loop: Header=BB1553_334 Depth=2
	s_and_not1_b32 vcc_lo, exec_lo, s10
	s_movk_i32 s10, 0x1100
	s_cbranch_vccnz .LBB1553_356
; %bb.337:                              ;   in Loop: Header=BB1553_334 Depth=2
	s_add_nc_u64 s[10:11], s[38:39], s[42:43]
	s_wait_loadcnt 0x0
	v_add_nc_u64_e32 v[4:5], s[10:11], v[10:11]
	s_mov_b32 s10, exec_lo
	s_wait_xcnt 0x0
	v_cmpx_gt_u32_e64 s8, v10
	s_cbranch_execnz .LBB1553_390
; %bb.338:                              ;   in Loop: Header=BB1553_334 Depth=2
	s_or_b32 exec_lo, exec_lo, s10
	s_delay_alu instid0(SALU_CYCLE_1)
	s_mov_b32 s10, exec_lo
	v_cmpx_gt_u32_e64 s8, v72
	s_cbranch_execnz .LBB1553_391
.LBB1553_339:                           ;   in Loop: Header=BB1553_334 Depth=2
	s_or_b32 exec_lo, exec_lo, s10
	s_delay_alu instid0(SALU_CYCLE_1)
	s_mov_b32 s10, exec_lo
	v_cmpx_gt_u32_e64 s8, v73
	s_cbranch_execnz .LBB1553_392
.LBB1553_340:                           ;   in Loop: Header=BB1553_334 Depth=2
	s_or_b32 exec_lo, exec_lo, s10
	s_delay_alu instid0(SALU_CYCLE_1)
	s_mov_b32 s10, exec_lo
	v_cmpx_gt_u32_e64 s8, v74
	s_cbranch_execnz .LBB1553_393
.LBB1553_341:                           ;   in Loop: Header=BB1553_334 Depth=2
	s_or_b32 exec_lo, exec_lo, s10
	s_delay_alu instid0(SALU_CYCLE_1)
	s_mov_b32 s10, exec_lo
	v_cmpx_gt_u32_e64 s8, v75
	s_cbranch_execnz .LBB1553_394
.LBB1553_342:                           ;   in Loop: Header=BB1553_334 Depth=2
	s_or_b32 exec_lo, exec_lo, s10
	s_delay_alu instid0(SALU_CYCLE_1)
	s_mov_b32 s10, exec_lo
	v_cmpx_gt_u32_e64 s8, v76
	s_cbranch_execnz .LBB1553_395
.LBB1553_343:                           ;   in Loop: Header=BB1553_334 Depth=2
	s_or_b32 exec_lo, exec_lo, s10
	s_delay_alu instid0(SALU_CYCLE_1)
	s_mov_b32 s10, exec_lo
	v_cmpx_gt_u32_e64 s8, v77
	s_cbranch_execnz .LBB1553_396
.LBB1553_344:                           ;   in Loop: Header=BB1553_334 Depth=2
	s_or_b32 exec_lo, exec_lo, s10
	s_delay_alu instid0(SALU_CYCLE_1)
	s_mov_b32 s10, exec_lo
	v_cmpx_gt_u32_e64 s8, v78
	s_cbranch_execnz .LBB1553_397
.LBB1553_345:                           ;   in Loop: Header=BB1553_334 Depth=2
	s_or_b32 exec_lo, exec_lo, s10
	s_delay_alu instid0(SALU_CYCLE_1)
	s_mov_b32 s10, exec_lo
	v_cmpx_gt_u32_e64 s8, v79
	s_cbranch_execnz .LBB1553_398
.LBB1553_346:                           ;   in Loop: Header=BB1553_334 Depth=2
	s_or_b32 exec_lo, exec_lo, s10
	s_delay_alu instid0(SALU_CYCLE_1)
	s_mov_b32 s10, exec_lo
	v_cmpx_gt_u32_e64 s8, v80
	s_cbranch_execnz .LBB1553_399
.LBB1553_347:                           ;   in Loop: Header=BB1553_334 Depth=2
	s_or_b32 exec_lo, exec_lo, s10
	s_delay_alu instid0(SALU_CYCLE_1)
	s_mov_b32 s10, exec_lo
	v_cmpx_gt_u32_e64 s8, v81
	s_cbranch_execnz .LBB1553_400
.LBB1553_348:                           ;   in Loop: Header=BB1553_334 Depth=2
	s_or_b32 exec_lo, exec_lo, s10
	s_delay_alu instid0(SALU_CYCLE_1)
	s_mov_b32 s10, exec_lo
	v_cmpx_gt_u32_e64 s8, v82
	s_cbranch_execnz .LBB1553_401
.LBB1553_349:                           ;   in Loop: Header=BB1553_334 Depth=2
	s_or_b32 exec_lo, exec_lo, s10
	s_delay_alu instid0(SALU_CYCLE_1)
	s_mov_b32 s10, exec_lo
	v_cmpx_gt_u32_e64 s8, v83
	s_cbranch_execnz .LBB1553_402
.LBB1553_350:                           ;   in Loop: Header=BB1553_334 Depth=2
	s_or_b32 exec_lo, exec_lo, s10
	s_delay_alu instid0(SALU_CYCLE_1)
	s_mov_b32 s10, exec_lo
	v_cmpx_gt_u32_e64 s8, v84
	s_cbranch_execnz .LBB1553_403
.LBB1553_351:                           ;   in Loop: Header=BB1553_334 Depth=2
	s_or_b32 exec_lo, exec_lo, s10
	s_delay_alu instid0(SALU_CYCLE_1)
	s_mov_b32 s10, exec_lo
	v_cmpx_gt_u32_e64 s8, v85
	s_cbranch_execnz .LBB1553_404
.LBB1553_352:                           ;   in Loop: Header=BB1553_334 Depth=2
	s_or_b32 exec_lo, exec_lo, s10
	s_delay_alu instid0(SALU_CYCLE_1)
	s_mov_b32 s10, exec_lo
	v_cmpx_gt_u32_e64 s8, v86
	s_cbranch_execnz .LBB1553_405
.LBB1553_353:                           ;   in Loop: Header=BB1553_334 Depth=2
	s_or_b32 exec_lo, exec_lo, s10
	s_delay_alu instid0(SALU_CYCLE_1)
	s_mov_b32 s10, exec_lo
	v_cmpx_gt_u32_e64 s8, v87
	s_cbranch_execz .LBB1553_355
.LBB1553_354:                           ;   in Loop: Header=BB1553_334 Depth=2
	global_load_u8 v3, v[4:5], off offset:4096
.LBB1553_355:                           ;   in Loop: Header=BB1553_334 Depth=2
	s_wait_xcnt 0x0
	s_or_b32 exec_lo, exec_lo, s10
	s_wait_loadcnt 0x0
	v_dual_mov_b32 v4, v40 :: v_dual_mov_b32 v5, v43
	v_dual_mov_b32 v44, v42 :: v_dual_mov_b32 v45, v41
	;; [unrolled: 1-line block ×8, first 2 shown]
	v_mov_b32_e32 v58, v3
	s_mov_b32 s10, s8
.LBB1553_356:                           ;   in Loop: Header=BB1553_334 Depth=2
	s_wait_loadcnt 0xf
	s_delay_alu instid0(VALU_DEP_1)
	v_dual_mov_b32 v3, v58 :: v_dual_mov_b32 v6, v57
	s_wait_loadcnt 0xd
	v_dual_mov_b32 v7, v56 :: v_dual_mov_b32 v8, v55
	s_wait_loadcnt 0xb
	;; [unrolled: 2-line block ×8, first 2 shown]
	v_mov_b32_e32 v40, v4
	s_mov_b32 s11, exec_lo
	s_wait_xcnt 0x0
	v_cmpx_gt_u32_e64 s10, v10
	s_cbranch_execnz .LBB1553_373
; %bb.357:                              ;   in Loop: Header=BB1553_334 Depth=2
	s_or_b32 exec_lo, exec_lo, s11
	s_delay_alu instid0(SALU_CYCLE_1)
	s_mov_b32 s11, exec_lo
	v_cmpx_gt_u32_e64 s10, v72
	s_cbranch_execnz .LBB1553_374
.LBB1553_358:                           ;   in Loop: Header=BB1553_334 Depth=2
	s_or_b32 exec_lo, exec_lo, s11
	s_delay_alu instid0(SALU_CYCLE_1)
	s_mov_b32 s11, exec_lo
	v_cmpx_gt_u32_e64 s10, v73
	s_cbranch_execnz .LBB1553_375
.LBB1553_359:                           ;   in Loop: Header=BB1553_334 Depth=2
	s_or_b32 exec_lo, exec_lo, s11
	s_delay_alu instid0(SALU_CYCLE_1)
	s_mov_b32 s11, exec_lo
	v_cmpx_gt_u32_e64 s10, v74
	s_cbranch_execnz .LBB1553_376
.LBB1553_360:                           ;   in Loop: Header=BB1553_334 Depth=2
	s_or_b32 exec_lo, exec_lo, s11
	s_delay_alu instid0(SALU_CYCLE_1)
	s_mov_b32 s11, exec_lo
	v_cmpx_gt_u32_e64 s10, v75
	s_cbranch_execnz .LBB1553_377
.LBB1553_361:                           ;   in Loop: Header=BB1553_334 Depth=2
	s_or_b32 exec_lo, exec_lo, s11
	s_delay_alu instid0(SALU_CYCLE_1)
	s_mov_b32 s11, exec_lo
	v_cmpx_gt_u32_e64 s10, v76
	s_cbranch_execnz .LBB1553_378
.LBB1553_362:                           ;   in Loop: Header=BB1553_334 Depth=2
	s_or_b32 exec_lo, exec_lo, s11
	s_delay_alu instid0(SALU_CYCLE_1)
	s_mov_b32 s11, exec_lo
	v_cmpx_gt_u32_e64 s10, v77
	s_cbranch_execnz .LBB1553_379
.LBB1553_363:                           ;   in Loop: Header=BB1553_334 Depth=2
	s_or_b32 exec_lo, exec_lo, s11
	s_delay_alu instid0(SALU_CYCLE_1)
	s_mov_b32 s11, exec_lo
	v_cmpx_gt_u32_e64 s10, v78
	s_cbranch_execnz .LBB1553_380
.LBB1553_364:                           ;   in Loop: Header=BB1553_334 Depth=2
	s_or_b32 exec_lo, exec_lo, s11
	s_delay_alu instid0(SALU_CYCLE_1)
	s_mov_b32 s11, exec_lo
	v_cmpx_gt_u32_e64 s10, v79
	s_cbranch_execnz .LBB1553_381
.LBB1553_365:                           ;   in Loop: Header=BB1553_334 Depth=2
	s_or_b32 exec_lo, exec_lo, s11
	s_delay_alu instid0(SALU_CYCLE_1)
	s_mov_b32 s11, exec_lo
	v_cmpx_gt_u32_e64 s10, v80
	s_cbranch_execnz .LBB1553_382
.LBB1553_366:                           ;   in Loop: Header=BB1553_334 Depth=2
	s_or_b32 exec_lo, exec_lo, s11
	s_delay_alu instid0(SALU_CYCLE_1)
	s_mov_b32 s11, exec_lo
	v_cmpx_gt_u32_e64 s10, v81
	s_cbranch_execnz .LBB1553_383
.LBB1553_367:                           ;   in Loop: Header=BB1553_334 Depth=2
	s_or_b32 exec_lo, exec_lo, s11
	s_delay_alu instid0(SALU_CYCLE_1)
	s_mov_b32 s11, exec_lo
	v_cmpx_gt_u32_e64 s10, v82
	s_cbranch_execnz .LBB1553_384
.LBB1553_368:                           ;   in Loop: Header=BB1553_334 Depth=2
	s_or_b32 exec_lo, exec_lo, s11
	s_delay_alu instid0(SALU_CYCLE_1)
	s_mov_b32 s11, exec_lo
	v_cmpx_gt_u32_e64 s10, v83
	s_cbranch_execnz .LBB1553_385
.LBB1553_369:                           ;   in Loop: Header=BB1553_334 Depth=2
	s_or_b32 exec_lo, exec_lo, s11
	s_delay_alu instid0(SALU_CYCLE_1)
	s_mov_b32 s11, exec_lo
	v_cmpx_gt_u32_e64 s10, v84
	s_cbranch_execnz .LBB1553_386
.LBB1553_370:                           ;   in Loop: Header=BB1553_334 Depth=2
	s_or_b32 exec_lo, exec_lo, s11
	s_delay_alu instid0(SALU_CYCLE_1)
	s_mov_b32 s11, exec_lo
	v_cmpx_gt_u32_e64 s10, v85
	s_cbranch_execnz .LBB1553_387
.LBB1553_371:                           ;   in Loop: Header=BB1553_334 Depth=2
	s_or_b32 exec_lo, exec_lo, s11
	s_delay_alu instid0(SALU_CYCLE_1)
	s_mov_b32 s11, exec_lo
	v_cmpx_gt_u32_e64 s10, v86
	s_cbranch_execnz .LBB1553_388
.LBB1553_372:                           ;   in Loop: Header=BB1553_334 Depth=2
	s_or_b32 exec_lo, exec_lo, s11
	v_cmp_gt_u32_e32 vcc_lo, s10, v87
	s_and_saveexec_b32 s10, vcc_lo
	s_cbranch_execz .LBB1553_333
	s_branch .LBB1553_389
.LBB1553_373:                           ;   in Loop: Header=BB1553_334 Depth=2
	v_bitop3_b16 v4, v40, 1, v40 bitop3:0xc
	s_delay_alu instid0(VALU_DEP_1) | instskip(NEXT) | instid1(VALU_DEP_1)
	v_and_b32_e32 v4, 0xffff, v4
	v_lshrrev_b32_e32 v4, s57, v4
	s_delay_alu instid0(VALU_DEP_1) | instskip(NEXT) | instid1(VALU_DEP_1)
	v_and_b32_e32 v4, s58, v4
	v_lshl_or_b32 v4, v4, 4, v89
	ds_add_u32 v4, v15
	s_or_b32 exec_lo, exec_lo, s11
	s_delay_alu instid0(SALU_CYCLE_1)
	s_mov_b32 s11, exec_lo
	v_cmpx_gt_u32_e64 s10, v72
	s_cbranch_execz .LBB1553_358
.LBB1553_374:                           ;   in Loop: Header=BB1553_334 Depth=2
	v_bitop3_b16 v4, v43, 1, v43 bitop3:0xc
	s_delay_alu instid0(VALU_DEP_1) | instskip(NEXT) | instid1(VALU_DEP_1)
	v_and_b32_e32 v4, 0xffff, v4
	v_lshrrev_b32_e32 v4, s57, v4
	s_delay_alu instid0(VALU_DEP_1) | instskip(NEXT) | instid1(VALU_DEP_1)
	v_and_b32_e32 v4, s58, v4
	v_lshl_or_b32 v4, v4, 4, v89
	ds_add_u32 v4, v15
	s_or_b32 exec_lo, exec_lo, s11
	s_delay_alu instid0(SALU_CYCLE_1)
	s_mov_b32 s11, exec_lo
	v_cmpx_gt_u32_e64 s10, v73
	s_cbranch_execz .LBB1553_359
.LBB1553_375:                           ;   in Loop: Header=BB1553_334 Depth=2
	v_bitop3_b16 v4, v42, 1, v42 bitop3:0xc
	s_delay_alu instid0(VALU_DEP_1) | instskip(NEXT) | instid1(VALU_DEP_1)
	v_and_b32_e32 v4, 0xffff, v4
	v_lshrrev_b32_e32 v4, s57, v4
	s_delay_alu instid0(VALU_DEP_1) | instskip(NEXT) | instid1(VALU_DEP_1)
	v_and_b32_e32 v4, s58, v4
	v_lshl_or_b32 v4, v4, 4, v89
	ds_add_u32 v4, v15
	s_or_b32 exec_lo, exec_lo, s11
	s_delay_alu instid0(SALU_CYCLE_1)
	s_mov_b32 s11, exec_lo
	v_cmpx_gt_u32_e64 s10, v74
	s_cbranch_execz .LBB1553_360
.LBB1553_376:                           ;   in Loop: Header=BB1553_334 Depth=2
	v_bitop3_b16 v4, v41, 1, v41 bitop3:0xc
	s_delay_alu instid0(VALU_DEP_1) | instskip(NEXT) | instid1(VALU_DEP_1)
	v_and_b32_e32 v4, 0xffff, v4
	v_lshrrev_b32_e32 v4, s57, v4
	s_delay_alu instid0(VALU_DEP_1) | instskip(NEXT) | instid1(VALU_DEP_1)
	v_and_b32_e32 v4, s58, v4
	v_lshl_or_b32 v4, v4, 4, v89
	ds_add_u32 v4, v15
	s_or_b32 exec_lo, exec_lo, s11
	s_delay_alu instid0(SALU_CYCLE_1)
	s_mov_b32 s11, exec_lo
	v_cmpx_gt_u32_e64 s10, v75
	s_cbranch_execz .LBB1553_361
.LBB1553_377:                           ;   in Loop: Header=BB1553_334 Depth=2
	v_bitop3_b16 v4, v39, 1, v39 bitop3:0xc
	s_delay_alu instid0(VALU_DEP_1) | instskip(NEXT) | instid1(VALU_DEP_1)
	v_and_b32_e32 v4, 0xffff, v4
	v_lshrrev_b32_e32 v4, s57, v4
	s_delay_alu instid0(VALU_DEP_1) | instskip(NEXT) | instid1(VALU_DEP_1)
	v_and_b32_e32 v4, s58, v4
	v_lshl_or_b32 v4, v4, 4, v89
	ds_add_u32 v4, v15
	s_or_b32 exec_lo, exec_lo, s11
	s_delay_alu instid0(SALU_CYCLE_1)
	s_mov_b32 s11, exec_lo
	v_cmpx_gt_u32_e64 s10, v76
	s_cbranch_execz .LBB1553_362
.LBB1553_378:                           ;   in Loop: Header=BB1553_334 Depth=2
	v_bitop3_b16 v4, v38, 1, v38 bitop3:0xc
	s_delay_alu instid0(VALU_DEP_1) | instskip(NEXT) | instid1(VALU_DEP_1)
	v_and_b32_e32 v4, 0xffff, v4
	v_lshrrev_b32_e32 v4, s57, v4
	s_delay_alu instid0(VALU_DEP_1) | instskip(NEXT) | instid1(VALU_DEP_1)
	v_and_b32_e32 v4, s58, v4
	v_lshl_or_b32 v4, v4, 4, v89
	ds_add_u32 v4, v15
	s_or_b32 exec_lo, exec_lo, s11
	s_delay_alu instid0(SALU_CYCLE_1)
	s_mov_b32 s11, exec_lo
	v_cmpx_gt_u32_e64 s10, v77
	s_cbranch_execz .LBB1553_363
.LBB1553_379:                           ;   in Loop: Header=BB1553_334 Depth=2
	v_bitop3_b16 v4, v37, 1, v37 bitop3:0xc
	s_delay_alu instid0(VALU_DEP_1) | instskip(NEXT) | instid1(VALU_DEP_1)
	v_and_b32_e32 v4, 0xffff, v4
	v_lshrrev_b32_e32 v4, s57, v4
	s_delay_alu instid0(VALU_DEP_1) | instskip(NEXT) | instid1(VALU_DEP_1)
	v_and_b32_e32 v4, s58, v4
	v_lshl_or_b32 v4, v4, 4, v89
	ds_add_u32 v4, v15
	s_or_b32 exec_lo, exec_lo, s11
	s_delay_alu instid0(SALU_CYCLE_1)
	s_mov_b32 s11, exec_lo
	v_cmpx_gt_u32_e64 s10, v78
	s_cbranch_execz .LBB1553_364
.LBB1553_380:                           ;   in Loop: Header=BB1553_334 Depth=2
	v_bitop3_b16 v4, v36, 1, v36 bitop3:0xc
	s_delay_alu instid0(VALU_DEP_1) | instskip(NEXT) | instid1(VALU_DEP_1)
	v_and_b32_e32 v4, 0xffff, v4
	v_lshrrev_b32_e32 v4, s57, v4
	s_delay_alu instid0(VALU_DEP_1) | instskip(NEXT) | instid1(VALU_DEP_1)
	v_and_b32_e32 v4, s58, v4
	v_lshl_or_b32 v4, v4, 4, v89
	ds_add_u32 v4, v15
	s_or_b32 exec_lo, exec_lo, s11
	s_delay_alu instid0(SALU_CYCLE_1)
	s_mov_b32 s11, exec_lo
	v_cmpx_gt_u32_e64 s10, v79
	s_cbranch_execz .LBB1553_365
.LBB1553_381:                           ;   in Loop: Header=BB1553_334 Depth=2
	v_bitop3_b16 v4, v35, 1, v35 bitop3:0xc
	s_delay_alu instid0(VALU_DEP_1) | instskip(NEXT) | instid1(VALU_DEP_1)
	v_and_b32_e32 v4, 0xffff, v4
	v_lshrrev_b32_e32 v4, s57, v4
	s_delay_alu instid0(VALU_DEP_1) | instskip(NEXT) | instid1(VALU_DEP_1)
	v_and_b32_e32 v4, s58, v4
	v_lshl_or_b32 v4, v4, 4, v89
	ds_add_u32 v4, v15
	s_or_b32 exec_lo, exec_lo, s11
	s_delay_alu instid0(SALU_CYCLE_1)
	s_mov_b32 s11, exec_lo
	v_cmpx_gt_u32_e64 s10, v80
	s_cbranch_execz .LBB1553_366
.LBB1553_382:                           ;   in Loop: Header=BB1553_334 Depth=2
	v_bitop3_b16 v4, v34, 1, v34 bitop3:0xc
	s_delay_alu instid0(VALU_DEP_1) | instskip(NEXT) | instid1(VALU_DEP_1)
	v_and_b32_e32 v4, 0xffff, v4
	v_lshrrev_b32_e32 v4, s57, v4
	s_delay_alu instid0(VALU_DEP_1) | instskip(NEXT) | instid1(VALU_DEP_1)
	v_and_b32_e32 v4, s58, v4
	v_lshl_or_b32 v4, v4, 4, v89
	ds_add_u32 v4, v15
	s_or_b32 exec_lo, exec_lo, s11
	s_delay_alu instid0(SALU_CYCLE_1)
	s_mov_b32 s11, exec_lo
	v_cmpx_gt_u32_e64 s10, v81
	s_cbranch_execz .LBB1553_367
.LBB1553_383:                           ;   in Loop: Header=BB1553_334 Depth=2
	v_bitop3_b16 v4, v33, 1, v33 bitop3:0xc
	s_delay_alu instid0(VALU_DEP_1) | instskip(NEXT) | instid1(VALU_DEP_1)
	v_and_b32_e32 v4, 0xffff, v4
	v_lshrrev_b32_e32 v4, s57, v4
	s_delay_alu instid0(VALU_DEP_1) | instskip(NEXT) | instid1(VALU_DEP_1)
	v_and_b32_e32 v4, s58, v4
	v_lshl_or_b32 v4, v4, 4, v89
	ds_add_u32 v4, v15
	s_or_b32 exec_lo, exec_lo, s11
	s_delay_alu instid0(SALU_CYCLE_1)
	s_mov_b32 s11, exec_lo
	v_cmpx_gt_u32_e64 s10, v82
	s_cbranch_execz .LBB1553_368
.LBB1553_384:                           ;   in Loop: Header=BB1553_334 Depth=2
	v_bitop3_b16 v4, v32, 1, v32 bitop3:0xc
	s_delay_alu instid0(VALU_DEP_1) | instskip(NEXT) | instid1(VALU_DEP_1)
	v_and_b32_e32 v4, 0xffff, v4
	v_lshrrev_b32_e32 v4, s57, v4
	s_delay_alu instid0(VALU_DEP_1) | instskip(NEXT) | instid1(VALU_DEP_1)
	v_and_b32_e32 v4, s58, v4
	v_lshl_or_b32 v4, v4, 4, v89
	ds_add_u32 v4, v15
	s_or_b32 exec_lo, exec_lo, s11
	s_delay_alu instid0(SALU_CYCLE_1)
	s_mov_b32 s11, exec_lo
	v_cmpx_gt_u32_e64 s10, v83
	s_cbranch_execz .LBB1553_369
.LBB1553_385:                           ;   in Loop: Header=BB1553_334 Depth=2
	v_bitop3_b16 v4, v31, 1, v31 bitop3:0xc
	s_delay_alu instid0(VALU_DEP_1) | instskip(NEXT) | instid1(VALU_DEP_1)
	v_and_b32_e32 v4, 0xffff, v4
	v_lshrrev_b32_e32 v4, s57, v4
	s_delay_alu instid0(VALU_DEP_1) | instskip(NEXT) | instid1(VALU_DEP_1)
	v_and_b32_e32 v4, s58, v4
	v_lshl_or_b32 v4, v4, 4, v89
	ds_add_u32 v4, v15
	s_or_b32 exec_lo, exec_lo, s11
	s_delay_alu instid0(SALU_CYCLE_1)
	s_mov_b32 s11, exec_lo
	v_cmpx_gt_u32_e64 s10, v84
	s_cbranch_execz .LBB1553_370
.LBB1553_386:                           ;   in Loop: Header=BB1553_334 Depth=2
	v_bitop3_b16 v4, v8, 1, v8 bitop3:0xc
	s_delay_alu instid0(VALU_DEP_1) | instskip(NEXT) | instid1(VALU_DEP_1)
	v_and_b32_e32 v4, 0xffff, v4
	v_lshrrev_b32_e32 v4, s57, v4
	s_delay_alu instid0(VALU_DEP_1) | instskip(NEXT) | instid1(VALU_DEP_1)
	v_and_b32_e32 v4, s58, v4
	v_lshl_or_b32 v4, v4, 4, v89
	ds_add_u32 v4, v15
	s_or_b32 exec_lo, exec_lo, s11
	s_delay_alu instid0(SALU_CYCLE_1)
	s_mov_b32 s11, exec_lo
	v_cmpx_gt_u32_e64 s10, v85
	s_cbranch_execz .LBB1553_371
.LBB1553_387:                           ;   in Loop: Header=BB1553_334 Depth=2
	v_bitop3_b16 v4, v7, 1, v7 bitop3:0xc
	s_delay_alu instid0(VALU_DEP_1) | instskip(NEXT) | instid1(VALU_DEP_1)
	v_and_b32_e32 v4, 0xffff, v4
	v_lshrrev_b32_e32 v4, s57, v4
	s_delay_alu instid0(VALU_DEP_1) | instskip(NEXT) | instid1(VALU_DEP_1)
	v_and_b32_e32 v4, s58, v4
	v_lshl_or_b32 v4, v4, 4, v89
	ds_add_u32 v4, v15
	s_or_b32 exec_lo, exec_lo, s11
	s_delay_alu instid0(SALU_CYCLE_1)
	s_mov_b32 s11, exec_lo
	v_cmpx_gt_u32_e64 s10, v86
	s_cbranch_execz .LBB1553_372
.LBB1553_388:                           ;   in Loop: Header=BB1553_334 Depth=2
	v_bitop3_b16 v4, v6, 1, v6 bitop3:0xc
	s_delay_alu instid0(VALU_DEP_1) | instskip(NEXT) | instid1(VALU_DEP_1)
	v_and_b32_e32 v4, 0xffff, v4
	v_lshrrev_b32_e32 v4, s57, v4
	s_delay_alu instid0(VALU_DEP_1) | instskip(NEXT) | instid1(VALU_DEP_1)
	v_and_b32_e32 v4, s58, v4
	v_lshl_or_b32 v4, v4, 4, v89
	ds_add_u32 v4, v15
	s_or_b32 exec_lo, exec_lo, s11
	v_cmp_gt_u32_e32 vcc_lo, s10, v87
	s_and_saveexec_b32 s10, vcc_lo
	s_cbranch_execz .LBB1553_333
.LBB1553_389:                           ;   in Loop: Header=BB1553_334 Depth=2
	v_bitop3_b16 v4, v3, 1, v3 bitop3:0xc
	s_delay_alu instid0(VALU_DEP_1) | instskip(NEXT) | instid1(VALU_DEP_1)
	v_and_b32_e32 v4, 0xffff, v4
	v_lshrrev_b32_e32 v4, s57, v4
	s_delay_alu instid0(VALU_DEP_1) | instskip(NEXT) | instid1(VALU_DEP_1)
	v_and_b32_e32 v4, s58, v4
	v_lshl_or_b32 v4, v4, 4, v89
	ds_add_u32 v4, v15
	s_branch .LBB1553_333
.LBB1553_390:                           ;   in Loop: Header=BB1553_334 Depth=2
	global_load_u8 v40, v[4:5], off
	s_wait_xcnt 0x0
	s_or_b32 exec_lo, exec_lo, s10
	s_delay_alu instid0(SALU_CYCLE_1)
	s_mov_b32 s10, exec_lo
	v_cmpx_gt_u32_e64 s8, v72
	s_cbranch_execz .LBB1553_339
.LBB1553_391:                           ;   in Loop: Header=BB1553_334 Depth=2
	global_load_u8 v43, v[4:5], off offset:256
	s_wait_xcnt 0x0
	s_or_b32 exec_lo, exec_lo, s10
	s_delay_alu instid0(SALU_CYCLE_1)
	s_mov_b32 s10, exec_lo
	v_cmpx_gt_u32_e64 s8, v73
	s_cbranch_execz .LBB1553_340
.LBB1553_392:                           ;   in Loop: Header=BB1553_334 Depth=2
	global_load_u8 v42, v[4:5], off offset:512
	s_wait_xcnt 0x0
	s_or_b32 exec_lo, exec_lo, s10
	s_delay_alu instid0(SALU_CYCLE_1)
	s_mov_b32 s10, exec_lo
	v_cmpx_gt_u32_e64 s8, v74
	s_cbranch_execz .LBB1553_341
.LBB1553_393:                           ;   in Loop: Header=BB1553_334 Depth=2
	global_load_u8 v41, v[4:5], off offset:768
	s_wait_xcnt 0x0
	s_or_b32 exec_lo, exec_lo, s10
	s_delay_alu instid0(SALU_CYCLE_1)
	s_mov_b32 s10, exec_lo
	v_cmpx_gt_u32_e64 s8, v75
	s_cbranch_execz .LBB1553_342
.LBB1553_394:                           ;   in Loop: Header=BB1553_334 Depth=2
	global_load_u8 v39, v[4:5], off offset:1024
	s_wait_xcnt 0x0
	s_or_b32 exec_lo, exec_lo, s10
	s_delay_alu instid0(SALU_CYCLE_1)
	s_mov_b32 s10, exec_lo
	v_cmpx_gt_u32_e64 s8, v76
	s_cbranch_execz .LBB1553_343
.LBB1553_395:                           ;   in Loop: Header=BB1553_334 Depth=2
	global_load_u8 v38, v[4:5], off offset:1280
	s_wait_xcnt 0x0
	s_or_b32 exec_lo, exec_lo, s10
	s_delay_alu instid0(SALU_CYCLE_1)
	s_mov_b32 s10, exec_lo
	v_cmpx_gt_u32_e64 s8, v77
	s_cbranch_execz .LBB1553_344
.LBB1553_396:                           ;   in Loop: Header=BB1553_334 Depth=2
	global_load_u8 v37, v[4:5], off offset:1536
	s_wait_xcnt 0x0
	s_or_b32 exec_lo, exec_lo, s10
	s_delay_alu instid0(SALU_CYCLE_1)
	s_mov_b32 s10, exec_lo
	v_cmpx_gt_u32_e64 s8, v78
	s_cbranch_execz .LBB1553_345
.LBB1553_397:                           ;   in Loop: Header=BB1553_334 Depth=2
	global_load_u8 v36, v[4:5], off offset:1792
	s_wait_xcnt 0x0
	s_or_b32 exec_lo, exec_lo, s10
	s_delay_alu instid0(SALU_CYCLE_1)
	s_mov_b32 s10, exec_lo
	v_cmpx_gt_u32_e64 s8, v79
	s_cbranch_execz .LBB1553_346
.LBB1553_398:                           ;   in Loop: Header=BB1553_334 Depth=2
	global_load_u8 v35, v[4:5], off offset:2048
	s_wait_xcnt 0x0
	s_or_b32 exec_lo, exec_lo, s10
	s_delay_alu instid0(SALU_CYCLE_1)
	s_mov_b32 s10, exec_lo
	v_cmpx_gt_u32_e64 s8, v80
	s_cbranch_execz .LBB1553_347
.LBB1553_399:                           ;   in Loop: Header=BB1553_334 Depth=2
	global_load_u8 v34, v[4:5], off offset:2304
	s_wait_xcnt 0x0
	s_or_b32 exec_lo, exec_lo, s10
	s_delay_alu instid0(SALU_CYCLE_1)
	s_mov_b32 s10, exec_lo
	v_cmpx_gt_u32_e64 s8, v81
	s_cbranch_execz .LBB1553_348
.LBB1553_400:                           ;   in Loop: Header=BB1553_334 Depth=2
	global_load_u8 v33, v[4:5], off offset:2560
	s_wait_xcnt 0x0
	s_or_b32 exec_lo, exec_lo, s10
	s_delay_alu instid0(SALU_CYCLE_1)
	s_mov_b32 s10, exec_lo
	v_cmpx_gt_u32_e64 s8, v82
	s_cbranch_execz .LBB1553_349
.LBB1553_401:                           ;   in Loop: Header=BB1553_334 Depth=2
	global_load_u8 v32, v[4:5], off offset:2816
	s_wait_xcnt 0x0
	s_or_b32 exec_lo, exec_lo, s10
	s_delay_alu instid0(SALU_CYCLE_1)
	s_mov_b32 s10, exec_lo
	v_cmpx_gt_u32_e64 s8, v83
	s_cbranch_execz .LBB1553_350
.LBB1553_402:                           ;   in Loop: Header=BB1553_334 Depth=2
	global_load_u8 v31, v[4:5], off offset:3072
	s_wait_xcnt 0x0
	s_or_b32 exec_lo, exec_lo, s10
	s_delay_alu instid0(SALU_CYCLE_1)
	s_mov_b32 s10, exec_lo
	v_cmpx_gt_u32_e64 s8, v84
	s_cbranch_execz .LBB1553_351
.LBB1553_403:                           ;   in Loop: Header=BB1553_334 Depth=2
	global_load_u8 v8, v[4:5], off offset:3328
	s_wait_xcnt 0x0
	s_or_b32 exec_lo, exec_lo, s10
	s_delay_alu instid0(SALU_CYCLE_1)
	s_mov_b32 s10, exec_lo
	v_cmpx_gt_u32_e64 s8, v85
	s_cbranch_execz .LBB1553_352
.LBB1553_404:                           ;   in Loop: Header=BB1553_334 Depth=2
	global_load_u8 v7, v[4:5], off offset:3584
	s_wait_xcnt 0x0
	s_or_b32 exec_lo, exec_lo, s10
	s_delay_alu instid0(SALU_CYCLE_1)
	s_mov_b32 s10, exec_lo
	v_cmpx_gt_u32_e64 s8, v86
	s_cbranch_execz .LBB1553_353
.LBB1553_405:                           ;   in Loop: Header=BB1553_334 Depth=2
	global_load_u8 v6, v[4:5], off offset:3840
	s_wait_xcnt 0x0
	s_or_b32 exec_lo, exec_lo, s10
	s_delay_alu instid0(SALU_CYCLE_1)
	s_mov_b32 s10, exec_lo
	v_cmpx_gt_u32_e64 s8, v87
	s_cbranch_execnz .LBB1553_354
	s_branch .LBB1553_355
.LBB1553_406:                           ;   in Loop: Header=BB1553_20 Depth=1
	v_mov_b32_e32 v3, 0
	s_wait_dscnt 0x0
	s_barrier_signal -1
	s_barrier_wait -1
	s_and_saveexec_b32 s8, s0
	s_cbranch_execz .LBB1553_408
; %bb.407:                              ;   in Loop: Header=BB1553_20 Depth=1
	ds_load_2addr_b64 v[4:7], v90 offset1:1
	s_wait_dscnt 0x0
	v_add_nc_u32_e32 v3, v5, v4
	s_delay_alu instid0(VALU_DEP_1)
	v_add3_u32 v3, v3, v6, v7
.LBB1553_408:                           ;   in Loop: Header=BB1553_20 Depth=1
	s_or_b32 exec_lo, exec_lo, s8
	v_and_b32_e32 v4, 15, v30
	s_delay_alu instid0(VALU_DEP_2) | instskip(NEXT) | instid1(VALU_DEP_2)
	v_mov_b32_dpp v5, v3 row_shr:1 row_mask:0xf bank_mask:0xf
	v_cmp_eq_u32_e64 s8, 0, v4
	s_delay_alu instid0(VALU_DEP_1) | instskip(NEXT) | instid1(VALU_DEP_1)
	v_cndmask_b32_e64 v5, v5, 0, s8
	v_add_nc_u32_e32 v3, v5, v3
	v_cmp_lt_u32_e64 s9, 1, v4
	v_cmp_lt_u32_e64 s10, 3, v4
	;; [unrolled: 1-line block ×3, first 2 shown]
	s_delay_alu instid0(VALU_DEP_4) | instskip(NEXT) | instid1(VALU_DEP_1)
	v_mov_b32_dpp v5, v3 row_shr:2 row_mask:0xf bank_mask:0xf
	v_cndmask_b32_e64 v5, 0, v5, s9
	s_delay_alu instid0(VALU_DEP_1) | instskip(NEXT) | instid1(VALU_DEP_1)
	v_add_nc_u32_e32 v3, v3, v5
	v_mov_b32_dpp v5, v3 row_shr:4 row_mask:0xf bank_mask:0xf
	s_delay_alu instid0(VALU_DEP_1) | instskip(NEXT) | instid1(VALU_DEP_1)
	v_cndmask_b32_e64 v5, 0, v5, s10
	v_add_nc_u32_e32 v3, v3, v5
	s_delay_alu instid0(VALU_DEP_1) | instskip(NEXT) | instid1(VALU_DEP_1)
	v_mov_b32_dpp v5, v3 row_shr:8 row_mask:0xf bank_mask:0xf
	v_cndmask_b32_e64 v4, 0, v5, s11
	v_bfe_i32 v5, v30, 4, 1
	s_delay_alu instid0(VALU_DEP_2) | instskip(SKIP_3) | instid1(VALU_DEP_1)
	v_add_nc_u32_e32 v3, v3, v4
	ds_swizzle_b32 v4, v3 offset:swizzle(BROADCAST,32,15)
	s_wait_dscnt 0x0
	v_and_b32_e32 v4, v5, v4
	v_dual_add_nc_u32 v3, v3, v4 :: v_dual_bitop2_b32 v6, 16, v30 bitop3:0x40
	s_delay_alu instid0(VALU_DEP_1)
	v_cmp_eq_u32_e64 s12, 0, v6
	s_and_saveexec_b32 s13, s1
; %bb.409:                              ;   in Loop: Header=BB1553_20 Depth=1
	ds_store_b32 v91, v3
; %bb.410:                              ;   in Loop: Header=BB1553_20 Depth=1
	s_or_b32 exec_lo, exec_lo, s13
	s_wait_dscnt 0x0
	s_barrier_signal -1
	s_barrier_wait -1
	s_and_saveexec_b32 s13, s4
	s_cbranch_execz .LBB1553_412
; %bb.411:                              ;   in Loop: Header=BB1553_20 Depth=1
	ds_load_b32 v4, v92
	v_and_b32_e32 v5, 3, v30
	s_delay_alu instid0(VALU_DEP_1) | instskip(SKIP_2) | instid1(VALU_DEP_1)
	v_cmp_ne_u32_e32 vcc_lo, 0, v5
	s_wait_dscnt 0x0
	v_mov_b32_dpp v6, v4 row_shr:1 row_mask:0xf bank_mask:0xf
	v_cndmask_b32_e32 v6, 0, v6, vcc_lo
	s_delay_alu instid0(VALU_DEP_1) | instskip(SKIP_1) | instid1(VALU_DEP_2)
	v_add_nc_u32_e32 v4, v6, v4
	v_cmp_lt_u32_e32 vcc_lo, 1, v5
	v_mov_b32_dpp v6, v4 row_shr:2 row_mask:0xf bank_mask:0xf
	s_delay_alu instid0(VALU_DEP_1) | instskip(NEXT) | instid1(VALU_DEP_1)
	v_cndmask_b32_e32 v5, 0, v6, vcc_lo
	v_add_nc_u32_e32 v4, v4, v5
	ds_store_b32 v92, v4
.LBB1553_412:                           ;   in Loop: Header=BB1553_20 Depth=1
	s_or_b32 exec_lo, exec_lo, s13
	v_mov_b32_e32 v4, 0
	s_wait_dscnt 0x0
	s_barrier_signal -1
	s_barrier_wait -1
	s_and_saveexec_b32 s13, s5
; %bb.413:                              ;   in Loop: Header=BB1553_20 Depth=1
	ds_load_b32 v4, v93
; %bb.414:                              ;   in Loop: Header=BB1553_20 Depth=1
	s_or_b32 exec_lo, exec_lo, s13
	v_sub_co_u32 v5, s13, v30, 1
	s_wait_dscnt 0x0
	s_barrier_signal -1
	s_barrier_wait -1
	s_delay_alu instid0(VALU_DEP_1) | instskip(SKIP_1) | instid1(VALU_DEP_1)
	v_cmp_gt_i32_e32 vcc_lo, 0, v5
	v_dual_add_nc_u32 v3, v4, v3 :: v_dual_cndmask_b32 v5, v5, v30, vcc_lo
	v_lshlrev_b32_e32 v101, 2, v5
	ds_bpermute_b32 v3, v101, v3
	s_and_saveexec_b32 s14, s0
	s_cbranch_execz .LBB1553_416
; %bb.415:                              ;   in Loop: Header=BB1553_20 Depth=1
	s_wait_dscnt 0x0
	v_cndmask_b32_e64 v3, v3, v4, s13
	s_delay_alu instid0(VALU_DEP_1)
	v_add_nc_u32_e32 v3, s54, v3
	ds_store_b32 v9, v3
.LBB1553_416:                           ;   in Loop: Header=BB1553_20 Depth=1
	s_or_b32 exec_lo, exec_lo, s14
	s_load_b64 s[14:15], s[52:53], 0x0
	s_wait_dscnt 0x0
	v_dual_mov_b32 v31, v2 :: v_dual_bitop2_b32 v3, 7, v30 bitop3:0x40
	v_dual_mov_b32 v5, v2 :: v_dual_lshlrev_b32 v4, 3, v30
	s_mov_b32 s59, s56
	s_delay_alu instid0(VALU_DEP_2) | instskip(NEXT) | instid1(VALU_DEP_3)
	v_cmp_lt_u32_e64 s16, 3, v3
	v_add_nc_u64_e32 v[34:35], v[22:23], v[30:31]
                                        ; implicit-def: $vgpr36_vgpr37
                                        ; implicit-def: $vgpr38_vgpr39
                                        ; implicit-def: $vgpr40_vgpr41
                                        ; implicit-def: $vgpr42_vgpr43
                                        ; implicit-def: $vgpr44_vgpr45
                                        ; implicit-def: $vgpr46_vgpr47
                                        ; implicit-def: $vgpr48_vgpr49
                                        ; implicit-def: $vgpr50_vgpr51
                                        ; implicit-def: $vgpr52_vgpr53
                                        ; implicit-def: $vgpr54_vgpr55
                                        ; implicit-def: $vgpr56_vgpr57
                                        ; implicit-def: $vgpr58_vgpr59
                                        ; implicit-def: $vgpr60_vgpr61
                                        ; implicit-def: $vgpr62_vgpr63
                                        ; implicit-def: $vgpr64_vgpr65
                                        ; implicit-def: $vgpr66_vgpr67
                                        ; implicit-def: $vgpr68_vgpr69
                                        ; implicit-def: $vgpr119
                                        ; implicit-def: $vgpr120
                                        ; implicit-def: $vgpr121
                                        ; implicit-def: $vgpr122
                                        ; implicit-def: $vgpr123
                                        ; implicit-def: $vgpr124
                                        ; implicit-def: $vgpr125
                                        ; implicit-def: $vgpr126
                                        ; implicit-def: $vgpr127
                                        ; implicit-def: $vgpr128
                                        ; implicit-def: $vgpr129
                                        ; implicit-def: $vgpr130
                                        ; implicit-def: $vgpr131
                                        ; implicit-def: $vgpr132
                                        ; implicit-def: $vgpr133
                                        ; implicit-def: $vgpr134
                                        ; implicit-def: $vgpr135
                                        ; implicit-def: $vgpr136
                                        ; implicit-def: $vgpr137
	s_delay_alu instid0(VALU_DEP_3)
	v_add_nc_u64_e32 v[32:33], v[20:21], v[4:5]
	s_wait_kmcnt 0x0
	s_cmp_lt_u32 s35, s14
	s_cselect_b32 s42, 12, 18
	s_cmp_lt_u32 s48, s15
	s_mov_b32 s15, s43
	s_cselect_b32 s14, 14, 20
	s_delay_alu instid0(SALU_CYCLE_1)
	s_add_nc_u64 s[14:15], s[52:53], s[14:15]
	s_load_u16 s17, s[14:15], 0x0
	s_wait_xcnt 0x0
	s_add_nc_u64 s[14:15], s[52:53], s[42:43]
	s_mov_b32 s42, s54
	s_load_u16 s18, s[14:15], 0x0
	s_wait_xcnt 0x0
	v_cmp_eq_u32_e64 s14, 0, v3
	v_cmp_lt_u32_e64 s15, 1, v3
	s_wait_kmcnt 0x0
	v_mad_u32_u24 v3, v94, s17, v96
	s_delay_alu instid0(VALU_DEP_1) | instskip(NEXT) | instid1(VALU_DEP_1)
	v_mad_u32 v3, v3, s18, v10
	v_dual_lshrrev_b32 v3, 3, v3 :: v_dual_bitop2_b32 v102, v30, v14 bitop3:0x54
	s_delay_alu instid0(VALU_DEP_1)
	v_dual_add_nc_u32 v103, 32, v102 :: v_dual_add_nc_u32 v104, 64, v102
	v_add_nc_u32_e32 v105, 0x60, v102
	v_add_nc_u32_e32 v106, 0x80, v102
	;; [unrolled: 1-line block ×14, first 2 shown]
	v_and_b32_e32 v31, 0x1ffffffc, v3
	v_mov_b32_e32 v3, 0
	s_branch .LBB1553_418
.LBB1553_417:                           ;   in Loop: Header=BB1553_418 Depth=2
	s_or_b32 exec_lo, exec_lo, s17
	s_addk_co_i32 s59, 0xef00
	s_cmp_lt_u32 s60, s51
	s_mov_b32 s42, s60
	s_cbranch_scc0 .LBB1553_640
.LBB1553_418:                           ;   Parent Loop BB1553_20 Depth=1
                                        ; =>  This Inner Loop Header: Depth=2
	s_add_co_i32 s60, s42, 0x1100
	s_delay_alu instid0(SALU_CYCLE_1)
	s_cmp_gt_u32 s60, s51
	s_cbranch_scc1 .LBB1553_420
; %bb.419:                              ;   in Loop: Header=BB1553_418 Depth=2
	v_add_nc_u64_e32 v[4:5], s[42:43], v[34:35]
	v_and_b32_e32 v3, 0xff, v3
	s_mov_b32 s17, -1
	s_clause 0xf
	global_load_u8 v6, v[4:5], off offset:416
	global_load_u8 v7, v[4:5], off offset:480
	;; [unrolled: 1-line block ×14, first 2 shown]
	global_load_u8 v147, v[4:5], off
	global_load_u8 v4, v[4:5], off offset:96
	s_wait_loadcnt 0xc
	s_wait_xcnt 0x0
	v_perm_b32 v5, v70, v6, 0xc0c0004
	v_perm_b32 v6, v8, v7, 0xc0c0004
	s_wait_loadcnt 0x9
	v_perm_b32 v70, v139, v138, 0xc0c0004
	s_wait_loadcnt 0x8
	v_perm_b32 v8, v140, v71, 0xc0c0004
	v_lshl_or_b32 v7, v6, 16, v5
	s_wait_loadcnt 0x5
	v_perm_b32 v138, v143, v142, 0xc0c0004
	s_wait_loadcnt 0x4
	v_perm_b32 v71, v144, v141, 0xc0c0004
	v_lshl_or_b32 v6, v70, 16, v8
	v_and_b32_e32 v8, 0xffff, v3
	s_wait_loadcnt 0x1
	v_perm_b32 v139, v147, v145, 0xc0c0004
	s_wait_loadcnt 0x0
	v_perm_b32 v4, v146, v4, 0xc0c0004
	v_lshl_or_b32 v5, v138, 16, v71
	s_delay_alu instid0(VALU_DEP_2)
	v_lshl_or_b32 v4, v4, 16, v139
	s_movk_i32 s18, 0x1100
	s_cbranch_execz .LBB1553_421
	s_branch .LBB1553_439
.LBB1553_420:                           ;   in Loop: Header=BB1553_418 Depth=2
	s_mov_b32 s17, 0
                                        ; implicit-def: $vgpr4_vgpr5_vgpr6_vgpr7_vgpr8
	s_movk_i32 s18, 0x1100
.LBB1553_421:                           ;   in Loop: Header=BB1553_418 Depth=2
	v_dual_mov_b32 v5, v2 :: v_dual_mov_b32 v6, v2
	v_dual_mov_b32 v3, v2 :: v_dual_mov_b32 v4, v2
	v_add_nc_u64_e32 v[70:71], s[42:43], v[34:35]
	s_mov_b32 s17, exec_lo
	s_delay_alu instid0(VALU_DEP_3) | instskip(NEXT) | instid1(VALU_DEP_3)
	v_mov_b32_e32 v8, v6
	v_dual_mov_b32 v7, v5 :: v_dual_mov_b32 v6, v4
	v_mov_b32_e32 v5, v3
	v_mov_b32_e32 v4, v2
	v_cmpx_gt_u32_e64 s59, v102
	s_cbranch_execnz .LBB1553_625
; %bb.422:                              ;   in Loop: Header=BB1553_418 Depth=2
	s_or_b32 exec_lo, exec_lo, s17
	s_delay_alu instid0(SALU_CYCLE_1)
	s_mov_b32 s17, exec_lo
	v_cmpx_gt_u32_e64 s59, v103
	s_cbranch_execnz .LBB1553_626
.LBB1553_423:                           ;   in Loop: Header=BB1553_418 Depth=2
	s_or_b32 exec_lo, exec_lo, s17
	s_delay_alu instid0(SALU_CYCLE_1)
	s_mov_b32 s17, exec_lo
	v_cmpx_gt_u32_e64 s59, v104
	s_cbranch_execnz .LBB1553_627
.LBB1553_424:                           ;   in Loop: Header=BB1553_418 Depth=2
	s_or_b32 exec_lo, exec_lo, s17
	s_delay_alu instid0(SALU_CYCLE_1)
	s_mov_b32 s17, exec_lo
	v_cmpx_gt_u32_e64 s59, v105
	s_cbranch_execnz .LBB1553_628
.LBB1553_425:                           ;   in Loop: Header=BB1553_418 Depth=2
	s_or_b32 exec_lo, exec_lo, s17
	s_delay_alu instid0(SALU_CYCLE_1)
	s_mov_b32 s17, exec_lo
	v_cmpx_gt_u32_e64 s59, v106
	s_cbranch_execnz .LBB1553_629
.LBB1553_426:                           ;   in Loop: Header=BB1553_418 Depth=2
	s_or_b32 exec_lo, exec_lo, s17
	s_delay_alu instid0(SALU_CYCLE_1)
	s_mov_b32 s17, exec_lo
	v_cmpx_gt_u32_e64 s59, v107
	s_cbranch_execnz .LBB1553_630
.LBB1553_427:                           ;   in Loop: Header=BB1553_418 Depth=2
	s_or_b32 exec_lo, exec_lo, s17
	s_delay_alu instid0(SALU_CYCLE_1)
	s_mov_b32 s17, exec_lo
	v_cmpx_gt_u32_e64 s59, v108
	s_cbranch_execnz .LBB1553_631
.LBB1553_428:                           ;   in Loop: Header=BB1553_418 Depth=2
	s_or_b32 exec_lo, exec_lo, s17
	s_delay_alu instid0(SALU_CYCLE_1)
	s_mov_b32 s17, exec_lo
	v_cmpx_gt_u32_e64 s59, v109
	s_cbranch_execnz .LBB1553_632
.LBB1553_429:                           ;   in Loop: Header=BB1553_418 Depth=2
	s_or_b32 exec_lo, exec_lo, s17
	s_delay_alu instid0(SALU_CYCLE_1)
	s_mov_b32 s17, exec_lo
	v_cmpx_gt_u32_e64 s59, v110
	s_cbranch_execnz .LBB1553_633
.LBB1553_430:                           ;   in Loop: Header=BB1553_418 Depth=2
	s_or_b32 exec_lo, exec_lo, s17
	s_delay_alu instid0(SALU_CYCLE_1)
	s_mov_b32 s17, exec_lo
	v_cmpx_gt_u32_e64 s59, v111
	s_cbranch_execnz .LBB1553_634
.LBB1553_431:                           ;   in Loop: Header=BB1553_418 Depth=2
	s_or_b32 exec_lo, exec_lo, s17
	s_delay_alu instid0(SALU_CYCLE_1)
	s_mov_b32 s17, exec_lo
	v_cmpx_gt_u32_e64 s59, v112
	s_cbranch_execnz .LBB1553_635
.LBB1553_432:                           ;   in Loop: Header=BB1553_418 Depth=2
	s_or_b32 exec_lo, exec_lo, s17
	s_delay_alu instid0(SALU_CYCLE_1)
	s_mov_b32 s17, exec_lo
	v_cmpx_gt_u32_e64 s59, v113
	s_cbranch_execnz .LBB1553_636
.LBB1553_433:                           ;   in Loop: Header=BB1553_418 Depth=2
	s_or_b32 exec_lo, exec_lo, s17
	s_delay_alu instid0(SALU_CYCLE_1)
	s_mov_b32 s17, exec_lo
	v_cmpx_gt_u32_e64 s59, v114
	s_cbranch_execnz .LBB1553_637
.LBB1553_434:                           ;   in Loop: Header=BB1553_418 Depth=2
	s_or_b32 exec_lo, exec_lo, s17
	s_delay_alu instid0(SALU_CYCLE_1)
	s_mov_b32 s17, exec_lo
	v_cmpx_gt_u32_e64 s59, v115
	s_cbranch_execnz .LBB1553_638
.LBB1553_435:                           ;   in Loop: Header=BB1553_418 Depth=2
	s_or_b32 exec_lo, exec_lo, s17
	s_delay_alu instid0(SALU_CYCLE_1)
	s_mov_b32 s17, exec_lo
	v_cmpx_gt_u32_e64 s59, v116
	s_cbranch_execnz .LBB1553_639
.LBB1553_436:                           ;   in Loop: Header=BB1553_418 Depth=2
	s_or_b32 exec_lo, exec_lo, s17
	s_delay_alu instid0(SALU_CYCLE_1)
	s_mov_b32 s17, exec_lo
	v_cmpx_gt_u32_e64 s59, v117
	s_cbranch_execz .LBB1553_438
.LBB1553_437:                           ;   in Loop: Header=BB1553_418 Depth=2
	global_load_u8 v3, v[70:71], off offset:480
	v_and_b32_e32 v8, 0xff, v8
	s_wait_loadcnt 0x0
	v_perm_b32 v7, v7, v3, 0x60504
.LBB1553_438:                           ;   in Loop: Header=BB1553_418 Depth=2
	s_wait_xcnt 0x0
	s_or_b32 exec_lo, exec_lo, s17
	v_cmp_gt_u32_e64 s17, s59, v118
	s_sub_co_i32 s18, s51, s42
.LBB1553_439:                           ;   in Loop: Header=BB1553_418 Depth=2
	v_mov_b32_e32 v70, s59
	s_and_saveexec_b32 s19, s17
	s_cbranch_execz .LBB1553_441
; %bb.440:                              ;   in Loop: Header=BB1553_418 Depth=2
	v_add_nc_u64_e32 v[70:71], s[42:43], v[34:35]
	global_load_u8 v8, v[70:71], off offset:512
	s_wait_xcnt 0x0
	v_mov_b32_e32 v70, s18
.LBB1553_441:                           ;   in Loop: Header=BB1553_418 Depth=2
	s_or_b32 exec_lo, exec_lo, s19
	s_wait_loadcnt 0x0
	v_and_b32_e32 v140, 1, v4
	v_lshrrev_b16 v3, 8, v7
	v_lshrrev_b16 v138, 8, v5
	;; [unrolled: 1-line block ×4, first 2 shown]
	v_cmp_eq_u32_e32 vcc_lo, 1, v140
	v_and_b32_e32 v3, 1, v3
	v_and_b32_e32 v138, 1, v138
	ds_store_2addr_b32 v95, v2, v2 offset0:136 offset1:137
	ds_store_2addr_b32 v95, v2, v2 offset0:138 offset1:139
	ds_store_b32 v95, v2 offset:560
	v_and_b32_e32 v139, 1, v139
	s_xor_b32 s17, vcc_lo, -1
	v_cmp_eq_u32_e64 s19, 1, v3
	v_and_b32_e32 v3, 1, v8
	v_cndmask_b32_e64 v8, 0, 1, s17
	v_and_b32_e32 v71, 1, v71
	v_cmp_eq_u32_e64 s27, 1, v138
	v_and_b32_e32 v138, 0x10000, v7
	v_cmp_eq_u32_e32 vcc_lo, 1, v3
	v_lshrrev_b32_e32 v3, s57, v8
	v_cmp_eq_u32_e64 s31, 1, v139
	v_cmp_eq_u32_e64 s23, 1, v71
	v_cmp_ne_u32_e64 s18, 0, v138
	v_and_b32_e32 v71, 0x1000000, v7
	v_and_b32_e32 v138, s58, v3
	v_and_b32_e32 v7, 1, v7
	v_and_b32_e32 v3, 0x10000, v6
	s_wait_dscnt 0x0
	v_cmp_ne_u32_e64 s17, 0, v71
	v_add_co_u32 v139, s21, v138, -1
	s_delay_alu instid0(VALU_DEP_1)
	v_cndmask_b32_e64 v140, 0, 1, s21
	v_cmp_eq_u32_e64 s20, 1, v7
	v_and_b32_e32 v7, 0x1000000, v6
	v_and_b32_e32 v71, 0x1000000, v5
	v_cmp_ne_u32_e64 s22, 0, v3
	v_cmp_ne_u32_e64 s26, 0, v140
	v_and_b32_e32 v6, 1, v6
	v_cmp_ne_u32_e64 s21, 0, v7
	v_and_b32_e32 v7, 0x1000000, v4
	v_and_b32_e32 v4, 0x10000, v4
	v_bitop3_b32 v3, s26, exec_lo, v139 bitop3:0x48
	v_cmp_ne_u32_e64 s25, 0, v71
	v_cmp_eq_u32_e64 s24, 1, v6
	v_and_b32_e32 v6, 0x10000, v5
	v_and_b32_e32 v5, 1, v5
	v_mbcnt_lo_u32_b32 v71, v3, 0
	v_cmp_ne_u32_e64 s30, 0, v4
	v_mul_u32_u24_e32 v4, 36, v138
	v_cmp_ne_u32_e64 s34, 0, v3
	v_cmp_ne_u32_e64 s26, 0, v6
	v_cmp_eq_u32_e64 s33, 0, v71
	v_cmp_eq_u32_e64 s28, 1, v5
	v_cmp_ne_u32_e64 s29, 0, v7
	v_add_nc_u32_e32 v141, v31, v4
	s_barrier_signal -1
	s_and_b32 s34, s34, s33
	s_barrier_wait -1
	; wave barrier
	s_and_saveexec_b32 s33, s34
; %bb.442:                              ;   in Loop: Header=BB1553_418 Depth=2
	v_bcnt_u32_b32 v3, v3, 0
	ds_store_b32 v141, v3 offset:544
; %bb.443:                              ;   in Loop: Header=BB1553_418 Depth=2
	s_or_b32 exec_lo, exec_lo, s33
	s_xor_b32 s31, s31, -1
	s_delay_alu instid0(SALU_CYCLE_1) | instskip(NEXT) | instid1(VALU_DEP_1)
	v_cndmask_b32_e64 v138, 0, 1, s31
	; wave barrier
	v_lshrrev_b32_e32 v3, s57, v138
	s_delay_alu instid0(VALU_DEP_1) | instskip(NEXT) | instid1(VALU_DEP_1)
	v_and_b32_e32 v4, s58, v3
	v_add_co_u32 v3, s31, v4, -1
	s_delay_alu instid0(VALU_DEP_1) | instskip(SKIP_2) | instid1(VALU_DEP_3)
	v_cndmask_b32_e64 v5, 0, 1, s31
	v_mad_u32_u24 v6, v4, 36, v31
	v_mul_u32_u24_e32 v4, 36, v4
	v_cmp_ne_u32_e64 s31, 0, v5
	ds_load_b32 v139, v6 offset:544
	v_add_nc_u32_e32 v144, v31, v4
	; wave barrier
	v_bitop3_b32 v3, s31, exec_lo, v3 bitop3:0x48
	s_delay_alu instid0(VALU_DEP_1) | instskip(SKIP_1) | instid1(VALU_DEP_2)
	v_mbcnt_lo_u32_b32 v140, v3, 0
	v_cmp_ne_u32_e64 s33, 0, v3
	v_cmp_eq_u32_e64 s31, 0, v140
	s_and_b32 s33, s33, s31
	s_delay_alu instid0(SALU_CYCLE_1)
	s_and_saveexec_b32 s31, s33
	s_cbranch_execz .LBB1553_445
; %bb.444:                              ;   in Loop: Header=BB1553_418 Depth=2
	s_wait_dscnt 0x0
	v_bcnt_u32_b32 v3, v3, v139
	ds_store_b32 v144, v3 offset:544
.LBB1553_445:                           ;   in Loop: Header=BB1553_418 Depth=2
	s_or_b32 exec_lo, exec_lo, s31
	s_xor_b32 s30, s30, -1
	s_delay_alu instid0(SALU_CYCLE_1) | instskip(NEXT) | instid1(VALU_DEP_1)
	v_cndmask_b32_e64 v153, 0, 1, s30
	; wave barrier
	v_lshrrev_b32_e32 v3, s57, v153
	s_delay_alu instid0(VALU_DEP_1) | instskip(NEXT) | instid1(VALU_DEP_1)
	v_and_b32_e32 v4, s58, v3
	v_add_co_u32 v3, s30, v4, -1
	s_delay_alu instid0(VALU_DEP_1) | instskip(SKIP_2) | instid1(VALU_DEP_3)
	v_cndmask_b32_e64 v5, 0, 1, s30
	v_mad_u32_u24 v6, v4, 36, v31
	v_mul_u32_u24_e32 v4, 36, v4
	v_cmp_ne_u32_e64 s30, 0, v5
	ds_load_b32 v142, v6 offset:544
	v_add_nc_u32_e32 v147, v31, v4
	; wave barrier
	v_bitop3_b32 v3, s30, exec_lo, v3 bitop3:0x48
	s_delay_alu instid0(VALU_DEP_1) | instskip(SKIP_1) | instid1(VALU_DEP_2)
	v_mbcnt_lo_u32_b32 v143, v3, 0
	v_cmp_ne_u32_e64 s31, 0, v3
	v_cmp_eq_u32_e64 s30, 0, v143
	s_and_b32 s31, s31, s30
	s_delay_alu instid0(SALU_CYCLE_1)
	s_and_saveexec_b32 s30, s31
	s_cbranch_execz .LBB1553_447
; %bb.446:                              ;   in Loop: Header=BB1553_418 Depth=2
	s_wait_dscnt 0x0
	v_bcnt_u32_b32 v3, v3, v142
	ds_store_b32 v147, v3 offset:544
.LBB1553_447:                           ;   in Loop: Header=BB1553_418 Depth=2
	;; [unrolled: 31-line block ×15, first 2 shown]
	s_or_b32 exec_lo, exec_lo, s17
	s_xor_b32 s17, vcc_lo, -1
	s_delay_alu instid0(SALU_CYCLE_1) | instskip(NEXT) | instid1(VALU_DEP_1)
	v_cndmask_b32_e64 v3, 0, 1, s17
	; wave barrier
	v_lshrrev_b32_e32 v4, s57, v3
	s_delay_alu instid0(VALU_DEP_1) | instskip(NEXT) | instid1(VALU_DEP_1)
	v_and_b32_e32 v5, s58, v4
	v_add_co_u32 v4, s17, v5, -1
	s_delay_alu instid0(VALU_DEP_1) | instskip(SKIP_2) | instid1(VALU_DEP_3)
	v_cndmask_b32_e64 v6, 0, 1, s17
	v_mad_u32_u24 v7, v5, 36, v31
	v_mul_u32_u24_e32 v5, 36, v5
	v_cmp_ne_u32_e32 vcc_lo, 0, v6
	ds_load_b32 v198, v7 offset:544
	v_add_nc_u32_e32 v201, v31, v5
	; wave barrier
	v_bitop3_b32 v4, vcc_lo, exec_lo, v4 bitop3:0x48
	s_delay_alu instid0(VALU_DEP_1) | instskip(SKIP_1) | instid1(VALU_DEP_2)
	v_mbcnt_lo_u32_b32 v199, v4, 0
	v_cmp_ne_u32_e64 s17, 0, v4
	v_cmp_eq_u32_e32 vcc_lo, 0, v199
	s_and_b32 s18, s17, vcc_lo
	s_delay_alu instid0(SALU_CYCLE_1)
	s_and_saveexec_b32 s17, s18
	s_cbranch_execz .LBB1553_475
; %bb.474:                              ;   in Loop: Header=BB1553_418 Depth=2
	s_wait_dscnt 0x0
	v_bcnt_u32_b32 v4, v4, v198
	ds_store_b32 v201, v4 offset:544
.LBB1553_475:                           ;   in Loop: Header=BB1553_418 Depth=2
	s_or_b32 exec_lo, exec_lo, s17
	; wave barrier
	s_wait_dscnt 0x0
	s_barrier_signal -1
	s_barrier_wait -1
	ds_load_2addr_b32 v[6:7], v95 offset0:136 offset1:137
	ds_load_2addr_b32 v[4:5], v95 offset0:138 offset1:139
	ds_load_b32 v202, v95 offset:560
	s_wait_dscnt 0x1
	v_add3_u32 v203, v7, v6, v4
	s_wait_dscnt 0x0
	s_delay_alu instid0(VALU_DEP_1) | instskip(NEXT) | instid1(VALU_DEP_1)
	v_add3_u32 v202, v203, v5, v202
	v_mov_b32_dpp v203, v202 row_shr:1 row_mask:0xf bank_mask:0xf
	s_delay_alu instid0(VALU_DEP_1) | instskip(NEXT) | instid1(VALU_DEP_1)
	v_cndmask_b32_e64 v203, v203, 0, s8
	v_add_nc_u32_e32 v202, v203, v202
	s_delay_alu instid0(VALU_DEP_1) | instskip(NEXT) | instid1(VALU_DEP_1)
	v_mov_b32_dpp v203, v202 row_shr:2 row_mask:0xf bank_mask:0xf
	v_cndmask_b32_e64 v203, 0, v203, s9
	s_delay_alu instid0(VALU_DEP_1) | instskip(NEXT) | instid1(VALU_DEP_1)
	v_add_nc_u32_e32 v202, v202, v203
	v_mov_b32_dpp v203, v202 row_shr:4 row_mask:0xf bank_mask:0xf
	s_delay_alu instid0(VALU_DEP_1) | instskip(NEXT) | instid1(VALU_DEP_1)
	v_cndmask_b32_e64 v203, 0, v203, s10
	v_add_nc_u32_e32 v202, v202, v203
	s_delay_alu instid0(VALU_DEP_1) | instskip(NEXT) | instid1(VALU_DEP_1)
	v_mov_b32_dpp v203, v202 row_shr:8 row_mask:0xf bank_mask:0xf
	v_cndmask_b32_e64 v203, 0, v203, s11
	s_delay_alu instid0(VALU_DEP_1) | instskip(SKIP_3) | instid1(VALU_DEP_1)
	v_add_nc_u32_e32 v202, v202, v203
	ds_swizzle_b32 v203, v202 offset:swizzle(BROADCAST,32,15)
	s_wait_dscnt 0x0
	v_cndmask_b32_e64 v203, v203, 0, s12
	v_add_nc_u32_e32 v202, v202, v203
	s_and_saveexec_b32 s17, s2
; %bb.476:                              ;   in Loop: Header=BB1553_418 Depth=2
	ds_store_b32 v88, v202 offset:512
; %bb.477:                              ;   in Loop: Header=BB1553_418 Depth=2
	s_or_b32 exec_lo, exec_lo, s17
	s_wait_dscnt 0x0
	s_barrier_signal -1
	s_barrier_wait -1
	s_and_saveexec_b32 s17, s3
	s_cbranch_execz .LBB1553_479
; %bb.478:                              ;   in Loop: Header=BB1553_418 Depth=2
	ds_load_b32 v203, v97 offset:512
	s_wait_dscnt 0x0
	v_mov_b32_dpp v204, v203 row_shr:1 row_mask:0xf bank_mask:0xf
	s_delay_alu instid0(VALU_DEP_1) | instskip(NEXT) | instid1(VALU_DEP_1)
	v_cndmask_b32_e64 v204, v204, 0, s14
	v_add_nc_u32_e32 v203, v204, v203
	s_delay_alu instid0(VALU_DEP_1) | instskip(NEXT) | instid1(VALU_DEP_1)
	v_mov_b32_dpp v204, v203 row_shr:2 row_mask:0xf bank_mask:0xf
	v_cndmask_b32_e64 v204, 0, v204, s15
	s_delay_alu instid0(VALU_DEP_1) | instskip(NEXT) | instid1(VALU_DEP_1)
	v_add_nc_u32_e32 v203, v203, v204
	v_mov_b32_dpp v204, v203 row_shr:4 row_mask:0xf bank_mask:0xf
	s_delay_alu instid0(VALU_DEP_1) | instskip(NEXT) | instid1(VALU_DEP_1)
	v_cndmask_b32_e64 v204, 0, v204, s16
	v_add_nc_u32_e32 v203, v203, v204
	ds_store_b32 v97, v203 offset:512
.LBB1553_479:                           ;   in Loop: Header=BB1553_418 Depth=2
	s_or_b32 exec_lo, exec_lo, s17
	v_mov_b32_e32 v203, 0
	s_wait_dscnt 0x0
	s_barrier_signal -1
	s_barrier_wait -1
	s_and_saveexec_b32 s17, s5
; %bb.480:                              ;   in Loop: Header=BB1553_418 Depth=2
	ds_load_b32 v203, v88 offset:508
; %bb.481:                              ;   in Loop: Header=BB1553_418 Depth=2
	s_or_b32 exec_lo, exec_lo, s17
	s_wait_dscnt 0x0
	v_add_nc_u32_e32 v202, v203, v202
	ds_bpermute_b32 v202, v101, v202
	s_wait_dscnt 0x0
	v_cndmask_b32_e64 v202, v202, v203, s13
	s_delay_alu instid0(VALU_DEP_1) | instskip(NEXT) | instid1(VALU_DEP_1)
	v_cndmask_b32_e64 v202, v202, 0, s6
	v_add_nc_u32_e32 v6, v202, v6
	s_delay_alu instid0(VALU_DEP_1) | instskip(NEXT) | instid1(VALU_DEP_1)
	v_add_nc_u32_e32 v7, v6, v7
	v_add_nc_u32_e32 v4, v7, v4
	s_delay_alu instid0(VALU_DEP_1)
	v_add_nc_u32_e32 v5, v4, v5
	ds_store_2addr_b32 v95, v202, v6 offset0:136 offset1:137
	ds_store_2addr_b32 v95, v7, v4 offset0:138 offset1:139
	ds_store_b32 v95, v5 offset:560
	s_wait_dscnt 0x0
	s_barrier_signal -1
	s_barrier_wait -1
	ds_load_b32 v4, v141 offset:544
	ds_load_b32 v5, v144 offset:544
	ds_load_b32 v6, v147 offset:544
	ds_load_b32 v7, v149 offset:544
	ds_load_b32 v141, v150 offset:544
	ds_load_b32 v144, v151 offset:544
	ds_load_b32 v202, v152 offset:544
	ds_load_b32 v170, v170 offset:544
	ds_load_b32 v174, v174 offset:544
	ds_load_b32 v178, v178 offset:544
	ds_load_b32 v182, v182 offset:544
	ds_load_b32 v186, v186 offset:544
	ds_load_b32 v190, v190 offset:544
	ds_load_b32 v194, v194 offset:544
	ds_load_b32 v197, v197 offset:544
	ds_load_b32 v200, v200 offset:544
	ds_load_b32 v201, v201 offset:544
	s_and_saveexec_b32 s17, s0
	s_cbranch_execz .LBB1553_485
; %bb.482:                              ;   in Loop: Header=BB1553_418 Depth=2
	v_dual_mov_b32 v137, 0x1100 :: v_dual_add_nc_u32 v136, v97, v99
	ds_load_b32 v136, v136 offset:544
	s_and_saveexec_b32 s18, s7
; %bb.483:                              ;   in Loop: Header=BB1553_418 Depth=2
	ds_load_b32 v137, v98 offset:544
; %bb.484:                              ;   in Loop: Header=BB1553_418 Depth=2
	s_or_b32 exec_lo, exec_lo, s18
	s_wait_dscnt 0x0
	v_sub_nc_u32_e32 v137, v137, v136
.LBB1553_485:                           ;   in Loop: Header=BB1553_418 Depth=2
	s_or_b32 exec_lo, exec_lo, s17
	s_wait_dscnt 0x0
	s_barrier_signal -1
	s_barrier_wait -1
	s_and_saveexec_b32 s17, s0
	s_cbranch_execz .LBB1553_487
; %bb.486:                              ;   in Loop: Header=BB1553_418 Depth=2
	ds_load_b32 v147, v9
	s_wait_dscnt 0x0
	v_sub_nc_u32_e32 v147, v147, v136
	ds_store_b32 v9, v147
.LBB1553_487:                           ;   in Loop: Header=BB1553_418 Depth=2
	s_or_b32 exec_lo, exec_lo, s17
	v_add_nc_u32_e32 v152, v4, v71
	v_add3_u32 v151, v140, v139, v5
	v_add3_u32 v150, v143, v142, v6
	;; [unrolled: 1-line block ×16, first 2 shown]
	v_cmp_lt_u32_e32 vcc_lo, v10, v70
	ds_store_b8 v152, v8 offset:512
	ds_store_b8 v151, v138 offset:512
	;; [unrolled: 1-line block ×17, first 2 shown]
	s_wait_dscnt 0x0
	s_barrier_signal -1
	s_barrier_wait -1
	s_and_saveexec_b32 s17, vcc_lo
	s_cbranch_execnz .LBB1553_560
; %bb.488:                              ;   in Loop: Header=BB1553_418 Depth=2
	s_or_b32 exec_lo, exec_lo, s17
	v_cmp_lt_u32_e64 s17, v72, v70
	s_and_saveexec_b32 s18, s17
	s_cbranch_execnz .LBB1553_561
.LBB1553_489:                           ;   in Loop: Header=BB1553_418 Depth=2
	s_or_b32 exec_lo, exec_lo, s18
	v_cmp_lt_u32_e64 s18, v73, v70
	s_and_saveexec_b32 s19, s18
	s_cbranch_execnz .LBB1553_562
.LBB1553_490:                           ;   in Loop: Header=BB1553_418 Depth=2
	s_or_b32 exec_lo, exec_lo, s19
	v_cmp_lt_u32_e64 s19, v74, v70
	s_and_saveexec_b32 s20, s19
	s_cbranch_execnz .LBB1553_563
.LBB1553_491:                           ;   in Loop: Header=BB1553_418 Depth=2
	s_or_b32 exec_lo, exec_lo, s20
	v_cmp_lt_u32_e64 s20, v75, v70
	s_and_saveexec_b32 s21, s20
	s_cbranch_execnz .LBB1553_564
.LBB1553_492:                           ;   in Loop: Header=BB1553_418 Depth=2
	s_or_b32 exec_lo, exec_lo, s21
	v_cmp_lt_u32_e64 s21, v76, v70
	s_and_saveexec_b32 s22, s21
	s_cbranch_execnz .LBB1553_565
.LBB1553_493:                           ;   in Loop: Header=BB1553_418 Depth=2
	s_or_b32 exec_lo, exec_lo, s22
	v_cmp_lt_u32_e64 s22, v77, v70
	s_and_saveexec_b32 s23, s22
	s_cbranch_execnz .LBB1553_566
.LBB1553_494:                           ;   in Loop: Header=BB1553_418 Depth=2
	s_or_b32 exec_lo, exec_lo, s23
	v_cmp_lt_u32_e64 s23, v78, v70
	s_and_saveexec_b32 s24, s23
	s_cbranch_execnz .LBB1553_567
.LBB1553_495:                           ;   in Loop: Header=BB1553_418 Depth=2
	s_or_b32 exec_lo, exec_lo, s24
	v_cmp_lt_u32_e64 s24, v79, v70
	s_and_saveexec_b32 s25, s24
	s_cbranch_execnz .LBB1553_568
.LBB1553_496:                           ;   in Loop: Header=BB1553_418 Depth=2
	s_or_b32 exec_lo, exec_lo, s25
	v_cmp_lt_u32_e64 s25, v80, v70
	s_and_saveexec_b32 s26, s25
	s_cbranch_execnz .LBB1553_569
.LBB1553_497:                           ;   in Loop: Header=BB1553_418 Depth=2
	s_or_b32 exec_lo, exec_lo, s26
	v_cmp_lt_u32_e64 s26, v81, v70
	s_and_saveexec_b32 s27, s26
	s_cbranch_execnz .LBB1553_570
.LBB1553_498:                           ;   in Loop: Header=BB1553_418 Depth=2
	s_or_b32 exec_lo, exec_lo, s27
	v_cmp_lt_u32_e64 s27, v82, v70
	s_and_saveexec_b32 s28, s27
	s_cbranch_execnz .LBB1553_571
.LBB1553_499:                           ;   in Loop: Header=BB1553_418 Depth=2
	s_or_b32 exec_lo, exec_lo, s28
	v_cmp_lt_u32_e64 s28, v83, v70
	s_and_saveexec_b32 s29, s28
	s_cbranch_execnz .LBB1553_572
.LBB1553_500:                           ;   in Loop: Header=BB1553_418 Depth=2
	s_or_b32 exec_lo, exec_lo, s29
	v_cmp_lt_u32_e64 s29, v84, v70
	s_and_saveexec_b32 s30, s29
	s_cbranch_execnz .LBB1553_573
.LBB1553_501:                           ;   in Loop: Header=BB1553_418 Depth=2
	s_or_b32 exec_lo, exec_lo, s30
	v_cmp_lt_u32_e64 s30, v85, v70
	s_and_saveexec_b32 s31, s30
	s_cbranch_execnz .LBB1553_574
.LBB1553_502:                           ;   in Loop: Header=BB1553_418 Depth=2
	s_or_b32 exec_lo, exec_lo, s31
	v_cmp_lt_u32_e64 s31, v86, v70
	s_and_saveexec_b32 s33, s31
	s_cbranch_execnz .LBB1553_575
.LBB1553_503:                           ;   in Loop: Header=BB1553_418 Depth=2
	s_or_b32 exec_lo, exec_lo, s33
	v_cmp_lt_u32_e64 s33, v87, v70
	s_and_saveexec_b32 s34, s33
	s_cbranch_execz .LBB1553_505
.LBB1553_504:                           ;   in Loop: Header=BB1553_418 Depth=2
	ds_load_u8 v4, v10 offset:4608
	s_wait_dscnt 0x0
	v_and_b32_e32 v5, 1, v4
	s_delay_alu instid0(VALU_DEP_1) | instskip(NEXT) | instid1(VALU_DEP_1)
	v_dual_lshrrev_b32 v5, s57, v5 :: v_dual_bitop2_b32 v4, 1, v4 bitop3:0x14
	v_and_b32_e32 v5, s58, v5
	s_delay_alu instid0(VALU_DEP_1)
	v_lshlrev_b32_e32 v5, 2, v5
	ds_load_b32 v5, v5
	s_wait_dscnt 0x0
	v_add_nc_u32_e32 v5, v5, v87
	global_store_b8 v5, v4, s[40:41]
.LBB1553_505:                           ;   in Loop: Header=BB1553_418 Depth=2
	s_wait_xcnt 0x0
	s_or_b32 exec_lo, exec_lo, s34
	v_lshl_add_u64 v[4:5], s[42:43], 3, v[32:33]
	v_cmp_lt_u32_e64 s34, v102, v70
	s_and_saveexec_b32 s42, s34
	s_delay_alu instid0(SALU_CYCLE_1)
	s_xor_b32 s34, exec_lo, s42
	s_cbranch_execnz .LBB1553_576
; %bb.506:                              ;   in Loop: Header=BB1553_418 Depth=2
	s_or_b32 exec_lo, exec_lo, s34
	s_delay_alu instid0(SALU_CYCLE_1)
	s_mov_b32 s42, exec_lo
	v_cmpx_lt_u32_e64 v103, v70
	s_cbranch_execnz .LBB1553_577
.LBB1553_507:                           ;   in Loop: Header=BB1553_418 Depth=2
	s_or_b32 exec_lo, exec_lo, s42
	s_delay_alu instid0(SALU_CYCLE_1)
	s_mov_b32 s42, exec_lo
	v_cmpx_lt_u32_e64 v104, v70
	s_cbranch_execnz .LBB1553_578
.LBB1553_508:                           ;   in Loop: Header=BB1553_418 Depth=2
	s_or_b32 exec_lo, exec_lo, s42
	s_delay_alu instid0(SALU_CYCLE_1)
	s_mov_b32 s42, exec_lo
	v_cmpx_lt_u32_e64 v105, v70
	s_cbranch_execnz .LBB1553_579
.LBB1553_509:                           ;   in Loop: Header=BB1553_418 Depth=2
	s_or_b32 exec_lo, exec_lo, s42
	s_delay_alu instid0(SALU_CYCLE_1)
	s_mov_b32 s42, exec_lo
	v_cmpx_lt_u32_e64 v106, v70
	s_cbranch_execnz .LBB1553_580
.LBB1553_510:                           ;   in Loop: Header=BB1553_418 Depth=2
	s_or_b32 exec_lo, exec_lo, s42
	s_delay_alu instid0(SALU_CYCLE_1)
	s_mov_b32 s42, exec_lo
	v_cmpx_lt_u32_e64 v107, v70
	s_cbranch_execnz .LBB1553_581
.LBB1553_511:                           ;   in Loop: Header=BB1553_418 Depth=2
	s_or_b32 exec_lo, exec_lo, s42
	s_delay_alu instid0(SALU_CYCLE_1)
	s_mov_b32 s42, exec_lo
	v_cmpx_lt_u32_e64 v108, v70
	s_cbranch_execnz .LBB1553_582
.LBB1553_512:                           ;   in Loop: Header=BB1553_418 Depth=2
	s_or_b32 exec_lo, exec_lo, s42
	s_delay_alu instid0(SALU_CYCLE_1)
	s_mov_b32 s42, exec_lo
	v_cmpx_lt_u32_e64 v109, v70
	s_cbranch_execnz .LBB1553_583
.LBB1553_513:                           ;   in Loop: Header=BB1553_418 Depth=2
	s_or_b32 exec_lo, exec_lo, s42
	s_delay_alu instid0(SALU_CYCLE_1)
	s_mov_b32 s42, exec_lo
	v_cmpx_lt_u32_e64 v110, v70
	s_cbranch_execnz .LBB1553_584
.LBB1553_514:                           ;   in Loop: Header=BB1553_418 Depth=2
	s_or_b32 exec_lo, exec_lo, s42
	s_delay_alu instid0(SALU_CYCLE_1)
	s_mov_b32 s42, exec_lo
	v_cmpx_lt_u32_e64 v111, v70
	s_cbranch_execnz .LBB1553_585
.LBB1553_515:                           ;   in Loop: Header=BB1553_418 Depth=2
	s_or_b32 exec_lo, exec_lo, s42
	s_delay_alu instid0(SALU_CYCLE_1)
	s_mov_b32 s42, exec_lo
	v_cmpx_lt_u32_e64 v112, v70
	s_cbranch_execnz .LBB1553_586
.LBB1553_516:                           ;   in Loop: Header=BB1553_418 Depth=2
	s_or_b32 exec_lo, exec_lo, s42
	s_delay_alu instid0(SALU_CYCLE_1)
	s_mov_b32 s42, exec_lo
	v_cmpx_lt_u32_e64 v113, v70
	s_cbranch_execnz .LBB1553_587
.LBB1553_517:                           ;   in Loop: Header=BB1553_418 Depth=2
	s_or_b32 exec_lo, exec_lo, s42
	s_delay_alu instid0(SALU_CYCLE_1)
	s_mov_b32 s42, exec_lo
	v_cmpx_lt_u32_e64 v114, v70
	s_cbranch_execnz .LBB1553_588
.LBB1553_518:                           ;   in Loop: Header=BB1553_418 Depth=2
	s_or_b32 exec_lo, exec_lo, s42
	s_delay_alu instid0(SALU_CYCLE_1)
	s_mov_b32 s42, exec_lo
	v_cmpx_lt_u32_e64 v115, v70
	s_cbranch_execnz .LBB1553_589
.LBB1553_519:                           ;   in Loop: Header=BB1553_418 Depth=2
	s_or_b32 exec_lo, exec_lo, s42
	s_delay_alu instid0(SALU_CYCLE_1)
	s_mov_b32 s42, exec_lo
	v_cmpx_lt_u32_e64 v116, v70
	s_cbranch_execnz .LBB1553_590
.LBB1553_520:                           ;   in Loop: Header=BB1553_418 Depth=2
	s_or_b32 exec_lo, exec_lo, s42
	s_delay_alu instid0(SALU_CYCLE_1)
	s_mov_b32 s42, exec_lo
	v_cmpx_lt_u32_e64 v117, v70
	s_cbranch_execnz .LBB1553_591
.LBB1553_521:                           ;   in Loop: Header=BB1553_418 Depth=2
	s_or_b32 exec_lo, exec_lo, s42
	s_delay_alu instid0(SALU_CYCLE_1)
	s_mov_b32 s42, exec_lo
	v_cmpx_lt_u32_e64 v118, v70
	s_cbranch_execnz .LBB1553_592
.LBB1553_522:                           ;   in Loop: Header=BB1553_418 Depth=2
	s_or_b32 exec_lo, exec_lo, s42
	s_and_saveexec_b32 s34, vcc_lo
	s_cbranch_execnz .LBB1553_593
.LBB1553_523:                           ;   in Loop: Header=BB1553_418 Depth=2
	s_or_b32 exec_lo, exec_lo, s34
	s_and_saveexec_b32 s34, s17
	s_cbranch_execnz .LBB1553_594
.LBB1553_524:                           ;   in Loop: Header=BB1553_418 Depth=2
	s_or_b32 exec_lo, exec_lo, s34
	s_and_saveexec_b32 s34, s18
	s_cbranch_execnz .LBB1553_595
.LBB1553_525:                           ;   in Loop: Header=BB1553_418 Depth=2
	s_or_b32 exec_lo, exec_lo, s34
	s_and_saveexec_b32 s34, s19
	s_cbranch_execnz .LBB1553_596
.LBB1553_526:                           ;   in Loop: Header=BB1553_418 Depth=2
	s_or_b32 exec_lo, exec_lo, s34
	s_and_saveexec_b32 s34, s20
	s_cbranch_execnz .LBB1553_597
.LBB1553_527:                           ;   in Loop: Header=BB1553_418 Depth=2
	s_or_b32 exec_lo, exec_lo, s34
	s_and_saveexec_b32 s34, s21
	s_cbranch_execnz .LBB1553_598
.LBB1553_528:                           ;   in Loop: Header=BB1553_418 Depth=2
	s_or_b32 exec_lo, exec_lo, s34
	s_and_saveexec_b32 s34, s22
	s_cbranch_execnz .LBB1553_599
.LBB1553_529:                           ;   in Loop: Header=BB1553_418 Depth=2
	s_or_b32 exec_lo, exec_lo, s34
	s_and_saveexec_b32 s34, s23
	s_cbranch_execnz .LBB1553_600
.LBB1553_530:                           ;   in Loop: Header=BB1553_418 Depth=2
	s_or_b32 exec_lo, exec_lo, s34
	s_and_saveexec_b32 s34, s24
	s_cbranch_execnz .LBB1553_601
.LBB1553_531:                           ;   in Loop: Header=BB1553_418 Depth=2
	s_or_b32 exec_lo, exec_lo, s34
	s_and_saveexec_b32 s34, s25
	s_cbranch_execnz .LBB1553_602
.LBB1553_532:                           ;   in Loop: Header=BB1553_418 Depth=2
	s_or_b32 exec_lo, exec_lo, s34
	s_and_saveexec_b32 s34, s26
	s_cbranch_execnz .LBB1553_603
.LBB1553_533:                           ;   in Loop: Header=BB1553_418 Depth=2
	s_or_b32 exec_lo, exec_lo, s34
	s_and_saveexec_b32 s34, s27
	s_cbranch_execnz .LBB1553_604
.LBB1553_534:                           ;   in Loop: Header=BB1553_418 Depth=2
	s_or_b32 exec_lo, exec_lo, s34
	s_and_saveexec_b32 s34, s28
	s_cbranch_execnz .LBB1553_605
.LBB1553_535:                           ;   in Loop: Header=BB1553_418 Depth=2
	s_or_b32 exec_lo, exec_lo, s34
	s_and_saveexec_b32 s34, s29
	s_cbranch_execnz .LBB1553_606
.LBB1553_536:                           ;   in Loop: Header=BB1553_418 Depth=2
	s_or_b32 exec_lo, exec_lo, s34
	s_and_saveexec_b32 s34, s30
	s_cbranch_execnz .LBB1553_607
.LBB1553_537:                           ;   in Loop: Header=BB1553_418 Depth=2
	s_or_b32 exec_lo, exec_lo, s34
	s_and_saveexec_b32 s34, s31
	s_cbranch_execnz .LBB1553_608
.LBB1553_538:                           ;   in Loop: Header=BB1553_418 Depth=2
	s_or_b32 exec_lo, exec_lo, s34
	s_and_saveexec_b32 s34, s33
	s_cbranch_execz .LBB1553_540
.LBB1553_539:                           ;   in Loop: Header=BB1553_418 Depth=2
	ds_load_u8 v4, v10 offset:4608
	s_wait_dscnt 0x0
	v_lshrrev_b32_e32 v4, s57, v4
	s_delay_alu instid0(VALU_DEP_1)
	v_and_b32_e32 v119, s58, v4
.LBB1553_540:                           ;   in Loop: Header=BB1553_418 Depth=2
	s_or_b32 exec_lo, exec_lo, s34
	v_dual_lshlrev_b32 v4, 3, v152 :: v_dual_lshlrev_b32 v5, 3, v151
	s_wait_loadcnt 0x0
	s_wait_storecnt 0x0
	s_barrier_signal -1
	s_barrier_wait -1
	ds_store_b64 v4, v[68:69] offset:512
	ds_store_b64 v5, v[66:67] offset:512
	v_dual_lshlrev_b32 v4, 3, v150 :: v_dual_lshlrev_b32 v5, 3, v149
	v_dual_lshlrev_b32 v8, 3, v148 :: v_dual_lshlrev_b32 v70, 3, v147
	v_lshlrev_b32_e32 v138, 3, v146
	ds_store_b64 v4, v[64:65] offset:512
	ds_store_b64 v5, v[62:63] offset:512
	ds_store_b64 v8, v[60:61] offset:512
	ds_store_b64 v70, v[58:59] offset:512
	ds_store_b64 v138, v[56:57] offset:512
	v_dual_lshlrev_b32 v4, 3, v145 :: v_dual_lshlrev_b32 v5, 3, v144
	v_dual_lshlrev_b32 v8, 3, v143 :: v_dual_lshlrev_b32 v70, 3, v142
	v_lshlrev_b32_e32 v138, 3, v141
	ds_store_b64 v4, v[54:55] offset:512
	ds_store_b64 v5, v[52:53] offset:512
	ds_store_b64 v8, v[50:51] offset:512
	;; [unrolled: 8-line block ×3, first 2 shown]
	ds_store_b64 v7, v[38:39] offset:512
	ds_store_b64 v6, v[36:37] offset:512
	s_wait_dscnt 0x0
	s_barrier_signal -1
	s_barrier_wait -1
	s_and_saveexec_b32 s34, vcc_lo
	s_cbranch_execnz .LBB1553_609
; %bb.541:                              ;   in Loop: Header=BB1553_418 Depth=2
	s_or_b32 exec_lo, exec_lo, s34
	s_and_saveexec_b32 s34, s17
	s_cbranch_execnz .LBB1553_610
.LBB1553_542:                           ;   in Loop: Header=BB1553_418 Depth=2
	s_or_b32 exec_lo, exec_lo, s34
	s_and_saveexec_b32 s17, s18
	s_cbranch_execnz .LBB1553_611
.LBB1553_543:                           ;   in Loop: Header=BB1553_418 Depth=2
	s_or_b32 exec_lo, exec_lo, s17
	s_and_saveexec_b32 s17, s19
	s_cbranch_execnz .LBB1553_612
.LBB1553_544:                           ;   in Loop: Header=BB1553_418 Depth=2
	s_or_b32 exec_lo, exec_lo, s17
	s_and_saveexec_b32 s17, s20
	s_cbranch_execnz .LBB1553_613
.LBB1553_545:                           ;   in Loop: Header=BB1553_418 Depth=2
	s_or_b32 exec_lo, exec_lo, s17
	s_and_saveexec_b32 s17, s21
	s_cbranch_execnz .LBB1553_614
.LBB1553_546:                           ;   in Loop: Header=BB1553_418 Depth=2
	s_or_b32 exec_lo, exec_lo, s17
	s_and_saveexec_b32 s17, s22
	s_cbranch_execnz .LBB1553_615
.LBB1553_547:                           ;   in Loop: Header=BB1553_418 Depth=2
	s_or_b32 exec_lo, exec_lo, s17
	s_and_saveexec_b32 s17, s23
	s_cbranch_execnz .LBB1553_616
.LBB1553_548:                           ;   in Loop: Header=BB1553_418 Depth=2
	s_or_b32 exec_lo, exec_lo, s17
	s_and_saveexec_b32 s17, s24
	s_cbranch_execnz .LBB1553_617
.LBB1553_549:                           ;   in Loop: Header=BB1553_418 Depth=2
	s_or_b32 exec_lo, exec_lo, s17
	s_and_saveexec_b32 s17, s25
	s_cbranch_execnz .LBB1553_618
.LBB1553_550:                           ;   in Loop: Header=BB1553_418 Depth=2
	s_or_b32 exec_lo, exec_lo, s17
	s_and_saveexec_b32 s17, s26
	s_cbranch_execnz .LBB1553_619
.LBB1553_551:                           ;   in Loop: Header=BB1553_418 Depth=2
	s_or_b32 exec_lo, exec_lo, s17
	s_and_saveexec_b32 s17, s27
	s_cbranch_execnz .LBB1553_620
.LBB1553_552:                           ;   in Loop: Header=BB1553_418 Depth=2
	s_or_b32 exec_lo, exec_lo, s17
	s_and_saveexec_b32 s17, s28
	s_cbranch_execnz .LBB1553_621
.LBB1553_553:                           ;   in Loop: Header=BB1553_418 Depth=2
	s_or_b32 exec_lo, exec_lo, s17
	s_and_saveexec_b32 s17, s29
	s_cbranch_execnz .LBB1553_622
.LBB1553_554:                           ;   in Loop: Header=BB1553_418 Depth=2
	s_or_b32 exec_lo, exec_lo, s17
	s_and_saveexec_b32 s17, s30
	s_cbranch_execnz .LBB1553_623
.LBB1553_555:                           ;   in Loop: Header=BB1553_418 Depth=2
	s_or_b32 exec_lo, exec_lo, s17
	s_and_saveexec_b32 s17, s31
	s_cbranch_execnz .LBB1553_624
.LBB1553_556:                           ;   in Loop: Header=BB1553_418 Depth=2
	s_or_b32 exec_lo, exec_lo, s17
	s_and_saveexec_b32 s17, s33
	s_cbranch_execz .LBB1553_558
.LBB1553_557:                           ;   in Loop: Header=BB1553_418 Depth=2
	v_dual_lshlrev_b32 v4, 2, v119 :: v_dual_add_nc_u32 v5, v10, v100
	ds_load_b32 v6, v4
	ds_load_b64 v[4:5], v5 offset:33280
	s_wait_dscnt 0x1
	v_add_nc_u32_e32 v6, v6, v87
	s_wait_dscnt 0x0
	global_store_b64 v6, v[4:5], s[46:47] scale_offset
.LBB1553_558:                           ;   in Loop: Header=BB1553_418 Depth=2
	s_wait_xcnt 0x0
	s_or_b32 exec_lo, exec_lo, s17
	s_wait_storecnt 0x0
	s_barrier_signal -1
	s_barrier_wait -1
	s_and_saveexec_b32 s17, s0
	s_cbranch_execz .LBB1553_417
; %bb.559:                              ;   in Loop: Header=BB1553_418 Depth=2
	ds_load_b32 v4, v9
	s_wait_dscnt 0x0
	v_add3_u32 v4, v136, v137, v4
	ds_store_b32 v9, v4
	s_branch .LBB1553_417
.LBB1553_560:                           ;   in Loop: Header=BB1553_418 Depth=2
	ds_load_u8 v4, v10 offset:512
	s_wait_dscnt 0x0
	v_and_b32_e32 v5, 1, v4
	s_delay_alu instid0(VALU_DEP_1) | instskip(NEXT) | instid1(VALU_DEP_1)
	v_dual_lshrrev_b32 v5, s57, v5 :: v_dual_bitop2_b32 v4, 1, v4 bitop3:0x14
	v_and_b32_e32 v5, s58, v5
	s_delay_alu instid0(VALU_DEP_1)
	v_lshlrev_b32_e32 v5, 2, v5
	ds_load_b32 v5, v5
	s_wait_dscnt 0x0
	v_add_nc_u32_e32 v5, v5, v10
	global_store_b8 v5, v4, s[40:41]
	s_wait_xcnt 0x0
	s_or_b32 exec_lo, exec_lo, s17
	v_cmp_lt_u32_e64 s17, v72, v70
	s_and_saveexec_b32 s18, s17
	s_cbranch_execz .LBB1553_489
.LBB1553_561:                           ;   in Loop: Header=BB1553_418 Depth=2
	ds_load_u8 v4, v10 offset:768
	s_wait_dscnt 0x0
	v_and_b32_e32 v5, 1, v4
	s_delay_alu instid0(VALU_DEP_1) | instskip(NEXT) | instid1(VALU_DEP_1)
	v_dual_lshrrev_b32 v5, s57, v5 :: v_dual_bitop2_b32 v4, 1, v4 bitop3:0x14
	v_and_b32_e32 v5, s58, v5
	s_delay_alu instid0(VALU_DEP_1)
	v_lshlrev_b32_e32 v5, 2, v5
	ds_load_b32 v5, v5
	s_wait_dscnt 0x0
	v_add_nc_u32_e32 v5, v5, v72
	global_store_b8 v5, v4, s[40:41]
	s_wait_xcnt 0x0
	s_or_b32 exec_lo, exec_lo, s18
	v_cmp_lt_u32_e64 s18, v73, v70
	s_and_saveexec_b32 s19, s18
	s_cbranch_execz .LBB1553_490
.LBB1553_562:                           ;   in Loop: Header=BB1553_418 Depth=2
	ds_load_u8 v4, v10 offset:1024
	s_wait_dscnt 0x0
	v_and_b32_e32 v5, 1, v4
	s_delay_alu instid0(VALU_DEP_1) | instskip(NEXT) | instid1(VALU_DEP_1)
	v_dual_lshrrev_b32 v5, s57, v5 :: v_dual_bitop2_b32 v4, 1, v4 bitop3:0x14
	v_and_b32_e32 v5, s58, v5
	s_delay_alu instid0(VALU_DEP_1)
	v_lshlrev_b32_e32 v5, 2, v5
	ds_load_b32 v5, v5
	s_wait_dscnt 0x0
	v_add_nc_u32_e32 v5, v5, v73
	global_store_b8 v5, v4, s[40:41]
	s_wait_xcnt 0x0
	s_or_b32 exec_lo, exec_lo, s19
	v_cmp_lt_u32_e64 s19, v74, v70
	s_and_saveexec_b32 s20, s19
	s_cbranch_execz .LBB1553_491
.LBB1553_563:                           ;   in Loop: Header=BB1553_418 Depth=2
	ds_load_u8 v4, v10 offset:1280
	s_wait_dscnt 0x0
	v_and_b32_e32 v5, 1, v4
	s_delay_alu instid0(VALU_DEP_1) | instskip(NEXT) | instid1(VALU_DEP_1)
	v_dual_lshrrev_b32 v5, s57, v5 :: v_dual_bitop2_b32 v4, 1, v4 bitop3:0x14
	v_and_b32_e32 v5, s58, v5
	s_delay_alu instid0(VALU_DEP_1)
	v_lshlrev_b32_e32 v5, 2, v5
	ds_load_b32 v5, v5
	s_wait_dscnt 0x0
	v_add_nc_u32_e32 v5, v5, v74
	global_store_b8 v5, v4, s[40:41]
	s_wait_xcnt 0x0
	s_or_b32 exec_lo, exec_lo, s20
	v_cmp_lt_u32_e64 s20, v75, v70
	s_and_saveexec_b32 s21, s20
	s_cbranch_execz .LBB1553_492
.LBB1553_564:                           ;   in Loop: Header=BB1553_418 Depth=2
	ds_load_u8 v4, v10 offset:1536
	s_wait_dscnt 0x0
	v_and_b32_e32 v5, 1, v4
	s_delay_alu instid0(VALU_DEP_1) | instskip(NEXT) | instid1(VALU_DEP_1)
	v_dual_lshrrev_b32 v5, s57, v5 :: v_dual_bitop2_b32 v4, 1, v4 bitop3:0x14
	v_and_b32_e32 v5, s58, v5
	s_delay_alu instid0(VALU_DEP_1)
	v_lshlrev_b32_e32 v5, 2, v5
	ds_load_b32 v5, v5
	s_wait_dscnt 0x0
	v_add_nc_u32_e32 v5, v5, v75
	global_store_b8 v5, v4, s[40:41]
	s_wait_xcnt 0x0
	s_or_b32 exec_lo, exec_lo, s21
	v_cmp_lt_u32_e64 s21, v76, v70
	s_and_saveexec_b32 s22, s21
	s_cbranch_execz .LBB1553_493
.LBB1553_565:                           ;   in Loop: Header=BB1553_418 Depth=2
	ds_load_u8 v4, v10 offset:1792
	s_wait_dscnt 0x0
	v_and_b32_e32 v5, 1, v4
	s_delay_alu instid0(VALU_DEP_1) | instskip(NEXT) | instid1(VALU_DEP_1)
	v_dual_lshrrev_b32 v5, s57, v5 :: v_dual_bitop2_b32 v4, 1, v4 bitop3:0x14
	v_and_b32_e32 v5, s58, v5
	s_delay_alu instid0(VALU_DEP_1)
	v_lshlrev_b32_e32 v5, 2, v5
	ds_load_b32 v5, v5
	s_wait_dscnt 0x0
	v_add_nc_u32_e32 v5, v5, v76
	global_store_b8 v5, v4, s[40:41]
	s_wait_xcnt 0x0
	s_or_b32 exec_lo, exec_lo, s22
	v_cmp_lt_u32_e64 s22, v77, v70
	s_and_saveexec_b32 s23, s22
	s_cbranch_execz .LBB1553_494
.LBB1553_566:                           ;   in Loop: Header=BB1553_418 Depth=2
	ds_load_u8 v4, v10 offset:2048
	s_wait_dscnt 0x0
	v_and_b32_e32 v5, 1, v4
	s_delay_alu instid0(VALU_DEP_1) | instskip(NEXT) | instid1(VALU_DEP_1)
	v_dual_lshrrev_b32 v5, s57, v5 :: v_dual_bitop2_b32 v4, 1, v4 bitop3:0x14
	v_and_b32_e32 v5, s58, v5
	s_delay_alu instid0(VALU_DEP_1)
	v_lshlrev_b32_e32 v5, 2, v5
	ds_load_b32 v5, v5
	s_wait_dscnt 0x0
	v_add_nc_u32_e32 v5, v5, v77
	global_store_b8 v5, v4, s[40:41]
	s_wait_xcnt 0x0
	s_or_b32 exec_lo, exec_lo, s23
	v_cmp_lt_u32_e64 s23, v78, v70
	s_and_saveexec_b32 s24, s23
	s_cbranch_execz .LBB1553_495
.LBB1553_567:                           ;   in Loop: Header=BB1553_418 Depth=2
	ds_load_u8 v4, v10 offset:2304
	s_wait_dscnt 0x0
	v_and_b32_e32 v5, 1, v4
	s_delay_alu instid0(VALU_DEP_1) | instskip(NEXT) | instid1(VALU_DEP_1)
	v_dual_lshrrev_b32 v5, s57, v5 :: v_dual_bitop2_b32 v4, 1, v4 bitop3:0x14
	v_and_b32_e32 v5, s58, v5
	s_delay_alu instid0(VALU_DEP_1)
	v_lshlrev_b32_e32 v5, 2, v5
	ds_load_b32 v5, v5
	s_wait_dscnt 0x0
	v_add_nc_u32_e32 v5, v5, v78
	global_store_b8 v5, v4, s[40:41]
	s_wait_xcnt 0x0
	s_or_b32 exec_lo, exec_lo, s24
	v_cmp_lt_u32_e64 s24, v79, v70
	s_and_saveexec_b32 s25, s24
	s_cbranch_execz .LBB1553_496
.LBB1553_568:                           ;   in Loop: Header=BB1553_418 Depth=2
	ds_load_u8 v4, v10 offset:2560
	s_wait_dscnt 0x0
	v_and_b32_e32 v5, 1, v4
	s_delay_alu instid0(VALU_DEP_1) | instskip(NEXT) | instid1(VALU_DEP_1)
	v_dual_lshrrev_b32 v5, s57, v5 :: v_dual_bitop2_b32 v4, 1, v4 bitop3:0x14
	v_and_b32_e32 v5, s58, v5
	s_delay_alu instid0(VALU_DEP_1)
	v_lshlrev_b32_e32 v5, 2, v5
	ds_load_b32 v5, v5
	s_wait_dscnt 0x0
	v_add_nc_u32_e32 v5, v5, v79
	global_store_b8 v5, v4, s[40:41]
	s_wait_xcnt 0x0
	s_or_b32 exec_lo, exec_lo, s25
	v_cmp_lt_u32_e64 s25, v80, v70
	s_and_saveexec_b32 s26, s25
	s_cbranch_execz .LBB1553_497
.LBB1553_569:                           ;   in Loop: Header=BB1553_418 Depth=2
	ds_load_u8 v4, v10 offset:2816
	s_wait_dscnt 0x0
	v_and_b32_e32 v5, 1, v4
	s_delay_alu instid0(VALU_DEP_1) | instskip(NEXT) | instid1(VALU_DEP_1)
	v_dual_lshrrev_b32 v5, s57, v5 :: v_dual_bitop2_b32 v4, 1, v4 bitop3:0x14
	v_and_b32_e32 v5, s58, v5
	s_delay_alu instid0(VALU_DEP_1)
	v_lshlrev_b32_e32 v5, 2, v5
	ds_load_b32 v5, v5
	s_wait_dscnt 0x0
	v_add_nc_u32_e32 v5, v5, v80
	global_store_b8 v5, v4, s[40:41]
	s_wait_xcnt 0x0
	s_or_b32 exec_lo, exec_lo, s26
	v_cmp_lt_u32_e64 s26, v81, v70
	s_and_saveexec_b32 s27, s26
	s_cbranch_execz .LBB1553_498
.LBB1553_570:                           ;   in Loop: Header=BB1553_418 Depth=2
	ds_load_u8 v4, v10 offset:3072
	s_wait_dscnt 0x0
	v_and_b32_e32 v5, 1, v4
	s_delay_alu instid0(VALU_DEP_1) | instskip(NEXT) | instid1(VALU_DEP_1)
	v_dual_lshrrev_b32 v5, s57, v5 :: v_dual_bitop2_b32 v4, 1, v4 bitop3:0x14
	v_and_b32_e32 v5, s58, v5
	s_delay_alu instid0(VALU_DEP_1)
	v_lshlrev_b32_e32 v5, 2, v5
	ds_load_b32 v5, v5
	s_wait_dscnt 0x0
	v_add_nc_u32_e32 v5, v5, v81
	global_store_b8 v5, v4, s[40:41]
	s_wait_xcnt 0x0
	s_or_b32 exec_lo, exec_lo, s27
	v_cmp_lt_u32_e64 s27, v82, v70
	s_and_saveexec_b32 s28, s27
	s_cbranch_execz .LBB1553_499
.LBB1553_571:                           ;   in Loop: Header=BB1553_418 Depth=2
	ds_load_u8 v4, v10 offset:3328
	s_wait_dscnt 0x0
	v_and_b32_e32 v5, 1, v4
	s_delay_alu instid0(VALU_DEP_1) | instskip(NEXT) | instid1(VALU_DEP_1)
	v_dual_lshrrev_b32 v5, s57, v5 :: v_dual_bitop2_b32 v4, 1, v4 bitop3:0x14
	v_and_b32_e32 v5, s58, v5
	s_delay_alu instid0(VALU_DEP_1)
	v_lshlrev_b32_e32 v5, 2, v5
	ds_load_b32 v5, v5
	s_wait_dscnt 0x0
	v_add_nc_u32_e32 v5, v5, v82
	global_store_b8 v5, v4, s[40:41]
	s_wait_xcnt 0x0
	s_or_b32 exec_lo, exec_lo, s28
	v_cmp_lt_u32_e64 s28, v83, v70
	s_and_saveexec_b32 s29, s28
	s_cbranch_execz .LBB1553_500
.LBB1553_572:                           ;   in Loop: Header=BB1553_418 Depth=2
	ds_load_u8 v4, v10 offset:3584
	s_wait_dscnt 0x0
	v_and_b32_e32 v5, 1, v4
	s_delay_alu instid0(VALU_DEP_1) | instskip(NEXT) | instid1(VALU_DEP_1)
	v_dual_lshrrev_b32 v5, s57, v5 :: v_dual_bitop2_b32 v4, 1, v4 bitop3:0x14
	v_and_b32_e32 v5, s58, v5
	s_delay_alu instid0(VALU_DEP_1)
	v_lshlrev_b32_e32 v5, 2, v5
	ds_load_b32 v5, v5
	s_wait_dscnt 0x0
	v_add_nc_u32_e32 v5, v5, v83
	global_store_b8 v5, v4, s[40:41]
	s_wait_xcnt 0x0
	s_or_b32 exec_lo, exec_lo, s29
	v_cmp_lt_u32_e64 s29, v84, v70
	s_and_saveexec_b32 s30, s29
	s_cbranch_execz .LBB1553_501
.LBB1553_573:                           ;   in Loop: Header=BB1553_418 Depth=2
	ds_load_u8 v4, v10 offset:3840
	s_wait_dscnt 0x0
	v_and_b32_e32 v5, 1, v4
	s_delay_alu instid0(VALU_DEP_1) | instskip(NEXT) | instid1(VALU_DEP_1)
	v_dual_lshrrev_b32 v5, s57, v5 :: v_dual_bitop2_b32 v4, 1, v4 bitop3:0x14
	v_and_b32_e32 v5, s58, v5
	s_delay_alu instid0(VALU_DEP_1)
	v_lshlrev_b32_e32 v5, 2, v5
	ds_load_b32 v5, v5
	s_wait_dscnt 0x0
	v_add_nc_u32_e32 v5, v5, v84
	global_store_b8 v5, v4, s[40:41]
	s_wait_xcnt 0x0
	s_or_b32 exec_lo, exec_lo, s30
	v_cmp_lt_u32_e64 s30, v85, v70
	s_and_saveexec_b32 s31, s30
	s_cbranch_execz .LBB1553_502
.LBB1553_574:                           ;   in Loop: Header=BB1553_418 Depth=2
	ds_load_u8 v4, v10 offset:4096
	s_wait_dscnt 0x0
	v_and_b32_e32 v5, 1, v4
	s_delay_alu instid0(VALU_DEP_1) | instskip(NEXT) | instid1(VALU_DEP_1)
	v_dual_lshrrev_b32 v5, s57, v5 :: v_dual_bitop2_b32 v4, 1, v4 bitop3:0x14
	v_and_b32_e32 v5, s58, v5
	s_delay_alu instid0(VALU_DEP_1)
	v_lshlrev_b32_e32 v5, 2, v5
	ds_load_b32 v5, v5
	s_wait_dscnt 0x0
	v_add_nc_u32_e32 v5, v5, v85
	global_store_b8 v5, v4, s[40:41]
	s_wait_xcnt 0x0
	s_or_b32 exec_lo, exec_lo, s31
	v_cmp_lt_u32_e64 s31, v86, v70
	s_and_saveexec_b32 s33, s31
	s_cbranch_execz .LBB1553_503
.LBB1553_575:                           ;   in Loop: Header=BB1553_418 Depth=2
	ds_load_u8 v4, v10 offset:4352
	s_wait_dscnt 0x0
	v_and_b32_e32 v5, 1, v4
	s_delay_alu instid0(VALU_DEP_1) | instskip(NEXT) | instid1(VALU_DEP_1)
	v_dual_lshrrev_b32 v5, s57, v5 :: v_dual_bitop2_b32 v4, 1, v4 bitop3:0x14
	v_and_b32_e32 v5, s58, v5
	s_delay_alu instid0(VALU_DEP_1)
	v_lshlrev_b32_e32 v5, 2, v5
	ds_load_b32 v5, v5
	s_wait_dscnt 0x0
	v_add_nc_u32_e32 v5, v5, v86
	global_store_b8 v5, v4, s[40:41]
	s_wait_xcnt 0x0
	s_or_b32 exec_lo, exec_lo, s33
	v_cmp_lt_u32_e64 s33, v87, v70
	s_and_saveexec_b32 s34, s33
	s_cbranch_execnz .LBB1553_504
	s_branch .LBB1553_505
.LBB1553_576:                           ;   in Loop: Header=BB1553_418 Depth=2
	global_load_b64 v[68:69], v[4:5], off
	s_wait_xcnt 0x0
	s_or_b32 exec_lo, exec_lo, s34
	s_delay_alu instid0(SALU_CYCLE_1)
	s_mov_b32 s42, exec_lo
	v_cmpx_lt_u32_e64 v103, v70
	s_cbranch_execz .LBB1553_507
.LBB1553_577:                           ;   in Loop: Header=BB1553_418 Depth=2
	global_load_b64 v[66:67], v[4:5], off offset:256
	s_wait_xcnt 0x0
	s_or_b32 exec_lo, exec_lo, s42
	s_delay_alu instid0(SALU_CYCLE_1)
	s_mov_b32 s42, exec_lo
	v_cmpx_lt_u32_e64 v104, v70
	s_cbranch_execz .LBB1553_508
.LBB1553_578:                           ;   in Loop: Header=BB1553_418 Depth=2
	global_load_b64 v[64:65], v[4:5], off offset:512
	s_wait_xcnt 0x0
	s_or_b32 exec_lo, exec_lo, s42
	s_delay_alu instid0(SALU_CYCLE_1)
	s_mov_b32 s42, exec_lo
	v_cmpx_lt_u32_e64 v105, v70
	s_cbranch_execz .LBB1553_509
.LBB1553_579:                           ;   in Loop: Header=BB1553_418 Depth=2
	global_load_b64 v[62:63], v[4:5], off offset:768
	s_wait_xcnt 0x0
	s_or_b32 exec_lo, exec_lo, s42
	s_delay_alu instid0(SALU_CYCLE_1)
	s_mov_b32 s42, exec_lo
	v_cmpx_lt_u32_e64 v106, v70
	s_cbranch_execz .LBB1553_510
.LBB1553_580:                           ;   in Loop: Header=BB1553_418 Depth=2
	global_load_b64 v[60:61], v[4:5], off offset:1024
	s_wait_xcnt 0x0
	s_or_b32 exec_lo, exec_lo, s42
	s_delay_alu instid0(SALU_CYCLE_1)
	s_mov_b32 s42, exec_lo
	v_cmpx_lt_u32_e64 v107, v70
	s_cbranch_execz .LBB1553_511
.LBB1553_581:                           ;   in Loop: Header=BB1553_418 Depth=2
	global_load_b64 v[58:59], v[4:5], off offset:1280
	s_wait_xcnt 0x0
	s_or_b32 exec_lo, exec_lo, s42
	s_delay_alu instid0(SALU_CYCLE_1)
	s_mov_b32 s42, exec_lo
	v_cmpx_lt_u32_e64 v108, v70
	s_cbranch_execz .LBB1553_512
.LBB1553_582:                           ;   in Loop: Header=BB1553_418 Depth=2
	global_load_b64 v[56:57], v[4:5], off offset:1536
	s_wait_xcnt 0x0
	s_or_b32 exec_lo, exec_lo, s42
	s_delay_alu instid0(SALU_CYCLE_1)
	s_mov_b32 s42, exec_lo
	v_cmpx_lt_u32_e64 v109, v70
	s_cbranch_execz .LBB1553_513
.LBB1553_583:                           ;   in Loop: Header=BB1553_418 Depth=2
	global_load_b64 v[54:55], v[4:5], off offset:1792
	s_wait_xcnt 0x0
	s_or_b32 exec_lo, exec_lo, s42
	s_delay_alu instid0(SALU_CYCLE_1)
	s_mov_b32 s42, exec_lo
	v_cmpx_lt_u32_e64 v110, v70
	s_cbranch_execz .LBB1553_514
.LBB1553_584:                           ;   in Loop: Header=BB1553_418 Depth=2
	global_load_b64 v[52:53], v[4:5], off offset:2048
	s_wait_xcnt 0x0
	s_or_b32 exec_lo, exec_lo, s42
	s_delay_alu instid0(SALU_CYCLE_1)
	s_mov_b32 s42, exec_lo
	v_cmpx_lt_u32_e64 v111, v70
	s_cbranch_execz .LBB1553_515
.LBB1553_585:                           ;   in Loop: Header=BB1553_418 Depth=2
	global_load_b64 v[50:51], v[4:5], off offset:2304
	s_wait_xcnt 0x0
	s_or_b32 exec_lo, exec_lo, s42
	s_delay_alu instid0(SALU_CYCLE_1)
	s_mov_b32 s42, exec_lo
	v_cmpx_lt_u32_e64 v112, v70
	s_cbranch_execz .LBB1553_516
.LBB1553_586:                           ;   in Loop: Header=BB1553_418 Depth=2
	global_load_b64 v[48:49], v[4:5], off offset:2560
	s_wait_xcnt 0x0
	s_or_b32 exec_lo, exec_lo, s42
	s_delay_alu instid0(SALU_CYCLE_1)
	s_mov_b32 s42, exec_lo
	v_cmpx_lt_u32_e64 v113, v70
	s_cbranch_execz .LBB1553_517
.LBB1553_587:                           ;   in Loop: Header=BB1553_418 Depth=2
	global_load_b64 v[46:47], v[4:5], off offset:2816
	s_wait_xcnt 0x0
	s_or_b32 exec_lo, exec_lo, s42
	s_delay_alu instid0(SALU_CYCLE_1)
	s_mov_b32 s42, exec_lo
	v_cmpx_lt_u32_e64 v114, v70
	s_cbranch_execz .LBB1553_518
.LBB1553_588:                           ;   in Loop: Header=BB1553_418 Depth=2
	global_load_b64 v[44:45], v[4:5], off offset:3072
	s_wait_xcnt 0x0
	s_or_b32 exec_lo, exec_lo, s42
	s_delay_alu instid0(SALU_CYCLE_1)
	s_mov_b32 s42, exec_lo
	v_cmpx_lt_u32_e64 v115, v70
	s_cbranch_execz .LBB1553_519
.LBB1553_589:                           ;   in Loop: Header=BB1553_418 Depth=2
	global_load_b64 v[42:43], v[4:5], off offset:3328
	s_wait_xcnt 0x0
	s_or_b32 exec_lo, exec_lo, s42
	s_delay_alu instid0(SALU_CYCLE_1)
	s_mov_b32 s42, exec_lo
	v_cmpx_lt_u32_e64 v116, v70
	s_cbranch_execz .LBB1553_520
.LBB1553_590:                           ;   in Loop: Header=BB1553_418 Depth=2
	global_load_b64 v[40:41], v[4:5], off offset:3584
	s_wait_xcnt 0x0
	s_or_b32 exec_lo, exec_lo, s42
	s_delay_alu instid0(SALU_CYCLE_1)
	s_mov_b32 s42, exec_lo
	v_cmpx_lt_u32_e64 v117, v70
	s_cbranch_execz .LBB1553_521
.LBB1553_591:                           ;   in Loop: Header=BB1553_418 Depth=2
	global_load_b64 v[38:39], v[4:5], off offset:3840
	s_wait_xcnt 0x0
	s_or_b32 exec_lo, exec_lo, s42
	s_delay_alu instid0(SALU_CYCLE_1)
	s_mov_b32 s42, exec_lo
	v_cmpx_lt_u32_e64 v118, v70
	s_cbranch_execz .LBB1553_522
.LBB1553_592:                           ;   in Loop: Header=BB1553_418 Depth=2
	global_load_b64 v[36:37], v[4:5], off offset:4096
	s_wait_xcnt 0x0
	s_or_b32 exec_lo, exec_lo, s42
	s_and_saveexec_b32 s34, vcc_lo
	s_cbranch_execz .LBB1553_523
.LBB1553_593:                           ;   in Loop: Header=BB1553_418 Depth=2
	ds_load_u8 v4, v10 offset:512
	s_wait_dscnt 0x0
	v_lshrrev_b32_e32 v4, s57, v4
	s_delay_alu instid0(VALU_DEP_1)
	v_and_b32_e32 v135, s58, v4
	s_or_b32 exec_lo, exec_lo, s34
	s_and_saveexec_b32 s34, s17
	s_cbranch_execz .LBB1553_524
.LBB1553_594:                           ;   in Loop: Header=BB1553_418 Depth=2
	ds_load_u8 v4, v10 offset:768
	s_wait_dscnt 0x0
	v_lshrrev_b32_e32 v4, s57, v4
	s_delay_alu instid0(VALU_DEP_1)
	v_and_b32_e32 v134, s58, v4
	s_or_b32 exec_lo, exec_lo, s34
	s_and_saveexec_b32 s34, s18
	s_cbranch_execz .LBB1553_525
.LBB1553_595:                           ;   in Loop: Header=BB1553_418 Depth=2
	ds_load_u8 v4, v10 offset:1024
	s_wait_dscnt 0x0
	v_lshrrev_b32_e32 v4, s57, v4
	s_delay_alu instid0(VALU_DEP_1)
	v_and_b32_e32 v133, s58, v4
	s_or_b32 exec_lo, exec_lo, s34
	s_and_saveexec_b32 s34, s19
	s_cbranch_execz .LBB1553_526
.LBB1553_596:                           ;   in Loop: Header=BB1553_418 Depth=2
	ds_load_u8 v4, v10 offset:1280
	s_wait_dscnt 0x0
	v_lshrrev_b32_e32 v4, s57, v4
	s_delay_alu instid0(VALU_DEP_1)
	v_and_b32_e32 v132, s58, v4
	s_or_b32 exec_lo, exec_lo, s34
	s_and_saveexec_b32 s34, s20
	s_cbranch_execz .LBB1553_527
.LBB1553_597:                           ;   in Loop: Header=BB1553_418 Depth=2
	ds_load_u8 v4, v10 offset:1536
	s_wait_dscnt 0x0
	v_lshrrev_b32_e32 v4, s57, v4
	s_delay_alu instid0(VALU_DEP_1)
	v_and_b32_e32 v131, s58, v4
	s_or_b32 exec_lo, exec_lo, s34
	s_and_saveexec_b32 s34, s21
	s_cbranch_execz .LBB1553_528
.LBB1553_598:                           ;   in Loop: Header=BB1553_418 Depth=2
	ds_load_u8 v4, v10 offset:1792
	s_wait_dscnt 0x0
	v_lshrrev_b32_e32 v4, s57, v4
	s_delay_alu instid0(VALU_DEP_1)
	v_and_b32_e32 v130, s58, v4
	s_or_b32 exec_lo, exec_lo, s34
	s_and_saveexec_b32 s34, s22
	s_cbranch_execz .LBB1553_529
.LBB1553_599:                           ;   in Loop: Header=BB1553_418 Depth=2
	ds_load_u8 v4, v10 offset:2048
	s_wait_dscnt 0x0
	v_lshrrev_b32_e32 v4, s57, v4
	s_delay_alu instid0(VALU_DEP_1)
	v_and_b32_e32 v129, s58, v4
	s_or_b32 exec_lo, exec_lo, s34
	s_and_saveexec_b32 s34, s23
	s_cbranch_execz .LBB1553_530
.LBB1553_600:                           ;   in Loop: Header=BB1553_418 Depth=2
	ds_load_u8 v4, v10 offset:2304
	s_wait_dscnt 0x0
	v_lshrrev_b32_e32 v4, s57, v4
	s_delay_alu instid0(VALU_DEP_1)
	v_and_b32_e32 v128, s58, v4
	s_or_b32 exec_lo, exec_lo, s34
	s_and_saveexec_b32 s34, s24
	s_cbranch_execz .LBB1553_531
.LBB1553_601:                           ;   in Loop: Header=BB1553_418 Depth=2
	ds_load_u8 v4, v10 offset:2560
	s_wait_dscnt 0x0
	v_lshrrev_b32_e32 v4, s57, v4
	s_delay_alu instid0(VALU_DEP_1)
	v_and_b32_e32 v127, s58, v4
	s_or_b32 exec_lo, exec_lo, s34
	s_and_saveexec_b32 s34, s25
	s_cbranch_execz .LBB1553_532
.LBB1553_602:                           ;   in Loop: Header=BB1553_418 Depth=2
	ds_load_u8 v4, v10 offset:2816
	s_wait_dscnt 0x0
	v_lshrrev_b32_e32 v4, s57, v4
	s_delay_alu instid0(VALU_DEP_1)
	v_and_b32_e32 v126, s58, v4
	s_or_b32 exec_lo, exec_lo, s34
	s_and_saveexec_b32 s34, s26
	s_cbranch_execz .LBB1553_533
.LBB1553_603:                           ;   in Loop: Header=BB1553_418 Depth=2
	ds_load_u8 v4, v10 offset:3072
	s_wait_dscnt 0x0
	v_lshrrev_b32_e32 v4, s57, v4
	s_delay_alu instid0(VALU_DEP_1)
	v_and_b32_e32 v125, s58, v4
	s_or_b32 exec_lo, exec_lo, s34
	s_and_saveexec_b32 s34, s27
	s_cbranch_execz .LBB1553_534
.LBB1553_604:                           ;   in Loop: Header=BB1553_418 Depth=2
	ds_load_u8 v4, v10 offset:3328
	s_wait_dscnt 0x0
	v_lshrrev_b32_e32 v4, s57, v4
	s_delay_alu instid0(VALU_DEP_1)
	v_and_b32_e32 v124, s58, v4
	s_or_b32 exec_lo, exec_lo, s34
	s_and_saveexec_b32 s34, s28
	s_cbranch_execz .LBB1553_535
.LBB1553_605:                           ;   in Loop: Header=BB1553_418 Depth=2
	ds_load_u8 v4, v10 offset:3584
	s_wait_dscnt 0x0
	v_lshrrev_b32_e32 v4, s57, v4
	s_delay_alu instid0(VALU_DEP_1)
	v_and_b32_e32 v123, s58, v4
	s_or_b32 exec_lo, exec_lo, s34
	s_and_saveexec_b32 s34, s29
	s_cbranch_execz .LBB1553_536
.LBB1553_606:                           ;   in Loop: Header=BB1553_418 Depth=2
	ds_load_u8 v4, v10 offset:3840
	s_wait_dscnt 0x0
	v_lshrrev_b32_e32 v4, s57, v4
	s_delay_alu instid0(VALU_DEP_1)
	v_and_b32_e32 v122, s58, v4
	s_or_b32 exec_lo, exec_lo, s34
	s_and_saveexec_b32 s34, s30
	s_cbranch_execz .LBB1553_537
.LBB1553_607:                           ;   in Loop: Header=BB1553_418 Depth=2
	ds_load_u8 v4, v10 offset:4096
	s_wait_dscnt 0x0
	v_lshrrev_b32_e32 v4, s57, v4
	s_delay_alu instid0(VALU_DEP_1)
	v_and_b32_e32 v121, s58, v4
	s_or_b32 exec_lo, exec_lo, s34
	s_and_saveexec_b32 s34, s31
	s_cbranch_execz .LBB1553_538
.LBB1553_608:                           ;   in Loop: Header=BB1553_418 Depth=2
	ds_load_u8 v4, v10 offset:4352
	s_wait_dscnt 0x0
	v_lshrrev_b32_e32 v4, s57, v4
	s_delay_alu instid0(VALU_DEP_1)
	v_and_b32_e32 v120, s58, v4
	s_or_b32 exec_lo, exec_lo, s34
	s_and_saveexec_b32 s34, s33
	s_cbranch_execnz .LBB1553_539
	s_branch .LBB1553_540
.LBB1553_609:                           ;   in Loop: Header=BB1553_418 Depth=2
	v_dual_lshlrev_b32 v4, 2, v135 :: v_dual_add_nc_u32 v5, v10, v100
	ds_load_b32 v6, v4
	ds_load_b64 v[4:5], v5 offset:512
	s_wait_dscnt 0x1
	v_add_nc_u32_e32 v6, v6, v10
	s_wait_dscnt 0x0
	global_store_b64 v6, v[4:5], s[46:47] scale_offset
	s_wait_xcnt 0x0
	s_or_b32 exec_lo, exec_lo, s34
	s_and_saveexec_b32 s34, s17
	s_cbranch_execz .LBB1553_542
.LBB1553_610:                           ;   in Loop: Header=BB1553_418 Depth=2
	v_dual_lshlrev_b32 v4, 2, v134 :: v_dual_add_nc_u32 v5, v10, v100
	ds_load_b32 v6, v4
	ds_load_b64 v[4:5], v5 offset:2560
	s_wait_dscnt 0x1
	v_add_nc_u32_e32 v6, v6, v72
	s_wait_dscnt 0x0
	global_store_b64 v6, v[4:5], s[46:47] scale_offset
	s_wait_xcnt 0x0
	s_or_b32 exec_lo, exec_lo, s34
	s_and_saveexec_b32 s17, s18
	s_cbranch_execz .LBB1553_543
.LBB1553_611:                           ;   in Loop: Header=BB1553_418 Depth=2
	v_dual_lshlrev_b32 v4, 2, v133 :: v_dual_add_nc_u32 v5, v10, v100
	ds_load_b32 v6, v4
	ds_load_b64 v[4:5], v5 offset:4608
	s_wait_dscnt 0x1
	v_add_nc_u32_e32 v6, v6, v73
	s_wait_dscnt 0x0
	global_store_b64 v6, v[4:5], s[46:47] scale_offset
	s_wait_xcnt 0x0
	s_or_b32 exec_lo, exec_lo, s17
	s_and_saveexec_b32 s17, s19
	s_cbranch_execz .LBB1553_544
.LBB1553_612:                           ;   in Loop: Header=BB1553_418 Depth=2
	v_lshlrev_b32_e32 v4, 2, v132
	v_add_nc_u32_e32 v5, v10, v100
	ds_load_b32 v6, v4
	ds_load_b64 v[4:5], v5 offset:6656
	s_wait_dscnt 0x1
	v_add_nc_u32_e32 v6, v6, v74
	s_wait_dscnt 0x0
	global_store_b64 v6, v[4:5], s[46:47] scale_offset
	s_wait_xcnt 0x0
	s_or_b32 exec_lo, exec_lo, s17
	s_and_saveexec_b32 s17, s20
	s_cbranch_execz .LBB1553_545
.LBB1553_613:                           ;   in Loop: Header=BB1553_418 Depth=2
	v_dual_lshlrev_b32 v4, 2, v131 :: v_dual_add_nc_u32 v5, v10, v100
	ds_load_b32 v6, v4
	ds_load_b64 v[4:5], v5 offset:8704
	s_wait_dscnt 0x1
	v_add_nc_u32_e32 v6, v6, v75
	s_wait_dscnt 0x0
	global_store_b64 v6, v[4:5], s[46:47] scale_offset
	s_wait_xcnt 0x0
	s_or_b32 exec_lo, exec_lo, s17
	s_and_saveexec_b32 s17, s21
	s_cbranch_execz .LBB1553_546
.LBB1553_614:                           ;   in Loop: Header=BB1553_418 Depth=2
	v_dual_lshlrev_b32 v4, 2, v130 :: v_dual_add_nc_u32 v5, v10, v100
	ds_load_b32 v6, v4
	ds_load_b64 v[4:5], v5 offset:10752
	s_wait_dscnt 0x1
	v_add_nc_u32_e32 v6, v6, v76
	s_wait_dscnt 0x0
	global_store_b64 v6, v[4:5], s[46:47] scale_offset
	s_wait_xcnt 0x0
	s_or_b32 exec_lo, exec_lo, s17
	s_and_saveexec_b32 s17, s22
	s_cbranch_execz .LBB1553_547
.LBB1553_615:                           ;   in Loop: Header=BB1553_418 Depth=2
	v_dual_lshlrev_b32 v4, 2, v129 :: v_dual_add_nc_u32 v5, v10, v100
	ds_load_b32 v6, v4
	ds_load_b64 v[4:5], v5 offset:12800
	s_wait_dscnt 0x1
	v_add_nc_u32_e32 v6, v6, v77
	s_wait_dscnt 0x0
	global_store_b64 v6, v[4:5], s[46:47] scale_offset
	s_wait_xcnt 0x0
	s_or_b32 exec_lo, exec_lo, s17
	s_and_saveexec_b32 s17, s23
	s_cbranch_execz .LBB1553_548
.LBB1553_616:                           ;   in Loop: Header=BB1553_418 Depth=2
	v_lshlrev_b32_e32 v4, 2, v128
	v_add_nc_u32_e32 v5, v10, v100
	ds_load_b32 v6, v4
	ds_load_b64 v[4:5], v5 offset:14848
	s_wait_dscnt 0x1
	v_add_nc_u32_e32 v6, v6, v78
	s_wait_dscnt 0x0
	global_store_b64 v6, v[4:5], s[46:47] scale_offset
	s_wait_xcnt 0x0
	s_or_b32 exec_lo, exec_lo, s17
	s_and_saveexec_b32 s17, s24
	s_cbranch_execz .LBB1553_549
.LBB1553_617:                           ;   in Loop: Header=BB1553_418 Depth=2
	v_dual_lshlrev_b32 v4, 2, v127 :: v_dual_add_nc_u32 v5, v10, v100
	ds_load_b32 v6, v4
	ds_load_b64 v[4:5], v5 offset:16896
	s_wait_dscnt 0x1
	v_add_nc_u32_e32 v6, v6, v79
	s_wait_dscnt 0x0
	global_store_b64 v6, v[4:5], s[46:47] scale_offset
	s_wait_xcnt 0x0
	s_or_b32 exec_lo, exec_lo, s17
	s_and_saveexec_b32 s17, s25
	s_cbranch_execz .LBB1553_550
.LBB1553_618:                           ;   in Loop: Header=BB1553_418 Depth=2
	v_dual_lshlrev_b32 v4, 2, v126 :: v_dual_add_nc_u32 v5, v10, v100
	ds_load_b32 v6, v4
	ds_load_b64 v[4:5], v5 offset:18944
	s_wait_dscnt 0x1
	v_add_nc_u32_e32 v6, v6, v80
	s_wait_dscnt 0x0
	global_store_b64 v6, v[4:5], s[46:47] scale_offset
	s_wait_xcnt 0x0
	s_or_b32 exec_lo, exec_lo, s17
	s_and_saveexec_b32 s17, s26
	s_cbranch_execz .LBB1553_551
.LBB1553_619:                           ;   in Loop: Header=BB1553_418 Depth=2
	v_dual_lshlrev_b32 v4, 2, v125 :: v_dual_add_nc_u32 v5, v10, v100
	ds_load_b32 v6, v4
	ds_load_b64 v[4:5], v5 offset:20992
	s_wait_dscnt 0x1
	v_add_nc_u32_e32 v6, v6, v81
	s_wait_dscnt 0x0
	global_store_b64 v6, v[4:5], s[46:47] scale_offset
	s_wait_xcnt 0x0
	s_or_b32 exec_lo, exec_lo, s17
	s_and_saveexec_b32 s17, s27
	s_cbranch_execz .LBB1553_552
.LBB1553_620:                           ;   in Loop: Header=BB1553_418 Depth=2
	v_lshlrev_b32_e32 v4, 2, v124
	v_add_nc_u32_e32 v5, v10, v100
	ds_load_b32 v6, v4
	ds_load_b64 v[4:5], v5 offset:23040
	s_wait_dscnt 0x1
	v_add_nc_u32_e32 v6, v6, v82
	s_wait_dscnt 0x0
	global_store_b64 v6, v[4:5], s[46:47] scale_offset
	s_wait_xcnt 0x0
	s_or_b32 exec_lo, exec_lo, s17
	s_and_saveexec_b32 s17, s28
	s_cbranch_execz .LBB1553_553
.LBB1553_621:                           ;   in Loop: Header=BB1553_418 Depth=2
	v_dual_lshlrev_b32 v4, 2, v123 :: v_dual_add_nc_u32 v5, v10, v100
	ds_load_b32 v6, v4
	ds_load_b64 v[4:5], v5 offset:25088
	s_wait_dscnt 0x1
	v_add_nc_u32_e32 v6, v6, v83
	s_wait_dscnt 0x0
	global_store_b64 v6, v[4:5], s[46:47] scale_offset
	s_wait_xcnt 0x0
	s_or_b32 exec_lo, exec_lo, s17
	s_and_saveexec_b32 s17, s29
	s_cbranch_execz .LBB1553_554
.LBB1553_622:                           ;   in Loop: Header=BB1553_418 Depth=2
	v_dual_lshlrev_b32 v4, 2, v122 :: v_dual_add_nc_u32 v5, v10, v100
	ds_load_b32 v6, v4
	ds_load_b64 v[4:5], v5 offset:27136
	s_wait_dscnt 0x1
	v_add_nc_u32_e32 v6, v6, v84
	s_wait_dscnt 0x0
	global_store_b64 v6, v[4:5], s[46:47] scale_offset
	s_wait_xcnt 0x0
	s_or_b32 exec_lo, exec_lo, s17
	s_and_saveexec_b32 s17, s30
	s_cbranch_execz .LBB1553_555
.LBB1553_623:                           ;   in Loop: Header=BB1553_418 Depth=2
	v_dual_lshlrev_b32 v4, 2, v121 :: v_dual_add_nc_u32 v5, v10, v100
	ds_load_b32 v6, v4
	ds_load_b64 v[4:5], v5 offset:29184
	s_wait_dscnt 0x1
	v_add_nc_u32_e32 v6, v6, v85
	s_wait_dscnt 0x0
	global_store_b64 v6, v[4:5], s[46:47] scale_offset
	s_wait_xcnt 0x0
	s_or_b32 exec_lo, exec_lo, s17
	s_and_saveexec_b32 s17, s31
	s_cbranch_execz .LBB1553_556
.LBB1553_624:                           ;   in Loop: Header=BB1553_418 Depth=2
	v_lshlrev_b32_e32 v4, 2, v120
	v_add_nc_u32_e32 v5, v10, v100
	ds_load_b32 v6, v4
	ds_load_b64 v[4:5], v5 offset:31232
	s_wait_dscnt 0x1
	v_add_nc_u32_e32 v6, v6, v86
	s_wait_dscnt 0x0
	global_store_b64 v6, v[4:5], s[46:47] scale_offset
	s_wait_xcnt 0x0
	s_or_b32 exec_lo, exec_lo, s17
	s_and_saveexec_b32 s17, s33
	s_cbranch_execnz .LBB1553_557
	s_branch .LBB1553_558
.LBB1553_625:                           ;   in Loop: Header=BB1553_418 Depth=2
	global_load_u8 v4, v[70:71], off
	v_dual_mov_b32 v5, v2 :: v_dual_mov_b32 v6, v2
	v_dual_mov_b32 v7, v2 :: v_dual_mov_b32 v8, v2
	s_wait_xcnt 0x0
	s_or_b32 exec_lo, exec_lo, s17
	s_delay_alu instid0(SALU_CYCLE_1)
	s_mov_b32 s17, exec_lo
	v_cmpx_gt_u32_e64 s59, v103
	s_cbranch_execz .LBB1553_423
.LBB1553_626:                           ;   in Loop: Header=BB1553_418 Depth=2
	global_load_u8 v3, v[70:71], off offset:32
	v_and_b32_e32 v8, 0xff, v8
	s_wait_loadcnt 0x0
	v_perm_b32 v4, v4, v3, 0x7060004
	s_wait_xcnt 0x0
	s_or_b32 exec_lo, exec_lo, s17
	s_delay_alu instid0(SALU_CYCLE_1)
	s_mov_b32 s17, exec_lo
	v_cmpx_gt_u32_e64 s59, v104
	s_cbranch_execz .LBB1553_424
.LBB1553_627:                           ;   in Loop: Header=BB1553_418 Depth=2
	global_load_u8 v3, v[70:71], off offset:64
	v_and_b32_e32 v8, 0xff, v8
	s_wait_loadcnt 0x0
	v_perm_b32 v4, v4, v3, 0x7000504
	s_wait_xcnt 0x0
	s_or_b32 exec_lo, exec_lo, s17
	s_delay_alu instid0(SALU_CYCLE_1)
	s_mov_b32 s17, exec_lo
	v_cmpx_gt_u32_e64 s59, v105
	s_cbranch_execz .LBB1553_425
.LBB1553_628:                           ;   in Loop: Header=BB1553_418 Depth=2
	global_load_u8 v3, v[70:71], off offset:96
	v_and_b32_e32 v8, 0xff, v8
	s_wait_loadcnt 0x0
	v_perm_b32 v4, v4, v3, 0x60504
	s_wait_xcnt 0x0
	s_or_b32 exec_lo, exec_lo, s17
	s_delay_alu instid0(SALU_CYCLE_1)
	s_mov_b32 s17, exec_lo
	v_cmpx_gt_u32_e64 s59, v106
	s_cbranch_execz .LBB1553_426
.LBB1553_629:                           ;   in Loop: Header=BB1553_418 Depth=2
	global_load_u8 v3, v[70:71], off offset:128
	v_and_b32_e32 v8, 0xff, v8
	s_wait_loadcnt 0x0
	v_perm_b32 v5, v3, v5, 0x3020104
	s_wait_xcnt 0x0
	s_or_b32 exec_lo, exec_lo, s17
	s_delay_alu instid0(SALU_CYCLE_1)
	s_mov_b32 s17, exec_lo
	v_cmpx_gt_u32_e64 s59, v107
	s_cbranch_execz .LBB1553_427
.LBB1553_630:                           ;   in Loop: Header=BB1553_418 Depth=2
	global_load_u8 v3, v[70:71], off offset:160
	v_and_b32_e32 v8, 0xff, v8
	s_wait_loadcnt 0x0
	v_perm_b32 v5, v5, v3, 0x7060004
	s_wait_xcnt 0x0
	s_or_b32 exec_lo, exec_lo, s17
	s_delay_alu instid0(SALU_CYCLE_1)
	s_mov_b32 s17, exec_lo
	v_cmpx_gt_u32_e64 s59, v108
	s_cbranch_execz .LBB1553_428
.LBB1553_631:                           ;   in Loop: Header=BB1553_418 Depth=2
	global_load_u8 v3, v[70:71], off offset:192
	v_and_b32_e32 v8, 0xff, v8
	s_wait_loadcnt 0x0
	v_perm_b32 v5, v5, v3, 0x7000504
	s_wait_xcnt 0x0
	s_or_b32 exec_lo, exec_lo, s17
	s_delay_alu instid0(SALU_CYCLE_1)
	s_mov_b32 s17, exec_lo
	v_cmpx_gt_u32_e64 s59, v109
	s_cbranch_execz .LBB1553_429
.LBB1553_632:                           ;   in Loop: Header=BB1553_418 Depth=2
	global_load_u8 v3, v[70:71], off offset:224
	v_and_b32_e32 v8, 0xff, v8
	s_wait_loadcnt 0x0
	v_perm_b32 v5, v5, v3, 0x60504
	s_wait_xcnt 0x0
	s_or_b32 exec_lo, exec_lo, s17
	s_delay_alu instid0(SALU_CYCLE_1)
	s_mov_b32 s17, exec_lo
	v_cmpx_gt_u32_e64 s59, v110
	s_cbranch_execz .LBB1553_430
.LBB1553_633:                           ;   in Loop: Header=BB1553_418 Depth=2
	global_load_u8 v3, v[70:71], off offset:256
	v_and_b32_e32 v8, 0xff, v8
	s_wait_loadcnt 0x0
	v_perm_b32 v6, v3, v6, 0x3020104
	s_wait_xcnt 0x0
	s_or_b32 exec_lo, exec_lo, s17
	s_delay_alu instid0(SALU_CYCLE_1)
	s_mov_b32 s17, exec_lo
	v_cmpx_gt_u32_e64 s59, v111
	s_cbranch_execz .LBB1553_431
.LBB1553_634:                           ;   in Loop: Header=BB1553_418 Depth=2
	global_load_u8 v3, v[70:71], off offset:288
	v_and_b32_e32 v8, 0xff, v8
	s_wait_loadcnt 0x0
	v_perm_b32 v6, v6, v3, 0x7060004
	s_wait_xcnt 0x0
	s_or_b32 exec_lo, exec_lo, s17
	s_delay_alu instid0(SALU_CYCLE_1)
	s_mov_b32 s17, exec_lo
	v_cmpx_gt_u32_e64 s59, v112
	s_cbranch_execz .LBB1553_432
.LBB1553_635:                           ;   in Loop: Header=BB1553_418 Depth=2
	global_load_u8 v3, v[70:71], off offset:320
	v_and_b32_e32 v8, 0xff, v8
	s_wait_loadcnt 0x0
	v_perm_b32 v6, v6, v3, 0x7000504
	s_wait_xcnt 0x0
	s_or_b32 exec_lo, exec_lo, s17
	s_delay_alu instid0(SALU_CYCLE_1)
	s_mov_b32 s17, exec_lo
	v_cmpx_gt_u32_e64 s59, v113
	s_cbranch_execz .LBB1553_433
.LBB1553_636:                           ;   in Loop: Header=BB1553_418 Depth=2
	global_load_u8 v3, v[70:71], off offset:352
	v_and_b32_e32 v8, 0xff, v8
	s_wait_loadcnt 0x0
	v_perm_b32 v6, v6, v3, 0x60504
	s_wait_xcnt 0x0
	s_or_b32 exec_lo, exec_lo, s17
	s_delay_alu instid0(SALU_CYCLE_1)
	s_mov_b32 s17, exec_lo
	v_cmpx_gt_u32_e64 s59, v114
	s_cbranch_execz .LBB1553_434
.LBB1553_637:                           ;   in Loop: Header=BB1553_418 Depth=2
	global_load_u8 v3, v[70:71], off offset:384
	v_and_b32_e32 v8, 0xff, v8
	s_wait_loadcnt 0x0
	v_perm_b32 v7, v3, v7, 0x3020104
	s_wait_xcnt 0x0
	s_or_b32 exec_lo, exec_lo, s17
	s_delay_alu instid0(SALU_CYCLE_1)
	s_mov_b32 s17, exec_lo
	v_cmpx_gt_u32_e64 s59, v115
	s_cbranch_execz .LBB1553_435
.LBB1553_638:                           ;   in Loop: Header=BB1553_418 Depth=2
	global_load_u8 v3, v[70:71], off offset:416
	v_and_b32_e32 v8, 0xff, v8
	s_wait_loadcnt 0x0
	v_perm_b32 v7, v7, v3, 0x7060004
	s_wait_xcnt 0x0
	s_or_b32 exec_lo, exec_lo, s17
	s_delay_alu instid0(SALU_CYCLE_1)
	s_mov_b32 s17, exec_lo
	v_cmpx_gt_u32_e64 s59, v116
	s_cbranch_execz .LBB1553_436
.LBB1553_639:                           ;   in Loop: Header=BB1553_418 Depth=2
	global_load_u8 v3, v[70:71], off offset:448
	v_and_b32_e32 v8, 0xff, v8
	s_wait_loadcnt 0x0
	v_perm_b32 v7, v7, v3, 0x7000504
	s_wait_xcnt 0x0
	s_or_b32 exec_lo, exec_lo, s17
	s_delay_alu instid0(SALU_CYCLE_1)
	s_mov_b32 s17, exec_lo
	v_cmpx_gt_u32_e64 s59, v117
	s_cbranch_execnz .LBB1553_437
	s_branch .LBB1553_438
.LBB1553_640:                           ;   in Loop: Header=BB1553_20 Depth=1
	s_wait_dscnt 0x0
	s_barrier_signal -1
	s_barrier_wait -1
.LBB1553_641:                           ;   in Loop: Header=BB1553_20 Depth=1
	s_mov_b32 s8, 0
.LBB1553_642:                           ;   in Loop: Header=BB1553_20 Depth=1
	s_delay_alu instid0(SALU_CYCLE_1)
	s_and_not1_b32 vcc_lo, exec_lo, s8
	s_cbranch_vccnz .LBB1553_19
; %bb.643:                              ;   in Loop: Header=BB1553_20 Depth=1
	s_and_b32 vcc_lo, exec_lo, s55
	s_mov_b32 s8, -1
	s_cbranch_vccz .LBB1553_953
; %bb.644:                              ;   in Loop: Header=BB1553_20 Depth=1
	v_dual_mov_b32 v40, 0 :: v_dual_mov_b32 v43, 0
	v_dual_mov_b32 v42, 0 :: v_dual_mov_b32 v41, 0
	;; [unrolled: 1-line block ×8, first 2 shown]
	v_mov_b32_e32 v3, 0
	s_mov_b32 s8, s56
	s_mov_b32 s42, s54
	s_barrier_signal -1
	s_barrier_wait -1
	s_branch .LBB1553_646
.LBB1553_645:                           ;   in Loop: Header=BB1553_646 Depth=2
	s_or_b32 exec_lo, exec_lo, s10
	s_addk_co_i32 s8, 0xef00
	s_cmp_ge_u32 s9, s51
	s_mov_b32 s42, s9
	s_cbranch_scc1 .LBB1553_718
.LBB1553_646:                           ;   Parent Loop BB1553_20 Depth=1
                                        ; =>  This Inner Loop Header: Depth=2
	s_add_co_i32 s9, s42, 0x1100
	s_mov_b32 s10, -1
	s_cmp_gt_u32 s9, s51
                                        ; implicit-def: $vgpr4
                                        ; implicit-def: $vgpr5
                                        ; implicit-def: $vgpr44
                                        ; implicit-def: $vgpr45
                                        ; implicit-def: $vgpr46
                                        ; implicit-def: $vgpr47
                                        ; implicit-def: $vgpr48
                                        ; implicit-def: $vgpr49
                                        ; implicit-def: $vgpr50
                                        ; implicit-def: $vgpr51
                                        ; implicit-def: $vgpr52
                                        ; implicit-def: $vgpr53
                                        ; implicit-def: $vgpr54
                                        ; implicit-def: $vgpr55
                                        ; implicit-def: $vgpr56
                                        ; implicit-def: $vgpr57
                                        ; implicit-def: $vgpr58
	s_cbranch_scc1 .LBB1553_648
; %bb.647:                              ;   in Loop: Header=BB1553_646 Depth=2
	v_add_nc_u64_e32 v[60:61], s[42:43], v[24:25]
	s_mov_b32 s10, 0
	s_clause 0x10
	global_load_u8 v58, v[60:61], off offset:4096
	global_load_u8 v57, v[60:61], off offset:3840
	;; [unrolled: 1-line block ×16, first 2 shown]
	global_load_u8 v4, v[60:61], off
.LBB1553_648:                           ;   in Loop: Header=BB1553_646 Depth=2
	s_and_not1_b32 vcc_lo, exec_lo, s10
	s_movk_i32 s10, 0x1100
	s_cbranch_vccnz .LBB1553_668
; %bb.649:                              ;   in Loop: Header=BB1553_646 Depth=2
	s_add_nc_u64 s[10:11], s[36:37], s[42:43]
	s_wait_loadcnt 0x0
	v_add_nc_u64_e32 v[4:5], s[10:11], v[10:11]
	s_mov_b32 s10, exec_lo
	s_wait_xcnt 0x0
	v_cmpx_gt_u32_e64 s8, v10
	s_cbranch_execnz .LBB1553_702
; %bb.650:                              ;   in Loop: Header=BB1553_646 Depth=2
	s_or_b32 exec_lo, exec_lo, s10
	s_delay_alu instid0(SALU_CYCLE_1)
	s_mov_b32 s10, exec_lo
	v_cmpx_gt_u32_e64 s8, v72
	s_cbranch_execnz .LBB1553_703
.LBB1553_651:                           ;   in Loop: Header=BB1553_646 Depth=2
	s_or_b32 exec_lo, exec_lo, s10
	s_delay_alu instid0(SALU_CYCLE_1)
	s_mov_b32 s10, exec_lo
	v_cmpx_gt_u32_e64 s8, v73
	s_cbranch_execnz .LBB1553_704
.LBB1553_652:                           ;   in Loop: Header=BB1553_646 Depth=2
	s_or_b32 exec_lo, exec_lo, s10
	s_delay_alu instid0(SALU_CYCLE_1)
	s_mov_b32 s10, exec_lo
	v_cmpx_gt_u32_e64 s8, v74
	s_cbranch_execnz .LBB1553_705
.LBB1553_653:                           ;   in Loop: Header=BB1553_646 Depth=2
	s_or_b32 exec_lo, exec_lo, s10
	s_delay_alu instid0(SALU_CYCLE_1)
	s_mov_b32 s10, exec_lo
	v_cmpx_gt_u32_e64 s8, v75
	s_cbranch_execnz .LBB1553_706
.LBB1553_654:                           ;   in Loop: Header=BB1553_646 Depth=2
	s_or_b32 exec_lo, exec_lo, s10
	s_delay_alu instid0(SALU_CYCLE_1)
	s_mov_b32 s10, exec_lo
	v_cmpx_gt_u32_e64 s8, v76
	s_cbranch_execnz .LBB1553_707
.LBB1553_655:                           ;   in Loop: Header=BB1553_646 Depth=2
	s_or_b32 exec_lo, exec_lo, s10
	s_delay_alu instid0(SALU_CYCLE_1)
	s_mov_b32 s10, exec_lo
	v_cmpx_gt_u32_e64 s8, v77
	s_cbranch_execnz .LBB1553_708
.LBB1553_656:                           ;   in Loop: Header=BB1553_646 Depth=2
	s_or_b32 exec_lo, exec_lo, s10
	s_delay_alu instid0(SALU_CYCLE_1)
	s_mov_b32 s10, exec_lo
	v_cmpx_gt_u32_e64 s8, v78
	s_cbranch_execnz .LBB1553_709
.LBB1553_657:                           ;   in Loop: Header=BB1553_646 Depth=2
	s_or_b32 exec_lo, exec_lo, s10
	s_delay_alu instid0(SALU_CYCLE_1)
	s_mov_b32 s10, exec_lo
	v_cmpx_gt_u32_e64 s8, v79
	s_cbranch_execnz .LBB1553_710
.LBB1553_658:                           ;   in Loop: Header=BB1553_646 Depth=2
	s_or_b32 exec_lo, exec_lo, s10
	s_delay_alu instid0(SALU_CYCLE_1)
	s_mov_b32 s10, exec_lo
	v_cmpx_gt_u32_e64 s8, v80
	s_cbranch_execnz .LBB1553_711
.LBB1553_659:                           ;   in Loop: Header=BB1553_646 Depth=2
	s_or_b32 exec_lo, exec_lo, s10
	s_delay_alu instid0(SALU_CYCLE_1)
	s_mov_b32 s10, exec_lo
	v_cmpx_gt_u32_e64 s8, v81
	s_cbranch_execnz .LBB1553_712
.LBB1553_660:                           ;   in Loop: Header=BB1553_646 Depth=2
	s_or_b32 exec_lo, exec_lo, s10
	s_delay_alu instid0(SALU_CYCLE_1)
	s_mov_b32 s10, exec_lo
	v_cmpx_gt_u32_e64 s8, v82
	s_cbranch_execnz .LBB1553_713
.LBB1553_661:                           ;   in Loop: Header=BB1553_646 Depth=2
	s_or_b32 exec_lo, exec_lo, s10
	s_delay_alu instid0(SALU_CYCLE_1)
	s_mov_b32 s10, exec_lo
	v_cmpx_gt_u32_e64 s8, v83
	s_cbranch_execnz .LBB1553_714
.LBB1553_662:                           ;   in Loop: Header=BB1553_646 Depth=2
	s_or_b32 exec_lo, exec_lo, s10
	s_delay_alu instid0(SALU_CYCLE_1)
	s_mov_b32 s10, exec_lo
	v_cmpx_gt_u32_e64 s8, v84
	s_cbranch_execnz .LBB1553_715
.LBB1553_663:                           ;   in Loop: Header=BB1553_646 Depth=2
	s_or_b32 exec_lo, exec_lo, s10
	s_delay_alu instid0(SALU_CYCLE_1)
	s_mov_b32 s10, exec_lo
	v_cmpx_gt_u32_e64 s8, v85
	s_cbranch_execnz .LBB1553_716
.LBB1553_664:                           ;   in Loop: Header=BB1553_646 Depth=2
	s_or_b32 exec_lo, exec_lo, s10
	s_delay_alu instid0(SALU_CYCLE_1)
	s_mov_b32 s10, exec_lo
	v_cmpx_gt_u32_e64 s8, v86
	s_cbranch_execnz .LBB1553_717
.LBB1553_665:                           ;   in Loop: Header=BB1553_646 Depth=2
	s_or_b32 exec_lo, exec_lo, s10
	s_delay_alu instid0(SALU_CYCLE_1)
	s_mov_b32 s10, exec_lo
	v_cmpx_gt_u32_e64 s8, v87
	s_cbranch_execz .LBB1553_667
.LBB1553_666:                           ;   in Loop: Header=BB1553_646 Depth=2
	global_load_u8 v3, v[4:5], off offset:4096
.LBB1553_667:                           ;   in Loop: Header=BB1553_646 Depth=2
	s_wait_xcnt 0x0
	s_or_b32 exec_lo, exec_lo, s10
	s_wait_loadcnt 0x0
	v_dual_mov_b32 v4, v40 :: v_dual_mov_b32 v5, v43
	v_dual_mov_b32 v44, v42 :: v_dual_mov_b32 v45, v41
	;; [unrolled: 1-line block ×8, first 2 shown]
	v_mov_b32_e32 v58, v3
	s_mov_b32 s10, s8
.LBB1553_668:                           ;   in Loop: Header=BB1553_646 Depth=2
	s_wait_loadcnt 0xf
	s_delay_alu instid0(VALU_DEP_1)
	v_dual_mov_b32 v3, v58 :: v_dual_mov_b32 v6, v57
	s_wait_loadcnt 0xd
	v_dual_mov_b32 v7, v56 :: v_dual_mov_b32 v8, v55
	s_wait_loadcnt 0xb
	;; [unrolled: 2-line block ×8, first 2 shown]
	v_mov_b32_e32 v40, v4
	s_mov_b32 s11, exec_lo
	s_wait_xcnt 0x0
	v_cmpx_gt_u32_e64 s10, v10
	s_cbranch_execnz .LBB1553_685
; %bb.669:                              ;   in Loop: Header=BB1553_646 Depth=2
	s_or_b32 exec_lo, exec_lo, s11
	s_delay_alu instid0(SALU_CYCLE_1)
	s_mov_b32 s11, exec_lo
	v_cmpx_gt_u32_e64 s10, v72
	s_cbranch_execnz .LBB1553_686
.LBB1553_670:                           ;   in Loop: Header=BB1553_646 Depth=2
	s_or_b32 exec_lo, exec_lo, s11
	s_delay_alu instid0(SALU_CYCLE_1)
	s_mov_b32 s11, exec_lo
	v_cmpx_gt_u32_e64 s10, v73
	s_cbranch_execnz .LBB1553_687
.LBB1553_671:                           ;   in Loop: Header=BB1553_646 Depth=2
	s_or_b32 exec_lo, exec_lo, s11
	s_delay_alu instid0(SALU_CYCLE_1)
	s_mov_b32 s11, exec_lo
	v_cmpx_gt_u32_e64 s10, v74
	s_cbranch_execnz .LBB1553_688
.LBB1553_672:                           ;   in Loop: Header=BB1553_646 Depth=2
	s_or_b32 exec_lo, exec_lo, s11
	s_delay_alu instid0(SALU_CYCLE_1)
	s_mov_b32 s11, exec_lo
	v_cmpx_gt_u32_e64 s10, v75
	s_cbranch_execnz .LBB1553_689
.LBB1553_673:                           ;   in Loop: Header=BB1553_646 Depth=2
	s_or_b32 exec_lo, exec_lo, s11
	s_delay_alu instid0(SALU_CYCLE_1)
	s_mov_b32 s11, exec_lo
	v_cmpx_gt_u32_e64 s10, v76
	s_cbranch_execnz .LBB1553_690
.LBB1553_674:                           ;   in Loop: Header=BB1553_646 Depth=2
	s_or_b32 exec_lo, exec_lo, s11
	s_delay_alu instid0(SALU_CYCLE_1)
	s_mov_b32 s11, exec_lo
	v_cmpx_gt_u32_e64 s10, v77
	s_cbranch_execnz .LBB1553_691
.LBB1553_675:                           ;   in Loop: Header=BB1553_646 Depth=2
	s_or_b32 exec_lo, exec_lo, s11
	s_delay_alu instid0(SALU_CYCLE_1)
	s_mov_b32 s11, exec_lo
	v_cmpx_gt_u32_e64 s10, v78
	s_cbranch_execnz .LBB1553_692
.LBB1553_676:                           ;   in Loop: Header=BB1553_646 Depth=2
	s_or_b32 exec_lo, exec_lo, s11
	s_delay_alu instid0(SALU_CYCLE_1)
	s_mov_b32 s11, exec_lo
	v_cmpx_gt_u32_e64 s10, v79
	s_cbranch_execnz .LBB1553_693
.LBB1553_677:                           ;   in Loop: Header=BB1553_646 Depth=2
	s_or_b32 exec_lo, exec_lo, s11
	s_delay_alu instid0(SALU_CYCLE_1)
	s_mov_b32 s11, exec_lo
	v_cmpx_gt_u32_e64 s10, v80
	s_cbranch_execnz .LBB1553_694
.LBB1553_678:                           ;   in Loop: Header=BB1553_646 Depth=2
	s_or_b32 exec_lo, exec_lo, s11
	s_delay_alu instid0(SALU_CYCLE_1)
	s_mov_b32 s11, exec_lo
	v_cmpx_gt_u32_e64 s10, v81
	s_cbranch_execnz .LBB1553_695
.LBB1553_679:                           ;   in Loop: Header=BB1553_646 Depth=2
	s_or_b32 exec_lo, exec_lo, s11
	s_delay_alu instid0(SALU_CYCLE_1)
	s_mov_b32 s11, exec_lo
	v_cmpx_gt_u32_e64 s10, v82
	s_cbranch_execnz .LBB1553_696
.LBB1553_680:                           ;   in Loop: Header=BB1553_646 Depth=2
	s_or_b32 exec_lo, exec_lo, s11
	s_delay_alu instid0(SALU_CYCLE_1)
	s_mov_b32 s11, exec_lo
	v_cmpx_gt_u32_e64 s10, v83
	s_cbranch_execnz .LBB1553_697
.LBB1553_681:                           ;   in Loop: Header=BB1553_646 Depth=2
	s_or_b32 exec_lo, exec_lo, s11
	s_delay_alu instid0(SALU_CYCLE_1)
	s_mov_b32 s11, exec_lo
	v_cmpx_gt_u32_e64 s10, v84
	s_cbranch_execnz .LBB1553_698
.LBB1553_682:                           ;   in Loop: Header=BB1553_646 Depth=2
	s_or_b32 exec_lo, exec_lo, s11
	s_delay_alu instid0(SALU_CYCLE_1)
	s_mov_b32 s11, exec_lo
	v_cmpx_gt_u32_e64 s10, v85
	s_cbranch_execnz .LBB1553_699
.LBB1553_683:                           ;   in Loop: Header=BB1553_646 Depth=2
	s_or_b32 exec_lo, exec_lo, s11
	s_delay_alu instid0(SALU_CYCLE_1)
	s_mov_b32 s11, exec_lo
	v_cmpx_gt_u32_e64 s10, v86
	s_cbranch_execnz .LBB1553_700
.LBB1553_684:                           ;   in Loop: Header=BB1553_646 Depth=2
	s_or_b32 exec_lo, exec_lo, s11
	v_cmp_gt_u32_e32 vcc_lo, s10, v87
	s_and_saveexec_b32 s10, vcc_lo
	s_cbranch_execz .LBB1553_645
	s_branch .LBB1553_701
.LBB1553_685:                           ;   in Loop: Header=BB1553_646 Depth=2
	v_bitop3_b16 v4, v40, 1, v40 bitop3:0xc
	s_delay_alu instid0(VALU_DEP_1) | instskip(NEXT) | instid1(VALU_DEP_1)
	v_and_b32_e32 v4, 0xffff, v4
	v_lshrrev_b32_e32 v4, s49, v4
	s_delay_alu instid0(VALU_DEP_1) | instskip(NEXT) | instid1(VALU_DEP_1)
	v_and_b32_e32 v4, s58, v4
	v_lshl_or_b32 v4, v4, 4, v89
	ds_add_u32 v4, v15
	s_or_b32 exec_lo, exec_lo, s11
	s_delay_alu instid0(SALU_CYCLE_1)
	s_mov_b32 s11, exec_lo
	v_cmpx_gt_u32_e64 s10, v72
	s_cbranch_execz .LBB1553_670
.LBB1553_686:                           ;   in Loop: Header=BB1553_646 Depth=2
	v_bitop3_b16 v4, v43, 1, v43 bitop3:0xc
	s_delay_alu instid0(VALU_DEP_1) | instskip(NEXT) | instid1(VALU_DEP_1)
	v_and_b32_e32 v4, 0xffff, v4
	v_lshrrev_b32_e32 v4, s49, v4
	s_delay_alu instid0(VALU_DEP_1) | instskip(NEXT) | instid1(VALU_DEP_1)
	v_and_b32_e32 v4, s58, v4
	v_lshl_or_b32 v4, v4, 4, v89
	ds_add_u32 v4, v15
	s_or_b32 exec_lo, exec_lo, s11
	s_delay_alu instid0(SALU_CYCLE_1)
	s_mov_b32 s11, exec_lo
	v_cmpx_gt_u32_e64 s10, v73
	s_cbranch_execz .LBB1553_671
.LBB1553_687:                           ;   in Loop: Header=BB1553_646 Depth=2
	v_bitop3_b16 v4, v42, 1, v42 bitop3:0xc
	s_delay_alu instid0(VALU_DEP_1) | instskip(NEXT) | instid1(VALU_DEP_1)
	v_and_b32_e32 v4, 0xffff, v4
	v_lshrrev_b32_e32 v4, s49, v4
	s_delay_alu instid0(VALU_DEP_1) | instskip(NEXT) | instid1(VALU_DEP_1)
	v_and_b32_e32 v4, s58, v4
	v_lshl_or_b32 v4, v4, 4, v89
	ds_add_u32 v4, v15
	s_or_b32 exec_lo, exec_lo, s11
	s_delay_alu instid0(SALU_CYCLE_1)
	s_mov_b32 s11, exec_lo
	v_cmpx_gt_u32_e64 s10, v74
	s_cbranch_execz .LBB1553_672
.LBB1553_688:                           ;   in Loop: Header=BB1553_646 Depth=2
	v_bitop3_b16 v4, v41, 1, v41 bitop3:0xc
	s_delay_alu instid0(VALU_DEP_1) | instskip(NEXT) | instid1(VALU_DEP_1)
	v_and_b32_e32 v4, 0xffff, v4
	v_lshrrev_b32_e32 v4, s49, v4
	s_delay_alu instid0(VALU_DEP_1) | instskip(NEXT) | instid1(VALU_DEP_1)
	v_and_b32_e32 v4, s58, v4
	v_lshl_or_b32 v4, v4, 4, v89
	ds_add_u32 v4, v15
	s_or_b32 exec_lo, exec_lo, s11
	s_delay_alu instid0(SALU_CYCLE_1)
	s_mov_b32 s11, exec_lo
	v_cmpx_gt_u32_e64 s10, v75
	s_cbranch_execz .LBB1553_673
.LBB1553_689:                           ;   in Loop: Header=BB1553_646 Depth=2
	v_bitop3_b16 v4, v39, 1, v39 bitop3:0xc
	s_delay_alu instid0(VALU_DEP_1) | instskip(NEXT) | instid1(VALU_DEP_1)
	v_and_b32_e32 v4, 0xffff, v4
	v_lshrrev_b32_e32 v4, s49, v4
	s_delay_alu instid0(VALU_DEP_1) | instskip(NEXT) | instid1(VALU_DEP_1)
	v_and_b32_e32 v4, s58, v4
	v_lshl_or_b32 v4, v4, 4, v89
	ds_add_u32 v4, v15
	s_or_b32 exec_lo, exec_lo, s11
	s_delay_alu instid0(SALU_CYCLE_1)
	s_mov_b32 s11, exec_lo
	v_cmpx_gt_u32_e64 s10, v76
	s_cbranch_execz .LBB1553_674
.LBB1553_690:                           ;   in Loop: Header=BB1553_646 Depth=2
	v_bitop3_b16 v4, v38, 1, v38 bitop3:0xc
	s_delay_alu instid0(VALU_DEP_1) | instskip(NEXT) | instid1(VALU_DEP_1)
	v_and_b32_e32 v4, 0xffff, v4
	v_lshrrev_b32_e32 v4, s49, v4
	s_delay_alu instid0(VALU_DEP_1) | instskip(NEXT) | instid1(VALU_DEP_1)
	v_and_b32_e32 v4, s58, v4
	v_lshl_or_b32 v4, v4, 4, v89
	ds_add_u32 v4, v15
	s_or_b32 exec_lo, exec_lo, s11
	s_delay_alu instid0(SALU_CYCLE_1)
	s_mov_b32 s11, exec_lo
	v_cmpx_gt_u32_e64 s10, v77
	s_cbranch_execz .LBB1553_675
.LBB1553_691:                           ;   in Loop: Header=BB1553_646 Depth=2
	v_bitop3_b16 v4, v37, 1, v37 bitop3:0xc
	s_delay_alu instid0(VALU_DEP_1) | instskip(NEXT) | instid1(VALU_DEP_1)
	v_and_b32_e32 v4, 0xffff, v4
	v_lshrrev_b32_e32 v4, s49, v4
	s_delay_alu instid0(VALU_DEP_1) | instskip(NEXT) | instid1(VALU_DEP_1)
	v_and_b32_e32 v4, s58, v4
	v_lshl_or_b32 v4, v4, 4, v89
	ds_add_u32 v4, v15
	s_or_b32 exec_lo, exec_lo, s11
	s_delay_alu instid0(SALU_CYCLE_1)
	s_mov_b32 s11, exec_lo
	v_cmpx_gt_u32_e64 s10, v78
	s_cbranch_execz .LBB1553_676
.LBB1553_692:                           ;   in Loop: Header=BB1553_646 Depth=2
	v_bitop3_b16 v4, v36, 1, v36 bitop3:0xc
	s_delay_alu instid0(VALU_DEP_1) | instskip(NEXT) | instid1(VALU_DEP_1)
	v_and_b32_e32 v4, 0xffff, v4
	v_lshrrev_b32_e32 v4, s49, v4
	s_delay_alu instid0(VALU_DEP_1) | instskip(NEXT) | instid1(VALU_DEP_1)
	v_and_b32_e32 v4, s58, v4
	v_lshl_or_b32 v4, v4, 4, v89
	ds_add_u32 v4, v15
	s_or_b32 exec_lo, exec_lo, s11
	s_delay_alu instid0(SALU_CYCLE_1)
	s_mov_b32 s11, exec_lo
	v_cmpx_gt_u32_e64 s10, v79
	s_cbranch_execz .LBB1553_677
.LBB1553_693:                           ;   in Loop: Header=BB1553_646 Depth=2
	v_bitop3_b16 v4, v35, 1, v35 bitop3:0xc
	s_delay_alu instid0(VALU_DEP_1) | instskip(NEXT) | instid1(VALU_DEP_1)
	v_and_b32_e32 v4, 0xffff, v4
	v_lshrrev_b32_e32 v4, s49, v4
	s_delay_alu instid0(VALU_DEP_1) | instskip(NEXT) | instid1(VALU_DEP_1)
	v_and_b32_e32 v4, s58, v4
	v_lshl_or_b32 v4, v4, 4, v89
	ds_add_u32 v4, v15
	s_or_b32 exec_lo, exec_lo, s11
	s_delay_alu instid0(SALU_CYCLE_1)
	s_mov_b32 s11, exec_lo
	v_cmpx_gt_u32_e64 s10, v80
	s_cbranch_execz .LBB1553_678
.LBB1553_694:                           ;   in Loop: Header=BB1553_646 Depth=2
	v_bitop3_b16 v4, v34, 1, v34 bitop3:0xc
	s_delay_alu instid0(VALU_DEP_1) | instskip(NEXT) | instid1(VALU_DEP_1)
	v_and_b32_e32 v4, 0xffff, v4
	v_lshrrev_b32_e32 v4, s49, v4
	s_delay_alu instid0(VALU_DEP_1) | instskip(NEXT) | instid1(VALU_DEP_1)
	v_and_b32_e32 v4, s58, v4
	v_lshl_or_b32 v4, v4, 4, v89
	ds_add_u32 v4, v15
	s_or_b32 exec_lo, exec_lo, s11
	s_delay_alu instid0(SALU_CYCLE_1)
	s_mov_b32 s11, exec_lo
	v_cmpx_gt_u32_e64 s10, v81
	s_cbranch_execz .LBB1553_679
.LBB1553_695:                           ;   in Loop: Header=BB1553_646 Depth=2
	v_bitop3_b16 v4, v33, 1, v33 bitop3:0xc
	s_delay_alu instid0(VALU_DEP_1) | instskip(NEXT) | instid1(VALU_DEP_1)
	v_and_b32_e32 v4, 0xffff, v4
	v_lshrrev_b32_e32 v4, s49, v4
	s_delay_alu instid0(VALU_DEP_1) | instskip(NEXT) | instid1(VALU_DEP_1)
	v_and_b32_e32 v4, s58, v4
	v_lshl_or_b32 v4, v4, 4, v89
	ds_add_u32 v4, v15
	s_or_b32 exec_lo, exec_lo, s11
	s_delay_alu instid0(SALU_CYCLE_1)
	s_mov_b32 s11, exec_lo
	v_cmpx_gt_u32_e64 s10, v82
	s_cbranch_execz .LBB1553_680
.LBB1553_696:                           ;   in Loop: Header=BB1553_646 Depth=2
	v_bitop3_b16 v4, v32, 1, v32 bitop3:0xc
	s_delay_alu instid0(VALU_DEP_1) | instskip(NEXT) | instid1(VALU_DEP_1)
	v_and_b32_e32 v4, 0xffff, v4
	v_lshrrev_b32_e32 v4, s49, v4
	s_delay_alu instid0(VALU_DEP_1) | instskip(NEXT) | instid1(VALU_DEP_1)
	v_and_b32_e32 v4, s58, v4
	v_lshl_or_b32 v4, v4, 4, v89
	ds_add_u32 v4, v15
	s_or_b32 exec_lo, exec_lo, s11
	s_delay_alu instid0(SALU_CYCLE_1)
	s_mov_b32 s11, exec_lo
	v_cmpx_gt_u32_e64 s10, v83
	s_cbranch_execz .LBB1553_681
.LBB1553_697:                           ;   in Loop: Header=BB1553_646 Depth=2
	v_bitop3_b16 v4, v31, 1, v31 bitop3:0xc
	s_delay_alu instid0(VALU_DEP_1) | instskip(NEXT) | instid1(VALU_DEP_1)
	v_and_b32_e32 v4, 0xffff, v4
	v_lshrrev_b32_e32 v4, s49, v4
	s_delay_alu instid0(VALU_DEP_1) | instskip(NEXT) | instid1(VALU_DEP_1)
	v_and_b32_e32 v4, s58, v4
	v_lshl_or_b32 v4, v4, 4, v89
	ds_add_u32 v4, v15
	s_or_b32 exec_lo, exec_lo, s11
	s_delay_alu instid0(SALU_CYCLE_1)
	s_mov_b32 s11, exec_lo
	v_cmpx_gt_u32_e64 s10, v84
	s_cbranch_execz .LBB1553_682
.LBB1553_698:                           ;   in Loop: Header=BB1553_646 Depth=2
	v_bitop3_b16 v4, v8, 1, v8 bitop3:0xc
	s_delay_alu instid0(VALU_DEP_1) | instskip(NEXT) | instid1(VALU_DEP_1)
	v_and_b32_e32 v4, 0xffff, v4
	v_lshrrev_b32_e32 v4, s49, v4
	s_delay_alu instid0(VALU_DEP_1) | instskip(NEXT) | instid1(VALU_DEP_1)
	v_and_b32_e32 v4, s58, v4
	v_lshl_or_b32 v4, v4, 4, v89
	ds_add_u32 v4, v15
	s_or_b32 exec_lo, exec_lo, s11
	s_delay_alu instid0(SALU_CYCLE_1)
	s_mov_b32 s11, exec_lo
	v_cmpx_gt_u32_e64 s10, v85
	s_cbranch_execz .LBB1553_683
.LBB1553_699:                           ;   in Loop: Header=BB1553_646 Depth=2
	v_bitop3_b16 v4, v7, 1, v7 bitop3:0xc
	s_delay_alu instid0(VALU_DEP_1) | instskip(NEXT) | instid1(VALU_DEP_1)
	v_and_b32_e32 v4, 0xffff, v4
	v_lshrrev_b32_e32 v4, s49, v4
	s_delay_alu instid0(VALU_DEP_1) | instskip(NEXT) | instid1(VALU_DEP_1)
	v_and_b32_e32 v4, s58, v4
	v_lshl_or_b32 v4, v4, 4, v89
	ds_add_u32 v4, v15
	s_or_b32 exec_lo, exec_lo, s11
	s_delay_alu instid0(SALU_CYCLE_1)
	s_mov_b32 s11, exec_lo
	v_cmpx_gt_u32_e64 s10, v86
	s_cbranch_execz .LBB1553_684
.LBB1553_700:                           ;   in Loop: Header=BB1553_646 Depth=2
	v_bitop3_b16 v4, v6, 1, v6 bitop3:0xc
	s_delay_alu instid0(VALU_DEP_1) | instskip(NEXT) | instid1(VALU_DEP_1)
	v_and_b32_e32 v4, 0xffff, v4
	v_lshrrev_b32_e32 v4, s49, v4
	s_delay_alu instid0(VALU_DEP_1) | instskip(NEXT) | instid1(VALU_DEP_1)
	v_and_b32_e32 v4, s58, v4
	v_lshl_or_b32 v4, v4, 4, v89
	ds_add_u32 v4, v15
	s_or_b32 exec_lo, exec_lo, s11
	v_cmp_gt_u32_e32 vcc_lo, s10, v87
	s_and_saveexec_b32 s10, vcc_lo
	s_cbranch_execz .LBB1553_645
.LBB1553_701:                           ;   in Loop: Header=BB1553_646 Depth=2
	v_bitop3_b16 v4, v3, 1, v3 bitop3:0xc
	s_delay_alu instid0(VALU_DEP_1) | instskip(NEXT) | instid1(VALU_DEP_1)
	v_and_b32_e32 v4, 0xffff, v4
	v_lshrrev_b32_e32 v4, s49, v4
	s_delay_alu instid0(VALU_DEP_1) | instskip(NEXT) | instid1(VALU_DEP_1)
	v_and_b32_e32 v4, s58, v4
	v_lshl_or_b32 v4, v4, 4, v89
	ds_add_u32 v4, v15
	s_branch .LBB1553_645
.LBB1553_702:                           ;   in Loop: Header=BB1553_646 Depth=2
	global_load_u8 v40, v[4:5], off
	s_wait_xcnt 0x0
	s_or_b32 exec_lo, exec_lo, s10
	s_delay_alu instid0(SALU_CYCLE_1)
	s_mov_b32 s10, exec_lo
	v_cmpx_gt_u32_e64 s8, v72
	s_cbranch_execz .LBB1553_651
.LBB1553_703:                           ;   in Loop: Header=BB1553_646 Depth=2
	global_load_u8 v43, v[4:5], off offset:256
	s_wait_xcnt 0x0
	s_or_b32 exec_lo, exec_lo, s10
	s_delay_alu instid0(SALU_CYCLE_1)
	s_mov_b32 s10, exec_lo
	v_cmpx_gt_u32_e64 s8, v73
	s_cbranch_execz .LBB1553_652
.LBB1553_704:                           ;   in Loop: Header=BB1553_646 Depth=2
	global_load_u8 v42, v[4:5], off offset:512
	s_wait_xcnt 0x0
	s_or_b32 exec_lo, exec_lo, s10
	s_delay_alu instid0(SALU_CYCLE_1)
	s_mov_b32 s10, exec_lo
	v_cmpx_gt_u32_e64 s8, v74
	s_cbranch_execz .LBB1553_653
.LBB1553_705:                           ;   in Loop: Header=BB1553_646 Depth=2
	global_load_u8 v41, v[4:5], off offset:768
	s_wait_xcnt 0x0
	s_or_b32 exec_lo, exec_lo, s10
	s_delay_alu instid0(SALU_CYCLE_1)
	s_mov_b32 s10, exec_lo
	v_cmpx_gt_u32_e64 s8, v75
	s_cbranch_execz .LBB1553_654
.LBB1553_706:                           ;   in Loop: Header=BB1553_646 Depth=2
	global_load_u8 v39, v[4:5], off offset:1024
	s_wait_xcnt 0x0
	s_or_b32 exec_lo, exec_lo, s10
	s_delay_alu instid0(SALU_CYCLE_1)
	s_mov_b32 s10, exec_lo
	v_cmpx_gt_u32_e64 s8, v76
	s_cbranch_execz .LBB1553_655
.LBB1553_707:                           ;   in Loop: Header=BB1553_646 Depth=2
	global_load_u8 v38, v[4:5], off offset:1280
	s_wait_xcnt 0x0
	s_or_b32 exec_lo, exec_lo, s10
	s_delay_alu instid0(SALU_CYCLE_1)
	s_mov_b32 s10, exec_lo
	v_cmpx_gt_u32_e64 s8, v77
	s_cbranch_execz .LBB1553_656
.LBB1553_708:                           ;   in Loop: Header=BB1553_646 Depth=2
	global_load_u8 v37, v[4:5], off offset:1536
	s_wait_xcnt 0x0
	s_or_b32 exec_lo, exec_lo, s10
	s_delay_alu instid0(SALU_CYCLE_1)
	s_mov_b32 s10, exec_lo
	v_cmpx_gt_u32_e64 s8, v78
	s_cbranch_execz .LBB1553_657
.LBB1553_709:                           ;   in Loop: Header=BB1553_646 Depth=2
	global_load_u8 v36, v[4:5], off offset:1792
	s_wait_xcnt 0x0
	s_or_b32 exec_lo, exec_lo, s10
	s_delay_alu instid0(SALU_CYCLE_1)
	s_mov_b32 s10, exec_lo
	v_cmpx_gt_u32_e64 s8, v79
	s_cbranch_execz .LBB1553_658
.LBB1553_710:                           ;   in Loop: Header=BB1553_646 Depth=2
	global_load_u8 v35, v[4:5], off offset:2048
	s_wait_xcnt 0x0
	s_or_b32 exec_lo, exec_lo, s10
	s_delay_alu instid0(SALU_CYCLE_1)
	s_mov_b32 s10, exec_lo
	v_cmpx_gt_u32_e64 s8, v80
	s_cbranch_execz .LBB1553_659
.LBB1553_711:                           ;   in Loop: Header=BB1553_646 Depth=2
	global_load_u8 v34, v[4:5], off offset:2304
	s_wait_xcnt 0x0
	s_or_b32 exec_lo, exec_lo, s10
	s_delay_alu instid0(SALU_CYCLE_1)
	s_mov_b32 s10, exec_lo
	v_cmpx_gt_u32_e64 s8, v81
	s_cbranch_execz .LBB1553_660
.LBB1553_712:                           ;   in Loop: Header=BB1553_646 Depth=2
	global_load_u8 v33, v[4:5], off offset:2560
	s_wait_xcnt 0x0
	s_or_b32 exec_lo, exec_lo, s10
	s_delay_alu instid0(SALU_CYCLE_1)
	s_mov_b32 s10, exec_lo
	v_cmpx_gt_u32_e64 s8, v82
	s_cbranch_execz .LBB1553_661
.LBB1553_713:                           ;   in Loop: Header=BB1553_646 Depth=2
	global_load_u8 v32, v[4:5], off offset:2816
	s_wait_xcnt 0x0
	s_or_b32 exec_lo, exec_lo, s10
	s_delay_alu instid0(SALU_CYCLE_1)
	s_mov_b32 s10, exec_lo
	v_cmpx_gt_u32_e64 s8, v83
	s_cbranch_execz .LBB1553_662
.LBB1553_714:                           ;   in Loop: Header=BB1553_646 Depth=2
	global_load_u8 v31, v[4:5], off offset:3072
	s_wait_xcnt 0x0
	s_or_b32 exec_lo, exec_lo, s10
	s_delay_alu instid0(SALU_CYCLE_1)
	s_mov_b32 s10, exec_lo
	v_cmpx_gt_u32_e64 s8, v84
	s_cbranch_execz .LBB1553_663
.LBB1553_715:                           ;   in Loop: Header=BB1553_646 Depth=2
	global_load_u8 v8, v[4:5], off offset:3328
	s_wait_xcnt 0x0
	s_or_b32 exec_lo, exec_lo, s10
	s_delay_alu instid0(SALU_CYCLE_1)
	s_mov_b32 s10, exec_lo
	v_cmpx_gt_u32_e64 s8, v85
	s_cbranch_execz .LBB1553_664
.LBB1553_716:                           ;   in Loop: Header=BB1553_646 Depth=2
	global_load_u8 v7, v[4:5], off offset:3584
	s_wait_xcnt 0x0
	s_or_b32 exec_lo, exec_lo, s10
	s_delay_alu instid0(SALU_CYCLE_1)
	s_mov_b32 s10, exec_lo
	v_cmpx_gt_u32_e64 s8, v86
	s_cbranch_execz .LBB1553_665
.LBB1553_717:                           ;   in Loop: Header=BB1553_646 Depth=2
	global_load_u8 v6, v[4:5], off offset:3840
	s_wait_xcnt 0x0
	s_or_b32 exec_lo, exec_lo, s10
	s_delay_alu instid0(SALU_CYCLE_1)
	s_mov_b32 s10, exec_lo
	v_cmpx_gt_u32_e64 s8, v87
	s_cbranch_execnz .LBB1553_666
	s_branch .LBB1553_667
.LBB1553_718:                           ;   in Loop: Header=BB1553_20 Depth=1
	v_mov_b32_e32 v3, 0
	s_wait_dscnt 0x0
	s_barrier_signal -1
	s_barrier_wait -1
	s_and_saveexec_b32 s8, s0
	s_cbranch_execz .LBB1553_720
; %bb.719:                              ;   in Loop: Header=BB1553_20 Depth=1
	ds_load_2addr_b64 v[4:7], v90 offset1:1
	s_wait_dscnt 0x0
	v_add_nc_u32_e32 v3, v5, v4
	s_delay_alu instid0(VALU_DEP_1)
	v_add3_u32 v3, v3, v6, v7
.LBB1553_720:                           ;   in Loop: Header=BB1553_20 Depth=1
	s_or_b32 exec_lo, exec_lo, s8
	v_and_b32_e32 v4, 15, v30
	s_delay_alu instid0(VALU_DEP_2) | instskip(NEXT) | instid1(VALU_DEP_2)
	v_mov_b32_dpp v5, v3 row_shr:1 row_mask:0xf bank_mask:0xf
	v_cmp_eq_u32_e64 s8, 0, v4
	s_delay_alu instid0(VALU_DEP_1) | instskip(NEXT) | instid1(VALU_DEP_1)
	v_cndmask_b32_e64 v5, v5, 0, s8
	v_add_nc_u32_e32 v3, v5, v3
	v_cmp_lt_u32_e64 s9, 1, v4
	v_cmp_lt_u32_e64 s10, 3, v4
	v_cmp_lt_u32_e64 s11, 7, v4
	s_delay_alu instid0(VALU_DEP_4) | instskip(NEXT) | instid1(VALU_DEP_1)
	v_mov_b32_dpp v5, v3 row_shr:2 row_mask:0xf bank_mask:0xf
	v_cndmask_b32_e64 v5, 0, v5, s9
	s_delay_alu instid0(VALU_DEP_1) | instskip(NEXT) | instid1(VALU_DEP_1)
	v_add_nc_u32_e32 v3, v3, v5
	v_mov_b32_dpp v5, v3 row_shr:4 row_mask:0xf bank_mask:0xf
	s_delay_alu instid0(VALU_DEP_1) | instskip(NEXT) | instid1(VALU_DEP_1)
	v_cndmask_b32_e64 v5, 0, v5, s10
	v_add_nc_u32_e32 v3, v3, v5
	s_delay_alu instid0(VALU_DEP_1) | instskip(NEXT) | instid1(VALU_DEP_1)
	v_mov_b32_dpp v5, v3 row_shr:8 row_mask:0xf bank_mask:0xf
	v_cndmask_b32_e64 v4, 0, v5, s11
	v_bfe_i32 v5, v30, 4, 1
	s_delay_alu instid0(VALU_DEP_2) | instskip(SKIP_3) | instid1(VALU_DEP_1)
	v_add_nc_u32_e32 v3, v3, v4
	ds_swizzle_b32 v4, v3 offset:swizzle(BROADCAST,32,15)
	s_wait_dscnt 0x0
	v_and_b32_e32 v4, v5, v4
	v_dual_add_nc_u32 v3, v3, v4 :: v_dual_bitop2_b32 v6, 16, v30 bitop3:0x40
	s_delay_alu instid0(VALU_DEP_1)
	v_cmp_eq_u32_e64 s12, 0, v6
	s_and_saveexec_b32 s13, s1
; %bb.721:                              ;   in Loop: Header=BB1553_20 Depth=1
	ds_store_b32 v91, v3
; %bb.722:                              ;   in Loop: Header=BB1553_20 Depth=1
	s_or_b32 exec_lo, exec_lo, s13
	s_wait_dscnt 0x0
	s_barrier_signal -1
	s_barrier_wait -1
	s_and_saveexec_b32 s13, s4
	s_cbranch_execz .LBB1553_724
; %bb.723:                              ;   in Loop: Header=BB1553_20 Depth=1
	ds_load_b32 v4, v92
	v_and_b32_e32 v5, 3, v30
	s_delay_alu instid0(VALU_DEP_1) | instskip(SKIP_2) | instid1(VALU_DEP_1)
	v_cmp_ne_u32_e32 vcc_lo, 0, v5
	s_wait_dscnt 0x0
	v_mov_b32_dpp v6, v4 row_shr:1 row_mask:0xf bank_mask:0xf
	v_cndmask_b32_e32 v6, 0, v6, vcc_lo
	s_delay_alu instid0(VALU_DEP_1) | instskip(SKIP_1) | instid1(VALU_DEP_2)
	v_add_nc_u32_e32 v4, v6, v4
	v_cmp_lt_u32_e32 vcc_lo, 1, v5
	v_mov_b32_dpp v6, v4 row_shr:2 row_mask:0xf bank_mask:0xf
	s_delay_alu instid0(VALU_DEP_1) | instskip(NEXT) | instid1(VALU_DEP_1)
	v_cndmask_b32_e32 v5, 0, v6, vcc_lo
	v_add_nc_u32_e32 v4, v4, v5
	ds_store_b32 v92, v4
.LBB1553_724:                           ;   in Loop: Header=BB1553_20 Depth=1
	s_or_b32 exec_lo, exec_lo, s13
	v_mov_b32_e32 v4, 0
	s_wait_dscnt 0x0
	s_barrier_signal -1
	s_barrier_wait -1
	s_and_saveexec_b32 s13, s5
; %bb.725:                              ;   in Loop: Header=BB1553_20 Depth=1
	ds_load_b32 v4, v93
; %bb.726:                              ;   in Loop: Header=BB1553_20 Depth=1
	s_or_b32 exec_lo, exec_lo, s13
	v_sub_co_u32 v5, s13, v30, 1
	s_wait_dscnt 0x0
	s_barrier_signal -1
	s_barrier_wait -1
	s_delay_alu instid0(VALU_DEP_1) | instskip(SKIP_1) | instid1(VALU_DEP_1)
	v_cmp_gt_i32_e32 vcc_lo, 0, v5
	v_dual_add_nc_u32 v3, v4, v3 :: v_dual_cndmask_b32 v5, v5, v30, vcc_lo
	v_lshlrev_b32_e32 v101, 2, v5
	ds_bpermute_b32 v3, v101, v3
	s_and_saveexec_b32 s14, s0
	s_cbranch_execz .LBB1553_728
; %bb.727:                              ;   in Loop: Header=BB1553_20 Depth=1
	s_wait_dscnt 0x0
	v_cndmask_b32_e64 v3, v3, v4, s13
	s_delay_alu instid0(VALU_DEP_1)
	v_add_nc_u32_e32 v3, s54, v3
	ds_store_b32 v9, v3
.LBB1553_728:                           ;   in Loop: Header=BB1553_20 Depth=1
	s_or_b32 exec_lo, exec_lo, s14
	s_load_b64 s[14:15], s[52:53], 0x0
	s_wait_dscnt 0x0
	v_dual_mov_b32 v31, v2 :: v_dual_bitop2_b32 v3, 7, v30 bitop3:0x40
	v_dual_mov_b32 v5, v2 :: v_dual_lshlrev_b32 v4, 3, v30
	s_mov_b32 s59, s56
	s_delay_alu instid0(VALU_DEP_2) | instskip(NEXT) | instid1(VALU_DEP_3)
	v_cmp_lt_u32_e64 s16, 3, v3
	v_add_nc_u64_e32 v[34:35], v[28:29], v[30:31]
                                        ; implicit-def: $vgpr36_vgpr37
                                        ; implicit-def: $vgpr38_vgpr39
                                        ; implicit-def: $vgpr40_vgpr41
                                        ; implicit-def: $vgpr42_vgpr43
                                        ; implicit-def: $vgpr44_vgpr45
                                        ; implicit-def: $vgpr46_vgpr47
                                        ; implicit-def: $vgpr48_vgpr49
                                        ; implicit-def: $vgpr50_vgpr51
                                        ; implicit-def: $vgpr52_vgpr53
                                        ; implicit-def: $vgpr54_vgpr55
                                        ; implicit-def: $vgpr56_vgpr57
                                        ; implicit-def: $vgpr58_vgpr59
                                        ; implicit-def: $vgpr60_vgpr61
                                        ; implicit-def: $vgpr62_vgpr63
                                        ; implicit-def: $vgpr64_vgpr65
                                        ; implicit-def: $vgpr66_vgpr67
                                        ; implicit-def: $vgpr68_vgpr69
                                        ; implicit-def: $vgpr119
                                        ; implicit-def: $vgpr120
                                        ; implicit-def: $vgpr121
                                        ; implicit-def: $vgpr122
                                        ; implicit-def: $vgpr123
                                        ; implicit-def: $vgpr124
                                        ; implicit-def: $vgpr125
                                        ; implicit-def: $vgpr126
                                        ; implicit-def: $vgpr127
                                        ; implicit-def: $vgpr128
                                        ; implicit-def: $vgpr129
                                        ; implicit-def: $vgpr130
                                        ; implicit-def: $vgpr131
                                        ; implicit-def: $vgpr132
                                        ; implicit-def: $vgpr133
                                        ; implicit-def: $vgpr134
                                        ; implicit-def: $vgpr135
                                        ; implicit-def: $vgpr136
                                        ; implicit-def: $vgpr137
	s_delay_alu instid0(VALU_DEP_3)
	v_add_nc_u64_e32 v[32:33], v[26:27], v[4:5]
	s_wait_kmcnt 0x0
	s_cmp_lt_u32 s35, s14
	s_cselect_b32 s42, 12, 18
	s_cmp_lt_u32 s48, s15
	s_mov_b32 s15, s43
	s_cselect_b32 s14, 14, 20
	s_delay_alu instid0(SALU_CYCLE_1)
	s_add_nc_u64 s[14:15], s[52:53], s[14:15]
	s_load_u16 s17, s[14:15], 0x0
	s_wait_xcnt 0x0
	s_add_nc_u64 s[14:15], s[52:53], s[42:43]
	s_mov_b32 s42, s54
	s_load_u16 s18, s[14:15], 0x0
	s_wait_xcnt 0x0
	v_cmp_eq_u32_e64 s14, 0, v3
	v_cmp_lt_u32_e64 s15, 1, v3
	s_wait_kmcnt 0x0
	v_mad_u32_u24 v3, v94, s17, v96
	s_delay_alu instid0(VALU_DEP_1) | instskip(NEXT) | instid1(VALU_DEP_1)
	v_mad_u32 v3, v3, s18, v10
	v_dual_lshrrev_b32 v3, 3, v3 :: v_dual_bitop2_b32 v102, v30, v14 bitop3:0x54
	s_delay_alu instid0(VALU_DEP_1)
	v_dual_add_nc_u32 v103, 32, v102 :: v_dual_add_nc_u32 v104, 64, v102
	v_add_nc_u32_e32 v105, 0x60, v102
	v_add_nc_u32_e32 v106, 0x80, v102
	;; [unrolled: 1-line block ×14, first 2 shown]
	v_and_b32_e32 v31, 0x1ffffffc, v3
	v_mov_b32_e32 v3, 0
	s_branch .LBB1553_730
.LBB1553_729:                           ;   in Loop: Header=BB1553_730 Depth=2
	s_or_b32 exec_lo, exec_lo, s17
	s_addk_co_i32 s59, 0xef00
	s_cmp_lt_u32 s60, s51
	s_mov_b32 s42, s60
	s_cbranch_scc0 .LBB1553_952
.LBB1553_730:                           ;   Parent Loop BB1553_20 Depth=1
                                        ; =>  This Inner Loop Header: Depth=2
	s_add_co_i32 s60, s42, 0x1100
	s_delay_alu instid0(SALU_CYCLE_1)
	s_cmp_gt_u32 s60, s51
	s_cbranch_scc1 .LBB1553_732
; %bb.731:                              ;   in Loop: Header=BB1553_730 Depth=2
	v_add_nc_u64_e32 v[4:5], s[42:43], v[34:35]
	v_and_b32_e32 v3, 0xff, v3
	s_mov_b32 s17, -1
	s_clause 0xf
	global_load_u8 v6, v[4:5], off offset:416
	global_load_u8 v7, v[4:5], off offset:480
	;; [unrolled: 1-line block ×14, first 2 shown]
	global_load_u8 v147, v[4:5], off
	global_load_u8 v4, v[4:5], off offset:96
	s_wait_loadcnt 0xc
	s_wait_xcnt 0x0
	v_perm_b32 v5, v70, v6, 0xc0c0004
	v_perm_b32 v6, v8, v7, 0xc0c0004
	s_wait_loadcnt 0x9
	v_perm_b32 v70, v139, v138, 0xc0c0004
	s_wait_loadcnt 0x8
	v_perm_b32 v8, v140, v71, 0xc0c0004
	v_lshl_or_b32 v7, v6, 16, v5
	s_wait_loadcnt 0x5
	v_perm_b32 v138, v143, v142, 0xc0c0004
	s_wait_loadcnt 0x4
	v_perm_b32 v71, v144, v141, 0xc0c0004
	v_lshl_or_b32 v6, v70, 16, v8
	v_and_b32_e32 v8, 0xffff, v3
	s_wait_loadcnt 0x1
	v_perm_b32 v139, v147, v145, 0xc0c0004
	s_wait_loadcnt 0x0
	v_perm_b32 v4, v146, v4, 0xc0c0004
	v_lshl_or_b32 v5, v138, 16, v71
	s_delay_alu instid0(VALU_DEP_2)
	v_lshl_or_b32 v4, v4, 16, v139
	s_movk_i32 s18, 0x1100
	s_cbranch_execz .LBB1553_733
	s_branch .LBB1553_751
.LBB1553_732:                           ;   in Loop: Header=BB1553_730 Depth=2
	s_mov_b32 s17, 0
                                        ; implicit-def: $vgpr4_vgpr5_vgpr6_vgpr7_vgpr8
	s_movk_i32 s18, 0x1100
.LBB1553_733:                           ;   in Loop: Header=BB1553_730 Depth=2
	v_dual_mov_b32 v5, v2 :: v_dual_mov_b32 v6, v2
	v_dual_mov_b32 v3, v2 :: v_dual_mov_b32 v4, v2
	v_add_nc_u64_e32 v[70:71], s[42:43], v[34:35]
	s_mov_b32 s17, exec_lo
	s_delay_alu instid0(VALU_DEP_3) | instskip(NEXT) | instid1(VALU_DEP_3)
	v_mov_b32_e32 v8, v6
	v_dual_mov_b32 v7, v5 :: v_dual_mov_b32 v6, v4
	v_mov_b32_e32 v5, v3
	v_mov_b32_e32 v4, v2
	v_cmpx_gt_u32_e64 s59, v102
	s_cbranch_execnz .LBB1553_937
; %bb.734:                              ;   in Loop: Header=BB1553_730 Depth=2
	s_or_b32 exec_lo, exec_lo, s17
	s_delay_alu instid0(SALU_CYCLE_1)
	s_mov_b32 s17, exec_lo
	v_cmpx_gt_u32_e64 s59, v103
	s_cbranch_execnz .LBB1553_938
.LBB1553_735:                           ;   in Loop: Header=BB1553_730 Depth=2
	s_or_b32 exec_lo, exec_lo, s17
	s_delay_alu instid0(SALU_CYCLE_1)
	s_mov_b32 s17, exec_lo
	v_cmpx_gt_u32_e64 s59, v104
	s_cbranch_execnz .LBB1553_939
.LBB1553_736:                           ;   in Loop: Header=BB1553_730 Depth=2
	s_or_b32 exec_lo, exec_lo, s17
	s_delay_alu instid0(SALU_CYCLE_1)
	s_mov_b32 s17, exec_lo
	v_cmpx_gt_u32_e64 s59, v105
	s_cbranch_execnz .LBB1553_940
.LBB1553_737:                           ;   in Loop: Header=BB1553_730 Depth=2
	s_or_b32 exec_lo, exec_lo, s17
	s_delay_alu instid0(SALU_CYCLE_1)
	s_mov_b32 s17, exec_lo
	v_cmpx_gt_u32_e64 s59, v106
	s_cbranch_execnz .LBB1553_941
.LBB1553_738:                           ;   in Loop: Header=BB1553_730 Depth=2
	s_or_b32 exec_lo, exec_lo, s17
	s_delay_alu instid0(SALU_CYCLE_1)
	s_mov_b32 s17, exec_lo
	v_cmpx_gt_u32_e64 s59, v107
	s_cbranch_execnz .LBB1553_942
.LBB1553_739:                           ;   in Loop: Header=BB1553_730 Depth=2
	s_or_b32 exec_lo, exec_lo, s17
	s_delay_alu instid0(SALU_CYCLE_1)
	s_mov_b32 s17, exec_lo
	v_cmpx_gt_u32_e64 s59, v108
	s_cbranch_execnz .LBB1553_943
.LBB1553_740:                           ;   in Loop: Header=BB1553_730 Depth=2
	s_or_b32 exec_lo, exec_lo, s17
	s_delay_alu instid0(SALU_CYCLE_1)
	s_mov_b32 s17, exec_lo
	v_cmpx_gt_u32_e64 s59, v109
	s_cbranch_execnz .LBB1553_944
.LBB1553_741:                           ;   in Loop: Header=BB1553_730 Depth=2
	s_or_b32 exec_lo, exec_lo, s17
	s_delay_alu instid0(SALU_CYCLE_1)
	s_mov_b32 s17, exec_lo
	v_cmpx_gt_u32_e64 s59, v110
	s_cbranch_execnz .LBB1553_945
.LBB1553_742:                           ;   in Loop: Header=BB1553_730 Depth=2
	s_or_b32 exec_lo, exec_lo, s17
	s_delay_alu instid0(SALU_CYCLE_1)
	s_mov_b32 s17, exec_lo
	v_cmpx_gt_u32_e64 s59, v111
	s_cbranch_execnz .LBB1553_946
.LBB1553_743:                           ;   in Loop: Header=BB1553_730 Depth=2
	s_or_b32 exec_lo, exec_lo, s17
	s_delay_alu instid0(SALU_CYCLE_1)
	s_mov_b32 s17, exec_lo
	v_cmpx_gt_u32_e64 s59, v112
	s_cbranch_execnz .LBB1553_947
.LBB1553_744:                           ;   in Loop: Header=BB1553_730 Depth=2
	s_or_b32 exec_lo, exec_lo, s17
	s_delay_alu instid0(SALU_CYCLE_1)
	s_mov_b32 s17, exec_lo
	v_cmpx_gt_u32_e64 s59, v113
	s_cbranch_execnz .LBB1553_948
.LBB1553_745:                           ;   in Loop: Header=BB1553_730 Depth=2
	s_or_b32 exec_lo, exec_lo, s17
	s_delay_alu instid0(SALU_CYCLE_1)
	s_mov_b32 s17, exec_lo
	v_cmpx_gt_u32_e64 s59, v114
	s_cbranch_execnz .LBB1553_949
.LBB1553_746:                           ;   in Loop: Header=BB1553_730 Depth=2
	s_or_b32 exec_lo, exec_lo, s17
	s_delay_alu instid0(SALU_CYCLE_1)
	s_mov_b32 s17, exec_lo
	v_cmpx_gt_u32_e64 s59, v115
	s_cbranch_execnz .LBB1553_950
.LBB1553_747:                           ;   in Loop: Header=BB1553_730 Depth=2
	s_or_b32 exec_lo, exec_lo, s17
	s_delay_alu instid0(SALU_CYCLE_1)
	s_mov_b32 s17, exec_lo
	v_cmpx_gt_u32_e64 s59, v116
	s_cbranch_execnz .LBB1553_951
.LBB1553_748:                           ;   in Loop: Header=BB1553_730 Depth=2
	s_or_b32 exec_lo, exec_lo, s17
	s_delay_alu instid0(SALU_CYCLE_1)
	s_mov_b32 s17, exec_lo
	v_cmpx_gt_u32_e64 s59, v117
	s_cbranch_execz .LBB1553_750
.LBB1553_749:                           ;   in Loop: Header=BB1553_730 Depth=2
	global_load_u8 v3, v[70:71], off offset:480
	v_and_b32_e32 v8, 0xff, v8
	s_wait_loadcnt 0x0
	v_perm_b32 v7, v7, v3, 0x60504
.LBB1553_750:                           ;   in Loop: Header=BB1553_730 Depth=2
	s_wait_xcnt 0x0
	s_or_b32 exec_lo, exec_lo, s17
	v_cmp_gt_u32_e64 s17, s59, v118
	s_sub_co_i32 s18, s51, s42
.LBB1553_751:                           ;   in Loop: Header=BB1553_730 Depth=2
	v_mov_b32_e32 v70, s59
	s_and_saveexec_b32 s19, s17
	s_cbranch_execz .LBB1553_753
; %bb.752:                              ;   in Loop: Header=BB1553_730 Depth=2
	v_add_nc_u64_e32 v[70:71], s[42:43], v[34:35]
	global_load_u8 v8, v[70:71], off offset:512
	s_wait_xcnt 0x0
	v_mov_b32_e32 v70, s18
.LBB1553_753:                           ;   in Loop: Header=BB1553_730 Depth=2
	s_or_b32 exec_lo, exec_lo, s19
	s_wait_loadcnt 0x0
	v_and_b32_e32 v140, 1, v4
	v_lshrrev_b16 v3, 8, v7
	v_lshrrev_b16 v138, 8, v5
	;; [unrolled: 1-line block ×4, first 2 shown]
	v_cmp_eq_u32_e32 vcc_lo, 1, v140
	v_and_b32_e32 v3, 1, v3
	v_and_b32_e32 v138, 1, v138
	ds_store_2addr_b32 v95, v2, v2 offset0:136 offset1:137
	ds_store_2addr_b32 v95, v2, v2 offset0:138 offset1:139
	ds_store_b32 v95, v2 offset:560
	v_and_b32_e32 v139, 1, v139
	s_xor_b32 s17, vcc_lo, -1
	v_cmp_eq_u32_e64 s19, 1, v3
	v_and_b32_e32 v3, 1, v8
	v_cndmask_b32_e64 v8, 0, 1, s17
	v_and_b32_e32 v71, 1, v71
	v_cmp_eq_u32_e64 s27, 1, v138
	v_and_b32_e32 v138, 0x10000, v7
	v_cmp_eq_u32_e32 vcc_lo, 1, v3
	v_lshrrev_b32_e32 v3, s49, v8
	v_cmp_eq_u32_e64 s31, 1, v139
	v_cmp_eq_u32_e64 s23, 1, v71
	v_cmp_ne_u32_e64 s18, 0, v138
	v_and_b32_e32 v71, 0x1000000, v7
	v_and_b32_e32 v138, s58, v3
	;; [unrolled: 1-line block ×4, first 2 shown]
	s_wait_dscnt 0x0
	v_cmp_ne_u32_e64 s17, 0, v71
	v_add_co_u32 v139, s21, v138, -1
	s_delay_alu instid0(VALU_DEP_1)
	v_cndmask_b32_e64 v140, 0, 1, s21
	v_cmp_eq_u32_e64 s20, 1, v7
	v_and_b32_e32 v7, 0x1000000, v6
	v_and_b32_e32 v71, 0x1000000, v5
	v_cmp_ne_u32_e64 s22, 0, v3
	v_cmp_ne_u32_e64 s26, 0, v140
	v_and_b32_e32 v6, 1, v6
	v_cmp_ne_u32_e64 s21, 0, v7
	v_and_b32_e32 v7, 0x1000000, v4
	v_and_b32_e32 v4, 0x10000, v4
	v_bitop3_b32 v3, s26, exec_lo, v139 bitop3:0x48
	v_cmp_ne_u32_e64 s25, 0, v71
	v_cmp_eq_u32_e64 s24, 1, v6
	v_and_b32_e32 v6, 0x10000, v5
	v_and_b32_e32 v5, 1, v5
	v_mbcnt_lo_u32_b32 v71, v3, 0
	v_cmp_ne_u32_e64 s30, 0, v4
	v_mul_u32_u24_e32 v4, 36, v138
	v_cmp_ne_u32_e64 s34, 0, v3
	v_cmp_ne_u32_e64 s26, 0, v6
	v_cmp_eq_u32_e64 s33, 0, v71
	v_cmp_eq_u32_e64 s28, 1, v5
	v_cmp_ne_u32_e64 s29, 0, v7
	v_add_nc_u32_e32 v141, v31, v4
	s_barrier_signal -1
	s_and_b32 s34, s34, s33
	s_barrier_wait -1
	; wave barrier
	s_and_saveexec_b32 s33, s34
; %bb.754:                              ;   in Loop: Header=BB1553_730 Depth=2
	v_bcnt_u32_b32 v3, v3, 0
	ds_store_b32 v141, v3 offset:544
; %bb.755:                              ;   in Loop: Header=BB1553_730 Depth=2
	s_or_b32 exec_lo, exec_lo, s33
	s_xor_b32 s31, s31, -1
	s_delay_alu instid0(SALU_CYCLE_1) | instskip(NEXT) | instid1(VALU_DEP_1)
	v_cndmask_b32_e64 v138, 0, 1, s31
	; wave barrier
	v_lshrrev_b32_e32 v3, s49, v138
	s_delay_alu instid0(VALU_DEP_1) | instskip(NEXT) | instid1(VALU_DEP_1)
	v_and_b32_e32 v4, s58, v3
	v_add_co_u32 v3, s31, v4, -1
	s_delay_alu instid0(VALU_DEP_1) | instskip(SKIP_2) | instid1(VALU_DEP_3)
	v_cndmask_b32_e64 v5, 0, 1, s31
	v_mad_u32_u24 v6, v4, 36, v31
	v_mul_u32_u24_e32 v4, 36, v4
	v_cmp_ne_u32_e64 s31, 0, v5
	ds_load_b32 v139, v6 offset:544
	v_add_nc_u32_e32 v144, v31, v4
	; wave barrier
	v_bitop3_b32 v3, s31, exec_lo, v3 bitop3:0x48
	s_delay_alu instid0(VALU_DEP_1) | instskip(SKIP_1) | instid1(VALU_DEP_2)
	v_mbcnt_lo_u32_b32 v140, v3, 0
	v_cmp_ne_u32_e64 s33, 0, v3
	v_cmp_eq_u32_e64 s31, 0, v140
	s_and_b32 s33, s33, s31
	s_delay_alu instid0(SALU_CYCLE_1)
	s_and_saveexec_b32 s31, s33
	s_cbranch_execz .LBB1553_757
; %bb.756:                              ;   in Loop: Header=BB1553_730 Depth=2
	s_wait_dscnt 0x0
	v_bcnt_u32_b32 v3, v3, v139
	ds_store_b32 v144, v3 offset:544
.LBB1553_757:                           ;   in Loop: Header=BB1553_730 Depth=2
	s_or_b32 exec_lo, exec_lo, s31
	s_xor_b32 s30, s30, -1
	s_delay_alu instid0(SALU_CYCLE_1) | instskip(NEXT) | instid1(VALU_DEP_1)
	v_cndmask_b32_e64 v153, 0, 1, s30
	; wave barrier
	v_lshrrev_b32_e32 v3, s49, v153
	s_delay_alu instid0(VALU_DEP_1) | instskip(NEXT) | instid1(VALU_DEP_1)
	v_and_b32_e32 v4, s58, v3
	v_add_co_u32 v3, s30, v4, -1
	s_delay_alu instid0(VALU_DEP_1) | instskip(SKIP_2) | instid1(VALU_DEP_3)
	v_cndmask_b32_e64 v5, 0, 1, s30
	v_mad_u32_u24 v6, v4, 36, v31
	v_mul_u32_u24_e32 v4, 36, v4
	v_cmp_ne_u32_e64 s30, 0, v5
	ds_load_b32 v142, v6 offset:544
	v_add_nc_u32_e32 v147, v31, v4
	; wave barrier
	v_bitop3_b32 v3, s30, exec_lo, v3 bitop3:0x48
	s_delay_alu instid0(VALU_DEP_1) | instskip(SKIP_1) | instid1(VALU_DEP_2)
	v_mbcnt_lo_u32_b32 v143, v3, 0
	v_cmp_ne_u32_e64 s31, 0, v3
	v_cmp_eq_u32_e64 s30, 0, v143
	s_and_b32 s31, s31, s30
	s_delay_alu instid0(SALU_CYCLE_1)
	s_and_saveexec_b32 s30, s31
	s_cbranch_execz .LBB1553_759
; %bb.758:                              ;   in Loop: Header=BB1553_730 Depth=2
	s_wait_dscnt 0x0
	v_bcnt_u32_b32 v3, v3, v142
	ds_store_b32 v147, v3 offset:544
.LBB1553_759:                           ;   in Loop: Header=BB1553_730 Depth=2
	;; [unrolled: 31-line block ×15, first 2 shown]
	s_or_b32 exec_lo, exec_lo, s17
	s_xor_b32 s17, vcc_lo, -1
	s_delay_alu instid0(SALU_CYCLE_1) | instskip(NEXT) | instid1(VALU_DEP_1)
	v_cndmask_b32_e64 v3, 0, 1, s17
	; wave barrier
	v_lshrrev_b32_e32 v4, s49, v3
	s_delay_alu instid0(VALU_DEP_1) | instskip(NEXT) | instid1(VALU_DEP_1)
	v_and_b32_e32 v5, s58, v4
	v_add_co_u32 v4, s17, v5, -1
	s_delay_alu instid0(VALU_DEP_1) | instskip(SKIP_2) | instid1(VALU_DEP_3)
	v_cndmask_b32_e64 v6, 0, 1, s17
	v_mad_u32_u24 v7, v5, 36, v31
	v_mul_u32_u24_e32 v5, 36, v5
	v_cmp_ne_u32_e32 vcc_lo, 0, v6
	ds_load_b32 v198, v7 offset:544
	v_add_nc_u32_e32 v201, v31, v5
	; wave barrier
	v_bitop3_b32 v4, vcc_lo, exec_lo, v4 bitop3:0x48
	s_delay_alu instid0(VALU_DEP_1) | instskip(SKIP_1) | instid1(VALU_DEP_2)
	v_mbcnt_lo_u32_b32 v199, v4, 0
	v_cmp_ne_u32_e64 s17, 0, v4
	v_cmp_eq_u32_e32 vcc_lo, 0, v199
	s_and_b32 s18, s17, vcc_lo
	s_delay_alu instid0(SALU_CYCLE_1)
	s_and_saveexec_b32 s17, s18
	s_cbranch_execz .LBB1553_787
; %bb.786:                              ;   in Loop: Header=BB1553_730 Depth=2
	s_wait_dscnt 0x0
	v_bcnt_u32_b32 v4, v4, v198
	ds_store_b32 v201, v4 offset:544
.LBB1553_787:                           ;   in Loop: Header=BB1553_730 Depth=2
	s_or_b32 exec_lo, exec_lo, s17
	; wave barrier
	s_wait_dscnt 0x0
	s_barrier_signal -1
	s_barrier_wait -1
	ds_load_2addr_b32 v[6:7], v95 offset0:136 offset1:137
	ds_load_2addr_b32 v[4:5], v95 offset0:138 offset1:139
	ds_load_b32 v202, v95 offset:560
	s_wait_dscnt 0x1
	v_add3_u32 v203, v7, v6, v4
	s_wait_dscnt 0x0
	s_delay_alu instid0(VALU_DEP_1) | instskip(NEXT) | instid1(VALU_DEP_1)
	v_add3_u32 v202, v203, v5, v202
	v_mov_b32_dpp v203, v202 row_shr:1 row_mask:0xf bank_mask:0xf
	s_delay_alu instid0(VALU_DEP_1) | instskip(NEXT) | instid1(VALU_DEP_1)
	v_cndmask_b32_e64 v203, v203, 0, s8
	v_add_nc_u32_e32 v202, v203, v202
	s_delay_alu instid0(VALU_DEP_1) | instskip(NEXT) | instid1(VALU_DEP_1)
	v_mov_b32_dpp v203, v202 row_shr:2 row_mask:0xf bank_mask:0xf
	v_cndmask_b32_e64 v203, 0, v203, s9
	s_delay_alu instid0(VALU_DEP_1) | instskip(NEXT) | instid1(VALU_DEP_1)
	v_add_nc_u32_e32 v202, v202, v203
	v_mov_b32_dpp v203, v202 row_shr:4 row_mask:0xf bank_mask:0xf
	s_delay_alu instid0(VALU_DEP_1) | instskip(NEXT) | instid1(VALU_DEP_1)
	v_cndmask_b32_e64 v203, 0, v203, s10
	v_add_nc_u32_e32 v202, v202, v203
	s_delay_alu instid0(VALU_DEP_1) | instskip(NEXT) | instid1(VALU_DEP_1)
	v_mov_b32_dpp v203, v202 row_shr:8 row_mask:0xf bank_mask:0xf
	v_cndmask_b32_e64 v203, 0, v203, s11
	s_delay_alu instid0(VALU_DEP_1) | instskip(SKIP_3) | instid1(VALU_DEP_1)
	v_add_nc_u32_e32 v202, v202, v203
	ds_swizzle_b32 v203, v202 offset:swizzle(BROADCAST,32,15)
	s_wait_dscnt 0x0
	v_cndmask_b32_e64 v203, v203, 0, s12
	v_add_nc_u32_e32 v202, v202, v203
	s_and_saveexec_b32 s17, s2
; %bb.788:                              ;   in Loop: Header=BB1553_730 Depth=2
	ds_store_b32 v88, v202 offset:512
; %bb.789:                              ;   in Loop: Header=BB1553_730 Depth=2
	s_or_b32 exec_lo, exec_lo, s17
	s_wait_dscnt 0x0
	s_barrier_signal -1
	s_barrier_wait -1
	s_and_saveexec_b32 s17, s3
	s_cbranch_execz .LBB1553_791
; %bb.790:                              ;   in Loop: Header=BB1553_730 Depth=2
	ds_load_b32 v203, v97 offset:512
	s_wait_dscnt 0x0
	v_mov_b32_dpp v204, v203 row_shr:1 row_mask:0xf bank_mask:0xf
	s_delay_alu instid0(VALU_DEP_1) | instskip(NEXT) | instid1(VALU_DEP_1)
	v_cndmask_b32_e64 v204, v204, 0, s14
	v_add_nc_u32_e32 v203, v204, v203
	s_delay_alu instid0(VALU_DEP_1) | instskip(NEXT) | instid1(VALU_DEP_1)
	v_mov_b32_dpp v204, v203 row_shr:2 row_mask:0xf bank_mask:0xf
	v_cndmask_b32_e64 v204, 0, v204, s15
	s_delay_alu instid0(VALU_DEP_1) | instskip(NEXT) | instid1(VALU_DEP_1)
	v_add_nc_u32_e32 v203, v203, v204
	v_mov_b32_dpp v204, v203 row_shr:4 row_mask:0xf bank_mask:0xf
	s_delay_alu instid0(VALU_DEP_1) | instskip(NEXT) | instid1(VALU_DEP_1)
	v_cndmask_b32_e64 v204, 0, v204, s16
	v_add_nc_u32_e32 v203, v203, v204
	ds_store_b32 v97, v203 offset:512
.LBB1553_791:                           ;   in Loop: Header=BB1553_730 Depth=2
	s_or_b32 exec_lo, exec_lo, s17
	v_mov_b32_e32 v203, 0
	s_wait_dscnt 0x0
	s_barrier_signal -1
	s_barrier_wait -1
	s_and_saveexec_b32 s17, s5
; %bb.792:                              ;   in Loop: Header=BB1553_730 Depth=2
	ds_load_b32 v203, v88 offset:508
; %bb.793:                              ;   in Loop: Header=BB1553_730 Depth=2
	s_or_b32 exec_lo, exec_lo, s17
	s_wait_dscnt 0x0
	v_add_nc_u32_e32 v202, v203, v202
	ds_bpermute_b32 v202, v101, v202
	s_wait_dscnt 0x0
	v_cndmask_b32_e64 v202, v202, v203, s13
	s_delay_alu instid0(VALU_DEP_1) | instskip(NEXT) | instid1(VALU_DEP_1)
	v_cndmask_b32_e64 v202, v202, 0, s6
	v_add_nc_u32_e32 v6, v202, v6
	s_delay_alu instid0(VALU_DEP_1) | instskip(NEXT) | instid1(VALU_DEP_1)
	v_add_nc_u32_e32 v7, v6, v7
	v_add_nc_u32_e32 v4, v7, v4
	s_delay_alu instid0(VALU_DEP_1)
	v_add_nc_u32_e32 v5, v4, v5
	ds_store_2addr_b32 v95, v202, v6 offset0:136 offset1:137
	ds_store_2addr_b32 v95, v7, v4 offset0:138 offset1:139
	ds_store_b32 v95, v5 offset:560
	s_wait_dscnt 0x0
	s_barrier_signal -1
	s_barrier_wait -1
	ds_load_b32 v4, v141 offset:544
	ds_load_b32 v5, v144 offset:544
	;; [unrolled: 1-line block ×17, first 2 shown]
	s_and_saveexec_b32 s17, s0
	s_cbranch_execz .LBB1553_797
; %bb.794:                              ;   in Loop: Header=BB1553_730 Depth=2
	v_dual_mov_b32 v137, 0x1100 :: v_dual_add_nc_u32 v136, v97, v99
	ds_load_b32 v136, v136 offset:544
	s_and_saveexec_b32 s18, s7
; %bb.795:                              ;   in Loop: Header=BB1553_730 Depth=2
	ds_load_b32 v137, v98 offset:544
; %bb.796:                              ;   in Loop: Header=BB1553_730 Depth=2
	s_or_b32 exec_lo, exec_lo, s18
	s_wait_dscnt 0x0
	v_sub_nc_u32_e32 v137, v137, v136
.LBB1553_797:                           ;   in Loop: Header=BB1553_730 Depth=2
	s_or_b32 exec_lo, exec_lo, s17
	s_wait_dscnt 0x0
	s_barrier_signal -1
	s_barrier_wait -1
	s_and_saveexec_b32 s17, s0
	s_cbranch_execz .LBB1553_799
; %bb.798:                              ;   in Loop: Header=BB1553_730 Depth=2
	ds_load_b32 v147, v9
	s_wait_dscnt 0x0
	v_sub_nc_u32_e32 v147, v147, v136
	ds_store_b32 v9, v147
.LBB1553_799:                           ;   in Loop: Header=BB1553_730 Depth=2
	s_or_b32 exec_lo, exec_lo, s17
	v_add_nc_u32_e32 v152, v4, v71
	v_add3_u32 v151, v140, v139, v5
	v_add3_u32 v150, v143, v142, v6
	;; [unrolled: 1-line block ×16, first 2 shown]
	v_cmp_lt_u32_e32 vcc_lo, v10, v70
	ds_store_b8 v152, v8 offset:512
	ds_store_b8 v151, v138 offset:512
	;; [unrolled: 1-line block ×17, first 2 shown]
	s_wait_dscnt 0x0
	s_barrier_signal -1
	s_barrier_wait -1
	s_and_saveexec_b32 s17, vcc_lo
	s_cbranch_execnz .LBB1553_872
; %bb.800:                              ;   in Loop: Header=BB1553_730 Depth=2
	s_or_b32 exec_lo, exec_lo, s17
	v_cmp_lt_u32_e64 s17, v72, v70
	s_and_saveexec_b32 s18, s17
	s_cbranch_execnz .LBB1553_873
.LBB1553_801:                           ;   in Loop: Header=BB1553_730 Depth=2
	s_or_b32 exec_lo, exec_lo, s18
	v_cmp_lt_u32_e64 s18, v73, v70
	s_and_saveexec_b32 s19, s18
	s_cbranch_execnz .LBB1553_874
.LBB1553_802:                           ;   in Loop: Header=BB1553_730 Depth=2
	s_or_b32 exec_lo, exec_lo, s19
	v_cmp_lt_u32_e64 s19, v74, v70
	s_and_saveexec_b32 s20, s19
	s_cbranch_execnz .LBB1553_875
.LBB1553_803:                           ;   in Loop: Header=BB1553_730 Depth=2
	s_or_b32 exec_lo, exec_lo, s20
	v_cmp_lt_u32_e64 s20, v75, v70
	s_and_saveexec_b32 s21, s20
	s_cbranch_execnz .LBB1553_876
.LBB1553_804:                           ;   in Loop: Header=BB1553_730 Depth=2
	s_or_b32 exec_lo, exec_lo, s21
	v_cmp_lt_u32_e64 s21, v76, v70
	s_and_saveexec_b32 s22, s21
	s_cbranch_execnz .LBB1553_877
.LBB1553_805:                           ;   in Loop: Header=BB1553_730 Depth=2
	s_or_b32 exec_lo, exec_lo, s22
	v_cmp_lt_u32_e64 s22, v77, v70
	s_and_saveexec_b32 s23, s22
	s_cbranch_execnz .LBB1553_878
.LBB1553_806:                           ;   in Loop: Header=BB1553_730 Depth=2
	s_or_b32 exec_lo, exec_lo, s23
	v_cmp_lt_u32_e64 s23, v78, v70
	s_and_saveexec_b32 s24, s23
	s_cbranch_execnz .LBB1553_879
.LBB1553_807:                           ;   in Loop: Header=BB1553_730 Depth=2
	s_or_b32 exec_lo, exec_lo, s24
	v_cmp_lt_u32_e64 s24, v79, v70
	s_and_saveexec_b32 s25, s24
	s_cbranch_execnz .LBB1553_880
.LBB1553_808:                           ;   in Loop: Header=BB1553_730 Depth=2
	s_or_b32 exec_lo, exec_lo, s25
	v_cmp_lt_u32_e64 s25, v80, v70
	s_and_saveexec_b32 s26, s25
	s_cbranch_execnz .LBB1553_881
.LBB1553_809:                           ;   in Loop: Header=BB1553_730 Depth=2
	s_or_b32 exec_lo, exec_lo, s26
	v_cmp_lt_u32_e64 s26, v81, v70
	s_and_saveexec_b32 s27, s26
	s_cbranch_execnz .LBB1553_882
.LBB1553_810:                           ;   in Loop: Header=BB1553_730 Depth=2
	s_or_b32 exec_lo, exec_lo, s27
	v_cmp_lt_u32_e64 s27, v82, v70
	s_and_saveexec_b32 s28, s27
	s_cbranch_execnz .LBB1553_883
.LBB1553_811:                           ;   in Loop: Header=BB1553_730 Depth=2
	s_or_b32 exec_lo, exec_lo, s28
	v_cmp_lt_u32_e64 s28, v83, v70
	s_and_saveexec_b32 s29, s28
	s_cbranch_execnz .LBB1553_884
.LBB1553_812:                           ;   in Loop: Header=BB1553_730 Depth=2
	s_or_b32 exec_lo, exec_lo, s29
	v_cmp_lt_u32_e64 s29, v84, v70
	s_and_saveexec_b32 s30, s29
	s_cbranch_execnz .LBB1553_885
.LBB1553_813:                           ;   in Loop: Header=BB1553_730 Depth=2
	s_or_b32 exec_lo, exec_lo, s30
	v_cmp_lt_u32_e64 s30, v85, v70
	s_and_saveexec_b32 s31, s30
	s_cbranch_execnz .LBB1553_886
.LBB1553_814:                           ;   in Loop: Header=BB1553_730 Depth=2
	s_or_b32 exec_lo, exec_lo, s31
	v_cmp_lt_u32_e64 s31, v86, v70
	s_and_saveexec_b32 s33, s31
	s_cbranch_execnz .LBB1553_887
.LBB1553_815:                           ;   in Loop: Header=BB1553_730 Depth=2
	s_or_b32 exec_lo, exec_lo, s33
	v_cmp_lt_u32_e64 s33, v87, v70
	s_and_saveexec_b32 s34, s33
	s_cbranch_execz .LBB1553_817
.LBB1553_816:                           ;   in Loop: Header=BB1553_730 Depth=2
	ds_load_u8 v4, v10 offset:4608
	s_wait_dscnt 0x0
	v_and_b32_e32 v5, 1, v4
	s_delay_alu instid0(VALU_DEP_1) | instskip(NEXT) | instid1(VALU_DEP_1)
	v_dual_lshrrev_b32 v5, s49, v5 :: v_dual_bitop2_b32 v4, 1, v4 bitop3:0x14
	v_and_b32_e32 v5, s58, v5
	s_delay_alu instid0(VALU_DEP_1)
	v_lshlrev_b32_e32 v5, 2, v5
	ds_load_b32 v5, v5
	s_wait_dscnt 0x0
	v_add_nc_u32_e32 v5, v5, v87
	global_store_b8 v5, v4, s[38:39]
.LBB1553_817:                           ;   in Loop: Header=BB1553_730 Depth=2
	s_wait_xcnt 0x0
	s_or_b32 exec_lo, exec_lo, s34
	v_lshl_add_u64 v[4:5], s[42:43], 3, v[32:33]
	v_cmp_lt_u32_e64 s34, v102, v70
	s_and_saveexec_b32 s42, s34
	s_delay_alu instid0(SALU_CYCLE_1)
	s_xor_b32 s34, exec_lo, s42
	s_cbranch_execnz .LBB1553_888
; %bb.818:                              ;   in Loop: Header=BB1553_730 Depth=2
	s_or_b32 exec_lo, exec_lo, s34
	s_delay_alu instid0(SALU_CYCLE_1)
	s_mov_b32 s42, exec_lo
	v_cmpx_lt_u32_e64 v103, v70
	s_cbranch_execnz .LBB1553_889
.LBB1553_819:                           ;   in Loop: Header=BB1553_730 Depth=2
	s_or_b32 exec_lo, exec_lo, s42
	s_delay_alu instid0(SALU_CYCLE_1)
	s_mov_b32 s42, exec_lo
	v_cmpx_lt_u32_e64 v104, v70
	s_cbranch_execnz .LBB1553_890
.LBB1553_820:                           ;   in Loop: Header=BB1553_730 Depth=2
	s_or_b32 exec_lo, exec_lo, s42
	s_delay_alu instid0(SALU_CYCLE_1)
	s_mov_b32 s42, exec_lo
	v_cmpx_lt_u32_e64 v105, v70
	s_cbranch_execnz .LBB1553_891
.LBB1553_821:                           ;   in Loop: Header=BB1553_730 Depth=2
	s_or_b32 exec_lo, exec_lo, s42
	s_delay_alu instid0(SALU_CYCLE_1)
	s_mov_b32 s42, exec_lo
	v_cmpx_lt_u32_e64 v106, v70
	s_cbranch_execnz .LBB1553_892
.LBB1553_822:                           ;   in Loop: Header=BB1553_730 Depth=2
	s_or_b32 exec_lo, exec_lo, s42
	s_delay_alu instid0(SALU_CYCLE_1)
	s_mov_b32 s42, exec_lo
	v_cmpx_lt_u32_e64 v107, v70
	s_cbranch_execnz .LBB1553_893
.LBB1553_823:                           ;   in Loop: Header=BB1553_730 Depth=2
	s_or_b32 exec_lo, exec_lo, s42
	s_delay_alu instid0(SALU_CYCLE_1)
	s_mov_b32 s42, exec_lo
	v_cmpx_lt_u32_e64 v108, v70
	s_cbranch_execnz .LBB1553_894
.LBB1553_824:                           ;   in Loop: Header=BB1553_730 Depth=2
	s_or_b32 exec_lo, exec_lo, s42
	s_delay_alu instid0(SALU_CYCLE_1)
	s_mov_b32 s42, exec_lo
	v_cmpx_lt_u32_e64 v109, v70
	s_cbranch_execnz .LBB1553_895
.LBB1553_825:                           ;   in Loop: Header=BB1553_730 Depth=2
	s_or_b32 exec_lo, exec_lo, s42
	s_delay_alu instid0(SALU_CYCLE_1)
	s_mov_b32 s42, exec_lo
	v_cmpx_lt_u32_e64 v110, v70
	s_cbranch_execnz .LBB1553_896
.LBB1553_826:                           ;   in Loop: Header=BB1553_730 Depth=2
	s_or_b32 exec_lo, exec_lo, s42
	s_delay_alu instid0(SALU_CYCLE_1)
	s_mov_b32 s42, exec_lo
	v_cmpx_lt_u32_e64 v111, v70
	s_cbranch_execnz .LBB1553_897
.LBB1553_827:                           ;   in Loop: Header=BB1553_730 Depth=2
	s_or_b32 exec_lo, exec_lo, s42
	s_delay_alu instid0(SALU_CYCLE_1)
	s_mov_b32 s42, exec_lo
	v_cmpx_lt_u32_e64 v112, v70
	s_cbranch_execnz .LBB1553_898
.LBB1553_828:                           ;   in Loop: Header=BB1553_730 Depth=2
	s_or_b32 exec_lo, exec_lo, s42
	s_delay_alu instid0(SALU_CYCLE_1)
	s_mov_b32 s42, exec_lo
	v_cmpx_lt_u32_e64 v113, v70
	s_cbranch_execnz .LBB1553_899
.LBB1553_829:                           ;   in Loop: Header=BB1553_730 Depth=2
	s_or_b32 exec_lo, exec_lo, s42
	s_delay_alu instid0(SALU_CYCLE_1)
	s_mov_b32 s42, exec_lo
	v_cmpx_lt_u32_e64 v114, v70
	s_cbranch_execnz .LBB1553_900
.LBB1553_830:                           ;   in Loop: Header=BB1553_730 Depth=2
	s_or_b32 exec_lo, exec_lo, s42
	s_delay_alu instid0(SALU_CYCLE_1)
	s_mov_b32 s42, exec_lo
	v_cmpx_lt_u32_e64 v115, v70
	s_cbranch_execnz .LBB1553_901
.LBB1553_831:                           ;   in Loop: Header=BB1553_730 Depth=2
	s_or_b32 exec_lo, exec_lo, s42
	s_delay_alu instid0(SALU_CYCLE_1)
	s_mov_b32 s42, exec_lo
	v_cmpx_lt_u32_e64 v116, v70
	s_cbranch_execnz .LBB1553_902
.LBB1553_832:                           ;   in Loop: Header=BB1553_730 Depth=2
	s_or_b32 exec_lo, exec_lo, s42
	s_delay_alu instid0(SALU_CYCLE_1)
	s_mov_b32 s42, exec_lo
	v_cmpx_lt_u32_e64 v117, v70
	s_cbranch_execnz .LBB1553_903
.LBB1553_833:                           ;   in Loop: Header=BB1553_730 Depth=2
	s_or_b32 exec_lo, exec_lo, s42
	s_delay_alu instid0(SALU_CYCLE_1)
	s_mov_b32 s42, exec_lo
	v_cmpx_lt_u32_e64 v118, v70
	s_cbranch_execnz .LBB1553_904
.LBB1553_834:                           ;   in Loop: Header=BB1553_730 Depth=2
	s_or_b32 exec_lo, exec_lo, s42
	s_and_saveexec_b32 s34, vcc_lo
	s_cbranch_execnz .LBB1553_905
.LBB1553_835:                           ;   in Loop: Header=BB1553_730 Depth=2
	s_or_b32 exec_lo, exec_lo, s34
	s_and_saveexec_b32 s34, s17
	s_cbranch_execnz .LBB1553_906
.LBB1553_836:                           ;   in Loop: Header=BB1553_730 Depth=2
	s_or_b32 exec_lo, exec_lo, s34
	s_and_saveexec_b32 s34, s18
	s_cbranch_execnz .LBB1553_907
.LBB1553_837:                           ;   in Loop: Header=BB1553_730 Depth=2
	s_or_b32 exec_lo, exec_lo, s34
	s_and_saveexec_b32 s34, s19
	s_cbranch_execnz .LBB1553_908
.LBB1553_838:                           ;   in Loop: Header=BB1553_730 Depth=2
	s_or_b32 exec_lo, exec_lo, s34
	s_and_saveexec_b32 s34, s20
	s_cbranch_execnz .LBB1553_909
.LBB1553_839:                           ;   in Loop: Header=BB1553_730 Depth=2
	s_or_b32 exec_lo, exec_lo, s34
	s_and_saveexec_b32 s34, s21
	s_cbranch_execnz .LBB1553_910
.LBB1553_840:                           ;   in Loop: Header=BB1553_730 Depth=2
	s_or_b32 exec_lo, exec_lo, s34
	s_and_saveexec_b32 s34, s22
	s_cbranch_execnz .LBB1553_911
.LBB1553_841:                           ;   in Loop: Header=BB1553_730 Depth=2
	s_or_b32 exec_lo, exec_lo, s34
	s_and_saveexec_b32 s34, s23
	s_cbranch_execnz .LBB1553_912
.LBB1553_842:                           ;   in Loop: Header=BB1553_730 Depth=2
	s_or_b32 exec_lo, exec_lo, s34
	s_and_saveexec_b32 s34, s24
	s_cbranch_execnz .LBB1553_913
.LBB1553_843:                           ;   in Loop: Header=BB1553_730 Depth=2
	s_or_b32 exec_lo, exec_lo, s34
	s_and_saveexec_b32 s34, s25
	s_cbranch_execnz .LBB1553_914
.LBB1553_844:                           ;   in Loop: Header=BB1553_730 Depth=2
	s_or_b32 exec_lo, exec_lo, s34
	s_and_saveexec_b32 s34, s26
	s_cbranch_execnz .LBB1553_915
.LBB1553_845:                           ;   in Loop: Header=BB1553_730 Depth=2
	s_or_b32 exec_lo, exec_lo, s34
	s_and_saveexec_b32 s34, s27
	s_cbranch_execnz .LBB1553_916
.LBB1553_846:                           ;   in Loop: Header=BB1553_730 Depth=2
	s_or_b32 exec_lo, exec_lo, s34
	s_and_saveexec_b32 s34, s28
	s_cbranch_execnz .LBB1553_917
.LBB1553_847:                           ;   in Loop: Header=BB1553_730 Depth=2
	s_or_b32 exec_lo, exec_lo, s34
	s_and_saveexec_b32 s34, s29
	s_cbranch_execnz .LBB1553_918
.LBB1553_848:                           ;   in Loop: Header=BB1553_730 Depth=2
	s_or_b32 exec_lo, exec_lo, s34
	s_and_saveexec_b32 s34, s30
	s_cbranch_execnz .LBB1553_919
.LBB1553_849:                           ;   in Loop: Header=BB1553_730 Depth=2
	s_or_b32 exec_lo, exec_lo, s34
	s_and_saveexec_b32 s34, s31
	s_cbranch_execnz .LBB1553_920
.LBB1553_850:                           ;   in Loop: Header=BB1553_730 Depth=2
	s_or_b32 exec_lo, exec_lo, s34
	s_and_saveexec_b32 s34, s33
	s_cbranch_execz .LBB1553_852
.LBB1553_851:                           ;   in Loop: Header=BB1553_730 Depth=2
	ds_load_u8 v4, v10 offset:4608
	s_wait_dscnt 0x0
	v_lshrrev_b32_e32 v4, s49, v4
	s_delay_alu instid0(VALU_DEP_1)
	v_and_b32_e32 v119, s58, v4
.LBB1553_852:                           ;   in Loop: Header=BB1553_730 Depth=2
	s_or_b32 exec_lo, exec_lo, s34
	v_dual_lshlrev_b32 v4, 3, v152 :: v_dual_lshlrev_b32 v5, 3, v151
	s_wait_loadcnt 0x0
	s_wait_storecnt 0x0
	s_barrier_signal -1
	s_barrier_wait -1
	ds_store_b64 v4, v[68:69] offset:512
	ds_store_b64 v5, v[66:67] offset:512
	v_dual_lshlrev_b32 v4, 3, v150 :: v_dual_lshlrev_b32 v5, 3, v149
	v_dual_lshlrev_b32 v8, 3, v148 :: v_dual_lshlrev_b32 v70, 3, v147
	v_lshlrev_b32_e32 v138, 3, v146
	ds_store_b64 v4, v[64:65] offset:512
	ds_store_b64 v5, v[62:63] offset:512
	ds_store_b64 v8, v[60:61] offset:512
	ds_store_b64 v70, v[58:59] offset:512
	ds_store_b64 v138, v[56:57] offset:512
	v_dual_lshlrev_b32 v4, 3, v145 :: v_dual_lshlrev_b32 v5, 3, v144
	v_dual_lshlrev_b32 v8, 3, v143 :: v_dual_lshlrev_b32 v70, 3, v142
	v_lshlrev_b32_e32 v138, 3, v141
	ds_store_b64 v4, v[54:55] offset:512
	ds_store_b64 v5, v[52:53] offset:512
	ds_store_b64 v8, v[50:51] offset:512
	;; [unrolled: 8-line block ×3, first 2 shown]
	ds_store_b64 v7, v[38:39] offset:512
	ds_store_b64 v6, v[36:37] offset:512
	s_wait_dscnt 0x0
	s_barrier_signal -1
	s_barrier_wait -1
	s_and_saveexec_b32 s34, vcc_lo
	s_cbranch_execnz .LBB1553_921
; %bb.853:                              ;   in Loop: Header=BB1553_730 Depth=2
	s_or_b32 exec_lo, exec_lo, s34
	s_and_saveexec_b32 s34, s17
	s_cbranch_execnz .LBB1553_922
.LBB1553_854:                           ;   in Loop: Header=BB1553_730 Depth=2
	s_or_b32 exec_lo, exec_lo, s34
	s_and_saveexec_b32 s17, s18
	s_cbranch_execnz .LBB1553_923
.LBB1553_855:                           ;   in Loop: Header=BB1553_730 Depth=2
	s_or_b32 exec_lo, exec_lo, s17
	s_and_saveexec_b32 s17, s19
	s_cbranch_execnz .LBB1553_924
.LBB1553_856:                           ;   in Loop: Header=BB1553_730 Depth=2
	s_or_b32 exec_lo, exec_lo, s17
	s_and_saveexec_b32 s17, s20
	s_cbranch_execnz .LBB1553_925
.LBB1553_857:                           ;   in Loop: Header=BB1553_730 Depth=2
	s_or_b32 exec_lo, exec_lo, s17
	s_and_saveexec_b32 s17, s21
	s_cbranch_execnz .LBB1553_926
.LBB1553_858:                           ;   in Loop: Header=BB1553_730 Depth=2
	s_or_b32 exec_lo, exec_lo, s17
	s_and_saveexec_b32 s17, s22
	s_cbranch_execnz .LBB1553_927
.LBB1553_859:                           ;   in Loop: Header=BB1553_730 Depth=2
	s_or_b32 exec_lo, exec_lo, s17
	s_and_saveexec_b32 s17, s23
	s_cbranch_execnz .LBB1553_928
.LBB1553_860:                           ;   in Loop: Header=BB1553_730 Depth=2
	s_or_b32 exec_lo, exec_lo, s17
	s_and_saveexec_b32 s17, s24
	s_cbranch_execnz .LBB1553_929
.LBB1553_861:                           ;   in Loop: Header=BB1553_730 Depth=2
	s_or_b32 exec_lo, exec_lo, s17
	s_and_saveexec_b32 s17, s25
	s_cbranch_execnz .LBB1553_930
.LBB1553_862:                           ;   in Loop: Header=BB1553_730 Depth=2
	s_or_b32 exec_lo, exec_lo, s17
	s_and_saveexec_b32 s17, s26
	s_cbranch_execnz .LBB1553_931
.LBB1553_863:                           ;   in Loop: Header=BB1553_730 Depth=2
	s_or_b32 exec_lo, exec_lo, s17
	s_and_saveexec_b32 s17, s27
	s_cbranch_execnz .LBB1553_932
.LBB1553_864:                           ;   in Loop: Header=BB1553_730 Depth=2
	s_or_b32 exec_lo, exec_lo, s17
	s_and_saveexec_b32 s17, s28
	s_cbranch_execnz .LBB1553_933
.LBB1553_865:                           ;   in Loop: Header=BB1553_730 Depth=2
	s_or_b32 exec_lo, exec_lo, s17
	s_and_saveexec_b32 s17, s29
	s_cbranch_execnz .LBB1553_934
.LBB1553_866:                           ;   in Loop: Header=BB1553_730 Depth=2
	s_or_b32 exec_lo, exec_lo, s17
	s_and_saveexec_b32 s17, s30
	s_cbranch_execnz .LBB1553_935
.LBB1553_867:                           ;   in Loop: Header=BB1553_730 Depth=2
	s_or_b32 exec_lo, exec_lo, s17
	s_and_saveexec_b32 s17, s31
	s_cbranch_execnz .LBB1553_936
.LBB1553_868:                           ;   in Loop: Header=BB1553_730 Depth=2
	s_or_b32 exec_lo, exec_lo, s17
	s_and_saveexec_b32 s17, s33
	s_cbranch_execz .LBB1553_870
.LBB1553_869:                           ;   in Loop: Header=BB1553_730 Depth=2
	v_dual_lshlrev_b32 v4, 2, v119 :: v_dual_add_nc_u32 v5, v10, v100
	ds_load_b32 v6, v4
	ds_load_b64 v[4:5], v5 offset:33280
	s_wait_dscnt 0x1
	v_add_nc_u32_e32 v6, v6, v87
	s_wait_dscnt 0x0
	global_store_b64 v6, v[4:5], s[44:45] scale_offset
.LBB1553_870:                           ;   in Loop: Header=BB1553_730 Depth=2
	s_wait_xcnt 0x0
	s_or_b32 exec_lo, exec_lo, s17
	s_wait_storecnt 0x0
	s_barrier_signal -1
	s_barrier_wait -1
	s_and_saveexec_b32 s17, s0
	s_cbranch_execz .LBB1553_729
; %bb.871:                              ;   in Loop: Header=BB1553_730 Depth=2
	ds_load_b32 v4, v9
	s_wait_dscnt 0x0
	v_add3_u32 v4, v136, v137, v4
	ds_store_b32 v9, v4
	s_branch .LBB1553_729
.LBB1553_872:                           ;   in Loop: Header=BB1553_730 Depth=2
	ds_load_u8 v4, v10 offset:512
	s_wait_dscnt 0x0
	v_and_b32_e32 v5, 1, v4
	s_delay_alu instid0(VALU_DEP_1) | instskip(NEXT) | instid1(VALU_DEP_1)
	v_dual_lshrrev_b32 v5, s49, v5 :: v_dual_bitop2_b32 v4, 1, v4 bitop3:0x14
	v_and_b32_e32 v5, s58, v5
	s_delay_alu instid0(VALU_DEP_1)
	v_lshlrev_b32_e32 v5, 2, v5
	ds_load_b32 v5, v5
	s_wait_dscnt 0x0
	v_add_nc_u32_e32 v5, v5, v10
	global_store_b8 v5, v4, s[38:39]
	s_wait_xcnt 0x0
	s_or_b32 exec_lo, exec_lo, s17
	v_cmp_lt_u32_e64 s17, v72, v70
	s_and_saveexec_b32 s18, s17
	s_cbranch_execz .LBB1553_801
.LBB1553_873:                           ;   in Loop: Header=BB1553_730 Depth=2
	ds_load_u8 v4, v10 offset:768
	s_wait_dscnt 0x0
	v_and_b32_e32 v5, 1, v4
	s_delay_alu instid0(VALU_DEP_1) | instskip(NEXT) | instid1(VALU_DEP_1)
	v_dual_lshrrev_b32 v5, s49, v5 :: v_dual_bitop2_b32 v4, 1, v4 bitop3:0x14
	v_and_b32_e32 v5, s58, v5
	s_delay_alu instid0(VALU_DEP_1)
	v_lshlrev_b32_e32 v5, 2, v5
	ds_load_b32 v5, v5
	s_wait_dscnt 0x0
	v_add_nc_u32_e32 v5, v5, v72
	global_store_b8 v5, v4, s[38:39]
	s_wait_xcnt 0x0
	s_or_b32 exec_lo, exec_lo, s18
	v_cmp_lt_u32_e64 s18, v73, v70
	s_and_saveexec_b32 s19, s18
	s_cbranch_execz .LBB1553_802
.LBB1553_874:                           ;   in Loop: Header=BB1553_730 Depth=2
	ds_load_u8 v4, v10 offset:1024
	s_wait_dscnt 0x0
	v_and_b32_e32 v5, 1, v4
	s_delay_alu instid0(VALU_DEP_1) | instskip(NEXT) | instid1(VALU_DEP_1)
	v_dual_lshrrev_b32 v5, s49, v5 :: v_dual_bitop2_b32 v4, 1, v4 bitop3:0x14
	v_and_b32_e32 v5, s58, v5
	s_delay_alu instid0(VALU_DEP_1)
	v_lshlrev_b32_e32 v5, 2, v5
	ds_load_b32 v5, v5
	s_wait_dscnt 0x0
	v_add_nc_u32_e32 v5, v5, v73
	global_store_b8 v5, v4, s[38:39]
	s_wait_xcnt 0x0
	s_or_b32 exec_lo, exec_lo, s19
	v_cmp_lt_u32_e64 s19, v74, v70
	s_and_saveexec_b32 s20, s19
	s_cbranch_execz .LBB1553_803
.LBB1553_875:                           ;   in Loop: Header=BB1553_730 Depth=2
	ds_load_u8 v4, v10 offset:1280
	s_wait_dscnt 0x0
	v_and_b32_e32 v5, 1, v4
	s_delay_alu instid0(VALU_DEP_1) | instskip(NEXT) | instid1(VALU_DEP_1)
	v_dual_lshrrev_b32 v5, s49, v5 :: v_dual_bitop2_b32 v4, 1, v4 bitop3:0x14
	v_and_b32_e32 v5, s58, v5
	s_delay_alu instid0(VALU_DEP_1)
	v_lshlrev_b32_e32 v5, 2, v5
	ds_load_b32 v5, v5
	s_wait_dscnt 0x0
	v_add_nc_u32_e32 v5, v5, v74
	global_store_b8 v5, v4, s[38:39]
	s_wait_xcnt 0x0
	s_or_b32 exec_lo, exec_lo, s20
	v_cmp_lt_u32_e64 s20, v75, v70
	s_and_saveexec_b32 s21, s20
	s_cbranch_execz .LBB1553_804
.LBB1553_876:                           ;   in Loop: Header=BB1553_730 Depth=2
	ds_load_u8 v4, v10 offset:1536
	s_wait_dscnt 0x0
	v_and_b32_e32 v5, 1, v4
	s_delay_alu instid0(VALU_DEP_1) | instskip(NEXT) | instid1(VALU_DEP_1)
	v_dual_lshrrev_b32 v5, s49, v5 :: v_dual_bitop2_b32 v4, 1, v4 bitop3:0x14
	v_and_b32_e32 v5, s58, v5
	s_delay_alu instid0(VALU_DEP_1)
	v_lshlrev_b32_e32 v5, 2, v5
	ds_load_b32 v5, v5
	s_wait_dscnt 0x0
	v_add_nc_u32_e32 v5, v5, v75
	global_store_b8 v5, v4, s[38:39]
	s_wait_xcnt 0x0
	s_or_b32 exec_lo, exec_lo, s21
	v_cmp_lt_u32_e64 s21, v76, v70
	s_and_saveexec_b32 s22, s21
	s_cbranch_execz .LBB1553_805
.LBB1553_877:                           ;   in Loop: Header=BB1553_730 Depth=2
	ds_load_u8 v4, v10 offset:1792
	s_wait_dscnt 0x0
	v_and_b32_e32 v5, 1, v4
	s_delay_alu instid0(VALU_DEP_1) | instskip(NEXT) | instid1(VALU_DEP_1)
	v_dual_lshrrev_b32 v5, s49, v5 :: v_dual_bitop2_b32 v4, 1, v4 bitop3:0x14
	v_and_b32_e32 v5, s58, v5
	s_delay_alu instid0(VALU_DEP_1)
	v_lshlrev_b32_e32 v5, 2, v5
	ds_load_b32 v5, v5
	s_wait_dscnt 0x0
	v_add_nc_u32_e32 v5, v5, v76
	global_store_b8 v5, v4, s[38:39]
	s_wait_xcnt 0x0
	s_or_b32 exec_lo, exec_lo, s22
	v_cmp_lt_u32_e64 s22, v77, v70
	s_and_saveexec_b32 s23, s22
	s_cbranch_execz .LBB1553_806
.LBB1553_878:                           ;   in Loop: Header=BB1553_730 Depth=2
	ds_load_u8 v4, v10 offset:2048
	s_wait_dscnt 0x0
	v_and_b32_e32 v5, 1, v4
	s_delay_alu instid0(VALU_DEP_1) | instskip(NEXT) | instid1(VALU_DEP_1)
	v_dual_lshrrev_b32 v5, s49, v5 :: v_dual_bitop2_b32 v4, 1, v4 bitop3:0x14
	v_and_b32_e32 v5, s58, v5
	s_delay_alu instid0(VALU_DEP_1)
	v_lshlrev_b32_e32 v5, 2, v5
	ds_load_b32 v5, v5
	s_wait_dscnt 0x0
	v_add_nc_u32_e32 v5, v5, v77
	global_store_b8 v5, v4, s[38:39]
	s_wait_xcnt 0x0
	s_or_b32 exec_lo, exec_lo, s23
	v_cmp_lt_u32_e64 s23, v78, v70
	s_and_saveexec_b32 s24, s23
	s_cbranch_execz .LBB1553_807
.LBB1553_879:                           ;   in Loop: Header=BB1553_730 Depth=2
	ds_load_u8 v4, v10 offset:2304
	s_wait_dscnt 0x0
	v_and_b32_e32 v5, 1, v4
	s_delay_alu instid0(VALU_DEP_1) | instskip(NEXT) | instid1(VALU_DEP_1)
	v_dual_lshrrev_b32 v5, s49, v5 :: v_dual_bitop2_b32 v4, 1, v4 bitop3:0x14
	v_and_b32_e32 v5, s58, v5
	s_delay_alu instid0(VALU_DEP_1)
	v_lshlrev_b32_e32 v5, 2, v5
	ds_load_b32 v5, v5
	s_wait_dscnt 0x0
	v_add_nc_u32_e32 v5, v5, v78
	global_store_b8 v5, v4, s[38:39]
	s_wait_xcnt 0x0
	s_or_b32 exec_lo, exec_lo, s24
	v_cmp_lt_u32_e64 s24, v79, v70
	s_and_saveexec_b32 s25, s24
	s_cbranch_execz .LBB1553_808
.LBB1553_880:                           ;   in Loop: Header=BB1553_730 Depth=2
	ds_load_u8 v4, v10 offset:2560
	s_wait_dscnt 0x0
	v_and_b32_e32 v5, 1, v4
	s_delay_alu instid0(VALU_DEP_1) | instskip(NEXT) | instid1(VALU_DEP_1)
	v_dual_lshrrev_b32 v5, s49, v5 :: v_dual_bitop2_b32 v4, 1, v4 bitop3:0x14
	v_and_b32_e32 v5, s58, v5
	s_delay_alu instid0(VALU_DEP_1)
	v_lshlrev_b32_e32 v5, 2, v5
	ds_load_b32 v5, v5
	s_wait_dscnt 0x0
	v_add_nc_u32_e32 v5, v5, v79
	global_store_b8 v5, v4, s[38:39]
	s_wait_xcnt 0x0
	s_or_b32 exec_lo, exec_lo, s25
	v_cmp_lt_u32_e64 s25, v80, v70
	s_and_saveexec_b32 s26, s25
	s_cbranch_execz .LBB1553_809
.LBB1553_881:                           ;   in Loop: Header=BB1553_730 Depth=2
	ds_load_u8 v4, v10 offset:2816
	s_wait_dscnt 0x0
	v_and_b32_e32 v5, 1, v4
	s_delay_alu instid0(VALU_DEP_1) | instskip(NEXT) | instid1(VALU_DEP_1)
	v_dual_lshrrev_b32 v5, s49, v5 :: v_dual_bitop2_b32 v4, 1, v4 bitop3:0x14
	v_and_b32_e32 v5, s58, v5
	s_delay_alu instid0(VALU_DEP_1)
	v_lshlrev_b32_e32 v5, 2, v5
	ds_load_b32 v5, v5
	s_wait_dscnt 0x0
	v_add_nc_u32_e32 v5, v5, v80
	global_store_b8 v5, v4, s[38:39]
	s_wait_xcnt 0x0
	s_or_b32 exec_lo, exec_lo, s26
	v_cmp_lt_u32_e64 s26, v81, v70
	s_and_saveexec_b32 s27, s26
	s_cbranch_execz .LBB1553_810
.LBB1553_882:                           ;   in Loop: Header=BB1553_730 Depth=2
	ds_load_u8 v4, v10 offset:3072
	s_wait_dscnt 0x0
	v_and_b32_e32 v5, 1, v4
	s_delay_alu instid0(VALU_DEP_1) | instskip(NEXT) | instid1(VALU_DEP_1)
	v_dual_lshrrev_b32 v5, s49, v5 :: v_dual_bitop2_b32 v4, 1, v4 bitop3:0x14
	v_and_b32_e32 v5, s58, v5
	s_delay_alu instid0(VALU_DEP_1)
	v_lshlrev_b32_e32 v5, 2, v5
	ds_load_b32 v5, v5
	s_wait_dscnt 0x0
	v_add_nc_u32_e32 v5, v5, v81
	global_store_b8 v5, v4, s[38:39]
	s_wait_xcnt 0x0
	s_or_b32 exec_lo, exec_lo, s27
	v_cmp_lt_u32_e64 s27, v82, v70
	s_and_saveexec_b32 s28, s27
	s_cbranch_execz .LBB1553_811
.LBB1553_883:                           ;   in Loop: Header=BB1553_730 Depth=2
	ds_load_u8 v4, v10 offset:3328
	s_wait_dscnt 0x0
	v_and_b32_e32 v5, 1, v4
	s_delay_alu instid0(VALU_DEP_1) | instskip(NEXT) | instid1(VALU_DEP_1)
	v_dual_lshrrev_b32 v5, s49, v5 :: v_dual_bitop2_b32 v4, 1, v4 bitop3:0x14
	v_and_b32_e32 v5, s58, v5
	s_delay_alu instid0(VALU_DEP_1)
	v_lshlrev_b32_e32 v5, 2, v5
	ds_load_b32 v5, v5
	s_wait_dscnt 0x0
	v_add_nc_u32_e32 v5, v5, v82
	global_store_b8 v5, v4, s[38:39]
	s_wait_xcnt 0x0
	s_or_b32 exec_lo, exec_lo, s28
	v_cmp_lt_u32_e64 s28, v83, v70
	s_and_saveexec_b32 s29, s28
	s_cbranch_execz .LBB1553_812
.LBB1553_884:                           ;   in Loop: Header=BB1553_730 Depth=2
	ds_load_u8 v4, v10 offset:3584
	s_wait_dscnt 0x0
	v_and_b32_e32 v5, 1, v4
	s_delay_alu instid0(VALU_DEP_1) | instskip(NEXT) | instid1(VALU_DEP_1)
	v_dual_lshrrev_b32 v5, s49, v5 :: v_dual_bitop2_b32 v4, 1, v4 bitop3:0x14
	v_and_b32_e32 v5, s58, v5
	s_delay_alu instid0(VALU_DEP_1)
	v_lshlrev_b32_e32 v5, 2, v5
	ds_load_b32 v5, v5
	s_wait_dscnt 0x0
	v_add_nc_u32_e32 v5, v5, v83
	global_store_b8 v5, v4, s[38:39]
	s_wait_xcnt 0x0
	s_or_b32 exec_lo, exec_lo, s29
	v_cmp_lt_u32_e64 s29, v84, v70
	s_and_saveexec_b32 s30, s29
	s_cbranch_execz .LBB1553_813
.LBB1553_885:                           ;   in Loop: Header=BB1553_730 Depth=2
	ds_load_u8 v4, v10 offset:3840
	s_wait_dscnt 0x0
	v_and_b32_e32 v5, 1, v4
	s_delay_alu instid0(VALU_DEP_1) | instskip(NEXT) | instid1(VALU_DEP_1)
	v_dual_lshrrev_b32 v5, s49, v5 :: v_dual_bitop2_b32 v4, 1, v4 bitop3:0x14
	v_and_b32_e32 v5, s58, v5
	s_delay_alu instid0(VALU_DEP_1)
	v_lshlrev_b32_e32 v5, 2, v5
	ds_load_b32 v5, v5
	s_wait_dscnt 0x0
	v_add_nc_u32_e32 v5, v5, v84
	global_store_b8 v5, v4, s[38:39]
	s_wait_xcnt 0x0
	s_or_b32 exec_lo, exec_lo, s30
	v_cmp_lt_u32_e64 s30, v85, v70
	s_and_saveexec_b32 s31, s30
	s_cbranch_execz .LBB1553_814
.LBB1553_886:                           ;   in Loop: Header=BB1553_730 Depth=2
	ds_load_u8 v4, v10 offset:4096
	s_wait_dscnt 0x0
	v_and_b32_e32 v5, 1, v4
	s_delay_alu instid0(VALU_DEP_1) | instskip(NEXT) | instid1(VALU_DEP_1)
	v_dual_lshrrev_b32 v5, s49, v5 :: v_dual_bitop2_b32 v4, 1, v4 bitop3:0x14
	v_and_b32_e32 v5, s58, v5
	s_delay_alu instid0(VALU_DEP_1)
	v_lshlrev_b32_e32 v5, 2, v5
	ds_load_b32 v5, v5
	s_wait_dscnt 0x0
	v_add_nc_u32_e32 v5, v5, v85
	global_store_b8 v5, v4, s[38:39]
	s_wait_xcnt 0x0
	s_or_b32 exec_lo, exec_lo, s31
	v_cmp_lt_u32_e64 s31, v86, v70
	s_and_saveexec_b32 s33, s31
	s_cbranch_execz .LBB1553_815
.LBB1553_887:                           ;   in Loop: Header=BB1553_730 Depth=2
	ds_load_u8 v4, v10 offset:4352
	s_wait_dscnt 0x0
	v_and_b32_e32 v5, 1, v4
	s_delay_alu instid0(VALU_DEP_1) | instskip(NEXT) | instid1(VALU_DEP_1)
	v_dual_lshrrev_b32 v5, s49, v5 :: v_dual_bitop2_b32 v4, 1, v4 bitop3:0x14
	v_and_b32_e32 v5, s58, v5
	s_delay_alu instid0(VALU_DEP_1)
	v_lshlrev_b32_e32 v5, 2, v5
	ds_load_b32 v5, v5
	s_wait_dscnt 0x0
	v_add_nc_u32_e32 v5, v5, v86
	global_store_b8 v5, v4, s[38:39]
	s_wait_xcnt 0x0
	s_or_b32 exec_lo, exec_lo, s33
	v_cmp_lt_u32_e64 s33, v87, v70
	s_and_saveexec_b32 s34, s33
	s_cbranch_execnz .LBB1553_816
	s_branch .LBB1553_817
.LBB1553_888:                           ;   in Loop: Header=BB1553_730 Depth=2
	global_load_b64 v[68:69], v[4:5], off
	s_wait_xcnt 0x0
	s_or_b32 exec_lo, exec_lo, s34
	s_delay_alu instid0(SALU_CYCLE_1)
	s_mov_b32 s42, exec_lo
	v_cmpx_lt_u32_e64 v103, v70
	s_cbranch_execz .LBB1553_819
.LBB1553_889:                           ;   in Loop: Header=BB1553_730 Depth=2
	global_load_b64 v[66:67], v[4:5], off offset:256
	s_wait_xcnt 0x0
	s_or_b32 exec_lo, exec_lo, s42
	s_delay_alu instid0(SALU_CYCLE_1)
	s_mov_b32 s42, exec_lo
	v_cmpx_lt_u32_e64 v104, v70
	s_cbranch_execz .LBB1553_820
.LBB1553_890:                           ;   in Loop: Header=BB1553_730 Depth=2
	global_load_b64 v[64:65], v[4:5], off offset:512
	s_wait_xcnt 0x0
	s_or_b32 exec_lo, exec_lo, s42
	s_delay_alu instid0(SALU_CYCLE_1)
	s_mov_b32 s42, exec_lo
	v_cmpx_lt_u32_e64 v105, v70
	s_cbranch_execz .LBB1553_821
.LBB1553_891:                           ;   in Loop: Header=BB1553_730 Depth=2
	global_load_b64 v[62:63], v[4:5], off offset:768
	s_wait_xcnt 0x0
	s_or_b32 exec_lo, exec_lo, s42
	s_delay_alu instid0(SALU_CYCLE_1)
	s_mov_b32 s42, exec_lo
	v_cmpx_lt_u32_e64 v106, v70
	s_cbranch_execz .LBB1553_822
.LBB1553_892:                           ;   in Loop: Header=BB1553_730 Depth=2
	global_load_b64 v[60:61], v[4:5], off offset:1024
	s_wait_xcnt 0x0
	s_or_b32 exec_lo, exec_lo, s42
	s_delay_alu instid0(SALU_CYCLE_1)
	s_mov_b32 s42, exec_lo
	v_cmpx_lt_u32_e64 v107, v70
	s_cbranch_execz .LBB1553_823
.LBB1553_893:                           ;   in Loop: Header=BB1553_730 Depth=2
	global_load_b64 v[58:59], v[4:5], off offset:1280
	s_wait_xcnt 0x0
	s_or_b32 exec_lo, exec_lo, s42
	s_delay_alu instid0(SALU_CYCLE_1)
	s_mov_b32 s42, exec_lo
	v_cmpx_lt_u32_e64 v108, v70
	s_cbranch_execz .LBB1553_824
.LBB1553_894:                           ;   in Loop: Header=BB1553_730 Depth=2
	global_load_b64 v[56:57], v[4:5], off offset:1536
	s_wait_xcnt 0x0
	s_or_b32 exec_lo, exec_lo, s42
	s_delay_alu instid0(SALU_CYCLE_1)
	s_mov_b32 s42, exec_lo
	v_cmpx_lt_u32_e64 v109, v70
	s_cbranch_execz .LBB1553_825
.LBB1553_895:                           ;   in Loop: Header=BB1553_730 Depth=2
	global_load_b64 v[54:55], v[4:5], off offset:1792
	s_wait_xcnt 0x0
	s_or_b32 exec_lo, exec_lo, s42
	s_delay_alu instid0(SALU_CYCLE_1)
	s_mov_b32 s42, exec_lo
	v_cmpx_lt_u32_e64 v110, v70
	s_cbranch_execz .LBB1553_826
.LBB1553_896:                           ;   in Loop: Header=BB1553_730 Depth=2
	global_load_b64 v[52:53], v[4:5], off offset:2048
	s_wait_xcnt 0x0
	s_or_b32 exec_lo, exec_lo, s42
	s_delay_alu instid0(SALU_CYCLE_1)
	s_mov_b32 s42, exec_lo
	v_cmpx_lt_u32_e64 v111, v70
	s_cbranch_execz .LBB1553_827
.LBB1553_897:                           ;   in Loop: Header=BB1553_730 Depth=2
	global_load_b64 v[50:51], v[4:5], off offset:2304
	s_wait_xcnt 0x0
	s_or_b32 exec_lo, exec_lo, s42
	s_delay_alu instid0(SALU_CYCLE_1)
	s_mov_b32 s42, exec_lo
	v_cmpx_lt_u32_e64 v112, v70
	s_cbranch_execz .LBB1553_828
.LBB1553_898:                           ;   in Loop: Header=BB1553_730 Depth=2
	global_load_b64 v[48:49], v[4:5], off offset:2560
	s_wait_xcnt 0x0
	s_or_b32 exec_lo, exec_lo, s42
	s_delay_alu instid0(SALU_CYCLE_1)
	s_mov_b32 s42, exec_lo
	v_cmpx_lt_u32_e64 v113, v70
	s_cbranch_execz .LBB1553_829
.LBB1553_899:                           ;   in Loop: Header=BB1553_730 Depth=2
	global_load_b64 v[46:47], v[4:5], off offset:2816
	s_wait_xcnt 0x0
	s_or_b32 exec_lo, exec_lo, s42
	s_delay_alu instid0(SALU_CYCLE_1)
	s_mov_b32 s42, exec_lo
	v_cmpx_lt_u32_e64 v114, v70
	s_cbranch_execz .LBB1553_830
.LBB1553_900:                           ;   in Loop: Header=BB1553_730 Depth=2
	global_load_b64 v[44:45], v[4:5], off offset:3072
	s_wait_xcnt 0x0
	s_or_b32 exec_lo, exec_lo, s42
	s_delay_alu instid0(SALU_CYCLE_1)
	s_mov_b32 s42, exec_lo
	v_cmpx_lt_u32_e64 v115, v70
	s_cbranch_execz .LBB1553_831
.LBB1553_901:                           ;   in Loop: Header=BB1553_730 Depth=2
	global_load_b64 v[42:43], v[4:5], off offset:3328
	s_wait_xcnt 0x0
	s_or_b32 exec_lo, exec_lo, s42
	s_delay_alu instid0(SALU_CYCLE_1)
	s_mov_b32 s42, exec_lo
	v_cmpx_lt_u32_e64 v116, v70
	s_cbranch_execz .LBB1553_832
.LBB1553_902:                           ;   in Loop: Header=BB1553_730 Depth=2
	global_load_b64 v[40:41], v[4:5], off offset:3584
	s_wait_xcnt 0x0
	s_or_b32 exec_lo, exec_lo, s42
	s_delay_alu instid0(SALU_CYCLE_1)
	s_mov_b32 s42, exec_lo
	v_cmpx_lt_u32_e64 v117, v70
	s_cbranch_execz .LBB1553_833
.LBB1553_903:                           ;   in Loop: Header=BB1553_730 Depth=2
	global_load_b64 v[38:39], v[4:5], off offset:3840
	s_wait_xcnt 0x0
	s_or_b32 exec_lo, exec_lo, s42
	s_delay_alu instid0(SALU_CYCLE_1)
	s_mov_b32 s42, exec_lo
	v_cmpx_lt_u32_e64 v118, v70
	s_cbranch_execz .LBB1553_834
.LBB1553_904:                           ;   in Loop: Header=BB1553_730 Depth=2
	global_load_b64 v[36:37], v[4:5], off offset:4096
	s_wait_xcnt 0x0
	s_or_b32 exec_lo, exec_lo, s42
	s_and_saveexec_b32 s34, vcc_lo
	s_cbranch_execz .LBB1553_835
.LBB1553_905:                           ;   in Loop: Header=BB1553_730 Depth=2
	ds_load_u8 v4, v10 offset:512
	s_wait_dscnt 0x0
	v_lshrrev_b32_e32 v4, s49, v4
	s_delay_alu instid0(VALU_DEP_1)
	v_and_b32_e32 v135, s58, v4
	s_or_b32 exec_lo, exec_lo, s34
	s_and_saveexec_b32 s34, s17
	s_cbranch_execz .LBB1553_836
.LBB1553_906:                           ;   in Loop: Header=BB1553_730 Depth=2
	ds_load_u8 v4, v10 offset:768
	s_wait_dscnt 0x0
	v_lshrrev_b32_e32 v4, s49, v4
	s_delay_alu instid0(VALU_DEP_1)
	v_and_b32_e32 v134, s58, v4
	s_or_b32 exec_lo, exec_lo, s34
	s_and_saveexec_b32 s34, s18
	s_cbranch_execz .LBB1553_837
.LBB1553_907:                           ;   in Loop: Header=BB1553_730 Depth=2
	ds_load_u8 v4, v10 offset:1024
	s_wait_dscnt 0x0
	v_lshrrev_b32_e32 v4, s49, v4
	s_delay_alu instid0(VALU_DEP_1)
	v_and_b32_e32 v133, s58, v4
	s_or_b32 exec_lo, exec_lo, s34
	s_and_saveexec_b32 s34, s19
	s_cbranch_execz .LBB1553_838
.LBB1553_908:                           ;   in Loop: Header=BB1553_730 Depth=2
	ds_load_u8 v4, v10 offset:1280
	s_wait_dscnt 0x0
	v_lshrrev_b32_e32 v4, s49, v4
	s_delay_alu instid0(VALU_DEP_1)
	v_and_b32_e32 v132, s58, v4
	s_or_b32 exec_lo, exec_lo, s34
	s_and_saveexec_b32 s34, s20
	s_cbranch_execz .LBB1553_839
.LBB1553_909:                           ;   in Loop: Header=BB1553_730 Depth=2
	ds_load_u8 v4, v10 offset:1536
	s_wait_dscnt 0x0
	v_lshrrev_b32_e32 v4, s49, v4
	s_delay_alu instid0(VALU_DEP_1)
	v_and_b32_e32 v131, s58, v4
	s_or_b32 exec_lo, exec_lo, s34
	s_and_saveexec_b32 s34, s21
	s_cbranch_execz .LBB1553_840
.LBB1553_910:                           ;   in Loop: Header=BB1553_730 Depth=2
	ds_load_u8 v4, v10 offset:1792
	s_wait_dscnt 0x0
	v_lshrrev_b32_e32 v4, s49, v4
	s_delay_alu instid0(VALU_DEP_1)
	v_and_b32_e32 v130, s58, v4
	s_or_b32 exec_lo, exec_lo, s34
	s_and_saveexec_b32 s34, s22
	s_cbranch_execz .LBB1553_841
.LBB1553_911:                           ;   in Loop: Header=BB1553_730 Depth=2
	ds_load_u8 v4, v10 offset:2048
	s_wait_dscnt 0x0
	v_lshrrev_b32_e32 v4, s49, v4
	s_delay_alu instid0(VALU_DEP_1)
	v_and_b32_e32 v129, s58, v4
	s_or_b32 exec_lo, exec_lo, s34
	s_and_saveexec_b32 s34, s23
	s_cbranch_execz .LBB1553_842
.LBB1553_912:                           ;   in Loop: Header=BB1553_730 Depth=2
	ds_load_u8 v4, v10 offset:2304
	s_wait_dscnt 0x0
	v_lshrrev_b32_e32 v4, s49, v4
	s_delay_alu instid0(VALU_DEP_1)
	v_and_b32_e32 v128, s58, v4
	s_or_b32 exec_lo, exec_lo, s34
	s_and_saveexec_b32 s34, s24
	s_cbranch_execz .LBB1553_843
.LBB1553_913:                           ;   in Loop: Header=BB1553_730 Depth=2
	ds_load_u8 v4, v10 offset:2560
	s_wait_dscnt 0x0
	v_lshrrev_b32_e32 v4, s49, v4
	s_delay_alu instid0(VALU_DEP_1)
	v_and_b32_e32 v127, s58, v4
	s_or_b32 exec_lo, exec_lo, s34
	s_and_saveexec_b32 s34, s25
	s_cbranch_execz .LBB1553_844
.LBB1553_914:                           ;   in Loop: Header=BB1553_730 Depth=2
	ds_load_u8 v4, v10 offset:2816
	s_wait_dscnt 0x0
	v_lshrrev_b32_e32 v4, s49, v4
	s_delay_alu instid0(VALU_DEP_1)
	v_and_b32_e32 v126, s58, v4
	s_or_b32 exec_lo, exec_lo, s34
	s_and_saveexec_b32 s34, s26
	s_cbranch_execz .LBB1553_845
.LBB1553_915:                           ;   in Loop: Header=BB1553_730 Depth=2
	ds_load_u8 v4, v10 offset:3072
	s_wait_dscnt 0x0
	v_lshrrev_b32_e32 v4, s49, v4
	s_delay_alu instid0(VALU_DEP_1)
	v_and_b32_e32 v125, s58, v4
	s_or_b32 exec_lo, exec_lo, s34
	s_and_saveexec_b32 s34, s27
	s_cbranch_execz .LBB1553_846
.LBB1553_916:                           ;   in Loop: Header=BB1553_730 Depth=2
	ds_load_u8 v4, v10 offset:3328
	s_wait_dscnt 0x0
	v_lshrrev_b32_e32 v4, s49, v4
	s_delay_alu instid0(VALU_DEP_1)
	v_and_b32_e32 v124, s58, v4
	s_or_b32 exec_lo, exec_lo, s34
	s_and_saveexec_b32 s34, s28
	s_cbranch_execz .LBB1553_847
.LBB1553_917:                           ;   in Loop: Header=BB1553_730 Depth=2
	ds_load_u8 v4, v10 offset:3584
	s_wait_dscnt 0x0
	v_lshrrev_b32_e32 v4, s49, v4
	s_delay_alu instid0(VALU_DEP_1)
	v_and_b32_e32 v123, s58, v4
	s_or_b32 exec_lo, exec_lo, s34
	s_and_saveexec_b32 s34, s29
	s_cbranch_execz .LBB1553_848
.LBB1553_918:                           ;   in Loop: Header=BB1553_730 Depth=2
	ds_load_u8 v4, v10 offset:3840
	s_wait_dscnt 0x0
	v_lshrrev_b32_e32 v4, s49, v4
	s_delay_alu instid0(VALU_DEP_1)
	v_and_b32_e32 v122, s58, v4
	s_or_b32 exec_lo, exec_lo, s34
	s_and_saveexec_b32 s34, s30
	s_cbranch_execz .LBB1553_849
.LBB1553_919:                           ;   in Loop: Header=BB1553_730 Depth=2
	ds_load_u8 v4, v10 offset:4096
	s_wait_dscnt 0x0
	v_lshrrev_b32_e32 v4, s49, v4
	s_delay_alu instid0(VALU_DEP_1)
	v_and_b32_e32 v121, s58, v4
	s_or_b32 exec_lo, exec_lo, s34
	s_and_saveexec_b32 s34, s31
	s_cbranch_execz .LBB1553_850
.LBB1553_920:                           ;   in Loop: Header=BB1553_730 Depth=2
	ds_load_u8 v4, v10 offset:4352
	s_wait_dscnt 0x0
	v_lshrrev_b32_e32 v4, s49, v4
	s_delay_alu instid0(VALU_DEP_1)
	v_and_b32_e32 v120, s58, v4
	s_or_b32 exec_lo, exec_lo, s34
	s_and_saveexec_b32 s34, s33
	s_cbranch_execnz .LBB1553_851
	s_branch .LBB1553_852
.LBB1553_921:                           ;   in Loop: Header=BB1553_730 Depth=2
	v_dual_lshlrev_b32 v4, 2, v135 :: v_dual_add_nc_u32 v5, v10, v100
	ds_load_b32 v6, v4
	ds_load_b64 v[4:5], v5 offset:512
	s_wait_dscnt 0x1
	v_add_nc_u32_e32 v6, v6, v10
	s_wait_dscnt 0x0
	global_store_b64 v6, v[4:5], s[44:45] scale_offset
	s_wait_xcnt 0x0
	s_or_b32 exec_lo, exec_lo, s34
	s_and_saveexec_b32 s34, s17
	s_cbranch_execz .LBB1553_854
.LBB1553_922:                           ;   in Loop: Header=BB1553_730 Depth=2
	v_dual_lshlrev_b32 v4, 2, v134 :: v_dual_add_nc_u32 v5, v10, v100
	ds_load_b32 v6, v4
	ds_load_b64 v[4:5], v5 offset:2560
	s_wait_dscnt 0x1
	v_add_nc_u32_e32 v6, v6, v72
	s_wait_dscnt 0x0
	global_store_b64 v6, v[4:5], s[44:45] scale_offset
	s_wait_xcnt 0x0
	s_or_b32 exec_lo, exec_lo, s34
	s_and_saveexec_b32 s17, s18
	s_cbranch_execz .LBB1553_855
.LBB1553_923:                           ;   in Loop: Header=BB1553_730 Depth=2
	v_dual_lshlrev_b32 v4, 2, v133 :: v_dual_add_nc_u32 v5, v10, v100
	ds_load_b32 v6, v4
	ds_load_b64 v[4:5], v5 offset:4608
	s_wait_dscnt 0x1
	v_add_nc_u32_e32 v6, v6, v73
	s_wait_dscnt 0x0
	global_store_b64 v6, v[4:5], s[44:45] scale_offset
	s_wait_xcnt 0x0
	s_or_b32 exec_lo, exec_lo, s17
	s_and_saveexec_b32 s17, s19
	s_cbranch_execz .LBB1553_856
.LBB1553_924:                           ;   in Loop: Header=BB1553_730 Depth=2
	v_lshlrev_b32_e32 v4, 2, v132
	v_add_nc_u32_e32 v5, v10, v100
	ds_load_b32 v6, v4
	ds_load_b64 v[4:5], v5 offset:6656
	s_wait_dscnt 0x1
	v_add_nc_u32_e32 v6, v6, v74
	s_wait_dscnt 0x0
	global_store_b64 v6, v[4:5], s[44:45] scale_offset
	s_wait_xcnt 0x0
	s_or_b32 exec_lo, exec_lo, s17
	s_and_saveexec_b32 s17, s20
	s_cbranch_execz .LBB1553_857
.LBB1553_925:                           ;   in Loop: Header=BB1553_730 Depth=2
	v_dual_lshlrev_b32 v4, 2, v131 :: v_dual_add_nc_u32 v5, v10, v100
	ds_load_b32 v6, v4
	ds_load_b64 v[4:5], v5 offset:8704
	s_wait_dscnt 0x1
	v_add_nc_u32_e32 v6, v6, v75
	s_wait_dscnt 0x0
	global_store_b64 v6, v[4:5], s[44:45] scale_offset
	s_wait_xcnt 0x0
	s_or_b32 exec_lo, exec_lo, s17
	s_and_saveexec_b32 s17, s21
	s_cbranch_execz .LBB1553_858
.LBB1553_926:                           ;   in Loop: Header=BB1553_730 Depth=2
	v_dual_lshlrev_b32 v4, 2, v130 :: v_dual_add_nc_u32 v5, v10, v100
	ds_load_b32 v6, v4
	ds_load_b64 v[4:5], v5 offset:10752
	s_wait_dscnt 0x1
	v_add_nc_u32_e32 v6, v6, v76
	s_wait_dscnt 0x0
	global_store_b64 v6, v[4:5], s[44:45] scale_offset
	s_wait_xcnt 0x0
	s_or_b32 exec_lo, exec_lo, s17
	s_and_saveexec_b32 s17, s22
	s_cbranch_execz .LBB1553_859
.LBB1553_927:                           ;   in Loop: Header=BB1553_730 Depth=2
	v_dual_lshlrev_b32 v4, 2, v129 :: v_dual_add_nc_u32 v5, v10, v100
	ds_load_b32 v6, v4
	ds_load_b64 v[4:5], v5 offset:12800
	s_wait_dscnt 0x1
	v_add_nc_u32_e32 v6, v6, v77
	s_wait_dscnt 0x0
	global_store_b64 v6, v[4:5], s[44:45] scale_offset
	s_wait_xcnt 0x0
	s_or_b32 exec_lo, exec_lo, s17
	s_and_saveexec_b32 s17, s23
	s_cbranch_execz .LBB1553_860
.LBB1553_928:                           ;   in Loop: Header=BB1553_730 Depth=2
	v_lshlrev_b32_e32 v4, 2, v128
	v_add_nc_u32_e32 v5, v10, v100
	ds_load_b32 v6, v4
	ds_load_b64 v[4:5], v5 offset:14848
	s_wait_dscnt 0x1
	v_add_nc_u32_e32 v6, v6, v78
	s_wait_dscnt 0x0
	global_store_b64 v6, v[4:5], s[44:45] scale_offset
	s_wait_xcnt 0x0
	s_or_b32 exec_lo, exec_lo, s17
	s_and_saveexec_b32 s17, s24
	s_cbranch_execz .LBB1553_861
.LBB1553_929:                           ;   in Loop: Header=BB1553_730 Depth=2
	v_dual_lshlrev_b32 v4, 2, v127 :: v_dual_add_nc_u32 v5, v10, v100
	ds_load_b32 v6, v4
	ds_load_b64 v[4:5], v5 offset:16896
	s_wait_dscnt 0x1
	v_add_nc_u32_e32 v6, v6, v79
	s_wait_dscnt 0x0
	global_store_b64 v6, v[4:5], s[44:45] scale_offset
	s_wait_xcnt 0x0
	s_or_b32 exec_lo, exec_lo, s17
	s_and_saveexec_b32 s17, s25
	s_cbranch_execz .LBB1553_862
.LBB1553_930:                           ;   in Loop: Header=BB1553_730 Depth=2
	v_dual_lshlrev_b32 v4, 2, v126 :: v_dual_add_nc_u32 v5, v10, v100
	ds_load_b32 v6, v4
	ds_load_b64 v[4:5], v5 offset:18944
	s_wait_dscnt 0x1
	v_add_nc_u32_e32 v6, v6, v80
	s_wait_dscnt 0x0
	global_store_b64 v6, v[4:5], s[44:45] scale_offset
	s_wait_xcnt 0x0
	s_or_b32 exec_lo, exec_lo, s17
	s_and_saveexec_b32 s17, s26
	s_cbranch_execz .LBB1553_863
.LBB1553_931:                           ;   in Loop: Header=BB1553_730 Depth=2
	v_dual_lshlrev_b32 v4, 2, v125 :: v_dual_add_nc_u32 v5, v10, v100
	ds_load_b32 v6, v4
	ds_load_b64 v[4:5], v5 offset:20992
	s_wait_dscnt 0x1
	v_add_nc_u32_e32 v6, v6, v81
	s_wait_dscnt 0x0
	global_store_b64 v6, v[4:5], s[44:45] scale_offset
	s_wait_xcnt 0x0
	s_or_b32 exec_lo, exec_lo, s17
	s_and_saveexec_b32 s17, s27
	s_cbranch_execz .LBB1553_864
.LBB1553_932:                           ;   in Loop: Header=BB1553_730 Depth=2
	v_lshlrev_b32_e32 v4, 2, v124
	v_add_nc_u32_e32 v5, v10, v100
	ds_load_b32 v6, v4
	ds_load_b64 v[4:5], v5 offset:23040
	s_wait_dscnt 0x1
	v_add_nc_u32_e32 v6, v6, v82
	s_wait_dscnt 0x0
	global_store_b64 v6, v[4:5], s[44:45] scale_offset
	s_wait_xcnt 0x0
	s_or_b32 exec_lo, exec_lo, s17
	s_and_saveexec_b32 s17, s28
	s_cbranch_execz .LBB1553_865
.LBB1553_933:                           ;   in Loop: Header=BB1553_730 Depth=2
	v_dual_lshlrev_b32 v4, 2, v123 :: v_dual_add_nc_u32 v5, v10, v100
	ds_load_b32 v6, v4
	ds_load_b64 v[4:5], v5 offset:25088
	s_wait_dscnt 0x1
	v_add_nc_u32_e32 v6, v6, v83
	s_wait_dscnt 0x0
	global_store_b64 v6, v[4:5], s[44:45] scale_offset
	s_wait_xcnt 0x0
	s_or_b32 exec_lo, exec_lo, s17
	s_and_saveexec_b32 s17, s29
	s_cbranch_execz .LBB1553_866
.LBB1553_934:                           ;   in Loop: Header=BB1553_730 Depth=2
	v_dual_lshlrev_b32 v4, 2, v122 :: v_dual_add_nc_u32 v5, v10, v100
	ds_load_b32 v6, v4
	ds_load_b64 v[4:5], v5 offset:27136
	s_wait_dscnt 0x1
	v_add_nc_u32_e32 v6, v6, v84
	s_wait_dscnt 0x0
	global_store_b64 v6, v[4:5], s[44:45] scale_offset
	s_wait_xcnt 0x0
	s_or_b32 exec_lo, exec_lo, s17
	s_and_saveexec_b32 s17, s30
	s_cbranch_execz .LBB1553_867
.LBB1553_935:                           ;   in Loop: Header=BB1553_730 Depth=2
	v_dual_lshlrev_b32 v4, 2, v121 :: v_dual_add_nc_u32 v5, v10, v100
	ds_load_b32 v6, v4
	ds_load_b64 v[4:5], v5 offset:29184
	s_wait_dscnt 0x1
	v_add_nc_u32_e32 v6, v6, v85
	s_wait_dscnt 0x0
	global_store_b64 v6, v[4:5], s[44:45] scale_offset
	s_wait_xcnt 0x0
	s_or_b32 exec_lo, exec_lo, s17
	s_and_saveexec_b32 s17, s31
	s_cbranch_execz .LBB1553_868
.LBB1553_936:                           ;   in Loop: Header=BB1553_730 Depth=2
	v_lshlrev_b32_e32 v4, 2, v120
	v_add_nc_u32_e32 v5, v10, v100
	ds_load_b32 v6, v4
	ds_load_b64 v[4:5], v5 offset:31232
	s_wait_dscnt 0x1
	v_add_nc_u32_e32 v6, v6, v86
	s_wait_dscnt 0x0
	global_store_b64 v6, v[4:5], s[44:45] scale_offset
	s_wait_xcnt 0x0
	s_or_b32 exec_lo, exec_lo, s17
	s_and_saveexec_b32 s17, s33
	s_cbranch_execnz .LBB1553_869
	s_branch .LBB1553_870
.LBB1553_937:                           ;   in Loop: Header=BB1553_730 Depth=2
	global_load_u8 v4, v[70:71], off
	v_dual_mov_b32 v5, v2 :: v_dual_mov_b32 v6, v2
	v_dual_mov_b32 v7, v2 :: v_dual_mov_b32 v8, v2
	s_wait_xcnt 0x0
	s_or_b32 exec_lo, exec_lo, s17
	s_delay_alu instid0(SALU_CYCLE_1)
	s_mov_b32 s17, exec_lo
	v_cmpx_gt_u32_e64 s59, v103
	s_cbranch_execz .LBB1553_735
.LBB1553_938:                           ;   in Loop: Header=BB1553_730 Depth=2
	global_load_u8 v3, v[70:71], off offset:32
	v_and_b32_e32 v8, 0xff, v8
	s_wait_loadcnt 0x0
	v_perm_b32 v4, v4, v3, 0x7060004
	s_wait_xcnt 0x0
	s_or_b32 exec_lo, exec_lo, s17
	s_delay_alu instid0(SALU_CYCLE_1)
	s_mov_b32 s17, exec_lo
	v_cmpx_gt_u32_e64 s59, v104
	s_cbranch_execz .LBB1553_736
.LBB1553_939:                           ;   in Loop: Header=BB1553_730 Depth=2
	global_load_u8 v3, v[70:71], off offset:64
	v_and_b32_e32 v8, 0xff, v8
	s_wait_loadcnt 0x0
	v_perm_b32 v4, v4, v3, 0x7000504
	s_wait_xcnt 0x0
	s_or_b32 exec_lo, exec_lo, s17
	s_delay_alu instid0(SALU_CYCLE_1)
	s_mov_b32 s17, exec_lo
	v_cmpx_gt_u32_e64 s59, v105
	s_cbranch_execz .LBB1553_737
.LBB1553_940:                           ;   in Loop: Header=BB1553_730 Depth=2
	global_load_u8 v3, v[70:71], off offset:96
	v_and_b32_e32 v8, 0xff, v8
	s_wait_loadcnt 0x0
	v_perm_b32 v4, v4, v3, 0x60504
	s_wait_xcnt 0x0
	s_or_b32 exec_lo, exec_lo, s17
	s_delay_alu instid0(SALU_CYCLE_1)
	s_mov_b32 s17, exec_lo
	v_cmpx_gt_u32_e64 s59, v106
	s_cbranch_execz .LBB1553_738
.LBB1553_941:                           ;   in Loop: Header=BB1553_730 Depth=2
	global_load_u8 v3, v[70:71], off offset:128
	v_and_b32_e32 v8, 0xff, v8
	s_wait_loadcnt 0x0
	v_perm_b32 v5, v3, v5, 0x3020104
	s_wait_xcnt 0x0
	s_or_b32 exec_lo, exec_lo, s17
	s_delay_alu instid0(SALU_CYCLE_1)
	s_mov_b32 s17, exec_lo
	v_cmpx_gt_u32_e64 s59, v107
	s_cbranch_execz .LBB1553_739
.LBB1553_942:                           ;   in Loop: Header=BB1553_730 Depth=2
	global_load_u8 v3, v[70:71], off offset:160
	v_and_b32_e32 v8, 0xff, v8
	s_wait_loadcnt 0x0
	v_perm_b32 v5, v5, v3, 0x7060004
	s_wait_xcnt 0x0
	s_or_b32 exec_lo, exec_lo, s17
	s_delay_alu instid0(SALU_CYCLE_1)
	s_mov_b32 s17, exec_lo
	v_cmpx_gt_u32_e64 s59, v108
	s_cbranch_execz .LBB1553_740
.LBB1553_943:                           ;   in Loop: Header=BB1553_730 Depth=2
	global_load_u8 v3, v[70:71], off offset:192
	v_and_b32_e32 v8, 0xff, v8
	s_wait_loadcnt 0x0
	v_perm_b32 v5, v5, v3, 0x7000504
	s_wait_xcnt 0x0
	s_or_b32 exec_lo, exec_lo, s17
	s_delay_alu instid0(SALU_CYCLE_1)
	s_mov_b32 s17, exec_lo
	v_cmpx_gt_u32_e64 s59, v109
	s_cbranch_execz .LBB1553_741
.LBB1553_944:                           ;   in Loop: Header=BB1553_730 Depth=2
	global_load_u8 v3, v[70:71], off offset:224
	v_and_b32_e32 v8, 0xff, v8
	s_wait_loadcnt 0x0
	v_perm_b32 v5, v5, v3, 0x60504
	s_wait_xcnt 0x0
	s_or_b32 exec_lo, exec_lo, s17
	s_delay_alu instid0(SALU_CYCLE_1)
	s_mov_b32 s17, exec_lo
	v_cmpx_gt_u32_e64 s59, v110
	s_cbranch_execz .LBB1553_742
.LBB1553_945:                           ;   in Loop: Header=BB1553_730 Depth=2
	global_load_u8 v3, v[70:71], off offset:256
	v_and_b32_e32 v8, 0xff, v8
	s_wait_loadcnt 0x0
	v_perm_b32 v6, v3, v6, 0x3020104
	s_wait_xcnt 0x0
	s_or_b32 exec_lo, exec_lo, s17
	s_delay_alu instid0(SALU_CYCLE_1)
	s_mov_b32 s17, exec_lo
	v_cmpx_gt_u32_e64 s59, v111
	s_cbranch_execz .LBB1553_743
.LBB1553_946:                           ;   in Loop: Header=BB1553_730 Depth=2
	global_load_u8 v3, v[70:71], off offset:288
	v_and_b32_e32 v8, 0xff, v8
	s_wait_loadcnt 0x0
	v_perm_b32 v6, v6, v3, 0x7060004
	s_wait_xcnt 0x0
	s_or_b32 exec_lo, exec_lo, s17
	s_delay_alu instid0(SALU_CYCLE_1)
	s_mov_b32 s17, exec_lo
	v_cmpx_gt_u32_e64 s59, v112
	s_cbranch_execz .LBB1553_744
.LBB1553_947:                           ;   in Loop: Header=BB1553_730 Depth=2
	global_load_u8 v3, v[70:71], off offset:320
	v_and_b32_e32 v8, 0xff, v8
	s_wait_loadcnt 0x0
	v_perm_b32 v6, v6, v3, 0x7000504
	s_wait_xcnt 0x0
	s_or_b32 exec_lo, exec_lo, s17
	s_delay_alu instid0(SALU_CYCLE_1)
	s_mov_b32 s17, exec_lo
	v_cmpx_gt_u32_e64 s59, v113
	s_cbranch_execz .LBB1553_745
.LBB1553_948:                           ;   in Loop: Header=BB1553_730 Depth=2
	global_load_u8 v3, v[70:71], off offset:352
	v_and_b32_e32 v8, 0xff, v8
	s_wait_loadcnt 0x0
	v_perm_b32 v6, v6, v3, 0x60504
	s_wait_xcnt 0x0
	s_or_b32 exec_lo, exec_lo, s17
	s_delay_alu instid0(SALU_CYCLE_1)
	s_mov_b32 s17, exec_lo
	v_cmpx_gt_u32_e64 s59, v114
	s_cbranch_execz .LBB1553_746
.LBB1553_949:                           ;   in Loop: Header=BB1553_730 Depth=2
	global_load_u8 v3, v[70:71], off offset:384
	v_and_b32_e32 v8, 0xff, v8
	s_wait_loadcnt 0x0
	v_perm_b32 v7, v3, v7, 0x3020104
	s_wait_xcnt 0x0
	s_or_b32 exec_lo, exec_lo, s17
	s_delay_alu instid0(SALU_CYCLE_1)
	s_mov_b32 s17, exec_lo
	v_cmpx_gt_u32_e64 s59, v115
	s_cbranch_execz .LBB1553_747
.LBB1553_950:                           ;   in Loop: Header=BB1553_730 Depth=2
	global_load_u8 v3, v[70:71], off offset:416
	v_and_b32_e32 v8, 0xff, v8
	s_wait_loadcnt 0x0
	v_perm_b32 v7, v7, v3, 0x7060004
	s_wait_xcnt 0x0
	s_or_b32 exec_lo, exec_lo, s17
	s_delay_alu instid0(SALU_CYCLE_1)
	s_mov_b32 s17, exec_lo
	v_cmpx_gt_u32_e64 s59, v116
	s_cbranch_execz .LBB1553_748
.LBB1553_951:                           ;   in Loop: Header=BB1553_730 Depth=2
	global_load_u8 v3, v[70:71], off offset:448
	v_and_b32_e32 v8, 0xff, v8
	s_wait_loadcnt 0x0
	v_perm_b32 v7, v7, v3, 0x7000504
	s_wait_xcnt 0x0
	s_or_b32 exec_lo, exec_lo, s17
	s_delay_alu instid0(SALU_CYCLE_1)
	s_mov_b32 s17, exec_lo
	v_cmpx_gt_u32_e64 s59, v117
	s_cbranch_execnz .LBB1553_749
	s_branch .LBB1553_750
.LBB1553_952:                           ;   in Loop: Header=BB1553_20 Depth=1
	s_wait_dscnt 0x0
	s_barrier_signal -1
	s_mov_b32 s8, 0
	s_barrier_wait -1
.LBB1553_953:                           ;   in Loop: Header=BB1553_20 Depth=1
	s_and_b32 vcc_lo, exec_lo, s8
	s_cbranch_vccz .LBB1553_19
; %bb.954:                              ;   in Loop: Header=BB1553_20 Depth=1
	v_dual_mov_b32 v40, 0 :: v_dual_mov_b32 v43, 0
	v_dual_mov_b32 v42, 0 :: v_dual_mov_b32 v41, 0
	;; [unrolled: 1-line block ×8, first 2 shown]
	v_mov_b32_e32 v3, 0
	s_mov_b32 s8, s56
	s_mov_b32 s42, s54
	s_barrier_signal -1
	s_barrier_wait -1
	s_branch .LBB1553_956
.LBB1553_955:                           ;   in Loop: Header=BB1553_956 Depth=2
	s_or_b32 exec_lo, exec_lo, s10
	s_addk_co_i32 s8, 0xef00
	s_cmp_ge_u32 s9, s51
	s_mov_b32 s42, s9
	s_cbranch_scc1 .LBB1553_1028
.LBB1553_956:                           ;   Parent Loop BB1553_20 Depth=1
                                        ; =>  This Inner Loop Header: Depth=2
	s_add_co_i32 s9, s42, 0x1100
	s_mov_b32 s10, -1
	s_cmp_gt_u32 s9, s51
                                        ; implicit-def: $vgpr4
                                        ; implicit-def: $vgpr5
                                        ; implicit-def: $vgpr44
                                        ; implicit-def: $vgpr45
                                        ; implicit-def: $vgpr46
                                        ; implicit-def: $vgpr47
                                        ; implicit-def: $vgpr48
                                        ; implicit-def: $vgpr49
                                        ; implicit-def: $vgpr50
                                        ; implicit-def: $vgpr51
                                        ; implicit-def: $vgpr52
                                        ; implicit-def: $vgpr53
                                        ; implicit-def: $vgpr54
                                        ; implicit-def: $vgpr55
                                        ; implicit-def: $vgpr56
                                        ; implicit-def: $vgpr57
                                        ; implicit-def: $vgpr58
	s_cbranch_scc1 .LBB1553_958
; %bb.957:                              ;   in Loop: Header=BB1553_956 Depth=2
	v_add_nc_u64_e32 v[60:61], s[42:43], v[24:25]
	s_mov_b32 s10, 0
	s_clause 0x10
	global_load_u8 v58, v[60:61], off offset:4096
	global_load_u8 v57, v[60:61], off offset:3840
	;; [unrolled: 1-line block ×16, first 2 shown]
	global_load_u8 v4, v[60:61], off
.LBB1553_958:                           ;   in Loop: Header=BB1553_956 Depth=2
	s_and_not1_b32 vcc_lo, exec_lo, s10
	s_movk_i32 s10, 0x1100
	s_cbranch_vccnz .LBB1553_978
; %bb.959:                              ;   in Loop: Header=BB1553_956 Depth=2
	s_add_nc_u64 s[10:11], s[36:37], s[42:43]
	s_wait_loadcnt 0x0
	v_add_nc_u64_e32 v[4:5], s[10:11], v[10:11]
	s_mov_b32 s10, exec_lo
	s_wait_xcnt 0x0
	v_cmpx_gt_u32_e64 s8, v10
	s_cbranch_execnz .LBB1553_1012
; %bb.960:                              ;   in Loop: Header=BB1553_956 Depth=2
	s_or_b32 exec_lo, exec_lo, s10
	s_delay_alu instid0(SALU_CYCLE_1)
	s_mov_b32 s10, exec_lo
	v_cmpx_gt_u32_e64 s8, v72
	s_cbranch_execnz .LBB1553_1013
.LBB1553_961:                           ;   in Loop: Header=BB1553_956 Depth=2
	s_or_b32 exec_lo, exec_lo, s10
	s_delay_alu instid0(SALU_CYCLE_1)
	s_mov_b32 s10, exec_lo
	v_cmpx_gt_u32_e64 s8, v73
	s_cbranch_execnz .LBB1553_1014
.LBB1553_962:                           ;   in Loop: Header=BB1553_956 Depth=2
	s_or_b32 exec_lo, exec_lo, s10
	s_delay_alu instid0(SALU_CYCLE_1)
	s_mov_b32 s10, exec_lo
	v_cmpx_gt_u32_e64 s8, v74
	s_cbranch_execnz .LBB1553_1015
.LBB1553_963:                           ;   in Loop: Header=BB1553_956 Depth=2
	s_or_b32 exec_lo, exec_lo, s10
	s_delay_alu instid0(SALU_CYCLE_1)
	s_mov_b32 s10, exec_lo
	v_cmpx_gt_u32_e64 s8, v75
	s_cbranch_execnz .LBB1553_1016
.LBB1553_964:                           ;   in Loop: Header=BB1553_956 Depth=2
	s_or_b32 exec_lo, exec_lo, s10
	s_delay_alu instid0(SALU_CYCLE_1)
	s_mov_b32 s10, exec_lo
	v_cmpx_gt_u32_e64 s8, v76
	s_cbranch_execnz .LBB1553_1017
.LBB1553_965:                           ;   in Loop: Header=BB1553_956 Depth=2
	s_or_b32 exec_lo, exec_lo, s10
	s_delay_alu instid0(SALU_CYCLE_1)
	s_mov_b32 s10, exec_lo
	v_cmpx_gt_u32_e64 s8, v77
	s_cbranch_execnz .LBB1553_1018
.LBB1553_966:                           ;   in Loop: Header=BB1553_956 Depth=2
	s_or_b32 exec_lo, exec_lo, s10
	s_delay_alu instid0(SALU_CYCLE_1)
	s_mov_b32 s10, exec_lo
	v_cmpx_gt_u32_e64 s8, v78
	s_cbranch_execnz .LBB1553_1019
.LBB1553_967:                           ;   in Loop: Header=BB1553_956 Depth=2
	s_or_b32 exec_lo, exec_lo, s10
	s_delay_alu instid0(SALU_CYCLE_1)
	s_mov_b32 s10, exec_lo
	v_cmpx_gt_u32_e64 s8, v79
	s_cbranch_execnz .LBB1553_1020
.LBB1553_968:                           ;   in Loop: Header=BB1553_956 Depth=2
	s_or_b32 exec_lo, exec_lo, s10
	s_delay_alu instid0(SALU_CYCLE_1)
	s_mov_b32 s10, exec_lo
	v_cmpx_gt_u32_e64 s8, v80
	s_cbranch_execnz .LBB1553_1021
.LBB1553_969:                           ;   in Loop: Header=BB1553_956 Depth=2
	s_or_b32 exec_lo, exec_lo, s10
	s_delay_alu instid0(SALU_CYCLE_1)
	s_mov_b32 s10, exec_lo
	v_cmpx_gt_u32_e64 s8, v81
	s_cbranch_execnz .LBB1553_1022
.LBB1553_970:                           ;   in Loop: Header=BB1553_956 Depth=2
	s_or_b32 exec_lo, exec_lo, s10
	s_delay_alu instid0(SALU_CYCLE_1)
	s_mov_b32 s10, exec_lo
	v_cmpx_gt_u32_e64 s8, v82
	s_cbranch_execnz .LBB1553_1023
.LBB1553_971:                           ;   in Loop: Header=BB1553_956 Depth=2
	s_or_b32 exec_lo, exec_lo, s10
	s_delay_alu instid0(SALU_CYCLE_1)
	s_mov_b32 s10, exec_lo
	v_cmpx_gt_u32_e64 s8, v83
	s_cbranch_execnz .LBB1553_1024
.LBB1553_972:                           ;   in Loop: Header=BB1553_956 Depth=2
	s_or_b32 exec_lo, exec_lo, s10
	s_delay_alu instid0(SALU_CYCLE_1)
	s_mov_b32 s10, exec_lo
	v_cmpx_gt_u32_e64 s8, v84
	s_cbranch_execnz .LBB1553_1025
.LBB1553_973:                           ;   in Loop: Header=BB1553_956 Depth=2
	s_or_b32 exec_lo, exec_lo, s10
	s_delay_alu instid0(SALU_CYCLE_1)
	s_mov_b32 s10, exec_lo
	v_cmpx_gt_u32_e64 s8, v85
	s_cbranch_execnz .LBB1553_1026
.LBB1553_974:                           ;   in Loop: Header=BB1553_956 Depth=2
	s_or_b32 exec_lo, exec_lo, s10
	s_delay_alu instid0(SALU_CYCLE_1)
	s_mov_b32 s10, exec_lo
	v_cmpx_gt_u32_e64 s8, v86
	s_cbranch_execnz .LBB1553_1027
.LBB1553_975:                           ;   in Loop: Header=BB1553_956 Depth=2
	s_or_b32 exec_lo, exec_lo, s10
	s_delay_alu instid0(SALU_CYCLE_1)
	s_mov_b32 s10, exec_lo
	v_cmpx_gt_u32_e64 s8, v87
	s_cbranch_execz .LBB1553_977
.LBB1553_976:                           ;   in Loop: Header=BB1553_956 Depth=2
	global_load_u8 v3, v[4:5], off offset:4096
.LBB1553_977:                           ;   in Loop: Header=BB1553_956 Depth=2
	s_wait_xcnt 0x0
	s_or_b32 exec_lo, exec_lo, s10
	s_wait_loadcnt 0x0
	v_dual_mov_b32 v4, v40 :: v_dual_mov_b32 v5, v43
	v_dual_mov_b32 v44, v42 :: v_dual_mov_b32 v45, v41
	;; [unrolled: 1-line block ×8, first 2 shown]
	v_mov_b32_e32 v58, v3
	s_mov_b32 s10, s8
.LBB1553_978:                           ;   in Loop: Header=BB1553_956 Depth=2
	s_wait_loadcnt 0xf
	s_delay_alu instid0(VALU_DEP_1)
	v_dual_mov_b32 v3, v58 :: v_dual_mov_b32 v6, v57
	s_wait_loadcnt 0xd
	v_dual_mov_b32 v7, v56 :: v_dual_mov_b32 v8, v55
	s_wait_loadcnt 0xb
	;; [unrolled: 2-line block ×8, first 2 shown]
	v_mov_b32_e32 v40, v4
	s_mov_b32 s11, exec_lo
	s_wait_xcnt 0x0
	v_cmpx_gt_u32_e64 s10, v10
	s_cbranch_execnz .LBB1553_995
; %bb.979:                              ;   in Loop: Header=BB1553_956 Depth=2
	s_or_b32 exec_lo, exec_lo, s11
	s_delay_alu instid0(SALU_CYCLE_1)
	s_mov_b32 s11, exec_lo
	v_cmpx_gt_u32_e64 s10, v72
	s_cbranch_execnz .LBB1553_996
.LBB1553_980:                           ;   in Loop: Header=BB1553_956 Depth=2
	s_or_b32 exec_lo, exec_lo, s11
	s_delay_alu instid0(SALU_CYCLE_1)
	s_mov_b32 s11, exec_lo
	v_cmpx_gt_u32_e64 s10, v73
	s_cbranch_execnz .LBB1553_997
.LBB1553_981:                           ;   in Loop: Header=BB1553_956 Depth=2
	s_or_b32 exec_lo, exec_lo, s11
	s_delay_alu instid0(SALU_CYCLE_1)
	s_mov_b32 s11, exec_lo
	v_cmpx_gt_u32_e64 s10, v74
	s_cbranch_execnz .LBB1553_998
.LBB1553_982:                           ;   in Loop: Header=BB1553_956 Depth=2
	s_or_b32 exec_lo, exec_lo, s11
	s_delay_alu instid0(SALU_CYCLE_1)
	s_mov_b32 s11, exec_lo
	v_cmpx_gt_u32_e64 s10, v75
	s_cbranch_execnz .LBB1553_999
.LBB1553_983:                           ;   in Loop: Header=BB1553_956 Depth=2
	s_or_b32 exec_lo, exec_lo, s11
	s_delay_alu instid0(SALU_CYCLE_1)
	s_mov_b32 s11, exec_lo
	v_cmpx_gt_u32_e64 s10, v76
	s_cbranch_execnz .LBB1553_1000
.LBB1553_984:                           ;   in Loop: Header=BB1553_956 Depth=2
	s_or_b32 exec_lo, exec_lo, s11
	s_delay_alu instid0(SALU_CYCLE_1)
	s_mov_b32 s11, exec_lo
	v_cmpx_gt_u32_e64 s10, v77
	s_cbranch_execnz .LBB1553_1001
.LBB1553_985:                           ;   in Loop: Header=BB1553_956 Depth=2
	s_or_b32 exec_lo, exec_lo, s11
	s_delay_alu instid0(SALU_CYCLE_1)
	s_mov_b32 s11, exec_lo
	v_cmpx_gt_u32_e64 s10, v78
	s_cbranch_execnz .LBB1553_1002
.LBB1553_986:                           ;   in Loop: Header=BB1553_956 Depth=2
	s_or_b32 exec_lo, exec_lo, s11
	s_delay_alu instid0(SALU_CYCLE_1)
	s_mov_b32 s11, exec_lo
	v_cmpx_gt_u32_e64 s10, v79
	s_cbranch_execnz .LBB1553_1003
.LBB1553_987:                           ;   in Loop: Header=BB1553_956 Depth=2
	s_or_b32 exec_lo, exec_lo, s11
	s_delay_alu instid0(SALU_CYCLE_1)
	s_mov_b32 s11, exec_lo
	v_cmpx_gt_u32_e64 s10, v80
	s_cbranch_execnz .LBB1553_1004
.LBB1553_988:                           ;   in Loop: Header=BB1553_956 Depth=2
	s_or_b32 exec_lo, exec_lo, s11
	s_delay_alu instid0(SALU_CYCLE_1)
	s_mov_b32 s11, exec_lo
	v_cmpx_gt_u32_e64 s10, v81
	s_cbranch_execnz .LBB1553_1005
.LBB1553_989:                           ;   in Loop: Header=BB1553_956 Depth=2
	s_or_b32 exec_lo, exec_lo, s11
	s_delay_alu instid0(SALU_CYCLE_1)
	s_mov_b32 s11, exec_lo
	v_cmpx_gt_u32_e64 s10, v82
	s_cbranch_execnz .LBB1553_1006
.LBB1553_990:                           ;   in Loop: Header=BB1553_956 Depth=2
	s_or_b32 exec_lo, exec_lo, s11
	s_delay_alu instid0(SALU_CYCLE_1)
	s_mov_b32 s11, exec_lo
	v_cmpx_gt_u32_e64 s10, v83
	s_cbranch_execnz .LBB1553_1007
.LBB1553_991:                           ;   in Loop: Header=BB1553_956 Depth=2
	s_or_b32 exec_lo, exec_lo, s11
	s_delay_alu instid0(SALU_CYCLE_1)
	s_mov_b32 s11, exec_lo
	v_cmpx_gt_u32_e64 s10, v84
	s_cbranch_execnz .LBB1553_1008
.LBB1553_992:                           ;   in Loop: Header=BB1553_956 Depth=2
	s_or_b32 exec_lo, exec_lo, s11
	s_delay_alu instid0(SALU_CYCLE_1)
	s_mov_b32 s11, exec_lo
	v_cmpx_gt_u32_e64 s10, v85
	s_cbranch_execnz .LBB1553_1009
.LBB1553_993:                           ;   in Loop: Header=BB1553_956 Depth=2
	s_or_b32 exec_lo, exec_lo, s11
	s_delay_alu instid0(SALU_CYCLE_1)
	s_mov_b32 s11, exec_lo
	v_cmpx_gt_u32_e64 s10, v86
	s_cbranch_execnz .LBB1553_1010
.LBB1553_994:                           ;   in Loop: Header=BB1553_956 Depth=2
	s_or_b32 exec_lo, exec_lo, s11
	v_cmp_gt_u32_e32 vcc_lo, s10, v87
	s_and_saveexec_b32 s10, vcc_lo
	s_cbranch_execz .LBB1553_955
	s_branch .LBB1553_1011
.LBB1553_995:                           ;   in Loop: Header=BB1553_956 Depth=2
	v_bitop3_b16 v4, v40, 1, v40 bitop3:0xc
	s_delay_alu instid0(VALU_DEP_1) | instskip(NEXT) | instid1(VALU_DEP_1)
	v_and_b32_e32 v4, 0xffff, v4
	v_lshrrev_b32_e32 v4, s49, v4
	s_delay_alu instid0(VALU_DEP_1) | instskip(NEXT) | instid1(VALU_DEP_1)
	v_and_b32_e32 v4, s58, v4
	v_lshl_or_b32 v4, v4, 4, v89
	ds_add_u32 v4, v15
	s_or_b32 exec_lo, exec_lo, s11
	s_delay_alu instid0(SALU_CYCLE_1)
	s_mov_b32 s11, exec_lo
	v_cmpx_gt_u32_e64 s10, v72
	s_cbranch_execz .LBB1553_980
.LBB1553_996:                           ;   in Loop: Header=BB1553_956 Depth=2
	v_bitop3_b16 v4, v43, 1, v43 bitop3:0xc
	s_delay_alu instid0(VALU_DEP_1) | instskip(NEXT) | instid1(VALU_DEP_1)
	v_and_b32_e32 v4, 0xffff, v4
	v_lshrrev_b32_e32 v4, s49, v4
	s_delay_alu instid0(VALU_DEP_1) | instskip(NEXT) | instid1(VALU_DEP_1)
	v_and_b32_e32 v4, s58, v4
	v_lshl_or_b32 v4, v4, 4, v89
	ds_add_u32 v4, v15
	s_or_b32 exec_lo, exec_lo, s11
	s_delay_alu instid0(SALU_CYCLE_1)
	s_mov_b32 s11, exec_lo
	v_cmpx_gt_u32_e64 s10, v73
	s_cbranch_execz .LBB1553_981
.LBB1553_997:                           ;   in Loop: Header=BB1553_956 Depth=2
	v_bitop3_b16 v4, v42, 1, v42 bitop3:0xc
	s_delay_alu instid0(VALU_DEP_1) | instskip(NEXT) | instid1(VALU_DEP_1)
	v_and_b32_e32 v4, 0xffff, v4
	v_lshrrev_b32_e32 v4, s49, v4
	s_delay_alu instid0(VALU_DEP_1) | instskip(NEXT) | instid1(VALU_DEP_1)
	v_and_b32_e32 v4, s58, v4
	v_lshl_or_b32 v4, v4, 4, v89
	ds_add_u32 v4, v15
	s_or_b32 exec_lo, exec_lo, s11
	s_delay_alu instid0(SALU_CYCLE_1)
	s_mov_b32 s11, exec_lo
	v_cmpx_gt_u32_e64 s10, v74
	s_cbranch_execz .LBB1553_982
.LBB1553_998:                           ;   in Loop: Header=BB1553_956 Depth=2
	v_bitop3_b16 v4, v41, 1, v41 bitop3:0xc
	s_delay_alu instid0(VALU_DEP_1) | instskip(NEXT) | instid1(VALU_DEP_1)
	v_and_b32_e32 v4, 0xffff, v4
	v_lshrrev_b32_e32 v4, s49, v4
	s_delay_alu instid0(VALU_DEP_1) | instskip(NEXT) | instid1(VALU_DEP_1)
	v_and_b32_e32 v4, s58, v4
	v_lshl_or_b32 v4, v4, 4, v89
	ds_add_u32 v4, v15
	s_or_b32 exec_lo, exec_lo, s11
	s_delay_alu instid0(SALU_CYCLE_1)
	s_mov_b32 s11, exec_lo
	v_cmpx_gt_u32_e64 s10, v75
	s_cbranch_execz .LBB1553_983
.LBB1553_999:                           ;   in Loop: Header=BB1553_956 Depth=2
	v_bitop3_b16 v4, v39, 1, v39 bitop3:0xc
	s_delay_alu instid0(VALU_DEP_1) | instskip(NEXT) | instid1(VALU_DEP_1)
	v_and_b32_e32 v4, 0xffff, v4
	v_lshrrev_b32_e32 v4, s49, v4
	s_delay_alu instid0(VALU_DEP_1) | instskip(NEXT) | instid1(VALU_DEP_1)
	v_and_b32_e32 v4, s58, v4
	v_lshl_or_b32 v4, v4, 4, v89
	ds_add_u32 v4, v15
	s_or_b32 exec_lo, exec_lo, s11
	s_delay_alu instid0(SALU_CYCLE_1)
	s_mov_b32 s11, exec_lo
	v_cmpx_gt_u32_e64 s10, v76
	s_cbranch_execz .LBB1553_984
.LBB1553_1000:                          ;   in Loop: Header=BB1553_956 Depth=2
	v_bitop3_b16 v4, v38, 1, v38 bitop3:0xc
	s_delay_alu instid0(VALU_DEP_1) | instskip(NEXT) | instid1(VALU_DEP_1)
	v_and_b32_e32 v4, 0xffff, v4
	v_lshrrev_b32_e32 v4, s49, v4
	s_delay_alu instid0(VALU_DEP_1) | instskip(NEXT) | instid1(VALU_DEP_1)
	v_and_b32_e32 v4, s58, v4
	v_lshl_or_b32 v4, v4, 4, v89
	ds_add_u32 v4, v15
	s_or_b32 exec_lo, exec_lo, s11
	s_delay_alu instid0(SALU_CYCLE_1)
	s_mov_b32 s11, exec_lo
	v_cmpx_gt_u32_e64 s10, v77
	s_cbranch_execz .LBB1553_985
.LBB1553_1001:                          ;   in Loop: Header=BB1553_956 Depth=2
	v_bitop3_b16 v4, v37, 1, v37 bitop3:0xc
	s_delay_alu instid0(VALU_DEP_1) | instskip(NEXT) | instid1(VALU_DEP_1)
	v_and_b32_e32 v4, 0xffff, v4
	v_lshrrev_b32_e32 v4, s49, v4
	s_delay_alu instid0(VALU_DEP_1) | instskip(NEXT) | instid1(VALU_DEP_1)
	v_and_b32_e32 v4, s58, v4
	v_lshl_or_b32 v4, v4, 4, v89
	ds_add_u32 v4, v15
	s_or_b32 exec_lo, exec_lo, s11
	s_delay_alu instid0(SALU_CYCLE_1)
	s_mov_b32 s11, exec_lo
	v_cmpx_gt_u32_e64 s10, v78
	s_cbranch_execz .LBB1553_986
.LBB1553_1002:                          ;   in Loop: Header=BB1553_956 Depth=2
	v_bitop3_b16 v4, v36, 1, v36 bitop3:0xc
	s_delay_alu instid0(VALU_DEP_1) | instskip(NEXT) | instid1(VALU_DEP_1)
	v_and_b32_e32 v4, 0xffff, v4
	v_lshrrev_b32_e32 v4, s49, v4
	s_delay_alu instid0(VALU_DEP_1) | instskip(NEXT) | instid1(VALU_DEP_1)
	v_and_b32_e32 v4, s58, v4
	v_lshl_or_b32 v4, v4, 4, v89
	ds_add_u32 v4, v15
	s_or_b32 exec_lo, exec_lo, s11
	s_delay_alu instid0(SALU_CYCLE_1)
	s_mov_b32 s11, exec_lo
	v_cmpx_gt_u32_e64 s10, v79
	s_cbranch_execz .LBB1553_987
.LBB1553_1003:                          ;   in Loop: Header=BB1553_956 Depth=2
	v_bitop3_b16 v4, v35, 1, v35 bitop3:0xc
	s_delay_alu instid0(VALU_DEP_1) | instskip(NEXT) | instid1(VALU_DEP_1)
	v_and_b32_e32 v4, 0xffff, v4
	v_lshrrev_b32_e32 v4, s49, v4
	s_delay_alu instid0(VALU_DEP_1) | instskip(NEXT) | instid1(VALU_DEP_1)
	v_and_b32_e32 v4, s58, v4
	v_lshl_or_b32 v4, v4, 4, v89
	ds_add_u32 v4, v15
	s_or_b32 exec_lo, exec_lo, s11
	s_delay_alu instid0(SALU_CYCLE_1)
	s_mov_b32 s11, exec_lo
	v_cmpx_gt_u32_e64 s10, v80
	s_cbranch_execz .LBB1553_988
.LBB1553_1004:                          ;   in Loop: Header=BB1553_956 Depth=2
	v_bitop3_b16 v4, v34, 1, v34 bitop3:0xc
	s_delay_alu instid0(VALU_DEP_1) | instskip(NEXT) | instid1(VALU_DEP_1)
	v_and_b32_e32 v4, 0xffff, v4
	v_lshrrev_b32_e32 v4, s49, v4
	s_delay_alu instid0(VALU_DEP_1) | instskip(NEXT) | instid1(VALU_DEP_1)
	v_and_b32_e32 v4, s58, v4
	v_lshl_or_b32 v4, v4, 4, v89
	ds_add_u32 v4, v15
	s_or_b32 exec_lo, exec_lo, s11
	s_delay_alu instid0(SALU_CYCLE_1)
	s_mov_b32 s11, exec_lo
	v_cmpx_gt_u32_e64 s10, v81
	s_cbranch_execz .LBB1553_989
.LBB1553_1005:                          ;   in Loop: Header=BB1553_956 Depth=2
	v_bitop3_b16 v4, v33, 1, v33 bitop3:0xc
	s_delay_alu instid0(VALU_DEP_1) | instskip(NEXT) | instid1(VALU_DEP_1)
	v_and_b32_e32 v4, 0xffff, v4
	v_lshrrev_b32_e32 v4, s49, v4
	s_delay_alu instid0(VALU_DEP_1) | instskip(NEXT) | instid1(VALU_DEP_1)
	v_and_b32_e32 v4, s58, v4
	v_lshl_or_b32 v4, v4, 4, v89
	ds_add_u32 v4, v15
	s_or_b32 exec_lo, exec_lo, s11
	s_delay_alu instid0(SALU_CYCLE_1)
	s_mov_b32 s11, exec_lo
	v_cmpx_gt_u32_e64 s10, v82
	s_cbranch_execz .LBB1553_990
.LBB1553_1006:                          ;   in Loop: Header=BB1553_956 Depth=2
	v_bitop3_b16 v4, v32, 1, v32 bitop3:0xc
	s_delay_alu instid0(VALU_DEP_1) | instskip(NEXT) | instid1(VALU_DEP_1)
	v_and_b32_e32 v4, 0xffff, v4
	v_lshrrev_b32_e32 v4, s49, v4
	s_delay_alu instid0(VALU_DEP_1) | instskip(NEXT) | instid1(VALU_DEP_1)
	v_and_b32_e32 v4, s58, v4
	v_lshl_or_b32 v4, v4, 4, v89
	ds_add_u32 v4, v15
	s_or_b32 exec_lo, exec_lo, s11
	s_delay_alu instid0(SALU_CYCLE_1)
	s_mov_b32 s11, exec_lo
	v_cmpx_gt_u32_e64 s10, v83
	s_cbranch_execz .LBB1553_991
.LBB1553_1007:                          ;   in Loop: Header=BB1553_956 Depth=2
	v_bitop3_b16 v4, v31, 1, v31 bitop3:0xc
	s_delay_alu instid0(VALU_DEP_1) | instskip(NEXT) | instid1(VALU_DEP_1)
	v_and_b32_e32 v4, 0xffff, v4
	v_lshrrev_b32_e32 v4, s49, v4
	s_delay_alu instid0(VALU_DEP_1) | instskip(NEXT) | instid1(VALU_DEP_1)
	v_and_b32_e32 v4, s58, v4
	v_lshl_or_b32 v4, v4, 4, v89
	ds_add_u32 v4, v15
	s_or_b32 exec_lo, exec_lo, s11
	s_delay_alu instid0(SALU_CYCLE_1)
	s_mov_b32 s11, exec_lo
	v_cmpx_gt_u32_e64 s10, v84
	s_cbranch_execz .LBB1553_992
.LBB1553_1008:                          ;   in Loop: Header=BB1553_956 Depth=2
	v_bitop3_b16 v4, v8, 1, v8 bitop3:0xc
	s_delay_alu instid0(VALU_DEP_1) | instskip(NEXT) | instid1(VALU_DEP_1)
	v_and_b32_e32 v4, 0xffff, v4
	v_lshrrev_b32_e32 v4, s49, v4
	s_delay_alu instid0(VALU_DEP_1) | instskip(NEXT) | instid1(VALU_DEP_1)
	v_and_b32_e32 v4, s58, v4
	v_lshl_or_b32 v4, v4, 4, v89
	ds_add_u32 v4, v15
	s_or_b32 exec_lo, exec_lo, s11
	s_delay_alu instid0(SALU_CYCLE_1)
	s_mov_b32 s11, exec_lo
	v_cmpx_gt_u32_e64 s10, v85
	s_cbranch_execz .LBB1553_993
.LBB1553_1009:                          ;   in Loop: Header=BB1553_956 Depth=2
	v_bitop3_b16 v4, v7, 1, v7 bitop3:0xc
	s_delay_alu instid0(VALU_DEP_1) | instskip(NEXT) | instid1(VALU_DEP_1)
	v_and_b32_e32 v4, 0xffff, v4
	v_lshrrev_b32_e32 v4, s49, v4
	s_delay_alu instid0(VALU_DEP_1) | instskip(NEXT) | instid1(VALU_DEP_1)
	v_and_b32_e32 v4, s58, v4
	v_lshl_or_b32 v4, v4, 4, v89
	ds_add_u32 v4, v15
	s_or_b32 exec_lo, exec_lo, s11
	s_delay_alu instid0(SALU_CYCLE_1)
	s_mov_b32 s11, exec_lo
	v_cmpx_gt_u32_e64 s10, v86
	s_cbranch_execz .LBB1553_994
.LBB1553_1010:                          ;   in Loop: Header=BB1553_956 Depth=2
	v_bitop3_b16 v4, v6, 1, v6 bitop3:0xc
	s_delay_alu instid0(VALU_DEP_1) | instskip(NEXT) | instid1(VALU_DEP_1)
	v_and_b32_e32 v4, 0xffff, v4
	v_lshrrev_b32_e32 v4, s49, v4
	s_delay_alu instid0(VALU_DEP_1) | instskip(NEXT) | instid1(VALU_DEP_1)
	v_and_b32_e32 v4, s58, v4
	v_lshl_or_b32 v4, v4, 4, v89
	ds_add_u32 v4, v15
	s_or_b32 exec_lo, exec_lo, s11
	v_cmp_gt_u32_e32 vcc_lo, s10, v87
	s_and_saveexec_b32 s10, vcc_lo
	s_cbranch_execz .LBB1553_955
.LBB1553_1011:                          ;   in Loop: Header=BB1553_956 Depth=2
	v_bitop3_b16 v4, v3, 1, v3 bitop3:0xc
	s_delay_alu instid0(VALU_DEP_1) | instskip(NEXT) | instid1(VALU_DEP_1)
	v_and_b32_e32 v4, 0xffff, v4
	v_lshrrev_b32_e32 v4, s49, v4
	s_delay_alu instid0(VALU_DEP_1) | instskip(NEXT) | instid1(VALU_DEP_1)
	v_and_b32_e32 v4, s58, v4
	v_lshl_or_b32 v4, v4, 4, v89
	ds_add_u32 v4, v15
	s_branch .LBB1553_955
.LBB1553_1012:                          ;   in Loop: Header=BB1553_956 Depth=2
	global_load_u8 v40, v[4:5], off
	s_wait_xcnt 0x0
	s_or_b32 exec_lo, exec_lo, s10
	s_delay_alu instid0(SALU_CYCLE_1)
	s_mov_b32 s10, exec_lo
	v_cmpx_gt_u32_e64 s8, v72
	s_cbranch_execz .LBB1553_961
.LBB1553_1013:                          ;   in Loop: Header=BB1553_956 Depth=2
	global_load_u8 v43, v[4:5], off offset:256
	s_wait_xcnt 0x0
	s_or_b32 exec_lo, exec_lo, s10
	s_delay_alu instid0(SALU_CYCLE_1)
	s_mov_b32 s10, exec_lo
	v_cmpx_gt_u32_e64 s8, v73
	s_cbranch_execz .LBB1553_962
.LBB1553_1014:                          ;   in Loop: Header=BB1553_956 Depth=2
	global_load_u8 v42, v[4:5], off offset:512
	s_wait_xcnt 0x0
	s_or_b32 exec_lo, exec_lo, s10
	s_delay_alu instid0(SALU_CYCLE_1)
	s_mov_b32 s10, exec_lo
	v_cmpx_gt_u32_e64 s8, v74
	s_cbranch_execz .LBB1553_963
.LBB1553_1015:                          ;   in Loop: Header=BB1553_956 Depth=2
	global_load_u8 v41, v[4:5], off offset:768
	s_wait_xcnt 0x0
	s_or_b32 exec_lo, exec_lo, s10
	s_delay_alu instid0(SALU_CYCLE_1)
	s_mov_b32 s10, exec_lo
	v_cmpx_gt_u32_e64 s8, v75
	s_cbranch_execz .LBB1553_964
.LBB1553_1016:                          ;   in Loop: Header=BB1553_956 Depth=2
	global_load_u8 v39, v[4:5], off offset:1024
	s_wait_xcnt 0x0
	s_or_b32 exec_lo, exec_lo, s10
	s_delay_alu instid0(SALU_CYCLE_1)
	s_mov_b32 s10, exec_lo
	v_cmpx_gt_u32_e64 s8, v76
	s_cbranch_execz .LBB1553_965
.LBB1553_1017:                          ;   in Loop: Header=BB1553_956 Depth=2
	global_load_u8 v38, v[4:5], off offset:1280
	s_wait_xcnt 0x0
	s_or_b32 exec_lo, exec_lo, s10
	s_delay_alu instid0(SALU_CYCLE_1)
	s_mov_b32 s10, exec_lo
	v_cmpx_gt_u32_e64 s8, v77
	s_cbranch_execz .LBB1553_966
.LBB1553_1018:                          ;   in Loop: Header=BB1553_956 Depth=2
	global_load_u8 v37, v[4:5], off offset:1536
	s_wait_xcnt 0x0
	s_or_b32 exec_lo, exec_lo, s10
	s_delay_alu instid0(SALU_CYCLE_1)
	s_mov_b32 s10, exec_lo
	v_cmpx_gt_u32_e64 s8, v78
	s_cbranch_execz .LBB1553_967
.LBB1553_1019:                          ;   in Loop: Header=BB1553_956 Depth=2
	global_load_u8 v36, v[4:5], off offset:1792
	s_wait_xcnt 0x0
	s_or_b32 exec_lo, exec_lo, s10
	s_delay_alu instid0(SALU_CYCLE_1)
	s_mov_b32 s10, exec_lo
	v_cmpx_gt_u32_e64 s8, v79
	s_cbranch_execz .LBB1553_968
.LBB1553_1020:                          ;   in Loop: Header=BB1553_956 Depth=2
	global_load_u8 v35, v[4:5], off offset:2048
	s_wait_xcnt 0x0
	s_or_b32 exec_lo, exec_lo, s10
	s_delay_alu instid0(SALU_CYCLE_1)
	s_mov_b32 s10, exec_lo
	v_cmpx_gt_u32_e64 s8, v80
	s_cbranch_execz .LBB1553_969
.LBB1553_1021:                          ;   in Loop: Header=BB1553_956 Depth=2
	global_load_u8 v34, v[4:5], off offset:2304
	s_wait_xcnt 0x0
	s_or_b32 exec_lo, exec_lo, s10
	s_delay_alu instid0(SALU_CYCLE_1)
	s_mov_b32 s10, exec_lo
	v_cmpx_gt_u32_e64 s8, v81
	s_cbranch_execz .LBB1553_970
.LBB1553_1022:                          ;   in Loop: Header=BB1553_956 Depth=2
	global_load_u8 v33, v[4:5], off offset:2560
	s_wait_xcnt 0x0
	s_or_b32 exec_lo, exec_lo, s10
	s_delay_alu instid0(SALU_CYCLE_1)
	s_mov_b32 s10, exec_lo
	v_cmpx_gt_u32_e64 s8, v82
	s_cbranch_execz .LBB1553_971
.LBB1553_1023:                          ;   in Loop: Header=BB1553_956 Depth=2
	global_load_u8 v32, v[4:5], off offset:2816
	s_wait_xcnt 0x0
	s_or_b32 exec_lo, exec_lo, s10
	s_delay_alu instid0(SALU_CYCLE_1)
	s_mov_b32 s10, exec_lo
	v_cmpx_gt_u32_e64 s8, v83
	s_cbranch_execz .LBB1553_972
.LBB1553_1024:                          ;   in Loop: Header=BB1553_956 Depth=2
	global_load_u8 v31, v[4:5], off offset:3072
	s_wait_xcnt 0x0
	s_or_b32 exec_lo, exec_lo, s10
	s_delay_alu instid0(SALU_CYCLE_1)
	s_mov_b32 s10, exec_lo
	v_cmpx_gt_u32_e64 s8, v84
	s_cbranch_execz .LBB1553_973
.LBB1553_1025:                          ;   in Loop: Header=BB1553_956 Depth=2
	global_load_u8 v8, v[4:5], off offset:3328
	s_wait_xcnt 0x0
	s_or_b32 exec_lo, exec_lo, s10
	s_delay_alu instid0(SALU_CYCLE_1)
	s_mov_b32 s10, exec_lo
	v_cmpx_gt_u32_e64 s8, v85
	s_cbranch_execz .LBB1553_974
.LBB1553_1026:                          ;   in Loop: Header=BB1553_956 Depth=2
	global_load_u8 v7, v[4:5], off offset:3584
	s_wait_xcnt 0x0
	s_or_b32 exec_lo, exec_lo, s10
	s_delay_alu instid0(SALU_CYCLE_1)
	s_mov_b32 s10, exec_lo
	v_cmpx_gt_u32_e64 s8, v86
	s_cbranch_execz .LBB1553_975
.LBB1553_1027:                          ;   in Loop: Header=BB1553_956 Depth=2
	global_load_u8 v6, v[4:5], off offset:3840
	s_wait_xcnt 0x0
	s_or_b32 exec_lo, exec_lo, s10
	s_delay_alu instid0(SALU_CYCLE_1)
	s_mov_b32 s10, exec_lo
	v_cmpx_gt_u32_e64 s8, v87
	s_cbranch_execnz .LBB1553_976
	s_branch .LBB1553_977
.LBB1553_1028:                          ;   in Loop: Header=BB1553_20 Depth=1
	v_mov_b32_e32 v3, 0
	s_wait_dscnt 0x0
	s_barrier_signal -1
	s_barrier_wait -1
	s_and_saveexec_b32 s8, s0
	s_cbranch_execz .LBB1553_1030
; %bb.1029:                             ;   in Loop: Header=BB1553_20 Depth=1
	ds_load_2addr_b64 v[4:7], v90 offset1:1
	s_wait_dscnt 0x0
	v_add_nc_u32_e32 v3, v5, v4
	s_delay_alu instid0(VALU_DEP_1)
	v_add3_u32 v3, v3, v6, v7
.LBB1553_1030:                          ;   in Loop: Header=BB1553_20 Depth=1
	s_or_b32 exec_lo, exec_lo, s8
	v_and_b32_e32 v4, 15, v30
	s_delay_alu instid0(VALU_DEP_2) | instskip(NEXT) | instid1(VALU_DEP_2)
	v_mov_b32_dpp v5, v3 row_shr:1 row_mask:0xf bank_mask:0xf
	v_cmp_eq_u32_e64 s8, 0, v4
	s_delay_alu instid0(VALU_DEP_1) | instskip(NEXT) | instid1(VALU_DEP_1)
	v_cndmask_b32_e64 v5, v5, 0, s8
	v_add_nc_u32_e32 v3, v5, v3
	v_cmp_lt_u32_e64 s9, 1, v4
	v_cmp_lt_u32_e64 s10, 3, v4
	;; [unrolled: 1-line block ×3, first 2 shown]
	s_delay_alu instid0(VALU_DEP_4) | instskip(NEXT) | instid1(VALU_DEP_1)
	v_mov_b32_dpp v5, v3 row_shr:2 row_mask:0xf bank_mask:0xf
	v_cndmask_b32_e64 v5, 0, v5, s9
	s_delay_alu instid0(VALU_DEP_1) | instskip(NEXT) | instid1(VALU_DEP_1)
	v_add_nc_u32_e32 v3, v3, v5
	v_mov_b32_dpp v5, v3 row_shr:4 row_mask:0xf bank_mask:0xf
	s_delay_alu instid0(VALU_DEP_1) | instskip(NEXT) | instid1(VALU_DEP_1)
	v_cndmask_b32_e64 v5, 0, v5, s10
	v_add_nc_u32_e32 v3, v3, v5
	s_delay_alu instid0(VALU_DEP_1) | instskip(NEXT) | instid1(VALU_DEP_1)
	v_mov_b32_dpp v5, v3 row_shr:8 row_mask:0xf bank_mask:0xf
	v_cndmask_b32_e64 v4, 0, v5, s11
	v_bfe_i32 v5, v30, 4, 1
	s_delay_alu instid0(VALU_DEP_2) | instskip(SKIP_3) | instid1(VALU_DEP_1)
	v_add_nc_u32_e32 v3, v3, v4
	ds_swizzle_b32 v4, v3 offset:swizzle(BROADCAST,32,15)
	s_wait_dscnt 0x0
	v_and_b32_e32 v4, v5, v4
	v_dual_add_nc_u32 v3, v3, v4 :: v_dual_bitop2_b32 v6, 16, v30 bitop3:0x40
	s_delay_alu instid0(VALU_DEP_1)
	v_cmp_eq_u32_e64 s12, 0, v6
	s_and_saveexec_b32 s13, s1
; %bb.1031:                             ;   in Loop: Header=BB1553_20 Depth=1
	ds_store_b32 v91, v3
; %bb.1032:                             ;   in Loop: Header=BB1553_20 Depth=1
	s_or_b32 exec_lo, exec_lo, s13
	s_wait_dscnt 0x0
	s_barrier_signal -1
	s_barrier_wait -1
	s_and_saveexec_b32 s13, s4
	s_cbranch_execz .LBB1553_1034
; %bb.1033:                             ;   in Loop: Header=BB1553_20 Depth=1
	ds_load_b32 v4, v92
	v_and_b32_e32 v5, 3, v30
	s_delay_alu instid0(VALU_DEP_1) | instskip(SKIP_2) | instid1(VALU_DEP_1)
	v_cmp_ne_u32_e32 vcc_lo, 0, v5
	s_wait_dscnt 0x0
	v_mov_b32_dpp v6, v4 row_shr:1 row_mask:0xf bank_mask:0xf
	v_cndmask_b32_e32 v6, 0, v6, vcc_lo
	s_delay_alu instid0(VALU_DEP_1) | instskip(SKIP_1) | instid1(VALU_DEP_2)
	v_add_nc_u32_e32 v4, v6, v4
	v_cmp_lt_u32_e32 vcc_lo, 1, v5
	v_mov_b32_dpp v6, v4 row_shr:2 row_mask:0xf bank_mask:0xf
	s_delay_alu instid0(VALU_DEP_1) | instskip(NEXT) | instid1(VALU_DEP_1)
	v_cndmask_b32_e32 v5, 0, v6, vcc_lo
	v_add_nc_u32_e32 v4, v4, v5
	ds_store_b32 v92, v4
.LBB1553_1034:                          ;   in Loop: Header=BB1553_20 Depth=1
	s_or_b32 exec_lo, exec_lo, s13
	v_mov_b32_e32 v4, 0
	s_wait_dscnt 0x0
	s_barrier_signal -1
	s_barrier_wait -1
	s_and_saveexec_b32 s13, s5
; %bb.1035:                             ;   in Loop: Header=BB1553_20 Depth=1
	ds_load_b32 v4, v93
; %bb.1036:                             ;   in Loop: Header=BB1553_20 Depth=1
	s_or_b32 exec_lo, exec_lo, s13
	v_sub_co_u32 v5, s13, v30, 1
	s_wait_dscnt 0x0
	s_barrier_signal -1
	s_barrier_wait -1
	s_delay_alu instid0(VALU_DEP_1) | instskip(SKIP_1) | instid1(VALU_DEP_1)
	v_cmp_gt_i32_e32 vcc_lo, 0, v5
	v_dual_add_nc_u32 v3, v4, v3 :: v_dual_cndmask_b32 v5, v5, v30, vcc_lo
	v_lshlrev_b32_e32 v101, 2, v5
	ds_bpermute_b32 v3, v101, v3
	s_and_saveexec_b32 s14, s0
	s_cbranch_execz .LBB1553_1038
; %bb.1037:                             ;   in Loop: Header=BB1553_20 Depth=1
	s_wait_dscnt 0x0
	v_cndmask_b32_e64 v3, v3, v4, s13
	s_delay_alu instid0(VALU_DEP_1)
	v_add_nc_u32_e32 v3, s54, v3
	ds_store_b32 v9, v3
.LBB1553_1038:                          ;   in Loop: Header=BB1553_20 Depth=1
	s_or_b32 exec_lo, exec_lo, s14
	s_load_b64 s[14:15], s[52:53], 0x0
	s_wait_dscnt 0x0
	v_dual_mov_b32 v31, v2 :: v_dual_bitop2_b32 v3, 7, v30 bitop3:0x40
	v_dual_mov_b32 v5, v2 :: v_dual_lshlrev_b32 v4, 3, v30
	s_mov_b32 s59, s56
	s_delay_alu instid0(VALU_DEP_2) | instskip(NEXT) | instid1(VALU_DEP_3)
	v_cmp_lt_u32_e64 s16, 3, v3
	v_add_nc_u64_e32 v[34:35], v[28:29], v[30:31]
                                        ; implicit-def: $vgpr36_vgpr37
                                        ; implicit-def: $vgpr38_vgpr39
                                        ; implicit-def: $vgpr40_vgpr41
                                        ; implicit-def: $vgpr42_vgpr43
                                        ; implicit-def: $vgpr44_vgpr45
                                        ; implicit-def: $vgpr46_vgpr47
                                        ; implicit-def: $vgpr48_vgpr49
                                        ; implicit-def: $vgpr50_vgpr51
                                        ; implicit-def: $vgpr52_vgpr53
                                        ; implicit-def: $vgpr54_vgpr55
                                        ; implicit-def: $vgpr56_vgpr57
                                        ; implicit-def: $vgpr58_vgpr59
                                        ; implicit-def: $vgpr60_vgpr61
                                        ; implicit-def: $vgpr62_vgpr63
                                        ; implicit-def: $vgpr64_vgpr65
                                        ; implicit-def: $vgpr66_vgpr67
                                        ; implicit-def: $vgpr68_vgpr69
                                        ; implicit-def: $vgpr119
                                        ; implicit-def: $vgpr120
                                        ; implicit-def: $vgpr121
                                        ; implicit-def: $vgpr122
                                        ; implicit-def: $vgpr123
                                        ; implicit-def: $vgpr124
                                        ; implicit-def: $vgpr125
                                        ; implicit-def: $vgpr126
                                        ; implicit-def: $vgpr127
                                        ; implicit-def: $vgpr128
                                        ; implicit-def: $vgpr129
                                        ; implicit-def: $vgpr130
                                        ; implicit-def: $vgpr131
                                        ; implicit-def: $vgpr132
                                        ; implicit-def: $vgpr133
                                        ; implicit-def: $vgpr134
                                        ; implicit-def: $vgpr135
                                        ; implicit-def: $vgpr136
                                        ; implicit-def: $vgpr137
	v_mov_b32_e32 v8, 0
	v_add_nc_u64_e32 v[32:33], v[26:27], v[4:5]
	s_wait_kmcnt 0x0
	s_cmp_lt_u32 s35, s14
	s_cselect_b32 s42, 12, 18
	s_cmp_lt_u32 s48, s15
	s_mov_b32 s15, s43
	s_cselect_b32 s14, 14, 20
	s_delay_alu instid0(SALU_CYCLE_1)
	s_add_nc_u64 s[14:15], s[52:53], s[14:15]
	s_load_u16 s17, s[14:15], 0x0
	s_wait_xcnt 0x0
	s_add_nc_u64 s[14:15], s[52:53], s[42:43]
	s_mov_b32 s42, s54
	s_load_u16 s18, s[14:15], 0x0
	s_wait_xcnt 0x0
	v_cmp_eq_u32_e64 s14, 0, v3
	v_cmp_lt_u32_e64 s15, 1, v3
	s_wait_kmcnt 0x0
	v_mad_u32_u24 v3, v94, s17, v96
	s_delay_alu instid0(VALU_DEP_1) | instskip(NEXT) | instid1(VALU_DEP_1)
	v_mad_u32 v3, v3, s18, v10
	v_dual_lshrrev_b32 v3, 3, v3 :: v_dual_bitop2_b32 v102, v30, v14 bitop3:0x54
	s_delay_alu instid0(VALU_DEP_1)
	v_dual_add_nc_u32 v103, 32, v102 :: v_dual_add_nc_u32 v104, 64, v102
	v_add_nc_u32_e32 v105, 0x60, v102
	v_add_nc_u32_e32 v106, 0x80, v102
	;; [unrolled: 1-line block ×14, first 2 shown]
	v_and_b32_e32 v31, 0x1ffffffc, v3
	s_branch .LBB1553_1040
.LBB1553_1039:                          ;   in Loop: Header=BB1553_1040 Depth=2
	s_or_b32 exec_lo, exec_lo, s17
	s_addk_co_i32 s59, 0xef00
	s_cmp_lt_u32 s60, s51
	s_mov_b32 s42, s60
	s_cbranch_scc0 .LBB1553_18
.LBB1553_1040:                          ;   Parent Loop BB1553_20 Depth=1
                                        ; =>  This Inner Loop Header: Depth=2
	s_add_co_i32 s60, s42, 0x1100
	s_delay_alu instid0(SALU_CYCLE_1)
	s_cmp_gt_u32 s60, s51
	s_cbranch_scc1 .LBB1553_1042
; %bb.1041:                             ;   in Loop: Header=BB1553_1040 Depth=2
	v_add_nc_u64_e32 v[4:5], s[42:43], v[34:35]
	v_and_b32_e32 v8, 0xff, v8
	s_mov_b32 s17, -1
	s_clause 0xf
	global_load_u8 v3, v[4:5], off offset:416
	global_load_u8 v6, v[4:5], off offset:480
	;; [unrolled: 1-line block ×14, first 2 shown]
	global_load_u8 v147, v[4:5], off
	global_load_u8 v4, v[4:5], off offset:96
	v_and_b32_e32 v8, 0xffff, v8
	s_wait_loadcnt 0xd
	s_wait_xcnt 0x0
	v_perm_b32 v5, v7, v6, 0xc0c0004
	s_wait_loadcnt 0xc
	v_perm_b32 v3, v70, v3, 0xc0c0004
	s_wait_loadcnt 0x9
	;; [unrolled: 2-line block ×3, first 2 shown]
	v_perm_b32 v6, v140, v71, 0xc0c0004
	v_lshl_or_b32 v7, v5, 16, v3
	s_wait_loadcnt 0x5
	v_perm_b32 v138, v143, v142, 0xc0c0004
	s_wait_loadcnt 0x4
	v_perm_b32 v71, v144, v141, 0xc0c0004
	v_lshl_or_b32 v6, v70, 16, v6
	s_wait_loadcnt 0x1
	v_perm_b32 v139, v147, v145, 0xc0c0004
	s_wait_loadcnt 0x0
	v_perm_b32 v4, v146, v4, 0xc0c0004
	v_lshl_or_b32 v5, v138, 16, v71
	s_delay_alu instid0(VALU_DEP_2)
	v_lshl_or_b32 v4, v4, 16, v139
	s_movk_i32 s18, 0x1100
	s_cbranch_execz .LBB1553_1043
	s_branch .LBB1553_1061
.LBB1553_1042:                          ;   in Loop: Header=BB1553_1040 Depth=2
	s_mov_b32 s17, 0
                                        ; implicit-def: $vgpr4_vgpr5_vgpr6_vgpr7_vgpr8
	s_movk_i32 s18, 0x1100
.LBB1553_1043:                          ;   in Loop: Header=BB1553_1040 Depth=2
	v_dual_mov_b32 v5, v2 :: v_dual_mov_b32 v6, v2
	v_dual_mov_b32 v3, v2 :: v_dual_mov_b32 v4, v2
	v_add_nc_u64_e32 v[70:71], s[42:43], v[34:35]
	s_mov_b32 s17, exec_lo
	s_delay_alu instid0(VALU_DEP_3) | instskip(NEXT) | instid1(VALU_DEP_3)
	v_mov_b32_e32 v8, v6
	v_dual_mov_b32 v7, v5 :: v_dual_mov_b32 v6, v4
	v_mov_b32_e32 v5, v3
	v_mov_b32_e32 v4, v2
	v_cmpx_gt_u32_e64 s59, v102
	s_cbranch_execnz .LBB1553_1247
; %bb.1044:                             ;   in Loop: Header=BB1553_1040 Depth=2
	s_or_b32 exec_lo, exec_lo, s17
	s_delay_alu instid0(SALU_CYCLE_1)
	s_mov_b32 s17, exec_lo
	v_cmpx_gt_u32_e64 s59, v103
	s_cbranch_execnz .LBB1553_1248
.LBB1553_1045:                          ;   in Loop: Header=BB1553_1040 Depth=2
	s_or_b32 exec_lo, exec_lo, s17
	s_delay_alu instid0(SALU_CYCLE_1)
	s_mov_b32 s17, exec_lo
	v_cmpx_gt_u32_e64 s59, v104
	s_cbranch_execnz .LBB1553_1249
.LBB1553_1046:                          ;   in Loop: Header=BB1553_1040 Depth=2
	s_or_b32 exec_lo, exec_lo, s17
	s_delay_alu instid0(SALU_CYCLE_1)
	s_mov_b32 s17, exec_lo
	v_cmpx_gt_u32_e64 s59, v105
	s_cbranch_execnz .LBB1553_1250
.LBB1553_1047:                          ;   in Loop: Header=BB1553_1040 Depth=2
	s_or_b32 exec_lo, exec_lo, s17
	s_delay_alu instid0(SALU_CYCLE_1)
	s_mov_b32 s17, exec_lo
	v_cmpx_gt_u32_e64 s59, v106
	s_cbranch_execnz .LBB1553_1251
.LBB1553_1048:                          ;   in Loop: Header=BB1553_1040 Depth=2
	s_or_b32 exec_lo, exec_lo, s17
	s_delay_alu instid0(SALU_CYCLE_1)
	s_mov_b32 s17, exec_lo
	v_cmpx_gt_u32_e64 s59, v107
	s_cbranch_execnz .LBB1553_1252
.LBB1553_1049:                          ;   in Loop: Header=BB1553_1040 Depth=2
	s_or_b32 exec_lo, exec_lo, s17
	s_delay_alu instid0(SALU_CYCLE_1)
	s_mov_b32 s17, exec_lo
	v_cmpx_gt_u32_e64 s59, v108
	s_cbranch_execnz .LBB1553_1253
.LBB1553_1050:                          ;   in Loop: Header=BB1553_1040 Depth=2
	s_or_b32 exec_lo, exec_lo, s17
	s_delay_alu instid0(SALU_CYCLE_1)
	s_mov_b32 s17, exec_lo
	v_cmpx_gt_u32_e64 s59, v109
	s_cbranch_execnz .LBB1553_1254
.LBB1553_1051:                          ;   in Loop: Header=BB1553_1040 Depth=2
	s_or_b32 exec_lo, exec_lo, s17
	s_delay_alu instid0(SALU_CYCLE_1)
	s_mov_b32 s17, exec_lo
	v_cmpx_gt_u32_e64 s59, v110
	s_cbranch_execnz .LBB1553_1255
.LBB1553_1052:                          ;   in Loop: Header=BB1553_1040 Depth=2
	s_or_b32 exec_lo, exec_lo, s17
	s_delay_alu instid0(SALU_CYCLE_1)
	s_mov_b32 s17, exec_lo
	v_cmpx_gt_u32_e64 s59, v111
	s_cbranch_execnz .LBB1553_1256
.LBB1553_1053:                          ;   in Loop: Header=BB1553_1040 Depth=2
	s_or_b32 exec_lo, exec_lo, s17
	s_delay_alu instid0(SALU_CYCLE_1)
	s_mov_b32 s17, exec_lo
	v_cmpx_gt_u32_e64 s59, v112
	s_cbranch_execnz .LBB1553_1257
.LBB1553_1054:                          ;   in Loop: Header=BB1553_1040 Depth=2
	s_or_b32 exec_lo, exec_lo, s17
	s_delay_alu instid0(SALU_CYCLE_1)
	s_mov_b32 s17, exec_lo
	v_cmpx_gt_u32_e64 s59, v113
	s_cbranch_execnz .LBB1553_1258
.LBB1553_1055:                          ;   in Loop: Header=BB1553_1040 Depth=2
	s_or_b32 exec_lo, exec_lo, s17
	s_delay_alu instid0(SALU_CYCLE_1)
	s_mov_b32 s17, exec_lo
	v_cmpx_gt_u32_e64 s59, v114
	s_cbranch_execnz .LBB1553_1259
.LBB1553_1056:                          ;   in Loop: Header=BB1553_1040 Depth=2
	s_or_b32 exec_lo, exec_lo, s17
	s_delay_alu instid0(SALU_CYCLE_1)
	s_mov_b32 s17, exec_lo
	v_cmpx_gt_u32_e64 s59, v115
	s_cbranch_execnz .LBB1553_1260
.LBB1553_1057:                          ;   in Loop: Header=BB1553_1040 Depth=2
	s_or_b32 exec_lo, exec_lo, s17
	s_delay_alu instid0(SALU_CYCLE_1)
	s_mov_b32 s17, exec_lo
	v_cmpx_gt_u32_e64 s59, v116
	s_cbranch_execnz .LBB1553_1261
.LBB1553_1058:                          ;   in Loop: Header=BB1553_1040 Depth=2
	s_or_b32 exec_lo, exec_lo, s17
	s_delay_alu instid0(SALU_CYCLE_1)
	s_mov_b32 s17, exec_lo
	v_cmpx_gt_u32_e64 s59, v117
	s_cbranch_execz .LBB1553_1060
.LBB1553_1059:                          ;   in Loop: Header=BB1553_1040 Depth=2
	global_load_u8 v3, v[70:71], off offset:480
	v_and_b32_e32 v8, 0xff, v8
	s_wait_loadcnt 0x0
	v_perm_b32 v7, v7, v3, 0x60504
.LBB1553_1060:                          ;   in Loop: Header=BB1553_1040 Depth=2
	s_wait_xcnt 0x0
	s_or_b32 exec_lo, exec_lo, s17
	v_cmp_gt_u32_e64 s17, s59, v118
	s_sub_co_i32 s18, s51, s42
.LBB1553_1061:                          ;   in Loop: Header=BB1553_1040 Depth=2
	v_mov_b32_e32 v3, s59
	s_and_saveexec_b32 s19, s17
	s_cbranch_execz .LBB1553_1063
; %bb.1062:                             ;   in Loop: Header=BB1553_1040 Depth=2
	v_add_nc_u64_e32 v[70:71], s[42:43], v[34:35]
	v_mov_b32_e32 v3, s18
	global_load_u8 v8, v[70:71], off offset:512
.LBB1553_1063:                          ;   in Loop: Header=BB1553_1040 Depth=2
	s_wait_xcnt 0x0
	s_or_b32 exec_lo, exec_lo, s19
	s_wait_loadcnt 0x0
	v_and_b32_e32 v140, 1, v4
	v_lshrrev_b16 v70, 8, v7
	v_and_b32_e32 v8, 1, v8
	v_lshrrev_b16 v139, 8, v4
	v_lshrrev_b16 v71, 8, v6
	v_cmp_eq_u32_e32 vcc_lo, 1, v140
	v_and_b32_e32 v70, 1, v70
	v_lshrrev_b16 v138, 8, v5
	v_and_b32_e32 v139, 1, v139
	v_and_b32_e32 v71, 1, v71
	s_xor_b32 s17, vcc_lo, -1
	v_cmp_eq_u32_e64 s19, 1, v70
	v_cndmask_b32_e64 v70, 0, 1, s17
	v_cmp_eq_u32_e32 vcc_lo, 1, v8
	v_and_b32_e32 v138, 1, v138
	v_cmp_eq_u32_e64 s31, 1, v139
	v_cmp_eq_u32_e64 s23, 1, v71
	v_lshrrev_b32_e32 v8, s49, v70
	v_and_b32_e32 v71, 0x1000000, v7
	v_cmp_eq_u32_e64 s27, 1, v138
	v_and_b32_e32 v138, 0x10000, v7
	v_and_b32_e32 v7, 1, v7
	;; [unrolled: 1-line block ×3, first 2 shown]
	v_cmp_ne_u32_e64 s17, 0, v71
	v_and_b32_e32 v71, 0x10000, v6
	v_cmp_ne_u32_e64 s18, 0, v138
	v_cmp_eq_u32_e64 s20, 1, v7
	v_add_co_u32 v139, s21, v8, -1
	s_delay_alu instid0(VALU_DEP_1)
	v_cndmask_b32_e64 v140, 0, 1, s21
	v_and_b32_e32 v7, 0x1000000, v6
	v_and_b32_e32 v6, 1, v6
	v_cmp_ne_u32_e64 s22, 0, v71
	v_and_b32_e32 v71, 0x10000, v4
	v_cmp_ne_u32_e64 s26, 0, v140
	v_cmp_ne_u32_e64 s21, 0, v7
	v_and_b32_e32 v7, 0x1000000, v4
	v_and_b32_e32 v138, 0x1000000, v5
	v_cmp_eq_u32_e64 s24, 1, v6
	v_bitop3_b32 v4, s26, exec_lo, v139 bitop3:0x48
	v_and_b32_e32 v6, 0x10000, v5
	v_and_b32_e32 v5, 1, v5
	v_cmp_ne_u32_e64 s30, 0, v71
	v_cmp_ne_u32_e64 s25, 0, v138
	v_mbcnt_lo_u32_b32 v71, v4, 0
	v_cmp_ne_u32_e64 s34, 0, v4
	v_cmp_eq_u32_e64 s28, 1, v5
	v_mul_u32_u24_e32 v5, 36, v8
	v_cmp_ne_u32_e64 s26, 0, v6
	v_cmp_eq_u32_e64 s33, 0, v71
	v_cmp_ne_u32_e64 s29, 0, v7
	ds_store_2addr_b32 v95, v2, v2 offset0:136 offset1:137
	ds_store_2addr_b32 v95, v2, v2 offset0:138 offset1:139
	ds_store_b32 v95, v2 offset:560
	v_add_nc_u32_e32 v141, v31, v5
	s_wait_dscnt 0x0
	s_and_b32 s34, s34, s33
	s_barrier_signal -1
	s_barrier_wait -1
	; wave barrier
	s_and_saveexec_b32 s33, s34
; %bb.1064:                             ;   in Loop: Header=BB1553_1040 Depth=2
	v_bcnt_u32_b32 v4, v4, 0
	ds_store_b32 v141, v4 offset:544
; %bb.1065:                             ;   in Loop: Header=BB1553_1040 Depth=2
	s_or_b32 exec_lo, exec_lo, s33
	s_xor_b32 s31, s31, -1
	s_delay_alu instid0(SALU_CYCLE_1) | instskip(NEXT) | instid1(VALU_DEP_1)
	v_cndmask_b32_e64 v138, 0, 1, s31
	; wave barrier
	v_lshrrev_b32_e32 v4, s49, v138
	s_delay_alu instid0(VALU_DEP_1) | instskip(NEXT) | instid1(VALU_DEP_1)
	v_and_b32_e32 v5, s58, v4
	v_add_co_u32 v4, s31, v5, -1
	s_delay_alu instid0(VALU_DEP_1) | instskip(SKIP_2) | instid1(VALU_DEP_3)
	v_cndmask_b32_e64 v6, 0, 1, s31
	v_mad_u32_u24 v7, v5, 36, v31
	v_mul_u32_u24_e32 v5, 36, v5
	v_cmp_ne_u32_e64 s31, 0, v6
	ds_load_b32 v139, v7 offset:544
	v_add_nc_u32_e32 v144, v31, v5
	; wave barrier
	v_bitop3_b32 v4, s31, exec_lo, v4 bitop3:0x48
	s_delay_alu instid0(VALU_DEP_1) | instskip(SKIP_1) | instid1(VALU_DEP_2)
	v_mbcnt_lo_u32_b32 v140, v4, 0
	v_cmp_ne_u32_e64 s33, 0, v4
	v_cmp_eq_u32_e64 s31, 0, v140
	s_and_b32 s33, s33, s31
	s_delay_alu instid0(SALU_CYCLE_1)
	s_and_saveexec_b32 s31, s33
	s_cbranch_execz .LBB1553_1067
; %bb.1066:                             ;   in Loop: Header=BB1553_1040 Depth=2
	s_wait_dscnt 0x0
	v_bcnt_u32_b32 v4, v4, v139
	ds_store_b32 v144, v4 offset:544
.LBB1553_1067:                          ;   in Loop: Header=BB1553_1040 Depth=2
	s_or_b32 exec_lo, exec_lo, s31
	s_xor_b32 s30, s30, -1
	s_delay_alu instid0(SALU_CYCLE_1) | instskip(NEXT) | instid1(VALU_DEP_1)
	v_cndmask_b32_e64 v153, 0, 1, s30
	; wave barrier
	v_lshrrev_b32_e32 v4, s49, v153
	s_delay_alu instid0(VALU_DEP_1) | instskip(NEXT) | instid1(VALU_DEP_1)
	v_and_b32_e32 v5, s58, v4
	v_add_co_u32 v4, s30, v5, -1
	s_delay_alu instid0(VALU_DEP_1) | instskip(SKIP_2) | instid1(VALU_DEP_3)
	v_cndmask_b32_e64 v6, 0, 1, s30
	v_mad_u32_u24 v7, v5, 36, v31
	v_mul_u32_u24_e32 v5, 36, v5
	v_cmp_ne_u32_e64 s30, 0, v6
	ds_load_b32 v142, v7 offset:544
	v_add_nc_u32_e32 v147, v31, v5
	; wave barrier
	v_bitop3_b32 v4, s30, exec_lo, v4 bitop3:0x48
	s_delay_alu instid0(VALU_DEP_1) | instskip(SKIP_1) | instid1(VALU_DEP_2)
	v_mbcnt_lo_u32_b32 v143, v4, 0
	v_cmp_ne_u32_e64 s31, 0, v4
	v_cmp_eq_u32_e64 s30, 0, v143
	s_and_b32 s31, s31, s30
	s_delay_alu instid0(SALU_CYCLE_1)
	s_and_saveexec_b32 s30, s31
	s_cbranch_execz .LBB1553_1069
; %bb.1068:                             ;   in Loop: Header=BB1553_1040 Depth=2
	s_wait_dscnt 0x0
	v_bcnt_u32_b32 v4, v4, v142
	ds_store_b32 v147, v4 offset:544
.LBB1553_1069:                          ;   in Loop: Header=BB1553_1040 Depth=2
	;; [unrolled: 31-line block ×15, first 2 shown]
	s_or_b32 exec_lo, exec_lo, s17
	s_xor_b32 s17, vcc_lo, -1
	s_delay_alu instid0(SALU_CYCLE_1) | instskip(NEXT) | instid1(VALU_DEP_1)
	v_cndmask_b32_e64 v8, 0, 1, s17
	; wave barrier
	v_lshrrev_b32_e32 v4, s49, v8
	s_delay_alu instid0(VALU_DEP_1) | instskip(NEXT) | instid1(VALU_DEP_1)
	v_and_b32_e32 v5, s58, v4
	v_add_co_u32 v4, s17, v5, -1
	s_delay_alu instid0(VALU_DEP_1) | instskip(SKIP_2) | instid1(VALU_DEP_3)
	v_cndmask_b32_e64 v6, 0, 1, s17
	v_mad_u32_u24 v7, v5, 36, v31
	v_mul_u32_u24_e32 v5, 36, v5
	v_cmp_ne_u32_e32 vcc_lo, 0, v6
	ds_load_b32 v198, v7 offset:544
	v_add_nc_u32_e32 v201, v31, v5
	; wave barrier
	v_bitop3_b32 v4, vcc_lo, exec_lo, v4 bitop3:0x48
	s_delay_alu instid0(VALU_DEP_1) | instskip(SKIP_1) | instid1(VALU_DEP_2)
	v_mbcnt_lo_u32_b32 v199, v4, 0
	v_cmp_ne_u32_e64 s17, 0, v4
	v_cmp_eq_u32_e32 vcc_lo, 0, v199
	s_and_b32 s18, s17, vcc_lo
	s_delay_alu instid0(SALU_CYCLE_1)
	s_and_saveexec_b32 s17, s18
	s_cbranch_execz .LBB1553_1097
; %bb.1096:                             ;   in Loop: Header=BB1553_1040 Depth=2
	s_wait_dscnt 0x0
	v_bcnt_u32_b32 v4, v4, v198
	ds_store_b32 v201, v4 offset:544
.LBB1553_1097:                          ;   in Loop: Header=BB1553_1040 Depth=2
	s_or_b32 exec_lo, exec_lo, s17
	; wave barrier
	s_wait_dscnt 0x0
	s_barrier_signal -1
	s_barrier_wait -1
	ds_load_2addr_b32 v[6:7], v95 offset0:136 offset1:137
	ds_load_2addr_b32 v[4:5], v95 offset0:138 offset1:139
	ds_load_b32 v202, v95 offset:560
	s_wait_dscnt 0x1
	v_add3_u32 v203, v7, v6, v4
	s_wait_dscnt 0x0
	s_delay_alu instid0(VALU_DEP_1) | instskip(NEXT) | instid1(VALU_DEP_1)
	v_add3_u32 v202, v203, v5, v202
	v_mov_b32_dpp v203, v202 row_shr:1 row_mask:0xf bank_mask:0xf
	s_delay_alu instid0(VALU_DEP_1) | instskip(NEXT) | instid1(VALU_DEP_1)
	v_cndmask_b32_e64 v203, v203, 0, s8
	v_add_nc_u32_e32 v202, v203, v202
	s_delay_alu instid0(VALU_DEP_1) | instskip(NEXT) | instid1(VALU_DEP_1)
	v_mov_b32_dpp v203, v202 row_shr:2 row_mask:0xf bank_mask:0xf
	v_cndmask_b32_e64 v203, 0, v203, s9
	s_delay_alu instid0(VALU_DEP_1) | instskip(NEXT) | instid1(VALU_DEP_1)
	v_add_nc_u32_e32 v202, v202, v203
	v_mov_b32_dpp v203, v202 row_shr:4 row_mask:0xf bank_mask:0xf
	s_delay_alu instid0(VALU_DEP_1) | instskip(NEXT) | instid1(VALU_DEP_1)
	v_cndmask_b32_e64 v203, 0, v203, s10
	v_add_nc_u32_e32 v202, v202, v203
	s_delay_alu instid0(VALU_DEP_1) | instskip(NEXT) | instid1(VALU_DEP_1)
	v_mov_b32_dpp v203, v202 row_shr:8 row_mask:0xf bank_mask:0xf
	v_cndmask_b32_e64 v203, 0, v203, s11
	s_delay_alu instid0(VALU_DEP_1) | instskip(SKIP_3) | instid1(VALU_DEP_1)
	v_add_nc_u32_e32 v202, v202, v203
	ds_swizzle_b32 v203, v202 offset:swizzle(BROADCAST,32,15)
	s_wait_dscnt 0x0
	v_cndmask_b32_e64 v203, v203, 0, s12
	v_add_nc_u32_e32 v202, v202, v203
	s_and_saveexec_b32 s17, s2
; %bb.1098:                             ;   in Loop: Header=BB1553_1040 Depth=2
	ds_store_b32 v88, v202 offset:512
; %bb.1099:                             ;   in Loop: Header=BB1553_1040 Depth=2
	s_or_b32 exec_lo, exec_lo, s17
	s_wait_dscnt 0x0
	s_barrier_signal -1
	s_barrier_wait -1
	s_and_saveexec_b32 s17, s3
	s_cbranch_execz .LBB1553_1101
; %bb.1100:                             ;   in Loop: Header=BB1553_1040 Depth=2
	ds_load_b32 v203, v97 offset:512
	s_wait_dscnt 0x0
	v_mov_b32_dpp v204, v203 row_shr:1 row_mask:0xf bank_mask:0xf
	s_delay_alu instid0(VALU_DEP_1) | instskip(NEXT) | instid1(VALU_DEP_1)
	v_cndmask_b32_e64 v204, v204, 0, s14
	v_add_nc_u32_e32 v203, v204, v203
	s_delay_alu instid0(VALU_DEP_1) | instskip(NEXT) | instid1(VALU_DEP_1)
	v_mov_b32_dpp v204, v203 row_shr:2 row_mask:0xf bank_mask:0xf
	v_cndmask_b32_e64 v204, 0, v204, s15
	s_delay_alu instid0(VALU_DEP_1) | instskip(NEXT) | instid1(VALU_DEP_1)
	v_add_nc_u32_e32 v203, v203, v204
	v_mov_b32_dpp v204, v203 row_shr:4 row_mask:0xf bank_mask:0xf
	s_delay_alu instid0(VALU_DEP_1) | instskip(NEXT) | instid1(VALU_DEP_1)
	v_cndmask_b32_e64 v204, 0, v204, s16
	v_add_nc_u32_e32 v203, v203, v204
	ds_store_b32 v97, v203 offset:512
.LBB1553_1101:                          ;   in Loop: Header=BB1553_1040 Depth=2
	s_or_b32 exec_lo, exec_lo, s17
	v_mov_b32_e32 v203, 0
	s_wait_dscnt 0x0
	s_barrier_signal -1
	s_barrier_wait -1
	s_and_saveexec_b32 s17, s5
; %bb.1102:                             ;   in Loop: Header=BB1553_1040 Depth=2
	ds_load_b32 v203, v88 offset:508
; %bb.1103:                             ;   in Loop: Header=BB1553_1040 Depth=2
	s_or_b32 exec_lo, exec_lo, s17
	s_wait_dscnt 0x0
	v_add_nc_u32_e32 v202, v203, v202
	ds_bpermute_b32 v202, v101, v202
	s_wait_dscnt 0x0
	v_cndmask_b32_e64 v202, v202, v203, s13
	s_delay_alu instid0(VALU_DEP_1) | instskip(NEXT) | instid1(VALU_DEP_1)
	v_cndmask_b32_e64 v202, v202, 0, s6
	v_add_nc_u32_e32 v6, v202, v6
	s_delay_alu instid0(VALU_DEP_1) | instskip(NEXT) | instid1(VALU_DEP_1)
	v_add_nc_u32_e32 v7, v6, v7
	v_add_nc_u32_e32 v4, v7, v4
	s_delay_alu instid0(VALU_DEP_1)
	v_add_nc_u32_e32 v5, v4, v5
	ds_store_2addr_b32 v95, v202, v6 offset0:136 offset1:137
	ds_store_2addr_b32 v95, v7, v4 offset0:138 offset1:139
	ds_store_b32 v95, v5 offset:560
	s_wait_dscnt 0x0
	s_barrier_signal -1
	s_barrier_wait -1
	ds_load_b32 v4, v141 offset:544
	ds_load_b32 v5, v144 offset:544
	;; [unrolled: 1-line block ×17, first 2 shown]
	s_and_saveexec_b32 s17, s0
	s_cbranch_execz .LBB1553_1107
; %bb.1104:                             ;   in Loop: Header=BB1553_1040 Depth=2
	v_dual_mov_b32 v137, 0x1100 :: v_dual_add_nc_u32 v136, v97, v99
	ds_load_b32 v136, v136 offset:544
	s_and_saveexec_b32 s18, s7
; %bb.1105:                             ;   in Loop: Header=BB1553_1040 Depth=2
	ds_load_b32 v137, v98 offset:544
; %bb.1106:                             ;   in Loop: Header=BB1553_1040 Depth=2
	s_or_b32 exec_lo, exec_lo, s18
	s_wait_dscnt 0x0
	v_sub_nc_u32_e32 v137, v137, v136
.LBB1553_1107:                          ;   in Loop: Header=BB1553_1040 Depth=2
	s_or_b32 exec_lo, exec_lo, s17
	s_wait_dscnt 0x0
	s_barrier_signal -1
	s_barrier_wait -1
	s_and_saveexec_b32 s17, s0
	s_cbranch_execz .LBB1553_1109
; %bb.1108:                             ;   in Loop: Header=BB1553_1040 Depth=2
	ds_load_b32 v147, v9
	s_wait_dscnt 0x0
	v_sub_nc_u32_e32 v147, v147, v136
	ds_store_b32 v9, v147
.LBB1553_1109:                          ;   in Loop: Header=BB1553_1040 Depth=2
	s_or_b32 exec_lo, exec_lo, s17
	v_add_nc_u32_e32 v152, v4, v71
	v_add3_u32 v151, v140, v139, v5
	v_add3_u32 v150, v143, v142, v6
	;; [unrolled: 1-line block ×16, first 2 shown]
	v_cmp_lt_u32_e32 vcc_lo, v10, v3
	ds_store_b8 v152, v70 offset:512
	ds_store_b8 v151, v138 offset:512
	;; [unrolled: 1-line block ×17, first 2 shown]
	s_wait_dscnt 0x0
	s_barrier_signal -1
	s_barrier_wait -1
	s_and_saveexec_b32 s17, vcc_lo
	s_cbranch_execnz .LBB1553_1182
; %bb.1110:                             ;   in Loop: Header=BB1553_1040 Depth=2
	s_or_b32 exec_lo, exec_lo, s17
	v_cmp_lt_u32_e64 s17, v72, v3
	s_and_saveexec_b32 s18, s17
	s_cbranch_execnz .LBB1553_1183
.LBB1553_1111:                          ;   in Loop: Header=BB1553_1040 Depth=2
	s_or_b32 exec_lo, exec_lo, s18
	v_cmp_lt_u32_e64 s18, v73, v3
	s_and_saveexec_b32 s19, s18
	s_cbranch_execnz .LBB1553_1184
.LBB1553_1112:                          ;   in Loop: Header=BB1553_1040 Depth=2
	s_or_b32 exec_lo, exec_lo, s19
	v_cmp_lt_u32_e64 s19, v74, v3
	s_and_saveexec_b32 s20, s19
	s_cbranch_execnz .LBB1553_1185
.LBB1553_1113:                          ;   in Loop: Header=BB1553_1040 Depth=2
	s_or_b32 exec_lo, exec_lo, s20
	v_cmp_lt_u32_e64 s20, v75, v3
	s_and_saveexec_b32 s21, s20
	s_cbranch_execnz .LBB1553_1186
.LBB1553_1114:                          ;   in Loop: Header=BB1553_1040 Depth=2
	s_or_b32 exec_lo, exec_lo, s21
	v_cmp_lt_u32_e64 s21, v76, v3
	s_and_saveexec_b32 s22, s21
	s_cbranch_execnz .LBB1553_1187
.LBB1553_1115:                          ;   in Loop: Header=BB1553_1040 Depth=2
	s_or_b32 exec_lo, exec_lo, s22
	v_cmp_lt_u32_e64 s22, v77, v3
	s_and_saveexec_b32 s23, s22
	s_cbranch_execnz .LBB1553_1188
.LBB1553_1116:                          ;   in Loop: Header=BB1553_1040 Depth=2
	s_or_b32 exec_lo, exec_lo, s23
	v_cmp_lt_u32_e64 s23, v78, v3
	s_and_saveexec_b32 s24, s23
	s_cbranch_execnz .LBB1553_1189
.LBB1553_1117:                          ;   in Loop: Header=BB1553_1040 Depth=2
	s_or_b32 exec_lo, exec_lo, s24
	v_cmp_lt_u32_e64 s24, v79, v3
	s_and_saveexec_b32 s25, s24
	s_cbranch_execnz .LBB1553_1190
.LBB1553_1118:                          ;   in Loop: Header=BB1553_1040 Depth=2
	s_or_b32 exec_lo, exec_lo, s25
	v_cmp_lt_u32_e64 s25, v80, v3
	s_and_saveexec_b32 s26, s25
	s_cbranch_execnz .LBB1553_1191
.LBB1553_1119:                          ;   in Loop: Header=BB1553_1040 Depth=2
	s_or_b32 exec_lo, exec_lo, s26
	v_cmp_lt_u32_e64 s26, v81, v3
	s_and_saveexec_b32 s27, s26
	s_cbranch_execnz .LBB1553_1192
.LBB1553_1120:                          ;   in Loop: Header=BB1553_1040 Depth=2
	s_or_b32 exec_lo, exec_lo, s27
	v_cmp_lt_u32_e64 s27, v82, v3
	s_and_saveexec_b32 s28, s27
	s_cbranch_execnz .LBB1553_1193
.LBB1553_1121:                          ;   in Loop: Header=BB1553_1040 Depth=2
	s_or_b32 exec_lo, exec_lo, s28
	v_cmp_lt_u32_e64 s28, v83, v3
	s_and_saveexec_b32 s29, s28
	s_cbranch_execnz .LBB1553_1194
.LBB1553_1122:                          ;   in Loop: Header=BB1553_1040 Depth=2
	s_or_b32 exec_lo, exec_lo, s29
	v_cmp_lt_u32_e64 s29, v84, v3
	s_and_saveexec_b32 s30, s29
	s_cbranch_execnz .LBB1553_1195
.LBB1553_1123:                          ;   in Loop: Header=BB1553_1040 Depth=2
	s_or_b32 exec_lo, exec_lo, s30
	v_cmp_lt_u32_e64 s30, v85, v3
	s_and_saveexec_b32 s31, s30
	s_cbranch_execnz .LBB1553_1196
.LBB1553_1124:                          ;   in Loop: Header=BB1553_1040 Depth=2
	s_or_b32 exec_lo, exec_lo, s31
	v_cmp_lt_u32_e64 s31, v86, v3
	s_and_saveexec_b32 s33, s31
	s_cbranch_execnz .LBB1553_1197
.LBB1553_1125:                          ;   in Loop: Header=BB1553_1040 Depth=2
	s_or_b32 exec_lo, exec_lo, s33
	v_cmp_lt_u32_e64 s33, v87, v3
	s_and_saveexec_b32 s34, s33
	s_cbranch_execz .LBB1553_1127
.LBB1553_1126:                          ;   in Loop: Header=BB1553_1040 Depth=2
	ds_load_u8 v4, v10 offset:4608
	s_wait_dscnt 0x0
	v_and_b32_e32 v5, 1, v4
	s_delay_alu instid0(VALU_DEP_1) | instskip(NEXT) | instid1(VALU_DEP_1)
	v_dual_lshrrev_b32 v5, s49, v5 :: v_dual_bitop2_b32 v4, 1, v4 bitop3:0x14
	v_and_b32_e32 v5, s58, v5
	s_delay_alu instid0(VALU_DEP_1)
	v_lshlrev_b32_e32 v5, 2, v5
	ds_load_b32 v5, v5
	s_wait_dscnt 0x0
	v_add_nc_u32_e32 v5, v5, v87
	global_store_b8 v5, v4, s[40:41]
.LBB1553_1127:                          ;   in Loop: Header=BB1553_1040 Depth=2
	s_wait_xcnt 0x0
	s_or_b32 exec_lo, exec_lo, s34
	v_lshl_add_u64 v[4:5], s[42:43], 3, v[32:33]
	v_cmp_lt_u32_e64 s34, v102, v3
	s_and_saveexec_b32 s42, s34
	s_delay_alu instid0(SALU_CYCLE_1)
	s_xor_b32 s34, exec_lo, s42
	s_cbranch_execnz .LBB1553_1198
; %bb.1128:                             ;   in Loop: Header=BB1553_1040 Depth=2
	s_or_b32 exec_lo, exec_lo, s34
	s_delay_alu instid0(SALU_CYCLE_1)
	s_mov_b32 s42, exec_lo
	v_cmpx_lt_u32_e64 v103, v3
	s_cbranch_execnz .LBB1553_1199
.LBB1553_1129:                          ;   in Loop: Header=BB1553_1040 Depth=2
	s_or_b32 exec_lo, exec_lo, s42
	s_delay_alu instid0(SALU_CYCLE_1)
	s_mov_b32 s42, exec_lo
	v_cmpx_lt_u32_e64 v104, v3
	s_cbranch_execnz .LBB1553_1200
.LBB1553_1130:                          ;   in Loop: Header=BB1553_1040 Depth=2
	s_or_b32 exec_lo, exec_lo, s42
	s_delay_alu instid0(SALU_CYCLE_1)
	s_mov_b32 s42, exec_lo
	v_cmpx_lt_u32_e64 v105, v3
	s_cbranch_execnz .LBB1553_1201
.LBB1553_1131:                          ;   in Loop: Header=BB1553_1040 Depth=2
	s_or_b32 exec_lo, exec_lo, s42
	s_delay_alu instid0(SALU_CYCLE_1)
	s_mov_b32 s42, exec_lo
	v_cmpx_lt_u32_e64 v106, v3
	s_cbranch_execnz .LBB1553_1202
.LBB1553_1132:                          ;   in Loop: Header=BB1553_1040 Depth=2
	s_or_b32 exec_lo, exec_lo, s42
	s_delay_alu instid0(SALU_CYCLE_1)
	s_mov_b32 s42, exec_lo
	v_cmpx_lt_u32_e64 v107, v3
	s_cbranch_execnz .LBB1553_1203
.LBB1553_1133:                          ;   in Loop: Header=BB1553_1040 Depth=2
	s_or_b32 exec_lo, exec_lo, s42
	s_delay_alu instid0(SALU_CYCLE_1)
	s_mov_b32 s42, exec_lo
	v_cmpx_lt_u32_e64 v108, v3
	s_cbranch_execnz .LBB1553_1204
.LBB1553_1134:                          ;   in Loop: Header=BB1553_1040 Depth=2
	s_or_b32 exec_lo, exec_lo, s42
	s_delay_alu instid0(SALU_CYCLE_1)
	s_mov_b32 s42, exec_lo
	v_cmpx_lt_u32_e64 v109, v3
	s_cbranch_execnz .LBB1553_1205
.LBB1553_1135:                          ;   in Loop: Header=BB1553_1040 Depth=2
	s_or_b32 exec_lo, exec_lo, s42
	s_delay_alu instid0(SALU_CYCLE_1)
	s_mov_b32 s42, exec_lo
	v_cmpx_lt_u32_e64 v110, v3
	s_cbranch_execnz .LBB1553_1206
.LBB1553_1136:                          ;   in Loop: Header=BB1553_1040 Depth=2
	s_or_b32 exec_lo, exec_lo, s42
	s_delay_alu instid0(SALU_CYCLE_1)
	s_mov_b32 s42, exec_lo
	v_cmpx_lt_u32_e64 v111, v3
	s_cbranch_execnz .LBB1553_1207
.LBB1553_1137:                          ;   in Loop: Header=BB1553_1040 Depth=2
	s_or_b32 exec_lo, exec_lo, s42
	s_delay_alu instid0(SALU_CYCLE_1)
	s_mov_b32 s42, exec_lo
	v_cmpx_lt_u32_e64 v112, v3
	s_cbranch_execnz .LBB1553_1208
.LBB1553_1138:                          ;   in Loop: Header=BB1553_1040 Depth=2
	s_or_b32 exec_lo, exec_lo, s42
	s_delay_alu instid0(SALU_CYCLE_1)
	s_mov_b32 s42, exec_lo
	v_cmpx_lt_u32_e64 v113, v3
	s_cbranch_execnz .LBB1553_1209
.LBB1553_1139:                          ;   in Loop: Header=BB1553_1040 Depth=2
	s_or_b32 exec_lo, exec_lo, s42
	s_delay_alu instid0(SALU_CYCLE_1)
	s_mov_b32 s42, exec_lo
	v_cmpx_lt_u32_e64 v114, v3
	s_cbranch_execnz .LBB1553_1210
.LBB1553_1140:                          ;   in Loop: Header=BB1553_1040 Depth=2
	s_or_b32 exec_lo, exec_lo, s42
	s_delay_alu instid0(SALU_CYCLE_1)
	s_mov_b32 s42, exec_lo
	v_cmpx_lt_u32_e64 v115, v3
	s_cbranch_execnz .LBB1553_1211
.LBB1553_1141:                          ;   in Loop: Header=BB1553_1040 Depth=2
	s_or_b32 exec_lo, exec_lo, s42
	s_delay_alu instid0(SALU_CYCLE_1)
	s_mov_b32 s42, exec_lo
	v_cmpx_lt_u32_e64 v116, v3
	s_cbranch_execnz .LBB1553_1212
.LBB1553_1142:                          ;   in Loop: Header=BB1553_1040 Depth=2
	s_or_b32 exec_lo, exec_lo, s42
	s_delay_alu instid0(SALU_CYCLE_1)
	s_mov_b32 s42, exec_lo
	v_cmpx_lt_u32_e64 v117, v3
	s_cbranch_execnz .LBB1553_1213
.LBB1553_1143:                          ;   in Loop: Header=BB1553_1040 Depth=2
	s_or_b32 exec_lo, exec_lo, s42
	s_delay_alu instid0(SALU_CYCLE_1)
	s_mov_b32 s42, exec_lo
	v_cmpx_lt_u32_e64 v118, v3
	s_cbranch_execnz .LBB1553_1214
.LBB1553_1144:                          ;   in Loop: Header=BB1553_1040 Depth=2
	s_or_b32 exec_lo, exec_lo, s42
	s_and_saveexec_b32 s34, vcc_lo
	s_cbranch_execnz .LBB1553_1215
.LBB1553_1145:                          ;   in Loop: Header=BB1553_1040 Depth=2
	s_or_b32 exec_lo, exec_lo, s34
	s_and_saveexec_b32 s34, s17
	s_cbranch_execnz .LBB1553_1216
.LBB1553_1146:                          ;   in Loop: Header=BB1553_1040 Depth=2
	s_or_b32 exec_lo, exec_lo, s34
	s_and_saveexec_b32 s34, s18
	s_cbranch_execnz .LBB1553_1217
.LBB1553_1147:                          ;   in Loop: Header=BB1553_1040 Depth=2
	s_or_b32 exec_lo, exec_lo, s34
	s_and_saveexec_b32 s34, s19
	s_cbranch_execnz .LBB1553_1218
.LBB1553_1148:                          ;   in Loop: Header=BB1553_1040 Depth=2
	s_or_b32 exec_lo, exec_lo, s34
	s_and_saveexec_b32 s34, s20
	s_cbranch_execnz .LBB1553_1219
.LBB1553_1149:                          ;   in Loop: Header=BB1553_1040 Depth=2
	s_or_b32 exec_lo, exec_lo, s34
	s_and_saveexec_b32 s34, s21
	s_cbranch_execnz .LBB1553_1220
.LBB1553_1150:                          ;   in Loop: Header=BB1553_1040 Depth=2
	s_or_b32 exec_lo, exec_lo, s34
	s_and_saveexec_b32 s34, s22
	s_cbranch_execnz .LBB1553_1221
.LBB1553_1151:                          ;   in Loop: Header=BB1553_1040 Depth=2
	s_or_b32 exec_lo, exec_lo, s34
	s_and_saveexec_b32 s34, s23
	s_cbranch_execnz .LBB1553_1222
.LBB1553_1152:                          ;   in Loop: Header=BB1553_1040 Depth=2
	s_or_b32 exec_lo, exec_lo, s34
	s_and_saveexec_b32 s34, s24
	s_cbranch_execnz .LBB1553_1223
.LBB1553_1153:                          ;   in Loop: Header=BB1553_1040 Depth=2
	s_or_b32 exec_lo, exec_lo, s34
	s_and_saveexec_b32 s34, s25
	s_cbranch_execnz .LBB1553_1224
.LBB1553_1154:                          ;   in Loop: Header=BB1553_1040 Depth=2
	s_or_b32 exec_lo, exec_lo, s34
	s_and_saveexec_b32 s34, s26
	s_cbranch_execnz .LBB1553_1225
.LBB1553_1155:                          ;   in Loop: Header=BB1553_1040 Depth=2
	s_or_b32 exec_lo, exec_lo, s34
	s_and_saveexec_b32 s34, s27
	s_cbranch_execnz .LBB1553_1226
.LBB1553_1156:                          ;   in Loop: Header=BB1553_1040 Depth=2
	s_or_b32 exec_lo, exec_lo, s34
	s_and_saveexec_b32 s34, s28
	s_cbranch_execnz .LBB1553_1227
.LBB1553_1157:                          ;   in Loop: Header=BB1553_1040 Depth=2
	s_or_b32 exec_lo, exec_lo, s34
	s_and_saveexec_b32 s34, s29
	s_cbranch_execnz .LBB1553_1228
.LBB1553_1158:                          ;   in Loop: Header=BB1553_1040 Depth=2
	s_or_b32 exec_lo, exec_lo, s34
	s_and_saveexec_b32 s34, s30
	s_cbranch_execnz .LBB1553_1229
.LBB1553_1159:                          ;   in Loop: Header=BB1553_1040 Depth=2
	s_or_b32 exec_lo, exec_lo, s34
	s_and_saveexec_b32 s34, s31
	s_cbranch_execnz .LBB1553_1230
.LBB1553_1160:                          ;   in Loop: Header=BB1553_1040 Depth=2
	s_or_b32 exec_lo, exec_lo, s34
	s_and_saveexec_b32 s34, s33
	s_cbranch_execz .LBB1553_1162
.LBB1553_1161:                          ;   in Loop: Header=BB1553_1040 Depth=2
	ds_load_u8 v3, v10 offset:4608
	s_wait_dscnt 0x0
	v_lshrrev_b32_e32 v3, s49, v3
	s_delay_alu instid0(VALU_DEP_1)
	v_and_b32_e32 v119, s58, v3
.LBB1553_1162:                          ;   in Loop: Header=BB1553_1040 Depth=2
	s_or_b32 exec_lo, exec_lo, s34
	v_dual_lshlrev_b32 v3, 3, v152 :: v_dual_lshlrev_b32 v4, 3, v151
	s_wait_loadcnt 0x0
	s_wait_storecnt 0x0
	s_barrier_signal -1
	s_barrier_wait -1
	ds_store_b64 v3, v[68:69] offset:512
	ds_store_b64 v4, v[66:67] offset:512
	v_dual_lshlrev_b32 v3, 3, v150 :: v_dual_lshlrev_b32 v4, 3, v149
	v_dual_lshlrev_b32 v5, 3, v148 :: v_dual_lshlrev_b32 v70, 3, v147
	v_lshlrev_b32_e32 v138, 3, v146
	ds_store_b64 v3, v[64:65] offset:512
	ds_store_b64 v4, v[62:63] offset:512
	ds_store_b64 v5, v[60:61] offset:512
	ds_store_b64 v70, v[58:59] offset:512
	ds_store_b64 v138, v[56:57] offset:512
	v_dual_lshlrev_b32 v3, 3, v145 :: v_dual_lshlrev_b32 v4, 3, v144
	v_dual_lshlrev_b32 v5, 3, v143 :: v_dual_lshlrev_b32 v70, 3, v142
	v_lshlrev_b32_e32 v138, 3, v141
	ds_store_b64 v3, v[54:55] offset:512
	ds_store_b64 v4, v[52:53] offset:512
	ds_store_b64 v5, v[50:51] offset:512
	;; [unrolled: 8-line block ×3, first 2 shown]
	ds_store_b64 v7, v[38:39] offset:512
	ds_store_b64 v6, v[36:37] offset:512
	v_add_nc_u32_e32 v3, v10, v100
	s_wait_dscnt 0x0
	s_barrier_signal -1
	s_barrier_wait -1
	s_and_saveexec_b32 s34, vcc_lo
	s_cbranch_execnz .LBB1553_1231
; %bb.1163:                             ;   in Loop: Header=BB1553_1040 Depth=2
	s_or_b32 exec_lo, exec_lo, s34
	s_and_saveexec_b32 s34, s17
	s_cbranch_execnz .LBB1553_1232
.LBB1553_1164:                          ;   in Loop: Header=BB1553_1040 Depth=2
	s_or_b32 exec_lo, exec_lo, s34
	s_and_saveexec_b32 s17, s18
	s_cbranch_execnz .LBB1553_1233
.LBB1553_1165:                          ;   in Loop: Header=BB1553_1040 Depth=2
	s_or_b32 exec_lo, exec_lo, s17
	s_and_saveexec_b32 s17, s19
	s_cbranch_execnz .LBB1553_1234
.LBB1553_1166:                          ;   in Loop: Header=BB1553_1040 Depth=2
	s_or_b32 exec_lo, exec_lo, s17
	s_and_saveexec_b32 s17, s20
	s_cbranch_execnz .LBB1553_1235
.LBB1553_1167:                          ;   in Loop: Header=BB1553_1040 Depth=2
	s_or_b32 exec_lo, exec_lo, s17
	s_and_saveexec_b32 s17, s21
	s_cbranch_execnz .LBB1553_1236
.LBB1553_1168:                          ;   in Loop: Header=BB1553_1040 Depth=2
	s_or_b32 exec_lo, exec_lo, s17
	s_and_saveexec_b32 s17, s22
	s_cbranch_execnz .LBB1553_1237
.LBB1553_1169:                          ;   in Loop: Header=BB1553_1040 Depth=2
	s_or_b32 exec_lo, exec_lo, s17
	s_and_saveexec_b32 s17, s23
	s_cbranch_execnz .LBB1553_1238
.LBB1553_1170:                          ;   in Loop: Header=BB1553_1040 Depth=2
	s_or_b32 exec_lo, exec_lo, s17
	s_and_saveexec_b32 s17, s24
	s_cbranch_execnz .LBB1553_1239
.LBB1553_1171:                          ;   in Loop: Header=BB1553_1040 Depth=2
	s_or_b32 exec_lo, exec_lo, s17
	s_and_saveexec_b32 s17, s25
	s_cbranch_execnz .LBB1553_1240
.LBB1553_1172:                          ;   in Loop: Header=BB1553_1040 Depth=2
	s_or_b32 exec_lo, exec_lo, s17
	s_and_saveexec_b32 s17, s26
	s_cbranch_execnz .LBB1553_1241
.LBB1553_1173:                          ;   in Loop: Header=BB1553_1040 Depth=2
	s_or_b32 exec_lo, exec_lo, s17
	s_and_saveexec_b32 s17, s27
	s_cbranch_execnz .LBB1553_1242
.LBB1553_1174:                          ;   in Loop: Header=BB1553_1040 Depth=2
	s_or_b32 exec_lo, exec_lo, s17
	s_and_saveexec_b32 s17, s28
	s_cbranch_execnz .LBB1553_1243
.LBB1553_1175:                          ;   in Loop: Header=BB1553_1040 Depth=2
	s_or_b32 exec_lo, exec_lo, s17
	s_and_saveexec_b32 s17, s29
	s_cbranch_execnz .LBB1553_1244
.LBB1553_1176:                          ;   in Loop: Header=BB1553_1040 Depth=2
	s_or_b32 exec_lo, exec_lo, s17
	s_and_saveexec_b32 s17, s30
	s_cbranch_execnz .LBB1553_1245
.LBB1553_1177:                          ;   in Loop: Header=BB1553_1040 Depth=2
	s_or_b32 exec_lo, exec_lo, s17
	s_and_saveexec_b32 s17, s31
	s_cbranch_execnz .LBB1553_1246
.LBB1553_1178:                          ;   in Loop: Header=BB1553_1040 Depth=2
	s_or_b32 exec_lo, exec_lo, s17
	s_and_saveexec_b32 s17, s33
	s_cbranch_execz .LBB1553_1180
.LBB1553_1179:                          ;   in Loop: Header=BB1553_1040 Depth=2
	v_lshlrev_b32_e32 v4, 2, v119
	ds_load_b32 v6, v4
	ds_load_b64 v[4:5], v3 offset:33280
	s_wait_dscnt 0x1
	v_add_nc_u32_e32 v3, v6, v87
	s_wait_dscnt 0x0
	global_store_b64 v3, v[4:5], s[46:47] scale_offset
.LBB1553_1180:                          ;   in Loop: Header=BB1553_1040 Depth=2
	s_wait_xcnt 0x0
	s_or_b32 exec_lo, exec_lo, s17
	s_wait_storecnt 0x0
	s_barrier_signal -1
	s_barrier_wait -1
	s_and_saveexec_b32 s17, s0
	s_cbranch_execz .LBB1553_1039
; %bb.1181:                             ;   in Loop: Header=BB1553_1040 Depth=2
	ds_load_b32 v3, v9
	s_wait_dscnt 0x0
	v_add3_u32 v3, v136, v137, v3
	ds_store_b32 v9, v3
	s_branch .LBB1553_1039
.LBB1553_1182:                          ;   in Loop: Header=BB1553_1040 Depth=2
	ds_load_u8 v4, v10 offset:512
	s_wait_dscnt 0x0
	v_and_b32_e32 v5, 1, v4
	s_delay_alu instid0(VALU_DEP_1) | instskip(NEXT) | instid1(VALU_DEP_1)
	v_dual_lshrrev_b32 v5, s49, v5 :: v_dual_bitop2_b32 v4, 1, v4 bitop3:0x14
	v_and_b32_e32 v5, s58, v5
	s_delay_alu instid0(VALU_DEP_1)
	v_lshlrev_b32_e32 v5, 2, v5
	ds_load_b32 v5, v5
	s_wait_dscnt 0x0
	v_add_nc_u32_e32 v5, v5, v10
	global_store_b8 v5, v4, s[40:41]
	s_wait_xcnt 0x0
	s_or_b32 exec_lo, exec_lo, s17
	v_cmp_lt_u32_e64 s17, v72, v3
	s_and_saveexec_b32 s18, s17
	s_cbranch_execz .LBB1553_1111
.LBB1553_1183:                          ;   in Loop: Header=BB1553_1040 Depth=2
	ds_load_u8 v4, v10 offset:768
	s_wait_dscnt 0x0
	v_and_b32_e32 v5, 1, v4
	s_delay_alu instid0(VALU_DEP_1) | instskip(NEXT) | instid1(VALU_DEP_1)
	v_dual_lshrrev_b32 v5, s49, v5 :: v_dual_bitop2_b32 v4, 1, v4 bitop3:0x14
	v_and_b32_e32 v5, s58, v5
	s_delay_alu instid0(VALU_DEP_1)
	v_lshlrev_b32_e32 v5, 2, v5
	ds_load_b32 v5, v5
	s_wait_dscnt 0x0
	v_add_nc_u32_e32 v5, v5, v72
	global_store_b8 v5, v4, s[40:41]
	s_wait_xcnt 0x0
	s_or_b32 exec_lo, exec_lo, s18
	v_cmp_lt_u32_e64 s18, v73, v3
	s_and_saveexec_b32 s19, s18
	s_cbranch_execz .LBB1553_1112
.LBB1553_1184:                          ;   in Loop: Header=BB1553_1040 Depth=2
	ds_load_u8 v4, v10 offset:1024
	s_wait_dscnt 0x0
	v_and_b32_e32 v5, 1, v4
	s_delay_alu instid0(VALU_DEP_1) | instskip(NEXT) | instid1(VALU_DEP_1)
	v_dual_lshrrev_b32 v5, s49, v5 :: v_dual_bitop2_b32 v4, 1, v4 bitop3:0x14
	v_and_b32_e32 v5, s58, v5
	s_delay_alu instid0(VALU_DEP_1)
	v_lshlrev_b32_e32 v5, 2, v5
	ds_load_b32 v5, v5
	s_wait_dscnt 0x0
	v_add_nc_u32_e32 v5, v5, v73
	global_store_b8 v5, v4, s[40:41]
	s_wait_xcnt 0x0
	s_or_b32 exec_lo, exec_lo, s19
	v_cmp_lt_u32_e64 s19, v74, v3
	s_and_saveexec_b32 s20, s19
	s_cbranch_execz .LBB1553_1113
.LBB1553_1185:                          ;   in Loop: Header=BB1553_1040 Depth=2
	ds_load_u8 v4, v10 offset:1280
	s_wait_dscnt 0x0
	v_and_b32_e32 v5, 1, v4
	s_delay_alu instid0(VALU_DEP_1) | instskip(NEXT) | instid1(VALU_DEP_1)
	v_dual_lshrrev_b32 v5, s49, v5 :: v_dual_bitop2_b32 v4, 1, v4 bitop3:0x14
	v_and_b32_e32 v5, s58, v5
	s_delay_alu instid0(VALU_DEP_1)
	v_lshlrev_b32_e32 v5, 2, v5
	ds_load_b32 v5, v5
	s_wait_dscnt 0x0
	v_add_nc_u32_e32 v5, v5, v74
	global_store_b8 v5, v4, s[40:41]
	s_wait_xcnt 0x0
	s_or_b32 exec_lo, exec_lo, s20
	v_cmp_lt_u32_e64 s20, v75, v3
	s_and_saveexec_b32 s21, s20
	s_cbranch_execz .LBB1553_1114
.LBB1553_1186:                          ;   in Loop: Header=BB1553_1040 Depth=2
	ds_load_u8 v4, v10 offset:1536
	s_wait_dscnt 0x0
	v_and_b32_e32 v5, 1, v4
	s_delay_alu instid0(VALU_DEP_1) | instskip(NEXT) | instid1(VALU_DEP_1)
	v_dual_lshrrev_b32 v5, s49, v5 :: v_dual_bitop2_b32 v4, 1, v4 bitop3:0x14
	v_and_b32_e32 v5, s58, v5
	s_delay_alu instid0(VALU_DEP_1)
	v_lshlrev_b32_e32 v5, 2, v5
	ds_load_b32 v5, v5
	s_wait_dscnt 0x0
	v_add_nc_u32_e32 v5, v5, v75
	global_store_b8 v5, v4, s[40:41]
	s_wait_xcnt 0x0
	s_or_b32 exec_lo, exec_lo, s21
	v_cmp_lt_u32_e64 s21, v76, v3
	s_and_saveexec_b32 s22, s21
	s_cbranch_execz .LBB1553_1115
.LBB1553_1187:                          ;   in Loop: Header=BB1553_1040 Depth=2
	ds_load_u8 v4, v10 offset:1792
	s_wait_dscnt 0x0
	v_and_b32_e32 v5, 1, v4
	s_delay_alu instid0(VALU_DEP_1) | instskip(NEXT) | instid1(VALU_DEP_1)
	v_dual_lshrrev_b32 v5, s49, v5 :: v_dual_bitop2_b32 v4, 1, v4 bitop3:0x14
	v_and_b32_e32 v5, s58, v5
	s_delay_alu instid0(VALU_DEP_1)
	v_lshlrev_b32_e32 v5, 2, v5
	ds_load_b32 v5, v5
	s_wait_dscnt 0x0
	v_add_nc_u32_e32 v5, v5, v76
	global_store_b8 v5, v4, s[40:41]
	s_wait_xcnt 0x0
	s_or_b32 exec_lo, exec_lo, s22
	v_cmp_lt_u32_e64 s22, v77, v3
	s_and_saveexec_b32 s23, s22
	s_cbranch_execz .LBB1553_1116
.LBB1553_1188:                          ;   in Loop: Header=BB1553_1040 Depth=2
	ds_load_u8 v4, v10 offset:2048
	s_wait_dscnt 0x0
	v_and_b32_e32 v5, 1, v4
	s_delay_alu instid0(VALU_DEP_1) | instskip(NEXT) | instid1(VALU_DEP_1)
	v_dual_lshrrev_b32 v5, s49, v5 :: v_dual_bitop2_b32 v4, 1, v4 bitop3:0x14
	v_and_b32_e32 v5, s58, v5
	s_delay_alu instid0(VALU_DEP_1)
	v_lshlrev_b32_e32 v5, 2, v5
	ds_load_b32 v5, v5
	s_wait_dscnt 0x0
	v_add_nc_u32_e32 v5, v5, v77
	global_store_b8 v5, v4, s[40:41]
	s_wait_xcnt 0x0
	s_or_b32 exec_lo, exec_lo, s23
	v_cmp_lt_u32_e64 s23, v78, v3
	s_and_saveexec_b32 s24, s23
	s_cbranch_execz .LBB1553_1117
.LBB1553_1189:                          ;   in Loop: Header=BB1553_1040 Depth=2
	ds_load_u8 v4, v10 offset:2304
	s_wait_dscnt 0x0
	v_and_b32_e32 v5, 1, v4
	s_delay_alu instid0(VALU_DEP_1) | instskip(NEXT) | instid1(VALU_DEP_1)
	v_dual_lshrrev_b32 v5, s49, v5 :: v_dual_bitop2_b32 v4, 1, v4 bitop3:0x14
	v_and_b32_e32 v5, s58, v5
	s_delay_alu instid0(VALU_DEP_1)
	v_lshlrev_b32_e32 v5, 2, v5
	ds_load_b32 v5, v5
	s_wait_dscnt 0x0
	v_add_nc_u32_e32 v5, v5, v78
	global_store_b8 v5, v4, s[40:41]
	s_wait_xcnt 0x0
	s_or_b32 exec_lo, exec_lo, s24
	v_cmp_lt_u32_e64 s24, v79, v3
	s_and_saveexec_b32 s25, s24
	s_cbranch_execz .LBB1553_1118
.LBB1553_1190:                          ;   in Loop: Header=BB1553_1040 Depth=2
	ds_load_u8 v4, v10 offset:2560
	s_wait_dscnt 0x0
	v_and_b32_e32 v5, 1, v4
	s_delay_alu instid0(VALU_DEP_1) | instskip(NEXT) | instid1(VALU_DEP_1)
	v_dual_lshrrev_b32 v5, s49, v5 :: v_dual_bitop2_b32 v4, 1, v4 bitop3:0x14
	v_and_b32_e32 v5, s58, v5
	s_delay_alu instid0(VALU_DEP_1)
	v_lshlrev_b32_e32 v5, 2, v5
	ds_load_b32 v5, v5
	s_wait_dscnt 0x0
	v_add_nc_u32_e32 v5, v5, v79
	global_store_b8 v5, v4, s[40:41]
	s_wait_xcnt 0x0
	s_or_b32 exec_lo, exec_lo, s25
	v_cmp_lt_u32_e64 s25, v80, v3
	s_and_saveexec_b32 s26, s25
	s_cbranch_execz .LBB1553_1119
.LBB1553_1191:                          ;   in Loop: Header=BB1553_1040 Depth=2
	ds_load_u8 v4, v10 offset:2816
	s_wait_dscnt 0x0
	v_and_b32_e32 v5, 1, v4
	s_delay_alu instid0(VALU_DEP_1) | instskip(NEXT) | instid1(VALU_DEP_1)
	v_dual_lshrrev_b32 v5, s49, v5 :: v_dual_bitop2_b32 v4, 1, v4 bitop3:0x14
	v_and_b32_e32 v5, s58, v5
	s_delay_alu instid0(VALU_DEP_1)
	v_lshlrev_b32_e32 v5, 2, v5
	ds_load_b32 v5, v5
	s_wait_dscnt 0x0
	v_add_nc_u32_e32 v5, v5, v80
	global_store_b8 v5, v4, s[40:41]
	s_wait_xcnt 0x0
	s_or_b32 exec_lo, exec_lo, s26
	v_cmp_lt_u32_e64 s26, v81, v3
	s_and_saveexec_b32 s27, s26
	s_cbranch_execz .LBB1553_1120
.LBB1553_1192:                          ;   in Loop: Header=BB1553_1040 Depth=2
	ds_load_u8 v4, v10 offset:3072
	s_wait_dscnt 0x0
	v_and_b32_e32 v5, 1, v4
	s_delay_alu instid0(VALU_DEP_1) | instskip(NEXT) | instid1(VALU_DEP_1)
	v_dual_lshrrev_b32 v5, s49, v5 :: v_dual_bitop2_b32 v4, 1, v4 bitop3:0x14
	v_and_b32_e32 v5, s58, v5
	s_delay_alu instid0(VALU_DEP_1)
	v_lshlrev_b32_e32 v5, 2, v5
	ds_load_b32 v5, v5
	s_wait_dscnt 0x0
	v_add_nc_u32_e32 v5, v5, v81
	global_store_b8 v5, v4, s[40:41]
	s_wait_xcnt 0x0
	s_or_b32 exec_lo, exec_lo, s27
	v_cmp_lt_u32_e64 s27, v82, v3
	s_and_saveexec_b32 s28, s27
	s_cbranch_execz .LBB1553_1121
.LBB1553_1193:                          ;   in Loop: Header=BB1553_1040 Depth=2
	ds_load_u8 v4, v10 offset:3328
	s_wait_dscnt 0x0
	v_and_b32_e32 v5, 1, v4
	s_delay_alu instid0(VALU_DEP_1) | instskip(NEXT) | instid1(VALU_DEP_1)
	v_dual_lshrrev_b32 v5, s49, v5 :: v_dual_bitop2_b32 v4, 1, v4 bitop3:0x14
	v_and_b32_e32 v5, s58, v5
	s_delay_alu instid0(VALU_DEP_1)
	v_lshlrev_b32_e32 v5, 2, v5
	ds_load_b32 v5, v5
	s_wait_dscnt 0x0
	v_add_nc_u32_e32 v5, v5, v82
	global_store_b8 v5, v4, s[40:41]
	s_wait_xcnt 0x0
	s_or_b32 exec_lo, exec_lo, s28
	v_cmp_lt_u32_e64 s28, v83, v3
	s_and_saveexec_b32 s29, s28
	s_cbranch_execz .LBB1553_1122
.LBB1553_1194:                          ;   in Loop: Header=BB1553_1040 Depth=2
	ds_load_u8 v4, v10 offset:3584
	s_wait_dscnt 0x0
	v_and_b32_e32 v5, 1, v4
	s_delay_alu instid0(VALU_DEP_1) | instskip(NEXT) | instid1(VALU_DEP_1)
	v_dual_lshrrev_b32 v5, s49, v5 :: v_dual_bitop2_b32 v4, 1, v4 bitop3:0x14
	v_and_b32_e32 v5, s58, v5
	s_delay_alu instid0(VALU_DEP_1)
	v_lshlrev_b32_e32 v5, 2, v5
	ds_load_b32 v5, v5
	s_wait_dscnt 0x0
	v_add_nc_u32_e32 v5, v5, v83
	global_store_b8 v5, v4, s[40:41]
	s_wait_xcnt 0x0
	s_or_b32 exec_lo, exec_lo, s29
	v_cmp_lt_u32_e64 s29, v84, v3
	s_and_saveexec_b32 s30, s29
	s_cbranch_execz .LBB1553_1123
.LBB1553_1195:                          ;   in Loop: Header=BB1553_1040 Depth=2
	ds_load_u8 v4, v10 offset:3840
	s_wait_dscnt 0x0
	v_and_b32_e32 v5, 1, v4
	s_delay_alu instid0(VALU_DEP_1) | instskip(NEXT) | instid1(VALU_DEP_1)
	v_dual_lshrrev_b32 v5, s49, v5 :: v_dual_bitop2_b32 v4, 1, v4 bitop3:0x14
	v_and_b32_e32 v5, s58, v5
	s_delay_alu instid0(VALU_DEP_1)
	v_lshlrev_b32_e32 v5, 2, v5
	ds_load_b32 v5, v5
	s_wait_dscnt 0x0
	v_add_nc_u32_e32 v5, v5, v84
	global_store_b8 v5, v4, s[40:41]
	s_wait_xcnt 0x0
	s_or_b32 exec_lo, exec_lo, s30
	v_cmp_lt_u32_e64 s30, v85, v3
	s_and_saveexec_b32 s31, s30
	s_cbranch_execz .LBB1553_1124
.LBB1553_1196:                          ;   in Loop: Header=BB1553_1040 Depth=2
	ds_load_u8 v4, v10 offset:4096
	s_wait_dscnt 0x0
	v_and_b32_e32 v5, 1, v4
	s_delay_alu instid0(VALU_DEP_1) | instskip(NEXT) | instid1(VALU_DEP_1)
	v_dual_lshrrev_b32 v5, s49, v5 :: v_dual_bitop2_b32 v4, 1, v4 bitop3:0x14
	v_and_b32_e32 v5, s58, v5
	s_delay_alu instid0(VALU_DEP_1)
	v_lshlrev_b32_e32 v5, 2, v5
	ds_load_b32 v5, v5
	s_wait_dscnt 0x0
	v_add_nc_u32_e32 v5, v5, v85
	global_store_b8 v5, v4, s[40:41]
	s_wait_xcnt 0x0
	s_or_b32 exec_lo, exec_lo, s31
	v_cmp_lt_u32_e64 s31, v86, v3
	s_and_saveexec_b32 s33, s31
	s_cbranch_execz .LBB1553_1125
.LBB1553_1197:                          ;   in Loop: Header=BB1553_1040 Depth=2
	ds_load_u8 v4, v10 offset:4352
	s_wait_dscnt 0x0
	v_and_b32_e32 v5, 1, v4
	s_delay_alu instid0(VALU_DEP_1) | instskip(NEXT) | instid1(VALU_DEP_1)
	v_dual_lshrrev_b32 v5, s49, v5 :: v_dual_bitop2_b32 v4, 1, v4 bitop3:0x14
	v_and_b32_e32 v5, s58, v5
	s_delay_alu instid0(VALU_DEP_1)
	v_lshlrev_b32_e32 v5, 2, v5
	ds_load_b32 v5, v5
	s_wait_dscnt 0x0
	v_add_nc_u32_e32 v5, v5, v86
	global_store_b8 v5, v4, s[40:41]
	s_wait_xcnt 0x0
	s_or_b32 exec_lo, exec_lo, s33
	v_cmp_lt_u32_e64 s33, v87, v3
	s_and_saveexec_b32 s34, s33
	s_cbranch_execnz .LBB1553_1126
	s_branch .LBB1553_1127
.LBB1553_1198:                          ;   in Loop: Header=BB1553_1040 Depth=2
	global_load_b64 v[68:69], v[4:5], off
	s_wait_xcnt 0x0
	s_or_b32 exec_lo, exec_lo, s34
	s_delay_alu instid0(SALU_CYCLE_1)
	s_mov_b32 s42, exec_lo
	v_cmpx_lt_u32_e64 v103, v3
	s_cbranch_execz .LBB1553_1129
.LBB1553_1199:                          ;   in Loop: Header=BB1553_1040 Depth=2
	global_load_b64 v[66:67], v[4:5], off offset:256
	s_wait_xcnt 0x0
	s_or_b32 exec_lo, exec_lo, s42
	s_delay_alu instid0(SALU_CYCLE_1)
	s_mov_b32 s42, exec_lo
	v_cmpx_lt_u32_e64 v104, v3
	s_cbranch_execz .LBB1553_1130
.LBB1553_1200:                          ;   in Loop: Header=BB1553_1040 Depth=2
	global_load_b64 v[64:65], v[4:5], off offset:512
	s_wait_xcnt 0x0
	s_or_b32 exec_lo, exec_lo, s42
	s_delay_alu instid0(SALU_CYCLE_1)
	s_mov_b32 s42, exec_lo
	v_cmpx_lt_u32_e64 v105, v3
	s_cbranch_execz .LBB1553_1131
.LBB1553_1201:                          ;   in Loop: Header=BB1553_1040 Depth=2
	global_load_b64 v[62:63], v[4:5], off offset:768
	s_wait_xcnt 0x0
	s_or_b32 exec_lo, exec_lo, s42
	s_delay_alu instid0(SALU_CYCLE_1)
	s_mov_b32 s42, exec_lo
	v_cmpx_lt_u32_e64 v106, v3
	s_cbranch_execz .LBB1553_1132
.LBB1553_1202:                          ;   in Loop: Header=BB1553_1040 Depth=2
	global_load_b64 v[60:61], v[4:5], off offset:1024
	s_wait_xcnt 0x0
	s_or_b32 exec_lo, exec_lo, s42
	s_delay_alu instid0(SALU_CYCLE_1)
	s_mov_b32 s42, exec_lo
	v_cmpx_lt_u32_e64 v107, v3
	s_cbranch_execz .LBB1553_1133
.LBB1553_1203:                          ;   in Loop: Header=BB1553_1040 Depth=2
	global_load_b64 v[58:59], v[4:5], off offset:1280
	s_wait_xcnt 0x0
	s_or_b32 exec_lo, exec_lo, s42
	s_delay_alu instid0(SALU_CYCLE_1)
	s_mov_b32 s42, exec_lo
	v_cmpx_lt_u32_e64 v108, v3
	s_cbranch_execz .LBB1553_1134
.LBB1553_1204:                          ;   in Loop: Header=BB1553_1040 Depth=2
	global_load_b64 v[56:57], v[4:5], off offset:1536
	s_wait_xcnt 0x0
	s_or_b32 exec_lo, exec_lo, s42
	s_delay_alu instid0(SALU_CYCLE_1)
	s_mov_b32 s42, exec_lo
	v_cmpx_lt_u32_e64 v109, v3
	s_cbranch_execz .LBB1553_1135
.LBB1553_1205:                          ;   in Loop: Header=BB1553_1040 Depth=2
	global_load_b64 v[54:55], v[4:5], off offset:1792
	s_wait_xcnt 0x0
	s_or_b32 exec_lo, exec_lo, s42
	s_delay_alu instid0(SALU_CYCLE_1)
	s_mov_b32 s42, exec_lo
	v_cmpx_lt_u32_e64 v110, v3
	s_cbranch_execz .LBB1553_1136
.LBB1553_1206:                          ;   in Loop: Header=BB1553_1040 Depth=2
	global_load_b64 v[52:53], v[4:5], off offset:2048
	s_wait_xcnt 0x0
	s_or_b32 exec_lo, exec_lo, s42
	s_delay_alu instid0(SALU_CYCLE_1)
	s_mov_b32 s42, exec_lo
	v_cmpx_lt_u32_e64 v111, v3
	s_cbranch_execz .LBB1553_1137
.LBB1553_1207:                          ;   in Loop: Header=BB1553_1040 Depth=2
	global_load_b64 v[50:51], v[4:5], off offset:2304
	s_wait_xcnt 0x0
	s_or_b32 exec_lo, exec_lo, s42
	s_delay_alu instid0(SALU_CYCLE_1)
	s_mov_b32 s42, exec_lo
	v_cmpx_lt_u32_e64 v112, v3
	s_cbranch_execz .LBB1553_1138
.LBB1553_1208:                          ;   in Loop: Header=BB1553_1040 Depth=2
	global_load_b64 v[48:49], v[4:5], off offset:2560
	s_wait_xcnt 0x0
	s_or_b32 exec_lo, exec_lo, s42
	s_delay_alu instid0(SALU_CYCLE_1)
	s_mov_b32 s42, exec_lo
	v_cmpx_lt_u32_e64 v113, v3
	s_cbranch_execz .LBB1553_1139
.LBB1553_1209:                          ;   in Loop: Header=BB1553_1040 Depth=2
	global_load_b64 v[46:47], v[4:5], off offset:2816
	s_wait_xcnt 0x0
	s_or_b32 exec_lo, exec_lo, s42
	s_delay_alu instid0(SALU_CYCLE_1)
	s_mov_b32 s42, exec_lo
	v_cmpx_lt_u32_e64 v114, v3
	s_cbranch_execz .LBB1553_1140
.LBB1553_1210:                          ;   in Loop: Header=BB1553_1040 Depth=2
	global_load_b64 v[44:45], v[4:5], off offset:3072
	s_wait_xcnt 0x0
	s_or_b32 exec_lo, exec_lo, s42
	s_delay_alu instid0(SALU_CYCLE_1)
	s_mov_b32 s42, exec_lo
	v_cmpx_lt_u32_e64 v115, v3
	s_cbranch_execz .LBB1553_1141
.LBB1553_1211:                          ;   in Loop: Header=BB1553_1040 Depth=2
	global_load_b64 v[42:43], v[4:5], off offset:3328
	s_wait_xcnt 0x0
	s_or_b32 exec_lo, exec_lo, s42
	s_delay_alu instid0(SALU_CYCLE_1)
	s_mov_b32 s42, exec_lo
	v_cmpx_lt_u32_e64 v116, v3
	s_cbranch_execz .LBB1553_1142
.LBB1553_1212:                          ;   in Loop: Header=BB1553_1040 Depth=2
	global_load_b64 v[40:41], v[4:5], off offset:3584
	s_wait_xcnt 0x0
	s_or_b32 exec_lo, exec_lo, s42
	s_delay_alu instid0(SALU_CYCLE_1)
	s_mov_b32 s42, exec_lo
	v_cmpx_lt_u32_e64 v117, v3
	s_cbranch_execz .LBB1553_1143
.LBB1553_1213:                          ;   in Loop: Header=BB1553_1040 Depth=2
	global_load_b64 v[38:39], v[4:5], off offset:3840
	s_wait_xcnt 0x0
	s_or_b32 exec_lo, exec_lo, s42
	s_delay_alu instid0(SALU_CYCLE_1)
	s_mov_b32 s42, exec_lo
	v_cmpx_lt_u32_e64 v118, v3
	s_cbranch_execz .LBB1553_1144
.LBB1553_1214:                          ;   in Loop: Header=BB1553_1040 Depth=2
	global_load_b64 v[36:37], v[4:5], off offset:4096
	s_wait_xcnt 0x0
	s_or_b32 exec_lo, exec_lo, s42
	s_and_saveexec_b32 s34, vcc_lo
	s_cbranch_execz .LBB1553_1145
.LBB1553_1215:                          ;   in Loop: Header=BB1553_1040 Depth=2
	ds_load_u8 v3, v10 offset:512
	s_wait_dscnt 0x0
	v_lshrrev_b32_e32 v3, s49, v3
	s_delay_alu instid0(VALU_DEP_1)
	v_and_b32_e32 v135, s58, v3
	s_or_b32 exec_lo, exec_lo, s34
	s_and_saveexec_b32 s34, s17
	s_cbranch_execz .LBB1553_1146
.LBB1553_1216:                          ;   in Loop: Header=BB1553_1040 Depth=2
	ds_load_u8 v3, v10 offset:768
	s_wait_dscnt 0x0
	v_lshrrev_b32_e32 v3, s49, v3
	s_delay_alu instid0(VALU_DEP_1)
	v_and_b32_e32 v134, s58, v3
	s_or_b32 exec_lo, exec_lo, s34
	s_and_saveexec_b32 s34, s18
	s_cbranch_execz .LBB1553_1147
.LBB1553_1217:                          ;   in Loop: Header=BB1553_1040 Depth=2
	ds_load_u8 v3, v10 offset:1024
	s_wait_dscnt 0x0
	v_lshrrev_b32_e32 v3, s49, v3
	s_delay_alu instid0(VALU_DEP_1)
	v_and_b32_e32 v133, s58, v3
	s_or_b32 exec_lo, exec_lo, s34
	s_and_saveexec_b32 s34, s19
	s_cbranch_execz .LBB1553_1148
.LBB1553_1218:                          ;   in Loop: Header=BB1553_1040 Depth=2
	ds_load_u8 v3, v10 offset:1280
	s_wait_dscnt 0x0
	v_lshrrev_b32_e32 v3, s49, v3
	s_delay_alu instid0(VALU_DEP_1)
	v_and_b32_e32 v132, s58, v3
	s_or_b32 exec_lo, exec_lo, s34
	s_and_saveexec_b32 s34, s20
	s_cbranch_execz .LBB1553_1149
.LBB1553_1219:                          ;   in Loop: Header=BB1553_1040 Depth=2
	ds_load_u8 v3, v10 offset:1536
	s_wait_dscnt 0x0
	v_lshrrev_b32_e32 v3, s49, v3
	s_delay_alu instid0(VALU_DEP_1)
	v_and_b32_e32 v131, s58, v3
	s_or_b32 exec_lo, exec_lo, s34
	s_and_saveexec_b32 s34, s21
	s_cbranch_execz .LBB1553_1150
.LBB1553_1220:                          ;   in Loop: Header=BB1553_1040 Depth=2
	ds_load_u8 v3, v10 offset:1792
	s_wait_dscnt 0x0
	v_lshrrev_b32_e32 v3, s49, v3
	s_delay_alu instid0(VALU_DEP_1)
	v_and_b32_e32 v130, s58, v3
	s_or_b32 exec_lo, exec_lo, s34
	s_and_saveexec_b32 s34, s22
	s_cbranch_execz .LBB1553_1151
.LBB1553_1221:                          ;   in Loop: Header=BB1553_1040 Depth=2
	ds_load_u8 v3, v10 offset:2048
	s_wait_dscnt 0x0
	v_lshrrev_b32_e32 v3, s49, v3
	s_delay_alu instid0(VALU_DEP_1)
	v_and_b32_e32 v129, s58, v3
	s_or_b32 exec_lo, exec_lo, s34
	s_and_saveexec_b32 s34, s23
	s_cbranch_execz .LBB1553_1152
.LBB1553_1222:                          ;   in Loop: Header=BB1553_1040 Depth=2
	ds_load_u8 v3, v10 offset:2304
	s_wait_dscnt 0x0
	v_lshrrev_b32_e32 v3, s49, v3
	s_delay_alu instid0(VALU_DEP_1)
	v_and_b32_e32 v128, s58, v3
	s_or_b32 exec_lo, exec_lo, s34
	s_and_saveexec_b32 s34, s24
	s_cbranch_execz .LBB1553_1153
.LBB1553_1223:                          ;   in Loop: Header=BB1553_1040 Depth=2
	ds_load_u8 v3, v10 offset:2560
	s_wait_dscnt 0x0
	v_lshrrev_b32_e32 v3, s49, v3
	s_delay_alu instid0(VALU_DEP_1)
	v_and_b32_e32 v127, s58, v3
	s_or_b32 exec_lo, exec_lo, s34
	s_and_saveexec_b32 s34, s25
	s_cbranch_execz .LBB1553_1154
.LBB1553_1224:                          ;   in Loop: Header=BB1553_1040 Depth=2
	ds_load_u8 v3, v10 offset:2816
	s_wait_dscnt 0x0
	v_lshrrev_b32_e32 v3, s49, v3
	s_delay_alu instid0(VALU_DEP_1)
	v_and_b32_e32 v126, s58, v3
	s_or_b32 exec_lo, exec_lo, s34
	s_and_saveexec_b32 s34, s26
	s_cbranch_execz .LBB1553_1155
.LBB1553_1225:                          ;   in Loop: Header=BB1553_1040 Depth=2
	ds_load_u8 v3, v10 offset:3072
	s_wait_dscnt 0x0
	v_lshrrev_b32_e32 v3, s49, v3
	s_delay_alu instid0(VALU_DEP_1)
	v_and_b32_e32 v125, s58, v3
	s_or_b32 exec_lo, exec_lo, s34
	s_and_saveexec_b32 s34, s27
	s_cbranch_execz .LBB1553_1156
.LBB1553_1226:                          ;   in Loop: Header=BB1553_1040 Depth=2
	ds_load_u8 v3, v10 offset:3328
	s_wait_dscnt 0x0
	v_lshrrev_b32_e32 v3, s49, v3
	s_delay_alu instid0(VALU_DEP_1)
	v_and_b32_e32 v124, s58, v3
	s_or_b32 exec_lo, exec_lo, s34
	s_and_saveexec_b32 s34, s28
	s_cbranch_execz .LBB1553_1157
.LBB1553_1227:                          ;   in Loop: Header=BB1553_1040 Depth=2
	ds_load_u8 v3, v10 offset:3584
	s_wait_dscnt 0x0
	v_lshrrev_b32_e32 v3, s49, v3
	s_delay_alu instid0(VALU_DEP_1)
	v_and_b32_e32 v123, s58, v3
	s_or_b32 exec_lo, exec_lo, s34
	s_and_saveexec_b32 s34, s29
	s_cbranch_execz .LBB1553_1158
.LBB1553_1228:                          ;   in Loop: Header=BB1553_1040 Depth=2
	ds_load_u8 v3, v10 offset:3840
	s_wait_dscnt 0x0
	v_lshrrev_b32_e32 v3, s49, v3
	s_delay_alu instid0(VALU_DEP_1)
	v_and_b32_e32 v122, s58, v3
	s_or_b32 exec_lo, exec_lo, s34
	s_and_saveexec_b32 s34, s30
	s_cbranch_execz .LBB1553_1159
.LBB1553_1229:                          ;   in Loop: Header=BB1553_1040 Depth=2
	ds_load_u8 v3, v10 offset:4096
	s_wait_dscnt 0x0
	v_lshrrev_b32_e32 v3, s49, v3
	s_delay_alu instid0(VALU_DEP_1)
	v_and_b32_e32 v121, s58, v3
	s_or_b32 exec_lo, exec_lo, s34
	s_and_saveexec_b32 s34, s31
	s_cbranch_execz .LBB1553_1160
.LBB1553_1230:                          ;   in Loop: Header=BB1553_1040 Depth=2
	ds_load_u8 v3, v10 offset:4352
	s_wait_dscnt 0x0
	v_lshrrev_b32_e32 v3, s49, v3
	s_delay_alu instid0(VALU_DEP_1)
	v_and_b32_e32 v120, s58, v3
	s_or_b32 exec_lo, exec_lo, s34
	s_and_saveexec_b32 s34, s33
	s_cbranch_execnz .LBB1553_1161
	s_branch .LBB1553_1162
.LBB1553_1231:                          ;   in Loop: Header=BB1553_1040 Depth=2
	v_lshlrev_b32_e32 v4, 2, v135
	ds_load_b32 v6, v4
	ds_load_b64 v[4:5], v3 offset:512
	s_wait_dscnt 0x1
	v_add_nc_u32_e32 v6, v6, v10
	s_wait_dscnt 0x0
	global_store_b64 v6, v[4:5], s[46:47] scale_offset
	s_wait_xcnt 0x0
	s_or_b32 exec_lo, exec_lo, s34
	s_and_saveexec_b32 s34, s17
	s_cbranch_execz .LBB1553_1164
.LBB1553_1232:                          ;   in Loop: Header=BB1553_1040 Depth=2
	v_lshlrev_b32_e32 v4, 2, v134
	ds_load_b32 v6, v4
	ds_load_b64 v[4:5], v3 offset:2560
	s_wait_dscnt 0x1
	v_add_nc_u32_e32 v6, v6, v72
	s_wait_dscnt 0x0
	global_store_b64 v6, v[4:5], s[46:47] scale_offset
	s_wait_xcnt 0x0
	s_or_b32 exec_lo, exec_lo, s34
	s_and_saveexec_b32 s17, s18
	s_cbranch_execz .LBB1553_1165
.LBB1553_1233:                          ;   in Loop: Header=BB1553_1040 Depth=2
	v_lshlrev_b32_e32 v4, 2, v133
	ds_load_b32 v6, v4
	ds_load_b64 v[4:5], v3 offset:4608
	s_wait_dscnt 0x1
	v_add_nc_u32_e32 v6, v6, v73
	s_wait_dscnt 0x0
	global_store_b64 v6, v[4:5], s[46:47] scale_offset
	s_wait_xcnt 0x0
	s_or_b32 exec_lo, exec_lo, s17
	s_and_saveexec_b32 s17, s19
	s_cbranch_execz .LBB1553_1166
.LBB1553_1234:                          ;   in Loop: Header=BB1553_1040 Depth=2
	v_lshlrev_b32_e32 v4, 2, v132
	ds_load_b32 v6, v4
	ds_load_b64 v[4:5], v3 offset:6656
	s_wait_dscnt 0x1
	v_add_nc_u32_e32 v6, v6, v74
	s_wait_dscnt 0x0
	global_store_b64 v6, v[4:5], s[46:47] scale_offset
	s_wait_xcnt 0x0
	s_or_b32 exec_lo, exec_lo, s17
	s_and_saveexec_b32 s17, s20
	s_cbranch_execz .LBB1553_1167
.LBB1553_1235:                          ;   in Loop: Header=BB1553_1040 Depth=2
	v_lshlrev_b32_e32 v4, 2, v131
	ds_load_b32 v6, v4
	ds_load_b64 v[4:5], v3 offset:8704
	s_wait_dscnt 0x1
	v_add_nc_u32_e32 v6, v6, v75
	s_wait_dscnt 0x0
	global_store_b64 v6, v[4:5], s[46:47] scale_offset
	s_wait_xcnt 0x0
	s_or_b32 exec_lo, exec_lo, s17
	s_and_saveexec_b32 s17, s21
	s_cbranch_execz .LBB1553_1168
.LBB1553_1236:                          ;   in Loop: Header=BB1553_1040 Depth=2
	v_lshlrev_b32_e32 v4, 2, v130
	ds_load_b32 v6, v4
	ds_load_b64 v[4:5], v3 offset:10752
	s_wait_dscnt 0x1
	v_add_nc_u32_e32 v6, v6, v76
	s_wait_dscnt 0x0
	global_store_b64 v6, v[4:5], s[46:47] scale_offset
	s_wait_xcnt 0x0
	s_or_b32 exec_lo, exec_lo, s17
	s_and_saveexec_b32 s17, s22
	s_cbranch_execz .LBB1553_1169
.LBB1553_1237:                          ;   in Loop: Header=BB1553_1040 Depth=2
	v_lshlrev_b32_e32 v4, 2, v129
	ds_load_b32 v6, v4
	ds_load_b64 v[4:5], v3 offset:12800
	s_wait_dscnt 0x1
	v_add_nc_u32_e32 v6, v6, v77
	s_wait_dscnt 0x0
	global_store_b64 v6, v[4:5], s[46:47] scale_offset
	s_wait_xcnt 0x0
	s_or_b32 exec_lo, exec_lo, s17
	s_and_saveexec_b32 s17, s23
	s_cbranch_execz .LBB1553_1170
.LBB1553_1238:                          ;   in Loop: Header=BB1553_1040 Depth=2
	v_lshlrev_b32_e32 v4, 2, v128
	ds_load_b32 v6, v4
	ds_load_b64 v[4:5], v3 offset:14848
	s_wait_dscnt 0x1
	v_add_nc_u32_e32 v6, v6, v78
	s_wait_dscnt 0x0
	global_store_b64 v6, v[4:5], s[46:47] scale_offset
	s_wait_xcnt 0x0
	s_or_b32 exec_lo, exec_lo, s17
	s_and_saveexec_b32 s17, s24
	s_cbranch_execz .LBB1553_1171
.LBB1553_1239:                          ;   in Loop: Header=BB1553_1040 Depth=2
	v_lshlrev_b32_e32 v4, 2, v127
	ds_load_b32 v6, v4
	ds_load_b64 v[4:5], v3 offset:16896
	s_wait_dscnt 0x1
	v_add_nc_u32_e32 v6, v6, v79
	s_wait_dscnt 0x0
	global_store_b64 v6, v[4:5], s[46:47] scale_offset
	s_wait_xcnt 0x0
	s_or_b32 exec_lo, exec_lo, s17
	s_and_saveexec_b32 s17, s25
	s_cbranch_execz .LBB1553_1172
.LBB1553_1240:                          ;   in Loop: Header=BB1553_1040 Depth=2
	v_lshlrev_b32_e32 v4, 2, v126
	ds_load_b32 v6, v4
	ds_load_b64 v[4:5], v3 offset:18944
	s_wait_dscnt 0x1
	v_add_nc_u32_e32 v6, v6, v80
	s_wait_dscnt 0x0
	global_store_b64 v6, v[4:5], s[46:47] scale_offset
	s_wait_xcnt 0x0
	s_or_b32 exec_lo, exec_lo, s17
	s_and_saveexec_b32 s17, s26
	s_cbranch_execz .LBB1553_1173
.LBB1553_1241:                          ;   in Loop: Header=BB1553_1040 Depth=2
	v_lshlrev_b32_e32 v4, 2, v125
	ds_load_b32 v6, v4
	ds_load_b64 v[4:5], v3 offset:20992
	s_wait_dscnt 0x1
	v_add_nc_u32_e32 v6, v6, v81
	s_wait_dscnt 0x0
	global_store_b64 v6, v[4:5], s[46:47] scale_offset
	s_wait_xcnt 0x0
	s_or_b32 exec_lo, exec_lo, s17
	s_and_saveexec_b32 s17, s27
	s_cbranch_execz .LBB1553_1174
.LBB1553_1242:                          ;   in Loop: Header=BB1553_1040 Depth=2
	v_lshlrev_b32_e32 v4, 2, v124
	ds_load_b32 v6, v4
	ds_load_b64 v[4:5], v3 offset:23040
	s_wait_dscnt 0x1
	v_add_nc_u32_e32 v6, v6, v82
	s_wait_dscnt 0x0
	global_store_b64 v6, v[4:5], s[46:47] scale_offset
	s_wait_xcnt 0x0
	s_or_b32 exec_lo, exec_lo, s17
	s_and_saveexec_b32 s17, s28
	s_cbranch_execz .LBB1553_1175
.LBB1553_1243:                          ;   in Loop: Header=BB1553_1040 Depth=2
	v_lshlrev_b32_e32 v4, 2, v123
	ds_load_b32 v6, v4
	ds_load_b64 v[4:5], v3 offset:25088
	s_wait_dscnt 0x1
	v_add_nc_u32_e32 v6, v6, v83
	s_wait_dscnt 0x0
	global_store_b64 v6, v[4:5], s[46:47] scale_offset
	s_wait_xcnt 0x0
	s_or_b32 exec_lo, exec_lo, s17
	s_and_saveexec_b32 s17, s29
	s_cbranch_execz .LBB1553_1176
.LBB1553_1244:                          ;   in Loop: Header=BB1553_1040 Depth=2
	v_lshlrev_b32_e32 v4, 2, v122
	ds_load_b32 v6, v4
	ds_load_b64 v[4:5], v3 offset:27136
	s_wait_dscnt 0x1
	v_add_nc_u32_e32 v6, v6, v84
	s_wait_dscnt 0x0
	global_store_b64 v6, v[4:5], s[46:47] scale_offset
	s_wait_xcnt 0x0
	s_or_b32 exec_lo, exec_lo, s17
	s_and_saveexec_b32 s17, s30
	s_cbranch_execz .LBB1553_1177
.LBB1553_1245:                          ;   in Loop: Header=BB1553_1040 Depth=2
	v_lshlrev_b32_e32 v4, 2, v121
	ds_load_b32 v6, v4
	ds_load_b64 v[4:5], v3 offset:29184
	s_wait_dscnt 0x1
	v_add_nc_u32_e32 v6, v6, v85
	s_wait_dscnt 0x0
	global_store_b64 v6, v[4:5], s[46:47] scale_offset
	s_wait_xcnt 0x0
	s_or_b32 exec_lo, exec_lo, s17
	s_and_saveexec_b32 s17, s31
	s_cbranch_execz .LBB1553_1178
.LBB1553_1246:                          ;   in Loop: Header=BB1553_1040 Depth=2
	v_lshlrev_b32_e32 v4, 2, v120
	ds_load_b32 v6, v4
	ds_load_b64 v[4:5], v3 offset:31232
	s_wait_dscnt 0x1
	v_add_nc_u32_e32 v6, v6, v86
	s_wait_dscnt 0x0
	global_store_b64 v6, v[4:5], s[46:47] scale_offset
	s_wait_xcnt 0x0
	s_or_b32 exec_lo, exec_lo, s17
	s_and_saveexec_b32 s17, s33
	s_cbranch_execnz .LBB1553_1179
	s_branch .LBB1553_1180
.LBB1553_1247:                          ;   in Loop: Header=BB1553_1040 Depth=2
	global_load_u8 v4, v[70:71], off
	v_dual_mov_b32 v5, v2 :: v_dual_mov_b32 v6, v2
	v_dual_mov_b32 v7, v2 :: v_dual_mov_b32 v8, v2
	s_wait_xcnt 0x0
	s_or_b32 exec_lo, exec_lo, s17
	s_delay_alu instid0(SALU_CYCLE_1)
	s_mov_b32 s17, exec_lo
	v_cmpx_gt_u32_e64 s59, v103
	s_cbranch_execz .LBB1553_1045
.LBB1553_1248:                          ;   in Loop: Header=BB1553_1040 Depth=2
	global_load_u8 v3, v[70:71], off offset:32
	v_and_b32_e32 v8, 0xff, v8
	s_wait_loadcnt 0x0
	v_perm_b32 v4, v4, v3, 0x7060004
	s_wait_xcnt 0x0
	s_or_b32 exec_lo, exec_lo, s17
	s_delay_alu instid0(SALU_CYCLE_1)
	s_mov_b32 s17, exec_lo
	v_cmpx_gt_u32_e64 s59, v104
	s_cbranch_execz .LBB1553_1046
.LBB1553_1249:                          ;   in Loop: Header=BB1553_1040 Depth=2
	global_load_u8 v3, v[70:71], off offset:64
	v_and_b32_e32 v8, 0xff, v8
	s_wait_loadcnt 0x0
	v_perm_b32 v4, v4, v3, 0x7000504
	s_wait_xcnt 0x0
	s_or_b32 exec_lo, exec_lo, s17
	s_delay_alu instid0(SALU_CYCLE_1)
	s_mov_b32 s17, exec_lo
	v_cmpx_gt_u32_e64 s59, v105
	s_cbranch_execz .LBB1553_1047
.LBB1553_1250:                          ;   in Loop: Header=BB1553_1040 Depth=2
	global_load_u8 v3, v[70:71], off offset:96
	v_and_b32_e32 v8, 0xff, v8
	s_wait_loadcnt 0x0
	v_perm_b32 v4, v4, v3, 0x60504
	s_wait_xcnt 0x0
	s_or_b32 exec_lo, exec_lo, s17
	s_delay_alu instid0(SALU_CYCLE_1)
	s_mov_b32 s17, exec_lo
	v_cmpx_gt_u32_e64 s59, v106
	s_cbranch_execz .LBB1553_1048
.LBB1553_1251:                          ;   in Loop: Header=BB1553_1040 Depth=2
	global_load_u8 v3, v[70:71], off offset:128
	v_and_b32_e32 v8, 0xff, v8
	s_wait_loadcnt 0x0
	v_perm_b32 v5, v3, v5, 0x3020104
	s_wait_xcnt 0x0
	s_or_b32 exec_lo, exec_lo, s17
	s_delay_alu instid0(SALU_CYCLE_1)
	s_mov_b32 s17, exec_lo
	v_cmpx_gt_u32_e64 s59, v107
	s_cbranch_execz .LBB1553_1049
.LBB1553_1252:                          ;   in Loop: Header=BB1553_1040 Depth=2
	global_load_u8 v3, v[70:71], off offset:160
	v_and_b32_e32 v8, 0xff, v8
	s_wait_loadcnt 0x0
	v_perm_b32 v5, v5, v3, 0x7060004
	s_wait_xcnt 0x0
	s_or_b32 exec_lo, exec_lo, s17
	s_delay_alu instid0(SALU_CYCLE_1)
	s_mov_b32 s17, exec_lo
	v_cmpx_gt_u32_e64 s59, v108
	s_cbranch_execz .LBB1553_1050
.LBB1553_1253:                          ;   in Loop: Header=BB1553_1040 Depth=2
	global_load_u8 v3, v[70:71], off offset:192
	v_and_b32_e32 v8, 0xff, v8
	s_wait_loadcnt 0x0
	v_perm_b32 v5, v5, v3, 0x7000504
	s_wait_xcnt 0x0
	s_or_b32 exec_lo, exec_lo, s17
	s_delay_alu instid0(SALU_CYCLE_1)
	s_mov_b32 s17, exec_lo
	v_cmpx_gt_u32_e64 s59, v109
	s_cbranch_execz .LBB1553_1051
.LBB1553_1254:                          ;   in Loop: Header=BB1553_1040 Depth=2
	global_load_u8 v3, v[70:71], off offset:224
	v_and_b32_e32 v8, 0xff, v8
	s_wait_loadcnt 0x0
	v_perm_b32 v5, v5, v3, 0x60504
	s_wait_xcnt 0x0
	s_or_b32 exec_lo, exec_lo, s17
	s_delay_alu instid0(SALU_CYCLE_1)
	s_mov_b32 s17, exec_lo
	v_cmpx_gt_u32_e64 s59, v110
	s_cbranch_execz .LBB1553_1052
.LBB1553_1255:                          ;   in Loop: Header=BB1553_1040 Depth=2
	global_load_u8 v3, v[70:71], off offset:256
	v_and_b32_e32 v8, 0xff, v8
	s_wait_loadcnt 0x0
	v_perm_b32 v6, v3, v6, 0x3020104
	s_wait_xcnt 0x0
	s_or_b32 exec_lo, exec_lo, s17
	s_delay_alu instid0(SALU_CYCLE_1)
	s_mov_b32 s17, exec_lo
	v_cmpx_gt_u32_e64 s59, v111
	s_cbranch_execz .LBB1553_1053
.LBB1553_1256:                          ;   in Loop: Header=BB1553_1040 Depth=2
	global_load_u8 v3, v[70:71], off offset:288
	v_and_b32_e32 v8, 0xff, v8
	s_wait_loadcnt 0x0
	v_perm_b32 v6, v6, v3, 0x7060004
	s_wait_xcnt 0x0
	s_or_b32 exec_lo, exec_lo, s17
	s_delay_alu instid0(SALU_CYCLE_1)
	s_mov_b32 s17, exec_lo
	v_cmpx_gt_u32_e64 s59, v112
	s_cbranch_execz .LBB1553_1054
.LBB1553_1257:                          ;   in Loop: Header=BB1553_1040 Depth=2
	global_load_u8 v3, v[70:71], off offset:320
	v_and_b32_e32 v8, 0xff, v8
	s_wait_loadcnt 0x0
	v_perm_b32 v6, v6, v3, 0x7000504
	s_wait_xcnt 0x0
	s_or_b32 exec_lo, exec_lo, s17
	s_delay_alu instid0(SALU_CYCLE_1)
	s_mov_b32 s17, exec_lo
	v_cmpx_gt_u32_e64 s59, v113
	s_cbranch_execz .LBB1553_1055
.LBB1553_1258:                          ;   in Loop: Header=BB1553_1040 Depth=2
	global_load_u8 v3, v[70:71], off offset:352
	v_and_b32_e32 v8, 0xff, v8
	s_wait_loadcnt 0x0
	v_perm_b32 v6, v6, v3, 0x60504
	s_wait_xcnt 0x0
	s_or_b32 exec_lo, exec_lo, s17
	s_delay_alu instid0(SALU_CYCLE_1)
	s_mov_b32 s17, exec_lo
	v_cmpx_gt_u32_e64 s59, v114
	s_cbranch_execz .LBB1553_1056
.LBB1553_1259:                          ;   in Loop: Header=BB1553_1040 Depth=2
	global_load_u8 v3, v[70:71], off offset:384
	v_and_b32_e32 v8, 0xff, v8
	s_wait_loadcnt 0x0
	v_perm_b32 v7, v3, v7, 0x3020104
	s_wait_xcnt 0x0
	s_or_b32 exec_lo, exec_lo, s17
	s_delay_alu instid0(SALU_CYCLE_1)
	s_mov_b32 s17, exec_lo
	v_cmpx_gt_u32_e64 s59, v115
	s_cbranch_execz .LBB1553_1057
.LBB1553_1260:                          ;   in Loop: Header=BB1553_1040 Depth=2
	global_load_u8 v3, v[70:71], off offset:416
	v_and_b32_e32 v8, 0xff, v8
	s_wait_loadcnt 0x0
	v_perm_b32 v7, v7, v3, 0x7060004
	s_wait_xcnt 0x0
	s_or_b32 exec_lo, exec_lo, s17
	s_delay_alu instid0(SALU_CYCLE_1)
	s_mov_b32 s17, exec_lo
	v_cmpx_gt_u32_e64 s59, v116
	s_cbranch_execz .LBB1553_1058
.LBB1553_1261:                          ;   in Loop: Header=BB1553_1040 Depth=2
	global_load_u8 v3, v[70:71], off offset:448
	v_and_b32_e32 v8, 0xff, v8
	s_wait_loadcnt 0x0
	v_perm_b32 v7, v7, v3, 0x7000504
	s_wait_xcnt 0x0
	s_or_b32 exec_lo, exec_lo, s17
	s_delay_alu instid0(SALU_CYCLE_1)
	s_mov_b32 s17, exec_lo
	v_cmpx_gt_u32_e64 s59, v117
	s_cbranch_execnz .LBB1553_1059
	s_branch .LBB1553_1060
.LBB1553_1262:
	s_endpgm
	.section	.rodata,"a",@progbits
	.p2align	6, 0x0
	.amdhsa_kernel _ZN7rocprim17ROCPRIM_400000_NS6detail17trampoline_kernelINS0_14default_configENS1_36segmented_radix_sort_config_selectorIblEEZNS1_25segmented_radix_sort_implIS3_Lb1EPKbPbPKlPlN2at6native12_GLOBAL__N_18offset_tEEE10hipError_tPvRmT1_PNSt15iterator_traitsISK_E10value_typeET2_T3_PNSL_ISQ_E10value_typeET4_jRbjT5_SW_jjP12ihipStream_tbEUlT_E2_NS1_11comp_targetILNS1_3genE0ELNS1_11target_archE4294967295ELNS1_3gpuE0ELNS1_3repE0EEENS1_30default_config_static_selectorELNS0_4arch9wavefront6targetE0EEEvSK_
		.amdhsa_group_segment_fixed_size 35344
		.amdhsa_private_segment_fixed_size 12
		.amdhsa_kernarg_size 336
		.amdhsa_user_sgpr_count 4
		.amdhsa_user_sgpr_dispatch_ptr 0
		.amdhsa_user_sgpr_queue_ptr 1
		.amdhsa_user_sgpr_kernarg_segment_ptr 1
		.amdhsa_user_sgpr_dispatch_id 0
		.amdhsa_user_sgpr_kernarg_preload_length 0
		.amdhsa_user_sgpr_kernarg_preload_offset 0
		.amdhsa_user_sgpr_private_segment_size 0
		.amdhsa_wavefront_size32 1
		.amdhsa_uses_dynamic_stack 0
		.amdhsa_enable_private_segment 1
		.amdhsa_system_sgpr_workgroup_id_x 1
		.amdhsa_system_sgpr_workgroup_id_y 1
		.amdhsa_system_sgpr_workgroup_id_z 0
		.amdhsa_system_sgpr_workgroup_info 0
		.amdhsa_system_vgpr_workitem_id 2
		.amdhsa_next_free_vgpr 319
		.amdhsa_next_free_sgpr 61
		.amdhsa_named_barrier_count 0
		.amdhsa_reserve_vcc 1
		.amdhsa_float_round_mode_32 0
		.amdhsa_float_round_mode_16_64 0
		.amdhsa_float_denorm_mode_32 3
		.amdhsa_float_denorm_mode_16_64 3
		.amdhsa_fp16_overflow 0
		.amdhsa_memory_ordered 1
		.amdhsa_forward_progress 1
		.amdhsa_inst_pref_size 255
		.amdhsa_round_robin_scheduling 0
		.amdhsa_exception_fp_ieee_invalid_op 0
		.amdhsa_exception_fp_denorm_src 0
		.amdhsa_exception_fp_ieee_div_zero 0
		.amdhsa_exception_fp_ieee_overflow 0
		.amdhsa_exception_fp_ieee_underflow 0
		.amdhsa_exception_fp_ieee_inexact 0
		.amdhsa_exception_int_div_zero 0
	.end_amdhsa_kernel
	.section	.text._ZN7rocprim17ROCPRIM_400000_NS6detail17trampoline_kernelINS0_14default_configENS1_36segmented_radix_sort_config_selectorIblEEZNS1_25segmented_radix_sort_implIS3_Lb1EPKbPbPKlPlN2at6native12_GLOBAL__N_18offset_tEEE10hipError_tPvRmT1_PNSt15iterator_traitsISK_E10value_typeET2_T3_PNSL_ISQ_E10value_typeET4_jRbjT5_SW_jjP12ihipStream_tbEUlT_E2_NS1_11comp_targetILNS1_3genE0ELNS1_11target_archE4294967295ELNS1_3gpuE0ELNS1_3repE0EEENS1_30default_config_static_selectorELNS0_4arch9wavefront6targetE0EEEvSK_,"axG",@progbits,_ZN7rocprim17ROCPRIM_400000_NS6detail17trampoline_kernelINS0_14default_configENS1_36segmented_radix_sort_config_selectorIblEEZNS1_25segmented_radix_sort_implIS3_Lb1EPKbPbPKlPlN2at6native12_GLOBAL__N_18offset_tEEE10hipError_tPvRmT1_PNSt15iterator_traitsISK_E10value_typeET2_T3_PNSL_ISQ_E10value_typeET4_jRbjT5_SW_jjP12ihipStream_tbEUlT_E2_NS1_11comp_targetILNS1_3genE0ELNS1_11target_archE4294967295ELNS1_3gpuE0ELNS1_3repE0EEENS1_30default_config_static_selectorELNS0_4arch9wavefront6targetE0EEEvSK_,comdat
.Lfunc_end1553:
	.size	_ZN7rocprim17ROCPRIM_400000_NS6detail17trampoline_kernelINS0_14default_configENS1_36segmented_radix_sort_config_selectorIblEEZNS1_25segmented_radix_sort_implIS3_Lb1EPKbPbPKlPlN2at6native12_GLOBAL__N_18offset_tEEE10hipError_tPvRmT1_PNSt15iterator_traitsISK_E10value_typeET2_T3_PNSL_ISQ_E10value_typeET4_jRbjT5_SW_jjP12ihipStream_tbEUlT_E2_NS1_11comp_targetILNS1_3genE0ELNS1_11target_archE4294967295ELNS1_3gpuE0ELNS1_3repE0EEENS1_30default_config_static_selectorELNS0_4arch9wavefront6targetE0EEEvSK_, .Lfunc_end1553-_ZN7rocprim17ROCPRIM_400000_NS6detail17trampoline_kernelINS0_14default_configENS1_36segmented_radix_sort_config_selectorIblEEZNS1_25segmented_radix_sort_implIS3_Lb1EPKbPbPKlPlN2at6native12_GLOBAL__N_18offset_tEEE10hipError_tPvRmT1_PNSt15iterator_traitsISK_E10value_typeET2_T3_PNSL_ISQ_E10value_typeET4_jRbjT5_SW_jjP12ihipStream_tbEUlT_E2_NS1_11comp_targetILNS1_3genE0ELNS1_11target_archE4294967295ELNS1_3gpuE0ELNS1_3repE0EEENS1_30default_config_static_selectorELNS0_4arch9wavefront6targetE0EEEvSK_
                                        ; -- End function
	.set _ZN7rocprim17ROCPRIM_400000_NS6detail17trampoline_kernelINS0_14default_configENS1_36segmented_radix_sort_config_selectorIblEEZNS1_25segmented_radix_sort_implIS3_Lb1EPKbPbPKlPlN2at6native12_GLOBAL__N_18offset_tEEE10hipError_tPvRmT1_PNSt15iterator_traitsISK_E10value_typeET2_T3_PNSL_ISQ_E10value_typeET4_jRbjT5_SW_jjP12ihipStream_tbEUlT_E2_NS1_11comp_targetILNS1_3genE0ELNS1_11target_archE4294967295ELNS1_3gpuE0ELNS1_3repE0EEENS1_30default_config_static_selectorELNS0_4arch9wavefront6targetE0EEEvSK_.num_vgpr, max(205, .L_ZN7rocprim17ROCPRIM_400000_NS6detail26segmented_warp_sort_helperINS1_20WarpSortHelperConfigILj32ELj4ELj256EEEblLi256ELb1EvE4sortIPKbPbPKlPlEEvT_T0_T1_T2_jjjjRNS5_12storage_typeE.num_vgpr, .L_ZN7rocprim17ROCPRIM_400000_NS6detail40segmented_radix_sort_single_block_helperIblLj256ELj17ELb1EE4sortIPKbPbPKlPlEEbT_T0_T1_T2_jjjjRNS3_12storage_typeE.num_vgpr)
	.set _ZN7rocprim17ROCPRIM_400000_NS6detail17trampoline_kernelINS0_14default_configENS1_36segmented_radix_sort_config_selectorIblEEZNS1_25segmented_radix_sort_implIS3_Lb1EPKbPbPKlPlN2at6native12_GLOBAL__N_18offset_tEEE10hipError_tPvRmT1_PNSt15iterator_traitsISK_E10value_typeET2_T3_PNSL_ISQ_E10value_typeET4_jRbjT5_SW_jjP12ihipStream_tbEUlT_E2_NS1_11comp_targetILNS1_3genE0ELNS1_11target_archE4294967295ELNS1_3gpuE0ELNS1_3repE0EEENS1_30default_config_static_selectorELNS0_4arch9wavefront6targetE0EEEvSK_.num_agpr, max(0, .L_ZN7rocprim17ROCPRIM_400000_NS6detail26segmented_warp_sort_helperINS1_20WarpSortHelperConfigILj32ELj4ELj256EEEblLi256ELb1EvE4sortIPKbPbPKlPlEEvT_T0_T1_T2_jjjjRNS5_12storage_typeE.num_agpr, .L_ZN7rocprim17ROCPRIM_400000_NS6detail40segmented_radix_sort_single_block_helperIblLj256ELj17ELb1EE4sortIPKbPbPKlPlEEbT_T0_T1_T2_jjjjRNS3_12storage_typeE.num_agpr)
	.set _ZN7rocprim17ROCPRIM_400000_NS6detail17trampoline_kernelINS0_14default_configENS1_36segmented_radix_sort_config_selectorIblEEZNS1_25segmented_radix_sort_implIS3_Lb1EPKbPbPKlPlN2at6native12_GLOBAL__N_18offset_tEEE10hipError_tPvRmT1_PNSt15iterator_traitsISK_E10value_typeET2_T3_PNSL_ISQ_E10value_typeET4_jRbjT5_SW_jjP12ihipStream_tbEUlT_E2_NS1_11comp_targetILNS1_3genE0ELNS1_11target_archE4294967295ELNS1_3gpuE0ELNS1_3repE0EEENS1_30default_config_static_selectorELNS0_4arch9wavefront6targetE0EEEvSK_.numbered_sgpr, max(61, .L_ZN7rocprim17ROCPRIM_400000_NS6detail26segmented_warp_sort_helperINS1_20WarpSortHelperConfigILj32ELj4ELj256EEEblLi256ELb1EvE4sortIPKbPbPKlPlEEvT_T0_T1_T2_jjjjRNS5_12storage_typeE.numbered_sgpr, .L_ZN7rocprim17ROCPRIM_400000_NS6detail40segmented_radix_sort_single_block_helperIblLj256ELj17ELb1EE4sortIPKbPbPKlPlEEbT_T0_T1_T2_jjjjRNS3_12storage_typeE.numbered_sgpr)
	.set _ZN7rocprim17ROCPRIM_400000_NS6detail17trampoline_kernelINS0_14default_configENS1_36segmented_radix_sort_config_selectorIblEEZNS1_25segmented_radix_sort_implIS3_Lb1EPKbPbPKlPlN2at6native12_GLOBAL__N_18offset_tEEE10hipError_tPvRmT1_PNSt15iterator_traitsISK_E10value_typeET2_T3_PNSL_ISQ_E10value_typeET4_jRbjT5_SW_jjP12ihipStream_tbEUlT_E2_NS1_11comp_targetILNS1_3genE0ELNS1_11target_archE4294967295ELNS1_3gpuE0ELNS1_3repE0EEENS1_30default_config_static_selectorELNS0_4arch9wavefront6targetE0EEEvSK_.num_named_barrier, max(0, .L_ZN7rocprim17ROCPRIM_400000_NS6detail26segmented_warp_sort_helperINS1_20WarpSortHelperConfigILj32ELj4ELj256EEEblLi256ELb1EvE4sortIPKbPbPKlPlEEvT_T0_T1_T2_jjjjRNS5_12storage_typeE.num_named_barrier, .L_ZN7rocprim17ROCPRIM_400000_NS6detail40segmented_radix_sort_single_block_helperIblLj256ELj17ELb1EE4sortIPKbPbPKlPlEEbT_T0_T1_T2_jjjjRNS3_12storage_typeE.num_named_barrier)
	.set _ZN7rocprim17ROCPRIM_400000_NS6detail17trampoline_kernelINS0_14default_configENS1_36segmented_radix_sort_config_selectorIblEEZNS1_25segmented_radix_sort_implIS3_Lb1EPKbPbPKlPlN2at6native12_GLOBAL__N_18offset_tEEE10hipError_tPvRmT1_PNSt15iterator_traitsISK_E10value_typeET2_T3_PNSL_ISQ_E10value_typeET4_jRbjT5_SW_jjP12ihipStream_tbEUlT_E2_NS1_11comp_targetILNS1_3genE0ELNS1_11target_archE4294967295ELNS1_3gpuE0ELNS1_3repE0EEENS1_30default_config_static_selectorELNS0_4arch9wavefront6targetE0EEEvSK_.private_seg_size, 0+max(.L_ZN7rocprim17ROCPRIM_400000_NS6detail26segmented_warp_sort_helperINS1_20WarpSortHelperConfigILj32ELj4ELj256EEEblLi256ELb1EvE4sortIPKbPbPKlPlEEvT_T0_T1_T2_jjjjRNS5_12storage_typeE.private_seg_size, .L_ZN7rocprim17ROCPRIM_400000_NS6detail40segmented_radix_sort_single_block_helperIblLj256ELj17ELb1EE4sortIPKbPbPKlPlEEbT_T0_T1_T2_jjjjRNS3_12storage_typeE.private_seg_size)
	.set _ZN7rocprim17ROCPRIM_400000_NS6detail17trampoline_kernelINS0_14default_configENS1_36segmented_radix_sort_config_selectorIblEEZNS1_25segmented_radix_sort_implIS3_Lb1EPKbPbPKlPlN2at6native12_GLOBAL__N_18offset_tEEE10hipError_tPvRmT1_PNSt15iterator_traitsISK_E10value_typeET2_T3_PNSL_ISQ_E10value_typeET4_jRbjT5_SW_jjP12ihipStream_tbEUlT_E2_NS1_11comp_targetILNS1_3genE0ELNS1_11target_archE4294967295ELNS1_3gpuE0ELNS1_3repE0EEENS1_30default_config_static_selectorELNS0_4arch9wavefront6targetE0EEEvSK_.uses_vcc, or(1, .L_ZN7rocprim17ROCPRIM_400000_NS6detail26segmented_warp_sort_helperINS1_20WarpSortHelperConfigILj32ELj4ELj256EEEblLi256ELb1EvE4sortIPKbPbPKlPlEEvT_T0_T1_T2_jjjjRNS5_12storage_typeE.uses_vcc, .L_ZN7rocprim17ROCPRIM_400000_NS6detail40segmented_radix_sort_single_block_helperIblLj256ELj17ELb1EE4sortIPKbPbPKlPlEEbT_T0_T1_T2_jjjjRNS3_12storage_typeE.uses_vcc)
	.set _ZN7rocprim17ROCPRIM_400000_NS6detail17trampoline_kernelINS0_14default_configENS1_36segmented_radix_sort_config_selectorIblEEZNS1_25segmented_radix_sort_implIS3_Lb1EPKbPbPKlPlN2at6native12_GLOBAL__N_18offset_tEEE10hipError_tPvRmT1_PNSt15iterator_traitsISK_E10value_typeET2_T3_PNSL_ISQ_E10value_typeET4_jRbjT5_SW_jjP12ihipStream_tbEUlT_E2_NS1_11comp_targetILNS1_3genE0ELNS1_11target_archE4294967295ELNS1_3gpuE0ELNS1_3repE0EEENS1_30default_config_static_selectorELNS0_4arch9wavefront6targetE0EEEvSK_.uses_flat_scratch, or(0, .L_ZN7rocprim17ROCPRIM_400000_NS6detail26segmented_warp_sort_helperINS1_20WarpSortHelperConfigILj32ELj4ELj256EEEblLi256ELb1EvE4sortIPKbPbPKlPlEEvT_T0_T1_T2_jjjjRNS5_12storage_typeE.uses_flat_scratch, .L_ZN7rocprim17ROCPRIM_400000_NS6detail40segmented_radix_sort_single_block_helperIblLj256ELj17ELb1EE4sortIPKbPbPKlPlEEbT_T0_T1_T2_jjjjRNS3_12storage_typeE.uses_flat_scratch)
	.set _ZN7rocprim17ROCPRIM_400000_NS6detail17trampoline_kernelINS0_14default_configENS1_36segmented_radix_sort_config_selectorIblEEZNS1_25segmented_radix_sort_implIS3_Lb1EPKbPbPKlPlN2at6native12_GLOBAL__N_18offset_tEEE10hipError_tPvRmT1_PNSt15iterator_traitsISK_E10value_typeET2_T3_PNSL_ISQ_E10value_typeET4_jRbjT5_SW_jjP12ihipStream_tbEUlT_E2_NS1_11comp_targetILNS1_3genE0ELNS1_11target_archE4294967295ELNS1_3gpuE0ELNS1_3repE0EEENS1_30default_config_static_selectorELNS0_4arch9wavefront6targetE0EEEvSK_.has_dyn_sized_stack, or(0, .L_ZN7rocprim17ROCPRIM_400000_NS6detail26segmented_warp_sort_helperINS1_20WarpSortHelperConfigILj32ELj4ELj256EEEblLi256ELb1EvE4sortIPKbPbPKlPlEEvT_T0_T1_T2_jjjjRNS5_12storage_typeE.has_dyn_sized_stack, .L_ZN7rocprim17ROCPRIM_400000_NS6detail40segmented_radix_sort_single_block_helperIblLj256ELj17ELb1EE4sortIPKbPbPKlPlEEbT_T0_T1_T2_jjjjRNS3_12storage_typeE.has_dyn_sized_stack)
	.set _ZN7rocprim17ROCPRIM_400000_NS6detail17trampoline_kernelINS0_14default_configENS1_36segmented_radix_sort_config_selectorIblEEZNS1_25segmented_radix_sort_implIS3_Lb1EPKbPbPKlPlN2at6native12_GLOBAL__N_18offset_tEEE10hipError_tPvRmT1_PNSt15iterator_traitsISK_E10value_typeET2_T3_PNSL_ISQ_E10value_typeET4_jRbjT5_SW_jjP12ihipStream_tbEUlT_E2_NS1_11comp_targetILNS1_3genE0ELNS1_11target_archE4294967295ELNS1_3gpuE0ELNS1_3repE0EEENS1_30default_config_static_selectorELNS0_4arch9wavefront6targetE0EEEvSK_.has_recursion, or(0, .L_ZN7rocprim17ROCPRIM_400000_NS6detail26segmented_warp_sort_helperINS1_20WarpSortHelperConfigILj32ELj4ELj256EEEblLi256ELb1EvE4sortIPKbPbPKlPlEEvT_T0_T1_T2_jjjjRNS5_12storage_typeE.has_recursion, .L_ZN7rocprim17ROCPRIM_400000_NS6detail40segmented_radix_sort_single_block_helperIblLj256ELj17ELb1EE4sortIPKbPbPKlPlEEbT_T0_T1_T2_jjjjRNS3_12storage_typeE.has_recursion)
	.set _ZN7rocprim17ROCPRIM_400000_NS6detail17trampoline_kernelINS0_14default_configENS1_36segmented_radix_sort_config_selectorIblEEZNS1_25segmented_radix_sort_implIS3_Lb1EPKbPbPKlPlN2at6native12_GLOBAL__N_18offset_tEEE10hipError_tPvRmT1_PNSt15iterator_traitsISK_E10value_typeET2_T3_PNSL_ISQ_E10value_typeET4_jRbjT5_SW_jjP12ihipStream_tbEUlT_E2_NS1_11comp_targetILNS1_3genE0ELNS1_11target_archE4294967295ELNS1_3gpuE0ELNS1_3repE0EEENS1_30default_config_static_selectorELNS0_4arch9wavefront6targetE0EEEvSK_.has_indirect_call, or(0, .L_ZN7rocprim17ROCPRIM_400000_NS6detail26segmented_warp_sort_helperINS1_20WarpSortHelperConfigILj32ELj4ELj256EEEblLi256ELb1EvE4sortIPKbPbPKlPlEEvT_T0_T1_T2_jjjjRNS5_12storage_typeE.has_indirect_call, .L_ZN7rocprim17ROCPRIM_400000_NS6detail40segmented_radix_sort_single_block_helperIblLj256ELj17ELb1EE4sortIPKbPbPKlPlEEbT_T0_T1_T2_jjjjRNS3_12storage_typeE.has_indirect_call)
	.section	.AMDGPU.csdata,"",@progbits
; Kernel info:
; codeLenInByte = 62640
; TotalNumSgprs: 63
; NumVgprs: 319
; ScratchSize: 12
; MemoryBound: 0
; FloatMode: 240
; IeeeMode: 1
; LDSByteSize: 35344 bytes/workgroup (compile time only)
; SGPRBlocks: 0
; VGPRBlocks: 19
; NumSGPRsForWavesPerEU: 63
; NumVGPRsForWavesPerEU: 319
; NamedBarCnt: 0
; Occupancy: 3
; WaveLimiterHint : 1
; COMPUTE_PGM_RSRC2:SCRATCH_EN: 1
; COMPUTE_PGM_RSRC2:USER_SGPR: 4
; COMPUTE_PGM_RSRC2:TRAP_HANDLER: 0
; COMPUTE_PGM_RSRC2:TGID_X_EN: 1
; COMPUTE_PGM_RSRC2:TGID_Y_EN: 1
; COMPUTE_PGM_RSRC2:TGID_Z_EN: 0
; COMPUTE_PGM_RSRC2:TIDIG_COMP_CNT: 2
	.section	.text._ZN7rocprim17ROCPRIM_400000_NS6detail17trampoline_kernelINS0_14default_configENS1_36segmented_radix_sort_config_selectorIblEEZNS1_25segmented_radix_sort_implIS3_Lb1EPKbPbPKlPlN2at6native12_GLOBAL__N_18offset_tEEE10hipError_tPvRmT1_PNSt15iterator_traitsISK_E10value_typeET2_T3_PNSL_ISQ_E10value_typeET4_jRbjT5_SW_jjP12ihipStream_tbEUlT_E2_NS1_11comp_targetILNS1_3genE5ELNS1_11target_archE942ELNS1_3gpuE9ELNS1_3repE0EEENS1_30default_config_static_selectorELNS0_4arch9wavefront6targetE0EEEvSK_,"axG",@progbits,_ZN7rocprim17ROCPRIM_400000_NS6detail17trampoline_kernelINS0_14default_configENS1_36segmented_radix_sort_config_selectorIblEEZNS1_25segmented_radix_sort_implIS3_Lb1EPKbPbPKlPlN2at6native12_GLOBAL__N_18offset_tEEE10hipError_tPvRmT1_PNSt15iterator_traitsISK_E10value_typeET2_T3_PNSL_ISQ_E10value_typeET4_jRbjT5_SW_jjP12ihipStream_tbEUlT_E2_NS1_11comp_targetILNS1_3genE5ELNS1_11target_archE942ELNS1_3gpuE9ELNS1_3repE0EEENS1_30default_config_static_selectorELNS0_4arch9wavefront6targetE0EEEvSK_,comdat
	.globl	_ZN7rocprim17ROCPRIM_400000_NS6detail17trampoline_kernelINS0_14default_configENS1_36segmented_radix_sort_config_selectorIblEEZNS1_25segmented_radix_sort_implIS3_Lb1EPKbPbPKlPlN2at6native12_GLOBAL__N_18offset_tEEE10hipError_tPvRmT1_PNSt15iterator_traitsISK_E10value_typeET2_T3_PNSL_ISQ_E10value_typeET4_jRbjT5_SW_jjP12ihipStream_tbEUlT_E2_NS1_11comp_targetILNS1_3genE5ELNS1_11target_archE942ELNS1_3gpuE9ELNS1_3repE0EEENS1_30default_config_static_selectorELNS0_4arch9wavefront6targetE0EEEvSK_ ; -- Begin function _ZN7rocprim17ROCPRIM_400000_NS6detail17trampoline_kernelINS0_14default_configENS1_36segmented_radix_sort_config_selectorIblEEZNS1_25segmented_radix_sort_implIS3_Lb1EPKbPbPKlPlN2at6native12_GLOBAL__N_18offset_tEEE10hipError_tPvRmT1_PNSt15iterator_traitsISK_E10value_typeET2_T3_PNSL_ISQ_E10value_typeET4_jRbjT5_SW_jjP12ihipStream_tbEUlT_E2_NS1_11comp_targetILNS1_3genE5ELNS1_11target_archE942ELNS1_3gpuE9ELNS1_3repE0EEENS1_30default_config_static_selectorELNS0_4arch9wavefront6targetE0EEEvSK_
	.p2align	8
	.type	_ZN7rocprim17ROCPRIM_400000_NS6detail17trampoline_kernelINS0_14default_configENS1_36segmented_radix_sort_config_selectorIblEEZNS1_25segmented_radix_sort_implIS3_Lb1EPKbPbPKlPlN2at6native12_GLOBAL__N_18offset_tEEE10hipError_tPvRmT1_PNSt15iterator_traitsISK_E10value_typeET2_T3_PNSL_ISQ_E10value_typeET4_jRbjT5_SW_jjP12ihipStream_tbEUlT_E2_NS1_11comp_targetILNS1_3genE5ELNS1_11target_archE942ELNS1_3gpuE9ELNS1_3repE0EEENS1_30default_config_static_selectorELNS0_4arch9wavefront6targetE0EEEvSK_,@function
_ZN7rocprim17ROCPRIM_400000_NS6detail17trampoline_kernelINS0_14default_configENS1_36segmented_radix_sort_config_selectorIblEEZNS1_25segmented_radix_sort_implIS3_Lb1EPKbPbPKlPlN2at6native12_GLOBAL__N_18offset_tEEE10hipError_tPvRmT1_PNSt15iterator_traitsISK_E10value_typeET2_T3_PNSL_ISQ_E10value_typeET4_jRbjT5_SW_jjP12ihipStream_tbEUlT_E2_NS1_11comp_targetILNS1_3genE5ELNS1_11target_archE942ELNS1_3gpuE9ELNS1_3repE0EEENS1_30default_config_static_selectorELNS0_4arch9wavefront6targetE0EEEvSK_: ; @_ZN7rocprim17ROCPRIM_400000_NS6detail17trampoline_kernelINS0_14default_configENS1_36segmented_radix_sort_config_selectorIblEEZNS1_25segmented_radix_sort_implIS3_Lb1EPKbPbPKlPlN2at6native12_GLOBAL__N_18offset_tEEE10hipError_tPvRmT1_PNSt15iterator_traitsISK_E10value_typeET2_T3_PNSL_ISQ_E10value_typeET4_jRbjT5_SW_jjP12ihipStream_tbEUlT_E2_NS1_11comp_targetILNS1_3genE5ELNS1_11target_archE942ELNS1_3gpuE9ELNS1_3repE0EEENS1_30default_config_static_selectorELNS0_4arch9wavefront6targetE0EEEvSK_
; %bb.0:
	.section	.rodata,"a",@progbits
	.p2align	6, 0x0
	.amdhsa_kernel _ZN7rocprim17ROCPRIM_400000_NS6detail17trampoline_kernelINS0_14default_configENS1_36segmented_radix_sort_config_selectorIblEEZNS1_25segmented_radix_sort_implIS3_Lb1EPKbPbPKlPlN2at6native12_GLOBAL__N_18offset_tEEE10hipError_tPvRmT1_PNSt15iterator_traitsISK_E10value_typeET2_T3_PNSL_ISQ_E10value_typeET4_jRbjT5_SW_jjP12ihipStream_tbEUlT_E2_NS1_11comp_targetILNS1_3genE5ELNS1_11target_archE942ELNS1_3gpuE9ELNS1_3repE0EEENS1_30default_config_static_selectorELNS0_4arch9wavefront6targetE0EEEvSK_
		.amdhsa_group_segment_fixed_size 0
		.amdhsa_private_segment_fixed_size 0
		.amdhsa_kernarg_size 80
		.amdhsa_user_sgpr_count 2
		.amdhsa_user_sgpr_dispatch_ptr 0
		.amdhsa_user_sgpr_queue_ptr 0
		.amdhsa_user_sgpr_kernarg_segment_ptr 1
		.amdhsa_user_sgpr_dispatch_id 0
		.amdhsa_user_sgpr_kernarg_preload_length 0
		.amdhsa_user_sgpr_kernarg_preload_offset 0
		.amdhsa_user_sgpr_private_segment_size 0
		.amdhsa_wavefront_size32 1
		.amdhsa_uses_dynamic_stack 0
		.amdhsa_enable_private_segment 0
		.amdhsa_system_sgpr_workgroup_id_x 1
		.amdhsa_system_sgpr_workgroup_id_y 0
		.amdhsa_system_sgpr_workgroup_id_z 0
		.amdhsa_system_sgpr_workgroup_info 0
		.amdhsa_system_vgpr_workitem_id 0
		.amdhsa_next_free_vgpr 1
		.amdhsa_next_free_sgpr 1
		.amdhsa_named_barrier_count 0
		.amdhsa_reserve_vcc 0
		.amdhsa_float_round_mode_32 0
		.amdhsa_float_round_mode_16_64 0
		.amdhsa_float_denorm_mode_32 3
		.amdhsa_float_denorm_mode_16_64 3
		.amdhsa_fp16_overflow 0
		.amdhsa_memory_ordered 1
		.amdhsa_forward_progress 1
		.amdhsa_inst_pref_size 0
		.amdhsa_round_robin_scheduling 0
		.amdhsa_exception_fp_ieee_invalid_op 0
		.amdhsa_exception_fp_denorm_src 0
		.amdhsa_exception_fp_ieee_div_zero 0
		.amdhsa_exception_fp_ieee_overflow 0
		.amdhsa_exception_fp_ieee_underflow 0
		.amdhsa_exception_fp_ieee_inexact 0
		.amdhsa_exception_int_div_zero 0
	.end_amdhsa_kernel
	.section	.text._ZN7rocprim17ROCPRIM_400000_NS6detail17trampoline_kernelINS0_14default_configENS1_36segmented_radix_sort_config_selectorIblEEZNS1_25segmented_radix_sort_implIS3_Lb1EPKbPbPKlPlN2at6native12_GLOBAL__N_18offset_tEEE10hipError_tPvRmT1_PNSt15iterator_traitsISK_E10value_typeET2_T3_PNSL_ISQ_E10value_typeET4_jRbjT5_SW_jjP12ihipStream_tbEUlT_E2_NS1_11comp_targetILNS1_3genE5ELNS1_11target_archE942ELNS1_3gpuE9ELNS1_3repE0EEENS1_30default_config_static_selectorELNS0_4arch9wavefront6targetE0EEEvSK_,"axG",@progbits,_ZN7rocprim17ROCPRIM_400000_NS6detail17trampoline_kernelINS0_14default_configENS1_36segmented_radix_sort_config_selectorIblEEZNS1_25segmented_radix_sort_implIS3_Lb1EPKbPbPKlPlN2at6native12_GLOBAL__N_18offset_tEEE10hipError_tPvRmT1_PNSt15iterator_traitsISK_E10value_typeET2_T3_PNSL_ISQ_E10value_typeET4_jRbjT5_SW_jjP12ihipStream_tbEUlT_E2_NS1_11comp_targetILNS1_3genE5ELNS1_11target_archE942ELNS1_3gpuE9ELNS1_3repE0EEENS1_30default_config_static_selectorELNS0_4arch9wavefront6targetE0EEEvSK_,comdat
.Lfunc_end1554:
	.size	_ZN7rocprim17ROCPRIM_400000_NS6detail17trampoline_kernelINS0_14default_configENS1_36segmented_radix_sort_config_selectorIblEEZNS1_25segmented_radix_sort_implIS3_Lb1EPKbPbPKlPlN2at6native12_GLOBAL__N_18offset_tEEE10hipError_tPvRmT1_PNSt15iterator_traitsISK_E10value_typeET2_T3_PNSL_ISQ_E10value_typeET4_jRbjT5_SW_jjP12ihipStream_tbEUlT_E2_NS1_11comp_targetILNS1_3genE5ELNS1_11target_archE942ELNS1_3gpuE9ELNS1_3repE0EEENS1_30default_config_static_selectorELNS0_4arch9wavefront6targetE0EEEvSK_, .Lfunc_end1554-_ZN7rocprim17ROCPRIM_400000_NS6detail17trampoline_kernelINS0_14default_configENS1_36segmented_radix_sort_config_selectorIblEEZNS1_25segmented_radix_sort_implIS3_Lb1EPKbPbPKlPlN2at6native12_GLOBAL__N_18offset_tEEE10hipError_tPvRmT1_PNSt15iterator_traitsISK_E10value_typeET2_T3_PNSL_ISQ_E10value_typeET4_jRbjT5_SW_jjP12ihipStream_tbEUlT_E2_NS1_11comp_targetILNS1_3genE5ELNS1_11target_archE942ELNS1_3gpuE9ELNS1_3repE0EEENS1_30default_config_static_selectorELNS0_4arch9wavefront6targetE0EEEvSK_
                                        ; -- End function
	.set _ZN7rocprim17ROCPRIM_400000_NS6detail17trampoline_kernelINS0_14default_configENS1_36segmented_radix_sort_config_selectorIblEEZNS1_25segmented_radix_sort_implIS3_Lb1EPKbPbPKlPlN2at6native12_GLOBAL__N_18offset_tEEE10hipError_tPvRmT1_PNSt15iterator_traitsISK_E10value_typeET2_T3_PNSL_ISQ_E10value_typeET4_jRbjT5_SW_jjP12ihipStream_tbEUlT_E2_NS1_11comp_targetILNS1_3genE5ELNS1_11target_archE942ELNS1_3gpuE9ELNS1_3repE0EEENS1_30default_config_static_selectorELNS0_4arch9wavefront6targetE0EEEvSK_.num_vgpr, 0
	.set _ZN7rocprim17ROCPRIM_400000_NS6detail17trampoline_kernelINS0_14default_configENS1_36segmented_radix_sort_config_selectorIblEEZNS1_25segmented_radix_sort_implIS3_Lb1EPKbPbPKlPlN2at6native12_GLOBAL__N_18offset_tEEE10hipError_tPvRmT1_PNSt15iterator_traitsISK_E10value_typeET2_T3_PNSL_ISQ_E10value_typeET4_jRbjT5_SW_jjP12ihipStream_tbEUlT_E2_NS1_11comp_targetILNS1_3genE5ELNS1_11target_archE942ELNS1_3gpuE9ELNS1_3repE0EEENS1_30default_config_static_selectorELNS0_4arch9wavefront6targetE0EEEvSK_.num_agpr, 0
	.set _ZN7rocprim17ROCPRIM_400000_NS6detail17trampoline_kernelINS0_14default_configENS1_36segmented_radix_sort_config_selectorIblEEZNS1_25segmented_radix_sort_implIS3_Lb1EPKbPbPKlPlN2at6native12_GLOBAL__N_18offset_tEEE10hipError_tPvRmT1_PNSt15iterator_traitsISK_E10value_typeET2_T3_PNSL_ISQ_E10value_typeET4_jRbjT5_SW_jjP12ihipStream_tbEUlT_E2_NS1_11comp_targetILNS1_3genE5ELNS1_11target_archE942ELNS1_3gpuE9ELNS1_3repE0EEENS1_30default_config_static_selectorELNS0_4arch9wavefront6targetE0EEEvSK_.numbered_sgpr, 0
	.set _ZN7rocprim17ROCPRIM_400000_NS6detail17trampoline_kernelINS0_14default_configENS1_36segmented_radix_sort_config_selectorIblEEZNS1_25segmented_radix_sort_implIS3_Lb1EPKbPbPKlPlN2at6native12_GLOBAL__N_18offset_tEEE10hipError_tPvRmT1_PNSt15iterator_traitsISK_E10value_typeET2_T3_PNSL_ISQ_E10value_typeET4_jRbjT5_SW_jjP12ihipStream_tbEUlT_E2_NS1_11comp_targetILNS1_3genE5ELNS1_11target_archE942ELNS1_3gpuE9ELNS1_3repE0EEENS1_30default_config_static_selectorELNS0_4arch9wavefront6targetE0EEEvSK_.num_named_barrier, 0
	.set _ZN7rocprim17ROCPRIM_400000_NS6detail17trampoline_kernelINS0_14default_configENS1_36segmented_radix_sort_config_selectorIblEEZNS1_25segmented_radix_sort_implIS3_Lb1EPKbPbPKlPlN2at6native12_GLOBAL__N_18offset_tEEE10hipError_tPvRmT1_PNSt15iterator_traitsISK_E10value_typeET2_T3_PNSL_ISQ_E10value_typeET4_jRbjT5_SW_jjP12ihipStream_tbEUlT_E2_NS1_11comp_targetILNS1_3genE5ELNS1_11target_archE942ELNS1_3gpuE9ELNS1_3repE0EEENS1_30default_config_static_selectorELNS0_4arch9wavefront6targetE0EEEvSK_.private_seg_size, 0
	.set _ZN7rocprim17ROCPRIM_400000_NS6detail17trampoline_kernelINS0_14default_configENS1_36segmented_radix_sort_config_selectorIblEEZNS1_25segmented_radix_sort_implIS3_Lb1EPKbPbPKlPlN2at6native12_GLOBAL__N_18offset_tEEE10hipError_tPvRmT1_PNSt15iterator_traitsISK_E10value_typeET2_T3_PNSL_ISQ_E10value_typeET4_jRbjT5_SW_jjP12ihipStream_tbEUlT_E2_NS1_11comp_targetILNS1_3genE5ELNS1_11target_archE942ELNS1_3gpuE9ELNS1_3repE0EEENS1_30default_config_static_selectorELNS0_4arch9wavefront6targetE0EEEvSK_.uses_vcc, 0
	.set _ZN7rocprim17ROCPRIM_400000_NS6detail17trampoline_kernelINS0_14default_configENS1_36segmented_radix_sort_config_selectorIblEEZNS1_25segmented_radix_sort_implIS3_Lb1EPKbPbPKlPlN2at6native12_GLOBAL__N_18offset_tEEE10hipError_tPvRmT1_PNSt15iterator_traitsISK_E10value_typeET2_T3_PNSL_ISQ_E10value_typeET4_jRbjT5_SW_jjP12ihipStream_tbEUlT_E2_NS1_11comp_targetILNS1_3genE5ELNS1_11target_archE942ELNS1_3gpuE9ELNS1_3repE0EEENS1_30default_config_static_selectorELNS0_4arch9wavefront6targetE0EEEvSK_.uses_flat_scratch, 0
	.set _ZN7rocprim17ROCPRIM_400000_NS6detail17trampoline_kernelINS0_14default_configENS1_36segmented_radix_sort_config_selectorIblEEZNS1_25segmented_radix_sort_implIS3_Lb1EPKbPbPKlPlN2at6native12_GLOBAL__N_18offset_tEEE10hipError_tPvRmT1_PNSt15iterator_traitsISK_E10value_typeET2_T3_PNSL_ISQ_E10value_typeET4_jRbjT5_SW_jjP12ihipStream_tbEUlT_E2_NS1_11comp_targetILNS1_3genE5ELNS1_11target_archE942ELNS1_3gpuE9ELNS1_3repE0EEENS1_30default_config_static_selectorELNS0_4arch9wavefront6targetE0EEEvSK_.has_dyn_sized_stack, 0
	.set _ZN7rocprim17ROCPRIM_400000_NS6detail17trampoline_kernelINS0_14default_configENS1_36segmented_radix_sort_config_selectorIblEEZNS1_25segmented_radix_sort_implIS3_Lb1EPKbPbPKlPlN2at6native12_GLOBAL__N_18offset_tEEE10hipError_tPvRmT1_PNSt15iterator_traitsISK_E10value_typeET2_T3_PNSL_ISQ_E10value_typeET4_jRbjT5_SW_jjP12ihipStream_tbEUlT_E2_NS1_11comp_targetILNS1_3genE5ELNS1_11target_archE942ELNS1_3gpuE9ELNS1_3repE0EEENS1_30default_config_static_selectorELNS0_4arch9wavefront6targetE0EEEvSK_.has_recursion, 0
	.set _ZN7rocprim17ROCPRIM_400000_NS6detail17trampoline_kernelINS0_14default_configENS1_36segmented_radix_sort_config_selectorIblEEZNS1_25segmented_radix_sort_implIS3_Lb1EPKbPbPKlPlN2at6native12_GLOBAL__N_18offset_tEEE10hipError_tPvRmT1_PNSt15iterator_traitsISK_E10value_typeET2_T3_PNSL_ISQ_E10value_typeET4_jRbjT5_SW_jjP12ihipStream_tbEUlT_E2_NS1_11comp_targetILNS1_3genE5ELNS1_11target_archE942ELNS1_3gpuE9ELNS1_3repE0EEENS1_30default_config_static_selectorELNS0_4arch9wavefront6targetE0EEEvSK_.has_indirect_call, 0
	.section	.AMDGPU.csdata,"",@progbits
; Kernel info:
; codeLenInByte = 0
; TotalNumSgprs: 0
; NumVgprs: 0
; ScratchSize: 0
; MemoryBound: 0
; FloatMode: 240
; IeeeMode: 1
; LDSByteSize: 0 bytes/workgroup (compile time only)
; SGPRBlocks: 0
; VGPRBlocks: 0
; NumSGPRsForWavesPerEU: 1
; NumVGPRsForWavesPerEU: 1
; NamedBarCnt: 0
; Occupancy: 16
; WaveLimiterHint : 0
; COMPUTE_PGM_RSRC2:SCRATCH_EN: 0
; COMPUTE_PGM_RSRC2:USER_SGPR: 2
; COMPUTE_PGM_RSRC2:TRAP_HANDLER: 0
; COMPUTE_PGM_RSRC2:TGID_X_EN: 1
; COMPUTE_PGM_RSRC2:TGID_Y_EN: 0
; COMPUTE_PGM_RSRC2:TGID_Z_EN: 0
; COMPUTE_PGM_RSRC2:TIDIG_COMP_CNT: 0
	.section	.text._ZN7rocprim17ROCPRIM_400000_NS6detail17trampoline_kernelINS0_14default_configENS1_36segmented_radix_sort_config_selectorIblEEZNS1_25segmented_radix_sort_implIS3_Lb1EPKbPbPKlPlN2at6native12_GLOBAL__N_18offset_tEEE10hipError_tPvRmT1_PNSt15iterator_traitsISK_E10value_typeET2_T3_PNSL_ISQ_E10value_typeET4_jRbjT5_SW_jjP12ihipStream_tbEUlT_E2_NS1_11comp_targetILNS1_3genE4ELNS1_11target_archE910ELNS1_3gpuE8ELNS1_3repE0EEENS1_30default_config_static_selectorELNS0_4arch9wavefront6targetE0EEEvSK_,"axG",@progbits,_ZN7rocprim17ROCPRIM_400000_NS6detail17trampoline_kernelINS0_14default_configENS1_36segmented_radix_sort_config_selectorIblEEZNS1_25segmented_radix_sort_implIS3_Lb1EPKbPbPKlPlN2at6native12_GLOBAL__N_18offset_tEEE10hipError_tPvRmT1_PNSt15iterator_traitsISK_E10value_typeET2_T3_PNSL_ISQ_E10value_typeET4_jRbjT5_SW_jjP12ihipStream_tbEUlT_E2_NS1_11comp_targetILNS1_3genE4ELNS1_11target_archE910ELNS1_3gpuE8ELNS1_3repE0EEENS1_30default_config_static_selectorELNS0_4arch9wavefront6targetE0EEEvSK_,comdat
	.globl	_ZN7rocprim17ROCPRIM_400000_NS6detail17trampoline_kernelINS0_14default_configENS1_36segmented_radix_sort_config_selectorIblEEZNS1_25segmented_radix_sort_implIS3_Lb1EPKbPbPKlPlN2at6native12_GLOBAL__N_18offset_tEEE10hipError_tPvRmT1_PNSt15iterator_traitsISK_E10value_typeET2_T3_PNSL_ISQ_E10value_typeET4_jRbjT5_SW_jjP12ihipStream_tbEUlT_E2_NS1_11comp_targetILNS1_3genE4ELNS1_11target_archE910ELNS1_3gpuE8ELNS1_3repE0EEENS1_30default_config_static_selectorELNS0_4arch9wavefront6targetE0EEEvSK_ ; -- Begin function _ZN7rocprim17ROCPRIM_400000_NS6detail17trampoline_kernelINS0_14default_configENS1_36segmented_radix_sort_config_selectorIblEEZNS1_25segmented_radix_sort_implIS3_Lb1EPKbPbPKlPlN2at6native12_GLOBAL__N_18offset_tEEE10hipError_tPvRmT1_PNSt15iterator_traitsISK_E10value_typeET2_T3_PNSL_ISQ_E10value_typeET4_jRbjT5_SW_jjP12ihipStream_tbEUlT_E2_NS1_11comp_targetILNS1_3genE4ELNS1_11target_archE910ELNS1_3gpuE8ELNS1_3repE0EEENS1_30default_config_static_selectorELNS0_4arch9wavefront6targetE0EEEvSK_
	.p2align	8
	.type	_ZN7rocprim17ROCPRIM_400000_NS6detail17trampoline_kernelINS0_14default_configENS1_36segmented_radix_sort_config_selectorIblEEZNS1_25segmented_radix_sort_implIS3_Lb1EPKbPbPKlPlN2at6native12_GLOBAL__N_18offset_tEEE10hipError_tPvRmT1_PNSt15iterator_traitsISK_E10value_typeET2_T3_PNSL_ISQ_E10value_typeET4_jRbjT5_SW_jjP12ihipStream_tbEUlT_E2_NS1_11comp_targetILNS1_3genE4ELNS1_11target_archE910ELNS1_3gpuE8ELNS1_3repE0EEENS1_30default_config_static_selectorELNS0_4arch9wavefront6targetE0EEEvSK_,@function
_ZN7rocprim17ROCPRIM_400000_NS6detail17trampoline_kernelINS0_14default_configENS1_36segmented_radix_sort_config_selectorIblEEZNS1_25segmented_radix_sort_implIS3_Lb1EPKbPbPKlPlN2at6native12_GLOBAL__N_18offset_tEEE10hipError_tPvRmT1_PNSt15iterator_traitsISK_E10value_typeET2_T3_PNSL_ISQ_E10value_typeET4_jRbjT5_SW_jjP12ihipStream_tbEUlT_E2_NS1_11comp_targetILNS1_3genE4ELNS1_11target_archE910ELNS1_3gpuE8ELNS1_3repE0EEENS1_30default_config_static_selectorELNS0_4arch9wavefront6targetE0EEEvSK_: ; @_ZN7rocprim17ROCPRIM_400000_NS6detail17trampoline_kernelINS0_14default_configENS1_36segmented_radix_sort_config_selectorIblEEZNS1_25segmented_radix_sort_implIS3_Lb1EPKbPbPKlPlN2at6native12_GLOBAL__N_18offset_tEEE10hipError_tPvRmT1_PNSt15iterator_traitsISK_E10value_typeET2_T3_PNSL_ISQ_E10value_typeET4_jRbjT5_SW_jjP12ihipStream_tbEUlT_E2_NS1_11comp_targetILNS1_3genE4ELNS1_11target_archE910ELNS1_3gpuE8ELNS1_3repE0EEENS1_30default_config_static_selectorELNS0_4arch9wavefront6targetE0EEEvSK_
; %bb.0:
	.section	.rodata,"a",@progbits
	.p2align	6, 0x0
	.amdhsa_kernel _ZN7rocprim17ROCPRIM_400000_NS6detail17trampoline_kernelINS0_14default_configENS1_36segmented_radix_sort_config_selectorIblEEZNS1_25segmented_radix_sort_implIS3_Lb1EPKbPbPKlPlN2at6native12_GLOBAL__N_18offset_tEEE10hipError_tPvRmT1_PNSt15iterator_traitsISK_E10value_typeET2_T3_PNSL_ISQ_E10value_typeET4_jRbjT5_SW_jjP12ihipStream_tbEUlT_E2_NS1_11comp_targetILNS1_3genE4ELNS1_11target_archE910ELNS1_3gpuE8ELNS1_3repE0EEENS1_30default_config_static_selectorELNS0_4arch9wavefront6targetE0EEEvSK_
		.amdhsa_group_segment_fixed_size 0
		.amdhsa_private_segment_fixed_size 0
		.amdhsa_kernarg_size 80
		.amdhsa_user_sgpr_count 2
		.amdhsa_user_sgpr_dispatch_ptr 0
		.amdhsa_user_sgpr_queue_ptr 0
		.amdhsa_user_sgpr_kernarg_segment_ptr 1
		.amdhsa_user_sgpr_dispatch_id 0
		.amdhsa_user_sgpr_kernarg_preload_length 0
		.amdhsa_user_sgpr_kernarg_preload_offset 0
		.amdhsa_user_sgpr_private_segment_size 0
		.amdhsa_wavefront_size32 1
		.amdhsa_uses_dynamic_stack 0
		.amdhsa_enable_private_segment 0
		.amdhsa_system_sgpr_workgroup_id_x 1
		.amdhsa_system_sgpr_workgroup_id_y 0
		.amdhsa_system_sgpr_workgroup_id_z 0
		.amdhsa_system_sgpr_workgroup_info 0
		.amdhsa_system_vgpr_workitem_id 0
		.amdhsa_next_free_vgpr 1
		.amdhsa_next_free_sgpr 1
		.amdhsa_named_barrier_count 0
		.amdhsa_reserve_vcc 0
		.amdhsa_float_round_mode_32 0
		.amdhsa_float_round_mode_16_64 0
		.amdhsa_float_denorm_mode_32 3
		.amdhsa_float_denorm_mode_16_64 3
		.amdhsa_fp16_overflow 0
		.amdhsa_memory_ordered 1
		.amdhsa_forward_progress 1
		.amdhsa_inst_pref_size 0
		.amdhsa_round_robin_scheduling 0
		.amdhsa_exception_fp_ieee_invalid_op 0
		.amdhsa_exception_fp_denorm_src 0
		.amdhsa_exception_fp_ieee_div_zero 0
		.amdhsa_exception_fp_ieee_overflow 0
		.amdhsa_exception_fp_ieee_underflow 0
		.amdhsa_exception_fp_ieee_inexact 0
		.amdhsa_exception_int_div_zero 0
	.end_amdhsa_kernel
	.section	.text._ZN7rocprim17ROCPRIM_400000_NS6detail17trampoline_kernelINS0_14default_configENS1_36segmented_radix_sort_config_selectorIblEEZNS1_25segmented_radix_sort_implIS3_Lb1EPKbPbPKlPlN2at6native12_GLOBAL__N_18offset_tEEE10hipError_tPvRmT1_PNSt15iterator_traitsISK_E10value_typeET2_T3_PNSL_ISQ_E10value_typeET4_jRbjT5_SW_jjP12ihipStream_tbEUlT_E2_NS1_11comp_targetILNS1_3genE4ELNS1_11target_archE910ELNS1_3gpuE8ELNS1_3repE0EEENS1_30default_config_static_selectorELNS0_4arch9wavefront6targetE0EEEvSK_,"axG",@progbits,_ZN7rocprim17ROCPRIM_400000_NS6detail17trampoline_kernelINS0_14default_configENS1_36segmented_radix_sort_config_selectorIblEEZNS1_25segmented_radix_sort_implIS3_Lb1EPKbPbPKlPlN2at6native12_GLOBAL__N_18offset_tEEE10hipError_tPvRmT1_PNSt15iterator_traitsISK_E10value_typeET2_T3_PNSL_ISQ_E10value_typeET4_jRbjT5_SW_jjP12ihipStream_tbEUlT_E2_NS1_11comp_targetILNS1_3genE4ELNS1_11target_archE910ELNS1_3gpuE8ELNS1_3repE0EEENS1_30default_config_static_selectorELNS0_4arch9wavefront6targetE0EEEvSK_,comdat
.Lfunc_end1555:
	.size	_ZN7rocprim17ROCPRIM_400000_NS6detail17trampoline_kernelINS0_14default_configENS1_36segmented_radix_sort_config_selectorIblEEZNS1_25segmented_radix_sort_implIS3_Lb1EPKbPbPKlPlN2at6native12_GLOBAL__N_18offset_tEEE10hipError_tPvRmT1_PNSt15iterator_traitsISK_E10value_typeET2_T3_PNSL_ISQ_E10value_typeET4_jRbjT5_SW_jjP12ihipStream_tbEUlT_E2_NS1_11comp_targetILNS1_3genE4ELNS1_11target_archE910ELNS1_3gpuE8ELNS1_3repE0EEENS1_30default_config_static_selectorELNS0_4arch9wavefront6targetE0EEEvSK_, .Lfunc_end1555-_ZN7rocprim17ROCPRIM_400000_NS6detail17trampoline_kernelINS0_14default_configENS1_36segmented_radix_sort_config_selectorIblEEZNS1_25segmented_radix_sort_implIS3_Lb1EPKbPbPKlPlN2at6native12_GLOBAL__N_18offset_tEEE10hipError_tPvRmT1_PNSt15iterator_traitsISK_E10value_typeET2_T3_PNSL_ISQ_E10value_typeET4_jRbjT5_SW_jjP12ihipStream_tbEUlT_E2_NS1_11comp_targetILNS1_3genE4ELNS1_11target_archE910ELNS1_3gpuE8ELNS1_3repE0EEENS1_30default_config_static_selectorELNS0_4arch9wavefront6targetE0EEEvSK_
                                        ; -- End function
	.set _ZN7rocprim17ROCPRIM_400000_NS6detail17trampoline_kernelINS0_14default_configENS1_36segmented_radix_sort_config_selectorIblEEZNS1_25segmented_radix_sort_implIS3_Lb1EPKbPbPKlPlN2at6native12_GLOBAL__N_18offset_tEEE10hipError_tPvRmT1_PNSt15iterator_traitsISK_E10value_typeET2_T3_PNSL_ISQ_E10value_typeET4_jRbjT5_SW_jjP12ihipStream_tbEUlT_E2_NS1_11comp_targetILNS1_3genE4ELNS1_11target_archE910ELNS1_3gpuE8ELNS1_3repE0EEENS1_30default_config_static_selectorELNS0_4arch9wavefront6targetE0EEEvSK_.num_vgpr, 0
	.set _ZN7rocprim17ROCPRIM_400000_NS6detail17trampoline_kernelINS0_14default_configENS1_36segmented_radix_sort_config_selectorIblEEZNS1_25segmented_radix_sort_implIS3_Lb1EPKbPbPKlPlN2at6native12_GLOBAL__N_18offset_tEEE10hipError_tPvRmT1_PNSt15iterator_traitsISK_E10value_typeET2_T3_PNSL_ISQ_E10value_typeET4_jRbjT5_SW_jjP12ihipStream_tbEUlT_E2_NS1_11comp_targetILNS1_3genE4ELNS1_11target_archE910ELNS1_3gpuE8ELNS1_3repE0EEENS1_30default_config_static_selectorELNS0_4arch9wavefront6targetE0EEEvSK_.num_agpr, 0
	.set _ZN7rocprim17ROCPRIM_400000_NS6detail17trampoline_kernelINS0_14default_configENS1_36segmented_radix_sort_config_selectorIblEEZNS1_25segmented_radix_sort_implIS3_Lb1EPKbPbPKlPlN2at6native12_GLOBAL__N_18offset_tEEE10hipError_tPvRmT1_PNSt15iterator_traitsISK_E10value_typeET2_T3_PNSL_ISQ_E10value_typeET4_jRbjT5_SW_jjP12ihipStream_tbEUlT_E2_NS1_11comp_targetILNS1_3genE4ELNS1_11target_archE910ELNS1_3gpuE8ELNS1_3repE0EEENS1_30default_config_static_selectorELNS0_4arch9wavefront6targetE0EEEvSK_.numbered_sgpr, 0
	.set _ZN7rocprim17ROCPRIM_400000_NS6detail17trampoline_kernelINS0_14default_configENS1_36segmented_radix_sort_config_selectorIblEEZNS1_25segmented_radix_sort_implIS3_Lb1EPKbPbPKlPlN2at6native12_GLOBAL__N_18offset_tEEE10hipError_tPvRmT1_PNSt15iterator_traitsISK_E10value_typeET2_T3_PNSL_ISQ_E10value_typeET4_jRbjT5_SW_jjP12ihipStream_tbEUlT_E2_NS1_11comp_targetILNS1_3genE4ELNS1_11target_archE910ELNS1_3gpuE8ELNS1_3repE0EEENS1_30default_config_static_selectorELNS0_4arch9wavefront6targetE0EEEvSK_.num_named_barrier, 0
	.set _ZN7rocprim17ROCPRIM_400000_NS6detail17trampoline_kernelINS0_14default_configENS1_36segmented_radix_sort_config_selectorIblEEZNS1_25segmented_radix_sort_implIS3_Lb1EPKbPbPKlPlN2at6native12_GLOBAL__N_18offset_tEEE10hipError_tPvRmT1_PNSt15iterator_traitsISK_E10value_typeET2_T3_PNSL_ISQ_E10value_typeET4_jRbjT5_SW_jjP12ihipStream_tbEUlT_E2_NS1_11comp_targetILNS1_3genE4ELNS1_11target_archE910ELNS1_3gpuE8ELNS1_3repE0EEENS1_30default_config_static_selectorELNS0_4arch9wavefront6targetE0EEEvSK_.private_seg_size, 0
	.set _ZN7rocprim17ROCPRIM_400000_NS6detail17trampoline_kernelINS0_14default_configENS1_36segmented_radix_sort_config_selectorIblEEZNS1_25segmented_radix_sort_implIS3_Lb1EPKbPbPKlPlN2at6native12_GLOBAL__N_18offset_tEEE10hipError_tPvRmT1_PNSt15iterator_traitsISK_E10value_typeET2_T3_PNSL_ISQ_E10value_typeET4_jRbjT5_SW_jjP12ihipStream_tbEUlT_E2_NS1_11comp_targetILNS1_3genE4ELNS1_11target_archE910ELNS1_3gpuE8ELNS1_3repE0EEENS1_30default_config_static_selectorELNS0_4arch9wavefront6targetE0EEEvSK_.uses_vcc, 0
	.set _ZN7rocprim17ROCPRIM_400000_NS6detail17trampoline_kernelINS0_14default_configENS1_36segmented_radix_sort_config_selectorIblEEZNS1_25segmented_radix_sort_implIS3_Lb1EPKbPbPKlPlN2at6native12_GLOBAL__N_18offset_tEEE10hipError_tPvRmT1_PNSt15iterator_traitsISK_E10value_typeET2_T3_PNSL_ISQ_E10value_typeET4_jRbjT5_SW_jjP12ihipStream_tbEUlT_E2_NS1_11comp_targetILNS1_3genE4ELNS1_11target_archE910ELNS1_3gpuE8ELNS1_3repE0EEENS1_30default_config_static_selectorELNS0_4arch9wavefront6targetE0EEEvSK_.uses_flat_scratch, 0
	.set _ZN7rocprim17ROCPRIM_400000_NS6detail17trampoline_kernelINS0_14default_configENS1_36segmented_radix_sort_config_selectorIblEEZNS1_25segmented_radix_sort_implIS3_Lb1EPKbPbPKlPlN2at6native12_GLOBAL__N_18offset_tEEE10hipError_tPvRmT1_PNSt15iterator_traitsISK_E10value_typeET2_T3_PNSL_ISQ_E10value_typeET4_jRbjT5_SW_jjP12ihipStream_tbEUlT_E2_NS1_11comp_targetILNS1_3genE4ELNS1_11target_archE910ELNS1_3gpuE8ELNS1_3repE0EEENS1_30default_config_static_selectorELNS0_4arch9wavefront6targetE0EEEvSK_.has_dyn_sized_stack, 0
	.set _ZN7rocprim17ROCPRIM_400000_NS6detail17trampoline_kernelINS0_14default_configENS1_36segmented_radix_sort_config_selectorIblEEZNS1_25segmented_radix_sort_implIS3_Lb1EPKbPbPKlPlN2at6native12_GLOBAL__N_18offset_tEEE10hipError_tPvRmT1_PNSt15iterator_traitsISK_E10value_typeET2_T3_PNSL_ISQ_E10value_typeET4_jRbjT5_SW_jjP12ihipStream_tbEUlT_E2_NS1_11comp_targetILNS1_3genE4ELNS1_11target_archE910ELNS1_3gpuE8ELNS1_3repE0EEENS1_30default_config_static_selectorELNS0_4arch9wavefront6targetE0EEEvSK_.has_recursion, 0
	.set _ZN7rocprim17ROCPRIM_400000_NS6detail17trampoline_kernelINS0_14default_configENS1_36segmented_radix_sort_config_selectorIblEEZNS1_25segmented_radix_sort_implIS3_Lb1EPKbPbPKlPlN2at6native12_GLOBAL__N_18offset_tEEE10hipError_tPvRmT1_PNSt15iterator_traitsISK_E10value_typeET2_T3_PNSL_ISQ_E10value_typeET4_jRbjT5_SW_jjP12ihipStream_tbEUlT_E2_NS1_11comp_targetILNS1_3genE4ELNS1_11target_archE910ELNS1_3gpuE8ELNS1_3repE0EEENS1_30default_config_static_selectorELNS0_4arch9wavefront6targetE0EEEvSK_.has_indirect_call, 0
	.section	.AMDGPU.csdata,"",@progbits
; Kernel info:
; codeLenInByte = 0
; TotalNumSgprs: 0
; NumVgprs: 0
; ScratchSize: 0
; MemoryBound: 0
; FloatMode: 240
; IeeeMode: 1
; LDSByteSize: 0 bytes/workgroup (compile time only)
; SGPRBlocks: 0
; VGPRBlocks: 0
; NumSGPRsForWavesPerEU: 1
; NumVGPRsForWavesPerEU: 1
; NamedBarCnt: 0
; Occupancy: 16
; WaveLimiterHint : 0
; COMPUTE_PGM_RSRC2:SCRATCH_EN: 0
; COMPUTE_PGM_RSRC2:USER_SGPR: 2
; COMPUTE_PGM_RSRC2:TRAP_HANDLER: 0
; COMPUTE_PGM_RSRC2:TGID_X_EN: 1
; COMPUTE_PGM_RSRC2:TGID_Y_EN: 0
; COMPUTE_PGM_RSRC2:TGID_Z_EN: 0
; COMPUTE_PGM_RSRC2:TIDIG_COMP_CNT: 0
	.section	.text._ZN7rocprim17ROCPRIM_400000_NS6detail17trampoline_kernelINS0_14default_configENS1_36segmented_radix_sort_config_selectorIblEEZNS1_25segmented_radix_sort_implIS3_Lb1EPKbPbPKlPlN2at6native12_GLOBAL__N_18offset_tEEE10hipError_tPvRmT1_PNSt15iterator_traitsISK_E10value_typeET2_T3_PNSL_ISQ_E10value_typeET4_jRbjT5_SW_jjP12ihipStream_tbEUlT_E2_NS1_11comp_targetILNS1_3genE3ELNS1_11target_archE908ELNS1_3gpuE7ELNS1_3repE0EEENS1_30default_config_static_selectorELNS0_4arch9wavefront6targetE0EEEvSK_,"axG",@progbits,_ZN7rocprim17ROCPRIM_400000_NS6detail17trampoline_kernelINS0_14default_configENS1_36segmented_radix_sort_config_selectorIblEEZNS1_25segmented_radix_sort_implIS3_Lb1EPKbPbPKlPlN2at6native12_GLOBAL__N_18offset_tEEE10hipError_tPvRmT1_PNSt15iterator_traitsISK_E10value_typeET2_T3_PNSL_ISQ_E10value_typeET4_jRbjT5_SW_jjP12ihipStream_tbEUlT_E2_NS1_11comp_targetILNS1_3genE3ELNS1_11target_archE908ELNS1_3gpuE7ELNS1_3repE0EEENS1_30default_config_static_selectorELNS0_4arch9wavefront6targetE0EEEvSK_,comdat
	.globl	_ZN7rocprim17ROCPRIM_400000_NS6detail17trampoline_kernelINS0_14default_configENS1_36segmented_radix_sort_config_selectorIblEEZNS1_25segmented_radix_sort_implIS3_Lb1EPKbPbPKlPlN2at6native12_GLOBAL__N_18offset_tEEE10hipError_tPvRmT1_PNSt15iterator_traitsISK_E10value_typeET2_T3_PNSL_ISQ_E10value_typeET4_jRbjT5_SW_jjP12ihipStream_tbEUlT_E2_NS1_11comp_targetILNS1_3genE3ELNS1_11target_archE908ELNS1_3gpuE7ELNS1_3repE0EEENS1_30default_config_static_selectorELNS0_4arch9wavefront6targetE0EEEvSK_ ; -- Begin function _ZN7rocprim17ROCPRIM_400000_NS6detail17trampoline_kernelINS0_14default_configENS1_36segmented_radix_sort_config_selectorIblEEZNS1_25segmented_radix_sort_implIS3_Lb1EPKbPbPKlPlN2at6native12_GLOBAL__N_18offset_tEEE10hipError_tPvRmT1_PNSt15iterator_traitsISK_E10value_typeET2_T3_PNSL_ISQ_E10value_typeET4_jRbjT5_SW_jjP12ihipStream_tbEUlT_E2_NS1_11comp_targetILNS1_3genE3ELNS1_11target_archE908ELNS1_3gpuE7ELNS1_3repE0EEENS1_30default_config_static_selectorELNS0_4arch9wavefront6targetE0EEEvSK_
	.p2align	8
	.type	_ZN7rocprim17ROCPRIM_400000_NS6detail17trampoline_kernelINS0_14default_configENS1_36segmented_radix_sort_config_selectorIblEEZNS1_25segmented_radix_sort_implIS3_Lb1EPKbPbPKlPlN2at6native12_GLOBAL__N_18offset_tEEE10hipError_tPvRmT1_PNSt15iterator_traitsISK_E10value_typeET2_T3_PNSL_ISQ_E10value_typeET4_jRbjT5_SW_jjP12ihipStream_tbEUlT_E2_NS1_11comp_targetILNS1_3genE3ELNS1_11target_archE908ELNS1_3gpuE7ELNS1_3repE0EEENS1_30default_config_static_selectorELNS0_4arch9wavefront6targetE0EEEvSK_,@function
_ZN7rocprim17ROCPRIM_400000_NS6detail17trampoline_kernelINS0_14default_configENS1_36segmented_radix_sort_config_selectorIblEEZNS1_25segmented_radix_sort_implIS3_Lb1EPKbPbPKlPlN2at6native12_GLOBAL__N_18offset_tEEE10hipError_tPvRmT1_PNSt15iterator_traitsISK_E10value_typeET2_T3_PNSL_ISQ_E10value_typeET4_jRbjT5_SW_jjP12ihipStream_tbEUlT_E2_NS1_11comp_targetILNS1_3genE3ELNS1_11target_archE908ELNS1_3gpuE7ELNS1_3repE0EEENS1_30default_config_static_selectorELNS0_4arch9wavefront6targetE0EEEvSK_: ; @_ZN7rocprim17ROCPRIM_400000_NS6detail17trampoline_kernelINS0_14default_configENS1_36segmented_radix_sort_config_selectorIblEEZNS1_25segmented_radix_sort_implIS3_Lb1EPKbPbPKlPlN2at6native12_GLOBAL__N_18offset_tEEE10hipError_tPvRmT1_PNSt15iterator_traitsISK_E10value_typeET2_T3_PNSL_ISQ_E10value_typeET4_jRbjT5_SW_jjP12ihipStream_tbEUlT_E2_NS1_11comp_targetILNS1_3genE3ELNS1_11target_archE908ELNS1_3gpuE7ELNS1_3repE0EEENS1_30default_config_static_selectorELNS0_4arch9wavefront6targetE0EEEvSK_
; %bb.0:
	.section	.rodata,"a",@progbits
	.p2align	6, 0x0
	.amdhsa_kernel _ZN7rocprim17ROCPRIM_400000_NS6detail17trampoline_kernelINS0_14default_configENS1_36segmented_radix_sort_config_selectorIblEEZNS1_25segmented_radix_sort_implIS3_Lb1EPKbPbPKlPlN2at6native12_GLOBAL__N_18offset_tEEE10hipError_tPvRmT1_PNSt15iterator_traitsISK_E10value_typeET2_T3_PNSL_ISQ_E10value_typeET4_jRbjT5_SW_jjP12ihipStream_tbEUlT_E2_NS1_11comp_targetILNS1_3genE3ELNS1_11target_archE908ELNS1_3gpuE7ELNS1_3repE0EEENS1_30default_config_static_selectorELNS0_4arch9wavefront6targetE0EEEvSK_
		.amdhsa_group_segment_fixed_size 0
		.amdhsa_private_segment_fixed_size 0
		.amdhsa_kernarg_size 80
		.amdhsa_user_sgpr_count 2
		.amdhsa_user_sgpr_dispatch_ptr 0
		.amdhsa_user_sgpr_queue_ptr 0
		.amdhsa_user_sgpr_kernarg_segment_ptr 1
		.amdhsa_user_sgpr_dispatch_id 0
		.amdhsa_user_sgpr_kernarg_preload_length 0
		.amdhsa_user_sgpr_kernarg_preload_offset 0
		.amdhsa_user_sgpr_private_segment_size 0
		.amdhsa_wavefront_size32 1
		.amdhsa_uses_dynamic_stack 0
		.amdhsa_enable_private_segment 0
		.amdhsa_system_sgpr_workgroup_id_x 1
		.amdhsa_system_sgpr_workgroup_id_y 0
		.amdhsa_system_sgpr_workgroup_id_z 0
		.amdhsa_system_sgpr_workgroup_info 0
		.amdhsa_system_vgpr_workitem_id 0
		.amdhsa_next_free_vgpr 1
		.amdhsa_next_free_sgpr 1
		.amdhsa_named_barrier_count 0
		.amdhsa_reserve_vcc 0
		.amdhsa_float_round_mode_32 0
		.amdhsa_float_round_mode_16_64 0
		.amdhsa_float_denorm_mode_32 3
		.amdhsa_float_denorm_mode_16_64 3
		.amdhsa_fp16_overflow 0
		.amdhsa_memory_ordered 1
		.amdhsa_forward_progress 1
		.amdhsa_inst_pref_size 0
		.amdhsa_round_robin_scheduling 0
		.amdhsa_exception_fp_ieee_invalid_op 0
		.amdhsa_exception_fp_denorm_src 0
		.amdhsa_exception_fp_ieee_div_zero 0
		.amdhsa_exception_fp_ieee_overflow 0
		.amdhsa_exception_fp_ieee_underflow 0
		.amdhsa_exception_fp_ieee_inexact 0
		.amdhsa_exception_int_div_zero 0
	.end_amdhsa_kernel
	.section	.text._ZN7rocprim17ROCPRIM_400000_NS6detail17trampoline_kernelINS0_14default_configENS1_36segmented_radix_sort_config_selectorIblEEZNS1_25segmented_radix_sort_implIS3_Lb1EPKbPbPKlPlN2at6native12_GLOBAL__N_18offset_tEEE10hipError_tPvRmT1_PNSt15iterator_traitsISK_E10value_typeET2_T3_PNSL_ISQ_E10value_typeET4_jRbjT5_SW_jjP12ihipStream_tbEUlT_E2_NS1_11comp_targetILNS1_3genE3ELNS1_11target_archE908ELNS1_3gpuE7ELNS1_3repE0EEENS1_30default_config_static_selectorELNS0_4arch9wavefront6targetE0EEEvSK_,"axG",@progbits,_ZN7rocprim17ROCPRIM_400000_NS6detail17trampoline_kernelINS0_14default_configENS1_36segmented_radix_sort_config_selectorIblEEZNS1_25segmented_radix_sort_implIS3_Lb1EPKbPbPKlPlN2at6native12_GLOBAL__N_18offset_tEEE10hipError_tPvRmT1_PNSt15iterator_traitsISK_E10value_typeET2_T3_PNSL_ISQ_E10value_typeET4_jRbjT5_SW_jjP12ihipStream_tbEUlT_E2_NS1_11comp_targetILNS1_3genE3ELNS1_11target_archE908ELNS1_3gpuE7ELNS1_3repE0EEENS1_30default_config_static_selectorELNS0_4arch9wavefront6targetE0EEEvSK_,comdat
.Lfunc_end1556:
	.size	_ZN7rocprim17ROCPRIM_400000_NS6detail17trampoline_kernelINS0_14default_configENS1_36segmented_radix_sort_config_selectorIblEEZNS1_25segmented_radix_sort_implIS3_Lb1EPKbPbPKlPlN2at6native12_GLOBAL__N_18offset_tEEE10hipError_tPvRmT1_PNSt15iterator_traitsISK_E10value_typeET2_T3_PNSL_ISQ_E10value_typeET4_jRbjT5_SW_jjP12ihipStream_tbEUlT_E2_NS1_11comp_targetILNS1_3genE3ELNS1_11target_archE908ELNS1_3gpuE7ELNS1_3repE0EEENS1_30default_config_static_selectorELNS0_4arch9wavefront6targetE0EEEvSK_, .Lfunc_end1556-_ZN7rocprim17ROCPRIM_400000_NS6detail17trampoline_kernelINS0_14default_configENS1_36segmented_radix_sort_config_selectorIblEEZNS1_25segmented_radix_sort_implIS3_Lb1EPKbPbPKlPlN2at6native12_GLOBAL__N_18offset_tEEE10hipError_tPvRmT1_PNSt15iterator_traitsISK_E10value_typeET2_T3_PNSL_ISQ_E10value_typeET4_jRbjT5_SW_jjP12ihipStream_tbEUlT_E2_NS1_11comp_targetILNS1_3genE3ELNS1_11target_archE908ELNS1_3gpuE7ELNS1_3repE0EEENS1_30default_config_static_selectorELNS0_4arch9wavefront6targetE0EEEvSK_
                                        ; -- End function
	.set _ZN7rocprim17ROCPRIM_400000_NS6detail17trampoline_kernelINS0_14default_configENS1_36segmented_radix_sort_config_selectorIblEEZNS1_25segmented_radix_sort_implIS3_Lb1EPKbPbPKlPlN2at6native12_GLOBAL__N_18offset_tEEE10hipError_tPvRmT1_PNSt15iterator_traitsISK_E10value_typeET2_T3_PNSL_ISQ_E10value_typeET4_jRbjT5_SW_jjP12ihipStream_tbEUlT_E2_NS1_11comp_targetILNS1_3genE3ELNS1_11target_archE908ELNS1_3gpuE7ELNS1_3repE0EEENS1_30default_config_static_selectorELNS0_4arch9wavefront6targetE0EEEvSK_.num_vgpr, 0
	.set _ZN7rocprim17ROCPRIM_400000_NS6detail17trampoline_kernelINS0_14default_configENS1_36segmented_radix_sort_config_selectorIblEEZNS1_25segmented_radix_sort_implIS3_Lb1EPKbPbPKlPlN2at6native12_GLOBAL__N_18offset_tEEE10hipError_tPvRmT1_PNSt15iterator_traitsISK_E10value_typeET2_T3_PNSL_ISQ_E10value_typeET4_jRbjT5_SW_jjP12ihipStream_tbEUlT_E2_NS1_11comp_targetILNS1_3genE3ELNS1_11target_archE908ELNS1_3gpuE7ELNS1_3repE0EEENS1_30default_config_static_selectorELNS0_4arch9wavefront6targetE0EEEvSK_.num_agpr, 0
	.set _ZN7rocprim17ROCPRIM_400000_NS6detail17trampoline_kernelINS0_14default_configENS1_36segmented_radix_sort_config_selectorIblEEZNS1_25segmented_radix_sort_implIS3_Lb1EPKbPbPKlPlN2at6native12_GLOBAL__N_18offset_tEEE10hipError_tPvRmT1_PNSt15iterator_traitsISK_E10value_typeET2_T3_PNSL_ISQ_E10value_typeET4_jRbjT5_SW_jjP12ihipStream_tbEUlT_E2_NS1_11comp_targetILNS1_3genE3ELNS1_11target_archE908ELNS1_3gpuE7ELNS1_3repE0EEENS1_30default_config_static_selectorELNS0_4arch9wavefront6targetE0EEEvSK_.numbered_sgpr, 0
	.set _ZN7rocprim17ROCPRIM_400000_NS6detail17trampoline_kernelINS0_14default_configENS1_36segmented_radix_sort_config_selectorIblEEZNS1_25segmented_radix_sort_implIS3_Lb1EPKbPbPKlPlN2at6native12_GLOBAL__N_18offset_tEEE10hipError_tPvRmT1_PNSt15iterator_traitsISK_E10value_typeET2_T3_PNSL_ISQ_E10value_typeET4_jRbjT5_SW_jjP12ihipStream_tbEUlT_E2_NS1_11comp_targetILNS1_3genE3ELNS1_11target_archE908ELNS1_3gpuE7ELNS1_3repE0EEENS1_30default_config_static_selectorELNS0_4arch9wavefront6targetE0EEEvSK_.num_named_barrier, 0
	.set _ZN7rocprim17ROCPRIM_400000_NS6detail17trampoline_kernelINS0_14default_configENS1_36segmented_radix_sort_config_selectorIblEEZNS1_25segmented_radix_sort_implIS3_Lb1EPKbPbPKlPlN2at6native12_GLOBAL__N_18offset_tEEE10hipError_tPvRmT1_PNSt15iterator_traitsISK_E10value_typeET2_T3_PNSL_ISQ_E10value_typeET4_jRbjT5_SW_jjP12ihipStream_tbEUlT_E2_NS1_11comp_targetILNS1_3genE3ELNS1_11target_archE908ELNS1_3gpuE7ELNS1_3repE0EEENS1_30default_config_static_selectorELNS0_4arch9wavefront6targetE0EEEvSK_.private_seg_size, 0
	.set _ZN7rocprim17ROCPRIM_400000_NS6detail17trampoline_kernelINS0_14default_configENS1_36segmented_radix_sort_config_selectorIblEEZNS1_25segmented_radix_sort_implIS3_Lb1EPKbPbPKlPlN2at6native12_GLOBAL__N_18offset_tEEE10hipError_tPvRmT1_PNSt15iterator_traitsISK_E10value_typeET2_T3_PNSL_ISQ_E10value_typeET4_jRbjT5_SW_jjP12ihipStream_tbEUlT_E2_NS1_11comp_targetILNS1_3genE3ELNS1_11target_archE908ELNS1_3gpuE7ELNS1_3repE0EEENS1_30default_config_static_selectorELNS0_4arch9wavefront6targetE0EEEvSK_.uses_vcc, 0
	.set _ZN7rocprim17ROCPRIM_400000_NS6detail17trampoline_kernelINS0_14default_configENS1_36segmented_radix_sort_config_selectorIblEEZNS1_25segmented_radix_sort_implIS3_Lb1EPKbPbPKlPlN2at6native12_GLOBAL__N_18offset_tEEE10hipError_tPvRmT1_PNSt15iterator_traitsISK_E10value_typeET2_T3_PNSL_ISQ_E10value_typeET4_jRbjT5_SW_jjP12ihipStream_tbEUlT_E2_NS1_11comp_targetILNS1_3genE3ELNS1_11target_archE908ELNS1_3gpuE7ELNS1_3repE0EEENS1_30default_config_static_selectorELNS0_4arch9wavefront6targetE0EEEvSK_.uses_flat_scratch, 0
	.set _ZN7rocprim17ROCPRIM_400000_NS6detail17trampoline_kernelINS0_14default_configENS1_36segmented_radix_sort_config_selectorIblEEZNS1_25segmented_radix_sort_implIS3_Lb1EPKbPbPKlPlN2at6native12_GLOBAL__N_18offset_tEEE10hipError_tPvRmT1_PNSt15iterator_traitsISK_E10value_typeET2_T3_PNSL_ISQ_E10value_typeET4_jRbjT5_SW_jjP12ihipStream_tbEUlT_E2_NS1_11comp_targetILNS1_3genE3ELNS1_11target_archE908ELNS1_3gpuE7ELNS1_3repE0EEENS1_30default_config_static_selectorELNS0_4arch9wavefront6targetE0EEEvSK_.has_dyn_sized_stack, 0
	.set _ZN7rocprim17ROCPRIM_400000_NS6detail17trampoline_kernelINS0_14default_configENS1_36segmented_radix_sort_config_selectorIblEEZNS1_25segmented_radix_sort_implIS3_Lb1EPKbPbPKlPlN2at6native12_GLOBAL__N_18offset_tEEE10hipError_tPvRmT1_PNSt15iterator_traitsISK_E10value_typeET2_T3_PNSL_ISQ_E10value_typeET4_jRbjT5_SW_jjP12ihipStream_tbEUlT_E2_NS1_11comp_targetILNS1_3genE3ELNS1_11target_archE908ELNS1_3gpuE7ELNS1_3repE0EEENS1_30default_config_static_selectorELNS0_4arch9wavefront6targetE0EEEvSK_.has_recursion, 0
	.set _ZN7rocprim17ROCPRIM_400000_NS6detail17trampoline_kernelINS0_14default_configENS1_36segmented_radix_sort_config_selectorIblEEZNS1_25segmented_radix_sort_implIS3_Lb1EPKbPbPKlPlN2at6native12_GLOBAL__N_18offset_tEEE10hipError_tPvRmT1_PNSt15iterator_traitsISK_E10value_typeET2_T3_PNSL_ISQ_E10value_typeET4_jRbjT5_SW_jjP12ihipStream_tbEUlT_E2_NS1_11comp_targetILNS1_3genE3ELNS1_11target_archE908ELNS1_3gpuE7ELNS1_3repE0EEENS1_30default_config_static_selectorELNS0_4arch9wavefront6targetE0EEEvSK_.has_indirect_call, 0
	.section	.AMDGPU.csdata,"",@progbits
; Kernel info:
; codeLenInByte = 0
; TotalNumSgprs: 0
; NumVgprs: 0
; ScratchSize: 0
; MemoryBound: 0
; FloatMode: 240
; IeeeMode: 1
; LDSByteSize: 0 bytes/workgroup (compile time only)
; SGPRBlocks: 0
; VGPRBlocks: 0
; NumSGPRsForWavesPerEU: 1
; NumVGPRsForWavesPerEU: 1
; NamedBarCnt: 0
; Occupancy: 16
; WaveLimiterHint : 0
; COMPUTE_PGM_RSRC2:SCRATCH_EN: 0
; COMPUTE_PGM_RSRC2:USER_SGPR: 2
; COMPUTE_PGM_RSRC2:TRAP_HANDLER: 0
; COMPUTE_PGM_RSRC2:TGID_X_EN: 1
; COMPUTE_PGM_RSRC2:TGID_Y_EN: 0
; COMPUTE_PGM_RSRC2:TGID_Z_EN: 0
; COMPUTE_PGM_RSRC2:TIDIG_COMP_CNT: 0
	.section	.text._ZN7rocprim17ROCPRIM_400000_NS6detail17trampoline_kernelINS0_14default_configENS1_36segmented_radix_sort_config_selectorIblEEZNS1_25segmented_radix_sort_implIS3_Lb1EPKbPbPKlPlN2at6native12_GLOBAL__N_18offset_tEEE10hipError_tPvRmT1_PNSt15iterator_traitsISK_E10value_typeET2_T3_PNSL_ISQ_E10value_typeET4_jRbjT5_SW_jjP12ihipStream_tbEUlT_E2_NS1_11comp_targetILNS1_3genE2ELNS1_11target_archE906ELNS1_3gpuE6ELNS1_3repE0EEENS1_30default_config_static_selectorELNS0_4arch9wavefront6targetE0EEEvSK_,"axG",@progbits,_ZN7rocprim17ROCPRIM_400000_NS6detail17trampoline_kernelINS0_14default_configENS1_36segmented_radix_sort_config_selectorIblEEZNS1_25segmented_radix_sort_implIS3_Lb1EPKbPbPKlPlN2at6native12_GLOBAL__N_18offset_tEEE10hipError_tPvRmT1_PNSt15iterator_traitsISK_E10value_typeET2_T3_PNSL_ISQ_E10value_typeET4_jRbjT5_SW_jjP12ihipStream_tbEUlT_E2_NS1_11comp_targetILNS1_3genE2ELNS1_11target_archE906ELNS1_3gpuE6ELNS1_3repE0EEENS1_30default_config_static_selectorELNS0_4arch9wavefront6targetE0EEEvSK_,comdat
	.globl	_ZN7rocprim17ROCPRIM_400000_NS6detail17trampoline_kernelINS0_14default_configENS1_36segmented_radix_sort_config_selectorIblEEZNS1_25segmented_radix_sort_implIS3_Lb1EPKbPbPKlPlN2at6native12_GLOBAL__N_18offset_tEEE10hipError_tPvRmT1_PNSt15iterator_traitsISK_E10value_typeET2_T3_PNSL_ISQ_E10value_typeET4_jRbjT5_SW_jjP12ihipStream_tbEUlT_E2_NS1_11comp_targetILNS1_3genE2ELNS1_11target_archE906ELNS1_3gpuE6ELNS1_3repE0EEENS1_30default_config_static_selectorELNS0_4arch9wavefront6targetE0EEEvSK_ ; -- Begin function _ZN7rocprim17ROCPRIM_400000_NS6detail17trampoline_kernelINS0_14default_configENS1_36segmented_radix_sort_config_selectorIblEEZNS1_25segmented_radix_sort_implIS3_Lb1EPKbPbPKlPlN2at6native12_GLOBAL__N_18offset_tEEE10hipError_tPvRmT1_PNSt15iterator_traitsISK_E10value_typeET2_T3_PNSL_ISQ_E10value_typeET4_jRbjT5_SW_jjP12ihipStream_tbEUlT_E2_NS1_11comp_targetILNS1_3genE2ELNS1_11target_archE906ELNS1_3gpuE6ELNS1_3repE0EEENS1_30default_config_static_selectorELNS0_4arch9wavefront6targetE0EEEvSK_
	.p2align	8
	.type	_ZN7rocprim17ROCPRIM_400000_NS6detail17trampoline_kernelINS0_14default_configENS1_36segmented_radix_sort_config_selectorIblEEZNS1_25segmented_radix_sort_implIS3_Lb1EPKbPbPKlPlN2at6native12_GLOBAL__N_18offset_tEEE10hipError_tPvRmT1_PNSt15iterator_traitsISK_E10value_typeET2_T3_PNSL_ISQ_E10value_typeET4_jRbjT5_SW_jjP12ihipStream_tbEUlT_E2_NS1_11comp_targetILNS1_3genE2ELNS1_11target_archE906ELNS1_3gpuE6ELNS1_3repE0EEENS1_30default_config_static_selectorELNS0_4arch9wavefront6targetE0EEEvSK_,@function
_ZN7rocprim17ROCPRIM_400000_NS6detail17trampoline_kernelINS0_14default_configENS1_36segmented_radix_sort_config_selectorIblEEZNS1_25segmented_radix_sort_implIS3_Lb1EPKbPbPKlPlN2at6native12_GLOBAL__N_18offset_tEEE10hipError_tPvRmT1_PNSt15iterator_traitsISK_E10value_typeET2_T3_PNSL_ISQ_E10value_typeET4_jRbjT5_SW_jjP12ihipStream_tbEUlT_E2_NS1_11comp_targetILNS1_3genE2ELNS1_11target_archE906ELNS1_3gpuE6ELNS1_3repE0EEENS1_30default_config_static_selectorELNS0_4arch9wavefront6targetE0EEEvSK_: ; @_ZN7rocprim17ROCPRIM_400000_NS6detail17trampoline_kernelINS0_14default_configENS1_36segmented_radix_sort_config_selectorIblEEZNS1_25segmented_radix_sort_implIS3_Lb1EPKbPbPKlPlN2at6native12_GLOBAL__N_18offset_tEEE10hipError_tPvRmT1_PNSt15iterator_traitsISK_E10value_typeET2_T3_PNSL_ISQ_E10value_typeET4_jRbjT5_SW_jjP12ihipStream_tbEUlT_E2_NS1_11comp_targetILNS1_3genE2ELNS1_11target_archE906ELNS1_3gpuE6ELNS1_3repE0EEENS1_30default_config_static_selectorELNS0_4arch9wavefront6targetE0EEEvSK_
; %bb.0:
	.section	.rodata,"a",@progbits
	.p2align	6, 0x0
	.amdhsa_kernel _ZN7rocprim17ROCPRIM_400000_NS6detail17trampoline_kernelINS0_14default_configENS1_36segmented_radix_sort_config_selectorIblEEZNS1_25segmented_radix_sort_implIS3_Lb1EPKbPbPKlPlN2at6native12_GLOBAL__N_18offset_tEEE10hipError_tPvRmT1_PNSt15iterator_traitsISK_E10value_typeET2_T3_PNSL_ISQ_E10value_typeET4_jRbjT5_SW_jjP12ihipStream_tbEUlT_E2_NS1_11comp_targetILNS1_3genE2ELNS1_11target_archE906ELNS1_3gpuE6ELNS1_3repE0EEENS1_30default_config_static_selectorELNS0_4arch9wavefront6targetE0EEEvSK_
		.amdhsa_group_segment_fixed_size 0
		.amdhsa_private_segment_fixed_size 0
		.amdhsa_kernarg_size 80
		.amdhsa_user_sgpr_count 2
		.amdhsa_user_sgpr_dispatch_ptr 0
		.amdhsa_user_sgpr_queue_ptr 0
		.amdhsa_user_sgpr_kernarg_segment_ptr 1
		.amdhsa_user_sgpr_dispatch_id 0
		.amdhsa_user_sgpr_kernarg_preload_length 0
		.amdhsa_user_sgpr_kernarg_preload_offset 0
		.amdhsa_user_sgpr_private_segment_size 0
		.amdhsa_wavefront_size32 1
		.amdhsa_uses_dynamic_stack 0
		.amdhsa_enable_private_segment 0
		.amdhsa_system_sgpr_workgroup_id_x 1
		.amdhsa_system_sgpr_workgroup_id_y 0
		.amdhsa_system_sgpr_workgroup_id_z 0
		.amdhsa_system_sgpr_workgroup_info 0
		.amdhsa_system_vgpr_workitem_id 0
		.amdhsa_next_free_vgpr 1
		.amdhsa_next_free_sgpr 1
		.amdhsa_named_barrier_count 0
		.amdhsa_reserve_vcc 0
		.amdhsa_float_round_mode_32 0
		.amdhsa_float_round_mode_16_64 0
		.amdhsa_float_denorm_mode_32 3
		.amdhsa_float_denorm_mode_16_64 3
		.amdhsa_fp16_overflow 0
		.amdhsa_memory_ordered 1
		.amdhsa_forward_progress 1
		.amdhsa_inst_pref_size 0
		.amdhsa_round_robin_scheduling 0
		.amdhsa_exception_fp_ieee_invalid_op 0
		.amdhsa_exception_fp_denorm_src 0
		.amdhsa_exception_fp_ieee_div_zero 0
		.amdhsa_exception_fp_ieee_overflow 0
		.amdhsa_exception_fp_ieee_underflow 0
		.amdhsa_exception_fp_ieee_inexact 0
		.amdhsa_exception_int_div_zero 0
	.end_amdhsa_kernel
	.section	.text._ZN7rocprim17ROCPRIM_400000_NS6detail17trampoline_kernelINS0_14default_configENS1_36segmented_radix_sort_config_selectorIblEEZNS1_25segmented_radix_sort_implIS3_Lb1EPKbPbPKlPlN2at6native12_GLOBAL__N_18offset_tEEE10hipError_tPvRmT1_PNSt15iterator_traitsISK_E10value_typeET2_T3_PNSL_ISQ_E10value_typeET4_jRbjT5_SW_jjP12ihipStream_tbEUlT_E2_NS1_11comp_targetILNS1_3genE2ELNS1_11target_archE906ELNS1_3gpuE6ELNS1_3repE0EEENS1_30default_config_static_selectorELNS0_4arch9wavefront6targetE0EEEvSK_,"axG",@progbits,_ZN7rocprim17ROCPRIM_400000_NS6detail17trampoline_kernelINS0_14default_configENS1_36segmented_radix_sort_config_selectorIblEEZNS1_25segmented_radix_sort_implIS3_Lb1EPKbPbPKlPlN2at6native12_GLOBAL__N_18offset_tEEE10hipError_tPvRmT1_PNSt15iterator_traitsISK_E10value_typeET2_T3_PNSL_ISQ_E10value_typeET4_jRbjT5_SW_jjP12ihipStream_tbEUlT_E2_NS1_11comp_targetILNS1_3genE2ELNS1_11target_archE906ELNS1_3gpuE6ELNS1_3repE0EEENS1_30default_config_static_selectorELNS0_4arch9wavefront6targetE0EEEvSK_,comdat
.Lfunc_end1557:
	.size	_ZN7rocprim17ROCPRIM_400000_NS6detail17trampoline_kernelINS0_14default_configENS1_36segmented_radix_sort_config_selectorIblEEZNS1_25segmented_radix_sort_implIS3_Lb1EPKbPbPKlPlN2at6native12_GLOBAL__N_18offset_tEEE10hipError_tPvRmT1_PNSt15iterator_traitsISK_E10value_typeET2_T3_PNSL_ISQ_E10value_typeET4_jRbjT5_SW_jjP12ihipStream_tbEUlT_E2_NS1_11comp_targetILNS1_3genE2ELNS1_11target_archE906ELNS1_3gpuE6ELNS1_3repE0EEENS1_30default_config_static_selectorELNS0_4arch9wavefront6targetE0EEEvSK_, .Lfunc_end1557-_ZN7rocprim17ROCPRIM_400000_NS6detail17trampoline_kernelINS0_14default_configENS1_36segmented_radix_sort_config_selectorIblEEZNS1_25segmented_radix_sort_implIS3_Lb1EPKbPbPKlPlN2at6native12_GLOBAL__N_18offset_tEEE10hipError_tPvRmT1_PNSt15iterator_traitsISK_E10value_typeET2_T3_PNSL_ISQ_E10value_typeET4_jRbjT5_SW_jjP12ihipStream_tbEUlT_E2_NS1_11comp_targetILNS1_3genE2ELNS1_11target_archE906ELNS1_3gpuE6ELNS1_3repE0EEENS1_30default_config_static_selectorELNS0_4arch9wavefront6targetE0EEEvSK_
                                        ; -- End function
	.set _ZN7rocprim17ROCPRIM_400000_NS6detail17trampoline_kernelINS0_14default_configENS1_36segmented_radix_sort_config_selectorIblEEZNS1_25segmented_radix_sort_implIS3_Lb1EPKbPbPKlPlN2at6native12_GLOBAL__N_18offset_tEEE10hipError_tPvRmT1_PNSt15iterator_traitsISK_E10value_typeET2_T3_PNSL_ISQ_E10value_typeET4_jRbjT5_SW_jjP12ihipStream_tbEUlT_E2_NS1_11comp_targetILNS1_3genE2ELNS1_11target_archE906ELNS1_3gpuE6ELNS1_3repE0EEENS1_30default_config_static_selectorELNS0_4arch9wavefront6targetE0EEEvSK_.num_vgpr, 0
	.set _ZN7rocprim17ROCPRIM_400000_NS6detail17trampoline_kernelINS0_14default_configENS1_36segmented_radix_sort_config_selectorIblEEZNS1_25segmented_radix_sort_implIS3_Lb1EPKbPbPKlPlN2at6native12_GLOBAL__N_18offset_tEEE10hipError_tPvRmT1_PNSt15iterator_traitsISK_E10value_typeET2_T3_PNSL_ISQ_E10value_typeET4_jRbjT5_SW_jjP12ihipStream_tbEUlT_E2_NS1_11comp_targetILNS1_3genE2ELNS1_11target_archE906ELNS1_3gpuE6ELNS1_3repE0EEENS1_30default_config_static_selectorELNS0_4arch9wavefront6targetE0EEEvSK_.num_agpr, 0
	.set _ZN7rocprim17ROCPRIM_400000_NS6detail17trampoline_kernelINS0_14default_configENS1_36segmented_radix_sort_config_selectorIblEEZNS1_25segmented_radix_sort_implIS3_Lb1EPKbPbPKlPlN2at6native12_GLOBAL__N_18offset_tEEE10hipError_tPvRmT1_PNSt15iterator_traitsISK_E10value_typeET2_T3_PNSL_ISQ_E10value_typeET4_jRbjT5_SW_jjP12ihipStream_tbEUlT_E2_NS1_11comp_targetILNS1_3genE2ELNS1_11target_archE906ELNS1_3gpuE6ELNS1_3repE0EEENS1_30default_config_static_selectorELNS0_4arch9wavefront6targetE0EEEvSK_.numbered_sgpr, 0
	.set _ZN7rocprim17ROCPRIM_400000_NS6detail17trampoline_kernelINS0_14default_configENS1_36segmented_radix_sort_config_selectorIblEEZNS1_25segmented_radix_sort_implIS3_Lb1EPKbPbPKlPlN2at6native12_GLOBAL__N_18offset_tEEE10hipError_tPvRmT1_PNSt15iterator_traitsISK_E10value_typeET2_T3_PNSL_ISQ_E10value_typeET4_jRbjT5_SW_jjP12ihipStream_tbEUlT_E2_NS1_11comp_targetILNS1_3genE2ELNS1_11target_archE906ELNS1_3gpuE6ELNS1_3repE0EEENS1_30default_config_static_selectorELNS0_4arch9wavefront6targetE0EEEvSK_.num_named_barrier, 0
	.set _ZN7rocprim17ROCPRIM_400000_NS6detail17trampoline_kernelINS0_14default_configENS1_36segmented_radix_sort_config_selectorIblEEZNS1_25segmented_radix_sort_implIS3_Lb1EPKbPbPKlPlN2at6native12_GLOBAL__N_18offset_tEEE10hipError_tPvRmT1_PNSt15iterator_traitsISK_E10value_typeET2_T3_PNSL_ISQ_E10value_typeET4_jRbjT5_SW_jjP12ihipStream_tbEUlT_E2_NS1_11comp_targetILNS1_3genE2ELNS1_11target_archE906ELNS1_3gpuE6ELNS1_3repE0EEENS1_30default_config_static_selectorELNS0_4arch9wavefront6targetE0EEEvSK_.private_seg_size, 0
	.set _ZN7rocprim17ROCPRIM_400000_NS6detail17trampoline_kernelINS0_14default_configENS1_36segmented_radix_sort_config_selectorIblEEZNS1_25segmented_radix_sort_implIS3_Lb1EPKbPbPKlPlN2at6native12_GLOBAL__N_18offset_tEEE10hipError_tPvRmT1_PNSt15iterator_traitsISK_E10value_typeET2_T3_PNSL_ISQ_E10value_typeET4_jRbjT5_SW_jjP12ihipStream_tbEUlT_E2_NS1_11comp_targetILNS1_3genE2ELNS1_11target_archE906ELNS1_3gpuE6ELNS1_3repE0EEENS1_30default_config_static_selectorELNS0_4arch9wavefront6targetE0EEEvSK_.uses_vcc, 0
	.set _ZN7rocprim17ROCPRIM_400000_NS6detail17trampoline_kernelINS0_14default_configENS1_36segmented_radix_sort_config_selectorIblEEZNS1_25segmented_radix_sort_implIS3_Lb1EPKbPbPKlPlN2at6native12_GLOBAL__N_18offset_tEEE10hipError_tPvRmT1_PNSt15iterator_traitsISK_E10value_typeET2_T3_PNSL_ISQ_E10value_typeET4_jRbjT5_SW_jjP12ihipStream_tbEUlT_E2_NS1_11comp_targetILNS1_3genE2ELNS1_11target_archE906ELNS1_3gpuE6ELNS1_3repE0EEENS1_30default_config_static_selectorELNS0_4arch9wavefront6targetE0EEEvSK_.uses_flat_scratch, 0
	.set _ZN7rocprim17ROCPRIM_400000_NS6detail17trampoline_kernelINS0_14default_configENS1_36segmented_radix_sort_config_selectorIblEEZNS1_25segmented_radix_sort_implIS3_Lb1EPKbPbPKlPlN2at6native12_GLOBAL__N_18offset_tEEE10hipError_tPvRmT1_PNSt15iterator_traitsISK_E10value_typeET2_T3_PNSL_ISQ_E10value_typeET4_jRbjT5_SW_jjP12ihipStream_tbEUlT_E2_NS1_11comp_targetILNS1_3genE2ELNS1_11target_archE906ELNS1_3gpuE6ELNS1_3repE0EEENS1_30default_config_static_selectorELNS0_4arch9wavefront6targetE0EEEvSK_.has_dyn_sized_stack, 0
	.set _ZN7rocprim17ROCPRIM_400000_NS6detail17trampoline_kernelINS0_14default_configENS1_36segmented_radix_sort_config_selectorIblEEZNS1_25segmented_radix_sort_implIS3_Lb1EPKbPbPKlPlN2at6native12_GLOBAL__N_18offset_tEEE10hipError_tPvRmT1_PNSt15iterator_traitsISK_E10value_typeET2_T3_PNSL_ISQ_E10value_typeET4_jRbjT5_SW_jjP12ihipStream_tbEUlT_E2_NS1_11comp_targetILNS1_3genE2ELNS1_11target_archE906ELNS1_3gpuE6ELNS1_3repE0EEENS1_30default_config_static_selectorELNS0_4arch9wavefront6targetE0EEEvSK_.has_recursion, 0
	.set _ZN7rocprim17ROCPRIM_400000_NS6detail17trampoline_kernelINS0_14default_configENS1_36segmented_radix_sort_config_selectorIblEEZNS1_25segmented_radix_sort_implIS3_Lb1EPKbPbPKlPlN2at6native12_GLOBAL__N_18offset_tEEE10hipError_tPvRmT1_PNSt15iterator_traitsISK_E10value_typeET2_T3_PNSL_ISQ_E10value_typeET4_jRbjT5_SW_jjP12ihipStream_tbEUlT_E2_NS1_11comp_targetILNS1_3genE2ELNS1_11target_archE906ELNS1_3gpuE6ELNS1_3repE0EEENS1_30default_config_static_selectorELNS0_4arch9wavefront6targetE0EEEvSK_.has_indirect_call, 0
	.section	.AMDGPU.csdata,"",@progbits
; Kernel info:
; codeLenInByte = 0
; TotalNumSgprs: 0
; NumVgprs: 0
; ScratchSize: 0
; MemoryBound: 0
; FloatMode: 240
; IeeeMode: 1
; LDSByteSize: 0 bytes/workgroup (compile time only)
; SGPRBlocks: 0
; VGPRBlocks: 0
; NumSGPRsForWavesPerEU: 1
; NumVGPRsForWavesPerEU: 1
; NamedBarCnt: 0
; Occupancy: 16
; WaveLimiterHint : 0
; COMPUTE_PGM_RSRC2:SCRATCH_EN: 0
; COMPUTE_PGM_RSRC2:USER_SGPR: 2
; COMPUTE_PGM_RSRC2:TRAP_HANDLER: 0
; COMPUTE_PGM_RSRC2:TGID_X_EN: 1
; COMPUTE_PGM_RSRC2:TGID_Y_EN: 0
; COMPUTE_PGM_RSRC2:TGID_Z_EN: 0
; COMPUTE_PGM_RSRC2:TIDIG_COMP_CNT: 0
	.section	.text._ZN7rocprim17ROCPRIM_400000_NS6detail17trampoline_kernelINS0_14default_configENS1_36segmented_radix_sort_config_selectorIblEEZNS1_25segmented_radix_sort_implIS3_Lb1EPKbPbPKlPlN2at6native12_GLOBAL__N_18offset_tEEE10hipError_tPvRmT1_PNSt15iterator_traitsISK_E10value_typeET2_T3_PNSL_ISQ_E10value_typeET4_jRbjT5_SW_jjP12ihipStream_tbEUlT_E2_NS1_11comp_targetILNS1_3genE10ELNS1_11target_archE1201ELNS1_3gpuE5ELNS1_3repE0EEENS1_30default_config_static_selectorELNS0_4arch9wavefront6targetE0EEEvSK_,"axG",@progbits,_ZN7rocprim17ROCPRIM_400000_NS6detail17trampoline_kernelINS0_14default_configENS1_36segmented_radix_sort_config_selectorIblEEZNS1_25segmented_radix_sort_implIS3_Lb1EPKbPbPKlPlN2at6native12_GLOBAL__N_18offset_tEEE10hipError_tPvRmT1_PNSt15iterator_traitsISK_E10value_typeET2_T3_PNSL_ISQ_E10value_typeET4_jRbjT5_SW_jjP12ihipStream_tbEUlT_E2_NS1_11comp_targetILNS1_3genE10ELNS1_11target_archE1201ELNS1_3gpuE5ELNS1_3repE0EEENS1_30default_config_static_selectorELNS0_4arch9wavefront6targetE0EEEvSK_,comdat
	.globl	_ZN7rocprim17ROCPRIM_400000_NS6detail17trampoline_kernelINS0_14default_configENS1_36segmented_radix_sort_config_selectorIblEEZNS1_25segmented_radix_sort_implIS3_Lb1EPKbPbPKlPlN2at6native12_GLOBAL__N_18offset_tEEE10hipError_tPvRmT1_PNSt15iterator_traitsISK_E10value_typeET2_T3_PNSL_ISQ_E10value_typeET4_jRbjT5_SW_jjP12ihipStream_tbEUlT_E2_NS1_11comp_targetILNS1_3genE10ELNS1_11target_archE1201ELNS1_3gpuE5ELNS1_3repE0EEENS1_30default_config_static_selectorELNS0_4arch9wavefront6targetE0EEEvSK_ ; -- Begin function _ZN7rocprim17ROCPRIM_400000_NS6detail17trampoline_kernelINS0_14default_configENS1_36segmented_radix_sort_config_selectorIblEEZNS1_25segmented_radix_sort_implIS3_Lb1EPKbPbPKlPlN2at6native12_GLOBAL__N_18offset_tEEE10hipError_tPvRmT1_PNSt15iterator_traitsISK_E10value_typeET2_T3_PNSL_ISQ_E10value_typeET4_jRbjT5_SW_jjP12ihipStream_tbEUlT_E2_NS1_11comp_targetILNS1_3genE10ELNS1_11target_archE1201ELNS1_3gpuE5ELNS1_3repE0EEENS1_30default_config_static_selectorELNS0_4arch9wavefront6targetE0EEEvSK_
	.p2align	8
	.type	_ZN7rocprim17ROCPRIM_400000_NS6detail17trampoline_kernelINS0_14default_configENS1_36segmented_radix_sort_config_selectorIblEEZNS1_25segmented_radix_sort_implIS3_Lb1EPKbPbPKlPlN2at6native12_GLOBAL__N_18offset_tEEE10hipError_tPvRmT1_PNSt15iterator_traitsISK_E10value_typeET2_T3_PNSL_ISQ_E10value_typeET4_jRbjT5_SW_jjP12ihipStream_tbEUlT_E2_NS1_11comp_targetILNS1_3genE10ELNS1_11target_archE1201ELNS1_3gpuE5ELNS1_3repE0EEENS1_30default_config_static_selectorELNS0_4arch9wavefront6targetE0EEEvSK_,@function
_ZN7rocprim17ROCPRIM_400000_NS6detail17trampoline_kernelINS0_14default_configENS1_36segmented_radix_sort_config_selectorIblEEZNS1_25segmented_radix_sort_implIS3_Lb1EPKbPbPKlPlN2at6native12_GLOBAL__N_18offset_tEEE10hipError_tPvRmT1_PNSt15iterator_traitsISK_E10value_typeET2_T3_PNSL_ISQ_E10value_typeET4_jRbjT5_SW_jjP12ihipStream_tbEUlT_E2_NS1_11comp_targetILNS1_3genE10ELNS1_11target_archE1201ELNS1_3gpuE5ELNS1_3repE0EEENS1_30default_config_static_selectorELNS0_4arch9wavefront6targetE0EEEvSK_: ; @_ZN7rocprim17ROCPRIM_400000_NS6detail17trampoline_kernelINS0_14default_configENS1_36segmented_radix_sort_config_selectorIblEEZNS1_25segmented_radix_sort_implIS3_Lb1EPKbPbPKlPlN2at6native12_GLOBAL__N_18offset_tEEE10hipError_tPvRmT1_PNSt15iterator_traitsISK_E10value_typeET2_T3_PNSL_ISQ_E10value_typeET4_jRbjT5_SW_jjP12ihipStream_tbEUlT_E2_NS1_11comp_targetILNS1_3genE10ELNS1_11target_archE1201ELNS1_3gpuE5ELNS1_3repE0EEENS1_30default_config_static_selectorELNS0_4arch9wavefront6targetE0EEEvSK_
; %bb.0:
	.section	.rodata,"a",@progbits
	.p2align	6, 0x0
	.amdhsa_kernel _ZN7rocprim17ROCPRIM_400000_NS6detail17trampoline_kernelINS0_14default_configENS1_36segmented_radix_sort_config_selectorIblEEZNS1_25segmented_radix_sort_implIS3_Lb1EPKbPbPKlPlN2at6native12_GLOBAL__N_18offset_tEEE10hipError_tPvRmT1_PNSt15iterator_traitsISK_E10value_typeET2_T3_PNSL_ISQ_E10value_typeET4_jRbjT5_SW_jjP12ihipStream_tbEUlT_E2_NS1_11comp_targetILNS1_3genE10ELNS1_11target_archE1201ELNS1_3gpuE5ELNS1_3repE0EEENS1_30default_config_static_selectorELNS0_4arch9wavefront6targetE0EEEvSK_
		.amdhsa_group_segment_fixed_size 0
		.amdhsa_private_segment_fixed_size 0
		.amdhsa_kernarg_size 80
		.amdhsa_user_sgpr_count 2
		.amdhsa_user_sgpr_dispatch_ptr 0
		.amdhsa_user_sgpr_queue_ptr 0
		.amdhsa_user_sgpr_kernarg_segment_ptr 1
		.amdhsa_user_sgpr_dispatch_id 0
		.amdhsa_user_sgpr_kernarg_preload_length 0
		.amdhsa_user_sgpr_kernarg_preload_offset 0
		.amdhsa_user_sgpr_private_segment_size 0
		.amdhsa_wavefront_size32 1
		.amdhsa_uses_dynamic_stack 0
		.amdhsa_enable_private_segment 0
		.amdhsa_system_sgpr_workgroup_id_x 1
		.amdhsa_system_sgpr_workgroup_id_y 0
		.amdhsa_system_sgpr_workgroup_id_z 0
		.amdhsa_system_sgpr_workgroup_info 0
		.amdhsa_system_vgpr_workitem_id 0
		.amdhsa_next_free_vgpr 1
		.amdhsa_next_free_sgpr 1
		.amdhsa_named_barrier_count 0
		.amdhsa_reserve_vcc 0
		.amdhsa_float_round_mode_32 0
		.amdhsa_float_round_mode_16_64 0
		.amdhsa_float_denorm_mode_32 3
		.amdhsa_float_denorm_mode_16_64 3
		.amdhsa_fp16_overflow 0
		.amdhsa_memory_ordered 1
		.amdhsa_forward_progress 1
		.amdhsa_inst_pref_size 0
		.amdhsa_round_robin_scheduling 0
		.amdhsa_exception_fp_ieee_invalid_op 0
		.amdhsa_exception_fp_denorm_src 0
		.amdhsa_exception_fp_ieee_div_zero 0
		.amdhsa_exception_fp_ieee_overflow 0
		.amdhsa_exception_fp_ieee_underflow 0
		.amdhsa_exception_fp_ieee_inexact 0
		.amdhsa_exception_int_div_zero 0
	.end_amdhsa_kernel
	.section	.text._ZN7rocprim17ROCPRIM_400000_NS6detail17trampoline_kernelINS0_14default_configENS1_36segmented_radix_sort_config_selectorIblEEZNS1_25segmented_radix_sort_implIS3_Lb1EPKbPbPKlPlN2at6native12_GLOBAL__N_18offset_tEEE10hipError_tPvRmT1_PNSt15iterator_traitsISK_E10value_typeET2_T3_PNSL_ISQ_E10value_typeET4_jRbjT5_SW_jjP12ihipStream_tbEUlT_E2_NS1_11comp_targetILNS1_3genE10ELNS1_11target_archE1201ELNS1_3gpuE5ELNS1_3repE0EEENS1_30default_config_static_selectorELNS0_4arch9wavefront6targetE0EEEvSK_,"axG",@progbits,_ZN7rocprim17ROCPRIM_400000_NS6detail17trampoline_kernelINS0_14default_configENS1_36segmented_radix_sort_config_selectorIblEEZNS1_25segmented_radix_sort_implIS3_Lb1EPKbPbPKlPlN2at6native12_GLOBAL__N_18offset_tEEE10hipError_tPvRmT1_PNSt15iterator_traitsISK_E10value_typeET2_T3_PNSL_ISQ_E10value_typeET4_jRbjT5_SW_jjP12ihipStream_tbEUlT_E2_NS1_11comp_targetILNS1_3genE10ELNS1_11target_archE1201ELNS1_3gpuE5ELNS1_3repE0EEENS1_30default_config_static_selectorELNS0_4arch9wavefront6targetE0EEEvSK_,comdat
.Lfunc_end1558:
	.size	_ZN7rocprim17ROCPRIM_400000_NS6detail17trampoline_kernelINS0_14default_configENS1_36segmented_radix_sort_config_selectorIblEEZNS1_25segmented_radix_sort_implIS3_Lb1EPKbPbPKlPlN2at6native12_GLOBAL__N_18offset_tEEE10hipError_tPvRmT1_PNSt15iterator_traitsISK_E10value_typeET2_T3_PNSL_ISQ_E10value_typeET4_jRbjT5_SW_jjP12ihipStream_tbEUlT_E2_NS1_11comp_targetILNS1_3genE10ELNS1_11target_archE1201ELNS1_3gpuE5ELNS1_3repE0EEENS1_30default_config_static_selectorELNS0_4arch9wavefront6targetE0EEEvSK_, .Lfunc_end1558-_ZN7rocprim17ROCPRIM_400000_NS6detail17trampoline_kernelINS0_14default_configENS1_36segmented_radix_sort_config_selectorIblEEZNS1_25segmented_radix_sort_implIS3_Lb1EPKbPbPKlPlN2at6native12_GLOBAL__N_18offset_tEEE10hipError_tPvRmT1_PNSt15iterator_traitsISK_E10value_typeET2_T3_PNSL_ISQ_E10value_typeET4_jRbjT5_SW_jjP12ihipStream_tbEUlT_E2_NS1_11comp_targetILNS1_3genE10ELNS1_11target_archE1201ELNS1_3gpuE5ELNS1_3repE0EEENS1_30default_config_static_selectorELNS0_4arch9wavefront6targetE0EEEvSK_
                                        ; -- End function
	.set _ZN7rocprim17ROCPRIM_400000_NS6detail17trampoline_kernelINS0_14default_configENS1_36segmented_radix_sort_config_selectorIblEEZNS1_25segmented_radix_sort_implIS3_Lb1EPKbPbPKlPlN2at6native12_GLOBAL__N_18offset_tEEE10hipError_tPvRmT1_PNSt15iterator_traitsISK_E10value_typeET2_T3_PNSL_ISQ_E10value_typeET4_jRbjT5_SW_jjP12ihipStream_tbEUlT_E2_NS1_11comp_targetILNS1_3genE10ELNS1_11target_archE1201ELNS1_3gpuE5ELNS1_3repE0EEENS1_30default_config_static_selectorELNS0_4arch9wavefront6targetE0EEEvSK_.num_vgpr, 0
	.set _ZN7rocprim17ROCPRIM_400000_NS6detail17trampoline_kernelINS0_14default_configENS1_36segmented_radix_sort_config_selectorIblEEZNS1_25segmented_radix_sort_implIS3_Lb1EPKbPbPKlPlN2at6native12_GLOBAL__N_18offset_tEEE10hipError_tPvRmT1_PNSt15iterator_traitsISK_E10value_typeET2_T3_PNSL_ISQ_E10value_typeET4_jRbjT5_SW_jjP12ihipStream_tbEUlT_E2_NS1_11comp_targetILNS1_3genE10ELNS1_11target_archE1201ELNS1_3gpuE5ELNS1_3repE0EEENS1_30default_config_static_selectorELNS0_4arch9wavefront6targetE0EEEvSK_.num_agpr, 0
	.set _ZN7rocprim17ROCPRIM_400000_NS6detail17trampoline_kernelINS0_14default_configENS1_36segmented_radix_sort_config_selectorIblEEZNS1_25segmented_radix_sort_implIS3_Lb1EPKbPbPKlPlN2at6native12_GLOBAL__N_18offset_tEEE10hipError_tPvRmT1_PNSt15iterator_traitsISK_E10value_typeET2_T3_PNSL_ISQ_E10value_typeET4_jRbjT5_SW_jjP12ihipStream_tbEUlT_E2_NS1_11comp_targetILNS1_3genE10ELNS1_11target_archE1201ELNS1_3gpuE5ELNS1_3repE0EEENS1_30default_config_static_selectorELNS0_4arch9wavefront6targetE0EEEvSK_.numbered_sgpr, 0
	.set _ZN7rocprim17ROCPRIM_400000_NS6detail17trampoline_kernelINS0_14default_configENS1_36segmented_radix_sort_config_selectorIblEEZNS1_25segmented_radix_sort_implIS3_Lb1EPKbPbPKlPlN2at6native12_GLOBAL__N_18offset_tEEE10hipError_tPvRmT1_PNSt15iterator_traitsISK_E10value_typeET2_T3_PNSL_ISQ_E10value_typeET4_jRbjT5_SW_jjP12ihipStream_tbEUlT_E2_NS1_11comp_targetILNS1_3genE10ELNS1_11target_archE1201ELNS1_3gpuE5ELNS1_3repE0EEENS1_30default_config_static_selectorELNS0_4arch9wavefront6targetE0EEEvSK_.num_named_barrier, 0
	.set _ZN7rocprim17ROCPRIM_400000_NS6detail17trampoline_kernelINS0_14default_configENS1_36segmented_radix_sort_config_selectorIblEEZNS1_25segmented_radix_sort_implIS3_Lb1EPKbPbPKlPlN2at6native12_GLOBAL__N_18offset_tEEE10hipError_tPvRmT1_PNSt15iterator_traitsISK_E10value_typeET2_T3_PNSL_ISQ_E10value_typeET4_jRbjT5_SW_jjP12ihipStream_tbEUlT_E2_NS1_11comp_targetILNS1_3genE10ELNS1_11target_archE1201ELNS1_3gpuE5ELNS1_3repE0EEENS1_30default_config_static_selectorELNS0_4arch9wavefront6targetE0EEEvSK_.private_seg_size, 0
	.set _ZN7rocprim17ROCPRIM_400000_NS6detail17trampoline_kernelINS0_14default_configENS1_36segmented_radix_sort_config_selectorIblEEZNS1_25segmented_radix_sort_implIS3_Lb1EPKbPbPKlPlN2at6native12_GLOBAL__N_18offset_tEEE10hipError_tPvRmT1_PNSt15iterator_traitsISK_E10value_typeET2_T3_PNSL_ISQ_E10value_typeET4_jRbjT5_SW_jjP12ihipStream_tbEUlT_E2_NS1_11comp_targetILNS1_3genE10ELNS1_11target_archE1201ELNS1_3gpuE5ELNS1_3repE0EEENS1_30default_config_static_selectorELNS0_4arch9wavefront6targetE0EEEvSK_.uses_vcc, 0
	.set _ZN7rocprim17ROCPRIM_400000_NS6detail17trampoline_kernelINS0_14default_configENS1_36segmented_radix_sort_config_selectorIblEEZNS1_25segmented_radix_sort_implIS3_Lb1EPKbPbPKlPlN2at6native12_GLOBAL__N_18offset_tEEE10hipError_tPvRmT1_PNSt15iterator_traitsISK_E10value_typeET2_T3_PNSL_ISQ_E10value_typeET4_jRbjT5_SW_jjP12ihipStream_tbEUlT_E2_NS1_11comp_targetILNS1_3genE10ELNS1_11target_archE1201ELNS1_3gpuE5ELNS1_3repE0EEENS1_30default_config_static_selectorELNS0_4arch9wavefront6targetE0EEEvSK_.uses_flat_scratch, 0
	.set _ZN7rocprim17ROCPRIM_400000_NS6detail17trampoline_kernelINS0_14default_configENS1_36segmented_radix_sort_config_selectorIblEEZNS1_25segmented_radix_sort_implIS3_Lb1EPKbPbPKlPlN2at6native12_GLOBAL__N_18offset_tEEE10hipError_tPvRmT1_PNSt15iterator_traitsISK_E10value_typeET2_T3_PNSL_ISQ_E10value_typeET4_jRbjT5_SW_jjP12ihipStream_tbEUlT_E2_NS1_11comp_targetILNS1_3genE10ELNS1_11target_archE1201ELNS1_3gpuE5ELNS1_3repE0EEENS1_30default_config_static_selectorELNS0_4arch9wavefront6targetE0EEEvSK_.has_dyn_sized_stack, 0
	.set _ZN7rocprim17ROCPRIM_400000_NS6detail17trampoline_kernelINS0_14default_configENS1_36segmented_radix_sort_config_selectorIblEEZNS1_25segmented_radix_sort_implIS3_Lb1EPKbPbPKlPlN2at6native12_GLOBAL__N_18offset_tEEE10hipError_tPvRmT1_PNSt15iterator_traitsISK_E10value_typeET2_T3_PNSL_ISQ_E10value_typeET4_jRbjT5_SW_jjP12ihipStream_tbEUlT_E2_NS1_11comp_targetILNS1_3genE10ELNS1_11target_archE1201ELNS1_3gpuE5ELNS1_3repE0EEENS1_30default_config_static_selectorELNS0_4arch9wavefront6targetE0EEEvSK_.has_recursion, 0
	.set _ZN7rocprim17ROCPRIM_400000_NS6detail17trampoline_kernelINS0_14default_configENS1_36segmented_radix_sort_config_selectorIblEEZNS1_25segmented_radix_sort_implIS3_Lb1EPKbPbPKlPlN2at6native12_GLOBAL__N_18offset_tEEE10hipError_tPvRmT1_PNSt15iterator_traitsISK_E10value_typeET2_T3_PNSL_ISQ_E10value_typeET4_jRbjT5_SW_jjP12ihipStream_tbEUlT_E2_NS1_11comp_targetILNS1_3genE10ELNS1_11target_archE1201ELNS1_3gpuE5ELNS1_3repE0EEENS1_30default_config_static_selectorELNS0_4arch9wavefront6targetE0EEEvSK_.has_indirect_call, 0
	.section	.AMDGPU.csdata,"",@progbits
; Kernel info:
; codeLenInByte = 0
; TotalNumSgprs: 0
; NumVgprs: 0
; ScratchSize: 0
; MemoryBound: 0
; FloatMode: 240
; IeeeMode: 1
; LDSByteSize: 0 bytes/workgroup (compile time only)
; SGPRBlocks: 0
; VGPRBlocks: 0
; NumSGPRsForWavesPerEU: 1
; NumVGPRsForWavesPerEU: 1
; NamedBarCnt: 0
; Occupancy: 16
; WaveLimiterHint : 0
; COMPUTE_PGM_RSRC2:SCRATCH_EN: 0
; COMPUTE_PGM_RSRC2:USER_SGPR: 2
; COMPUTE_PGM_RSRC2:TRAP_HANDLER: 0
; COMPUTE_PGM_RSRC2:TGID_X_EN: 1
; COMPUTE_PGM_RSRC2:TGID_Y_EN: 0
; COMPUTE_PGM_RSRC2:TGID_Z_EN: 0
; COMPUTE_PGM_RSRC2:TIDIG_COMP_CNT: 0
	.section	.text._ZN7rocprim17ROCPRIM_400000_NS6detail17trampoline_kernelINS0_14default_configENS1_36segmented_radix_sort_config_selectorIblEEZNS1_25segmented_radix_sort_implIS3_Lb1EPKbPbPKlPlN2at6native12_GLOBAL__N_18offset_tEEE10hipError_tPvRmT1_PNSt15iterator_traitsISK_E10value_typeET2_T3_PNSL_ISQ_E10value_typeET4_jRbjT5_SW_jjP12ihipStream_tbEUlT_E2_NS1_11comp_targetILNS1_3genE10ELNS1_11target_archE1200ELNS1_3gpuE4ELNS1_3repE0EEENS1_30default_config_static_selectorELNS0_4arch9wavefront6targetE0EEEvSK_,"axG",@progbits,_ZN7rocprim17ROCPRIM_400000_NS6detail17trampoline_kernelINS0_14default_configENS1_36segmented_radix_sort_config_selectorIblEEZNS1_25segmented_radix_sort_implIS3_Lb1EPKbPbPKlPlN2at6native12_GLOBAL__N_18offset_tEEE10hipError_tPvRmT1_PNSt15iterator_traitsISK_E10value_typeET2_T3_PNSL_ISQ_E10value_typeET4_jRbjT5_SW_jjP12ihipStream_tbEUlT_E2_NS1_11comp_targetILNS1_3genE10ELNS1_11target_archE1200ELNS1_3gpuE4ELNS1_3repE0EEENS1_30default_config_static_selectorELNS0_4arch9wavefront6targetE0EEEvSK_,comdat
	.globl	_ZN7rocprim17ROCPRIM_400000_NS6detail17trampoline_kernelINS0_14default_configENS1_36segmented_radix_sort_config_selectorIblEEZNS1_25segmented_radix_sort_implIS3_Lb1EPKbPbPKlPlN2at6native12_GLOBAL__N_18offset_tEEE10hipError_tPvRmT1_PNSt15iterator_traitsISK_E10value_typeET2_T3_PNSL_ISQ_E10value_typeET4_jRbjT5_SW_jjP12ihipStream_tbEUlT_E2_NS1_11comp_targetILNS1_3genE10ELNS1_11target_archE1200ELNS1_3gpuE4ELNS1_3repE0EEENS1_30default_config_static_selectorELNS0_4arch9wavefront6targetE0EEEvSK_ ; -- Begin function _ZN7rocprim17ROCPRIM_400000_NS6detail17trampoline_kernelINS0_14default_configENS1_36segmented_radix_sort_config_selectorIblEEZNS1_25segmented_radix_sort_implIS3_Lb1EPKbPbPKlPlN2at6native12_GLOBAL__N_18offset_tEEE10hipError_tPvRmT1_PNSt15iterator_traitsISK_E10value_typeET2_T3_PNSL_ISQ_E10value_typeET4_jRbjT5_SW_jjP12ihipStream_tbEUlT_E2_NS1_11comp_targetILNS1_3genE10ELNS1_11target_archE1200ELNS1_3gpuE4ELNS1_3repE0EEENS1_30default_config_static_selectorELNS0_4arch9wavefront6targetE0EEEvSK_
	.p2align	8
	.type	_ZN7rocprim17ROCPRIM_400000_NS6detail17trampoline_kernelINS0_14default_configENS1_36segmented_radix_sort_config_selectorIblEEZNS1_25segmented_radix_sort_implIS3_Lb1EPKbPbPKlPlN2at6native12_GLOBAL__N_18offset_tEEE10hipError_tPvRmT1_PNSt15iterator_traitsISK_E10value_typeET2_T3_PNSL_ISQ_E10value_typeET4_jRbjT5_SW_jjP12ihipStream_tbEUlT_E2_NS1_11comp_targetILNS1_3genE10ELNS1_11target_archE1200ELNS1_3gpuE4ELNS1_3repE0EEENS1_30default_config_static_selectorELNS0_4arch9wavefront6targetE0EEEvSK_,@function
_ZN7rocprim17ROCPRIM_400000_NS6detail17trampoline_kernelINS0_14default_configENS1_36segmented_radix_sort_config_selectorIblEEZNS1_25segmented_radix_sort_implIS3_Lb1EPKbPbPKlPlN2at6native12_GLOBAL__N_18offset_tEEE10hipError_tPvRmT1_PNSt15iterator_traitsISK_E10value_typeET2_T3_PNSL_ISQ_E10value_typeET4_jRbjT5_SW_jjP12ihipStream_tbEUlT_E2_NS1_11comp_targetILNS1_3genE10ELNS1_11target_archE1200ELNS1_3gpuE4ELNS1_3repE0EEENS1_30default_config_static_selectorELNS0_4arch9wavefront6targetE0EEEvSK_: ; @_ZN7rocprim17ROCPRIM_400000_NS6detail17trampoline_kernelINS0_14default_configENS1_36segmented_radix_sort_config_selectorIblEEZNS1_25segmented_radix_sort_implIS3_Lb1EPKbPbPKlPlN2at6native12_GLOBAL__N_18offset_tEEE10hipError_tPvRmT1_PNSt15iterator_traitsISK_E10value_typeET2_T3_PNSL_ISQ_E10value_typeET4_jRbjT5_SW_jjP12ihipStream_tbEUlT_E2_NS1_11comp_targetILNS1_3genE10ELNS1_11target_archE1200ELNS1_3gpuE4ELNS1_3repE0EEENS1_30default_config_static_selectorELNS0_4arch9wavefront6targetE0EEEvSK_
; %bb.0:
	.section	.rodata,"a",@progbits
	.p2align	6, 0x0
	.amdhsa_kernel _ZN7rocprim17ROCPRIM_400000_NS6detail17trampoline_kernelINS0_14default_configENS1_36segmented_radix_sort_config_selectorIblEEZNS1_25segmented_radix_sort_implIS3_Lb1EPKbPbPKlPlN2at6native12_GLOBAL__N_18offset_tEEE10hipError_tPvRmT1_PNSt15iterator_traitsISK_E10value_typeET2_T3_PNSL_ISQ_E10value_typeET4_jRbjT5_SW_jjP12ihipStream_tbEUlT_E2_NS1_11comp_targetILNS1_3genE10ELNS1_11target_archE1200ELNS1_3gpuE4ELNS1_3repE0EEENS1_30default_config_static_selectorELNS0_4arch9wavefront6targetE0EEEvSK_
		.amdhsa_group_segment_fixed_size 0
		.amdhsa_private_segment_fixed_size 0
		.amdhsa_kernarg_size 80
		.amdhsa_user_sgpr_count 2
		.amdhsa_user_sgpr_dispatch_ptr 0
		.amdhsa_user_sgpr_queue_ptr 0
		.amdhsa_user_sgpr_kernarg_segment_ptr 1
		.amdhsa_user_sgpr_dispatch_id 0
		.amdhsa_user_sgpr_kernarg_preload_length 0
		.amdhsa_user_sgpr_kernarg_preload_offset 0
		.amdhsa_user_sgpr_private_segment_size 0
		.amdhsa_wavefront_size32 1
		.amdhsa_uses_dynamic_stack 0
		.amdhsa_enable_private_segment 0
		.amdhsa_system_sgpr_workgroup_id_x 1
		.amdhsa_system_sgpr_workgroup_id_y 0
		.amdhsa_system_sgpr_workgroup_id_z 0
		.amdhsa_system_sgpr_workgroup_info 0
		.amdhsa_system_vgpr_workitem_id 0
		.amdhsa_next_free_vgpr 1
		.amdhsa_next_free_sgpr 1
		.amdhsa_named_barrier_count 0
		.amdhsa_reserve_vcc 0
		.amdhsa_float_round_mode_32 0
		.amdhsa_float_round_mode_16_64 0
		.amdhsa_float_denorm_mode_32 3
		.amdhsa_float_denorm_mode_16_64 3
		.amdhsa_fp16_overflow 0
		.amdhsa_memory_ordered 1
		.amdhsa_forward_progress 1
		.amdhsa_inst_pref_size 0
		.amdhsa_round_robin_scheduling 0
		.amdhsa_exception_fp_ieee_invalid_op 0
		.amdhsa_exception_fp_denorm_src 0
		.amdhsa_exception_fp_ieee_div_zero 0
		.amdhsa_exception_fp_ieee_overflow 0
		.amdhsa_exception_fp_ieee_underflow 0
		.amdhsa_exception_fp_ieee_inexact 0
		.amdhsa_exception_int_div_zero 0
	.end_amdhsa_kernel
	.section	.text._ZN7rocprim17ROCPRIM_400000_NS6detail17trampoline_kernelINS0_14default_configENS1_36segmented_radix_sort_config_selectorIblEEZNS1_25segmented_radix_sort_implIS3_Lb1EPKbPbPKlPlN2at6native12_GLOBAL__N_18offset_tEEE10hipError_tPvRmT1_PNSt15iterator_traitsISK_E10value_typeET2_T3_PNSL_ISQ_E10value_typeET4_jRbjT5_SW_jjP12ihipStream_tbEUlT_E2_NS1_11comp_targetILNS1_3genE10ELNS1_11target_archE1200ELNS1_3gpuE4ELNS1_3repE0EEENS1_30default_config_static_selectorELNS0_4arch9wavefront6targetE0EEEvSK_,"axG",@progbits,_ZN7rocprim17ROCPRIM_400000_NS6detail17trampoline_kernelINS0_14default_configENS1_36segmented_radix_sort_config_selectorIblEEZNS1_25segmented_radix_sort_implIS3_Lb1EPKbPbPKlPlN2at6native12_GLOBAL__N_18offset_tEEE10hipError_tPvRmT1_PNSt15iterator_traitsISK_E10value_typeET2_T3_PNSL_ISQ_E10value_typeET4_jRbjT5_SW_jjP12ihipStream_tbEUlT_E2_NS1_11comp_targetILNS1_3genE10ELNS1_11target_archE1200ELNS1_3gpuE4ELNS1_3repE0EEENS1_30default_config_static_selectorELNS0_4arch9wavefront6targetE0EEEvSK_,comdat
.Lfunc_end1559:
	.size	_ZN7rocprim17ROCPRIM_400000_NS6detail17trampoline_kernelINS0_14default_configENS1_36segmented_radix_sort_config_selectorIblEEZNS1_25segmented_radix_sort_implIS3_Lb1EPKbPbPKlPlN2at6native12_GLOBAL__N_18offset_tEEE10hipError_tPvRmT1_PNSt15iterator_traitsISK_E10value_typeET2_T3_PNSL_ISQ_E10value_typeET4_jRbjT5_SW_jjP12ihipStream_tbEUlT_E2_NS1_11comp_targetILNS1_3genE10ELNS1_11target_archE1200ELNS1_3gpuE4ELNS1_3repE0EEENS1_30default_config_static_selectorELNS0_4arch9wavefront6targetE0EEEvSK_, .Lfunc_end1559-_ZN7rocprim17ROCPRIM_400000_NS6detail17trampoline_kernelINS0_14default_configENS1_36segmented_radix_sort_config_selectorIblEEZNS1_25segmented_radix_sort_implIS3_Lb1EPKbPbPKlPlN2at6native12_GLOBAL__N_18offset_tEEE10hipError_tPvRmT1_PNSt15iterator_traitsISK_E10value_typeET2_T3_PNSL_ISQ_E10value_typeET4_jRbjT5_SW_jjP12ihipStream_tbEUlT_E2_NS1_11comp_targetILNS1_3genE10ELNS1_11target_archE1200ELNS1_3gpuE4ELNS1_3repE0EEENS1_30default_config_static_selectorELNS0_4arch9wavefront6targetE0EEEvSK_
                                        ; -- End function
	.set _ZN7rocprim17ROCPRIM_400000_NS6detail17trampoline_kernelINS0_14default_configENS1_36segmented_radix_sort_config_selectorIblEEZNS1_25segmented_radix_sort_implIS3_Lb1EPKbPbPKlPlN2at6native12_GLOBAL__N_18offset_tEEE10hipError_tPvRmT1_PNSt15iterator_traitsISK_E10value_typeET2_T3_PNSL_ISQ_E10value_typeET4_jRbjT5_SW_jjP12ihipStream_tbEUlT_E2_NS1_11comp_targetILNS1_3genE10ELNS1_11target_archE1200ELNS1_3gpuE4ELNS1_3repE0EEENS1_30default_config_static_selectorELNS0_4arch9wavefront6targetE0EEEvSK_.num_vgpr, 0
	.set _ZN7rocprim17ROCPRIM_400000_NS6detail17trampoline_kernelINS0_14default_configENS1_36segmented_radix_sort_config_selectorIblEEZNS1_25segmented_radix_sort_implIS3_Lb1EPKbPbPKlPlN2at6native12_GLOBAL__N_18offset_tEEE10hipError_tPvRmT1_PNSt15iterator_traitsISK_E10value_typeET2_T3_PNSL_ISQ_E10value_typeET4_jRbjT5_SW_jjP12ihipStream_tbEUlT_E2_NS1_11comp_targetILNS1_3genE10ELNS1_11target_archE1200ELNS1_3gpuE4ELNS1_3repE0EEENS1_30default_config_static_selectorELNS0_4arch9wavefront6targetE0EEEvSK_.num_agpr, 0
	.set _ZN7rocprim17ROCPRIM_400000_NS6detail17trampoline_kernelINS0_14default_configENS1_36segmented_radix_sort_config_selectorIblEEZNS1_25segmented_radix_sort_implIS3_Lb1EPKbPbPKlPlN2at6native12_GLOBAL__N_18offset_tEEE10hipError_tPvRmT1_PNSt15iterator_traitsISK_E10value_typeET2_T3_PNSL_ISQ_E10value_typeET4_jRbjT5_SW_jjP12ihipStream_tbEUlT_E2_NS1_11comp_targetILNS1_3genE10ELNS1_11target_archE1200ELNS1_3gpuE4ELNS1_3repE0EEENS1_30default_config_static_selectorELNS0_4arch9wavefront6targetE0EEEvSK_.numbered_sgpr, 0
	.set _ZN7rocprim17ROCPRIM_400000_NS6detail17trampoline_kernelINS0_14default_configENS1_36segmented_radix_sort_config_selectorIblEEZNS1_25segmented_radix_sort_implIS3_Lb1EPKbPbPKlPlN2at6native12_GLOBAL__N_18offset_tEEE10hipError_tPvRmT1_PNSt15iterator_traitsISK_E10value_typeET2_T3_PNSL_ISQ_E10value_typeET4_jRbjT5_SW_jjP12ihipStream_tbEUlT_E2_NS1_11comp_targetILNS1_3genE10ELNS1_11target_archE1200ELNS1_3gpuE4ELNS1_3repE0EEENS1_30default_config_static_selectorELNS0_4arch9wavefront6targetE0EEEvSK_.num_named_barrier, 0
	.set _ZN7rocprim17ROCPRIM_400000_NS6detail17trampoline_kernelINS0_14default_configENS1_36segmented_radix_sort_config_selectorIblEEZNS1_25segmented_radix_sort_implIS3_Lb1EPKbPbPKlPlN2at6native12_GLOBAL__N_18offset_tEEE10hipError_tPvRmT1_PNSt15iterator_traitsISK_E10value_typeET2_T3_PNSL_ISQ_E10value_typeET4_jRbjT5_SW_jjP12ihipStream_tbEUlT_E2_NS1_11comp_targetILNS1_3genE10ELNS1_11target_archE1200ELNS1_3gpuE4ELNS1_3repE0EEENS1_30default_config_static_selectorELNS0_4arch9wavefront6targetE0EEEvSK_.private_seg_size, 0
	.set _ZN7rocprim17ROCPRIM_400000_NS6detail17trampoline_kernelINS0_14default_configENS1_36segmented_radix_sort_config_selectorIblEEZNS1_25segmented_radix_sort_implIS3_Lb1EPKbPbPKlPlN2at6native12_GLOBAL__N_18offset_tEEE10hipError_tPvRmT1_PNSt15iterator_traitsISK_E10value_typeET2_T3_PNSL_ISQ_E10value_typeET4_jRbjT5_SW_jjP12ihipStream_tbEUlT_E2_NS1_11comp_targetILNS1_3genE10ELNS1_11target_archE1200ELNS1_3gpuE4ELNS1_3repE0EEENS1_30default_config_static_selectorELNS0_4arch9wavefront6targetE0EEEvSK_.uses_vcc, 0
	.set _ZN7rocprim17ROCPRIM_400000_NS6detail17trampoline_kernelINS0_14default_configENS1_36segmented_radix_sort_config_selectorIblEEZNS1_25segmented_radix_sort_implIS3_Lb1EPKbPbPKlPlN2at6native12_GLOBAL__N_18offset_tEEE10hipError_tPvRmT1_PNSt15iterator_traitsISK_E10value_typeET2_T3_PNSL_ISQ_E10value_typeET4_jRbjT5_SW_jjP12ihipStream_tbEUlT_E2_NS1_11comp_targetILNS1_3genE10ELNS1_11target_archE1200ELNS1_3gpuE4ELNS1_3repE0EEENS1_30default_config_static_selectorELNS0_4arch9wavefront6targetE0EEEvSK_.uses_flat_scratch, 0
	.set _ZN7rocprim17ROCPRIM_400000_NS6detail17trampoline_kernelINS0_14default_configENS1_36segmented_radix_sort_config_selectorIblEEZNS1_25segmented_radix_sort_implIS3_Lb1EPKbPbPKlPlN2at6native12_GLOBAL__N_18offset_tEEE10hipError_tPvRmT1_PNSt15iterator_traitsISK_E10value_typeET2_T3_PNSL_ISQ_E10value_typeET4_jRbjT5_SW_jjP12ihipStream_tbEUlT_E2_NS1_11comp_targetILNS1_3genE10ELNS1_11target_archE1200ELNS1_3gpuE4ELNS1_3repE0EEENS1_30default_config_static_selectorELNS0_4arch9wavefront6targetE0EEEvSK_.has_dyn_sized_stack, 0
	.set _ZN7rocprim17ROCPRIM_400000_NS6detail17trampoline_kernelINS0_14default_configENS1_36segmented_radix_sort_config_selectorIblEEZNS1_25segmented_radix_sort_implIS3_Lb1EPKbPbPKlPlN2at6native12_GLOBAL__N_18offset_tEEE10hipError_tPvRmT1_PNSt15iterator_traitsISK_E10value_typeET2_T3_PNSL_ISQ_E10value_typeET4_jRbjT5_SW_jjP12ihipStream_tbEUlT_E2_NS1_11comp_targetILNS1_3genE10ELNS1_11target_archE1200ELNS1_3gpuE4ELNS1_3repE0EEENS1_30default_config_static_selectorELNS0_4arch9wavefront6targetE0EEEvSK_.has_recursion, 0
	.set _ZN7rocprim17ROCPRIM_400000_NS6detail17trampoline_kernelINS0_14default_configENS1_36segmented_radix_sort_config_selectorIblEEZNS1_25segmented_radix_sort_implIS3_Lb1EPKbPbPKlPlN2at6native12_GLOBAL__N_18offset_tEEE10hipError_tPvRmT1_PNSt15iterator_traitsISK_E10value_typeET2_T3_PNSL_ISQ_E10value_typeET4_jRbjT5_SW_jjP12ihipStream_tbEUlT_E2_NS1_11comp_targetILNS1_3genE10ELNS1_11target_archE1200ELNS1_3gpuE4ELNS1_3repE0EEENS1_30default_config_static_selectorELNS0_4arch9wavefront6targetE0EEEvSK_.has_indirect_call, 0
	.section	.AMDGPU.csdata,"",@progbits
; Kernel info:
; codeLenInByte = 0
; TotalNumSgprs: 0
; NumVgprs: 0
; ScratchSize: 0
; MemoryBound: 0
; FloatMode: 240
; IeeeMode: 1
; LDSByteSize: 0 bytes/workgroup (compile time only)
; SGPRBlocks: 0
; VGPRBlocks: 0
; NumSGPRsForWavesPerEU: 1
; NumVGPRsForWavesPerEU: 1
; NamedBarCnt: 0
; Occupancy: 16
; WaveLimiterHint : 0
; COMPUTE_PGM_RSRC2:SCRATCH_EN: 0
; COMPUTE_PGM_RSRC2:USER_SGPR: 2
; COMPUTE_PGM_RSRC2:TRAP_HANDLER: 0
; COMPUTE_PGM_RSRC2:TGID_X_EN: 1
; COMPUTE_PGM_RSRC2:TGID_Y_EN: 0
; COMPUTE_PGM_RSRC2:TGID_Z_EN: 0
; COMPUTE_PGM_RSRC2:TIDIG_COMP_CNT: 0
	.section	.text._ZN7rocprim17ROCPRIM_400000_NS6detail17trampoline_kernelINS0_14default_configENS1_36segmented_radix_sort_config_selectorIblEEZNS1_25segmented_radix_sort_implIS3_Lb1EPKbPbPKlPlN2at6native12_GLOBAL__N_18offset_tEEE10hipError_tPvRmT1_PNSt15iterator_traitsISK_E10value_typeET2_T3_PNSL_ISQ_E10value_typeET4_jRbjT5_SW_jjP12ihipStream_tbEUlT_E2_NS1_11comp_targetILNS1_3genE9ELNS1_11target_archE1100ELNS1_3gpuE3ELNS1_3repE0EEENS1_30default_config_static_selectorELNS0_4arch9wavefront6targetE0EEEvSK_,"axG",@progbits,_ZN7rocprim17ROCPRIM_400000_NS6detail17trampoline_kernelINS0_14default_configENS1_36segmented_radix_sort_config_selectorIblEEZNS1_25segmented_radix_sort_implIS3_Lb1EPKbPbPKlPlN2at6native12_GLOBAL__N_18offset_tEEE10hipError_tPvRmT1_PNSt15iterator_traitsISK_E10value_typeET2_T3_PNSL_ISQ_E10value_typeET4_jRbjT5_SW_jjP12ihipStream_tbEUlT_E2_NS1_11comp_targetILNS1_3genE9ELNS1_11target_archE1100ELNS1_3gpuE3ELNS1_3repE0EEENS1_30default_config_static_selectorELNS0_4arch9wavefront6targetE0EEEvSK_,comdat
	.globl	_ZN7rocprim17ROCPRIM_400000_NS6detail17trampoline_kernelINS0_14default_configENS1_36segmented_radix_sort_config_selectorIblEEZNS1_25segmented_radix_sort_implIS3_Lb1EPKbPbPKlPlN2at6native12_GLOBAL__N_18offset_tEEE10hipError_tPvRmT1_PNSt15iterator_traitsISK_E10value_typeET2_T3_PNSL_ISQ_E10value_typeET4_jRbjT5_SW_jjP12ihipStream_tbEUlT_E2_NS1_11comp_targetILNS1_3genE9ELNS1_11target_archE1100ELNS1_3gpuE3ELNS1_3repE0EEENS1_30default_config_static_selectorELNS0_4arch9wavefront6targetE0EEEvSK_ ; -- Begin function _ZN7rocprim17ROCPRIM_400000_NS6detail17trampoline_kernelINS0_14default_configENS1_36segmented_radix_sort_config_selectorIblEEZNS1_25segmented_radix_sort_implIS3_Lb1EPKbPbPKlPlN2at6native12_GLOBAL__N_18offset_tEEE10hipError_tPvRmT1_PNSt15iterator_traitsISK_E10value_typeET2_T3_PNSL_ISQ_E10value_typeET4_jRbjT5_SW_jjP12ihipStream_tbEUlT_E2_NS1_11comp_targetILNS1_3genE9ELNS1_11target_archE1100ELNS1_3gpuE3ELNS1_3repE0EEENS1_30default_config_static_selectorELNS0_4arch9wavefront6targetE0EEEvSK_
	.p2align	8
	.type	_ZN7rocprim17ROCPRIM_400000_NS6detail17trampoline_kernelINS0_14default_configENS1_36segmented_radix_sort_config_selectorIblEEZNS1_25segmented_radix_sort_implIS3_Lb1EPKbPbPKlPlN2at6native12_GLOBAL__N_18offset_tEEE10hipError_tPvRmT1_PNSt15iterator_traitsISK_E10value_typeET2_T3_PNSL_ISQ_E10value_typeET4_jRbjT5_SW_jjP12ihipStream_tbEUlT_E2_NS1_11comp_targetILNS1_3genE9ELNS1_11target_archE1100ELNS1_3gpuE3ELNS1_3repE0EEENS1_30default_config_static_selectorELNS0_4arch9wavefront6targetE0EEEvSK_,@function
_ZN7rocprim17ROCPRIM_400000_NS6detail17trampoline_kernelINS0_14default_configENS1_36segmented_radix_sort_config_selectorIblEEZNS1_25segmented_radix_sort_implIS3_Lb1EPKbPbPKlPlN2at6native12_GLOBAL__N_18offset_tEEE10hipError_tPvRmT1_PNSt15iterator_traitsISK_E10value_typeET2_T3_PNSL_ISQ_E10value_typeET4_jRbjT5_SW_jjP12ihipStream_tbEUlT_E2_NS1_11comp_targetILNS1_3genE9ELNS1_11target_archE1100ELNS1_3gpuE3ELNS1_3repE0EEENS1_30default_config_static_selectorELNS0_4arch9wavefront6targetE0EEEvSK_: ; @_ZN7rocprim17ROCPRIM_400000_NS6detail17trampoline_kernelINS0_14default_configENS1_36segmented_radix_sort_config_selectorIblEEZNS1_25segmented_radix_sort_implIS3_Lb1EPKbPbPKlPlN2at6native12_GLOBAL__N_18offset_tEEE10hipError_tPvRmT1_PNSt15iterator_traitsISK_E10value_typeET2_T3_PNSL_ISQ_E10value_typeET4_jRbjT5_SW_jjP12ihipStream_tbEUlT_E2_NS1_11comp_targetILNS1_3genE9ELNS1_11target_archE1100ELNS1_3gpuE3ELNS1_3repE0EEENS1_30default_config_static_selectorELNS0_4arch9wavefront6targetE0EEEvSK_
; %bb.0:
	.section	.rodata,"a",@progbits
	.p2align	6, 0x0
	.amdhsa_kernel _ZN7rocprim17ROCPRIM_400000_NS6detail17trampoline_kernelINS0_14default_configENS1_36segmented_radix_sort_config_selectorIblEEZNS1_25segmented_radix_sort_implIS3_Lb1EPKbPbPKlPlN2at6native12_GLOBAL__N_18offset_tEEE10hipError_tPvRmT1_PNSt15iterator_traitsISK_E10value_typeET2_T3_PNSL_ISQ_E10value_typeET4_jRbjT5_SW_jjP12ihipStream_tbEUlT_E2_NS1_11comp_targetILNS1_3genE9ELNS1_11target_archE1100ELNS1_3gpuE3ELNS1_3repE0EEENS1_30default_config_static_selectorELNS0_4arch9wavefront6targetE0EEEvSK_
		.amdhsa_group_segment_fixed_size 0
		.amdhsa_private_segment_fixed_size 0
		.amdhsa_kernarg_size 80
		.amdhsa_user_sgpr_count 2
		.amdhsa_user_sgpr_dispatch_ptr 0
		.amdhsa_user_sgpr_queue_ptr 0
		.amdhsa_user_sgpr_kernarg_segment_ptr 1
		.amdhsa_user_sgpr_dispatch_id 0
		.amdhsa_user_sgpr_kernarg_preload_length 0
		.amdhsa_user_sgpr_kernarg_preload_offset 0
		.amdhsa_user_sgpr_private_segment_size 0
		.amdhsa_wavefront_size32 1
		.amdhsa_uses_dynamic_stack 0
		.amdhsa_enable_private_segment 0
		.amdhsa_system_sgpr_workgroup_id_x 1
		.amdhsa_system_sgpr_workgroup_id_y 0
		.amdhsa_system_sgpr_workgroup_id_z 0
		.amdhsa_system_sgpr_workgroup_info 0
		.amdhsa_system_vgpr_workitem_id 0
		.amdhsa_next_free_vgpr 1
		.amdhsa_next_free_sgpr 1
		.amdhsa_named_barrier_count 0
		.amdhsa_reserve_vcc 0
		.amdhsa_float_round_mode_32 0
		.amdhsa_float_round_mode_16_64 0
		.amdhsa_float_denorm_mode_32 3
		.amdhsa_float_denorm_mode_16_64 3
		.amdhsa_fp16_overflow 0
		.amdhsa_memory_ordered 1
		.amdhsa_forward_progress 1
		.amdhsa_inst_pref_size 0
		.amdhsa_round_robin_scheduling 0
		.amdhsa_exception_fp_ieee_invalid_op 0
		.amdhsa_exception_fp_denorm_src 0
		.amdhsa_exception_fp_ieee_div_zero 0
		.amdhsa_exception_fp_ieee_overflow 0
		.amdhsa_exception_fp_ieee_underflow 0
		.amdhsa_exception_fp_ieee_inexact 0
		.amdhsa_exception_int_div_zero 0
	.end_amdhsa_kernel
	.section	.text._ZN7rocprim17ROCPRIM_400000_NS6detail17trampoline_kernelINS0_14default_configENS1_36segmented_radix_sort_config_selectorIblEEZNS1_25segmented_radix_sort_implIS3_Lb1EPKbPbPKlPlN2at6native12_GLOBAL__N_18offset_tEEE10hipError_tPvRmT1_PNSt15iterator_traitsISK_E10value_typeET2_T3_PNSL_ISQ_E10value_typeET4_jRbjT5_SW_jjP12ihipStream_tbEUlT_E2_NS1_11comp_targetILNS1_3genE9ELNS1_11target_archE1100ELNS1_3gpuE3ELNS1_3repE0EEENS1_30default_config_static_selectorELNS0_4arch9wavefront6targetE0EEEvSK_,"axG",@progbits,_ZN7rocprim17ROCPRIM_400000_NS6detail17trampoline_kernelINS0_14default_configENS1_36segmented_radix_sort_config_selectorIblEEZNS1_25segmented_radix_sort_implIS3_Lb1EPKbPbPKlPlN2at6native12_GLOBAL__N_18offset_tEEE10hipError_tPvRmT1_PNSt15iterator_traitsISK_E10value_typeET2_T3_PNSL_ISQ_E10value_typeET4_jRbjT5_SW_jjP12ihipStream_tbEUlT_E2_NS1_11comp_targetILNS1_3genE9ELNS1_11target_archE1100ELNS1_3gpuE3ELNS1_3repE0EEENS1_30default_config_static_selectorELNS0_4arch9wavefront6targetE0EEEvSK_,comdat
.Lfunc_end1560:
	.size	_ZN7rocprim17ROCPRIM_400000_NS6detail17trampoline_kernelINS0_14default_configENS1_36segmented_radix_sort_config_selectorIblEEZNS1_25segmented_radix_sort_implIS3_Lb1EPKbPbPKlPlN2at6native12_GLOBAL__N_18offset_tEEE10hipError_tPvRmT1_PNSt15iterator_traitsISK_E10value_typeET2_T3_PNSL_ISQ_E10value_typeET4_jRbjT5_SW_jjP12ihipStream_tbEUlT_E2_NS1_11comp_targetILNS1_3genE9ELNS1_11target_archE1100ELNS1_3gpuE3ELNS1_3repE0EEENS1_30default_config_static_selectorELNS0_4arch9wavefront6targetE0EEEvSK_, .Lfunc_end1560-_ZN7rocprim17ROCPRIM_400000_NS6detail17trampoline_kernelINS0_14default_configENS1_36segmented_radix_sort_config_selectorIblEEZNS1_25segmented_radix_sort_implIS3_Lb1EPKbPbPKlPlN2at6native12_GLOBAL__N_18offset_tEEE10hipError_tPvRmT1_PNSt15iterator_traitsISK_E10value_typeET2_T3_PNSL_ISQ_E10value_typeET4_jRbjT5_SW_jjP12ihipStream_tbEUlT_E2_NS1_11comp_targetILNS1_3genE9ELNS1_11target_archE1100ELNS1_3gpuE3ELNS1_3repE0EEENS1_30default_config_static_selectorELNS0_4arch9wavefront6targetE0EEEvSK_
                                        ; -- End function
	.set _ZN7rocprim17ROCPRIM_400000_NS6detail17trampoline_kernelINS0_14default_configENS1_36segmented_radix_sort_config_selectorIblEEZNS1_25segmented_radix_sort_implIS3_Lb1EPKbPbPKlPlN2at6native12_GLOBAL__N_18offset_tEEE10hipError_tPvRmT1_PNSt15iterator_traitsISK_E10value_typeET2_T3_PNSL_ISQ_E10value_typeET4_jRbjT5_SW_jjP12ihipStream_tbEUlT_E2_NS1_11comp_targetILNS1_3genE9ELNS1_11target_archE1100ELNS1_3gpuE3ELNS1_3repE0EEENS1_30default_config_static_selectorELNS0_4arch9wavefront6targetE0EEEvSK_.num_vgpr, 0
	.set _ZN7rocprim17ROCPRIM_400000_NS6detail17trampoline_kernelINS0_14default_configENS1_36segmented_radix_sort_config_selectorIblEEZNS1_25segmented_radix_sort_implIS3_Lb1EPKbPbPKlPlN2at6native12_GLOBAL__N_18offset_tEEE10hipError_tPvRmT1_PNSt15iterator_traitsISK_E10value_typeET2_T3_PNSL_ISQ_E10value_typeET4_jRbjT5_SW_jjP12ihipStream_tbEUlT_E2_NS1_11comp_targetILNS1_3genE9ELNS1_11target_archE1100ELNS1_3gpuE3ELNS1_3repE0EEENS1_30default_config_static_selectorELNS0_4arch9wavefront6targetE0EEEvSK_.num_agpr, 0
	.set _ZN7rocprim17ROCPRIM_400000_NS6detail17trampoline_kernelINS0_14default_configENS1_36segmented_radix_sort_config_selectorIblEEZNS1_25segmented_radix_sort_implIS3_Lb1EPKbPbPKlPlN2at6native12_GLOBAL__N_18offset_tEEE10hipError_tPvRmT1_PNSt15iterator_traitsISK_E10value_typeET2_T3_PNSL_ISQ_E10value_typeET4_jRbjT5_SW_jjP12ihipStream_tbEUlT_E2_NS1_11comp_targetILNS1_3genE9ELNS1_11target_archE1100ELNS1_3gpuE3ELNS1_3repE0EEENS1_30default_config_static_selectorELNS0_4arch9wavefront6targetE0EEEvSK_.numbered_sgpr, 0
	.set _ZN7rocprim17ROCPRIM_400000_NS6detail17trampoline_kernelINS0_14default_configENS1_36segmented_radix_sort_config_selectorIblEEZNS1_25segmented_radix_sort_implIS3_Lb1EPKbPbPKlPlN2at6native12_GLOBAL__N_18offset_tEEE10hipError_tPvRmT1_PNSt15iterator_traitsISK_E10value_typeET2_T3_PNSL_ISQ_E10value_typeET4_jRbjT5_SW_jjP12ihipStream_tbEUlT_E2_NS1_11comp_targetILNS1_3genE9ELNS1_11target_archE1100ELNS1_3gpuE3ELNS1_3repE0EEENS1_30default_config_static_selectorELNS0_4arch9wavefront6targetE0EEEvSK_.num_named_barrier, 0
	.set _ZN7rocprim17ROCPRIM_400000_NS6detail17trampoline_kernelINS0_14default_configENS1_36segmented_radix_sort_config_selectorIblEEZNS1_25segmented_radix_sort_implIS3_Lb1EPKbPbPKlPlN2at6native12_GLOBAL__N_18offset_tEEE10hipError_tPvRmT1_PNSt15iterator_traitsISK_E10value_typeET2_T3_PNSL_ISQ_E10value_typeET4_jRbjT5_SW_jjP12ihipStream_tbEUlT_E2_NS1_11comp_targetILNS1_3genE9ELNS1_11target_archE1100ELNS1_3gpuE3ELNS1_3repE0EEENS1_30default_config_static_selectorELNS0_4arch9wavefront6targetE0EEEvSK_.private_seg_size, 0
	.set _ZN7rocprim17ROCPRIM_400000_NS6detail17trampoline_kernelINS0_14default_configENS1_36segmented_radix_sort_config_selectorIblEEZNS1_25segmented_radix_sort_implIS3_Lb1EPKbPbPKlPlN2at6native12_GLOBAL__N_18offset_tEEE10hipError_tPvRmT1_PNSt15iterator_traitsISK_E10value_typeET2_T3_PNSL_ISQ_E10value_typeET4_jRbjT5_SW_jjP12ihipStream_tbEUlT_E2_NS1_11comp_targetILNS1_3genE9ELNS1_11target_archE1100ELNS1_3gpuE3ELNS1_3repE0EEENS1_30default_config_static_selectorELNS0_4arch9wavefront6targetE0EEEvSK_.uses_vcc, 0
	.set _ZN7rocprim17ROCPRIM_400000_NS6detail17trampoline_kernelINS0_14default_configENS1_36segmented_radix_sort_config_selectorIblEEZNS1_25segmented_radix_sort_implIS3_Lb1EPKbPbPKlPlN2at6native12_GLOBAL__N_18offset_tEEE10hipError_tPvRmT1_PNSt15iterator_traitsISK_E10value_typeET2_T3_PNSL_ISQ_E10value_typeET4_jRbjT5_SW_jjP12ihipStream_tbEUlT_E2_NS1_11comp_targetILNS1_3genE9ELNS1_11target_archE1100ELNS1_3gpuE3ELNS1_3repE0EEENS1_30default_config_static_selectorELNS0_4arch9wavefront6targetE0EEEvSK_.uses_flat_scratch, 0
	.set _ZN7rocprim17ROCPRIM_400000_NS6detail17trampoline_kernelINS0_14default_configENS1_36segmented_radix_sort_config_selectorIblEEZNS1_25segmented_radix_sort_implIS3_Lb1EPKbPbPKlPlN2at6native12_GLOBAL__N_18offset_tEEE10hipError_tPvRmT1_PNSt15iterator_traitsISK_E10value_typeET2_T3_PNSL_ISQ_E10value_typeET4_jRbjT5_SW_jjP12ihipStream_tbEUlT_E2_NS1_11comp_targetILNS1_3genE9ELNS1_11target_archE1100ELNS1_3gpuE3ELNS1_3repE0EEENS1_30default_config_static_selectorELNS0_4arch9wavefront6targetE0EEEvSK_.has_dyn_sized_stack, 0
	.set _ZN7rocprim17ROCPRIM_400000_NS6detail17trampoline_kernelINS0_14default_configENS1_36segmented_radix_sort_config_selectorIblEEZNS1_25segmented_radix_sort_implIS3_Lb1EPKbPbPKlPlN2at6native12_GLOBAL__N_18offset_tEEE10hipError_tPvRmT1_PNSt15iterator_traitsISK_E10value_typeET2_T3_PNSL_ISQ_E10value_typeET4_jRbjT5_SW_jjP12ihipStream_tbEUlT_E2_NS1_11comp_targetILNS1_3genE9ELNS1_11target_archE1100ELNS1_3gpuE3ELNS1_3repE0EEENS1_30default_config_static_selectorELNS0_4arch9wavefront6targetE0EEEvSK_.has_recursion, 0
	.set _ZN7rocprim17ROCPRIM_400000_NS6detail17trampoline_kernelINS0_14default_configENS1_36segmented_radix_sort_config_selectorIblEEZNS1_25segmented_radix_sort_implIS3_Lb1EPKbPbPKlPlN2at6native12_GLOBAL__N_18offset_tEEE10hipError_tPvRmT1_PNSt15iterator_traitsISK_E10value_typeET2_T3_PNSL_ISQ_E10value_typeET4_jRbjT5_SW_jjP12ihipStream_tbEUlT_E2_NS1_11comp_targetILNS1_3genE9ELNS1_11target_archE1100ELNS1_3gpuE3ELNS1_3repE0EEENS1_30default_config_static_selectorELNS0_4arch9wavefront6targetE0EEEvSK_.has_indirect_call, 0
	.section	.AMDGPU.csdata,"",@progbits
; Kernel info:
; codeLenInByte = 0
; TotalNumSgprs: 0
; NumVgprs: 0
; ScratchSize: 0
; MemoryBound: 0
; FloatMode: 240
; IeeeMode: 1
; LDSByteSize: 0 bytes/workgroup (compile time only)
; SGPRBlocks: 0
; VGPRBlocks: 0
; NumSGPRsForWavesPerEU: 1
; NumVGPRsForWavesPerEU: 1
; NamedBarCnt: 0
; Occupancy: 16
; WaveLimiterHint : 0
; COMPUTE_PGM_RSRC2:SCRATCH_EN: 0
; COMPUTE_PGM_RSRC2:USER_SGPR: 2
; COMPUTE_PGM_RSRC2:TRAP_HANDLER: 0
; COMPUTE_PGM_RSRC2:TGID_X_EN: 1
; COMPUTE_PGM_RSRC2:TGID_Y_EN: 0
; COMPUTE_PGM_RSRC2:TGID_Z_EN: 0
; COMPUTE_PGM_RSRC2:TIDIG_COMP_CNT: 0
	.section	.text._ZN7rocprim17ROCPRIM_400000_NS6detail17trampoline_kernelINS0_14default_configENS1_36segmented_radix_sort_config_selectorIblEEZNS1_25segmented_radix_sort_implIS3_Lb1EPKbPbPKlPlN2at6native12_GLOBAL__N_18offset_tEEE10hipError_tPvRmT1_PNSt15iterator_traitsISK_E10value_typeET2_T3_PNSL_ISQ_E10value_typeET4_jRbjT5_SW_jjP12ihipStream_tbEUlT_E2_NS1_11comp_targetILNS1_3genE8ELNS1_11target_archE1030ELNS1_3gpuE2ELNS1_3repE0EEENS1_30default_config_static_selectorELNS0_4arch9wavefront6targetE0EEEvSK_,"axG",@progbits,_ZN7rocprim17ROCPRIM_400000_NS6detail17trampoline_kernelINS0_14default_configENS1_36segmented_radix_sort_config_selectorIblEEZNS1_25segmented_radix_sort_implIS3_Lb1EPKbPbPKlPlN2at6native12_GLOBAL__N_18offset_tEEE10hipError_tPvRmT1_PNSt15iterator_traitsISK_E10value_typeET2_T3_PNSL_ISQ_E10value_typeET4_jRbjT5_SW_jjP12ihipStream_tbEUlT_E2_NS1_11comp_targetILNS1_3genE8ELNS1_11target_archE1030ELNS1_3gpuE2ELNS1_3repE0EEENS1_30default_config_static_selectorELNS0_4arch9wavefront6targetE0EEEvSK_,comdat
	.globl	_ZN7rocprim17ROCPRIM_400000_NS6detail17trampoline_kernelINS0_14default_configENS1_36segmented_radix_sort_config_selectorIblEEZNS1_25segmented_radix_sort_implIS3_Lb1EPKbPbPKlPlN2at6native12_GLOBAL__N_18offset_tEEE10hipError_tPvRmT1_PNSt15iterator_traitsISK_E10value_typeET2_T3_PNSL_ISQ_E10value_typeET4_jRbjT5_SW_jjP12ihipStream_tbEUlT_E2_NS1_11comp_targetILNS1_3genE8ELNS1_11target_archE1030ELNS1_3gpuE2ELNS1_3repE0EEENS1_30default_config_static_selectorELNS0_4arch9wavefront6targetE0EEEvSK_ ; -- Begin function _ZN7rocprim17ROCPRIM_400000_NS6detail17trampoline_kernelINS0_14default_configENS1_36segmented_radix_sort_config_selectorIblEEZNS1_25segmented_radix_sort_implIS3_Lb1EPKbPbPKlPlN2at6native12_GLOBAL__N_18offset_tEEE10hipError_tPvRmT1_PNSt15iterator_traitsISK_E10value_typeET2_T3_PNSL_ISQ_E10value_typeET4_jRbjT5_SW_jjP12ihipStream_tbEUlT_E2_NS1_11comp_targetILNS1_3genE8ELNS1_11target_archE1030ELNS1_3gpuE2ELNS1_3repE0EEENS1_30default_config_static_selectorELNS0_4arch9wavefront6targetE0EEEvSK_
	.p2align	8
	.type	_ZN7rocprim17ROCPRIM_400000_NS6detail17trampoline_kernelINS0_14default_configENS1_36segmented_radix_sort_config_selectorIblEEZNS1_25segmented_radix_sort_implIS3_Lb1EPKbPbPKlPlN2at6native12_GLOBAL__N_18offset_tEEE10hipError_tPvRmT1_PNSt15iterator_traitsISK_E10value_typeET2_T3_PNSL_ISQ_E10value_typeET4_jRbjT5_SW_jjP12ihipStream_tbEUlT_E2_NS1_11comp_targetILNS1_3genE8ELNS1_11target_archE1030ELNS1_3gpuE2ELNS1_3repE0EEENS1_30default_config_static_selectorELNS0_4arch9wavefront6targetE0EEEvSK_,@function
_ZN7rocprim17ROCPRIM_400000_NS6detail17trampoline_kernelINS0_14default_configENS1_36segmented_radix_sort_config_selectorIblEEZNS1_25segmented_radix_sort_implIS3_Lb1EPKbPbPKlPlN2at6native12_GLOBAL__N_18offset_tEEE10hipError_tPvRmT1_PNSt15iterator_traitsISK_E10value_typeET2_T3_PNSL_ISQ_E10value_typeET4_jRbjT5_SW_jjP12ihipStream_tbEUlT_E2_NS1_11comp_targetILNS1_3genE8ELNS1_11target_archE1030ELNS1_3gpuE2ELNS1_3repE0EEENS1_30default_config_static_selectorELNS0_4arch9wavefront6targetE0EEEvSK_: ; @_ZN7rocprim17ROCPRIM_400000_NS6detail17trampoline_kernelINS0_14default_configENS1_36segmented_radix_sort_config_selectorIblEEZNS1_25segmented_radix_sort_implIS3_Lb1EPKbPbPKlPlN2at6native12_GLOBAL__N_18offset_tEEE10hipError_tPvRmT1_PNSt15iterator_traitsISK_E10value_typeET2_T3_PNSL_ISQ_E10value_typeET4_jRbjT5_SW_jjP12ihipStream_tbEUlT_E2_NS1_11comp_targetILNS1_3genE8ELNS1_11target_archE1030ELNS1_3gpuE2ELNS1_3repE0EEENS1_30default_config_static_selectorELNS0_4arch9wavefront6targetE0EEEvSK_
; %bb.0:
	.section	.rodata,"a",@progbits
	.p2align	6, 0x0
	.amdhsa_kernel _ZN7rocprim17ROCPRIM_400000_NS6detail17trampoline_kernelINS0_14default_configENS1_36segmented_radix_sort_config_selectorIblEEZNS1_25segmented_radix_sort_implIS3_Lb1EPKbPbPKlPlN2at6native12_GLOBAL__N_18offset_tEEE10hipError_tPvRmT1_PNSt15iterator_traitsISK_E10value_typeET2_T3_PNSL_ISQ_E10value_typeET4_jRbjT5_SW_jjP12ihipStream_tbEUlT_E2_NS1_11comp_targetILNS1_3genE8ELNS1_11target_archE1030ELNS1_3gpuE2ELNS1_3repE0EEENS1_30default_config_static_selectorELNS0_4arch9wavefront6targetE0EEEvSK_
		.amdhsa_group_segment_fixed_size 0
		.amdhsa_private_segment_fixed_size 0
		.amdhsa_kernarg_size 80
		.amdhsa_user_sgpr_count 2
		.amdhsa_user_sgpr_dispatch_ptr 0
		.amdhsa_user_sgpr_queue_ptr 0
		.amdhsa_user_sgpr_kernarg_segment_ptr 1
		.amdhsa_user_sgpr_dispatch_id 0
		.amdhsa_user_sgpr_kernarg_preload_length 0
		.amdhsa_user_sgpr_kernarg_preload_offset 0
		.amdhsa_user_sgpr_private_segment_size 0
		.amdhsa_wavefront_size32 1
		.amdhsa_uses_dynamic_stack 0
		.amdhsa_enable_private_segment 0
		.amdhsa_system_sgpr_workgroup_id_x 1
		.amdhsa_system_sgpr_workgroup_id_y 0
		.amdhsa_system_sgpr_workgroup_id_z 0
		.amdhsa_system_sgpr_workgroup_info 0
		.amdhsa_system_vgpr_workitem_id 0
		.amdhsa_next_free_vgpr 1
		.amdhsa_next_free_sgpr 1
		.amdhsa_named_barrier_count 0
		.amdhsa_reserve_vcc 0
		.amdhsa_float_round_mode_32 0
		.amdhsa_float_round_mode_16_64 0
		.amdhsa_float_denorm_mode_32 3
		.amdhsa_float_denorm_mode_16_64 3
		.amdhsa_fp16_overflow 0
		.amdhsa_memory_ordered 1
		.amdhsa_forward_progress 1
		.amdhsa_inst_pref_size 0
		.amdhsa_round_robin_scheduling 0
		.amdhsa_exception_fp_ieee_invalid_op 0
		.amdhsa_exception_fp_denorm_src 0
		.amdhsa_exception_fp_ieee_div_zero 0
		.amdhsa_exception_fp_ieee_overflow 0
		.amdhsa_exception_fp_ieee_underflow 0
		.amdhsa_exception_fp_ieee_inexact 0
		.amdhsa_exception_int_div_zero 0
	.end_amdhsa_kernel
	.section	.text._ZN7rocprim17ROCPRIM_400000_NS6detail17trampoline_kernelINS0_14default_configENS1_36segmented_radix_sort_config_selectorIblEEZNS1_25segmented_radix_sort_implIS3_Lb1EPKbPbPKlPlN2at6native12_GLOBAL__N_18offset_tEEE10hipError_tPvRmT1_PNSt15iterator_traitsISK_E10value_typeET2_T3_PNSL_ISQ_E10value_typeET4_jRbjT5_SW_jjP12ihipStream_tbEUlT_E2_NS1_11comp_targetILNS1_3genE8ELNS1_11target_archE1030ELNS1_3gpuE2ELNS1_3repE0EEENS1_30default_config_static_selectorELNS0_4arch9wavefront6targetE0EEEvSK_,"axG",@progbits,_ZN7rocprim17ROCPRIM_400000_NS6detail17trampoline_kernelINS0_14default_configENS1_36segmented_radix_sort_config_selectorIblEEZNS1_25segmented_radix_sort_implIS3_Lb1EPKbPbPKlPlN2at6native12_GLOBAL__N_18offset_tEEE10hipError_tPvRmT1_PNSt15iterator_traitsISK_E10value_typeET2_T3_PNSL_ISQ_E10value_typeET4_jRbjT5_SW_jjP12ihipStream_tbEUlT_E2_NS1_11comp_targetILNS1_3genE8ELNS1_11target_archE1030ELNS1_3gpuE2ELNS1_3repE0EEENS1_30default_config_static_selectorELNS0_4arch9wavefront6targetE0EEEvSK_,comdat
.Lfunc_end1561:
	.size	_ZN7rocprim17ROCPRIM_400000_NS6detail17trampoline_kernelINS0_14default_configENS1_36segmented_radix_sort_config_selectorIblEEZNS1_25segmented_radix_sort_implIS3_Lb1EPKbPbPKlPlN2at6native12_GLOBAL__N_18offset_tEEE10hipError_tPvRmT1_PNSt15iterator_traitsISK_E10value_typeET2_T3_PNSL_ISQ_E10value_typeET4_jRbjT5_SW_jjP12ihipStream_tbEUlT_E2_NS1_11comp_targetILNS1_3genE8ELNS1_11target_archE1030ELNS1_3gpuE2ELNS1_3repE0EEENS1_30default_config_static_selectorELNS0_4arch9wavefront6targetE0EEEvSK_, .Lfunc_end1561-_ZN7rocprim17ROCPRIM_400000_NS6detail17trampoline_kernelINS0_14default_configENS1_36segmented_radix_sort_config_selectorIblEEZNS1_25segmented_radix_sort_implIS3_Lb1EPKbPbPKlPlN2at6native12_GLOBAL__N_18offset_tEEE10hipError_tPvRmT1_PNSt15iterator_traitsISK_E10value_typeET2_T3_PNSL_ISQ_E10value_typeET4_jRbjT5_SW_jjP12ihipStream_tbEUlT_E2_NS1_11comp_targetILNS1_3genE8ELNS1_11target_archE1030ELNS1_3gpuE2ELNS1_3repE0EEENS1_30default_config_static_selectorELNS0_4arch9wavefront6targetE0EEEvSK_
                                        ; -- End function
	.set _ZN7rocprim17ROCPRIM_400000_NS6detail17trampoline_kernelINS0_14default_configENS1_36segmented_radix_sort_config_selectorIblEEZNS1_25segmented_radix_sort_implIS3_Lb1EPKbPbPKlPlN2at6native12_GLOBAL__N_18offset_tEEE10hipError_tPvRmT1_PNSt15iterator_traitsISK_E10value_typeET2_T3_PNSL_ISQ_E10value_typeET4_jRbjT5_SW_jjP12ihipStream_tbEUlT_E2_NS1_11comp_targetILNS1_3genE8ELNS1_11target_archE1030ELNS1_3gpuE2ELNS1_3repE0EEENS1_30default_config_static_selectorELNS0_4arch9wavefront6targetE0EEEvSK_.num_vgpr, 0
	.set _ZN7rocprim17ROCPRIM_400000_NS6detail17trampoline_kernelINS0_14default_configENS1_36segmented_radix_sort_config_selectorIblEEZNS1_25segmented_radix_sort_implIS3_Lb1EPKbPbPKlPlN2at6native12_GLOBAL__N_18offset_tEEE10hipError_tPvRmT1_PNSt15iterator_traitsISK_E10value_typeET2_T3_PNSL_ISQ_E10value_typeET4_jRbjT5_SW_jjP12ihipStream_tbEUlT_E2_NS1_11comp_targetILNS1_3genE8ELNS1_11target_archE1030ELNS1_3gpuE2ELNS1_3repE0EEENS1_30default_config_static_selectorELNS0_4arch9wavefront6targetE0EEEvSK_.num_agpr, 0
	.set _ZN7rocprim17ROCPRIM_400000_NS6detail17trampoline_kernelINS0_14default_configENS1_36segmented_radix_sort_config_selectorIblEEZNS1_25segmented_radix_sort_implIS3_Lb1EPKbPbPKlPlN2at6native12_GLOBAL__N_18offset_tEEE10hipError_tPvRmT1_PNSt15iterator_traitsISK_E10value_typeET2_T3_PNSL_ISQ_E10value_typeET4_jRbjT5_SW_jjP12ihipStream_tbEUlT_E2_NS1_11comp_targetILNS1_3genE8ELNS1_11target_archE1030ELNS1_3gpuE2ELNS1_3repE0EEENS1_30default_config_static_selectorELNS0_4arch9wavefront6targetE0EEEvSK_.numbered_sgpr, 0
	.set _ZN7rocprim17ROCPRIM_400000_NS6detail17trampoline_kernelINS0_14default_configENS1_36segmented_radix_sort_config_selectorIblEEZNS1_25segmented_radix_sort_implIS3_Lb1EPKbPbPKlPlN2at6native12_GLOBAL__N_18offset_tEEE10hipError_tPvRmT1_PNSt15iterator_traitsISK_E10value_typeET2_T3_PNSL_ISQ_E10value_typeET4_jRbjT5_SW_jjP12ihipStream_tbEUlT_E2_NS1_11comp_targetILNS1_3genE8ELNS1_11target_archE1030ELNS1_3gpuE2ELNS1_3repE0EEENS1_30default_config_static_selectorELNS0_4arch9wavefront6targetE0EEEvSK_.num_named_barrier, 0
	.set _ZN7rocprim17ROCPRIM_400000_NS6detail17trampoline_kernelINS0_14default_configENS1_36segmented_radix_sort_config_selectorIblEEZNS1_25segmented_radix_sort_implIS3_Lb1EPKbPbPKlPlN2at6native12_GLOBAL__N_18offset_tEEE10hipError_tPvRmT1_PNSt15iterator_traitsISK_E10value_typeET2_T3_PNSL_ISQ_E10value_typeET4_jRbjT5_SW_jjP12ihipStream_tbEUlT_E2_NS1_11comp_targetILNS1_3genE8ELNS1_11target_archE1030ELNS1_3gpuE2ELNS1_3repE0EEENS1_30default_config_static_selectorELNS0_4arch9wavefront6targetE0EEEvSK_.private_seg_size, 0
	.set _ZN7rocprim17ROCPRIM_400000_NS6detail17trampoline_kernelINS0_14default_configENS1_36segmented_radix_sort_config_selectorIblEEZNS1_25segmented_radix_sort_implIS3_Lb1EPKbPbPKlPlN2at6native12_GLOBAL__N_18offset_tEEE10hipError_tPvRmT1_PNSt15iterator_traitsISK_E10value_typeET2_T3_PNSL_ISQ_E10value_typeET4_jRbjT5_SW_jjP12ihipStream_tbEUlT_E2_NS1_11comp_targetILNS1_3genE8ELNS1_11target_archE1030ELNS1_3gpuE2ELNS1_3repE0EEENS1_30default_config_static_selectorELNS0_4arch9wavefront6targetE0EEEvSK_.uses_vcc, 0
	.set _ZN7rocprim17ROCPRIM_400000_NS6detail17trampoline_kernelINS0_14default_configENS1_36segmented_radix_sort_config_selectorIblEEZNS1_25segmented_radix_sort_implIS3_Lb1EPKbPbPKlPlN2at6native12_GLOBAL__N_18offset_tEEE10hipError_tPvRmT1_PNSt15iterator_traitsISK_E10value_typeET2_T3_PNSL_ISQ_E10value_typeET4_jRbjT5_SW_jjP12ihipStream_tbEUlT_E2_NS1_11comp_targetILNS1_3genE8ELNS1_11target_archE1030ELNS1_3gpuE2ELNS1_3repE0EEENS1_30default_config_static_selectorELNS0_4arch9wavefront6targetE0EEEvSK_.uses_flat_scratch, 0
	.set _ZN7rocprim17ROCPRIM_400000_NS6detail17trampoline_kernelINS0_14default_configENS1_36segmented_radix_sort_config_selectorIblEEZNS1_25segmented_radix_sort_implIS3_Lb1EPKbPbPKlPlN2at6native12_GLOBAL__N_18offset_tEEE10hipError_tPvRmT1_PNSt15iterator_traitsISK_E10value_typeET2_T3_PNSL_ISQ_E10value_typeET4_jRbjT5_SW_jjP12ihipStream_tbEUlT_E2_NS1_11comp_targetILNS1_3genE8ELNS1_11target_archE1030ELNS1_3gpuE2ELNS1_3repE0EEENS1_30default_config_static_selectorELNS0_4arch9wavefront6targetE0EEEvSK_.has_dyn_sized_stack, 0
	.set _ZN7rocprim17ROCPRIM_400000_NS6detail17trampoline_kernelINS0_14default_configENS1_36segmented_radix_sort_config_selectorIblEEZNS1_25segmented_radix_sort_implIS3_Lb1EPKbPbPKlPlN2at6native12_GLOBAL__N_18offset_tEEE10hipError_tPvRmT1_PNSt15iterator_traitsISK_E10value_typeET2_T3_PNSL_ISQ_E10value_typeET4_jRbjT5_SW_jjP12ihipStream_tbEUlT_E2_NS1_11comp_targetILNS1_3genE8ELNS1_11target_archE1030ELNS1_3gpuE2ELNS1_3repE0EEENS1_30default_config_static_selectorELNS0_4arch9wavefront6targetE0EEEvSK_.has_recursion, 0
	.set _ZN7rocprim17ROCPRIM_400000_NS6detail17trampoline_kernelINS0_14default_configENS1_36segmented_radix_sort_config_selectorIblEEZNS1_25segmented_radix_sort_implIS3_Lb1EPKbPbPKlPlN2at6native12_GLOBAL__N_18offset_tEEE10hipError_tPvRmT1_PNSt15iterator_traitsISK_E10value_typeET2_T3_PNSL_ISQ_E10value_typeET4_jRbjT5_SW_jjP12ihipStream_tbEUlT_E2_NS1_11comp_targetILNS1_3genE8ELNS1_11target_archE1030ELNS1_3gpuE2ELNS1_3repE0EEENS1_30default_config_static_selectorELNS0_4arch9wavefront6targetE0EEEvSK_.has_indirect_call, 0
	.section	.AMDGPU.csdata,"",@progbits
; Kernel info:
; codeLenInByte = 0
; TotalNumSgprs: 0
; NumVgprs: 0
; ScratchSize: 0
; MemoryBound: 0
; FloatMode: 240
; IeeeMode: 1
; LDSByteSize: 0 bytes/workgroup (compile time only)
; SGPRBlocks: 0
; VGPRBlocks: 0
; NumSGPRsForWavesPerEU: 1
; NumVGPRsForWavesPerEU: 1
; NamedBarCnt: 0
; Occupancy: 16
; WaveLimiterHint : 0
; COMPUTE_PGM_RSRC2:SCRATCH_EN: 0
; COMPUTE_PGM_RSRC2:USER_SGPR: 2
; COMPUTE_PGM_RSRC2:TRAP_HANDLER: 0
; COMPUTE_PGM_RSRC2:TGID_X_EN: 1
; COMPUTE_PGM_RSRC2:TGID_Y_EN: 0
; COMPUTE_PGM_RSRC2:TGID_Z_EN: 0
; COMPUTE_PGM_RSRC2:TIDIG_COMP_CNT: 0
	.section	.text._ZN7rocprim17ROCPRIM_400000_NS6detail17trampoline_kernelINS0_13select_configILj256ELj13ELNS0_17block_load_methodE3ELS4_3ELS4_3ELNS0_20block_scan_algorithmE0ELj4294967295EEENS1_25partition_config_selectorILNS1_17partition_subalgoE4EjNS0_10empty_typeEbEEZZNS1_14partition_implILS8_4ELb0ES6_15HIP_vector_typeIjLj2EENS0_17counting_iteratorIjlEEPS9_SG_NS0_5tupleIJPjSI_NS0_16reverse_iteratorISI_EEEEENSH_IJSG_SG_SG_EEES9_SI_JZNS1_25segmented_radix_sort_implINS0_14default_configELb0EPKbPbPKlPlN2at6native12_GLOBAL__N_18offset_tEEE10hipError_tPvRmT1_PNSt15iterator_traitsIS12_E10value_typeET2_T3_PNS13_IS18_E10value_typeET4_jRbjT5_S1E_jjP12ihipStream_tbEUljE_ZNSN_ISO_Lb0ESQ_SR_ST_SU_SY_EESZ_S10_S11_S12_S16_S17_S18_S1B_S1C_jS1D_jS1E_S1E_jjS1G_bEUljE0_EEESZ_S10_S11_S18_S1C_S1E_T6_T7_T9_mT8_S1G_bDpT10_ENKUlT_T0_E_clISt17integral_constantIbLb0EES1U_EEDaS1P_S1Q_EUlS1P_E_NS1_11comp_targetILNS1_3genE0ELNS1_11target_archE4294967295ELNS1_3gpuE0ELNS1_3repE0EEENS1_30default_config_static_selectorELNS0_4arch9wavefront6targetE0EEEvS12_,"axG",@progbits,_ZN7rocprim17ROCPRIM_400000_NS6detail17trampoline_kernelINS0_13select_configILj256ELj13ELNS0_17block_load_methodE3ELS4_3ELS4_3ELNS0_20block_scan_algorithmE0ELj4294967295EEENS1_25partition_config_selectorILNS1_17partition_subalgoE4EjNS0_10empty_typeEbEEZZNS1_14partition_implILS8_4ELb0ES6_15HIP_vector_typeIjLj2EENS0_17counting_iteratorIjlEEPS9_SG_NS0_5tupleIJPjSI_NS0_16reverse_iteratorISI_EEEEENSH_IJSG_SG_SG_EEES9_SI_JZNS1_25segmented_radix_sort_implINS0_14default_configELb0EPKbPbPKlPlN2at6native12_GLOBAL__N_18offset_tEEE10hipError_tPvRmT1_PNSt15iterator_traitsIS12_E10value_typeET2_T3_PNS13_IS18_E10value_typeET4_jRbjT5_S1E_jjP12ihipStream_tbEUljE_ZNSN_ISO_Lb0ESQ_SR_ST_SU_SY_EESZ_S10_S11_S12_S16_S17_S18_S1B_S1C_jS1D_jS1E_S1E_jjS1G_bEUljE0_EEESZ_S10_S11_S18_S1C_S1E_T6_T7_T9_mT8_S1G_bDpT10_ENKUlT_T0_E_clISt17integral_constantIbLb0EES1U_EEDaS1P_S1Q_EUlS1P_E_NS1_11comp_targetILNS1_3genE0ELNS1_11target_archE4294967295ELNS1_3gpuE0ELNS1_3repE0EEENS1_30default_config_static_selectorELNS0_4arch9wavefront6targetE0EEEvS12_,comdat
	.globl	_ZN7rocprim17ROCPRIM_400000_NS6detail17trampoline_kernelINS0_13select_configILj256ELj13ELNS0_17block_load_methodE3ELS4_3ELS4_3ELNS0_20block_scan_algorithmE0ELj4294967295EEENS1_25partition_config_selectorILNS1_17partition_subalgoE4EjNS0_10empty_typeEbEEZZNS1_14partition_implILS8_4ELb0ES6_15HIP_vector_typeIjLj2EENS0_17counting_iteratorIjlEEPS9_SG_NS0_5tupleIJPjSI_NS0_16reverse_iteratorISI_EEEEENSH_IJSG_SG_SG_EEES9_SI_JZNS1_25segmented_radix_sort_implINS0_14default_configELb0EPKbPbPKlPlN2at6native12_GLOBAL__N_18offset_tEEE10hipError_tPvRmT1_PNSt15iterator_traitsIS12_E10value_typeET2_T3_PNS13_IS18_E10value_typeET4_jRbjT5_S1E_jjP12ihipStream_tbEUljE_ZNSN_ISO_Lb0ESQ_SR_ST_SU_SY_EESZ_S10_S11_S12_S16_S17_S18_S1B_S1C_jS1D_jS1E_S1E_jjS1G_bEUljE0_EEESZ_S10_S11_S18_S1C_S1E_T6_T7_T9_mT8_S1G_bDpT10_ENKUlT_T0_E_clISt17integral_constantIbLb0EES1U_EEDaS1P_S1Q_EUlS1P_E_NS1_11comp_targetILNS1_3genE0ELNS1_11target_archE4294967295ELNS1_3gpuE0ELNS1_3repE0EEENS1_30default_config_static_selectorELNS0_4arch9wavefront6targetE0EEEvS12_ ; -- Begin function _ZN7rocprim17ROCPRIM_400000_NS6detail17trampoline_kernelINS0_13select_configILj256ELj13ELNS0_17block_load_methodE3ELS4_3ELS4_3ELNS0_20block_scan_algorithmE0ELj4294967295EEENS1_25partition_config_selectorILNS1_17partition_subalgoE4EjNS0_10empty_typeEbEEZZNS1_14partition_implILS8_4ELb0ES6_15HIP_vector_typeIjLj2EENS0_17counting_iteratorIjlEEPS9_SG_NS0_5tupleIJPjSI_NS0_16reverse_iteratorISI_EEEEENSH_IJSG_SG_SG_EEES9_SI_JZNS1_25segmented_radix_sort_implINS0_14default_configELb0EPKbPbPKlPlN2at6native12_GLOBAL__N_18offset_tEEE10hipError_tPvRmT1_PNSt15iterator_traitsIS12_E10value_typeET2_T3_PNS13_IS18_E10value_typeET4_jRbjT5_S1E_jjP12ihipStream_tbEUljE_ZNSN_ISO_Lb0ESQ_SR_ST_SU_SY_EESZ_S10_S11_S12_S16_S17_S18_S1B_S1C_jS1D_jS1E_S1E_jjS1G_bEUljE0_EEESZ_S10_S11_S18_S1C_S1E_T6_T7_T9_mT8_S1G_bDpT10_ENKUlT_T0_E_clISt17integral_constantIbLb0EES1U_EEDaS1P_S1Q_EUlS1P_E_NS1_11comp_targetILNS1_3genE0ELNS1_11target_archE4294967295ELNS1_3gpuE0ELNS1_3repE0EEENS1_30default_config_static_selectorELNS0_4arch9wavefront6targetE0EEEvS12_
	.p2align	8
	.type	_ZN7rocprim17ROCPRIM_400000_NS6detail17trampoline_kernelINS0_13select_configILj256ELj13ELNS0_17block_load_methodE3ELS4_3ELS4_3ELNS0_20block_scan_algorithmE0ELj4294967295EEENS1_25partition_config_selectorILNS1_17partition_subalgoE4EjNS0_10empty_typeEbEEZZNS1_14partition_implILS8_4ELb0ES6_15HIP_vector_typeIjLj2EENS0_17counting_iteratorIjlEEPS9_SG_NS0_5tupleIJPjSI_NS0_16reverse_iteratorISI_EEEEENSH_IJSG_SG_SG_EEES9_SI_JZNS1_25segmented_radix_sort_implINS0_14default_configELb0EPKbPbPKlPlN2at6native12_GLOBAL__N_18offset_tEEE10hipError_tPvRmT1_PNSt15iterator_traitsIS12_E10value_typeET2_T3_PNS13_IS18_E10value_typeET4_jRbjT5_S1E_jjP12ihipStream_tbEUljE_ZNSN_ISO_Lb0ESQ_SR_ST_SU_SY_EESZ_S10_S11_S12_S16_S17_S18_S1B_S1C_jS1D_jS1E_S1E_jjS1G_bEUljE0_EEESZ_S10_S11_S18_S1C_S1E_T6_T7_T9_mT8_S1G_bDpT10_ENKUlT_T0_E_clISt17integral_constantIbLb0EES1U_EEDaS1P_S1Q_EUlS1P_E_NS1_11comp_targetILNS1_3genE0ELNS1_11target_archE4294967295ELNS1_3gpuE0ELNS1_3repE0EEENS1_30default_config_static_selectorELNS0_4arch9wavefront6targetE0EEEvS12_,@function
_ZN7rocprim17ROCPRIM_400000_NS6detail17trampoline_kernelINS0_13select_configILj256ELj13ELNS0_17block_load_methodE3ELS4_3ELS4_3ELNS0_20block_scan_algorithmE0ELj4294967295EEENS1_25partition_config_selectorILNS1_17partition_subalgoE4EjNS0_10empty_typeEbEEZZNS1_14partition_implILS8_4ELb0ES6_15HIP_vector_typeIjLj2EENS0_17counting_iteratorIjlEEPS9_SG_NS0_5tupleIJPjSI_NS0_16reverse_iteratorISI_EEEEENSH_IJSG_SG_SG_EEES9_SI_JZNS1_25segmented_radix_sort_implINS0_14default_configELb0EPKbPbPKlPlN2at6native12_GLOBAL__N_18offset_tEEE10hipError_tPvRmT1_PNSt15iterator_traitsIS12_E10value_typeET2_T3_PNS13_IS18_E10value_typeET4_jRbjT5_S1E_jjP12ihipStream_tbEUljE_ZNSN_ISO_Lb0ESQ_SR_ST_SU_SY_EESZ_S10_S11_S12_S16_S17_S18_S1B_S1C_jS1D_jS1E_S1E_jjS1G_bEUljE0_EEESZ_S10_S11_S18_S1C_S1E_T6_T7_T9_mT8_S1G_bDpT10_ENKUlT_T0_E_clISt17integral_constantIbLb0EES1U_EEDaS1P_S1Q_EUlS1P_E_NS1_11comp_targetILNS1_3genE0ELNS1_11target_archE4294967295ELNS1_3gpuE0ELNS1_3repE0EEENS1_30default_config_static_selectorELNS0_4arch9wavefront6targetE0EEEvS12_: ; @_ZN7rocprim17ROCPRIM_400000_NS6detail17trampoline_kernelINS0_13select_configILj256ELj13ELNS0_17block_load_methodE3ELS4_3ELS4_3ELNS0_20block_scan_algorithmE0ELj4294967295EEENS1_25partition_config_selectorILNS1_17partition_subalgoE4EjNS0_10empty_typeEbEEZZNS1_14partition_implILS8_4ELb0ES6_15HIP_vector_typeIjLj2EENS0_17counting_iteratorIjlEEPS9_SG_NS0_5tupleIJPjSI_NS0_16reverse_iteratorISI_EEEEENSH_IJSG_SG_SG_EEES9_SI_JZNS1_25segmented_radix_sort_implINS0_14default_configELb0EPKbPbPKlPlN2at6native12_GLOBAL__N_18offset_tEEE10hipError_tPvRmT1_PNSt15iterator_traitsIS12_E10value_typeET2_T3_PNS13_IS18_E10value_typeET4_jRbjT5_S1E_jjP12ihipStream_tbEUljE_ZNSN_ISO_Lb0ESQ_SR_ST_SU_SY_EESZ_S10_S11_S12_S16_S17_S18_S1B_S1C_jS1D_jS1E_S1E_jjS1G_bEUljE0_EEESZ_S10_S11_S18_S1C_S1E_T6_T7_T9_mT8_S1G_bDpT10_ENKUlT_T0_E_clISt17integral_constantIbLb0EES1U_EEDaS1P_S1Q_EUlS1P_E_NS1_11comp_targetILNS1_3genE0ELNS1_11target_archE4294967295ELNS1_3gpuE0ELNS1_3repE0EEENS1_30default_config_static_selectorELNS0_4arch9wavefront6targetE0EEEvS12_
; %bb.0:
	s_clause 0x4
	s_load_b128 s[24:27], s[0:1], 0x58
	s_load_b32 s4, s[0:1], 0x80
	s_load_b64 s[34:35], s[0:1], 0x10
	s_load_b64 s[2:3], s[0:1], 0x68
	s_load_b32 s8, s[0:1], 0x8
	s_bfe_u32 s5, ttmp6, 0x4000c
	s_and_b32 s6, ttmp6, 15
	s_add_co_i32 s5, s5, 1
	s_getreg_b32 s7, hwreg(HW_REG_IB_STS2, 6, 4)
	s_mul_i32 s5, ttmp9, s5
	s_load_b64 s[42:43], s[0:1], 0xa8
	s_add_co_i32 s6, s6, s5
	s_cmp_eq_u32 s7, 0
	s_load_b256 s[16:23], s[0:1], 0x88
	s_cselect_b32 s33, ttmp9, s6
	s_mov_b32 s5, 0
	s_mul_i32 s40, s33, 0xd00
	s_wait_kmcnt 0x0
	s_add_co_i32 s9, s4, -1
	s_mulk_i32 s4, 0xd00
	s_load_b128 s[28:31], s[26:27], 0x0
	s_cmp_eq_u32 s33, s9
	s_add_nc_u64 s[6:7], s[34:35], s[4:5]
	s_cselect_b32 s15, -1, 0
	s_cmp_lg_u32 s33, s9
	v_cmp_gt_u64_e64 s3, s[2:3], s[6:7]
	s_cselect_b32 s5, -1, 0
	s_add_co_i32 s6, s8, s40
	s_delay_alu instid0(SALU_CYCLE_1) | instskip(NEXT) | instid1(SALU_CYCLE_1)
	s_add_co_i32 s6, s6, s34
	v_add_nc_u32_e32 v1, s6, v0
	s_or_b32 s3, s5, s3
	s_mov_b32 s5, -1
	s_and_b32 vcc_lo, exec_lo, s3
	s_delay_alu instid0(VALU_DEP_1)
	v_add_nc_u32_e32 v2, 0x100, v1
	v_add_nc_u32_e32 v3, 0x200, v1
	;; [unrolled: 1-line block ×12, first 2 shown]
	s_cbranch_vccz .LBB1562_2
; %bb.1:
	v_lshlrev_b32_e32 v14, 2, v0
	s_mov_b32 s5, 0
	ds_store_2addr_stride64_b32 v14, v1, v2 offset1:4
	ds_store_2addr_stride64_b32 v14, v3, v4 offset0:8 offset1:12
	ds_store_2addr_stride64_b32 v14, v5, v6 offset0:16 offset1:20
	;; [unrolled: 1-line block ×5, first 2 shown]
	ds_store_b32 v14, v13 offset:12288
	s_wait_dscnt 0x0
	s_barrier_signal -1
	s_barrier_wait -1
.LBB1562_2:
	s_and_not1_b32 vcc_lo, exec_lo, s5
	s_add_co_i32 s4, s4, s34
	s_cbranch_vccnz .LBB1562_4
; %bb.3:
	v_lshlrev_b32_e32 v14, 2, v0
	ds_store_2addr_stride64_b32 v14, v1, v2 offset1:4
	ds_store_2addr_stride64_b32 v14, v3, v4 offset0:8 offset1:12
	ds_store_2addr_stride64_b32 v14, v5, v6 offset0:16 offset1:20
	;; [unrolled: 1-line block ×5, first 2 shown]
	ds_store_b32 v14, v13 offset:12288
	s_wait_dscnt 0x0
	s_barrier_signal -1
	s_barrier_wait -1
.LBB1562_4:
	v_mul_u32_u24_e32 v30, 13, v0
	s_load_b128 s[36:39], s[0:1], 0x28
	s_wait_xcnt 0x0
	s_load_b64 s[26:27], s[0:1], 0x38
	v_cndmask_b32_e64 v29, 0, 1, s3
	s_sub_co_i32 s41, s2, s4
	v_lshlrev_b32_e32 v1, 2, v30
	s_and_not1_b32 vcc_lo, exec_lo, s3
	ds_load_b32 v28, v1 offset:48
	ds_load_2addr_b32 v[10:11], v1 offset0:10 offset1:11
	ds_load_2addr_b32 v[12:13], v1 offset0:8 offset1:9
	ds_load_2addr_b32 v[14:15], v1 offset0:6 offset1:7
	ds_load_2addr_b32 v[16:17], v1 offset0:4 offset1:5
	ds_load_2addr_b32 v[20:21], v1 offset1:1
	ds_load_2addr_b32 v[18:19], v1 offset0:2 offset1:3
	s_wait_dscnt 0x0
	s_barrier_signal -1
	s_barrier_wait -1
	s_cbranch_vccnz .LBB1562_32
; %bb.5:
	v_dual_add_nc_u32 v1, s17, v20 :: v_dual_add_nc_u32 v2, s19, v20
	s_mov_b32 s45, 0
	s_mov_b32 s44, 0
	s_mov_b32 s3, exec_lo
	s_delay_alu instid0(VALU_DEP_1) | instskip(SKIP_1) | instid1(VALU_DEP_1)
	v_mul_lo_u32 v1, v1, s16
	v_mul_lo_u32 v2, v2, s18
	v_sub_nc_u32_e32 v1, v1, v2
	s_delay_alu instid0(VALU_DEP_1)
	v_cmp_lt_u32_e32 vcc_lo, s20, v1
	v_cmpx_ge_u32_e64 s20, v1
	s_cbranch_execz .LBB1562_7
; %bb.6:
	v_dual_add_nc_u32 v1, s22, v20 :: v_dual_add_nc_u32 v2, s42, v20
	s_delay_alu instid0(VALU_DEP_1) | instskip(NEXT) | instid1(VALU_DEP_2)
	v_mul_lo_u32 v1, v1, s21
	v_mul_lo_u32 v2, v2, s23
	s_delay_alu instid0(VALU_DEP_1) | instskip(NEXT) | instid1(VALU_DEP_1)
	v_sub_nc_u32_e32 v1, v1, v2
	v_cmp_lt_u32_e64 s2, s43, v1
	s_and_b32 s44, s2, exec_lo
.LBB1562_7:
	s_or_b32 exec_lo, exec_lo, s3
	v_dual_add_nc_u32 v1, s17, v21 :: v_dual_add_nc_u32 v2, s19, v21
	s_mov_b32 s4, exec_lo
	s_delay_alu instid0(VALU_DEP_1) | instskip(NEXT) | instid1(VALU_DEP_2)
	v_mul_lo_u32 v1, v1, s16
	v_mul_lo_u32 v2, v2, s18
	s_delay_alu instid0(VALU_DEP_1) | instskip(NEXT) | instid1(VALU_DEP_1)
	v_sub_nc_u32_e32 v1, v1, v2
	v_cmp_lt_u32_e64 s2, s20, v1
	v_cmpx_ge_u32_e64 s20, v1
	s_cbranch_execz .LBB1562_9
; %bb.8:
	v_dual_add_nc_u32 v1, s22, v21 :: v_dual_add_nc_u32 v2, s42, v21
	s_delay_alu instid0(VALU_DEP_1) | instskip(NEXT) | instid1(VALU_DEP_2)
	v_mul_lo_u32 v1, v1, s21
	v_mul_lo_u32 v2, v2, s23
	s_delay_alu instid0(VALU_DEP_1) | instskip(NEXT) | instid1(VALU_DEP_1)
	v_sub_nc_u32_e32 v1, v1, v2
	v_cmp_lt_u32_e64 s3, s43, v1
	s_and_b32 s45, s3, exec_lo
.LBB1562_9:
	s_or_b32 exec_lo, exec_lo, s4
	v_dual_add_nc_u32 v1, s17, v18 :: v_dual_add_nc_u32 v2, s19, v18
	s_mov_b32 s47, 0
	s_mov_b32 s46, 0
	s_mov_b32 s5, exec_lo
	s_delay_alu instid0(VALU_DEP_1) | instskip(SKIP_1) | instid1(VALU_DEP_1)
	v_mul_lo_u32 v1, v1, s16
	v_mul_lo_u32 v2, v2, s18
	v_sub_nc_u32_e32 v1, v1, v2
	s_delay_alu instid0(VALU_DEP_1)
	v_cmp_lt_u32_e64 s3, s20, v1
	v_cmpx_ge_u32_e64 s20, v1
	s_cbranch_execz .LBB1562_11
; %bb.10:
	v_dual_add_nc_u32 v1, s22, v18 :: v_dual_add_nc_u32 v2, s42, v18
	s_delay_alu instid0(VALU_DEP_1) | instskip(NEXT) | instid1(VALU_DEP_2)
	v_mul_lo_u32 v1, v1, s21
	v_mul_lo_u32 v2, v2, s23
	s_delay_alu instid0(VALU_DEP_1) | instskip(NEXT) | instid1(VALU_DEP_1)
	v_sub_nc_u32_e32 v1, v1, v2
	v_cmp_lt_u32_e64 s4, s43, v1
	s_and_b32 s46, s4, exec_lo
.LBB1562_11:
	s_or_b32 exec_lo, exec_lo, s5
	v_dual_add_nc_u32 v1, s17, v19 :: v_dual_add_nc_u32 v2, s19, v19
	s_mov_b32 s6, exec_lo
	s_delay_alu instid0(VALU_DEP_1) | instskip(NEXT) | instid1(VALU_DEP_2)
	v_mul_lo_u32 v1, v1, s16
	v_mul_lo_u32 v2, v2, s18
	s_delay_alu instid0(VALU_DEP_1) | instskip(NEXT) | instid1(VALU_DEP_1)
	v_sub_nc_u32_e32 v1, v1, v2
	v_cmp_lt_u32_e64 s4, s20, v1
	v_cmpx_ge_u32_e64 s20, v1
	s_cbranch_execz .LBB1562_13
; %bb.12:
	v_dual_add_nc_u32 v1, s22, v19 :: v_dual_add_nc_u32 v2, s42, v19
	s_delay_alu instid0(VALU_DEP_1) | instskip(NEXT) | instid1(VALU_DEP_2)
	v_mul_lo_u32 v1, v1, s21
	v_mul_lo_u32 v2, v2, s23
	s_delay_alu instid0(VALU_DEP_1) | instskip(NEXT) | instid1(VALU_DEP_1)
	v_sub_nc_u32_e32 v1, v1, v2
	v_cmp_lt_u32_e64 s5, s43, v1
	s_and_b32 s47, s5, exec_lo
.LBB1562_13:
	s_or_b32 exec_lo, exec_lo, s6
	v_dual_add_nc_u32 v1, s17, v16 :: v_dual_add_nc_u32 v2, s19, v16
	s_mov_b32 s49, 0
	s_mov_b32 s48, 0
	s_mov_b32 s7, exec_lo
	s_delay_alu instid0(VALU_DEP_1) | instskip(SKIP_1) | instid1(VALU_DEP_1)
	v_mul_lo_u32 v1, v1, s16
	v_mul_lo_u32 v2, v2, s18
	v_sub_nc_u32_e32 v1, v1, v2
	s_delay_alu instid0(VALU_DEP_1)
	v_cmp_lt_u32_e64 s5, s20, v1
	;; [unrolled: 44-line block ×6, first 2 shown]
	v_cmpx_ge_u32_e64 s20, v1
	s_cbranch_execz .LBB1562_31
; %bb.30:
	v_dual_add_nc_u32 v1, s22, v28 :: v_dual_add_nc_u32 v2, s42, v28
	s_delay_alu instid0(VALU_DEP_1) | instskip(NEXT) | instid1(VALU_DEP_2)
	v_mul_lo_u32 v1, v1, s21
	v_mul_lo_u32 v2, v2, s23
	s_delay_alu instid0(VALU_DEP_1) | instskip(NEXT) | instid1(VALU_DEP_1)
	v_sub_nc_u32_e32 v1, v1, v2
	v_cmp_lt_u32_e64 s14, s43, v1
	s_and_b32 s57, s14, exec_lo
.LBB1562_31:
	s_or_b32 exec_lo, exec_lo, s58
	v_cndmask_b32_e64 v2, 0, 1, s2
	v_cndmask_b32_e64 v4, 0, 1, s4
	v_cndmask_b32_e64 v1, 0, 1, vcc_lo
	v_cndmask_b32_e64 v3, 0, 1, s3
	v_cndmask_b32_e64 v6, 0, 1, s6
	v_lshlrev_b16 v2, 8, v2
	v_lshlrev_b16 v4, 8, v4
	v_cndmask_b32_e64 v8, 0, 1, s8
	v_cndmask_b32_e64 v22, 0, 1, s10
	;; [unrolled: 1-line block ×3, first 2 shown]
	v_or_b32_e32 v1, v1, v2
	v_or_b32_e32 v2, v3, v4
	v_cndmask_b32_e64 v4, 0, 1, s46
	v_cndmask_b32_e64 v5, 0, 1, s5
	;; [unrolled: 1-line block ×4, first 2 shown]
	v_lshlrev_b32_e32 v2, 16, v2
	v_and_b32_e32 v1, 0xffff, v1
	v_cndmask_b32_e64 v33, 0, 1, s50
	v_cndmask_b32_e64 v36, 0, 1, s48
	;; [unrolled: 1-line block ×4, first 2 shown]
	v_or_b32_e32 v31, v1, v2
	v_lshlrev_b16 v1, 8, v6
	v_lshlrev_b16 v2, 8, v8
	;; [unrolled: 1-line block ×5, first 2 shown]
	v_cndmask_b32_e64 v7, 0, 1, s7
	v_cndmask_b32_e64 v24, 0, 1, s56
	;; [unrolled: 1-line block ×6, first 2 shown]
	v_lshlrev_b16 v22, 8, v39
	v_or_b32_e32 v4, v37, v4
	v_or_b32_e32 v1, v5, v1
	;; [unrolled: 1-line block ×4, first 2 shown]
	v_lshlrev_b16 v8, 8, v36
	v_lshlrev_b16 v9, 8, v33
	v_cndmask_b32_e64 v26, 0, 1, s54
	v_cndmask_b32_e64 v32, 0, 1, s51
	v_lshlrev_b16 v23, 8, v24
	v_or_b32_e32 v3, v3, v8
	v_or_b32_e32 v8, v35, v9
	;; [unrolled: 1-line block ×4, first 2 shown]
	v_lshlrev_b16 v22, 8, v27
	v_and_b32_e32 v5, 0xffff, v5
	v_lshlrev_b32_e32 v4, 16, v4
	v_and_b32_e32 v1, 0xffff, v1
	v_and_b32_e32 v7, 0xffff, v7
	v_or_b32_e32 v9, v32, v22
	v_or_b32_e32 v22, v26, v23
	v_and_b32_e32 v3, 0xffff, v3
	v_dual_lshlrev_b32 v8, 16, v8 :: v_dual_lshlrev_b32 v2, 16, v2
	s_delay_alu instid0(VALU_DEP_4) | instskip(NEXT) | instid1(VALU_DEP_4)
	v_and_b32_e32 v9, 0xffff, v9
	v_lshlrev_b32_e32 v22, 16, v22
	v_lshlrev_b32_e32 v6, 16, v6
	v_cndmask_b32_e64 v34, 0, 1, s55
	v_cndmask_b32_e64 v38, 0, 1, s57
	v_or_b32_e32 v33, v1, v2
	v_or_b32_e32 v37, v7, v4
	;; [unrolled: 1-line block ×5, first 2 shown]
	s_load_b64 s[4:5], s[0:1], 0x78
	s_and_b32 vcc_lo, exec_lo, s52
	s_add_co_i32 s6, s41, 0xd00
	s_cbranch_vccnz .LBB1562_33
	s_branch .LBB1562_110
.LBB1562_32:
                                        ; implicit-def: $vgpr38
                                        ; implicit-def: $vgpr34
                                        ; implicit-def: $vgpr35
                                        ; implicit-def: $vgpr32
                                        ; implicit-def: $vgpr37
                                        ; implicit-def: $vgpr36
                                        ; implicit-def: $vgpr33
                                        ; implicit-def: $vgpr31
	s_load_b64 s[4:5], s[0:1], 0x78
	s_add_co_i32 s6, s41, 0xd00
	s_cbranch_execz .LBB1562_110
.LBB1562_33:
	v_dual_mov_b32 v2, 0 :: v_dual_mov_b32 v1, 0
	s_wait_xcnt 0x0
	s_mov_b32 s1, exec_lo
	v_cmpx_gt_u32_e64 s6, v30
	s_cbranch_execz .LBB1562_37
; %bb.34:
	v_dual_add_nc_u32 v1, s17, v20 :: v_dual_add_nc_u32 v2, s19, v20
	s_mov_b32 s3, 0
	s_mov_b32 s2, exec_lo
	s_delay_alu instid0(VALU_DEP_1) | instskip(NEXT) | instid1(VALU_DEP_2)
	v_mul_lo_u32 v1, v1, s16
	v_mul_lo_u32 v2, v2, s18
	s_delay_alu instid0(VALU_DEP_1) | instskip(NEXT) | instid1(VALU_DEP_1)
	v_sub_nc_u32_e32 v1, v1, v2
	v_cmp_lt_u32_e32 vcc_lo, s20, v1
	v_cmpx_ge_u32_e64 s20, v1
	s_cbranch_execz .LBB1562_36
; %bb.35:
	v_dual_add_nc_u32 v1, s22, v20 :: v_dual_add_nc_u32 v2, s42, v20
	s_delay_alu instid0(VALU_DEP_1) | instskip(NEXT) | instid1(VALU_DEP_2)
	v_mul_lo_u32 v1, v1, s21
	v_mul_lo_u32 v2, v2, s23
	s_delay_alu instid0(VALU_DEP_1) | instskip(NEXT) | instid1(VALU_DEP_1)
	v_sub_nc_u32_e32 v1, v1, v2
	v_cmp_lt_u32_e64 s0, s43, v1
	s_and_b32 s3, s0, exec_lo
.LBB1562_36:
	s_or_b32 exec_lo, exec_lo, s2
	v_cndmask_b32_e64 v2, 0, 1, s3
	v_cndmask_b32_e64 v1, 0, 1, vcc_lo
.LBB1562_37:
	s_or_b32 exec_lo, exec_lo, s1
	s_delay_alu instid0(VALU_DEP_2) | instskip(SKIP_2) | instid1(VALU_DEP_3)
	v_lshlrev_b16 v2, 8, v2
	v_add_nc_u32_e32 v3, 1, v30
	v_lshlrev_b16 v9, 8, 0
                                        ; implicit-def: $vgpr5
                                        ; implicit-def: $vgpr7
                                        ; implicit-def: $vgpr4
                                        ; implicit-def: $vgpr8
	v_and_b32_e32 v6, 0xffff, v2
	s_delay_alu instid0(VALU_DEP_3) | instskip(NEXT) | instid1(VALU_DEP_2)
	v_cmp_le_u32_e32 vcc_lo, s6, v3
                                        ; implicit-def: $vgpr3
                                        ; implicit-def: $vgpr2
	v_lshrrev_b32_e32 v22, 8, v6
	s_and_saveexec_b32 s0, vcc_lo
	s_delay_alu instid0(SALU_CYCLE_1)
	s_xor_b32 s0, exec_lo, s0
	s_cbranch_execz .LBB1562_39
; %bb.38:
	s_delay_alu instid0(VALU_DEP_1) | instskip(SKIP_3) | instid1(VALU_DEP_4)
	v_lshlrev_b16 v2, 8, v22
	v_bitop3_b16 v3, 0, v9, 0xff bitop3:0xec
	v_and_b32_e32 v8, 0xff, v1
                                        ; implicit-def: $vgpr1
                                        ; implicit-def: $vgpr9
                                        ; implicit-def: $vgpr22
	v_mov_b32_e32 v5, 0
	v_bitop3_b16 v6, v6, v2, 0xff bitop3:0xec
	v_mov_b32_e32 v2, 0
	v_and_b32_e32 v4, 0xffff, v3
	v_and_b32_e32 v3, 0xffff, v3
	s_delay_alu instid0(VALU_DEP_4)
	v_and_b32_e32 v7, 0xffff, v6
                                        ; implicit-def: $vgpr6
.LBB1562_39:
	s_and_not1_saveexec_b32 s1, s0
	s_cbranch_execz .LBB1562_43
; %bb.40:
	v_dual_add_nc_u32 v2, s17, v21 :: v_dual_add_nc_u32 v3, s19, v21
	s_mov_b32 s2, 0
	s_mov_b32 s3, exec_lo
	s_delay_alu instid0(VALU_DEP_1) | instskip(NEXT) | instid1(VALU_DEP_2)
	v_mul_lo_u32 v2, v2, s16
	v_mul_lo_u32 v3, v3, s18
	s_delay_alu instid0(VALU_DEP_1) | instskip(NEXT) | instid1(VALU_DEP_1)
	v_sub_nc_u32_e32 v2, v2, v3
	v_cmp_lt_u32_e32 vcc_lo, s20, v2
	v_cmpx_ge_u32_e64 s20, v2
	s_cbranch_execz .LBB1562_42
; %bb.41:
	v_dual_add_nc_u32 v2, s22, v21 :: v_dual_add_nc_u32 v3, s42, v21
	s_delay_alu instid0(VALU_DEP_1) | instskip(NEXT) | instid1(VALU_DEP_2)
	v_mul_lo_u32 v2, v2, s21
	v_mul_lo_u32 v3, v3, s23
	s_delay_alu instid0(VALU_DEP_1) | instskip(NEXT) | instid1(VALU_DEP_1)
	v_sub_nc_u32_e32 v2, v2, v3
	v_cmp_lt_u32_e64 s0, s43, v2
	s_and_b32 s2, s0, exec_lo
.LBB1562_42:
	s_or_b32 exec_lo, exec_lo, s3
	v_cndmask_b32_e64 v2, 0, 1, vcc_lo
	v_lshlrev_b16 v3, 8, v22
	v_cndmask_b32_e64 v7, 0, 1, s2
	v_mov_b32_e32 v5, 0
	s_delay_alu instid0(VALU_DEP_4) | instskip(NEXT) | instid1(VALU_DEP_4)
	v_lshlrev_b16 v2, 8, v2
	v_bitop3_b16 v3, v6, v3, 0xff bitop3:0xec
	v_bitop3_b16 v6, 0, v9, 0xff bitop3:0xec
	s_delay_alu instid0(VALU_DEP_3) | instskip(NEXT) | instid1(VALU_DEP_3)
	v_bitop3_b16 v1, v1, v2, 0xff bitop3:0xec
	v_and_b32_e32 v3, 0xffff, v3
	v_mov_b32_e32 v2, 0
	s_delay_alu instid0(VALU_DEP_4) | instskip(NEXT) | instid1(VALU_DEP_4)
	v_and_b32_e32 v4, 0xffff, v6
	v_and_b32_e32 v8, 0xffff, v1
	s_delay_alu instid0(VALU_DEP_4)
	v_lshl_or_b32 v7, v7, 16, v3
	v_and_b32_e32 v3, 0xffff, v6
.LBB1562_43:
	s_or_b32 exec_lo, exec_lo, s1
	s_delay_alu instid0(VALU_DEP_3) | instskip(NEXT) | instid1(VALU_DEP_1)
	v_dual_add_nc_u32 v1, 2, v30 :: v_dual_lshrrev_b32 v9, 8, v8
                                        ; implicit-def: $vgpr6
	v_cmp_le_u32_e32 vcc_lo, s6, v1
                                        ; implicit-def: $vgpr1
	s_and_saveexec_b32 s0, vcc_lo
	s_delay_alu instid0(SALU_CYCLE_1)
	s_xor_b32 s0, exec_lo, s0
	s_cbranch_execz .LBB1562_45
; %bb.44:
	v_lshlrev_b16 v1, 8, v9
	v_and_b32_e32 v9, 0xff0000, v7
	v_perm_b32 v4, v4, v4, 0x3060504
	s_delay_alu instid0(VALU_DEP_3) | instskip(NEXT) | instid1(VALU_DEP_1)
	v_bitop3_b16 v1, v8, v1, 0xff bitop3:0xec
	v_and_b32_e32 v1, 0xffff, v1
	s_delay_alu instid0(VALU_DEP_1)
	v_and_or_b32 v6, 0xff000000, v8, v1
	v_perm_b32 v1, v7, v9, 0x3020504
                                        ; implicit-def: $vgpr9
                                        ; implicit-def: $vgpr8
                                        ; implicit-def: $vgpr7
.LBB1562_45:
	s_and_not1_saveexec_b32 s1, s0
	s_cbranch_execz .LBB1562_49
; %bb.46:
	v_dual_add_nc_u32 v1, s17, v18 :: v_dual_add_nc_u32 v6, s19, v18
	s_mov_b32 s2, 0
	s_mov_b32 s3, exec_lo
	s_delay_alu instid0(VALU_DEP_1) | instskip(NEXT) | instid1(VALU_DEP_2)
	v_mul_lo_u32 v1, v1, s16
	v_mul_lo_u32 v6, v6, s18
	s_delay_alu instid0(VALU_DEP_1) | instskip(NEXT) | instid1(VALU_DEP_1)
	v_sub_nc_u32_e32 v1, v1, v6
	v_cmp_lt_u32_e32 vcc_lo, s20, v1
	v_cmpx_ge_u32_e64 s20, v1
	s_cbranch_execz .LBB1562_48
; %bb.47:
	v_dual_add_nc_u32 v1, s22, v18 :: v_dual_add_nc_u32 v6, s42, v18
	s_delay_alu instid0(VALU_DEP_1) | instskip(NEXT) | instid1(VALU_DEP_2)
	v_mul_lo_u32 v1, v1, s21
	v_mul_lo_u32 v6, v6, s23
	s_delay_alu instid0(VALU_DEP_1) | instskip(NEXT) | instid1(VALU_DEP_1)
	v_sub_nc_u32_e32 v1, v1, v6
	v_cmp_lt_u32_e64 s0, s43, v1
	s_and_b32 s2, s0, exec_lo
.LBB1562_48:
	s_or_b32 exec_lo, exec_lo, s3
	v_dual_lshrrev_b32 v1, 24, v8 :: v_dual_lshrrev_b32 v23, 8, v7
	v_cndmask_b32_e64 v6, 0, 1, s2
	v_cndmask_b32_e64 v22, 0, 1, vcc_lo
	v_lshlrev_b16 v9, 8, v9
	s_delay_alu instid0(VALU_DEP_4)
	v_lshlrev_b16 v1, 8, v1
	v_lshrrev_b32_e32 v24, 16, v7
	v_lshlrev_b16 v6, 8, v6
	v_lshlrev_b16 v23, 8, v23
	v_bitop3_b16 v8, v8, v9, 0xff bitop3:0xec
	v_or_b32_e32 v1, v22, v1
	s_delay_alu instid0(VALU_DEP_4) | instskip(NEXT) | instid1(VALU_DEP_4)
	v_bitop3_b16 v6, v24, v6, 0xff bitop3:0xec
	v_bitop3_b16 v7, v7, v23, 0xff bitop3:0xec
	s_delay_alu instid0(VALU_DEP_4) | instskip(NEXT) | instid1(VALU_DEP_3)
	v_and_b32_e32 v8, 0xffff, v8
	v_dual_lshlrev_b32 v1, 16, v1 :: v_dual_lshlrev_b32 v9, 16, v6
	s_delay_alu instid0(VALU_DEP_3) | instskip(NEXT) | instid1(VALU_DEP_2)
	v_and_b32_e32 v7, 0xffff, v7
	v_or_b32_e32 v6, v8, v1
	s_delay_alu instid0(VALU_DEP_2)
	v_or_b32_e32 v1, v7, v9
.LBB1562_49:
	s_or_b32 exec_lo, exec_lo, s1
	v_dual_add_nc_u32 v8, 3, v30 :: v_dual_lshrrev_b32 v9, 24, v5
	v_lshrrev_b32_e32 v7, 16, v5
                                        ; implicit-def: $vgpr31
	s_delay_alu instid0(VALU_DEP_2) | instskip(SKIP_2) | instid1(SALU_CYCLE_1)
	v_cmp_le_u32_e32 vcc_lo, s6, v8
	v_lshrrev_b32_e32 v8, 8, v5
                                        ; implicit-def: $vgpr5
	s_and_saveexec_b32 s0, vcc_lo
	s_xor_b32 s0, exec_lo, s0
	s_cbranch_execz .LBB1562_51
; %bb.50:
	v_lshlrev_b16 v5, 8, v9
	v_lshlrev_b16 v8, 8, v8
	v_perm_b32 v4, v4, v4, 0x3060504
	v_perm_b32 v3, v3, v3, 0x3060504
                                        ; implicit-def: $vgpr9
	s_delay_alu instid0(VALU_DEP_4) | instskip(SKIP_2) | instid1(VALU_DEP_3)
	v_bitop3_b16 v5, v7, v5, 0xff bitop3:0xec
	v_and_b32_e32 v7, 0xff0000, v6
	v_and_b32_e32 v8, 0xffff, v8
	v_lshlrev_b32_e32 v5, 16, v5
	s_delay_alu instid0(VALU_DEP_3) | instskip(NEXT) | instid1(VALU_DEP_2)
	v_perm_b32 v31, v6, v7, 0x3020504
                                        ; implicit-def: $vgpr6
                                        ; implicit-def: $vgpr7
	v_or_b32_e32 v5, v8, v5
                                        ; implicit-def: $vgpr8
.LBB1562_51:
	s_and_not1_saveexec_b32 s1, s0
	s_cbranch_execz .LBB1562_55
; %bb.52:
	v_dual_add_nc_u32 v5, s17, v19 :: v_dual_add_nc_u32 v22, s19, v19
	s_mov_b32 s2, 0
	s_mov_b32 s3, exec_lo
	s_delay_alu instid0(VALU_DEP_1) | instskip(NEXT) | instid1(VALU_DEP_2)
	v_mul_lo_u32 v5, v5, s16
	v_mul_lo_u32 v22, v22, s18
	s_delay_alu instid0(VALU_DEP_1) | instskip(NEXT) | instid1(VALU_DEP_1)
	v_sub_nc_u32_e32 v5, v5, v22
	v_cmp_lt_u32_e32 vcc_lo, s20, v5
	v_cmpx_ge_u32_e64 s20, v5
	s_cbranch_execz .LBB1562_54
; %bb.53:
	v_dual_add_nc_u32 v5, s22, v19 :: v_dual_add_nc_u32 v22, s42, v19
	s_delay_alu instid0(VALU_DEP_1) | instskip(NEXT) | instid1(VALU_DEP_2)
	v_mul_lo_u32 v5, v5, s21
	v_mul_lo_u32 v22, v22, s23
	s_delay_alu instid0(VALU_DEP_1) | instskip(NEXT) | instid1(VALU_DEP_1)
	v_sub_nc_u32_e32 v5, v5, v22
	v_cmp_lt_u32_e64 s0, s43, v5
	s_and_b32 s2, s0, exec_lo
.LBB1562_54:
	s_or_b32 exec_lo, exec_lo, s3
	v_cndmask_b32_e64 v5, 0, 1, vcc_lo
	v_dual_lshrrev_b32 v22, 8, v6 :: v_dual_lshrrev_b32 v24, 16, v6
	v_cndmask_b32_e64 v23, 0, 1, s2
	v_lshlrev_b16 v9, 8, v9
	s_delay_alu instid0(VALU_DEP_4) | instskip(NEXT) | instid1(VALU_DEP_4)
	v_lshlrev_b16 v5, 8, v5
	v_lshlrev_b16 v22, 8, v22
	;; [unrolled: 1-line block ×3, first 2 shown]
	s_delay_alu instid0(VALU_DEP_4) | instskip(NEXT) | instid1(VALU_DEP_4)
	v_bitop3_b16 v7, v7, v9, 0xff bitop3:0xec
	v_bitop3_b16 v5, v24, v5, 0xff bitop3:0xec
	s_delay_alu instid0(VALU_DEP_4) | instskip(NEXT) | instid1(VALU_DEP_3)
	v_bitop3_b16 v6, v6, v22, 0xff bitop3:0xec
	v_dual_lshlrev_b32 v7, 16, v7 :: v_dual_bitop2_b32 v8, v23, v8 bitop3:0x54
	s_delay_alu instid0(VALU_DEP_3) | instskip(NEXT) | instid1(VALU_DEP_3)
	v_lshlrev_b32_e32 v5, 16, v5
	v_and_b32_e32 v6, 0xffff, v6
	s_delay_alu instid0(VALU_DEP_3) | instskip(NEXT) | instid1(VALU_DEP_2)
	v_and_b32_e32 v8, 0xffff, v8
	v_or_b32_e32 v31, v6, v5
	s_delay_alu instid0(VALU_DEP_2)
	v_or_b32_e32 v5, v8, v7
.LBB1562_55:
	s_or_b32 exec_lo, exec_lo, s1
	v_dual_add_nc_u32 v6, 4, v30 :: v_dual_lshrrev_b32 v22, 8, v4
	v_dual_lshrrev_b32 v7, 16, v4 :: v_dual_lshrrev_b32 v23, 24, v4
	s_delay_alu instid0(VALU_DEP_3) | instskip(NEXT) | instid1(VALU_DEP_3)
	v_dual_lshrrev_b32 v9, 24, v5 :: v_dual_lshrrev_b32 v8, 16, v5
	v_cmp_le_u32_e32 vcc_lo, s6, v6
                                        ; implicit-def: $vgpr4
                                        ; implicit-def: $vgpr6
	s_and_saveexec_b32 s0, vcc_lo
	s_delay_alu instid0(SALU_CYCLE_1)
	s_xor_b32 s0, exec_lo, s0
	s_cbranch_execz .LBB1562_57
; %bb.56:
	v_lshlrev_b16 v4, 8, v23
	v_lshlrev_b16 v6, 8, v22
	;; [unrolled: 1-line block ×3, first 2 shown]
	v_perm_b32 v3, v3, v3, 0x3060504
                                        ; implicit-def: $vgpr22
                                        ; implicit-def: $vgpr23
	s_delay_alu instid0(VALU_DEP_4) | instskip(NEXT) | instid1(VALU_DEP_4)
	v_bitop3_b16 v4, v7, v4, 0xff bitop3:0xec
	v_and_b32_e32 v6, 0xffff, v6
	s_delay_alu instid0(VALU_DEP_4) | instskip(NEXT) | instid1(VALU_DEP_3)
	v_bitop3_b16 v7, v8, v9, 0xff bitop3:0xec
                                        ; implicit-def: $vgpr9
	v_lshlrev_b32_e32 v8, 16, v4
	s_delay_alu instid0(VALU_DEP_2) | instskip(NEXT) | instid1(VALU_DEP_2)
	v_perm_b32 v4, v7, v5, 0x5040c00
                                        ; implicit-def: $vgpr5
                                        ; implicit-def: $vgpr7
	v_or_b32_e32 v6, v6, v8
                                        ; implicit-def: $vgpr8
.LBB1562_57:
	s_and_not1_saveexec_b32 s1, s0
	s_cbranch_execz .LBB1562_61
; %bb.58:
	v_dual_add_nc_u32 v4, s17, v16 :: v_dual_add_nc_u32 v6, s19, v16
	s_mov_b32 s2, 0
	s_mov_b32 s3, exec_lo
	s_delay_alu instid0(VALU_DEP_1) | instskip(NEXT) | instid1(VALU_DEP_2)
	v_mul_lo_u32 v4, v4, s16
	v_mul_lo_u32 v6, v6, s18
	s_delay_alu instid0(VALU_DEP_1) | instskip(NEXT) | instid1(VALU_DEP_1)
	v_sub_nc_u32_e32 v4, v4, v6
	v_cmp_lt_u32_e32 vcc_lo, s20, v4
	v_cmpx_ge_u32_e64 s20, v4
	s_cbranch_execz .LBB1562_60
; %bb.59:
	v_dual_add_nc_u32 v4, s22, v16 :: v_dual_add_nc_u32 v6, s42, v16
	s_delay_alu instid0(VALU_DEP_1) | instskip(NEXT) | instid1(VALU_DEP_2)
	v_mul_lo_u32 v4, v4, s21
	v_mul_lo_u32 v6, v6, s23
	s_delay_alu instid0(VALU_DEP_1) | instskip(NEXT) | instid1(VALU_DEP_1)
	v_sub_nc_u32_e32 v4, v4, v6
	v_cmp_lt_u32_e64 s0, s43, v4
	s_and_b32 s2, s0, exec_lo
.LBB1562_60:
	s_or_b32 exec_lo, exec_lo, s3
	v_cndmask_b32_e64 v4, 0, 1, s2
	v_cndmask_b32_e64 v6, 0, 1, vcc_lo
	v_lshlrev_b16 v23, 8, v23
	v_lshlrev_b16 v22, 8, v22
	;; [unrolled: 1-line block ×4, first 2 shown]
	s_delay_alu instid0(VALU_DEP_4) | instskip(NEXT) | instid1(VALU_DEP_4)
	v_bitop3_b16 v7, v7, v23, 0xff bitop3:0xec
	v_or_b32_e32 v6, v6, v22
	s_delay_alu instid0(VALU_DEP_4) | instskip(NEXT) | instid1(VALU_DEP_4)
	v_bitop3_b16 v8, v8, v9, 0xff bitop3:0xec
	v_bitop3_b16 v4, v5, v4, 0xff bitop3:0xec
	s_delay_alu instid0(VALU_DEP_4) | instskip(NEXT) | instid1(VALU_DEP_4)
	v_lshlrev_b32_e32 v5, 16, v7
	v_and_b32_e32 v6, 0xffff, v6
	s_delay_alu instid0(VALU_DEP_4) | instskip(NEXT) | instid1(VALU_DEP_4)
	v_lshlrev_b32_e32 v7, 16, v8
	v_and_b32_e32 v4, 0xffff, v4
	s_delay_alu instid0(VALU_DEP_3) | instskip(NEXT) | instid1(VALU_DEP_2)
	v_or_b32_e32 v6, v6, v5
	v_or_b32_e32 v4, v4, v7
.LBB1562_61:
	s_or_b32 exec_lo, exec_lo, s1
	s_delay_alu instid0(VALU_DEP_1) | instskip(NEXT) | instid1(VALU_DEP_2)
	v_dual_add_nc_u32 v5, 5, v30 :: v_dual_lshrrev_b32 v22, 8, v4
	v_dual_lshrrev_b32 v8, 16, v6 :: v_dual_lshrrev_b32 v9, 24, v6
                                        ; implicit-def: $vgpr7
	s_delay_alu instid0(VALU_DEP_2) | instskip(SKIP_1) | instid1(SALU_CYCLE_1)
	v_cmp_le_u32_e32 vcc_lo, s6, v5
                                        ; implicit-def: $vgpr5
	s_and_saveexec_b32 s0, vcc_lo
	s_xor_b32 s0, exec_lo, s0
	s_cbranch_execz .LBB1562_63
; %bb.62:
	v_lshlrev_b16 v5, 8, v22
	v_lshlrev_b16 v7, 8, v9
	v_perm_b32 v3, v3, v3, 0x3060504
                                        ; implicit-def: $vgpr9
                                        ; implicit-def: $vgpr22
	s_delay_alu instid0(VALU_DEP_3) | instskip(NEXT) | instid1(VALU_DEP_3)
	v_bitop3_b16 v5, v4, v5, 0xff bitop3:0xec
	v_bitop3_b16 v7, v8, v7, 0xff bitop3:0xec
                                        ; implicit-def: $vgpr8
	s_delay_alu instid0(VALU_DEP_2) | instskip(NEXT) | instid1(VALU_DEP_2)
	v_and_b32_e32 v5, 0xffff, v5
	v_perm_b32 v7, v7, v6, 0x5040c00
                                        ; implicit-def: $vgpr6
	s_delay_alu instid0(VALU_DEP_2)
	v_and_or_b32 v5, 0xff000000, v4, v5
                                        ; implicit-def: $vgpr4
.LBB1562_63:
	s_and_not1_saveexec_b32 s1, s0
	s_cbranch_execz .LBB1562_67
; %bb.64:
	v_dual_add_nc_u32 v5, s17, v17 :: v_dual_add_nc_u32 v7, s19, v17
	s_mov_b32 s2, 0
	s_mov_b32 s3, exec_lo
	s_delay_alu instid0(VALU_DEP_1) | instskip(NEXT) | instid1(VALU_DEP_2)
	v_mul_lo_u32 v5, v5, s16
	v_mul_lo_u32 v7, v7, s18
	s_delay_alu instid0(VALU_DEP_1) | instskip(NEXT) | instid1(VALU_DEP_1)
	v_sub_nc_u32_e32 v5, v5, v7
	v_cmp_lt_u32_e32 vcc_lo, s20, v5
	v_cmpx_ge_u32_e64 s20, v5
	s_cbranch_execz .LBB1562_66
; %bb.65:
	v_dual_add_nc_u32 v5, s22, v17 :: v_dual_add_nc_u32 v7, s42, v17
	s_delay_alu instid0(VALU_DEP_1) | instskip(NEXT) | instid1(VALU_DEP_2)
	v_mul_lo_u32 v5, v5, s21
	v_mul_lo_u32 v7, v7, s23
	s_delay_alu instid0(VALU_DEP_1) | instskip(NEXT) | instid1(VALU_DEP_1)
	v_sub_nc_u32_e32 v5, v5, v7
	v_cmp_lt_u32_e64 s0, s43, v5
	s_and_b32 s2, s0, exec_lo
.LBB1562_66:
	s_or_b32 exec_lo, exec_lo, s3
	v_cndmask_b32_e64 v5, 0, 1, vcc_lo
	v_lshrrev_b32_e32 v7, 24, v4
	v_cndmask_b32_e64 v23, 0, 1, s2
	v_lshlrev_b16 v9, 8, v9
	v_lshlrev_b16 v22, 8, v22
	;; [unrolled: 1-line block ×4, first 2 shown]
	s_delay_alu instid0(VALU_DEP_4) | instskip(NEXT) | instid1(VALU_DEP_4)
	v_bitop3_b16 v8, v8, v9, 0xff bitop3:0xec
	v_bitop3_b16 v4, v4, v22, 0xff bitop3:0xec
	s_delay_alu instid0(VALU_DEP_4) | instskip(NEXT) | instid1(VALU_DEP_3)
	v_bitop3_b16 v5, v6, v5, 0xff bitop3:0xec
	v_dual_lshlrev_b32 v7, 16, v8 :: v_dual_bitop2_b32 v6, v23, v7 bitop3:0x54
	s_delay_alu instid0(VALU_DEP_3) | instskip(NEXT) | instid1(VALU_DEP_3)
	v_and_b32_e32 v4, 0xffff, v4
	v_and_b32_e32 v5, 0xffff, v5
	s_delay_alu instid0(VALU_DEP_1) | instskip(NEXT) | instid1(VALU_DEP_1)
	v_dual_lshlrev_b32 v6, 16, v6 :: v_dual_bitop2_b32 v7, v5, v7 bitop3:0x54
	v_or_b32_e32 v5, v4, v6
.LBB1562_67:
	s_or_b32 exec_lo, exec_lo, s1
	s_delay_alu instid0(VALU_DEP_2) | instskip(NEXT) | instid1(VALU_DEP_1)
	v_dual_add_nc_u32 v4, 6, v30 :: v_dual_lshrrev_b32 v6, 8, v7
                                        ; implicit-def: $vgpr32
	v_cmp_le_u32_e32 vcc_lo, s6, v4
                                        ; implicit-def: $vgpr4
	s_and_saveexec_b32 s0, vcc_lo
	s_delay_alu instid0(SALU_CYCLE_1)
	s_xor_b32 s0, exec_lo, s0
	s_cbranch_execz .LBB1562_69
; %bb.68:
	v_lshlrev_b16 v4, 8, v6
	v_and_b32_e32 v6, 0xff0000, v5
	v_perm_b32 v3, v3, v3, 0x3060504
	s_delay_alu instid0(VALU_DEP_3) | instskip(NEXT) | instid1(VALU_DEP_3)
	v_bitop3_b16 v4, v7, v4, 0xff bitop3:0xec
	v_perm_b32 v32, v5, v6, 0x3020504
                                        ; implicit-def: $vgpr6
                                        ; implicit-def: $vgpr5
	s_delay_alu instid0(VALU_DEP_2) | instskip(NEXT) | instid1(VALU_DEP_1)
	v_and_b32_e32 v4, 0xffff, v4
	v_and_or_b32 v4, 0xff000000, v7, v4
                                        ; implicit-def: $vgpr7
.LBB1562_69:
	s_and_not1_saveexec_b32 s1, s0
	s_cbranch_execz .LBB1562_73
; %bb.70:
	v_dual_add_nc_u32 v4, s17, v14 :: v_dual_add_nc_u32 v8, s19, v14
	s_mov_b32 s2, 0
	s_mov_b32 s3, exec_lo
	s_delay_alu instid0(VALU_DEP_1) | instskip(NEXT) | instid1(VALU_DEP_2)
	v_mul_lo_u32 v4, v4, s16
	v_mul_lo_u32 v8, v8, s18
	s_delay_alu instid0(VALU_DEP_1) | instskip(NEXT) | instid1(VALU_DEP_1)
	v_sub_nc_u32_e32 v4, v4, v8
	v_cmp_lt_u32_e32 vcc_lo, s20, v4
	v_cmpx_ge_u32_e64 s20, v4
	s_cbranch_execz .LBB1562_72
; %bb.71:
	v_dual_add_nc_u32 v4, s22, v14 :: v_dual_add_nc_u32 v8, s42, v14
	s_delay_alu instid0(VALU_DEP_1) | instskip(NEXT) | instid1(VALU_DEP_2)
	v_mul_lo_u32 v4, v4, s21
	v_mul_lo_u32 v8, v8, s23
	s_delay_alu instid0(VALU_DEP_1) | instskip(NEXT) | instid1(VALU_DEP_1)
	v_sub_nc_u32_e32 v4, v4, v8
	v_cmp_lt_u32_e64 s0, s43, v4
	s_and_b32 s2, s0, exec_lo
.LBB1562_72:
	s_or_b32 exec_lo, exec_lo, s3
	v_dual_lshrrev_b32 v4, 24, v7 :: v_dual_lshrrev_b32 v22, 8, v5
	v_cndmask_b32_e64 v8, 0, 1, s2
	v_cndmask_b32_e64 v9, 0, 1, vcc_lo
	v_lshlrev_b16 v6, 8, v6
	s_delay_alu instid0(VALU_DEP_4)
	v_lshlrev_b16 v4, 8, v4
	v_lshrrev_b32_e32 v23, 16, v5
	v_lshlrev_b16 v8, 8, v8
	v_lshlrev_b16 v22, 8, v22
	v_bitop3_b16 v6, v7, v6, 0xff bitop3:0xec
	v_or_b32_e32 v4, v9, v4
	s_delay_alu instid0(VALU_DEP_4) | instskip(NEXT) | instid1(VALU_DEP_4)
	v_bitop3_b16 v7, v23, v8, 0xff bitop3:0xec
	v_bitop3_b16 v5, v5, v22, 0xff bitop3:0xec
	s_delay_alu instid0(VALU_DEP_4) | instskip(NEXT) | instid1(VALU_DEP_3)
	v_and_b32_e32 v6, 0xffff, v6
	v_dual_lshlrev_b32 v4, 16, v4 :: v_dual_lshlrev_b32 v7, 16, v7
	s_delay_alu instid0(VALU_DEP_3) | instskip(NEXT) | instid1(VALU_DEP_2)
	v_and_b32_e32 v5, 0xffff, v5
	v_or_b32_e32 v4, v6, v4
	s_delay_alu instid0(VALU_DEP_2)
	v_or_b32_e32 v32, v5, v7
.LBB1562_73:
	s_or_b32 exec_lo, exec_lo, s1
	v_dual_add_nc_u32 v7, 7, v30 :: v_dual_lshrrev_b32 v5, 8, v3
	v_lshrrev_b32_e32 v6, 16, v3
                                        ; implicit-def: $vgpr33
	s_delay_alu instid0(VALU_DEP_2) | instskip(SKIP_2) | instid1(SALU_CYCLE_1)
	v_cmp_le_u32_e32 vcc_lo, s6, v7
	v_lshrrev_b32_e32 v7, 24, v3
                                        ; implicit-def: $vgpr3
	s_and_saveexec_b32 s0, vcc_lo
	s_xor_b32 s0, exec_lo, s0
	s_cbranch_execz .LBB1562_75
; %bb.74:
	s_delay_alu instid0(VALU_DEP_1) | instskip(SKIP_1) | instid1(VALU_DEP_2)
	v_lshlrev_b16 v3, 8, v7
	v_lshlrev_b16 v5, 8, v5
                                        ; implicit-def: $vgpr7
	v_bitop3_b16 v3, v6, v3, 0xff bitop3:0xec
	v_and_b32_e32 v6, 0xff0000, v4
	s_delay_alu instid0(VALU_DEP_3) | instskip(NEXT) | instid1(VALU_DEP_3)
	v_and_b32_e32 v5, 0xffff, v5
	v_lshlrev_b32_e32 v3, 16, v3
	s_delay_alu instid0(VALU_DEP_3) | instskip(NEXT) | instid1(VALU_DEP_2)
	v_perm_b32 v33, v4, v6, 0x3020504
                                        ; implicit-def: $vgpr4
                                        ; implicit-def: $vgpr6
	v_or_b32_e32 v3, v5, v3
                                        ; implicit-def: $vgpr5
.LBB1562_75:
	s_and_not1_saveexec_b32 s1, s0
	s_cbranch_execz .LBB1562_79
; %bb.76:
	v_dual_add_nc_u32 v3, s17, v15 :: v_dual_add_nc_u32 v8, s19, v15
	s_mov_b32 s2, 0
	s_mov_b32 s3, exec_lo
	s_delay_alu instid0(VALU_DEP_1) | instskip(NEXT) | instid1(VALU_DEP_2)
	v_mul_lo_u32 v3, v3, s16
	v_mul_lo_u32 v8, v8, s18
	s_delay_alu instid0(VALU_DEP_1) | instskip(NEXT) | instid1(VALU_DEP_1)
	v_sub_nc_u32_e32 v3, v3, v8
	v_cmp_lt_u32_e32 vcc_lo, s20, v3
	v_cmpx_ge_u32_e64 s20, v3
	s_cbranch_execz .LBB1562_78
; %bb.77:
	v_dual_add_nc_u32 v3, s22, v15 :: v_dual_add_nc_u32 v8, s42, v15
	s_delay_alu instid0(VALU_DEP_1) | instskip(NEXT) | instid1(VALU_DEP_2)
	v_mul_lo_u32 v3, v3, s21
	v_mul_lo_u32 v8, v8, s23
	s_delay_alu instid0(VALU_DEP_1) | instskip(NEXT) | instid1(VALU_DEP_1)
	v_sub_nc_u32_e32 v3, v3, v8
	v_cmp_lt_u32_e64 s0, s43, v3
	s_and_b32 s2, s0, exec_lo
.LBB1562_78:
	s_or_b32 exec_lo, exec_lo, s3
	v_cndmask_b32_e64 v3, 0, 1, vcc_lo
	v_dual_lshrrev_b32 v8, 8, v4 :: v_dual_lshrrev_b32 v22, 16, v4
	v_cndmask_b32_e64 v9, 0, 1, s2
	v_lshlrev_b16 v7, 8, v7
	s_delay_alu instid0(VALU_DEP_4) | instskip(NEXT) | instid1(VALU_DEP_4)
	v_lshlrev_b16 v3, 8, v3
	v_lshlrev_b16 v8, 8, v8
	v_lshlrev_b16 v5, 8, v5
	s_delay_alu instid0(VALU_DEP_4) | instskip(NEXT) | instid1(VALU_DEP_4)
	v_bitop3_b16 v6, v6, v7, 0xff bitop3:0xec
	v_bitop3_b16 v3, v22, v3, 0xff bitop3:0xec
	s_delay_alu instid0(VALU_DEP_4) | instskip(NEXT) | instid1(VALU_DEP_3)
	v_bitop3_b16 v4, v4, v8, 0xff bitop3:0xec
	v_dual_lshlrev_b32 v6, 16, v6 :: v_dual_bitop2_b32 v5, v9, v5 bitop3:0x54
	s_delay_alu instid0(VALU_DEP_3) | instskip(NEXT) | instid1(VALU_DEP_3)
	v_lshlrev_b32_e32 v3, 16, v3
	v_and_b32_e32 v4, 0xffff, v4
	s_delay_alu instid0(VALU_DEP_3) | instskip(NEXT) | instid1(VALU_DEP_2)
	v_and_b32_e32 v5, 0xffff, v5
	v_or_b32_e32 v33, v4, v3
	s_delay_alu instid0(VALU_DEP_2)
	v_or_b32_e32 v3, v5, v6
.LBB1562_79:
	s_or_b32 exec_lo, exec_lo, s1
	s_delay_alu instid0(VALU_DEP_1) | instskip(SKIP_2) | instid1(VALU_DEP_3)
	v_dual_add_nc_u32 v4, 8, v30 :: v_dual_lshrrev_b32 v5, 16, v3
	v_dual_lshrrev_b32 v6, 24, v3 :: v_dual_lshrrev_b32 v9, 24, v2
	v_dual_lshrrev_b32 v7, 16, v2 :: v_dual_lshrrev_b32 v8, 8, v2
	v_cmp_le_u32_e32 vcc_lo, s6, v4
                                        ; implicit-def: $vgpr2
                                        ; implicit-def: $vgpr4
	s_and_saveexec_b32 s0, vcc_lo
	s_delay_alu instid0(SALU_CYCLE_1)
	s_xor_b32 s0, exec_lo, s0
	s_cbranch_execz .LBB1562_81
; %bb.80:
	v_lshlrev_b16 v2, 8, v9
	v_lshlrev_b16 v4, 8, v8
	;; [unrolled: 1-line block ×3, first 2 shown]
	v_perm_b32 v1, v1, v1, 0x3060504
                                        ; implicit-def: $vgpr9
                                        ; implicit-def: $vgpr8
	s_delay_alu instid0(VALU_DEP_4) | instskip(NEXT) | instid1(VALU_DEP_4)
	v_bitop3_b16 v2, v7, v2, 0xff bitop3:0xec
	v_and_b32_e32 v4, 0xffff, v4
	s_delay_alu instid0(VALU_DEP_4) | instskip(NEXT) | instid1(VALU_DEP_3)
	v_bitop3_b16 v5, v5, v6, 0xff bitop3:0xec
                                        ; implicit-def: $vgpr6
                                        ; implicit-def: $vgpr7
	v_lshlrev_b32_e32 v2, 16, v2
	s_delay_alu instid0(VALU_DEP_1) | instskip(NEXT) | instid1(VALU_DEP_3)
	v_or_b32_e32 v4, v4, v2
	v_perm_b32 v2, v5, v3, 0x5040c00
                                        ; implicit-def: $vgpr3
                                        ; implicit-def: $vgpr5
.LBB1562_81:
	s_and_not1_saveexec_b32 s1, s0
	s_cbranch_execz .LBB1562_85
; %bb.82:
	v_dual_add_nc_u32 v2, s17, v12 :: v_dual_add_nc_u32 v4, s19, v12
	s_mov_b32 s2, 0
	s_mov_b32 s3, exec_lo
	s_delay_alu instid0(VALU_DEP_1) | instskip(NEXT) | instid1(VALU_DEP_2)
	v_mul_lo_u32 v2, v2, s16
	v_mul_lo_u32 v4, v4, s18
	s_delay_alu instid0(VALU_DEP_1) | instskip(NEXT) | instid1(VALU_DEP_1)
	v_sub_nc_u32_e32 v2, v2, v4
	v_cmp_lt_u32_e32 vcc_lo, s20, v2
	v_cmpx_ge_u32_e64 s20, v2
	s_cbranch_execz .LBB1562_84
; %bb.83:
	v_dual_add_nc_u32 v2, s22, v12 :: v_dual_add_nc_u32 v4, s42, v12
	s_delay_alu instid0(VALU_DEP_1) | instskip(NEXT) | instid1(VALU_DEP_2)
	v_mul_lo_u32 v2, v2, s21
	v_mul_lo_u32 v4, v4, s23
	s_delay_alu instid0(VALU_DEP_1) | instskip(NEXT) | instid1(VALU_DEP_1)
	v_sub_nc_u32_e32 v2, v2, v4
	v_cmp_lt_u32_e64 s0, s43, v2
	s_and_b32 s2, s0, exec_lo
.LBB1562_84:
	s_or_b32 exec_lo, exec_lo, s3
	v_cndmask_b32_e64 v2, 0, 1, s2
	v_cndmask_b32_e64 v4, 0, 1, vcc_lo
	v_lshlrev_b16 v9, 8, v9
	v_lshlrev_b16 v8, 8, v8
	;; [unrolled: 1-line block ×4, first 2 shown]
	s_delay_alu instid0(VALU_DEP_4) | instskip(NEXT) | instid1(VALU_DEP_4)
	v_bitop3_b16 v7, v7, v9, 0xff bitop3:0xec
	v_or_b32_e32 v4, v4, v8
	s_delay_alu instid0(VALU_DEP_4) | instskip(NEXT) | instid1(VALU_DEP_4)
	v_bitop3_b16 v5, v5, v6, 0xff bitop3:0xec
	v_bitop3_b16 v2, v3, v2, 0xff bitop3:0xec
	s_delay_alu instid0(VALU_DEP_4) | instskip(NEXT) | instid1(VALU_DEP_4)
	v_lshlrev_b32_e32 v3, 16, v7
	v_and_b32_e32 v4, 0xffff, v4
	s_delay_alu instid0(VALU_DEP_4) | instskip(NEXT) | instid1(VALU_DEP_4)
	v_lshlrev_b32_e32 v5, 16, v5
	v_and_b32_e32 v2, 0xffff, v2
	s_delay_alu instid0(VALU_DEP_3) | instskip(NEXT) | instid1(VALU_DEP_2)
	v_or_b32_e32 v4, v4, v3
	v_or_b32_e32 v2, v2, v5
.LBB1562_85:
	s_or_b32 exec_lo, exec_lo, s1
	s_delay_alu instid0(VALU_DEP_2) | instskip(NEXT) | instid1(VALU_DEP_2)
	v_dual_add_nc_u32 v3, 9, v30 :: v_dual_lshrrev_b32 v8, 24, v4
	v_dual_lshrrev_b32 v7, 8, v2 :: v_dual_lshrrev_b32 v6, 16, v4
                                        ; implicit-def: $vgpr5
	s_delay_alu instid0(VALU_DEP_2) | instskip(SKIP_1) | instid1(SALU_CYCLE_1)
	v_cmp_le_u32_e32 vcc_lo, s6, v3
                                        ; implicit-def: $vgpr3
	s_and_saveexec_b32 s0, vcc_lo
	s_xor_b32 s0, exec_lo, s0
	s_cbranch_execz .LBB1562_87
; %bb.86:
	v_lshlrev_b16 v3, 8, v7
	v_lshlrev_b16 v5, 8, v8
	v_perm_b32 v1, v1, v1, 0x3060504
                                        ; implicit-def: $vgpr7
                                        ; implicit-def: $vgpr8
	s_delay_alu instid0(VALU_DEP_3) | instskip(NEXT) | instid1(VALU_DEP_3)
	v_bitop3_b16 v3, v2, v3, 0xff bitop3:0xec
	v_bitop3_b16 v5, v6, v5, 0xff bitop3:0xec
                                        ; implicit-def: $vgpr6
	s_delay_alu instid0(VALU_DEP_2) | instskip(NEXT) | instid1(VALU_DEP_2)
	v_and_b32_e32 v3, 0xffff, v3
	v_perm_b32 v5, v5, v4, 0x5040c00
                                        ; implicit-def: $vgpr4
	s_delay_alu instid0(VALU_DEP_2)
	v_and_or_b32 v3, 0xff000000, v2, v3
                                        ; implicit-def: $vgpr2
.LBB1562_87:
	s_and_not1_saveexec_b32 s1, s0
	s_cbranch_execz .LBB1562_91
; %bb.88:
	v_dual_add_nc_u32 v3, s17, v13 :: v_dual_add_nc_u32 v5, s19, v13
	s_mov_b32 s2, 0
	s_mov_b32 s3, exec_lo
	s_delay_alu instid0(VALU_DEP_1) | instskip(NEXT) | instid1(VALU_DEP_2)
	v_mul_lo_u32 v3, v3, s16
	v_mul_lo_u32 v5, v5, s18
	s_delay_alu instid0(VALU_DEP_1) | instskip(NEXT) | instid1(VALU_DEP_1)
	v_sub_nc_u32_e32 v3, v3, v5
	v_cmp_lt_u32_e32 vcc_lo, s20, v3
	v_cmpx_ge_u32_e64 s20, v3
	s_cbranch_execz .LBB1562_90
; %bb.89:
	v_dual_add_nc_u32 v3, s22, v13 :: v_dual_add_nc_u32 v5, s42, v13
	s_delay_alu instid0(VALU_DEP_1) | instskip(NEXT) | instid1(VALU_DEP_2)
	v_mul_lo_u32 v3, v3, s21
	v_mul_lo_u32 v5, v5, s23
	s_delay_alu instid0(VALU_DEP_1) | instskip(NEXT) | instid1(VALU_DEP_1)
	v_sub_nc_u32_e32 v3, v3, v5
	v_cmp_lt_u32_e64 s0, s43, v3
	s_and_b32 s2, s0, exec_lo
.LBB1562_90:
	s_or_b32 exec_lo, exec_lo, s3
	v_cndmask_b32_e64 v3, 0, 1, vcc_lo
	v_lshrrev_b32_e32 v5, 24, v2
	v_cndmask_b32_e64 v9, 0, 1, s2
	v_lshlrev_b16 v8, 8, v8
	v_lshlrev_b16 v7, 8, v7
	;; [unrolled: 1-line block ×4, first 2 shown]
	s_delay_alu instid0(VALU_DEP_4) | instskip(NEXT) | instid1(VALU_DEP_4)
	v_bitop3_b16 v6, v6, v8, 0xff bitop3:0xec
	v_bitop3_b16 v2, v2, v7, 0xff bitop3:0xec
	s_delay_alu instid0(VALU_DEP_4) | instskip(NEXT) | instid1(VALU_DEP_3)
	v_bitop3_b16 v3, v4, v3, 0xff bitop3:0xec
	v_dual_lshlrev_b32 v5, 16, v6 :: v_dual_bitop2_b32 v4, v9, v5 bitop3:0x54
	s_delay_alu instid0(VALU_DEP_3) | instskip(NEXT) | instid1(VALU_DEP_3)
	v_and_b32_e32 v2, 0xffff, v2
	v_and_b32_e32 v3, 0xffff, v3
	s_delay_alu instid0(VALU_DEP_1) | instskip(NEXT) | instid1(VALU_DEP_1)
	v_dual_lshlrev_b32 v4, 16, v4 :: v_dual_bitop2_b32 v5, v3, v5 bitop3:0x54
	v_or_b32_e32 v3, v2, v4
.LBB1562_91:
	s_or_b32 exec_lo, exec_lo, s1
	s_delay_alu instid0(VALU_DEP_2) | instskip(NEXT) | instid1(VALU_DEP_1)
	v_dual_add_nc_u32 v2, 10, v30 :: v_dual_lshrrev_b32 v4, 8, v5
                                        ; implicit-def: $vgpr35
	v_cmp_le_u32_e32 vcc_lo, s6, v2
                                        ; implicit-def: $vgpr2
	s_and_saveexec_b32 s0, vcc_lo
	s_delay_alu instid0(SALU_CYCLE_1)
	s_xor_b32 s0, exec_lo, s0
	s_cbranch_execz .LBB1562_93
; %bb.92:
	v_lshlrev_b16 v2, 8, v4
	v_and_b32_e32 v4, 0xff0000, v3
	v_perm_b32 v1, v1, v1, 0x3060504
	s_delay_alu instid0(VALU_DEP_3) | instskip(NEXT) | instid1(VALU_DEP_3)
	v_bitop3_b16 v2, v5, v2, 0xff bitop3:0xec
	v_perm_b32 v35, v3, v4, 0x3020504
                                        ; implicit-def: $vgpr4
                                        ; implicit-def: $vgpr3
	s_delay_alu instid0(VALU_DEP_2) | instskip(NEXT) | instid1(VALU_DEP_1)
	v_and_b32_e32 v2, 0xffff, v2
	v_and_or_b32 v2, 0xff000000, v5, v2
                                        ; implicit-def: $vgpr5
.LBB1562_93:
	s_and_not1_saveexec_b32 s1, s0
	s_cbranch_execz .LBB1562_97
; %bb.94:
	v_dual_add_nc_u32 v2, s17, v10 :: v_dual_add_nc_u32 v6, s19, v10
	s_mov_b32 s2, 0
	s_mov_b32 s3, exec_lo
	s_delay_alu instid0(VALU_DEP_1) | instskip(NEXT) | instid1(VALU_DEP_2)
	v_mul_lo_u32 v2, v2, s16
	v_mul_lo_u32 v6, v6, s18
	s_delay_alu instid0(VALU_DEP_1) | instskip(NEXT) | instid1(VALU_DEP_1)
	v_sub_nc_u32_e32 v2, v2, v6
	v_cmp_lt_u32_e32 vcc_lo, s20, v2
	v_cmpx_ge_u32_e64 s20, v2
	s_cbranch_execz .LBB1562_96
; %bb.95:
	v_dual_add_nc_u32 v2, s22, v10 :: v_dual_add_nc_u32 v6, s42, v10
	s_delay_alu instid0(VALU_DEP_1) | instskip(NEXT) | instid1(VALU_DEP_2)
	v_mul_lo_u32 v2, v2, s21
	v_mul_lo_u32 v6, v6, s23
	s_delay_alu instid0(VALU_DEP_1) | instskip(NEXT) | instid1(VALU_DEP_1)
	v_sub_nc_u32_e32 v2, v2, v6
	v_cmp_lt_u32_e64 s0, s43, v2
	s_and_b32 s2, s0, exec_lo
.LBB1562_96:
	s_or_b32 exec_lo, exec_lo, s3
	v_dual_lshrrev_b32 v2, 24, v5 :: v_dual_lshrrev_b32 v8, 8, v3
	v_cndmask_b32_e64 v6, 0, 1, s2
	v_cndmask_b32_e64 v7, 0, 1, vcc_lo
	v_lshlrev_b16 v4, 8, v4
	s_delay_alu instid0(VALU_DEP_4)
	v_lshlrev_b16 v2, 8, v2
	v_lshrrev_b32_e32 v9, 16, v3
	v_lshlrev_b16 v6, 8, v6
	v_lshlrev_b16 v8, 8, v8
	v_bitop3_b16 v4, v5, v4, 0xff bitop3:0xec
	v_or_b32_e32 v2, v7, v2
	s_delay_alu instid0(VALU_DEP_4) | instskip(NEXT) | instid1(VALU_DEP_4)
	v_bitop3_b16 v5, v9, v6, 0xff bitop3:0xec
	v_bitop3_b16 v3, v3, v8, 0xff bitop3:0xec
	s_delay_alu instid0(VALU_DEP_4) | instskip(NEXT) | instid1(VALU_DEP_3)
	v_and_b32_e32 v4, 0xffff, v4
	v_dual_lshlrev_b32 v2, 16, v2 :: v_dual_lshlrev_b32 v5, 16, v5
	s_delay_alu instid0(VALU_DEP_3) | instskip(NEXT) | instid1(VALU_DEP_2)
	v_and_b32_e32 v3, 0xffff, v3
	v_or_b32_e32 v2, v4, v2
	s_delay_alu instid0(VALU_DEP_2)
	v_or_b32_e32 v35, v3, v5
.LBB1562_97:
	s_or_b32 exec_lo, exec_lo, s1
	v_dual_mov_b32 v34, 0 :: v_dual_add_nc_u32 v3, 11, v30
	s_mov_b32 s0, exec_lo
                                        ; implicit-def: $vgpr36
	s_delay_alu instid0(VALU_DEP_1)
	v_cmpx_le_u32_e64 s6, v3
	s_xor_b32 s0, exec_lo, s0
; %bb.98:
	v_and_b32_e32 v3, 0xff0000, v2
	v_perm_b32 v1, v1, v1, 0x3060504
	s_delay_alu instid0(VALU_DEP_2)
	v_perm_b32 v36, v2, v3, 0x3020504
                                        ; implicit-def: $vgpr2
; %bb.99:
	s_and_not1_saveexec_b32 s1, s0
	s_cbranch_execz .LBB1562_103
; %bb.100:
	v_dual_add_nc_u32 v3, s17, v11 :: v_dual_add_nc_u32 v4, s19, v11
	s_mov_b32 s2, 0
	s_mov_b32 s3, exec_lo
	s_delay_alu instid0(VALU_DEP_1) | instskip(NEXT) | instid1(VALU_DEP_2)
	v_mul_lo_u32 v3, v3, s16
	v_mul_lo_u32 v4, v4, s18
	s_delay_alu instid0(VALU_DEP_1) | instskip(NEXT) | instid1(VALU_DEP_1)
	v_sub_nc_u32_e32 v3, v3, v4
	v_cmp_lt_u32_e32 vcc_lo, s20, v3
	v_cmpx_ge_u32_e64 s20, v3
	s_cbranch_execz .LBB1562_102
; %bb.101:
	v_dual_add_nc_u32 v3, s22, v11 :: v_dual_add_nc_u32 v4, s42, v11
	s_delay_alu instid0(VALU_DEP_1) | instskip(NEXT) | instid1(VALU_DEP_2)
	v_mul_lo_u32 v3, v3, s21
	v_mul_lo_u32 v4, v4, s23
	s_delay_alu instid0(VALU_DEP_1) | instskip(NEXT) | instid1(VALU_DEP_1)
	v_sub_nc_u32_e32 v3, v3, v4
	v_cmp_lt_u32_e64 s0, s43, v3
	s_and_b32 s2, s0, exec_lo
.LBB1562_102:
	s_or_b32 exec_lo, exec_lo, s3
	v_cndmask_b32_e64 v3, 0, 1, vcc_lo
	v_dual_lshrrev_b32 v4, 8, v2 :: v_dual_lshrrev_b32 v5, 16, v2
	v_cndmask_b32_e64 v34, 0, 1, s2
	s_delay_alu instid0(VALU_DEP_3) | instskip(NEXT) | instid1(VALU_DEP_3)
	v_lshlrev_b16 v3, 8, v3
	v_lshlrev_b16 v4, 8, v4
	s_delay_alu instid0(VALU_DEP_2) | instskip(NEXT) | instid1(VALU_DEP_2)
	v_bitop3_b16 v3, v5, v3, 0xff bitop3:0xec
	v_bitop3_b16 v2, v2, v4, 0xff bitop3:0xec
	s_delay_alu instid0(VALU_DEP_2) | instskip(NEXT) | instid1(VALU_DEP_2)
	v_lshlrev_b32_e32 v3, 16, v3
	v_and_b32_e32 v2, 0xffff, v2
	s_delay_alu instid0(VALU_DEP_1)
	v_or_b32_e32 v36, v2, v3
.LBB1562_103:
	s_or_b32 exec_lo, exec_lo, s1
	v_dual_add_nc_u32 v4, 12, v30 :: v_dual_lshrrev_b32 v2, 8, v1
	v_dual_lshrrev_b32 v3, 16, v1 :: v_dual_lshrrev_b32 v1, 24, v1
	s_mov_b32 s0, exec_lo
                                        ; implicit-def: $vgpr37
	s_delay_alu instid0(VALU_DEP_2)
	v_cmpx_le_u32_e64 s6, v4
	s_xor_b32 s0, exec_lo, s0
; %bb.104:
	s_delay_alu instid0(VALU_DEP_2) | instskip(SKIP_1) | instid1(VALU_DEP_2)
	v_lshlrev_b16 v1, 8, v1
	v_lshlrev_b16 v2, 8, v2
	v_bitop3_b16 v1, v3, v1, 0xff bitop3:0xec
	s_delay_alu instid0(VALU_DEP_2) | instskip(NEXT) | instid1(VALU_DEP_2)
	v_and_b32_e32 v2, 0xffff, v2
                                        ; implicit-def: $vgpr3
	v_lshlrev_b32_e32 v1, 16, v1
	s_delay_alu instid0(VALU_DEP_1)
	v_or_b32_e32 v37, v2, v1
                                        ; implicit-def: $vgpr1
                                        ; implicit-def: $vgpr2
; %bb.105:
	s_or_saveexec_b32 s1, s0
	v_mov_b32_e32 v38, 0
	s_xor_b32 exec_lo, exec_lo, s1
	s_cbranch_execz .LBB1562_109
; %bb.106:
	v_dual_add_nc_u32 v4, s19, v28 :: v_dual_add_nc_u32 v5, s17, v28
	s_mov_b32 s2, 0
	s_mov_b32 s3, exec_lo
	s_delay_alu instid0(VALU_DEP_1) | instskip(NEXT) | instid1(VALU_DEP_2)
	v_mul_lo_u32 v4, v4, s18
	v_mul_lo_u32 v5, v5, s16
	s_delay_alu instid0(VALU_DEP_1) | instskip(NEXT) | instid1(VALU_DEP_1)
	v_sub_nc_u32_e32 v4, v5, v4
	v_cmp_lt_u32_e32 vcc_lo, s20, v4
	v_cmpx_ge_u32_e64 s20, v4
	s_cbranch_execz .LBB1562_108
; %bb.107:
	v_dual_add_nc_u32 v4, s42, v28 :: v_dual_add_nc_u32 v5, s22, v28
	s_delay_alu instid0(VALU_DEP_1) | instskip(NEXT) | instid1(VALU_DEP_2)
	v_mul_lo_u32 v4, v4, s23
	v_mul_lo_u32 v5, v5, s21
	s_delay_alu instid0(VALU_DEP_1) | instskip(NEXT) | instid1(VALU_DEP_1)
	v_sub_nc_u32_e32 v4, v5, v4
	v_cmp_lt_u32_e64 s0, s43, v4
	s_and_b32 s2, s0, exec_lo
.LBB1562_108:
	s_or_b32 exec_lo, exec_lo, s3
	v_cndmask_b32_e64 v4, 0, 1, vcc_lo
	v_lshlrev_b16 v1, 8, v1
	v_lshlrev_b16 v2, 8, v2
	v_cndmask_b32_e64 v38, 0, 1, s2
	s_delay_alu instid0(VALU_DEP_3) | instskip(NEXT) | instid1(VALU_DEP_1)
	v_bitop3_b16 v1, v3, v1, 0xff bitop3:0xec
	v_dual_lshlrev_b32 v1, 16, v1 :: v_dual_bitop2_b32 v2, v4, v2 bitop3:0x54
	s_delay_alu instid0(VALU_DEP_1) | instskip(NEXT) | instid1(VALU_DEP_1)
	v_and_b32_e32 v2, 0xffff, v2
	v_or_b32_e32 v37, v2, v1
.LBB1562_109:
	s_or_b32 exec_lo, exec_lo, s1
.LBB1562_110:
	v_and_b32_e32 v61, 0xff, v31
	s_delay_alu instid0(VALU_DEP_2)
	v_bfe_u32 v62, v37, 8, 8
	v_bfe_u32 v59, v31, 8, 8
	;; [unrolled: 1-line block ×4, first 2 shown]
	v_dual_lshrrev_b32 v44, 24, v37 :: v_dual_lshrrev_b32 v43, 24, v31
	v_and_b32_e32 v57, 0xff, v32
	v_and_b32_e32 v55, 0xff, v33
	v_bfe_u32 v56, v32, 8, 8
	v_add3_u32 v1, v59, v61, v58
	v_add3_u32 v2, v60, v62, v44
	v_bfe_u32 v53, v33, 8, 8
	v_bfe_u32 v54, v32, 16, 8
	;; [unrolled: 1-line block ×3, first 2 shown]
	v_dual_lshrrev_b32 v42, 24, v32 :: v_dual_lshrrev_b32 v41, 24, v33
	v_add3_u32 v1, v1, v43, v55
	v_add3_u32 v2, v2, v57, v56
	v_and_b32_e32 v52, 0xff, v35
	v_and_b32_e32 v48, 0xff, v36
	v_bfe_u32 v50, v35, 8, 8
	v_add3_u32 v1, v1, v53, v51
	v_add3_u32 v2, v2, v54, v42
	v_bfe_u32 v47, v36, 8, 8
	v_bfe_u32 v49, v35, 16, 8
	v_bfe_u32 v46, v36, 16, 8
	v_dual_lshrrev_b32 v40, 24, v35 :: v_dual_lshrrev_b32 v39, 24, v36
	v_add3_u32 v1, v1, v41, v48
	v_add3_u32 v2, v2, v52, v50
	v_mbcnt_lo_u32_b32 v63, -1, 0
	v_and_b32_e32 v45, 0xff, v34
	v_and_b32_e32 v3, 0xff, v37
	;; [unrolled: 1-line block ×3, first 2 shown]
	v_add3_u32 v1, v1, v47, v46
	v_add3_u32 v2, v2, v49, v40
	v_dual_lshrrev_b32 v64, 5, v0 :: v_dual_bitop2_b32 v65, 15, v63 bitop3:0x40
	v_and_b32_e32 v67, 16, v63
	s_delay_alu instid0(VALU_DEP_4) | instskip(NEXT) | instid1(VALU_DEP_4)
	v_add3_u32 v68, v1, v39, v3
	v_add3_u32 v69, v2, v45, v4
	s_wait_xcnt 0x0
	v_cmp_eq_u32_e64 s1, 0, v65
	v_cmp_lt_u32_e64 s0, 1, v65
	v_cmp_lt_u32_e64 s2, 3, v65
	v_or_b32_e32 v66, 31, v0
	s_cmp_lg_u32 s33, 0
	s_mov_b32 s3, -1
	v_cmp_lt_u32_e32 vcc_lo, 7, v65
	s_cbranch_scc0 .LBB1562_131
; %bb.111:
	v_mov_b32_dpp v1, v69 row_shr:1 row_mask:0xf bank_mask:0xf
	v_mov_b32_dpp v2, v68 row_shr:1 row_mask:0xf bank_mask:0xf
	s_mov_b32 s3, exec_lo
	s_delay_alu instid0(VALU_DEP_1) | instskip(NEXT) | instid1(VALU_DEP_1)
	v_dual_add_nc_u32 v1, v1, v69 :: v_dual_add_nc_u32 v2, v2, v68
	v_dual_cndmask_b32 v1, v1, v69, s1 :: v_dual_cndmask_b32 v2, v2, v68, s1
	s_delay_alu instid0(VALU_DEP_1) | instskip(NEXT) | instid1(VALU_DEP_2)
	v_mov_b32_dpp v3, v1 row_shr:2 row_mask:0xf bank_mask:0xf
	v_mov_b32_dpp v4, v2 row_shr:2 row_mask:0xf bank_mask:0xf
	s_delay_alu instid0(VALU_DEP_1) | instskip(NEXT) | instid1(VALU_DEP_1)
	v_dual_add_nc_u32 v3, v1, v3 :: v_dual_add_nc_u32 v4, v2, v4
	v_dual_cndmask_b32 v1, v1, v3, s0 :: v_dual_cndmask_b32 v2, v2, v4, s0
	s_delay_alu instid0(VALU_DEP_1) | instskip(NEXT) | instid1(VALU_DEP_2)
	v_mov_b32_dpp v3, v1 row_shr:4 row_mask:0xf bank_mask:0xf
	v_mov_b32_dpp v4, v2 row_shr:4 row_mask:0xf bank_mask:0xf
	;; [unrolled: 6-line block ×3, first 2 shown]
	s_delay_alu instid0(VALU_DEP_1) | instskip(NEXT) | instid1(VALU_DEP_1)
	v_dual_add_nc_u32 v3, v1, v3 :: v_dual_add_nc_u32 v4, v2, v4
	v_dual_cndmask_b32 v1, v1, v3 :: v_dual_cndmask_b32 v2, v2, v4
	v_cmp_eq_u32_e32 vcc_lo, 0, v67
	ds_swizzle_b32 v3, v1 offset:swizzle(BROADCAST,32,15)
	ds_swizzle_b32 v4, v2 offset:swizzle(BROADCAST,32,15)
	s_wait_dscnt 0x0
	v_dual_add_nc_u32 v3, v1, v3 :: v_dual_add_nc_u32 v4, v2, v4
	v_cmpx_eq_u32_e64 v0, v66
; %bb.112:
	s_delay_alu instid0(VALU_DEP_2) | instskip(NEXT) | instid1(VALU_DEP_3)
	v_dual_lshlrev_b32 v5, 3, v64 :: v_dual_cndmask_b32 v7, v3, v1, vcc_lo
	v_cndmask_b32_e32 v6, v4, v2, vcc_lo
	ds_store_b64 v5, v[6:7]
; %bb.113:
	s_or_b32 exec_lo, exec_lo, s3
	s_delay_alu instid0(SALU_CYCLE_1)
	s_mov_b32 s3, exec_lo
	s_wait_dscnt 0x0
	s_barrier_signal -1
	s_barrier_wait -1
	v_cmpx_gt_u32_e32 8, v0
	s_cbranch_execz .LBB1562_115
; %bb.114:
	v_dual_lshlrev_b32 v5, 3, v0 :: v_dual_bitop2_b32 v22, 7, v63 bitop3:0x40
	ds_load_b64 v[6:7], v5
	v_cmp_eq_u32_e64 s2, 0, v22
	s_wait_dscnt 0x0
	v_mov_b32_dpp v8, v6 row_shr:1 row_mask:0xf bank_mask:0xf
	v_mov_b32_dpp v9, v7 row_shr:1 row_mask:0xf bank_mask:0xf
	s_delay_alu instid0(VALU_DEP_1) | instskip(NEXT) | instid1(VALU_DEP_1)
	v_dual_add_nc_u32 v8, v8, v6 :: v_dual_add_nc_u32 v9, v9, v7
	v_dual_cndmask_b32 v6, v8, v6, s2 :: v_dual_cndmask_b32 v7, v9, v7, s2
	v_cmp_lt_u32_e64 s2, 1, v22
	s_delay_alu instid0(VALU_DEP_2) | instskip(NEXT) | instid1(VALU_DEP_3)
	v_mov_b32_dpp v8, v6 row_shr:2 row_mask:0xf bank_mask:0xf
	v_mov_b32_dpp v9, v7 row_shr:2 row_mask:0xf bank_mask:0xf
	s_delay_alu instid0(VALU_DEP_1) | instskip(NEXT) | instid1(VALU_DEP_1)
	v_dual_add_nc_u32 v8, v6, v8 :: v_dual_add_nc_u32 v9, v7, v9
	v_dual_cndmask_b32 v6, v6, v8, s2 :: v_dual_cndmask_b32 v7, v7, v9, s2
	v_cmp_lt_u32_e64 s2, 3, v22
	s_delay_alu instid0(VALU_DEP_2) | instskip(NEXT) | instid1(VALU_DEP_3)
	v_mov_b32_dpp v8, v6 row_shr:4 row_mask:0xf bank_mask:0xf
	v_mov_b32_dpp v9, v7 row_shr:4 row_mask:0xf bank_mask:0xf
	s_delay_alu instid0(VALU_DEP_1) | instskip(NEXT) | instid1(VALU_DEP_1)
	v_dual_cndmask_b32 v8, 0, v8, s2 :: v_dual_cndmask_b32 v9, 0, v9, s2
	v_dual_add_nc_u32 v6, v8, v6 :: v_dual_add_nc_u32 v7, v9, v7
	ds_store_b64 v5, v[6:7]
.LBB1562_115:
	s_or_b32 exec_lo, exec_lo, s3
	v_dual_cndmask_b32 v1, v3, v1 :: v_dual_cndmask_b32 v2, v4, v2
	s_mov_b32 s3, exec_lo
	v_cmp_gt_u32_e32 vcc_lo, 32, v0
	s_wait_dscnt 0x0
	s_barrier_signal -1
	s_barrier_wait -1
                                        ; implicit-def: $vgpr22
	v_cmpx_lt_u32_e32 31, v0
	s_cbranch_execz .LBB1562_117
; %bb.116:
	v_lshl_add_u32 v3, v64, 3, -8
	ds_load_b64 v[22:23], v3
	s_wait_dscnt 0x0
	v_dual_add_nc_u32 v1, v23, v1 :: v_dual_add_nc_u32 v2, v22, v2
.LBB1562_117:
	s_or_b32 exec_lo, exec_lo, s3
	v_sub_co_u32 v3, s2, v63, 1
	s_delay_alu instid0(VALU_DEP_1) | instskip(NEXT) | instid1(VALU_DEP_1)
	v_cmp_gt_i32_e64 s3, 0, v3
	v_cndmask_b32_e64 v3, v3, v63, s3
	s_delay_alu instid0(VALU_DEP_1)
	v_lshlrev_b32_e32 v3, 2, v3
	ds_bpermute_b32 v70, v3, v2
	ds_bpermute_b32 v1, v3, v1
	s_and_saveexec_b32 s3, vcc_lo
	s_cbranch_execz .LBB1562_136
; %bb.118:
	v_mov_b32_e32 v5, 0
	ds_load_b64 v[2:3], v5 offset:56
	s_and_saveexec_b32 s7, s2
	s_cbranch_execz .LBB1562_120
; %bb.119:
	s_add_co_i32 s8, s33, 32
	s_mov_b32 s9, 0
	v_mov_b32_e32 v4, 1
	s_lshl_b64 s[8:9], s[8:9], 4
	s_wait_kmcnt 0x0
	s_add_nc_u64 s[8:9], s[4:5], s[8:9]
	s_delay_alu instid0(SALU_CYCLE_1)
	v_mov_b64_e32 v[6:7], s[8:9]
	s_wait_dscnt 0x0
	;;#ASMSTART
	global_store_b128 v[6:7], v[2:5] off scope:SCOPE_DEV	
s_wait_storecnt 0x0
	;;#ASMEND
.LBB1562_120:
	s_or_b32 exec_lo, exec_lo, s7
	v_xad_u32 v24, v63, -1, s33
	s_mov_b32 s8, 0
	s_mov_b32 s7, exec_lo
	s_delay_alu instid0(VALU_DEP_1) | instskip(SKIP_1) | instid1(VALU_DEP_1)
	v_add_nc_u32_e32 v4, 32, v24
	s_wait_kmcnt 0x0
	v_lshl_add_u64 v[4:5], v[4:5], 4, s[4:5]
	;;#ASMSTART
	global_load_b128 v[6:9], v[4:5] off scope:SCOPE_DEV	
s_wait_loadcnt 0x0
	;;#ASMEND
	v_and_b32_e32 v9, 0xff, v8
	s_delay_alu instid0(VALU_DEP_1)
	v_cmpx_eq_u16_e32 0, v9
	s_cbranch_execz .LBB1562_123
.LBB1562_121:                           ; =>This Inner Loop Header: Depth=1
	;;#ASMSTART
	global_load_b128 v[6:9], v[4:5] off scope:SCOPE_DEV	
s_wait_loadcnt 0x0
	;;#ASMEND
	v_and_b32_e32 v9, 0xff, v8
	s_delay_alu instid0(VALU_DEP_1) | instskip(SKIP_1) | instid1(SALU_CYCLE_1)
	v_cmp_ne_u16_e32 vcc_lo, 0, v9
	s_or_b32 s8, vcc_lo, s8
	s_and_not1_b32 exec_lo, exec_lo, s8
	s_cbranch_execnz .LBB1562_121
; %bb.122:
	s_or_b32 exec_lo, exec_lo, s8
.LBB1562_123:
	s_delay_alu instid0(SALU_CYCLE_1)
	s_or_b32 exec_lo, exec_lo, s7
	v_cmp_ne_u32_e32 vcc_lo, 31, v63
	v_lshlrev_b32_e64 v72, v63, -1
	v_lshl_or_b32 v79, v63, 2, 64
	v_dual_add_nc_u32 v76, 4, v63 :: v_dual_add_nc_u32 v80, 16, v63
	v_add_co_ci_u32_e64 v4, null, 0, v63, vcc_lo
	s_delay_alu instid0(VALU_DEP_1)
	v_lshlrev_b32_e32 v71, 2, v4
	v_and_b32_e32 v4, 0xff, v8
	ds_bpermute_b32 v5, v71, v7
	v_cmp_eq_u16_e32 vcc_lo, 2, v4
	s_wait_dscnt 0x0
	v_add_nc_u32_e32 v5, v5, v7
	ds_bpermute_b32 v4, v71, v6
	v_and_b32_e32 v9, vcc_lo, v72
	v_cmp_gt_u32_e32 vcc_lo, 30, v63
	v_cndmask_b32_e64 v25, 0, 2, vcc_lo
	s_delay_alu instid0(VALU_DEP_1) | instskip(SKIP_3) | instid1(VALU_DEP_1)
	v_add_lshl_u32 v73, v25, v63, 2
	s_wait_dscnt 0x0
	v_add_nc_u32_e32 v4, v4, v6
	v_or_b32_e32 v9, 0x80000000, v9
	v_ctz_i32_b32_e32 v9, v9
	s_delay_alu instid0(VALU_DEP_1) | instskip(NEXT) | instid1(VALU_DEP_4)
	v_cmp_lt_u32_e32 vcc_lo, v63, v9
	v_dual_cndmask_b32 v5, v7, v5 :: v_dual_cndmask_b32 v4, v6, v4
	v_cmp_gt_u32_e32 vcc_lo, 28, v63
	ds_bpermute_b32 v6, v73, v5
	ds_bpermute_b32 v7, v73, v4
	v_add_nc_u32_e32 v74, 2, v63
	v_cndmask_b32_e64 v25, 0, 4, vcc_lo
	s_delay_alu instid0(VALU_DEP_1) | instskip(SKIP_4) | instid1(VALU_DEP_2)
	v_add_lshl_u32 v75, v25, v63, 2
	s_wait_dscnt 0x1
	v_add_nc_u32_e32 v6, v5, v6
	v_cmp_gt_u32_e32 vcc_lo, v74, v9
	s_wait_dscnt 0x0
	v_dual_add_nc_u32 v7, v4, v7 :: v_dual_cndmask_b32 v5, v6, v5, vcc_lo
	s_delay_alu instid0(VALU_DEP_1)
	v_cndmask_b32_e32 v4, v7, v4, vcc_lo
	v_cmp_gt_u32_e32 vcc_lo, 24, v63
	ds_bpermute_b32 v6, v75, v5
	ds_bpermute_b32 v7, v75, v4
	v_cndmask_b32_e64 v25, 0, 8, vcc_lo
	v_cmp_gt_u32_e32 vcc_lo, v76, v9
	s_delay_alu instid0(VALU_DEP_2) | instskip(SKIP_3) | instid1(VALU_DEP_1)
	v_add_lshl_u32 v77, v25, v63, 2
	s_wait_dscnt 0x1
	v_dual_mov_b32 v25, 0 :: v_dual_add_nc_u32 v6, v5, v6
	s_wait_dscnt 0x0
	v_dual_add_nc_u32 v7, v4, v7 :: v_dual_cndmask_b32 v5, v6, v5, vcc_lo
	s_delay_alu instid0(VALU_DEP_1) | instskip(SKIP_4) | instid1(VALU_DEP_1)
	v_cndmask_b32_e32 v4, v7, v4, vcc_lo
	ds_bpermute_b32 v6, v77, v5
	ds_bpermute_b32 v7, v77, v4
	s_wait_dscnt 0x1
	v_dual_add_nc_u32 v78, 8, v63 :: v_dual_add_nc_u32 v6, v5, v6
	v_cmp_gt_u32_e32 vcc_lo, v78, v9
	s_wait_dscnt 0x0
	s_delay_alu instid0(VALU_DEP_2) | instskip(NEXT) | instid1(VALU_DEP_1)
	v_dual_add_nc_u32 v7, v4, v7 :: v_dual_cndmask_b32 v5, v6, v5, vcc_lo
	v_cndmask_b32_e32 v4, v7, v4, vcc_lo
	v_cmp_le_u32_e32 vcc_lo, v80, v9
	ds_bpermute_b32 v7, v79, v5
	ds_bpermute_b32 v6, v79, v4
	s_wait_dscnt 0x0
	v_dual_cndmask_b32 v7, 0, v7 :: v_dual_cndmask_b32 v6, 0, v6
	s_delay_alu instid0(VALU_DEP_1)
	v_dual_add_nc_u32 v7, v7, v5 :: v_dual_add_nc_u32 v6, v6, v4
	s_branch .LBB1562_127
.LBB1562_124:                           ;   in Loop: Header=BB1562_127 Depth=1
	s_or_b32 exec_lo, exec_lo, s8
.LBB1562_125:                           ;   in Loop: Header=BB1562_127 Depth=1
	s_delay_alu instid0(SALU_CYCLE_1)
	s_or_b32 exec_lo, exec_lo, s7
	ds_bpermute_b32 v9, v71, v6
	ds_bpermute_b32 v26, v71, v7
	v_and_b32_e32 v27, 0xff, v8
	v_subrev_nc_u32_e32 v24, 32, v24
	s_mov_b32 s7, 0
	s_delay_alu instid0(VALU_DEP_2) | instskip(SKIP_1) | instid1(VALU_DEP_1)
	v_cmp_eq_u16_e32 vcc_lo, 2, v27
	v_and_or_b32 v27, vcc_lo, v72, 0x80000000
	v_ctz_i32_b32_e32 v27, v27
	s_wait_dscnt 0x0
	v_dual_add_nc_u32 v9, v9, v6 :: v_dual_add_nc_u32 v26, v26, v7
	s_delay_alu instid0(VALU_DEP_2) | instskip(NEXT) | instid1(VALU_DEP_2)
	v_cmp_lt_u32_e32 vcc_lo, v63, v27
	v_dual_cndmask_b32 v7, v7, v26 :: v_dual_cndmask_b32 v6, v6, v9
	v_cmp_gt_u32_e32 vcc_lo, v74, v27
	ds_bpermute_b32 v26, v73, v7
	ds_bpermute_b32 v9, v73, v6
	s_wait_dscnt 0x0
	v_dual_add_nc_u32 v26, v7, v26 :: v_dual_add_nc_u32 v9, v6, v9
	s_delay_alu instid0(VALU_DEP_1)
	v_dual_cndmask_b32 v7, v26, v7 :: v_dual_cndmask_b32 v6, v9, v6
	v_cmp_gt_u32_e32 vcc_lo, v76, v27
	ds_bpermute_b32 v26, v75, v7
	ds_bpermute_b32 v9, v75, v6
	s_wait_dscnt 0x0
	v_dual_add_nc_u32 v26, v7, v26 :: v_dual_add_nc_u32 v9, v6, v9
	s_delay_alu instid0(VALU_DEP_1)
	;; [unrolled: 7-line block ×3, first 2 shown]
	v_dual_cndmask_b32 v7, v26, v7 :: v_dual_cndmask_b32 v6, v9, v6
	v_cmp_le_u32_e32 vcc_lo, v80, v27
	ds_bpermute_b32 v26, v79, v7
	ds_bpermute_b32 v9, v79, v6
	s_wait_dscnt 0x0
	v_dual_cndmask_b32 v26, 0, v26 :: v_dual_cndmask_b32 v9, 0, v9
	s_delay_alu instid0(VALU_DEP_1) | instskip(NEXT) | instid1(VALU_DEP_2)
	v_add3_u32 v7, v7, v5, v26
	v_add3_u32 v6, v6, v4, v9
.LBB1562_126:                           ;   in Loop: Header=BB1562_127 Depth=1
	s_and_b32 vcc_lo, exec_lo, s7
	s_cbranch_vccnz .LBB1562_132
.LBB1562_127:                           ; =>This Loop Header: Depth=1
                                        ;     Child Loop BB1562_130 Depth 2
	v_and_b32_e32 v4, 0xff, v8
	s_mov_b32 s7, -1
                                        ; implicit-def: $vgpr8
	s_delay_alu instid0(VALU_DEP_1)
	v_cmp_ne_u16_e32 vcc_lo, 2, v4
	v_mov_b64_e32 v[4:5], v[6:7]
                                        ; implicit-def: $vgpr6_vgpr7
	s_cmp_lg_u32 vcc_lo, exec_lo
	s_cbranch_scc1 .LBB1562_126
; %bb.128:                              ;   in Loop: Header=BB1562_127 Depth=1
	v_lshl_add_u64 v[26:27], v[24:25], 4, s[4:5]
	;;#ASMSTART
	global_load_b128 v[6:9], v[26:27] off scope:SCOPE_DEV	
s_wait_loadcnt 0x0
	;;#ASMEND
	v_and_b32_e32 v9, 0xff, v8
	s_mov_b32 s7, exec_lo
	s_delay_alu instid0(VALU_DEP_1)
	v_cmpx_eq_u16_e32 0, v9
	s_cbranch_execz .LBB1562_125
; %bb.129:                              ;   in Loop: Header=BB1562_127 Depth=1
	s_mov_b32 s8, 0
.LBB1562_130:                           ;   Parent Loop BB1562_127 Depth=1
                                        ; =>  This Inner Loop Header: Depth=2
	;;#ASMSTART
	global_load_b128 v[6:9], v[26:27] off scope:SCOPE_DEV	
s_wait_loadcnt 0x0
	;;#ASMEND
	v_and_b32_e32 v9, 0xff, v8
	s_delay_alu instid0(VALU_DEP_1) | instskip(SKIP_1) | instid1(SALU_CYCLE_1)
	v_cmp_ne_u16_e32 vcc_lo, 0, v9
	s_or_b32 s8, vcc_lo, s8
	s_and_not1_b32 exec_lo, exec_lo, s8
	s_cbranch_execnz .LBB1562_130
	s_branch .LBB1562_124
.LBB1562_131:
                                        ; implicit-def: $vgpr1
                                        ; implicit-def: $vgpr4
                                        ; implicit-def: $vgpr6
                                        ; implicit-def: $vgpr8
                                        ; implicit-def: $vgpr22
	s_and_b32 vcc_lo, exec_lo, s3
	s_cbranch_vccnz .LBB1562_137
	s_branch .LBB1562_146
.LBB1562_132:
	s_and_saveexec_b32 s7, s2
	s_cbranch_execz .LBB1562_134
; %bb.133:
	s_add_co_i32 s8, s33, 32
	s_mov_b32 s9, 0
	v_dual_mov_b32 v8, 2 :: v_dual_mov_b32 v9, 0
	s_lshl_b64 s[8:9], s[8:9], 4
	v_dual_add_nc_u32 v7, v5, v3 :: v_dual_add_nc_u32 v6, v4, v2
	s_add_nc_u64 s[8:9], s[4:5], s[8:9]
	s_delay_alu instid0(SALU_CYCLE_1)
	v_mov_b64_e32 v[24:25], s[8:9]
	;;#ASMSTART
	global_store_b128 v[24:25], v[6:9] off scope:SCOPE_DEV	
s_wait_storecnt 0x0
	;;#ASMEND
	ds_store_b128 v9, v[2:5] offset:13312
.LBB1562_134:
	s_or_b32 exec_lo, exec_lo, s7
	v_cmp_eq_u32_e32 vcc_lo, 0, v0
	s_and_b32 exec_lo, exec_lo, vcc_lo
; %bb.135:
	v_mov_b32_e32 v2, 0
	ds_store_b64 v2, v[4:5] offset:56
.LBB1562_136:
	s_or_b32 exec_lo, exec_lo, s3
	s_wait_dscnt 0x0
	v_dual_mov_b32 v2, 0 :: v_dual_cndmask_b32 v1, v1, v23, s2
	s_barrier_signal -1
	s_barrier_wait -1
	ds_load_b64 v[8:9], v2 offset:56
	s_wait_dscnt 0x0
	s_barrier_signal -1
	s_barrier_wait -1
	ds_load_b128 v[2:5], v2 offset:13312
	v_cndmask_b32_e64 v6, v70, v22, s2
	v_cmp_eq_u32_e32 vcc_lo, 0, v0
	s_delay_alu instid0(VALU_DEP_2) | instskip(SKIP_2) | instid1(VALU_DEP_2)
	v_dual_add_nc_u32 v1, v9, v1 :: v_dual_add_nc_u32 v7, v8, v6
	s_wait_dscnt 0x0
	v_mov_b32_e32 v6, v5
	v_dual_cndmask_b32 v1, v1, v9 :: v_dual_cndmask_b32 v22, v7, v8
	v_mov_b32_e32 v8, v3
	s_branch .LBB1562_146
.LBB1562_137:
	v_mov_b32_dpp v1, v68 row_shr:1 row_mask:0xf bank_mask:0xf
	v_mov_b32_dpp v2, v69 row_shr:1 row_mask:0xf bank_mask:0xf
	v_cmp_lt_u32_e32 vcc_lo, 3, v65
	s_delay_alu instid0(VALU_DEP_2) | instskip(NEXT) | instid1(VALU_DEP_1)
	v_dual_add_nc_u32 v1, v1, v68 :: v_dual_add_nc_u32 v2, v2, v69
	v_dual_cndmask_b32 v1, v1, v68, s1 :: v_dual_cndmask_b32 v2, v2, v69, s1
	s_mov_b32 s1, exec_lo
	s_delay_alu instid0(VALU_DEP_1) | instskip(NEXT) | instid1(VALU_DEP_2)
	v_mov_b32_dpp v3, v1 row_shr:2 row_mask:0xf bank_mask:0xf
	v_mov_b32_dpp v4, v2 row_shr:2 row_mask:0xf bank_mask:0xf
	s_delay_alu instid0(VALU_DEP_1) | instskip(NEXT) | instid1(VALU_DEP_1)
	v_dual_add_nc_u32 v3, v1, v3 :: v_dual_add_nc_u32 v4, v2, v4
	v_dual_cndmask_b32 v1, v1, v3, s0 :: v_dual_cndmask_b32 v2, v2, v4, s0
	s_delay_alu instid0(VALU_DEP_1) | instskip(NEXT) | instid1(VALU_DEP_2)
	v_mov_b32_dpp v3, v1 row_shr:4 row_mask:0xf bank_mask:0xf
	v_mov_b32_dpp v4, v2 row_shr:4 row_mask:0xf bank_mask:0xf
	s_delay_alu instid0(VALU_DEP_1) | instskip(NEXT) | instid1(VALU_DEP_1)
	v_dual_add_nc_u32 v3, v1, v3 :: v_dual_add_nc_u32 v4, v2, v4
	v_dual_cndmask_b32 v3, v1, v3 :: v_dual_cndmask_b32 v2, v2, v4
	v_cmp_lt_u32_e32 vcc_lo, 7, v65
	s_delay_alu instid0(VALU_DEP_2) | instskip(NEXT) | instid1(VALU_DEP_3)
	v_mov_b32_dpp v1, v3 row_shr:8 row_mask:0xf bank_mask:0xf
	v_mov_b32_dpp v4, v2 row_shr:8 row_mask:0xf bank_mask:0xf
	s_delay_alu instid0(VALU_DEP_1) | instskip(NEXT) | instid1(VALU_DEP_1)
	v_dual_add_nc_u32 v5, v3, v1 :: v_dual_add_nc_u32 v1, v2, v4
	v_cndmask_b32_e32 v1, v2, v1, vcc_lo
	s_delay_alu instid0(VALU_DEP_2)
	v_cndmask_b32_e32 v2, v3, v5, vcc_lo
	v_cmp_eq_u32_e32 vcc_lo, 0, v67
	ds_swizzle_b32 v4, v2 offset:swizzle(BROADCAST,32,15)
	s_wait_dscnt 0x0
	v_add_nc_u32_e32 v4, v2, v4
	ds_swizzle_b32 v3, v1 offset:swizzle(BROADCAST,32,15)
	s_wait_dscnt 0x0
	v_add_nc_u32_e32 v3, v1, v3
	v_cmpx_eq_u32_e64 v0, v66
; %bb.138:
	s_delay_alu instid0(VALU_DEP_2)
	v_dual_cndmask_b32 v6, v4, v2 :: v_dual_cndmask_b32 v7, v3, v1
	v_lshlrev_b32_e32 v5, 3, v64
	ds_store_b64 v5, v[6:7]
; %bb.139:
	s_or_b32 exec_lo, exec_lo, s1
	s_delay_alu instid0(SALU_CYCLE_1)
	s_mov_b32 s1, exec_lo
	s_wait_dscnt 0x0
	s_barrier_signal -1
	s_barrier_wait -1
	v_cmpx_gt_u32_e32 8, v0
	s_cbranch_execz .LBB1562_141
; %bb.140:
	v_dual_lshlrev_b32 v5, 3, v0 :: v_dual_bitop2_b32 v22, 7, v63 bitop3:0x40
	ds_load_b64 v[6:7], v5
	v_cmp_eq_u32_e64 s0, 0, v22
	s_wait_dscnt 0x0
	v_mov_b32_dpp v8, v6 row_shr:1 row_mask:0xf bank_mask:0xf
	v_mov_b32_dpp v9, v7 row_shr:1 row_mask:0xf bank_mask:0xf
	s_delay_alu instid0(VALU_DEP_1) | instskip(NEXT) | instid1(VALU_DEP_1)
	v_dual_add_nc_u32 v8, v8, v6 :: v_dual_add_nc_u32 v9, v9, v7
	v_dual_cndmask_b32 v6, v8, v6, s0 :: v_dual_cndmask_b32 v7, v9, v7, s0
	v_cmp_lt_u32_e64 s0, 1, v22
	s_delay_alu instid0(VALU_DEP_2) | instskip(NEXT) | instid1(VALU_DEP_3)
	v_mov_b32_dpp v8, v6 row_shr:2 row_mask:0xf bank_mask:0xf
	v_mov_b32_dpp v9, v7 row_shr:2 row_mask:0xf bank_mask:0xf
	s_delay_alu instid0(VALU_DEP_1) | instskip(NEXT) | instid1(VALU_DEP_1)
	v_dual_add_nc_u32 v8, v6, v8 :: v_dual_add_nc_u32 v9, v7, v9
	v_dual_cndmask_b32 v6, v6, v8, s0 :: v_dual_cndmask_b32 v7, v7, v9, s0
	v_cmp_lt_u32_e64 s0, 3, v22
	s_delay_alu instid0(VALU_DEP_2) | instskip(NEXT) | instid1(VALU_DEP_3)
	v_mov_b32_dpp v8, v6 row_shr:4 row_mask:0xf bank_mask:0xf
	v_mov_b32_dpp v9, v7 row_shr:4 row_mask:0xf bank_mask:0xf
	s_delay_alu instid0(VALU_DEP_1) | instskip(NEXT) | instid1(VALU_DEP_1)
	v_dual_cndmask_b32 v8, 0, v8, s0 :: v_dual_cndmask_b32 v9, 0, v9, s0
	v_dual_add_nc_u32 v6, v8, v6 :: v_dual_add_nc_u32 v7, v9, v7
	ds_store_b64 v5, v[6:7]
.LBB1562_141:
	s_or_b32 exec_lo, exec_lo, s1
	v_dual_mov_b32 v5, 0 :: v_dual_mov_b32 v6, 0
	v_mov_b32_e32 v7, 0
	s_mov_b32 s1, exec_lo
	s_wait_dscnt 0x0
	s_barrier_signal -1
	s_barrier_wait -1
	v_cmpx_lt_u32_e32 31, v0
; %bb.142:
	v_lshl_add_u32 v6, v64, 3, -8
	ds_load_b64 v[6:7], v6
; %bb.143:
	s_or_b32 exec_lo, exec_lo, s1
	v_sub_co_u32 v8, s0, v63, 1
	v_dual_cndmask_b32 v2, v4, v2 :: v_dual_cndmask_b32 v1, v3, v1
	v_cmp_eq_u32_e32 vcc_lo, 0, v0
	s_delay_alu instid0(VALU_DEP_3) | instskip(SKIP_1) | instid1(VALU_DEP_1)
	v_cmp_gt_i32_e64 s1, 0, v8
	s_wait_dscnt 0x0
	v_dual_add_nc_u32 v2, v6, v2 :: v_dual_cndmask_b32 v4, v8, v63, s1
	s_delay_alu instid0(VALU_DEP_1)
	v_dual_lshlrev_b32 v3, 2, v4 :: v_dual_add_nc_u32 v4, v7, v1
	ds_bpermute_b32 v1, v3, v2
	ds_bpermute_b32 v8, v3, v4
	ds_load_b64 v[2:3], v5 offset:56
	s_and_saveexec_b32 s1, vcc_lo
	s_cbranch_execz .LBB1562_145
; %bb.144:
	s_wait_kmcnt 0x0
	s_add_nc_u64 s[2:3], s[4:5], 0x200
	v_dual_mov_b32 v4, 2 :: v_dual_mov_b32 v5, 0
	v_mov_b64_e32 v[22:23], s[2:3]
	s_wait_dscnt 0x0
	;;#ASMSTART
	global_store_b128 v[22:23], v[2:5] off scope:SCOPE_DEV	
s_wait_storecnt 0x0
	;;#ASMEND
.LBB1562_145:
	s_or_b32 exec_lo, exec_lo, s1
	s_wait_dscnt 0x1
	v_dual_cndmask_b32 v5, v8, v7, s0 :: v_dual_cndmask_b32 v7, v1, v6, s0
	v_dual_mov_b32 v6, 0 :: v_dual_mov_b32 v4, 0
	s_wait_dscnt 0x0
	v_mov_b32_e32 v8, v3
	s_delay_alu instid0(VALU_DEP_3)
	v_cndmask_b32_e64 v1, v5, 0, vcc_lo
	v_cndmask_b32_e64 v22, v7, 0, vcc_lo
	s_barrier_signal -1
	s_barrier_wait -1
.LBB1562_146:
	s_delay_alu instid0(VALU_DEP_1) | instskip(SKIP_1) | instid1(VALU_DEP_2)
	v_dual_add_nc_u32 v62, v1, v62 :: v_dual_add_nc_u32 v70, v22, v61
	v_dual_mov_b32 v5, 0 :: v_dual_lshrrev_b32 v68, 16, v37
	v_dual_lshrrev_b32 v3, 8, v37 :: v_dual_add_nc_u32 v71, v62, v60
	s_delay_alu instid0(VALU_DEP_3) | instskip(SKIP_1) | instid1(VALU_DEP_3)
	v_dual_add_nc_u32 v59, v70, v59 :: v_dual_lshlrev_b32 v60, 1, v2
	v_dual_sub_nc_u32 v72, v22, v4 :: v_dual_sub_nc_u32 v1, v1, v6
	v_dual_add_nc_u32 v73, v71, v44 :: v_dual_bitop2_b32 v74, 1, v31 bitop3:0x40
	s_delay_alu instid0(VALU_DEP_3) | instskip(NEXT) | instid1(VALU_DEP_3)
	v_dual_add_nc_u32 v58, v59, v58 :: v_dual_bitop2_b32 v75, 1, v3 bitop3:0x40
	v_dual_add_nc_u32 v1, v1, v2 :: v_dual_sub_nc_u32 v70, v70, v4
	s_delay_alu instid0(VALU_DEP_2)
	v_dual_add_nc_u32 v57, v73, v57 :: v_dual_add_nc_u32 v76, v58, v43
	v_mov_b32_e32 v61, v5
	s_wait_kmcnt 0x0
	v_add_nc_u64_e32 v[22:23], s[28:29], v[4:5]
	v_dual_mov_b32 v3, v5 :: v_dual_mov_b32 v7, v5
	v_dual_add_nc_u32 v55, v76, v55 :: v_dual_add_nc_u32 v56, v57, v56
	v_cmp_eq_u32_e32 vcc_lo, 1, v75
	v_dual_lshrrev_b32 v69, 8, v31 :: v_dual_lshrrev_b32 v67, 16, v31
	s_delay_alu instid0(VALU_DEP_3) | instskip(NEXT) | instid1(VALU_DEP_4)
	v_dual_add_nc_u32 v53, v55, v53 :: v_dual_mov_b32 v9, v5
	v_add_nc_u32_e32 v54, v56, v54
	v_add3_u32 v5, v60, v8, v30
	s_delay_alu instid0(VALU_DEP_3) | instskip(NEXT) | instid1(VALU_DEP_3)
	v_dual_sub_nc_u32 v62, v62, v6 :: v_dual_add_nc_u32 v51, v53, v51
	v_dual_add_nc_u32 v78, v72, v1 :: v_dual_add_nc_u32 v77, v54, v42
	s_delay_alu instid0(VALU_DEP_2) | instskip(NEXT) | instid1(VALU_DEP_2)
	v_dual_sub_nc_u32 v59, v59, v4 :: v_dual_add_nc_u32 v62, v62, v2
	v_dual_add_nc_u32 v79, v51, v41 :: v_dual_sub_nc_u32 v78, v5, v78
	s_delay_alu instid0(VALU_DEP_3) | instskip(SKIP_1) | instid1(VALU_DEP_3)
	v_add_nc_u32_e32 v52, v77, v52
	v_dual_sub_nc_u32 v73, v73, v6 :: v_dual_sub_nc_u32 v58, v58, v4
	v_add_nc_u32_e32 v48, v79, v48
	s_delay_alu instid0(VALU_DEP_4) | instskip(SKIP_2) | instid1(VALU_DEP_4)
	v_dual_sub_nc_u32 v71, v71, v6 :: v_dual_cndmask_b32 v1, v78, v1, vcc_lo
	v_cmp_eq_u32_e32 vcc_lo, 1, v74
	v_add_nc_u32_e32 v50, v52, v50
	v_dual_add_nc_u32 v80, v62, v70 :: v_dual_add_nc_u32 v47, v48, v47
	v_dual_lshrrev_b32 v66, 8, v32 :: v_dual_lshrrev_b32 v65, 16, v32
	v_dual_cndmask_b32 v1, v1, v72, vcc_lo :: v_dual_add_nc_u32 v71, v71, v2
	s_delay_alu instid0(VALU_DEP_3) | instskip(NEXT) | instid1(VALU_DEP_4)
	v_dual_add_nc_u32 v49, v50, v49 :: v_dual_add_nc_u32 v46, v47, v46
	v_sub_nc_u32_e32 v74, v5, v80
	s_delay_alu instid0(VALU_DEP_3) | instskip(NEXT) | instid1(VALU_DEP_3)
	v_dual_add_nc_u32 v75, v71, v59 :: v_dual_bitop2_b32 v68, 1, v68 bitop3:0x40
	v_dual_add_nc_u32 v72, v49, v40 :: v_dual_bitop2_b32 v69, 1, v69 bitop3:0x40
	s_delay_alu instid0(VALU_DEP_3) | instskip(NEXT) | instid1(VALU_DEP_3)
	v_add_nc_u32_e32 v74, 1, v74
	v_cmp_eq_u32_e32 vcc_lo, 1, v68
	s_delay_alu instid0(VALU_DEP_3) | instskip(SKIP_1) | instid1(VALU_DEP_4)
	v_dual_sub_nc_u32 v75, v5, v75 :: v_dual_add_nc_u32 v45, v72, v45
	v_dual_add_nc_u32 v68, v73, v2 :: v_dual_bitop2_b32 v44, 1, v44 bitop3:0x40
	v_cndmask_b32_e32 v62, v74, v62, vcc_lo
	v_cmp_eq_u32_e32 vcc_lo, 1, v69
	s_delay_alu instid0(VALU_DEP_3)
	v_dual_add_nc_u32 v73, 2, v75 :: v_dual_add_nc_u32 v69, v58, v68
	v_dual_lshlrev_b32 v1, 2, v1 :: v_dual_bitop2_b32 v67, 1, v67 bitop3:0x40
	v_add_nc_u32_e32 v78, v46, v39
	v_cndmask_b32_e32 v62, v62, v70, vcc_lo
	v_cmp_eq_u32_e32 vcc_lo, 1, v44
	v_dual_sub_nc_u32 v57, v57, v6 :: v_dual_bitop2_b32 v43, 1, v43 bitop3:0x40
	ds_store_b32 v1, v20
	v_dual_lshlrev_b32 v20, 2, v62 :: v_dual_cndmask_b32 v44, v73, v71, vcc_lo
	v_cmp_eq_u32_e32 vcc_lo, 1, v67
	v_sub_nc_u32_e32 v1, v5, v69
	v_dual_lshrrev_b32 v63, 16, v33 :: v_dual_lshrrev_b32 v64, 8, v33
	ds_store_b32 v20, v21
	v_dual_cndmask_b32 v44, v44, v59, vcc_lo :: v_dual_bitop2_b32 v32, 1, v32 bitop3:0x40
	v_dual_add_nc_u32 v1, 3, v1 :: v_dual_add_nc_u32 v57, v57, v2
	v_dual_sub_nc_u32 v54, v54, v6 :: v_dual_lshrrev_b32 v25, 16, v35
	v_lshrrev_b32_e32 v27, 8, v35
	s_delay_alu instid0(VALU_DEP_4)
	v_cmp_eq_u32_e32 vcc_lo, 1, v32
	v_sub_nc_u32_e32 v56, v56, v6
	v_sub_nc_u32_e32 v32, v76, v4
	v_dual_lshrrev_b32 v26, 8, v36 :: v_dual_lshrrev_b32 v24, 16, v36
	v_cndmask_b32_e32 v1, v1, v68, vcc_lo
	v_cmp_eq_u32_e32 vcc_lo, 1, v43
	v_dual_sub_nc_u32 v55, v55, v4 :: v_dual_add_nc_u32 v56, v56, v2
	v_dual_add_nc_u32 v43, v32, v57 :: v_dual_lshlrev_b32 v21, 2, v44
	s_delay_alu instid0(VALU_DEP_4) | instskip(NEXT) | instid1(VALU_DEP_2)
	v_dual_cndmask_b32 v1, v1, v58, vcc_lo :: v_dual_bitop2_b32 v58, 1, v65 bitop3:0x40
	v_dual_add_nc_u32 v20, v55, v56 :: v_dual_sub_nc_u32 v43, v5, v43
	s_delay_alu instid0(VALU_DEP_2) | instskip(NEXT) | instid1(VALU_DEP_2)
	v_dual_lshlrev_b32 v1, 2, v1 :: v_dual_bitop2_b32 v44, 1, v66 bitop3:0x40
	v_dual_sub_nc_u32 v20, v5, v20 :: v_dual_bitop2_b32 v33, 1, v33 bitop3:0x40
	s_delay_alu instid0(VALU_DEP_3) | instskip(NEXT) | instid1(VALU_DEP_3)
	v_add_nc_u32_e32 v43, 4, v43
	v_cmp_eq_u32_e32 vcc_lo, 1, v44
	v_dual_sub_nc_u32 v53, v53, v4 :: v_dual_add_nc_u32 v54, v54, v2
	s_delay_alu instid0(VALU_DEP_4)
	v_add_nc_u32_e32 v20, 5, v20
	ds_store_b32 v21, v18
	v_cndmask_b32_e32 v43, v43, v57, vcc_lo
	v_cmp_eq_u32_e32 vcc_lo, 1, v58
	v_and_b32_e32 v44, 1, v64
	ds_store_b32 v1, v19
	v_and_b32_e32 v21, 1, v63
	v_sub_nc_u64_e32 v[30:31], s[30:31], v[2:3]
	v_dual_cndmask_b32 v20, v20, v56, vcc_lo :: v_dual_add_nc_u32 v56, v53, v54
	v_cmp_eq_u32_e32 vcc_lo, 1, v33
	v_sub_nc_u32_e32 v33, v52, v6
	s_mov_b32 s41, 0
	s_delay_alu instid0(VALU_DEP_3)
	v_dual_sub_nc_u32 v18, v5, v56 :: v_dual_bitop2_b32 v27, 1, v27 bitop3:0x40
	v_cndmask_b32_e32 v32, v43, v32, vcc_lo
	v_cmp_eq_u32_e32 vcc_lo, 1, v44
	v_add_nc_u64_e32 v[30:31], v[30:31], v[6:7]
	s_add_nc_u64 s[0:1], s[34:35], s[40:41]
	v_dual_add_nc_u32 v18, 6, v18 :: v_dual_cndmask_b32 v20, v20, v55, vcc_lo
	v_dual_lshlrev_b32 v1, 2, v32 :: v_dual_sub_nc_u32 v32, v77, v6
	s_delay_alu instid0(VALU_DEP_2)
	v_dual_lshlrev_b32 v19, 2, v20 :: v_dual_bitop2_b32 v20, 1, v42 bitop3:0x40
	v_sub_nc_u32_e32 v42, v79, v4
	ds_store_b32 v1, v16
	ds_store_b32 v19, v17
	v_cmp_eq_u32_e32 vcc_lo, 1, v20
	v_dual_sub_nc_u32 v20, v51, v4 :: v_dual_add_nc_u32 v32, v32, v2
	v_dual_add_nc_u32 v33, v33, v2 :: v_dual_bitop2_b32 v19, 1, v35 bitop3:0x40
	v_cndmask_b32_e32 v18, v18, v54, vcc_lo
	v_cmp_eq_u32_e32 vcc_lo, 1, v21
	s_delay_alu instid0(VALU_DEP_4) | instskip(NEXT) | instid1(VALU_DEP_3)
	v_add_nc_u32_e32 v21, v20, v32
	v_dual_cndmask_b32 v18, v18, v53 :: v_dual_sub_nc_u32 v35, v48, v4
	v_add_nc_u32_e32 v1, v42, v33
	s_delay_alu instid0(VALU_DEP_3) | instskip(SKIP_1) | instid1(VALU_DEP_4)
	v_dual_sub_nc_u32 v17, v5, v21 :: v_dual_sub_nc_u32 v21, v50, v6
	v_cmp_eq_u32_e32 vcc_lo, 1, v19
	v_dual_lshlrev_b32 v16, 2, v18 :: v_dual_bitop2_b32 v18, 1, v41 bitop3:0x40
	s_delay_alu instid0(VALU_DEP_4) | instskip(NEXT) | instid1(VALU_DEP_4)
	v_sub_nc_u32_e32 v1, v5, v1
	v_dual_add_nc_u32 v17, 7, v17 :: v_dual_add_nc_u32 v21, v21, v2
	ds_store_b32 v16, v14
	v_dual_add_nc_u32 v1, 8, v1 :: v_dual_cndmask_b32 v17, v17, v32, vcc_lo
	v_cmp_eq_u32_e32 vcc_lo, 1, v27
	v_dual_add_nc_u32 v27, v35, v21 :: v_dual_bitop2_b32 v19, 1, v36 bitop3:0x40
	s_delay_alu instid0(VALU_DEP_3) | instskip(SKIP_1) | instid1(VALU_DEP_3)
	v_cndmask_b32_e32 v1, v1, v33, vcc_lo
	v_cmp_eq_u32_e32 vcc_lo, 1, v18
	v_dual_sub_nc_u32 v14, v5, v27 :: v_dual_bitop2_b32 v18, 1, v25 bitop3:0x40
	v_cndmask_b32_e32 v17, v17, v20, vcc_lo
	v_cmp_eq_u32_e32 vcc_lo, 1, v19
	v_dual_sub_nc_u32 v19, v47, v4 :: v_dual_cndmask_b32 v1, v1, v42, vcc_lo
	s_delay_alu instid0(VALU_DEP_4) | instskip(NEXT) | instid1(VALU_DEP_2)
	v_cmp_eq_u32_e32 vcc_lo, 1, v18
	v_lshlrev_b32_e32 v1, 2, v1
	v_dual_lshlrev_b32 v16, 2, v17 :: v_dual_sub_nc_u32 v17, v49, v6
	ds_store_b32 v16, v15
	v_add_nc_u32_e32 v17, v17, v2
	v_add_nc_u32_e32 v14, 9, v14
	ds_store_b32 v1, v12
	v_dual_sub_nc_u32 v16, v45, v6 :: v_dual_add_nc_u32 v15, v19, v17
	v_dual_cndmask_b32 v14, v14, v21, vcc_lo :: v_dual_bitop2_b32 v20, 1, v26 bitop3:0x40
	v_sub_nc_u32_e32 v12, v72, v6
	s_delay_alu instid0(VALU_DEP_3) | instskip(NEXT) | instid1(VALU_DEP_3)
	v_add_nc_u32_e32 v16, v16, v2
	v_cmp_eq_u32_e32 vcc_lo, 1, v20
	v_sub_nc_u32_e32 v20, v78, v4
	v_cndmask_b32_e32 v1, v14, v35, vcc_lo
	v_dual_sub_nc_u32 v14, v5, v15 :: v_dual_bitop2_b32 v15, 1, v40 bitop3:0x40
	v_dual_sub_nc_u32 v18, v46, v4 :: v_dual_add_nc_u32 v12, v12, v2
	s_delay_alu instid0(VALU_DEP_2) | instskip(NEXT) | instid1(VALU_DEP_3)
	v_dual_add_nc_u32 v14, 10, v14 :: v_dual_bitop2_b32 v4, 1, v24 bitop3:0x40
	v_cmp_eq_u32_e32 vcc_lo, 1, v15
	v_add_nc_u32_e32 v15, v20, v16
	s_delay_alu instid0(VALU_DEP_4) | instskip(NEXT) | instid1(VALU_DEP_4)
	v_dual_add_nc_u32 v21, v18, v12 :: v_dual_lshlrev_b32 v1, 2, v1
	v_cndmask_b32_e32 v14, v14, v17, vcc_lo
	v_cmp_eq_u32_e32 vcc_lo, 1, v4
	s_delay_alu instid0(VALU_DEP_3) | instskip(SKIP_4) | instid1(VALU_DEP_3)
	v_dual_sub_nc_u32 v17, v5, v21 :: v_dual_sub_nc_u32 v4, v5, v15
	ds_store_b32 v1, v13
	v_dual_cndmask_b32 v14, v14, v19, vcc_lo :: v_dual_bitop2_b32 v19, 1, v34 bitop3:0x40
	v_dual_add_nc_u32 v17, 11, v17 :: v_dual_bitop2_b32 v15, 1, v39 bitop3:0x40
	v_dual_add_nc_u32 v24, 12, v4 :: v_dual_bitop2_b32 v21, 1, v38 bitop3:0x40
	v_cmp_eq_u32_e32 vcc_lo, 1, v19
	v_add_nc_u64_e32 v[4:5], v[8:9], v[60:61]
	s_delay_alu instid0(VALU_DEP_4) | instskip(SKIP_2) | instid1(VALU_DEP_4)
	v_dual_lshlrev_b32 v14, 2, v14 :: v_dual_cndmask_b32 v12, v17, v12, vcc_lo
	v_and_b32_e32 v17, 1, v37
	v_cmp_eq_u32_e32 vcc_lo, 1, v21
	v_add_nc_u64_e32 v[4:5], v[4:5], v[30:31]
	ds_store_b32 v14, v10
	v_cndmask_b32_e32 v16, v24, v16, vcc_lo
	v_cmp_eq_u32_e32 vcc_lo, 1, v15
	v_add_nc_u64_e32 v[4:5], v[4:5], v[22:23]
	v_cndmask_b32_e32 v12, v12, v18, vcc_lo
	v_cmp_eq_u32_e32 vcc_lo, 1, v17
	v_cndmask_b32_e32 v15, v16, v20, vcc_lo
	v_cmp_ne_u32_e32 vcc_lo, 1, v29
	s_delay_alu instid0(VALU_DEP_2)
	v_dual_lshlrev_b32 v10, 2, v15 :: v_dual_lshlrev_b32 v1, 2, v12
	v_lshlrev_b64_e32 v[12:13], 2, v[30:31]
	v_lshlrev_b64_e32 v[14:15], 2, v[22:23]
	s_and_b32 vcc_lo, exec_lo, vcc_lo
	ds_store_b32 v1, v11
	ds_store_b32 v10, v28
	v_sub_nc_u64_e32 v[10:11], s[0:1], v[4:5]
	v_add_nc_u64_e32 v[4:5], s[38:39], v[12:13]
	v_add_nc_u64_e32 v[12:13], s[36:37], v[14:15]
	v_add_nc_u32_e32 v14, v2, v8
	s_mov_b32 s0, -1
	s_wait_dscnt 0x0
	s_barrier_signal -1
	s_barrier_wait -1
	s_cbranch_vccz .LBB1562_150
; %bb.147:
	s_and_b32 vcc_lo, exec_lo, s0
	s_cbranch_vccnz .LBB1562_255
.LBB1562_148:
	v_cmp_eq_u32_e32 vcc_lo, 0, v0
	s_and_b32 s0, vcc_lo, s15
	s_delay_alu instid0(SALU_CYCLE_1)
	s_and_saveexec_b32 s1, s0
	s_cbranch_execnz .LBB1562_373
.LBB1562_149:
	s_sendmsg sendmsg(MSG_DEALLOC_VGPRS)
	s_endpgm
.LBB1562_150:
	s_mov_b32 s0, exec_lo
	v_cmpx_ge_u32_e64 v0, v2
	s_xor_b32 s0, exec_lo, s0
	s_cbranch_execz .LBB1562_156
; %bb.151:
	v_mov_b32_e32 v1, 0
	s_mov_b32 s1, exec_lo
	v_cmpx_ge_u32_e64 v0, v14
	s_xor_b32 s1, exec_lo, s1
	s_cbranch_execz .LBB1562_153
; %bb.152:
	v_lshlrev_b32_e32 v15, 2, v0
	v_add_nc_u64_e32 v[16:17], v[10:11], v[0:1]
	ds_load_b32 v1, v15
	v_lshlrev_b64_e32 v[16:17], 2, v[16:17]
	s_delay_alu instid0(VALU_DEP_1)
	v_sub_nc_u64_e32 v[16:17], s[26:27], v[16:17]
	s_wait_dscnt 0x0
	global_store_b32 v[16:17], v1, off offset:-4
.LBB1562_153:
	s_wait_xcnt 0x0
	s_and_not1_saveexec_b32 s1, s1
	s_cbranch_execz .LBB1562_155
; %bb.154:
	v_lshlrev_b32_e32 v1, 2, v0
	v_readfirstlane_b32 s2, v4
	v_readfirstlane_b32 s3, v5
	ds_load_b32 v1, v1
	s_wait_dscnt 0x0
	global_store_b32 v0, v1, s[2:3] scale_offset
.LBB1562_155:
	s_wait_xcnt 0x0
	s_or_b32 exec_lo, exec_lo, s1
.LBB1562_156:
	s_and_not1_saveexec_b32 s0, s0
	s_cbranch_execz .LBB1562_158
; %bb.157:
	v_lshlrev_b32_e32 v1, 2, v0
	v_readfirstlane_b32 s2, v12
	v_readfirstlane_b32 s3, v13
	ds_load_b32 v1, v1
	s_wait_dscnt 0x0
	global_store_b32 v0, v1, s[2:3] scale_offset
.LBB1562_158:
	s_wait_xcnt 0x0
	s_or_b32 exec_lo, exec_lo, s0
	v_or_b32_e32 v1, 0x100, v0
	s_mov_b32 s0, exec_lo
	s_delay_alu instid0(VALU_DEP_1)
	v_cmpx_ge_u32_e64 v1, v2
	s_xor_b32 s0, exec_lo, s0
	s_cbranch_execz .LBB1562_164
; %bb.159:
	s_mov_b32 s1, exec_lo
	v_cmpx_ge_u32_e64 v1, v14
	s_xor_b32 s1, exec_lo, s1
	s_cbranch_execz .LBB1562_161
; %bb.160:
	v_dual_mov_b32 v1, 0 :: v_dual_lshlrev_b32 v15, 2, v0
	s_delay_alu instid0(VALU_DEP_1) | instskip(SKIP_2) | instid1(VALU_DEP_1)
	v_add_nc_u64_e32 v[16:17], v[10:11], v[0:1]
	ds_load_b32 v1, v15 offset:1024
	v_lshlrev_b64_e32 v[16:17], 2, v[16:17]
	v_sub_nc_u64_e32 v[16:17], s[26:27], v[16:17]
	s_wait_dscnt 0x0
	global_store_b32 v[16:17], v1, off offset:-1028
.LBB1562_161:
	s_wait_xcnt 0x0
	s_and_not1_saveexec_b32 s1, s1
	s_cbranch_execz .LBB1562_163
; %bb.162:
	v_lshlrev_b32_e32 v1, 2, v0
	v_readfirstlane_b32 s2, v4
	v_readfirstlane_b32 s3, v5
	ds_load_b32 v1, v1 offset:1024
	s_wait_dscnt 0x0
	global_store_b32 v0, v1, s[2:3] offset:1024 scale_offset
.LBB1562_163:
	s_wait_xcnt 0x0
	s_or_b32 exec_lo, exec_lo, s1
.LBB1562_164:
	s_and_not1_saveexec_b32 s0, s0
	s_cbranch_execz .LBB1562_166
; %bb.165:
	v_lshlrev_b32_e32 v1, 2, v0
	v_readfirstlane_b32 s2, v12
	v_readfirstlane_b32 s3, v13
	ds_load_b32 v1, v1 offset:1024
	s_wait_dscnt 0x0
	global_store_b32 v0, v1, s[2:3] offset:1024 scale_offset
.LBB1562_166:
	s_wait_xcnt 0x0
	s_or_b32 exec_lo, exec_lo, s0
	v_or_b32_e32 v1, 0x200, v0
	s_mov_b32 s0, exec_lo
	s_delay_alu instid0(VALU_DEP_1)
	v_cmpx_ge_u32_e64 v1, v2
	s_xor_b32 s0, exec_lo, s0
	s_cbranch_execz .LBB1562_172
; %bb.167:
	s_mov_b32 s1, exec_lo
	v_cmpx_ge_u32_e64 v1, v14
	s_xor_b32 s1, exec_lo, s1
	s_cbranch_execz .LBB1562_169
; %bb.168:
	v_dual_mov_b32 v1, 0 :: v_dual_lshlrev_b32 v15, 2, v0
	s_delay_alu instid0(VALU_DEP_1) | instskip(SKIP_2) | instid1(VALU_DEP_1)
	v_add_nc_u64_e32 v[16:17], v[10:11], v[0:1]
	ds_load_b32 v1, v15 offset:2048
	v_lshlrev_b64_e32 v[16:17], 2, v[16:17]
	v_sub_nc_u64_e32 v[16:17], s[26:27], v[16:17]
	s_wait_dscnt 0x0
	global_store_b32 v[16:17], v1, off offset:-2052
.LBB1562_169:
	s_wait_xcnt 0x0
	s_and_not1_saveexec_b32 s1, s1
	s_cbranch_execz .LBB1562_171
; %bb.170:
	v_lshlrev_b32_e32 v1, 2, v0
	v_readfirstlane_b32 s2, v4
	v_readfirstlane_b32 s3, v5
	ds_load_b32 v1, v1 offset:2048
	s_wait_dscnt 0x0
	global_store_b32 v0, v1, s[2:3] offset:2048 scale_offset
.LBB1562_171:
	s_wait_xcnt 0x0
	s_or_b32 exec_lo, exec_lo, s1
.LBB1562_172:
	s_and_not1_saveexec_b32 s0, s0
	s_cbranch_execz .LBB1562_174
; %bb.173:
	v_lshlrev_b32_e32 v1, 2, v0
	v_readfirstlane_b32 s2, v12
	v_readfirstlane_b32 s3, v13
	ds_load_b32 v1, v1 offset:2048
	s_wait_dscnt 0x0
	global_store_b32 v0, v1, s[2:3] offset:2048 scale_offset
.LBB1562_174:
	;; [unrolled: 47-line block ×12, first 2 shown]
	s_wait_xcnt 0x0
	s_or_b32 exec_lo, exec_lo, s0
	s_branch .LBB1562_148
.LBB1562_255:
	s_mov_b32 s0, exec_lo
	v_cmpx_gt_u32_e64 s6, v0
	s_cbranch_execz .LBB1562_264
; %bb.256:
	s_mov_b32 s1, exec_lo
	v_cmpx_ge_u32_e64 v0, v2
	s_xor_b32 s1, exec_lo, s1
	s_cbranch_execz .LBB1562_262
; %bb.257:
	v_mov_b32_e32 v1, 0
	s_mov_b32 s2, exec_lo
	v_cmpx_ge_u32_e64 v0, v14
	s_xor_b32 s2, exec_lo, s2
	s_cbranch_execz .LBB1562_259
; %bb.258:
	v_lshlrev_b32_e32 v15, 2, v0
	v_add_nc_u64_e32 v[16:17], v[10:11], v[0:1]
	ds_load_b32 v1, v15
	v_lshlrev_b64_e32 v[16:17], 2, v[16:17]
	s_delay_alu instid0(VALU_DEP_1)
	v_sub_nc_u64_e32 v[16:17], s[26:27], v[16:17]
	s_wait_dscnt 0x0
	global_store_b32 v[16:17], v1, off offset:-4
.LBB1562_259:
	s_wait_xcnt 0x0
	s_and_not1_saveexec_b32 s2, s2
	s_cbranch_execz .LBB1562_261
; %bb.260:
	v_lshlrev_b32_e32 v1, 2, v0
	v_readfirstlane_b32 s4, v4
	v_readfirstlane_b32 s5, v5
	ds_load_b32 v1, v1
	s_wait_dscnt 0x0
	global_store_b32 v0, v1, s[4:5] scale_offset
.LBB1562_261:
	s_wait_xcnt 0x0
	s_or_b32 exec_lo, exec_lo, s2
.LBB1562_262:
	s_and_not1_saveexec_b32 s1, s1
	s_cbranch_execz .LBB1562_264
; %bb.263:
	v_lshlrev_b32_e32 v1, 2, v0
	v_readfirstlane_b32 s2, v12
	v_readfirstlane_b32 s3, v13
	ds_load_b32 v1, v1
	s_wait_dscnt 0x0
	global_store_b32 v0, v1, s[2:3] scale_offset
.LBB1562_264:
	s_wait_xcnt 0x0
	s_or_b32 exec_lo, exec_lo, s0
	v_or_b32_e32 v1, 0x100, v0
	s_mov_b32 s0, exec_lo
	s_delay_alu instid0(VALU_DEP_1)
	v_cmpx_gt_u32_e64 s6, v1
	s_cbranch_execz .LBB1562_273
; %bb.265:
	s_mov_b32 s1, exec_lo
	v_cmpx_ge_u32_e64 v1, v2
	s_xor_b32 s1, exec_lo, s1
	s_cbranch_execz .LBB1562_271
; %bb.266:
	s_mov_b32 s2, exec_lo
	v_cmpx_ge_u32_e64 v1, v14
	s_xor_b32 s2, exec_lo, s2
	s_cbranch_execz .LBB1562_268
; %bb.267:
	v_dual_mov_b32 v1, 0 :: v_dual_lshlrev_b32 v15, 2, v0
	s_delay_alu instid0(VALU_DEP_1) | instskip(SKIP_2) | instid1(VALU_DEP_1)
	v_add_nc_u64_e32 v[16:17], v[10:11], v[0:1]
	ds_load_b32 v1, v15 offset:1024
	v_lshlrev_b64_e32 v[16:17], 2, v[16:17]
	v_sub_nc_u64_e32 v[16:17], s[26:27], v[16:17]
	s_wait_dscnt 0x0
	global_store_b32 v[16:17], v1, off offset:-1028
.LBB1562_268:
	s_wait_xcnt 0x0
	s_and_not1_saveexec_b32 s2, s2
	s_cbranch_execz .LBB1562_270
; %bb.269:
	v_lshlrev_b32_e32 v1, 2, v0
	v_readfirstlane_b32 s4, v4
	v_readfirstlane_b32 s5, v5
	ds_load_b32 v1, v1 offset:1024
	s_wait_dscnt 0x0
	global_store_b32 v0, v1, s[4:5] offset:1024 scale_offset
.LBB1562_270:
	s_wait_xcnt 0x0
	s_or_b32 exec_lo, exec_lo, s2
.LBB1562_271:
	s_and_not1_saveexec_b32 s1, s1
	s_cbranch_execz .LBB1562_273
; %bb.272:
	v_lshlrev_b32_e32 v1, 2, v0
	v_readfirstlane_b32 s2, v12
	v_readfirstlane_b32 s3, v13
	ds_load_b32 v1, v1 offset:1024
	s_wait_dscnt 0x0
	global_store_b32 v0, v1, s[2:3] offset:1024 scale_offset
.LBB1562_273:
	s_wait_xcnt 0x0
	s_or_b32 exec_lo, exec_lo, s0
	v_or_b32_e32 v1, 0x200, v0
	s_mov_b32 s0, exec_lo
	s_delay_alu instid0(VALU_DEP_1)
	v_cmpx_gt_u32_e64 s6, v1
	s_cbranch_execz .LBB1562_282
; %bb.274:
	s_mov_b32 s1, exec_lo
	v_cmpx_ge_u32_e64 v1, v2
	s_xor_b32 s1, exec_lo, s1
	s_cbranch_execz .LBB1562_280
; %bb.275:
	s_mov_b32 s2, exec_lo
	v_cmpx_ge_u32_e64 v1, v14
	s_xor_b32 s2, exec_lo, s2
	s_cbranch_execz .LBB1562_277
; %bb.276:
	v_dual_mov_b32 v1, 0 :: v_dual_lshlrev_b32 v15, 2, v0
	s_delay_alu instid0(VALU_DEP_1) | instskip(SKIP_2) | instid1(VALU_DEP_1)
	v_add_nc_u64_e32 v[16:17], v[10:11], v[0:1]
	ds_load_b32 v1, v15 offset:2048
	v_lshlrev_b64_e32 v[16:17], 2, v[16:17]
	v_sub_nc_u64_e32 v[16:17], s[26:27], v[16:17]
	s_wait_dscnt 0x0
	global_store_b32 v[16:17], v1, off offset:-2052
.LBB1562_277:
	s_wait_xcnt 0x0
	s_and_not1_saveexec_b32 s2, s2
	s_cbranch_execz .LBB1562_279
; %bb.278:
	v_lshlrev_b32_e32 v1, 2, v0
	v_readfirstlane_b32 s4, v4
	v_readfirstlane_b32 s5, v5
	ds_load_b32 v1, v1 offset:2048
	s_wait_dscnt 0x0
	global_store_b32 v0, v1, s[4:5] offset:2048 scale_offset
.LBB1562_279:
	s_wait_xcnt 0x0
	s_or_b32 exec_lo, exec_lo, s2
.LBB1562_280:
	s_and_not1_saveexec_b32 s1, s1
	s_cbranch_execz .LBB1562_282
; %bb.281:
	v_lshlrev_b32_e32 v1, 2, v0
	v_readfirstlane_b32 s2, v12
	v_readfirstlane_b32 s3, v13
	ds_load_b32 v1, v1 offset:2048
	s_wait_dscnt 0x0
	global_store_b32 v0, v1, s[2:3] offset:2048 scale_offset
.LBB1562_282:
	;; [unrolled: 51-line block ×11, first 2 shown]
	s_wait_xcnt 0x0
	s_or_b32 exec_lo, exec_lo, s0
	v_or_b32_e32 v1, 0xc00, v0
	s_mov_b32 s0, exec_lo
	s_delay_alu instid0(VALU_DEP_1)
	v_cmpx_gt_u32_e64 s6, v1
	s_cbranch_execz .LBB1562_372
; %bb.364:
	s_mov_b32 s1, exec_lo
	v_cmpx_ge_u32_e64 v1, v2
	s_xor_b32 s1, exec_lo, s1
	s_cbranch_execz .LBB1562_370
; %bb.365:
	s_mov_b32 s2, exec_lo
	v_cmpx_ge_u32_e64 v1, v14
	s_xor_b32 s2, exec_lo, s2
	s_cbranch_execz .LBB1562_367
; %bb.366:
	v_dual_mov_b32 v1, 0 :: v_dual_lshlrev_b32 v12, 2, v0
	s_delay_alu instid0(VALU_DEP_1) | instskip(SKIP_2) | instid1(VALU_DEP_1)
	v_add_nc_u64_e32 v[4:5], v[10:11], v[0:1]
	ds_load_b32 v1, v12 offset:12288
	v_lshlrev_b64_e32 v[4:5], 2, v[4:5]
	v_sub_nc_u64_e32 v[4:5], s[26:27], v[4:5]
	s_wait_dscnt 0x0
	global_store_b32 v[4:5], v1, off offset:-12292
                                        ; implicit-def: $vgpr4_vgpr5
.LBB1562_367:
	s_wait_xcnt 0x0
	s_and_not1_saveexec_b32 s2, s2
	s_cbranch_execz .LBB1562_369
; %bb.368:
	v_lshlrev_b32_e32 v1, 2, v0
	v_readfirstlane_b32 s4, v4
	v_readfirstlane_b32 s5, v5
	ds_load_b32 v1, v1 offset:12288
	s_wait_dscnt 0x0
	global_store_b32 v0, v1, s[4:5] offset:12288 scale_offset
.LBB1562_369:
	s_wait_xcnt 0x0
	s_or_b32 exec_lo, exec_lo, s2
                                        ; implicit-def: $vgpr12_vgpr13
.LBB1562_370:
	s_and_not1_saveexec_b32 s1, s1
	s_cbranch_execz .LBB1562_372
; %bb.371:
	v_lshlrev_b32_e32 v1, 2, v0
	v_readfirstlane_b32 s2, v12
	v_readfirstlane_b32 s3, v13
	ds_load_b32 v1, v1 offset:12288
	s_wait_dscnt 0x0
	global_store_b32 v0, v1, s[2:3] offset:12288 scale_offset
.LBB1562_372:
	s_wait_xcnt 0x0
	s_or_b32 exec_lo, exec_lo, s0
	v_cmp_eq_u32_e32 vcc_lo, 0, v0
	s_and_b32 s0, vcc_lo, s15
	s_delay_alu instid0(SALU_CYCLE_1)
	s_and_saveexec_b32 s1, s0
	s_cbranch_execz .LBB1562_149
.LBB1562_373:
	v_add_nc_u64_e32 v[0:1], s[30:31], v[8:9]
	v_add_nc_u64_e32 v[2:3], v[22:23], v[2:3]
	s_delay_alu instid0(VALU_DEP_2)
	v_add_nc_u64_e32 v[4:5], v[0:1], v[6:7]
	v_mov_b32_e32 v0, 0
	global_store_b128 v0, v[2:5], s[24:25]
	s_sendmsg sendmsg(MSG_DEALLOC_VGPRS)
	s_endpgm
	.section	.rodata,"a",@progbits
	.p2align	6, 0x0
	.amdhsa_kernel _ZN7rocprim17ROCPRIM_400000_NS6detail17trampoline_kernelINS0_13select_configILj256ELj13ELNS0_17block_load_methodE3ELS4_3ELS4_3ELNS0_20block_scan_algorithmE0ELj4294967295EEENS1_25partition_config_selectorILNS1_17partition_subalgoE4EjNS0_10empty_typeEbEEZZNS1_14partition_implILS8_4ELb0ES6_15HIP_vector_typeIjLj2EENS0_17counting_iteratorIjlEEPS9_SG_NS0_5tupleIJPjSI_NS0_16reverse_iteratorISI_EEEEENSH_IJSG_SG_SG_EEES9_SI_JZNS1_25segmented_radix_sort_implINS0_14default_configELb0EPKbPbPKlPlN2at6native12_GLOBAL__N_18offset_tEEE10hipError_tPvRmT1_PNSt15iterator_traitsIS12_E10value_typeET2_T3_PNS13_IS18_E10value_typeET4_jRbjT5_S1E_jjP12ihipStream_tbEUljE_ZNSN_ISO_Lb0ESQ_SR_ST_SU_SY_EESZ_S10_S11_S12_S16_S17_S18_S1B_S1C_jS1D_jS1E_S1E_jjS1G_bEUljE0_EEESZ_S10_S11_S18_S1C_S1E_T6_T7_T9_mT8_S1G_bDpT10_ENKUlT_T0_E_clISt17integral_constantIbLb0EES1U_EEDaS1P_S1Q_EUlS1P_E_NS1_11comp_targetILNS1_3genE0ELNS1_11target_archE4294967295ELNS1_3gpuE0ELNS1_3repE0EEENS1_30default_config_static_selectorELNS0_4arch9wavefront6targetE0EEEvS12_
		.amdhsa_group_segment_fixed_size 13328
		.amdhsa_private_segment_fixed_size 0
		.amdhsa_kernarg_size 176
		.amdhsa_user_sgpr_count 2
		.amdhsa_user_sgpr_dispatch_ptr 0
		.amdhsa_user_sgpr_queue_ptr 0
		.amdhsa_user_sgpr_kernarg_segment_ptr 1
		.amdhsa_user_sgpr_dispatch_id 0
		.amdhsa_user_sgpr_kernarg_preload_length 0
		.amdhsa_user_sgpr_kernarg_preload_offset 0
		.amdhsa_user_sgpr_private_segment_size 0
		.amdhsa_wavefront_size32 1
		.amdhsa_uses_dynamic_stack 0
		.amdhsa_enable_private_segment 0
		.amdhsa_system_sgpr_workgroup_id_x 1
		.amdhsa_system_sgpr_workgroup_id_y 0
		.amdhsa_system_sgpr_workgroup_id_z 0
		.amdhsa_system_sgpr_workgroup_info 0
		.amdhsa_system_vgpr_workitem_id 0
		.amdhsa_next_free_vgpr 81
		.amdhsa_next_free_sgpr 59
		.amdhsa_named_barrier_count 0
		.amdhsa_reserve_vcc 1
		.amdhsa_float_round_mode_32 0
		.amdhsa_float_round_mode_16_64 0
		.amdhsa_float_denorm_mode_32 3
		.amdhsa_float_denorm_mode_16_64 3
		.amdhsa_fp16_overflow 0
		.amdhsa_memory_ordered 1
		.amdhsa_forward_progress 1
		.amdhsa_inst_pref_size 139
		.amdhsa_round_robin_scheduling 0
		.amdhsa_exception_fp_ieee_invalid_op 0
		.amdhsa_exception_fp_denorm_src 0
		.amdhsa_exception_fp_ieee_div_zero 0
		.amdhsa_exception_fp_ieee_overflow 0
		.amdhsa_exception_fp_ieee_underflow 0
		.amdhsa_exception_fp_ieee_inexact 0
		.amdhsa_exception_int_div_zero 0
	.end_amdhsa_kernel
	.section	.text._ZN7rocprim17ROCPRIM_400000_NS6detail17trampoline_kernelINS0_13select_configILj256ELj13ELNS0_17block_load_methodE3ELS4_3ELS4_3ELNS0_20block_scan_algorithmE0ELj4294967295EEENS1_25partition_config_selectorILNS1_17partition_subalgoE4EjNS0_10empty_typeEbEEZZNS1_14partition_implILS8_4ELb0ES6_15HIP_vector_typeIjLj2EENS0_17counting_iteratorIjlEEPS9_SG_NS0_5tupleIJPjSI_NS0_16reverse_iteratorISI_EEEEENSH_IJSG_SG_SG_EEES9_SI_JZNS1_25segmented_radix_sort_implINS0_14default_configELb0EPKbPbPKlPlN2at6native12_GLOBAL__N_18offset_tEEE10hipError_tPvRmT1_PNSt15iterator_traitsIS12_E10value_typeET2_T3_PNS13_IS18_E10value_typeET4_jRbjT5_S1E_jjP12ihipStream_tbEUljE_ZNSN_ISO_Lb0ESQ_SR_ST_SU_SY_EESZ_S10_S11_S12_S16_S17_S18_S1B_S1C_jS1D_jS1E_S1E_jjS1G_bEUljE0_EEESZ_S10_S11_S18_S1C_S1E_T6_T7_T9_mT8_S1G_bDpT10_ENKUlT_T0_E_clISt17integral_constantIbLb0EES1U_EEDaS1P_S1Q_EUlS1P_E_NS1_11comp_targetILNS1_3genE0ELNS1_11target_archE4294967295ELNS1_3gpuE0ELNS1_3repE0EEENS1_30default_config_static_selectorELNS0_4arch9wavefront6targetE0EEEvS12_,"axG",@progbits,_ZN7rocprim17ROCPRIM_400000_NS6detail17trampoline_kernelINS0_13select_configILj256ELj13ELNS0_17block_load_methodE3ELS4_3ELS4_3ELNS0_20block_scan_algorithmE0ELj4294967295EEENS1_25partition_config_selectorILNS1_17partition_subalgoE4EjNS0_10empty_typeEbEEZZNS1_14partition_implILS8_4ELb0ES6_15HIP_vector_typeIjLj2EENS0_17counting_iteratorIjlEEPS9_SG_NS0_5tupleIJPjSI_NS0_16reverse_iteratorISI_EEEEENSH_IJSG_SG_SG_EEES9_SI_JZNS1_25segmented_radix_sort_implINS0_14default_configELb0EPKbPbPKlPlN2at6native12_GLOBAL__N_18offset_tEEE10hipError_tPvRmT1_PNSt15iterator_traitsIS12_E10value_typeET2_T3_PNS13_IS18_E10value_typeET4_jRbjT5_S1E_jjP12ihipStream_tbEUljE_ZNSN_ISO_Lb0ESQ_SR_ST_SU_SY_EESZ_S10_S11_S12_S16_S17_S18_S1B_S1C_jS1D_jS1E_S1E_jjS1G_bEUljE0_EEESZ_S10_S11_S18_S1C_S1E_T6_T7_T9_mT8_S1G_bDpT10_ENKUlT_T0_E_clISt17integral_constantIbLb0EES1U_EEDaS1P_S1Q_EUlS1P_E_NS1_11comp_targetILNS1_3genE0ELNS1_11target_archE4294967295ELNS1_3gpuE0ELNS1_3repE0EEENS1_30default_config_static_selectorELNS0_4arch9wavefront6targetE0EEEvS12_,comdat
.Lfunc_end1562:
	.size	_ZN7rocprim17ROCPRIM_400000_NS6detail17trampoline_kernelINS0_13select_configILj256ELj13ELNS0_17block_load_methodE3ELS4_3ELS4_3ELNS0_20block_scan_algorithmE0ELj4294967295EEENS1_25partition_config_selectorILNS1_17partition_subalgoE4EjNS0_10empty_typeEbEEZZNS1_14partition_implILS8_4ELb0ES6_15HIP_vector_typeIjLj2EENS0_17counting_iteratorIjlEEPS9_SG_NS0_5tupleIJPjSI_NS0_16reverse_iteratorISI_EEEEENSH_IJSG_SG_SG_EEES9_SI_JZNS1_25segmented_radix_sort_implINS0_14default_configELb0EPKbPbPKlPlN2at6native12_GLOBAL__N_18offset_tEEE10hipError_tPvRmT1_PNSt15iterator_traitsIS12_E10value_typeET2_T3_PNS13_IS18_E10value_typeET4_jRbjT5_S1E_jjP12ihipStream_tbEUljE_ZNSN_ISO_Lb0ESQ_SR_ST_SU_SY_EESZ_S10_S11_S12_S16_S17_S18_S1B_S1C_jS1D_jS1E_S1E_jjS1G_bEUljE0_EEESZ_S10_S11_S18_S1C_S1E_T6_T7_T9_mT8_S1G_bDpT10_ENKUlT_T0_E_clISt17integral_constantIbLb0EES1U_EEDaS1P_S1Q_EUlS1P_E_NS1_11comp_targetILNS1_3genE0ELNS1_11target_archE4294967295ELNS1_3gpuE0ELNS1_3repE0EEENS1_30default_config_static_selectorELNS0_4arch9wavefront6targetE0EEEvS12_, .Lfunc_end1562-_ZN7rocprim17ROCPRIM_400000_NS6detail17trampoline_kernelINS0_13select_configILj256ELj13ELNS0_17block_load_methodE3ELS4_3ELS4_3ELNS0_20block_scan_algorithmE0ELj4294967295EEENS1_25partition_config_selectorILNS1_17partition_subalgoE4EjNS0_10empty_typeEbEEZZNS1_14partition_implILS8_4ELb0ES6_15HIP_vector_typeIjLj2EENS0_17counting_iteratorIjlEEPS9_SG_NS0_5tupleIJPjSI_NS0_16reverse_iteratorISI_EEEEENSH_IJSG_SG_SG_EEES9_SI_JZNS1_25segmented_radix_sort_implINS0_14default_configELb0EPKbPbPKlPlN2at6native12_GLOBAL__N_18offset_tEEE10hipError_tPvRmT1_PNSt15iterator_traitsIS12_E10value_typeET2_T3_PNS13_IS18_E10value_typeET4_jRbjT5_S1E_jjP12ihipStream_tbEUljE_ZNSN_ISO_Lb0ESQ_SR_ST_SU_SY_EESZ_S10_S11_S12_S16_S17_S18_S1B_S1C_jS1D_jS1E_S1E_jjS1G_bEUljE0_EEESZ_S10_S11_S18_S1C_S1E_T6_T7_T9_mT8_S1G_bDpT10_ENKUlT_T0_E_clISt17integral_constantIbLb0EES1U_EEDaS1P_S1Q_EUlS1P_E_NS1_11comp_targetILNS1_3genE0ELNS1_11target_archE4294967295ELNS1_3gpuE0ELNS1_3repE0EEENS1_30default_config_static_selectorELNS0_4arch9wavefront6targetE0EEEvS12_
                                        ; -- End function
	.set _ZN7rocprim17ROCPRIM_400000_NS6detail17trampoline_kernelINS0_13select_configILj256ELj13ELNS0_17block_load_methodE3ELS4_3ELS4_3ELNS0_20block_scan_algorithmE0ELj4294967295EEENS1_25partition_config_selectorILNS1_17partition_subalgoE4EjNS0_10empty_typeEbEEZZNS1_14partition_implILS8_4ELb0ES6_15HIP_vector_typeIjLj2EENS0_17counting_iteratorIjlEEPS9_SG_NS0_5tupleIJPjSI_NS0_16reverse_iteratorISI_EEEEENSH_IJSG_SG_SG_EEES9_SI_JZNS1_25segmented_radix_sort_implINS0_14default_configELb0EPKbPbPKlPlN2at6native12_GLOBAL__N_18offset_tEEE10hipError_tPvRmT1_PNSt15iterator_traitsIS12_E10value_typeET2_T3_PNS13_IS18_E10value_typeET4_jRbjT5_S1E_jjP12ihipStream_tbEUljE_ZNSN_ISO_Lb0ESQ_SR_ST_SU_SY_EESZ_S10_S11_S12_S16_S17_S18_S1B_S1C_jS1D_jS1E_S1E_jjS1G_bEUljE0_EEESZ_S10_S11_S18_S1C_S1E_T6_T7_T9_mT8_S1G_bDpT10_ENKUlT_T0_E_clISt17integral_constantIbLb0EES1U_EEDaS1P_S1Q_EUlS1P_E_NS1_11comp_targetILNS1_3genE0ELNS1_11target_archE4294967295ELNS1_3gpuE0ELNS1_3repE0EEENS1_30default_config_static_selectorELNS0_4arch9wavefront6targetE0EEEvS12_.num_vgpr, 81
	.set _ZN7rocprim17ROCPRIM_400000_NS6detail17trampoline_kernelINS0_13select_configILj256ELj13ELNS0_17block_load_methodE3ELS4_3ELS4_3ELNS0_20block_scan_algorithmE0ELj4294967295EEENS1_25partition_config_selectorILNS1_17partition_subalgoE4EjNS0_10empty_typeEbEEZZNS1_14partition_implILS8_4ELb0ES6_15HIP_vector_typeIjLj2EENS0_17counting_iteratorIjlEEPS9_SG_NS0_5tupleIJPjSI_NS0_16reverse_iteratorISI_EEEEENSH_IJSG_SG_SG_EEES9_SI_JZNS1_25segmented_radix_sort_implINS0_14default_configELb0EPKbPbPKlPlN2at6native12_GLOBAL__N_18offset_tEEE10hipError_tPvRmT1_PNSt15iterator_traitsIS12_E10value_typeET2_T3_PNS13_IS18_E10value_typeET4_jRbjT5_S1E_jjP12ihipStream_tbEUljE_ZNSN_ISO_Lb0ESQ_SR_ST_SU_SY_EESZ_S10_S11_S12_S16_S17_S18_S1B_S1C_jS1D_jS1E_S1E_jjS1G_bEUljE0_EEESZ_S10_S11_S18_S1C_S1E_T6_T7_T9_mT8_S1G_bDpT10_ENKUlT_T0_E_clISt17integral_constantIbLb0EES1U_EEDaS1P_S1Q_EUlS1P_E_NS1_11comp_targetILNS1_3genE0ELNS1_11target_archE4294967295ELNS1_3gpuE0ELNS1_3repE0EEENS1_30default_config_static_selectorELNS0_4arch9wavefront6targetE0EEEvS12_.num_agpr, 0
	.set _ZN7rocprim17ROCPRIM_400000_NS6detail17trampoline_kernelINS0_13select_configILj256ELj13ELNS0_17block_load_methodE3ELS4_3ELS4_3ELNS0_20block_scan_algorithmE0ELj4294967295EEENS1_25partition_config_selectorILNS1_17partition_subalgoE4EjNS0_10empty_typeEbEEZZNS1_14partition_implILS8_4ELb0ES6_15HIP_vector_typeIjLj2EENS0_17counting_iteratorIjlEEPS9_SG_NS0_5tupleIJPjSI_NS0_16reverse_iteratorISI_EEEEENSH_IJSG_SG_SG_EEES9_SI_JZNS1_25segmented_radix_sort_implINS0_14default_configELb0EPKbPbPKlPlN2at6native12_GLOBAL__N_18offset_tEEE10hipError_tPvRmT1_PNSt15iterator_traitsIS12_E10value_typeET2_T3_PNS13_IS18_E10value_typeET4_jRbjT5_S1E_jjP12ihipStream_tbEUljE_ZNSN_ISO_Lb0ESQ_SR_ST_SU_SY_EESZ_S10_S11_S12_S16_S17_S18_S1B_S1C_jS1D_jS1E_S1E_jjS1G_bEUljE0_EEESZ_S10_S11_S18_S1C_S1E_T6_T7_T9_mT8_S1G_bDpT10_ENKUlT_T0_E_clISt17integral_constantIbLb0EES1U_EEDaS1P_S1Q_EUlS1P_E_NS1_11comp_targetILNS1_3genE0ELNS1_11target_archE4294967295ELNS1_3gpuE0ELNS1_3repE0EEENS1_30default_config_static_selectorELNS0_4arch9wavefront6targetE0EEEvS12_.numbered_sgpr, 59
	.set _ZN7rocprim17ROCPRIM_400000_NS6detail17trampoline_kernelINS0_13select_configILj256ELj13ELNS0_17block_load_methodE3ELS4_3ELS4_3ELNS0_20block_scan_algorithmE0ELj4294967295EEENS1_25partition_config_selectorILNS1_17partition_subalgoE4EjNS0_10empty_typeEbEEZZNS1_14partition_implILS8_4ELb0ES6_15HIP_vector_typeIjLj2EENS0_17counting_iteratorIjlEEPS9_SG_NS0_5tupleIJPjSI_NS0_16reverse_iteratorISI_EEEEENSH_IJSG_SG_SG_EEES9_SI_JZNS1_25segmented_radix_sort_implINS0_14default_configELb0EPKbPbPKlPlN2at6native12_GLOBAL__N_18offset_tEEE10hipError_tPvRmT1_PNSt15iterator_traitsIS12_E10value_typeET2_T3_PNS13_IS18_E10value_typeET4_jRbjT5_S1E_jjP12ihipStream_tbEUljE_ZNSN_ISO_Lb0ESQ_SR_ST_SU_SY_EESZ_S10_S11_S12_S16_S17_S18_S1B_S1C_jS1D_jS1E_S1E_jjS1G_bEUljE0_EEESZ_S10_S11_S18_S1C_S1E_T6_T7_T9_mT8_S1G_bDpT10_ENKUlT_T0_E_clISt17integral_constantIbLb0EES1U_EEDaS1P_S1Q_EUlS1P_E_NS1_11comp_targetILNS1_3genE0ELNS1_11target_archE4294967295ELNS1_3gpuE0ELNS1_3repE0EEENS1_30default_config_static_selectorELNS0_4arch9wavefront6targetE0EEEvS12_.num_named_barrier, 0
	.set _ZN7rocprim17ROCPRIM_400000_NS6detail17trampoline_kernelINS0_13select_configILj256ELj13ELNS0_17block_load_methodE3ELS4_3ELS4_3ELNS0_20block_scan_algorithmE0ELj4294967295EEENS1_25partition_config_selectorILNS1_17partition_subalgoE4EjNS0_10empty_typeEbEEZZNS1_14partition_implILS8_4ELb0ES6_15HIP_vector_typeIjLj2EENS0_17counting_iteratorIjlEEPS9_SG_NS0_5tupleIJPjSI_NS0_16reverse_iteratorISI_EEEEENSH_IJSG_SG_SG_EEES9_SI_JZNS1_25segmented_radix_sort_implINS0_14default_configELb0EPKbPbPKlPlN2at6native12_GLOBAL__N_18offset_tEEE10hipError_tPvRmT1_PNSt15iterator_traitsIS12_E10value_typeET2_T3_PNS13_IS18_E10value_typeET4_jRbjT5_S1E_jjP12ihipStream_tbEUljE_ZNSN_ISO_Lb0ESQ_SR_ST_SU_SY_EESZ_S10_S11_S12_S16_S17_S18_S1B_S1C_jS1D_jS1E_S1E_jjS1G_bEUljE0_EEESZ_S10_S11_S18_S1C_S1E_T6_T7_T9_mT8_S1G_bDpT10_ENKUlT_T0_E_clISt17integral_constantIbLb0EES1U_EEDaS1P_S1Q_EUlS1P_E_NS1_11comp_targetILNS1_3genE0ELNS1_11target_archE4294967295ELNS1_3gpuE0ELNS1_3repE0EEENS1_30default_config_static_selectorELNS0_4arch9wavefront6targetE0EEEvS12_.private_seg_size, 0
	.set _ZN7rocprim17ROCPRIM_400000_NS6detail17trampoline_kernelINS0_13select_configILj256ELj13ELNS0_17block_load_methodE3ELS4_3ELS4_3ELNS0_20block_scan_algorithmE0ELj4294967295EEENS1_25partition_config_selectorILNS1_17partition_subalgoE4EjNS0_10empty_typeEbEEZZNS1_14partition_implILS8_4ELb0ES6_15HIP_vector_typeIjLj2EENS0_17counting_iteratorIjlEEPS9_SG_NS0_5tupleIJPjSI_NS0_16reverse_iteratorISI_EEEEENSH_IJSG_SG_SG_EEES9_SI_JZNS1_25segmented_radix_sort_implINS0_14default_configELb0EPKbPbPKlPlN2at6native12_GLOBAL__N_18offset_tEEE10hipError_tPvRmT1_PNSt15iterator_traitsIS12_E10value_typeET2_T3_PNS13_IS18_E10value_typeET4_jRbjT5_S1E_jjP12ihipStream_tbEUljE_ZNSN_ISO_Lb0ESQ_SR_ST_SU_SY_EESZ_S10_S11_S12_S16_S17_S18_S1B_S1C_jS1D_jS1E_S1E_jjS1G_bEUljE0_EEESZ_S10_S11_S18_S1C_S1E_T6_T7_T9_mT8_S1G_bDpT10_ENKUlT_T0_E_clISt17integral_constantIbLb0EES1U_EEDaS1P_S1Q_EUlS1P_E_NS1_11comp_targetILNS1_3genE0ELNS1_11target_archE4294967295ELNS1_3gpuE0ELNS1_3repE0EEENS1_30default_config_static_selectorELNS0_4arch9wavefront6targetE0EEEvS12_.uses_vcc, 1
	.set _ZN7rocprim17ROCPRIM_400000_NS6detail17trampoline_kernelINS0_13select_configILj256ELj13ELNS0_17block_load_methodE3ELS4_3ELS4_3ELNS0_20block_scan_algorithmE0ELj4294967295EEENS1_25partition_config_selectorILNS1_17partition_subalgoE4EjNS0_10empty_typeEbEEZZNS1_14partition_implILS8_4ELb0ES6_15HIP_vector_typeIjLj2EENS0_17counting_iteratorIjlEEPS9_SG_NS0_5tupleIJPjSI_NS0_16reverse_iteratorISI_EEEEENSH_IJSG_SG_SG_EEES9_SI_JZNS1_25segmented_radix_sort_implINS0_14default_configELb0EPKbPbPKlPlN2at6native12_GLOBAL__N_18offset_tEEE10hipError_tPvRmT1_PNSt15iterator_traitsIS12_E10value_typeET2_T3_PNS13_IS18_E10value_typeET4_jRbjT5_S1E_jjP12ihipStream_tbEUljE_ZNSN_ISO_Lb0ESQ_SR_ST_SU_SY_EESZ_S10_S11_S12_S16_S17_S18_S1B_S1C_jS1D_jS1E_S1E_jjS1G_bEUljE0_EEESZ_S10_S11_S18_S1C_S1E_T6_T7_T9_mT8_S1G_bDpT10_ENKUlT_T0_E_clISt17integral_constantIbLb0EES1U_EEDaS1P_S1Q_EUlS1P_E_NS1_11comp_targetILNS1_3genE0ELNS1_11target_archE4294967295ELNS1_3gpuE0ELNS1_3repE0EEENS1_30default_config_static_selectorELNS0_4arch9wavefront6targetE0EEEvS12_.uses_flat_scratch, 0
	.set _ZN7rocprim17ROCPRIM_400000_NS6detail17trampoline_kernelINS0_13select_configILj256ELj13ELNS0_17block_load_methodE3ELS4_3ELS4_3ELNS0_20block_scan_algorithmE0ELj4294967295EEENS1_25partition_config_selectorILNS1_17partition_subalgoE4EjNS0_10empty_typeEbEEZZNS1_14partition_implILS8_4ELb0ES6_15HIP_vector_typeIjLj2EENS0_17counting_iteratorIjlEEPS9_SG_NS0_5tupleIJPjSI_NS0_16reverse_iteratorISI_EEEEENSH_IJSG_SG_SG_EEES9_SI_JZNS1_25segmented_radix_sort_implINS0_14default_configELb0EPKbPbPKlPlN2at6native12_GLOBAL__N_18offset_tEEE10hipError_tPvRmT1_PNSt15iterator_traitsIS12_E10value_typeET2_T3_PNS13_IS18_E10value_typeET4_jRbjT5_S1E_jjP12ihipStream_tbEUljE_ZNSN_ISO_Lb0ESQ_SR_ST_SU_SY_EESZ_S10_S11_S12_S16_S17_S18_S1B_S1C_jS1D_jS1E_S1E_jjS1G_bEUljE0_EEESZ_S10_S11_S18_S1C_S1E_T6_T7_T9_mT8_S1G_bDpT10_ENKUlT_T0_E_clISt17integral_constantIbLb0EES1U_EEDaS1P_S1Q_EUlS1P_E_NS1_11comp_targetILNS1_3genE0ELNS1_11target_archE4294967295ELNS1_3gpuE0ELNS1_3repE0EEENS1_30default_config_static_selectorELNS0_4arch9wavefront6targetE0EEEvS12_.has_dyn_sized_stack, 0
	.set _ZN7rocprim17ROCPRIM_400000_NS6detail17trampoline_kernelINS0_13select_configILj256ELj13ELNS0_17block_load_methodE3ELS4_3ELS4_3ELNS0_20block_scan_algorithmE0ELj4294967295EEENS1_25partition_config_selectorILNS1_17partition_subalgoE4EjNS0_10empty_typeEbEEZZNS1_14partition_implILS8_4ELb0ES6_15HIP_vector_typeIjLj2EENS0_17counting_iteratorIjlEEPS9_SG_NS0_5tupleIJPjSI_NS0_16reverse_iteratorISI_EEEEENSH_IJSG_SG_SG_EEES9_SI_JZNS1_25segmented_radix_sort_implINS0_14default_configELb0EPKbPbPKlPlN2at6native12_GLOBAL__N_18offset_tEEE10hipError_tPvRmT1_PNSt15iterator_traitsIS12_E10value_typeET2_T3_PNS13_IS18_E10value_typeET4_jRbjT5_S1E_jjP12ihipStream_tbEUljE_ZNSN_ISO_Lb0ESQ_SR_ST_SU_SY_EESZ_S10_S11_S12_S16_S17_S18_S1B_S1C_jS1D_jS1E_S1E_jjS1G_bEUljE0_EEESZ_S10_S11_S18_S1C_S1E_T6_T7_T9_mT8_S1G_bDpT10_ENKUlT_T0_E_clISt17integral_constantIbLb0EES1U_EEDaS1P_S1Q_EUlS1P_E_NS1_11comp_targetILNS1_3genE0ELNS1_11target_archE4294967295ELNS1_3gpuE0ELNS1_3repE0EEENS1_30default_config_static_selectorELNS0_4arch9wavefront6targetE0EEEvS12_.has_recursion, 0
	.set _ZN7rocprim17ROCPRIM_400000_NS6detail17trampoline_kernelINS0_13select_configILj256ELj13ELNS0_17block_load_methodE3ELS4_3ELS4_3ELNS0_20block_scan_algorithmE0ELj4294967295EEENS1_25partition_config_selectorILNS1_17partition_subalgoE4EjNS0_10empty_typeEbEEZZNS1_14partition_implILS8_4ELb0ES6_15HIP_vector_typeIjLj2EENS0_17counting_iteratorIjlEEPS9_SG_NS0_5tupleIJPjSI_NS0_16reverse_iteratorISI_EEEEENSH_IJSG_SG_SG_EEES9_SI_JZNS1_25segmented_radix_sort_implINS0_14default_configELb0EPKbPbPKlPlN2at6native12_GLOBAL__N_18offset_tEEE10hipError_tPvRmT1_PNSt15iterator_traitsIS12_E10value_typeET2_T3_PNS13_IS18_E10value_typeET4_jRbjT5_S1E_jjP12ihipStream_tbEUljE_ZNSN_ISO_Lb0ESQ_SR_ST_SU_SY_EESZ_S10_S11_S12_S16_S17_S18_S1B_S1C_jS1D_jS1E_S1E_jjS1G_bEUljE0_EEESZ_S10_S11_S18_S1C_S1E_T6_T7_T9_mT8_S1G_bDpT10_ENKUlT_T0_E_clISt17integral_constantIbLb0EES1U_EEDaS1P_S1Q_EUlS1P_E_NS1_11comp_targetILNS1_3genE0ELNS1_11target_archE4294967295ELNS1_3gpuE0ELNS1_3repE0EEENS1_30default_config_static_selectorELNS0_4arch9wavefront6targetE0EEEvS12_.has_indirect_call, 0
	.section	.AMDGPU.csdata,"",@progbits
; Kernel info:
; codeLenInByte = 17784
; TotalNumSgprs: 61
; NumVgprs: 81
; ScratchSize: 0
; MemoryBound: 0
; FloatMode: 240
; IeeeMode: 1
; LDSByteSize: 13328 bytes/workgroup (compile time only)
; SGPRBlocks: 0
; VGPRBlocks: 5
; NumSGPRsForWavesPerEU: 61
; NumVGPRsForWavesPerEU: 81
; NamedBarCnt: 0
; Occupancy: 10
; WaveLimiterHint : 1
; COMPUTE_PGM_RSRC2:SCRATCH_EN: 0
; COMPUTE_PGM_RSRC2:USER_SGPR: 2
; COMPUTE_PGM_RSRC2:TRAP_HANDLER: 0
; COMPUTE_PGM_RSRC2:TGID_X_EN: 1
; COMPUTE_PGM_RSRC2:TGID_Y_EN: 0
; COMPUTE_PGM_RSRC2:TGID_Z_EN: 0
; COMPUTE_PGM_RSRC2:TIDIG_COMP_CNT: 0
	.section	.text._ZN7rocprim17ROCPRIM_400000_NS6detail17trampoline_kernelINS0_13select_configILj256ELj13ELNS0_17block_load_methodE3ELS4_3ELS4_3ELNS0_20block_scan_algorithmE0ELj4294967295EEENS1_25partition_config_selectorILNS1_17partition_subalgoE4EjNS0_10empty_typeEbEEZZNS1_14partition_implILS8_4ELb0ES6_15HIP_vector_typeIjLj2EENS0_17counting_iteratorIjlEEPS9_SG_NS0_5tupleIJPjSI_NS0_16reverse_iteratorISI_EEEEENSH_IJSG_SG_SG_EEES9_SI_JZNS1_25segmented_radix_sort_implINS0_14default_configELb0EPKbPbPKlPlN2at6native12_GLOBAL__N_18offset_tEEE10hipError_tPvRmT1_PNSt15iterator_traitsIS12_E10value_typeET2_T3_PNS13_IS18_E10value_typeET4_jRbjT5_S1E_jjP12ihipStream_tbEUljE_ZNSN_ISO_Lb0ESQ_SR_ST_SU_SY_EESZ_S10_S11_S12_S16_S17_S18_S1B_S1C_jS1D_jS1E_S1E_jjS1G_bEUljE0_EEESZ_S10_S11_S18_S1C_S1E_T6_T7_T9_mT8_S1G_bDpT10_ENKUlT_T0_E_clISt17integral_constantIbLb0EES1U_EEDaS1P_S1Q_EUlS1P_E_NS1_11comp_targetILNS1_3genE5ELNS1_11target_archE942ELNS1_3gpuE9ELNS1_3repE0EEENS1_30default_config_static_selectorELNS0_4arch9wavefront6targetE0EEEvS12_,"axG",@progbits,_ZN7rocprim17ROCPRIM_400000_NS6detail17trampoline_kernelINS0_13select_configILj256ELj13ELNS0_17block_load_methodE3ELS4_3ELS4_3ELNS0_20block_scan_algorithmE0ELj4294967295EEENS1_25partition_config_selectorILNS1_17partition_subalgoE4EjNS0_10empty_typeEbEEZZNS1_14partition_implILS8_4ELb0ES6_15HIP_vector_typeIjLj2EENS0_17counting_iteratorIjlEEPS9_SG_NS0_5tupleIJPjSI_NS0_16reverse_iteratorISI_EEEEENSH_IJSG_SG_SG_EEES9_SI_JZNS1_25segmented_radix_sort_implINS0_14default_configELb0EPKbPbPKlPlN2at6native12_GLOBAL__N_18offset_tEEE10hipError_tPvRmT1_PNSt15iterator_traitsIS12_E10value_typeET2_T3_PNS13_IS18_E10value_typeET4_jRbjT5_S1E_jjP12ihipStream_tbEUljE_ZNSN_ISO_Lb0ESQ_SR_ST_SU_SY_EESZ_S10_S11_S12_S16_S17_S18_S1B_S1C_jS1D_jS1E_S1E_jjS1G_bEUljE0_EEESZ_S10_S11_S18_S1C_S1E_T6_T7_T9_mT8_S1G_bDpT10_ENKUlT_T0_E_clISt17integral_constantIbLb0EES1U_EEDaS1P_S1Q_EUlS1P_E_NS1_11comp_targetILNS1_3genE5ELNS1_11target_archE942ELNS1_3gpuE9ELNS1_3repE0EEENS1_30default_config_static_selectorELNS0_4arch9wavefront6targetE0EEEvS12_,comdat
	.globl	_ZN7rocprim17ROCPRIM_400000_NS6detail17trampoline_kernelINS0_13select_configILj256ELj13ELNS0_17block_load_methodE3ELS4_3ELS4_3ELNS0_20block_scan_algorithmE0ELj4294967295EEENS1_25partition_config_selectorILNS1_17partition_subalgoE4EjNS0_10empty_typeEbEEZZNS1_14partition_implILS8_4ELb0ES6_15HIP_vector_typeIjLj2EENS0_17counting_iteratorIjlEEPS9_SG_NS0_5tupleIJPjSI_NS0_16reverse_iteratorISI_EEEEENSH_IJSG_SG_SG_EEES9_SI_JZNS1_25segmented_radix_sort_implINS0_14default_configELb0EPKbPbPKlPlN2at6native12_GLOBAL__N_18offset_tEEE10hipError_tPvRmT1_PNSt15iterator_traitsIS12_E10value_typeET2_T3_PNS13_IS18_E10value_typeET4_jRbjT5_S1E_jjP12ihipStream_tbEUljE_ZNSN_ISO_Lb0ESQ_SR_ST_SU_SY_EESZ_S10_S11_S12_S16_S17_S18_S1B_S1C_jS1D_jS1E_S1E_jjS1G_bEUljE0_EEESZ_S10_S11_S18_S1C_S1E_T6_T7_T9_mT8_S1G_bDpT10_ENKUlT_T0_E_clISt17integral_constantIbLb0EES1U_EEDaS1P_S1Q_EUlS1P_E_NS1_11comp_targetILNS1_3genE5ELNS1_11target_archE942ELNS1_3gpuE9ELNS1_3repE0EEENS1_30default_config_static_selectorELNS0_4arch9wavefront6targetE0EEEvS12_ ; -- Begin function _ZN7rocprim17ROCPRIM_400000_NS6detail17trampoline_kernelINS0_13select_configILj256ELj13ELNS0_17block_load_methodE3ELS4_3ELS4_3ELNS0_20block_scan_algorithmE0ELj4294967295EEENS1_25partition_config_selectorILNS1_17partition_subalgoE4EjNS0_10empty_typeEbEEZZNS1_14partition_implILS8_4ELb0ES6_15HIP_vector_typeIjLj2EENS0_17counting_iteratorIjlEEPS9_SG_NS0_5tupleIJPjSI_NS0_16reverse_iteratorISI_EEEEENSH_IJSG_SG_SG_EEES9_SI_JZNS1_25segmented_radix_sort_implINS0_14default_configELb0EPKbPbPKlPlN2at6native12_GLOBAL__N_18offset_tEEE10hipError_tPvRmT1_PNSt15iterator_traitsIS12_E10value_typeET2_T3_PNS13_IS18_E10value_typeET4_jRbjT5_S1E_jjP12ihipStream_tbEUljE_ZNSN_ISO_Lb0ESQ_SR_ST_SU_SY_EESZ_S10_S11_S12_S16_S17_S18_S1B_S1C_jS1D_jS1E_S1E_jjS1G_bEUljE0_EEESZ_S10_S11_S18_S1C_S1E_T6_T7_T9_mT8_S1G_bDpT10_ENKUlT_T0_E_clISt17integral_constantIbLb0EES1U_EEDaS1P_S1Q_EUlS1P_E_NS1_11comp_targetILNS1_3genE5ELNS1_11target_archE942ELNS1_3gpuE9ELNS1_3repE0EEENS1_30default_config_static_selectorELNS0_4arch9wavefront6targetE0EEEvS12_
	.p2align	8
	.type	_ZN7rocprim17ROCPRIM_400000_NS6detail17trampoline_kernelINS0_13select_configILj256ELj13ELNS0_17block_load_methodE3ELS4_3ELS4_3ELNS0_20block_scan_algorithmE0ELj4294967295EEENS1_25partition_config_selectorILNS1_17partition_subalgoE4EjNS0_10empty_typeEbEEZZNS1_14partition_implILS8_4ELb0ES6_15HIP_vector_typeIjLj2EENS0_17counting_iteratorIjlEEPS9_SG_NS0_5tupleIJPjSI_NS0_16reverse_iteratorISI_EEEEENSH_IJSG_SG_SG_EEES9_SI_JZNS1_25segmented_radix_sort_implINS0_14default_configELb0EPKbPbPKlPlN2at6native12_GLOBAL__N_18offset_tEEE10hipError_tPvRmT1_PNSt15iterator_traitsIS12_E10value_typeET2_T3_PNS13_IS18_E10value_typeET4_jRbjT5_S1E_jjP12ihipStream_tbEUljE_ZNSN_ISO_Lb0ESQ_SR_ST_SU_SY_EESZ_S10_S11_S12_S16_S17_S18_S1B_S1C_jS1D_jS1E_S1E_jjS1G_bEUljE0_EEESZ_S10_S11_S18_S1C_S1E_T6_T7_T9_mT8_S1G_bDpT10_ENKUlT_T0_E_clISt17integral_constantIbLb0EES1U_EEDaS1P_S1Q_EUlS1P_E_NS1_11comp_targetILNS1_3genE5ELNS1_11target_archE942ELNS1_3gpuE9ELNS1_3repE0EEENS1_30default_config_static_selectorELNS0_4arch9wavefront6targetE0EEEvS12_,@function
_ZN7rocprim17ROCPRIM_400000_NS6detail17trampoline_kernelINS0_13select_configILj256ELj13ELNS0_17block_load_methodE3ELS4_3ELS4_3ELNS0_20block_scan_algorithmE0ELj4294967295EEENS1_25partition_config_selectorILNS1_17partition_subalgoE4EjNS0_10empty_typeEbEEZZNS1_14partition_implILS8_4ELb0ES6_15HIP_vector_typeIjLj2EENS0_17counting_iteratorIjlEEPS9_SG_NS0_5tupleIJPjSI_NS0_16reverse_iteratorISI_EEEEENSH_IJSG_SG_SG_EEES9_SI_JZNS1_25segmented_radix_sort_implINS0_14default_configELb0EPKbPbPKlPlN2at6native12_GLOBAL__N_18offset_tEEE10hipError_tPvRmT1_PNSt15iterator_traitsIS12_E10value_typeET2_T3_PNS13_IS18_E10value_typeET4_jRbjT5_S1E_jjP12ihipStream_tbEUljE_ZNSN_ISO_Lb0ESQ_SR_ST_SU_SY_EESZ_S10_S11_S12_S16_S17_S18_S1B_S1C_jS1D_jS1E_S1E_jjS1G_bEUljE0_EEESZ_S10_S11_S18_S1C_S1E_T6_T7_T9_mT8_S1G_bDpT10_ENKUlT_T0_E_clISt17integral_constantIbLb0EES1U_EEDaS1P_S1Q_EUlS1P_E_NS1_11comp_targetILNS1_3genE5ELNS1_11target_archE942ELNS1_3gpuE9ELNS1_3repE0EEENS1_30default_config_static_selectorELNS0_4arch9wavefront6targetE0EEEvS12_: ; @_ZN7rocprim17ROCPRIM_400000_NS6detail17trampoline_kernelINS0_13select_configILj256ELj13ELNS0_17block_load_methodE3ELS4_3ELS4_3ELNS0_20block_scan_algorithmE0ELj4294967295EEENS1_25partition_config_selectorILNS1_17partition_subalgoE4EjNS0_10empty_typeEbEEZZNS1_14partition_implILS8_4ELb0ES6_15HIP_vector_typeIjLj2EENS0_17counting_iteratorIjlEEPS9_SG_NS0_5tupleIJPjSI_NS0_16reverse_iteratorISI_EEEEENSH_IJSG_SG_SG_EEES9_SI_JZNS1_25segmented_radix_sort_implINS0_14default_configELb0EPKbPbPKlPlN2at6native12_GLOBAL__N_18offset_tEEE10hipError_tPvRmT1_PNSt15iterator_traitsIS12_E10value_typeET2_T3_PNS13_IS18_E10value_typeET4_jRbjT5_S1E_jjP12ihipStream_tbEUljE_ZNSN_ISO_Lb0ESQ_SR_ST_SU_SY_EESZ_S10_S11_S12_S16_S17_S18_S1B_S1C_jS1D_jS1E_S1E_jjS1G_bEUljE0_EEESZ_S10_S11_S18_S1C_S1E_T6_T7_T9_mT8_S1G_bDpT10_ENKUlT_T0_E_clISt17integral_constantIbLb0EES1U_EEDaS1P_S1Q_EUlS1P_E_NS1_11comp_targetILNS1_3genE5ELNS1_11target_archE942ELNS1_3gpuE9ELNS1_3repE0EEENS1_30default_config_static_selectorELNS0_4arch9wavefront6targetE0EEEvS12_
; %bb.0:
	.section	.rodata,"a",@progbits
	.p2align	6, 0x0
	.amdhsa_kernel _ZN7rocprim17ROCPRIM_400000_NS6detail17trampoline_kernelINS0_13select_configILj256ELj13ELNS0_17block_load_methodE3ELS4_3ELS4_3ELNS0_20block_scan_algorithmE0ELj4294967295EEENS1_25partition_config_selectorILNS1_17partition_subalgoE4EjNS0_10empty_typeEbEEZZNS1_14partition_implILS8_4ELb0ES6_15HIP_vector_typeIjLj2EENS0_17counting_iteratorIjlEEPS9_SG_NS0_5tupleIJPjSI_NS0_16reverse_iteratorISI_EEEEENSH_IJSG_SG_SG_EEES9_SI_JZNS1_25segmented_radix_sort_implINS0_14default_configELb0EPKbPbPKlPlN2at6native12_GLOBAL__N_18offset_tEEE10hipError_tPvRmT1_PNSt15iterator_traitsIS12_E10value_typeET2_T3_PNS13_IS18_E10value_typeET4_jRbjT5_S1E_jjP12ihipStream_tbEUljE_ZNSN_ISO_Lb0ESQ_SR_ST_SU_SY_EESZ_S10_S11_S12_S16_S17_S18_S1B_S1C_jS1D_jS1E_S1E_jjS1G_bEUljE0_EEESZ_S10_S11_S18_S1C_S1E_T6_T7_T9_mT8_S1G_bDpT10_ENKUlT_T0_E_clISt17integral_constantIbLb0EES1U_EEDaS1P_S1Q_EUlS1P_E_NS1_11comp_targetILNS1_3genE5ELNS1_11target_archE942ELNS1_3gpuE9ELNS1_3repE0EEENS1_30default_config_static_selectorELNS0_4arch9wavefront6targetE0EEEvS12_
		.amdhsa_group_segment_fixed_size 0
		.amdhsa_private_segment_fixed_size 0
		.amdhsa_kernarg_size 176
		.amdhsa_user_sgpr_count 2
		.amdhsa_user_sgpr_dispatch_ptr 0
		.amdhsa_user_sgpr_queue_ptr 0
		.amdhsa_user_sgpr_kernarg_segment_ptr 1
		.amdhsa_user_sgpr_dispatch_id 0
		.amdhsa_user_sgpr_kernarg_preload_length 0
		.amdhsa_user_sgpr_kernarg_preload_offset 0
		.amdhsa_user_sgpr_private_segment_size 0
		.amdhsa_wavefront_size32 1
		.amdhsa_uses_dynamic_stack 0
		.amdhsa_enable_private_segment 0
		.amdhsa_system_sgpr_workgroup_id_x 1
		.amdhsa_system_sgpr_workgroup_id_y 0
		.amdhsa_system_sgpr_workgroup_id_z 0
		.amdhsa_system_sgpr_workgroup_info 0
		.amdhsa_system_vgpr_workitem_id 0
		.amdhsa_next_free_vgpr 1
		.amdhsa_next_free_sgpr 1
		.amdhsa_named_barrier_count 0
		.amdhsa_reserve_vcc 0
		.amdhsa_float_round_mode_32 0
		.amdhsa_float_round_mode_16_64 0
		.amdhsa_float_denorm_mode_32 3
		.amdhsa_float_denorm_mode_16_64 3
		.amdhsa_fp16_overflow 0
		.amdhsa_memory_ordered 1
		.amdhsa_forward_progress 1
		.amdhsa_inst_pref_size 0
		.amdhsa_round_robin_scheduling 0
		.amdhsa_exception_fp_ieee_invalid_op 0
		.amdhsa_exception_fp_denorm_src 0
		.amdhsa_exception_fp_ieee_div_zero 0
		.amdhsa_exception_fp_ieee_overflow 0
		.amdhsa_exception_fp_ieee_underflow 0
		.amdhsa_exception_fp_ieee_inexact 0
		.amdhsa_exception_int_div_zero 0
	.end_amdhsa_kernel
	.section	.text._ZN7rocprim17ROCPRIM_400000_NS6detail17trampoline_kernelINS0_13select_configILj256ELj13ELNS0_17block_load_methodE3ELS4_3ELS4_3ELNS0_20block_scan_algorithmE0ELj4294967295EEENS1_25partition_config_selectorILNS1_17partition_subalgoE4EjNS0_10empty_typeEbEEZZNS1_14partition_implILS8_4ELb0ES6_15HIP_vector_typeIjLj2EENS0_17counting_iteratorIjlEEPS9_SG_NS0_5tupleIJPjSI_NS0_16reverse_iteratorISI_EEEEENSH_IJSG_SG_SG_EEES9_SI_JZNS1_25segmented_radix_sort_implINS0_14default_configELb0EPKbPbPKlPlN2at6native12_GLOBAL__N_18offset_tEEE10hipError_tPvRmT1_PNSt15iterator_traitsIS12_E10value_typeET2_T3_PNS13_IS18_E10value_typeET4_jRbjT5_S1E_jjP12ihipStream_tbEUljE_ZNSN_ISO_Lb0ESQ_SR_ST_SU_SY_EESZ_S10_S11_S12_S16_S17_S18_S1B_S1C_jS1D_jS1E_S1E_jjS1G_bEUljE0_EEESZ_S10_S11_S18_S1C_S1E_T6_T7_T9_mT8_S1G_bDpT10_ENKUlT_T0_E_clISt17integral_constantIbLb0EES1U_EEDaS1P_S1Q_EUlS1P_E_NS1_11comp_targetILNS1_3genE5ELNS1_11target_archE942ELNS1_3gpuE9ELNS1_3repE0EEENS1_30default_config_static_selectorELNS0_4arch9wavefront6targetE0EEEvS12_,"axG",@progbits,_ZN7rocprim17ROCPRIM_400000_NS6detail17trampoline_kernelINS0_13select_configILj256ELj13ELNS0_17block_load_methodE3ELS4_3ELS4_3ELNS0_20block_scan_algorithmE0ELj4294967295EEENS1_25partition_config_selectorILNS1_17partition_subalgoE4EjNS0_10empty_typeEbEEZZNS1_14partition_implILS8_4ELb0ES6_15HIP_vector_typeIjLj2EENS0_17counting_iteratorIjlEEPS9_SG_NS0_5tupleIJPjSI_NS0_16reverse_iteratorISI_EEEEENSH_IJSG_SG_SG_EEES9_SI_JZNS1_25segmented_radix_sort_implINS0_14default_configELb0EPKbPbPKlPlN2at6native12_GLOBAL__N_18offset_tEEE10hipError_tPvRmT1_PNSt15iterator_traitsIS12_E10value_typeET2_T3_PNS13_IS18_E10value_typeET4_jRbjT5_S1E_jjP12ihipStream_tbEUljE_ZNSN_ISO_Lb0ESQ_SR_ST_SU_SY_EESZ_S10_S11_S12_S16_S17_S18_S1B_S1C_jS1D_jS1E_S1E_jjS1G_bEUljE0_EEESZ_S10_S11_S18_S1C_S1E_T6_T7_T9_mT8_S1G_bDpT10_ENKUlT_T0_E_clISt17integral_constantIbLb0EES1U_EEDaS1P_S1Q_EUlS1P_E_NS1_11comp_targetILNS1_3genE5ELNS1_11target_archE942ELNS1_3gpuE9ELNS1_3repE0EEENS1_30default_config_static_selectorELNS0_4arch9wavefront6targetE0EEEvS12_,comdat
.Lfunc_end1563:
	.size	_ZN7rocprim17ROCPRIM_400000_NS6detail17trampoline_kernelINS0_13select_configILj256ELj13ELNS0_17block_load_methodE3ELS4_3ELS4_3ELNS0_20block_scan_algorithmE0ELj4294967295EEENS1_25partition_config_selectorILNS1_17partition_subalgoE4EjNS0_10empty_typeEbEEZZNS1_14partition_implILS8_4ELb0ES6_15HIP_vector_typeIjLj2EENS0_17counting_iteratorIjlEEPS9_SG_NS0_5tupleIJPjSI_NS0_16reverse_iteratorISI_EEEEENSH_IJSG_SG_SG_EEES9_SI_JZNS1_25segmented_radix_sort_implINS0_14default_configELb0EPKbPbPKlPlN2at6native12_GLOBAL__N_18offset_tEEE10hipError_tPvRmT1_PNSt15iterator_traitsIS12_E10value_typeET2_T3_PNS13_IS18_E10value_typeET4_jRbjT5_S1E_jjP12ihipStream_tbEUljE_ZNSN_ISO_Lb0ESQ_SR_ST_SU_SY_EESZ_S10_S11_S12_S16_S17_S18_S1B_S1C_jS1D_jS1E_S1E_jjS1G_bEUljE0_EEESZ_S10_S11_S18_S1C_S1E_T6_T7_T9_mT8_S1G_bDpT10_ENKUlT_T0_E_clISt17integral_constantIbLb0EES1U_EEDaS1P_S1Q_EUlS1P_E_NS1_11comp_targetILNS1_3genE5ELNS1_11target_archE942ELNS1_3gpuE9ELNS1_3repE0EEENS1_30default_config_static_selectorELNS0_4arch9wavefront6targetE0EEEvS12_, .Lfunc_end1563-_ZN7rocprim17ROCPRIM_400000_NS6detail17trampoline_kernelINS0_13select_configILj256ELj13ELNS0_17block_load_methodE3ELS4_3ELS4_3ELNS0_20block_scan_algorithmE0ELj4294967295EEENS1_25partition_config_selectorILNS1_17partition_subalgoE4EjNS0_10empty_typeEbEEZZNS1_14partition_implILS8_4ELb0ES6_15HIP_vector_typeIjLj2EENS0_17counting_iteratorIjlEEPS9_SG_NS0_5tupleIJPjSI_NS0_16reverse_iteratorISI_EEEEENSH_IJSG_SG_SG_EEES9_SI_JZNS1_25segmented_radix_sort_implINS0_14default_configELb0EPKbPbPKlPlN2at6native12_GLOBAL__N_18offset_tEEE10hipError_tPvRmT1_PNSt15iterator_traitsIS12_E10value_typeET2_T3_PNS13_IS18_E10value_typeET4_jRbjT5_S1E_jjP12ihipStream_tbEUljE_ZNSN_ISO_Lb0ESQ_SR_ST_SU_SY_EESZ_S10_S11_S12_S16_S17_S18_S1B_S1C_jS1D_jS1E_S1E_jjS1G_bEUljE0_EEESZ_S10_S11_S18_S1C_S1E_T6_T7_T9_mT8_S1G_bDpT10_ENKUlT_T0_E_clISt17integral_constantIbLb0EES1U_EEDaS1P_S1Q_EUlS1P_E_NS1_11comp_targetILNS1_3genE5ELNS1_11target_archE942ELNS1_3gpuE9ELNS1_3repE0EEENS1_30default_config_static_selectorELNS0_4arch9wavefront6targetE0EEEvS12_
                                        ; -- End function
	.set _ZN7rocprim17ROCPRIM_400000_NS6detail17trampoline_kernelINS0_13select_configILj256ELj13ELNS0_17block_load_methodE3ELS4_3ELS4_3ELNS0_20block_scan_algorithmE0ELj4294967295EEENS1_25partition_config_selectorILNS1_17partition_subalgoE4EjNS0_10empty_typeEbEEZZNS1_14partition_implILS8_4ELb0ES6_15HIP_vector_typeIjLj2EENS0_17counting_iteratorIjlEEPS9_SG_NS0_5tupleIJPjSI_NS0_16reverse_iteratorISI_EEEEENSH_IJSG_SG_SG_EEES9_SI_JZNS1_25segmented_radix_sort_implINS0_14default_configELb0EPKbPbPKlPlN2at6native12_GLOBAL__N_18offset_tEEE10hipError_tPvRmT1_PNSt15iterator_traitsIS12_E10value_typeET2_T3_PNS13_IS18_E10value_typeET4_jRbjT5_S1E_jjP12ihipStream_tbEUljE_ZNSN_ISO_Lb0ESQ_SR_ST_SU_SY_EESZ_S10_S11_S12_S16_S17_S18_S1B_S1C_jS1D_jS1E_S1E_jjS1G_bEUljE0_EEESZ_S10_S11_S18_S1C_S1E_T6_T7_T9_mT8_S1G_bDpT10_ENKUlT_T0_E_clISt17integral_constantIbLb0EES1U_EEDaS1P_S1Q_EUlS1P_E_NS1_11comp_targetILNS1_3genE5ELNS1_11target_archE942ELNS1_3gpuE9ELNS1_3repE0EEENS1_30default_config_static_selectorELNS0_4arch9wavefront6targetE0EEEvS12_.num_vgpr, 0
	.set _ZN7rocprim17ROCPRIM_400000_NS6detail17trampoline_kernelINS0_13select_configILj256ELj13ELNS0_17block_load_methodE3ELS4_3ELS4_3ELNS0_20block_scan_algorithmE0ELj4294967295EEENS1_25partition_config_selectorILNS1_17partition_subalgoE4EjNS0_10empty_typeEbEEZZNS1_14partition_implILS8_4ELb0ES6_15HIP_vector_typeIjLj2EENS0_17counting_iteratorIjlEEPS9_SG_NS0_5tupleIJPjSI_NS0_16reverse_iteratorISI_EEEEENSH_IJSG_SG_SG_EEES9_SI_JZNS1_25segmented_radix_sort_implINS0_14default_configELb0EPKbPbPKlPlN2at6native12_GLOBAL__N_18offset_tEEE10hipError_tPvRmT1_PNSt15iterator_traitsIS12_E10value_typeET2_T3_PNS13_IS18_E10value_typeET4_jRbjT5_S1E_jjP12ihipStream_tbEUljE_ZNSN_ISO_Lb0ESQ_SR_ST_SU_SY_EESZ_S10_S11_S12_S16_S17_S18_S1B_S1C_jS1D_jS1E_S1E_jjS1G_bEUljE0_EEESZ_S10_S11_S18_S1C_S1E_T6_T7_T9_mT8_S1G_bDpT10_ENKUlT_T0_E_clISt17integral_constantIbLb0EES1U_EEDaS1P_S1Q_EUlS1P_E_NS1_11comp_targetILNS1_3genE5ELNS1_11target_archE942ELNS1_3gpuE9ELNS1_3repE0EEENS1_30default_config_static_selectorELNS0_4arch9wavefront6targetE0EEEvS12_.num_agpr, 0
	.set _ZN7rocprim17ROCPRIM_400000_NS6detail17trampoline_kernelINS0_13select_configILj256ELj13ELNS0_17block_load_methodE3ELS4_3ELS4_3ELNS0_20block_scan_algorithmE0ELj4294967295EEENS1_25partition_config_selectorILNS1_17partition_subalgoE4EjNS0_10empty_typeEbEEZZNS1_14partition_implILS8_4ELb0ES6_15HIP_vector_typeIjLj2EENS0_17counting_iteratorIjlEEPS9_SG_NS0_5tupleIJPjSI_NS0_16reverse_iteratorISI_EEEEENSH_IJSG_SG_SG_EEES9_SI_JZNS1_25segmented_radix_sort_implINS0_14default_configELb0EPKbPbPKlPlN2at6native12_GLOBAL__N_18offset_tEEE10hipError_tPvRmT1_PNSt15iterator_traitsIS12_E10value_typeET2_T3_PNS13_IS18_E10value_typeET4_jRbjT5_S1E_jjP12ihipStream_tbEUljE_ZNSN_ISO_Lb0ESQ_SR_ST_SU_SY_EESZ_S10_S11_S12_S16_S17_S18_S1B_S1C_jS1D_jS1E_S1E_jjS1G_bEUljE0_EEESZ_S10_S11_S18_S1C_S1E_T6_T7_T9_mT8_S1G_bDpT10_ENKUlT_T0_E_clISt17integral_constantIbLb0EES1U_EEDaS1P_S1Q_EUlS1P_E_NS1_11comp_targetILNS1_3genE5ELNS1_11target_archE942ELNS1_3gpuE9ELNS1_3repE0EEENS1_30default_config_static_selectorELNS0_4arch9wavefront6targetE0EEEvS12_.numbered_sgpr, 0
	.set _ZN7rocprim17ROCPRIM_400000_NS6detail17trampoline_kernelINS0_13select_configILj256ELj13ELNS0_17block_load_methodE3ELS4_3ELS4_3ELNS0_20block_scan_algorithmE0ELj4294967295EEENS1_25partition_config_selectorILNS1_17partition_subalgoE4EjNS0_10empty_typeEbEEZZNS1_14partition_implILS8_4ELb0ES6_15HIP_vector_typeIjLj2EENS0_17counting_iteratorIjlEEPS9_SG_NS0_5tupleIJPjSI_NS0_16reverse_iteratorISI_EEEEENSH_IJSG_SG_SG_EEES9_SI_JZNS1_25segmented_radix_sort_implINS0_14default_configELb0EPKbPbPKlPlN2at6native12_GLOBAL__N_18offset_tEEE10hipError_tPvRmT1_PNSt15iterator_traitsIS12_E10value_typeET2_T3_PNS13_IS18_E10value_typeET4_jRbjT5_S1E_jjP12ihipStream_tbEUljE_ZNSN_ISO_Lb0ESQ_SR_ST_SU_SY_EESZ_S10_S11_S12_S16_S17_S18_S1B_S1C_jS1D_jS1E_S1E_jjS1G_bEUljE0_EEESZ_S10_S11_S18_S1C_S1E_T6_T7_T9_mT8_S1G_bDpT10_ENKUlT_T0_E_clISt17integral_constantIbLb0EES1U_EEDaS1P_S1Q_EUlS1P_E_NS1_11comp_targetILNS1_3genE5ELNS1_11target_archE942ELNS1_3gpuE9ELNS1_3repE0EEENS1_30default_config_static_selectorELNS0_4arch9wavefront6targetE0EEEvS12_.num_named_barrier, 0
	.set _ZN7rocprim17ROCPRIM_400000_NS6detail17trampoline_kernelINS0_13select_configILj256ELj13ELNS0_17block_load_methodE3ELS4_3ELS4_3ELNS0_20block_scan_algorithmE0ELj4294967295EEENS1_25partition_config_selectorILNS1_17partition_subalgoE4EjNS0_10empty_typeEbEEZZNS1_14partition_implILS8_4ELb0ES6_15HIP_vector_typeIjLj2EENS0_17counting_iteratorIjlEEPS9_SG_NS0_5tupleIJPjSI_NS0_16reverse_iteratorISI_EEEEENSH_IJSG_SG_SG_EEES9_SI_JZNS1_25segmented_radix_sort_implINS0_14default_configELb0EPKbPbPKlPlN2at6native12_GLOBAL__N_18offset_tEEE10hipError_tPvRmT1_PNSt15iterator_traitsIS12_E10value_typeET2_T3_PNS13_IS18_E10value_typeET4_jRbjT5_S1E_jjP12ihipStream_tbEUljE_ZNSN_ISO_Lb0ESQ_SR_ST_SU_SY_EESZ_S10_S11_S12_S16_S17_S18_S1B_S1C_jS1D_jS1E_S1E_jjS1G_bEUljE0_EEESZ_S10_S11_S18_S1C_S1E_T6_T7_T9_mT8_S1G_bDpT10_ENKUlT_T0_E_clISt17integral_constantIbLb0EES1U_EEDaS1P_S1Q_EUlS1P_E_NS1_11comp_targetILNS1_3genE5ELNS1_11target_archE942ELNS1_3gpuE9ELNS1_3repE0EEENS1_30default_config_static_selectorELNS0_4arch9wavefront6targetE0EEEvS12_.private_seg_size, 0
	.set _ZN7rocprim17ROCPRIM_400000_NS6detail17trampoline_kernelINS0_13select_configILj256ELj13ELNS0_17block_load_methodE3ELS4_3ELS4_3ELNS0_20block_scan_algorithmE0ELj4294967295EEENS1_25partition_config_selectorILNS1_17partition_subalgoE4EjNS0_10empty_typeEbEEZZNS1_14partition_implILS8_4ELb0ES6_15HIP_vector_typeIjLj2EENS0_17counting_iteratorIjlEEPS9_SG_NS0_5tupleIJPjSI_NS0_16reverse_iteratorISI_EEEEENSH_IJSG_SG_SG_EEES9_SI_JZNS1_25segmented_radix_sort_implINS0_14default_configELb0EPKbPbPKlPlN2at6native12_GLOBAL__N_18offset_tEEE10hipError_tPvRmT1_PNSt15iterator_traitsIS12_E10value_typeET2_T3_PNS13_IS18_E10value_typeET4_jRbjT5_S1E_jjP12ihipStream_tbEUljE_ZNSN_ISO_Lb0ESQ_SR_ST_SU_SY_EESZ_S10_S11_S12_S16_S17_S18_S1B_S1C_jS1D_jS1E_S1E_jjS1G_bEUljE0_EEESZ_S10_S11_S18_S1C_S1E_T6_T7_T9_mT8_S1G_bDpT10_ENKUlT_T0_E_clISt17integral_constantIbLb0EES1U_EEDaS1P_S1Q_EUlS1P_E_NS1_11comp_targetILNS1_3genE5ELNS1_11target_archE942ELNS1_3gpuE9ELNS1_3repE0EEENS1_30default_config_static_selectorELNS0_4arch9wavefront6targetE0EEEvS12_.uses_vcc, 0
	.set _ZN7rocprim17ROCPRIM_400000_NS6detail17trampoline_kernelINS0_13select_configILj256ELj13ELNS0_17block_load_methodE3ELS4_3ELS4_3ELNS0_20block_scan_algorithmE0ELj4294967295EEENS1_25partition_config_selectorILNS1_17partition_subalgoE4EjNS0_10empty_typeEbEEZZNS1_14partition_implILS8_4ELb0ES6_15HIP_vector_typeIjLj2EENS0_17counting_iteratorIjlEEPS9_SG_NS0_5tupleIJPjSI_NS0_16reverse_iteratorISI_EEEEENSH_IJSG_SG_SG_EEES9_SI_JZNS1_25segmented_radix_sort_implINS0_14default_configELb0EPKbPbPKlPlN2at6native12_GLOBAL__N_18offset_tEEE10hipError_tPvRmT1_PNSt15iterator_traitsIS12_E10value_typeET2_T3_PNS13_IS18_E10value_typeET4_jRbjT5_S1E_jjP12ihipStream_tbEUljE_ZNSN_ISO_Lb0ESQ_SR_ST_SU_SY_EESZ_S10_S11_S12_S16_S17_S18_S1B_S1C_jS1D_jS1E_S1E_jjS1G_bEUljE0_EEESZ_S10_S11_S18_S1C_S1E_T6_T7_T9_mT8_S1G_bDpT10_ENKUlT_T0_E_clISt17integral_constantIbLb0EES1U_EEDaS1P_S1Q_EUlS1P_E_NS1_11comp_targetILNS1_3genE5ELNS1_11target_archE942ELNS1_3gpuE9ELNS1_3repE0EEENS1_30default_config_static_selectorELNS0_4arch9wavefront6targetE0EEEvS12_.uses_flat_scratch, 0
	.set _ZN7rocprim17ROCPRIM_400000_NS6detail17trampoline_kernelINS0_13select_configILj256ELj13ELNS0_17block_load_methodE3ELS4_3ELS4_3ELNS0_20block_scan_algorithmE0ELj4294967295EEENS1_25partition_config_selectorILNS1_17partition_subalgoE4EjNS0_10empty_typeEbEEZZNS1_14partition_implILS8_4ELb0ES6_15HIP_vector_typeIjLj2EENS0_17counting_iteratorIjlEEPS9_SG_NS0_5tupleIJPjSI_NS0_16reverse_iteratorISI_EEEEENSH_IJSG_SG_SG_EEES9_SI_JZNS1_25segmented_radix_sort_implINS0_14default_configELb0EPKbPbPKlPlN2at6native12_GLOBAL__N_18offset_tEEE10hipError_tPvRmT1_PNSt15iterator_traitsIS12_E10value_typeET2_T3_PNS13_IS18_E10value_typeET4_jRbjT5_S1E_jjP12ihipStream_tbEUljE_ZNSN_ISO_Lb0ESQ_SR_ST_SU_SY_EESZ_S10_S11_S12_S16_S17_S18_S1B_S1C_jS1D_jS1E_S1E_jjS1G_bEUljE0_EEESZ_S10_S11_S18_S1C_S1E_T6_T7_T9_mT8_S1G_bDpT10_ENKUlT_T0_E_clISt17integral_constantIbLb0EES1U_EEDaS1P_S1Q_EUlS1P_E_NS1_11comp_targetILNS1_3genE5ELNS1_11target_archE942ELNS1_3gpuE9ELNS1_3repE0EEENS1_30default_config_static_selectorELNS0_4arch9wavefront6targetE0EEEvS12_.has_dyn_sized_stack, 0
	.set _ZN7rocprim17ROCPRIM_400000_NS6detail17trampoline_kernelINS0_13select_configILj256ELj13ELNS0_17block_load_methodE3ELS4_3ELS4_3ELNS0_20block_scan_algorithmE0ELj4294967295EEENS1_25partition_config_selectorILNS1_17partition_subalgoE4EjNS0_10empty_typeEbEEZZNS1_14partition_implILS8_4ELb0ES6_15HIP_vector_typeIjLj2EENS0_17counting_iteratorIjlEEPS9_SG_NS0_5tupleIJPjSI_NS0_16reverse_iteratorISI_EEEEENSH_IJSG_SG_SG_EEES9_SI_JZNS1_25segmented_radix_sort_implINS0_14default_configELb0EPKbPbPKlPlN2at6native12_GLOBAL__N_18offset_tEEE10hipError_tPvRmT1_PNSt15iterator_traitsIS12_E10value_typeET2_T3_PNS13_IS18_E10value_typeET4_jRbjT5_S1E_jjP12ihipStream_tbEUljE_ZNSN_ISO_Lb0ESQ_SR_ST_SU_SY_EESZ_S10_S11_S12_S16_S17_S18_S1B_S1C_jS1D_jS1E_S1E_jjS1G_bEUljE0_EEESZ_S10_S11_S18_S1C_S1E_T6_T7_T9_mT8_S1G_bDpT10_ENKUlT_T0_E_clISt17integral_constantIbLb0EES1U_EEDaS1P_S1Q_EUlS1P_E_NS1_11comp_targetILNS1_3genE5ELNS1_11target_archE942ELNS1_3gpuE9ELNS1_3repE0EEENS1_30default_config_static_selectorELNS0_4arch9wavefront6targetE0EEEvS12_.has_recursion, 0
	.set _ZN7rocprim17ROCPRIM_400000_NS6detail17trampoline_kernelINS0_13select_configILj256ELj13ELNS0_17block_load_methodE3ELS4_3ELS4_3ELNS0_20block_scan_algorithmE0ELj4294967295EEENS1_25partition_config_selectorILNS1_17partition_subalgoE4EjNS0_10empty_typeEbEEZZNS1_14partition_implILS8_4ELb0ES6_15HIP_vector_typeIjLj2EENS0_17counting_iteratorIjlEEPS9_SG_NS0_5tupleIJPjSI_NS0_16reverse_iteratorISI_EEEEENSH_IJSG_SG_SG_EEES9_SI_JZNS1_25segmented_radix_sort_implINS0_14default_configELb0EPKbPbPKlPlN2at6native12_GLOBAL__N_18offset_tEEE10hipError_tPvRmT1_PNSt15iterator_traitsIS12_E10value_typeET2_T3_PNS13_IS18_E10value_typeET4_jRbjT5_S1E_jjP12ihipStream_tbEUljE_ZNSN_ISO_Lb0ESQ_SR_ST_SU_SY_EESZ_S10_S11_S12_S16_S17_S18_S1B_S1C_jS1D_jS1E_S1E_jjS1G_bEUljE0_EEESZ_S10_S11_S18_S1C_S1E_T6_T7_T9_mT8_S1G_bDpT10_ENKUlT_T0_E_clISt17integral_constantIbLb0EES1U_EEDaS1P_S1Q_EUlS1P_E_NS1_11comp_targetILNS1_3genE5ELNS1_11target_archE942ELNS1_3gpuE9ELNS1_3repE0EEENS1_30default_config_static_selectorELNS0_4arch9wavefront6targetE0EEEvS12_.has_indirect_call, 0
	.section	.AMDGPU.csdata,"",@progbits
; Kernel info:
; codeLenInByte = 0
; TotalNumSgprs: 0
; NumVgprs: 0
; ScratchSize: 0
; MemoryBound: 0
; FloatMode: 240
; IeeeMode: 1
; LDSByteSize: 0 bytes/workgroup (compile time only)
; SGPRBlocks: 0
; VGPRBlocks: 0
; NumSGPRsForWavesPerEU: 1
; NumVGPRsForWavesPerEU: 1
; NamedBarCnt: 0
; Occupancy: 16
; WaveLimiterHint : 0
; COMPUTE_PGM_RSRC2:SCRATCH_EN: 0
; COMPUTE_PGM_RSRC2:USER_SGPR: 2
; COMPUTE_PGM_RSRC2:TRAP_HANDLER: 0
; COMPUTE_PGM_RSRC2:TGID_X_EN: 1
; COMPUTE_PGM_RSRC2:TGID_Y_EN: 0
; COMPUTE_PGM_RSRC2:TGID_Z_EN: 0
; COMPUTE_PGM_RSRC2:TIDIG_COMP_CNT: 0
	.section	.text._ZN7rocprim17ROCPRIM_400000_NS6detail17trampoline_kernelINS0_13select_configILj256ELj13ELNS0_17block_load_methodE3ELS4_3ELS4_3ELNS0_20block_scan_algorithmE0ELj4294967295EEENS1_25partition_config_selectorILNS1_17partition_subalgoE4EjNS0_10empty_typeEbEEZZNS1_14partition_implILS8_4ELb0ES6_15HIP_vector_typeIjLj2EENS0_17counting_iteratorIjlEEPS9_SG_NS0_5tupleIJPjSI_NS0_16reverse_iteratorISI_EEEEENSH_IJSG_SG_SG_EEES9_SI_JZNS1_25segmented_radix_sort_implINS0_14default_configELb0EPKbPbPKlPlN2at6native12_GLOBAL__N_18offset_tEEE10hipError_tPvRmT1_PNSt15iterator_traitsIS12_E10value_typeET2_T3_PNS13_IS18_E10value_typeET4_jRbjT5_S1E_jjP12ihipStream_tbEUljE_ZNSN_ISO_Lb0ESQ_SR_ST_SU_SY_EESZ_S10_S11_S12_S16_S17_S18_S1B_S1C_jS1D_jS1E_S1E_jjS1G_bEUljE0_EEESZ_S10_S11_S18_S1C_S1E_T6_T7_T9_mT8_S1G_bDpT10_ENKUlT_T0_E_clISt17integral_constantIbLb0EES1U_EEDaS1P_S1Q_EUlS1P_E_NS1_11comp_targetILNS1_3genE4ELNS1_11target_archE910ELNS1_3gpuE8ELNS1_3repE0EEENS1_30default_config_static_selectorELNS0_4arch9wavefront6targetE0EEEvS12_,"axG",@progbits,_ZN7rocprim17ROCPRIM_400000_NS6detail17trampoline_kernelINS0_13select_configILj256ELj13ELNS0_17block_load_methodE3ELS4_3ELS4_3ELNS0_20block_scan_algorithmE0ELj4294967295EEENS1_25partition_config_selectorILNS1_17partition_subalgoE4EjNS0_10empty_typeEbEEZZNS1_14partition_implILS8_4ELb0ES6_15HIP_vector_typeIjLj2EENS0_17counting_iteratorIjlEEPS9_SG_NS0_5tupleIJPjSI_NS0_16reverse_iteratorISI_EEEEENSH_IJSG_SG_SG_EEES9_SI_JZNS1_25segmented_radix_sort_implINS0_14default_configELb0EPKbPbPKlPlN2at6native12_GLOBAL__N_18offset_tEEE10hipError_tPvRmT1_PNSt15iterator_traitsIS12_E10value_typeET2_T3_PNS13_IS18_E10value_typeET4_jRbjT5_S1E_jjP12ihipStream_tbEUljE_ZNSN_ISO_Lb0ESQ_SR_ST_SU_SY_EESZ_S10_S11_S12_S16_S17_S18_S1B_S1C_jS1D_jS1E_S1E_jjS1G_bEUljE0_EEESZ_S10_S11_S18_S1C_S1E_T6_T7_T9_mT8_S1G_bDpT10_ENKUlT_T0_E_clISt17integral_constantIbLb0EES1U_EEDaS1P_S1Q_EUlS1P_E_NS1_11comp_targetILNS1_3genE4ELNS1_11target_archE910ELNS1_3gpuE8ELNS1_3repE0EEENS1_30default_config_static_selectorELNS0_4arch9wavefront6targetE0EEEvS12_,comdat
	.globl	_ZN7rocprim17ROCPRIM_400000_NS6detail17trampoline_kernelINS0_13select_configILj256ELj13ELNS0_17block_load_methodE3ELS4_3ELS4_3ELNS0_20block_scan_algorithmE0ELj4294967295EEENS1_25partition_config_selectorILNS1_17partition_subalgoE4EjNS0_10empty_typeEbEEZZNS1_14partition_implILS8_4ELb0ES6_15HIP_vector_typeIjLj2EENS0_17counting_iteratorIjlEEPS9_SG_NS0_5tupleIJPjSI_NS0_16reverse_iteratorISI_EEEEENSH_IJSG_SG_SG_EEES9_SI_JZNS1_25segmented_radix_sort_implINS0_14default_configELb0EPKbPbPKlPlN2at6native12_GLOBAL__N_18offset_tEEE10hipError_tPvRmT1_PNSt15iterator_traitsIS12_E10value_typeET2_T3_PNS13_IS18_E10value_typeET4_jRbjT5_S1E_jjP12ihipStream_tbEUljE_ZNSN_ISO_Lb0ESQ_SR_ST_SU_SY_EESZ_S10_S11_S12_S16_S17_S18_S1B_S1C_jS1D_jS1E_S1E_jjS1G_bEUljE0_EEESZ_S10_S11_S18_S1C_S1E_T6_T7_T9_mT8_S1G_bDpT10_ENKUlT_T0_E_clISt17integral_constantIbLb0EES1U_EEDaS1P_S1Q_EUlS1P_E_NS1_11comp_targetILNS1_3genE4ELNS1_11target_archE910ELNS1_3gpuE8ELNS1_3repE0EEENS1_30default_config_static_selectorELNS0_4arch9wavefront6targetE0EEEvS12_ ; -- Begin function _ZN7rocprim17ROCPRIM_400000_NS6detail17trampoline_kernelINS0_13select_configILj256ELj13ELNS0_17block_load_methodE3ELS4_3ELS4_3ELNS0_20block_scan_algorithmE0ELj4294967295EEENS1_25partition_config_selectorILNS1_17partition_subalgoE4EjNS0_10empty_typeEbEEZZNS1_14partition_implILS8_4ELb0ES6_15HIP_vector_typeIjLj2EENS0_17counting_iteratorIjlEEPS9_SG_NS0_5tupleIJPjSI_NS0_16reverse_iteratorISI_EEEEENSH_IJSG_SG_SG_EEES9_SI_JZNS1_25segmented_radix_sort_implINS0_14default_configELb0EPKbPbPKlPlN2at6native12_GLOBAL__N_18offset_tEEE10hipError_tPvRmT1_PNSt15iterator_traitsIS12_E10value_typeET2_T3_PNS13_IS18_E10value_typeET4_jRbjT5_S1E_jjP12ihipStream_tbEUljE_ZNSN_ISO_Lb0ESQ_SR_ST_SU_SY_EESZ_S10_S11_S12_S16_S17_S18_S1B_S1C_jS1D_jS1E_S1E_jjS1G_bEUljE0_EEESZ_S10_S11_S18_S1C_S1E_T6_T7_T9_mT8_S1G_bDpT10_ENKUlT_T0_E_clISt17integral_constantIbLb0EES1U_EEDaS1P_S1Q_EUlS1P_E_NS1_11comp_targetILNS1_3genE4ELNS1_11target_archE910ELNS1_3gpuE8ELNS1_3repE0EEENS1_30default_config_static_selectorELNS0_4arch9wavefront6targetE0EEEvS12_
	.p2align	8
	.type	_ZN7rocprim17ROCPRIM_400000_NS6detail17trampoline_kernelINS0_13select_configILj256ELj13ELNS0_17block_load_methodE3ELS4_3ELS4_3ELNS0_20block_scan_algorithmE0ELj4294967295EEENS1_25partition_config_selectorILNS1_17partition_subalgoE4EjNS0_10empty_typeEbEEZZNS1_14partition_implILS8_4ELb0ES6_15HIP_vector_typeIjLj2EENS0_17counting_iteratorIjlEEPS9_SG_NS0_5tupleIJPjSI_NS0_16reverse_iteratorISI_EEEEENSH_IJSG_SG_SG_EEES9_SI_JZNS1_25segmented_radix_sort_implINS0_14default_configELb0EPKbPbPKlPlN2at6native12_GLOBAL__N_18offset_tEEE10hipError_tPvRmT1_PNSt15iterator_traitsIS12_E10value_typeET2_T3_PNS13_IS18_E10value_typeET4_jRbjT5_S1E_jjP12ihipStream_tbEUljE_ZNSN_ISO_Lb0ESQ_SR_ST_SU_SY_EESZ_S10_S11_S12_S16_S17_S18_S1B_S1C_jS1D_jS1E_S1E_jjS1G_bEUljE0_EEESZ_S10_S11_S18_S1C_S1E_T6_T7_T9_mT8_S1G_bDpT10_ENKUlT_T0_E_clISt17integral_constantIbLb0EES1U_EEDaS1P_S1Q_EUlS1P_E_NS1_11comp_targetILNS1_3genE4ELNS1_11target_archE910ELNS1_3gpuE8ELNS1_3repE0EEENS1_30default_config_static_selectorELNS0_4arch9wavefront6targetE0EEEvS12_,@function
_ZN7rocprim17ROCPRIM_400000_NS6detail17trampoline_kernelINS0_13select_configILj256ELj13ELNS0_17block_load_methodE3ELS4_3ELS4_3ELNS0_20block_scan_algorithmE0ELj4294967295EEENS1_25partition_config_selectorILNS1_17partition_subalgoE4EjNS0_10empty_typeEbEEZZNS1_14partition_implILS8_4ELb0ES6_15HIP_vector_typeIjLj2EENS0_17counting_iteratorIjlEEPS9_SG_NS0_5tupleIJPjSI_NS0_16reverse_iteratorISI_EEEEENSH_IJSG_SG_SG_EEES9_SI_JZNS1_25segmented_radix_sort_implINS0_14default_configELb0EPKbPbPKlPlN2at6native12_GLOBAL__N_18offset_tEEE10hipError_tPvRmT1_PNSt15iterator_traitsIS12_E10value_typeET2_T3_PNS13_IS18_E10value_typeET4_jRbjT5_S1E_jjP12ihipStream_tbEUljE_ZNSN_ISO_Lb0ESQ_SR_ST_SU_SY_EESZ_S10_S11_S12_S16_S17_S18_S1B_S1C_jS1D_jS1E_S1E_jjS1G_bEUljE0_EEESZ_S10_S11_S18_S1C_S1E_T6_T7_T9_mT8_S1G_bDpT10_ENKUlT_T0_E_clISt17integral_constantIbLb0EES1U_EEDaS1P_S1Q_EUlS1P_E_NS1_11comp_targetILNS1_3genE4ELNS1_11target_archE910ELNS1_3gpuE8ELNS1_3repE0EEENS1_30default_config_static_selectorELNS0_4arch9wavefront6targetE0EEEvS12_: ; @_ZN7rocprim17ROCPRIM_400000_NS6detail17trampoline_kernelINS0_13select_configILj256ELj13ELNS0_17block_load_methodE3ELS4_3ELS4_3ELNS0_20block_scan_algorithmE0ELj4294967295EEENS1_25partition_config_selectorILNS1_17partition_subalgoE4EjNS0_10empty_typeEbEEZZNS1_14partition_implILS8_4ELb0ES6_15HIP_vector_typeIjLj2EENS0_17counting_iteratorIjlEEPS9_SG_NS0_5tupleIJPjSI_NS0_16reverse_iteratorISI_EEEEENSH_IJSG_SG_SG_EEES9_SI_JZNS1_25segmented_radix_sort_implINS0_14default_configELb0EPKbPbPKlPlN2at6native12_GLOBAL__N_18offset_tEEE10hipError_tPvRmT1_PNSt15iterator_traitsIS12_E10value_typeET2_T3_PNS13_IS18_E10value_typeET4_jRbjT5_S1E_jjP12ihipStream_tbEUljE_ZNSN_ISO_Lb0ESQ_SR_ST_SU_SY_EESZ_S10_S11_S12_S16_S17_S18_S1B_S1C_jS1D_jS1E_S1E_jjS1G_bEUljE0_EEESZ_S10_S11_S18_S1C_S1E_T6_T7_T9_mT8_S1G_bDpT10_ENKUlT_T0_E_clISt17integral_constantIbLb0EES1U_EEDaS1P_S1Q_EUlS1P_E_NS1_11comp_targetILNS1_3genE4ELNS1_11target_archE910ELNS1_3gpuE8ELNS1_3repE0EEENS1_30default_config_static_selectorELNS0_4arch9wavefront6targetE0EEEvS12_
; %bb.0:
	.section	.rodata,"a",@progbits
	.p2align	6, 0x0
	.amdhsa_kernel _ZN7rocprim17ROCPRIM_400000_NS6detail17trampoline_kernelINS0_13select_configILj256ELj13ELNS0_17block_load_methodE3ELS4_3ELS4_3ELNS0_20block_scan_algorithmE0ELj4294967295EEENS1_25partition_config_selectorILNS1_17partition_subalgoE4EjNS0_10empty_typeEbEEZZNS1_14partition_implILS8_4ELb0ES6_15HIP_vector_typeIjLj2EENS0_17counting_iteratorIjlEEPS9_SG_NS0_5tupleIJPjSI_NS0_16reverse_iteratorISI_EEEEENSH_IJSG_SG_SG_EEES9_SI_JZNS1_25segmented_radix_sort_implINS0_14default_configELb0EPKbPbPKlPlN2at6native12_GLOBAL__N_18offset_tEEE10hipError_tPvRmT1_PNSt15iterator_traitsIS12_E10value_typeET2_T3_PNS13_IS18_E10value_typeET4_jRbjT5_S1E_jjP12ihipStream_tbEUljE_ZNSN_ISO_Lb0ESQ_SR_ST_SU_SY_EESZ_S10_S11_S12_S16_S17_S18_S1B_S1C_jS1D_jS1E_S1E_jjS1G_bEUljE0_EEESZ_S10_S11_S18_S1C_S1E_T6_T7_T9_mT8_S1G_bDpT10_ENKUlT_T0_E_clISt17integral_constantIbLb0EES1U_EEDaS1P_S1Q_EUlS1P_E_NS1_11comp_targetILNS1_3genE4ELNS1_11target_archE910ELNS1_3gpuE8ELNS1_3repE0EEENS1_30default_config_static_selectorELNS0_4arch9wavefront6targetE0EEEvS12_
		.amdhsa_group_segment_fixed_size 0
		.amdhsa_private_segment_fixed_size 0
		.amdhsa_kernarg_size 176
		.amdhsa_user_sgpr_count 2
		.amdhsa_user_sgpr_dispatch_ptr 0
		.amdhsa_user_sgpr_queue_ptr 0
		.amdhsa_user_sgpr_kernarg_segment_ptr 1
		.amdhsa_user_sgpr_dispatch_id 0
		.amdhsa_user_sgpr_kernarg_preload_length 0
		.amdhsa_user_sgpr_kernarg_preload_offset 0
		.amdhsa_user_sgpr_private_segment_size 0
		.amdhsa_wavefront_size32 1
		.amdhsa_uses_dynamic_stack 0
		.amdhsa_enable_private_segment 0
		.amdhsa_system_sgpr_workgroup_id_x 1
		.amdhsa_system_sgpr_workgroup_id_y 0
		.amdhsa_system_sgpr_workgroup_id_z 0
		.amdhsa_system_sgpr_workgroup_info 0
		.amdhsa_system_vgpr_workitem_id 0
		.amdhsa_next_free_vgpr 1
		.amdhsa_next_free_sgpr 1
		.amdhsa_named_barrier_count 0
		.amdhsa_reserve_vcc 0
		.amdhsa_float_round_mode_32 0
		.amdhsa_float_round_mode_16_64 0
		.amdhsa_float_denorm_mode_32 3
		.amdhsa_float_denorm_mode_16_64 3
		.amdhsa_fp16_overflow 0
		.amdhsa_memory_ordered 1
		.amdhsa_forward_progress 1
		.amdhsa_inst_pref_size 0
		.amdhsa_round_robin_scheduling 0
		.amdhsa_exception_fp_ieee_invalid_op 0
		.amdhsa_exception_fp_denorm_src 0
		.amdhsa_exception_fp_ieee_div_zero 0
		.amdhsa_exception_fp_ieee_overflow 0
		.amdhsa_exception_fp_ieee_underflow 0
		.amdhsa_exception_fp_ieee_inexact 0
		.amdhsa_exception_int_div_zero 0
	.end_amdhsa_kernel
	.section	.text._ZN7rocprim17ROCPRIM_400000_NS6detail17trampoline_kernelINS0_13select_configILj256ELj13ELNS0_17block_load_methodE3ELS4_3ELS4_3ELNS0_20block_scan_algorithmE0ELj4294967295EEENS1_25partition_config_selectorILNS1_17partition_subalgoE4EjNS0_10empty_typeEbEEZZNS1_14partition_implILS8_4ELb0ES6_15HIP_vector_typeIjLj2EENS0_17counting_iteratorIjlEEPS9_SG_NS0_5tupleIJPjSI_NS0_16reverse_iteratorISI_EEEEENSH_IJSG_SG_SG_EEES9_SI_JZNS1_25segmented_radix_sort_implINS0_14default_configELb0EPKbPbPKlPlN2at6native12_GLOBAL__N_18offset_tEEE10hipError_tPvRmT1_PNSt15iterator_traitsIS12_E10value_typeET2_T3_PNS13_IS18_E10value_typeET4_jRbjT5_S1E_jjP12ihipStream_tbEUljE_ZNSN_ISO_Lb0ESQ_SR_ST_SU_SY_EESZ_S10_S11_S12_S16_S17_S18_S1B_S1C_jS1D_jS1E_S1E_jjS1G_bEUljE0_EEESZ_S10_S11_S18_S1C_S1E_T6_T7_T9_mT8_S1G_bDpT10_ENKUlT_T0_E_clISt17integral_constantIbLb0EES1U_EEDaS1P_S1Q_EUlS1P_E_NS1_11comp_targetILNS1_3genE4ELNS1_11target_archE910ELNS1_3gpuE8ELNS1_3repE0EEENS1_30default_config_static_selectorELNS0_4arch9wavefront6targetE0EEEvS12_,"axG",@progbits,_ZN7rocprim17ROCPRIM_400000_NS6detail17trampoline_kernelINS0_13select_configILj256ELj13ELNS0_17block_load_methodE3ELS4_3ELS4_3ELNS0_20block_scan_algorithmE0ELj4294967295EEENS1_25partition_config_selectorILNS1_17partition_subalgoE4EjNS0_10empty_typeEbEEZZNS1_14partition_implILS8_4ELb0ES6_15HIP_vector_typeIjLj2EENS0_17counting_iteratorIjlEEPS9_SG_NS0_5tupleIJPjSI_NS0_16reverse_iteratorISI_EEEEENSH_IJSG_SG_SG_EEES9_SI_JZNS1_25segmented_radix_sort_implINS0_14default_configELb0EPKbPbPKlPlN2at6native12_GLOBAL__N_18offset_tEEE10hipError_tPvRmT1_PNSt15iterator_traitsIS12_E10value_typeET2_T3_PNS13_IS18_E10value_typeET4_jRbjT5_S1E_jjP12ihipStream_tbEUljE_ZNSN_ISO_Lb0ESQ_SR_ST_SU_SY_EESZ_S10_S11_S12_S16_S17_S18_S1B_S1C_jS1D_jS1E_S1E_jjS1G_bEUljE0_EEESZ_S10_S11_S18_S1C_S1E_T6_T7_T9_mT8_S1G_bDpT10_ENKUlT_T0_E_clISt17integral_constantIbLb0EES1U_EEDaS1P_S1Q_EUlS1P_E_NS1_11comp_targetILNS1_3genE4ELNS1_11target_archE910ELNS1_3gpuE8ELNS1_3repE0EEENS1_30default_config_static_selectorELNS0_4arch9wavefront6targetE0EEEvS12_,comdat
.Lfunc_end1564:
	.size	_ZN7rocprim17ROCPRIM_400000_NS6detail17trampoline_kernelINS0_13select_configILj256ELj13ELNS0_17block_load_methodE3ELS4_3ELS4_3ELNS0_20block_scan_algorithmE0ELj4294967295EEENS1_25partition_config_selectorILNS1_17partition_subalgoE4EjNS0_10empty_typeEbEEZZNS1_14partition_implILS8_4ELb0ES6_15HIP_vector_typeIjLj2EENS0_17counting_iteratorIjlEEPS9_SG_NS0_5tupleIJPjSI_NS0_16reverse_iteratorISI_EEEEENSH_IJSG_SG_SG_EEES9_SI_JZNS1_25segmented_radix_sort_implINS0_14default_configELb0EPKbPbPKlPlN2at6native12_GLOBAL__N_18offset_tEEE10hipError_tPvRmT1_PNSt15iterator_traitsIS12_E10value_typeET2_T3_PNS13_IS18_E10value_typeET4_jRbjT5_S1E_jjP12ihipStream_tbEUljE_ZNSN_ISO_Lb0ESQ_SR_ST_SU_SY_EESZ_S10_S11_S12_S16_S17_S18_S1B_S1C_jS1D_jS1E_S1E_jjS1G_bEUljE0_EEESZ_S10_S11_S18_S1C_S1E_T6_T7_T9_mT8_S1G_bDpT10_ENKUlT_T0_E_clISt17integral_constantIbLb0EES1U_EEDaS1P_S1Q_EUlS1P_E_NS1_11comp_targetILNS1_3genE4ELNS1_11target_archE910ELNS1_3gpuE8ELNS1_3repE0EEENS1_30default_config_static_selectorELNS0_4arch9wavefront6targetE0EEEvS12_, .Lfunc_end1564-_ZN7rocprim17ROCPRIM_400000_NS6detail17trampoline_kernelINS0_13select_configILj256ELj13ELNS0_17block_load_methodE3ELS4_3ELS4_3ELNS0_20block_scan_algorithmE0ELj4294967295EEENS1_25partition_config_selectorILNS1_17partition_subalgoE4EjNS0_10empty_typeEbEEZZNS1_14partition_implILS8_4ELb0ES6_15HIP_vector_typeIjLj2EENS0_17counting_iteratorIjlEEPS9_SG_NS0_5tupleIJPjSI_NS0_16reverse_iteratorISI_EEEEENSH_IJSG_SG_SG_EEES9_SI_JZNS1_25segmented_radix_sort_implINS0_14default_configELb0EPKbPbPKlPlN2at6native12_GLOBAL__N_18offset_tEEE10hipError_tPvRmT1_PNSt15iterator_traitsIS12_E10value_typeET2_T3_PNS13_IS18_E10value_typeET4_jRbjT5_S1E_jjP12ihipStream_tbEUljE_ZNSN_ISO_Lb0ESQ_SR_ST_SU_SY_EESZ_S10_S11_S12_S16_S17_S18_S1B_S1C_jS1D_jS1E_S1E_jjS1G_bEUljE0_EEESZ_S10_S11_S18_S1C_S1E_T6_T7_T9_mT8_S1G_bDpT10_ENKUlT_T0_E_clISt17integral_constantIbLb0EES1U_EEDaS1P_S1Q_EUlS1P_E_NS1_11comp_targetILNS1_3genE4ELNS1_11target_archE910ELNS1_3gpuE8ELNS1_3repE0EEENS1_30default_config_static_selectorELNS0_4arch9wavefront6targetE0EEEvS12_
                                        ; -- End function
	.set _ZN7rocprim17ROCPRIM_400000_NS6detail17trampoline_kernelINS0_13select_configILj256ELj13ELNS0_17block_load_methodE3ELS4_3ELS4_3ELNS0_20block_scan_algorithmE0ELj4294967295EEENS1_25partition_config_selectorILNS1_17partition_subalgoE4EjNS0_10empty_typeEbEEZZNS1_14partition_implILS8_4ELb0ES6_15HIP_vector_typeIjLj2EENS0_17counting_iteratorIjlEEPS9_SG_NS0_5tupleIJPjSI_NS0_16reverse_iteratorISI_EEEEENSH_IJSG_SG_SG_EEES9_SI_JZNS1_25segmented_radix_sort_implINS0_14default_configELb0EPKbPbPKlPlN2at6native12_GLOBAL__N_18offset_tEEE10hipError_tPvRmT1_PNSt15iterator_traitsIS12_E10value_typeET2_T3_PNS13_IS18_E10value_typeET4_jRbjT5_S1E_jjP12ihipStream_tbEUljE_ZNSN_ISO_Lb0ESQ_SR_ST_SU_SY_EESZ_S10_S11_S12_S16_S17_S18_S1B_S1C_jS1D_jS1E_S1E_jjS1G_bEUljE0_EEESZ_S10_S11_S18_S1C_S1E_T6_T7_T9_mT8_S1G_bDpT10_ENKUlT_T0_E_clISt17integral_constantIbLb0EES1U_EEDaS1P_S1Q_EUlS1P_E_NS1_11comp_targetILNS1_3genE4ELNS1_11target_archE910ELNS1_3gpuE8ELNS1_3repE0EEENS1_30default_config_static_selectorELNS0_4arch9wavefront6targetE0EEEvS12_.num_vgpr, 0
	.set _ZN7rocprim17ROCPRIM_400000_NS6detail17trampoline_kernelINS0_13select_configILj256ELj13ELNS0_17block_load_methodE3ELS4_3ELS4_3ELNS0_20block_scan_algorithmE0ELj4294967295EEENS1_25partition_config_selectorILNS1_17partition_subalgoE4EjNS0_10empty_typeEbEEZZNS1_14partition_implILS8_4ELb0ES6_15HIP_vector_typeIjLj2EENS0_17counting_iteratorIjlEEPS9_SG_NS0_5tupleIJPjSI_NS0_16reverse_iteratorISI_EEEEENSH_IJSG_SG_SG_EEES9_SI_JZNS1_25segmented_radix_sort_implINS0_14default_configELb0EPKbPbPKlPlN2at6native12_GLOBAL__N_18offset_tEEE10hipError_tPvRmT1_PNSt15iterator_traitsIS12_E10value_typeET2_T3_PNS13_IS18_E10value_typeET4_jRbjT5_S1E_jjP12ihipStream_tbEUljE_ZNSN_ISO_Lb0ESQ_SR_ST_SU_SY_EESZ_S10_S11_S12_S16_S17_S18_S1B_S1C_jS1D_jS1E_S1E_jjS1G_bEUljE0_EEESZ_S10_S11_S18_S1C_S1E_T6_T7_T9_mT8_S1G_bDpT10_ENKUlT_T0_E_clISt17integral_constantIbLb0EES1U_EEDaS1P_S1Q_EUlS1P_E_NS1_11comp_targetILNS1_3genE4ELNS1_11target_archE910ELNS1_3gpuE8ELNS1_3repE0EEENS1_30default_config_static_selectorELNS0_4arch9wavefront6targetE0EEEvS12_.num_agpr, 0
	.set _ZN7rocprim17ROCPRIM_400000_NS6detail17trampoline_kernelINS0_13select_configILj256ELj13ELNS0_17block_load_methodE3ELS4_3ELS4_3ELNS0_20block_scan_algorithmE0ELj4294967295EEENS1_25partition_config_selectorILNS1_17partition_subalgoE4EjNS0_10empty_typeEbEEZZNS1_14partition_implILS8_4ELb0ES6_15HIP_vector_typeIjLj2EENS0_17counting_iteratorIjlEEPS9_SG_NS0_5tupleIJPjSI_NS0_16reverse_iteratorISI_EEEEENSH_IJSG_SG_SG_EEES9_SI_JZNS1_25segmented_radix_sort_implINS0_14default_configELb0EPKbPbPKlPlN2at6native12_GLOBAL__N_18offset_tEEE10hipError_tPvRmT1_PNSt15iterator_traitsIS12_E10value_typeET2_T3_PNS13_IS18_E10value_typeET4_jRbjT5_S1E_jjP12ihipStream_tbEUljE_ZNSN_ISO_Lb0ESQ_SR_ST_SU_SY_EESZ_S10_S11_S12_S16_S17_S18_S1B_S1C_jS1D_jS1E_S1E_jjS1G_bEUljE0_EEESZ_S10_S11_S18_S1C_S1E_T6_T7_T9_mT8_S1G_bDpT10_ENKUlT_T0_E_clISt17integral_constantIbLb0EES1U_EEDaS1P_S1Q_EUlS1P_E_NS1_11comp_targetILNS1_3genE4ELNS1_11target_archE910ELNS1_3gpuE8ELNS1_3repE0EEENS1_30default_config_static_selectorELNS0_4arch9wavefront6targetE0EEEvS12_.numbered_sgpr, 0
	.set _ZN7rocprim17ROCPRIM_400000_NS6detail17trampoline_kernelINS0_13select_configILj256ELj13ELNS0_17block_load_methodE3ELS4_3ELS4_3ELNS0_20block_scan_algorithmE0ELj4294967295EEENS1_25partition_config_selectorILNS1_17partition_subalgoE4EjNS0_10empty_typeEbEEZZNS1_14partition_implILS8_4ELb0ES6_15HIP_vector_typeIjLj2EENS0_17counting_iteratorIjlEEPS9_SG_NS0_5tupleIJPjSI_NS0_16reverse_iteratorISI_EEEEENSH_IJSG_SG_SG_EEES9_SI_JZNS1_25segmented_radix_sort_implINS0_14default_configELb0EPKbPbPKlPlN2at6native12_GLOBAL__N_18offset_tEEE10hipError_tPvRmT1_PNSt15iterator_traitsIS12_E10value_typeET2_T3_PNS13_IS18_E10value_typeET4_jRbjT5_S1E_jjP12ihipStream_tbEUljE_ZNSN_ISO_Lb0ESQ_SR_ST_SU_SY_EESZ_S10_S11_S12_S16_S17_S18_S1B_S1C_jS1D_jS1E_S1E_jjS1G_bEUljE0_EEESZ_S10_S11_S18_S1C_S1E_T6_T7_T9_mT8_S1G_bDpT10_ENKUlT_T0_E_clISt17integral_constantIbLb0EES1U_EEDaS1P_S1Q_EUlS1P_E_NS1_11comp_targetILNS1_3genE4ELNS1_11target_archE910ELNS1_3gpuE8ELNS1_3repE0EEENS1_30default_config_static_selectorELNS0_4arch9wavefront6targetE0EEEvS12_.num_named_barrier, 0
	.set _ZN7rocprim17ROCPRIM_400000_NS6detail17trampoline_kernelINS0_13select_configILj256ELj13ELNS0_17block_load_methodE3ELS4_3ELS4_3ELNS0_20block_scan_algorithmE0ELj4294967295EEENS1_25partition_config_selectorILNS1_17partition_subalgoE4EjNS0_10empty_typeEbEEZZNS1_14partition_implILS8_4ELb0ES6_15HIP_vector_typeIjLj2EENS0_17counting_iteratorIjlEEPS9_SG_NS0_5tupleIJPjSI_NS0_16reverse_iteratorISI_EEEEENSH_IJSG_SG_SG_EEES9_SI_JZNS1_25segmented_radix_sort_implINS0_14default_configELb0EPKbPbPKlPlN2at6native12_GLOBAL__N_18offset_tEEE10hipError_tPvRmT1_PNSt15iterator_traitsIS12_E10value_typeET2_T3_PNS13_IS18_E10value_typeET4_jRbjT5_S1E_jjP12ihipStream_tbEUljE_ZNSN_ISO_Lb0ESQ_SR_ST_SU_SY_EESZ_S10_S11_S12_S16_S17_S18_S1B_S1C_jS1D_jS1E_S1E_jjS1G_bEUljE0_EEESZ_S10_S11_S18_S1C_S1E_T6_T7_T9_mT8_S1G_bDpT10_ENKUlT_T0_E_clISt17integral_constantIbLb0EES1U_EEDaS1P_S1Q_EUlS1P_E_NS1_11comp_targetILNS1_3genE4ELNS1_11target_archE910ELNS1_3gpuE8ELNS1_3repE0EEENS1_30default_config_static_selectorELNS0_4arch9wavefront6targetE0EEEvS12_.private_seg_size, 0
	.set _ZN7rocprim17ROCPRIM_400000_NS6detail17trampoline_kernelINS0_13select_configILj256ELj13ELNS0_17block_load_methodE3ELS4_3ELS4_3ELNS0_20block_scan_algorithmE0ELj4294967295EEENS1_25partition_config_selectorILNS1_17partition_subalgoE4EjNS0_10empty_typeEbEEZZNS1_14partition_implILS8_4ELb0ES6_15HIP_vector_typeIjLj2EENS0_17counting_iteratorIjlEEPS9_SG_NS0_5tupleIJPjSI_NS0_16reverse_iteratorISI_EEEEENSH_IJSG_SG_SG_EEES9_SI_JZNS1_25segmented_radix_sort_implINS0_14default_configELb0EPKbPbPKlPlN2at6native12_GLOBAL__N_18offset_tEEE10hipError_tPvRmT1_PNSt15iterator_traitsIS12_E10value_typeET2_T3_PNS13_IS18_E10value_typeET4_jRbjT5_S1E_jjP12ihipStream_tbEUljE_ZNSN_ISO_Lb0ESQ_SR_ST_SU_SY_EESZ_S10_S11_S12_S16_S17_S18_S1B_S1C_jS1D_jS1E_S1E_jjS1G_bEUljE0_EEESZ_S10_S11_S18_S1C_S1E_T6_T7_T9_mT8_S1G_bDpT10_ENKUlT_T0_E_clISt17integral_constantIbLb0EES1U_EEDaS1P_S1Q_EUlS1P_E_NS1_11comp_targetILNS1_3genE4ELNS1_11target_archE910ELNS1_3gpuE8ELNS1_3repE0EEENS1_30default_config_static_selectorELNS0_4arch9wavefront6targetE0EEEvS12_.uses_vcc, 0
	.set _ZN7rocprim17ROCPRIM_400000_NS6detail17trampoline_kernelINS0_13select_configILj256ELj13ELNS0_17block_load_methodE3ELS4_3ELS4_3ELNS0_20block_scan_algorithmE0ELj4294967295EEENS1_25partition_config_selectorILNS1_17partition_subalgoE4EjNS0_10empty_typeEbEEZZNS1_14partition_implILS8_4ELb0ES6_15HIP_vector_typeIjLj2EENS0_17counting_iteratorIjlEEPS9_SG_NS0_5tupleIJPjSI_NS0_16reverse_iteratorISI_EEEEENSH_IJSG_SG_SG_EEES9_SI_JZNS1_25segmented_radix_sort_implINS0_14default_configELb0EPKbPbPKlPlN2at6native12_GLOBAL__N_18offset_tEEE10hipError_tPvRmT1_PNSt15iterator_traitsIS12_E10value_typeET2_T3_PNS13_IS18_E10value_typeET4_jRbjT5_S1E_jjP12ihipStream_tbEUljE_ZNSN_ISO_Lb0ESQ_SR_ST_SU_SY_EESZ_S10_S11_S12_S16_S17_S18_S1B_S1C_jS1D_jS1E_S1E_jjS1G_bEUljE0_EEESZ_S10_S11_S18_S1C_S1E_T6_T7_T9_mT8_S1G_bDpT10_ENKUlT_T0_E_clISt17integral_constantIbLb0EES1U_EEDaS1P_S1Q_EUlS1P_E_NS1_11comp_targetILNS1_3genE4ELNS1_11target_archE910ELNS1_3gpuE8ELNS1_3repE0EEENS1_30default_config_static_selectorELNS0_4arch9wavefront6targetE0EEEvS12_.uses_flat_scratch, 0
	.set _ZN7rocprim17ROCPRIM_400000_NS6detail17trampoline_kernelINS0_13select_configILj256ELj13ELNS0_17block_load_methodE3ELS4_3ELS4_3ELNS0_20block_scan_algorithmE0ELj4294967295EEENS1_25partition_config_selectorILNS1_17partition_subalgoE4EjNS0_10empty_typeEbEEZZNS1_14partition_implILS8_4ELb0ES6_15HIP_vector_typeIjLj2EENS0_17counting_iteratorIjlEEPS9_SG_NS0_5tupleIJPjSI_NS0_16reverse_iteratorISI_EEEEENSH_IJSG_SG_SG_EEES9_SI_JZNS1_25segmented_radix_sort_implINS0_14default_configELb0EPKbPbPKlPlN2at6native12_GLOBAL__N_18offset_tEEE10hipError_tPvRmT1_PNSt15iterator_traitsIS12_E10value_typeET2_T3_PNS13_IS18_E10value_typeET4_jRbjT5_S1E_jjP12ihipStream_tbEUljE_ZNSN_ISO_Lb0ESQ_SR_ST_SU_SY_EESZ_S10_S11_S12_S16_S17_S18_S1B_S1C_jS1D_jS1E_S1E_jjS1G_bEUljE0_EEESZ_S10_S11_S18_S1C_S1E_T6_T7_T9_mT8_S1G_bDpT10_ENKUlT_T0_E_clISt17integral_constantIbLb0EES1U_EEDaS1P_S1Q_EUlS1P_E_NS1_11comp_targetILNS1_3genE4ELNS1_11target_archE910ELNS1_3gpuE8ELNS1_3repE0EEENS1_30default_config_static_selectorELNS0_4arch9wavefront6targetE0EEEvS12_.has_dyn_sized_stack, 0
	.set _ZN7rocprim17ROCPRIM_400000_NS6detail17trampoline_kernelINS0_13select_configILj256ELj13ELNS0_17block_load_methodE3ELS4_3ELS4_3ELNS0_20block_scan_algorithmE0ELj4294967295EEENS1_25partition_config_selectorILNS1_17partition_subalgoE4EjNS0_10empty_typeEbEEZZNS1_14partition_implILS8_4ELb0ES6_15HIP_vector_typeIjLj2EENS0_17counting_iteratorIjlEEPS9_SG_NS0_5tupleIJPjSI_NS0_16reverse_iteratorISI_EEEEENSH_IJSG_SG_SG_EEES9_SI_JZNS1_25segmented_radix_sort_implINS0_14default_configELb0EPKbPbPKlPlN2at6native12_GLOBAL__N_18offset_tEEE10hipError_tPvRmT1_PNSt15iterator_traitsIS12_E10value_typeET2_T3_PNS13_IS18_E10value_typeET4_jRbjT5_S1E_jjP12ihipStream_tbEUljE_ZNSN_ISO_Lb0ESQ_SR_ST_SU_SY_EESZ_S10_S11_S12_S16_S17_S18_S1B_S1C_jS1D_jS1E_S1E_jjS1G_bEUljE0_EEESZ_S10_S11_S18_S1C_S1E_T6_T7_T9_mT8_S1G_bDpT10_ENKUlT_T0_E_clISt17integral_constantIbLb0EES1U_EEDaS1P_S1Q_EUlS1P_E_NS1_11comp_targetILNS1_3genE4ELNS1_11target_archE910ELNS1_3gpuE8ELNS1_3repE0EEENS1_30default_config_static_selectorELNS0_4arch9wavefront6targetE0EEEvS12_.has_recursion, 0
	.set _ZN7rocprim17ROCPRIM_400000_NS6detail17trampoline_kernelINS0_13select_configILj256ELj13ELNS0_17block_load_methodE3ELS4_3ELS4_3ELNS0_20block_scan_algorithmE0ELj4294967295EEENS1_25partition_config_selectorILNS1_17partition_subalgoE4EjNS0_10empty_typeEbEEZZNS1_14partition_implILS8_4ELb0ES6_15HIP_vector_typeIjLj2EENS0_17counting_iteratorIjlEEPS9_SG_NS0_5tupleIJPjSI_NS0_16reverse_iteratorISI_EEEEENSH_IJSG_SG_SG_EEES9_SI_JZNS1_25segmented_radix_sort_implINS0_14default_configELb0EPKbPbPKlPlN2at6native12_GLOBAL__N_18offset_tEEE10hipError_tPvRmT1_PNSt15iterator_traitsIS12_E10value_typeET2_T3_PNS13_IS18_E10value_typeET4_jRbjT5_S1E_jjP12ihipStream_tbEUljE_ZNSN_ISO_Lb0ESQ_SR_ST_SU_SY_EESZ_S10_S11_S12_S16_S17_S18_S1B_S1C_jS1D_jS1E_S1E_jjS1G_bEUljE0_EEESZ_S10_S11_S18_S1C_S1E_T6_T7_T9_mT8_S1G_bDpT10_ENKUlT_T0_E_clISt17integral_constantIbLb0EES1U_EEDaS1P_S1Q_EUlS1P_E_NS1_11comp_targetILNS1_3genE4ELNS1_11target_archE910ELNS1_3gpuE8ELNS1_3repE0EEENS1_30default_config_static_selectorELNS0_4arch9wavefront6targetE0EEEvS12_.has_indirect_call, 0
	.section	.AMDGPU.csdata,"",@progbits
; Kernel info:
; codeLenInByte = 0
; TotalNumSgprs: 0
; NumVgprs: 0
; ScratchSize: 0
; MemoryBound: 0
; FloatMode: 240
; IeeeMode: 1
; LDSByteSize: 0 bytes/workgroup (compile time only)
; SGPRBlocks: 0
; VGPRBlocks: 0
; NumSGPRsForWavesPerEU: 1
; NumVGPRsForWavesPerEU: 1
; NamedBarCnt: 0
; Occupancy: 16
; WaveLimiterHint : 0
; COMPUTE_PGM_RSRC2:SCRATCH_EN: 0
; COMPUTE_PGM_RSRC2:USER_SGPR: 2
; COMPUTE_PGM_RSRC2:TRAP_HANDLER: 0
; COMPUTE_PGM_RSRC2:TGID_X_EN: 1
; COMPUTE_PGM_RSRC2:TGID_Y_EN: 0
; COMPUTE_PGM_RSRC2:TGID_Z_EN: 0
; COMPUTE_PGM_RSRC2:TIDIG_COMP_CNT: 0
	.section	.text._ZN7rocprim17ROCPRIM_400000_NS6detail17trampoline_kernelINS0_13select_configILj256ELj13ELNS0_17block_load_methodE3ELS4_3ELS4_3ELNS0_20block_scan_algorithmE0ELj4294967295EEENS1_25partition_config_selectorILNS1_17partition_subalgoE4EjNS0_10empty_typeEbEEZZNS1_14partition_implILS8_4ELb0ES6_15HIP_vector_typeIjLj2EENS0_17counting_iteratorIjlEEPS9_SG_NS0_5tupleIJPjSI_NS0_16reverse_iteratorISI_EEEEENSH_IJSG_SG_SG_EEES9_SI_JZNS1_25segmented_radix_sort_implINS0_14default_configELb0EPKbPbPKlPlN2at6native12_GLOBAL__N_18offset_tEEE10hipError_tPvRmT1_PNSt15iterator_traitsIS12_E10value_typeET2_T3_PNS13_IS18_E10value_typeET4_jRbjT5_S1E_jjP12ihipStream_tbEUljE_ZNSN_ISO_Lb0ESQ_SR_ST_SU_SY_EESZ_S10_S11_S12_S16_S17_S18_S1B_S1C_jS1D_jS1E_S1E_jjS1G_bEUljE0_EEESZ_S10_S11_S18_S1C_S1E_T6_T7_T9_mT8_S1G_bDpT10_ENKUlT_T0_E_clISt17integral_constantIbLb0EES1U_EEDaS1P_S1Q_EUlS1P_E_NS1_11comp_targetILNS1_3genE3ELNS1_11target_archE908ELNS1_3gpuE7ELNS1_3repE0EEENS1_30default_config_static_selectorELNS0_4arch9wavefront6targetE0EEEvS12_,"axG",@progbits,_ZN7rocprim17ROCPRIM_400000_NS6detail17trampoline_kernelINS0_13select_configILj256ELj13ELNS0_17block_load_methodE3ELS4_3ELS4_3ELNS0_20block_scan_algorithmE0ELj4294967295EEENS1_25partition_config_selectorILNS1_17partition_subalgoE4EjNS0_10empty_typeEbEEZZNS1_14partition_implILS8_4ELb0ES6_15HIP_vector_typeIjLj2EENS0_17counting_iteratorIjlEEPS9_SG_NS0_5tupleIJPjSI_NS0_16reverse_iteratorISI_EEEEENSH_IJSG_SG_SG_EEES9_SI_JZNS1_25segmented_radix_sort_implINS0_14default_configELb0EPKbPbPKlPlN2at6native12_GLOBAL__N_18offset_tEEE10hipError_tPvRmT1_PNSt15iterator_traitsIS12_E10value_typeET2_T3_PNS13_IS18_E10value_typeET4_jRbjT5_S1E_jjP12ihipStream_tbEUljE_ZNSN_ISO_Lb0ESQ_SR_ST_SU_SY_EESZ_S10_S11_S12_S16_S17_S18_S1B_S1C_jS1D_jS1E_S1E_jjS1G_bEUljE0_EEESZ_S10_S11_S18_S1C_S1E_T6_T7_T9_mT8_S1G_bDpT10_ENKUlT_T0_E_clISt17integral_constantIbLb0EES1U_EEDaS1P_S1Q_EUlS1P_E_NS1_11comp_targetILNS1_3genE3ELNS1_11target_archE908ELNS1_3gpuE7ELNS1_3repE0EEENS1_30default_config_static_selectorELNS0_4arch9wavefront6targetE0EEEvS12_,comdat
	.globl	_ZN7rocprim17ROCPRIM_400000_NS6detail17trampoline_kernelINS0_13select_configILj256ELj13ELNS0_17block_load_methodE3ELS4_3ELS4_3ELNS0_20block_scan_algorithmE0ELj4294967295EEENS1_25partition_config_selectorILNS1_17partition_subalgoE4EjNS0_10empty_typeEbEEZZNS1_14partition_implILS8_4ELb0ES6_15HIP_vector_typeIjLj2EENS0_17counting_iteratorIjlEEPS9_SG_NS0_5tupleIJPjSI_NS0_16reverse_iteratorISI_EEEEENSH_IJSG_SG_SG_EEES9_SI_JZNS1_25segmented_radix_sort_implINS0_14default_configELb0EPKbPbPKlPlN2at6native12_GLOBAL__N_18offset_tEEE10hipError_tPvRmT1_PNSt15iterator_traitsIS12_E10value_typeET2_T3_PNS13_IS18_E10value_typeET4_jRbjT5_S1E_jjP12ihipStream_tbEUljE_ZNSN_ISO_Lb0ESQ_SR_ST_SU_SY_EESZ_S10_S11_S12_S16_S17_S18_S1B_S1C_jS1D_jS1E_S1E_jjS1G_bEUljE0_EEESZ_S10_S11_S18_S1C_S1E_T6_T7_T9_mT8_S1G_bDpT10_ENKUlT_T0_E_clISt17integral_constantIbLb0EES1U_EEDaS1P_S1Q_EUlS1P_E_NS1_11comp_targetILNS1_3genE3ELNS1_11target_archE908ELNS1_3gpuE7ELNS1_3repE0EEENS1_30default_config_static_selectorELNS0_4arch9wavefront6targetE0EEEvS12_ ; -- Begin function _ZN7rocprim17ROCPRIM_400000_NS6detail17trampoline_kernelINS0_13select_configILj256ELj13ELNS0_17block_load_methodE3ELS4_3ELS4_3ELNS0_20block_scan_algorithmE0ELj4294967295EEENS1_25partition_config_selectorILNS1_17partition_subalgoE4EjNS0_10empty_typeEbEEZZNS1_14partition_implILS8_4ELb0ES6_15HIP_vector_typeIjLj2EENS0_17counting_iteratorIjlEEPS9_SG_NS0_5tupleIJPjSI_NS0_16reverse_iteratorISI_EEEEENSH_IJSG_SG_SG_EEES9_SI_JZNS1_25segmented_radix_sort_implINS0_14default_configELb0EPKbPbPKlPlN2at6native12_GLOBAL__N_18offset_tEEE10hipError_tPvRmT1_PNSt15iterator_traitsIS12_E10value_typeET2_T3_PNS13_IS18_E10value_typeET4_jRbjT5_S1E_jjP12ihipStream_tbEUljE_ZNSN_ISO_Lb0ESQ_SR_ST_SU_SY_EESZ_S10_S11_S12_S16_S17_S18_S1B_S1C_jS1D_jS1E_S1E_jjS1G_bEUljE0_EEESZ_S10_S11_S18_S1C_S1E_T6_T7_T9_mT8_S1G_bDpT10_ENKUlT_T0_E_clISt17integral_constantIbLb0EES1U_EEDaS1P_S1Q_EUlS1P_E_NS1_11comp_targetILNS1_3genE3ELNS1_11target_archE908ELNS1_3gpuE7ELNS1_3repE0EEENS1_30default_config_static_selectorELNS0_4arch9wavefront6targetE0EEEvS12_
	.p2align	8
	.type	_ZN7rocprim17ROCPRIM_400000_NS6detail17trampoline_kernelINS0_13select_configILj256ELj13ELNS0_17block_load_methodE3ELS4_3ELS4_3ELNS0_20block_scan_algorithmE0ELj4294967295EEENS1_25partition_config_selectorILNS1_17partition_subalgoE4EjNS0_10empty_typeEbEEZZNS1_14partition_implILS8_4ELb0ES6_15HIP_vector_typeIjLj2EENS0_17counting_iteratorIjlEEPS9_SG_NS0_5tupleIJPjSI_NS0_16reverse_iteratorISI_EEEEENSH_IJSG_SG_SG_EEES9_SI_JZNS1_25segmented_radix_sort_implINS0_14default_configELb0EPKbPbPKlPlN2at6native12_GLOBAL__N_18offset_tEEE10hipError_tPvRmT1_PNSt15iterator_traitsIS12_E10value_typeET2_T3_PNS13_IS18_E10value_typeET4_jRbjT5_S1E_jjP12ihipStream_tbEUljE_ZNSN_ISO_Lb0ESQ_SR_ST_SU_SY_EESZ_S10_S11_S12_S16_S17_S18_S1B_S1C_jS1D_jS1E_S1E_jjS1G_bEUljE0_EEESZ_S10_S11_S18_S1C_S1E_T6_T7_T9_mT8_S1G_bDpT10_ENKUlT_T0_E_clISt17integral_constantIbLb0EES1U_EEDaS1P_S1Q_EUlS1P_E_NS1_11comp_targetILNS1_3genE3ELNS1_11target_archE908ELNS1_3gpuE7ELNS1_3repE0EEENS1_30default_config_static_selectorELNS0_4arch9wavefront6targetE0EEEvS12_,@function
_ZN7rocprim17ROCPRIM_400000_NS6detail17trampoline_kernelINS0_13select_configILj256ELj13ELNS0_17block_load_methodE3ELS4_3ELS4_3ELNS0_20block_scan_algorithmE0ELj4294967295EEENS1_25partition_config_selectorILNS1_17partition_subalgoE4EjNS0_10empty_typeEbEEZZNS1_14partition_implILS8_4ELb0ES6_15HIP_vector_typeIjLj2EENS0_17counting_iteratorIjlEEPS9_SG_NS0_5tupleIJPjSI_NS0_16reverse_iteratorISI_EEEEENSH_IJSG_SG_SG_EEES9_SI_JZNS1_25segmented_radix_sort_implINS0_14default_configELb0EPKbPbPKlPlN2at6native12_GLOBAL__N_18offset_tEEE10hipError_tPvRmT1_PNSt15iterator_traitsIS12_E10value_typeET2_T3_PNS13_IS18_E10value_typeET4_jRbjT5_S1E_jjP12ihipStream_tbEUljE_ZNSN_ISO_Lb0ESQ_SR_ST_SU_SY_EESZ_S10_S11_S12_S16_S17_S18_S1B_S1C_jS1D_jS1E_S1E_jjS1G_bEUljE0_EEESZ_S10_S11_S18_S1C_S1E_T6_T7_T9_mT8_S1G_bDpT10_ENKUlT_T0_E_clISt17integral_constantIbLb0EES1U_EEDaS1P_S1Q_EUlS1P_E_NS1_11comp_targetILNS1_3genE3ELNS1_11target_archE908ELNS1_3gpuE7ELNS1_3repE0EEENS1_30default_config_static_selectorELNS0_4arch9wavefront6targetE0EEEvS12_: ; @_ZN7rocprim17ROCPRIM_400000_NS6detail17trampoline_kernelINS0_13select_configILj256ELj13ELNS0_17block_load_methodE3ELS4_3ELS4_3ELNS0_20block_scan_algorithmE0ELj4294967295EEENS1_25partition_config_selectorILNS1_17partition_subalgoE4EjNS0_10empty_typeEbEEZZNS1_14partition_implILS8_4ELb0ES6_15HIP_vector_typeIjLj2EENS0_17counting_iteratorIjlEEPS9_SG_NS0_5tupleIJPjSI_NS0_16reverse_iteratorISI_EEEEENSH_IJSG_SG_SG_EEES9_SI_JZNS1_25segmented_radix_sort_implINS0_14default_configELb0EPKbPbPKlPlN2at6native12_GLOBAL__N_18offset_tEEE10hipError_tPvRmT1_PNSt15iterator_traitsIS12_E10value_typeET2_T3_PNS13_IS18_E10value_typeET4_jRbjT5_S1E_jjP12ihipStream_tbEUljE_ZNSN_ISO_Lb0ESQ_SR_ST_SU_SY_EESZ_S10_S11_S12_S16_S17_S18_S1B_S1C_jS1D_jS1E_S1E_jjS1G_bEUljE0_EEESZ_S10_S11_S18_S1C_S1E_T6_T7_T9_mT8_S1G_bDpT10_ENKUlT_T0_E_clISt17integral_constantIbLb0EES1U_EEDaS1P_S1Q_EUlS1P_E_NS1_11comp_targetILNS1_3genE3ELNS1_11target_archE908ELNS1_3gpuE7ELNS1_3repE0EEENS1_30default_config_static_selectorELNS0_4arch9wavefront6targetE0EEEvS12_
; %bb.0:
	.section	.rodata,"a",@progbits
	.p2align	6, 0x0
	.amdhsa_kernel _ZN7rocprim17ROCPRIM_400000_NS6detail17trampoline_kernelINS0_13select_configILj256ELj13ELNS0_17block_load_methodE3ELS4_3ELS4_3ELNS0_20block_scan_algorithmE0ELj4294967295EEENS1_25partition_config_selectorILNS1_17partition_subalgoE4EjNS0_10empty_typeEbEEZZNS1_14partition_implILS8_4ELb0ES6_15HIP_vector_typeIjLj2EENS0_17counting_iteratorIjlEEPS9_SG_NS0_5tupleIJPjSI_NS0_16reverse_iteratorISI_EEEEENSH_IJSG_SG_SG_EEES9_SI_JZNS1_25segmented_radix_sort_implINS0_14default_configELb0EPKbPbPKlPlN2at6native12_GLOBAL__N_18offset_tEEE10hipError_tPvRmT1_PNSt15iterator_traitsIS12_E10value_typeET2_T3_PNS13_IS18_E10value_typeET4_jRbjT5_S1E_jjP12ihipStream_tbEUljE_ZNSN_ISO_Lb0ESQ_SR_ST_SU_SY_EESZ_S10_S11_S12_S16_S17_S18_S1B_S1C_jS1D_jS1E_S1E_jjS1G_bEUljE0_EEESZ_S10_S11_S18_S1C_S1E_T6_T7_T9_mT8_S1G_bDpT10_ENKUlT_T0_E_clISt17integral_constantIbLb0EES1U_EEDaS1P_S1Q_EUlS1P_E_NS1_11comp_targetILNS1_3genE3ELNS1_11target_archE908ELNS1_3gpuE7ELNS1_3repE0EEENS1_30default_config_static_selectorELNS0_4arch9wavefront6targetE0EEEvS12_
		.amdhsa_group_segment_fixed_size 0
		.amdhsa_private_segment_fixed_size 0
		.amdhsa_kernarg_size 176
		.amdhsa_user_sgpr_count 2
		.amdhsa_user_sgpr_dispatch_ptr 0
		.amdhsa_user_sgpr_queue_ptr 0
		.amdhsa_user_sgpr_kernarg_segment_ptr 1
		.amdhsa_user_sgpr_dispatch_id 0
		.amdhsa_user_sgpr_kernarg_preload_length 0
		.amdhsa_user_sgpr_kernarg_preload_offset 0
		.amdhsa_user_sgpr_private_segment_size 0
		.amdhsa_wavefront_size32 1
		.amdhsa_uses_dynamic_stack 0
		.amdhsa_enable_private_segment 0
		.amdhsa_system_sgpr_workgroup_id_x 1
		.amdhsa_system_sgpr_workgroup_id_y 0
		.amdhsa_system_sgpr_workgroup_id_z 0
		.amdhsa_system_sgpr_workgroup_info 0
		.amdhsa_system_vgpr_workitem_id 0
		.amdhsa_next_free_vgpr 1
		.amdhsa_next_free_sgpr 1
		.amdhsa_named_barrier_count 0
		.amdhsa_reserve_vcc 0
		.amdhsa_float_round_mode_32 0
		.amdhsa_float_round_mode_16_64 0
		.amdhsa_float_denorm_mode_32 3
		.amdhsa_float_denorm_mode_16_64 3
		.amdhsa_fp16_overflow 0
		.amdhsa_memory_ordered 1
		.amdhsa_forward_progress 1
		.amdhsa_inst_pref_size 0
		.amdhsa_round_robin_scheduling 0
		.amdhsa_exception_fp_ieee_invalid_op 0
		.amdhsa_exception_fp_denorm_src 0
		.amdhsa_exception_fp_ieee_div_zero 0
		.amdhsa_exception_fp_ieee_overflow 0
		.amdhsa_exception_fp_ieee_underflow 0
		.amdhsa_exception_fp_ieee_inexact 0
		.amdhsa_exception_int_div_zero 0
	.end_amdhsa_kernel
	.section	.text._ZN7rocprim17ROCPRIM_400000_NS6detail17trampoline_kernelINS0_13select_configILj256ELj13ELNS0_17block_load_methodE3ELS4_3ELS4_3ELNS0_20block_scan_algorithmE0ELj4294967295EEENS1_25partition_config_selectorILNS1_17partition_subalgoE4EjNS0_10empty_typeEbEEZZNS1_14partition_implILS8_4ELb0ES6_15HIP_vector_typeIjLj2EENS0_17counting_iteratorIjlEEPS9_SG_NS0_5tupleIJPjSI_NS0_16reverse_iteratorISI_EEEEENSH_IJSG_SG_SG_EEES9_SI_JZNS1_25segmented_radix_sort_implINS0_14default_configELb0EPKbPbPKlPlN2at6native12_GLOBAL__N_18offset_tEEE10hipError_tPvRmT1_PNSt15iterator_traitsIS12_E10value_typeET2_T3_PNS13_IS18_E10value_typeET4_jRbjT5_S1E_jjP12ihipStream_tbEUljE_ZNSN_ISO_Lb0ESQ_SR_ST_SU_SY_EESZ_S10_S11_S12_S16_S17_S18_S1B_S1C_jS1D_jS1E_S1E_jjS1G_bEUljE0_EEESZ_S10_S11_S18_S1C_S1E_T6_T7_T9_mT8_S1G_bDpT10_ENKUlT_T0_E_clISt17integral_constantIbLb0EES1U_EEDaS1P_S1Q_EUlS1P_E_NS1_11comp_targetILNS1_3genE3ELNS1_11target_archE908ELNS1_3gpuE7ELNS1_3repE0EEENS1_30default_config_static_selectorELNS0_4arch9wavefront6targetE0EEEvS12_,"axG",@progbits,_ZN7rocprim17ROCPRIM_400000_NS6detail17trampoline_kernelINS0_13select_configILj256ELj13ELNS0_17block_load_methodE3ELS4_3ELS4_3ELNS0_20block_scan_algorithmE0ELj4294967295EEENS1_25partition_config_selectorILNS1_17partition_subalgoE4EjNS0_10empty_typeEbEEZZNS1_14partition_implILS8_4ELb0ES6_15HIP_vector_typeIjLj2EENS0_17counting_iteratorIjlEEPS9_SG_NS0_5tupleIJPjSI_NS0_16reverse_iteratorISI_EEEEENSH_IJSG_SG_SG_EEES9_SI_JZNS1_25segmented_radix_sort_implINS0_14default_configELb0EPKbPbPKlPlN2at6native12_GLOBAL__N_18offset_tEEE10hipError_tPvRmT1_PNSt15iterator_traitsIS12_E10value_typeET2_T3_PNS13_IS18_E10value_typeET4_jRbjT5_S1E_jjP12ihipStream_tbEUljE_ZNSN_ISO_Lb0ESQ_SR_ST_SU_SY_EESZ_S10_S11_S12_S16_S17_S18_S1B_S1C_jS1D_jS1E_S1E_jjS1G_bEUljE0_EEESZ_S10_S11_S18_S1C_S1E_T6_T7_T9_mT8_S1G_bDpT10_ENKUlT_T0_E_clISt17integral_constantIbLb0EES1U_EEDaS1P_S1Q_EUlS1P_E_NS1_11comp_targetILNS1_3genE3ELNS1_11target_archE908ELNS1_3gpuE7ELNS1_3repE0EEENS1_30default_config_static_selectorELNS0_4arch9wavefront6targetE0EEEvS12_,comdat
.Lfunc_end1565:
	.size	_ZN7rocprim17ROCPRIM_400000_NS6detail17trampoline_kernelINS0_13select_configILj256ELj13ELNS0_17block_load_methodE3ELS4_3ELS4_3ELNS0_20block_scan_algorithmE0ELj4294967295EEENS1_25partition_config_selectorILNS1_17partition_subalgoE4EjNS0_10empty_typeEbEEZZNS1_14partition_implILS8_4ELb0ES6_15HIP_vector_typeIjLj2EENS0_17counting_iteratorIjlEEPS9_SG_NS0_5tupleIJPjSI_NS0_16reverse_iteratorISI_EEEEENSH_IJSG_SG_SG_EEES9_SI_JZNS1_25segmented_radix_sort_implINS0_14default_configELb0EPKbPbPKlPlN2at6native12_GLOBAL__N_18offset_tEEE10hipError_tPvRmT1_PNSt15iterator_traitsIS12_E10value_typeET2_T3_PNS13_IS18_E10value_typeET4_jRbjT5_S1E_jjP12ihipStream_tbEUljE_ZNSN_ISO_Lb0ESQ_SR_ST_SU_SY_EESZ_S10_S11_S12_S16_S17_S18_S1B_S1C_jS1D_jS1E_S1E_jjS1G_bEUljE0_EEESZ_S10_S11_S18_S1C_S1E_T6_T7_T9_mT8_S1G_bDpT10_ENKUlT_T0_E_clISt17integral_constantIbLb0EES1U_EEDaS1P_S1Q_EUlS1P_E_NS1_11comp_targetILNS1_3genE3ELNS1_11target_archE908ELNS1_3gpuE7ELNS1_3repE0EEENS1_30default_config_static_selectorELNS0_4arch9wavefront6targetE0EEEvS12_, .Lfunc_end1565-_ZN7rocprim17ROCPRIM_400000_NS6detail17trampoline_kernelINS0_13select_configILj256ELj13ELNS0_17block_load_methodE3ELS4_3ELS4_3ELNS0_20block_scan_algorithmE0ELj4294967295EEENS1_25partition_config_selectorILNS1_17partition_subalgoE4EjNS0_10empty_typeEbEEZZNS1_14partition_implILS8_4ELb0ES6_15HIP_vector_typeIjLj2EENS0_17counting_iteratorIjlEEPS9_SG_NS0_5tupleIJPjSI_NS0_16reverse_iteratorISI_EEEEENSH_IJSG_SG_SG_EEES9_SI_JZNS1_25segmented_radix_sort_implINS0_14default_configELb0EPKbPbPKlPlN2at6native12_GLOBAL__N_18offset_tEEE10hipError_tPvRmT1_PNSt15iterator_traitsIS12_E10value_typeET2_T3_PNS13_IS18_E10value_typeET4_jRbjT5_S1E_jjP12ihipStream_tbEUljE_ZNSN_ISO_Lb0ESQ_SR_ST_SU_SY_EESZ_S10_S11_S12_S16_S17_S18_S1B_S1C_jS1D_jS1E_S1E_jjS1G_bEUljE0_EEESZ_S10_S11_S18_S1C_S1E_T6_T7_T9_mT8_S1G_bDpT10_ENKUlT_T0_E_clISt17integral_constantIbLb0EES1U_EEDaS1P_S1Q_EUlS1P_E_NS1_11comp_targetILNS1_3genE3ELNS1_11target_archE908ELNS1_3gpuE7ELNS1_3repE0EEENS1_30default_config_static_selectorELNS0_4arch9wavefront6targetE0EEEvS12_
                                        ; -- End function
	.set _ZN7rocprim17ROCPRIM_400000_NS6detail17trampoline_kernelINS0_13select_configILj256ELj13ELNS0_17block_load_methodE3ELS4_3ELS4_3ELNS0_20block_scan_algorithmE0ELj4294967295EEENS1_25partition_config_selectorILNS1_17partition_subalgoE4EjNS0_10empty_typeEbEEZZNS1_14partition_implILS8_4ELb0ES6_15HIP_vector_typeIjLj2EENS0_17counting_iteratorIjlEEPS9_SG_NS0_5tupleIJPjSI_NS0_16reverse_iteratorISI_EEEEENSH_IJSG_SG_SG_EEES9_SI_JZNS1_25segmented_radix_sort_implINS0_14default_configELb0EPKbPbPKlPlN2at6native12_GLOBAL__N_18offset_tEEE10hipError_tPvRmT1_PNSt15iterator_traitsIS12_E10value_typeET2_T3_PNS13_IS18_E10value_typeET4_jRbjT5_S1E_jjP12ihipStream_tbEUljE_ZNSN_ISO_Lb0ESQ_SR_ST_SU_SY_EESZ_S10_S11_S12_S16_S17_S18_S1B_S1C_jS1D_jS1E_S1E_jjS1G_bEUljE0_EEESZ_S10_S11_S18_S1C_S1E_T6_T7_T9_mT8_S1G_bDpT10_ENKUlT_T0_E_clISt17integral_constantIbLb0EES1U_EEDaS1P_S1Q_EUlS1P_E_NS1_11comp_targetILNS1_3genE3ELNS1_11target_archE908ELNS1_3gpuE7ELNS1_3repE0EEENS1_30default_config_static_selectorELNS0_4arch9wavefront6targetE0EEEvS12_.num_vgpr, 0
	.set _ZN7rocprim17ROCPRIM_400000_NS6detail17trampoline_kernelINS0_13select_configILj256ELj13ELNS0_17block_load_methodE3ELS4_3ELS4_3ELNS0_20block_scan_algorithmE0ELj4294967295EEENS1_25partition_config_selectorILNS1_17partition_subalgoE4EjNS0_10empty_typeEbEEZZNS1_14partition_implILS8_4ELb0ES6_15HIP_vector_typeIjLj2EENS0_17counting_iteratorIjlEEPS9_SG_NS0_5tupleIJPjSI_NS0_16reverse_iteratorISI_EEEEENSH_IJSG_SG_SG_EEES9_SI_JZNS1_25segmented_radix_sort_implINS0_14default_configELb0EPKbPbPKlPlN2at6native12_GLOBAL__N_18offset_tEEE10hipError_tPvRmT1_PNSt15iterator_traitsIS12_E10value_typeET2_T3_PNS13_IS18_E10value_typeET4_jRbjT5_S1E_jjP12ihipStream_tbEUljE_ZNSN_ISO_Lb0ESQ_SR_ST_SU_SY_EESZ_S10_S11_S12_S16_S17_S18_S1B_S1C_jS1D_jS1E_S1E_jjS1G_bEUljE0_EEESZ_S10_S11_S18_S1C_S1E_T6_T7_T9_mT8_S1G_bDpT10_ENKUlT_T0_E_clISt17integral_constantIbLb0EES1U_EEDaS1P_S1Q_EUlS1P_E_NS1_11comp_targetILNS1_3genE3ELNS1_11target_archE908ELNS1_3gpuE7ELNS1_3repE0EEENS1_30default_config_static_selectorELNS0_4arch9wavefront6targetE0EEEvS12_.num_agpr, 0
	.set _ZN7rocprim17ROCPRIM_400000_NS6detail17trampoline_kernelINS0_13select_configILj256ELj13ELNS0_17block_load_methodE3ELS4_3ELS4_3ELNS0_20block_scan_algorithmE0ELj4294967295EEENS1_25partition_config_selectorILNS1_17partition_subalgoE4EjNS0_10empty_typeEbEEZZNS1_14partition_implILS8_4ELb0ES6_15HIP_vector_typeIjLj2EENS0_17counting_iteratorIjlEEPS9_SG_NS0_5tupleIJPjSI_NS0_16reverse_iteratorISI_EEEEENSH_IJSG_SG_SG_EEES9_SI_JZNS1_25segmented_radix_sort_implINS0_14default_configELb0EPKbPbPKlPlN2at6native12_GLOBAL__N_18offset_tEEE10hipError_tPvRmT1_PNSt15iterator_traitsIS12_E10value_typeET2_T3_PNS13_IS18_E10value_typeET4_jRbjT5_S1E_jjP12ihipStream_tbEUljE_ZNSN_ISO_Lb0ESQ_SR_ST_SU_SY_EESZ_S10_S11_S12_S16_S17_S18_S1B_S1C_jS1D_jS1E_S1E_jjS1G_bEUljE0_EEESZ_S10_S11_S18_S1C_S1E_T6_T7_T9_mT8_S1G_bDpT10_ENKUlT_T0_E_clISt17integral_constantIbLb0EES1U_EEDaS1P_S1Q_EUlS1P_E_NS1_11comp_targetILNS1_3genE3ELNS1_11target_archE908ELNS1_3gpuE7ELNS1_3repE0EEENS1_30default_config_static_selectorELNS0_4arch9wavefront6targetE0EEEvS12_.numbered_sgpr, 0
	.set _ZN7rocprim17ROCPRIM_400000_NS6detail17trampoline_kernelINS0_13select_configILj256ELj13ELNS0_17block_load_methodE3ELS4_3ELS4_3ELNS0_20block_scan_algorithmE0ELj4294967295EEENS1_25partition_config_selectorILNS1_17partition_subalgoE4EjNS0_10empty_typeEbEEZZNS1_14partition_implILS8_4ELb0ES6_15HIP_vector_typeIjLj2EENS0_17counting_iteratorIjlEEPS9_SG_NS0_5tupleIJPjSI_NS0_16reverse_iteratorISI_EEEEENSH_IJSG_SG_SG_EEES9_SI_JZNS1_25segmented_radix_sort_implINS0_14default_configELb0EPKbPbPKlPlN2at6native12_GLOBAL__N_18offset_tEEE10hipError_tPvRmT1_PNSt15iterator_traitsIS12_E10value_typeET2_T3_PNS13_IS18_E10value_typeET4_jRbjT5_S1E_jjP12ihipStream_tbEUljE_ZNSN_ISO_Lb0ESQ_SR_ST_SU_SY_EESZ_S10_S11_S12_S16_S17_S18_S1B_S1C_jS1D_jS1E_S1E_jjS1G_bEUljE0_EEESZ_S10_S11_S18_S1C_S1E_T6_T7_T9_mT8_S1G_bDpT10_ENKUlT_T0_E_clISt17integral_constantIbLb0EES1U_EEDaS1P_S1Q_EUlS1P_E_NS1_11comp_targetILNS1_3genE3ELNS1_11target_archE908ELNS1_3gpuE7ELNS1_3repE0EEENS1_30default_config_static_selectorELNS0_4arch9wavefront6targetE0EEEvS12_.num_named_barrier, 0
	.set _ZN7rocprim17ROCPRIM_400000_NS6detail17trampoline_kernelINS0_13select_configILj256ELj13ELNS0_17block_load_methodE3ELS4_3ELS4_3ELNS0_20block_scan_algorithmE0ELj4294967295EEENS1_25partition_config_selectorILNS1_17partition_subalgoE4EjNS0_10empty_typeEbEEZZNS1_14partition_implILS8_4ELb0ES6_15HIP_vector_typeIjLj2EENS0_17counting_iteratorIjlEEPS9_SG_NS0_5tupleIJPjSI_NS0_16reverse_iteratorISI_EEEEENSH_IJSG_SG_SG_EEES9_SI_JZNS1_25segmented_radix_sort_implINS0_14default_configELb0EPKbPbPKlPlN2at6native12_GLOBAL__N_18offset_tEEE10hipError_tPvRmT1_PNSt15iterator_traitsIS12_E10value_typeET2_T3_PNS13_IS18_E10value_typeET4_jRbjT5_S1E_jjP12ihipStream_tbEUljE_ZNSN_ISO_Lb0ESQ_SR_ST_SU_SY_EESZ_S10_S11_S12_S16_S17_S18_S1B_S1C_jS1D_jS1E_S1E_jjS1G_bEUljE0_EEESZ_S10_S11_S18_S1C_S1E_T6_T7_T9_mT8_S1G_bDpT10_ENKUlT_T0_E_clISt17integral_constantIbLb0EES1U_EEDaS1P_S1Q_EUlS1P_E_NS1_11comp_targetILNS1_3genE3ELNS1_11target_archE908ELNS1_3gpuE7ELNS1_3repE0EEENS1_30default_config_static_selectorELNS0_4arch9wavefront6targetE0EEEvS12_.private_seg_size, 0
	.set _ZN7rocprim17ROCPRIM_400000_NS6detail17trampoline_kernelINS0_13select_configILj256ELj13ELNS0_17block_load_methodE3ELS4_3ELS4_3ELNS0_20block_scan_algorithmE0ELj4294967295EEENS1_25partition_config_selectorILNS1_17partition_subalgoE4EjNS0_10empty_typeEbEEZZNS1_14partition_implILS8_4ELb0ES6_15HIP_vector_typeIjLj2EENS0_17counting_iteratorIjlEEPS9_SG_NS0_5tupleIJPjSI_NS0_16reverse_iteratorISI_EEEEENSH_IJSG_SG_SG_EEES9_SI_JZNS1_25segmented_radix_sort_implINS0_14default_configELb0EPKbPbPKlPlN2at6native12_GLOBAL__N_18offset_tEEE10hipError_tPvRmT1_PNSt15iterator_traitsIS12_E10value_typeET2_T3_PNS13_IS18_E10value_typeET4_jRbjT5_S1E_jjP12ihipStream_tbEUljE_ZNSN_ISO_Lb0ESQ_SR_ST_SU_SY_EESZ_S10_S11_S12_S16_S17_S18_S1B_S1C_jS1D_jS1E_S1E_jjS1G_bEUljE0_EEESZ_S10_S11_S18_S1C_S1E_T6_T7_T9_mT8_S1G_bDpT10_ENKUlT_T0_E_clISt17integral_constantIbLb0EES1U_EEDaS1P_S1Q_EUlS1P_E_NS1_11comp_targetILNS1_3genE3ELNS1_11target_archE908ELNS1_3gpuE7ELNS1_3repE0EEENS1_30default_config_static_selectorELNS0_4arch9wavefront6targetE0EEEvS12_.uses_vcc, 0
	.set _ZN7rocprim17ROCPRIM_400000_NS6detail17trampoline_kernelINS0_13select_configILj256ELj13ELNS0_17block_load_methodE3ELS4_3ELS4_3ELNS0_20block_scan_algorithmE0ELj4294967295EEENS1_25partition_config_selectorILNS1_17partition_subalgoE4EjNS0_10empty_typeEbEEZZNS1_14partition_implILS8_4ELb0ES6_15HIP_vector_typeIjLj2EENS0_17counting_iteratorIjlEEPS9_SG_NS0_5tupleIJPjSI_NS0_16reverse_iteratorISI_EEEEENSH_IJSG_SG_SG_EEES9_SI_JZNS1_25segmented_radix_sort_implINS0_14default_configELb0EPKbPbPKlPlN2at6native12_GLOBAL__N_18offset_tEEE10hipError_tPvRmT1_PNSt15iterator_traitsIS12_E10value_typeET2_T3_PNS13_IS18_E10value_typeET4_jRbjT5_S1E_jjP12ihipStream_tbEUljE_ZNSN_ISO_Lb0ESQ_SR_ST_SU_SY_EESZ_S10_S11_S12_S16_S17_S18_S1B_S1C_jS1D_jS1E_S1E_jjS1G_bEUljE0_EEESZ_S10_S11_S18_S1C_S1E_T6_T7_T9_mT8_S1G_bDpT10_ENKUlT_T0_E_clISt17integral_constantIbLb0EES1U_EEDaS1P_S1Q_EUlS1P_E_NS1_11comp_targetILNS1_3genE3ELNS1_11target_archE908ELNS1_3gpuE7ELNS1_3repE0EEENS1_30default_config_static_selectorELNS0_4arch9wavefront6targetE0EEEvS12_.uses_flat_scratch, 0
	.set _ZN7rocprim17ROCPRIM_400000_NS6detail17trampoline_kernelINS0_13select_configILj256ELj13ELNS0_17block_load_methodE3ELS4_3ELS4_3ELNS0_20block_scan_algorithmE0ELj4294967295EEENS1_25partition_config_selectorILNS1_17partition_subalgoE4EjNS0_10empty_typeEbEEZZNS1_14partition_implILS8_4ELb0ES6_15HIP_vector_typeIjLj2EENS0_17counting_iteratorIjlEEPS9_SG_NS0_5tupleIJPjSI_NS0_16reverse_iteratorISI_EEEEENSH_IJSG_SG_SG_EEES9_SI_JZNS1_25segmented_radix_sort_implINS0_14default_configELb0EPKbPbPKlPlN2at6native12_GLOBAL__N_18offset_tEEE10hipError_tPvRmT1_PNSt15iterator_traitsIS12_E10value_typeET2_T3_PNS13_IS18_E10value_typeET4_jRbjT5_S1E_jjP12ihipStream_tbEUljE_ZNSN_ISO_Lb0ESQ_SR_ST_SU_SY_EESZ_S10_S11_S12_S16_S17_S18_S1B_S1C_jS1D_jS1E_S1E_jjS1G_bEUljE0_EEESZ_S10_S11_S18_S1C_S1E_T6_T7_T9_mT8_S1G_bDpT10_ENKUlT_T0_E_clISt17integral_constantIbLb0EES1U_EEDaS1P_S1Q_EUlS1P_E_NS1_11comp_targetILNS1_3genE3ELNS1_11target_archE908ELNS1_3gpuE7ELNS1_3repE0EEENS1_30default_config_static_selectorELNS0_4arch9wavefront6targetE0EEEvS12_.has_dyn_sized_stack, 0
	.set _ZN7rocprim17ROCPRIM_400000_NS6detail17trampoline_kernelINS0_13select_configILj256ELj13ELNS0_17block_load_methodE3ELS4_3ELS4_3ELNS0_20block_scan_algorithmE0ELj4294967295EEENS1_25partition_config_selectorILNS1_17partition_subalgoE4EjNS0_10empty_typeEbEEZZNS1_14partition_implILS8_4ELb0ES6_15HIP_vector_typeIjLj2EENS0_17counting_iteratorIjlEEPS9_SG_NS0_5tupleIJPjSI_NS0_16reverse_iteratorISI_EEEEENSH_IJSG_SG_SG_EEES9_SI_JZNS1_25segmented_radix_sort_implINS0_14default_configELb0EPKbPbPKlPlN2at6native12_GLOBAL__N_18offset_tEEE10hipError_tPvRmT1_PNSt15iterator_traitsIS12_E10value_typeET2_T3_PNS13_IS18_E10value_typeET4_jRbjT5_S1E_jjP12ihipStream_tbEUljE_ZNSN_ISO_Lb0ESQ_SR_ST_SU_SY_EESZ_S10_S11_S12_S16_S17_S18_S1B_S1C_jS1D_jS1E_S1E_jjS1G_bEUljE0_EEESZ_S10_S11_S18_S1C_S1E_T6_T7_T9_mT8_S1G_bDpT10_ENKUlT_T0_E_clISt17integral_constantIbLb0EES1U_EEDaS1P_S1Q_EUlS1P_E_NS1_11comp_targetILNS1_3genE3ELNS1_11target_archE908ELNS1_3gpuE7ELNS1_3repE0EEENS1_30default_config_static_selectorELNS0_4arch9wavefront6targetE0EEEvS12_.has_recursion, 0
	.set _ZN7rocprim17ROCPRIM_400000_NS6detail17trampoline_kernelINS0_13select_configILj256ELj13ELNS0_17block_load_methodE3ELS4_3ELS4_3ELNS0_20block_scan_algorithmE0ELj4294967295EEENS1_25partition_config_selectorILNS1_17partition_subalgoE4EjNS0_10empty_typeEbEEZZNS1_14partition_implILS8_4ELb0ES6_15HIP_vector_typeIjLj2EENS0_17counting_iteratorIjlEEPS9_SG_NS0_5tupleIJPjSI_NS0_16reverse_iteratorISI_EEEEENSH_IJSG_SG_SG_EEES9_SI_JZNS1_25segmented_radix_sort_implINS0_14default_configELb0EPKbPbPKlPlN2at6native12_GLOBAL__N_18offset_tEEE10hipError_tPvRmT1_PNSt15iterator_traitsIS12_E10value_typeET2_T3_PNS13_IS18_E10value_typeET4_jRbjT5_S1E_jjP12ihipStream_tbEUljE_ZNSN_ISO_Lb0ESQ_SR_ST_SU_SY_EESZ_S10_S11_S12_S16_S17_S18_S1B_S1C_jS1D_jS1E_S1E_jjS1G_bEUljE0_EEESZ_S10_S11_S18_S1C_S1E_T6_T7_T9_mT8_S1G_bDpT10_ENKUlT_T0_E_clISt17integral_constantIbLb0EES1U_EEDaS1P_S1Q_EUlS1P_E_NS1_11comp_targetILNS1_3genE3ELNS1_11target_archE908ELNS1_3gpuE7ELNS1_3repE0EEENS1_30default_config_static_selectorELNS0_4arch9wavefront6targetE0EEEvS12_.has_indirect_call, 0
	.section	.AMDGPU.csdata,"",@progbits
; Kernel info:
; codeLenInByte = 0
; TotalNumSgprs: 0
; NumVgprs: 0
; ScratchSize: 0
; MemoryBound: 0
; FloatMode: 240
; IeeeMode: 1
; LDSByteSize: 0 bytes/workgroup (compile time only)
; SGPRBlocks: 0
; VGPRBlocks: 0
; NumSGPRsForWavesPerEU: 1
; NumVGPRsForWavesPerEU: 1
; NamedBarCnt: 0
; Occupancy: 16
; WaveLimiterHint : 0
; COMPUTE_PGM_RSRC2:SCRATCH_EN: 0
; COMPUTE_PGM_RSRC2:USER_SGPR: 2
; COMPUTE_PGM_RSRC2:TRAP_HANDLER: 0
; COMPUTE_PGM_RSRC2:TGID_X_EN: 1
; COMPUTE_PGM_RSRC2:TGID_Y_EN: 0
; COMPUTE_PGM_RSRC2:TGID_Z_EN: 0
; COMPUTE_PGM_RSRC2:TIDIG_COMP_CNT: 0
	.section	.text._ZN7rocprim17ROCPRIM_400000_NS6detail17trampoline_kernelINS0_13select_configILj256ELj13ELNS0_17block_load_methodE3ELS4_3ELS4_3ELNS0_20block_scan_algorithmE0ELj4294967295EEENS1_25partition_config_selectorILNS1_17partition_subalgoE4EjNS0_10empty_typeEbEEZZNS1_14partition_implILS8_4ELb0ES6_15HIP_vector_typeIjLj2EENS0_17counting_iteratorIjlEEPS9_SG_NS0_5tupleIJPjSI_NS0_16reverse_iteratorISI_EEEEENSH_IJSG_SG_SG_EEES9_SI_JZNS1_25segmented_radix_sort_implINS0_14default_configELb0EPKbPbPKlPlN2at6native12_GLOBAL__N_18offset_tEEE10hipError_tPvRmT1_PNSt15iterator_traitsIS12_E10value_typeET2_T3_PNS13_IS18_E10value_typeET4_jRbjT5_S1E_jjP12ihipStream_tbEUljE_ZNSN_ISO_Lb0ESQ_SR_ST_SU_SY_EESZ_S10_S11_S12_S16_S17_S18_S1B_S1C_jS1D_jS1E_S1E_jjS1G_bEUljE0_EEESZ_S10_S11_S18_S1C_S1E_T6_T7_T9_mT8_S1G_bDpT10_ENKUlT_T0_E_clISt17integral_constantIbLb0EES1U_EEDaS1P_S1Q_EUlS1P_E_NS1_11comp_targetILNS1_3genE2ELNS1_11target_archE906ELNS1_3gpuE6ELNS1_3repE0EEENS1_30default_config_static_selectorELNS0_4arch9wavefront6targetE0EEEvS12_,"axG",@progbits,_ZN7rocprim17ROCPRIM_400000_NS6detail17trampoline_kernelINS0_13select_configILj256ELj13ELNS0_17block_load_methodE3ELS4_3ELS4_3ELNS0_20block_scan_algorithmE0ELj4294967295EEENS1_25partition_config_selectorILNS1_17partition_subalgoE4EjNS0_10empty_typeEbEEZZNS1_14partition_implILS8_4ELb0ES6_15HIP_vector_typeIjLj2EENS0_17counting_iteratorIjlEEPS9_SG_NS0_5tupleIJPjSI_NS0_16reverse_iteratorISI_EEEEENSH_IJSG_SG_SG_EEES9_SI_JZNS1_25segmented_radix_sort_implINS0_14default_configELb0EPKbPbPKlPlN2at6native12_GLOBAL__N_18offset_tEEE10hipError_tPvRmT1_PNSt15iterator_traitsIS12_E10value_typeET2_T3_PNS13_IS18_E10value_typeET4_jRbjT5_S1E_jjP12ihipStream_tbEUljE_ZNSN_ISO_Lb0ESQ_SR_ST_SU_SY_EESZ_S10_S11_S12_S16_S17_S18_S1B_S1C_jS1D_jS1E_S1E_jjS1G_bEUljE0_EEESZ_S10_S11_S18_S1C_S1E_T6_T7_T9_mT8_S1G_bDpT10_ENKUlT_T0_E_clISt17integral_constantIbLb0EES1U_EEDaS1P_S1Q_EUlS1P_E_NS1_11comp_targetILNS1_3genE2ELNS1_11target_archE906ELNS1_3gpuE6ELNS1_3repE0EEENS1_30default_config_static_selectorELNS0_4arch9wavefront6targetE0EEEvS12_,comdat
	.globl	_ZN7rocprim17ROCPRIM_400000_NS6detail17trampoline_kernelINS0_13select_configILj256ELj13ELNS0_17block_load_methodE3ELS4_3ELS4_3ELNS0_20block_scan_algorithmE0ELj4294967295EEENS1_25partition_config_selectorILNS1_17partition_subalgoE4EjNS0_10empty_typeEbEEZZNS1_14partition_implILS8_4ELb0ES6_15HIP_vector_typeIjLj2EENS0_17counting_iteratorIjlEEPS9_SG_NS0_5tupleIJPjSI_NS0_16reverse_iteratorISI_EEEEENSH_IJSG_SG_SG_EEES9_SI_JZNS1_25segmented_radix_sort_implINS0_14default_configELb0EPKbPbPKlPlN2at6native12_GLOBAL__N_18offset_tEEE10hipError_tPvRmT1_PNSt15iterator_traitsIS12_E10value_typeET2_T3_PNS13_IS18_E10value_typeET4_jRbjT5_S1E_jjP12ihipStream_tbEUljE_ZNSN_ISO_Lb0ESQ_SR_ST_SU_SY_EESZ_S10_S11_S12_S16_S17_S18_S1B_S1C_jS1D_jS1E_S1E_jjS1G_bEUljE0_EEESZ_S10_S11_S18_S1C_S1E_T6_T7_T9_mT8_S1G_bDpT10_ENKUlT_T0_E_clISt17integral_constantIbLb0EES1U_EEDaS1P_S1Q_EUlS1P_E_NS1_11comp_targetILNS1_3genE2ELNS1_11target_archE906ELNS1_3gpuE6ELNS1_3repE0EEENS1_30default_config_static_selectorELNS0_4arch9wavefront6targetE0EEEvS12_ ; -- Begin function _ZN7rocprim17ROCPRIM_400000_NS6detail17trampoline_kernelINS0_13select_configILj256ELj13ELNS0_17block_load_methodE3ELS4_3ELS4_3ELNS0_20block_scan_algorithmE0ELj4294967295EEENS1_25partition_config_selectorILNS1_17partition_subalgoE4EjNS0_10empty_typeEbEEZZNS1_14partition_implILS8_4ELb0ES6_15HIP_vector_typeIjLj2EENS0_17counting_iteratorIjlEEPS9_SG_NS0_5tupleIJPjSI_NS0_16reverse_iteratorISI_EEEEENSH_IJSG_SG_SG_EEES9_SI_JZNS1_25segmented_radix_sort_implINS0_14default_configELb0EPKbPbPKlPlN2at6native12_GLOBAL__N_18offset_tEEE10hipError_tPvRmT1_PNSt15iterator_traitsIS12_E10value_typeET2_T3_PNS13_IS18_E10value_typeET4_jRbjT5_S1E_jjP12ihipStream_tbEUljE_ZNSN_ISO_Lb0ESQ_SR_ST_SU_SY_EESZ_S10_S11_S12_S16_S17_S18_S1B_S1C_jS1D_jS1E_S1E_jjS1G_bEUljE0_EEESZ_S10_S11_S18_S1C_S1E_T6_T7_T9_mT8_S1G_bDpT10_ENKUlT_T0_E_clISt17integral_constantIbLb0EES1U_EEDaS1P_S1Q_EUlS1P_E_NS1_11comp_targetILNS1_3genE2ELNS1_11target_archE906ELNS1_3gpuE6ELNS1_3repE0EEENS1_30default_config_static_selectorELNS0_4arch9wavefront6targetE0EEEvS12_
	.p2align	8
	.type	_ZN7rocprim17ROCPRIM_400000_NS6detail17trampoline_kernelINS0_13select_configILj256ELj13ELNS0_17block_load_methodE3ELS4_3ELS4_3ELNS0_20block_scan_algorithmE0ELj4294967295EEENS1_25partition_config_selectorILNS1_17partition_subalgoE4EjNS0_10empty_typeEbEEZZNS1_14partition_implILS8_4ELb0ES6_15HIP_vector_typeIjLj2EENS0_17counting_iteratorIjlEEPS9_SG_NS0_5tupleIJPjSI_NS0_16reverse_iteratorISI_EEEEENSH_IJSG_SG_SG_EEES9_SI_JZNS1_25segmented_radix_sort_implINS0_14default_configELb0EPKbPbPKlPlN2at6native12_GLOBAL__N_18offset_tEEE10hipError_tPvRmT1_PNSt15iterator_traitsIS12_E10value_typeET2_T3_PNS13_IS18_E10value_typeET4_jRbjT5_S1E_jjP12ihipStream_tbEUljE_ZNSN_ISO_Lb0ESQ_SR_ST_SU_SY_EESZ_S10_S11_S12_S16_S17_S18_S1B_S1C_jS1D_jS1E_S1E_jjS1G_bEUljE0_EEESZ_S10_S11_S18_S1C_S1E_T6_T7_T9_mT8_S1G_bDpT10_ENKUlT_T0_E_clISt17integral_constantIbLb0EES1U_EEDaS1P_S1Q_EUlS1P_E_NS1_11comp_targetILNS1_3genE2ELNS1_11target_archE906ELNS1_3gpuE6ELNS1_3repE0EEENS1_30default_config_static_selectorELNS0_4arch9wavefront6targetE0EEEvS12_,@function
_ZN7rocprim17ROCPRIM_400000_NS6detail17trampoline_kernelINS0_13select_configILj256ELj13ELNS0_17block_load_methodE3ELS4_3ELS4_3ELNS0_20block_scan_algorithmE0ELj4294967295EEENS1_25partition_config_selectorILNS1_17partition_subalgoE4EjNS0_10empty_typeEbEEZZNS1_14partition_implILS8_4ELb0ES6_15HIP_vector_typeIjLj2EENS0_17counting_iteratorIjlEEPS9_SG_NS0_5tupleIJPjSI_NS0_16reverse_iteratorISI_EEEEENSH_IJSG_SG_SG_EEES9_SI_JZNS1_25segmented_radix_sort_implINS0_14default_configELb0EPKbPbPKlPlN2at6native12_GLOBAL__N_18offset_tEEE10hipError_tPvRmT1_PNSt15iterator_traitsIS12_E10value_typeET2_T3_PNS13_IS18_E10value_typeET4_jRbjT5_S1E_jjP12ihipStream_tbEUljE_ZNSN_ISO_Lb0ESQ_SR_ST_SU_SY_EESZ_S10_S11_S12_S16_S17_S18_S1B_S1C_jS1D_jS1E_S1E_jjS1G_bEUljE0_EEESZ_S10_S11_S18_S1C_S1E_T6_T7_T9_mT8_S1G_bDpT10_ENKUlT_T0_E_clISt17integral_constantIbLb0EES1U_EEDaS1P_S1Q_EUlS1P_E_NS1_11comp_targetILNS1_3genE2ELNS1_11target_archE906ELNS1_3gpuE6ELNS1_3repE0EEENS1_30default_config_static_selectorELNS0_4arch9wavefront6targetE0EEEvS12_: ; @_ZN7rocprim17ROCPRIM_400000_NS6detail17trampoline_kernelINS0_13select_configILj256ELj13ELNS0_17block_load_methodE3ELS4_3ELS4_3ELNS0_20block_scan_algorithmE0ELj4294967295EEENS1_25partition_config_selectorILNS1_17partition_subalgoE4EjNS0_10empty_typeEbEEZZNS1_14partition_implILS8_4ELb0ES6_15HIP_vector_typeIjLj2EENS0_17counting_iteratorIjlEEPS9_SG_NS0_5tupleIJPjSI_NS0_16reverse_iteratorISI_EEEEENSH_IJSG_SG_SG_EEES9_SI_JZNS1_25segmented_radix_sort_implINS0_14default_configELb0EPKbPbPKlPlN2at6native12_GLOBAL__N_18offset_tEEE10hipError_tPvRmT1_PNSt15iterator_traitsIS12_E10value_typeET2_T3_PNS13_IS18_E10value_typeET4_jRbjT5_S1E_jjP12ihipStream_tbEUljE_ZNSN_ISO_Lb0ESQ_SR_ST_SU_SY_EESZ_S10_S11_S12_S16_S17_S18_S1B_S1C_jS1D_jS1E_S1E_jjS1G_bEUljE0_EEESZ_S10_S11_S18_S1C_S1E_T6_T7_T9_mT8_S1G_bDpT10_ENKUlT_T0_E_clISt17integral_constantIbLb0EES1U_EEDaS1P_S1Q_EUlS1P_E_NS1_11comp_targetILNS1_3genE2ELNS1_11target_archE906ELNS1_3gpuE6ELNS1_3repE0EEENS1_30default_config_static_selectorELNS0_4arch9wavefront6targetE0EEEvS12_
; %bb.0:
	.section	.rodata,"a",@progbits
	.p2align	6, 0x0
	.amdhsa_kernel _ZN7rocprim17ROCPRIM_400000_NS6detail17trampoline_kernelINS0_13select_configILj256ELj13ELNS0_17block_load_methodE3ELS4_3ELS4_3ELNS0_20block_scan_algorithmE0ELj4294967295EEENS1_25partition_config_selectorILNS1_17partition_subalgoE4EjNS0_10empty_typeEbEEZZNS1_14partition_implILS8_4ELb0ES6_15HIP_vector_typeIjLj2EENS0_17counting_iteratorIjlEEPS9_SG_NS0_5tupleIJPjSI_NS0_16reverse_iteratorISI_EEEEENSH_IJSG_SG_SG_EEES9_SI_JZNS1_25segmented_radix_sort_implINS0_14default_configELb0EPKbPbPKlPlN2at6native12_GLOBAL__N_18offset_tEEE10hipError_tPvRmT1_PNSt15iterator_traitsIS12_E10value_typeET2_T3_PNS13_IS18_E10value_typeET4_jRbjT5_S1E_jjP12ihipStream_tbEUljE_ZNSN_ISO_Lb0ESQ_SR_ST_SU_SY_EESZ_S10_S11_S12_S16_S17_S18_S1B_S1C_jS1D_jS1E_S1E_jjS1G_bEUljE0_EEESZ_S10_S11_S18_S1C_S1E_T6_T7_T9_mT8_S1G_bDpT10_ENKUlT_T0_E_clISt17integral_constantIbLb0EES1U_EEDaS1P_S1Q_EUlS1P_E_NS1_11comp_targetILNS1_3genE2ELNS1_11target_archE906ELNS1_3gpuE6ELNS1_3repE0EEENS1_30default_config_static_selectorELNS0_4arch9wavefront6targetE0EEEvS12_
		.amdhsa_group_segment_fixed_size 0
		.amdhsa_private_segment_fixed_size 0
		.amdhsa_kernarg_size 176
		.amdhsa_user_sgpr_count 2
		.amdhsa_user_sgpr_dispatch_ptr 0
		.amdhsa_user_sgpr_queue_ptr 0
		.amdhsa_user_sgpr_kernarg_segment_ptr 1
		.amdhsa_user_sgpr_dispatch_id 0
		.amdhsa_user_sgpr_kernarg_preload_length 0
		.amdhsa_user_sgpr_kernarg_preload_offset 0
		.amdhsa_user_sgpr_private_segment_size 0
		.amdhsa_wavefront_size32 1
		.amdhsa_uses_dynamic_stack 0
		.amdhsa_enable_private_segment 0
		.amdhsa_system_sgpr_workgroup_id_x 1
		.amdhsa_system_sgpr_workgroup_id_y 0
		.amdhsa_system_sgpr_workgroup_id_z 0
		.amdhsa_system_sgpr_workgroup_info 0
		.amdhsa_system_vgpr_workitem_id 0
		.amdhsa_next_free_vgpr 1
		.amdhsa_next_free_sgpr 1
		.amdhsa_named_barrier_count 0
		.amdhsa_reserve_vcc 0
		.amdhsa_float_round_mode_32 0
		.amdhsa_float_round_mode_16_64 0
		.amdhsa_float_denorm_mode_32 3
		.amdhsa_float_denorm_mode_16_64 3
		.amdhsa_fp16_overflow 0
		.amdhsa_memory_ordered 1
		.amdhsa_forward_progress 1
		.amdhsa_inst_pref_size 0
		.amdhsa_round_robin_scheduling 0
		.amdhsa_exception_fp_ieee_invalid_op 0
		.amdhsa_exception_fp_denorm_src 0
		.amdhsa_exception_fp_ieee_div_zero 0
		.amdhsa_exception_fp_ieee_overflow 0
		.amdhsa_exception_fp_ieee_underflow 0
		.amdhsa_exception_fp_ieee_inexact 0
		.amdhsa_exception_int_div_zero 0
	.end_amdhsa_kernel
	.section	.text._ZN7rocprim17ROCPRIM_400000_NS6detail17trampoline_kernelINS0_13select_configILj256ELj13ELNS0_17block_load_methodE3ELS4_3ELS4_3ELNS0_20block_scan_algorithmE0ELj4294967295EEENS1_25partition_config_selectorILNS1_17partition_subalgoE4EjNS0_10empty_typeEbEEZZNS1_14partition_implILS8_4ELb0ES6_15HIP_vector_typeIjLj2EENS0_17counting_iteratorIjlEEPS9_SG_NS0_5tupleIJPjSI_NS0_16reverse_iteratorISI_EEEEENSH_IJSG_SG_SG_EEES9_SI_JZNS1_25segmented_radix_sort_implINS0_14default_configELb0EPKbPbPKlPlN2at6native12_GLOBAL__N_18offset_tEEE10hipError_tPvRmT1_PNSt15iterator_traitsIS12_E10value_typeET2_T3_PNS13_IS18_E10value_typeET4_jRbjT5_S1E_jjP12ihipStream_tbEUljE_ZNSN_ISO_Lb0ESQ_SR_ST_SU_SY_EESZ_S10_S11_S12_S16_S17_S18_S1B_S1C_jS1D_jS1E_S1E_jjS1G_bEUljE0_EEESZ_S10_S11_S18_S1C_S1E_T6_T7_T9_mT8_S1G_bDpT10_ENKUlT_T0_E_clISt17integral_constantIbLb0EES1U_EEDaS1P_S1Q_EUlS1P_E_NS1_11comp_targetILNS1_3genE2ELNS1_11target_archE906ELNS1_3gpuE6ELNS1_3repE0EEENS1_30default_config_static_selectorELNS0_4arch9wavefront6targetE0EEEvS12_,"axG",@progbits,_ZN7rocprim17ROCPRIM_400000_NS6detail17trampoline_kernelINS0_13select_configILj256ELj13ELNS0_17block_load_methodE3ELS4_3ELS4_3ELNS0_20block_scan_algorithmE0ELj4294967295EEENS1_25partition_config_selectorILNS1_17partition_subalgoE4EjNS0_10empty_typeEbEEZZNS1_14partition_implILS8_4ELb0ES6_15HIP_vector_typeIjLj2EENS0_17counting_iteratorIjlEEPS9_SG_NS0_5tupleIJPjSI_NS0_16reverse_iteratorISI_EEEEENSH_IJSG_SG_SG_EEES9_SI_JZNS1_25segmented_radix_sort_implINS0_14default_configELb0EPKbPbPKlPlN2at6native12_GLOBAL__N_18offset_tEEE10hipError_tPvRmT1_PNSt15iterator_traitsIS12_E10value_typeET2_T3_PNS13_IS18_E10value_typeET4_jRbjT5_S1E_jjP12ihipStream_tbEUljE_ZNSN_ISO_Lb0ESQ_SR_ST_SU_SY_EESZ_S10_S11_S12_S16_S17_S18_S1B_S1C_jS1D_jS1E_S1E_jjS1G_bEUljE0_EEESZ_S10_S11_S18_S1C_S1E_T6_T7_T9_mT8_S1G_bDpT10_ENKUlT_T0_E_clISt17integral_constantIbLb0EES1U_EEDaS1P_S1Q_EUlS1P_E_NS1_11comp_targetILNS1_3genE2ELNS1_11target_archE906ELNS1_3gpuE6ELNS1_3repE0EEENS1_30default_config_static_selectorELNS0_4arch9wavefront6targetE0EEEvS12_,comdat
.Lfunc_end1566:
	.size	_ZN7rocprim17ROCPRIM_400000_NS6detail17trampoline_kernelINS0_13select_configILj256ELj13ELNS0_17block_load_methodE3ELS4_3ELS4_3ELNS0_20block_scan_algorithmE0ELj4294967295EEENS1_25partition_config_selectorILNS1_17partition_subalgoE4EjNS0_10empty_typeEbEEZZNS1_14partition_implILS8_4ELb0ES6_15HIP_vector_typeIjLj2EENS0_17counting_iteratorIjlEEPS9_SG_NS0_5tupleIJPjSI_NS0_16reverse_iteratorISI_EEEEENSH_IJSG_SG_SG_EEES9_SI_JZNS1_25segmented_radix_sort_implINS0_14default_configELb0EPKbPbPKlPlN2at6native12_GLOBAL__N_18offset_tEEE10hipError_tPvRmT1_PNSt15iterator_traitsIS12_E10value_typeET2_T3_PNS13_IS18_E10value_typeET4_jRbjT5_S1E_jjP12ihipStream_tbEUljE_ZNSN_ISO_Lb0ESQ_SR_ST_SU_SY_EESZ_S10_S11_S12_S16_S17_S18_S1B_S1C_jS1D_jS1E_S1E_jjS1G_bEUljE0_EEESZ_S10_S11_S18_S1C_S1E_T6_T7_T9_mT8_S1G_bDpT10_ENKUlT_T0_E_clISt17integral_constantIbLb0EES1U_EEDaS1P_S1Q_EUlS1P_E_NS1_11comp_targetILNS1_3genE2ELNS1_11target_archE906ELNS1_3gpuE6ELNS1_3repE0EEENS1_30default_config_static_selectorELNS0_4arch9wavefront6targetE0EEEvS12_, .Lfunc_end1566-_ZN7rocprim17ROCPRIM_400000_NS6detail17trampoline_kernelINS0_13select_configILj256ELj13ELNS0_17block_load_methodE3ELS4_3ELS4_3ELNS0_20block_scan_algorithmE0ELj4294967295EEENS1_25partition_config_selectorILNS1_17partition_subalgoE4EjNS0_10empty_typeEbEEZZNS1_14partition_implILS8_4ELb0ES6_15HIP_vector_typeIjLj2EENS0_17counting_iteratorIjlEEPS9_SG_NS0_5tupleIJPjSI_NS0_16reverse_iteratorISI_EEEEENSH_IJSG_SG_SG_EEES9_SI_JZNS1_25segmented_radix_sort_implINS0_14default_configELb0EPKbPbPKlPlN2at6native12_GLOBAL__N_18offset_tEEE10hipError_tPvRmT1_PNSt15iterator_traitsIS12_E10value_typeET2_T3_PNS13_IS18_E10value_typeET4_jRbjT5_S1E_jjP12ihipStream_tbEUljE_ZNSN_ISO_Lb0ESQ_SR_ST_SU_SY_EESZ_S10_S11_S12_S16_S17_S18_S1B_S1C_jS1D_jS1E_S1E_jjS1G_bEUljE0_EEESZ_S10_S11_S18_S1C_S1E_T6_T7_T9_mT8_S1G_bDpT10_ENKUlT_T0_E_clISt17integral_constantIbLb0EES1U_EEDaS1P_S1Q_EUlS1P_E_NS1_11comp_targetILNS1_3genE2ELNS1_11target_archE906ELNS1_3gpuE6ELNS1_3repE0EEENS1_30default_config_static_selectorELNS0_4arch9wavefront6targetE0EEEvS12_
                                        ; -- End function
	.set _ZN7rocprim17ROCPRIM_400000_NS6detail17trampoline_kernelINS0_13select_configILj256ELj13ELNS0_17block_load_methodE3ELS4_3ELS4_3ELNS0_20block_scan_algorithmE0ELj4294967295EEENS1_25partition_config_selectorILNS1_17partition_subalgoE4EjNS0_10empty_typeEbEEZZNS1_14partition_implILS8_4ELb0ES6_15HIP_vector_typeIjLj2EENS0_17counting_iteratorIjlEEPS9_SG_NS0_5tupleIJPjSI_NS0_16reverse_iteratorISI_EEEEENSH_IJSG_SG_SG_EEES9_SI_JZNS1_25segmented_radix_sort_implINS0_14default_configELb0EPKbPbPKlPlN2at6native12_GLOBAL__N_18offset_tEEE10hipError_tPvRmT1_PNSt15iterator_traitsIS12_E10value_typeET2_T3_PNS13_IS18_E10value_typeET4_jRbjT5_S1E_jjP12ihipStream_tbEUljE_ZNSN_ISO_Lb0ESQ_SR_ST_SU_SY_EESZ_S10_S11_S12_S16_S17_S18_S1B_S1C_jS1D_jS1E_S1E_jjS1G_bEUljE0_EEESZ_S10_S11_S18_S1C_S1E_T6_T7_T9_mT8_S1G_bDpT10_ENKUlT_T0_E_clISt17integral_constantIbLb0EES1U_EEDaS1P_S1Q_EUlS1P_E_NS1_11comp_targetILNS1_3genE2ELNS1_11target_archE906ELNS1_3gpuE6ELNS1_3repE0EEENS1_30default_config_static_selectorELNS0_4arch9wavefront6targetE0EEEvS12_.num_vgpr, 0
	.set _ZN7rocprim17ROCPRIM_400000_NS6detail17trampoline_kernelINS0_13select_configILj256ELj13ELNS0_17block_load_methodE3ELS4_3ELS4_3ELNS0_20block_scan_algorithmE0ELj4294967295EEENS1_25partition_config_selectorILNS1_17partition_subalgoE4EjNS0_10empty_typeEbEEZZNS1_14partition_implILS8_4ELb0ES6_15HIP_vector_typeIjLj2EENS0_17counting_iteratorIjlEEPS9_SG_NS0_5tupleIJPjSI_NS0_16reverse_iteratorISI_EEEEENSH_IJSG_SG_SG_EEES9_SI_JZNS1_25segmented_radix_sort_implINS0_14default_configELb0EPKbPbPKlPlN2at6native12_GLOBAL__N_18offset_tEEE10hipError_tPvRmT1_PNSt15iterator_traitsIS12_E10value_typeET2_T3_PNS13_IS18_E10value_typeET4_jRbjT5_S1E_jjP12ihipStream_tbEUljE_ZNSN_ISO_Lb0ESQ_SR_ST_SU_SY_EESZ_S10_S11_S12_S16_S17_S18_S1B_S1C_jS1D_jS1E_S1E_jjS1G_bEUljE0_EEESZ_S10_S11_S18_S1C_S1E_T6_T7_T9_mT8_S1G_bDpT10_ENKUlT_T0_E_clISt17integral_constantIbLb0EES1U_EEDaS1P_S1Q_EUlS1P_E_NS1_11comp_targetILNS1_3genE2ELNS1_11target_archE906ELNS1_3gpuE6ELNS1_3repE0EEENS1_30default_config_static_selectorELNS0_4arch9wavefront6targetE0EEEvS12_.num_agpr, 0
	.set _ZN7rocprim17ROCPRIM_400000_NS6detail17trampoline_kernelINS0_13select_configILj256ELj13ELNS0_17block_load_methodE3ELS4_3ELS4_3ELNS0_20block_scan_algorithmE0ELj4294967295EEENS1_25partition_config_selectorILNS1_17partition_subalgoE4EjNS0_10empty_typeEbEEZZNS1_14partition_implILS8_4ELb0ES6_15HIP_vector_typeIjLj2EENS0_17counting_iteratorIjlEEPS9_SG_NS0_5tupleIJPjSI_NS0_16reverse_iteratorISI_EEEEENSH_IJSG_SG_SG_EEES9_SI_JZNS1_25segmented_radix_sort_implINS0_14default_configELb0EPKbPbPKlPlN2at6native12_GLOBAL__N_18offset_tEEE10hipError_tPvRmT1_PNSt15iterator_traitsIS12_E10value_typeET2_T3_PNS13_IS18_E10value_typeET4_jRbjT5_S1E_jjP12ihipStream_tbEUljE_ZNSN_ISO_Lb0ESQ_SR_ST_SU_SY_EESZ_S10_S11_S12_S16_S17_S18_S1B_S1C_jS1D_jS1E_S1E_jjS1G_bEUljE0_EEESZ_S10_S11_S18_S1C_S1E_T6_T7_T9_mT8_S1G_bDpT10_ENKUlT_T0_E_clISt17integral_constantIbLb0EES1U_EEDaS1P_S1Q_EUlS1P_E_NS1_11comp_targetILNS1_3genE2ELNS1_11target_archE906ELNS1_3gpuE6ELNS1_3repE0EEENS1_30default_config_static_selectorELNS0_4arch9wavefront6targetE0EEEvS12_.numbered_sgpr, 0
	.set _ZN7rocprim17ROCPRIM_400000_NS6detail17trampoline_kernelINS0_13select_configILj256ELj13ELNS0_17block_load_methodE3ELS4_3ELS4_3ELNS0_20block_scan_algorithmE0ELj4294967295EEENS1_25partition_config_selectorILNS1_17partition_subalgoE4EjNS0_10empty_typeEbEEZZNS1_14partition_implILS8_4ELb0ES6_15HIP_vector_typeIjLj2EENS0_17counting_iteratorIjlEEPS9_SG_NS0_5tupleIJPjSI_NS0_16reverse_iteratorISI_EEEEENSH_IJSG_SG_SG_EEES9_SI_JZNS1_25segmented_radix_sort_implINS0_14default_configELb0EPKbPbPKlPlN2at6native12_GLOBAL__N_18offset_tEEE10hipError_tPvRmT1_PNSt15iterator_traitsIS12_E10value_typeET2_T3_PNS13_IS18_E10value_typeET4_jRbjT5_S1E_jjP12ihipStream_tbEUljE_ZNSN_ISO_Lb0ESQ_SR_ST_SU_SY_EESZ_S10_S11_S12_S16_S17_S18_S1B_S1C_jS1D_jS1E_S1E_jjS1G_bEUljE0_EEESZ_S10_S11_S18_S1C_S1E_T6_T7_T9_mT8_S1G_bDpT10_ENKUlT_T0_E_clISt17integral_constantIbLb0EES1U_EEDaS1P_S1Q_EUlS1P_E_NS1_11comp_targetILNS1_3genE2ELNS1_11target_archE906ELNS1_3gpuE6ELNS1_3repE0EEENS1_30default_config_static_selectorELNS0_4arch9wavefront6targetE0EEEvS12_.num_named_barrier, 0
	.set _ZN7rocprim17ROCPRIM_400000_NS6detail17trampoline_kernelINS0_13select_configILj256ELj13ELNS0_17block_load_methodE3ELS4_3ELS4_3ELNS0_20block_scan_algorithmE0ELj4294967295EEENS1_25partition_config_selectorILNS1_17partition_subalgoE4EjNS0_10empty_typeEbEEZZNS1_14partition_implILS8_4ELb0ES6_15HIP_vector_typeIjLj2EENS0_17counting_iteratorIjlEEPS9_SG_NS0_5tupleIJPjSI_NS0_16reverse_iteratorISI_EEEEENSH_IJSG_SG_SG_EEES9_SI_JZNS1_25segmented_radix_sort_implINS0_14default_configELb0EPKbPbPKlPlN2at6native12_GLOBAL__N_18offset_tEEE10hipError_tPvRmT1_PNSt15iterator_traitsIS12_E10value_typeET2_T3_PNS13_IS18_E10value_typeET4_jRbjT5_S1E_jjP12ihipStream_tbEUljE_ZNSN_ISO_Lb0ESQ_SR_ST_SU_SY_EESZ_S10_S11_S12_S16_S17_S18_S1B_S1C_jS1D_jS1E_S1E_jjS1G_bEUljE0_EEESZ_S10_S11_S18_S1C_S1E_T6_T7_T9_mT8_S1G_bDpT10_ENKUlT_T0_E_clISt17integral_constantIbLb0EES1U_EEDaS1P_S1Q_EUlS1P_E_NS1_11comp_targetILNS1_3genE2ELNS1_11target_archE906ELNS1_3gpuE6ELNS1_3repE0EEENS1_30default_config_static_selectorELNS0_4arch9wavefront6targetE0EEEvS12_.private_seg_size, 0
	.set _ZN7rocprim17ROCPRIM_400000_NS6detail17trampoline_kernelINS0_13select_configILj256ELj13ELNS0_17block_load_methodE3ELS4_3ELS4_3ELNS0_20block_scan_algorithmE0ELj4294967295EEENS1_25partition_config_selectorILNS1_17partition_subalgoE4EjNS0_10empty_typeEbEEZZNS1_14partition_implILS8_4ELb0ES6_15HIP_vector_typeIjLj2EENS0_17counting_iteratorIjlEEPS9_SG_NS0_5tupleIJPjSI_NS0_16reverse_iteratorISI_EEEEENSH_IJSG_SG_SG_EEES9_SI_JZNS1_25segmented_radix_sort_implINS0_14default_configELb0EPKbPbPKlPlN2at6native12_GLOBAL__N_18offset_tEEE10hipError_tPvRmT1_PNSt15iterator_traitsIS12_E10value_typeET2_T3_PNS13_IS18_E10value_typeET4_jRbjT5_S1E_jjP12ihipStream_tbEUljE_ZNSN_ISO_Lb0ESQ_SR_ST_SU_SY_EESZ_S10_S11_S12_S16_S17_S18_S1B_S1C_jS1D_jS1E_S1E_jjS1G_bEUljE0_EEESZ_S10_S11_S18_S1C_S1E_T6_T7_T9_mT8_S1G_bDpT10_ENKUlT_T0_E_clISt17integral_constantIbLb0EES1U_EEDaS1P_S1Q_EUlS1P_E_NS1_11comp_targetILNS1_3genE2ELNS1_11target_archE906ELNS1_3gpuE6ELNS1_3repE0EEENS1_30default_config_static_selectorELNS0_4arch9wavefront6targetE0EEEvS12_.uses_vcc, 0
	.set _ZN7rocprim17ROCPRIM_400000_NS6detail17trampoline_kernelINS0_13select_configILj256ELj13ELNS0_17block_load_methodE3ELS4_3ELS4_3ELNS0_20block_scan_algorithmE0ELj4294967295EEENS1_25partition_config_selectorILNS1_17partition_subalgoE4EjNS0_10empty_typeEbEEZZNS1_14partition_implILS8_4ELb0ES6_15HIP_vector_typeIjLj2EENS0_17counting_iteratorIjlEEPS9_SG_NS0_5tupleIJPjSI_NS0_16reverse_iteratorISI_EEEEENSH_IJSG_SG_SG_EEES9_SI_JZNS1_25segmented_radix_sort_implINS0_14default_configELb0EPKbPbPKlPlN2at6native12_GLOBAL__N_18offset_tEEE10hipError_tPvRmT1_PNSt15iterator_traitsIS12_E10value_typeET2_T3_PNS13_IS18_E10value_typeET4_jRbjT5_S1E_jjP12ihipStream_tbEUljE_ZNSN_ISO_Lb0ESQ_SR_ST_SU_SY_EESZ_S10_S11_S12_S16_S17_S18_S1B_S1C_jS1D_jS1E_S1E_jjS1G_bEUljE0_EEESZ_S10_S11_S18_S1C_S1E_T6_T7_T9_mT8_S1G_bDpT10_ENKUlT_T0_E_clISt17integral_constantIbLb0EES1U_EEDaS1P_S1Q_EUlS1P_E_NS1_11comp_targetILNS1_3genE2ELNS1_11target_archE906ELNS1_3gpuE6ELNS1_3repE0EEENS1_30default_config_static_selectorELNS0_4arch9wavefront6targetE0EEEvS12_.uses_flat_scratch, 0
	.set _ZN7rocprim17ROCPRIM_400000_NS6detail17trampoline_kernelINS0_13select_configILj256ELj13ELNS0_17block_load_methodE3ELS4_3ELS4_3ELNS0_20block_scan_algorithmE0ELj4294967295EEENS1_25partition_config_selectorILNS1_17partition_subalgoE4EjNS0_10empty_typeEbEEZZNS1_14partition_implILS8_4ELb0ES6_15HIP_vector_typeIjLj2EENS0_17counting_iteratorIjlEEPS9_SG_NS0_5tupleIJPjSI_NS0_16reverse_iteratorISI_EEEEENSH_IJSG_SG_SG_EEES9_SI_JZNS1_25segmented_radix_sort_implINS0_14default_configELb0EPKbPbPKlPlN2at6native12_GLOBAL__N_18offset_tEEE10hipError_tPvRmT1_PNSt15iterator_traitsIS12_E10value_typeET2_T3_PNS13_IS18_E10value_typeET4_jRbjT5_S1E_jjP12ihipStream_tbEUljE_ZNSN_ISO_Lb0ESQ_SR_ST_SU_SY_EESZ_S10_S11_S12_S16_S17_S18_S1B_S1C_jS1D_jS1E_S1E_jjS1G_bEUljE0_EEESZ_S10_S11_S18_S1C_S1E_T6_T7_T9_mT8_S1G_bDpT10_ENKUlT_T0_E_clISt17integral_constantIbLb0EES1U_EEDaS1P_S1Q_EUlS1P_E_NS1_11comp_targetILNS1_3genE2ELNS1_11target_archE906ELNS1_3gpuE6ELNS1_3repE0EEENS1_30default_config_static_selectorELNS0_4arch9wavefront6targetE0EEEvS12_.has_dyn_sized_stack, 0
	.set _ZN7rocprim17ROCPRIM_400000_NS6detail17trampoline_kernelINS0_13select_configILj256ELj13ELNS0_17block_load_methodE3ELS4_3ELS4_3ELNS0_20block_scan_algorithmE0ELj4294967295EEENS1_25partition_config_selectorILNS1_17partition_subalgoE4EjNS0_10empty_typeEbEEZZNS1_14partition_implILS8_4ELb0ES6_15HIP_vector_typeIjLj2EENS0_17counting_iteratorIjlEEPS9_SG_NS0_5tupleIJPjSI_NS0_16reverse_iteratorISI_EEEEENSH_IJSG_SG_SG_EEES9_SI_JZNS1_25segmented_radix_sort_implINS0_14default_configELb0EPKbPbPKlPlN2at6native12_GLOBAL__N_18offset_tEEE10hipError_tPvRmT1_PNSt15iterator_traitsIS12_E10value_typeET2_T3_PNS13_IS18_E10value_typeET4_jRbjT5_S1E_jjP12ihipStream_tbEUljE_ZNSN_ISO_Lb0ESQ_SR_ST_SU_SY_EESZ_S10_S11_S12_S16_S17_S18_S1B_S1C_jS1D_jS1E_S1E_jjS1G_bEUljE0_EEESZ_S10_S11_S18_S1C_S1E_T6_T7_T9_mT8_S1G_bDpT10_ENKUlT_T0_E_clISt17integral_constantIbLb0EES1U_EEDaS1P_S1Q_EUlS1P_E_NS1_11comp_targetILNS1_3genE2ELNS1_11target_archE906ELNS1_3gpuE6ELNS1_3repE0EEENS1_30default_config_static_selectorELNS0_4arch9wavefront6targetE0EEEvS12_.has_recursion, 0
	.set _ZN7rocprim17ROCPRIM_400000_NS6detail17trampoline_kernelINS0_13select_configILj256ELj13ELNS0_17block_load_methodE3ELS4_3ELS4_3ELNS0_20block_scan_algorithmE0ELj4294967295EEENS1_25partition_config_selectorILNS1_17partition_subalgoE4EjNS0_10empty_typeEbEEZZNS1_14partition_implILS8_4ELb0ES6_15HIP_vector_typeIjLj2EENS0_17counting_iteratorIjlEEPS9_SG_NS0_5tupleIJPjSI_NS0_16reverse_iteratorISI_EEEEENSH_IJSG_SG_SG_EEES9_SI_JZNS1_25segmented_radix_sort_implINS0_14default_configELb0EPKbPbPKlPlN2at6native12_GLOBAL__N_18offset_tEEE10hipError_tPvRmT1_PNSt15iterator_traitsIS12_E10value_typeET2_T3_PNS13_IS18_E10value_typeET4_jRbjT5_S1E_jjP12ihipStream_tbEUljE_ZNSN_ISO_Lb0ESQ_SR_ST_SU_SY_EESZ_S10_S11_S12_S16_S17_S18_S1B_S1C_jS1D_jS1E_S1E_jjS1G_bEUljE0_EEESZ_S10_S11_S18_S1C_S1E_T6_T7_T9_mT8_S1G_bDpT10_ENKUlT_T0_E_clISt17integral_constantIbLb0EES1U_EEDaS1P_S1Q_EUlS1P_E_NS1_11comp_targetILNS1_3genE2ELNS1_11target_archE906ELNS1_3gpuE6ELNS1_3repE0EEENS1_30default_config_static_selectorELNS0_4arch9wavefront6targetE0EEEvS12_.has_indirect_call, 0
	.section	.AMDGPU.csdata,"",@progbits
; Kernel info:
; codeLenInByte = 0
; TotalNumSgprs: 0
; NumVgprs: 0
; ScratchSize: 0
; MemoryBound: 0
; FloatMode: 240
; IeeeMode: 1
; LDSByteSize: 0 bytes/workgroup (compile time only)
; SGPRBlocks: 0
; VGPRBlocks: 0
; NumSGPRsForWavesPerEU: 1
; NumVGPRsForWavesPerEU: 1
; NamedBarCnt: 0
; Occupancy: 16
; WaveLimiterHint : 0
; COMPUTE_PGM_RSRC2:SCRATCH_EN: 0
; COMPUTE_PGM_RSRC2:USER_SGPR: 2
; COMPUTE_PGM_RSRC2:TRAP_HANDLER: 0
; COMPUTE_PGM_RSRC2:TGID_X_EN: 1
; COMPUTE_PGM_RSRC2:TGID_Y_EN: 0
; COMPUTE_PGM_RSRC2:TGID_Z_EN: 0
; COMPUTE_PGM_RSRC2:TIDIG_COMP_CNT: 0
	.section	.text._ZN7rocprim17ROCPRIM_400000_NS6detail17trampoline_kernelINS0_13select_configILj256ELj13ELNS0_17block_load_methodE3ELS4_3ELS4_3ELNS0_20block_scan_algorithmE0ELj4294967295EEENS1_25partition_config_selectorILNS1_17partition_subalgoE4EjNS0_10empty_typeEbEEZZNS1_14partition_implILS8_4ELb0ES6_15HIP_vector_typeIjLj2EENS0_17counting_iteratorIjlEEPS9_SG_NS0_5tupleIJPjSI_NS0_16reverse_iteratorISI_EEEEENSH_IJSG_SG_SG_EEES9_SI_JZNS1_25segmented_radix_sort_implINS0_14default_configELb0EPKbPbPKlPlN2at6native12_GLOBAL__N_18offset_tEEE10hipError_tPvRmT1_PNSt15iterator_traitsIS12_E10value_typeET2_T3_PNS13_IS18_E10value_typeET4_jRbjT5_S1E_jjP12ihipStream_tbEUljE_ZNSN_ISO_Lb0ESQ_SR_ST_SU_SY_EESZ_S10_S11_S12_S16_S17_S18_S1B_S1C_jS1D_jS1E_S1E_jjS1G_bEUljE0_EEESZ_S10_S11_S18_S1C_S1E_T6_T7_T9_mT8_S1G_bDpT10_ENKUlT_T0_E_clISt17integral_constantIbLb0EES1U_EEDaS1P_S1Q_EUlS1P_E_NS1_11comp_targetILNS1_3genE10ELNS1_11target_archE1200ELNS1_3gpuE4ELNS1_3repE0EEENS1_30default_config_static_selectorELNS0_4arch9wavefront6targetE0EEEvS12_,"axG",@progbits,_ZN7rocprim17ROCPRIM_400000_NS6detail17trampoline_kernelINS0_13select_configILj256ELj13ELNS0_17block_load_methodE3ELS4_3ELS4_3ELNS0_20block_scan_algorithmE0ELj4294967295EEENS1_25partition_config_selectorILNS1_17partition_subalgoE4EjNS0_10empty_typeEbEEZZNS1_14partition_implILS8_4ELb0ES6_15HIP_vector_typeIjLj2EENS0_17counting_iteratorIjlEEPS9_SG_NS0_5tupleIJPjSI_NS0_16reverse_iteratorISI_EEEEENSH_IJSG_SG_SG_EEES9_SI_JZNS1_25segmented_radix_sort_implINS0_14default_configELb0EPKbPbPKlPlN2at6native12_GLOBAL__N_18offset_tEEE10hipError_tPvRmT1_PNSt15iterator_traitsIS12_E10value_typeET2_T3_PNS13_IS18_E10value_typeET4_jRbjT5_S1E_jjP12ihipStream_tbEUljE_ZNSN_ISO_Lb0ESQ_SR_ST_SU_SY_EESZ_S10_S11_S12_S16_S17_S18_S1B_S1C_jS1D_jS1E_S1E_jjS1G_bEUljE0_EEESZ_S10_S11_S18_S1C_S1E_T6_T7_T9_mT8_S1G_bDpT10_ENKUlT_T0_E_clISt17integral_constantIbLb0EES1U_EEDaS1P_S1Q_EUlS1P_E_NS1_11comp_targetILNS1_3genE10ELNS1_11target_archE1200ELNS1_3gpuE4ELNS1_3repE0EEENS1_30default_config_static_selectorELNS0_4arch9wavefront6targetE0EEEvS12_,comdat
	.globl	_ZN7rocprim17ROCPRIM_400000_NS6detail17trampoline_kernelINS0_13select_configILj256ELj13ELNS0_17block_load_methodE3ELS4_3ELS4_3ELNS0_20block_scan_algorithmE0ELj4294967295EEENS1_25partition_config_selectorILNS1_17partition_subalgoE4EjNS0_10empty_typeEbEEZZNS1_14partition_implILS8_4ELb0ES6_15HIP_vector_typeIjLj2EENS0_17counting_iteratorIjlEEPS9_SG_NS0_5tupleIJPjSI_NS0_16reverse_iteratorISI_EEEEENSH_IJSG_SG_SG_EEES9_SI_JZNS1_25segmented_radix_sort_implINS0_14default_configELb0EPKbPbPKlPlN2at6native12_GLOBAL__N_18offset_tEEE10hipError_tPvRmT1_PNSt15iterator_traitsIS12_E10value_typeET2_T3_PNS13_IS18_E10value_typeET4_jRbjT5_S1E_jjP12ihipStream_tbEUljE_ZNSN_ISO_Lb0ESQ_SR_ST_SU_SY_EESZ_S10_S11_S12_S16_S17_S18_S1B_S1C_jS1D_jS1E_S1E_jjS1G_bEUljE0_EEESZ_S10_S11_S18_S1C_S1E_T6_T7_T9_mT8_S1G_bDpT10_ENKUlT_T0_E_clISt17integral_constantIbLb0EES1U_EEDaS1P_S1Q_EUlS1P_E_NS1_11comp_targetILNS1_3genE10ELNS1_11target_archE1200ELNS1_3gpuE4ELNS1_3repE0EEENS1_30default_config_static_selectorELNS0_4arch9wavefront6targetE0EEEvS12_ ; -- Begin function _ZN7rocprim17ROCPRIM_400000_NS6detail17trampoline_kernelINS0_13select_configILj256ELj13ELNS0_17block_load_methodE3ELS4_3ELS4_3ELNS0_20block_scan_algorithmE0ELj4294967295EEENS1_25partition_config_selectorILNS1_17partition_subalgoE4EjNS0_10empty_typeEbEEZZNS1_14partition_implILS8_4ELb0ES6_15HIP_vector_typeIjLj2EENS0_17counting_iteratorIjlEEPS9_SG_NS0_5tupleIJPjSI_NS0_16reverse_iteratorISI_EEEEENSH_IJSG_SG_SG_EEES9_SI_JZNS1_25segmented_radix_sort_implINS0_14default_configELb0EPKbPbPKlPlN2at6native12_GLOBAL__N_18offset_tEEE10hipError_tPvRmT1_PNSt15iterator_traitsIS12_E10value_typeET2_T3_PNS13_IS18_E10value_typeET4_jRbjT5_S1E_jjP12ihipStream_tbEUljE_ZNSN_ISO_Lb0ESQ_SR_ST_SU_SY_EESZ_S10_S11_S12_S16_S17_S18_S1B_S1C_jS1D_jS1E_S1E_jjS1G_bEUljE0_EEESZ_S10_S11_S18_S1C_S1E_T6_T7_T9_mT8_S1G_bDpT10_ENKUlT_T0_E_clISt17integral_constantIbLb0EES1U_EEDaS1P_S1Q_EUlS1P_E_NS1_11comp_targetILNS1_3genE10ELNS1_11target_archE1200ELNS1_3gpuE4ELNS1_3repE0EEENS1_30default_config_static_selectorELNS0_4arch9wavefront6targetE0EEEvS12_
	.p2align	8
	.type	_ZN7rocprim17ROCPRIM_400000_NS6detail17trampoline_kernelINS0_13select_configILj256ELj13ELNS0_17block_load_methodE3ELS4_3ELS4_3ELNS0_20block_scan_algorithmE0ELj4294967295EEENS1_25partition_config_selectorILNS1_17partition_subalgoE4EjNS0_10empty_typeEbEEZZNS1_14partition_implILS8_4ELb0ES6_15HIP_vector_typeIjLj2EENS0_17counting_iteratorIjlEEPS9_SG_NS0_5tupleIJPjSI_NS0_16reverse_iteratorISI_EEEEENSH_IJSG_SG_SG_EEES9_SI_JZNS1_25segmented_radix_sort_implINS0_14default_configELb0EPKbPbPKlPlN2at6native12_GLOBAL__N_18offset_tEEE10hipError_tPvRmT1_PNSt15iterator_traitsIS12_E10value_typeET2_T3_PNS13_IS18_E10value_typeET4_jRbjT5_S1E_jjP12ihipStream_tbEUljE_ZNSN_ISO_Lb0ESQ_SR_ST_SU_SY_EESZ_S10_S11_S12_S16_S17_S18_S1B_S1C_jS1D_jS1E_S1E_jjS1G_bEUljE0_EEESZ_S10_S11_S18_S1C_S1E_T6_T7_T9_mT8_S1G_bDpT10_ENKUlT_T0_E_clISt17integral_constantIbLb0EES1U_EEDaS1P_S1Q_EUlS1P_E_NS1_11comp_targetILNS1_3genE10ELNS1_11target_archE1200ELNS1_3gpuE4ELNS1_3repE0EEENS1_30default_config_static_selectorELNS0_4arch9wavefront6targetE0EEEvS12_,@function
_ZN7rocprim17ROCPRIM_400000_NS6detail17trampoline_kernelINS0_13select_configILj256ELj13ELNS0_17block_load_methodE3ELS4_3ELS4_3ELNS0_20block_scan_algorithmE0ELj4294967295EEENS1_25partition_config_selectorILNS1_17partition_subalgoE4EjNS0_10empty_typeEbEEZZNS1_14partition_implILS8_4ELb0ES6_15HIP_vector_typeIjLj2EENS0_17counting_iteratorIjlEEPS9_SG_NS0_5tupleIJPjSI_NS0_16reverse_iteratorISI_EEEEENSH_IJSG_SG_SG_EEES9_SI_JZNS1_25segmented_radix_sort_implINS0_14default_configELb0EPKbPbPKlPlN2at6native12_GLOBAL__N_18offset_tEEE10hipError_tPvRmT1_PNSt15iterator_traitsIS12_E10value_typeET2_T3_PNS13_IS18_E10value_typeET4_jRbjT5_S1E_jjP12ihipStream_tbEUljE_ZNSN_ISO_Lb0ESQ_SR_ST_SU_SY_EESZ_S10_S11_S12_S16_S17_S18_S1B_S1C_jS1D_jS1E_S1E_jjS1G_bEUljE0_EEESZ_S10_S11_S18_S1C_S1E_T6_T7_T9_mT8_S1G_bDpT10_ENKUlT_T0_E_clISt17integral_constantIbLb0EES1U_EEDaS1P_S1Q_EUlS1P_E_NS1_11comp_targetILNS1_3genE10ELNS1_11target_archE1200ELNS1_3gpuE4ELNS1_3repE0EEENS1_30default_config_static_selectorELNS0_4arch9wavefront6targetE0EEEvS12_: ; @_ZN7rocprim17ROCPRIM_400000_NS6detail17trampoline_kernelINS0_13select_configILj256ELj13ELNS0_17block_load_methodE3ELS4_3ELS4_3ELNS0_20block_scan_algorithmE0ELj4294967295EEENS1_25partition_config_selectorILNS1_17partition_subalgoE4EjNS0_10empty_typeEbEEZZNS1_14partition_implILS8_4ELb0ES6_15HIP_vector_typeIjLj2EENS0_17counting_iteratorIjlEEPS9_SG_NS0_5tupleIJPjSI_NS0_16reverse_iteratorISI_EEEEENSH_IJSG_SG_SG_EEES9_SI_JZNS1_25segmented_radix_sort_implINS0_14default_configELb0EPKbPbPKlPlN2at6native12_GLOBAL__N_18offset_tEEE10hipError_tPvRmT1_PNSt15iterator_traitsIS12_E10value_typeET2_T3_PNS13_IS18_E10value_typeET4_jRbjT5_S1E_jjP12ihipStream_tbEUljE_ZNSN_ISO_Lb0ESQ_SR_ST_SU_SY_EESZ_S10_S11_S12_S16_S17_S18_S1B_S1C_jS1D_jS1E_S1E_jjS1G_bEUljE0_EEESZ_S10_S11_S18_S1C_S1E_T6_T7_T9_mT8_S1G_bDpT10_ENKUlT_T0_E_clISt17integral_constantIbLb0EES1U_EEDaS1P_S1Q_EUlS1P_E_NS1_11comp_targetILNS1_3genE10ELNS1_11target_archE1200ELNS1_3gpuE4ELNS1_3repE0EEENS1_30default_config_static_selectorELNS0_4arch9wavefront6targetE0EEEvS12_
; %bb.0:
	.section	.rodata,"a",@progbits
	.p2align	6, 0x0
	.amdhsa_kernel _ZN7rocprim17ROCPRIM_400000_NS6detail17trampoline_kernelINS0_13select_configILj256ELj13ELNS0_17block_load_methodE3ELS4_3ELS4_3ELNS0_20block_scan_algorithmE0ELj4294967295EEENS1_25partition_config_selectorILNS1_17partition_subalgoE4EjNS0_10empty_typeEbEEZZNS1_14partition_implILS8_4ELb0ES6_15HIP_vector_typeIjLj2EENS0_17counting_iteratorIjlEEPS9_SG_NS0_5tupleIJPjSI_NS0_16reverse_iteratorISI_EEEEENSH_IJSG_SG_SG_EEES9_SI_JZNS1_25segmented_radix_sort_implINS0_14default_configELb0EPKbPbPKlPlN2at6native12_GLOBAL__N_18offset_tEEE10hipError_tPvRmT1_PNSt15iterator_traitsIS12_E10value_typeET2_T3_PNS13_IS18_E10value_typeET4_jRbjT5_S1E_jjP12ihipStream_tbEUljE_ZNSN_ISO_Lb0ESQ_SR_ST_SU_SY_EESZ_S10_S11_S12_S16_S17_S18_S1B_S1C_jS1D_jS1E_S1E_jjS1G_bEUljE0_EEESZ_S10_S11_S18_S1C_S1E_T6_T7_T9_mT8_S1G_bDpT10_ENKUlT_T0_E_clISt17integral_constantIbLb0EES1U_EEDaS1P_S1Q_EUlS1P_E_NS1_11comp_targetILNS1_3genE10ELNS1_11target_archE1200ELNS1_3gpuE4ELNS1_3repE0EEENS1_30default_config_static_selectorELNS0_4arch9wavefront6targetE0EEEvS12_
		.amdhsa_group_segment_fixed_size 0
		.amdhsa_private_segment_fixed_size 0
		.amdhsa_kernarg_size 176
		.amdhsa_user_sgpr_count 2
		.amdhsa_user_sgpr_dispatch_ptr 0
		.amdhsa_user_sgpr_queue_ptr 0
		.amdhsa_user_sgpr_kernarg_segment_ptr 1
		.amdhsa_user_sgpr_dispatch_id 0
		.amdhsa_user_sgpr_kernarg_preload_length 0
		.amdhsa_user_sgpr_kernarg_preload_offset 0
		.amdhsa_user_sgpr_private_segment_size 0
		.amdhsa_wavefront_size32 1
		.amdhsa_uses_dynamic_stack 0
		.amdhsa_enable_private_segment 0
		.amdhsa_system_sgpr_workgroup_id_x 1
		.amdhsa_system_sgpr_workgroup_id_y 0
		.amdhsa_system_sgpr_workgroup_id_z 0
		.amdhsa_system_sgpr_workgroup_info 0
		.amdhsa_system_vgpr_workitem_id 0
		.amdhsa_next_free_vgpr 1
		.amdhsa_next_free_sgpr 1
		.amdhsa_named_barrier_count 0
		.amdhsa_reserve_vcc 0
		.amdhsa_float_round_mode_32 0
		.amdhsa_float_round_mode_16_64 0
		.amdhsa_float_denorm_mode_32 3
		.amdhsa_float_denorm_mode_16_64 3
		.amdhsa_fp16_overflow 0
		.amdhsa_memory_ordered 1
		.amdhsa_forward_progress 1
		.amdhsa_inst_pref_size 0
		.amdhsa_round_robin_scheduling 0
		.amdhsa_exception_fp_ieee_invalid_op 0
		.amdhsa_exception_fp_denorm_src 0
		.amdhsa_exception_fp_ieee_div_zero 0
		.amdhsa_exception_fp_ieee_overflow 0
		.amdhsa_exception_fp_ieee_underflow 0
		.amdhsa_exception_fp_ieee_inexact 0
		.amdhsa_exception_int_div_zero 0
	.end_amdhsa_kernel
	.section	.text._ZN7rocprim17ROCPRIM_400000_NS6detail17trampoline_kernelINS0_13select_configILj256ELj13ELNS0_17block_load_methodE3ELS4_3ELS4_3ELNS0_20block_scan_algorithmE0ELj4294967295EEENS1_25partition_config_selectorILNS1_17partition_subalgoE4EjNS0_10empty_typeEbEEZZNS1_14partition_implILS8_4ELb0ES6_15HIP_vector_typeIjLj2EENS0_17counting_iteratorIjlEEPS9_SG_NS0_5tupleIJPjSI_NS0_16reverse_iteratorISI_EEEEENSH_IJSG_SG_SG_EEES9_SI_JZNS1_25segmented_radix_sort_implINS0_14default_configELb0EPKbPbPKlPlN2at6native12_GLOBAL__N_18offset_tEEE10hipError_tPvRmT1_PNSt15iterator_traitsIS12_E10value_typeET2_T3_PNS13_IS18_E10value_typeET4_jRbjT5_S1E_jjP12ihipStream_tbEUljE_ZNSN_ISO_Lb0ESQ_SR_ST_SU_SY_EESZ_S10_S11_S12_S16_S17_S18_S1B_S1C_jS1D_jS1E_S1E_jjS1G_bEUljE0_EEESZ_S10_S11_S18_S1C_S1E_T6_T7_T9_mT8_S1G_bDpT10_ENKUlT_T0_E_clISt17integral_constantIbLb0EES1U_EEDaS1P_S1Q_EUlS1P_E_NS1_11comp_targetILNS1_3genE10ELNS1_11target_archE1200ELNS1_3gpuE4ELNS1_3repE0EEENS1_30default_config_static_selectorELNS0_4arch9wavefront6targetE0EEEvS12_,"axG",@progbits,_ZN7rocprim17ROCPRIM_400000_NS6detail17trampoline_kernelINS0_13select_configILj256ELj13ELNS0_17block_load_methodE3ELS4_3ELS4_3ELNS0_20block_scan_algorithmE0ELj4294967295EEENS1_25partition_config_selectorILNS1_17partition_subalgoE4EjNS0_10empty_typeEbEEZZNS1_14partition_implILS8_4ELb0ES6_15HIP_vector_typeIjLj2EENS0_17counting_iteratorIjlEEPS9_SG_NS0_5tupleIJPjSI_NS0_16reverse_iteratorISI_EEEEENSH_IJSG_SG_SG_EEES9_SI_JZNS1_25segmented_radix_sort_implINS0_14default_configELb0EPKbPbPKlPlN2at6native12_GLOBAL__N_18offset_tEEE10hipError_tPvRmT1_PNSt15iterator_traitsIS12_E10value_typeET2_T3_PNS13_IS18_E10value_typeET4_jRbjT5_S1E_jjP12ihipStream_tbEUljE_ZNSN_ISO_Lb0ESQ_SR_ST_SU_SY_EESZ_S10_S11_S12_S16_S17_S18_S1B_S1C_jS1D_jS1E_S1E_jjS1G_bEUljE0_EEESZ_S10_S11_S18_S1C_S1E_T6_T7_T9_mT8_S1G_bDpT10_ENKUlT_T0_E_clISt17integral_constantIbLb0EES1U_EEDaS1P_S1Q_EUlS1P_E_NS1_11comp_targetILNS1_3genE10ELNS1_11target_archE1200ELNS1_3gpuE4ELNS1_3repE0EEENS1_30default_config_static_selectorELNS0_4arch9wavefront6targetE0EEEvS12_,comdat
.Lfunc_end1567:
	.size	_ZN7rocprim17ROCPRIM_400000_NS6detail17trampoline_kernelINS0_13select_configILj256ELj13ELNS0_17block_load_methodE3ELS4_3ELS4_3ELNS0_20block_scan_algorithmE0ELj4294967295EEENS1_25partition_config_selectorILNS1_17partition_subalgoE4EjNS0_10empty_typeEbEEZZNS1_14partition_implILS8_4ELb0ES6_15HIP_vector_typeIjLj2EENS0_17counting_iteratorIjlEEPS9_SG_NS0_5tupleIJPjSI_NS0_16reverse_iteratorISI_EEEEENSH_IJSG_SG_SG_EEES9_SI_JZNS1_25segmented_radix_sort_implINS0_14default_configELb0EPKbPbPKlPlN2at6native12_GLOBAL__N_18offset_tEEE10hipError_tPvRmT1_PNSt15iterator_traitsIS12_E10value_typeET2_T3_PNS13_IS18_E10value_typeET4_jRbjT5_S1E_jjP12ihipStream_tbEUljE_ZNSN_ISO_Lb0ESQ_SR_ST_SU_SY_EESZ_S10_S11_S12_S16_S17_S18_S1B_S1C_jS1D_jS1E_S1E_jjS1G_bEUljE0_EEESZ_S10_S11_S18_S1C_S1E_T6_T7_T9_mT8_S1G_bDpT10_ENKUlT_T0_E_clISt17integral_constantIbLb0EES1U_EEDaS1P_S1Q_EUlS1P_E_NS1_11comp_targetILNS1_3genE10ELNS1_11target_archE1200ELNS1_3gpuE4ELNS1_3repE0EEENS1_30default_config_static_selectorELNS0_4arch9wavefront6targetE0EEEvS12_, .Lfunc_end1567-_ZN7rocprim17ROCPRIM_400000_NS6detail17trampoline_kernelINS0_13select_configILj256ELj13ELNS0_17block_load_methodE3ELS4_3ELS4_3ELNS0_20block_scan_algorithmE0ELj4294967295EEENS1_25partition_config_selectorILNS1_17partition_subalgoE4EjNS0_10empty_typeEbEEZZNS1_14partition_implILS8_4ELb0ES6_15HIP_vector_typeIjLj2EENS0_17counting_iteratorIjlEEPS9_SG_NS0_5tupleIJPjSI_NS0_16reverse_iteratorISI_EEEEENSH_IJSG_SG_SG_EEES9_SI_JZNS1_25segmented_radix_sort_implINS0_14default_configELb0EPKbPbPKlPlN2at6native12_GLOBAL__N_18offset_tEEE10hipError_tPvRmT1_PNSt15iterator_traitsIS12_E10value_typeET2_T3_PNS13_IS18_E10value_typeET4_jRbjT5_S1E_jjP12ihipStream_tbEUljE_ZNSN_ISO_Lb0ESQ_SR_ST_SU_SY_EESZ_S10_S11_S12_S16_S17_S18_S1B_S1C_jS1D_jS1E_S1E_jjS1G_bEUljE0_EEESZ_S10_S11_S18_S1C_S1E_T6_T7_T9_mT8_S1G_bDpT10_ENKUlT_T0_E_clISt17integral_constantIbLb0EES1U_EEDaS1P_S1Q_EUlS1P_E_NS1_11comp_targetILNS1_3genE10ELNS1_11target_archE1200ELNS1_3gpuE4ELNS1_3repE0EEENS1_30default_config_static_selectorELNS0_4arch9wavefront6targetE0EEEvS12_
                                        ; -- End function
	.set _ZN7rocprim17ROCPRIM_400000_NS6detail17trampoline_kernelINS0_13select_configILj256ELj13ELNS0_17block_load_methodE3ELS4_3ELS4_3ELNS0_20block_scan_algorithmE0ELj4294967295EEENS1_25partition_config_selectorILNS1_17partition_subalgoE4EjNS0_10empty_typeEbEEZZNS1_14partition_implILS8_4ELb0ES6_15HIP_vector_typeIjLj2EENS0_17counting_iteratorIjlEEPS9_SG_NS0_5tupleIJPjSI_NS0_16reverse_iteratorISI_EEEEENSH_IJSG_SG_SG_EEES9_SI_JZNS1_25segmented_radix_sort_implINS0_14default_configELb0EPKbPbPKlPlN2at6native12_GLOBAL__N_18offset_tEEE10hipError_tPvRmT1_PNSt15iterator_traitsIS12_E10value_typeET2_T3_PNS13_IS18_E10value_typeET4_jRbjT5_S1E_jjP12ihipStream_tbEUljE_ZNSN_ISO_Lb0ESQ_SR_ST_SU_SY_EESZ_S10_S11_S12_S16_S17_S18_S1B_S1C_jS1D_jS1E_S1E_jjS1G_bEUljE0_EEESZ_S10_S11_S18_S1C_S1E_T6_T7_T9_mT8_S1G_bDpT10_ENKUlT_T0_E_clISt17integral_constantIbLb0EES1U_EEDaS1P_S1Q_EUlS1P_E_NS1_11comp_targetILNS1_3genE10ELNS1_11target_archE1200ELNS1_3gpuE4ELNS1_3repE0EEENS1_30default_config_static_selectorELNS0_4arch9wavefront6targetE0EEEvS12_.num_vgpr, 0
	.set _ZN7rocprim17ROCPRIM_400000_NS6detail17trampoline_kernelINS0_13select_configILj256ELj13ELNS0_17block_load_methodE3ELS4_3ELS4_3ELNS0_20block_scan_algorithmE0ELj4294967295EEENS1_25partition_config_selectorILNS1_17partition_subalgoE4EjNS0_10empty_typeEbEEZZNS1_14partition_implILS8_4ELb0ES6_15HIP_vector_typeIjLj2EENS0_17counting_iteratorIjlEEPS9_SG_NS0_5tupleIJPjSI_NS0_16reverse_iteratorISI_EEEEENSH_IJSG_SG_SG_EEES9_SI_JZNS1_25segmented_radix_sort_implINS0_14default_configELb0EPKbPbPKlPlN2at6native12_GLOBAL__N_18offset_tEEE10hipError_tPvRmT1_PNSt15iterator_traitsIS12_E10value_typeET2_T3_PNS13_IS18_E10value_typeET4_jRbjT5_S1E_jjP12ihipStream_tbEUljE_ZNSN_ISO_Lb0ESQ_SR_ST_SU_SY_EESZ_S10_S11_S12_S16_S17_S18_S1B_S1C_jS1D_jS1E_S1E_jjS1G_bEUljE0_EEESZ_S10_S11_S18_S1C_S1E_T6_T7_T9_mT8_S1G_bDpT10_ENKUlT_T0_E_clISt17integral_constantIbLb0EES1U_EEDaS1P_S1Q_EUlS1P_E_NS1_11comp_targetILNS1_3genE10ELNS1_11target_archE1200ELNS1_3gpuE4ELNS1_3repE0EEENS1_30default_config_static_selectorELNS0_4arch9wavefront6targetE0EEEvS12_.num_agpr, 0
	.set _ZN7rocprim17ROCPRIM_400000_NS6detail17trampoline_kernelINS0_13select_configILj256ELj13ELNS0_17block_load_methodE3ELS4_3ELS4_3ELNS0_20block_scan_algorithmE0ELj4294967295EEENS1_25partition_config_selectorILNS1_17partition_subalgoE4EjNS0_10empty_typeEbEEZZNS1_14partition_implILS8_4ELb0ES6_15HIP_vector_typeIjLj2EENS0_17counting_iteratorIjlEEPS9_SG_NS0_5tupleIJPjSI_NS0_16reverse_iteratorISI_EEEEENSH_IJSG_SG_SG_EEES9_SI_JZNS1_25segmented_radix_sort_implINS0_14default_configELb0EPKbPbPKlPlN2at6native12_GLOBAL__N_18offset_tEEE10hipError_tPvRmT1_PNSt15iterator_traitsIS12_E10value_typeET2_T3_PNS13_IS18_E10value_typeET4_jRbjT5_S1E_jjP12ihipStream_tbEUljE_ZNSN_ISO_Lb0ESQ_SR_ST_SU_SY_EESZ_S10_S11_S12_S16_S17_S18_S1B_S1C_jS1D_jS1E_S1E_jjS1G_bEUljE0_EEESZ_S10_S11_S18_S1C_S1E_T6_T7_T9_mT8_S1G_bDpT10_ENKUlT_T0_E_clISt17integral_constantIbLb0EES1U_EEDaS1P_S1Q_EUlS1P_E_NS1_11comp_targetILNS1_3genE10ELNS1_11target_archE1200ELNS1_3gpuE4ELNS1_3repE0EEENS1_30default_config_static_selectorELNS0_4arch9wavefront6targetE0EEEvS12_.numbered_sgpr, 0
	.set _ZN7rocprim17ROCPRIM_400000_NS6detail17trampoline_kernelINS0_13select_configILj256ELj13ELNS0_17block_load_methodE3ELS4_3ELS4_3ELNS0_20block_scan_algorithmE0ELj4294967295EEENS1_25partition_config_selectorILNS1_17partition_subalgoE4EjNS0_10empty_typeEbEEZZNS1_14partition_implILS8_4ELb0ES6_15HIP_vector_typeIjLj2EENS0_17counting_iteratorIjlEEPS9_SG_NS0_5tupleIJPjSI_NS0_16reverse_iteratorISI_EEEEENSH_IJSG_SG_SG_EEES9_SI_JZNS1_25segmented_radix_sort_implINS0_14default_configELb0EPKbPbPKlPlN2at6native12_GLOBAL__N_18offset_tEEE10hipError_tPvRmT1_PNSt15iterator_traitsIS12_E10value_typeET2_T3_PNS13_IS18_E10value_typeET4_jRbjT5_S1E_jjP12ihipStream_tbEUljE_ZNSN_ISO_Lb0ESQ_SR_ST_SU_SY_EESZ_S10_S11_S12_S16_S17_S18_S1B_S1C_jS1D_jS1E_S1E_jjS1G_bEUljE0_EEESZ_S10_S11_S18_S1C_S1E_T6_T7_T9_mT8_S1G_bDpT10_ENKUlT_T0_E_clISt17integral_constantIbLb0EES1U_EEDaS1P_S1Q_EUlS1P_E_NS1_11comp_targetILNS1_3genE10ELNS1_11target_archE1200ELNS1_3gpuE4ELNS1_3repE0EEENS1_30default_config_static_selectorELNS0_4arch9wavefront6targetE0EEEvS12_.num_named_barrier, 0
	.set _ZN7rocprim17ROCPRIM_400000_NS6detail17trampoline_kernelINS0_13select_configILj256ELj13ELNS0_17block_load_methodE3ELS4_3ELS4_3ELNS0_20block_scan_algorithmE0ELj4294967295EEENS1_25partition_config_selectorILNS1_17partition_subalgoE4EjNS0_10empty_typeEbEEZZNS1_14partition_implILS8_4ELb0ES6_15HIP_vector_typeIjLj2EENS0_17counting_iteratorIjlEEPS9_SG_NS0_5tupleIJPjSI_NS0_16reverse_iteratorISI_EEEEENSH_IJSG_SG_SG_EEES9_SI_JZNS1_25segmented_radix_sort_implINS0_14default_configELb0EPKbPbPKlPlN2at6native12_GLOBAL__N_18offset_tEEE10hipError_tPvRmT1_PNSt15iterator_traitsIS12_E10value_typeET2_T3_PNS13_IS18_E10value_typeET4_jRbjT5_S1E_jjP12ihipStream_tbEUljE_ZNSN_ISO_Lb0ESQ_SR_ST_SU_SY_EESZ_S10_S11_S12_S16_S17_S18_S1B_S1C_jS1D_jS1E_S1E_jjS1G_bEUljE0_EEESZ_S10_S11_S18_S1C_S1E_T6_T7_T9_mT8_S1G_bDpT10_ENKUlT_T0_E_clISt17integral_constantIbLb0EES1U_EEDaS1P_S1Q_EUlS1P_E_NS1_11comp_targetILNS1_3genE10ELNS1_11target_archE1200ELNS1_3gpuE4ELNS1_3repE0EEENS1_30default_config_static_selectorELNS0_4arch9wavefront6targetE0EEEvS12_.private_seg_size, 0
	.set _ZN7rocprim17ROCPRIM_400000_NS6detail17trampoline_kernelINS0_13select_configILj256ELj13ELNS0_17block_load_methodE3ELS4_3ELS4_3ELNS0_20block_scan_algorithmE0ELj4294967295EEENS1_25partition_config_selectorILNS1_17partition_subalgoE4EjNS0_10empty_typeEbEEZZNS1_14partition_implILS8_4ELb0ES6_15HIP_vector_typeIjLj2EENS0_17counting_iteratorIjlEEPS9_SG_NS0_5tupleIJPjSI_NS0_16reverse_iteratorISI_EEEEENSH_IJSG_SG_SG_EEES9_SI_JZNS1_25segmented_radix_sort_implINS0_14default_configELb0EPKbPbPKlPlN2at6native12_GLOBAL__N_18offset_tEEE10hipError_tPvRmT1_PNSt15iterator_traitsIS12_E10value_typeET2_T3_PNS13_IS18_E10value_typeET4_jRbjT5_S1E_jjP12ihipStream_tbEUljE_ZNSN_ISO_Lb0ESQ_SR_ST_SU_SY_EESZ_S10_S11_S12_S16_S17_S18_S1B_S1C_jS1D_jS1E_S1E_jjS1G_bEUljE0_EEESZ_S10_S11_S18_S1C_S1E_T6_T7_T9_mT8_S1G_bDpT10_ENKUlT_T0_E_clISt17integral_constantIbLb0EES1U_EEDaS1P_S1Q_EUlS1P_E_NS1_11comp_targetILNS1_3genE10ELNS1_11target_archE1200ELNS1_3gpuE4ELNS1_3repE0EEENS1_30default_config_static_selectorELNS0_4arch9wavefront6targetE0EEEvS12_.uses_vcc, 0
	.set _ZN7rocprim17ROCPRIM_400000_NS6detail17trampoline_kernelINS0_13select_configILj256ELj13ELNS0_17block_load_methodE3ELS4_3ELS4_3ELNS0_20block_scan_algorithmE0ELj4294967295EEENS1_25partition_config_selectorILNS1_17partition_subalgoE4EjNS0_10empty_typeEbEEZZNS1_14partition_implILS8_4ELb0ES6_15HIP_vector_typeIjLj2EENS0_17counting_iteratorIjlEEPS9_SG_NS0_5tupleIJPjSI_NS0_16reverse_iteratorISI_EEEEENSH_IJSG_SG_SG_EEES9_SI_JZNS1_25segmented_radix_sort_implINS0_14default_configELb0EPKbPbPKlPlN2at6native12_GLOBAL__N_18offset_tEEE10hipError_tPvRmT1_PNSt15iterator_traitsIS12_E10value_typeET2_T3_PNS13_IS18_E10value_typeET4_jRbjT5_S1E_jjP12ihipStream_tbEUljE_ZNSN_ISO_Lb0ESQ_SR_ST_SU_SY_EESZ_S10_S11_S12_S16_S17_S18_S1B_S1C_jS1D_jS1E_S1E_jjS1G_bEUljE0_EEESZ_S10_S11_S18_S1C_S1E_T6_T7_T9_mT8_S1G_bDpT10_ENKUlT_T0_E_clISt17integral_constantIbLb0EES1U_EEDaS1P_S1Q_EUlS1P_E_NS1_11comp_targetILNS1_3genE10ELNS1_11target_archE1200ELNS1_3gpuE4ELNS1_3repE0EEENS1_30default_config_static_selectorELNS0_4arch9wavefront6targetE0EEEvS12_.uses_flat_scratch, 0
	.set _ZN7rocprim17ROCPRIM_400000_NS6detail17trampoline_kernelINS0_13select_configILj256ELj13ELNS0_17block_load_methodE3ELS4_3ELS4_3ELNS0_20block_scan_algorithmE0ELj4294967295EEENS1_25partition_config_selectorILNS1_17partition_subalgoE4EjNS0_10empty_typeEbEEZZNS1_14partition_implILS8_4ELb0ES6_15HIP_vector_typeIjLj2EENS0_17counting_iteratorIjlEEPS9_SG_NS0_5tupleIJPjSI_NS0_16reverse_iteratorISI_EEEEENSH_IJSG_SG_SG_EEES9_SI_JZNS1_25segmented_radix_sort_implINS0_14default_configELb0EPKbPbPKlPlN2at6native12_GLOBAL__N_18offset_tEEE10hipError_tPvRmT1_PNSt15iterator_traitsIS12_E10value_typeET2_T3_PNS13_IS18_E10value_typeET4_jRbjT5_S1E_jjP12ihipStream_tbEUljE_ZNSN_ISO_Lb0ESQ_SR_ST_SU_SY_EESZ_S10_S11_S12_S16_S17_S18_S1B_S1C_jS1D_jS1E_S1E_jjS1G_bEUljE0_EEESZ_S10_S11_S18_S1C_S1E_T6_T7_T9_mT8_S1G_bDpT10_ENKUlT_T0_E_clISt17integral_constantIbLb0EES1U_EEDaS1P_S1Q_EUlS1P_E_NS1_11comp_targetILNS1_3genE10ELNS1_11target_archE1200ELNS1_3gpuE4ELNS1_3repE0EEENS1_30default_config_static_selectorELNS0_4arch9wavefront6targetE0EEEvS12_.has_dyn_sized_stack, 0
	.set _ZN7rocprim17ROCPRIM_400000_NS6detail17trampoline_kernelINS0_13select_configILj256ELj13ELNS0_17block_load_methodE3ELS4_3ELS4_3ELNS0_20block_scan_algorithmE0ELj4294967295EEENS1_25partition_config_selectorILNS1_17partition_subalgoE4EjNS0_10empty_typeEbEEZZNS1_14partition_implILS8_4ELb0ES6_15HIP_vector_typeIjLj2EENS0_17counting_iteratorIjlEEPS9_SG_NS0_5tupleIJPjSI_NS0_16reverse_iteratorISI_EEEEENSH_IJSG_SG_SG_EEES9_SI_JZNS1_25segmented_radix_sort_implINS0_14default_configELb0EPKbPbPKlPlN2at6native12_GLOBAL__N_18offset_tEEE10hipError_tPvRmT1_PNSt15iterator_traitsIS12_E10value_typeET2_T3_PNS13_IS18_E10value_typeET4_jRbjT5_S1E_jjP12ihipStream_tbEUljE_ZNSN_ISO_Lb0ESQ_SR_ST_SU_SY_EESZ_S10_S11_S12_S16_S17_S18_S1B_S1C_jS1D_jS1E_S1E_jjS1G_bEUljE0_EEESZ_S10_S11_S18_S1C_S1E_T6_T7_T9_mT8_S1G_bDpT10_ENKUlT_T0_E_clISt17integral_constantIbLb0EES1U_EEDaS1P_S1Q_EUlS1P_E_NS1_11comp_targetILNS1_3genE10ELNS1_11target_archE1200ELNS1_3gpuE4ELNS1_3repE0EEENS1_30default_config_static_selectorELNS0_4arch9wavefront6targetE0EEEvS12_.has_recursion, 0
	.set _ZN7rocprim17ROCPRIM_400000_NS6detail17trampoline_kernelINS0_13select_configILj256ELj13ELNS0_17block_load_methodE3ELS4_3ELS4_3ELNS0_20block_scan_algorithmE0ELj4294967295EEENS1_25partition_config_selectorILNS1_17partition_subalgoE4EjNS0_10empty_typeEbEEZZNS1_14partition_implILS8_4ELb0ES6_15HIP_vector_typeIjLj2EENS0_17counting_iteratorIjlEEPS9_SG_NS0_5tupleIJPjSI_NS0_16reverse_iteratorISI_EEEEENSH_IJSG_SG_SG_EEES9_SI_JZNS1_25segmented_radix_sort_implINS0_14default_configELb0EPKbPbPKlPlN2at6native12_GLOBAL__N_18offset_tEEE10hipError_tPvRmT1_PNSt15iterator_traitsIS12_E10value_typeET2_T3_PNS13_IS18_E10value_typeET4_jRbjT5_S1E_jjP12ihipStream_tbEUljE_ZNSN_ISO_Lb0ESQ_SR_ST_SU_SY_EESZ_S10_S11_S12_S16_S17_S18_S1B_S1C_jS1D_jS1E_S1E_jjS1G_bEUljE0_EEESZ_S10_S11_S18_S1C_S1E_T6_T7_T9_mT8_S1G_bDpT10_ENKUlT_T0_E_clISt17integral_constantIbLb0EES1U_EEDaS1P_S1Q_EUlS1P_E_NS1_11comp_targetILNS1_3genE10ELNS1_11target_archE1200ELNS1_3gpuE4ELNS1_3repE0EEENS1_30default_config_static_selectorELNS0_4arch9wavefront6targetE0EEEvS12_.has_indirect_call, 0
	.section	.AMDGPU.csdata,"",@progbits
; Kernel info:
; codeLenInByte = 0
; TotalNumSgprs: 0
; NumVgprs: 0
; ScratchSize: 0
; MemoryBound: 0
; FloatMode: 240
; IeeeMode: 1
; LDSByteSize: 0 bytes/workgroup (compile time only)
; SGPRBlocks: 0
; VGPRBlocks: 0
; NumSGPRsForWavesPerEU: 1
; NumVGPRsForWavesPerEU: 1
; NamedBarCnt: 0
; Occupancy: 16
; WaveLimiterHint : 0
; COMPUTE_PGM_RSRC2:SCRATCH_EN: 0
; COMPUTE_PGM_RSRC2:USER_SGPR: 2
; COMPUTE_PGM_RSRC2:TRAP_HANDLER: 0
; COMPUTE_PGM_RSRC2:TGID_X_EN: 1
; COMPUTE_PGM_RSRC2:TGID_Y_EN: 0
; COMPUTE_PGM_RSRC2:TGID_Z_EN: 0
; COMPUTE_PGM_RSRC2:TIDIG_COMP_CNT: 0
	.section	.text._ZN7rocprim17ROCPRIM_400000_NS6detail17trampoline_kernelINS0_13select_configILj256ELj13ELNS0_17block_load_methodE3ELS4_3ELS4_3ELNS0_20block_scan_algorithmE0ELj4294967295EEENS1_25partition_config_selectorILNS1_17partition_subalgoE4EjNS0_10empty_typeEbEEZZNS1_14partition_implILS8_4ELb0ES6_15HIP_vector_typeIjLj2EENS0_17counting_iteratorIjlEEPS9_SG_NS0_5tupleIJPjSI_NS0_16reverse_iteratorISI_EEEEENSH_IJSG_SG_SG_EEES9_SI_JZNS1_25segmented_radix_sort_implINS0_14default_configELb0EPKbPbPKlPlN2at6native12_GLOBAL__N_18offset_tEEE10hipError_tPvRmT1_PNSt15iterator_traitsIS12_E10value_typeET2_T3_PNS13_IS18_E10value_typeET4_jRbjT5_S1E_jjP12ihipStream_tbEUljE_ZNSN_ISO_Lb0ESQ_SR_ST_SU_SY_EESZ_S10_S11_S12_S16_S17_S18_S1B_S1C_jS1D_jS1E_S1E_jjS1G_bEUljE0_EEESZ_S10_S11_S18_S1C_S1E_T6_T7_T9_mT8_S1G_bDpT10_ENKUlT_T0_E_clISt17integral_constantIbLb0EES1U_EEDaS1P_S1Q_EUlS1P_E_NS1_11comp_targetILNS1_3genE9ELNS1_11target_archE1100ELNS1_3gpuE3ELNS1_3repE0EEENS1_30default_config_static_selectorELNS0_4arch9wavefront6targetE0EEEvS12_,"axG",@progbits,_ZN7rocprim17ROCPRIM_400000_NS6detail17trampoline_kernelINS0_13select_configILj256ELj13ELNS0_17block_load_methodE3ELS4_3ELS4_3ELNS0_20block_scan_algorithmE0ELj4294967295EEENS1_25partition_config_selectorILNS1_17partition_subalgoE4EjNS0_10empty_typeEbEEZZNS1_14partition_implILS8_4ELb0ES6_15HIP_vector_typeIjLj2EENS0_17counting_iteratorIjlEEPS9_SG_NS0_5tupleIJPjSI_NS0_16reverse_iteratorISI_EEEEENSH_IJSG_SG_SG_EEES9_SI_JZNS1_25segmented_radix_sort_implINS0_14default_configELb0EPKbPbPKlPlN2at6native12_GLOBAL__N_18offset_tEEE10hipError_tPvRmT1_PNSt15iterator_traitsIS12_E10value_typeET2_T3_PNS13_IS18_E10value_typeET4_jRbjT5_S1E_jjP12ihipStream_tbEUljE_ZNSN_ISO_Lb0ESQ_SR_ST_SU_SY_EESZ_S10_S11_S12_S16_S17_S18_S1B_S1C_jS1D_jS1E_S1E_jjS1G_bEUljE0_EEESZ_S10_S11_S18_S1C_S1E_T6_T7_T9_mT8_S1G_bDpT10_ENKUlT_T0_E_clISt17integral_constantIbLb0EES1U_EEDaS1P_S1Q_EUlS1P_E_NS1_11comp_targetILNS1_3genE9ELNS1_11target_archE1100ELNS1_3gpuE3ELNS1_3repE0EEENS1_30default_config_static_selectorELNS0_4arch9wavefront6targetE0EEEvS12_,comdat
	.globl	_ZN7rocprim17ROCPRIM_400000_NS6detail17trampoline_kernelINS0_13select_configILj256ELj13ELNS0_17block_load_methodE3ELS4_3ELS4_3ELNS0_20block_scan_algorithmE0ELj4294967295EEENS1_25partition_config_selectorILNS1_17partition_subalgoE4EjNS0_10empty_typeEbEEZZNS1_14partition_implILS8_4ELb0ES6_15HIP_vector_typeIjLj2EENS0_17counting_iteratorIjlEEPS9_SG_NS0_5tupleIJPjSI_NS0_16reverse_iteratorISI_EEEEENSH_IJSG_SG_SG_EEES9_SI_JZNS1_25segmented_radix_sort_implINS0_14default_configELb0EPKbPbPKlPlN2at6native12_GLOBAL__N_18offset_tEEE10hipError_tPvRmT1_PNSt15iterator_traitsIS12_E10value_typeET2_T3_PNS13_IS18_E10value_typeET4_jRbjT5_S1E_jjP12ihipStream_tbEUljE_ZNSN_ISO_Lb0ESQ_SR_ST_SU_SY_EESZ_S10_S11_S12_S16_S17_S18_S1B_S1C_jS1D_jS1E_S1E_jjS1G_bEUljE0_EEESZ_S10_S11_S18_S1C_S1E_T6_T7_T9_mT8_S1G_bDpT10_ENKUlT_T0_E_clISt17integral_constantIbLb0EES1U_EEDaS1P_S1Q_EUlS1P_E_NS1_11comp_targetILNS1_3genE9ELNS1_11target_archE1100ELNS1_3gpuE3ELNS1_3repE0EEENS1_30default_config_static_selectorELNS0_4arch9wavefront6targetE0EEEvS12_ ; -- Begin function _ZN7rocprim17ROCPRIM_400000_NS6detail17trampoline_kernelINS0_13select_configILj256ELj13ELNS0_17block_load_methodE3ELS4_3ELS4_3ELNS0_20block_scan_algorithmE0ELj4294967295EEENS1_25partition_config_selectorILNS1_17partition_subalgoE4EjNS0_10empty_typeEbEEZZNS1_14partition_implILS8_4ELb0ES6_15HIP_vector_typeIjLj2EENS0_17counting_iteratorIjlEEPS9_SG_NS0_5tupleIJPjSI_NS0_16reverse_iteratorISI_EEEEENSH_IJSG_SG_SG_EEES9_SI_JZNS1_25segmented_radix_sort_implINS0_14default_configELb0EPKbPbPKlPlN2at6native12_GLOBAL__N_18offset_tEEE10hipError_tPvRmT1_PNSt15iterator_traitsIS12_E10value_typeET2_T3_PNS13_IS18_E10value_typeET4_jRbjT5_S1E_jjP12ihipStream_tbEUljE_ZNSN_ISO_Lb0ESQ_SR_ST_SU_SY_EESZ_S10_S11_S12_S16_S17_S18_S1B_S1C_jS1D_jS1E_S1E_jjS1G_bEUljE0_EEESZ_S10_S11_S18_S1C_S1E_T6_T7_T9_mT8_S1G_bDpT10_ENKUlT_T0_E_clISt17integral_constantIbLb0EES1U_EEDaS1P_S1Q_EUlS1P_E_NS1_11comp_targetILNS1_3genE9ELNS1_11target_archE1100ELNS1_3gpuE3ELNS1_3repE0EEENS1_30default_config_static_selectorELNS0_4arch9wavefront6targetE0EEEvS12_
	.p2align	8
	.type	_ZN7rocprim17ROCPRIM_400000_NS6detail17trampoline_kernelINS0_13select_configILj256ELj13ELNS0_17block_load_methodE3ELS4_3ELS4_3ELNS0_20block_scan_algorithmE0ELj4294967295EEENS1_25partition_config_selectorILNS1_17partition_subalgoE4EjNS0_10empty_typeEbEEZZNS1_14partition_implILS8_4ELb0ES6_15HIP_vector_typeIjLj2EENS0_17counting_iteratorIjlEEPS9_SG_NS0_5tupleIJPjSI_NS0_16reverse_iteratorISI_EEEEENSH_IJSG_SG_SG_EEES9_SI_JZNS1_25segmented_radix_sort_implINS0_14default_configELb0EPKbPbPKlPlN2at6native12_GLOBAL__N_18offset_tEEE10hipError_tPvRmT1_PNSt15iterator_traitsIS12_E10value_typeET2_T3_PNS13_IS18_E10value_typeET4_jRbjT5_S1E_jjP12ihipStream_tbEUljE_ZNSN_ISO_Lb0ESQ_SR_ST_SU_SY_EESZ_S10_S11_S12_S16_S17_S18_S1B_S1C_jS1D_jS1E_S1E_jjS1G_bEUljE0_EEESZ_S10_S11_S18_S1C_S1E_T6_T7_T9_mT8_S1G_bDpT10_ENKUlT_T0_E_clISt17integral_constantIbLb0EES1U_EEDaS1P_S1Q_EUlS1P_E_NS1_11comp_targetILNS1_3genE9ELNS1_11target_archE1100ELNS1_3gpuE3ELNS1_3repE0EEENS1_30default_config_static_selectorELNS0_4arch9wavefront6targetE0EEEvS12_,@function
_ZN7rocprim17ROCPRIM_400000_NS6detail17trampoline_kernelINS0_13select_configILj256ELj13ELNS0_17block_load_methodE3ELS4_3ELS4_3ELNS0_20block_scan_algorithmE0ELj4294967295EEENS1_25partition_config_selectorILNS1_17partition_subalgoE4EjNS0_10empty_typeEbEEZZNS1_14partition_implILS8_4ELb0ES6_15HIP_vector_typeIjLj2EENS0_17counting_iteratorIjlEEPS9_SG_NS0_5tupleIJPjSI_NS0_16reverse_iteratorISI_EEEEENSH_IJSG_SG_SG_EEES9_SI_JZNS1_25segmented_radix_sort_implINS0_14default_configELb0EPKbPbPKlPlN2at6native12_GLOBAL__N_18offset_tEEE10hipError_tPvRmT1_PNSt15iterator_traitsIS12_E10value_typeET2_T3_PNS13_IS18_E10value_typeET4_jRbjT5_S1E_jjP12ihipStream_tbEUljE_ZNSN_ISO_Lb0ESQ_SR_ST_SU_SY_EESZ_S10_S11_S12_S16_S17_S18_S1B_S1C_jS1D_jS1E_S1E_jjS1G_bEUljE0_EEESZ_S10_S11_S18_S1C_S1E_T6_T7_T9_mT8_S1G_bDpT10_ENKUlT_T0_E_clISt17integral_constantIbLb0EES1U_EEDaS1P_S1Q_EUlS1P_E_NS1_11comp_targetILNS1_3genE9ELNS1_11target_archE1100ELNS1_3gpuE3ELNS1_3repE0EEENS1_30default_config_static_selectorELNS0_4arch9wavefront6targetE0EEEvS12_: ; @_ZN7rocprim17ROCPRIM_400000_NS6detail17trampoline_kernelINS0_13select_configILj256ELj13ELNS0_17block_load_methodE3ELS4_3ELS4_3ELNS0_20block_scan_algorithmE0ELj4294967295EEENS1_25partition_config_selectorILNS1_17partition_subalgoE4EjNS0_10empty_typeEbEEZZNS1_14partition_implILS8_4ELb0ES6_15HIP_vector_typeIjLj2EENS0_17counting_iteratorIjlEEPS9_SG_NS0_5tupleIJPjSI_NS0_16reverse_iteratorISI_EEEEENSH_IJSG_SG_SG_EEES9_SI_JZNS1_25segmented_radix_sort_implINS0_14default_configELb0EPKbPbPKlPlN2at6native12_GLOBAL__N_18offset_tEEE10hipError_tPvRmT1_PNSt15iterator_traitsIS12_E10value_typeET2_T3_PNS13_IS18_E10value_typeET4_jRbjT5_S1E_jjP12ihipStream_tbEUljE_ZNSN_ISO_Lb0ESQ_SR_ST_SU_SY_EESZ_S10_S11_S12_S16_S17_S18_S1B_S1C_jS1D_jS1E_S1E_jjS1G_bEUljE0_EEESZ_S10_S11_S18_S1C_S1E_T6_T7_T9_mT8_S1G_bDpT10_ENKUlT_T0_E_clISt17integral_constantIbLb0EES1U_EEDaS1P_S1Q_EUlS1P_E_NS1_11comp_targetILNS1_3genE9ELNS1_11target_archE1100ELNS1_3gpuE3ELNS1_3repE0EEENS1_30default_config_static_selectorELNS0_4arch9wavefront6targetE0EEEvS12_
; %bb.0:
	.section	.rodata,"a",@progbits
	.p2align	6, 0x0
	.amdhsa_kernel _ZN7rocprim17ROCPRIM_400000_NS6detail17trampoline_kernelINS0_13select_configILj256ELj13ELNS0_17block_load_methodE3ELS4_3ELS4_3ELNS0_20block_scan_algorithmE0ELj4294967295EEENS1_25partition_config_selectorILNS1_17partition_subalgoE4EjNS0_10empty_typeEbEEZZNS1_14partition_implILS8_4ELb0ES6_15HIP_vector_typeIjLj2EENS0_17counting_iteratorIjlEEPS9_SG_NS0_5tupleIJPjSI_NS0_16reverse_iteratorISI_EEEEENSH_IJSG_SG_SG_EEES9_SI_JZNS1_25segmented_radix_sort_implINS0_14default_configELb0EPKbPbPKlPlN2at6native12_GLOBAL__N_18offset_tEEE10hipError_tPvRmT1_PNSt15iterator_traitsIS12_E10value_typeET2_T3_PNS13_IS18_E10value_typeET4_jRbjT5_S1E_jjP12ihipStream_tbEUljE_ZNSN_ISO_Lb0ESQ_SR_ST_SU_SY_EESZ_S10_S11_S12_S16_S17_S18_S1B_S1C_jS1D_jS1E_S1E_jjS1G_bEUljE0_EEESZ_S10_S11_S18_S1C_S1E_T6_T7_T9_mT8_S1G_bDpT10_ENKUlT_T0_E_clISt17integral_constantIbLb0EES1U_EEDaS1P_S1Q_EUlS1P_E_NS1_11comp_targetILNS1_3genE9ELNS1_11target_archE1100ELNS1_3gpuE3ELNS1_3repE0EEENS1_30default_config_static_selectorELNS0_4arch9wavefront6targetE0EEEvS12_
		.amdhsa_group_segment_fixed_size 0
		.amdhsa_private_segment_fixed_size 0
		.amdhsa_kernarg_size 176
		.amdhsa_user_sgpr_count 2
		.amdhsa_user_sgpr_dispatch_ptr 0
		.amdhsa_user_sgpr_queue_ptr 0
		.amdhsa_user_sgpr_kernarg_segment_ptr 1
		.amdhsa_user_sgpr_dispatch_id 0
		.amdhsa_user_sgpr_kernarg_preload_length 0
		.amdhsa_user_sgpr_kernarg_preload_offset 0
		.amdhsa_user_sgpr_private_segment_size 0
		.amdhsa_wavefront_size32 1
		.amdhsa_uses_dynamic_stack 0
		.amdhsa_enable_private_segment 0
		.amdhsa_system_sgpr_workgroup_id_x 1
		.amdhsa_system_sgpr_workgroup_id_y 0
		.amdhsa_system_sgpr_workgroup_id_z 0
		.amdhsa_system_sgpr_workgroup_info 0
		.amdhsa_system_vgpr_workitem_id 0
		.amdhsa_next_free_vgpr 1
		.amdhsa_next_free_sgpr 1
		.amdhsa_named_barrier_count 0
		.amdhsa_reserve_vcc 0
		.amdhsa_float_round_mode_32 0
		.amdhsa_float_round_mode_16_64 0
		.amdhsa_float_denorm_mode_32 3
		.amdhsa_float_denorm_mode_16_64 3
		.amdhsa_fp16_overflow 0
		.amdhsa_memory_ordered 1
		.amdhsa_forward_progress 1
		.amdhsa_inst_pref_size 0
		.amdhsa_round_robin_scheduling 0
		.amdhsa_exception_fp_ieee_invalid_op 0
		.amdhsa_exception_fp_denorm_src 0
		.amdhsa_exception_fp_ieee_div_zero 0
		.amdhsa_exception_fp_ieee_overflow 0
		.amdhsa_exception_fp_ieee_underflow 0
		.amdhsa_exception_fp_ieee_inexact 0
		.amdhsa_exception_int_div_zero 0
	.end_amdhsa_kernel
	.section	.text._ZN7rocprim17ROCPRIM_400000_NS6detail17trampoline_kernelINS0_13select_configILj256ELj13ELNS0_17block_load_methodE3ELS4_3ELS4_3ELNS0_20block_scan_algorithmE0ELj4294967295EEENS1_25partition_config_selectorILNS1_17partition_subalgoE4EjNS0_10empty_typeEbEEZZNS1_14partition_implILS8_4ELb0ES6_15HIP_vector_typeIjLj2EENS0_17counting_iteratorIjlEEPS9_SG_NS0_5tupleIJPjSI_NS0_16reverse_iteratorISI_EEEEENSH_IJSG_SG_SG_EEES9_SI_JZNS1_25segmented_radix_sort_implINS0_14default_configELb0EPKbPbPKlPlN2at6native12_GLOBAL__N_18offset_tEEE10hipError_tPvRmT1_PNSt15iterator_traitsIS12_E10value_typeET2_T3_PNS13_IS18_E10value_typeET4_jRbjT5_S1E_jjP12ihipStream_tbEUljE_ZNSN_ISO_Lb0ESQ_SR_ST_SU_SY_EESZ_S10_S11_S12_S16_S17_S18_S1B_S1C_jS1D_jS1E_S1E_jjS1G_bEUljE0_EEESZ_S10_S11_S18_S1C_S1E_T6_T7_T9_mT8_S1G_bDpT10_ENKUlT_T0_E_clISt17integral_constantIbLb0EES1U_EEDaS1P_S1Q_EUlS1P_E_NS1_11comp_targetILNS1_3genE9ELNS1_11target_archE1100ELNS1_3gpuE3ELNS1_3repE0EEENS1_30default_config_static_selectorELNS0_4arch9wavefront6targetE0EEEvS12_,"axG",@progbits,_ZN7rocprim17ROCPRIM_400000_NS6detail17trampoline_kernelINS0_13select_configILj256ELj13ELNS0_17block_load_methodE3ELS4_3ELS4_3ELNS0_20block_scan_algorithmE0ELj4294967295EEENS1_25partition_config_selectorILNS1_17partition_subalgoE4EjNS0_10empty_typeEbEEZZNS1_14partition_implILS8_4ELb0ES6_15HIP_vector_typeIjLj2EENS0_17counting_iteratorIjlEEPS9_SG_NS0_5tupleIJPjSI_NS0_16reverse_iteratorISI_EEEEENSH_IJSG_SG_SG_EEES9_SI_JZNS1_25segmented_radix_sort_implINS0_14default_configELb0EPKbPbPKlPlN2at6native12_GLOBAL__N_18offset_tEEE10hipError_tPvRmT1_PNSt15iterator_traitsIS12_E10value_typeET2_T3_PNS13_IS18_E10value_typeET4_jRbjT5_S1E_jjP12ihipStream_tbEUljE_ZNSN_ISO_Lb0ESQ_SR_ST_SU_SY_EESZ_S10_S11_S12_S16_S17_S18_S1B_S1C_jS1D_jS1E_S1E_jjS1G_bEUljE0_EEESZ_S10_S11_S18_S1C_S1E_T6_T7_T9_mT8_S1G_bDpT10_ENKUlT_T0_E_clISt17integral_constantIbLb0EES1U_EEDaS1P_S1Q_EUlS1P_E_NS1_11comp_targetILNS1_3genE9ELNS1_11target_archE1100ELNS1_3gpuE3ELNS1_3repE0EEENS1_30default_config_static_selectorELNS0_4arch9wavefront6targetE0EEEvS12_,comdat
.Lfunc_end1568:
	.size	_ZN7rocprim17ROCPRIM_400000_NS6detail17trampoline_kernelINS0_13select_configILj256ELj13ELNS0_17block_load_methodE3ELS4_3ELS4_3ELNS0_20block_scan_algorithmE0ELj4294967295EEENS1_25partition_config_selectorILNS1_17partition_subalgoE4EjNS0_10empty_typeEbEEZZNS1_14partition_implILS8_4ELb0ES6_15HIP_vector_typeIjLj2EENS0_17counting_iteratorIjlEEPS9_SG_NS0_5tupleIJPjSI_NS0_16reverse_iteratorISI_EEEEENSH_IJSG_SG_SG_EEES9_SI_JZNS1_25segmented_radix_sort_implINS0_14default_configELb0EPKbPbPKlPlN2at6native12_GLOBAL__N_18offset_tEEE10hipError_tPvRmT1_PNSt15iterator_traitsIS12_E10value_typeET2_T3_PNS13_IS18_E10value_typeET4_jRbjT5_S1E_jjP12ihipStream_tbEUljE_ZNSN_ISO_Lb0ESQ_SR_ST_SU_SY_EESZ_S10_S11_S12_S16_S17_S18_S1B_S1C_jS1D_jS1E_S1E_jjS1G_bEUljE0_EEESZ_S10_S11_S18_S1C_S1E_T6_T7_T9_mT8_S1G_bDpT10_ENKUlT_T0_E_clISt17integral_constantIbLb0EES1U_EEDaS1P_S1Q_EUlS1P_E_NS1_11comp_targetILNS1_3genE9ELNS1_11target_archE1100ELNS1_3gpuE3ELNS1_3repE0EEENS1_30default_config_static_selectorELNS0_4arch9wavefront6targetE0EEEvS12_, .Lfunc_end1568-_ZN7rocprim17ROCPRIM_400000_NS6detail17trampoline_kernelINS0_13select_configILj256ELj13ELNS0_17block_load_methodE3ELS4_3ELS4_3ELNS0_20block_scan_algorithmE0ELj4294967295EEENS1_25partition_config_selectorILNS1_17partition_subalgoE4EjNS0_10empty_typeEbEEZZNS1_14partition_implILS8_4ELb0ES6_15HIP_vector_typeIjLj2EENS0_17counting_iteratorIjlEEPS9_SG_NS0_5tupleIJPjSI_NS0_16reverse_iteratorISI_EEEEENSH_IJSG_SG_SG_EEES9_SI_JZNS1_25segmented_radix_sort_implINS0_14default_configELb0EPKbPbPKlPlN2at6native12_GLOBAL__N_18offset_tEEE10hipError_tPvRmT1_PNSt15iterator_traitsIS12_E10value_typeET2_T3_PNS13_IS18_E10value_typeET4_jRbjT5_S1E_jjP12ihipStream_tbEUljE_ZNSN_ISO_Lb0ESQ_SR_ST_SU_SY_EESZ_S10_S11_S12_S16_S17_S18_S1B_S1C_jS1D_jS1E_S1E_jjS1G_bEUljE0_EEESZ_S10_S11_S18_S1C_S1E_T6_T7_T9_mT8_S1G_bDpT10_ENKUlT_T0_E_clISt17integral_constantIbLb0EES1U_EEDaS1P_S1Q_EUlS1P_E_NS1_11comp_targetILNS1_3genE9ELNS1_11target_archE1100ELNS1_3gpuE3ELNS1_3repE0EEENS1_30default_config_static_selectorELNS0_4arch9wavefront6targetE0EEEvS12_
                                        ; -- End function
	.set _ZN7rocprim17ROCPRIM_400000_NS6detail17trampoline_kernelINS0_13select_configILj256ELj13ELNS0_17block_load_methodE3ELS4_3ELS4_3ELNS0_20block_scan_algorithmE0ELj4294967295EEENS1_25partition_config_selectorILNS1_17partition_subalgoE4EjNS0_10empty_typeEbEEZZNS1_14partition_implILS8_4ELb0ES6_15HIP_vector_typeIjLj2EENS0_17counting_iteratorIjlEEPS9_SG_NS0_5tupleIJPjSI_NS0_16reverse_iteratorISI_EEEEENSH_IJSG_SG_SG_EEES9_SI_JZNS1_25segmented_radix_sort_implINS0_14default_configELb0EPKbPbPKlPlN2at6native12_GLOBAL__N_18offset_tEEE10hipError_tPvRmT1_PNSt15iterator_traitsIS12_E10value_typeET2_T3_PNS13_IS18_E10value_typeET4_jRbjT5_S1E_jjP12ihipStream_tbEUljE_ZNSN_ISO_Lb0ESQ_SR_ST_SU_SY_EESZ_S10_S11_S12_S16_S17_S18_S1B_S1C_jS1D_jS1E_S1E_jjS1G_bEUljE0_EEESZ_S10_S11_S18_S1C_S1E_T6_T7_T9_mT8_S1G_bDpT10_ENKUlT_T0_E_clISt17integral_constantIbLb0EES1U_EEDaS1P_S1Q_EUlS1P_E_NS1_11comp_targetILNS1_3genE9ELNS1_11target_archE1100ELNS1_3gpuE3ELNS1_3repE0EEENS1_30default_config_static_selectorELNS0_4arch9wavefront6targetE0EEEvS12_.num_vgpr, 0
	.set _ZN7rocprim17ROCPRIM_400000_NS6detail17trampoline_kernelINS0_13select_configILj256ELj13ELNS0_17block_load_methodE3ELS4_3ELS4_3ELNS0_20block_scan_algorithmE0ELj4294967295EEENS1_25partition_config_selectorILNS1_17partition_subalgoE4EjNS0_10empty_typeEbEEZZNS1_14partition_implILS8_4ELb0ES6_15HIP_vector_typeIjLj2EENS0_17counting_iteratorIjlEEPS9_SG_NS0_5tupleIJPjSI_NS0_16reverse_iteratorISI_EEEEENSH_IJSG_SG_SG_EEES9_SI_JZNS1_25segmented_radix_sort_implINS0_14default_configELb0EPKbPbPKlPlN2at6native12_GLOBAL__N_18offset_tEEE10hipError_tPvRmT1_PNSt15iterator_traitsIS12_E10value_typeET2_T3_PNS13_IS18_E10value_typeET4_jRbjT5_S1E_jjP12ihipStream_tbEUljE_ZNSN_ISO_Lb0ESQ_SR_ST_SU_SY_EESZ_S10_S11_S12_S16_S17_S18_S1B_S1C_jS1D_jS1E_S1E_jjS1G_bEUljE0_EEESZ_S10_S11_S18_S1C_S1E_T6_T7_T9_mT8_S1G_bDpT10_ENKUlT_T0_E_clISt17integral_constantIbLb0EES1U_EEDaS1P_S1Q_EUlS1P_E_NS1_11comp_targetILNS1_3genE9ELNS1_11target_archE1100ELNS1_3gpuE3ELNS1_3repE0EEENS1_30default_config_static_selectorELNS0_4arch9wavefront6targetE0EEEvS12_.num_agpr, 0
	.set _ZN7rocprim17ROCPRIM_400000_NS6detail17trampoline_kernelINS0_13select_configILj256ELj13ELNS0_17block_load_methodE3ELS4_3ELS4_3ELNS0_20block_scan_algorithmE0ELj4294967295EEENS1_25partition_config_selectorILNS1_17partition_subalgoE4EjNS0_10empty_typeEbEEZZNS1_14partition_implILS8_4ELb0ES6_15HIP_vector_typeIjLj2EENS0_17counting_iteratorIjlEEPS9_SG_NS0_5tupleIJPjSI_NS0_16reverse_iteratorISI_EEEEENSH_IJSG_SG_SG_EEES9_SI_JZNS1_25segmented_radix_sort_implINS0_14default_configELb0EPKbPbPKlPlN2at6native12_GLOBAL__N_18offset_tEEE10hipError_tPvRmT1_PNSt15iterator_traitsIS12_E10value_typeET2_T3_PNS13_IS18_E10value_typeET4_jRbjT5_S1E_jjP12ihipStream_tbEUljE_ZNSN_ISO_Lb0ESQ_SR_ST_SU_SY_EESZ_S10_S11_S12_S16_S17_S18_S1B_S1C_jS1D_jS1E_S1E_jjS1G_bEUljE0_EEESZ_S10_S11_S18_S1C_S1E_T6_T7_T9_mT8_S1G_bDpT10_ENKUlT_T0_E_clISt17integral_constantIbLb0EES1U_EEDaS1P_S1Q_EUlS1P_E_NS1_11comp_targetILNS1_3genE9ELNS1_11target_archE1100ELNS1_3gpuE3ELNS1_3repE0EEENS1_30default_config_static_selectorELNS0_4arch9wavefront6targetE0EEEvS12_.numbered_sgpr, 0
	.set _ZN7rocprim17ROCPRIM_400000_NS6detail17trampoline_kernelINS0_13select_configILj256ELj13ELNS0_17block_load_methodE3ELS4_3ELS4_3ELNS0_20block_scan_algorithmE0ELj4294967295EEENS1_25partition_config_selectorILNS1_17partition_subalgoE4EjNS0_10empty_typeEbEEZZNS1_14partition_implILS8_4ELb0ES6_15HIP_vector_typeIjLj2EENS0_17counting_iteratorIjlEEPS9_SG_NS0_5tupleIJPjSI_NS0_16reverse_iteratorISI_EEEEENSH_IJSG_SG_SG_EEES9_SI_JZNS1_25segmented_radix_sort_implINS0_14default_configELb0EPKbPbPKlPlN2at6native12_GLOBAL__N_18offset_tEEE10hipError_tPvRmT1_PNSt15iterator_traitsIS12_E10value_typeET2_T3_PNS13_IS18_E10value_typeET4_jRbjT5_S1E_jjP12ihipStream_tbEUljE_ZNSN_ISO_Lb0ESQ_SR_ST_SU_SY_EESZ_S10_S11_S12_S16_S17_S18_S1B_S1C_jS1D_jS1E_S1E_jjS1G_bEUljE0_EEESZ_S10_S11_S18_S1C_S1E_T6_T7_T9_mT8_S1G_bDpT10_ENKUlT_T0_E_clISt17integral_constantIbLb0EES1U_EEDaS1P_S1Q_EUlS1P_E_NS1_11comp_targetILNS1_3genE9ELNS1_11target_archE1100ELNS1_3gpuE3ELNS1_3repE0EEENS1_30default_config_static_selectorELNS0_4arch9wavefront6targetE0EEEvS12_.num_named_barrier, 0
	.set _ZN7rocprim17ROCPRIM_400000_NS6detail17trampoline_kernelINS0_13select_configILj256ELj13ELNS0_17block_load_methodE3ELS4_3ELS4_3ELNS0_20block_scan_algorithmE0ELj4294967295EEENS1_25partition_config_selectorILNS1_17partition_subalgoE4EjNS0_10empty_typeEbEEZZNS1_14partition_implILS8_4ELb0ES6_15HIP_vector_typeIjLj2EENS0_17counting_iteratorIjlEEPS9_SG_NS0_5tupleIJPjSI_NS0_16reverse_iteratorISI_EEEEENSH_IJSG_SG_SG_EEES9_SI_JZNS1_25segmented_radix_sort_implINS0_14default_configELb0EPKbPbPKlPlN2at6native12_GLOBAL__N_18offset_tEEE10hipError_tPvRmT1_PNSt15iterator_traitsIS12_E10value_typeET2_T3_PNS13_IS18_E10value_typeET4_jRbjT5_S1E_jjP12ihipStream_tbEUljE_ZNSN_ISO_Lb0ESQ_SR_ST_SU_SY_EESZ_S10_S11_S12_S16_S17_S18_S1B_S1C_jS1D_jS1E_S1E_jjS1G_bEUljE0_EEESZ_S10_S11_S18_S1C_S1E_T6_T7_T9_mT8_S1G_bDpT10_ENKUlT_T0_E_clISt17integral_constantIbLb0EES1U_EEDaS1P_S1Q_EUlS1P_E_NS1_11comp_targetILNS1_3genE9ELNS1_11target_archE1100ELNS1_3gpuE3ELNS1_3repE0EEENS1_30default_config_static_selectorELNS0_4arch9wavefront6targetE0EEEvS12_.private_seg_size, 0
	.set _ZN7rocprim17ROCPRIM_400000_NS6detail17trampoline_kernelINS0_13select_configILj256ELj13ELNS0_17block_load_methodE3ELS4_3ELS4_3ELNS0_20block_scan_algorithmE0ELj4294967295EEENS1_25partition_config_selectorILNS1_17partition_subalgoE4EjNS0_10empty_typeEbEEZZNS1_14partition_implILS8_4ELb0ES6_15HIP_vector_typeIjLj2EENS0_17counting_iteratorIjlEEPS9_SG_NS0_5tupleIJPjSI_NS0_16reverse_iteratorISI_EEEEENSH_IJSG_SG_SG_EEES9_SI_JZNS1_25segmented_radix_sort_implINS0_14default_configELb0EPKbPbPKlPlN2at6native12_GLOBAL__N_18offset_tEEE10hipError_tPvRmT1_PNSt15iterator_traitsIS12_E10value_typeET2_T3_PNS13_IS18_E10value_typeET4_jRbjT5_S1E_jjP12ihipStream_tbEUljE_ZNSN_ISO_Lb0ESQ_SR_ST_SU_SY_EESZ_S10_S11_S12_S16_S17_S18_S1B_S1C_jS1D_jS1E_S1E_jjS1G_bEUljE0_EEESZ_S10_S11_S18_S1C_S1E_T6_T7_T9_mT8_S1G_bDpT10_ENKUlT_T0_E_clISt17integral_constantIbLb0EES1U_EEDaS1P_S1Q_EUlS1P_E_NS1_11comp_targetILNS1_3genE9ELNS1_11target_archE1100ELNS1_3gpuE3ELNS1_3repE0EEENS1_30default_config_static_selectorELNS0_4arch9wavefront6targetE0EEEvS12_.uses_vcc, 0
	.set _ZN7rocprim17ROCPRIM_400000_NS6detail17trampoline_kernelINS0_13select_configILj256ELj13ELNS0_17block_load_methodE3ELS4_3ELS4_3ELNS0_20block_scan_algorithmE0ELj4294967295EEENS1_25partition_config_selectorILNS1_17partition_subalgoE4EjNS0_10empty_typeEbEEZZNS1_14partition_implILS8_4ELb0ES6_15HIP_vector_typeIjLj2EENS0_17counting_iteratorIjlEEPS9_SG_NS0_5tupleIJPjSI_NS0_16reverse_iteratorISI_EEEEENSH_IJSG_SG_SG_EEES9_SI_JZNS1_25segmented_radix_sort_implINS0_14default_configELb0EPKbPbPKlPlN2at6native12_GLOBAL__N_18offset_tEEE10hipError_tPvRmT1_PNSt15iterator_traitsIS12_E10value_typeET2_T3_PNS13_IS18_E10value_typeET4_jRbjT5_S1E_jjP12ihipStream_tbEUljE_ZNSN_ISO_Lb0ESQ_SR_ST_SU_SY_EESZ_S10_S11_S12_S16_S17_S18_S1B_S1C_jS1D_jS1E_S1E_jjS1G_bEUljE0_EEESZ_S10_S11_S18_S1C_S1E_T6_T7_T9_mT8_S1G_bDpT10_ENKUlT_T0_E_clISt17integral_constantIbLb0EES1U_EEDaS1P_S1Q_EUlS1P_E_NS1_11comp_targetILNS1_3genE9ELNS1_11target_archE1100ELNS1_3gpuE3ELNS1_3repE0EEENS1_30default_config_static_selectorELNS0_4arch9wavefront6targetE0EEEvS12_.uses_flat_scratch, 0
	.set _ZN7rocprim17ROCPRIM_400000_NS6detail17trampoline_kernelINS0_13select_configILj256ELj13ELNS0_17block_load_methodE3ELS4_3ELS4_3ELNS0_20block_scan_algorithmE0ELj4294967295EEENS1_25partition_config_selectorILNS1_17partition_subalgoE4EjNS0_10empty_typeEbEEZZNS1_14partition_implILS8_4ELb0ES6_15HIP_vector_typeIjLj2EENS0_17counting_iteratorIjlEEPS9_SG_NS0_5tupleIJPjSI_NS0_16reverse_iteratorISI_EEEEENSH_IJSG_SG_SG_EEES9_SI_JZNS1_25segmented_radix_sort_implINS0_14default_configELb0EPKbPbPKlPlN2at6native12_GLOBAL__N_18offset_tEEE10hipError_tPvRmT1_PNSt15iterator_traitsIS12_E10value_typeET2_T3_PNS13_IS18_E10value_typeET4_jRbjT5_S1E_jjP12ihipStream_tbEUljE_ZNSN_ISO_Lb0ESQ_SR_ST_SU_SY_EESZ_S10_S11_S12_S16_S17_S18_S1B_S1C_jS1D_jS1E_S1E_jjS1G_bEUljE0_EEESZ_S10_S11_S18_S1C_S1E_T6_T7_T9_mT8_S1G_bDpT10_ENKUlT_T0_E_clISt17integral_constantIbLb0EES1U_EEDaS1P_S1Q_EUlS1P_E_NS1_11comp_targetILNS1_3genE9ELNS1_11target_archE1100ELNS1_3gpuE3ELNS1_3repE0EEENS1_30default_config_static_selectorELNS0_4arch9wavefront6targetE0EEEvS12_.has_dyn_sized_stack, 0
	.set _ZN7rocprim17ROCPRIM_400000_NS6detail17trampoline_kernelINS0_13select_configILj256ELj13ELNS0_17block_load_methodE3ELS4_3ELS4_3ELNS0_20block_scan_algorithmE0ELj4294967295EEENS1_25partition_config_selectorILNS1_17partition_subalgoE4EjNS0_10empty_typeEbEEZZNS1_14partition_implILS8_4ELb0ES6_15HIP_vector_typeIjLj2EENS0_17counting_iteratorIjlEEPS9_SG_NS0_5tupleIJPjSI_NS0_16reverse_iteratorISI_EEEEENSH_IJSG_SG_SG_EEES9_SI_JZNS1_25segmented_radix_sort_implINS0_14default_configELb0EPKbPbPKlPlN2at6native12_GLOBAL__N_18offset_tEEE10hipError_tPvRmT1_PNSt15iterator_traitsIS12_E10value_typeET2_T3_PNS13_IS18_E10value_typeET4_jRbjT5_S1E_jjP12ihipStream_tbEUljE_ZNSN_ISO_Lb0ESQ_SR_ST_SU_SY_EESZ_S10_S11_S12_S16_S17_S18_S1B_S1C_jS1D_jS1E_S1E_jjS1G_bEUljE0_EEESZ_S10_S11_S18_S1C_S1E_T6_T7_T9_mT8_S1G_bDpT10_ENKUlT_T0_E_clISt17integral_constantIbLb0EES1U_EEDaS1P_S1Q_EUlS1P_E_NS1_11comp_targetILNS1_3genE9ELNS1_11target_archE1100ELNS1_3gpuE3ELNS1_3repE0EEENS1_30default_config_static_selectorELNS0_4arch9wavefront6targetE0EEEvS12_.has_recursion, 0
	.set _ZN7rocprim17ROCPRIM_400000_NS6detail17trampoline_kernelINS0_13select_configILj256ELj13ELNS0_17block_load_methodE3ELS4_3ELS4_3ELNS0_20block_scan_algorithmE0ELj4294967295EEENS1_25partition_config_selectorILNS1_17partition_subalgoE4EjNS0_10empty_typeEbEEZZNS1_14partition_implILS8_4ELb0ES6_15HIP_vector_typeIjLj2EENS0_17counting_iteratorIjlEEPS9_SG_NS0_5tupleIJPjSI_NS0_16reverse_iteratorISI_EEEEENSH_IJSG_SG_SG_EEES9_SI_JZNS1_25segmented_radix_sort_implINS0_14default_configELb0EPKbPbPKlPlN2at6native12_GLOBAL__N_18offset_tEEE10hipError_tPvRmT1_PNSt15iterator_traitsIS12_E10value_typeET2_T3_PNS13_IS18_E10value_typeET4_jRbjT5_S1E_jjP12ihipStream_tbEUljE_ZNSN_ISO_Lb0ESQ_SR_ST_SU_SY_EESZ_S10_S11_S12_S16_S17_S18_S1B_S1C_jS1D_jS1E_S1E_jjS1G_bEUljE0_EEESZ_S10_S11_S18_S1C_S1E_T6_T7_T9_mT8_S1G_bDpT10_ENKUlT_T0_E_clISt17integral_constantIbLb0EES1U_EEDaS1P_S1Q_EUlS1P_E_NS1_11comp_targetILNS1_3genE9ELNS1_11target_archE1100ELNS1_3gpuE3ELNS1_3repE0EEENS1_30default_config_static_selectorELNS0_4arch9wavefront6targetE0EEEvS12_.has_indirect_call, 0
	.section	.AMDGPU.csdata,"",@progbits
; Kernel info:
; codeLenInByte = 0
; TotalNumSgprs: 0
; NumVgprs: 0
; ScratchSize: 0
; MemoryBound: 0
; FloatMode: 240
; IeeeMode: 1
; LDSByteSize: 0 bytes/workgroup (compile time only)
; SGPRBlocks: 0
; VGPRBlocks: 0
; NumSGPRsForWavesPerEU: 1
; NumVGPRsForWavesPerEU: 1
; NamedBarCnt: 0
; Occupancy: 16
; WaveLimiterHint : 0
; COMPUTE_PGM_RSRC2:SCRATCH_EN: 0
; COMPUTE_PGM_RSRC2:USER_SGPR: 2
; COMPUTE_PGM_RSRC2:TRAP_HANDLER: 0
; COMPUTE_PGM_RSRC2:TGID_X_EN: 1
; COMPUTE_PGM_RSRC2:TGID_Y_EN: 0
; COMPUTE_PGM_RSRC2:TGID_Z_EN: 0
; COMPUTE_PGM_RSRC2:TIDIG_COMP_CNT: 0
	.section	.text._ZN7rocprim17ROCPRIM_400000_NS6detail17trampoline_kernelINS0_13select_configILj256ELj13ELNS0_17block_load_methodE3ELS4_3ELS4_3ELNS0_20block_scan_algorithmE0ELj4294967295EEENS1_25partition_config_selectorILNS1_17partition_subalgoE4EjNS0_10empty_typeEbEEZZNS1_14partition_implILS8_4ELb0ES6_15HIP_vector_typeIjLj2EENS0_17counting_iteratorIjlEEPS9_SG_NS0_5tupleIJPjSI_NS0_16reverse_iteratorISI_EEEEENSH_IJSG_SG_SG_EEES9_SI_JZNS1_25segmented_radix_sort_implINS0_14default_configELb0EPKbPbPKlPlN2at6native12_GLOBAL__N_18offset_tEEE10hipError_tPvRmT1_PNSt15iterator_traitsIS12_E10value_typeET2_T3_PNS13_IS18_E10value_typeET4_jRbjT5_S1E_jjP12ihipStream_tbEUljE_ZNSN_ISO_Lb0ESQ_SR_ST_SU_SY_EESZ_S10_S11_S12_S16_S17_S18_S1B_S1C_jS1D_jS1E_S1E_jjS1G_bEUljE0_EEESZ_S10_S11_S18_S1C_S1E_T6_T7_T9_mT8_S1G_bDpT10_ENKUlT_T0_E_clISt17integral_constantIbLb0EES1U_EEDaS1P_S1Q_EUlS1P_E_NS1_11comp_targetILNS1_3genE8ELNS1_11target_archE1030ELNS1_3gpuE2ELNS1_3repE0EEENS1_30default_config_static_selectorELNS0_4arch9wavefront6targetE0EEEvS12_,"axG",@progbits,_ZN7rocprim17ROCPRIM_400000_NS6detail17trampoline_kernelINS0_13select_configILj256ELj13ELNS0_17block_load_methodE3ELS4_3ELS4_3ELNS0_20block_scan_algorithmE0ELj4294967295EEENS1_25partition_config_selectorILNS1_17partition_subalgoE4EjNS0_10empty_typeEbEEZZNS1_14partition_implILS8_4ELb0ES6_15HIP_vector_typeIjLj2EENS0_17counting_iteratorIjlEEPS9_SG_NS0_5tupleIJPjSI_NS0_16reverse_iteratorISI_EEEEENSH_IJSG_SG_SG_EEES9_SI_JZNS1_25segmented_radix_sort_implINS0_14default_configELb0EPKbPbPKlPlN2at6native12_GLOBAL__N_18offset_tEEE10hipError_tPvRmT1_PNSt15iterator_traitsIS12_E10value_typeET2_T3_PNS13_IS18_E10value_typeET4_jRbjT5_S1E_jjP12ihipStream_tbEUljE_ZNSN_ISO_Lb0ESQ_SR_ST_SU_SY_EESZ_S10_S11_S12_S16_S17_S18_S1B_S1C_jS1D_jS1E_S1E_jjS1G_bEUljE0_EEESZ_S10_S11_S18_S1C_S1E_T6_T7_T9_mT8_S1G_bDpT10_ENKUlT_T0_E_clISt17integral_constantIbLb0EES1U_EEDaS1P_S1Q_EUlS1P_E_NS1_11comp_targetILNS1_3genE8ELNS1_11target_archE1030ELNS1_3gpuE2ELNS1_3repE0EEENS1_30default_config_static_selectorELNS0_4arch9wavefront6targetE0EEEvS12_,comdat
	.globl	_ZN7rocprim17ROCPRIM_400000_NS6detail17trampoline_kernelINS0_13select_configILj256ELj13ELNS0_17block_load_methodE3ELS4_3ELS4_3ELNS0_20block_scan_algorithmE0ELj4294967295EEENS1_25partition_config_selectorILNS1_17partition_subalgoE4EjNS0_10empty_typeEbEEZZNS1_14partition_implILS8_4ELb0ES6_15HIP_vector_typeIjLj2EENS0_17counting_iteratorIjlEEPS9_SG_NS0_5tupleIJPjSI_NS0_16reverse_iteratorISI_EEEEENSH_IJSG_SG_SG_EEES9_SI_JZNS1_25segmented_radix_sort_implINS0_14default_configELb0EPKbPbPKlPlN2at6native12_GLOBAL__N_18offset_tEEE10hipError_tPvRmT1_PNSt15iterator_traitsIS12_E10value_typeET2_T3_PNS13_IS18_E10value_typeET4_jRbjT5_S1E_jjP12ihipStream_tbEUljE_ZNSN_ISO_Lb0ESQ_SR_ST_SU_SY_EESZ_S10_S11_S12_S16_S17_S18_S1B_S1C_jS1D_jS1E_S1E_jjS1G_bEUljE0_EEESZ_S10_S11_S18_S1C_S1E_T6_T7_T9_mT8_S1G_bDpT10_ENKUlT_T0_E_clISt17integral_constantIbLb0EES1U_EEDaS1P_S1Q_EUlS1P_E_NS1_11comp_targetILNS1_3genE8ELNS1_11target_archE1030ELNS1_3gpuE2ELNS1_3repE0EEENS1_30default_config_static_selectorELNS0_4arch9wavefront6targetE0EEEvS12_ ; -- Begin function _ZN7rocprim17ROCPRIM_400000_NS6detail17trampoline_kernelINS0_13select_configILj256ELj13ELNS0_17block_load_methodE3ELS4_3ELS4_3ELNS0_20block_scan_algorithmE0ELj4294967295EEENS1_25partition_config_selectorILNS1_17partition_subalgoE4EjNS0_10empty_typeEbEEZZNS1_14partition_implILS8_4ELb0ES6_15HIP_vector_typeIjLj2EENS0_17counting_iteratorIjlEEPS9_SG_NS0_5tupleIJPjSI_NS0_16reverse_iteratorISI_EEEEENSH_IJSG_SG_SG_EEES9_SI_JZNS1_25segmented_radix_sort_implINS0_14default_configELb0EPKbPbPKlPlN2at6native12_GLOBAL__N_18offset_tEEE10hipError_tPvRmT1_PNSt15iterator_traitsIS12_E10value_typeET2_T3_PNS13_IS18_E10value_typeET4_jRbjT5_S1E_jjP12ihipStream_tbEUljE_ZNSN_ISO_Lb0ESQ_SR_ST_SU_SY_EESZ_S10_S11_S12_S16_S17_S18_S1B_S1C_jS1D_jS1E_S1E_jjS1G_bEUljE0_EEESZ_S10_S11_S18_S1C_S1E_T6_T7_T9_mT8_S1G_bDpT10_ENKUlT_T0_E_clISt17integral_constantIbLb0EES1U_EEDaS1P_S1Q_EUlS1P_E_NS1_11comp_targetILNS1_3genE8ELNS1_11target_archE1030ELNS1_3gpuE2ELNS1_3repE0EEENS1_30default_config_static_selectorELNS0_4arch9wavefront6targetE0EEEvS12_
	.p2align	8
	.type	_ZN7rocprim17ROCPRIM_400000_NS6detail17trampoline_kernelINS0_13select_configILj256ELj13ELNS0_17block_load_methodE3ELS4_3ELS4_3ELNS0_20block_scan_algorithmE0ELj4294967295EEENS1_25partition_config_selectorILNS1_17partition_subalgoE4EjNS0_10empty_typeEbEEZZNS1_14partition_implILS8_4ELb0ES6_15HIP_vector_typeIjLj2EENS0_17counting_iteratorIjlEEPS9_SG_NS0_5tupleIJPjSI_NS0_16reverse_iteratorISI_EEEEENSH_IJSG_SG_SG_EEES9_SI_JZNS1_25segmented_radix_sort_implINS0_14default_configELb0EPKbPbPKlPlN2at6native12_GLOBAL__N_18offset_tEEE10hipError_tPvRmT1_PNSt15iterator_traitsIS12_E10value_typeET2_T3_PNS13_IS18_E10value_typeET4_jRbjT5_S1E_jjP12ihipStream_tbEUljE_ZNSN_ISO_Lb0ESQ_SR_ST_SU_SY_EESZ_S10_S11_S12_S16_S17_S18_S1B_S1C_jS1D_jS1E_S1E_jjS1G_bEUljE0_EEESZ_S10_S11_S18_S1C_S1E_T6_T7_T9_mT8_S1G_bDpT10_ENKUlT_T0_E_clISt17integral_constantIbLb0EES1U_EEDaS1P_S1Q_EUlS1P_E_NS1_11comp_targetILNS1_3genE8ELNS1_11target_archE1030ELNS1_3gpuE2ELNS1_3repE0EEENS1_30default_config_static_selectorELNS0_4arch9wavefront6targetE0EEEvS12_,@function
_ZN7rocprim17ROCPRIM_400000_NS6detail17trampoline_kernelINS0_13select_configILj256ELj13ELNS0_17block_load_methodE3ELS4_3ELS4_3ELNS0_20block_scan_algorithmE0ELj4294967295EEENS1_25partition_config_selectorILNS1_17partition_subalgoE4EjNS0_10empty_typeEbEEZZNS1_14partition_implILS8_4ELb0ES6_15HIP_vector_typeIjLj2EENS0_17counting_iteratorIjlEEPS9_SG_NS0_5tupleIJPjSI_NS0_16reverse_iteratorISI_EEEEENSH_IJSG_SG_SG_EEES9_SI_JZNS1_25segmented_radix_sort_implINS0_14default_configELb0EPKbPbPKlPlN2at6native12_GLOBAL__N_18offset_tEEE10hipError_tPvRmT1_PNSt15iterator_traitsIS12_E10value_typeET2_T3_PNS13_IS18_E10value_typeET4_jRbjT5_S1E_jjP12ihipStream_tbEUljE_ZNSN_ISO_Lb0ESQ_SR_ST_SU_SY_EESZ_S10_S11_S12_S16_S17_S18_S1B_S1C_jS1D_jS1E_S1E_jjS1G_bEUljE0_EEESZ_S10_S11_S18_S1C_S1E_T6_T7_T9_mT8_S1G_bDpT10_ENKUlT_T0_E_clISt17integral_constantIbLb0EES1U_EEDaS1P_S1Q_EUlS1P_E_NS1_11comp_targetILNS1_3genE8ELNS1_11target_archE1030ELNS1_3gpuE2ELNS1_3repE0EEENS1_30default_config_static_selectorELNS0_4arch9wavefront6targetE0EEEvS12_: ; @_ZN7rocprim17ROCPRIM_400000_NS6detail17trampoline_kernelINS0_13select_configILj256ELj13ELNS0_17block_load_methodE3ELS4_3ELS4_3ELNS0_20block_scan_algorithmE0ELj4294967295EEENS1_25partition_config_selectorILNS1_17partition_subalgoE4EjNS0_10empty_typeEbEEZZNS1_14partition_implILS8_4ELb0ES6_15HIP_vector_typeIjLj2EENS0_17counting_iteratorIjlEEPS9_SG_NS0_5tupleIJPjSI_NS0_16reverse_iteratorISI_EEEEENSH_IJSG_SG_SG_EEES9_SI_JZNS1_25segmented_radix_sort_implINS0_14default_configELb0EPKbPbPKlPlN2at6native12_GLOBAL__N_18offset_tEEE10hipError_tPvRmT1_PNSt15iterator_traitsIS12_E10value_typeET2_T3_PNS13_IS18_E10value_typeET4_jRbjT5_S1E_jjP12ihipStream_tbEUljE_ZNSN_ISO_Lb0ESQ_SR_ST_SU_SY_EESZ_S10_S11_S12_S16_S17_S18_S1B_S1C_jS1D_jS1E_S1E_jjS1G_bEUljE0_EEESZ_S10_S11_S18_S1C_S1E_T6_T7_T9_mT8_S1G_bDpT10_ENKUlT_T0_E_clISt17integral_constantIbLb0EES1U_EEDaS1P_S1Q_EUlS1P_E_NS1_11comp_targetILNS1_3genE8ELNS1_11target_archE1030ELNS1_3gpuE2ELNS1_3repE0EEENS1_30default_config_static_selectorELNS0_4arch9wavefront6targetE0EEEvS12_
; %bb.0:
	.section	.rodata,"a",@progbits
	.p2align	6, 0x0
	.amdhsa_kernel _ZN7rocprim17ROCPRIM_400000_NS6detail17trampoline_kernelINS0_13select_configILj256ELj13ELNS0_17block_load_methodE3ELS4_3ELS4_3ELNS0_20block_scan_algorithmE0ELj4294967295EEENS1_25partition_config_selectorILNS1_17partition_subalgoE4EjNS0_10empty_typeEbEEZZNS1_14partition_implILS8_4ELb0ES6_15HIP_vector_typeIjLj2EENS0_17counting_iteratorIjlEEPS9_SG_NS0_5tupleIJPjSI_NS0_16reverse_iteratorISI_EEEEENSH_IJSG_SG_SG_EEES9_SI_JZNS1_25segmented_radix_sort_implINS0_14default_configELb0EPKbPbPKlPlN2at6native12_GLOBAL__N_18offset_tEEE10hipError_tPvRmT1_PNSt15iterator_traitsIS12_E10value_typeET2_T3_PNS13_IS18_E10value_typeET4_jRbjT5_S1E_jjP12ihipStream_tbEUljE_ZNSN_ISO_Lb0ESQ_SR_ST_SU_SY_EESZ_S10_S11_S12_S16_S17_S18_S1B_S1C_jS1D_jS1E_S1E_jjS1G_bEUljE0_EEESZ_S10_S11_S18_S1C_S1E_T6_T7_T9_mT8_S1G_bDpT10_ENKUlT_T0_E_clISt17integral_constantIbLb0EES1U_EEDaS1P_S1Q_EUlS1P_E_NS1_11comp_targetILNS1_3genE8ELNS1_11target_archE1030ELNS1_3gpuE2ELNS1_3repE0EEENS1_30default_config_static_selectorELNS0_4arch9wavefront6targetE0EEEvS12_
		.amdhsa_group_segment_fixed_size 0
		.amdhsa_private_segment_fixed_size 0
		.amdhsa_kernarg_size 176
		.amdhsa_user_sgpr_count 2
		.amdhsa_user_sgpr_dispatch_ptr 0
		.amdhsa_user_sgpr_queue_ptr 0
		.amdhsa_user_sgpr_kernarg_segment_ptr 1
		.amdhsa_user_sgpr_dispatch_id 0
		.amdhsa_user_sgpr_kernarg_preload_length 0
		.amdhsa_user_sgpr_kernarg_preload_offset 0
		.amdhsa_user_sgpr_private_segment_size 0
		.amdhsa_wavefront_size32 1
		.amdhsa_uses_dynamic_stack 0
		.amdhsa_enable_private_segment 0
		.amdhsa_system_sgpr_workgroup_id_x 1
		.amdhsa_system_sgpr_workgroup_id_y 0
		.amdhsa_system_sgpr_workgroup_id_z 0
		.amdhsa_system_sgpr_workgroup_info 0
		.amdhsa_system_vgpr_workitem_id 0
		.amdhsa_next_free_vgpr 1
		.amdhsa_next_free_sgpr 1
		.amdhsa_named_barrier_count 0
		.amdhsa_reserve_vcc 0
		.amdhsa_float_round_mode_32 0
		.amdhsa_float_round_mode_16_64 0
		.amdhsa_float_denorm_mode_32 3
		.amdhsa_float_denorm_mode_16_64 3
		.amdhsa_fp16_overflow 0
		.amdhsa_memory_ordered 1
		.amdhsa_forward_progress 1
		.amdhsa_inst_pref_size 0
		.amdhsa_round_robin_scheduling 0
		.amdhsa_exception_fp_ieee_invalid_op 0
		.amdhsa_exception_fp_denorm_src 0
		.amdhsa_exception_fp_ieee_div_zero 0
		.amdhsa_exception_fp_ieee_overflow 0
		.amdhsa_exception_fp_ieee_underflow 0
		.amdhsa_exception_fp_ieee_inexact 0
		.amdhsa_exception_int_div_zero 0
	.end_amdhsa_kernel
	.section	.text._ZN7rocprim17ROCPRIM_400000_NS6detail17trampoline_kernelINS0_13select_configILj256ELj13ELNS0_17block_load_methodE3ELS4_3ELS4_3ELNS0_20block_scan_algorithmE0ELj4294967295EEENS1_25partition_config_selectorILNS1_17partition_subalgoE4EjNS0_10empty_typeEbEEZZNS1_14partition_implILS8_4ELb0ES6_15HIP_vector_typeIjLj2EENS0_17counting_iteratorIjlEEPS9_SG_NS0_5tupleIJPjSI_NS0_16reverse_iteratorISI_EEEEENSH_IJSG_SG_SG_EEES9_SI_JZNS1_25segmented_radix_sort_implINS0_14default_configELb0EPKbPbPKlPlN2at6native12_GLOBAL__N_18offset_tEEE10hipError_tPvRmT1_PNSt15iterator_traitsIS12_E10value_typeET2_T3_PNS13_IS18_E10value_typeET4_jRbjT5_S1E_jjP12ihipStream_tbEUljE_ZNSN_ISO_Lb0ESQ_SR_ST_SU_SY_EESZ_S10_S11_S12_S16_S17_S18_S1B_S1C_jS1D_jS1E_S1E_jjS1G_bEUljE0_EEESZ_S10_S11_S18_S1C_S1E_T6_T7_T9_mT8_S1G_bDpT10_ENKUlT_T0_E_clISt17integral_constantIbLb0EES1U_EEDaS1P_S1Q_EUlS1P_E_NS1_11comp_targetILNS1_3genE8ELNS1_11target_archE1030ELNS1_3gpuE2ELNS1_3repE0EEENS1_30default_config_static_selectorELNS0_4arch9wavefront6targetE0EEEvS12_,"axG",@progbits,_ZN7rocprim17ROCPRIM_400000_NS6detail17trampoline_kernelINS0_13select_configILj256ELj13ELNS0_17block_load_methodE3ELS4_3ELS4_3ELNS0_20block_scan_algorithmE0ELj4294967295EEENS1_25partition_config_selectorILNS1_17partition_subalgoE4EjNS0_10empty_typeEbEEZZNS1_14partition_implILS8_4ELb0ES6_15HIP_vector_typeIjLj2EENS0_17counting_iteratorIjlEEPS9_SG_NS0_5tupleIJPjSI_NS0_16reverse_iteratorISI_EEEEENSH_IJSG_SG_SG_EEES9_SI_JZNS1_25segmented_radix_sort_implINS0_14default_configELb0EPKbPbPKlPlN2at6native12_GLOBAL__N_18offset_tEEE10hipError_tPvRmT1_PNSt15iterator_traitsIS12_E10value_typeET2_T3_PNS13_IS18_E10value_typeET4_jRbjT5_S1E_jjP12ihipStream_tbEUljE_ZNSN_ISO_Lb0ESQ_SR_ST_SU_SY_EESZ_S10_S11_S12_S16_S17_S18_S1B_S1C_jS1D_jS1E_S1E_jjS1G_bEUljE0_EEESZ_S10_S11_S18_S1C_S1E_T6_T7_T9_mT8_S1G_bDpT10_ENKUlT_T0_E_clISt17integral_constantIbLb0EES1U_EEDaS1P_S1Q_EUlS1P_E_NS1_11comp_targetILNS1_3genE8ELNS1_11target_archE1030ELNS1_3gpuE2ELNS1_3repE0EEENS1_30default_config_static_selectorELNS0_4arch9wavefront6targetE0EEEvS12_,comdat
.Lfunc_end1569:
	.size	_ZN7rocprim17ROCPRIM_400000_NS6detail17trampoline_kernelINS0_13select_configILj256ELj13ELNS0_17block_load_methodE3ELS4_3ELS4_3ELNS0_20block_scan_algorithmE0ELj4294967295EEENS1_25partition_config_selectorILNS1_17partition_subalgoE4EjNS0_10empty_typeEbEEZZNS1_14partition_implILS8_4ELb0ES6_15HIP_vector_typeIjLj2EENS0_17counting_iteratorIjlEEPS9_SG_NS0_5tupleIJPjSI_NS0_16reverse_iteratorISI_EEEEENSH_IJSG_SG_SG_EEES9_SI_JZNS1_25segmented_radix_sort_implINS0_14default_configELb0EPKbPbPKlPlN2at6native12_GLOBAL__N_18offset_tEEE10hipError_tPvRmT1_PNSt15iterator_traitsIS12_E10value_typeET2_T3_PNS13_IS18_E10value_typeET4_jRbjT5_S1E_jjP12ihipStream_tbEUljE_ZNSN_ISO_Lb0ESQ_SR_ST_SU_SY_EESZ_S10_S11_S12_S16_S17_S18_S1B_S1C_jS1D_jS1E_S1E_jjS1G_bEUljE0_EEESZ_S10_S11_S18_S1C_S1E_T6_T7_T9_mT8_S1G_bDpT10_ENKUlT_T0_E_clISt17integral_constantIbLb0EES1U_EEDaS1P_S1Q_EUlS1P_E_NS1_11comp_targetILNS1_3genE8ELNS1_11target_archE1030ELNS1_3gpuE2ELNS1_3repE0EEENS1_30default_config_static_selectorELNS0_4arch9wavefront6targetE0EEEvS12_, .Lfunc_end1569-_ZN7rocprim17ROCPRIM_400000_NS6detail17trampoline_kernelINS0_13select_configILj256ELj13ELNS0_17block_load_methodE3ELS4_3ELS4_3ELNS0_20block_scan_algorithmE0ELj4294967295EEENS1_25partition_config_selectorILNS1_17partition_subalgoE4EjNS0_10empty_typeEbEEZZNS1_14partition_implILS8_4ELb0ES6_15HIP_vector_typeIjLj2EENS0_17counting_iteratorIjlEEPS9_SG_NS0_5tupleIJPjSI_NS0_16reverse_iteratorISI_EEEEENSH_IJSG_SG_SG_EEES9_SI_JZNS1_25segmented_radix_sort_implINS0_14default_configELb0EPKbPbPKlPlN2at6native12_GLOBAL__N_18offset_tEEE10hipError_tPvRmT1_PNSt15iterator_traitsIS12_E10value_typeET2_T3_PNS13_IS18_E10value_typeET4_jRbjT5_S1E_jjP12ihipStream_tbEUljE_ZNSN_ISO_Lb0ESQ_SR_ST_SU_SY_EESZ_S10_S11_S12_S16_S17_S18_S1B_S1C_jS1D_jS1E_S1E_jjS1G_bEUljE0_EEESZ_S10_S11_S18_S1C_S1E_T6_T7_T9_mT8_S1G_bDpT10_ENKUlT_T0_E_clISt17integral_constantIbLb0EES1U_EEDaS1P_S1Q_EUlS1P_E_NS1_11comp_targetILNS1_3genE8ELNS1_11target_archE1030ELNS1_3gpuE2ELNS1_3repE0EEENS1_30default_config_static_selectorELNS0_4arch9wavefront6targetE0EEEvS12_
                                        ; -- End function
	.set _ZN7rocprim17ROCPRIM_400000_NS6detail17trampoline_kernelINS0_13select_configILj256ELj13ELNS0_17block_load_methodE3ELS4_3ELS4_3ELNS0_20block_scan_algorithmE0ELj4294967295EEENS1_25partition_config_selectorILNS1_17partition_subalgoE4EjNS0_10empty_typeEbEEZZNS1_14partition_implILS8_4ELb0ES6_15HIP_vector_typeIjLj2EENS0_17counting_iteratorIjlEEPS9_SG_NS0_5tupleIJPjSI_NS0_16reverse_iteratorISI_EEEEENSH_IJSG_SG_SG_EEES9_SI_JZNS1_25segmented_radix_sort_implINS0_14default_configELb0EPKbPbPKlPlN2at6native12_GLOBAL__N_18offset_tEEE10hipError_tPvRmT1_PNSt15iterator_traitsIS12_E10value_typeET2_T3_PNS13_IS18_E10value_typeET4_jRbjT5_S1E_jjP12ihipStream_tbEUljE_ZNSN_ISO_Lb0ESQ_SR_ST_SU_SY_EESZ_S10_S11_S12_S16_S17_S18_S1B_S1C_jS1D_jS1E_S1E_jjS1G_bEUljE0_EEESZ_S10_S11_S18_S1C_S1E_T6_T7_T9_mT8_S1G_bDpT10_ENKUlT_T0_E_clISt17integral_constantIbLb0EES1U_EEDaS1P_S1Q_EUlS1P_E_NS1_11comp_targetILNS1_3genE8ELNS1_11target_archE1030ELNS1_3gpuE2ELNS1_3repE0EEENS1_30default_config_static_selectorELNS0_4arch9wavefront6targetE0EEEvS12_.num_vgpr, 0
	.set _ZN7rocprim17ROCPRIM_400000_NS6detail17trampoline_kernelINS0_13select_configILj256ELj13ELNS0_17block_load_methodE3ELS4_3ELS4_3ELNS0_20block_scan_algorithmE0ELj4294967295EEENS1_25partition_config_selectorILNS1_17partition_subalgoE4EjNS0_10empty_typeEbEEZZNS1_14partition_implILS8_4ELb0ES6_15HIP_vector_typeIjLj2EENS0_17counting_iteratorIjlEEPS9_SG_NS0_5tupleIJPjSI_NS0_16reverse_iteratorISI_EEEEENSH_IJSG_SG_SG_EEES9_SI_JZNS1_25segmented_radix_sort_implINS0_14default_configELb0EPKbPbPKlPlN2at6native12_GLOBAL__N_18offset_tEEE10hipError_tPvRmT1_PNSt15iterator_traitsIS12_E10value_typeET2_T3_PNS13_IS18_E10value_typeET4_jRbjT5_S1E_jjP12ihipStream_tbEUljE_ZNSN_ISO_Lb0ESQ_SR_ST_SU_SY_EESZ_S10_S11_S12_S16_S17_S18_S1B_S1C_jS1D_jS1E_S1E_jjS1G_bEUljE0_EEESZ_S10_S11_S18_S1C_S1E_T6_T7_T9_mT8_S1G_bDpT10_ENKUlT_T0_E_clISt17integral_constantIbLb0EES1U_EEDaS1P_S1Q_EUlS1P_E_NS1_11comp_targetILNS1_3genE8ELNS1_11target_archE1030ELNS1_3gpuE2ELNS1_3repE0EEENS1_30default_config_static_selectorELNS0_4arch9wavefront6targetE0EEEvS12_.num_agpr, 0
	.set _ZN7rocprim17ROCPRIM_400000_NS6detail17trampoline_kernelINS0_13select_configILj256ELj13ELNS0_17block_load_methodE3ELS4_3ELS4_3ELNS0_20block_scan_algorithmE0ELj4294967295EEENS1_25partition_config_selectorILNS1_17partition_subalgoE4EjNS0_10empty_typeEbEEZZNS1_14partition_implILS8_4ELb0ES6_15HIP_vector_typeIjLj2EENS0_17counting_iteratorIjlEEPS9_SG_NS0_5tupleIJPjSI_NS0_16reverse_iteratorISI_EEEEENSH_IJSG_SG_SG_EEES9_SI_JZNS1_25segmented_radix_sort_implINS0_14default_configELb0EPKbPbPKlPlN2at6native12_GLOBAL__N_18offset_tEEE10hipError_tPvRmT1_PNSt15iterator_traitsIS12_E10value_typeET2_T3_PNS13_IS18_E10value_typeET4_jRbjT5_S1E_jjP12ihipStream_tbEUljE_ZNSN_ISO_Lb0ESQ_SR_ST_SU_SY_EESZ_S10_S11_S12_S16_S17_S18_S1B_S1C_jS1D_jS1E_S1E_jjS1G_bEUljE0_EEESZ_S10_S11_S18_S1C_S1E_T6_T7_T9_mT8_S1G_bDpT10_ENKUlT_T0_E_clISt17integral_constantIbLb0EES1U_EEDaS1P_S1Q_EUlS1P_E_NS1_11comp_targetILNS1_3genE8ELNS1_11target_archE1030ELNS1_3gpuE2ELNS1_3repE0EEENS1_30default_config_static_selectorELNS0_4arch9wavefront6targetE0EEEvS12_.numbered_sgpr, 0
	.set _ZN7rocprim17ROCPRIM_400000_NS6detail17trampoline_kernelINS0_13select_configILj256ELj13ELNS0_17block_load_methodE3ELS4_3ELS4_3ELNS0_20block_scan_algorithmE0ELj4294967295EEENS1_25partition_config_selectorILNS1_17partition_subalgoE4EjNS0_10empty_typeEbEEZZNS1_14partition_implILS8_4ELb0ES6_15HIP_vector_typeIjLj2EENS0_17counting_iteratorIjlEEPS9_SG_NS0_5tupleIJPjSI_NS0_16reverse_iteratorISI_EEEEENSH_IJSG_SG_SG_EEES9_SI_JZNS1_25segmented_radix_sort_implINS0_14default_configELb0EPKbPbPKlPlN2at6native12_GLOBAL__N_18offset_tEEE10hipError_tPvRmT1_PNSt15iterator_traitsIS12_E10value_typeET2_T3_PNS13_IS18_E10value_typeET4_jRbjT5_S1E_jjP12ihipStream_tbEUljE_ZNSN_ISO_Lb0ESQ_SR_ST_SU_SY_EESZ_S10_S11_S12_S16_S17_S18_S1B_S1C_jS1D_jS1E_S1E_jjS1G_bEUljE0_EEESZ_S10_S11_S18_S1C_S1E_T6_T7_T9_mT8_S1G_bDpT10_ENKUlT_T0_E_clISt17integral_constantIbLb0EES1U_EEDaS1P_S1Q_EUlS1P_E_NS1_11comp_targetILNS1_3genE8ELNS1_11target_archE1030ELNS1_3gpuE2ELNS1_3repE0EEENS1_30default_config_static_selectorELNS0_4arch9wavefront6targetE0EEEvS12_.num_named_barrier, 0
	.set _ZN7rocprim17ROCPRIM_400000_NS6detail17trampoline_kernelINS0_13select_configILj256ELj13ELNS0_17block_load_methodE3ELS4_3ELS4_3ELNS0_20block_scan_algorithmE0ELj4294967295EEENS1_25partition_config_selectorILNS1_17partition_subalgoE4EjNS0_10empty_typeEbEEZZNS1_14partition_implILS8_4ELb0ES6_15HIP_vector_typeIjLj2EENS0_17counting_iteratorIjlEEPS9_SG_NS0_5tupleIJPjSI_NS0_16reverse_iteratorISI_EEEEENSH_IJSG_SG_SG_EEES9_SI_JZNS1_25segmented_radix_sort_implINS0_14default_configELb0EPKbPbPKlPlN2at6native12_GLOBAL__N_18offset_tEEE10hipError_tPvRmT1_PNSt15iterator_traitsIS12_E10value_typeET2_T3_PNS13_IS18_E10value_typeET4_jRbjT5_S1E_jjP12ihipStream_tbEUljE_ZNSN_ISO_Lb0ESQ_SR_ST_SU_SY_EESZ_S10_S11_S12_S16_S17_S18_S1B_S1C_jS1D_jS1E_S1E_jjS1G_bEUljE0_EEESZ_S10_S11_S18_S1C_S1E_T6_T7_T9_mT8_S1G_bDpT10_ENKUlT_T0_E_clISt17integral_constantIbLb0EES1U_EEDaS1P_S1Q_EUlS1P_E_NS1_11comp_targetILNS1_3genE8ELNS1_11target_archE1030ELNS1_3gpuE2ELNS1_3repE0EEENS1_30default_config_static_selectorELNS0_4arch9wavefront6targetE0EEEvS12_.private_seg_size, 0
	.set _ZN7rocprim17ROCPRIM_400000_NS6detail17trampoline_kernelINS0_13select_configILj256ELj13ELNS0_17block_load_methodE3ELS4_3ELS4_3ELNS0_20block_scan_algorithmE0ELj4294967295EEENS1_25partition_config_selectorILNS1_17partition_subalgoE4EjNS0_10empty_typeEbEEZZNS1_14partition_implILS8_4ELb0ES6_15HIP_vector_typeIjLj2EENS0_17counting_iteratorIjlEEPS9_SG_NS0_5tupleIJPjSI_NS0_16reverse_iteratorISI_EEEEENSH_IJSG_SG_SG_EEES9_SI_JZNS1_25segmented_radix_sort_implINS0_14default_configELb0EPKbPbPKlPlN2at6native12_GLOBAL__N_18offset_tEEE10hipError_tPvRmT1_PNSt15iterator_traitsIS12_E10value_typeET2_T3_PNS13_IS18_E10value_typeET4_jRbjT5_S1E_jjP12ihipStream_tbEUljE_ZNSN_ISO_Lb0ESQ_SR_ST_SU_SY_EESZ_S10_S11_S12_S16_S17_S18_S1B_S1C_jS1D_jS1E_S1E_jjS1G_bEUljE0_EEESZ_S10_S11_S18_S1C_S1E_T6_T7_T9_mT8_S1G_bDpT10_ENKUlT_T0_E_clISt17integral_constantIbLb0EES1U_EEDaS1P_S1Q_EUlS1P_E_NS1_11comp_targetILNS1_3genE8ELNS1_11target_archE1030ELNS1_3gpuE2ELNS1_3repE0EEENS1_30default_config_static_selectorELNS0_4arch9wavefront6targetE0EEEvS12_.uses_vcc, 0
	.set _ZN7rocprim17ROCPRIM_400000_NS6detail17trampoline_kernelINS0_13select_configILj256ELj13ELNS0_17block_load_methodE3ELS4_3ELS4_3ELNS0_20block_scan_algorithmE0ELj4294967295EEENS1_25partition_config_selectorILNS1_17partition_subalgoE4EjNS0_10empty_typeEbEEZZNS1_14partition_implILS8_4ELb0ES6_15HIP_vector_typeIjLj2EENS0_17counting_iteratorIjlEEPS9_SG_NS0_5tupleIJPjSI_NS0_16reverse_iteratorISI_EEEEENSH_IJSG_SG_SG_EEES9_SI_JZNS1_25segmented_radix_sort_implINS0_14default_configELb0EPKbPbPKlPlN2at6native12_GLOBAL__N_18offset_tEEE10hipError_tPvRmT1_PNSt15iterator_traitsIS12_E10value_typeET2_T3_PNS13_IS18_E10value_typeET4_jRbjT5_S1E_jjP12ihipStream_tbEUljE_ZNSN_ISO_Lb0ESQ_SR_ST_SU_SY_EESZ_S10_S11_S12_S16_S17_S18_S1B_S1C_jS1D_jS1E_S1E_jjS1G_bEUljE0_EEESZ_S10_S11_S18_S1C_S1E_T6_T7_T9_mT8_S1G_bDpT10_ENKUlT_T0_E_clISt17integral_constantIbLb0EES1U_EEDaS1P_S1Q_EUlS1P_E_NS1_11comp_targetILNS1_3genE8ELNS1_11target_archE1030ELNS1_3gpuE2ELNS1_3repE0EEENS1_30default_config_static_selectorELNS0_4arch9wavefront6targetE0EEEvS12_.uses_flat_scratch, 0
	.set _ZN7rocprim17ROCPRIM_400000_NS6detail17trampoline_kernelINS0_13select_configILj256ELj13ELNS0_17block_load_methodE3ELS4_3ELS4_3ELNS0_20block_scan_algorithmE0ELj4294967295EEENS1_25partition_config_selectorILNS1_17partition_subalgoE4EjNS0_10empty_typeEbEEZZNS1_14partition_implILS8_4ELb0ES6_15HIP_vector_typeIjLj2EENS0_17counting_iteratorIjlEEPS9_SG_NS0_5tupleIJPjSI_NS0_16reverse_iteratorISI_EEEEENSH_IJSG_SG_SG_EEES9_SI_JZNS1_25segmented_radix_sort_implINS0_14default_configELb0EPKbPbPKlPlN2at6native12_GLOBAL__N_18offset_tEEE10hipError_tPvRmT1_PNSt15iterator_traitsIS12_E10value_typeET2_T3_PNS13_IS18_E10value_typeET4_jRbjT5_S1E_jjP12ihipStream_tbEUljE_ZNSN_ISO_Lb0ESQ_SR_ST_SU_SY_EESZ_S10_S11_S12_S16_S17_S18_S1B_S1C_jS1D_jS1E_S1E_jjS1G_bEUljE0_EEESZ_S10_S11_S18_S1C_S1E_T6_T7_T9_mT8_S1G_bDpT10_ENKUlT_T0_E_clISt17integral_constantIbLb0EES1U_EEDaS1P_S1Q_EUlS1P_E_NS1_11comp_targetILNS1_3genE8ELNS1_11target_archE1030ELNS1_3gpuE2ELNS1_3repE0EEENS1_30default_config_static_selectorELNS0_4arch9wavefront6targetE0EEEvS12_.has_dyn_sized_stack, 0
	.set _ZN7rocprim17ROCPRIM_400000_NS6detail17trampoline_kernelINS0_13select_configILj256ELj13ELNS0_17block_load_methodE3ELS4_3ELS4_3ELNS0_20block_scan_algorithmE0ELj4294967295EEENS1_25partition_config_selectorILNS1_17partition_subalgoE4EjNS0_10empty_typeEbEEZZNS1_14partition_implILS8_4ELb0ES6_15HIP_vector_typeIjLj2EENS0_17counting_iteratorIjlEEPS9_SG_NS0_5tupleIJPjSI_NS0_16reverse_iteratorISI_EEEEENSH_IJSG_SG_SG_EEES9_SI_JZNS1_25segmented_radix_sort_implINS0_14default_configELb0EPKbPbPKlPlN2at6native12_GLOBAL__N_18offset_tEEE10hipError_tPvRmT1_PNSt15iterator_traitsIS12_E10value_typeET2_T3_PNS13_IS18_E10value_typeET4_jRbjT5_S1E_jjP12ihipStream_tbEUljE_ZNSN_ISO_Lb0ESQ_SR_ST_SU_SY_EESZ_S10_S11_S12_S16_S17_S18_S1B_S1C_jS1D_jS1E_S1E_jjS1G_bEUljE0_EEESZ_S10_S11_S18_S1C_S1E_T6_T7_T9_mT8_S1G_bDpT10_ENKUlT_T0_E_clISt17integral_constantIbLb0EES1U_EEDaS1P_S1Q_EUlS1P_E_NS1_11comp_targetILNS1_3genE8ELNS1_11target_archE1030ELNS1_3gpuE2ELNS1_3repE0EEENS1_30default_config_static_selectorELNS0_4arch9wavefront6targetE0EEEvS12_.has_recursion, 0
	.set _ZN7rocprim17ROCPRIM_400000_NS6detail17trampoline_kernelINS0_13select_configILj256ELj13ELNS0_17block_load_methodE3ELS4_3ELS4_3ELNS0_20block_scan_algorithmE0ELj4294967295EEENS1_25partition_config_selectorILNS1_17partition_subalgoE4EjNS0_10empty_typeEbEEZZNS1_14partition_implILS8_4ELb0ES6_15HIP_vector_typeIjLj2EENS0_17counting_iteratorIjlEEPS9_SG_NS0_5tupleIJPjSI_NS0_16reverse_iteratorISI_EEEEENSH_IJSG_SG_SG_EEES9_SI_JZNS1_25segmented_radix_sort_implINS0_14default_configELb0EPKbPbPKlPlN2at6native12_GLOBAL__N_18offset_tEEE10hipError_tPvRmT1_PNSt15iterator_traitsIS12_E10value_typeET2_T3_PNS13_IS18_E10value_typeET4_jRbjT5_S1E_jjP12ihipStream_tbEUljE_ZNSN_ISO_Lb0ESQ_SR_ST_SU_SY_EESZ_S10_S11_S12_S16_S17_S18_S1B_S1C_jS1D_jS1E_S1E_jjS1G_bEUljE0_EEESZ_S10_S11_S18_S1C_S1E_T6_T7_T9_mT8_S1G_bDpT10_ENKUlT_T0_E_clISt17integral_constantIbLb0EES1U_EEDaS1P_S1Q_EUlS1P_E_NS1_11comp_targetILNS1_3genE8ELNS1_11target_archE1030ELNS1_3gpuE2ELNS1_3repE0EEENS1_30default_config_static_selectorELNS0_4arch9wavefront6targetE0EEEvS12_.has_indirect_call, 0
	.section	.AMDGPU.csdata,"",@progbits
; Kernel info:
; codeLenInByte = 0
; TotalNumSgprs: 0
; NumVgprs: 0
; ScratchSize: 0
; MemoryBound: 0
; FloatMode: 240
; IeeeMode: 1
; LDSByteSize: 0 bytes/workgroup (compile time only)
; SGPRBlocks: 0
; VGPRBlocks: 0
; NumSGPRsForWavesPerEU: 1
; NumVGPRsForWavesPerEU: 1
; NamedBarCnt: 0
; Occupancy: 16
; WaveLimiterHint : 0
; COMPUTE_PGM_RSRC2:SCRATCH_EN: 0
; COMPUTE_PGM_RSRC2:USER_SGPR: 2
; COMPUTE_PGM_RSRC2:TRAP_HANDLER: 0
; COMPUTE_PGM_RSRC2:TGID_X_EN: 1
; COMPUTE_PGM_RSRC2:TGID_Y_EN: 0
; COMPUTE_PGM_RSRC2:TGID_Z_EN: 0
; COMPUTE_PGM_RSRC2:TIDIG_COMP_CNT: 0
	.section	.text._ZN7rocprim17ROCPRIM_400000_NS6detail17trampoline_kernelINS0_13select_configILj256ELj13ELNS0_17block_load_methodE3ELS4_3ELS4_3ELNS0_20block_scan_algorithmE0ELj4294967295EEENS1_25partition_config_selectorILNS1_17partition_subalgoE4EjNS0_10empty_typeEbEEZZNS1_14partition_implILS8_4ELb0ES6_15HIP_vector_typeIjLj2EENS0_17counting_iteratorIjlEEPS9_SG_NS0_5tupleIJPjSI_NS0_16reverse_iteratorISI_EEEEENSH_IJSG_SG_SG_EEES9_SI_JZNS1_25segmented_radix_sort_implINS0_14default_configELb0EPKbPbPKlPlN2at6native12_GLOBAL__N_18offset_tEEE10hipError_tPvRmT1_PNSt15iterator_traitsIS12_E10value_typeET2_T3_PNS13_IS18_E10value_typeET4_jRbjT5_S1E_jjP12ihipStream_tbEUljE_ZNSN_ISO_Lb0ESQ_SR_ST_SU_SY_EESZ_S10_S11_S12_S16_S17_S18_S1B_S1C_jS1D_jS1E_S1E_jjS1G_bEUljE0_EEESZ_S10_S11_S18_S1C_S1E_T6_T7_T9_mT8_S1G_bDpT10_ENKUlT_T0_E_clISt17integral_constantIbLb1EES1U_EEDaS1P_S1Q_EUlS1P_E_NS1_11comp_targetILNS1_3genE0ELNS1_11target_archE4294967295ELNS1_3gpuE0ELNS1_3repE0EEENS1_30default_config_static_selectorELNS0_4arch9wavefront6targetE0EEEvS12_,"axG",@progbits,_ZN7rocprim17ROCPRIM_400000_NS6detail17trampoline_kernelINS0_13select_configILj256ELj13ELNS0_17block_load_methodE3ELS4_3ELS4_3ELNS0_20block_scan_algorithmE0ELj4294967295EEENS1_25partition_config_selectorILNS1_17partition_subalgoE4EjNS0_10empty_typeEbEEZZNS1_14partition_implILS8_4ELb0ES6_15HIP_vector_typeIjLj2EENS0_17counting_iteratorIjlEEPS9_SG_NS0_5tupleIJPjSI_NS0_16reverse_iteratorISI_EEEEENSH_IJSG_SG_SG_EEES9_SI_JZNS1_25segmented_radix_sort_implINS0_14default_configELb0EPKbPbPKlPlN2at6native12_GLOBAL__N_18offset_tEEE10hipError_tPvRmT1_PNSt15iterator_traitsIS12_E10value_typeET2_T3_PNS13_IS18_E10value_typeET4_jRbjT5_S1E_jjP12ihipStream_tbEUljE_ZNSN_ISO_Lb0ESQ_SR_ST_SU_SY_EESZ_S10_S11_S12_S16_S17_S18_S1B_S1C_jS1D_jS1E_S1E_jjS1G_bEUljE0_EEESZ_S10_S11_S18_S1C_S1E_T6_T7_T9_mT8_S1G_bDpT10_ENKUlT_T0_E_clISt17integral_constantIbLb1EES1U_EEDaS1P_S1Q_EUlS1P_E_NS1_11comp_targetILNS1_3genE0ELNS1_11target_archE4294967295ELNS1_3gpuE0ELNS1_3repE0EEENS1_30default_config_static_selectorELNS0_4arch9wavefront6targetE0EEEvS12_,comdat
	.globl	_ZN7rocprim17ROCPRIM_400000_NS6detail17trampoline_kernelINS0_13select_configILj256ELj13ELNS0_17block_load_methodE3ELS4_3ELS4_3ELNS0_20block_scan_algorithmE0ELj4294967295EEENS1_25partition_config_selectorILNS1_17partition_subalgoE4EjNS0_10empty_typeEbEEZZNS1_14partition_implILS8_4ELb0ES6_15HIP_vector_typeIjLj2EENS0_17counting_iteratorIjlEEPS9_SG_NS0_5tupleIJPjSI_NS0_16reverse_iteratorISI_EEEEENSH_IJSG_SG_SG_EEES9_SI_JZNS1_25segmented_radix_sort_implINS0_14default_configELb0EPKbPbPKlPlN2at6native12_GLOBAL__N_18offset_tEEE10hipError_tPvRmT1_PNSt15iterator_traitsIS12_E10value_typeET2_T3_PNS13_IS18_E10value_typeET4_jRbjT5_S1E_jjP12ihipStream_tbEUljE_ZNSN_ISO_Lb0ESQ_SR_ST_SU_SY_EESZ_S10_S11_S12_S16_S17_S18_S1B_S1C_jS1D_jS1E_S1E_jjS1G_bEUljE0_EEESZ_S10_S11_S18_S1C_S1E_T6_T7_T9_mT8_S1G_bDpT10_ENKUlT_T0_E_clISt17integral_constantIbLb1EES1U_EEDaS1P_S1Q_EUlS1P_E_NS1_11comp_targetILNS1_3genE0ELNS1_11target_archE4294967295ELNS1_3gpuE0ELNS1_3repE0EEENS1_30default_config_static_selectorELNS0_4arch9wavefront6targetE0EEEvS12_ ; -- Begin function _ZN7rocprim17ROCPRIM_400000_NS6detail17trampoline_kernelINS0_13select_configILj256ELj13ELNS0_17block_load_methodE3ELS4_3ELS4_3ELNS0_20block_scan_algorithmE0ELj4294967295EEENS1_25partition_config_selectorILNS1_17partition_subalgoE4EjNS0_10empty_typeEbEEZZNS1_14partition_implILS8_4ELb0ES6_15HIP_vector_typeIjLj2EENS0_17counting_iteratorIjlEEPS9_SG_NS0_5tupleIJPjSI_NS0_16reverse_iteratorISI_EEEEENSH_IJSG_SG_SG_EEES9_SI_JZNS1_25segmented_radix_sort_implINS0_14default_configELb0EPKbPbPKlPlN2at6native12_GLOBAL__N_18offset_tEEE10hipError_tPvRmT1_PNSt15iterator_traitsIS12_E10value_typeET2_T3_PNS13_IS18_E10value_typeET4_jRbjT5_S1E_jjP12ihipStream_tbEUljE_ZNSN_ISO_Lb0ESQ_SR_ST_SU_SY_EESZ_S10_S11_S12_S16_S17_S18_S1B_S1C_jS1D_jS1E_S1E_jjS1G_bEUljE0_EEESZ_S10_S11_S18_S1C_S1E_T6_T7_T9_mT8_S1G_bDpT10_ENKUlT_T0_E_clISt17integral_constantIbLb1EES1U_EEDaS1P_S1Q_EUlS1P_E_NS1_11comp_targetILNS1_3genE0ELNS1_11target_archE4294967295ELNS1_3gpuE0ELNS1_3repE0EEENS1_30default_config_static_selectorELNS0_4arch9wavefront6targetE0EEEvS12_
	.p2align	8
	.type	_ZN7rocprim17ROCPRIM_400000_NS6detail17trampoline_kernelINS0_13select_configILj256ELj13ELNS0_17block_load_methodE3ELS4_3ELS4_3ELNS0_20block_scan_algorithmE0ELj4294967295EEENS1_25partition_config_selectorILNS1_17partition_subalgoE4EjNS0_10empty_typeEbEEZZNS1_14partition_implILS8_4ELb0ES6_15HIP_vector_typeIjLj2EENS0_17counting_iteratorIjlEEPS9_SG_NS0_5tupleIJPjSI_NS0_16reverse_iteratorISI_EEEEENSH_IJSG_SG_SG_EEES9_SI_JZNS1_25segmented_radix_sort_implINS0_14default_configELb0EPKbPbPKlPlN2at6native12_GLOBAL__N_18offset_tEEE10hipError_tPvRmT1_PNSt15iterator_traitsIS12_E10value_typeET2_T3_PNS13_IS18_E10value_typeET4_jRbjT5_S1E_jjP12ihipStream_tbEUljE_ZNSN_ISO_Lb0ESQ_SR_ST_SU_SY_EESZ_S10_S11_S12_S16_S17_S18_S1B_S1C_jS1D_jS1E_S1E_jjS1G_bEUljE0_EEESZ_S10_S11_S18_S1C_S1E_T6_T7_T9_mT8_S1G_bDpT10_ENKUlT_T0_E_clISt17integral_constantIbLb1EES1U_EEDaS1P_S1Q_EUlS1P_E_NS1_11comp_targetILNS1_3genE0ELNS1_11target_archE4294967295ELNS1_3gpuE0ELNS1_3repE0EEENS1_30default_config_static_selectorELNS0_4arch9wavefront6targetE0EEEvS12_,@function
_ZN7rocprim17ROCPRIM_400000_NS6detail17trampoline_kernelINS0_13select_configILj256ELj13ELNS0_17block_load_methodE3ELS4_3ELS4_3ELNS0_20block_scan_algorithmE0ELj4294967295EEENS1_25partition_config_selectorILNS1_17partition_subalgoE4EjNS0_10empty_typeEbEEZZNS1_14partition_implILS8_4ELb0ES6_15HIP_vector_typeIjLj2EENS0_17counting_iteratorIjlEEPS9_SG_NS0_5tupleIJPjSI_NS0_16reverse_iteratorISI_EEEEENSH_IJSG_SG_SG_EEES9_SI_JZNS1_25segmented_radix_sort_implINS0_14default_configELb0EPKbPbPKlPlN2at6native12_GLOBAL__N_18offset_tEEE10hipError_tPvRmT1_PNSt15iterator_traitsIS12_E10value_typeET2_T3_PNS13_IS18_E10value_typeET4_jRbjT5_S1E_jjP12ihipStream_tbEUljE_ZNSN_ISO_Lb0ESQ_SR_ST_SU_SY_EESZ_S10_S11_S12_S16_S17_S18_S1B_S1C_jS1D_jS1E_S1E_jjS1G_bEUljE0_EEESZ_S10_S11_S18_S1C_S1E_T6_T7_T9_mT8_S1G_bDpT10_ENKUlT_T0_E_clISt17integral_constantIbLb1EES1U_EEDaS1P_S1Q_EUlS1P_E_NS1_11comp_targetILNS1_3genE0ELNS1_11target_archE4294967295ELNS1_3gpuE0ELNS1_3repE0EEENS1_30default_config_static_selectorELNS0_4arch9wavefront6targetE0EEEvS12_: ; @_ZN7rocprim17ROCPRIM_400000_NS6detail17trampoline_kernelINS0_13select_configILj256ELj13ELNS0_17block_load_methodE3ELS4_3ELS4_3ELNS0_20block_scan_algorithmE0ELj4294967295EEENS1_25partition_config_selectorILNS1_17partition_subalgoE4EjNS0_10empty_typeEbEEZZNS1_14partition_implILS8_4ELb0ES6_15HIP_vector_typeIjLj2EENS0_17counting_iteratorIjlEEPS9_SG_NS0_5tupleIJPjSI_NS0_16reverse_iteratorISI_EEEEENSH_IJSG_SG_SG_EEES9_SI_JZNS1_25segmented_radix_sort_implINS0_14default_configELb0EPKbPbPKlPlN2at6native12_GLOBAL__N_18offset_tEEE10hipError_tPvRmT1_PNSt15iterator_traitsIS12_E10value_typeET2_T3_PNS13_IS18_E10value_typeET4_jRbjT5_S1E_jjP12ihipStream_tbEUljE_ZNSN_ISO_Lb0ESQ_SR_ST_SU_SY_EESZ_S10_S11_S12_S16_S17_S18_S1B_S1C_jS1D_jS1E_S1E_jjS1G_bEUljE0_EEESZ_S10_S11_S18_S1C_S1E_T6_T7_T9_mT8_S1G_bDpT10_ENKUlT_T0_E_clISt17integral_constantIbLb1EES1U_EEDaS1P_S1Q_EUlS1P_E_NS1_11comp_targetILNS1_3genE0ELNS1_11target_archE4294967295ELNS1_3gpuE0ELNS1_3repE0EEENS1_30default_config_static_selectorELNS0_4arch9wavefront6targetE0EEEvS12_
; %bb.0:
	s_endpgm
	.section	.rodata,"a",@progbits
	.p2align	6, 0x0
	.amdhsa_kernel _ZN7rocprim17ROCPRIM_400000_NS6detail17trampoline_kernelINS0_13select_configILj256ELj13ELNS0_17block_load_methodE3ELS4_3ELS4_3ELNS0_20block_scan_algorithmE0ELj4294967295EEENS1_25partition_config_selectorILNS1_17partition_subalgoE4EjNS0_10empty_typeEbEEZZNS1_14partition_implILS8_4ELb0ES6_15HIP_vector_typeIjLj2EENS0_17counting_iteratorIjlEEPS9_SG_NS0_5tupleIJPjSI_NS0_16reverse_iteratorISI_EEEEENSH_IJSG_SG_SG_EEES9_SI_JZNS1_25segmented_radix_sort_implINS0_14default_configELb0EPKbPbPKlPlN2at6native12_GLOBAL__N_18offset_tEEE10hipError_tPvRmT1_PNSt15iterator_traitsIS12_E10value_typeET2_T3_PNS13_IS18_E10value_typeET4_jRbjT5_S1E_jjP12ihipStream_tbEUljE_ZNSN_ISO_Lb0ESQ_SR_ST_SU_SY_EESZ_S10_S11_S12_S16_S17_S18_S1B_S1C_jS1D_jS1E_S1E_jjS1G_bEUljE0_EEESZ_S10_S11_S18_S1C_S1E_T6_T7_T9_mT8_S1G_bDpT10_ENKUlT_T0_E_clISt17integral_constantIbLb1EES1U_EEDaS1P_S1Q_EUlS1P_E_NS1_11comp_targetILNS1_3genE0ELNS1_11target_archE4294967295ELNS1_3gpuE0ELNS1_3repE0EEENS1_30default_config_static_selectorELNS0_4arch9wavefront6targetE0EEEvS12_
		.amdhsa_group_segment_fixed_size 0
		.amdhsa_private_segment_fixed_size 0
		.amdhsa_kernarg_size 184
		.amdhsa_user_sgpr_count 2
		.amdhsa_user_sgpr_dispatch_ptr 0
		.amdhsa_user_sgpr_queue_ptr 0
		.amdhsa_user_sgpr_kernarg_segment_ptr 1
		.amdhsa_user_sgpr_dispatch_id 0
		.amdhsa_user_sgpr_kernarg_preload_length 0
		.amdhsa_user_sgpr_kernarg_preload_offset 0
		.amdhsa_user_sgpr_private_segment_size 0
		.amdhsa_wavefront_size32 1
		.amdhsa_uses_dynamic_stack 0
		.amdhsa_enable_private_segment 0
		.amdhsa_system_sgpr_workgroup_id_x 1
		.amdhsa_system_sgpr_workgroup_id_y 0
		.amdhsa_system_sgpr_workgroup_id_z 0
		.amdhsa_system_sgpr_workgroup_info 0
		.amdhsa_system_vgpr_workitem_id 0
		.amdhsa_next_free_vgpr 1
		.amdhsa_next_free_sgpr 1
		.amdhsa_named_barrier_count 0
		.amdhsa_reserve_vcc 0
		.amdhsa_float_round_mode_32 0
		.amdhsa_float_round_mode_16_64 0
		.amdhsa_float_denorm_mode_32 3
		.amdhsa_float_denorm_mode_16_64 3
		.amdhsa_fp16_overflow 0
		.amdhsa_memory_ordered 1
		.amdhsa_forward_progress 1
		.amdhsa_inst_pref_size 1
		.amdhsa_round_robin_scheduling 0
		.amdhsa_exception_fp_ieee_invalid_op 0
		.amdhsa_exception_fp_denorm_src 0
		.amdhsa_exception_fp_ieee_div_zero 0
		.amdhsa_exception_fp_ieee_overflow 0
		.amdhsa_exception_fp_ieee_underflow 0
		.amdhsa_exception_fp_ieee_inexact 0
		.amdhsa_exception_int_div_zero 0
	.end_amdhsa_kernel
	.section	.text._ZN7rocprim17ROCPRIM_400000_NS6detail17trampoline_kernelINS0_13select_configILj256ELj13ELNS0_17block_load_methodE3ELS4_3ELS4_3ELNS0_20block_scan_algorithmE0ELj4294967295EEENS1_25partition_config_selectorILNS1_17partition_subalgoE4EjNS0_10empty_typeEbEEZZNS1_14partition_implILS8_4ELb0ES6_15HIP_vector_typeIjLj2EENS0_17counting_iteratorIjlEEPS9_SG_NS0_5tupleIJPjSI_NS0_16reverse_iteratorISI_EEEEENSH_IJSG_SG_SG_EEES9_SI_JZNS1_25segmented_radix_sort_implINS0_14default_configELb0EPKbPbPKlPlN2at6native12_GLOBAL__N_18offset_tEEE10hipError_tPvRmT1_PNSt15iterator_traitsIS12_E10value_typeET2_T3_PNS13_IS18_E10value_typeET4_jRbjT5_S1E_jjP12ihipStream_tbEUljE_ZNSN_ISO_Lb0ESQ_SR_ST_SU_SY_EESZ_S10_S11_S12_S16_S17_S18_S1B_S1C_jS1D_jS1E_S1E_jjS1G_bEUljE0_EEESZ_S10_S11_S18_S1C_S1E_T6_T7_T9_mT8_S1G_bDpT10_ENKUlT_T0_E_clISt17integral_constantIbLb1EES1U_EEDaS1P_S1Q_EUlS1P_E_NS1_11comp_targetILNS1_3genE0ELNS1_11target_archE4294967295ELNS1_3gpuE0ELNS1_3repE0EEENS1_30default_config_static_selectorELNS0_4arch9wavefront6targetE0EEEvS12_,"axG",@progbits,_ZN7rocprim17ROCPRIM_400000_NS6detail17trampoline_kernelINS0_13select_configILj256ELj13ELNS0_17block_load_methodE3ELS4_3ELS4_3ELNS0_20block_scan_algorithmE0ELj4294967295EEENS1_25partition_config_selectorILNS1_17partition_subalgoE4EjNS0_10empty_typeEbEEZZNS1_14partition_implILS8_4ELb0ES6_15HIP_vector_typeIjLj2EENS0_17counting_iteratorIjlEEPS9_SG_NS0_5tupleIJPjSI_NS0_16reverse_iteratorISI_EEEEENSH_IJSG_SG_SG_EEES9_SI_JZNS1_25segmented_radix_sort_implINS0_14default_configELb0EPKbPbPKlPlN2at6native12_GLOBAL__N_18offset_tEEE10hipError_tPvRmT1_PNSt15iterator_traitsIS12_E10value_typeET2_T3_PNS13_IS18_E10value_typeET4_jRbjT5_S1E_jjP12ihipStream_tbEUljE_ZNSN_ISO_Lb0ESQ_SR_ST_SU_SY_EESZ_S10_S11_S12_S16_S17_S18_S1B_S1C_jS1D_jS1E_S1E_jjS1G_bEUljE0_EEESZ_S10_S11_S18_S1C_S1E_T6_T7_T9_mT8_S1G_bDpT10_ENKUlT_T0_E_clISt17integral_constantIbLb1EES1U_EEDaS1P_S1Q_EUlS1P_E_NS1_11comp_targetILNS1_3genE0ELNS1_11target_archE4294967295ELNS1_3gpuE0ELNS1_3repE0EEENS1_30default_config_static_selectorELNS0_4arch9wavefront6targetE0EEEvS12_,comdat
.Lfunc_end1570:
	.size	_ZN7rocprim17ROCPRIM_400000_NS6detail17trampoline_kernelINS0_13select_configILj256ELj13ELNS0_17block_load_methodE3ELS4_3ELS4_3ELNS0_20block_scan_algorithmE0ELj4294967295EEENS1_25partition_config_selectorILNS1_17partition_subalgoE4EjNS0_10empty_typeEbEEZZNS1_14partition_implILS8_4ELb0ES6_15HIP_vector_typeIjLj2EENS0_17counting_iteratorIjlEEPS9_SG_NS0_5tupleIJPjSI_NS0_16reverse_iteratorISI_EEEEENSH_IJSG_SG_SG_EEES9_SI_JZNS1_25segmented_radix_sort_implINS0_14default_configELb0EPKbPbPKlPlN2at6native12_GLOBAL__N_18offset_tEEE10hipError_tPvRmT1_PNSt15iterator_traitsIS12_E10value_typeET2_T3_PNS13_IS18_E10value_typeET4_jRbjT5_S1E_jjP12ihipStream_tbEUljE_ZNSN_ISO_Lb0ESQ_SR_ST_SU_SY_EESZ_S10_S11_S12_S16_S17_S18_S1B_S1C_jS1D_jS1E_S1E_jjS1G_bEUljE0_EEESZ_S10_S11_S18_S1C_S1E_T6_T7_T9_mT8_S1G_bDpT10_ENKUlT_T0_E_clISt17integral_constantIbLb1EES1U_EEDaS1P_S1Q_EUlS1P_E_NS1_11comp_targetILNS1_3genE0ELNS1_11target_archE4294967295ELNS1_3gpuE0ELNS1_3repE0EEENS1_30default_config_static_selectorELNS0_4arch9wavefront6targetE0EEEvS12_, .Lfunc_end1570-_ZN7rocprim17ROCPRIM_400000_NS6detail17trampoline_kernelINS0_13select_configILj256ELj13ELNS0_17block_load_methodE3ELS4_3ELS4_3ELNS0_20block_scan_algorithmE0ELj4294967295EEENS1_25partition_config_selectorILNS1_17partition_subalgoE4EjNS0_10empty_typeEbEEZZNS1_14partition_implILS8_4ELb0ES6_15HIP_vector_typeIjLj2EENS0_17counting_iteratorIjlEEPS9_SG_NS0_5tupleIJPjSI_NS0_16reverse_iteratorISI_EEEEENSH_IJSG_SG_SG_EEES9_SI_JZNS1_25segmented_radix_sort_implINS0_14default_configELb0EPKbPbPKlPlN2at6native12_GLOBAL__N_18offset_tEEE10hipError_tPvRmT1_PNSt15iterator_traitsIS12_E10value_typeET2_T3_PNS13_IS18_E10value_typeET4_jRbjT5_S1E_jjP12ihipStream_tbEUljE_ZNSN_ISO_Lb0ESQ_SR_ST_SU_SY_EESZ_S10_S11_S12_S16_S17_S18_S1B_S1C_jS1D_jS1E_S1E_jjS1G_bEUljE0_EEESZ_S10_S11_S18_S1C_S1E_T6_T7_T9_mT8_S1G_bDpT10_ENKUlT_T0_E_clISt17integral_constantIbLb1EES1U_EEDaS1P_S1Q_EUlS1P_E_NS1_11comp_targetILNS1_3genE0ELNS1_11target_archE4294967295ELNS1_3gpuE0ELNS1_3repE0EEENS1_30default_config_static_selectorELNS0_4arch9wavefront6targetE0EEEvS12_
                                        ; -- End function
	.set _ZN7rocprim17ROCPRIM_400000_NS6detail17trampoline_kernelINS0_13select_configILj256ELj13ELNS0_17block_load_methodE3ELS4_3ELS4_3ELNS0_20block_scan_algorithmE0ELj4294967295EEENS1_25partition_config_selectorILNS1_17partition_subalgoE4EjNS0_10empty_typeEbEEZZNS1_14partition_implILS8_4ELb0ES6_15HIP_vector_typeIjLj2EENS0_17counting_iteratorIjlEEPS9_SG_NS0_5tupleIJPjSI_NS0_16reverse_iteratorISI_EEEEENSH_IJSG_SG_SG_EEES9_SI_JZNS1_25segmented_radix_sort_implINS0_14default_configELb0EPKbPbPKlPlN2at6native12_GLOBAL__N_18offset_tEEE10hipError_tPvRmT1_PNSt15iterator_traitsIS12_E10value_typeET2_T3_PNS13_IS18_E10value_typeET4_jRbjT5_S1E_jjP12ihipStream_tbEUljE_ZNSN_ISO_Lb0ESQ_SR_ST_SU_SY_EESZ_S10_S11_S12_S16_S17_S18_S1B_S1C_jS1D_jS1E_S1E_jjS1G_bEUljE0_EEESZ_S10_S11_S18_S1C_S1E_T6_T7_T9_mT8_S1G_bDpT10_ENKUlT_T0_E_clISt17integral_constantIbLb1EES1U_EEDaS1P_S1Q_EUlS1P_E_NS1_11comp_targetILNS1_3genE0ELNS1_11target_archE4294967295ELNS1_3gpuE0ELNS1_3repE0EEENS1_30default_config_static_selectorELNS0_4arch9wavefront6targetE0EEEvS12_.num_vgpr, 0
	.set _ZN7rocprim17ROCPRIM_400000_NS6detail17trampoline_kernelINS0_13select_configILj256ELj13ELNS0_17block_load_methodE3ELS4_3ELS4_3ELNS0_20block_scan_algorithmE0ELj4294967295EEENS1_25partition_config_selectorILNS1_17partition_subalgoE4EjNS0_10empty_typeEbEEZZNS1_14partition_implILS8_4ELb0ES6_15HIP_vector_typeIjLj2EENS0_17counting_iteratorIjlEEPS9_SG_NS0_5tupleIJPjSI_NS0_16reverse_iteratorISI_EEEEENSH_IJSG_SG_SG_EEES9_SI_JZNS1_25segmented_radix_sort_implINS0_14default_configELb0EPKbPbPKlPlN2at6native12_GLOBAL__N_18offset_tEEE10hipError_tPvRmT1_PNSt15iterator_traitsIS12_E10value_typeET2_T3_PNS13_IS18_E10value_typeET4_jRbjT5_S1E_jjP12ihipStream_tbEUljE_ZNSN_ISO_Lb0ESQ_SR_ST_SU_SY_EESZ_S10_S11_S12_S16_S17_S18_S1B_S1C_jS1D_jS1E_S1E_jjS1G_bEUljE0_EEESZ_S10_S11_S18_S1C_S1E_T6_T7_T9_mT8_S1G_bDpT10_ENKUlT_T0_E_clISt17integral_constantIbLb1EES1U_EEDaS1P_S1Q_EUlS1P_E_NS1_11comp_targetILNS1_3genE0ELNS1_11target_archE4294967295ELNS1_3gpuE0ELNS1_3repE0EEENS1_30default_config_static_selectorELNS0_4arch9wavefront6targetE0EEEvS12_.num_agpr, 0
	.set _ZN7rocprim17ROCPRIM_400000_NS6detail17trampoline_kernelINS0_13select_configILj256ELj13ELNS0_17block_load_methodE3ELS4_3ELS4_3ELNS0_20block_scan_algorithmE0ELj4294967295EEENS1_25partition_config_selectorILNS1_17partition_subalgoE4EjNS0_10empty_typeEbEEZZNS1_14partition_implILS8_4ELb0ES6_15HIP_vector_typeIjLj2EENS0_17counting_iteratorIjlEEPS9_SG_NS0_5tupleIJPjSI_NS0_16reverse_iteratorISI_EEEEENSH_IJSG_SG_SG_EEES9_SI_JZNS1_25segmented_radix_sort_implINS0_14default_configELb0EPKbPbPKlPlN2at6native12_GLOBAL__N_18offset_tEEE10hipError_tPvRmT1_PNSt15iterator_traitsIS12_E10value_typeET2_T3_PNS13_IS18_E10value_typeET4_jRbjT5_S1E_jjP12ihipStream_tbEUljE_ZNSN_ISO_Lb0ESQ_SR_ST_SU_SY_EESZ_S10_S11_S12_S16_S17_S18_S1B_S1C_jS1D_jS1E_S1E_jjS1G_bEUljE0_EEESZ_S10_S11_S18_S1C_S1E_T6_T7_T9_mT8_S1G_bDpT10_ENKUlT_T0_E_clISt17integral_constantIbLb1EES1U_EEDaS1P_S1Q_EUlS1P_E_NS1_11comp_targetILNS1_3genE0ELNS1_11target_archE4294967295ELNS1_3gpuE0ELNS1_3repE0EEENS1_30default_config_static_selectorELNS0_4arch9wavefront6targetE0EEEvS12_.numbered_sgpr, 0
	.set _ZN7rocprim17ROCPRIM_400000_NS6detail17trampoline_kernelINS0_13select_configILj256ELj13ELNS0_17block_load_methodE3ELS4_3ELS4_3ELNS0_20block_scan_algorithmE0ELj4294967295EEENS1_25partition_config_selectorILNS1_17partition_subalgoE4EjNS0_10empty_typeEbEEZZNS1_14partition_implILS8_4ELb0ES6_15HIP_vector_typeIjLj2EENS0_17counting_iteratorIjlEEPS9_SG_NS0_5tupleIJPjSI_NS0_16reverse_iteratorISI_EEEEENSH_IJSG_SG_SG_EEES9_SI_JZNS1_25segmented_radix_sort_implINS0_14default_configELb0EPKbPbPKlPlN2at6native12_GLOBAL__N_18offset_tEEE10hipError_tPvRmT1_PNSt15iterator_traitsIS12_E10value_typeET2_T3_PNS13_IS18_E10value_typeET4_jRbjT5_S1E_jjP12ihipStream_tbEUljE_ZNSN_ISO_Lb0ESQ_SR_ST_SU_SY_EESZ_S10_S11_S12_S16_S17_S18_S1B_S1C_jS1D_jS1E_S1E_jjS1G_bEUljE0_EEESZ_S10_S11_S18_S1C_S1E_T6_T7_T9_mT8_S1G_bDpT10_ENKUlT_T0_E_clISt17integral_constantIbLb1EES1U_EEDaS1P_S1Q_EUlS1P_E_NS1_11comp_targetILNS1_3genE0ELNS1_11target_archE4294967295ELNS1_3gpuE0ELNS1_3repE0EEENS1_30default_config_static_selectorELNS0_4arch9wavefront6targetE0EEEvS12_.num_named_barrier, 0
	.set _ZN7rocprim17ROCPRIM_400000_NS6detail17trampoline_kernelINS0_13select_configILj256ELj13ELNS0_17block_load_methodE3ELS4_3ELS4_3ELNS0_20block_scan_algorithmE0ELj4294967295EEENS1_25partition_config_selectorILNS1_17partition_subalgoE4EjNS0_10empty_typeEbEEZZNS1_14partition_implILS8_4ELb0ES6_15HIP_vector_typeIjLj2EENS0_17counting_iteratorIjlEEPS9_SG_NS0_5tupleIJPjSI_NS0_16reverse_iteratorISI_EEEEENSH_IJSG_SG_SG_EEES9_SI_JZNS1_25segmented_radix_sort_implINS0_14default_configELb0EPKbPbPKlPlN2at6native12_GLOBAL__N_18offset_tEEE10hipError_tPvRmT1_PNSt15iterator_traitsIS12_E10value_typeET2_T3_PNS13_IS18_E10value_typeET4_jRbjT5_S1E_jjP12ihipStream_tbEUljE_ZNSN_ISO_Lb0ESQ_SR_ST_SU_SY_EESZ_S10_S11_S12_S16_S17_S18_S1B_S1C_jS1D_jS1E_S1E_jjS1G_bEUljE0_EEESZ_S10_S11_S18_S1C_S1E_T6_T7_T9_mT8_S1G_bDpT10_ENKUlT_T0_E_clISt17integral_constantIbLb1EES1U_EEDaS1P_S1Q_EUlS1P_E_NS1_11comp_targetILNS1_3genE0ELNS1_11target_archE4294967295ELNS1_3gpuE0ELNS1_3repE0EEENS1_30default_config_static_selectorELNS0_4arch9wavefront6targetE0EEEvS12_.private_seg_size, 0
	.set _ZN7rocprim17ROCPRIM_400000_NS6detail17trampoline_kernelINS0_13select_configILj256ELj13ELNS0_17block_load_methodE3ELS4_3ELS4_3ELNS0_20block_scan_algorithmE0ELj4294967295EEENS1_25partition_config_selectorILNS1_17partition_subalgoE4EjNS0_10empty_typeEbEEZZNS1_14partition_implILS8_4ELb0ES6_15HIP_vector_typeIjLj2EENS0_17counting_iteratorIjlEEPS9_SG_NS0_5tupleIJPjSI_NS0_16reverse_iteratorISI_EEEEENSH_IJSG_SG_SG_EEES9_SI_JZNS1_25segmented_radix_sort_implINS0_14default_configELb0EPKbPbPKlPlN2at6native12_GLOBAL__N_18offset_tEEE10hipError_tPvRmT1_PNSt15iterator_traitsIS12_E10value_typeET2_T3_PNS13_IS18_E10value_typeET4_jRbjT5_S1E_jjP12ihipStream_tbEUljE_ZNSN_ISO_Lb0ESQ_SR_ST_SU_SY_EESZ_S10_S11_S12_S16_S17_S18_S1B_S1C_jS1D_jS1E_S1E_jjS1G_bEUljE0_EEESZ_S10_S11_S18_S1C_S1E_T6_T7_T9_mT8_S1G_bDpT10_ENKUlT_T0_E_clISt17integral_constantIbLb1EES1U_EEDaS1P_S1Q_EUlS1P_E_NS1_11comp_targetILNS1_3genE0ELNS1_11target_archE4294967295ELNS1_3gpuE0ELNS1_3repE0EEENS1_30default_config_static_selectorELNS0_4arch9wavefront6targetE0EEEvS12_.uses_vcc, 0
	.set _ZN7rocprim17ROCPRIM_400000_NS6detail17trampoline_kernelINS0_13select_configILj256ELj13ELNS0_17block_load_methodE3ELS4_3ELS4_3ELNS0_20block_scan_algorithmE0ELj4294967295EEENS1_25partition_config_selectorILNS1_17partition_subalgoE4EjNS0_10empty_typeEbEEZZNS1_14partition_implILS8_4ELb0ES6_15HIP_vector_typeIjLj2EENS0_17counting_iteratorIjlEEPS9_SG_NS0_5tupleIJPjSI_NS0_16reverse_iteratorISI_EEEEENSH_IJSG_SG_SG_EEES9_SI_JZNS1_25segmented_radix_sort_implINS0_14default_configELb0EPKbPbPKlPlN2at6native12_GLOBAL__N_18offset_tEEE10hipError_tPvRmT1_PNSt15iterator_traitsIS12_E10value_typeET2_T3_PNS13_IS18_E10value_typeET4_jRbjT5_S1E_jjP12ihipStream_tbEUljE_ZNSN_ISO_Lb0ESQ_SR_ST_SU_SY_EESZ_S10_S11_S12_S16_S17_S18_S1B_S1C_jS1D_jS1E_S1E_jjS1G_bEUljE0_EEESZ_S10_S11_S18_S1C_S1E_T6_T7_T9_mT8_S1G_bDpT10_ENKUlT_T0_E_clISt17integral_constantIbLb1EES1U_EEDaS1P_S1Q_EUlS1P_E_NS1_11comp_targetILNS1_3genE0ELNS1_11target_archE4294967295ELNS1_3gpuE0ELNS1_3repE0EEENS1_30default_config_static_selectorELNS0_4arch9wavefront6targetE0EEEvS12_.uses_flat_scratch, 0
	.set _ZN7rocprim17ROCPRIM_400000_NS6detail17trampoline_kernelINS0_13select_configILj256ELj13ELNS0_17block_load_methodE3ELS4_3ELS4_3ELNS0_20block_scan_algorithmE0ELj4294967295EEENS1_25partition_config_selectorILNS1_17partition_subalgoE4EjNS0_10empty_typeEbEEZZNS1_14partition_implILS8_4ELb0ES6_15HIP_vector_typeIjLj2EENS0_17counting_iteratorIjlEEPS9_SG_NS0_5tupleIJPjSI_NS0_16reverse_iteratorISI_EEEEENSH_IJSG_SG_SG_EEES9_SI_JZNS1_25segmented_radix_sort_implINS0_14default_configELb0EPKbPbPKlPlN2at6native12_GLOBAL__N_18offset_tEEE10hipError_tPvRmT1_PNSt15iterator_traitsIS12_E10value_typeET2_T3_PNS13_IS18_E10value_typeET4_jRbjT5_S1E_jjP12ihipStream_tbEUljE_ZNSN_ISO_Lb0ESQ_SR_ST_SU_SY_EESZ_S10_S11_S12_S16_S17_S18_S1B_S1C_jS1D_jS1E_S1E_jjS1G_bEUljE0_EEESZ_S10_S11_S18_S1C_S1E_T6_T7_T9_mT8_S1G_bDpT10_ENKUlT_T0_E_clISt17integral_constantIbLb1EES1U_EEDaS1P_S1Q_EUlS1P_E_NS1_11comp_targetILNS1_3genE0ELNS1_11target_archE4294967295ELNS1_3gpuE0ELNS1_3repE0EEENS1_30default_config_static_selectorELNS0_4arch9wavefront6targetE0EEEvS12_.has_dyn_sized_stack, 0
	.set _ZN7rocprim17ROCPRIM_400000_NS6detail17trampoline_kernelINS0_13select_configILj256ELj13ELNS0_17block_load_methodE3ELS4_3ELS4_3ELNS0_20block_scan_algorithmE0ELj4294967295EEENS1_25partition_config_selectorILNS1_17partition_subalgoE4EjNS0_10empty_typeEbEEZZNS1_14partition_implILS8_4ELb0ES6_15HIP_vector_typeIjLj2EENS0_17counting_iteratorIjlEEPS9_SG_NS0_5tupleIJPjSI_NS0_16reverse_iteratorISI_EEEEENSH_IJSG_SG_SG_EEES9_SI_JZNS1_25segmented_radix_sort_implINS0_14default_configELb0EPKbPbPKlPlN2at6native12_GLOBAL__N_18offset_tEEE10hipError_tPvRmT1_PNSt15iterator_traitsIS12_E10value_typeET2_T3_PNS13_IS18_E10value_typeET4_jRbjT5_S1E_jjP12ihipStream_tbEUljE_ZNSN_ISO_Lb0ESQ_SR_ST_SU_SY_EESZ_S10_S11_S12_S16_S17_S18_S1B_S1C_jS1D_jS1E_S1E_jjS1G_bEUljE0_EEESZ_S10_S11_S18_S1C_S1E_T6_T7_T9_mT8_S1G_bDpT10_ENKUlT_T0_E_clISt17integral_constantIbLb1EES1U_EEDaS1P_S1Q_EUlS1P_E_NS1_11comp_targetILNS1_3genE0ELNS1_11target_archE4294967295ELNS1_3gpuE0ELNS1_3repE0EEENS1_30default_config_static_selectorELNS0_4arch9wavefront6targetE0EEEvS12_.has_recursion, 0
	.set _ZN7rocprim17ROCPRIM_400000_NS6detail17trampoline_kernelINS0_13select_configILj256ELj13ELNS0_17block_load_methodE3ELS4_3ELS4_3ELNS0_20block_scan_algorithmE0ELj4294967295EEENS1_25partition_config_selectorILNS1_17partition_subalgoE4EjNS0_10empty_typeEbEEZZNS1_14partition_implILS8_4ELb0ES6_15HIP_vector_typeIjLj2EENS0_17counting_iteratorIjlEEPS9_SG_NS0_5tupleIJPjSI_NS0_16reverse_iteratorISI_EEEEENSH_IJSG_SG_SG_EEES9_SI_JZNS1_25segmented_radix_sort_implINS0_14default_configELb0EPKbPbPKlPlN2at6native12_GLOBAL__N_18offset_tEEE10hipError_tPvRmT1_PNSt15iterator_traitsIS12_E10value_typeET2_T3_PNS13_IS18_E10value_typeET4_jRbjT5_S1E_jjP12ihipStream_tbEUljE_ZNSN_ISO_Lb0ESQ_SR_ST_SU_SY_EESZ_S10_S11_S12_S16_S17_S18_S1B_S1C_jS1D_jS1E_S1E_jjS1G_bEUljE0_EEESZ_S10_S11_S18_S1C_S1E_T6_T7_T9_mT8_S1G_bDpT10_ENKUlT_T0_E_clISt17integral_constantIbLb1EES1U_EEDaS1P_S1Q_EUlS1P_E_NS1_11comp_targetILNS1_3genE0ELNS1_11target_archE4294967295ELNS1_3gpuE0ELNS1_3repE0EEENS1_30default_config_static_selectorELNS0_4arch9wavefront6targetE0EEEvS12_.has_indirect_call, 0
	.section	.AMDGPU.csdata,"",@progbits
; Kernel info:
; codeLenInByte = 4
; TotalNumSgprs: 0
; NumVgprs: 0
; ScratchSize: 0
; MemoryBound: 0
; FloatMode: 240
; IeeeMode: 1
; LDSByteSize: 0 bytes/workgroup (compile time only)
; SGPRBlocks: 0
; VGPRBlocks: 0
; NumSGPRsForWavesPerEU: 1
; NumVGPRsForWavesPerEU: 1
; NamedBarCnt: 0
; Occupancy: 16
; WaveLimiterHint : 0
; COMPUTE_PGM_RSRC2:SCRATCH_EN: 0
; COMPUTE_PGM_RSRC2:USER_SGPR: 2
; COMPUTE_PGM_RSRC2:TRAP_HANDLER: 0
; COMPUTE_PGM_RSRC2:TGID_X_EN: 1
; COMPUTE_PGM_RSRC2:TGID_Y_EN: 0
; COMPUTE_PGM_RSRC2:TGID_Z_EN: 0
; COMPUTE_PGM_RSRC2:TIDIG_COMP_CNT: 0
	.section	.text._ZN7rocprim17ROCPRIM_400000_NS6detail17trampoline_kernelINS0_13select_configILj256ELj13ELNS0_17block_load_methodE3ELS4_3ELS4_3ELNS0_20block_scan_algorithmE0ELj4294967295EEENS1_25partition_config_selectorILNS1_17partition_subalgoE4EjNS0_10empty_typeEbEEZZNS1_14partition_implILS8_4ELb0ES6_15HIP_vector_typeIjLj2EENS0_17counting_iteratorIjlEEPS9_SG_NS0_5tupleIJPjSI_NS0_16reverse_iteratorISI_EEEEENSH_IJSG_SG_SG_EEES9_SI_JZNS1_25segmented_radix_sort_implINS0_14default_configELb0EPKbPbPKlPlN2at6native12_GLOBAL__N_18offset_tEEE10hipError_tPvRmT1_PNSt15iterator_traitsIS12_E10value_typeET2_T3_PNS13_IS18_E10value_typeET4_jRbjT5_S1E_jjP12ihipStream_tbEUljE_ZNSN_ISO_Lb0ESQ_SR_ST_SU_SY_EESZ_S10_S11_S12_S16_S17_S18_S1B_S1C_jS1D_jS1E_S1E_jjS1G_bEUljE0_EEESZ_S10_S11_S18_S1C_S1E_T6_T7_T9_mT8_S1G_bDpT10_ENKUlT_T0_E_clISt17integral_constantIbLb1EES1U_EEDaS1P_S1Q_EUlS1P_E_NS1_11comp_targetILNS1_3genE5ELNS1_11target_archE942ELNS1_3gpuE9ELNS1_3repE0EEENS1_30default_config_static_selectorELNS0_4arch9wavefront6targetE0EEEvS12_,"axG",@progbits,_ZN7rocprim17ROCPRIM_400000_NS6detail17trampoline_kernelINS0_13select_configILj256ELj13ELNS0_17block_load_methodE3ELS4_3ELS4_3ELNS0_20block_scan_algorithmE0ELj4294967295EEENS1_25partition_config_selectorILNS1_17partition_subalgoE4EjNS0_10empty_typeEbEEZZNS1_14partition_implILS8_4ELb0ES6_15HIP_vector_typeIjLj2EENS0_17counting_iteratorIjlEEPS9_SG_NS0_5tupleIJPjSI_NS0_16reverse_iteratorISI_EEEEENSH_IJSG_SG_SG_EEES9_SI_JZNS1_25segmented_radix_sort_implINS0_14default_configELb0EPKbPbPKlPlN2at6native12_GLOBAL__N_18offset_tEEE10hipError_tPvRmT1_PNSt15iterator_traitsIS12_E10value_typeET2_T3_PNS13_IS18_E10value_typeET4_jRbjT5_S1E_jjP12ihipStream_tbEUljE_ZNSN_ISO_Lb0ESQ_SR_ST_SU_SY_EESZ_S10_S11_S12_S16_S17_S18_S1B_S1C_jS1D_jS1E_S1E_jjS1G_bEUljE0_EEESZ_S10_S11_S18_S1C_S1E_T6_T7_T9_mT8_S1G_bDpT10_ENKUlT_T0_E_clISt17integral_constantIbLb1EES1U_EEDaS1P_S1Q_EUlS1P_E_NS1_11comp_targetILNS1_3genE5ELNS1_11target_archE942ELNS1_3gpuE9ELNS1_3repE0EEENS1_30default_config_static_selectorELNS0_4arch9wavefront6targetE0EEEvS12_,comdat
	.globl	_ZN7rocprim17ROCPRIM_400000_NS6detail17trampoline_kernelINS0_13select_configILj256ELj13ELNS0_17block_load_methodE3ELS4_3ELS4_3ELNS0_20block_scan_algorithmE0ELj4294967295EEENS1_25partition_config_selectorILNS1_17partition_subalgoE4EjNS0_10empty_typeEbEEZZNS1_14partition_implILS8_4ELb0ES6_15HIP_vector_typeIjLj2EENS0_17counting_iteratorIjlEEPS9_SG_NS0_5tupleIJPjSI_NS0_16reverse_iteratorISI_EEEEENSH_IJSG_SG_SG_EEES9_SI_JZNS1_25segmented_radix_sort_implINS0_14default_configELb0EPKbPbPKlPlN2at6native12_GLOBAL__N_18offset_tEEE10hipError_tPvRmT1_PNSt15iterator_traitsIS12_E10value_typeET2_T3_PNS13_IS18_E10value_typeET4_jRbjT5_S1E_jjP12ihipStream_tbEUljE_ZNSN_ISO_Lb0ESQ_SR_ST_SU_SY_EESZ_S10_S11_S12_S16_S17_S18_S1B_S1C_jS1D_jS1E_S1E_jjS1G_bEUljE0_EEESZ_S10_S11_S18_S1C_S1E_T6_T7_T9_mT8_S1G_bDpT10_ENKUlT_T0_E_clISt17integral_constantIbLb1EES1U_EEDaS1P_S1Q_EUlS1P_E_NS1_11comp_targetILNS1_3genE5ELNS1_11target_archE942ELNS1_3gpuE9ELNS1_3repE0EEENS1_30default_config_static_selectorELNS0_4arch9wavefront6targetE0EEEvS12_ ; -- Begin function _ZN7rocprim17ROCPRIM_400000_NS6detail17trampoline_kernelINS0_13select_configILj256ELj13ELNS0_17block_load_methodE3ELS4_3ELS4_3ELNS0_20block_scan_algorithmE0ELj4294967295EEENS1_25partition_config_selectorILNS1_17partition_subalgoE4EjNS0_10empty_typeEbEEZZNS1_14partition_implILS8_4ELb0ES6_15HIP_vector_typeIjLj2EENS0_17counting_iteratorIjlEEPS9_SG_NS0_5tupleIJPjSI_NS0_16reverse_iteratorISI_EEEEENSH_IJSG_SG_SG_EEES9_SI_JZNS1_25segmented_radix_sort_implINS0_14default_configELb0EPKbPbPKlPlN2at6native12_GLOBAL__N_18offset_tEEE10hipError_tPvRmT1_PNSt15iterator_traitsIS12_E10value_typeET2_T3_PNS13_IS18_E10value_typeET4_jRbjT5_S1E_jjP12ihipStream_tbEUljE_ZNSN_ISO_Lb0ESQ_SR_ST_SU_SY_EESZ_S10_S11_S12_S16_S17_S18_S1B_S1C_jS1D_jS1E_S1E_jjS1G_bEUljE0_EEESZ_S10_S11_S18_S1C_S1E_T6_T7_T9_mT8_S1G_bDpT10_ENKUlT_T0_E_clISt17integral_constantIbLb1EES1U_EEDaS1P_S1Q_EUlS1P_E_NS1_11comp_targetILNS1_3genE5ELNS1_11target_archE942ELNS1_3gpuE9ELNS1_3repE0EEENS1_30default_config_static_selectorELNS0_4arch9wavefront6targetE0EEEvS12_
	.p2align	8
	.type	_ZN7rocprim17ROCPRIM_400000_NS6detail17trampoline_kernelINS0_13select_configILj256ELj13ELNS0_17block_load_methodE3ELS4_3ELS4_3ELNS0_20block_scan_algorithmE0ELj4294967295EEENS1_25partition_config_selectorILNS1_17partition_subalgoE4EjNS0_10empty_typeEbEEZZNS1_14partition_implILS8_4ELb0ES6_15HIP_vector_typeIjLj2EENS0_17counting_iteratorIjlEEPS9_SG_NS0_5tupleIJPjSI_NS0_16reverse_iteratorISI_EEEEENSH_IJSG_SG_SG_EEES9_SI_JZNS1_25segmented_radix_sort_implINS0_14default_configELb0EPKbPbPKlPlN2at6native12_GLOBAL__N_18offset_tEEE10hipError_tPvRmT1_PNSt15iterator_traitsIS12_E10value_typeET2_T3_PNS13_IS18_E10value_typeET4_jRbjT5_S1E_jjP12ihipStream_tbEUljE_ZNSN_ISO_Lb0ESQ_SR_ST_SU_SY_EESZ_S10_S11_S12_S16_S17_S18_S1B_S1C_jS1D_jS1E_S1E_jjS1G_bEUljE0_EEESZ_S10_S11_S18_S1C_S1E_T6_T7_T9_mT8_S1G_bDpT10_ENKUlT_T0_E_clISt17integral_constantIbLb1EES1U_EEDaS1P_S1Q_EUlS1P_E_NS1_11comp_targetILNS1_3genE5ELNS1_11target_archE942ELNS1_3gpuE9ELNS1_3repE0EEENS1_30default_config_static_selectorELNS0_4arch9wavefront6targetE0EEEvS12_,@function
_ZN7rocprim17ROCPRIM_400000_NS6detail17trampoline_kernelINS0_13select_configILj256ELj13ELNS0_17block_load_methodE3ELS4_3ELS4_3ELNS0_20block_scan_algorithmE0ELj4294967295EEENS1_25partition_config_selectorILNS1_17partition_subalgoE4EjNS0_10empty_typeEbEEZZNS1_14partition_implILS8_4ELb0ES6_15HIP_vector_typeIjLj2EENS0_17counting_iteratorIjlEEPS9_SG_NS0_5tupleIJPjSI_NS0_16reverse_iteratorISI_EEEEENSH_IJSG_SG_SG_EEES9_SI_JZNS1_25segmented_radix_sort_implINS0_14default_configELb0EPKbPbPKlPlN2at6native12_GLOBAL__N_18offset_tEEE10hipError_tPvRmT1_PNSt15iterator_traitsIS12_E10value_typeET2_T3_PNS13_IS18_E10value_typeET4_jRbjT5_S1E_jjP12ihipStream_tbEUljE_ZNSN_ISO_Lb0ESQ_SR_ST_SU_SY_EESZ_S10_S11_S12_S16_S17_S18_S1B_S1C_jS1D_jS1E_S1E_jjS1G_bEUljE0_EEESZ_S10_S11_S18_S1C_S1E_T6_T7_T9_mT8_S1G_bDpT10_ENKUlT_T0_E_clISt17integral_constantIbLb1EES1U_EEDaS1P_S1Q_EUlS1P_E_NS1_11comp_targetILNS1_3genE5ELNS1_11target_archE942ELNS1_3gpuE9ELNS1_3repE0EEENS1_30default_config_static_selectorELNS0_4arch9wavefront6targetE0EEEvS12_: ; @_ZN7rocprim17ROCPRIM_400000_NS6detail17trampoline_kernelINS0_13select_configILj256ELj13ELNS0_17block_load_methodE3ELS4_3ELS4_3ELNS0_20block_scan_algorithmE0ELj4294967295EEENS1_25partition_config_selectorILNS1_17partition_subalgoE4EjNS0_10empty_typeEbEEZZNS1_14partition_implILS8_4ELb0ES6_15HIP_vector_typeIjLj2EENS0_17counting_iteratorIjlEEPS9_SG_NS0_5tupleIJPjSI_NS0_16reverse_iteratorISI_EEEEENSH_IJSG_SG_SG_EEES9_SI_JZNS1_25segmented_radix_sort_implINS0_14default_configELb0EPKbPbPKlPlN2at6native12_GLOBAL__N_18offset_tEEE10hipError_tPvRmT1_PNSt15iterator_traitsIS12_E10value_typeET2_T3_PNS13_IS18_E10value_typeET4_jRbjT5_S1E_jjP12ihipStream_tbEUljE_ZNSN_ISO_Lb0ESQ_SR_ST_SU_SY_EESZ_S10_S11_S12_S16_S17_S18_S1B_S1C_jS1D_jS1E_S1E_jjS1G_bEUljE0_EEESZ_S10_S11_S18_S1C_S1E_T6_T7_T9_mT8_S1G_bDpT10_ENKUlT_T0_E_clISt17integral_constantIbLb1EES1U_EEDaS1P_S1Q_EUlS1P_E_NS1_11comp_targetILNS1_3genE5ELNS1_11target_archE942ELNS1_3gpuE9ELNS1_3repE0EEENS1_30default_config_static_selectorELNS0_4arch9wavefront6targetE0EEEvS12_
; %bb.0:
	.section	.rodata,"a",@progbits
	.p2align	6, 0x0
	.amdhsa_kernel _ZN7rocprim17ROCPRIM_400000_NS6detail17trampoline_kernelINS0_13select_configILj256ELj13ELNS0_17block_load_methodE3ELS4_3ELS4_3ELNS0_20block_scan_algorithmE0ELj4294967295EEENS1_25partition_config_selectorILNS1_17partition_subalgoE4EjNS0_10empty_typeEbEEZZNS1_14partition_implILS8_4ELb0ES6_15HIP_vector_typeIjLj2EENS0_17counting_iteratorIjlEEPS9_SG_NS0_5tupleIJPjSI_NS0_16reverse_iteratorISI_EEEEENSH_IJSG_SG_SG_EEES9_SI_JZNS1_25segmented_radix_sort_implINS0_14default_configELb0EPKbPbPKlPlN2at6native12_GLOBAL__N_18offset_tEEE10hipError_tPvRmT1_PNSt15iterator_traitsIS12_E10value_typeET2_T3_PNS13_IS18_E10value_typeET4_jRbjT5_S1E_jjP12ihipStream_tbEUljE_ZNSN_ISO_Lb0ESQ_SR_ST_SU_SY_EESZ_S10_S11_S12_S16_S17_S18_S1B_S1C_jS1D_jS1E_S1E_jjS1G_bEUljE0_EEESZ_S10_S11_S18_S1C_S1E_T6_T7_T9_mT8_S1G_bDpT10_ENKUlT_T0_E_clISt17integral_constantIbLb1EES1U_EEDaS1P_S1Q_EUlS1P_E_NS1_11comp_targetILNS1_3genE5ELNS1_11target_archE942ELNS1_3gpuE9ELNS1_3repE0EEENS1_30default_config_static_selectorELNS0_4arch9wavefront6targetE0EEEvS12_
		.amdhsa_group_segment_fixed_size 0
		.amdhsa_private_segment_fixed_size 0
		.amdhsa_kernarg_size 184
		.amdhsa_user_sgpr_count 2
		.amdhsa_user_sgpr_dispatch_ptr 0
		.amdhsa_user_sgpr_queue_ptr 0
		.amdhsa_user_sgpr_kernarg_segment_ptr 1
		.amdhsa_user_sgpr_dispatch_id 0
		.amdhsa_user_sgpr_kernarg_preload_length 0
		.amdhsa_user_sgpr_kernarg_preload_offset 0
		.amdhsa_user_sgpr_private_segment_size 0
		.amdhsa_wavefront_size32 1
		.amdhsa_uses_dynamic_stack 0
		.amdhsa_enable_private_segment 0
		.amdhsa_system_sgpr_workgroup_id_x 1
		.amdhsa_system_sgpr_workgroup_id_y 0
		.amdhsa_system_sgpr_workgroup_id_z 0
		.amdhsa_system_sgpr_workgroup_info 0
		.amdhsa_system_vgpr_workitem_id 0
		.amdhsa_next_free_vgpr 1
		.amdhsa_next_free_sgpr 1
		.amdhsa_named_barrier_count 0
		.amdhsa_reserve_vcc 0
		.amdhsa_float_round_mode_32 0
		.amdhsa_float_round_mode_16_64 0
		.amdhsa_float_denorm_mode_32 3
		.amdhsa_float_denorm_mode_16_64 3
		.amdhsa_fp16_overflow 0
		.amdhsa_memory_ordered 1
		.amdhsa_forward_progress 1
		.amdhsa_inst_pref_size 0
		.amdhsa_round_robin_scheduling 0
		.amdhsa_exception_fp_ieee_invalid_op 0
		.amdhsa_exception_fp_denorm_src 0
		.amdhsa_exception_fp_ieee_div_zero 0
		.amdhsa_exception_fp_ieee_overflow 0
		.amdhsa_exception_fp_ieee_underflow 0
		.amdhsa_exception_fp_ieee_inexact 0
		.amdhsa_exception_int_div_zero 0
	.end_amdhsa_kernel
	.section	.text._ZN7rocprim17ROCPRIM_400000_NS6detail17trampoline_kernelINS0_13select_configILj256ELj13ELNS0_17block_load_methodE3ELS4_3ELS4_3ELNS0_20block_scan_algorithmE0ELj4294967295EEENS1_25partition_config_selectorILNS1_17partition_subalgoE4EjNS0_10empty_typeEbEEZZNS1_14partition_implILS8_4ELb0ES6_15HIP_vector_typeIjLj2EENS0_17counting_iteratorIjlEEPS9_SG_NS0_5tupleIJPjSI_NS0_16reverse_iteratorISI_EEEEENSH_IJSG_SG_SG_EEES9_SI_JZNS1_25segmented_radix_sort_implINS0_14default_configELb0EPKbPbPKlPlN2at6native12_GLOBAL__N_18offset_tEEE10hipError_tPvRmT1_PNSt15iterator_traitsIS12_E10value_typeET2_T3_PNS13_IS18_E10value_typeET4_jRbjT5_S1E_jjP12ihipStream_tbEUljE_ZNSN_ISO_Lb0ESQ_SR_ST_SU_SY_EESZ_S10_S11_S12_S16_S17_S18_S1B_S1C_jS1D_jS1E_S1E_jjS1G_bEUljE0_EEESZ_S10_S11_S18_S1C_S1E_T6_T7_T9_mT8_S1G_bDpT10_ENKUlT_T0_E_clISt17integral_constantIbLb1EES1U_EEDaS1P_S1Q_EUlS1P_E_NS1_11comp_targetILNS1_3genE5ELNS1_11target_archE942ELNS1_3gpuE9ELNS1_3repE0EEENS1_30default_config_static_selectorELNS0_4arch9wavefront6targetE0EEEvS12_,"axG",@progbits,_ZN7rocprim17ROCPRIM_400000_NS6detail17trampoline_kernelINS0_13select_configILj256ELj13ELNS0_17block_load_methodE3ELS4_3ELS4_3ELNS0_20block_scan_algorithmE0ELj4294967295EEENS1_25partition_config_selectorILNS1_17partition_subalgoE4EjNS0_10empty_typeEbEEZZNS1_14partition_implILS8_4ELb0ES6_15HIP_vector_typeIjLj2EENS0_17counting_iteratorIjlEEPS9_SG_NS0_5tupleIJPjSI_NS0_16reverse_iteratorISI_EEEEENSH_IJSG_SG_SG_EEES9_SI_JZNS1_25segmented_radix_sort_implINS0_14default_configELb0EPKbPbPKlPlN2at6native12_GLOBAL__N_18offset_tEEE10hipError_tPvRmT1_PNSt15iterator_traitsIS12_E10value_typeET2_T3_PNS13_IS18_E10value_typeET4_jRbjT5_S1E_jjP12ihipStream_tbEUljE_ZNSN_ISO_Lb0ESQ_SR_ST_SU_SY_EESZ_S10_S11_S12_S16_S17_S18_S1B_S1C_jS1D_jS1E_S1E_jjS1G_bEUljE0_EEESZ_S10_S11_S18_S1C_S1E_T6_T7_T9_mT8_S1G_bDpT10_ENKUlT_T0_E_clISt17integral_constantIbLb1EES1U_EEDaS1P_S1Q_EUlS1P_E_NS1_11comp_targetILNS1_3genE5ELNS1_11target_archE942ELNS1_3gpuE9ELNS1_3repE0EEENS1_30default_config_static_selectorELNS0_4arch9wavefront6targetE0EEEvS12_,comdat
.Lfunc_end1571:
	.size	_ZN7rocprim17ROCPRIM_400000_NS6detail17trampoline_kernelINS0_13select_configILj256ELj13ELNS0_17block_load_methodE3ELS4_3ELS4_3ELNS0_20block_scan_algorithmE0ELj4294967295EEENS1_25partition_config_selectorILNS1_17partition_subalgoE4EjNS0_10empty_typeEbEEZZNS1_14partition_implILS8_4ELb0ES6_15HIP_vector_typeIjLj2EENS0_17counting_iteratorIjlEEPS9_SG_NS0_5tupleIJPjSI_NS0_16reverse_iteratorISI_EEEEENSH_IJSG_SG_SG_EEES9_SI_JZNS1_25segmented_radix_sort_implINS0_14default_configELb0EPKbPbPKlPlN2at6native12_GLOBAL__N_18offset_tEEE10hipError_tPvRmT1_PNSt15iterator_traitsIS12_E10value_typeET2_T3_PNS13_IS18_E10value_typeET4_jRbjT5_S1E_jjP12ihipStream_tbEUljE_ZNSN_ISO_Lb0ESQ_SR_ST_SU_SY_EESZ_S10_S11_S12_S16_S17_S18_S1B_S1C_jS1D_jS1E_S1E_jjS1G_bEUljE0_EEESZ_S10_S11_S18_S1C_S1E_T6_T7_T9_mT8_S1G_bDpT10_ENKUlT_T0_E_clISt17integral_constantIbLb1EES1U_EEDaS1P_S1Q_EUlS1P_E_NS1_11comp_targetILNS1_3genE5ELNS1_11target_archE942ELNS1_3gpuE9ELNS1_3repE0EEENS1_30default_config_static_selectorELNS0_4arch9wavefront6targetE0EEEvS12_, .Lfunc_end1571-_ZN7rocprim17ROCPRIM_400000_NS6detail17trampoline_kernelINS0_13select_configILj256ELj13ELNS0_17block_load_methodE3ELS4_3ELS4_3ELNS0_20block_scan_algorithmE0ELj4294967295EEENS1_25partition_config_selectorILNS1_17partition_subalgoE4EjNS0_10empty_typeEbEEZZNS1_14partition_implILS8_4ELb0ES6_15HIP_vector_typeIjLj2EENS0_17counting_iteratorIjlEEPS9_SG_NS0_5tupleIJPjSI_NS0_16reverse_iteratorISI_EEEEENSH_IJSG_SG_SG_EEES9_SI_JZNS1_25segmented_radix_sort_implINS0_14default_configELb0EPKbPbPKlPlN2at6native12_GLOBAL__N_18offset_tEEE10hipError_tPvRmT1_PNSt15iterator_traitsIS12_E10value_typeET2_T3_PNS13_IS18_E10value_typeET4_jRbjT5_S1E_jjP12ihipStream_tbEUljE_ZNSN_ISO_Lb0ESQ_SR_ST_SU_SY_EESZ_S10_S11_S12_S16_S17_S18_S1B_S1C_jS1D_jS1E_S1E_jjS1G_bEUljE0_EEESZ_S10_S11_S18_S1C_S1E_T6_T7_T9_mT8_S1G_bDpT10_ENKUlT_T0_E_clISt17integral_constantIbLb1EES1U_EEDaS1P_S1Q_EUlS1P_E_NS1_11comp_targetILNS1_3genE5ELNS1_11target_archE942ELNS1_3gpuE9ELNS1_3repE0EEENS1_30default_config_static_selectorELNS0_4arch9wavefront6targetE0EEEvS12_
                                        ; -- End function
	.set _ZN7rocprim17ROCPRIM_400000_NS6detail17trampoline_kernelINS0_13select_configILj256ELj13ELNS0_17block_load_methodE3ELS4_3ELS4_3ELNS0_20block_scan_algorithmE0ELj4294967295EEENS1_25partition_config_selectorILNS1_17partition_subalgoE4EjNS0_10empty_typeEbEEZZNS1_14partition_implILS8_4ELb0ES6_15HIP_vector_typeIjLj2EENS0_17counting_iteratorIjlEEPS9_SG_NS0_5tupleIJPjSI_NS0_16reverse_iteratorISI_EEEEENSH_IJSG_SG_SG_EEES9_SI_JZNS1_25segmented_radix_sort_implINS0_14default_configELb0EPKbPbPKlPlN2at6native12_GLOBAL__N_18offset_tEEE10hipError_tPvRmT1_PNSt15iterator_traitsIS12_E10value_typeET2_T3_PNS13_IS18_E10value_typeET4_jRbjT5_S1E_jjP12ihipStream_tbEUljE_ZNSN_ISO_Lb0ESQ_SR_ST_SU_SY_EESZ_S10_S11_S12_S16_S17_S18_S1B_S1C_jS1D_jS1E_S1E_jjS1G_bEUljE0_EEESZ_S10_S11_S18_S1C_S1E_T6_T7_T9_mT8_S1G_bDpT10_ENKUlT_T0_E_clISt17integral_constantIbLb1EES1U_EEDaS1P_S1Q_EUlS1P_E_NS1_11comp_targetILNS1_3genE5ELNS1_11target_archE942ELNS1_3gpuE9ELNS1_3repE0EEENS1_30default_config_static_selectorELNS0_4arch9wavefront6targetE0EEEvS12_.num_vgpr, 0
	.set _ZN7rocprim17ROCPRIM_400000_NS6detail17trampoline_kernelINS0_13select_configILj256ELj13ELNS0_17block_load_methodE3ELS4_3ELS4_3ELNS0_20block_scan_algorithmE0ELj4294967295EEENS1_25partition_config_selectorILNS1_17partition_subalgoE4EjNS0_10empty_typeEbEEZZNS1_14partition_implILS8_4ELb0ES6_15HIP_vector_typeIjLj2EENS0_17counting_iteratorIjlEEPS9_SG_NS0_5tupleIJPjSI_NS0_16reverse_iteratorISI_EEEEENSH_IJSG_SG_SG_EEES9_SI_JZNS1_25segmented_radix_sort_implINS0_14default_configELb0EPKbPbPKlPlN2at6native12_GLOBAL__N_18offset_tEEE10hipError_tPvRmT1_PNSt15iterator_traitsIS12_E10value_typeET2_T3_PNS13_IS18_E10value_typeET4_jRbjT5_S1E_jjP12ihipStream_tbEUljE_ZNSN_ISO_Lb0ESQ_SR_ST_SU_SY_EESZ_S10_S11_S12_S16_S17_S18_S1B_S1C_jS1D_jS1E_S1E_jjS1G_bEUljE0_EEESZ_S10_S11_S18_S1C_S1E_T6_T7_T9_mT8_S1G_bDpT10_ENKUlT_T0_E_clISt17integral_constantIbLb1EES1U_EEDaS1P_S1Q_EUlS1P_E_NS1_11comp_targetILNS1_3genE5ELNS1_11target_archE942ELNS1_3gpuE9ELNS1_3repE0EEENS1_30default_config_static_selectorELNS0_4arch9wavefront6targetE0EEEvS12_.num_agpr, 0
	.set _ZN7rocprim17ROCPRIM_400000_NS6detail17trampoline_kernelINS0_13select_configILj256ELj13ELNS0_17block_load_methodE3ELS4_3ELS4_3ELNS0_20block_scan_algorithmE0ELj4294967295EEENS1_25partition_config_selectorILNS1_17partition_subalgoE4EjNS0_10empty_typeEbEEZZNS1_14partition_implILS8_4ELb0ES6_15HIP_vector_typeIjLj2EENS0_17counting_iteratorIjlEEPS9_SG_NS0_5tupleIJPjSI_NS0_16reverse_iteratorISI_EEEEENSH_IJSG_SG_SG_EEES9_SI_JZNS1_25segmented_radix_sort_implINS0_14default_configELb0EPKbPbPKlPlN2at6native12_GLOBAL__N_18offset_tEEE10hipError_tPvRmT1_PNSt15iterator_traitsIS12_E10value_typeET2_T3_PNS13_IS18_E10value_typeET4_jRbjT5_S1E_jjP12ihipStream_tbEUljE_ZNSN_ISO_Lb0ESQ_SR_ST_SU_SY_EESZ_S10_S11_S12_S16_S17_S18_S1B_S1C_jS1D_jS1E_S1E_jjS1G_bEUljE0_EEESZ_S10_S11_S18_S1C_S1E_T6_T7_T9_mT8_S1G_bDpT10_ENKUlT_T0_E_clISt17integral_constantIbLb1EES1U_EEDaS1P_S1Q_EUlS1P_E_NS1_11comp_targetILNS1_3genE5ELNS1_11target_archE942ELNS1_3gpuE9ELNS1_3repE0EEENS1_30default_config_static_selectorELNS0_4arch9wavefront6targetE0EEEvS12_.numbered_sgpr, 0
	.set _ZN7rocprim17ROCPRIM_400000_NS6detail17trampoline_kernelINS0_13select_configILj256ELj13ELNS0_17block_load_methodE3ELS4_3ELS4_3ELNS0_20block_scan_algorithmE0ELj4294967295EEENS1_25partition_config_selectorILNS1_17partition_subalgoE4EjNS0_10empty_typeEbEEZZNS1_14partition_implILS8_4ELb0ES6_15HIP_vector_typeIjLj2EENS0_17counting_iteratorIjlEEPS9_SG_NS0_5tupleIJPjSI_NS0_16reverse_iteratorISI_EEEEENSH_IJSG_SG_SG_EEES9_SI_JZNS1_25segmented_radix_sort_implINS0_14default_configELb0EPKbPbPKlPlN2at6native12_GLOBAL__N_18offset_tEEE10hipError_tPvRmT1_PNSt15iterator_traitsIS12_E10value_typeET2_T3_PNS13_IS18_E10value_typeET4_jRbjT5_S1E_jjP12ihipStream_tbEUljE_ZNSN_ISO_Lb0ESQ_SR_ST_SU_SY_EESZ_S10_S11_S12_S16_S17_S18_S1B_S1C_jS1D_jS1E_S1E_jjS1G_bEUljE0_EEESZ_S10_S11_S18_S1C_S1E_T6_T7_T9_mT8_S1G_bDpT10_ENKUlT_T0_E_clISt17integral_constantIbLb1EES1U_EEDaS1P_S1Q_EUlS1P_E_NS1_11comp_targetILNS1_3genE5ELNS1_11target_archE942ELNS1_3gpuE9ELNS1_3repE0EEENS1_30default_config_static_selectorELNS0_4arch9wavefront6targetE0EEEvS12_.num_named_barrier, 0
	.set _ZN7rocprim17ROCPRIM_400000_NS6detail17trampoline_kernelINS0_13select_configILj256ELj13ELNS0_17block_load_methodE3ELS4_3ELS4_3ELNS0_20block_scan_algorithmE0ELj4294967295EEENS1_25partition_config_selectorILNS1_17partition_subalgoE4EjNS0_10empty_typeEbEEZZNS1_14partition_implILS8_4ELb0ES6_15HIP_vector_typeIjLj2EENS0_17counting_iteratorIjlEEPS9_SG_NS0_5tupleIJPjSI_NS0_16reverse_iteratorISI_EEEEENSH_IJSG_SG_SG_EEES9_SI_JZNS1_25segmented_radix_sort_implINS0_14default_configELb0EPKbPbPKlPlN2at6native12_GLOBAL__N_18offset_tEEE10hipError_tPvRmT1_PNSt15iterator_traitsIS12_E10value_typeET2_T3_PNS13_IS18_E10value_typeET4_jRbjT5_S1E_jjP12ihipStream_tbEUljE_ZNSN_ISO_Lb0ESQ_SR_ST_SU_SY_EESZ_S10_S11_S12_S16_S17_S18_S1B_S1C_jS1D_jS1E_S1E_jjS1G_bEUljE0_EEESZ_S10_S11_S18_S1C_S1E_T6_T7_T9_mT8_S1G_bDpT10_ENKUlT_T0_E_clISt17integral_constantIbLb1EES1U_EEDaS1P_S1Q_EUlS1P_E_NS1_11comp_targetILNS1_3genE5ELNS1_11target_archE942ELNS1_3gpuE9ELNS1_3repE0EEENS1_30default_config_static_selectorELNS0_4arch9wavefront6targetE0EEEvS12_.private_seg_size, 0
	.set _ZN7rocprim17ROCPRIM_400000_NS6detail17trampoline_kernelINS0_13select_configILj256ELj13ELNS0_17block_load_methodE3ELS4_3ELS4_3ELNS0_20block_scan_algorithmE0ELj4294967295EEENS1_25partition_config_selectorILNS1_17partition_subalgoE4EjNS0_10empty_typeEbEEZZNS1_14partition_implILS8_4ELb0ES6_15HIP_vector_typeIjLj2EENS0_17counting_iteratorIjlEEPS9_SG_NS0_5tupleIJPjSI_NS0_16reverse_iteratorISI_EEEEENSH_IJSG_SG_SG_EEES9_SI_JZNS1_25segmented_radix_sort_implINS0_14default_configELb0EPKbPbPKlPlN2at6native12_GLOBAL__N_18offset_tEEE10hipError_tPvRmT1_PNSt15iterator_traitsIS12_E10value_typeET2_T3_PNS13_IS18_E10value_typeET4_jRbjT5_S1E_jjP12ihipStream_tbEUljE_ZNSN_ISO_Lb0ESQ_SR_ST_SU_SY_EESZ_S10_S11_S12_S16_S17_S18_S1B_S1C_jS1D_jS1E_S1E_jjS1G_bEUljE0_EEESZ_S10_S11_S18_S1C_S1E_T6_T7_T9_mT8_S1G_bDpT10_ENKUlT_T0_E_clISt17integral_constantIbLb1EES1U_EEDaS1P_S1Q_EUlS1P_E_NS1_11comp_targetILNS1_3genE5ELNS1_11target_archE942ELNS1_3gpuE9ELNS1_3repE0EEENS1_30default_config_static_selectorELNS0_4arch9wavefront6targetE0EEEvS12_.uses_vcc, 0
	.set _ZN7rocprim17ROCPRIM_400000_NS6detail17trampoline_kernelINS0_13select_configILj256ELj13ELNS0_17block_load_methodE3ELS4_3ELS4_3ELNS0_20block_scan_algorithmE0ELj4294967295EEENS1_25partition_config_selectorILNS1_17partition_subalgoE4EjNS0_10empty_typeEbEEZZNS1_14partition_implILS8_4ELb0ES6_15HIP_vector_typeIjLj2EENS0_17counting_iteratorIjlEEPS9_SG_NS0_5tupleIJPjSI_NS0_16reverse_iteratorISI_EEEEENSH_IJSG_SG_SG_EEES9_SI_JZNS1_25segmented_radix_sort_implINS0_14default_configELb0EPKbPbPKlPlN2at6native12_GLOBAL__N_18offset_tEEE10hipError_tPvRmT1_PNSt15iterator_traitsIS12_E10value_typeET2_T3_PNS13_IS18_E10value_typeET4_jRbjT5_S1E_jjP12ihipStream_tbEUljE_ZNSN_ISO_Lb0ESQ_SR_ST_SU_SY_EESZ_S10_S11_S12_S16_S17_S18_S1B_S1C_jS1D_jS1E_S1E_jjS1G_bEUljE0_EEESZ_S10_S11_S18_S1C_S1E_T6_T7_T9_mT8_S1G_bDpT10_ENKUlT_T0_E_clISt17integral_constantIbLb1EES1U_EEDaS1P_S1Q_EUlS1P_E_NS1_11comp_targetILNS1_3genE5ELNS1_11target_archE942ELNS1_3gpuE9ELNS1_3repE0EEENS1_30default_config_static_selectorELNS0_4arch9wavefront6targetE0EEEvS12_.uses_flat_scratch, 0
	.set _ZN7rocprim17ROCPRIM_400000_NS6detail17trampoline_kernelINS0_13select_configILj256ELj13ELNS0_17block_load_methodE3ELS4_3ELS4_3ELNS0_20block_scan_algorithmE0ELj4294967295EEENS1_25partition_config_selectorILNS1_17partition_subalgoE4EjNS0_10empty_typeEbEEZZNS1_14partition_implILS8_4ELb0ES6_15HIP_vector_typeIjLj2EENS0_17counting_iteratorIjlEEPS9_SG_NS0_5tupleIJPjSI_NS0_16reverse_iteratorISI_EEEEENSH_IJSG_SG_SG_EEES9_SI_JZNS1_25segmented_radix_sort_implINS0_14default_configELb0EPKbPbPKlPlN2at6native12_GLOBAL__N_18offset_tEEE10hipError_tPvRmT1_PNSt15iterator_traitsIS12_E10value_typeET2_T3_PNS13_IS18_E10value_typeET4_jRbjT5_S1E_jjP12ihipStream_tbEUljE_ZNSN_ISO_Lb0ESQ_SR_ST_SU_SY_EESZ_S10_S11_S12_S16_S17_S18_S1B_S1C_jS1D_jS1E_S1E_jjS1G_bEUljE0_EEESZ_S10_S11_S18_S1C_S1E_T6_T7_T9_mT8_S1G_bDpT10_ENKUlT_T0_E_clISt17integral_constantIbLb1EES1U_EEDaS1P_S1Q_EUlS1P_E_NS1_11comp_targetILNS1_3genE5ELNS1_11target_archE942ELNS1_3gpuE9ELNS1_3repE0EEENS1_30default_config_static_selectorELNS0_4arch9wavefront6targetE0EEEvS12_.has_dyn_sized_stack, 0
	.set _ZN7rocprim17ROCPRIM_400000_NS6detail17trampoline_kernelINS0_13select_configILj256ELj13ELNS0_17block_load_methodE3ELS4_3ELS4_3ELNS0_20block_scan_algorithmE0ELj4294967295EEENS1_25partition_config_selectorILNS1_17partition_subalgoE4EjNS0_10empty_typeEbEEZZNS1_14partition_implILS8_4ELb0ES6_15HIP_vector_typeIjLj2EENS0_17counting_iteratorIjlEEPS9_SG_NS0_5tupleIJPjSI_NS0_16reverse_iteratorISI_EEEEENSH_IJSG_SG_SG_EEES9_SI_JZNS1_25segmented_radix_sort_implINS0_14default_configELb0EPKbPbPKlPlN2at6native12_GLOBAL__N_18offset_tEEE10hipError_tPvRmT1_PNSt15iterator_traitsIS12_E10value_typeET2_T3_PNS13_IS18_E10value_typeET4_jRbjT5_S1E_jjP12ihipStream_tbEUljE_ZNSN_ISO_Lb0ESQ_SR_ST_SU_SY_EESZ_S10_S11_S12_S16_S17_S18_S1B_S1C_jS1D_jS1E_S1E_jjS1G_bEUljE0_EEESZ_S10_S11_S18_S1C_S1E_T6_T7_T9_mT8_S1G_bDpT10_ENKUlT_T0_E_clISt17integral_constantIbLb1EES1U_EEDaS1P_S1Q_EUlS1P_E_NS1_11comp_targetILNS1_3genE5ELNS1_11target_archE942ELNS1_3gpuE9ELNS1_3repE0EEENS1_30default_config_static_selectorELNS0_4arch9wavefront6targetE0EEEvS12_.has_recursion, 0
	.set _ZN7rocprim17ROCPRIM_400000_NS6detail17trampoline_kernelINS0_13select_configILj256ELj13ELNS0_17block_load_methodE3ELS4_3ELS4_3ELNS0_20block_scan_algorithmE0ELj4294967295EEENS1_25partition_config_selectorILNS1_17partition_subalgoE4EjNS0_10empty_typeEbEEZZNS1_14partition_implILS8_4ELb0ES6_15HIP_vector_typeIjLj2EENS0_17counting_iteratorIjlEEPS9_SG_NS0_5tupleIJPjSI_NS0_16reverse_iteratorISI_EEEEENSH_IJSG_SG_SG_EEES9_SI_JZNS1_25segmented_radix_sort_implINS0_14default_configELb0EPKbPbPKlPlN2at6native12_GLOBAL__N_18offset_tEEE10hipError_tPvRmT1_PNSt15iterator_traitsIS12_E10value_typeET2_T3_PNS13_IS18_E10value_typeET4_jRbjT5_S1E_jjP12ihipStream_tbEUljE_ZNSN_ISO_Lb0ESQ_SR_ST_SU_SY_EESZ_S10_S11_S12_S16_S17_S18_S1B_S1C_jS1D_jS1E_S1E_jjS1G_bEUljE0_EEESZ_S10_S11_S18_S1C_S1E_T6_T7_T9_mT8_S1G_bDpT10_ENKUlT_T0_E_clISt17integral_constantIbLb1EES1U_EEDaS1P_S1Q_EUlS1P_E_NS1_11comp_targetILNS1_3genE5ELNS1_11target_archE942ELNS1_3gpuE9ELNS1_3repE0EEENS1_30default_config_static_selectorELNS0_4arch9wavefront6targetE0EEEvS12_.has_indirect_call, 0
	.section	.AMDGPU.csdata,"",@progbits
; Kernel info:
; codeLenInByte = 0
; TotalNumSgprs: 0
; NumVgprs: 0
; ScratchSize: 0
; MemoryBound: 0
; FloatMode: 240
; IeeeMode: 1
; LDSByteSize: 0 bytes/workgroup (compile time only)
; SGPRBlocks: 0
; VGPRBlocks: 0
; NumSGPRsForWavesPerEU: 1
; NumVGPRsForWavesPerEU: 1
; NamedBarCnt: 0
; Occupancy: 16
; WaveLimiterHint : 0
; COMPUTE_PGM_RSRC2:SCRATCH_EN: 0
; COMPUTE_PGM_RSRC2:USER_SGPR: 2
; COMPUTE_PGM_RSRC2:TRAP_HANDLER: 0
; COMPUTE_PGM_RSRC2:TGID_X_EN: 1
; COMPUTE_PGM_RSRC2:TGID_Y_EN: 0
; COMPUTE_PGM_RSRC2:TGID_Z_EN: 0
; COMPUTE_PGM_RSRC2:TIDIG_COMP_CNT: 0
	.section	.text._ZN7rocprim17ROCPRIM_400000_NS6detail17trampoline_kernelINS0_13select_configILj256ELj13ELNS0_17block_load_methodE3ELS4_3ELS4_3ELNS0_20block_scan_algorithmE0ELj4294967295EEENS1_25partition_config_selectorILNS1_17partition_subalgoE4EjNS0_10empty_typeEbEEZZNS1_14partition_implILS8_4ELb0ES6_15HIP_vector_typeIjLj2EENS0_17counting_iteratorIjlEEPS9_SG_NS0_5tupleIJPjSI_NS0_16reverse_iteratorISI_EEEEENSH_IJSG_SG_SG_EEES9_SI_JZNS1_25segmented_radix_sort_implINS0_14default_configELb0EPKbPbPKlPlN2at6native12_GLOBAL__N_18offset_tEEE10hipError_tPvRmT1_PNSt15iterator_traitsIS12_E10value_typeET2_T3_PNS13_IS18_E10value_typeET4_jRbjT5_S1E_jjP12ihipStream_tbEUljE_ZNSN_ISO_Lb0ESQ_SR_ST_SU_SY_EESZ_S10_S11_S12_S16_S17_S18_S1B_S1C_jS1D_jS1E_S1E_jjS1G_bEUljE0_EEESZ_S10_S11_S18_S1C_S1E_T6_T7_T9_mT8_S1G_bDpT10_ENKUlT_T0_E_clISt17integral_constantIbLb1EES1U_EEDaS1P_S1Q_EUlS1P_E_NS1_11comp_targetILNS1_3genE4ELNS1_11target_archE910ELNS1_3gpuE8ELNS1_3repE0EEENS1_30default_config_static_selectorELNS0_4arch9wavefront6targetE0EEEvS12_,"axG",@progbits,_ZN7rocprim17ROCPRIM_400000_NS6detail17trampoline_kernelINS0_13select_configILj256ELj13ELNS0_17block_load_methodE3ELS4_3ELS4_3ELNS0_20block_scan_algorithmE0ELj4294967295EEENS1_25partition_config_selectorILNS1_17partition_subalgoE4EjNS0_10empty_typeEbEEZZNS1_14partition_implILS8_4ELb0ES6_15HIP_vector_typeIjLj2EENS0_17counting_iteratorIjlEEPS9_SG_NS0_5tupleIJPjSI_NS0_16reverse_iteratorISI_EEEEENSH_IJSG_SG_SG_EEES9_SI_JZNS1_25segmented_radix_sort_implINS0_14default_configELb0EPKbPbPKlPlN2at6native12_GLOBAL__N_18offset_tEEE10hipError_tPvRmT1_PNSt15iterator_traitsIS12_E10value_typeET2_T3_PNS13_IS18_E10value_typeET4_jRbjT5_S1E_jjP12ihipStream_tbEUljE_ZNSN_ISO_Lb0ESQ_SR_ST_SU_SY_EESZ_S10_S11_S12_S16_S17_S18_S1B_S1C_jS1D_jS1E_S1E_jjS1G_bEUljE0_EEESZ_S10_S11_S18_S1C_S1E_T6_T7_T9_mT8_S1G_bDpT10_ENKUlT_T0_E_clISt17integral_constantIbLb1EES1U_EEDaS1P_S1Q_EUlS1P_E_NS1_11comp_targetILNS1_3genE4ELNS1_11target_archE910ELNS1_3gpuE8ELNS1_3repE0EEENS1_30default_config_static_selectorELNS0_4arch9wavefront6targetE0EEEvS12_,comdat
	.globl	_ZN7rocprim17ROCPRIM_400000_NS6detail17trampoline_kernelINS0_13select_configILj256ELj13ELNS0_17block_load_methodE3ELS4_3ELS4_3ELNS0_20block_scan_algorithmE0ELj4294967295EEENS1_25partition_config_selectorILNS1_17partition_subalgoE4EjNS0_10empty_typeEbEEZZNS1_14partition_implILS8_4ELb0ES6_15HIP_vector_typeIjLj2EENS0_17counting_iteratorIjlEEPS9_SG_NS0_5tupleIJPjSI_NS0_16reverse_iteratorISI_EEEEENSH_IJSG_SG_SG_EEES9_SI_JZNS1_25segmented_radix_sort_implINS0_14default_configELb0EPKbPbPKlPlN2at6native12_GLOBAL__N_18offset_tEEE10hipError_tPvRmT1_PNSt15iterator_traitsIS12_E10value_typeET2_T3_PNS13_IS18_E10value_typeET4_jRbjT5_S1E_jjP12ihipStream_tbEUljE_ZNSN_ISO_Lb0ESQ_SR_ST_SU_SY_EESZ_S10_S11_S12_S16_S17_S18_S1B_S1C_jS1D_jS1E_S1E_jjS1G_bEUljE0_EEESZ_S10_S11_S18_S1C_S1E_T6_T7_T9_mT8_S1G_bDpT10_ENKUlT_T0_E_clISt17integral_constantIbLb1EES1U_EEDaS1P_S1Q_EUlS1P_E_NS1_11comp_targetILNS1_3genE4ELNS1_11target_archE910ELNS1_3gpuE8ELNS1_3repE0EEENS1_30default_config_static_selectorELNS0_4arch9wavefront6targetE0EEEvS12_ ; -- Begin function _ZN7rocprim17ROCPRIM_400000_NS6detail17trampoline_kernelINS0_13select_configILj256ELj13ELNS0_17block_load_methodE3ELS4_3ELS4_3ELNS0_20block_scan_algorithmE0ELj4294967295EEENS1_25partition_config_selectorILNS1_17partition_subalgoE4EjNS0_10empty_typeEbEEZZNS1_14partition_implILS8_4ELb0ES6_15HIP_vector_typeIjLj2EENS0_17counting_iteratorIjlEEPS9_SG_NS0_5tupleIJPjSI_NS0_16reverse_iteratorISI_EEEEENSH_IJSG_SG_SG_EEES9_SI_JZNS1_25segmented_radix_sort_implINS0_14default_configELb0EPKbPbPKlPlN2at6native12_GLOBAL__N_18offset_tEEE10hipError_tPvRmT1_PNSt15iterator_traitsIS12_E10value_typeET2_T3_PNS13_IS18_E10value_typeET4_jRbjT5_S1E_jjP12ihipStream_tbEUljE_ZNSN_ISO_Lb0ESQ_SR_ST_SU_SY_EESZ_S10_S11_S12_S16_S17_S18_S1B_S1C_jS1D_jS1E_S1E_jjS1G_bEUljE0_EEESZ_S10_S11_S18_S1C_S1E_T6_T7_T9_mT8_S1G_bDpT10_ENKUlT_T0_E_clISt17integral_constantIbLb1EES1U_EEDaS1P_S1Q_EUlS1P_E_NS1_11comp_targetILNS1_3genE4ELNS1_11target_archE910ELNS1_3gpuE8ELNS1_3repE0EEENS1_30default_config_static_selectorELNS0_4arch9wavefront6targetE0EEEvS12_
	.p2align	8
	.type	_ZN7rocprim17ROCPRIM_400000_NS6detail17trampoline_kernelINS0_13select_configILj256ELj13ELNS0_17block_load_methodE3ELS4_3ELS4_3ELNS0_20block_scan_algorithmE0ELj4294967295EEENS1_25partition_config_selectorILNS1_17partition_subalgoE4EjNS0_10empty_typeEbEEZZNS1_14partition_implILS8_4ELb0ES6_15HIP_vector_typeIjLj2EENS0_17counting_iteratorIjlEEPS9_SG_NS0_5tupleIJPjSI_NS0_16reverse_iteratorISI_EEEEENSH_IJSG_SG_SG_EEES9_SI_JZNS1_25segmented_radix_sort_implINS0_14default_configELb0EPKbPbPKlPlN2at6native12_GLOBAL__N_18offset_tEEE10hipError_tPvRmT1_PNSt15iterator_traitsIS12_E10value_typeET2_T3_PNS13_IS18_E10value_typeET4_jRbjT5_S1E_jjP12ihipStream_tbEUljE_ZNSN_ISO_Lb0ESQ_SR_ST_SU_SY_EESZ_S10_S11_S12_S16_S17_S18_S1B_S1C_jS1D_jS1E_S1E_jjS1G_bEUljE0_EEESZ_S10_S11_S18_S1C_S1E_T6_T7_T9_mT8_S1G_bDpT10_ENKUlT_T0_E_clISt17integral_constantIbLb1EES1U_EEDaS1P_S1Q_EUlS1P_E_NS1_11comp_targetILNS1_3genE4ELNS1_11target_archE910ELNS1_3gpuE8ELNS1_3repE0EEENS1_30default_config_static_selectorELNS0_4arch9wavefront6targetE0EEEvS12_,@function
_ZN7rocprim17ROCPRIM_400000_NS6detail17trampoline_kernelINS0_13select_configILj256ELj13ELNS0_17block_load_methodE3ELS4_3ELS4_3ELNS0_20block_scan_algorithmE0ELj4294967295EEENS1_25partition_config_selectorILNS1_17partition_subalgoE4EjNS0_10empty_typeEbEEZZNS1_14partition_implILS8_4ELb0ES6_15HIP_vector_typeIjLj2EENS0_17counting_iteratorIjlEEPS9_SG_NS0_5tupleIJPjSI_NS0_16reverse_iteratorISI_EEEEENSH_IJSG_SG_SG_EEES9_SI_JZNS1_25segmented_radix_sort_implINS0_14default_configELb0EPKbPbPKlPlN2at6native12_GLOBAL__N_18offset_tEEE10hipError_tPvRmT1_PNSt15iterator_traitsIS12_E10value_typeET2_T3_PNS13_IS18_E10value_typeET4_jRbjT5_S1E_jjP12ihipStream_tbEUljE_ZNSN_ISO_Lb0ESQ_SR_ST_SU_SY_EESZ_S10_S11_S12_S16_S17_S18_S1B_S1C_jS1D_jS1E_S1E_jjS1G_bEUljE0_EEESZ_S10_S11_S18_S1C_S1E_T6_T7_T9_mT8_S1G_bDpT10_ENKUlT_T0_E_clISt17integral_constantIbLb1EES1U_EEDaS1P_S1Q_EUlS1P_E_NS1_11comp_targetILNS1_3genE4ELNS1_11target_archE910ELNS1_3gpuE8ELNS1_3repE0EEENS1_30default_config_static_selectorELNS0_4arch9wavefront6targetE0EEEvS12_: ; @_ZN7rocprim17ROCPRIM_400000_NS6detail17trampoline_kernelINS0_13select_configILj256ELj13ELNS0_17block_load_methodE3ELS4_3ELS4_3ELNS0_20block_scan_algorithmE0ELj4294967295EEENS1_25partition_config_selectorILNS1_17partition_subalgoE4EjNS0_10empty_typeEbEEZZNS1_14partition_implILS8_4ELb0ES6_15HIP_vector_typeIjLj2EENS0_17counting_iteratorIjlEEPS9_SG_NS0_5tupleIJPjSI_NS0_16reverse_iteratorISI_EEEEENSH_IJSG_SG_SG_EEES9_SI_JZNS1_25segmented_radix_sort_implINS0_14default_configELb0EPKbPbPKlPlN2at6native12_GLOBAL__N_18offset_tEEE10hipError_tPvRmT1_PNSt15iterator_traitsIS12_E10value_typeET2_T3_PNS13_IS18_E10value_typeET4_jRbjT5_S1E_jjP12ihipStream_tbEUljE_ZNSN_ISO_Lb0ESQ_SR_ST_SU_SY_EESZ_S10_S11_S12_S16_S17_S18_S1B_S1C_jS1D_jS1E_S1E_jjS1G_bEUljE0_EEESZ_S10_S11_S18_S1C_S1E_T6_T7_T9_mT8_S1G_bDpT10_ENKUlT_T0_E_clISt17integral_constantIbLb1EES1U_EEDaS1P_S1Q_EUlS1P_E_NS1_11comp_targetILNS1_3genE4ELNS1_11target_archE910ELNS1_3gpuE8ELNS1_3repE0EEENS1_30default_config_static_selectorELNS0_4arch9wavefront6targetE0EEEvS12_
; %bb.0:
	.section	.rodata,"a",@progbits
	.p2align	6, 0x0
	.amdhsa_kernel _ZN7rocprim17ROCPRIM_400000_NS6detail17trampoline_kernelINS0_13select_configILj256ELj13ELNS0_17block_load_methodE3ELS4_3ELS4_3ELNS0_20block_scan_algorithmE0ELj4294967295EEENS1_25partition_config_selectorILNS1_17partition_subalgoE4EjNS0_10empty_typeEbEEZZNS1_14partition_implILS8_4ELb0ES6_15HIP_vector_typeIjLj2EENS0_17counting_iteratorIjlEEPS9_SG_NS0_5tupleIJPjSI_NS0_16reverse_iteratorISI_EEEEENSH_IJSG_SG_SG_EEES9_SI_JZNS1_25segmented_radix_sort_implINS0_14default_configELb0EPKbPbPKlPlN2at6native12_GLOBAL__N_18offset_tEEE10hipError_tPvRmT1_PNSt15iterator_traitsIS12_E10value_typeET2_T3_PNS13_IS18_E10value_typeET4_jRbjT5_S1E_jjP12ihipStream_tbEUljE_ZNSN_ISO_Lb0ESQ_SR_ST_SU_SY_EESZ_S10_S11_S12_S16_S17_S18_S1B_S1C_jS1D_jS1E_S1E_jjS1G_bEUljE0_EEESZ_S10_S11_S18_S1C_S1E_T6_T7_T9_mT8_S1G_bDpT10_ENKUlT_T0_E_clISt17integral_constantIbLb1EES1U_EEDaS1P_S1Q_EUlS1P_E_NS1_11comp_targetILNS1_3genE4ELNS1_11target_archE910ELNS1_3gpuE8ELNS1_3repE0EEENS1_30default_config_static_selectorELNS0_4arch9wavefront6targetE0EEEvS12_
		.amdhsa_group_segment_fixed_size 0
		.amdhsa_private_segment_fixed_size 0
		.amdhsa_kernarg_size 184
		.amdhsa_user_sgpr_count 2
		.amdhsa_user_sgpr_dispatch_ptr 0
		.amdhsa_user_sgpr_queue_ptr 0
		.amdhsa_user_sgpr_kernarg_segment_ptr 1
		.amdhsa_user_sgpr_dispatch_id 0
		.amdhsa_user_sgpr_kernarg_preload_length 0
		.amdhsa_user_sgpr_kernarg_preload_offset 0
		.amdhsa_user_sgpr_private_segment_size 0
		.amdhsa_wavefront_size32 1
		.amdhsa_uses_dynamic_stack 0
		.amdhsa_enable_private_segment 0
		.amdhsa_system_sgpr_workgroup_id_x 1
		.amdhsa_system_sgpr_workgroup_id_y 0
		.amdhsa_system_sgpr_workgroup_id_z 0
		.amdhsa_system_sgpr_workgroup_info 0
		.amdhsa_system_vgpr_workitem_id 0
		.amdhsa_next_free_vgpr 1
		.amdhsa_next_free_sgpr 1
		.amdhsa_named_barrier_count 0
		.amdhsa_reserve_vcc 0
		.amdhsa_float_round_mode_32 0
		.amdhsa_float_round_mode_16_64 0
		.amdhsa_float_denorm_mode_32 3
		.amdhsa_float_denorm_mode_16_64 3
		.amdhsa_fp16_overflow 0
		.amdhsa_memory_ordered 1
		.amdhsa_forward_progress 1
		.amdhsa_inst_pref_size 0
		.amdhsa_round_robin_scheduling 0
		.amdhsa_exception_fp_ieee_invalid_op 0
		.amdhsa_exception_fp_denorm_src 0
		.amdhsa_exception_fp_ieee_div_zero 0
		.amdhsa_exception_fp_ieee_overflow 0
		.amdhsa_exception_fp_ieee_underflow 0
		.amdhsa_exception_fp_ieee_inexact 0
		.amdhsa_exception_int_div_zero 0
	.end_amdhsa_kernel
	.section	.text._ZN7rocprim17ROCPRIM_400000_NS6detail17trampoline_kernelINS0_13select_configILj256ELj13ELNS0_17block_load_methodE3ELS4_3ELS4_3ELNS0_20block_scan_algorithmE0ELj4294967295EEENS1_25partition_config_selectorILNS1_17partition_subalgoE4EjNS0_10empty_typeEbEEZZNS1_14partition_implILS8_4ELb0ES6_15HIP_vector_typeIjLj2EENS0_17counting_iteratorIjlEEPS9_SG_NS0_5tupleIJPjSI_NS0_16reverse_iteratorISI_EEEEENSH_IJSG_SG_SG_EEES9_SI_JZNS1_25segmented_radix_sort_implINS0_14default_configELb0EPKbPbPKlPlN2at6native12_GLOBAL__N_18offset_tEEE10hipError_tPvRmT1_PNSt15iterator_traitsIS12_E10value_typeET2_T3_PNS13_IS18_E10value_typeET4_jRbjT5_S1E_jjP12ihipStream_tbEUljE_ZNSN_ISO_Lb0ESQ_SR_ST_SU_SY_EESZ_S10_S11_S12_S16_S17_S18_S1B_S1C_jS1D_jS1E_S1E_jjS1G_bEUljE0_EEESZ_S10_S11_S18_S1C_S1E_T6_T7_T9_mT8_S1G_bDpT10_ENKUlT_T0_E_clISt17integral_constantIbLb1EES1U_EEDaS1P_S1Q_EUlS1P_E_NS1_11comp_targetILNS1_3genE4ELNS1_11target_archE910ELNS1_3gpuE8ELNS1_3repE0EEENS1_30default_config_static_selectorELNS0_4arch9wavefront6targetE0EEEvS12_,"axG",@progbits,_ZN7rocprim17ROCPRIM_400000_NS6detail17trampoline_kernelINS0_13select_configILj256ELj13ELNS0_17block_load_methodE3ELS4_3ELS4_3ELNS0_20block_scan_algorithmE0ELj4294967295EEENS1_25partition_config_selectorILNS1_17partition_subalgoE4EjNS0_10empty_typeEbEEZZNS1_14partition_implILS8_4ELb0ES6_15HIP_vector_typeIjLj2EENS0_17counting_iteratorIjlEEPS9_SG_NS0_5tupleIJPjSI_NS0_16reverse_iteratorISI_EEEEENSH_IJSG_SG_SG_EEES9_SI_JZNS1_25segmented_radix_sort_implINS0_14default_configELb0EPKbPbPKlPlN2at6native12_GLOBAL__N_18offset_tEEE10hipError_tPvRmT1_PNSt15iterator_traitsIS12_E10value_typeET2_T3_PNS13_IS18_E10value_typeET4_jRbjT5_S1E_jjP12ihipStream_tbEUljE_ZNSN_ISO_Lb0ESQ_SR_ST_SU_SY_EESZ_S10_S11_S12_S16_S17_S18_S1B_S1C_jS1D_jS1E_S1E_jjS1G_bEUljE0_EEESZ_S10_S11_S18_S1C_S1E_T6_T7_T9_mT8_S1G_bDpT10_ENKUlT_T0_E_clISt17integral_constantIbLb1EES1U_EEDaS1P_S1Q_EUlS1P_E_NS1_11comp_targetILNS1_3genE4ELNS1_11target_archE910ELNS1_3gpuE8ELNS1_3repE0EEENS1_30default_config_static_selectorELNS0_4arch9wavefront6targetE0EEEvS12_,comdat
.Lfunc_end1572:
	.size	_ZN7rocprim17ROCPRIM_400000_NS6detail17trampoline_kernelINS0_13select_configILj256ELj13ELNS0_17block_load_methodE3ELS4_3ELS4_3ELNS0_20block_scan_algorithmE0ELj4294967295EEENS1_25partition_config_selectorILNS1_17partition_subalgoE4EjNS0_10empty_typeEbEEZZNS1_14partition_implILS8_4ELb0ES6_15HIP_vector_typeIjLj2EENS0_17counting_iteratorIjlEEPS9_SG_NS0_5tupleIJPjSI_NS0_16reverse_iteratorISI_EEEEENSH_IJSG_SG_SG_EEES9_SI_JZNS1_25segmented_radix_sort_implINS0_14default_configELb0EPKbPbPKlPlN2at6native12_GLOBAL__N_18offset_tEEE10hipError_tPvRmT1_PNSt15iterator_traitsIS12_E10value_typeET2_T3_PNS13_IS18_E10value_typeET4_jRbjT5_S1E_jjP12ihipStream_tbEUljE_ZNSN_ISO_Lb0ESQ_SR_ST_SU_SY_EESZ_S10_S11_S12_S16_S17_S18_S1B_S1C_jS1D_jS1E_S1E_jjS1G_bEUljE0_EEESZ_S10_S11_S18_S1C_S1E_T6_T7_T9_mT8_S1G_bDpT10_ENKUlT_T0_E_clISt17integral_constantIbLb1EES1U_EEDaS1P_S1Q_EUlS1P_E_NS1_11comp_targetILNS1_3genE4ELNS1_11target_archE910ELNS1_3gpuE8ELNS1_3repE0EEENS1_30default_config_static_selectorELNS0_4arch9wavefront6targetE0EEEvS12_, .Lfunc_end1572-_ZN7rocprim17ROCPRIM_400000_NS6detail17trampoline_kernelINS0_13select_configILj256ELj13ELNS0_17block_load_methodE3ELS4_3ELS4_3ELNS0_20block_scan_algorithmE0ELj4294967295EEENS1_25partition_config_selectorILNS1_17partition_subalgoE4EjNS0_10empty_typeEbEEZZNS1_14partition_implILS8_4ELb0ES6_15HIP_vector_typeIjLj2EENS0_17counting_iteratorIjlEEPS9_SG_NS0_5tupleIJPjSI_NS0_16reverse_iteratorISI_EEEEENSH_IJSG_SG_SG_EEES9_SI_JZNS1_25segmented_radix_sort_implINS0_14default_configELb0EPKbPbPKlPlN2at6native12_GLOBAL__N_18offset_tEEE10hipError_tPvRmT1_PNSt15iterator_traitsIS12_E10value_typeET2_T3_PNS13_IS18_E10value_typeET4_jRbjT5_S1E_jjP12ihipStream_tbEUljE_ZNSN_ISO_Lb0ESQ_SR_ST_SU_SY_EESZ_S10_S11_S12_S16_S17_S18_S1B_S1C_jS1D_jS1E_S1E_jjS1G_bEUljE0_EEESZ_S10_S11_S18_S1C_S1E_T6_T7_T9_mT8_S1G_bDpT10_ENKUlT_T0_E_clISt17integral_constantIbLb1EES1U_EEDaS1P_S1Q_EUlS1P_E_NS1_11comp_targetILNS1_3genE4ELNS1_11target_archE910ELNS1_3gpuE8ELNS1_3repE0EEENS1_30default_config_static_selectorELNS0_4arch9wavefront6targetE0EEEvS12_
                                        ; -- End function
	.set _ZN7rocprim17ROCPRIM_400000_NS6detail17trampoline_kernelINS0_13select_configILj256ELj13ELNS0_17block_load_methodE3ELS4_3ELS4_3ELNS0_20block_scan_algorithmE0ELj4294967295EEENS1_25partition_config_selectorILNS1_17partition_subalgoE4EjNS0_10empty_typeEbEEZZNS1_14partition_implILS8_4ELb0ES6_15HIP_vector_typeIjLj2EENS0_17counting_iteratorIjlEEPS9_SG_NS0_5tupleIJPjSI_NS0_16reverse_iteratorISI_EEEEENSH_IJSG_SG_SG_EEES9_SI_JZNS1_25segmented_radix_sort_implINS0_14default_configELb0EPKbPbPKlPlN2at6native12_GLOBAL__N_18offset_tEEE10hipError_tPvRmT1_PNSt15iterator_traitsIS12_E10value_typeET2_T3_PNS13_IS18_E10value_typeET4_jRbjT5_S1E_jjP12ihipStream_tbEUljE_ZNSN_ISO_Lb0ESQ_SR_ST_SU_SY_EESZ_S10_S11_S12_S16_S17_S18_S1B_S1C_jS1D_jS1E_S1E_jjS1G_bEUljE0_EEESZ_S10_S11_S18_S1C_S1E_T6_T7_T9_mT8_S1G_bDpT10_ENKUlT_T0_E_clISt17integral_constantIbLb1EES1U_EEDaS1P_S1Q_EUlS1P_E_NS1_11comp_targetILNS1_3genE4ELNS1_11target_archE910ELNS1_3gpuE8ELNS1_3repE0EEENS1_30default_config_static_selectorELNS0_4arch9wavefront6targetE0EEEvS12_.num_vgpr, 0
	.set _ZN7rocprim17ROCPRIM_400000_NS6detail17trampoline_kernelINS0_13select_configILj256ELj13ELNS0_17block_load_methodE3ELS4_3ELS4_3ELNS0_20block_scan_algorithmE0ELj4294967295EEENS1_25partition_config_selectorILNS1_17partition_subalgoE4EjNS0_10empty_typeEbEEZZNS1_14partition_implILS8_4ELb0ES6_15HIP_vector_typeIjLj2EENS0_17counting_iteratorIjlEEPS9_SG_NS0_5tupleIJPjSI_NS0_16reverse_iteratorISI_EEEEENSH_IJSG_SG_SG_EEES9_SI_JZNS1_25segmented_radix_sort_implINS0_14default_configELb0EPKbPbPKlPlN2at6native12_GLOBAL__N_18offset_tEEE10hipError_tPvRmT1_PNSt15iterator_traitsIS12_E10value_typeET2_T3_PNS13_IS18_E10value_typeET4_jRbjT5_S1E_jjP12ihipStream_tbEUljE_ZNSN_ISO_Lb0ESQ_SR_ST_SU_SY_EESZ_S10_S11_S12_S16_S17_S18_S1B_S1C_jS1D_jS1E_S1E_jjS1G_bEUljE0_EEESZ_S10_S11_S18_S1C_S1E_T6_T7_T9_mT8_S1G_bDpT10_ENKUlT_T0_E_clISt17integral_constantIbLb1EES1U_EEDaS1P_S1Q_EUlS1P_E_NS1_11comp_targetILNS1_3genE4ELNS1_11target_archE910ELNS1_3gpuE8ELNS1_3repE0EEENS1_30default_config_static_selectorELNS0_4arch9wavefront6targetE0EEEvS12_.num_agpr, 0
	.set _ZN7rocprim17ROCPRIM_400000_NS6detail17trampoline_kernelINS0_13select_configILj256ELj13ELNS0_17block_load_methodE3ELS4_3ELS4_3ELNS0_20block_scan_algorithmE0ELj4294967295EEENS1_25partition_config_selectorILNS1_17partition_subalgoE4EjNS0_10empty_typeEbEEZZNS1_14partition_implILS8_4ELb0ES6_15HIP_vector_typeIjLj2EENS0_17counting_iteratorIjlEEPS9_SG_NS0_5tupleIJPjSI_NS0_16reverse_iteratorISI_EEEEENSH_IJSG_SG_SG_EEES9_SI_JZNS1_25segmented_radix_sort_implINS0_14default_configELb0EPKbPbPKlPlN2at6native12_GLOBAL__N_18offset_tEEE10hipError_tPvRmT1_PNSt15iterator_traitsIS12_E10value_typeET2_T3_PNS13_IS18_E10value_typeET4_jRbjT5_S1E_jjP12ihipStream_tbEUljE_ZNSN_ISO_Lb0ESQ_SR_ST_SU_SY_EESZ_S10_S11_S12_S16_S17_S18_S1B_S1C_jS1D_jS1E_S1E_jjS1G_bEUljE0_EEESZ_S10_S11_S18_S1C_S1E_T6_T7_T9_mT8_S1G_bDpT10_ENKUlT_T0_E_clISt17integral_constantIbLb1EES1U_EEDaS1P_S1Q_EUlS1P_E_NS1_11comp_targetILNS1_3genE4ELNS1_11target_archE910ELNS1_3gpuE8ELNS1_3repE0EEENS1_30default_config_static_selectorELNS0_4arch9wavefront6targetE0EEEvS12_.numbered_sgpr, 0
	.set _ZN7rocprim17ROCPRIM_400000_NS6detail17trampoline_kernelINS0_13select_configILj256ELj13ELNS0_17block_load_methodE3ELS4_3ELS4_3ELNS0_20block_scan_algorithmE0ELj4294967295EEENS1_25partition_config_selectorILNS1_17partition_subalgoE4EjNS0_10empty_typeEbEEZZNS1_14partition_implILS8_4ELb0ES6_15HIP_vector_typeIjLj2EENS0_17counting_iteratorIjlEEPS9_SG_NS0_5tupleIJPjSI_NS0_16reverse_iteratorISI_EEEEENSH_IJSG_SG_SG_EEES9_SI_JZNS1_25segmented_radix_sort_implINS0_14default_configELb0EPKbPbPKlPlN2at6native12_GLOBAL__N_18offset_tEEE10hipError_tPvRmT1_PNSt15iterator_traitsIS12_E10value_typeET2_T3_PNS13_IS18_E10value_typeET4_jRbjT5_S1E_jjP12ihipStream_tbEUljE_ZNSN_ISO_Lb0ESQ_SR_ST_SU_SY_EESZ_S10_S11_S12_S16_S17_S18_S1B_S1C_jS1D_jS1E_S1E_jjS1G_bEUljE0_EEESZ_S10_S11_S18_S1C_S1E_T6_T7_T9_mT8_S1G_bDpT10_ENKUlT_T0_E_clISt17integral_constantIbLb1EES1U_EEDaS1P_S1Q_EUlS1P_E_NS1_11comp_targetILNS1_3genE4ELNS1_11target_archE910ELNS1_3gpuE8ELNS1_3repE0EEENS1_30default_config_static_selectorELNS0_4arch9wavefront6targetE0EEEvS12_.num_named_barrier, 0
	.set _ZN7rocprim17ROCPRIM_400000_NS6detail17trampoline_kernelINS0_13select_configILj256ELj13ELNS0_17block_load_methodE3ELS4_3ELS4_3ELNS0_20block_scan_algorithmE0ELj4294967295EEENS1_25partition_config_selectorILNS1_17partition_subalgoE4EjNS0_10empty_typeEbEEZZNS1_14partition_implILS8_4ELb0ES6_15HIP_vector_typeIjLj2EENS0_17counting_iteratorIjlEEPS9_SG_NS0_5tupleIJPjSI_NS0_16reverse_iteratorISI_EEEEENSH_IJSG_SG_SG_EEES9_SI_JZNS1_25segmented_radix_sort_implINS0_14default_configELb0EPKbPbPKlPlN2at6native12_GLOBAL__N_18offset_tEEE10hipError_tPvRmT1_PNSt15iterator_traitsIS12_E10value_typeET2_T3_PNS13_IS18_E10value_typeET4_jRbjT5_S1E_jjP12ihipStream_tbEUljE_ZNSN_ISO_Lb0ESQ_SR_ST_SU_SY_EESZ_S10_S11_S12_S16_S17_S18_S1B_S1C_jS1D_jS1E_S1E_jjS1G_bEUljE0_EEESZ_S10_S11_S18_S1C_S1E_T6_T7_T9_mT8_S1G_bDpT10_ENKUlT_T0_E_clISt17integral_constantIbLb1EES1U_EEDaS1P_S1Q_EUlS1P_E_NS1_11comp_targetILNS1_3genE4ELNS1_11target_archE910ELNS1_3gpuE8ELNS1_3repE0EEENS1_30default_config_static_selectorELNS0_4arch9wavefront6targetE0EEEvS12_.private_seg_size, 0
	.set _ZN7rocprim17ROCPRIM_400000_NS6detail17trampoline_kernelINS0_13select_configILj256ELj13ELNS0_17block_load_methodE3ELS4_3ELS4_3ELNS0_20block_scan_algorithmE0ELj4294967295EEENS1_25partition_config_selectorILNS1_17partition_subalgoE4EjNS0_10empty_typeEbEEZZNS1_14partition_implILS8_4ELb0ES6_15HIP_vector_typeIjLj2EENS0_17counting_iteratorIjlEEPS9_SG_NS0_5tupleIJPjSI_NS0_16reverse_iteratorISI_EEEEENSH_IJSG_SG_SG_EEES9_SI_JZNS1_25segmented_radix_sort_implINS0_14default_configELb0EPKbPbPKlPlN2at6native12_GLOBAL__N_18offset_tEEE10hipError_tPvRmT1_PNSt15iterator_traitsIS12_E10value_typeET2_T3_PNS13_IS18_E10value_typeET4_jRbjT5_S1E_jjP12ihipStream_tbEUljE_ZNSN_ISO_Lb0ESQ_SR_ST_SU_SY_EESZ_S10_S11_S12_S16_S17_S18_S1B_S1C_jS1D_jS1E_S1E_jjS1G_bEUljE0_EEESZ_S10_S11_S18_S1C_S1E_T6_T7_T9_mT8_S1G_bDpT10_ENKUlT_T0_E_clISt17integral_constantIbLb1EES1U_EEDaS1P_S1Q_EUlS1P_E_NS1_11comp_targetILNS1_3genE4ELNS1_11target_archE910ELNS1_3gpuE8ELNS1_3repE0EEENS1_30default_config_static_selectorELNS0_4arch9wavefront6targetE0EEEvS12_.uses_vcc, 0
	.set _ZN7rocprim17ROCPRIM_400000_NS6detail17trampoline_kernelINS0_13select_configILj256ELj13ELNS0_17block_load_methodE3ELS4_3ELS4_3ELNS0_20block_scan_algorithmE0ELj4294967295EEENS1_25partition_config_selectorILNS1_17partition_subalgoE4EjNS0_10empty_typeEbEEZZNS1_14partition_implILS8_4ELb0ES6_15HIP_vector_typeIjLj2EENS0_17counting_iteratorIjlEEPS9_SG_NS0_5tupleIJPjSI_NS0_16reverse_iteratorISI_EEEEENSH_IJSG_SG_SG_EEES9_SI_JZNS1_25segmented_radix_sort_implINS0_14default_configELb0EPKbPbPKlPlN2at6native12_GLOBAL__N_18offset_tEEE10hipError_tPvRmT1_PNSt15iterator_traitsIS12_E10value_typeET2_T3_PNS13_IS18_E10value_typeET4_jRbjT5_S1E_jjP12ihipStream_tbEUljE_ZNSN_ISO_Lb0ESQ_SR_ST_SU_SY_EESZ_S10_S11_S12_S16_S17_S18_S1B_S1C_jS1D_jS1E_S1E_jjS1G_bEUljE0_EEESZ_S10_S11_S18_S1C_S1E_T6_T7_T9_mT8_S1G_bDpT10_ENKUlT_T0_E_clISt17integral_constantIbLb1EES1U_EEDaS1P_S1Q_EUlS1P_E_NS1_11comp_targetILNS1_3genE4ELNS1_11target_archE910ELNS1_3gpuE8ELNS1_3repE0EEENS1_30default_config_static_selectorELNS0_4arch9wavefront6targetE0EEEvS12_.uses_flat_scratch, 0
	.set _ZN7rocprim17ROCPRIM_400000_NS6detail17trampoline_kernelINS0_13select_configILj256ELj13ELNS0_17block_load_methodE3ELS4_3ELS4_3ELNS0_20block_scan_algorithmE0ELj4294967295EEENS1_25partition_config_selectorILNS1_17partition_subalgoE4EjNS0_10empty_typeEbEEZZNS1_14partition_implILS8_4ELb0ES6_15HIP_vector_typeIjLj2EENS0_17counting_iteratorIjlEEPS9_SG_NS0_5tupleIJPjSI_NS0_16reverse_iteratorISI_EEEEENSH_IJSG_SG_SG_EEES9_SI_JZNS1_25segmented_radix_sort_implINS0_14default_configELb0EPKbPbPKlPlN2at6native12_GLOBAL__N_18offset_tEEE10hipError_tPvRmT1_PNSt15iterator_traitsIS12_E10value_typeET2_T3_PNS13_IS18_E10value_typeET4_jRbjT5_S1E_jjP12ihipStream_tbEUljE_ZNSN_ISO_Lb0ESQ_SR_ST_SU_SY_EESZ_S10_S11_S12_S16_S17_S18_S1B_S1C_jS1D_jS1E_S1E_jjS1G_bEUljE0_EEESZ_S10_S11_S18_S1C_S1E_T6_T7_T9_mT8_S1G_bDpT10_ENKUlT_T0_E_clISt17integral_constantIbLb1EES1U_EEDaS1P_S1Q_EUlS1P_E_NS1_11comp_targetILNS1_3genE4ELNS1_11target_archE910ELNS1_3gpuE8ELNS1_3repE0EEENS1_30default_config_static_selectorELNS0_4arch9wavefront6targetE0EEEvS12_.has_dyn_sized_stack, 0
	.set _ZN7rocprim17ROCPRIM_400000_NS6detail17trampoline_kernelINS0_13select_configILj256ELj13ELNS0_17block_load_methodE3ELS4_3ELS4_3ELNS0_20block_scan_algorithmE0ELj4294967295EEENS1_25partition_config_selectorILNS1_17partition_subalgoE4EjNS0_10empty_typeEbEEZZNS1_14partition_implILS8_4ELb0ES6_15HIP_vector_typeIjLj2EENS0_17counting_iteratorIjlEEPS9_SG_NS0_5tupleIJPjSI_NS0_16reverse_iteratorISI_EEEEENSH_IJSG_SG_SG_EEES9_SI_JZNS1_25segmented_radix_sort_implINS0_14default_configELb0EPKbPbPKlPlN2at6native12_GLOBAL__N_18offset_tEEE10hipError_tPvRmT1_PNSt15iterator_traitsIS12_E10value_typeET2_T3_PNS13_IS18_E10value_typeET4_jRbjT5_S1E_jjP12ihipStream_tbEUljE_ZNSN_ISO_Lb0ESQ_SR_ST_SU_SY_EESZ_S10_S11_S12_S16_S17_S18_S1B_S1C_jS1D_jS1E_S1E_jjS1G_bEUljE0_EEESZ_S10_S11_S18_S1C_S1E_T6_T7_T9_mT8_S1G_bDpT10_ENKUlT_T0_E_clISt17integral_constantIbLb1EES1U_EEDaS1P_S1Q_EUlS1P_E_NS1_11comp_targetILNS1_3genE4ELNS1_11target_archE910ELNS1_3gpuE8ELNS1_3repE0EEENS1_30default_config_static_selectorELNS0_4arch9wavefront6targetE0EEEvS12_.has_recursion, 0
	.set _ZN7rocprim17ROCPRIM_400000_NS6detail17trampoline_kernelINS0_13select_configILj256ELj13ELNS0_17block_load_methodE3ELS4_3ELS4_3ELNS0_20block_scan_algorithmE0ELj4294967295EEENS1_25partition_config_selectorILNS1_17partition_subalgoE4EjNS0_10empty_typeEbEEZZNS1_14partition_implILS8_4ELb0ES6_15HIP_vector_typeIjLj2EENS0_17counting_iteratorIjlEEPS9_SG_NS0_5tupleIJPjSI_NS0_16reverse_iteratorISI_EEEEENSH_IJSG_SG_SG_EEES9_SI_JZNS1_25segmented_radix_sort_implINS0_14default_configELb0EPKbPbPKlPlN2at6native12_GLOBAL__N_18offset_tEEE10hipError_tPvRmT1_PNSt15iterator_traitsIS12_E10value_typeET2_T3_PNS13_IS18_E10value_typeET4_jRbjT5_S1E_jjP12ihipStream_tbEUljE_ZNSN_ISO_Lb0ESQ_SR_ST_SU_SY_EESZ_S10_S11_S12_S16_S17_S18_S1B_S1C_jS1D_jS1E_S1E_jjS1G_bEUljE0_EEESZ_S10_S11_S18_S1C_S1E_T6_T7_T9_mT8_S1G_bDpT10_ENKUlT_T0_E_clISt17integral_constantIbLb1EES1U_EEDaS1P_S1Q_EUlS1P_E_NS1_11comp_targetILNS1_3genE4ELNS1_11target_archE910ELNS1_3gpuE8ELNS1_3repE0EEENS1_30default_config_static_selectorELNS0_4arch9wavefront6targetE0EEEvS12_.has_indirect_call, 0
	.section	.AMDGPU.csdata,"",@progbits
; Kernel info:
; codeLenInByte = 0
; TotalNumSgprs: 0
; NumVgprs: 0
; ScratchSize: 0
; MemoryBound: 0
; FloatMode: 240
; IeeeMode: 1
; LDSByteSize: 0 bytes/workgroup (compile time only)
; SGPRBlocks: 0
; VGPRBlocks: 0
; NumSGPRsForWavesPerEU: 1
; NumVGPRsForWavesPerEU: 1
; NamedBarCnt: 0
; Occupancy: 16
; WaveLimiterHint : 0
; COMPUTE_PGM_RSRC2:SCRATCH_EN: 0
; COMPUTE_PGM_RSRC2:USER_SGPR: 2
; COMPUTE_PGM_RSRC2:TRAP_HANDLER: 0
; COMPUTE_PGM_RSRC2:TGID_X_EN: 1
; COMPUTE_PGM_RSRC2:TGID_Y_EN: 0
; COMPUTE_PGM_RSRC2:TGID_Z_EN: 0
; COMPUTE_PGM_RSRC2:TIDIG_COMP_CNT: 0
	.section	.text._ZN7rocprim17ROCPRIM_400000_NS6detail17trampoline_kernelINS0_13select_configILj256ELj13ELNS0_17block_load_methodE3ELS4_3ELS4_3ELNS0_20block_scan_algorithmE0ELj4294967295EEENS1_25partition_config_selectorILNS1_17partition_subalgoE4EjNS0_10empty_typeEbEEZZNS1_14partition_implILS8_4ELb0ES6_15HIP_vector_typeIjLj2EENS0_17counting_iteratorIjlEEPS9_SG_NS0_5tupleIJPjSI_NS0_16reverse_iteratorISI_EEEEENSH_IJSG_SG_SG_EEES9_SI_JZNS1_25segmented_radix_sort_implINS0_14default_configELb0EPKbPbPKlPlN2at6native12_GLOBAL__N_18offset_tEEE10hipError_tPvRmT1_PNSt15iterator_traitsIS12_E10value_typeET2_T3_PNS13_IS18_E10value_typeET4_jRbjT5_S1E_jjP12ihipStream_tbEUljE_ZNSN_ISO_Lb0ESQ_SR_ST_SU_SY_EESZ_S10_S11_S12_S16_S17_S18_S1B_S1C_jS1D_jS1E_S1E_jjS1G_bEUljE0_EEESZ_S10_S11_S18_S1C_S1E_T6_T7_T9_mT8_S1G_bDpT10_ENKUlT_T0_E_clISt17integral_constantIbLb1EES1U_EEDaS1P_S1Q_EUlS1P_E_NS1_11comp_targetILNS1_3genE3ELNS1_11target_archE908ELNS1_3gpuE7ELNS1_3repE0EEENS1_30default_config_static_selectorELNS0_4arch9wavefront6targetE0EEEvS12_,"axG",@progbits,_ZN7rocprim17ROCPRIM_400000_NS6detail17trampoline_kernelINS0_13select_configILj256ELj13ELNS0_17block_load_methodE3ELS4_3ELS4_3ELNS0_20block_scan_algorithmE0ELj4294967295EEENS1_25partition_config_selectorILNS1_17partition_subalgoE4EjNS0_10empty_typeEbEEZZNS1_14partition_implILS8_4ELb0ES6_15HIP_vector_typeIjLj2EENS0_17counting_iteratorIjlEEPS9_SG_NS0_5tupleIJPjSI_NS0_16reverse_iteratorISI_EEEEENSH_IJSG_SG_SG_EEES9_SI_JZNS1_25segmented_radix_sort_implINS0_14default_configELb0EPKbPbPKlPlN2at6native12_GLOBAL__N_18offset_tEEE10hipError_tPvRmT1_PNSt15iterator_traitsIS12_E10value_typeET2_T3_PNS13_IS18_E10value_typeET4_jRbjT5_S1E_jjP12ihipStream_tbEUljE_ZNSN_ISO_Lb0ESQ_SR_ST_SU_SY_EESZ_S10_S11_S12_S16_S17_S18_S1B_S1C_jS1D_jS1E_S1E_jjS1G_bEUljE0_EEESZ_S10_S11_S18_S1C_S1E_T6_T7_T9_mT8_S1G_bDpT10_ENKUlT_T0_E_clISt17integral_constantIbLb1EES1U_EEDaS1P_S1Q_EUlS1P_E_NS1_11comp_targetILNS1_3genE3ELNS1_11target_archE908ELNS1_3gpuE7ELNS1_3repE0EEENS1_30default_config_static_selectorELNS0_4arch9wavefront6targetE0EEEvS12_,comdat
	.globl	_ZN7rocprim17ROCPRIM_400000_NS6detail17trampoline_kernelINS0_13select_configILj256ELj13ELNS0_17block_load_methodE3ELS4_3ELS4_3ELNS0_20block_scan_algorithmE0ELj4294967295EEENS1_25partition_config_selectorILNS1_17partition_subalgoE4EjNS0_10empty_typeEbEEZZNS1_14partition_implILS8_4ELb0ES6_15HIP_vector_typeIjLj2EENS0_17counting_iteratorIjlEEPS9_SG_NS0_5tupleIJPjSI_NS0_16reverse_iteratorISI_EEEEENSH_IJSG_SG_SG_EEES9_SI_JZNS1_25segmented_radix_sort_implINS0_14default_configELb0EPKbPbPKlPlN2at6native12_GLOBAL__N_18offset_tEEE10hipError_tPvRmT1_PNSt15iterator_traitsIS12_E10value_typeET2_T3_PNS13_IS18_E10value_typeET4_jRbjT5_S1E_jjP12ihipStream_tbEUljE_ZNSN_ISO_Lb0ESQ_SR_ST_SU_SY_EESZ_S10_S11_S12_S16_S17_S18_S1B_S1C_jS1D_jS1E_S1E_jjS1G_bEUljE0_EEESZ_S10_S11_S18_S1C_S1E_T6_T7_T9_mT8_S1G_bDpT10_ENKUlT_T0_E_clISt17integral_constantIbLb1EES1U_EEDaS1P_S1Q_EUlS1P_E_NS1_11comp_targetILNS1_3genE3ELNS1_11target_archE908ELNS1_3gpuE7ELNS1_3repE0EEENS1_30default_config_static_selectorELNS0_4arch9wavefront6targetE0EEEvS12_ ; -- Begin function _ZN7rocprim17ROCPRIM_400000_NS6detail17trampoline_kernelINS0_13select_configILj256ELj13ELNS0_17block_load_methodE3ELS4_3ELS4_3ELNS0_20block_scan_algorithmE0ELj4294967295EEENS1_25partition_config_selectorILNS1_17partition_subalgoE4EjNS0_10empty_typeEbEEZZNS1_14partition_implILS8_4ELb0ES6_15HIP_vector_typeIjLj2EENS0_17counting_iteratorIjlEEPS9_SG_NS0_5tupleIJPjSI_NS0_16reverse_iteratorISI_EEEEENSH_IJSG_SG_SG_EEES9_SI_JZNS1_25segmented_radix_sort_implINS0_14default_configELb0EPKbPbPKlPlN2at6native12_GLOBAL__N_18offset_tEEE10hipError_tPvRmT1_PNSt15iterator_traitsIS12_E10value_typeET2_T3_PNS13_IS18_E10value_typeET4_jRbjT5_S1E_jjP12ihipStream_tbEUljE_ZNSN_ISO_Lb0ESQ_SR_ST_SU_SY_EESZ_S10_S11_S12_S16_S17_S18_S1B_S1C_jS1D_jS1E_S1E_jjS1G_bEUljE0_EEESZ_S10_S11_S18_S1C_S1E_T6_T7_T9_mT8_S1G_bDpT10_ENKUlT_T0_E_clISt17integral_constantIbLb1EES1U_EEDaS1P_S1Q_EUlS1P_E_NS1_11comp_targetILNS1_3genE3ELNS1_11target_archE908ELNS1_3gpuE7ELNS1_3repE0EEENS1_30default_config_static_selectorELNS0_4arch9wavefront6targetE0EEEvS12_
	.p2align	8
	.type	_ZN7rocprim17ROCPRIM_400000_NS6detail17trampoline_kernelINS0_13select_configILj256ELj13ELNS0_17block_load_methodE3ELS4_3ELS4_3ELNS0_20block_scan_algorithmE0ELj4294967295EEENS1_25partition_config_selectorILNS1_17partition_subalgoE4EjNS0_10empty_typeEbEEZZNS1_14partition_implILS8_4ELb0ES6_15HIP_vector_typeIjLj2EENS0_17counting_iteratorIjlEEPS9_SG_NS0_5tupleIJPjSI_NS0_16reverse_iteratorISI_EEEEENSH_IJSG_SG_SG_EEES9_SI_JZNS1_25segmented_radix_sort_implINS0_14default_configELb0EPKbPbPKlPlN2at6native12_GLOBAL__N_18offset_tEEE10hipError_tPvRmT1_PNSt15iterator_traitsIS12_E10value_typeET2_T3_PNS13_IS18_E10value_typeET4_jRbjT5_S1E_jjP12ihipStream_tbEUljE_ZNSN_ISO_Lb0ESQ_SR_ST_SU_SY_EESZ_S10_S11_S12_S16_S17_S18_S1B_S1C_jS1D_jS1E_S1E_jjS1G_bEUljE0_EEESZ_S10_S11_S18_S1C_S1E_T6_T7_T9_mT8_S1G_bDpT10_ENKUlT_T0_E_clISt17integral_constantIbLb1EES1U_EEDaS1P_S1Q_EUlS1P_E_NS1_11comp_targetILNS1_3genE3ELNS1_11target_archE908ELNS1_3gpuE7ELNS1_3repE0EEENS1_30default_config_static_selectorELNS0_4arch9wavefront6targetE0EEEvS12_,@function
_ZN7rocprim17ROCPRIM_400000_NS6detail17trampoline_kernelINS0_13select_configILj256ELj13ELNS0_17block_load_methodE3ELS4_3ELS4_3ELNS0_20block_scan_algorithmE0ELj4294967295EEENS1_25partition_config_selectorILNS1_17partition_subalgoE4EjNS0_10empty_typeEbEEZZNS1_14partition_implILS8_4ELb0ES6_15HIP_vector_typeIjLj2EENS0_17counting_iteratorIjlEEPS9_SG_NS0_5tupleIJPjSI_NS0_16reverse_iteratorISI_EEEEENSH_IJSG_SG_SG_EEES9_SI_JZNS1_25segmented_radix_sort_implINS0_14default_configELb0EPKbPbPKlPlN2at6native12_GLOBAL__N_18offset_tEEE10hipError_tPvRmT1_PNSt15iterator_traitsIS12_E10value_typeET2_T3_PNS13_IS18_E10value_typeET4_jRbjT5_S1E_jjP12ihipStream_tbEUljE_ZNSN_ISO_Lb0ESQ_SR_ST_SU_SY_EESZ_S10_S11_S12_S16_S17_S18_S1B_S1C_jS1D_jS1E_S1E_jjS1G_bEUljE0_EEESZ_S10_S11_S18_S1C_S1E_T6_T7_T9_mT8_S1G_bDpT10_ENKUlT_T0_E_clISt17integral_constantIbLb1EES1U_EEDaS1P_S1Q_EUlS1P_E_NS1_11comp_targetILNS1_3genE3ELNS1_11target_archE908ELNS1_3gpuE7ELNS1_3repE0EEENS1_30default_config_static_selectorELNS0_4arch9wavefront6targetE0EEEvS12_: ; @_ZN7rocprim17ROCPRIM_400000_NS6detail17trampoline_kernelINS0_13select_configILj256ELj13ELNS0_17block_load_methodE3ELS4_3ELS4_3ELNS0_20block_scan_algorithmE0ELj4294967295EEENS1_25partition_config_selectorILNS1_17partition_subalgoE4EjNS0_10empty_typeEbEEZZNS1_14partition_implILS8_4ELb0ES6_15HIP_vector_typeIjLj2EENS0_17counting_iteratorIjlEEPS9_SG_NS0_5tupleIJPjSI_NS0_16reverse_iteratorISI_EEEEENSH_IJSG_SG_SG_EEES9_SI_JZNS1_25segmented_radix_sort_implINS0_14default_configELb0EPKbPbPKlPlN2at6native12_GLOBAL__N_18offset_tEEE10hipError_tPvRmT1_PNSt15iterator_traitsIS12_E10value_typeET2_T3_PNS13_IS18_E10value_typeET4_jRbjT5_S1E_jjP12ihipStream_tbEUljE_ZNSN_ISO_Lb0ESQ_SR_ST_SU_SY_EESZ_S10_S11_S12_S16_S17_S18_S1B_S1C_jS1D_jS1E_S1E_jjS1G_bEUljE0_EEESZ_S10_S11_S18_S1C_S1E_T6_T7_T9_mT8_S1G_bDpT10_ENKUlT_T0_E_clISt17integral_constantIbLb1EES1U_EEDaS1P_S1Q_EUlS1P_E_NS1_11comp_targetILNS1_3genE3ELNS1_11target_archE908ELNS1_3gpuE7ELNS1_3repE0EEENS1_30default_config_static_selectorELNS0_4arch9wavefront6targetE0EEEvS12_
; %bb.0:
	.section	.rodata,"a",@progbits
	.p2align	6, 0x0
	.amdhsa_kernel _ZN7rocprim17ROCPRIM_400000_NS6detail17trampoline_kernelINS0_13select_configILj256ELj13ELNS0_17block_load_methodE3ELS4_3ELS4_3ELNS0_20block_scan_algorithmE0ELj4294967295EEENS1_25partition_config_selectorILNS1_17partition_subalgoE4EjNS0_10empty_typeEbEEZZNS1_14partition_implILS8_4ELb0ES6_15HIP_vector_typeIjLj2EENS0_17counting_iteratorIjlEEPS9_SG_NS0_5tupleIJPjSI_NS0_16reverse_iteratorISI_EEEEENSH_IJSG_SG_SG_EEES9_SI_JZNS1_25segmented_radix_sort_implINS0_14default_configELb0EPKbPbPKlPlN2at6native12_GLOBAL__N_18offset_tEEE10hipError_tPvRmT1_PNSt15iterator_traitsIS12_E10value_typeET2_T3_PNS13_IS18_E10value_typeET4_jRbjT5_S1E_jjP12ihipStream_tbEUljE_ZNSN_ISO_Lb0ESQ_SR_ST_SU_SY_EESZ_S10_S11_S12_S16_S17_S18_S1B_S1C_jS1D_jS1E_S1E_jjS1G_bEUljE0_EEESZ_S10_S11_S18_S1C_S1E_T6_T7_T9_mT8_S1G_bDpT10_ENKUlT_T0_E_clISt17integral_constantIbLb1EES1U_EEDaS1P_S1Q_EUlS1P_E_NS1_11comp_targetILNS1_3genE3ELNS1_11target_archE908ELNS1_3gpuE7ELNS1_3repE0EEENS1_30default_config_static_selectorELNS0_4arch9wavefront6targetE0EEEvS12_
		.amdhsa_group_segment_fixed_size 0
		.amdhsa_private_segment_fixed_size 0
		.amdhsa_kernarg_size 184
		.amdhsa_user_sgpr_count 2
		.amdhsa_user_sgpr_dispatch_ptr 0
		.amdhsa_user_sgpr_queue_ptr 0
		.amdhsa_user_sgpr_kernarg_segment_ptr 1
		.amdhsa_user_sgpr_dispatch_id 0
		.amdhsa_user_sgpr_kernarg_preload_length 0
		.amdhsa_user_sgpr_kernarg_preload_offset 0
		.amdhsa_user_sgpr_private_segment_size 0
		.amdhsa_wavefront_size32 1
		.amdhsa_uses_dynamic_stack 0
		.amdhsa_enable_private_segment 0
		.amdhsa_system_sgpr_workgroup_id_x 1
		.amdhsa_system_sgpr_workgroup_id_y 0
		.amdhsa_system_sgpr_workgroup_id_z 0
		.amdhsa_system_sgpr_workgroup_info 0
		.amdhsa_system_vgpr_workitem_id 0
		.amdhsa_next_free_vgpr 1
		.amdhsa_next_free_sgpr 1
		.amdhsa_named_barrier_count 0
		.amdhsa_reserve_vcc 0
		.amdhsa_float_round_mode_32 0
		.amdhsa_float_round_mode_16_64 0
		.amdhsa_float_denorm_mode_32 3
		.amdhsa_float_denorm_mode_16_64 3
		.amdhsa_fp16_overflow 0
		.amdhsa_memory_ordered 1
		.amdhsa_forward_progress 1
		.amdhsa_inst_pref_size 0
		.amdhsa_round_robin_scheduling 0
		.amdhsa_exception_fp_ieee_invalid_op 0
		.amdhsa_exception_fp_denorm_src 0
		.amdhsa_exception_fp_ieee_div_zero 0
		.amdhsa_exception_fp_ieee_overflow 0
		.amdhsa_exception_fp_ieee_underflow 0
		.amdhsa_exception_fp_ieee_inexact 0
		.amdhsa_exception_int_div_zero 0
	.end_amdhsa_kernel
	.section	.text._ZN7rocprim17ROCPRIM_400000_NS6detail17trampoline_kernelINS0_13select_configILj256ELj13ELNS0_17block_load_methodE3ELS4_3ELS4_3ELNS0_20block_scan_algorithmE0ELj4294967295EEENS1_25partition_config_selectorILNS1_17partition_subalgoE4EjNS0_10empty_typeEbEEZZNS1_14partition_implILS8_4ELb0ES6_15HIP_vector_typeIjLj2EENS0_17counting_iteratorIjlEEPS9_SG_NS0_5tupleIJPjSI_NS0_16reverse_iteratorISI_EEEEENSH_IJSG_SG_SG_EEES9_SI_JZNS1_25segmented_radix_sort_implINS0_14default_configELb0EPKbPbPKlPlN2at6native12_GLOBAL__N_18offset_tEEE10hipError_tPvRmT1_PNSt15iterator_traitsIS12_E10value_typeET2_T3_PNS13_IS18_E10value_typeET4_jRbjT5_S1E_jjP12ihipStream_tbEUljE_ZNSN_ISO_Lb0ESQ_SR_ST_SU_SY_EESZ_S10_S11_S12_S16_S17_S18_S1B_S1C_jS1D_jS1E_S1E_jjS1G_bEUljE0_EEESZ_S10_S11_S18_S1C_S1E_T6_T7_T9_mT8_S1G_bDpT10_ENKUlT_T0_E_clISt17integral_constantIbLb1EES1U_EEDaS1P_S1Q_EUlS1P_E_NS1_11comp_targetILNS1_3genE3ELNS1_11target_archE908ELNS1_3gpuE7ELNS1_3repE0EEENS1_30default_config_static_selectorELNS0_4arch9wavefront6targetE0EEEvS12_,"axG",@progbits,_ZN7rocprim17ROCPRIM_400000_NS6detail17trampoline_kernelINS0_13select_configILj256ELj13ELNS0_17block_load_methodE3ELS4_3ELS4_3ELNS0_20block_scan_algorithmE0ELj4294967295EEENS1_25partition_config_selectorILNS1_17partition_subalgoE4EjNS0_10empty_typeEbEEZZNS1_14partition_implILS8_4ELb0ES6_15HIP_vector_typeIjLj2EENS0_17counting_iteratorIjlEEPS9_SG_NS0_5tupleIJPjSI_NS0_16reverse_iteratorISI_EEEEENSH_IJSG_SG_SG_EEES9_SI_JZNS1_25segmented_radix_sort_implINS0_14default_configELb0EPKbPbPKlPlN2at6native12_GLOBAL__N_18offset_tEEE10hipError_tPvRmT1_PNSt15iterator_traitsIS12_E10value_typeET2_T3_PNS13_IS18_E10value_typeET4_jRbjT5_S1E_jjP12ihipStream_tbEUljE_ZNSN_ISO_Lb0ESQ_SR_ST_SU_SY_EESZ_S10_S11_S12_S16_S17_S18_S1B_S1C_jS1D_jS1E_S1E_jjS1G_bEUljE0_EEESZ_S10_S11_S18_S1C_S1E_T6_T7_T9_mT8_S1G_bDpT10_ENKUlT_T0_E_clISt17integral_constantIbLb1EES1U_EEDaS1P_S1Q_EUlS1P_E_NS1_11comp_targetILNS1_3genE3ELNS1_11target_archE908ELNS1_3gpuE7ELNS1_3repE0EEENS1_30default_config_static_selectorELNS0_4arch9wavefront6targetE0EEEvS12_,comdat
.Lfunc_end1573:
	.size	_ZN7rocprim17ROCPRIM_400000_NS6detail17trampoline_kernelINS0_13select_configILj256ELj13ELNS0_17block_load_methodE3ELS4_3ELS4_3ELNS0_20block_scan_algorithmE0ELj4294967295EEENS1_25partition_config_selectorILNS1_17partition_subalgoE4EjNS0_10empty_typeEbEEZZNS1_14partition_implILS8_4ELb0ES6_15HIP_vector_typeIjLj2EENS0_17counting_iteratorIjlEEPS9_SG_NS0_5tupleIJPjSI_NS0_16reverse_iteratorISI_EEEEENSH_IJSG_SG_SG_EEES9_SI_JZNS1_25segmented_radix_sort_implINS0_14default_configELb0EPKbPbPKlPlN2at6native12_GLOBAL__N_18offset_tEEE10hipError_tPvRmT1_PNSt15iterator_traitsIS12_E10value_typeET2_T3_PNS13_IS18_E10value_typeET4_jRbjT5_S1E_jjP12ihipStream_tbEUljE_ZNSN_ISO_Lb0ESQ_SR_ST_SU_SY_EESZ_S10_S11_S12_S16_S17_S18_S1B_S1C_jS1D_jS1E_S1E_jjS1G_bEUljE0_EEESZ_S10_S11_S18_S1C_S1E_T6_T7_T9_mT8_S1G_bDpT10_ENKUlT_T0_E_clISt17integral_constantIbLb1EES1U_EEDaS1P_S1Q_EUlS1P_E_NS1_11comp_targetILNS1_3genE3ELNS1_11target_archE908ELNS1_3gpuE7ELNS1_3repE0EEENS1_30default_config_static_selectorELNS0_4arch9wavefront6targetE0EEEvS12_, .Lfunc_end1573-_ZN7rocprim17ROCPRIM_400000_NS6detail17trampoline_kernelINS0_13select_configILj256ELj13ELNS0_17block_load_methodE3ELS4_3ELS4_3ELNS0_20block_scan_algorithmE0ELj4294967295EEENS1_25partition_config_selectorILNS1_17partition_subalgoE4EjNS0_10empty_typeEbEEZZNS1_14partition_implILS8_4ELb0ES6_15HIP_vector_typeIjLj2EENS0_17counting_iteratorIjlEEPS9_SG_NS0_5tupleIJPjSI_NS0_16reverse_iteratorISI_EEEEENSH_IJSG_SG_SG_EEES9_SI_JZNS1_25segmented_radix_sort_implINS0_14default_configELb0EPKbPbPKlPlN2at6native12_GLOBAL__N_18offset_tEEE10hipError_tPvRmT1_PNSt15iterator_traitsIS12_E10value_typeET2_T3_PNS13_IS18_E10value_typeET4_jRbjT5_S1E_jjP12ihipStream_tbEUljE_ZNSN_ISO_Lb0ESQ_SR_ST_SU_SY_EESZ_S10_S11_S12_S16_S17_S18_S1B_S1C_jS1D_jS1E_S1E_jjS1G_bEUljE0_EEESZ_S10_S11_S18_S1C_S1E_T6_T7_T9_mT8_S1G_bDpT10_ENKUlT_T0_E_clISt17integral_constantIbLb1EES1U_EEDaS1P_S1Q_EUlS1P_E_NS1_11comp_targetILNS1_3genE3ELNS1_11target_archE908ELNS1_3gpuE7ELNS1_3repE0EEENS1_30default_config_static_selectorELNS0_4arch9wavefront6targetE0EEEvS12_
                                        ; -- End function
	.set _ZN7rocprim17ROCPRIM_400000_NS6detail17trampoline_kernelINS0_13select_configILj256ELj13ELNS0_17block_load_methodE3ELS4_3ELS4_3ELNS0_20block_scan_algorithmE0ELj4294967295EEENS1_25partition_config_selectorILNS1_17partition_subalgoE4EjNS0_10empty_typeEbEEZZNS1_14partition_implILS8_4ELb0ES6_15HIP_vector_typeIjLj2EENS0_17counting_iteratorIjlEEPS9_SG_NS0_5tupleIJPjSI_NS0_16reverse_iteratorISI_EEEEENSH_IJSG_SG_SG_EEES9_SI_JZNS1_25segmented_radix_sort_implINS0_14default_configELb0EPKbPbPKlPlN2at6native12_GLOBAL__N_18offset_tEEE10hipError_tPvRmT1_PNSt15iterator_traitsIS12_E10value_typeET2_T3_PNS13_IS18_E10value_typeET4_jRbjT5_S1E_jjP12ihipStream_tbEUljE_ZNSN_ISO_Lb0ESQ_SR_ST_SU_SY_EESZ_S10_S11_S12_S16_S17_S18_S1B_S1C_jS1D_jS1E_S1E_jjS1G_bEUljE0_EEESZ_S10_S11_S18_S1C_S1E_T6_T7_T9_mT8_S1G_bDpT10_ENKUlT_T0_E_clISt17integral_constantIbLb1EES1U_EEDaS1P_S1Q_EUlS1P_E_NS1_11comp_targetILNS1_3genE3ELNS1_11target_archE908ELNS1_3gpuE7ELNS1_3repE0EEENS1_30default_config_static_selectorELNS0_4arch9wavefront6targetE0EEEvS12_.num_vgpr, 0
	.set _ZN7rocprim17ROCPRIM_400000_NS6detail17trampoline_kernelINS0_13select_configILj256ELj13ELNS0_17block_load_methodE3ELS4_3ELS4_3ELNS0_20block_scan_algorithmE0ELj4294967295EEENS1_25partition_config_selectorILNS1_17partition_subalgoE4EjNS0_10empty_typeEbEEZZNS1_14partition_implILS8_4ELb0ES6_15HIP_vector_typeIjLj2EENS0_17counting_iteratorIjlEEPS9_SG_NS0_5tupleIJPjSI_NS0_16reverse_iteratorISI_EEEEENSH_IJSG_SG_SG_EEES9_SI_JZNS1_25segmented_radix_sort_implINS0_14default_configELb0EPKbPbPKlPlN2at6native12_GLOBAL__N_18offset_tEEE10hipError_tPvRmT1_PNSt15iterator_traitsIS12_E10value_typeET2_T3_PNS13_IS18_E10value_typeET4_jRbjT5_S1E_jjP12ihipStream_tbEUljE_ZNSN_ISO_Lb0ESQ_SR_ST_SU_SY_EESZ_S10_S11_S12_S16_S17_S18_S1B_S1C_jS1D_jS1E_S1E_jjS1G_bEUljE0_EEESZ_S10_S11_S18_S1C_S1E_T6_T7_T9_mT8_S1G_bDpT10_ENKUlT_T0_E_clISt17integral_constantIbLb1EES1U_EEDaS1P_S1Q_EUlS1P_E_NS1_11comp_targetILNS1_3genE3ELNS1_11target_archE908ELNS1_3gpuE7ELNS1_3repE0EEENS1_30default_config_static_selectorELNS0_4arch9wavefront6targetE0EEEvS12_.num_agpr, 0
	.set _ZN7rocprim17ROCPRIM_400000_NS6detail17trampoline_kernelINS0_13select_configILj256ELj13ELNS0_17block_load_methodE3ELS4_3ELS4_3ELNS0_20block_scan_algorithmE0ELj4294967295EEENS1_25partition_config_selectorILNS1_17partition_subalgoE4EjNS0_10empty_typeEbEEZZNS1_14partition_implILS8_4ELb0ES6_15HIP_vector_typeIjLj2EENS0_17counting_iteratorIjlEEPS9_SG_NS0_5tupleIJPjSI_NS0_16reverse_iteratorISI_EEEEENSH_IJSG_SG_SG_EEES9_SI_JZNS1_25segmented_radix_sort_implINS0_14default_configELb0EPKbPbPKlPlN2at6native12_GLOBAL__N_18offset_tEEE10hipError_tPvRmT1_PNSt15iterator_traitsIS12_E10value_typeET2_T3_PNS13_IS18_E10value_typeET4_jRbjT5_S1E_jjP12ihipStream_tbEUljE_ZNSN_ISO_Lb0ESQ_SR_ST_SU_SY_EESZ_S10_S11_S12_S16_S17_S18_S1B_S1C_jS1D_jS1E_S1E_jjS1G_bEUljE0_EEESZ_S10_S11_S18_S1C_S1E_T6_T7_T9_mT8_S1G_bDpT10_ENKUlT_T0_E_clISt17integral_constantIbLb1EES1U_EEDaS1P_S1Q_EUlS1P_E_NS1_11comp_targetILNS1_3genE3ELNS1_11target_archE908ELNS1_3gpuE7ELNS1_3repE0EEENS1_30default_config_static_selectorELNS0_4arch9wavefront6targetE0EEEvS12_.numbered_sgpr, 0
	.set _ZN7rocprim17ROCPRIM_400000_NS6detail17trampoline_kernelINS0_13select_configILj256ELj13ELNS0_17block_load_methodE3ELS4_3ELS4_3ELNS0_20block_scan_algorithmE0ELj4294967295EEENS1_25partition_config_selectorILNS1_17partition_subalgoE4EjNS0_10empty_typeEbEEZZNS1_14partition_implILS8_4ELb0ES6_15HIP_vector_typeIjLj2EENS0_17counting_iteratorIjlEEPS9_SG_NS0_5tupleIJPjSI_NS0_16reverse_iteratorISI_EEEEENSH_IJSG_SG_SG_EEES9_SI_JZNS1_25segmented_radix_sort_implINS0_14default_configELb0EPKbPbPKlPlN2at6native12_GLOBAL__N_18offset_tEEE10hipError_tPvRmT1_PNSt15iterator_traitsIS12_E10value_typeET2_T3_PNS13_IS18_E10value_typeET4_jRbjT5_S1E_jjP12ihipStream_tbEUljE_ZNSN_ISO_Lb0ESQ_SR_ST_SU_SY_EESZ_S10_S11_S12_S16_S17_S18_S1B_S1C_jS1D_jS1E_S1E_jjS1G_bEUljE0_EEESZ_S10_S11_S18_S1C_S1E_T6_T7_T9_mT8_S1G_bDpT10_ENKUlT_T0_E_clISt17integral_constantIbLb1EES1U_EEDaS1P_S1Q_EUlS1P_E_NS1_11comp_targetILNS1_3genE3ELNS1_11target_archE908ELNS1_3gpuE7ELNS1_3repE0EEENS1_30default_config_static_selectorELNS0_4arch9wavefront6targetE0EEEvS12_.num_named_barrier, 0
	.set _ZN7rocprim17ROCPRIM_400000_NS6detail17trampoline_kernelINS0_13select_configILj256ELj13ELNS0_17block_load_methodE3ELS4_3ELS4_3ELNS0_20block_scan_algorithmE0ELj4294967295EEENS1_25partition_config_selectorILNS1_17partition_subalgoE4EjNS0_10empty_typeEbEEZZNS1_14partition_implILS8_4ELb0ES6_15HIP_vector_typeIjLj2EENS0_17counting_iteratorIjlEEPS9_SG_NS0_5tupleIJPjSI_NS0_16reverse_iteratorISI_EEEEENSH_IJSG_SG_SG_EEES9_SI_JZNS1_25segmented_radix_sort_implINS0_14default_configELb0EPKbPbPKlPlN2at6native12_GLOBAL__N_18offset_tEEE10hipError_tPvRmT1_PNSt15iterator_traitsIS12_E10value_typeET2_T3_PNS13_IS18_E10value_typeET4_jRbjT5_S1E_jjP12ihipStream_tbEUljE_ZNSN_ISO_Lb0ESQ_SR_ST_SU_SY_EESZ_S10_S11_S12_S16_S17_S18_S1B_S1C_jS1D_jS1E_S1E_jjS1G_bEUljE0_EEESZ_S10_S11_S18_S1C_S1E_T6_T7_T9_mT8_S1G_bDpT10_ENKUlT_T0_E_clISt17integral_constantIbLb1EES1U_EEDaS1P_S1Q_EUlS1P_E_NS1_11comp_targetILNS1_3genE3ELNS1_11target_archE908ELNS1_3gpuE7ELNS1_3repE0EEENS1_30default_config_static_selectorELNS0_4arch9wavefront6targetE0EEEvS12_.private_seg_size, 0
	.set _ZN7rocprim17ROCPRIM_400000_NS6detail17trampoline_kernelINS0_13select_configILj256ELj13ELNS0_17block_load_methodE3ELS4_3ELS4_3ELNS0_20block_scan_algorithmE0ELj4294967295EEENS1_25partition_config_selectorILNS1_17partition_subalgoE4EjNS0_10empty_typeEbEEZZNS1_14partition_implILS8_4ELb0ES6_15HIP_vector_typeIjLj2EENS0_17counting_iteratorIjlEEPS9_SG_NS0_5tupleIJPjSI_NS0_16reverse_iteratorISI_EEEEENSH_IJSG_SG_SG_EEES9_SI_JZNS1_25segmented_radix_sort_implINS0_14default_configELb0EPKbPbPKlPlN2at6native12_GLOBAL__N_18offset_tEEE10hipError_tPvRmT1_PNSt15iterator_traitsIS12_E10value_typeET2_T3_PNS13_IS18_E10value_typeET4_jRbjT5_S1E_jjP12ihipStream_tbEUljE_ZNSN_ISO_Lb0ESQ_SR_ST_SU_SY_EESZ_S10_S11_S12_S16_S17_S18_S1B_S1C_jS1D_jS1E_S1E_jjS1G_bEUljE0_EEESZ_S10_S11_S18_S1C_S1E_T6_T7_T9_mT8_S1G_bDpT10_ENKUlT_T0_E_clISt17integral_constantIbLb1EES1U_EEDaS1P_S1Q_EUlS1P_E_NS1_11comp_targetILNS1_3genE3ELNS1_11target_archE908ELNS1_3gpuE7ELNS1_3repE0EEENS1_30default_config_static_selectorELNS0_4arch9wavefront6targetE0EEEvS12_.uses_vcc, 0
	.set _ZN7rocprim17ROCPRIM_400000_NS6detail17trampoline_kernelINS0_13select_configILj256ELj13ELNS0_17block_load_methodE3ELS4_3ELS4_3ELNS0_20block_scan_algorithmE0ELj4294967295EEENS1_25partition_config_selectorILNS1_17partition_subalgoE4EjNS0_10empty_typeEbEEZZNS1_14partition_implILS8_4ELb0ES6_15HIP_vector_typeIjLj2EENS0_17counting_iteratorIjlEEPS9_SG_NS0_5tupleIJPjSI_NS0_16reverse_iteratorISI_EEEEENSH_IJSG_SG_SG_EEES9_SI_JZNS1_25segmented_radix_sort_implINS0_14default_configELb0EPKbPbPKlPlN2at6native12_GLOBAL__N_18offset_tEEE10hipError_tPvRmT1_PNSt15iterator_traitsIS12_E10value_typeET2_T3_PNS13_IS18_E10value_typeET4_jRbjT5_S1E_jjP12ihipStream_tbEUljE_ZNSN_ISO_Lb0ESQ_SR_ST_SU_SY_EESZ_S10_S11_S12_S16_S17_S18_S1B_S1C_jS1D_jS1E_S1E_jjS1G_bEUljE0_EEESZ_S10_S11_S18_S1C_S1E_T6_T7_T9_mT8_S1G_bDpT10_ENKUlT_T0_E_clISt17integral_constantIbLb1EES1U_EEDaS1P_S1Q_EUlS1P_E_NS1_11comp_targetILNS1_3genE3ELNS1_11target_archE908ELNS1_3gpuE7ELNS1_3repE0EEENS1_30default_config_static_selectorELNS0_4arch9wavefront6targetE0EEEvS12_.uses_flat_scratch, 0
	.set _ZN7rocprim17ROCPRIM_400000_NS6detail17trampoline_kernelINS0_13select_configILj256ELj13ELNS0_17block_load_methodE3ELS4_3ELS4_3ELNS0_20block_scan_algorithmE0ELj4294967295EEENS1_25partition_config_selectorILNS1_17partition_subalgoE4EjNS0_10empty_typeEbEEZZNS1_14partition_implILS8_4ELb0ES6_15HIP_vector_typeIjLj2EENS0_17counting_iteratorIjlEEPS9_SG_NS0_5tupleIJPjSI_NS0_16reverse_iteratorISI_EEEEENSH_IJSG_SG_SG_EEES9_SI_JZNS1_25segmented_radix_sort_implINS0_14default_configELb0EPKbPbPKlPlN2at6native12_GLOBAL__N_18offset_tEEE10hipError_tPvRmT1_PNSt15iterator_traitsIS12_E10value_typeET2_T3_PNS13_IS18_E10value_typeET4_jRbjT5_S1E_jjP12ihipStream_tbEUljE_ZNSN_ISO_Lb0ESQ_SR_ST_SU_SY_EESZ_S10_S11_S12_S16_S17_S18_S1B_S1C_jS1D_jS1E_S1E_jjS1G_bEUljE0_EEESZ_S10_S11_S18_S1C_S1E_T6_T7_T9_mT8_S1G_bDpT10_ENKUlT_T0_E_clISt17integral_constantIbLb1EES1U_EEDaS1P_S1Q_EUlS1P_E_NS1_11comp_targetILNS1_3genE3ELNS1_11target_archE908ELNS1_3gpuE7ELNS1_3repE0EEENS1_30default_config_static_selectorELNS0_4arch9wavefront6targetE0EEEvS12_.has_dyn_sized_stack, 0
	.set _ZN7rocprim17ROCPRIM_400000_NS6detail17trampoline_kernelINS0_13select_configILj256ELj13ELNS0_17block_load_methodE3ELS4_3ELS4_3ELNS0_20block_scan_algorithmE0ELj4294967295EEENS1_25partition_config_selectorILNS1_17partition_subalgoE4EjNS0_10empty_typeEbEEZZNS1_14partition_implILS8_4ELb0ES6_15HIP_vector_typeIjLj2EENS0_17counting_iteratorIjlEEPS9_SG_NS0_5tupleIJPjSI_NS0_16reverse_iteratorISI_EEEEENSH_IJSG_SG_SG_EEES9_SI_JZNS1_25segmented_radix_sort_implINS0_14default_configELb0EPKbPbPKlPlN2at6native12_GLOBAL__N_18offset_tEEE10hipError_tPvRmT1_PNSt15iterator_traitsIS12_E10value_typeET2_T3_PNS13_IS18_E10value_typeET4_jRbjT5_S1E_jjP12ihipStream_tbEUljE_ZNSN_ISO_Lb0ESQ_SR_ST_SU_SY_EESZ_S10_S11_S12_S16_S17_S18_S1B_S1C_jS1D_jS1E_S1E_jjS1G_bEUljE0_EEESZ_S10_S11_S18_S1C_S1E_T6_T7_T9_mT8_S1G_bDpT10_ENKUlT_T0_E_clISt17integral_constantIbLb1EES1U_EEDaS1P_S1Q_EUlS1P_E_NS1_11comp_targetILNS1_3genE3ELNS1_11target_archE908ELNS1_3gpuE7ELNS1_3repE0EEENS1_30default_config_static_selectorELNS0_4arch9wavefront6targetE0EEEvS12_.has_recursion, 0
	.set _ZN7rocprim17ROCPRIM_400000_NS6detail17trampoline_kernelINS0_13select_configILj256ELj13ELNS0_17block_load_methodE3ELS4_3ELS4_3ELNS0_20block_scan_algorithmE0ELj4294967295EEENS1_25partition_config_selectorILNS1_17partition_subalgoE4EjNS0_10empty_typeEbEEZZNS1_14partition_implILS8_4ELb0ES6_15HIP_vector_typeIjLj2EENS0_17counting_iteratorIjlEEPS9_SG_NS0_5tupleIJPjSI_NS0_16reverse_iteratorISI_EEEEENSH_IJSG_SG_SG_EEES9_SI_JZNS1_25segmented_radix_sort_implINS0_14default_configELb0EPKbPbPKlPlN2at6native12_GLOBAL__N_18offset_tEEE10hipError_tPvRmT1_PNSt15iterator_traitsIS12_E10value_typeET2_T3_PNS13_IS18_E10value_typeET4_jRbjT5_S1E_jjP12ihipStream_tbEUljE_ZNSN_ISO_Lb0ESQ_SR_ST_SU_SY_EESZ_S10_S11_S12_S16_S17_S18_S1B_S1C_jS1D_jS1E_S1E_jjS1G_bEUljE0_EEESZ_S10_S11_S18_S1C_S1E_T6_T7_T9_mT8_S1G_bDpT10_ENKUlT_T0_E_clISt17integral_constantIbLb1EES1U_EEDaS1P_S1Q_EUlS1P_E_NS1_11comp_targetILNS1_3genE3ELNS1_11target_archE908ELNS1_3gpuE7ELNS1_3repE0EEENS1_30default_config_static_selectorELNS0_4arch9wavefront6targetE0EEEvS12_.has_indirect_call, 0
	.section	.AMDGPU.csdata,"",@progbits
; Kernel info:
; codeLenInByte = 0
; TotalNumSgprs: 0
; NumVgprs: 0
; ScratchSize: 0
; MemoryBound: 0
; FloatMode: 240
; IeeeMode: 1
; LDSByteSize: 0 bytes/workgroup (compile time only)
; SGPRBlocks: 0
; VGPRBlocks: 0
; NumSGPRsForWavesPerEU: 1
; NumVGPRsForWavesPerEU: 1
; NamedBarCnt: 0
; Occupancy: 16
; WaveLimiterHint : 0
; COMPUTE_PGM_RSRC2:SCRATCH_EN: 0
; COMPUTE_PGM_RSRC2:USER_SGPR: 2
; COMPUTE_PGM_RSRC2:TRAP_HANDLER: 0
; COMPUTE_PGM_RSRC2:TGID_X_EN: 1
; COMPUTE_PGM_RSRC2:TGID_Y_EN: 0
; COMPUTE_PGM_RSRC2:TGID_Z_EN: 0
; COMPUTE_PGM_RSRC2:TIDIG_COMP_CNT: 0
	.section	.text._ZN7rocprim17ROCPRIM_400000_NS6detail17trampoline_kernelINS0_13select_configILj256ELj13ELNS0_17block_load_methodE3ELS4_3ELS4_3ELNS0_20block_scan_algorithmE0ELj4294967295EEENS1_25partition_config_selectorILNS1_17partition_subalgoE4EjNS0_10empty_typeEbEEZZNS1_14partition_implILS8_4ELb0ES6_15HIP_vector_typeIjLj2EENS0_17counting_iteratorIjlEEPS9_SG_NS0_5tupleIJPjSI_NS0_16reverse_iteratorISI_EEEEENSH_IJSG_SG_SG_EEES9_SI_JZNS1_25segmented_radix_sort_implINS0_14default_configELb0EPKbPbPKlPlN2at6native12_GLOBAL__N_18offset_tEEE10hipError_tPvRmT1_PNSt15iterator_traitsIS12_E10value_typeET2_T3_PNS13_IS18_E10value_typeET4_jRbjT5_S1E_jjP12ihipStream_tbEUljE_ZNSN_ISO_Lb0ESQ_SR_ST_SU_SY_EESZ_S10_S11_S12_S16_S17_S18_S1B_S1C_jS1D_jS1E_S1E_jjS1G_bEUljE0_EEESZ_S10_S11_S18_S1C_S1E_T6_T7_T9_mT8_S1G_bDpT10_ENKUlT_T0_E_clISt17integral_constantIbLb1EES1U_EEDaS1P_S1Q_EUlS1P_E_NS1_11comp_targetILNS1_3genE2ELNS1_11target_archE906ELNS1_3gpuE6ELNS1_3repE0EEENS1_30default_config_static_selectorELNS0_4arch9wavefront6targetE0EEEvS12_,"axG",@progbits,_ZN7rocprim17ROCPRIM_400000_NS6detail17trampoline_kernelINS0_13select_configILj256ELj13ELNS0_17block_load_methodE3ELS4_3ELS4_3ELNS0_20block_scan_algorithmE0ELj4294967295EEENS1_25partition_config_selectorILNS1_17partition_subalgoE4EjNS0_10empty_typeEbEEZZNS1_14partition_implILS8_4ELb0ES6_15HIP_vector_typeIjLj2EENS0_17counting_iteratorIjlEEPS9_SG_NS0_5tupleIJPjSI_NS0_16reverse_iteratorISI_EEEEENSH_IJSG_SG_SG_EEES9_SI_JZNS1_25segmented_radix_sort_implINS0_14default_configELb0EPKbPbPKlPlN2at6native12_GLOBAL__N_18offset_tEEE10hipError_tPvRmT1_PNSt15iterator_traitsIS12_E10value_typeET2_T3_PNS13_IS18_E10value_typeET4_jRbjT5_S1E_jjP12ihipStream_tbEUljE_ZNSN_ISO_Lb0ESQ_SR_ST_SU_SY_EESZ_S10_S11_S12_S16_S17_S18_S1B_S1C_jS1D_jS1E_S1E_jjS1G_bEUljE0_EEESZ_S10_S11_S18_S1C_S1E_T6_T7_T9_mT8_S1G_bDpT10_ENKUlT_T0_E_clISt17integral_constantIbLb1EES1U_EEDaS1P_S1Q_EUlS1P_E_NS1_11comp_targetILNS1_3genE2ELNS1_11target_archE906ELNS1_3gpuE6ELNS1_3repE0EEENS1_30default_config_static_selectorELNS0_4arch9wavefront6targetE0EEEvS12_,comdat
	.globl	_ZN7rocprim17ROCPRIM_400000_NS6detail17trampoline_kernelINS0_13select_configILj256ELj13ELNS0_17block_load_methodE3ELS4_3ELS4_3ELNS0_20block_scan_algorithmE0ELj4294967295EEENS1_25partition_config_selectorILNS1_17partition_subalgoE4EjNS0_10empty_typeEbEEZZNS1_14partition_implILS8_4ELb0ES6_15HIP_vector_typeIjLj2EENS0_17counting_iteratorIjlEEPS9_SG_NS0_5tupleIJPjSI_NS0_16reverse_iteratorISI_EEEEENSH_IJSG_SG_SG_EEES9_SI_JZNS1_25segmented_radix_sort_implINS0_14default_configELb0EPKbPbPKlPlN2at6native12_GLOBAL__N_18offset_tEEE10hipError_tPvRmT1_PNSt15iterator_traitsIS12_E10value_typeET2_T3_PNS13_IS18_E10value_typeET4_jRbjT5_S1E_jjP12ihipStream_tbEUljE_ZNSN_ISO_Lb0ESQ_SR_ST_SU_SY_EESZ_S10_S11_S12_S16_S17_S18_S1B_S1C_jS1D_jS1E_S1E_jjS1G_bEUljE0_EEESZ_S10_S11_S18_S1C_S1E_T6_T7_T9_mT8_S1G_bDpT10_ENKUlT_T0_E_clISt17integral_constantIbLb1EES1U_EEDaS1P_S1Q_EUlS1P_E_NS1_11comp_targetILNS1_3genE2ELNS1_11target_archE906ELNS1_3gpuE6ELNS1_3repE0EEENS1_30default_config_static_selectorELNS0_4arch9wavefront6targetE0EEEvS12_ ; -- Begin function _ZN7rocprim17ROCPRIM_400000_NS6detail17trampoline_kernelINS0_13select_configILj256ELj13ELNS0_17block_load_methodE3ELS4_3ELS4_3ELNS0_20block_scan_algorithmE0ELj4294967295EEENS1_25partition_config_selectorILNS1_17partition_subalgoE4EjNS0_10empty_typeEbEEZZNS1_14partition_implILS8_4ELb0ES6_15HIP_vector_typeIjLj2EENS0_17counting_iteratorIjlEEPS9_SG_NS0_5tupleIJPjSI_NS0_16reverse_iteratorISI_EEEEENSH_IJSG_SG_SG_EEES9_SI_JZNS1_25segmented_radix_sort_implINS0_14default_configELb0EPKbPbPKlPlN2at6native12_GLOBAL__N_18offset_tEEE10hipError_tPvRmT1_PNSt15iterator_traitsIS12_E10value_typeET2_T3_PNS13_IS18_E10value_typeET4_jRbjT5_S1E_jjP12ihipStream_tbEUljE_ZNSN_ISO_Lb0ESQ_SR_ST_SU_SY_EESZ_S10_S11_S12_S16_S17_S18_S1B_S1C_jS1D_jS1E_S1E_jjS1G_bEUljE0_EEESZ_S10_S11_S18_S1C_S1E_T6_T7_T9_mT8_S1G_bDpT10_ENKUlT_T0_E_clISt17integral_constantIbLb1EES1U_EEDaS1P_S1Q_EUlS1P_E_NS1_11comp_targetILNS1_3genE2ELNS1_11target_archE906ELNS1_3gpuE6ELNS1_3repE0EEENS1_30default_config_static_selectorELNS0_4arch9wavefront6targetE0EEEvS12_
	.p2align	8
	.type	_ZN7rocprim17ROCPRIM_400000_NS6detail17trampoline_kernelINS0_13select_configILj256ELj13ELNS0_17block_load_methodE3ELS4_3ELS4_3ELNS0_20block_scan_algorithmE0ELj4294967295EEENS1_25partition_config_selectorILNS1_17partition_subalgoE4EjNS0_10empty_typeEbEEZZNS1_14partition_implILS8_4ELb0ES6_15HIP_vector_typeIjLj2EENS0_17counting_iteratorIjlEEPS9_SG_NS0_5tupleIJPjSI_NS0_16reverse_iteratorISI_EEEEENSH_IJSG_SG_SG_EEES9_SI_JZNS1_25segmented_radix_sort_implINS0_14default_configELb0EPKbPbPKlPlN2at6native12_GLOBAL__N_18offset_tEEE10hipError_tPvRmT1_PNSt15iterator_traitsIS12_E10value_typeET2_T3_PNS13_IS18_E10value_typeET4_jRbjT5_S1E_jjP12ihipStream_tbEUljE_ZNSN_ISO_Lb0ESQ_SR_ST_SU_SY_EESZ_S10_S11_S12_S16_S17_S18_S1B_S1C_jS1D_jS1E_S1E_jjS1G_bEUljE0_EEESZ_S10_S11_S18_S1C_S1E_T6_T7_T9_mT8_S1G_bDpT10_ENKUlT_T0_E_clISt17integral_constantIbLb1EES1U_EEDaS1P_S1Q_EUlS1P_E_NS1_11comp_targetILNS1_3genE2ELNS1_11target_archE906ELNS1_3gpuE6ELNS1_3repE0EEENS1_30default_config_static_selectorELNS0_4arch9wavefront6targetE0EEEvS12_,@function
_ZN7rocprim17ROCPRIM_400000_NS6detail17trampoline_kernelINS0_13select_configILj256ELj13ELNS0_17block_load_methodE3ELS4_3ELS4_3ELNS0_20block_scan_algorithmE0ELj4294967295EEENS1_25partition_config_selectorILNS1_17partition_subalgoE4EjNS0_10empty_typeEbEEZZNS1_14partition_implILS8_4ELb0ES6_15HIP_vector_typeIjLj2EENS0_17counting_iteratorIjlEEPS9_SG_NS0_5tupleIJPjSI_NS0_16reverse_iteratorISI_EEEEENSH_IJSG_SG_SG_EEES9_SI_JZNS1_25segmented_radix_sort_implINS0_14default_configELb0EPKbPbPKlPlN2at6native12_GLOBAL__N_18offset_tEEE10hipError_tPvRmT1_PNSt15iterator_traitsIS12_E10value_typeET2_T3_PNS13_IS18_E10value_typeET4_jRbjT5_S1E_jjP12ihipStream_tbEUljE_ZNSN_ISO_Lb0ESQ_SR_ST_SU_SY_EESZ_S10_S11_S12_S16_S17_S18_S1B_S1C_jS1D_jS1E_S1E_jjS1G_bEUljE0_EEESZ_S10_S11_S18_S1C_S1E_T6_T7_T9_mT8_S1G_bDpT10_ENKUlT_T0_E_clISt17integral_constantIbLb1EES1U_EEDaS1P_S1Q_EUlS1P_E_NS1_11comp_targetILNS1_3genE2ELNS1_11target_archE906ELNS1_3gpuE6ELNS1_3repE0EEENS1_30default_config_static_selectorELNS0_4arch9wavefront6targetE0EEEvS12_: ; @_ZN7rocprim17ROCPRIM_400000_NS6detail17trampoline_kernelINS0_13select_configILj256ELj13ELNS0_17block_load_methodE3ELS4_3ELS4_3ELNS0_20block_scan_algorithmE0ELj4294967295EEENS1_25partition_config_selectorILNS1_17partition_subalgoE4EjNS0_10empty_typeEbEEZZNS1_14partition_implILS8_4ELb0ES6_15HIP_vector_typeIjLj2EENS0_17counting_iteratorIjlEEPS9_SG_NS0_5tupleIJPjSI_NS0_16reverse_iteratorISI_EEEEENSH_IJSG_SG_SG_EEES9_SI_JZNS1_25segmented_radix_sort_implINS0_14default_configELb0EPKbPbPKlPlN2at6native12_GLOBAL__N_18offset_tEEE10hipError_tPvRmT1_PNSt15iterator_traitsIS12_E10value_typeET2_T3_PNS13_IS18_E10value_typeET4_jRbjT5_S1E_jjP12ihipStream_tbEUljE_ZNSN_ISO_Lb0ESQ_SR_ST_SU_SY_EESZ_S10_S11_S12_S16_S17_S18_S1B_S1C_jS1D_jS1E_S1E_jjS1G_bEUljE0_EEESZ_S10_S11_S18_S1C_S1E_T6_T7_T9_mT8_S1G_bDpT10_ENKUlT_T0_E_clISt17integral_constantIbLb1EES1U_EEDaS1P_S1Q_EUlS1P_E_NS1_11comp_targetILNS1_3genE2ELNS1_11target_archE906ELNS1_3gpuE6ELNS1_3repE0EEENS1_30default_config_static_selectorELNS0_4arch9wavefront6targetE0EEEvS12_
; %bb.0:
	.section	.rodata,"a",@progbits
	.p2align	6, 0x0
	.amdhsa_kernel _ZN7rocprim17ROCPRIM_400000_NS6detail17trampoline_kernelINS0_13select_configILj256ELj13ELNS0_17block_load_methodE3ELS4_3ELS4_3ELNS0_20block_scan_algorithmE0ELj4294967295EEENS1_25partition_config_selectorILNS1_17partition_subalgoE4EjNS0_10empty_typeEbEEZZNS1_14partition_implILS8_4ELb0ES6_15HIP_vector_typeIjLj2EENS0_17counting_iteratorIjlEEPS9_SG_NS0_5tupleIJPjSI_NS0_16reverse_iteratorISI_EEEEENSH_IJSG_SG_SG_EEES9_SI_JZNS1_25segmented_radix_sort_implINS0_14default_configELb0EPKbPbPKlPlN2at6native12_GLOBAL__N_18offset_tEEE10hipError_tPvRmT1_PNSt15iterator_traitsIS12_E10value_typeET2_T3_PNS13_IS18_E10value_typeET4_jRbjT5_S1E_jjP12ihipStream_tbEUljE_ZNSN_ISO_Lb0ESQ_SR_ST_SU_SY_EESZ_S10_S11_S12_S16_S17_S18_S1B_S1C_jS1D_jS1E_S1E_jjS1G_bEUljE0_EEESZ_S10_S11_S18_S1C_S1E_T6_T7_T9_mT8_S1G_bDpT10_ENKUlT_T0_E_clISt17integral_constantIbLb1EES1U_EEDaS1P_S1Q_EUlS1P_E_NS1_11comp_targetILNS1_3genE2ELNS1_11target_archE906ELNS1_3gpuE6ELNS1_3repE0EEENS1_30default_config_static_selectorELNS0_4arch9wavefront6targetE0EEEvS12_
		.amdhsa_group_segment_fixed_size 0
		.amdhsa_private_segment_fixed_size 0
		.amdhsa_kernarg_size 184
		.amdhsa_user_sgpr_count 2
		.amdhsa_user_sgpr_dispatch_ptr 0
		.amdhsa_user_sgpr_queue_ptr 0
		.amdhsa_user_sgpr_kernarg_segment_ptr 1
		.amdhsa_user_sgpr_dispatch_id 0
		.amdhsa_user_sgpr_kernarg_preload_length 0
		.amdhsa_user_sgpr_kernarg_preload_offset 0
		.amdhsa_user_sgpr_private_segment_size 0
		.amdhsa_wavefront_size32 1
		.amdhsa_uses_dynamic_stack 0
		.amdhsa_enable_private_segment 0
		.amdhsa_system_sgpr_workgroup_id_x 1
		.amdhsa_system_sgpr_workgroup_id_y 0
		.amdhsa_system_sgpr_workgroup_id_z 0
		.amdhsa_system_sgpr_workgroup_info 0
		.amdhsa_system_vgpr_workitem_id 0
		.amdhsa_next_free_vgpr 1
		.amdhsa_next_free_sgpr 1
		.amdhsa_named_barrier_count 0
		.amdhsa_reserve_vcc 0
		.amdhsa_float_round_mode_32 0
		.amdhsa_float_round_mode_16_64 0
		.amdhsa_float_denorm_mode_32 3
		.amdhsa_float_denorm_mode_16_64 3
		.amdhsa_fp16_overflow 0
		.amdhsa_memory_ordered 1
		.amdhsa_forward_progress 1
		.amdhsa_inst_pref_size 0
		.amdhsa_round_robin_scheduling 0
		.amdhsa_exception_fp_ieee_invalid_op 0
		.amdhsa_exception_fp_denorm_src 0
		.amdhsa_exception_fp_ieee_div_zero 0
		.amdhsa_exception_fp_ieee_overflow 0
		.amdhsa_exception_fp_ieee_underflow 0
		.amdhsa_exception_fp_ieee_inexact 0
		.amdhsa_exception_int_div_zero 0
	.end_amdhsa_kernel
	.section	.text._ZN7rocprim17ROCPRIM_400000_NS6detail17trampoline_kernelINS0_13select_configILj256ELj13ELNS0_17block_load_methodE3ELS4_3ELS4_3ELNS0_20block_scan_algorithmE0ELj4294967295EEENS1_25partition_config_selectorILNS1_17partition_subalgoE4EjNS0_10empty_typeEbEEZZNS1_14partition_implILS8_4ELb0ES6_15HIP_vector_typeIjLj2EENS0_17counting_iteratorIjlEEPS9_SG_NS0_5tupleIJPjSI_NS0_16reverse_iteratorISI_EEEEENSH_IJSG_SG_SG_EEES9_SI_JZNS1_25segmented_radix_sort_implINS0_14default_configELb0EPKbPbPKlPlN2at6native12_GLOBAL__N_18offset_tEEE10hipError_tPvRmT1_PNSt15iterator_traitsIS12_E10value_typeET2_T3_PNS13_IS18_E10value_typeET4_jRbjT5_S1E_jjP12ihipStream_tbEUljE_ZNSN_ISO_Lb0ESQ_SR_ST_SU_SY_EESZ_S10_S11_S12_S16_S17_S18_S1B_S1C_jS1D_jS1E_S1E_jjS1G_bEUljE0_EEESZ_S10_S11_S18_S1C_S1E_T6_T7_T9_mT8_S1G_bDpT10_ENKUlT_T0_E_clISt17integral_constantIbLb1EES1U_EEDaS1P_S1Q_EUlS1P_E_NS1_11comp_targetILNS1_3genE2ELNS1_11target_archE906ELNS1_3gpuE6ELNS1_3repE0EEENS1_30default_config_static_selectorELNS0_4arch9wavefront6targetE0EEEvS12_,"axG",@progbits,_ZN7rocprim17ROCPRIM_400000_NS6detail17trampoline_kernelINS0_13select_configILj256ELj13ELNS0_17block_load_methodE3ELS4_3ELS4_3ELNS0_20block_scan_algorithmE0ELj4294967295EEENS1_25partition_config_selectorILNS1_17partition_subalgoE4EjNS0_10empty_typeEbEEZZNS1_14partition_implILS8_4ELb0ES6_15HIP_vector_typeIjLj2EENS0_17counting_iteratorIjlEEPS9_SG_NS0_5tupleIJPjSI_NS0_16reverse_iteratorISI_EEEEENSH_IJSG_SG_SG_EEES9_SI_JZNS1_25segmented_radix_sort_implINS0_14default_configELb0EPKbPbPKlPlN2at6native12_GLOBAL__N_18offset_tEEE10hipError_tPvRmT1_PNSt15iterator_traitsIS12_E10value_typeET2_T3_PNS13_IS18_E10value_typeET4_jRbjT5_S1E_jjP12ihipStream_tbEUljE_ZNSN_ISO_Lb0ESQ_SR_ST_SU_SY_EESZ_S10_S11_S12_S16_S17_S18_S1B_S1C_jS1D_jS1E_S1E_jjS1G_bEUljE0_EEESZ_S10_S11_S18_S1C_S1E_T6_T7_T9_mT8_S1G_bDpT10_ENKUlT_T0_E_clISt17integral_constantIbLb1EES1U_EEDaS1P_S1Q_EUlS1P_E_NS1_11comp_targetILNS1_3genE2ELNS1_11target_archE906ELNS1_3gpuE6ELNS1_3repE0EEENS1_30default_config_static_selectorELNS0_4arch9wavefront6targetE0EEEvS12_,comdat
.Lfunc_end1574:
	.size	_ZN7rocprim17ROCPRIM_400000_NS6detail17trampoline_kernelINS0_13select_configILj256ELj13ELNS0_17block_load_methodE3ELS4_3ELS4_3ELNS0_20block_scan_algorithmE0ELj4294967295EEENS1_25partition_config_selectorILNS1_17partition_subalgoE4EjNS0_10empty_typeEbEEZZNS1_14partition_implILS8_4ELb0ES6_15HIP_vector_typeIjLj2EENS0_17counting_iteratorIjlEEPS9_SG_NS0_5tupleIJPjSI_NS0_16reverse_iteratorISI_EEEEENSH_IJSG_SG_SG_EEES9_SI_JZNS1_25segmented_radix_sort_implINS0_14default_configELb0EPKbPbPKlPlN2at6native12_GLOBAL__N_18offset_tEEE10hipError_tPvRmT1_PNSt15iterator_traitsIS12_E10value_typeET2_T3_PNS13_IS18_E10value_typeET4_jRbjT5_S1E_jjP12ihipStream_tbEUljE_ZNSN_ISO_Lb0ESQ_SR_ST_SU_SY_EESZ_S10_S11_S12_S16_S17_S18_S1B_S1C_jS1D_jS1E_S1E_jjS1G_bEUljE0_EEESZ_S10_S11_S18_S1C_S1E_T6_T7_T9_mT8_S1G_bDpT10_ENKUlT_T0_E_clISt17integral_constantIbLb1EES1U_EEDaS1P_S1Q_EUlS1P_E_NS1_11comp_targetILNS1_3genE2ELNS1_11target_archE906ELNS1_3gpuE6ELNS1_3repE0EEENS1_30default_config_static_selectorELNS0_4arch9wavefront6targetE0EEEvS12_, .Lfunc_end1574-_ZN7rocprim17ROCPRIM_400000_NS6detail17trampoline_kernelINS0_13select_configILj256ELj13ELNS0_17block_load_methodE3ELS4_3ELS4_3ELNS0_20block_scan_algorithmE0ELj4294967295EEENS1_25partition_config_selectorILNS1_17partition_subalgoE4EjNS0_10empty_typeEbEEZZNS1_14partition_implILS8_4ELb0ES6_15HIP_vector_typeIjLj2EENS0_17counting_iteratorIjlEEPS9_SG_NS0_5tupleIJPjSI_NS0_16reverse_iteratorISI_EEEEENSH_IJSG_SG_SG_EEES9_SI_JZNS1_25segmented_radix_sort_implINS0_14default_configELb0EPKbPbPKlPlN2at6native12_GLOBAL__N_18offset_tEEE10hipError_tPvRmT1_PNSt15iterator_traitsIS12_E10value_typeET2_T3_PNS13_IS18_E10value_typeET4_jRbjT5_S1E_jjP12ihipStream_tbEUljE_ZNSN_ISO_Lb0ESQ_SR_ST_SU_SY_EESZ_S10_S11_S12_S16_S17_S18_S1B_S1C_jS1D_jS1E_S1E_jjS1G_bEUljE0_EEESZ_S10_S11_S18_S1C_S1E_T6_T7_T9_mT8_S1G_bDpT10_ENKUlT_T0_E_clISt17integral_constantIbLb1EES1U_EEDaS1P_S1Q_EUlS1P_E_NS1_11comp_targetILNS1_3genE2ELNS1_11target_archE906ELNS1_3gpuE6ELNS1_3repE0EEENS1_30default_config_static_selectorELNS0_4arch9wavefront6targetE0EEEvS12_
                                        ; -- End function
	.set _ZN7rocprim17ROCPRIM_400000_NS6detail17trampoline_kernelINS0_13select_configILj256ELj13ELNS0_17block_load_methodE3ELS4_3ELS4_3ELNS0_20block_scan_algorithmE0ELj4294967295EEENS1_25partition_config_selectorILNS1_17partition_subalgoE4EjNS0_10empty_typeEbEEZZNS1_14partition_implILS8_4ELb0ES6_15HIP_vector_typeIjLj2EENS0_17counting_iteratorIjlEEPS9_SG_NS0_5tupleIJPjSI_NS0_16reverse_iteratorISI_EEEEENSH_IJSG_SG_SG_EEES9_SI_JZNS1_25segmented_radix_sort_implINS0_14default_configELb0EPKbPbPKlPlN2at6native12_GLOBAL__N_18offset_tEEE10hipError_tPvRmT1_PNSt15iterator_traitsIS12_E10value_typeET2_T3_PNS13_IS18_E10value_typeET4_jRbjT5_S1E_jjP12ihipStream_tbEUljE_ZNSN_ISO_Lb0ESQ_SR_ST_SU_SY_EESZ_S10_S11_S12_S16_S17_S18_S1B_S1C_jS1D_jS1E_S1E_jjS1G_bEUljE0_EEESZ_S10_S11_S18_S1C_S1E_T6_T7_T9_mT8_S1G_bDpT10_ENKUlT_T0_E_clISt17integral_constantIbLb1EES1U_EEDaS1P_S1Q_EUlS1P_E_NS1_11comp_targetILNS1_3genE2ELNS1_11target_archE906ELNS1_3gpuE6ELNS1_3repE0EEENS1_30default_config_static_selectorELNS0_4arch9wavefront6targetE0EEEvS12_.num_vgpr, 0
	.set _ZN7rocprim17ROCPRIM_400000_NS6detail17trampoline_kernelINS0_13select_configILj256ELj13ELNS0_17block_load_methodE3ELS4_3ELS4_3ELNS0_20block_scan_algorithmE0ELj4294967295EEENS1_25partition_config_selectorILNS1_17partition_subalgoE4EjNS0_10empty_typeEbEEZZNS1_14partition_implILS8_4ELb0ES6_15HIP_vector_typeIjLj2EENS0_17counting_iteratorIjlEEPS9_SG_NS0_5tupleIJPjSI_NS0_16reverse_iteratorISI_EEEEENSH_IJSG_SG_SG_EEES9_SI_JZNS1_25segmented_radix_sort_implINS0_14default_configELb0EPKbPbPKlPlN2at6native12_GLOBAL__N_18offset_tEEE10hipError_tPvRmT1_PNSt15iterator_traitsIS12_E10value_typeET2_T3_PNS13_IS18_E10value_typeET4_jRbjT5_S1E_jjP12ihipStream_tbEUljE_ZNSN_ISO_Lb0ESQ_SR_ST_SU_SY_EESZ_S10_S11_S12_S16_S17_S18_S1B_S1C_jS1D_jS1E_S1E_jjS1G_bEUljE0_EEESZ_S10_S11_S18_S1C_S1E_T6_T7_T9_mT8_S1G_bDpT10_ENKUlT_T0_E_clISt17integral_constantIbLb1EES1U_EEDaS1P_S1Q_EUlS1P_E_NS1_11comp_targetILNS1_3genE2ELNS1_11target_archE906ELNS1_3gpuE6ELNS1_3repE0EEENS1_30default_config_static_selectorELNS0_4arch9wavefront6targetE0EEEvS12_.num_agpr, 0
	.set _ZN7rocprim17ROCPRIM_400000_NS6detail17trampoline_kernelINS0_13select_configILj256ELj13ELNS0_17block_load_methodE3ELS4_3ELS4_3ELNS0_20block_scan_algorithmE0ELj4294967295EEENS1_25partition_config_selectorILNS1_17partition_subalgoE4EjNS0_10empty_typeEbEEZZNS1_14partition_implILS8_4ELb0ES6_15HIP_vector_typeIjLj2EENS0_17counting_iteratorIjlEEPS9_SG_NS0_5tupleIJPjSI_NS0_16reverse_iteratorISI_EEEEENSH_IJSG_SG_SG_EEES9_SI_JZNS1_25segmented_radix_sort_implINS0_14default_configELb0EPKbPbPKlPlN2at6native12_GLOBAL__N_18offset_tEEE10hipError_tPvRmT1_PNSt15iterator_traitsIS12_E10value_typeET2_T3_PNS13_IS18_E10value_typeET4_jRbjT5_S1E_jjP12ihipStream_tbEUljE_ZNSN_ISO_Lb0ESQ_SR_ST_SU_SY_EESZ_S10_S11_S12_S16_S17_S18_S1B_S1C_jS1D_jS1E_S1E_jjS1G_bEUljE0_EEESZ_S10_S11_S18_S1C_S1E_T6_T7_T9_mT8_S1G_bDpT10_ENKUlT_T0_E_clISt17integral_constantIbLb1EES1U_EEDaS1P_S1Q_EUlS1P_E_NS1_11comp_targetILNS1_3genE2ELNS1_11target_archE906ELNS1_3gpuE6ELNS1_3repE0EEENS1_30default_config_static_selectorELNS0_4arch9wavefront6targetE0EEEvS12_.numbered_sgpr, 0
	.set _ZN7rocprim17ROCPRIM_400000_NS6detail17trampoline_kernelINS0_13select_configILj256ELj13ELNS0_17block_load_methodE3ELS4_3ELS4_3ELNS0_20block_scan_algorithmE0ELj4294967295EEENS1_25partition_config_selectorILNS1_17partition_subalgoE4EjNS0_10empty_typeEbEEZZNS1_14partition_implILS8_4ELb0ES6_15HIP_vector_typeIjLj2EENS0_17counting_iteratorIjlEEPS9_SG_NS0_5tupleIJPjSI_NS0_16reverse_iteratorISI_EEEEENSH_IJSG_SG_SG_EEES9_SI_JZNS1_25segmented_radix_sort_implINS0_14default_configELb0EPKbPbPKlPlN2at6native12_GLOBAL__N_18offset_tEEE10hipError_tPvRmT1_PNSt15iterator_traitsIS12_E10value_typeET2_T3_PNS13_IS18_E10value_typeET4_jRbjT5_S1E_jjP12ihipStream_tbEUljE_ZNSN_ISO_Lb0ESQ_SR_ST_SU_SY_EESZ_S10_S11_S12_S16_S17_S18_S1B_S1C_jS1D_jS1E_S1E_jjS1G_bEUljE0_EEESZ_S10_S11_S18_S1C_S1E_T6_T7_T9_mT8_S1G_bDpT10_ENKUlT_T0_E_clISt17integral_constantIbLb1EES1U_EEDaS1P_S1Q_EUlS1P_E_NS1_11comp_targetILNS1_3genE2ELNS1_11target_archE906ELNS1_3gpuE6ELNS1_3repE0EEENS1_30default_config_static_selectorELNS0_4arch9wavefront6targetE0EEEvS12_.num_named_barrier, 0
	.set _ZN7rocprim17ROCPRIM_400000_NS6detail17trampoline_kernelINS0_13select_configILj256ELj13ELNS0_17block_load_methodE3ELS4_3ELS4_3ELNS0_20block_scan_algorithmE0ELj4294967295EEENS1_25partition_config_selectorILNS1_17partition_subalgoE4EjNS0_10empty_typeEbEEZZNS1_14partition_implILS8_4ELb0ES6_15HIP_vector_typeIjLj2EENS0_17counting_iteratorIjlEEPS9_SG_NS0_5tupleIJPjSI_NS0_16reverse_iteratorISI_EEEEENSH_IJSG_SG_SG_EEES9_SI_JZNS1_25segmented_radix_sort_implINS0_14default_configELb0EPKbPbPKlPlN2at6native12_GLOBAL__N_18offset_tEEE10hipError_tPvRmT1_PNSt15iterator_traitsIS12_E10value_typeET2_T3_PNS13_IS18_E10value_typeET4_jRbjT5_S1E_jjP12ihipStream_tbEUljE_ZNSN_ISO_Lb0ESQ_SR_ST_SU_SY_EESZ_S10_S11_S12_S16_S17_S18_S1B_S1C_jS1D_jS1E_S1E_jjS1G_bEUljE0_EEESZ_S10_S11_S18_S1C_S1E_T6_T7_T9_mT8_S1G_bDpT10_ENKUlT_T0_E_clISt17integral_constantIbLb1EES1U_EEDaS1P_S1Q_EUlS1P_E_NS1_11comp_targetILNS1_3genE2ELNS1_11target_archE906ELNS1_3gpuE6ELNS1_3repE0EEENS1_30default_config_static_selectorELNS0_4arch9wavefront6targetE0EEEvS12_.private_seg_size, 0
	.set _ZN7rocprim17ROCPRIM_400000_NS6detail17trampoline_kernelINS0_13select_configILj256ELj13ELNS0_17block_load_methodE3ELS4_3ELS4_3ELNS0_20block_scan_algorithmE0ELj4294967295EEENS1_25partition_config_selectorILNS1_17partition_subalgoE4EjNS0_10empty_typeEbEEZZNS1_14partition_implILS8_4ELb0ES6_15HIP_vector_typeIjLj2EENS0_17counting_iteratorIjlEEPS9_SG_NS0_5tupleIJPjSI_NS0_16reverse_iteratorISI_EEEEENSH_IJSG_SG_SG_EEES9_SI_JZNS1_25segmented_radix_sort_implINS0_14default_configELb0EPKbPbPKlPlN2at6native12_GLOBAL__N_18offset_tEEE10hipError_tPvRmT1_PNSt15iterator_traitsIS12_E10value_typeET2_T3_PNS13_IS18_E10value_typeET4_jRbjT5_S1E_jjP12ihipStream_tbEUljE_ZNSN_ISO_Lb0ESQ_SR_ST_SU_SY_EESZ_S10_S11_S12_S16_S17_S18_S1B_S1C_jS1D_jS1E_S1E_jjS1G_bEUljE0_EEESZ_S10_S11_S18_S1C_S1E_T6_T7_T9_mT8_S1G_bDpT10_ENKUlT_T0_E_clISt17integral_constantIbLb1EES1U_EEDaS1P_S1Q_EUlS1P_E_NS1_11comp_targetILNS1_3genE2ELNS1_11target_archE906ELNS1_3gpuE6ELNS1_3repE0EEENS1_30default_config_static_selectorELNS0_4arch9wavefront6targetE0EEEvS12_.uses_vcc, 0
	.set _ZN7rocprim17ROCPRIM_400000_NS6detail17trampoline_kernelINS0_13select_configILj256ELj13ELNS0_17block_load_methodE3ELS4_3ELS4_3ELNS0_20block_scan_algorithmE0ELj4294967295EEENS1_25partition_config_selectorILNS1_17partition_subalgoE4EjNS0_10empty_typeEbEEZZNS1_14partition_implILS8_4ELb0ES6_15HIP_vector_typeIjLj2EENS0_17counting_iteratorIjlEEPS9_SG_NS0_5tupleIJPjSI_NS0_16reverse_iteratorISI_EEEEENSH_IJSG_SG_SG_EEES9_SI_JZNS1_25segmented_radix_sort_implINS0_14default_configELb0EPKbPbPKlPlN2at6native12_GLOBAL__N_18offset_tEEE10hipError_tPvRmT1_PNSt15iterator_traitsIS12_E10value_typeET2_T3_PNS13_IS18_E10value_typeET4_jRbjT5_S1E_jjP12ihipStream_tbEUljE_ZNSN_ISO_Lb0ESQ_SR_ST_SU_SY_EESZ_S10_S11_S12_S16_S17_S18_S1B_S1C_jS1D_jS1E_S1E_jjS1G_bEUljE0_EEESZ_S10_S11_S18_S1C_S1E_T6_T7_T9_mT8_S1G_bDpT10_ENKUlT_T0_E_clISt17integral_constantIbLb1EES1U_EEDaS1P_S1Q_EUlS1P_E_NS1_11comp_targetILNS1_3genE2ELNS1_11target_archE906ELNS1_3gpuE6ELNS1_3repE0EEENS1_30default_config_static_selectorELNS0_4arch9wavefront6targetE0EEEvS12_.uses_flat_scratch, 0
	.set _ZN7rocprim17ROCPRIM_400000_NS6detail17trampoline_kernelINS0_13select_configILj256ELj13ELNS0_17block_load_methodE3ELS4_3ELS4_3ELNS0_20block_scan_algorithmE0ELj4294967295EEENS1_25partition_config_selectorILNS1_17partition_subalgoE4EjNS0_10empty_typeEbEEZZNS1_14partition_implILS8_4ELb0ES6_15HIP_vector_typeIjLj2EENS0_17counting_iteratorIjlEEPS9_SG_NS0_5tupleIJPjSI_NS0_16reverse_iteratorISI_EEEEENSH_IJSG_SG_SG_EEES9_SI_JZNS1_25segmented_radix_sort_implINS0_14default_configELb0EPKbPbPKlPlN2at6native12_GLOBAL__N_18offset_tEEE10hipError_tPvRmT1_PNSt15iterator_traitsIS12_E10value_typeET2_T3_PNS13_IS18_E10value_typeET4_jRbjT5_S1E_jjP12ihipStream_tbEUljE_ZNSN_ISO_Lb0ESQ_SR_ST_SU_SY_EESZ_S10_S11_S12_S16_S17_S18_S1B_S1C_jS1D_jS1E_S1E_jjS1G_bEUljE0_EEESZ_S10_S11_S18_S1C_S1E_T6_T7_T9_mT8_S1G_bDpT10_ENKUlT_T0_E_clISt17integral_constantIbLb1EES1U_EEDaS1P_S1Q_EUlS1P_E_NS1_11comp_targetILNS1_3genE2ELNS1_11target_archE906ELNS1_3gpuE6ELNS1_3repE0EEENS1_30default_config_static_selectorELNS0_4arch9wavefront6targetE0EEEvS12_.has_dyn_sized_stack, 0
	.set _ZN7rocprim17ROCPRIM_400000_NS6detail17trampoline_kernelINS0_13select_configILj256ELj13ELNS0_17block_load_methodE3ELS4_3ELS4_3ELNS0_20block_scan_algorithmE0ELj4294967295EEENS1_25partition_config_selectorILNS1_17partition_subalgoE4EjNS0_10empty_typeEbEEZZNS1_14partition_implILS8_4ELb0ES6_15HIP_vector_typeIjLj2EENS0_17counting_iteratorIjlEEPS9_SG_NS0_5tupleIJPjSI_NS0_16reverse_iteratorISI_EEEEENSH_IJSG_SG_SG_EEES9_SI_JZNS1_25segmented_radix_sort_implINS0_14default_configELb0EPKbPbPKlPlN2at6native12_GLOBAL__N_18offset_tEEE10hipError_tPvRmT1_PNSt15iterator_traitsIS12_E10value_typeET2_T3_PNS13_IS18_E10value_typeET4_jRbjT5_S1E_jjP12ihipStream_tbEUljE_ZNSN_ISO_Lb0ESQ_SR_ST_SU_SY_EESZ_S10_S11_S12_S16_S17_S18_S1B_S1C_jS1D_jS1E_S1E_jjS1G_bEUljE0_EEESZ_S10_S11_S18_S1C_S1E_T6_T7_T9_mT8_S1G_bDpT10_ENKUlT_T0_E_clISt17integral_constantIbLb1EES1U_EEDaS1P_S1Q_EUlS1P_E_NS1_11comp_targetILNS1_3genE2ELNS1_11target_archE906ELNS1_3gpuE6ELNS1_3repE0EEENS1_30default_config_static_selectorELNS0_4arch9wavefront6targetE0EEEvS12_.has_recursion, 0
	.set _ZN7rocprim17ROCPRIM_400000_NS6detail17trampoline_kernelINS0_13select_configILj256ELj13ELNS0_17block_load_methodE3ELS4_3ELS4_3ELNS0_20block_scan_algorithmE0ELj4294967295EEENS1_25partition_config_selectorILNS1_17partition_subalgoE4EjNS0_10empty_typeEbEEZZNS1_14partition_implILS8_4ELb0ES6_15HIP_vector_typeIjLj2EENS0_17counting_iteratorIjlEEPS9_SG_NS0_5tupleIJPjSI_NS0_16reverse_iteratorISI_EEEEENSH_IJSG_SG_SG_EEES9_SI_JZNS1_25segmented_radix_sort_implINS0_14default_configELb0EPKbPbPKlPlN2at6native12_GLOBAL__N_18offset_tEEE10hipError_tPvRmT1_PNSt15iterator_traitsIS12_E10value_typeET2_T3_PNS13_IS18_E10value_typeET4_jRbjT5_S1E_jjP12ihipStream_tbEUljE_ZNSN_ISO_Lb0ESQ_SR_ST_SU_SY_EESZ_S10_S11_S12_S16_S17_S18_S1B_S1C_jS1D_jS1E_S1E_jjS1G_bEUljE0_EEESZ_S10_S11_S18_S1C_S1E_T6_T7_T9_mT8_S1G_bDpT10_ENKUlT_T0_E_clISt17integral_constantIbLb1EES1U_EEDaS1P_S1Q_EUlS1P_E_NS1_11comp_targetILNS1_3genE2ELNS1_11target_archE906ELNS1_3gpuE6ELNS1_3repE0EEENS1_30default_config_static_selectorELNS0_4arch9wavefront6targetE0EEEvS12_.has_indirect_call, 0
	.section	.AMDGPU.csdata,"",@progbits
; Kernel info:
; codeLenInByte = 0
; TotalNumSgprs: 0
; NumVgprs: 0
; ScratchSize: 0
; MemoryBound: 0
; FloatMode: 240
; IeeeMode: 1
; LDSByteSize: 0 bytes/workgroup (compile time only)
; SGPRBlocks: 0
; VGPRBlocks: 0
; NumSGPRsForWavesPerEU: 1
; NumVGPRsForWavesPerEU: 1
; NamedBarCnt: 0
; Occupancy: 16
; WaveLimiterHint : 0
; COMPUTE_PGM_RSRC2:SCRATCH_EN: 0
; COMPUTE_PGM_RSRC2:USER_SGPR: 2
; COMPUTE_PGM_RSRC2:TRAP_HANDLER: 0
; COMPUTE_PGM_RSRC2:TGID_X_EN: 1
; COMPUTE_PGM_RSRC2:TGID_Y_EN: 0
; COMPUTE_PGM_RSRC2:TGID_Z_EN: 0
; COMPUTE_PGM_RSRC2:TIDIG_COMP_CNT: 0
	.section	.text._ZN7rocprim17ROCPRIM_400000_NS6detail17trampoline_kernelINS0_13select_configILj256ELj13ELNS0_17block_load_methodE3ELS4_3ELS4_3ELNS0_20block_scan_algorithmE0ELj4294967295EEENS1_25partition_config_selectorILNS1_17partition_subalgoE4EjNS0_10empty_typeEbEEZZNS1_14partition_implILS8_4ELb0ES6_15HIP_vector_typeIjLj2EENS0_17counting_iteratorIjlEEPS9_SG_NS0_5tupleIJPjSI_NS0_16reverse_iteratorISI_EEEEENSH_IJSG_SG_SG_EEES9_SI_JZNS1_25segmented_radix_sort_implINS0_14default_configELb0EPKbPbPKlPlN2at6native12_GLOBAL__N_18offset_tEEE10hipError_tPvRmT1_PNSt15iterator_traitsIS12_E10value_typeET2_T3_PNS13_IS18_E10value_typeET4_jRbjT5_S1E_jjP12ihipStream_tbEUljE_ZNSN_ISO_Lb0ESQ_SR_ST_SU_SY_EESZ_S10_S11_S12_S16_S17_S18_S1B_S1C_jS1D_jS1E_S1E_jjS1G_bEUljE0_EEESZ_S10_S11_S18_S1C_S1E_T6_T7_T9_mT8_S1G_bDpT10_ENKUlT_T0_E_clISt17integral_constantIbLb1EES1U_EEDaS1P_S1Q_EUlS1P_E_NS1_11comp_targetILNS1_3genE10ELNS1_11target_archE1200ELNS1_3gpuE4ELNS1_3repE0EEENS1_30default_config_static_selectorELNS0_4arch9wavefront6targetE0EEEvS12_,"axG",@progbits,_ZN7rocprim17ROCPRIM_400000_NS6detail17trampoline_kernelINS0_13select_configILj256ELj13ELNS0_17block_load_methodE3ELS4_3ELS4_3ELNS0_20block_scan_algorithmE0ELj4294967295EEENS1_25partition_config_selectorILNS1_17partition_subalgoE4EjNS0_10empty_typeEbEEZZNS1_14partition_implILS8_4ELb0ES6_15HIP_vector_typeIjLj2EENS0_17counting_iteratorIjlEEPS9_SG_NS0_5tupleIJPjSI_NS0_16reverse_iteratorISI_EEEEENSH_IJSG_SG_SG_EEES9_SI_JZNS1_25segmented_radix_sort_implINS0_14default_configELb0EPKbPbPKlPlN2at6native12_GLOBAL__N_18offset_tEEE10hipError_tPvRmT1_PNSt15iterator_traitsIS12_E10value_typeET2_T3_PNS13_IS18_E10value_typeET4_jRbjT5_S1E_jjP12ihipStream_tbEUljE_ZNSN_ISO_Lb0ESQ_SR_ST_SU_SY_EESZ_S10_S11_S12_S16_S17_S18_S1B_S1C_jS1D_jS1E_S1E_jjS1G_bEUljE0_EEESZ_S10_S11_S18_S1C_S1E_T6_T7_T9_mT8_S1G_bDpT10_ENKUlT_T0_E_clISt17integral_constantIbLb1EES1U_EEDaS1P_S1Q_EUlS1P_E_NS1_11comp_targetILNS1_3genE10ELNS1_11target_archE1200ELNS1_3gpuE4ELNS1_3repE0EEENS1_30default_config_static_selectorELNS0_4arch9wavefront6targetE0EEEvS12_,comdat
	.globl	_ZN7rocprim17ROCPRIM_400000_NS6detail17trampoline_kernelINS0_13select_configILj256ELj13ELNS0_17block_load_methodE3ELS4_3ELS4_3ELNS0_20block_scan_algorithmE0ELj4294967295EEENS1_25partition_config_selectorILNS1_17partition_subalgoE4EjNS0_10empty_typeEbEEZZNS1_14partition_implILS8_4ELb0ES6_15HIP_vector_typeIjLj2EENS0_17counting_iteratorIjlEEPS9_SG_NS0_5tupleIJPjSI_NS0_16reverse_iteratorISI_EEEEENSH_IJSG_SG_SG_EEES9_SI_JZNS1_25segmented_radix_sort_implINS0_14default_configELb0EPKbPbPKlPlN2at6native12_GLOBAL__N_18offset_tEEE10hipError_tPvRmT1_PNSt15iterator_traitsIS12_E10value_typeET2_T3_PNS13_IS18_E10value_typeET4_jRbjT5_S1E_jjP12ihipStream_tbEUljE_ZNSN_ISO_Lb0ESQ_SR_ST_SU_SY_EESZ_S10_S11_S12_S16_S17_S18_S1B_S1C_jS1D_jS1E_S1E_jjS1G_bEUljE0_EEESZ_S10_S11_S18_S1C_S1E_T6_T7_T9_mT8_S1G_bDpT10_ENKUlT_T0_E_clISt17integral_constantIbLb1EES1U_EEDaS1P_S1Q_EUlS1P_E_NS1_11comp_targetILNS1_3genE10ELNS1_11target_archE1200ELNS1_3gpuE4ELNS1_3repE0EEENS1_30default_config_static_selectorELNS0_4arch9wavefront6targetE0EEEvS12_ ; -- Begin function _ZN7rocprim17ROCPRIM_400000_NS6detail17trampoline_kernelINS0_13select_configILj256ELj13ELNS0_17block_load_methodE3ELS4_3ELS4_3ELNS0_20block_scan_algorithmE0ELj4294967295EEENS1_25partition_config_selectorILNS1_17partition_subalgoE4EjNS0_10empty_typeEbEEZZNS1_14partition_implILS8_4ELb0ES6_15HIP_vector_typeIjLj2EENS0_17counting_iteratorIjlEEPS9_SG_NS0_5tupleIJPjSI_NS0_16reverse_iteratorISI_EEEEENSH_IJSG_SG_SG_EEES9_SI_JZNS1_25segmented_radix_sort_implINS0_14default_configELb0EPKbPbPKlPlN2at6native12_GLOBAL__N_18offset_tEEE10hipError_tPvRmT1_PNSt15iterator_traitsIS12_E10value_typeET2_T3_PNS13_IS18_E10value_typeET4_jRbjT5_S1E_jjP12ihipStream_tbEUljE_ZNSN_ISO_Lb0ESQ_SR_ST_SU_SY_EESZ_S10_S11_S12_S16_S17_S18_S1B_S1C_jS1D_jS1E_S1E_jjS1G_bEUljE0_EEESZ_S10_S11_S18_S1C_S1E_T6_T7_T9_mT8_S1G_bDpT10_ENKUlT_T0_E_clISt17integral_constantIbLb1EES1U_EEDaS1P_S1Q_EUlS1P_E_NS1_11comp_targetILNS1_3genE10ELNS1_11target_archE1200ELNS1_3gpuE4ELNS1_3repE0EEENS1_30default_config_static_selectorELNS0_4arch9wavefront6targetE0EEEvS12_
	.p2align	8
	.type	_ZN7rocprim17ROCPRIM_400000_NS6detail17trampoline_kernelINS0_13select_configILj256ELj13ELNS0_17block_load_methodE3ELS4_3ELS4_3ELNS0_20block_scan_algorithmE0ELj4294967295EEENS1_25partition_config_selectorILNS1_17partition_subalgoE4EjNS0_10empty_typeEbEEZZNS1_14partition_implILS8_4ELb0ES6_15HIP_vector_typeIjLj2EENS0_17counting_iteratorIjlEEPS9_SG_NS0_5tupleIJPjSI_NS0_16reverse_iteratorISI_EEEEENSH_IJSG_SG_SG_EEES9_SI_JZNS1_25segmented_radix_sort_implINS0_14default_configELb0EPKbPbPKlPlN2at6native12_GLOBAL__N_18offset_tEEE10hipError_tPvRmT1_PNSt15iterator_traitsIS12_E10value_typeET2_T3_PNS13_IS18_E10value_typeET4_jRbjT5_S1E_jjP12ihipStream_tbEUljE_ZNSN_ISO_Lb0ESQ_SR_ST_SU_SY_EESZ_S10_S11_S12_S16_S17_S18_S1B_S1C_jS1D_jS1E_S1E_jjS1G_bEUljE0_EEESZ_S10_S11_S18_S1C_S1E_T6_T7_T9_mT8_S1G_bDpT10_ENKUlT_T0_E_clISt17integral_constantIbLb1EES1U_EEDaS1P_S1Q_EUlS1P_E_NS1_11comp_targetILNS1_3genE10ELNS1_11target_archE1200ELNS1_3gpuE4ELNS1_3repE0EEENS1_30default_config_static_selectorELNS0_4arch9wavefront6targetE0EEEvS12_,@function
_ZN7rocprim17ROCPRIM_400000_NS6detail17trampoline_kernelINS0_13select_configILj256ELj13ELNS0_17block_load_methodE3ELS4_3ELS4_3ELNS0_20block_scan_algorithmE0ELj4294967295EEENS1_25partition_config_selectorILNS1_17partition_subalgoE4EjNS0_10empty_typeEbEEZZNS1_14partition_implILS8_4ELb0ES6_15HIP_vector_typeIjLj2EENS0_17counting_iteratorIjlEEPS9_SG_NS0_5tupleIJPjSI_NS0_16reverse_iteratorISI_EEEEENSH_IJSG_SG_SG_EEES9_SI_JZNS1_25segmented_radix_sort_implINS0_14default_configELb0EPKbPbPKlPlN2at6native12_GLOBAL__N_18offset_tEEE10hipError_tPvRmT1_PNSt15iterator_traitsIS12_E10value_typeET2_T3_PNS13_IS18_E10value_typeET4_jRbjT5_S1E_jjP12ihipStream_tbEUljE_ZNSN_ISO_Lb0ESQ_SR_ST_SU_SY_EESZ_S10_S11_S12_S16_S17_S18_S1B_S1C_jS1D_jS1E_S1E_jjS1G_bEUljE0_EEESZ_S10_S11_S18_S1C_S1E_T6_T7_T9_mT8_S1G_bDpT10_ENKUlT_T0_E_clISt17integral_constantIbLb1EES1U_EEDaS1P_S1Q_EUlS1P_E_NS1_11comp_targetILNS1_3genE10ELNS1_11target_archE1200ELNS1_3gpuE4ELNS1_3repE0EEENS1_30default_config_static_selectorELNS0_4arch9wavefront6targetE0EEEvS12_: ; @_ZN7rocprim17ROCPRIM_400000_NS6detail17trampoline_kernelINS0_13select_configILj256ELj13ELNS0_17block_load_methodE3ELS4_3ELS4_3ELNS0_20block_scan_algorithmE0ELj4294967295EEENS1_25partition_config_selectorILNS1_17partition_subalgoE4EjNS0_10empty_typeEbEEZZNS1_14partition_implILS8_4ELb0ES6_15HIP_vector_typeIjLj2EENS0_17counting_iteratorIjlEEPS9_SG_NS0_5tupleIJPjSI_NS0_16reverse_iteratorISI_EEEEENSH_IJSG_SG_SG_EEES9_SI_JZNS1_25segmented_radix_sort_implINS0_14default_configELb0EPKbPbPKlPlN2at6native12_GLOBAL__N_18offset_tEEE10hipError_tPvRmT1_PNSt15iterator_traitsIS12_E10value_typeET2_T3_PNS13_IS18_E10value_typeET4_jRbjT5_S1E_jjP12ihipStream_tbEUljE_ZNSN_ISO_Lb0ESQ_SR_ST_SU_SY_EESZ_S10_S11_S12_S16_S17_S18_S1B_S1C_jS1D_jS1E_S1E_jjS1G_bEUljE0_EEESZ_S10_S11_S18_S1C_S1E_T6_T7_T9_mT8_S1G_bDpT10_ENKUlT_T0_E_clISt17integral_constantIbLb1EES1U_EEDaS1P_S1Q_EUlS1P_E_NS1_11comp_targetILNS1_3genE10ELNS1_11target_archE1200ELNS1_3gpuE4ELNS1_3repE0EEENS1_30default_config_static_selectorELNS0_4arch9wavefront6targetE0EEEvS12_
; %bb.0:
	.section	.rodata,"a",@progbits
	.p2align	6, 0x0
	.amdhsa_kernel _ZN7rocprim17ROCPRIM_400000_NS6detail17trampoline_kernelINS0_13select_configILj256ELj13ELNS0_17block_load_methodE3ELS4_3ELS4_3ELNS0_20block_scan_algorithmE0ELj4294967295EEENS1_25partition_config_selectorILNS1_17partition_subalgoE4EjNS0_10empty_typeEbEEZZNS1_14partition_implILS8_4ELb0ES6_15HIP_vector_typeIjLj2EENS0_17counting_iteratorIjlEEPS9_SG_NS0_5tupleIJPjSI_NS0_16reverse_iteratorISI_EEEEENSH_IJSG_SG_SG_EEES9_SI_JZNS1_25segmented_radix_sort_implINS0_14default_configELb0EPKbPbPKlPlN2at6native12_GLOBAL__N_18offset_tEEE10hipError_tPvRmT1_PNSt15iterator_traitsIS12_E10value_typeET2_T3_PNS13_IS18_E10value_typeET4_jRbjT5_S1E_jjP12ihipStream_tbEUljE_ZNSN_ISO_Lb0ESQ_SR_ST_SU_SY_EESZ_S10_S11_S12_S16_S17_S18_S1B_S1C_jS1D_jS1E_S1E_jjS1G_bEUljE0_EEESZ_S10_S11_S18_S1C_S1E_T6_T7_T9_mT8_S1G_bDpT10_ENKUlT_T0_E_clISt17integral_constantIbLb1EES1U_EEDaS1P_S1Q_EUlS1P_E_NS1_11comp_targetILNS1_3genE10ELNS1_11target_archE1200ELNS1_3gpuE4ELNS1_3repE0EEENS1_30default_config_static_selectorELNS0_4arch9wavefront6targetE0EEEvS12_
		.amdhsa_group_segment_fixed_size 0
		.amdhsa_private_segment_fixed_size 0
		.amdhsa_kernarg_size 184
		.amdhsa_user_sgpr_count 2
		.amdhsa_user_sgpr_dispatch_ptr 0
		.amdhsa_user_sgpr_queue_ptr 0
		.amdhsa_user_sgpr_kernarg_segment_ptr 1
		.amdhsa_user_sgpr_dispatch_id 0
		.amdhsa_user_sgpr_kernarg_preload_length 0
		.amdhsa_user_sgpr_kernarg_preload_offset 0
		.amdhsa_user_sgpr_private_segment_size 0
		.amdhsa_wavefront_size32 1
		.amdhsa_uses_dynamic_stack 0
		.amdhsa_enable_private_segment 0
		.amdhsa_system_sgpr_workgroup_id_x 1
		.amdhsa_system_sgpr_workgroup_id_y 0
		.amdhsa_system_sgpr_workgroup_id_z 0
		.amdhsa_system_sgpr_workgroup_info 0
		.amdhsa_system_vgpr_workitem_id 0
		.amdhsa_next_free_vgpr 1
		.amdhsa_next_free_sgpr 1
		.amdhsa_named_barrier_count 0
		.amdhsa_reserve_vcc 0
		.amdhsa_float_round_mode_32 0
		.amdhsa_float_round_mode_16_64 0
		.amdhsa_float_denorm_mode_32 3
		.amdhsa_float_denorm_mode_16_64 3
		.amdhsa_fp16_overflow 0
		.amdhsa_memory_ordered 1
		.amdhsa_forward_progress 1
		.amdhsa_inst_pref_size 0
		.amdhsa_round_robin_scheduling 0
		.amdhsa_exception_fp_ieee_invalid_op 0
		.amdhsa_exception_fp_denorm_src 0
		.amdhsa_exception_fp_ieee_div_zero 0
		.amdhsa_exception_fp_ieee_overflow 0
		.amdhsa_exception_fp_ieee_underflow 0
		.amdhsa_exception_fp_ieee_inexact 0
		.amdhsa_exception_int_div_zero 0
	.end_amdhsa_kernel
	.section	.text._ZN7rocprim17ROCPRIM_400000_NS6detail17trampoline_kernelINS0_13select_configILj256ELj13ELNS0_17block_load_methodE3ELS4_3ELS4_3ELNS0_20block_scan_algorithmE0ELj4294967295EEENS1_25partition_config_selectorILNS1_17partition_subalgoE4EjNS0_10empty_typeEbEEZZNS1_14partition_implILS8_4ELb0ES6_15HIP_vector_typeIjLj2EENS0_17counting_iteratorIjlEEPS9_SG_NS0_5tupleIJPjSI_NS0_16reverse_iteratorISI_EEEEENSH_IJSG_SG_SG_EEES9_SI_JZNS1_25segmented_radix_sort_implINS0_14default_configELb0EPKbPbPKlPlN2at6native12_GLOBAL__N_18offset_tEEE10hipError_tPvRmT1_PNSt15iterator_traitsIS12_E10value_typeET2_T3_PNS13_IS18_E10value_typeET4_jRbjT5_S1E_jjP12ihipStream_tbEUljE_ZNSN_ISO_Lb0ESQ_SR_ST_SU_SY_EESZ_S10_S11_S12_S16_S17_S18_S1B_S1C_jS1D_jS1E_S1E_jjS1G_bEUljE0_EEESZ_S10_S11_S18_S1C_S1E_T6_T7_T9_mT8_S1G_bDpT10_ENKUlT_T0_E_clISt17integral_constantIbLb1EES1U_EEDaS1P_S1Q_EUlS1P_E_NS1_11comp_targetILNS1_3genE10ELNS1_11target_archE1200ELNS1_3gpuE4ELNS1_3repE0EEENS1_30default_config_static_selectorELNS0_4arch9wavefront6targetE0EEEvS12_,"axG",@progbits,_ZN7rocprim17ROCPRIM_400000_NS6detail17trampoline_kernelINS0_13select_configILj256ELj13ELNS0_17block_load_methodE3ELS4_3ELS4_3ELNS0_20block_scan_algorithmE0ELj4294967295EEENS1_25partition_config_selectorILNS1_17partition_subalgoE4EjNS0_10empty_typeEbEEZZNS1_14partition_implILS8_4ELb0ES6_15HIP_vector_typeIjLj2EENS0_17counting_iteratorIjlEEPS9_SG_NS0_5tupleIJPjSI_NS0_16reverse_iteratorISI_EEEEENSH_IJSG_SG_SG_EEES9_SI_JZNS1_25segmented_radix_sort_implINS0_14default_configELb0EPKbPbPKlPlN2at6native12_GLOBAL__N_18offset_tEEE10hipError_tPvRmT1_PNSt15iterator_traitsIS12_E10value_typeET2_T3_PNS13_IS18_E10value_typeET4_jRbjT5_S1E_jjP12ihipStream_tbEUljE_ZNSN_ISO_Lb0ESQ_SR_ST_SU_SY_EESZ_S10_S11_S12_S16_S17_S18_S1B_S1C_jS1D_jS1E_S1E_jjS1G_bEUljE0_EEESZ_S10_S11_S18_S1C_S1E_T6_T7_T9_mT8_S1G_bDpT10_ENKUlT_T0_E_clISt17integral_constantIbLb1EES1U_EEDaS1P_S1Q_EUlS1P_E_NS1_11comp_targetILNS1_3genE10ELNS1_11target_archE1200ELNS1_3gpuE4ELNS1_3repE0EEENS1_30default_config_static_selectorELNS0_4arch9wavefront6targetE0EEEvS12_,comdat
.Lfunc_end1575:
	.size	_ZN7rocprim17ROCPRIM_400000_NS6detail17trampoline_kernelINS0_13select_configILj256ELj13ELNS0_17block_load_methodE3ELS4_3ELS4_3ELNS0_20block_scan_algorithmE0ELj4294967295EEENS1_25partition_config_selectorILNS1_17partition_subalgoE4EjNS0_10empty_typeEbEEZZNS1_14partition_implILS8_4ELb0ES6_15HIP_vector_typeIjLj2EENS0_17counting_iteratorIjlEEPS9_SG_NS0_5tupleIJPjSI_NS0_16reverse_iteratorISI_EEEEENSH_IJSG_SG_SG_EEES9_SI_JZNS1_25segmented_radix_sort_implINS0_14default_configELb0EPKbPbPKlPlN2at6native12_GLOBAL__N_18offset_tEEE10hipError_tPvRmT1_PNSt15iterator_traitsIS12_E10value_typeET2_T3_PNS13_IS18_E10value_typeET4_jRbjT5_S1E_jjP12ihipStream_tbEUljE_ZNSN_ISO_Lb0ESQ_SR_ST_SU_SY_EESZ_S10_S11_S12_S16_S17_S18_S1B_S1C_jS1D_jS1E_S1E_jjS1G_bEUljE0_EEESZ_S10_S11_S18_S1C_S1E_T6_T7_T9_mT8_S1G_bDpT10_ENKUlT_T0_E_clISt17integral_constantIbLb1EES1U_EEDaS1P_S1Q_EUlS1P_E_NS1_11comp_targetILNS1_3genE10ELNS1_11target_archE1200ELNS1_3gpuE4ELNS1_3repE0EEENS1_30default_config_static_selectorELNS0_4arch9wavefront6targetE0EEEvS12_, .Lfunc_end1575-_ZN7rocprim17ROCPRIM_400000_NS6detail17trampoline_kernelINS0_13select_configILj256ELj13ELNS0_17block_load_methodE3ELS4_3ELS4_3ELNS0_20block_scan_algorithmE0ELj4294967295EEENS1_25partition_config_selectorILNS1_17partition_subalgoE4EjNS0_10empty_typeEbEEZZNS1_14partition_implILS8_4ELb0ES6_15HIP_vector_typeIjLj2EENS0_17counting_iteratorIjlEEPS9_SG_NS0_5tupleIJPjSI_NS0_16reverse_iteratorISI_EEEEENSH_IJSG_SG_SG_EEES9_SI_JZNS1_25segmented_radix_sort_implINS0_14default_configELb0EPKbPbPKlPlN2at6native12_GLOBAL__N_18offset_tEEE10hipError_tPvRmT1_PNSt15iterator_traitsIS12_E10value_typeET2_T3_PNS13_IS18_E10value_typeET4_jRbjT5_S1E_jjP12ihipStream_tbEUljE_ZNSN_ISO_Lb0ESQ_SR_ST_SU_SY_EESZ_S10_S11_S12_S16_S17_S18_S1B_S1C_jS1D_jS1E_S1E_jjS1G_bEUljE0_EEESZ_S10_S11_S18_S1C_S1E_T6_T7_T9_mT8_S1G_bDpT10_ENKUlT_T0_E_clISt17integral_constantIbLb1EES1U_EEDaS1P_S1Q_EUlS1P_E_NS1_11comp_targetILNS1_3genE10ELNS1_11target_archE1200ELNS1_3gpuE4ELNS1_3repE0EEENS1_30default_config_static_selectorELNS0_4arch9wavefront6targetE0EEEvS12_
                                        ; -- End function
	.set _ZN7rocprim17ROCPRIM_400000_NS6detail17trampoline_kernelINS0_13select_configILj256ELj13ELNS0_17block_load_methodE3ELS4_3ELS4_3ELNS0_20block_scan_algorithmE0ELj4294967295EEENS1_25partition_config_selectorILNS1_17partition_subalgoE4EjNS0_10empty_typeEbEEZZNS1_14partition_implILS8_4ELb0ES6_15HIP_vector_typeIjLj2EENS0_17counting_iteratorIjlEEPS9_SG_NS0_5tupleIJPjSI_NS0_16reverse_iteratorISI_EEEEENSH_IJSG_SG_SG_EEES9_SI_JZNS1_25segmented_radix_sort_implINS0_14default_configELb0EPKbPbPKlPlN2at6native12_GLOBAL__N_18offset_tEEE10hipError_tPvRmT1_PNSt15iterator_traitsIS12_E10value_typeET2_T3_PNS13_IS18_E10value_typeET4_jRbjT5_S1E_jjP12ihipStream_tbEUljE_ZNSN_ISO_Lb0ESQ_SR_ST_SU_SY_EESZ_S10_S11_S12_S16_S17_S18_S1B_S1C_jS1D_jS1E_S1E_jjS1G_bEUljE0_EEESZ_S10_S11_S18_S1C_S1E_T6_T7_T9_mT8_S1G_bDpT10_ENKUlT_T0_E_clISt17integral_constantIbLb1EES1U_EEDaS1P_S1Q_EUlS1P_E_NS1_11comp_targetILNS1_3genE10ELNS1_11target_archE1200ELNS1_3gpuE4ELNS1_3repE0EEENS1_30default_config_static_selectorELNS0_4arch9wavefront6targetE0EEEvS12_.num_vgpr, 0
	.set _ZN7rocprim17ROCPRIM_400000_NS6detail17trampoline_kernelINS0_13select_configILj256ELj13ELNS0_17block_load_methodE3ELS4_3ELS4_3ELNS0_20block_scan_algorithmE0ELj4294967295EEENS1_25partition_config_selectorILNS1_17partition_subalgoE4EjNS0_10empty_typeEbEEZZNS1_14partition_implILS8_4ELb0ES6_15HIP_vector_typeIjLj2EENS0_17counting_iteratorIjlEEPS9_SG_NS0_5tupleIJPjSI_NS0_16reverse_iteratorISI_EEEEENSH_IJSG_SG_SG_EEES9_SI_JZNS1_25segmented_radix_sort_implINS0_14default_configELb0EPKbPbPKlPlN2at6native12_GLOBAL__N_18offset_tEEE10hipError_tPvRmT1_PNSt15iterator_traitsIS12_E10value_typeET2_T3_PNS13_IS18_E10value_typeET4_jRbjT5_S1E_jjP12ihipStream_tbEUljE_ZNSN_ISO_Lb0ESQ_SR_ST_SU_SY_EESZ_S10_S11_S12_S16_S17_S18_S1B_S1C_jS1D_jS1E_S1E_jjS1G_bEUljE0_EEESZ_S10_S11_S18_S1C_S1E_T6_T7_T9_mT8_S1G_bDpT10_ENKUlT_T0_E_clISt17integral_constantIbLb1EES1U_EEDaS1P_S1Q_EUlS1P_E_NS1_11comp_targetILNS1_3genE10ELNS1_11target_archE1200ELNS1_3gpuE4ELNS1_3repE0EEENS1_30default_config_static_selectorELNS0_4arch9wavefront6targetE0EEEvS12_.num_agpr, 0
	.set _ZN7rocprim17ROCPRIM_400000_NS6detail17trampoline_kernelINS0_13select_configILj256ELj13ELNS0_17block_load_methodE3ELS4_3ELS4_3ELNS0_20block_scan_algorithmE0ELj4294967295EEENS1_25partition_config_selectorILNS1_17partition_subalgoE4EjNS0_10empty_typeEbEEZZNS1_14partition_implILS8_4ELb0ES6_15HIP_vector_typeIjLj2EENS0_17counting_iteratorIjlEEPS9_SG_NS0_5tupleIJPjSI_NS0_16reverse_iteratorISI_EEEEENSH_IJSG_SG_SG_EEES9_SI_JZNS1_25segmented_radix_sort_implINS0_14default_configELb0EPKbPbPKlPlN2at6native12_GLOBAL__N_18offset_tEEE10hipError_tPvRmT1_PNSt15iterator_traitsIS12_E10value_typeET2_T3_PNS13_IS18_E10value_typeET4_jRbjT5_S1E_jjP12ihipStream_tbEUljE_ZNSN_ISO_Lb0ESQ_SR_ST_SU_SY_EESZ_S10_S11_S12_S16_S17_S18_S1B_S1C_jS1D_jS1E_S1E_jjS1G_bEUljE0_EEESZ_S10_S11_S18_S1C_S1E_T6_T7_T9_mT8_S1G_bDpT10_ENKUlT_T0_E_clISt17integral_constantIbLb1EES1U_EEDaS1P_S1Q_EUlS1P_E_NS1_11comp_targetILNS1_3genE10ELNS1_11target_archE1200ELNS1_3gpuE4ELNS1_3repE0EEENS1_30default_config_static_selectorELNS0_4arch9wavefront6targetE0EEEvS12_.numbered_sgpr, 0
	.set _ZN7rocprim17ROCPRIM_400000_NS6detail17trampoline_kernelINS0_13select_configILj256ELj13ELNS0_17block_load_methodE3ELS4_3ELS4_3ELNS0_20block_scan_algorithmE0ELj4294967295EEENS1_25partition_config_selectorILNS1_17partition_subalgoE4EjNS0_10empty_typeEbEEZZNS1_14partition_implILS8_4ELb0ES6_15HIP_vector_typeIjLj2EENS0_17counting_iteratorIjlEEPS9_SG_NS0_5tupleIJPjSI_NS0_16reverse_iteratorISI_EEEEENSH_IJSG_SG_SG_EEES9_SI_JZNS1_25segmented_radix_sort_implINS0_14default_configELb0EPKbPbPKlPlN2at6native12_GLOBAL__N_18offset_tEEE10hipError_tPvRmT1_PNSt15iterator_traitsIS12_E10value_typeET2_T3_PNS13_IS18_E10value_typeET4_jRbjT5_S1E_jjP12ihipStream_tbEUljE_ZNSN_ISO_Lb0ESQ_SR_ST_SU_SY_EESZ_S10_S11_S12_S16_S17_S18_S1B_S1C_jS1D_jS1E_S1E_jjS1G_bEUljE0_EEESZ_S10_S11_S18_S1C_S1E_T6_T7_T9_mT8_S1G_bDpT10_ENKUlT_T0_E_clISt17integral_constantIbLb1EES1U_EEDaS1P_S1Q_EUlS1P_E_NS1_11comp_targetILNS1_3genE10ELNS1_11target_archE1200ELNS1_3gpuE4ELNS1_3repE0EEENS1_30default_config_static_selectorELNS0_4arch9wavefront6targetE0EEEvS12_.num_named_barrier, 0
	.set _ZN7rocprim17ROCPRIM_400000_NS6detail17trampoline_kernelINS0_13select_configILj256ELj13ELNS0_17block_load_methodE3ELS4_3ELS4_3ELNS0_20block_scan_algorithmE0ELj4294967295EEENS1_25partition_config_selectorILNS1_17partition_subalgoE4EjNS0_10empty_typeEbEEZZNS1_14partition_implILS8_4ELb0ES6_15HIP_vector_typeIjLj2EENS0_17counting_iteratorIjlEEPS9_SG_NS0_5tupleIJPjSI_NS0_16reverse_iteratorISI_EEEEENSH_IJSG_SG_SG_EEES9_SI_JZNS1_25segmented_radix_sort_implINS0_14default_configELb0EPKbPbPKlPlN2at6native12_GLOBAL__N_18offset_tEEE10hipError_tPvRmT1_PNSt15iterator_traitsIS12_E10value_typeET2_T3_PNS13_IS18_E10value_typeET4_jRbjT5_S1E_jjP12ihipStream_tbEUljE_ZNSN_ISO_Lb0ESQ_SR_ST_SU_SY_EESZ_S10_S11_S12_S16_S17_S18_S1B_S1C_jS1D_jS1E_S1E_jjS1G_bEUljE0_EEESZ_S10_S11_S18_S1C_S1E_T6_T7_T9_mT8_S1G_bDpT10_ENKUlT_T0_E_clISt17integral_constantIbLb1EES1U_EEDaS1P_S1Q_EUlS1P_E_NS1_11comp_targetILNS1_3genE10ELNS1_11target_archE1200ELNS1_3gpuE4ELNS1_3repE0EEENS1_30default_config_static_selectorELNS0_4arch9wavefront6targetE0EEEvS12_.private_seg_size, 0
	.set _ZN7rocprim17ROCPRIM_400000_NS6detail17trampoline_kernelINS0_13select_configILj256ELj13ELNS0_17block_load_methodE3ELS4_3ELS4_3ELNS0_20block_scan_algorithmE0ELj4294967295EEENS1_25partition_config_selectorILNS1_17partition_subalgoE4EjNS0_10empty_typeEbEEZZNS1_14partition_implILS8_4ELb0ES6_15HIP_vector_typeIjLj2EENS0_17counting_iteratorIjlEEPS9_SG_NS0_5tupleIJPjSI_NS0_16reverse_iteratorISI_EEEEENSH_IJSG_SG_SG_EEES9_SI_JZNS1_25segmented_radix_sort_implINS0_14default_configELb0EPKbPbPKlPlN2at6native12_GLOBAL__N_18offset_tEEE10hipError_tPvRmT1_PNSt15iterator_traitsIS12_E10value_typeET2_T3_PNS13_IS18_E10value_typeET4_jRbjT5_S1E_jjP12ihipStream_tbEUljE_ZNSN_ISO_Lb0ESQ_SR_ST_SU_SY_EESZ_S10_S11_S12_S16_S17_S18_S1B_S1C_jS1D_jS1E_S1E_jjS1G_bEUljE0_EEESZ_S10_S11_S18_S1C_S1E_T6_T7_T9_mT8_S1G_bDpT10_ENKUlT_T0_E_clISt17integral_constantIbLb1EES1U_EEDaS1P_S1Q_EUlS1P_E_NS1_11comp_targetILNS1_3genE10ELNS1_11target_archE1200ELNS1_3gpuE4ELNS1_3repE0EEENS1_30default_config_static_selectorELNS0_4arch9wavefront6targetE0EEEvS12_.uses_vcc, 0
	.set _ZN7rocprim17ROCPRIM_400000_NS6detail17trampoline_kernelINS0_13select_configILj256ELj13ELNS0_17block_load_methodE3ELS4_3ELS4_3ELNS0_20block_scan_algorithmE0ELj4294967295EEENS1_25partition_config_selectorILNS1_17partition_subalgoE4EjNS0_10empty_typeEbEEZZNS1_14partition_implILS8_4ELb0ES6_15HIP_vector_typeIjLj2EENS0_17counting_iteratorIjlEEPS9_SG_NS0_5tupleIJPjSI_NS0_16reverse_iteratorISI_EEEEENSH_IJSG_SG_SG_EEES9_SI_JZNS1_25segmented_radix_sort_implINS0_14default_configELb0EPKbPbPKlPlN2at6native12_GLOBAL__N_18offset_tEEE10hipError_tPvRmT1_PNSt15iterator_traitsIS12_E10value_typeET2_T3_PNS13_IS18_E10value_typeET4_jRbjT5_S1E_jjP12ihipStream_tbEUljE_ZNSN_ISO_Lb0ESQ_SR_ST_SU_SY_EESZ_S10_S11_S12_S16_S17_S18_S1B_S1C_jS1D_jS1E_S1E_jjS1G_bEUljE0_EEESZ_S10_S11_S18_S1C_S1E_T6_T7_T9_mT8_S1G_bDpT10_ENKUlT_T0_E_clISt17integral_constantIbLb1EES1U_EEDaS1P_S1Q_EUlS1P_E_NS1_11comp_targetILNS1_3genE10ELNS1_11target_archE1200ELNS1_3gpuE4ELNS1_3repE0EEENS1_30default_config_static_selectorELNS0_4arch9wavefront6targetE0EEEvS12_.uses_flat_scratch, 0
	.set _ZN7rocprim17ROCPRIM_400000_NS6detail17trampoline_kernelINS0_13select_configILj256ELj13ELNS0_17block_load_methodE3ELS4_3ELS4_3ELNS0_20block_scan_algorithmE0ELj4294967295EEENS1_25partition_config_selectorILNS1_17partition_subalgoE4EjNS0_10empty_typeEbEEZZNS1_14partition_implILS8_4ELb0ES6_15HIP_vector_typeIjLj2EENS0_17counting_iteratorIjlEEPS9_SG_NS0_5tupleIJPjSI_NS0_16reverse_iteratorISI_EEEEENSH_IJSG_SG_SG_EEES9_SI_JZNS1_25segmented_radix_sort_implINS0_14default_configELb0EPKbPbPKlPlN2at6native12_GLOBAL__N_18offset_tEEE10hipError_tPvRmT1_PNSt15iterator_traitsIS12_E10value_typeET2_T3_PNS13_IS18_E10value_typeET4_jRbjT5_S1E_jjP12ihipStream_tbEUljE_ZNSN_ISO_Lb0ESQ_SR_ST_SU_SY_EESZ_S10_S11_S12_S16_S17_S18_S1B_S1C_jS1D_jS1E_S1E_jjS1G_bEUljE0_EEESZ_S10_S11_S18_S1C_S1E_T6_T7_T9_mT8_S1G_bDpT10_ENKUlT_T0_E_clISt17integral_constantIbLb1EES1U_EEDaS1P_S1Q_EUlS1P_E_NS1_11comp_targetILNS1_3genE10ELNS1_11target_archE1200ELNS1_3gpuE4ELNS1_3repE0EEENS1_30default_config_static_selectorELNS0_4arch9wavefront6targetE0EEEvS12_.has_dyn_sized_stack, 0
	.set _ZN7rocprim17ROCPRIM_400000_NS6detail17trampoline_kernelINS0_13select_configILj256ELj13ELNS0_17block_load_methodE3ELS4_3ELS4_3ELNS0_20block_scan_algorithmE0ELj4294967295EEENS1_25partition_config_selectorILNS1_17partition_subalgoE4EjNS0_10empty_typeEbEEZZNS1_14partition_implILS8_4ELb0ES6_15HIP_vector_typeIjLj2EENS0_17counting_iteratorIjlEEPS9_SG_NS0_5tupleIJPjSI_NS0_16reverse_iteratorISI_EEEEENSH_IJSG_SG_SG_EEES9_SI_JZNS1_25segmented_radix_sort_implINS0_14default_configELb0EPKbPbPKlPlN2at6native12_GLOBAL__N_18offset_tEEE10hipError_tPvRmT1_PNSt15iterator_traitsIS12_E10value_typeET2_T3_PNS13_IS18_E10value_typeET4_jRbjT5_S1E_jjP12ihipStream_tbEUljE_ZNSN_ISO_Lb0ESQ_SR_ST_SU_SY_EESZ_S10_S11_S12_S16_S17_S18_S1B_S1C_jS1D_jS1E_S1E_jjS1G_bEUljE0_EEESZ_S10_S11_S18_S1C_S1E_T6_T7_T9_mT8_S1G_bDpT10_ENKUlT_T0_E_clISt17integral_constantIbLb1EES1U_EEDaS1P_S1Q_EUlS1P_E_NS1_11comp_targetILNS1_3genE10ELNS1_11target_archE1200ELNS1_3gpuE4ELNS1_3repE0EEENS1_30default_config_static_selectorELNS0_4arch9wavefront6targetE0EEEvS12_.has_recursion, 0
	.set _ZN7rocprim17ROCPRIM_400000_NS6detail17trampoline_kernelINS0_13select_configILj256ELj13ELNS0_17block_load_methodE3ELS4_3ELS4_3ELNS0_20block_scan_algorithmE0ELj4294967295EEENS1_25partition_config_selectorILNS1_17partition_subalgoE4EjNS0_10empty_typeEbEEZZNS1_14partition_implILS8_4ELb0ES6_15HIP_vector_typeIjLj2EENS0_17counting_iteratorIjlEEPS9_SG_NS0_5tupleIJPjSI_NS0_16reverse_iteratorISI_EEEEENSH_IJSG_SG_SG_EEES9_SI_JZNS1_25segmented_radix_sort_implINS0_14default_configELb0EPKbPbPKlPlN2at6native12_GLOBAL__N_18offset_tEEE10hipError_tPvRmT1_PNSt15iterator_traitsIS12_E10value_typeET2_T3_PNS13_IS18_E10value_typeET4_jRbjT5_S1E_jjP12ihipStream_tbEUljE_ZNSN_ISO_Lb0ESQ_SR_ST_SU_SY_EESZ_S10_S11_S12_S16_S17_S18_S1B_S1C_jS1D_jS1E_S1E_jjS1G_bEUljE0_EEESZ_S10_S11_S18_S1C_S1E_T6_T7_T9_mT8_S1G_bDpT10_ENKUlT_T0_E_clISt17integral_constantIbLb1EES1U_EEDaS1P_S1Q_EUlS1P_E_NS1_11comp_targetILNS1_3genE10ELNS1_11target_archE1200ELNS1_3gpuE4ELNS1_3repE0EEENS1_30default_config_static_selectorELNS0_4arch9wavefront6targetE0EEEvS12_.has_indirect_call, 0
	.section	.AMDGPU.csdata,"",@progbits
; Kernel info:
; codeLenInByte = 0
; TotalNumSgprs: 0
; NumVgprs: 0
; ScratchSize: 0
; MemoryBound: 0
; FloatMode: 240
; IeeeMode: 1
; LDSByteSize: 0 bytes/workgroup (compile time only)
; SGPRBlocks: 0
; VGPRBlocks: 0
; NumSGPRsForWavesPerEU: 1
; NumVGPRsForWavesPerEU: 1
; NamedBarCnt: 0
; Occupancy: 16
; WaveLimiterHint : 0
; COMPUTE_PGM_RSRC2:SCRATCH_EN: 0
; COMPUTE_PGM_RSRC2:USER_SGPR: 2
; COMPUTE_PGM_RSRC2:TRAP_HANDLER: 0
; COMPUTE_PGM_RSRC2:TGID_X_EN: 1
; COMPUTE_PGM_RSRC2:TGID_Y_EN: 0
; COMPUTE_PGM_RSRC2:TGID_Z_EN: 0
; COMPUTE_PGM_RSRC2:TIDIG_COMP_CNT: 0
	.section	.text._ZN7rocprim17ROCPRIM_400000_NS6detail17trampoline_kernelINS0_13select_configILj256ELj13ELNS0_17block_load_methodE3ELS4_3ELS4_3ELNS0_20block_scan_algorithmE0ELj4294967295EEENS1_25partition_config_selectorILNS1_17partition_subalgoE4EjNS0_10empty_typeEbEEZZNS1_14partition_implILS8_4ELb0ES6_15HIP_vector_typeIjLj2EENS0_17counting_iteratorIjlEEPS9_SG_NS0_5tupleIJPjSI_NS0_16reverse_iteratorISI_EEEEENSH_IJSG_SG_SG_EEES9_SI_JZNS1_25segmented_radix_sort_implINS0_14default_configELb0EPKbPbPKlPlN2at6native12_GLOBAL__N_18offset_tEEE10hipError_tPvRmT1_PNSt15iterator_traitsIS12_E10value_typeET2_T3_PNS13_IS18_E10value_typeET4_jRbjT5_S1E_jjP12ihipStream_tbEUljE_ZNSN_ISO_Lb0ESQ_SR_ST_SU_SY_EESZ_S10_S11_S12_S16_S17_S18_S1B_S1C_jS1D_jS1E_S1E_jjS1G_bEUljE0_EEESZ_S10_S11_S18_S1C_S1E_T6_T7_T9_mT8_S1G_bDpT10_ENKUlT_T0_E_clISt17integral_constantIbLb1EES1U_EEDaS1P_S1Q_EUlS1P_E_NS1_11comp_targetILNS1_3genE9ELNS1_11target_archE1100ELNS1_3gpuE3ELNS1_3repE0EEENS1_30default_config_static_selectorELNS0_4arch9wavefront6targetE0EEEvS12_,"axG",@progbits,_ZN7rocprim17ROCPRIM_400000_NS6detail17trampoline_kernelINS0_13select_configILj256ELj13ELNS0_17block_load_methodE3ELS4_3ELS4_3ELNS0_20block_scan_algorithmE0ELj4294967295EEENS1_25partition_config_selectorILNS1_17partition_subalgoE4EjNS0_10empty_typeEbEEZZNS1_14partition_implILS8_4ELb0ES6_15HIP_vector_typeIjLj2EENS0_17counting_iteratorIjlEEPS9_SG_NS0_5tupleIJPjSI_NS0_16reverse_iteratorISI_EEEEENSH_IJSG_SG_SG_EEES9_SI_JZNS1_25segmented_radix_sort_implINS0_14default_configELb0EPKbPbPKlPlN2at6native12_GLOBAL__N_18offset_tEEE10hipError_tPvRmT1_PNSt15iterator_traitsIS12_E10value_typeET2_T3_PNS13_IS18_E10value_typeET4_jRbjT5_S1E_jjP12ihipStream_tbEUljE_ZNSN_ISO_Lb0ESQ_SR_ST_SU_SY_EESZ_S10_S11_S12_S16_S17_S18_S1B_S1C_jS1D_jS1E_S1E_jjS1G_bEUljE0_EEESZ_S10_S11_S18_S1C_S1E_T6_T7_T9_mT8_S1G_bDpT10_ENKUlT_T0_E_clISt17integral_constantIbLb1EES1U_EEDaS1P_S1Q_EUlS1P_E_NS1_11comp_targetILNS1_3genE9ELNS1_11target_archE1100ELNS1_3gpuE3ELNS1_3repE0EEENS1_30default_config_static_selectorELNS0_4arch9wavefront6targetE0EEEvS12_,comdat
	.globl	_ZN7rocprim17ROCPRIM_400000_NS6detail17trampoline_kernelINS0_13select_configILj256ELj13ELNS0_17block_load_methodE3ELS4_3ELS4_3ELNS0_20block_scan_algorithmE0ELj4294967295EEENS1_25partition_config_selectorILNS1_17partition_subalgoE4EjNS0_10empty_typeEbEEZZNS1_14partition_implILS8_4ELb0ES6_15HIP_vector_typeIjLj2EENS0_17counting_iteratorIjlEEPS9_SG_NS0_5tupleIJPjSI_NS0_16reverse_iteratorISI_EEEEENSH_IJSG_SG_SG_EEES9_SI_JZNS1_25segmented_radix_sort_implINS0_14default_configELb0EPKbPbPKlPlN2at6native12_GLOBAL__N_18offset_tEEE10hipError_tPvRmT1_PNSt15iterator_traitsIS12_E10value_typeET2_T3_PNS13_IS18_E10value_typeET4_jRbjT5_S1E_jjP12ihipStream_tbEUljE_ZNSN_ISO_Lb0ESQ_SR_ST_SU_SY_EESZ_S10_S11_S12_S16_S17_S18_S1B_S1C_jS1D_jS1E_S1E_jjS1G_bEUljE0_EEESZ_S10_S11_S18_S1C_S1E_T6_T7_T9_mT8_S1G_bDpT10_ENKUlT_T0_E_clISt17integral_constantIbLb1EES1U_EEDaS1P_S1Q_EUlS1P_E_NS1_11comp_targetILNS1_3genE9ELNS1_11target_archE1100ELNS1_3gpuE3ELNS1_3repE0EEENS1_30default_config_static_selectorELNS0_4arch9wavefront6targetE0EEEvS12_ ; -- Begin function _ZN7rocprim17ROCPRIM_400000_NS6detail17trampoline_kernelINS0_13select_configILj256ELj13ELNS0_17block_load_methodE3ELS4_3ELS4_3ELNS0_20block_scan_algorithmE0ELj4294967295EEENS1_25partition_config_selectorILNS1_17partition_subalgoE4EjNS0_10empty_typeEbEEZZNS1_14partition_implILS8_4ELb0ES6_15HIP_vector_typeIjLj2EENS0_17counting_iteratorIjlEEPS9_SG_NS0_5tupleIJPjSI_NS0_16reverse_iteratorISI_EEEEENSH_IJSG_SG_SG_EEES9_SI_JZNS1_25segmented_radix_sort_implINS0_14default_configELb0EPKbPbPKlPlN2at6native12_GLOBAL__N_18offset_tEEE10hipError_tPvRmT1_PNSt15iterator_traitsIS12_E10value_typeET2_T3_PNS13_IS18_E10value_typeET4_jRbjT5_S1E_jjP12ihipStream_tbEUljE_ZNSN_ISO_Lb0ESQ_SR_ST_SU_SY_EESZ_S10_S11_S12_S16_S17_S18_S1B_S1C_jS1D_jS1E_S1E_jjS1G_bEUljE0_EEESZ_S10_S11_S18_S1C_S1E_T6_T7_T9_mT8_S1G_bDpT10_ENKUlT_T0_E_clISt17integral_constantIbLb1EES1U_EEDaS1P_S1Q_EUlS1P_E_NS1_11comp_targetILNS1_3genE9ELNS1_11target_archE1100ELNS1_3gpuE3ELNS1_3repE0EEENS1_30default_config_static_selectorELNS0_4arch9wavefront6targetE0EEEvS12_
	.p2align	8
	.type	_ZN7rocprim17ROCPRIM_400000_NS6detail17trampoline_kernelINS0_13select_configILj256ELj13ELNS0_17block_load_methodE3ELS4_3ELS4_3ELNS0_20block_scan_algorithmE0ELj4294967295EEENS1_25partition_config_selectorILNS1_17partition_subalgoE4EjNS0_10empty_typeEbEEZZNS1_14partition_implILS8_4ELb0ES6_15HIP_vector_typeIjLj2EENS0_17counting_iteratorIjlEEPS9_SG_NS0_5tupleIJPjSI_NS0_16reverse_iteratorISI_EEEEENSH_IJSG_SG_SG_EEES9_SI_JZNS1_25segmented_radix_sort_implINS0_14default_configELb0EPKbPbPKlPlN2at6native12_GLOBAL__N_18offset_tEEE10hipError_tPvRmT1_PNSt15iterator_traitsIS12_E10value_typeET2_T3_PNS13_IS18_E10value_typeET4_jRbjT5_S1E_jjP12ihipStream_tbEUljE_ZNSN_ISO_Lb0ESQ_SR_ST_SU_SY_EESZ_S10_S11_S12_S16_S17_S18_S1B_S1C_jS1D_jS1E_S1E_jjS1G_bEUljE0_EEESZ_S10_S11_S18_S1C_S1E_T6_T7_T9_mT8_S1G_bDpT10_ENKUlT_T0_E_clISt17integral_constantIbLb1EES1U_EEDaS1P_S1Q_EUlS1P_E_NS1_11comp_targetILNS1_3genE9ELNS1_11target_archE1100ELNS1_3gpuE3ELNS1_3repE0EEENS1_30default_config_static_selectorELNS0_4arch9wavefront6targetE0EEEvS12_,@function
_ZN7rocprim17ROCPRIM_400000_NS6detail17trampoline_kernelINS0_13select_configILj256ELj13ELNS0_17block_load_methodE3ELS4_3ELS4_3ELNS0_20block_scan_algorithmE0ELj4294967295EEENS1_25partition_config_selectorILNS1_17partition_subalgoE4EjNS0_10empty_typeEbEEZZNS1_14partition_implILS8_4ELb0ES6_15HIP_vector_typeIjLj2EENS0_17counting_iteratorIjlEEPS9_SG_NS0_5tupleIJPjSI_NS0_16reverse_iteratorISI_EEEEENSH_IJSG_SG_SG_EEES9_SI_JZNS1_25segmented_radix_sort_implINS0_14default_configELb0EPKbPbPKlPlN2at6native12_GLOBAL__N_18offset_tEEE10hipError_tPvRmT1_PNSt15iterator_traitsIS12_E10value_typeET2_T3_PNS13_IS18_E10value_typeET4_jRbjT5_S1E_jjP12ihipStream_tbEUljE_ZNSN_ISO_Lb0ESQ_SR_ST_SU_SY_EESZ_S10_S11_S12_S16_S17_S18_S1B_S1C_jS1D_jS1E_S1E_jjS1G_bEUljE0_EEESZ_S10_S11_S18_S1C_S1E_T6_T7_T9_mT8_S1G_bDpT10_ENKUlT_T0_E_clISt17integral_constantIbLb1EES1U_EEDaS1P_S1Q_EUlS1P_E_NS1_11comp_targetILNS1_3genE9ELNS1_11target_archE1100ELNS1_3gpuE3ELNS1_3repE0EEENS1_30default_config_static_selectorELNS0_4arch9wavefront6targetE0EEEvS12_: ; @_ZN7rocprim17ROCPRIM_400000_NS6detail17trampoline_kernelINS0_13select_configILj256ELj13ELNS0_17block_load_methodE3ELS4_3ELS4_3ELNS0_20block_scan_algorithmE0ELj4294967295EEENS1_25partition_config_selectorILNS1_17partition_subalgoE4EjNS0_10empty_typeEbEEZZNS1_14partition_implILS8_4ELb0ES6_15HIP_vector_typeIjLj2EENS0_17counting_iteratorIjlEEPS9_SG_NS0_5tupleIJPjSI_NS0_16reverse_iteratorISI_EEEEENSH_IJSG_SG_SG_EEES9_SI_JZNS1_25segmented_radix_sort_implINS0_14default_configELb0EPKbPbPKlPlN2at6native12_GLOBAL__N_18offset_tEEE10hipError_tPvRmT1_PNSt15iterator_traitsIS12_E10value_typeET2_T3_PNS13_IS18_E10value_typeET4_jRbjT5_S1E_jjP12ihipStream_tbEUljE_ZNSN_ISO_Lb0ESQ_SR_ST_SU_SY_EESZ_S10_S11_S12_S16_S17_S18_S1B_S1C_jS1D_jS1E_S1E_jjS1G_bEUljE0_EEESZ_S10_S11_S18_S1C_S1E_T6_T7_T9_mT8_S1G_bDpT10_ENKUlT_T0_E_clISt17integral_constantIbLb1EES1U_EEDaS1P_S1Q_EUlS1P_E_NS1_11comp_targetILNS1_3genE9ELNS1_11target_archE1100ELNS1_3gpuE3ELNS1_3repE0EEENS1_30default_config_static_selectorELNS0_4arch9wavefront6targetE0EEEvS12_
; %bb.0:
	.section	.rodata,"a",@progbits
	.p2align	6, 0x0
	.amdhsa_kernel _ZN7rocprim17ROCPRIM_400000_NS6detail17trampoline_kernelINS0_13select_configILj256ELj13ELNS0_17block_load_methodE3ELS4_3ELS4_3ELNS0_20block_scan_algorithmE0ELj4294967295EEENS1_25partition_config_selectorILNS1_17partition_subalgoE4EjNS0_10empty_typeEbEEZZNS1_14partition_implILS8_4ELb0ES6_15HIP_vector_typeIjLj2EENS0_17counting_iteratorIjlEEPS9_SG_NS0_5tupleIJPjSI_NS0_16reverse_iteratorISI_EEEEENSH_IJSG_SG_SG_EEES9_SI_JZNS1_25segmented_radix_sort_implINS0_14default_configELb0EPKbPbPKlPlN2at6native12_GLOBAL__N_18offset_tEEE10hipError_tPvRmT1_PNSt15iterator_traitsIS12_E10value_typeET2_T3_PNS13_IS18_E10value_typeET4_jRbjT5_S1E_jjP12ihipStream_tbEUljE_ZNSN_ISO_Lb0ESQ_SR_ST_SU_SY_EESZ_S10_S11_S12_S16_S17_S18_S1B_S1C_jS1D_jS1E_S1E_jjS1G_bEUljE0_EEESZ_S10_S11_S18_S1C_S1E_T6_T7_T9_mT8_S1G_bDpT10_ENKUlT_T0_E_clISt17integral_constantIbLb1EES1U_EEDaS1P_S1Q_EUlS1P_E_NS1_11comp_targetILNS1_3genE9ELNS1_11target_archE1100ELNS1_3gpuE3ELNS1_3repE0EEENS1_30default_config_static_selectorELNS0_4arch9wavefront6targetE0EEEvS12_
		.amdhsa_group_segment_fixed_size 0
		.amdhsa_private_segment_fixed_size 0
		.amdhsa_kernarg_size 184
		.amdhsa_user_sgpr_count 2
		.amdhsa_user_sgpr_dispatch_ptr 0
		.amdhsa_user_sgpr_queue_ptr 0
		.amdhsa_user_sgpr_kernarg_segment_ptr 1
		.amdhsa_user_sgpr_dispatch_id 0
		.amdhsa_user_sgpr_kernarg_preload_length 0
		.amdhsa_user_sgpr_kernarg_preload_offset 0
		.amdhsa_user_sgpr_private_segment_size 0
		.amdhsa_wavefront_size32 1
		.amdhsa_uses_dynamic_stack 0
		.amdhsa_enable_private_segment 0
		.amdhsa_system_sgpr_workgroup_id_x 1
		.amdhsa_system_sgpr_workgroup_id_y 0
		.amdhsa_system_sgpr_workgroup_id_z 0
		.amdhsa_system_sgpr_workgroup_info 0
		.amdhsa_system_vgpr_workitem_id 0
		.amdhsa_next_free_vgpr 1
		.amdhsa_next_free_sgpr 1
		.amdhsa_named_barrier_count 0
		.amdhsa_reserve_vcc 0
		.amdhsa_float_round_mode_32 0
		.amdhsa_float_round_mode_16_64 0
		.amdhsa_float_denorm_mode_32 3
		.amdhsa_float_denorm_mode_16_64 3
		.amdhsa_fp16_overflow 0
		.amdhsa_memory_ordered 1
		.amdhsa_forward_progress 1
		.amdhsa_inst_pref_size 0
		.amdhsa_round_robin_scheduling 0
		.amdhsa_exception_fp_ieee_invalid_op 0
		.amdhsa_exception_fp_denorm_src 0
		.amdhsa_exception_fp_ieee_div_zero 0
		.amdhsa_exception_fp_ieee_overflow 0
		.amdhsa_exception_fp_ieee_underflow 0
		.amdhsa_exception_fp_ieee_inexact 0
		.amdhsa_exception_int_div_zero 0
	.end_amdhsa_kernel
	.section	.text._ZN7rocprim17ROCPRIM_400000_NS6detail17trampoline_kernelINS0_13select_configILj256ELj13ELNS0_17block_load_methodE3ELS4_3ELS4_3ELNS0_20block_scan_algorithmE0ELj4294967295EEENS1_25partition_config_selectorILNS1_17partition_subalgoE4EjNS0_10empty_typeEbEEZZNS1_14partition_implILS8_4ELb0ES6_15HIP_vector_typeIjLj2EENS0_17counting_iteratorIjlEEPS9_SG_NS0_5tupleIJPjSI_NS0_16reverse_iteratorISI_EEEEENSH_IJSG_SG_SG_EEES9_SI_JZNS1_25segmented_radix_sort_implINS0_14default_configELb0EPKbPbPKlPlN2at6native12_GLOBAL__N_18offset_tEEE10hipError_tPvRmT1_PNSt15iterator_traitsIS12_E10value_typeET2_T3_PNS13_IS18_E10value_typeET4_jRbjT5_S1E_jjP12ihipStream_tbEUljE_ZNSN_ISO_Lb0ESQ_SR_ST_SU_SY_EESZ_S10_S11_S12_S16_S17_S18_S1B_S1C_jS1D_jS1E_S1E_jjS1G_bEUljE0_EEESZ_S10_S11_S18_S1C_S1E_T6_T7_T9_mT8_S1G_bDpT10_ENKUlT_T0_E_clISt17integral_constantIbLb1EES1U_EEDaS1P_S1Q_EUlS1P_E_NS1_11comp_targetILNS1_3genE9ELNS1_11target_archE1100ELNS1_3gpuE3ELNS1_3repE0EEENS1_30default_config_static_selectorELNS0_4arch9wavefront6targetE0EEEvS12_,"axG",@progbits,_ZN7rocprim17ROCPRIM_400000_NS6detail17trampoline_kernelINS0_13select_configILj256ELj13ELNS0_17block_load_methodE3ELS4_3ELS4_3ELNS0_20block_scan_algorithmE0ELj4294967295EEENS1_25partition_config_selectorILNS1_17partition_subalgoE4EjNS0_10empty_typeEbEEZZNS1_14partition_implILS8_4ELb0ES6_15HIP_vector_typeIjLj2EENS0_17counting_iteratorIjlEEPS9_SG_NS0_5tupleIJPjSI_NS0_16reverse_iteratorISI_EEEEENSH_IJSG_SG_SG_EEES9_SI_JZNS1_25segmented_radix_sort_implINS0_14default_configELb0EPKbPbPKlPlN2at6native12_GLOBAL__N_18offset_tEEE10hipError_tPvRmT1_PNSt15iterator_traitsIS12_E10value_typeET2_T3_PNS13_IS18_E10value_typeET4_jRbjT5_S1E_jjP12ihipStream_tbEUljE_ZNSN_ISO_Lb0ESQ_SR_ST_SU_SY_EESZ_S10_S11_S12_S16_S17_S18_S1B_S1C_jS1D_jS1E_S1E_jjS1G_bEUljE0_EEESZ_S10_S11_S18_S1C_S1E_T6_T7_T9_mT8_S1G_bDpT10_ENKUlT_T0_E_clISt17integral_constantIbLb1EES1U_EEDaS1P_S1Q_EUlS1P_E_NS1_11comp_targetILNS1_3genE9ELNS1_11target_archE1100ELNS1_3gpuE3ELNS1_3repE0EEENS1_30default_config_static_selectorELNS0_4arch9wavefront6targetE0EEEvS12_,comdat
.Lfunc_end1576:
	.size	_ZN7rocprim17ROCPRIM_400000_NS6detail17trampoline_kernelINS0_13select_configILj256ELj13ELNS0_17block_load_methodE3ELS4_3ELS4_3ELNS0_20block_scan_algorithmE0ELj4294967295EEENS1_25partition_config_selectorILNS1_17partition_subalgoE4EjNS0_10empty_typeEbEEZZNS1_14partition_implILS8_4ELb0ES6_15HIP_vector_typeIjLj2EENS0_17counting_iteratorIjlEEPS9_SG_NS0_5tupleIJPjSI_NS0_16reverse_iteratorISI_EEEEENSH_IJSG_SG_SG_EEES9_SI_JZNS1_25segmented_radix_sort_implINS0_14default_configELb0EPKbPbPKlPlN2at6native12_GLOBAL__N_18offset_tEEE10hipError_tPvRmT1_PNSt15iterator_traitsIS12_E10value_typeET2_T3_PNS13_IS18_E10value_typeET4_jRbjT5_S1E_jjP12ihipStream_tbEUljE_ZNSN_ISO_Lb0ESQ_SR_ST_SU_SY_EESZ_S10_S11_S12_S16_S17_S18_S1B_S1C_jS1D_jS1E_S1E_jjS1G_bEUljE0_EEESZ_S10_S11_S18_S1C_S1E_T6_T7_T9_mT8_S1G_bDpT10_ENKUlT_T0_E_clISt17integral_constantIbLb1EES1U_EEDaS1P_S1Q_EUlS1P_E_NS1_11comp_targetILNS1_3genE9ELNS1_11target_archE1100ELNS1_3gpuE3ELNS1_3repE0EEENS1_30default_config_static_selectorELNS0_4arch9wavefront6targetE0EEEvS12_, .Lfunc_end1576-_ZN7rocprim17ROCPRIM_400000_NS6detail17trampoline_kernelINS0_13select_configILj256ELj13ELNS0_17block_load_methodE3ELS4_3ELS4_3ELNS0_20block_scan_algorithmE0ELj4294967295EEENS1_25partition_config_selectorILNS1_17partition_subalgoE4EjNS0_10empty_typeEbEEZZNS1_14partition_implILS8_4ELb0ES6_15HIP_vector_typeIjLj2EENS0_17counting_iteratorIjlEEPS9_SG_NS0_5tupleIJPjSI_NS0_16reverse_iteratorISI_EEEEENSH_IJSG_SG_SG_EEES9_SI_JZNS1_25segmented_radix_sort_implINS0_14default_configELb0EPKbPbPKlPlN2at6native12_GLOBAL__N_18offset_tEEE10hipError_tPvRmT1_PNSt15iterator_traitsIS12_E10value_typeET2_T3_PNS13_IS18_E10value_typeET4_jRbjT5_S1E_jjP12ihipStream_tbEUljE_ZNSN_ISO_Lb0ESQ_SR_ST_SU_SY_EESZ_S10_S11_S12_S16_S17_S18_S1B_S1C_jS1D_jS1E_S1E_jjS1G_bEUljE0_EEESZ_S10_S11_S18_S1C_S1E_T6_T7_T9_mT8_S1G_bDpT10_ENKUlT_T0_E_clISt17integral_constantIbLb1EES1U_EEDaS1P_S1Q_EUlS1P_E_NS1_11comp_targetILNS1_3genE9ELNS1_11target_archE1100ELNS1_3gpuE3ELNS1_3repE0EEENS1_30default_config_static_selectorELNS0_4arch9wavefront6targetE0EEEvS12_
                                        ; -- End function
	.set _ZN7rocprim17ROCPRIM_400000_NS6detail17trampoline_kernelINS0_13select_configILj256ELj13ELNS0_17block_load_methodE3ELS4_3ELS4_3ELNS0_20block_scan_algorithmE0ELj4294967295EEENS1_25partition_config_selectorILNS1_17partition_subalgoE4EjNS0_10empty_typeEbEEZZNS1_14partition_implILS8_4ELb0ES6_15HIP_vector_typeIjLj2EENS0_17counting_iteratorIjlEEPS9_SG_NS0_5tupleIJPjSI_NS0_16reverse_iteratorISI_EEEEENSH_IJSG_SG_SG_EEES9_SI_JZNS1_25segmented_radix_sort_implINS0_14default_configELb0EPKbPbPKlPlN2at6native12_GLOBAL__N_18offset_tEEE10hipError_tPvRmT1_PNSt15iterator_traitsIS12_E10value_typeET2_T3_PNS13_IS18_E10value_typeET4_jRbjT5_S1E_jjP12ihipStream_tbEUljE_ZNSN_ISO_Lb0ESQ_SR_ST_SU_SY_EESZ_S10_S11_S12_S16_S17_S18_S1B_S1C_jS1D_jS1E_S1E_jjS1G_bEUljE0_EEESZ_S10_S11_S18_S1C_S1E_T6_T7_T9_mT8_S1G_bDpT10_ENKUlT_T0_E_clISt17integral_constantIbLb1EES1U_EEDaS1P_S1Q_EUlS1P_E_NS1_11comp_targetILNS1_3genE9ELNS1_11target_archE1100ELNS1_3gpuE3ELNS1_3repE0EEENS1_30default_config_static_selectorELNS0_4arch9wavefront6targetE0EEEvS12_.num_vgpr, 0
	.set _ZN7rocprim17ROCPRIM_400000_NS6detail17trampoline_kernelINS0_13select_configILj256ELj13ELNS0_17block_load_methodE3ELS4_3ELS4_3ELNS0_20block_scan_algorithmE0ELj4294967295EEENS1_25partition_config_selectorILNS1_17partition_subalgoE4EjNS0_10empty_typeEbEEZZNS1_14partition_implILS8_4ELb0ES6_15HIP_vector_typeIjLj2EENS0_17counting_iteratorIjlEEPS9_SG_NS0_5tupleIJPjSI_NS0_16reverse_iteratorISI_EEEEENSH_IJSG_SG_SG_EEES9_SI_JZNS1_25segmented_radix_sort_implINS0_14default_configELb0EPKbPbPKlPlN2at6native12_GLOBAL__N_18offset_tEEE10hipError_tPvRmT1_PNSt15iterator_traitsIS12_E10value_typeET2_T3_PNS13_IS18_E10value_typeET4_jRbjT5_S1E_jjP12ihipStream_tbEUljE_ZNSN_ISO_Lb0ESQ_SR_ST_SU_SY_EESZ_S10_S11_S12_S16_S17_S18_S1B_S1C_jS1D_jS1E_S1E_jjS1G_bEUljE0_EEESZ_S10_S11_S18_S1C_S1E_T6_T7_T9_mT8_S1G_bDpT10_ENKUlT_T0_E_clISt17integral_constantIbLb1EES1U_EEDaS1P_S1Q_EUlS1P_E_NS1_11comp_targetILNS1_3genE9ELNS1_11target_archE1100ELNS1_3gpuE3ELNS1_3repE0EEENS1_30default_config_static_selectorELNS0_4arch9wavefront6targetE0EEEvS12_.num_agpr, 0
	.set _ZN7rocprim17ROCPRIM_400000_NS6detail17trampoline_kernelINS0_13select_configILj256ELj13ELNS0_17block_load_methodE3ELS4_3ELS4_3ELNS0_20block_scan_algorithmE0ELj4294967295EEENS1_25partition_config_selectorILNS1_17partition_subalgoE4EjNS0_10empty_typeEbEEZZNS1_14partition_implILS8_4ELb0ES6_15HIP_vector_typeIjLj2EENS0_17counting_iteratorIjlEEPS9_SG_NS0_5tupleIJPjSI_NS0_16reverse_iteratorISI_EEEEENSH_IJSG_SG_SG_EEES9_SI_JZNS1_25segmented_radix_sort_implINS0_14default_configELb0EPKbPbPKlPlN2at6native12_GLOBAL__N_18offset_tEEE10hipError_tPvRmT1_PNSt15iterator_traitsIS12_E10value_typeET2_T3_PNS13_IS18_E10value_typeET4_jRbjT5_S1E_jjP12ihipStream_tbEUljE_ZNSN_ISO_Lb0ESQ_SR_ST_SU_SY_EESZ_S10_S11_S12_S16_S17_S18_S1B_S1C_jS1D_jS1E_S1E_jjS1G_bEUljE0_EEESZ_S10_S11_S18_S1C_S1E_T6_T7_T9_mT8_S1G_bDpT10_ENKUlT_T0_E_clISt17integral_constantIbLb1EES1U_EEDaS1P_S1Q_EUlS1P_E_NS1_11comp_targetILNS1_3genE9ELNS1_11target_archE1100ELNS1_3gpuE3ELNS1_3repE0EEENS1_30default_config_static_selectorELNS0_4arch9wavefront6targetE0EEEvS12_.numbered_sgpr, 0
	.set _ZN7rocprim17ROCPRIM_400000_NS6detail17trampoline_kernelINS0_13select_configILj256ELj13ELNS0_17block_load_methodE3ELS4_3ELS4_3ELNS0_20block_scan_algorithmE0ELj4294967295EEENS1_25partition_config_selectorILNS1_17partition_subalgoE4EjNS0_10empty_typeEbEEZZNS1_14partition_implILS8_4ELb0ES6_15HIP_vector_typeIjLj2EENS0_17counting_iteratorIjlEEPS9_SG_NS0_5tupleIJPjSI_NS0_16reverse_iteratorISI_EEEEENSH_IJSG_SG_SG_EEES9_SI_JZNS1_25segmented_radix_sort_implINS0_14default_configELb0EPKbPbPKlPlN2at6native12_GLOBAL__N_18offset_tEEE10hipError_tPvRmT1_PNSt15iterator_traitsIS12_E10value_typeET2_T3_PNS13_IS18_E10value_typeET4_jRbjT5_S1E_jjP12ihipStream_tbEUljE_ZNSN_ISO_Lb0ESQ_SR_ST_SU_SY_EESZ_S10_S11_S12_S16_S17_S18_S1B_S1C_jS1D_jS1E_S1E_jjS1G_bEUljE0_EEESZ_S10_S11_S18_S1C_S1E_T6_T7_T9_mT8_S1G_bDpT10_ENKUlT_T0_E_clISt17integral_constantIbLb1EES1U_EEDaS1P_S1Q_EUlS1P_E_NS1_11comp_targetILNS1_3genE9ELNS1_11target_archE1100ELNS1_3gpuE3ELNS1_3repE0EEENS1_30default_config_static_selectorELNS0_4arch9wavefront6targetE0EEEvS12_.num_named_barrier, 0
	.set _ZN7rocprim17ROCPRIM_400000_NS6detail17trampoline_kernelINS0_13select_configILj256ELj13ELNS0_17block_load_methodE3ELS4_3ELS4_3ELNS0_20block_scan_algorithmE0ELj4294967295EEENS1_25partition_config_selectorILNS1_17partition_subalgoE4EjNS0_10empty_typeEbEEZZNS1_14partition_implILS8_4ELb0ES6_15HIP_vector_typeIjLj2EENS0_17counting_iteratorIjlEEPS9_SG_NS0_5tupleIJPjSI_NS0_16reverse_iteratorISI_EEEEENSH_IJSG_SG_SG_EEES9_SI_JZNS1_25segmented_radix_sort_implINS0_14default_configELb0EPKbPbPKlPlN2at6native12_GLOBAL__N_18offset_tEEE10hipError_tPvRmT1_PNSt15iterator_traitsIS12_E10value_typeET2_T3_PNS13_IS18_E10value_typeET4_jRbjT5_S1E_jjP12ihipStream_tbEUljE_ZNSN_ISO_Lb0ESQ_SR_ST_SU_SY_EESZ_S10_S11_S12_S16_S17_S18_S1B_S1C_jS1D_jS1E_S1E_jjS1G_bEUljE0_EEESZ_S10_S11_S18_S1C_S1E_T6_T7_T9_mT8_S1G_bDpT10_ENKUlT_T0_E_clISt17integral_constantIbLb1EES1U_EEDaS1P_S1Q_EUlS1P_E_NS1_11comp_targetILNS1_3genE9ELNS1_11target_archE1100ELNS1_3gpuE3ELNS1_3repE0EEENS1_30default_config_static_selectorELNS0_4arch9wavefront6targetE0EEEvS12_.private_seg_size, 0
	.set _ZN7rocprim17ROCPRIM_400000_NS6detail17trampoline_kernelINS0_13select_configILj256ELj13ELNS0_17block_load_methodE3ELS4_3ELS4_3ELNS0_20block_scan_algorithmE0ELj4294967295EEENS1_25partition_config_selectorILNS1_17partition_subalgoE4EjNS0_10empty_typeEbEEZZNS1_14partition_implILS8_4ELb0ES6_15HIP_vector_typeIjLj2EENS0_17counting_iteratorIjlEEPS9_SG_NS0_5tupleIJPjSI_NS0_16reverse_iteratorISI_EEEEENSH_IJSG_SG_SG_EEES9_SI_JZNS1_25segmented_radix_sort_implINS0_14default_configELb0EPKbPbPKlPlN2at6native12_GLOBAL__N_18offset_tEEE10hipError_tPvRmT1_PNSt15iterator_traitsIS12_E10value_typeET2_T3_PNS13_IS18_E10value_typeET4_jRbjT5_S1E_jjP12ihipStream_tbEUljE_ZNSN_ISO_Lb0ESQ_SR_ST_SU_SY_EESZ_S10_S11_S12_S16_S17_S18_S1B_S1C_jS1D_jS1E_S1E_jjS1G_bEUljE0_EEESZ_S10_S11_S18_S1C_S1E_T6_T7_T9_mT8_S1G_bDpT10_ENKUlT_T0_E_clISt17integral_constantIbLb1EES1U_EEDaS1P_S1Q_EUlS1P_E_NS1_11comp_targetILNS1_3genE9ELNS1_11target_archE1100ELNS1_3gpuE3ELNS1_3repE0EEENS1_30default_config_static_selectorELNS0_4arch9wavefront6targetE0EEEvS12_.uses_vcc, 0
	.set _ZN7rocprim17ROCPRIM_400000_NS6detail17trampoline_kernelINS0_13select_configILj256ELj13ELNS0_17block_load_methodE3ELS4_3ELS4_3ELNS0_20block_scan_algorithmE0ELj4294967295EEENS1_25partition_config_selectorILNS1_17partition_subalgoE4EjNS0_10empty_typeEbEEZZNS1_14partition_implILS8_4ELb0ES6_15HIP_vector_typeIjLj2EENS0_17counting_iteratorIjlEEPS9_SG_NS0_5tupleIJPjSI_NS0_16reverse_iteratorISI_EEEEENSH_IJSG_SG_SG_EEES9_SI_JZNS1_25segmented_radix_sort_implINS0_14default_configELb0EPKbPbPKlPlN2at6native12_GLOBAL__N_18offset_tEEE10hipError_tPvRmT1_PNSt15iterator_traitsIS12_E10value_typeET2_T3_PNS13_IS18_E10value_typeET4_jRbjT5_S1E_jjP12ihipStream_tbEUljE_ZNSN_ISO_Lb0ESQ_SR_ST_SU_SY_EESZ_S10_S11_S12_S16_S17_S18_S1B_S1C_jS1D_jS1E_S1E_jjS1G_bEUljE0_EEESZ_S10_S11_S18_S1C_S1E_T6_T7_T9_mT8_S1G_bDpT10_ENKUlT_T0_E_clISt17integral_constantIbLb1EES1U_EEDaS1P_S1Q_EUlS1P_E_NS1_11comp_targetILNS1_3genE9ELNS1_11target_archE1100ELNS1_3gpuE3ELNS1_3repE0EEENS1_30default_config_static_selectorELNS0_4arch9wavefront6targetE0EEEvS12_.uses_flat_scratch, 0
	.set _ZN7rocprim17ROCPRIM_400000_NS6detail17trampoline_kernelINS0_13select_configILj256ELj13ELNS0_17block_load_methodE3ELS4_3ELS4_3ELNS0_20block_scan_algorithmE0ELj4294967295EEENS1_25partition_config_selectorILNS1_17partition_subalgoE4EjNS0_10empty_typeEbEEZZNS1_14partition_implILS8_4ELb0ES6_15HIP_vector_typeIjLj2EENS0_17counting_iteratorIjlEEPS9_SG_NS0_5tupleIJPjSI_NS0_16reverse_iteratorISI_EEEEENSH_IJSG_SG_SG_EEES9_SI_JZNS1_25segmented_radix_sort_implINS0_14default_configELb0EPKbPbPKlPlN2at6native12_GLOBAL__N_18offset_tEEE10hipError_tPvRmT1_PNSt15iterator_traitsIS12_E10value_typeET2_T3_PNS13_IS18_E10value_typeET4_jRbjT5_S1E_jjP12ihipStream_tbEUljE_ZNSN_ISO_Lb0ESQ_SR_ST_SU_SY_EESZ_S10_S11_S12_S16_S17_S18_S1B_S1C_jS1D_jS1E_S1E_jjS1G_bEUljE0_EEESZ_S10_S11_S18_S1C_S1E_T6_T7_T9_mT8_S1G_bDpT10_ENKUlT_T0_E_clISt17integral_constantIbLb1EES1U_EEDaS1P_S1Q_EUlS1P_E_NS1_11comp_targetILNS1_3genE9ELNS1_11target_archE1100ELNS1_3gpuE3ELNS1_3repE0EEENS1_30default_config_static_selectorELNS0_4arch9wavefront6targetE0EEEvS12_.has_dyn_sized_stack, 0
	.set _ZN7rocprim17ROCPRIM_400000_NS6detail17trampoline_kernelINS0_13select_configILj256ELj13ELNS0_17block_load_methodE3ELS4_3ELS4_3ELNS0_20block_scan_algorithmE0ELj4294967295EEENS1_25partition_config_selectorILNS1_17partition_subalgoE4EjNS0_10empty_typeEbEEZZNS1_14partition_implILS8_4ELb0ES6_15HIP_vector_typeIjLj2EENS0_17counting_iteratorIjlEEPS9_SG_NS0_5tupleIJPjSI_NS0_16reverse_iteratorISI_EEEEENSH_IJSG_SG_SG_EEES9_SI_JZNS1_25segmented_radix_sort_implINS0_14default_configELb0EPKbPbPKlPlN2at6native12_GLOBAL__N_18offset_tEEE10hipError_tPvRmT1_PNSt15iterator_traitsIS12_E10value_typeET2_T3_PNS13_IS18_E10value_typeET4_jRbjT5_S1E_jjP12ihipStream_tbEUljE_ZNSN_ISO_Lb0ESQ_SR_ST_SU_SY_EESZ_S10_S11_S12_S16_S17_S18_S1B_S1C_jS1D_jS1E_S1E_jjS1G_bEUljE0_EEESZ_S10_S11_S18_S1C_S1E_T6_T7_T9_mT8_S1G_bDpT10_ENKUlT_T0_E_clISt17integral_constantIbLb1EES1U_EEDaS1P_S1Q_EUlS1P_E_NS1_11comp_targetILNS1_3genE9ELNS1_11target_archE1100ELNS1_3gpuE3ELNS1_3repE0EEENS1_30default_config_static_selectorELNS0_4arch9wavefront6targetE0EEEvS12_.has_recursion, 0
	.set _ZN7rocprim17ROCPRIM_400000_NS6detail17trampoline_kernelINS0_13select_configILj256ELj13ELNS0_17block_load_methodE3ELS4_3ELS4_3ELNS0_20block_scan_algorithmE0ELj4294967295EEENS1_25partition_config_selectorILNS1_17partition_subalgoE4EjNS0_10empty_typeEbEEZZNS1_14partition_implILS8_4ELb0ES6_15HIP_vector_typeIjLj2EENS0_17counting_iteratorIjlEEPS9_SG_NS0_5tupleIJPjSI_NS0_16reverse_iteratorISI_EEEEENSH_IJSG_SG_SG_EEES9_SI_JZNS1_25segmented_radix_sort_implINS0_14default_configELb0EPKbPbPKlPlN2at6native12_GLOBAL__N_18offset_tEEE10hipError_tPvRmT1_PNSt15iterator_traitsIS12_E10value_typeET2_T3_PNS13_IS18_E10value_typeET4_jRbjT5_S1E_jjP12ihipStream_tbEUljE_ZNSN_ISO_Lb0ESQ_SR_ST_SU_SY_EESZ_S10_S11_S12_S16_S17_S18_S1B_S1C_jS1D_jS1E_S1E_jjS1G_bEUljE0_EEESZ_S10_S11_S18_S1C_S1E_T6_T7_T9_mT8_S1G_bDpT10_ENKUlT_T0_E_clISt17integral_constantIbLb1EES1U_EEDaS1P_S1Q_EUlS1P_E_NS1_11comp_targetILNS1_3genE9ELNS1_11target_archE1100ELNS1_3gpuE3ELNS1_3repE0EEENS1_30default_config_static_selectorELNS0_4arch9wavefront6targetE0EEEvS12_.has_indirect_call, 0
	.section	.AMDGPU.csdata,"",@progbits
; Kernel info:
; codeLenInByte = 0
; TotalNumSgprs: 0
; NumVgprs: 0
; ScratchSize: 0
; MemoryBound: 0
; FloatMode: 240
; IeeeMode: 1
; LDSByteSize: 0 bytes/workgroup (compile time only)
; SGPRBlocks: 0
; VGPRBlocks: 0
; NumSGPRsForWavesPerEU: 1
; NumVGPRsForWavesPerEU: 1
; NamedBarCnt: 0
; Occupancy: 16
; WaveLimiterHint : 0
; COMPUTE_PGM_RSRC2:SCRATCH_EN: 0
; COMPUTE_PGM_RSRC2:USER_SGPR: 2
; COMPUTE_PGM_RSRC2:TRAP_HANDLER: 0
; COMPUTE_PGM_RSRC2:TGID_X_EN: 1
; COMPUTE_PGM_RSRC2:TGID_Y_EN: 0
; COMPUTE_PGM_RSRC2:TGID_Z_EN: 0
; COMPUTE_PGM_RSRC2:TIDIG_COMP_CNT: 0
	.section	.text._ZN7rocprim17ROCPRIM_400000_NS6detail17trampoline_kernelINS0_13select_configILj256ELj13ELNS0_17block_load_methodE3ELS4_3ELS4_3ELNS0_20block_scan_algorithmE0ELj4294967295EEENS1_25partition_config_selectorILNS1_17partition_subalgoE4EjNS0_10empty_typeEbEEZZNS1_14partition_implILS8_4ELb0ES6_15HIP_vector_typeIjLj2EENS0_17counting_iteratorIjlEEPS9_SG_NS0_5tupleIJPjSI_NS0_16reverse_iteratorISI_EEEEENSH_IJSG_SG_SG_EEES9_SI_JZNS1_25segmented_radix_sort_implINS0_14default_configELb0EPKbPbPKlPlN2at6native12_GLOBAL__N_18offset_tEEE10hipError_tPvRmT1_PNSt15iterator_traitsIS12_E10value_typeET2_T3_PNS13_IS18_E10value_typeET4_jRbjT5_S1E_jjP12ihipStream_tbEUljE_ZNSN_ISO_Lb0ESQ_SR_ST_SU_SY_EESZ_S10_S11_S12_S16_S17_S18_S1B_S1C_jS1D_jS1E_S1E_jjS1G_bEUljE0_EEESZ_S10_S11_S18_S1C_S1E_T6_T7_T9_mT8_S1G_bDpT10_ENKUlT_T0_E_clISt17integral_constantIbLb1EES1U_EEDaS1P_S1Q_EUlS1P_E_NS1_11comp_targetILNS1_3genE8ELNS1_11target_archE1030ELNS1_3gpuE2ELNS1_3repE0EEENS1_30default_config_static_selectorELNS0_4arch9wavefront6targetE0EEEvS12_,"axG",@progbits,_ZN7rocprim17ROCPRIM_400000_NS6detail17trampoline_kernelINS0_13select_configILj256ELj13ELNS0_17block_load_methodE3ELS4_3ELS4_3ELNS0_20block_scan_algorithmE0ELj4294967295EEENS1_25partition_config_selectorILNS1_17partition_subalgoE4EjNS0_10empty_typeEbEEZZNS1_14partition_implILS8_4ELb0ES6_15HIP_vector_typeIjLj2EENS0_17counting_iteratorIjlEEPS9_SG_NS0_5tupleIJPjSI_NS0_16reverse_iteratorISI_EEEEENSH_IJSG_SG_SG_EEES9_SI_JZNS1_25segmented_radix_sort_implINS0_14default_configELb0EPKbPbPKlPlN2at6native12_GLOBAL__N_18offset_tEEE10hipError_tPvRmT1_PNSt15iterator_traitsIS12_E10value_typeET2_T3_PNS13_IS18_E10value_typeET4_jRbjT5_S1E_jjP12ihipStream_tbEUljE_ZNSN_ISO_Lb0ESQ_SR_ST_SU_SY_EESZ_S10_S11_S12_S16_S17_S18_S1B_S1C_jS1D_jS1E_S1E_jjS1G_bEUljE0_EEESZ_S10_S11_S18_S1C_S1E_T6_T7_T9_mT8_S1G_bDpT10_ENKUlT_T0_E_clISt17integral_constantIbLb1EES1U_EEDaS1P_S1Q_EUlS1P_E_NS1_11comp_targetILNS1_3genE8ELNS1_11target_archE1030ELNS1_3gpuE2ELNS1_3repE0EEENS1_30default_config_static_selectorELNS0_4arch9wavefront6targetE0EEEvS12_,comdat
	.globl	_ZN7rocprim17ROCPRIM_400000_NS6detail17trampoline_kernelINS0_13select_configILj256ELj13ELNS0_17block_load_methodE3ELS4_3ELS4_3ELNS0_20block_scan_algorithmE0ELj4294967295EEENS1_25partition_config_selectorILNS1_17partition_subalgoE4EjNS0_10empty_typeEbEEZZNS1_14partition_implILS8_4ELb0ES6_15HIP_vector_typeIjLj2EENS0_17counting_iteratorIjlEEPS9_SG_NS0_5tupleIJPjSI_NS0_16reverse_iteratorISI_EEEEENSH_IJSG_SG_SG_EEES9_SI_JZNS1_25segmented_radix_sort_implINS0_14default_configELb0EPKbPbPKlPlN2at6native12_GLOBAL__N_18offset_tEEE10hipError_tPvRmT1_PNSt15iterator_traitsIS12_E10value_typeET2_T3_PNS13_IS18_E10value_typeET4_jRbjT5_S1E_jjP12ihipStream_tbEUljE_ZNSN_ISO_Lb0ESQ_SR_ST_SU_SY_EESZ_S10_S11_S12_S16_S17_S18_S1B_S1C_jS1D_jS1E_S1E_jjS1G_bEUljE0_EEESZ_S10_S11_S18_S1C_S1E_T6_T7_T9_mT8_S1G_bDpT10_ENKUlT_T0_E_clISt17integral_constantIbLb1EES1U_EEDaS1P_S1Q_EUlS1P_E_NS1_11comp_targetILNS1_3genE8ELNS1_11target_archE1030ELNS1_3gpuE2ELNS1_3repE0EEENS1_30default_config_static_selectorELNS0_4arch9wavefront6targetE0EEEvS12_ ; -- Begin function _ZN7rocprim17ROCPRIM_400000_NS6detail17trampoline_kernelINS0_13select_configILj256ELj13ELNS0_17block_load_methodE3ELS4_3ELS4_3ELNS0_20block_scan_algorithmE0ELj4294967295EEENS1_25partition_config_selectorILNS1_17partition_subalgoE4EjNS0_10empty_typeEbEEZZNS1_14partition_implILS8_4ELb0ES6_15HIP_vector_typeIjLj2EENS0_17counting_iteratorIjlEEPS9_SG_NS0_5tupleIJPjSI_NS0_16reverse_iteratorISI_EEEEENSH_IJSG_SG_SG_EEES9_SI_JZNS1_25segmented_radix_sort_implINS0_14default_configELb0EPKbPbPKlPlN2at6native12_GLOBAL__N_18offset_tEEE10hipError_tPvRmT1_PNSt15iterator_traitsIS12_E10value_typeET2_T3_PNS13_IS18_E10value_typeET4_jRbjT5_S1E_jjP12ihipStream_tbEUljE_ZNSN_ISO_Lb0ESQ_SR_ST_SU_SY_EESZ_S10_S11_S12_S16_S17_S18_S1B_S1C_jS1D_jS1E_S1E_jjS1G_bEUljE0_EEESZ_S10_S11_S18_S1C_S1E_T6_T7_T9_mT8_S1G_bDpT10_ENKUlT_T0_E_clISt17integral_constantIbLb1EES1U_EEDaS1P_S1Q_EUlS1P_E_NS1_11comp_targetILNS1_3genE8ELNS1_11target_archE1030ELNS1_3gpuE2ELNS1_3repE0EEENS1_30default_config_static_selectorELNS0_4arch9wavefront6targetE0EEEvS12_
	.p2align	8
	.type	_ZN7rocprim17ROCPRIM_400000_NS6detail17trampoline_kernelINS0_13select_configILj256ELj13ELNS0_17block_load_methodE3ELS4_3ELS4_3ELNS0_20block_scan_algorithmE0ELj4294967295EEENS1_25partition_config_selectorILNS1_17partition_subalgoE4EjNS0_10empty_typeEbEEZZNS1_14partition_implILS8_4ELb0ES6_15HIP_vector_typeIjLj2EENS0_17counting_iteratorIjlEEPS9_SG_NS0_5tupleIJPjSI_NS0_16reverse_iteratorISI_EEEEENSH_IJSG_SG_SG_EEES9_SI_JZNS1_25segmented_radix_sort_implINS0_14default_configELb0EPKbPbPKlPlN2at6native12_GLOBAL__N_18offset_tEEE10hipError_tPvRmT1_PNSt15iterator_traitsIS12_E10value_typeET2_T3_PNS13_IS18_E10value_typeET4_jRbjT5_S1E_jjP12ihipStream_tbEUljE_ZNSN_ISO_Lb0ESQ_SR_ST_SU_SY_EESZ_S10_S11_S12_S16_S17_S18_S1B_S1C_jS1D_jS1E_S1E_jjS1G_bEUljE0_EEESZ_S10_S11_S18_S1C_S1E_T6_T7_T9_mT8_S1G_bDpT10_ENKUlT_T0_E_clISt17integral_constantIbLb1EES1U_EEDaS1P_S1Q_EUlS1P_E_NS1_11comp_targetILNS1_3genE8ELNS1_11target_archE1030ELNS1_3gpuE2ELNS1_3repE0EEENS1_30default_config_static_selectorELNS0_4arch9wavefront6targetE0EEEvS12_,@function
_ZN7rocprim17ROCPRIM_400000_NS6detail17trampoline_kernelINS0_13select_configILj256ELj13ELNS0_17block_load_methodE3ELS4_3ELS4_3ELNS0_20block_scan_algorithmE0ELj4294967295EEENS1_25partition_config_selectorILNS1_17partition_subalgoE4EjNS0_10empty_typeEbEEZZNS1_14partition_implILS8_4ELb0ES6_15HIP_vector_typeIjLj2EENS0_17counting_iteratorIjlEEPS9_SG_NS0_5tupleIJPjSI_NS0_16reverse_iteratorISI_EEEEENSH_IJSG_SG_SG_EEES9_SI_JZNS1_25segmented_radix_sort_implINS0_14default_configELb0EPKbPbPKlPlN2at6native12_GLOBAL__N_18offset_tEEE10hipError_tPvRmT1_PNSt15iterator_traitsIS12_E10value_typeET2_T3_PNS13_IS18_E10value_typeET4_jRbjT5_S1E_jjP12ihipStream_tbEUljE_ZNSN_ISO_Lb0ESQ_SR_ST_SU_SY_EESZ_S10_S11_S12_S16_S17_S18_S1B_S1C_jS1D_jS1E_S1E_jjS1G_bEUljE0_EEESZ_S10_S11_S18_S1C_S1E_T6_T7_T9_mT8_S1G_bDpT10_ENKUlT_T0_E_clISt17integral_constantIbLb1EES1U_EEDaS1P_S1Q_EUlS1P_E_NS1_11comp_targetILNS1_3genE8ELNS1_11target_archE1030ELNS1_3gpuE2ELNS1_3repE0EEENS1_30default_config_static_selectorELNS0_4arch9wavefront6targetE0EEEvS12_: ; @_ZN7rocprim17ROCPRIM_400000_NS6detail17trampoline_kernelINS0_13select_configILj256ELj13ELNS0_17block_load_methodE3ELS4_3ELS4_3ELNS0_20block_scan_algorithmE0ELj4294967295EEENS1_25partition_config_selectorILNS1_17partition_subalgoE4EjNS0_10empty_typeEbEEZZNS1_14partition_implILS8_4ELb0ES6_15HIP_vector_typeIjLj2EENS0_17counting_iteratorIjlEEPS9_SG_NS0_5tupleIJPjSI_NS0_16reverse_iteratorISI_EEEEENSH_IJSG_SG_SG_EEES9_SI_JZNS1_25segmented_radix_sort_implINS0_14default_configELb0EPKbPbPKlPlN2at6native12_GLOBAL__N_18offset_tEEE10hipError_tPvRmT1_PNSt15iterator_traitsIS12_E10value_typeET2_T3_PNS13_IS18_E10value_typeET4_jRbjT5_S1E_jjP12ihipStream_tbEUljE_ZNSN_ISO_Lb0ESQ_SR_ST_SU_SY_EESZ_S10_S11_S12_S16_S17_S18_S1B_S1C_jS1D_jS1E_S1E_jjS1G_bEUljE0_EEESZ_S10_S11_S18_S1C_S1E_T6_T7_T9_mT8_S1G_bDpT10_ENKUlT_T0_E_clISt17integral_constantIbLb1EES1U_EEDaS1P_S1Q_EUlS1P_E_NS1_11comp_targetILNS1_3genE8ELNS1_11target_archE1030ELNS1_3gpuE2ELNS1_3repE0EEENS1_30default_config_static_selectorELNS0_4arch9wavefront6targetE0EEEvS12_
; %bb.0:
	.section	.rodata,"a",@progbits
	.p2align	6, 0x0
	.amdhsa_kernel _ZN7rocprim17ROCPRIM_400000_NS6detail17trampoline_kernelINS0_13select_configILj256ELj13ELNS0_17block_load_methodE3ELS4_3ELS4_3ELNS0_20block_scan_algorithmE0ELj4294967295EEENS1_25partition_config_selectorILNS1_17partition_subalgoE4EjNS0_10empty_typeEbEEZZNS1_14partition_implILS8_4ELb0ES6_15HIP_vector_typeIjLj2EENS0_17counting_iteratorIjlEEPS9_SG_NS0_5tupleIJPjSI_NS0_16reverse_iteratorISI_EEEEENSH_IJSG_SG_SG_EEES9_SI_JZNS1_25segmented_radix_sort_implINS0_14default_configELb0EPKbPbPKlPlN2at6native12_GLOBAL__N_18offset_tEEE10hipError_tPvRmT1_PNSt15iterator_traitsIS12_E10value_typeET2_T3_PNS13_IS18_E10value_typeET4_jRbjT5_S1E_jjP12ihipStream_tbEUljE_ZNSN_ISO_Lb0ESQ_SR_ST_SU_SY_EESZ_S10_S11_S12_S16_S17_S18_S1B_S1C_jS1D_jS1E_S1E_jjS1G_bEUljE0_EEESZ_S10_S11_S18_S1C_S1E_T6_T7_T9_mT8_S1G_bDpT10_ENKUlT_T0_E_clISt17integral_constantIbLb1EES1U_EEDaS1P_S1Q_EUlS1P_E_NS1_11comp_targetILNS1_3genE8ELNS1_11target_archE1030ELNS1_3gpuE2ELNS1_3repE0EEENS1_30default_config_static_selectorELNS0_4arch9wavefront6targetE0EEEvS12_
		.amdhsa_group_segment_fixed_size 0
		.amdhsa_private_segment_fixed_size 0
		.amdhsa_kernarg_size 184
		.amdhsa_user_sgpr_count 2
		.amdhsa_user_sgpr_dispatch_ptr 0
		.amdhsa_user_sgpr_queue_ptr 0
		.amdhsa_user_sgpr_kernarg_segment_ptr 1
		.amdhsa_user_sgpr_dispatch_id 0
		.amdhsa_user_sgpr_kernarg_preload_length 0
		.amdhsa_user_sgpr_kernarg_preload_offset 0
		.amdhsa_user_sgpr_private_segment_size 0
		.amdhsa_wavefront_size32 1
		.amdhsa_uses_dynamic_stack 0
		.amdhsa_enable_private_segment 0
		.amdhsa_system_sgpr_workgroup_id_x 1
		.amdhsa_system_sgpr_workgroup_id_y 0
		.amdhsa_system_sgpr_workgroup_id_z 0
		.amdhsa_system_sgpr_workgroup_info 0
		.amdhsa_system_vgpr_workitem_id 0
		.amdhsa_next_free_vgpr 1
		.amdhsa_next_free_sgpr 1
		.amdhsa_named_barrier_count 0
		.amdhsa_reserve_vcc 0
		.amdhsa_float_round_mode_32 0
		.amdhsa_float_round_mode_16_64 0
		.amdhsa_float_denorm_mode_32 3
		.amdhsa_float_denorm_mode_16_64 3
		.amdhsa_fp16_overflow 0
		.amdhsa_memory_ordered 1
		.amdhsa_forward_progress 1
		.amdhsa_inst_pref_size 0
		.amdhsa_round_robin_scheduling 0
		.amdhsa_exception_fp_ieee_invalid_op 0
		.amdhsa_exception_fp_denorm_src 0
		.amdhsa_exception_fp_ieee_div_zero 0
		.amdhsa_exception_fp_ieee_overflow 0
		.amdhsa_exception_fp_ieee_underflow 0
		.amdhsa_exception_fp_ieee_inexact 0
		.amdhsa_exception_int_div_zero 0
	.end_amdhsa_kernel
	.section	.text._ZN7rocprim17ROCPRIM_400000_NS6detail17trampoline_kernelINS0_13select_configILj256ELj13ELNS0_17block_load_methodE3ELS4_3ELS4_3ELNS0_20block_scan_algorithmE0ELj4294967295EEENS1_25partition_config_selectorILNS1_17partition_subalgoE4EjNS0_10empty_typeEbEEZZNS1_14partition_implILS8_4ELb0ES6_15HIP_vector_typeIjLj2EENS0_17counting_iteratorIjlEEPS9_SG_NS0_5tupleIJPjSI_NS0_16reverse_iteratorISI_EEEEENSH_IJSG_SG_SG_EEES9_SI_JZNS1_25segmented_radix_sort_implINS0_14default_configELb0EPKbPbPKlPlN2at6native12_GLOBAL__N_18offset_tEEE10hipError_tPvRmT1_PNSt15iterator_traitsIS12_E10value_typeET2_T3_PNS13_IS18_E10value_typeET4_jRbjT5_S1E_jjP12ihipStream_tbEUljE_ZNSN_ISO_Lb0ESQ_SR_ST_SU_SY_EESZ_S10_S11_S12_S16_S17_S18_S1B_S1C_jS1D_jS1E_S1E_jjS1G_bEUljE0_EEESZ_S10_S11_S18_S1C_S1E_T6_T7_T9_mT8_S1G_bDpT10_ENKUlT_T0_E_clISt17integral_constantIbLb1EES1U_EEDaS1P_S1Q_EUlS1P_E_NS1_11comp_targetILNS1_3genE8ELNS1_11target_archE1030ELNS1_3gpuE2ELNS1_3repE0EEENS1_30default_config_static_selectorELNS0_4arch9wavefront6targetE0EEEvS12_,"axG",@progbits,_ZN7rocprim17ROCPRIM_400000_NS6detail17trampoline_kernelINS0_13select_configILj256ELj13ELNS0_17block_load_methodE3ELS4_3ELS4_3ELNS0_20block_scan_algorithmE0ELj4294967295EEENS1_25partition_config_selectorILNS1_17partition_subalgoE4EjNS0_10empty_typeEbEEZZNS1_14partition_implILS8_4ELb0ES6_15HIP_vector_typeIjLj2EENS0_17counting_iteratorIjlEEPS9_SG_NS0_5tupleIJPjSI_NS0_16reverse_iteratorISI_EEEEENSH_IJSG_SG_SG_EEES9_SI_JZNS1_25segmented_radix_sort_implINS0_14default_configELb0EPKbPbPKlPlN2at6native12_GLOBAL__N_18offset_tEEE10hipError_tPvRmT1_PNSt15iterator_traitsIS12_E10value_typeET2_T3_PNS13_IS18_E10value_typeET4_jRbjT5_S1E_jjP12ihipStream_tbEUljE_ZNSN_ISO_Lb0ESQ_SR_ST_SU_SY_EESZ_S10_S11_S12_S16_S17_S18_S1B_S1C_jS1D_jS1E_S1E_jjS1G_bEUljE0_EEESZ_S10_S11_S18_S1C_S1E_T6_T7_T9_mT8_S1G_bDpT10_ENKUlT_T0_E_clISt17integral_constantIbLb1EES1U_EEDaS1P_S1Q_EUlS1P_E_NS1_11comp_targetILNS1_3genE8ELNS1_11target_archE1030ELNS1_3gpuE2ELNS1_3repE0EEENS1_30default_config_static_selectorELNS0_4arch9wavefront6targetE0EEEvS12_,comdat
.Lfunc_end1577:
	.size	_ZN7rocprim17ROCPRIM_400000_NS6detail17trampoline_kernelINS0_13select_configILj256ELj13ELNS0_17block_load_methodE3ELS4_3ELS4_3ELNS0_20block_scan_algorithmE0ELj4294967295EEENS1_25partition_config_selectorILNS1_17partition_subalgoE4EjNS0_10empty_typeEbEEZZNS1_14partition_implILS8_4ELb0ES6_15HIP_vector_typeIjLj2EENS0_17counting_iteratorIjlEEPS9_SG_NS0_5tupleIJPjSI_NS0_16reverse_iteratorISI_EEEEENSH_IJSG_SG_SG_EEES9_SI_JZNS1_25segmented_radix_sort_implINS0_14default_configELb0EPKbPbPKlPlN2at6native12_GLOBAL__N_18offset_tEEE10hipError_tPvRmT1_PNSt15iterator_traitsIS12_E10value_typeET2_T3_PNS13_IS18_E10value_typeET4_jRbjT5_S1E_jjP12ihipStream_tbEUljE_ZNSN_ISO_Lb0ESQ_SR_ST_SU_SY_EESZ_S10_S11_S12_S16_S17_S18_S1B_S1C_jS1D_jS1E_S1E_jjS1G_bEUljE0_EEESZ_S10_S11_S18_S1C_S1E_T6_T7_T9_mT8_S1G_bDpT10_ENKUlT_T0_E_clISt17integral_constantIbLb1EES1U_EEDaS1P_S1Q_EUlS1P_E_NS1_11comp_targetILNS1_3genE8ELNS1_11target_archE1030ELNS1_3gpuE2ELNS1_3repE0EEENS1_30default_config_static_selectorELNS0_4arch9wavefront6targetE0EEEvS12_, .Lfunc_end1577-_ZN7rocprim17ROCPRIM_400000_NS6detail17trampoline_kernelINS0_13select_configILj256ELj13ELNS0_17block_load_methodE3ELS4_3ELS4_3ELNS0_20block_scan_algorithmE0ELj4294967295EEENS1_25partition_config_selectorILNS1_17partition_subalgoE4EjNS0_10empty_typeEbEEZZNS1_14partition_implILS8_4ELb0ES6_15HIP_vector_typeIjLj2EENS0_17counting_iteratorIjlEEPS9_SG_NS0_5tupleIJPjSI_NS0_16reverse_iteratorISI_EEEEENSH_IJSG_SG_SG_EEES9_SI_JZNS1_25segmented_radix_sort_implINS0_14default_configELb0EPKbPbPKlPlN2at6native12_GLOBAL__N_18offset_tEEE10hipError_tPvRmT1_PNSt15iterator_traitsIS12_E10value_typeET2_T3_PNS13_IS18_E10value_typeET4_jRbjT5_S1E_jjP12ihipStream_tbEUljE_ZNSN_ISO_Lb0ESQ_SR_ST_SU_SY_EESZ_S10_S11_S12_S16_S17_S18_S1B_S1C_jS1D_jS1E_S1E_jjS1G_bEUljE0_EEESZ_S10_S11_S18_S1C_S1E_T6_T7_T9_mT8_S1G_bDpT10_ENKUlT_T0_E_clISt17integral_constantIbLb1EES1U_EEDaS1P_S1Q_EUlS1P_E_NS1_11comp_targetILNS1_3genE8ELNS1_11target_archE1030ELNS1_3gpuE2ELNS1_3repE0EEENS1_30default_config_static_selectorELNS0_4arch9wavefront6targetE0EEEvS12_
                                        ; -- End function
	.set _ZN7rocprim17ROCPRIM_400000_NS6detail17trampoline_kernelINS0_13select_configILj256ELj13ELNS0_17block_load_methodE3ELS4_3ELS4_3ELNS0_20block_scan_algorithmE0ELj4294967295EEENS1_25partition_config_selectorILNS1_17partition_subalgoE4EjNS0_10empty_typeEbEEZZNS1_14partition_implILS8_4ELb0ES6_15HIP_vector_typeIjLj2EENS0_17counting_iteratorIjlEEPS9_SG_NS0_5tupleIJPjSI_NS0_16reverse_iteratorISI_EEEEENSH_IJSG_SG_SG_EEES9_SI_JZNS1_25segmented_radix_sort_implINS0_14default_configELb0EPKbPbPKlPlN2at6native12_GLOBAL__N_18offset_tEEE10hipError_tPvRmT1_PNSt15iterator_traitsIS12_E10value_typeET2_T3_PNS13_IS18_E10value_typeET4_jRbjT5_S1E_jjP12ihipStream_tbEUljE_ZNSN_ISO_Lb0ESQ_SR_ST_SU_SY_EESZ_S10_S11_S12_S16_S17_S18_S1B_S1C_jS1D_jS1E_S1E_jjS1G_bEUljE0_EEESZ_S10_S11_S18_S1C_S1E_T6_T7_T9_mT8_S1G_bDpT10_ENKUlT_T0_E_clISt17integral_constantIbLb1EES1U_EEDaS1P_S1Q_EUlS1P_E_NS1_11comp_targetILNS1_3genE8ELNS1_11target_archE1030ELNS1_3gpuE2ELNS1_3repE0EEENS1_30default_config_static_selectorELNS0_4arch9wavefront6targetE0EEEvS12_.num_vgpr, 0
	.set _ZN7rocprim17ROCPRIM_400000_NS6detail17trampoline_kernelINS0_13select_configILj256ELj13ELNS0_17block_load_methodE3ELS4_3ELS4_3ELNS0_20block_scan_algorithmE0ELj4294967295EEENS1_25partition_config_selectorILNS1_17partition_subalgoE4EjNS0_10empty_typeEbEEZZNS1_14partition_implILS8_4ELb0ES6_15HIP_vector_typeIjLj2EENS0_17counting_iteratorIjlEEPS9_SG_NS0_5tupleIJPjSI_NS0_16reverse_iteratorISI_EEEEENSH_IJSG_SG_SG_EEES9_SI_JZNS1_25segmented_radix_sort_implINS0_14default_configELb0EPKbPbPKlPlN2at6native12_GLOBAL__N_18offset_tEEE10hipError_tPvRmT1_PNSt15iterator_traitsIS12_E10value_typeET2_T3_PNS13_IS18_E10value_typeET4_jRbjT5_S1E_jjP12ihipStream_tbEUljE_ZNSN_ISO_Lb0ESQ_SR_ST_SU_SY_EESZ_S10_S11_S12_S16_S17_S18_S1B_S1C_jS1D_jS1E_S1E_jjS1G_bEUljE0_EEESZ_S10_S11_S18_S1C_S1E_T6_T7_T9_mT8_S1G_bDpT10_ENKUlT_T0_E_clISt17integral_constantIbLb1EES1U_EEDaS1P_S1Q_EUlS1P_E_NS1_11comp_targetILNS1_3genE8ELNS1_11target_archE1030ELNS1_3gpuE2ELNS1_3repE0EEENS1_30default_config_static_selectorELNS0_4arch9wavefront6targetE0EEEvS12_.num_agpr, 0
	.set _ZN7rocprim17ROCPRIM_400000_NS6detail17trampoline_kernelINS0_13select_configILj256ELj13ELNS0_17block_load_methodE3ELS4_3ELS4_3ELNS0_20block_scan_algorithmE0ELj4294967295EEENS1_25partition_config_selectorILNS1_17partition_subalgoE4EjNS0_10empty_typeEbEEZZNS1_14partition_implILS8_4ELb0ES6_15HIP_vector_typeIjLj2EENS0_17counting_iteratorIjlEEPS9_SG_NS0_5tupleIJPjSI_NS0_16reverse_iteratorISI_EEEEENSH_IJSG_SG_SG_EEES9_SI_JZNS1_25segmented_radix_sort_implINS0_14default_configELb0EPKbPbPKlPlN2at6native12_GLOBAL__N_18offset_tEEE10hipError_tPvRmT1_PNSt15iterator_traitsIS12_E10value_typeET2_T3_PNS13_IS18_E10value_typeET4_jRbjT5_S1E_jjP12ihipStream_tbEUljE_ZNSN_ISO_Lb0ESQ_SR_ST_SU_SY_EESZ_S10_S11_S12_S16_S17_S18_S1B_S1C_jS1D_jS1E_S1E_jjS1G_bEUljE0_EEESZ_S10_S11_S18_S1C_S1E_T6_T7_T9_mT8_S1G_bDpT10_ENKUlT_T0_E_clISt17integral_constantIbLb1EES1U_EEDaS1P_S1Q_EUlS1P_E_NS1_11comp_targetILNS1_3genE8ELNS1_11target_archE1030ELNS1_3gpuE2ELNS1_3repE0EEENS1_30default_config_static_selectorELNS0_4arch9wavefront6targetE0EEEvS12_.numbered_sgpr, 0
	.set _ZN7rocprim17ROCPRIM_400000_NS6detail17trampoline_kernelINS0_13select_configILj256ELj13ELNS0_17block_load_methodE3ELS4_3ELS4_3ELNS0_20block_scan_algorithmE0ELj4294967295EEENS1_25partition_config_selectorILNS1_17partition_subalgoE4EjNS0_10empty_typeEbEEZZNS1_14partition_implILS8_4ELb0ES6_15HIP_vector_typeIjLj2EENS0_17counting_iteratorIjlEEPS9_SG_NS0_5tupleIJPjSI_NS0_16reverse_iteratorISI_EEEEENSH_IJSG_SG_SG_EEES9_SI_JZNS1_25segmented_radix_sort_implINS0_14default_configELb0EPKbPbPKlPlN2at6native12_GLOBAL__N_18offset_tEEE10hipError_tPvRmT1_PNSt15iterator_traitsIS12_E10value_typeET2_T3_PNS13_IS18_E10value_typeET4_jRbjT5_S1E_jjP12ihipStream_tbEUljE_ZNSN_ISO_Lb0ESQ_SR_ST_SU_SY_EESZ_S10_S11_S12_S16_S17_S18_S1B_S1C_jS1D_jS1E_S1E_jjS1G_bEUljE0_EEESZ_S10_S11_S18_S1C_S1E_T6_T7_T9_mT8_S1G_bDpT10_ENKUlT_T0_E_clISt17integral_constantIbLb1EES1U_EEDaS1P_S1Q_EUlS1P_E_NS1_11comp_targetILNS1_3genE8ELNS1_11target_archE1030ELNS1_3gpuE2ELNS1_3repE0EEENS1_30default_config_static_selectorELNS0_4arch9wavefront6targetE0EEEvS12_.num_named_barrier, 0
	.set _ZN7rocprim17ROCPRIM_400000_NS6detail17trampoline_kernelINS0_13select_configILj256ELj13ELNS0_17block_load_methodE3ELS4_3ELS4_3ELNS0_20block_scan_algorithmE0ELj4294967295EEENS1_25partition_config_selectorILNS1_17partition_subalgoE4EjNS0_10empty_typeEbEEZZNS1_14partition_implILS8_4ELb0ES6_15HIP_vector_typeIjLj2EENS0_17counting_iteratorIjlEEPS9_SG_NS0_5tupleIJPjSI_NS0_16reverse_iteratorISI_EEEEENSH_IJSG_SG_SG_EEES9_SI_JZNS1_25segmented_radix_sort_implINS0_14default_configELb0EPKbPbPKlPlN2at6native12_GLOBAL__N_18offset_tEEE10hipError_tPvRmT1_PNSt15iterator_traitsIS12_E10value_typeET2_T3_PNS13_IS18_E10value_typeET4_jRbjT5_S1E_jjP12ihipStream_tbEUljE_ZNSN_ISO_Lb0ESQ_SR_ST_SU_SY_EESZ_S10_S11_S12_S16_S17_S18_S1B_S1C_jS1D_jS1E_S1E_jjS1G_bEUljE0_EEESZ_S10_S11_S18_S1C_S1E_T6_T7_T9_mT8_S1G_bDpT10_ENKUlT_T0_E_clISt17integral_constantIbLb1EES1U_EEDaS1P_S1Q_EUlS1P_E_NS1_11comp_targetILNS1_3genE8ELNS1_11target_archE1030ELNS1_3gpuE2ELNS1_3repE0EEENS1_30default_config_static_selectorELNS0_4arch9wavefront6targetE0EEEvS12_.private_seg_size, 0
	.set _ZN7rocprim17ROCPRIM_400000_NS6detail17trampoline_kernelINS0_13select_configILj256ELj13ELNS0_17block_load_methodE3ELS4_3ELS4_3ELNS0_20block_scan_algorithmE0ELj4294967295EEENS1_25partition_config_selectorILNS1_17partition_subalgoE4EjNS0_10empty_typeEbEEZZNS1_14partition_implILS8_4ELb0ES6_15HIP_vector_typeIjLj2EENS0_17counting_iteratorIjlEEPS9_SG_NS0_5tupleIJPjSI_NS0_16reverse_iteratorISI_EEEEENSH_IJSG_SG_SG_EEES9_SI_JZNS1_25segmented_radix_sort_implINS0_14default_configELb0EPKbPbPKlPlN2at6native12_GLOBAL__N_18offset_tEEE10hipError_tPvRmT1_PNSt15iterator_traitsIS12_E10value_typeET2_T3_PNS13_IS18_E10value_typeET4_jRbjT5_S1E_jjP12ihipStream_tbEUljE_ZNSN_ISO_Lb0ESQ_SR_ST_SU_SY_EESZ_S10_S11_S12_S16_S17_S18_S1B_S1C_jS1D_jS1E_S1E_jjS1G_bEUljE0_EEESZ_S10_S11_S18_S1C_S1E_T6_T7_T9_mT8_S1G_bDpT10_ENKUlT_T0_E_clISt17integral_constantIbLb1EES1U_EEDaS1P_S1Q_EUlS1P_E_NS1_11comp_targetILNS1_3genE8ELNS1_11target_archE1030ELNS1_3gpuE2ELNS1_3repE0EEENS1_30default_config_static_selectorELNS0_4arch9wavefront6targetE0EEEvS12_.uses_vcc, 0
	.set _ZN7rocprim17ROCPRIM_400000_NS6detail17trampoline_kernelINS0_13select_configILj256ELj13ELNS0_17block_load_methodE3ELS4_3ELS4_3ELNS0_20block_scan_algorithmE0ELj4294967295EEENS1_25partition_config_selectorILNS1_17partition_subalgoE4EjNS0_10empty_typeEbEEZZNS1_14partition_implILS8_4ELb0ES6_15HIP_vector_typeIjLj2EENS0_17counting_iteratorIjlEEPS9_SG_NS0_5tupleIJPjSI_NS0_16reverse_iteratorISI_EEEEENSH_IJSG_SG_SG_EEES9_SI_JZNS1_25segmented_radix_sort_implINS0_14default_configELb0EPKbPbPKlPlN2at6native12_GLOBAL__N_18offset_tEEE10hipError_tPvRmT1_PNSt15iterator_traitsIS12_E10value_typeET2_T3_PNS13_IS18_E10value_typeET4_jRbjT5_S1E_jjP12ihipStream_tbEUljE_ZNSN_ISO_Lb0ESQ_SR_ST_SU_SY_EESZ_S10_S11_S12_S16_S17_S18_S1B_S1C_jS1D_jS1E_S1E_jjS1G_bEUljE0_EEESZ_S10_S11_S18_S1C_S1E_T6_T7_T9_mT8_S1G_bDpT10_ENKUlT_T0_E_clISt17integral_constantIbLb1EES1U_EEDaS1P_S1Q_EUlS1P_E_NS1_11comp_targetILNS1_3genE8ELNS1_11target_archE1030ELNS1_3gpuE2ELNS1_3repE0EEENS1_30default_config_static_selectorELNS0_4arch9wavefront6targetE0EEEvS12_.uses_flat_scratch, 0
	.set _ZN7rocprim17ROCPRIM_400000_NS6detail17trampoline_kernelINS0_13select_configILj256ELj13ELNS0_17block_load_methodE3ELS4_3ELS4_3ELNS0_20block_scan_algorithmE0ELj4294967295EEENS1_25partition_config_selectorILNS1_17partition_subalgoE4EjNS0_10empty_typeEbEEZZNS1_14partition_implILS8_4ELb0ES6_15HIP_vector_typeIjLj2EENS0_17counting_iteratorIjlEEPS9_SG_NS0_5tupleIJPjSI_NS0_16reverse_iteratorISI_EEEEENSH_IJSG_SG_SG_EEES9_SI_JZNS1_25segmented_radix_sort_implINS0_14default_configELb0EPKbPbPKlPlN2at6native12_GLOBAL__N_18offset_tEEE10hipError_tPvRmT1_PNSt15iterator_traitsIS12_E10value_typeET2_T3_PNS13_IS18_E10value_typeET4_jRbjT5_S1E_jjP12ihipStream_tbEUljE_ZNSN_ISO_Lb0ESQ_SR_ST_SU_SY_EESZ_S10_S11_S12_S16_S17_S18_S1B_S1C_jS1D_jS1E_S1E_jjS1G_bEUljE0_EEESZ_S10_S11_S18_S1C_S1E_T6_T7_T9_mT8_S1G_bDpT10_ENKUlT_T0_E_clISt17integral_constantIbLb1EES1U_EEDaS1P_S1Q_EUlS1P_E_NS1_11comp_targetILNS1_3genE8ELNS1_11target_archE1030ELNS1_3gpuE2ELNS1_3repE0EEENS1_30default_config_static_selectorELNS0_4arch9wavefront6targetE0EEEvS12_.has_dyn_sized_stack, 0
	.set _ZN7rocprim17ROCPRIM_400000_NS6detail17trampoline_kernelINS0_13select_configILj256ELj13ELNS0_17block_load_methodE3ELS4_3ELS4_3ELNS0_20block_scan_algorithmE0ELj4294967295EEENS1_25partition_config_selectorILNS1_17partition_subalgoE4EjNS0_10empty_typeEbEEZZNS1_14partition_implILS8_4ELb0ES6_15HIP_vector_typeIjLj2EENS0_17counting_iteratorIjlEEPS9_SG_NS0_5tupleIJPjSI_NS0_16reverse_iteratorISI_EEEEENSH_IJSG_SG_SG_EEES9_SI_JZNS1_25segmented_radix_sort_implINS0_14default_configELb0EPKbPbPKlPlN2at6native12_GLOBAL__N_18offset_tEEE10hipError_tPvRmT1_PNSt15iterator_traitsIS12_E10value_typeET2_T3_PNS13_IS18_E10value_typeET4_jRbjT5_S1E_jjP12ihipStream_tbEUljE_ZNSN_ISO_Lb0ESQ_SR_ST_SU_SY_EESZ_S10_S11_S12_S16_S17_S18_S1B_S1C_jS1D_jS1E_S1E_jjS1G_bEUljE0_EEESZ_S10_S11_S18_S1C_S1E_T6_T7_T9_mT8_S1G_bDpT10_ENKUlT_T0_E_clISt17integral_constantIbLb1EES1U_EEDaS1P_S1Q_EUlS1P_E_NS1_11comp_targetILNS1_3genE8ELNS1_11target_archE1030ELNS1_3gpuE2ELNS1_3repE0EEENS1_30default_config_static_selectorELNS0_4arch9wavefront6targetE0EEEvS12_.has_recursion, 0
	.set _ZN7rocprim17ROCPRIM_400000_NS6detail17trampoline_kernelINS0_13select_configILj256ELj13ELNS0_17block_load_methodE3ELS4_3ELS4_3ELNS0_20block_scan_algorithmE0ELj4294967295EEENS1_25partition_config_selectorILNS1_17partition_subalgoE4EjNS0_10empty_typeEbEEZZNS1_14partition_implILS8_4ELb0ES6_15HIP_vector_typeIjLj2EENS0_17counting_iteratorIjlEEPS9_SG_NS0_5tupleIJPjSI_NS0_16reverse_iteratorISI_EEEEENSH_IJSG_SG_SG_EEES9_SI_JZNS1_25segmented_radix_sort_implINS0_14default_configELb0EPKbPbPKlPlN2at6native12_GLOBAL__N_18offset_tEEE10hipError_tPvRmT1_PNSt15iterator_traitsIS12_E10value_typeET2_T3_PNS13_IS18_E10value_typeET4_jRbjT5_S1E_jjP12ihipStream_tbEUljE_ZNSN_ISO_Lb0ESQ_SR_ST_SU_SY_EESZ_S10_S11_S12_S16_S17_S18_S1B_S1C_jS1D_jS1E_S1E_jjS1G_bEUljE0_EEESZ_S10_S11_S18_S1C_S1E_T6_T7_T9_mT8_S1G_bDpT10_ENKUlT_T0_E_clISt17integral_constantIbLb1EES1U_EEDaS1P_S1Q_EUlS1P_E_NS1_11comp_targetILNS1_3genE8ELNS1_11target_archE1030ELNS1_3gpuE2ELNS1_3repE0EEENS1_30default_config_static_selectorELNS0_4arch9wavefront6targetE0EEEvS12_.has_indirect_call, 0
	.section	.AMDGPU.csdata,"",@progbits
; Kernel info:
; codeLenInByte = 0
; TotalNumSgprs: 0
; NumVgprs: 0
; ScratchSize: 0
; MemoryBound: 0
; FloatMode: 240
; IeeeMode: 1
; LDSByteSize: 0 bytes/workgroup (compile time only)
; SGPRBlocks: 0
; VGPRBlocks: 0
; NumSGPRsForWavesPerEU: 1
; NumVGPRsForWavesPerEU: 1
; NamedBarCnt: 0
; Occupancy: 16
; WaveLimiterHint : 0
; COMPUTE_PGM_RSRC2:SCRATCH_EN: 0
; COMPUTE_PGM_RSRC2:USER_SGPR: 2
; COMPUTE_PGM_RSRC2:TRAP_HANDLER: 0
; COMPUTE_PGM_RSRC2:TGID_X_EN: 1
; COMPUTE_PGM_RSRC2:TGID_Y_EN: 0
; COMPUTE_PGM_RSRC2:TGID_Z_EN: 0
; COMPUTE_PGM_RSRC2:TIDIG_COMP_CNT: 0
	.section	.text._ZN7rocprim17ROCPRIM_400000_NS6detail17trampoline_kernelINS0_13select_configILj256ELj13ELNS0_17block_load_methodE3ELS4_3ELS4_3ELNS0_20block_scan_algorithmE0ELj4294967295EEENS1_25partition_config_selectorILNS1_17partition_subalgoE4EjNS0_10empty_typeEbEEZZNS1_14partition_implILS8_4ELb0ES6_15HIP_vector_typeIjLj2EENS0_17counting_iteratorIjlEEPS9_SG_NS0_5tupleIJPjSI_NS0_16reverse_iteratorISI_EEEEENSH_IJSG_SG_SG_EEES9_SI_JZNS1_25segmented_radix_sort_implINS0_14default_configELb0EPKbPbPKlPlN2at6native12_GLOBAL__N_18offset_tEEE10hipError_tPvRmT1_PNSt15iterator_traitsIS12_E10value_typeET2_T3_PNS13_IS18_E10value_typeET4_jRbjT5_S1E_jjP12ihipStream_tbEUljE_ZNSN_ISO_Lb0ESQ_SR_ST_SU_SY_EESZ_S10_S11_S12_S16_S17_S18_S1B_S1C_jS1D_jS1E_S1E_jjS1G_bEUljE0_EEESZ_S10_S11_S18_S1C_S1E_T6_T7_T9_mT8_S1G_bDpT10_ENKUlT_T0_E_clISt17integral_constantIbLb1EES1T_IbLb0EEEEDaS1P_S1Q_EUlS1P_E_NS1_11comp_targetILNS1_3genE0ELNS1_11target_archE4294967295ELNS1_3gpuE0ELNS1_3repE0EEENS1_30default_config_static_selectorELNS0_4arch9wavefront6targetE0EEEvS12_,"axG",@progbits,_ZN7rocprim17ROCPRIM_400000_NS6detail17trampoline_kernelINS0_13select_configILj256ELj13ELNS0_17block_load_methodE3ELS4_3ELS4_3ELNS0_20block_scan_algorithmE0ELj4294967295EEENS1_25partition_config_selectorILNS1_17partition_subalgoE4EjNS0_10empty_typeEbEEZZNS1_14partition_implILS8_4ELb0ES6_15HIP_vector_typeIjLj2EENS0_17counting_iteratorIjlEEPS9_SG_NS0_5tupleIJPjSI_NS0_16reverse_iteratorISI_EEEEENSH_IJSG_SG_SG_EEES9_SI_JZNS1_25segmented_radix_sort_implINS0_14default_configELb0EPKbPbPKlPlN2at6native12_GLOBAL__N_18offset_tEEE10hipError_tPvRmT1_PNSt15iterator_traitsIS12_E10value_typeET2_T3_PNS13_IS18_E10value_typeET4_jRbjT5_S1E_jjP12ihipStream_tbEUljE_ZNSN_ISO_Lb0ESQ_SR_ST_SU_SY_EESZ_S10_S11_S12_S16_S17_S18_S1B_S1C_jS1D_jS1E_S1E_jjS1G_bEUljE0_EEESZ_S10_S11_S18_S1C_S1E_T6_T7_T9_mT8_S1G_bDpT10_ENKUlT_T0_E_clISt17integral_constantIbLb1EES1T_IbLb0EEEEDaS1P_S1Q_EUlS1P_E_NS1_11comp_targetILNS1_3genE0ELNS1_11target_archE4294967295ELNS1_3gpuE0ELNS1_3repE0EEENS1_30default_config_static_selectorELNS0_4arch9wavefront6targetE0EEEvS12_,comdat
	.globl	_ZN7rocprim17ROCPRIM_400000_NS6detail17trampoline_kernelINS0_13select_configILj256ELj13ELNS0_17block_load_methodE3ELS4_3ELS4_3ELNS0_20block_scan_algorithmE0ELj4294967295EEENS1_25partition_config_selectorILNS1_17partition_subalgoE4EjNS0_10empty_typeEbEEZZNS1_14partition_implILS8_4ELb0ES6_15HIP_vector_typeIjLj2EENS0_17counting_iteratorIjlEEPS9_SG_NS0_5tupleIJPjSI_NS0_16reverse_iteratorISI_EEEEENSH_IJSG_SG_SG_EEES9_SI_JZNS1_25segmented_radix_sort_implINS0_14default_configELb0EPKbPbPKlPlN2at6native12_GLOBAL__N_18offset_tEEE10hipError_tPvRmT1_PNSt15iterator_traitsIS12_E10value_typeET2_T3_PNS13_IS18_E10value_typeET4_jRbjT5_S1E_jjP12ihipStream_tbEUljE_ZNSN_ISO_Lb0ESQ_SR_ST_SU_SY_EESZ_S10_S11_S12_S16_S17_S18_S1B_S1C_jS1D_jS1E_S1E_jjS1G_bEUljE0_EEESZ_S10_S11_S18_S1C_S1E_T6_T7_T9_mT8_S1G_bDpT10_ENKUlT_T0_E_clISt17integral_constantIbLb1EES1T_IbLb0EEEEDaS1P_S1Q_EUlS1P_E_NS1_11comp_targetILNS1_3genE0ELNS1_11target_archE4294967295ELNS1_3gpuE0ELNS1_3repE0EEENS1_30default_config_static_selectorELNS0_4arch9wavefront6targetE0EEEvS12_ ; -- Begin function _ZN7rocprim17ROCPRIM_400000_NS6detail17trampoline_kernelINS0_13select_configILj256ELj13ELNS0_17block_load_methodE3ELS4_3ELS4_3ELNS0_20block_scan_algorithmE0ELj4294967295EEENS1_25partition_config_selectorILNS1_17partition_subalgoE4EjNS0_10empty_typeEbEEZZNS1_14partition_implILS8_4ELb0ES6_15HIP_vector_typeIjLj2EENS0_17counting_iteratorIjlEEPS9_SG_NS0_5tupleIJPjSI_NS0_16reverse_iteratorISI_EEEEENSH_IJSG_SG_SG_EEES9_SI_JZNS1_25segmented_radix_sort_implINS0_14default_configELb0EPKbPbPKlPlN2at6native12_GLOBAL__N_18offset_tEEE10hipError_tPvRmT1_PNSt15iterator_traitsIS12_E10value_typeET2_T3_PNS13_IS18_E10value_typeET4_jRbjT5_S1E_jjP12ihipStream_tbEUljE_ZNSN_ISO_Lb0ESQ_SR_ST_SU_SY_EESZ_S10_S11_S12_S16_S17_S18_S1B_S1C_jS1D_jS1E_S1E_jjS1G_bEUljE0_EEESZ_S10_S11_S18_S1C_S1E_T6_T7_T9_mT8_S1G_bDpT10_ENKUlT_T0_E_clISt17integral_constantIbLb1EES1T_IbLb0EEEEDaS1P_S1Q_EUlS1P_E_NS1_11comp_targetILNS1_3genE0ELNS1_11target_archE4294967295ELNS1_3gpuE0ELNS1_3repE0EEENS1_30default_config_static_selectorELNS0_4arch9wavefront6targetE0EEEvS12_
	.p2align	8
	.type	_ZN7rocprim17ROCPRIM_400000_NS6detail17trampoline_kernelINS0_13select_configILj256ELj13ELNS0_17block_load_methodE3ELS4_3ELS4_3ELNS0_20block_scan_algorithmE0ELj4294967295EEENS1_25partition_config_selectorILNS1_17partition_subalgoE4EjNS0_10empty_typeEbEEZZNS1_14partition_implILS8_4ELb0ES6_15HIP_vector_typeIjLj2EENS0_17counting_iteratorIjlEEPS9_SG_NS0_5tupleIJPjSI_NS0_16reverse_iteratorISI_EEEEENSH_IJSG_SG_SG_EEES9_SI_JZNS1_25segmented_radix_sort_implINS0_14default_configELb0EPKbPbPKlPlN2at6native12_GLOBAL__N_18offset_tEEE10hipError_tPvRmT1_PNSt15iterator_traitsIS12_E10value_typeET2_T3_PNS13_IS18_E10value_typeET4_jRbjT5_S1E_jjP12ihipStream_tbEUljE_ZNSN_ISO_Lb0ESQ_SR_ST_SU_SY_EESZ_S10_S11_S12_S16_S17_S18_S1B_S1C_jS1D_jS1E_S1E_jjS1G_bEUljE0_EEESZ_S10_S11_S18_S1C_S1E_T6_T7_T9_mT8_S1G_bDpT10_ENKUlT_T0_E_clISt17integral_constantIbLb1EES1T_IbLb0EEEEDaS1P_S1Q_EUlS1P_E_NS1_11comp_targetILNS1_3genE0ELNS1_11target_archE4294967295ELNS1_3gpuE0ELNS1_3repE0EEENS1_30default_config_static_selectorELNS0_4arch9wavefront6targetE0EEEvS12_,@function
_ZN7rocprim17ROCPRIM_400000_NS6detail17trampoline_kernelINS0_13select_configILj256ELj13ELNS0_17block_load_methodE3ELS4_3ELS4_3ELNS0_20block_scan_algorithmE0ELj4294967295EEENS1_25partition_config_selectorILNS1_17partition_subalgoE4EjNS0_10empty_typeEbEEZZNS1_14partition_implILS8_4ELb0ES6_15HIP_vector_typeIjLj2EENS0_17counting_iteratorIjlEEPS9_SG_NS0_5tupleIJPjSI_NS0_16reverse_iteratorISI_EEEEENSH_IJSG_SG_SG_EEES9_SI_JZNS1_25segmented_radix_sort_implINS0_14default_configELb0EPKbPbPKlPlN2at6native12_GLOBAL__N_18offset_tEEE10hipError_tPvRmT1_PNSt15iterator_traitsIS12_E10value_typeET2_T3_PNS13_IS18_E10value_typeET4_jRbjT5_S1E_jjP12ihipStream_tbEUljE_ZNSN_ISO_Lb0ESQ_SR_ST_SU_SY_EESZ_S10_S11_S12_S16_S17_S18_S1B_S1C_jS1D_jS1E_S1E_jjS1G_bEUljE0_EEESZ_S10_S11_S18_S1C_S1E_T6_T7_T9_mT8_S1G_bDpT10_ENKUlT_T0_E_clISt17integral_constantIbLb1EES1T_IbLb0EEEEDaS1P_S1Q_EUlS1P_E_NS1_11comp_targetILNS1_3genE0ELNS1_11target_archE4294967295ELNS1_3gpuE0ELNS1_3repE0EEENS1_30default_config_static_selectorELNS0_4arch9wavefront6targetE0EEEvS12_: ; @_ZN7rocprim17ROCPRIM_400000_NS6detail17trampoline_kernelINS0_13select_configILj256ELj13ELNS0_17block_load_methodE3ELS4_3ELS4_3ELNS0_20block_scan_algorithmE0ELj4294967295EEENS1_25partition_config_selectorILNS1_17partition_subalgoE4EjNS0_10empty_typeEbEEZZNS1_14partition_implILS8_4ELb0ES6_15HIP_vector_typeIjLj2EENS0_17counting_iteratorIjlEEPS9_SG_NS0_5tupleIJPjSI_NS0_16reverse_iteratorISI_EEEEENSH_IJSG_SG_SG_EEES9_SI_JZNS1_25segmented_radix_sort_implINS0_14default_configELb0EPKbPbPKlPlN2at6native12_GLOBAL__N_18offset_tEEE10hipError_tPvRmT1_PNSt15iterator_traitsIS12_E10value_typeET2_T3_PNS13_IS18_E10value_typeET4_jRbjT5_S1E_jjP12ihipStream_tbEUljE_ZNSN_ISO_Lb0ESQ_SR_ST_SU_SY_EESZ_S10_S11_S12_S16_S17_S18_S1B_S1C_jS1D_jS1E_S1E_jjS1G_bEUljE0_EEESZ_S10_S11_S18_S1C_S1E_T6_T7_T9_mT8_S1G_bDpT10_ENKUlT_T0_E_clISt17integral_constantIbLb1EES1T_IbLb0EEEEDaS1P_S1Q_EUlS1P_E_NS1_11comp_targetILNS1_3genE0ELNS1_11target_archE4294967295ELNS1_3gpuE0ELNS1_3repE0EEENS1_30default_config_static_selectorELNS0_4arch9wavefront6targetE0EEEvS12_
; %bb.0:
	s_endpgm
	.section	.rodata,"a",@progbits
	.p2align	6, 0x0
	.amdhsa_kernel _ZN7rocprim17ROCPRIM_400000_NS6detail17trampoline_kernelINS0_13select_configILj256ELj13ELNS0_17block_load_methodE3ELS4_3ELS4_3ELNS0_20block_scan_algorithmE0ELj4294967295EEENS1_25partition_config_selectorILNS1_17partition_subalgoE4EjNS0_10empty_typeEbEEZZNS1_14partition_implILS8_4ELb0ES6_15HIP_vector_typeIjLj2EENS0_17counting_iteratorIjlEEPS9_SG_NS0_5tupleIJPjSI_NS0_16reverse_iteratorISI_EEEEENSH_IJSG_SG_SG_EEES9_SI_JZNS1_25segmented_radix_sort_implINS0_14default_configELb0EPKbPbPKlPlN2at6native12_GLOBAL__N_18offset_tEEE10hipError_tPvRmT1_PNSt15iterator_traitsIS12_E10value_typeET2_T3_PNS13_IS18_E10value_typeET4_jRbjT5_S1E_jjP12ihipStream_tbEUljE_ZNSN_ISO_Lb0ESQ_SR_ST_SU_SY_EESZ_S10_S11_S12_S16_S17_S18_S1B_S1C_jS1D_jS1E_S1E_jjS1G_bEUljE0_EEESZ_S10_S11_S18_S1C_S1E_T6_T7_T9_mT8_S1G_bDpT10_ENKUlT_T0_E_clISt17integral_constantIbLb1EES1T_IbLb0EEEEDaS1P_S1Q_EUlS1P_E_NS1_11comp_targetILNS1_3genE0ELNS1_11target_archE4294967295ELNS1_3gpuE0ELNS1_3repE0EEENS1_30default_config_static_selectorELNS0_4arch9wavefront6targetE0EEEvS12_
		.amdhsa_group_segment_fixed_size 0
		.amdhsa_private_segment_fixed_size 0
		.amdhsa_kernarg_size 176
		.amdhsa_user_sgpr_count 2
		.amdhsa_user_sgpr_dispatch_ptr 0
		.amdhsa_user_sgpr_queue_ptr 0
		.amdhsa_user_sgpr_kernarg_segment_ptr 1
		.amdhsa_user_sgpr_dispatch_id 0
		.amdhsa_user_sgpr_kernarg_preload_length 0
		.amdhsa_user_sgpr_kernarg_preload_offset 0
		.amdhsa_user_sgpr_private_segment_size 0
		.amdhsa_wavefront_size32 1
		.amdhsa_uses_dynamic_stack 0
		.amdhsa_enable_private_segment 0
		.amdhsa_system_sgpr_workgroup_id_x 1
		.amdhsa_system_sgpr_workgroup_id_y 0
		.amdhsa_system_sgpr_workgroup_id_z 0
		.amdhsa_system_sgpr_workgroup_info 0
		.amdhsa_system_vgpr_workitem_id 0
		.amdhsa_next_free_vgpr 1
		.amdhsa_next_free_sgpr 1
		.amdhsa_named_barrier_count 0
		.amdhsa_reserve_vcc 0
		.amdhsa_float_round_mode_32 0
		.amdhsa_float_round_mode_16_64 0
		.amdhsa_float_denorm_mode_32 3
		.amdhsa_float_denorm_mode_16_64 3
		.amdhsa_fp16_overflow 0
		.amdhsa_memory_ordered 1
		.amdhsa_forward_progress 1
		.amdhsa_inst_pref_size 1
		.amdhsa_round_robin_scheduling 0
		.amdhsa_exception_fp_ieee_invalid_op 0
		.amdhsa_exception_fp_denorm_src 0
		.amdhsa_exception_fp_ieee_div_zero 0
		.amdhsa_exception_fp_ieee_overflow 0
		.amdhsa_exception_fp_ieee_underflow 0
		.amdhsa_exception_fp_ieee_inexact 0
		.amdhsa_exception_int_div_zero 0
	.end_amdhsa_kernel
	.section	.text._ZN7rocprim17ROCPRIM_400000_NS6detail17trampoline_kernelINS0_13select_configILj256ELj13ELNS0_17block_load_methodE3ELS4_3ELS4_3ELNS0_20block_scan_algorithmE0ELj4294967295EEENS1_25partition_config_selectorILNS1_17partition_subalgoE4EjNS0_10empty_typeEbEEZZNS1_14partition_implILS8_4ELb0ES6_15HIP_vector_typeIjLj2EENS0_17counting_iteratorIjlEEPS9_SG_NS0_5tupleIJPjSI_NS0_16reverse_iteratorISI_EEEEENSH_IJSG_SG_SG_EEES9_SI_JZNS1_25segmented_radix_sort_implINS0_14default_configELb0EPKbPbPKlPlN2at6native12_GLOBAL__N_18offset_tEEE10hipError_tPvRmT1_PNSt15iterator_traitsIS12_E10value_typeET2_T3_PNS13_IS18_E10value_typeET4_jRbjT5_S1E_jjP12ihipStream_tbEUljE_ZNSN_ISO_Lb0ESQ_SR_ST_SU_SY_EESZ_S10_S11_S12_S16_S17_S18_S1B_S1C_jS1D_jS1E_S1E_jjS1G_bEUljE0_EEESZ_S10_S11_S18_S1C_S1E_T6_T7_T9_mT8_S1G_bDpT10_ENKUlT_T0_E_clISt17integral_constantIbLb1EES1T_IbLb0EEEEDaS1P_S1Q_EUlS1P_E_NS1_11comp_targetILNS1_3genE0ELNS1_11target_archE4294967295ELNS1_3gpuE0ELNS1_3repE0EEENS1_30default_config_static_selectorELNS0_4arch9wavefront6targetE0EEEvS12_,"axG",@progbits,_ZN7rocprim17ROCPRIM_400000_NS6detail17trampoline_kernelINS0_13select_configILj256ELj13ELNS0_17block_load_methodE3ELS4_3ELS4_3ELNS0_20block_scan_algorithmE0ELj4294967295EEENS1_25partition_config_selectorILNS1_17partition_subalgoE4EjNS0_10empty_typeEbEEZZNS1_14partition_implILS8_4ELb0ES6_15HIP_vector_typeIjLj2EENS0_17counting_iteratorIjlEEPS9_SG_NS0_5tupleIJPjSI_NS0_16reverse_iteratorISI_EEEEENSH_IJSG_SG_SG_EEES9_SI_JZNS1_25segmented_radix_sort_implINS0_14default_configELb0EPKbPbPKlPlN2at6native12_GLOBAL__N_18offset_tEEE10hipError_tPvRmT1_PNSt15iterator_traitsIS12_E10value_typeET2_T3_PNS13_IS18_E10value_typeET4_jRbjT5_S1E_jjP12ihipStream_tbEUljE_ZNSN_ISO_Lb0ESQ_SR_ST_SU_SY_EESZ_S10_S11_S12_S16_S17_S18_S1B_S1C_jS1D_jS1E_S1E_jjS1G_bEUljE0_EEESZ_S10_S11_S18_S1C_S1E_T6_T7_T9_mT8_S1G_bDpT10_ENKUlT_T0_E_clISt17integral_constantIbLb1EES1T_IbLb0EEEEDaS1P_S1Q_EUlS1P_E_NS1_11comp_targetILNS1_3genE0ELNS1_11target_archE4294967295ELNS1_3gpuE0ELNS1_3repE0EEENS1_30default_config_static_selectorELNS0_4arch9wavefront6targetE0EEEvS12_,comdat
.Lfunc_end1578:
	.size	_ZN7rocprim17ROCPRIM_400000_NS6detail17trampoline_kernelINS0_13select_configILj256ELj13ELNS0_17block_load_methodE3ELS4_3ELS4_3ELNS0_20block_scan_algorithmE0ELj4294967295EEENS1_25partition_config_selectorILNS1_17partition_subalgoE4EjNS0_10empty_typeEbEEZZNS1_14partition_implILS8_4ELb0ES6_15HIP_vector_typeIjLj2EENS0_17counting_iteratorIjlEEPS9_SG_NS0_5tupleIJPjSI_NS0_16reverse_iteratorISI_EEEEENSH_IJSG_SG_SG_EEES9_SI_JZNS1_25segmented_radix_sort_implINS0_14default_configELb0EPKbPbPKlPlN2at6native12_GLOBAL__N_18offset_tEEE10hipError_tPvRmT1_PNSt15iterator_traitsIS12_E10value_typeET2_T3_PNS13_IS18_E10value_typeET4_jRbjT5_S1E_jjP12ihipStream_tbEUljE_ZNSN_ISO_Lb0ESQ_SR_ST_SU_SY_EESZ_S10_S11_S12_S16_S17_S18_S1B_S1C_jS1D_jS1E_S1E_jjS1G_bEUljE0_EEESZ_S10_S11_S18_S1C_S1E_T6_T7_T9_mT8_S1G_bDpT10_ENKUlT_T0_E_clISt17integral_constantIbLb1EES1T_IbLb0EEEEDaS1P_S1Q_EUlS1P_E_NS1_11comp_targetILNS1_3genE0ELNS1_11target_archE4294967295ELNS1_3gpuE0ELNS1_3repE0EEENS1_30default_config_static_selectorELNS0_4arch9wavefront6targetE0EEEvS12_, .Lfunc_end1578-_ZN7rocprim17ROCPRIM_400000_NS6detail17trampoline_kernelINS0_13select_configILj256ELj13ELNS0_17block_load_methodE3ELS4_3ELS4_3ELNS0_20block_scan_algorithmE0ELj4294967295EEENS1_25partition_config_selectorILNS1_17partition_subalgoE4EjNS0_10empty_typeEbEEZZNS1_14partition_implILS8_4ELb0ES6_15HIP_vector_typeIjLj2EENS0_17counting_iteratorIjlEEPS9_SG_NS0_5tupleIJPjSI_NS0_16reverse_iteratorISI_EEEEENSH_IJSG_SG_SG_EEES9_SI_JZNS1_25segmented_radix_sort_implINS0_14default_configELb0EPKbPbPKlPlN2at6native12_GLOBAL__N_18offset_tEEE10hipError_tPvRmT1_PNSt15iterator_traitsIS12_E10value_typeET2_T3_PNS13_IS18_E10value_typeET4_jRbjT5_S1E_jjP12ihipStream_tbEUljE_ZNSN_ISO_Lb0ESQ_SR_ST_SU_SY_EESZ_S10_S11_S12_S16_S17_S18_S1B_S1C_jS1D_jS1E_S1E_jjS1G_bEUljE0_EEESZ_S10_S11_S18_S1C_S1E_T6_T7_T9_mT8_S1G_bDpT10_ENKUlT_T0_E_clISt17integral_constantIbLb1EES1T_IbLb0EEEEDaS1P_S1Q_EUlS1P_E_NS1_11comp_targetILNS1_3genE0ELNS1_11target_archE4294967295ELNS1_3gpuE0ELNS1_3repE0EEENS1_30default_config_static_selectorELNS0_4arch9wavefront6targetE0EEEvS12_
                                        ; -- End function
	.set _ZN7rocprim17ROCPRIM_400000_NS6detail17trampoline_kernelINS0_13select_configILj256ELj13ELNS0_17block_load_methodE3ELS4_3ELS4_3ELNS0_20block_scan_algorithmE0ELj4294967295EEENS1_25partition_config_selectorILNS1_17partition_subalgoE4EjNS0_10empty_typeEbEEZZNS1_14partition_implILS8_4ELb0ES6_15HIP_vector_typeIjLj2EENS0_17counting_iteratorIjlEEPS9_SG_NS0_5tupleIJPjSI_NS0_16reverse_iteratorISI_EEEEENSH_IJSG_SG_SG_EEES9_SI_JZNS1_25segmented_radix_sort_implINS0_14default_configELb0EPKbPbPKlPlN2at6native12_GLOBAL__N_18offset_tEEE10hipError_tPvRmT1_PNSt15iterator_traitsIS12_E10value_typeET2_T3_PNS13_IS18_E10value_typeET4_jRbjT5_S1E_jjP12ihipStream_tbEUljE_ZNSN_ISO_Lb0ESQ_SR_ST_SU_SY_EESZ_S10_S11_S12_S16_S17_S18_S1B_S1C_jS1D_jS1E_S1E_jjS1G_bEUljE0_EEESZ_S10_S11_S18_S1C_S1E_T6_T7_T9_mT8_S1G_bDpT10_ENKUlT_T0_E_clISt17integral_constantIbLb1EES1T_IbLb0EEEEDaS1P_S1Q_EUlS1P_E_NS1_11comp_targetILNS1_3genE0ELNS1_11target_archE4294967295ELNS1_3gpuE0ELNS1_3repE0EEENS1_30default_config_static_selectorELNS0_4arch9wavefront6targetE0EEEvS12_.num_vgpr, 0
	.set _ZN7rocprim17ROCPRIM_400000_NS6detail17trampoline_kernelINS0_13select_configILj256ELj13ELNS0_17block_load_methodE3ELS4_3ELS4_3ELNS0_20block_scan_algorithmE0ELj4294967295EEENS1_25partition_config_selectorILNS1_17partition_subalgoE4EjNS0_10empty_typeEbEEZZNS1_14partition_implILS8_4ELb0ES6_15HIP_vector_typeIjLj2EENS0_17counting_iteratorIjlEEPS9_SG_NS0_5tupleIJPjSI_NS0_16reverse_iteratorISI_EEEEENSH_IJSG_SG_SG_EEES9_SI_JZNS1_25segmented_radix_sort_implINS0_14default_configELb0EPKbPbPKlPlN2at6native12_GLOBAL__N_18offset_tEEE10hipError_tPvRmT1_PNSt15iterator_traitsIS12_E10value_typeET2_T3_PNS13_IS18_E10value_typeET4_jRbjT5_S1E_jjP12ihipStream_tbEUljE_ZNSN_ISO_Lb0ESQ_SR_ST_SU_SY_EESZ_S10_S11_S12_S16_S17_S18_S1B_S1C_jS1D_jS1E_S1E_jjS1G_bEUljE0_EEESZ_S10_S11_S18_S1C_S1E_T6_T7_T9_mT8_S1G_bDpT10_ENKUlT_T0_E_clISt17integral_constantIbLb1EES1T_IbLb0EEEEDaS1P_S1Q_EUlS1P_E_NS1_11comp_targetILNS1_3genE0ELNS1_11target_archE4294967295ELNS1_3gpuE0ELNS1_3repE0EEENS1_30default_config_static_selectorELNS0_4arch9wavefront6targetE0EEEvS12_.num_agpr, 0
	.set _ZN7rocprim17ROCPRIM_400000_NS6detail17trampoline_kernelINS0_13select_configILj256ELj13ELNS0_17block_load_methodE3ELS4_3ELS4_3ELNS0_20block_scan_algorithmE0ELj4294967295EEENS1_25partition_config_selectorILNS1_17partition_subalgoE4EjNS0_10empty_typeEbEEZZNS1_14partition_implILS8_4ELb0ES6_15HIP_vector_typeIjLj2EENS0_17counting_iteratorIjlEEPS9_SG_NS0_5tupleIJPjSI_NS0_16reverse_iteratorISI_EEEEENSH_IJSG_SG_SG_EEES9_SI_JZNS1_25segmented_radix_sort_implINS0_14default_configELb0EPKbPbPKlPlN2at6native12_GLOBAL__N_18offset_tEEE10hipError_tPvRmT1_PNSt15iterator_traitsIS12_E10value_typeET2_T3_PNS13_IS18_E10value_typeET4_jRbjT5_S1E_jjP12ihipStream_tbEUljE_ZNSN_ISO_Lb0ESQ_SR_ST_SU_SY_EESZ_S10_S11_S12_S16_S17_S18_S1B_S1C_jS1D_jS1E_S1E_jjS1G_bEUljE0_EEESZ_S10_S11_S18_S1C_S1E_T6_T7_T9_mT8_S1G_bDpT10_ENKUlT_T0_E_clISt17integral_constantIbLb1EES1T_IbLb0EEEEDaS1P_S1Q_EUlS1P_E_NS1_11comp_targetILNS1_3genE0ELNS1_11target_archE4294967295ELNS1_3gpuE0ELNS1_3repE0EEENS1_30default_config_static_selectorELNS0_4arch9wavefront6targetE0EEEvS12_.numbered_sgpr, 0
	.set _ZN7rocprim17ROCPRIM_400000_NS6detail17trampoline_kernelINS0_13select_configILj256ELj13ELNS0_17block_load_methodE3ELS4_3ELS4_3ELNS0_20block_scan_algorithmE0ELj4294967295EEENS1_25partition_config_selectorILNS1_17partition_subalgoE4EjNS0_10empty_typeEbEEZZNS1_14partition_implILS8_4ELb0ES6_15HIP_vector_typeIjLj2EENS0_17counting_iteratorIjlEEPS9_SG_NS0_5tupleIJPjSI_NS0_16reverse_iteratorISI_EEEEENSH_IJSG_SG_SG_EEES9_SI_JZNS1_25segmented_radix_sort_implINS0_14default_configELb0EPKbPbPKlPlN2at6native12_GLOBAL__N_18offset_tEEE10hipError_tPvRmT1_PNSt15iterator_traitsIS12_E10value_typeET2_T3_PNS13_IS18_E10value_typeET4_jRbjT5_S1E_jjP12ihipStream_tbEUljE_ZNSN_ISO_Lb0ESQ_SR_ST_SU_SY_EESZ_S10_S11_S12_S16_S17_S18_S1B_S1C_jS1D_jS1E_S1E_jjS1G_bEUljE0_EEESZ_S10_S11_S18_S1C_S1E_T6_T7_T9_mT8_S1G_bDpT10_ENKUlT_T0_E_clISt17integral_constantIbLb1EES1T_IbLb0EEEEDaS1P_S1Q_EUlS1P_E_NS1_11comp_targetILNS1_3genE0ELNS1_11target_archE4294967295ELNS1_3gpuE0ELNS1_3repE0EEENS1_30default_config_static_selectorELNS0_4arch9wavefront6targetE0EEEvS12_.num_named_barrier, 0
	.set _ZN7rocprim17ROCPRIM_400000_NS6detail17trampoline_kernelINS0_13select_configILj256ELj13ELNS0_17block_load_methodE3ELS4_3ELS4_3ELNS0_20block_scan_algorithmE0ELj4294967295EEENS1_25partition_config_selectorILNS1_17partition_subalgoE4EjNS0_10empty_typeEbEEZZNS1_14partition_implILS8_4ELb0ES6_15HIP_vector_typeIjLj2EENS0_17counting_iteratorIjlEEPS9_SG_NS0_5tupleIJPjSI_NS0_16reverse_iteratorISI_EEEEENSH_IJSG_SG_SG_EEES9_SI_JZNS1_25segmented_radix_sort_implINS0_14default_configELb0EPKbPbPKlPlN2at6native12_GLOBAL__N_18offset_tEEE10hipError_tPvRmT1_PNSt15iterator_traitsIS12_E10value_typeET2_T3_PNS13_IS18_E10value_typeET4_jRbjT5_S1E_jjP12ihipStream_tbEUljE_ZNSN_ISO_Lb0ESQ_SR_ST_SU_SY_EESZ_S10_S11_S12_S16_S17_S18_S1B_S1C_jS1D_jS1E_S1E_jjS1G_bEUljE0_EEESZ_S10_S11_S18_S1C_S1E_T6_T7_T9_mT8_S1G_bDpT10_ENKUlT_T0_E_clISt17integral_constantIbLb1EES1T_IbLb0EEEEDaS1P_S1Q_EUlS1P_E_NS1_11comp_targetILNS1_3genE0ELNS1_11target_archE4294967295ELNS1_3gpuE0ELNS1_3repE0EEENS1_30default_config_static_selectorELNS0_4arch9wavefront6targetE0EEEvS12_.private_seg_size, 0
	.set _ZN7rocprim17ROCPRIM_400000_NS6detail17trampoline_kernelINS0_13select_configILj256ELj13ELNS0_17block_load_methodE3ELS4_3ELS4_3ELNS0_20block_scan_algorithmE0ELj4294967295EEENS1_25partition_config_selectorILNS1_17partition_subalgoE4EjNS0_10empty_typeEbEEZZNS1_14partition_implILS8_4ELb0ES6_15HIP_vector_typeIjLj2EENS0_17counting_iteratorIjlEEPS9_SG_NS0_5tupleIJPjSI_NS0_16reverse_iteratorISI_EEEEENSH_IJSG_SG_SG_EEES9_SI_JZNS1_25segmented_radix_sort_implINS0_14default_configELb0EPKbPbPKlPlN2at6native12_GLOBAL__N_18offset_tEEE10hipError_tPvRmT1_PNSt15iterator_traitsIS12_E10value_typeET2_T3_PNS13_IS18_E10value_typeET4_jRbjT5_S1E_jjP12ihipStream_tbEUljE_ZNSN_ISO_Lb0ESQ_SR_ST_SU_SY_EESZ_S10_S11_S12_S16_S17_S18_S1B_S1C_jS1D_jS1E_S1E_jjS1G_bEUljE0_EEESZ_S10_S11_S18_S1C_S1E_T6_T7_T9_mT8_S1G_bDpT10_ENKUlT_T0_E_clISt17integral_constantIbLb1EES1T_IbLb0EEEEDaS1P_S1Q_EUlS1P_E_NS1_11comp_targetILNS1_3genE0ELNS1_11target_archE4294967295ELNS1_3gpuE0ELNS1_3repE0EEENS1_30default_config_static_selectorELNS0_4arch9wavefront6targetE0EEEvS12_.uses_vcc, 0
	.set _ZN7rocprim17ROCPRIM_400000_NS6detail17trampoline_kernelINS0_13select_configILj256ELj13ELNS0_17block_load_methodE3ELS4_3ELS4_3ELNS0_20block_scan_algorithmE0ELj4294967295EEENS1_25partition_config_selectorILNS1_17partition_subalgoE4EjNS0_10empty_typeEbEEZZNS1_14partition_implILS8_4ELb0ES6_15HIP_vector_typeIjLj2EENS0_17counting_iteratorIjlEEPS9_SG_NS0_5tupleIJPjSI_NS0_16reverse_iteratorISI_EEEEENSH_IJSG_SG_SG_EEES9_SI_JZNS1_25segmented_radix_sort_implINS0_14default_configELb0EPKbPbPKlPlN2at6native12_GLOBAL__N_18offset_tEEE10hipError_tPvRmT1_PNSt15iterator_traitsIS12_E10value_typeET2_T3_PNS13_IS18_E10value_typeET4_jRbjT5_S1E_jjP12ihipStream_tbEUljE_ZNSN_ISO_Lb0ESQ_SR_ST_SU_SY_EESZ_S10_S11_S12_S16_S17_S18_S1B_S1C_jS1D_jS1E_S1E_jjS1G_bEUljE0_EEESZ_S10_S11_S18_S1C_S1E_T6_T7_T9_mT8_S1G_bDpT10_ENKUlT_T0_E_clISt17integral_constantIbLb1EES1T_IbLb0EEEEDaS1P_S1Q_EUlS1P_E_NS1_11comp_targetILNS1_3genE0ELNS1_11target_archE4294967295ELNS1_3gpuE0ELNS1_3repE0EEENS1_30default_config_static_selectorELNS0_4arch9wavefront6targetE0EEEvS12_.uses_flat_scratch, 0
	.set _ZN7rocprim17ROCPRIM_400000_NS6detail17trampoline_kernelINS0_13select_configILj256ELj13ELNS0_17block_load_methodE3ELS4_3ELS4_3ELNS0_20block_scan_algorithmE0ELj4294967295EEENS1_25partition_config_selectorILNS1_17partition_subalgoE4EjNS0_10empty_typeEbEEZZNS1_14partition_implILS8_4ELb0ES6_15HIP_vector_typeIjLj2EENS0_17counting_iteratorIjlEEPS9_SG_NS0_5tupleIJPjSI_NS0_16reverse_iteratorISI_EEEEENSH_IJSG_SG_SG_EEES9_SI_JZNS1_25segmented_radix_sort_implINS0_14default_configELb0EPKbPbPKlPlN2at6native12_GLOBAL__N_18offset_tEEE10hipError_tPvRmT1_PNSt15iterator_traitsIS12_E10value_typeET2_T3_PNS13_IS18_E10value_typeET4_jRbjT5_S1E_jjP12ihipStream_tbEUljE_ZNSN_ISO_Lb0ESQ_SR_ST_SU_SY_EESZ_S10_S11_S12_S16_S17_S18_S1B_S1C_jS1D_jS1E_S1E_jjS1G_bEUljE0_EEESZ_S10_S11_S18_S1C_S1E_T6_T7_T9_mT8_S1G_bDpT10_ENKUlT_T0_E_clISt17integral_constantIbLb1EES1T_IbLb0EEEEDaS1P_S1Q_EUlS1P_E_NS1_11comp_targetILNS1_3genE0ELNS1_11target_archE4294967295ELNS1_3gpuE0ELNS1_3repE0EEENS1_30default_config_static_selectorELNS0_4arch9wavefront6targetE0EEEvS12_.has_dyn_sized_stack, 0
	.set _ZN7rocprim17ROCPRIM_400000_NS6detail17trampoline_kernelINS0_13select_configILj256ELj13ELNS0_17block_load_methodE3ELS4_3ELS4_3ELNS0_20block_scan_algorithmE0ELj4294967295EEENS1_25partition_config_selectorILNS1_17partition_subalgoE4EjNS0_10empty_typeEbEEZZNS1_14partition_implILS8_4ELb0ES6_15HIP_vector_typeIjLj2EENS0_17counting_iteratorIjlEEPS9_SG_NS0_5tupleIJPjSI_NS0_16reverse_iteratorISI_EEEEENSH_IJSG_SG_SG_EEES9_SI_JZNS1_25segmented_radix_sort_implINS0_14default_configELb0EPKbPbPKlPlN2at6native12_GLOBAL__N_18offset_tEEE10hipError_tPvRmT1_PNSt15iterator_traitsIS12_E10value_typeET2_T3_PNS13_IS18_E10value_typeET4_jRbjT5_S1E_jjP12ihipStream_tbEUljE_ZNSN_ISO_Lb0ESQ_SR_ST_SU_SY_EESZ_S10_S11_S12_S16_S17_S18_S1B_S1C_jS1D_jS1E_S1E_jjS1G_bEUljE0_EEESZ_S10_S11_S18_S1C_S1E_T6_T7_T9_mT8_S1G_bDpT10_ENKUlT_T0_E_clISt17integral_constantIbLb1EES1T_IbLb0EEEEDaS1P_S1Q_EUlS1P_E_NS1_11comp_targetILNS1_3genE0ELNS1_11target_archE4294967295ELNS1_3gpuE0ELNS1_3repE0EEENS1_30default_config_static_selectorELNS0_4arch9wavefront6targetE0EEEvS12_.has_recursion, 0
	.set _ZN7rocprim17ROCPRIM_400000_NS6detail17trampoline_kernelINS0_13select_configILj256ELj13ELNS0_17block_load_methodE3ELS4_3ELS4_3ELNS0_20block_scan_algorithmE0ELj4294967295EEENS1_25partition_config_selectorILNS1_17partition_subalgoE4EjNS0_10empty_typeEbEEZZNS1_14partition_implILS8_4ELb0ES6_15HIP_vector_typeIjLj2EENS0_17counting_iteratorIjlEEPS9_SG_NS0_5tupleIJPjSI_NS0_16reverse_iteratorISI_EEEEENSH_IJSG_SG_SG_EEES9_SI_JZNS1_25segmented_radix_sort_implINS0_14default_configELb0EPKbPbPKlPlN2at6native12_GLOBAL__N_18offset_tEEE10hipError_tPvRmT1_PNSt15iterator_traitsIS12_E10value_typeET2_T3_PNS13_IS18_E10value_typeET4_jRbjT5_S1E_jjP12ihipStream_tbEUljE_ZNSN_ISO_Lb0ESQ_SR_ST_SU_SY_EESZ_S10_S11_S12_S16_S17_S18_S1B_S1C_jS1D_jS1E_S1E_jjS1G_bEUljE0_EEESZ_S10_S11_S18_S1C_S1E_T6_T7_T9_mT8_S1G_bDpT10_ENKUlT_T0_E_clISt17integral_constantIbLb1EES1T_IbLb0EEEEDaS1P_S1Q_EUlS1P_E_NS1_11comp_targetILNS1_3genE0ELNS1_11target_archE4294967295ELNS1_3gpuE0ELNS1_3repE0EEENS1_30default_config_static_selectorELNS0_4arch9wavefront6targetE0EEEvS12_.has_indirect_call, 0
	.section	.AMDGPU.csdata,"",@progbits
; Kernel info:
; codeLenInByte = 4
; TotalNumSgprs: 0
; NumVgprs: 0
; ScratchSize: 0
; MemoryBound: 0
; FloatMode: 240
; IeeeMode: 1
; LDSByteSize: 0 bytes/workgroup (compile time only)
; SGPRBlocks: 0
; VGPRBlocks: 0
; NumSGPRsForWavesPerEU: 1
; NumVGPRsForWavesPerEU: 1
; NamedBarCnt: 0
; Occupancy: 16
; WaveLimiterHint : 0
; COMPUTE_PGM_RSRC2:SCRATCH_EN: 0
; COMPUTE_PGM_RSRC2:USER_SGPR: 2
; COMPUTE_PGM_RSRC2:TRAP_HANDLER: 0
; COMPUTE_PGM_RSRC2:TGID_X_EN: 1
; COMPUTE_PGM_RSRC2:TGID_Y_EN: 0
; COMPUTE_PGM_RSRC2:TGID_Z_EN: 0
; COMPUTE_PGM_RSRC2:TIDIG_COMP_CNT: 0
	.section	.text._ZN7rocprim17ROCPRIM_400000_NS6detail17trampoline_kernelINS0_13select_configILj256ELj13ELNS0_17block_load_methodE3ELS4_3ELS4_3ELNS0_20block_scan_algorithmE0ELj4294967295EEENS1_25partition_config_selectorILNS1_17partition_subalgoE4EjNS0_10empty_typeEbEEZZNS1_14partition_implILS8_4ELb0ES6_15HIP_vector_typeIjLj2EENS0_17counting_iteratorIjlEEPS9_SG_NS0_5tupleIJPjSI_NS0_16reverse_iteratorISI_EEEEENSH_IJSG_SG_SG_EEES9_SI_JZNS1_25segmented_radix_sort_implINS0_14default_configELb0EPKbPbPKlPlN2at6native12_GLOBAL__N_18offset_tEEE10hipError_tPvRmT1_PNSt15iterator_traitsIS12_E10value_typeET2_T3_PNS13_IS18_E10value_typeET4_jRbjT5_S1E_jjP12ihipStream_tbEUljE_ZNSN_ISO_Lb0ESQ_SR_ST_SU_SY_EESZ_S10_S11_S12_S16_S17_S18_S1B_S1C_jS1D_jS1E_S1E_jjS1G_bEUljE0_EEESZ_S10_S11_S18_S1C_S1E_T6_T7_T9_mT8_S1G_bDpT10_ENKUlT_T0_E_clISt17integral_constantIbLb1EES1T_IbLb0EEEEDaS1P_S1Q_EUlS1P_E_NS1_11comp_targetILNS1_3genE5ELNS1_11target_archE942ELNS1_3gpuE9ELNS1_3repE0EEENS1_30default_config_static_selectorELNS0_4arch9wavefront6targetE0EEEvS12_,"axG",@progbits,_ZN7rocprim17ROCPRIM_400000_NS6detail17trampoline_kernelINS0_13select_configILj256ELj13ELNS0_17block_load_methodE3ELS4_3ELS4_3ELNS0_20block_scan_algorithmE0ELj4294967295EEENS1_25partition_config_selectorILNS1_17partition_subalgoE4EjNS0_10empty_typeEbEEZZNS1_14partition_implILS8_4ELb0ES6_15HIP_vector_typeIjLj2EENS0_17counting_iteratorIjlEEPS9_SG_NS0_5tupleIJPjSI_NS0_16reverse_iteratorISI_EEEEENSH_IJSG_SG_SG_EEES9_SI_JZNS1_25segmented_radix_sort_implINS0_14default_configELb0EPKbPbPKlPlN2at6native12_GLOBAL__N_18offset_tEEE10hipError_tPvRmT1_PNSt15iterator_traitsIS12_E10value_typeET2_T3_PNS13_IS18_E10value_typeET4_jRbjT5_S1E_jjP12ihipStream_tbEUljE_ZNSN_ISO_Lb0ESQ_SR_ST_SU_SY_EESZ_S10_S11_S12_S16_S17_S18_S1B_S1C_jS1D_jS1E_S1E_jjS1G_bEUljE0_EEESZ_S10_S11_S18_S1C_S1E_T6_T7_T9_mT8_S1G_bDpT10_ENKUlT_T0_E_clISt17integral_constantIbLb1EES1T_IbLb0EEEEDaS1P_S1Q_EUlS1P_E_NS1_11comp_targetILNS1_3genE5ELNS1_11target_archE942ELNS1_3gpuE9ELNS1_3repE0EEENS1_30default_config_static_selectorELNS0_4arch9wavefront6targetE0EEEvS12_,comdat
	.globl	_ZN7rocprim17ROCPRIM_400000_NS6detail17trampoline_kernelINS0_13select_configILj256ELj13ELNS0_17block_load_methodE3ELS4_3ELS4_3ELNS0_20block_scan_algorithmE0ELj4294967295EEENS1_25partition_config_selectorILNS1_17partition_subalgoE4EjNS0_10empty_typeEbEEZZNS1_14partition_implILS8_4ELb0ES6_15HIP_vector_typeIjLj2EENS0_17counting_iteratorIjlEEPS9_SG_NS0_5tupleIJPjSI_NS0_16reverse_iteratorISI_EEEEENSH_IJSG_SG_SG_EEES9_SI_JZNS1_25segmented_radix_sort_implINS0_14default_configELb0EPKbPbPKlPlN2at6native12_GLOBAL__N_18offset_tEEE10hipError_tPvRmT1_PNSt15iterator_traitsIS12_E10value_typeET2_T3_PNS13_IS18_E10value_typeET4_jRbjT5_S1E_jjP12ihipStream_tbEUljE_ZNSN_ISO_Lb0ESQ_SR_ST_SU_SY_EESZ_S10_S11_S12_S16_S17_S18_S1B_S1C_jS1D_jS1E_S1E_jjS1G_bEUljE0_EEESZ_S10_S11_S18_S1C_S1E_T6_T7_T9_mT8_S1G_bDpT10_ENKUlT_T0_E_clISt17integral_constantIbLb1EES1T_IbLb0EEEEDaS1P_S1Q_EUlS1P_E_NS1_11comp_targetILNS1_3genE5ELNS1_11target_archE942ELNS1_3gpuE9ELNS1_3repE0EEENS1_30default_config_static_selectorELNS0_4arch9wavefront6targetE0EEEvS12_ ; -- Begin function _ZN7rocprim17ROCPRIM_400000_NS6detail17trampoline_kernelINS0_13select_configILj256ELj13ELNS0_17block_load_methodE3ELS4_3ELS4_3ELNS0_20block_scan_algorithmE0ELj4294967295EEENS1_25partition_config_selectorILNS1_17partition_subalgoE4EjNS0_10empty_typeEbEEZZNS1_14partition_implILS8_4ELb0ES6_15HIP_vector_typeIjLj2EENS0_17counting_iteratorIjlEEPS9_SG_NS0_5tupleIJPjSI_NS0_16reverse_iteratorISI_EEEEENSH_IJSG_SG_SG_EEES9_SI_JZNS1_25segmented_radix_sort_implINS0_14default_configELb0EPKbPbPKlPlN2at6native12_GLOBAL__N_18offset_tEEE10hipError_tPvRmT1_PNSt15iterator_traitsIS12_E10value_typeET2_T3_PNS13_IS18_E10value_typeET4_jRbjT5_S1E_jjP12ihipStream_tbEUljE_ZNSN_ISO_Lb0ESQ_SR_ST_SU_SY_EESZ_S10_S11_S12_S16_S17_S18_S1B_S1C_jS1D_jS1E_S1E_jjS1G_bEUljE0_EEESZ_S10_S11_S18_S1C_S1E_T6_T7_T9_mT8_S1G_bDpT10_ENKUlT_T0_E_clISt17integral_constantIbLb1EES1T_IbLb0EEEEDaS1P_S1Q_EUlS1P_E_NS1_11comp_targetILNS1_3genE5ELNS1_11target_archE942ELNS1_3gpuE9ELNS1_3repE0EEENS1_30default_config_static_selectorELNS0_4arch9wavefront6targetE0EEEvS12_
	.p2align	8
	.type	_ZN7rocprim17ROCPRIM_400000_NS6detail17trampoline_kernelINS0_13select_configILj256ELj13ELNS0_17block_load_methodE3ELS4_3ELS4_3ELNS0_20block_scan_algorithmE0ELj4294967295EEENS1_25partition_config_selectorILNS1_17partition_subalgoE4EjNS0_10empty_typeEbEEZZNS1_14partition_implILS8_4ELb0ES6_15HIP_vector_typeIjLj2EENS0_17counting_iteratorIjlEEPS9_SG_NS0_5tupleIJPjSI_NS0_16reverse_iteratorISI_EEEEENSH_IJSG_SG_SG_EEES9_SI_JZNS1_25segmented_radix_sort_implINS0_14default_configELb0EPKbPbPKlPlN2at6native12_GLOBAL__N_18offset_tEEE10hipError_tPvRmT1_PNSt15iterator_traitsIS12_E10value_typeET2_T3_PNS13_IS18_E10value_typeET4_jRbjT5_S1E_jjP12ihipStream_tbEUljE_ZNSN_ISO_Lb0ESQ_SR_ST_SU_SY_EESZ_S10_S11_S12_S16_S17_S18_S1B_S1C_jS1D_jS1E_S1E_jjS1G_bEUljE0_EEESZ_S10_S11_S18_S1C_S1E_T6_T7_T9_mT8_S1G_bDpT10_ENKUlT_T0_E_clISt17integral_constantIbLb1EES1T_IbLb0EEEEDaS1P_S1Q_EUlS1P_E_NS1_11comp_targetILNS1_3genE5ELNS1_11target_archE942ELNS1_3gpuE9ELNS1_3repE0EEENS1_30default_config_static_selectorELNS0_4arch9wavefront6targetE0EEEvS12_,@function
_ZN7rocprim17ROCPRIM_400000_NS6detail17trampoline_kernelINS0_13select_configILj256ELj13ELNS0_17block_load_methodE3ELS4_3ELS4_3ELNS0_20block_scan_algorithmE0ELj4294967295EEENS1_25partition_config_selectorILNS1_17partition_subalgoE4EjNS0_10empty_typeEbEEZZNS1_14partition_implILS8_4ELb0ES6_15HIP_vector_typeIjLj2EENS0_17counting_iteratorIjlEEPS9_SG_NS0_5tupleIJPjSI_NS0_16reverse_iteratorISI_EEEEENSH_IJSG_SG_SG_EEES9_SI_JZNS1_25segmented_radix_sort_implINS0_14default_configELb0EPKbPbPKlPlN2at6native12_GLOBAL__N_18offset_tEEE10hipError_tPvRmT1_PNSt15iterator_traitsIS12_E10value_typeET2_T3_PNS13_IS18_E10value_typeET4_jRbjT5_S1E_jjP12ihipStream_tbEUljE_ZNSN_ISO_Lb0ESQ_SR_ST_SU_SY_EESZ_S10_S11_S12_S16_S17_S18_S1B_S1C_jS1D_jS1E_S1E_jjS1G_bEUljE0_EEESZ_S10_S11_S18_S1C_S1E_T6_T7_T9_mT8_S1G_bDpT10_ENKUlT_T0_E_clISt17integral_constantIbLb1EES1T_IbLb0EEEEDaS1P_S1Q_EUlS1P_E_NS1_11comp_targetILNS1_3genE5ELNS1_11target_archE942ELNS1_3gpuE9ELNS1_3repE0EEENS1_30default_config_static_selectorELNS0_4arch9wavefront6targetE0EEEvS12_: ; @_ZN7rocprim17ROCPRIM_400000_NS6detail17trampoline_kernelINS0_13select_configILj256ELj13ELNS0_17block_load_methodE3ELS4_3ELS4_3ELNS0_20block_scan_algorithmE0ELj4294967295EEENS1_25partition_config_selectorILNS1_17partition_subalgoE4EjNS0_10empty_typeEbEEZZNS1_14partition_implILS8_4ELb0ES6_15HIP_vector_typeIjLj2EENS0_17counting_iteratorIjlEEPS9_SG_NS0_5tupleIJPjSI_NS0_16reverse_iteratorISI_EEEEENSH_IJSG_SG_SG_EEES9_SI_JZNS1_25segmented_radix_sort_implINS0_14default_configELb0EPKbPbPKlPlN2at6native12_GLOBAL__N_18offset_tEEE10hipError_tPvRmT1_PNSt15iterator_traitsIS12_E10value_typeET2_T3_PNS13_IS18_E10value_typeET4_jRbjT5_S1E_jjP12ihipStream_tbEUljE_ZNSN_ISO_Lb0ESQ_SR_ST_SU_SY_EESZ_S10_S11_S12_S16_S17_S18_S1B_S1C_jS1D_jS1E_S1E_jjS1G_bEUljE0_EEESZ_S10_S11_S18_S1C_S1E_T6_T7_T9_mT8_S1G_bDpT10_ENKUlT_T0_E_clISt17integral_constantIbLb1EES1T_IbLb0EEEEDaS1P_S1Q_EUlS1P_E_NS1_11comp_targetILNS1_3genE5ELNS1_11target_archE942ELNS1_3gpuE9ELNS1_3repE0EEENS1_30default_config_static_selectorELNS0_4arch9wavefront6targetE0EEEvS12_
; %bb.0:
	.section	.rodata,"a",@progbits
	.p2align	6, 0x0
	.amdhsa_kernel _ZN7rocprim17ROCPRIM_400000_NS6detail17trampoline_kernelINS0_13select_configILj256ELj13ELNS0_17block_load_methodE3ELS4_3ELS4_3ELNS0_20block_scan_algorithmE0ELj4294967295EEENS1_25partition_config_selectorILNS1_17partition_subalgoE4EjNS0_10empty_typeEbEEZZNS1_14partition_implILS8_4ELb0ES6_15HIP_vector_typeIjLj2EENS0_17counting_iteratorIjlEEPS9_SG_NS0_5tupleIJPjSI_NS0_16reverse_iteratorISI_EEEEENSH_IJSG_SG_SG_EEES9_SI_JZNS1_25segmented_radix_sort_implINS0_14default_configELb0EPKbPbPKlPlN2at6native12_GLOBAL__N_18offset_tEEE10hipError_tPvRmT1_PNSt15iterator_traitsIS12_E10value_typeET2_T3_PNS13_IS18_E10value_typeET4_jRbjT5_S1E_jjP12ihipStream_tbEUljE_ZNSN_ISO_Lb0ESQ_SR_ST_SU_SY_EESZ_S10_S11_S12_S16_S17_S18_S1B_S1C_jS1D_jS1E_S1E_jjS1G_bEUljE0_EEESZ_S10_S11_S18_S1C_S1E_T6_T7_T9_mT8_S1G_bDpT10_ENKUlT_T0_E_clISt17integral_constantIbLb1EES1T_IbLb0EEEEDaS1P_S1Q_EUlS1P_E_NS1_11comp_targetILNS1_3genE5ELNS1_11target_archE942ELNS1_3gpuE9ELNS1_3repE0EEENS1_30default_config_static_selectorELNS0_4arch9wavefront6targetE0EEEvS12_
		.amdhsa_group_segment_fixed_size 0
		.amdhsa_private_segment_fixed_size 0
		.amdhsa_kernarg_size 176
		.amdhsa_user_sgpr_count 2
		.amdhsa_user_sgpr_dispatch_ptr 0
		.amdhsa_user_sgpr_queue_ptr 0
		.amdhsa_user_sgpr_kernarg_segment_ptr 1
		.amdhsa_user_sgpr_dispatch_id 0
		.amdhsa_user_sgpr_kernarg_preload_length 0
		.amdhsa_user_sgpr_kernarg_preload_offset 0
		.amdhsa_user_sgpr_private_segment_size 0
		.amdhsa_wavefront_size32 1
		.amdhsa_uses_dynamic_stack 0
		.amdhsa_enable_private_segment 0
		.amdhsa_system_sgpr_workgroup_id_x 1
		.amdhsa_system_sgpr_workgroup_id_y 0
		.amdhsa_system_sgpr_workgroup_id_z 0
		.amdhsa_system_sgpr_workgroup_info 0
		.amdhsa_system_vgpr_workitem_id 0
		.amdhsa_next_free_vgpr 1
		.amdhsa_next_free_sgpr 1
		.amdhsa_named_barrier_count 0
		.amdhsa_reserve_vcc 0
		.amdhsa_float_round_mode_32 0
		.amdhsa_float_round_mode_16_64 0
		.amdhsa_float_denorm_mode_32 3
		.amdhsa_float_denorm_mode_16_64 3
		.amdhsa_fp16_overflow 0
		.amdhsa_memory_ordered 1
		.amdhsa_forward_progress 1
		.amdhsa_inst_pref_size 0
		.amdhsa_round_robin_scheduling 0
		.amdhsa_exception_fp_ieee_invalid_op 0
		.amdhsa_exception_fp_denorm_src 0
		.amdhsa_exception_fp_ieee_div_zero 0
		.amdhsa_exception_fp_ieee_overflow 0
		.amdhsa_exception_fp_ieee_underflow 0
		.amdhsa_exception_fp_ieee_inexact 0
		.amdhsa_exception_int_div_zero 0
	.end_amdhsa_kernel
	.section	.text._ZN7rocprim17ROCPRIM_400000_NS6detail17trampoline_kernelINS0_13select_configILj256ELj13ELNS0_17block_load_methodE3ELS4_3ELS4_3ELNS0_20block_scan_algorithmE0ELj4294967295EEENS1_25partition_config_selectorILNS1_17partition_subalgoE4EjNS0_10empty_typeEbEEZZNS1_14partition_implILS8_4ELb0ES6_15HIP_vector_typeIjLj2EENS0_17counting_iteratorIjlEEPS9_SG_NS0_5tupleIJPjSI_NS0_16reverse_iteratorISI_EEEEENSH_IJSG_SG_SG_EEES9_SI_JZNS1_25segmented_radix_sort_implINS0_14default_configELb0EPKbPbPKlPlN2at6native12_GLOBAL__N_18offset_tEEE10hipError_tPvRmT1_PNSt15iterator_traitsIS12_E10value_typeET2_T3_PNS13_IS18_E10value_typeET4_jRbjT5_S1E_jjP12ihipStream_tbEUljE_ZNSN_ISO_Lb0ESQ_SR_ST_SU_SY_EESZ_S10_S11_S12_S16_S17_S18_S1B_S1C_jS1D_jS1E_S1E_jjS1G_bEUljE0_EEESZ_S10_S11_S18_S1C_S1E_T6_T7_T9_mT8_S1G_bDpT10_ENKUlT_T0_E_clISt17integral_constantIbLb1EES1T_IbLb0EEEEDaS1P_S1Q_EUlS1P_E_NS1_11comp_targetILNS1_3genE5ELNS1_11target_archE942ELNS1_3gpuE9ELNS1_3repE0EEENS1_30default_config_static_selectorELNS0_4arch9wavefront6targetE0EEEvS12_,"axG",@progbits,_ZN7rocprim17ROCPRIM_400000_NS6detail17trampoline_kernelINS0_13select_configILj256ELj13ELNS0_17block_load_methodE3ELS4_3ELS4_3ELNS0_20block_scan_algorithmE0ELj4294967295EEENS1_25partition_config_selectorILNS1_17partition_subalgoE4EjNS0_10empty_typeEbEEZZNS1_14partition_implILS8_4ELb0ES6_15HIP_vector_typeIjLj2EENS0_17counting_iteratorIjlEEPS9_SG_NS0_5tupleIJPjSI_NS0_16reverse_iteratorISI_EEEEENSH_IJSG_SG_SG_EEES9_SI_JZNS1_25segmented_radix_sort_implINS0_14default_configELb0EPKbPbPKlPlN2at6native12_GLOBAL__N_18offset_tEEE10hipError_tPvRmT1_PNSt15iterator_traitsIS12_E10value_typeET2_T3_PNS13_IS18_E10value_typeET4_jRbjT5_S1E_jjP12ihipStream_tbEUljE_ZNSN_ISO_Lb0ESQ_SR_ST_SU_SY_EESZ_S10_S11_S12_S16_S17_S18_S1B_S1C_jS1D_jS1E_S1E_jjS1G_bEUljE0_EEESZ_S10_S11_S18_S1C_S1E_T6_T7_T9_mT8_S1G_bDpT10_ENKUlT_T0_E_clISt17integral_constantIbLb1EES1T_IbLb0EEEEDaS1P_S1Q_EUlS1P_E_NS1_11comp_targetILNS1_3genE5ELNS1_11target_archE942ELNS1_3gpuE9ELNS1_3repE0EEENS1_30default_config_static_selectorELNS0_4arch9wavefront6targetE0EEEvS12_,comdat
.Lfunc_end1579:
	.size	_ZN7rocprim17ROCPRIM_400000_NS6detail17trampoline_kernelINS0_13select_configILj256ELj13ELNS0_17block_load_methodE3ELS4_3ELS4_3ELNS0_20block_scan_algorithmE0ELj4294967295EEENS1_25partition_config_selectorILNS1_17partition_subalgoE4EjNS0_10empty_typeEbEEZZNS1_14partition_implILS8_4ELb0ES6_15HIP_vector_typeIjLj2EENS0_17counting_iteratorIjlEEPS9_SG_NS0_5tupleIJPjSI_NS0_16reverse_iteratorISI_EEEEENSH_IJSG_SG_SG_EEES9_SI_JZNS1_25segmented_radix_sort_implINS0_14default_configELb0EPKbPbPKlPlN2at6native12_GLOBAL__N_18offset_tEEE10hipError_tPvRmT1_PNSt15iterator_traitsIS12_E10value_typeET2_T3_PNS13_IS18_E10value_typeET4_jRbjT5_S1E_jjP12ihipStream_tbEUljE_ZNSN_ISO_Lb0ESQ_SR_ST_SU_SY_EESZ_S10_S11_S12_S16_S17_S18_S1B_S1C_jS1D_jS1E_S1E_jjS1G_bEUljE0_EEESZ_S10_S11_S18_S1C_S1E_T6_T7_T9_mT8_S1G_bDpT10_ENKUlT_T0_E_clISt17integral_constantIbLb1EES1T_IbLb0EEEEDaS1P_S1Q_EUlS1P_E_NS1_11comp_targetILNS1_3genE5ELNS1_11target_archE942ELNS1_3gpuE9ELNS1_3repE0EEENS1_30default_config_static_selectorELNS0_4arch9wavefront6targetE0EEEvS12_, .Lfunc_end1579-_ZN7rocprim17ROCPRIM_400000_NS6detail17trampoline_kernelINS0_13select_configILj256ELj13ELNS0_17block_load_methodE3ELS4_3ELS4_3ELNS0_20block_scan_algorithmE0ELj4294967295EEENS1_25partition_config_selectorILNS1_17partition_subalgoE4EjNS0_10empty_typeEbEEZZNS1_14partition_implILS8_4ELb0ES6_15HIP_vector_typeIjLj2EENS0_17counting_iteratorIjlEEPS9_SG_NS0_5tupleIJPjSI_NS0_16reverse_iteratorISI_EEEEENSH_IJSG_SG_SG_EEES9_SI_JZNS1_25segmented_radix_sort_implINS0_14default_configELb0EPKbPbPKlPlN2at6native12_GLOBAL__N_18offset_tEEE10hipError_tPvRmT1_PNSt15iterator_traitsIS12_E10value_typeET2_T3_PNS13_IS18_E10value_typeET4_jRbjT5_S1E_jjP12ihipStream_tbEUljE_ZNSN_ISO_Lb0ESQ_SR_ST_SU_SY_EESZ_S10_S11_S12_S16_S17_S18_S1B_S1C_jS1D_jS1E_S1E_jjS1G_bEUljE0_EEESZ_S10_S11_S18_S1C_S1E_T6_T7_T9_mT8_S1G_bDpT10_ENKUlT_T0_E_clISt17integral_constantIbLb1EES1T_IbLb0EEEEDaS1P_S1Q_EUlS1P_E_NS1_11comp_targetILNS1_3genE5ELNS1_11target_archE942ELNS1_3gpuE9ELNS1_3repE0EEENS1_30default_config_static_selectorELNS0_4arch9wavefront6targetE0EEEvS12_
                                        ; -- End function
	.set _ZN7rocprim17ROCPRIM_400000_NS6detail17trampoline_kernelINS0_13select_configILj256ELj13ELNS0_17block_load_methodE3ELS4_3ELS4_3ELNS0_20block_scan_algorithmE0ELj4294967295EEENS1_25partition_config_selectorILNS1_17partition_subalgoE4EjNS0_10empty_typeEbEEZZNS1_14partition_implILS8_4ELb0ES6_15HIP_vector_typeIjLj2EENS0_17counting_iteratorIjlEEPS9_SG_NS0_5tupleIJPjSI_NS0_16reverse_iteratorISI_EEEEENSH_IJSG_SG_SG_EEES9_SI_JZNS1_25segmented_radix_sort_implINS0_14default_configELb0EPKbPbPKlPlN2at6native12_GLOBAL__N_18offset_tEEE10hipError_tPvRmT1_PNSt15iterator_traitsIS12_E10value_typeET2_T3_PNS13_IS18_E10value_typeET4_jRbjT5_S1E_jjP12ihipStream_tbEUljE_ZNSN_ISO_Lb0ESQ_SR_ST_SU_SY_EESZ_S10_S11_S12_S16_S17_S18_S1B_S1C_jS1D_jS1E_S1E_jjS1G_bEUljE0_EEESZ_S10_S11_S18_S1C_S1E_T6_T7_T9_mT8_S1G_bDpT10_ENKUlT_T0_E_clISt17integral_constantIbLb1EES1T_IbLb0EEEEDaS1P_S1Q_EUlS1P_E_NS1_11comp_targetILNS1_3genE5ELNS1_11target_archE942ELNS1_3gpuE9ELNS1_3repE0EEENS1_30default_config_static_selectorELNS0_4arch9wavefront6targetE0EEEvS12_.num_vgpr, 0
	.set _ZN7rocprim17ROCPRIM_400000_NS6detail17trampoline_kernelINS0_13select_configILj256ELj13ELNS0_17block_load_methodE3ELS4_3ELS4_3ELNS0_20block_scan_algorithmE0ELj4294967295EEENS1_25partition_config_selectorILNS1_17partition_subalgoE4EjNS0_10empty_typeEbEEZZNS1_14partition_implILS8_4ELb0ES6_15HIP_vector_typeIjLj2EENS0_17counting_iteratorIjlEEPS9_SG_NS0_5tupleIJPjSI_NS0_16reverse_iteratorISI_EEEEENSH_IJSG_SG_SG_EEES9_SI_JZNS1_25segmented_radix_sort_implINS0_14default_configELb0EPKbPbPKlPlN2at6native12_GLOBAL__N_18offset_tEEE10hipError_tPvRmT1_PNSt15iterator_traitsIS12_E10value_typeET2_T3_PNS13_IS18_E10value_typeET4_jRbjT5_S1E_jjP12ihipStream_tbEUljE_ZNSN_ISO_Lb0ESQ_SR_ST_SU_SY_EESZ_S10_S11_S12_S16_S17_S18_S1B_S1C_jS1D_jS1E_S1E_jjS1G_bEUljE0_EEESZ_S10_S11_S18_S1C_S1E_T6_T7_T9_mT8_S1G_bDpT10_ENKUlT_T0_E_clISt17integral_constantIbLb1EES1T_IbLb0EEEEDaS1P_S1Q_EUlS1P_E_NS1_11comp_targetILNS1_3genE5ELNS1_11target_archE942ELNS1_3gpuE9ELNS1_3repE0EEENS1_30default_config_static_selectorELNS0_4arch9wavefront6targetE0EEEvS12_.num_agpr, 0
	.set _ZN7rocprim17ROCPRIM_400000_NS6detail17trampoline_kernelINS0_13select_configILj256ELj13ELNS0_17block_load_methodE3ELS4_3ELS4_3ELNS0_20block_scan_algorithmE0ELj4294967295EEENS1_25partition_config_selectorILNS1_17partition_subalgoE4EjNS0_10empty_typeEbEEZZNS1_14partition_implILS8_4ELb0ES6_15HIP_vector_typeIjLj2EENS0_17counting_iteratorIjlEEPS9_SG_NS0_5tupleIJPjSI_NS0_16reverse_iteratorISI_EEEEENSH_IJSG_SG_SG_EEES9_SI_JZNS1_25segmented_radix_sort_implINS0_14default_configELb0EPKbPbPKlPlN2at6native12_GLOBAL__N_18offset_tEEE10hipError_tPvRmT1_PNSt15iterator_traitsIS12_E10value_typeET2_T3_PNS13_IS18_E10value_typeET4_jRbjT5_S1E_jjP12ihipStream_tbEUljE_ZNSN_ISO_Lb0ESQ_SR_ST_SU_SY_EESZ_S10_S11_S12_S16_S17_S18_S1B_S1C_jS1D_jS1E_S1E_jjS1G_bEUljE0_EEESZ_S10_S11_S18_S1C_S1E_T6_T7_T9_mT8_S1G_bDpT10_ENKUlT_T0_E_clISt17integral_constantIbLb1EES1T_IbLb0EEEEDaS1P_S1Q_EUlS1P_E_NS1_11comp_targetILNS1_3genE5ELNS1_11target_archE942ELNS1_3gpuE9ELNS1_3repE0EEENS1_30default_config_static_selectorELNS0_4arch9wavefront6targetE0EEEvS12_.numbered_sgpr, 0
	.set _ZN7rocprim17ROCPRIM_400000_NS6detail17trampoline_kernelINS0_13select_configILj256ELj13ELNS0_17block_load_methodE3ELS4_3ELS4_3ELNS0_20block_scan_algorithmE0ELj4294967295EEENS1_25partition_config_selectorILNS1_17partition_subalgoE4EjNS0_10empty_typeEbEEZZNS1_14partition_implILS8_4ELb0ES6_15HIP_vector_typeIjLj2EENS0_17counting_iteratorIjlEEPS9_SG_NS0_5tupleIJPjSI_NS0_16reverse_iteratorISI_EEEEENSH_IJSG_SG_SG_EEES9_SI_JZNS1_25segmented_radix_sort_implINS0_14default_configELb0EPKbPbPKlPlN2at6native12_GLOBAL__N_18offset_tEEE10hipError_tPvRmT1_PNSt15iterator_traitsIS12_E10value_typeET2_T3_PNS13_IS18_E10value_typeET4_jRbjT5_S1E_jjP12ihipStream_tbEUljE_ZNSN_ISO_Lb0ESQ_SR_ST_SU_SY_EESZ_S10_S11_S12_S16_S17_S18_S1B_S1C_jS1D_jS1E_S1E_jjS1G_bEUljE0_EEESZ_S10_S11_S18_S1C_S1E_T6_T7_T9_mT8_S1G_bDpT10_ENKUlT_T0_E_clISt17integral_constantIbLb1EES1T_IbLb0EEEEDaS1P_S1Q_EUlS1P_E_NS1_11comp_targetILNS1_3genE5ELNS1_11target_archE942ELNS1_3gpuE9ELNS1_3repE0EEENS1_30default_config_static_selectorELNS0_4arch9wavefront6targetE0EEEvS12_.num_named_barrier, 0
	.set _ZN7rocprim17ROCPRIM_400000_NS6detail17trampoline_kernelINS0_13select_configILj256ELj13ELNS0_17block_load_methodE3ELS4_3ELS4_3ELNS0_20block_scan_algorithmE0ELj4294967295EEENS1_25partition_config_selectorILNS1_17partition_subalgoE4EjNS0_10empty_typeEbEEZZNS1_14partition_implILS8_4ELb0ES6_15HIP_vector_typeIjLj2EENS0_17counting_iteratorIjlEEPS9_SG_NS0_5tupleIJPjSI_NS0_16reverse_iteratorISI_EEEEENSH_IJSG_SG_SG_EEES9_SI_JZNS1_25segmented_radix_sort_implINS0_14default_configELb0EPKbPbPKlPlN2at6native12_GLOBAL__N_18offset_tEEE10hipError_tPvRmT1_PNSt15iterator_traitsIS12_E10value_typeET2_T3_PNS13_IS18_E10value_typeET4_jRbjT5_S1E_jjP12ihipStream_tbEUljE_ZNSN_ISO_Lb0ESQ_SR_ST_SU_SY_EESZ_S10_S11_S12_S16_S17_S18_S1B_S1C_jS1D_jS1E_S1E_jjS1G_bEUljE0_EEESZ_S10_S11_S18_S1C_S1E_T6_T7_T9_mT8_S1G_bDpT10_ENKUlT_T0_E_clISt17integral_constantIbLb1EES1T_IbLb0EEEEDaS1P_S1Q_EUlS1P_E_NS1_11comp_targetILNS1_3genE5ELNS1_11target_archE942ELNS1_3gpuE9ELNS1_3repE0EEENS1_30default_config_static_selectorELNS0_4arch9wavefront6targetE0EEEvS12_.private_seg_size, 0
	.set _ZN7rocprim17ROCPRIM_400000_NS6detail17trampoline_kernelINS0_13select_configILj256ELj13ELNS0_17block_load_methodE3ELS4_3ELS4_3ELNS0_20block_scan_algorithmE0ELj4294967295EEENS1_25partition_config_selectorILNS1_17partition_subalgoE4EjNS0_10empty_typeEbEEZZNS1_14partition_implILS8_4ELb0ES6_15HIP_vector_typeIjLj2EENS0_17counting_iteratorIjlEEPS9_SG_NS0_5tupleIJPjSI_NS0_16reverse_iteratorISI_EEEEENSH_IJSG_SG_SG_EEES9_SI_JZNS1_25segmented_radix_sort_implINS0_14default_configELb0EPKbPbPKlPlN2at6native12_GLOBAL__N_18offset_tEEE10hipError_tPvRmT1_PNSt15iterator_traitsIS12_E10value_typeET2_T3_PNS13_IS18_E10value_typeET4_jRbjT5_S1E_jjP12ihipStream_tbEUljE_ZNSN_ISO_Lb0ESQ_SR_ST_SU_SY_EESZ_S10_S11_S12_S16_S17_S18_S1B_S1C_jS1D_jS1E_S1E_jjS1G_bEUljE0_EEESZ_S10_S11_S18_S1C_S1E_T6_T7_T9_mT8_S1G_bDpT10_ENKUlT_T0_E_clISt17integral_constantIbLb1EES1T_IbLb0EEEEDaS1P_S1Q_EUlS1P_E_NS1_11comp_targetILNS1_3genE5ELNS1_11target_archE942ELNS1_3gpuE9ELNS1_3repE0EEENS1_30default_config_static_selectorELNS0_4arch9wavefront6targetE0EEEvS12_.uses_vcc, 0
	.set _ZN7rocprim17ROCPRIM_400000_NS6detail17trampoline_kernelINS0_13select_configILj256ELj13ELNS0_17block_load_methodE3ELS4_3ELS4_3ELNS0_20block_scan_algorithmE0ELj4294967295EEENS1_25partition_config_selectorILNS1_17partition_subalgoE4EjNS0_10empty_typeEbEEZZNS1_14partition_implILS8_4ELb0ES6_15HIP_vector_typeIjLj2EENS0_17counting_iteratorIjlEEPS9_SG_NS0_5tupleIJPjSI_NS0_16reverse_iteratorISI_EEEEENSH_IJSG_SG_SG_EEES9_SI_JZNS1_25segmented_radix_sort_implINS0_14default_configELb0EPKbPbPKlPlN2at6native12_GLOBAL__N_18offset_tEEE10hipError_tPvRmT1_PNSt15iterator_traitsIS12_E10value_typeET2_T3_PNS13_IS18_E10value_typeET4_jRbjT5_S1E_jjP12ihipStream_tbEUljE_ZNSN_ISO_Lb0ESQ_SR_ST_SU_SY_EESZ_S10_S11_S12_S16_S17_S18_S1B_S1C_jS1D_jS1E_S1E_jjS1G_bEUljE0_EEESZ_S10_S11_S18_S1C_S1E_T6_T7_T9_mT8_S1G_bDpT10_ENKUlT_T0_E_clISt17integral_constantIbLb1EES1T_IbLb0EEEEDaS1P_S1Q_EUlS1P_E_NS1_11comp_targetILNS1_3genE5ELNS1_11target_archE942ELNS1_3gpuE9ELNS1_3repE0EEENS1_30default_config_static_selectorELNS0_4arch9wavefront6targetE0EEEvS12_.uses_flat_scratch, 0
	.set _ZN7rocprim17ROCPRIM_400000_NS6detail17trampoline_kernelINS0_13select_configILj256ELj13ELNS0_17block_load_methodE3ELS4_3ELS4_3ELNS0_20block_scan_algorithmE0ELj4294967295EEENS1_25partition_config_selectorILNS1_17partition_subalgoE4EjNS0_10empty_typeEbEEZZNS1_14partition_implILS8_4ELb0ES6_15HIP_vector_typeIjLj2EENS0_17counting_iteratorIjlEEPS9_SG_NS0_5tupleIJPjSI_NS0_16reverse_iteratorISI_EEEEENSH_IJSG_SG_SG_EEES9_SI_JZNS1_25segmented_radix_sort_implINS0_14default_configELb0EPKbPbPKlPlN2at6native12_GLOBAL__N_18offset_tEEE10hipError_tPvRmT1_PNSt15iterator_traitsIS12_E10value_typeET2_T3_PNS13_IS18_E10value_typeET4_jRbjT5_S1E_jjP12ihipStream_tbEUljE_ZNSN_ISO_Lb0ESQ_SR_ST_SU_SY_EESZ_S10_S11_S12_S16_S17_S18_S1B_S1C_jS1D_jS1E_S1E_jjS1G_bEUljE0_EEESZ_S10_S11_S18_S1C_S1E_T6_T7_T9_mT8_S1G_bDpT10_ENKUlT_T0_E_clISt17integral_constantIbLb1EES1T_IbLb0EEEEDaS1P_S1Q_EUlS1P_E_NS1_11comp_targetILNS1_3genE5ELNS1_11target_archE942ELNS1_3gpuE9ELNS1_3repE0EEENS1_30default_config_static_selectorELNS0_4arch9wavefront6targetE0EEEvS12_.has_dyn_sized_stack, 0
	.set _ZN7rocprim17ROCPRIM_400000_NS6detail17trampoline_kernelINS0_13select_configILj256ELj13ELNS0_17block_load_methodE3ELS4_3ELS4_3ELNS0_20block_scan_algorithmE0ELj4294967295EEENS1_25partition_config_selectorILNS1_17partition_subalgoE4EjNS0_10empty_typeEbEEZZNS1_14partition_implILS8_4ELb0ES6_15HIP_vector_typeIjLj2EENS0_17counting_iteratorIjlEEPS9_SG_NS0_5tupleIJPjSI_NS0_16reverse_iteratorISI_EEEEENSH_IJSG_SG_SG_EEES9_SI_JZNS1_25segmented_radix_sort_implINS0_14default_configELb0EPKbPbPKlPlN2at6native12_GLOBAL__N_18offset_tEEE10hipError_tPvRmT1_PNSt15iterator_traitsIS12_E10value_typeET2_T3_PNS13_IS18_E10value_typeET4_jRbjT5_S1E_jjP12ihipStream_tbEUljE_ZNSN_ISO_Lb0ESQ_SR_ST_SU_SY_EESZ_S10_S11_S12_S16_S17_S18_S1B_S1C_jS1D_jS1E_S1E_jjS1G_bEUljE0_EEESZ_S10_S11_S18_S1C_S1E_T6_T7_T9_mT8_S1G_bDpT10_ENKUlT_T0_E_clISt17integral_constantIbLb1EES1T_IbLb0EEEEDaS1P_S1Q_EUlS1P_E_NS1_11comp_targetILNS1_3genE5ELNS1_11target_archE942ELNS1_3gpuE9ELNS1_3repE0EEENS1_30default_config_static_selectorELNS0_4arch9wavefront6targetE0EEEvS12_.has_recursion, 0
	.set _ZN7rocprim17ROCPRIM_400000_NS6detail17trampoline_kernelINS0_13select_configILj256ELj13ELNS0_17block_load_methodE3ELS4_3ELS4_3ELNS0_20block_scan_algorithmE0ELj4294967295EEENS1_25partition_config_selectorILNS1_17partition_subalgoE4EjNS0_10empty_typeEbEEZZNS1_14partition_implILS8_4ELb0ES6_15HIP_vector_typeIjLj2EENS0_17counting_iteratorIjlEEPS9_SG_NS0_5tupleIJPjSI_NS0_16reverse_iteratorISI_EEEEENSH_IJSG_SG_SG_EEES9_SI_JZNS1_25segmented_radix_sort_implINS0_14default_configELb0EPKbPbPKlPlN2at6native12_GLOBAL__N_18offset_tEEE10hipError_tPvRmT1_PNSt15iterator_traitsIS12_E10value_typeET2_T3_PNS13_IS18_E10value_typeET4_jRbjT5_S1E_jjP12ihipStream_tbEUljE_ZNSN_ISO_Lb0ESQ_SR_ST_SU_SY_EESZ_S10_S11_S12_S16_S17_S18_S1B_S1C_jS1D_jS1E_S1E_jjS1G_bEUljE0_EEESZ_S10_S11_S18_S1C_S1E_T6_T7_T9_mT8_S1G_bDpT10_ENKUlT_T0_E_clISt17integral_constantIbLb1EES1T_IbLb0EEEEDaS1P_S1Q_EUlS1P_E_NS1_11comp_targetILNS1_3genE5ELNS1_11target_archE942ELNS1_3gpuE9ELNS1_3repE0EEENS1_30default_config_static_selectorELNS0_4arch9wavefront6targetE0EEEvS12_.has_indirect_call, 0
	.section	.AMDGPU.csdata,"",@progbits
; Kernel info:
; codeLenInByte = 0
; TotalNumSgprs: 0
; NumVgprs: 0
; ScratchSize: 0
; MemoryBound: 0
; FloatMode: 240
; IeeeMode: 1
; LDSByteSize: 0 bytes/workgroup (compile time only)
; SGPRBlocks: 0
; VGPRBlocks: 0
; NumSGPRsForWavesPerEU: 1
; NumVGPRsForWavesPerEU: 1
; NamedBarCnt: 0
; Occupancy: 16
; WaveLimiterHint : 0
; COMPUTE_PGM_RSRC2:SCRATCH_EN: 0
; COMPUTE_PGM_RSRC2:USER_SGPR: 2
; COMPUTE_PGM_RSRC2:TRAP_HANDLER: 0
; COMPUTE_PGM_RSRC2:TGID_X_EN: 1
; COMPUTE_PGM_RSRC2:TGID_Y_EN: 0
; COMPUTE_PGM_RSRC2:TGID_Z_EN: 0
; COMPUTE_PGM_RSRC2:TIDIG_COMP_CNT: 0
	.section	.text._ZN7rocprim17ROCPRIM_400000_NS6detail17trampoline_kernelINS0_13select_configILj256ELj13ELNS0_17block_load_methodE3ELS4_3ELS4_3ELNS0_20block_scan_algorithmE0ELj4294967295EEENS1_25partition_config_selectorILNS1_17partition_subalgoE4EjNS0_10empty_typeEbEEZZNS1_14partition_implILS8_4ELb0ES6_15HIP_vector_typeIjLj2EENS0_17counting_iteratorIjlEEPS9_SG_NS0_5tupleIJPjSI_NS0_16reverse_iteratorISI_EEEEENSH_IJSG_SG_SG_EEES9_SI_JZNS1_25segmented_radix_sort_implINS0_14default_configELb0EPKbPbPKlPlN2at6native12_GLOBAL__N_18offset_tEEE10hipError_tPvRmT1_PNSt15iterator_traitsIS12_E10value_typeET2_T3_PNS13_IS18_E10value_typeET4_jRbjT5_S1E_jjP12ihipStream_tbEUljE_ZNSN_ISO_Lb0ESQ_SR_ST_SU_SY_EESZ_S10_S11_S12_S16_S17_S18_S1B_S1C_jS1D_jS1E_S1E_jjS1G_bEUljE0_EEESZ_S10_S11_S18_S1C_S1E_T6_T7_T9_mT8_S1G_bDpT10_ENKUlT_T0_E_clISt17integral_constantIbLb1EES1T_IbLb0EEEEDaS1P_S1Q_EUlS1P_E_NS1_11comp_targetILNS1_3genE4ELNS1_11target_archE910ELNS1_3gpuE8ELNS1_3repE0EEENS1_30default_config_static_selectorELNS0_4arch9wavefront6targetE0EEEvS12_,"axG",@progbits,_ZN7rocprim17ROCPRIM_400000_NS6detail17trampoline_kernelINS0_13select_configILj256ELj13ELNS0_17block_load_methodE3ELS4_3ELS4_3ELNS0_20block_scan_algorithmE0ELj4294967295EEENS1_25partition_config_selectorILNS1_17partition_subalgoE4EjNS0_10empty_typeEbEEZZNS1_14partition_implILS8_4ELb0ES6_15HIP_vector_typeIjLj2EENS0_17counting_iteratorIjlEEPS9_SG_NS0_5tupleIJPjSI_NS0_16reverse_iteratorISI_EEEEENSH_IJSG_SG_SG_EEES9_SI_JZNS1_25segmented_radix_sort_implINS0_14default_configELb0EPKbPbPKlPlN2at6native12_GLOBAL__N_18offset_tEEE10hipError_tPvRmT1_PNSt15iterator_traitsIS12_E10value_typeET2_T3_PNS13_IS18_E10value_typeET4_jRbjT5_S1E_jjP12ihipStream_tbEUljE_ZNSN_ISO_Lb0ESQ_SR_ST_SU_SY_EESZ_S10_S11_S12_S16_S17_S18_S1B_S1C_jS1D_jS1E_S1E_jjS1G_bEUljE0_EEESZ_S10_S11_S18_S1C_S1E_T6_T7_T9_mT8_S1G_bDpT10_ENKUlT_T0_E_clISt17integral_constantIbLb1EES1T_IbLb0EEEEDaS1P_S1Q_EUlS1P_E_NS1_11comp_targetILNS1_3genE4ELNS1_11target_archE910ELNS1_3gpuE8ELNS1_3repE0EEENS1_30default_config_static_selectorELNS0_4arch9wavefront6targetE0EEEvS12_,comdat
	.globl	_ZN7rocprim17ROCPRIM_400000_NS6detail17trampoline_kernelINS0_13select_configILj256ELj13ELNS0_17block_load_methodE3ELS4_3ELS4_3ELNS0_20block_scan_algorithmE0ELj4294967295EEENS1_25partition_config_selectorILNS1_17partition_subalgoE4EjNS0_10empty_typeEbEEZZNS1_14partition_implILS8_4ELb0ES6_15HIP_vector_typeIjLj2EENS0_17counting_iteratorIjlEEPS9_SG_NS0_5tupleIJPjSI_NS0_16reverse_iteratorISI_EEEEENSH_IJSG_SG_SG_EEES9_SI_JZNS1_25segmented_radix_sort_implINS0_14default_configELb0EPKbPbPKlPlN2at6native12_GLOBAL__N_18offset_tEEE10hipError_tPvRmT1_PNSt15iterator_traitsIS12_E10value_typeET2_T3_PNS13_IS18_E10value_typeET4_jRbjT5_S1E_jjP12ihipStream_tbEUljE_ZNSN_ISO_Lb0ESQ_SR_ST_SU_SY_EESZ_S10_S11_S12_S16_S17_S18_S1B_S1C_jS1D_jS1E_S1E_jjS1G_bEUljE0_EEESZ_S10_S11_S18_S1C_S1E_T6_T7_T9_mT8_S1G_bDpT10_ENKUlT_T0_E_clISt17integral_constantIbLb1EES1T_IbLb0EEEEDaS1P_S1Q_EUlS1P_E_NS1_11comp_targetILNS1_3genE4ELNS1_11target_archE910ELNS1_3gpuE8ELNS1_3repE0EEENS1_30default_config_static_selectorELNS0_4arch9wavefront6targetE0EEEvS12_ ; -- Begin function _ZN7rocprim17ROCPRIM_400000_NS6detail17trampoline_kernelINS0_13select_configILj256ELj13ELNS0_17block_load_methodE3ELS4_3ELS4_3ELNS0_20block_scan_algorithmE0ELj4294967295EEENS1_25partition_config_selectorILNS1_17partition_subalgoE4EjNS0_10empty_typeEbEEZZNS1_14partition_implILS8_4ELb0ES6_15HIP_vector_typeIjLj2EENS0_17counting_iteratorIjlEEPS9_SG_NS0_5tupleIJPjSI_NS0_16reverse_iteratorISI_EEEEENSH_IJSG_SG_SG_EEES9_SI_JZNS1_25segmented_radix_sort_implINS0_14default_configELb0EPKbPbPKlPlN2at6native12_GLOBAL__N_18offset_tEEE10hipError_tPvRmT1_PNSt15iterator_traitsIS12_E10value_typeET2_T3_PNS13_IS18_E10value_typeET4_jRbjT5_S1E_jjP12ihipStream_tbEUljE_ZNSN_ISO_Lb0ESQ_SR_ST_SU_SY_EESZ_S10_S11_S12_S16_S17_S18_S1B_S1C_jS1D_jS1E_S1E_jjS1G_bEUljE0_EEESZ_S10_S11_S18_S1C_S1E_T6_T7_T9_mT8_S1G_bDpT10_ENKUlT_T0_E_clISt17integral_constantIbLb1EES1T_IbLb0EEEEDaS1P_S1Q_EUlS1P_E_NS1_11comp_targetILNS1_3genE4ELNS1_11target_archE910ELNS1_3gpuE8ELNS1_3repE0EEENS1_30default_config_static_selectorELNS0_4arch9wavefront6targetE0EEEvS12_
	.p2align	8
	.type	_ZN7rocprim17ROCPRIM_400000_NS6detail17trampoline_kernelINS0_13select_configILj256ELj13ELNS0_17block_load_methodE3ELS4_3ELS4_3ELNS0_20block_scan_algorithmE0ELj4294967295EEENS1_25partition_config_selectorILNS1_17partition_subalgoE4EjNS0_10empty_typeEbEEZZNS1_14partition_implILS8_4ELb0ES6_15HIP_vector_typeIjLj2EENS0_17counting_iteratorIjlEEPS9_SG_NS0_5tupleIJPjSI_NS0_16reverse_iteratorISI_EEEEENSH_IJSG_SG_SG_EEES9_SI_JZNS1_25segmented_radix_sort_implINS0_14default_configELb0EPKbPbPKlPlN2at6native12_GLOBAL__N_18offset_tEEE10hipError_tPvRmT1_PNSt15iterator_traitsIS12_E10value_typeET2_T3_PNS13_IS18_E10value_typeET4_jRbjT5_S1E_jjP12ihipStream_tbEUljE_ZNSN_ISO_Lb0ESQ_SR_ST_SU_SY_EESZ_S10_S11_S12_S16_S17_S18_S1B_S1C_jS1D_jS1E_S1E_jjS1G_bEUljE0_EEESZ_S10_S11_S18_S1C_S1E_T6_T7_T9_mT8_S1G_bDpT10_ENKUlT_T0_E_clISt17integral_constantIbLb1EES1T_IbLb0EEEEDaS1P_S1Q_EUlS1P_E_NS1_11comp_targetILNS1_3genE4ELNS1_11target_archE910ELNS1_3gpuE8ELNS1_3repE0EEENS1_30default_config_static_selectorELNS0_4arch9wavefront6targetE0EEEvS12_,@function
_ZN7rocprim17ROCPRIM_400000_NS6detail17trampoline_kernelINS0_13select_configILj256ELj13ELNS0_17block_load_methodE3ELS4_3ELS4_3ELNS0_20block_scan_algorithmE0ELj4294967295EEENS1_25partition_config_selectorILNS1_17partition_subalgoE4EjNS0_10empty_typeEbEEZZNS1_14partition_implILS8_4ELb0ES6_15HIP_vector_typeIjLj2EENS0_17counting_iteratorIjlEEPS9_SG_NS0_5tupleIJPjSI_NS0_16reverse_iteratorISI_EEEEENSH_IJSG_SG_SG_EEES9_SI_JZNS1_25segmented_radix_sort_implINS0_14default_configELb0EPKbPbPKlPlN2at6native12_GLOBAL__N_18offset_tEEE10hipError_tPvRmT1_PNSt15iterator_traitsIS12_E10value_typeET2_T3_PNS13_IS18_E10value_typeET4_jRbjT5_S1E_jjP12ihipStream_tbEUljE_ZNSN_ISO_Lb0ESQ_SR_ST_SU_SY_EESZ_S10_S11_S12_S16_S17_S18_S1B_S1C_jS1D_jS1E_S1E_jjS1G_bEUljE0_EEESZ_S10_S11_S18_S1C_S1E_T6_T7_T9_mT8_S1G_bDpT10_ENKUlT_T0_E_clISt17integral_constantIbLb1EES1T_IbLb0EEEEDaS1P_S1Q_EUlS1P_E_NS1_11comp_targetILNS1_3genE4ELNS1_11target_archE910ELNS1_3gpuE8ELNS1_3repE0EEENS1_30default_config_static_selectorELNS0_4arch9wavefront6targetE0EEEvS12_: ; @_ZN7rocprim17ROCPRIM_400000_NS6detail17trampoline_kernelINS0_13select_configILj256ELj13ELNS0_17block_load_methodE3ELS4_3ELS4_3ELNS0_20block_scan_algorithmE0ELj4294967295EEENS1_25partition_config_selectorILNS1_17partition_subalgoE4EjNS0_10empty_typeEbEEZZNS1_14partition_implILS8_4ELb0ES6_15HIP_vector_typeIjLj2EENS0_17counting_iteratorIjlEEPS9_SG_NS0_5tupleIJPjSI_NS0_16reverse_iteratorISI_EEEEENSH_IJSG_SG_SG_EEES9_SI_JZNS1_25segmented_radix_sort_implINS0_14default_configELb0EPKbPbPKlPlN2at6native12_GLOBAL__N_18offset_tEEE10hipError_tPvRmT1_PNSt15iterator_traitsIS12_E10value_typeET2_T3_PNS13_IS18_E10value_typeET4_jRbjT5_S1E_jjP12ihipStream_tbEUljE_ZNSN_ISO_Lb0ESQ_SR_ST_SU_SY_EESZ_S10_S11_S12_S16_S17_S18_S1B_S1C_jS1D_jS1E_S1E_jjS1G_bEUljE0_EEESZ_S10_S11_S18_S1C_S1E_T6_T7_T9_mT8_S1G_bDpT10_ENKUlT_T0_E_clISt17integral_constantIbLb1EES1T_IbLb0EEEEDaS1P_S1Q_EUlS1P_E_NS1_11comp_targetILNS1_3genE4ELNS1_11target_archE910ELNS1_3gpuE8ELNS1_3repE0EEENS1_30default_config_static_selectorELNS0_4arch9wavefront6targetE0EEEvS12_
; %bb.0:
	.section	.rodata,"a",@progbits
	.p2align	6, 0x0
	.amdhsa_kernel _ZN7rocprim17ROCPRIM_400000_NS6detail17trampoline_kernelINS0_13select_configILj256ELj13ELNS0_17block_load_methodE3ELS4_3ELS4_3ELNS0_20block_scan_algorithmE0ELj4294967295EEENS1_25partition_config_selectorILNS1_17partition_subalgoE4EjNS0_10empty_typeEbEEZZNS1_14partition_implILS8_4ELb0ES6_15HIP_vector_typeIjLj2EENS0_17counting_iteratorIjlEEPS9_SG_NS0_5tupleIJPjSI_NS0_16reverse_iteratorISI_EEEEENSH_IJSG_SG_SG_EEES9_SI_JZNS1_25segmented_radix_sort_implINS0_14default_configELb0EPKbPbPKlPlN2at6native12_GLOBAL__N_18offset_tEEE10hipError_tPvRmT1_PNSt15iterator_traitsIS12_E10value_typeET2_T3_PNS13_IS18_E10value_typeET4_jRbjT5_S1E_jjP12ihipStream_tbEUljE_ZNSN_ISO_Lb0ESQ_SR_ST_SU_SY_EESZ_S10_S11_S12_S16_S17_S18_S1B_S1C_jS1D_jS1E_S1E_jjS1G_bEUljE0_EEESZ_S10_S11_S18_S1C_S1E_T6_T7_T9_mT8_S1G_bDpT10_ENKUlT_T0_E_clISt17integral_constantIbLb1EES1T_IbLb0EEEEDaS1P_S1Q_EUlS1P_E_NS1_11comp_targetILNS1_3genE4ELNS1_11target_archE910ELNS1_3gpuE8ELNS1_3repE0EEENS1_30default_config_static_selectorELNS0_4arch9wavefront6targetE0EEEvS12_
		.amdhsa_group_segment_fixed_size 0
		.amdhsa_private_segment_fixed_size 0
		.amdhsa_kernarg_size 176
		.amdhsa_user_sgpr_count 2
		.amdhsa_user_sgpr_dispatch_ptr 0
		.amdhsa_user_sgpr_queue_ptr 0
		.amdhsa_user_sgpr_kernarg_segment_ptr 1
		.amdhsa_user_sgpr_dispatch_id 0
		.amdhsa_user_sgpr_kernarg_preload_length 0
		.amdhsa_user_sgpr_kernarg_preload_offset 0
		.amdhsa_user_sgpr_private_segment_size 0
		.amdhsa_wavefront_size32 1
		.amdhsa_uses_dynamic_stack 0
		.amdhsa_enable_private_segment 0
		.amdhsa_system_sgpr_workgroup_id_x 1
		.amdhsa_system_sgpr_workgroup_id_y 0
		.amdhsa_system_sgpr_workgroup_id_z 0
		.amdhsa_system_sgpr_workgroup_info 0
		.amdhsa_system_vgpr_workitem_id 0
		.amdhsa_next_free_vgpr 1
		.amdhsa_next_free_sgpr 1
		.amdhsa_named_barrier_count 0
		.amdhsa_reserve_vcc 0
		.amdhsa_float_round_mode_32 0
		.amdhsa_float_round_mode_16_64 0
		.amdhsa_float_denorm_mode_32 3
		.amdhsa_float_denorm_mode_16_64 3
		.amdhsa_fp16_overflow 0
		.amdhsa_memory_ordered 1
		.amdhsa_forward_progress 1
		.amdhsa_inst_pref_size 0
		.amdhsa_round_robin_scheduling 0
		.amdhsa_exception_fp_ieee_invalid_op 0
		.amdhsa_exception_fp_denorm_src 0
		.amdhsa_exception_fp_ieee_div_zero 0
		.amdhsa_exception_fp_ieee_overflow 0
		.amdhsa_exception_fp_ieee_underflow 0
		.amdhsa_exception_fp_ieee_inexact 0
		.amdhsa_exception_int_div_zero 0
	.end_amdhsa_kernel
	.section	.text._ZN7rocprim17ROCPRIM_400000_NS6detail17trampoline_kernelINS0_13select_configILj256ELj13ELNS0_17block_load_methodE3ELS4_3ELS4_3ELNS0_20block_scan_algorithmE0ELj4294967295EEENS1_25partition_config_selectorILNS1_17partition_subalgoE4EjNS0_10empty_typeEbEEZZNS1_14partition_implILS8_4ELb0ES6_15HIP_vector_typeIjLj2EENS0_17counting_iteratorIjlEEPS9_SG_NS0_5tupleIJPjSI_NS0_16reverse_iteratorISI_EEEEENSH_IJSG_SG_SG_EEES9_SI_JZNS1_25segmented_radix_sort_implINS0_14default_configELb0EPKbPbPKlPlN2at6native12_GLOBAL__N_18offset_tEEE10hipError_tPvRmT1_PNSt15iterator_traitsIS12_E10value_typeET2_T3_PNS13_IS18_E10value_typeET4_jRbjT5_S1E_jjP12ihipStream_tbEUljE_ZNSN_ISO_Lb0ESQ_SR_ST_SU_SY_EESZ_S10_S11_S12_S16_S17_S18_S1B_S1C_jS1D_jS1E_S1E_jjS1G_bEUljE0_EEESZ_S10_S11_S18_S1C_S1E_T6_T7_T9_mT8_S1G_bDpT10_ENKUlT_T0_E_clISt17integral_constantIbLb1EES1T_IbLb0EEEEDaS1P_S1Q_EUlS1P_E_NS1_11comp_targetILNS1_3genE4ELNS1_11target_archE910ELNS1_3gpuE8ELNS1_3repE0EEENS1_30default_config_static_selectorELNS0_4arch9wavefront6targetE0EEEvS12_,"axG",@progbits,_ZN7rocprim17ROCPRIM_400000_NS6detail17trampoline_kernelINS0_13select_configILj256ELj13ELNS0_17block_load_methodE3ELS4_3ELS4_3ELNS0_20block_scan_algorithmE0ELj4294967295EEENS1_25partition_config_selectorILNS1_17partition_subalgoE4EjNS0_10empty_typeEbEEZZNS1_14partition_implILS8_4ELb0ES6_15HIP_vector_typeIjLj2EENS0_17counting_iteratorIjlEEPS9_SG_NS0_5tupleIJPjSI_NS0_16reverse_iteratorISI_EEEEENSH_IJSG_SG_SG_EEES9_SI_JZNS1_25segmented_radix_sort_implINS0_14default_configELb0EPKbPbPKlPlN2at6native12_GLOBAL__N_18offset_tEEE10hipError_tPvRmT1_PNSt15iterator_traitsIS12_E10value_typeET2_T3_PNS13_IS18_E10value_typeET4_jRbjT5_S1E_jjP12ihipStream_tbEUljE_ZNSN_ISO_Lb0ESQ_SR_ST_SU_SY_EESZ_S10_S11_S12_S16_S17_S18_S1B_S1C_jS1D_jS1E_S1E_jjS1G_bEUljE0_EEESZ_S10_S11_S18_S1C_S1E_T6_T7_T9_mT8_S1G_bDpT10_ENKUlT_T0_E_clISt17integral_constantIbLb1EES1T_IbLb0EEEEDaS1P_S1Q_EUlS1P_E_NS1_11comp_targetILNS1_3genE4ELNS1_11target_archE910ELNS1_3gpuE8ELNS1_3repE0EEENS1_30default_config_static_selectorELNS0_4arch9wavefront6targetE0EEEvS12_,comdat
.Lfunc_end1580:
	.size	_ZN7rocprim17ROCPRIM_400000_NS6detail17trampoline_kernelINS0_13select_configILj256ELj13ELNS0_17block_load_methodE3ELS4_3ELS4_3ELNS0_20block_scan_algorithmE0ELj4294967295EEENS1_25partition_config_selectorILNS1_17partition_subalgoE4EjNS0_10empty_typeEbEEZZNS1_14partition_implILS8_4ELb0ES6_15HIP_vector_typeIjLj2EENS0_17counting_iteratorIjlEEPS9_SG_NS0_5tupleIJPjSI_NS0_16reverse_iteratorISI_EEEEENSH_IJSG_SG_SG_EEES9_SI_JZNS1_25segmented_radix_sort_implINS0_14default_configELb0EPKbPbPKlPlN2at6native12_GLOBAL__N_18offset_tEEE10hipError_tPvRmT1_PNSt15iterator_traitsIS12_E10value_typeET2_T3_PNS13_IS18_E10value_typeET4_jRbjT5_S1E_jjP12ihipStream_tbEUljE_ZNSN_ISO_Lb0ESQ_SR_ST_SU_SY_EESZ_S10_S11_S12_S16_S17_S18_S1B_S1C_jS1D_jS1E_S1E_jjS1G_bEUljE0_EEESZ_S10_S11_S18_S1C_S1E_T6_T7_T9_mT8_S1G_bDpT10_ENKUlT_T0_E_clISt17integral_constantIbLb1EES1T_IbLb0EEEEDaS1P_S1Q_EUlS1P_E_NS1_11comp_targetILNS1_3genE4ELNS1_11target_archE910ELNS1_3gpuE8ELNS1_3repE0EEENS1_30default_config_static_selectorELNS0_4arch9wavefront6targetE0EEEvS12_, .Lfunc_end1580-_ZN7rocprim17ROCPRIM_400000_NS6detail17trampoline_kernelINS0_13select_configILj256ELj13ELNS0_17block_load_methodE3ELS4_3ELS4_3ELNS0_20block_scan_algorithmE0ELj4294967295EEENS1_25partition_config_selectorILNS1_17partition_subalgoE4EjNS0_10empty_typeEbEEZZNS1_14partition_implILS8_4ELb0ES6_15HIP_vector_typeIjLj2EENS0_17counting_iteratorIjlEEPS9_SG_NS0_5tupleIJPjSI_NS0_16reverse_iteratorISI_EEEEENSH_IJSG_SG_SG_EEES9_SI_JZNS1_25segmented_radix_sort_implINS0_14default_configELb0EPKbPbPKlPlN2at6native12_GLOBAL__N_18offset_tEEE10hipError_tPvRmT1_PNSt15iterator_traitsIS12_E10value_typeET2_T3_PNS13_IS18_E10value_typeET4_jRbjT5_S1E_jjP12ihipStream_tbEUljE_ZNSN_ISO_Lb0ESQ_SR_ST_SU_SY_EESZ_S10_S11_S12_S16_S17_S18_S1B_S1C_jS1D_jS1E_S1E_jjS1G_bEUljE0_EEESZ_S10_S11_S18_S1C_S1E_T6_T7_T9_mT8_S1G_bDpT10_ENKUlT_T0_E_clISt17integral_constantIbLb1EES1T_IbLb0EEEEDaS1P_S1Q_EUlS1P_E_NS1_11comp_targetILNS1_3genE4ELNS1_11target_archE910ELNS1_3gpuE8ELNS1_3repE0EEENS1_30default_config_static_selectorELNS0_4arch9wavefront6targetE0EEEvS12_
                                        ; -- End function
	.set _ZN7rocprim17ROCPRIM_400000_NS6detail17trampoline_kernelINS0_13select_configILj256ELj13ELNS0_17block_load_methodE3ELS4_3ELS4_3ELNS0_20block_scan_algorithmE0ELj4294967295EEENS1_25partition_config_selectorILNS1_17partition_subalgoE4EjNS0_10empty_typeEbEEZZNS1_14partition_implILS8_4ELb0ES6_15HIP_vector_typeIjLj2EENS0_17counting_iteratorIjlEEPS9_SG_NS0_5tupleIJPjSI_NS0_16reverse_iteratorISI_EEEEENSH_IJSG_SG_SG_EEES9_SI_JZNS1_25segmented_radix_sort_implINS0_14default_configELb0EPKbPbPKlPlN2at6native12_GLOBAL__N_18offset_tEEE10hipError_tPvRmT1_PNSt15iterator_traitsIS12_E10value_typeET2_T3_PNS13_IS18_E10value_typeET4_jRbjT5_S1E_jjP12ihipStream_tbEUljE_ZNSN_ISO_Lb0ESQ_SR_ST_SU_SY_EESZ_S10_S11_S12_S16_S17_S18_S1B_S1C_jS1D_jS1E_S1E_jjS1G_bEUljE0_EEESZ_S10_S11_S18_S1C_S1E_T6_T7_T9_mT8_S1G_bDpT10_ENKUlT_T0_E_clISt17integral_constantIbLb1EES1T_IbLb0EEEEDaS1P_S1Q_EUlS1P_E_NS1_11comp_targetILNS1_3genE4ELNS1_11target_archE910ELNS1_3gpuE8ELNS1_3repE0EEENS1_30default_config_static_selectorELNS0_4arch9wavefront6targetE0EEEvS12_.num_vgpr, 0
	.set _ZN7rocprim17ROCPRIM_400000_NS6detail17trampoline_kernelINS0_13select_configILj256ELj13ELNS0_17block_load_methodE3ELS4_3ELS4_3ELNS0_20block_scan_algorithmE0ELj4294967295EEENS1_25partition_config_selectorILNS1_17partition_subalgoE4EjNS0_10empty_typeEbEEZZNS1_14partition_implILS8_4ELb0ES6_15HIP_vector_typeIjLj2EENS0_17counting_iteratorIjlEEPS9_SG_NS0_5tupleIJPjSI_NS0_16reverse_iteratorISI_EEEEENSH_IJSG_SG_SG_EEES9_SI_JZNS1_25segmented_radix_sort_implINS0_14default_configELb0EPKbPbPKlPlN2at6native12_GLOBAL__N_18offset_tEEE10hipError_tPvRmT1_PNSt15iterator_traitsIS12_E10value_typeET2_T3_PNS13_IS18_E10value_typeET4_jRbjT5_S1E_jjP12ihipStream_tbEUljE_ZNSN_ISO_Lb0ESQ_SR_ST_SU_SY_EESZ_S10_S11_S12_S16_S17_S18_S1B_S1C_jS1D_jS1E_S1E_jjS1G_bEUljE0_EEESZ_S10_S11_S18_S1C_S1E_T6_T7_T9_mT8_S1G_bDpT10_ENKUlT_T0_E_clISt17integral_constantIbLb1EES1T_IbLb0EEEEDaS1P_S1Q_EUlS1P_E_NS1_11comp_targetILNS1_3genE4ELNS1_11target_archE910ELNS1_3gpuE8ELNS1_3repE0EEENS1_30default_config_static_selectorELNS0_4arch9wavefront6targetE0EEEvS12_.num_agpr, 0
	.set _ZN7rocprim17ROCPRIM_400000_NS6detail17trampoline_kernelINS0_13select_configILj256ELj13ELNS0_17block_load_methodE3ELS4_3ELS4_3ELNS0_20block_scan_algorithmE0ELj4294967295EEENS1_25partition_config_selectorILNS1_17partition_subalgoE4EjNS0_10empty_typeEbEEZZNS1_14partition_implILS8_4ELb0ES6_15HIP_vector_typeIjLj2EENS0_17counting_iteratorIjlEEPS9_SG_NS0_5tupleIJPjSI_NS0_16reverse_iteratorISI_EEEEENSH_IJSG_SG_SG_EEES9_SI_JZNS1_25segmented_radix_sort_implINS0_14default_configELb0EPKbPbPKlPlN2at6native12_GLOBAL__N_18offset_tEEE10hipError_tPvRmT1_PNSt15iterator_traitsIS12_E10value_typeET2_T3_PNS13_IS18_E10value_typeET4_jRbjT5_S1E_jjP12ihipStream_tbEUljE_ZNSN_ISO_Lb0ESQ_SR_ST_SU_SY_EESZ_S10_S11_S12_S16_S17_S18_S1B_S1C_jS1D_jS1E_S1E_jjS1G_bEUljE0_EEESZ_S10_S11_S18_S1C_S1E_T6_T7_T9_mT8_S1G_bDpT10_ENKUlT_T0_E_clISt17integral_constantIbLb1EES1T_IbLb0EEEEDaS1P_S1Q_EUlS1P_E_NS1_11comp_targetILNS1_3genE4ELNS1_11target_archE910ELNS1_3gpuE8ELNS1_3repE0EEENS1_30default_config_static_selectorELNS0_4arch9wavefront6targetE0EEEvS12_.numbered_sgpr, 0
	.set _ZN7rocprim17ROCPRIM_400000_NS6detail17trampoline_kernelINS0_13select_configILj256ELj13ELNS0_17block_load_methodE3ELS4_3ELS4_3ELNS0_20block_scan_algorithmE0ELj4294967295EEENS1_25partition_config_selectorILNS1_17partition_subalgoE4EjNS0_10empty_typeEbEEZZNS1_14partition_implILS8_4ELb0ES6_15HIP_vector_typeIjLj2EENS0_17counting_iteratorIjlEEPS9_SG_NS0_5tupleIJPjSI_NS0_16reverse_iteratorISI_EEEEENSH_IJSG_SG_SG_EEES9_SI_JZNS1_25segmented_radix_sort_implINS0_14default_configELb0EPKbPbPKlPlN2at6native12_GLOBAL__N_18offset_tEEE10hipError_tPvRmT1_PNSt15iterator_traitsIS12_E10value_typeET2_T3_PNS13_IS18_E10value_typeET4_jRbjT5_S1E_jjP12ihipStream_tbEUljE_ZNSN_ISO_Lb0ESQ_SR_ST_SU_SY_EESZ_S10_S11_S12_S16_S17_S18_S1B_S1C_jS1D_jS1E_S1E_jjS1G_bEUljE0_EEESZ_S10_S11_S18_S1C_S1E_T6_T7_T9_mT8_S1G_bDpT10_ENKUlT_T0_E_clISt17integral_constantIbLb1EES1T_IbLb0EEEEDaS1P_S1Q_EUlS1P_E_NS1_11comp_targetILNS1_3genE4ELNS1_11target_archE910ELNS1_3gpuE8ELNS1_3repE0EEENS1_30default_config_static_selectorELNS0_4arch9wavefront6targetE0EEEvS12_.num_named_barrier, 0
	.set _ZN7rocprim17ROCPRIM_400000_NS6detail17trampoline_kernelINS0_13select_configILj256ELj13ELNS0_17block_load_methodE3ELS4_3ELS4_3ELNS0_20block_scan_algorithmE0ELj4294967295EEENS1_25partition_config_selectorILNS1_17partition_subalgoE4EjNS0_10empty_typeEbEEZZNS1_14partition_implILS8_4ELb0ES6_15HIP_vector_typeIjLj2EENS0_17counting_iteratorIjlEEPS9_SG_NS0_5tupleIJPjSI_NS0_16reverse_iteratorISI_EEEEENSH_IJSG_SG_SG_EEES9_SI_JZNS1_25segmented_radix_sort_implINS0_14default_configELb0EPKbPbPKlPlN2at6native12_GLOBAL__N_18offset_tEEE10hipError_tPvRmT1_PNSt15iterator_traitsIS12_E10value_typeET2_T3_PNS13_IS18_E10value_typeET4_jRbjT5_S1E_jjP12ihipStream_tbEUljE_ZNSN_ISO_Lb0ESQ_SR_ST_SU_SY_EESZ_S10_S11_S12_S16_S17_S18_S1B_S1C_jS1D_jS1E_S1E_jjS1G_bEUljE0_EEESZ_S10_S11_S18_S1C_S1E_T6_T7_T9_mT8_S1G_bDpT10_ENKUlT_T0_E_clISt17integral_constantIbLb1EES1T_IbLb0EEEEDaS1P_S1Q_EUlS1P_E_NS1_11comp_targetILNS1_3genE4ELNS1_11target_archE910ELNS1_3gpuE8ELNS1_3repE0EEENS1_30default_config_static_selectorELNS0_4arch9wavefront6targetE0EEEvS12_.private_seg_size, 0
	.set _ZN7rocprim17ROCPRIM_400000_NS6detail17trampoline_kernelINS0_13select_configILj256ELj13ELNS0_17block_load_methodE3ELS4_3ELS4_3ELNS0_20block_scan_algorithmE0ELj4294967295EEENS1_25partition_config_selectorILNS1_17partition_subalgoE4EjNS0_10empty_typeEbEEZZNS1_14partition_implILS8_4ELb0ES6_15HIP_vector_typeIjLj2EENS0_17counting_iteratorIjlEEPS9_SG_NS0_5tupleIJPjSI_NS0_16reverse_iteratorISI_EEEEENSH_IJSG_SG_SG_EEES9_SI_JZNS1_25segmented_radix_sort_implINS0_14default_configELb0EPKbPbPKlPlN2at6native12_GLOBAL__N_18offset_tEEE10hipError_tPvRmT1_PNSt15iterator_traitsIS12_E10value_typeET2_T3_PNS13_IS18_E10value_typeET4_jRbjT5_S1E_jjP12ihipStream_tbEUljE_ZNSN_ISO_Lb0ESQ_SR_ST_SU_SY_EESZ_S10_S11_S12_S16_S17_S18_S1B_S1C_jS1D_jS1E_S1E_jjS1G_bEUljE0_EEESZ_S10_S11_S18_S1C_S1E_T6_T7_T9_mT8_S1G_bDpT10_ENKUlT_T0_E_clISt17integral_constantIbLb1EES1T_IbLb0EEEEDaS1P_S1Q_EUlS1P_E_NS1_11comp_targetILNS1_3genE4ELNS1_11target_archE910ELNS1_3gpuE8ELNS1_3repE0EEENS1_30default_config_static_selectorELNS0_4arch9wavefront6targetE0EEEvS12_.uses_vcc, 0
	.set _ZN7rocprim17ROCPRIM_400000_NS6detail17trampoline_kernelINS0_13select_configILj256ELj13ELNS0_17block_load_methodE3ELS4_3ELS4_3ELNS0_20block_scan_algorithmE0ELj4294967295EEENS1_25partition_config_selectorILNS1_17partition_subalgoE4EjNS0_10empty_typeEbEEZZNS1_14partition_implILS8_4ELb0ES6_15HIP_vector_typeIjLj2EENS0_17counting_iteratorIjlEEPS9_SG_NS0_5tupleIJPjSI_NS0_16reverse_iteratorISI_EEEEENSH_IJSG_SG_SG_EEES9_SI_JZNS1_25segmented_radix_sort_implINS0_14default_configELb0EPKbPbPKlPlN2at6native12_GLOBAL__N_18offset_tEEE10hipError_tPvRmT1_PNSt15iterator_traitsIS12_E10value_typeET2_T3_PNS13_IS18_E10value_typeET4_jRbjT5_S1E_jjP12ihipStream_tbEUljE_ZNSN_ISO_Lb0ESQ_SR_ST_SU_SY_EESZ_S10_S11_S12_S16_S17_S18_S1B_S1C_jS1D_jS1E_S1E_jjS1G_bEUljE0_EEESZ_S10_S11_S18_S1C_S1E_T6_T7_T9_mT8_S1G_bDpT10_ENKUlT_T0_E_clISt17integral_constantIbLb1EES1T_IbLb0EEEEDaS1P_S1Q_EUlS1P_E_NS1_11comp_targetILNS1_3genE4ELNS1_11target_archE910ELNS1_3gpuE8ELNS1_3repE0EEENS1_30default_config_static_selectorELNS0_4arch9wavefront6targetE0EEEvS12_.uses_flat_scratch, 0
	.set _ZN7rocprim17ROCPRIM_400000_NS6detail17trampoline_kernelINS0_13select_configILj256ELj13ELNS0_17block_load_methodE3ELS4_3ELS4_3ELNS0_20block_scan_algorithmE0ELj4294967295EEENS1_25partition_config_selectorILNS1_17partition_subalgoE4EjNS0_10empty_typeEbEEZZNS1_14partition_implILS8_4ELb0ES6_15HIP_vector_typeIjLj2EENS0_17counting_iteratorIjlEEPS9_SG_NS0_5tupleIJPjSI_NS0_16reverse_iteratorISI_EEEEENSH_IJSG_SG_SG_EEES9_SI_JZNS1_25segmented_radix_sort_implINS0_14default_configELb0EPKbPbPKlPlN2at6native12_GLOBAL__N_18offset_tEEE10hipError_tPvRmT1_PNSt15iterator_traitsIS12_E10value_typeET2_T3_PNS13_IS18_E10value_typeET4_jRbjT5_S1E_jjP12ihipStream_tbEUljE_ZNSN_ISO_Lb0ESQ_SR_ST_SU_SY_EESZ_S10_S11_S12_S16_S17_S18_S1B_S1C_jS1D_jS1E_S1E_jjS1G_bEUljE0_EEESZ_S10_S11_S18_S1C_S1E_T6_T7_T9_mT8_S1G_bDpT10_ENKUlT_T0_E_clISt17integral_constantIbLb1EES1T_IbLb0EEEEDaS1P_S1Q_EUlS1P_E_NS1_11comp_targetILNS1_3genE4ELNS1_11target_archE910ELNS1_3gpuE8ELNS1_3repE0EEENS1_30default_config_static_selectorELNS0_4arch9wavefront6targetE0EEEvS12_.has_dyn_sized_stack, 0
	.set _ZN7rocprim17ROCPRIM_400000_NS6detail17trampoline_kernelINS0_13select_configILj256ELj13ELNS0_17block_load_methodE3ELS4_3ELS4_3ELNS0_20block_scan_algorithmE0ELj4294967295EEENS1_25partition_config_selectorILNS1_17partition_subalgoE4EjNS0_10empty_typeEbEEZZNS1_14partition_implILS8_4ELb0ES6_15HIP_vector_typeIjLj2EENS0_17counting_iteratorIjlEEPS9_SG_NS0_5tupleIJPjSI_NS0_16reverse_iteratorISI_EEEEENSH_IJSG_SG_SG_EEES9_SI_JZNS1_25segmented_radix_sort_implINS0_14default_configELb0EPKbPbPKlPlN2at6native12_GLOBAL__N_18offset_tEEE10hipError_tPvRmT1_PNSt15iterator_traitsIS12_E10value_typeET2_T3_PNS13_IS18_E10value_typeET4_jRbjT5_S1E_jjP12ihipStream_tbEUljE_ZNSN_ISO_Lb0ESQ_SR_ST_SU_SY_EESZ_S10_S11_S12_S16_S17_S18_S1B_S1C_jS1D_jS1E_S1E_jjS1G_bEUljE0_EEESZ_S10_S11_S18_S1C_S1E_T6_T7_T9_mT8_S1G_bDpT10_ENKUlT_T0_E_clISt17integral_constantIbLb1EES1T_IbLb0EEEEDaS1P_S1Q_EUlS1P_E_NS1_11comp_targetILNS1_3genE4ELNS1_11target_archE910ELNS1_3gpuE8ELNS1_3repE0EEENS1_30default_config_static_selectorELNS0_4arch9wavefront6targetE0EEEvS12_.has_recursion, 0
	.set _ZN7rocprim17ROCPRIM_400000_NS6detail17trampoline_kernelINS0_13select_configILj256ELj13ELNS0_17block_load_methodE3ELS4_3ELS4_3ELNS0_20block_scan_algorithmE0ELj4294967295EEENS1_25partition_config_selectorILNS1_17partition_subalgoE4EjNS0_10empty_typeEbEEZZNS1_14partition_implILS8_4ELb0ES6_15HIP_vector_typeIjLj2EENS0_17counting_iteratorIjlEEPS9_SG_NS0_5tupleIJPjSI_NS0_16reverse_iteratorISI_EEEEENSH_IJSG_SG_SG_EEES9_SI_JZNS1_25segmented_radix_sort_implINS0_14default_configELb0EPKbPbPKlPlN2at6native12_GLOBAL__N_18offset_tEEE10hipError_tPvRmT1_PNSt15iterator_traitsIS12_E10value_typeET2_T3_PNS13_IS18_E10value_typeET4_jRbjT5_S1E_jjP12ihipStream_tbEUljE_ZNSN_ISO_Lb0ESQ_SR_ST_SU_SY_EESZ_S10_S11_S12_S16_S17_S18_S1B_S1C_jS1D_jS1E_S1E_jjS1G_bEUljE0_EEESZ_S10_S11_S18_S1C_S1E_T6_T7_T9_mT8_S1G_bDpT10_ENKUlT_T0_E_clISt17integral_constantIbLb1EES1T_IbLb0EEEEDaS1P_S1Q_EUlS1P_E_NS1_11comp_targetILNS1_3genE4ELNS1_11target_archE910ELNS1_3gpuE8ELNS1_3repE0EEENS1_30default_config_static_selectorELNS0_4arch9wavefront6targetE0EEEvS12_.has_indirect_call, 0
	.section	.AMDGPU.csdata,"",@progbits
; Kernel info:
; codeLenInByte = 0
; TotalNumSgprs: 0
; NumVgprs: 0
; ScratchSize: 0
; MemoryBound: 0
; FloatMode: 240
; IeeeMode: 1
; LDSByteSize: 0 bytes/workgroup (compile time only)
; SGPRBlocks: 0
; VGPRBlocks: 0
; NumSGPRsForWavesPerEU: 1
; NumVGPRsForWavesPerEU: 1
; NamedBarCnt: 0
; Occupancy: 16
; WaveLimiterHint : 0
; COMPUTE_PGM_RSRC2:SCRATCH_EN: 0
; COMPUTE_PGM_RSRC2:USER_SGPR: 2
; COMPUTE_PGM_RSRC2:TRAP_HANDLER: 0
; COMPUTE_PGM_RSRC2:TGID_X_EN: 1
; COMPUTE_PGM_RSRC2:TGID_Y_EN: 0
; COMPUTE_PGM_RSRC2:TGID_Z_EN: 0
; COMPUTE_PGM_RSRC2:TIDIG_COMP_CNT: 0
	.section	.text._ZN7rocprim17ROCPRIM_400000_NS6detail17trampoline_kernelINS0_13select_configILj256ELj13ELNS0_17block_load_methodE3ELS4_3ELS4_3ELNS0_20block_scan_algorithmE0ELj4294967295EEENS1_25partition_config_selectorILNS1_17partition_subalgoE4EjNS0_10empty_typeEbEEZZNS1_14partition_implILS8_4ELb0ES6_15HIP_vector_typeIjLj2EENS0_17counting_iteratorIjlEEPS9_SG_NS0_5tupleIJPjSI_NS0_16reverse_iteratorISI_EEEEENSH_IJSG_SG_SG_EEES9_SI_JZNS1_25segmented_radix_sort_implINS0_14default_configELb0EPKbPbPKlPlN2at6native12_GLOBAL__N_18offset_tEEE10hipError_tPvRmT1_PNSt15iterator_traitsIS12_E10value_typeET2_T3_PNS13_IS18_E10value_typeET4_jRbjT5_S1E_jjP12ihipStream_tbEUljE_ZNSN_ISO_Lb0ESQ_SR_ST_SU_SY_EESZ_S10_S11_S12_S16_S17_S18_S1B_S1C_jS1D_jS1E_S1E_jjS1G_bEUljE0_EEESZ_S10_S11_S18_S1C_S1E_T6_T7_T9_mT8_S1G_bDpT10_ENKUlT_T0_E_clISt17integral_constantIbLb1EES1T_IbLb0EEEEDaS1P_S1Q_EUlS1P_E_NS1_11comp_targetILNS1_3genE3ELNS1_11target_archE908ELNS1_3gpuE7ELNS1_3repE0EEENS1_30default_config_static_selectorELNS0_4arch9wavefront6targetE0EEEvS12_,"axG",@progbits,_ZN7rocprim17ROCPRIM_400000_NS6detail17trampoline_kernelINS0_13select_configILj256ELj13ELNS0_17block_load_methodE3ELS4_3ELS4_3ELNS0_20block_scan_algorithmE0ELj4294967295EEENS1_25partition_config_selectorILNS1_17partition_subalgoE4EjNS0_10empty_typeEbEEZZNS1_14partition_implILS8_4ELb0ES6_15HIP_vector_typeIjLj2EENS0_17counting_iteratorIjlEEPS9_SG_NS0_5tupleIJPjSI_NS0_16reverse_iteratorISI_EEEEENSH_IJSG_SG_SG_EEES9_SI_JZNS1_25segmented_radix_sort_implINS0_14default_configELb0EPKbPbPKlPlN2at6native12_GLOBAL__N_18offset_tEEE10hipError_tPvRmT1_PNSt15iterator_traitsIS12_E10value_typeET2_T3_PNS13_IS18_E10value_typeET4_jRbjT5_S1E_jjP12ihipStream_tbEUljE_ZNSN_ISO_Lb0ESQ_SR_ST_SU_SY_EESZ_S10_S11_S12_S16_S17_S18_S1B_S1C_jS1D_jS1E_S1E_jjS1G_bEUljE0_EEESZ_S10_S11_S18_S1C_S1E_T6_T7_T9_mT8_S1G_bDpT10_ENKUlT_T0_E_clISt17integral_constantIbLb1EES1T_IbLb0EEEEDaS1P_S1Q_EUlS1P_E_NS1_11comp_targetILNS1_3genE3ELNS1_11target_archE908ELNS1_3gpuE7ELNS1_3repE0EEENS1_30default_config_static_selectorELNS0_4arch9wavefront6targetE0EEEvS12_,comdat
	.globl	_ZN7rocprim17ROCPRIM_400000_NS6detail17trampoline_kernelINS0_13select_configILj256ELj13ELNS0_17block_load_methodE3ELS4_3ELS4_3ELNS0_20block_scan_algorithmE0ELj4294967295EEENS1_25partition_config_selectorILNS1_17partition_subalgoE4EjNS0_10empty_typeEbEEZZNS1_14partition_implILS8_4ELb0ES6_15HIP_vector_typeIjLj2EENS0_17counting_iteratorIjlEEPS9_SG_NS0_5tupleIJPjSI_NS0_16reverse_iteratorISI_EEEEENSH_IJSG_SG_SG_EEES9_SI_JZNS1_25segmented_radix_sort_implINS0_14default_configELb0EPKbPbPKlPlN2at6native12_GLOBAL__N_18offset_tEEE10hipError_tPvRmT1_PNSt15iterator_traitsIS12_E10value_typeET2_T3_PNS13_IS18_E10value_typeET4_jRbjT5_S1E_jjP12ihipStream_tbEUljE_ZNSN_ISO_Lb0ESQ_SR_ST_SU_SY_EESZ_S10_S11_S12_S16_S17_S18_S1B_S1C_jS1D_jS1E_S1E_jjS1G_bEUljE0_EEESZ_S10_S11_S18_S1C_S1E_T6_T7_T9_mT8_S1G_bDpT10_ENKUlT_T0_E_clISt17integral_constantIbLb1EES1T_IbLb0EEEEDaS1P_S1Q_EUlS1P_E_NS1_11comp_targetILNS1_3genE3ELNS1_11target_archE908ELNS1_3gpuE7ELNS1_3repE0EEENS1_30default_config_static_selectorELNS0_4arch9wavefront6targetE0EEEvS12_ ; -- Begin function _ZN7rocprim17ROCPRIM_400000_NS6detail17trampoline_kernelINS0_13select_configILj256ELj13ELNS0_17block_load_methodE3ELS4_3ELS4_3ELNS0_20block_scan_algorithmE0ELj4294967295EEENS1_25partition_config_selectorILNS1_17partition_subalgoE4EjNS0_10empty_typeEbEEZZNS1_14partition_implILS8_4ELb0ES6_15HIP_vector_typeIjLj2EENS0_17counting_iteratorIjlEEPS9_SG_NS0_5tupleIJPjSI_NS0_16reverse_iteratorISI_EEEEENSH_IJSG_SG_SG_EEES9_SI_JZNS1_25segmented_radix_sort_implINS0_14default_configELb0EPKbPbPKlPlN2at6native12_GLOBAL__N_18offset_tEEE10hipError_tPvRmT1_PNSt15iterator_traitsIS12_E10value_typeET2_T3_PNS13_IS18_E10value_typeET4_jRbjT5_S1E_jjP12ihipStream_tbEUljE_ZNSN_ISO_Lb0ESQ_SR_ST_SU_SY_EESZ_S10_S11_S12_S16_S17_S18_S1B_S1C_jS1D_jS1E_S1E_jjS1G_bEUljE0_EEESZ_S10_S11_S18_S1C_S1E_T6_T7_T9_mT8_S1G_bDpT10_ENKUlT_T0_E_clISt17integral_constantIbLb1EES1T_IbLb0EEEEDaS1P_S1Q_EUlS1P_E_NS1_11comp_targetILNS1_3genE3ELNS1_11target_archE908ELNS1_3gpuE7ELNS1_3repE0EEENS1_30default_config_static_selectorELNS0_4arch9wavefront6targetE0EEEvS12_
	.p2align	8
	.type	_ZN7rocprim17ROCPRIM_400000_NS6detail17trampoline_kernelINS0_13select_configILj256ELj13ELNS0_17block_load_methodE3ELS4_3ELS4_3ELNS0_20block_scan_algorithmE0ELj4294967295EEENS1_25partition_config_selectorILNS1_17partition_subalgoE4EjNS0_10empty_typeEbEEZZNS1_14partition_implILS8_4ELb0ES6_15HIP_vector_typeIjLj2EENS0_17counting_iteratorIjlEEPS9_SG_NS0_5tupleIJPjSI_NS0_16reverse_iteratorISI_EEEEENSH_IJSG_SG_SG_EEES9_SI_JZNS1_25segmented_radix_sort_implINS0_14default_configELb0EPKbPbPKlPlN2at6native12_GLOBAL__N_18offset_tEEE10hipError_tPvRmT1_PNSt15iterator_traitsIS12_E10value_typeET2_T3_PNS13_IS18_E10value_typeET4_jRbjT5_S1E_jjP12ihipStream_tbEUljE_ZNSN_ISO_Lb0ESQ_SR_ST_SU_SY_EESZ_S10_S11_S12_S16_S17_S18_S1B_S1C_jS1D_jS1E_S1E_jjS1G_bEUljE0_EEESZ_S10_S11_S18_S1C_S1E_T6_T7_T9_mT8_S1G_bDpT10_ENKUlT_T0_E_clISt17integral_constantIbLb1EES1T_IbLb0EEEEDaS1P_S1Q_EUlS1P_E_NS1_11comp_targetILNS1_3genE3ELNS1_11target_archE908ELNS1_3gpuE7ELNS1_3repE0EEENS1_30default_config_static_selectorELNS0_4arch9wavefront6targetE0EEEvS12_,@function
_ZN7rocprim17ROCPRIM_400000_NS6detail17trampoline_kernelINS0_13select_configILj256ELj13ELNS0_17block_load_methodE3ELS4_3ELS4_3ELNS0_20block_scan_algorithmE0ELj4294967295EEENS1_25partition_config_selectorILNS1_17partition_subalgoE4EjNS0_10empty_typeEbEEZZNS1_14partition_implILS8_4ELb0ES6_15HIP_vector_typeIjLj2EENS0_17counting_iteratorIjlEEPS9_SG_NS0_5tupleIJPjSI_NS0_16reverse_iteratorISI_EEEEENSH_IJSG_SG_SG_EEES9_SI_JZNS1_25segmented_radix_sort_implINS0_14default_configELb0EPKbPbPKlPlN2at6native12_GLOBAL__N_18offset_tEEE10hipError_tPvRmT1_PNSt15iterator_traitsIS12_E10value_typeET2_T3_PNS13_IS18_E10value_typeET4_jRbjT5_S1E_jjP12ihipStream_tbEUljE_ZNSN_ISO_Lb0ESQ_SR_ST_SU_SY_EESZ_S10_S11_S12_S16_S17_S18_S1B_S1C_jS1D_jS1E_S1E_jjS1G_bEUljE0_EEESZ_S10_S11_S18_S1C_S1E_T6_T7_T9_mT8_S1G_bDpT10_ENKUlT_T0_E_clISt17integral_constantIbLb1EES1T_IbLb0EEEEDaS1P_S1Q_EUlS1P_E_NS1_11comp_targetILNS1_3genE3ELNS1_11target_archE908ELNS1_3gpuE7ELNS1_3repE0EEENS1_30default_config_static_selectorELNS0_4arch9wavefront6targetE0EEEvS12_: ; @_ZN7rocprim17ROCPRIM_400000_NS6detail17trampoline_kernelINS0_13select_configILj256ELj13ELNS0_17block_load_methodE3ELS4_3ELS4_3ELNS0_20block_scan_algorithmE0ELj4294967295EEENS1_25partition_config_selectorILNS1_17partition_subalgoE4EjNS0_10empty_typeEbEEZZNS1_14partition_implILS8_4ELb0ES6_15HIP_vector_typeIjLj2EENS0_17counting_iteratorIjlEEPS9_SG_NS0_5tupleIJPjSI_NS0_16reverse_iteratorISI_EEEEENSH_IJSG_SG_SG_EEES9_SI_JZNS1_25segmented_radix_sort_implINS0_14default_configELb0EPKbPbPKlPlN2at6native12_GLOBAL__N_18offset_tEEE10hipError_tPvRmT1_PNSt15iterator_traitsIS12_E10value_typeET2_T3_PNS13_IS18_E10value_typeET4_jRbjT5_S1E_jjP12ihipStream_tbEUljE_ZNSN_ISO_Lb0ESQ_SR_ST_SU_SY_EESZ_S10_S11_S12_S16_S17_S18_S1B_S1C_jS1D_jS1E_S1E_jjS1G_bEUljE0_EEESZ_S10_S11_S18_S1C_S1E_T6_T7_T9_mT8_S1G_bDpT10_ENKUlT_T0_E_clISt17integral_constantIbLb1EES1T_IbLb0EEEEDaS1P_S1Q_EUlS1P_E_NS1_11comp_targetILNS1_3genE3ELNS1_11target_archE908ELNS1_3gpuE7ELNS1_3repE0EEENS1_30default_config_static_selectorELNS0_4arch9wavefront6targetE0EEEvS12_
; %bb.0:
	.section	.rodata,"a",@progbits
	.p2align	6, 0x0
	.amdhsa_kernel _ZN7rocprim17ROCPRIM_400000_NS6detail17trampoline_kernelINS0_13select_configILj256ELj13ELNS0_17block_load_methodE3ELS4_3ELS4_3ELNS0_20block_scan_algorithmE0ELj4294967295EEENS1_25partition_config_selectorILNS1_17partition_subalgoE4EjNS0_10empty_typeEbEEZZNS1_14partition_implILS8_4ELb0ES6_15HIP_vector_typeIjLj2EENS0_17counting_iteratorIjlEEPS9_SG_NS0_5tupleIJPjSI_NS0_16reverse_iteratorISI_EEEEENSH_IJSG_SG_SG_EEES9_SI_JZNS1_25segmented_radix_sort_implINS0_14default_configELb0EPKbPbPKlPlN2at6native12_GLOBAL__N_18offset_tEEE10hipError_tPvRmT1_PNSt15iterator_traitsIS12_E10value_typeET2_T3_PNS13_IS18_E10value_typeET4_jRbjT5_S1E_jjP12ihipStream_tbEUljE_ZNSN_ISO_Lb0ESQ_SR_ST_SU_SY_EESZ_S10_S11_S12_S16_S17_S18_S1B_S1C_jS1D_jS1E_S1E_jjS1G_bEUljE0_EEESZ_S10_S11_S18_S1C_S1E_T6_T7_T9_mT8_S1G_bDpT10_ENKUlT_T0_E_clISt17integral_constantIbLb1EES1T_IbLb0EEEEDaS1P_S1Q_EUlS1P_E_NS1_11comp_targetILNS1_3genE3ELNS1_11target_archE908ELNS1_3gpuE7ELNS1_3repE0EEENS1_30default_config_static_selectorELNS0_4arch9wavefront6targetE0EEEvS12_
		.amdhsa_group_segment_fixed_size 0
		.amdhsa_private_segment_fixed_size 0
		.amdhsa_kernarg_size 176
		.amdhsa_user_sgpr_count 2
		.amdhsa_user_sgpr_dispatch_ptr 0
		.amdhsa_user_sgpr_queue_ptr 0
		.amdhsa_user_sgpr_kernarg_segment_ptr 1
		.amdhsa_user_sgpr_dispatch_id 0
		.amdhsa_user_sgpr_kernarg_preload_length 0
		.amdhsa_user_sgpr_kernarg_preload_offset 0
		.amdhsa_user_sgpr_private_segment_size 0
		.amdhsa_wavefront_size32 1
		.amdhsa_uses_dynamic_stack 0
		.amdhsa_enable_private_segment 0
		.amdhsa_system_sgpr_workgroup_id_x 1
		.amdhsa_system_sgpr_workgroup_id_y 0
		.amdhsa_system_sgpr_workgroup_id_z 0
		.amdhsa_system_sgpr_workgroup_info 0
		.amdhsa_system_vgpr_workitem_id 0
		.amdhsa_next_free_vgpr 1
		.amdhsa_next_free_sgpr 1
		.amdhsa_named_barrier_count 0
		.amdhsa_reserve_vcc 0
		.amdhsa_float_round_mode_32 0
		.amdhsa_float_round_mode_16_64 0
		.amdhsa_float_denorm_mode_32 3
		.amdhsa_float_denorm_mode_16_64 3
		.amdhsa_fp16_overflow 0
		.amdhsa_memory_ordered 1
		.amdhsa_forward_progress 1
		.amdhsa_inst_pref_size 0
		.amdhsa_round_robin_scheduling 0
		.amdhsa_exception_fp_ieee_invalid_op 0
		.amdhsa_exception_fp_denorm_src 0
		.amdhsa_exception_fp_ieee_div_zero 0
		.amdhsa_exception_fp_ieee_overflow 0
		.amdhsa_exception_fp_ieee_underflow 0
		.amdhsa_exception_fp_ieee_inexact 0
		.amdhsa_exception_int_div_zero 0
	.end_amdhsa_kernel
	.section	.text._ZN7rocprim17ROCPRIM_400000_NS6detail17trampoline_kernelINS0_13select_configILj256ELj13ELNS0_17block_load_methodE3ELS4_3ELS4_3ELNS0_20block_scan_algorithmE0ELj4294967295EEENS1_25partition_config_selectorILNS1_17partition_subalgoE4EjNS0_10empty_typeEbEEZZNS1_14partition_implILS8_4ELb0ES6_15HIP_vector_typeIjLj2EENS0_17counting_iteratorIjlEEPS9_SG_NS0_5tupleIJPjSI_NS0_16reverse_iteratorISI_EEEEENSH_IJSG_SG_SG_EEES9_SI_JZNS1_25segmented_radix_sort_implINS0_14default_configELb0EPKbPbPKlPlN2at6native12_GLOBAL__N_18offset_tEEE10hipError_tPvRmT1_PNSt15iterator_traitsIS12_E10value_typeET2_T3_PNS13_IS18_E10value_typeET4_jRbjT5_S1E_jjP12ihipStream_tbEUljE_ZNSN_ISO_Lb0ESQ_SR_ST_SU_SY_EESZ_S10_S11_S12_S16_S17_S18_S1B_S1C_jS1D_jS1E_S1E_jjS1G_bEUljE0_EEESZ_S10_S11_S18_S1C_S1E_T6_T7_T9_mT8_S1G_bDpT10_ENKUlT_T0_E_clISt17integral_constantIbLb1EES1T_IbLb0EEEEDaS1P_S1Q_EUlS1P_E_NS1_11comp_targetILNS1_3genE3ELNS1_11target_archE908ELNS1_3gpuE7ELNS1_3repE0EEENS1_30default_config_static_selectorELNS0_4arch9wavefront6targetE0EEEvS12_,"axG",@progbits,_ZN7rocprim17ROCPRIM_400000_NS6detail17trampoline_kernelINS0_13select_configILj256ELj13ELNS0_17block_load_methodE3ELS4_3ELS4_3ELNS0_20block_scan_algorithmE0ELj4294967295EEENS1_25partition_config_selectorILNS1_17partition_subalgoE4EjNS0_10empty_typeEbEEZZNS1_14partition_implILS8_4ELb0ES6_15HIP_vector_typeIjLj2EENS0_17counting_iteratorIjlEEPS9_SG_NS0_5tupleIJPjSI_NS0_16reverse_iteratorISI_EEEEENSH_IJSG_SG_SG_EEES9_SI_JZNS1_25segmented_radix_sort_implINS0_14default_configELb0EPKbPbPKlPlN2at6native12_GLOBAL__N_18offset_tEEE10hipError_tPvRmT1_PNSt15iterator_traitsIS12_E10value_typeET2_T3_PNS13_IS18_E10value_typeET4_jRbjT5_S1E_jjP12ihipStream_tbEUljE_ZNSN_ISO_Lb0ESQ_SR_ST_SU_SY_EESZ_S10_S11_S12_S16_S17_S18_S1B_S1C_jS1D_jS1E_S1E_jjS1G_bEUljE0_EEESZ_S10_S11_S18_S1C_S1E_T6_T7_T9_mT8_S1G_bDpT10_ENKUlT_T0_E_clISt17integral_constantIbLb1EES1T_IbLb0EEEEDaS1P_S1Q_EUlS1P_E_NS1_11comp_targetILNS1_3genE3ELNS1_11target_archE908ELNS1_3gpuE7ELNS1_3repE0EEENS1_30default_config_static_selectorELNS0_4arch9wavefront6targetE0EEEvS12_,comdat
.Lfunc_end1581:
	.size	_ZN7rocprim17ROCPRIM_400000_NS6detail17trampoline_kernelINS0_13select_configILj256ELj13ELNS0_17block_load_methodE3ELS4_3ELS4_3ELNS0_20block_scan_algorithmE0ELj4294967295EEENS1_25partition_config_selectorILNS1_17partition_subalgoE4EjNS0_10empty_typeEbEEZZNS1_14partition_implILS8_4ELb0ES6_15HIP_vector_typeIjLj2EENS0_17counting_iteratorIjlEEPS9_SG_NS0_5tupleIJPjSI_NS0_16reverse_iteratorISI_EEEEENSH_IJSG_SG_SG_EEES9_SI_JZNS1_25segmented_radix_sort_implINS0_14default_configELb0EPKbPbPKlPlN2at6native12_GLOBAL__N_18offset_tEEE10hipError_tPvRmT1_PNSt15iterator_traitsIS12_E10value_typeET2_T3_PNS13_IS18_E10value_typeET4_jRbjT5_S1E_jjP12ihipStream_tbEUljE_ZNSN_ISO_Lb0ESQ_SR_ST_SU_SY_EESZ_S10_S11_S12_S16_S17_S18_S1B_S1C_jS1D_jS1E_S1E_jjS1G_bEUljE0_EEESZ_S10_S11_S18_S1C_S1E_T6_T7_T9_mT8_S1G_bDpT10_ENKUlT_T0_E_clISt17integral_constantIbLb1EES1T_IbLb0EEEEDaS1P_S1Q_EUlS1P_E_NS1_11comp_targetILNS1_3genE3ELNS1_11target_archE908ELNS1_3gpuE7ELNS1_3repE0EEENS1_30default_config_static_selectorELNS0_4arch9wavefront6targetE0EEEvS12_, .Lfunc_end1581-_ZN7rocprim17ROCPRIM_400000_NS6detail17trampoline_kernelINS0_13select_configILj256ELj13ELNS0_17block_load_methodE3ELS4_3ELS4_3ELNS0_20block_scan_algorithmE0ELj4294967295EEENS1_25partition_config_selectorILNS1_17partition_subalgoE4EjNS0_10empty_typeEbEEZZNS1_14partition_implILS8_4ELb0ES6_15HIP_vector_typeIjLj2EENS0_17counting_iteratorIjlEEPS9_SG_NS0_5tupleIJPjSI_NS0_16reverse_iteratorISI_EEEEENSH_IJSG_SG_SG_EEES9_SI_JZNS1_25segmented_radix_sort_implINS0_14default_configELb0EPKbPbPKlPlN2at6native12_GLOBAL__N_18offset_tEEE10hipError_tPvRmT1_PNSt15iterator_traitsIS12_E10value_typeET2_T3_PNS13_IS18_E10value_typeET4_jRbjT5_S1E_jjP12ihipStream_tbEUljE_ZNSN_ISO_Lb0ESQ_SR_ST_SU_SY_EESZ_S10_S11_S12_S16_S17_S18_S1B_S1C_jS1D_jS1E_S1E_jjS1G_bEUljE0_EEESZ_S10_S11_S18_S1C_S1E_T6_T7_T9_mT8_S1G_bDpT10_ENKUlT_T0_E_clISt17integral_constantIbLb1EES1T_IbLb0EEEEDaS1P_S1Q_EUlS1P_E_NS1_11comp_targetILNS1_3genE3ELNS1_11target_archE908ELNS1_3gpuE7ELNS1_3repE0EEENS1_30default_config_static_selectorELNS0_4arch9wavefront6targetE0EEEvS12_
                                        ; -- End function
	.set _ZN7rocprim17ROCPRIM_400000_NS6detail17trampoline_kernelINS0_13select_configILj256ELj13ELNS0_17block_load_methodE3ELS4_3ELS4_3ELNS0_20block_scan_algorithmE0ELj4294967295EEENS1_25partition_config_selectorILNS1_17partition_subalgoE4EjNS0_10empty_typeEbEEZZNS1_14partition_implILS8_4ELb0ES6_15HIP_vector_typeIjLj2EENS0_17counting_iteratorIjlEEPS9_SG_NS0_5tupleIJPjSI_NS0_16reverse_iteratorISI_EEEEENSH_IJSG_SG_SG_EEES9_SI_JZNS1_25segmented_radix_sort_implINS0_14default_configELb0EPKbPbPKlPlN2at6native12_GLOBAL__N_18offset_tEEE10hipError_tPvRmT1_PNSt15iterator_traitsIS12_E10value_typeET2_T3_PNS13_IS18_E10value_typeET4_jRbjT5_S1E_jjP12ihipStream_tbEUljE_ZNSN_ISO_Lb0ESQ_SR_ST_SU_SY_EESZ_S10_S11_S12_S16_S17_S18_S1B_S1C_jS1D_jS1E_S1E_jjS1G_bEUljE0_EEESZ_S10_S11_S18_S1C_S1E_T6_T7_T9_mT8_S1G_bDpT10_ENKUlT_T0_E_clISt17integral_constantIbLb1EES1T_IbLb0EEEEDaS1P_S1Q_EUlS1P_E_NS1_11comp_targetILNS1_3genE3ELNS1_11target_archE908ELNS1_3gpuE7ELNS1_3repE0EEENS1_30default_config_static_selectorELNS0_4arch9wavefront6targetE0EEEvS12_.num_vgpr, 0
	.set _ZN7rocprim17ROCPRIM_400000_NS6detail17trampoline_kernelINS0_13select_configILj256ELj13ELNS0_17block_load_methodE3ELS4_3ELS4_3ELNS0_20block_scan_algorithmE0ELj4294967295EEENS1_25partition_config_selectorILNS1_17partition_subalgoE4EjNS0_10empty_typeEbEEZZNS1_14partition_implILS8_4ELb0ES6_15HIP_vector_typeIjLj2EENS0_17counting_iteratorIjlEEPS9_SG_NS0_5tupleIJPjSI_NS0_16reverse_iteratorISI_EEEEENSH_IJSG_SG_SG_EEES9_SI_JZNS1_25segmented_radix_sort_implINS0_14default_configELb0EPKbPbPKlPlN2at6native12_GLOBAL__N_18offset_tEEE10hipError_tPvRmT1_PNSt15iterator_traitsIS12_E10value_typeET2_T3_PNS13_IS18_E10value_typeET4_jRbjT5_S1E_jjP12ihipStream_tbEUljE_ZNSN_ISO_Lb0ESQ_SR_ST_SU_SY_EESZ_S10_S11_S12_S16_S17_S18_S1B_S1C_jS1D_jS1E_S1E_jjS1G_bEUljE0_EEESZ_S10_S11_S18_S1C_S1E_T6_T7_T9_mT8_S1G_bDpT10_ENKUlT_T0_E_clISt17integral_constantIbLb1EES1T_IbLb0EEEEDaS1P_S1Q_EUlS1P_E_NS1_11comp_targetILNS1_3genE3ELNS1_11target_archE908ELNS1_3gpuE7ELNS1_3repE0EEENS1_30default_config_static_selectorELNS0_4arch9wavefront6targetE0EEEvS12_.num_agpr, 0
	.set _ZN7rocprim17ROCPRIM_400000_NS6detail17trampoline_kernelINS0_13select_configILj256ELj13ELNS0_17block_load_methodE3ELS4_3ELS4_3ELNS0_20block_scan_algorithmE0ELj4294967295EEENS1_25partition_config_selectorILNS1_17partition_subalgoE4EjNS0_10empty_typeEbEEZZNS1_14partition_implILS8_4ELb0ES6_15HIP_vector_typeIjLj2EENS0_17counting_iteratorIjlEEPS9_SG_NS0_5tupleIJPjSI_NS0_16reverse_iteratorISI_EEEEENSH_IJSG_SG_SG_EEES9_SI_JZNS1_25segmented_radix_sort_implINS0_14default_configELb0EPKbPbPKlPlN2at6native12_GLOBAL__N_18offset_tEEE10hipError_tPvRmT1_PNSt15iterator_traitsIS12_E10value_typeET2_T3_PNS13_IS18_E10value_typeET4_jRbjT5_S1E_jjP12ihipStream_tbEUljE_ZNSN_ISO_Lb0ESQ_SR_ST_SU_SY_EESZ_S10_S11_S12_S16_S17_S18_S1B_S1C_jS1D_jS1E_S1E_jjS1G_bEUljE0_EEESZ_S10_S11_S18_S1C_S1E_T6_T7_T9_mT8_S1G_bDpT10_ENKUlT_T0_E_clISt17integral_constantIbLb1EES1T_IbLb0EEEEDaS1P_S1Q_EUlS1P_E_NS1_11comp_targetILNS1_3genE3ELNS1_11target_archE908ELNS1_3gpuE7ELNS1_3repE0EEENS1_30default_config_static_selectorELNS0_4arch9wavefront6targetE0EEEvS12_.numbered_sgpr, 0
	.set _ZN7rocprim17ROCPRIM_400000_NS6detail17trampoline_kernelINS0_13select_configILj256ELj13ELNS0_17block_load_methodE3ELS4_3ELS4_3ELNS0_20block_scan_algorithmE0ELj4294967295EEENS1_25partition_config_selectorILNS1_17partition_subalgoE4EjNS0_10empty_typeEbEEZZNS1_14partition_implILS8_4ELb0ES6_15HIP_vector_typeIjLj2EENS0_17counting_iteratorIjlEEPS9_SG_NS0_5tupleIJPjSI_NS0_16reverse_iteratorISI_EEEEENSH_IJSG_SG_SG_EEES9_SI_JZNS1_25segmented_radix_sort_implINS0_14default_configELb0EPKbPbPKlPlN2at6native12_GLOBAL__N_18offset_tEEE10hipError_tPvRmT1_PNSt15iterator_traitsIS12_E10value_typeET2_T3_PNS13_IS18_E10value_typeET4_jRbjT5_S1E_jjP12ihipStream_tbEUljE_ZNSN_ISO_Lb0ESQ_SR_ST_SU_SY_EESZ_S10_S11_S12_S16_S17_S18_S1B_S1C_jS1D_jS1E_S1E_jjS1G_bEUljE0_EEESZ_S10_S11_S18_S1C_S1E_T6_T7_T9_mT8_S1G_bDpT10_ENKUlT_T0_E_clISt17integral_constantIbLb1EES1T_IbLb0EEEEDaS1P_S1Q_EUlS1P_E_NS1_11comp_targetILNS1_3genE3ELNS1_11target_archE908ELNS1_3gpuE7ELNS1_3repE0EEENS1_30default_config_static_selectorELNS0_4arch9wavefront6targetE0EEEvS12_.num_named_barrier, 0
	.set _ZN7rocprim17ROCPRIM_400000_NS6detail17trampoline_kernelINS0_13select_configILj256ELj13ELNS0_17block_load_methodE3ELS4_3ELS4_3ELNS0_20block_scan_algorithmE0ELj4294967295EEENS1_25partition_config_selectorILNS1_17partition_subalgoE4EjNS0_10empty_typeEbEEZZNS1_14partition_implILS8_4ELb0ES6_15HIP_vector_typeIjLj2EENS0_17counting_iteratorIjlEEPS9_SG_NS0_5tupleIJPjSI_NS0_16reverse_iteratorISI_EEEEENSH_IJSG_SG_SG_EEES9_SI_JZNS1_25segmented_radix_sort_implINS0_14default_configELb0EPKbPbPKlPlN2at6native12_GLOBAL__N_18offset_tEEE10hipError_tPvRmT1_PNSt15iterator_traitsIS12_E10value_typeET2_T3_PNS13_IS18_E10value_typeET4_jRbjT5_S1E_jjP12ihipStream_tbEUljE_ZNSN_ISO_Lb0ESQ_SR_ST_SU_SY_EESZ_S10_S11_S12_S16_S17_S18_S1B_S1C_jS1D_jS1E_S1E_jjS1G_bEUljE0_EEESZ_S10_S11_S18_S1C_S1E_T6_T7_T9_mT8_S1G_bDpT10_ENKUlT_T0_E_clISt17integral_constantIbLb1EES1T_IbLb0EEEEDaS1P_S1Q_EUlS1P_E_NS1_11comp_targetILNS1_3genE3ELNS1_11target_archE908ELNS1_3gpuE7ELNS1_3repE0EEENS1_30default_config_static_selectorELNS0_4arch9wavefront6targetE0EEEvS12_.private_seg_size, 0
	.set _ZN7rocprim17ROCPRIM_400000_NS6detail17trampoline_kernelINS0_13select_configILj256ELj13ELNS0_17block_load_methodE3ELS4_3ELS4_3ELNS0_20block_scan_algorithmE0ELj4294967295EEENS1_25partition_config_selectorILNS1_17partition_subalgoE4EjNS0_10empty_typeEbEEZZNS1_14partition_implILS8_4ELb0ES6_15HIP_vector_typeIjLj2EENS0_17counting_iteratorIjlEEPS9_SG_NS0_5tupleIJPjSI_NS0_16reverse_iteratorISI_EEEEENSH_IJSG_SG_SG_EEES9_SI_JZNS1_25segmented_radix_sort_implINS0_14default_configELb0EPKbPbPKlPlN2at6native12_GLOBAL__N_18offset_tEEE10hipError_tPvRmT1_PNSt15iterator_traitsIS12_E10value_typeET2_T3_PNS13_IS18_E10value_typeET4_jRbjT5_S1E_jjP12ihipStream_tbEUljE_ZNSN_ISO_Lb0ESQ_SR_ST_SU_SY_EESZ_S10_S11_S12_S16_S17_S18_S1B_S1C_jS1D_jS1E_S1E_jjS1G_bEUljE0_EEESZ_S10_S11_S18_S1C_S1E_T6_T7_T9_mT8_S1G_bDpT10_ENKUlT_T0_E_clISt17integral_constantIbLb1EES1T_IbLb0EEEEDaS1P_S1Q_EUlS1P_E_NS1_11comp_targetILNS1_3genE3ELNS1_11target_archE908ELNS1_3gpuE7ELNS1_3repE0EEENS1_30default_config_static_selectorELNS0_4arch9wavefront6targetE0EEEvS12_.uses_vcc, 0
	.set _ZN7rocprim17ROCPRIM_400000_NS6detail17trampoline_kernelINS0_13select_configILj256ELj13ELNS0_17block_load_methodE3ELS4_3ELS4_3ELNS0_20block_scan_algorithmE0ELj4294967295EEENS1_25partition_config_selectorILNS1_17partition_subalgoE4EjNS0_10empty_typeEbEEZZNS1_14partition_implILS8_4ELb0ES6_15HIP_vector_typeIjLj2EENS0_17counting_iteratorIjlEEPS9_SG_NS0_5tupleIJPjSI_NS0_16reverse_iteratorISI_EEEEENSH_IJSG_SG_SG_EEES9_SI_JZNS1_25segmented_radix_sort_implINS0_14default_configELb0EPKbPbPKlPlN2at6native12_GLOBAL__N_18offset_tEEE10hipError_tPvRmT1_PNSt15iterator_traitsIS12_E10value_typeET2_T3_PNS13_IS18_E10value_typeET4_jRbjT5_S1E_jjP12ihipStream_tbEUljE_ZNSN_ISO_Lb0ESQ_SR_ST_SU_SY_EESZ_S10_S11_S12_S16_S17_S18_S1B_S1C_jS1D_jS1E_S1E_jjS1G_bEUljE0_EEESZ_S10_S11_S18_S1C_S1E_T6_T7_T9_mT8_S1G_bDpT10_ENKUlT_T0_E_clISt17integral_constantIbLb1EES1T_IbLb0EEEEDaS1P_S1Q_EUlS1P_E_NS1_11comp_targetILNS1_3genE3ELNS1_11target_archE908ELNS1_3gpuE7ELNS1_3repE0EEENS1_30default_config_static_selectorELNS0_4arch9wavefront6targetE0EEEvS12_.uses_flat_scratch, 0
	.set _ZN7rocprim17ROCPRIM_400000_NS6detail17trampoline_kernelINS0_13select_configILj256ELj13ELNS0_17block_load_methodE3ELS4_3ELS4_3ELNS0_20block_scan_algorithmE0ELj4294967295EEENS1_25partition_config_selectorILNS1_17partition_subalgoE4EjNS0_10empty_typeEbEEZZNS1_14partition_implILS8_4ELb0ES6_15HIP_vector_typeIjLj2EENS0_17counting_iteratorIjlEEPS9_SG_NS0_5tupleIJPjSI_NS0_16reverse_iteratorISI_EEEEENSH_IJSG_SG_SG_EEES9_SI_JZNS1_25segmented_radix_sort_implINS0_14default_configELb0EPKbPbPKlPlN2at6native12_GLOBAL__N_18offset_tEEE10hipError_tPvRmT1_PNSt15iterator_traitsIS12_E10value_typeET2_T3_PNS13_IS18_E10value_typeET4_jRbjT5_S1E_jjP12ihipStream_tbEUljE_ZNSN_ISO_Lb0ESQ_SR_ST_SU_SY_EESZ_S10_S11_S12_S16_S17_S18_S1B_S1C_jS1D_jS1E_S1E_jjS1G_bEUljE0_EEESZ_S10_S11_S18_S1C_S1E_T6_T7_T9_mT8_S1G_bDpT10_ENKUlT_T0_E_clISt17integral_constantIbLb1EES1T_IbLb0EEEEDaS1P_S1Q_EUlS1P_E_NS1_11comp_targetILNS1_3genE3ELNS1_11target_archE908ELNS1_3gpuE7ELNS1_3repE0EEENS1_30default_config_static_selectorELNS0_4arch9wavefront6targetE0EEEvS12_.has_dyn_sized_stack, 0
	.set _ZN7rocprim17ROCPRIM_400000_NS6detail17trampoline_kernelINS0_13select_configILj256ELj13ELNS0_17block_load_methodE3ELS4_3ELS4_3ELNS0_20block_scan_algorithmE0ELj4294967295EEENS1_25partition_config_selectorILNS1_17partition_subalgoE4EjNS0_10empty_typeEbEEZZNS1_14partition_implILS8_4ELb0ES6_15HIP_vector_typeIjLj2EENS0_17counting_iteratorIjlEEPS9_SG_NS0_5tupleIJPjSI_NS0_16reverse_iteratorISI_EEEEENSH_IJSG_SG_SG_EEES9_SI_JZNS1_25segmented_radix_sort_implINS0_14default_configELb0EPKbPbPKlPlN2at6native12_GLOBAL__N_18offset_tEEE10hipError_tPvRmT1_PNSt15iterator_traitsIS12_E10value_typeET2_T3_PNS13_IS18_E10value_typeET4_jRbjT5_S1E_jjP12ihipStream_tbEUljE_ZNSN_ISO_Lb0ESQ_SR_ST_SU_SY_EESZ_S10_S11_S12_S16_S17_S18_S1B_S1C_jS1D_jS1E_S1E_jjS1G_bEUljE0_EEESZ_S10_S11_S18_S1C_S1E_T6_T7_T9_mT8_S1G_bDpT10_ENKUlT_T0_E_clISt17integral_constantIbLb1EES1T_IbLb0EEEEDaS1P_S1Q_EUlS1P_E_NS1_11comp_targetILNS1_3genE3ELNS1_11target_archE908ELNS1_3gpuE7ELNS1_3repE0EEENS1_30default_config_static_selectorELNS0_4arch9wavefront6targetE0EEEvS12_.has_recursion, 0
	.set _ZN7rocprim17ROCPRIM_400000_NS6detail17trampoline_kernelINS0_13select_configILj256ELj13ELNS0_17block_load_methodE3ELS4_3ELS4_3ELNS0_20block_scan_algorithmE0ELj4294967295EEENS1_25partition_config_selectorILNS1_17partition_subalgoE4EjNS0_10empty_typeEbEEZZNS1_14partition_implILS8_4ELb0ES6_15HIP_vector_typeIjLj2EENS0_17counting_iteratorIjlEEPS9_SG_NS0_5tupleIJPjSI_NS0_16reverse_iteratorISI_EEEEENSH_IJSG_SG_SG_EEES9_SI_JZNS1_25segmented_radix_sort_implINS0_14default_configELb0EPKbPbPKlPlN2at6native12_GLOBAL__N_18offset_tEEE10hipError_tPvRmT1_PNSt15iterator_traitsIS12_E10value_typeET2_T3_PNS13_IS18_E10value_typeET4_jRbjT5_S1E_jjP12ihipStream_tbEUljE_ZNSN_ISO_Lb0ESQ_SR_ST_SU_SY_EESZ_S10_S11_S12_S16_S17_S18_S1B_S1C_jS1D_jS1E_S1E_jjS1G_bEUljE0_EEESZ_S10_S11_S18_S1C_S1E_T6_T7_T9_mT8_S1G_bDpT10_ENKUlT_T0_E_clISt17integral_constantIbLb1EES1T_IbLb0EEEEDaS1P_S1Q_EUlS1P_E_NS1_11comp_targetILNS1_3genE3ELNS1_11target_archE908ELNS1_3gpuE7ELNS1_3repE0EEENS1_30default_config_static_selectorELNS0_4arch9wavefront6targetE0EEEvS12_.has_indirect_call, 0
	.section	.AMDGPU.csdata,"",@progbits
; Kernel info:
; codeLenInByte = 0
; TotalNumSgprs: 0
; NumVgprs: 0
; ScratchSize: 0
; MemoryBound: 0
; FloatMode: 240
; IeeeMode: 1
; LDSByteSize: 0 bytes/workgroup (compile time only)
; SGPRBlocks: 0
; VGPRBlocks: 0
; NumSGPRsForWavesPerEU: 1
; NumVGPRsForWavesPerEU: 1
; NamedBarCnt: 0
; Occupancy: 16
; WaveLimiterHint : 0
; COMPUTE_PGM_RSRC2:SCRATCH_EN: 0
; COMPUTE_PGM_RSRC2:USER_SGPR: 2
; COMPUTE_PGM_RSRC2:TRAP_HANDLER: 0
; COMPUTE_PGM_RSRC2:TGID_X_EN: 1
; COMPUTE_PGM_RSRC2:TGID_Y_EN: 0
; COMPUTE_PGM_RSRC2:TGID_Z_EN: 0
; COMPUTE_PGM_RSRC2:TIDIG_COMP_CNT: 0
	.section	.text._ZN7rocprim17ROCPRIM_400000_NS6detail17trampoline_kernelINS0_13select_configILj256ELj13ELNS0_17block_load_methodE3ELS4_3ELS4_3ELNS0_20block_scan_algorithmE0ELj4294967295EEENS1_25partition_config_selectorILNS1_17partition_subalgoE4EjNS0_10empty_typeEbEEZZNS1_14partition_implILS8_4ELb0ES6_15HIP_vector_typeIjLj2EENS0_17counting_iteratorIjlEEPS9_SG_NS0_5tupleIJPjSI_NS0_16reverse_iteratorISI_EEEEENSH_IJSG_SG_SG_EEES9_SI_JZNS1_25segmented_radix_sort_implINS0_14default_configELb0EPKbPbPKlPlN2at6native12_GLOBAL__N_18offset_tEEE10hipError_tPvRmT1_PNSt15iterator_traitsIS12_E10value_typeET2_T3_PNS13_IS18_E10value_typeET4_jRbjT5_S1E_jjP12ihipStream_tbEUljE_ZNSN_ISO_Lb0ESQ_SR_ST_SU_SY_EESZ_S10_S11_S12_S16_S17_S18_S1B_S1C_jS1D_jS1E_S1E_jjS1G_bEUljE0_EEESZ_S10_S11_S18_S1C_S1E_T6_T7_T9_mT8_S1G_bDpT10_ENKUlT_T0_E_clISt17integral_constantIbLb1EES1T_IbLb0EEEEDaS1P_S1Q_EUlS1P_E_NS1_11comp_targetILNS1_3genE2ELNS1_11target_archE906ELNS1_3gpuE6ELNS1_3repE0EEENS1_30default_config_static_selectorELNS0_4arch9wavefront6targetE0EEEvS12_,"axG",@progbits,_ZN7rocprim17ROCPRIM_400000_NS6detail17trampoline_kernelINS0_13select_configILj256ELj13ELNS0_17block_load_methodE3ELS4_3ELS4_3ELNS0_20block_scan_algorithmE0ELj4294967295EEENS1_25partition_config_selectorILNS1_17partition_subalgoE4EjNS0_10empty_typeEbEEZZNS1_14partition_implILS8_4ELb0ES6_15HIP_vector_typeIjLj2EENS0_17counting_iteratorIjlEEPS9_SG_NS0_5tupleIJPjSI_NS0_16reverse_iteratorISI_EEEEENSH_IJSG_SG_SG_EEES9_SI_JZNS1_25segmented_radix_sort_implINS0_14default_configELb0EPKbPbPKlPlN2at6native12_GLOBAL__N_18offset_tEEE10hipError_tPvRmT1_PNSt15iterator_traitsIS12_E10value_typeET2_T3_PNS13_IS18_E10value_typeET4_jRbjT5_S1E_jjP12ihipStream_tbEUljE_ZNSN_ISO_Lb0ESQ_SR_ST_SU_SY_EESZ_S10_S11_S12_S16_S17_S18_S1B_S1C_jS1D_jS1E_S1E_jjS1G_bEUljE0_EEESZ_S10_S11_S18_S1C_S1E_T6_T7_T9_mT8_S1G_bDpT10_ENKUlT_T0_E_clISt17integral_constantIbLb1EES1T_IbLb0EEEEDaS1P_S1Q_EUlS1P_E_NS1_11comp_targetILNS1_3genE2ELNS1_11target_archE906ELNS1_3gpuE6ELNS1_3repE0EEENS1_30default_config_static_selectorELNS0_4arch9wavefront6targetE0EEEvS12_,comdat
	.globl	_ZN7rocprim17ROCPRIM_400000_NS6detail17trampoline_kernelINS0_13select_configILj256ELj13ELNS0_17block_load_methodE3ELS4_3ELS4_3ELNS0_20block_scan_algorithmE0ELj4294967295EEENS1_25partition_config_selectorILNS1_17partition_subalgoE4EjNS0_10empty_typeEbEEZZNS1_14partition_implILS8_4ELb0ES6_15HIP_vector_typeIjLj2EENS0_17counting_iteratorIjlEEPS9_SG_NS0_5tupleIJPjSI_NS0_16reverse_iteratorISI_EEEEENSH_IJSG_SG_SG_EEES9_SI_JZNS1_25segmented_radix_sort_implINS0_14default_configELb0EPKbPbPKlPlN2at6native12_GLOBAL__N_18offset_tEEE10hipError_tPvRmT1_PNSt15iterator_traitsIS12_E10value_typeET2_T3_PNS13_IS18_E10value_typeET4_jRbjT5_S1E_jjP12ihipStream_tbEUljE_ZNSN_ISO_Lb0ESQ_SR_ST_SU_SY_EESZ_S10_S11_S12_S16_S17_S18_S1B_S1C_jS1D_jS1E_S1E_jjS1G_bEUljE0_EEESZ_S10_S11_S18_S1C_S1E_T6_T7_T9_mT8_S1G_bDpT10_ENKUlT_T0_E_clISt17integral_constantIbLb1EES1T_IbLb0EEEEDaS1P_S1Q_EUlS1P_E_NS1_11comp_targetILNS1_3genE2ELNS1_11target_archE906ELNS1_3gpuE6ELNS1_3repE0EEENS1_30default_config_static_selectorELNS0_4arch9wavefront6targetE0EEEvS12_ ; -- Begin function _ZN7rocprim17ROCPRIM_400000_NS6detail17trampoline_kernelINS0_13select_configILj256ELj13ELNS0_17block_load_methodE3ELS4_3ELS4_3ELNS0_20block_scan_algorithmE0ELj4294967295EEENS1_25partition_config_selectorILNS1_17partition_subalgoE4EjNS0_10empty_typeEbEEZZNS1_14partition_implILS8_4ELb0ES6_15HIP_vector_typeIjLj2EENS0_17counting_iteratorIjlEEPS9_SG_NS0_5tupleIJPjSI_NS0_16reverse_iteratorISI_EEEEENSH_IJSG_SG_SG_EEES9_SI_JZNS1_25segmented_radix_sort_implINS0_14default_configELb0EPKbPbPKlPlN2at6native12_GLOBAL__N_18offset_tEEE10hipError_tPvRmT1_PNSt15iterator_traitsIS12_E10value_typeET2_T3_PNS13_IS18_E10value_typeET4_jRbjT5_S1E_jjP12ihipStream_tbEUljE_ZNSN_ISO_Lb0ESQ_SR_ST_SU_SY_EESZ_S10_S11_S12_S16_S17_S18_S1B_S1C_jS1D_jS1E_S1E_jjS1G_bEUljE0_EEESZ_S10_S11_S18_S1C_S1E_T6_T7_T9_mT8_S1G_bDpT10_ENKUlT_T0_E_clISt17integral_constantIbLb1EES1T_IbLb0EEEEDaS1P_S1Q_EUlS1P_E_NS1_11comp_targetILNS1_3genE2ELNS1_11target_archE906ELNS1_3gpuE6ELNS1_3repE0EEENS1_30default_config_static_selectorELNS0_4arch9wavefront6targetE0EEEvS12_
	.p2align	8
	.type	_ZN7rocprim17ROCPRIM_400000_NS6detail17trampoline_kernelINS0_13select_configILj256ELj13ELNS0_17block_load_methodE3ELS4_3ELS4_3ELNS0_20block_scan_algorithmE0ELj4294967295EEENS1_25partition_config_selectorILNS1_17partition_subalgoE4EjNS0_10empty_typeEbEEZZNS1_14partition_implILS8_4ELb0ES6_15HIP_vector_typeIjLj2EENS0_17counting_iteratorIjlEEPS9_SG_NS0_5tupleIJPjSI_NS0_16reverse_iteratorISI_EEEEENSH_IJSG_SG_SG_EEES9_SI_JZNS1_25segmented_radix_sort_implINS0_14default_configELb0EPKbPbPKlPlN2at6native12_GLOBAL__N_18offset_tEEE10hipError_tPvRmT1_PNSt15iterator_traitsIS12_E10value_typeET2_T3_PNS13_IS18_E10value_typeET4_jRbjT5_S1E_jjP12ihipStream_tbEUljE_ZNSN_ISO_Lb0ESQ_SR_ST_SU_SY_EESZ_S10_S11_S12_S16_S17_S18_S1B_S1C_jS1D_jS1E_S1E_jjS1G_bEUljE0_EEESZ_S10_S11_S18_S1C_S1E_T6_T7_T9_mT8_S1G_bDpT10_ENKUlT_T0_E_clISt17integral_constantIbLb1EES1T_IbLb0EEEEDaS1P_S1Q_EUlS1P_E_NS1_11comp_targetILNS1_3genE2ELNS1_11target_archE906ELNS1_3gpuE6ELNS1_3repE0EEENS1_30default_config_static_selectorELNS0_4arch9wavefront6targetE0EEEvS12_,@function
_ZN7rocprim17ROCPRIM_400000_NS6detail17trampoline_kernelINS0_13select_configILj256ELj13ELNS0_17block_load_methodE3ELS4_3ELS4_3ELNS0_20block_scan_algorithmE0ELj4294967295EEENS1_25partition_config_selectorILNS1_17partition_subalgoE4EjNS0_10empty_typeEbEEZZNS1_14partition_implILS8_4ELb0ES6_15HIP_vector_typeIjLj2EENS0_17counting_iteratorIjlEEPS9_SG_NS0_5tupleIJPjSI_NS0_16reverse_iteratorISI_EEEEENSH_IJSG_SG_SG_EEES9_SI_JZNS1_25segmented_radix_sort_implINS0_14default_configELb0EPKbPbPKlPlN2at6native12_GLOBAL__N_18offset_tEEE10hipError_tPvRmT1_PNSt15iterator_traitsIS12_E10value_typeET2_T3_PNS13_IS18_E10value_typeET4_jRbjT5_S1E_jjP12ihipStream_tbEUljE_ZNSN_ISO_Lb0ESQ_SR_ST_SU_SY_EESZ_S10_S11_S12_S16_S17_S18_S1B_S1C_jS1D_jS1E_S1E_jjS1G_bEUljE0_EEESZ_S10_S11_S18_S1C_S1E_T6_T7_T9_mT8_S1G_bDpT10_ENKUlT_T0_E_clISt17integral_constantIbLb1EES1T_IbLb0EEEEDaS1P_S1Q_EUlS1P_E_NS1_11comp_targetILNS1_3genE2ELNS1_11target_archE906ELNS1_3gpuE6ELNS1_3repE0EEENS1_30default_config_static_selectorELNS0_4arch9wavefront6targetE0EEEvS12_: ; @_ZN7rocprim17ROCPRIM_400000_NS6detail17trampoline_kernelINS0_13select_configILj256ELj13ELNS0_17block_load_methodE3ELS4_3ELS4_3ELNS0_20block_scan_algorithmE0ELj4294967295EEENS1_25partition_config_selectorILNS1_17partition_subalgoE4EjNS0_10empty_typeEbEEZZNS1_14partition_implILS8_4ELb0ES6_15HIP_vector_typeIjLj2EENS0_17counting_iteratorIjlEEPS9_SG_NS0_5tupleIJPjSI_NS0_16reverse_iteratorISI_EEEEENSH_IJSG_SG_SG_EEES9_SI_JZNS1_25segmented_radix_sort_implINS0_14default_configELb0EPKbPbPKlPlN2at6native12_GLOBAL__N_18offset_tEEE10hipError_tPvRmT1_PNSt15iterator_traitsIS12_E10value_typeET2_T3_PNS13_IS18_E10value_typeET4_jRbjT5_S1E_jjP12ihipStream_tbEUljE_ZNSN_ISO_Lb0ESQ_SR_ST_SU_SY_EESZ_S10_S11_S12_S16_S17_S18_S1B_S1C_jS1D_jS1E_S1E_jjS1G_bEUljE0_EEESZ_S10_S11_S18_S1C_S1E_T6_T7_T9_mT8_S1G_bDpT10_ENKUlT_T0_E_clISt17integral_constantIbLb1EES1T_IbLb0EEEEDaS1P_S1Q_EUlS1P_E_NS1_11comp_targetILNS1_3genE2ELNS1_11target_archE906ELNS1_3gpuE6ELNS1_3repE0EEENS1_30default_config_static_selectorELNS0_4arch9wavefront6targetE0EEEvS12_
; %bb.0:
	.section	.rodata,"a",@progbits
	.p2align	6, 0x0
	.amdhsa_kernel _ZN7rocprim17ROCPRIM_400000_NS6detail17trampoline_kernelINS0_13select_configILj256ELj13ELNS0_17block_load_methodE3ELS4_3ELS4_3ELNS0_20block_scan_algorithmE0ELj4294967295EEENS1_25partition_config_selectorILNS1_17partition_subalgoE4EjNS0_10empty_typeEbEEZZNS1_14partition_implILS8_4ELb0ES6_15HIP_vector_typeIjLj2EENS0_17counting_iteratorIjlEEPS9_SG_NS0_5tupleIJPjSI_NS0_16reverse_iteratorISI_EEEEENSH_IJSG_SG_SG_EEES9_SI_JZNS1_25segmented_radix_sort_implINS0_14default_configELb0EPKbPbPKlPlN2at6native12_GLOBAL__N_18offset_tEEE10hipError_tPvRmT1_PNSt15iterator_traitsIS12_E10value_typeET2_T3_PNS13_IS18_E10value_typeET4_jRbjT5_S1E_jjP12ihipStream_tbEUljE_ZNSN_ISO_Lb0ESQ_SR_ST_SU_SY_EESZ_S10_S11_S12_S16_S17_S18_S1B_S1C_jS1D_jS1E_S1E_jjS1G_bEUljE0_EEESZ_S10_S11_S18_S1C_S1E_T6_T7_T9_mT8_S1G_bDpT10_ENKUlT_T0_E_clISt17integral_constantIbLb1EES1T_IbLb0EEEEDaS1P_S1Q_EUlS1P_E_NS1_11comp_targetILNS1_3genE2ELNS1_11target_archE906ELNS1_3gpuE6ELNS1_3repE0EEENS1_30default_config_static_selectorELNS0_4arch9wavefront6targetE0EEEvS12_
		.amdhsa_group_segment_fixed_size 0
		.amdhsa_private_segment_fixed_size 0
		.amdhsa_kernarg_size 176
		.amdhsa_user_sgpr_count 2
		.amdhsa_user_sgpr_dispatch_ptr 0
		.amdhsa_user_sgpr_queue_ptr 0
		.amdhsa_user_sgpr_kernarg_segment_ptr 1
		.amdhsa_user_sgpr_dispatch_id 0
		.amdhsa_user_sgpr_kernarg_preload_length 0
		.amdhsa_user_sgpr_kernarg_preload_offset 0
		.amdhsa_user_sgpr_private_segment_size 0
		.amdhsa_wavefront_size32 1
		.amdhsa_uses_dynamic_stack 0
		.amdhsa_enable_private_segment 0
		.amdhsa_system_sgpr_workgroup_id_x 1
		.amdhsa_system_sgpr_workgroup_id_y 0
		.amdhsa_system_sgpr_workgroup_id_z 0
		.amdhsa_system_sgpr_workgroup_info 0
		.amdhsa_system_vgpr_workitem_id 0
		.amdhsa_next_free_vgpr 1
		.amdhsa_next_free_sgpr 1
		.amdhsa_named_barrier_count 0
		.amdhsa_reserve_vcc 0
		.amdhsa_float_round_mode_32 0
		.amdhsa_float_round_mode_16_64 0
		.amdhsa_float_denorm_mode_32 3
		.amdhsa_float_denorm_mode_16_64 3
		.amdhsa_fp16_overflow 0
		.amdhsa_memory_ordered 1
		.amdhsa_forward_progress 1
		.amdhsa_inst_pref_size 0
		.amdhsa_round_robin_scheduling 0
		.amdhsa_exception_fp_ieee_invalid_op 0
		.amdhsa_exception_fp_denorm_src 0
		.amdhsa_exception_fp_ieee_div_zero 0
		.amdhsa_exception_fp_ieee_overflow 0
		.amdhsa_exception_fp_ieee_underflow 0
		.amdhsa_exception_fp_ieee_inexact 0
		.amdhsa_exception_int_div_zero 0
	.end_amdhsa_kernel
	.section	.text._ZN7rocprim17ROCPRIM_400000_NS6detail17trampoline_kernelINS0_13select_configILj256ELj13ELNS0_17block_load_methodE3ELS4_3ELS4_3ELNS0_20block_scan_algorithmE0ELj4294967295EEENS1_25partition_config_selectorILNS1_17partition_subalgoE4EjNS0_10empty_typeEbEEZZNS1_14partition_implILS8_4ELb0ES6_15HIP_vector_typeIjLj2EENS0_17counting_iteratorIjlEEPS9_SG_NS0_5tupleIJPjSI_NS0_16reverse_iteratorISI_EEEEENSH_IJSG_SG_SG_EEES9_SI_JZNS1_25segmented_radix_sort_implINS0_14default_configELb0EPKbPbPKlPlN2at6native12_GLOBAL__N_18offset_tEEE10hipError_tPvRmT1_PNSt15iterator_traitsIS12_E10value_typeET2_T3_PNS13_IS18_E10value_typeET4_jRbjT5_S1E_jjP12ihipStream_tbEUljE_ZNSN_ISO_Lb0ESQ_SR_ST_SU_SY_EESZ_S10_S11_S12_S16_S17_S18_S1B_S1C_jS1D_jS1E_S1E_jjS1G_bEUljE0_EEESZ_S10_S11_S18_S1C_S1E_T6_T7_T9_mT8_S1G_bDpT10_ENKUlT_T0_E_clISt17integral_constantIbLb1EES1T_IbLb0EEEEDaS1P_S1Q_EUlS1P_E_NS1_11comp_targetILNS1_3genE2ELNS1_11target_archE906ELNS1_3gpuE6ELNS1_3repE0EEENS1_30default_config_static_selectorELNS0_4arch9wavefront6targetE0EEEvS12_,"axG",@progbits,_ZN7rocprim17ROCPRIM_400000_NS6detail17trampoline_kernelINS0_13select_configILj256ELj13ELNS0_17block_load_methodE3ELS4_3ELS4_3ELNS0_20block_scan_algorithmE0ELj4294967295EEENS1_25partition_config_selectorILNS1_17partition_subalgoE4EjNS0_10empty_typeEbEEZZNS1_14partition_implILS8_4ELb0ES6_15HIP_vector_typeIjLj2EENS0_17counting_iteratorIjlEEPS9_SG_NS0_5tupleIJPjSI_NS0_16reverse_iteratorISI_EEEEENSH_IJSG_SG_SG_EEES9_SI_JZNS1_25segmented_radix_sort_implINS0_14default_configELb0EPKbPbPKlPlN2at6native12_GLOBAL__N_18offset_tEEE10hipError_tPvRmT1_PNSt15iterator_traitsIS12_E10value_typeET2_T3_PNS13_IS18_E10value_typeET4_jRbjT5_S1E_jjP12ihipStream_tbEUljE_ZNSN_ISO_Lb0ESQ_SR_ST_SU_SY_EESZ_S10_S11_S12_S16_S17_S18_S1B_S1C_jS1D_jS1E_S1E_jjS1G_bEUljE0_EEESZ_S10_S11_S18_S1C_S1E_T6_T7_T9_mT8_S1G_bDpT10_ENKUlT_T0_E_clISt17integral_constantIbLb1EES1T_IbLb0EEEEDaS1P_S1Q_EUlS1P_E_NS1_11comp_targetILNS1_3genE2ELNS1_11target_archE906ELNS1_3gpuE6ELNS1_3repE0EEENS1_30default_config_static_selectorELNS0_4arch9wavefront6targetE0EEEvS12_,comdat
.Lfunc_end1582:
	.size	_ZN7rocprim17ROCPRIM_400000_NS6detail17trampoline_kernelINS0_13select_configILj256ELj13ELNS0_17block_load_methodE3ELS4_3ELS4_3ELNS0_20block_scan_algorithmE0ELj4294967295EEENS1_25partition_config_selectorILNS1_17partition_subalgoE4EjNS0_10empty_typeEbEEZZNS1_14partition_implILS8_4ELb0ES6_15HIP_vector_typeIjLj2EENS0_17counting_iteratorIjlEEPS9_SG_NS0_5tupleIJPjSI_NS0_16reverse_iteratorISI_EEEEENSH_IJSG_SG_SG_EEES9_SI_JZNS1_25segmented_radix_sort_implINS0_14default_configELb0EPKbPbPKlPlN2at6native12_GLOBAL__N_18offset_tEEE10hipError_tPvRmT1_PNSt15iterator_traitsIS12_E10value_typeET2_T3_PNS13_IS18_E10value_typeET4_jRbjT5_S1E_jjP12ihipStream_tbEUljE_ZNSN_ISO_Lb0ESQ_SR_ST_SU_SY_EESZ_S10_S11_S12_S16_S17_S18_S1B_S1C_jS1D_jS1E_S1E_jjS1G_bEUljE0_EEESZ_S10_S11_S18_S1C_S1E_T6_T7_T9_mT8_S1G_bDpT10_ENKUlT_T0_E_clISt17integral_constantIbLb1EES1T_IbLb0EEEEDaS1P_S1Q_EUlS1P_E_NS1_11comp_targetILNS1_3genE2ELNS1_11target_archE906ELNS1_3gpuE6ELNS1_3repE0EEENS1_30default_config_static_selectorELNS0_4arch9wavefront6targetE0EEEvS12_, .Lfunc_end1582-_ZN7rocprim17ROCPRIM_400000_NS6detail17trampoline_kernelINS0_13select_configILj256ELj13ELNS0_17block_load_methodE3ELS4_3ELS4_3ELNS0_20block_scan_algorithmE0ELj4294967295EEENS1_25partition_config_selectorILNS1_17partition_subalgoE4EjNS0_10empty_typeEbEEZZNS1_14partition_implILS8_4ELb0ES6_15HIP_vector_typeIjLj2EENS0_17counting_iteratorIjlEEPS9_SG_NS0_5tupleIJPjSI_NS0_16reverse_iteratorISI_EEEEENSH_IJSG_SG_SG_EEES9_SI_JZNS1_25segmented_radix_sort_implINS0_14default_configELb0EPKbPbPKlPlN2at6native12_GLOBAL__N_18offset_tEEE10hipError_tPvRmT1_PNSt15iterator_traitsIS12_E10value_typeET2_T3_PNS13_IS18_E10value_typeET4_jRbjT5_S1E_jjP12ihipStream_tbEUljE_ZNSN_ISO_Lb0ESQ_SR_ST_SU_SY_EESZ_S10_S11_S12_S16_S17_S18_S1B_S1C_jS1D_jS1E_S1E_jjS1G_bEUljE0_EEESZ_S10_S11_S18_S1C_S1E_T6_T7_T9_mT8_S1G_bDpT10_ENKUlT_T0_E_clISt17integral_constantIbLb1EES1T_IbLb0EEEEDaS1P_S1Q_EUlS1P_E_NS1_11comp_targetILNS1_3genE2ELNS1_11target_archE906ELNS1_3gpuE6ELNS1_3repE0EEENS1_30default_config_static_selectorELNS0_4arch9wavefront6targetE0EEEvS12_
                                        ; -- End function
	.set _ZN7rocprim17ROCPRIM_400000_NS6detail17trampoline_kernelINS0_13select_configILj256ELj13ELNS0_17block_load_methodE3ELS4_3ELS4_3ELNS0_20block_scan_algorithmE0ELj4294967295EEENS1_25partition_config_selectorILNS1_17partition_subalgoE4EjNS0_10empty_typeEbEEZZNS1_14partition_implILS8_4ELb0ES6_15HIP_vector_typeIjLj2EENS0_17counting_iteratorIjlEEPS9_SG_NS0_5tupleIJPjSI_NS0_16reverse_iteratorISI_EEEEENSH_IJSG_SG_SG_EEES9_SI_JZNS1_25segmented_radix_sort_implINS0_14default_configELb0EPKbPbPKlPlN2at6native12_GLOBAL__N_18offset_tEEE10hipError_tPvRmT1_PNSt15iterator_traitsIS12_E10value_typeET2_T3_PNS13_IS18_E10value_typeET4_jRbjT5_S1E_jjP12ihipStream_tbEUljE_ZNSN_ISO_Lb0ESQ_SR_ST_SU_SY_EESZ_S10_S11_S12_S16_S17_S18_S1B_S1C_jS1D_jS1E_S1E_jjS1G_bEUljE0_EEESZ_S10_S11_S18_S1C_S1E_T6_T7_T9_mT8_S1G_bDpT10_ENKUlT_T0_E_clISt17integral_constantIbLb1EES1T_IbLb0EEEEDaS1P_S1Q_EUlS1P_E_NS1_11comp_targetILNS1_3genE2ELNS1_11target_archE906ELNS1_3gpuE6ELNS1_3repE0EEENS1_30default_config_static_selectorELNS0_4arch9wavefront6targetE0EEEvS12_.num_vgpr, 0
	.set _ZN7rocprim17ROCPRIM_400000_NS6detail17trampoline_kernelINS0_13select_configILj256ELj13ELNS0_17block_load_methodE3ELS4_3ELS4_3ELNS0_20block_scan_algorithmE0ELj4294967295EEENS1_25partition_config_selectorILNS1_17partition_subalgoE4EjNS0_10empty_typeEbEEZZNS1_14partition_implILS8_4ELb0ES6_15HIP_vector_typeIjLj2EENS0_17counting_iteratorIjlEEPS9_SG_NS0_5tupleIJPjSI_NS0_16reverse_iteratorISI_EEEEENSH_IJSG_SG_SG_EEES9_SI_JZNS1_25segmented_radix_sort_implINS0_14default_configELb0EPKbPbPKlPlN2at6native12_GLOBAL__N_18offset_tEEE10hipError_tPvRmT1_PNSt15iterator_traitsIS12_E10value_typeET2_T3_PNS13_IS18_E10value_typeET4_jRbjT5_S1E_jjP12ihipStream_tbEUljE_ZNSN_ISO_Lb0ESQ_SR_ST_SU_SY_EESZ_S10_S11_S12_S16_S17_S18_S1B_S1C_jS1D_jS1E_S1E_jjS1G_bEUljE0_EEESZ_S10_S11_S18_S1C_S1E_T6_T7_T9_mT8_S1G_bDpT10_ENKUlT_T0_E_clISt17integral_constantIbLb1EES1T_IbLb0EEEEDaS1P_S1Q_EUlS1P_E_NS1_11comp_targetILNS1_3genE2ELNS1_11target_archE906ELNS1_3gpuE6ELNS1_3repE0EEENS1_30default_config_static_selectorELNS0_4arch9wavefront6targetE0EEEvS12_.num_agpr, 0
	.set _ZN7rocprim17ROCPRIM_400000_NS6detail17trampoline_kernelINS0_13select_configILj256ELj13ELNS0_17block_load_methodE3ELS4_3ELS4_3ELNS0_20block_scan_algorithmE0ELj4294967295EEENS1_25partition_config_selectorILNS1_17partition_subalgoE4EjNS0_10empty_typeEbEEZZNS1_14partition_implILS8_4ELb0ES6_15HIP_vector_typeIjLj2EENS0_17counting_iteratorIjlEEPS9_SG_NS0_5tupleIJPjSI_NS0_16reverse_iteratorISI_EEEEENSH_IJSG_SG_SG_EEES9_SI_JZNS1_25segmented_radix_sort_implINS0_14default_configELb0EPKbPbPKlPlN2at6native12_GLOBAL__N_18offset_tEEE10hipError_tPvRmT1_PNSt15iterator_traitsIS12_E10value_typeET2_T3_PNS13_IS18_E10value_typeET4_jRbjT5_S1E_jjP12ihipStream_tbEUljE_ZNSN_ISO_Lb0ESQ_SR_ST_SU_SY_EESZ_S10_S11_S12_S16_S17_S18_S1B_S1C_jS1D_jS1E_S1E_jjS1G_bEUljE0_EEESZ_S10_S11_S18_S1C_S1E_T6_T7_T9_mT8_S1G_bDpT10_ENKUlT_T0_E_clISt17integral_constantIbLb1EES1T_IbLb0EEEEDaS1P_S1Q_EUlS1P_E_NS1_11comp_targetILNS1_3genE2ELNS1_11target_archE906ELNS1_3gpuE6ELNS1_3repE0EEENS1_30default_config_static_selectorELNS0_4arch9wavefront6targetE0EEEvS12_.numbered_sgpr, 0
	.set _ZN7rocprim17ROCPRIM_400000_NS6detail17trampoline_kernelINS0_13select_configILj256ELj13ELNS0_17block_load_methodE3ELS4_3ELS4_3ELNS0_20block_scan_algorithmE0ELj4294967295EEENS1_25partition_config_selectorILNS1_17partition_subalgoE4EjNS0_10empty_typeEbEEZZNS1_14partition_implILS8_4ELb0ES6_15HIP_vector_typeIjLj2EENS0_17counting_iteratorIjlEEPS9_SG_NS0_5tupleIJPjSI_NS0_16reverse_iteratorISI_EEEEENSH_IJSG_SG_SG_EEES9_SI_JZNS1_25segmented_radix_sort_implINS0_14default_configELb0EPKbPbPKlPlN2at6native12_GLOBAL__N_18offset_tEEE10hipError_tPvRmT1_PNSt15iterator_traitsIS12_E10value_typeET2_T3_PNS13_IS18_E10value_typeET4_jRbjT5_S1E_jjP12ihipStream_tbEUljE_ZNSN_ISO_Lb0ESQ_SR_ST_SU_SY_EESZ_S10_S11_S12_S16_S17_S18_S1B_S1C_jS1D_jS1E_S1E_jjS1G_bEUljE0_EEESZ_S10_S11_S18_S1C_S1E_T6_T7_T9_mT8_S1G_bDpT10_ENKUlT_T0_E_clISt17integral_constantIbLb1EES1T_IbLb0EEEEDaS1P_S1Q_EUlS1P_E_NS1_11comp_targetILNS1_3genE2ELNS1_11target_archE906ELNS1_3gpuE6ELNS1_3repE0EEENS1_30default_config_static_selectorELNS0_4arch9wavefront6targetE0EEEvS12_.num_named_barrier, 0
	.set _ZN7rocprim17ROCPRIM_400000_NS6detail17trampoline_kernelINS0_13select_configILj256ELj13ELNS0_17block_load_methodE3ELS4_3ELS4_3ELNS0_20block_scan_algorithmE0ELj4294967295EEENS1_25partition_config_selectorILNS1_17partition_subalgoE4EjNS0_10empty_typeEbEEZZNS1_14partition_implILS8_4ELb0ES6_15HIP_vector_typeIjLj2EENS0_17counting_iteratorIjlEEPS9_SG_NS0_5tupleIJPjSI_NS0_16reverse_iteratorISI_EEEEENSH_IJSG_SG_SG_EEES9_SI_JZNS1_25segmented_radix_sort_implINS0_14default_configELb0EPKbPbPKlPlN2at6native12_GLOBAL__N_18offset_tEEE10hipError_tPvRmT1_PNSt15iterator_traitsIS12_E10value_typeET2_T3_PNS13_IS18_E10value_typeET4_jRbjT5_S1E_jjP12ihipStream_tbEUljE_ZNSN_ISO_Lb0ESQ_SR_ST_SU_SY_EESZ_S10_S11_S12_S16_S17_S18_S1B_S1C_jS1D_jS1E_S1E_jjS1G_bEUljE0_EEESZ_S10_S11_S18_S1C_S1E_T6_T7_T9_mT8_S1G_bDpT10_ENKUlT_T0_E_clISt17integral_constantIbLb1EES1T_IbLb0EEEEDaS1P_S1Q_EUlS1P_E_NS1_11comp_targetILNS1_3genE2ELNS1_11target_archE906ELNS1_3gpuE6ELNS1_3repE0EEENS1_30default_config_static_selectorELNS0_4arch9wavefront6targetE0EEEvS12_.private_seg_size, 0
	.set _ZN7rocprim17ROCPRIM_400000_NS6detail17trampoline_kernelINS0_13select_configILj256ELj13ELNS0_17block_load_methodE3ELS4_3ELS4_3ELNS0_20block_scan_algorithmE0ELj4294967295EEENS1_25partition_config_selectorILNS1_17partition_subalgoE4EjNS0_10empty_typeEbEEZZNS1_14partition_implILS8_4ELb0ES6_15HIP_vector_typeIjLj2EENS0_17counting_iteratorIjlEEPS9_SG_NS0_5tupleIJPjSI_NS0_16reverse_iteratorISI_EEEEENSH_IJSG_SG_SG_EEES9_SI_JZNS1_25segmented_radix_sort_implINS0_14default_configELb0EPKbPbPKlPlN2at6native12_GLOBAL__N_18offset_tEEE10hipError_tPvRmT1_PNSt15iterator_traitsIS12_E10value_typeET2_T3_PNS13_IS18_E10value_typeET4_jRbjT5_S1E_jjP12ihipStream_tbEUljE_ZNSN_ISO_Lb0ESQ_SR_ST_SU_SY_EESZ_S10_S11_S12_S16_S17_S18_S1B_S1C_jS1D_jS1E_S1E_jjS1G_bEUljE0_EEESZ_S10_S11_S18_S1C_S1E_T6_T7_T9_mT8_S1G_bDpT10_ENKUlT_T0_E_clISt17integral_constantIbLb1EES1T_IbLb0EEEEDaS1P_S1Q_EUlS1P_E_NS1_11comp_targetILNS1_3genE2ELNS1_11target_archE906ELNS1_3gpuE6ELNS1_3repE0EEENS1_30default_config_static_selectorELNS0_4arch9wavefront6targetE0EEEvS12_.uses_vcc, 0
	.set _ZN7rocprim17ROCPRIM_400000_NS6detail17trampoline_kernelINS0_13select_configILj256ELj13ELNS0_17block_load_methodE3ELS4_3ELS4_3ELNS0_20block_scan_algorithmE0ELj4294967295EEENS1_25partition_config_selectorILNS1_17partition_subalgoE4EjNS0_10empty_typeEbEEZZNS1_14partition_implILS8_4ELb0ES6_15HIP_vector_typeIjLj2EENS0_17counting_iteratorIjlEEPS9_SG_NS0_5tupleIJPjSI_NS0_16reverse_iteratorISI_EEEEENSH_IJSG_SG_SG_EEES9_SI_JZNS1_25segmented_radix_sort_implINS0_14default_configELb0EPKbPbPKlPlN2at6native12_GLOBAL__N_18offset_tEEE10hipError_tPvRmT1_PNSt15iterator_traitsIS12_E10value_typeET2_T3_PNS13_IS18_E10value_typeET4_jRbjT5_S1E_jjP12ihipStream_tbEUljE_ZNSN_ISO_Lb0ESQ_SR_ST_SU_SY_EESZ_S10_S11_S12_S16_S17_S18_S1B_S1C_jS1D_jS1E_S1E_jjS1G_bEUljE0_EEESZ_S10_S11_S18_S1C_S1E_T6_T7_T9_mT8_S1G_bDpT10_ENKUlT_T0_E_clISt17integral_constantIbLb1EES1T_IbLb0EEEEDaS1P_S1Q_EUlS1P_E_NS1_11comp_targetILNS1_3genE2ELNS1_11target_archE906ELNS1_3gpuE6ELNS1_3repE0EEENS1_30default_config_static_selectorELNS0_4arch9wavefront6targetE0EEEvS12_.uses_flat_scratch, 0
	.set _ZN7rocprim17ROCPRIM_400000_NS6detail17trampoline_kernelINS0_13select_configILj256ELj13ELNS0_17block_load_methodE3ELS4_3ELS4_3ELNS0_20block_scan_algorithmE0ELj4294967295EEENS1_25partition_config_selectorILNS1_17partition_subalgoE4EjNS0_10empty_typeEbEEZZNS1_14partition_implILS8_4ELb0ES6_15HIP_vector_typeIjLj2EENS0_17counting_iteratorIjlEEPS9_SG_NS0_5tupleIJPjSI_NS0_16reverse_iteratorISI_EEEEENSH_IJSG_SG_SG_EEES9_SI_JZNS1_25segmented_radix_sort_implINS0_14default_configELb0EPKbPbPKlPlN2at6native12_GLOBAL__N_18offset_tEEE10hipError_tPvRmT1_PNSt15iterator_traitsIS12_E10value_typeET2_T3_PNS13_IS18_E10value_typeET4_jRbjT5_S1E_jjP12ihipStream_tbEUljE_ZNSN_ISO_Lb0ESQ_SR_ST_SU_SY_EESZ_S10_S11_S12_S16_S17_S18_S1B_S1C_jS1D_jS1E_S1E_jjS1G_bEUljE0_EEESZ_S10_S11_S18_S1C_S1E_T6_T7_T9_mT8_S1G_bDpT10_ENKUlT_T0_E_clISt17integral_constantIbLb1EES1T_IbLb0EEEEDaS1P_S1Q_EUlS1P_E_NS1_11comp_targetILNS1_3genE2ELNS1_11target_archE906ELNS1_3gpuE6ELNS1_3repE0EEENS1_30default_config_static_selectorELNS0_4arch9wavefront6targetE0EEEvS12_.has_dyn_sized_stack, 0
	.set _ZN7rocprim17ROCPRIM_400000_NS6detail17trampoline_kernelINS0_13select_configILj256ELj13ELNS0_17block_load_methodE3ELS4_3ELS4_3ELNS0_20block_scan_algorithmE0ELj4294967295EEENS1_25partition_config_selectorILNS1_17partition_subalgoE4EjNS0_10empty_typeEbEEZZNS1_14partition_implILS8_4ELb0ES6_15HIP_vector_typeIjLj2EENS0_17counting_iteratorIjlEEPS9_SG_NS0_5tupleIJPjSI_NS0_16reverse_iteratorISI_EEEEENSH_IJSG_SG_SG_EEES9_SI_JZNS1_25segmented_radix_sort_implINS0_14default_configELb0EPKbPbPKlPlN2at6native12_GLOBAL__N_18offset_tEEE10hipError_tPvRmT1_PNSt15iterator_traitsIS12_E10value_typeET2_T3_PNS13_IS18_E10value_typeET4_jRbjT5_S1E_jjP12ihipStream_tbEUljE_ZNSN_ISO_Lb0ESQ_SR_ST_SU_SY_EESZ_S10_S11_S12_S16_S17_S18_S1B_S1C_jS1D_jS1E_S1E_jjS1G_bEUljE0_EEESZ_S10_S11_S18_S1C_S1E_T6_T7_T9_mT8_S1G_bDpT10_ENKUlT_T0_E_clISt17integral_constantIbLb1EES1T_IbLb0EEEEDaS1P_S1Q_EUlS1P_E_NS1_11comp_targetILNS1_3genE2ELNS1_11target_archE906ELNS1_3gpuE6ELNS1_3repE0EEENS1_30default_config_static_selectorELNS0_4arch9wavefront6targetE0EEEvS12_.has_recursion, 0
	.set _ZN7rocprim17ROCPRIM_400000_NS6detail17trampoline_kernelINS0_13select_configILj256ELj13ELNS0_17block_load_methodE3ELS4_3ELS4_3ELNS0_20block_scan_algorithmE0ELj4294967295EEENS1_25partition_config_selectorILNS1_17partition_subalgoE4EjNS0_10empty_typeEbEEZZNS1_14partition_implILS8_4ELb0ES6_15HIP_vector_typeIjLj2EENS0_17counting_iteratorIjlEEPS9_SG_NS0_5tupleIJPjSI_NS0_16reverse_iteratorISI_EEEEENSH_IJSG_SG_SG_EEES9_SI_JZNS1_25segmented_radix_sort_implINS0_14default_configELb0EPKbPbPKlPlN2at6native12_GLOBAL__N_18offset_tEEE10hipError_tPvRmT1_PNSt15iterator_traitsIS12_E10value_typeET2_T3_PNS13_IS18_E10value_typeET4_jRbjT5_S1E_jjP12ihipStream_tbEUljE_ZNSN_ISO_Lb0ESQ_SR_ST_SU_SY_EESZ_S10_S11_S12_S16_S17_S18_S1B_S1C_jS1D_jS1E_S1E_jjS1G_bEUljE0_EEESZ_S10_S11_S18_S1C_S1E_T6_T7_T9_mT8_S1G_bDpT10_ENKUlT_T0_E_clISt17integral_constantIbLb1EES1T_IbLb0EEEEDaS1P_S1Q_EUlS1P_E_NS1_11comp_targetILNS1_3genE2ELNS1_11target_archE906ELNS1_3gpuE6ELNS1_3repE0EEENS1_30default_config_static_selectorELNS0_4arch9wavefront6targetE0EEEvS12_.has_indirect_call, 0
	.section	.AMDGPU.csdata,"",@progbits
; Kernel info:
; codeLenInByte = 0
; TotalNumSgprs: 0
; NumVgprs: 0
; ScratchSize: 0
; MemoryBound: 0
; FloatMode: 240
; IeeeMode: 1
; LDSByteSize: 0 bytes/workgroup (compile time only)
; SGPRBlocks: 0
; VGPRBlocks: 0
; NumSGPRsForWavesPerEU: 1
; NumVGPRsForWavesPerEU: 1
; NamedBarCnt: 0
; Occupancy: 16
; WaveLimiterHint : 0
; COMPUTE_PGM_RSRC2:SCRATCH_EN: 0
; COMPUTE_PGM_RSRC2:USER_SGPR: 2
; COMPUTE_PGM_RSRC2:TRAP_HANDLER: 0
; COMPUTE_PGM_RSRC2:TGID_X_EN: 1
; COMPUTE_PGM_RSRC2:TGID_Y_EN: 0
; COMPUTE_PGM_RSRC2:TGID_Z_EN: 0
; COMPUTE_PGM_RSRC2:TIDIG_COMP_CNT: 0
	.section	.text._ZN7rocprim17ROCPRIM_400000_NS6detail17trampoline_kernelINS0_13select_configILj256ELj13ELNS0_17block_load_methodE3ELS4_3ELS4_3ELNS0_20block_scan_algorithmE0ELj4294967295EEENS1_25partition_config_selectorILNS1_17partition_subalgoE4EjNS0_10empty_typeEbEEZZNS1_14partition_implILS8_4ELb0ES6_15HIP_vector_typeIjLj2EENS0_17counting_iteratorIjlEEPS9_SG_NS0_5tupleIJPjSI_NS0_16reverse_iteratorISI_EEEEENSH_IJSG_SG_SG_EEES9_SI_JZNS1_25segmented_radix_sort_implINS0_14default_configELb0EPKbPbPKlPlN2at6native12_GLOBAL__N_18offset_tEEE10hipError_tPvRmT1_PNSt15iterator_traitsIS12_E10value_typeET2_T3_PNS13_IS18_E10value_typeET4_jRbjT5_S1E_jjP12ihipStream_tbEUljE_ZNSN_ISO_Lb0ESQ_SR_ST_SU_SY_EESZ_S10_S11_S12_S16_S17_S18_S1B_S1C_jS1D_jS1E_S1E_jjS1G_bEUljE0_EEESZ_S10_S11_S18_S1C_S1E_T6_T7_T9_mT8_S1G_bDpT10_ENKUlT_T0_E_clISt17integral_constantIbLb1EES1T_IbLb0EEEEDaS1P_S1Q_EUlS1P_E_NS1_11comp_targetILNS1_3genE10ELNS1_11target_archE1200ELNS1_3gpuE4ELNS1_3repE0EEENS1_30default_config_static_selectorELNS0_4arch9wavefront6targetE0EEEvS12_,"axG",@progbits,_ZN7rocprim17ROCPRIM_400000_NS6detail17trampoline_kernelINS0_13select_configILj256ELj13ELNS0_17block_load_methodE3ELS4_3ELS4_3ELNS0_20block_scan_algorithmE0ELj4294967295EEENS1_25partition_config_selectorILNS1_17partition_subalgoE4EjNS0_10empty_typeEbEEZZNS1_14partition_implILS8_4ELb0ES6_15HIP_vector_typeIjLj2EENS0_17counting_iteratorIjlEEPS9_SG_NS0_5tupleIJPjSI_NS0_16reverse_iteratorISI_EEEEENSH_IJSG_SG_SG_EEES9_SI_JZNS1_25segmented_radix_sort_implINS0_14default_configELb0EPKbPbPKlPlN2at6native12_GLOBAL__N_18offset_tEEE10hipError_tPvRmT1_PNSt15iterator_traitsIS12_E10value_typeET2_T3_PNS13_IS18_E10value_typeET4_jRbjT5_S1E_jjP12ihipStream_tbEUljE_ZNSN_ISO_Lb0ESQ_SR_ST_SU_SY_EESZ_S10_S11_S12_S16_S17_S18_S1B_S1C_jS1D_jS1E_S1E_jjS1G_bEUljE0_EEESZ_S10_S11_S18_S1C_S1E_T6_T7_T9_mT8_S1G_bDpT10_ENKUlT_T0_E_clISt17integral_constantIbLb1EES1T_IbLb0EEEEDaS1P_S1Q_EUlS1P_E_NS1_11comp_targetILNS1_3genE10ELNS1_11target_archE1200ELNS1_3gpuE4ELNS1_3repE0EEENS1_30default_config_static_selectorELNS0_4arch9wavefront6targetE0EEEvS12_,comdat
	.globl	_ZN7rocprim17ROCPRIM_400000_NS6detail17trampoline_kernelINS0_13select_configILj256ELj13ELNS0_17block_load_methodE3ELS4_3ELS4_3ELNS0_20block_scan_algorithmE0ELj4294967295EEENS1_25partition_config_selectorILNS1_17partition_subalgoE4EjNS0_10empty_typeEbEEZZNS1_14partition_implILS8_4ELb0ES6_15HIP_vector_typeIjLj2EENS0_17counting_iteratorIjlEEPS9_SG_NS0_5tupleIJPjSI_NS0_16reverse_iteratorISI_EEEEENSH_IJSG_SG_SG_EEES9_SI_JZNS1_25segmented_radix_sort_implINS0_14default_configELb0EPKbPbPKlPlN2at6native12_GLOBAL__N_18offset_tEEE10hipError_tPvRmT1_PNSt15iterator_traitsIS12_E10value_typeET2_T3_PNS13_IS18_E10value_typeET4_jRbjT5_S1E_jjP12ihipStream_tbEUljE_ZNSN_ISO_Lb0ESQ_SR_ST_SU_SY_EESZ_S10_S11_S12_S16_S17_S18_S1B_S1C_jS1D_jS1E_S1E_jjS1G_bEUljE0_EEESZ_S10_S11_S18_S1C_S1E_T6_T7_T9_mT8_S1G_bDpT10_ENKUlT_T0_E_clISt17integral_constantIbLb1EES1T_IbLb0EEEEDaS1P_S1Q_EUlS1P_E_NS1_11comp_targetILNS1_3genE10ELNS1_11target_archE1200ELNS1_3gpuE4ELNS1_3repE0EEENS1_30default_config_static_selectorELNS0_4arch9wavefront6targetE0EEEvS12_ ; -- Begin function _ZN7rocprim17ROCPRIM_400000_NS6detail17trampoline_kernelINS0_13select_configILj256ELj13ELNS0_17block_load_methodE3ELS4_3ELS4_3ELNS0_20block_scan_algorithmE0ELj4294967295EEENS1_25partition_config_selectorILNS1_17partition_subalgoE4EjNS0_10empty_typeEbEEZZNS1_14partition_implILS8_4ELb0ES6_15HIP_vector_typeIjLj2EENS0_17counting_iteratorIjlEEPS9_SG_NS0_5tupleIJPjSI_NS0_16reverse_iteratorISI_EEEEENSH_IJSG_SG_SG_EEES9_SI_JZNS1_25segmented_radix_sort_implINS0_14default_configELb0EPKbPbPKlPlN2at6native12_GLOBAL__N_18offset_tEEE10hipError_tPvRmT1_PNSt15iterator_traitsIS12_E10value_typeET2_T3_PNS13_IS18_E10value_typeET4_jRbjT5_S1E_jjP12ihipStream_tbEUljE_ZNSN_ISO_Lb0ESQ_SR_ST_SU_SY_EESZ_S10_S11_S12_S16_S17_S18_S1B_S1C_jS1D_jS1E_S1E_jjS1G_bEUljE0_EEESZ_S10_S11_S18_S1C_S1E_T6_T7_T9_mT8_S1G_bDpT10_ENKUlT_T0_E_clISt17integral_constantIbLb1EES1T_IbLb0EEEEDaS1P_S1Q_EUlS1P_E_NS1_11comp_targetILNS1_3genE10ELNS1_11target_archE1200ELNS1_3gpuE4ELNS1_3repE0EEENS1_30default_config_static_selectorELNS0_4arch9wavefront6targetE0EEEvS12_
	.p2align	8
	.type	_ZN7rocprim17ROCPRIM_400000_NS6detail17trampoline_kernelINS0_13select_configILj256ELj13ELNS0_17block_load_methodE3ELS4_3ELS4_3ELNS0_20block_scan_algorithmE0ELj4294967295EEENS1_25partition_config_selectorILNS1_17partition_subalgoE4EjNS0_10empty_typeEbEEZZNS1_14partition_implILS8_4ELb0ES6_15HIP_vector_typeIjLj2EENS0_17counting_iteratorIjlEEPS9_SG_NS0_5tupleIJPjSI_NS0_16reverse_iteratorISI_EEEEENSH_IJSG_SG_SG_EEES9_SI_JZNS1_25segmented_radix_sort_implINS0_14default_configELb0EPKbPbPKlPlN2at6native12_GLOBAL__N_18offset_tEEE10hipError_tPvRmT1_PNSt15iterator_traitsIS12_E10value_typeET2_T3_PNS13_IS18_E10value_typeET4_jRbjT5_S1E_jjP12ihipStream_tbEUljE_ZNSN_ISO_Lb0ESQ_SR_ST_SU_SY_EESZ_S10_S11_S12_S16_S17_S18_S1B_S1C_jS1D_jS1E_S1E_jjS1G_bEUljE0_EEESZ_S10_S11_S18_S1C_S1E_T6_T7_T9_mT8_S1G_bDpT10_ENKUlT_T0_E_clISt17integral_constantIbLb1EES1T_IbLb0EEEEDaS1P_S1Q_EUlS1P_E_NS1_11comp_targetILNS1_3genE10ELNS1_11target_archE1200ELNS1_3gpuE4ELNS1_3repE0EEENS1_30default_config_static_selectorELNS0_4arch9wavefront6targetE0EEEvS12_,@function
_ZN7rocprim17ROCPRIM_400000_NS6detail17trampoline_kernelINS0_13select_configILj256ELj13ELNS0_17block_load_methodE3ELS4_3ELS4_3ELNS0_20block_scan_algorithmE0ELj4294967295EEENS1_25partition_config_selectorILNS1_17partition_subalgoE4EjNS0_10empty_typeEbEEZZNS1_14partition_implILS8_4ELb0ES6_15HIP_vector_typeIjLj2EENS0_17counting_iteratorIjlEEPS9_SG_NS0_5tupleIJPjSI_NS0_16reverse_iteratorISI_EEEEENSH_IJSG_SG_SG_EEES9_SI_JZNS1_25segmented_radix_sort_implINS0_14default_configELb0EPKbPbPKlPlN2at6native12_GLOBAL__N_18offset_tEEE10hipError_tPvRmT1_PNSt15iterator_traitsIS12_E10value_typeET2_T3_PNS13_IS18_E10value_typeET4_jRbjT5_S1E_jjP12ihipStream_tbEUljE_ZNSN_ISO_Lb0ESQ_SR_ST_SU_SY_EESZ_S10_S11_S12_S16_S17_S18_S1B_S1C_jS1D_jS1E_S1E_jjS1G_bEUljE0_EEESZ_S10_S11_S18_S1C_S1E_T6_T7_T9_mT8_S1G_bDpT10_ENKUlT_T0_E_clISt17integral_constantIbLb1EES1T_IbLb0EEEEDaS1P_S1Q_EUlS1P_E_NS1_11comp_targetILNS1_3genE10ELNS1_11target_archE1200ELNS1_3gpuE4ELNS1_3repE0EEENS1_30default_config_static_selectorELNS0_4arch9wavefront6targetE0EEEvS12_: ; @_ZN7rocprim17ROCPRIM_400000_NS6detail17trampoline_kernelINS0_13select_configILj256ELj13ELNS0_17block_load_methodE3ELS4_3ELS4_3ELNS0_20block_scan_algorithmE0ELj4294967295EEENS1_25partition_config_selectorILNS1_17partition_subalgoE4EjNS0_10empty_typeEbEEZZNS1_14partition_implILS8_4ELb0ES6_15HIP_vector_typeIjLj2EENS0_17counting_iteratorIjlEEPS9_SG_NS0_5tupleIJPjSI_NS0_16reverse_iteratorISI_EEEEENSH_IJSG_SG_SG_EEES9_SI_JZNS1_25segmented_radix_sort_implINS0_14default_configELb0EPKbPbPKlPlN2at6native12_GLOBAL__N_18offset_tEEE10hipError_tPvRmT1_PNSt15iterator_traitsIS12_E10value_typeET2_T3_PNS13_IS18_E10value_typeET4_jRbjT5_S1E_jjP12ihipStream_tbEUljE_ZNSN_ISO_Lb0ESQ_SR_ST_SU_SY_EESZ_S10_S11_S12_S16_S17_S18_S1B_S1C_jS1D_jS1E_S1E_jjS1G_bEUljE0_EEESZ_S10_S11_S18_S1C_S1E_T6_T7_T9_mT8_S1G_bDpT10_ENKUlT_T0_E_clISt17integral_constantIbLb1EES1T_IbLb0EEEEDaS1P_S1Q_EUlS1P_E_NS1_11comp_targetILNS1_3genE10ELNS1_11target_archE1200ELNS1_3gpuE4ELNS1_3repE0EEENS1_30default_config_static_selectorELNS0_4arch9wavefront6targetE0EEEvS12_
; %bb.0:
	.section	.rodata,"a",@progbits
	.p2align	6, 0x0
	.amdhsa_kernel _ZN7rocprim17ROCPRIM_400000_NS6detail17trampoline_kernelINS0_13select_configILj256ELj13ELNS0_17block_load_methodE3ELS4_3ELS4_3ELNS0_20block_scan_algorithmE0ELj4294967295EEENS1_25partition_config_selectorILNS1_17partition_subalgoE4EjNS0_10empty_typeEbEEZZNS1_14partition_implILS8_4ELb0ES6_15HIP_vector_typeIjLj2EENS0_17counting_iteratorIjlEEPS9_SG_NS0_5tupleIJPjSI_NS0_16reverse_iteratorISI_EEEEENSH_IJSG_SG_SG_EEES9_SI_JZNS1_25segmented_radix_sort_implINS0_14default_configELb0EPKbPbPKlPlN2at6native12_GLOBAL__N_18offset_tEEE10hipError_tPvRmT1_PNSt15iterator_traitsIS12_E10value_typeET2_T3_PNS13_IS18_E10value_typeET4_jRbjT5_S1E_jjP12ihipStream_tbEUljE_ZNSN_ISO_Lb0ESQ_SR_ST_SU_SY_EESZ_S10_S11_S12_S16_S17_S18_S1B_S1C_jS1D_jS1E_S1E_jjS1G_bEUljE0_EEESZ_S10_S11_S18_S1C_S1E_T6_T7_T9_mT8_S1G_bDpT10_ENKUlT_T0_E_clISt17integral_constantIbLb1EES1T_IbLb0EEEEDaS1P_S1Q_EUlS1P_E_NS1_11comp_targetILNS1_3genE10ELNS1_11target_archE1200ELNS1_3gpuE4ELNS1_3repE0EEENS1_30default_config_static_selectorELNS0_4arch9wavefront6targetE0EEEvS12_
		.amdhsa_group_segment_fixed_size 0
		.amdhsa_private_segment_fixed_size 0
		.amdhsa_kernarg_size 176
		.amdhsa_user_sgpr_count 2
		.amdhsa_user_sgpr_dispatch_ptr 0
		.amdhsa_user_sgpr_queue_ptr 0
		.amdhsa_user_sgpr_kernarg_segment_ptr 1
		.amdhsa_user_sgpr_dispatch_id 0
		.amdhsa_user_sgpr_kernarg_preload_length 0
		.amdhsa_user_sgpr_kernarg_preload_offset 0
		.amdhsa_user_sgpr_private_segment_size 0
		.amdhsa_wavefront_size32 1
		.amdhsa_uses_dynamic_stack 0
		.amdhsa_enable_private_segment 0
		.amdhsa_system_sgpr_workgroup_id_x 1
		.amdhsa_system_sgpr_workgroup_id_y 0
		.amdhsa_system_sgpr_workgroup_id_z 0
		.amdhsa_system_sgpr_workgroup_info 0
		.amdhsa_system_vgpr_workitem_id 0
		.amdhsa_next_free_vgpr 1
		.amdhsa_next_free_sgpr 1
		.amdhsa_named_barrier_count 0
		.amdhsa_reserve_vcc 0
		.amdhsa_float_round_mode_32 0
		.amdhsa_float_round_mode_16_64 0
		.amdhsa_float_denorm_mode_32 3
		.amdhsa_float_denorm_mode_16_64 3
		.amdhsa_fp16_overflow 0
		.amdhsa_memory_ordered 1
		.amdhsa_forward_progress 1
		.amdhsa_inst_pref_size 0
		.amdhsa_round_robin_scheduling 0
		.amdhsa_exception_fp_ieee_invalid_op 0
		.amdhsa_exception_fp_denorm_src 0
		.amdhsa_exception_fp_ieee_div_zero 0
		.amdhsa_exception_fp_ieee_overflow 0
		.amdhsa_exception_fp_ieee_underflow 0
		.amdhsa_exception_fp_ieee_inexact 0
		.amdhsa_exception_int_div_zero 0
	.end_amdhsa_kernel
	.section	.text._ZN7rocprim17ROCPRIM_400000_NS6detail17trampoline_kernelINS0_13select_configILj256ELj13ELNS0_17block_load_methodE3ELS4_3ELS4_3ELNS0_20block_scan_algorithmE0ELj4294967295EEENS1_25partition_config_selectorILNS1_17partition_subalgoE4EjNS0_10empty_typeEbEEZZNS1_14partition_implILS8_4ELb0ES6_15HIP_vector_typeIjLj2EENS0_17counting_iteratorIjlEEPS9_SG_NS0_5tupleIJPjSI_NS0_16reverse_iteratorISI_EEEEENSH_IJSG_SG_SG_EEES9_SI_JZNS1_25segmented_radix_sort_implINS0_14default_configELb0EPKbPbPKlPlN2at6native12_GLOBAL__N_18offset_tEEE10hipError_tPvRmT1_PNSt15iterator_traitsIS12_E10value_typeET2_T3_PNS13_IS18_E10value_typeET4_jRbjT5_S1E_jjP12ihipStream_tbEUljE_ZNSN_ISO_Lb0ESQ_SR_ST_SU_SY_EESZ_S10_S11_S12_S16_S17_S18_S1B_S1C_jS1D_jS1E_S1E_jjS1G_bEUljE0_EEESZ_S10_S11_S18_S1C_S1E_T6_T7_T9_mT8_S1G_bDpT10_ENKUlT_T0_E_clISt17integral_constantIbLb1EES1T_IbLb0EEEEDaS1P_S1Q_EUlS1P_E_NS1_11comp_targetILNS1_3genE10ELNS1_11target_archE1200ELNS1_3gpuE4ELNS1_3repE0EEENS1_30default_config_static_selectorELNS0_4arch9wavefront6targetE0EEEvS12_,"axG",@progbits,_ZN7rocprim17ROCPRIM_400000_NS6detail17trampoline_kernelINS0_13select_configILj256ELj13ELNS0_17block_load_methodE3ELS4_3ELS4_3ELNS0_20block_scan_algorithmE0ELj4294967295EEENS1_25partition_config_selectorILNS1_17partition_subalgoE4EjNS0_10empty_typeEbEEZZNS1_14partition_implILS8_4ELb0ES6_15HIP_vector_typeIjLj2EENS0_17counting_iteratorIjlEEPS9_SG_NS0_5tupleIJPjSI_NS0_16reverse_iteratorISI_EEEEENSH_IJSG_SG_SG_EEES9_SI_JZNS1_25segmented_radix_sort_implINS0_14default_configELb0EPKbPbPKlPlN2at6native12_GLOBAL__N_18offset_tEEE10hipError_tPvRmT1_PNSt15iterator_traitsIS12_E10value_typeET2_T3_PNS13_IS18_E10value_typeET4_jRbjT5_S1E_jjP12ihipStream_tbEUljE_ZNSN_ISO_Lb0ESQ_SR_ST_SU_SY_EESZ_S10_S11_S12_S16_S17_S18_S1B_S1C_jS1D_jS1E_S1E_jjS1G_bEUljE0_EEESZ_S10_S11_S18_S1C_S1E_T6_T7_T9_mT8_S1G_bDpT10_ENKUlT_T0_E_clISt17integral_constantIbLb1EES1T_IbLb0EEEEDaS1P_S1Q_EUlS1P_E_NS1_11comp_targetILNS1_3genE10ELNS1_11target_archE1200ELNS1_3gpuE4ELNS1_3repE0EEENS1_30default_config_static_selectorELNS0_4arch9wavefront6targetE0EEEvS12_,comdat
.Lfunc_end1583:
	.size	_ZN7rocprim17ROCPRIM_400000_NS6detail17trampoline_kernelINS0_13select_configILj256ELj13ELNS0_17block_load_methodE3ELS4_3ELS4_3ELNS0_20block_scan_algorithmE0ELj4294967295EEENS1_25partition_config_selectorILNS1_17partition_subalgoE4EjNS0_10empty_typeEbEEZZNS1_14partition_implILS8_4ELb0ES6_15HIP_vector_typeIjLj2EENS0_17counting_iteratorIjlEEPS9_SG_NS0_5tupleIJPjSI_NS0_16reverse_iteratorISI_EEEEENSH_IJSG_SG_SG_EEES9_SI_JZNS1_25segmented_radix_sort_implINS0_14default_configELb0EPKbPbPKlPlN2at6native12_GLOBAL__N_18offset_tEEE10hipError_tPvRmT1_PNSt15iterator_traitsIS12_E10value_typeET2_T3_PNS13_IS18_E10value_typeET4_jRbjT5_S1E_jjP12ihipStream_tbEUljE_ZNSN_ISO_Lb0ESQ_SR_ST_SU_SY_EESZ_S10_S11_S12_S16_S17_S18_S1B_S1C_jS1D_jS1E_S1E_jjS1G_bEUljE0_EEESZ_S10_S11_S18_S1C_S1E_T6_T7_T9_mT8_S1G_bDpT10_ENKUlT_T0_E_clISt17integral_constantIbLb1EES1T_IbLb0EEEEDaS1P_S1Q_EUlS1P_E_NS1_11comp_targetILNS1_3genE10ELNS1_11target_archE1200ELNS1_3gpuE4ELNS1_3repE0EEENS1_30default_config_static_selectorELNS0_4arch9wavefront6targetE0EEEvS12_, .Lfunc_end1583-_ZN7rocprim17ROCPRIM_400000_NS6detail17trampoline_kernelINS0_13select_configILj256ELj13ELNS0_17block_load_methodE3ELS4_3ELS4_3ELNS0_20block_scan_algorithmE0ELj4294967295EEENS1_25partition_config_selectorILNS1_17partition_subalgoE4EjNS0_10empty_typeEbEEZZNS1_14partition_implILS8_4ELb0ES6_15HIP_vector_typeIjLj2EENS0_17counting_iteratorIjlEEPS9_SG_NS0_5tupleIJPjSI_NS0_16reverse_iteratorISI_EEEEENSH_IJSG_SG_SG_EEES9_SI_JZNS1_25segmented_radix_sort_implINS0_14default_configELb0EPKbPbPKlPlN2at6native12_GLOBAL__N_18offset_tEEE10hipError_tPvRmT1_PNSt15iterator_traitsIS12_E10value_typeET2_T3_PNS13_IS18_E10value_typeET4_jRbjT5_S1E_jjP12ihipStream_tbEUljE_ZNSN_ISO_Lb0ESQ_SR_ST_SU_SY_EESZ_S10_S11_S12_S16_S17_S18_S1B_S1C_jS1D_jS1E_S1E_jjS1G_bEUljE0_EEESZ_S10_S11_S18_S1C_S1E_T6_T7_T9_mT8_S1G_bDpT10_ENKUlT_T0_E_clISt17integral_constantIbLb1EES1T_IbLb0EEEEDaS1P_S1Q_EUlS1P_E_NS1_11comp_targetILNS1_3genE10ELNS1_11target_archE1200ELNS1_3gpuE4ELNS1_3repE0EEENS1_30default_config_static_selectorELNS0_4arch9wavefront6targetE0EEEvS12_
                                        ; -- End function
	.set _ZN7rocprim17ROCPRIM_400000_NS6detail17trampoline_kernelINS0_13select_configILj256ELj13ELNS0_17block_load_methodE3ELS4_3ELS4_3ELNS0_20block_scan_algorithmE0ELj4294967295EEENS1_25partition_config_selectorILNS1_17partition_subalgoE4EjNS0_10empty_typeEbEEZZNS1_14partition_implILS8_4ELb0ES6_15HIP_vector_typeIjLj2EENS0_17counting_iteratorIjlEEPS9_SG_NS0_5tupleIJPjSI_NS0_16reverse_iteratorISI_EEEEENSH_IJSG_SG_SG_EEES9_SI_JZNS1_25segmented_radix_sort_implINS0_14default_configELb0EPKbPbPKlPlN2at6native12_GLOBAL__N_18offset_tEEE10hipError_tPvRmT1_PNSt15iterator_traitsIS12_E10value_typeET2_T3_PNS13_IS18_E10value_typeET4_jRbjT5_S1E_jjP12ihipStream_tbEUljE_ZNSN_ISO_Lb0ESQ_SR_ST_SU_SY_EESZ_S10_S11_S12_S16_S17_S18_S1B_S1C_jS1D_jS1E_S1E_jjS1G_bEUljE0_EEESZ_S10_S11_S18_S1C_S1E_T6_T7_T9_mT8_S1G_bDpT10_ENKUlT_T0_E_clISt17integral_constantIbLb1EES1T_IbLb0EEEEDaS1P_S1Q_EUlS1P_E_NS1_11comp_targetILNS1_3genE10ELNS1_11target_archE1200ELNS1_3gpuE4ELNS1_3repE0EEENS1_30default_config_static_selectorELNS0_4arch9wavefront6targetE0EEEvS12_.num_vgpr, 0
	.set _ZN7rocprim17ROCPRIM_400000_NS6detail17trampoline_kernelINS0_13select_configILj256ELj13ELNS0_17block_load_methodE3ELS4_3ELS4_3ELNS0_20block_scan_algorithmE0ELj4294967295EEENS1_25partition_config_selectorILNS1_17partition_subalgoE4EjNS0_10empty_typeEbEEZZNS1_14partition_implILS8_4ELb0ES6_15HIP_vector_typeIjLj2EENS0_17counting_iteratorIjlEEPS9_SG_NS0_5tupleIJPjSI_NS0_16reverse_iteratorISI_EEEEENSH_IJSG_SG_SG_EEES9_SI_JZNS1_25segmented_radix_sort_implINS0_14default_configELb0EPKbPbPKlPlN2at6native12_GLOBAL__N_18offset_tEEE10hipError_tPvRmT1_PNSt15iterator_traitsIS12_E10value_typeET2_T3_PNS13_IS18_E10value_typeET4_jRbjT5_S1E_jjP12ihipStream_tbEUljE_ZNSN_ISO_Lb0ESQ_SR_ST_SU_SY_EESZ_S10_S11_S12_S16_S17_S18_S1B_S1C_jS1D_jS1E_S1E_jjS1G_bEUljE0_EEESZ_S10_S11_S18_S1C_S1E_T6_T7_T9_mT8_S1G_bDpT10_ENKUlT_T0_E_clISt17integral_constantIbLb1EES1T_IbLb0EEEEDaS1P_S1Q_EUlS1P_E_NS1_11comp_targetILNS1_3genE10ELNS1_11target_archE1200ELNS1_3gpuE4ELNS1_3repE0EEENS1_30default_config_static_selectorELNS0_4arch9wavefront6targetE0EEEvS12_.num_agpr, 0
	.set _ZN7rocprim17ROCPRIM_400000_NS6detail17trampoline_kernelINS0_13select_configILj256ELj13ELNS0_17block_load_methodE3ELS4_3ELS4_3ELNS0_20block_scan_algorithmE0ELj4294967295EEENS1_25partition_config_selectorILNS1_17partition_subalgoE4EjNS0_10empty_typeEbEEZZNS1_14partition_implILS8_4ELb0ES6_15HIP_vector_typeIjLj2EENS0_17counting_iteratorIjlEEPS9_SG_NS0_5tupleIJPjSI_NS0_16reverse_iteratorISI_EEEEENSH_IJSG_SG_SG_EEES9_SI_JZNS1_25segmented_radix_sort_implINS0_14default_configELb0EPKbPbPKlPlN2at6native12_GLOBAL__N_18offset_tEEE10hipError_tPvRmT1_PNSt15iterator_traitsIS12_E10value_typeET2_T3_PNS13_IS18_E10value_typeET4_jRbjT5_S1E_jjP12ihipStream_tbEUljE_ZNSN_ISO_Lb0ESQ_SR_ST_SU_SY_EESZ_S10_S11_S12_S16_S17_S18_S1B_S1C_jS1D_jS1E_S1E_jjS1G_bEUljE0_EEESZ_S10_S11_S18_S1C_S1E_T6_T7_T9_mT8_S1G_bDpT10_ENKUlT_T0_E_clISt17integral_constantIbLb1EES1T_IbLb0EEEEDaS1P_S1Q_EUlS1P_E_NS1_11comp_targetILNS1_3genE10ELNS1_11target_archE1200ELNS1_3gpuE4ELNS1_3repE0EEENS1_30default_config_static_selectorELNS0_4arch9wavefront6targetE0EEEvS12_.numbered_sgpr, 0
	.set _ZN7rocprim17ROCPRIM_400000_NS6detail17trampoline_kernelINS0_13select_configILj256ELj13ELNS0_17block_load_methodE3ELS4_3ELS4_3ELNS0_20block_scan_algorithmE0ELj4294967295EEENS1_25partition_config_selectorILNS1_17partition_subalgoE4EjNS0_10empty_typeEbEEZZNS1_14partition_implILS8_4ELb0ES6_15HIP_vector_typeIjLj2EENS0_17counting_iteratorIjlEEPS9_SG_NS0_5tupleIJPjSI_NS0_16reverse_iteratorISI_EEEEENSH_IJSG_SG_SG_EEES9_SI_JZNS1_25segmented_radix_sort_implINS0_14default_configELb0EPKbPbPKlPlN2at6native12_GLOBAL__N_18offset_tEEE10hipError_tPvRmT1_PNSt15iterator_traitsIS12_E10value_typeET2_T3_PNS13_IS18_E10value_typeET4_jRbjT5_S1E_jjP12ihipStream_tbEUljE_ZNSN_ISO_Lb0ESQ_SR_ST_SU_SY_EESZ_S10_S11_S12_S16_S17_S18_S1B_S1C_jS1D_jS1E_S1E_jjS1G_bEUljE0_EEESZ_S10_S11_S18_S1C_S1E_T6_T7_T9_mT8_S1G_bDpT10_ENKUlT_T0_E_clISt17integral_constantIbLb1EES1T_IbLb0EEEEDaS1P_S1Q_EUlS1P_E_NS1_11comp_targetILNS1_3genE10ELNS1_11target_archE1200ELNS1_3gpuE4ELNS1_3repE0EEENS1_30default_config_static_selectorELNS0_4arch9wavefront6targetE0EEEvS12_.num_named_barrier, 0
	.set _ZN7rocprim17ROCPRIM_400000_NS6detail17trampoline_kernelINS0_13select_configILj256ELj13ELNS0_17block_load_methodE3ELS4_3ELS4_3ELNS0_20block_scan_algorithmE0ELj4294967295EEENS1_25partition_config_selectorILNS1_17partition_subalgoE4EjNS0_10empty_typeEbEEZZNS1_14partition_implILS8_4ELb0ES6_15HIP_vector_typeIjLj2EENS0_17counting_iteratorIjlEEPS9_SG_NS0_5tupleIJPjSI_NS0_16reverse_iteratorISI_EEEEENSH_IJSG_SG_SG_EEES9_SI_JZNS1_25segmented_radix_sort_implINS0_14default_configELb0EPKbPbPKlPlN2at6native12_GLOBAL__N_18offset_tEEE10hipError_tPvRmT1_PNSt15iterator_traitsIS12_E10value_typeET2_T3_PNS13_IS18_E10value_typeET4_jRbjT5_S1E_jjP12ihipStream_tbEUljE_ZNSN_ISO_Lb0ESQ_SR_ST_SU_SY_EESZ_S10_S11_S12_S16_S17_S18_S1B_S1C_jS1D_jS1E_S1E_jjS1G_bEUljE0_EEESZ_S10_S11_S18_S1C_S1E_T6_T7_T9_mT8_S1G_bDpT10_ENKUlT_T0_E_clISt17integral_constantIbLb1EES1T_IbLb0EEEEDaS1P_S1Q_EUlS1P_E_NS1_11comp_targetILNS1_3genE10ELNS1_11target_archE1200ELNS1_3gpuE4ELNS1_3repE0EEENS1_30default_config_static_selectorELNS0_4arch9wavefront6targetE0EEEvS12_.private_seg_size, 0
	.set _ZN7rocprim17ROCPRIM_400000_NS6detail17trampoline_kernelINS0_13select_configILj256ELj13ELNS0_17block_load_methodE3ELS4_3ELS4_3ELNS0_20block_scan_algorithmE0ELj4294967295EEENS1_25partition_config_selectorILNS1_17partition_subalgoE4EjNS0_10empty_typeEbEEZZNS1_14partition_implILS8_4ELb0ES6_15HIP_vector_typeIjLj2EENS0_17counting_iteratorIjlEEPS9_SG_NS0_5tupleIJPjSI_NS0_16reverse_iteratorISI_EEEEENSH_IJSG_SG_SG_EEES9_SI_JZNS1_25segmented_radix_sort_implINS0_14default_configELb0EPKbPbPKlPlN2at6native12_GLOBAL__N_18offset_tEEE10hipError_tPvRmT1_PNSt15iterator_traitsIS12_E10value_typeET2_T3_PNS13_IS18_E10value_typeET4_jRbjT5_S1E_jjP12ihipStream_tbEUljE_ZNSN_ISO_Lb0ESQ_SR_ST_SU_SY_EESZ_S10_S11_S12_S16_S17_S18_S1B_S1C_jS1D_jS1E_S1E_jjS1G_bEUljE0_EEESZ_S10_S11_S18_S1C_S1E_T6_T7_T9_mT8_S1G_bDpT10_ENKUlT_T0_E_clISt17integral_constantIbLb1EES1T_IbLb0EEEEDaS1P_S1Q_EUlS1P_E_NS1_11comp_targetILNS1_3genE10ELNS1_11target_archE1200ELNS1_3gpuE4ELNS1_3repE0EEENS1_30default_config_static_selectorELNS0_4arch9wavefront6targetE0EEEvS12_.uses_vcc, 0
	.set _ZN7rocprim17ROCPRIM_400000_NS6detail17trampoline_kernelINS0_13select_configILj256ELj13ELNS0_17block_load_methodE3ELS4_3ELS4_3ELNS0_20block_scan_algorithmE0ELj4294967295EEENS1_25partition_config_selectorILNS1_17partition_subalgoE4EjNS0_10empty_typeEbEEZZNS1_14partition_implILS8_4ELb0ES6_15HIP_vector_typeIjLj2EENS0_17counting_iteratorIjlEEPS9_SG_NS0_5tupleIJPjSI_NS0_16reverse_iteratorISI_EEEEENSH_IJSG_SG_SG_EEES9_SI_JZNS1_25segmented_radix_sort_implINS0_14default_configELb0EPKbPbPKlPlN2at6native12_GLOBAL__N_18offset_tEEE10hipError_tPvRmT1_PNSt15iterator_traitsIS12_E10value_typeET2_T3_PNS13_IS18_E10value_typeET4_jRbjT5_S1E_jjP12ihipStream_tbEUljE_ZNSN_ISO_Lb0ESQ_SR_ST_SU_SY_EESZ_S10_S11_S12_S16_S17_S18_S1B_S1C_jS1D_jS1E_S1E_jjS1G_bEUljE0_EEESZ_S10_S11_S18_S1C_S1E_T6_T7_T9_mT8_S1G_bDpT10_ENKUlT_T0_E_clISt17integral_constantIbLb1EES1T_IbLb0EEEEDaS1P_S1Q_EUlS1P_E_NS1_11comp_targetILNS1_3genE10ELNS1_11target_archE1200ELNS1_3gpuE4ELNS1_3repE0EEENS1_30default_config_static_selectorELNS0_4arch9wavefront6targetE0EEEvS12_.uses_flat_scratch, 0
	.set _ZN7rocprim17ROCPRIM_400000_NS6detail17trampoline_kernelINS0_13select_configILj256ELj13ELNS0_17block_load_methodE3ELS4_3ELS4_3ELNS0_20block_scan_algorithmE0ELj4294967295EEENS1_25partition_config_selectorILNS1_17partition_subalgoE4EjNS0_10empty_typeEbEEZZNS1_14partition_implILS8_4ELb0ES6_15HIP_vector_typeIjLj2EENS0_17counting_iteratorIjlEEPS9_SG_NS0_5tupleIJPjSI_NS0_16reverse_iteratorISI_EEEEENSH_IJSG_SG_SG_EEES9_SI_JZNS1_25segmented_radix_sort_implINS0_14default_configELb0EPKbPbPKlPlN2at6native12_GLOBAL__N_18offset_tEEE10hipError_tPvRmT1_PNSt15iterator_traitsIS12_E10value_typeET2_T3_PNS13_IS18_E10value_typeET4_jRbjT5_S1E_jjP12ihipStream_tbEUljE_ZNSN_ISO_Lb0ESQ_SR_ST_SU_SY_EESZ_S10_S11_S12_S16_S17_S18_S1B_S1C_jS1D_jS1E_S1E_jjS1G_bEUljE0_EEESZ_S10_S11_S18_S1C_S1E_T6_T7_T9_mT8_S1G_bDpT10_ENKUlT_T0_E_clISt17integral_constantIbLb1EES1T_IbLb0EEEEDaS1P_S1Q_EUlS1P_E_NS1_11comp_targetILNS1_3genE10ELNS1_11target_archE1200ELNS1_3gpuE4ELNS1_3repE0EEENS1_30default_config_static_selectorELNS0_4arch9wavefront6targetE0EEEvS12_.has_dyn_sized_stack, 0
	.set _ZN7rocprim17ROCPRIM_400000_NS6detail17trampoline_kernelINS0_13select_configILj256ELj13ELNS0_17block_load_methodE3ELS4_3ELS4_3ELNS0_20block_scan_algorithmE0ELj4294967295EEENS1_25partition_config_selectorILNS1_17partition_subalgoE4EjNS0_10empty_typeEbEEZZNS1_14partition_implILS8_4ELb0ES6_15HIP_vector_typeIjLj2EENS0_17counting_iteratorIjlEEPS9_SG_NS0_5tupleIJPjSI_NS0_16reverse_iteratorISI_EEEEENSH_IJSG_SG_SG_EEES9_SI_JZNS1_25segmented_radix_sort_implINS0_14default_configELb0EPKbPbPKlPlN2at6native12_GLOBAL__N_18offset_tEEE10hipError_tPvRmT1_PNSt15iterator_traitsIS12_E10value_typeET2_T3_PNS13_IS18_E10value_typeET4_jRbjT5_S1E_jjP12ihipStream_tbEUljE_ZNSN_ISO_Lb0ESQ_SR_ST_SU_SY_EESZ_S10_S11_S12_S16_S17_S18_S1B_S1C_jS1D_jS1E_S1E_jjS1G_bEUljE0_EEESZ_S10_S11_S18_S1C_S1E_T6_T7_T9_mT8_S1G_bDpT10_ENKUlT_T0_E_clISt17integral_constantIbLb1EES1T_IbLb0EEEEDaS1P_S1Q_EUlS1P_E_NS1_11comp_targetILNS1_3genE10ELNS1_11target_archE1200ELNS1_3gpuE4ELNS1_3repE0EEENS1_30default_config_static_selectorELNS0_4arch9wavefront6targetE0EEEvS12_.has_recursion, 0
	.set _ZN7rocprim17ROCPRIM_400000_NS6detail17trampoline_kernelINS0_13select_configILj256ELj13ELNS0_17block_load_methodE3ELS4_3ELS4_3ELNS0_20block_scan_algorithmE0ELj4294967295EEENS1_25partition_config_selectorILNS1_17partition_subalgoE4EjNS0_10empty_typeEbEEZZNS1_14partition_implILS8_4ELb0ES6_15HIP_vector_typeIjLj2EENS0_17counting_iteratorIjlEEPS9_SG_NS0_5tupleIJPjSI_NS0_16reverse_iteratorISI_EEEEENSH_IJSG_SG_SG_EEES9_SI_JZNS1_25segmented_radix_sort_implINS0_14default_configELb0EPKbPbPKlPlN2at6native12_GLOBAL__N_18offset_tEEE10hipError_tPvRmT1_PNSt15iterator_traitsIS12_E10value_typeET2_T3_PNS13_IS18_E10value_typeET4_jRbjT5_S1E_jjP12ihipStream_tbEUljE_ZNSN_ISO_Lb0ESQ_SR_ST_SU_SY_EESZ_S10_S11_S12_S16_S17_S18_S1B_S1C_jS1D_jS1E_S1E_jjS1G_bEUljE0_EEESZ_S10_S11_S18_S1C_S1E_T6_T7_T9_mT8_S1G_bDpT10_ENKUlT_T0_E_clISt17integral_constantIbLb1EES1T_IbLb0EEEEDaS1P_S1Q_EUlS1P_E_NS1_11comp_targetILNS1_3genE10ELNS1_11target_archE1200ELNS1_3gpuE4ELNS1_3repE0EEENS1_30default_config_static_selectorELNS0_4arch9wavefront6targetE0EEEvS12_.has_indirect_call, 0
	.section	.AMDGPU.csdata,"",@progbits
; Kernel info:
; codeLenInByte = 0
; TotalNumSgprs: 0
; NumVgprs: 0
; ScratchSize: 0
; MemoryBound: 0
; FloatMode: 240
; IeeeMode: 1
; LDSByteSize: 0 bytes/workgroup (compile time only)
; SGPRBlocks: 0
; VGPRBlocks: 0
; NumSGPRsForWavesPerEU: 1
; NumVGPRsForWavesPerEU: 1
; NamedBarCnt: 0
; Occupancy: 16
; WaveLimiterHint : 0
; COMPUTE_PGM_RSRC2:SCRATCH_EN: 0
; COMPUTE_PGM_RSRC2:USER_SGPR: 2
; COMPUTE_PGM_RSRC2:TRAP_HANDLER: 0
; COMPUTE_PGM_RSRC2:TGID_X_EN: 1
; COMPUTE_PGM_RSRC2:TGID_Y_EN: 0
; COMPUTE_PGM_RSRC2:TGID_Z_EN: 0
; COMPUTE_PGM_RSRC2:TIDIG_COMP_CNT: 0
	.section	.text._ZN7rocprim17ROCPRIM_400000_NS6detail17trampoline_kernelINS0_13select_configILj256ELj13ELNS0_17block_load_methodE3ELS4_3ELS4_3ELNS0_20block_scan_algorithmE0ELj4294967295EEENS1_25partition_config_selectorILNS1_17partition_subalgoE4EjNS0_10empty_typeEbEEZZNS1_14partition_implILS8_4ELb0ES6_15HIP_vector_typeIjLj2EENS0_17counting_iteratorIjlEEPS9_SG_NS0_5tupleIJPjSI_NS0_16reverse_iteratorISI_EEEEENSH_IJSG_SG_SG_EEES9_SI_JZNS1_25segmented_radix_sort_implINS0_14default_configELb0EPKbPbPKlPlN2at6native12_GLOBAL__N_18offset_tEEE10hipError_tPvRmT1_PNSt15iterator_traitsIS12_E10value_typeET2_T3_PNS13_IS18_E10value_typeET4_jRbjT5_S1E_jjP12ihipStream_tbEUljE_ZNSN_ISO_Lb0ESQ_SR_ST_SU_SY_EESZ_S10_S11_S12_S16_S17_S18_S1B_S1C_jS1D_jS1E_S1E_jjS1G_bEUljE0_EEESZ_S10_S11_S18_S1C_S1E_T6_T7_T9_mT8_S1G_bDpT10_ENKUlT_T0_E_clISt17integral_constantIbLb1EES1T_IbLb0EEEEDaS1P_S1Q_EUlS1P_E_NS1_11comp_targetILNS1_3genE9ELNS1_11target_archE1100ELNS1_3gpuE3ELNS1_3repE0EEENS1_30default_config_static_selectorELNS0_4arch9wavefront6targetE0EEEvS12_,"axG",@progbits,_ZN7rocprim17ROCPRIM_400000_NS6detail17trampoline_kernelINS0_13select_configILj256ELj13ELNS0_17block_load_methodE3ELS4_3ELS4_3ELNS0_20block_scan_algorithmE0ELj4294967295EEENS1_25partition_config_selectorILNS1_17partition_subalgoE4EjNS0_10empty_typeEbEEZZNS1_14partition_implILS8_4ELb0ES6_15HIP_vector_typeIjLj2EENS0_17counting_iteratorIjlEEPS9_SG_NS0_5tupleIJPjSI_NS0_16reverse_iteratorISI_EEEEENSH_IJSG_SG_SG_EEES9_SI_JZNS1_25segmented_radix_sort_implINS0_14default_configELb0EPKbPbPKlPlN2at6native12_GLOBAL__N_18offset_tEEE10hipError_tPvRmT1_PNSt15iterator_traitsIS12_E10value_typeET2_T3_PNS13_IS18_E10value_typeET4_jRbjT5_S1E_jjP12ihipStream_tbEUljE_ZNSN_ISO_Lb0ESQ_SR_ST_SU_SY_EESZ_S10_S11_S12_S16_S17_S18_S1B_S1C_jS1D_jS1E_S1E_jjS1G_bEUljE0_EEESZ_S10_S11_S18_S1C_S1E_T6_T7_T9_mT8_S1G_bDpT10_ENKUlT_T0_E_clISt17integral_constantIbLb1EES1T_IbLb0EEEEDaS1P_S1Q_EUlS1P_E_NS1_11comp_targetILNS1_3genE9ELNS1_11target_archE1100ELNS1_3gpuE3ELNS1_3repE0EEENS1_30default_config_static_selectorELNS0_4arch9wavefront6targetE0EEEvS12_,comdat
	.globl	_ZN7rocprim17ROCPRIM_400000_NS6detail17trampoline_kernelINS0_13select_configILj256ELj13ELNS0_17block_load_methodE3ELS4_3ELS4_3ELNS0_20block_scan_algorithmE0ELj4294967295EEENS1_25partition_config_selectorILNS1_17partition_subalgoE4EjNS0_10empty_typeEbEEZZNS1_14partition_implILS8_4ELb0ES6_15HIP_vector_typeIjLj2EENS0_17counting_iteratorIjlEEPS9_SG_NS0_5tupleIJPjSI_NS0_16reverse_iteratorISI_EEEEENSH_IJSG_SG_SG_EEES9_SI_JZNS1_25segmented_radix_sort_implINS0_14default_configELb0EPKbPbPKlPlN2at6native12_GLOBAL__N_18offset_tEEE10hipError_tPvRmT1_PNSt15iterator_traitsIS12_E10value_typeET2_T3_PNS13_IS18_E10value_typeET4_jRbjT5_S1E_jjP12ihipStream_tbEUljE_ZNSN_ISO_Lb0ESQ_SR_ST_SU_SY_EESZ_S10_S11_S12_S16_S17_S18_S1B_S1C_jS1D_jS1E_S1E_jjS1G_bEUljE0_EEESZ_S10_S11_S18_S1C_S1E_T6_T7_T9_mT8_S1G_bDpT10_ENKUlT_T0_E_clISt17integral_constantIbLb1EES1T_IbLb0EEEEDaS1P_S1Q_EUlS1P_E_NS1_11comp_targetILNS1_3genE9ELNS1_11target_archE1100ELNS1_3gpuE3ELNS1_3repE0EEENS1_30default_config_static_selectorELNS0_4arch9wavefront6targetE0EEEvS12_ ; -- Begin function _ZN7rocprim17ROCPRIM_400000_NS6detail17trampoline_kernelINS0_13select_configILj256ELj13ELNS0_17block_load_methodE3ELS4_3ELS4_3ELNS0_20block_scan_algorithmE0ELj4294967295EEENS1_25partition_config_selectorILNS1_17partition_subalgoE4EjNS0_10empty_typeEbEEZZNS1_14partition_implILS8_4ELb0ES6_15HIP_vector_typeIjLj2EENS0_17counting_iteratorIjlEEPS9_SG_NS0_5tupleIJPjSI_NS0_16reverse_iteratorISI_EEEEENSH_IJSG_SG_SG_EEES9_SI_JZNS1_25segmented_radix_sort_implINS0_14default_configELb0EPKbPbPKlPlN2at6native12_GLOBAL__N_18offset_tEEE10hipError_tPvRmT1_PNSt15iterator_traitsIS12_E10value_typeET2_T3_PNS13_IS18_E10value_typeET4_jRbjT5_S1E_jjP12ihipStream_tbEUljE_ZNSN_ISO_Lb0ESQ_SR_ST_SU_SY_EESZ_S10_S11_S12_S16_S17_S18_S1B_S1C_jS1D_jS1E_S1E_jjS1G_bEUljE0_EEESZ_S10_S11_S18_S1C_S1E_T6_T7_T9_mT8_S1G_bDpT10_ENKUlT_T0_E_clISt17integral_constantIbLb1EES1T_IbLb0EEEEDaS1P_S1Q_EUlS1P_E_NS1_11comp_targetILNS1_3genE9ELNS1_11target_archE1100ELNS1_3gpuE3ELNS1_3repE0EEENS1_30default_config_static_selectorELNS0_4arch9wavefront6targetE0EEEvS12_
	.p2align	8
	.type	_ZN7rocprim17ROCPRIM_400000_NS6detail17trampoline_kernelINS0_13select_configILj256ELj13ELNS0_17block_load_methodE3ELS4_3ELS4_3ELNS0_20block_scan_algorithmE0ELj4294967295EEENS1_25partition_config_selectorILNS1_17partition_subalgoE4EjNS0_10empty_typeEbEEZZNS1_14partition_implILS8_4ELb0ES6_15HIP_vector_typeIjLj2EENS0_17counting_iteratorIjlEEPS9_SG_NS0_5tupleIJPjSI_NS0_16reverse_iteratorISI_EEEEENSH_IJSG_SG_SG_EEES9_SI_JZNS1_25segmented_radix_sort_implINS0_14default_configELb0EPKbPbPKlPlN2at6native12_GLOBAL__N_18offset_tEEE10hipError_tPvRmT1_PNSt15iterator_traitsIS12_E10value_typeET2_T3_PNS13_IS18_E10value_typeET4_jRbjT5_S1E_jjP12ihipStream_tbEUljE_ZNSN_ISO_Lb0ESQ_SR_ST_SU_SY_EESZ_S10_S11_S12_S16_S17_S18_S1B_S1C_jS1D_jS1E_S1E_jjS1G_bEUljE0_EEESZ_S10_S11_S18_S1C_S1E_T6_T7_T9_mT8_S1G_bDpT10_ENKUlT_T0_E_clISt17integral_constantIbLb1EES1T_IbLb0EEEEDaS1P_S1Q_EUlS1P_E_NS1_11comp_targetILNS1_3genE9ELNS1_11target_archE1100ELNS1_3gpuE3ELNS1_3repE0EEENS1_30default_config_static_selectorELNS0_4arch9wavefront6targetE0EEEvS12_,@function
_ZN7rocprim17ROCPRIM_400000_NS6detail17trampoline_kernelINS0_13select_configILj256ELj13ELNS0_17block_load_methodE3ELS4_3ELS4_3ELNS0_20block_scan_algorithmE0ELj4294967295EEENS1_25partition_config_selectorILNS1_17partition_subalgoE4EjNS0_10empty_typeEbEEZZNS1_14partition_implILS8_4ELb0ES6_15HIP_vector_typeIjLj2EENS0_17counting_iteratorIjlEEPS9_SG_NS0_5tupleIJPjSI_NS0_16reverse_iteratorISI_EEEEENSH_IJSG_SG_SG_EEES9_SI_JZNS1_25segmented_radix_sort_implINS0_14default_configELb0EPKbPbPKlPlN2at6native12_GLOBAL__N_18offset_tEEE10hipError_tPvRmT1_PNSt15iterator_traitsIS12_E10value_typeET2_T3_PNS13_IS18_E10value_typeET4_jRbjT5_S1E_jjP12ihipStream_tbEUljE_ZNSN_ISO_Lb0ESQ_SR_ST_SU_SY_EESZ_S10_S11_S12_S16_S17_S18_S1B_S1C_jS1D_jS1E_S1E_jjS1G_bEUljE0_EEESZ_S10_S11_S18_S1C_S1E_T6_T7_T9_mT8_S1G_bDpT10_ENKUlT_T0_E_clISt17integral_constantIbLb1EES1T_IbLb0EEEEDaS1P_S1Q_EUlS1P_E_NS1_11comp_targetILNS1_3genE9ELNS1_11target_archE1100ELNS1_3gpuE3ELNS1_3repE0EEENS1_30default_config_static_selectorELNS0_4arch9wavefront6targetE0EEEvS12_: ; @_ZN7rocprim17ROCPRIM_400000_NS6detail17trampoline_kernelINS0_13select_configILj256ELj13ELNS0_17block_load_methodE3ELS4_3ELS4_3ELNS0_20block_scan_algorithmE0ELj4294967295EEENS1_25partition_config_selectorILNS1_17partition_subalgoE4EjNS0_10empty_typeEbEEZZNS1_14partition_implILS8_4ELb0ES6_15HIP_vector_typeIjLj2EENS0_17counting_iteratorIjlEEPS9_SG_NS0_5tupleIJPjSI_NS0_16reverse_iteratorISI_EEEEENSH_IJSG_SG_SG_EEES9_SI_JZNS1_25segmented_radix_sort_implINS0_14default_configELb0EPKbPbPKlPlN2at6native12_GLOBAL__N_18offset_tEEE10hipError_tPvRmT1_PNSt15iterator_traitsIS12_E10value_typeET2_T3_PNS13_IS18_E10value_typeET4_jRbjT5_S1E_jjP12ihipStream_tbEUljE_ZNSN_ISO_Lb0ESQ_SR_ST_SU_SY_EESZ_S10_S11_S12_S16_S17_S18_S1B_S1C_jS1D_jS1E_S1E_jjS1G_bEUljE0_EEESZ_S10_S11_S18_S1C_S1E_T6_T7_T9_mT8_S1G_bDpT10_ENKUlT_T0_E_clISt17integral_constantIbLb1EES1T_IbLb0EEEEDaS1P_S1Q_EUlS1P_E_NS1_11comp_targetILNS1_3genE9ELNS1_11target_archE1100ELNS1_3gpuE3ELNS1_3repE0EEENS1_30default_config_static_selectorELNS0_4arch9wavefront6targetE0EEEvS12_
; %bb.0:
	.section	.rodata,"a",@progbits
	.p2align	6, 0x0
	.amdhsa_kernel _ZN7rocprim17ROCPRIM_400000_NS6detail17trampoline_kernelINS0_13select_configILj256ELj13ELNS0_17block_load_methodE3ELS4_3ELS4_3ELNS0_20block_scan_algorithmE0ELj4294967295EEENS1_25partition_config_selectorILNS1_17partition_subalgoE4EjNS0_10empty_typeEbEEZZNS1_14partition_implILS8_4ELb0ES6_15HIP_vector_typeIjLj2EENS0_17counting_iteratorIjlEEPS9_SG_NS0_5tupleIJPjSI_NS0_16reverse_iteratorISI_EEEEENSH_IJSG_SG_SG_EEES9_SI_JZNS1_25segmented_radix_sort_implINS0_14default_configELb0EPKbPbPKlPlN2at6native12_GLOBAL__N_18offset_tEEE10hipError_tPvRmT1_PNSt15iterator_traitsIS12_E10value_typeET2_T3_PNS13_IS18_E10value_typeET4_jRbjT5_S1E_jjP12ihipStream_tbEUljE_ZNSN_ISO_Lb0ESQ_SR_ST_SU_SY_EESZ_S10_S11_S12_S16_S17_S18_S1B_S1C_jS1D_jS1E_S1E_jjS1G_bEUljE0_EEESZ_S10_S11_S18_S1C_S1E_T6_T7_T9_mT8_S1G_bDpT10_ENKUlT_T0_E_clISt17integral_constantIbLb1EES1T_IbLb0EEEEDaS1P_S1Q_EUlS1P_E_NS1_11comp_targetILNS1_3genE9ELNS1_11target_archE1100ELNS1_3gpuE3ELNS1_3repE0EEENS1_30default_config_static_selectorELNS0_4arch9wavefront6targetE0EEEvS12_
		.amdhsa_group_segment_fixed_size 0
		.amdhsa_private_segment_fixed_size 0
		.amdhsa_kernarg_size 176
		.amdhsa_user_sgpr_count 2
		.amdhsa_user_sgpr_dispatch_ptr 0
		.amdhsa_user_sgpr_queue_ptr 0
		.amdhsa_user_sgpr_kernarg_segment_ptr 1
		.amdhsa_user_sgpr_dispatch_id 0
		.amdhsa_user_sgpr_kernarg_preload_length 0
		.amdhsa_user_sgpr_kernarg_preload_offset 0
		.amdhsa_user_sgpr_private_segment_size 0
		.amdhsa_wavefront_size32 1
		.amdhsa_uses_dynamic_stack 0
		.amdhsa_enable_private_segment 0
		.amdhsa_system_sgpr_workgroup_id_x 1
		.amdhsa_system_sgpr_workgroup_id_y 0
		.amdhsa_system_sgpr_workgroup_id_z 0
		.amdhsa_system_sgpr_workgroup_info 0
		.amdhsa_system_vgpr_workitem_id 0
		.amdhsa_next_free_vgpr 1
		.amdhsa_next_free_sgpr 1
		.amdhsa_named_barrier_count 0
		.amdhsa_reserve_vcc 0
		.amdhsa_float_round_mode_32 0
		.amdhsa_float_round_mode_16_64 0
		.amdhsa_float_denorm_mode_32 3
		.amdhsa_float_denorm_mode_16_64 3
		.amdhsa_fp16_overflow 0
		.amdhsa_memory_ordered 1
		.amdhsa_forward_progress 1
		.amdhsa_inst_pref_size 0
		.amdhsa_round_robin_scheduling 0
		.amdhsa_exception_fp_ieee_invalid_op 0
		.amdhsa_exception_fp_denorm_src 0
		.amdhsa_exception_fp_ieee_div_zero 0
		.amdhsa_exception_fp_ieee_overflow 0
		.amdhsa_exception_fp_ieee_underflow 0
		.amdhsa_exception_fp_ieee_inexact 0
		.amdhsa_exception_int_div_zero 0
	.end_amdhsa_kernel
	.section	.text._ZN7rocprim17ROCPRIM_400000_NS6detail17trampoline_kernelINS0_13select_configILj256ELj13ELNS0_17block_load_methodE3ELS4_3ELS4_3ELNS0_20block_scan_algorithmE0ELj4294967295EEENS1_25partition_config_selectorILNS1_17partition_subalgoE4EjNS0_10empty_typeEbEEZZNS1_14partition_implILS8_4ELb0ES6_15HIP_vector_typeIjLj2EENS0_17counting_iteratorIjlEEPS9_SG_NS0_5tupleIJPjSI_NS0_16reverse_iteratorISI_EEEEENSH_IJSG_SG_SG_EEES9_SI_JZNS1_25segmented_radix_sort_implINS0_14default_configELb0EPKbPbPKlPlN2at6native12_GLOBAL__N_18offset_tEEE10hipError_tPvRmT1_PNSt15iterator_traitsIS12_E10value_typeET2_T3_PNS13_IS18_E10value_typeET4_jRbjT5_S1E_jjP12ihipStream_tbEUljE_ZNSN_ISO_Lb0ESQ_SR_ST_SU_SY_EESZ_S10_S11_S12_S16_S17_S18_S1B_S1C_jS1D_jS1E_S1E_jjS1G_bEUljE0_EEESZ_S10_S11_S18_S1C_S1E_T6_T7_T9_mT8_S1G_bDpT10_ENKUlT_T0_E_clISt17integral_constantIbLb1EES1T_IbLb0EEEEDaS1P_S1Q_EUlS1P_E_NS1_11comp_targetILNS1_3genE9ELNS1_11target_archE1100ELNS1_3gpuE3ELNS1_3repE0EEENS1_30default_config_static_selectorELNS0_4arch9wavefront6targetE0EEEvS12_,"axG",@progbits,_ZN7rocprim17ROCPRIM_400000_NS6detail17trampoline_kernelINS0_13select_configILj256ELj13ELNS0_17block_load_methodE3ELS4_3ELS4_3ELNS0_20block_scan_algorithmE0ELj4294967295EEENS1_25partition_config_selectorILNS1_17partition_subalgoE4EjNS0_10empty_typeEbEEZZNS1_14partition_implILS8_4ELb0ES6_15HIP_vector_typeIjLj2EENS0_17counting_iteratorIjlEEPS9_SG_NS0_5tupleIJPjSI_NS0_16reverse_iteratorISI_EEEEENSH_IJSG_SG_SG_EEES9_SI_JZNS1_25segmented_radix_sort_implINS0_14default_configELb0EPKbPbPKlPlN2at6native12_GLOBAL__N_18offset_tEEE10hipError_tPvRmT1_PNSt15iterator_traitsIS12_E10value_typeET2_T3_PNS13_IS18_E10value_typeET4_jRbjT5_S1E_jjP12ihipStream_tbEUljE_ZNSN_ISO_Lb0ESQ_SR_ST_SU_SY_EESZ_S10_S11_S12_S16_S17_S18_S1B_S1C_jS1D_jS1E_S1E_jjS1G_bEUljE0_EEESZ_S10_S11_S18_S1C_S1E_T6_T7_T9_mT8_S1G_bDpT10_ENKUlT_T0_E_clISt17integral_constantIbLb1EES1T_IbLb0EEEEDaS1P_S1Q_EUlS1P_E_NS1_11comp_targetILNS1_3genE9ELNS1_11target_archE1100ELNS1_3gpuE3ELNS1_3repE0EEENS1_30default_config_static_selectorELNS0_4arch9wavefront6targetE0EEEvS12_,comdat
.Lfunc_end1584:
	.size	_ZN7rocprim17ROCPRIM_400000_NS6detail17trampoline_kernelINS0_13select_configILj256ELj13ELNS0_17block_load_methodE3ELS4_3ELS4_3ELNS0_20block_scan_algorithmE0ELj4294967295EEENS1_25partition_config_selectorILNS1_17partition_subalgoE4EjNS0_10empty_typeEbEEZZNS1_14partition_implILS8_4ELb0ES6_15HIP_vector_typeIjLj2EENS0_17counting_iteratorIjlEEPS9_SG_NS0_5tupleIJPjSI_NS0_16reverse_iteratorISI_EEEEENSH_IJSG_SG_SG_EEES9_SI_JZNS1_25segmented_radix_sort_implINS0_14default_configELb0EPKbPbPKlPlN2at6native12_GLOBAL__N_18offset_tEEE10hipError_tPvRmT1_PNSt15iterator_traitsIS12_E10value_typeET2_T3_PNS13_IS18_E10value_typeET4_jRbjT5_S1E_jjP12ihipStream_tbEUljE_ZNSN_ISO_Lb0ESQ_SR_ST_SU_SY_EESZ_S10_S11_S12_S16_S17_S18_S1B_S1C_jS1D_jS1E_S1E_jjS1G_bEUljE0_EEESZ_S10_S11_S18_S1C_S1E_T6_T7_T9_mT8_S1G_bDpT10_ENKUlT_T0_E_clISt17integral_constantIbLb1EES1T_IbLb0EEEEDaS1P_S1Q_EUlS1P_E_NS1_11comp_targetILNS1_3genE9ELNS1_11target_archE1100ELNS1_3gpuE3ELNS1_3repE0EEENS1_30default_config_static_selectorELNS0_4arch9wavefront6targetE0EEEvS12_, .Lfunc_end1584-_ZN7rocprim17ROCPRIM_400000_NS6detail17trampoline_kernelINS0_13select_configILj256ELj13ELNS0_17block_load_methodE3ELS4_3ELS4_3ELNS0_20block_scan_algorithmE0ELj4294967295EEENS1_25partition_config_selectorILNS1_17partition_subalgoE4EjNS0_10empty_typeEbEEZZNS1_14partition_implILS8_4ELb0ES6_15HIP_vector_typeIjLj2EENS0_17counting_iteratorIjlEEPS9_SG_NS0_5tupleIJPjSI_NS0_16reverse_iteratorISI_EEEEENSH_IJSG_SG_SG_EEES9_SI_JZNS1_25segmented_radix_sort_implINS0_14default_configELb0EPKbPbPKlPlN2at6native12_GLOBAL__N_18offset_tEEE10hipError_tPvRmT1_PNSt15iterator_traitsIS12_E10value_typeET2_T3_PNS13_IS18_E10value_typeET4_jRbjT5_S1E_jjP12ihipStream_tbEUljE_ZNSN_ISO_Lb0ESQ_SR_ST_SU_SY_EESZ_S10_S11_S12_S16_S17_S18_S1B_S1C_jS1D_jS1E_S1E_jjS1G_bEUljE0_EEESZ_S10_S11_S18_S1C_S1E_T6_T7_T9_mT8_S1G_bDpT10_ENKUlT_T0_E_clISt17integral_constantIbLb1EES1T_IbLb0EEEEDaS1P_S1Q_EUlS1P_E_NS1_11comp_targetILNS1_3genE9ELNS1_11target_archE1100ELNS1_3gpuE3ELNS1_3repE0EEENS1_30default_config_static_selectorELNS0_4arch9wavefront6targetE0EEEvS12_
                                        ; -- End function
	.set _ZN7rocprim17ROCPRIM_400000_NS6detail17trampoline_kernelINS0_13select_configILj256ELj13ELNS0_17block_load_methodE3ELS4_3ELS4_3ELNS0_20block_scan_algorithmE0ELj4294967295EEENS1_25partition_config_selectorILNS1_17partition_subalgoE4EjNS0_10empty_typeEbEEZZNS1_14partition_implILS8_4ELb0ES6_15HIP_vector_typeIjLj2EENS0_17counting_iteratorIjlEEPS9_SG_NS0_5tupleIJPjSI_NS0_16reverse_iteratorISI_EEEEENSH_IJSG_SG_SG_EEES9_SI_JZNS1_25segmented_radix_sort_implINS0_14default_configELb0EPKbPbPKlPlN2at6native12_GLOBAL__N_18offset_tEEE10hipError_tPvRmT1_PNSt15iterator_traitsIS12_E10value_typeET2_T3_PNS13_IS18_E10value_typeET4_jRbjT5_S1E_jjP12ihipStream_tbEUljE_ZNSN_ISO_Lb0ESQ_SR_ST_SU_SY_EESZ_S10_S11_S12_S16_S17_S18_S1B_S1C_jS1D_jS1E_S1E_jjS1G_bEUljE0_EEESZ_S10_S11_S18_S1C_S1E_T6_T7_T9_mT8_S1G_bDpT10_ENKUlT_T0_E_clISt17integral_constantIbLb1EES1T_IbLb0EEEEDaS1P_S1Q_EUlS1P_E_NS1_11comp_targetILNS1_3genE9ELNS1_11target_archE1100ELNS1_3gpuE3ELNS1_3repE0EEENS1_30default_config_static_selectorELNS0_4arch9wavefront6targetE0EEEvS12_.num_vgpr, 0
	.set _ZN7rocprim17ROCPRIM_400000_NS6detail17trampoline_kernelINS0_13select_configILj256ELj13ELNS0_17block_load_methodE3ELS4_3ELS4_3ELNS0_20block_scan_algorithmE0ELj4294967295EEENS1_25partition_config_selectorILNS1_17partition_subalgoE4EjNS0_10empty_typeEbEEZZNS1_14partition_implILS8_4ELb0ES6_15HIP_vector_typeIjLj2EENS0_17counting_iteratorIjlEEPS9_SG_NS0_5tupleIJPjSI_NS0_16reverse_iteratorISI_EEEEENSH_IJSG_SG_SG_EEES9_SI_JZNS1_25segmented_radix_sort_implINS0_14default_configELb0EPKbPbPKlPlN2at6native12_GLOBAL__N_18offset_tEEE10hipError_tPvRmT1_PNSt15iterator_traitsIS12_E10value_typeET2_T3_PNS13_IS18_E10value_typeET4_jRbjT5_S1E_jjP12ihipStream_tbEUljE_ZNSN_ISO_Lb0ESQ_SR_ST_SU_SY_EESZ_S10_S11_S12_S16_S17_S18_S1B_S1C_jS1D_jS1E_S1E_jjS1G_bEUljE0_EEESZ_S10_S11_S18_S1C_S1E_T6_T7_T9_mT8_S1G_bDpT10_ENKUlT_T0_E_clISt17integral_constantIbLb1EES1T_IbLb0EEEEDaS1P_S1Q_EUlS1P_E_NS1_11comp_targetILNS1_3genE9ELNS1_11target_archE1100ELNS1_3gpuE3ELNS1_3repE0EEENS1_30default_config_static_selectorELNS0_4arch9wavefront6targetE0EEEvS12_.num_agpr, 0
	.set _ZN7rocprim17ROCPRIM_400000_NS6detail17trampoline_kernelINS0_13select_configILj256ELj13ELNS0_17block_load_methodE3ELS4_3ELS4_3ELNS0_20block_scan_algorithmE0ELj4294967295EEENS1_25partition_config_selectorILNS1_17partition_subalgoE4EjNS0_10empty_typeEbEEZZNS1_14partition_implILS8_4ELb0ES6_15HIP_vector_typeIjLj2EENS0_17counting_iteratorIjlEEPS9_SG_NS0_5tupleIJPjSI_NS0_16reverse_iteratorISI_EEEEENSH_IJSG_SG_SG_EEES9_SI_JZNS1_25segmented_radix_sort_implINS0_14default_configELb0EPKbPbPKlPlN2at6native12_GLOBAL__N_18offset_tEEE10hipError_tPvRmT1_PNSt15iterator_traitsIS12_E10value_typeET2_T3_PNS13_IS18_E10value_typeET4_jRbjT5_S1E_jjP12ihipStream_tbEUljE_ZNSN_ISO_Lb0ESQ_SR_ST_SU_SY_EESZ_S10_S11_S12_S16_S17_S18_S1B_S1C_jS1D_jS1E_S1E_jjS1G_bEUljE0_EEESZ_S10_S11_S18_S1C_S1E_T6_T7_T9_mT8_S1G_bDpT10_ENKUlT_T0_E_clISt17integral_constantIbLb1EES1T_IbLb0EEEEDaS1P_S1Q_EUlS1P_E_NS1_11comp_targetILNS1_3genE9ELNS1_11target_archE1100ELNS1_3gpuE3ELNS1_3repE0EEENS1_30default_config_static_selectorELNS0_4arch9wavefront6targetE0EEEvS12_.numbered_sgpr, 0
	.set _ZN7rocprim17ROCPRIM_400000_NS6detail17trampoline_kernelINS0_13select_configILj256ELj13ELNS0_17block_load_methodE3ELS4_3ELS4_3ELNS0_20block_scan_algorithmE0ELj4294967295EEENS1_25partition_config_selectorILNS1_17partition_subalgoE4EjNS0_10empty_typeEbEEZZNS1_14partition_implILS8_4ELb0ES6_15HIP_vector_typeIjLj2EENS0_17counting_iteratorIjlEEPS9_SG_NS0_5tupleIJPjSI_NS0_16reverse_iteratorISI_EEEEENSH_IJSG_SG_SG_EEES9_SI_JZNS1_25segmented_radix_sort_implINS0_14default_configELb0EPKbPbPKlPlN2at6native12_GLOBAL__N_18offset_tEEE10hipError_tPvRmT1_PNSt15iterator_traitsIS12_E10value_typeET2_T3_PNS13_IS18_E10value_typeET4_jRbjT5_S1E_jjP12ihipStream_tbEUljE_ZNSN_ISO_Lb0ESQ_SR_ST_SU_SY_EESZ_S10_S11_S12_S16_S17_S18_S1B_S1C_jS1D_jS1E_S1E_jjS1G_bEUljE0_EEESZ_S10_S11_S18_S1C_S1E_T6_T7_T9_mT8_S1G_bDpT10_ENKUlT_T0_E_clISt17integral_constantIbLb1EES1T_IbLb0EEEEDaS1P_S1Q_EUlS1P_E_NS1_11comp_targetILNS1_3genE9ELNS1_11target_archE1100ELNS1_3gpuE3ELNS1_3repE0EEENS1_30default_config_static_selectorELNS0_4arch9wavefront6targetE0EEEvS12_.num_named_barrier, 0
	.set _ZN7rocprim17ROCPRIM_400000_NS6detail17trampoline_kernelINS0_13select_configILj256ELj13ELNS0_17block_load_methodE3ELS4_3ELS4_3ELNS0_20block_scan_algorithmE0ELj4294967295EEENS1_25partition_config_selectorILNS1_17partition_subalgoE4EjNS0_10empty_typeEbEEZZNS1_14partition_implILS8_4ELb0ES6_15HIP_vector_typeIjLj2EENS0_17counting_iteratorIjlEEPS9_SG_NS0_5tupleIJPjSI_NS0_16reverse_iteratorISI_EEEEENSH_IJSG_SG_SG_EEES9_SI_JZNS1_25segmented_radix_sort_implINS0_14default_configELb0EPKbPbPKlPlN2at6native12_GLOBAL__N_18offset_tEEE10hipError_tPvRmT1_PNSt15iterator_traitsIS12_E10value_typeET2_T3_PNS13_IS18_E10value_typeET4_jRbjT5_S1E_jjP12ihipStream_tbEUljE_ZNSN_ISO_Lb0ESQ_SR_ST_SU_SY_EESZ_S10_S11_S12_S16_S17_S18_S1B_S1C_jS1D_jS1E_S1E_jjS1G_bEUljE0_EEESZ_S10_S11_S18_S1C_S1E_T6_T7_T9_mT8_S1G_bDpT10_ENKUlT_T0_E_clISt17integral_constantIbLb1EES1T_IbLb0EEEEDaS1P_S1Q_EUlS1P_E_NS1_11comp_targetILNS1_3genE9ELNS1_11target_archE1100ELNS1_3gpuE3ELNS1_3repE0EEENS1_30default_config_static_selectorELNS0_4arch9wavefront6targetE0EEEvS12_.private_seg_size, 0
	.set _ZN7rocprim17ROCPRIM_400000_NS6detail17trampoline_kernelINS0_13select_configILj256ELj13ELNS0_17block_load_methodE3ELS4_3ELS4_3ELNS0_20block_scan_algorithmE0ELj4294967295EEENS1_25partition_config_selectorILNS1_17partition_subalgoE4EjNS0_10empty_typeEbEEZZNS1_14partition_implILS8_4ELb0ES6_15HIP_vector_typeIjLj2EENS0_17counting_iteratorIjlEEPS9_SG_NS0_5tupleIJPjSI_NS0_16reverse_iteratorISI_EEEEENSH_IJSG_SG_SG_EEES9_SI_JZNS1_25segmented_radix_sort_implINS0_14default_configELb0EPKbPbPKlPlN2at6native12_GLOBAL__N_18offset_tEEE10hipError_tPvRmT1_PNSt15iterator_traitsIS12_E10value_typeET2_T3_PNS13_IS18_E10value_typeET4_jRbjT5_S1E_jjP12ihipStream_tbEUljE_ZNSN_ISO_Lb0ESQ_SR_ST_SU_SY_EESZ_S10_S11_S12_S16_S17_S18_S1B_S1C_jS1D_jS1E_S1E_jjS1G_bEUljE0_EEESZ_S10_S11_S18_S1C_S1E_T6_T7_T9_mT8_S1G_bDpT10_ENKUlT_T0_E_clISt17integral_constantIbLb1EES1T_IbLb0EEEEDaS1P_S1Q_EUlS1P_E_NS1_11comp_targetILNS1_3genE9ELNS1_11target_archE1100ELNS1_3gpuE3ELNS1_3repE0EEENS1_30default_config_static_selectorELNS0_4arch9wavefront6targetE0EEEvS12_.uses_vcc, 0
	.set _ZN7rocprim17ROCPRIM_400000_NS6detail17trampoline_kernelINS0_13select_configILj256ELj13ELNS0_17block_load_methodE3ELS4_3ELS4_3ELNS0_20block_scan_algorithmE0ELj4294967295EEENS1_25partition_config_selectorILNS1_17partition_subalgoE4EjNS0_10empty_typeEbEEZZNS1_14partition_implILS8_4ELb0ES6_15HIP_vector_typeIjLj2EENS0_17counting_iteratorIjlEEPS9_SG_NS0_5tupleIJPjSI_NS0_16reverse_iteratorISI_EEEEENSH_IJSG_SG_SG_EEES9_SI_JZNS1_25segmented_radix_sort_implINS0_14default_configELb0EPKbPbPKlPlN2at6native12_GLOBAL__N_18offset_tEEE10hipError_tPvRmT1_PNSt15iterator_traitsIS12_E10value_typeET2_T3_PNS13_IS18_E10value_typeET4_jRbjT5_S1E_jjP12ihipStream_tbEUljE_ZNSN_ISO_Lb0ESQ_SR_ST_SU_SY_EESZ_S10_S11_S12_S16_S17_S18_S1B_S1C_jS1D_jS1E_S1E_jjS1G_bEUljE0_EEESZ_S10_S11_S18_S1C_S1E_T6_T7_T9_mT8_S1G_bDpT10_ENKUlT_T0_E_clISt17integral_constantIbLb1EES1T_IbLb0EEEEDaS1P_S1Q_EUlS1P_E_NS1_11comp_targetILNS1_3genE9ELNS1_11target_archE1100ELNS1_3gpuE3ELNS1_3repE0EEENS1_30default_config_static_selectorELNS0_4arch9wavefront6targetE0EEEvS12_.uses_flat_scratch, 0
	.set _ZN7rocprim17ROCPRIM_400000_NS6detail17trampoline_kernelINS0_13select_configILj256ELj13ELNS0_17block_load_methodE3ELS4_3ELS4_3ELNS0_20block_scan_algorithmE0ELj4294967295EEENS1_25partition_config_selectorILNS1_17partition_subalgoE4EjNS0_10empty_typeEbEEZZNS1_14partition_implILS8_4ELb0ES6_15HIP_vector_typeIjLj2EENS0_17counting_iteratorIjlEEPS9_SG_NS0_5tupleIJPjSI_NS0_16reverse_iteratorISI_EEEEENSH_IJSG_SG_SG_EEES9_SI_JZNS1_25segmented_radix_sort_implINS0_14default_configELb0EPKbPbPKlPlN2at6native12_GLOBAL__N_18offset_tEEE10hipError_tPvRmT1_PNSt15iterator_traitsIS12_E10value_typeET2_T3_PNS13_IS18_E10value_typeET4_jRbjT5_S1E_jjP12ihipStream_tbEUljE_ZNSN_ISO_Lb0ESQ_SR_ST_SU_SY_EESZ_S10_S11_S12_S16_S17_S18_S1B_S1C_jS1D_jS1E_S1E_jjS1G_bEUljE0_EEESZ_S10_S11_S18_S1C_S1E_T6_T7_T9_mT8_S1G_bDpT10_ENKUlT_T0_E_clISt17integral_constantIbLb1EES1T_IbLb0EEEEDaS1P_S1Q_EUlS1P_E_NS1_11comp_targetILNS1_3genE9ELNS1_11target_archE1100ELNS1_3gpuE3ELNS1_3repE0EEENS1_30default_config_static_selectorELNS0_4arch9wavefront6targetE0EEEvS12_.has_dyn_sized_stack, 0
	.set _ZN7rocprim17ROCPRIM_400000_NS6detail17trampoline_kernelINS0_13select_configILj256ELj13ELNS0_17block_load_methodE3ELS4_3ELS4_3ELNS0_20block_scan_algorithmE0ELj4294967295EEENS1_25partition_config_selectorILNS1_17partition_subalgoE4EjNS0_10empty_typeEbEEZZNS1_14partition_implILS8_4ELb0ES6_15HIP_vector_typeIjLj2EENS0_17counting_iteratorIjlEEPS9_SG_NS0_5tupleIJPjSI_NS0_16reverse_iteratorISI_EEEEENSH_IJSG_SG_SG_EEES9_SI_JZNS1_25segmented_radix_sort_implINS0_14default_configELb0EPKbPbPKlPlN2at6native12_GLOBAL__N_18offset_tEEE10hipError_tPvRmT1_PNSt15iterator_traitsIS12_E10value_typeET2_T3_PNS13_IS18_E10value_typeET4_jRbjT5_S1E_jjP12ihipStream_tbEUljE_ZNSN_ISO_Lb0ESQ_SR_ST_SU_SY_EESZ_S10_S11_S12_S16_S17_S18_S1B_S1C_jS1D_jS1E_S1E_jjS1G_bEUljE0_EEESZ_S10_S11_S18_S1C_S1E_T6_T7_T9_mT8_S1G_bDpT10_ENKUlT_T0_E_clISt17integral_constantIbLb1EES1T_IbLb0EEEEDaS1P_S1Q_EUlS1P_E_NS1_11comp_targetILNS1_3genE9ELNS1_11target_archE1100ELNS1_3gpuE3ELNS1_3repE0EEENS1_30default_config_static_selectorELNS0_4arch9wavefront6targetE0EEEvS12_.has_recursion, 0
	.set _ZN7rocprim17ROCPRIM_400000_NS6detail17trampoline_kernelINS0_13select_configILj256ELj13ELNS0_17block_load_methodE3ELS4_3ELS4_3ELNS0_20block_scan_algorithmE0ELj4294967295EEENS1_25partition_config_selectorILNS1_17partition_subalgoE4EjNS0_10empty_typeEbEEZZNS1_14partition_implILS8_4ELb0ES6_15HIP_vector_typeIjLj2EENS0_17counting_iteratorIjlEEPS9_SG_NS0_5tupleIJPjSI_NS0_16reverse_iteratorISI_EEEEENSH_IJSG_SG_SG_EEES9_SI_JZNS1_25segmented_radix_sort_implINS0_14default_configELb0EPKbPbPKlPlN2at6native12_GLOBAL__N_18offset_tEEE10hipError_tPvRmT1_PNSt15iterator_traitsIS12_E10value_typeET2_T3_PNS13_IS18_E10value_typeET4_jRbjT5_S1E_jjP12ihipStream_tbEUljE_ZNSN_ISO_Lb0ESQ_SR_ST_SU_SY_EESZ_S10_S11_S12_S16_S17_S18_S1B_S1C_jS1D_jS1E_S1E_jjS1G_bEUljE0_EEESZ_S10_S11_S18_S1C_S1E_T6_T7_T9_mT8_S1G_bDpT10_ENKUlT_T0_E_clISt17integral_constantIbLb1EES1T_IbLb0EEEEDaS1P_S1Q_EUlS1P_E_NS1_11comp_targetILNS1_3genE9ELNS1_11target_archE1100ELNS1_3gpuE3ELNS1_3repE0EEENS1_30default_config_static_selectorELNS0_4arch9wavefront6targetE0EEEvS12_.has_indirect_call, 0
	.section	.AMDGPU.csdata,"",@progbits
; Kernel info:
; codeLenInByte = 0
; TotalNumSgprs: 0
; NumVgprs: 0
; ScratchSize: 0
; MemoryBound: 0
; FloatMode: 240
; IeeeMode: 1
; LDSByteSize: 0 bytes/workgroup (compile time only)
; SGPRBlocks: 0
; VGPRBlocks: 0
; NumSGPRsForWavesPerEU: 1
; NumVGPRsForWavesPerEU: 1
; NamedBarCnt: 0
; Occupancy: 16
; WaveLimiterHint : 0
; COMPUTE_PGM_RSRC2:SCRATCH_EN: 0
; COMPUTE_PGM_RSRC2:USER_SGPR: 2
; COMPUTE_PGM_RSRC2:TRAP_HANDLER: 0
; COMPUTE_PGM_RSRC2:TGID_X_EN: 1
; COMPUTE_PGM_RSRC2:TGID_Y_EN: 0
; COMPUTE_PGM_RSRC2:TGID_Z_EN: 0
; COMPUTE_PGM_RSRC2:TIDIG_COMP_CNT: 0
	.section	.text._ZN7rocprim17ROCPRIM_400000_NS6detail17trampoline_kernelINS0_13select_configILj256ELj13ELNS0_17block_load_methodE3ELS4_3ELS4_3ELNS0_20block_scan_algorithmE0ELj4294967295EEENS1_25partition_config_selectorILNS1_17partition_subalgoE4EjNS0_10empty_typeEbEEZZNS1_14partition_implILS8_4ELb0ES6_15HIP_vector_typeIjLj2EENS0_17counting_iteratorIjlEEPS9_SG_NS0_5tupleIJPjSI_NS0_16reverse_iteratorISI_EEEEENSH_IJSG_SG_SG_EEES9_SI_JZNS1_25segmented_radix_sort_implINS0_14default_configELb0EPKbPbPKlPlN2at6native12_GLOBAL__N_18offset_tEEE10hipError_tPvRmT1_PNSt15iterator_traitsIS12_E10value_typeET2_T3_PNS13_IS18_E10value_typeET4_jRbjT5_S1E_jjP12ihipStream_tbEUljE_ZNSN_ISO_Lb0ESQ_SR_ST_SU_SY_EESZ_S10_S11_S12_S16_S17_S18_S1B_S1C_jS1D_jS1E_S1E_jjS1G_bEUljE0_EEESZ_S10_S11_S18_S1C_S1E_T6_T7_T9_mT8_S1G_bDpT10_ENKUlT_T0_E_clISt17integral_constantIbLb1EES1T_IbLb0EEEEDaS1P_S1Q_EUlS1P_E_NS1_11comp_targetILNS1_3genE8ELNS1_11target_archE1030ELNS1_3gpuE2ELNS1_3repE0EEENS1_30default_config_static_selectorELNS0_4arch9wavefront6targetE0EEEvS12_,"axG",@progbits,_ZN7rocprim17ROCPRIM_400000_NS6detail17trampoline_kernelINS0_13select_configILj256ELj13ELNS0_17block_load_methodE3ELS4_3ELS4_3ELNS0_20block_scan_algorithmE0ELj4294967295EEENS1_25partition_config_selectorILNS1_17partition_subalgoE4EjNS0_10empty_typeEbEEZZNS1_14partition_implILS8_4ELb0ES6_15HIP_vector_typeIjLj2EENS0_17counting_iteratorIjlEEPS9_SG_NS0_5tupleIJPjSI_NS0_16reverse_iteratorISI_EEEEENSH_IJSG_SG_SG_EEES9_SI_JZNS1_25segmented_radix_sort_implINS0_14default_configELb0EPKbPbPKlPlN2at6native12_GLOBAL__N_18offset_tEEE10hipError_tPvRmT1_PNSt15iterator_traitsIS12_E10value_typeET2_T3_PNS13_IS18_E10value_typeET4_jRbjT5_S1E_jjP12ihipStream_tbEUljE_ZNSN_ISO_Lb0ESQ_SR_ST_SU_SY_EESZ_S10_S11_S12_S16_S17_S18_S1B_S1C_jS1D_jS1E_S1E_jjS1G_bEUljE0_EEESZ_S10_S11_S18_S1C_S1E_T6_T7_T9_mT8_S1G_bDpT10_ENKUlT_T0_E_clISt17integral_constantIbLb1EES1T_IbLb0EEEEDaS1P_S1Q_EUlS1P_E_NS1_11comp_targetILNS1_3genE8ELNS1_11target_archE1030ELNS1_3gpuE2ELNS1_3repE0EEENS1_30default_config_static_selectorELNS0_4arch9wavefront6targetE0EEEvS12_,comdat
	.globl	_ZN7rocprim17ROCPRIM_400000_NS6detail17trampoline_kernelINS0_13select_configILj256ELj13ELNS0_17block_load_methodE3ELS4_3ELS4_3ELNS0_20block_scan_algorithmE0ELj4294967295EEENS1_25partition_config_selectorILNS1_17partition_subalgoE4EjNS0_10empty_typeEbEEZZNS1_14partition_implILS8_4ELb0ES6_15HIP_vector_typeIjLj2EENS0_17counting_iteratorIjlEEPS9_SG_NS0_5tupleIJPjSI_NS0_16reverse_iteratorISI_EEEEENSH_IJSG_SG_SG_EEES9_SI_JZNS1_25segmented_radix_sort_implINS0_14default_configELb0EPKbPbPKlPlN2at6native12_GLOBAL__N_18offset_tEEE10hipError_tPvRmT1_PNSt15iterator_traitsIS12_E10value_typeET2_T3_PNS13_IS18_E10value_typeET4_jRbjT5_S1E_jjP12ihipStream_tbEUljE_ZNSN_ISO_Lb0ESQ_SR_ST_SU_SY_EESZ_S10_S11_S12_S16_S17_S18_S1B_S1C_jS1D_jS1E_S1E_jjS1G_bEUljE0_EEESZ_S10_S11_S18_S1C_S1E_T6_T7_T9_mT8_S1G_bDpT10_ENKUlT_T0_E_clISt17integral_constantIbLb1EES1T_IbLb0EEEEDaS1P_S1Q_EUlS1P_E_NS1_11comp_targetILNS1_3genE8ELNS1_11target_archE1030ELNS1_3gpuE2ELNS1_3repE0EEENS1_30default_config_static_selectorELNS0_4arch9wavefront6targetE0EEEvS12_ ; -- Begin function _ZN7rocprim17ROCPRIM_400000_NS6detail17trampoline_kernelINS0_13select_configILj256ELj13ELNS0_17block_load_methodE3ELS4_3ELS4_3ELNS0_20block_scan_algorithmE0ELj4294967295EEENS1_25partition_config_selectorILNS1_17partition_subalgoE4EjNS0_10empty_typeEbEEZZNS1_14partition_implILS8_4ELb0ES6_15HIP_vector_typeIjLj2EENS0_17counting_iteratorIjlEEPS9_SG_NS0_5tupleIJPjSI_NS0_16reverse_iteratorISI_EEEEENSH_IJSG_SG_SG_EEES9_SI_JZNS1_25segmented_radix_sort_implINS0_14default_configELb0EPKbPbPKlPlN2at6native12_GLOBAL__N_18offset_tEEE10hipError_tPvRmT1_PNSt15iterator_traitsIS12_E10value_typeET2_T3_PNS13_IS18_E10value_typeET4_jRbjT5_S1E_jjP12ihipStream_tbEUljE_ZNSN_ISO_Lb0ESQ_SR_ST_SU_SY_EESZ_S10_S11_S12_S16_S17_S18_S1B_S1C_jS1D_jS1E_S1E_jjS1G_bEUljE0_EEESZ_S10_S11_S18_S1C_S1E_T6_T7_T9_mT8_S1G_bDpT10_ENKUlT_T0_E_clISt17integral_constantIbLb1EES1T_IbLb0EEEEDaS1P_S1Q_EUlS1P_E_NS1_11comp_targetILNS1_3genE8ELNS1_11target_archE1030ELNS1_3gpuE2ELNS1_3repE0EEENS1_30default_config_static_selectorELNS0_4arch9wavefront6targetE0EEEvS12_
	.p2align	8
	.type	_ZN7rocprim17ROCPRIM_400000_NS6detail17trampoline_kernelINS0_13select_configILj256ELj13ELNS0_17block_load_methodE3ELS4_3ELS4_3ELNS0_20block_scan_algorithmE0ELj4294967295EEENS1_25partition_config_selectorILNS1_17partition_subalgoE4EjNS0_10empty_typeEbEEZZNS1_14partition_implILS8_4ELb0ES6_15HIP_vector_typeIjLj2EENS0_17counting_iteratorIjlEEPS9_SG_NS0_5tupleIJPjSI_NS0_16reverse_iteratorISI_EEEEENSH_IJSG_SG_SG_EEES9_SI_JZNS1_25segmented_radix_sort_implINS0_14default_configELb0EPKbPbPKlPlN2at6native12_GLOBAL__N_18offset_tEEE10hipError_tPvRmT1_PNSt15iterator_traitsIS12_E10value_typeET2_T3_PNS13_IS18_E10value_typeET4_jRbjT5_S1E_jjP12ihipStream_tbEUljE_ZNSN_ISO_Lb0ESQ_SR_ST_SU_SY_EESZ_S10_S11_S12_S16_S17_S18_S1B_S1C_jS1D_jS1E_S1E_jjS1G_bEUljE0_EEESZ_S10_S11_S18_S1C_S1E_T6_T7_T9_mT8_S1G_bDpT10_ENKUlT_T0_E_clISt17integral_constantIbLb1EES1T_IbLb0EEEEDaS1P_S1Q_EUlS1P_E_NS1_11comp_targetILNS1_3genE8ELNS1_11target_archE1030ELNS1_3gpuE2ELNS1_3repE0EEENS1_30default_config_static_selectorELNS0_4arch9wavefront6targetE0EEEvS12_,@function
_ZN7rocprim17ROCPRIM_400000_NS6detail17trampoline_kernelINS0_13select_configILj256ELj13ELNS0_17block_load_methodE3ELS4_3ELS4_3ELNS0_20block_scan_algorithmE0ELj4294967295EEENS1_25partition_config_selectorILNS1_17partition_subalgoE4EjNS0_10empty_typeEbEEZZNS1_14partition_implILS8_4ELb0ES6_15HIP_vector_typeIjLj2EENS0_17counting_iteratorIjlEEPS9_SG_NS0_5tupleIJPjSI_NS0_16reverse_iteratorISI_EEEEENSH_IJSG_SG_SG_EEES9_SI_JZNS1_25segmented_radix_sort_implINS0_14default_configELb0EPKbPbPKlPlN2at6native12_GLOBAL__N_18offset_tEEE10hipError_tPvRmT1_PNSt15iterator_traitsIS12_E10value_typeET2_T3_PNS13_IS18_E10value_typeET4_jRbjT5_S1E_jjP12ihipStream_tbEUljE_ZNSN_ISO_Lb0ESQ_SR_ST_SU_SY_EESZ_S10_S11_S12_S16_S17_S18_S1B_S1C_jS1D_jS1E_S1E_jjS1G_bEUljE0_EEESZ_S10_S11_S18_S1C_S1E_T6_T7_T9_mT8_S1G_bDpT10_ENKUlT_T0_E_clISt17integral_constantIbLb1EES1T_IbLb0EEEEDaS1P_S1Q_EUlS1P_E_NS1_11comp_targetILNS1_3genE8ELNS1_11target_archE1030ELNS1_3gpuE2ELNS1_3repE0EEENS1_30default_config_static_selectorELNS0_4arch9wavefront6targetE0EEEvS12_: ; @_ZN7rocprim17ROCPRIM_400000_NS6detail17trampoline_kernelINS0_13select_configILj256ELj13ELNS0_17block_load_methodE3ELS4_3ELS4_3ELNS0_20block_scan_algorithmE0ELj4294967295EEENS1_25partition_config_selectorILNS1_17partition_subalgoE4EjNS0_10empty_typeEbEEZZNS1_14partition_implILS8_4ELb0ES6_15HIP_vector_typeIjLj2EENS0_17counting_iteratorIjlEEPS9_SG_NS0_5tupleIJPjSI_NS0_16reverse_iteratorISI_EEEEENSH_IJSG_SG_SG_EEES9_SI_JZNS1_25segmented_radix_sort_implINS0_14default_configELb0EPKbPbPKlPlN2at6native12_GLOBAL__N_18offset_tEEE10hipError_tPvRmT1_PNSt15iterator_traitsIS12_E10value_typeET2_T3_PNS13_IS18_E10value_typeET4_jRbjT5_S1E_jjP12ihipStream_tbEUljE_ZNSN_ISO_Lb0ESQ_SR_ST_SU_SY_EESZ_S10_S11_S12_S16_S17_S18_S1B_S1C_jS1D_jS1E_S1E_jjS1G_bEUljE0_EEESZ_S10_S11_S18_S1C_S1E_T6_T7_T9_mT8_S1G_bDpT10_ENKUlT_T0_E_clISt17integral_constantIbLb1EES1T_IbLb0EEEEDaS1P_S1Q_EUlS1P_E_NS1_11comp_targetILNS1_3genE8ELNS1_11target_archE1030ELNS1_3gpuE2ELNS1_3repE0EEENS1_30default_config_static_selectorELNS0_4arch9wavefront6targetE0EEEvS12_
; %bb.0:
	.section	.rodata,"a",@progbits
	.p2align	6, 0x0
	.amdhsa_kernel _ZN7rocprim17ROCPRIM_400000_NS6detail17trampoline_kernelINS0_13select_configILj256ELj13ELNS0_17block_load_methodE3ELS4_3ELS4_3ELNS0_20block_scan_algorithmE0ELj4294967295EEENS1_25partition_config_selectorILNS1_17partition_subalgoE4EjNS0_10empty_typeEbEEZZNS1_14partition_implILS8_4ELb0ES6_15HIP_vector_typeIjLj2EENS0_17counting_iteratorIjlEEPS9_SG_NS0_5tupleIJPjSI_NS0_16reverse_iteratorISI_EEEEENSH_IJSG_SG_SG_EEES9_SI_JZNS1_25segmented_radix_sort_implINS0_14default_configELb0EPKbPbPKlPlN2at6native12_GLOBAL__N_18offset_tEEE10hipError_tPvRmT1_PNSt15iterator_traitsIS12_E10value_typeET2_T3_PNS13_IS18_E10value_typeET4_jRbjT5_S1E_jjP12ihipStream_tbEUljE_ZNSN_ISO_Lb0ESQ_SR_ST_SU_SY_EESZ_S10_S11_S12_S16_S17_S18_S1B_S1C_jS1D_jS1E_S1E_jjS1G_bEUljE0_EEESZ_S10_S11_S18_S1C_S1E_T6_T7_T9_mT8_S1G_bDpT10_ENKUlT_T0_E_clISt17integral_constantIbLb1EES1T_IbLb0EEEEDaS1P_S1Q_EUlS1P_E_NS1_11comp_targetILNS1_3genE8ELNS1_11target_archE1030ELNS1_3gpuE2ELNS1_3repE0EEENS1_30default_config_static_selectorELNS0_4arch9wavefront6targetE0EEEvS12_
		.amdhsa_group_segment_fixed_size 0
		.amdhsa_private_segment_fixed_size 0
		.amdhsa_kernarg_size 176
		.amdhsa_user_sgpr_count 2
		.amdhsa_user_sgpr_dispatch_ptr 0
		.amdhsa_user_sgpr_queue_ptr 0
		.amdhsa_user_sgpr_kernarg_segment_ptr 1
		.amdhsa_user_sgpr_dispatch_id 0
		.amdhsa_user_sgpr_kernarg_preload_length 0
		.amdhsa_user_sgpr_kernarg_preload_offset 0
		.amdhsa_user_sgpr_private_segment_size 0
		.amdhsa_wavefront_size32 1
		.amdhsa_uses_dynamic_stack 0
		.amdhsa_enable_private_segment 0
		.amdhsa_system_sgpr_workgroup_id_x 1
		.amdhsa_system_sgpr_workgroup_id_y 0
		.amdhsa_system_sgpr_workgroup_id_z 0
		.amdhsa_system_sgpr_workgroup_info 0
		.amdhsa_system_vgpr_workitem_id 0
		.amdhsa_next_free_vgpr 1
		.amdhsa_next_free_sgpr 1
		.amdhsa_named_barrier_count 0
		.amdhsa_reserve_vcc 0
		.amdhsa_float_round_mode_32 0
		.amdhsa_float_round_mode_16_64 0
		.amdhsa_float_denorm_mode_32 3
		.amdhsa_float_denorm_mode_16_64 3
		.amdhsa_fp16_overflow 0
		.amdhsa_memory_ordered 1
		.amdhsa_forward_progress 1
		.amdhsa_inst_pref_size 0
		.amdhsa_round_robin_scheduling 0
		.amdhsa_exception_fp_ieee_invalid_op 0
		.amdhsa_exception_fp_denorm_src 0
		.amdhsa_exception_fp_ieee_div_zero 0
		.amdhsa_exception_fp_ieee_overflow 0
		.amdhsa_exception_fp_ieee_underflow 0
		.amdhsa_exception_fp_ieee_inexact 0
		.amdhsa_exception_int_div_zero 0
	.end_amdhsa_kernel
	.section	.text._ZN7rocprim17ROCPRIM_400000_NS6detail17trampoline_kernelINS0_13select_configILj256ELj13ELNS0_17block_load_methodE3ELS4_3ELS4_3ELNS0_20block_scan_algorithmE0ELj4294967295EEENS1_25partition_config_selectorILNS1_17partition_subalgoE4EjNS0_10empty_typeEbEEZZNS1_14partition_implILS8_4ELb0ES6_15HIP_vector_typeIjLj2EENS0_17counting_iteratorIjlEEPS9_SG_NS0_5tupleIJPjSI_NS0_16reverse_iteratorISI_EEEEENSH_IJSG_SG_SG_EEES9_SI_JZNS1_25segmented_radix_sort_implINS0_14default_configELb0EPKbPbPKlPlN2at6native12_GLOBAL__N_18offset_tEEE10hipError_tPvRmT1_PNSt15iterator_traitsIS12_E10value_typeET2_T3_PNS13_IS18_E10value_typeET4_jRbjT5_S1E_jjP12ihipStream_tbEUljE_ZNSN_ISO_Lb0ESQ_SR_ST_SU_SY_EESZ_S10_S11_S12_S16_S17_S18_S1B_S1C_jS1D_jS1E_S1E_jjS1G_bEUljE0_EEESZ_S10_S11_S18_S1C_S1E_T6_T7_T9_mT8_S1G_bDpT10_ENKUlT_T0_E_clISt17integral_constantIbLb1EES1T_IbLb0EEEEDaS1P_S1Q_EUlS1P_E_NS1_11comp_targetILNS1_3genE8ELNS1_11target_archE1030ELNS1_3gpuE2ELNS1_3repE0EEENS1_30default_config_static_selectorELNS0_4arch9wavefront6targetE0EEEvS12_,"axG",@progbits,_ZN7rocprim17ROCPRIM_400000_NS6detail17trampoline_kernelINS0_13select_configILj256ELj13ELNS0_17block_load_methodE3ELS4_3ELS4_3ELNS0_20block_scan_algorithmE0ELj4294967295EEENS1_25partition_config_selectorILNS1_17partition_subalgoE4EjNS0_10empty_typeEbEEZZNS1_14partition_implILS8_4ELb0ES6_15HIP_vector_typeIjLj2EENS0_17counting_iteratorIjlEEPS9_SG_NS0_5tupleIJPjSI_NS0_16reverse_iteratorISI_EEEEENSH_IJSG_SG_SG_EEES9_SI_JZNS1_25segmented_radix_sort_implINS0_14default_configELb0EPKbPbPKlPlN2at6native12_GLOBAL__N_18offset_tEEE10hipError_tPvRmT1_PNSt15iterator_traitsIS12_E10value_typeET2_T3_PNS13_IS18_E10value_typeET4_jRbjT5_S1E_jjP12ihipStream_tbEUljE_ZNSN_ISO_Lb0ESQ_SR_ST_SU_SY_EESZ_S10_S11_S12_S16_S17_S18_S1B_S1C_jS1D_jS1E_S1E_jjS1G_bEUljE0_EEESZ_S10_S11_S18_S1C_S1E_T6_T7_T9_mT8_S1G_bDpT10_ENKUlT_T0_E_clISt17integral_constantIbLb1EES1T_IbLb0EEEEDaS1P_S1Q_EUlS1P_E_NS1_11comp_targetILNS1_3genE8ELNS1_11target_archE1030ELNS1_3gpuE2ELNS1_3repE0EEENS1_30default_config_static_selectorELNS0_4arch9wavefront6targetE0EEEvS12_,comdat
.Lfunc_end1585:
	.size	_ZN7rocprim17ROCPRIM_400000_NS6detail17trampoline_kernelINS0_13select_configILj256ELj13ELNS0_17block_load_methodE3ELS4_3ELS4_3ELNS0_20block_scan_algorithmE0ELj4294967295EEENS1_25partition_config_selectorILNS1_17partition_subalgoE4EjNS0_10empty_typeEbEEZZNS1_14partition_implILS8_4ELb0ES6_15HIP_vector_typeIjLj2EENS0_17counting_iteratorIjlEEPS9_SG_NS0_5tupleIJPjSI_NS0_16reverse_iteratorISI_EEEEENSH_IJSG_SG_SG_EEES9_SI_JZNS1_25segmented_radix_sort_implINS0_14default_configELb0EPKbPbPKlPlN2at6native12_GLOBAL__N_18offset_tEEE10hipError_tPvRmT1_PNSt15iterator_traitsIS12_E10value_typeET2_T3_PNS13_IS18_E10value_typeET4_jRbjT5_S1E_jjP12ihipStream_tbEUljE_ZNSN_ISO_Lb0ESQ_SR_ST_SU_SY_EESZ_S10_S11_S12_S16_S17_S18_S1B_S1C_jS1D_jS1E_S1E_jjS1G_bEUljE0_EEESZ_S10_S11_S18_S1C_S1E_T6_T7_T9_mT8_S1G_bDpT10_ENKUlT_T0_E_clISt17integral_constantIbLb1EES1T_IbLb0EEEEDaS1P_S1Q_EUlS1P_E_NS1_11comp_targetILNS1_3genE8ELNS1_11target_archE1030ELNS1_3gpuE2ELNS1_3repE0EEENS1_30default_config_static_selectorELNS0_4arch9wavefront6targetE0EEEvS12_, .Lfunc_end1585-_ZN7rocprim17ROCPRIM_400000_NS6detail17trampoline_kernelINS0_13select_configILj256ELj13ELNS0_17block_load_methodE3ELS4_3ELS4_3ELNS0_20block_scan_algorithmE0ELj4294967295EEENS1_25partition_config_selectorILNS1_17partition_subalgoE4EjNS0_10empty_typeEbEEZZNS1_14partition_implILS8_4ELb0ES6_15HIP_vector_typeIjLj2EENS0_17counting_iteratorIjlEEPS9_SG_NS0_5tupleIJPjSI_NS0_16reverse_iteratorISI_EEEEENSH_IJSG_SG_SG_EEES9_SI_JZNS1_25segmented_radix_sort_implINS0_14default_configELb0EPKbPbPKlPlN2at6native12_GLOBAL__N_18offset_tEEE10hipError_tPvRmT1_PNSt15iterator_traitsIS12_E10value_typeET2_T3_PNS13_IS18_E10value_typeET4_jRbjT5_S1E_jjP12ihipStream_tbEUljE_ZNSN_ISO_Lb0ESQ_SR_ST_SU_SY_EESZ_S10_S11_S12_S16_S17_S18_S1B_S1C_jS1D_jS1E_S1E_jjS1G_bEUljE0_EEESZ_S10_S11_S18_S1C_S1E_T6_T7_T9_mT8_S1G_bDpT10_ENKUlT_T0_E_clISt17integral_constantIbLb1EES1T_IbLb0EEEEDaS1P_S1Q_EUlS1P_E_NS1_11comp_targetILNS1_3genE8ELNS1_11target_archE1030ELNS1_3gpuE2ELNS1_3repE0EEENS1_30default_config_static_selectorELNS0_4arch9wavefront6targetE0EEEvS12_
                                        ; -- End function
	.set _ZN7rocprim17ROCPRIM_400000_NS6detail17trampoline_kernelINS0_13select_configILj256ELj13ELNS0_17block_load_methodE3ELS4_3ELS4_3ELNS0_20block_scan_algorithmE0ELj4294967295EEENS1_25partition_config_selectorILNS1_17partition_subalgoE4EjNS0_10empty_typeEbEEZZNS1_14partition_implILS8_4ELb0ES6_15HIP_vector_typeIjLj2EENS0_17counting_iteratorIjlEEPS9_SG_NS0_5tupleIJPjSI_NS0_16reverse_iteratorISI_EEEEENSH_IJSG_SG_SG_EEES9_SI_JZNS1_25segmented_radix_sort_implINS0_14default_configELb0EPKbPbPKlPlN2at6native12_GLOBAL__N_18offset_tEEE10hipError_tPvRmT1_PNSt15iterator_traitsIS12_E10value_typeET2_T3_PNS13_IS18_E10value_typeET4_jRbjT5_S1E_jjP12ihipStream_tbEUljE_ZNSN_ISO_Lb0ESQ_SR_ST_SU_SY_EESZ_S10_S11_S12_S16_S17_S18_S1B_S1C_jS1D_jS1E_S1E_jjS1G_bEUljE0_EEESZ_S10_S11_S18_S1C_S1E_T6_T7_T9_mT8_S1G_bDpT10_ENKUlT_T0_E_clISt17integral_constantIbLb1EES1T_IbLb0EEEEDaS1P_S1Q_EUlS1P_E_NS1_11comp_targetILNS1_3genE8ELNS1_11target_archE1030ELNS1_3gpuE2ELNS1_3repE0EEENS1_30default_config_static_selectorELNS0_4arch9wavefront6targetE0EEEvS12_.num_vgpr, 0
	.set _ZN7rocprim17ROCPRIM_400000_NS6detail17trampoline_kernelINS0_13select_configILj256ELj13ELNS0_17block_load_methodE3ELS4_3ELS4_3ELNS0_20block_scan_algorithmE0ELj4294967295EEENS1_25partition_config_selectorILNS1_17partition_subalgoE4EjNS0_10empty_typeEbEEZZNS1_14partition_implILS8_4ELb0ES6_15HIP_vector_typeIjLj2EENS0_17counting_iteratorIjlEEPS9_SG_NS0_5tupleIJPjSI_NS0_16reverse_iteratorISI_EEEEENSH_IJSG_SG_SG_EEES9_SI_JZNS1_25segmented_radix_sort_implINS0_14default_configELb0EPKbPbPKlPlN2at6native12_GLOBAL__N_18offset_tEEE10hipError_tPvRmT1_PNSt15iterator_traitsIS12_E10value_typeET2_T3_PNS13_IS18_E10value_typeET4_jRbjT5_S1E_jjP12ihipStream_tbEUljE_ZNSN_ISO_Lb0ESQ_SR_ST_SU_SY_EESZ_S10_S11_S12_S16_S17_S18_S1B_S1C_jS1D_jS1E_S1E_jjS1G_bEUljE0_EEESZ_S10_S11_S18_S1C_S1E_T6_T7_T9_mT8_S1G_bDpT10_ENKUlT_T0_E_clISt17integral_constantIbLb1EES1T_IbLb0EEEEDaS1P_S1Q_EUlS1P_E_NS1_11comp_targetILNS1_3genE8ELNS1_11target_archE1030ELNS1_3gpuE2ELNS1_3repE0EEENS1_30default_config_static_selectorELNS0_4arch9wavefront6targetE0EEEvS12_.num_agpr, 0
	.set _ZN7rocprim17ROCPRIM_400000_NS6detail17trampoline_kernelINS0_13select_configILj256ELj13ELNS0_17block_load_methodE3ELS4_3ELS4_3ELNS0_20block_scan_algorithmE0ELj4294967295EEENS1_25partition_config_selectorILNS1_17partition_subalgoE4EjNS0_10empty_typeEbEEZZNS1_14partition_implILS8_4ELb0ES6_15HIP_vector_typeIjLj2EENS0_17counting_iteratorIjlEEPS9_SG_NS0_5tupleIJPjSI_NS0_16reverse_iteratorISI_EEEEENSH_IJSG_SG_SG_EEES9_SI_JZNS1_25segmented_radix_sort_implINS0_14default_configELb0EPKbPbPKlPlN2at6native12_GLOBAL__N_18offset_tEEE10hipError_tPvRmT1_PNSt15iterator_traitsIS12_E10value_typeET2_T3_PNS13_IS18_E10value_typeET4_jRbjT5_S1E_jjP12ihipStream_tbEUljE_ZNSN_ISO_Lb0ESQ_SR_ST_SU_SY_EESZ_S10_S11_S12_S16_S17_S18_S1B_S1C_jS1D_jS1E_S1E_jjS1G_bEUljE0_EEESZ_S10_S11_S18_S1C_S1E_T6_T7_T9_mT8_S1G_bDpT10_ENKUlT_T0_E_clISt17integral_constantIbLb1EES1T_IbLb0EEEEDaS1P_S1Q_EUlS1P_E_NS1_11comp_targetILNS1_3genE8ELNS1_11target_archE1030ELNS1_3gpuE2ELNS1_3repE0EEENS1_30default_config_static_selectorELNS0_4arch9wavefront6targetE0EEEvS12_.numbered_sgpr, 0
	.set _ZN7rocprim17ROCPRIM_400000_NS6detail17trampoline_kernelINS0_13select_configILj256ELj13ELNS0_17block_load_methodE3ELS4_3ELS4_3ELNS0_20block_scan_algorithmE0ELj4294967295EEENS1_25partition_config_selectorILNS1_17partition_subalgoE4EjNS0_10empty_typeEbEEZZNS1_14partition_implILS8_4ELb0ES6_15HIP_vector_typeIjLj2EENS0_17counting_iteratorIjlEEPS9_SG_NS0_5tupleIJPjSI_NS0_16reverse_iteratorISI_EEEEENSH_IJSG_SG_SG_EEES9_SI_JZNS1_25segmented_radix_sort_implINS0_14default_configELb0EPKbPbPKlPlN2at6native12_GLOBAL__N_18offset_tEEE10hipError_tPvRmT1_PNSt15iterator_traitsIS12_E10value_typeET2_T3_PNS13_IS18_E10value_typeET4_jRbjT5_S1E_jjP12ihipStream_tbEUljE_ZNSN_ISO_Lb0ESQ_SR_ST_SU_SY_EESZ_S10_S11_S12_S16_S17_S18_S1B_S1C_jS1D_jS1E_S1E_jjS1G_bEUljE0_EEESZ_S10_S11_S18_S1C_S1E_T6_T7_T9_mT8_S1G_bDpT10_ENKUlT_T0_E_clISt17integral_constantIbLb1EES1T_IbLb0EEEEDaS1P_S1Q_EUlS1P_E_NS1_11comp_targetILNS1_3genE8ELNS1_11target_archE1030ELNS1_3gpuE2ELNS1_3repE0EEENS1_30default_config_static_selectorELNS0_4arch9wavefront6targetE0EEEvS12_.num_named_barrier, 0
	.set _ZN7rocprim17ROCPRIM_400000_NS6detail17trampoline_kernelINS0_13select_configILj256ELj13ELNS0_17block_load_methodE3ELS4_3ELS4_3ELNS0_20block_scan_algorithmE0ELj4294967295EEENS1_25partition_config_selectorILNS1_17partition_subalgoE4EjNS0_10empty_typeEbEEZZNS1_14partition_implILS8_4ELb0ES6_15HIP_vector_typeIjLj2EENS0_17counting_iteratorIjlEEPS9_SG_NS0_5tupleIJPjSI_NS0_16reverse_iteratorISI_EEEEENSH_IJSG_SG_SG_EEES9_SI_JZNS1_25segmented_radix_sort_implINS0_14default_configELb0EPKbPbPKlPlN2at6native12_GLOBAL__N_18offset_tEEE10hipError_tPvRmT1_PNSt15iterator_traitsIS12_E10value_typeET2_T3_PNS13_IS18_E10value_typeET4_jRbjT5_S1E_jjP12ihipStream_tbEUljE_ZNSN_ISO_Lb0ESQ_SR_ST_SU_SY_EESZ_S10_S11_S12_S16_S17_S18_S1B_S1C_jS1D_jS1E_S1E_jjS1G_bEUljE0_EEESZ_S10_S11_S18_S1C_S1E_T6_T7_T9_mT8_S1G_bDpT10_ENKUlT_T0_E_clISt17integral_constantIbLb1EES1T_IbLb0EEEEDaS1P_S1Q_EUlS1P_E_NS1_11comp_targetILNS1_3genE8ELNS1_11target_archE1030ELNS1_3gpuE2ELNS1_3repE0EEENS1_30default_config_static_selectorELNS0_4arch9wavefront6targetE0EEEvS12_.private_seg_size, 0
	.set _ZN7rocprim17ROCPRIM_400000_NS6detail17trampoline_kernelINS0_13select_configILj256ELj13ELNS0_17block_load_methodE3ELS4_3ELS4_3ELNS0_20block_scan_algorithmE0ELj4294967295EEENS1_25partition_config_selectorILNS1_17partition_subalgoE4EjNS0_10empty_typeEbEEZZNS1_14partition_implILS8_4ELb0ES6_15HIP_vector_typeIjLj2EENS0_17counting_iteratorIjlEEPS9_SG_NS0_5tupleIJPjSI_NS0_16reverse_iteratorISI_EEEEENSH_IJSG_SG_SG_EEES9_SI_JZNS1_25segmented_radix_sort_implINS0_14default_configELb0EPKbPbPKlPlN2at6native12_GLOBAL__N_18offset_tEEE10hipError_tPvRmT1_PNSt15iterator_traitsIS12_E10value_typeET2_T3_PNS13_IS18_E10value_typeET4_jRbjT5_S1E_jjP12ihipStream_tbEUljE_ZNSN_ISO_Lb0ESQ_SR_ST_SU_SY_EESZ_S10_S11_S12_S16_S17_S18_S1B_S1C_jS1D_jS1E_S1E_jjS1G_bEUljE0_EEESZ_S10_S11_S18_S1C_S1E_T6_T7_T9_mT8_S1G_bDpT10_ENKUlT_T0_E_clISt17integral_constantIbLb1EES1T_IbLb0EEEEDaS1P_S1Q_EUlS1P_E_NS1_11comp_targetILNS1_3genE8ELNS1_11target_archE1030ELNS1_3gpuE2ELNS1_3repE0EEENS1_30default_config_static_selectorELNS0_4arch9wavefront6targetE0EEEvS12_.uses_vcc, 0
	.set _ZN7rocprim17ROCPRIM_400000_NS6detail17trampoline_kernelINS0_13select_configILj256ELj13ELNS0_17block_load_methodE3ELS4_3ELS4_3ELNS0_20block_scan_algorithmE0ELj4294967295EEENS1_25partition_config_selectorILNS1_17partition_subalgoE4EjNS0_10empty_typeEbEEZZNS1_14partition_implILS8_4ELb0ES6_15HIP_vector_typeIjLj2EENS0_17counting_iteratorIjlEEPS9_SG_NS0_5tupleIJPjSI_NS0_16reverse_iteratorISI_EEEEENSH_IJSG_SG_SG_EEES9_SI_JZNS1_25segmented_radix_sort_implINS0_14default_configELb0EPKbPbPKlPlN2at6native12_GLOBAL__N_18offset_tEEE10hipError_tPvRmT1_PNSt15iterator_traitsIS12_E10value_typeET2_T3_PNS13_IS18_E10value_typeET4_jRbjT5_S1E_jjP12ihipStream_tbEUljE_ZNSN_ISO_Lb0ESQ_SR_ST_SU_SY_EESZ_S10_S11_S12_S16_S17_S18_S1B_S1C_jS1D_jS1E_S1E_jjS1G_bEUljE0_EEESZ_S10_S11_S18_S1C_S1E_T6_T7_T9_mT8_S1G_bDpT10_ENKUlT_T0_E_clISt17integral_constantIbLb1EES1T_IbLb0EEEEDaS1P_S1Q_EUlS1P_E_NS1_11comp_targetILNS1_3genE8ELNS1_11target_archE1030ELNS1_3gpuE2ELNS1_3repE0EEENS1_30default_config_static_selectorELNS0_4arch9wavefront6targetE0EEEvS12_.uses_flat_scratch, 0
	.set _ZN7rocprim17ROCPRIM_400000_NS6detail17trampoline_kernelINS0_13select_configILj256ELj13ELNS0_17block_load_methodE3ELS4_3ELS4_3ELNS0_20block_scan_algorithmE0ELj4294967295EEENS1_25partition_config_selectorILNS1_17partition_subalgoE4EjNS0_10empty_typeEbEEZZNS1_14partition_implILS8_4ELb0ES6_15HIP_vector_typeIjLj2EENS0_17counting_iteratorIjlEEPS9_SG_NS0_5tupleIJPjSI_NS0_16reverse_iteratorISI_EEEEENSH_IJSG_SG_SG_EEES9_SI_JZNS1_25segmented_radix_sort_implINS0_14default_configELb0EPKbPbPKlPlN2at6native12_GLOBAL__N_18offset_tEEE10hipError_tPvRmT1_PNSt15iterator_traitsIS12_E10value_typeET2_T3_PNS13_IS18_E10value_typeET4_jRbjT5_S1E_jjP12ihipStream_tbEUljE_ZNSN_ISO_Lb0ESQ_SR_ST_SU_SY_EESZ_S10_S11_S12_S16_S17_S18_S1B_S1C_jS1D_jS1E_S1E_jjS1G_bEUljE0_EEESZ_S10_S11_S18_S1C_S1E_T6_T7_T9_mT8_S1G_bDpT10_ENKUlT_T0_E_clISt17integral_constantIbLb1EES1T_IbLb0EEEEDaS1P_S1Q_EUlS1P_E_NS1_11comp_targetILNS1_3genE8ELNS1_11target_archE1030ELNS1_3gpuE2ELNS1_3repE0EEENS1_30default_config_static_selectorELNS0_4arch9wavefront6targetE0EEEvS12_.has_dyn_sized_stack, 0
	.set _ZN7rocprim17ROCPRIM_400000_NS6detail17trampoline_kernelINS0_13select_configILj256ELj13ELNS0_17block_load_methodE3ELS4_3ELS4_3ELNS0_20block_scan_algorithmE0ELj4294967295EEENS1_25partition_config_selectorILNS1_17partition_subalgoE4EjNS0_10empty_typeEbEEZZNS1_14partition_implILS8_4ELb0ES6_15HIP_vector_typeIjLj2EENS0_17counting_iteratorIjlEEPS9_SG_NS0_5tupleIJPjSI_NS0_16reverse_iteratorISI_EEEEENSH_IJSG_SG_SG_EEES9_SI_JZNS1_25segmented_radix_sort_implINS0_14default_configELb0EPKbPbPKlPlN2at6native12_GLOBAL__N_18offset_tEEE10hipError_tPvRmT1_PNSt15iterator_traitsIS12_E10value_typeET2_T3_PNS13_IS18_E10value_typeET4_jRbjT5_S1E_jjP12ihipStream_tbEUljE_ZNSN_ISO_Lb0ESQ_SR_ST_SU_SY_EESZ_S10_S11_S12_S16_S17_S18_S1B_S1C_jS1D_jS1E_S1E_jjS1G_bEUljE0_EEESZ_S10_S11_S18_S1C_S1E_T6_T7_T9_mT8_S1G_bDpT10_ENKUlT_T0_E_clISt17integral_constantIbLb1EES1T_IbLb0EEEEDaS1P_S1Q_EUlS1P_E_NS1_11comp_targetILNS1_3genE8ELNS1_11target_archE1030ELNS1_3gpuE2ELNS1_3repE0EEENS1_30default_config_static_selectorELNS0_4arch9wavefront6targetE0EEEvS12_.has_recursion, 0
	.set _ZN7rocprim17ROCPRIM_400000_NS6detail17trampoline_kernelINS0_13select_configILj256ELj13ELNS0_17block_load_methodE3ELS4_3ELS4_3ELNS0_20block_scan_algorithmE0ELj4294967295EEENS1_25partition_config_selectorILNS1_17partition_subalgoE4EjNS0_10empty_typeEbEEZZNS1_14partition_implILS8_4ELb0ES6_15HIP_vector_typeIjLj2EENS0_17counting_iteratorIjlEEPS9_SG_NS0_5tupleIJPjSI_NS0_16reverse_iteratorISI_EEEEENSH_IJSG_SG_SG_EEES9_SI_JZNS1_25segmented_radix_sort_implINS0_14default_configELb0EPKbPbPKlPlN2at6native12_GLOBAL__N_18offset_tEEE10hipError_tPvRmT1_PNSt15iterator_traitsIS12_E10value_typeET2_T3_PNS13_IS18_E10value_typeET4_jRbjT5_S1E_jjP12ihipStream_tbEUljE_ZNSN_ISO_Lb0ESQ_SR_ST_SU_SY_EESZ_S10_S11_S12_S16_S17_S18_S1B_S1C_jS1D_jS1E_S1E_jjS1G_bEUljE0_EEESZ_S10_S11_S18_S1C_S1E_T6_T7_T9_mT8_S1G_bDpT10_ENKUlT_T0_E_clISt17integral_constantIbLb1EES1T_IbLb0EEEEDaS1P_S1Q_EUlS1P_E_NS1_11comp_targetILNS1_3genE8ELNS1_11target_archE1030ELNS1_3gpuE2ELNS1_3repE0EEENS1_30default_config_static_selectorELNS0_4arch9wavefront6targetE0EEEvS12_.has_indirect_call, 0
	.section	.AMDGPU.csdata,"",@progbits
; Kernel info:
; codeLenInByte = 0
; TotalNumSgprs: 0
; NumVgprs: 0
; ScratchSize: 0
; MemoryBound: 0
; FloatMode: 240
; IeeeMode: 1
; LDSByteSize: 0 bytes/workgroup (compile time only)
; SGPRBlocks: 0
; VGPRBlocks: 0
; NumSGPRsForWavesPerEU: 1
; NumVGPRsForWavesPerEU: 1
; NamedBarCnt: 0
; Occupancy: 16
; WaveLimiterHint : 0
; COMPUTE_PGM_RSRC2:SCRATCH_EN: 0
; COMPUTE_PGM_RSRC2:USER_SGPR: 2
; COMPUTE_PGM_RSRC2:TRAP_HANDLER: 0
; COMPUTE_PGM_RSRC2:TGID_X_EN: 1
; COMPUTE_PGM_RSRC2:TGID_Y_EN: 0
; COMPUTE_PGM_RSRC2:TGID_Z_EN: 0
; COMPUTE_PGM_RSRC2:TIDIG_COMP_CNT: 0
	.section	.text._ZN7rocprim17ROCPRIM_400000_NS6detail17trampoline_kernelINS0_13select_configILj256ELj13ELNS0_17block_load_methodE3ELS4_3ELS4_3ELNS0_20block_scan_algorithmE0ELj4294967295EEENS1_25partition_config_selectorILNS1_17partition_subalgoE4EjNS0_10empty_typeEbEEZZNS1_14partition_implILS8_4ELb0ES6_15HIP_vector_typeIjLj2EENS0_17counting_iteratorIjlEEPS9_SG_NS0_5tupleIJPjSI_NS0_16reverse_iteratorISI_EEEEENSH_IJSG_SG_SG_EEES9_SI_JZNS1_25segmented_radix_sort_implINS0_14default_configELb0EPKbPbPKlPlN2at6native12_GLOBAL__N_18offset_tEEE10hipError_tPvRmT1_PNSt15iterator_traitsIS12_E10value_typeET2_T3_PNS13_IS18_E10value_typeET4_jRbjT5_S1E_jjP12ihipStream_tbEUljE_ZNSN_ISO_Lb0ESQ_SR_ST_SU_SY_EESZ_S10_S11_S12_S16_S17_S18_S1B_S1C_jS1D_jS1E_S1E_jjS1G_bEUljE0_EEESZ_S10_S11_S18_S1C_S1E_T6_T7_T9_mT8_S1G_bDpT10_ENKUlT_T0_E_clISt17integral_constantIbLb0EES1T_IbLb1EEEEDaS1P_S1Q_EUlS1P_E_NS1_11comp_targetILNS1_3genE0ELNS1_11target_archE4294967295ELNS1_3gpuE0ELNS1_3repE0EEENS1_30default_config_static_selectorELNS0_4arch9wavefront6targetE0EEEvS12_,"axG",@progbits,_ZN7rocprim17ROCPRIM_400000_NS6detail17trampoline_kernelINS0_13select_configILj256ELj13ELNS0_17block_load_methodE3ELS4_3ELS4_3ELNS0_20block_scan_algorithmE0ELj4294967295EEENS1_25partition_config_selectorILNS1_17partition_subalgoE4EjNS0_10empty_typeEbEEZZNS1_14partition_implILS8_4ELb0ES6_15HIP_vector_typeIjLj2EENS0_17counting_iteratorIjlEEPS9_SG_NS0_5tupleIJPjSI_NS0_16reverse_iteratorISI_EEEEENSH_IJSG_SG_SG_EEES9_SI_JZNS1_25segmented_radix_sort_implINS0_14default_configELb0EPKbPbPKlPlN2at6native12_GLOBAL__N_18offset_tEEE10hipError_tPvRmT1_PNSt15iterator_traitsIS12_E10value_typeET2_T3_PNS13_IS18_E10value_typeET4_jRbjT5_S1E_jjP12ihipStream_tbEUljE_ZNSN_ISO_Lb0ESQ_SR_ST_SU_SY_EESZ_S10_S11_S12_S16_S17_S18_S1B_S1C_jS1D_jS1E_S1E_jjS1G_bEUljE0_EEESZ_S10_S11_S18_S1C_S1E_T6_T7_T9_mT8_S1G_bDpT10_ENKUlT_T0_E_clISt17integral_constantIbLb0EES1T_IbLb1EEEEDaS1P_S1Q_EUlS1P_E_NS1_11comp_targetILNS1_3genE0ELNS1_11target_archE4294967295ELNS1_3gpuE0ELNS1_3repE0EEENS1_30default_config_static_selectorELNS0_4arch9wavefront6targetE0EEEvS12_,comdat
	.globl	_ZN7rocprim17ROCPRIM_400000_NS6detail17trampoline_kernelINS0_13select_configILj256ELj13ELNS0_17block_load_methodE3ELS4_3ELS4_3ELNS0_20block_scan_algorithmE0ELj4294967295EEENS1_25partition_config_selectorILNS1_17partition_subalgoE4EjNS0_10empty_typeEbEEZZNS1_14partition_implILS8_4ELb0ES6_15HIP_vector_typeIjLj2EENS0_17counting_iteratorIjlEEPS9_SG_NS0_5tupleIJPjSI_NS0_16reverse_iteratorISI_EEEEENSH_IJSG_SG_SG_EEES9_SI_JZNS1_25segmented_radix_sort_implINS0_14default_configELb0EPKbPbPKlPlN2at6native12_GLOBAL__N_18offset_tEEE10hipError_tPvRmT1_PNSt15iterator_traitsIS12_E10value_typeET2_T3_PNS13_IS18_E10value_typeET4_jRbjT5_S1E_jjP12ihipStream_tbEUljE_ZNSN_ISO_Lb0ESQ_SR_ST_SU_SY_EESZ_S10_S11_S12_S16_S17_S18_S1B_S1C_jS1D_jS1E_S1E_jjS1G_bEUljE0_EEESZ_S10_S11_S18_S1C_S1E_T6_T7_T9_mT8_S1G_bDpT10_ENKUlT_T0_E_clISt17integral_constantIbLb0EES1T_IbLb1EEEEDaS1P_S1Q_EUlS1P_E_NS1_11comp_targetILNS1_3genE0ELNS1_11target_archE4294967295ELNS1_3gpuE0ELNS1_3repE0EEENS1_30default_config_static_selectorELNS0_4arch9wavefront6targetE0EEEvS12_ ; -- Begin function _ZN7rocprim17ROCPRIM_400000_NS6detail17trampoline_kernelINS0_13select_configILj256ELj13ELNS0_17block_load_methodE3ELS4_3ELS4_3ELNS0_20block_scan_algorithmE0ELj4294967295EEENS1_25partition_config_selectorILNS1_17partition_subalgoE4EjNS0_10empty_typeEbEEZZNS1_14partition_implILS8_4ELb0ES6_15HIP_vector_typeIjLj2EENS0_17counting_iteratorIjlEEPS9_SG_NS0_5tupleIJPjSI_NS0_16reverse_iteratorISI_EEEEENSH_IJSG_SG_SG_EEES9_SI_JZNS1_25segmented_radix_sort_implINS0_14default_configELb0EPKbPbPKlPlN2at6native12_GLOBAL__N_18offset_tEEE10hipError_tPvRmT1_PNSt15iterator_traitsIS12_E10value_typeET2_T3_PNS13_IS18_E10value_typeET4_jRbjT5_S1E_jjP12ihipStream_tbEUljE_ZNSN_ISO_Lb0ESQ_SR_ST_SU_SY_EESZ_S10_S11_S12_S16_S17_S18_S1B_S1C_jS1D_jS1E_S1E_jjS1G_bEUljE0_EEESZ_S10_S11_S18_S1C_S1E_T6_T7_T9_mT8_S1G_bDpT10_ENKUlT_T0_E_clISt17integral_constantIbLb0EES1T_IbLb1EEEEDaS1P_S1Q_EUlS1P_E_NS1_11comp_targetILNS1_3genE0ELNS1_11target_archE4294967295ELNS1_3gpuE0ELNS1_3repE0EEENS1_30default_config_static_selectorELNS0_4arch9wavefront6targetE0EEEvS12_
	.p2align	8
	.type	_ZN7rocprim17ROCPRIM_400000_NS6detail17trampoline_kernelINS0_13select_configILj256ELj13ELNS0_17block_load_methodE3ELS4_3ELS4_3ELNS0_20block_scan_algorithmE0ELj4294967295EEENS1_25partition_config_selectorILNS1_17partition_subalgoE4EjNS0_10empty_typeEbEEZZNS1_14partition_implILS8_4ELb0ES6_15HIP_vector_typeIjLj2EENS0_17counting_iteratorIjlEEPS9_SG_NS0_5tupleIJPjSI_NS0_16reverse_iteratorISI_EEEEENSH_IJSG_SG_SG_EEES9_SI_JZNS1_25segmented_radix_sort_implINS0_14default_configELb0EPKbPbPKlPlN2at6native12_GLOBAL__N_18offset_tEEE10hipError_tPvRmT1_PNSt15iterator_traitsIS12_E10value_typeET2_T3_PNS13_IS18_E10value_typeET4_jRbjT5_S1E_jjP12ihipStream_tbEUljE_ZNSN_ISO_Lb0ESQ_SR_ST_SU_SY_EESZ_S10_S11_S12_S16_S17_S18_S1B_S1C_jS1D_jS1E_S1E_jjS1G_bEUljE0_EEESZ_S10_S11_S18_S1C_S1E_T6_T7_T9_mT8_S1G_bDpT10_ENKUlT_T0_E_clISt17integral_constantIbLb0EES1T_IbLb1EEEEDaS1P_S1Q_EUlS1P_E_NS1_11comp_targetILNS1_3genE0ELNS1_11target_archE4294967295ELNS1_3gpuE0ELNS1_3repE0EEENS1_30default_config_static_selectorELNS0_4arch9wavefront6targetE0EEEvS12_,@function
_ZN7rocprim17ROCPRIM_400000_NS6detail17trampoline_kernelINS0_13select_configILj256ELj13ELNS0_17block_load_methodE3ELS4_3ELS4_3ELNS0_20block_scan_algorithmE0ELj4294967295EEENS1_25partition_config_selectorILNS1_17partition_subalgoE4EjNS0_10empty_typeEbEEZZNS1_14partition_implILS8_4ELb0ES6_15HIP_vector_typeIjLj2EENS0_17counting_iteratorIjlEEPS9_SG_NS0_5tupleIJPjSI_NS0_16reverse_iteratorISI_EEEEENSH_IJSG_SG_SG_EEES9_SI_JZNS1_25segmented_radix_sort_implINS0_14default_configELb0EPKbPbPKlPlN2at6native12_GLOBAL__N_18offset_tEEE10hipError_tPvRmT1_PNSt15iterator_traitsIS12_E10value_typeET2_T3_PNS13_IS18_E10value_typeET4_jRbjT5_S1E_jjP12ihipStream_tbEUljE_ZNSN_ISO_Lb0ESQ_SR_ST_SU_SY_EESZ_S10_S11_S12_S16_S17_S18_S1B_S1C_jS1D_jS1E_S1E_jjS1G_bEUljE0_EEESZ_S10_S11_S18_S1C_S1E_T6_T7_T9_mT8_S1G_bDpT10_ENKUlT_T0_E_clISt17integral_constantIbLb0EES1T_IbLb1EEEEDaS1P_S1Q_EUlS1P_E_NS1_11comp_targetILNS1_3genE0ELNS1_11target_archE4294967295ELNS1_3gpuE0ELNS1_3repE0EEENS1_30default_config_static_selectorELNS0_4arch9wavefront6targetE0EEEvS12_: ; @_ZN7rocprim17ROCPRIM_400000_NS6detail17trampoline_kernelINS0_13select_configILj256ELj13ELNS0_17block_load_methodE3ELS4_3ELS4_3ELNS0_20block_scan_algorithmE0ELj4294967295EEENS1_25partition_config_selectorILNS1_17partition_subalgoE4EjNS0_10empty_typeEbEEZZNS1_14partition_implILS8_4ELb0ES6_15HIP_vector_typeIjLj2EENS0_17counting_iteratorIjlEEPS9_SG_NS0_5tupleIJPjSI_NS0_16reverse_iteratorISI_EEEEENSH_IJSG_SG_SG_EEES9_SI_JZNS1_25segmented_radix_sort_implINS0_14default_configELb0EPKbPbPKlPlN2at6native12_GLOBAL__N_18offset_tEEE10hipError_tPvRmT1_PNSt15iterator_traitsIS12_E10value_typeET2_T3_PNS13_IS18_E10value_typeET4_jRbjT5_S1E_jjP12ihipStream_tbEUljE_ZNSN_ISO_Lb0ESQ_SR_ST_SU_SY_EESZ_S10_S11_S12_S16_S17_S18_S1B_S1C_jS1D_jS1E_S1E_jjS1G_bEUljE0_EEESZ_S10_S11_S18_S1C_S1E_T6_T7_T9_mT8_S1G_bDpT10_ENKUlT_T0_E_clISt17integral_constantIbLb0EES1T_IbLb1EEEEDaS1P_S1Q_EUlS1P_E_NS1_11comp_targetILNS1_3genE0ELNS1_11target_archE4294967295ELNS1_3gpuE0ELNS1_3repE0EEENS1_30default_config_static_selectorELNS0_4arch9wavefront6targetE0EEEvS12_
; %bb.0:
	s_clause 0x7
	s_load_b64 s[34:35], s[0:1], 0x10
	s_load_b128 s[28:31], s[0:1], 0x28
	s_load_b64 s[14:15], s[0:1], 0x38
	s_load_b128 s[24:27], s[0:1], 0x58
	s_load_b64 s[4:5], s[0:1], 0x68
	s_load_b64 s[36:37], s[0:1], 0x78
	;; [unrolled: 1-line block ×3, first 2 shown]
	s_load_b256 s[16:23], s[0:1], 0x90
	v_cmp_eq_u32_e64 s2, 0, v0
	s_and_saveexec_b32 s3, s2
	s_cbranch_execz .LBB1586_4
; %bb.1:
	s_mov_b32 s7, exec_lo
	s_mov_b32 s6, exec_lo
	v_mbcnt_lo_u32_b32 v1, s7, 0
                                        ; implicit-def: $vgpr2
	s_delay_alu instid0(VALU_DEP_1)
	v_cmpx_eq_u32_e32 0, v1
	s_cbranch_execz .LBB1586_3
; %bb.2:
	s_load_b64 s[8:9], s[0:1], 0x88
	s_bcnt1_i32_b32 s7, s7
	s_delay_alu instid0(SALU_CYCLE_1)
	v_dual_mov_b32 v2, 0 :: v_dual_mov_b32 v3, s7
	s_wait_xcnt 0x0
	s_wait_kmcnt 0x0
	global_atomic_add_u32 v2, v2, v3, s[8:9] th:TH_ATOMIC_RETURN scope:SCOPE_DEV
.LBB1586_3:
	s_wait_xcnt 0x0
	s_or_b32 exec_lo, exec_lo, s6
	s_wait_loadcnt 0x0
	v_readfirstlane_b32 s6, v2
	s_delay_alu instid0(VALU_DEP_1)
	v_dual_mov_b32 v2, 0 :: v_dual_add_nc_u32 v1, s6, v1
	ds_store_b32 v2, v1
.LBB1586_4:
	s_or_b32 exec_lo, exec_lo, s3
	v_mov_b32_e32 v1, 0
	s_clause 0x1
	s_load_b32 s3, s[0:1], 0x8
	s_load_b32 s6, s[0:1], 0x80
	s_wait_dscnt 0x0
	s_barrier_signal -1
	s_barrier_wait -1
	ds_load_b32 v6, v1
	s_wait_dscnt 0x0
	s_barrier_signal -1
	s_barrier_wait -1
	s_wait_kmcnt 0x0
	global_load_b128 v[2:5], v1, s[26:27]
	s_mov_b32 s1, 0
	s_add_co_i32 s3, s3, s34
	s_mul_i32 s0, s6, 0xd00
	s_add_co_i32 s6, s6, -1
	s_add_nc_u64 s[8:9], s[34:35], s[0:1]
	s_delay_alu instid0(SALU_CYCLE_1)
	v_cmp_gt_u64_e64 s1, s[4:5], s[8:9]
	v_mul_lo_u32 v14, 0xd00, v6
	s_wait_xcnt 0x0
	v_readfirstlane_b32 s27, v6
	v_cmp_ne_u32_e32 vcc_lo, s6, v6
	s_cmp_eq_u32 s27, s6
	s_cselect_b32 s26, -1, 0
	s_or_b32 s1, s1, vcc_lo
	v_add3_u32 v1, v14, s3, v0
	s_and_b32 vcc_lo, exec_lo, s1
	s_mov_b32 s3, -1
	s_delay_alu instid0(VALU_DEP_1)
	v_add_nc_u32_e32 v6, 0x100, v1
	v_add_nc_u32_e32 v7, 0x200, v1
	;; [unrolled: 1-line block ×12, first 2 shown]
	s_cbranch_vccz .LBB1586_6
; %bb.5:
	v_lshlrev_b32_e32 v19, 2, v0
	s_mov_b32 s3, 0
	ds_store_2addr_stride64_b32 v19, v1, v6 offset1:4
	ds_store_2addr_stride64_b32 v19, v7, v8 offset0:8 offset1:12
	ds_store_2addr_stride64_b32 v19, v9, v10 offset0:16 offset1:20
	;; [unrolled: 1-line block ×5, first 2 shown]
	ds_store_b32 v19, v18 offset:12288
	s_wait_loadcnt_dscnt 0x0
	s_barrier_signal -1
	s_barrier_wait -1
.LBB1586_6:
	s_and_not1_b32 vcc_lo, exec_lo, s3
	s_add_co_i32 s0, s0, s34
	s_cbranch_vccnz .LBB1586_8
; %bb.7:
	v_lshlrev_b32_e32 v19, 2, v0
	ds_store_2addr_stride64_b32 v19, v1, v6 offset1:4
	ds_store_2addr_stride64_b32 v19, v7, v8 offset0:8 offset1:12
	ds_store_2addr_stride64_b32 v19, v9, v10 offset0:16 offset1:20
	;; [unrolled: 1-line block ×5, first 2 shown]
	ds_store_b32 v19, v18 offset:12288
	s_wait_loadcnt_dscnt 0x0
	s_barrier_signal -1
	s_barrier_wait -1
.LBB1586_8:
	v_mul_u32_u24_e32 v15, 13, v0
	s_wait_loadcnt 0x0
	v_cndmask_b32_e64 v35, 0, 1, s1
	s_sub_co_i32 s33, s4, s0
	s_and_not1_b32 vcc_lo, exec_lo, s1
	v_lshlrev_b32_e32 v1, 2, v15
	ds_load_b32 v34, v1 offset:48
	ds_load_2addr_b32 v[16:17], v1 offset0:10 offset1:11
	ds_load_2addr_b32 v[18:19], v1 offset0:8 offset1:9
	;; [unrolled: 1-line block ×4, first 2 shown]
	ds_load_2addr_b32 v[26:27], v1 offset1:1
	ds_load_2addr_b32 v[24:25], v1 offset0:2 offset1:3
	s_wait_dscnt 0x0
	s_barrier_signal -1
	s_barrier_wait -1
	s_cbranch_vccnz .LBB1586_36
; %bb.9:
	v_dual_add_nc_u32 v1, s17, v26 :: v_dual_add_nc_u32 v6, s19, v26
	s_mov_b32 s41, 0
	s_mov_b32 s40, 0
	s_mov_b32 s1, exec_lo
	s_delay_alu instid0(VALU_DEP_1) | instskip(SKIP_1) | instid1(VALU_DEP_1)
	v_mul_lo_u32 v1, v1, s16
	v_mul_lo_u32 v6, v6, s18
	v_sub_nc_u32_e32 v1, v1, v6
	s_delay_alu instid0(VALU_DEP_1)
	v_cmp_lt_u32_e32 vcc_lo, s20, v1
	v_cmpx_ge_u32_e64 s20, v1
	s_cbranch_execz .LBB1586_11
; %bb.10:
	v_dual_add_nc_u32 v1, s22, v26 :: v_dual_add_nc_u32 v6, s38, v26
	s_delay_alu instid0(VALU_DEP_1) | instskip(NEXT) | instid1(VALU_DEP_2)
	v_mul_lo_u32 v1, v1, s21
	v_mul_lo_u32 v6, v6, s23
	s_delay_alu instid0(VALU_DEP_1) | instskip(NEXT) | instid1(VALU_DEP_1)
	v_sub_nc_u32_e32 v1, v1, v6
	v_cmp_lt_u32_e64 s0, s39, v1
	s_and_b32 s40, s0, exec_lo
.LBB1586_11:
	s_or_b32 exec_lo, exec_lo, s1
	v_dual_add_nc_u32 v1, s17, v27 :: v_dual_add_nc_u32 v6, s19, v27
	s_mov_b32 s3, exec_lo
	s_delay_alu instid0(VALU_DEP_1) | instskip(NEXT) | instid1(VALU_DEP_2)
	v_mul_lo_u32 v1, v1, s16
	v_mul_lo_u32 v6, v6, s18
	s_delay_alu instid0(VALU_DEP_1) | instskip(NEXT) | instid1(VALU_DEP_1)
	v_sub_nc_u32_e32 v1, v1, v6
	v_cmp_lt_u32_e64 s0, s20, v1
	v_cmpx_ge_u32_e64 s20, v1
	s_cbranch_execz .LBB1586_13
; %bb.12:
	v_dual_add_nc_u32 v1, s22, v27 :: v_dual_add_nc_u32 v6, s38, v27
	s_delay_alu instid0(VALU_DEP_1) | instskip(NEXT) | instid1(VALU_DEP_2)
	v_mul_lo_u32 v1, v1, s21
	v_mul_lo_u32 v6, v6, s23
	s_delay_alu instid0(VALU_DEP_1) | instskip(NEXT) | instid1(VALU_DEP_1)
	v_sub_nc_u32_e32 v1, v1, v6
	v_cmp_lt_u32_e64 s1, s39, v1
	s_and_b32 s41, s1, exec_lo
.LBB1586_13:
	s_or_b32 exec_lo, exec_lo, s3
	v_dual_add_nc_u32 v1, s17, v24 :: v_dual_add_nc_u32 v6, s19, v24
	s_mov_b32 s43, 0
	s_mov_b32 s42, 0
	s_mov_b32 s4, exec_lo
	s_delay_alu instid0(VALU_DEP_1) | instskip(SKIP_1) | instid1(VALU_DEP_1)
	v_mul_lo_u32 v1, v1, s16
	v_mul_lo_u32 v6, v6, s18
	v_sub_nc_u32_e32 v1, v1, v6
	s_delay_alu instid0(VALU_DEP_1)
	v_cmp_lt_u32_e64 s1, s20, v1
	v_cmpx_ge_u32_e64 s20, v1
	s_cbranch_execz .LBB1586_15
; %bb.14:
	v_dual_add_nc_u32 v1, s22, v24 :: v_dual_add_nc_u32 v6, s38, v24
	s_delay_alu instid0(VALU_DEP_1) | instskip(NEXT) | instid1(VALU_DEP_2)
	v_mul_lo_u32 v1, v1, s21
	v_mul_lo_u32 v6, v6, s23
	s_delay_alu instid0(VALU_DEP_1) | instskip(NEXT) | instid1(VALU_DEP_1)
	v_sub_nc_u32_e32 v1, v1, v6
	v_cmp_lt_u32_e64 s3, s39, v1
	s_and_b32 s42, s3, exec_lo
.LBB1586_15:
	s_or_b32 exec_lo, exec_lo, s4
	v_dual_add_nc_u32 v1, s17, v25 :: v_dual_add_nc_u32 v6, s19, v25
	s_mov_b32 s5, exec_lo
	s_delay_alu instid0(VALU_DEP_1) | instskip(NEXT) | instid1(VALU_DEP_2)
	v_mul_lo_u32 v1, v1, s16
	v_mul_lo_u32 v6, v6, s18
	s_delay_alu instid0(VALU_DEP_1) | instskip(NEXT) | instid1(VALU_DEP_1)
	v_sub_nc_u32_e32 v1, v1, v6
	v_cmp_lt_u32_e64 s3, s20, v1
	v_cmpx_ge_u32_e64 s20, v1
	s_cbranch_execz .LBB1586_17
; %bb.16:
	v_dual_add_nc_u32 v1, s22, v25 :: v_dual_add_nc_u32 v6, s38, v25
	s_delay_alu instid0(VALU_DEP_1) | instskip(NEXT) | instid1(VALU_DEP_2)
	v_mul_lo_u32 v1, v1, s21
	v_mul_lo_u32 v6, v6, s23
	s_delay_alu instid0(VALU_DEP_1) | instskip(NEXT) | instid1(VALU_DEP_1)
	v_sub_nc_u32_e32 v1, v1, v6
	v_cmp_lt_u32_e64 s4, s39, v1
	s_and_b32 s43, s4, exec_lo
.LBB1586_17:
	s_or_b32 exec_lo, exec_lo, s5
	v_dual_add_nc_u32 v1, s17, v22 :: v_dual_add_nc_u32 v6, s19, v22
	s_mov_b32 s45, 0
	s_mov_b32 s44, 0
	s_mov_b32 s6, exec_lo
	s_delay_alu instid0(VALU_DEP_1) | instskip(SKIP_1) | instid1(VALU_DEP_1)
	v_mul_lo_u32 v1, v1, s16
	v_mul_lo_u32 v6, v6, s18
	v_sub_nc_u32_e32 v1, v1, v6
	s_delay_alu instid0(VALU_DEP_1)
	v_cmp_lt_u32_e64 s4, s20, v1
	;; [unrolled: 44-line block ×6, first 2 shown]
	v_cmpx_ge_u32_e64 s20, v1
	s_cbranch_execz .LBB1586_35
; %bb.34:
	v_dual_add_nc_u32 v1, s22, v34 :: v_dual_add_nc_u32 v6, s38, v34
	s_delay_alu instid0(VALU_DEP_1) | instskip(NEXT) | instid1(VALU_DEP_2)
	v_mul_lo_u32 v1, v1, s21
	v_mul_lo_u32 v6, v6, s23
	s_delay_alu instid0(VALU_DEP_1) | instskip(NEXT) | instid1(VALU_DEP_1)
	v_sub_nc_u32_e32 v1, v1, v6
	v_cmp_lt_u32_e64 s13, s39, v1
	s_and_b32 s53, s13, exec_lo
.LBB1586_35:
	s_or_b32 exec_lo, exec_lo, s54
	v_cndmask_b32_e64 v6, 0, 1, s0
	v_cndmask_b32_e64 v8, 0, 1, s3
	v_cndmask_b32_e64 v1, 0, 1, vcc_lo
	v_cndmask_b32_e64 v7, 0, 1, s1
	v_cndmask_b32_e64 v10, 0, 1, s5
	v_lshlrev_b16 v6, 8, v6
	v_lshlrev_b16 v8, 8, v8
	v_cndmask_b32_e64 v12, 0, 1, s7
	v_cndmask_b32_e64 v28, 0, 1, s9
	;; [unrolled: 1-line block ×3, first 2 shown]
	v_or_b32_e32 v1, v1, v6
	v_or_b32_e32 v6, v7, v8
	v_cndmask_b32_e64 v8, 0, 1, s42
	v_cndmask_b32_e64 v9, 0, 1, s4
	;; [unrolled: 1-line block ×4, first 2 shown]
	v_lshlrev_b32_e32 v6, 16, v6
	v_and_b32_e32 v1, 0xffff, v1
	v_cndmask_b32_e64 v38, 0, 1, s46
	v_cndmask_b32_e64 v41, 0, 1, s44
	;; [unrolled: 1-line block ×4, first 2 shown]
	v_or_b32_e32 v36, v1, v6
	v_lshlrev_b16 v1, 8, v10
	v_lshlrev_b16 v6, 8, v12
	v_lshlrev_b16 v10, 8, v28
	v_lshlrev_b16 v12, 8, v31
	v_lshlrev_b16 v8, 8, v8
	v_cndmask_b32_e64 v11, 0, 1, s6
	v_cndmask_b32_e64 v30, 0, 1, s52
	v_cndmask_b32_e64 v33, 0, 1, s49
	v_cndmask_b32_e64 v40, 0, 1, s45
	v_cndmask_b32_e64 v7, 0, 1, s43
	v_cndmask_b32_e64 v45, 0, 1, s11
	v_lshlrev_b16 v28, 8, v44
	v_or_b32_e32 v8, v42, v8
	v_or_b32_e32 v1, v9, v1
	;; [unrolled: 1-line block ×4, first 2 shown]
	v_lshlrev_b16 v12, 8, v41
	v_lshlrev_b16 v13, 8, v38
	v_cndmask_b32_e64 v32, 0, 1, s50
	v_cndmask_b32_e64 v37, 0, 1, s47
	v_lshlrev_b16 v29, 8, v30
	v_or_b32_e32 v7, v7, v12
	v_or_b32_e32 v12, v40, v13
	;; [unrolled: 1-line block ×4, first 2 shown]
	v_lshlrev_b16 v28, 8, v33
	v_dual_lshlrev_b32 v10, 16, v10 :: v_dual_lshlrev_b32 v8, 16, v8
	v_and_b32_e32 v1, 0xffff, v1
	s_delay_alu instid0(VALU_DEP_4) | instskip(NEXT) | instid1(VALU_DEP_4)
	v_and_b32_e32 v11, 0xffff, v11
	v_or_b32_e32 v13, v37, v28
	v_or_b32_e32 v28, v32, v29
	v_and_b32_e32 v7, 0xffff, v7
	v_dual_lshlrev_b32 v12, 16, v12 :: v_dual_lshlrev_b32 v6, 16, v6
	s_delay_alu instid0(VALU_DEP_4) | instskip(NEXT) | instid1(VALU_DEP_4)
	v_and_b32_e32 v13, 0xffff, v13
	v_lshlrev_b32_e32 v28, 16, v28
	v_and_b32_e32 v9, 0xffff, v9
	v_cndmask_b32_e64 v39, 0, 1, s51
	v_cndmask_b32_e64 v43, 0, 1, s53
	v_or_b32_e32 v38, v1, v6
	v_or_b32_e32 v42, v11, v8
	;; [unrolled: 1-line block ×5, first 2 shown]
	s_and_b32 vcc_lo, exec_lo, s48
	s_add_co_i32 s5, s33, 0xd00
	s_cbranch_vccnz .LBB1586_37
	s_branch .LBB1586_114
.LBB1586_36:
                                        ; implicit-def: $vgpr43
                                        ; implicit-def: $vgpr39
                                        ; implicit-def: $vgpr40
                                        ; implicit-def: $vgpr37
                                        ; implicit-def: $vgpr42
                                        ; implicit-def: $vgpr41
                                        ; implicit-def: $vgpr38
                                        ; implicit-def: $vgpr36
	s_add_co_i32 s5, s33, 0xd00
	s_cbranch_execz .LBB1586_114
.LBB1586_37:
	v_dual_mov_b32 v6, 0 :: v_dual_mov_b32 v1, 0
	s_mov_b32 s1, exec_lo
	v_cmpx_gt_u32_e64 s5, v15
	s_cbranch_execz .LBB1586_41
; %bb.38:
	v_dual_add_nc_u32 v1, s17, v26 :: v_dual_add_nc_u32 v6, s19, v26
	s_mov_b32 s4, 0
	s_mov_b32 s3, exec_lo
	s_delay_alu instid0(VALU_DEP_1) | instskip(NEXT) | instid1(VALU_DEP_2)
	v_mul_lo_u32 v1, v1, s16
	v_mul_lo_u32 v6, v6, s18
	s_delay_alu instid0(VALU_DEP_1) | instskip(NEXT) | instid1(VALU_DEP_1)
	v_sub_nc_u32_e32 v1, v1, v6
	v_cmp_lt_u32_e32 vcc_lo, s20, v1
	v_cmpx_ge_u32_e64 s20, v1
	s_cbranch_execz .LBB1586_40
; %bb.39:
	v_dual_add_nc_u32 v1, s22, v26 :: v_dual_add_nc_u32 v6, s38, v26
	s_delay_alu instid0(VALU_DEP_1) | instskip(NEXT) | instid1(VALU_DEP_2)
	v_mul_lo_u32 v1, v1, s21
	v_mul_lo_u32 v6, v6, s23
	s_delay_alu instid0(VALU_DEP_1) | instskip(NEXT) | instid1(VALU_DEP_1)
	v_sub_nc_u32_e32 v1, v1, v6
	v_cmp_lt_u32_e64 s0, s39, v1
	s_and_b32 s4, s0, exec_lo
.LBB1586_40:
	s_or_b32 exec_lo, exec_lo, s3
	v_cndmask_b32_e64 v6, 0, 1, s4
	v_cndmask_b32_e64 v1, 0, 1, vcc_lo
.LBB1586_41:
	s_or_b32 exec_lo, exec_lo, s1
	s_delay_alu instid0(VALU_DEP_2) | instskip(SKIP_1) | instid1(VALU_DEP_2)
	v_lshlrev_b16 v6, 8, v6
	v_lshlrev_b16 v13, 8, 0
                                        ; implicit-def: $vgpr9
                                        ; implicit-def: $vgpr11
                                        ; implicit-def: $vgpr8
                                        ; implicit-def: $vgpr12
	v_and_b32_e32 v10, 0xffff, v6
	v_add_nc_u32_e32 v7, 1, v15
                                        ; implicit-def: $vgpr6
	s_delay_alu instid0(VALU_DEP_2) | instskip(NEXT) | instid1(VALU_DEP_2)
	v_lshrrev_b32_e32 v28, 8, v10
	v_cmp_le_u32_e32 vcc_lo, s5, v7
                                        ; implicit-def: $vgpr7
	s_and_saveexec_b32 s0, vcc_lo
	s_delay_alu instid0(SALU_CYCLE_1)
	s_xor_b32 s0, exec_lo, s0
	s_cbranch_execz .LBB1586_43
; %bb.42:
	v_lshlrev_b16 v6, 8, v28
	v_bitop3_b16 v7, 0, v13, 0xff bitop3:0xec
	v_and_b32_e32 v12, 0xff, v1
                                        ; implicit-def: $vgpr1
                                        ; implicit-def: $vgpr13
                                        ; implicit-def: $vgpr28
	v_mov_b32_e32 v9, 0
	s_delay_alu instid0(VALU_DEP_4) | instskip(SKIP_3) | instid1(VALU_DEP_4)
	v_bitop3_b16 v10, v10, v6, 0xff bitop3:0xec
	v_mov_b32_e32 v6, 0
	v_and_b32_e32 v8, 0xffff, v7
	v_and_b32_e32 v7, 0xffff, v7
	;; [unrolled: 1-line block ×3, first 2 shown]
                                        ; implicit-def: $vgpr10
.LBB1586_43:
	s_and_not1_saveexec_b32 s1, s0
	s_cbranch_execz .LBB1586_47
; %bb.44:
	v_dual_add_nc_u32 v6, s17, v27 :: v_dual_add_nc_u32 v7, s19, v27
	s_mov_b32 s3, 0
	s_mov_b32 s4, exec_lo
	s_delay_alu instid0(VALU_DEP_1) | instskip(NEXT) | instid1(VALU_DEP_2)
	v_mul_lo_u32 v6, v6, s16
	v_mul_lo_u32 v7, v7, s18
	s_delay_alu instid0(VALU_DEP_1) | instskip(NEXT) | instid1(VALU_DEP_1)
	v_sub_nc_u32_e32 v6, v6, v7
	v_cmp_lt_u32_e32 vcc_lo, s20, v6
	v_cmpx_ge_u32_e64 s20, v6
	s_cbranch_execz .LBB1586_46
; %bb.45:
	v_dual_add_nc_u32 v6, s22, v27 :: v_dual_add_nc_u32 v7, s38, v27
	s_delay_alu instid0(VALU_DEP_1) | instskip(NEXT) | instid1(VALU_DEP_2)
	v_mul_lo_u32 v6, v6, s21
	v_mul_lo_u32 v7, v7, s23
	s_delay_alu instid0(VALU_DEP_1) | instskip(NEXT) | instid1(VALU_DEP_1)
	v_sub_nc_u32_e32 v6, v6, v7
	v_cmp_lt_u32_e64 s0, s39, v6
	s_and_b32 s3, s0, exec_lo
.LBB1586_46:
	s_or_b32 exec_lo, exec_lo, s4
	v_cndmask_b32_e64 v6, 0, 1, vcc_lo
	v_lshlrev_b16 v7, 8, v28
	v_cndmask_b32_e64 v11, 0, 1, s3
	v_mov_b32_e32 v9, 0
	s_delay_alu instid0(VALU_DEP_4) | instskip(NEXT) | instid1(VALU_DEP_4)
	v_lshlrev_b16 v6, 8, v6
	v_bitop3_b16 v7, v10, v7, 0xff bitop3:0xec
	v_bitop3_b16 v10, 0, v13, 0xff bitop3:0xec
	s_delay_alu instid0(VALU_DEP_3) | instskip(NEXT) | instid1(VALU_DEP_3)
	v_bitop3_b16 v1, v1, v6, 0xff bitop3:0xec
	v_and_b32_e32 v7, 0xffff, v7
	v_mov_b32_e32 v6, 0
	s_delay_alu instid0(VALU_DEP_4) | instskip(NEXT) | instid1(VALU_DEP_4)
	v_and_b32_e32 v8, 0xffff, v10
	v_and_b32_e32 v12, 0xffff, v1
	s_delay_alu instid0(VALU_DEP_4)
	v_lshl_or_b32 v11, v11, 16, v7
	v_and_b32_e32 v7, 0xffff, v10
.LBB1586_47:
	s_or_b32 exec_lo, exec_lo, s1
	s_delay_alu instid0(VALU_DEP_3) | instskip(NEXT) | instid1(VALU_DEP_1)
	v_dual_add_nc_u32 v1, 2, v15 :: v_dual_lshrrev_b32 v13, 8, v12
                                        ; implicit-def: $vgpr10
	v_cmp_le_u32_e32 vcc_lo, s5, v1
                                        ; implicit-def: $vgpr1
	s_and_saveexec_b32 s0, vcc_lo
	s_delay_alu instid0(SALU_CYCLE_1)
	s_xor_b32 s0, exec_lo, s0
	s_cbranch_execz .LBB1586_49
; %bb.48:
	v_lshlrev_b16 v1, 8, v13
	v_and_b32_e32 v13, 0xff0000, v11
	v_perm_b32 v8, v8, v8, 0x3060504
	s_delay_alu instid0(VALU_DEP_3) | instskip(NEXT) | instid1(VALU_DEP_1)
	v_bitop3_b16 v1, v12, v1, 0xff bitop3:0xec
	v_and_b32_e32 v1, 0xffff, v1
	s_delay_alu instid0(VALU_DEP_1)
	v_and_or_b32 v10, 0xff000000, v12, v1
	v_perm_b32 v1, v11, v13, 0x3020504
                                        ; implicit-def: $vgpr13
                                        ; implicit-def: $vgpr12
                                        ; implicit-def: $vgpr11
.LBB1586_49:
	s_and_not1_saveexec_b32 s1, s0
	s_cbranch_execz .LBB1586_53
; %bb.50:
	v_dual_add_nc_u32 v1, s17, v24 :: v_dual_add_nc_u32 v10, s19, v24
	s_mov_b32 s3, 0
	s_mov_b32 s4, exec_lo
	s_delay_alu instid0(VALU_DEP_1) | instskip(NEXT) | instid1(VALU_DEP_2)
	v_mul_lo_u32 v1, v1, s16
	v_mul_lo_u32 v10, v10, s18
	s_delay_alu instid0(VALU_DEP_1) | instskip(NEXT) | instid1(VALU_DEP_1)
	v_sub_nc_u32_e32 v1, v1, v10
	v_cmp_lt_u32_e32 vcc_lo, s20, v1
	v_cmpx_ge_u32_e64 s20, v1
	s_cbranch_execz .LBB1586_52
; %bb.51:
	v_dual_add_nc_u32 v1, s22, v24 :: v_dual_add_nc_u32 v10, s38, v24
	s_delay_alu instid0(VALU_DEP_1) | instskip(NEXT) | instid1(VALU_DEP_2)
	v_mul_lo_u32 v1, v1, s21
	v_mul_lo_u32 v10, v10, s23
	s_delay_alu instid0(VALU_DEP_1) | instskip(NEXT) | instid1(VALU_DEP_1)
	v_sub_nc_u32_e32 v1, v1, v10
	v_cmp_lt_u32_e64 s0, s39, v1
	s_and_b32 s3, s0, exec_lo
.LBB1586_52:
	s_or_b32 exec_lo, exec_lo, s4
	v_dual_lshrrev_b32 v1, 24, v12 :: v_dual_lshrrev_b32 v29, 8, v11
	v_cndmask_b32_e64 v10, 0, 1, s3
	v_cndmask_b32_e64 v28, 0, 1, vcc_lo
	v_lshlrev_b16 v13, 8, v13
	s_delay_alu instid0(VALU_DEP_4)
	v_lshlrev_b16 v1, 8, v1
	v_lshrrev_b32_e32 v30, 16, v11
	v_lshlrev_b16 v10, 8, v10
	v_lshlrev_b16 v29, 8, v29
	v_bitop3_b16 v12, v12, v13, 0xff bitop3:0xec
	v_or_b32_e32 v1, v28, v1
	s_delay_alu instid0(VALU_DEP_4) | instskip(NEXT) | instid1(VALU_DEP_4)
	v_bitop3_b16 v10, v30, v10, 0xff bitop3:0xec
	v_bitop3_b16 v11, v11, v29, 0xff bitop3:0xec
	s_delay_alu instid0(VALU_DEP_4) | instskip(NEXT) | instid1(VALU_DEP_3)
	v_and_b32_e32 v12, 0xffff, v12
	v_dual_lshlrev_b32 v1, 16, v1 :: v_dual_lshlrev_b32 v13, 16, v10
	s_delay_alu instid0(VALU_DEP_3) | instskip(NEXT) | instid1(VALU_DEP_2)
	v_and_b32_e32 v11, 0xffff, v11
	v_or_b32_e32 v10, v12, v1
	s_delay_alu instid0(VALU_DEP_2)
	v_or_b32_e32 v1, v11, v13
.LBB1586_53:
	s_or_b32 exec_lo, exec_lo, s1
	v_dual_add_nc_u32 v12, 3, v15 :: v_dual_lshrrev_b32 v13, 24, v9
	v_lshrrev_b32_e32 v11, 16, v9
                                        ; implicit-def: $vgpr36
	s_delay_alu instid0(VALU_DEP_2) | instskip(SKIP_2) | instid1(SALU_CYCLE_1)
	v_cmp_le_u32_e32 vcc_lo, s5, v12
	v_lshrrev_b32_e32 v12, 8, v9
                                        ; implicit-def: $vgpr9
	s_and_saveexec_b32 s0, vcc_lo
	s_xor_b32 s0, exec_lo, s0
	s_cbranch_execz .LBB1586_55
; %bb.54:
	v_lshlrev_b16 v9, 8, v13
	v_lshlrev_b16 v12, 8, v12
	v_perm_b32 v8, v8, v8, 0x3060504
	v_perm_b32 v7, v7, v7, 0x3060504
                                        ; implicit-def: $vgpr13
	s_delay_alu instid0(VALU_DEP_4) | instskip(SKIP_2) | instid1(VALU_DEP_3)
	v_bitop3_b16 v9, v11, v9, 0xff bitop3:0xec
	v_and_b32_e32 v11, 0xff0000, v10
	v_and_b32_e32 v12, 0xffff, v12
	v_lshlrev_b32_e32 v9, 16, v9
	s_delay_alu instid0(VALU_DEP_3) | instskip(NEXT) | instid1(VALU_DEP_2)
	v_perm_b32 v36, v10, v11, 0x3020504
                                        ; implicit-def: $vgpr10
                                        ; implicit-def: $vgpr11
	v_or_b32_e32 v9, v12, v9
                                        ; implicit-def: $vgpr12
.LBB1586_55:
	s_and_not1_saveexec_b32 s1, s0
	s_cbranch_execz .LBB1586_59
; %bb.56:
	v_dual_add_nc_u32 v9, s17, v25 :: v_dual_add_nc_u32 v28, s19, v25
	s_mov_b32 s3, 0
	s_mov_b32 s4, exec_lo
	s_delay_alu instid0(VALU_DEP_1) | instskip(NEXT) | instid1(VALU_DEP_2)
	v_mul_lo_u32 v9, v9, s16
	v_mul_lo_u32 v28, v28, s18
	s_delay_alu instid0(VALU_DEP_1) | instskip(NEXT) | instid1(VALU_DEP_1)
	v_sub_nc_u32_e32 v9, v9, v28
	v_cmp_lt_u32_e32 vcc_lo, s20, v9
	v_cmpx_ge_u32_e64 s20, v9
	s_cbranch_execz .LBB1586_58
; %bb.57:
	v_dual_add_nc_u32 v9, s22, v25 :: v_dual_add_nc_u32 v28, s38, v25
	s_delay_alu instid0(VALU_DEP_1) | instskip(NEXT) | instid1(VALU_DEP_2)
	v_mul_lo_u32 v9, v9, s21
	v_mul_lo_u32 v28, v28, s23
	s_delay_alu instid0(VALU_DEP_1) | instskip(NEXT) | instid1(VALU_DEP_1)
	v_sub_nc_u32_e32 v9, v9, v28
	v_cmp_lt_u32_e64 s0, s39, v9
	s_and_b32 s3, s0, exec_lo
.LBB1586_58:
	s_or_b32 exec_lo, exec_lo, s4
	v_cndmask_b32_e64 v9, 0, 1, vcc_lo
	v_dual_lshrrev_b32 v28, 8, v10 :: v_dual_lshrrev_b32 v30, 16, v10
	v_cndmask_b32_e64 v29, 0, 1, s3
	v_lshlrev_b16 v13, 8, v13
	s_delay_alu instid0(VALU_DEP_4) | instskip(NEXT) | instid1(VALU_DEP_4)
	v_lshlrev_b16 v9, 8, v9
	v_lshlrev_b16 v28, 8, v28
	;; [unrolled: 1-line block ×3, first 2 shown]
	s_delay_alu instid0(VALU_DEP_4) | instskip(NEXT) | instid1(VALU_DEP_4)
	v_bitop3_b16 v11, v11, v13, 0xff bitop3:0xec
	v_bitop3_b16 v9, v30, v9, 0xff bitop3:0xec
	s_delay_alu instid0(VALU_DEP_4) | instskip(NEXT) | instid1(VALU_DEP_3)
	v_bitop3_b16 v10, v10, v28, 0xff bitop3:0xec
	v_dual_lshlrev_b32 v11, 16, v11 :: v_dual_bitop2_b32 v12, v29, v12 bitop3:0x54
	s_delay_alu instid0(VALU_DEP_3) | instskip(NEXT) | instid1(VALU_DEP_3)
	v_lshlrev_b32_e32 v9, 16, v9
	v_and_b32_e32 v10, 0xffff, v10
	s_delay_alu instid0(VALU_DEP_3) | instskip(NEXT) | instid1(VALU_DEP_2)
	v_and_b32_e32 v12, 0xffff, v12
	v_or_b32_e32 v36, v10, v9
	s_delay_alu instid0(VALU_DEP_2)
	v_or_b32_e32 v9, v12, v11
.LBB1586_59:
	s_or_b32 exec_lo, exec_lo, s1
	v_dual_add_nc_u32 v10, 4, v15 :: v_dual_lshrrev_b32 v28, 8, v8
	v_dual_lshrrev_b32 v11, 16, v8 :: v_dual_lshrrev_b32 v29, 24, v8
	s_delay_alu instid0(VALU_DEP_3) | instskip(NEXT) | instid1(VALU_DEP_3)
	v_dual_lshrrev_b32 v13, 24, v9 :: v_dual_lshrrev_b32 v12, 16, v9
	v_cmp_le_u32_e32 vcc_lo, s5, v10
                                        ; implicit-def: $vgpr8
                                        ; implicit-def: $vgpr10
	s_and_saveexec_b32 s0, vcc_lo
	s_delay_alu instid0(SALU_CYCLE_1)
	s_xor_b32 s0, exec_lo, s0
	s_cbranch_execz .LBB1586_61
; %bb.60:
	v_lshlrev_b16 v8, 8, v29
	v_lshlrev_b16 v10, 8, v28
	;; [unrolled: 1-line block ×3, first 2 shown]
	v_perm_b32 v7, v7, v7, 0x3060504
                                        ; implicit-def: $vgpr28
                                        ; implicit-def: $vgpr29
	s_delay_alu instid0(VALU_DEP_4) | instskip(NEXT) | instid1(VALU_DEP_4)
	v_bitop3_b16 v8, v11, v8, 0xff bitop3:0xec
	v_and_b32_e32 v10, 0xffff, v10
	s_delay_alu instid0(VALU_DEP_4) | instskip(NEXT) | instid1(VALU_DEP_3)
	v_bitop3_b16 v11, v12, v13, 0xff bitop3:0xec
                                        ; implicit-def: $vgpr13
	v_lshlrev_b32_e32 v12, 16, v8
	s_delay_alu instid0(VALU_DEP_2) | instskip(NEXT) | instid1(VALU_DEP_2)
	v_perm_b32 v8, v11, v9, 0x5040c00
                                        ; implicit-def: $vgpr9
                                        ; implicit-def: $vgpr11
	v_or_b32_e32 v10, v10, v12
                                        ; implicit-def: $vgpr12
.LBB1586_61:
	s_and_not1_saveexec_b32 s1, s0
	s_cbranch_execz .LBB1586_65
; %bb.62:
	v_dual_add_nc_u32 v8, s17, v22 :: v_dual_add_nc_u32 v10, s19, v22
	s_mov_b32 s3, 0
	s_mov_b32 s4, exec_lo
	s_delay_alu instid0(VALU_DEP_1) | instskip(NEXT) | instid1(VALU_DEP_2)
	v_mul_lo_u32 v8, v8, s16
	v_mul_lo_u32 v10, v10, s18
	s_delay_alu instid0(VALU_DEP_1) | instskip(NEXT) | instid1(VALU_DEP_1)
	v_sub_nc_u32_e32 v8, v8, v10
	v_cmp_lt_u32_e32 vcc_lo, s20, v8
	v_cmpx_ge_u32_e64 s20, v8
	s_cbranch_execz .LBB1586_64
; %bb.63:
	v_dual_add_nc_u32 v8, s22, v22 :: v_dual_add_nc_u32 v10, s38, v22
	s_delay_alu instid0(VALU_DEP_1) | instskip(NEXT) | instid1(VALU_DEP_2)
	v_mul_lo_u32 v8, v8, s21
	v_mul_lo_u32 v10, v10, s23
	s_delay_alu instid0(VALU_DEP_1) | instskip(NEXT) | instid1(VALU_DEP_1)
	v_sub_nc_u32_e32 v8, v8, v10
	v_cmp_lt_u32_e64 s0, s39, v8
	s_and_b32 s3, s0, exec_lo
.LBB1586_64:
	s_or_b32 exec_lo, exec_lo, s4
	v_cndmask_b32_e64 v8, 0, 1, s3
	v_cndmask_b32_e64 v10, 0, 1, vcc_lo
	v_lshlrev_b16 v29, 8, v29
	v_lshlrev_b16 v28, 8, v28
	;; [unrolled: 1-line block ×4, first 2 shown]
	s_delay_alu instid0(VALU_DEP_4) | instskip(NEXT) | instid1(VALU_DEP_4)
	v_bitop3_b16 v11, v11, v29, 0xff bitop3:0xec
	v_or_b32_e32 v10, v10, v28
	s_delay_alu instid0(VALU_DEP_4) | instskip(NEXT) | instid1(VALU_DEP_4)
	v_bitop3_b16 v12, v12, v13, 0xff bitop3:0xec
	v_bitop3_b16 v8, v9, v8, 0xff bitop3:0xec
	s_delay_alu instid0(VALU_DEP_4) | instskip(NEXT) | instid1(VALU_DEP_4)
	v_lshlrev_b32_e32 v9, 16, v11
	v_and_b32_e32 v10, 0xffff, v10
	s_delay_alu instid0(VALU_DEP_4) | instskip(NEXT) | instid1(VALU_DEP_4)
	v_lshlrev_b32_e32 v11, 16, v12
	v_and_b32_e32 v8, 0xffff, v8
	s_delay_alu instid0(VALU_DEP_3) | instskip(NEXT) | instid1(VALU_DEP_2)
	v_or_b32_e32 v10, v10, v9
	v_or_b32_e32 v8, v8, v11
.LBB1586_65:
	s_or_b32 exec_lo, exec_lo, s1
	s_delay_alu instid0(VALU_DEP_1) | instskip(NEXT) | instid1(VALU_DEP_2)
	v_dual_add_nc_u32 v9, 5, v15 :: v_dual_lshrrev_b32 v12, 16, v10
	v_dual_lshrrev_b32 v13, 24, v10 :: v_dual_lshrrev_b32 v28, 8, v8
                                        ; implicit-def: $vgpr11
	s_delay_alu instid0(VALU_DEP_2) | instskip(SKIP_1) | instid1(SALU_CYCLE_1)
	v_cmp_le_u32_e32 vcc_lo, s5, v9
                                        ; implicit-def: $vgpr9
	s_and_saveexec_b32 s0, vcc_lo
	s_xor_b32 s0, exec_lo, s0
	s_cbranch_execz .LBB1586_67
; %bb.66:
	v_lshlrev_b16 v9, 8, v28
	v_lshlrev_b16 v11, 8, v13
	v_perm_b32 v7, v7, v7, 0x3060504
                                        ; implicit-def: $vgpr13
                                        ; implicit-def: $vgpr28
	s_delay_alu instid0(VALU_DEP_3) | instskip(NEXT) | instid1(VALU_DEP_3)
	v_bitop3_b16 v9, v8, v9, 0xff bitop3:0xec
	v_bitop3_b16 v11, v12, v11, 0xff bitop3:0xec
                                        ; implicit-def: $vgpr12
	s_delay_alu instid0(VALU_DEP_2) | instskip(NEXT) | instid1(VALU_DEP_2)
	v_and_b32_e32 v9, 0xffff, v9
	v_perm_b32 v11, v11, v10, 0x5040c00
                                        ; implicit-def: $vgpr10
	s_delay_alu instid0(VALU_DEP_2)
	v_and_or_b32 v9, 0xff000000, v8, v9
                                        ; implicit-def: $vgpr8
.LBB1586_67:
	s_and_not1_saveexec_b32 s1, s0
	s_cbranch_execz .LBB1586_71
; %bb.68:
	v_dual_add_nc_u32 v9, s17, v23 :: v_dual_add_nc_u32 v11, s19, v23
	s_mov_b32 s3, 0
	s_mov_b32 s4, exec_lo
	s_delay_alu instid0(VALU_DEP_1) | instskip(NEXT) | instid1(VALU_DEP_2)
	v_mul_lo_u32 v9, v9, s16
	v_mul_lo_u32 v11, v11, s18
	s_delay_alu instid0(VALU_DEP_1) | instskip(NEXT) | instid1(VALU_DEP_1)
	v_sub_nc_u32_e32 v9, v9, v11
	v_cmp_lt_u32_e32 vcc_lo, s20, v9
	v_cmpx_ge_u32_e64 s20, v9
	s_cbranch_execz .LBB1586_70
; %bb.69:
	v_dual_add_nc_u32 v9, s22, v23 :: v_dual_add_nc_u32 v11, s38, v23
	s_delay_alu instid0(VALU_DEP_1) | instskip(NEXT) | instid1(VALU_DEP_2)
	v_mul_lo_u32 v9, v9, s21
	v_mul_lo_u32 v11, v11, s23
	s_delay_alu instid0(VALU_DEP_1) | instskip(NEXT) | instid1(VALU_DEP_1)
	v_sub_nc_u32_e32 v9, v9, v11
	v_cmp_lt_u32_e64 s0, s39, v9
	s_and_b32 s3, s0, exec_lo
.LBB1586_70:
	s_or_b32 exec_lo, exec_lo, s4
	v_cndmask_b32_e64 v9, 0, 1, vcc_lo
	v_lshrrev_b32_e32 v11, 24, v8
	v_cndmask_b32_e64 v29, 0, 1, s3
	v_lshlrev_b16 v13, 8, v13
	v_lshlrev_b16 v28, 8, v28
	v_lshlrev_b16 v9, 8, v9
	v_lshlrev_b16 v11, 8, v11
	s_delay_alu instid0(VALU_DEP_4) | instskip(NEXT) | instid1(VALU_DEP_4)
	v_bitop3_b16 v12, v12, v13, 0xff bitop3:0xec
	v_bitop3_b16 v8, v8, v28, 0xff bitop3:0xec
	s_delay_alu instid0(VALU_DEP_4) | instskip(NEXT) | instid1(VALU_DEP_3)
	v_bitop3_b16 v9, v10, v9, 0xff bitop3:0xec
	v_dual_lshlrev_b32 v11, 16, v12 :: v_dual_bitop2_b32 v10, v29, v11 bitop3:0x54
	s_delay_alu instid0(VALU_DEP_3) | instskip(NEXT) | instid1(VALU_DEP_3)
	v_and_b32_e32 v8, 0xffff, v8
	v_and_b32_e32 v9, 0xffff, v9
	s_delay_alu instid0(VALU_DEP_1) | instskip(NEXT) | instid1(VALU_DEP_1)
	v_dual_lshlrev_b32 v10, 16, v10 :: v_dual_bitop2_b32 v11, v9, v11 bitop3:0x54
	v_or_b32_e32 v9, v8, v10
.LBB1586_71:
	s_or_b32 exec_lo, exec_lo, s1
	v_add_nc_u32_e32 v8, 6, v15
	s_delay_alu instid0(VALU_DEP_3) | instskip(NEXT) | instid1(VALU_DEP_2)
	v_lshrrev_b32_e32 v10, 8, v11
                                        ; implicit-def: $vgpr37
	v_cmp_le_u32_e32 vcc_lo, s5, v8
                                        ; implicit-def: $vgpr8
	s_and_saveexec_b32 s0, vcc_lo
	s_delay_alu instid0(SALU_CYCLE_1)
	s_xor_b32 s0, exec_lo, s0
	s_cbranch_execz .LBB1586_73
; %bb.72:
	v_lshlrev_b16 v8, 8, v10
	v_and_b32_e32 v10, 0xff0000, v9
	v_perm_b32 v7, v7, v7, 0x3060504
	s_delay_alu instid0(VALU_DEP_3) | instskip(NEXT) | instid1(VALU_DEP_3)
	v_bitop3_b16 v8, v11, v8, 0xff bitop3:0xec
	v_perm_b32 v37, v9, v10, 0x3020504
                                        ; implicit-def: $vgpr10
                                        ; implicit-def: $vgpr9
	s_delay_alu instid0(VALU_DEP_2) | instskip(NEXT) | instid1(VALU_DEP_1)
	v_and_b32_e32 v8, 0xffff, v8
	v_and_or_b32 v8, 0xff000000, v11, v8
                                        ; implicit-def: $vgpr11
.LBB1586_73:
	s_and_not1_saveexec_b32 s1, s0
	s_cbranch_execz .LBB1586_77
; %bb.74:
	v_dual_add_nc_u32 v8, s17, v20 :: v_dual_add_nc_u32 v12, s19, v20
	s_mov_b32 s3, 0
	s_mov_b32 s4, exec_lo
	s_delay_alu instid0(VALU_DEP_1) | instskip(NEXT) | instid1(VALU_DEP_2)
	v_mul_lo_u32 v8, v8, s16
	v_mul_lo_u32 v12, v12, s18
	s_delay_alu instid0(VALU_DEP_1) | instskip(NEXT) | instid1(VALU_DEP_1)
	v_sub_nc_u32_e32 v8, v8, v12
	v_cmp_lt_u32_e32 vcc_lo, s20, v8
	v_cmpx_ge_u32_e64 s20, v8
	s_cbranch_execz .LBB1586_76
; %bb.75:
	v_dual_add_nc_u32 v8, s22, v20 :: v_dual_add_nc_u32 v12, s38, v20
	s_delay_alu instid0(VALU_DEP_1) | instskip(NEXT) | instid1(VALU_DEP_2)
	v_mul_lo_u32 v8, v8, s21
	v_mul_lo_u32 v12, v12, s23
	s_delay_alu instid0(VALU_DEP_1) | instskip(NEXT) | instid1(VALU_DEP_1)
	v_sub_nc_u32_e32 v8, v8, v12
	v_cmp_lt_u32_e64 s0, s39, v8
	s_and_b32 s3, s0, exec_lo
.LBB1586_76:
	s_or_b32 exec_lo, exec_lo, s4
	v_dual_lshrrev_b32 v8, 24, v11 :: v_dual_lshrrev_b32 v28, 8, v9
	v_cndmask_b32_e64 v12, 0, 1, s3
	v_cndmask_b32_e64 v13, 0, 1, vcc_lo
	v_lshlrev_b16 v10, 8, v10
	s_delay_alu instid0(VALU_DEP_4)
	v_lshlrev_b16 v8, 8, v8
	v_lshrrev_b32_e32 v29, 16, v9
	v_lshlrev_b16 v12, 8, v12
	v_lshlrev_b16 v28, 8, v28
	v_bitop3_b16 v10, v11, v10, 0xff bitop3:0xec
	v_or_b32_e32 v8, v13, v8
	s_delay_alu instid0(VALU_DEP_4) | instskip(NEXT) | instid1(VALU_DEP_4)
	v_bitop3_b16 v11, v29, v12, 0xff bitop3:0xec
	v_bitop3_b16 v9, v9, v28, 0xff bitop3:0xec
	s_delay_alu instid0(VALU_DEP_4) | instskip(NEXT) | instid1(VALU_DEP_3)
	v_and_b32_e32 v10, 0xffff, v10
	v_dual_lshlrev_b32 v8, 16, v8 :: v_dual_lshlrev_b32 v11, 16, v11
	s_delay_alu instid0(VALU_DEP_3) | instskip(NEXT) | instid1(VALU_DEP_2)
	v_and_b32_e32 v9, 0xffff, v9
	v_or_b32_e32 v8, v10, v8
	s_delay_alu instid0(VALU_DEP_2)
	v_or_b32_e32 v37, v9, v11
.LBB1586_77:
	s_or_b32 exec_lo, exec_lo, s1
	v_add_nc_u32_e32 v11, 7, v15
	v_dual_lshrrev_b32 v9, 8, v7 :: v_dual_lshrrev_b32 v10, 16, v7
                                        ; implicit-def: $vgpr38
	s_delay_alu instid0(VALU_DEP_2) | instskip(SKIP_2) | instid1(SALU_CYCLE_1)
	v_cmp_le_u32_e32 vcc_lo, s5, v11
	v_lshrrev_b32_e32 v11, 24, v7
                                        ; implicit-def: $vgpr7
	s_and_saveexec_b32 s0, vcc_lo
	s_xor_b32 s0, exec_lo, s0
	s_cbranch_execz .LBB1586_79
; %bb.78:
	s_delay_alu instid0(VALU_DEP_1) | instskip(SKIP_1) | instid1(VALU_DEP_2)
	v_lshlrev_b16 v7, 8, v11
	v_lshlrev_b16 v9, 8, v9
                                        ; implicit-def: $vgpr11
	v_bitop3_b16 v7, v10, v7, 0xff bitop3:0xec
	v_and_b32_e32 v10, 0xff0000, v8
	s_delay_alu instid0(VALU_DEP_3) | instskip(NEXT) | instid1(VALU_DEP_3)
	v_and_b32_e32 v9, 0xffff, v9
	v_lshlrev_b32_e32 v7, 16, v7
	s_delay_alu instid0(VALU_DEP_3) | instskip(NEXT) | instid1(VALU_DEP_2)
	v_perm_b32 v38, v8, v10, 0x3020504
                                        ; implicit-def: $vgpr8
                                        ; implicit-def: $vgpr10
	v_or_b32_e32 v7, v9, v7
                                        ; implicit-def: $vgpr9
.LBB1586_79:
	s_and_not1_saveexec_b32 s1, s0
	s_cbranch_execz .LBB1586_83
; %bb.80:
	v_dual_add_nc_u32 v7, s17, v21 :: v_dual_add_nc_u32 v12, s19, v21
	s_mov_b32 s3, 0
	s_mov_b32 s4, exec_lo
	s_delay_alu instid0(VALU_DEP_1) | instskip(NEXT) | instid1(VALU_DEP_2)
	v_mul_lo_u32 v7, v7, s16
	v_mul_lo_u32 v12, v12, s18
	s_delay_alu instid0(VALU_DEP_1) | instskip(NEXT) | instid1(VALU_DEP_1)
	v_sub_nc_u32_e32 v7, v7, v12
	v_cmp_lt_u32_e32 vcc_lo, s20, v7
	v_cmpx_ge_u32_e64 s20, v7
	s_cbranch_execz .LBB1586_82
; %bb.81:
	v_dual_add_nc_u32 v7, s22, v21 :: v_dual_add_nc_u32 v12, s38, v21
	s_delay_alu instid0(VALU_DEP_1) | instskip(NEXT) | instid1(VALU_DEP_2)
	v_mul_lo_u32 v7, v7, s21
	v_mul_lo_u32 v12, v12, s23
	s_delay_alu instid0(VALU_DEP_1) | instskip(NEXT) | instid1(VALU_DEP_1)
	v_sub_nc_u32_e32 v7, v7, v12
	v_cmp_lt_u32_e64 s0, s39, v7
	s_and_b32 s3, s0, exec_lo
.LBB1586_82:
	s_or_b32 exec_lo, exec_lo, s4
	v_cndmask_b32_e64 v7, 0, 1, vcc_lo
	v_dual_lshrrev_b32 v12, 8, v8 :: v_dual_lshrrev_b32 v28, 16, v8
	v_cndmask_b32_e64 v13, 0, 1, s3
	v_lshlrev_b16 v11, 8, v11
	s_delay_alu instid0(VALU_DEP_4) | instskip(NEXT) | instid1(VALU_DEP_4)
	v_lshlrev_b16 v7, 8, v7
	v_lshlrev_b16 v12, 8, v12
	;; [unrolled: 1-line block ×3, first 2 shown]
	s_delay_alu instid0(VALU_DEP_4) | instskip(NEXT) | instid1(VALU_DEP_4)
	v_bitop3_b16 v10, v10, v11, 0xff bitop3:0xec
	v_bitop3_b16 v7, v28, v7, 0xff bitop3:0xec
	s_delay_alu instid0(VALU_DEP_4) | instskip(NEXT) | instid1(VALU_DEP_3)
	v_bitop3_b16 v8, v8, v12, 0xff bitop3:0xec
	v_dual_lshlrev_b32 v10, 16, v10 :: v_dual_bitop2_b32 v9, v13, v9 bitop3:0x54
	s_delay_alu instid0(VALU_DEP_3) | instskip(NEXT) | instid1(VALU_DEP_3)
	v_lshlrev_b32_e32 v7, 16, v7
	v_and_b32_e32 v8, 0xffff, v8
	s_delay_alu instid0(VALU_DEP_3) | instskip(NEXT) | instid1(VALU_DEP_2)
	v_and_b32_e32 v9, 0xffff, v9
	v_or_b32_e32 v38, v8, v7
	s_delay_alu instid0(VALU_DEP_2)
	v_or_b32_e32 v7, v9, v10
.LBB1586_83:
	s_or_b32 exec_lo, exec_lo, s1
	v_dual_add_nc_u32 v8, 8, v15 :: v_dual_lshrrev_b32 v13, 24, v6
	s_delay_alu instid0(VALU_DEP_2) | instskip(SKIP_1) | instid1(VALU_DEP_3)
	v_dual_lshrrev_b32 v9, 16, v7 :: v_dual_lshrrev_b32 v10, 24, v7
	v_dual_lshrrev_b32 v11, 16, v6 :: v_dual_lshrrev_b32 v12, 8, v6
	v_cmp_le_u32_e32 vcc_lo, s5, v8
                                        ; implicit-def: $vgpr6
                                        ; implicit-def: $vgpr8
	s_and_saveexec_b32 s0, vcc_lo
	s_delay_alu instid0(SALU_CYCLE_1)
	s_xor_b32 s0, exec_lo, s0
	s_cbranch_execz .LBB1586_85
; %bb.84:
	v_lshlrev_b16 v6, 8, v13
	v_lshlrev_b16 v8, 8, v12
	;; [unrolled: 1-line block ×3, first 2 shown]
	v_perm_b32 v1, v1, v1, 0x3060504
                                        ; implicit-def: $vgpr13
                                        ; implicit-def: $vgpr12
	s_delay_alu instid0(VALU_DEP_4) | instskip(NEXT) | instid1(VALU_DEP_4)
	v_bitop3_b16 v6, v11, v6, 0xff bitop3:0xec
	v_and_b32_e32 v8, 0xffff, v8
	s_delay_alu instid0(VALU_DEP_4) | instskip(NEXT) | instid1(VALU_DEP_3)
	v_bitop3_b16 v9, v9, v10, 0xff bitop3:0xec
                                        ; implicit-def: $vgpr10
                                        ; implicit-def: $vgpr11
	v_lshlrev_b32_e32 v6, 16, v6
	s_delay_alu instid0(VALU_DEP_1) | instskip(NEXT) | instid1(VALU_DEP_3)
	v_or_b32_e32 v8, v8, v6
	v_perm_b32 v6, v9, v7, 0x5040c00
                                        ; implicit-def: $vgpr7
                                        ; implicit-def: $vgpr9
.LBB1586_85:
	s_and_not1_saveexec_b32 s1, s0
	s_cbranch_execz .LBB1586_89
; %bb.86:
	v_dual_add_nc_u32 v6, s17, v18 :: v_dual_add_nc_u32 v8, s19, v18
	s_mov_b32 s3, 0
	s_mov_b32 s4, exec_lo
	s_delay_alu instid0(VALU_DEP_1) | instskip(NEXT) | instid1(VALU_DEP_2)
	v_mul_lo_u32 v6, v6, s16
	v_mul_lo_u32 v8, v8, s18
	s_delay_alu instid0(VALU_DEP_1) | instskip(NEXT) | instid1(VALU_DEP_1)
	v_sub_nc_u32_e32 v6, v6, v8
	v_cmp_lt_u32_e32 vcc_lo, s20, v6
	v_cmpx_ge_u32_e64 s20, v6
	s_cbranch_execz .LBB1586_88
; %bb.87:
	v_dual_add_nc_u32 v6, s22, v18 :: v_dual_add_nc_u32 v8, s38, v18
	s_delay_alu instid0(VALU_DEP_1) | instskip(NEXT) | instid1(VALU_DEP_2)
	v_mul_lo_u32 v6, v6, s21
	v_mul_lo_u32 v8, v8, s23
	s_delay_alu instid0(VALU_DEP_1) | instskip(NEXT) | instid1(VALU_DEP_1)
	v_sub_nc_u32_e32 v6, v6, v8
	v_cmp_lt_u32_e64 s0, s39, v6
	s_and_b32 s3, s0, exec_lo
.LBB1586_88:
	s_or_b32 exec_lo, exec_lo, s4
	v_cndmask_b32_e64 v6, 0, 1, s3
	v_cndmask_b32_e64 v8, 0, 1, vcc_lo
	v_lshlrev_b16 v13, 8, v13
	v_lshlrev_b16 v12, 8, v12
	;; [unrolled: 1-line block ×4, first 2 shown]
	s_delay_alu instid0(VALU_DEP_4) | instskip(NEXT) | instid1(VALU_DEP_4)
	v_bitop3_b16 v11, v11, v13, 0xff bitop3:0xec
	v_or_b32_e32 v8, v8, v12
	s_delay_alu instid0(VALU_DEP_4) | instskip(NEXT) | instid1(VALU_DEP_4)
	v_bitop3_b16 v9, v9, v10, 0xff bitop3:0xec
	v_bitop3_b16 v6, v7, v6, 0xff bitop3:0xec
	s_delay_alu instid0(VALU_DEP_4) | instskip(NEXT) | instid1(VALU_DEP_4)
	v_lshlrev_b32_e32 v7, 16, v11
	v_and_b32_e32 v8, 0xffff, v8
	s_delay_alu instid0(VALU_DEP_4) | instskip(NEXT) | instid1(VALU_DEP_4)
	v_lshlrev_b32_e32 v9, 16, v9
	v_and_b32_e32 v6, 0xffff, v6
	s_delay_alu instid0(VALU_DEP_3) | instskip(NEXT) | instid1(VALU_DEP_2)
	v_or_b32_e32 v8, v8, v7
	v_or_b32_e32 v6, v6, v9
.LBB1586_89:
	s_or_b32 exec_lo, exec_lo, s1
	s_delay_alu instid0(VALU_DEP_1) | instskip(NEXT) | instid1(VALU_DEP_3)
	v_dual_add_nc_u32 v7, 9, v15 :: v_dual_lshrrev_b32 v11, 8, v6
	v_dual_lshrrev_b32 v12, 24, v8 :: v_dual_lshrrev_b32 v10, 16, v8
                                        ; implicit-def: $vgpr9
	s_delay_alu instid0(VALU_DEP_2) | instskip(SKIP_1) | instid1(SALU_CYCLE_1)
	v_cmp_le_u32_e32 vcc_lo, s5, v7
                                        ; implicit-def: $vgpr7
	s_and_saveexec_b32 s0, vcc_lo
	s_xor_b32 s0, exec_lo, s0
	s_cbranch_execz .LBB1586_91
; %bb.90:
	v_lshlrev_b16 v7, 8, v11
	v_lshlrev_b16 v9, 8, v12
	v_perm_b32 v1, v1, v1, 0x3060504
                                        ; implicit-def: $vgpr11
                                        ; implicit-def: $vgpr12
	s_delay_alu instid0(VALU_DEP_3) | instskip(NEXT) | instid1(VALU_DEP_3)
	v_bitop3_b16 v7, v6, v7, 0xff bitop3:0xec
	v_bitop3_b16 v9, v10, v9, 0xff bitop3:0xec
                                        ; implicit-def: $vgpr10
	s_delay_alu instid0(VALU_DEP_2) | instskip(NEXT) | instid1(VALU_DEP_2)
	v_and_b32_e32 v7, 0xffff, v7
	v_perm_b32 v9, v9, v8, 0x5040c00
                                        ; implicit-def: $vgpr8
	s_delay_alu instid0(VALU_DEP_2)
	v_and_or_b32 v7, 0xff000000, v6, v7
                                        ; implicit-def: $vgpr6
.LBB1586_91:
	s_and_not1_saveexec_b32 s1, s0
	s_cbranch_execz .LBB1586_95
; %bb.92:
	v_dual_add_nc_u32 v7, s17, v19 :: v_dual_add_nc_u32 v9, s19, v19
	s_mov_b32 s3, 0
	s_mov_b32 s4, exec_lo
	s_delay_alu instid0(VALU_DEP_1) | instskip(NEXT) | instid1(VALU_DEP_2)
	v_mul_lo_u32 v7, v7, s16
	v_mul_lo_u32 v9, v9, s18
	s_delay_alu instid0(VALU_DEP_1) | instskip(NEXT) | instid1(VALU_DEP_1)
	v_sub_nc_u32_e32 v7, v7, v9
	v_cmp_lt_u32_e32 vcc_lo, s20, v7
	v_cmpx_ge_u32_e64 s20, v7
	s_cbranch_execz .LBB1586_94
; %bb.93:
	v_dual_add_nc_u32 v7, s22, v19 :: v_dual_add_nc_u32 v9, s38, v19
	s_delay_alu instid0(VALU_DEP_1) | instskip(NEXT) | instid1(VALU_DEP_2)
	v_mul_lo_u32 v7, v7, s21
	v_mul_lo_u32 v9, v9, s23
	s_delay_alu instid0(VALU_DEP_1) | instskip(NEXT) | instid1(VALU_DEP_1)
	v_sub_nc_u32_e32 v7, v7, v9
	v_cmp_lt_u32_e64 s0, s39, v7
	s_and_b32 s3, s0, exec_lo
.LBB1586_94:
	s_or_b32 exec_lo, exec_lo, s4
	v_cndmask_b32_e64 v7, 0, 1, vcc_lo
	v_lshrrev_b32_e32 v9, 24, v6
	v_cndmask_b32_e64 v13, 0, 1, s3
	v_lshlrev_b16 v12, 8, v12
	v_lshlrev_b16 v11, 8, v11
	;; [unrolled: 1-line block ×4, first 2 shown]
	s_delay_alu instid0(VALU_DEP_4) | instskip(NEXT) | instid1(VALU_DEP_4)
	v_bitop3_b16 v10, v10, v12, 0xff bitop3:0xec
	v_bitop3_b16 v6, v6, v11, 0xff bitop3:0xec
	s_delay_alu instid0(VALU_DEP_4) | instskip(NEXT) | instid1(VALU_DEP_3)
	v_bitop3_b16 v7, v8, v7, 0xff bitop3:0xec
	v_dual_lshlrev_b32 v9, 16, v10 :: v_dual_bitop2_b32 v8, v13, v9 bitop3:0x54
	s_delay_alu instid0(VALU_DEP_3) | instskip(NEXT) | instid1(VALU_DEP_3)
	v_and_b32_e32 v6, 0xffff, v6
	v_and_b32_e32 v7, 0xffff, v7
	s_delay_alu instid0(VALU_DEP_1) | instskip(NEXT) | instid1(VALU_DEP_1)
	v_dual_lshlrev_b32 v8, 16, v8 :: v_dual_bitop2_b32 v9, v7, v9 bitop3:0x54
	v_or_b32_e32 v7, v6, v8
.LBB1586_95:
	s_or_b32 exec_lo, exec_lo, s1
	s_delay_alu instid0(VALU_DEP_2) | instskip(NEXT) | instid1(VALU_DEP_1)
	v_dual_add_nc_u32 v6, 10, v15 :: v_dual_lshrrev_b32 v8, 8, v9
                                        ; implicit-def: $vgpr40
	v_cmp_le_u32_e32 vcc_lo, s5, v6
                                        ; implicit-def: $vgpr6
	s_and_saveexec_b32 s0, vcc_lo
	s_delay_alu instid0(SALU_CYCLE_1)
	s_xor_b32 s0, exec_lo, s0
	s_cbranch_execz .LBB1586_97
; %bb.96:
	v_lshlrev_b16 v6, 8, v8
	v_and_b32_e32 v8, 0xff0000, v7
	v_perm_b32 v1, v1, v1, 0x3060504
	s_delay_alu instid0(VALU_DEP_3) | instskip(NEXT) | instid1(VALU_DEP_3)
	v_bitop3_b16 v6, v9, v6, 0xff bitop3:0xec
	v_perm_b32 v40, v7, v8, 0x3020504
                                        ; implicit-def: $vgpr8
                                        ; implicit-def: $vgpr7
	s_delay_alu instid0(VALU_DEP_2) | instskip(NEXT) | instid1(VALU_DEP_1)
	v_and_b32_e32 v6, 0xffff, v6
	v_and_or_b32 v6, 0xff000000, v9, v6
                                        ; implicit-def: $vgpr9
.LBB1586_97:
	s_and_not1_saveexec_b32 s1, s0
	s_cbranch_execz .LBB1586_101
; %bb.98:
	v_dual_add_nc_u32 v6, s17, v16 :: v_dual_add_nc_u32 v10, s19, v16
	s_mov_b32 s3, 0
	s_mov_b32 s4, exec_lo
	s_delay_alu instid0(VALU_DEP_1) | instskip(NEXT) | instid1(VALU_DEP_2)
	v_mul_lo_u32 v6, v6, s16
	v_mul_lo_u32 v10, v10, s18
	s_delay_alu instid0(VALU_DEP_1) | instskip(NEXT) | instid1(VALU_DEP_1)
	v_sub_nc_u32_e32 v6, v6, v10
	v_cmp_lt_u32_e32 vcc_lo, s20, v6
	v_cmpx_ge_u32_e64 s20, v6
	s_cbranch_execz .LBB1586_100
; %bb.99:
	v_dual_add_nc_u32 v6, s22, v16 :: v_dual_add_nc_u32 v10, s38, v16
	s_delay_alu instid0(VALU_DEP_1) | instskip(NEXT) | instid1(VALU_DEP_2)
	v_mul_lo_u32 v6, v6, s21
	v_mul_lo_u32 v10, v10, s23
	s_delay_alu instid0(VALU_DEP_1) | instskip(NEXT) | instid1(VALU_DEP_1)
	v_sub_nc_u32_e32 v6, v6, v10
	v_cmp_lt_u32_e64 s0, s39, v6
	s_and_b32 s3, s0, exec_lo
.LBB1586_100:
	s_or_b32 exec_lo, exec_lo, s4
	v_dual_lshrrev_b32 v6, 24, v9 :: v_dual_lshrrev_b32 v12, 8, v7
	v_cndmask_b32_e64 v10, 0, 1, s3
	v_cndmask_b32_e64 v11, 0, 1, vcc_lo
	v_lshlrev_b16 v8, 8, v8
	s_delay_alu instid0(VALU_DEP_4)
	v_lshlrev_b16 v6, 8, v6
	v_lshrrev_b32_e32 v13, 16, v7
	v_lshlrev_b16 v10, 8, v10
	v_lshlrev_b16 v12, 8, v12
	v_bitop3_b16 v8, v9, v8, 0xff bitop3:0xec
	v_or_b32_e32 v6, v11, v6
	s_delay_alu instid0(VALU_DEP_4) | instskip(NEXT) | instid1(VALU_DEP_4)
	v_bitop3_b16 v9, v13, v10, 0xff bitop3:0xec
	v_bitop3_b16 v7, v7, v12, 0xff bitop3:0xec
	s_delay_alu instid0(VALU_DEP_4) | instskip(NEXT) | instid1(VALU_DEP_3)
	v_and_b32_e32 v8, 0xffff, v8
	v_dual_lshlrev_b32 v6, 16, v6 :: v_dual_lshlrev_b32 v9, 16, v9
	s_delay_alu instid0(VALU_DEP_3) | instskip(NEXT) | instid1(VALU_DEP_2)
	v_and_b32_e32 v7, 0xffff, v7
	v_or_b32_e32 v6, v8, v6
	s_delay_alu instid0(VALU_DEP_2)
	v_or_b32_e32 v40, v7, v9
.LBB1586_101:
	s_or_b32 exec_lo, exec_lo, s1
	v_dual_add_nc_u32 v7, 11, v15 :: v_dual_mov_b32 v39, 0
	s_mov_b32 s0, exec_lo
                                        ; implicit-def: $vgpr41
	s_delay_alu instid0(VALU_DEP_1)
	v_cmpx_le_u32_e64 s5, v7
	s_xor_b32 s0, exec_lo, s0
; %bb.102:
	v_and_b32_e32 v7, 0xff0000, v6
	v_perm_b32 v1, v1, v1, 0x3060504
	s_delay_alu instid0(VALU_DEP_2)
	v_perm_b32 v41, v6, v7, 0x3020504
                                        ; implicit-def: $vgpr6
; %bb.103:
	s_and_not1_saveexec_b32 s1, s0
	s_cbranch_execz .LBB1586_107
; %bb.104:
	v_dual_add_nc_u32 v7, s17, v17 :: v_dual_add_nc_u32 v8, s19, v17
	s_mov_b32 s3, 0
	s_mov_b32 s4, exec_lo
	s_delay_alu instid0(VALU_DEP_1) | instskip(NEXT) | instid1(VALU_DEP_2)
	v_mul_lo_u32 v7, v7, s16
	v_mul_lo_u32 v8, v8, s18
	s_delay_alu instid0(VALU_DEP_1) | instskip(NEXT) | instid1(VALU_DEP_1)
	v_sub_nc_u32_e32 v7, v7, v8
	v_cmp_lt_u32_e32 vcc_lo, s20, v7
	v_cmpx_ge_u32_e64 s20, v7
	s_cbranch_execz .LBB1586_106
; %bb.105:
	v_dual_add_nc_u32 v7, s22, v17 :: v_dual_add_nc_u32 v8, s38, v17
	s_delay_alu instid0(VALU_DEP_1) | instskip(NEXT) | instid1(VALU_DEP_2)
	v_mul_lo_u32 v7, v7, s21
	v_mul_lo_u32 v8, v8, s23
	s_delay_alu instid0(VALU_DEP_1) | instskip(NEXT) | instid1(VALU_DEP_1)
	v_sub_nc_u32_e32 v7, v7, v8
	v_cmp_lt_u32_e64 s0, s39, v7
	s_and_b32 s3, s0, exec_lo
.LBB1586_106:
	s_or_b32 exec_lo, exec_lo, s4
	v_cndmask_b32_e64 v7, 0, 1, vcc_lo
	v_dual_lshrrev_b32 v8, 8, v6 :: v_dual_lshrrev_b32 v9, 16, v6
	v_cndmask_b32_e64 v39, 0, 1, s3
	s_delay_alu instid0(VALU_DEP_3) | instskip(NEXT) | instid1(VALU_DEP_3)
	v_lshlrev_b16 v7, 8, v7
	v_lshlrev_b16 v8, 8, v8
	s_delay_alu instid0(VALU_DEP_2) | instskip(NEXT) | instid1(VALU_DEP_2)
	v_bitop3_b16 v7, v9, v7, 0xff bitop3:0xec
	v_bitop3_b16 v6, v6, v8, 0xff bitop3:0xec
	s_delay_alu instid0(VALU_DEP_2) | instskip(NEXT) | instid1(VALU_DEP_2)
	v_lshlrev_b32_e32 v7, 16, v7
	v_and_b32_e32 v6, 0xffff, v6
	s_delay_alu instid0(VALU_DEP_1)
	v_or_b32_e32 v41, v6, v7
.LBB1586_107:
	s_or_b32 exec_lo, exec_lo, s1
	v_dual_add_nc_u32 v8, 12, v15 :: v_dual_lshrrev_b32 v6, 8, v1
	v_dual_lshrrev_b32 v7, 16, v1 :: v_dual_lshrrev_b32 v1, 24, v1
	s_mov_b32 s0, exec_lo
                                        ; implicit-def: $vgpr42
	s_delay_alu instid0(VALU_DEP_2)
	v_cmpx_le_u32_e64 s5, v8
	s_xor_b32 s0, exec_lo, s0
; %bb.108:
	s_delay_alu instid0(VALU_DEP_2) | instskip(SKIP_1) | instid1(VALU_DEP_2)
	v_lshlrev_b16 v1, 8, v1
	v_lshlrev_b16 v6, 8, v6
	v_bitop3_b16 v1, v7, v1, 0xff bitop3:0xec
	s_delay_alu instid0(VALU_DEP_2) | instskip(NEXT) | instid1(VALU_DEP_2)
	v_and_b32_e32 v6, 0xffff, v6
                                        ; implicit-def: $vgpr7
	v_lshlrev_b32_e32 v1, 16, v1
	s_delay_alu instid0(VALU_DEP_1)
	v_or_b32_e32 v42, v6, v1
                                        ; implicit-def: $vgpr1
                                        ; implicit-def: $vgpr6
; %bb.109:
	s_or_saveexec_b32 s1, s0
	v_mov_b32_e32 v43, 0
	s_xor_b32 exec_lo, exec_lo, s1
	s_cbranch_execz .LBB1586_113
; %bb.110:
	v_dual_add_nc_u32 v8, s19, v34 :: v_dual_add_nc_u32 v9, s17, v34
	s_mov_b32 s3, 0
	s_mov_b32 s4, exec_lo
	s_delay_alu instid0(VALU_DEP_1) | instskip(NEXT) | instid1(VALU_DEP_2)
	v_mul_lo_u32 v8, v8, s18
	v_mul_lo_u32 v9, v9, s16
	s_delay_alu instid0(VALU_DEP_1) | instskip(NEXT) | instid1(VALU_DEP_1)
	v_sub_nc_u32_e32 v8, v9, v8
	v_cmp_lt_u32_e32 vcc_lo, s20, v8
	v_cmpx_ge_u32_e64 s20, v8
	s_cbranch_execz .LBB1586_112
; %bb.111:
	v_dual_add_nc_u32 v8, s38, v34 :: v_dual_add_nc_u32 v9, s22, v34
	s_delay_alu instid0(VALU_DEP_1) | instskip(NEXT) | instid1(VALU_DEP_2)
	v_mul_lo_u32 v8, v8, s23
	v_mul_lo_u32 v9, v9, s21
	s_delay_alu instid0(VALU_DEP_1) | instskip(NEXT) | instid1(VALU_DEP_1)
	v_sub_nc_u32_e32 v8, v9, v8
	v_cmp_lt_u32_e64 s0, s39, v8
	s_and_b32 s3, s0, exec_lo
.LBB1586_112:
	s_or_b32 exec_lo, exec_lo, s4
	v_cndmask_b32_e64 v8, 0, 1, vcc_lo
	v_lshlrev_b16 v1, 8, v1
	v_lshlrev_b16 v6, 8, v6
	v_cndmask_b32_e64 v43, 0, 1, s3
	s_delay_alu instid0(VALU_DEP_3) | instskip(NEXT) | instid1(VALU_DEP_1)
	v_bitop3_b16 v1, v7, v1, 0xff bitop3:0xec
	v_dual_lshlrev_b32 v1, 16, v1 :: v_dual_bitop2_b32 v6, v8, v6 bitop3:0x54
	s_delay_alu instid0(VALU_DEP_1) | instskip(NEXT) | instid1(VALU_DEP_1)
	v_and_b32_e32 v6, 0xffff, v6
	v_or_b32_e32 v42, v6, v1
.LBB1586_113:
	s_or_b32 exec_lo, exec_lo, s1
.LBB1586_114:
	v_and_b32_e32 v66, 0xff, v36
	s_delay_alu instid0(VALU_DEP_2)
	v_bfe_u32 v67, v42, 8, 8
	v_bfe_u32 v64, v36, 8, 8
	;; [unrolled: 1-line block ×4, first 2 shown]
	v_dual_lshrrev_b32 v49, 24, v42 :: v_dual_lshrrev_b32 v48, 24, v36
	v_and_b32_e32 v62, 0xff, v37
	v_and_b32_e32 v60, 0xff, v38
	v_bfe_u32 v61, v37, 8, 8
	v_add3_u32 v1, v64, v66, v63
	v_add3_u32 v6, v65, v67, v49
	v_bfe_u32 v58, v38, 8, 8
	v_bfe_u32 v59, v37, 16, 8
	;; [unrolled: 1-line block ×3, first 2 shown]
	v_dual_lshrrev_b32 v47, 24, v37 :: v_dual_lshrrev_b32 v46, 24, v38
	v_add3_u32 v1, v1, v48, v60
	v_add3_u32 v6, v6, v62, v61
	v_and_b32_e32 v57, 0xff, v40
	v_and_b32_e32 v53, 0xff, v41
	v_bfe_u32 v55, v40, 8, 8
	v_add3_u32 v1, v1, v58, v56
	v_add3_u32 v6, v6, v59, v47
	v_bfe_u32 v52, v41, 8, 8
	v_bfe_u32 v54, v40, 16, 8
	v_bfe_u32 v51, v41, 16, 8
	v_dual_lshrrev_b32 v45, 24, v40 :: v_dual_lshrrev_b32 v44, 24, v41
	v_add3_u32 v1, v1, v46, v53
	v_add3_u32 v6, v6, v57, v55
	v_mbcnt_lo_u32_b32 v68, -1, 0
	v_and_b32_e32 v50, 0xff, v39
	v_and_b32_e32 v7, 0xff, v42
	;; [unrolled: 1-line block ×3, first 2 shown]
	v_add3_u32 v1, v1, v52, v51
	v_add3_u32 v6, v6, v54, v45
	v_and_b32_e32 v70, 15, v68
	v_and_b32_e32 v72, 16, v68
	v_dual_lshrrev_b32 v69, 5, v0 :: v_dual_bitop2_b32 v71, 31, v0 bitop3:0x54
	v_add3_u32 v73, v1, v44, v7
	v_add3_u32 v74, v6, v50, v8
	v_cmp_eq_u32_e64 s1, 0, v70
	v_cmp_lt_u32_e64 s0, 1, v70
	v_cmp_lt_u32_e64 s3, 3, v70
	s_cmp_lg_u32 s27, 0
	s_mov_b32 s4, -1
	v_cmp_lt_u32_e32 vcc_lo, 7, v70
	s_cbranch_scc0 .LBB1586_135
; %bb.115:
	v_mov_b32_dpp v1, v74 row_shr:1 row_mask:0xf bank_mask:0xf
	v_mov_b32_dpp v6, v73 row_shr:1 row_mask:0xf bank_mask:0xf
	s_mov_b32 s4, exec_lo
	s_delay_alu instid0(VALU_DEP_1) | instskip(NEXT) | instid1(VALU_DEP_1)
	v_dual_add_nc_u32 v1, v1, v74 :: v_dual_add_nc_u32 v6, v6, v73
	v_dual_cndmask_b32 v1, v1, v74, s1 :: v_dual_cndmask_b32 v6, v6, v73, s1
	s_delay_alu instid0(VALU_DEP_1) | instskip(NEXT) | instid1(VALU_DEP_2)
	v_mov_b32_dpp v7, v1 row_shr:2 row_mask:0xf bank_mask:0xf
	v_mov_b32_dpp v8, v6 row_shr:2 row_mask:0xf bank_mask:0xf
	s_delay_alu instid0(VALU_DEP_1) | instskip(NEXT) | instid1(VALU_DEP_1)
	v_dual_add_nc_u32 v7, v1, v7 :: v_dual_add_nc_u32 v8, v6, v8
	v_dual_cndmask_b32 v1, v1, v7, s0 :: v_dual_cndmask_b32 v6, v6, v8, s0
	s_delay_alu instid0(VALU_DEP_1) | instskip(NEXT) | instid1(VALU_DEP_2)
	v_mov_b32_dpp v7, v1 row_shr:4 row_mask:0xf bank_mask:0xf
	v_mov_b32_dpp v8, v6 row_shr:4 row_mask:0xf bank_mask:0xf
	;; [unrolled: 6-line block ×3, first 2 shown]
	s_delay_alu instid0(VALU_DEP_1) | instskip(NEXT) | instid1(VALU_DEP_1)
	v_dual_add_nc_u32 v7, v1, v7 :: v_dual_add_nc_u32 v8, v6, v8
	v_dual_cndmask_b32 v1, v1, v7 :: v_dual_cndmask_b32 v6, v6, v8
	v_cmp_eq_u32_e32 vcc_lo, 0, v72
	ds_swizzle_b32 v7, v1 offset:swizzle(BROADCAST,32,15)
	ds_swizzle_b32 v8, v6 offset:swizzle(BROADCAST,32,15)
	s_wait_dscnt 0x0
	v_dual_add_nc_u32 v7, v1, v7 :: v_dual_add_nc_u32 v8, v6, v8
	v_cmpx_eq_u32_e64 v0, v71
; %bb.116:
	s_delay_alu instid0(VALU_DEP_2) | instskip(NEXT) | instid1(VALU_DEP_3)
	v_dual_cndmask_b32 v10, v8, v6 :: v_dual_lshlrev_b32 v9, 3, v69
	v_cndmask_b32_e32 v11, v7, v1, vcc_lo
	ds_store_b64 v9, v[10:11]
; %bb.117:
	s_or_b32 exec_lo, exec_lo, s4
	s_delay_alu instid0(SALU_CYCLE_1)
	s_mov_b32 s4, exec_lo
	s_wait_dscnt 0x0
	s_barrier_signal -1
	s_barrier_wait -1
	v_cmpx_gt_u32_e32 8, v0
	s_cbranch_execz .LBB1586_119
; %bb.118:
	v_lshlrev_b32_e32 v9, 3, v0
	ds_load_b64 v[10:11], v9
	s_wait_dscnt 0x0
	v_mov_b32_dpp v12, v10 row_shr:1 row_mask:0xf bank_mask:0xf
	v_mov_b32_dpp v13, v11 row_shr:1 row_mask:0xf bank_mask:0xf
	s_delay_alu instid0(VALU_DEP_2) | instskip(NEXT) | instid1(VALU_DEP_2)
	v_dual_add_nc_u32 v12, v12, v10 :: v_dual_bitop2_b32 v28, 7, v68 bitop3:0x40
	v_add_nc_u32_e32 v13, v13, v11
	s_delay_alu instid0(VALU_DEP_2) | instskip(NEXT) | instid1(VALU_DEP_1)
	v_cmp_eq_u32_e64 s3, 0, v28
	v_dual_cndmask_b32 v11, v13, v11, s3 :: v_dual_cndmask_b32 v10, v12, v10, s3
	v_cmp_lt_u32_e64 s3, 1, v28
	s_delay_alu instid0(VALU_DEP_2) | instskip(NEXT) | instid1(VALU_DEP_3)
	v_mov_b32_dpp v13, v11 row_shr:2 row_mask:0xf bank_mask:0xf
	v_mov_b32_dpp v12, v10 row_shr:2 row_mask:0xf bank_mask:0xf
	s_delay_alu instid0(VALU_DEP_1) | instskip(NEXT) | instid1(VALU_DEP_1)
	v_dual_add_nc_u32 v13, v11, v13 :: v_dual_add_nc_u32 v12, v10, v12
	v_dual_cndmask_b32 v11, v11, v13, s3 :: v_dual_cndmask_b32 v10, v10, v12, s3
	v_cmp_lt_u32_e64 s3, 3, v28
	s_delay_alu instid0(VALU_DEP_2) | instskip(NEXT) | instid1(VALU_DEP_3)
	v_mov_b32_dpp v13, v11 row_shr:4 row_mask:0xf bank_mask:0xf
	v_mov_b32_dpp v12, v10 row_shr:4 row_mask:0xf bank_mask:0xf
	s_delay_alu instid0(VALU_DEP_1) | instskip(NEXT) | instid1(VALU_DEP_1)
	v_dual_cndmask_b32 v13, 0, v13, s3 :: v_dual_cndmask_b32 v12, 0, v12, s3
	v_dual_add_nc_u32 v11, v13, v11 :: v_dual_add_nc_u32 v10, v12, v10
	ds_store_b64 v9, v[10:11]
.LBB1586_119:
	s_or_b32 exec_lo, exec_lo, s4
	v_dual_cndmask_b32 v1, v7, v1 :: v_dual_cndmask_b32 v6, v8, v6
	s_mov_b32 s4, exec_lo
	v_cmp_gt_u32_e32 vcc_lo, 32, v0
	s_wait_dscnt 0x0
	s_barrier_signal -1
	s_barrier_wait -1
                                        ; implicit-def: $vgpr28
	v_cmpx_lt_u32_e32 31, v0
	s_cbranch_execz .LBB1586_121
; %bb.120:
	v_lshl_add_u32 v7, v69, 3, -8
	ds_load_b64 v[28:29], v7
	s_wait_dscnt 0x0
	v_dual_add_nc_u32 v1, v29, v1 :: v_dual_add_nc_u32 v6, v28, v6
.LBB1586_121:
	s_or_b32 exec_lo, exec_lo, s4
	v_sub_co_u32 v7, s3, v68, 1
	s_delay_alu instid0(VALU_DEP_1) | instskip(NEXT) | instid1(VALU_DEP_1)
	v_cmp_gt_i32_e64 s4, 0, v7
	v_cndmask_b32_e64 v7, v7, v68, s4
	s_delay_alu instid0(VALU_DEP_1)
	v_lshlrev_b32_e32 v7, 2, v7
	ds_bpermute_b32 v75, v7, v6
	ds_bpermute_b32 v1, v7, v1
	s_and_saveexec_b32 s4, vcc_lo
	s_cbranch_execz .LBB1586_140
; %bb.122:
	v_mov_b32_e32 v9, 0
	ds_load_b64 v[6:7], v9 offset:56
	s_and_saveexec_b32 s6, s3
	s_cbranch_execz .LBB1586_124
; %bb.123:
	s_add_co_i32 s8, s27, 32
	s_mov_b32 s9, 0
	v_mov_b32_e32 v8, 1
	s_lshl_b64 s[8:9], s[8:9], 4
	s_delay_alu instid0(SALU_CYCLE_1) | instskip(NEXT) | instid1(SALU_CYCLE_1)
	s_add_nc_u64 s[8:9], s[36:37], s[8:9]
	v_mov_b64_e32 v[10:11], s[8:9]
	s_wait_dscnt 0x0
	;;#ASMSTART
	global_store_b128 v[10:11], v[6:9] off scope:SCOPE_DEV	
s_wait_storecnt 0x0
	;;#ASMEND
.LBB1586_124:
	s_or_b32 exec_lo, exec_lo, s6
	v_xad_u32 v30, v68, -1, s27
	s_mov_b32 s7, 0
	s_mov_b32 s6, exec_lo
	s_delay_alu instid0(VALU_DEP_1) | instskip(NEXT) | instid1(VALU_DEP_1)
	v_add_nc_u32_e32 v8, 32, v30
	v_lshl_add_u64 v[8:9], v[8:9], 4, s[36:37]
	;;#ASMSTART
	global_load_b128 v[10:13], v[8:9] off scope:SCOPE_DEV	
s_wait_loadcnt 0x0
	;;#ASMEND
	v_and_b32_e32 v13, 0xff, v12
	s_delay_alu instid0(VALU_DEP_1)
	v_cmpx_eq_u16_e32 0, v13
	s_cbranch_execz .LBB1586_127
.LBB1586_125:                           ; =>This Inner Loop Header: Depth=1
	;;#ASMSTART
	global_load_b128 v[10:13], v[8:9] off scope:SCOPE_DEV	
s_wait_loadcnt 0x0
	;;#ASMEND
	v_and_b32_e32 v13, 0xff, v12
	s_delay_alu instid0(VALU_DEP_1) | instskip(SKIP_1) | instid1(SALU_CYCLE_1)
	v_cmp_ne_u16_e32 vcc_lo, 0, v13
	s_or_b32 s7, vcc_lo, s7
	s_and_not1_b32 exec_lo, exec_lo, s7
	s_cbranch_execnz .LBB1586_125
; %bb.126:
	s_or_b32 exec_lo, exec_lo, s7
.LBB1586_127:
	s_delay_alu instid0(SALU_CYCLE_1) | instskip(SKIP_4) | instid1(VALU_DEP_1)
	s_or_b32 exec_lo, exec_lo, s6
	v_cmp_ne_u32_e32 vcc_lo, 31, v68
	v_lshlrev_b32_e64 v77, v68, -1
	v_lshl_or_b32 v84, v68, 2, 64
	v_add_co_ci_u32_e64 v8, null, 0, v68, vcc_lo
	v_lshlrev_b32_e32 v76, 2, v8
	v_and_b32_e32 v8, 0xff, v12
	s_delay_alu instid0(VALU_DEP_1)
	v_cmp_eq_u16_e32 vcc_lo, 2, v8
	v_and_b32_e32 v13, vcc_lo, v77
	ds_bpermute_b32 v9, v76, v11
	ds_bpermute_b32 v8, v76, v10
	v_cmp_gt_u32_e32 vcc_lo, 30, v68
	v_or_b32_e32 v13, 0x80000000, v13
	v_cndmask_b32_e64 v31, 0, 2, vcc_lo
	s_delay_alu instid0(VALU_DEP_2) | instskip(NEXT) | instid1(VALU_DEP_2)
	v_ctz_i32_b32_e32 v13, v13
	v_add_lshl_u32 v78, v31, v68, 2
	s_delay_alu instid0(VALU_DEP_2) | instskip(SKIP_2) | instid1(VALU_DEP_1)
	v_cmp_lt_u32_e32 vcc_lo, v68, v13
	s_wait_dscnt 0x0
	v_dual_add_nc_u32 v9, v9, v11 :: v_dual_add_nc_u32 v8, v8, v10
	v_dual_cndmask_b32 v9, v11, v9 :: v_dual_cndmask_b32 v8, v10, v8
	v_cmp_gt_u32_e32 vcc_lo, 28, v68
	ds_bpermute_b32 v10, v78, v9
	ds_bpermute_b32 v11, v78, v8
	v_add_nc_u32_e32 v79, 2, v68
	v_cndmask_b32_e64 v31, 0, 4, vcc_lo
	s_delay_alu instid0(VALU_DEP_1) | instskip(SKIP_4) | instid1(VALU_DEP_2)
	v_add_lshl_u32 v80, v31, v68, 2
	s_wait_dscnt 0x1
	v_add_nc_u32_e32 v10, v9, v10
	v_cmp_gt_u32_e32 vcc_lo, v79, v13
	s_wait_dscnt 0x0
	v_dual_add_nc_u32 v11, v8, v11 :: v_dual_cndmask_b32 v9, v10, v9, vcc_lo
	ds_bpermute_b32 v10, v80, v9
	v_cndmask_b32_e32 v8, v11, v8, vcc_lo
	v_cmp_gt_u32_e32 vcc_lo, 24, v68
	v_cndmask_b32_e64 v31, 0, 8, vcc_lo
	s_delay_alu instid0(VALU_DEP_1)
	v_add_lshl_u32 v82, v31, v68, 2
	s_wait_dscnt 0x0
	v_dual_mov_b32 v31, 0 :: v_dual_add_nc_u32 v10, v9, v10
	ds_bpermute_b32 v11, v80, v8
	s_wait_dscnt 0x0
	v_dual_add_nc_u32 v81, 4, v68 :: v_dual_add_nc_u32 v11, v8, v11
	s_delay_alu instid0(VALU_DEP_1) | instskip(NEXT) | instid1(VALU_DEP_2)
	v_cmp_gt_u32_e32 vcc_lo, v81, v13
	v_dual_cndmask_b32 v9, v10, v9 :: v_dual_cndmask_b32 v8, v11, v8
	ds_bpermute_b32 v10, v82, v9
	ds_bpermute_b32 v11, v82, v8
	s_wait_dscnt 0x1
	v_dual_add_nc_u32 v83, 8, v68 :: v_dual_add_nc_u32 v10, v9, v10
	s_delay_alu instid0(VALU_DEP_1) | instskip(SKIP_1) | instid1(VALU_DEP_2)
	v_cmp_gt_u32_e32 vcc_lo, v83, v13
	s_wait_dscnt 0x0
	v_dual_add_nc_u32 v11, v8, v11 :: v_dual_cndmask_b32 v9, v10, v9, vcc_lo
	s_delay_alu instid0(VALU_DEP_1) | instskip(SKIP_3) | instid1(VALU_DEP_1)
	v_cndmask_b32_e32 v8, v11, v8, vcc_lo
	ds_bpermute_b32 v11, v84, v9
	ds_bpermute_b32 v10, v84, v8
	v_add_nc_u32_e32 v85, 16, v68
	v_cmp_le_u32_e32 vcc_lo, v85, v13
	s_wait_dscnt 0x0
	v_dual_cndmask_b32 v11, 0, v11 :: v_dual_cndmask_b32 v10, 0, v10
	s_delay_alu instid0(VALU_DEP_1)
	v_dual_add_nc_u32 v11, v11, v9 :: v_dual_add_nc_u32 v10, v10, v8
	s_branch .LBB1586_131
.LBB1586_128:                           ;   in Loop: Header=BB1586_131 Depth=1
	s_or_b32 exec_lo, exec_lo, s7
.LBB1586_129:                           ;   in Loop: Header=BB1586_131 Depth=1
	s_delay_alu instid0(SALU_CYCLE_1)
	s_or_b32 exec_lo, exec_lo, s6
	ds_bpermute_b32 v13, v76, v10
	ds_bpermute_b32 v32, v76, v11
	v_and_b32_e32 v33, 0xff, v12
	v_subrev_nc_u32_e32 v30, 32, v30
	s_mov_b32 s6, 0
	s_delay_alu instid0(VALU_DEP_2) | instskip(SKIP_1) | instid1(VALU_DEP_1)
	v_cmp_eq_u16_e32 vcc_lo, 2, v33
	v_and_or_b32 v33, vcc_lo, v77, 0x80000000
	v_ctz_i32_b32_e32 v33, v33
	s_wait_dscnt 0x0
	v_dual_add_nc_u32 v13, v13, v10 :: v_dual_add_nc_u32 v32, v32, v11
	s_delay_alu instid0(VALU_DEP_2) | instskip(NEXT) | instid1(VALU_DEP_2)
	v_cmp_lt_u32_e32 vcc_lo, v68, v33
	v_dual_cndmask_b32 v11, v11, v32 :: v_dual_cndmask_b32 v10, v10, v13
	v_cmp_gt_u32_e32 vcc_lo, v79, v33
	ds_bpermute_b32 v32, v78, v11
	ds_bpermute_b32 v13, v78, v10
	s_wait_dscnt 0x0
	v_dual_add_nc_u32 v32, v11, v32 :: v_dual_add_nc_u32 v13, v10, v13
	s_delay_alu instid0(VALU_DEP_1)
	v_dual_cndmask_b32 v11, v32, v11 :: v_dual_cndmask_b32 v10, v13, v10
	v_cmp_gt_u32_e32 vcc_lo, v81, v33
	ds_bpermute_b32 v32, v80, v11
	ds_bpermute_b32 v13, v80, v10
	s_wait_dscnt 0x0
	v_dual_add_nc_u32 v32, v11, v32 :: v_dual_add_nc_u32 v13, v10, v13
	s_delay_alu instid0(VALU_DEP_1)
	;; [unrolled: 7-line block ×3, first 2 shown]
	v_dual_cndmask_b32 v11, v32, v11 :: v_dual_cndmask_b32 v10, v13, v10
	v_cmp_le_u32_e32 vcc_lo, v85, v33
	ds_bpermute_b32 v32, v84, v11
	ds_bpermute_b32 v13, v84, v10
	s_wait_dscnt 0x0
	v_dual_cndmask_b32 v32, 0, v32 :: v_dual_cndmask_b32 v13, 0, v13
	s_delay_alu instid0(VALU_DEP_1) | instskip(NEXT) | instid1(VALU_DEP_2)
	v_add3_u32 v11, v11, v9, v32
	v_add3_u32 v10, v10, v8, v13
.LBB1586_130:                           ;   in Loop: Header=BB1586_131 Depth=1
	s_and_b32 vcc_lo, exec_lo, s6
	s_cbranch_vccnz .LBB1586_136
.LBB1586_131:                           ; =>This Loop Header: Depth=1
                                        ;     Child Loop BB1586_134 Depth 2
	v_and_b32_e32 v8, 0xff, v12
	s_mov_b32 s6, -1
                                        ; implicit-def: $vgpr12
	s_delay_alu instid0(VALU_DEP_1)
	v_cmp_ne_u16_e32 vcc_lo, 2, v8
	v_mov_b64_e32 v[8:9], v[10:11]
                                        ; implicit-def: $vgpr10_vgpr11
	s_cmp_lg_u32 vcc_lo, exec_lo
	s_cbranch_scc1 .LBB1586_130
; %bb.132:                              ;   in Loop: Header=BB1586_131 Depth=1
	v_lshl_add_u64 v[32:33], v[30:31], 4, s[36:37]
	;;#ASMSTART
	global_load_b128 v[10:13], v[32:33] off scope:SCOPE_DEV	
s_wait_loadcnt 0x0
	;;#ASMEND
	v_and_b32_e32 v13, 0xff, v12
	s_mov_b32 s6, exec_lo
	s_delay_alu instid0(VALU_DEP_1)
	v_cmpx_eq_u16_e32 0, v13
	s_cbranch_execz .LBB1586_129
; %bb.133:                              ;   in Loop: Header=BB1586_131 Depth=1
	s_mov_b32 s7, 0
.LBB1586_134:                           ;   Parent Loop BB1586_131 Depth=1
                                        ; =>  This Inner Loop Header: Depth=2
	;;#ASMSTART
	global_load_b128 v[10:13], v[32:33] off scope:SCOPE_DEV	
s_wait_loadcnt 0x0
	;;#ASMEND
	v_and_b32_e32 v13, 0xff, v12
	s_delay_alu instid0(VALU_DEP_1) | instskip(SKIP_1) | instid1(SALU_CYCLE_1)
	v_cmp_ne_u16_e32 vcc_lo, 0, v13
	s_or_b32 s7, vcc_lo, s7
	s_and_not1_b32 exec_lo, exec_lo, s7
	s_cbranch_execnz .LBB1586_134
	s_branch .LBB1586_128
.LBB1586_135:
                                        ; implicit-def: $vgpr1
                                        ; implicit-def: $vgpr8
                                        ; implicit-def: $vgpr10
                                        ; implicit-def: $vgpr12
                                        ; implicit-def: $vgpr28
	s_and_b32 vcc_lo, exec_lo, s4
	s_cbranch_vccnz .LBB1586_141
	s_branch .LBB1586_150
.LBB1586_136:
	s_and_saveexec_b32 s6, s3
	s_cbranch_execz .LBB1586_138
; %bb.137:
	s_add_co_i32 s8, s27, 32
	s_mov_b32 s9, 0
	v_dual_mov_b32 v12, 2 :: v_dual_mov_b32 v13, 0
	s_lshl_b64 s[8:9], s[8:9], 4
	v_dual_add_nc_u32 v11, v9, v7 :: v_dual_add_nc_u32 v10, v8, v6
	s_add_nc_u64 s[8:9], s[36:37], s[8:9]
	s_delay_alu instid0(SALU_CYCLE_1)
	v_mov_b64_e32 v[30:31], s[8:9]
	;;#ASMSTART
	global_store_b128 v[30:31], v[10:13] off scope:SCOPE_DEV	
s_wait_storecnt 0x0
	;;#ASMEND
	ds_store_b128 v13, v[6:9] offset:13312
.LBB1586_138:
	s_or_b32 exec_lo, exec_lo, s6
	s_delay_alu instid0(SALU_CYCLE_1)
	s_and_b32 exec_lo, exec_lo, s2
; %bb.139:
	v_mov_b32_e32 v6, 0
	ds_store_b64 v6, v[8:9] offset:56
.LBB1586_140:
	s_or_b32 exec_lo, exec_lo, s4
	s_wait_dscnt 0x0
	v_dual_mov_b32 v6, 0 :: v_dual_cndmask_b32 v1, v1, v29, s3
	s_barrier_signal -1
	s_barrier_wait -1
	ds_load_b64 v[12:13], v6 offset:56
	s_wait_dscnt 0x0
	s_barrier_signal -1
	s_barrier_wait -1
	ds_load_b128 v[6:9], v6 offset:13312
	v_cndmask_b32_e64 v10, v75, v28, s3
	s_delay_alu instid0(VALU_DEP_1) | instskip(SKIP_2) | instid1(VALU_DEP_2)
	v_dual_add_nc_u32 v1, v13, v1 :: v_dual_add_nc_u32 v11, v12, v10
	s_wait_dscnt 0x0
	v_mov_b32_e32 v10, v9
	v_dual_cndmask_b32 v1, v1, v13, s2 :: v_dual_cndmask_b32 v28, v11, v12, s2
	v_mov_b32_e32 v12, v7
	s_branch .LBB1586_150
.LBB1586_141:
	v_mov_b32_dpp v1, v73 row_shr:1 row_mask:0xf bank_mask:0xf
	v_mov_b32_dpp v6, v74 row_shr:1 row_mask:0xf bank_mask:0xf
	v_cmp_lt_u32_e32 vcc_lo, 3, v70
	s_delay_alu instid0(VALU_DEP_2) | instskip(NEXT) | instid1(VALU_DEP_1)
	v_dual_add_nc_u32 v1, v1, v73 :: v_dual_add_nc_u32 v6, v6, v74
	v_dual_cndmask_b32 v1, v1, v73, s1 :: v_dual_cndmask_b32 v6, v6, v74, s1
	s_mov_b32 s1, exec_lo
	s_delay_alu instid0(VALU_DEP_1) | instskip(NEXT) | instid1(VALU_DEP_2)
	v_mov_b32_dpp v7, v1 row_shr:2 row_mask:0xf bank_mask:0xf
	v_mov_b32_dpp v8, v6 row_shr:2 row_mask:0xf bank_mask:0xf
	s_delay_alu instid0(VALU_DEP_1) | instskip(NEXT) | instid1(VALU_DEP_1)
	v_dual_add_nc_u32 v7, v1, v7 :: v_dual_add_nc_u32 v8, v6, v8
	v_dual_cndmask_b32 v1, v1, v7, s0 :: v_dual_cndmask_b32 v6, v6, v8, s0
	s_delay_alu instid0(VALU_DEP_1) | instskip(NEXT) | instid1(VALU_DEP_2)
	v_mov_b32_dpp v7, v1 row_shr:4 row_mask:0xf bank_mask:0xf
	v_mov_b32_dpp v8, v6 row_shr:4 row_mask:0xf bank_mask:0xf
	s_delay_alu instid0(VALU_DEP_1) | instskip(NEXT) | instid1(VALU_DEP_1)
	v_dual_add_nc_u32 v7, v1, v7 :: v_dual_add_nc_u32 v8, v6, v8
	v_dual_cndmask_b32 v7, v1, v7 :: v_dual_cndmask_b32 v6, v6, v8
	v_cmp_lt_u32_e32 vcc_lo, 7, v70
	s_delay_alu instid0(VALU_DEP_2) | instskip(NEXT) | instid1(VALU_DEP_3)
	v_mov_b32_dpp v1, v7 row_shr:8 row_mask:0xf bank_mask:0xf
	v_mov_b32_dpp v8, v6 row_shr:8 row_mask:0xf bank_mask:0xf
	s_delay_alu instid0(VALU_DEP_1) | instskip(NEXT) | instid1(VALU_DEP_1)
	v_dual_add_nc_u32 v9, v7, v1 :: v_dual_add_nc_u32 v1, v6, v8
	v_cndmask_b32_e32 v1, v6, v1, vcc_lo
	s_delay_alu instid0(VALU_DEP_2)
	v_cndmask_b32_e32 v6, v7, v9, vcc_lo
	v_cmp_eq_u32_e32 vcc_lo, 0, v72
	ds_swizzle_b32 v8, v6 offset:swizzle(BROADCAST,32,15)
	s_wait_dscnt 0x0
	v_add_nc_u32_e32 v8, v6, v8
	ds_swizzle_b32 v7, v1 offset:swizzle(BROADCAST,32,15)
	s_wait_dscnt 0x0
	v_add_nc_u32_e32 v7, v1, v7
	v_cmpx_eq_u32_e64 v0, v71
; %bb.142:
	s_delay_alu instid0(VALU_DEP_2)
	v_dual_cndmask_b32 v10, v8, v6 :: v_dual_cndmask_b32 v11, v7, v1
	v_lshlrev_b32_e32 v9, 3, v69
	ds_store_b64 v9, v[10:11]
; %bb.143:
	s_or_b32 exec_lo, exec_lo, s1
	s_delay_alu instid0(SALU_CYCLE_1)
	s_mov_b32 s1, exec_lo
	s_wait_dscnt 0x0
	s_barrier_signal -1
	s_barrier_wait -1
	v_cmpx_gt_u32_e32 8, v0
	s_cbranch_execz .LBB1586_145
; %bb.144:
	v_lshlrev_b32_e32 v9, 3, v0
	ds_load_b64 v[10:11], v9
	s_wait_dscnt 0x0
	v_mov_b32_dpp v12, v10 row_shr:1 row_mask:0xf bank_mask:0xf
	v_mov_b32_dpp v13, v11 row_shr:1 row_mask:0xf bank_mask:0xf
	s_delay_alu instid0(VALU_DEP_2) | instskip(NEXT) | instid1(VALU_DEP_2)
	v_dual_add_nc_u32 v12, v12, v10 :: v_dual_bitop2_b32 v28, 7, v68 bitop3:0x40
	v_add_nc_u32_e32 v13, v13, v11
	s_delay_alu instid0(VALU_DEP_2) | instskip(NEXT) | instid1(VALU_DEP_1)
	v_cmp_eq_u32_e64 s0, 0, v28
	v_dual_cndmask_b32 v11, v13, v11, s0 :: v_dual_cndmask_b32 v10, v12, v10, s0
	v_cmp_lt_u32_e64 s0, 1, v28
	s_delay_alu instid0(VALU_DEP_2) | instskip(NEXT) | instid1(VALU_DEP_3)
	v_mov_b32_dpp v13, v11 row_shr:2 row_mask:0xf bank_mask:0xf
	v_mov_b32_dpp v12, v10 row_shr:2 row_mask:0xf bank_mask:0xf
	s_delay_alu instid0(VALU_DEP_1) | instskip(NEXT) | instid1(VALU_DEP_1)
	v_dual_add_nc_u32 v13, v11, v13 :: v_dual_add_nc_u32 v12, v10, v12
	v_dual_cndmask_b32 v11, v11, v13, s0 :: v_dual_cndmask_b32 v10, v10, v12, s0
	v_cmp_lt_u32_e64 s0, 3, v28
	s_delay_alu instid0(VALU_DEP_2) | instskip(NEXT) | instid1(VALU_DEP_3)
	v_mov_b32_dpp v13, v11 row_shr:4 row_mask:0xf bank_mask:0xf
	v_mov_b32_dpp v12, v10 row_shr:4 row_mask:0xf bank_mask:0xf
	s_delay_alu instid0(VALU_DEP_1) | instskip(NEXT) | instid1(VALU_DEP_1)
	v_dual_cndmask_b32 v13, 0, v13, s0 :: v_dual_cndmask_b32 v12, 0, v12, s0
	v_dual_add_nc_u32 v11, v13, v11 :: v_dual_add_nc_u32 v10, v12, v10
	ds_store_b64 v9, v[10:11]
.LBB1586_145:
	s_or_b32 exec_lo, exec_lo, s1
	v_dual_mov_b32 v9, 0 :: v_dual_mov_b32 v10, 0
	v_mov_b32_e32 v11, 0
	s_mov_b32 s1, exec_lo
	s_wait_dscnt 0x0
	s_barrier_signal -1
	s_barrier_wait -1
	v_cmpx_lt_u32_e32 31, v0
; %bb.146:
	v_lshl_add_u32 v10, v69, 3, -8
	ds_load_b64 v[10:11], v10
; %bb.147:
	s_or_b32 exec_lo, exec_lo, s1
	v_sub_co_u32 v12, s0, v68, 1
	v_dual_cndmask_b32 v6, v8, v6 :: v_dual_cndmask_b32 v1, v7, v1
	s_delay_alu instid0(VALU_DEP_2) | instskip(SKIP_1) | instid1(VALU_DEP_1)
	v_cmp_gt_i32_e64 s1, 0, v12
	s_wait_dscnt 0x0
	v_dual_add_nc_u32 v6, v10, v6 :: v_dual_cndmask_b32 v8, v12, v68, s1
	s_delay_alu instid0(VALU_DEP_1)
	v_dual_lshlrev_b32 v7, 2, v8 :: v_dual_add_nc_u32 v8, v11, v1
	ds_bpermute_b32 v1, v7, v6
	ds_bpermute_b32 v12, v7, v8
	ds_load_b64 v[6:7], v9 offset:56
	s_and_saveexec_b32 s1, s2
	s_cbranch_execz .LBB1586_149
; %bb.148:
	s_add_nc_u64 s[6:7], s[36:37], 0x200
	v_dual_mov_b32 v8, 2 :: v_dual_mov_b32 v9, 0
	v_mov_b64_e32 v[28:29], s[6:7]
	s_wait_dscnt 0x0
	;;#ASMSTART
	global_store_b128 v[28:29], v[6:9] off scope:SCOPE_DEV	
s_wait_storecnt 0x0
	;;#ASMEND
.LBB1586_149:
	s_or_b32 exec_lo, exec_lo, s1
	s_wait_dscnt 0x1
	v_dual_cndmask_b32 v9, v12, v11, s0 :: v_dual_cndmask_b32 v11, v1, v10, s0
	v_dual_mov_b32 v10, 0 :: v_dual_mov_b32 v8, 0
	s_wait_dscnt 0x0
	v_mov_b32_e32 v12, v7
	s_delay_alu instid0(VALU_DEP_3)
	v_cndmask_b32_e64 v1, v9, 0, s2
	v_cndmask_b32_e64 v28, v11, 0, s2
	s_barrier_signal -1
	s_barrier_wait -1
.LBB1586_150:
	s_delay_alu instid0(VALU_DEP_1) | instskip(SKIP_2) | instid1(VALU_DEP_3)
	v_dual_add_nc_u32 v74, v1, v67 :: v_dual_add_nc_u32 v75, v28, v66
	v_dual_lshrrev_b32 v72, 16, v42 :: v_dual_lshrrev_b32 v7, 8, v42
	v_dual_lshrrev_b32 v73, 8, v36 :: v_dual_lshrrev_b32 v71, 16, v36
	v_dual_add_nc_u32 v65, v74, v65 :: v_dual_add_nc_u32 v64, v75, v64
	v_dual_mov_b32 v9, 0 :: v_dual_lshlrev_b32 v66, 1, v6
	s_delay_alu instid0(VALU_DEP_2) | instskip(NEXT) | instid1(VALU_DEP_3)
	v_dual_add_nc_u32 v76, v65, v49 :: v_dual_bitop2_b32 v36, 1, v36 bitop3:0x40
	v_add_nc_u32_e32 v63, v64, v63
	v_dual_sub_nc_u32 v28, v28, v8 :: v_dual_sub_nc_u32 v1, v1, v10
	s_delay_alu instid0(VALU_DEP_3) | instskip(NEXT) | instid1(VALU_DEP_3)
	v_dual_add_nc_u32 v62, v76, v62 :: v_dual_bitop2_b32 v77, 1, v7 bitop3:0x40
	v_dual_mov_b32 v7, v9 :: v_dual_add_nc_u32 v78, v63, v48
	v_mov_b32_e32 v11, v9
	s_delay_alu instid0(VALU_DEP_3) | instskip(SKIP_1) | instid1(VALU_DEP_4)
	v_dual_add_nc_u32 v1, v1, v6 :: v_dual_add_nc_u32 v61, v62, v61
	v_add3_u32 v15, v66, v12, v15
	v_add_nc_u32_e32 v60, v78, v60
	s_delay_alu instid0(VALU_DEP_3) | instskip(NEXT) | instid1(VALU_DEP_4)
	v_dual_sub_nc_u32 v74, v74, v10 :: v_dual_add_nc_u32 v81, v28, v1
	v_dual_add_nc_u32 v79, v61, v59 :: v_dual_sub_nc_u32 v75, v75, v8
	s_delay_alu instid0(VALU_DEP_3) | instskip(SKIP_1) | instid1(VALU_DEP_4)
	v_add_nc_u32_e32 v80, v60, v58
	v_cmp_eq_u32_e32 vcc_lo, 1, v77
	v_dual_add_nc_u32 v74, v74, v6 :: v_dual_sub_nc_u32 v64, v64, v8
	s_delay_alu instid0(VALU_DEP_3) | instskip(SKIP_2) | instid1(VALU_DEP_3)
	v_dual_add_nc_u32 v82, v79, v47 :: v_dual_add_nc_u32 v56, v80, v56
	v_dual_sub_nc_u32 v81, v15, v81 :: v_dual_sub_nc_u32 v65, v65, v10
	v_sub_nc_u64_e32 v[58:59], v[4:5], v[6:7]
	v_dual_add_nc_u32 v57, v82, v57 :: v_dual_add_nc_u32 v83, v56, v46
	s_delay_alu instid0(VALU_DEP_3) | instskip(SKIP_1) | instid1(VALU_DEP_3)
	v_dual_cndmask_b32 v1, v81, v1, vcc_lo :: v_dual_add_nc_u32 v81, v74, v75
	v_cmp_eq_u32_e32 vcc_lo, 1, v36
	v_dual_add_nc_u32 v55, v57, v55 :: v_dual_add_nc_u32 v77, v83, v53
	v_and_b32_e32 v72, 1, v72
	v_dual_sub_nc_u32 v63, v63, v8 :: v_dual_bitop2_b32 v49, 1, v49 bitop3:0x40
	s_delay_alu instid0(VALU_DEP_3) | instskip(NEXT) | instid1(VALU_DEP_4)
	v_dual_cndmask_b32 v1, v1, v28 :: v_dual_add_nc_u32 v28, v55, v54
	v_add_nc_u32_e32 v36, v77, v52
	v_add_nc_u32_e32 v54, v65, v6
	v_add_nc_u64_e32 v[52:53], v[58:59], v[10:11]
	s_delay_alu instid0(VALU_DEP_4)
	v_lshlrev_b32_e32 v1, 2, v1
	v_add_nc_u32_e32 v58, v28, v45
	v_dual_add_nc_u32 v51, v36, v51 :: v_dual_sub_nc_u32 v59, v15, v81
	v_add_nc_u32_e32 v65, v54, v64
	ds_store_b32 v1, v26
	v_dual_add_nc_u32 v1, v58, v50 :: v_dual_add_nc_u32 v26, v51, v44
	v_dual_sub_nc_u32 v73, v76, v10 :: v_dual_bitop2_b32 v50, 1, v73 bitop3:0x40
	v_dual_sub_nc_u32 v65, v15, v65 :: v_dual_add_nc_u32 v59, 1, v59
	v_cmp_eq_u32_e32 vcc_lo, 1, v72
	s_delay_alu instid0(VALU_DEP_3) | instskip(NEXT) | instid1(VALU_DEP_3)
	v_dual_add_nc_u32 v73, v73, v6 :: v_dual_bitop2_b32 v71, 1, v71 bitop3:0x40
	v_add_nc_u32_e32 v65, 2, v65
	v_dual_lshrrev_b32 v70, 8, v37 :: v_dual_lshrrev_b32 v69, 16, v37
	v_cndmask_b32_e32 v59, v59, v74, vcc_lo
	v_cmp_eq_u32_e32 vcc_lo, 1, v49
	v_dual_add_nc_u32 v72, v63, v73 :: v_dual_lshrrev_b32 v33, 16, v38
	v_dual_lshrrev_b32 v68, 8, v38 :: v_dual_lshrrev_b32 v31, 16, v40
	v_dual_cndmask_b32 v49, v65, v54 :: v_dual_lshrrev_b32 v32, 8, v40
	v_cmp_eq_u32_e32 vcc_lo, 1, v50
	s_delay_alu instid0(VALU_DEP_4)
	v_dual_sub_nc_u32 v54, v15, v72 :: v_dual_lshrrev_b32 v30, 8, v41
	v_dual_lshrrev_b32 v29, 16, v41 :: v_dual_sub_nc_u32 v1, v1, v10
	v_cndmask_b32_e32 v50, v59, v75, vcc_lo
	v_cmp_eq_u32_e32 vcc_lo, 1, v71
	v_dual_sub_nc_u32 v59, v62, v10 :: v_dual_bitop2_b32 v37, 1, v37 bitop3:0x40
	v_dual_add_nc_u32 v54, 3, v54 :: v_dual_bitop2_b32 v48, 1, v48 bitop3:0x40
	v_cndmask_b32_e32 v49, v49, v64, vcc_lo
	v_dual_sub_nc_u32 v62, v78, v8 :: v_dual_lshlrev_b32 v50, 2, v50
	s_delay_alu instid0(VALU_DEP_4) | instskip(SKIP_1) | instid1(VALU_DEP_4)
	v_add_nc_u32_e32 v59, v59, v6
	v_cmp_eq_u32_e32 vcc_lo, 1, v37
	v_lshlrev_b32_e32 v49, 2, v49
	v_add_nc_u64_e32 v[2:3], v[2:3], v[8:9]
	ds_store_b32 v50, v27
	v_dual_sub_nc_u32 v27, v61, v10 :: v_dual_cndmask_b32 v37, v54, v73, vcc_lo
	v_add_nc_u32_e32 v54, v62, v59
	v_cmp_eq_u32_e32 vcc_lo, 1, v48
	ds_store_b32 v49, v24
	v_dual_sub_nc_u32 v48, v60, v8 :: v_dual_sub_nc_u32 v50, v79, v10
	v_dual_cndmask_b32 v37, v37, v63 :: v_dual_sub_nc_u32 v24, v15, v54
	v_dual_add_nc_u32 v27, v27, v6 :: v_dual_mov_b32 v67, v9
	s_delay_alu instid0(VALU_DEP_2) | instskip(NEXT) | instid1(VALU_DEP_3)
	v_dual_mov_b32 v13, v9 :: v_dual_add_nc_u32 v24, 4, v24
	v_dual_lshlrev_b32 v37, 2, v37 :: v_dual_bitop2_b32 v49, 1, v70 bitop3:0x40
	s_delay_alu instid0(VALU_DEP_3)
	v_add_nc_u32_e32 v54, v48, v27
	s_mov_b32 s0, -1
	v_and_b32_e32 v40, 1, v40
	ds_store_b32 v37, v25
	v_cmp_eq_u32_e32 vcc_lo, 1, v49
	v_dual_sub_nc_u32 v49, v80, v8 :: v_dual_bitop2_b32 v38, 1, v38 bitop3:0x40
	v_dual_add_nc_u32 v50, v50, v6 :: v_dual_bitop2_b32 v37, 1, v69 bitop3:0x40
	v_cndmask_b32_e32 v24, v24, v59, vcc_lo
	s_delay_alu instid0(VALU_DEP_3) | instskip(SKIP_1) | instid1(VALU_DEP_3)
	v_cmp_eq_u32_e32 vcc_lo, 1, v38
	v_and_b32_e32 v32, 1, v32
	v_dual_cndmask_b32 v24, v24, v62, vcc_lo :: v_dual_bitop2_b32 v31, 1, v31 bitop3:0x40
	v_sub_nc_u32_e32 v54, v15, v54
	v_cmp_eq_u32_e32 vcc_lo, 1, v37
	s_delay_alu instid0(VALU_DEP_3) | instskip(NEXT) | instid1(VALU_DEP_3)
	v_dual_sub_nc_u32 v37, v57, v10 :: v_dual_lshlrev_b32 v24, 2, v24
	v_add_nc_u32_e32 v38, 5, v54
	v_dual_add_nc_u32 v25, v49, v50 :: v_dual_bitop2_b32 v54, 1, v68 bitop3:0x40
	ds_store_b32 v24, v22
	v_dual_cndmask_b32 v27, v38, v27, vcc_lo :: v_dual_sub_nc_u32 v25, v15, v25
	v_and_b32_e32 v22, 1, v47
	v_cmp_eq_u32_e32 vcc_lo, 1, v54
	v_dual_sub_nc_u32 v38, v55, v10 :: v_dual_sub_nc_u32 v47, v77, v8
	s_delay_alu instid0(VALU_DEP_4) | instskip(SKIP_3) | instid1(VALU_DEP_3)
	v_dual_cndmask_b32 v25, v27, v48 :: v_dual_add_nc_u32 v24, 6, v25
	v_sub_nc_u32_e32 v27, v82, v10
	v_cmp_eq_u32_e32 vcc_lo, 1, v22
	v_and_b32_e32 v33, 1, v33
	v_dual_lshlrev_b32 v25, 2, v25 :: v_dual_add_nc_u32 v27, v27, v6
	v_cndmask_b32_e32 v22, v24, v50, vcc_lo
	v_sub_nc_u32_e32 v24, v56, v8
	s_delay_alu instid0(VALU_DEP_4)
	v_cmp_eq_u32_e32 vcc_lo, 1, v33
	ds_store_b32 v25, v23
	v_dual_sub_nc_u32 v23, v83, v8 :: v_dual_add_nc_u32 v25, v37, v6
	v_dual_cndmask_b32 v22, v22, v49 :: v_dual_add_nc_u32 v33, v24, v27
	v_and_b32_e32 v37, 1, v46
	v_cmp_eq_u32_e32 vcc_lo, 1, v40
	s_delay_alu instid0(VALU_DEP_4) | instskip(NEXT) | instid1(VALU_DEP_4)
	v_add_nc_u32_e32 v46, v23, v25
	v_dual_sub_nc_u32 v33, v15, v33 :: v_dual_lshlrev_b32 v22, 2, v22
	s_delay_alu instid0(VALU_DEP_1)
	v_dual_sub_nc_u32 v46, v15, v46 :: v_dual_add_nc_u32 v33, 7, v33
	v_add_nc_u32_e32 v38, v38, v6
	ds_store_b32 v22, v20
	v_dual_cndmask_b32 v27, v33, v27, vcc_lo :: v_dual_bitop2_b32 v22, 1, v45 bitop3:0x40
	v_cmp_eq_u32_e32 vcc_lo, 1, v37
	v_add_nc_u32_e32 v33, v47, v38
	s_delay_alu instid0(VALU_DEP_3) | instskip(SKIP_2) | instid1(VALU_DEP_3)
	v_dual_add_nc_u32 v40, 8, v46 :: v_dual_cndmask_b32 v24, v27, v24, vcc_lo
	v_and_b32_e32 v27, 1, v41
	v_cmp_eq_u32_e32 vcc_lo, 1, v32
	v_dual_sub_nc_u32 v33, v15, v33 :: v_dual_lshlrev_b32 v24, 2, v24
	s_delay_alu instid0(VALU_DEP_4) | instskip(NEXT) | instid1(VALU_DEP_4)
	v_cndmask_b32_e32 v25, v40, v25, vcc_lo
	v_cmp_eq_u32_e32 vcc_lo, 1, v27
	s_delay_alu instid0(VALU_DEP_3) | instskip(NEXT) | instid1(VALU_DEP_3)
	v_dual_add_nc_u32 v32, 9, v33 :: v_dual_bitop2_b32 v27, 1, v30 bitop3:0x40
	v_dual_cndmask_b32 v23, v25, v23 :: v_dual_sub_nc_u32 v30, v36, v8
	v_sub_nc_u32_e32 v25, v28, v10
	v_cmp_eq_u32_e32 vcc_lo, 1, v31
	s_delay_alu instid0(VALU_DEP_2)
	v_dual_lshlrev_b32 v23, 2, v23 :: v_dual_add_nc_u32 v25, v25, v6
	v_cndmask_b32_e32 v28, v32, v38, vcc_lo
	v_cmp_eq_u32_e32 vcc_lo, 1, v27
	ds_store_b32 v24, v21
	ds_store_b32 v23, v18
	v_sub_nc_u32_e32 v21, v58, v10
	v_dual_add_nc_u32 v20, v30, v25 :: v_dual_sub_nc_u32 v23, v51, v8
	v_dual_cndmask_b32 v27, v28, v47 :: v_dual_sub_nc_u32 v8, v26, v8
	s_delay_alu instid0(VALU_DEP_2) | instskip(NEXT) | instid1(VALU_DEP_2)
	v_dual_add_nc_u32 v1, v1, v6 :: v_dual_sub_nc_u32 v20, v15, v20
	v_dual_add_nc_u32 v21, v21, v6 :: v_dual_lshlrev_b32 v18, 2, v27
	v_cmp_eq_u32_e32 vcc_lo, 1, v22
	s_delay_alu instid0(VALU_DEP_3) | instskip(SKIP_3) | instid1(VALU_DEP_1)
	v_dual_add_nc_u32 v22, v8, v1 :: v_dual_add_nc_u32 v20, 10, v20
	ds_store_b32 v18, v19
	v_cndmask_b32_e32 v20, v20, v25, vcc_lo
	v_add_nc_u32_e32 v26, v23, v21
	v_dual_sub_nc_u32 v18, v15, v26 :: v_dual_bitop2_b32 v24, 1, v29 bitop3:0x40
	s_delay_alu instid0(VALU_DEP_1) | instskip(SKIP_1) | instid1(VALU_DEP_3)
	v_cmp_eq_u32_e32 vcc_lo, 1, v24
	v_dual_sub_nc_u32 v15, v15, v22 :: v_dual_bitop2_b32 v24, 1, v39 bitop3:0x40
	v_dual_add_nc_u32 v25, 11, v18 :: v_dual_bitop2_b32 v22, 1, v44 bitop3:0x40
	v_cndmask_b32_e32 v20, v20, v30, vcc_lo
	s_delay_alu instid0(VALU_DEP_3) | instskip(SKIP_4) | instid1(VALU_DEP_4)
	v_cmp_eq_u32_e32 vcc_lo, 1, v24
	v_and_b32_e32 v26, 1, v43
	v_dual_add_nc_u32 v15, 12, v15 :: v_dual_bitop2_b32 v24, 1, v42 bitop3:0x40
	v_add_nc_u64_e32 v[18:19], v[12:13], v[66:67]
	v_cndmask_b32_e32 v21, v25, v21, vcc_lo
	v_cmp_eq_u32_e32 vcc_lo, 1, v26
	s_delay_alu instid0(VALU_DEP_4)
	v_dual_cndmask_b32 v1, v15, v1 :: v_dual_lshlrev_b32 v20, 2, v20
	v_cmp_eq_u32_e32 vcc_lo, 1, v22
	v_add_nc_u64_e32 v[18:19], v[18:19], v[52:53]
	v_mov_b32_e32 v15, v9
	ds_store_b32 v20, v16
	v_cndmask_b32_e32 v21, v21, v23, vcc_lo
	v_cmp_eq_u32_e32 vcc_lo, 1, v24
	s_delay_alu instid0(VALU_DEP_2)
	v_dual_cndmask_b32 v1, v1, v8 :: v_dual_lshlrev_b32 v22, 2, v21
	v_add_nc_u64_e32 v[8:9], s[34:35], v[14:15]
	v_add_nc_u64_e32 v[14:15], v[18:19], v[2:3]
	v_lshlrev_b64_e32 v[18:19], 2, v[52:53]
	v_lshlrev_b64_e32 v[20:21], 2, v[2:3]
	v_lshlrev_b32_e32 v1, 2, v1
	v_cmp_ne_u32_e32 vcc_lo, 1, v35
	v_sub_nc_u64_e32 v[14:15], v[8:9], v[14:15]
	v_add_nc_u64_e32 v[8:9], s[30:31], v[18:19]
	v_add_nc_u32_e32 v18, v6, v12
	ds_store_b32 v22, v17
	ds_store_b32 v1, v34
	v_add_nc_u64_e32 v[16:17], s[28:29], v[20:21]
	s_wait_dscnt 0x0
	s_barrier_signal -1
	s_barrier_wait -1
	s_cbranch_vccz .LBB1586_154
; %bb.151:
	s_and_b32 vcc_lo, exec_lo, s0
	s_cbranch_vccnz .LBB1586_259
.LBB1586_152:
	s_and_b32 s0, s2, s26
	s_delay_alu instid0(SALU_CYCLE_1)
	s_and_saveexec_b32 s1, s0
	s_cbranch_execnz .LBB1586_377
.LBB1586_153:
	s_sendmsg sendmsg(MSG_DEALLOC_VGPRS)
	s_endpgm
.LBB1586_154:
	s_mov_b32 s0, exec_lo
	v_cmpx_ge_u32_e64 v0, v6
	s_xor_b32 s0, exec_lo, s0
	s_cbranch_execz .LBB1586_160
; %bb.155:
	v_mov_b32_e32 v1, 0
	s_mov_b32 s1, exec_lo
	v_cmpx_ge_u32_e64 v0, v18
	s_xor_b32 s1, exec_lo, s1
	s_cbranch_execz .LBB1586_157
; %bb.156:
	v_lshlrev_b32_e32 v19, 2, v0
	v_add_nc_u64_e32 v[20:21], v[14:15], v[0:1]
	ds_load_b32 v1, v19
	v_lshlrev_b64_e32 v[20:21], 2, v[20:21]
	s_delay_alu instid0(VALU_DEP_1)
	v_sub_nc_u64_e32 v[20:21], s[14:15], v[20:21]
	s_wait_dscnt 0x0
	global_store_b32 v[20:21], v1, off offset:-4
.LBB1586_157:
	s_wait_xcnt 0x0
	s_and_not1_saveexec_b32 s1, s1
	s_cbranch_execz .LBB1586_159
; %bb.158:
	v_lshlrev_b32_e32 v1, 2, v0
	v_readfirstlane_b32 s6, v8
	v_readfirstlane_b32 s7, v9
	ds_load_b32 v1, v1
	s_wait_dscnt 0x0
	global_store_b32 v0, v1, s[6:7] scale_offset
.LBB1586_159:
	s_wait_xcnt 0x0
	s_or_b32 exec_lo, exec_lo, s1
.LBB1586_160:
	s_and_not1_saveexec_b32 s0, s0
	s_cbranch_execz .LBB1586_162
; %bb.161:
	v_lshlrev_b32_e32 v1, 2, v0
	v_readfirstlane_b32 s6, v16
	v_readfirstlane_b32 s7, v17
	ds_load_b32 v1, v1
	s_wait_dscnt 0x0
	global_store_b32 v0, v1, s[6:7] scale_offset
.LBB1586_162:
	s_wait_xcnt 0x0
	s_or_b32 exec_lo, exec_lo, s0
	v_or_b32_e32 v1, 0x100, v0
	s_mov_b32 s0, exec_lo
	s_delay_alu instid0(VALU_DEP_1)
	v_cmpx_ge_u32_e64 v1, v6
	s_xor_b32 s0, exec_lo, s0
	s_cbranch_execz .LBB1586_168
; %bb.163:
	s_mov_b32 s1, exec_lo
	v_cmpx_ge_u32_e64 v1, v18
	s_xor_b32 s1, exec_lo, s1
	s_cbranch_execz .LBB1586_165
; %bb.164:
	v_dual_mov_b32 v1, 0 :: v_dual_lshlrev_b32 v19, 2, v0
	s_delay_alu instid0(VALU_DEP_1) | instskip(SKIP_2) | instid1(VALU_DEP_1)
	v_add_nc_u64_e32 v[20:21], v[14:15], v[0:1]
	ds_load_b32 v1, v19 offset:1024
	v_lshlrev_b64_e32 v[20:21], 2, v[20:21]
	v_sub_nc_u64_e32 v[20:21], s[14:15], v[20:21]
	s_wait_dscnt 0x0
	global_store_b32 v[20:21], v1, off offset:-1028
.LBB1586_165:
	s_wait_xcnt 0x0
	s_and_not1_saveexec_b32 s1, s1
	s_cbranch_execz .LBB1586_167
; %bb.166:
	v_lshlrev_b32_e32 v1, 2, v0
	v_readfirstlane_b32 s6, v8
	v_readfirstlane_b32 s7, v9
	ds_load_b32 v1, v1 offset:1024
	s_wait_dscnt 0x0
	global_store_b32 v0, v1, s[6:7] offset:1024 scale_offset
.LBB1586_167:
	s_wait_xcnt 0x0
	s_or_b32 exec_lo, exec_lo, s1
.LBB1586_168:
	s_and_not1_saveexec_b32 s0, s0
	s_cbranch_execz .LBB1586_170
; %bb.169:
	v_lshlrev_b32_e32 v1, 2, v0
	v_readfirstlane_b32 s6, v16
	v_readfirstlane_b32 s7, v17
	ds_load_b32 v1, v1 offset:1024
	s_wait_dscnt 0x0
	global_store_b32 v0, v1, s[6:7] offset:1024 scale_offset
.LBB1586_170:
	s_wait_xcnt 0x0
	s_or_b32 exec_lo, exec_lo, s0
	v_or_b32_e32 v1, 0x200, v0
	s_mov_b32 s0, exec_lo
	s_delay_alu instid0(VALU_DEP_1)
	v_cmpx_ge_u32_e64 v1, v6
	s_xor_b32 s0, exec_lo, s0
	s_cbranch_execz .LBB1586_176
; %bb.171:
	s_mov_b32 s1, exec_lo
	v_cmpx_ge_u32_e64 v1, v18
	s_xor_b32 s1, exec_lo, s1
	s_cbranch_execz .LBB1586_173
; %bb.172:
	v_dual_mov_b32 v1, 0 :: v_dual_lshlrev_b32 v19, 2, v0
	s_delay_alu instid0(VALU_DEP_1) | instskip(SKIP_2) | instid1(VALU_DEP_1)
	v_add_nc_u64_e32 v[20:21], v[14:15], v[0:1]
	ds_load_b32 v1, v19 offset:2048
	v_lshlrev_b64_e32 v[20:21], 2, v[20:21]
	v_sub_nc_u64_e32 v[20:21], s[14:15], v[20:21]
	s_wait_dscnt 0x0
	global_store_b32 v[20:21], v1, off offset:-2052
.LBB1586_173:
	s_wait_xcnt 0x0
	s_and_not1_saveexec_b32 s1, s1
	s_cbranch_execz .LBB1586_175
; %bb.174:
	v_lshlrev_b32_e32 v1, 2, v0
	v_readfirstlane_b32 s6, v8
	v_readfirstlane_b32 s7, v9
	ds_load_b32 v1, v1 offset:2048
	s_wait_dscnt 0x0
	global_store_b32 v0, v1, s[6:7] offset:2048 scale_offset
.LBB1586_175:
	s_wait_xcnt 0x0
	s_or_b32 exec_lo, exec_lo, s1
.LBB1586_176:
	s_and_not1_saveexec_b32 s0, s0
	s_cbranch_execz .LBB1586_178
; %bb.177:
	v_lshlrev_b32_e32 v1, 2, v0
	v_readfirstlane_b32 s6, v16
	v_readfirstlane_b32 s7, v17
	ds_load_b32 v1, v1 offset:2048
	s_wait_dscnt 0x0
	global_store_b32 v0, v1, s[6:7] offset:2048 scale_offset
.LBB1586_178:
	;; [unrolled: 47-line block ×12, first 2 shown]
	s_wait_xcnt 0x0
	s_or_b32 exec_lo, exec_lo, s0
	s_branch .LBB1586_152
.LBB1586_259:
	s_mov_b32 s0, exec_lo
	v_cmpx_gt_u32_e64 s5, v0
	s_cbranch_execz .LBB1586_268
; %bb.260:
	s_mov_b32 s1, exec_lo
	v_cmpx_ge_u32_e64 v0, v6
	s_xor_b32 s1, exec_lo, s1
	s_cbranch_execz .LBB1586_266
; %bb.261:
	v_mov_b32_e32 v1, 0
	s_mov_b32 s3, exec_lo
	v_cmpx_ge_u32_e64 v0, v18
	s_xor_b32 s3, exec_lo, s3
	s_cbranch_execz .LBB1586_263
; %bb.262:
	v_lshlrev_b32_e32 v19, 2, v0
	v_add_nc_u64_e32 v[20:21], v[14:15], v[0:1]
	ds_load_b32 v1, v19
	v_lshlrev_b64_e32 v[20:21], 2, v[20:21]
	s_delay_alu instid0(VALU_DEP_1)
	v_sub_nc_u64_e32 v[20:21], s[14:15], v[20:21]
	s_wait_dscnt 0x0
	global_store_b32 v[20:21], v1, off offset:-4
.LBB1586_263:
	s_wait_xcnt 0x0
	s_and_not1_saveexec_b32 s3, s3
	s_cbranch_execz .LBB1586_265
; %bb.264:
	v_lshlrev_b32_e32 v1, 2, v0
	v_readfirstlane_b32 s6, v8
	v_readfirstlane_b32 s7, v9
	ds_load_b32 v1, v1
	s_wait_dscnt 0x0
	global_store_b32 v0, v1, s[6:7] scale_offset
.LBB1586_265:
	s_wait_xcnt 0x0
	s_or_b32 exec_lo, exec_lo, s3
.LBB1586_266:
	s_and_not1_saveexec_b32 s1, s1
	s_cbranch_execz .LBB1586_268
; %bb.267:
	v_lshlrev_b32_e32 v1, 2, v0
	v_readfirstlane_b32 s6, v16
	v_readfirstlane_b32 s7, v17
	ds_load_b32 v1, v1
	s_wait_dscnt 0x0
	global_store_b32 v0, v1, s[6:7] scale_offset
.LBB1586_268:
	s_wait_xcnt 0x0
	s_or_b32 exec_lo, exec_lo, s0
	v_or_b32_e32 v1, 0x100, v0
	s_mov_b32 s0, exec_lo
	s_delay_alu instid0(VALU_DEP_1)
	v_cmpx_gt_u32_e64 s5, v1
	s_cbranch_execz .LBB1586_277
; %bb.269:
	s_mov_b32 s1, exec_lo
	v_cmpx_ge_u32_e64 v1, v6
	s_xor_b32 s1, exec_lo, s1
	s_cbranch_execz .LBB1586_275
; %bb.270:
	s_mov_b32 s3, exec_lo
	v_cmpx_ge_u32_e64 v1, v18
	s_xor_b32 s3, exec_lo, s3
	s_cbranch_execz .LBB1586_272
; %bb.271:
	v_dual_mov_b32 v1, 0 :: v_dual_lshlrev_b32 v19, 2, v0
	s_delay_alu instid0(VALU_DEP_1) | instskip(SKIP_2) | instid1(VALU_DEP_1)
	v_add_nc_u64_e32 v[20:21], v[14:15], v[0:1]
	ds_load_b32 v1, v19 offset:1024
	v_lshlrev_b64_e32 v[20:21], 2, v[20:21]
	v_sub_nc_u64_e32 v[20:21], s[14:15], v[20:21]
	s_wait_dscnt 0x0
	global_store_b32 v[20:21], v1, off offset:-1028
.LBB1586_272:
	s_wait_xcnt 0x0
	s_and_not1_saveexec_b32 s3, s3
	s_cbranch_execz .LBB1586_274
; %bb.273:
	v_lshlrev_b32_e32 v1, 2, v0
	v_readfirstlane_b32 s6, v8
	v_readfirstlane_b32 s7, v9
	ds_load_b32 v1, v1 offset:1024
	s_wait_dscnt 0x0
	global_store_b32 v0, v1, s[6:7] offset:1024 scale_offset
.LBB1586_274:
	s_wait_xcnt 0x0
	s_or_b32 exec_lo, exec_lo, s3
.LBB1586_275:
	s_and_not1_saveexec_b32 s1, s1
	s_cbranch_execz .LBB1586_277
; %bb.276:
	v_lshlrev_b32_e32 v1, 2, v0
	v_readfirstlane_b32 s6, v16
	v_readfirstlane_b32 s7, v17
	ds_load_b32 v1, v1 offset:1024
	s_wait_dscnt 0x0
	global_store_b32 v0, v1, s[6:7] offset:1024 scale_offset
.LBB1586_277:
	s_wait_xcnt 0x0
	s_or_b32 exec_lo, exec_lo, s0
	v_or_b32_e32 v1, 0x200, v0
	s_mov_b32 s0, exec_lo
	s_delay_alu instid0(VALU_DEP_1)
	v_cmpx_gt_u32_e64 s5, v1
	s_cbranch_execz .LBB1586_286
; %bb.278:
	s_mov_b32 s1, exec_lo
	v_cmpx_ge_u32_e64 v1, v6
	s_xor_b32 s1, exec_lo, s1
	s_cbranch_execz .LBB1586_284
; %bb.279:
	s_mov_b32 s3, exec_lo
	v_cmpx_ge_u32_e64 v1, v18
	s_xor_b32 s3, exec_lo, s3
	s_cbranch_execz .LBB1586_281
; %bb.280:
	v_dual_mov_b32 v1, 0 :: v_dual_lshlrev_b32 v19, 2, v0
	s_delay_alu instid0(VALU_DEP_1) | instskip(SKIP_2) | instid1(VALU_DEP_1)
	v_add_nc_u64_e32 v[20:21], v[14:15], v[0:1]
	ds_load_b32 v1, v19 offset:2048
	v_lshlrev_b64_e32 v[20:21], 2, v[20:21]
	v_sub_nc_u64_e32 v[20:21], s[14:15], v[20:21]
	s_wait_dscnt 0x0
	global_store_b32 v[20:21], v1, off offset:-2052
.LBB1586_281:
	s_wait_xcnt 0x0
	s_and_not1_saveexec_b32 s3, s3
	s_cbranch_execz .LBB1586_283
; %bb.282:
	v_lshlrev_b32_e32 v1, 2, v0
	v_readfirstlane_b32 s6, v8
	v_readfirstlane_b32 s7, v9
	ds_load_b32 v1, v1 offset:2048
	s_wait_dscnt 0x0
	global_store_b32 v0, v1, s[6:7] offset:2048 scale_offset
.LBB1586_283:
	s_wait_xcnt 0x0
	s_or_b32 exec_lo, exec_lo, s3
.LBB1586_284:
	s_and_not1_saveexec_b32 s1, s1
	s_cbranch_execz .LBB1586_286
; %bb.285:
	v_lshlrev_b32_e32 v1, 2, v0
	v_readfirstlane_b32 s6, v16
	v_readfirstlane_b32 s7, v17
	ds_load_b32 v1, v1 offset:2048
	s_wait_dscnt 0x0
	global_store_b32 v0, v1, s[6:7] offset:2048 scale_offset
.LBB1586_286:
	;; [unrolled: 51-line block ×11, first 2 shown]
	s_wait_xcnt 0x0
	s_or_b32 exec_lo, exec_lo, s0
	v_or_b32_e32 v1, 0xc00, v0
	s_mov_b32 s0, exec_lo
	s_delay_alu instid0(VALU_DEP_1)
	v_cmpx_gt_u32_e64 s5, v1
	s_cbranch_execz .LBB1586_376
; %bb.368:
	s_mov_b32 s1, exec_lo
	v_cmpx_ge_u32_e64 v1, v6
	s_xor_b32 s1, exec_lo, s1
	s_cbranch_execz .LBB1586_374
; %bb.369:
	s_mov_b32 s3, exec_lo
	v_cmpx_ge_u32_e64 v1, v18
	s_xor_b32 s3, exec_lo, s3
	s_cbranch_execz .LBB1586_371
; %bb.370:
	v_dual_mov_b32 v1, 0 :: v_dual_lshlrev_b32 v8, 2, v0
	s_delay_alu instid0(VALU_DEP_1) | instskip(SKIP_2) | instid1(VALU_DEP_1)
	v_add_nc_u64_e32 v[0:1], v[14:15], v[0:1]
	ds_load_b32 v8, v8 offset:12288
	v_lshlrev_b64_e32 v[0:1], 2, v[0:1]
	v_sub_nc_u64_e32 v[0:1], s[14:15], v[0:1]
	s_wait_dscnt 0x0
	global_store_b32 v[0:1], v8, off offset:-12292
                                        ; implicit-def: $vgpr0
                                        ; implicit-def: $vgpr8_vgpr9
.LBB1586_371:
	s_wait_xcnt 0x0
	s_and_not1_saveexec_b32 s3, s3
	s_cbranch_execz .LBB1586_373
; %bb.372:
	v_lshlrev_b32_e32 v1, 2, v0
	v_readfirstlane_b32 s4, v8
	v_readfirstlane_b32 s5, v9
	ds_load_b32 v1, v1 offset:12288
	s_wait_dscnt 0x0
	global_store_b32 v0, v1, s[4:5] offset:12288 scale_offset
.LBB1586_373:
	s_wait_xcnt 0x0
	s_or_b32 exec_lo, exec_lo, s3
                                        ; implicit-def: $vgpr0
                                        ; implicit-def: $vgpr16_vgpr17
.LBB1586_374:
	s_and_not1_saveexec_b32 s1, s1
	s_cbranch_execz .LBB1586_376
; %bb.375:
	v_lshlrev_b32_e32 v1, 2, v0
	v_readfirstlane_b32 s4, v16
	v_readfirstlane_b32 s5, v17
	ds_load_b32 v1, v1 offset:12288
	s_wait_dscnt 0x0
	global_store_b32 v0, v1, s[4:5] offset:12288 scale_offset
.LBB1586_376:
	s_wait_xcnt 0x0
	s_or_b32 exec_lo, exec_lo, s0
	s_and_b32 s0, s2, s26
	s_delay_alu instid0(SALU_CYCLE_1)
	s_and_saveexec_b32 s1, s0
	s_cbranch_execz .LBB1586_153
.LBB1586_377:
	v_add_nc_u64_e32 v[0:1], v[4:5], v[12:13]
	v_add_nc_u64_e32 v[2:3], v[2:3], v[6:7]
	s_delay_alu instid0(VALU_DEP_2)
	v_add_nc_u64_e32 v[4:5], v[0:1], v[10:11]
	v_mov_b32_e32 v0, 0
	global_store_b128 v0, v[2:5], s[24:25]
	s_sendmsg sendmsg(MSG_DEALLOC_VGPRS)
	s_endpgm
	.section	.rodata,"a",@progbits
	.p2align	6, 0x0
	.amdhsa_kernel _ZN7rocprim17ROCPRIM_400000_NS6detail17trampoline_kernelINS0_13select_configILj256ELj13ELNS0_17block_load_methodE3ELS4_3ELS4_3ELNS0_20block_scan_algorithmE0ELj4294967295EEENS1_25partition_config_selectorILNS1_17partition_subalgoE4EjNS0_10empty_typeEbEEZZNS1_14partition_implILS8_4ELb0ES6_15HIP_vector_typeIjLj2EENS0_17counting_iteratorIjlEEPS9_SG_NS0_5tupleIJPjSI_NS0_16reverse_iteratorISI_EEEEENSH_IJSG_SG_SG_EEES9_SI_JZNS1_25segmented_radix_sort_implINS0_14default_configELb0EPKbPbPKlPlN2at6native12_GLOBAL__N_18offset_tEEE10hipError_tPvRmT1_PNSt15iterator_traitsIS12_E10value_typeET2_T3_PNS13_IS18_E10value_typeET4_jRbjT5_S1E_jjP12ihipStream_tbEUljE_ZNSN_ISO_Lb0ESQ_SR_ST_SU_SY_EESZ_S10_S11_S12_S16_S17_S18_S1B_S1C_jS1D_jS1E_S1E_jjS1G_bEUljE0_EEESZ_S10_S11_S18_S1C_S1E_T6_T7_T9_mT8_S1G_bDpT10_ENKUlT_T0_E_clISt17integral_constantIbLb0EES1T_IbLb1EEEEDaS1P_S1Q_EUlS1P_E_NS1_11comp_targetILNS1_3genE0ELNS1_11target_archE4294967295ELNS1_3gpuE0ELNS1_3repE0EEENS1_30default_config_static_selectorELNS0_4arch9wavefront6targetE0EEEvS12_
		.amdhsa_group_segment_fixed_size 13328
		.amdhsa_private_segment_fixed_size 0
		.amdhsa_kernarg_size 184
		.amdhsa_user_sgpr_count 2
		.amdhsa_user_sgpr_dispatch_ptr 0
		.amdhsa_user_sgpr_queue_ptr 0
		.amdhsa_user_sgpr_kernarg_segment_ptr 1
		.amdhsa_user_sgpr_dispatch_id 0
		.amdhsa_user_sgpr_kernarg_preload_length 0
		.amdhsa_user_sgpr_kernarg_preload_offset 0
		.amdhsa_user_sgpr_private_segment_size 0
		.amdhsa_wavefront_size32 1
		.amdhsa_uses_dynamic_stack 0
		.amdhsa_enable_private_segment 0
		.amdhsa_system_sgpr_workgroup_id_x 1
		.amdhsa_system_sgpr_workgroup_id_y 0
		.amdhsa_system_sgpr_workgroup_id_z 0
		.amdhsa_system_sgpr_workgroup_info 0
		.amdhsa_system_vgpr_workitem_id 0
		.amdhsa_next_free_vgpr 86
		.amdhsa_next_free_sgpr 55
		.amdhsa_named_barrier_count 0
		.amdhsa_reserve_vcc 1
		.amdhsa_float_round_mode_32 0
		.amdhsa_float_round_mode_16_64 0
		.amdhsa_float_denorm_mode_32 3
		.amdhsa_float_denorm_mode_16_64 3
		.amdhsa_fp16_overflow 0
		.amdhsa_memory_ordered 1
		.amdhsa_forward_progress 1
		.amdhsa_inst_pref_size 140
		.amdhsa_round_robin_scheduling 0
		.amdhsa_exception_fp_ieee_invalid_op 0
		.amdhsa_exception_fp_denorm_src 0
		.amdhsa_exception_fp_ieee_div_zero 0
		.amdhsa_exception_fp_ieee_overflow 0
		.amdhsa_exception_fp_ieee_underflow 0
		.amdhsa_exception_fp_ieee_inexact 0
		.amdhsa_exception_int_div_zero 0
	.end_amdhsa_kernel
	.section	.text._ZN7rocprim17ROCPRIM_400000_NS6detail17trampoline_kernelINS0_13select_configILj256ELj13ELNS0_17block_load_methodE3ELS4_3ELS4_3ELNS0_20block_scan_algorithmE0ELj4294967295EEENS1_25partition_config_selectorILNS1_17partition_subalgoE4EjNS0_10empty_typeEbEEZZNS1_14partition_implILS8_4ELb0ES6_15HIP_vector_typeIjLj2EENS0_17counting_iteratorIjlEEPS9_SG_NS0_5tupleIJPjSI_NS0_16reverse_iteratorISI_EEEEENSH_IJSG_SG_SG_EEES9_SI_JZNS1_25segmented_radix_sort_implINS0_14default_configELb0EPKbPbPKlPlN2at6native12_GLOBAL__N_18offset_tEEE10hipError_tPvRmT1_PNSt15iterator_traitsIS12_E10value_typeET2_T3_PNS13_IS18_E10value_typeET4_jRbjT5_S1E_jjP12ihipStream_tbEUljE_ZNSN_ISO_Lb0ESQ_SR_ST_SU_SY_EESZ_S10_S11_S12_S16_S17_S18_S1B_S1C_jS1D_jS1E_S1E_jjS1G_bEUljE0_EEESZ_S10_S11_S18_S1C_S1E_T6_T7_T9_mT8_S1G_bDpT10_ENKUlT_T0_E_clISt17integral_constantIbLb0EES1T_IbLb1EEEEDaS1P_S1Q_EUlS1P_E_NS1_11comp_targetILNS1_3genE0ELNS1_11target_archE4294967295ELNS1_3gpuE0ELNS1_3repE0EEENS1_30default_config_static_selectorELNS0_4arch9wavefront6targetE0EEEvS12_,"axG",@progbits,_ZN7rocprim17ROCPRIM_400000_NS6detail17trampoline_kernelINS0_13select_configILj256ELj13ELNS0_17block_load_methodE3ELS4_3ELS4_3ELNS0_20block_scan_algorithmE0ELj4294967295EEENS1_25partition_config_selectorILNS1_17partition_subalgoE4EjNS0_10empty_typeEbEEZZNS1_14partition_implILS8_4ELb0ES6_15HIP_vector_typeIjLj2EENS0_17counting_iteratorIjlEEPS9_SG_NS0_5tupleIJPjSI_NS0_16reverse_iteratorISI_EEEEENSH_IJSG_SG_SG_EEES9_SI_JZNS1_25segmented_radix_sort_implINS0_14default_configELb0EPKbPbPKlPlN2at6native12_GLOBAL__N_18offset_tEEE10hipError_tPvRmT1_PNSt15iterator_traitsIS12_E10value_typeET2_T3_PNS13_IS18_E10value_typeET4_jRbjT5_S1E_jjP12ihipStream_tbEUljE_ZNSN_ISO_Lb0ESQ_SR_ST_SU_SY_EESZ_S10_S11_S12_S16_S17_S18_S1B_S1C_jS1D_jS1E_S1E_jjS1G_bEUljE0_EEESZ_S10_S11_S18_S1C_S1E_T6_T7_T9_mT8_S1G_bDpT10_ENKUlT_T0_E_clISt17integral_constantIbLb0EES1T_IbLb1EEEEDaS1P_S1Q_EUlS1P_E_NS1_11comp_targetILNS1_3genE0ELNS1_11target_archE4294967295ELNS1_3gpuE0ELNS1_3repE0EEENS1_30default_config_static_selectorELNS0_4arch9wavefront6targetE0EEEvS12_,comdat
.Lfunc_end1586:
	.size	_ZN7rocprim17ROCPRIM_400000_NS6detail17trampoline_kernelINS0_13select_configILj256ELj13ELNS0_17block_load_methodE3ELS4_3ELS4_3ELNS0_20block_scan_algorithmE0ELj4294967295EEENS1_25partition_config_selectorILNS1_17partition_subalgoE4EjNS0_10empty_typeEbEEZZNS1_14partition_implILS8_4ELb0ES6_15HIP_vector_typeIjLj2EENS0_17counting_iteratorIjlEEPS9_SG_NS0_5tupleIJPjSI_NS0_16reverse_iteratorISI_EEEEENSH_IJSG_SG_SG_EEES9_SI_JZNS1_25segmented_radix_sort_implINS0_14default_configELb0EPKbPbPKlPlN2at6native12_GLOBAL__N_18offset_tEEE10hipError_tPvRmT1_PNSt15iterator_traitsIS12_E10value_typeET2_T3_PNS13_IS18_E10value_typeET4_jRbjT5_S1E_jjP12ihipStream_tbEUljE_ZNSN_ISO_Lb0ESQ_SR_ST_SU_SY_EESZ_S10_S11_S12_S16_S17_S18_S1B_S1C_jS1D_jS1E_S1E_jjS1G_bEUljE0_EEESZ_S10_S11_S18_S1C_S1E_T6_T7_T9_mT8_S1G_bDpT10_ENKUlT_T0_E_clISt17integral_constantIbLb0EES1T_IbLb1EEEEDaS1P_S1Q_EUlS1P_E_NS1_11comp_targetILNS1_3genE0ELNS1_11target_archE4294967295ELNS1_3gpuE0ELNS1_3repE0EEENS1_30default_config_static_selectorELNS0_4arch9wavefront6targetE0EEEvS12_, .Lfunc_end1586-_ZN7rocprim17ROCPRIM_400000_NS6detail17trampoline_kernelINS0_13select_configILj256ELj13ELNS0_17block_load_methodE3ELS4_3ELS4_3ELNS0_20block_scan_algorithmE0ELj4294967295EEENS1_25partition_config_selectorILNS1_17partition_subalgoE4EjNS0_10empty_typeEbEEZZNS1_14partition_implILS8_4ELb0ES6_15HIP_vector_typeIjLj2EENS0_17counting_iteratorIjlEEPS9_SG_NS0_5tupleIJPjSI_NS0_16reverse_iteratorISI_EEEEENSH_IJSG_SG_SG_EEES9_SI_JZNS1_25segmented_radix_sort_implINS0_14default_configELb0EPKbPbPKlPlN2at6native12_GLOBAL__N_18offset_tEEE10hipError_tPvRmT1_PNSt15iterator_traitsIS12_E10value_typeET2_T3_PNS13_IS18_E10value_typeET4_jRbjT5_S1E_jjP12ihipStream_tbEUljE_ZNSN_ISO_Lb0ESQ_SR_ST_SU_SY_EESZ_S10_S11_S12_S16_S17_S18_S1B_S1C_jS1D_jS1E_S1E_jjS1G_bEUljE0_EEESZ_S10_S11_S18_S1C_S1E_T6_T7_T9_mT8_S1G_bDpT10_ENKUlT_T0_E_clISt17integral_constantIbLb0EES1T_IbLb1EEEEDaS1P_S1Q_EUlS1P_E_NS1_11comp_targetILNS1_3genE0ELNS1_11target_archE4294967295ELNS1_3gpuE0ELNS1_3repE0EEENS1_30default_config_static_selectorELNS0_4arch9wavefront6targetE0EEEvS12_
                                        ; -- End function
	.set _ZN7rocprim17ROCPRIM_400000_NS6detail17trampoline_kernelINS0_13select_configILj256ELj13ELNS0_17block_load_methodE3ELS4_3ELS4_3ELNS0_20block_scan_algorithmE0ELj4294967295EEENS1_25partition_config_selectorILNS1_17partition_subalgoE4EjNS0_10empty_typeEbEEZZNS1_14partition_implILS8_4ELb0ES6_15HIP_vector_typeIjLj2EENS0_17counting_iteratorIjlEEPS9_SG_NS0_5tupleIJPjSI_NS0_16reverse_iteratorISI_EEEEENSH_IJSG_SG_SG_EEES9_SI_JZNS1_25segmented_radix_sort_implINS0_14default_configELb0EPKbPbPKlPlN2at6native12_GLOBAL__N_18offset_tEEE10hipError_tPvRmT1_PNSt15iterator_traitsIS12_E10value_typeET2_T3_PNS13_IS18_E10value_typeET4_jRbjT5_S1E_jjP12ihipStream_tbEUljE_ZNSN_ISO_Lb0ESQ_SR_ST_SU_SY_EESZ_S10_S11_S12_S16_S17_S18_S1B_S1C_jS1D_jS1E_S1E_jjS1G_bEUljE0_EEESZ_S10_S11_S18_S1C_S1E_T6_T7_T9_mT8_S1G_bDpT10_ENKUlT_T0_E_clISt17integral_constantIbLb0EES1T_IbLb1EEEEDaS1P_S1Q_EUlS1P_E_NS1_11comp_targetILNS1_3genE0ELNS1_11target_archE4294967295ELNS1_3gpuE0ELNS1_3repE0EEENS1_30default_config_static_selectorELNS0_4arch9wavefront6targetE0EEEvS12_.num_vgpr, 86
	.set _ZN7rocprim17ROCPRIM_400000_NS6detail17trampoline_kernelINS0_13select_configILj256ELj13ELNS0_17block_load_methodE3ELS4_3ELS4_3ELNS0_20block_scan_algorithmE0ELj4294967295EEENS1_25partition_config_selectorILNS1_17partition_subalgoE4EjNS0_10empty_typeEbEEZZNS1_14partition_implILS8_4ELb0ES6_15HIP_vector_typeIjLj2EENS0_17counting_iteratorIjlEEPS9_SG_NS0_5tupleIJPjSI_NS0_16reverse_iteratorISI_EEEEENSH_IJSG_SG_SG_EEES9_SI_JZNS1_25segmented_radix_sort_implINS0_14default_configELb0EPKbPbPKlPlN2at6native12_GLOBAL__N_18offset_tEEE10hipError_tPvRmT1_PNSt15iterator_traitsIS12_E10value_typeET2_T3_PNS13_IS18_E10value_typeET4_jRbjT5_S1E_jjP12ihipStream_tbEUljE_ZNSN_ISO_Lb0ESQ_SR_ST_SU_SY_EESZ_S10_S11_S12_S16_S17_S18_S1B_S1C_jS1D_jS1E_S1E_jjS1G_bEUljE0_EEESZ_S10_S11_S18_S1C_S1E_T6_T7_T9_mT8_S1G_bDpT10_ENKUlT_T0_E_clISt17integral_constantIbLb0EES1T_IbLb1EEEEDaS1P_S1Q_EUlS1P_E_NS1_11comp_targetILNS1_3genE0ELNS1_11target_archE4294967295ELNS1_3gpuE0ELNS1_3repE0EEENS1_30default_config_static_selectorELNS0_4arch9wavefront6targetE0EEEvS12_.num_agpr, 0
	.set _ZN7rocprim17ROCPRIM_400000_NS6detail17trampoline_kernelINS0_13select_configILj256ELj13ELNS0_17block_load_methodE3ELS4_3ELS4_3ELNS0_20block_scan_algorithmE0ELj4294967295EEENS1_25partition_config_selectorILNS1_17partition_subalgoE4EjNS0_10empty_typeEbEEZZNS1_14partition_implILS8_4ELb0ES6_15HIP_vector_typeIjLj2EENS0_17counting_iteratorIjlEEPS9_SG_NS0_5tupleIJPjSI_NS0_16reverse_iteratorISI_EEEEENSH_IJSG_SG_SG_EEES9_SI_JZNS1_25segmented_radix_sort_implINS0_14default_configELb0EPKbPbPKlPlN2at6native12_GLOBAL__N_18offset_tEEE10hipError_tPvRmT1_PNSt15iterator_traitsIS12_E10value_typeET2_T3_PNS13_IS18_E10value_typeET4_jRbjT5_S1E_jjP12ihipStream_tbEUljE_ZNSN_ISO_Lb0ESQ_SR_ST_SU_SY_EESZ_S10_S11_S12_S16_S17_S18_S1B_S1C_jS1D_jS1E_S1E_jjS1G_bEUljE0_EEESZ_S10_S11_S18_S1C_S1E_T6_T7_T9_mT8_S1G_bDpT10_ENKUlT_T0_E_clISt17integral_constantIbLb0EES1T_IbLb1EEEEDaS1P_S1Q_EUlS1P_E_NS1_11comp_targetILNS1_3genE0ELNS1_11target_archE4294967295ELNS1_3gpuE0ELNS1_3repE0EEENS1_30default_config_static_selectorELNS0_4arch9wavefront6targetE0EEEvS12_.numbered_sgpr, 55
	.set _ZN7rocprim17ROCPRIM_400000_NS6detail17trampoline_kernelINS0_13select_configILj256ELj13ELNS0_17block_load_methodE3ELS4_3ELS4_3ELNS0_20block_scan_algorithmE0ELj4294967295EEENS1_25partition_config_selectorILNS1_17partition_subalgoE4EjNS0_10empty_typeEbEEZZNS1_14partition_implILS8_4ELb0ES6_15HIP_vector_typeIjLj2EENS0_17counting_iteratorIjlEEPS9_SG_NS0_5tupleIJPjSI_NS0_16reverse_iteratorISI_EEEEENSH_IJSG_SG_SG_EEES9_SI_JZNS1_25segmented_radix_sort_implINS0_14default_configELb0EPKbPbPKlPlN2at6native12_GLOBAL__N_18offset_tEEE10hipError_tPvRmT1_PNSt15iterator_traitsIS12_E10value_typeET2_T3_PNS13_IS18_E10value_typeET4_jRbjT5_S1E_jjP12ihipStream_tbEUljE_ZNSN_ISO_Lb0ESQ_SR_ST_SU_SY_EESZ_S10_S11_S12_S16_S17_S18_S1B_S1C_jS1D_jS1E_S1E_jjS1G_bEUljE0_EEESZ_S10_S11_S18_S1C_S1E_T6_T7_T9_mT8_S1G_bDpT10_ENKUlT_T0_E_clISt17integral_constantIbLb0EES1T_IbLb1EEEEDaS1P_S1Q_EUlS1P_E_NS1_11comp_targetILNS1_3genE0ELNS1_11target_archE4294967295ELNS1_3gpuE0ELNS1_3repE0EEENS1_30default_config_static_selectorELNS0_4arch9wavefront6targetE0EEEvS12_.num_named_barrier, 0
	.set _ZN7rocprim17ROCPRIM_400000_NS6detail17trampoline_kernelINS0_13select_configILj256ELj13ELNS0_17block_load_methodE3ELS4_3ELS4_3ELNS0_20block_scan_algorithmE0ELj4294967295EEENS1_25partition_config_selectorILNS1_17partition_subalgoE4EjNS0_10empty_typeEbEEZZNS1_14partition_implILS8_4ELb0ES6_15HIP_vector_typeIjLj2EENS0_17counting_iteratorIjlEEPS9_SG_NS0_5tupleIJPjSI_NS0_16reverse_iteratorISI_EEEEENSH_IJSG_SG_SG_EEES9_SI_JZNS1_25segmented_radix_sort_implINS0_14default_configELb0EPKbPbPKlPlN2at6native12_GLOBAL__N_18offset_tEEE10hipError_tPvRmT1_PNSt15iterator_traitsIS12_E10value_typeET2_T3_PNS13_IS18_E10value_typeET4_jRbjT5_S1E_jjP12ihipStream_tbEUljE_ZNSN_ISO_Lb0ESQ_SR_ST_SU_SY_EESZ_S10_S11_S12_S16_S17_S18_S1B_S1C_jS1D_jS1E_S1E_jjS1G_bEUljE0_EEESZ_S10_S11_S18_S1C_S1E_T6_T7_T9_mT8_S1G_bDpT10_ENKUlT_T0_E_clISt17integral_constantIbLb0EES1T_IbLb1EEEEDaS1P_S1Q_EUlS1P_E_NS1_11comp_targetILNS1_3genE0ELNS1_11target_archE4294967295ELNS1_3gpuE0ELNS1_3repE0EEENS1_30default_config_static_selectorELNS0_4arch9wavefront6targetE0EEEvS12_.private_seg_size, 0
	.set _ZN7rocprim17ROCPRIM_400000_NS6detail17trampoline_kernelINS0_13select_configILj256ELj13ELNS0_17block_load_methodE3ELS4_3ELS4_3ELNS0_20block_scan_algorithmE0ELj4294967295EEENS1_25partition_config_selectorILNS1_17partition_subalgoE4EjNS0_10empty_typeEbEEZZNS1_14partition_implILS8_4ELb0ES6_15HIP_vector_typeIjLj2EENS0_17counting_iteratorIjlEEPS9_SG_NS0_5tupleIJPjSI_NS0_16reverse_iteratorISI_EEEEENSH_IJSG_SG_SG_EEES9_SI_JZNS1_25segmented_radix_sort_implINS0_14default_configELb0EPKbPbPKlPlN2at6native12_GLOBAL__N_18offset_tEEE10hipError_tPvRmT1_PNSt15iterator_traitsIS12_E10value_typeET2_T3_PNS13_IS18_E10value_typeET4_jRbjT5_S1E_jjP12ihipStream_tbEUljE_ZNSN_ISO_Lb0ESQ_SR_ST_SU_SY_EESZ_S10_S11_S12_S16_S17_S18_S1B_S1C_jS1D_jS1E_S1E_jjS1G_bEUljE0_EEESZ_S10_S11_S18_S1C_S1E_T6_T7_T9_mT8_S1G_bDpT10_ENKUlT_T0_E_clISt17integral_constantIbLb0EES1T_IbLb1EEEEDaS1P_S1Q_EUlS1P_E_NS1_11comp_targetILNS1_3genE0ELNS1_11target_archE4294967295ELNS1_3gpuE0ELNS1_3repE0EEENS1_30default_config_static_selectorELNS0_4arch9wavefront6targetE0EEEvS12_.uses_vcc, 1
	.set _ZN7rocprim17ROCPRIM_400000_NS6detail17trampoline_kernelINS0_13select_configILj256ELj13ELNS0_17block_load_methodE3ELS4_3ELS4_3ELNS0_20block_scan_algorithmE0ELj4294967295EEENS1_25partition_config_selectorILNS1_17partition_subalgoE4EjNS0_10empty_typeEbEEZZNS1_14partition_implILS8_4ELb0ES6_15HIP_vector_typeIjLj2EENS0_17counting_iteratorIjlEEPS9_SG_NS0_5tupleIJPjSI_NS0_16reverse_iteratorISI_EEEEENSH_IJSG_SG_SG_EEES9_SI_JZNS1_25segmented_radix_sort_implINS0_14default_configELb0EPKbPbPKlPlN2at6native12_GLOBAL__N_18offset_tEEE10hipError_tPvRmT1_PNSt15iterator_traitsIS12_E10value_typeET2_T3_PNS13_IS18_E10value_typeET4_jRbjT5_S1E_jjP12ihipStream_tbEUljE_ZNSN_ISO_Lb0ESQ_SR_ST_SU_SY_EESZ_S10_S11_S12_S16_S17_S18_S1B_S1C_jS1D_jS1E_S1E_jjS1G_bEUljE0_EEESZ_S10_S11_S18_S1C_S1E_T6_T7_T9_mT8_S1G_bDpT10_ENKUlT_T0_E_clISt17integral_constantIbLb0EES1T_IbLb1EEEEDaS1P_S1Q_EUlS1P_E_NS1_11comp_targetILNS1_3genE0ELNS1_11target_archE4294967295ELNS1_3gpuE0ELNS1_3repE0EEENS1_30default_config_static_selectorELNS0_4arch9wavefront6targetE0EEEvS12_.uses_flat_scratch, 0
	.set _ZN7rocprim17ROCPRIM_400000_NS6detail17trampoline_kernelINS0_13select_configILj256ELj13ELNS0_17block_load_methodE3ELS4_3ELS4_3ELNS0_20block_scan_algorithmE0ELj4294967295EEENS1_25partition_config_selectorILNS1_17partition_subalgoE4EjNS0_10empty_typeEbEEZZNS1_14partition_implILS8_4ELb0ES6_15HIP_vector_typeIjLj2EENS0_17counting_iteratorIjlEEPS9_SG_NS0_5tupleIJPjSI_NS0_16reverse_iteratorISI_EEEEENSH_IJSG_SG_SG_EEES9_SI_JZNS1_25segmented_radix_sort_implINS0_14default_configELb0EPKbPbPKlPlN2at6native12_GLOBAL__N_18offset_tEEE10hipError_tPvRmT1_PNSt15iterator_traitsIS12_E10value_typeET2_T3_PNS13_IS18_E10value_typeET4_jRbjT5_S1E_jjP12ihipStream_tbEUljE_ZNSN_ISO_Lb0ESQ_SR_ST_SU_SY_EESZ_S10_S11_S12_S16_S17_S18_S1B_S1C_jS1D_jS1E_S1E_jjS1G_bEUljE0_EEESZ_S10_S11_S18_S1C_S1E_T6_T7_T9_mT8_S1G_bDpT10_ENKUlT_T0_E_clISt17integral_constantIbLb0EES1T_IbLb1EEEEDaS1P_S1Q_EUlS1P_E_NS1_11comp_targetILNS1_3genE0ELNS1_11target_archE4294967295ELNS1_3gpuE0ELNS1_3repE0EEENS1_30default_config_static_selectorELNS0_4arch9wavefront6targetE0EEEvS12_.has_dyn_sized_stack, 0
	.set _ZN7rocprim17ROCPRIM_400000_NS6detail17trampoline_kernelINS0_13select_configILj256ELj13ELNS0_17block_load_methodE3ELS4_3ELS4_3ELNS0_20block_scan_algorithmE0ELj4294967295EEENS1_25partition_config_selectorILNS1_17partition_subalgoE4EjNS0_10empty_typeEbEEZZNS1_14partition_implILS8_4ELb0ES6_15HIP_vector_typeIjLj2EENS0_17counting_iteratorIjlEEPS9_SG_NS0_5tupleIJPjSI_NS0_16reverse_iteratorISI_EEEEENSH_IJSG_SG_SG_EEES9_SI_JZNS1_25segmented_radix_sort_implINS0_14default_configELb0EPKbPbPKlPlN2at6native12_GLOBAL__N_18offset_tEEE10hipError_tPvRmT1_PNSt15iterator_traitsIS12_E10value_typeET2_T3_PNS13_IS18_E10value_typeET4_jRbjT5_S1E_jjP12ihipStream_tbEUljE_ZNSN_ISO_Lb0ESQ_SR_ST_SU_SY_EESZ_S10_S11_S12_S16_S17_S18_S1B_S1C_jS1D_jS1E_S1E_jjS1G_bEUljE0_EEESZ_S10_S11_S18_S1C_S1E_T6_T7_T9_mT8_S1G_bDpT10_ENKUlT_T0_E_clISt17integral_constantIbLb0EES1T_IbLb1EEEEDaS1P_S1Q_EUlS1P_E_NS1_11comp_targetILNS1_3genE0ELNS1_11target_archE4294967295ELNS1_3gpuE0ELNS1_3repE0EEENS1_30default_config_static_selectorELNS0_4arch9wavefront6targetE0EEEvS12_.has_recursion, 0
	.set _ZN7rocprim17ROCPRIM_400000_NS6detail17trampoline_kernelINS0_13select_configILj256ELj13ELNS0_17block_load_methodE3ELS4_3ELS4_3ELNS0_20block_scan_algorithmE0ELj4294967295EEENS1_25partition_config_selectorILNS1_17partition_subalgoE4EjNS0_10empty_typeEbEEZZNS1_14partition_implILS8_4ELb0ES6_15HIP_vector_typeIjLj2EENS0_17counting_iteratorIjlEEPS9_SG_NS0_5tupleIJPjSI_NS0_16reverse_iteratorISI_EEEEENSH_IJSG_SG_SG_EEES9_SI_JZNS1_25segmented_radix_sort_implINS0_14default_configELb0EPKbPbPKlPlN2at6native12_GLOBAL__N_18offset_tEEE10hipError_tPvRmT1_PNSt15iterator_traitsIS12_E10value_typeET2_T3_PNS13_IS18_E10value_typeET4_jRbjT5_S1E_jjP12ihipStream_tbEUljE_ZNSN_ISO_Lb0ESQ_SR_ST_SU_SY_EESZ_S10_S11_S12_S16_S17_S18_S1B_S1C_jS1D_jS1E_S1E_jjS1G_bEUljE0_EEESZ_S10_S11_S18_S1C_S1E_T6_T7_T9_mT8_S1G_bDpT10_ENKUlT_T0_E_clISt17integral_constantIbLb0EES1T_IbLb1EEEEDaS1P_S1Q_EUlS1P_E_NS1_11comp_targetILNS1_3genE0ELNS1_11target_archE4294967295ELNS1_3gpuE0ELNS1_3repE0EEENS1_30default_config_static_selectorELNS0_4arch9wavefront6targetE0EEEvS12_.has_indirect_call, 0
	.section	.AMDGPU.csdata,"",@progbits
; Kernel info:
; codeLenInByte = 17828
; TotalNumSgprs: 57
; NumVgprs: 86
; ScratchSize: 0
; MemoryBound: 0
; FloatMode: 240
; IeeeMode: 1
; LDSByteSize: 13328 bytes/workgroup (compile time only)
; SGPRBlocks: 0
; VGPRBlocks: 5
; NumSGPRsForWavesPerEU: 57
; NumVGPRsForWavesPerEU: 86
; NamedBarCnt: 0
; Occupancy: 10
; WaveLimiterHint : 1
; COMPUTE_PGM_RSRC2:SCRATCH_EN: 0
; COMPUTE_PGM_RSRC2:USER_SGPR: 2
; COMPUTE_PGM_RSRC2:TRAP_HANDLER: 0
; COMPUTE_PGM_RSRC2:TGID_X_EN: 1
; COMPUTE_PGM_RSRC2:TGID_Y_EN: 0
; COMPUTE_PGM_RSRC2:TGID_Z_EN: 0
; COMPUTE_PGM_RSRC2:TIDIG_COMP_CNT: 0
	.section	.text._ZN7rocprim17ROCPRIM_400000_NS6detail17trampoline_kernelINS0_13select_configILj256ELj13ELNS0_17block_load_methodE3ELS4_3ELS4_3ELNS0_20block_scan_algorithmE0ELj4294967295EEENS1_25partition_config_selectorILNS1_17partition_subalgoE4EjNS0_10empty_typeEbEEZZNS1_14partition_implILS8_4ELb0ES6_15HIP_vector_typeIjLj2EENS0_17counting_iteratorIjlEEPS9_SG_NS0_5tupleIJPjSI_NS0_16reverse_iteratorISI_EEEEENSH_IJSG_SG_SG_EEES9_SI_JZNS1_25segmented_radix_sort_implINS0_14default_configELb0EPKbPbPKlPlN2at6native12_GLOBAL__N_18offset_tEEE10hipError_tPvRmT1_PNSt15iterator_traitsIS12_E10value_typeET2_T3_PNS13_IS18_E10value_typeET4_jRbjT5_S1E_jjP12ihipStream_tbEUljE_ZNSN_ISO_Lb0ESQ_SR_ST_SU_SY_EESZ_S10_S11_S12_S16_S17_S18_S1B_S1C_jS1D_jS1E_S1E_jjS1G_bEUljE0_EEESZ_S10_S11_S18_S1C_S1E_T6_T7_T9_mT8_S1G_bDpT10_ENKUlT_T0_E_clISt17integral_constantIbLb0EES1T_IbLb1EEEEDaS1P_S1Q_EUlS1P_E_NS1_11comp_targetILNS1_3genE5ELNS1_11target_archE942ELNS1_3gpuE9ELNS1_3repE0EEENS1_30default_config_static_selectorELNS0_4arch9wavefront6targetE0EEEvS12_,"axG",@progbits,_ZN7rocprim17ROCPRIM_400000_NS6detail17trampoline_kernelINS0_13select_configILj256ELj13ELNS0_17block_load_methodE3ELS4_3ELS4_3ELNS0_20block_scan_algorithmE0ELj4294967295EEENS1_25partition_config_selectorILNS1_17partition_subalgoE4EjNS0_10empty_typeEbEEZZNS1_14partition_implILS8_4ELb0ES6_15HIP_vector_typeIjLj2EENS0_17counting_iteratorIjlEEPS9_SG_NS0_5tupleIJPjSI_NS0_16reverse_iteratorISI_EEEEENSH_IJSG_SG_SG_EEES9_SI_JZNS1_25segmented_radix_sort_implINS0_14default_configELb0EPKbPbPKlPlN2at6native12_GLOBAL__N_18offset_tEEE10hipError_tPvRmT1_PNSt15iterator_traitsIS12_E10value_typeET2_T3_PNS13_IS18_E10value_typeET4_jRbjT5_S1E_jjP12ihipStream_tbEUljE_ZNSN_ISO_Lb0ESQ_SR_ST_SU_SY_EESZ_S10_S11_S12_S16_S17_S18_S1B_S1C_jS1D_jS1E_S1E_jjS1G_bEUljE0_EEESZ_S10_S11_S18_S1C_S1E_T6_T7_T9_mT8_S1G_bDpT10_ENKUlT_T0_E_clISt17integral_constantIbLb0EES1T_IbLb1EEEEDaS1P_S1Q_EUlS1P_E_NS1_11comp_targetILNS1_3genE5ELNS1_11target_archE942ELNS1_3gpuE9ELNS1_3repE0EEENS1_30default_config_static_selectorELNS0_4arch9wavefront6targetE0EEEvS12_,comdat
	.globl	_ZN7rocprim17ROCPRIM_400000_NS6detail17trampoline_kernelINS0_13select_configILj256ELj13ELNS0_17block_load_methodE3ELS4_3ELS4_3ELNS0_20block_scan_algorithmE0ELj4294967295EEENS1_25partition_config_selectorILNS1_17partition_subalgoE4EjNS0_10empty_typeEbEEZZNS1_14partition_implILS8_4ELb0ES6_15HIP_vector_typeIjLj2EENS0_17counting_iteratorIjlEEPS9_SG_NS0_5tupleIJPjSI_NS0_16reverse_iteratorISI_EEEEENSH_IJSG_SG_SG_EEES9_SI_JZNS1_25segmented_radix_sort_implINS0_14default_configELb0EPKbPbPKlPlN2at6native12_GLOBAL__N_18offset_tEEE10hipError_tPvRmT1_PNSt15iterator_traitsIS12_E10value_typeET2_T3_PNS13_IS18_E10value_typeET4_jRbjT5_S1E_jjP12ihipStream_tbEUljE_ZNSN_ISO_Lb0ESQ_SR_ST_SU_SY_EESZ_S10_S11_S12_S16_S17_S18_S1B_S1C_jS1D_jS1E_S1E_jjS1G_bEUljE0_EEESZ_S10_S11_S18_S1C_S1E_T6_T7_T9_mT8_S1G_bDpT10_ENKUlT_T0_E_clISt17integral_constantIbLb0EES1T_IbLb1EEEEDaS1P_S1Q_EUlS1P_E_NS1_11comp_targetILNS1_3genE5ELNS1_11target_archE942ELNS1_3gpuE9ELNS1_3repE0EEENS1_30default_config_static_selectorELNS0_4arch9wavefront6targetE0EEEvS12_ ; -- Begin function _ZN7rocprim17ROCPRIM_400000_NS6detail17trampoline_kernelINS0_13select_configILj256ELj13ELNS0_17block_load_methodE3ELS4_3ELS4_3ELNS0_20block_scan_algorithmE0ELj4294967295EEENS1_25partition_config_selectorILNS1_17partition_subalgoE4EjNS0_10empty_typeEbEEZZNS1_14partition_implILS8_4ELb0ES6_15HIP_vector_typeIjLj2EENS0_17counting_iteratorIjlEEPS9_SG_NS0_5tupleIJPjSI_NS0_16reverse_iteratorISI_EEEEENSH_IJSG_SG_SG_EEES9_SI_JZNS1_25segmented_radix_sort_implINS0_14default_configELb0EPKbPbPKlPlN2at6native12_GLOBAL__N_18offset_tEEE10hipError_tPvRmT1_PNSt15iterator_traitsIS12_E10value_typeET2_T3_PNS13_IS18_E10value_typeET4_jRbjT5_S1E_jjP12ihipStream_tbEUljE_ZNSN_ISO_Lb0ESQ_SR_ST_SU_SY_EESZ_S10_S11_S12_S16_S17_S18_S1B_S1C_jS1D_jS1E_S1E_jjS1G_bEUljE0_EEESZ_S10_S11_S18_S1C_S1E_T6_T7_T9_mT8_S1G_bDpT10_ENKUlT_T0_E_clISt17integral_constantIbLb0EES1T_IbLb1EEEEDaS1P_S1Q_EUlS1P_E_NS1_11comp_targetILNS1_3genE5ELNS1_11target_archE942ELNS1_3gpuE9ELNS1_3repE0EEENS1_30default_config_static_selectorELNS0_4arch9wavefront6targetE0EEEvS12_
	.p2align	8
	.type	_ZN7rocprim17ROCPRIM_400000_NS6detail17trampoline_kernelINS0_13select_configILj256ELj13ELNS0_17block_load_methodE3ELS4_3ELS4_3ELNS0_20block_scan_algorithmE0ELj4294967295EEENS1_25partition_config_selectorILNS1_17partition_subalgoE4EjNS0_10empty_typeEbEEZZNS1_14partition_implILS8_4ELb0ES6_15HIP_vector_typeIjLj2EENS0_17counting_iteratorIjlEEPS9_SG_NS0_5tupleIJPjSI_NS0_16reverse_iteratorISI_EEEEENSH_IJSG_SG_SG_EEES9_SI_JZNS1_25segmented_radix_sort_implINS0_14default_configELb0EPKbPbPKlPlN2at6native12_GLOBAL__N_18offset_tEEE10hipError_tPvRmT1_PNSt15iterator_traitsIS12_E10value_typeET2_T3_PNS13_IS18_E10value_typeET4_jRbjT5_S1E_jjP12ihipStream_tbEUljE_ZNSN_ISO_Lb0ESQ_SR_ST_SU_SY_EESZ_S10_S11_S12_S16_S17_S18_S1B_S1C_jS1D_jS1E_S1E_jjS1G_bEUljE0_EEESZ_S10_S11_S18_S1C_S1E_T6_T7_T9_mT8_S1G_bDpT10_ENKUlT_T0_E_clISt17integral_constantIbLb0EES1T_IbLb1EEEEDaS1P_S1Q_EUlS1P_E_NS1_11comp_targetILNS1_3genE5ELNS1_11target_archE942ELNS1_3gpuE9ELNS1_3repE0EEENS1_30default_config_static_selectorELNS0_4arch9wavefront6targetE0EEEvS12_,@function
_ZN7rocprim17ROCPRIM_400000_NS6detail17trampoline_kernelINS0_13select_configILj256ELj13ELNS0_17block_load_methodE3ELS4_3ELS4_3ELNS0_20block_scan_algorithmE0ELj4294967295EEENS1_25partition_config_selectorILNS1_17partition_subalgoE4EjNS0_10empty_typeEbEEZZNS1_14partition_implILS8_4ELb0ES6_15HIP_vector_typeIjLj2EENS0_17counting_iteratorIjlEEPS9_SG_NS0_5tupleIJPjSI_NS0_16reverse_iteratorISI_EEEEENSH_IJSG_SG_SG_EEES9_SI_JZNS1_25segmented_radix_sort_implINS0_14default_configELb0EPKbPbPKlPlN2at6native12_GLOBAL__N_18offset_tEEE10hipError_tPvRmT1_PNSt15iterator_traitsIS12_E10value_typeET2_T3_PNS13_IS18_E10value_typeET4_jRbjT5_S1E_jjP12ihipStream_tbEUljE_ZNSN_ISO_Lb0ESQ_SR_ST_SU_SY_EESZ_S10_S11_S12_S16_S17_S18_S1B_S1C_jS1D_jS1E_S1E_jjS1G_bEUljE0_EEESZ_S10_S11_S18_S1C_S1E_T6_T7_T9_mT8_S1G_bDpT10_ENKUlT_T0_E_clISt17integral_constantIbLb0EES1T_IbLb1EEEEDaS1P_S1Q_EUlS1P_E_NS1_11comp_targetILNS1_3genE5ELNS1_11target_archE942ELNS1_3gpuE9ELNS1_3repE0EEENS1_30default_config_static_selectorELNS0_4arch9wavefront6targetE0EEEvS12_: ; @_ZN7rocprim17ROCPRIM_400000_NS6detail17trampoline_kernelINS0_13select_configILj256ELj13ELNS0_17block_load_methodE3ELS4_3ELS4_3ELNS0_20block_scan_algorithmE0ELj4294967295EEENS1_25partition_config_selectorILNS1_17partition_subalgoE4EjNS0_10empty_typeEbEEZZNS1_14partition_implILS8_4ELb0ES6_15HIP_vector_typeIjLj2EENS0_17counting_iteratorIjlEEPS9_SG_NS0_5tupleIJPjSI_NS0_16reverse_iteratorISI_EEEEENSH_IJSG_SG_SG_EEES9_SI_JZNS1_25segmented_radix_sort_implINS0_14default_configELb0EPKbPbPKlPlN2at6native12_GLOBAL__N_18offset_tEEE10hipError_tPvRmT1_PNSt15iterator_traitsIS12_E10value_typeET2_T3_PNS13_IS18_E10value_typeET4_jRbjT5_S1E_jjP12ihipStream_tbEUljE_ZNSN_ISO_Lb0ESQ_SR_ST_SU_SY_EESZ_S10_S11_S12_S16_S17_S18_S1B_S1C_jS1D_jS1E_S1E_jjS1G_bEUljE0_EEESZ_S10_S11_S18_S1C_S1E_T6_T7_T9_mT8_S1G_bDpT10_ENKUlT_T0_E_clISt17integral_constantIbLb0EES1T_IbLb1EEEEDaS1P_S1Q_EUlS1P_E_NS1_11comp_targetILNS1_3genE5ELNS1_11target_archE942ELNS1_3gpuE9ELNS1_3repE0EEENS1_30default_config_static_selectorELNS0_4arch9wavefront6targetE0EEEvS12_
; %bb.0:
	.section	.rodata,"a",@progbits
	.p2align	6, 0x0
	.amdhsa_kernel _ZN7rocprim17ROCPRIM_400000_NS6detail17trampoline_kernelINS0_13select_configILj256ELj13ELNS0_17block_load_methodE3ELS4_3ELS4_3ELNS0_20block_scan_algorithmE0ELj4294967295EEENS1_25partition_config_selectorILNS1_17partition_subalgoE4EjNS0_10empty_typeEbEEZZNS1_14partition_implILS8_4ELb0ES6_15HIP_vector_typeIjLj2EENS0_17counting_iteratorIjlEEPS9_SG_NS0_5tupleIJPjSI_NS0_16reverse_iteratorISI_EEEEENSH_IJSG_SG_SG_EEES9_SI_JZNS1_25segmented_radix_sort_implINS0_14default_configELb0EPKbPbPKlPlN2at6native12_GLOBAL__N_18offset_tEEE10hipError_tPvRmT1_PNSt15iterator_traitsIS12_E10value_typeET2_T3_PNS13_IS18_E10value_typeET4_jRbjT5_S1E_jjP12ihipStream_tbEUljE_ZNSN_ISO_Lb0ESQ_SR_ST_SU_SY_EESZ_S10_S11_S12_S16_S17_S18_S1B_S1C_jS1D_jS1E_S1E_jjS1G_bEUljE0_EEESZ_S10_S11_S18_S1C_S1E_T6_T7_T9_mT8_S1G_bDpT10_ENKUlT_T0_E_clISt17integral_constantIbLb0EES1T_IbLb1EEEEDaS1P_S1Q_EUlS1P_E_NS1_11comp_targetILNS1_3genE5ELNS1_11target_archE942ELNS1_3gpuE9ELNS1_3repE0EEENS1_30default_config_static_selectorELNS0_4arch9wavefront6targetE0EEEvS12_
		.amdhsa_group_segment_fixed_size 0
		.amdhsa_private_segment_fixed_size 0
		.amdhsa_kernarg_size 184
		.amdhsa_user_sgpr_count 2
		.amdhsa_user_sgpr_dispatch_ptr 0
		.amdhsa_user_sgpr_queue_ptr 0
		.amdhsa_user_sgpr_kernarg_segment_ptr 1
		.amdhsa_user_sgpr_dispatch_id 0
		.amdhsa_user_sgpr_kernarg_preload_length 0
		.amdhsa_user_sgpr_kernarg_preload_offset 0
		.amdhsa_user_sgpr_private_segment_size 0
		.amdhsa_wavefront_size32 1
		.amdhsa_uses_dynamic_stack 0
		.amdhsa_enable_private_segment 0
		.amdhsa_system_sgpr_workgroup_id_x 1
		.amdhsa_system_sgpr_workgroup_id_y 0
		.amdhsa_system_sgpr_workgroup_id_z 0
		.amdhsa_system_sgpr_workgroup_info 0
		.amdhsa_system_vgpr_workitem_id 0
		.amdhsa_next_free_vgpr 1
		.amdhsa_next_free_sgpr 1
		.amdhsa_named_barrier_count 0
		.amdhsa_reserve_vcc 0
		.amdhsa_float_round_mode_32 0
		.amdhsa_float_round_mode_16_64 0
		.amdhsa_float_denorm_mode_32 3
		.amdhsa_float_denorm_mode_16_64 3
		.amdhsa_fp16_overflow 0
		.amdhsa_memory_ordered 1
		.amdhsa_forward_progress 1
		.amdhsa_inst_pref_size 0
		.amdhsa_round_robin_scheduling 0
		.amdhsa_exception_fp_ieee_invalid_op 0
		.amdhsa_exception_fp_denorm_src 0
		.amdhsa_exception_fp_ieee_div_zero 0
		.amdhsa_exception_fp_ieee_overflow 0
		.amdhsa_exception_fp_ieee_underflow 0
		.amdhsa_exception_fp_ieee_inexact 0
		.amdhsa_exception_int_div_zero 0
	.end_amdhsa_kernel
	.section	.text._ZN7rocprim17ROCPRIM_400000_NS6detail17trampoline_kernelINS0_13select_configILj256ELj13ELNS0_17block_load_methodE3ELS4_3ELS4_3ELNS0_20block_scan_algorithmE0ELj4294967295EEENS1_25partition_config_selectorILNS1_17partition_subalgoE4EjNS0_10empty_typeEbEEZZNS1_14partition_implILS8_4ELb0ES6_15HIP_vector_typeIjLj2EENS0_17counting_iteratorIjlEEPS9_SG_NS0_5tupleIJPjSI_NS0_16reverse_iteratorISI_EEEEENSH_IJSG_SG_SG_EEES9_SI_JZNS1_25segmented_radix_sort_implINS0_14default_configELb0EPKbPbPKlPlN2at6native12_GLOBAL__N_18offset_tEEE10hipError_tPvRmT1_PNSt15iterator_traitsIS12_E10value_typeET2_T3_PNS13_IS18_E10value_typeET4_jRbjT5_S1E_jjP12ihipStream_tbEUljE_ZNSN_ISO_Lb0ESQ_SR_ST_SU_SY_EESZ_S10_S11_S12_S16_S17_S18_S1B_S1C_jS1D_jS1E_S1E_jjS1G_bEUljE0_EEESZ_S10_S11_S18_S1C_S1E_T6_T7_T9_mT8_S1G_bDpT10_ENKUlT_T0_E_clISt17integral_constantIbLb0EES1T_IbLb1EEEEDaS1P_S1Q_EUlS1P_E_NS1_11comp_targetILNS1_3genE5ELNS1_11target_archE942ELNS1_3gpuE9ELNS1_3repE0EEENS1_30default_config_static_selectorELNS0_4arch9wavefront6targetE0EEEvS12_,"axG",@progbits,_ZN7rocprim17ROCPRIM_400000_NS6detail17trampoline_kernelINS0_13select_configILj256ELj13ELNS0_17block_load_methodE3ELS4_3ELS4_3ELNS0_20block_scan_algorithmE0ELj4294967295EEENS1_25partition_config_selectorILNS1_17partition_subalgoE4EjNS0_10empty_typeEbEEZZNS1_14partition_implILS8_4ELb0ES6_15HIP_vector_typeIjLj2EENS0_17counting_iteratorIjlEEPS9_SG_NS0_5tupleIJPjSI_NS0_16reverse_iteratorISI_EEEEENSH_IJSG_SG_SG_EEES9_SI_JZNS1_25segmented_radix_sort_implINS0_14default_configELb0EPKbPbPKlPlN2at6native12_GLOBAL__N_18offset_tEEE10hipError_tPvRmT1_PNSt15iterator_traitsIS12_E10value_typeET2_T3_PNS13_IS18_E10value_typeET4_jRbjT5_S1E_jjP12ihipStream_tbEUljE_ZNSN_ISO_Lb0ESQ_SR_ST_SU_SY_EESZ_S10_S11_S12_S16_S17_S18_S1B_S1C_jS1D_jS1E_S1E_jjS1G_bEUljE0_EEESZ_S10_S11_S18_S1C_S1E_T6_T7_T9_mT8_S1G_bDpT10_ENKUlT_T0_E_clISt17integral_constantIbLb0EES1T_IbLb1EEEEDaS1P_S1Q_EUlS1P_E_NS1_11comp_targetILNS1_3genE5ELNS1_11target_archE942ELNS1_3gpuE9ELNS1_3repE0EEENS1_30default_config_static_selectorELNS0_4arch9wavefront6targetE0EEEvS12_,comdat
.Lfunc_end1587:
	.size	_ZN7rocprim17ROCPRIM_400000_NS6detail17trampoline_kernelINS0_13select_configILj256ELj13ELNS0_17block_load_methodE3ELS4_3ELS4_3ELNS0_20block_scan_algorithmE0ELj4294967295EEENS1_25partition_config_selectorILNS1_17partition_subalgoE4EjNS0_10empty_typeEbEEZZNS1_14partition_implILS8_4ELb0ES6_15HIP_vector_typeIjLj2EENS0_17counting_iteratorIjlEEPS9_SG_NS0_5tupleIJPjSI_NS0_16reverse_iteratorISI_EEEEENSH_IJSG_SG_SG_EEES9_SI_JZNS1_25segmented_radix_sort_implINS0_14default_configELb0EPKbPbPKlPlN2at6native12_GLOBAL__N_18offset_tEEE10hipError_tPvRmT1_PNSt15iterator_traitsIS12_E10value_typeET2_T3_PNS13_IS18_E10value_typeET4_jRbjT5_S1E_jjP12ihipStream_tbEUljE_ZNSN_ISO_Lb0ESQ_SR_ST_SU_SY_EESZ_S10_S11_S12_S16_S17_S18_S1B_S1C_jS1D_jS1E_S1E_jjS1G_bEUljE0_EEESZ_S10_S11_S18_S1C_S1E_T6_T7_T9_mT8_S1G_bDpT10_ENKUlT_T0_E_clISt17integral_constantIbLb0EES1T_IbLb1EEEEDaS1P_S1Q_EUlS1P_E_NS1_11comp_targetILNS1_3genE5ELNS1_11target_archE942ELNS1_3gpuE9ELNS1_3repE0EEENS1_30default_config_static_selectorELNS0_4arch9wavefront6targetE0EEEvS12_, .Lfunc_end1587-_ZN7rocprim17ROCPRIM_400000_NS6detail17trampoline_kernelINS0_13select_configILj256ELj13ELNS0_17block_load_methodE3ELS4_3ELS4_3ELNS0_20block_scan_algorithmE0ELj4294967295EEENS1_25partition_config_selectorILNS1_17partition_subalgoE4EjNS0_10empty_typeEbEEZZNS1_14partition_implILS8_4ELb0ES6_15HIP_vector_typeIjLj2EENS0_17counting_iteratorIjlEEPS9_SG_NS0_5tupleIJPjSI_NS0_16reverse_iteratorISI_EEEEENSH_IJSG_SG_SG_EEES9_SI_JZNS1_25segmented_radix_sort_implINS0_14default_configELb0EPKbPbPKlPlN2at6native12_GLOBAL__N_18offset_tEEE10hipError_tPvRmT1_PNSt15iterator_traitsIS12_E10value_typeET2_T3_PNS13_IS18_E10value_typeET4_jRbjT5_S1E_jjP12ihipStream_tbEUljE_ZNSN_ISO_Lb0ESQ_SR_ST_SU_SY_EESZ_S10_S11_S12_S16_S17_S18_S1B_S1C_jS1D_jS1E_S1E_jjS1G_bEUljE0_EEESZ_S10_S11_S18_S1C_S1E_T6_T7_T9_mT8_S1G_bDpT10_ENKUlT_T0_E_clISt17integral_constantIbLb0EES1T_IbLb1EEEEDaS1P_S1Q_EUlS1P_E_NS1_11comp_targetILNS1_3genE5ELNS1_11target_archE942ELNS1_3gpuE9ELNS1_3repE0EEENS1_30default_config_static_selectorELNS0_4arch9wavefront6targetE0EEEvS12_
                                        ; -- End function
	.set _ZN7rocprim17ROCPRIM_400000_NS6detail17trampoline_kernelINS0_13select_configILj256ELj13ELNS0_17block_load_methodE3ELS4_3ELS4_3ELNS0_20block_scan_algorithmE0ELj4294967295EEENS1_25partition_config_selectorILNS1_17partition_subalgoE4EjNS0_10empty_typeEbEEZZNS1_14partition_implILS8_4ELb0ES6_15HIP_vector_typeIjLj2EENS0_17counting_iteratorIjlEEPS9_SG_NS0_5tupleIJPjSI_NS0_16reverse_iteratorISI_EEEEENSH_IJSG_SG_SG_EEES9_SI_JZNS1_25segmented_radix_sort_implINS0_14default_configELb0EPKbPbPKlPlN2at6native12_GLOBAL__N_18offset_tEEE10hipError_tPvRmT1_PNSt15iterator_traitsIS12_E10value_typeET2_T3_PNS13_IS18_E10value_typeET4_jRbjT5_S1E_jjP12ihipStream_tbEUljE_ZNSN_ISO_Lb0ESQ_SR_ST_SU_SY_EESZ_S10_S11_S12_S16_S17_S18_S1B_S1C_jS1D_jS1E_S1E_jjS1G_bEUljE0_EEESZ_S10_S11_S18_S1C_S1E_T6_T7_T9_mT8_S1G_bDpT10_ENKUlT_T0_E_clISt17integral_constantIbLb0EES1T_IbLb1EEEEDaS1P_S1Q_EUlS1P_E_NS1_11comp_targetILNS1_3genE5ELNS1_11target_archE942ELNS1_3gpuE9ELNS1_3repE0EEENS1_30default_config_static_selectorELNS0_4arch9wavefront6targetE0EEEvS12_.num_vgpr, 0
	.set _ZN7rocprim17ROCPRIM_400000_NS6detail17trampoline_kernelINS0_13select_configILj256ELj13ELNS0_17block_load_methodE3ELS4_3ELS4_3ELNS0_20block_scan_algorithmE0ELj4294967295EEENS1_25partition_config_selectorILNS1_17partition_subalgoE4EjNS0_10empty_typeEbEEZZNS1_14partition_implILS8_4ELb0ES6_15HIP_vector_typeIjLj2EENS0_17counting_iteratorIjlEEPS9_SG_NS0_5tupleIJPjSI_NS0_16reverse_iteratorISI_EEEEENSH_IJSG_SG_SG_EEES9_SI_JZNS1_25segmented_radix_sort_implINS0_14default_configELb0EPKbPbPKlPlN2at6native12_GLOBAL__N_18offset_tEEE10hipError_tPvRmT1_PNSt15iterator_traitsIS12_E10value_typeET2_T3_PNS13_IS18_E10value_typeET4_jRbjT5_S1E_jjP12ihipStream_tbEUljE_ZNSN_ISO_Lb0ESQ_SR_ST_SU_SY_EESZ_S10_S11_S12_S16_S17_S18_S1B_S1C_jS1D_jS1E_S1E_jjS1G_bEUljE0_EEESZ_S10_S11_S18_S1C_S1E_T6_T7_T9_mT8_S1G_bDpT10_ENKUlT_T0_E_clISt17integral_constantIbLb0EES1T_IbLb1EEEEDaS1P_S1Q_EUlS1P_E_NS1_11comp_targetILNS1_3genE5ELNS1_11target_archE942ELNS1_3gpuE9ELNS1_3repE0EEENS1_30default_config_static_selectorELNS0_4arch9wavefront6targetE0EEEvS12_.num_agpr, 0
	.set _ZN7rocprim17ROCPRIM_400000_NS6detail17trampoline_kernelINS0_13select_configILj256ELj13ELNS0_17block_load_methodE3ELS4_3ELS4_3ELNS0_20block_scan_algorithmE0ELj4294967295EEENS1_25partition_config_selectorILNS1_17partition_subalgoE4EjNS0_10empty_typeEbEEZZNS1_14partition_implILS8_4ELb0ES6_15HIP_vector_typeIjLj2EENS0_17counting_iteratorIjlEEPS9_SG_NS0_5tupleIJPjSI_NS0_16reverse_iteratorISI_EEEEENSH_IJSG_SG_SG_EEES9_SI_JZNS1_25segmented_radix_sort_implINS0_14default_configELb0EPKbPbPKlPlN2at6native12_GLOBAL__N_18offset_tEEE10hipError_tPvRmT1_PNSt15iterator_traitsIS12_E10value_typeET2_T3_PNS13_IS18_E10value_typeET4_jRbjT5_S1E_jjP12ihipStream_tbEUljE_ZNSN_ISO_Lb0ESQ_SR_ST_SU_SY_EESZ_S10_S11_S12_S16_S17_S18_S1B_S1C_jS1D_jS1E_S1E_jjS1G_bEUljE0_EEESZ_S10_S11_S18_S1C_S1E_T6_T7_T9_mT8_S1G_bDpT10_ENKUlT_T0_E_clISt17integral_constantIbLb0EES1T_IbLb1EEEEDaS1P_S1Q_EUlS1P_E_NS1_11comp_targetILNS1_3genE5ELNS1_11target_archE942ELNS1_3gpuE9ELNS1_3repE0EEENS1_30default_config_static_selectorELNS0_4arch9wavefront6targetE0EEEvS12_.numbered_sgpr, 0
	.set _ZN7rocprim17ROCPRIM_400000_NS6detail17trampoline_kernelINS0_13select_configILj256ELj13ELNS0_17block_load_methodE3ELS4_3ELS4_3ELNS0_20block_scan_algorithmE0ELj4294967295EEENS1_25partition_config_selectorILNS1_17partition_subalgoE4EjNS0_10empty_typeEbEEZZNS1_14partition_implILS8_4ELb0ES6_15HIP_vector_typeIjLj2EENS0_17counting_iteratorIjlEEPS9_SG_NS0_5tupleIJPjSI_NS0_16reverse_iteratorISI_EEEEENSH_IJSG_SG_SG_EEES9_SI_JZNS1_25segmented_radix_sort_implINS0_14default_configELb0EPKbPbPKlPlN2at6native12_GLOBAL__N_18offset_tEEE10hipError_tPvRmT1_PNSt15iterator_traitsIS12_E10value_typeET2_T3_PNS13_IS18_E10value_typeET4_jRbjT5_S1E_jjP12ihipStream_tbEUljE_ZNSN_ISO_Lb0ESQ_SR_ST_SU_SY_EESZ_S10_S11_S12_S16_S17_S18_S1B_S1C_jS1D_jS1E_S1E_jjS1G_bEUljE0_EEESZ_S10_S11_S18_S1C_S1E_T6_T7_T9_mT8_S1G_bDpT10_ENKUlT_T0_E_clISt17integral_constantIbLb0EES1T_IbLb1EEEEDaS1P_S1Q_EUlS1P_E_NS1_11comp_targetILNS1_3genE5ELNS1_11target_archE942ELNS1_3gpuE9ELNS1_3repE0EEENS1_30default_config_static_selectorELNS0_4arch9wavefront6targetE0EEEvS12_.num_named_barrier, 0
	.set _ZN7rocprim17ROCPRIM_400000_NS6detail17trampoline_kernelINS0_13select_configILj256ELj13ELNS0_17block_load_methodE3ELS4_3ELS4_3ELNS0_20block_scan_algorithmE0ELj4294967295EEENS1_25partition_config_selectorILNS1_17partition_subalgoE4EjNS0_10empty_typeEbEEZZNS1_14partition_implILS8_4ELb0ES6_15HIP_vector_typeIjLj2EENS0_17counting_iteratorIjlEEPS9_SG_NS0_5tupleIJPjSI_NS0_16reverse_iteratorISI_EEEEENSH_IJSG_SG_SG_EEES9_SI_JZNS1_25segmented_radix_sort_implINS0_14default_configELb0EPKbPbPKlPlN2at6native12_GLOBAL__N_18offset_tEEE10hipError_tPvRmT1_PNSt15iterator_traitsIS12_E10value_typeET2_T3_PNS13_IS18_E10value_typeET4_jRbjT5_S1E_jjP12ihipStream_tbEUljE_ZNSN_ISO_Lb0ESQ_SR_ST_SU_SY_EESZ_S10_S11_S12_S16_S17_S18_S1B_S1C_jS1D_jS1E_S1E_jjS1G_bEUljE0_EEESZ_S10_S11_S18_S1C_S1E_T6_T7_T9_mT8_S1G_bDpT10_ENKUlT_T0_E_clISt17integral_constantIbLb0EES1T_IbLb1EEEEDaS1P_S1Q_EUlS1P_E_NS1_11comp_targetILNS1_3genE5ELNS1_11target_archE942ELNS1_3gpuE9ELNS1_3repE0EEENS1_30default_config_static_selectorELNS0_4arch9wavefront6targetE0EEEvS12_.private_seg_size, 0
	.set _ZN7rocprim17ROCPRIM_400000_NS6detail17trampoline_kernelINS0_13select_configILj256ELj13ELNS0_17block_load_methodE3ELS4_3ELS4_3ELNS0_20block_scan_algorithmE0ELj4294967295EEENS1_25partition_config_selectorILNS1_17partition_subalgoE4EjNS0_10empty_typeEbEEZZNS1_14partition_implILS8_4ELb0ES6_15HIP_vector_typeIjLj2EENS0_17counting_iteratorIjlEEPS9_SG_NS0_5tupleIJPjSI_NS0_16reverse_iteratorISI_EEEEENSH_IJSG_SG_SG_EEES9_SI_JZNS1_25segmented_radix_sort_implINS0_14default_configELb0EPKbPbPKlPlN2at6native12_GLOBAL__N_18offset_tEEE10hipError_tPvRmT1_PNSt15iterator_traitsIS12_E10value_typeET2_T3_PNS13_IS18_E10value_typeET4_jRbjT5_S1E_jjP12ihipStream_tbEUljE_ZNSN_ISO_Lb0ESQ_SR_ST_SU_SY_EESZ_S10_S11_S12_S16_S17_S18_S1B_S1C_jS1D_jS1E_S1E_jjS1G_bEUljE0_EEESZ_S10_S11_S18_S1C_S1E_T6_T7_T9_mT8_S1G_bDpT10_ENKUlT_T0_E_clISt17integral_constantIbLb0EES1T_IbLb1EEEEDaS1P_S1Q_EUlS1P_E_NS1_11comp_targetILNS1_3genE5ELNS1_11target_archE942ELNS1_3gpuE9ELNS1_3repE0EEENS1_30default_config_static_selectorELNS0_4arch9wavefront6targetE0EEEvS12_.uses_vcc, 0
	.set _ZN7rocprim17ROCPRIM_400000_NS6detail17trampoline_kernelINS0_13select_configILj256ELj13ELNS0_17block_load_methodE3ELS4_3ELS4_3ELNS0_20block_scan_algorithmE0ELj4294967295EEENS1_25partition_config_selectorILNS1_17partition_subalgoE4EjNS0_10empty_typeEbEEZZNS1_14partition_implILS8_4ELb0ES6_15HIP_vector_typeIjLj2EENS0_17counting_iteratorIjlEEPS9_SG_NS0_5tupleIJPjSI_NS0_16reverse_iteratorISI_EEEEENSH_IJSG_SG_SG_EEES9_SI_JZNS1_25segmented_radix_sort_implINS0_14default_configELb0EPKbPbPKlPlN2at6native12_GLOBAL__N_18offset_tEEE10hipError_tPvRmT1_PNSt15iterator_traitsIS12_E10value_typeET2_T3_PNS13_IS18_E10value_typeET4_jRbjT5_S1E_jjP12ihipStream_tbEUljE_ZNSN_ISO_Lb0ESQ_SR_ST_SU_SY_EESZ_S10_S11_S12_S16_S17_S18_S1B_S1C_jS1D_jS1E_S1E_jjS1G_bEUljE0_EEESZ_S10_S11_S18_S1C_S1E_T6_T7_T9_mT8_S1G_bDpT10_ENKUlT_T0_E_clISt17integral_constantIbLb0EES1T_IbLb1EEEEDaS1P_S1Q_EUlS1P_E_NS1_11comp_targetILNS1_3genE5ELNS1_11target_archE942ELNS1_3gpuE9ELNS1_3repE0EEENS1_30default_config_static_selectorELNS0_4arch9wavefront6targetE0EEEvS12_.uses_flat_scratch, 0
	.set _ZN7rocprim17ROCPRIM_400000_NS6detail17trampoline_kernelINS0_13select_configILj256ELj13ELNS0_17block_load_methodE3ELS4_3ELS4_3ELNS0_20block_scan_algorithmE0ELj4294967295EEENS1_25partition_config_selectorILNS1_17partition_subalgoE4EjNS0_10empty_typeEbEEZZNS1_14partition_implILS8_4ELb0ES6_15HIP_vector_typeIjLj2EENS0_17counting_iteratorIjlEEPS9_SG_NS0_5tupleIJPjSI_NS0_16reverse_iteratorISI_EEEEENSH_IJSG_SG_SG_EEES9_SI_JZNS1_25segmented_radix_sort_implINS0_14default_configELb0EPKbPbPKlPlN2at6native12_GLOBAL__N_18offset_tEEE10hipError_tPvRmT1_PNSt15iterator_traitsIS12_E10value_typeET2_T3_PNS13_IS18_E10value_typeET4_jRbjT5_S1E_jjP12ihipStream_tbEUljE_ZNSN_ISO_Lb0ESQ_SR_ST_SU_SY_EESZ_S10_S11_S12_S16_S17_S18_S1B_S1C_jS1D_jS1E_S1E_jjS1G_bEUljE0_EEESZ_S10_S11_S18_S1C_S1E_T6_T7_T9_mT8_S1G_bDpT10_ENKUlT_T0_E_clISt17integral_constantIbLb0EES1T_IbLb1EEEEDaS1P_S1Q_EUlS1P_E_NS1_11comp_targetILNS1_3genE5ELNS1_11target_archE942ELNS1_3gpuE9ELNS1_3repE0EEENS1_30default_config_static_selectorELNS0_4arch9wavefront6targetE0EEEvS12_.has_dyn_sized_stack, 0
	.set _ZN7rocprim17ROCPRIM_400000_NS6detail17trampoline_kernelINS0_13select_configILj256ELj13ELNS0_17block_load_methodE3ELS4_3ELS4_3ELNS0_20block_scan_algorithmE0ELj4294967295EEENS1_25partition_config_selectorILNS1_17partition_subalgoE4EjNS0_10empty_typeEbEEZZNS1_14partition_implILS8_4ELb0ES6_15HIP_vector_typeIjLj2EENS0_17counting_iteratorIjlEEPS9_SG_NS0_5tupleIJPjSI_NS0_16reverse_iteratorISI_EEEEENSH_IJSG_SG_SG_EEES9_SI_JZNS1_25segmented_radix_sort_implINS0_14default_configELb0EPKbPbPKlPlN2at6native12_GLOBAL__N_18offset_tEEE10hipError_tPvRmT1_PNSt15iterator_traitsIS12_E10value_typeET2_T3_PNS13_IS18_E10value_typeET4_jRbjT5_S1E_jjP12ihipStream_tbEUljE_ZNSN_ISO_Lb0ESQ_SR_ST_SU_SY_EESZ_S10_S11_S12_S16_S17_S18_S1B_S1C_jS1D_jS1E_S1E_jjS1G_bEUljE0_EEESZ_S10_S11_S18_S1C_S1E_T6_T7_T9_mT8_S1G_bDpT10_ENKUlT_T0_E_clISt17integral_constantIbLb0EES1T_IbLb1EEEEDaS1P_S1Q_EUlS1P_E_NS1_11comp_targetILNS1_3genE5ELNS1_11target_archE942ELNS1_3gpuE9ELNS1_3repE0EEENS1_30default_config_static_selectorELNS0_4arch9wavefront6targetE0EEEvS12_.has_recursion, 0
	.set _ZN7rocprim17ROCPRIM_400000_NS6detail17trampoline_kernelINS0_13select_configILj256ELj13ELNS0_17block_load_methodE3ELS4_3ELS4_3ELNS0_20block_scan_algorithmE0ELj4294967295EEENS1_25partition_config_selectorILNS1_17partition_subalgoE4EjNS0_10empty_typeEbEEZZNS1_14partition_implILS8_4ELb0ES6_15HIP_vector_typeIjLj2EENS0_17counting_iteratorIjlEEPS9_SG_NS0_5tupleIJPjSI_NS0_16reverse_iteratorISI_EEEEENSH_IJSG_SG_SG_EEES9_SI_JZNS1_25segmented_radix_sort_implINS0_14default_configELb0EPKbPbPKlPlN2at6native12_GLOBAL__N_18offset_tEEE10hipError_tPvRmT1_PNSt15iterator_traitsIS12_E10value_typeET2_T3_PNS13_IS18_E10value_typeET4_jRbjT5_S1E_jjP12ihipStream_tbEUljE_ZNSN_ISO_Lb0ESQ_SR_ST_SU_SY_EESZ_S10_S11_S12_S16_S17_S18_S1B_S1C_jS1D_jS1E_S1E_jjS1G_bEUljE0_EEESZ_S10_S11_S18_S1C_S1E_T6_T7_T9_mT8_S1G_bDpT10_ENKUlT_T0_E_clISt17integral_constantIbLb0EES1T_IbLb1EEEEDaS1P_S1Q_EUlS1P_E_NS1_11comp_targetILNS1_3genE5ELNS1_11target_archE942ELNS1_3gpuE9ELNS1_3repE0EEENS1_30default_config_static_selectorELNS0_4arch9wavefront6targetE0EEEvS12_.has_indirect_call, 0
	.section	.AMDGPU.csdata,"",@progbits
; Kernel info:
; codeLenInByte = 0
; TotalNumSgprs: 0
; NumVgprs: 0
; ScratchSize: 0
; MemoryBound: 0
; FloatMode: 240
; IeeeMode: 1
; LDSByteSize: 0 bytes/workgroup (compile time only)
; SGPRBlocks: 0
; VGPRBlocks: 0
; NumSGPRsForWavesPerEU: 1
; NumVGPRsForWavesPerEU: 1
; NamedBarCnt: 0
; Occupancy: 16
; WaveLimiterHint : 0
; COMPUTE_PGM_RSRC2:SCRATCH_EN: 0
; COMPUTE_PGM_RSRC2:USER_SGPR: 2
; COMPUTE_PGM_RSRC2:TRAP_HANDLER: 0
; COMPUTE_PGM_RSRC2:TGID_X_EN: 1
; COMPUTE_PGM_RSRC2:TGID_Y_EN: 0
; COMPUTE_PGM_RSRC2:TGID_Z_EN: 0
; COMPUTE_PGM_RSRC2:TIDIG_COMP_CNT: 0
	.section	.text._ZN7rocprim17ROCPRIM_400000_NS6detail17trampoline_kernelINS0_13select_configILj256ELj13ELNS0_17block_load_methodE3ELS4_3ELS4_3ELNS0_20block_scan_algorithmE0ELj4294967295EEENS1_25partition_config_selectorILNS1_17partition_subalgoE4EjNS0_10empty_typeEbEEZZNS1_14partition_implILS8_4ELb0ES6_15HIP_vector_typeIjLj2EENS0_17counting_iteratorIjlEEPS9_SG_NS0_5tupleIJPjSI_NS0_16reverse_iteratorISI_EEEEENSH_IJSG_SG_SG_EEES9_SI_JZNS1_25segmented_radix_sort_implINS0_14default_configELb0EPKbPbPKlPlN2at6native12_GLOBAL__N_18offset_tEEE10hipError_tPvRmT1_PNSt15iterator_traitsIS12_E10value_typeET2_T3_PNS13_IS18_E10value_typeET4_jRbjT5_S1E_jjP12ihipStream_tbEUljE_ZNSN_ISO_Lb0ESQ_SR_ST_SU_SY_EESZ_S10_S11_S12_S16_S17_S18_S1B_S1C_jS1D_jS1E_S1E_jjS1G_bEUljE0_EEESZ_S10_S11_S18_S1C_S1E_T6_T7_T9_mT8_S1G_bDpT10_ENKUlT_T0_E_clISt17integral_constantIbLb0EES1T_IbLb1EEEEDaS1P_S1Q_EUlS1P_E_NS1_11comp_targetILNS1_3genE4ELNS1_11target_archE910ELNS1_3gpuE8ELNS1_3repE0EEENS1_30default_config_static_selectorELNS0_4arch9wavefront6targetE0EEEvS12_,"axG",@progbits,_ZN7rocprim17ROCPRIM_400000_NS6detail17trampoline_kernelINS0_13select_configILj256ELj13ELNS0_17block_load_methodE3ELS4_3ELS4_3ELNS0_20block_scan_algorithmE0ELj4294967295EEENS1_25partition_config_selectorILNS1_17partition_subalgoE4EjNS0_10empty_typeEbEEZZNS1_14partition_implILS8_4ELb0ES6_15HIP_vector_typeIjLj2EENS0_17counting_iteratorIjlEEPS9_SG_NS0_5tupleIJPjSI_NS0_16reverse_iteratorISI_EEEEENSH_IJSG_SG_SG_EEES9_SI_JZNS1_25segmented_radix_sort_implINS0_14default_configELb0EPKbPbPKlPlN2at6native12_GLOBAL__N_18offset_tEEE10hipError_tPvRmT1_PNSt15iterator_traitsIS12_E10value_typeET2_T3_PNS13_IS18_E10value_typeET4_jRbjT5_S1E_jjP12ihipStream_tbEUljE_ZNSN_ISO_Lb0ESQ_SR_ST_SU_SY_EESZ_S10_S11_S12_S16_S17_S18_S1B_S1C_jS1D_jS1E_S1E_jjS1G_bEUljE0_EEESZ_S10_S11_S18_S1C_S1E_T6_T7_T9_mT8_S1G_bDpT10_ENKUlT_T0_E_clISt17integral_constantIbLb0EES1T_IbLb1EEEEDaS1P_S1Q_EUlS1P_E_NS1_11comp_targetILNS1_3genE4ELNS1_11target_archE910ELNS1_3gpuE8ELNS1_3repE0EEENS1_30default_config_static_selectorELNS0_4arch9wavefront6targetE0EEEvS12_,comdat
	.globl	_ZN7rocprim17ROCPRIM_400000_NS6detail17trampoline_kernelINS0_13select_configILj256ELj13ELNS0_17block_load_methodE3ELS4_3ELS4_3ELNS0_20block_scan_algorithmE0ELj4294967295EEENS1_25partition_config_selectorILNS1_17partition_subalgoE4EjNS0_10empty_typeEbEEZZNS1_14partition_implILS8_4ELb0ES6_15HIP_vector_typeIjLj2EENS0_17counting_iteratorIjlEEPS9_SG_NS0_5tupleIJPjSI_NS0_16reverse_iteratorISI_EEEEENSH_IJSG_SG_SG_EEES9_SI_JZNS1_25segmented_radix_sort_implINS0_14default_configELb0EPKbPbPKlPlN2at6native12_GLOBAL__N_18offset_tEEE10hipError_tPvRmT1_PNSt15iterator_traitsIS12_E10value_typeET2_T3_PNS13_IS18_E10value_typeET4_jRbjT5_S1E_jjP12ihipStream_tbEUljE_ZNSN_ISO_Lb0ESQ_SR_ST_SU_SY_EESZ_S10_S11_S12_S16_S17_S18_S1B_S1C_jS1D_jS1E_S1E_jjS1G_bEUljE0_EEESZ_S10_S11_S18_S1C_S1E_T6_T7_T9_mT8_S1G_bDpT10_ENKUlT_T0_E_clISt17integral_constantIbLb0EES1T_IbLb1EEEEDaS1P_S1Q_EUlS1P_E_NS1_11comp_targetILNS1_3genE4ELNS1_11target_archE910ELNS1_3gpuE8ELNS1_3repE0EEENS1_30default_config_static_selectorELNS0_4arch9wavefront6targetE0EEEvS12_ ; -- Begin function _ZN7rocprim17ROCPRIM_400000_NS6detail17trampoline_kernelINS0_13select_configILj256ELj13ELNS0_17block_load_methodE3ELS4_3ELS4_3ELNS0_20block_scan_algorithmE0ELj4294967295EEENS1_25partition_config_selectorILNS1_17partition_subalgoE4EjNS0_10empty_typeEbEEZZNS1_14partition_implILS8_4ELb0ES6_15HIP_vector_typeIjLj2EENS0_17counting_iteratorIjlEEPS9_SG_NS0_5tupleIJPjSI_NS0_16reverse_iteratorISI_EEEEENSH_IJSG_SG_SG_EEES9_SI_JZNS1_25segmented_radix_sort_implINS0_14default_configELb0EPKbPbPKlPlN2at6native12_GLOBAL__N_18offset_tEEE10hipError_tPvRmT1_PNSt15iterator_traitsIS12_E10value_typeET2_T3_PNS13_IS18_E10value_typeET4_jRbjT5_S1E_jjP12ihipStream_tbEUljE_ZNSN_ISO_Lb0ESQ_SR_ST_SU_SY_EESZ_S10_S11_S12_S16_S17_S18_S1B_S1C_jS1D_jS1E_S1E_jjS1G_bEUljE0_EEESZ_S10_S11_S18_S1C_S1E_T6_T7_T9_mT8_S1G_bDpT10_ENKUlT_T0_E_clISt17integral_constantIbLb0EES1T_IbLb1EEEEDaS1P_S1Q_EUlS1P_E_NS1_11comp_targetILNS1_3genE4ELNS1_11target_archE910ELNS1_3gpuE8ELNS1_3repE0EEENS1_30default_config_static_selectorELNS0_4arch9wavefront6targetE0EEEvS12_
	.p2align	8
	.type	_ZN7rocprim17ROCPRIM_400000_NS6detail17trampoline_kernelINS0_13select_configILj256ELj13ELNS0_17block_load_methodE3ELS4_3ELS4_3ELNS0_20block_scan_algorithmE0ELj4294967295EEENS1_25partition_config_selectorILNS1_17partition_subalgoE4EjNS0_10empty_typeEbEEZZNS1_14partition_implILS8_4ELb0ES6_15HIP_vector_typeIjLj2EENS0_17counting_iteratorIjlEEPS9_SG_NS0_5tupleIJPjSI_NS0_16reverse_iteratorISI_EEEEENSH_IJSG_SG_SG_EEES9_SI_JZNS1_25segmented_radix_sort_implINS0_14default_configELb0EPKbPbPKlPlN2at6native12_GLOBAL__N_18offset_tEEE10hipError_tPvRmT1_PNSt15iterator_traitsIS12_E10value_typeET2_T3_PNS13_IS18_E10value_typeET4_jRbjT5_S1E_jjP12ihipStream_tbEUljE_ZNSN_ISO_Lb0ESQ_SR_ST_SU_SY_EESZ_S10_S11_S12_S16_S17_S18_S1B_S1C_jS1D_jS1E_S1E_jjS1G_bEUljE0_EEESZ_S10_S11_S18_S1C_S1E_T6_T7_T9_mT8_S1G_bDpT10_ENKUlT_T0_E_clISt17integral_constantIbLb0EES1T_IbLb1EEEEDaS1P_S1Q_EUlS1P_E_NS1_11comp_targetILNS1_3genE4ELNS1_11target_archE910ELNS1_3gpuE8ELNS1_3repE0EEENS1_30default_config_static_selectorELNS0_4arch9wavefront6targetE0EEEvS12_,@function
_ZN7rocprim17ROCPRIM_400000_NS6detail17trampoline_kernelINS0_13select_configILj256ELj13ELNS0_17block_load_methodE3ELS4_3ELS4_3ELNS0_20block_scan_algorithmE0ELj4294967295EEENS1_25partition_config_selectorILNS1_17partition_subalgoE4EjNS0_10empty_typeEbEEZZNS1_14partition_implILS8_4ELb0ES6_15HIP_vector_typeIjLj2EENS0_17counting_iteratorIjlEEPS9_SG_NS0_5tupleIJPjSI_NS0_16reverse_iteratorISI_EEEEENSH_IJSG_SG_SG_EEES9_SI_JZNS1_25segmented_radix_sort_implINS0_14default_configELb0EPKbPbPKlPlN2at6native12_GLOBAL__N_18offset_tEEE10hipError_tPvRmT1_PNSt15iterator_traitsIS12_E10value_typeET2_T3_PNS13_IS18_E10value_typeET4_jRbjT5_S1E_jjP12ihipStream_tbEUljE_ZNSN_ISO_Lb0ESQ_SR_ST_SU_SY_EESZ_S10_S11_S12_S16_S17_S18_S1B_S1C_jS1D_jS1E_S1E_jjS1G_bEUljE0_EEESZ_S10_S11_S18_S1C_S1E_T6_T7_T9_mT8_S1G_bDpT10_ENKUlT_T0_E_clISt17integral_constantIbLb0EES1T_IbLb1EEEEDaS1P_S1Q_EUlS1P_E_NS1_11comp_targetILNS1_3genE4ELNS1_11target_archE910ELNS1_3gpuE8ELNS1_3repE0EEENS1_30default_config_static_selectorELNS0_4arch9wavefront6targetE0EEEvS12_: ; @_ZN7rocprim17ROCPRIM_400000_NS6detail17trampoline_kernelINS0_13select_configILj256ELj13ELNS0_17block_load_methodE3ELS4_3ELS4_3ELNS0_20block_scan_algorithmE0ELj4294967295EEENS1_25partition_config_selectorILNS1_17partition_subalgoE4EjNS0_10empty_typeEbEEZZNS1_14partition_implILS8_4ELb0ES6_15HIP_vector_typeIjLj2EENS0_17counting_iteratorIjlEEPS9_SG_NS0_5tupleIJPjSI_NS0_16reverse_iteratorISI_EEEEENSH_IJSG_SG_SG_EEES9_SI_JZNS1_25segmented_radix_sort_implINS0_14default_configELb0EPKbPbPKlPlN2at6native12_GLOBAL__N_18offset_tEEE10hipError_tPvRmT1_PNSt15iterator_traitsIS12_E10value_typeET2_T3_PNS13_IS18_E10value_typeET4_jRbjT5_S1E_jjP12ihipStream_tbEUljE_ZNSN_ISO_Lb0ESQ_SR_ST_SU_SY_EESZ_S10_S11_S12_S16_S17_S18_S1B_S1C_jS1D_jS1E_S1E_jjS1G_bEUljE0_EEESZ_S10_S11_S18_S1C_S1E_T6_T7_T9_mT8_S1G_bDpT10_ENKUlT_T0_E_clISt17integral_constantIbLb0EES1T_IbLb1EEEEDaS1P_S1Q_EUlS1P_E_NS1_11comp_targetILNS1_3genE4ELNS1_11target_archE910ELNS1_3gpuE8ELNS1_3repE0EEENS1_30default_config_static_selectorELNS0_4arch9wavefront6targetE0EEEvS12_
; %bb.0:
	.section	.rodata,"a",@progbits
	.p2align	6, 0x0
	.amdhsa_kernel _ZN7rocprim17ROCPRIM_400000_NS6detail17trampoline_kernelINS0_13select_configILj256ELj13ELNS0_17block_load_methodE3ELS4_3ELS4_3ELNS0_20block_scan_algorithmE0ELj4294967295EEENS1_25partition_config_selectorILNS1_17partition_subalgoE4EjNS0_10empty_typeEbEEZZNS1_14partition_implILS8_4ELb0ES6_15HIP_vector_typeIjLj2EENS0_17counting_iteratorIjlEEPS9_SG_NS0_5tupleIJPjSI_NS0_16reverse_iteratorISI_EEEEENSH_IJSG_SG_SG_EEES9_SI_JZNS1_25segmented_radix_sort_implINS0_14default_configELb0EPKbPbPKlPlN2at6native12_GLOBAL__N_18offset_tEEE10hipError_tPvRmT1_PNSt15iterator_traitsIS12_E10value_typeET2_T3_PNS13_IS18_E10value_typeET4_jRbjT5_S1E_jjP12ihipStream_tbEUljE_ZNSN_ISO_Lb0ESQ_SR_ST_SU_SY_EESZ_S10_S11_S12_S16_S17_S18_S1B_S1C_jS1D_jS1E_S1E_jjS1G_bEUljE0_EEESZ_S10_S11_S18_S1C_S1E_T6_T7_T9_mT8_S1G_bDpT10_ENKUlT_T0_E_clISt17integral_constantIbLb0EES1T_IbLb1EEEEDaS1P_S1Q_EUlS1P_E_NS1_11comp_targetILNS1_3genE4ELNS1_11target_archE910ELNS1_3gpuE8ELNS1_3repE0EEENS1_30default_config_static_selectorELNS0_4arch9wavefront6targetE0EEEvS12_
		.amdhsa_group_segment_fixed_size 0
		.amdhsa_private_segment_fixed_size 0
		.amdhsa_kernarg_size 184
		.amdhsa_user_sgpr_count 2
		.amdhsa_user_sgpr_dispatch_ptr 0
		.amdhsa_user_sgpr_queue_ptr 0
		.amdhsa_user_sgpr_kernarg_segment_ptr 1
		.amdhsa_user_sgpr_dispatch_id 0
		.amdhsa_user_sgpr_kernarg_preload_length 0
		.amdhsa_user_sgpr_kernarg_preload_offset 0
		.amdhsa_user_sgpr_private_segment_size 0
		.amdhsa_wavefront_size32 1
		.amdhsa_uses_dynamic_stack 0
		.amdhsa_enable_private_segment 0
		.amdhsa_system_sgpr_workgroup_id_x 1
		.amdhsa_system_sgpr_workgroup_id_y 0
		.amdhsa_system_sgpr_workgroup_id_z 0
		.amdhsa_system_sgpr_workgroup_info 0
		.amdhsa_system_vgpr_workitem_id 0
		.amdhsa_next_free_vgpr 1
		.amdhsa_next_free_sgpr 1
		.amdhsa_named_barrier_count 0
		.amdhsa_reserve_vcc 0
		.amdhsa_float_round_mode_32 0
		.amdhsa_float_round_mode_16_64 0
		.amdhsa_float_denorm_mode_32 3
		.amdhsa_float_denorm_mode_16_64 3
		.amdhsa_fp16_overflow 0
		.amdhsa_memory_ordered 1
		.amdhsa_forward_progress 1
		.amdhsa_inst_pref_size 0
		.amdhsa_round_robin_scheduling 0
		.amdhsa_exception_fp_ieee_invalid_op 0
		.amdhsa_exception_fp_denorm_src 0
		.amdhsa_exception_fp_ieee_div_zero 0
		.amdhsa_exception_fp_ieee_overflow 0
		.amdhsa_exception_fp_ieee_underflow 0
		.amdhsa_exception_fp_ieee_inexact 0
		.amdhsa_exception_int_div_zero 0
	.end_amdhsa_kernel
	.section	.text._ZN7rocprim17ROCPRIM_400000_NS6detail17trampoline_kernelINS0_13select_configILj256ELj13ELNS0_17block_load_methodE3ELS4_3ELS4_3ELNS0_20block_scan_algorithmE0ELj4294967295EEENS1_25partition_config_selectorILNS1_17partition_subalgoE4EjNS0_10empty_typeEbEEZZNS1_14partition_implILS8_4ELb0ES6_15HIP_vector_typeIjLj2EENS0_17counting_iteratorIjlEEPS9_SG_NS0_5tupleIJPjSI_NS0_16reverse_iteratorISI_EEEEENSH_IJSG_SG_SG_EEES9_SI_JZNS1_25segmented_radix_sort_implINS0_14default_configELb0EPKbPbPKlPlN2at6native12_GLOBAL__N_18offset_tEEE10hipError_tPvRmT1_PNSt15iterator_traitsIS12_E10value_typeET2_T3_PNS13_IS18_E10value_typeET4_jRbjT5_S1E_jjP12ihipStream_tbEUljE_ZNSN_ISO_Lb0ESQ_SR_ST_SU_SY_EESZ_S10_S11_S12_S16_S17_S18_S1B_S1C_jS1D_jS1E_S1E_jjS1G_bEUljE0_EEESZ_S10_S11_S18_S1C_S1E_T6_T7_T9_mT8_S1G_bDpT10_ENKUlT_T0_E_clISt17integral_constantIbLb0EES1T_IbLb1EEEEDaS1P_S1Q_EUlS1P_E_NS1_11comp_targetILNS1_3genE4ELNS1_11target_archE910ELNS1_3gpuE8ELNS1_3repE0EEENS1_30default_config_static_selectorELNS0_4arch9wavefront6targetE0EEEvS12_,"axG",@progbits,_ZN7rocprim17ROCPRIM_400000_NS6detail17trampoline_kernelINS0_13select_configILj256ELj13ELNS0_17block_load_methodE3ELS4_3ELS4_3ELNS0_20block_scan_algorithmE0ELj4294967295EEENS1_25partition_config_selectorILNS1_17partition_subalgoE4EjNS0_10empty_typeEbEEZZNS1_14partition_implILS8_4ELb0ES6_15HIP_vector_typeIjLj2EENS0_17counting_iteratorIjlEEPS9_SG_NS0_5tupleIJPjSI_NS0_16reverse_iteratorISI_EEEEENSH_IJSG_SG_SG_EEES9_SI_JZNS1_25segmented_radix_sort_implINS0_14default_configELb0EPKbPbPKlPlN2at6native12_GLOBAL__N_18offset_tEEE10hipError_tPvRmT1_PNSt15iterator_traitsIS12_E10value_typeET2_T3_PNS13_IS18_E10value_typeET4_jRbjT5_S1E_jjP12ihipStream_tbEUljE_ZNSN_ISO_Lb0ESQ_SR_ST_SU_SY_EESZ_S10_S11_S12_S16_S17_S18_S1B_S1C_jS1D_jS1E_S1E_jjS1G_bEUljE0_EEESZ_S10_S11_S18_S1C_S1E_T6_T7_T9_mT8_S1G_bDpT10_ENKUlT_T0_E_clISt17integral_constantIbLb0EES1T_IbLb1EEEEDaS1P_S1Q_EUlS1P_E_NS1_11comp_targetILNS1_3genE4ELNS1_11target_archE910ELNS1_3gpuE8ELNS1_3repE0EEENS1_30default_config_static_selectorELNS0_4arch9wavefront6targetE0EEEvS12_,comdat
.Lfunc_end1588:
	.size	_ZN7rocprim17ROCPRIM_400000_NS6detail17trampoline_kernelINS0_13select_configILj256ELj13ELNS0_17block_load_methodE3ELS4_3ELS4_3ELNS0_20block_scan_algorithmE0ELj4294967295EEENS1_25partition_config_selectorILNS1_17partition_subalgoE4EjNS0_10empty_typeEbEEZZNS1_14partition_implILS8_4ELb0ES6_15HIP_vector_typeIjLj2EENS0_17counting_iteratorIjlEEPS9_SG_NS0_5tupleIJPjSI_NS0_16reverse_iteratorISI_EEEEENSH_IJSG_SG_SG_EEES9_SI_JZNS1_25segmented_radix_sort_implINS0_14default_configELb0EPKbPbPKlPlN2at6native12_GLOBAL__N_18offset_tEEE10hipError_tPvRmT1_PNSt15iterator_traitsIS12_E10value_typeET2_T3_PNS13_IS18_E10value_typeET4_jRbjT5_S1E_jjP12ihipStream_tbEUljE_ZNSN_ISO_Lb0ESQ_SR_ST_SU_SY_EESZ_S10_S11_S12_S16_S17_S18_S1B_S1C_jS1D_jS1E_S1E_jjS1G_bEUljE0_EEESZ_S10_S11_S18_S1C_S1E_T6_T7_T9_mT8_S1G_bDpT10_ENKUlT_T0_E_clISt17integral_constantIbLb0EES1T_IbLb1EEEEDaS1P_S1Q_EUlS1P_E_NS1_11comp_targetILNS1_3genE4ELNS1_11target_archE910ELNS1_3gpuE8ELNS1_3repE0EEENS1_30default_config_static_selectorELNS0_4arch9wavefront6targetE0EEEvS12_, .Lfunc_end1588-_ZN7rocprim17ROCPRIM_400000_NS6detail17trampoline_kernelINS0_13select_configILj256ELj13ELNS0_17block_load_methodE3ELS4_3ELS4_3ELNS0_20block_scan_algorithmE0ELj4294967295EEENS1_25partition_config_selectorILNS1_17partition_subalgoE4EjNS0_10empty_typeEbEEZZNS1_14partition_implILS8_4ELb0ES6_15HIP_vector_typeIjLj2EENS0_17counting_iteratorIjlEEPS9_SG_NS0_5tupleIJPjSI_NS0_16reverse_iteratorISI_EEEEENSH_IJSG_SG_SG_EEES9_SI_JZNS1_25segmented_radix_sort_implINS0_14default_configELb0EPKbPbPKlPlN2at6native12_GLOBAL__N_18offset_tEEE10hipError_tPvRmT1_PNSt15iterator_traitsIS12_E10value_typeET2_T3_PNS13_IS18_E10value_typeET4_jRbjT5_S1E_jjP12ihipStream_tbEUljE_ZNSN_ISO_Lb0ESQ_SR_ST_SU_SY_EESZ_S10_S11_S12_S16_S17_S18_S1B_S1C_jS1D_jS1E_S1E_jjS1G_bEUljE0_EEESZ_S10_S11_S18_S1C_S1E_T6_T7_T9_mT8_S1G_bDpT10_ENKUlT_T0_E_clISt17integral_constantIbLb0EES1T_IbLb1EEEEDaS1P_S1Q_EUlS1P_E_NS1_11comp_targetILNS1_3genE4ELNS1_11target_archE910ELNS1_3gpuE8ELNS1_3repE0EEENS1_30default_config_static_selectorELNS0_4arch9wavefront6targetE0EEEvS12_
                                        ; -- End function
	.set _ZN7rocprim17ROCPRIM_400000_NS6detail17trampoline_kernelINS0_13select_configILj256ELj13ELNS0_17block_load_methodE3ELS4_3ELS4_3ELNS0_20block_scan_algorithmE0ELj4294967295EEENS1_25partition_config_selectorILNS1_17partition_subalgoE4EjNS0_10empty_typeEbEEZZNS1_14partition_implILS8_4ELb0ES6_15HIP_vector_typeIjLj2EENS0_17counting_iteratorIjlEEPS9_SG_NS0_5tupleIJPjSI_NS0_16reverse_iteratorISI_EEEEENSH_IJSG_SG_SG_EEES9_SI_JZNS1_25segmented_radix_sort_implINS0_14default_configELb0EPKbPbPKlPlN2at6native12_GLOBAL__N_18offset_tEEE10hipError_tPvRmT1_PNSt15iterator_traitsIS12_E10value_typeET2_T3_PNS13_IS18_E10value_typeET4_jRbjT5_S1E_jjP12ihipStream_tbEUljE_ZNSN_ISO_Lb0ESQ_SR_ST_SU_SY_EESZ_S10_S11_S12_S16_S17_S18_S1B_S1C_jS1D_jS1E_S1E_jjS1G_bEUljE0_EEESZ_S10_S11_S18_S1C_S1E_T6_T7_T9_mT8_S1G_bDpT10_ENKUlT_T0_E_clISt17integral_constantIbLb0EES1T_IbLb1EEEEDaS1P_S1Q_EUlS1P_E_NS1_11comp_targetILNS1_3genE4ELNS1_11target_archE910ELNS1_3gpuE8ELNS1_3repE0EEENS1_30default_config_static_selectorELNS0_4arch9wavefront6targetE0EEEvS12_.num_vgpr, 0
	.set _ZN7rocprim17ROCPRIM_400000_NS6detail17trampoline_kernelINS0_13select_configILj256ELj13ELNS0_17block_load_methodE3ELS4_3ELS4_3ELNS0_20block_scan_algorithmE0ELj4294967295EEENS1_25partition_config_selectorILNS1_17partition_subalgoE4EjNS0_10empty_typeEbEEZZNS1_14partition_implILS8_4ELb0ES6_15HIP_vector_typeIjLj2EENS0_17counting_iteratorIjlEEPS9_SG_NS0_5tupleIJPjSI_NS0_16reverse_iteratorISI_EEEEENSH_IJSG_SG_SG_EEES9_SI_JZNS1_25segmented_radix_sort_implINS0_14default_configELb0EPKbPbPKlPlN2at6native12_GLOBAL__N_18offset_tEEE10hipError_tPvRmT1_PNSt15iterator_traitsIS12_E10value_typeET2_T3_PNS13_IS18_E10value_typeET4_jRbjT5_S1E_jjP12ihipStream_tbEUljE_ZNSN_ISO_Lb0ESQ_SR_ST_SU_SY_EESZ_S10_S11_S12_S16_S17_S18_S1B_S1C_jS1D_jS1E_S1E_jjS1G_bEUljE0_EEESZ_S10_S11_S18_S1C_S1E_T6_T7_T9_mT8_S1G_bDpT10_ENKUlT_T0_E_clISt17integral_constantIbLb0EES1T_IbLb1EEEEDaS1P_S1Q_EUlS1P_E_NS1_11comp_targetILNS1_3genE4ELNS1_11target_archE910ELNS1_3gpuE8ELNS1_3repE0EEENS1_30default_config_static_selectorELNS0_4arch9wavefront6targetE0EEEvS12_.num_agpr, 0
	.set _ZN7rocprim17ROCPRIM_400000_NS6detail17trampoline_kernelINS0_13select_configILj256ELj13ELNS0_17block_load_methodE3ELS4_3ELS4_3ELNS0_20block_scan_algorithmE0ELj4294967295EEENS1_25partition_config_selectorILNS1_17partition_subalgoE4EjNS0_10empty_typeEbEEZZNS1_14partition_implILS8_4ELb0ES6_15HIP_vector_typeIjLj2EENS0_17counting_iteratorIjlEEPS9_SG_NS0_5tupleIJPjSI_NS0_16reverse_iteratorISI_EEEEENSH_IJSG_SG_SG_EEES9_SI_JZNS1_25segmented_radix_sort_implINS0_14default_configELb0EPKbPbPKlPlN2at6native12_GLOBAL__N_18offset_tEEE10hipError_tPvRmT1_PNSt15iterator_traitsIS12_E10value_typeET2_T3_PNS13_IS18_E10value_typeET4_jRbjT5_S1E_jjP12ihipStream_tbEUljE_ZNSN_ISO_Lb0ESQ_SR_ST_SU_SY_EESZ_S10_S11_S12_S16_S17_S18_S1B_S1C_jS1D_jS1E_S1E_jjS1G_bEUljE0_EEESZ_S10_S11_S18_S1C_S1E_T6_T7_T9_mT8_S1G_bDpT10_ENKUlT_T0_E_clISt17integral_constantIbLb0EES1T_IbLb1EEEEDaS1P_S1Q_EUlS1P_E_NS1_11comp_targetILNS1_3genE4ELNS1_11target_archE910ELNS1_3gpuE8ELNS1_3repE0EEENS1_30default_config_static_selectorELNS0_4arch9wavefront6targetE0EEEvS12_.numbered_sgpr, 0
	.set _ZN7rocprim17ROCPRIM_400000_NS6detail17trampoline_kernelINS0_13select_configILj256ELj13ELNS0_17block_load_methodE3ELS4_3ELS4_3ELNS0_20block_scan_algorithmE0ELj4294967295EEENS1_25partition_config_selectorILNS1_17partition_subalgoE4EjNS0_10empty_typeEbEEZZNS1_14partition_implILS8_4ELb0ES6_15HIP_vector_typeIjLj2EENS0_17counting_iteratorIjlEEPS9_SG_NS0_5tupleIJPjSI_NS0_16reverse_iteratorISI_EEEEENSH_IJSG_SG_SG_EEES9_SI_JZNS1_25segmented_radix_sort_implINS0_14default_configELb0EPKbPbPKlPlN2at6native12_GLOBAL__N_18offset_tEEE10hipError_tPvRmT1_PNSt15iterator_traitsIS12_E10value_typeET2_T3_PNS13_IS18_E10value_typeET4_jRbjT5_S1E_jjP12ihipStream_tbEUljE_ZNSN_ISO_Lb0ESQ_SR_ST_SU_SY_EESZ_S10_S11_S12_S16_S17_S18_S1B_S1C_jS1D_jS1E_S1E_jjS1G_bEUljE0_EEESZ_S10_S11_S18_S1C_S1E_T6_T7_T9_mT8_S1G_bDpT10_ENKUlT_T0_E_clISt17integral_constantIbLb0EES1T_IbLb1EEEEDaS1P_S1Q_EUlS1P_E_NS1_11comp_targetILNS1_3genE4ELNS1_11target_archE910ELNS1_3gpuE8ELNS1_3repE0EEENS1_30default_config_static_selectorELNS0_4arch9wavefront6targetE0EEEvS12_.num_named_barrier, 0
	.set _ZN7rocprim17ROCPRIM_400000_NS6detail17trampoline_kernelINS0_13select_configILj256ELj13ELNS0_17block_load_methodE3ELS4_3ELS4_3ELNS0_20block_scan_algorithmE0ELj4294967295EEENS1_25partition_config_selectorILNS1_17partition_subalgoE4EjNS0_10empty_typeEbEEZZNS1_14partition_implILS8_4ELb0ES6_15HIP_vector_typeIjLj2EENS0_17counting_iteratorIjlEEPS9_SG_NS0_5tupleIJPjSI_NS0_16reverse_iteratorISI_EEEEENSH_IJSG_SG_SG_EEES9_SI_JZNS1_25segmented_radix_sort_implINS0_14default_configELb0EPKbPbPKlPlN2at6native12_GLOBAL__N_18offset_tEEE10hipError_tPvRmT1_PNSt15iterator_traitsIS12_E10value_typeET2_T3_PNS13_IS18_E10value_typeET4_jRbjT5_S1E_jjP12ihipStream_tbEUljE_ZNSN_ISO_Lb0ESQ_SR_ST_SU_SY_EESZ_S10_S11_S12_S16_S17_S18_S1B_S1C_jS1D_jS1E_S1E_jjS1G_bEUljE0_EEESZ_S10_S11_S18_S1C_S1E_T6_T7_T9_mT8_S1G_bDpT10_ENKUlT_T0_E_clISt17integral_constantIbLb0EES1T_IbLb1EEEEDaS1P_S1Q_EUlS1P_E_NS1_11comp_targetILNS1_3genE4ELNS1_11target_archE910ELNS1_3gpuE8ELNS1_3repE0EEENS1_30default_config_static_selectorELNS0_4arch9wavefront6targetE0EEEvS12_.private_seg_size, 0
	.set _ZN7rocprim17ROCPRIM_400000_NS6detail17trampoline_kernelINS0_13select_configILj256ELj13ELNS0_17block_load_methodE3ELS4_3ELS4_3ELNS0_20block_scan_algorithmE0ELj4294967295EEENS1_25partition_config_selectorILNS1_17partition_subalgoE4EjNS0_10empty_typeEbEEZZNS1_14partition_implILS8_4ELb0ES6_15HIP_vector_typeIjLj2EENS0_17counting_iteratorIjlEEPS9_SG_NS0_5tupleIJPjSI_NS0_16reverse_iteratorISI_EEEEENSH_IJSG_SG_SG_EEES9_SI_JZNS1_25segmented_radix_sort_implINS0_14default_configELb0EPKbPbPKlPlN2at6native12_GLOBAL__N_18offset_tEEE10hipError_tPvRmT1_PNSt15iterator_traitsIS12_E10value_typeET2_T3_PNS13_IS18_E10value_typeET4_jRbjT5_S1E_jjP12ihipStream_tbEUljE_ZNSN_ISO_Lb0ESQ_SR_ST_SU_SY_EESZ_S10_S11_S12_S16_S17_S18_S1B_S1C_jS1D_jS1E_S1E_jjS1G_bEUljE0_EEESZ_S10_S11_S18_S1C_S1E_T6_T7_T9_mT8_S1G_bDpT10_ENKUlT_T0_E_clISt17integral_constantIbLb0EES1T_IbLb1EEEEDaS1P_S1Q_EUlS1P_E_NS1_11comp_targetILNS1_3genE4ELNS1_11target_archE910ELNS1_3gpuE8ELNS1_3repE0EEENS1_30default_config_static_selectorELNS0_4arch9wavefront6targetE0EEEvS12_.uses_vcc, 0
	.set _ZN7rocprim17ROCPRIM_400000_NS6detail17trampoline_kernelINS0_13select_configILj256ELj13ELNS0_17block_load_methodE3ELS4_3ELS4_3ELNS0_20block_scan_algorithmE0ELj4294967295EEENS1_25partition_config_selectorILNS1_17partition_subalgoE4EjNS0_10empty_typeEbEEZZNS1_14partition_implILS8_4ELb0ES6_15HIP_vector_typeIjLj2EENS0_17counting_iteratorIjlEEPS9_SG_NS0_5tupleIJPjSI_NS0_16reverse_iteratorISI_EEEEENSH_IJSG_SG_SG_EEES9_SI_JZNS1_25segmented_radix_sort_implINS0_14default_configELb0EPKbPbPKlPlN2at6native12_GLOBAL__N_18offset_tEEE10hipError_tPvRmT1_PNSt15iterator_traitsIS12_E10value_typeET2_T3_PNS13_IS18_E10value_typeET4_jRbjT5_S1E_jjP12ihipStream_tbEUljE_ZNSN_ISO_Lb0ESQ_SR_ST_SU_SY_EESZ_S10_S11_S12_S16_S17_S18_S1B_S1C_jS1D_jS1E_S1E_jjS1G_bEUljE0_EEESZ_S10_S11_S18_S1C_S1E_T6_T7_T9_mT8_S1G_bDpT10_ENKUlT_T0_E_clISt17integral_constantIbLb0EES1T_IbLb1EEEEDaS1P_S1Q_EUlS1P_E_NS1_11comp_targetILNS1_3genE4ELNS1_11target_archE910ELNS1_3gpuE8ELNS1_3repE0EEENS1_30default_config_static_selectorELNS0_4arch9wavefront6targetE0EEEvS12_.uses_flat_scratch, 0
	.set _ZN7rocprim17ROCPRIM_400000_NS6detail17trampoline_kernelINS0_13select_configILj256ELj13ELNS0_17block_load_methodE3ELS4_3ELS4_3ELNS0_20block_scan_algorithmE0ELj4294967295EEENS1_25partition_config_selectorILNS1_17partition_subalgoE4EjNS0_10empty_typeEbEEZZNS1_14partition_implILS8_4ELb0ES6_15HIP_vector_typeIjLj2EENS0_17counting_iteratorIjlEEPS9_SG_NS0_5tupleIJPjSI_NS0_16reverse_iteratorISI_EEEEENSH_IJSG_SG_SG_EEES9_SI_JZNS1_25segmented_radix_sort_implINS0_14default_configELb0EPKbPbPKlPlN2at6native12_GLOBAL__N_18offset_tEEE10hipError_tPvRmT1_PNSt15iterator_traitsIS12_E10value_typeET2_T3_PNS13_IS18_E10value_typeET4_jRbjT5_S1E_jjP12ihipStream_tbEUljE_ZNSN_ISO_Lb0ESQ_SR_ST_SU_SY_EESZ_S10_S11_S12_S16_S17_S18_S1B_S1C_jS1D_jS1E_S1E_jjS1G_bEUljE0_EEESZ_S10_S11_S18_S1C_S1E_T6_T7_T9_mT8_S1G_bDpT10_ENKUlT_T0_E_clISt17integral_constantIbLb0EES1T_IbLb1EEEEDaS1P_S1Q_EUlS1P_E_NS1_11comp_targetILNS1_3genE4ELNS1_11target_archE910ELNS1_3gpuE8ELNS1_3repE0EEENS1_30default_config_static_selectorELNS0_4arch9wavefront6targetE0EEEvS12_.has_dyn_sized_stack, 0
	.set _ZN7rocprim17ROCPRIM_400000_NS6detail17trampoline_kernelINS0_13select_configILj256ELj13ELNS0_17block_load_methodE3ELS4_3ELS4_3ELNS0_20block_scan_algorithmE0ELj4294967295EEENS1_25partition_config_selectorILNS1_17partition_subalgoE4EjNS0_10empty_typeEbEEZZNS1_14partition_implILS8_4ELb0ES6_15HIP_vector_typeIjLj2EENS0_17counting_iteratorIjlEEPS9_SG_NS0_5tupleIJPjSI_NS0_16reverse_iteratorISI_EEEEENSH_IJSG_SG_SG_EEES9_SI_JZNS1_25segmented_radix_sort_implINS0_14default_configELb0EPKbPbPKlPlN2at6native12_GLOBAL__N_18offset_tEEE10hipError_tPvRmT1_PNSt15iterator_traitsIS12_E10value_typeET2_T3_PNS13_IS18_E10value_typeET4_jRbjT5_S1E_jjP12ihipStream_tbEUljE_ZNSN_ISO_Lb0ESQ_SR_ST_SU_SY_EESZ_S10_S11_S12_S16_S17_S18_S1B_S1C_jS1D_jS1E_S1E_jjS1G_bEUljE0_EEESZ_S10_S11_S18_S1C_S1E_T6_T7_T9_mT8_S1G_bDpT10_ENKUlT_T0_E_clISt17integral_constantIbLb0EES1T_IbLb1EEEEDaS1P_S1Q_EUlS1P_E_NS1_11comp_targetILNS1_3genE4ELNS1_11target_archE910ELNS1_3gpuE8ELNS1_3repE0EEENS1_30default_config_static_selectorELNS0_4arch9wavefront6targetE0EEEvS12_.has_recursion, 0
	.set _ZN7rocprim17ROCPRIM_400000_NS6detail17trampoline_kernelINS0_13select_configILj256ELj13ELNS0_17block_load_methodE3ELS4_3ELS4_3ELNS0_20block_scan_algorithmE0ELj4294967295EEENS1_25partition_config_selectorILNS1_17partition_subalgoE4EjNS0_10empty_typeEbEEZZNS1_14partition_implILS8_4ELb0ES6_15HIP_vector_typeIjLj2EENS0_17counting_iteratorIjlEEPS9_SG_NS0_5tupleIJPjSI_NS0_16reverse_iteratorISI_EEEEENSH_IJSG_SG_SG_EEES9_SI_JZNS1_25segmented_radix_sort_implINS0_14default_configELb0EPKbPbPKlPlN2at6native12_GLOBAL__N_18offset_tEEE10hipError_tPvRmT1_PNSt15iterator_traitsIS12_E10value_typeET2_T3_PNS13_IS18_E10value_typeET4_jRbjT5_S1E_jjP12ihipStream_tbEUljE_ZNSN_ISO_Lb0ESQ_SR_ST_SU_SY_EESZ_S10_S11_S12_S16_S17_S18_S1B_S1C_jS1D_jS1E_S1E_jjS1G_bEUljE0_EEESZ_S10_S11_S18_S1C_S1E_T6_T7_T9_mT8_S1G_bDpT10_ENKUlT_T0_E_clISt17integral_constantIbLb0EES1T_IbLb1EEEEDaS1P_S1Q_EUlS1P_E_NS1_11comp_targetILNS1_3genE4ELNS1_11target_archE910ELNS1_3gpuE8ELNS1_3repE0EEENS1_30default_config_static_selectorELNS0_4arch9wavefront6targetE0EEEvS12_.has_indirect_call, 0
	.section	.AMDGPU.csdata,"",@progbits
; Kernel info:
; codeLenInByte = 0
; TotalNumSgprs: 0
; NumVgprs: 0
; ScratchSize: 0
; MemoryBound: 0
; FloatMode: 240
; IeeeMode: 1
; LDSByteSize: 0 bytes/workgroup (compile time only)
; SGPRBlocks: 0
; VGPRBlocks: 0
; NumSGPRsForWavesPerEU: 1
; NumVGPRsForWavesPerEU: 1
; NamedBarCnt: 0
; Occupancy: 16
; WaveLimiterHint : 0
; COMPUTE_PGM_RSRC2:SCRATCH_EN: 0
; COMPUTE_PGM_RSRC2:USER_SGPR: 2
; COMPUTE_PGM_RSRC2:TRAP_HANDLER: 0
; COMPUTE_PGM_RSRC2:TGID_X_EN: 1
; COMPUTE_PGM_RSRC2:TGID_Y_EN: 0
; COMPUTE_PGM_RSRC2:TGID_Z_EN: 0
; COMPUTE_PGM_RSRC2:TIDIG_COMP_CNT: 0
	.section	.text._ZN7rocprim17ROCPRIM_400000_NS6detail17trampoline_kernelINS0_13select_configILj256ELj13ELNS0_17block_load_methodE3ELS4_3ELS4_3ELNS0_20block_scan_algorithmE0ELj4294967295EEENS1_25partition_config_selectorILNS1_17partition_subalgoE4EjNS0_10empty_typeEbEEZZNS1_14partition_implILS8_4ELb0ES6_15HIP_vector_typeIjLj2EENS0_17counting_iteratorIjlEEPS9_SG_NS0_5tupleIJPjSI_NS0_16reverse_iteratorISI_EEEEENSH_IJSG_SG_SG_EEES9_SI_JZNS1_25segmented_radix_sort_implINS0_14default_configELb0EPKbPbPKlPlN2at6native12_GLOBAL__N_18offset_tEEE10hipError_tPvRmT1_PNSt15iterator_traitsIS12_E10value_typeET2_T3_PNS13_IS18_E10value_typeET4_jRbjT5_S1E_jjP12ihipStream_tbEUljE_ZNSN_ISO_Lb0ESQ_SR_ST_SU_SY_EESZ_S10_S11_S12_S16_S17_S18_S1B_S1C_jS1D_jS1E_S1E_jjS1G_bEUljE0_EEESZ_S10_S11_S18_S1C_S1E_T6_T7_T9_mT8_S1G_bDpT10_ENKUlT_T0_E_clISt17integral_constantIbLb0EES1T_IbLb1EEEEDaS1P_S1Q_EUlS1P_E_NS1_11comp_targetILNS1_3genE3ELNS1_11target_archE908ELNS1_3gpuE7ELNS1_3repE0EEENS1_30default_config_static_selectorELNS0_4arch9wavefront6targetE0EEEvS12_,"axG",@progbits,_ZN7rocprim17ROCPRIM_400000_NS6detail17trampoline_kernelINS0_13select_configILj256ELj13ELNS0_17block_load_methodE3ELS4_3ELS4_3ELNS0_20block_scan_algorithmE0ELj4294967295EEENS1_25partition_config_selectorILNS1_17partition_subalgoE4EjNS0_10empty_typeEbEEZZNS1_14partition_implILS8_4ELb0ES6_15HIP_vector_typeIjLj2EENS0_17counting_iteratorIjlEEPS9_SG_NS0_5tupleIJPjSI_NS0_16reverse_iteratorISI_EEEEENSH_IJSG_SG_SG_EEES9_SI_JZNS1_25segmented_radix_sort_implINS0_14default_configELb0EPKbPbPKlPlN2at6native12_GLOBAL__N_18offset_tEEE10hipError_tPvRmT1_PNSt15iterator_traitsIS12_E10value_typeET2_T3_PNS13_IS18_E10value_typeET4_jRbjT5_S1E_jjP12ihipStream_tbEUljE_ZNSN_ISO_Lb0ESQ_SR_ST_SU_SY_EESZ_S10_S11_S12_S16_S17_S18_S1B_S1C_jS1D_jS1E_S1E_jjS1G_bEUljE0_EEESZ_S10_S11_S18_S1C_S1E_T6_T7_T9_mT8_S1G_bDpT10_ENKUlT_T0_E_clISt17integral_constantIbLb0EES1T_IbLb1EEEEDaS1P_S1Q_EUlS1P_E_NS1_11comp_targetILNS1_3genE3ELNS1_11target_archE908ELNS1_3gpuE7ELNS1_3repE0EEENS1_30default_config_static_selectorELNS0_4arch9wavefront6targetE0EEEvS12_,comdat
	.globl	_ZN7rocprim17ROCPRIM_400000_NS6detail17trampoline_kernelINS0_13select_configILj256ELj13ELNS0_17block_load_methodE3ELS4_3ELS4_3ELNS0_20block_scan_algorithmE0ELj4294967295EEENS1_25partition_config_selectorILNS1_17partition_subalgoE4EjNS0_10empty_typeEbEEZZNS1_14partition_implILS8_4ELb0ES6_15HIP_vector_typeIjLj2EENS0_17counting_iteratorIjlEEPS9_SG_NS0_5tupleIJPjSI_NS0_16reverse_iteratorISI_EEEEENSH_IJSG_SG_SG_EEES9_SI_JZNS1_25segmented_radix_sort_implINS0_14default_configELb0EPKbPbPKlPlN2at6native12_GLOBAL__N_18offset_tEEE10hipError_tPvRmT1_PNSt15iterator_traitsIS12_E10value_typeET2_T3_PNS13_IS18_E10value_typeET4_jRbjT5_S1E_jjP12ihipStream_tbEUljE_ZNSN_ISO_Lb0ESQ_SR_ST_SU_SY_EESZ_S10_S11_S12_S16_S17_S18_S1B_S1C_jS1D_jS1E_S1E_jjS1G_bEUljE0_EEESZ_S10_S11_S18_S1C_S1E_T6_T7_T9_mT8_S1G_bDpT10_ENKUlT_T0_E_clISt17integral_constantIbLb0EES1T_IbLb1EEEEDaS1P_S1Q_EUlS1P_E_NS1_11comp_targetILNS1_3genE3ELNS1_11target_archE908ELNS1_3gpuE7ELNS1_3repE0EEENS1_30default_config_static_selectorELNS0_4arch9wavefront6targetE0EEEvS12_ ; -- Begin function _ZN7rocprim17ROCPRIM_400000_NS6detail17trampoline_kernelINS0_13select_configILj256ELj13ELNS0_17block_load_methodE3ELS4_3ELS4_3ELNS0_20block_scan_algorithmE0ELj4294967295EEENS1_25partition_config_selectorILNS1_17partition_subalgoE4EjNS0_10empty_typeEbEEZZNS1_14partition_implILS8_4ELb0ES6_15HIP_vector_typeIjLj2EENS0_17counting_iteratorIjlEEPS9_SG_NS0_5tupleIJPjSI_NS0_16reverse_iteratorISI_EEEEENSH_IJSG_SG_SG_EEES9_SI_JZNS1_25segmented_radix_sort_implINS0_14default_configELb0EPKbPbPKlPlN2at6native12_GLOBAL__N_18offset_tEEE10hipError_tPvRmT1_PNSt15iterator_traitsIS12_E10value_typeET2_T3_PNS13_IS18_E10value_typeET4_jRbjT5_S1E_jjP12ihipStream_tbEUljE_ZNSN_ISO_Lb0ESQ_SR_ST_SU_SY_EESZ_S10_S11_S12_S16_S17_S18_S1B_S1C_jS1D_jS1E_S1E_jjS1G_bEUljE0_EEESZ_S10_S11_S18_S1C_S1E_T6_T7_T9_mT8_S1G_bDpT10_ENKUlT_T0_E_clISt17integral_constantIbLb0EES1T_IbLb1EEEEDaS1P_S1Q_EUlS1P_E_NS1_11comp_targetILNS1_3genE3ELNS1_11target_archE908ELNS1_3gpuE7ELNS1_3repE0EEENS1_30default_config_static_selectorELNS0_4arch9wavefront6targetE0EEEvS12_
	.p2align	8
	.type	_ZN7rocprim17ROCPRIM_400000_NS6detail17trampoline_kernelINS0_13select_configILj256ELj13ELNS0_17block_load_methodE3ELS4_3ELS4_3ELNS0_20block_scan_algorithmE0ELj4294967295EEENS1_25partition_config_selectorILNS1_17partition_subalgoE4EjNS0_10empty_typeEbEEZZNS1_14partition_implILS8_4ELb0ES6_15HIP_vector_typeIjLj2EENS0_17counting_iteratorIjlEEPS9_SG_NS0_5tupleIJPjSI_NS0_16reverse_iteratorISI_EEEEENSH_IJSG_SG_SG_EEES9_SI_JZNS1_25segmented_radix_sort_implINS0_14default_configELb0EPKbPbPKlPlN2at6native12_GLOBAL__N_18offset_tEEE10hipError_tPvRmT1_PNSt15iterator_traitsIS12_E10value_typeET2_T3_PNS13_IS18_E10value_typeET4_jRbjT5_S1E_jjP12ihipStream_tbEUljE_ZNSN_ISO_Lb0ESQ_SR_ST_SU_SY_EESZ_S10_S11_S12_S16_S17_S18_S1B_S1C_jS1D_jS1E_S1E_jjS1G_bEUljE0_EEESZ_S10_S11_S18_S1C_S1E_T6_T7_T9_mT8_S1G_bDpT10_ENKUlT_T0_E_clISt17integral_constantIbLb0EES1T_IbLb1EEEEDaS1P_S1Q_EUlS1P_E_NS1_11comp_targetILNS1_3genE3ELNS1_11target_archE908ELNS1_3gpuE7ELNS1_3repE0EEENS1_30default_config_static_selectorELNS0_4arch9wavefront6targetE0EEEvS12_,@function
_ZN7rocprim17ROCPRIM_400000_NS6detail17trampoline_kernelINS0_13select_configILj256ELj13ELNS0_17block_load_methodE3ELS4_3ELS4_3ELNS0_20block_scan_algorithmE0ELj4294967295EEENS1_25partition_config_selectorILNS1_17partition_subalgoE4EjNS0_10empty_typeEbEEZZNS1_14partition_implILS8_4ELb0ES6_15HIP_vector_typeIjLj2EENS0_17counting_iteratorIjlEEPS9_SG_NS0_5tupleIJPjSI_NS0_16reverse_iteratorISI_EEEEENSH_IJSG_SG_SG_EEES9_SI_JZNS1_25segmented_radix_sort_implINS0_14default_configELb0EPKbPbPKlPlN2at6native12_GLOBAL__N_18offset_tEEE10hipError_tPvRmT1_PNSt15iterator_traitsIS12_E10value_typeET2_T3_PNS13_IS18_E10value_typeET4_jRbjT5_S1E_jjP12ihipStream_tbEUljE_ZNSN_ISO_Lb0ESQ_SR_ST_SU_SY_EESZ_S10_S11_S12_S16_S17_S18_S1B_S1C_jS1D_jS1E_S1E_jjS1G_bEUljE0_EEESZ_S10_S11_S18_S1C_S1E_T6_T7_T9_mT8_S1G_bDpT10_ENKUlT_T0_E_clISt17integral_constantIbLb0EES1T_IbLb1EEEEDaS1P_S1Q_EUlS1P_E_NS1_11comp_targetILNS1_3genE3ELNS1_11target_archE908ELNS1_3gpuE7ELNS1_3repE0EEENS1_30default_config_static_selectorELNS0_4arch9wavefront6targetE0EEEvS12_: ; @_ZN7rocprim17ROCPRIM_400000_NS6detail17trampoline_kernelINS0_13select_configILj256ELj13ELNS0_17block_load_methodE3ELS4_3ELS4_3ELNS0_20block_scan_algorithmE0ELj4294967295EEENS1_25partition_config_selectorILNS1_17partition_subalgoE4EjNS0_10empty_typeEbEEZZNS1_14partition_implILS8_4ELb0ES6_15HIP_vector_typeIjLj2EENS0_17counting_iteratorIjlEEPS9_SG_NS0_5tupleIJPjSI_NS0_16reverse_iteratorISI_EEEEENSH_IJSG_SG_SG_EEES9_SI_JZNS1_25segmented_radix_sort_implINS0_14default_configELb0EPKbPbPKlPlN2at6native12_GLOBAL__N_18offset_tEEE10hipError_tPvRmT1_PNSt15iterator_traitsIS12_E10value_typeET2_T3_PNS13_IS18_E10value_typeET4_jRbjT5_S1E_jjP12ihipStream_tbEUljE_ZNSN_ISO_Lb0ESQ_SR_ST_SU_SY_EESZ_S10_S11_S12_S16_S17_S18_S1B_S1C_jS1D_jS1E_S1E_jjS1G_bEUljE0_EEESZ_S10_S11_S18_S1C_S1E_T6_T7_T9_mT8_S1G_bDpT10_ENKUlT_T0_E_clISt17integral_constantIbLb0EES1T_IbLb1EEEEDaS1P_S1Q_EUlS1P_E_NS1_11comp_targetILNS1_3genE3ELNS1_11target_archE908ELNS1_3gpuE7ELNS1_3repE0EEENS1_30default_config_static_selectorELNS0_4arch9wavefront6targetE0EEEvS12_
; %bb.0:
	.section	.rodata,"a",@progbits
	.p2align	6, 0x0
	.amdhsa_kernel _ZN7rocprim17ROCPRIM_400000_NS6detail17trampoline_kernelINS0_13select_configILj256ELj13ELNS0_17block_load_methodE3ELS4_3ELS4_3ELNS0_20block_scan_algorithmE0ELj4294967295EEENS1_25partition_config_selectorILNS1_17partition_subalgoE4EjNS0_10empty_typeEbEEZZNS1_14partition_implILS8_4ELb0ES6_15HIP_vector_typeIjLj2EENS0_17counting_iteratorIjlEEPS9_SG_NS0_5tupleIJPjSI_NS0_16reverse_iteratorISI_EEEEENSH_IJSG_SG_SG_EEES9_SI_JZNS1_25segmented_radix_sort_implINS0_14default_configELb0EPKbPbPKlPlN2at6native12_GLOBAL__N_18offset_tEEE10hipError_tPvRmT1_PNSt15iterator_traitsIS12_E10value_typeET2_T3_PNS13_IS18_E10value_typeET4_jRbjT5_S1E_jjP12ihipStream_tbEUljE_ZNSN_ISO_Lb0ESQ_SR_ST_SU_SY_EESZ_S10_S11_S12_S16_S17_S18_S1B_S1C_jS1D_jS1E_S1E_jjS1G_bEUljE0_EEESZ_S10_S11_S18_S1C_S1E_T6_T7_T9_mT8_S1G_bDpT10_ENKUlT_T0_E_clISt17integral_constantIbLb0EES1T_IbLb1EEEEDaS1P_S1Q_EUlS1P_E_NS1_11comp_targetILNS1_3genE3ELNS1_11target_archE908ELNS1_3gpuE7ELNS1_3repE0EEENS1_30default_config_static_selectorELNS0_4arch9wavefront6targetE0EEEvS12_
		.amdhsa_group_segment_fixed_size 0
		.amdhsa_private_segment_fixed_size 0
		.amdhsa_kernarg_size 184
		.amdhsa_user_sgpr_count 2
		.amdhsa_user_sgpr_dispatch_ptr 0
		.amdhsa_user_sgpr_queue_ptr 0
		.amdhsa_user_sgpr_kernarg_segment_ptr 1
		.amdhsa_user_sgpr_dispatch_id 0
		.amdhsa_user_sgpr_kernarg_preload_length 0
		.amdhsa_user_sgpr_kernarg_preload_offset 0
		.amdhsa_user_sgpr_private_segment_size 0
		.amdhsa_wavefront_size32 1
		.amdhsa_uses_dynamic_stack 0
		.amdhsa_enable_private_segment 0
		.amdhsa_system_sgpr_workgroup_id_x 1
		.amdhsa_system_sgpr_workgroup_id_y 0
		.amdhsa_system_sgpr_workgroup_id_z 0
		.amdhsa_system_sgpr_workgroup_info 0
		.amdhsa_system_vgpr_workitem_id 0
		.amdhsa_next_free_vgpr 1
		.amdhsa_next_free_sgpr 1
		.amdhsa_named_barrier_count 0
		.amdhsa_reserve_vcc 0
		.amdhsa_float_round_mode_32 0
		.amdhsa_float_round_mode_16_64 0
		.amdhsa_float_denorm_mode_32 3
		.amdhsa_float_denorm_mode_16_64 3
		.amdhsa_fp16_overflow 0
		.amdhsa_memory_ordered 1
		.amdhsa_forward_progress 1
		.amdhsa_inst_pref_size 0
		.amdhsa_round_robin_scheduling 0
		.amdhsa_exception_fp_ieee_invalid_op 0
		.amdhsa_exception_fp_denorm_src 0
		.amdhsa_exception_fp_ieee_div_zero 0
		.amdhsa_exception_fp_ieee_overflow 0
		.amdhsa_exception_fp_ieee_underflow 0
		.amdhsa_exception_fp_ieee_inexact 0
		.amdhsa_exception_int_div_zero 0
	.end_amdhsa_kernel
	.section	.text._ZN7rocprim17ROCPRIM_400000_NS6detail17trampoline_kernelINS0_13select_configILj256ELj13ELNS0_17block_load_methodE3ELS4_3ELS4_3ELNS0_20block_scan_algorithmE0ELj4294967295EEENS1_25partition_config_selectorILNS1_17partition_subalgoE4EjNS0_10empty_typeEbEEZZNS1_14partition_implILS8_4ELb0ES6_15HIP_vector_typeIjLj2EENS0_17counting_iteratorIjlEEPS9_SG_NS0_5tupleIJPjSI_NS0_16reverse_iteratorISI_EEEEENSH_IJSG_SG_SG_EEES9_SI_JZNS1_25segmented_radix_sort_implINS0_14default_configELb0EPKbPbPKlPlN2at6native12_GLOBAL__N_18offset_tEEE10hipError_tPvRmT1_PNSt15iterator_traitsIS12_E10value_typeET2_T3_PNS13_IS18_E10value_typeET4_jRbjT5_S1E_jjP12ihipStream_tbEUljE_ZNSN_ISO_Lb0ESQ_SR_ST_SU_SY_EESZ_S10_S11_S12_S16_S17_S18_S1B_S1C_jS1D_jS1E_S1E_jjS1G_bEUljE0_EEESZ_S10_S11_S18_S1C_S1E_T6_T7_T9_mT8_S1G_bDpT10_ENKUlT_T0_E_clISt17integral_constantIbLb0EES1T_IbLb1EEEEDaS1P_S1Q_EUlS1P_E_NS1_11comp_targetILNS1_3genE3ELNS1_11target_archE908ELNS1_3gpuE7ELNS1_3repE0EEENS1_30default_config_static_selectorELNS0_4arch9wavefront6targetE0EEEvS12_,"axG",@progbits,_ZN7rocprim17ROCPRIM_400000_NS6detail17trampoline_kernelINS0_13select_configILj256ELj13ELNS0_17block_load_methodE3ELS4_3ELS4_3ELNS0_20block_scan_algorithmE0ELj4294967295EEENS1_25partition_config_selectorILNS1_17partition_subalgoE4EjNS0_10empty_typeEbEEZZNS1_14partition_implILS8_4ELb0ES6_15HIP_vector_typeIjLj2EENS0_17counting_iteratorIjlEEPS9_SG_NS0_5tupleIJPjSI_NS0_16reverse_iteratorISI_EEEEENSH_IJSG_SG_SG_EEES9_SI_JZNS1_25segmented_radix_sort_implINS0_14default_configELb0EPKbPbPKlPlN2at6native12_GLOBAL__N_18offset_tEEE10hipError_tPvRmT1_PNSt15iterator_traitsIS12_E10value_typeET2_T3_PNS13_IS18_E10value_typeET4_jRbjT5_S1E_jjP12ihipStream_tbEUljE_ZNSN_ISO_Lb0ESQ_SR_ST_SU_SY_EESZ_S10_S11_S12_S16_S17_S18_S1B_S1C_jS1D_jS1E_S1E_jjS1G_bEUljE0_EEESZ_S10_S11_S18_S1C_S1E_T6_T7_T9_mT8_S1G_bDpT10_ENKUlT_T0_E_clISt17integral_constantIbLb0EES1T_IbLb1EEEEDaS1P_S1Q_EUlS1P_E_NS1_11comp_targetILNS1_3genE3ELNS1_11target_archE908ELNS1_3gpuE7ELNS1_3repE0EEENS1_30default_config_static_selectorELNS0_4arch9wavefront6targetE0EEEvS12_,comdat
.Lfunc_end1589:
	.size	_ZN7rocprim17ROCPRIM_400000_NS6detail17trampoline_kernelINS0_13select_configILj256ELj13ELNS0_17block_load_methodE3ELS4_3ELS4_3ELNS0_20block_scan_algorithmE0ELj4294967295EEENS1_25partition_config_selectorILNS1_17partition_subalgoE4EjNS0_10empty_typeEbEEZZNS1_14partition_implILS8_4ELb0ES6_15HIP_vector_typeIjLj2EENS0_17counting_iteratorIjlEEPS9_SG_NS0_5tupleIJPjSI_NS0_16reverse_iteratorISI_EEEEENSH_IJSG_SG_SG_EEES9_SI_JZNS1_25segmented_radix_sort_implINS0_14default_configELb0EPKbPbPKlPlN2at6native12_GLOBAL__N_18offset_tEEE10hipError_tPvRmT1_PNSt15iterator_traitsIS12_E10value_typeET2_T3_PNS13_IS18_E10value_typeET4_jRbjT5_S1E_jjP12ihipStream_tbEUljE_ZNSN_ISO_Lb0ESQ_SR_ST_SU_SY_EESZ_S10_S11_S12_S16_S17_S18_S1B_S1C_jS1D_jS1E_S1E_jjS1G_bEUljE0_EEESZ_S10_S11_S18_S1C_S1E_T6_T7_T9_mT8_S1G_bDpT10_ENKUlT_T0_E_clISt17integral_constantIbLb0EES1T_IbLb1EEEEDaS1P_S1Q_EUlS1P_E_NS1_11comp_targetILNS1_3genE3ELNS1_11target_archE908ELNS1_3gpuE7ELNS1_3repE0EEENS1_30default_config_static_selectorELNS0_4arch9wavefront6targetE0EEEvS12_, .Lfunc_end1589-_ZN7rocprim17ROCPRIM_400000_NS6detail17trampoline_kernelINS0_13select_configILj256ELj13ELNS0_17block_load_methodE3ELS4_3ELS4_3ELNS0_20block_scan_algorithmE0ELj4294967295EEENS1_25partition_config_selectorILNS1_17partition_subalgoE4EjNS0_10empty_typeEbEEZZNS1_14partition_implILS8_4ELb0ES6_15HIP_vector_typeIjLj2EENS0_17counting_iteratorIjlEEPS9_SG_NS0_5tupleIJPjSI_NS0_16reverse_iteratorISI_EEEEENSH_IJSG_SG_SG_EEES9_SI_JZNS1_25segmented_radix_sort_implINS0_14default_configELb0EPKbPbPKlPlN2at6native12_GLOBAL__N_18offset_tEEE10hipError_tPvRmT1_PNSt15iterator_traitsIS12_E10value_typeET2_T3_PNS13_IS18_E10value_typeET4_jRbjT5_S1E_jjP12ihipStream_tbEUljE_ZNSN_ISO_Lb0ESQ_SR_ST_SU_SY_EESZ_S10_S11_S12_S16_S17_S18_S1B_S1C_jS1D_jS1E_S1E_jjS1G_bEUljE0_EEESZ_S10_S11_S18_S1C_S1E_T6_T7_T9_mT8_S1G_bDpT10_ENKUlT_T0_E_clISt17integral_constantIbLb0EES1T_IbLb1EEEEDaS1P_S1Q_EUlS1P_E_NS1_11comp_targetILNS1_3genE3ELNS1_11target_archE908ELNS1_3gpuE7ELNS1_3repE0EEENS1_30default_config_static_selectorELNS0_4arch9wavefront6targetE0EEEvS12_
                                        ; -- End function
	.set _ZN7rocprim17ROCPRIM_400000_NS6detail17trampoline_kernelINS0_13select_configILj256ELj13ELNS0_17block_load_methodE3ELS4_3ELS4_3ELNS0_20block_scan_algorithmE0ELj4294967295EEENS1_25partition_config_selectorILNS1_17partition_subalgoE4EjNS0_10empty_typeEbEEZZNS1_14partition_implILS8_4ELb0ES6_15HIP_vector_typeIjLj2EENS0_17counting_iteratorIjlEEPS9_SG_NS0_5tupleIJPjSI_NS0_16reverse_iteratorISI_EEEEENSH_IJSG_SG_SG_EEES9_SI_JZNS1_25segmented_radix_sort_implINS0_14default_configELb0EPKbPbPKlPlN2at6native12_GLOBAL__N_18offset_tEEE10hipError_tPvRmT1_PNSt15iterator_traitsIS12_E10value_typeET2_T3_PNS13_IS18_E10value_typeET4_jRbjT5_S1E_jjP12ihipStream_tbEUljE_ZNSN_ISO_Lb0ESQ_SR_ST_SU_SY_EESZ_S10_S11_S12_S16_S17_S18_S1B_S1C_jS1D_jS1E_S1E_jjS1G_bEUljE0_EEESZ_S10_S11_S18_S1C_S1E_T6_T7_T9_mT8_S1G_bDpT10_ENKUlT_T0_E_clISt17integral_constantIbLb0EES1T_IbLb1EEEEDaS1P_S1Q_EUlS1P_E_NS1_11comp_targetILNS1_3genE3ELNS1_11target_archE908ELNS1_3gpuE7ELNS1_3repE0EEENS1_30default_config_static_selectorELNS0_4arch9wavefront6targetE0EEEvS12_.num_vgpr, 0
	.set _ZN7rocprim17ROCPRIM_400000_NS6detail17trampoline_kernelINS0_13select_configILj256ELj13ELNS0_17block_load_methodE3ELS4_3ELS4_3ELNS0_20block_scan_algorithmE0ELj4294967295EEENS1_25partition_config_selectorILNS1_17partition_subalgoE4EjNS0_10empty_typeEbEEZZNS1_14partition_implILS8_4ELb0ES6_15HIP_vector_typeIjLj2EENS0_17counting_iteratorIjlEEPS9_SG_NS0_5tupleIJPjSI_NS0_16reverse_iteratorISI_EEEEENSH_IJSG_SG_SG_EEES9_SI_JZNS1_25segmented_radix_sort_implINS0_14default_configELb0EPKbPbPKlPlN2at6native12_GLOBAL__N_18offset_tEEE10hipError_tPvRmT1_PNSt15iterator_traitsIS12_E10value_typeET2_T3_PNS13_IS18_E10value_typeET4_jRbjT5_S1E_jjP12ihipStream_tbEUljE_ZNSN_ISO_Lb0ESQ_SR_ST_SU_SY_EESZ_S10_S11_S12_S16_S17_S18_S1B_S1C_jS1D_jS1E_S1E_jjS1G_bEUljE0_EEESZ_S10_S11_S18_S1C_S1E_T6_T7_T9_mT8_S1G_bDpT10_ENKUlT_T0_E_clISt17integral_constantIbLb0EES1T_IbLb1EEEEDaS1P_S1Q_EUlS1P_E_NS1_11comp_targetILNS1_3genE3ELNS1_11target_archE908ELNS1_3gpuE7ELNS1_3repE0EEENS1_30default_config_static_selectorELNS0_4arch9wavefront6targetE0EEEvS12_.num_agpr, 0
	.set _ZN7rocprim17ROCPRIM_400000_NS6detail17trampoline_kernelINS0_13select_configILj256ELj13ELNS0_17block_load_methodE3ELS4_3ELS4_3ELNS0_20block_scan_algorithmE0ELj4294967295EEENS1_25partition_config_selectorILNS1_17partition_subalgoE4EjNS0_10empty_typeEbEEZZNS1_14partition_implILS8_4ELb0ES6_15HIP_vector_typeIjLj2EENS0_17counting_iteratorIjlEEPS9_SG_NS0_5tupleIJPjSI_NS0_16reverse_iteratorISI_EEEEENSH_IJSG_SG_SG_EEES9_SI_JZNS1_25segmented_radix_sort_implINS0_14default_configELb0EPKbPbPKlPlN2at6native12_GLOBAL__N_18offset_tEEE10hipError_tPvRmT1_PNSt15iterator_traitsIS12_E10value_typeET2_T3_PNS13_IS18_E10value_typeET4_jRbjT5_S1E_jjP12ihipStream_tbEUljE_ZNSN_ISO_Lb0ESQ_SR_ST_SU_SY_EESZ_S10_S11_S12_S16_S17_S18_S1B_S1C_jS1D_jS1E_S1E_jjS1G_bEUljE0_EEESZ_S10_S11_S18_S1C_S1E_T6_T7_T9_mT8_S1G_bDpT10_ENKUlT_T0_E_clISt17integral_constantIbLb0EES1T_IbLb1EEEEDaS1P_S1Q_EUlS1P_E_NS1_11comp_targetILNS1_3genE3ELNS1_11target_archE908ELNS1_3gpuE7ELNS1_3repE0EEENS1_30default_config_static_selectorELNS0_4arch9wavefront6targetE0EEEvS12_.numbered_sgpr, 0
	.set _ZN7rocprim17ROCPRIM_400000_NS6detail17trampoline_kernelINS0_13select_configILj256ELj13ELNS0_17block_load_methodE3ELS4_3ELS4_3ELNS0_20block_scan_algorithmE0ELj4294967295EEENS1_25partition_config_selectorILNS1_17partition_subalgoE4EjNS0_10empty_typeEbEEZZNS1_14partition_implILS8_4ELb0ES6_15HIP_vector_typeIjLj2EENS0_17counting_iteratorIjlEEPS9_SG_NS0_5tupleIJPjSI_NS0_16reverse_iteratorISI_EEEEENSH_IJSG_SG_SG_EEES9_SI_JZNS1_25segmented_radix_sort_implINS0_14default_configELb0EPKbPbPKlPlN2at6native12_GLOBAL__N_18offset_tEEE10hipError_tPvRmT1_PNSt15iterator_traitsIS12_E10value_typeET2_T3_PNS13_IS18_E10value_typeET4_jRbjT5_S1E_jjP12ihipStream_tbEUljE_ZNSN_ISO_Lb0ESQ_SR_ST_SU_SY_EESZ_S10_S11_S12_S16_S17_S18_S1B_S1C_jS1D_jS1E_S1E_jjS1G_bEUljE0_EEESZ_S10_S11_S18_S1C_S1E_T6_T7_T9_mT8_S1G_bDpT10_ENKUlT_T0_E_clISt17integral_constantIbLb0EES1T_IbLb1EEEEDaS1P_S1Q_EUlS1P_E_NS1_11comp_targetILNS1_3genE3ELNS1_11target_archE908ELNS1_3gpuE7ELNS1_3repE0EEENS1_30default_config_static_selectorELNS0_4arch9wavefront6targetE0EEEvS12_.num_named_barrier, 0
	.set _ZN7rocprim17ROCPRIM_400000_NS6detail17trampoline_kernelINS0_13select_configILj256ELj13ELNS0_17block_load_methodE3ELS4_3ELS4_3ELNS0_20block_scan_algorithmE0ELj4294967295EEENS1_25partition_config_selectorILNS1_17partition_subalgoE4EjNS0_10empty_typeEbEEZZNS1_14partition_implILS8_4ELb0ES6_15HIP_vector_typeIjLj2EENS0_17counting_iteratorIjlEEPS9_SG_NS0_5tupleIJPjSI_NS0_16reverse_iteratorISI_EEEEENSH_IJSG_SG_SG_EEES9_SI_JZNS1_25segmented_radix_sort_implINS0_14default_configELb0EPKbPbPKlPlN2at6native12_GLOBAL__N_18offset_tEEE10hipError_tPvRmT1_PNSt15iterator_traitsIS12_E10value_typeET2_T3_PNS13_IS18_E10value_typeET4_jRbjT5_S1E_jjP12ihipStream_tbEUljE_ZNSN_ISO_Lb0ESQ_SR_ST_SU_SY_EESZ_S10_S11_S12_S16_S17_S18_S1B_S1C_jS1D_jS1E_S1E_jjS1G_bEUljE0_EEESZ_S10_S11_S18_S1C_S1E_T6_T7_T9_mT8_S1G_bDpT10_ENKUlT_T0_E_clISt17integral_constantIbLb0EES1T_IbLb1EEEEDaS1P_S1Q_EUlS1P_E_NS1_11comp_targetILNS1_3genE3ELNS1_11target_archE908ELNS1_3gpuE7ELNS1_3repE0EEENS1_30default_config_static_selectorELNS0_4arch9wavefront6targetE0EEEvS12_.private_seg_size, 0
	.set _ZN7rocprim17ROCPRIM_400000_NS6detail17trampoline_kernelINS0_13select_configILj256ELj13ELNS0_17block_load_methodE3ELS4_3ELS4_3ELNS0_20block_scan_algorithmE0ELj4294967295EEENS1_25partition_config_selectorILNS1_17partition_subalgoE4EjNS0_10empty_typeEbEEZZNS1_14partition_implILS8_4ELb0ES6_15HIP_vector_typeIjLj2EENS0_17counting_iteratorIjlEEPS9_SG_NS0_5tupleIJPjSI_NS0_16reverse_iteratorISI_EEEEENSH_IJSG_SG_SG_EEES9_SI_JZNS1_25segmented_radix_sort_implINS0_14default_configELb0EPKbPbPKlPlN2at6native12_GLOBAL__N_18offset_tEEE10hipError_tPvRmT1_PNSt15iterator_traitsIS12_E10value_typeET2_T3_PNS13_IS18_E10value_typeET4_jRbjT5_S1E_jjP12ihipStream_tbEUljE_ZNSN_ISO_Lb0ESQ_SR_ST_SU_SY_EESZ_S10_S11_S12_S16_S17_S18_S1B_S1C_jS1D_jS1E_S1E_jjS1G_bEUljE0_EEESZ_S10_S11_S18_S1C_S1E_T6_T7_T9_mT8_S1G_bDpT10_ENKUlT_T0_E_clISt17integral_constantIbLb0EES1T_IbLb1EEEEDaS1P_S1Q_EUlS1P_E_NS1_11comp_targetILNS1_3genE3ELNS1_11target_archE908ELNS1_3gpuE7ELNS1_3repE0EEENS1_30default_config_static_selectorELNS0_4arch9wavefront6targetE0EEEvS12_.uses_vcc, 0
	.set _ZN7rocprim17ROCPRIM_400000_NS6detail17trampoline_kernelINS0_13select_configILj256ELj13ELNS0_17block_load_methodE3ELS4_3ELS4_3ELNS0_20block_scan_algorithmE0ELj4294967295EEENS1_25partition_config_selectorILNS1_17partition_subalgoE4EjNS0_10empty_typeEbEEZZNS1_14partition_implILS8_4ELb0ES6_15HIP_vector_typeIjLj2EENS0_17counting_iteratorIjlEEPS9_SG_NS0_5tupleIJPjSI_NS0_16reverse_iteratorISI_EEEEENSH_IJSG_SG_SG_EEES9_SI_JZNS1_25segmented_radix_sort_implINS0_14default_configELb0EPKbPbPKlPlN2at6native12_GLOBAL__N_18offset_tEEE10hipError_tPvRmT1_PNSt15iterator_traitsIS12_E10value_typeET2_T3_PNS13_IS18_E10value_typeET4_jRbjT5_S1E_jjP12ihipStream_tbEUljE_ZNSN_ISO_Lb0ESQ_SR_ST_SU_SY_EESZ_S10_S11_S12_S16_S17_S18_S1B_S1C_jS1D_jS1E_S1E_jjS1G_bEUljE0_EEESZ_S10_S11_S18_S1C_S1E_T6_T7_T9_mT8_S1G_bDpT10_ENKUlT_T0_E_clISt17integral_constantIbLb0EES1T_IbLb1EEEEDaS1P_S1Q_EUlS1P_E_NS1_11comp_targetILNS1_3genE3ELNS1_11target_archE908ELNS1_3gpuE7ELNS1_3repE0EEENS1_30default_config_static_selectorELNS0_4arch9wavefront6targetE0EEEvS12_.uses_flat_scratch, 0
	.set _ZN7rocprim17ROCPRIM_400000_NS6detail17trampoline_kernelINS0_13select_configILj256ELj13ELNS0_17block_load_methodE3ELS4_3ELS4_3ELNS0_20block_scan_algorithmE0ELj4294967295EEENS1_25partition_config_selectorILNS1_17partition_subalgoE4EjNS0_10empty_typeEbEEZZNS1_14partition_implILS8_4ELb0ES6_15HIP_vector_typeIjLj2EENS0_17counting_iteratorIjlEEPS9_SG_NS0_5tupleIJPjSI_NS0_16reverse_iteratorISI_EEEEENSH_IJSG_SG_SG_EEES9_SI_JZNS1_25segmented_radix_sort_implINS0_14default_configELb0EPKbPbPKlPlN2at6native12_GLOBAL__N_18offset_tEEE10hipError_tPvRmT1_PNSt15iterator_traitsIS12_E10value_typeET2_T3_PNS13_IS18_E10value_typeET4_jRbjT5_S1E_jjP12ihipStream_tbEUljE_ZNSN_ISO_Lb0ESQ_SR_ST_SU_SY_EESZ_S10_S11_S12_S16_S17_S18_S1B_S1C_jS1D_jS1E_S1E_jjS1G_bEUljE0_EEESZ_S10_S11_S18_S1C_S1E_T6_T7_T9_mT8_S1G_bDpT10_ENKUlT_T0_E_clISt17integral_constantIbLb0EES1T_IbLb1EEEEDaS1P_S1Q_EUlS1P_E_NS1_11comp_targetILNS1_3genE3ELNS1_11target_archE908ELNS1_3gpuE7ELNS1_3repE0EEENS1_30default_config_static_selectorELNS0_4arch9wavefront6targetE0EEEvS12_.has_dyn_sized_stack, 0
	.set _ZN7rocprim17ROCPRIM_400000_NS6detail17trampoline_kernelINS0_13select_configILj256ELj13ELNS0_17block_load_methodE3ELS4_3ELS4_3ELNS0_20block_scan_algorithmE0ELj4294967295EEENS1_25partition_config_selectorILNS1_17partition_subalgoE4EjNS0_10empty_typeEbEEZZNS1_14partition_implILS8_4ELb0ES6_15HIP_vector_typeIjLj2EENS0_17counting_iteratorIjlEEPS9_SG_NS0_5tupleIJPjSI_NS0_16reverse_iteratorISI_EEEEENSH_IJSG_SG_SG_EEES9_SI_JZNS1_25segmented_radix_sort_implINS0_14default_configELb0EPKbPbPKlPlN2at6native12_GLOBAL__N_18offset_tEEE10hipError_tPvRmT1_PNSt15iterator_traitsIS12_E10value_typeET2_T3_PNS13_IS18_E10value_typeET4_jRbjT5_S1E_jjP12ihipStream_tbEUljE_ZNSN_ISO_Lb0ESQ_SR_ST_SU_SY_EESZ_S10_S11_S12_S16_S17_S18_S1B_S1C_jS1D_jS1E_S1E_jjS1G_bEUljE0_EEESZ_S10_S11_S18_S1C_S1E_T6_T7_T9_mT8_S1G_bDpT10_ENKUlT_T0_E_clISt17integral_constantIbLb0EES1T_IbLb1EEEEDaS1P_S1Q_EUlS1P_E_NS1_11comp_targetILNS1_3genE3ELNS1_11target_archE908ELNS1_3gpuE7ELNS1_3repE0EEENS1_30default_config_static_selectorELNS0_4arch9wavefront6targetE0EEEvS12_.has_recursion, 0
	.set _ZN7rocprim17ROCPRIM_400000_NS6detail17trampoline_kernelINS0_13select_configILj256ELj13ELNS0_17block_load_methodE3ELS4_3ELS4_3ELNS0_20block_scan_algorithmE0ELj4294967295EEENS1_25partition_config_selectorILNS1_17partition_subalgoE4EjNS0_10empty_typeEbEEZZNS1_14partition_implILS8_4ELb0ES6_15HIP_vector_typeIjLj2EENS0_17counting_iteratorIjlEEPS9_SG_NS0_5tupleIJPjSI_NS0_16reverse_iteratorISI_EEEEENSH_IJSG_SG_SG_EEES9_SI_JZNS1_25segmented_radix_sort_implINS0_14default_configELb0EPKbPbPKlPlN2at6native12_GLOBAL__N_18offset_tEEE10hipError_tPvRmT1_PNSt15iterator_traitsIS12_E10value_typeET2_T3_PNS13_IS18_E10value_typeET4_jRbjT5_S1E_jjP12ihipStream_tbEUljE_ZNSN_ISO_Lb0ESQ_SR_ST_SU_SY_EESZ_S10_S11_S12_S16_S17_S18_S1B_S1C_jS1D_jS1E_S1E_jjS1G_bEUljE0_EEESZ_S10_S11_S18_S1C_S1E_T6_T7_T9_mT8_S1G_bDpT10_ENKUlT_T0_E_clISt17integral_constantIbLb0EES1T_IbLb1EEEEDaS1P_S1Q_EUlS1P_E_NS1_11comp_targetILNS1_3genE3ELNS1_11target_archE908ELNS1_3gpuE7ELNS1_3repE0EEENS1_30default_config_static_selectorELNS0_4arch9wavefront6targetE0EEEvS12_.has_indirect_call, 0
	.section	.AMDGPU.csdata,"",@progbits
; Kernel info:
; codeLenInByte = 0
; TotalNumSgprs: 0
; NumVgprs: 0
; ScratchSize: 0
; MemoryBound: 0
; FloatMode: 240
; IeeeMode: 1
; LDSByteSize: 0 bytes/workgroup (compile time only)
; SGPRBlocks: 0
; VGPRBlocks: 0
; NumSGPRsForWavesPerEU: 1
; NumVGPRsForWavesPerEU: 1
; NamedBarCnt: 0
; Occupancy: 16
; WaveLimiterHint : 0
; COMPUTE_PGM_RSRC2:SCRATCH_EN: 0
; COMPUTE_PGM_RSRC2:USER_SGPR: 2
; COMPUTE_PGM_RSRC2:TRAP_HANDLER: 0
; COMPUTE_PGM_RSRC2:TGID_X_EN: 1
; COMPUTE_PGM_RSRC2:TGID_Y_EN: 0
; COMPUTE_PGM_RSRC2:TGID_Z_EN: 0
; COMPUTE_PGM_RSRC2:TIDIG_COMP_CNT: 0
	.section	.text._ZN7rocprim17ROCPRIM_400000_NS6detail17trampoline_kernelINS0_13select_configILj256ELj13ELNS0_17block_load_methodE3ELS4_3ELS4_3ELNS0_20block_scan_algorithmE0ELj4294967295EEENS1_25partition_config_selectorILNS1_17partition_subalgoE4EjNS0_10empty_typeEbEEZZNS1_14partition_implILS8_4ELb0ES6_15HIP_vector_typeIjLj2EENS0_17counting_iteratorIjlEEPS9_SG_NS0_5tupleIJPjSI_NS0_16reverse_iteratorISI_EEEEENSH_IJSG_SG_SG_EEES9_SI_JZNS1_25segmented_radix_sort_implINS0_14default_configELb0EPKbPbPKlPlN2at6native12_GLOBAL__N_18offset_tEEE10hipError_tPvRmT1_PNSt15iterator_traitsIS12_E10value_typeET2_T3_PNS13_IS18_E10value_typeET4_jRbjT5_S1E_jjP12ihipStream_tbEUljE_ZNSN_ISO_Lb0ESQ_SR_ST_SU_SY_EESZ_S10_S11_S12_S16_S17_S18_S1B_S1C_jS1D_jS1E_S1E_jjS1G_bEUljE0_EEESZ_S10_S11_S18_S1C_S1E_T6_T7_T9_mT8_S1G_bDpT10_ENKUlT_T0_E_clISt17integral_constantIbLb0EES1T_IbLb1EEEEDaS1P_S1Q_EUlS1P_E_NS1_11comp_targetILNS1_3genE2ELNS1_11target_archE906ELNS1_3gpuE6ELNS1_3repE0EEENS1_30default_config_static_selectorELNS0_4arch9wavefront6targetE0EEEvS12_,"axG",@progbits,_ZN7rocprim17ROCPRIM_400000_NS6detail17trampoline_kernelINS0_13select_configILj256ELj13ELNS0_17block_load_methodE3ELS4_3ELS4_3ELNS0_20block_scan_algorithmE0ELj4294967295EEENS1_25partition_config_selectorILNS1_17partition_subalgoE4EjNS0_10empty_typeEbEEZZNS1_14partition_implILS8_4ELb0ES6_15HIP_vector_typeIjLj2EENS0_17counting_iteratorIjlEEPS9_SG_NS0_5tupleIJPjSI_NS0_16reverse_iteratorISI_EEEEENSH_IJSG_SG_SG_EEES9_SI_JZNS1_25segmented_radix_sort_implINS0_14default_configELb0EPKbPbPKlPlN2at6native12_GLOBAL__N_18offset_tEEE10hipError_tPvRmT1_PNSt15iterator_traitsIS12_E10value_typeET2_T3_PNS13_IS18_E10value_typeET4_jRbjT5_S1E_jjP12ihipStream_tbEUljE_ZNSN_ISO_Lb0ESQ_SR_ST_SU_SY_EESZ_S10_S11_S12_S16_S17_S18_S1B_S1C_jS1D_jS1E_S1E_jjS1G_bEUljE0_EEESZ_S10_S11_S18_S1C_S1E_T6_T7_T9_mT8_S1G_bDpT10_ENKUlT_T0_E_clISt17integral_constantIbLb0EES1T_IbLb1EEEEDaS1P_S1Q_EUlS1P_E_NS1_11comp_targetILNS1_3genE2ELNS1_11target_archE906ELNS1_3gpuE6ELNS1_3repE0EEENS1_30default_config_static_selectorELNS0_4arch9wavefront6targetE0EEEvS12_,comdat
	.globl	_ZN7rocprim17ROCPRIM_400000_NS6detail17trampoline_kernelINS0_13select_configILj256ELj13ELNS0_17block_load_methodE3ELS4_3ELS4_3ELNS0_20block_scan_algorithmE0ELj4294967295EEENS1_25partition_config_selectorILNS1_17partition_subalgoE4EjNS0_10empty_typeEbEEZZNS1_14partition_implILS8_4ELb0ES6_15HIP_vector_typeIjLj2EENS0_17counting_iteratorIjlEEPS9_SG_NS0_5tupleIJPjSI_NS0_16reverse_iteratorISI_EEEEENSH_IJSG_SG_SG_EEES9_SI_JZNS1_25segmented_radix_sort_implINS0_14default_configELb0EPKbPbPKlPlN2at6native12_GLOBAL__N_18offset_tEEE10hipError_tPvRmT1_PNSt15iterator_traitsIS12_E10value_typeET2_T3_PNS13_IS18_E10value_typeET4_jRbjT5_S1E_jjP12ihipStream_tbEUljE_ZNSN_ISO_Lb0ESQ_SR_ST_SU_SY_EESZ_S10_S11_S12_S16_S17_S18_S1B_S1C_jS1D_jS1E_S1E_jjS1G_bEUljE0_EEESZ_S10_S11_S18_S1C_S1E_T6_T7_T9_mT8_S1G_bDpT10_ENKUlT_T0_E_clISt17integral_constantIbLb0EES1T_IbLb1EEEEDaS1P_S1Q_EUlS1P_E_NS1_11comp_targetILNS1_3genE2ELNS1_11target_archE906ELNS1_3gpuE6ELNS1_3repE0EEENS1_30default_config_static_selectorELNS0_4arch9wavefront6targetE0EEEvS12_ ; -- Begin function _ZN7rocprim17ROCPRIM_400000_NS6detail17trampoline_kernelINS0_13select_configILj256ELj13ELNS0_17block_load_methodE3ELS4_3ELS4_3ELNS0_20block_scan_algorithmE0ELj4294967295EEENS1_25partition_config_selectorILNS1_17partition_subalgoE4EjNS0_10empty_typeEbEEZZNS1_14partition_implILS8_4ELb0ES6_15HIP_vector_typeIjLj2EENS0_17counting_iteratorIjlEEPS9_SG_NS0_5tupleIJPjSI_NS0_16reverse_iteratorISI_EEEEENSH_IJSG_SG_SG_EEES9_SI_JZNS1_25segmented_radix_sort_implINS0_14default_configELb0EPKbPbPKlPlN2at6native12_GLOBAL__N_18offset_tEEE10hipError_tPvRmT1_PNSt15iterator_traitsIS12_E10value_typeET2_T3_PNS13_IS18_E10value_typeET4_jRbjT5_S1E_jjP12ihipStream_tbEUljE_ZNSN_ISO_Lb0ESQ_SR_ST_SU_SY_EESZ_S10_S11_S12_S16_S17_S18_S1B_S1C_jS1D_jS1E_S1E_jjS1G_bEUljE0_EEESZ_S10_S11_S18_S1C_S1E_T6_T7_T9_mT8_S1G_bDpT10_ENKUlT_T0_E_clISt17integral_constantIbLb0EES1T_IbLb1EEEEDaS1P_S1Q_EUlS1P_E_NS1_11comp_targetILNS1_3genE2ELNS1_11target_archE906ELNS1_3gpuE6ELNS1_3repE0EEENS1_30default_config_static_selectorELNS0_4arch9wavefront6targetE0EEEvS12_
	.p2align	8
	.type	_ZN7rocprim17ROCPRIM_400000_NS6detail17trampoline_kernelINS0_13select_configILj256ELj13ELNS0_17block_load_methodE3ELS4_3ELS4_3ELNS0_20block_scan_algorithmE0ELj4294967295EEENS1_25partition_config_selectorILNS1_17partition_subalgoE4EjNS0_10empty_typeEbEEZZNS1_14partition_implILS8_4ELb0ES6_15HIP_vector_typeIjLj2EENS0_17counting_iteratorIjlEEPS9_SG_NS0_5tupleIJPjSI_NS0_16reverse_iteratorISI_EEEEENSH_IJSG_SG_SG_EEES9_SI_JZNS1_25segmented_radix_sort_implINS0_14default_configELb0EPKbPbPKlPlN2at6native12_GLOBAL__N_18offset_tEEE10hipError_tPvRmT1_PNSt15iterator_traitsIS12_E10value_typeET2_T3_PNS13_IS18_E10value_typeET4_jRbjT5_S1E_jjP12ihipStream_tbEUljE_ZNSN_ISO_Lb0ESQ_SR_ST_SU_SY_EESZ_S10_S11_S12_S16_S17_S18_S1B_S1C_jS1D_jS1E_S1E_jjS1G_bEUljE0_EEESZ_S10_S11_S18_S1C_S1E_T6_T7_T9_mT8_S1G_bDpT10_ENKUlT_T0_E_clISt17integral_constantIbLb0EES1T_IbLb1EEEEDaS1P_S1Q_EUlS1P_E_NS1_11comp_targetILNS1_3genE2ELNS1_11target_archE906ELNS1_3gpuE6ELNS1_3repE0EEENS1_30default_config_static_selectorELNS0_4arch9wavefront6targetE0EEEvS12_,@function
_ZN7rocprim17ROCPRIM_400000_NS6detail17trampoline_kernelINS0_13select_configILj256ELj13ELNS0_17block_load_methodE3ELS4_3ELS4_3ELNS0_20block_scan_algorithmE0ELj4294967295EEENS1_25partition_config_selectorILNS1_17partition_subalgoE4EjNS0_10empty_typeEbEEZZNS1_14partition_implILS8_4ELb0ES6_15HIP_vector_typeIjLj2EENS0_17counting_iteratorIjlEEPS9_SG_NS0_5tupleIJPjSI_NS0_16reverse_iteratorISI_EEEEENSH_IJSG_SG_SG_EEES9_SI_JZNS1_25segmented_radix_sort_implINS0_14default_configELb0EPKbPbPKlPlN2at6native12_GLOBAL__N_18offset_tEEE10hipError_tPvRmT1_PNSt15iterator_traitsIS12_E10value_typeET2_T3_PNS13_IS18_E10value_typeET4_jRbjT5_S1E_jjP12ihipStream_tbEUljE_ZNSN_ISO_Lb0ESQ_SR_ST_SU_SY_EESZ_S10_S11_S12_S16_S17_S18_S1B_S1C_jS1D_jS1E_S1E_jjS1G_bEUljE0_EEESZ_S10_S11_S18_S1C_S1E_T6_T7_T9_mT8_S1G_bDpT10_ENKUlT_T0_E_clISt17integral_constantIbLb0EES1T_IbLb1EEEEDaS1P_S1Q_EUlS1P_E_NS1_11comp_targetILNS1_3genE2ELNS1_11target_archE906ELNS1_3gpuE6ELNS1_3repE0EEENS1_30default_config_static_selectorELNS0_4arch9wavefront6targetE0EEEvS12_: ; @_ZN7rocprim17ROCPRIM_400000_NS6detail17trampoline_kernelINS0_13select_configILj256ELj13ELNS0_17block_load_methodE3ELS4_3ELS4_3ELNS0_20block_scan_algorithmE0ELj4294967295EEENS1_25partition_config_selectorILNS1_17partition_subalgoE4EjNS0_10empty_typeEbEEZZNS1_14partition_implILS8_4ELb0ES6_15HIP_vector_typeIjLj2EENS0_17counting_iteratorIjlEEPS9_SG_NS0_5tupleIJPjSI_NS0_16reverse_iteratorISI_EEEEENSH_IJSG_SG_SG_EEES9_SI_JZNS1_25segmented_radix_sort_implINS0_14default_configELb0EPKbPbPKlPlN2at6native12_GLOBAL__N_18offset_tEEE10hipError_tPvRmT1_PNSt15iterator_traitsIS12_E10value_typeET2_T3_PNS13_IS18_E10value_typeET4_jRbjT5_S1E_jjP12ihipStream_tbEUljE_ZNSN_ISO_Lb0ESQ_SR_ST_SU_SY_EESZ_S10_S11_S12_S16_S17_S18_S1B_S1C_jS1D_jS1E_S1E_jjS1G_bEUljE0_EEESZ_S10_S11_S18_S1C_S1E_T6_T7_T9_mT8_S1G_bDpT10_ENKUlT_T0_E_clISt17integral_constantIbLb0EES1T_IbLb1EEEEDaS1P_S1Q_EUlS1P_E_NS1_11comp_targetILNS1_3genE2ELNS1_11target_archE906ELNS1_3gpuE6ELNS1_3repE0EEENS1_30default_config_static_selectorELNS0_4arch9wavefront6targetE0EEEvS12_
; %bb.0:
	.section	.rodata,"a",@progbits
	.p2align	6, 0x0
	.amdhsa_kernel _ZN7rocprim17ROCPRIM_400000_NS6detail17trampoline_kernelINS0_13select_configILj256ELj13ELNS0_17block_load_methodE3ELS4_3ELS4_3ELNS0_20block_scan_algorithmE0ELj4294967295EEENS1_25partition_config_selectorILNS1_17partition_subalgoE4EjNS0_10empty_typeEbEEZZNS1_14partition_implILS8_4ELb0ES6_15HIP_vector_typeIjLj2EENS0_17counting_iteratorIjlEEPS9_SG_NS0_5tupleIJPjSI_NS0_16reverse_iteratorISI_EEEEENSH_IJSG_SG_SG_EEES9_SI_JZNS1_25segmented_radix_sort_implINS0_14default_configELb0EPKbPbPKlPlN2at6native12_GLOBAL__N_18offset_tEEE10hipError_tPvRmT1_PNSt15iterator_traitsIS12_E10value_typeET2_T3_PNS13_IS18_E10value_typeET4_jRbjT5_S1E_jjP12ihipStream_tbEUljE_ZNSN_ISO_Lb0ESQ_SR_ST_SU_SY_EESZ_S10_S11_S12_S16_S17_S18_S1B_S1C_jS1D_jS1E_S1E_jjS1G_bEUljE0_EEESZ_S10_S11_S18_S1C_S1E_T6_T7_T9_mT8_S1G_bDpT10_ENKUlT_T0_E_clISt17integral_constantIbLb0EES1T_IbLb1EEEEDaS1P_S1Q_EUlS1P_E_NS1_11comp_targetILNS1_3genE2ELNS1_11target_archE906ELNS1_3gpuE6ELNS1_3repE0EEENS1_30default_config_static_selectorELNS0_4arch9wavefront6targetE0EEEvS12_
		.amdhsa_group_segment_fixed_size 0
		.amdhsa_private_segment_fixed_size 0
		.amdhsa_kernarg_size 184
		.amdhsa_user_sgpr_count 2
		.amdhsa_user_sgpr_dispatch_ptr 0
		.amdhsa_user_sgpr_queue_ptr 0
		.amdhsa_user_sgpr_kernarg_segment_ptr 1
		.amdhsa_user_sgpr_dispatch_id 0
		.amdhsa_user_sgpr_kernarg_preload_length 0
		.amdhsa_user_sgpr_kernarg_preload_offset 0
		.amdhsa_user_sgpr_private_segment_size 0
		.amdhsa_wavefront_size32 1
		.amdhsa_uses_dynamic_stack 0
		.amdhsa_enable_private_segment 0
		.amdhsa_system_sgpr_workgroup_id_x 1
		.amdhsa_system_sgpr_workgroup_id_y 0
		.amdhsa_system_sgpr_workgroup_id_z 0
		.amdhsa_system_sgpr_workgroup_info 0
		.amdhsa_system_vgpr_workitem_id 0
		.amdhsa_next_free_vgpr 1
		.amdhsa_next_free_sgpr 1
		.amdhsa_named_barrier_count 0
		.amdhsa_reserve_vcc 0
		.amdhsa_float_round_mode_32 0
		.amdhsa_float_round_mode_16_64 0
		.amdhsa_float_denorm_mode_32 3
		.amdhsa_float_denorm_mode_16_64 3
		.amdhsa_fp16_overflow 0
		.amdhsa_memory_ordered 1
		.amdhsa_forward_progress 1
		.amdhsa_inst_pref_size 0
		.amdhsa_round_robin_scheduling 0
		.amdhsa_exception_fp_ieee_invalid_op 0
		.amdhsa_exception_fp_denorm_src 0
		.amdhsa_exception_fp_ieee_div_zero 0
		.amdhsa_exception_fp_ieee_overflow 0
		.amdhsa_exception_fp_ieee_underflow 0
		.amdhsa_exception_fp_ieee_inexact 0
		.amdhsa_exception_int_div_zero 0
	.end_amdhsa_kernel
	.section	.text._ZN7rocprim17ROCPRIM_400000_NS6detail17trampoline_kernelINS0_13select_configILj256ELj13ELNS0_17block_load_methodE3ELS4_3ELS4_3ELNS0_20block_scan_algorithmE0ELj4294967295EEENS1_25partition_config_selectorILNS1_17partition_subalgoE4EjNS0_10empty_typeEbEEZZNS1_14partition_implILS8_4ELb0ES6_15HIP_vector_typeIjLj2EENS0_17counting_iteratorIjlEEPS9_SG_NS0_5tupleIJPjSI_NS0_16reverse_iteratorISI_EEEEENSH_IJSG_SG_SG_EEES9_SI_JZNS1_25segmented_radix_sort_implINS0_14default_configELb0EPKbPbPKlPlN2at6native12_GLOBAL__N_18offset_tEEE10hipError_tPvRmT1_PNSt15iterator_traitsIS12_E10value_typeET2_T3_PNS13_IS18_E10value_typeET4_jRbjT5_S1E_jjP12ihipStream_tbEUljE_ZNSN_ISO_Lb0ESQ_SR_ST_SU_SY_EESZ_S10_S11_S12_S16_S17_S18_S1B_S1C_jS1D_jS1E_S1E_jjS1G_bEUljE0_EEESZ_S10_S11_S18_S1C_S1E_T6_T7_T9_mT8_S1G_bDpT10_ENKUlT_T0_E_clISt17integral_constantIbLb0EES1T_IbLb1EEEEDaS1P_S1Q_EUlS1P_E_NS1_11comp_targetILNS1_3genE2ELNS1_11target_archE906ELNS1_3gpuE6ELNS1_3repE0EEENS1_30default_config_static_selectorELNS0_4arch9wavefront6targetE0EEEvS12_,"axG",@progbits,_ZN7rocprim17ROCPRIM_400000_NS6detail17trampoline_kernelINS0_13select_configILj256ELj13ELNS0_17block_load_methodE3ELS4_3ELS4_3ELNS0_20block_scan_algorithmE0ELj4294967295EEENS1_25partition_config_selectorILNS1_17partition_subalgoE4EjNS0_10empty_typeEbEEZZNS1_14partition_implILS8_4ELb0ES6_15HIP_vector_typeIjLj2EENS0_17counting_iteratorIjlEEPS9_SG_NS0_5tupleIJPjSI_NS0_16reverse_iteratorISI_EEEEENSH_IJSG_SG_SG_EEES9_SI_JZNS1_25segmented_radix_sort_implINS0_14default_configELb0EPKbPbPKlPlN2at6native12_GLOBAL__N_18offset_tEEE10hipError_tPvRmT1_PNSt15iterator_traitsIS12_E10value_typeET2_T3_PNS13_IS18_E10value_typeET4_jRbjT5_S1E_jjP12ihipStream_tbEUljE_ZNSN_ISO_Lb0ESQ_SR_ST_SU_SY_EESZ_S10_S11_S12_S16_S17_S18_S1B_S1C_jS1D_jS1E_S1E_jjS1G_bEUljE0_EEESZ_S10_S11_S18_S1C_S1E_T6_T7_T9_mT8_S1G_bDpT10_ENKUlT_T0_E_clISt17integral_constantIbLb0EES1T_IbLb1EEEEDaS1P_S1Q_EUlS1P_E_NS1_11comp_targetILNS1_3genE2ELNS1_11target_archE906ELNS1_3gpuE6ELNS1_3repE0EEENS1_30default_config_static_selectorELNS0_4arch9wavefront6targetE0EEEvS12_,comdat
.Lfunc_end1590:
	.size	_ZN7rocprim17ROCPRIM_400000_NS6detail17trampoline_kernelINS0_13select_configILj256ELj13ELNS0_17block_load_methodE3ELS4_3ELS4_3ELNS0_20block_scan_algorithmE0ELj4294967295EEENS1_25partition_config_selectorILNS1_17partition_subalgoE4EjNS0_10empty_typeEbEEZZNS1_14partition_implILS8_4ELb0ES6_15HIP_vector_typeIjLj2EENS0_17counting_iteratorIjlEEPS9_SG_NS0_5tupleIJPjSI_NS0_16reverse_iteratorISI_EEEEENSH_IJSG_SG_SG_EEES9_SI_JZNS1_25segmented_radix_sort_implINS0_14default_configELb0EPKbPbPKlPlN2at6native12_GLOBAL__N_18offset_tEEE10hipError_tPvRmT1_PNSt15iterator_traitsIS12_E10value_typeET2_T3_PNS13_IS18_E10value_typeET4_jRbjT5_S1E_jjP12ihipStream_tbEUljE_ZNSN_ISO_Lb0ESQ_SR_ST_SU_SY_EESZ_S10_S11_S12_S16_S17_S18_S1B_S1C_jS1D_jS1E_S1E_jjS1G_bEUljE0_EEESZ_S10_S11_S18_S1C_S1E_T6_T7_T9_mT8_S1G_bDpT10_ENKUlT_T0_E_clISt17integral_constantIbLb0EES1T_IbLb1EEEEDaS1P_S1Q_EUlS1P_E_NS1_11comp_targetILNS1_3genE2ELNS1_11target_archE906ELNS1_3gpuE6ELNS1_3repE0EEENS1_30default_config_static_selectorELNS0_4arch9wavefront6targetE0EEEvS12_, .Lfunc_end1590-_ZN7rocprim17ROCPRIM_400000_NS6detail17trampoline_kernelINS0_13select_configILj256ELj13ELNS0_17block_load_methodE3ELS4_3ELS4_3ELNS0_20block_scan_algorithmE0ELj4294967295EEENS1_25partition_config_selectorILNS1_17partition_subalgoE4EjNS0_10empty_typeEbEEZZNS1_14partition_implILS8_4ELb0ES6_15HIP_vector_typeIjLj2EENS0_17counting_iteratorIjlEEPS9_SG_NS0_5tupleIJPjSI_NS0_16reverse_iteratorISI_EEEEENSH_IJSG_SG_SG_EEES9_SI_JZNS1_25segmented_radix_sort_implINS0_14default_configELb0EPKbPbPKlPlN2at6native12_GLOBAL__N_18offset_tEEE10hipError_tPvRmT1_PNSt15iterator_traitsIS12_E10value_typeET2_T3_PNS13_IS18_E10value_typeET4_jRbjT5_S1E_jjP12ihipStream_tbEUljE_ZNSN_ISO_Lb0ESQ_SR_ST_SU_SY_EESZ_S10_S11_S12_S16_S17_S18_S1B_S1C_jS1D_jS1E_S1E_jjS1G_bEUljE0_EEESZ_S10_S11_S18_S1C_S1E_T6_T7_T9_mT8_S1G_bDpT10_ENKUlT_T0_E_clISt17integral_constantIbLb0EES1T_IbLb1EEEEDaS1P_S1Q_EUlS1P_E_NS1_11comp_targetILNS1_3genE2ELNS1_11target_archE906ELNS1_3gpuE6ELNS1_3repE0EEENS1_30default_config_static_selectorELNS0_4arch9wavefront6targetE0EEEvS12_
                                        ; -- End function
	.set _ZN7rocprim17ROCPRIM_400000_NS6detail17trampoline_kernelINS0_13select_configILj256ELj13ELNS0_17block_load_methodE3ELS4_3ELS4_3ELNS0_20block_scan_algorithmE0ELj4294967295EEENS1_25partition_config_selectorILNS1_17partition_subalgoE4EjNS0_10empty_typeEbEEZZNS1_14partition_implILS8_4ELb0ES6_15HIP_vector_typeIjLj2EENS0_17counting_iteratorIjlEEPS9_SG_NS0_5tupleIJPjSI_NS0_16reverse_iteratorISI_EEEEENSH_IJSG_SG_SG_EEES9_SI_JZNS1_25segmented_radix_sort_implINS0_14default_configELb0EPKbPbPKlPlN2at6native12_GLOBAL__N_18offset_tEEE10hipError_tPvRmT1_PNSt15iterator_traitsIS12_E10value_typeET2_T3_PNS13_IS18_E10value_typeET4_jRbjT5_S1E_jjP12ihipStream_tbEUljE_ZNSN_ISO_Lb0ESQ_SR_ST_SU_SY_EESZ_S10_S11_S12_S16_S17_S18_S1B_S1C_jS1D_jS1E_S1E_jjS1G_bEUljE0_EEESZ_S10_S11_S18_S1C_S1E_T6_T7_T9_mT8_S1G_bDpT10_ENKUlT_T0_E_clISt17integral_constantIbLb0EES1T_IbLb1EEEEDaS1P_S1Q_EUlS1P_E_NS1_11comp_targetILNS1_3genE2ELNS1_11target_archE906ELNS1_3gpuE6ELNS1_3repE0EEENS1_30default_config_static_selectorELNS0_4arch9wavefront6targetE0EEEvS12_.num_vgpr, 0
	.set _ZN7rocprim17ROCPRIM_400000_NS6detail17trampoline_kernelINS0_13select_configILj256ELj13ELNS0_17block_load_methodE3ELS4_3ELS4_3ELNS0_20block_scan_algorithmE0ELj4294967295EEENS1_25partition_config_selectorILNS1_17partition_subalgoE4EjNS0_10empty_typeEbEEZZNS1_14partition_implILS8_4ELb0ES6_15HIP_vector_typeIjLj2EENS0_17counting_iteratorIjlEEPS9_SG_NS0_5tupleIJPjSI_NS0_16reverse_iteratorISI_EEEEENSH_IJSG_SG_SG_EEES9_SI_JZNS1_25segmented_radix_sort_implINS0_14default_configELb0EPKbPbPKlPlN2at6native12_GLOBAL__N_18offset_tEEE10hipError_tPvRmT1_PNSt15iterator_traitsIS12_E10value_typeET2_T3_PNS13_IS18_E10value_typeET4_jRbjT5_S1E_jjP12ihipStream_tbEUljE_ZNSN_ISO_Lb0ESQ_SR_ST_SU_SY_EESZ_S10_S11_S12_S16_S17_S18_S1B_S1C_jS1D_jS1E_S1E_jjS1G_bEUljE0_EEESZ_S10_S11_S18_S1C_S1E_T6_T7_T9_mT8_S1G_bDpT10_ENKUlT_T0_E_clISt17integral_constantIbLb0EES1T_IbLb1EEEEDaS1P_S1Q_EUlS1P_E_NS1_11comp_targetILNS1_3genE2ELNS1_11target_archE906ELNS1_3gpuE6ELNS1_3repE0EEENS1_30default_config_static_selectorELNS0_4arch9wavefront6targetE0EEEvS12_.num_agpr, 0
	.set _ZN7rocprim17ROCPRIM_400000_NS6detail17trampoline_kernelINS0_13select_configILj256ELj13ELNS0_17block_load_methodE3ELS4_3ELS4_3ELNS0_20block_scan_algorithmE0ELj4294967295EEENS1_25partition_config_selectorILNS1_17partition_subalgoE4EjNS0_10empty_typeEbEEZZNS1_14partition_implILS8_4ELb0ES6_15HIP_vector_typeIjLj2EENS0_17counting_iteratorIjlEEPS9_SG_NS0_5tupleIJPjSI_NS0_16reverse_iteratorISI_EEEEENSH_IJSG_SG_SG_EEES9_SI_JZNS1_25segmented_radix_sort_implINS0_14default_configELb0EPKbPbPKlPlN2at6native12_GLOBAL__N_18offset_tEEE10hipError_tPvRmT1_PNSt15iterator_traitsIS12_E10value_typeET2_T3_PNS13_IS18_E10value_typeET4_jRbjT5_S1E_jjP12ihipStream_tbEUljE_ZNSN_ISO_Lb0ESQ_SR_ST_SU_SY_EESZ_S10_S11_S12_S16_S17_S18_S1B_S1C_jS1D_jS1E_S1E_jjS1G_bEUljE0_EEESZ_S10_S11_S18_S1C_S1E_T6_T7_T9_mT8_S1G_bDpT10_ENKUlT_T0_E_clISt17integral_constantIbLb0EES1T_IbLb1EEEEDaS1P_S1Q_EUlS1P_E_NS1_11comp_targetILNS1_3genE2ELNS1_11target_archE906ELNS1_3gpuE6ELNS1_3repE0EEENS1_30default_config_static_selectorELNS0_4arch9wavefront6targetE0EEEvS12_.numbered_sgpr, 0
	.set _ZN7rocprim17ROCPRIM_400000_NS6detail17trampoline_kernelINS0_13select_configILj256ELj13ELNS0_17block_load_methodE3ELS4_3ELS4_3ELNS0_20block_scan_algorithmE0ELj4294967295EEENS1_25partition_config_selectorILNS1_17partition_subalgoE4EjNS0_10empty_typeEbEEZZNS1_14partition_implILS8_4ELb0ES6_15HIP_vector_typeIjLj2EENS0_17counting_iteratorIjlEEPS9_SG_NS0_5tupleIJPjSI_NS0_16reverse_iteratorISI_EEEEENSH_IJSG_SG_SG_EEES9_SI_JZNS1_25segmented_radix_sort_implINS0_14default_configELb0EPKbPbPKlPlN2at6native12_GLOBAL__N_18offset_tEEE10hipError_tPvRmT1_PNSt15iterator_traitsIS12_E10value_typeET2_T3_PNS13_IS18_E10value_typeET4_jRbjT5_S1E_jjP12ihipStream_tbEUljE_ZNSN_ISO_Lb0ESQ_SR_ST_SU_SY_EESZ_S10_S11_S12_S16_S17_S18_S1B_S1C_jS1D_jS1E_S1E_jjS1G_bEUljE0_EEESZ_S10_S11_S18_S1C_S1E_T6_T7_T9_mT8_S1G_bDpT10_ENKUlT_T0_E_clISt17integral_constantIbLb0EES1T_IbLb1EEEEDaS1P_S1Q_EUlS1P_E_NS1_11comp_targetILNS1_3genE2ELNS1_11target_archE906ELNS1_3gpuE6ELNS1_3repE0EEENS1_30default_config_static_selectorELNS0_4arch9wavefront6targetE0EEEvS12_.num_named_barrier, 0
	.set _ZN7rocprim17ROCPRIM_400000_NS6detail17trampoline_kernelINS0_13select_configILj256ELj13ELNS0_17block_load_methodE3ELS4_3ELS4_3ELNS0_20block_scan_algorithmE0ELj4294967295EEENS1_25partition_config_selectorILNS1_17partition_subalgoE4EjNS0_10empty_typeEbEEZZNS1_14partition_implILS8_4ELb0ES6_15HIP_vector_typeIjLj2EENS0_17counting_iteratorIjlEEPS9_SG_NS0_5tupleIJPjSI_NS0_16reverse_iteratorISI_EEEEENSH_IJSG_SG_SG_EEES9_SI_JZNS1_25segmented_radix_sort_implINS0_14default_configELb0EPKbPbPKlPlN2at6native12_GLOBAL__N_18offset_tEEE10hipError_tPvRmT1_PNSt15iterator_traitsIS12_E10value_typeET2_T3_PNS13_IS18_E10value_typeET4_jRbjT5_S1E_jjP12ihipStream_tbEUljE_ZNSN_ISO_Lb0ESQ_SR_ST_SU_SY_EESZ_S10_S11_S12_S16_S17_S18_S1B_S1C_jS1D_jS1E_S1E_jjS1G_bEUljE0_EEESZ_S10_S11_S18_S1C_S1E_T6_T7_T9_mT8_S1G_bDpT10_ENKUlT_T0_E_clISt17integral_constantIbLb0EES1T_IbLb1EEEEDaS1P_S1Q_EUlS1P_E_NS1_11comp_targetILNS1_3genE2ELNS1_11target_archE906ELNS1_3gpuE6ELNS1_3repE0EEENS1_30default_config_static_selectorELNS0_4arch9wavefront6targetE0EEEvS12_.private_seg_size, 0
	.set _ZN7rocprim17ROCPRIM_400000_NS6detail17trampoline_kernelINS0_13select_configILj256ELj13ELNS0_17block_load_methodE3ELS4_3ELS4_3ELNS0_20block_scan_algorithmE0ELj4294967295EEENS1_25partition_config_selectorILNS1_17partition_subalgoE4EjNS0_10empty_typeEbEEZZNS1_14partition_implILS8_4ELb0ES6_15HIP_vector_typeIjLj2EENS0_17counting_iteratorIjlEEPS9_SG_NS0_5tupleIJPjSI_NS0_16reverse_iteratorISI_EEEEENSH_IJSG_SG_SG_EEES9_SI_JZNS1_25segmented_radix_sort_implINS0_14default_configELb0EPKbPbPKlPlN2at6native12_GLOBAL__N_18offset_tEEE10hipError_tPvRmT1_PNSt15iterator_traitsIS12_E10value_typeET2_T3_PNS13_IS18_E10value_typeET4_jRbjT5_S1E_jjP12ihipStream_tbEUljE_ZNSN_ISO_Lb0ESQ_SR_ST_SU_SY_EESZ_S10_S11_S12_S16_S17_S18_S1B_S1C_jS1D_jS1E_S1E_jjS1G_bEUljE0_EEESZ_S10_S11_S18_S1C_S1E_T6_T7_T9_mT8_S1G_bDpT10_ENKUlT_T0_E_clISt17integral_constantIbLb0EES1T_IbLb1EEEEDaS1P_S1Q_EUlS1P_E_NS1_11comp_targetILNS1_3genE2ELNS1_11target_archE906ELNS1_3gpuE6ELNS1_3repE0EEENS1_30default_config_static_selectorELNS0_4arch9wavefront6targetE0EEEvS12_.uses_vcc, 0
	.set _ZN7rocprim17ROCPRIM_400000_NS6detail17trampoline_kernelINS0_13select_configILj256ELj13ELNS0_17block_load_methodE3ELS4_3ELS4_3ELNS0_20block_scan_algorithmE0ELj4294967295EEENS1_25partition_config_selectorILNS1_17partition_subalgoE4EjNS0_10empty_typeEbEEZZNS1_14partition_implILS8_4ELb0ES6_15HIP_vector_typeIjLj2EENS0_17counting_iteratorIjlEEPS9_SG_NS0_5tupleIJPjSI_NS0_16reverse_iteratorISI_EEEEENSH_IJSG_SG_SG_EEES9_SI_JZNS1_25segmented_radix_sort_implINS0_14default_configELb0EPKbPbPKlPlN2at6native12_GLOBAL__N_18offset_tEEE10hipError_tPvRmT1_PNSt15iterator_traitsIS12_E10value_typeET2_T3_PNS13_IS18_E10value_typeET4_jRbjT5_S1E_jjP12ihipStream_tbEUljE_ZNSN_ISO_Lb0ESQ_SR_ST_SU_SY_EESZ_S10_S11_S12_S16_S17_S18_S1B_S1C_jS1D_jS1E_S1E_jjS1G_bEUljE0_EEESZ_S10_S11_S18_S1C_S1E_T6_T7_T9_mT8_S1G_bDpT10_ENKUlT_T0_E_clISt17integral_constantIbLb0EES1T_IbLb1EEEEDaS1P_S1Q_EUlS1P_E_NS1_11comp_targetILNS1_3genE2ELNS1_11target_archE906ELNS1_3gpuE6ELNS1_3repE0EEENS1_30default_config_static_selectorELNS0_4arch9wavefront6targetE0EEEvS12_.uses_flat_scratch, 0
	.set _ZN7rocprim17ROCPRIM_400000_NS6detail17trampoline_kernelINS0_13select_configILj256ELj13ELNS0_17block_load_methodE3ELS4_3ELS4_3ELNS0_20block_scan_algorithmE0ELj4294967295EEENS1_25partition_config_selectorILNS1_17partition_subalgoE4EjNS0_10empty_typeEbEEZZNS1_14partition_implILS8_4ELb0ES6_15HIP_vector_typeIjLj2EENS0_17counting_iteratorIjlEEPS9_SG_NS0_5tupleIJPjSI_NS0_16reverse_iteratorISI_EEEEENSH_IJSG_SG_SG_EEES9_SI_JZNS1_25segmented_radix_sort_implINS0_14default_configELb0EPKbPbPKlPlN2at6native12_GLOBAL__N_18offset_tEEE10hipError_tPvRmT1_PNSt15iterator_traitsIS12_E10value_typeET2_T3_PNS13_IS18_E10value_typeET4_jRbjT5_S1E_jjP12ihipStream_tbEUljE_ZNSN_ISO_Lb0ESQ_SR_ST_SU_SY_EESZ_S10_S11_S12_S16_S17_S18_S1B_S1C_jS1D_jS1E_S1E_jjS1G_bEUljE0_EEESZ_S10_S11_S18_S1C_S1E_T6_T7_T9_mT8_S1G_bDpT10_ENKUlT_T0_E_clISt17integral_constantIbLb0EES1T_IbLb1EEEEDaS1P_S1Q_EUlS1P_E_NS1_11comp_targetILNS1_3genE2ELNS1_11target_archE906ELNS1_3gpuE6ELNS1_3repE0EEENS1_30default_config_static_selectorELNS0_4arch9wavefront6targetE0EEEvS12_.has_dyn_sized_stack, 0
	.set _ZN7rocprim17ROCPRIM_400000_NS6detail17trampoline_kernelINS0_13select_configILj256ELj13ELNS0_17block_load_methodE3ELS4_3ELS4_3ELNS0_20block_scan_algorithmE0ELj4294967295EEENS1_25partition_config_selectorILNS1_17partition_subalgoE4EjNS0_10empty_typeEbEEZZNS1_14partition_implILS8_4ELb0ES6_15HIP_vector_typeIjLj2EENS0_17counting_iteratorIjlEEPS9_SG_NS0_5tupleIJPjSI_NS0_16reverse_iteratorISI_EEEEENSH_IJSG_SG_SG_EEES9_SI_JZNS1_25segmented_radix_sort_implINS0_14default_configELb0EPKbPbPKlPlN2at6native12_GLOBAL__N_18offset_tEEE10hipError_tPvRmT1_PNSt15iterator_traitsIS12_E10value_typeET2_T3_PNS13_IS18_E10value_typeET4_jRbjT5_S1E_jjP12ihipStream_tbEUljE_ZNSN_ISO_Lb0ESQ_SR_ST_SU_SY_EESZ_S10_S11_S12_S16_S17_S18_S1B_S1C_jS1D_jS1E_S1E_jjS1G_bEUljE0_EEESZ_S10_S11_S18_S1C_S1E_T6_T7_T9_mT8_S1G_bDpT10_ENKUlT_T0_E_clISt17integral_constantIbLb0EES1T_IbLb1EEEEDaS1P_S1Q_EUlS1P_E_NS1_11comp_targetILNS1_3genE2ELNS1_11target_archE906ELNS1_3gpuE6ELNS1_3repE0EEENS1_30default_config_static_selectorELNS0_4arch9wavefront6targetE0EEEvS12_.has_recursion, 0
	.set _ZN7rocprim17ROCPRIM_400000_NS6detail17trampoline_kernelINS0_13select_configILj256ELj13ELNS0_17block_load_methodE3ELS4_3ELS4_3ELNS0_20block_scan_algorithmE0ELj4294967295EEENS1_25partition_config_selectorILNS1_17partition_subalgoE4EjNS0_10empty_typeEbEEZZNS1_14partition_implILS8_4ELb0ES6_15HIP_vector_typeIjLj2EENS0_17counting_iteratorIjlEEPS9_SG_NS0_5tupleIJPjSI_NS0_16reverse_iteratorISI_EEEEENSH_IJSG_SG_SG_EEES9_SI_JZNS1_25segmented_radix_sort_implINS0_14default_configELb0EPKbPbPKlPlN2at6native12_GLOBAL__N_18offset_tEEE10hipError_tPvRmT1_PNSt15iterator_traitsIS12_E10value_typeET2_T3_PNS13_IS18_E10value_typeET4_jRbjT5_S1E_jjP12ihipStream_tbEUljE_ZNSN_ISO_Lb0ESQ_SR_ST_SU_SY_EESZ_S10_S11_S12_S16_S17_S18_S1B_S1C_jS1D_jS1E_S1E_jjS1G_bEUljE0_EEESZ_S10_S11_S18_S1C_S1E_T6_T7_T9_mT8_S1G_bDpT10_ENKUlT_T0_E_clISt17integral_constantIbLb0EES1T_IbLb1EEEEDaS1P_S1Q_EUlS1P_E_NS1_11comp_targetILNS1_3genE2ELNS1_11target_archE906ELNS1_3gpuE6ELNS1_3repE0EEENS1_30default_config_static_selectorELNS0_4arch9wavefront6targetE0EEEvS12_.has_indirect_call, 0
	.section	.AMDGPU.csdata,"",@progbits
; Kernel info:
; codeLenInByte = 0
; TotalNumSgprs: 0
; NumVgprs: 0
; ScratchSize: 0
; MemoryBound: 0
; FloatMode: 240
; IeeeMode: 1
; LDSByteSize: 0 bytes/workgroup (compile time only)
; SGPRBlocks: 0
; VGPRBlocks: 0
; NumSGPRsForWavesPerEU: 1
; NumVGPRsForWavesPerEU: 1
; NamedBarCnt: 0
; Occupancy: 16
; WaveLimiterHint : 0
; COMPUTE_PGM_RSRC2:SCRATCH_EN: 0
; COMPUTE_PGM_RSRC2:USER_SGPR: 2
; COMPUTE_PGM_RSRC2:TRAP_HANDLER: 0
; COMPUTE_PGM_RSRC2:TGID_X_EN: 1
; COMPUTE_PGM_RSRC2:TGID_Y_EN: 0
; COMPUTE_PGM_RSRC2:TGID_Z_EN: 0
; COMPUTE_PGM_RSRC2:TIDIG_COMP_CNT: 0
	.section	.text._ZN7rocprim17ROCPRIM_400000_NS6detail17trampoline_kernelINS0_13select_configILj256ELj13ELNS0_17block_load_methodE3ELS4_3ELS4_3ELNS0_20block_scan_algorithmE0ELj4294967295EEENS1_25partition_config_selectorILNS1_17partition_subalgoE4EjNS0_10empty_typeEbEEZZNS1_14partition_implILS8_4ELb0ES6_15HIP_vector_typeIjLj2EENS0_17counting_iteratorIjlEEPS9_SG_NS0_5tupleIJPjSI_NS0_16reverse_iteratorISI_EEEEENSH_IJSG_SG_SG_EEES9_SI_JZNS1_25segmented_radix_sort_implINS0_14default_configELb0EPKbPbPKlPlN2at6native12_GLOBAL__N_18offset_tEEE10hipError_tPvRmT1_PNSt15iterator_traitsIS12_E10value_typeET2_T3_PNS13_IS18_E10value_typeET4_jRbjT5_S1E_jjP12ihipStream_tbEUljE_ZNSN_ISO_Lb0ESQ_SR_ST_SU_SY_EESZ_S10_S11_S12_S16_S17_S18_S1B_S1C_jS1D_jS1E_S1E_jjS1G_bEUljE0_EEESZ_S10_S11_S18_S1C_S1E_T6_T7_T9_mT8_S1G_bDpT10_ENKUlT_T0_E_clISt17integral_constantIbLb0EES1T_IbLb1EEEEDaS1P_S1Q_EUlS1P_E_NS1_11comp_targetILNS1_3genE10ELNS1_11target_archE1200ELNS1_3gpuE4ELNS1_3repE0EEENS1_30default_config_static_selectorELNS0_4arch9wavefront6targetE0EEEvS12_,"axG",@progbits,_ZN7rocprim17ROCPRIM_400000_NS6detail17trampoline_kernelINS0_13select_configILj256ELj13ELNS0_17block_load_methodE3ELS4_3ELS4_3ELNS0_20block_scan_algorithmE0ELj4294967295EEENS1_25partition_config_selectorILNS1_17partition_subalgoE4EjNS0_10empty_typeEbEEZZNS1_14partition_implILS8_4ELb0ES6_15HIP_vector_typeIjLj2EENS0_17counting_iteratorIjlEEPS9_SG_NS0_5tupleIJPjSI_NS0_16reverse_iteratorISI_EEEEENSH_IJSG_SG_SG_EEES9_SI_JZNS1_25segmented_radix_sort_implINS0_14default_configELb0EPKbPbPKlPlN2at6native12_GLOBAL__N_18offset_tEEE10hipError_tPvRmT1_PNSt15iterator_traitsIS12_E10value_typeET2_T3_PNS13_IS18_E10value_typeET4_jRbjT5_S1E_jjP12ihipStream_tbEUljE_ZNSN_ISO_Lb0ESQ_SR_ST_SU_SY_EESZ_S10_S11_S12_S16_S17_S18_S1B_S1C_jS1D_jS1E_S1E_jjS1G_bEUljE0_EEESZ_S10_S11_S18_S1C_S1E_T6_T7_T9_mT8_S1G_bDpT10_ENKUlT_T0_E_clISt17integral_constantIbLb0EES1T_IbLb1EEEEDaS1P_S1Q_EUlS1P_E_NS1_11comp_targetILNS1_3genE10ELNS1_11target_archE1200ELNS1_3gpuE4ELNS1_3repE0EEENS1_30default_config_static_selectorELNS0_4arch9wavefront6targetE0EEEvS12_,comdat
	.globl	_ZN7rocprim17ROCPRIM_400000_NS6detail17trampoline_kernelINS0_13select_configILj256ELj13ELNS0_17block_load_methodE3ELS4_3ELS4_3ELNS0_20block_scan_algorithmE0ELj4294967295EEENS1_25partition_config_selectorILNS1_17partition_subalgoE4EjNS0_10empty_typeEbEEZZNS1_14partition_implILS8_4ELb0ES6_15HIP_vector_typeIjLj2EENS0_17counting_iteratorIjlEEPS9_SG_NS0_5tupleIJPjSI_NS0_16reverse_iteratorISI_EEEEENSH_IJSG_SG_SG_EEES9_SI_JZNS1_25segmented_radix_sort_implINS0_14default_configELb0EPKbPbPKlPlN2at6native12_GLOBAL__N_18offset_tEEE10hipError_tPvRmT1_PNSt15iterator_traitsIS12_E10value_typeET2_T3_PNS13_IS18_E10value_typeET4_jRbjT5_S1E_jjP12ihipStream_tbEUljE_ZNSN_ISO_Lb0ESQ_SR_ST_SU_SY_EESZ_S10_S11_S12_S16_S17_S18_S1B_S1C_jS1D_jS1E_S1E_jjS1G_bEUljE0_EEESZ_S10_S11_S18_S1C_S1E_T6_T7_T9_mT8_S1G_bDpT10_ENKUlT_T0_E_clISt17integral_constantIbLb0EES1T_IbLb1EEEEDaS1P_S1Q_EUlS1P_E_NS1_11comp_targetILNS1_3genE10ELNS1_11target_archE1200ELNS1_3gpuE4ELNS1_3repE0EEENS1_30default_config_static_selectorELNS0_4arch9wavefront6targetE0EEEvS12_ ; -- Begin function _ZN7rocprim17ROCPRIM_400000_NS6detail17trampoline_kernelINS0_13select_configILj256ELj13ELNS0_17block_load_methodE3ELS4_3ELS4_3ELNS0_20block_scan_algorithmE0ELj4294967295EEENS1_25partition_config_selectorILNS1_17partition_subalgoE4EjNS0_10empty_typeEbEEZZNS1_14partition_implILS8_4ELb0ES6_15HIP_vector_typeIjLj2EENS0_17counting_iteratorIjlEEPS9_SG_NS0_5tupleIJPjSI_NS0_16reverse_iteratorISI_EEEEENSH_IJSG_SG_SG_EEES9_SI_JZNS1_25segmented_radix_sort_implINS0_14default_configELb0EPKbPbPKlPlN2at6native12_GLOBAL__N_18offset_tEEE10hipError_tPvRmT1_PNSt15iterator_traitsIS12_E10value_typeET2_T3_PNS13_IS18_E10value_typeET4_jRbjT5_S1E_jjP12ihipStream_tbEUljE_ZNSN_ISO_Lb0ESQ_SR_ST_SU_SY_EESZ_S10_S11_S12_S16_S17_S18_S1B_S1C_jS1D_jS1E_S1E_jjS1G_bEUljE0_EEESZ_S10_S11_S18_S1C_S1E_T6_T7_T9_mT8_S1G_bDpT10_ENKUlT_T0_E_clISt17integral_constantIbLb0EES1T_IbLb1EEEEDaS1P_S1Q_EUlS1P_E_NS1_11comp_targetILNS1_3genE10ELNS1_11target_archE1200ELNS1_3gpuE4ELNS1_3repE0EEENS1_30default_config_static_selectorELNS0_4arch9wavefront6targetE0EEEvS12_
	.p2align	8
	.type	_ZN7rocprim17ROCPRIM_400000_NS6detail17trampoline_kernelINS0_13select_configILj256ELj13ELNS0_17block_load_methodE3ELS4_3ELS4_3ELNS0_20block_scan_algorithmE0ELj4294967295EEENS1_25partition_config_selectorILNS1_17partition_subalgoE4EjNS0_10empty_typeEbEEZZNS1_14partition_implILS8_4ELb0ES6_15HIP_vector_typeIjLj2EENS0_17counting_iteratorIjlEEPS9_SG_NS0_5tupleIJPjSI_NS0_16reverse_iteratorISI_EEEEENSH_IJSG_SG_SG_EEES9_SI_JZNS1_25segmented_radix_sort_implINS0_14default_configELb0EPKbPbPKlPlN2at6native12_GLOBAL__N_18offset_tEEE10hipError_tPvRmT1_PNSt15iterator_traitsIS12_E10value_typeET2_T3_PNS13_IS18_E10value_typeET4_jRbjT5_S1E_jjP12ihipStream_tbEUljE_ZNSN_ISO_Lb0ESQ_SR_ST_SU_SY_EESZ_S10_S11_S12_S16_S17_S18_S1B_S1C_jS1D_jS1E_S1E_jjS1G_bEUljE0_EEESZ_S10_S11_S18_S1C_S1E_T6_T7_T9_mT8_S1G_bDpT10_ENKUlT_T0_E_clISt17integral_constantIbLb0EES1T_IbLb1EEEEDaS1P_S1Q_EUlS1P_E_NS1_11comp_targetILNS1_3genE10ELNS1_11target_archE1200ELNS1_3gpuE4ELNS1_3repE0EEENS1_30default_config_static_selectorELNS0_4arch9wavefront6targetE0EEEvS12_,@function
_ZN7rocprim17ROCPRIM_400000_NS6detail17trampoline_kernelINS0_13select_configILj256ELj13ELNS0_17block_load_methodE3ELS4_3ELS4_3ELNS0_20block_scan_algorithmE0ELj4294967295EEENS1_25partition_config_selectorILNS1_17partition_subalgoE4EjNS0_10empty_typeEbEEZZNS1_14partition_implILS8_4ELb0ES6_15HIP_vector_typeIjLj2EENS0_17counting_iteratorIjlEEPS9_SG_NS0_5tupleIJPjSI_NS0_16reverse_iteratorISI_EEEEENSH_IJSG_SG_SG_EEES9_SI_JZNS1_25segmented_radix_sort_implINS0_14default_configELb0EPKbPbPKlPlN2at6native12_GLOBAL__N_18offset_tEEE10hipError_tPvRmT1_PNSt15iterator_traitsIS12_E10value_typeET2_T3_PNS13_IS18_E10value_typeET4_jRbjT5_S1E_jjP12ihipStream_tbEUljE_ZNSN_ISO_Lb0ESQ_SR_ST_SU_SY_EESZ_S10_S11_S12_S16_S17_S18_S1B_S1C_jS1D_jS1E_S1E_jjS1G_bEUljE0_EEESZ_S10_S11_S18_S1C_S1E_T6_T7_T9_mT8_S1G_bDpT10_ENKUlT_T0_E_clISt17integral_constantIbLb0EES1T_IbLb1EEEEDaS1P_S1Q_EUlS1P_E_NS1_11comp_targetILNS1_3genE10ELNS1_11target_archE1200ELNS1_3gpuE4ELNS1_3repE0EEENS1_30default_config_static_selectorELNS0_4arch9wavefront6targetE0EEEvS12_: ; @_ZN7rocprim17ROCPRIM_400000_NS6detail17trampoline_kernelINS0_13select_configILj256ELj13ELNS0_17block_load_methodE3ELS4_3ELS4_3ELNS0_20block_scan_algorithmE0ELj4294967295EEENS1_25partition_config_selectorILNS1_17partition_subalgoE4EjNS0_10empty_typeEbEEZZNS1_14partition_implILS8_4ELb0ES6_15HIP_vector_typeIjLj2EENS0_17counting_iteratorIjlEEPS9_SG_NS0_5tupleIJPjSI_NS0_16reverse_iteratorISI_EEEEENSH_IJSG_SG_SG_EEES9_SI_JZNS1_25segmented_radix_sort_implINS0_14default_configELb0EPKbPbPKlPlN2at6native12_GLOBAL__N_18offset_tEEE10hipError_tPvRmT1_PNSt15iterator_traitsIS12_E10value_typeET2_T3_PNS13_IS18_E10value_typeET4_jRbjT5_S1E_jjP12ihipStream_tbEUljE_ZNSN_ISO_Lb0ESQ_SR_ST_SU_SY_EESZ_S10_S11_S12_S16_S17_S18_S1B_S1C_jS1D_jS1E_S1E_jjS1G_bEUljE0_EEESZ_S10_S11_S18_S1C_S1E_T6_T7_T9_mT8_S1G_bDpT10_ENKUlT_T0_E_clISt17integral_constantIbLb0EES1T_IbLb1EEEEDaS1P_S1Q_EUlS1P_E_NS1_11comp_targetILNS1_3genE10ELNS1_11target_archE1200ELNS1_3gpuE4ELNS1_3repE0EEENS1_30default_config_static_selectorELNS0_4arch9wavefront6targetE0EEEvS12_
; %bb.0:
	.section	.rodata,"a",@progbits
	.p2align	6, 0x0
	.amdhsa_kernel _ZN7rocprim17ROCPRIM_400000_NS6detail17trampoline_kernelINS0_13select_configILj256ELj13ELNS0_17block_load_methodE3ELS4_3ELS4_3ELNS0_20block_scan_algorithmE0ELj4294967295EEENS1_25partition_config_selectorILNS1_17partition_subalgoE4EjNS0_10empty_typeEbEEZZNS1_14partition_implILS8_4ELb0ES6_15HIP_vector_typeIjLj2EENS0_17counting_iteratorIjlEEPS9_SG_NS0_5tupleIJPjSI_NS0_16reverse_iteratorISI_EEEEENSH_IJSG_SG_SG_EEES9_SI_JZNS1_25segmented_radix_sort_implINS0_14default_configELb0EPKbPbPKlPlN2at6native12_GLOBAL__N_18offset_tEEE10hipError_tPvRmT1_PNSt15iterator_traitsIS12_E10value_typeET2_T3_PNS13_IS18_E10value_typeET4_jRbjT5_S1E_jjP12ihipStream_tbEUljE_ZNSN_ISO_Lb0ESQ_SR_ST_SU_SY_EESZ_S10_S11_S12_S16_S17_S18_S1B_S1C_jS1D_jS1E_S1E_jjS1G_bEUljE0_EEESZ_S10_S11_S18_S1C_S1E_T6_T7_T9_mT8_S1G_bDpT10_ENKUlT_T0_E_clISt17integral_constantIbLb0EES1T_IbLb1EEEEDaS1P_S1Q_EUlS1P_E_NS1_11comp_targetILNS1_3genE10ELNS1_11target_archE1200ELNS1_3gpuE4ELNS1_3repE0EEENS1_30default_config_static_selectorELNS0_4arch9wavefront6targetE0EEEvS12_
		.amdhsa_group_segment_fixed_size 0
		.amdhsa_private_segment_fixed_size 0
		.amdhsa_kernarg_size 184
		.amdhsa_user_sgpr_count 2
		.amdhsa_user_sgpr_dispatch_ptr 0
		.amdhsa_user_sgpr_queue_ptr 0
		.amdhsa_user_sgpr_kernarg_segment_ptr 1
		.amdhsa_user_sgpr_dispatch_id 0
		.amdhsa_user_sgpr_kernarg_preload_length 0
		.amdhsa_user_sgpr_kernarg_preload_offset 0
		.amdhsa_user_sgpr_private_segment_size 0
		.amdhsa_wavefront_size32 1
		.amdhsa_uses_dynamic_stack 0
		.amdhsa_enable_private_segment 0
		.amdhsa_system_sgpr_workgroup_id_x 1
		.amdhsa_system_sgpr_workgroup_id_y 0
		.amdhsa_system_sgpr_workgroup_id_z 0
		.amdhsa_system_sgpr_workgroup_info 0
		.amdhsa_system_vgpr_workitem_id 0
		.amdhsa_next_free_vgpr 1
		.amdhsa_next_free_sgpr 1
		.amdhsa_named_barrier_count 0
		.amdhsa_reserve_vcc 0
		.amdhsa_float_round_mode_32 0
		.amdhsa_float_round_mode_16_64 0
		.amdhsa_float_denorm_mode_32 3
		.amdhsa_float_denorm_mode_16_64 3
		.amdhsa_fp16_overflow 0
		.amdhsa_memory_ordered 1
		.amdhsa_forward_progress 1
		.amdhsa_inst_pref_size 0
		.amdhsa_round_robin_scheduling 0
		.amdhsa_exception_fp_ieee_invalid_op 0
		.amdhsa_exception_fp_denorm_src 0
		.amdhsa_exception_fp_ieee_div_zero 0
		.amdhsa_exception_fp_ieee_overflow 0
		.amdhsa_exception_fp_ieee_underflow 0
		.amdhsa_exception_fp_ieee_inexact 0
		.amdhsa_exception_int_div_zero 0
	.end_amdhsa_kernel
	.section	.text._ZN7rocprim17ROCPRIM_400000_NS6detail17trampoline_kernelINS0_13select_configILj256ELj13ELNS0_17block_load_methodE3ELS4_3ELS4_3ELNS0_20block_scan_algorithmE0ELj4294967295EEENS1_25partition_config_selectorILNS1_17partition_subalgoE4EjNS0_10empty_typeEbEEZZNS1_14partition_implILS8_4ELb0ES6_15HIP_vector_typeIjLj2EENS0_17counting_iteratorIjlEEPS9_SG_NS0_5tupleIJPjSI_NS0_16reverse_iteratorISI_EEEEENSH_IJSG_SG_SG_EEES9_SI_JZNS1_25segmented_radix_sort_implINS0_14default_configELb0EPKbPbPKlPlN2at6native12_GLOBAL__N_18offset_tEEE10hipError_tPvRmT1_PNSt15iterator_traitsIS12_E10value_typeET2_T3_PNS13_IS18_E10value_typeET4_jRbjT5_S1E_jjP12ihipStream_tbEUljE_ZNSN_ISO_Lb0ESQ_SR_ST_SU_SY_EESZ_S10_S11_S12_S16_S17_S18_S1B_S1C_jS1D_jS1E_S1E_jjS1G_bEUljE0_EEESZ_S10_S11_S18_S1C_S1E_T6_T7_T9_mT8_S1G_bDpT10_ENKUlT_T0_E_clISt17integral_constantIbLb0EES1T_IbLb1EEEEDaS1P_S1Q_EUlS1P_E_NS1_11comp_targetILNS1_3genE10ELNS1_11target_archE1200ELNS1_3gpuE4ELNS1_3repE0EEENS1_30default_config_static_selectorELNS0_4arch9wavefront6targetE0EEEvS12_,"axG",@progbits,_ZN7rocprim17ROCPRIM_400000_NS6detail17trampoline_kernelINS0_13select_configILj256ELj13ELNS0_17block_load_methodE3ELS4_3ELS4_3ELNS0_20block_scan_algorithmE0ELj4294967295EEENS1_25partition_config_selectorILNS1_17partition_subalgoE4EjNS0_10empty_typeEbEEZZNS1_14partition_implILS8_4ELb0ES6_15HIP_vector_typeIjLj2EENS0_17counting_iteratorIjlEEPS9_SG_NS0_5tupleIJPjSI_NS0_16reverse_iteratorISI_EEEEENSH_IJSG_SG_SG_EEES9_SI_JZNS1_25segmented_radix_sort_implINS0_14default_configELb0EPKbPbPKlPlN2at6native12_GLOBAL__N_18offset_tEEE10hipError_tPvRmT1_PNSt15iterator_traitsIS12_E10value_typeET2_T3_PNS13_IS18_E10value_typeET4_jRbjT5_S1E_jjP12ihipStream_tbEUljE_ZNSN_ISO_Lb0ESQ_SR_ST_SU_SY_EESZ_S10_S11_S12_S16_S17_S18_S1B_S1C_jS1D_jS1E_S1E_jjS1G_bEUljE0_EEESZ_S10_S11_S18_S1C_S1E_T6_T7_T9_mT8_S1G_bDpT10_ENKUlT_T0_E_clISt17integral_constantIbLb0EES1T_IbLb1EEEEDaS1P_S1Q_EUlS1P_E_NS1_11comp_targetILNS1_3genE10ELNS1_11target_archE1200ELNS1_3gpuE4ELNS1_3repE0EEENS1_30default_config_static_selectorELNS0_4arch9wavefront6targetE0EEEvS12_,comdat
.Lfunc_end1591:
	.size	_ZN7rocprim17ROCPRIM_400000_NS6detail17trampoline_kernelINS0_13select_configILj256ELj13ELNS0_17block_load_methodE3ELS4_3ELS4_3ELNS0_20block_scan_algorithmE0ELj4294967295EEENS1_25partition_config_selectorILNS1_17partition_subalgoE4EjNS0_10empty_typeEbEEZZNS1_14partition_implILS8_4ELb0ES6_15HIP_vector_typeIjLj2EENS0_17counting_iteratorIjlEEPS9_SG_NS0_5tupleIJPjSI_NS0_16reverse_iteratorISI_EEEEENSH_IJSG_SG_SG_EEES9_SI_JZNS1_25segmented_radix_sort_implINS0_14default_configELb0EPKbPbPKlPlN2at6native12_GLOBAL__N_18offset_tEEE10hipError_tPvRmT1_PNSt15iterator_traitsIS12_E10value_typeET2_T3_PNS13_IS18_E10value_typeET4_jRbjT5_S1E_jjP12ihipStream_tbEUljE_ZNSN_ISO_Lb0ESQ_SR_ST_SU_SY_EESZ_S10_S11_S12_S16_S17_S18_S1B_S1C_jS1D_jS1E_S1E_jjS1G_bEUljE0_EEESZ_S10_S11_S18_S1C_S1E_T6_T7_T9_mT8_S1G_bDpT10_ENKUlT_T0_E_clISt17integral_constantIbLb0EES1T_IbLb1EEEEDaS1P_S1Q_EUlS1P_E_NS1_11comp_targetILNS1_3genE10ELNS1_11target_archE1200ELNS1_3gpuE4ELNS1_3repE0EEENS1_30default_config_static_selectorELNS0_4arch9wavefront6targetE0EEEvS12_, .Lfunc_end1591-_ZN7rocprim17ROCPRIM_400000_NS6detail17trampoline_kernelINS0_13select_configILj256ELj13ELNS0_17block_load_methodE3ELS4_3ELS4_3ELNS0_20block_scan_algorithmE0ELj4294967295EEENS1_25partition_config_selectorILNS1_17partition_subalgoE4EjNS0_10empty_typeEbEEZZNS1_14partition_implILS8_4ELb0ES6_15HIP_vector_typeIjLj2EENS0_17counting_iteratorIjlEEPS9_SG_NS0_5tupleIJPjSI_NS0_16reverse_iteratorISI_EEEEENSH_IJSG_SG_SG_EEES9_SI_JZNS1_25segmented_radix_sort_implINS0_14default_configELb0EPKbPbPKlPlN2at6native12_GLOBAL__N_18offset_tEEE10hipError_tPvRmT1_PNSt15iterator_traitsIS12_E10value_typeET2_T3_PNS13_IS18_E10value_typeET4_jRbjT5_S1E_jjP12ihipStream_tbEUljE_ZNSN_ISO_Lb0ESQ_SR_ST_SU_SY_EESZ_S10_S11_S12_S16_S17_S18_S1B_S1C_jS1D_jS1E_S1E_jjS1G_bEUljE0_EEESZ_S10_S11_S18_S1C_S1E_T6_T7_T9_mT8_S1G_bDpT10_ENKUlT_T0_E_clISt17integral_constantIbLb0EES1T_IbLb1EEEEDaS1P_S1Q_EUlS1P_E_NS1_11comp_targetILNS1_3genE10ELNS1_11target_archE1200ELNS1_3gpuE4ELNS1_3repE0EEENS1_30default_config_static_selectorELNS0_4arch9wavefront6targetE0EEEvS12_
                                        ; -- End function
	.set _ZN7rocprim17ROCPRIM_400000_NS6detail17trampoline_kernelINS0_13select_configILj256ELj13ELNS0_17block_load_methodE3ELS4_3ELS4_3ELNS0_20block_scan_algorithmE0ELj4294967295EEENS1_25partition_config_selectorILNS1_17partition_subalgoE4EjNS0_10empty_typeEbEEZZNS1_14partition_implILS8_4ELb0ES6_15HIP_vector_typeIjLj2EENS0_17counting_iteratorIjlEEPS9_SG_NS0_5tupleIJPjSI_NS0_16reverse_iteratorISI_EEEEENSH_IJSG_SG_SG_EEES9_SI_JZNS1_25segmented_radix_sort_implINS0_14default_configELb0EPKbPbPKlPlN2at6native12_GLOBAL__N_18offset_tEEE10hipError_tPvRmT1_PNSt15iterator_traitsIS12_E10value_typeET2_T3_PNS13_IS18_E10value_typeET4_jRbjT5_S1E_jjP12ihipStream_tbEUljE_ZNSN_ISO_Lb0ESQ_SR_ST_SU_SY_EESZ_S10_S11_S12_S16_S17_S18_S1B_S1C_jS1D_jS1E_S1E_jjS1G_bEUljE0_EEESZ_S10_S11_S18_S1C_S1E_T6_T7_T9_mT8_S1G_bDpT10_ENKUlT_T0_E_clISt17integral_constantIbLb0EES1T_IbLb1EEEEDaS1P_S1Q_EUlS1P_E_NS1_11comp_targetILNS1_3genE10ELNS1_11target_archE1200ELNS1_3gpuE4ELNS1_3repE0EEENS1_30default_config_static_selectorELNS0_4arch9wavefront6targetE0EEEvS12_.num_vgpr, 0
	.set _ZN7rocprim17ROCPRIM_400000_NS6detail17trampoline_kernelINS0_13select_configILj256ELj13ELNS0_17block_load_methodE3ELS4_3ELS4_3ELNS0_20block_scan_algorithmE0ELj4294967295EEENS1_25partition_config_selectorILNS1_17partition_subalgoE4EjNS0_10empty_typeEbEEZZNS1_14partition_implILS8_4ELb0ES6_15HIP_vector_typeIjLj2EENS0_17counting_iteratorIjlEEPS9_SG_NS0_5tupleIJPjSI_NS0_16reverse_iteratorISI_EEEEENSH_IJSG_SG_SG_EEES9_SI_JZNS1_25segmented_radix_sort_implINS0_14default_configELb0EPKbPbPKlPlN2at6native12_GLOBAL__N_18offset_tEEE10hipError_tPvRmT1_PNSt15iterator_traitsIS12_E10value_typeET2_T3_PNS13_IS18_E10value_typeET4_jRbjT5_S1E_jjP12ihipStream_tbEUljE_ZNSN_ISO_Lb0ESQ_SR_ST_SU_SY_EESZ_S10_S11_S12_S16_S17_S18_S1B_S1C_jS1D_jS1E_S1E_jjS1G_bEUljE0_EEESZ_S10_S11_S18_S1C_S1E_T6_T7_T9_mT8_S1G_bDpT10_ENKUlT_T0_E_clISt17integral_constantIbLb0EES1T_IbLb1EEEEDaS1P_S1Q_EUlS1P_E_NS1_11comp_targetILNS1_3genE10ELNS1_11target_archE1200ELNS1_3gpuE4ELNS1_3repE0EEENS1_30default_config_static_selectorELNS0_4arch9wavefront6targetE0EEEvS12_.num_agpr, 0
	.set _ZN7rocprim17ROCPRIM_400000_NS6detail17trampoline_kernelINS0_13select_configILj256ELj13ELNS0_17block_load_methodE3ELS4_3ELS4_3ELNS0_20block_scan_algorithmE0ELj4294967295EEENS1_25partition_config_selectorILNS1_17partition_subalgoE4EjNS0_10empty_typeEbEEZZNS1_14partition_implILS8_4ELb0ES6_15HIP_vector_typeIjLj2EENS0_17counting_iteratorIjlEEPS9_SG_NS0_5tupleIJPjSI_NS0_16reverse_iteratorISI_EEEEENSH_IJSG_SG_SG_EEES9_SI_JZNS1_25segmented_radix_sort_implINS0_14default_configELb0EPKbPbPKlPlN2at6native12_GLOBAL__N_18offset_tEEE10hipError_tPvRmT1_PNSt15iterator_traitsIS12_E10value_typeET2_T3_PNS13_IS18_E10value_typeET4_jRbjT5_S1E_jjP12ihipStream_tbEUljE_ZNSN_ISO_Lb0ESQ_SR_ST_SU_SY_EESZ_S10_S11_S12_S16_S17_S18_S1B_S1C_jS1D_jS1E_S1E_jjS1G_bEUljE0_EEESZ_S10_S11_S18_S1C_S1E_T6_T7_T9_mT8_S1G_bDpT10_ENKUlT_T0_E_clISt17integral_constantIbLb0EES1T_IbLb1EEEEDaS1P_S1Q_EUlS1P_E_NS1_11comp_targetILNS1_3genE10ELNS1_11target_archE1200ELNS1_3gpuE4ELNS1_3repE0EEENS1_30default_config_static_selectorELNS0_4arch9wavefront6targetE0EEEvS12_.numbered_sgpr, 0
	.set _ZN7rocprim17ROCPRIM_400000_NS6detail17trampoline_kernelINS0_13select_configILj256ELj13ELNS0_17block_load_methodE3ELS4_3ELS4_3ELNS0_20block_scan_algorithmE0ELj4294967295EEENS1_25partition_config_selectorILNS1_17partition_subalgoE4EjNS0_10empty_typeEbEEZZNS1_14partition_implILS8_4ELb0ES6_15HIP_vector_typeIjLj2EENS0_17counting_iteratorIjlEEPS9_SG_NS0_5tupleIJPjSI_NS0_16reverse_iteratorISI_EEEEENSH_IJSG_SG_SG_EEES9_SI_JZNS1_25segmented_radix_sort_implINS0_14default_configELb0EPKbPbPKlPlN2at6native12_GLOBAL__N_18offset_tEEE10hipError_tPvRmT1_PNSt15iterator_traitsIS12_E10value_typeET2_T3_PNS13_IS18_E10value_typeET4_jRbjT5_S1E_jjP12ihipStream_tbEUljE_ZNSN_ISO_Lb0ESQ_SR_ST_SU_SY_EESZ_S10_S11_S12_S16_S17_S18_S1B_S1C_jS1D_jS1E_S1E_jjS1G_bEUljE0_EEESZ_S10_S11_S18_S1C_S1E_T6_T7_T9_mT8_S1G_bDpT10_ENKUlT_T0_E_clISt17integral_constantIbLb0EES1T_IbLb1EEEEDaS1P_S1Q_EUlS1P_E_NS1_11comp_targetILNS1_3genE10ELNS1_11target_archE1200ELNS1_3gpuE4ELNS1_3repE0EEENS1_30default_config_static_selectorELNS0_4arch9wavefront6targetE0EEEvS12_.num_named_barrier, 0
	.set _ZN7rocprim17ROCPRIM_400000_NS6detail17trampoline_kernelINS0_13select_configILj256ELj13ELNS0_17block_load_methodE3ELS4_3ELS4_3ELNS0_20block_scan_algorithmE0ELj4294967295EEENS1_25partition_config_selectorILNS1_17partition_subalgoE4EjNS0_10empty_typeEbEEZZNS1_14partition_implILS8_4ELb0ES6_15HIP_vector_typeIjLj2EENS0_17counting_iteratorIjlEEPS9_SG_NS0_5tupleIJPjSI_NS0_16reverse_iteratorISI_EEEEENSH_IJSG_SG_SG_EEES9_SI_JZNS1_25segmented_radix_sort_implINS0_14default_configELb0EPKbPbPKlPlN2at6native12_GLOBAL__N_18offset_tEEE10hipError_tPvRmT1_PNSt15iterator_traitsIS12_E10value_typeET2_T3_PNS13_IS18_E10value_typeET4_jRbjT5_S1E_jjP12ihipStream_tbEUljE_ZNSN_ISO_Lb0ESQ_SR_ST_SU_SY_EESZ_S10_S11_S12_S16_S17_S18_S1B_S1C_jS1D_jS1E_S1E_jjS1G_bEUljE0_EEESZ_S10_S11_S18_S1C_S1E_T6_T7_T9_mT8_S1G_bDpT10_ENKUlT_T0_E_clISt17integral_constantIbLb0EES1T_IbLb1EEEEDaS1P_S1Q_EUlS1P_E_NS1_11comp_targetILNS1_3genE10ELNS1_11target_archE1200ELNS1_3gpuE4ELNS1_3repE0EEENS1_30default_config_static_selectorELNS0_4arch9wavefront6targetE0EEEvS12_.private_seg_size, 0
	.set _ZN7rocprim17ROCPRIM_400000_NS6detail17trampoline_kernelINS0_13select_configILj256ELj13ELNS0_17block_load_methodE3ELS4_3ELS4_3ELNS0_20block_scan_algorithmE0ELj4294967295EEENS1_25partition_config_selectorILNS1_17partition_subalgoE4EjNS0_10empty_typeEbEEZZNS1_14partition_implILS8_4ELb0ES6_15HIP_vector_typeIjLj2EENS0_17counting_iteratorIjlEEPS9_SG_NS0_5tupleIJPjSI_NS0_16reverse_iteratorISI_EEEEENSH_IJSG_SG_SG_EEES9_SI_JZNS1_25segmented_radix_sort_implINS0_14default_configELb0EPKbPbPKlPlN2at6native12_GLOBAL__N_18offset_tEEE10hipError_tPvRmT1_PNSt15iterator_traitsIS12_E10value_typeET2_T3_PNS13_IS18_E10value_typeET4_jRbjT5_S1E_jjP12ihipStream_tbEUljE_ZNSN_ISO_Lb0ESQ_SR_ST_SU_SY_EESZ_S10_S11_S12_S16_S17_S18_S1B_S1C_jS1D_jS1E_S1E_jjS1G_bEUljE0_EEESZ_S10_S11_S18_S1C_S1E_T6_T7_T9_mT8_S1G_bDpT10_ENKUlT_T0_E_clISt17integral_constantIbLb0EES1T_IbLb1EEEEDaS1P_S1Q_EUlS1P_E_NS1_11comp_targetILNS1_3genE10ELNS1_11target_archE1200ELNS1_3gpuE4ELNS1_3repE0EEENS1_30default_config_static_selectorELNS0_4arch9wavefront6targetE0EEEvS12_.uses_vcc, 0
	.set _ZN7rocprim17ROCPRIM_400000_NS6detail17trampoline_kernelINS0_13select_configILj256ELj13ELNS0_17block_load_methodE3ELS4_3ELS4_3ELNS0_20block_scan_algorithmE0ELj4294967295EEENS1_25partition_config_selectorILNS1_17partition_subalgoE4EjNS0_10empty_typeEbEEZZNS1_14partition_implILS8_4ELb0ES6_15HIP_vector_typeIjLj2EENS0_17counting_iteratorIjlEEPS9_SG_NS0_5tupleIJPjSI_NS0_16reverse_iteratorISI_EEEEENSH_IJSG_SG_SG_EEES9_SI_JZNS1_25segmented_radix_sort_implINS0_14default_configELb0EPKbPbPKlPlN2at6native12_GLOBAL__N_18offset_tEEE10hipError_tPvRmT1_PNSt15iterator_traitsIS12_E10value_typeET2_T3_PNS13_IS18_E10value_typeET4_jRbjT5_S1E_jjP12ihipStream_tbEUljE_ZNSN_ISO_Lb0ESQ_SR_ST_SU_SY_EESZ_S10_S11_S12_S16_S17_S18_S1B_S1C_jS1D_jS1E_S1E_jjS1G_bEUljE0_EEESZ_S10_S11_S18_S1C_S1E_T6_T7_T9_mT8_S1G_bDpT10_ENKUlT_T0_E_clISt17integral_constantIbLb0EES1T_IbLb1EEEEDaS1P_S1Q_EUlS1P_E_NS1_11comp_targetILNS1_3genE10ELNS1_11target_archE1200ELNS1_3gpuE4ELNS1_3repE0EEENS1_30default_config_static_selectorELNS0_4arch9wavefront6targetE0EEEvS12_.uses_flat_scratch, 0
	.set _ZN7rocprim17ROCPRIM_400000_NS6detail17trampoline_kernelINS0_13select_configILj256ELj13ELNS0_17block_load_methodE3ELS4_3ELS4_3ELNS0_20block_scan_algorithmE0ELj4294967295EEENS1_25partition_config_selectorILNS1_17partition_subalgoE4EjNS0_10empty_typeEbEEZZNS1_14partition_implILS8_4ELb0ES6_15HIP_vector_typeIjLj2EENS0_17counting_iteratorIjlEEPS9_SG_NS0_5tupleIJPjSI_NS0_16reverse_iteratorISI_EEEEENSH_IJSG_SG_SG_EEES9_SI_JZNS1_25segmented_radix_sort_implINS0_14default_configELb0EPKbPbPKlPlN2at6native12_GLOBAL__N_18offset_tEEE10hipError_tPvRmT1_PNSt15iterator_traitsIS12_E10value_typeET2_T3_PNS13_IS18_E10value_typeET4_jRbjT5_S1E_jjP12ihipStream_tbEUljE_ZNSN_ISO_Lb0ESQ_SR_ST_SU_SY_EESZ_S10_S11_S12_S16_S17_S18_S1B_S1C_jS1D_jS1E_S1E_jjS1G_bEUljE0_EEESZ_S10_S11_S18_S1C_S1E_T6_T7_T9_mT8_S1G_bDpT10_ENKUlT_T0_E_clISt17integral_constantIbLb0EES1T_IbLb1EEEEDaS1P_S1Q_EUlS1P_E_NS1_11comp_targetILNS1_3genE10ELNS1_11target_archE1200ELNS1_3gpuE4ELNS1_3repE0EEENS1_30default_config_static_selectorELNS0_4arch9wavefront6targetE0EEEvS12_.has_dyn_sized_stack, 0
	.set _ZN7rocprim17ROCPRIM_400000_NS6detail17trampoline_kernelINS0_13select_configILj256ELj13ELNS0_17block_load_methodE3ELS4_3ELS4_3ELNS0_20block_scan_algorithmE0ELj4294967295EEENS1_25partition_config_selectorILNS1_17partition_subalgoE4EjNS0_10empty_typeEbEEZZNS1_14partition_implILS8_4ELb0ES6_15HIP_vector_typeIjLj2EENS0_17counting_iteratorIjlEEPS9_SG_NS0_5tupleIJPjSI_NS0_16reverse_iteratorISI_EEEEENSH_IJSG_SG_SG_EEES9_SI_JZNS1_25segmented_radix_sort_implINS0_14default_configELb0EPKbPbPKlPlN2at6native12_GLOBAL__N_18offset_tEEE10hipError_tPvRmT1_PNSt15iterator_traitsIS12_E10value_typeET2_T3_PNS13_IS18_E10value_typeET4_jRbjT5_S1E_jjP12ihipStream_tbEUljE_ZNSN_ISO_Lb0ESQ_SR_ST_SU_SY_EESZ_S10_S11_S12_S16_S17_S18_S1B_S1C_jS1D_jS1E_S1E_jjS1G_bEUljE0_EEESZ_S10_S11_S18_S1C_S1E_T6_T7_T9_mT8_S1G_bDpT10_ENKUlT_T0_E_clISt17integral_constantIbLb0EES1T_IbLb1EEEEDaS1P_S1Q_EUlS1P_E_NS1_11comp_targetILNS1_3genE10ELNS1_11target_archE1200ELNS1_3gpuE4ELNS1_3repE0EEENS1_30default_config_static_selectorELNS0_4arch9wavefront6targetE0EEEvS12_.has_recursion, 0
	.set _ZN7rocprim17ROCPRIM_400000_NS6detail17trampoline_kernelINS0_13select_configILj256ELj13ELNS0_17block_load_methodE3ELS4_3ELS4_3ELNS0_20block_scan_algorithmE0ELj4294967295EEENS1_25partition_config_selectorILNS1_17partition_subalgoE4EjNS0_10empty_typeEbEEZZNS1_14partition_implILS8_4ELb0ES6_15HIP_vector_typeIjLj2EENS0_17counting_iteratorIjlEEPS9_SG_NS0_5tupleIJPjSI_NS0_16reverse_iteratorISI_EEEEENSH_IJSG_SG_SG_EEES9_SI_JZNS1_25segmented_radix_sort_implINS0_14default_configELb0EPKbPbPKlPlN2at6native12_GLOBAL__N_18offset_tEEE10hipError_tPvRmT1_PNSt15iterator_traitsIS12_E10value_typeET2_T3_PNS13_IS18_E10value_typeET4_jRbjT5_S1E_jjP12ihipStream_tbEUljE_ZNSN_ISO_Lb0ESQ_SR_ST_SU_SY_EESZ_S10_S11_S12_S16_S17_S18_S1B_S1C_jS1D_jS1E_S1E_jjS1G_bEUljE0_EEESZ_S10_S11_S18_S1C_S1E_T6_T7_T9_mT8_S1G_bDpT10_ENKUlT_T0_E_clISt17integral_constantIbLb0EES1T_IbLb1EEEEDaS1P_S1Q_EUlS1P_E_NS1_11comp_targetILNS1_3genE10ELNS1_11target_archE1200ELNS1_3gpuE4ELNS1_3repE0EEENS1_30default_config_static_selectorELNS0_4arch9wavefront6targetE0EEEvS12_.has_indirect_call, 0
	.section	.AMDGPU.csdata,"",@progbits
; Kernel info:
; codeLenInByte = 0
; TotalNumSgprs: 0
; NumVgprs: 0
; ScratchSize: 0
; MemoryBound: 0
; FloatMode: 240
; IeeeMode: 1
; LDSByteSize: 0 bytes/workgroup (compile time only)
; SGPRBlocks: 0
; VGPRBlocks: 0
; NumSGPRsForWavesPerEU: 1
; NumVGPRsForWavesPerEU: 1
; NamedBarCnt: 0
; Occupancy: 16
; WaveLimiterHint : 0
; COMPUTE_PGM_RSRC2:SCRATCH_EN: 0
; COMPUTE_PGM_RSRC2:USER_SGPR: 2
; COMPUTE_PGM_RSRC2:TRAP_HANDLER: 0
; COMPUTE_PGM_RSRC2:TGID_X_EN: 1
; COMPUTE_PGM_RSRC2:TGID_Y_EN: 0
; COMPUTE_PGM_RSRC2:TGID_Z_EN: 0
; COMPUTE_PGM_RSRC2:TIDIG_COMP_CNT: 0
	.section	.text._ZN7rocprim17ROCPRIM_400000_NS6detail17trampoline_kernelINS0_13select_configILj256ELj13ELNS0_17block_load_methodE3ELS4_3ELS4_3ELNS0_20block_scan_algorithmE0ELj4294967295EEENS1_25partition_config_selectorILNS1_17partition_subalgoE4EjNS0_10empty_typeEbEEZZNS1_14partition_implILS8_4ELb0ES6_15HIP_vector_typeIjLj2EENS0_17counting_iteratorIjlEEPS9_SG_NS0_5tupleIJPjSI_NS0_16reverse_iteratorISI_EEEEENSH_IJSG_SG_SG_EEES9_SI_JZNS1_25segmented_radix_sort_implINS0_14default_configELb0EPKbPbPKlPlN2at6native12_GLOBAL__N_18offset_tEEE10hipError_tPvRmT1_PNSt15iterator_traitsIS12_E10value_typeET2_T3_PNS13_IS18_E10value_typeET4_jRbjT5_S1E_jjP12ihipStream_tbEUljE_ZNSN_ISO_Lb0ESQ_SR_ST_SU_SY_EESZ_S10_S11_S12_S16_S17_S18_S1B_S1C_jS1D_jS1E_S1E_jjS1G_bEUljE0_EEESZ_S10_S11_S18_S1C_S1E_T6_T7_T9_mT8_S1G_bDpT10_ENKUlT_T0_E_clISt17integral_constantIbLb0EES1T_IbLb1EEEEDaS1P_S1Q_EUlS1P_E_NS1_11comp_targetILNS1_3genE9ELNS1_11target_archE1100ELNS1_3gpuE3ELNS1_3repE0EEENS1_30default_config_static_selectorELNS0_4arch9wavefront6targetE0EEEvS12_,"axG",@progbits,_ZN7rocprim17ROCPRIM_400000_NS6detail17trampoline_kernelINS0_13select_configILj256ELj13ELNS0_17block_load_methodE3ELS4_3ELS4_3ELNS0_20block_scan_algorithmE0ELj4294967295EEENS1_25partition_config_selectorILNS1_17partition_subalgoE4EjNS0_10empty_typeEbEEZZNS1_14partition_implILS8_4ELb0ES6_15HIP_vector_typeIjLj2EENS0_17counting_iteratorIjlEEPS9_SG_NS0_5tupleIJPjSI_NS0_16reverse_iteratorISI_EEEEENSH_IJSG_SG_SG_EEES9_SI_JZNS1_25segmented_radix_sort_implINS0_14default_configELb0EPKbPbPKlPlN2at6native12_GLOBAL__N_18offset_tEEE10hipError_tPvRmT1_PNSt15iterator_traitsIS12_E10value_typeET2_T3_PNS13_IS18_E10value_typeET4_jRbjT5_S1E_jjP12ihipStream_tbEUljE_ZNSN_ISO_Lb0ESQ_SR_ST_SU_SY_EESZ_S10_S11_S12_S16_S17_S18_S1B_S1C_jS1D_jS1E_S1E_jjS1G_bEUljE0_EEESZ_S10_S11_S18_S1C_S1E_T6_T7_T9_mT8_S1G_bDpT10_ENKUlT_T0_E_clISt17integral_constantIbLb0EES1T_IbLb1EEEEDaS1P_S1Q_EUlS1P_E_NS1_11comp_targetILNS1_3genE9ELNS1_11target_archE1100ELNS1_3gpuE3ELNS1_3repE0EEENS1_30default_config_static_selectorELNS0_4arch9wavefront6targetE0EEEvS12_,comdat
	.globl	_ZN7rocprim17ROCPRIM_400000_NS6detail17trampoline_kernelINS0_13select_configILj256ELj13ELNS0_17block_load_methodE3ELS4_3ELS4_3ELNS0_20block_scan_algorithmE0ELj4294967295EEENS1_25partition_config_selectorILNS1_17partition_subalgoE4EjNS0_10empty_typeEbEEZZNS1_14partition_implILS8_4ELb0ES6_15HIP_vector_typeIjLj2EENS0_17counting_iteratorIjlEEPS9_SG_NS0_5tupleIJPjSI_NS0_16reverse_iteratorISI_EEEEENSH_IJSG_SG_SG_EEES9_SI_JZNS1_25segmented_radix_sort_implINS0_14default_configELb0EPKbPbPKlPlN2at6native12_GLOBAL__N_18offset_tEEE10hipError_tPvRmT1_PNSt15iterator_traitsIS12_E10value_typeET2_T3_PNS13_IS18_E10value_typeET4_jRbjT5_S1E_jjP12ihipStream_tbEUljE_ZNSN_ISO_Lb0ESQ_SR_ST_SU_SY_EESZ_S10_S11_S12_S16_S17_S18_S1B_S1C_jS1D_jS1E_S1E_jjS1G_bEUljE0_EEESZ_S10_S11_S18_S1C_S1E_T6_T7_T9_mT8_S1G_bDpT10_ENKUlT_T0_E_clISt17integral_constantIbLb0EES1T_IbLb1EEEEDaS1P_S1Q_EUlS1P_E_NS1_11comp_targetILNS1_3genE9ELNS1_11target_archE1100ELNS1_3gpuE3ELNS1_3repE0EEENS1_30default_config_static_selectorELNS0_4arch9wavefront6targetE0EEEvS12_ ; -- Begin function _ZN7rocprim17ROCPRIM_400000_NS6detail17trampoline_kernelINS0_13select_configILj256ELj13ELNS0_17block_load_methodE3ELS4_3ELS4_3ELNS0_20block_scan_algorithmE0ELj4294967295EEENS1_25partition_config_selectorILNS1_17partition_subalgoE4EjNS0_10empty_typeEbEEZZNS1_14partition_implILS8_4ELb0ES6_15HIP_vector_typeIjLj2EENS0_17counting_iteratorIjlEEPS9_SG_NS0_5tupleIJPjSI_NS0_16reverse_iteratorISI_EEEEENSH_IJSG_SG_SG_EEES9_SI_JZNS1_25segmented_radix_sort_implINS0_14default_configELb0EPKbPbPKlPlN2at6native12_GLOBAL__N_18offset_tEEE10hipError_tPvRmT1_PNSt15iterator_traitsIS12_E10value_typeET2_T3_PNS13_IS18_E10value_typeET4_jRbjT5_S1E_jjP12ihipStream_tbEUljE_ZNSN_ISO_Lb0ESQ_SR_ST_SU_SY_EESZ_S10_S11_S12_S16_S17_S18_S1B_S1C_jS1D_jS1E_S1E_jjS1G_bEUljE0_EEESZ_S10_S11_S18_S1C_S1E_T6_T7_T9_mT8_S1G_bDpT10_ENKUlT_T0_E_clISt17integral_constantIbLb0EES1T_IbLb1EEEEDaS1P_S1Q_EUlS1P_E_NS1_11comp_targetILNS1_3genE9ELNS1_11target_archE1100ELNS1_3gpuE3ELNS1_3repE0EEENS1_30default_config_static_selectorELNS0_4arch9wavefront6targetE0EEEvS12_
	.p2align	8
	.type	_ZN7rocprim17ROCPRIM_400000_NS6detail17trampoline_kernelINS0_13select_configILj256ELj13ELNS0_17block_load_methodE3ELS4_3ELS4_3ELNS0_20block_scan_algorithmE0ELj4294967295EEENS1_25partition_config_selectorILNS1_17partition_subalgoE4EjNS0_10empty_typeEbEEZZNS1_14partition_implILS8_4ELb0ES6_15HIP_vector_typeIjLj2EENS0_17counting_iteratorIjlEEPS9_SG_NS0_5tupleIJPjSI_NS0_16reverse_iteratorISI_EEEEENSH_IJSG_SG_SG_EEES9_SI_JZNS1_25segmented_radix_sort_implINS0_14default_configELb0EPKbPbPKlPlN2at6native12_GLOBAL__N_18offset_tEEE10hipError_tPvRmT1_PNSt15iterator_traitsIS12_E10value_typeET2_T3_PNS13_IS18_E10value_typeET4_jRbjT5_S1E_jjP12ihipStream_tbEUljE_ZNSN_ISO_Lb0ESQ_SR_ST_SU_SY_EESZ_S10_S11_S12_S16_S17_S18_S1B_S1C_jS1D_jS1E_S1E_jjS1G_bEUljE0_EEESZ_S10_S11_S18_S1C_S1E_T6_T7_T9_mT8_S1G_bDpT10_ENKUlT_T0_E_clISt17integral_constantIbLb0EES1T_IbLb1EEEEDaS1P_S1Q_EUlS1P_E_NS1_11comp_targetILNS1_3genE9ELNS1_11target_archE1100ELNS1_3gpuE3ELNS1_3repE0EEENS1_30default_config_static_selectorELNS0_4arch9wavefront6targetE0EEEvS12_,@function
_ZN7rocprim17ROCPRIM_400000_NS6detail17trampoline_kernelINS0_13select_configILj256ELj13ELNS0_17block_load_methodE3ELS4_3ELS4_3ELNS0_20block_scan_algorithmE0ELj4294967295EEENS1_25partition_config_selectorILNS1_17partition_subalgoE4EjNS0_10empty_typeEbEEZZNS1_14partition_implILS8_4ELb0ES6_15HIP_vector_typeIjLj2EENS0_17counting_iteratorIjlEEPS9_SG_NS0_5tupleIJPjSI_NS0_16reverse_iteratorISI_EEEEENSH_IJSG_SG_SG_EEES9_SI_JZNS1_25segmented_radix_sort_implINS0_14default_configELb0EPKbPbPKlPlN2at6native12_GLOBAL__N_18offset_tEEE10hipError_tPvRmT1_PNSt15iterator_traitsIS12_E10value_typeET2_T3_PNS13_IS18_E10value_typeET4_jRbjT5_S1E_jjP12ihipStream_tbEUljE_ZNSN_ISO_Lb0ESQ_SR_ST_SU_SY_EESZ_S10_S11_S12_S16_S17_S18_S1B_S1C_jS1D_jS1E_S1E_jjS1G_bEUljE0_EEESZ_S10_S11_S18_S1C_S1E_T6_T7_T9_mT8_S1G_bDpT10_ENKUlT_T0_E_clISt17integral_constantIbLb0EES1T_IbLb1EEEEDaS1P_S1Q_EUlS1P_E_NS1_11comp_targetILNS1_3genE9ELNS1_11target_archE1100ELNS1_3gpuE3ELNS1_3repE0EEENS1_30default_config_static_selectorELNS0_4arch9wavefront6targetE0EEEvS12_: ; @_ZN7rocprim17ROCPRIM_400000_NS6detail17trampoline_kernelINS0_13select_configILj256ELj13ELNS0_17block_load_methodE3ELS4_3ELS4_3ELNS0_20block_scan_algorithmE0ELj4294967295EEENS1_25partition_config_selectorILNS1_17partition_subalgoE4EjNS0_10empty_typeEbEEZZNS1_14partition_implILS8_4ELb0ES6_15HIP_vector_typeIjLj2EENS0_17counting_iteratorIjlEEPS9_SG_NS0_5tupleIJPjSI_NS0_16reverse_iteratorISI_EEEEENSH_IJSG_SG_SG_EEES9_SI_JZNS1_25segmented_radix_sort_implINS0_14default_configELb0EPKbPbPKlPlN2at6native12_GLOBAL__N_18offset_tEEE10hipError_tPvRmT1_PNSt15iterator_traitsIS12_E10value_typeET2_T3_PNS13_IS18_E10value_typeET4_jRbjT5_S1E_jjP12ihipStream_tbEUljE_ZNSN_ISO_Lb0ESQ_SR_ST_SU_SY_EESZ_S10_S11_S12_S16_S17_S18_S1B_S1C_jS1D_jS1E_S1E_jjS1G_bEUljE0_EEESZ_S10_S11_S18_S1C_S1E_T6_T7_T9_mT8_S1G_bDpT10_ENKUlT_T0_E_clISt17integral_constantIbLb0EES1T_IbLb1EEEEDaS1P_S1Q_EUlS1P_E_NS1_11comp_targetILNS1_3genE9ELNS1_11target_archE1100ELNS1_3gpuE3ELNS1_3repE0EEENS1_30default_config_static_selectorELNS0_4arch9wavefront6targetE0EEEvS12_
; %bb.0:
	.section	.rodata,"a",@progbits
	.p2align	6, 0x0
	.amdhsa_kernel _ZN7rocprim17ROCPRIM_400000_NS6detail17trampoline_kernelINS0_13select_configILj256ELj13ELNS0_17block_load_methodE3ELS4_3ELS4_3ELNS0_20block_scan_algorithmE0ELj4294967295EEENS1_25partition_config_selectorILNS1_17partition_subalgoE4EjNS0_10empty_typeEbEEZZNS1_14partition_implILS8_4ELb0ES6_15HIP_vector_typeIjLj2EENS0_17counting_iteratorIjlEEPS9_SG_NS0_5tupleIJPjSI_NS0_16reverse_iteratorISI_EEEEENSH_IJSG_SG_SG_EEES9_SI_JZNS1_25segmented_radix_sort_implINS0_14default_configELb0EPKbPbPKlPlN2at6native12_GLOBAL__N_18offset_tEEE10hipError_tPvRmT1_PNSt15iterator_traitsIS12_E10value_typeET2_T3_PNS13_IS18_E10value_typeET4_jRbjT5_S1E_jjP12ihipStream_tbEUljE_ZNSN_ISO_Lb0ESQ_SR_ST_SU_SY_EESZ_S10_S11_S12_S16_S17_S18_S1B_S1C_jS1D_jS1E_S1E_jjS1G_bEUljE0_EEESZ_S10_S11_S18_S1C_S1E_T6_T7_T9_mT8_S1G_bDpT10_ENKUlT_T0_E_clISt17integral_constantIbLb0EES1T_IbLb1EEEEDaS1P_S1Q_EUlS1P_E_NS1_11comp_targetILNS1_3genE9ELNS1_11target_archE1100ELNS1_3gpuE3ELNS1_3repE0EEENS1_30default_config_static_selectorELNS0_4arch9wavefront6targetE0EEEvS12_
		.amdhsa_group_segment_fixed_size 0
		.amdhsa_private_segment_fixed_size 0
		.amdhsa_kernarg_size 184
		.amdhsa_user_sgpr_count 2
		.amdhsa_user_sgpr_dispatch_ptr 0
		.amdhsa_user_sgpr_queue_ptr 0
		.amdhsa_user_sgpr_kernarg_segment_ptr 1
		.amdhsa_user_sgpr_dispatch_id 0
		.amdhsa_user_sgpr_kernarg_preload_length 0
		.amdhsa_user_sgpr_kernarg_preload_offset 0
		.amdhsa_user_sgpr_private_segment_size 0
		.amdhsa_wavefront_size32 1
		.amdhsa_uses_dynamic_stack 0
		.amdhsa_enable_private_segment 0
		.amdhsa_system_sgpr_workgroup_id_x 1
		.amdhsa_system_sgpr_workgroup_id_y 0
		.amdhsa_system_sgpr_workgroup_id_z 0
		.amdhsa_system_sgpr_workgroup_info 0
		.amdhsa_system_vgpr_workitem_id 0
		.amdhsa_next_free_vgpr 1
		.amdhsa_next_free_sgpr 1
		.amdhsa_named_barrier_count 0
		.amdhsa_reserve_vcc 0
		.amdhsa_float_round_mode_32 0
		.amdhsa_float_round_mode_16_64 0
		.amdhsa_float_denorm_mode_32 3
		.amdhsa_float_denorm_mode_16_64 3
		.amdhsa_fp16_overflow 0
		.amdhsa_memory_ordered 1
		.amdhsa_forward_progress 1
		.amdhsa_inst_pref_size 0
		.amdhsa_round_robin_scheduling 0
		.amdhsa_exception_fp_ieee_invalid_op 0
		.amdhsa_exception_fp_denorm_src 0
		.amdhsa_exception_fp_ieee_div_zero 0
		.amdhsa_exception_fp_ieee_overflow 0
		.amdhsa_exception_fp_ieee_underflow 0
		.amdhsa_exception_fp_ieee_inexact 0
		.amdhsa_exception_int_div_zero 0
	.end_amdhsa_kernel
	.section	.text._ZN7rocprim17ROCPRIM_400000_NS6detail17trampoline_kernelINS0_13select_configILj256ELj13ELNS0_17block_load_methodE3ELS4_3ELS4_3ELNS0_20block_scan_algorithmE0ELj4294967295EEENS1_25partition_config_selectorILNS1_17partition_subalgoE4EjNS0_10empty_typeEbEEZZNS1_14partition_implILS8_4ELb0ES6_15HIP_vector_typeIjLj2EENS0_17counting_iteratorIjlEEPS9_SG_NS0_5tupleIJPjSI_NS0_16reverse_iteratorISI_EEEEENSH_IJSG_SG_SG_EEES9_SI_JZNS1_25segmented_radix_sort_implINS0_14default_configELb0EPKbPbPKlPlN2at6native12_GLOBAL__N_18offset_tEEE10hipError_tPvRmT1_PNSt15iterator_traitsIS12_E10value_typeET2_T3_PNS13_IS18_E10value_typeET4_jRbjT5_S1E_jjP12ihipStream_tbEUljE_ZNSN_ISO_Lb0ESQ_SR_ST_SU_SY_EESZ_S10_S11_S12_S16_S17_S18_S1B_S1C_jS1D_jS1E_S1E_jjS1G_bEUljE0_EEESZ_S10_S11_S18_S1C_S1E_T6_T7_T9_mT8_S1G_bDpT10_ENKUlT_T0_E_clISt17integral_constantIbLb0EES1T_IbLb1EEEEDaS1P_S1Q_EUlS1P_E_NS1_11comp_targetILNS1_3genE9ELNS1_11target_archE1100ELNS1_3gpuE3ELNS1_3repE0EEENS1_30default_config_static_selectorELNS0_4arch9wavefront6targetE0EEEvS12_,"axG",@progbits,_ZN7rocprim17ROCPRIM_400000_NS6detail17trampoline_kernelINS0_13select_configILj256ELj13ELNS0_17block_load_methodE3ELS4_3ELS4_3ELNS0_20block_scan_algorithmE0ELj4294967295EEENS1_25partition_config_selectorILNS1_17partition_subalgoE4EjNS0_10empty_typeEbEEZZNS1_14partition_implILS8_4ELb0ES6_15HIP_vector_typeIjLj2EENS0_17counting_iteratorIjlEEPS9_SG_NS0_5tupleIJPjSI_NS0_16reverse_iteratorISI_EEEEENSH_IJSG_SG_SG_EEES9_SI_JZNS1_25segmented_radix_sort_implINS0_14default_configELb0EPKbPbPKlPlN2at6native12_GLOBAL__N_18offset_tEEE10hipError_tPvRmT1_PNSt15iterator_traitsIS12_E10value_typeET2_T3_PNS13_IS18_E10value_typeET4_jRbjT5_S1E_jjP12ihipStream_tbEUljE_ZNSN_ISO_Lb0ESQ_SR_ST_SU_SY_EESZ_S10_S11_S12_S16_S17_S18_S1B_S1C_jS1D_jS1E_S1E_jjS1G_bEUljE0_EEESZ_S10_S11_S18_S1C_S1E_T6_T7_T9_mT8_S1G_bDpT10_ENKUlT_T0_E_clISt17integral_constantIbLb0EES1T_IbLb1EEEEDaS1P_S1Q_EUlS1P_E_NS1_11comp_targetILNS1_3genE9ELNS1_11target_archE1100ELNS1_3gpuE3ELNS1_3repE0EEENS1_30default_config_static_selectorELNS0_4arch9wavefront6targetE0EEEvS12_,comdat
.Lfunc_end1592:
	.size	_ZN7rocprim17ROCPRIM_400000_NS6detail17trampoline_kernelINS0_13select_configILj256ELj13ELNS0_17block_load_methodE3ELS4_3ELS4_3ELNS0_20block_scan_algorithmE0ELj4294967295EEENS1_25partition_config_selectorILNS1_17partition_subalgoE4EjNS0_10empty_typeEbEEZZNS1_14partition_implILS8_4ELb0ES6_15HIP_vector_typeIjLj2EENS0_17counting_iteratorIjlEEPS9_SG_NS0_5tupleIJPjSI_NS0_16reverse_iteratorISI_EEEEENSH_IJSG_SG_SG_EEES9_SI_JZNS1_25segmented_radix_sort_implINS0_14default_configELb0EPKbPbPKlPlN2at6native12_GLOBAL__N_18offset_tEEE10hipError_tPvRmT1_PNSt15iterator_traitsIS12_E10value_typeET2_T3_PNS13_IS18_E10value_typeET4_jRbjT5_S1E_jjP12ihipStream_tbEUljE_ZNSN_ISO_Lb0ESQ_SR_ST_SU_SY_EESZ_S10_S11_S12_S16_S17_S18_S1B_S1C_jS1D_jS1E_S1E_jjS1G_bEUljE0_EEESZ_S10_S11_S18_S1C_S1E_T6_T7_T9_mT8_S1G_bDpT10_ENKUlT_T0_E_clISt17integral_constantIbLb0EES1T_IbLb1EEEEDaS1P_S1Q_EUlS1P_E_NS1_11comp_targetILNS1_3genE9ELNS1_11target_archE1100ELNS1_3gpuE3ELNS1_3repE0EEENS1_30default_config_static_selectorELNS0_4arch9wavefront6targetE0EEEvS12_, .Lfunc_end1592-_ZN7rocprim17ROCPRIM_400000_NS6detail17trampoline_kernelINS0_13select_configILj256ELj13ELNS0_17block_load_methodE3ELS4_3ELS4_3ELNS0_20block_scan_algorithmE0ELj4294967295EEENS1_25partition_config_selectorILNS1_17partition_subalgoE4EjNS0_10empty_typeEbEEZZNS1_14partition_implILS8_4ELb0ES6_15HIP_vector_typeIjLj2EENS0_17counting_iteratorIjlEEPS9_SG_NS0_5tupleIJPjSI_NS0_16reverse_iteratorISI_EEEEENSH_IJSG_SG_SG_EEES9_SI_JZNS1_25segmented_radix_sort_implINS0_14default_configELb0EPKbPbPKlPlN2at6native12_GLOBAL__N_18offset_tEEE10hipError_tPvRmT1_PNSt15iterator_traitsIS12_E10value_typeET2_T3_PNS13_IS18_E10value_typeET4_jRbjT5_S1E_jjP12ihipStream_tbEUljE_ZNSN_ISO_Lb0ESQ_SR_ST_SU_SY_EESZ_S10_S11_S12_S16_S17_S18_S1B_S1C_jS1D_jS1E_S1E_jjS1G_bEUljE0_EEESZ_S10_S11_S18_S1C_S1E_T6_T7_T9_mT8_S1G_bDpT10_ENKUlT_T0_E_clISt17integral_constantIbLb0EES1T_IbLb1EEEEDaS1P_S1Q_EUlS1P_E_NS1_11comp_targetILNS1_3genE9ELNS1_11target_archE1100ELNS1_3gpuE3ELNS1_3repE0EEENS1_30default_config_static_selectorELNS0_4arch9wavefront6targetE0EEEvS12_
                                        ; -- End function
	.set _ZN7rocprim17ROCPRIM_400000_NS6detail17trampoline_kernelINS0_13select_configILj256ELj13ELNS0_17block_load_methodE3ELS4_3ELS4_3ELNS0_20block_scan_algorithmE0ELj4294967295EEENS1_25partition_config_selectorILNS1_17partition_subalgoE4EjNS0_10empty_typeEbEEZZNS1_14partition_implILS8_4ELb0ES6_15HIP_vector_typeIjLj2EENS0_17counting_iteratorIjlEEPS9_SG_NS0_5tupleIJPjSI_NS0_16reverse_iteratorISI_EEEEENSH_IJSG_SG_SG_EEES9_SI_JZNS1_25segmented_radix_sort_implINS0_14default_configELb0EPKbPbPKlPlN2at6native12_GLOBAL__N_18offset_tEEE10hipError_tPvRmT1_PNSt15iterator_traitsIS12_E10value_typeET2_T3_PNS13_IS18_E10value_typeET4_jRbjT5_S1E_jjP12ihipStream_tbEUljE_ZNSN_ISO_Lb0ESQ_SR_ST_SU_SY_EESZ_S10_S11_S12_S16_S17_S18_S1B_S1C_jS1D_jS1E_S1E_jjS1G_bEUljE0_EEESZ_S10_S11_S18_S1C_S1E_T6_T7_T9_mT8_S1G_bDpT10_ENKUlT_T0_E_clISt17integral_constantIbLb0EES1T_IbLb1EEEEDaS1P_S1Q_EUlS1P_E_NS1_11comp_targetILNS1_3genE9ELNS1_11target_archE1100ELNS1_3gpuE3ELNS1_3repE0EEENS1_30default_config_static_selectorELNS0_4arch9wavefront6targetE0EEEvS12_.num_vgpr, 0
	.set _ZN7rocprim17ROCPRIM_400000_NS6detail17trampoline_kernelINS0_13select_configILj256ELj13ELNS0_17block_load_methodE3ELS4_3ELS4_3ELNS0_20block_scan_algorithmE0ELj4294967295EEENS1_25partition_config_selectorILNS1_17partition_subalgoE4EjNS0_10empty_typeEbEEZZNS1_14partition_implILS8_4ELb0ES6_15HIP_vector_typeIjLj2EENS0_17counting_iteratorIjlEEPS9_SG_NS0_5tupleIJPjSI_NS0_16reverse_iteratorISI_EEEEENSH_IJSG_SG_SG_EEES9_SI_JZNS1_25segmented_radix_sort_implINS0_14default_configELb0EPKbPbPKlPlN2at6native12_GLOBAL__N_18offset_tEEE10hipError_tPvRmT1_PNSt15iterator_traitsIS12_E10value_typeET2_T3_PNS13_IS18_E10value_typeET4_jRbjT5_S1E_jjP12ihipStream_tbEUljE_ZNSN_ISO_Lb0ESQ_SR_ST_SU_SY_EESZ_S10_S11_S12_S16_S17_S18_S1B_S1C_jS1D_jS1E_S1E_jjS1G_bEUljE0_EEESZ_S10_S11_S18_S1C_S1E_T6_T7_T9_mT8_S1G_bDpT10_ENKUlT_T0_E_clISt17integral_constantIbLb0EES1T_IbLb1EEEEDaS1P_S1Q_EUlS1P_E_NS1_11comp_targetILNS1_3genE9ELNS1_11target_archE1100ELNS1_3gpuE3ELNS1_3repE0EEENS1_30default_config_static_selectorELNS0_4arch9wavefront6targetE0EEEvS12_.num_agpr, 0
	.set _ZN7rocprim17ROCPRIM_400000_NS6detail17trampoline_kernelINS0_13select_configILj256ELj13ELNS0_17block_load_methodE3ELS4_3ELS4_3ELNS0_20block_scan_algorithmE0ELj4294967295EEENS1_25partition_config_selectorILNS1_17partition_subalgoE4EjNS0_10empty_typeEbEEZZNS1_14partition_implILS8_4ELb0ES6_15HIP_vector_typeIjLj2EENS0_17counting_iteratorIjlEEPS9_SG_NS0_5tupleIJPjSI_NS0_16reverse_iteratorISI_EEEEENSH_IJSG_SG_SG_EEES9_SI_JZNS1_25segmented_radix_sort_implINS0_14default_configELb0EPKbPbPKlPlN2at6native12_GLOBAL__N_18offset_tEEE10hipError_tPvRmT1_PNSt15iterator_traitsIS12_E10value_typeET2_T3_PNS13_IS18_E10value_typeET4_jRbjT5_S1E_jjP12ihipStream_tbEUljE_ZNSN_ISO_Lb0ESQ_SR_ST_SU_SY_EESZ_S10_S11_S12_S16_S17_S18_S1B_S1C_jS1D_jS1E_S1E_jjS1G_bEUljE0_EEESZ_S10_S11_S18_S1C_S1E_T6_T7_T9_mT8_S1G_bDpT10_ENKUlT_T0_E_clISt17integral_constantIbLb0EES1T_IbLb1EEEEDaS1P_S1Q_EUlS1P_E_NS1_11comp_targetILNS1_3genE9ELNS1_11target_archE1100ELNS1_3gpuE3ELNS1_3repE0EEENS1_30default_config_static_selectorELNS0_4arch9wavefront6targetE0EEEvS12_.numbered_sgpr, 0
	.set _ZN7rocprim17ROCPRIM_400000_NS6detail17trampoline_kernelINS0_13select_configILj256ELj13ELNS0_17block_load_methodE3ELS4_3ELS4_3ELNS0_20block_scan_algorithmE0ELj4294967295EEENS1_25partition_config_selectorILNS1_17partition_subalgoE4EjNS0_10empty_typeEbEEZZNS1_14partition_implILS8_4ELb0ES6_15HIP_vector_typeIjLj2EENS0_17counting_iteratorIjlEEPS9_SG_NS0_5tupleIJPjSI_NS0_16reverse_iteratorISI_EEEEENSH_IJSG_SG_SG_EEES9_SI_JZNS1_25segmented_radix_sort_implINS0_14default_configELb0EPKbPbPKlPlN2at6native12_GLOBAL__N_18offset_tEEE10hipError_tPvRmT1_PNSt15iterator_traitsIS12_E10value_typeET2_T3_PNS13_IS18_E10value_typeET4_jRbjT5_S1E_jjP12ihipStream_tbEUljE_ZNSN_ISO_Lb0ESQ_SR_ST_SU_SY_EESZ_S10_S11_S12_S16_S17_S18_S1B_S1C_jS1D_jS1E_S1E_jjS1G_bEUljE0_EEESZ_S10_S11_S18_S1C_S1E_T6_T7_T9_mT8_S1G_bDpT10_ENKUlT_T0_E_clISt17integral_constantIbLb0EES1T_IbLb1EEEEDaS1P_S1Q_EUlS1P_E_NS1_11comp_targetILNS1_3genE9ELNS1_11target_archE1100ELNS1_3gpuE3ELNS1_3repE0EEENS1_30default_config_static_selectorELNS0_4arch9wavefront6targetE0EEEvS12_.num_named_barrier, 0
	.set _ZN7rocprim17ROCPRIM_400000_NS6detail17trampoline_kernelINS0_13select_configILj256ELj13ELNS0_17block_load_methodE3ELS4_3ELS4_3ELNS0_20block_scan_algorithmE0ELj4294967295EEENS1_25partition_config_selectorILNS1_17partition_subalgoE4EjNS0_10empty_typeEbEEZZNS1_14partition_implILS8_4ELb0ES6_15HIP_vector_typeIjLj2EENS0_17counting_iteratorIjlEEPS9_SG_NS0_5tupleIJPjSI_NS0_16reverse_iteratorISI_EEEEENSH_IJSG_SG_SG_EEES9_SI_JZNS1_25segmented_radix_sort_implINS0_14default_configELb0EPKbPbPKlPlN2at6native12_GLOBAL__N_18offset_tEEE10hipError_tPvRmT1_PNSt15iterator_traitsIS12_E10value_typeET2_T3_PNS13_IS18_E10value_typeET4_jRbjT5_S1E_jjP12ihipStream_tbEUljE_ZNSN_ISO_Lb0ESQ_SR_ST_SU_SY_EESZ_S10_S11_S12_S16_S17_S18_S1B_S1C_jS1D_jS1E_S1E_jjS1G_bEUljE0_EEESZ_S10_S11_S18_S1C_S1E_T6_T7_T9_mT8_S1G_bDpT10_ENKUlT_T0_E_clISt17integral_constantIbLb0EES1T_IbLb1EEEEDaS1P_S1Q_EUlS1P_E_NS1_11comp_targetILNS1_3genE9ELNS1_11target_archE1100ELNS1_3gpuE3ELNS1_3repE0EEENS1_30default_config_static_selectorELNS0_4arch9wavefront6targetE0EEEvS12_.private_seg_size, 0
	.set _ZN7rocprim17ROCPRIM_400000_NS6detail17trampoline_kernelINS0_13select_configILj256ELj13ELNS0_17block_load_methodE3ELS4_3ELS4_3ELNS0_20block_scan_algorithmE0ELj4294967295EEENS1_25partition_config_selectorILNS1_17partition_subalgoE4EjNS0_10empty_typeEbEEZZNS1_14partition_implILS8_4ELb0ES6_15HIP_vector_typeIjLj2EENS0_17counting_iteratorIjlEEPS9_SG_NS0_5tupleIJPjSI_NS0_16reverse_iteratorISI_EEEEENSH_IJSG_SG_SG_EEES9_SI_JZNS1_25segmented_radix_sort_implINS0_14default_configELb0EPKbPbPKlPlN2at6native12_GLOBAL__N_18offset_tEEE10hipError_tPvRmT1_PNSt15iterator_traitsIS12_E10value_typeET2_T3_PNS13_IS18_E10value_typeET4_jRbjT5_S1E_jjP12ihipStream_tbEUljE_ZNSN_ISO_Lb0ESQ_SR_ST_SU_SY_EESZ_S10_S11_S12_S16_S17_S18_S1B_S1C_jS1D_jS1E_S1E_jjS1G_bEUljE0_EEESZ_S10_S11_S18_S1C_S1E_T6_T7_T9_mT8_S1G_bDpT10_ENKUlT_T0_E_clISt17integral_constantIbLb0EES1T_IbLb1EEEEDaS1P_S1Q_EUlS1P_E_NS1_11comp_targetILNS1_3genE9ELNS1_11target_archE1100ELNS1_3gpuE3ELNS1_3repE0EEENS1_30default_config_static_selectorELNS0_4arch9wavefront6targetE0EEEvS12_.uses_vcc, 0
	.set _ZN7rocprim17ROCPRIM_400000_NS6detail17trampoline_kernelINS0_13select_configILj256ELj13ELNS0_17block_load_methodE3ELS4_3ELS4_3ELNS0_20block_scan_algorithmE0ELj4294967295EEENS1_25partition_config_selectorILNS1_17partition_subalgoE4EjNS0_10empty_typeEbEEZZNS1_14partition_implILS8_4ELb0ES6_15HIP_vector_typeIjLj2EENS0_17counting_iteratorIjlEEPS9_SG_NS0_5tupleIJPjSI_NS0_16reverse_iteratorISI_EEEEENSH_IJSG_SG_SG_EEES9_SI_JZNS1_25segmented_radix_sort_implINS0_14default_configELb0EPKbPbPKlPlN2at6native12_GLOBAL__N_18offset_tEEE10hipError_tPvRmT1_PNSt15iterator_traitsIS12_E10value_typeET2_T3_PNS13_IS18_E10value_typeET4_jRbjT5_S1E_jjP12ihipStream_tbEUljE_ZNSN_ISO_Lb0ESQ_SR_ST_SU_SY_EESZ_S10_S11_S12_S16_S17_S18_S1B_S1C_jS1D_jS1E_S1E_jjS1G_bEUljE0_EEESZ_S10_S11_S18_S1C_S1E_T6_T7_T9_mT8_S1G_bDpT10_ENKUlT_T0_E_clISt17integral_constantIbLb0EES1T_IbLb1EEEEDaS1P_S1Q_EUlS1P_E_NS1_11comp_targetILNS1_3genE9ELNS1_11target_archE1100ELNS1_3gpuE3ELNS1_3repE0EEENS1_30default_config_static_selectorELNS0_4arch9wavefront6targetE0EEEvS12_.uses_flat_scratch, 0
	.set _ZN7rocprim17ROCPRIM_400000_NS6detail17trampoline_kernelINS0_13select_configILj256ELj13ELNS0_17block_load_methodE3ELS4_3ELS4_3ELNS0_20block_scan_algorithmE0ELj4294967295EEENS1_25partition_config_selectorILNS1_17partition_subalgoE4EjNS0_10empty_typeEbEEZZNS1_14partition_implILS8_4ELb0ES6_15HIP_vector_typeIjLj2EENS0_17counting_iteratorIjlEEPS9_SG_NS0_5tupleIJPjSI_NS0_16reverse_iteratorISI_EEEEENSH_IJSG_SG_SG_EEES9_SI_JZNS1_25segmented_radix_sort_implINS0_14default_configELb0EPKbPbPKlPlN2at6native12_GLOBAL__N_18offset_tEEE10hipError_tPvRmT1_PNSt15iterator_traitsIS12_E10value_typeET2_T3_PNS13_IS18_E10value_typeET4_jRbjT5_S1E_jjP12ihipStream_tbEUljE_ZNSN_ISO_Lb0ESQ_SR_ST_SU_SY_EESZ_S10_S11_S12_S16_S17_S18_S1B_S1C_jS1D_jS1E_S1E_jjS1G_bEUljE0_EEESZ_S10_S11_S18_S1C_S1E_T6_T7_T9_mT8_S1G_bDpT10_ENKUlT_T0_E_clISt17integral_constantIbLb0EES1T_IbLb1EEEEDaS1P_S1Q_EUlS1P_E_NS1_11comp_targetILNS1_3genE9ELNS1_11target_archE1100ELNS1_3gpuE3ELNS1_3repE0EEENS1_30default_config_static_selectorELNS0_4arch9wavefront6targetE0EEEvS12_.has_dyn_sized_stack, 0
	.set _ZN7rocprim17ROCPRIM_400000_NS6detail17trampoline_kernelINS0_13select_configILj256ELj13ELNS0_17block_load_methodE3ELS4_3ELS4_3ELNS0_20block_scan_algorithmE0ELj4294967295EEENS1_25partition_config_selectorILNS1_17partition_subalgoE4EjNS0_10empty_typeEbEEZZNS1_14partition_implILS8_4ELb0ES6_15HIP_vector_typeIjLj2EENS0_17counting_iteratorIjlEEPS9_SG_NS0_5tupleIJPjSI_NS0_16reverse_iteratorISI_EEEEENSH_IJSG_SG_SG_EEES9_SI_JZNS1_25segmented_radix_sort_implINS0_14default_configELb0EPKbPbPKlPlN2at6native12_GLOBAL__N_18offset_tEEE10hipError_tPvRmT1_PNSt15iterator_traitsIS12_E10value_typeET2_T3_PNS13_IS18_E10value_typeET4_jRbjT5_S1E_jjP12ihipStream_tbEUljE_ZNSN_ISO_Lb0ESQ_SR_ST_SU_SY_EESZ_S10_S11_S12_S16_S17_S18_S1B_S1C_jS1D_jS1E_S1E_jjS1G_bEUljE0_EEESZ_S10_S11_S18_S1C_S1E_T6_T7_T9_mT8_S1G_bDpT10_ENKUlT_T0_E_clISt17integral_constantIbLb0EES1T_IbLb1EEEEDaS1P_S1Q_EUlS1P_E_NS1_11comp_targetILNS1_3genE9ELNS1_11target_archE1100ELNS1_3gpuE3ELNS1_3repE0EEENS1_30default_config_static_selectorELNS0_4arch9wavefront6targetE0EEEvS12_.has_recursion, 0
	.set _ZN7rocprim17ROCPRIM_400000_NS6detail17trampoline_kernelINS0_13select_configILj256ELj13ELNS0_17block_load_methodE3ELS4_3ELS4_3ELNS0_20block_scan_algorithmE0ELj4294967295EEENS1_25partition_config_selectorILNS1_17partition_subalgoE4EjNS0_10empty_typeEbEEZZNS1_14partition_implILS8_4ELb0ES6_15HIP_vector_typeIjLj2EENS0_17counting_iteratorIjlEEPS9_SG_NS0_5tupleIJPjSI_NS0_16reverse_iteratorISI_EEEEENSH_IJSG_SG_SG_EEES9_SI_JZNS1_25segmented_radix_sort_implINS0_14default_configELb0EPKbPbPKlPlN2at6native12_GLOBAL__N_18offset_tEEE10hipError_tPvRmT1_PNSt15iterator_traitsIS12_E10value_typeET2_T3_PNS13_IS18_E10value_typeET4_jRbjT5_S1E_jjP12ihipStream_tbEUljE_ZNSN_ISO_Lb0ESQ_SR_ST_SU_SY_EESZ_S10_S11_S12_S16_S17_S18_S1B_S1C_jS1D_jS1E_S1E_jjS1G_bEUljE0_EEESZ_S10_S11_S18_S1C_S1E_T6_T7_T9_mT8_S1G_bDpT10_ENKUlT_T0_E_clISt17integral_constantIbLb0EES1T_IbLb1EEEEDaS1P_S1Q_EUlS1P_E_NS1_11comp_targetILNS1_3genE9ELNS1_11target_archE1100ELNS1_3gpuE3ELNS1_3repE0EEENS1_30default_config_static_selectorELNS0_4arch9wavefront6targetE0EEEvS12_.has_indirect_call, 0
	.section	.AMDGPU.csdata,"",@progbits
; Kernel info:
; codeLenInByte = 0
; TotalNumSgprs: 0
; NumVgprs: 0
; ScratchSize: 0
; MemoryBound: 0
; FloatMode: 240
; IeeeMode: 1
; LDSByteSize: 0 bytes/workgroup (compile time only)
; SGPRBlocks: 0
; VGPRBlocks: 0
; NumSGPRsForWavesPerEU: 1
; NumVGPRsForWavesPerEU: 1
; NamedBarCnt: 0
; Occupancy: 16
; WaveLimiterHint : 0
; COMPUTE_PGM_RSRC2:SCRATCH_EN: 0
; COMPUTE_PGM_RSRC2:USER_SGPR: 2
; COMPUTE_PGM_RSRC2:TRAP_HANDLER: 0
; COMPUTE_PGM_RSRC2:TGID_X_EN: 1
; COMPUTE_PGM_RSRC2:TGID_Y_EN: 0
; COMPUTE_PGM_RSRC2:TGID_Z_EN: 0
; COMPUTE_PGM_RSRC2:TIDIG_COMP_CNT: 0
	.section	.text._ZN7rocprim17ROCPRIM_400000_NS6detail17trampoline_kernelINS0_13select_configILj256ELj13ELNS0_17block_load_methodE3ELS4_3ELS4_3ELNS0_20block_scan_algorithmE0ELj4294967295EEENS1_25partition_config_selectorILNS1_17partition_subalgoE4EjNS0_10empty_typeEbEEZZNS1_14partition_implILS8_4ELb0ES6_15HIP_vector_typeIjLj2EENS0_17counting_iteratorIjlEEPS9_SG_NS0_5tupleIJPjSI_NS0_16reverse_iteratorISI_EEEEENSH_IJSG_SG_SG_EEES9_SI_JZNS1_25segmented_radix_sort_implINS0_14default_configELb0EPKbPbPKlPlN2at6native12_GLOBAL__N_18offset_tEEE10hipError_tPvRmT1_PNSt15iterator_traitsIS12_E10value_typeET2_T3_PNS13_IS18_E10value_typeET4_jRbjT5_S1E_jjP12ihipStream_tbEUljE_ZNSN_ISO_Lb0ESQ_SR_ST_SU_SY_EESZ_S10_S11_S12_S16_S17_S18_S1B_S1C_jS1D_jS1E_S1E_jjS1G_bEUljE0_EEESZ_S10_S11_S18_S1C_S1E_T6_T7_T9_mT8_S1G_bDpT10_ENKUlT_T0_E_clISt17integral_constantIbLb0EES1T_IbLb1EEEEDaS1P_S1Q_EUlS1P_E_NS1_11comp_targetILNS1_3genE8ELNS1_11target_archE1030ELNS1_3gpuE2ELNS1_3repE0EEENS1_30default_config_static_selectorELNS0_4arch9wavefront6targetE0EEEvS12_,"axG",@progbits,_ZN7rocprim17ROCPRIM_400000_NS6detail17trampoline_kernelINS0_13select_configILj256ELj13ELNS0_17block_load_methodE3ELS4_3ELS4_3ELNS0_20block_scan_algorithmE0ELj4294967295EEENS1_25partition_config_selectorILNS1_17partition_subalgoE4EjNS0_10empty_typeEbEEZZNS1_14partition_implILS8_4ELb0ES6_15HIP_vector_typeIjLj2EENS0_17counting_iteratorIjlEEPS9_SG_NS0_5tupleIJPjSI_NS0_16reverse_iteratorISI_EEEEENSH_IJSG_SG_SG_EEES9_SI_JZNS1_25segmented_radix_sort_implINS0_14default_configELb0EPKbPbPKlPlN2at6native12_GLOBAL__N_18offset_tEEE10hipError_tPvRmT1_PNSt15iterator_traitsIS12_E10value_typeET2_T3_PNS13_IS18_E10value_typeET4_jRbjT5_S1E_jjP12ihipStream_tbEUljE_ZNSN_ISO_Lb0ESQ_SR_ST_SU_SY_EESZ_S10_S11_S12_S16_S17_S18_S1B_S1C_jS1D_jS1E_S1E_jjS1G_bEUljE0_EEESZ_S10_S11_S18_S1C_S1E_T6_T7_T9_mT8_S1G_bDpT10_ENKUlT_T0_E_clISt17integral_constantIbLb0EES1T_IbLb1EEEEDaS1P_S1Q_EUlS1P_E_NS1_11comp_targetILNS1_3genE8ELNS1_11target_archE1030ELNS1_3gpuE2ELNS1_3repE0EEENS1_30default_config_static_selectorELNS0_4arch9wavefront6targetE0EEEvS12_,comdat
	.globl	_ZN7rocprim17ROCPRIM_400000_NS6detail17trampoline_kernelINS0_13select_configILj256ELj13ELNS0_17block_load_methodE3ELS4_3ELS4_3ELNS0_20block_scan_algorithmE0ELj4294967295EEENS1_25partition_config_selectorILNS1_17partition_subalgoE4EjNS0_10empty_typeEbEEZZNS1_14partition_implILS8_4ELb0ES6_15HIP_vector_typeIjLj2EENS0_17counting_iteratorIjlEEPS9_SG_NS0_5tupleIJPjSI_NS0_16reverse_iteratorISI_EEEEENSH_IJSG_SG_SG_EEES9_SI_JZNS1_25segmented_radix_sort_implINS0_14default_configELb0EPKbPbPKlPlN2at6native12_GLOBAL__N_18offset_tEEE10hipError_tPvRmT1_PNSt15iterator_traitsIS12_E10value_typeET2_T3_PNS13_IS18_E10value_typeET4_jRbjT5_S1E_jjP12ihipStream_tbEUljE_ZNSN_ISO_Lb0ESQ_SR_ST_SU_SY_EESZ_S10_S11_S12_S16_S17_S18_S1B_S1C_jS1D_jS1E_S1E_jjS1G_bEUljE0_EEESZ_S10_S11_S18_S1C_S1E_T6_T7_T9_mT8_S1G_bDpT10_ENKUlT_T0_E_clISt17integral_constantIbLb0EES1T_IbLb1EEEEDaS1P_S1Q_EUlS1P_E_NS1_11comp_targetILNS1_3genE8ELNS1_11target_archE1030ELNS1_3gpuE2ELNS1_3repE0EEENS1_30default_config_static_selectorELNS0_4arch9wavefront6targetE0EEEvS12_ ; -- Begin function _ZN7rocprim17ROCPRIM_400000_NS6detail17trampoline_kernelINS0_13select_configILj256ELj13ELNS0_17block_load_methodE3ELS4_3ELS4_3ELNS0_20block_scan_algorithmE0ELj4294967295EEENS1_25partition_config_selectorILNS1_17partition_subalgoE4EjNS0_10empty_typeEbEEZZNS1_14partition_implILS8_4ELb0ES6_15HIP_vector_typeIjLj2EENS0_17counting_iteratorIjlEEPS9_SG_NS0_5tupleIJPjSI_NS0_16reverse_iteratorISI_EEEEENSH_IJSG_SG_SG_EEES9_SI_JZNS1_25segmented_radix_sort_implINS0_14default_configELb0EPKbPbPKlPlN2at6native12_GLOBAL__N_18offset_tEEE10hipError_tPvRmT1_PNSt15iterator_traitsIS12_E10value_typeET2_T3_PNS13_IS18_E10value_typeET4_jRbjT5_S1E_jjP12ihipStream_tbEUljE_ZNSN_ISO_Lb0ESQ_SR_ST_SU_SY_EESZ_S10_S11_S12_S16_S17_S18_S1B_S1C_jS1D_jS1E_S1E_jjS1G_bEUljE0_EEESZ_S10_S11_S18_S1C_S1E_T6_T7_T9_mT8_S1G_bDpT10_ENKUlT_T0_E_clISt17integral_constantIbLb0EES1T_IbLb1EEEEDaS1P_S1Q_EUlS1P_E_NS1_11comp_targetILNS1_3genE8ELNS1_11target_archE1030ELNS1_3gpuE2ELNS1_3repE0EEENS1_30default_config_static_selectorELNS0_4arch9wavefront6targetE0EEEvS12_
	.p2align	8
	.type	_ZN7rocprim17ROCPRIM_400000_NS6detail17trampoline_kernelINS0_13select_configILj256ELj13ELNS0_17block_load_methodE3ELS4_3ELS4_3ELNS0_20block_scan_algorithmE0ELj4294967295EEENS1_25partition_config_selectorILNS1_17partition_subalgoE4EjNS0_10empty_typeEbEEZZNS1_14partition_implILS8_4ELb0ES6_15HIP_vector_typeIjLj2EENS0_17counting_iteratorIjlEEPS9_SG_NS0_5tupleIJPjSI_NS0_16reverse_iteratorISI_EEEEENSH_IJSG_SG_SG_EEES9_SI_JZNS1_25segmented_radix_sort_implINS0_14default_configELb0EPKbPbPKlPlN2at6native12_GLOBAL__N_18offset_tEEE10hipError_tPvRmT1_PNSt15iterator_traitsIS12_E10value_typeET2_T3_PNS13_IS18_E10value_typeET4_jRbjT5_S1E_jjP12ihipStream_tbEUljE_ZNSN_ISO_Lb0ESQ_SR_ST_SU_SY_EESZ_S10_S11_S12_S16_S17_S18_S1B_S1C_jS1D_jS1E_S1E_jjS1G_bEUljE0_EEESZ_S10_S11_S18_S1C_S1E_T6_T7_T9_mT8_S1G_bDpT10_ENKUlT_T0_E_clISt17integral_constantIbLb0EES1T_IbLb1EEEEDaS1P_S1Q_EUlS1P_E_NS1_11comp_targetILNS1_3genE8ELNS1_11target_archE1030ELNS1_3gpuE2ELNS1_3repE0EEENS1_30default_config_static_selectorELNS0_4arch9wavefront6targetE0EEEvS12_,@function
_ZN7rocprim17ROCPRIM_400000_NS6detail17trampoline_kernelINS0_13select_configILj256ELj13ELNS0_17block_load_methodE3ELS4_3ELS4_3ELNS0_20block_scan_algorithmE0ELj4294967295EEENS1_25partition_config_selectorILNS1_17partition_subalgoE4EjNS0_10empty_typeEbEEZZNS1_14partition_implILS8_4ELb0ES6_15HIP_vector_typeIjLj2EENS0_17counting_iteratorIjlEEPS9_SG_NS0_5tupleIJPjSI_NS0_16reverse_iteratorISI_EEEEENSH_IJSG_SG_SG_EEES9_SI_JZNS1_25segmented_radix_sort_implINS0_14default_configELb0EPKbPbPKlPlN2at6native12_GLOBAL__N_18offset_tEEE10hipError_tPvRmT1_PNSt15iterator_traitsIS12_E10value_typeET2_T3_PNS13_IS18_E10value_typeET4_jRbjT5_S1E_jjP12ihipStream_tbEUljE_ZNSN_ISO_Lb0ESQ_SR_ST_SU_SY_EESZ_S10_S11_S12_S16_S17_S18_S1B_S1C_jS1D_jS1E_S1E_jjS1G_bEUljE0_EEESZ_S10_S11_S18_S1C_S1E_T6_T7_T9_mT8_S1G_bDpT10_ENKUlT_T0_E_clISt17integral_constantIbLb0EES1T_IbLb1EEEEDaS1P_S1Q_EUlS1P_E_NS1_11comp_targetILNS1_3genE8ELNS1_11target_archE1030ELNS1_3gpuE2ELNS1_3repE0EEENS1_30default_config_static_selectorELNS0_4arch9wavefront6targetE0EEEvS12_: ; @_ZN7rocprim17ROCPRIM_400000_NS6detail17trampoline_kernelINS0_13select_configILj256ELj13ELNS0_17block_load_methodE3ELS4_3ELS4_3ELNS0_20block_scan_algorithmE0ELj4294967295EEENS1_25partition_config_selectorILNS1_17partition_subalgoE4EjNS0_10empty_typeEbEEZZNS1_14partition_implILS8_4ELb0ES6_15HIP_vector_typeIjLj2EENS0_17counting_iteratorIjlEEPS9_SG_NS0_5tupleIJPjSI_NS0_16reverse_iteratorISI_EEEEENSH_IJSG_SG_SG_EEES9_SI_JZNS1_25segmented_radix_sort_implINS0_14default_configELb0EPKbPbPKlPlN2at6native12_GLOBAL__N_18offset_tEEE10hipError_tPvRmT1_PNSt15iterator_traitsIS12_E10value_typeET2_T3_PNS13_IS18_E10value_typeET4_jRbjT5_S1E_jjP12ihipStream_tbEUljE_ZNSN_ISO_Lb0ESQ_SR_ST_SU_SY_EESZ_S10_S11_S12_S16_S17_S18_S1B_S1C_jS1D_jS1E_S1E_jjS1G_bEUljE0_EEESZ_S10_S11_S18_S1C_S1E_T6_T7_T9_mT8_S1G_bDpT10_ENKUlT_T0_E_clISt17integral_constantIbLb0EES1T_IbLb1EEEEDaS1P_S1Q_EUlS1P_E_NS1_11comp_targetILNS1_3genE8ELNS1_11target_archE1030ELNS1_3gpuE2ELNS1_3repE0EEENS1_30default_config_static_selectorELNS0_4arch9wavefront6targetE0EEEvS12_
; %bb.0:
	.section	.rodata,"a",@progbits
	.p2align	6, 0x0
	.amdhsa_kernel _ZN7rocprim17ROCPRIM_400000_NS6detail17trampoline_kernelINS0_13select_configILj256ELj13ELNS0_17block_load_methodE3ELS4_3ELS4_3ELNS0_20block_scan_algorithmE0ELj4294967295EEENS1_25partition_config_selectorILNS1_17partition_subalgoE4EjNS0_10empty_typeEbEEZZNS1_14partition_implILS8_4ELb0ES6_15HIP_vector_typeIjLj2EENS0_17counting_iteratorIjlEEPS9_SG_NS0_5tupleIJPjSI_NS0_16reverse_iteratorISI_EEEEENSH_IJSG_SG_SG_EEES9_SI_JZNS1_25segmented_radix_sort_implINS0_14default_configELb0EPKbPbPKlPlN2at6native12_GLOBAL__N_18offset_tEEE10hipError_tPvRmT1_PNSt15iterator_traitsIS12_E10value_typeET2_T3_PNS13_IS18_E10value_typeET4_jRbjT5_S1E_jjP12ihipStream_tbEUljE_ZNSN_ISO_Lb0ESQ_SR_ST_SU_SY_EESZ_S10_S11_S12_S16_S17_S18_S1B_S1C_jS1D_jS1E_S1E_jjS1G_bEUljE0_EEESZ_S10_S11_S18_S1C_S1E_T6_T7_T9_mT8_S1G_bDpT10_ENKUlT_T0_E_clISt17integral_constantIbLb0EES1T_IbLb1EEEEDaS1P_S1Q_EUlS1P_E_NS1_11comp_targetILNS1_3genE8ELNS1_11target_archE1030ELNS1_3gpuE2ELNS1_3repE0EEENS1_30default_config_static_selectorELNS0_4arch9wavefront6targetE0EEEvS12_
		.amdhsa_group_segment_fixed_size 0
		.amdhsa_private_segment_fixed_size 0
		.amdhsa_kernarg_size 184
		.amdhsa_user_sgpr_count 2
		.amdhsa_user_sgpr_dispatch_ptr 0
		.amdhsa_user_sgpr_queue_ptr 0
		.amdhsa_user_sgpr_kernarg_segment_ptr 1
		.amdhsa_user_sgpr_dispatch_id 0
		.amdhsa_user_sgpr_kernarg_preload_length 0
		.amdhsa_user_sgpr_kernarg_preload_offset 0
		.amdhsa_user_sgpr_private_segment_size 0
		.amdhsa_wavefront_size32 1
		.amdhsa_uses_dynamic_stack 0
		.amdhsa_enable_private_segment 0
		.amdhsa_system_sgpr_workgroup_id_x 1
		.amdhsa_system_sgpr_workgroup_id_y 0
		.amdhsa_system_sgpr_workgroup_id_z 0
		.amdhsa_system_sgpr_workgroup_info 0
		.amdhsa_system_vgpr_workitem_id 0
		.amdhsa_next_free_vgpr 1
		.amdhsa_next_free_sgpr 1
		.amdhsa_named_barrier_count 0
		.amdhsa_reserve_vcc 0
		.amdhsa_float_round_mode_32 0
		.amdhsa_float_round_mode_16_64 0
		.amdhsa_float_denorm_mode_32 3
		.amdhsa_float_denorm_mode_16_64 3
		.amdhsa_fp16_overflow 0
		.amdhsa_memory_ordered 1
		.amdhsa_forward_progress 1
		.amdhsa_inst_pref_size 0
		.amdhsa_round_robin_scheduling 0
		.amdhsa_exception_fp_ieee_invalid_op 0
		.amdhsa_exception_fp_denorm_src 0
		.amdhsa_exception_fp_ieee_div_zero 0
		.amdhsa_exception_fp_ieee_overflow 0
		.amdhsa_exception_fp_ieee_underflow 0
		.amdhsa_exception_fp_ieee_inexact 0
		.amdhsa_exception_int_div_zero 0
	.end_amdhsa_kernel
	.section	.text._ZN7rocprim17ROCPRIM_400000_NS6detail17trampoline_kernelINS0_13select_configILj256ELj13ELNS0_17block_load_methodE3ELS4_3ELS4_3ELNS0_20block_scan_algorithmE0ELj4294967295EEENS1_25partition_config_selectorILNS1_17partition_subalgoE4EjNS0_10empty_typeEbEEZZNS1_14partition_implILS8_4ELb0ES6_15HIP_vector_typeIjLj2EENS0_17counting_iteratorIjlEEPS9_SG_NS0_5tupleIJPjSI_NS0_16reverse_iteratorISI_EEEEENSH_IJSG_SG_SG_EEES9_SI_JZNS1_25segmented_radix_sort_implINS0_14default_configELb0EPKbPbPKlPlN2at6native12_GLOBAL__N_18offset_tEEE10hipError_tPvRmT1_PNSt15iterator_traitsIS12_E10value_typeET2_T3_PNS13_IS18_E10value_typeET4_jRbjT5_S1E_jjP12ihipStream_tbEUljE_ZNSN_ISO_Lb0ESQ_SR_ST_SU_SY_EESZ_S10_S11_S12_S16_S17_S18_S1B_S1C_jS1D_jS1E_S1E_jjS1G_bEUljE0_EEESZ_S10_S11_S18_S1C_S1E_T6_T7_T9_mT8_S1G_bDpT10_ENKUlT_T0_E_clISt17integral_constantIbLb0EES1T_IbLb1EEEEDaS1P_S1Q_EUlS1P_E_NS1_11comp_targetILNS1_3genE8ELNS1_11target_archE1030ELNS1_3gpuE2ELNS1_3repE0EEENS1_30default_config_static_selectorELNS0_4arch9wavefront6targetE0EEEvS12_,"axG",@progbits,_ZN7rocprim17ROCPRIM_400000_NS6detail17trampoline_kernelINS0_13select_configILj256ELj13ELNS0_17block_load_methodE3ELS4_3ELS4_3ELNS0_20block_scan_algorithmE0ELj4294967295EEENS1_25partition_config_selectorILNS1_17partition_subalgoE4EjNS0_10empty_typeEbEEZZNS1_14partition_implILS8_4ELb0ES6_15HIP_vector_typeIjLj2EENS0_17counting_iteratorIjlEEPS9_SG_NS0_5tupleIJPjSI_NS0_16reverse_iteratorISI_EEEEENSH_IJSG_SG_SG_EEES9_SI_JZNS1_25segmented_radix_sort_implINS0_14default_configELb0EPKbPbPKlPlN2at6native12_GLOBAL__N_18offset_tEEE10hipError_tPvRmT1_PNSt15iterator_traitsIS12_E10value_typeET2_T3_PNS13_IS18_E10value_typeET4_jRbjT5_S1E_jjP12ihipStream_tbEUljE_ZNSN_ISO_Lb0ESQ_SR_ST_SU_SY_EESZ_S10_S11_S12_S16_S17_S18_S1B_S1C_jS1D_jS1E_S1E_jjS1G_bEUljE0_EEESZ_S10_S11_S18_S1C_S1E_T6_T7_T9_mT8_S1G_bDpT10_ENKUlT_T0_E_clISt17integral_constantIbLb0EES1T_IbLb1EEEEDaS1P_S1Q_EUlS1P_E_NS1_11comp_targetILNS1_3genE8ELNS1_11target_archE1030ELNS1_3gpuE2ELNS1_3repE0EEENS1_30default_config_static_selectorELNS0_4arch9wavefront6targetE0EEEvS12_,comdat
.Lfunc_end1593:
	.size	_ZN7rocprim17ROCPRIM_400000_NS6detail17trampoline_kernelINS0_13select_configILj256ELj13ELNS0_17block_load_methodE3ELS4_3ELS4_3ELNS0_20block_scan_algorithmE0ELj4294967295EEENS1_25partition_config_selectorILNS1_17partition_subalgoE4EjNS0_10empty_typeEbEEZZNS1_14partition_implILS8_4ELb0ES6_15HIP_vector_typeIjLj2EENS0_17counting_iteratorIjlEEPS9_SG_NS0_5tupleIJPjSI_NS0_16reverse_iteratorISI_EEEEENSH_IJSG_SG_SG_EEES9_SI_JZNS1_25segmented_radix_sort_implINS0_14default_configELb0EPKbPbPKlPlN2at6native12_GLOBAL__N_18offset_tEEE10hipError_tPvRmT1_PNSt15iterator_traitsIS12_E10value_typeET2_T3_PNS13_IS18_E10value_typeET4_jRbjT5_S1E_jjP12ihipStream_tbEUljE_ZNSN_ISO_Lb0ESQ_SR_ST_SU_SY_EESZ_S10_S11_S12_S16_S17_S18_S1B_S1C_jS1D_jS1E_S1E_jjS1G_bEUljE0_EEESZ_S10_S11_S18_S1C_S1E_T6_T7_T9_mT8_S1G_bDpT10_ENKUlT_T0_E_clISt17integral_constantIbLb0EES1T_IbLb1EEEEDaS1P_S1Q_EUlS1P_E_NS1_11comp_targetILNS1_3genE8ELNS1_11target_archE1030ELNS1_3gpuE2ELNS1_3repE0EEENS1_30default_config_static_selectorELNS0_4arch9wavefront6targetE0EEEvS12_, .Lfunc_end1593-_ZN7rocprim17ROCPRIM_400000_NS6detail17trampoline_kernelINS0_13select_configILj256ELj13ELNS0_17block_load_methodE3ELS4_3ELS4_3ELNS0_20block_scan_algorithmE0ELj4294967295EEENS1_25partition_config_selectorILNS1_17partition_subalgoE4EjNS0_10empty_typeEbEEZZNS1_14partition_implILS8_4ELb0ES6_15HIP_vector_typeIjLj2EENS0_17counting_iteratorIjlEEPS9_SG_NS0_5tupleIJPjSI_NS0_16reverse_iteratorISI_EEEEENSH_IJSG_SG_SG_EEES9_SI_JZNS1_25segmented_radix_sort_implINS0_14default_configELb0EPKbPbPKlPlN2at6native12_GLOBAL__N_18offset_tEEE10hipError_tPvRmT1_PNSt15iterator_traitsIS12_E10value_typeET2_T3_PNS13_IS18_E10value_typeET4_jRbjT5_S1E_jjP12ihipStream_tbEUljE_ZNSN_ISO_Lb0ESQ_SR_ST_SU_SY_EESZ_S10_S11_S12_S16_S17_S18_S1B_S1C_jS1D_jS1E_S1E_jjS1G_bEUljE0_EEESZ_S10_S11_S18_S1C_S1E_T6_T7_T9_mT8_S1G_bDpT10_ENKUlT_T0_E_clISt17integral_constantIbLb0EES1T_IbLb1EEEEDaS1P_S1Q_EUlS1P_E_NS1_11comp_targetILNS1_3genE8ELNS1_11target_archE1030ELNS1_3gpuE2ELNS1_3repE0EEENS1_30default_config_static_selectorELNS0_4arch9wavefront6targetE0EEEvS12_
                                        ; -- End function
	.set _ZN7rocprim17ROCPRIM_400000_NS6detail17trampoline_kernelINS0_13select_configILj256ELj13ELNS0_17block_load_methodE3ELS4_3ELS4_3ELNS0_20block_scan_algorithmE0ELj4294967295EEENS1_25partition_config_selectorILNS1_17partition_subalgoE4EjNS0_10empty_typeEbEEZZNS1_14partition_implILS8_4ELb0ES6_15HIP_vector_typeIjLj2EENS0_17counting_iteratorIjlEEPS9_SG_NS0_5tupleIJPjSI_NS0_16reverse_iteratorISI_EEEEENSH_IJSG_SG_SG_EEES9_SI_JZNS1_25segmented_radix_sort_implINS0_14default_configELb0EPKbPbPKlPlN2at6native12_GLOBAL__N_18offset_tEEE10hipError_tPvRmT1_PNSt15iterator_traitsIS12_E10value_typeET2_T3_PNS13_IS18_E10value_typeET4_jRbjT5_S1E_jjP12ihipStream_tbEUljE_ZNSN_ISO_Lb0ESQ_SR_ST_SU_SY_EESZ_S10_S11_S12_S16_S17_S18_S1B_S1C_jS1D_jS1E_S1E_jjS1G_bEUljE0_EEESZ_S10_S11_S18_S1C_S1E_T6_T7_T9_mT8_S1G_bDpT10_ENKUlT_T0_E_clISt17integral_constantIbLb0EES1T_IbLb1EEEEDaS1P_S1Q_EUlS1P_E_NS1_11comp_targetILNS1_3genE8ELNS1_11target_archE1030ELNS1_3gpuE2ELNS1_3repE0EEENS1_30default_config_static_selectorELNS0_4arch9wavefront6targetE0EEEvS12_.num_vgpr, 0
	.set _ZN7rocprim17ROCPRIM_400000_NS6detail17trampoline_kernelINS0_13select_configILj256ELj13ELNS0_17block_load_methodE3ELS4_3ELS4_3ELNS0_20block_scan_algorithmE0ELj4294967295EEENS1_25partition_config_selectorILNS1_17partition_subalgoE4EjNS0_10empty_typeEbEEZZNS1_14partition_implILS8_4ELb0ES6_15HIP_vector_typeIjLj2EENS0_17counting_iteratorIjlEEPS9_SG_NS0_5tupleIJPjSI_NS0_16reverse_iteratorISI_EEEEENSH_IJSG_SG_SG_EEES9_SI_JZNS1_25segmented_radix_sort_implINS0_14default_configELb0EPKbPbPKlPlN2at6native12_GLOBAL__N_18offset_tEEE10hipError_tPvRmT1_PNSt15iterator_traitsIS12_E10value_typeET2_T3_PNS13_IS18_E10value_typeET4_jRbjT5_S1E_jjP12ihipStream_tbEUljE_ZNSN_ISO_Lb0ESQ_SR_ST_SU_SY_EESZ_S10_S11_S12_S16_S17_S18_S1B_S1C_jS1D_jS1E_S1E_jjS1G_bEUljE0_EEESZ_S10_S11_S18_S1C_S1E_T6_T7_T9_mT8_S1G_bDpT10_ENKUlT_T0_E_clISt17integral_constantIbLb0EES1T_IbLb1EEEEDaS1P_S1Q_EUlS1P_E_NS1_11comp_targetILNS1_3genE8ELNS1_11target_archE1030ELNS1_3gpuE2ELNS1_3repE0EEENS1_30default_config_static_selectorELNS0_4arch9wavefront6targetE0EEEvS12_.num_agpr, 0
	.set _ZN7rocprim17ROCPRIM_400000_NS6detail17trampoline_kernelINS0_13select_configILj256ELj13ELNS0_17block_load_methodE3ELS4_3ELS4_3ELNS0_20block_scan_algorithmE0ELj4294967295EEENS1_25partition_config_selectorILNS1_17partition_subalgoE4EjNS0_10empty_typeEbEEZZNS1_14partition_implILS8_4ELb0ES6_15HIP_vector_typeIjLj2EENS0_17counting_iteratorIjlEEPS9_SG_NS0_5tupleIJPjSI_NS0_16reverse_iteratorISI_EEEEENSH_IJSG_SG_SG_EEES9_SI_JZNS1_25segmented_radix_sort_implINS0_14default_configELb0EPKbPbPKlPlN2at6native12_GLOBAL__N_18offset_tEEE10hipError_tPvRmT1_PNSt15iterator_traitsIS12_E10value_typeET2_T3_PNS13_IS18_E10value_typeET4_jRbjT5_S1E_jjP12ihipStream_tbEUljE_ZNSN_ISO_Lb0ESQ_SR_ST_SU_SY_EESZ_S10_S11_S12_S16_S17_S18_S1B_S1C_jS1D_jS1E_S1E_jjS1G_bEUljE0_EEESZ_S10_S11_S18_S1C_S1E_T6_T7_T9_mT8_S1G_bDpT10_ENKUlT_T0_E_clISt17integral_constantIbLb0EES1T_IbLb1EEEEDaS1P_S1Q_EUlS1P_E_NS1_11comp_targetILNS1_3genE8ELNS1_11target_archE1030ELNS1_3gpuE2ELNS1_3repE0EEENS1_30default_config_static_selectorELNS0_4arch9wavefront6targetE0EEEvS12_.numbered_sgpr, 0
	.set _ZN7rocprim17ROCPRIM_400000_NS6detail17trampoline_kernelINS0_13select_configILj256ELj13ELNS0_17block_load_methodE3ELS4_3ELS4_3ELNS0_20block_scan_algorithmE0ELj4294967295EEENS1_25partition_config_selectorILNS1_17partition_subalgoE4EjNS0_10empty_typeEbEEZZNS1_14partition_implILS8_4ELb0ES6_15HIP_vector_typeIjLj2EENS0_17counting_iteratorIjlEEPS9_SG_NS0_5tupleIJPjSI_NS0_16reverse_iteratorISI_EEEEENSH_IJSG_SG_SG_EEES9_SI_JZNS1_25segmented_radix_sort_implINS0_14default_configELb0EPKbPbPKlPlN2at6native12_GLOBAL__N_18offset_tEEE10hipError_tPvRmT1_PNSt15iterator_traitsIS12_E10value_typeET2_T3_PNS13_IS18_E10value_typeET4_jRbjT5_S1E_jjP12ihipStream_tbEUljE_ZNSN_ISO_Lb0ESQ_SR_ST_SU_SY_EESZ_S10_S11_S12_S16_S17_S18_S1B_S1C_jS1D_jS1E_S1E_jjS1G_bEUljE0_EEESZ_S10_S11_S18_S1C_S1E_T6_T7_T9_mT8_S1G_bDpT10_ENKUlT_T0_E_clISt17integral_constantIbLb0EES1T_IbLb1EEEEDaS1P_S1Q_EUlS1P_E_NS1_11comp_targetILNS1_3genE8ELNS1_11target_archE1030ELNS1_3gpuE2ELNS1_3repE0EEENS1_30default_config_static_selectorELNS0_4arch9wavefront6targetE0EEEvS12_.num_named_barrier, 0
	.set _ZN7rocprim17ROCPRIM_400000_NS6detail17trampoline_kernelINS0_13select_configILj256ELj13ELNS0_17block_load_methodE3ELS4_3ELS4_3ELNS0_20block_scan_algorithmE0ELj4294967295EEENS1_25partition_config_selectorILNS1_17partition_subalgoE4EjNS0_10empty_typeEbEEZZNS1_14partition_implILS8_4ELb0ES6_15HIP_vector_typeIjLj2EENS0_17counting_iteratorIjlEEPS9_SG_NS0_5tupleIJPjSI_NS0_16reverse_iteratorISI_EEEEENSH_IJSG_SG_SG_EEES9_SI_JZNS1_25segmented_radix_sort_implINS0_14default_configELb0EPKbPbPKlPlN2at6native12_GLOBAL__N_18offset_tEEE10hipError_tPvRmT1_PNSt15iterator_traitsIS12_E10value_typeET2_T3_PNS13_IS18_E10value_typeET4_jRbjT5_S1E_jjP12ihipStream_tbEUljE_ZNSN_ISO_Lb0ESQ_SR_ST_SU_SY_EESZ_S10_S11_S12_S16_S17_S18_S1B_S1C_jS1D_jS1E_S1E_jjS1G_bEUljE0_EEESZ_S10_S11_S18_S1C_S1E_T6_T7_T9_mT8_S1G_bDpT10_ENKUlT_T0_E_clISt17integral_constantIbLb0EES1T_IbLb1EEEEDaS1P_S1Q_EUlS1P_E_NS1_11comp_targetILNS1_3genE8ELNS1_11target_archE1030ELNS1_3gpuE2ELNS1_3repE0EEENS1_30default_config_static_selectorELNS0_4arch9wavefront6targetE0EEEvS12_.private_seg_size, 0
	.set _ZN7rocprim17ROCPRIM_400000_NS6detail17trampoline_kernelINS0_13select_configILj256ELj13ELNS0_17block_load_methodE3ELS4_3ELS4_3ELNS0_20block_scan_algorithmE0ELj4294967295EEENS1_25partition_config_selectorILNS1_17partition_subalgoE4EjNS0_10empty_typeEbEEZZNS1_14partition_implILS8_4ELb0ES6_15HIP_vector_typeIjLj2EENS0_17counting_iteratorIjlEEPS9_SG_NS0_5tupleIJPjSI_NS0_16reverse_iteratorISI_EEEEENSH_IJSG_SG_SG_EEES9_SI_JZNS1_25segmented_radix_sort_implINS0_14default_configELb0EPKbPbPKlPlN2at6native12_GLOBAL__N_18offset_tEEE10hipError_tPvRmT1_PNSt15iterator_traitsIS12_E10value_typeET2_T3_PNS13_IS18_E10value_typeET4_jRbjT5_S1E_jjP12ihipStream_tbEUljE_ZNSN_ISO_Lb0ESQ_SR_ST_SU_SY_EESZ_S10_S11_S12_S16_S17_S18_S1B_S1C_jS1D_jS1E_S1E_jjS1G_bEUljE0_EEESZ_S10_S11_S18_S1C_S1E_T6_T7_T9_mT8_S1G_bDpT10_ENKUlT_T0_E_clISt17integral_constantIbLb0EES1T_IbLb1EEEEDaS1P_S1Q_EUlS1P_E_NS1_11comp_targetILNS1_3genE8ELNS1_11target_archE1030ELNS1_3gpuE2ELNS1_3repE0EEENS1_30default_config_static_selectorELNS0_4arch9wavefront6targetE0EEEvS12_.uses_vcc, 0
	.set _ZN7rocprim17ROCPRIM_400000_NS6detail17trampoline_kernelINS0_13select_configILj256ELj13ELNS0_17block_load_methodE3ELS4_3ELS4_3ELNS0_20block_scan_algorithmE0ELj4294967295EEENS1_25partition_config_selectorILNS1_17partition_subalgoE4EjNS0_10empty_typeEbEEZZNS1_14partition_implILS8_4ELb0ES6_15HIP_vector_typeIjLj2EENS0_17counting_iteratorIjlEEPS9_SG_NS0_5tupleIJPjSI_NS0_16reverse_iteratorISI_EEEEENSH_IJSG_SG_SG_EEES9_SI_JZNS1_25segmented_radix_sort_implINS0_14default_configELb0EPKbPbPKlPlN2at6native12_GLOBAL__N_18offset_tEEE10hipError_tPvRmT1_PNSt15iterator_traitsIS12_E10value_typeET2_T3_PNS13_IS18_E10value_typeET4_jRbjT5_S1E_jjP12ihipStream_tbEUljE_ZNSN_ISO_Lb0ESQ_SR_ST_SU_SY_EESZ_S10_S11_S12_S16_S17_S18_S1B_S1C_jS1D_jS1E_S1E_jjS1G_bEUljE0_EEESZ_S10_S11_S18_S1C_S1E_T6_T7_T9_mT8_S1G_bDpT10_ENKUlT_T0_E_clISt17integral_constantIbLb0EES1T_IbLb1EEEEDaS1P_S1Q_EUlS1P_E_NS1_11comp_targetILNS1_3genE8ELNS1_11target_archE1030ELNS1_3gpuE2ELNS1_3repE0EEENS1_30default_config_static_selectorELNS0_4arch9wavefront6targetE0EEEvS12_.uses_flat_scratch, 0
	.set _ZN7rocprim17ROCPRIM_400000_NS6detail17trampoline_kernelINS0_13select_configILj256ELj13ELNS0_17block_load_methodE3ELS4_3ELS4_3ELNS0_20block_scan_algorithmE0ELj4294967295EEENS1_25partition_config_selectorILNS1_17partition_subalgoE4EjNS0_10empty_typeEbEEZZNS1_14partition_implILS8_4ELb0ES6_15HIP_vector_typeIjLj2EENS0_17counting_iteratorIjlEEPS9_SG_NS0_5tupleIJPjSI_NS0_16reverse_iteratorISI_EEEEENSH_IJSG_SG_SG_EEES9_SI_JZNS1_25segmented_radix_sort_implINS0_14default_configELb0EPKbPbPKlPlN2at6native12_GLOBAL__N_18offset_tEEE10hipError_tPvRmT1_PNSt15iterator_traitsIS12_E10value_typeET2_T3_PNS13_IS18_E10value_typeET4_jRbjT5_S1E_jjP12ihipStream_tbEUljE_ZNSN_ISO_Lb0ESQ_SR_ST_SU_SY_EESZ_S10_S11_S12_S16_S17_S18_S1B_S1C_jS1D_jS1E_S1E_jjS1G_bEUljE0_EEESZ_S10_S11_S18_S1C_S1E_T6_T7_T9_mT8_S1G_bDpT10_ENKUlT_T0_E_clISt17integral_constantIbLb0EES1T_IbLb1EEEEDaS1P_S1Q_EUlS1P_E_NS1_11comp_targetILNS1_3genE8ELNS1_11target_archE1030ELNS1_3gpuE2ELNS1_3repE0EEENS1_30default_config_static_selectorELNS0_4arch9wavefront6targetE0EEEvS12_.has_dyn_sized_stack, 0
	.set _ZN7rocprim17ROCPRIM_400000_NS6detail17trampoline_kernelINS0_13select_configILj256ELj13ELNS0_17block_load_methodE3ELS4_3ELS4_3ELNS0_20block_scan_algorithmE0ELj4294967295EEENS1_25partition_config_selectorILNS1_17partition_subalgoE4EjNS0_10empty_typeEbEEZZNS1_14partition_implILS8_4ELb0ES6_15HIP_vector_typeIjLj2EENS0_17counting_iteratorIjlEEPS9_SG_NS0_5tupleIJPjSI_NS0_16reverse_iteratorISI_EEEEENSH_IJSG_SG_SG_EEES9_SI_JZNS1_25segmented_radix_sort_implINS0_14default_configELb0EPKbPbPKlPlN2at6native12_GLOBAL__N_18offset_tEEE10hipError_tPvRmT1_PNSt15iterator_traitsIS12_E10value_typeET2_T3_PNS13_IS18_E10value_typeET4_jRbjT5_S1E_jjP12ihipStream_tbEUljE_ZNSN_ISO_Lb0ESQ_SR_ST_SU_SY_EESZ_S10_S11_S12_S16_S17_S18_S1B_S1C_jS1D_jS1E_S1E_jjS1G_bEUljE0_EEESZ_S10_S11_S18_S1C_S1E_T6_T7_T9_mT8_S1G_bDpT10_ENKUlT_T0_E_clISt17integral_constantIbLb0EES1T_IbLb1EEEEDaS1P_S1Q_EUlS1P_E_NS1_11comp_targetILNS1_3genE8ELNS1_11target_archE1030ELNS1_3gpuE2ELNS1_3repE0EEENS1_30default_config_static_selectorELNS0_4arch9wavefront6targetE0EEEvS12_.has_recursion, 0
	.set _ZN7rocprim17ROCPRIM_400000_NS6detail17trampoline_kernelINS0_13select_configILj256ELj13ELNS0_17block_load_methodE3ELS4_3ELS4_3ELNS0_20block_scan_algorithmE0ELj4294967295EEENS1_25partition_config_selectorILNS1_17partition_subalgoE4EjNS0_10empty_typeEbEEZZNS1_14partition_implILS8_4ELb0ES6_15HIP_vector_typeIjLj2EENS0_17counting_iteratorIjlEEPS9_SG_NS0_5tupleIJPjSI_NS0_16reverse_iteratorISI_EEEEENSH_IJSG_SG_SG_EEES9_SI_JZNS1_25segmented_radix_sort_implINS0_14default_configELb0EPKbPbPKlPlN2at6native12_GLOBAL__N_18offset_tEEE10hipError_tPvRmT1_PNSt15iterator_traitsIS12_E10value_typeET2_T3_PNS13_IS18_E10value_typeET4_jRbjT5_S1E_jjP12ihipStream_tbEUljE_ZNSN_ISO_Lb0ESQ_SR_ST_SU_SY_EESZ_S10_S11_S12_S16_S17_S18_S1B_S1C_jS1D_jS1E_S1E_jjS1G_bEUljE0_EEESZ_S10_S11_S18_S1C_S1E_T6_T7_T9_mT8_S1G_bDpT10_ENKUlT_T0_E_clISt17integral_constantIbLb0EES1T_IbLb1EEEEDaS1P_S1Q_EUlS1P_E_NS1_11comp_targetILNS1_3genE8ELNS1_11target_archE1030ELNS1_3gpuE2ELNS1_3repE0EEENS1_30default_config_static_selectorELNS0_4arch9wavefront6targetE0EEEvS12_.has_indirect_call, 0
	.section	.AMDGPU.csdata,"",@progbits
; Kernel info:
; codeLenInByte = 0
; TotalNumSgprs: 0
; NumVgprs: 0
; ScratchSize: 0
; MemoryBound: 0
; FloatMode: 240
; IeeeMode: 1
; LDSByteSize: 0 bytes/workgroup (compile time only)
; SGPRBlocks: 0
; VGPRBlocks: 0
; NumSGPRsForWavesPerEU: 1
; NumVGPRsForWavesPerEU: 1
; NamedBarCnt: 0
; Occupancy: 16
; WaveLimiterHint : 0
; COMPUTE_PGM_RSRC2:SCRATCH_EN: 0
; COMPUTE_PGM_RSRC2:USER_SGPR: 2
; COMPUTE_PGM_RSRC2:TRAP_HANDLER: 0
; COMPUTE_PGM_RSRC2:TGID_X_EN: 1
; COMPUTE_PGM_RSRC2:TGID_Y_EN: 0
; COMPUTE_PGM_RSRC2:TGID_Z_EN: 0
; COMPUTE_PGM_RSRC2:TIDIG_COMP_CNT: 0
	.section	.text._ZN7rocprim17ROCPRIM_400000_NS6detail17trampoline_kernelINS0_13select_configILj256ELj13ELNS0_17block_load_methodE3ELS4_3ELS4_3ELNS0_20block_scan_algorithmE0ELj4294967295EEENS1_25partition_config_selectorILNS1_17partition_subalgoE3EjNS0_10empty_typeEbEEZZNS1_14partition_implILS8_3ELb0ES6_jNS0_17counting_iteratorIjlEEPS9_SE_NS0_5tupleIJPjSE_EEENSF_IJSE_SE_EEES9_SG_JZNS1_25segmented_radix_sort_implINS0_14default_configELb0EPKbPbPKlPlN2at6native12_GLOBAL__N_18offset_tEEE10hipError_tPvRmT1_PNSt15iterator_traitsISY_E10value_typeET2_T3_PNSZ_IS14_E10value_typeET4_jRbjT5_S1A_jjP12ihipStream_tbEUljE_EEESV_SW_SX_S14_S18_S1A_T6_T7_T9_mT8_S1C_bDpT10_ENKUlT_T0_E_clISt17integral_constantIbLb0EES1P_EEDaS1K_S1L_EUlS1K_E_NS1_11comp_targetILNS1_3genE0ELNS1_11target_archE4294967295ELNS1_3gpuE0ELNS1_3repE0EEENS1_30default_config_static_selectorELNS0_4arch9wavefront6targetE0EEEvSY_,"axG",@progbits,_ZN7rocprim17ROCPRIM_400000_NS6detail17trampoline_kernelINS0_13select_configILj256ELj13ELNS0_17block_load_methodE3ELS4_3ELS4_3ELNS0_20block_scan_algorithmE0ELj4294967295EEENS1_25partition_config_selectorILNS1_17partition_subalgoE3EjNS0_10empty_typeEbEEZZNS1_14partition_implILS8_3ELb0ES6_jNS0_17counting_iteratorIjlEEPS9_SE_NS0_5tupleIJPjSE_EEENSF_IJSE_SE_EEES9_SG_JZNS1_25segmented_radix_sort_implINS0_14default_configELb0EPKbPbPKlPlN2at6native12_GLOBAL__N_18offset_tEEE10hipError_tPvRmT1_PNSt15iterator_traitsISY_E10value_typeET2_T3_PNSZ_IS14_E10value_typeET4_jRbjT5_S1A_jjP12ihipStream_tbEUljE_EEESV_SW_SX_S14_S18_S1A_T6_T7_T9_mT8_S1C_bDpT10_ENKUlT_T0_E_clISt17integral_constantIbLb0EES1P_EEDaS1K_S1L_EUlS1K_E_NS1_11comp_targetILNS1_3genE0ELNS1_11target_archE4294967295ELNS1_3gpuE0ELNS1_3repE0EEENS1_30default_config_static_selectorELNS0_4arch9wavefront6targetE0EEEvSY_,comdat
	.globl	_ZN7rocprim17ROCPRIM_400000_NS6detail17trampoline_kernelINS0_13select_configILj256ELj13ELNS0_17block_load_methodE3ELS4_3ELS4_3ELNS0_20block_scan_algorithmE0ELj4294967295EEENS1_25partition_config_selectorILNS1_17partition_subalgoE3EjNS0_10empty_typeEbEEZZNS1_14partition_implILS8_3ELb0ES6_jNS0_17counting_iteratorIjlEEPS9_SE_NS0_5tupleIJPjSE_EEENSF_IJSE_SE_EEES9_SG_JZNS1_25segmented_radix_sort_implINS0_14default_configELb0EPKbPbPKlPlN2at6native12_GLOBAL__N_18offset_tEEE10hipError_tPvRmT1_PNSt15iterator_traitsISY_E10value_typeET2_T3_PNSZ_IS14_E10value_typeET4_jRbjT5_S1A_jjP12ihipStream_tbEUljE_EEESV_SW_SX_S14_S18_S1A_T6_T7_T9_mT8_S1C_bDpT10_ENKUlT_T0_E_clISt17integral_constantIbLb0EES1P_EEDaS1K_S1L_EUlS1K_E_NS1_11comp_targetILNS1_3genE0ELNS1_11target_archE4294967295ELNS1_3gpuE0ELNS1_3repE0EEENS1_30default_config_static_selectorELNS0_4arch9wavefront6targetE0EEEvSY_ ; -- Begin function _ZN7rocprim17ROCPRIM_400000_NS6detail17trampoline_kernelINS0_13select_configILj256ELj13ELNS0_17block_load_methodE3ELS4_3ELS4_3ELNS0_20block_scan_algorithmE0ELj4294967295EEENS1_25partition_config_selectorILNS1_17partition_subalgoE3EjNS0_10empty_typeEbEEZZNS1_14partition_implILS8_3ELb0ES6_jNS0_17counting_iteratorIjlEEPS9_SE_NS0_5tupleIJPjSE_EEENSF_IJSE_SE_EEES9_SG_JZNS1_25segmented_radix_sort_implINS0_14default_configELb0EPKbPbPKlPlN2at6native12_GLOBAL__N_18offset_tEEE10hipError_tPvRmT1_PNSt15iterator_traitsISY_E10value_typeET2_T3_PNSZ_IS14_E10value_typeET4_jRbjT5_S1A_jjP12ihipStream_tbEUljE_EEESV_SW_SX_S14_S18_S1A_T6_T7_T9_mT8_S1C_bDpT10_ENKUlT_T0_E_clISt17integral_constantIbLb0EES1P_EEDaS1K_S1L_EUlS1K_E_NS1_11comp_targetILNS1_3genE0ELNS1_11target_archE4294967295ELNS1_3gpuE0ELNS1_3repE0EEENS1_30default_config_static_selectorELNS0_4arch9wavefront6targetE0EEEvSY_
	.p2align	8
	.type	_ZN7rocprim17ROCPRIM_400000_NS6detail17trampoline_kernelINS0_13select_configILj256ELj13ELNS0_17block_load_methodE3ELS4_3ELS4_3ELNS0_20block_scan_algorithmE0ELj4294967295EEENS1_25partition_config_selectorILNS1_17partition_subalgoE3EjNS0_10empty_typeEbEEZZNS1_14partition_implILS8_3ELb0ES6_jNS0_17counting_iteratorIjlEEPS9_SE_NS0_5tupleIJPjSE_EEENSF_IJSE_SE_EEES9_SG_JZNS1_25segmented_radix_sort_implINS0_14default_configELb0EPKbPbPKlPlN2at6native12_GLOBAL__N_18offset_tEEE10hipError_tPvRmT1_PNSt15iterator_traitsISY_E10value_typeET2_T3_PNSZ_IS14_E10value_typeET4_jRbjT5_S1A_jjP12ihipStream_tbEUljE_EEESV_SW_SX_S14_S18_S1A_T6_T7_T9_mT8_S1C_bDpT10_ENKUlT_T0_E_clISt17integral_constantIbLb0EES1P_EEDaS1K_S1L_EUlS1K_E_NS1_11comp_targetILNS1_3genE0ELNS1_11target_archE4294967295ELNS1_3gpuE0ELNS1_3repE0EEENS1_30default_config_static_selectorELNS0_4arch9wavefront6targetE0EEEvSY_,@function
_ZN7rocprim17ROCPRIM_400000_NS6detail17trampoline_kernelINS0_13select_configILj256ELj13ELNS0_17block_load_methodE3ELS4_3ELS4_3ELNS0_20block_scan_algorithmE0ELj4294967295EEENS1_25partition_config_selectorILNS1_17partition_subalgoE3EjNS0_10empty_typeEbEEZZNS1_14partition_implILS8_3ELb0ES6_jNS0_17counting_iteratorIjlEEPS9_SE_NS0_5tupleIJPjSE_EEENSF_IJSE_SE_EEES9_SG_JZNS1_25segmented_radix_sort_implINS0_14default_configELb0EPKbPbPKlPlN2at6native12_GLOBAL__N_18offset_tEEE10hipError_tPvRmT1_PNSt15iterator_traitsISY_E10value_typeET2_T3_PNSZ_IS14_E10value_typeET4_jRbjT5_S1A_jjP12ihipStream_tbEUljE_EEESV_SW_SX_S14_S18_S1A_T6_T7_T9_mT8_S1C_bDpT10_ENKUlT_T0_E_clISt17integral_constantIbLb0EES1P_EEDaS1K_S1L_EUlS1K_E_NS1_11comp_targetILNS1_3genE0ELNS1_11target_archE4294967295ELNS1_3gpuE0ELNS1_3repE0EEENS1_30default_config_static_selectorELNS0_4arch9wavefront6targetE0EEEvSY_: ; @_ZN7rocprim17ROCPRIM_400000_NS6detail17trampoline_kernelINS0_13select_configILj256ELj13ELNS0_17block_load_methodE3ELS4_3ELS4_3ELNS0_20block_scan_algorithmE0ELj4294967295EEENS1_25partition_config_selectorILNS1_17partition_subalgoE3EjNS0_10empty_typeEbEEZZNS1_14partition_implILS8_3ELb0ES6_jNS0_17counting_iteratorIjlEEPS9_SE_NS0_5tupleIJPjSE_EEENSF_IJSE_SE_EEES9_SG_JZNS1_25segmented_radix_sort_implINS0_14default_configELb0EPKbPbPKlPlN2at6native12_GLOBAL__N_18offset_tEEE10hipError_tPvRmT1_PNSt15iterator_traitsISY_E10value_typeET2_T3_PNSZ_IS14_E10value_typeET4_jRbjT5_S1A_jjP12ihipStream_tbEUljE_EEESV_SW_SX_S14_S18_S1A_T6_T7_T9_mT8_S1C_bDpT10_ENKUlT_T0_E_clISt17integral_constantIbLb0EES1P_EEDaS1K_S1L_EUlS1K_E_NS1_11comp_targetILNS1_3genE0ELNS1_11target_archE4294967295ELNS1_3gpuE0ELNS1_3repE0EEENS1_30default_config_static_selectorELNS0_4arch9wavefront6targetE0EEEvSY_
; %bb.0:
	s_clause 0x4
	s_load_b128 s[8:11], s[0:1], 0x48
	s_load_b32 s2, s[0:1], 0x70
	s_load_b64 s[12:13], s[0:1], 0x10
	s_load_b64 s[14:15], s[0:1], 0x58
	s_load_b32 s20, s[0:1], 0x8
	s_bfe_u32 s3, ttmp6, 0x4000c
	s_and_b32 s4, ttmp6, 15
	s_add_co_i32 s3, s3, 1
	s_getreg_b32 s5, hwreg(HW_REG_IB_STS2, 6, 4)
	s_mul_i32 s3, ttmp9, s3
	s_mov_b32 s17, 0
	s_add_co_i32 s16, s4, s3
	s_cmp_eq_u32 s5, 0
	s_clause 0x1
	s_load_b32 s3, s[0:1], 0x88
	s_load_b128 s[4:7], s[0:1], 0x78
	s_cselect_b32 s24, ttmp9, s16
	v_lshlrev_b32_e32 v19, 2, v0
	s_wait_kmcnt 0x0
	s_load_b64 s[18:19], s[10:11], 0x0
	s_mul_i32 s16, s2, 0xd00
	s_add_co_i32 s2, s2, -1
	s_add_co_i32 s21, s16, s12
	s_wait_xcnt 0x0
	s_add_nc_u64 s[10:11], s[12:13], s[16:17]
	s_sub_co_i32 s23, s14, s21
	v_cmp_gt_u64_e64 s11, s[14:15], s[10:11]
	s_addk_co_i32 s23, 0xd00
	s_cmp_eq_u32 s24, s2
	s_mul_i32 s10, s24, 0xd00
	s_cselect_b32 s22, -1, 0
	s_cmp_lg_u32 s24, s2
	s_mov_b32 s17, -1
	s_cselect_b32 s2, -1, 0
	s_add_co_i32 s16, s20, s10
	s_or_b32 s11, s2, s11
	s_add_co_i32 s16, s16, s12
	s_and_b32 vcc_lo, exec_lo, s11
	v_add_nc_u32_e32 v1, s16, v0
	s_cbranch_vccz .LBB1594_2
; %bb.1:
	s_delay_alu instid0(VALU_DEP_1)
	v_add_nc_u32_e32 v2, 0x100, v1
	v_add_nc_u32_e32 v3, 0x200, v1
	;; [unrolled: 1-line block ×12, first 2 shown]
	ds_store_2addr_stride64_b32 v19, v1, v2 offset1:4
	ds_store_2addr_stride64_b32 v19, v3, v4 offset0:8 offset1:12
	ds_store_2addr_stride64_b32 v19, v5, v6 offset0:16 offset1:20
	ds_store_2addr_stride64_b32 v19, v7, v8 offset0:24 offset1:28
	ds_store_2addr_stride64_b32 v19, v9, v10 offset0:32 offset1:36
	ds_store_2addr_stride64_b32 v19, v11, v12 offset0:40 offset1:44
	ds_store_b32 v19, v13 offset:12288
	s_wait_dscnt 0x0
	s_barrier_signal -1
	s_mov_b32 s17, 0
	s_barrier_wait -1
.LBB1594_2:
	v_cmp_gt_u32_e64 s2, s23, v0
	v_or_b32_e32 v40, 0x100, v0
	v_or_b32_e32 v38, 0x200, v0
	;; [unrolled: 1-line block ×12, first 2 shown]
	s_and_not1_b32 vcc_lo, exec_lo, s17
	s_cbranch_vccnz .LBB1594_4
; %bb.3:
	v_dual_add_nc_u32 v2, s16, v40 :: v_dual_cndmask_b32 v1, 0, v1, s2
	v_cmp_gt_u32_e32 vcc_lo, s23, v40
	v_dual_add_nc_u32 v3, s16, v38 :: v_dual_add_nc_u32 v4, s16, v36
	v_dual_add_nc_u32 v7, s16, v30 :: v_dual_add_nc_u32 v8, s16, v28
	s_delay_alu instid0(VALU_DEP_4)
	v_cndmask_b32_e32 v2, 0, v2, vcc_lo
	v_cmp_gt_u32_e32 vcc_lo, s23, v38
	v_dual_add_nc_u32 v11, s16, v22 :: v_dual_add_nc_u32 v12, s16, v20
	v_cndmask_b32_e32 v3, 0, v3, vcc_lo
	v_cmp_gt_u32_e32 vcc_lo, s23, v36
	v_dual_cndmask_b32 v4, 0, v4 :: v_dual_add_nc_u32 v5, s16, v34
	v_cmp_gt_u32_e32 vcc_lo, s23, v34
	s_delay_alu instid0(VALU_DEP_2) | instskip(SKIP_1) | instid1(VALU_DEP_2)
	v_dual_cndmask_b32 v5, 0, v5 :: v_dual_add_nc_u32 v6, s16, v32
	v_cmp_gt_u32_e32 vcc_lo, s23, v32
	v_cndmask_b32_e32 v6, 0, v6, vcc_lo
	v_cmp_gt_u32_e32 vcc_lo, s23, v30
	v_cndmask_b32_e32 v7, 0, v7, vcc_lo
	v_cmp_gt_u32_e32 vcc_lo, s23, v28
	v_dual_cndmask_b32 v8, 0, v8 :: v_dual_add_nc_u32 v9, s16, v26
	v_cmp_gt_u32_e32 vcc_lo, s23, v26
	s_delay_alu instid0(VALU_DEP_2) | instskip(SKIP_1) | instid1(VALU_DEP_2)
	v_dual_cndmask_b32 v9, 0, v9 :: v_dual_add_nc_u32 v10, s16, v24
	v_cmp_gt_u32_e32 vcc_lo, s23, v24
	v_cndmask_b32_e32 v10, 0, v10, vcc_lo
	v_cmp_gt_u32_e32 vcc_lo, s23, v22
	v_cndmask_b32_e32 v11, 0, v11, vcc_lo
	v_cmp_gt_u32_e32 vcc_lo, s23, v20
	v_dual_cndmask_b32 v12, 0, v12 :: v_dual_add_nc_u32 v13, s16, v18
	v_cmp_gt_u32_e32 vcc_lo, s23, v18
	s_delay_alu instid0(VALU_DEP_2)
	v_cndmask_b32_e32 v13, 0, v13, vcc_lo
	ds_store_2addr_stride64_b32 v19, v1, v2 offset1:4
	ds_store_2addr_stride64_b32 v19, v3, v4 offset0:8 offset1:12
	ds_store_2addr_stride64_b32 v19, v5, v6 offset0:16 offset1:20
	;; [unrolled: 1-line block ×5, first 2 shown]
	ds_store_b32 v19, v13 offset:12288
	s_wait_dscnt 0x0
	s_barrier_signal -1
	s_barrier_wait -1
.LBB1594_4:
	v_mul_u32_u24_e32 v23, 13, v0
	v_cndmask_b32_e64 v21, 0, 1, s11
	s_and_not1_b32 vcc_lo, exec_lo, s11
	s_delay_alu instid0(VALU_DEP_2)
	v_lshlrev_b32_e32 v2, 2, v23
	ds_load_2addr_b32 v[50:51], v2 offset0:2 offset1:3
	ds_load_2addr_b32 v[46:47], v2 offset0:6 offset1:7
	;; [unrolled: 1-line block ×3, first 2 shown]
	ds_load_2addr_b32 v[52:53], v2 offset1:1
	ds_load_2addr_b32 v[42:43], v2 offset0:10 offset1:11
	ds_load_b32 v1, v2 offset:48
	ds_load_2addr_b32 v[44:45], v2 offset0:8 offset1:9
	s_wait_dscnt 0x0
	s_barrier_signal -1
	s_barrier_wait -1
	s_cbranch_vccnz .LBB1594_6
; %bb.5:
	v_dual_add_nc_u32 v2, s5, v51 :: v_dual_add_nc_u32 v3, s5, v53
	v_dual_add_nc_u32 v4, s5, v52 :: v_dual_add_nc_u32 v5, s5, v50
	;; [unrolled: 1-line block ×4, first 2 shown]
	s_delay_alu instid0(VALU_DEP_3) | instskip(NEXT) | instid1(VALU_DEP_4)
	v_mul_lo_u32 v5, v5, s4
	v_mul_lo_u32 v4, v4, s4
	;; [unrolled: 1-line block ×8, first 2 shown]
	v_dual_add_nc_u32 v10, s5, v48 :: v_dual_add_nc_u32 v11, s7, v48
	v_dual_add_nc_u32 v14, s7, v43 :: v_dual_add_nc_u32 v15, s5, v42
	;; [unrolled: 1-line block ×3, first 2 shown]
	s_delay_alu instid0(VALU_DEP_3)
	v_mul_lo_u32 v10, v10, s4
	v_dual_sub_nc_u32 v2, v2, v6 :: v_dual_sub_nc_u32 v3, v3, v7
	v_dual_sub_nc_u32 v4, v4, v8 :: v_dual_sub_nc_u32 v5, v5, v9
	v_dual_add_nc_u32 v6, s5, v49 :: v_dual_add_nc_u32 v7, s7, v49
	v_dual_add_nc_u32 v8, s5, v47 :: v_dual_add_nc_u32 v9, s7, v47
	v_mul_lo_u32 v11, v11, s6
	s_delay_alu instid0(VALU_DEP_3) | instskip(NEXT) | instid1(VALU_DEP_4)
	v_mul_lo_u32 v6, v6, s4
	v_mul_lo_u32 v7, v7, s6
	s_delay_alu instid0(VALU_DEP_4)
	v_mul_lo_u32 v8, v8, s4
	v_mul_lo_u32 v9, v9, s6
	v_cmp_lt_u32_e32 vcc_lo, s3, v2
	v_dual_add_nc_u32 v12, s5, v46 :: v_dual_add_nc_u32 v13, s5, v44
	v_mul_lo_u32 v14, v14, s6
	v_mul_lo_u32 v16, v16, s6
	v_cndmask_b32_e64 v2, 0, 1, vcc_lo
	v_cmp_lt_u32_e32 vcc_lo, s3, v3
	v_mul_lo_u32 v13, v13, s4
	v_dual_sub_nc_u32 v6, v6, v7 :: v_dual_add_nc_u32 v7, s7, v46
	v_dual_sub_nc_u32 v8, v8, v9 :: v_dual_sub_nc_u32 v9, v10, v11
	v_dual_add_nc_u32 v11, s5, v45 :: v_dual_add_nc_u32 v10, s5, v43
	v_cndmask_b32_e64 v3, 0, 1, vcc_lo
	s_delay_alu instid0(VALU_DEP_4)
	v_cmp_lt_u32_e32 vcc_lo, s3, v6
	v_mul_lo_u32 v12, v12, s4
	v_mul_lo_u32 v7, v7, s6
	;; [unrolled: 1-line block ×4, first 2 shown]
	v_cndmask_b32_e64 v6, 0, 1, vcc_lo
	v_cmp_lt_u32_e32 vcc_lo, s3, v8
	v_lshlrev_b16 v3, 8, v3
	v_add_nc_u32_e32 v25, s7, v42
	v_mul_lo_u32 v17, v17, s6
	v_lshlrev_b16 v6, 8, v6
	v_cndmask_b32_e64 v8, 0, 1, vcc_lo
	v_cmp_lt_u32_e32 vcc_lo, s3, v4
	v_dual_sub_nc_u32 v7, v12, v7 :: v_dual_sub_nc_u32 v10, v10, v14
	v_mul_lo_u32 v12, v15, s4
	v_mul_lo_u32 v15, v25, s6
	v_dual_add_nc_u32 v25, s7, v1 :: v_dual_lshrrev_b32 v3, 8, v3
	v_sub_nc_u32_e32 v11, v11, v16
	v_cndmask_b32_e64 v4, 0, 1, vcc_lo
	v_cmp_lt_u32_e32 vcc_lo, s3, v10
	v_dual_lshrrev_b32 v6, 8, v6 :: v_dual_add_nc_u32 v14, s5, v1
	v_mul_lo_u32 v16, v25, s6
	v_lshlrev_b16 v2, 8, v2
	v_cndmask_b32_e64 v10, 0, 1, vcc_lo
	v_cmp_lt_u32_e32 vcc_lo, s3, v11
	v_mul_lo_u32 v14, v14, s4
	v_dual_sub_nc_u32 v13, v13, v17 :: v_dual_sub_nc_u32 v12, v12, v15
	v_lshlrev_b16 v3, 8, v3
	v_cndmask_b32_e64 v11, 0, 1, vcc_lo
	v_cmp_lt_u32_e32 vcc_lo, s3, v5
	v_lshrrev_b32_e32 v2, 8, v2
	v_lshlrev_b16 v8, 8, v8
	v_or_b32_e32 v3, v4, v3
	v_lshlrev_b16 v4, 8, v10
	v_cndmask_b32_e64 v5, 0, 1, vcc_lo
	v_cmp_lt_u32_e32 vcc_lo, s3, v9
	v_lshlrev_b16 v10, 8, v11
	v_sub_nc_u32_e32 v11, v14, v16
	v_lshlrev_b16 v2, 8, v2
	v_lshrrev_b32_e32 v4, 8, v4
	v_cndmask_b32_e64 v9, 0, 1, vcc_lo
	v_cmp_lt_u32_e32 vcc_lo, s3, v7
	v_lshrrev_b32_e32 v10, 8, v10
	v_lshlrev_b16 v6, 8, v6
	v_or_b32_e32 v2, v5, v2
	v_lshlrev_b16 v4, 8, v4
	v_cndmask_b32_e64 v7, 0, 1, vcc_lo
	v_cmp_lt_u32_e32 vcc_lo, s3, v13
	v_lshlrev_b16 v10, 8, v10
	v_or_b32_e32 v5, v9, v6
	v_and_b32_e32 v3, 0xffff, v3
	v_dual_lshlrev_b32 v2, 16, v2 :: v_dual_bitop2_b32 v6, v7, v8 bitop3:0x54
	v_cndmask_b32_e64 v13, 0, 1, vcc_lo
	v_cmp_lt_u32_e32 vcc_lo, s3, v12
	s_delay_alu instid0(VALU_DEP_3) | instskip(SKIP_4) | instid1(VALU_DEP_4)
	v_lshlrev_b32_e32 v6, 16, v6
	v_and_b32_e32 v5, 0xffff, v5
	v_or_b32_e32 v35, v3, v2
	v_cndmask_b32_e64 v12, 0, 1, vcc_lo
	v_cmp_lt_u32_e32 vcc_lo, s3, v11
	v_or_b32_e32 v31, v5, v6
	s_delay_alu instid0(VALU_DEP_3) | instskip(SKIP_2) | instid1(VALU_DEP_3)
	v_or_b32_e32 v4, v12, v4
	v_or_b32_e32 v7, v13, v10
	v_cndmask_b32_e64 v25, 0, 1, vcc_lo
	v_lshlrev_b32_e32 v4, 16, v4
	s_delay_alu instid0(VALU_DEP_3) | instskip(NEXT) | instid1(VALU_DEP_1)
	v_and_b32_e32 v7, 0xffff, v7
	v_or_b32_e32 v27, v7, v4
	s_load_b64 s[20:21], s[0:1], 0x68
	s_cbranch_execz .LBB1594_7
	s_branch .LBB1594_34
.LBB1594_6:
                                        ; implicit-def: $vgpr25
                                        ; implicit-def: $vgpr27
                                        ; implicit-def: $vgpr31
                                        ; implicit-def: $vgpr35
	s_load_b64 s[20:21], s[0:1], 0x68
.LBB1594_7:
	v_dual_mov_b32 v3, 0 :: v_dual_mov_b32 v2, 0
	s_mov_b32 s2, exec_lo
	v_cmpx_gt_u32_e64 s23, v23
	s_cbranch_execz .LBB1594_9
; %bb.8:
	v_dual_add_nc_u32 v2, s5, v52 :: v_dual_add_nc_u32 v4, s7, v52
	s_delay_alu instid0(VALU_DEP_1) | instskip(NEXT) | instid1(VALU_DEP_2)
	v_mul_lo_u32 v2, v2, s4
	v_mul_lo_u32 v4, v4, s6
	s_delay_alu instid0(VALU_DEP_1) | instskip(NEXT) | instid1(VALU_DEP_1)
	v_sub_nc_u32_e32 v2, v2, v4
	v_cmp_lt_u32_e32 vcc_lo, s3, v2
	v_cndmask_b32_e64 v2, 0, 1, vcc_lo
.LBB1594_9:
	s_or_b32 exec_lo, exec_lo, s2
	v_add_nc_u32_e32 v4, 1, v23
	s_mov_b32 s2, exec_lo
	s_delay_alu instid0(VALU_DEP_1)
	v_cmpx_gt_u32_e64 s23, v4
	s_cbranch_execz .LBB1594_11
; %bb.10:
	v_dual_add_nc_u32 v3, s5, v53 :: v_dual_add_nc_u32 v4, s7, v53
	s_delay_alu instid0(VALU_DEP_1) | instskip(NEXT) | instid1(VALU_DEP_2)
	v_mul_lo_u32 v3, v3, s4
	v_mul_lo_u32 v4, v4, s6
	s_delay_alu instid0(VALU_DEP_1) | instskip(NEXT) | instid1(VALU_DEP_1)
	v_sub_nc_u32_e32 v3, v3, v4
	v_cmp_lt_u32_e32 vcc_lo, s3, v3
	v_cndmask_b32_e64 v3, 0, 1, vcc_lo
.LBB1594_11:
	s_or_b32 exec_lo, exec_lo, s2
	v_dual_mov_b32 v5, 0 :: v_dual_add_nc_u32 v4, 2, v23
	s_delay_alu instid0(VALU_DEP_1)
	v_cmp_gt_u32_e32 vcc_lo, s23, v4
	v_mov_b32_e32 v4, 0
	s_and_saveexec_b32 s2, vcc_lo
	s_cbranch_execz .LBB1594_13
; %bb.12:
	v_dual_add_nc_u32 v4, s5, v50 :: v_dual_add_nc_u32 v6, s7, v50
	s_delay_alu instid0(VALU_DEP_1) | instskip(NEXT) | instid1(VALU_DEP_2)
	v_mul_lo_u32 v4, v4, s4
	v_mul_lo_u32 v6, v6, s6
	s_delay_alu instid0(VALU_DEP_1) | instskip(NEXT) | instid1(VALU_DEP_1)
	v_sub_nc_u32_e32 v4, v4, v6
	v_cmp_lt_u32_e32 vcc_lo, s3, v4
	v_cndmask_b32_e64 v4, 0, 1, vcc_lo
.LBB1594_13:
	s_or_b32 exec_lo, exec_lo, s2
	v_add_nc_u32_e32 v6, 3, v23
	s_mov_b32 s2, exec_lo
	s_delay_alu instid0(VALU_DEP_1)
	v_cmpx_gt_u32_e64 s23, v6
	s_cbranch_execz .LBB1594_15
; %bb.14:
	v_dual_add_nc_u32 v5, s5, v51 :: v_dual_add_nc_u32 v6, s7, v51
	s_delay_alu instid0(VALU_DEP_1) | instskip(NEXT) | instid1(VALU_DEP_2)
	v_mul_lo_u32 v5, v5, s4
	v_mul_lo_u32 v6, v6, s6
	s_delay_alu instid0(VALU_DEP_1) | instskip(NEXT) | instid1(VALU_DEP_1)
	v_sub_nc_u32_e32 v5, v5, v6
	v_cmp_lt_u32_e32 vcc_lo, s3, v5
	v_cndmask_b32_e64 v5, 0, 1, vcc_lo
.LBB1594_15:
	s_or_b32 exec_lo, exec_lo, s2
	v_dual_mov_b32 v7, 0 :: v_dual_add_nc_u32 v6, 4, v23
	s_delay_alu instid0(VALU_DEP_1)
	v_cmp_gt_u32_e32 vcc_lo, s23, v6
	v_mov_b32_e32 v6, 0
	s_and_saveexec_b32 s2, vcc_lo
	;; [unrolled: 33-line block ×5, first 2 shown]
	s_cbranch_execz .LBB1594_29
; %bb.28:
	v_dual_add_nc_u32 v12, s5, v42 :: v_dual_add_nc_u32 v14, s7, v42
	s_delay_alu instid0(VALU_DEP_1) | instskip(NEXT) | instid1(VALU_DEP_2)
	v_mul_lo_u32 v12, v12, s4
	v_mul_lo_u32 v14, v14, s6
	s_delay_alu instid0(VALU_DEP_1) | instskip(NEXT) | instid1(VALU_DEP_1)
	v_sub_nc_u32_e32 v12, v12, v14
	v_cmp_lt_u32_e32 vcc_lo, s3, v12
	v_cndmask_b32_e64 v12, 0, 1, vcc_lo
.LBB1594_29:
	s_or_b32 exec_lo, exec_lo, s2
	v_add_nc_u32_e32 v14, 11, v23
	s_mov_b32 s2, exec_lo
	s_delay_alu instid0(VALU_DEP_1)
	v_cmpx_gt_u32_e64 s23, v14
	s_cbranch_execz .LBB1594_31
; %bb.30:
	v_dual_add_nc_u32 v13, s5, v43 :: v_dual_add_nc_u32 v14, s7, v43
	s_delay_alu instid0(VALU_DEP_1) | instskip(NEXT) | instid1(VALU_DEP_2)
	v_mul_lo_u32 v13, v13, s4
	v_mul_lo_u32 v14, v14, s6
	s_delay_alu instid0(VALU_DEP_1) | instskip(NEXT) | instid1(VALU_DEP_1)
	v_sub_nc_u32_e32 v13, v13, v14
	v_cmp_lt_u32_e32 vcc_lo, s3, v13
	v_cndmask_b32_e64 v13, 0, 1, vcc_lo
.LBB1594_31:
	s_or_b32 exec_lo, exec_lo, s2
	v_dual_mov_b32 v25, 0 :: v_dual_add_nc_u32 v14, 12, v23
	s_mov_b32 s2, exec_lo
	s_delay_alu instid0(VALU_DEP_1)
	v_cmpx_gt_u32_e64 s23, v14
	s_cbranch_execz .LBB1594_33
; %bb.32:
	v_dual_add_nc_u32 v14, s7, v1 :: v_dual_add_nc_u32 v15, s5, v1
	s_delay_alu instid0(VALU_DEP_1) | instskip(NEXT) | instid1(VALU_DEP_2)
	v_mul_lo_u32 v14, v14, s6
	v_mul_lo_u32 v15, v15, s4
	s_delay_alu instid0(VALU_DEP_1) | instskip(NEXT) | instid1(VALU_DEP_1)
	v_sub_nc_u32_e32 v14, v15, v14
	v_cmp_lt_u32_e32 vcc_lo, s3, v14
	v_cndmask_b32_e64 v25, 0, 1, vcc_lo
.LBB1594_33:
	s_or_b32 exec_lo, exec_lo, s2
	v_lshlrev_b16 v5, 8, v5
	v_lshlrev_b16 v7, 8, v7
	;; [unrolled: 1-line block ×5, first 2 shown]
	v_or_b32_e32 v4, v4, v5
	v_or_b32_e32 v5, v6, v7
	;; [unrolled: 1-line block ×3, first 2 shown]
	s_delay_alu instid0(VALU_DEP_4) | instskip(NEXT) | instid1(VALU_DEP_3)
	v_or_b32_e32 v7, v10, v11
	v_and_b32_e32 v5, 0xffff, v5
	s_delay_alu instid0(VALU_DEP_3) | instskip(SKIP_3) | instid1(VALU_DEP_4)
	v_dual_lshlrev_b32 v6, 16, v6 :: v_dual_bitop2_b32 v2, v2, v3 bitop3:0x54
	v_lshlrev_b32_e32 v4, 16, v4
	v_lshlrev_b16 v3, 8, v13
	v_and_b32_e32 v7, 0xffff, v7
	v_or_b32_e32 v31, v5, v6
	v_and_b32_e32 v2, 0xffff, v2
	s_delay_alu instid0(VALU_DEP_4) | instskip(NEXT) | instid1(VALU_DEP_1)
	v_or_b32_e32 v3, v12, v3
	v_dual_lshlrev_b32 v3, 16, v3 :: v_dual_bitop2_b32 v35, v2, v4 bitop3:0x54
	s_delay_alu instid0(VALU_DEP_1)
	v_or_b32_e32 v27, v7, v3
.LBB1594_34:
	s_delay_alu instid0(VALU_DEP_2)
	v_bfe_u32 v39, v35, 16, 8
	v_bfe_u32 v41, v35, 8, 8
	v_and_b32_e32 v55, 0xff, v35
	v_and_b32_e32 v56, 0xff, v31
	v_mbcnt_lo_u32_b32 v62, -1, 0
	v_lshrrev_b32_e32 v37, 24, v35
	v_bfe_u32 v57, v31, 16, 8
	v_add3_u32 v2, v41, v55, v39
	v_bfe_u32 v58, v31, 8, 8
	v_and_b32_e32 v4, 15, v62
	s_load_b64 s[16:17], s[0:1], 0x28
	v_dual_lshrrev_b32 v33, 24, v31 :: v_dual_lshrrev_b32 v63, 5, v0
	v_add3_u32 v2, v2, v37, v56
	v_and_b32_e32 v59, 0xff, v27
	v_bfe_u32 v60, v27, 16, 8
	v_bfe_u32 v61, v27, 8, 8
	v_dual_lshrrev_b32 v29, 24, v27 :: v_dual_bitop2_b32 v5, 31, v0 bitop3:0x54
	v_add3_u32 v2, v2, v58, v57
	v_and_b32_e32 v3, 0xff, v25
	v_and_b32_e32 v6, 16, v62
	v_cmp_eq_u32_e64 s5, 0, v4
	v_cmp_lt_u32_e64 s4, 1, v4
	v_add3_u32 v2, v2, v33, v59
	v_cmp_lt_u32_e64 s3, 3, v4
	v_cmp_lt_u32_e64 s2, 7, v4
	s_wait_xcnt 0x0
	v_cmp_eq_u32_e64 s1, 0, v6
	v_cmp_eq_u32_e64 s0, v0, v5
	v_add3_u32 v2, v2, v61, v60
	s_cmp_lg_u32 s24, 0
	s_mov_b32 s6, -1
	s_delay_alu instid0(VALU_DEP_1)
	v_add3_u32 v64, v2, v29, v3
	s_cbranch_scc0 .LBB1594_56
; %bb.35:
	s_delay_alu instid0(VALU_DEP_1) | instskip(NEXT) | instid1(VALU_DEP_1)
	v_mov_b32_dpp v2, v64 row_shr:1 row_mask:0xf bank_mask:0xf
	v_cndmask_b32_e64 v2, v2, 0, s5
	s_delay_alu instid0(VALU_DEP_1) | instskip(NEXT) | instid1(VALU_DEP_1)
	v_add_nc_u32_e32 v2, v2, v64
	v_mov_b32_dpp v3, v2 row_shr:2 row_mask:0xf bank_mask:0xf
	s_delay_alu instid0(VALU_DEP_1) | instskip(NEXT) | instid1(VALU_DEP_1)
	v_cndmask_b32_e64 v3, 0, v3, s4
	v_add_nc_u32_e32 v2, v2, v3
	s_delay_alu instid0(VALU_DEP_1) | instskip(NEXT) | instid1(VALU_DEP_1)
	v_mov_b32_dpp v3, v2 row_shr:4 row_mask:0xf bank_mask:0xf
	v_cndmask_b32_e64 v3, 0, v3, s3
	s_delay_alu instid0(VALU_DEP_1) | instskip(NEXT) | instid1(VALU_DEP_1)
	v_add_nc_u32_e32 v2, v2, v3
	v_mov_b32_dpp v3, v2 row_shr:8 row_mask:0xf bank_mask:0xf
	s_delay_alu instid0(VALU_DEP_1) | instskip(NEXT) | instid1(VALU_DEP_1)
	v_cndmask_b32_e64 v3, 0, v3, s2
	v_add_nc_u32_e32 v2, v2, v3
	ds_swizzle_b32 v3, v2 offset:swizzle(BROADCAST,32,15)
	s_wait_dscnt 0x0
	v_cndmask_b32_e64 v3, v3, 0, s1
	s_delay_alu instid0(VALU_DEP_1)
	v_add_nc_u32_e32 v2, v2, v3
	s_and_saveexec_b32 s6, s0
; %bb.36:
	v_lshlrev_b32_e32 v3, 2, v63
	ds_store_b32 v3, v2
; %bb.37:
	s_or_b32 exec_lo, exec_lo, s6
	s_delay_alu instid0(SALU_CYCLE_1)
	s_mov_b32 s6, exec_lo
	s_wait_dscnt 0x0
	s_barrier_signal -1
	s_barrier_wait -1
	v_cmpx_gt_u32_e32 8, v0
	s_cbranch_execz .LBB1594_39
; %bb.38:
	ds_load_b32 v3, v19
	s_wait_dscnt 0x0
	v_mov_b32_dpp v5, v3 row_shr:1 row_mask:0xf bank_mask:0xf
	v_and_b32_e32 v4, 7, v62
	s_delay_alu instid0(VALU_DEP_1) | instskip(NEXT) | instid1(VALU_DEP_3)
	v_cmp_ne_u32_e32 vcc_lo, 0, v4
	v_cndmask_b32_e32 v5, 0, v5, vcc_lo
	v_cmp_lt_u32_e32 vcc_lo, 1, v4
	s_delay_alu instid0(VALU_DEP_2) | instskip(NEXT) | instid1(VALU_DEP_1)
	v_add_nc_u32_e32 v3, v5, v3
	v_mov_b32_dpp v5, v3 row_shr:2 row_mask:0xf bank_mask:0xf
	s_delay_alu instid0(VALU_DEP_1) | instskip(SKIP_1) | instid1(VALU_DEP_2)
	v_cndmask_b32_e32 v5, 0, v5, vcc_lo
	v_cmp_lt_u32_e32 vcc_lo, 3, v4
	v_add_nc_u32_e32 v3, v3, v5
	s_delay_alu instid0(VALU_DEP_1) | instskip(NEXT) | instid1(VALU_DEP_1)
	v_mov_b32_dpp v5, v3 row_shr:4 row_mask:0xf bank_mask:0xf
	v_cndmask_b32_e32 v4, 0, v5, vcc_lo
	s_delay_alu instid0(VALU_DEP_1)
	v_add_nc_u32_e32 v3, v3, v4
	ds_store_b32 v19, v3
.LBB1594_39:
	s_or_b32 exec_lo, exec_lo, s6
	s_delay_alu instid0(SALU_CYCLE_1)
	s_mov_b32 s7, exec_lo
	v_cmp_gt_u32_e32 vcc_lo, 32, v0
	s_wait_dscnt 0x0
	s_barrier_signal -1
	s_barrier_wait -1
                                        ; implicit-def: $vgpr10
	v_cmpx_lt_u32_e32 31, v0
	s_cbranch_execz .LBB1594_41
; %bb.40:
	v_lshl_add_u32 v3, v63, 2, -4
	ds_load_b32 v10, v3
	s_wait_dscnt 0x0
	v_add_nc_u32_e32 v2, v10, v2
.LBB1594_41:
	s_or_b32 exec_lo, exec_lo, s7
	v_sub_co_u32 v3, s6, v62, 1
	s_delay_alu instid0(VALU_DEP_1) | instskip(NEXT) | instid1(VALU_DEP_1)
	v_cmp_gt_i32_e64 s7, 0, v3
	v_cndmask_b32_e64 v3, v3, v62, s7
	s_delay_alu instid0(VALU_DEP_1)
	v_lshlrev_b32_e32 v3, 2, v3
	ds_bpermute_b32 v11, v3, v2
	s_and_saveexec_b32 s7, vcc_lo
	s_cbranch_execz .LBB1594_61
; %bb.42:
	v_mov_b32_e32 v9, 0
	ds_load_b32 v2, v9 offset:28
	s_and_saveexec_b32 s11, s6
	s_cbranch_execz .LBB1594_44
; %bb.43:
	s_add_co_i32 s25, s24, 32
	s_delay_alu instid0(SALU_CYCLE_1)
	v_dual_mov_b32 v3, 1 :: v_dual_mov_b32 v4, s25
	s_wait_dscnt 0x0
	s_wait_kmcnt 0x0
	global_store_b64 v4, v[2:3], s[20:21] scale_offset scope:SCOPE_DEV
.LBB1594_44:
	s_wait_xcnt 0x0
	s_or_b32 exec_lo, exec_lo, s11
	v_xad_u32 v4, v62, -1, s24
	s_mov_b32 s25, 0
	s_mov_b32 s11, exec_lo
	s_delay_alu instid0(VALU_DEP_1)
	v_add_nc_u32_e32 v8, 32, v4
	s_wait_kmcnt 0x0
	global_load_b64 v[6:7], v8, s[20:21] scale_offset scope:SCOPE_DEV
	s_wait_loadcnt 0x0
	v_and_b32_e32 v3, 0xff, v7
	s_wait_xcnt 0x0
	s_delay_alu instid0(VALU_DEP_1)
	v_cmpx_eq_u16_e32 0, v3
	s_cbranch_execz .LBB1594_48
; %bb.45:
	v_lshl_add_u64 v[8:9], v[8:9], 3, s[20:21]
.LBB1594_46:                            ; =>This Inner Loop Header: Depth=1
	global_load_b64 v[6:7], v[8:9], off scope:SCOPE_DEV
	s_wait_loadcnt 0x0
	v_and_b32_e32 v3, 0xff, v7
	s_delay_alu instid0(VALU_DEP_1)
	v_cmp_ne_u16_e32 vcc_lo, 0, v3
	s_or_b32 s25, vcc_lo, s25
	s_wait_xcnt 0x0
	s_and_not1_b32 exec_lo, exec_lo, s25
	s_cbranch_execnz .LBB1594_46
; %bb.47:
	s_or_b32 exec_lo, exec_lo, s25
.LBB1594_48:
	s_delay_alu instid0(SALU_CYCLE_1)
	s_or_b32 exec_lo, exec_lo, s11
	v_cmp_ne_u32_e32 vcc_lo, 31, v62
	v_lshlrev_b32_e64 v13, v62, -1
	v_dual_add_nc_u32 v15, 2, v62 :: v_dual_add_nc_u32 v17, 4, v62
	v_dual_add_nc_u32 v65, 8, v62 :: v_dual_add_nc_u32 v67, 16, v62
	v_add_co_ci_u32_e64 v3, null, 0, v62, vcc_lo
	v_lshl_or_b32 v66, v62, 2, 64
	s_delay_alu instid0(VALU_DEP_2)
	v_lshlrev_b32_e32 v12, 2, v3
	v_and_b32_e32 v3, 0xff, v7
	ds_bpermute_b32 v5, v12, v6
	v_cmp_eq_u16_e32 vcc_lo, 2, v3
	v_and_or_b32 v3, vcc_lo, v13, 0x80000000
	v_cmp_gt_u32_e32 vcc_lo, 30, v62
	s_delay_alu instid0(VALU_DEP_2) | instskip(SKIP_1) | instid1(VALU_DEP_2)
	v_ctz_i32_b32_e32 v3, v3
	v_cndmask_b32_e64 v8, 0, 2, vcc_lo
	v_cmp_lt_u32_e32 vcc_lo, v62, v3
	s_delay_alu instid0(VALU_DEP_2)
	v_add_lshl_u32 v14, v8, v62, 2
	s_wait_dscnt 0x0
	v_cndmask_b32_e32 v5, 0, v5, vcc_lo
	v_cmp_gt_u32_e32 vcc_lo, 28, v62
	v_cndmask_b32_e64 v8, 0, 4, vcc_lo
	v_cmp_le_u32_e32 vcc_lo, v15, v3
	s_delay_alu instid0(VALU_DEP_4) | instskip(NEXT) | instid1(VALU_DEP_3)
	v_add_nc_u32_e32 v5, v5, v6
	v_add_lshl_u32 v16, v8, v62, 2
	ds_bpermute_b32 v6, v14, v5
	s_wait_dscnt 0x0
	v_cndmask_b32_e32 v6, 0, v6, vcc_lo
	v_cmp_gt_u32_e32 vcc_lo, 24, v62
	v_cndmask_b32_e64 v8, 0, 8, vcc_lo
	v_cmp_le_u32_e32 vcc_lo, v17, v3
	s_delay_alu instid0(VALU_DEP_4) | instskip(NEXT) | instid1(VALU_DEP_3)
	v_add_nc_u32_e32 v5, v5, v6
	v_add_lshl_u32 v54, v8, v62, 2
	ds_bpermute_b32 v6, v16, v5
	s_wait_dscnt 0x0
	v_cndmask_b32_e32 v6, 0, v6, vcc_lo
	v_cmp_le_u32_e32 vcc_lo, v65, v3
	s_delay_alu instid0(VALU_DEP_2) | instskip(SKIP_4) | instid1(VALU_DEP_2)
	v_add_nc_u32_e32 v5, v5, v6
	ds_bpermute_b32 v6, v54, v5
	s_wait_dscnt 0x0
	v_cndmask_b32_e32 v6, 0, v6, vcc_lo
	v_cmp_le_u32_e32 vcc_lo, v67, v3
	v_add_nc_u32_e32 v5, v5, v6
	ds_bpermute_b32 v6, v66, v5
	s_wait_dscnt 0x0
	v_cndmask_b32_e32 v3, 0, v6, vcc_lo
	s_delay_alu instid0(VALU_DEP_1)
	v_dual_mov_b32 v5, 0 :: v_dual_add_nc_u32 v6, v5, v3
	s_branch .LBB1594_52
.LBB1594_49:                            ;   in Loop: Header=BB1594_52 Depth=1
	s_or_b32 exec_lo, exec_lo, s25
.LBB1594_50:                            ;   in Loop: Header=BB1594_52 Depth=1
	s_delay_alu instid0(SALU_CYCLE_1)
	s_or_b32 exec_lo, exec_lo, s11
	v_and_b32_e32 v8, 0xff, v7
	ds_bpermute_b32 v9, v12, v6
	v_subrev_nc_u32_e32 v4, 32, v4
	s_mov_b32 s11, 0
	v_cmp_eq_u16_e32 vcc_lo, 2, v8
	v_and_or_b32 v8, vcc_lo, v13, 0x80000000
	s_delay_alu instid0(VALU_DEP_1) | instskip(NEXT) | instid1(VALU_DEP_1)
	v_ctz_i32_b32_e32 v8, v8
	v_cmp_lt_u32_e32 vcc_lo, v62, v8
	s_wait_dscnt 0x0
	v_cndmask_b32_e32 v9, 0, v9, vcc_lo
	v_cmp_le_u32_e32 vcc_lo, v15, v8
	s_delay_alu instid0(VALU_DEP_2) | instskip(SKIP_4) | instid1(VALU_DEP_2)
	v_add_nc_u32_e32 v6, v9, v6
	ds_bpermute_b32 v9, v14, v6
	s_wait_dscnt 0x0
	v_cndmask_b32_e32 v9, 0, v9, vcc_lo
	v_cmp_le_u32_e32 vcc_lo, v17, v8
	v_add_nc_u32_e32 v6, v6, v9
	ds_bpermute_b32 v9, v16, v6
	s_wait_dscnt 0x0
	v_cndmask_b32_e32 v9, 0, v9, vcc_lo
	v_cmp_le_u32_e32 vcc_lo, v65, v8
	s_delay_alu instid0(VALU_DEP_2) | instskip(SKIP_4) | instid1(VALU_DEP_2)
	v_add_nc_u32_e32 v6, v6, v9
	ds_bpermute_b32 v9, v54, v6
	s_wait_dscnt 0x0
	v_cndmask_b32_e32 v9, 0, v9, vcc_lo
	v_cmp_le_u32_e32 vcc_lo, v67, v8
	v_add_nc_u32_e32 v6, v6, v9
	ds_bpermute_b32 v9, v66, v6
	s_wait_dscnt 0x0
	v_cndmask_b32_e32 v8, 0, v9, vcc_lo
	s_delay_alu instid0(VALU_DEP_1)
	v_add3_u32 v6, v8, v3, v6
.LBB1594_51:                            ;   in Loop: Header=BB1594_52 Depth=1
	s_and_b32 vcc_lo, exec_lo, s11
	s_cbranch_vccnz .LBB1594_57
.LBB1594_52:                            ; =>This Loop Header: Depth=1
                                        ;     Child Loop BB1594_55 Depth 2
	v_and_b32_e32 v3, 0xff, v7
	s_mov_b32 s11, -1
                                        ; implicit-def: $vgpr7
	s_delay_alu instid0(VALU_DEP_1)
	v_cmp_ne_u16_e32 vcc_lo, 2, v3
	v_mov_b32_e32 v3, v6
                                        ; implicit-def: $vgpr6
	s_cmp_lg_u32 vcc_lo, exec_lo
	s_cbranch_scc1 .LBB1594_51
; %bb.53:                               ;   in Loop: Header=BB1594_52 Depth=1
	global_load_b64 v[6:7], v4, s[20:21] scale_offset scope:SCOPE_DEV
	s_mov_b32 s11, exec_lo
	s_wait_loadcnt 0x0
	v_and_b32_e32 v8, 0xff, v7
	s_wait_xcnt 0x0
	s_delay_alu instid0(VALU_DEP_1)
	v_cmpx_eq_u16_e32 0, v8
	s_cbranch_execz .LBB1594_50
; %bb.54:                               ;   in Loop: Header=BB1594_52 Depth=1
	v_lshl_add_u64 v[8:9], v[4:5], 3, s[20:21]
	s_mov_b32 s25, 0
.LBB1594_55:                            ;   Parent Loop BB1594_52 Depth=1
                                        ; =>  This Inner Loop Header: Depth=2
	global_load_b64 v[6:7], v[8:9], off scope:SCOPE_DEV
	s_wait_loadcnt 0x0
	v_and_b32_e32 v68, 0xff, v7
	s_delay_alu instid0(VALU_DEP_1)
	v_cmp_ne_u16_e32 vcc_lo, 0, v68
	s_or_b32 s25, vcc_lo, s25
	s_wait_xcnt 0x0
	s_and_not1_b32 exec_lo, exec_lo, s25
	s_cbranch_execnz .LBB1594_55
	s_branch .LBB1594_49
.LBB1594_56:
                                        ; implicit-def: $vgpr2_vgpr3_vgpr4_vgpr5_vgpr6_vgpr7_vgpr8_vgpr9_vgpr10_vgpr11_vgpr12_vgpr13_vgpr14_vgpr15_vgpr16_vgpr17
                                        ; implicit-def: $vgpr54
                                        ; implicit-def: $vgpr16
	s_and_b32 vcc_lo, exec_lo, s6
	s_cbranch_vccnz .LBB1594_62
	s_branch .LBB1594_71
.LBB1594_57:
	s_and_saveexec_b32 s11, s6
	s_cbranch_execz .LBB1594_59
; %bb.58:
	s_add_co_i32 s24, s24, 32
	v_dual_mov_b32 v5, 2 :: v_dual_add_nc_u32 v4, v3, v2
	v_dual_mov_b32 v6, s24 :: v_dual_mov_b32 v7, 0
	global_store_b64 v6, v[4:5], s[20:21] scale_offset scope:SCOPE_DEV
	ds_store_b64 v7, v[2:3] offset:13312
.LBB1594_59:
	s_wait_xcnt 0x0
	s_or_b32 exec_lo, exec_lo, s11
	v_cmp_eq_u32_e32 vcc_lo, 0, v0
	s_and_b32 exec_lo, exec_lo, vcc_lo
; %bb.60:
	v_mov_b32_e32 v2, 0
	ds_store_b32 v2, v3 offset:28
.LBB1594_61:
	s_or_b32 exec_lo, exec_lo, s7
	s_wait_dscnt 0x0
	v_dual_mov_b32 v12, 0 :: v_dual_cndmask_b32 v3, v11, v10, s6
	s_wait_storecnt 0x0
	s_barrier_signal -1
	s_barrier_wait -1
	ds_load_b32 v2, v12 offset:28
	v_cmp_ne_u32_e32 vcc_lo, 0, v0
	s_wait_dscnt 0x0
	s_barrier_signal -1
	s_barrier_wait -1
	v_cndmask_b32_e32 v3, 0, v3, vcc_lo
	ds_load_b64 v[16:17], v12 offset:13312
	v_add_nc_u32_e32 v2, v2, v3
	s_wait_dscnt 0x0
	s_delay_alu instid0(VALU_DEP_1) | instskip(NEXT) | instid1(VALU_DEP_1)
	v_dual_mov_b32 v54, v17 :: v_dual_add_nc_u32 v3, v2, v55
	v_add_nc_u32_e32 v4, v3, v41
	s_delay_alu instid0(VALU_DEP_1) | instskip(NEXT) | instid1(VALU_DEP_1)
	v_add_nc_u32_e32 v5, v4, v39
	v_add_nc_u32_e32 v6, v5, v37
	s_delay_alu instid0(VALU_DEP_1) | instskip(NEXT) | instid1(VALU_DEP_1)
	v_add_nc_u32_e32 v7, v6, v56
	;; [unrolled: 3-line block ×5, first 2 shown]
	v_add_nc_u32_e32 v14, v13, v29
	s_branch .LBB1594_71
.LBB1594_62:
	v_mov_b32_dpp v2, v64 row_shr:1 row_mask:0xf bank_mask:0xf
	s_delay_alu instid0(VALU_DEP_1) | instskip(NEXT) | instid1(VALU_DEP_1)
	v_cndmask_b32_e64 v2, v2, 0, s5
	v_add_nc_u32_e32 v2, v2, v64
	s_delay_alu instid0(VALU_DEP_1) | instskip(NEXT) | instid1(VALU_DEP_1)
	v_mov_b32_dpp v3, v2 row_shr:2 row_mask:0xf bank_mask:0xf
	v_cndmask_b32_e64 v3, 0, v3, s4
	s_delay_alu instid0(VALU_DEP_1) | instskip(NEXT) | instid1(VALU_DEP_1)
	v_add_nc_u32_e32 v2, v2, v3
	v_mov_b32_dpp v3, v2 row_shr:4 row_mask:0xf bank_mask:0xf
	s_delay_alu instid0(VALU_DEP_1) | instskip(NEXT) | instid1(VALU_DEP_1)
	v_cndmask_b32_e64 v3, 0, v3, s3
	v_add_nc_u32_e32 v2, v2, v3
	s_delay_alu instid0(VALU_DEP_1) | instskip(NEXT) | instid1(VALU_DEP_1)
	v_mov_b32_dpp v3, v2 row_shr:8 row_mask:0xf bank_mask:0xf
	v_cndmask_b32_e64 v3, 0, v3, s2
	s_delay_alu instid0(VALU_DEP_1) | instskip(SKIP_3) | instid1(VALU_DEP_1)
	v_add_nc_u32_e32 v2, v2, v3
	ds_swizzle_b32 v3, v2 offset:swizzle(BROADCAST,32,15)
	s_wait_dscnt 0x0
	v_cndmask_b32_e64 v3, v3, 0, s1
	v_add_nc_u32_e32 v2, v2, v3
	s_and_saveexec_b32 s1, s0
; %bb.63:
	v_lshlrev_b32_e32 v3, 2, v63
	ds_store_b32 v3, v2
; %bb.64:
	s_or_b32 exec_lo, exec_lo, s1
	s_delay_alu instid0(SALU_CYCLE_1)
	s_mov_b32 s0, exec_lo
	s_wait_dscnt 0x0
	s_barrier_signal -1
	s_barrier_wait -1
	v_cmpx_gt_u32_e32 8, v0
	s_cbranch_execz .LBB1594_66
; %bb.65:
	ds_load_b32 v3, v19
	s_wait_dscnt 0x0
	v_mov_b32_dpp v5, v3 row_shr:1 row_mask:0xf bank_mask:0xf
	v_and_b32_e32 v4, 7, v62
	s_delay_alu instid0(VALU_DEP_1) | instskip(NEXT) | instid1(VALU_DEP_3)
	v_cmp_ne_u32_e32 vcc_lo, 0, v4
	v_cndmask_b32_e32 v5, 0, v5, vcc_lo
	v_cmp_lt_u32_e32 vcc_lo, 1, v4
	s_delay_alu instid0(VALU_DEP_2) | instskip(NEXT) | instid1(VALU_DEP_1)
	v_add_nc_u32_e32 v3, v5, v3
	v_mov_b32_dpp v5, v3 row_shr:2 row_mask:0xf bank_mask:0xf
	s_delay_alu instid0(VALU_DEP_1) | instskip(SKIP_1) | instid1(VALU_DEP_2)
	v_cndmask_b32_e32 v5, 0, v5, vcc_lo
	v_cmp_lt_u32_e32 vcc_lo, 3, v4
	v_add_nc_u32_e32 v3, v3, v5
	s_delay_alu instid0(VALU_DEP_1) | instskip(NEXT) | instid1(VALU_DEP_1)
	v_mov_b32_dpp v5, v3 row_shr:4 row_mask:0xf bank_mask:0xf
	v_cndmask_b32_e32 v4, 0, v5, vcc_lo
	s_delay_alu instid0(VALU_DEP_1)
	v_add_nc_u32_e32 v3, v3, v4
	ds_store_b32 v19, v3
.LBB1594_66:
	s_or_b32 exec_lo, exec_lo, s0
	v_dual_mov_b32 v4, 0 :: v_dual_mov_b32 v3, 0
	s_mov_b32 s0, exec_lo
	s_wait_dscnt 0x0
	s_barrier_signal -1
	s_barrier_wait -1
	v_cmpx_lt_u32_e32 31, v0
; %bb.67:
	v_lshl_add_u32 v3, v63, 2, -4
	ds_load_b32 v3, v3
; %bb.68:
	s_or_b32 exec_lo, exec_lo, s0
	v_sub_co_u32 v5, vcc_lo, v62, 1
	ds_load_b32 v16, v4 offset:28
	v_cmp_gt_i32_e64 s0, 0, v5
	s_delay_alu instid0(VALU_DEP_1) | instskip(SKIP_3) | instid1(VALU_DEP_3)
	v_cndmask_b32_e64 v5, v5, v62, s0
	s_wait_dscnt 0x1
	v_add_nc_u32_e32 v2, v3, v2
	v_cmp_eq_u32_e64 s0, 0, v0
	v_lshlrev_b32_e32 v5, 2, v5
	ds_bpermute_b32 v2, v5, v2
	s_and_saveexec_b32 s1, s0
	s_cbranch_execz .LBB1594_70
; %bb.69:
	v_dual_mov_b32 v4, 0 :: v_dual_mov_b32 v17, 2
	s_wait_dscnt 0x1
	s_wait_kmcnt 0x0
	global_store_b64 v4, v[16:17], s[20:21] offset:256 scope:SCOPE_DEV
.LBB1594_70:
	s_wait_xcnt 0x0
	s_or_b32 exec_lo, exec_lo, s1
	s_wait_dscnt 0x0
	v_cndmask_b32_e32 v2, v2, v3, vcc_lo
	s_wait_storecnt 0x0
	s_barrier_signal -1
	s_barrier_wait -1
	s_delay_alu instid0(VALU_DEP_1) | instskip(NEXT) | instid1(VALU_DEP_1)
	v_cndmask_b32_e64 v2, v2, 0, s0
	v_dual_mov_b32 v54, 0 :: v_dual_add_nc_u32 v3, v2, v55
	s_delay_alu instid0(VALU_DEP_1) | instskip(NEXT) | instid1(VALU_DEP_1)
	v_add_nc_u32_e32 v4, v3, v41
	v_add_nc_u32_e32 v5, v4, v39
	s_delay_alu instid0(VALU_DEP_1) | instskip(NEXT) | instid1(VALU_DEP_1)
	v_add_nc_u32_e32 v6, v5, v37
	v_add_nc_u32_e32 v7, v6, v56
	;; [unrolled: 3-line block ×5, first 2 shown]
	s_delay_alu instid0(VALU_DEP_1)
	v_add_nc_u32_e32 v14, v13, v29
.LBB1594_71:
	v_dual_lshrrev_b32 v55, 16, v35 :: v_dual_lshrrev_b32 v56, 8, v35
	v_dual_add_nc_u32 v23, v16, v23 :: v_dual_sub_nc_u32 v3, v3, v54
	v_dual_sub_nc_u32 v2, v2, v54 :: v_dual_bitop2_b32 v35, 1, v35 bitop3:0x40
	s_delay_alu instid0(VALU_DEP_3) | instskip(NEXT) | instid1(VALU_DEP_4)
	v_dual_sub_nc_u32 v4, v4, v54 :: v_dual_bitop2_b32 v56, 1, v56 bitop3:0x40
	v_and_b32_e32 v55, 1, v55
	s_delay_alu instid0(VALU_DEP_3) | instskip(NEXT) | instid1(VALU_DEP_4)
	v_dual_sub_nc_u32 v57, v23, v3 :: v_dual_sub_nc_u32 v58, v23, v2
	v_cmp_eq_u32_e32 vcc_lo, 1, v35
	s_delay_alu instid0(VALU_DEP_4) | instskip(NEXT) | instid1(VALU_DEP_3)
	v_dual_sub_nc_u32 v5, v5, v54 :: v_dual_sub_nc_u32 v59, v23, v4
	v_dual_add_nc_u32 v57, 1, v57 :: v_dual_sub_nc_u32 v6, v6, v54
	s_delay_alu instid0(VALU_DEP_4) | instskip(SKIP_1) | instid1(VALU_DEP_4)
	v_cndmask_b32_e32 v2, v58, v2, vcc_lo
	v_cmp_eq_u32_e32 vcc_lo, 1, v56
	v_dual_sub_nc_u32 v35, v23, v5 :: v_dual_add_nc_u32 v56, 2, v59
	v_dual_lshrrev_b32 v41, 8, v31 :: v_dual_lshrrev_b32 v39, 16, v31
	v_dual_cndmask_b32 v3, v57, v3, vcc_lo :: v_dual_bitop2_b32 v37, 1, v37 bitop3:0x40
	v_lshlrev_b32_e32 v2, 2, v2
	v_cmp_eq_u32_e32 vcc_lo, 1, v55
	v_add_nc_u32_e32 v35, 3, v35
	s_delay_alu instid0(VALU_DEP_4)
	v_lshlrev_b32_e32 v3, 2, v3
	v_dual_lshrrev_b32 v15, 16, v27 :: v_dual_lshrrev_b32 v17, 8, v27
	v_cndmask_b32_e32 v4, v56, v4, vcc_lo
	v_cmp_eq_u32_e32 vcc_lo, 1, v37
	ds_store_b32 v2, v52
	ds_store_b32 v3, v53
	v_dual_lshlrev_b32 v3, 2, v4 :: v_dual_cndmask_b32 v5, v35, v5, vcc_lo
	s_delay_alu instid0(VALU_DEP_1) | instskip(SKIP_1) | instid1(VALU_DEP_2)
	v_dual_sub_nc_u32 v2, v23, v6 :: v_dual_lshlrev_b32 v4, 2, v5
	v_dual_sub_nc_u32 v5, v7, v54 :: v_dual_bitop2_b32 v7, 1, v31 bitop3:0x40
	v_add_nc_u32_e32 v2, 4, v2
	ds_store_b32 v3, v50
	ds_store_b32 v4, v51
	v_sub_nc_u32_e32 v3, v23, v5
	v_cmp_eq_u32_e32 vcc_lo, 1, v7
	s_delay_alu instid0(VALU_DEP_2) | instskip(SKIP_1) | instid1(VALU_DEP_2)
	v_dual_sub_nc_u32 v4, v8, v54 :: v_dual_add_nc_u32 v3, 5, v3
	v_dual_cndmask_b32 v2, v2, v6, vcc_lo :: v_dual_bitop2_b32 v6, 1, v41 bitop3:0x40
	v_dual_sub_nc_u32 v7, v9, v54 :: v_dual_sub_nc_u32 v8, v23, v4
	s_delay_alu instid0(VALU_DEP_2) | instskip(NEXT) | instid1(VALU_DEP_2)
	v_cmp_eq_u32_e32 vcc_lo, 1, v6
	v_dual_lshlrev_b32 v2, 2, v2 :: v_dual_add_nc_u32 v8, 6, v8
	v_cndmask_b32_e32 v3, v3, v5, vcc_lo
	s_delay_alu instid0(VALU_DEP_4)
	v_sub_nc_u32_e32 v5, v23, v7
	v_and_b32_e32 v6, 1, v39
	ds_store_b32 v2, v48
	v_dual_lshlrev_b32 v3, 2, v3 :: v_dual_add_nc_u32 v5, 7, v5
	v_cmp_eq_u32_e32 vcc_lo, 1, v6
	v_dual_sub_nc_u32 v6, v11, v54 :: v_dual_bitop2_b32 v2, 1, v33 bitop3:0x40
	ds_store_b32 v3, v49
	v_cndmask_b32_e32 v4, v8, v4, vcc_lo
	v_cmp_eq_u32_e32 vcc_lo, 1, v2
	s_delay_alu instid0(VALU_DEP_2)
	v_dual_lshlrev_b32 v4, 2, v4 :: v_dual_cndmask_b32 v2, v5, v7, vcc_lo
	v_dual_sub_nc_u32 v5, v10, v54 :: v_dual_bitop2_b32 v7, 1, v17 bitop3:0x40
	v_sub_nc_u32_e32 v3, v23, v6
	ds_store_b32 v4, v46
	v_dual_sub_nc_u32 v4, v23, v5 :: v_dual_lshlrev_b32 v2, 2, v2
	v_add_nc_u32_e32 v3, 9, v3
	v_cmp_eq_u32_e32 vcc_lo, 1, v7
	s_delay_alu instid0(VALU_DEP_3) | instskip(SKIP_3) | instid1(VALU_DEP_2)
	v_dual_sub_nc_u32 v7, v12, v54 :: v_dual_add_nc_u32 v4, 8, v4
	ds_store_b32 v2, v47
	v_dual_cndmask_b32 v3, v3, v6, vcc_lo :: v_dual_bitop2_b32 v2, 1, v27 bitop3:0x40
	v_dual_sub_nc_u32 v6, v13, v54 :: v_dual_sub_nc_u32 v8, v14, v54
	v_cmp_eq_u32_e32 vcc_lo, 1, v2
	v_dual_cndmask_b32 v2, v4, v5 :: v_dual_sub_nc_u32 v5, v23, v7
	s_delay_alu instid0(VALU_DEP_3) | instskip(SKIP_1) | instid1(VALU_DEP_3)
	v_dual_sub_nc_u32 v4, v23, v6 :: v_dual_sub_nc_u32 v9, v23, v8
	v_and_b32_e32 v10, 1, v15
	v_dual_lshlrev_b32 v2, 2, v2 :: v_dual_bitop2_b32 v12, 1, v25 bitop3:0x40
	s_delay_alu instid0(VALU_DEP_3) | instskip(NEXT) | instid1(VALU_DEP_1)
	v_dual_add_nc_u32 v4, 11, v4 :: v_dual_bitop2_b32 v11, 1, v29 bitop3:0x40
	v_cmp_eq_u32_e32 vcc_lo, 1, v11
	s_delay_alu instid0(VALU_DEP_2) | instskip(SKIP_3) | instid1(VALU_DEP_1)
	v_cndmask_b32_e32 v4, v4, v6, vcc_lo
	v_cmp_eq_u32_e32 vcc_lo, 1, v10
	v_add_nc_u32_e32 v9, 12, v9
	v_add_nc_u32_e32 v5, 10, v5
	v_cndmask_b32_e32 v5, v5, v7, vcc_lo
	v_cmp_eq_u32_e32 vcc_lo, 1, v12
	s_delay_alu instid0(VALU_DEP_2) | instskip(SKIP_3) | instid1(VALU_DEP_3)
	v_dual_lshlrev_b32 v3, 2, v3 :: v_dual_lshlrev_b32 v5, 2, v5
	v_cndmask_b32_e32 v6, v9, v8, vcc_lo
	v_lshlrev_b32_e32 v4, 2, v4
	v_cmp_ne_u32_e32 vcc_lo, 1, v21
	v_lshlrev_b32_e32 v6, 2, v6
	ds_store_b32 v2, v44
	ds_store_b32 v3, v45
	;; [unrolled: 1-line block ×5, first 2 shown]
	s_wait_dscnt 0x0
	s_barrier_signal -1
	s_barrier_wait -1
	ds_load_2addr_stride64_b32 v[14:15], v19 offset1:4
	ds_load_2addr_stride64_b32 v[12:13], v19 offset0:8 offset1:12
	ds_load_2addr_stride64_b32 v[10:11], v19 offset0:16 offset1:20
	ds_load_2addr_stride64_b32 v[8:9], v19 offset0:24 offset1:28
	ds_load_2addr_stride64_b32 v[6:7], v19 offset0:32 offset1:36
	ds_load_2addr_stride64_b32 v[4:5], v19 offset0:40 offset1:44
	ds_load_b32 v46, v19 offset:12288
	v_mov_b32_e32 v1, 0
	s_and_b32 vcc_lo, exec_lo, vcc_lo
	s_delay_alu instid0(VALU_DEP_1) | instskip(SKIP_3) | instid1(VALU_DEP_3)
	v_dual_mov_b32 v29, v1 :: v_dual_mov_b32 v55, v1
	v_dual_mov_b32 v41, v1 :: v_dual_mov_b32 v39, v1
	;; [unrolled: 1-line block ×3, first 2 shown]
	s_wait_kmcnt 0x0
	v_add_nc_u64_e32 v[2:3], s[18:19], v[54:55]
	v_dual_mov_b32 v33, v1 :: v_dual_mov_b32 v31, v1
	v_dual_mov_b32 v27, v1 :: v_dual_mov_b32 v25, v1
	;; [unrolled: 1-line block ×3, first 2 shown]
	v_mov_b32_e32 v19, v1
	s_cbranch_vccnz .LBB1594_125
; %bb.72:
	v_mov_b32_e32 v17, v1
	s_mov_b32 s11, 0
	v_sub_nc_u64_e64 v[42:43], v[2:3], s[12:13]
	s_sub_nc_u64 s[0:1], s[14:15], s[10:11]
	s_delay_alu instid0(VALU_DEP_2) | instid1(SALU_CYCLE_1)
	v_add_nc_u64_e32 v[44:45], s[0:1], v[16:17]
	s_mov_b32 s0, exec_lo
	s_delay_alu instid0(VALU_DEP_1)
	v_add_nc_u64_e32 v[42:43], v[44:45], v[42:43]
                                        ; implicit-def: $vgpr44_vgpr45
	v_cmpx_ge_u32_e64 v0, v16
	s_xor_b32 s0, exec_lo, s0
; %bb.73:
	v_not_b32_e32 v44, v0
	s_delay_alu instid0(VALU_DEP_1) | instskip(NEXT) | instid1(VALU_DEP_1)
	v_ashrrev_i32_e32 v45, 31, v44
	v_add_nc_u64_e32 v[44:45], v[42:43], v[44:45]
; %bb.74:
	s_and_not1_saveexec_b32 s0, s0
; %bb.75:
	v_add_nc_u64_e32 v[44:45], v[2:3], v[0:1]
; %bb.76:
	s_or_b32 exec_lo, exec_lo, s0
	s_delay_alu instid0(VALU_DEP_1)
	v_lshl_add_u64 v[44:45], v[44:45], 2, s[16:17]
	s_mov_b32 s0, exec_lo
	s_wait_dscnt 0x6
	global_store_b32 v[44:45], v14, off
                                        ; implicit-def: $vgpr44_vgpr45
	s_wait_xcnt 0x0
	v_cmpx_ge_u32_e64 v40, v16
	s_xor_b32 s0, exec_lo, s0
; %bb.77:
	v_xor_b32_e32 v44, 0xfffffeff, v0
	s_delay_alu instid0(VALU_DEP_1) | instskip(NEXT) | instid1(VALU_DEP_1)
	v_ashrrev_i32_e32 v45, 31, v44
	v_add_nc_u64_e32 v[44:45], v[42:43], v[44:45]
; %bb.78:
	s_and_not1_saveexec_b32 s0, s0
; %bb.79:
	v_add_nc_u64_e32 v[44:45], v[2:3], v[40:41]
; %bb.80:
	s_or_b32 exec_lo, exec_lo, s0
	s_delay_alu instid0(VALU_DEP_1)
	v_lshl_add_u64 v[44:45], v[44:45], 2, s[16:17]
	s_mov_b32 s0, exec_lo
	global_store_b32 v[44:45], v15, off
                                        ; implicit-def: $vgpr44_vgpr45
	s_wait_xcnt 0x0
	v_cmpx_ge_u32_e64 v38, v16
	s_xor_b32 s0, exec_lo, s0
; %bb.81:
	v_xor_b32_e32 v44, 0xfffffdff, v0
	s_delay_alu instid0(VALU_DEP_1) | instskip(NEXT) | instid1(VALU_DEP_1)
	v_ashrrev_i32_e32 v45, 31, v44
	v_add_nc_u64_e32 v[44:45], v[42:43], v[44:45]
; %bb.82:
	s_and_not1_saveexec_b32 s0, s0
; %bb.83:
	v_add_nc_u64_e32 v[44:45], v[2:3], v[38:39]
; %bb.84:
	s_or_b32 exec_lo, exec_lo, s0
	s_delay_alu instid0(VALU_DEP_1)
	v_lshl_add_u64 v[44:45], v[44:45], 2, s[16:17]
	s_mov_b32 s0, exec_lo
	s_wait_dscnt 0x5
	global_store_b32 v[44:45], v12, off
                                        ; implicit-def: $vgpr44_vgpr45
	s_wait_xcnt 0x0
	v_cmpx_ge_u32_e64 v36, v16
	s_xor_b32 s0, exec_lo, s0
; %bb.85:
	v_xor_b32_e32 v44, 0xfffffcff, v0
	s_delay_alu instid0(VALU_DEP_1) | instskip(NEXT) | instid1(VALU_DEP_1)
	v_ashrrev_i32_e32 v45, 31, v44
	v_add_nc_u64_e32 v[44:45], v[42:43], v[44:45]
; %bb.86:
	s_and_not1_saveexec_b32 s0, s0
; %bb.87:
	v_add_nc_u64_e32 v[44:45], v[2:3], v[36:37]
; %bb.88:
	s_or_b32 exec_lo, exec_lo, s0
	s_delay_alu instid0(VALU_DEP_1)
	v_lshl_add_u64 v[44:45], v[44:45], 2, s[16:17]
	s_mov_b32 s0, exec_lo
	global_store_b32 v[44:45], v13, off
                                        ; implicit-def: $vgpr44_vgpr45
	s_wait_xcnt 0x0
	v_cmpx_ge_u32_e64 v34, v16
	s_xor_b32 s0, exec_lo, s0
; %bb.89:
	v_xor_b32_e32 v44, 0xfffffbff, v0
	s_delay_alu instid0(VALU_DEP_1) | instskip(NEXT) | instid1(VALU_DEP_1)
	v_ashrrev_i32_e32 v45, 31, v44
	v_add_nc_u64_e32 v[44:45], v[42:43], v[44:45]
; %bb.90:
	s_and_not1_saveexec_b32 s0, s0
; %bb.91:
	v_add_nc_u64_e32 v[44:45], v[2:3], v[34:35]
; %bb.92:
	s_or_b32 exec_lo, exec_lo, s0
	s_delay_alu instid0(VALU_DEP_1)
	v_lshl_add_u64 v[44:45], v[44:45], 2, s[16:17]
	s_mov_b32 s0, exec_lo
	s_wait_dscnt 0x4
	global_store_b32 v[44:45], v10, off
                                        ; implicit-def: $vgpr44_vgpr45
	s_wait_xcnt 0x0
	v_cmpx_ge_u32_e64 v32, v16
	s_xor_b32 s0, exec_lo, s0
; %bb.93:
	v_xor_b32_e32 v44, 0xfffffaff, v0
	s_delay_alu instid0(VALU_DEP_1) | instskip(NEXT) | instid1(VALU_DEP_1)
	v_ashrrev_i32_e32 v45, 31, v44
	v_add_nc_u64_e32 v[44:45], v[42:43], v[44:45]
; %bb.94:
	s_and_not1_saveexec_b32 s0, s0
; %bb.95:
	v_add_nc_u64_e32 v[44:45], v[2:3], v[32:33]
; %bb.96:
	s_or_b32 exec_lo, exec_lo, s0
	s_delay_alu instid0(VALU_DEP_1)
	v_lshl_add_u64 v[44:45], v[44:45], 2, s[16:17]
	s_mov_b32 s0, exec_lo
	global_store_b32 v[44:45], v11, off
                                        ; implicit-def: $vgpr44_vgpr45
	s_wait_xcnt 0x0
	v_cmpx_ge_u32_e64 v30, v16
	s_xor_b32 s0, exec_lo, s0
; %bb.97:
	v_xor_b32_e32 v44, 0xfffff9ff, v0
	s_delay_alu instid0(VALU_DEP_1) | instskip(NEXT) | instid1(VALU_DEP_1)
	v_ashrrev_i32_e32 v45, 31, v44
	v_add_nc_u64_e32 v[44:45], v[42:43], v[44:45]
; %bb.98:
	s_and_not1_saveexec_b32 s0, s0
; %bb.99:
	v_add_nc_u64_e32 v[44:45], v[2:3], v[30:31]
; %bb.100:
	s_or_b32 exec_lo, exec_lo, s0
	s_delay_alu instid0(VALU_DEP_1)
	v_lshl_add_u64 v[44:45], v[44:45], 2, s[16:17]
	s_mov_b32 s0, exec_lo
	s_wait_dscnt 0x3
	global_store_b32 v[44:45], v8, off
                                        ; implicit-def: $vgpr44_vgpr45
	s_wait_xcnt 0x0
	v_cmpx_ge_u32_e64 v28, v16
	s_xor_b32 s0, exec_lo, s0
; %bb.101:
	v_xor_b32_e32 v44, 0xfffff8ff, v0
	s_delay_alu instid0(VALU_DEP_1) | instskip(NEXT) | instid1(VALU_DEP_1)
	v_ashrrev_i32_e32 v45, 31, v44
	v_add_nc_u64_e32 v[44:45], v[42:43], v[44:45]
; %bb.102:
	s_and_not1_saveexec_b32 s0, s0
; %bb.103:
	v_add_nc_u64_e32 v[44:45], v[2:3], v[28:29]
; %bb.104:
	s_or_b32 exec_lo, exec_lo, s0
	s_delay_alu instid0(VALU_DEP_1)
	v_lshl_add_u64 v[44:45], v[44:45], 2, s[16:17]
	s_mov_b32 s0, exec_lo
	global_store_b32 v[44:45], v9, off
                                        ; implicit-def: $vgpr44_vgpr45
	s_wait_xcnt 0x0
	v_cmpx_ge_u32_e64 v26, v16
	s_xor_b32 s0, exec_lo, s0
; %bb.105:
	v_xor_b32_e32 v44, 0xfffff7ff, v0
	s_delay_alu instid0(VALU_DEP_1) | instskip(NEXT) | instid1(VALU_DEP_1)
	v_ashrrev_i32_e32 v45, 31, v44
	v_add_nc_u64_e32 v[44:45], v[42:43], v[44:45]
; %bb.106:
	s_and_not1_saveexec_b32 s0, s0
; %bb.107:
	v_add_nc_u64_e32 v[44:45], v[2:3], v[26:27]
; %bb.108:
	s_or_b32 exec_lo, exec_lo, s0
	s_delay_alu instid0(VALU_DEP_1)
	v_lshl_add_u64 v[44:45], v[44:45], 2, s[16:17]
	s_mov_b32 s0, exec_lo
	s_wait_dscnt 0x2
	global_store_b32 v[44:45], v6, off
                                        ; implicit-def: $vgpr44_vgpr45
	s_wait_xcnt 0x0
	v_cmpx_ge_u32_e64 v24, v16
	s_xor_b32 s0, exec_lo, s0
; %bb.109:
	v_xor_b32_e32 v44, 0xfffff6ff, v0
	s_delay_alu instid0(VALU_DEP_1) | instskip(NEXT) | instid1(VALU_DEP_1)
	v_ashrrev_i32_e32 v45, 31, v44
	v_add_nc_u64_e32 v[44:45], v[42:43], v[44:45]
; %bb.110:
	s_and_not1_saveexec_b32 s0, s0
; %bb.111:
	v_add_nc_u64_e32 v[44:45], v[2:3], v[24:25]
; %bb.112:
	s_or_b32 exec_lo, exec_lo, s0
	s_delay_alu instid0(VALU_DEP_1)
	v_lshl_add_u64 v[44:45], v[44:45], 2, s[16:17]
	s_mov_b32 s0, exec_lo
	global_store_b32 v[44:45], v7, off
                                        ; implicit-def: $vgpr44_vgpr45
	s_wait_xcnt 0x0
	v_cmpx_ge_u32_e64 v22, v16
	s_xor_b32 s0, exec_lo, s0
; %bb.113:
	v_xor_b32_e32 v44, 0xfffff5ff, v0
	s_delay_alu instid0(VALU_DEP_1) | instskip(NEXT) | instid1(VALU_DEP_1)
	v_ashrrev_i32_e32 v45, 31, v44
	v_add_nc_u64_e32 v[44:45], v[42:43], v[44:45]
; %bb.114:
	s_and_not1_saveexec_b32 s0, s0
; %bb.115:
	v_add_nc_u64_e32 v[44:45], v[2:3], v[22:23]
; %bb.116:
	s_or_b32 exec_lo, exec_lo, s0
	s_delay_alu instid0(VALU_DEP_1)
	v_lshl_add_u64 v[44:45], v[44:45], 2, s[16:17]
	s_mov_b32 s0, exec_lo
	s_wait_dscnt 0x1
	global_store_b32 v[44:45], v4, off
                                        ; implicit-def: $vgpr44_vgpr45
	s_wait_xcnt 0x0
	v_cmpx_ge_u32_e64 v20, v16
	s_xor_b32 s0, exec_lo, s0
; %bb.117:
	v_xor_b32_e32 v44, 0xfffff4ff, v0
	s_delay_alu instid0(VALU_DEP_1) | instskip(NEXT) | instid1(VALU_DEP_1)
	v_ashrrev_i32_e32 v45, 31, v44
	v_add_nc_u64_e32 v[44:45], v[42:43], v[44:45]
; %bb.118:
	s_and_not1_saveexec_b32 s0, s0
; %bb.119:
	v_add_nc_u64_e32 v[44:45], v[2:3], v[20:21]
; %bb.120:
	s_or_b32 exec_lo, exec_lo, s0
	s_delay_alu instid0(VALU_DEP_1)
	v_lshl_add_u64 v[44:45], v[44:45], 2, s[16:17]
	s_mov_b32 s0, exec_lo
	global_store_b32 v[44:45], v5, off
                                        ; implicit-def: $vgpr44_vgpr45
	s_wait_xcnt 0x0
	v_cmpx_ge_u32_e64 v18, v16
	s_xor_b32 s0, exec_lo, s0
; %bb.121:
	v_xor_b32_e32 v44, 0xfffff3ff, v0
	s_delay_alu instid0(VALU_DEP_1) | instskip(NEXT) | instid1(VALU_DEP_1)
	v_ashrrev_i32_e32 v45, 31, v44
	v_add_nc_u64_e32 v[44:45], v[42:43], v[44:45]
; %bb.122:
	s_and_not1_saveexec_b32 s0, s0
; %bb.123:
	v_add_nc_u64_e32 v[44:45], v[2:3], v[18:19]
; %bb.124:
	s_or_b32 exec_lo, exec_lo, s0
	s_mov_b32 s0, -1
	s_branch .LBB1594_205
.LBB1594_125:
	s_mov_b32 s0, 0
                                        ; implicit-def: $vgpr44_vgpr45
	s_cbranch_execz .LBB1594_205
; %bb.126:
	s_mov_b32 s11, 0
	v_mov_b32_e32 v17, 0
	s_add_nc_u64 s[2:3], s[12:13], s[10:11]
	s_mov_b32 s1, exec_lo
	s_sub_nc_u64 s[2:3], s[14:15], s[2:3]
	s_delay_alu instid0(VALU_DEP_1) | instid1(SALU_CYCLE_1)
	v_add_nc_u64_e32 v[42:43], s[2:3], v[16:17]
	s_delay_alu instid0(VALU_DEP_1)
	v_add_nc_u64_e32 v[42:43], v[42:43], v[2:3]
	v_cmpx_gt_u32_e64 s23, v0
	s_cbranch_execz .LBB1594_162
; %bb.127:
	s_mov_b32 s2, exec_lo
                                        ; implicit-def: $vgpr44_vgpr45
	v_cmpx_ge_u32_e64 v0, v16
	s_xor_b32 s2, exec_lo, s2
; %bb.128:
	v_not_b32_e32 v44, v0
	s_delay_alu instid0(VALU_DEP_1) | instskip(NEXT) | instid1(VALU_DEP_1)
	v_ashrrev_i32_e32 v45, 31, v44
	v_add_nc_u64_e32 v[44:45], v[42:43], v[44:45]
; %bb.129:
	s_and_not1_saveexec_b32 s2, s2
; %bb.130:
	v_add_nc_u64_e32 v[44:45], v[2:3], v[0:1]
; %bb.131:
	s_or_b32 exec_lo, exec_lo, s2
	s_delay_alu instid0(VALU_DEP_1) | instskip(SKIP_4) | instid1(SALU_CYCLE_1)
	v_lshl_add_u64 v[44:45], v[44:45], 2, s[16:17]
	s_wait_dscnt 0x6
	global_store_b32 v[44:45], v14, off
	s_wait_xcnt 0x0
	s_or_b32 exec_lo, exec_lo, s1
	s_mov_b32 s1, exec_lo
	v_cmpx_gt_u32_e64 s23, v40
	s_cbranch_execnz .LBB1594_163
.LBB1594_132:
	s_or_b32 exec_lo, exec_lo, s1
	s_delay_alu instid0(SALU_CYCLE_1)
	s_mov_b32 s1, exec_lo
	v_cmpx_gt_u32_e64 s23, v38
	s_cbranch_execz .LBB1594_168
.LBB1594_133:
	s_mov_b32 s2, exec_lo
                                        ; implicit-def: $vgpr14_vgpr15
	v_cmpx_ge_u32_e64 v38, v16
	s_xor_b32 s2, exec_lo, s2
	s_cbranch_execz .LBB1594_135
; %bb.134:
	s_wait_dscnt 0x6
	v_xor_b32_e32 v14, 0xfffffdff, v0
                                        ; implicit-def: $vgpr38_vgpr39
	s_delay_alu instid0(VALU_DEP_1) | instskip(NEXT) | instid1(VALU_DEP_1)
	v_ashrrev_i32_e32 v15, 31, v14
	v_add_nc_u64_e32 v[14:15], v[42:43], v[14:15]
.LBB1594_135:
	s_and_not1_saveexec_b32 s2, s2
	s_cbranch_execz .LBB1594_137
; %bb.136:
	s_wait_dscnt 0x6
	v_add_nc_u64_e32 v[14:15], v[2:3], v[38:39]
.LBB1594_137:
	s_or_b32 exec_lo, exec_lo, s2
	s_wait_dscnt 0x6
	s_delay_alu instid0(VALU_DEP_1) | instskip(SKIP_4) | instid1(SALU_CYCLE_1)
	v_lshl_add_u64 v[14:15], v[14:15], 2, s[16:17]
	s_wait_dscnt 0x5
	global_store_b32 v[14:15], v12, off
	s_wait_xcnt 0x0
	s_or_b32 exec_lo, exec_lo, s1
	s_mov_b32 s1, exec_lo
	v_cmpx_gt_u32_e64 s23, v36
	s_cbranch_execnz .LBB1594_169
.LBB1594_138:
	s_or_b32 exec_lo, exec_lo, s1
	s_delay_alu instid0(SALU_CYCLE_1)
	s_mov_b32 s1, exec_lo
	v_cmpx_gt_u32_e64 s23, v34
	s_cbranch_execz .LBB1594_174
.LBB1594_139:
	s_mov_b32 s2, exec_lo
                                        ; implicit-def: $vgpr12_vgpr13
	v_cmpx_ge_u32_e64 v34, v16
	s_xor_b32 s2, exec_lo, s2
	s_cbranch_execz .LBB1594_141
; %bb.140:
	s_wait_dscnt 0x5
	v_xor_b32_e32 v12, 0xfffffbff, v0
                                        ; implicit-def: $vgpr34_vgpr35
	s_delay_alu instid0(VALU_DEP_1) | instskip(NEXT) | instid1(VALU_DEP_1)
	v_ashrrev_i32_e32 v13, 31, v12
	v_add_nc_u64_e32 v[12:13], v[42:43], v[12:13]
.LBB1594_141:
	s_and_not1_saveexec_b32 s2, s2
	s_cbranch_execz .LBB1594_143
; %bb.142:
	s_wait_dscnt 0x5
	v_add_nc_u64_e32 v[12:13], v[2:3], v[34:35]
.LBB1594_143:
	s_or_b32 exec_lo, exec_lo, s2
	s_wait_dscnt 0x5
	s_delay_alu instid0(VALU_DEP_1) | instskip(SKIP_4) | instid1(SALU_CYCLE_1)
	v_lshl_add_u64 v[12:13], v[12:13], 2, s[16:17]
	s_wait_dscnt 0x4
	global_store_b32 v[12:13], v10, off
	s_wait_xcnt 0x0
	s_or_b32 exec_lo, exec_lo, s1
	s_mov_b32 s1, exec_lo
	v_cmpx_gt_u32_e64 s23, v32
	s_cbranch_execnz .LBB1594_175
.LBB1594_144:
	s_or_b32 exec_lo, exec_lo, s1
	s_delay_alu instid0(SALU_CYCLE_1)
	s_mov_b32 s1, exec_lo
	v_cmpx_gt_u32_e64 s23, v30
	s_cbranch_execz .LBB1594_180
.LBB1594_145:
	s_mov_b32 s2, exec_lo
                                        ; implicit-def: $vgpr10_vgpr11
	v_cmpx_ge_u32_e64 v30, v16
	s_xor_b32 s2, exec_lo, s2
	s_cbranch_execz .LBB1594_147
; %bb.146:
	s_wait_dscnt 0x4
	v_xor_b32_e32 v10, 0xfffff9ff, v0
                                        ; implicit-def: $vgpr30_vgpr31
	s_delay_alu instid0(VALU_DEP_1) | instskip(NEXT) | instid1(VALU_DEP_1)
	v_ashrrev_i32_e32 v11, 31, v10
	v_add_nc_u64_e32 v[10:11], v[42:43], v[10:11]
.LBB1594_147:
	s_and_not1_saveexec_b32 s2, s2
	s_cbranch_execz .LBB1594_149
; %bb.148:
	s_wait_dscnt 0x4
	v_add_nc_u64_e32 v[10:11], v[2:3], v[30:31]
.LBB1594_149:
	s_or_b32 exec_lo, exec_lo, s2
	s_wait_dscnt 0x4
	s_delay_alu instid0(VALU_DEP_1) | instskip(SKIP_4) | instid1(SALU_CYCLE_1)
	v_lshl_add_u64 v[10:11], v[10:11], 2, s[16:17]
	s_wait_dscnt 0x3
	global_store_b32 v[10:11], v8, off
	s_wait_xcnt 0x0
	s_or_b32 exec_lo, exec_lo, s1
	s_mov_b32 s1, exec_lo
	v_cmpx_gt_u32_e64 s23, v28
	s_cbranch_execnz .LBB1594_181
.LBB1594_150:
	s_or_b32 exec_lo, exec_lo, s1
	s_delay_alu instid0(SALU_CYCLE_1)
	s_mov_b32 s1, exec_lo
	v_cmpx_gt_u32_e64 s23, v26
	s_cbranch_execz .LBB1594_186
.LBB1594_151:
	s_mov_b32 s2, exec_lo
                                        ; implicit-def: $vgpr8_vgpr9
	v_cmpx_ge_u32_e64 v26, v16
	s_xor_b32 s2, exec_lo, s2
	s_cbranch_execz .LBB1594_153
; %bb.152:
	s_wait_dscnt 0x3
	v_xor_b32_e32 v8, 0xfffff7ff, v0
                                        ; implicit-def: $vgpr26_vgpr27
	s_delay_alu instid0(VALU_DEP_1) | instskip(NEXT) | instid1(VALU_DEP_1)
	v_ashrrev_i32_e32 v9, 31, v8
	v_add_nc_u64_e32 v[8:9], v[42:43], v[8:9]
.LBB1594_153:
	s_and_not1_saveexec_b32 s2, s2
	s_cbranch_execz .LBB1594_155
; %bb.154:
	s_wait_dscnt 0x3
	v_add_nc_u64_e32 v[8:9], v[2:3], v[26:27]
.LBB1594_155:
	s_or_b32 exec_lo, exec_lo, s2
	s_wait_dscnt 0x3
	s_delay_alu instid0(VALU_DEP_1) | instskip(SKIP_4) | instid1(SALU_CYCLE_1)
	v_lshl_add_u64 v[8:9], v[8:9], 2, s[16:17]
	s_wait_dscnt 0x2
	global_store_b32 v[8:9], v6, off
	s_wait_xcnt 0x0
	s_or_b32 exec_lo, exec_lo, s1
	s_mov_b32 s1, exec_lo
	v_cmpx_gt_u32_e64 s23, v24
	s_cbranch_execnz .LBB1594_187
.LBB1594_156:
	s_or_b32 exec_lo, exec_lo, s1
	s_delay_alu instid0(SALU_CYCLE_1)
	s_mov_b32 s1, exec_lo
	v_cmpx_gt_u32_e64 s23, v22
	s_cbranch_execz .LBB1594_192
.LBB1594_157:
	s_mov_b32 s2, exec_lo
                                        ; implicit-def: $vgpr6_vgpr7
	v_cmpx_ge_u32_e64 v22, v16
	s_xor_b32 s2, exec_lo, s2
	s_cbranch_execz .LBB1594_159
; %bb.158:
	s_wait_dscnt 0x2
	v_xor_b32_e32 v6, 0xfffff5ff, v0
                                        ; implicit-def: $vgpr22_vgpr23
	s_delay_alu instid0(VALU_DEP_1) | instskip(NEXT) | instid1(VALU_DEP_1)
	v_ashrrev_i32_e32 v7, 31, v6
	v_add_nc_u64_e32 v[6:7], v[42:43], v[6:7]
.LBB1594_159:
	s_and_not1_saveexec_b32 s2, s2
	s_cbranch_execz .LBB1594_161
; %bb.160:
	s_wait_dscnt 0x2
	v_add_nc_u64_e32 v[6:7], v[2:3], v[22:23]
.LBB1594_161:
	s_or_b32 exec_lo, exec_lo, s2
	s_wait_dscnt 0x2
	s_delay_alu instid0(VALU_DEP_1) | instskip(SKIP_4) | instid1(SALU_CYCLE_1)
	v_lshl_add_u64 v[6:7], v[6:7], 2, s[16:17]
	s_wait_dscnt 0x1
	global_store_b32 v[6:7], v4, off
	s_wait_xcnt 0x0
	s_or_b32 exec_lo, exec_lo, s1
	s_mov_b32 s1, exec_lo
	v_cmpx_gt_u32_e64 s23, v20
	s_cbranch_execz .LBB1594_198
	s_branch .LBB1594_193
.LBB1594_162:
	s_or_b32 exec_lo, exec_lo, s1
	s_delay_alu instid0(SALU_CYCLE_1)
	s_mov_b32 s1, exec_lo
	v_cmpx_gt_u32_e64 s23, v40
	s_cbranch_execz .LBB1594_132
.LBB1594_163:
	s_mov_b32 s2, exec_lo
                                        ; implicit-def: $vgpr44_vgpr45
	v_cmpx_ge_u32_e64 v40, v16
	s_xor_b32 s2, exec_lo, s2
; %bb.164:
	v_xor_b32_e32 v40, 0xfffffeff, v0
	s_delay_alu instid0(VALU_DEP_1) | instskip(NEXT) | instid1(VALU_DEP_1)
	v_ashrrev_i32_e32 v41, 31, v40
	v_add_nc_u64_e32 v[44:45], v[42:43], v[40:41]
                                        ; implicit-def: $vgpr40_vgpr41
; %bb.165:
	s_and_not1_saveexec_b32 s2, s2
; %bb.166:
	v_add_nc_u64_e32 v[44:45], v[2:3], v[40:41]
; %bb.167:
	s_or_b32 exec_lo, exec_lo, s2
	s_delay_alu instid0(VALU_DEP_1) | instskip(SKIP_4) | instid1(SALU_CYCLE_1)
	v_lshl_add_u64 v[40:41], v[44:45], 2, s[16:17]
	s_wait_dscnt 0x6
	global_store_b32 v[40:41], v15, off
	s_wait_xcnt 0x0
	s_or_b32 exec_lo, exec_lo, s1
	s_mov_b32 s1, exec_lo
	v_cmpx_gt_u32_e64 s23, v38
	s_cbranch_execnz .LBB1594_133
.LBB1594_168:
	s_or_b32 exec_lo, exec_lo, s1
	s_delay_alu instid0(SALU_CYCLE_1)
	s_mov_b32 s1, exec_lo
	v_cmpx_gt_u32_e64 s23, v36
	s_cbranch_execz .LBB1594_138
.LBB1594_169:
	s_mov_b32 s2, exec_lo
                                        ; implicit-def: $vgpr14_vgpr15
	v_cmpx_ge_u32_e64 v36, v16
	s_xor_b32 s2, exec_lo, s2
	s_cbranch_execz .LBB1594_171
; %bb.170:
	s_wait_dscnt 0x6
	v_xor_b32_e32 v14, 0xfffffcff, v0
                                        ; implicit-def: $vgpr36_vgpr37
	s_delay_alu instid0(VALU_DEP_1) | instskip(NEXT) | instid1(VALU_DEP_1)
	v_ashrrev_i32_e32 v15, 31, v14
	v_add_nc_u64_e32 v[14:15], v[42:43], v[14:15]
.LBB1594_171:
	s_and_not1_saveexec_b32 s2, s2
	s_cbranch_execz .LBB1594_173
; %bb.172:
	s_wait_dscnt 0x6
	v_add_nc_u64_e32 v[14:15], v[2:3], v[36:37]
.LBB1594_173:
	s_or_b32 exec_lo, exec_lo, s2
	s_wait_dscnt 0x6
	s_delay_alu instid0(VALU_DEP_1) | instskip(SKIP_4) | instid1(SALU_CYCLE_1)
	v_lshl_add_u64 v[14:15], v[14:15], 2, s[16:17]
	s_wait_dscnt 0x5
	global_store_b32 v[14:15], v13, off
	s_wait_xcnt 0x0
	s_or_b32 exec_lo, exec_lo, s1
	s_mov_b32 s1, exec_lo
	v_cmpx_gt_u32_e64 s23, v34
	s_cbranch_execnz .LBB1594_139
.LBB1594_174:
	s_or_b32 exec_lo, exec_lo, s1
	s_delay_alu instid0(SALU_CYCLE_1)
	s_mov_b32 s1, exec_lo
	v_cmpx_gt_u32_e64 s23, v32
	s_cbranch_execz .LBB1594_144
.LBB1594_175:
	s_mov_b32 s2, exec_lo
                                        ; implicit-def: $vgpr12_vgpr13
	v_cmpx_ge_u32_e64 v32, v16
	s_xor_b32 s2, exec_lo, s2
	s_cbranch_execz .LBB1594_177
; %bb.176:
	s_wait_dscnt 0x5
	v_xor_b32_e32 v12, 0xfffffaff, v0
                                        ; implicit-def: $vgpr32_vgpr33
	s_delay_alu instid0(VALU_DEP_1) | instskip(NEXT) | instid1(VALU_DEP_1)
	v_ashrrev_i32_e32 v13, 31, v12
	v_add_nc_u64_e32 v[12:13], v[42:43], v[12:13]
.LBB1594_177:
	s_and_not1_saveexec_b32 s2, s2
	s_cbranch_execz .LBB1594_179
; %bb.178:
	s_wait_dscnt 0x5
	v_add_nc_u64_e32 v[12:13], v[2:3], v[32:33]
.LBB1594_179:
	s_or_b32 exec_lo, exec_lo, s2
	s_wait_dscnt 0x5
	s_delay_alu instid0(VALU_DEP_1) | instskip(SKIP_4) | instid1(SALU_CYCLE_1)
	v_lshl_add_u64 v[12:13], v[12:13], 2, s[16:17]
	s_wait_dscnt 0x4
	global_store_b32 v[12:13], v11, off
	s_wait_xcnt 0x0
	s_or_b32 exec_lo, exec_lo, s1
	s_mov_b32 s1, exec_lo
	v_cmpx_gt_u32_e64 s23, v30
	s_cbranch_execnz .LBB1594_145
.LBB1594_180:
	s_or_b32 exec_lo, exec_lo, s1
	s_delay_alu instid0(SALU_CYCLE_1)
	s_mov_b32 s1, exec_lo
	v_cmpx_gt_u32_e64 s23, v28
	s_cbranch_execz .LBB1594_150
.LBB1594_181:
	s_mov_b32 s2, exec_lo
                                        ; implicit-def: $vgpr10_vgpr11
	v_cmpx_ge_u32_e64 v28, v16
	s_xor_b32 s2, exec_lo, s2
	s_cbranch_execz .LBB1594_183
; %bb.182:
	s_wait_dscnt 0x4
	v_xor_b32_e32 v10, 0xfffff8ff, v0
                                        ; implicit-def: $vgpr28_vgpr29
	s_delay_alu instid0(VALU_DEP_1) | instskip(NEXT) | instid1(VALU_DEP_1)
	v_ashrrev_i32_e32 v11, 31, v10
	v_add_nc_u64_e32 v[10:11], v[42:43], v[10:11]
.LBB1594_183:
	s_and_not1_saveexec_b32 s2, s2
	s_cbranch_execz .LBB1594_185
; %bb.184:
	s_wait_dscnt 0x4
	v_add_nc_u64_e32 v[10:11], v[2:3], v[28:29]
.LBB1594_185:
	s_or_b32 exec_lo, exec_lo, s2
	s_wait_dscnt 0x4
	s_delay_alu instid0(VALU_DEP_1) | instskip(SKIP_4) | instid1(SALU_CYCLE_1)
	v_lshl_add_u64 v[10:11], v[10:11], 2, s[16:17]
	s_wait_dscnt 0x3
	global_store_b32 v[10:11], v9, off
	s_wait_xcnt 0x0
	s_or_b32 exec_lo, exec_lo, s1
	s_mov_b32 s1, exec_lo
	v_cmpx_gt_u32_e64 s23, v26
	s_cbranch_execnz .LBB1594_151
.LBB1594_186:
	s_or_b32 exec_lo, exec_lo, s1
	s_delay_alu instid0(SALU_CYCLE_1)
	s_mov_b32 s1, exec_lo
	v_cmpx_gt_u32_e64 s23, v24
	s_cbranch_execz .LBB1594_156
.LBB1594_187:
	s_mov_b32 s2, exec_lo
                                        ; implicit-def: $vgpr8_vgpr9
	v_cmpx_ge_u32_e64 v24, v16
	s_xor_b32 s2, exec_lo, s2
	s_cbranch_execz .LBB1594_189
; %bb.188:
	s_wait_dscnt 0x3
	v_xor_b32_e32 v8, 0xfffff6ff, v0
                                        ; implicit-def: $vgpr24_vgpr25
	s_delay_alu instid0(VALU_DEP_1) | instskip(NEXT) | instid1(VALU_DEP_1)
	v_ashrrev_i32_e32 v9, 31, v8
	v_add_nc_u64_e32 v[8:9], v[42:43], v[8:9]
.LBB1594_189:
	s_and_not1_saveexec_b32 s2, s2
	s_cbranch_execz .LBB1594_191
; %bb.190:
	s_wait_dscnt 0x3
	v_add_nc_u64_e32 v[8:9], v[2:3], v[24:25]
.LBB1594_191:
	s_or_b32 exec_lo, exec_lo, s2
	s_wait_dscnt 0x3
	s_delay_alu instid0(VALU_DEP_1) | instskip(SKIP_4) | instid1(SALU_CYCLE_1)
	v_lshl_add_u64 v[8:9], v[8:9], 2, s[16:17]
	s_wait_dscnt 0x2
	global_store_b32 v[8:9], v7, off
	s_wait_xcnt 0x0
	s_or_b32 exec_lo, exec_lo, s1
	s_mov_b32 s1, exec_lo
	v_cmpx_gt_u32_e64 s23, v22
	s_cbranch_execnz .LBB1594_157
.LBB1594_192:
	s_or_b32 exec_lo, exec_lo, s1
	s_delay_alu instid0(SALU_CYCLE_1)
	s_mov_b32 s1, exec_lo
	v_cmpx_gt_u32_e64 s23, v20
	s_cbranch_execz .LBB1594_198
.LBB1594_193:
	s_mov_b32 s2, exec_lo
                                        ; implicit-def: $vgpr6_vgpr7
	v_cmpx_ge_u32_e64 v20, v16
	s_xor_b32 s2, exec_lo, s2
	s_cbranch_execz .LBB1594_195
; %bb.194:
	s_wait_dscnt 0x2
	v_xor_b32_e32 v6, 0xfffff4ff, v0
                                        ; implicit-def: $vgpr20_vgpr21
	s_delay_alu instid0(VALU_DEP_1) | instskip(NEXT) | instid1(VALU_DEP_1)
	v_ashrrev_i32_e32 v7, 31, v6
	v_add_nc_u64_e32 v[6:7], v[42:43], v[6:7]
.LBB1594_195:
	s_and_not1_saveexec_b32 s2, s2
	s_cbranch_execz .LBB1594_197
; %bb.196:
	s_wait_dscnt 0x2
	v_add_nc_u64_e32 v[6:7], v[2:3], v[20:21]
.LBB1594_197:
	s_or_b32 exec_lo, exec_lo, s2
	s_wait_dscnt 0x2
	s_delay_alu instid0(VALU_DEP_1)
	v_lshl_add_u64 v[6:7], v[6:7], 2, s[16:17]
	s_wait_dscnt 0x1
	global_store_b32 v[6:7], v5, off
.LBB1594_198:
	s_wait_xcnt 0x0
	s_or_b32 exec_lo, exec_lo, s1
	s_delay_alu instid0(SALU_CYCLE_1)
	s_mov_b32 s1, exec_lo
                                        ; implicit-def: $vgpr44_vgpr45
	v_cmpx_gt_u32_e64 s23, v18
	s_cbranch_execz .LBB1594_204
; %bb.199:
	s_mov_b32 s2, exec_lo
                                        ; implicit-def: $vgpr44_vgpr45
	v_cmpx_ge_u32_e64 v18, v16
	s_xor_b32 s2, exec_lo, s2
	s_cbranch_execz .LBB1594_201
; %bb.200:
	s_wait_dscnt 0x1
	v_xor_b32_e32 v4, 0xfffff3ff, v0
                                        ; implicit-def: $vgpr18_vgpr19
	s_delay_alu instid0(VALU_DEP_1) | instskip(NEXT) | instid1(VALU_DEP_1)
	v_ashrrev_i32_e32 v5, 31, v4
	v_add_nc_u64_e32 v[44:45], v[42:43], v[4:5]
.LBB1594_201:
	s_and_not1_saveexec_b32 s2, s2
; %bb.202:
	v_add_nc_u64_e32 v[44:45], v[2:3], v[18:19]
; %bb.203:
	s_or_b32 exec_lo, exec_lo, s2
	s_delay_alu instid0(SALU_CYCLE_1)
	s_or_b32 s0, s0, exec_lo
.LBB1594_204:
	s_or_b32 exec_lo, exec_lo, s1
.LBB1594_205:
	s_and_saveexec_b32 s1, s0
	s_cbranch_execz .LBB1594_207
; %bb.206:
	s_wait_dscnt 0x1
	v_lshl_add_u64 v[4:5], v[44:45], 2, s[16:17]
	s_wait_dscnt 0x0
	global_store_b32 v[4:5], v46, off
.LBB1594_207:
	s_wait_xcnt 0x0
	s_or_b32 exec_lo, exec_lo, s1
	v_cmp_eq_u32_e32 vcc_lo, 0, v0
	s_and_b32 s0, vcc_lo, s22
	s_delay_alu instid0(SALU_CYCLE_1)
	s_and_saveexec_b32 s1, s0
	s_cbranch_execz .LBB1594_209
; %bb.208:
	v_mov_b32_e32 v17, 0
	s_delay_alu instid0(VALU_DEP_1)
	v_add_nc_u64_e32 v[0:1], v[2:3], v[16:17]
	global_store_b64 v17, v[0:1], s[8:9]
.LBB1594_209:
	s_sendmsg sendmsg(MSG_DEALLOC_VGPRS)
	s_endpgm
	.section	.rodata,"a",@progbits
	.p2align	6, 0x0
	.amdhsa_kernel _ZN7rocprim17ROCPRIM_400000_NS6detail17trampoline_kernelINS0_13select_configILj256ELj13ELNS0_17block_load_methodE3ELS4_3ELS4_3ELNS0_20block_scan_algorithmE0ELj4294967295EEENS1_25partition_config_selectorILNS1_17partition_subalgoE3EjNS0_10empty_typeEbEEZZNS1_14partition_implILS8_3ELb0ES6_jNS0_17counting_iteratorIjlEEPS9_SE_NS0_5tupleIJPjSE_EEENSF_IJSE_SE_EEES9_SG_JZNS1_25segmented_radix_sort_implINS0_14default_configELb0EPKbPbPKlPlN2at6native12_GLOBAL__N_18offset_tEEE10hipError_tPvRmT1_PNSt15iterator_traitsISY_E10value_typeET2_T3_PNSZ_IS14_E10value_typeET4_jRbjT5_S1A_jjP12ihipStream_tbEUljE_EEESV_SW_SX_S14_S18_S1A_T6_T7_T9_mT8_S1C_bDpT10_ENKUlT_T0_E_clISt17integral_constantIbLb0EES1P_EEDaS1K_S1L_EUlS1K_E_NS1_11comp_targetILNS1_3genE0ELNS1_11target_archE4294967295ELNS1_3gpuE0ELNS1_3repE0EEENS1_30default_config_static_selectorELNS0_4arch9wavefront6targetE0EEEvSY_
		.amdhsa_group_segment_fixed_size 13320
		.amdhsa_private_segment_fixed_size 0
		.amdhsa_kernarg_size 144
		.amdhsa_user_sgpr_count 2
		.amdhsa_user_sgpr_dispatch_ptr 0
		.amdhsa_user_sgpr_queue_ptr 0
		.amdhsa_user_sgpr_kernarg_segment_ptr 1
		.amdhsa_user_sgpr_dispatch_id 0
		.amdhsa_user_sgpr_kernarg_preload_length 0
		.amdhsa_user_sgpr_kernarg_preload_offset 0
		.amdhsa_user_sgpr_private_segment_size 0
		.amdhsa_wavefront_size32 1
		.amdhsa_uses_dynamic_stack 0
		.amdhsa_enable_private_segment 0
		.amdhsa_system_sgpr_workgroup_id_x 1
		.amdhsa_system_sgpr_workgroup_id_y 0
		.amdhsa_system_sgpr_workgroup_id_z 0
		.amdhsa_system_sgpr_workgroup_info 0
		.amdhsa_system_vgpr_workitem_id 0
		.amdhsa_next_free_vgpr 69
		.amdhsa_next_free_sgpr 26
		.amdhsa_named_barrier_count 0
		.amdhsa_reserve_vcc 1
		.amdhsa_float_round_mode_32 0
		.amdhsa_float_round_mode_16_64 0
		.amdhsa_float_denorm_mode_32 3
		.amdhsa_float_denorm_mode_16_64 3
		.amdhsa_fp16_overflow 0
		.amdhsa_memory_ordered 1
		.amdhsa_forward_progress 1
		.amdhsa_inst_pref_size 70
		.amdhsa_round_robin_scheduling 0
		.amdhsa_exception_fp_ieee_invalid_op 0
		.amdhsa_exception_fp_denorm_src 0
		.amdhsa_exception_fp_ieee_div_zero 0
		.amdhsa_exception_fp_ieee_overflow 0
		.amdhsa_exception_fp_ieee_underflow 0
		.amdhsa_exception_fp_ieee_inexact 0
		.amdhsa_exception_int_div_zero 0
	.end_amdhsa_kernel
	.section	.text._ZN7rocprim17ROCPRIM_400000_NS6detail17trampoline_kernelINS0_13select_configILj256ELj13ELNS0_17block_load_methodE3ELS4_3ELS4_3ELNS0_20block_scan_algorithmE0ELj4294967295EEENS1_25partition_config_selectorILNS1_17partition_subalgoE3EjNS0_10empty_typeEbEEZZNS1_14partition_implILS8_3ELb0ES6_jNS0_17counting_iteratorIjlEEPS9_SE_NS0_5tupleIJPjSE_EEENSF_IJSE_SE_EEES9_SG_JZNS1_25segmented_radix_sort_implINS0_14default_configELb0EPKbPbPKlPlN2at6native12_GLOBAL__N_18offset_tEEE10hipError_tPvRmT1_PNSt15iterator_traitsISY_E10value_typeET2_T3_PNSZ_IS14_E10value_typeET4_jRbjT5_S1A_jjP12ihipStream_tbEUljE_EEESV_SW_SX_S14_S18_S1A_T6_T7_T9_mT8_S1C_bDpT10_ENKUlT_T0_E_clISt17integral_constantIbLb0EES1P_EEDaS1K_S1L_EUlS1K_E_NS1_11comp_targetILNS1_3genE0ELNS1_11target_archE4294967295ELNS1_3gpuE0ELNS1_3repE0EEENS1_30default_config_static_selectorELNS0_4arch9wavefront6targetE0EEEvSY_,"axG",@progbits,_ZN7rocprim17ROCPRIM_400000_NS6detail17trampoline_kernelINS0_13select_configILj256ELj13ELNS0_17block_load_methodE3ELS4_3ELS4_3ELNS0_20block_scan_algorithmE0ELj4294967295EEENS1_25partition_config_selectorILNS1_17partition_subalgoE3EjNS0_10empty_typeEbEEZZNS1_14partition_implILS8_3ELb0ES6_jNS0_17counting_iteratorIjlEEPS9_SE_NS0_5tupleIJPjSE_EEENSF_IJSE_SE_EEES9_SG_JZNS1_25segmented_radix_sort_implINS0_14default_configELb0EPKbPbPKlPlN2at6native12_GLOBAL__N_18offset_tEEE10hipError_tPvRmT1_PNSt15iterator_traitsISY_E10value_typeET2_T3_PNSZ_IS14_E10value_typeET4_jRbjT5_S1A_jjP12ihipStream_tbEUljE_EEESV_SW_SX_S14_S18_S1A_T6_T7_T9_mT8_S1C_bDpT10_ENKUlT_T0_E_clISt17integral_constantIbLb0EES1P_EEDaS1K_S1L_EUlS1K_E_NS1_11comp_targetILNS1_3genE0ELNS1_11target_archE4294967295ELNS1_3gpuE0ELNS1_3repE0EEENS1_30default_config_static_selectorELNS0_4arch9wavefront6targetE0EEEvSY_,comdat
.Lfunc_end1594:
	.size	_ZN7rocprim17ROCPRIM_400000_NS6detail17trampoline_kernelINS0_13select_configILj256ELj13ELNS0_17block_load_methodE3ELS4_3ELS4_3ELNS0_20block_scan_algorithmE0ELj4294967295EEENS1_25partition_config_selectorILNS1_17partition_subalgoE3EjNS0_10empty_typeEbEEZZNS1_14partition_implILS8_3ELb0ES6_jNS0_17counting_iteratorIjlEEPS9_SE_NS0_5tupleIJPjSE_EEENSF_IJSE_SE_EEES9_SG_JZNS1_25segmented_radix_sort_implINS0_14default_configELb0EPKbPbPKlPlN2at6native12_GLOBAL__N_18offset_tEEE10hipError_tPvRmT1_PNSt15iterator_traitsISY_E10value_typeET2_T3_PNSZ_IS14_E10value_typeET4_jRbjT5_S1A_jjP12ihipStream_tbEUljE_EEESV_SW_SX_S14_S18_S1A_T6_T7_T9_mT8_S1C_bDpT10_ENKUlT_T0_E_clISt17integral_constantIbLb0EES1P_EEDaS1K_S1L_EUlS1K_E_NS1_11comp_targetILNS1_3genE0ELNS1_11target_archE4294967295ELNS1_3gpuE0ELNS1_3repE0EEENS1_30default_config_static_selectorELNS0_4arch9wavefront6targetE0EEEvSY_, .Lfunc_end1594-_ZN7rocprim17ROCPRIM_400000_NS6detail17trampoline_kernelINS0_13select_configILj256ELj13ELNS0_17block_load_methodE3ELS4_3ELS4_3ELNS0_20block_scan_algorithmE0ELj4294967295EEENS1_25partition_config_selectorILNS1_17partition_subalgoE3EjNS0_10empty_typeEbEEZZNS1_14partition_implILS8_3ELb0ES6_jNS0_17counting_iteratorIjlEEPS9_SE_NS0_5tupleIJPjSE_EEENSF_IJSE_SE_EEES9_SG_JZNS1_25segmented_radix_sort_implINS0_14default_configELb0EPKbPbPKlPlN2at6native12_GLOBAL__N_18offset_tEEE10hipError_tPvRmT1_PNSt15iterator_traitsISY_E10value_typeET2_T3_PNSZ_IS14_E10value_typeET4_jRbjT5_S1A_jjP12ihipStream_tbEUljE_EEESV_SW_SX_S14_S18_S1A_T6_T7_T9_mT8_S1C_bDpT10_ENKUlT_T0_E_clISt17integral_constantIbLb0EES1P_EEDaS1K_S1L_EUlS1K_E_NS1_11comp_targetILNS1_3genE0ELNS1_11target_archE4294967295ELNS1_3gpuE0ELNS1_3repE0EEENS1_30default_config_static_selectorELNS0_4arch9wavefront6targetE0EEEvSY_
                                        ; -- End function
	.set _ZN7rocprim17ROCPRIM_400000_NS6detail17trampoline_kernelINS0_13select_configILj256ELj13ELNS0_17block_load_methodE3ELS4_3ELS4_3ELNS0_20block_scan_algorithmE0ELj4294967295EEENS1_25partition_config_selectorILNS1_17partition_subalgoE3EjNS0_10empty_typeEbEEZZNS1_14partition_implILS8_3ELb0ES6_jNS0_17counting_iteratorIjlEEPS9_SE_NS0_5tupleIJPjSE_EEENSF_IJSE_SE_EEES9_SG_JZNS1_25segmented_radix_sort_implINS0_14default_configELb0EPKbPbPKlPlN2at6native12_GLOBAL__N_18offset_tEEE10hipError_tPvRmT1_PNSt15iterator_traitsISY_E10value_typeET2_T3_PNSZ_IS14_E10value_typeET4_jRbjT5_S1A_jjP12ihipStream_tbEUljE_EEESV_SW_SX_S14_S18_S1A_T6_T7_T9_mT8_S1C_bDpT10_ENKUlT_T0_E_clISt17integral_constantIbLb0EES1P_EEDaS1K_S1L_EUlS1K_E_NS1_11comp_targetILNS1_3genE0ELNS1_11target_archE4294967295ELNS1_3gpuE0ELNS1_3repE0EEENS1_30default_config_static_selectorELNS0_4arch9wavefront6targetE0EEEvSY_.num_vgpr, 69
	.set _ZN7rocprim17ROCPRIM_400000_NS6detail17trampoline_kernelINS0_13select_configILj256ELj13ELNS0_17block_load_methodE3ELS4_3ELS4_3ELNS0_20block_scan_algorithmE0ELj4294967295EEENS1_25partition_config_selectorILNS1_17partition_subalgoE3EjNS0_10empty_typeEbEEZZNS1_14partition_implILS8_3ELb0ES6_jNS0_17counting_iteratorIjlEEPS9_SE_NS0_5tupleIJPjSE_EEENSF_IJSE_SE_EEES9_SG_JZNS1_25segmented_radix_sort_implINS0_14default_configELb0EPKbPbPKlPlN2at6native12_GLOBAL__N_18offset_tEEE10hipError_tPvRmT1_PNSt15iterator_traitsISY_E10value_typeET2_T3_PNSZ_IS14_E10value_typeET4_jRbjT5_S1A_jjP12ihipStream_tbEUljE_EEESV_SW_SX_S14_S18_S1A_T6_T7_T9_mT8_S1C_bDpT10_ENKUlT_T0_E_clISt17integral_constantIbLb0EES1P_EEDaS1K_S1L_EUlS1K_E_NS1_11comp_targetILNS1_3genE0ELNS1_11target_archE4294967295ELNS1_3gpuE0ELNS1_3repE0EEENS1_30default_config_static_selectorELNS0_4arch9wavefront6targetE0EEEvSY_.num_agpr, 0
	.set _ZN7rocprim17ROCPRIM_400000_NS6detail17trampoline_kernelINS0_13select_configILj256ELj13ELNS0_17block_load_methodE3ELS4_3ELS4_3ELNS0_20block_scan_algorithmE0ELj4294967295EEENS1_25partition_config_selectorILNS1_17partition_subalgoE3EjNS0_10empty_typeEbEEZZNS1_14partition_implILS8_3ELb0ES6_jNS0_17counting_iteratorIjlEEPS9_SE_NS0_5tupleIJPjSE_EEENSF_IJSE_SE_EEES9_SG_JZNS1_25segmented_radix_sort_implINS0_14default_configELb0EPKbPbPKlPlN2at6native12_GLOBAL__N_18offset_tEEE10hipError_tPvRmT1_PNSt15iterator_traitsISY_E10value_typeET2_T3_PNSZ_IS14_E10value_typeET4_jRbjT5_S1A_jjP12ihipStream_tbEUljE_EEESV_SW_SX_S14_S18_S1A_T6_T7_T9_mT8_S1C_bDpT10_ENKUlT_T0_E_clISt17integral_constantIbLb0EES1P_EEDaS1K_S1L_EUlS1K_E_NS1_11comp_targetILNS1_3genE0ELNS1_11target_archE4294967295ELNS1_3gpuE0ELNS1_3repE0EEENS1_30default_config_static_selectorELNS0_4arch9wavefront6targetE0EEEvSY_.numbered_sgpr, 26
	.set _ZN7rocprim17ROCPRIM_400000_NS6detail17trampoline_kernelINS0_13select_configILj256ELj13ELNS0_17block_load_methodE3ELS4_3ELS4_3ELNS0_20block_scan_algorithmE0ELj4294967295EEENS1_25partition_config_selectorILNS1_17partition_subalgoE3EjNS0_10empty_typeEbEEZZNS1_14partition_implILS8_3ELb0ES6_jNS0_17counting_iteratorIjlEEPS9_SE_NS0_5tupleIJPjSE_EEENSF_IJSE_SE_EEES9_SG_JZNS1_25segmented_radix_sort_implINS0_14default_configELb0EPKbPbPKlPlN2at6native12_GLOBAL__N_18offset_tEEE10hipError_tPvRmT1_PNSt15iterator_traitsISY_E10value_typeET2_T3_PNSZ_IS14_E10value_typeET4_jRbjT5_S1A_jjP12ihipStream_tbEUljE_EEESV_SW_SX_S14_S18_S1A_T6_T7_T9_mT8_S1C_bDpT10_ENKUlT_T0_E_clISt17integral_constantIbLb0EES1P_EEDaS1K_S1L_EUlS1K_E_NS1_11comp_targetILNS1_3genE0ELNS1_11target_archE4294967295ELNS1_3gpuE0ELNS1_3repE0EEENS1_30default_config_static_selectorELNS0_4arch9wavefront6targetE0EEEvSY_.num_named_barrier, 0
	.set _ZN7rocprim17ROCPRIM_400000_NS6detail17trampoline_kernelINS0_13select_configILj256ELj13ELNS0_17block_load_methodE3ELS4_3ELS4_3ELNS0_20block_scan_algorithmE0ELj4294967295EEENS1_25partition_config_selectorILNS1_17partition_subalgoE3EjNS0_10empty_typeEbEEZZNS1_14partition_implILS8_3ELb0ES6_jNS0_17counting_iteratorIjlEEPS9_SE_NS0_5tupleIJPjSE_EEENSF_IJSE_SE_EEES9_SG_JZNS1_25segmented_radix_sort_implINS0_14default_configELb0EPKbPbPKlPlN2at6native12_GLOBAL__N_18offset_tEEE10hipError_tPvRmT1_PNSt15iterator_traitsISY_E10value_typeET2_T3_PNSZ_IS14_E10value_typeET4_jRbjT5_S1A_jjP12ihipStream_tbEUljE_EEESV_SW_SX_S14_S18_S1A_T6_T7_T9_mT8_S1C_bDpT10_ENKUlT_T0_E_clISt17integral_constantIbLb0EES1P_EEDaS1K_S1L_EUlS1K_E_NS1_11comp_targetILNS1_3genE0ELNS1_11target_archE4294967295ELNS1_3gpuE0ELNS1_3repE0EEENS1_30default_config_static_selectorELNS0_4arch9wavefront6targetE0EEEvSY_.private_seg_size, 0
	.set _ZN7rocprim17ROCPRIM_400000_NS6detail17trampoline_kernelINS0_13select_configILj256ELj13ELNS0_17block_load_methodE3ELS4_3ELS4_3ELNS0_20block_scan_algorithmE0ELj4294967295EEENS1_25partition_config_selectorILNS1_17partition_subalgoE3EjNS0_10empty_typeEbEEZZNS1_14partition_implILS8_3ELb0ES6_jNS0_17counting_iteratorIjlEEPS9_SE_NS0_5tupleIJPjSE_EEENSF_IJSE_SE_EEES9_SG_JZNS1_25segmented_radix_sort_implINS0_14default_configELb0EPKbPbPKlPlN2at6native12_GLOBAL__N_18offset_tEEE10hipError_tPvRmT1_PNSt15iterator_traitsISY_E10value_typeET2_T3_PNSZ_IS14_E10value_typeET4_jRbjT5_S1A_jjP12ihipStream_tbEUljE_EEESV_SW_SX_S14_S18_S1A_T6_T7_T9_mT8_S1C_bDpT10_ENKUlT_T0_E_clISt17integral_constantIbLb0EES1P_EEDaS1K_S1L_EUlS1K_E_NS1_11comp_targetILNS1_3genE0ELNS1_11target_archE4294967295ELNS1_3gpuE0ELNS1_3repE0EEENS1_30default_config_static_selectorELNS0_4arch9wavefront6targetE0EEEvSY_.uses_vcc, 1
	.set _ZN7rocprim17ROCPRIM_400000_NS6detail17trampoline_kernelINS0_13select_configILj256ELj13ELNS0_17block_load_methodE3ELS4_3ELS4_3ELNS0_20block_scan_algorithmE0ELj4294967295EEENS1_25partition_config_selectorILNS1_17partition_subalgoE3EjNS0_10empty_typeEbEEZZNS1_14partition_implILS8_3ELb0ES6_jNS0_17counting_iteratorIjlEEPS9_SE_NS0_5tupleIJPjSE_EEENSF_IJSE_SE_EEES9_SG_JZNS1_25segmented_radix_sort_implINS0_14default_configELb0EPKbPbPKlPlN2at6native12_GLOBAL__N_18offset_tEEE10hipError_tPvRmT1_PNSt15iterator_traitsISY_E10value_typeET2_T3_PNSZ_IS14_E10value_typeET4_jRbjT5_S1A_jjP12ihipStream_tbEUljE_EEESV_SW_SX_S14_S18_S1A_T6_T7_T9_mT8_S1C_bDpT10_ENKUlT_T0_E_clISt17integral_constantIbLb0EES1P_EEDaS1K_S1L_EUlS1K_E_NS1_11comp_targetILNS1_3genE0ELNS1_11target_archE4294967295ELNS1_3gpuE0ELNS1_3repE0EEENS1_30default_config_static_selectorELNS0_4arch9wavefront6targetE0EEEvSY_.uses_flat_scratch, 0
	.set _ZN7rocprim17ROCPRIM_400000_NS6detail17trampoline_kernelINS0_13select_configILj256ELj13ELNS0_17block_load_methodE3ELS4_3ELS4_3ELNS0_20block_scan_algorithmE0ELj4294967295EEENS1_25partition_config_selectorILNS1_17partition_subalgoE3EjNS0_10empty_typeEbEEZZNS1_14partition_implILS8_3ELb0ES6_jNS0_17counting_iteratorIjlEEPS9_SE_NS0_5tupleIJPjSE_EEENSF_IJSE_SE_EEES9_SG_JZNS1_25segmented_radix_sort_implINS0_14default_configELb0EPKbPbPKlPlN2at6native12_GLOBAL__N_18offset_tEEE10hipError_tPvRmT1_PNSt15iterator_traitsISY_E10value_typeET2_T3_PNSZ_IS14_E10value_typeET4_jRbjT5_S1A_jjP12ihipStream_tbEUljE_EEESV_SW_SX_S14_S18_S1A_T6_T7_T9_mT8_S1C_bDpT10_ENKUlT_T0_E_clISt17integral_constantIbLb0EES1P_EEDaS1K_S1L_EUlS1K_E_NS1_11comp_targetILNS1_3genE0ELNS1_11target_archE4294967295ELNS1_3gpuE0ELNS1_3repE0EEENS1_30default_config_static_selectorELNS0_4arch9wavefront6targetE0EEEvSY_.has_dyn_sized_stack, 0
	.set _ZN7rocprim17ROCPRIM_400000_NS6detail17trampoline_kernelINS0_13select_configILj256ELj13ELNS0_17block_load_methodE3ELS4_3ELS4_3ELNS0_20block_scan_algorithmE0ELj4294967295EEENS1_25partition_config_selectorILNS1_17partition_subalgoE3EjNS0_10empty_typeEbEEZZNS1_14partition_implILS8_3ELb0ES6_jNS0_17counting_iteratorIjlEEPS9_SE_NS0_5tupleIJPjSE_EEENSF_IJSE_SE_EEES9_SG_JZNS1_25segmented_radix_sort_implINS0_14default_configELb0EPKbPbPKlPlN2at6native12_GLOBAL__N_18offset_tEEE10hipError_tPvRmT1_PNSt15iterator_traitsISY_E10value_typeET2_T3_PNSZ_IS14_E10value_typeET4_jRbjT5_S1A_jjP12ihipStream_tbEUljE_EEESV_SW_SX_S14_S18_S1A_T6_T7_T9_mT8_S1C_bDpT10_ENKUlT_T0_E_clISt17integral_constantIbLb0EES1P_EEDaS1K_S1L_EUlS1K_E_NS1_11comp_targetILNS1_3genE0ELNS1_11target_archE4294967295ELNS1_3gpuE0ELNS1_3repE0EEENS1_30default_config_static_selectorELNS0_4arch9wavefront6targetE0EEEvSY_.has_recursion, 0
	.set _ZN7rocprim17ROCPRIM_400000_NS6detail17trampoline_kernelINS0_13select_configILj256ELj13ELNS0_17block_load_methodE3ELS4_3ELS4_3ELNS0_20block_scan_algorithmE0ELj4294967295EEENS1_25partition_config_selectorILNS1_17partition_subalgoE3EjNS0_10empty_typeEbEEZZNS1_14partition_implILS8_3ELb0ES6_jNS0_17counting_iteratorIjlEEPS9_SE_NS0_5tupleIJPjSE_EEENSF_IJSE_SE_EEES9_SG_JZNS1_25segmented_radix_sort_implINS0_14default_configELb0EPKbPbPKlPlN2at6native12_GLOBAL__N_18offset_tEEE10hipError_tPvRmT1_PNSt15iterator_traitsISY_E10value_typeET2_T3_PNSZ_IS14_E10value_typeET4_jRbjT5_S1A_jjP12ihipStream_tbEUljE_EEESV_SW_SX_S14_S18_S1A_T6_T7_T9_mT8_S1C_bDpT10_ENKUlT_T0_E_clISt17integral_constantIbLb0EES1P_EEDaS1K_S1L_EUlS1K_E_NS1_11comp_targetILNS1_3genE0ELNS1_11target_archE4294967295ELNS1_3gpuE0ELNS1_3repE0EEENS1_30default_config_static_selectorELNS0_4arch9wavefront6targetE0EEEvSY_.has_indirect_call, 0
	.section	.AMDGPU.csdata,"",@progbits
; Kernel info:
; codeLenInByte = 8920
; TotalNumSgprs: 28
; NumVgprs: 69
; ScratchSize: 0
; MemoryBound: 0
; FloatMode: 240
; IeeeMode: 1
; LDSByteSize: 13320 bytes/workgroup (compile time only)
; SGPRBlocks: 0
; VGPRBlocks: 4
; NumSGPRsForWavesPerEU: 28
; NumVGPRsForWavesPerEU: 69
; NamedBarCnt: 0
; Occupancy: 12
; WaveLimiterHint : 0
; COMPUTE_PGM_RSRC2:SCRATCH_EN: 0
; COMPUTE_PGM_RSRC2:USER_SGPR: 2
; COMPUTE_PGM_RSRC2:TRAP_HANDLER: 0
; COMPUTE_PGM_RSRC2:TGID_X_EN: 1
; COMPUTE_PGM_RSRC2:TGID_Y_EN: 0
; COMPUTE_PGM_RSRC2:TGID_Z_EN: 0
; COMPUTE_PGM_RSRC2:TIDIG_COMP_CNT: 0
	.section	.text._ZN7rocprim17ROCPRIM_400000_NS6detail17trampoline_kernelINS0_13select_configILj256ELj13ELNS0_17block_load_methodE3ELS4_3ELS4_3ELNS0_20block_scan_algorithmE0ELj4294967295EEENS1_25partition_config_selectorILNS1_17partition_subalgoE3EjNS0_10empty_typeEbEEZZNS1_14partition_implILS8_3ELb0ES6_jNS0_17counting_iteratorIjlEEPS9_SE_NS0_5tupleIJPjSE_EEENSF_IJSE_SE_EEES9_SG_JZNS1_25segmented_radix_sort_implINS0_14default_configELb0EPKbPbPKlPlN2at6native12_GLOBAL__N_18offset_tEEE10hipError_tPvRmT1_PNSt15iterator_traitsISY_E10value_typeET2_T3_PNSZ_IS14_E10value_typeET4_jRbjT5_S1A_jjP12ihipStream_tbEUljE_EEESV_SW_SX_S14_S18_S1A_T6_T7_T9_mT8_S1C_bDpT10_ENKUlT_T0_E_clISt17integral_constantIbLb0EES1P_EEDaS1K_S1L_EUlS1K_E_NS1_11comp_targetILNS1_3genE5ELNS1_11target_archE942ELNS1_3gpuE9ELNS1_3repE0EEENS1_30default_config_static_selectorELNS0_4arch9wavefront6targetE0EEEvSY_,"axG",@progbits,_ZN7rocprim17ROCPRIM_400000_NS6detail17trampoline_kernelINS0_13select_configILj256ELj13ELNS0_17block_load_methodE3ELS4_3ELS4_3ELNS0_20block_scan_algorithmE0ELj4294967295EEENS1_25partition_config_selectorILNS1_17partition_subalgoE3EjNS0_10empty_typeEbEEZZNS1_14partition_implILS8_3ELb0ES6_jNS0_17counting_iteratorIjlEEPS9_SE_NS0_5tupleIJPjSE_EEENSF_IJSE_SE_EEES9_SG_JZNS1_25segmented_radix_sort_implINS0_14default_configELb0EPKbPbPKlPlN2at6native12_GLOBAL__N_18offset_tEEE10hipError_tPvRmT1_PNSt15iterator_traitsISY_E10value_typeET2_T3_PNSZ_IS14_E10value_typeET4_jRbjT5_S1A_jjP12ihipStream_tbEUljE_EEESV_SW_SX_S14_S18_S1A_T6_T7_T9_mT8_S1C_bDpT10_ENKUlT_T0_E_clISt17integral_constantIbLb0EES1P_EEDaS1K_S1L_EUlS1K_E_NS1_11comp_targetILNS1_3genE5ELNS1_11target_archE942ELNS1_3gpuE9ELNS1_3repE0EEENS1_30default_config_static_selectorELNS0_4arch9wavefront6targetE0EEEvSY_,comdat
	.globl	_ZN7rocprim17ROCPRIM_400000_NS6detail17trampoline_kernelINS0_13select_configILj256ELj13ELNS0_17block_load_methodE3ELS4_3ELS4_3ELNS0_20block_scan_algorithmE0ELj4294967295EEENS1_25partition_config_selectorILNS1_17partition_subalgoE3EjNS0_10empty_typeEbEEZZNS1_14partition_implILS8_3ELb0ES6_jNS0_17counting_iteratorIjlEEPS9_SE_NS0_5tupleIJPjSE_EEENSF_IJSE_SE_EEES9_SG_JZNS1_25segmented_radix_sort_implINS0_14default_configELb0EPKbPbPKlPlN2at6native12_GLOBAL__N_18offset_tEEE10hipError_tPvRmT1_PNSt15iterator_traitsISY_E10value_typeET2_T3_PNSZ_IS14_E10value_typeET4_jRbjT5_S1A_jjP12ihipStream_tbEUljE_EEESV_SW_SX_S14_S18_S1A_T6_T7_T9_mT8_S1C_bDpT10_ENKUlT_T0_E_clISt17integral_constantIbLb0EES1P_EEDaS1K_S1L_EUlS1K_E_NS1_11comp_targetILNS1_3genE5ELNS1_11target_archE942ELNS1_3gpuE9ELNS1_3repE0EEENS1_30default_config_static_selectorELNS0_4arch9wavefront6targetE0EEEvSY_ ; -- Begin function _ZN7rocprim17ROCPRIM_400000_NS6detail17trampoline_kernelINS0_13select_configILj256ELj13ELNS0_17block_load_methodE3ELS4_3ELS4_3ELNS0_20block_scan_algorithmE0ELj4294967295EEENS1_25partition_config_selectorILNS1_17partition_subalgoE3EjNS0_10empty_typeEbEEZZNS1_14partition_implILS8_3ELb0ES6_jNS0_17counting_iteratorIjlEEPS9_SE_NS0_5tupleIJPjSE_EEENSF_IJSE_SE_EEES9_SG_JZNS1_25segmented_radix_sort_implINS0_14default_configELb0EPKbPbPKlPlN2at6native12_GLOBAL__N_18offset_tEEE10hipError_tPvRmT1_PNSt15iterator_traitsISY_E10value_typeET2_T3_PNSZ_IS14_E10value_typeET4_jRbjT5_S1A_jjP12ihipStream_tbEUljE_EEESV_SW_SX_S14_S18_S1A_T6_T7_T9_mT8_S1C_bDpT10_ENKUlT_T0_E_clISt17integral_constantIbLb0EES1P_EEDaS1K_S1L_EUlS1K_E_NS1_11comp_targetILNS1_3genE5ELNS1_11target_archE942ELNS1_3gpuE9ELNS1_3repE0EEENS1_30default_config_static_selectorELNS0_4arch9wavefront6targetE0EEEvSY_
	.p2align	8
	.type	_ZN7rocprim17ROCPRIM_400000_NS6detail17trampoline_kernelINS0_13select_configILj256ELj13ELNS0_17block_load_methodE3ELS4_3ELS4_3ELNS0_20block_scan_algorithmE0ELj4294967295EEENS1_25partition_config_selectorILNS1_17partition_subalgoE3EjNS0_10empty_typeEbEEZZNS1_14partition_implILS8_3ELb0ES6_jNS0_17counting_iteratorIjlEEPS9_SE_NS0_5tupleIJPjSE_EEENSF_IJSE_SE_EEES9_SG_JZNS1_25segmented_radix_sort_implINS0_14default_configELb0EPKbPbPKlPlN2at6native12_GLOBAL__N_18offset_tEEE10hipError_tPvRmT1_PNSt15iterator_traitsISY_E10value_typeET2_T3_PNSZ_IS14_E10value_typeET4_jRbjT5_S1A_jjP12ihipStream_tbEUljE_EEESV_SW_SX_S14_S18_S1A_T6_T7_T9_mT8_S1C_bDpT10_ENKUlT_T0_E_clISt17integral_constantIbLb0EES1P_EEDaS1K_S1L_EUlS1K_E_NS1_11comp_targetILNS1_3genE5ELNS1_11target_archE942ELNS1_3gpuE9ELNS1_3repE0EEENS1_30default_config_static_selectorELNS0_4arch9wavefront6targetE0EEEvSY_,@function
_ZN7rocprim17ROCPRIM_400000_NS6detail17trampoline_kernelINS0_13select_configILj256ELj13ELNS0_17block_load_methodE3ELS4_3ELS4_3ELNS0_20block_scan_algorithmE0ELj4294967295EEENS1_25partition_config_selectorILNS1_17partition_subalgoE3EjNS0_10empty_typeEbEEZZNS1_14partition_implILS8_3ELb0ES6_jNS0_17counting_iteratorIjlEEPS9_SE_NS0_5tupleIJPjSE_EEENSF_IJSE_SE_EEES9_SG_JZNS1_25segmented_radix_sort_implINS0_14default_configELb0EPKbPbPKlPlN2at6native12_GLOBAL__N_18offset_tEEE10hipError_tPvRmT1_PNSt15iterator_traitsISY_E10value_typeET2_T3_PNSZ_IS14_E10value_typeET4_jRbjT5_S1A_jjP12ihipStream_tbEUljE_EEESV_SW_SX_S14_S18_S1A_T6_T7_T9_mT8_S1C_bDpT10_ENKUlT_T0_E_clISt17integral_constantIbLb0EES1P_EEDaS1K_S1L_EUlS1K_E_NS1_11comp_targetILNS1_3genE5ELNS1_11target_archE942ELNS1_3gpuE9ELNS1_3repE0EEENS1_30default_config_static_selectorELNS0_4arch9wavefront6targetE0EEEvSY_: ; @_ZN7rocprim17ROCPRIM_400000_NS6detail17trampoline_kernelINS0_13select_configILj256ELj13ELNS0_17block_load_methodE3ELS4_3ELS4_3ELNS0_20block_scan_algorithmE0ELj4294967295EEENS1_25partition_config_selectorILNS1_17partition_subalgoE3EjNS0_10empty_typeEbEEZZNS1_14partition_implILS8_3ELb0ES6_jNS0_17counting_iteratorIjlEEPS9_SE_NS0_5tupleIJPjSE_EEENSF_IJSE_SE_EEES9_SG_JZNS1_25segmented_radix_sort_implINS0_14default_configELb0EPKbPbPKlPlN2at6native12_GLOBAL__N_18offset_tEEE10hipError_tPvRmT1_PNSt15iterator_traitsISY_E10value_typeET2_T3_PNSZ_IS14_E10value_typeET4_jRbjT5_S1A_jjP12ihipStream_tbEUljE_EEESV_SW_SX_S14_S18_S1A_T6_T7_T9_mT8_S1C_bDpT10_ENKUlT_T0_E_clISt17integral_constantIbLb0EES1P_EEDaS1K_S1L_EUlS1K_E_NS1_11comp_targetILNS1_3genE5ELNS1_11target_archE942ELNS1_3gpuE9ELNS1_3repE0EEENS1_30default_config_static_selectorELNS0_4arch9wavefront6targetE0EEEvSY_
; %bb.0:
	.section	.rodata,"a",@progbits
	.p2align	6, 0x0
	.amdhsa_kernel _ZN7rocprim17ROCPRIM_400000_NS6detail17trampoline_kernelINS0_13select_configILj256ELj13ELNS0_17block_load_methodE3ELS4_3ELS4_3ELNS0_20block_scan_algorithmE0ELj4294967295EEENS1_25partition_config_selectorILNS1_17partition_subalgoE3EjNS0_10empty_typeEbEEZZNS1_14partition_implILS8_3ELb0ES6_jNS0_17counting_iteratorIjlEEPS9_SE_NS0_5tupleIJPjSE_EEENSF_IJSE_SE_EEES9_SG_JZNS1_25segmented_radix_sort_implINS0_14default_configELb0EPKbPbPKlPlN2at6native12_GLOBAL__N_18offset_tEEE10hipError_tPvRmT1_PNSt15iterator_traitsISY_E10value_typeET2_T3_PNSZ_IS14_E10value_typeET4_jRbjT5_S1A_jjP12ihipStream_tbEUljE_EEESV_SW_SX_S14_S18_S1A_T6_T7_T9_mT8_S1C_bDpT10_ENKUlT_T0_E_clISt17integral_constantIbLb0EES1P_EEDaS1K_S1L_EUlS1K_E_NS1_11comp_targetILNS1_3genE5ELNS1_11target_archE942ELNS1_3gpuE9ELNS1_3repE0EEENS1_30default_config_static_selectorELNS0_4arch9wavefront6targetE0EEEvSY_
		.amdhsa_group_segment_fixed_size 0
		.amdhsa_private_segment_fixed_size 0
		.amdhsa_kernarg_size 144
		.amdhsa_user_sgpr_count 2
		.amdhsa_user_sgpr_dispatch_ptr 0
		.amdhsa_user_sgpr_queue_ptr 0
		.amdhsa_user_sgpr_kernarg_segment_ptr 1
		.amdhsa_user_sgpr_dispatch_id 0
		.amdhsa_user_sgpr_kernarg_preload_length 0
		.amdhsa_user_sgpr_kernarg_preload_offset 0
		.amdhsa_user_sgpr_private_segment_size 0
		.amdhsa_wavefront_size32 1
		.amdhsa_uses_dynamic_stack 0
		.amdhsa_enable_private_segment 0
		.amdhsa_system_sgpr_workgroup_id_x 1
		.amdhsa_system_sgpr_workgroup_id_y 0
		.amdhsa_system_sgpr_workgroup_id_z 0
		.amdhsa_system_sgpr_workgroup_info 0
		.amdhsa_system_vgpr_workitem_id 0
		.amdhsa_next_free_vgpr 1
		.amdhsa_next_free_sgpr 1
		.amdhsa_named_barrier_count 0
		.amdhsa_reserve_vcc 0
		.amdhsa_float_round_mode_32 0
		.amdhsa_float_round_mode_16_64 0
		.amdhsa_float_denorm_mode_32 3
		.amdhsa_float_denorm_mode_16_64 3
		.amdhsa_fp16_overflow 0
		.amdhsa_memory_ordered 1
		.amdhsa_forward_progress 1
		.amdhsa_inst_pref_size 0
		.amdhsa_round_robin_scheduling 0
		.amdhsa_exception_fp_ieee_invalid_op 0
		.amdhsa_exception_fp_denorm_src 0
		.amdhsa_exception_fp_ieee_div_zero 0
		.amdhsa_exception_fp_ieee_overflow 0
		.amdhsa_exception_fp_ieee_underflow 0
		.amdhsa_exception_fp_ieee_inexact 0
		.amdhsa_exception_int_div_zero 0
	.end_amdhsa_kernel
	.section	.text._ZN7rocprim17ROCPRIM_400000_NS6detail17trampoline_kernelINS0_13select_configILj256ELj13ELNS0_17block_load_methodE3ELS4_3ELS4_3ELNS0_20block_scan_algorithmE0ELj4294967295EEENS1_25partition_config_selectorILNS1_17partition_subalgoE3EjNS0_10empty_typeEbEEZZNS1_14partition_implILS8_3ELb0ES6_jNS0_17counting_iteratorIjlEEPS9_SE_NS0_5tupleIJPjSE_EEENSF_IJSE_SE_EEES9_SG_JZNS1_25segmented_radix_sort_implINS0_14default_configELb0EPKbPbPKlPlN2at6native12_GLOBAL__N_18offset_tEEE10hipError_tPvRmT1_PNSt15iterator_traitsISY_E10value_typeET2_T3_PNSZ_IS14_E10value_typeET4_jRbjT5_S1A_jjP12ihipStream_tbEUljE_EEESV_SW_SX_S14_S18_S1A_T6_T7_T9_mT8_S1C_bDpT10_ENKUlT_T0_E_clISt17integral_constantIbLb0EES1P_EEDaS1K_S1L_EUlS1K_E_NS1_11comp_targetILNS1_3genE5ELNS1_11target_archE942ELNS1_3gpuE9ELNS1_3repE0EEENS1_30default_config_static_selectorELNS0_4arch9wavefront6targetE0EEEvSY_,"axG",@progbits,_ZN7rocprim17ROCPRIM_400000_NS6detail17trampoline_kernelINS0_13select_configILj256ELj13ELNS0_17block_load_methodE3ELS4_3ELS4_3ELNS0_20block_scan_algorithmE0ELj4294967295EEENS1_25partition_config_selectorILNS1_17partition_subalgoE3EjNS0_10empty_typeEbEEZZNS1_14partition_implILS8_3ELb0ES6_jNS0_17counting_iteratorIjlEEPS9_SE_NS0_5tupleIJPjSE_EEENSF_IJSE_SE_EEES9_SG_JZNS1_25segmented_radix_sort_implINS0_14default_configELb0EPKbPbPKlPlN2at6native12_GLOBAL__N_18offset_tEEE10hipError_tPvRmT1_PNSt15iterator_traitsISY_E10value_typeET2_T3_PNSZ_IS14_E10value_typeET4_jRbjT5_S1A_jjP12ihipStream_tbEUljE_EEESV_SW_SX_S14_S18_S1A_T6_T7_T9_mT8_S1C_bDpT10_ENKUlT_T0_E_clISt17integral_constantIbLb0EES1P_EEDaS1K_S1L_EUlS1K_E_NS1_11comp_targetILNS1_3genE5ELNS1_11target_archE942ELNS1_3gpuE9ELNS1_3repE0EEENS1_30default_config_static_selectorELNS0_4arch9wavefront6targetE0EEEvSY_,comdat
.Lfunc_end1595:
	.size	_ZN7rocprim17ROCPRIM_400000_NS6detail17trampoline_kernelINS0_13select_configILj256ELj13ELNS0_17block_load_methodE3ELS4_3ELS4_3ELNS0_20block_scan_algorithmE0ELj4294967295EEENS1_25partition_config_selectorILNS1_17partition_subalgoE3EjNS0_10empty_typeEbEEZZNS1_14partition_implILS8_3ELb0ES6_jNS0_17counting_iteratorIjlEEPS9_SE_NS0_5tupleIJPjSE_EEENSF_IJSE_SE_EEES9_SG_JZNS1_25segmented_radix_sort_implINS0_14default_configELb0EPKbPbPKlPlN2at6native12_GLOBAL__N_18offset_tEEE10hipError_tPvRmT1_PNSt15iterator_traitsISY_E10value_typeET2_T3_PNSZ_IS14_E10value_typeET4_jRbjT5_S1A_jjP12ihipStream_tbEUljE_EEESV_SW_SX_S14_S18_S1A_T6_T7_T9_mT8_S1C_bDpT10_ENKUlT_T0_E_clISt17integral_constantIbLb0EES1P_EEDaS1K_S1L_EUlS1K_E_NS1_11comp_targetILNS1_3genE5ELNS1_11target_archE942ELNS1_3gpuE9ELNS1_3repE0EEENS1_30default_config_static_selectorELNS0_4arch9wavefront6targetE0EEEvSY_, .Lfunc_end1595-_ZN7rocprim17ROCPRIM_400000_NS6detail17trampoline_kernelINS0_13select_configILj256ELj13ELNS0_17block_load_methodE3ELS4_3ELS4_3ELNS0_20block_scan_algorithmE0ELj4294967295EEENS1_25partition_config_selectorILNS1_17partition_subalgoE3EjNS0_10empty_typeEbEEZZNS1_14partition_implILS8_3ELb0ES6_jNS0_17counting_iteratorIjlEEPS9_SE_NS0_5tupleIJPjSE_EEENSF_IJSE_SE_EEES9_SG_JZNS1_25segmented_radix_sort_implINS0_14default_configELb0EPKbPbPKlPlN2at6native12_GLOBAL__N_18offset_tEEE10hipError_tPvRmT1_PNSt15iterator_traitsISY_E10value_typeET2_T3_PNSZ_IS14_E10value_typeET4_jRbjT5_S1A_jjP12ihipStream_tbEUljE_EEESV_SW_SX_S14_S18_S1A_T6_T7_T9_mT8_S1C_bDpT10_ENKUlT_T0_E_clISt17integral_constantIbLb0EES1P_EEDaS1K_S1L_EUlS1K_E_NS1_11comp_targetILNS1_3genE5ELNS1_11target_archE942ELNS1_3gpuE9ELNS1_3repE0EEENS1_30default_config_static_selectorELNS0_4arch9wavefront6targetE0EEEvSY_
                                        ; -- End function
	.set _ZN7rocprim17ROCPRIM_400000_NS6detail17trampoline_kernelINS0_13select_configILj256ELj13ELNS0_17block_load_methodE3ELS4_3ELS4_3ELNS0_20block_scan_algorithmE0ELj4294967295EEENS1_25partition_config_selectorILNS1_17partition_subalgoE3EjNS0_10empty_typeEbEEZZNS1_14partition_implILS8_3ELb0ES6_jNS0_17counting_iteratorIjlEEPS9_SE_NS0_5tupleIJPjSE_EEENSF_IJSE_SE_EEES9_SG_JZNS1_25segmented_radix_sort_implINS0_14default_configELb0EPKbPbPKlPlN2at6native12_GLOBAL__N_18offset_tEEE10hipError_tPvRmT1_PNSt15iterator_traitsISY_E10value_typeET2_T3_PNSZ_IS14_E10value_typeET4_jRbjT5_S1A_jjP12ihipStream_tbEUljE_EEESV_SW_SX_S14_S18_S1A_T6_T7_T9_mT8_S1C_bDpT10_ENKUlT_T0_E_clISt17integral_constantIbLb0EES1P_EEDaS1K_S1L_EUlS1K_E_NS1_11comp_targetILNS1_3genE5ELNS1_11target_archE942ELNS1_3gpuE9ELNS1_3repE0EEENS1_30default_config_static_selectorELNS0_4arch9wavefront6targetE0EEEvSY_.num_vgpr, 0
	.set _ZN7rocprim17ROCPRIM_400000_NS6detail17trampoline_kernelINS0_13select_configILj256ELj13ELNS0_17block_load_methodE3ELS4_3ELS4_3ELNS0_20block_scan_algorithmE0ELj4294967295EEENS1_25partition_config_selectorILNS1_17partition_subalgoE3EjNS0_10empty_typeEbEEZZNS1_14partition_implILS8_3ELb0ES6_jNS0_17counting_iteratorIjlEEPS9_SE_NS0_5tupleIJPjSE_EEENSF_IJSE_SE_EEES9_SG_JZNS1_25segmented_radix_sort_implINS0_14default_configELb0EPKbPbPKlPlN2at6native12_GLOBAL__N_18offset_tEEE10hipError_tPvRmT1_PNSt15iterator_traitsISY_E10value_typeET2_T3_PNSZ_IS14_E10value_typeET4_jRbjT5_S1A_jjP12ihipStream_tbEUljE_EEESV_SW_SX_S14_S18_S1A_T6_T7_T9_mT8_S1C_bDpT10_ENKUlT_T0_E_clISt17integral_constantIbLb0EES1P_EEDaS1K_S1L_EUlS1K_E_NS1_11comp_targetILNS1_3genE5ELNS1_11target_archE942ELNS1_3gpuE9ELNS1_3repE0EEENS1_30default_config_static_selectorELNS0_4arch9wavefront6targetE0EEEvSY_.num_agpr, 0
	.set _ZN7rocprim17ROCPRIM_400000_NS6detail17trampoline_kernelINS0_13select_configILj256ELj13ELNS0_17block_load_methodE3ELS4_3ELS4_3ELNS0_20block_scan_algorithmE0ELj4294967295EEENS1_25partition_config_selectorILNS1_17partition_subalgoE3EjNS0_10empty_typeEbEEZZNS1_14partition_implILS8_3ELb0ES6_jNS0_17counting_iteratorIjlEEPS9_SE_NS0_5tupleIJPjSE_EEENSF_IJSE_SE_EEES9_SG_JZNS1_25segmented_radix_sort_implINS0_14default_configELb0EPKbPbPKlPlN2at6native12_GLOBAL__N_18offset_tEEE10hipError_tPvRmT1_PNSt15iterator_traitsISY_E10value_typeET2_T3_PNSZ_IS14_E10value_typeET4_jRbjT5_S1A_jjP12ihipStream_tbEUljE_EEESV_SW_SX_S14_S18_S1A_T6_T7_T9_mT8_S1C_bDpT10_ENKUlT_T0_E_clISt17integral_constantIbLb0EES1P_EEDaS1K_S1L_EUlS1K_E_NS1_11comp_targetILNS1_3genE5ELNS1_11target_archE942ELNS1_3gpuE9ELNS1_3repE0EEENS1_30default_config_static_selectorELNS0_4arch9wavefront6targetE0EEEvSY_.numbered_sgpr, 0
	.set _ZN7rocprim17ROCPRIM_400000_NS6detail17trampoline_kernelINS0_13select_configILj256ELj13ELNS0_17block_load_methodE3ELS4_3ELS4_3ELNS0_20block_scan_algorithmE0ELj4294967295EEENS1_25partition_config_selectorILNS1_17partition_subalgoE3EjNS0_10empty_typeEbEEZZNS1_14partition_implILS8_3ELb0ES6_jNS0_17counting_iteratorIjlEEPS9_SE_NS0_5tupleIJPjSE_EEENSF_IJSE_SE_EEES9_SG_JZNS1_25segmented_radix_sort_implINS0_14default_configELb0EPKbPbPKlPlN2at6native12_GLOBAL__N_18offset_tEEE10hipError_tPvRmT1_PNSt15iterator_traitsISY_E10value_typeET2_T3_PNSZ_IS14_E10value_typeET4_jRbjT5_S1A_jjP12ihipStream_tbEUljE_EEESV_SW_SX_S14_S18_S1A_T6_T7_T9_mT8_S1C_bDpT10_ENKUlT_T0_E_clISt17integral_constantIbLb0EES1P_EEDaS1K_S1L_EUlS1K_E_NS1_11comp_targetILNS1_3genE5ELNS1_11target_archE942ELNS1_3gpuE9ELNS1_3repE0EEENS1_30default_config_static_selectorELNS0_4arch9wavefront6targetE0EEEvSY_.num_named_barrier, 0
	.set _ZN7rocprim17ROCPRIM_400000_NS6detail17trampoline_kernelINS0_13select_configILj256ELj13ELNS0_17block_load_methodE3ELS4_3ELS4_3ELNS0_20block_scan_algorithmE0ELj4294967295EEENS1_25partition_config_selectorILNS1_17partition_subalgoE3EjNS0_10empty_typeEbEEZZNS1_14partition_implILS8_3ELb0ES6_jNS0_17counting_iteratorIjlEEPS9_SE_NS0_5tupleIJPjSE_EEENSF_IJSE_SE_EEES9_SG_JZNS1_25segmented_radix_sort_implINS0_14default_configELb0EPKbPbPKlPlN2at6native12_GLOBAL__N_18offset_tEEE10hipError_tPvRmT1_PNSt15iterator_traitsISY_E10value_typeET2_T3_PNSZ_IS14_E10value_typeET4_jRbjT5_S1A_jjP12ihipStream_tbEUljE_EEESV_SW_SX_S14_S18_S1A_T6_T7_T9_mT8_S1C_bDpT10_ENKUlT_T0_E_clISt17integral_constantIbLb0EES1P_EEDaS1K_S1L_EUlS1K_E_NS1_11comp_targetILNS1_3genE5ELNS1_11target_archE942ELNS1_3gpuE9ELNS1_3repE0EEENS1_30default_config_static_selectorELNS0_4arch9wavefront6targetE0EEEvSY_.private_seg_size, 0
	.set _ZN7rocprim17ROCPRIM_400000_NS6detail17trampoline_kernelINS0_13select_configILj256ELj13ELNS0_17block_load_methodE3ELS4_3ELS4_3ELNS0_20block_scan_algorithmE0ELj4294967295EEENS1_25partition_config_selectorILNS1_17partition_subalgoE3EjNS0_10empty_typeEbEEZZNS1_14partition_implILS8_3ELb0ES6_jNS0_17counting_iteratorIjlEEPS9_SE_NS0_5tupleIJPjSE_EEENSF_IJSE_SE_EEES9_SG_JZNS1_25segmented_radix_sort_implINS0_14default_configELb0EPKbPbPKlPlN2at6native12_GLOBAL__N_18offset_tEEE10hipError_tPvRmT1_PNSt15iterator_traitsISY_E10value_typeET2_T3_PNSZ_IS14_E10value_typeET4_jRbjT5_S1A_jjP12ihipStream_tbEUljE_EEESV_SW_SX_S14_S18_S1A_T6_T7_T9_mT8_S1C_bDpT10_ENKUlT_T0_E_clISt17integral_constantIbLb0EES1P_EEDaS1K_S1L_EUlS1K_E_NS1_11comp_targetILNS1_3genE5ELNS1_11target_archE942ELNS1_3gpuE9ELNS1_3repE0EEENS1_30default_config_static_selectorELNS0_4arch9wavefront6targetE0EEEvSY_.uses_vcc, 0
	.set _ZN7rocprim17ROCPRIM_400000_NS6detail17trampoline_kernelINS0_13select_configILj256ELj13ELNS0_17block_load_methodE3ELS4_3ELS4_3ELNS0_20block_scan_algorithmE0ELj4294967295EEENS1_25partition_config_selectorILNS1_17partition_subalgoE3EjNS0_10empty_typeEbEEZZNS1_14partition_implILS8_3ELb0ES6_jNS0_17counting_iteratorIjlEEPS9_SE_NS0_5tupleIJPjSE_EEENSF_IJSE_SE_EEES9_SG_JZNS1_25segmented_radix_sort_implINS0_14default_configELb0EPKbPbPKlPlN2at6native12_GLOBAL__N_18offset_tEEE10hipError_tPvRmT1_PNSt15iterator_traitsISY_E10value_typeET2_T3_PNSZ_IS14_E10value_typeET4_jRbjT5_S1A_jjP12ihipStream_tbEUljE_EEESV_SW_SX_S14_S18_S1A_T6_T7_T9_mT8_S1C_bDpT10_ENKUlT_T0_E_clISt17integral_constantIbLb0EES1P_EEDaS1K_S1L_EUlS1K_E_NS1_11comp_targetILNS1_3genE5ELNS1_11target_archE942ELNS1_3gpuE9ELNS1_3repE0EEENS1_30default_config_static_selectorELNS0_4arch9wavefront6targetE0EEEvSY_.uses_flat_scratch, 0
	.set _ZN7rocprim17ROCPRIM_400000_NS6detail17trampoline_kernelINS0_13select_configILj256ELj13ELNS0_17block_load_methodE3ELS4_3ELS4_3ELNS0_20block_scan_algorithmE0ELj4294967295EEENS1_25partition_config_selectorILNS1_17partition_subalgoE3EjNS0_10empty_typeEbEEZZNS1_14partition_implILS8_3ELb0ES6_jNS0_17counting_iteratorIjlEEPS9_SE_NS0_5tupleIJPjSE_EEENSF_IJSE_SE_EEES9_SG_JZNS1_25segmented_radix_sort_implINS0_14default_configELb0EPKbPbPKlPlN2at6native12_GLOBAL__N_18offset_tEEE10hipError_tPvRmT1_PNSt15iterator_traitsISY_E10value_typeET2_T3_PNSZ_IS14_E10value_typeET4_jRbjT5_S1A_jjP12ihipStream_tbEUljE_EEESV_SW_SX_S14_S18_S1A_T6_T7_T9_mT8_S1C_bDpT10_ENKUlT_T0_E_clISt17integral_constantIbLb0EES1P_EEDaS1K_S1L_EUlS1K_E_NS1_11comp_targetILNS1_3genE5ELNS1_11target_archE942ELNS1_3gpuE9ELNS1_3repE0EEENS1_30default_config_static_selectorELNS0_4arch9wavefront6targetE0EEEvSY_.has_dyn_sized_stack, 0
	.set _ZN7rocprim17ROCPRIM_400000_NS6detail17trampoline_kernelINS0_13select_configILj256ELj13ELNS0_17block_load_methodE3ELS4_3ELS4_3ELNS0_20block_scan_algorithmE0ELj4294967295EEENS1_25partition_config_selectorILNS1_17partition_subalgoE3EjNS0_10empty_typeEbEEZZNS1_14partition_implILS8_3ELb0ES6_jNS0_17counting_iteratorIjlEEPS9_SE_NS0_5tupleIJPjSE_EEENSF_IJSE_SE_EEES9_SG_JZNS1_25segmented_radix_sort_implINS0_14default_configELb0EPKbPbPKlPlN2at6native12_GLOBAL__N_18offset_tEEE10hipError_tPvRmT1_PNSt15iterator_traitsISY_E10value_typeET2_T3_PNSZ_IS14_E10value_typeET4_jRbjT5_S1A_jjP12ihipStream_tbEUljE_EEESV_SW_SX_S14_S18_S1A_T6_T7_T9_mT8_S1C_bDpT10_ENKUlT_T0_E_clISt17integral_constantIbLb0EES1P_EEDaS1K_S1L_EUlS1K_E_NS1_11comp_targetILNS1_3genE5ELNS1_11target_archE942ELNS1_3gpuE9ELNS1_3repE0EEENS1_30default_config_static_selectorELNS0_4arch9wavefront6targetE0EEEvSY_.has_recursion, 0
	.set _ZN7rocprim17ROCPRIM_400000_NS6detail17trampoline_kernelINS0_13select_configILj256ELj13ELNS0_17block_load_methodE3ELS4_3ELS4_3ELNS0_20block_scan_algorithmE0ELj4294967295EEENS1_25partition_config_selectorILNS1_17partition_subalgoE3EjNS0_10empty_typeEbEEZZNS1_14partition_implILS8_3ELb0ES6_jNS0_17counting_iteratorIjlEEPS9_SE_NS0_5tupleIJPjSE_EEENSF_IJSE_SE_EEES9_SG_JZNS1_25segmented_radix_sort_implINS0_14default_configELb0EPKbPbPKlPlN2at6native12_GLOBAL__N_18offset_tEEE10hipError_tPvRmT1_PNSt15iterator_traitsISY_E10value_typeET2_T3_PNSZ_IS14_E10value_typeET4_jRbjT5_S1A_jjP12ihipStream_tbEUljE_EEESV_SW_SX_S14_S18_S1A_T6_T7_T9_mT8_S1C_bDpT10_ENKUlT_T0_E_clISt17integral_constantIbLb0EES1P_EEDaS1K_S1L_EUlS1K_E_NS1_11comp_targetILNS1_3genE5ELNS1_11target_archE942ELNS1_3gpuE9ELNS1_3repE0EEENS1_30default_config_static_selectorELNS0_4arch9wavefront6targetE0EEEvSY_.has_indirect_call, 0
	.section	.AMDGPU.csdata,"",@progbits
; Kernel info:
; codeLenInByte = 0
; TotalNumSgprs: 0
; NumVgprs: 0
; ScratchSize: 0
; MemoryBound: 0
; FloatMode: 240
; IeeeMode: 1
; LDSByteSize: 0 bytes/workgroup (compile time only)
; SGPRBlocks: 0
; VGPRBlocks: 0
; NumSGPRsForWavesPerEU: 1
; NumVGPRsForWavesPerEU: 1
; NamedBarCnt: 0
; Occupancy: 16
; WaveLimiterHint : 0
; COMPUTE_PGM_RSRC2:SCRATCH_EN: 0
; COMPUTE_PGM_RSRC2:USER_SGPR: 2
; COMPUTE_PGM_RSRC2:TRAP_HANDLER: 0
; COMPUTE_PGM_RSRC2:TGID_X_EN: 1
; COMPUTE_PGM_RSRC2:TGID_Y_EN: 0
; COMPUTE_PGM_RSRC2:TGID_Z_EN: 0
; COMPUTE_PGM_RSRC2:TIDIG_COMP_CNT: 0
	.section	.text._ZN7rocprim17ROCPRIM_400000_NS6detail17trampoline_kernelINS0_13select_configILj256ELj13ELNS0_17block_load_methodE3ELS4_3ELS4_3ELNS0_20block_scan_algorithmE0ELj4294967295EEENS1_25partition_config_selectorILNS1_17partition_subalgoE3EjNS0_10empty_typeEbEEZZNS1_14partition_implILS8_3ELb0ES6_jNS0_17counting_iteratorIjlEEPS9_SE_NS0_5tupleIJPjSE_EEENSF_IJSE_SE_EEES9_SG_JZNS1_25segmented_radix_sort_implINS0_14default_configELb0EPKbPbPKlPlN2at6native12_GLOBAL__N_18offset_tEEE10hipError_tPvRmT1_PNSt15iterator_traitsISY_E10value_typeET2_T3_PNSZ_IS14_E10value_typeET4_jRbjT5_S1A_jjP12ihipStream_tbEUljE_EEESV_SW_SX_S14_S18_S1A_T6_T7_T9_mT8_S1C_bDpT10_ENKUlT_T0_E_clISt17integral_constantIbLb0EES1P_EEDaS1K_S1L_EUlS1K_E_NS1_11comp_targetILNS1_3genE4ELNS1_11target_archE910ELNS1_3gpuE8ELNS1_3repE0EEENS1_30default_config_static_selectorELNS0_4arch9wavefront6targetE0EEEvSY_,"axG",@progbits,_ZN7rocprim17ROCPRIM_400000_NS6detail17trampoline_kernelINS0_13select_configILj256ELj13ELNS0_17block_load_methodE3ELS4_3ELS4_3ELNS0_20block_scan_algorithmE0ELj4294967295EEENS1_25partition_config_selectorILNS1_17partition_subalgoE3EjNS0_10empty_typeEbEEZZNS1_14partition_implILS8_3ELb0ES6_jNS0_17counting_iteratorIjlEEPS9_SE_NS0_5tupleIJPjSE_EEENSF_IJSE_SE_EEES9_SG_JZNS1_25segmented_radix_sort_implINS0_14default_configELb0EPKbPbPKlPlN2at6native12_GLOBAL__N_18offset_tEEE10hipError_tPvRmT1_PNSt15iterator_traitsISY_E10value_typeET2_T3_PNSZ_IS14_E10value_typeET4_jRbjT5_S1A_jjP12ihipStream_tbEUljE_EEESV_SW_SX_S14_S18_S1A_T6_T7_T9_mT8_S1C_bDpT10_ENKUlT_T0_E_clISt17integral_constantIbLb0EES1P_EEDaS1K_S1L_EUlS1K_E_NS1_11comp_targetILNS1_3genE4ELNS1_11target_archE910ELNS1_3gpuE8ELNS1_3repE0EEENS1_30default_config_static_selectorELNS0_4arch9wavefront6targetE0EEEvSY_,comdat
	.globl	_ZN7rocprim17ROCPRIM_400000_NS6detail17trampoline_kernelINS0_13select_configILj256ELj13ELNS0_17block_load_methodE3ELS4_3ELS4_3ELNS0_20block_scan_algorithmE0ELj4294967295EEENS1_25partition_config_selectorILNS1_17partition_subalgoE3EjNS0_10empty_typeEbEEZZNS1_14partition_implILS8_3ELb0ES6_jNS0_17counting_iteratorIjlEEPS9_SE_NS0_5tupleIJPjSE_EEENSF_IJSE_SE_EEES9_SG_JZNS1_25segmented_radix_sort_implINS0_14default_configELb0EPKbPbPKlPlN2at6native12_GLOBAL__N_18offset_tEEE10hipError_tPvRmT1_PNSt15iterator_traitsISY_E10value_typeET2_T3_PNSZ_IS14_E10value_typeET4_jRbjT5_S1A_jjP12ihipStream_tbEUljE_EEESV_SW_SX_S14_S18_S1A_T6_T7_T9_mT8_S1C_bDpT10_ENKUlT_T0_E_clISt17integral_constantIbLb0EES1P_EEDaS1K_S1L_EUlS1K_E_NS1_11comp_targetILNS1_3genE4ELNS1_11target_archE910ELNS1_3gpuE8ELNS1_3repE0EEENS1_30default_config_static_selectorELNS0_4arch9wavefront6targetE0EEEvSY_ ; -- Begin function _ZN7rocprim17ROCPRIM_400000_NS6detail17trampoline_kernelINS0_13select_configILj256ELj13ELNS0_17block_load_methodE3ELS4_3ELS4_3ELNS0_20block_scan_algorithmE0ELj4294967295EEENS1_25partition_config_selectorILNS1_17partition_subalgoE3EjNS0_10empty_typeEbEEZZNS1_14partition_implILS8_3ELb0ES6_jNS0_17counting_iteratorIjlEEPS9_SE_NS0_5tupleIJPjSE_EEENSF_IJSE_SE_EEES9_SG_JZNS1_25segmented_radix_sort_implINS0_14default_configELb0EPKbPbPKlPlN2at6native12_GLOBAL__N_18offset_tEEE10hipError_tPvRmT1_PNSt15iterator_traitsISY_E10value_typeET2_T3_PNSZ_IS14_E10value_typeET4_jRbjT5_S1A_jjP12ihipStream_tbEUljE_EEESV_SW_SX_S14_S18_S1A_T6_T7_T9_mT8_S1C_bDpT10_ENKUlT_T0_E_clISt17integral_constantIbLb0EES1P_EEDaS1K_S1L_EUlS1K_E_NS1_11comp_targetILNS1_3genE4ELNS1_11target_archE910ELNS1_3gpuE8ELNS1_3repE0EEENS1_30default_config_static_selectorELNS0_4arch9wavefront6targetE0EEEvSY_
	.p2align	8
	.type	_ZN7rocprim17ROCPRIM_400000_NS6detail17trampoline_kernelINS0_13select_configILj256ELj13ELNS0_17block_load_methodE3ELS4_3ELS4_3ELNS0_20block_scan_algorithmE0ELj4294967295EEENS1_25partition_config_selectorILNS1_17partition_subalgoE3EjNS0_10empty_typeEbEEZZNS1_14partition_implILS8_3ELb0ES6_jNS0_17counting_iteratorIjlEEPS9_SE_NS0_5tupleIJPjSE_EEENSF_IJSE_SE_EEES9_SG_JZNS1_25segmented_radix_sort_implINS0_14default_configELb0EPKbPbPKlPlN2at6native12_GLOBAL__N_18offset_tEEE10hipError_tPvRmT1_PNSt15iterator_traitsISY_E10value_typeET2_T3_PNSZ_IS14_E10value_typeET4_jRbjT5_S1A_jjP12ihipStream_tbEUljE_EEESV_SW_SX_S14_S18_S1A_T6_T7_T9_mT8_S1C_bDpT10_ENKUlT_T0_E_clISt17integral_constantIbLb0EES1P_EEDaS1K_S1L_EUlS1K_E_NS1_11comp_targetILNS1_3genE4ELNS1_11target_archE910ELNS1_3gpuE8ELNS1_3repE0EEENS1_30default_config_static_selectorELNS0_4arch9wavefront6targetE0EEEvSY_,@function
_ZN7rocprim17ROCPRIM_400000_NS6detail17trampoline_kernelINS0_13select_configILj256ELj13ELNS0_17block_load_methodE3ELS4_3ELS4_3ELNS0_20block_scan_algorithmE0ELj4294967295EEENS1_25partition_config_selectorILNS1_17partition_subalgoE3EjNS0_10empty_typeEbEEZZNS1_14partition_implILS8_3ELb0ES6_jNS0_17counting_iteratorIjlEEPS9_SE_NS0_5tupleIJPjSE_EEENSF_IJSE_SE_EEES9_SG_JZNS1_25segmented_radix_sort_implINS0_14default_configELb0EPKbPbPKlPlN2at6native12_GLOBAL__N_18offset_tEEE10hipError_tPvRmT1_PNSt15iterator_traitsISY_E10value_typeET2_T3_PNSZ_IS14_E10value_typeET4_jRbjT5_S1A_jjP12ihipStream_tbEUljE_EEESV_SW_SX_S14_S18_S1A_T6_T7_T9_mT8_S1C_bDpT10_ENKUlT_T0_E_clISt17integral_constantIbLb0EES1P_EEDaS1K_S1L_EUlS1K_E_NS1_11comp_targetILNS1_3genE4ELNS1_11target_archE910ELNS1_3gpuE8ELNS1_3repE0EEENS1_30default_config_static_selectorELNS0_4arch9wavefront6targetE0EEEvSY_: ; @_ZN7rocprim17ROCPRIM_400000_NS6detail17trampoline_kernelINS0_13select_configILj256ELj13ELNS0_17block_load_methodE3ELS4_3ELS4_3ELNS0_20block_scan_algorithmE0ELj4294967295EEENS1_25partition_config_selectorILNS1_17partition_subalgoE3EjNS0_10empty_typeEbEEZZNS1_14partition_implILS8_3ELb0ES6_jNS0_17counting_iteratorIjlEEPS9_SE_NS0_5tupleIJPjSE_EEENSF_IJSE_SE_EEES9_SG_JZNS1_25segmented_radix_sort_implINS0_14default_configELb0EPKbPbPKlPlN2at6native12_GLOBAL__N_18offset_tEEE10hipError_tPvRmT1_PNSt15iterator_traitsISY_E10value_typeET2_T3_PNSZ_IS14_E10value_typeET4_jRbjT5_S1A_jjP12ihipStream_tbEUljE_EEESV_SW_SX_S14_S18_S1A_T6_T7_T9_mT8_S1C_bDpT10_ENKUlT_T0_E_clISt17integral_constantIbLb0EES1P_EEDaS1K_S1L_EUlS1K_E_NS1_11comp_targetILNS1_3genE4ELNS1_11target_archE910ELNS1_3gpuE8ELNS1_3repE0EEENS1_30default_config_static_selectorELNS0_4arch9wavefront6targetE0EEEvSY_
; %bb.0:
	.section	.rodata,"a",@progbits
	.p2align	6, 0x0
	.amdhsa_kernel _ZN7rocprim17ROCPRIM_400000_NS6detail17trampoline_kernelINS0_13select_configILj256ELj13ELNS0_17block_load_methodE3ELS4_3ELS4_3ELNS0_20block_scan_algorithmE0ELj4294967295EEENS1_25partition_config_selectorILNS1_17partition_subalgoE3EjNS0_10empty_typeEbEEZZNS1_14partition_implILS8_3ELb0ES6_jNS0_17counting_iteratorIjlEEPS9_SE_NS0_5tupleIJPjSE_EEENSF_IJSE_SE_EEES9_SG_JZNS1_25segmented_radix_sort_implINS0_14default_configELb0EPKbPbPKlPlN2at6native12_GLOBAL__N_18offset_tEEE10hipError_tPvRmT1_PNSt15iterator_traitsISY_E10value_typeET2_T3_PNSZ_IS14_E10value_typeET4_jRbjT5_S1A_jjP12ihipStream_tbEUljE_EEESV_SW_SX_S14_S18_S1A_T6_T7_T9_mT8_S1C_bDpT10_ENKUlT_T0_E_clISt17integral_constantIbLb0EES1P_EEDaS1K_S1L_EUlS1K_E_NS1_11comp_targetILNS1_3genE4ELNS1_11target_archE910ELNS1_3gpuE8ELNS1_3repE0EEENS1_30default_config_static_selectorELNS0_4arch9wavefront6targetE0EEEvSY_
		.amdhsa_group_segment_fixed_size 0
		.amdhsa_private_segment_fixed_size 0
		.amdhsa_kernarg_size 144
		.amdhsa_user_sgpr_count 2
		.amdhsa_user_sgpr_dispatch_ptr 0
		.amdhsa_user_sgpr_queue_ptr 0
		.amdhsa_user_sgpr_kernarg_segment_ptr 1
		.amdhsa_user_sgpr_dispatch_id 0
		.amdhsa_user_sgpr_kernarg_preload_length 0
		.amdhsa_user_sgpr_kernarg_preload_offset 0
		.amdhsa_user_sgpr_private_segment_size 0
		.amdhsa_wavefront_size32 1
		.amdhsa_uses_dynamic_stack 0
		.amdhsa_enable_private_segment 0
		.amdhsa_system_sgpr_workgroup_id_x 1
		.amdhsa_system_sgpr_workgroup_id_y 0
		.amdhsa_system_sgpr_workgroup_id_z 0
		.amdhsa_system_sgpr_workgroup_info 0
		.amdhsa_system_vgpr_workitem_id 0
		.amdhsa_next_free_vgpr 1
		.amdhsa_next_free_sgpr 1
		.amdhsa_named_barrier_count 0
		.amdhsa_reserve_vcc 0
		.amdhsa_float_round_mode_32 0
		.amdhsa_float_round_mode_16_64 0
		.amdhsa_float_denorm_mode_32 3
		.amdhsa_float_denorm_mode_16_64 3
		.amdhsa_fp16_overflow 0
		.amdhsa_memory_ordered 1
		.amdhsa_forward_progress 1
		.amdhsa_inst_pref_size 0
		.amdhsa_round_robin_scheduling 0
		.amdhsa_exception_fp_ieee_invalid_op 0
		.amdhsa_exception_fp_denorm_src 0
		.amdhsa_exception_fp_ieee_div_zero 0
		.amdhsa_exception_fp_ieee_overflow 0
		.amdhsa_exception_fp_ieee_underflow 0
		.amdhsa_exception_fp_ieee_inexact 0
		.amdhsa_exception_int_div_zero 0
	.end_amdhsa_kernel
	.section	.text._ZN7rocprim17ROCPRIM_400000_NS6detail17trampoline_kernelINS0_13select_configILj256ELj13ELNS0_17block_load_methodE3ELS4_3ELS4_3ELNS0_20block_scan_algorithmE0ELj4294967295EEENS1_25partition_config_selectorILNS1_17partition_subalgoE3EjNS0_10empty_typeEbEEZZNS1_14partition_implILS8_3ELb0ES6_jNS0_17counting_iteratorIjlEEPS9_SE_NS0_5tupleIJPjSE_EEENSF_IJSE_SE_EEES9_SG_JZNS1_25segmented_radix_sort_implINS0_14default_configELb0EPKbPbPKlPlN2at6native12_GLOBAL__N_18offset_tEEE10hipError_tPvRmT1_PNSt15iterator_traitsISY_E10value_typeET2_T3_PNSZ_IS14_E10value_typeET4_jRbjT5_S1A_jjP12ihipStream_tbEUljE_EEESV_SW_SX_S14_S18_S1A_T6_T7_T9_mT8_S1C_bDpT10_ENKUlT_T0_E_clISt17integral_constantIbLb0EES1P_EEDaS1K_S1L_EUlS1K_E_NS1_11comp_targetILNS1_3genE4ELNS1_11target_archE910ELNS1_3gpuE8ELNS1_3repE0EEENS1_30default_config_static_selectorELNS0_4arch9wavefront6targetE0EEEvSY_,"axG",@progbits,_ZN7rocprim17ROCPRIM_400000_NS6detail17trampoline_kernelINS0_13select_configILj256ELj13ELNS0_17block_load_methodE3ELS4_3ELS4_3ELNS0_20block_scan_algorithmE0ELj4294967295EEENS1_25partition_config_selectorILNS1_17partition_subalgoE3EjNS0_10empty_typeEbEEZZNS1_14partition_implILS8_3ELb0ES6_jNS0_17counting_iteratorIjlEEPS9_SE_NS0_5tupleIJPjSE_EEENSF_IJSE_SE_EEES9_SG_JZNS1_25segmented_radix_sort_implINS0_14default_configELb0EPKbPbPKlPlN2at6native12_GLOBAL__N_18offset_tEEE10hipError_tPvRmT1_PNSt15iterator_traitsISY_E10value_typeET2_T3_PNSZ_IS14_E10value_typeET4_jRbjT5_S1A_jjP12ihipStream_tbEUljE_EEESV_SW_SX_S14_S18_S1A_T6_T7_T9_mT8_S1C_bDpT10_ENKUlT_T0_E_clISt17integral_constantIbLb0EES1P_EEDaS1K_S1L_EUlS1K_E_NS1_11comp_targetILNS1_3genE4ELNS1_11target_archE910ELNS1_3gpuE8ELNS1_3repE0EEENS1_30default_config_static_selectorELNS0_4arch9wavefront6targetE0EEEvSY_,comdat
.Lfunc_end1596:
	.size	_ZN7rocprim17ROCPRIM_400000_NS6detail17trampoline_kernelINS0_13select_configILj256ELj13ELNS0_17block_load_methodE3ELS4_3ELS4_3ELNS0_20block_scan_algorithmE0ELj4294967295EEENS1_25partition_config_selectorILNS1_17partition_subalgoE3EjNS0_10empty_typeEbEEZZNS1_14partition_implILS8_3ELb0ES6_jNS0_17counting_iteratorIjlEEPS9_SE_NS0_5tupleIJPjSE_EEENSF_IJSE_SE_EEES9_SG_JZNS1_25segmented_radix_sort_implINS0_14default_configELb0EPKbPbPKlPlN2at6native12_GLOBAL__N_18offset_tEEE10hipError_tPvRmT1_PNSt15iterator_traitsISY_E10value_typeET2_T3_PNSZ_IS14_E10value_typeET4_jRbjT5_S1A_jjP12ihipStream_tbEUljE_EEESV_SW_SX_S14_S18_S1A_T6_T7_T9_mT8_S1C_bDpT10_ENKUlT_T0_E_clISt17integral_constantIbLb0EES1P_EEDaS1K_S1L_EUlS1K_E_NS1_11comp_targetILNS1_3genE4ELNS1_11target_archE910ELNS1_3gpuE8ELNS1_3repE0EEENS1_30default_config_static_selectorELNS0_4arch9wavefront6targetE0EEEvSY_, .Lfunc_end1596-_ZN7rocprim17ROCPRIM_400000_NS6detail17trampoline_kernelINS0_13select_configILj256ELj13ELNS0_17block_load_methodE3ELS4_3ELS4_3ELNS0_20block_scan_algorithmE0ELj4294967295EEENS1_25partition_config_selectorILNS1_17partition_subalgoE3EjNS0_10empty_typeEbEEZZNS1_14partition_implILS8_3ELb0ES6_jNS0_17counting_iteratorIjlEEPS9_SE_NS0_5tupleIJPjSE_EEENSF_IJSE_SE_EEES9_SG_JZNS1_25segmented_radix_sort_implINS0_14default_configELb0EPKbPbPKlPlN2at6native12_GLOBAL__N_18offset_tEEE10hipError_tPvRmT1_PNSt15iterator_traitsISY_E10value_typeET2_T3_PNSZ_IS14_E10value_typeET4_jRbjT5_S1A_jjP12ihipStream_tbEUljE_EEESV_SW_SX_S14_S18_S1A_T6_T7_T9_mT8_S1C_bDpT10_ENKUlT_T0_E_clISt17integral_constantIbLb0EES1P_EEDaS1K_S1L_EUlS1K_E_NS1_11comp_targetILNS1_3genE4ELNS1_11target_archE910ELNS1_3gpuE8ELNS1_3repE0EEENS1_30default_config_static_selectorELNS0_4arch9wavefront6targetE0EEEvSY_
                                        ; -- End function
	.set _ZN7rocprim17ROCPRIM_400000_NS6detail17trampoline_kernelINS0_13select_configILj256ELj13ELNS0_17block_load_methodE3ELS4_3ELS4_3ELNS0_20block_scan_algorithmE0ELj4294967295EEENS1_25partition_config_selectorILNS1_17partition_subalgoE3EjNS0_10empty_typeEbEEZZNS1_14partition_implILS8_3ELb0ES6_jNS0_17counting_iteratorIjlEEPS9_SE_NS0_5tupleIJPjSE_EEENSF_IJSE_SE_EEES9_SG_JZNS1_25segmented_radix_sort_implINS0_14default_configELb0EPKbPbPKlPlN2at6native12_GLOBAL__N_18offset_tEEE10hipError_tPvRmT1_PNSt15iterator_traitsISY_E10value_typeET2_T3_PNSZ_IS14_E10value_typeET4_jRbjT5_S1A_jjP12ihipStream_tbEUljE_EEESV_SW_SX_S14_S18_S1A_T6_T7_T9_mT8_S1C_bDpT10_ENKUlT_T0_E_clISt17integral_constantIbLb0EES1P_EEDaS1K_S1L_EUlS1K_E_NS1_11comp_targetILNS1_3genE4ELNS1_11target_archE910ELNS1_3gpuE8ELNS1_3repE0EEENS1_30default_config_static_selectorELNS0_4arch9wavefront6targetE0EEEvSY_.num_vgpr, 0
	.set _ZN7rocprim17ROCPRIM_400000_NS6detail17trampoline_kernelINS0_13select_configILj256ELj13ELNS0_17block_load_methodE3ELS4_3ELS4_3ELNS0_20block_scan_algorithmE0ELj4294967295EEENS1_25partition_config_selectorILNS1_17partition_subalgoE3EjNS0_10empty_typeEbEEZZNS1_14partition_implILS8_3ELb0ES6_jNS0_17counting_iteratorIjlEEPS9_SE_NS0_5tupleIJPjSE_EEENSF_IJSE_SE_EEES9_SG_JZNS1_25segmented_radix_sort_implINS0_14default_configELb0EPKbPbPKlPlN2at6native12_GLOBAL__N_18offset_tEEE10hipError_tPvRmT1_PNSt15iterator_traitsISY_E10value_typeET2_T3_PNSZ_IS14_E10value_typeET4_jRbjT5_S1A_jjP12ihipStream_tbEUljE_EEESV_SW_SX_S14_S18_S1A_T6_T7_T9_mT8_S1C_bDpT10_ENKUlT_T0_E_clISt17integral_constantIbLb0EES1P_EEDaS1K_S1L_EUlS1K_E_NS1_11comp_targetILNS1_3genE4ELNS1_11target_archE910ELNS1_3gpuE8ELNS1_3repE0EEENS1_30default_config_static_selectorELNS0_4arch9wavefront6targetE0EEEvSY_.num_agpr, 0
	.set _ZN7rocprim17ROCPRIM_400000_NS6detail17trampoline_kernelINS0_13select_configILj256ELj13ELNS0_17block_load_methodE3ELS4_3ELS4_3ELNS0_20block_scan_algorithmE0ELj4294967295EEENS1_25partition_config_selectorILNS1_17partition_subalgoE3EjNS0_10empty_typeEbEEZZNS1_14partition_implILS8_3ELb0ES6_jNS0_17counting_iteratorIjlEEPS9_SE_NS0_5tupleIJPjSE_EEENSF_IJSE_SE_EEES9_SG_JZNS1_25segmented_radix_sort_implINS0_14default_configELb0EPKbPbPKlPlN2at6native12_GLOBAL__N_18offset_tEEE10hipError_tPvRmT1_PNSt15iterator_traitsISY_E10value_typeET2_T3_PNSZ_IS14_E10value_typeET4_jRbjT5_S1A_jjP12ihipStream_tbEUljE_EEESV_SW_SX_S14_S18_S1A_T6_T7_T9_mT8_S1C_bDpT10_ENKUlT_T0_E_clISt17integral_constantIbLb0EES1P_EEDaS1K_S1L_EUlS1K_E_NS1_11comp_targetILNS1_3genE4ELNS1_11target_archE910ELNS1_3gpuE8ELNS1_3repE0EEENS1_30default_config_static_selectorELNS0_4arch9wavefront6targetE0EEEvSY_.numbered_sgpr, 0
	.set _ZN7rocprim17ROCPRIM_400000_NS6detail17trampoline_kernelINS0_13select_configILj256ELj13ELNS0_17block_load_methodE3ELS4_3ELS4_3ELNS0_20block_scan_algorithmE0ELj4294967295EEENS1_25partition_config_selectorILNS1_17partition_subalgoE3EjNS0_10empty_typeEbEEZZNS1_14partition_implILS8_3ELb0ES6_jNS0_17counting_iteratorIjlEEPS9_SE_NS0_5tupleIJPjSE_EEENSF_IJSE_SE_EEES9_SG_JZNS1_25segmented_radix_sort_implINS0_14default_configELb0EPKbPbPKlPlN2at6native12_GLOBAL__N_18offset_tEEE10hipError_tPvRmT1_PNSt15iterator_traitsISY_E10value_typeET2_T3_PNSZ_IS14_E10value_typeET4_jRbjT5_S1A_jjP12ihipStream_tbEUljE_EEESV_SW_SX_S14_S18_S1A_T6_T7_T9_mT8_S1C_bDpT10_ENKUlT_T0_E_clISt17integral_constantIbLb0EES1P_EEDaS1K_S1L_EUlS1K_E_NS1_11comp_targetILNS1_3genE4ELNS1_11target_archE910ELNS1_3gpuE8ELNS1_3repE0EEENS1_30default_config_static_selectorELNS0_4arch9wavefront6targetE0EEEvSY_.num_named_barrier, 0
	.set _ZN7rocprim17ROCPRIM_400000_NS6detail17trampoline_kernelINS0_13select_configILj256ELj13ELNS0_17block_load_methodE3ELS4_3ELS4_3ELNS0_20block_scan_algorithmE0ELj4294967295EEENS1_25partition_config_selectorILNS1_17partition_subalgoE3EjNS0_10empty_typeEbEEZZNS1_14partition_implILS8_3ELb0ES6_jNS0_17counting_iteratorIjlEEPS9_SE_NS0_5tupleIJPjSE_EEENSF_IJSE_SE_EEES9_SG_JZNS1_25segmented_radix_sort_implINS0_14default_configELb0EPKbPbPKlPlN2at6native12_GLOBAL__N_18offset_tEEE10hipError_tPvRmT1_PNSt15iterator_traitsISY_E10value_typeET2_T3_PNSZ_IS14_E10value_typeET4_jRbjT5_S1A_jjP12ihipStream_tbEUljE_EEESV_SW_SX_S14_S18_S1A_T6_T7_T9_mT8_S1C_bDpT10_ENKUlT_T0_E_clISt17integral_constantIbLb0EES1P_EEDaS1K_S1L_EUlS1K_E_NS1_11comp_targetILNS1_3genE4ELNS1_11target_archE910ELNS1_3gpuE8ELNS1_3repE0EEENS1_30default_config_static_selectorELNS0_4arch9wavefront6targetE0EEEvSY_.private_seg_size, 0
	.set _ZN7rocprim17ROCPRIM_400000_NS6detail17trampoline_kernelINS0_13select_configILj256ELj13ELNS0_17block_load_methodE3ELS4_3ELS4_3ELNS0_20block_scan_algorithmE0ELj4294967295EEENS1_25partition_config_selectorILNS1_17partition_subalgoE3EjNS0_10empty_typeEbEEZZNS1_14partition_implILS8_3ELb0ES6_jNS0_17counting_iteratorIjlEEPS9_SE_NS0_5tupleIJPjSE_EEENSF_IJSE_SE_EEES9_SG_JZNS1_25segmented_radix_sort_implINS0_14default_configELb0EPKbPbPKlPlN2at6native12_GLOBAL__N_18offset_tEEE10hipError_tPvRmT1_PNSt15iterator_traitsISY_E10value_typeET2_T3_PNSZ_IS14_E10value_typeET4_jRbjT5_S1A_jjP12ihipStream_tbEUljE_EEESV_SW_SX_S14_S18_S1A_T6_T7_T9_mT8_S1C_bDpT10_ENKUlT_T0_E_clISt17integral_constantIbLb0EES1P_EEDaS1K_S1L_EUlS1K_E_NS1_11comp_targetILNS1_3genE4ELNS1_11target_archE910ELNS1_3gpuE8ELNS1_3repE0EEENS1_30default_config_static_selectorELNS0_4arch9wavefront6targetE0EEEvSY_.uses_vcc, 0
	.set _ZN7rocprim17ROCPRIM_400000_NS6detail17trampoline_kernelINS0_13select_configILj256ELj13ELNS0_17block_load_methodE3ELS4_3ELS4_3ELNS0_20block_scan_algorithmE0ELj4294967295EEENS1_25partition_config_selectorILNS1_17partition_subalgoE3EjNS0_10empty_typeEbEEZZNS1_14partition_implILS8_3ELb0ES6_jNS0_17counting_iteratorIjlEEPS9_SE_NS0_5tupleIJPjSE_EEENSF_IJSE_SE_EEES9_SG_JZNS1_25segmented_radix_sort_implINS0_14default_configELb0EPKbPbPKlPlN2at6native12_GLOBAL__N_18offset_tEEE10hipError_tPvRmT1_PNSt15iterator_traitsISY_E10value_typeET2_T3_PNSZ_IS14_E10value_typeET4_jRbjT5_S1A_jjP12ihipStream_tbEUljE_EEESV_SW_SX_S14_S18_S1A_T6_T7_T9_mT8_S1C_bDpT10_ENKUlT_T0_E_clISt17integral_constantIbLb0EES1P_EEDaS1K_S1L_EUlS1K_E_NS1_11comp_targetILNS1_3genE4ELNS1_11target_archE910ELNS1_3gpuE8ELNS1_3repE0EEENS1_30default_config_static_selectorELNS0_4arch9wavefront6targetE0EEEvSY_.uses_flat_scratch, 0
	.set _ZN7rocprim17ROCPRIM_400000_NS6detail17trampoline_kernelINS0_13select_configILj256ELj13ELNS0_17block_load_methodE3ELS4_3ELS4_3ELNS0_20block_scan_algorithmE0ELj4294967295EEENS1_25partition_config_selectorILNS1_17partition_subalgoE3EjNS0_10empty_typeEbEEZZNS1_14partition_implILS8_3ELb0ES6_jNS0_17counting_iteratorIjlEEPS9_SE_NS0_5tupleIJPjSE_EEENSF_IJSE_SE_EEES9_SG_JZNS1_25segmented_radix_sort_implINS0_14default_configELb0EPKbPbPKlPlN2at6native12_GLOBAL__N_18offset_tEEE10hipError_tPvRmT1_PNSt15iterator_traitsISY_E10value_typeET2_T3_PNSZ_IS14_E10value_typeET4_jRbjT5_S1A_jjP12ihipStream_tbEUljE_EEESV_SW_SX_S14_S18_S1A_T6_T7_T9_mT8_S1C_bDpT10_ENKUlT_T0_E_clISt17integral_constantIbLb0EES1P_EEDaS1K_S1L_EUlS1K_E_NS1_11comp_targetILNS1_3genE4ELNS1_11target_archE910ELNS1_3gpuE8ELNS1_3repE0EEENS1_30default_config_static_selectorELNS0_4arch9wavefront6targetE0EEEvSY_.has_dyn_sized_stack, 0
	.set _ZN7rocprim17ROCPRIM_400000_NS6detail17trampoline_kernelINS0_13select_configILj256ELj13ELNS0_17block_load_methodE3ELS4_3ELS4_3ELNS0_20block_scan_algorithmE0ELj4294967295EEENS1_25partition_config_selectorILNS1_17partition_subalgoE3EjNS0_10empty_typeEbEEZZNS1_14partition_implILS8_3ELb0ES6_jNS0_17counting_iteratorIjlEEPS9_SE_NS0_5tupleIJPjSE_EEENSF_IJSE_SE_EEES9_SG_JZNS1_25segmented_radix_sort_implINS0_14default_configELb0EPKbPbPKlPlN2at6native12_GLOBAL__N_18offset_tEEE10hipError_tPvRmT1_PNSt15iterator_traitsISY_E10value_typeET2_T3_PNSZ_IS14_E10value_typeET4_jRbjT5_S1A_jjP12ihipStream_tbEUljE_EEESV_SW_SX_S14_S18_S1A_T6_T7_T9_mT8_S1C_bDpT10_ENKUlT_T0_E_clISt17integral_constantIbLb0EES1P_EEDaS1K_S1L_EUlS1K_E_NS1_11comp_targetILNS1_3genE4ELNS1_11target_archE910ELNS1_3gpuE8ELNS1_3repE0EEENS1_30default_config_static_selectorELNS0_4arch9wavefront6targetE0EEEvSY_.has_recursion, 0
	.set _ZN7rocprim17ROCPRIM_400000_NS6detail17trampoline_kernelINS0_13select_configILj256ELj13ELNS0_17block_load_methodE3ELS4_3ELS4_3ELNS0_20block_scan_algorithmE0ELj4294967295EEENS1_25partition_config_selectorILNS1_17partition_subalgoE3EjNS0_10empty_typeEbEEZZNS1_14partition_implILS8_3ELb0ES6_jNS0_17counting_iteratorIjlEEPS9_SE_NS0_5tupleIJPjSE_EEENSF_IJSE_SE_EEES9_SG_JZNS1_25segmented_radix_sort_implINS0_14default_configELb0EPKbPbPKlPlN2at6native12_GLOBAL__N_18offset_tEEE10hipError_tPvRmT1_PNSt15iterator_traitsISY_E10value_typeET2_T3_PNSZ_IS14_E10value_typeET4_jRbjT5_S1A_jjP12ihipStream_tbEUljE_EEESV_SW_SX_S14_S18_S1A_T6_T7_T9_mT8_S1C_bDpT10_ENKUlT_T0_E_clISt17integral_constantIbLb0EES1P_EEDaS1K_S1L_EUlS1K_E_NS1_11comp_targetILNS1_3genE4ELNS1_11target_archE910ELNS1_3gpuE8ELNS1_3repE0EEENS1_30default_config_static_selectorELNS0_4arch9wavefront6targetE0EEEvSY_.has_indirect_call, 0
	.section	.AMDGPU.csdata,"",@progbits
; Kernel info:
; codeLenInByte = 0
; TotalNumSgprs: 0
; NumVgprs: 0
; ScratchSize: 0
; MemoryBound: 0
; FloatMode: 240
; IeeeMode: 1
; LDSByteSize: 0 bytes/workgroup (compile time only)
; SGPRBlocks: 0
; VGPRBlocks: 0
; NumSGPRsForWavesPerEU: 1
; NumVGPRsForWavesPerEU: 1
; NamedBarCnt: 0
; Occupancy: 16
; WaveLimiterHint : 0
; COMPUTE_PGM_RSRC2:SCRATCH_EN: 0
; COMPUTE_PGM_RSRC2:USER_SGPR: 2
; COMPUTE_PGM_RSRC2:TRAP_HANDLER: 0
; COMPUTE_PGM_RSRC2:TGID_X_EN: 1
; COMPUTE_PGM_RSRC2:TGID_Y_EN: 0
; COMPUTE_PGM_RSRC2:TGID_Z_EN: 0
; COMPUTE_PGM_RSRC2:TIDIG_COMP_CNT: 0
	.section	.text._ZN7rocprim17ROCPRIM_400000_NS6detail17trampoline_kernelINS0_13select_configILj256ELj13ELNS0_17block_load_methodE3ELS4_3ELS4_3ELNS0_20block_scan_algorithmE0ELj4294967295EEENS1_25partition_config_selectorILNS1_17partition_subalgoE3EjNS0_10empty_typeEbEEZZNS1_14partition_implILS8_3ELb0ES6_jNS0_17counting_iteratorIjlEEPS9_SE_NS0_5tupleIJPjSE_EEENSF_IJSE_SE_EEES9_SG_JZNS1_25segmented_radix_sort_implINS0_14default_configELb0EPKbPbPKlPlN2at6native12_GLOBAL__N_18offset_tEEE10hipError_tPvRmT1_PNSt15iterator_traitsISY_E10value_typeET2_T3_PNSZ_IS14_E10value_typeET4_jRbjT5_S1A_jjP12ihipStream_tbEUljE_EEESV_SW_SX_S14_S18_S1A_T6_T7_T9_mT8_S1C_bDpT10_ENKUlT_T0_E_clISt17integral_constantIbLb0EES1P_EEDaS1K_S1L_EUlS1K_E_NS1_11comp_targetILNS1_3genE3ELNS1_11target_archE908ELNS1_3gpuE7ELNS1_3repE0EEENS1_30default_config_static_selectorELNS0_4arch9wavefront6targetE0EEEvSY_,"axG",@progbits,_ZN7rocprim17ROCPRIM_400000_NS6detail17trampoline_kernelINS0_13select_configILj256ELj13ELNS0_17block_load_methodE3ELS4_3ELS4_3ELNS0_20block_scan_algorithmE0ELj4294967295EEENS1_25partition_config_selectorILNS1_17partition_subalgoE3EjNS0_10empty_typeEbEEZZNS1_14partition_implILS8_3ELb0ES6_jNS0_17counting_iteratorIjlEEPS9_SE_NS0_5tupleIJPjSE_EEENSF_IJSE_SE_EEES9_SG_JZNS1_25segmented_radix_sort_implINS0_14default_configELb0EPKbPbPKlPlN2at6native12_GLOBAL__N_18offset_tEEE10hipError_tPvRmT1_PNSt15iterator_traitsISY_E10value_typeET2_T3_PNSZ_IS14_E10value_typeET4_jRbjT5_S1A_jjP12ihipStream_tbEUljE_EEESV_SW_SX_S14_S18_S1A_T6_T7_T9_mT8_S1C_bDpT10_ENKUlT_T0_E_clISt17integral_constantIbLb0EES1P_EEDaS1K_S1L_EUlS1K_E_NS1_11comp_targetILNS1_3genE3ELNS1_11target_archE908ELNS1_3gpuE7ELNS1_3repE0EEENS1_30default_config_static_selectorELNS0_4arch9wavefront6targetE0EEEvSY_,comdat
	.globl	_ZN7rocprim17ROCPRIM_400000_NS6detail17trampoline_kernelINS0_13select_configILj256ELj13ELNS0_17block_load_methodE3ELS4_3ELS4_3ELNS0_20block_scan_algorithmE0ELj4294967295EEENS1_25partition_config_selectorILNS1_17partition_subalgoE3EjNS0_10empty_typeEbEEZZNS1_14partition_implILS8_3ELb0ES6_jNS0_17counting_iteratorIjlEEPS9_SE_NS0_5tupleIJPjSE_EEENSF_IJSE_SE_EEES9_SG_JZNS1_25segmented_radix_sort_implINS0_14default_configELb0EPKbPbPKlPlN2at6native12_GLOBAL__N_18offset_tEEE10hipError_tPvRmT1_PNSt15iterator_traitsISY_E10value_typeET2_T3_PNSZ_IS14_E10value_typeET4_jRbjT5_S1A_jjP12ihipStream_tbEUljE_EEESV_SW_SX_S14_S18_S1A_T6_T7_T9_mT8_S1C_bDpT10_ENKUlT_T0_E_clISt17integral_constantIbLb0EES1P_EEDaS1K_S1L_EUlS1K_E_NS1_11comp_targetILNS1_3genE3ELNS1_11target_archE908ELNS1_3gpuE7ELNS1_3repE0EEENS1_30default_config_static_selectorELNS0_4arch9wavefront6targetE0EEEvSY_ ; -- Begin function _ZN7rocprim17ROCPRIM_400000_NS6detail17trampoline_kernelINS0_13select_configILj256ELj13ELNS0_17block_load_methodE3ELS4_3ELS4_3ELNS0_20block_scan_algorithmE0ELj4294967295EEENS1_25partition_config_selectorILNS1_17partition_subalgoE3EjNS0_10empty_typeEbEEZZNS1_14partition_implILS8_3ELb0ES6_jNS0_17counting_iteratorIjlEEPS9_SE_NS0_5tupleIJPjSE_EEENSF_IJSE_SE_EEES9_SG_JZNS1_25segmented_radix_sort_implINS0_14default_configELb0EPKbPbPKlPlN2at6native12_GLOBAL__N_18offset_tEEE10hipError_tPvRmT1_PNSt15iterator_traitsISY_E10value_typeET2_T3_PNSZ_IS14_E10value_typeET4_jRbjT5_S1A_jjP12ihipStream_tbEUljE_EEESV_SW_SX_S14_S18_S1A_T6_T7_T9_mT8_S1C_bDpT10_ENKUlT_T0_E_clISt17integral_constantIbLb0EES1P_EEDaS1K_S1L_EUlS1K_E_NS1_11comp_targetILNS1_3genE3ELNS1_11target_archE908ELNS1_3gpuE7ELNS1_3repE0EEENS1_30default_config_static_selectorELNS0_4arch9wavefront6targetE0EEEvSY_
	.p2align	8
	.type	_ZN7rocprim17ROCPRIM_400000_NS6detail17trampoline_kernelINS0_13select_configILj256ELj13ELNS0_17block_load_methodE3ELS4_3ELS4_3ELNS0_20block_scan_algorithmE0ELj4294967295EEENS1_25partition_config_selectorILNS1_17partition_subalgoE3EjNS0_10empty_typeEbEEZZNS1_14partition_implILS8_3ELb0ES6_jNS0_17counting_iteratorIjlEEPS9_SE_NS0_5tupleIJPjSE_EEENSF_IJSE_SE_EEES9_SG_JZNS1_25segmented_radix_sort_implINS0_14default_configELb0EPKbPbPKlPlN2at6native12_GLOBAL__N_18offset_tEEE10hipError_tPvRmT1_PNSt15iterator_traitsISY_E10value_typeET2_T3_PNSZ_IS14_E10value_typeET4_jRbjT5_S1A_jjP12ihipStream_tbEUljE_EEESV_SW_SX_S14_S18_S1A_T6_T7_T9_mT8_S1C_bDpT10_ENKUlT_T0_E_clISt17integral_constantIbLb0EES1P_EEDaS1K_S1L_EUlS1K_E_NS1_11comp_targetILNS1_3genE3ELNS1_11target_archE908ELNS1_3gpuE7ELNS1_3repE0EEENS1_30default_config_static_selectorELNS0_4arch9wavefront6targetE0EEEvSY_,@function
_ZN7rocprim17ROCPRIM_400000_NS6detail17trampoline_kernelINS0_13select_configILj256ELj13ELNS0_17block_load_methodE3ELS4_3ELS4_3ELNS0_20block_scan_algorithmE0ELj4294967295EEENS1_25partition_config_selectorILNS1_17partition_subalgoE3EjNS0_10empty_typeEbEEZZNS1_14partition_implILS8_3ELb0ES6_jNS0_17counting_iteratorIjlEEPS9_SE_NS0_5tupleIJPjSE_EEENSF_IJSE_SE_EEES9_SG_JZNS1_25segmented_radix_sort_implINS0_14default_configELb0EPKbPbPKlPlN2at6native12_GLOBAL__N_18offset_tEEE10hipError_tPvRmT1_PNSt15iterator_traitsISY_E10value_typeET2_T3_PNSZ_IS14_E10value_typeET4_jRbjT5_S1A_jjP12ihipStream_tbEUljE_EEESV_SW_SX_S14_S18_S1A_T6_T7_T9_mT8_S1C_bDpT10_ENKUlT_T0_E_clISt17integral_constantIbLb0EES1P_EEDaS1K_S1L_EUlS1K_E_NS1_11comp_targetILNS1_3genE3ELNS1_11target_archE908ELNS1_3gpuE7ELNS1_3repE0EEENS1_30default_config_static_selectorELNS0_4arch9wavefront6targetE0EEEvSY_: ; @_ZN7rocprim17ROCPRIM_400000_NS6detail17trampoline_kernelINS0_13select_configILj256ELj13ELNS0_17block_load_methodE3ELS4_3ELS4_3ELNS0_20block_scan_algorithmE0ELj4294967295EEENS1_25partition_config_selectorILNS1_17partition_subalgoE3EjNS0_10empty_typeEbEEZZNS1_14partition_implILS8_3ELb0ES6_jNS0_17counting_iteratorIjlEEPS9_SE_NS0_5tupleIJPjSE_EEENSF_IJSE_SE_EEES9_SG_JZNS1_25segmented_radix_sort_implINS0_14default_configELb0EPKbPbPKlPlN2at6native12_GLOBAL__N_18offset_tEEE10hipError_tPvRmT1_PNSt15iterator_traitsISY_E10value_typeET2_T3_PNSZ_IS14_E10value_typeET4_jRbjT5_S1A_jjP12ihipStream_tbEUljE_EEESV_SW_SX_S14_S18_S1A_T6_T7_T9_mT8_S1C_bDpT10_ENKUlT_T0_E_clISt17integral_constantIbLb0EES1P_EEDaS1K_S1L_EUlS1K_E_NS1_11comp_targetILNS1_3genE3ELNS1_11target_archE908ELNS1_3gpuE7ELNS1_3repE0EEENS1_30default_config_static_selectorELNS0_4arch9wavefront6targetE0EEEvSY_
; %bb.0:
	.section	.rodata,"a",@progbits
	.p2align	6, 0x0
	.amdhsa_kernel _ZN7rocprim17ROCPRIM_400000_NS6detail17trampoline_kernelINS0_13select_configILj256ELj13ELNS0_17block_load_methodE3ELS4_3ELS4_3ELNS0_20block_scan_algorithmE0ELj4294967295EEENS1_25partition_config_selectorILNS1_17partition_subalgoE3EjNS0_10empty_typeEbEEZZNS1_14partition_implILS8_3ELb0ES6_jNS0_17counting_iteratorIjlEEPS9_SE_NS0_5tupleIJPjSE_EEENSF_IJSE_SE_EEES9_SG_JZNS1_25segmented_radix_sort_implINS0_14default_configELb0EPKbPbPKlPlN2at6native12_GLOBAL__N_18offset_tEEE10hipError_tPvRmT1_PNSt15iterator_traitsISY_E10value_typeET2_T3_PNSZ_IS14_E10value_typeET4_jRbjT5_S1A_jjP12ihipStream_tbEUljE_EEESV_SW_SX_S14_S18_S1A_T6_T7_T9_mT8_S1C_bDpT10_ENKUlT_T0_E_clISt17integral_constantIbLb0EES1P_EEDaS1K_S1L_EUlS1K_E_NS1_11comp_targetILNS1_3genE3ELNS1_11target_archE908ELNS1_3gpuE7ELNS1_3repE0EEENS1_30default_config_static_selectorELNS0_4arch9wavefront6targetE0EEEvSY_
		.amdhsa_group_segment_fixed_size 0
		.amdhsa_private_segment_fixed_size 0
		.amdhsa_kernarg_size 144
		.amdhsa_user_sgpr_count 2
		.amdhsa_user_sgpr_dispatch_ptr 0
		.amdhsa_user_sgpr_queue_ptr 0
		.amdhsa_user_sgpr_kernarg_segment_ptr 1
		.amdhsa_user_sgpr_dispatch_id 0
		.amdhsa_user_sgpr_kernarg_preload_length 0
		.amdhsa_user_sgpr_kernarg_preload_offset 0
		.amdhsa_user_sgpr_private_segment_size 0
		.amdhsa_wavefront_size32 1
		.amdhsa_uses_dynamic_stack 0
		.amdhsa_enable_private_segment 0
		.amdhsa_system_sgpr_workgroup_id_x 1
		.amdhsa_system_sgpr_workgroup_id_y 0
		.amdhsa_system_sgpr_workgroup_id_z 0
		.amdhsa_system_sgpr_workgroup_info 0
		.amdhsa_system_vgpr_workitem_id 0
		.amdhsa_next_free_vgpr 1
		.amdhsa_next_free_sgpr 1
		.amdhsa_named_barrier_count 0
		.amdhsa_reserve_vcc 0
		.amdhsa_float_round_mode_32 0
		.amdhsa_float_round_mode_16_64 0
		.amdhsa_float_denorm_mode_32 3
		.amdhsa_float_denorm_mode_16_64 3
		.amdhsa_fp16_overflow 0
		.amdhsa_memory_ordered 1
		.amdhsa_forward_progress 1
		.amdhsa_inst_pref_size 0
		.amdhsa_round_robin_scheduling 0
		.amdhsa_exception_fp_ieee_invalid_op 0
		.amdhsa_exception_fp_denorm_src 0
		.amdhsa_exception_fp_ieee_div_zero 0
		.amdhsa_exception_fp_ieee_overflow 0
		.amdhsa_exception_fp_ieee_underflow 0
		.amdhsa_exception_fp_ieee_inexact 0
		.amdhsa_exception_int_div_zero 0
	.end_amdhsa_kernel
	.section	.text._ZN7rocprim17ROCPRIM_400000_NS6detail17trampoline_kernelINS0_13select_configILj256ELj13ELNS0_17block_load_methodE3ELS4_3ELS4_3ELNS0_20block_scan_algorithmE0ELj4294967295EEENS1_25partition_config_selectorILNS1_17partition_subalgoE3EjNS0_10empty_typeEbEEZZNS1_14partition_implILS8_3ELb0ES6_jNS0_17counting_iteratorIjlEEPS9_SE_NS0_5tupleIJPjSE_EEENSF_IJSE_SE_EEES9_SG_JZNS1_25segmented_radix_sort_implINS0_14default_configELb0EPKbPbPKlPlN2at6native12_GLOBAL__N_18offset_tEEE10hipError_tPvRmT1_PNSt15iterator_traitsISY_E10value_typeET2_T3_PNSZ_IS14_E10value_typeET4_jRbjT5_S1A_jjP12ihipStream_tbEUljE_EEESV_SW_SX_S14_S18_S1A_T6_T7_T9_mT8_S1C_bDpT10_ENKUlT_T0_E_clISt17integral_constantIbLb0EES1P_EEDaS1K_S1L_EUlS1K_E_NS1_11comp_targetILNS1_3genE3ELNS1_11target_archE908ELNS1_3gpuE7ELNS1_3repE0EEENS1_30default_config_static_selectorELNS0_4arch9wavefront6targetE0EEEvSY_,"axG",@progbits,_ZN7rocprim17ROCPRIM_400000_NS6detail17trampoline_kernelINS0_13select_configILj256ELj13ELNS0_17block_load_methodE3ELS4_3ELS4_3ELNS0_20block_scan_algorithmE0ELj4294967295EEENS1_25partition_config_selectorILNS1_17partition_subalgoE3EjNS0_10empty_typeEbEEZZNS1_14partition_implILS8_3ELb0ES6_jNS0_17counting_iteratorIjlEEPS9_SE_NS0_5tupleIJPjSE_EEENSF_IJSE_SE_EEES9_SG_JZNS1_25segmented_radix_sort_implINS0_14default_configELb0EPKbPbPKlPlN2at6native12_GLOBAL__N_18offset_tEEE10hipError_tPvRmT1_PNSt15iterator_traitsISY_E10value_typeET2_T3_PNSZ_IS14_E10value_typeET4_jRbjT5_S1A_jjP12ihipStream_tbEUljE_EEESV_SW_SX_S14_S18_S1A_T6_T7_T9_mT8_S1C_bDpT10_ENKUlT_T0_E_clISt17integral_constantIbLb0EES1P_EEDaS1K_S1L_EUlS1K_E_NS1_11comp_targetILNS1_3genE3ELNS1_11target_archE908ELNS1_3gpuE7ELNS1_3repE0EEENS1_30default_config_static_selectorELNS0_4arch9wavefront6targetE0EEEvSY_,comdat
.Lfunc_end1597:
	.size	_ZN7rocprim17ROCPRIM_400000_NS6detail17trampoline_kernelINS0_13select_configILj256ELj13ELNS0_17block_load_methodE3ELS4_3ELS4_3ELNS0_20block_scan_algorithmE0ELj4294967295EEENS1_25partition_config_selectorILNS1_17partition_subalgoE3EjNS0_10empty_typeEbEEZZNS1_14partition_implILS8_3ELb0ES6_jNS0_17counting_iteratorIjlEEPS9_SE_NS0_5tupleIJPjSE_EEENSF_IJSE_SE_EEES9_SG_JZNS1_25segmented_radix_sort_implINS0_14default_configELb0EPKbPbPKlPlN2at6native12_GLOBAL__N_18offset_tEEE10hipError_tPvRmT1_PNSt15iterator_traitsISY_E10value_typeET2_T3_PNSZ_IS14_E10value_typeET4_jRbjT5_S1A_jjP12ihipStream_tbEUljE_EEESV_SW_SX_S14_S18_S1A_T6_T7_T9_mT8_S1C_bDpT10_ENKUlT_T0_E_clISt17integral_constantIbLb0EES1P_EEDaS1K_S1L_EUlS1K_E_NS1_11comp_targetILNS1_3genE3ELNS1_11target_archE908ELNS1_3gpuE7ELNS1_3repE0EEENS1_30default_config_static_selectorELNS0_4arch9wavefront6targetE0EEEvSY_, .Lfunc_end1597-_ZN7rocprim17ROCPRIM_400000_NS6detail17trampoline_kernelINS0_13select_configILj256ELj13ELNS0_17block_load_methodE3ELS4_3ELS4_3ELNS0_20block_scan_algorithmE0ELj4294967295EEENS1_25partition_config_selectorILNS1_17partition_subalgoE3EjNS0_10empty_typeEbEEZZNS1_14partition_implILS8_3ELb0ES6_jNS0_17counting_iteratorIjlEEPS9_SE_NS0_5tupleIJPjSE_EEENSF_IJSE_SE_EEES9_SG_JZNS1_25segmented_radix_sort_implINS0_14default_configELb0EPKbPbPKlPlN2at6native12_GLOBAL__N_18offset_tEEE10hipError_tPvRmT1_PNSt15iterator_traitsISY_E10value_typeET2_T3_PNSZ_IS14_E10value_typeET4_jRbjT5_S1A_jjP12ihipStream_tbEUljE_EEESV_SW_SX_S14_S18_S1A_T6_T7_T9_mT8_S1C_bDpT10_ENKUlT_T0_E_clISt17integral_constantIbLb0EES1P_EEDaS1K_S1L_EUlS1K_E_NS1_11comp_targetILNS1_3genE3ELNS1_11target_archE908ELNS1_3gpuE7ELNS1_3repE0EEENS1_30default_config_static_selectorELNS0_4arch9wavefront6targetE0EEEvSY_
                                        ; -- End function
	.set _ZN7rocprim17ROCPRIM_400000_NS6detail17trampoline_kernelINS0_13select_configILj256ELj13ELNS0_17block_load_methodE3ELS4_3ELS4_3ELNS0_20block_scan_algorithmE0ELj4294967295EEENS1_25partition_config_selectorILNS1_17partition_subalgoE3EjNS0_10empty_typeEbEEZZNS1_14partition_implILS8_3ELb0ES6_jNS0_17counting_iteratorIjlEEPS9_SE_NS0_5tupleIJPjSE_EEENSF_IJSE_SE_EEES9_SG_JZNS1_25segmented_radix_sort_implINS0_14default_configELb0EPKbPbPKlPlN2at6native12_GLOBAL__N_18offset_tEEE10hipError_tPvRmT1_PNSt15iterator_traitsISY_E10value_typeET2_T3_PNSZ_IS14_E10value_typeET4_jRbjT5_S1A_jjP12ihipStream_tbEUljE_EEESV_SW_SX_S14_S18_S1A_T6_T7_T9_mT8_S1C_bDpT10_ENKUlT_T0_E_clISt17integral_constantIbLb0EES1P_EEDaS1K_S1L_EUlS1K_E_NS1_11comp_targetILNS1_3genE3ELNS1_11target_archE908ELNS1_3gpuE7ELNS1_3repE0EEENS1_30default_config_static_selectorELNS0_4arch9wavefront6targetE0EEEvSY_.num_vgpr, 0
	.set _ZN7rocprim17ROCPRIM_400000_NS6detail17trampoline_kernelINS0_13select_configILj256ELj13ELNS0_17block_load_methodE3ELS4_3ELS4_3ELNS0_20block_scan_algorithmE0ELj4294967295EEENS1_25partition_config_selectorILNS1_17partition_subalgoE3EjNS0_10empty_typeEbEEZZNS1_14partition_implILS8_3ELb0ES6_jNS0_17counting_iteratorIjlEEPS9_SE_NS0_5tupleIJPjSE_EEENSF_IJSE_SE_EEES9_SG_JZNS1_25segmented_radix_sort_implINS0_14default_configELb0EPKbPbPKlPlN2at6native12_GLOBAL__N_18offset_tEEE10hipError_tPvRmT1_PNSt15iterator_traitsISY_E10value_typeET2_T3_PNSZ_IS14_E10value_typeET4_jRbjT5_S1A_jjP12ihipStream_tbEUljE_EEESV_SW_SX_S14_S18_S1A_T6_T7_T9_mT8_S1C_bDpT10_ENKUlT_T0_E_clISt17integral_constantIbLb0EES1P_EEDaS1K_S1L_EUlS1K_E_NS1_11comp_targetILNS1_3genE3ELNS1_11target_archE908ELNS1_3gpuE7ELNS1_3repE0EEENS1_30default_config_static_selectorELNS0_4arch9wavefront6targetE0EEEvSY_.num_agpr, 0
	.set _ZN7rocprim17ROCPRIM_400000_NS6detail17trampoline_kernelINS0_13select_configILj256ELj13ELNS0_17block_load_methodE3ELS4_3ELS4_3ELNS0_20block_scan_algorithmE0ELj4294967295EEENS1_25partition_config_selectorILNS1_17partition_subalgoE3EjNS0_10empty_typeEbEEZZNS1_14partition_implILS8_3ELb0ES6_jNS0_17counting_iteratorIjlEEPS9_SE_NS0_5tupleIJPjSE_EEENSF_IJSE_SE_EEES9_SG_JZNS1_25segmented_radix_sort_implINS0_14default_configELb0EPKbPbPKlPlN2at6native12_GLOBAL__N_18offset_tEEE10hipError_tPvRmT1_PNSt15iterator_traitsISY_E10value_typeET2_T3_PNSZ_IS14_E10value_typeET4_jRbjT5_S1A_jjP12ihipStream_tbEUljE_EEESV_SW_SX_S14_S18_S1A_T6_T7_T9_mT8_S1C_bDpT10_ENKUlT_T0_E_clISt17integral_constantIbLb0EES1P_EEDaS1K_S1L_EUlS1K_E_NS1_11comp_targetILNS1_3genE3ELNS1_11target_archE908ELNS1_3gpuE7ELNS1_3repE0EEENS1_30default_config_static_selectorELNS0_4arch9wavefront6targetE0EEEvSY_.numbered_sgpr, 0
	.set _ZN7rocprim17ROCPRIM_400000_NS6detail17trampoline_kernelINS0_13select_configILj256ELj13ELNS0_17block_load_methodE3ELS4_3ELS4_3ELNS0_20block_scan_algorithmE0ELj4294967295EEENS1_25partition_config_selectorILNS1_17partition_subalgoE3EjNS0_10empty_typeEbEEZZNS1_14partition_implILS8_3ELb0ES6_jNS0_17counting_iteratorIjlEEPS9_SE_NS0_5tupleIJPjSE_EEENSF_IJSE_SE_EEES9_SG_JZNS1_25segmented_radix_sort_implINS0_14default_configELb0EPKbPbPKlPlN2at6native12_GLOBAL__N_18offset_tEEE10hipError_tPvRmT1_PNSt15iterator_traitsISY_E10value_typeET2_T3_PNSZ_IS14_E10value_typeET4_jRbjT5_S1A_jjP12ihipStream_tbEUljE_EEESV_SW_SX_S14_S18_S1A_T6_T7_T9_mT8_S1C_bDpT10_ENKUlT_T0_E_clISt17integral_constantIbLb0EES1P_EEDaS1K_S1L_EUlS1K_E_NS1_11comp_targetILNS1_3genE3ELNS1_11target_archE908ELNS1_3gpuE7ELNS1_3repE0EEENS1_30default_config_static_selectorELNS0_4arch9wavefront6targetE0EEEvSY_.num_named_barrier, 0
	.set _ZN7rocprim17ROCPRIM_400000_NS6detail17trampoline_kernelINS0_13select_configILj256ELj13ELNS0_17block_load_methodE3ELS4_3ELS4_3ELNS0_20block_scan_algorithmE0ELj4294967295EEENS1_25partition_config_selectorILNS1_17partition_subalgoE3EjNS0_10empty_typeEbEEZZNS1_14partition_implILS8_3ELb0ES6_jNS0_17counting_iteratorIjlEEPS9_SE_NS0_5tupleIJPjSE_EEENSF_IJSE_SE_EEES9_SG_JZNS1_25segmented_radix_sort_implINS0_14default_configELb0EPKbPbPKlPlN2at6native12_GLOBAL__N_18offset_tEEE10hipError_tPvRmT1_PNSt15iterator_traitsISY_E10value_typeET2_T3_PNSZ_IS14_E10value_typeET4_jRbjT5_S1A_jjP12ihipStream_tbEUljE_EEESV_SW_SX_S14_S18_S1A_T6_T7_T9_mT8_S1C_bDpT10_ENKUlT_T0_E_clISt17integral_constantIbLb0EES1P_EEDaS1K_S1L_EUlS1K_E_NS1_11comp_targetILNS1_3genE3ELNS1_11target_archE908ELNS1_3gpuE7ELNS1_3repE0EEENS1_30default_config_static_selectorELNS0_4arch9wavefront6targetE0EEEvSY_.private_seg_size, 0
	.set _ZN7rocprim17ROCPRIM_400000_NS6detail17trampoline_kernelINS0_13select_configILj256ELj13ELNS0_17block_load_methodE3ELS4_3ELS4_3ELNS0_20block_scan_algorithmE0ELj4294967295EEENS1_25partition_config_selectorILNS1_17partition_subalgoE3EjNS0_10empty_typeEbEEZZNS1_14partition_implILS8_3ELb0ES6_jNS0_17counting_iteratorIjlEEPS9_SE_NS0_5tupleIJPjSE_EEENSF_IJSE_SE_EEES9_SG_JZNS1_25segmented_radix_sort_implINS0_14default_configELb0EPKbPbPKlPlN2at6native12_GLOBAL__N_18offset_tEEE10hipError_tPvRmT1_PNSt15iterator_traitsISY_E10value_typeET2_T3_PNSZ_IS14_E10value_typeET4_jRbjT5_S1A_jjP12ihipStream_tbEUljE_EEESV_SW_SX_S14_S18_S1A_T6_T7_T9_mT8_S1C_bDpT10_ENKUlT_T0_E_clISt17integral_constantIbLb0EES1P_EEDaS1K_S1L_EUlS1K_E_NS1_11comp_targetILNS1_3genE3ELNS1_11target_archE908ELNS1_3gpuE7ELNS1_3repE0EEENS1_30default_config_static_selectorELNS0_4arch9wavefront6targetE0EEEvSY_.uses_vcc, 0
	.set _ZN7rocprim17ROCPRIM_400000_NS6detail17trampoline_kernelINS0_13select_configILj256ELj13ELNS0_17block_load_methodE3ELS4_3ELS4_3ELNS0_20block_scan_algorithmE0ELj4294967295EEENS1_25partition_config_selectorILNS1_17partition_subalgoE3EjNS0_10empty_typeEbEEZZNS1_14partition_implILS8_3ELb0ES6_jNS0_17counting_iteratorIjlEEPS9_SE_NS0_5tupleIJPjSE_EEENSF_IJSE_SE_EEES9_SG_JZNS1_25segmented_radix_sort_implINS0_14default_configELb0EPKbPbPKlPlN2at6native12_GLOBAL__N_18offset_tEEE10hipError_tPvRmT1_PNSt15iterator_traitsISY_E10value_typeET2_T3_PNSZ_IS14_E10value_typeET4_jRbjT5_S1A_jjP12ihipStream_tbEUljE_EEESV_SW_SX_S14_S18_S1A_T6_T7_T9_mT8_S1C_bDpT10_ENKUlT_T0_E_clISt17integral_constantIbLb0EES1P_EEDaS1K_S1L_EUlS1K_E_NS1_11comp_targetILNS1_3genE3ELNS1_11target_archE908ELNS1_3gpuE7ELNS1_3repE0EEENS1_30default_config_static_selectorELNS0_4arch9wavefront6targetE0EEEvSY_.uses_flat_scratch, 0
	.set _ZN7rocprim17ROCPRIM_400000_NS6detail17trampoline_kernelINS0_13select_configILj256ELj13ELNS0_17block_load_methodE3ELS4_3ELS4_3ELNS0_20block_scan_algorithmE0ELj4294967295EEENS1_25partition_config_selectorILNS1_17partition_subalgoE3EjNS0_10empty_typeEbEEZZNS1_14partition_implILS8_3ELb0ES6_jNS0_17counting_iteratorIjlEEPS9_SE_NS0_5tupleIJPjSE_EEENSF_IJSE_SE_EEES9_SG_JZNS1_25segmented_radix_sort_implINS0_14default_configELb0EPKbPbPKlPlN2at6native12_GLOBAL__N_18offset_tEEE10hipError_tPvRmT1_PNSt15iterator_traitsISY_E10value_typeET2_T3_PNSZ_IS14_E10value_typeET4_jRbjT5_S1A_jjP12ihipStream_tbEUljE_EEESV_SW_SX_S14_S18_S1A_T6_T7_T9_mT8_S1C_bDpT10_ENKUlT_T0_E_clISt17integral_constantIbLb0EES1P_EEDaS1K_S1L_EUlS1K_E_NS1_11comp_targetILNS1_3genE3ELNS1_11target_archE908ELNS1_3gpuE7ELNS1_3repE0EEENS1_30default_config_static_selectorELNS0_4arch9wavefront6targetE0EEEvSY_.has_dyn_sized_stack, 0
	.set _ZN7rocprim17ROCPRIM_400000_NS6detail17trampoline_kernelINS0_13select_configILj256ELj13ELNS0_17block_load_methodE3ELS4_3ELS4_3ELNS0_20block_scan_algorithmE0ELj4294967295EEENS1_25partition_config_selectorILNS1_17partition_subalgoE3EjNS0_10empty_typeEbEEZZNS1_14partition_implILS8_3ELb0ES6_jNS0_17counting_iteratorIjlEEPS9_SE_NS0_5tupleIJPjSE_EEENSF_IJSE_SE_EEES9_SG_JZNS1_25segmented_radix_sort_implINS0_14default_configELb0EPKbPbPKlPlN2at6native12_GLOBAL__N_18offset_tEEE10hipError_tPvRmT1_PNSt15iterator_traitsISY_E10value_typeET2_T3_PNSZ_IS14_E10value_typeET4_jRbjT5_S1A_jjP12ihipStream_tbEUljE_EEESV_SW_SX_S14_S18_S1A_T6_T7_T9_mT8_S1C_bDpT10_ENKUlT_T0_E_clISt17integral_constantIbLb0EES1P_EEDaS1K_S1L_EUlS1K_E_NS1_11comp_targetILNS1_3genE3ELNS1_11target_archE908ELNS1_3gpuE7ELNS1_3repE0EEENS1_30default_config_static_selectorELNS0_4arch9wavefront6targetE0EEEvSY_.has_recursion, 0
	.set _ZN7rocprim17ROCPRIM_400000_NS6detail17trampoline_kernelINS0_13select_configILj256ELj13ELNS0_17block_load_methodE3ELS4_3ELS4_3ELNS0_20block_scan_algorithmE0ELj4294967295EEENS1_25partition_config_selectorILNS1_17partition_subalgoE3EjNS0_10empty_typeEbEEZZNS1_14partition_implILS8_3ELb0ES6_jNS0_17counting_iteratorIjlEEPS9_SE_NS0_5tupleIJPjSE_EEENSF_IJSE_SE_EEES9_SG_JZNS1_25segmented_radix_sort_implINS0_14default_configELb0EPKbPbPKlPlN2at6native12_GLOBAL__N_18offset_tEEE10hipError_tPvRmT1_PNSt15iterator_traitsISY_E10value_typeET2_T3_PNSZ_IS14_E10value_typeET4_jRbjT5_S1A_jjP12ihipStream_tbEUljE_EEESV_SW_SX_S14_S18_S1A_T6_T7_T9_mT8_S1C_bDpT10_ENKUlT_T0_E_clISt17integral_constantIbLb0EES1P_EEDaS1K_S1L_EUlS1K_E_NS1_11comp_targetILNS1_3genE3ELNS1_11target_archE908ELNS1_3gpuE7ELNS1_3repE0EEENS1_30default_config_static_selectorELNS0_4arch9wavefront6targetE0EEEvSY_.has_indirect_call, 0
	.section	.AMDGPU.csdata,"",@progbits
; Kernel info:
; codeLenInByte = 0
; TotalNumSgprs: 0
; NumVgprs: 0
; ScratchSize: 0
; MemoryBound: 0
; FloatMode: 240
; IeeeMode: 1
; LDSByteSize: 0 bytes/workgroup (compile time only)
; SGPRBlocks: 0
; VGPRBlocks: 0
; NumSGPRsForWavesPerEU: 1
; NumVGPRsForWavesPerEU: 1
; NamedBarCnt: 0
; Occupancy: 16
; WaveLimiterHint : 0
; COMPUTE_PGM_RSRC2:SCRATCH_EN: 0
; COMPUTE_PGM_RSRC2:USER_SGPR: 2
; COMPUTE_PGM_RSRC2:TRAP_HANDLER: 0
; COMPUTE_PGM_RSRC2:TGID_X_EN: 1
; COMPUTE_PGM_RSRC2:TGID_Y_EN: 0
; COMPUTE_PGM_RSRC2:TGID_Z_EN: 0
; COMPUTE_PGM_RSRC2:TIDIG_COMP_CNT: 0
	.section	.text._ZN7rocprim17ROCPRIM_400000_NS6detail17trampoline_kernelINS0_13select_configILj256ELj13ELNS0_17block_load_methodE3ELS4_3ELS4_3ELNS0_20block_scan_algorithmE0ELj4294967295EEENS1_25partition_config_selectorILNS1_17partition_subalgoE3EjNS0_10empty_typeEbEEZZNS1_14partition_implILS8_3ELb0ES6_jNS0_17counting_iteratorIjlEEPS9_SE_NS0_5tupleIJPjSE_EEENSF_IJSE_SE_EEES9_SG_JZNS1_25segmented_radix_sort_implINS0_14default_configELb0EPKbPbPKlPlN2at6native12_GLOBAL__N_18offset_tEEE10hipError_tPvRmT1_PNSt15iterator_traitsISY_E10value_typeET2_T3_PNSZ_IS14_E10value_typeET4_jRbjT5_S1A_jjP12ihipStream_tbEUljE_EEESV_SW_SX_S14_S18_S1A_T6_T7_T9_mT8_S1C_bDpT10_ENKUlT_T0_E_clISt17integral_constantIbLb0EES1P_EEDaS1K_S1L_EUlS1K_E_NS1_11comp_targetILNS1_3genE2ELNS1_11target_archE906ELNS1_3gpuE6ELNS1_3repE0EEENS1_30default_config_static_selectorELNS0_4arch9wavefront6targetE0EEEvSY_,"axG",@progbits,_ZN7rocprim17ROCPRIM_400000_NS6detail17trampoline_kernelINS0_13select_configILj256ELj13ELNS0_17block_load_methodE3ELS4_3ELS4_3ELNS0_20block_scan_algorithmE0ELj4294967295EEENS1_25partition_config_selectorILNS1_17partition_subalgoE3EjNS0_10empty_typeEbEEZZNS1_14partition_implILS8_3ELb0ES6_jNS0_17counting_iteratorIjlEEPS9_SE_NS0_5tupleIJPjSE_EEENSF_IJSE_SE_EEES9_SG_JZNS1_25segmented_radix_sort_implINS0_14default_configELb0EPKbPbPKlPlN2at6native12_GLOBAL__N_18offset_tEEE10hipError_tPvRmT1_PNSt15iterator_traitsISY_E10value_typeET2_T3_PNSZ_IS14_E10value_typeET4_jRbjT5_S1A_jjP12ihipStream_tbEUljE_EEESV_SW_SX_S14_S18_S1A_T6_T7_T9_mT8_S1C_bDpT10_ENKUlT_T0_E_clISt17integral_constantIbLb0EES1P_EEDaS1K_S1L_EUlS1K_E_NS1_11comp_targetILNS1_3genE2ELNS1_11target_archE906ELNS1_3gpuE6ELNS1_3repE0EEENS1_30default_config_static_selectorELNS0_4arch9wavefront6targetE0EEEvSY_,comdat
	.globl	_ZN7rocprim17ROCPRIM_400000_NS6detail17trampoline_kernelINS0_13select_configILj256ELj13ELNS0_17block_load_methodE3ELS4_3ELS4_3ELNS0_20block_scan_algorithmE0ELj4294967295EEENS1_25partition_config_selectorILNS1_17partition_subalgoE3EjNS0_10empty_typeEbEEZZNS1_14partition_implILS8_3ELb0ES6_jNS0_17counting_iteratorIjlEEPS9_SE_NS0_5tupleIJPjSE_EEENSF_IJSE_SE_EEES9_SG_JZNS1_25segmented_radix_sort_implINS0_14default_configELb0EPKbPbPKlPlN2at6native12_GLOBAL__N_18offset_tEEE10hipError_tPvRmT1_PNSt15iterator_traitsISY_E10value_typeET2_T3_PNSZ_IS14_E10value_typeET4_jRbjT5_S1A_jjP12ihipStream_tbEUljE_EEESV_SW_SX_S14_S18_S1A_T6_T7_T9_mT8_S1C_bDpT10_ENKUlT_T0_E_clISt17integral_constantIbLb0EES1P_EEDaS1K_S1L_EUlS1K_E_NS1_11comp_targetILNS1_3genE2ELNS1_11target_archE906ELNS1_3gpuE6ELNS1_3repE0EEENS1_30default_config_static_selectorELNS0_4arch9wavefront6targetE0EEEvSY_ ; -- Begin function _ZN7rocprim17ROCPRIM_400000_NS6detail17trampoline_kernelINS0_13select_configILj256ELj13ELNS0_17block_load_methodE3ELS4_3ELS4_3ELNS0_20block_scan_algorithmE0ELj4294967295EEENS1_25partition_config_selectorILNS1_17partition_subalgoE3EjNS0_10empty_typeEbEEZZNS1_14partition_implILS8_3ELb0ES6_jNS0_17counting_iteratorIjlEEPS9_SE_NS0_5tupleIJPjSE_EEENSF_IJSE_SE_EEES9_SG_JZNS1_25segmented_radix_sort_implINS0_14default_configELb0EPKbPbPKlPlN2at6native12_GLOBAL__N_18offset_tEEE10hipError_tPvRmT1_PNSt15iterator_traitsISY_E10value_typeET2_T3_PNSZ_IS14_E10value_typeET4_jRbjT5_S1A_jjP12ihipStream_tbEUljE_EEESV_SW_SX_S14_S18_S1A_T6_T7_T9_mT8_S1C_bDpT10_ENKUlT_T0_E_clISt17integral_constantIbLb0EES1P_EEDaS1K_S1L_EUlS1K_E_NS1_11comp_targetILNS1_3genE2ELNS1_11target_archE906ELNS1_3gpuE6ELNS1_3repE0EEENS1_30default_config_static_selectorELNS0_4arch9wavefront6targetE0EEEvSY_
	.p2align	8
	.type	_ZN7rocprim17ROCPRIM_400000_NS6detail17trampoline_kernelINS0_13select_configILj256ELj13ELNS0_17block_load_methodE3ELS4_3ELS4_3ELNS0_20block_scan_algorithmE0ELj4294967295EEENS1_25partition_config_selectorILNS1_17partition_subalgoE3EjNS0_10empty_typeEbEEZZNS1_14partition_implILS8_3ELb0ES6_jNS0_17counting_iteratorIjlEEPS9_SE_NS0_5tupleIJPjSE_EEENSF_IJSE_SE_EEES9_SG_JZNS1_25segmented_radix_sort_implINS0_14default_configELb0EPKbPbPKlPlN2at6native12_GLOBAL__N_18offset_tEEE10hipError_tPvRmT1_PNSt15iterator_traitsISY_E10value_typeET2_T3_PNSZ_IS14_E10value_typeET4_jRbjT5_S1A_jjP12ihipStream_tbEUljE_EEESV_SW_SX_S14_S18_S1A_T6_T7_T9_mT8_S1C_bDpT10_ENKUlT_T0_E_clISt17integral_constantIbLb0EES1P_EEDaS1K_S1L_EUlS1K_E_NS1_11comp_targetILNS1_3genE2ELNS1_11target_archE906ELNS1_3gpuE6ELNS1_3repE0EEENS1_30default_config_static_selectorELNS0_4arch9wavefront6targetE0EEEvSY_,@function
_ZN7rocprim17ROCPRIM_400000_NS6detail17trampoline_kernelINS0_13select_configILj256ELj13ELNS0_17block_load_methodE3ELS4_3ELS4_3ELNS0_20block_scan_algorithmE0ELj4294967295EEENS1_25partition_config_selectorILNS1_17partition_subalgoE3EjNS0_10empty_typeEbEEZZNS1_14partition_implILS8_3ELb0ES6_jNS0_17counting_iteratorIjlEEPS9_SE_NS0_5tupleIJPjSE_EEENSF_IJSE_SE_EEES9_SG_JZNS1_25segmented_radix_sort_implINS0_14default_configELb0EPKbPbPKlPlN2at6native12_GLOBAL__N_18offset_tEEE10hipError_tPvRmT1_PNSt15iterator_traitsISY_E10value_typeET2_T3_PNSZ_IS14_E10value_typeET4_jRbjT5_S1A_jjP12ihipStream_tbEUljE_EEESV_SW_SX_S14_S18_S1A_T6_T7_T9_mT8_S1C_bDpT10_ENKUlT_T0_E_clISt17integral_constantIbLb0EES1P_EEDaS1K_S1L_EUlS1K_E_NS1_11comp_targetILNS1_3genE2ELNS1_11target_archE906ELNS1_3gpuE6ELNS1_3repE0EEENS1_30default_config_static_selectorELNS0_4arch9wavefront6targetE0EEEvSY_: ; @_ZN7rocprim17ROCPRIM_400000_NS6detail17trampoline_kernelINS0_13select_configILj256ELj13ELNS0_17block_load_methodE3ELS4_3ELS4_3ELNS0_20block_scan_algorithmE0ELj4294967295EEENS1_25partition_config_selectorILNS1_17partition_subalgoE3EjNS0_10empty_typeEbEEZZNS1_14partition_implILS8_3ELb0ES6_jNS0_17counting_iteratorIjlEEPS9_SE_NS0_5tupleIJPjSE_EEENSF_IJSE_SE_EEES9_SG_JZNS1_25segmented_radix_sort_implINS0_14default_configELb0EPKbPbPKlPlN2at6native12_GLOBAL__N_18offset_tEEE10hipError_tPvRmT1_PNSt15iterator_traitsISY_E10value_typeET2_T3_PNSZ_IS14_E10value_typeET4_jRbjT5_S1A_jjP12ihipStream_tbEUljE_EEESV_SW_SX_S14_S18_S1A_T6_T7_T9_mT8_S1C_bDpT10_ENKUlT_T0_E_clISt17integral_constantIbLb0EES1P_EEDaS1K_S1L_EUlS1K_E_NS1_11comp_targetILNS1_3genE2ELNS1_11target_archE906ELNS1_3gpuE6ELNS1_3repE0EEENS1_30default_config_static_selectorELNS0_4arch9wavefront6targetE0EEEvSY_
; %bb.0:
	.section	.rodata,"a",@progbits
	.p2align	6, 0x0
	.amdhsa_kernel _ZN7rocprim17ROCPRIM_400000_NS6detail17trampoline_kernelINS0_13select_configILj256ELj13ELNS0_17block_load_methodE3ELS4_3ELS4_3ELNS0_20block_scan_algorithmE0ELj4294967295EEENS1_25partition_config_selectorILNS1_17partition_subalgoE3EjNS0_10empty_typeEbEEZZNS1_14partition_implILS8_3ELb0ES6_jNS0_17counting_iteratorIjlEEPS9_SE_NS0_5tupleIJPjSE_EEENSF_IJSE_SE_EEES9_SG_JZNS1_25segmented_radix_sort_implINS0_14default_configELb0EPKbPbPKlPlN2at6native12_GLOBAL__N_18offset_tEEE10hipError_tPvRmT1_PNSt15iterator_traitsISY_E10value_typeET2_T3_PNSZ_IS14_E10value_typeET4_jRbjT5_S1A_jjP12ihipStream_tbEUljE_EEESV_SW_SX_S14_S18_S1A_T6_T7_T9_mT8_S1C_bDpT10_ENKUlT_T0_E_clISt17integral_constantIbLb0EES1P_EEDaS1K_S1L_EUlS1K_E_NS1_11comp_targetILNS1_3genE2ELNS1_11target_archE906ELNS1_3gpuE6ELNS1_3repE0EEENS1_30default_config_static_selectorELNS0_4arch9wavefront6targetE0EEEvSY_
		.amdhsa_group_segment_fixed_size 0
		.amdhsa_private_segment_fixed_size 0
		.amdhsa_kernarg_size 144
		.amdhsa_user_sgpr_count 2
		.amdhsa_user_sgpr_dispatch_ptr 0
		.amdhsa_user_sgpr_queue_ptr 0
		.amdhsa_user_sgpr_kernarg_segment_ptr 1
		.amdhsa_user_sgpr_dispatch_id 0
		.amdhsa_user_sgpr_kernarg_preload_length 0
		.amdhsa_user_sgpr_kernarg_preload_offset 0
		.amdhsa_user_sgpr_private_segment_size 0
		.amdhsa_wavefront_size32 1
		.amdhsa_uses_dynamic_stack 0
		.amdhsa_enable_private_segment 0
		.amdhsa_system_sgpr_workgroup_id_x 1
		.amdhsa_system_sgpr_workgroup_id_y 0
		.amdhsa_system_sgpr_workgroup_id_z 0
		.amdhsa_system_sgpr_workgroup_info 0
		.amdhsa_system_vgpr_workitem_id 0
		.amdhsa_next_free_vgpr 1
		.amdhsa_next_free_sgpr 1
		.amdhsa_named_barrier_count 0
		.amdhsa_reserve_vcc 0
		.amdhsa_float_round_mode_32 0
		.amdhsa_float_round_mode_16_64 0
		.amdhsa_float_denorm_mode_32 3
		.amdhsa_float_denorm_mode_16_64 3
		.amdhsa_fp16_overflow 0
		.amdhsa_memory_ordered 1
		.amdhsa_forward_progress 1
		.amdhsa_inst_pref_size 0
		.amdhsa_round_robin_scheduling 0
		.amdhsa_exception_fp_ieee_invalid_op 0
		.amdhsa_exception_fp_denorm_src 0
		.amdhsa_exception_fp_ieee_div_zero 0
		.amdhsa_exception_fp_ieee_overflow 0
		.amdhsa_exception_fp_ieee_underflow 0
		.amdhsa_exception_fp_ieee_inexact 0
		.amdhsa_exception_int_div_zero 0
	.end_amdhsa_kernel
	.section	.text._ZN7rocprim17ROCPRIM_400000_NS6detail17trampoline_kernelINS0_13select_configILj256ELj13ELNS0_17block_load_methodE3ELS4_3ELS4_3ELNS0_20block_scan_algorithmE0ELj4294967295EEENS1_25partition_config_selectorILNS1_17partition_subalgoE3EjNS0_10empty_typeEbEEZZNS1_14partition_implILS8_3ELb0ES6_jNS0_17counting_iteratorIjlEEPS9_SE_NS0_5tupleIJPjSE_EEENSF_IJSE_SE_EEES9_SG_JZNS1_25segmented_radix_sort_implINS0_14default_configELb0EPKbPbPKlPlN2at6native12_GLOBAL__N_18offset_tEEE10hipError_tPvRmT1_PNSt15iterator_traitsISY_E10value_typeET2_T3_PNSZ_IS14_E10value_typeET4_jRbjT5_S1A_jjP12ihipStream_tbEUljE_EEESV_SW_SX_S14_S18_S1A_T6_T7_T9_mT8_S1C_bDpT10_ENKUlT_T0_E_clISt17integral_constantIbLb0EES1P_EEDaS1K_S1L_EUlS1K_E_NS1_11comp_targetILNS1_3genE2ELNS1_11target_archE906ELNS1_3gpuE6ELNS1_3repE0EEENS1_30default_config_static_selectorELNS0_4arch9wavefront6targetE0EEEvSY_,"axG",@progbits,_ZN7rocprim17ROCPRIM_400000_NS6detail17trampoline_kernelINS0_13select_configILj256ELj13ELNS0_17block_load_methodE3ELS4_3ELS4_3ELNS0_20block_scan_algorithmE0ELj4294967295EEENS1_25partition_config_selectorILNS1_17partition_subalgoE3EjNS0_10empty_typeEbEEZZNS1_14partition_implILS8_3ELb0ES6_jNS0_17counting_iteratorIjlEEPS9_SE_NS0_5tupleIJPjSE_EEENSF_IJSE_SE_EEES9_SG_JZNS1_25segmented_radix_sort_implINS0_14default_configELb0EPKbPbPKlPlN2at6native12_GLOBAL__N_18offset_tEEE10hipError_tPvRmT1_PNSt15iterator_traitsISY_E10value_typeET2_T3_PNSZ_IS14_E10value_typeET4_jRbjT5_S1A_jjP12ihipStream_tbEUljE_EEESV_SW_SX_S14_S18_S1A_T6_T7_T9_mT8_S1C_bDpT10_ENKUlT_T0_E_clISt17integral_constantIbLb0EES1P_EEDaS1K_S1L_EUlS1K_E_NS1_11comp_targetILNS1_3genE2ELNS1_11target_archE906ELNS1_3gpuE6ELNS1_3repE0EEENS1_30default_config_static_selectorELNS0_4arch9wavefront6targetE0EEEvSY_,comdat
.Lfunc_end1598:
	.size	_ZN7rocprim17ROCPRIM_400000_NS6detail17trampoline_kernelINS0_13select_configILj256ELj13ELNS0_17block_load_methodE3ELS4_3ELS4_3ELNS0_20block_scan_algorithmE0ELj4294967295EEENS1_25partition_config_selectorILNS1_17partition_subalgoE3EjNS0_10empty_typeEbEEZZNS1_14partition_implILS8_3ELb0ES6_jNS0_17counting_iteratorIjlEEPS9_SE_NS0_5tupleIJPjSE_EEENSF_IJSE_SE_EEES9_SG_JZNS1_25segmented_radix_sort_implINS0_14default_configELb0EPKbPbPKlPlN2at6native12_GLOBAL__N_18offset_tEEE10hipError_tPvRmT1_PNSt15iterator_traitsISY_E10value_typeET2_T3_PNSZ_IS14_E10value_typeET4_jRbjT5_S1A_jjP12ihipStream_tbEUljE_EEESV_SW_SX_S14_S18_S1A_T6_T7_T9_mT8_S1C_bDpT10_ENKUlT_T0_E_clISt17integral_constantIbLb0EES1P_EEDaS1K_S1L_EUlS1K_E_NS1_11comp_targetILNS1_3genE2ELNS1_11target_archE906ELNS1_3gpuE6ELNS1_3repE0EEENS1_30default_config_static_selectorELNS0_4arch9wavefront6targetE0EEEvSY_, .Lfunc_end1598-_ZN7rocprim17ROCPRIM_400000_NS6detail17trampoline_kernelINS0_13select_configILj256ELj13ELNS0_17block_load_methodE3ELS4_3ELS4_3ELNS0_20block_scan_algorithmE0ELj4294967295EEENS1_25partition_config_selectorILNS1_17partition_subalgoE3EjNS0_10empty_typeEbEEZZNS1_14partition_implILS8_3ELb0ES6_jNS0_17counting_iteratorIjlEEPS9_SE_NS0_5tupleIJPjSE_EEENSF_IJSE_SE_EEES9_SG_JZNS1_25segmented_radix_sort_implINS0_14default_configELb0EPKbPbPKlPlN2at6native12_GLOBAL__N_18offset_tEEE10hipError_tPvRmT1_PNSt15iterator_traitsISY_E10value_typeET2_T3_PNSZ_IS14_E10value_typeET4_jRbjT5_S1A_jjP12ihipStream_tbEUljE_EEESV_SW_SX_S14_S18_S1A_T6_T7_T9_mT8_S1C_bDpT10_ENKUlT_T0_E_clISt17integral_constantIbLb0EES1P_EEDaS1K_S1L_EUlS1K_E_NS1_11comp_targetILNS1_3genE2ELNS1_11target_archE906ELNS1_3gpuE6ELNS1_3repE0EEENS1_30default_config_static_selectorELNS0_4arch9wavefront6targetE0EEEvSY_
                                        ; -- End function
	.set _ZN7rocprim17ROCPRIM_400000_NS6detail17trampoline_kernelINS0_13select_configILj256ELj13ELNS0_17block_load_methodE3ELS4_3ELS4_3ELNS0_20block_scan_algorithmE0ELj4294967295EEENS1_25partition_config_selectorILNS1_17partition_subalgoE3EjNS0_10empty_typeEbEEZZNS1_14partition_implILS8_3ELb0ES6_jNS0_17counting_iteratorIjlEEPS9_SE_NS0_5tupleIJPjSE_EEENSF_IJSE_SE_EEES9_SG_JZNS1_25segmented_radix_sort_implINS0_14default_configELb0EPKbPbPKlPlN2at6native12_GLOBAL__N_18offset_tEEE10hipError_tPvRmT1_PNSt15iterator_traitsISY_E10value_typeET2_T3_PNSZ_IS14_E10value_typeET4_jRbjT5_S1A_jjP12ihipStream_tbEUljE_EEESV_SW_SX_S14_S18_S1A_T6_T7_T9_mT8_S1C_bDpT10_ENKUlT_T0_E_clISt17integral_constantIbLb0EES1P_EEDaS1K_S1L_EUlS1K_E_NS1_11comp_targetILNS1_3genE2ELNS1_11target_archE906ELNS1_3gpuE6ELNS1_3repE0EEENS1_30default_config_static_selectorELNS0_4arch9wavefront6targetE0EEEvSY_.num_vgpr, 0
	.set _ZN7rocprim17ROCPRIM_400000_NS6detail17trampoline_kernelINS0_13select_configILj256ELj13ELNS0_17block_load_methodE3ELS4_3ELS4_3ELNS0_20block_scan_algorithmE0ELj4294967295EEENS1_25partition_config_selectorILNS1_17partition_subalgoE3EjNS0_10empty_typeEbEEZZNS1_14partition_implILS8_3ELb0ES6_jNS0_17counting_iteratorIjlEEPS9_SE_NS0_5tupleIJPjSE_EEENSF_IJSE_SE_EEES9_SG_JZNS1_25segmented_radix_sort_implINS0_14default_configELb0EPKbPbPKlPlN2at6native12_GLOBAL__N_18offset_tEEE10hipError_tPvRmT1_PNSt15iterator_traitsISY_E10value_typeET2_T3_PNSZ_IS14_E10value_typeET4_jRbjT5_S1A_jjP12ihipStream_tbEUljE_EEESV_SW_SX_S14_S18_S1A_T6_T7_T9_mT8_S1C_bDpT10_ENKUlT_T0_E_clISt17integral_constantIbLb0EES1P_EEDaS1K_S1L_EUlS1K_E_NS1_11comp_targetILNS1_3genE2ELNS1_11target_archE906ELNS1_3gpuE6ELNS1_3repE0EEENS1_30default_config_static_selectorELNS0_4arch9wavefront6targetE0EEEvSY_.num_agpr, 0
	.set _ZN7rocprim17ROCPRIM_400000_NS6detail17trampoline_kernelINS0_13select_configILj256ELj13ELNS0_17block_load_methodE3ELS4_3ELS4_3ELNS0_20block_scan_algorithmE0ELj4294967295EEENS1_25partition_config_selectorILNS1_17partition_subalgoE3EjNS0_10empty_typeEbEEZZNS1_14partition_implILS8_3ELb0ES6_jNS0_17counting_iteratorIjlEEPS9_SE_NS0_5tupleIJPjSE_EEENSF_IJSE_SE_EEES9_SG_JZNS1_25segmented_radix_sort_implINS0_14default_configELb0EPKbPbPKlPlN2at6native12_GLOBAL__N_18offset_tEEE10hipError_tPvRmT1_PNSt15iterator_traitsISY_E10value_typeET2_T3_PNSZ_IS14_E10value_typeET4_jRbjT5_S1A_jjP12ihipStream_tbEUljE_EEESV_SW_SX_S14_S18_S1A_T6_T7_T9_mT8_S1C_bDpT10_ENKUlT_T0_E_clISt17integral_constantIbLb0EES1P_EEDaS1K_S1L_EUlS1K_E_NS1_11comp_targetILNS1_3genE2ELNS1_11target_archE906ELNS1_3gpuE6ELNS1_3repE0EEENS1_30default_config_static_selectorELNS0_4arch9wavefront6targetE0EEEvSY_.numbered_sgpr, 0
	.set _ZN7rocprim17ROCPRIM_400000_NS6detail17trampoline_kernelINS0_13select_configILj256ELj13ELNS0_17block_load_methodE3ELS4_3ELS4_3ELNS0_20block_scan_algorithmE0ELj4294967295EEENS1_25partition_config_selectorILNS1_17partition_subalgoE3EjNS0_10empty_typeEbEEZZNS1_14partition_implILS8_3ELb0ES6_jNS0_17counting_iteratorIjlEEPS9_SE_NS0_5tupleIJPjSE_EEENSF_IJSE_SE_EEES9_SG_JZNS1_25segmented_radix_sort_implINS0_14default_configELb0EPKbPbPKlPlN2at6native12_GLOBAL__N_18offset_tEEE10hipError_tPvRmT1_PNSt15iterator_traitsISY_E10value_typeET2_T3_PNSZ_IS14_E10value_typeET4_jRbjT5_S1A_jjP12ihipStream_tbEUljE_EEESV_SW_SX_S14_S18_S1A_T6_T7_T9_mT8_S1C_bDpT10_ENKUlT_T0_E_clISt17integral_constantIbLb0EES1P_EEDaS1K_S1L_EUlS1K_E_NS1_11comp_targetILNS1_3genE2ELNS1_11target_archE906ELNS1_3gpuE6ELNS1_3repE0EEENS1_30default_config_static_selectorELNS0_4arch9wavefront6targetE0EEEvSY_.num_named_barrier, 0
	.set _ZN7rocprim17ROCPRIM_400000_NS6detail17trampoline_kernelINS0_13select_configILj256ELj13ELNS0_17block_load_methodE3ELS4_3ELS4_3ELNS0_20block_scan_algorithmE0ELj4294967295EEENS1_25partition_config_selectorILNS1_17partition_subalgoE3EjNS0_10empty_typeEbEEZZNS1_14partition_implILS8_3ELb0ES6_jNS0_17counting_iteratorIjlEEPS9_SE_NS0_5tupleIJPjSE_EEENSF_IJSE_SE_EEES9_SG_JZNS1_25segmented_radix_sort_implINS0_14default_configELb0EPKbPbPKlPlN2at6native12_GLOBAL__N_18offset_tEEE10hipError_tPvRmT1_PNSt15iterator_traitsISY_E10value_typeET2_T3_PNSZ_IS14_E10value_typeET4_jRbjT5_S1A_jjP12ihipStream_tbEUljE_EEESV_SW_SX_S14_S18_S1A_T6_T7_T9_mT8_S1C_bDpT10_ENKUlT_T0_E_clISt17integral_constantIbLb0EES1P_EEDaS1K_S1L_EUlS1K_E_NS1_11comp_targetILNS1_3genE2ELNS1_11target_archE906ELNS1_3gpuE6ELNS1_3repE0EEENS1_30default_config_static_selectorELNS0_4arch9wavefront6targetE0EEEvSY_.private_seg_size, 0
	.set _ZN7rocprim17ROCPRIM_400000_NS6detail17trampoline_kernelINS0_13select_configILj256ELj13ELNS0_17block_load_methodE3ELS4_3ELS4_3ELNS0_20block_scan_algorithmE0ELj4294967295EEENS1_25partition_config_selectorILNS1_17partition_subalgoE3EjNS0_10empty_typeEbEEZZNS1_14partition_implILS8_3ELb0ES6_jNS0_17counting_iteratorIjlEEPS9_SE_NS0_5tupleIJPjSE_EEENSF_IJSE_SE_EEES9_SG_JZNS1_25segmented_radix_sort_implINS0_14default_configELb0EPKbPbPKlPlN2at6native12_GLOBAL__N_18offset_tEEE10hipError_tPvRmT1_PNSt15iterator_traitsISY_E10value_typeET2_T3_PNSZ_IS14_E10value_typeET4_jRbjT5_S1A_jjP12ihipStream_tbEUljE_EEESV_SW_SX_S14_S18_S1A_T6_T7_T9_mT8_S1C_bDpT10_ENKUlT_T0_E_clISt17integral_constantIbLb0EES1P_EEDaS1K_S1L_EUlS1K_E_NS1_11comp_targetILNS1_3genE2ELNS1_11target_archE906ELNS1_3gpuE6ELNS1_3repE0EEENS1_30default_config_static_selectorELNS0_4arch9wavefront6targetE0EEEvSY_.uses_vcc, 0
	.set _ZN7rocprim17ROCPRIM_400000_NS6detail17trampoline_kernelINS0_13select_configILj256ELj13ELNS0_17block_load_methodE3ELS4_3ELS4_3ELNS0_20block_scan_algorithmE0ELj4294967295EEENS1_25partition_config_selectorILNS1_17partition_subalgoE3EjNS0_10empty_typeEbEEZZNS1_14partition_implILS8_3ELb0ES6_jNS0_17counting_iteratorIjlEEPS9_SE_NS0_5tupleIJPjSE_EEENSF_IJSE_SE_EEES9_SG_JZNS1_25segmented_radix_sort_implINS0_14default_configELb0EPKbPbPKlPlN2at6native12_GLOBAL__N_18offset_tEEE10hipError_tPvRmT1_PNSt15iterator_traitsISY_E10value_typeET2_T3_PNSZ_IS14_E10value_typeET4_jRbjT5_S1A_jjP12ihipStream_tbEUljE_EEESV_SW_SX_S14_S18_S1A_T6_T7_T9_mT8_S1C_bDpT10_ENKUlT_T0_E_clISt17integral_constantIbLb0EES1P_EEDaS1K_S1L_EUlS1K_E_NS1_11comp_targetILNS1_3genE2ELNS1_11target_archE906ELNS1_3gpuE6ELNS1_3repE0EEENS1_30default_config_static_selectorELNS0_4arch9wavefront6targetE0EEEvSY_.uses_flat_scratch, 0
	.set _ZN7rocprim17ROCPRIM_400000_NS6detail17trampoline_kernelINS0_13select_configILj256ELj13ELNS0_17block_load_methodE3ELS4_3ELS4_3ELNS0_20block_scan_algorithmE0ELj4294967295EEENS1_25partition_config_selectorILNS1_17partition_subalgoE3EjNS0_10empty_typeEbEEZZNS1_14partition_implILS8_3ELb0ES6_jNS0_17counting_iteratorIjlEEPS9_SE_NS0_5tupleIJPjSE_EEENSF_IJSE_SE_EEES9_SG_JZNS1_25segmented_radix_sort_implINS0_14default_configELb0EPKbPbPKlPlN2at6native12_GLOBAL__N_18offset_tEEE10hipError_tPvRmT1_PNSt15iterator_traitsISY_E10value_typeET2_T3_PNSZ_IS14_E10value_typeET4_jRbjT5_S1A_jjP12ihipStream_tbEUljE_EEESV_SW_SX_S14_S18_S1A_T6_T7_T9_mT8_S1C_bDpT10_ENKUlT_T0_E_clISt17integral_constantIbLb0EES1P_EEDaS1K_S1L_EUlS1K_E_NS1_11comp_targetILNS1_3genE2ELNS1_11target_archE906ELNS1_3gpuE6ELNS1_3repE0EEENS1_30default_config_static_selectorELNS0_4arch9wavefront6targetE0EEEvSY_.has_dyn_sized_stack, 0
	.set _ZN7rocprim17ROCPRIM_400000_NS6detail17trampoline_kernelINS0_13select_configILj256ELj13ELNS0_17block_load_methodE3ELS4_3ELS4_3ELNS0_20block_scan_algorithmE0ELj4294967295EEENS1_25partition_config_selectorILNS1_17partition_subalgoE3EjNS0_10empty_typeEbEEZZNS1_14partition_implILS8_3ELb0ES6_jNS0_17counting_iteratorIjlEEPS9_SE_NS0_5tupleIJPjSE_EEENSF_IJSE_SE_EEES9_SG_JZNS1_25segmented_radix_sort_implINS0_14default_configELb0EPKbPbPKlPlN2at6native12_GLOBAL__N_18offset_tEEE10hipError_tPvRmT1_PNSt15iterator_traitsISY_E10value_typeET2_T3_PNSZ_IS14_E10value_typeET4_jRbjT5_S1A_jjP12ihipStream_tbEUljE_EEESV_SW_SX_S14_S18_S1A_T6_T7_T9_mT8_S1C_bDpT10_ENKUlT_T0_E_clISt17integral_constantIbLb0EES1P_EEDaS1K_S1L_EUlS1K_E_NS1_11comp_targetILNS1_3genE2ELNS1_11target_archE906ELNS1_3gpuE6ELNS1_3repE0EEENS1_30default_config_static_selectorELNS0_4arch9wavefront6targetE0EEEvSY_.has_recursion, 0
	.set _ZN7rocprim17ROCPRIM_400000_NS6detail17trampoline_kernelINS0_13select_configILj256ELj13ELNS0_17block_load_methodE3ELS4_3ELS4_3ELNS0_20block_scan_algorithmE0ELj4294967295EEENS1_25partition_config_selectorILNS1_17partition_subalgoE3EjNS0_10empty_typeEbEEZZNS1_14partition_implILS8_3ELb0ES6_jNS0_17counting_iteratorIjlEEPS9_SE_NS0_5tupleIJPjSE_EEENSF_IJSE_SE_EEES9_SG_JZNS1_25segmented_radix_sort_implINS0_14default_configELb0EPKbPbPKlPlN2at6native12_GLOBAL__N_18offset_tEEE10hipError_tPvRmT1_PNSt15iterator_traitsISY_E10value_typeET2_T3_PNSZ_IS14_E10value_typeET4_jRbjT5_S1A_jjP12ihipStream_tbEUljE_EEESV_SW_SX_S14_S18_S1A_T6_T7_T9_mT8_S1C_bDpT10_ENKUlT_T0_E_clISt17integral_constantIbLb0EES1P_EEDaS1K_S1L_EUlS1K_E_NS1_11comp_targetILNS1_3genE2ELNS1_11target_archE906ELNS1_3gpuE6ELNS1_3repE0EEENS1_30default_config_static_selectorELNS0_4arch9wavefront6targetE0EEEvSY_.has_indirect_call, 0
	.section	.AMDGPU.csdata,"",@progbits
; Kernel info:
; codeLenInByte = 0
; TotalNumSgprs: 0
; NumVgprs: 0
; ScratchSize: 0
; MemoryBound: 0
; FloatMode: 240
; IeeeMode: 1
; LDSByteSize: 0 bytes/workgroup (compile time only)
; SGPRBlocks: 0
; VGPRBlocks: 0
; NumSGPRsForWavesPerEU: 1
; NumVGPRsForWavesPerEU: 1
; NamedBarCnt: 0
; Occupancy: 16
; WaveLimiterHint : 0
; COMPUTE_PGM_RSRC2:SCRATCH_EN: 0
; COMPUTE_PGM_RSRC2:USER_SGPR: 2
; COMPUTE_PGM_RSRC2:TRAP_HANDLER: 0
; COMPUTE_PGM_RSRC2:TGID_X_EN: 1
; COMPUTE_PGM_RSRC2:TGID_Y_EN: 0
; COMPUTE_PGM_RSRC2:TGID_Z_EN: 0
; COMPUTE_PGM_RSRC2:TIDIG_COMP_CNT: 0
	.section	.text._ZN7rocprim17ROCPRIM_400000_NS6detail17trampoline_kernelINS0_13select_configILj256ELj13ELNS0_17block_load_methodE3ELS4_3ELS4_3ELNS0_20block_scan_algorithmE0ELj4294967295EEENS1_25partition_config_selectorILNS1_17partition_subalgoE3EjNS0_10empty_typeEbEEZZNS1_14partition_implILS8_3ELb0ES6_jNS0_17counting_iteratorIjlEEPS9_SE_NS0_5tupleIJPjSE_EEENSF_IJSE_SE_EEES9_SG_JZNS1_25segmented_radix_sort_implINS0_14default_configELb0EPKbPbPKlPlN2at6native12_GLOBAL__N_18offset_tEEE10hipError_tPvRmT1_PNSt15iterator_traitsISY_E10value_typeET2_T3_PNSZ_IS14_E10value_typeET4_jRbjT5_S1A_jjP12ihipStream_tbEUljE_EEESV_SW_SX_S14_S18_S1A_T6_T7_T9_mT8_S1C_bDpT10_ENKUlT_T0_E_clISt17integral_constantIbLb0EES1P_EEDaS1K_S1L_EUlS1K_E_NS1_11comp_targetILNS1_3genE10ELNS1_11target_archE1200ELNS1_3gpuE4ELNS1_3repE0EEENS1_30default_config_static_selectorELNS0_4arch9wavefront6targetE0EEEvSY_,"axG",@progbits,_ZN7rocprim17ROCPRIM_400000_NS6detail17trampoline_kernelINS0_13select_configILj256ELj13ELNS0_17block_load_methodE3ELS4_3ELS4_3ELNS0_20block_scan_algorithmE0ELj4294967295EEENS1_25partition_config_selectorILNS1_17partition_subalgoE3EjNS0_10empty_typeEbEEZZNS1_14partition_implILS8_3ELb0ES6_jNS0_17counting_iteratorIjlEEPS9_SE_NS0_5tupleIJPjSE_EEENSF_IJSE_SE_EEES9_SG_JZNS1_25segmented_radix_sort_implINS0_14default_configELb0EPKbPbPKlPlN2at6native12_GLOBAL__N_18offset_tEEE10hipError_tPvRmT1_PNSt15iterator_traitsISY_E10value_typeET2_T3_PNSZ_IS14_E10value_typeET4_jRbjT5_S1A_jjP12ihipStream_tbEUljE_EEESV_SW_SX_S14_S18_S1A_T6_T7_T9_mT8_S1C_bDpT10_ENKUlT_T0_E_clISt17integral_constantIbLb0EES1P_EEDaS1K_S1L_EUlS1K_E_NS1_11comp_targetILNS1_3genE10ELNS1_11target_archE1200ELNS1_3gpuE4ELNS1_3repE0EEENS1_30default_config_static_selectorELNS0_4arch9wavefront6targetE0EEEvSY_,comdat
	.globl	_ZN7rocprim17ROCPRIM_400000_NS6detail17trampoline_kernelINS0_13select_configILj256ELj13ELNS0_17block_load_methodE3ELS4_3ELS4_3ELNS0_20block_scan_algorithmE0ELj4294967295EEENS1_25partition_config_selectorILNS1_17partition_subalgoE3EjNS0_10empty_typeEbEEZZNS1_14partition_implILS8_3ELb0ES6_jNS0_17counting_iteratorIjlEEPS9_SE_NS0_5tupleIJPjSE_EEENSF_IJSE_SE_EEES9_SG_JZNS1_25segmented_radix_sort_implINS0_14default_configELb0EPKbPbPKlPlN2at6native12_GLOBAL__N_18offset_tEEE10hipError_tPvRmT1_PNSt15iterator_traitsISY_E10value_typeET2_T3_PNSZ_IS14_E10value_typeET4_jRbjT5_S1A_jjP12ihipStream_tbEUljE_EEESV_SW_SX_S14_S18_S1A_T6_T7_T9_mT8_S1C_bDpT10_ENKUlT_T0_E_clISt17integral_constantIbLb0EES1P_EEDaS1K_S1L_EUlS1K_E_NS1_11comp_targetILNS1_3genE10ELNS1_11target_archE1200ELNS1_3gpuE4ELNS1_3repE0EEENS1_30default_config_static_selectorELNS0_4arch9wavefront6targetE0EEEvSY_ ; -- Begin function _ZN7rocprim17ROCPRIM_400000_NS6detail17trampoline_kernelINS0_13select_configILj256ELj13ELNS0_17block_load_methodE3ELS4_3ELS4_3ELNS0_20block_scan_algorithmE0ELj4294967295EEENS1_25partition_config_selectorILNS1_17partition_subalgoE3EjNS0_10empty_typeEbEEZZNS1_14partition_implILS8_3ELb0ES6_jNS0_17counting_iteratorIjlEEPS9_SE_NS0_5tupleIJPjSE_EEENSF_IJSE_SE_EEES9_SG_JZNS1_25segmented_radix_sort_implINS0_14default_configELb0EPKbPbPKlPlN2at6native12_GLOBAL__N_18offset_tEEE10hipError_tPvRmT1_PNSt15iterator_traitsISY_E10value_typeET2_T3_PNSZ_IS14_E10value_typeET4_jRbjT5_S1A_jjP12ihipStream_tbEUljE_EEESV_SW_SX_S14_S18_S1A_T6_T7_T9_mT8_S1C_bDpT10_ENKUlT_T0_E_clISt17integral_constantIbLb0EES1P_EEDaS1K_S1L_EUlS1K_E_NS1_11comp_targetILNS1_3genE10ELNS1_11target_archE1200ELNS1_3gpuE4ELNS1_3repE0EEENS1_30default_config_static_selectorELNS0_4arch9wavefront6targetE0EEEvSY_
	.p2align	8
	.type	_ZN7rocprim17ROCPRIM_400000_NS6detail17trampoline_kernelINS0_13select_configILj256ELj13ELNS0_17block_load_methodE3ELS4_3ELS4_3ELNS0_20block_scan_algorithmE0ELj4294967295EEENS1_25partition_config_selectorILNS1_17partition_subalgoE3EjNS0_10empty_typeEbEEZZNS1_14partition_implILS8_3ELb0ES6_jNS0_17counting_iteratorIjlEEPS9_SE_NS0_5tupleIJPjSE_EEENSF_IJSE_SE_EEES9_SG_JZNS1_25segmented_radix_sort_implINS0_14default_configELb0EPKbPbPKlPlN2at6native12_GLOBAL__N_18offset_tEEE10hipError_tPvRmT1_PNSt15iterator_traitsISY_E10value_typeET2_T3_PNSZ_IS14_E10value_typeET4_jRbjT5_S1A_jjP12ihipStream_tbEUljE_EEESV_SW_SX_S14_S18_S1A_T6_T7_T9_mT8_S1C_bDpT10_ENKUlT_T0_E_clISt17integral_constantIbLb0EES1P_EEDaS1K_S1L_EUlS1K_E_NS1_11comp_targetILNS1_3genE10ELNS1_11target_archE1200ELNS1_3gpuE4ELNS1_3repE0EEENS1_30default_config_static_selectorELNS0_4arch9wavefront6targetE0EEEvSY_,@function
_ZN7rocprim17ROCPRIM_400000_NS6detail17trampoline_kernelINS0_13select_configILj256ELj13ELNS0_17block_load_methodE3ELS4_3ELS4_3ELNS0_20block_scan_algorithmE0ELj4294967295EEENS1_25partition_config_selectorILNS1_17partition_subalgoE3EjNS0_10empty_typeEbEEZZNS1_14partition_implILS8_3ELb0ES6_jNS0_17counting_iteratorIjlEEPS9_SE_NS0_5tupleIJPjSE_EEENSF_IJSE_SE_EEES9_SG_JZNS1_25segmented_radix_sort_implINS0_14default_configELb0EPKbPbPKlPlN2at6native12_GLOBAL__N_18offset_tEEE10hipError_tPvRmT1_PNSt15iterator_traitsISY_E10value_typeET2_T3_PNSZ_IS14_E10value_typeET4_jRbjT5_S1A_jjP12ihipStream_tbEUljE_EEESV_SW_SX_S14_S18_S1A_T6_T7_T9_mT8_S1C_bDpT10_ENKUlT_T0_E_clISt17integral_constantIbLb0EES1P_EEDaS1K_S1L_EUlS1K_E_NS1_11comp_targetILNS1_3genE10ELNS1_11target_archE1200ELNS1_3gpuE4ELNS1_3repE0EEENS1_30default_config_static_selectorELNS0_4arch9wavefront6targetE0EEEvSY_: ; @_ZN7rocprim17ROCPRIM_400000_NS6detail17trampoline_kernelINS0_13select_configILj256ELj13ELNS0_17block_load_methodE3ELS4_3ELS4_3ELNS0_20block_scan_algorithmE0ELj4294967295EEENS1_25partition_config_selectorILNS1_17partition_subalgoE3EjNS0_10empty_typeEbEEZZNS1_14partition_implILS8_3ELb0ES6_jNS0_17counting_iteratorIjlEEPS9_SE_NS0_5tupleIJPjSE_EEENSF_IJSE_SE_EEES9_SG_JZNS1_25segmented_radix_sort_implINS0_14default_configELb0EPKbPbPKlPlN2at6native12_GLOBAL__N_18offset_tEEE10hipError_tPvRmT1_PNSt15iterator_traitsISY_E10value_typeET2_T3_PNSZ_IS14_E10value_typeET4_jRbjT5_S1A_jjP12ihipStream_tbEUljE_EEESV_SW_SX_S14_S18_S1A_T6_T7_T9_mT8_S1C_bDpT10_ENKUlT_T0_E_clISt17integral_constantIbLb0EES1P_EEDaS1K_S1L_EUlS1K_E_NS1_11comp_targetILNS1_3genE10ELNS1_11target_archE1200ELNS1_3gpuE4ELNS1_3repE0EEENS1_30default_config_static_selectorELNS0_4arch9wavefront6targetE0EEEvSY_
; %bb.0:
	.section	.rodata,"a",@progbits
	.p2align	6, 0x0
	.amdhsa_kernel _ZN7rocprim17ROCPRIM_400000_NS6detail17trampoline_kernelINS0_13select_configILj256ELj13ELNS0_17block_load_methodE3ELS4_3ELS4_3ELNS0_20block_scan_algorithmE0ELj4294967295EEENS1_25partition_config_selectorILNS1_17partition_subalgoE3EjNS0_10empty_typeEbEEZZNS1_14partition_implILS8_3ELb0ES6_jNS0_17counting_iteratorIjlEEPS9_SE_NS0_5tupleIJPjSE_EEENSF_IJSE_SE_EEES9_SG_JZNS1_25segmented_radix_sort_implINS0_14default_configELb0EPKbPbPKlPlN2at6native12_GLOBAL__N_18offset_tEEE10hipError_tPvRmT1_PNSt15iterator_traitsISY_E10value_typeET2_T3_PNSZ_IS14_E10value_typeET4_jRbjT5_S1A_jjP12ihipStream_tbEUljE_EEESV_SW_SX_S14_S18_S1A_T6_T7_T9_mT8_S1C_bDpT10_ENKUlT_T0_E_clISt17integral_constantIbLb0EES1P_EEDaS1K_S1L_EUlS1K_E_NS1_11comp_targetILNS1_3genE10ELNS1_11target_archE1200ELNS1_3gpuE4ELNS1_3repE0EEENS1_30default_config_static_selectorELNS0_4arch9wavefront6targetE0EEEvSY_
		.amdhsa_group_segment_fixed_size 0
		.amdhsa_private_segment_fixed_size 0
		.amdhsa_kernarg_size 144
		.amdhsa_user_sgpr_count 2
		.amdhsa_user_sgpr_dispatch_ptr 0
		.amdhsa_user_sgpr_queue_ptr 0
		.amdhsa_user_sgpr_kernarg_segment_ptr 1
		.amdhsa_user_sgpr_dispatch_id 0
		.amdhsa_user_sgpr_kernarg_preload_length 0
		.amdhsa_user_sgpr_kernarg_preload_offset 0
		.amdhsa_user_sgpr_private_segment_size 0
		.amdhsa_wavefront_size32 1
		.amdhsa_uses_dynamic_stack 0
		.amdhsa_enable_private_segment 0
		.amdhsa_system_sgpr_workgroup_id_x 1
		.amdhsa_system_sgpr_workgroup_id_y 0
		.amdhsa_system_sgpr_workgroup_id_z 0
		.amdhsa_system_sgpr_workgroup_info 0
		.amdhsa_system_vgpr_workitem_id 0
		.amdhsa_next_free_vgpr 1
		.amdhsa_next_free_sgpr 1
		.amdhsa_named_barrier_count 0
		.amdhsa_reserve_vcc 0
		.amdhsa_float_round_mode_32 0
		.amdhsa_float_round_mode_16_64 0
		.amdhsa_float_denorm_mode_32 3
		.amdhsa_float_denorm_mode_16_64 3
		.amdhsa_fp16_overflow 0
		.amdhsa_memory_ordered 1
		.amdhsa_forward_progress 1
		.amdhsa_inst_pref_size 0
		.amdhsa_round_robin_scheduling 0
		.amdhsa_exception_fp_ieee_invalid_op 0
		.amdhsa_exception_fp_denorm_src 0
		.amdhsa_exception_fp_ieee_div_zero 0
		.amdhsa_exception_fp_ieee_overflow 0
		.amdhsa_exception_fp_ieee_underflow 0
		.amdhsa_exception_fp_ieee_inexact 0
		.amdhsa_exception_int_div_zero 0
	.end_amdhsa_kernel
	.section	.text._ZN7rocprim17ROCPRIM_400000_NS6detail17trampoline_kernelINS0_13select_configILj256ELj13ELNS0_17block_load_methodE3ELS4_3ELS4_3ELNS0_20block_scan_algorithmE0ELj4294967295EEENS1_25partition_config_selectorILNS1_17partition_subalgoE3EjNS0_10empty_typeEbEEZZNS1_14partition_implILS8_3ELb0ES6_jNS0_17counting_iteratorIjlEEPS9_SE_NS0_5tupleIJPjSE_EEENSF_IJSE_SE_EEES9_SG_JZNS1_25segmented_radix_sort_implINS0_14default_configELb0EPKbPbPKlPlN2at6native12_GLOBAL__N_18offset_tEEE10hipError_tPvRmT1_PNSt15iterator_traitsISY_E10value_typeET2_T3_PNSZ_IS14_E10value_typeET4_jRbjT5_S1A_jjP12ihipStream_tbEUljE_EEESV_SW_SX_S14_S18_S1A_T6_T7_T9_mT8_S1C_bDpT10_ENKUlT_T0_E_clISt17integral_constantIbLb0EES1P_EEDaS1K_S1L_EUlS1K_E_NS1_11comp_targetILNS1_3genE10ELNS1_11target_archE1200ELNS1_3gpuE4ELNS1_3repE0EEENS1_30default_config_static_selectorELNS0_4arch9wavefront6targetE0EEEvSY_,"axG",@progbits,_ZN7rocprim17ROCPRIM_400000_NS6detail17trampoline_kernelINS0_13select_configILj256ELj13ELNS0_17block_load_methodE3ELS4_3ELS4_3ELNS0_20block_scan_algorithmE0ELj4294967295EEENS1_25partition_config_selectorILNS1_17partition_subalgoE3EjNS0_10empty_typeEbEEZZNS1_14partition_implILS8_3ELb0ES6_jNS0_17counting_iteratorIjlEEPS9_SE_NS0_5tupleIJPjSE_EEENSF_IJSE_SE_EEES9_SG_JZNS1_25segmented_radix_sort_implINS0_14default_configELb0EPKbPbPKlPlN2at6native12_GLOBAL__N_18offset_tEEE10hipError_tPvRmT1_PNSt15iterator_traitsISY_E10value_typeET2_T3_PNSZ_IS14_E10value_typeET4_jRbjT5_S1A_jjP12ihipStream_tbEUljE_EEESV_SW_SX_S14_S18_S1A_T6_T7_T9_mT8_S1C_bDpT10_ENKUlT_T0_E_clISt17integral_constantIbLb0EES1P_EEDaS1K_S1L_EUlS1K_E_NS1_11comp_targetILNS1_3genE10ELNS1_11target_archE1200ELNS1_3gpuE4ELNS1_3repE0EEENS1_30default_config_static_selectorELNS0_4arch9wavefront6targetE0EEEvSY_,comdat
.Lfunc_end1599:
	.size	_ZN7rocprim17ROCPRIM_400000_NS6detail17trampoline_kernelINS0_13select_configILj256ELj13ELNS0_17block_load_methodE3ELS4_3ELS4_3ELNS0_20block_scan_algorithmE0ELj4294967295EEENS1_25partition_config_selectorILNS1_17partition_subalgoE3EjNS0_10empty_typeEbEEZZNS1_14partition_implILS8_3ELb0ES6_jNS0_17counting_iteratorIjlEEPS9_SE_NS0_5tupleIJPjSE_EEENSF_IJSE_SE_EEES9_SG_JZNS1_25segmented_radix_sort_implINS0_14default_configELb0EPKbPbPKlPlN2at6native12_GLOBAL__N_18offset_tEEE10hipError_tPvRmT1_PNSt15iterator_traitsISY_E10value_typeET2_T3_PNSZ_IS14_E10value_typeET4_jRbjT5_S1A_jjP12ihipStream_tbEUljE_EEESV_SW_SX_S14_S18_S1A_T6_T7_T9_mT8_S1C_bDpT10_ENKUlT_T0_E_clISt17integral_constantIbLb0EES1P_EEDaS1K_S1L_EUlS1K_E_NS1_11comp_targetILNS1_3genE10ELNS1_11target_archE1200ELNS1_3gpuE4ELNS1_3repE0EEENS1_30default_config_static_selectorELNS0_4arch9wavefront6targetE0EEEvSY_, .Lfunc_end1599-_ZN7rocprim17ROCPRIM_400000_NS6detail17trampoline_kernelINS0_13select_configILj256ELj13ELNS0_17block_load_methodE3ELS4_3ELS4_3ELNS0_20block_scan_algorithmE0ELj4294967295EEENS1_25partition_config_selectorILNS1_17partition_subalgoE3EjNS0_10empty_typeEbEEZZNS1_14partition_implILS8_3ELb0ES6_jNS0_17counting_iteratorIjlEEPS9_SE_NS0_5tupleIJPjSE_EEENSF_IJSE_SE_EEES9_SG_JZNS1_25segmented_radix_sort_implINS0_14default_configELb0EPKbPbPKlPlN2at6native12_GLOBAL__N_18offset_tEEE10hipError_tPvRmT1_PNSt15iterator_traitsISY_E10value_typeET2_T3_PNSZ_IS14_E10value_typeET4_jRbjT5_S1A_jjP12ihipStream_tbEUljE_EEESV_SW_SX_S14_S18_S1A_T6_T7_T9_mT8_S1C_bDpT10_ENKUlT_T0_E_clISt17integral_constantIbLb0EES1P_EEDaS1K_S1L_EUlS1K_E_NS1_11comp_targetILNS1_3genE10ELNS1_11target_archE1200ELNS1_3gpuE4ELNS1_3repE0EEENS1_30default_config_static_selectorELNS0_4arch9wavefront6targetE0EEEvSY_
                                        ; -- End function
	.set _ZN7rocprim17ROCPRIM_400000_NS6detail17trampoline_kernelINS0_13select_configILj256ELj13ELNS0_17block_load_methodE3ELS4_3ELS4_3ELNS0_20block_scan_algorithmE0ELj4294967295EEENS1_25partition_config_selectorILNS1_17partition_subalgoE3EjNS0_10empty_typeEbEEZZNS1_14partition_implILS8_3ELb0ES6_jNS0_17counting_iteratorIjlEEPS9_SE_NS0_5tupleIJPjSE_EEENSF_IJSE_SE_EEES9_SG_JZNS1_25segmented_radix_sort_implINS0_14default_configELb0EPKbPbPKlPlN2at6native12_GLOBAL__N_18offset_tEEE10hipError_tPvRmT1_PNSt15iterator_traitsISY_E10value_typeET2_T3_PNSZ_IS14_E10value_typeET4_jRbjT5_S1A_jjP12ihipStream_tbEUljE_EEESV_SW_SX_S14_S18_S1A_T6_T7_T9_mT8_S1C_bDpT10_ENKUlT_T0_E_clISt17integral_constantIbLb0EES1P_EEDaS1K_S1L_EUlS1K_E_NS1_11comp_targetILNS1_3genE10ELNS1_11target_archE1200ELNS1_3gpuE4ELNS1_3repE0EEENS1_30default_config_static_selectorELNS0_4arch9wavefront6targetE0EEEvSY_.num_vgpr, 0
	.set _ZN7rocprim17ROCPRIM_400000_NS6detail17trampoline_kernelINS0_13select_configILj256ELj13ELNS0_17block_load_methodE3ELS4_3ELS4_3ELNS0_20block_scan_algorithmE0ELj4294967295EEENS1_25partition_config_selectorILNS1_17partition_subalgoE3EjNS0_10empty_typeEbEEZZNS1_14partition_implILS8_3ELb0ES6_jNS0_17counting_iteratorIjlEEPS9_SE_NS0_5tupleIJPjSE_EEENSF_IJSE_SE_EEES9_SG_JZNS1_25segmented_radix_sort_implINS0_14default_configELb0EPKbPbPKlPlN2at6native12_GLOBAL__N_18offset_tEEE10hipError_tPvRmT1_PNSt15iterator_traitsISY_E10value_typeET2_T3_PNSZ_IS14_E10value_typeET4_jRbjT5_S1A_jjP12ihipStream_tbEUljE_EEESV_SW_SX_S14_S18_S1A_T6_T7_T9_mT8_S1C_bDpT10_ENKUlT_T0_E_clISt17integral_constantIbLb0EES1P_EEDaS1K_S1L_EUlS1K_E_NS1_11comp_targetILNS1_3genE10ELNS1_11target_archE1200ELNS1_3gpuE4ELNS1_3repE0EEENS1_30default_config_static_selectorELNS0_4arch9wavefront6targetE0EEEvSY_.num_agpr, 0
	.set _ZN7rocprim17ROCPRIM_400000_NS6detail17trampoline_kernelINS0_13select_configILj256ELj13ELNS0_17block_load_methodE3ELS4_3ELS4_3ELNS0_20block_scan_algorithmE0ELj4294967295EEENS1_25partition_config_selectorILNS1_17partition_subalgoE3EjNS0_10empty_typeEbEEZZNS1_14partition_implILS8_3ELb0ES6_jNS0_17counting_iteratorIjlEEPS9_SE_NS0_5tupleIJPjSE_EEENSF_IJSE_SE_EEES9_SG_JZNS1_25segmented_radix_sort_implINS0_14default_configELb0EPKbPbPKlPlN2at6native12_GLOBAL__N_18offset_tEEE10hipError_tPvRmT1_PNSt15iterator_traitsISY_E10value_typeET2_T3_PNSZ_IS14_E10value_typeET4_jRbjT5_S1A_jjP12ihipStream_tbEUljE_EEESV_SW_SX_S14_S18_S1A_T6_T7_T9_mT8_S1C_bDpT10_ENKUlT_T0_E_clISt17integral_constantIbLb0EES1P_EEDaS1K_S1L_EUlS1K_E_NS1_11comp_targetILNS1_3genE10ELNS1_11target_archE1200ELNS1_3gpuE4ELNS1_3repE0EEENS1_30default_config_static_selectorELNS0_4arch9wavefront6targetE0EEEvSY_.numbered_sgpr, 0
	.set _ZN7rocprim17ROCPRIM_400000_NS6detail17trampoline_kernelINS0_13select_configILj256ELj13ELNS0_17block_load_methodE3ELS4_3ELS4_3ELNS0_20block_scan_algorithmE0ELj4294967295EEENS1_25partition_config_selectorILNS1_17partition_subalgoE3EjNS0_10empty_typeEbEEZZNS1_14partition_implILS8_3ELb0ES6_jNS0_17counting_iteratorIjlEEPS9_SE_NS0_5tupleIJPjSE_EEENSF_IJSE_SE_EEES9_SG_JZNS1_25segmented_radix_sort_implINS0_14default_configELb0EPKbPbPKlPlN2at6native12_GLOBAL__N_18offset_tEEE10hipError_tPvRmT1_PNSt15iterator_traitsISY_E10value_typeET2_T3_PNSZ_IS14_E10value_typeET4_jRbjT5_S1A_jjP12ihipStream_tbEUljE_EEESV_SW_SX_S14_S18_S1A_T6_T7_T9_mT8_S1C_bDpT10_ENKUlT_T0_E_clISt17integral_constantIbLb0EES1P_EEDaS1K_S1L_EUlS1K_E_NS1_11comp_targetILNS1_3genE10ELNS1_11target_archE1200ELNS1_3gpuE4ELNS1_3repE0EEENS1_30default_config_static_selectorELNS0_4arch9wavefront6targetE0EEEvSY_.num_named_barrier, 0
	.set _ZN7rocprim17ROCPRIM_400000_NS6detail17trampoline_kernelINS0_13select_configILj256ELj13ELNS0_17block_load_methodE3ELS4_3ELS4_3ELNS0_20block_scan_algorithmE0ELj4294967295EEENS1_25partition_config_selectorILNS1_17partition_subalgoE3EjNS0_10empty_typeEbEEZZNS1_14partition_implILS8_3ELb0ES6_jNS0_17counting_iteratorIjlEEPS9_SE_NS0_5tupleIJPjSE_EEENSF_IJSE_SE_EEES9_SG_JZNS1_25segmented_radix_sort_implINS0_14default_configELb0EPKbPbPKlPlN2at6native12_GLOBAL__N_18offset_tEEE10hipError_tPvRmT1_PNSt15iterator_traitsISY_E10value_typeET2_T3_PNSZ_IS14_E10value_typeET4_jRbjT5_S1A_jjP12ihipStream_tbEUljE_EEESV_SW_SX_S14_S18_S1A_T6_T7_T9_mT8_S1C_bDpT10_ENKUlT_T0_E_clISt17integral_constantIbLb0EES1P_EEDaS1K_S1L_EUlS1K_E_NS1_11comp_targetILNS1_3genE10ELNS1_11target_archE1200ELNS1_3gpuE4ELNS1_3repE0EEENS1_30default_config_static_selectorELNS0_4arch9wavefront6targetE0EEEvSY_.private_seg_size, 0
	.set _ZN7rocprim17ROCPRIM_400000_NS6detail17trampoline_kernelINS0_13select_configILj256ELj13ELNS0_17block_load_methodE3ELS4_3ELS4_3ELNS0_20block_scan_algorithmE0ELj4294967295EEENS1_25partition_config_selectorILNS1_17partition_subalgoE3EjNS0_10empty_typeEbEEZZNS1_14partition_implILS8_3ELb0ES6_jNS0_17counting_iteratorIjlEEPS9_SE_NS0_5tupleIJPjSE_EEENSF_IJSE_SE_EEES9_SG_JZNS1_25segmented_radix_sort_implINS0_14default_configELb0EPKbPbPKlPlN2at6native12_GLOBAL__N_18offset_tEEE10hipError_tPvRmT1_PNSt15iterator_traitsISY_E10value_typeET2_T3_PNSZ_IS14_E10value_typeET4_jRbjT5_S1A_jjP12ihipStream_tbEUljE_EEESV_SW_SX_S14_S18_S1A_T6_T7_T9_mT8_S1C_bDpT10_ENKUlT_T0_E_clISt17integral_constantIbLb0EES1P_EEDaS1K_S1L_EUlS1K_E_NS1_11comp_targetILNS1_3genE10ELNS1_11target_archE1200ELNS1_3gpuE4ELNS1_3repE0EEENS1_30default_config_static_selectorELNS0_4arch9wavefront6targetE0EEEvSY_.uses_vcc, 0
	.set _ZN7rocprim17ROCPRIM_400000_NS6detail17trampoline_kernelINS0_13select_configILj256ELj13ELNS0_17block_load_methodE3ELS4_3ELS4_3ELNS0_20block_scan_algorithmE0ELj4294967295EEENS1_25partition_config_selectorILNS1_17partition_subalgoE3EjNS0_10empty_typeEbEEZZNS1_14partition_implILS8_3ELb0ES6_jNS0_17counting_iteratorIjlEEPS9_SE_NS0_5tupleIJPjSE_EEENSF_IJSE_SE_EEES9_SG_JZNS1_25segmented_radix_sort_implINS0_14default_configELb0EPKbPbPKlPlN2at6native12_GLOBAL__N_18offset_tEEE10hipError_tPvRmT1_PNSt15iterator_traitsISY_E10value_typeET2_T3_PNSZ_IS14_E10value_typeET4_jRbjT5_S1A_jjP12ihipStream_tbEUljE_EEESV_SW_SX_S14_S18_S1A_T6_T7_T9_mT8_S1C_bDpT10_ENKUlT_T0_E_clISt17integral_constantIbLb0EES1P_EEDaS1K_S1L_EUlS1K_E_NS1_11comp_targetILNS1_3genE10ELNS1_11target_archE1200ELNS1_3gpuE4ELNS1_3repE0EEENS1_30default_config_static_selectorELNS0_4arch9wavefront6targetE0EEEvSY_.uses_flat_scratch, 0
	.set _ZN7rocprim17ROCPRIM_400000_NS6detail17trampoline_kernelINS0_13select_configILj256ELj13ELNS0_17block_load_methodE3ELS4_3ELS4_3ELNS0_20block_scan_algorithmE0ELj4294967295EEENS1_25partition_config_selectorILNS1_17partition_subalgoE3EjNS0_10empty_typeEbEEZZNS1_14partition_implILS8_3ELb0ES6_jNS0_17counting_iteratorIjlEEPS9_SE_NS0_5tupleIJPjSE_EEENSF_IJSE_SE_EEES9_SG_JZNS1_25segmented_radix_sort_implINS0_14default_configELb0EPKbPbPKlPlN2at6native12_GLOBAL__N_18offset_tEEE10hipError_tPvRmT1_PNSt15iterator_traitsISY_E10value_typeET2_T3_PNSZ_IS14_E10value_typeET4_jRbjT5_S1A_jjP12ihipStream_tbEUljE_EEESV_SW_SX_S14_S18_S1A_T6_T7_T9_mT8_S1C_bDpT10_ENKUlT_T0_E_clISt17integral_constantIbLb0EES1P_EEDaS1K_S1L_EUlS1K_E_NS1_11comp_targetILNS1_3genE10ELNS1_11target_archE1200ELNS1_3gpuE4ELNS1_3repE0EEENS1_30default_config_static_selectorELNS0_4arch9wavefront6targetE0EEEvSY_.has_dyn_sized_stack, 0
	.set _ZN7rocprim17ROCPRIM_400000_NS6detail17trampoline_kernelINS0_13select_configILj256ELj13ELNS0_17block_load_methodE3ELS4_3ELS4_3ELNS0_20block_scan_algorithmE0ELj4294967295EEENS1_25partition_config_selectorILNS1_17partition_subalgoE3EjNS0_10empty_typeEbEEZZNS1_14partition_implILS8_3ELb0ES6_jNS0_17counting_iteratorIjlEEPS9_SE_NS0_5tupleIJPjSE_EEENSF_IJSE_SE_EEES9_SG_JZNS1_25segmented_radix_sort_implINS0_14default_configELb0EPKbPbPKlPlN2at6native12_GLOBAL__N_18offset_tEEE10hipError_tPvRmT1_PNSt15iterator_traitsISY_E10value_typeET2_T3_PNSZ_IS14_E10value_typeET4_jRbjT5_S1A_jjP12ihipStream_tbEUljE_EEESV_SW_SX_S14_S18_S1A_T6_T7_T9_mT8_S1C_bDpT10_ENKUlT_T0_E_clISt17integral_constantIbLb0EES1P_EEDaS1K_S1L_EUlS1K_E_NS1_11comp_targetILNS1_3genE10ELNS1_11target_archE1200ELNS1_3gpuE4ELNS1_3repE0EEENS1_30default_config_static_selectorELNS0_4arch9wavefront6targetE0EEEvSY_.has_recursion, 0
	.set _ZN7rocprim17ROCPRIM_400000_NS6detail17trampoline_kernelINS0_13select_configILj256ELj13ELNS0_17block_load_methodE3ELS4_3ELS4_3ELNS0_20block_scan_algorithmE0ELj4294967295EEENS1_25partition_config_selectorILNS1_17partition_subalgoE3EjNS0_10empty_typeEbEEZZNS1_14partition_implILS8_3ELb0ES6_jNS0_17counting_iteratorIjlEEPS9_SE_NS0_5tupleIJPjSE_EEENSF_IJSE_SE_EEES9_SG_JZNS1_25segmented_radix_sort_implINS0_14default_configELb0EPKbPbPKlPlN2at6native12_GLOBAL__N_18offset_tEEE10hipError_tPvRmT1_PNSt15iterator_traitsISY_E10value_typeET2_T3_PNSZ_IS14_E10value_typeET4_jRbjT5_S1A_jjP12ihipStream_tbEUljE_EEESV_SW_SX_S14_S18_S1A_T6_T7_T9_mT8_S1C_bDpT10_ENKUlT_T0_E_clISt17integral_constantIbLb0EES1P_EEDaS1K_S1L_EUlS1K_E_NS1_11comp_targetILNS1_3genE10ELNS1_11target_archE1200ELNS1_3gpuE4ELNS1_3repE0EEENS1_30default_config_static_selectorELNS0_4arch9wavefront6targetE0EEEvSY_.has_indirect_call, 0
	.section	.AMDGPU.csdata,"",@progbits
; Kernel info:
; codeLenInByte = 0
; TotalNumSgprs: 0
; NumVgprs: 0
; ScratchSize: 0
; MemoryBound: 0
; FloatMode: 240
; IeeeMode: 1
; LDSByteSize: 0 bytes/workgroup (compile time only)
; SGPRBlocks: 0
; VGPRBlocks: 0
; NumSGPRsForWavesPerEU: 1
; NumVGPRsForWavesPerEU: 1
; NamedBarCnt: 0
; Occupancy: 16
; WaveLimiterHint : 0
; COMPUTE_PGM_RSRC2:SCRATCH_EN: 0
; COMPUTE_PGM_RSRC2:USER_SGPR: 2
; COMPUTE_PGM_RSRC2:TRAP_HANDLER: 0
; COMPUTE_PGM_RSRC2:TGID_X_EN: 1
; COMPUTE_PGM_RSRC2:TGID_Y_EN: 0
; COMPUTE_PGM_RSRC2:TGID_Z_EN: 0
; COMPUTE_PGM_RSRC2:TIDIG_COMP_CNT: 0
	.section	.text._ZN7rocprim17ROCPRIM_400000_NS6detail17trampoline_kernelINS0_13select_configILj256ELj13ELNS0_17block_load_methodE3ELS4_3ELS4_3ELNS0_20block_scan_algorithmE0ELj4294967295EEENS1_25partition_config_selectorILNS1_17partition_subalgoE3EjNS0_10empty_typeEbEEZZNS1_14partition_implILS8_3ELb0ES6_jNS0_17counting_iteratorIjlEEPS9_SE_NS0_5tupleIJPjSE_EEENSF_IJSE_SE_EEES9_SG_JZNS1_25segmented_radix_sort_implINS0_14default_configELb0EPKbPbPKlPlN2at6native12_GLOBAL__N_18offset_tEEE10hipError_tPvRmT1_PNSt15iterator_traitsISY_E10value_typeET2_T3_PNSZ_IS14_E10value_typeET4_jRbjT5_S1A_jjP12ihipStream_tbEUljE_EEESV_SW_SX_S14_S18_S1A_T6_T7_T9_mT8_S1C_bDpT10_ENKUlT_T0_E_clISt17integral_constantIbLb0EES1P_EEDaS1K_S1L_EUlS1K_E_NS1_11comp_targetILNS1_3genE9ELNS1_11target_archE1100ELNS1_3gpuE3ELNS1_3repE0EEENS1_30default_config_static_selectorELNS0_4arch9wavefront6targetE0EEEvSY_,"axG",@progbits,_ZN7rocprim17ROCPRIM_400000_NS6detail17trampoline_kernelINS0_13select_configILj256ELj13ELNS0_17block_load_methodE3ELS4_3ELS4_3ELNS0_20block_scan_algorithmE0ELj4294967295EEENS1_25partition_config_selectorILNS1_17partition_subalgoE3EjNS0_10empty_typeEbEEZZNS1_14partition_implILS8_3ELb0ES6_jNS0_17counting_iteratorIjlEEPS9_SE_NS0_5tupleIJPjSE_EEENSF_IJSE_SE_EEES9_SG_JZNS1_25segmented_radix_sort_implINS0_14default_configELb0EPKbPbPKlPlN2at6native12_GLOBAL__N_18offset_tEEE10hipError_tPvRmT1_PNSt15iterator_traitsISY_E10value_typeET2_T3_PNSZ_IS14_E10value_typeET4_jRbjT5_S1A_jjP12ihipStream_tbEUljE_EEESV_SW_SX_S14_S18_S1A_T6_T7_T9_mT8_S1C_bDpT10_ENKUlT_T0_E_clISt17integral_constantIbLb0EES1P_EEDaS1K_S1L_EUlS1K_E_NS1_11comp_targetILNS1_3genE9ELNS1_11target_archE1100ELNS1_3gpuE3ELNS1_3repE0EEENS1_30default_config_static_selectorELNS0_4arch9wavefront6targetE0EEEvSY_,comdat
	.globl	_ZN7rocprim17ROCPRIM_400000_NS6detail17trampoline_kernelINS0_13select_configILj256ELj13ELNS0_17block_load_methodE3ELS4_3ELS4_3ELNS0_20block_scan_algorithmE0ELj4294967295EEENS1_25partition_config_selectorILNS1_17partition_subalgoE3EjNS0_10empty_typeEbEEZZNS1_14partition_implILS8_3ELb0ES6_jNS0_17counting_iteratorIjlEEPS9_SE_NS0_5tupleIJPjSE_EEENSF_IJSE_SE_EEES9_SG_JZNS1_25segmented_radix_sort_implINS0_14default_configELb0EPKbPbPKlPlN2at6native12_GLOBAL__N_18offset_tEEE10hipError_tPvRmT1_PNSt15iterator_traitsISY_E10value_typeET2_T3_PNSZ_IS14_E10value_typeET4_jRbjT5_S1A_jjP12ihipStream_tbEUljE_EEESV_SW_SX_S14_S18_S1A_T6_T7_T9_mT8_S1C_bDpT10_ENKUlT_T0_E_clISt17integral_constantIbLb0EES1P_EEDaS1K_S1L_EUlS1K_E_NS1_11comp_targetILNS1_3genE9ELNS1_11target_archE1100ELNS1_3gpuE3ELNS1_3repE0EEENS1_30default_config_static_selectorELNS0_4arch9wavefront6targetE0EEEvSY_ ; -- Begin function _ZN7rocprim17ROCPRIM_400000_NS6detail17trampoline_kernelINS0_13select_configILj256ELj13ELNS0_17block_load_methodE3ELS4_3ELS4_3ELNS0_20block_scan_algorithmE0ELj4294967295EEENS1_25partition_config_selectorILNS1_17partition_subalgoE3EjNS0_10empty_typeEbEEZZNS1_14partition_implILS8_3ELb0ES6_jNS0_17counting_iteratorIjlEEPS9_SE_NS0_5tupleIJPjSE_EEENSF_IJSE_SE_EEES9_SG_JZNS1_25segmented_radix_sort_implINS0_14default_configELb0EPKbPbPKlPlN2at6native12_GLOBAL__N_18offset_tEEE10hipError_tPvRmT1_PNSt15iterator_traitsISY_E10value_typeET2_T3_PNSZ_IS14_E10value_typeET4_jRbjT5_S1A_jjP12ihipStream_tbEUljE_EEESV_SW_SX_S14_S18_S1A_T6_T7_T9_mT8_S1C_bDpT10_ENKUlT_T0_E_clISt17integral_constantIbLb0EES1P_EEDaS1K_S1L_EUlS1K_E_NS1_11comp_targetILNS1_3genE9ELNS1_11target_archE1100ELNS1_3gpuE3ELNS1_3repE0EEENS1_30default_config_static_selectorELNS0_4arch9wavefront6targetE0EEEvSY_
	.p2align	8
	.type	_ZN7rocprim17ROCPRIM_400000_NS6detail17trampoline_kernelINS0_13select_configILj256ELj13ELNS0_17block_load_methodE3ELS4_3ELS4_3ELNS0_20block_scan_algorithmE0ELj4294967295EEENS1_25partition_config_selectorILNS1_17partition_subalgoE3EjNS0_10empty_typeEbEEZZNS1_14partition_implILS8_3ELb0ES6_jNS0_17counting_iteratorIjlEEPS9_SE_NS0_5tupleIJPjSE_EEENSF_IJSE_SE_EEES9_SG_JZNS1_25segmented_radix_sort_implINS0_14default_configELb0EPKbPbPKlPlN2at6native12_GLOBAL__N_18offset_tEEE10hipError_tPvRmT1_PNSt15iterator_traitsISY_E10value_typeET2_T3_PNSZ_IS14_E10value_typeET4_jRbjT5_S1A_jjP12ihipStream_tbEUljE_EEESV_SW_SX_S14_S18_S1A_T6_T7_T9_mT8_S1C_bDpT10_ENKUlT_T0_E_clISt17integral_constantIbLb0EES1P_EEDaS1K_S1L_EUlS1K_E_NS1_11comp_targetILNS1_3genE9ELNS1_11target_archE1100ELNS1_3gpuE3ELNS1_3repE0EEENS1_30default_config_static_selectorELNS0_4arch9wavefront6targetE0EEEvSY_,@function
_ZN7rocprim17ROCPRIM_400000_NS6detail17trampoline_kernelINS0_13select_configILj256ELj13ELNS0_17block_load_methodE3ELS4_3ELS4_3ELNS0_20block_scan_algorithmE0ELj4294967295EEENS1_25partition_config_selectorILNS1_17partition_subalgoE3EjNS0_10empty_typeEbEEZZNS1_14partition_implILS8_3ELb0ES6_jNS0_17counting_iteratorIjlEEPS9_SE_NS0_5tupleIJPjSE_EEENSF_IJSE_SE_EEES9_SG_JZNS1_25segmented_radix_sort_implINS0_14default_configELb0EPKbPbPKlPlN2at6native12_GLOBAL__N_18offset_tEEE10hipError_tPvRmT1_PNSt15iterator_traitsISY_E10value_typeET2_T3_PNSZ_IS14_E10value_typeET4_jRbjT5_S1A_jjP12ihipStream_tbEUljE_EEESV_SW_SX_S14_S18_S1A_T6_T7_T9_mT8_S1C_bDpT10_ENKUlT_T0_E_clISt17integral_constantIbLb0EES1P_EEDaS1K_S1L_EUlS1K_E_NS1_11comp_targetILNS1_3genE9ELNS1_11target_archE1100ELNS1_3gpuE3ELNS1_3repE0EEENS1_30default_config_static_selectorELNS0_4arch9wavefront6targetE0EEEvSY_: ; @_ZN7rocprim17ROCPRIM_400000_NS6detail17trampoline_kernelINS0_13select_configILj256ELj13ELNS0_17block_load_methodE3ELS4_3ELS4_3ELNS0_20block_scan_algorithmE0ELj4294967295EEENS1_25partition_config_selectorILNS1_17partition_subalgoE3EjNS0_10empty_typeEbEEZZNS1_14partition_implILS8_3ELb0ES6_jNS0_17counting_iteratorIjlEEPS9_SE_NS0_5tupleIJPjSE_EEENSF_IJSE_SE_EEES9_SG_JZNS1_25segmented_radix_sort_implINS0_14default_configELb0EPKbPbPKlPlN2at6native12_GLOBAL__N_18offset_tEEE10hipError_tPvRmT1_PNSt15iterator_traitsISY_E10value_typeET2_T3_PNSZ_IS14_E10value_typeET4_jRbjT5_S1A_jjP12ihipStream_tbEUljE_EEESV_SW_SX_S14_S18_S1A_T6_T7_T9_mT8_S1C_bDpT10_ENKUlT_T0_E_clISt17integral_constantIbLb0EES1P_EEDaS1K_S1L_EUlS1K_E_NS1_11comp_targetILNS1_3genE9ELNS1_11target_archE1100ELNS1_3gpuE3ELNS1_3repE0EEENS1_30default_config_static_selectorELNS0_4arch9wavefront6targetE0EEEvSY_
; %bb.0:
	.section	.rodata,"a",@progbits
	.p2align	6, 0x0
	.amdhsa_kernel _ZN7rocprim17ROCPRIM_400000_NS6detail17trampoline_kernelINS0_13select_configILj256ELj13ELNS0_17block_load_methodE3ELS4_3ELS4_3ELNS0_20block_scan_algorithmE0ELj4294967295EEENS1_25partition_config_selectorILNS1_17partition_subalgoE3EjNS0_10empty_typeEbEEZZNS1_14partition_implILS8_3ELb0ES6_jNS0_17counting_iteratorIjlEEPS9_SE_NS0_5tupleIJPjSE_EEENSF_IJSE_SE_EEES9_SG_JZNS1_25segmented_radix_sort_implINS0_14default_configELb0EPKbPbPKlPlN2at6native12_GLOBAL__N_18offset_tEEE10hipError_tPvRmT1_PNSt15iterator_traitsISY_E10value_typeET2_T3_PNSZ_IS14_E10value_typeET4_jRbjT5_S1A_jjP12ihipStream_tbEUljE_EEESV_SW_SX_S14_S18_S1A_T6_T7_T9_mT8_S1C_bDpT10_ENKUlT_T0_E_clISt17integral_constantIbLb0EES1P_EEDaS1K_S1L_EUlS1K_E_NS1_11comp_targetILNS1_3genE9ELNS1_11target_archE1100ELNS1_3gpuE3ELNS1_3repE0EEENS1_30default_config_static_selectorELNS0_4arch9wavefront6targetE0EEEvSY_
		.amdhsa_group_segment_fixed_size 0
		.amdhsa_private_segment_fixed_size 0
		.amdhsa_kernarg_size 144
		.amdhsa_user_sgpr_count 2
		.amdhsa_user_sgpr_dispatch_ptr 0
		.amdhsa_user_sgpr_queue_ptr 0
		.amdhsa_user_sgpr_kernarg_segment_ptr 1
		.amdhsa_user_sgpr_dispatch_id 0
		.amdhsa_user_sgpr_kernarg_preload_length 0
		.amdhsa_user_sgpr_kernarg_preload_offset 0
		.amdhsa_user_sgpr_private_segment_size 0
		.amdhsa_wavefront_size32 1
		.amdhsa_uses_dynamic_stack 0
		.amdhsa_enable_private_segment 0
		.amdhsa_system_sgpr_workgroup_id_x 1
		.amdhsa_system_sgpr_workgroup_id_y 0
		.amdhsa_system_sgpr_workgroup_id_z 0
		.amdhsa_system_sgpr_workgroup_info 0
		.amdhsa_system_vgpr_workitem_id 0
		.amdhsa_next_free_vgpr 1
		.amdhsa_next_free_sgpr 1
		.amdhsa_named_barrier_count 0
		.amdhsa_reserve_vcc 0
		.amdhsa_float_round_mode_32 0
		.amdhsa_float_round_mode_16_64 0
		.amdhsa_float_denorm_mode_32 3
		.amdhsa_float_denorm_mode_16_64 3
		.amdhsa_fp16_overflow 0
		.amdhsa_memory_ordered 1
		.amdhsa_forward_progress 1
		.amdhsa_inst_pref_size 0
		.amdhsa_round_robin_scheduling 0
		.amdhsa_exception_fp_ieee_invalid_op 0
		.amdhsa_exception_fp_denorm_src 0
		.amdhsa_exception_fp_ieee_div_zero 0
		.amdhsa_exception_fp_ieee_overflow 0
		.amdhsa_exception_fp_ieee_underflow 0
		.amdhsa_exception_fp_ieee_inexact 0
		.amdhsa_exception_int_div_zero 0
	.end_amdhsa_kernel
	.section	.text._ZN7rocprim17ROCPRIM_400000_NS6detail17trampoline_kernelINS0_13select_configILj256ELj13ELNS0_17block_load_methodE3ELS4_3ELS4_3ELNS0_20block_scan_algorithmE0ELj4294967295EEENS1_25partition_config_selectorILNS1_17partition_subalgoE3EjNS0_10empty_typeEbEEZZNS1_14partition_implILS8_3ELb0ES6_jNS0_17counting_iteratorIjlEEPS9_SE_NS0_5tupleIJPjSE_EEENSF_IJSE_SE_EEES9_SG_JZNS1_25segmented_radix_sort_implINS0_14default_configELb0EPKbPbPKlPlN2at6native12_GLOBAL__N_18offset_tEEE10hipError_tPvRmT1_PNSt15iterator_traitsISY_E10value_typeET2_T3_PNSZ_IS14_E10value_typeET4_jRbjT5_S1A_jjP12ihipStream_tbEUljE_EEESV_SW_SX_S14_S18_S1A_T6_T7_T9_mT8_S1C_bDpT10_ENKUlT_T0_E_clISt17integral_constantIbLb0EES1P_EEDaS1K_S1L_EUlS1K_E_NS1_11comp_targetILNS1_3genE9ELNS1_11target_archE1100ELNS1_3gpuE3ELNS1_3repE0EEENS1_30default_config_static_selectorELNS0_4arch9wavefront6targetE0EEEvSY_,"axG",@progbits,_ZN7rocprim17ROCPRIM_400000_NS6detail17trampoline_kernelINS0_13select_configILj256ELj13ELNS0_17block_load_methodE3ELS4_3ELS4_3ELNS0_20block_scan_algorithmE0ELj4294967295EEENS1_25partition_config_selectorILNS1_17partition_subalgoE3EjNS0_10empty_typeEbEEZZNS1_14partition_implILS8_3ELb0ES6_jNS0_17counting_iteratorIjlEEPS9_SE_NS0_5tupleIJPjSE_EEENSF_IJSE_SE_EEES9_SG_JZNS1_25segmented_radix_sort_implINS0_14default_configELb0EPKbPbPKlPlN2at6native12_GLOBAL__N_18offset_tEEE10hipError_tPvRmT1_PNSt15iterator_traitsISY_E10value_typeET2_T3_PNSZ_IS14_E10value_typeET4_jRbjT5_S1A_jjP12ihipStream_tbEUljE_EEESV_SW_SX_S14_S18_S1A_T6_T7_T9_mT8_S1C_bDpT10_ENKUlT_T0_E_clISt17integral_constantIbLb0EES1P_EEDaS1K_S1L_EUlS1K_E_NS1_11comp_targetILNS1_3genE9ELNS1_11target_archE1100ELNS1_3gpuE3ELNS1_3repE0EEENS1_30default_config_static_selectorELNS0_4arch9wavefront6targetE0EEEvSY_,comdat
.Lfunc_end1600:
	.size	_ZN7rocprim17ROCPRIM_400000_NS6detail17trampoline_kernelINS0_13select_configILj256ELj13ELNS0_17block_load_methodE3ELS4_3ELS4_3ELNS0_20block_scan_algorithmE0ELj4294967295EEENS1_25partition_config_selectorILNS1_17partition_subalgoE3EjNS0_10empty_typeEbEEZZNS1_14partition_implILS8_3ELb0ES6_jNS0_17counting_iteratorIjlEEPS9_SE_NS0_5tupleIJPjSE_EEENSF_IJSE_SE_EEES9_SG_JZNS1_25segmented_radix_sort_implINS0_14default_configELb0EPKbPbPKlPlN2at6native12_GLOBAL__N_18offset_tEEE10hipError_tPvRmT1_PNSt15iterator_traitsISY_E10value_typeET2_T3_PNSZ_IS14_E10value_typeET4_jRbjT5_S1A_jjP12ihipStream_tbEUljE_EEESV_SW_SX_S14_S18_S1A_T6_T7_T9_mT8_S1C_bDpT10_ENKUlT_T0_E_clISt17integral_constantIbLb0EES1P_EEDaS1K_S1L_EUlS1K_E_NS1_11comp_targetILNS1_3genE9ELNS1_11target_archE1100ELNS1_3gpuE3ELNS1_3repE0EEENS1_30default_config_static_selectorELNS0_4arch9wavefront6targetE0EEEvSY_, .Lfunc_end1600-_ZN7rocprim17ROCPRIM_400000_NS6detail17trampoline_kernelINS0_13select_configILj256ELj13ELNS0_17block_load_methodE3ELS4_3ELS4_3ELNS0_20block_scan_algorithmE0ELj4294967295EEENS1_25partition_config_selectorILNS1_17partition_subalgoE3EjNS0_10empty_typeEbEEZZNS1_14partition_implILS8_3ELb0ES6_jNS0_17counting_iteratorIjlEEPS9_SE_NS0_5tupleIJPjSE_EEENSF_IJSE_SE_EEES9_SG_JZNS1_25segmented_radix_sort_implINS0_14default_configELb0EPKbPbPKlPlN2at6native12_GLOBAL__N_18offset_tEEE10hipError_tPvRmT1_PNSt15iterator_traitsISY_E10value_typeET2_T3_PNSZ_IS14_E10value_typeET4_jRbjT5_S1A_jjP12ihipStream_tbEUljE_EEESV_SW_SX_S14_S18_S1A_T6_T7_T9_mT8_S1C_bDpT10_ENKUlT_T0_E_clISt17integral_constantIbLb0EES1P_EEDaS1K_S1L_EUlS1K_E_NS1_11comp_targetILNS1_3genE9ELNS1_11target_archE1100ELNS1_3gpuE3ELNS1_3repE0EEENS1_30default_config_static_selectorELNS0_4arch9wavefront6targetE0EEEvSY_
                                        ; -- End function
	.set _ZN7rocprim17ROCPRIM_400000_NS6detail17trampoline_kernelINS0_13select_configILj256ELj13ELNS0_17block_load_methodE3ELS4_3ELS4_3ELNS0_20block_scan_algorithmE0ELj4294967295EEENS1_25partition_config_selectorILNS1_17partition_subalgoE3EjNS0_10empty_typeEbEEZZNS1_14partition_implILS8_3ELb0ES6_jNS0_17counting_iteratorIjlEEPS9_SE_NS0_5tupleIJPjSE_EEENSF_IJSE_SE_EEES9_SG_JZNS1_25segmented_radix_sort_implINS0_14default_configELb0EPKbPbPKlPlN2at6native12_GLOBAL__N_18offset_tEEE10hipError_tPvRmT1_PNSt15iterator_traitsISY_E10value_typeET2_T3_PNSZ_IS14_E10value_typeET4_jRbjT5_S1A_jjP12ihipStream_tbEUljE_EEESV_SW_SX_S14_S18_S1A_T6_T7_T9_mT8_S1C_bDpT10_ENKUlT_T0_E_clISt17integral_constantIbLb0EES1P_EEDaS1K_S1L_EUlS1K_E_NS1_11comp_targetILNS1_3genE9ELNS1_11target_archE1100ELNS1_3gpuE3ELNS1_3repE0EEENS1_30default_config_static_selectorELNS0_4arch9wavefront6targetE0EEEvSY_.num_vgpr, 0
	.set _ZN7rocprim17ROCPRIM_400000_NS6detail17trampoline_kernelINS0_13select_configILj256ELj13ELNS0_17block_load_methodE3ELS4_3ELS4_3ELNS0_20block_scan_algorithmE0ELj4294967295EEENS1_25partition_config_selectorILNS1_17partition_subalgoE3EjNS0_10empty_typeEbEEZZNS1_14partition_implILS8_3ELb0ES6_jNS0_17counting_iteratorIjlEEPS9_SE_NS0_5tupleIJPjSE_EEENSF_IJSE_SE_EEES9_SG_JZNS1_25segmented_radix_sort_implINS0_14default_configELb0EPKbPbPKlPlN2at6native12_GLOBAL__N_18offset_tEEE10hipError_tPvRmT1_PNSt15iterator_traitsISY_E10value_typeET2_T3_PNSZ_IS14_E10value_typeET4_jRbjT5_S1A_jjP12ihipStream_tbEUljE_EEESV_SW_SX_S14_S18_S1A_T6_T7_T9_mT8_S1C_bDpT10_ENKUlT_T0_E_clISt17integral_constantIbLb0EES1P_EEDaS1K_S1L_EUlS1K_E_NS1_11comp_targetILNS1_3genE9ELNS1_11target_archE1100ELNS1_3gpuE3ELNS1_3repE0EEENS1_30default_config_static_selectorELNS0_4arch9wavefront6targetE0EEEvSY_.num_agpr, 0
	.set _ZN7rocprim17ROCPRIM_400000_NS6detail17trampoline_kernelINS0_13select_configILj256ELj13ELNS0_17block_load_methodE3ELS4_3ELS4_3ELNS0_20block_scan_algorithmE0ELj4294967295EEENS1_25partition_config_selectorILNS1_17partition_subalgoE3EjNS0_10empty_typeEbEEZZNS1_14partition_implILS8_3ELb0ES6_jNS0_17counting_iteratorIjlEEPS9_SE_NS0_5tupleIJPjSE_EEENSF_IJSE_SE_EEES9_SG_JZNS1_25segmented_radix_sort_implINS0_14default_configELb0EPKbPbPKlPlN2at6native12_GLOBAL__N_18offset_tEEE10hipError_tPvRmT1_PNSt15iterator_traitsISY_E10value_typeET2_T3_PNSZ_IS14_E10value_typeET4_jRbjT5_S1A_jjP12ihipStream_tbEUljE_EEESV_SW_SX_S14_S18_S1A_T6_T7_T9_mT8_S1C_bDpT10_ENKUlT_T0_E_clISt17integral_constantIbLb0EES1P_EEDaS1K_S1L_EUlS1K_E_NS1_11comp_targetILNS1_3genE9ELNS1_11target_archE1100ELNS1_3gpuE3ELNS1_3repE0EEENS1_30default_config_static_selectorELNS0_4arch9wavefront6targetE0EEEvSY_.numbered_sgpr, 0
	.set _ZN7rocprim17ROCPRIM_400000_NS6detail17trampoline_kernelINS0_13select_configILj256ELj13ELNS0_17block_load_methodE3ELS4_3ELS4_3ELNS0_20block_scan_algorithmE0ELj4294967295EEENS1_25partition_config_selectorILNS1_17partition_subalgoE3EjNS0_10empty_typeEbEEZZNS1_14partition_implILS8_3ELb0ES6_jNS0_17counting_iteratorIjlEEPS9_SE_NS0_5tupleIJPjSE_EEENSF_IJSE_SE_EEES9_SG_JZNS1_25segmented_radix_sort_implINS0_14default_configELb0EPKbPbPKlPlN2at6native12_GLOBAL__N_18offset_tEEE10hipError_tPvRmT1_PNSt15iterator_traitsISY_E10value_typeET2_T3_PNSZ_IS14_E10value_typeET4_jRbjT5_S1A_jjP12ihipStream_tbEUljE_EEESV_SW_SX_S14_S18_S1A_T6_T7_T9_mT8_S1C_bDpT10_ENKUlT_T0_E_clISt17integral_constantIbLb0EES1P_EEDaS1K_S1L_EUlS1K_E_NS1_11comp_targetILNS1_3genE9ELNS1_11target_archE1100ELNS1_3gpuE3ELNS1_3repE0EEENS1_30default_config_static_selectorELNS0_4arch9wavefront6targetE0EEEvSY_.num_named_barrier, 0
	.set _ZN7rocprim17ROCPRIM_400000_NS6detail17trampoline_kernelINS0_13select_configILj256ELj13ELNS0_17block_load_methodE3ELS4_3ELS4_3ELNS0_20block_scan_algorithmE0ELj4294967295EEENS1_25partition_config_selectorILNS1_17partition_subalgoE3EjNS0_10empty_typeEbEEZZNS1_14partition_implILS8_3ELb0ES6_jNS0_17counting_iteratorIjlEEPS9_SE_NS0_5tupleIJPjSE_EEENSF_IJSE_SE_EEES9_SG_JZNS1_25segmented_radix_sort_implINS0_14default_configELb0EPKbPbPKlPlN2at6native12_GLOBAL__N_18offset_tEEE10hipError_tPvRmT1_PNSt15iterator_traitsISY_E10value_typeET2_T3_PNSZ_IS14_E10value_typeET4_jRbjT5_S1A_jjP12ihipStream_tbEUljE_EEESV_SW_SX_S14_S18_S1A_T6_T7_T9_mT8_S1C_bDpT10_ENKUlT_T0_E_clISt17integral_constantIbLb0EES1P_EEDaS1K_S1L_EUlS1K_E_NS1_11comp_targetILNS1_3genE9ELNS1_11target_archE1100ELNS1_3gpuE3ELNS1_3repE0EEENS1_30default_config_static_selectorELNS0_4arch9wavefront6targetE0EEEvSY_.private_seg_size, 0
	.set _ZN7rocprim17ROCPRIM_400000_NS6detail17trampoline_kernelINS0_13select_configILj256ELj13ELNS0_17block_load_methodE3ELS4_3ELS4_3ELNS0_20block_scan_algorithmE0ELj4294967295EEENS1_25partition_config_selectorILNS1_17partition_subalgoE3EjNS0_10empty_typeEbEEZZNS1_14partition_implILS8_3ELb0ES6_jNS0_17counting_iteratorIjlEEPS9_SE_NS0_5tupleIJPjSE_EEENSF_IJSE_SE_EEES9_SG_JZNS1_25segmented_radix_sort_implINS0_14default_configELb0EPKbPbPKlPlN2at6native12_GLOBAL__N_18offset_tEEE10hipError_tPvRmT1_PNSt15iterator_traitsISY_E10value_typeET2_T3_PNSZ_IS14_E10value_typeET4_jRbjT5_S1A_jjP12ihipStream_tbEUljE_EEESV_SW_SX_S14_S18_S1A_T6_T7_T9_mT8_S1C_bDpT10_ENKUlT_T0_E_clISt17integral_constantIbLb0EES1P_EEDaS1K_S1L_EUlS1K_E_NS1_11comp_targetILNS1_3genE9ELNS1_11target_archE1100ELNS1_3gpuE3ELNS1_3repE0EEENS1_30default_config_static_selectorELNS0_4arch9wavefront6targetE0EEEvSY_.uses_vcc, 0
	.set _ZN7rocprim17ROCPRIM_400000_NS6detail17trampoline_kernelINS0_13select_configILj256ELj13ELNS0_17block_load_methodE3ELS4_3ELS4_3ELNS0_20block_scan_algorithmE0ELj4294967295EEENS1_25partition_config_selectorILNS1_17partition_subalgoE3EjNS0_10empty_typeEbEEZZNS1_14partition_implILS8_3ELb0ES6_jNS0_17counting_iteratorIjlEEPS9_SE_NS0_5tupleIJPjSE_EEENSF_IJSE_SE_EEES9_SG_JZNS1_25segmented_radix_sort_implINS0_14default_configELb0EPKbPbPKlPlN2at6native12_GLOBAL__N_18offset_tEEE10hipError_tPvRmT1_PNSt15iterator_traitsISY_E10value_typeET2_T3_PNSZ_IS14_E10value_typeET4_jRbjT5_S1A_jjP12ihipStream_tbEUljE_EEESV_SW_SX_S14_S18_S1A_T6_T7_T9_mT8_S1C_bDpT10_ENKUlT_T0_E_clISt17integral_constantIbLb0EES1P_EEDaS1K_S1L_EUlS1K_E_NS1_11comp_targetILNS1_3genE9ELNS1_11target_archE1100ELNS1_3gpuE3ELNS1_3repE0EEENS1_30default_config_static_selectorELNS0_4arch9wavefront6targetE0EEEvSY_.uses_flat_scratch, 0
	.set _ZN7rocprim17ROCPRIM_400000_NS6detail17trampoline_kernelINS0_13select_configILj256ELj13ELNS0_17block_load_methodE3ELS4_3ELS4_3ELNS0_20block_scan_algorithmE0ELj4294967295EEENS1_25partition_config_selectorILNS1_17partition_subalgoE3EjNS0_10empty_typeEbEEZZNS1_14partition_implILS8_3ELb0ES6_jNS0_17counting_iteratorIjlEEPS9_SE_NS0_5tupleIJPjSE_EEENSF_IJSE_SE_EEES9_SG_JZNS1_25segmented_radix_sort_implINS0_14default_configELb0EPKbPbPKlPlN2at6native12_GLOBAL__N_18offset_tEEE10hipError_tPvRmT1_PNSt15iterator_traitsISY_E10value_typeET2_T3_PNSZ_IS14_E10value_typeET4_jRbjT5_S1A_jjP12ihipStream_tbEUljE_EEESV_SW_SX_S14_S18_S1A_T6_T7_T9_mT8_S1C_bDpT10_ENKUlT_T0_E_clISt17integral_constantIbLb0EES1P_EEDaS1K_S1L_EUlS1K_E_NS1_11comp_targetILNS1_3genE9ELNS1_11target_archE1100ELNS1_3gpuE3ELNS1_3repE0EEENS1_30default_config_static_selectorELNS0_4arch9wavefront6targetE0EEEvSY_.has_dyn_sized_stack, 0
	.set _ZN7rocprim17ROCPRIM_400000_NS6detail17trampoline_kernelINS0_13select_configILj256ELj13ELNS0_17block_load_methodE3ELS4_3ELS4_3ELNS0_20block_scan_algorithmE0ELj4294967295EEENS1_25partition_config_selectorILNS1_17partition_subalgoE3EjNS0_10empty_typeEbEEZZNS1_14partition_implILS8_3ELb0ES6_jNS0_17counting_iteratorIjlEEPS9_SE_NS0_5tupleIJPjSE_EEENSF_IJSE_SE_EEES9_SG_JZNS1_25segmented_radix_sort_implINS0_14default_configELb0EPKbPbPKlPlN2at6native12_GLOBAL__N_18offset_tEEE10hipError_tPvRmT1_PNSt15iterator_traitsISY_E10value_typeET2_T3_PNSZ_IS14_E10value_typeET4_jRbjT5_S1A_jjP12ihipStream_tbEUljE_EEESV_SW_SX_S14_S18_S1A_T6_T7_T9_mT8_S1C_bDpT10_ENKUlT_T0_E_clISt17integral_constantIbLb0EES1P_EEDaS1K_S1L_EUlS1K_E_NS1_11comp_targetILNS1_3genE9ELNS1_11target_archE1100ELNS1_3gpuE3ELNS1_3repE0EEENS1_30default_config_static_selectorELNS0_4arch9wavefront6targetE0EEEvSY_.has_recursion, 0
	.set _ZN7rocprim17ROCPRIM_400000_NS6detail17trampoline_kernelINS0_13select_configILj256ELj13ELNS0_17block_load_methodE3ELS4_3ELS4_3ELNS0_20block_scan_algorithmE0ELj4294967295EEENS1_25partition_config_selectorILNS1_17partition_subalgoE3EjNS0_10empty_typeEbEEZZNS1_14partition_implILS8_3ELb0ES6_jNS0_17counting_iteratorIjlEEPS9_SE_NS0_5tupleIJPjSE_EEENSF_IJSE_SE_EEES9_SG_JZNS1_25segmented_radix_sort_implINS0_14default_configELb0EPKbPbPKlPlN2at6native12_GLOBAL__N_18offset_tEEE10hipError_tPvRmT1_PNSt15iterator_traitsISY_E10value_typeET2_T3_PNSZ_IS14_E10value_typeET4_jRbjT5_S1A_jjP12ihipStream_tbEUljE_EEESV_SW_SX_S14_S18_S1A_T6_T7_T9_mT8_S1C_bDpT10_ENKUlT_T0_E_clISt17integral_constantIbLb0EES1P_EEDaS1K_S1L_EUlS1K_E_NS1_11comp_targetILNS1_3genE9ELNS1_11target_archE1100ELNS1_3gpuE3ELNS1_3repE0EEENS1_30default_config_static_selectorELNS0_4arch9wavefront6targetE0EEEvSY_.has_indirect_call, 0
	.section	.AMDGPU.csdata,"",@progbits
; Kernel info:
; codeLenInByte = 0
; TotalNumSgprs: 0
; NumVgprs: 0
; ScratchSize: 0
; MemoryBound: 0
; FloatMode: 240
; IeeeMode: 1
; LDSByteSize: 0 bytes/workgroup (compile time only)
; SGPRBlocks: 0
; VGPRBlocks: 0
; NumSGPRsForWavesPerEU: 1
; NumVGPRsForWavesPerEU: 1
; NamedBarCnt: 0
; Occupancy: 16
; WaveLimiterHint : 0
; COMPUTE_PGM_RSRC2:SCRATCH_EN: 0
; COMPUTE_PGM_RSRC2:USER_SGPR: 2
; COMPUTE_PGM_RSRC2:TRAP_HANDLER: 0
; COMPUTE_PGM_RSRC2:TGID_X_EN: 1
; COMPUTE_PGM_RSRC2:TGID_Y_EN: 0
; COMPUTE_PGM_RSRC2:TGID_Z_EN: 0
; COMPUTE_PGM_RSRC2:TIDIG_COMP_CNT: 0
	.section	.text._ZN7rocprim17ROCPRIM_400000_NS6detail17trampoline_kernelINS0_13select_configILj256ELj13ELNS0_17block_load_methodE3ELS4_3ELS4_3ELNS0_20block_scan_algorithmE0ELj4294967295EEENS1_25partition_config_selectorILNS1_17partition_subalgoE3EjNS0_10empty_typeEbEEZZNS1_14partition_implILS8_3ELb0ES6_jNS0_17counting_iteratorIjlEEPS9_SE_NS0_5tupleIJPjSE_EEENSF_IJSE_SE_EEES9_SG_JZNS1_25segmented_radix_sort_implINS0_14default_configELb0EPKbPbPKlPlN2at6native12_GLOBAL__N_18offset_tEEE10hipError_tPvRmT1_PNSt15iterator_traitsISY_E10value_typeET2_T3_PNSZ_IS14_E10value_typeET4_jRbjT5_S1A_jjP12ihipStream_tbEUljE_EEESV_SW_SX_S14_S18_S1A_T6_T7_T9_mT8_S1C_bDpT10_ENKUlT_T0_E_clISt17integral_constantIbLb0EES1P_EEDaS1K_S1L_EUlS1K_E_NS1_11comp_targetILNS1_3genE8ELNS1_11target_archE1030ELNS1_3gpuE2ELNS1_3repE0EEENS1_30default_config_static_selectorELNS0_4arch9wavefront6targetE0EEEvSY_,"axG",@progbits,_ZN7rocprim17ROCPRIM_400000_NS6detail17trampoline_kernelINS0_13select_configILj256ELj13ELNS0_17block_load_methodE3ELS4_3ELS4_3ELNS0_20block_scan_algorithmE0ELj4294967295EEENS1_25partition_config_selectorILNS1_17partition_subalgoE3EjNS0_10empty_typeEbEEZZNS1_14partition_implILS8_3ELb0ES6_jNS0_17counting_iteratorIjlEEPS9_SE_NS0_5tupleIJPjSE_EEENSF_IJSE_SE_EEES9_SG_JZNS1_25segmented_radix_sort_implINS0_14default_configELb0EPKbPbPKlPlN2at6native12_GLOBAL__N_18offset_tEEE10hipError_tPvRmT1_PNSt15iterator_traitsISY_E10value_typeET2_T3_PNSZ_IS14_E10value_typeET4_jRbjT5_S1A_jjP12ihipStream_tbEUljE_EEESV_SW_SX_S14_S18_S1A_T6_T7_T9_mT8_S1C_bDpT10_ENKUlT_T0_E_clISt17integral_constantIbLb0EES1P_EEDaS1K_S1L_EUlS1K_E_NS1_11comp_targetILNS1_3genE8ELNS1_11target_archE1030ELNS1_3gpuE2ELNS1_3repE0EEENS1_30default_config_static_selectorELNS0_4arch9wavefront6targetE0EEEvSY_,comdat
	.globl	_ZN7rocprim17ROCPRIM_400000_NS6detail17trampoline_kernelINS0_13select_configILj256ELj13ELNS0_17block_load_methodE3ELS4_3ELS4_3ELNS0_20block_scan_algorithmE0ELj4294967295EEENS1_25partition_config_selectorILNS1_17partition_subalgoE3EjNS0_10empty_typeEbEEZZNS1_14partition_implILS8_3ELb0ES6_jNS0_17counting_iteratorIjlEEPS9_SE_NS0_5tupleIJPjSE_EEENSF_IJSE_SE_EEES9_SG_JZNS1_25segmented_radix_sort_implINS0_14default_configELb0EPKbPbPKlPlN2at6native12_GLOBAL__N_18offset_tEEE10hipError_tPvRmT1_PNSt15iterator_traitsISY_E10value_typeET2_T3_PNSZ_IS14_E10value_typeET4_jRbjT5_S1A_jjP12ihipStream_tbEUljE_EEESV_SW_SX_S14_S18_S1A_T6_T7_T9_mT8_S1C_bDpT10_ENKUlT_T0_E_clISt17integral_constantIbLb0EES1P_EEDaS1K_S1L_EUlS1K_E_NS1_11comp_targetILNS1_3genE8ELNS1_11target_archE1030ELNS1_3gpuE2ELNS1_3repE0EEENS1_30default_config_static_selectorELNS0_4arch9wavefront6targetE0EEEvSY_ ; -- Begin function _ZN7rocprim17ROCPRIM_400000_NS6detail17trampoline_kernelINS0_13select_configILj256ELj13ELNS0_17block_load_methodE3ELS4_3ELS4_3ELNS0_20block_scan_algorithmE0ELj4294967295EEENS1_25partition_config_selectorILNS1_17partition_subalgoE3EjNS0_10empty_typeEbEEZZNS1_14partition_implILS8_3ELb0ES6_jNS0_17counting_iteratorIjlEEPS9_SE_NS0_5tupleIJPjSE_EEENSF_IJSE_SE_EEES9_SG_JZNS1_25segmented_radix_sort_implINS0_14default_configELb0EPKbPbPKlPlN2at6native12_GLOBAL__N_18offset_tEEE10hipError_tPvRmT1_PNSt15iterator_traitsISY_E10value_typeET2_T3_PNSZ_IS14_E10value_typeET4_jRbjT5_S1A_jjP12ihipStream_tbEUljE_EEESV_SW_SX_S14_S18_S1A_T6_T7_T9_mT8_S1C_bDpT10_ENKUlT_T0_E_clISt17integral_constantIbLb0EES1P_EEDaS1K_S1L_EUlS1K_E_NS1_11comp_targetILNS1_3genE8ELNS1_11target_archE1030ELNS1_3gpuE2ELNS1_3repE0EEENS1_30default_config_static_selectorELNS0_4arch9wavefront6targetE0EEEvSY_
	.p2align	8
	.type	_ZN7rocprim17ROCPRIM_400000_NS6detail17trampoline_kernelINS0_13select_configILj256ELj13ELNS0_17block_load_methodE3ELS4_3ELS4_3ELNS0_20block_scan_algorithmE0ELj4294967295EEENS1_25partition_config_selectorILNS1_17partition_subalgoE3EjNS0_10empty_typeEbEEZZNS1_14partition_implILS8_3ELb0ES6_jNS0_17counting_iteratorIjlEEPS9_SE_NS0_5tupleIJPjSE_EEENSF_IJSE_SE_EEES9_SG_JZNS1_25segmented_radix_sort_implINS0_14default_configELb0EPKbPbPKlPlN2at6native12_GLOBAL__N_18offset_tEEE10hipError_tPvRmT1_PNSt15iterator_traitsISY_E10value_typeET2_T3_PNSZ_IS14_E10value_typeET4_jRbjT5_S1A_jjP12ihipStream_tbEUljE_EEESV_SW_SX_S14_S18_S1A_T6_T7_T9_mT8_S1C_bDpT10_ENKUlT_T0_E_clISt17integral_constantIbLb0EES1P_EEDaS1K_S1L_EUlS1K_E_NS1_11comp_targetILNS1_3genE8ELNS1_11target_archE1030ELNS1_3gpuE2ELNS1_3repE0EEENS1_30default_config_static_selectorELNS0_4arch9wavefront6targetE0EEEvSY_,@function
_ZN7rocprim17ROCPRIM_400000_NS6detail17trampoline_kernelINS0_13select_configILj256ELj13ELNS0_17block_load_methodE3ELS4_3ELS4_3ELNS0_20block_scan_algorithmE0ELj4294967295EEENS1_25partition_config_selectorILNS1_17partition_subalgoE3EjNS0_10empty_typeEbEEZZNS1_14partition_implILS8_3ELb0ES6_jNS0_17counting_iteratorIjlEEPS9_SE_NS0_5tupleIJPjSE_EEENSF_IJSE_SE_EEES9_SG_JZNS1_25segmented_radix_sort_implINS0_14default_configELb0EPKbPbPKlPlN2at6native12_GLOBAL__N_18offset_tEEE10hipError_tPvRmT1_PNSt15iterator_traitsISY_E10value_typeET2_T3_PNSZ_IS14_E10value_typeET4_jRbjT5_S1A_jjP12ihipStream_tbEUljE_EEESV_SW_SX_S14_S18_S1A_T6_T7_T9_mT8_S1C_bDpT10_ENKUlT_T0_E_clISt17integral_constantIbLb0EES1P_EEDaS1K_S1L_EUlS1K_E_NS1_11comp_targetILNS1_3genE8ELNS1_11target_archE1030ELNS1_3gpuE2ELNS1_3repE0EEENS1_30default_config_static_selectorELNS0_4arch9wavefront6targetE0EEEvSY_: ; @_ZN7rocprim17ROCPRIM_400000_NS6detail17trampoline_kernelINS0_13select_configILj256ELj13ELNS0_17block_load_methodE3ELS4_3ELS4_3ELNS0_20block_scan_algorithmE0ELj4294967295EEENS1_25partition_config_selectorILNS1_17partition_subalgoE3EjNS0_10empty_typeEbEEZZNS1_14partition_implILS8_3ELb0ES6_jNS0_17counting_iteratorIjlEEPS9_SE_NS0_5tupleIJPjSE_EEENSF_IJSE_SE_EEES9_SG_JZNS1_25segmented_radix_sort_implINS0_14default_configELb0EPKbPbPKlPlN2at6native12_GLOBAL__N_18offset_tEEE10hipError_tPvRmT1_PNSt15iterator_traitsISY_E10value_typeET2_T3_PNSZ_IS14_E10value_typeET4_jRbjT5_S1A_jjP12ihipStream_tbEUljE_EEESV_SW_SX_S14_S18_S1A_T6_T7_T9_mT8_S1C_bDpT10_ENKUlT_T0_E_clISt17integral_constantIbLb0EES1P_EEDaS1K_S1L_EUlS1K_E_NS1_11comp_targetILNS1_3genE8ELNS1_11target_archE1030ELNS1_3gpuE2ELNS1_3repE0EEENS1_30default_config_static_selectorELNS0_4arch9wavefront6targetE0EEEvSY_
; %bb.0:
	.section	.rodata,"a",@progbits
	.p2align	6, 0x0
	.amdhsa_kernel _ZN7rocprim17ROCPRIM_400000_NS6detail17trampoline_kernelINS0_13select_configILj256ELj13ELNS0_17block_load_methodE3ELS4_3ELS4_3ELNS0_20block_scan_algorithmE0ELj4294967295EEENS1_25partition_config_selectorILNS1_17partition_subalgoE3EjNS0_10empty_typeEbEEZZNS1_14partition_implILS8_3ELb0ES6_jNS0_17counting_iteratorIjlEEPS9_SE_NS0_5tupleIJPjSE_EEENSF_IJSE_SE_EEES9_SG_JZNS1_25segmented_radix_sort_implINS0_14default_configELb0EPKbPbPKlPlN2at6native12_GLOBAL__N_18offset_tEEE10hipError_tPvRmT1_PNSt15iterator_traitsISY_E10value_typeET2_T3_PNSZ_IS14_E10value_typeET4_jRbjT5_S1A_jjP12ihipStream_tbEUljE_EEESV_SW_SX_S14_S18_S1A_T6_T7_T9_mT8_S1C_bDpT10_ENKUlT_T0_E_clISt17integral_constantIbLb0EES1P_EEDaS1K_S1L_EUlS1K_E_NS1_11comp_targetILNS1_3genE8ELNS1_11target_archE1030ELNS1_3gpuE2ELNS1_3repE0EEENS1_30default_config_static_selectorELNS0_4arch9wavefront6targetE0EEEvSY_
		.amdhsa_group_segment_fixed_size 0
		.amdhsa_private_segment_fixed_size 0
		.amdhsa_kernarg_size 144
		.amdhsa_user_sgpr_count 2
		.amdhsa_user_sgpr_dispatch_ptr 0
		.amdhsa_user_sgpr_queue_ptr 0
		.amdhsa_user_sgpr_kernarg_segment_ptr 1
		.amdhsa_user_sgpr_dispatch_id 0
		.amdhsa_user_sgpr_kernarg_preload_length 0
		.amdhsa_user_sgpr_kernarg_preload_offset 0
		.amdhsa_user_sgpr_private_segment_size 0
		.amdhsa_wavefront_size32 1
		.amdhsa_uses_dynamic_stack 0
		.amdhsa_enable_private_segment 0
		.amdhsa_system_sgpr_workgroup_id_x 1
		.amdhsa_system_sgpr_workgroup_id_y 0
		.amdhsa_system_sgpr_workgroup_id_z 0
		.amdhsa_system_sgpr_workgroup_info 0
		.amdhsa_system_vgpr_workitem_id 0
		.amdhsa_next_free_vgpr 1
		.amdhsa_next_free_sgpr 1
		.amdhsa_named_barrier_count 0
		.amdhsa_reserve_vcc 0
		.amdhsa_float_round_mode_32 0
		.amdhsa_float_round_mode_16_64 0
		.amdhsa_float_denorm_mode_32 3
		.amdhsa_float_denorm_mode_16_64 3
		.amdhsa_fp16_overflow 0
		.amdhsa_memory_ordered 1
		.amdhsa_forward_progress 1
		.amdhsa_inst_pref_size 0
		.amdhsa_round_robin_scheduling 0
		.amdhsa_exception_fp_ieee_invalid_op 0
		.amdhsa_exception_fp_denorm_src 0
		.amdhsa_exception_fp_ieee_div_zero 0
		.amdhsa_exception_fp_ieee_overflow 0
		.amdhsa_exception_fp_ieee_underflow 0
		.amdhsa_exception_fp_ieee_inexact 0
		.amdhsa_exception_int_div_zero 0
	.end_amdhsa_kernel
	.section	.text._ZN7rocprim17ROCPRIM_400000_NS6detail17trampoline_kernelINS0_13select_configILj256ELj13ELNS0_17block_load_methodE3ELS4_3ELS4_3ELNS0_20block_scan_algorithmE0ELj4294967295EEENS1_25partition_config_selectorILNS1_17partition_subalgoE3EjNS0_10empty_typeEbEEZZNS1_14partition_implILS8_3ELb0ES6_jNS0_17counting_iteratorIjlEEPS9_SE_NS0_5tupleIJPjSE_EEENSF_IJSE_SE_EEES9_SG_JZNS1_25segmented_radix_sort_implINS0_14default_configELb0EPKbPbPKlPlN2at6native12_GLOBAL__N_18offset_tEEE10hipError_tPvRmT1_PNSt15iterator_traitsISY_E10value_typeET2_T3_PNSZ_IS14_E10value_typeET4_jRbjT5_S1A_jjP12ihipStream_tbEUljE_EEESV_SW_SX_S14_S18_S1A_T6_T7_T9_mT8_S1C_bDpT10_ENKUlT_T0_E_clISt17integral_constantIbLb0EES1P_EEDaS1K_S1L_EUlS1K_E_NS1_11comp_targetILNS1_3genE8ELNS1_11target_archE1030ELNS1_3gpuE2ELNS1_3repE0EEENS1_30default_config_static_selectorELNS0_4arch9wavefront6targetE0EEEvSY_,"axG",@progbits,_ZN7rocprim17ROCPRIM_400000_NS6detail17trampoline_kernelINS0_13select_configILj256ELj13ELNS0_17block_load_methodE3ELS4_3ELS4_3ELNS0_20block_scan_algorithmE0ELj4294967295EEENS1_25partition_config_selectorILNS1_17partition_subalgoE3EjNS0_10empty_typeEbEEZZNS1_14partition_implILS8_3ELb0ES6_jNS0_17counting_iteratorIjlEEPS9_SE_NS0_5tupleIJPjSE_EEENSF_IJSE_SE_EEES9_SG_JZNS1_25segmented_radix_sort_implINS0_14default_configELb0EPKbPbPKlPlN2at6native12_GLOBAL__N_18offset_tEEE10hipError_tPvRmT1_PNSt15iterator_traitsISY_E10value_typeET2_T3_PNSZ_IS14_E10value_typeET4_jRbjT5_S1A_jjP12ihipStream_tbEUljE_EEESV_SW_SX_S14_S18_S1A_T6_T7_T9_mT8_S1C_bDpT10_ENKUlT_T0_E_clISt17integral_constantIbLb0EES1P_EEDaS1K_S1L_EUlS1K_E_NS1_11comp_targetILNS1_3genE8ELNS1_11target_archE1030ELNS1_3gpuE2ELNS1_3repE0EEENS1_30default_config_static_selectorELNS0_4arch9wavefront6targetE0EEEvSY_,comdat
.Lfunc_end1601:
	.size	_ZN7rocprim17ROCPRIM_400000_NS6detail17trampoline_kernelINS0_13select_configILj256ELj13ELNS0_17block_load_methodE3ELS4_3ELS4_3ELNS0_20block_scan_algorithmE0ELj4294967295EEENS1_25partition_config_selectorILNS1_17partition_subalgoE3EjNS0_10empty_typeEbEEZZNS1_14partition_implILS8_3ELb0ES6_jNS0_17counting_iteratorIjlEEPS9_SE_NS0_5tupleIJPjSE_EEENSF_IJSE_SE_EEES9_SG_JZNS1_25segmented_radix_sort_implINS0_14default_configELb0EPKbPbPKlPlN2at6native12_GLOBAL__N_18offset_tEEE10hipError_tPvRmT1_PNSt15iterator_traitsISY_E10value_typeET2_T3_PNSZ_IS14_E10value_typeET4_jRbjT5_S1A_jjP12ihipStream_tbEUljE_EEESV_SW_SX_S14_S18_S1A_T6_T7_T9_mT8_S1C_bDpT10_ENKUlT_T0_E_clISt17integral_constantIbLb0EES1P_EEDaS1K_S1L_EUlS1K_E_NS1_11comp_targetILNS1_3genE8ELNS1_11target_archE1030ELNS1_3gpuE2ELNS1_3repE0EEENS1_30default_config_static_selectorELNS0_4arch9wavefront6targetE0EEEvSY_, .Lfunc_end1601-_ZN7rocprim17ROCPRIM_400000_NS6detail17trampoline_kernelINS0_13select_configILj256ELj13ELNS0_17block_load_methodE3ELS4_3ELS4_3ELNS0_20block_scan_algorithmE0ELj4294967295EEENS1_25partition_config_selectorILNS1_17partition_subalgoE3EjNS0_10empty_typeEbEEZZNS1_14partition_implILS8_3ELb0ES6_jNS0_17counting_iteratorIjlEEPS9_SE_NS0_5tupleIJPjSE_EEENSF_IJSE_SE_EEES9_SG_JZNS1_25segmented_radix_sort_implINS0_14default_configELb0EPKbPbPKlPlN2at6native12_GLOBAL__N_18offset_tEEE10hipError_tPvRmT1_PNSt15iterator_traitsISY_E10value_typeET2_T3_PNSZ_IS14_E10value_typeET4_jRbjT5_S1A_jjP12ihipStream_tbEUljE_EEESV_SW_SX_S14_S18_S1A_T6_T7_T9_mT8_S1C_bDpT10_ENKUlT_T0_E_clISt17integral_constantIbLb0EES1P_EEDaS1K_S1L_EUlS1K_E_NS1_11comp_targetILNS1_3genE8ELNS1_11target_archE1030ELNS1_3gpuE2ELNS1_3repE0EEENS1_30default_config_static_selectorELNS0_4arch9wavefront6targetE0EEEvSY_
                                        ; -- End function
	.set _ZN7rocprim17ROCPRIM_400000_NS6detail17trampoline_kernelINS0_13select_configILj256ELj13ELNS0_17block_load_methodE3ELS4_3ELS4_3ELNS0_20block_scan_algorithmE0ELj4294967295EEENS1_25partition_config_selectorILNS1_17partition_subalgoE3EjNS0_10empty_typeEbEEZZNS1_14partition_implILS8_3ELb0ES6_jNS0_17counting_iteratorIjlEEPS9_SE_NS0_5tupleIJPjSE_EEENSF_IJSE_SE_EEES9_SG_JZNS1_25segmented_radix_sort_implINS0_14default_configELb0EPKbPbPKlPlN2at6native12_GLOBAL__N_18offset_tEEE10hipError_tPvRmT1_PNSt15iterator_traitsISY_E10value_typeET2_T3_PNSZ_IS14_E10value_typeET4_jRbjT5_S1A_jjP12ihipStream_tbEUljE_EEESV_SW_SX_S14_S18_S1A_T6_T7_T9_mT8_S1C_bDpT10_ENKUlT_T0_E_clISt17integral_constantIbLb0EES1P_EEDaS1K_S1L_EUlS1K_E_NS1_11comp_targetILNS1_3genE8ELNS1_11target_archE1030ELNS1_3gpuE2ELNS1_3repE0EEENS1_30default_config_static_selectorELNS0_4arch9wavefront6targetE0EEEvSY_.num_vgpr, 0
	.set _ZN7rocprim17ROCPRIM_400000_NS6detail17trampoline_kernelINS0_13select_configILj256ELj13ELNS0_17block_load_methodE3ELS4_3ELS4_3ELNS0_20block_scan_algorithmE0ELj4294967295EEENS1_25partition_config_selectorILNS1_17partition_subalgoE3EjNS0_10empty_typeEbEEZZNS1_14partition_implILS8_3ELb0ES6_jNS0_17counting_iteratorIjlEEPS9_SE_NS0_5tupleIJPjSE_EEENSF_IJSE_SE_EEES9_SG_JZNS1_25segmented_radix_sort_implINS0_14default_configELb0EPKbPbPKlPlN2at6native12_GLOBAL__N_18offset_tEEE10hipError_tPvRmT1_PNSt15iterator_traitsISY_E10value_typeET2_T3_PNSZ_IS14_E10value_typeET4_jRbjT5_S1A_jjP12ihipStream_tbEUljE_EEESV_SW_SX_S14_S18_S1A_T6_T7_T9_mT8_S1C_bDpT10_ENKUlT_T0_E_clISt17integral_constantIbLb0EES1P_EEDaS1K_S1L_EUlS1K_E_NS1_11comp_targetILNS1_3genE8ELNS1_11target_archE1030ELNS1_3gpuE2ELNS1_3repE0EEENS1_30default_config_static_selectorELNS0_4arch9wavefront6targetE0EEEvSY_.num_agpr, 0
	.set _ZN7rocprim17ROCPRIM_400000_NS6detail17trampoline_kernelINS0_13select_configILj256ELj13ELNS0_17block_load_methodE3ELS4_3ELS4_3ELNS0_20block_scan_algorithmE0ELj4294967295EEENS1_25partition_config_selectorILNS1_17partition_subalgoE3EjNS0_10empty_typeEbEEZZNS1_14partition_implILS8_3ELb0ES6_jNS0_17counting_iteratorIjlEEPS9_SE_NS0_5tupleIJPjSE_EEENSF_IJSE_SE_EEES9_SG_JZNS1_25segmented_radix_sort_implINS0_14default_configELb0EPKbPbPKlPlN2at6native12_GLOBAL__N_18offset_tEEE10hipError_tPvRmT1_PNSt15iterator_traitsISY_E10value_typeET2_T3_PNSZ_IS14_E10value_typeET4_jRbjT5_S1A_jjP12ihipStream_tbEUljE_EEESV_SW_SX_S14_S18_S1A_T6_T7_T9_mT8_S1C_bDpT10_ENKUlT_T0_E_clISt17integral_constantIbLb0EES1P_EEDaS1K_S1L_EUlS1K_E_NS1_11comp_targetILNS1_3genE8ELNS1_11target_archE1030ELNS1_3gpuE2ELNS1_3repE0EEENS1_30default_config_static_selectorELNS0_4arch9wavefront6targetE0EEEvSY_.numbered_sgpr, 0
	.set _ZN7rocprim17ROCPRIM_400000_NS6detail17trampoline_kernelINS0_13select_configILj256ELj13ELNS0_17block_load_methodE3ELS4_3ELS4_3ELNS0_20block_scan_algorithmE0ELj4294967295EEENS1_25partition_config_selectorILNS1_17partition_subalgoE3EjNS0_10empty_typeEbEEZZNS1_14partition_implILS8_3ELb0ES6_jNS0_17counting_iteratorIjlEEPS9_SE_NS0_5tupleIJPjSE_EEENSF_IJSE_SE_EEES9_SG_JZNS1_25segmented_radix_sort_implINS0_14default_configELb0EPKbPbPKlPlN2at6native12_GLOBAL__N_18offset_tEEE10hipError_tPvRmT1_PNSt15iterator_traitsISY_E10value_typeET2_T3_PNSZ_IS14_E10value_typeET4_jRbjT5_S1A_jjP12ihipStream_tbEUljE_EEESV_SW_SX_S14_S18_S1A_T6_T7_T9_mT8_S1C_bDpT10_ENKUlT_T0_E_clISt17integral_constantIbLb0EES1P_EEDaS1K_S1L_EUlS1K_E_NS1_11comp_targetILNS1_3genE8ELNS1_11target_archE1030ELNS1_3gpuE2ELNS1_3repE0EEENS1_30default_config_static_selectorELNS0_4arch9wavefront6targetE0EEEvSY_.num_named_barrier, 0
	.set _ZN7rocprim17ROCPRIM_400000_NS6detail17trampoline_kernelINS0_13select_configILj256ELj13ELNS0_17block_load_methodE3ELS4_3ELS4_3ELNS0_20block_scan_algorithmE0ELj4294967295EEENS1_25partition_config_selectorILNS1_17partition_subalgoE3EjNS0_10empty_typeEbEEZZNS1_14partition_implILS8_3ELb0ES6_jNS0_17counting_iteratorIjlEEPS9_SE_NS0_5tupleIJPjSE_EEENSF_IJSE_SE_EEES9_SG_JZNS1_25segmented_radix_sort_implINS0_14default_configELb0EPKbPbPKlPlN2at6native12_GLOBAL__N_18offset_tEEE10hipError_tPvRmT1_PNSt15iterator_traitsISY_E10value_typeET2_T3_PNSZ_IS14_E10value_typeET4_jRbjT5_S1A_jjP12ihipStream_tbEUljE_EEESV_SW_SX_S14_S18_S1A_T6_T7_T9_mT8_S1C_bDpT10_ENKUlT_T0_E_clISt17integral_constantIbLb0EES1P_EEDaS1K_S1L_EUlS1K_E_NS1_11comp_targetILNS1_3genE8ELNS1_11target_archE1030ELNS1_3gpuE2ELNS1_3repE0EEENS1_30default_config_static_selectorELNS0_4arch9wavefront6targetE0EEEvSY_.private_seg_size, 0
	.set _ZN7rocprim17ROCPRIM_400000_NS6detail17trampoline_kernelINS0_13select_configILj256ELj13ELNS0_17block_load_methodE3ELS4_3ELS4_3ELNS0_20block_scan_algorithmE0ELj4294967295EEENS1_25partition_config_selectorILNS1_17partition_subalgoE3EjNS0_10empty_typeEbEEZZNS1_14partition_implILS8_3ELb0ES6_jNS0_17counting_iteratorIjlEEPS9_SE_NS0_5tupleIJPjSE_EEENSF_IJSE_SE_EEES9_SG_JZNS1_25segmented_radix_sort_implINS0_14default_configELb0EPKbPbPKlPlN2at6native12_GLOBAL__N_18offset_tEEE10hipError_tPvRmT1_PNSt15iterator_traitsISY_E10value_typeET2_T3_PNSZ_IS14_E10value_typeET4_jRbjT5_S1A_jjP12ihipStream_tbEUljE_EEESV_SW_SX_S14_S18_S1A_T6_T7_T9_mT8_S1C_bDpT10_ENKUlT_T0_E_clISt17integral_constantIbLb0EES1P_EEDaS1K_S1L_EUlS1K_E_NS1_11comp_targetILNS1_3genE8ELNS1_11target_archE1030ELNS1_3gpuE2ELNS1_3repE0EEENS1_30default_config_static_selectorELNS0_4arch9wavefront6targetE0EEEvSY_.uses_vcc, 0
	.set _ZN7rocprim17ROCPRIM_400000_NS6detail17trampoline_kernelINS0_13select_configILj256ELj13ELNS0_17block_load_methodE3ELS4_3ELS4_3ELNS0_20block_scan_algorithmE0ELj4294967295EEENS1_25partition_config_selectorILNS1_17partition_subalgoE3EjNS0_10empty_typeEbEEZZNS1_14partition_implILS8_3ELb0ES6_jNS0_17counting_iteratorIjlEEPS9_SE_NS0_5tupleIJPjSE_EEENSF_IJSE_SE_EEES9_SG_JZNS1_25segmented_radix_sort_implINS0_14default_configELb0EPKbPbPKlPlN2at6native12_GLOBAL__N_18offset_tEEE10hipError_tPvRmT1_PNSt15iterator_traitsISY_E10value_typeET2_T3_PNSZ_IS14_E10value_typeET4_jRbjT5_S1A_jjP12ihipStream_tbEUljE_EEESV_SW_SX_S14_S18_S1A_T6_T7_T9_mT8_S1C_bDpT10_ENKUlT_T0_E_clISt17integral_constantIbLb0EES1P_EEDaS1K_S1L_EUlS1K_E_NS1_11comp_targetILNS1_3genE8ELNS1_11target_archE1030ELNS1_3gpuE2ELNS1_3repE0EEENS1_30default_config_static_selectorELNS0_4arch9wavefront6targetE0EEEvSY_.uses_flat_scratch, 0
	.set _ZN7rocprim17ROCPRIM_400000_NS6detail17trampoline_kernelINS0_13select_configILj256ELj13ELNS0_17block_load_methodE3ELS4_3ELS4_3ELNS0_20block_scan_algorithmE0ELj4294967295EEENS1_25partition_config_selectorILNS1_17partition_subalgoE3EjNS0_10empty_typeEbEEZZNS1_14partition_implILS8_3ELb0ES6_jNS0_17counting_iteratorIjlEEPS9_SE_NS0_5tupleIJPjSE_EEENSF_IJSE_SE_EEES9_SG_JZNS1_25segmented_radix_sort_implINS0_14default_configELb0EPKbPbPKlPlN2at6native12_GLOBAL__N_18offset_tEEE10hipError_tPvRmT1_PNSt15iterator_traitsISY_E10value_typeET2_T3_PNSZ_IS14_E10value_typeET4_jRbjT5_S1A_jjP12ihipStream_tbEUljE_EEESV_SW_SX_S14_S18_S1A_T6_T7_T9_mT8_S1C_bDpT10_ENKUlT_T0_E_clISt17integral_constantIbLb0EES1P_EEDaS1K_S1L_EUlS1K_E_NS1_11comp_targetILNS1_3genE8ELNS1_11target_archE1030ELNS1_3gpuE2ELNS1_3repE0EEENS1_30default_config_static_selectorELNS0_4arch9wavefront6targetE0EEEvSY_.has_dyn_sized_stack, 0
	.set _ZN7rocprim17ROCPRIM_400000_NS6detail17trampoline_kernelINS0_13select_configILj256ELj13ELNS0_17block_load_methodE3ELS4_3ELS4_3ELNS0_20block_scan_algorithmE0ELj4294967295EEENS1_25partition_config_selectorILNS1_17partition_subalgoE3EjNS0_10empty_typeEbEEZZNS1_14partition_implILS8_3ELb0ES6_jNS0_17counting_iteratorIjlEEPS9_SE_NS0_5tupleIJPjSE_EEENSF_IJSE_SE_EEES9_SG_JZNS1_25segmented_radix_sort_implINS0_14default_configELb0EPKbPbPKlPlN2at6native12_GLOBAL__N_18offset_tEEE10hipError_tPvRmT1_PNSt15iterator_traitsISY_E10value_typeET2_T3_PNSZ_IS14_E10value_typeET4_jRbjT5_S1A_jjP12ihipStream_tbEUljE_EEESV_SW_SX_S14_S18_S1A_T6_T7_T9_mT8_S1C_bDpT10_ENKUlT_T0_E_clISt17integral_constantIbLb0EES1P_EEDaS1K_S1L_EUlS1K_E_NS1_11comp_targetILNS1_3genE8ELNS1_11target_archE1030ELNS1_3gpuE2ELNS1_3repE0EEENS1_30default_config_static_selectorELNS0_4arch9wavefront6targetE0EEEvSY_.has_recursion, 0
	.set _ZN7rocprim17ROCPRIM_400000_NS6detail17trampoline_kernelINS0_13select_configILj256ELj13ELNS0_17block_load_methodE3ELS4_3ELS4_3ELNS0_20block_scan_algorithmE0ELj4294967295EEENS1_25partition_config_selectorILNS1_17partition_subalgoE3EjNS0_10empty_typeEbEEZZNS1_14partition_implILS8_3ELb0ES6_jNS0_17counting_iteratorIjlEEPS9_SE_NS0_5tupleIJPjSE_EEENSF_IJSE_SE_EEES9_SG_JZNS1_25segmented_radix_sort_implINS0_14default_configELb0EPKbPbPKlPlN2at6native12_GLOBAL__N_18offset_tEEE10hipError_tPvRmT1_PNSt15iterator_traitsISY_E10value_typeET2_T3_PNSZ_IS14_E10value_typeET4_jRbjT5_S1A_jjP12ihipStream_tbEUljE_EEESV_SW_SX_S14_S18_S1A_T6_T7_T9_mT8_S1C_bDpT10_ENKUlT_T0_E_clISt17integral_constantIbLb0EES1P_EEDaS1K_S1L_EUlS1K_E_NS1_11comp_targetILNS1_3genE8ELNS1_11target_archE1030ELNS1_3gpuE2ELNS1_3repE0EEENS1_30default_config_static_selectorELNS0_4arch9wavefront6targetE0EEEvSY_.has_indirect_call, 0
	.section	.AMDGPU.csdata,"",@progbits
; Kernel info:
; codeLenInByte = 0
; TotalNumSgprs: 0
; NumVgprs: 0
; ScratchSize: 0
; MemoryBound: 0
; FloatMode: 240
; IeeeMode: 1
; LDSByteSize: 0 bytes/workgroup (compile time only)
; SGPRBlocks: 0
; VGPRBlocks: 0
; NumSGPRsForWavesPerEU: 1
; NumVGPRsForWavesPerEU: 1
; NamedBarCnt: 0
; Occupancy: 16
; WaveLimiterHint : 0
; COMPUTE_PGM_RSRC2:SCRATCH_EN: 0
; COMPUTE_PGM_RSRC2:USER_SGPR: 2
; COMPUTE_PGM_RSRC2:TRAP_HANDLER: 0
; COMPUTE_PGM_RSRC2:TGID_X_EN: 1
; COMPUTE_PGM_RSRC2:TGID_Y_EN: 0
; COMPUTE_PGM_RSRC2:TGID_Z_EN: 0
; COMPUTE_PGM_RSRC2:TIDIG_COMP_CNT: 0
	.section	.text._ZN7rocprim17ROCPRIM_400000_NS6detail17trampoline_kernelINS0_13select_configILj256ELj13ELNS0_17block_load_methodE3ELS4_3ELS4_3ELNS0_20block_scan_algorithmE0ELj4294967295EEENS1_25partition_config_selectorILNS1_17partition_subalgoE3EjNS0_10empty_typeEbEEZZNS1_14partition_implILS8_3ELb0ES6_jNS0_17counting_iteratorIjlEEPS9_SE_NS0_5tupleIJPjSE_EEENSF_IJSE_SE_EEES9_SG_JZNS1_25segmented_radix_sort_implINS0_14default_configELb0EPKbPbPKlPlN2at6native12_GLOBAL__N_18offset_tEEE10hipError_tPvRmT1_PNSt15iterator_traitsISY_E10value_typeET2_T3_PNSZ_IS14_E10value_typeET4_jRbjT5_S1A_jjP12ihipStream_tbEUljE_EEESV_SW_SX_S14_S18_S1A_T6_T7_T9_mT8_S1C_bDpT10_ENKUlT_T0_E_clISt17integral_constantIbLb1EES1P_EEDaS1K_S1L_EUlS1K_E_NS1_11comp_targetILNS1_3genE0ELNS1_11target_archE4294967295ELNS1_3gpuE0ELNS1_3repE0EEENS1_30default_config_static_selectorELNS0_4arch9wavefront6targetE0EEEvSY_,"axG",@progbits,_ZN7rocprim17ROCPRIM_400000_NS6detail17trampoline_kernelINS0_13select_configILj256ELj13ELNS0_17block_load_methodE3ELS4_3ELS4_3ELNS0_20block_scan_algorithmE0ELj4294967295EEENS1_25partition_config_selectorILNS1_17partition_subalgoE3EjNS0_10empty_typeEbEEZZNS1_14partition_implILS8_3ELb0ES6_jNS0_17counting_iteratorIjlEEPS9_SE_NS0_5tupleIJPjSE_EEENSF_IJSE_SE_EEES9_SG_JZNS1_25segmented_radix_sort_implINS0_14default_configELb0EPKbPbPKlPlN2at6native12_GLOBAL__N_18offset_tEEE10hipError_tPvRmT1_PNSt15iterator_traitsISY_E10value_typeET2_T3_PNSZ_IS14_E10value_typeET4_jRbjT5_S1A_jjP12ihipStream_tbEUljE_EEESV_SW_SX_S14_S18_S1A_T6_T7_T9_mT8_S1C_bDpT10_ENKUlT_T0_E_clISt17integral_constantIbLb1EES1P_EEDaS1K_S1L_EUlS1K_E_NS1_11comp_targetILNS1_3genE0ELNS1_11target_archE4294967295ELNS1_3gpuE0ELNS1_3repE0EEENS1_30default_config_static_selectorELNS0_4arch9wavefront6targetE0EEEvSY_,comdat
	.globl	_ZN7rocprim17ROCPRIM_400000_NS6detail17trampoline_kernelINS0_13select_configILj256ELj13ELNS0_17block_load_methodE3ELS4_3ELS4_3ELNS0_20block_scan_algorithmE0ELj4294967295EEENS1_25partition_config_selectorILNS1_17partition_subalgoE3EjNS0_10empty_typeEbEEZZNS1_14partition_implILS8_3ELb0ES6_jNS0_17counting_iteratorIjlEEPS9_SE_NS0_5tupleIJPjSE_EEENSF_IJSE_SE_EEES9_SG_JZNS1_25segmented_radix_sort_implINS0_14default_configELb0EPKbPbPKlPlN2at6native12_GLOBAL__N_18offset_tEEE10hipError_tPvRmT1_PNSt15iterator_traitsISY_E10value_typeET2_T3_PNSZ_IS14_E10value_typeET4_jRbjT5_S1A_jjP12ihipStream_tbEUljE_EEESV_SW_SX_S14_S18_S1A_T6_T7_T9_mT8_S1C_bDpT10_ENKUlT_T0_E_clISt17integral_constantIbLb1EES1P_EEDaS1K_S1L_EUlS1K_E_NS1_11comp_targetILNS1_3genE0ELNS1_11target_archE4294967295ELNS1_3gpuE0ELNS1_3repE0EEENS1_30default_config_static_selectorELNS0_4arch9wavefront6targetE0EEEvSY_ ; -- Begin function _ZN7rocprim17ROCPRIM_400000_NS6detail17trampoline_kernelINS0_13select_configILj256ELj13ELNS0_17block_load_methodE3ELS4_3ELS4_3ELNS0_20block_scan_algorithmE0ELj4294967295EEENS1_25partition_config_selectorILNS1_17partition_subalgoE3EjNS0_10empty_typeEbEEZZNS1_14partition_implILS8_3ELb0ES6_jNS0_17counting_iteratorIjlEEPS9_SE_NS0_5tupleIJPjSE_EEENSF_IJSE_SE_EEES9_SG_JZNS1_25segmented_radix_sort_implINS0_14default_configELb0EPKbPbPKlPlN2at6native12_GLOBAL__N_18offset_tEEE10hipError_tPvRmT1_PNSt15iterator_traitsISY_E10value_typeET2_T3_PNSZ_IS14_E10value_typeET4_jRbjT5_S1A_jjP12ihipStream_tbEUljE_EEESV_SW_SX_S14_S18_S1A_T6_T7_T9_mT8_S1C_bDpT10_ENKUlT_T0_E_clISt17integral_constantIbLb1EES1P_EEDaS1K_S1L_EUlS1K_E_NS1_11comp_targetILNS1_3genE0ELNS1_11target_archE4294967295ELNS1_3gpuE0ELNS1_3repE0EEENS1_30default_config_static_selectorELNS0_4arch9wavefront6targetE0EEEvSY_
	.p2align	8
	.type	_ZN7rocprim17ROCPRIM_400000_NS6detail17trampoline_kernelINS0_13select_configILj256ELj13ELNS0_17block_load_methodE3ELS4_3ELS4_3ELNS0_20block_scan_algorithmE0ELj4294967295EEENS1_25partition_config_selectorILNS1_17partition_subalgoE3EjNS0_10empty_typeEbEEZZNS1_14partition_implILS8_3ELb0ES6_jNS0_17counting_iteratorIjlEEPS9_SE_NS0_5tupleIJPjSE_EEENSF_IJSE_SE_EEES9_SG_JZNS1_25segmented_radix_sort_implINS0_14default_configELb0EPKbPbPKlPlN2at6native12_GLOBAL__N_18offset_tEEE10hipError_tPvRmT1_PNSt15iterator_traitsISY_E10value_typeET2_T3_PNSZ_IS14_E10value_typeET4_jRbjT5_S1A_jjP12ihipStream_tbEUljE_EEESV_SW_SX_S14_S18_S1A_T6_T7_T9_mT8_S1C_bDpT10_ENKUlT_T0_E_clISt17integral_constantIbLb1EES1P_EEDaS1K_S1L_EUlS1K_E_NS1_11comp_targetILNS1_3genE0ELNS1_11target_archE4294967295ELNS1_3gpuE0ELNS1_3repE0EEENS1_30default_config_static_selectorELNS0_4arch9wavefront6targetE0EEEvSY_,@function
_ZN7rocprim17ROCPRIM_400000_NS6detail17trampoline_kernelINS0_13select_configILj256ELj13ELNS0_17block_load_methodE3ELS4_3ELS4_3ELNS0_20block_scan_algorithmE0ELj4294967295EEENS1_25partition_config_selectorILNS1_17partition_subalgoE3EjNS0_10empty_typeEbEEZZNS1_14partition_implILS8_3ELb0ES6_jNS0_17counting_iteratorIjlEEPS9_SE_NS0_5tupleIJPjSE_EEENSF_IJSE_SE_EEES9_SG_JZNS1_25segmented_radix_sort_implINS0_14default_configELb0EPKbPbPKlPlN2at6native12_GLOBAL__N_18offset_tEEE10hipError_tPvRmT1_PNSt15iterator_traitsISY_E10value_typeET2_T3_PNSZ_IS14_E10value_typeET4_jRbjT5_S1A_jjP12ihipStream_tbEUljE_EEESV_SW_SX_S14_S18_S1A_T6_T7_T9_mT8_S1C_bDpT10_ENKUlT_T0_E_clISt17integral_constantIbLb1EES1P_EEDaS1K_S1L_EUlS1K_E_NS1_11comp_targetILNS1_3genE0ELNS1_11target_archE4294967295ELNS1_3gpuE0ELNS1_3repE0EEENS1_30default_config_static_selectorELNS0_4arch9wavefront6targetE0EEEvSY_: ; @_ZN7rocprim17ROCPRIM_400000_NS6detail17trampoline_kernelINS0_13select_configILj256ELj13ELNS0_17block_load_methodE3ELS4_3ELS4_3ELNS0_20block_scan_algorithmE0ELj4294967295EEENS1_25partition_config_selectorILNS1_17partition_subalgoE3EjNS0_10empty_typeEbEEZZNS1_14partition_implILS8_3ELb0ES6_jNS0_17counting_iteratorIjlEEPS9_SE_NS0_5tupleIJPjSE_EEENSF_IJSE_SE_EEES9_SG_JZNS1_25segmented_radix_sort_implINS0_14default_configELb0EPKbPbPKlPlN2at6native12_GLOBAL__N_18offset_tEEE10hipError_tPvRmT1_PNSt15iterator_traitsISY_E10value_typeET2_T3_PNSZ_IS14_E10value_typeET4_jRbjT5_S1A_jjP12ihipStream_tbEUljE_EEESV_SW_SX_S14_S18_S1A_T6_T7_T9_mT8_S1C_bDpT10_ENKUlT_T0_E_clISt17integral_constantIbLb1EES1P_EEDaS1K_S1L_EUlS1K_E_NS1_11comp_targetILNS1_3genE0ELNS1_11target_archE4294967295ELNS1_3gpuE0ELNS1_3repE0EEENS1_30default_config_static_selectorELNS0_4arch9wavefront6targetE0EEEvSY_
; %bb.0:
	s_endpgm
	.section	.rodata,"a",@progbits
	.p2align	6, 0x0
	.amdhsa_kernel _ZN7rocprim17ROCPRIM_400000_NS6detail17trampoline_kernelINS0_13select_configILj256ELj13ELNS0_17block_load_methodE3ELS4_3ELS4_3ELNS0_20block_scan_algorithmE0ELj4294967295EEENS1_25partition_config_selectorILNS1_17partition_subalgoE3EjNS0_10empty_typeEbEEZZNS1_14partition_implILS8_3ELb0ES6_jNS0_17counting_iteratorIjlEEPS9_SE_NS0_5tupleIJPjSE_EEENSF_IJSE_SE_EEES9_SG_JZNS1_25segmented_radix_sort_implINS0_14default_configELb0EPKbPbPKlPlN2at6native12_GLOBAL__N_18offset_tEEE10hipError_tPvRmT1_PNSt15iterator_traitsISY_E10value_typeET2_T3_PNSZ_IS14_E10value_typeET4_jRbjT5_S1A_jjP12ihipStream_tbEUljE_EEESV_SW_SX_S14_S18_S1A_T6_T7_T9_mT8_S1C_bDpT10_ENKUlT_T0_E_clISt17integral_constantIbLb1EES1P_EEDaS1K_S1L_EUlS1K_E_NS1_11comp_targetILNS1_3genE0ELNS1_11target_archE4294967295ELNS1_3gpuE0ELNS1_3repE0EEENS1_30default_config_static_selectorELNS0_4arch9wavefront6targetE0EEEvSY_
		.amdhsa_group_segment_fixed_size 0
		.amdhsa_private_segment_fixed_size 0
		.amdhsa_kernarg_size 152
		.amdhsa_user_sgpr_count 2
		.amdhsa_user_sgpr_dispatch_ptr 0
		.amdhsa_user_sgpr_queue_ptr 0
		.amdhsa_user_sgpr_kernarg_segment_ptr 1
		.amdhsa_user_sgpr_dispatch_id 0
		.amdhsa_user_sgpr_kernarg_preload_length 0
		.amdhsa_user_sgpr_kernarg_preload_offset 0
		.amdhsa_user_sgpr_private_segment_size 0
		.amdhsa_wavefront_size32 1
		.amdhsa_uses_dynamic_stack 0
		.amdhsa_enable_private_segment 0
		.amdhsa_system_sgpr_workgroup_id_x 1
		.amdhsa_system_sgpr_workgroup_id_y 0
		.amdhsa_system_sgpr_workgroup_id_z 0
		.amdhsa_system_sgpr_workgroup_info 0
		.amdhsa_system_vgpr_workitem_id 0
		.amdhsa_next_free_vgpr 1
		.amdhsa_next_free_sgpr 1
		.amdhsa_named_barrier_count 0
		.amdhsa_reserve_vcc 0
		.amdhsa_float_round_mode_32 0
		.amdhsa_float_round_mode_16_64 0
		.amdhsa_float_denorm_mode_32 3
		.amdhsa_float_denorm_mode_16_64 3
		.amdhsa_fp16_overflow 0
		.amdhsa_memory_ordered 1
		.amdhsa_forward_progress 1
		.amdhsa_inst_pref_size 1
		.amdhsa_round_robin_scheduling 0
		.amdhsa_exception_fp_ieee_invalid_op 0
		.amdhsa_exception_fp_denorm_src 0
		.amdhsa_exception_fp_ieee_div_zero 0
		.amdhsa_exception_fp_ieee_overflow 0
		.amdhsa_exception_fp_ieee_underflow 0
		.amdhsa_exception_fp_ieee_inexact 0
		.amdhsa_exception_int_div_zero 0
	.end_amdhsa_kernel
	.section	.text._ZN7rocprim17ROCPRIM_400000_NS6detail17trampoline_kernelINS0_13select_configILj256ELj13ELNS0_17block_load_methodE3ELS4_3ELS4_3ELNS0_20block_scan_algorithmE0ELj4294967295EEENS1_25partition_config_selectorILNS1_17partition_subalgoE3EjNS0_10empty_typeEbEEZZNS1_14partition_implILS8_3ELb0ES6_jNS0_17counting_iteratorIjlEEPS9_SE_NS0_5tupleIJPjSE_EEENSF_IJSE_SE_EEES9_SG_JZNS1_25segmented_radix_sort_implINS0_14default_configELb0EPKbPbPKlPlN2at6native12_GLOBAL__N_18offset_tEEE10hipError_tPvRmT1_PNSt15iterator_traitsISY_E10value_typeET2_T3_PNSZ_IS14_E10value_typeET4_jRbjT5_S1A_jjP12ihipStream_tbEUljE_EEESV_SW_SX_S14_S18_S1A_T6_T7_T9_mT8_S1C_bDpT10_ENKUlT_T0_E_clISt17integral_constantIbLb1EES1P_EEDaS1K_S1L_EUlS1K_E_NS1_11comp_targetILNS1_3genE0ELNS1_11target_archE4294967295ELNS1_3gpuE0ELNS1_3repE0EEENS1_30default_config_static_selectorELNS0_4arch9wavefront6targetE0EEEvSY_,"axG",@progbits,_ZN7rocprim17ROCPRIM_400000_NS6detail17trampoline_kernelINS0_13select_configILj256ELj13ELNS0_17block_load_methodE3ELS4_3ELS4_3ELNS0_20block_scan_algorithmE0ELj4294967295EEENS1_25partition_config_selectorILNS1_17partition_subalgoE3EjNS0_10empty_typeEbEEZZNS1_14partition_implILS8_3ELb0ES6_jNS0_17counting_iteratorIjlEEPS9_SE_NS0_5tupleIJPjSE_EEENSF_IJSE_SE_EEES9_SG_JZNS1_25segmented_radix_sort_implINS0_14default_configELb0EPKbPbPKlPlN2at6native12_GLOBAL__N_18offset_tEEE10hipError_tPvRmT1_PNSt15iterator_traitsISY_E10value_typeET2_T3_PNSZ_IS14_E10value_typeET4_jRbjT5_S1A_jjP12ihipStream_tbEUljE_EEESV_SW_SX_S14_S18_S1A_T6_T7_T9_mT8_S1C_bDpT10_ENKUlT_T0_E_clISt17integral_constantIbLb1EES1P_EEDaS1K_S1L_EUlS1K_E_NS1_11comp_targetILNS1_3genE0ELNS1_11target_archE4294967295ELNS1_3gpuE0ELNS1_3repE0EEENS1_30default_config_static_selectorELNS0_4arch9wavefront6targetE0EEEvSY_,comdat
.Lfunc_end1602:
	.size	_ZN7rocprim17ROCPRIM_400000_NS6detail17trampoline_kernelINS0_13select_configILj256ELj13ELNS0_17block_load_methodE3ELS4_3ELS4_3ELNS0_20block_scan_algorithmE0ELj4294967295EEENS1_25partition_config_selectorILNS1_17partition_subalgoE3EjNS0_10empty_typeEbEEZZNS1_14partition_implILS8_3ELb0ES6_jNS0_17counting_iteratorIjlEEPS9_SE_NS0_5tupleIJPjSE_EEENSF_IJSE_SE_EEES9_SG_JZNS1_25segmented_radix_sort_implINS0_14default_configELb0EPKbPbPKlPlN2at6native12_GLOBAL__N_18offset_tEEE10hipError_tPvRmT1_PNSt15iterator_traitsISY_E10value_typeET2_T3_PNSZ_IS14_E10value_typeET4_jRbjT5_S1A_jjP12ihipStream_tbEUljE_EEESV_SW_SX_S14_S18_S1A_T6_T7_T9_mT8_S1C_bDpT10_ENKUlT_T0_E_clISt17integral_constantIbLb1EES1P_EEDaS1K_S1L_EUlS1K_E_NS1_11comp_targetILNS1_3genE0ELNS1_11target_archE4294967295ELNS1_3gpuE0ELNS1_3repE0EEENS1_30default_config_static_selectorELNS0_4arch9wavefront6targetE0EEEvSY_, .Lfunc_end1602-_ZN7rocprim17ROCPRIM_400000_NS6detail17trampoline_kernelINS0_13select_configILj256ELj13ELNS0_17block_load_methodE3ELS4_3ELS4_3ELNS0_20block_scan_algorithmE0ELj4294967295EEENS1_25partition_config_selectorILNS1_17partition_subalgoE3EjNS0_10empty_typeEbEEZZNS1_14partition_implILS8_3ELb0ES6_jNS0_17counting_iteratorIjlEEPS9_SE_NS0_5tupleIJPjSE_EEENSF_IJSE_SE_EEES9_SG_JZNS1_25segmented_radix_sort_implINS0_14default_configELb0EPKbPbPKlPlN2at6native12_GLOBAL__N_18offset_tEEE10hipError_tPvRmT1_PNSt15iterator_traitsISY_E10value_typeET2_T3_PNSZ_IS14_E10value_typeET4_jRbjT5_S1A_jjP12ihipStream_tbEUljE_EEESV_SW_SX_S14_S18_S1A_T6_T7_T9_mT8_S1C_bDpT10_ENKUlT_T0_E_clISt17integral_constantIbLb1EES1P_EEDaS1K_S1L_EUlS1K_E_NS1_11comp_targetILNS1_3genE0ELNS1_11target_archE4294967295ELNS1_3gpuE0ELNS1_3repE0EEENS1_30default_config_static_selectorELNS0_4arch9wavefront6targetE0EEEvSY_
                                        ; -- End function
	.set _ZN7rocprim17ROCPRIM_400000_NS6detail17trampoline_kernelINS0_13select_configILj256ELj13ELNS0_17block_load_methodE3ELS4_3ELS4_3ELNS0_20block_scan_algorithmE0ELj4294967295EEENS1_25partition_config_selectorILNS1_17partition_subalgoE3EjNS0_10empty_typeEbEEZZNS1_14partition_implILS8_3ELb0ES6_jNS0_17counting_iteratorIjlEEPS9_SE_NS0_5tupleIJPjSE_EEENSF_IJSE_SE_EEES9_SG_JZNS1_25segmented_radix_sort_implINS0_14default_configELb0EPKbPbPKlPlN2at6native12_GLOBAL__N_18offset_tEEE10hipError_tPvRmT1_PNSt15iterator_traitsISY_E10value_typeET2_T3_PNSZ_IS14_E10value_typeET4_jRbjT5_S1A_jjP12ihipStream_tbEUljE_EEESV_SW_SX_S14_S18_S1A_T6_T7_T9_mT8_S1C_bDpT10_ENKUlT_T0_E_clISt17integral_constantIbLb1EES1P_EEDaS1K_S1L_EUlS1K_E_NS1_11comp_targetILNS1_3genE0ELNS1_11target_archE4294967295ELNS1_3gpuE0ELNS1_3repE0EEENS1_30default_config_static_selectorELNS0_4arch9wavefront6targetE0EEEvSY_.num_vgpr, 0
	.set _ZN7rocprim17ROCPRIM_400000_NS6detail17trampoline_kernelINS0_13select_configILj256ELj13ELNS0_17block_load_methodE3ELS4_3ELS4_3ELNS0_20block_scan_algorithmE0ELj4294967295EEENS1_25partition_config_selectorILNS1_17partition_subalgoE3EjNS0_10empty_typeEbEEZZNS1_14partition_implILS8_3ELb0ES6_jNS0_17counting_iteratorIjlEEPS9_SE_NS0_5tupleIJPjSE_EEENSF_IJSE_SE_EEES9_SG_JZNS1_25segmented_radix_sort_implINS0_14default_configELb0EPKbPbPKlPlN2at6native12_GLOBAL__N_18offset_tEEE10hipError_tPvRmT1_PNSt15iterator_traitsISY_E10value_typeET2_T3_PNSZ_IS14_E10value_typeET4_jRbjT5_S1A_jjP12ihipStream_tbEUljE_EEESV_SW_SX_S14_S18_S1A_T6_T7_T9_mT8_S1C_bDpT10_ENKUlT_T0_E_clISt17integral_constantIbLb1EES1P_EEDaS1K_S1L_EUlS1K_E_NS1_11comp_targetILNS1_3genE0ELNS1_11target_archE4294967295ELNS1_3gpuE0ELNS1_3repE0EEENS1_30default_config_static_selectorELNS0_4arch9wavefront6targetE0EEEvSY_.num_agpr, 0
	.set _ZN7rocprim17ROCPRIM_400000_NS6detail17trampoline_kernelINS0_13select_configILj256ELj13ELNS0_17block_load_methodE3ELS4_3ELS4_3ELNS0_20block_scan_algorithmE0ELj4294967295EEENS1_25partition_config_selectorILNS1_17partition_subalgoE3EjNS0_10empty_typeEbEEZZNS1_14partition_implILS8_3ELb0ES6_jNS0_17counting_iteratorIjlEEPS9_SE_NS0_5tupleIJPjSE_EEENSF_IJSE_SE_EEES9_SG_JZNS1_25segmented_radix_sort_implINS0_14default_configELb0EPKbPbPKlPlN2at6native12_GLOBAL__N_18offset_tEEE10hipError_tPvRmT1_PNSt15iterator_traitsISY_E10value_typeET2_T3_PNSZ_IS14_E10value_typeET4_jRbjT5_S1A_jjP12ihipStream_tbEUljE_EEESV_SW_SX_S14_S18_S1A_T6_T7_T9_mT8_S1C_bDpT10_ENKUlT_T0_E_clISt17integral_constantIbLb1EES1P_EEDaS1K_S1L_EUlS1K_E_NS1_11comp_targetILNS1_3genE0ELNS1_11target_archE4294967295ELNS1_3gpuE0ELNS1_3repE0EEENS1_30default_config_static_selectorELNS0_4arch9wavefront6targetE0EEEvSY_.numbered_sgpr, 0
	.set _ZN7rocprim17ROCPRIM_400000_NS6detail17trampoline_kernelINS0_13select_configILj256ELj13ELNS0_17block_load_methodE3ELS4_3ELS4_3ELNS0_20block_scan_algorithmE0ELj4294967295EEENS1_25partition_config_selectorILNS1_17partition_subalgoE3EjNS0_10empty_typeEbEEZZNS1_14partition_implILS8_3ELb0ES6_jNS0_17counting_iteratorIjlEEPS9_SE_NS0_5tupleIJPjSE_EEENSF_IJSE_SE_EEES9_SG_JZNS1_25segmented_radix_sort_implINS0_14default_configELb0EPKbPbPKlPlN2at6native12_GLOBAL__N_18offset_tEEE10hipError_tPvRmT1_PNSt15iterator_traitsISY_E10value_typeET2_T3_PNSZ_IS14_E10value_typeET4_jRbjT5_S1A_jjP12ihipStream_tbEUljE_EEESV_SW_SX_S14_S18_S1A_T6_T7_T9_mT8_S1C_bDpT10_ENKUlT_T0_E_clISt17integral_constantIbLb1EES1P_EEDaS1K_S1L_EUlS1K_E_NS1_11comp_targetILNS1_3genE0ELNS1_11target_archE4294967295ELNS1_3gpuE0ELNS1_3repE0EEENS1_30default_config_static_selectorELNS0_4arch9wavefront6targetE0EEEvSY_.num_named_barrier, 0
	.set _ZN7rocprim17ROCPRIM_400000_NS6detail17trampoline_kernelINS0_13select_configILj256ELj13ELNS0_17block_load_methodE3ELS4_3ELS4_3ELNS0_20block_scan_algorithmE0ELj4294967295EEENS1_25partition_config_selectorILNS1_17partition_subalgoE3EjNS0_10empty_typeEbEEZZNS1_14partition_implILS8_3ELb0ES6_jNS0_17counting_iteratorIjlEEPS9_SE_NS0_5tupleIJPjSE_EEENSF_IJSE_SE_EEES9_SG_JZNS1_25segmented_radix_sort_implINS0_14default_configELb0EPKbPbPKlPlN2at6native12_GLOBAL__N_18offset_tEEE10hipError_tPvRmT1_PNSt15iterator_traitsISY_E10value_typeET2_T3_PNSZ_IS14_E10value_typeET4_jRbjT5_S1A_jjP12ihipStream_tbEUljE_EEESV_SW_SX_S14_S18_S1A_T6_T7_T9_mT8_S1C_bDpT10_ENKUlT_T0_E_clISt17integral_constantIbLb1EES1P_EEDaS1K_S1L_EUlS1K_E_NS1_11comp_targetILNS1_3genE0ELNS1_11target_archE4294967295ELNS1_3gpuE0ELNS1_3repE0EEENS1_30default_config_static_selectorELNS0_4arch9wavefront6targetE0EEEvSY_.private_seg_size, 0
	.set _ZN7rocprim17ROCPRIM_400000_NS6detail17trampoline_kernelINS0_13select_configILj256ELj13ELNS0_17block_load_methodE3ELS4_3ELS4_3ELNS0_20block_scan_algorithmE0ELj4294967295EEENS1_25partition_config_selectorILNS1_17partition_subalgoE3EjNS0_10empty_typeEbEEZZNS1_14partition_implILS8_3ELb0ES6_jNS0_17counting_iteratorIjlEEPS9_SE_NS0_5tupleIJPjSE_EEENSF_IJSE_SE_EEES9_SG_JZNS1_25segmented_radix_sort_implINS0_14default_configELb0EPKbPbPKlPlN2at6native12_GLOBAL__N_18offset_tEEE10hipError_tPvRmT1_PNSt15iterator_traitsISY_E10value_typeET2_T3_PNSZ_IS14_E10value_typeET4_jRbjT5_S1A_jjP12ihipStream_tbEUljE_EEESV_SW_SX_S14_S18_S1A_T6_T7_T9_mT8_S1C_bDpT10_ENKUlT_T0_E_clISt17integral_constantIbLb1EES1P_EEDaS1K_S1L_EUlS1K_E_NS1_11comp_targetILNS1_3genE0ELNS1_11target_archE4294967295ELNS1_3gpuE0ELNS1_3repE0EEENS1_30default_config_static_selectorELNS0_4arch9wavefront6targetE0EEEvSY_.uses_vcc, 0
	.set _ZN7rocprim17ROCPRIM_400000_NS6detail17trampoline_kernelINS0_13select_configILj256ELj13ELNS0_17block_load_methodE3ELS4_3ELS4_3ELNS0_20block_scan_algorithmE0ELj4294967295EEENS1_25partition_config_selectorILNS1_17partition_subalgoE3EjNS0_10empty_typeEbEEZZNS1_14partition_implILS8_3ELb0ES6_jNS0_17counting_iteratorIjlEEPS9_SE_NS0_5tupleIJPjSE_EEENSF_IJSE_SE_EEES9_SG_JZNS1_25segmented_radix_sort_implINS0_14default_configELb0EPKbPbPKlPlN2at6native12_GLOBAL__N_18offset_tEEE10hipError_tPvRmT1_PNSt15iterator_traitsISY_E10value_typeET2_T3_PNSZ_IS14_E10value_typeET4_jRbjT5_S1A_jjP12ihipStream_tbEUljE_EEESV_SW_SX_S14_S18_S1A_T6_T7_T9_mT8_S1C_bDpT10_ENKUlT_T0_E_clISt17integral_constantIbLb1EES1P_EEDaS1K_S1L_EUlS1K_E_NS1_11comp_targetILNS1_3genE0ELNS1_11target_archE4294967295ELNS1_3gpuE0ELNS1_3repE0EEENS1_30default_config_static_selectorELNS0_4arch9wavefront6targetE0EEEvSY_.uses_flat_scratch, 0
	.set _ZN7rocprim17ROCPRIM_400000_NS6detail17trampoline_kernelINS0_13select_configILj256ELj13ELNS0_17block_load_methodE3ELS4_3ELS4_3ELNS0_20block_scan_algorithmE0ELj4294967295EEENS1_25partition_config_selectorILNS1_17partition_subalgoE3EjNS0_10empty_typeEbEEZZNS1_14partition_implILS8_3ELb0ES6_jNS0_17counting_iteratorIjlEEPS9_SE_NS0_5tupleIJPjSE_EEENSF_IJSE_SE_EEES9_SG_JZNS1_25segmented_radix_sort_implINS0_14default_configELb0EPKbPbPKlPlN2at6native12_GLOBAL__N_18offset_tEEE10hipError_tPvRmT1_PNSt15iterator_traitsISY_E10value_typeET2_T3_PNSZ_IS14_E10value_typeET4_jRbjT5_S1A_jjP12ihipStream_tbEUljE_EEESV_SW_SX_S14_S18_S1A_T6_T7_T9_mT8_S1C_bDpT10_ENKUlT_T0_E_clISt17integral_constantIbLb1EES1P_EEDaS1K_S1L_EUlS1K_E_NS1_11comp_targetILNS1_3genE0ELNS1_11target_archE4294967295ELNS1_3gpuE0ELNS1_3repE0EEENS1_30default_config_static_selectorELNS0_4arch9wavefront6targetE0EEEvSY_.has_dyn_sized_stack, 0
	.set _ZN7rocprim17ROCPRIM_400000_NS6detail17trampoline_kernelINS0_13select_configILj256ELj13ELNS0_17block_load_methodE3ELS4_3ELS4_3ELNS0_20block_scan_algorithmE0ELj4294967295EEENS1_25partition_config_selectorILNS1_17partition_subalgoE3EjNS0_10empty_typeEbEEZZNS1_14partition_implILS8_3ELb0ES6_jNS0_17counting_iteratorIjlEEPS9_SE_NS0_5tupleIJPjSE_EEENSF_IJSE_SE_EEES9_SG_JZNS1_25segmented_radix_sort_implINS0_14default_configELb0EPKbPbPKlPlN2at6native12_GLOBAL__N_18offset_tEEE10hipError_tPvRmT1_PNSt15iterator_traitsISY_E10value_typeET2_T3_PNSZ_IS14_E10value_typeET4_jRbjT5_S1A_jjP12ihipStream_tbEUljE_EEESV_SW_SX_S14_S18_S1A_T6_T7_T9_mT8_S1C_bDpT10_ENKUlT_T0_E_clISt17integral_constantIbLb1EES1P_EEDaS1K_S1L_EUlS1K_E_NS1_11comp_targetILNS1_3genE0ELNS1_11target_archE4294967295ELNS1_3gpuE0ELNS1_3repE0EEENS1_30default_config_static_selectorELNS0_4arch9wavefront6targetE0EEEvSY_.has_recursion, 0
	.set _ZN7rocprim17ROCPRIM_400000_NS6detail17trampoline_kernelINS0_13select_configILj256ELj13ELNS0_17block_load_methodE3ELS4_3ELS4_3ELNS0_20block_scan_algorithmE0ELj4294967295EEENS1_25partition_config_selectorILNS1_17partition_subalgoE3EjNS0_10empty_typeEbEEZZNS1_14partition_implILS8_3ELb0ES6_jNS0_17counting_iteratorIjlEEPS9_SE_NS0_5tupleIJPjSE_EEENSF_IJSE_SE_EEES9_SG_JZNS1_25segmented_radix_sort_implINS0_14default_configELb0EPKbPbPKlPlN2at6native12_GLOBAL__N_18offset_tEEE10hipError_tPvRmT1_PNSt15iterator_traitsISY_E10value_typeET2_T3_PNSZ_IS14_E10value_typeET4_jRbjT5_S1A_jjP12ihipStream_tbEUljE_EEESV_SW_SX_S14_S18_S1A_T6_T7_T9_mT8_S1C_bDpT10_ENKUlT_T0_E_clISt17integral_constantIbLb1EES1P_EEDaS1K_S1L_EUlS1K_E_NS1_11comp_targetILNS1_3genE0ELNS1_11target_archE4294967295ELNS1_3gpuE0ELNS1_3repE0EEENS1_30default_config_static_selectorELNS0_4arch9wavefront6targetE0EEEvSY_.has_indirect_call, 0
	.section	.AMDGPU.csdata,"",@progbits
; Kernel info:
; codeLenInByte = 4
; TotalNumSgprs: 0
; NumVgprs: 0
; ScratchSize: 0
; MemoryBound: 0
; FloatMode: 240
; IeeeMode: 1
; LDSByteSize: 0 bytes/workgroup (compile time only)
; SGPRBlocks: 0
; VGPRBlocks: 0
; NumSGPRsForWavesPerEU: 1
; NumVGPRsForWavesPerEU: 1
; NamedBarCnt: 0
; Occupancy: 16
; WaveLimiterHint : 0
; COMPUTE_PGM_RSRC2:SCRATCH_EN: 0
; COMPUTE_PGM_RSRC2:USER_SGPR: 2
; COMPUTE_PGM_RSRC2:TRAP_HANDLER: 0
; COMPUTE_PGM_RSRC2:TGID_X_EN: 1
; COMPUTE_PGM_RSRC2:TGID_Y_EN: 0
; COMPUTE_PGM_RSRC2:TGID_Z_EN: 0
; COMPUTE_PGM_RSRC2:TIDIG_COMP_CNT: 0
	.section	.text._ZN7rocprim17ROCPRIM_400000_NS6detail17trampoline_kernelINS0_13select_configILj256ELj13ELNS0_17block_load_methodE3ELS4_3ELS4_3ELNS0_20block_scan_algorithmE0ELj4294967295EEENS1_25partition_config_selectorILNS1_17partition_subalgoE3EjNS0_10empty_typeEbEEZZNS1_14partition_implILS8_3ELb0ES6_jNS0_17counting_iteratorIjlEEPS9_SE_NS0_5tupleIJPjSE_EEENSF_IJSE_SE_EEES9_SG_JZNS1_25segmented_radix_sort_implINS0_14default_configELb0EPKbPbPKlPlN2at6native12_GLOBAL__N_18offset_tEEE10hipError_tPvRmT1_PNSt15iterator_traitsISY_E10value_typeET2_T3_PNSZ_IS14_E10value_typeET4_jRbjT5_S1A_jjP12ihipStream_tbEUljE_EEESV_SW_SX_S14_S18_S1A_T6_T7_T9_mT8_S1C_bDpT10_ENKUlT_T0_E_clISt17integral_constantIbLb1EES1P_EEDaS1K_S1L_EUlS1K_E_NS1_11comp_targetILNS1_3genE5ELNS1_11target_archE942ELNS1_3gpuE9ELNS1_3repE0EEENS1_30default_config_static_selectorELNS0_4arch9wavefront6targetE0EEEvSY_,"axG",@progbits,_ZN7rocprim17ROCPRIM_400000_NS6detail17trampoline_kernelINS0_13select_configILj256ELj13ELNS0_17block_load_methodE3ELS4_3ELS4_3ELNS0_20block_scan_algorithmE0ELj4294967295EEENS1_25partition_config_selectorILNS1_17partition_subalgoE3EjNS0_10empty_typeEbEEZZNS1_14partition_implILS8_3ELb0ES6_jNS0_17counting_iteratorIjlEEPS9_SE_NS0_5tupleIJPjSE_EEENSF_IJSE_SE_EEES9_SG_JZNS1_25segmented_radix_sort_implINS0_14default_configELb0EPKbPbPKlPlN2at6native12_GLOBAL__N_18offset_tEEE10hipError_tPvRmT1_PNSt15iterator_traitsISY_E10value_typeET2_T3_PNSZ_IS14_E10value_typeET4_jRbjT5_S1A_jjP12ihipStream_tbEUljE_EEESV_SW_SX_S14_S18_S1A_T6_T7_T9_mT8_S1C_bDpT10_ENKUlT_T0_E_clISt17integral_constantIbLb1EES1P_EEDaS1K_S1L_EUlS1K_E_NS1_11comp_targetILNS1_3genE5ELNS1_11target_archE942ELNS1_3gpuE9ELNS1_3repE0EEENS1_30default_config_static_selectorELNS0_4arch9wavefront6targetE0EEEvSY_,comdat
	.globl	_ZN7rocprim17ROCPRIM_400000_NS6detail17trampoline_kernelINS0_13select_configILj256ELj13ELNS0_17block_load_methodE3ELS4_3ELS4_3ELNS0_20block_scan_algorithmE0ELj4294967295EEENS1_25partition_config_selectorILNS1_17partition_subalgoE3EjNS0_10empty_typeEbEEZZNS1_14partition_implILS8_3ELb0ES6_jNS0_17counting_iteratorIjlEEPS9_SE_NS0_5tupleIJPjSE_EEENSF_IJSE_SE_EEES9_SG_JZNS1_25segmented_radix_sort_implINS0_14default_configELb0EPKbPbPKlPlN2at6native12_GLOBAL__N_18offset_tEEE10hipError_tPvRmT1_PNSt15iterator_traitsISY_E10value_typeET2_T3_PNSZ_IS14_E10value_typeET4_jRbjT5_S1A_jjP12ihipStream_tbEUljE_EEESV_SW_SX_S14_S18_S1A_T6_T7_T9_mT8_S1C_bDpT10_ENKUlT_T0_E_clISt17integral_constantIbLb1EES1P_EEDaS1K_S1L_EUlS1K_E_NS1_11comp_targetILNS1_3genE5ELNS1_11target_archE942ELNS1_3gpuE9ELNS1_3repE0EEENS1_30default_config_static_selectorELNS0_4arch9wavefront6targetE0EEEvSY_ ; -- Begin function _ZN7rocprim17ROCPRIM_400000_NS6detail17trampoline_kernelINS0_13select_configILj256ELj13ELNS0_17block_load_methodE3ELS4_3ELS4_3ELNS0_20block_scan_algorithmE0ELj4294967295EEENS1_25partition_config_selectorILNS1_17partition_subalgoE3EjNS0_10empty_typeEbEEZZNS1_14partition_implILS8_3ELb0ES6_jNS0_17counting_iteratorIjlEEPS9_SE_NS0_5tupleIJPjSE_EEENSF_IJSE_SE_EEES9_SG_JZNS1_25segmented_radix_sort_implINS0_14default_configELb0EPKbPbPKlPlN2at6native12_GLOBAL__N_18offset_tEEE10hipError_tPvRmT1_PNSt15iterator_traitsISY_E10value_typeET2_T3_PNSZ_IS14_E10value_typeET4_jRbjT5_S1A_jjP12ihipStream_tbEUljE_EEESV_SW_SX_S14_S18_S1A_T6_T7_T9_mT8_S1C_bDpT10_ENKUlT_T0_E_clISt17integral_constantIbLb1EES1P_EEDaS1K_S1L_EUlS1K_E_NS1_11comp_targetILNS1_3genE5ELNS1_11target_archE942ELNS1_3gpuE9ELNS1_3repE0EEENS1_30default_config_static_selectorELNS0_4arch9wavefront6targetE0EEEvSY_
	.p2align	8
	.type	_ZN7rocprim17ROCPRIM_400000_NS6detail17trampoline_kernelINS0_13select_configILj256ELj13ELNS0_17block_load_methodE3ELS4_3ELS4_3ELNS0_20block_scan_algorithmE0ELj4294967295EEENS1_25partition_config_selectorILNS1_17partition_subalgoE3EjNS0_10empty_typeEbEEZZNS1_14partition_implILS8_3ELb0ES6_jNS0_17counting_iteratorIjlEEPS9_SE_NS0_5tupleIJPjSE_EEENSF_IJSE_SE_EEES9_SG_JZNS1_25segmented_radix_sort_implINS0_14default_configELb0EPKbPbPKlPlN2at6native12_GLOBAL__N_18offset_tEEE10hipError_tPvRmT1_PNSt15iterator_traitsISY_E10value_typeET2_T3_PNSZ_IS14_E10value_typeET4_jRbjT5_S1A_jjP12ihipStream_tbEUljE_EEESV_SW_SX_S14_S18_S1A_T6_T7_T9_mT8_S1C_bDpT10_ENKUlT_T0_E_clISt17integral_constantIbLb1EES1P_EEDaS1K_S1L_EUlS1K_E_NS1_11comp_targetILNS1_3genE5ELNS1_11target_archE942ELNS1_3gpuE9ELNS1_3repE0EEENS1_30default_config_static_selectorELNS0_4arch9wavefront6targetE0EEEvSY_,@function
_ZN7rocprim17ROCPRIM_400000_NS6detail17trampoline_kernelINS0_13select_configILj256ELj13ELNS0_17block_load_methodE3ELS4_3ELS4_3ELNS0_20block_scan_algorithmE0ELj4294967295EEENS1_25partition_config_selectorILNS1_17partition_subalgoE3EjNS0_10empty_typeEbEEZZNS1_14partition_implILS8_3ELb0ES6_jNS0_17counting_iteratorIjlEEPS9_SE_NS0_5tupleIJPjSE_EEENSF_IJSE_SE_EEES9_SG_JZNS1_25segmented_radix_sort_implINS0_14default_configELb0EPKbPbPKlPlN2at6native12_GLOBAL__N_18offset_tEEE10hipError_tPvRmT1_PNSt15iterator_traitsISY_E10value_typeET2_T3_PNSZ_IS14_E10value_typeET4_jRbjT5_S1A_jjP12ihipStream_tbEUljE_EEESV_SW_SX_S14_S18_S1A_T6_T7_T9_mT8_S1C_bDpT10_ENKUlT_T0_E_clISt17integral_constantIbLb1EES1P_EEDaS1K_S1L_EUlS1K_E_NS1_11comp_targetILNS1_3genE5ELNS1_11target_archE942ELNS1_3gpuE9ELNS1_3repE0EEENS1_30default_config_static_selectorELNS0_4arch9wavefront6targetE0EEEvSY_: ; @_ZN7rocprim17ROCPRIM_400000_NS6detail17trampoline_kernelINS0_13select_configILj256ELj13ELNS0_17block_load_methodE3ELS4_3ELS4_3ELNS0_20block_scan_algorithmE0ELj4294967295EEENS1_25partition_config_selectorILNS1_17partition_subalgoE3EjNS0_10empty_typeEbEEZZNS1_14partition_implILS8_3ELb0ES6_jNS0_17counting_iteratorIjlEEPS9_SE_NS0_5tupleIJPjSE_EEENSF_IJSE_SE_EEES9_SG_JZNS1_25segmented_radix_sort_implINS0_14default_configELb0EPKbPbPKlPlN2at6native12_GLOBAL__N_18offset_tEEE10hipError_tPvRmT1_PNSt15iterator_traitsISY_E10value_typeET2_T3_PNSZ_IS14_E10value_typeET4_jRbjT5_S1A_jjP12ihipStream_tbEUljE_EEESV_SW_SX_S14_S18_S1A_T6_T7_T9_mT8_S1C_bDpT10_ENKUlT_T0_E_clISt17integral_constantIbLb1EES1P_EEDaS1K_S1L_EUlS1K_E_NS1_11comp_targetILNS1_3genE5ELNS1_11target_archE942ELNS1_3gpuE9ELNS1_3repE0EEENS1_30default_config_static_selectorELNS0_4arch9wavefront6targetE0EEEvSY_
; %bb.0:
	.section	.rodata,"a",@progbits
	.p2align	6, 0x0
	.amdhsa_kernel _ZN7rocprim17ROCPRIM_400000_NS6detail17trampoline_kernelINS0_13select_configILj256ELj13ELNS0_17block_load_methodE3ELS4_3ELS4_3ELNS0_20block_scan_algorithmE0ELj4294967295EEENS1_25partition_config_selectorILNS1_17partition_subalgoE3EjNS0_10empty_typeEbEEZZNS1_14partition_implILS8_3ELb0ES6_jNS0_17counting_iteratorIjlEEPS9_SE_NS0_5tupleIJPjSE_EEENSF_IJSE_SE_EEES9_SG_JZNS1_25segmented_radix_sort_implINS0_14default_configELb0EPKbPbPKlPlN2at6native12_GLOBAL__N_18offset_tEEE10hipError_tPvRmT1_PNSt15iterator_traitsISY_E10value_typeET2_T3_PNSZ_IS14_E10value_typeET4_jRbjT5_S1A_jjP12ihipStream_tbEUljE_EEESV_SW_SX_S14_S18_S1A_T6_T7_T9_mT8_S1C_bDpT10_ENKUlT_T0_E_clISt17integral_constantIbLb1EES1P_EEDaS1K_S1L_EUlS1K_E_NS1_11comp_targetILNS1_3genE5ELNS1_11target_archE942ELNS1_3gpuE9ELNS1_3repE0EEENS1_30default_config_static_selectorELNS0_4arch9wavefront6targetE0EEEvSY_
		.amdhsa_group_segment_fixed_size 0
		.amdhsa_private_segment_fixed_size 0
		.amdhsa_kernarg_size 152
		.amdhsa_user_sgpr_count 2
		.amdhsa_user_sgpr_dispatch_ptr 0
		.amdhsa_user_sgpr_queue_ptr 0
		.amdhsa_user_sgpr_kernarg_segment_ptr 1
		.amdhsa_user_sgpr_dispatch_id 0
		.amdhsa_user_sgpr_kernarg_preload_length 0
		.amdhsa_user_sgpr_kernarg_preload_offset 0
		.amdhsa_user_sgpr_private_segment_size 0
		.amdhsa_wavefront_size32 1
		.amdhsa_uses_dynamic_stack 0
		.amdhsa_enable_private_segment 0
		.amdhsa_system_sgpr_workgroup_id_x 1
		.amdhsa_system_sgpr_workgroup_id_y 0
		.amdhsa_system_sgpr_workgroup_id_z 0
		.amdhsa_system_sgpr_workgroup_info 0
		.amdhsa_system_vgpr_workitem_id 0
		.amdhsa_next_free_vgpr 1
		.amdhsa_next_free_sgpr 1
		.amdhsa_named_barrier_count 0
		.amdhsa_reserve_vcc 0
		.amdhsa_float_round_mode_32 0
		.amdhsa_float_round_mode_16_64 0
		.amdhsa_float_denorm_mode_32 3
		.amdhsa_float_denorm_mode_16_64 3
		.amdhsa_fp16_overflow 0
		.amdhsa_memory_ordered 1
		.amdhsa_forward_progress 1
		.amdhsa_inst_pref_size 0
		.amdhsa_round_robin_scheduling 0
		.amdhsa_exception_fp_ieee_invalid_op 0
		.amdhsa_exception_fp_denorm_src 0
		.amdhsa_exception_fp_ieee_div_zero 0
		.amdhsa_exception_fp_ieee_overflow 0
		.amdhsa_exception_fp_ieee_underflow 0
		.amdhsa_exception_fp_ieee_inexact 0
		.amdhsa_exception_int_div_zero 0
	.end_amdhsa_kernel
	.section	.text._ZN7rocprim17ROCPRIM_400000_NS6detail17trampoline_kernelINS0_13select_configILj256ELj13ELNS0_17block_load_methodE3ELS4_3ELS4_3ELNS0_20block_scan_algorithmE0ELj4294967295EEENS1_25partition_config_selectorILNS1_17partition_subalgoE3EjNS0_10empty_typeEbEEZZNS1_14partition_implILS8_3ELb0ES6_jNS0_17counting_iteratorIjlEEPS9_SE_NS0_5tupleIJPjSE_EEENSF_IJSE_SE_EEES9_SG_JZNS1_25segmented_radix_sort_implINS0_14default_configELb0EPKbPbPKlPlN2at6native12_GLOBAL__N_18offset_tEEE10hipError_tPvRmT1_PNSt15iterator_traitsISY_E10value_typeET2_T3_PNSZ_IS14_E10value_typeET4_jRbjT5_S1A_jjP12ihipStream_tbEUljE_EEESV_SW_SX_S14_S18_S1A_T6_T7_T9_mT8_S1C_bDpT10_ENKUlT_T0_E_clISt17integral_constantIbLb1EES1P_EEDaS1K_S1L_EUlS1K_E_NS1_11comp_targetILNS1_3genE5ELNS1_11target_archE942ELNS1_3gpuE9ELNS1_3repE0EEENS1_30default_config_static_selectorELNS0_4arch9wavefront6targetE0EEEvSY_,"axG",@progbits,_ZN7rocprim17ROCPRIM_400000_NS6detail17trampoline_kernelINS0_13select_configILj256ELj13ELNS0_17block_load_methodE3ELS4_3ELS4_3ELNS0_20block_scan_algorithmE0ELj4294967295EEENS1_25partition_config_selectorILNS1_17partition_subalgoE3EjNS0_10empty_typeEbEEZZNS1_14partition_implILS8_3ELb0ES6_jNS0_17counting_iteratorIjlEEPS9_SE_NS0_5tupleIJPjSE_EEENSF_IJSE_SE_EEES9_SG_JZNS1_25segmented_radix_sort_implINS0_14default_configELb0EPKbPbPKlPlN2at6native12_GLOBAL__N_18offset_tEEE10hipError_tPvRmT1_PNSt15iterator_traitsISY_E10value_typeET2_T3_PNSZ_IS14_E10value_typeET4_jRbjT5_S1A_jjP12ihipStream_tbEUljE_EEESV_SW_SX_S14_S18_S1A_T6_T7_T9_mT8_S1C_bDpT10_ENKUlT_T0_E_clISt17integral_constantIbLb1EES1P_EEDaS1K_S1L_EUlS1K_E_NS1_11comp_targetILNS1_3genE5ELNS1_11target_archE942ELNS1_3gpuE9ELNS1_3repE0EEENS1_30default_config_static_selectorELNS0_4arch9wavefront6targetE0EEEvSY_,comdat
.Lfunc_end1603:
	.size	_ZN7rocprim17ROCPRIM_400000_NS6detail17trampoline_kernelINS0_13select_configILj256ELj13ELNS0_17block_load_methodE3ELS4_3ELS4_3ELNS0_20block_scan_algorithmE0ELj4294967295EEENS1_25partition_config_selectorILNS1_17partition_subalgoE3EjNS0_10empty_typeEbEEZZNS1_14partition_implILS8_3ELb0ES6_jNS0_17counting_iteratorIjlEEPS9_SE_NS0_5tupleIJPjSE_EEENSF_IJSE_SE_EEES9_SG_JZNS1_25segmented_radix_sort_implINS0_14default_configELb0EPKbPbPKlPlN2at6native12_GLOBAL__N_18offset_tEEE10hipError_tPvRmT1_PNSt15iterator_traitsISY_E10value_typeET2_T3_PNSZ_IS14_E10value_typeET4_jRbjT5_S1A_jjP12ihipStream_tbEUljE_EEESV_SW_SX_S14_S18_S1A_T6_T7_T9_mT8_S1C_bDpT10_ENKUlT_T0_E_clISt17integral_constantIbLb1EES1P_EEDaS1K_S1L_EUlS1K_E_NS1_11comp_targetILNS1_3genE5ELNS1_11target_archE942ELNS1_3gpuE9ELNS1_3repE0EEENS1_30default_config_static_selectorELNS0_4arch9wavefront6targetE0EEEvSY_, .Lfunc_end1603-_ZN7rocprim17ROCPRIM_400000_NS6detail17trampoline_kernelINS0_13select_configILj256ELj13ELNS0_17block_load_methodE3ELS4_3ELS4_3ELNS0_20block_scan_algorithmE0ELj4294967295EEENS1_25partition_config_selectorILNS1_17partition_subalgoE3EjNS0_10empty_typeEbEEZZNS1_14partition_implILS8_3ELb0ES6_jNS0_17counting_iteratorIjlEEPS9_SE_NS0_5tupleIJPjSE_EEENSF_IJSE_SE_EEES9_SG_JZNS1_25segmented_radix_sort_implINS0_14default_configELb0EPKbPbPKlPlN2at6native12_GLOBAL__N_18offset_tEEE10hipError_tPvRmT1_PNSt15iterator_traitsISY_E10value_typeET2_T3_PNSZ_IS14_E10value_typeET4_jRbjT5_S1A_jjP12ihipStream_tbEUljE_EEESV_SW_SX_S14_S18_S1A_T6_T7_T9_mT8_S1C_bDpT10_ENKUlT_T0_E_clISt17integral_constantIbLb1EES1P_EEDaS1K_S1L_EUlS1K_E_NS1_11comp_targetILNS1_3genE5ELNS1_11target_archE942ELNS1_3gpuE9ELNS1_3repE0EEENS1_30default_config_static_selectorELNS0_4arch9wavefront6targetE0EEEvSY_
                                        ; -- End function
	.set _ZN7rocprim17ROCPRIM_400000_NS6detail17trampoline_kernelINS0_13select_configILj256ELj13ELNS0_17block_load_methodE3ELS4_3ELS4_3ELNS0_20block_scan_algorithmE0ELj4294967295EEENS1_25partition_config_selectorILNS1_17partition_subalgoE3EjNS0_10empty_typeEbEEZZNS1_14partition_implILS8_3ELb0ES6_jNS0_17counting_iteratorIjlEEPS9_SE_NS0_5tupleIJPjSE_EEENSF_IJSE_SE_EEES9_SG_JZNS1_25segmented_radix_sort_implINS0_14default_configELb0EPKbPbPKlPlN2at6native12_GLOBAL__N_18offset_tEEE10hipError_tPvRmT1_PNSt15iterator_traitsISY_E10value_typeET2_T3_PNSZ_IS14_E10value_typeET4_jRbjT5_S1A_jjP12ihipStream_tbEUljE_EEESV_SW_SX_S14_S18_S1A_T6_T7_T9_mT8_S1C_bDpT10_ENKUlT_T0_E_clISt17integral_constantIbLb1EES1P_EEDaS1K_S1L_EUlS1K_E_NS1_11comp_targetILNS1_3genE5ELNS1_11target_archE942ELNS1_3gpuE9ELNS1_3repE0EEENS1_30default_config_static_selectorELNS0_4arch9wavefront6targetE0EEEvSY_.num_vgpr, 0
	.set _ZN7rocprim17ROCPRIM_400000_NS6detail17trampoline_kernelINS0_13select_configILj256ELj13ELNS0_17block_load_methodE3ELS4_3ELS4_3ELNS0_20block_scan_algorithmE0ELj4294967295EEENS1_25partition_config_selectorILNS1_17partition_subalgoE3EjNS0_10empty_typeEbEEZZNS1_14partition_implILS8_3ELb0ES6_jNS0_17counting_iteratorIjlEEPS9_SE_NS0_5tupleIJPjSE_EEENSF_IJSE_SE_EEES9_SG_JZNS1_25segmented_radix_sort_implINS0_14default_configELb0EPKbPbPKlPlN2at6native12_GLOBAL__N_18offset_tEEE10hipError_tPvRmT1_PNSt15iterator_traitsISY_E10value_typeET2_T3_PNSZ_IS14_E10value_typeET4_jRbjT5_S1A_jjP12ihipStream_tbEUljE_EEESV_SW_SX_S14_S18_S1A_T6_T7_T9_mT8_S1C_bDpT10_ENKUlT_T0_E_clISt17integral_constantIbLb1EES1P_EEDaS1K_S1L_EUlS1K_E_NS1_11comp_targetILNS1_3genE5ELNS1_11target_archE942ELNS1_3gpuE9ELNS1_3repE0EEENS1_30default_config_static_selectorELNS0_4arch9wavefront6targetE0EEEvSY_.num_agpr, 0
	.set _ZN7rocprim17ROCPRIM_400000_NS6detail17trampoline_kernelINS0_13select_configILj256ELj13ELNS0_17block_load_methodE3ELS4_3ELS4_3ELNS0_20block_scan_algorithmE0ELj4294967295EEENS1_25partition_config_selectorILNS1_17partition_subalgoE3EjNS0_10empty_typeEbEEZZNS1_14partition_implILS8_3ELb0ES6_jNS0_17counting_iteratorIjlEEPS9_SE_NS0_5tupleIJPjSE_EEENSF_IJSE_SE_EEES9_SG_JZNS1_25segmented_radix_sort_implINS0_14default_configELb0EPKbPbPKlPlN2at6native12_GLOBAL__N_18offset_tEEE10hipError_tPvRmT1_PNSt15iterator_traitsISY_E10value_typeET2_T3_PNSZ_IS14_E10value_typeET4_jRbjT5_S1A_jjP12ihipStream_tbEUljE_EEESV_SW_SX_S14_S18_S1A_T6_T7_T9_mT8_S1C_bDpT10_ENKUlT_T0_E_clISt17integral_constantIbLb1EES1P_EEDaS1K_S1L_EUlS1K_E_NS1_11comp_targetILNS1_3genE5ELNS1_11target_archE942ELNS1_3gpuE9ELNS1_3repE0EEENS1_30default_config_static_selectorELNS0_4arch9wavefront6targetE0EEEvSY_.numbered_sgpr, 0
	.set _ZN7rocprim17ROCPRIM_400000_NS6detail17trampoline_kernelINS0_13select_configILj256ELj13ELNS0_17block_load_methodE3ELS4_3ELS4_3ELNS0_20block_scan_algorithmE0ELj4294967295EEENS1_25partition_config_selectorILNS1_17partition_subalgoE3EjNS0_10empty_typeEbEEZZNS1_14partition_implILS8_3ELb0ES6_jNS0_17counting_iteratorIjlEEPS9_SE_NS0_5tupleIJPjSE_EEENSF_IJSE_SE_EEES9_SG_JZNS1_25segmented_radix_sort_implINS0_14default_configELb0EPKbPbPKlPlN2at6native12_GLOBAL__N_18offset_tEEE10hipError_tPvRmT1_PNSt15iterator_traitsISY_E10value_typeET2_T3_PNSZ_IS14_E10value_typeET4_jRbjT5_S1A_jjP12ihipStream_tbEUljE_EEESV_SW_SX_S14_S18_S1A_T6_T7_T9_mT8_S1C_bDpT10_ENKUlT_T0_E_clISt17integral_constantIbLb1EES1P_EEDaS1K_S1L_EUlS1K_E_NS1_11comp_targetILNS1_3genE5ELNS1_11target_archE942ELNS1_3gpuE9ELNS1_3repE0EEENS1_30default_config_static_selectorELNS0_4arch9wavefront6targetE0EEEvSY_.num_named_barrier, 0
	.set _ZN7rocprim17ROCPRIM_400000_NS6detail17trampoline_kernelINS0_13select_configILj256ELj13ELNS0_17block_load_methodE3ELS4_3ELS4_3ELNS0_20block_scan_algorithmE0ELj4294967295EEENS1_25partition_config_selectorILNS1_17partition_subalgoE3EjNS0_10empty_typeEbEEZZNS1_14partition_implILS8_3ELb0ES6_jNS0_17counting_iteratorIjlEEPS9_SE_NS0_5tupleIJPjSE_EEENSF_IJSE_SE_EEES9_SG_JZNS1_25segmented_radix_sort_implINS0_14default_configELb0EPKbPbPKlPlN2at6native12_GLOBAL__N_18offset_tEEE10hipError_tPvRmT1_PNSt15iterator_traitsISY_E10value_typeET2_T3_PNSZ_IS14_E10value_typeET4_jRbjT5_S1A_jjP12ihipStream_tbEUljE_EEESV_SW_SX_S14_S18_S1A_T6_T7_T9_mT8_S1C_bDpT10_ENKUlT_T0_E_clISt17integral_constantIbLb1EES1P_EEDaS1K_S1L_EUlS1K_E_NS1_11comp_targetILNS1_3genE5ELNS1_11target_archE942ELNS1_3gpuE9ELNS1_3repE0EEENS1_30default_config_static_selectorELNS0_4arch9wavefront6targetE0EEEvSY_.private_seg_size, 0
	.set _ZN7rocprim17ROCPRIM_400000_NS6detail17trampoline_kernelINS0_13select_configILj256ELj13ELNS0_17block_load_methodE3ELS4_3ELS4_3ELNS0_20block_scan_algorithmE0ELj4294967295EEENS1_25partition_config_selectorILNS1_17partition_subalgoE3EjNS0_10empty_typeEbEEZZNS1_14partition_implILS8_3ELb0ES6_jNS0_17counting_iteratorIjlEEPS9_SE_NS0_5tupleIJPjSE_EEENSF_IJSE_SE_EEES9_SG_JZNS1_25segmented_radix_sort_implINS0_14default_configELb0EPKbPbPKlPlN2at6native12_GLOBAL__N_18offset_tEEE10hipError_tPvRmT1_PNSt15iterator_traitsISY_E10value_typeET2_T3_PNSZ_IS14_E10value_typeET4_jRbjT5_S1A_jjP12ihipStream_tbEUljE_EEESV_SW_SX_S14_S18_S1A_T6_T7_T9_mT8_S1C_bDpT10_ENKUlT_T0_E_clISt17integral_constantIbLb1EES1P_EEDaS1K_S1L_EUlS1K_E_NS1_11comp_targetILNS1_3genE5ELNS1_11target_archE942ELNS1_3gpuE9ELNS1_3repE0EEENS1_30default_config_static_selectorELNS0_4arch9wavefront6targetE0EEEvSY_.uses_vcc, 0
	.set _ZN7rocprim17ROCPRIM_400000_NS6detail17trampoline_kernelINS0_13select_configILj256ELj13ELNS0_17block_load_methodE3ELS4_3ELS4_3ELNS0_20block_scan_algorithmE0ELj4294967295EEENS1_25partition_config_selectorILNS1_17partition_subalgoE3EjNS0_10empty_typeEbEEZZNS1_14partition_implILS8_3ELb0ES6_jNS0_17counting_iteratorIjlEEPS9_SE_NS0_5tupleIJPjSE_EEENSF_IJSE_SE_EEES9_SG_JZNS1_25segmented_radix_sort_implINS0_14default_configELb0EPKbPbPKlPlN2at6native12_GLOBAL__N_18offset_tEEE10hipError_tPvRmT1_PNSt15iterator_traitsISY_E10value_typeET2_T3_PNSZ_IS14_E10value_typeET4_jRbjT5_S1A_jjP12ihipStream_tbEUljE_EEESV_SW_SX_S14_S18_S1A_T6_T7_T9_mT8_S1C_bDpT10_ENKUlT_T0_E_clISt17integral_constantIbLb1EES1P_EEDaS1K_S1L_EUlS1K_E_NS1_11comp_targetILNS1_3genE5ELNS1_11target_archE942ELNS1_3gpuE9ELNS1_3repE0EEENS1_30default_config_static_selectorELNS0_4arch9wavefront6targetE0EEEvSY_.uses_flat_scratch, 0
	.set _ZN7rocprim17ROCPRIM_400000_NS6detail17trampoline_kernelINS0_13select_configILj256ELj13ELNS0_17block_load_methodE3ELS4_3ELS4_3ELNS0_20block_scan_algorithmE0ELj4294967295EEENS1_25partition_config_selectorILNS1_17partition_subalgoE3EjNS0_10empty_typeEbEEZZNS1_14partition_implILS8_3ELb0ES6_jNS0_17counting_iteratorIjlEEPS9_SE_NS0_5tupleIJPjSE_EEENSF_IJSE_SE_EEES9_SG_JZNS1_25segmented_radix_sort_implINS0_14default_configELb0EPKbPbPKlPlN2at6native12_GLOBAL__N_18offset_tEEE10hipError_tPvRmT1_PNSt15iterator_traitsISY_E10value_typeET2_T3_PNSZ_IS14_E10value_typeET4_jRbjT5_S1A_jjP12ihipStream_tbEUljE_EEESV_SW_SX_S14_S18_S1A_T6_T7_T9_mT8_S1C_bDpT10_ENKUlT_T0_E_clISt17integral_constantIbLb1EES1P_EEDaS1K_S1L_EUlS1K_E_NS1_11comp_targetILNS1_3genE5ELNS1_11target_archE942ELNS1_3gpuE9ELNS1_3repE0EEENS1_30default_config_static_selectorELNS0_4arch9wavefront6targetE0EEEvSY_.has_dyn_sized_stack, 0
	.set _ZN7rocprim17ROCPRIM_400000_NS6detail17trampoline_kernelINS0_13select_configILj256ELj13ELNS0_17block_load_methodE3ELS4_3ELS4_3ELNS0_20block_scan_algorithmE0ELj4294967295EEENS1_25partition_config_selectorILNS1_17partition_subalgoE3EjNS0_10empty_typeEbEEZZNS1_14partition_implILS8_3ELb0ES6_jNS0_17counting_iteratorIjlEEPS9_SE_NS0_5tupleIJPjSE_EEENSF_IJSE_SE_EEES9_SG_JZNS1_25segmented_radix_sort_implINS0_14default_configELb0EPKbPbPKlPlN2at6native12_GLOBAL__N_18offset_tEEE10hipError_tPvRmT1_PNSt15iterator_traitsISY_E10value_typeET2_T3_PNSZ_IS14_E10value_typeET4_jRbjT5_S1A_jjP12ihipStream_tbEUljE_EEESV_SW_SX_S14_S18_S1A_T6_T7_T9_mT8_S1C_bDpT10_ENKUlT_T0_E_clISt17integral_constantIbLb1EES1P_EEDaS1K_S1L_EUlS1K_E_NS1_11comp_targetILNS1_3genE5ELNS1_11target_archE942ELNS1_3gpuE9ELNS1_3repE0EEENS1_30default_config_static_selectorELNS0_4arch9wavefront6targetE0EEEvSY_.has_recursion, 0
	.set _ZN7rocprim17ROCPRIM_400000_NS6detail17trampoline_kernelINS0_13select_configILj256ELj13ELNS0_17block_load_methodE3ELS4_3ELS4_3ELNS0_20block_scan_algorithmE0ELj4294967295EEENS1_25partition_config_selectorILNS1_17partition_subalgoE3EjNS0_10empty_typeEbEEZZNS1_14partition_implILS8_3ELb0ES6_jNS0_17counting_iteratorIjlEEPS9_SE_NS0_5tupleIJPjSE_EEENSF_IJSE_SE_EEES9_SG_JZNS1_25segmented_radix_sort_implINS0_14default_configELb0EPKbPbPKlPlN2at6native12_GLOBAL__N_18offset_tEEE10hipError_tPvRmT1_PNSt15iterator_traitsISY_E10value_typeET2_T3_PNSZ_IS14_E10value_typeET4_jRbjT5_S1A_jjP12ihipStream_tbEUljE_EEESV_SW_SX_S14_S18_S1A_T6_T7_T9_mT8_S1C_bDpT10_ENKUlT_T0_E_clISt17integral_constantIbLb1EES1P_EEDaS1K_S1L_EUlS1K_E_NS1_11comp_targetILNS1_3genE5ELNS1_11target_archE942ELNS1_3gpuE9ELNS1_3repE0EEENS1_30default_config_static_selectorELNS0_4arch9wavefront6targetE0EEEvSY_.has_indirect_call, 0
	.section	.AMDGPU.csdata,"",@progbits
; Kernel info:
; codeLenInByte = 0
; TotalNumSgprs: 0
; NumVgprs: 0
; ScratchSize: 0
; MemoryBound: 0
; FloatMode: 240
; IeeeMode: 1
; LDSByteSize: 0 bytes/workgroup (compile time only)
; SGPRBlocks: 0
; VGPRBlocks: 0
; NumSGPRsForWavesPerEU: 1
; NumVGPRsForWavesPerEU: 1
; NamedBarCnt: 0
; Occupancy: 16
; WaveLimiterHint : 0
; COMPUTE_PGM_RSRC2:SCRATCH_EN: 0
; COMPUTE_PGM_RSRC2:USER_SGPR: 2
; COMPUTE_PGM_RSRC2:TRAP_HANDLER: 0
; COMPUTE_PGM_RSRC2:TGID_X_EN: 1
; COMPUTE_PGM_RSRC2:TGID_Y_EN: 0
; COMPUTE_PGM_RSRC2:TGID_Z_EN: 0
; COMPUTE_PGM_RSRC2:TIDIG_COMP_CNT: 0
	.section	.text._ZN7rocprim17ROCPRIM_400000_NS6detail17trampoline_kernelINS0_13select_configILj256ELj13ELNS0_17block_load_methodE3ELS4_3ELS4_3ELNS0_20block_scan_algorithmE0ELj4294967295EEENS1_25partition_config_selectorILNS1_17partition_subalgoE3EjNS0_10empty_typeEbEEZZNS1_14partition_implILS8_3ELb0ES6_jNS0_17counting_iteratorIjlEEPS9_SE_NS0_5tupleIJPjSE_EEENSF_IJSE_SE_EEES9_SG_JZNS1_25segmented_radix_sort_implINS0_14default_configELb0EPKbPbPKlPlN2at6native12_GLOBAL__N_18offset_tEEE10hipError_tPvRmT1_PNSt15iterator_traitsISY_E10value_typeET2_T3_PNSZ_IS14_E10value_typeET4_jRbjT5_S1A_jjP12ihipStream_tbEUljE_EEESV_SW_SX_S14_S18_S1A_T6_T7_T9_mT8_S1C_bDpT10_ENKUlT_T0_E_clISt17integral_constantIbLb1EES1P_EEDaS1K_S1L_EUlS1K_E_NS1_11comp_targetILNS1_3genE4ELNS1_11target_archE910ELNS1_3gpuE8ELNS1_3repE0EEENS1_30default_config_static_selectorELNS0_4arch9wavefront6targetE0EEEvSY_,"axG",@progbits,_ZN7rocprim17ROCPRIM_400000_NS6detail17trampoline_kernelINS0_13select_configILj256ELj13ELNS0_17block_load_methodE3ELS4_3ELS4_3ELNS0_20block_scan_algorithmE0ELj4294967295EEENS1_25partition_config_selectorILNS1_17partition_subalgoE3EjNS0_10empty_typeEbEEZZNS1_14partition_implILS8_3ELb0ES6_jNS0_17counting_iteratorIjlEEPS9_SE_NS0_5tupleIJPjSE_EEENSF_IJSE_SE_EEES9_SG_JZNS1_25segmented_radix_sort_implINS0_14default_configELb0EPKbPbPKlPlN2at6native12_GLOBAL__N_18offset_tEEE10hipError_tPvRmT1_PNSt15iterator_traitsISY_E10value_typeET2_T3_PNSZ_IS14_E10value_typeET4_jRbjT5_S1A_jjP12ihipStream_tbEUljE_EEESV_SW_SX_S14_S18_S1A_T6_T7_T9_mT8_S1C_bDpT10_ENKUlT_T0_E_clISt17integral_constantIbLb1EES1P_EEDaS1K_S1L_EUlS1K_E_NS1_11comp_targetILNS1_3genE4ELNS1_11target_archE910ELNS1_3gpuE8ELNS1_3repE0EEENS1_30default_config_static_selectorELNS0_4arch9wavefront6targetE0EEEvSY_,comdat
	.globl	_ZN7rocprim17ROCPRIM_400000_NS6detail17trampoline_kernelINS0_13select_configILj256ELj13ELNS0_17block_load_methodE3ELS4_3ELS4_3ELNS0_20block_scan_algorithmE0ELj4294967295EEENS1_25partition_config_selectorILNS1_17partition_subalgoE3EjNS0_10empty_typeEbEEZZNS1_14partition_implILS8_3ELb0ES6_jNS0_17counting_iteratorIjlEEPS9_SE_NS0_5tupleIJPjSE_EEENSF_IJSE_SE_EEES9_SG_JZNS1_25segmented_radix_sort_implINS0_14default_configELb0EPKbPbPKlPlN2at6native12_GLOBAL__N_18offset_tEEE10hipError_tPvRmT1_PNSt15iterator_traitsISY_E10value_typeET2_T3_PNSZ_IS14_E10value_typeET4_jRbjT5_S1A_jjP12ihipStream_tbEUljE_EEESV_SW_SX_S14_S18_S1A_T6_T7_T9_mT8_S1C_bDpT10_ENKUlT_T0_E_clISt17integral_constantIbLb1EES1P_EEDaS1K_S1L_EUlS1K_E_NS1_11comp_targetILNS1_3genE4ELNS1_11target_archE910ELNS1_3gpuE8ELNS1_3repE0EEENS1_30default_config_static_selectorELNS0_4arch9wavefront6targetE0EEEvSY_ ; -- Begin function _ZN7rocprim17ROCPRIM_400000_NS6detail17trampoline_kernelINS0_13select_configILj256ELj13ELNS0_17block_load_methodE3ELS4_3ELS4_3ELNS0_20block_scan_algorithmE0ELj4294967295EEENS1_25partition_config_selectorILNS1_17partition_subalgoE3EjNS0_10empty_typeEbEEZZNS1_14partition_implILS8_3ELb0ES6_jNS0_17counting_iteratorIjlEEPS9_SE_NS0_5tupleIJPjSE_EEENSF_IJSE_SE_EEES9_SG_JZNS1_25segmented_radix_sort_implINS0_14default_configELb0EPKbPbPKlPlN2at6native12_GLOBAL__N_18offset_tEEE10hipError_tPvRmT1_PNSt15iterator_traitsISY_E10value_typeET2_T3_PNSZ_IS14_E10value_typeET4_jRbjT5_S1A_jjP12ihipStream_tbEUljE_EEESV_SW_SX_S14_S18_S1A_T6_T7_T9_mT8_S1C_bDpT10_ENKUlT_T0_E_clISt17integral_constantIbLb1EES1P_EEDaS1K_S1L_EUlS1K_E_NS1_11comp_targetILNS1_3genE4ELNS1_11target_archE910ELNS1_3gpuE8ELNS1_3repE0EEENS1_30default_config_static_selectorELNS0_4arch9wavefront6targetE0EEEvSY_
	.p2align	8
	.type	_ZN7rocprim17ROCPRIM_400000_NS6detail17trampoline_kernelINS0_13select_configILj256ELj13ELNS0_17block_load_methodE3ELS4_3ELS4_3ELNS0_20block_scan_algorithmE0ELj4294967295EEENS1_25partition_config_selectorILNS1_17partition_subalgoE3EjNS0_10empty_typeEbEEZZNS1_14partition_implILS8_3ELb0ES6_jNS0_17counting_iteratorIjlEEPS9_SE_NS0_5tupleIJPjSE_EEENSF_IJSE_SE_EEES9_SG_JZNS1_25segmented_radix_sort_implINS0_14default_configELb0EPKbPbPKlPlN2at6native12_GLOBAL__N_18offset_tEEE10hipError_tPvRmT1_PNSt15iterator_traitsISY_E10value_typeET2_T3_PNSZ_IS14_E10value_typeET4_jRbjT5_S1A_jjP12ihipStream_tbEUljE_EEESV_SW_SX_S14_S18_S1A_T6_T7_T9_mT8_S1C_bDpT10_ENKUlT_T0_E_clISt17integral_constantIbLb1EES1P_EEDaS1K_S1L_EUlS1K_E_NS1_11comp_targetILNS1_3genE4ELNS1_11target_archE910ELNS1_3gpuE8ELNS1_3repE0EEENS1_30default_config_static_selectorELNS0_4arch9wavefront6targetE0EEEvSY_,@function
_ZN7rocprim17ROCPRIM_400000_NS6detail17trampoline_kernelINS0_13select_configILj256ELj13ELNS0_17block_load_methodE3ELS4_3ELS4_3ELNS0_20block_scan_algorithmE0ELj4294967295EEENS1_25partition_config_selectorILNS1_17partition_subalgoE3EjNS0_10empty_typeEbEEZZNS1_14partition_implILS8_3ELb0ES6_jNS0_17counting_iteratorIjlEEPS9_SE_NS0_5tupleIJPjSE_EEENSF_IJSE_SE_EEES9_SG_JZNS1_25segmented_radix_sort_implINS0_14default_configELb0EPKbPbPKlPlN2at6native12_GLOBAL__N_18offset_tEEE10hipError_tPvRmT1_PNSt15iterator_traitsISY_E10value_typeET2_T3_PNSZ_IS14_E10value_typeET4_jRbjT5_S1A_jjP12ihipStream_tbEUljE_EEESV_SW_SX_S14_S18_S1A_T6_T7_T9_mT8_S1C_bDpT10_ENKUlT_T0_E_clISt17integral_constantIbLb1EES1P_EEDaS1K_S1L_EUlS1K_E_NS1_11comp_targetILNS1_3genE4ELNS1_11target_archE910ELNS1_3gpuE8ELNS1_3repE0EEENS1_30default_config_static_selectorELNS0_4arch9wavefront6targetE0EEEvSY_: ; @_ZN7rocprim17ROCPRIM_400000_NS6detail17trampoline_kernelINS0_13select_configILj256ELj13ELNS0_17block_load_methodE3ELS4_3ELS4_3ELNS0_20block_scan_algorithmE0ELj4294967295EEENS1_25partition_config_selectorILNS1_17partition_subalgoE3EjNS0_10empty_typeEbEEZZNS1_14partition_implILS8_3ELb0ES6_jNS0_17counting_iteratorIjlEEPS9_SE_NS0_5tupleIJPjSE_EEENSF_IJSE_SE_EEES9_SG_JZNS1_25segmented_radix_sort_implINS0_14default_configELb0EPKbPbPKlPlN2at6native12_GLOBAL__N_18offset_tEEE10hipError_tPvRmT1_PNSt15iterator_traitsISY_E10value_typeET2_T3_PNSZ_IS14_E10value_typeET4_jRbjT5_S1A_jjP12ihipStream_tbEUljE_EEESV_SW_SX_S14_S18_S1A_T6_T7_T9_mT8_S1C_bDpT10_ENKUlT_T0_E_clISt17integral_constantIbLb1EES1P_EEDaS1K_S1L_EUlS1K_E_NS1_11comp_targetILNS1_3genE4ELNS1_11target_archE910ELNS1_3gpuE8ELNS1_3repE0EEENS1_30default_config_static_selectorELNS0_4arch9wavefront6targetE0EEEvSY_
; %bb.0:
	.section	.rodata,"a",@progbits
	.p2align	6, 0x0
	.amdhsa_kernel _ZN7rocprim17ROCPRIM_400000_NS6detail17trampoline_kernelINS0_13select_configILj256ELj13ELNS0_17block_load_methodE3ELS4_3ELS4_3ELNS0_20block_scan_algorithmE0ELj4294967295EEENS1_25partition_config_selectorILNS1_17partition_subalgoE3EjNS0_10empty_typeEbEEZZNS1_14partition_implILS8_3ELb0ES6_jNS0_17counting_iteratorIjlEEPS9_SE_NS0_5tupleIJPjSE_EEENSF_IJSE_SE_EEES9_SG_JZNS1_25segmented_radix_sort_implINS0_14default_configELb0EPKbPbPKlPlN2at6native12_GLOBAL__N_18offset_tEEE10hipError_tPvRmT1_PNSt15iterator_traitsISY_E10value_typeET2_T3_PNSZ_IS14_E10value_typeET4_jRbjT5_S1A_jjP12ihipStream_tbEUljE_EEESV_SW_SX_S14_S18_S1A_T6_T7_T9_mT8_S1C_bDpT10_ENKUlT_T0_E_clISt17integral_constantIbLb1EES1P_EEDaS1K_S1L_EUlS1K_E_NS1_11comp_targetILNS1_3genE4ELNS1_11target_archE910ELNS1_3gpuE8ELNS1_3repE0EEENS1_30default_config_static_selectorELNS0_4arch9wavefront6targetE0EEEvSY_
		.amdhsa_group_segment_fixed_size 0
		.amdhsa_private_segment_fixed_size 0
		.amdhsa_kernarg_size 152
		.amdhsa_user_sgpr_count 2
		.amdhsa_user_sgpr_dispatch_ptr 0
		.amdhsa_user_sgpr_queue_ptr 0
		.amdhsa_user_sgpr_kernarg_segment_ptr 1
		.amdhsa_user_sgpr_dispatch_id 0
		.amdhsa_user_sgpr_kernarg_preload_length 0
		.amdhsa_user_sgpr_kernarg_preload_offset 0
		.amdhsa_user_sgpr_private_segment_size 0
		.amdhsa_wavefront_size32 1
		.amdhsa_uses_dynamic_stack 0
		.amdhsa_enable_private_segment 0
		.amdhsa_system_sgpr_workgroup_id_x 1
		.amdhsa_system_sgpr_workgroup_id_y 0
		.amdhsa_system_sgpr_workgroup_id_z 0
		.amdhsa_system_sgpr_workgroup_info 0
		.amdhsa_system_vgpr_workitem_id 0
		.amdhsa_next_free_vgpr 1
		.amdhsa_next_free_sgpr 1
		.amdhsa_named_barrier_count 0
		.amdhsa_reserve_vcc 0
		.amdhsa_float_round_mode_32 0
		.amdhsa_float_round_mode_16_64 0
		.amdhsa_float_denorm_mode_32 3
		.amdhsa_float_denorm_mode_16_64 3
		.amdhsa_fp16_overflow 0
		.amdhsa_memory_ordered 1
		.amdhsa_forward_progress 1
		.amdhsa_inst_pref_size 0
		.amdhsa_round_robin_scheduling 0
		.amdhsa_exception_fp_ieee_invalid_op 0
		.amdhsa_exception_fp_denorm_src 0
		.amdhsa_exception_fp_ieee_div_zero 0
		.amdhsa_exception_fp_ieee_overflow 0
		.amdhsa_exception_fp_ieee_underflow 0
		.amdhsa_exception_fp_ieee_inexact 0
		.amdhsa_exception_int_div_zero 0
	.end_amdhsa_kernel
	.section	.text._ZN7rocprim17ROCPRIM_400000_NS6detail17trampoline_kernelINS0_13select_configILj256ELj13ELNS0_17block_load_methodE3ELS4_3ELS4_3ELNS0_20block_scan_algorithmE0ELj4294967295EEENS1_25partition_config_selectorILNS1_17partition_subalgoE3EjNS0_10empty_typeEbEEZZNS1_14partition_implILS8_3ELb0ES6_jNS0_17counting_iteratorIjlEEPS9_SE_NS0_5tupleIJPjSE_EEENSF_IJSE_SE_EEES9_SG_JZNS1_25segmented_radix_sort_implINS0_14default_configELb0EPKbPbPKlPlN2at6native12_GLOBAL__N_18offset_tEEE10hipError_tPvRmT1_PNSt15iterator_traitsISY_E10value_typeET2_T3_PNSZ_IS14_E10value_typeET4_jRbjT5_S1A_jjP12ihipStream_tbEUljE_EEESV_SW_SX_S14_S18_S1A_T6_T7_T9_mT8_S1C_bDpT10_ENKUlT_T0_E_clISt17integral_constantIbLb1EES1P_EEDaS1K_S1L_EUlS1K_E_NS1_11comp_targetILNS1_3genE4ELNS1_11target_archE910ELNS1_3gpuE8ELNS1_3repE0EEENS1_30default_config_static_selectorELNS0_4arch9wavefront6targetE0EEEvSY_,"axG",@progbits,_ZN7rocprim17ROCPRIM_400000_NS6detail17trampoline_kernelINS0_13select_configILj256ELj13ELNS0_17block_load_methodE3ELS4_3ELS4_3ELNS0_20block_scan_algorithmE0ELj4294967295EEENS1_25partition_config_selectorILNS1_17partition_subalgoE3EjNS0_10empty_typeEbEEZZNS1_14partition_implILS8_3ELb0ES6_jNS0_17counting_iteratorIjlEEPS9_SE_NS0_5tupleIJPjSE_EEENSF_IJSE_SE_EEES9_SG_JZNS1_25segmented_radix_sort_implINS0_14default_configELb0EPKbPbPKlPlN2at6native12_GLOBAL__N_18offset_tEEE10hipError_tPvRmT1_PNSt15iterator_traitsISY_E10value_typeET2_T3_PNSZ_IS14_E10value_typeET4_jRbjT5_S1A_jjP12ihipStream_tbEUljE_EEESV_SW_SX_S14_S18_S1A_T6_T7_T9_mT8_S1C_bDpT10_ENKUlT_T0_E_clISt17integral_constantIbLb1EES1P_EEDaS1K_S1L_EUlS1K_E_NS1_11comp_targetILNS1_3genE4ELNS1_11target_archE910ELNS1_3gpuE8ELNS1_3repE0EEENS1_30default_config_static_selectorELNS0_4arch9wavefront6targetE0EEEvSY_,comdat
.Lfunc_end1604:
	.size	_ZN7rocprim17ROCPRIM_400000_NS6detail17trampoline_kernelINS0_13select_configILj256ELj13ELNS0_17block_load_methodE3ELS4_3ELS4_3ELNS0_20block_scan_algorithmE0ELj4294967295EEENS1_25partition_config_selectorILNS1_17partition_subalgoE3EjNS0_10empty_typeEbEEZZNS1_14partition_implILS8_3ELb0ES6_jNS0_17counting_iteratorIjlEEPS9_SE_NS0_5tupleIJPjSE_EEENSF_IJSE_SE_EEES9_SG_JZNS1_25segmented_radix_sort_implINS0_14default_configELb0EPKbPbPKlPlN2at6native12_GLOBAL__N_18offset_tEEE10hipError_tPvRmT1_PNSt15iterator_traitsISY_E10value_typeET2_T3_PNSZ_IS14_E10value_typeET4_jRbjT5_S1A_jjP12ihipStream_tbEUljE_EEESV_SW_SX_S14_S18_S1A_T6_T7_T9_mT8_S1C_bDpT10_ENKUlT_T0_E_clISt17integral_constantIbLb1EES1P_EEDaS1K_S1L_EUlS1K_E_NS1_11comp_targetILNS1_3genE4ELNS1_11target_archE910ELNS1_3gpuE8ELNS1_3repE0EEENS1_30default_config_static_selectorELNS0_4arch9wavefront6targetE0EEEvSY_, .Lfunc_end1604-_ZN7rocprim17ROCPRIM_400000_NS6detail17trampoline_kernelINS0_13select_configILj256ELj13ELNS0_17block_load_methodE3ELS4_3ELS4_3ELNS0_20block_scan_algorithmE0ELj4294967295EEENS1_25partition_config_selectorILNS1_17partition_subalgoE3EjNS0_10empty_typeEbEEZZNS1_14partition_implILS8_3ELb0ES6_jNS0_17counting_iteratorIjlEEPS9_SE_NS0_5tupleIJPjSE_EEENSF_IJSE_SE_EEES9_SG_JZNS1_25segmented_radix_sort_implINS0_14default_configELb0EPKbPbPKlPlN2at6native12_GLOBAL__N_18offset_tEEE10hipError_tPvRmT1_PNSt15iterator_traitsISY_E10value_typeET2_T3_PNSZ_IS14_E10value_typeET4_jRbjT5_S1A_jjP12ihipStream_tbEUljE_EEESV_SW_SX_S14_S18_S1A_T6_T7_T9_mT8_S1C_bDpT10_ENKUlT_T0_E_clISt17integral_constantIbLb1EES1P_EEDaS1K_S1L_EUlS1K_E_NS1_11comp_targetILNS1_3genE4ELNS1_11target_archE910ELNS1_3gpuE8ELNS1_3repE0EEENS1_30default_config_static_selectorELNS0_4arch9wavefront6targetE0EEEvSY_
                                        ; -- End function
	.set _ZN7rocprim17ROCPRIM_400000_NS6detail17trampoline_kernelINS0_13select_configILj256ELj13ELNS0_17block_load_methodE3ELS4_3ELS4_3ELNS0_20block_scan_algorithmE0ELj4294967295EEENS1_25partition_config_selectorILNS1_17partition_subalgoE3EjNS0_10empty_typeEbEEZZNS1_14partition_implILS8_3ELb0ES6_jNS0_17counting_iteratorIjlEEPS9_SE_NS0_5tupleIJPjSE_EEENSF_IJSE_SE_EEES9_SG_JZNS1_25segmented_radix_sort_implINS0_14default_configELb0EPKbPbPKlPlN2at6native12_GLOBAL__N_18offset_tEEE10hipError_tPvRmT1_PNSt15iterator_traitsISY_E10value_typeET2_T3_PNSZ_IS14_E10value_typeET4_jRbjT5_S1A_jjP12ihipStream_tbEUljE_EEESV_SW_SX_S14_S18_S1A_T6_T7_T9_mT8_S1C_bDpT10_ENKUlT_T0_E_clISt17integral_constantIbLb1EES1P_EEDaS1K_S1L_EUlS1K_E_NS1_11comp_targetILNS1_3genE4ELNS1_11target_archE910ELNS1_3gpuE8ELNS1_3repE0EEENS1_30default_config_static_selectorELNS0_4arch9wavefront6targetE0EEEvSY_.num_vgpr, 0
	.set _ZN7rocprim17ROCPRIM_400000_NS6detail17trampoline_kernelINS0_13select_configILj256ELj13ELNS0_17block_load_methodE3ELS4_3ELS4_3ELNS0_20block_scan_algorithmE0ELj4294967295EEENS1_25partition_config_selectorILNS1_17partition_subalgoE3EjNS0_10empty_typeEbEEZZNS1_14partition_implILS8_3ELb0ES6_jNS0_17counting_iteratorIjlEEPS9_SE_NS0_5tupleIJPjSE_EEENSF_IJSE_SE_EEES9_SG_JZNS1_25segmented_radix_sort_implINS0_14default_configELb0EPKbPbPKlPlN2at6native12_GLOBAL__N_18offset_tEEE10hipError_tPvRmT1_PNSt15iterator_traitsISY_E10value_typeET2_T3_PNSZ_IS14_E10value_typeET4_jRbjT5_S1A_jjP12ihipStream_tbEUljE_EEESV_SW_SX_S14_S18_S1A_T6_T7_T9_mT8_S1C_bDpT10_ENKUlT_T0_E_clISt17integral_constantIbLb1EES1P_EEDaS1K_S1L_EUlS1K_E_NS1_11comp_targetILNS1_3genE4ELNS1_11target_archE910ELNS1_3gpuE8ELNS1_3repE0EEENS1_30default_config_static_selectorELNS0_4arch9wavefront6targetE0EEEvSY_.num_agpr, 0
	.set _ZN7rocprim17ROCPRIM_400000_NS6detail17trampoline_kernelINS0_13select_configILj256ELj13ELNS0_17block_load_methodE3ELS4_3ELS4_3ELNS0_20block_scan_algorithmE0ELj4294967295EEENS1_25partition_config_selectorILNS1_17partition_subalgoE3EjNS0_10empty_typeEbEEZZNS1_14partition_implILS8_3ELb0ES6_jNS0_17counting_iteratorIjlEEPS9_SE_NS0_5tupleIJPjSE_EEENSF_IJSE_SE_EEES9_SG_JZNS1_25segmented_radix_sort_implINS0_14default_configELb0EPKbPbPKlPlN2at6native12_GLOBAL__N_18offset_tEEE10hipError_tPvRmT1_PNSt15iterator_traitsISY_E10value_typeET2_T3_PNSZ_IS14_E10value_typeET4_jRbjT5_S1A_jjP12ihipStream_tbEUljE_EEESV_SW_SX_S14_S18_S1A_T6_T7_T9_mT8_S1C_bDpT10_ENKUlT_T0_E_clISt17integral_constantIbLb1EES1P_EEDaS1K_S1L_EUlS1K_E_NS1_11comp_targetILNS1_3genE4ELNS1_11target_archE910ELNS1_3gpuE8ELNS1_3repE0EEENS1_30default_config_static_selectorELNS0_4arch9wavefront6targetE0EEEvSY_.numbered_sgpr, 0
	.set _ZN7rocprim17ROCPRIM_400000_NS6detail17trampoline_kernelINS0_13select_configILj256ELj13ELNS0_17block_load_methodE3ELS4_3ELS4_3ELNS0_20block_scan_algorithmE0ELj4294967295EEENS1_25partition_config_selectorILNS1_17partition_subalgoE3EjNS0_10empty_typeEbEEZZNS1_14partition_implILS8_3ELb0ES6_jNS0_17counting_iteratorIjlEEPS9_SE_NS0_5tupleIJPjSE_EEENSF_IJSE_SE_EEES9_SG_JZNS1_25segmented_radix_sort_implINS0_14default_configELb0EPKbPbPKlPlN2at6native12_GLOBAL__N_18offset_tEEE10hipError_tPvRmT1_PNSt15iterator_traitsISY_E10value_typeET2_T3_PNSZ_IS14_E10value_typeET4_jRbjT5_S1A_jjP12ihipStream_tbEUljE_EEESV_SW_SX_S14_S18_S1A_T6_T7_T9_mT8_S1C_bDpT10_ENKUlT_T0_E_clISt17integral_constantIbLb1EES1P_EEDaS1K_S1L_EUlS1K_E_NS1_11comp_targetILNS1_3genE4ELNS1_11target_archE910ELNS1_3gpuE8ELNS1_3repE0EEENS1_30default_config_static_selectorELNS0_4arch9wavefront6targetE0EEEvSY_.num_named_barrier, 0
	.set _ZN7rocprim17ROCPRIM_400000_NS6detail17trampoline_kernelINS0_13select_configILj256ELj13ELNS0_17block_load_methodE3ELS4_3ELS4_3ELNS0_20block_scan_algorithmE0ELj4294967295EEENS1_25partition_config_selectorILNS1_17partition_subalgoE3EjNS0_10empty_typeEbEEZZNS1_14partition_implILS8_3ELb0ES6_jNS0_17counting_iteratorIjlEEPS9_SE_NS0_5tupleIJPjSE_EEENSF_IJSE_SE_EEES9_SG_JZNS1_25segmented_radix_sort_implINS0_14default_configELb0EPKbPbPKlPlN2at6native12_GLOBAL__N_18offset_tEEE10hipError_tPvRmT1_PNSt15iterator_traitsISY_E10value_typeET2_T3_PNSZ_IS14_E10value_typeET4_jRbjT5_S1A_jjP12ihipStream_tbEUljE_EEESV_SW_SX_S14_S18_S1A_T6_T7_T9_mT8_S1C_bDpT10_ENKUlT_T0_E_clISt17integral_constantIbLb1EES1P_EEDaS1K_S1L_EUlS1K_E_NS1_11comp_targetILNS1_3genE4ELNS1_11target_archE910ELNS1_3gpuE8ELNS1_3repE0EEENS1_30default_config_static_selectorELNS0_4arch9wavefront6targetE0EEEvSY_.private_seg_size, 0
	.set _ZN7rocprim17ROCPRIM_400000_NS6detail17trampoline_kernelINS0_13select_configILj256ELj13ELNS0_17block_load_methodE3ELS4_3ELS4_3ELNS0_20block_scan_algorithmE0ELj4294967295EEENS1_25partition_config_selectorILNS1_17partition_subalgoE3EjNS0_10empty_typeEbEEZZNS1_14partition_implILS8_3ELb0ES6_jNS0_17counting_iteratorIjlEEPS9_SE_NS0_5tupleIJPjSE_EEENSF_IJSE_SE_EEES9_SG_JZNS1_25segmented_radix_sort_implINS0_14default_configELb0EPKbPbPKlPlN2at6native12_GLOBAL__N_18offset_tEEE10hipError_tPvRmT1_PNSt15iterator_traitsISY_E10value_typeET2_T3_PNSZ_IS14_E10value_typeET4_jRbjT5_S1A_jjP12ihipStream_tbEUljE_EEESV_SW_SX_S14_S18_S1A_T6_T7_T9_mT8_S1C_bDpT10_ENKUlT_T0_E_clISt17integral_constantIbLb1EES1P_EEDaS1K_S1L_EUlS1K_E_NS1_11comp_targetILNS1_3genE4ELNS1_11target_archE910ELNS1_3gpuE8ELNS1_3repE0EEENS1_30default_config_static_selectorELNS0_4arch9wavefront6targetE0EEEvSY_.uses_vcc, 0
	.set _ZN7rocprim17ROCPRIM_400000_NS6detail17trampoline_kernelINS0_13select_configILj256ELj13ELNS0_17block_load_methodE3ELS4_3ELS4_3ELNS0_20block_scan_algorithmE0ELj4294967295EEENS1_25partition_config_selectorILNS1_17partition_subalgoE3EjNS0_10empty_typeEbEEZZNS1_14partition_implILS8_3ELb0ES6_jNS0_17counting_iteratorIjlEEPS9_SE_NS0_5tupleIJPjSE_EEENSF_IJSE_SE_EEES9_SG_JZNS1_25segmented_radix_sort_implINS0_14default_configELb0EPKbPbPKlPlN2at6native12_GLOBAL__N_18offset_tEEE10hipError_tPvRmT1_PNSt15iterator_traitsISY_E10value_typeET2_T3_PNSZ_IS14_E10value_typeET4_jRbjT5_S1A_jjP12ihipStream_tbEUljE_EEESV_SW_SX_S14_S18_S1A_T6_T7_T9_mT8_S1C_bDpT10_ENKUlT_T0_E_clISt17integral_constantIbLb1EES1P_EEDaS1K_S1L_EUlS1K_E_NS1_11comp_targetILNS1_3genE4ELNS1_11target_archE910ELNS1_3gpuE8ELNS1_3repE0EEENS1_30default_config_static_selectorELNS0_4arch9wavefront6targetE0EEEvSY_.uses_flat_scratch, 0
	.set _ZN7rocprim17ROCPRIM_400000_NS6detail17trampoline_kernelINS0_13select_configILj256ELj13ELNS0_17block_load_methodE3ELS4_3ELS4_3ELNS0_20block_scan_algorithmE0ELj4294967295EEENS1_25partition_config_selectorILNS1_17partition_subalgoE3EjNS0_10empty_typeEbEEZZNS1_14partition_implILS8_3ELb0ES6_jNS0_17counting_iteratorIjlEEPS9_SE_NS0_5tupleIJPjSE_EEENSF_IJSE_SE_EEES9_SG_JZNS1_25segmented_radix_sort_implINS0_14default_configELb0EPKbPbPKlPlN2at6native12_GLOBAL__N_18offset_tEEE10hipError_tPvRmT1_PNSt15iterator_traitsISY_E10value_typeET2_T3_PNSZ_IS14_E10value_typeET4_jRbjT5_S1A_jjP12ihipStream_tbEUljE_EEESV_SW_SX_S14_S18_S1A_T6_T7_T9_mT8_S1C_bDpT10_ENKUlT_T0_E_clISt17integral_constantIbLb1EES1P_EEDaS1K_S1L_EUlS1K_E_NS1_11comp_targetILNS1_3genE4ELNS1_11target_archE910ELNS1_3gpuE8ELNS1_3repE0EEENS1_30default_config_static_selectorELNS0_4arch9wavefront6targetE0EEEvSY_.has_dyn_sized_stack, 0
	.set _ZN7rocprim17ROCPRIM_400000_NS6detail17trampoline_kernelINS0_13select_configILj256ELj13ELNS0_17block_load_methodE3ELS4_3ELS4_3ELNS0_20block_scan_algorithmE0ELj4294967295EEENS1_25partition_config_selectorILNS1_17partition_subalgoE3EjNS0_10empty_typeEbEEZZNS1_14partition_implILS8_3ELb0ES6_jNS0_17counting_iteratorIjlEEPS9_SE_NS0_5tupleIJPjSE_EEENSF_IJSE_SE_EEES9_SG_JZNS1_25segmented_radix_sort_implINS0_14default_configELb0EPKbPbPKlPlN2at6native12_GLOBAL__N_18offset_tEEE10hipError_tPvRmT1_PNSt15iterator_traitsISY_E10value_typeET2_T3_PNSZ_IS14_E10value_typeET4_jRbjT5_S1A_jjP12ihipStream_tbEUljE_EEESV_SW_SX_S14_S18_S1A_T6_T7_T9_mT8_S1C_bDpT10_ENKUlT_T0_E_clISt17integral_constantIbLb1EES1P_EEDaS1K_S1L_EUlS1K_E_NS1_11comp_targetILNS1_3genE4ELNS1_11target_archE910ELNS1_3gpuE8ELNS1_3repE0EEENS1_30default_config_static_selectorELNS0_4arch9wavefront6targetE0EEEvSY_.has_recursion, 0
	.set _ZN7rocprim17ROCPRIM_400000_NS6detail17trampoline_kernelINS0_13select_configILj256ELj13ELNS0_17block_load_methodE3ELS4_3ELS4_3ELNS0_20block_scan_algorithmE0ELj4294967295EEENS1_25partition_config_selectorILNS1_17partition_subalgoE3EjNS0_10empty_typeEbEEZZNS1_14partition_implILS8_3ELb0ES6_jNS0_17counting_iteratorIjlEEPS9_SE_NS0_5tupleIJPjSE_EEENSF_IJSE_SE_EEES9_SG_JZNS1_25segmented_radix_sort_implINS0_14default_configELb0EPKbPbPKlPlN2at6native12_GLOBAL__N_18offset_tEEE10hipError_tPvRmT1_PNSt15iterator_traitsISY_E10value_typeET2_T3_PNSZ_IS14_E10value_typeET4_jRbjT5_S1A_jjP12ihipStream_tbEUljE_EEESV_SW_SX_S14_S18_S1A_T6_T7_T9_mT8_S1C_bDpT10_ENKUlT_T0_E_clISt17integral_constantIbLb1EES1P_EEDaS1K_S1L_EUlS1K_E_NS1_11comp_targetILNS1_3genE4ELNS1_11target_archE910ELNS1_3gpuE8ELNS1_3repE0EEENS1_30default_config_static_selectorELNS0_4arch9wavefront6targetE0EEEvSY_.has_indirect_call, 0
	.section	.AMDGPU.csdata,"",@progbits
; Kernel info:
; codeLenInByte = 0
; TotalNumSgprs: 0
; NumVgprs: 0
; ScratchSize: 0
; MemoryBound: 0
; FloatMode: 240
; IeeeMode: 1
; LDSByteSize: 0 bytes/workgroup (compile time only)
; SGPRBlocks: 0
; VGPRBlocks: 0
; NumSGPRsForWavesPerEU: 1
; NumVGPRsForWavesPerEU: 1
; NamedBarCnt: 0
; Occupancy: 16
; WaveLimiterHint : 0
; COMPUTE_PGM_RSRC2:SCRATCH_EN: 0
; COMPUTE_PGM_RSRC2:USER_SGPR: 2
; COMPUTE_PGM_RSRC2:TRAP_HANDLER: 0
; COMPUTE_PGM_RSRC2:TGID_X_EN: 1
; COMPUTE_PGM_RSRC2:TGID_Y_EN: 0
; COMPUTE_PGM_RSRC2:TGID_Z_EN: 0
; COMPUTE_PGM_RSRC2:TIDIG_COMP_CNT: 0
	.section	.text._ZN7rocprim17ROCPRIM_400000_NS6detail17trampoline_kernelINS0_13select_configILj256ELj13ELNS0_17block_load_methodE3ELS4_3ELS4_3ELNS0_20block_scan_algorithmE0ELj4294967295EEENS1_25partition_config_selectorILNS1_17partition_subalgoE3EjNS0_10empty_typeEbEEZZNS1_14partition_implILS8_3ELb0ES6_jNS0_17counting_iteratorIjlEEPS9_SE_NS0_5tupleIJPjSE_EEENSF_IJSE_SE_EEES9_SG_JZNS1_25segmented_radix_sort_implINS0_14default_configELb0EPKbPbPKlPlN2at6native12_GLOBAL__N_18offset_tEEE10hipError_tPvRmT1_PNSt15iterator_traitsISY_E10value_typeET2_T3_PNSZ_IS14_E10value_typeET4_jRbjT5_S1A_jjP12ihipStream_tbEUljE_EEESV_SW_SX_S14_S18_S1A_T6_T7_T9_mT8_S1C_bDpT10_ENKUlT_T0_E_clISt17integral_constantIbLb1EES1P_EEDaS1K_S1L_EUlS1K_E_NS1_11comp_targetILNS1_3genE3ELNS1_11target_archE908ELNS1_3gpuE7ELNS1_3repE0EEENS1_30default_config_static_selectorELNS0_4arch9wavefront6targetE0EEEvSY_,"axG",@progbits,_ZN7rocprim17ROCPRIM_400000_NS6detail17trampoline_kernelINS0_13select_configILj256ELj13ELNS0_17block_load_methodE3ELS4_3ELS4_3ELNS0_20block_scan_algorithmE0ELj4294967295EEENS1_25partition_config_selectorILNS1_17partition_subalgoE3EjNS0_10empty_typeEbEEZZNS1_14partition_implILS8_3ELb0ES6_jNS0_17counting_iteratorIjlEEPS9_SE_NS0_5tupleIJPjSE_EEENSF_IJSE_SE_EEES9_SG_JZNS1_25segmented_radix_sort_implINS0_14default_configELb0EPKbPbPKlPlN2at6native12_GLOBAL__N_18offset_tEEE10hipError_tPvRmT1_PNSt15iterator_traitsISY_E10value_typeET2_T3_PNSZ_IS14_E10value_typeET4_jRbjT5_S1A_jjP12ihipStream_tbEUljE_EEESV_SW_SX_S14_S18_S1A_T6_T7_T9_mT8_S1C_bDpT10_ENKUlT_T0_E_clISt17integral_constantIbLb1EES1P_EEDaS1K_S1L_EUlS1K_E_NS1_11comp_targetILNS1_3genE3ELNS1_11target_archE908ELNS1_3gpuE7ELNS1_3repE0EEENS1_30default_config_static_selectorELNS0_4arch9wavefront6targetE0EEEvSY_,comdat
	.globl	_ZN7rocprim17ROCPRIM_400000_NS6detail17trampoline_kernelINS0_13select_configILj256ELj13ELNS0_17block_load_methodE3ELS4_3ELS4_3ELNS0_20block_scan_algorithmE0ELj4294967295EEENS1_25partition_config_selectorILNS1_17partition_subalgoE3EjNS0_10empty_typeEbEEZZNS1_14partition_implILS8_3ELb0ES6_jNS0_17counting_iteratorIjlEEPS9_SE_NS0_5tupleIJPjSE_EEENSF_IJSE_SE_EEES9_SG_JZNS1_25segmented_radix_sort_implINS0_14default_configELb0EPKbPbPKlPlN2at6native12_GLOBAL__N_18offset_tEEE10hipError_tPvRmT1_PNSt15iterator_traitsISY_E10value_typeET2_T3_PNSZ_IS14_E10value_typeET4_jRbjT5_S1A_jjP12ihipStream_tbEUljE_EEESV_SW_SX_S14_S18_S1A_T6_T7_T9_mT8_S1C_bDpT10_ENKUlT_T0_E_clISt17integral_constantIbLb1EES1P_EEDaS1K_S1L_EUlS1K_E_NS1_11comp_targetILNS1_3genE3ELNS1_11target_archE908ELNS1_3gpuE7ELNS1_3repE0EEENS1_30default_config_static_selectorELNS0_4arch9wavefront6targetE0EEEvSY_ ; -- Begin function _ZN7rocprim17ROCPRIM_400000_NS6detail17trampoline_kernelINS0_13select_configILj256ELj13ELNS0_17block_load_methodE3ELS4_3ELS4_3ELNS0_20block_scan_algorithmE0ELj4294967295EEENS1_25partition_config_selectorILNS1_17partition_subalgoE3EjNS0_10empty_typeEbEEZZNS1_14partition_implILS8_3ELb0ES6_jNS0_17counting_iteratorIjlEEPS9_SE_NS0_5tupleIJPjSE_EEENSF_IJSE_SE_EEES9_SG_JZNS1_25segmented_radix_sort_implINS0_14default_configELb0EPKbPbPKlPlN2at6native12_GLOBAL__N_18offset_tEEE10hipError_tPvRmT1_PNSt15iterator_traitsISY_E10value_typeET2_T3_PNSZ_IS14_E10value_typeET4_jRbjT5_S1A_jjP12ihipStream_tbEUljE_EEESV_SW_SX_S14_S18_S1A_T6_T7_T9_mT8_S1C_bDpT10_ENKUlT_T0_E_clISt17integral_constantIbLb1EES1P_EEDaS1K_S1L_EUlS1K_E_NS1_11comp_targetILNS1_3genE3ELNS1_11target_archE908ELNS1_3gpuE7ELNS1_3repE0EEENS1_30default_config_static_selectorELNS0_4arch9wavefront6targetE0EEEvSY_
	.p2align	8
	.type	_ZN7rocprim17ROCPRIM_400000_NS6detail17trampoline_kernelINS0_13select_configILj256ELj13ELNS0_17block_load_methodE3ELS4_3ELS4_3ELNS0_20block_scan_algorithmE0ELj4294967295EEENS1_25partition_config_selectorILNS1_17partition_subalgoE3EjNS0_10empty_typeEbEEZZNS1_14partition_implILS8_3ELb0ES6_jNS0_17counting_iteratorIjlEEPS9_SE_NS0_5tupleIJPjSE_EEENSF_IJSE_SE_EEES9_SG_JZNS1_25segmented_radix_sort_implINS0_14default_configELb0EPKbPbPKlPlN2at6native12_GLOBAL__N_18offset_tEEE10hipError_tPvRmT1_PNSt15iterator_traitsISY_E10value_typeET2_T3_PNSZ_IS14_E10value_typeET4_jRbjT5_S1A_jjP12ihipStream_tbEUljE_EEESV_SW_SX_S14_S18_S1A_T6_T7_T9_mT8_S1C_bDpT10_ENKUlT_T0_E_clISt17integral_constantIbLb1EES1P_EEDaS1K_S1L_EUlS1K_E_NS1_11comp_targetILNS1_3genE3ELNS1_11target_archE908ELNS1_3gpuE7ELNS1_3repE0EEENS1_30default_config_static_selectorELNS0_4arch9wavefront6targetE0EEEvSY_,@function
_ZN7rocprim17ROCPRIM_400000_NS6detail17trampoline_kernelINS0_13select_configILj256ELj13ELNS0_17block_load_methodE3ELS4_3ELS4_3ELNS0_20block_scan_algorithmE0ELj4294967295EEENS1_25partition_config_selectorILNS1_17partition_subalgoE3EjNS0_10empty_typeEbEEZZNS1_14partition_implILS8_3ELb0ES6_jNS0_17counting_iteratorIjlEEPS9_SE_NS0_5tupleIJPjSE_EEENSF_IJSE_SE_EEES9_SG_JZNS1_25segmented_radix_sort_implINS0_14default_configELb0EPKbPbPKlPlN2at6native12_GLOBAL__N_18offset_tEEE10hipError_tPvRmT1_PNSt15iterator_traitsISY_E10value_typeET2_T3_PNSZ_IS14_E10value_typeET4_jRbjT5_S1A_jjP12ihipStream_tbEUljE_EEESV_SW_SX_S14_S18_S1A_T6_T7_T9_mT8_S1C_bDpT10_ENKUlT_T0_E_clISt17integral_constantIbLb1EES1P_EEDaS1K_S1L_EUlS1K_E_NS1_11comp_targetILNS1_3genE3ELNS1_11target_archE908ELNS1_3gpuE7ELNS1_3repE0EEENS1_30default_config_static_selectorELNS0_4arch9wavefront6targetE0EEEvSY_: ; @_ZN7rocprim17ROCPRIM_400000_NS6detail17trampoline_kernelINS0_13select_configILj256ELj13ELNS0_17block_load_methodE3ELS4_3ELS4_3ELNS0_20block_scan_algorithmE0ELj4294967295EEENS1_25partition_config_selectorILNS1_17partition_subalgoE3EjNS0_10empty_typeEbEEZZNS1_14partition_implILS8_3ELb0ES6_jNS0_17counting_iteratorIjlEEPS9_SE_NS0_5tupleIJPjSE_EEENSF_IJSE_SE_EEES9_SG_JZNS1_25segmented_radix_sort_implINS0_14default_configELb0EPKbPbPKlPlN2at6native12_GLOBAL__N_18offset_tEEE10hipError_tPvRmT1_PNSt15iterator_traitsISY_E10value_typeET2_T3_PNSZ_IS14_E10value_typeET4_jRbjT5_S1A_jjP12ihipStream_tbEUljE_EEESV_SW_SX_S14_S18_S1A_T6_T7_T9_mT8_S1C_bDpT10_ENKUlT_T0_E_clISt17integral_constantIbLb1EES1P_EEDaS1K_S1L_EUlS1K_E_NS1_11comp_targetILNS1_3genE3ELNS1_11target_archE908ELNS1_3gpuE7ELNS1_3repE0EEENS1_30default_config_static_selectorELNS0_4arch9wavefront6targetE0EEEvSY_
; %bb.0:
	.section	.rodata,"a",@progbits
	.p2align	6, 0x0
	.amdhsa_kernel _ZN7rocprim17ROCPRIM_400000_NS6detail17trampoline_kernelINS0_13select_configILj256ELj13ELNS0_17block_load_methodE3ELS4_3ELS4_3ELNS0_20block_scan_algorithmE0ELj4294967295EEENS1_25partition_config_selectorILNS1_17partition_subalgoE3EjNS0_10empty_typeEbEEZZNS1_14partition_implILS8_3ELb0ES6_jNS0_17counting_iteratorIjlEEPS9_SE_NS0_5tupleIJPjSE_EEENSF_IJSE_SE_EEES9_SG_JZNS1_25segmented_radix_sort_implINS0_14default_configELb0EPKbPbPKlPlN2at6native12_GLOBAL__N_18offset_tEEE10hipError_tPvRmT1_PNSt15iterator_traitsISY_E10value_typeET2_T3_PNSZ_IS14_E10value_typeET4_jRbjT5_S1A_jjP12ihipStream_tbEUljE_EEESV_SW_SX_S14_S18_S1A_T6_T7_T9_mT8_S1C_bDpT10_ENKUlT_T0_E_clISt17integral_constantIbLb1EES1P_EEDaS1K_S1L_EUlS1K_E_NS1_11comp_targetILNS1_3genE3ELNS1_11target_archE908ELNS1_3gpuE7ELNS1_3repE0EEENS1_30default_config_static_selectorELNS0_4arch9wavefront6targetE0EEEvSY_
		.amdhsa_group_segment_fixed_size 0
		.amdhsa_private_segment_fixed_size 0
		.amdhsa_kernarg_size 152
		.amdhsa_user_sgpr_count 2
		.amdhsa_user_sgpr_dispatch_ptr 0
		.amdhsa_user_sgpr_queue_ptr 0
		.amdhsa_user_sgpr_kernarg_segment_ptr 1
		.amdhsa_user_sgpr_dispatch_id 0
		.amdhsa_user_sgpr_kernarg_preload_length 0
		.amdhsa_user_sgpr_kernarg_preload_offset 0
		.amdhsa_user_sgpr_private_segment_size 0
		.amdhsa_wavefront_size32 1
		.amdhsa_uses_dynamic_stack 0
		.amdhsa_enable_private_segment 0
		.amdhsa_system_sgpr_workgroup_id_x 1
		.amdhsa_system_sgpr_workgroup_id_y 0
		.amdhsa_system_sgpr_workgroup_id_z 0
		.amdhsa_system_sgpr_workgroup_info 0
		.amdhsa_system_vgpr_workitem_id 0
		.amdhsa_next_free_vgpr 1
		.amdhsa_next_free_sgpr 1
		.amdhsa_named_barrier_count 0
		.amdhsa_reserve_vcc 0
		.amdhsa_float_round_mode_32 0
		.amdhsa_float_round_mode_16_64 0
		.amdhsa_float_denorm_mode_32 3
		.amdhsa_float_denorm_mode_16_64 3
		.amdhsa_fp16_overflow 0
		.amdhsa_memory_ordered 1
		.amdhsa_forward_progress 1
		.amdhsa_inst_pref_size 0
		.amdhsa_round_robin_scheduling 0
		.amdhsa_exception_fp_ieee_invalid_op 0
		.amdhsa_exception_fp_denorm_src 0
		.amdhsa_exception_fp_ieee_div_zero 0
		.amdhsa_exception_fp_ieee_overflow 0
		.amdhsa_exception_fp_ieee_underflow 0
		.amdhsa_exception_fp_ieee_inexact 0
		.amdhsa_exception_int_div_zero 0
	.end_amdhsa_kernel
	.section	.text._ZN7rocprim17ROCPRIM_400000_NS6detail17trampoline_kernelINS0_13select_configILj256ELj13ELNS0_17block_load_methodE3ELS4_3ELS4_3ELNS0_20block_scan_algorithmE0ELj4294967295EEENS1_25partition_config_selectorILNS1_17partition_subalgoE3EjNS0_10empty_typeEbEEZZNS1_14partition_implILS8_3ELb0ES6_jNS0_17counting_iteratorIjlEEPS9_SE_NS0_5tupleIJPjSE_EEENSF_IJSE_SE_EEES9_SG_JZNS1_25segmented_radix_sort_implINS0_14default_configELb0EPKbPbPKlPlN2at6native12_GLOBAL__N_18offset_tEEE10hipError_tPvRmT1_PNSt15iterator_traitsISY_E10value_typeET2_T3_PNSZ_IS14_E10value_typeET4_jRbjT5_S1A_jjP12ihipStream_tbEUljE_EEESV_SW_SX_S14_S18_S1A_T6_T7_T9_mT8_S1C_bDpT10_ENKUlT_T0_E_clISt17integral_constantIbLb1EES1P_EEDaS1K_S1L_EUlS1K_E_NS1_11comp_targetILNS1_3genE3ELNS1_11target_archE908ELNS1_3gpuE7ELNS1_3repE0EEENS1_30default_config_static_selectorELNS0_4arch9wavefront6targetE0EEEvSY_,"axG",@progbits,_ZN7rocprim17ROCPRIM_400000_NS6detail17trampoline_kernelINS0_13select_configILj256ELj13ELNS0_17block_load_methodE3ELS4_3ELS4_3ELNS0_20block_scan_algorithmE0ELj4294967295EEENS1_25partition_config_selectorILNS1_17partition_subalgoE3EjNS0_10empty_typeEbEEZZNS1_14partition_implILS8_3ELb0ES6_jNS0_17counting_iteratorIjlEEPS9_SE_NS0_5tupleIJPjSE_EEENSF_IJSE_SE_EEES9_SG_JZNS1_25segmented_radix_sort_implINS0_14default_configELb0EPKbPbPKlPlN2at6native12_GLOBAL__N_18offset_tEEE10hipError_tPvRmT1_PNSt15iterator_traitsISY_E10value_typeET2_T3_PNSZ_IS14_E10value_typeET4_jRbjT5_S1A_jjP12ihipStream_tbEUljE_EEESV_SW_SX_S14_S18_S1A_T6_T7_T9_mT8_S1C_bDpT10_ENKUlT_T0_E_clISt17integral_constantIbLb1EES1P_EEDaS1K_S1L_EUlS1K_E_NS1_11comp_targetILNS1_3genE3ELNS1_11target_archE908ELNS1_3gpuE7ELNS1_3repE0EEENS1_30default_config_static_selectorELNS0_4arch9wavefront6targetE0EEEvSY_,comdat
.Lfunc_end1605:
	.size	_ZN7rocprim17ROCPRIM_400000_NS6detail17trampoline_kernelINS0_13select_configILj256ELj13ELNS0_17block_load_methodE3ELS4_3ELS4_3ELNS0_20block_scan_algorithmE0ELj4294967295EEENS1_25partition_config_selectorILNS1_17partition_subalgoE3EjNS0_10empty_typeEbEEZZNS1_14partition_implILS8_3ELb0ES6_jNS0_17counting_iteratorIjlEEPS9_SE_NS0_5tupleIJPjSE_EEENSF_IJSE_SE_EEES9_SG_JZNS1_25segmented_radix_sort_implINS0_14default_configELb0EPKbPbPKlPlN2at6native12_GLOBAL__N_18offset_tEEE10hipError_tPvRmT1_PNSt15iterator_traitsISY_E10value_typeET2_T3_PNSZ_IS14_E10value_typeET4_jRbjT5_S1A_jjP12ihipStream_tbEUljE_EEESV_SW_SX_S14_S18_S1A_T6_T7_T9_mT8_S1C_bDpT10_ENKUlT_T0_E_clISt17integral_constantIbLb1EES1P_EEDaS1K_S1L_EUlS1K_E_NS1_11comp_targetILNS1_3genE3ELNS1_11target_archE908ELNS1_3gpuE7ELNS1_3repE0EEENS1_30default_config_static_selectorELNS0_4arch9wavefront6targetE0EEEvSY_, .Lfunc_end1605-_ZN7rocprim17ROCPRIM_400000_NS6detail17trampoline_kernelINS0_13select_configILj256ELj13ELNS0_17block_load_methodE3ELS4_3ELS4_3ELNS0_20block_scan_algorithmE0ELj4294967295EEENS1_25partition_config_selectorILNS1_17partition_subalgoE3EjNS0_10empty_typeEbEEZZNS1_14partition_implILS8_3ELb0ES6_jNS0_17counting_iteratorIjlEEPS9_SE_NS0_5tupleIJPjSE_EEENSF_IJSE_SE_EEES9_SG_JZNS1_25segmented_radix_sort_implINS0_14default_configELb0EPKbPbPKlPlN2at6native12_GLOBAL__N_18offset_tEEE10hipError_tPvRmT1_PNSt15iterator_traitsISY_E10value_typeET2_T3_PNSZ_IS14_E10value_typeET4_jRbjT5_S1A_jjP12ihipStream_tbEUljE_EEESV_SW_SX_S14_S18_S1A_T6_T7_T9_mT8_S1C_bDpT10_ENKUlT_T0_E_clISt17integral_constantIbLb1EES1P_EEDaS1K_S1L_EUlS1K_E_NS1_11comp_targetILNS1_3genE3ELNS1_11target_archE908ELNS1_3gpuE7ELNS1_3repE0EEENS1_30default_config_static_selectorELNS0_4arch9wavefront6targetE0EEEvSY_
                                        ; -- End function
	.set _ZN7rocprim17ROCPRIM_400000_NS6detail17trampoline_kernelINS0_13select_configILj256ELj13ELNS0_17block_load_methodE3ELS4_3ELS4_3ELNS0_20block_scan_algorithmE0ELj4294967295EEENS1_25partition_config_selectorILNS1_17partition_subalgoE3EjNS0_10empty_typeEbEEZZNS1_14partition_implILS8_3ELb0ES6_jNS0_17counting_iteratorIjlEEPS9_SE_NS0_5tupleIJPjSE_EEENSF_IJSE_SE_EEES9_SG_JZNS1_25segmented_radix_sort_implINS0_14default_configELb0EPKbPbPKlPlN2at6native12_GLOBAL__N_18offset_tEEE10hipError_tPvRmT1_PNSt15iterator_traitsISY_E10value_typeET2_T3_PNSZ_IS14_E10value_typeET4_jRbjT5_S1A_jjP12ihipStream_tbEUljE_EEESV_SW_SX_S14_S18_S1A_T6_T7_T9_mT8_S1C_bDpT10_ENKUlT_T0_E_clISt17integral_constantIbLb1EES1P_EEDaS1K_S1L_EUlS1K_E_NS1_11comp_targetILNS1_3genE3ELNS1_11target_archE908ELNS1_3gpuE7ELNS1_3repE0EEENS1_30default_config_static_selectorELNS0_4arch9wavefront6targetE0EEEvSY_.num_vgpr, 0
	.set _ZN7rocprim17ROCPRIM_400000_NS6detail17trampoline_kernelINS0_13select_configILj256ELj13ELNS0_17block_load_methodE3ELS4_3ELS4_3ELNS0_20block_scan_algorithmE0ELj4294967295EEENS1_25partition_config_selectorILNS1_17partition_subalgoE3EjNS0_10empty_typeEbEEZZNS1_14partition_implILS8_3ELb0ES6_jNS0_17counting_iteratorIjlEEPS9_SE_NS0_5tupleIJPjSE_EEENSF_IJSE_SE_EEES9_SG_JZNS1_25segmented_radix_sort_implINS0_14default_configELb0EPKbPbPKlPlN2at6native12_GLOBAL__N_18offset_tEEE10hipError_tPvRmT1_PNSt15iterator_traitsISY_E10value_typeET2_T3_PNSZ_IS14_E10value_typeET4_jRbjT5_S1A_jjP12ihipStream_tbEUljE_EEESV_SW_SX_S14_S18_S1A_T6_T7_T9_mT8_S1C_bDpT10_ENKUlT_T0_E_clISt17integral_constantIbLb1EES1P_EEDaS1K_S1L_EUlS1K_E_NS1_11comp_targetILNS1_3genE3ELNS1_11target_archE908ELNS1_3gpuE7ELNS1_3repE0EEENS1_30default_config_static_selectorELNS0_4arch9wavefront6targetE0EEEvSY_.num_agpr, 0
	.set _ZN7rocprim17ROCPRIM_400000_NS6detail17trampoline_kernelINS0_13select_configILj256ELj13ELNS0_17block_load_methodE3ELS4_3ELS4_3ELNS0_20block_scan_algorithmE0ELj4294967295EEENS1_25partition_config_selectorILNS1_17partition_subalgoE3EjNS0_10empty_typeEbEEZZNS1_14partition_implILS8_3ELb0ES6_jNS0_17counting_iteratorIjlEEPS9_SE_NS0_5tupleIJPjSE_EEENSF_IJSE_SE_EEES9_SG_JZNS1_25segmented_radix_sort_implINS0_14default_configELb0EPKbPbPKlPlN2at6native12_GLOBAL__N_18offset_tEEE10hipError_tPvRmT1_PNSt15iterator_traitsISY_E10value_typeET2_T3_PNSZ_IS14_E10value_typeET4_jRbjT5_S1A_jjP12ihipStream_tbEUljE_EEESV_SW_SX_S14_S18_S1A_T6_T7_T9_mT8_S1C_bDpT10_ENKUlT_T0_E_clISt17integral_constantIbLb1EES1P_EEDaS1K_S1L_EUlS1K_E_NS1_11comp_targetILNS1_3genE3ELNS1_11target_archE908ELNS1_3gpuE7ELNS1_3repE0EEENS1_30default_config_static_selectorELNS0_4arch9wavefront6targetE0EEEvSY_.numbered_sgpr, 0
	.set _ZN7rocprim17ROCPRIM_400000_NS6detail17trampoline_kernelINS0_13select_configILj256ELj13ELNS0_17block_load_methodE3ELS4_3ELS4_3ELNS0_20block_scan_algorithmE0ELj4294967295EEENS1_25partition_config_selectorILNS1_17partition_subalgoE3EjNS0_10empty_typeEbEEZZNS1_14partition_implILS8_3ELb0ES6_jNS0_17counting_iteratorIjlEEPS9_SE_NS0_5tupleIJPjSE_EEENSF_IJSE_SE_EEES9_SG_JZNS1_25segmented_radix_sort_implINS0_14default_configELb0EPKbPbPKlPlN2at6native12_GLOBAL__N_18offset_tEEE10hipError_tPvRmT1_PNSt15iterator_traitsISY_E10value_typeET2_T3_PNSZ_IS14_E10value_typeET4_jRbjT5_S1A_jjP12ihipStream_tbEUljE_EEESV_SW_SX_S14_S18_S1A_T6_T7_T9_mT8_S1C_bDpT10_ENKUlT_T0_E_clISt17integral_constantIbLb1EES1P_EEDaS1K_S1L_EUlS1K_E_NS1_11comp_targetILNS1_3genE3ELNS1_11target_archE908ELNS1_3gpuE7ELNS1_3repE0EEENS1_30default_config_static_selectorELNS0_4arch9wavefront6targetE0EEEvSY_.num_named_barrier, 0
	.set _ZN7rocprim17ROCPRIM_400000_NS6detail17trampoline_kernelINS0_13select_configILj256ELj13ELNS0_17block_load_methodE3ELS4_3ELS4_3ELNS0_20block_scan_algorithmE0ELj4294967295EEENS1_25partition_config_selectorILNS1_17partition_subalgoE3EjNS0_10empty_typeEbEEZZNS1_14partition_implILS8_3ELb0ES6_jNS0_17counting_iteratorIjlEEPS9_SE_NS0_5tupleIJPjSE_EEENSF_IJSE_SE_EEES9_SG_JZNS1_25segmented_radix_sort_implINS0_14default_configELb0EPKbPbPKlPlN2at6native12_GLOBAL__N_18offset_tEEE10hipError_tPvRmT1_PNSt15iterator_traitsISY_E10value_typeET2_T3_PNSZ_IS14_E10value_typeET4_jRbjT5_S1A_jjP12ihipStream_tbEUljE_EEESV_SW_SX_S14_S18_S1A_T6_T7_T9_mT8_S1C_bDpT10_ENKUlT_T0_E_clISt17integral_constantIbLb1EES1P_EEDaS1K_S1L_EUlS1K_E_NS1_11comp_targetILNS1_3genE3ELNS1_11target_archE908ELNS1_3gpuE7ELNS1_3repE0EEENS1_30default_config_static_selectorELNS0_4arch9wavefront6targetE0EEEvSY_.private_seg_size, 0
	.set _ZN7rocprim17ROCPRIM_400000_NS6detail17trampoline_kernelINS0_13select_configILj256ELj13ELNS0_17block_load_methodE3ELS4_3ELS4_3ELNS0_20block_scan_algorithmE0ELj4294967295EEENS1_25partition_config_selectorILNS1_17partition_subalgoE3EjNS0_10empty_typeEbEEZZNS1_14partition_implILS8_3ELb0ES6_jNS0_17counting_iteratorIjlEEPS9_SE_NS0_5tupleIJPjSE_EEENSF_IJSE_SE_EEES9_SG_JZNS1_25segmented_radix_sort_implINS0_14default_configELb0EPKbPbPKlPlN2at6native12_GLOBAL__N_18offset_tEEE10hipError_tPvRmT1_PNSt15iterator_traitsISY_E10value_typeET2_T3_PNSZ_IS14_E10value_typeET4_jRbjT5_S1A_jjP12ihipStream_tbEUljE_EEESV_SW_SX_S14_S18_S1A_T6_T7_T9_mT8_S1C_bDpT10_ENKUlT_T0_E_clISt17integral_constantIbLb1EES1P_EEDaS1K_S1L_EUlS1K_E_NS1_11comp_targetILNS1_3genE3ELNS1_11target_archE908ELNS1_3gpuE7ELNS1_3repE0EEENS1_30default_config_static_selectorELNS0_4arch9wavefront6targetE0EEEvSY_.uses_vcc, 0
	.set _ZN7rocprim17ROCPRIM_400000_NS6detail17trampoline_kernelINS0_13select_configILj256ELj13ELNS0_17block_load_methodE3ELS4_3ELS4_3ELNS0_20block_scan_algorithmE0ELj4294967295EEENS1_25partition_config_selectorILNS1_17partition_subalgoE3EjNS0_10empty_typeEbEEZZNS1_14partition_implILS8_3ELb0ES6_jNS0_17counting_iteratorIjlEEPS9_SE_NS0_5tupleIJPjSE_EEENSF_IJSE_SE_EEES9_SG_JZNS1_25segmented_radix_sort_implINS0_14default_configELb0EPKbPbPKlPlN2at6native12_GLOBAL__N_18offset_tEEE10hipError_tPvRmT1_PNSt15iterator_traitsISY_E10value_typeET2_T3_PNSZ_IS14_E10value_typeET4_jRbjT5_S1A_jjP12ihipStream_tbEUljE_EEESV_SW_SX_S14_S18_S1A_T6_T7_T9_mT8_S1C_bDpT10_ENKUlT_T0_E_clISt17integral_constantIbLb1EES1P_EEDaS1K_S1L_EUlS1K_E_NS1_11comp_targetILNS1_3genE3ELNS1_11target_archE908ELNS1_3gpuE7ELNS1_3repE0EEENS1_30default_config_static_selectorELNS0_4arch9wavefront6targetE0EEEvSY_.uses_flat_scratch, 0
	.set _ZN7rocprim17ROCPRIM_400000_NS6detail17trampoline_kernelINS0_13select_configILj256ELj13ELNS0_17block_load_methodE3ELS4_3ELS4_3ELNS0_20block_scan_algorithmE0ELj4294967295EEENS1_25partition_config_selectorILNS1_17partition_subalgoE3EjNS0_10empty_typeEbEEZZNS1_14partition_implILS8_3ELb0ES6_jNS0_17counting_iteratorIjlEEPS9_SE_NS0_5tupleIJPjSE_EEENSF_IJSE_SE_EEES9_SG_JZNS1_25segmented_radix_sort_implINS0_14default_configELb0EPKbPbPKlPlN2at6native12_GLOBAL__N_18offset_tEEE10hipError_tPvRmT1_PNSt15iterator_traitsISY_E10value_typeET2_T3_PNSZ_IS14_E10value_typeET4_jRbjT5_S1A_jjP12ihipStream_tbEUljE_EEESV_SW_SX_S14_S18_S1A_T6_T7_T9_mT8_S1C_bDpT10_ENKUlT_T0_E_clISt17integral_constantIbLb1EES1P_EEDaS1K_S1L_EUlS1K_E_NS1_11comp_targetILNS1_3genE3ELNS1_11target_archE908ELNS1_3gpuE7ELNS1_3repE0EEENS1_30default_config_static_selectorELNS0_4arch9wavefront6targetE0EEEvSY_.has_dyn_sized_stack, 0
	.set _ZN7rocprim17ROCPRIM_400000_NS6detail17trampoline_kernelINS0_13select_configILj256ELj13ELNS0_17block_load_methodE3ELS4_3ELS4_3ELNS0_20block_scan_algorithmE0ELj4294967295EEENS1_25partition_config_selectorILNS1_17partition_subalgoE3EjNS0_10empty_typeEbEEZZNS1_14partition_implILS8_3ELb0ES6_jNS0_17counting_iteratorIjlEEPS9_SE_NS0_5tupleIJPjSE_EEENSF_IJSE_SE_EEES9_SG_JZNS1_25segmented_radix_sort_implINS0_14default_configELb0EPKbPbPKlPlN2at6native12_GLOBAL__N_18offset_tEEE10hipError_tPvRmT1_PNSt15iterator_traitsISY_E10value_typeET2_T3_PNSZ_IS14_E10value_typeET4_jRbjT5_S1A_jjP12ihipStream_tbEUljE_EEESV_SW_SX_S14_S18_S1A_T6_T7_T9_mT8_S1C_bDpT10_ENKUlT_T0_E_clISt17integral_constantIbLb1EES1P_EEDaS1K_S1L_EUlS1K_E_NS1_11comp_targetILNS1_3genE3ELNS1_11target_archE908ELNS1_3gpuE7ELNS1_3repE0EEENS1_30default_config_static_selectorELNS0_4arch9wavefront6targetE0EEEvSY_.has_recursion, 0
	.set _ZN7rocprim17ROCPRIM_400000_NS6detail17trampoline_kernelINS0_13select_configILj256ELj13ELNS0_17block_load_methodE3ELS4_3ELS4_3ELNS0_20block_scan_algorithmE0ELj4294967295EEENS1_25partition_config_selectorILNS1_17partition_subalgoE3EjNS0_10empty_typeEbEEZZNS1_14partition_implILS8_3ELb0ES6_jNS0_17counting_iteratorIjlEEPS9_SE_NS0_5tupleIJPjSE_EEENSF_IJSE_SE_EEES9_SG_JZNS1_25segmented_radix_sort_implINS0_14default_configELb0EPKbPbPKlPlN2at6native12_GLOBAL__N_18offset_tEEE10hipError_tPvRmT1_PNSt15iterator_traitsISY_E10value_typeET2_T3_PNSZ_IS14_E10value_typeET4_jRbjT5_S1A_jjP12ihipStream_tbEUljE_EEESV_SW_SX_S14_S18_S1A_T6_T7_T9_mT8_S1C_bDpT10_ENKUlT_T0_E_clISt17integral_constantIbLb1EES1P_EEDaS1K_S1L_EUlS1K_E_NS1_11comp_targetILNS1_3genE3ELNS1_11target_archE908ELNS1_3gpuE7ELNS1_3repE0EEENS1_30default_config_static_selectorELNS0_4arch9wavefront6targetE0EEEvSY_.has_indirect_call, 0
	.section	.AMDGPU.csdata,"",@progbits
; Kernel info:
; codeLenInByte = 0
; TotalNumSgprs: 0
; NumVgprs: 0
; ScratchSize: 0
; MemoryBound: 0
; FloatMode: 240
; IeeeMode: 1
; LDSByteSize: 0 bytes/workgroup (compile time only)
; SGPRBlocks: 0
; VGPRBlocks: 0
; NumSGPRsForWavesPerEU: 1
; NumVGPRsForWavesPerEU: 1
; NamedBarCnt: 0
; Occupancy: 16
; WaveLimiterHint : 0
; COMPUTE_PGM_RSRC2:SCRATCH_EN: 0
; COMPUTE_PGM_RSRC2:USER_SGPR: 2
; COMPUTE_PGM_RSRC2:TRAP_HANDLER: 0
; COMPUTE_PGM_RSRC2:TGID_X_EN: 1
; COMPUTE_PGM_RSRC2:TGID_Y_EN: 0
; COMPUTE_PGM_RSRC2:TGID_Z_EN: 0
; COMPUTE_PGM_RSRC2:TIDIG_COMP_CNT: 0
	.section	.text._ZN7rocprim17ROCPRIM_400000_NS6detail17trampoline_kernelINS0_13select_configILj256ELj13ELNS0_17block_load_methodE3ELS4_3ELS4_3ELNS0_20block_scan_algorithmE0ELj4294967295EEENS1_25partition_config_selectorILNS1_17partition_subalgoE3EjNS0_10empty_typeEbEEZZNS1_14partition_implILS8_3ELb0ES6_jNS0_17counting_iteratorIjlEEPS9_SE_NS0_5tupleIJPjSE_EEENSF_IJSE_SE_EEES9_SG_JZNS1_25segmented_radix_sort_implINS0_14default_configELb0EPKbPbPKlPlN2at6native12_GLOBAL__N_18offset_tEEE10hipError_tPvRmT1_PNSt15iterator_traitsISY_E10value_typeET2_T3_PNSZ_IS14_E10value_typeET4_jRbjT5_S1A_jjP12ihipStream_tbEUljE_EEESV_SW_SX_S14_S18_S1A_T6_T7_T9_mT8_S1C_bDpT10_ENKUlT_T0_E_clISt17integral_constantIbLb1EES1P_EEDaS1K_S1L_EUlS1K_E_NS1_11comp_targetILNS1_3genE2ELNS1_11target_archE906ELNS1_3gpuE6ELNS1_3repE0EEENS1_30default_config_static_selectorELNS0_4arch9wavefront6targetE0EEEvSY_,"axG",@progbits,_ZN7rocprim17ROCPRIM_400000_NS6detail17trampoline_kernelINS0_13select_configILj256ELj13ELNS0_17block_load_methodE3ELS4_3ELS4_3ELNS0_20block_scan_algorithmE0ELj4294967295EEENS1_25partition_config_selectorILNS1_17partition_subalgoE3EjNS0_10empty_typeEbEEZZNS1_14partition_implILS8_3ELb0ES6_jNS0_17counting_iteratorIjlEEPS9_SE_NS0_5tupleIJPjSE_EEENSF_IJSE_SE_EEES9_SG_JZNS1_25segmented_radix_sort_implINS0_14default_configELb0EPKbPbPKlPlN2at6native12_GLOBAL__N_18offset_tEEE10hipError_tPvRmT1_PNSt15iterator_traitsISY_E10value_typeET2_T3_PNSZ_IS14_E10value_typeET4_jRbjT5_S1A_jjP12ihipStream_tbEUljE_EEESV_SW_SX_S14_S18_S1A_T6_T7_T9_mT8_S1C_bDpT10_ENKUlT_T0_E_clISt17integral_constantIbLb1EES1P_EEDaS1K_S1L_EUlS1K_E_NS1_11comp_targetILNS1_3genE2ELNS1_11target_archE906ELNS1_3gpuE6ELNS1_3repE0EEENS1_30default_config_static_selectorELNS0_4arch9wavefront6targetE0EEEvSY_,comdat
	.globl	_ZN7rocprim17ROCPRIM_400000_NS6detail17trampoline_kernelINS0_13select_configILj256ELj13ELNS0_17block_load_methodE3ELS4_3ELS4_3ELNS0_20block_scan_algorithmE0ELj4294967295EEENS1_25partition_config_selectorILNS1_17partition_subalgoE3EjNS0_10empty_typeEbEEZZNS1_14partition_implILS8_3ELb0ES6_jNS0_17counting_iteratorIjlEEPS9_SE_NS0_5tupleIJPjSE_EEENSF_IJSE_SE_EEES9_SG_JZNS1_25segmented_radix_sort_implINS0_14default_configELb0EPKbPbPKlPlN2at6native12_GLOBAL__N_18offset_tEEE10hipError_tPvRmT1_PNSt15iterator_traitsISY_E10value_typeET2_T3_PNSZ_IS14_E10value_typeET4_jRbjT5_S1A_jjP12ihipStream_tbEUljE_EEESV_SW_SX_S14_S18_S1A_T6_T7_T9_mT8_S1C_bDpT10_ENKUlT_T0_E_clISt17integral_constantIbLb1EES1P_EEDaS1K_S1L_EUlS1K_E_NS1_11comp_targetILNS1_3genE2ELNS1_11target_archE906ELNS1_3gpuE6ELNS1_3repE0EEENS1_30default_config_static_selectorELNS0_4arch9wavefront6targetE0EEEvSY_ ; -- Begin function _ZN7rocprim17ROCPRIM_400000_NS6detail17trampoline_kernelINS0_13select_configILj256ELj13ELNS0_17block_load_methodE3ELS4_3ELS4_3ELNS0_20block_scan_algorithmE0ELj4294967295EEENS1_25partition_config_selectorILNS1_17partition_subalgoE3EjNS0_10empty_typeEbEEZZNS1_14partition_implILS8_3ELb0ES6_jNS0_17counting_iteratorIjlEEPS9_SE_NS0_5tupleIJPjSE_EEENSF_IJSE_SE_EEES9_SG_JZNS1_25segmented_radix_sort_implINS0_14default_configELb0EPKbPbPKlPlN2at6native12_GLOBAL__N_18offset_tEEE10hipError_tPvRmT1_PNSt15iterator_traitsISY_E10value_typeET2_T3_PNSZ_IS14_E10value_typeET4_jRbjT5_S1A_jjP12ihipStream_tbEUljE_EEESV_SW_SX_S14_S18_S1A_T6_T7_T9_mT8_S1C_bDpT10_ENKUlT_T0_E_clISt17integral_constantIbLb1EES1P_EEDaS1K_S1L_EUlS1K_E_NS1_11comp_targetILNS1_3genE2ELNS1_11target_archE906ELNS1_3gpuE6ELNS1_3repE0EEENS1_30default_config_static_selectorELNS0_4arch9wavefront6targetE0EEEvSY_
	.p2align	8
	.type	_ZN7rocprim17ROCPRIM_400000_NS6detail17trampoline_kernelINS0_13select_configILj256ELj13ELNS0_17block_load_methodE3ELS4_3ELS4_3ELNS0_20block_scan_algorithmE0ELj4294967295EEENS1_25partition_config_selectorILNS1_17partition_subalgoE3EjNS0_10empty_typeEbEEZZNS1_14partition_implILS8_3ELb0ES6_jNS0_17counting_iteratorIjlEEPS9_SE_NS0_5tupleIJPjSE_EEENSF_IJSE_SE_EEES9_SG_JZNS1_25segmented_radix_sort_implINS0_14default_configELb0EPKbPbPKlPlN2at6native12_GLOBAL__N_18offset_tEEE10hipError_tPvRmT1_PNSt15iterator_traitsISY_E10value_typeET2_T3_PNSZ_IS14_E10value_typeET4_jRbjT5_S1A_jjP12ihipStream_tbEUljE_EEESV_SW_SX_S14_S18_S1A_T6_T7_T9_mT8_S1C_bDpT10_ENKUlT_T0_E_clISt17integral_constantIbLb1EES1P_EEDaS1K_S1L_EUlS1K_E_NS1_11comp_targetILNS1_3genE2ELNS1_11target_archE906ELNS1_3gpuE6ELNS1_3repE0EEENS1_30default_config_static_selectorELNS0_4arch9wavefront6targetE0EEEvSY_,@function
_ZN7rocprim17ROCPRIM_400000_NS6detail17trampoline_kernelINS0_13select_configILj256ELj13ELNS0_17block_load_methodE3ELS4_3ELS4_3ELNS0_20block_scan_algorithmE0ELj4294967295EEENS1_25partition_config_selectorILNS1_17partition_subalgoE3EjNS0_10empty_typeEbEEZZNS1_14partition_implILS8_3ELb0ES6_jNS0_17counting_iteratorIjlEEPS9_SE_NS0_5tupleIJPjSE_EEENSF_IJSE_SE_EEES9_SG_JZNS1_25segmented_radix_sort_implINS0_14default_configELb0EPKbPbPKlPlN2at6native12_GLOBAL__N_18offset_tEEE10hipError_tPvRmT1_PNSt15iterator_traitsISY_E10value_typeET2_T3_PNSZ_IS14_E10value_typeET4_jRbjT5_S1A_jjP12ihipStream_tbEUljE_EEESV_SW_SX_S14_S18_S1A_T6_T7_T9_mT8_S1C_bDpT10_ENKUlT_T0_E_clISt17integral_constantIbLb1EES1P_EEDaS1K_S1L_EUlS1K_E_NS1_11comp_targetILNS1_3genE2ELNS1_11target_archE906ELNS1_3gpuE6ELNS1_3repE0EEENS1_30default_config_static_selectorELNS0_4arch9wavefront6targetE0EEEvSY_: ; @_ZN7rocprim17ROCPRIM_400000_NS6detail17trampoline_kernelINS0_13select_configILj256ELj13ELNS0_17block_load_methodE3ELS4_3ELS4_3ELNS0_20block_scan_algorithmE0ELj4294967295EEENS1_25partition_config_selectorILNS1_17partition_subalgoE3EjNS0_10empty_typeEbEEZZNS1_14partition_implILS8_3ELb0ES6_jNS0_17counting_iteratorIjlEEPS9_SE_NS0_5tupleIJPjSE_EEENSF_IJSE_SE_EEES9_SG_JZNS1_25segmented_radix_sort_implINS0_14default_configELb0EPKbPbPKlPlN2at6native12_GLOBAL__N_18offset_tEEE10hipError_tPvRmT1_PNSt15iterator_traitsISY_E10value_typeET2_T3_PNSZ_IS14_E10value_typeET4_jRbjT5_S1A_jjP12ihipStream_tbEUljE_EEESV_SW_SX_S14_S18_S1A_T6_T7_T9_mT8_S1C_bDpT10_ENKUlT_T0_E_clISt17integral_constantIbLb1EES1P_EEDaS1K_S1L_EUlS1K_E_NS1_11comp_targetILNS1_3genE2ELNS1_11target_archE906ELNS1_3gpuE6ELNS1_3repE0EEENS1_30default_config_static_selectorELNS0_4arch9wavefront6targetE0EEEvSY_
; %bb.0:
	.section	.rodata,"a",@progbits
	.p2align	6, 0x0
	.amdhsa_kernel _ZN7rocprim17ROCPRIM_400000_NS6detail17trampoline_kernelINS0_13select_configILj256ELj13ELNS0_17block_load_methodE3ELS4_3ELS4_3ELNS0_20block_scan_algorithmE0ELj4294967295EEENS1_25partition_config_selectorILNS1_17partition_subalgoE3EjNS0_10empty_typeEbEEZZNS1_14partition_implILS8_3ELb0ES6_jNS0_17counting_iteratorIjlEEPS9_SE_NS0_5tupleIJPjSE_EEENSF_IJSE_SE_EEES9_SG_JZNS1_25segmented_radix_sort_implINS0_14default_configELb0EPKbPbPKlPlN2at6native12_GLOBAL__N_18offset_tEEE10hipError_tPvRmT1_PNSt15iterator_traitsISY_E10value_typeET2_T3_PNSZ_IS14_E10value_typeET4_jRbjT5_S1A_jjP12ihipStream_tbEUljE_EEESV_SW_SX_S14_S18_S1A_T6_T7_T9_mT8_S1C_bDpT10_ENKUlT_T0_E_clISt17integral_constantIbLb1EES1P_EEDaS1K_S1L_EUlS1K_E_NS1_11comp_targetILNS1_3genE2ELNS1_11target_archE906ELNS1_3gpuE6ELNS1_3repE0EEENS1_30default_config_static_selectorELNS0_4arch9wavefront6targetE0EEEvSY_
		.amdhsa_group_segment_fixed_size 0
		.amdhsa_private_segment_fixed_size 0
		.amdhsa_kernarg_size 152
		.amdhsa_user_sgpr_count 2
		.amdhsa_user_sgpr_dispatch_ptr 0
		.amdhsa_user_sgpr_queue_ptr 0
		.amdhsa_user_sgpr_kernarg_segment_ptr 1
		.amdhsa_user_sgpr_dispatch_id 0
		.amdhsa_user_sgpr_kernarg_preload_length 0
		.amdhsa_user_sgpr_kernarg_preload_offset 0
		.amdhsa_user_sgpr_private_segment_size 0
		.amdhsa_wavefront_size32 1
		.amdhsa_uses_dynamic_stack 0
		.amdhsa_enable_private_segment 0
		.amdhsa_system_sgpr_workgroup_id_x 1
		.amdhsa_system_sgpr_workgroup_id_y 0
		.amdhsa_system_sgpr_workgroup_id_z 0
		.amdhsa_system_sgpr_workgroup_info 0
		.amdhsa_system_vgpr_workitem_id 0
		.amdhsa_next_free_vgpr 1
		.amdhsa_next_free_sgpr 1
		.amdhsa_named_barrier_count 0
		.amdhsa_reserve_vcc 0
		.amdhsa_float_round_mode_32 0
		.amdhsa_float_round_mode_16_64 0
		.amdhsa_float_denorm_mode_32 3
		.amdhsa_float_denorm_mode_16_64 3
		.amdhsa_fp16_overflow 0
		.amdhsa_memory_ordered 1
		.amdhsa_forward_progress 1
		.amdhsa_inst_pref_size 0
		.amdhsa_round_robin_scheduling 0
		.amdhsa_exception_fp_ieee_invalid_op 0
		.amdhsa_exception_fp_denorm_src 0
		.amdhsa_exception_fp_ieee_div_zero 0
		.amdhsa_exception_fp_ieee_overflow 0
		.amdhsa_exception_fp_ieee_underflow 0
		.amdhsa_exception_fp_ieee_inexact 0
		.amdhsa_exception_int_div_zero 0
	.end_amdhsa_kernel
	.section	.text._ZN7rocprim17ROCPRIM_400000_NS6detail17trampoline_kernelINS0_13select_configILj256ELj13ELNS0_17block_load_methodE3ELS4_3ELS4_3ELNS0_20block_scan_algorithmE0ELj4294967295EEENS1_25partition_config_selectorILNS1_17partition_subalgoE3EjNS0_10empty_typeEbEEZZNS1_14partition_implILS8_3ELb0ES6_jNS0_17counting_iteratorIjlEEPS9_SE_NS0_5tupleIJPjSE_EEENSF_IJSE_SE_EEES9_SG_JZNS1_25segmented_radix_sort_implINS0_14default_configELb0EPKbPbPKlPlN2at6native12_GLOBAL__N_18offset_tEEE10hipError_tPvRmT1_PNSt15iterator_traitsISY_E10value_typeET2_T3_PNSZ_IS14_E10value_typeET4_jRbjT5_S1A_jjP12ihipStream_tbEUljE_EEESV_SW_SX_S14_S18_S1A_T6_T7_T9_mT8_S1C_bDpT10_ENKUlT_T0_E_clISt17integral_constantIbLb1EES1P_EEDaS1K_S1L_EUlS1K_E_NS1_11comp_targetILNS1_3genE2ELNS1_11target_archE906ELNS1_3gpuE6ELNS1_3repE0EEENS1_30default_config_static_selectorELNS0_4arch9wavefront6targetE0EEEvSY_,"axG",@progbits,_ZN7rocprim17ROCPRIM_400000_NS6detail17trampoline_kernelINS0_13select_configILj256ELj13ELNS0_17block_load_methodE3ELS4_3ELS4_3ELNS0_20block_scan_algorithmE0ELj4294967295EEENS1_25partition_config_selectorILNS1_17partition_subalgoE3EjNS0_10empty_typeEbEEZZNS1_14partition_implILS8_3ELb0ES6_jNS0_17counting_iteratorIjlEEPS9_SE_NS0_5tupleIJPjSE_EEENSF_IJSE_SE_EEES9_SG_JZNS1_25segmented_radix_sort_implINS0_14default_configELb0EPKbPbPKlPlN2at6native12_GLOBAL__N_18offset_tEEE10hipError_tPvRmT1_PNSt15iterator_traitsISY_E10value_typeET2_T3_PNSZ_IS14_E10value_typeET4_jRbjT5_S1A_jjP12ihipStream_tbEUljE_EEESV_SW_SX_S14_S18_S1A_T6_T7_T9_mT8_S1C_bDpT10_ENKUlT_T0_E_clISt17integral_constantIbLb1EES1P_EEDaS1K_S1L_EUlS1K_E_NS1_11comp_targetILNS1_3genE2ELNS1_11target_archE906ELNS1_3gpuE6ELNS1_3repE0EEENS1_30default_config_static_selectorELNS0_4arch9wavefront6targetE0EEEvSY_,comdat
.Lfunc_end1606:
	.size	_ZN7rocprim17ROCPRIM_400000_NS6detail17trampoline_kernelINS0_13select_configILj256ELj13ELNS0_17block_load_methodE3ELS4_3ELS4_3ELNS0_20block_scan_algorithmE0ELj4294967295EEENS1_25partition_config_selectorILNS1_17partition_subalgoE3EjNS0_10empty_typeEbEEZZNS1_14partition_implILS8_3ELb0ES6_jNS0_17counting_iteratorIjlEEPS9_SE_NS0_5tupleIJPjSE_EEENSF_IJSE_SE_EEES9_SG_JZNS1_25segmented_radix_sort_implINS0_14default_configELb0EPKbPbPKlPlN2at6native12_GLOBAL__N_18offset_tEEE10hipError_tPvRmT1_PNSt15iterator_traitsISY_E10value_typeET2_T3_PNSZ_IS14_E10value_typeET4_jRbjT5_S1A_jjP12ihipStream_tbEUljE_EEESV_SW_SX_S14_S18_S1A_T6_T7_T9_mT8_S1C_bDpT10_ENKUlT_T0_E_clISt17integral_constantIbLb1EES1P_EEDaS1K_S1L_EUlS1K_E_NS1_11comp_targetILNS1_3genE2ELNS1_11target_archE906ELNS1_3gpuE6ELNS1_3repE0EEENS1_30default_config_static_selectorELNS0_4arch9wavefront6targetE0EEEvSY_, .Lfunc_end1606-_ZN7rocprim17ROCPRIM_400000_NS6detail17trampoline_kernelINS0_13select_configILj256ELj13ELNS0_17block_load_methodE3ELS4_3ELS4_3ELNS0_20block_scan_algorithmE0ELj4294967295EEENS1_25partition_config_selectorILNS1_17partition_subalgoE3EjNS0_10empty_typeEbEEZZNS1_14partition_implILS8_3ELb0ES6_jNS0_17counting_iteratorIjlEEPS9_SE_NS0_5tupleIJPjSE_EEENSF_IJSE_SE_EEES9_SG_JZNS1_25segmented_radix_sort_implINS0_14default_configELb0EPKbPbPKlPlN2at6native12_GLOBAL__N_18offset_tEEE10hipError_tPvRmT1_PNSt15iterator_traitsISY_E10value_typeET2_T3_PNSZ_IS14_E10value_typeET4_jRbjT5_S1A_jjP12ihipStream_tbEUljE_EEESV_SW_SX_S14_S18_S1A_T6_T7_T9_mT8_S1C_bDpT10_ENKUlT_T0_E_clISt17integral_constantIbLb1EES1P_EEDaS1K_S1L_EUlS1K_E_NS1_11comp_targetILNS1_3genE2ELNS1_11target_archE906ELNS1_3gpuE6ELNS1_3repE0EEENS1_30default_config_static_selectorELNS0_4arch9wavefront6targetE0EEEvSY_
                                        ; -- End function
	.set _ZN7rocprim17ROCPRIM_400000_NS6detail17trampoline_kernelINS0_13select_configILj256ELj13ELNS0_17block_load_methodE3ELS4_3ELS4_3ELNS0_20block_scan_algorithmE0ELj4294967295EEENS1_25partition_config_selectorILNS1_17partition_subalgoE3EjNS0_10empty_typeEbEEZZNS1_14partition_implILS8_3ELb0ES6_jNS0_17counting_iteratorIjlEEPS9_SE_NS0_5tupleIJPjSE_EEENSF_IJSE_SE_EEES9_SG_JZNS1_25segmented_radix_sort_implINS0_14default_configELb0EPKbPbPKlPlN2at6native12_GLOBAL__N_18offset_tEEE10hipError_tPvRmT1_PNSt15iterator_traitsISY_E10value_typeET2_T3_PNSZ_IS14_E10value_typeET4_jRbjT5_S1A_jjP12ihipStream_tbEUljE_EEESV_SW_SX_S14_S18_S1A_T6_T7_T9_mT8_S1C_bDpT10_ENKUlT_T0_E_clISt17integral_constantIbLb1EES1P_EEDaS1K_S1L_EUlS1K_E_NS1_11comp_targetILNS1_3genE2ELNS1_11target_archE906ELNS1_3gpuE6ELNS1_3repE0EEENS1_30default_config_static_selectorELNS0_4arch9wavefront6targetE0EEEvSY_.num_vgpr, 0
	.set _ZN7rocprim17ROCPRIM_400000_NS6detail17trampoline_kernelINS0_13select_configILj256ELj13ELNS0_17block_load_methodE3ELS4_3ELS4_3ELNS0_20block_scan_algorithmE0ELj4294967295EEENS1_25partition_config_selectorILNS1_17partition_subalgoE3EjNS0_10empty_typeEbEEZZNS1_14partition_implILS8_3ELb0ES6_jNS0_17counting_iteratorIjlEEPS9_SE_NS0_5tupleIJPjSE_EEENSF_IJSE_SE_EEES9_SG_JZNS1_25segmented_radix_sort_implINS0_14default_configELb0EPKbPbPKlPlN2at6native12_GLOBAL__N_18offset_tEEE10hipError_tPvRmT1_PNSt15iterator_traitsISY_E10value_typeET2_T3_PNSZ_IS14_E10value_typeET4_jRbjT5_S1A_jjP12ihipStream_tbEUljE_EEESV_SW_SX_S14_S18_S1A_T6_T7_T9_mT8_S1C_bDpT10_ENKUlT_T0_E_clISt17integral_constantIbLb1EES1P_EEDaS1K_S1L_EUlS1K_E_NS1_11comp_targetILNS1_3genE2ELNS1_11target_archE906ELNS1_3gpuE6ELNS1_3repE0EEENS1_30default_config_static_selectorELNS0_4arch9wavefront6targetE0EEEvSY_.num_agpr, 0
	.set _ZN7rocprim17ROCPRIM_400000_NS6detail17trampoline_kernelINS0_13select_configILj256ELj13ELNS0_17block_load_methodE3ELS4_3ELS4_3ELNS0_20block_scan_algorithmE0ELj4294967295EEENS1_25partition_config_selectorILNS1_17partition_subalgoE3EjNS0_10empty_typeEbEEZZNS1_14partition_implILS8_3ELb0ES6_jNS0_17counting_iteratorIjlEEPS9_SE_NS0_5tupleIJPjSE_EEENSF_IJSE_SE_EEES9_SG_JZNS1_25segmented_radix_sort_implINS0_14default_configELb0EPKbPbPKlPlN2at6native12_GLOBAL__N_18offset_tEEE10hipError_tPvRmT1_PNSt15iterator_traitsISY_E10value_typeET2_T3_PNSZ_IS14_E10value_typeET4_jRbjT5_S1A_jjP12ihipStream_tbEUljE_EEESV_SW_SX_S14_S18_S1A_T6_T7_T9_mT8_S1C_bDpT10_ENKUlT_T0_E_clISt17integral_constantIbLb1EES1P_EEDaS1K_S1L_EUlS1K_E_NS1_11comp_targetILNS1_3genE2ELNS1_11target_archE906ELNS1_3gpuE6ELNS1_3repE0EEENS1_30default_config_static_selectorELNS0_4arch9wavefront6targetE0EEEvSY_.numbered_sgpr, 0
	.set _ZN7rocprim17ROCPRIM_400000_NS6detail17trampoline_kernelINS0_13select_configILj256ELj13ELNS0_17block_load_methodE3ELS4_3ELS4_3ELNS0_20block_scan_algorithmE0ELj4294967295EEENS1_25partition_config_selectorILNS1_17partition_subalgoE3EjNS0_10empty_typeEbEEZZNS1_14partition_implILS8_3ELb0ES6_jNS0_17counting_iteratorIjlEEPS9_SE_NS0_5tupleIJPjSE_EEENSF_IJSE_SE_EEES9_SG_JZNS1_25segmented_radix_sort_implINS0_14default_configELb0EPKbPbPKlPlN2at6native12_GLOBAL__N_18offset_tEEE10hipError_tPvRmT1_PNSt15iterator_traitsISY_E10value_typeET2_T3_PNSZ_IS14_E10value_typeET4_jRbjT5_S1A_jjP12ihipStream_tbEUljE_EEESV_SW_SX_S14_S18_S1A_T6_T7_T9_mT8_S1C_bDpT10_ENKUlT_T0_E_clISt17integral_constantIbLb1EES1P_EEDaS1K_S1L_EUlS1K_E_NS1_11comp_targetILNS1_3genE2ELNS1_11target_archE906ELNS1_3gpuE6ELNS1_3repE0EEENS1_30default_config_static_selectorELNS0_4arch9wavefront6targetE0EEEvSY_.num_named_barrier, 0
	.set _ZN7rocprim17ROCPRIM_400000_NS6detail17trampoline_kernelINS0_13select_configILj256ELj13ELNS0_17block_load_methodE3ELS4_3ELS4_3ELNS0_20block_scan_algorithmE0ELj4294967295EEENS1_25partition_config_selectorILNS1_17partition_subalgoE3EjNS0_10empty_typeEbEEZZNS1_14partition_implILS8_3ELb0ES6_jNS0_17counting_iteratorIjlEEPS9_SE_NS0_5tupleIJPjSE_EEENSF_IJSE_SE_EEES9_SG_JZNS1_25segmented_radix_sort_implINS0_14default_configELb0EPKbPbPKlPlN2at6native12_GLOBAL__N_18offset_tEEE10hipError_tPvRmT1_PNSt15iterator_traitsISY_E10value_typeET2_T3_PNSZ_IS14_E10value_typeET4_jRbjT5_S1A_jjP12ihipStream_tbEUljE_EEESV_SW_SX_S14_S18_S1A_T6_T7_T9_mT8_S1C_bDpT10_ENKUlT_T0_E_clISt17integral_constantIbLb1EES1P_EEDaS1K_S1L_EUlS1K_E_NS1_11comp_targetILNS1_3genE2ELNS1_11target_archE906ELNS1_3gpuE6ELNS1_3repE0EEENS1_30default_config_static_selectorELNS0_4arch9wavefront6targetE0EEEvSY_.private_seg_size, 0
	.set _ZN7rocprim17ROCPRIM_400000_NS6detail17trampoline_kernelINS0_13select_configILj256ELj13ELNS0_17block_load_methodE3ELS4_3ELS4_3ELNS0_20block_scan_algorithmE0ELj4294967295EEENS1_25partition_config_selectorILNS1_17partition_subalgoE3EjNS0_10empty_typeEbEEZZNS1_14partition_implILS8_3ELb0ES6_jNS0_17counting_iteratorIjlEEPS9_SE_NS0_5tupleIJPjSE_EEENSF_IJSE_SE_EEES9_SG_JZNS1_25segmented_radix_sort_implINS0_14default_configELb0EPKbPbPKlPlN2at6native12_GLOBAL__N_18offset_tEEE10hipError_tPvRmT1_PNSt15iterator_traitsISY_E10value_typeET2_T3_PNSZ_IS14_E10value_typeET4_jRbjT5_S1A_jjP12ihipStream_tbEUljE_EEESV_SW_SX_S14_S18_S1A_T6_T7_T9_mT8_S1C_bDpT10_ENKUlT_T0_E_clISt17integral_constantIbLb1EES1P_EEDaS1K_S1L_EUlS1K_E_NS1_11comp_targetILNS1_3genE2ELNS1_11target_archE906ELNS1_3gpuE6ELNS1_3repE0EEENS1_30default_config_static_selectorELNS0_4arch9wavefront6targetE0EEEvSY_.uses_vcc, 0
	.set _ZN7rocprim17ROCPRIM_400000_NS6detail17trampoline_kernelINS0_13select_configILj256ELj13ELNS0_17block_load_methodE3ELS4_3ELS4_3ELNS0_20block_scan_algorithmE0ELj4294967295EEENS1_25partition_config_selectorILNS1_17partition_subalgoE3EjNS0_10empty_typeEbEEZZNS1_14partition_implILS8_3ELb0ES6_jNS0_17counting_iteratorIjlEEPS9_SE_NS0_5tupleIJPjSE_EEENSF_IJSE_SE_EEES9_SG_JZNS1_25segmented_radix_sort_implINS0_14default_configELb0EPKbPbPKlPlN2at6native12_GLOBAL__N_18offset_tEEE10hipError_tPvRmT1_PNSt15iterator_traitsISY_E10value_typeET2_T3_PNSZ_IS14_E10value_typeET4_jRbjT5_S1A_jjP12ihipStream_tbEUljE_EEESV_SW_SX_S14_S18_S1A_T6_T7_T9_mT8_S1C_bDpT10_ENKUlT_T0_E_clISt17integral_constantIbLb1EES1P_EEDaS1K_S1L_EUlS1K_E_NS1_11comp_targetILNS1_3genE2ELNS1_11target_archE906ELNS1_3gpuE6ELNS1_3repE0EEENS1_30default_config_static_selectorELNS0_4arch9wavefront6targetE0EEEvSY_.uses_flat_scratch, 0
	.set _ZN7rocprim17ROCPRIM_400000_NS6detail17trampoline_kernelINS0_13select_configILj256ELj13ELNS0_17block_load_methodE3ELS4_3ELS4_3ELNS0_20block_scan_algorithmE0ELj4294967295EEENS1_25partition_config_selectorILNS1_17partition_subalgoE3EjNS0_10empty_typeEbEEZZNS1_14partition_implILS8_3ELb0ES6_jNS0_17counting_iteratorIjlEEPS9_SE_NS0_5tupleIJPjSE_EEENSF_IJSE_SE_EEES9_SG_JZNS1_25segmented_radix_sort_implINS0_14default_configELb0EPKbPbPKlPlN2at6native12_GLOBAL__N_18offset_tEEE10hipError_tPvRmT1_PNSt15iterator_traitsISY_E10value_typeET2_T3_PNSZ_IS14_E10value_typeET4_jRbjT5_S1A_jjP12ihipStream_tbEUljE_EEESV_SW_SX_S14_S18_S1A_T6_T7_T9_mT8_S1C_bDpT10_ENKUlT_T0_E_clISt17integral_constantIbLb1EES1P_EEDaS1K_S1L_EUlS1K_E_NS1_11comp_targetILNS1_3genE2ELNS1_11target_archE906ELNS1_3gpuE6ELNS1_3repE0EEENS1_30default_config_static_selectorELNS0_4arch9wavefront6targetE0EEEvSY_.has_dyn_sized_stack, 0
	.set _ZN7rocprim17ROCPRIM_400000_NS6detail17trampoline_kernelINS0_13select_configILj256ELj13ELNS0_17block_load_methodE3ELS4_3ELS4_3ELNS0_20block_scan_algorithmE0ELj4294967295EEENS1_25partition_config_selectorILNS1_17partition_subalgoE3EjNS0_10empty_typeEbEEZZNS1_14partition_implILS8_3ELb0ES6_jNS0_17counting_iteratorIjlEEPS9_SE_NS0_5tupleIJPjSE_EEENSF_IJSE_SE_EEES9_SG_JZNS1_25segmented_radix_sort_implINS0_14default_configELb0EPKbPbPKlPlN2at6native12_GLOBAL__N_18offset_tEEE10hipError_tPvRmT1_PNSt15iterator_traitsISY_E10value_typeET2_T3_PNSZ_IS14_E10value_typeET4_jRbjT5_S1A_jjP12ihipStream_tbEUljE_EEESV_SW_SX_S14_S18_S1A_T6_T7_T9_mT8_S1C_bDpT10_ENKUlT_T0_E_clISt17integral_constantIbLb1EES1P_EEDaS1K_S1L_EUlS1K_E_NS1_11comp_targetILNS1_3genE2ELNS1_11target_archE906ELNS1_3gpuE6ELNS1_3repE0EEENS1_30default_config_static_selectorELNS0_4arch9wavefront6targetE0EEEvSY_.has_recursion, 0
	.set _ZN7rocprim17ROCPRIM_400000_NS6detail17trampoline_kernelINS0_13select_configILj256ELj13ELNS0_17block_load_methodE3ELS4_3ELS4_3ELNS0_20block_scan_algorithmE0ELj4294967295EEENS1_25partition_config_selectorILNS1_17partition_subalgoE3EjNS0_10empty_typeEbEEZZNS1_14partition_implILS8_3ELb0ES6_jNS0_17counting_iteratorIjlEEPS9_SE_NS0_5tupleIJPjSE_EEENSF_IJSE_SE_EEES9_SG_JZNS1_25segmented_radix_sort_implINS0_14default_configELb0EPKbPbPKlPlN2at6native12_GLOBAL__N_18offset_tEEE10hipError_tPvRmT1_PNSt15iterator_traitsISY_E10value_typeET2_T3_PNSZ_IS14_E10value_typeET4_jRbjT5_S1A_jjP12ihipStream_tbEUljE_EEESV_SW_SX_S14_S18_S1A_T6_T7_T9_mT8_S1C_bDpT10_ENKUlT_T0_E_clISt17integral_constantIbLb1EES1P_EEDaS1K_S1L_EUlS1K_E_NS1_11comp_targetILNS1_3genE2ELNS1_11target_archE906ELNS1_3gpuE6ELNS1_3repE0EEENS1_30default_config_static_selectorELNS0_4arch9wavefront6targetE0EEEvSY_.has_indirect_call, 0
	.section	.AMDGPU.csdata,"",@progbits
; Kernel info:
; codeLenInByte = 0
; TotalNumSgprs: 0
; NumVgprs: 0
; ScratchSize: 0
; MemoryBound: 0
; FloatMode: 240
; IeeeMode: 1
; LDSByteSize: 0 bytes/workgroup (compile time only)
; SGPRBlocks: 0
; VGPRBlocks: 0
; NumSGPRsForWavesPerEU: 1
; NumVGPRsForWavesPerEU: 1
; NamedBarCnt: 0
; Occupancy: 16
; WaveLimiterHint : 0
; COMPUTE_PGM_RSRC2:SCRATCH_EN: 0
; COMPUTE_PGM_RSRC2:USER_SGPR: 2
; COMPUTE_PGM_RSRC2:TRAP_HANDLER: 0
; COMPUTE_PGM_RSRC2:TGID_X_EN: 1
; COMPUTE_PGM_RSRC2:TGID_Y_EN: 0
; COMPUTE_PGM_RSRC2:TGID_Z_EN: 0
; COMPUTE_PGM_RSRC2:TIDIG_COMP_CNT: 0
	.section	.text._ZN7rocprim17ROCPRIM_400000_NS6detail17trampoline_kernelINS0_13select_configILj256ELj13ELNS0_17block_load_methodE3ELS4_3ELS4_3ELNS0_20block_scan_algorithmE0ELj4294967295EEENS1_25partition_config_selectorILNS1_17partition_subalgoE3EjNS0_10empty_typeEbEEZZNS1_14partition_implILS8_3ELb0ES6_jNS0_17counting_iteratorIjlEEPS9_SE_NS0_5tupleIJPjSE_EEENSF_IJSE_SE_EEES9_SG_JZNS1_25segmented_radix_sort_implINS0_14default_configELb0EPKbPbPKlPlN2at6native12_GLOBAL__N_18offset_tEEE10hipError_tPvRmT1_PNSt15iterator_traitsISY_E10value_typeET2_T3_PNSZ_IS14_E10value_typeET4_jRbjT5_S1A_jjP12ihipStream_tbEUljE_EEESV_SW_SX_S14_S18_S1A_T6_T7_T9_mT8_S1C_bDpT10_ENKUlT_T0_E_clISt17integral_constantIbLb1EES1P_EEDaS1K_S1L_EUlS1K_E_NS1_11comp_targetILNS1_3genE10ELNS1_11target_archE1200ELNS1_3gpuE4ELNS1_3repE0EEENS1_30default_config_static_selectorELNS0_4arch9wavefront6targetE0EEEvSY_,"axG",@progbits,_ZN7rocprim17ROCPRIM_400000_NS6detail17trampoline_kernelINS0_13select_configILj256ELj13ELNS0_17block_load_methodE3ELS4_3ELS4_3ELNS0_20block_scan_algorithmE0ELj4294967295EEENS1_25partition_config_selectorILNS1_17partition_subalgoE3EjNS0_10empty_typeEbEEZZNS1_14partition_implILS8_3ELb0ES6_jNS0_17counting_iteratorIjlEEPS9_SE_NS0_5tupleIJPjSE_EEENSF_IJSE_SE_EEES9_SG_JZNS1_25segmented_radix_sort_implINS0_14default_configELb0EPKbPbPKlPlN2at6native12_GLOBAL__N_18offset_tEEE10hipError_tPvRmT1_PNSt15iterator_traitsISY_E10value_typeET2_T3_PNSZ_IS14_E10value_typeET4_jRbjT5_S1A_jjP12ihipStream_tbEUljE_EEESV_SW_SX_S14_S18_S1A_T6_T7_T9_mT8_S1C_bDpT10_ENKUlT_T0_E_clISt17integral_constantIbLb1EES1P_EEDaS1K_S1L_EUlS1K_E_NS1_11comp_targetILNS1_3genE10ELNS1_11target_archE1200ELNS1_3gpuE4ELNS1_3repE0EEENS1_30default_config_static_selectorELNS0_4arch9wavefront6targetE0EEEvSY_,comdat
	.globl	_ZN7rocprim17ROCPRIM_400000_NS6detail17trampoline_kernelINS0_13select_configILj256ELj13ELNS0_17block_load_methodE3ELS4_3ELS4_3ELNS0_20block_scan_algorithmE0ELj4294967295EEENS1_25partition_config_selectorILNS1_17partition_subalgoE3EjNS0_10empty_typeEbEEZZNS1_14partition_implILS8_3ELb0ES6_jNS0_17counting_iteratorIjlEEPS9_SE_NS0_5tupleIJPjSE_EEENSF_IJSE_SE_EEES9_SG_JZNS1_25segmented_radix_sort_implINS0_14default_configELb0EPKbPbPKlPlN2at6native12_GLOBAL__N_18offset_tEEE10hipError_tPvRmT1_PNSt15iterator_traitsISY_E10value_typeET2_T3_PNSZ_IS14_E10value_typeET4_jRbjT5_S1A_jjP12ihipStream_tbEUljE_EEESV_SW_SX_S14_S18_S1A_T6_T7_T9_mT8_S1C_bDpT10_ENKUlT_T0_E_clISt17integral_constantIbLb1EES1P_EEDaS1K_S1L_EUlS1K_E_NS1_11comp_targetILNS1_3genE10ELNS1_11target_archE1200ELNS1_3gpuE4ELNS1_3repE0EEENS1_30default_config_static_selectorELNS0_4arch9wavefront6targetE0EEEvSY_ ; -- Begin function _ZN7rocprim17ROCPRIM_400000_NS6detail17trampoline_kernelINS0_13select_configILj256ELj13ELNS0_17block_load_methodE3ELS4_3ELS4_3ELNS0_20block_scan_algorithmE0ELj4294967295EEENS1_25partition_config_selectorILNS1_17partition_subalgoE3EjNS0_10empty_typeEbEEZZNS1_14partition_implILS8_3ELb0ES6_jNS0_17counting_iteratorIjlEEPS9_SE_NS0_5tupleIJPjSE_EEENSF_IJSE_SE_EEES9_SG_JZNS1_25segmented_radix_sort_implINS0_14default_configELb0EPKbPbPKlPlN2at6native12_GLOBAL__N_18offset_tEEE10hipError_tPvRmT1_PNSt15iterator_traitsISY_E10value_typeET2_T3_PNSZ_IS14_E10value_typeET4_jRbjT5_S1A_jjP12ihipStream_tbEUljE_EEESV_SW_SX_S14_S18_S1A_T6_T7_T9_mT8_S1C_bDpT10_ENKUlT_T0_E_clISt17integral_constantIbLb1EES1P_EEDaS1K_S1L_EUlS1K_E_NS1_11comp_targetILNS1_3genE10ELNS1_11target_archE1200ELNS1_3gpuE4ELNS1_3repE0EEENS1_30default_config_static_selectorELNS0_4arch9wavefront6targetE0EEEvSY_
	.p2align	8
	.type	_ZN7rocprim17ROCPRIM_400000_NS6detail17trampoline_kernelINS0_13select_configILj256ELj13ELNS0_17block_load_methodE3ELS4_3ELS4_3ELNS0_20block_scan_algorithmE0ELj4294967295EEENS1_25partition_config_selectorILNS1_17partition_subalgoE3EjNS0_10empty_typeEbEEZZNS1_14partition_implILS8_3ELb0ES6_jNS0_17counting_iteratorIjlEEPS9_SE_NS0_5tupleIJPjSE_EEENSF_IJSE_SE_EEES9_SG_JZNS1_25segmented_radix_sort_implINS0_14default_configELb0EPKbPbPKlPlN2at6native12_GLOBAL__N_18offset_tEEE10hipError_tPvRmT1_PNSt15iterator_traitsISY_E10value_typeET2_T3_PNSZ_IS14_E10value_typeET4_jRbjT5_S1A_jjP12ihipStream_tbEUljE_EEESV_SW_SX_S14_S18_S1A_T6_T7_T9_mT8_S1C_bDpT10_ENKUlT_T0_E_clISt17integral_constantIbLb1EES1P_EEDaS1K_S1L_EUlS1K_E_NS1_11comp_targetILNS1_3genE10ELNS1_11target_archE1200ELNS1_3gpuE4ELNS1_3repE0EEENS1_30default_config_static_selectorELNS0_4arch9wavefront6targetE0EEEvSY_,@function
_ZN7rocprim17ROCPRIM_400000_NS6detail17trampoline_kernelINS0_13select_configILj256ELj13ELNS0_17block_load_methodE3ELS4_3ELS4_3ELNS0_20block_scan_algorithmE0ELj4294967295EEENS1_25partition_config_selectorILNS1_17partition_subalgoE3EjNS0_10empty_typeEbEEZZNS1_14partition_implILS8_3ELb0ES6_jNS0_17counting_iteratorIjlEEPS9_SE_NS0_5tupleIJPjSE_EEENSF_IJSE_SE_EEES9_SG_JZNS1_25segmented_radix_sort_implINS0_14default_configELb0EPKbPbPKlPlN2at6native12_GLOBAL__N_18offset_tEEE10hipError_tPvRmT1_PNSt15iterator_traitsISY_E10value_typeET2_T3_PNSZ_IS14_E10value_typeET4_jRbjT5_S1A_jjP12ihipStream_tbEUljE_EEESV_SW_SX_S14_S18_S1A_T6_T7_T9_mT8_S1C_bDpT10_ENKUlT_T0_E_clISt17integral_constantIbLb1EES1P_EEDaS1K_S1L_EUlS1K_E_NS1_11comp_targetILNS1_3genE10ELNS1_11target_archE1200ELNS1_3gpuE4ELNS1_3repE0EEENS1_30default_config_static_selectorELNS0_4arch9wavefront6targetE0EEEvSY_: ; @_ZN7rocprim17ROCPRIM_400000_NS6detail17trampoline_kernelINS0_13select_configILj256ELj13ELNS0_17block_load_methodE3ELS4_3ELS4_3ELNS0_20block_scan_algorithmE0ELj4294967295EEENS1_25partition_config_selectorILNS1_17partition_subalgoE3EjNS0_10empty_typeEbEEZZNS1_14partition_implILS8_3ELb0ES6_jNS0_17counting_iteratorIjlEEPS9_SE_NS0_5tupleIJPjSE_EEENSF_IJSE_SE_EEES9_SG_JZNS1_25segmented_radix_sort_implINS0_14default_configELb0EPKbPbPKlPlN2at6native12_GLOBAL__N_18offset_tEEE10hipError_tPvRmT1_PNSt15iterator_traitsISY_E10value_typeET2_T3_PNSZ_IS14_E10value_typeET4_jRbjT5_S1A_jjP12ihipStream_tbEUljE_EEESV_SW_SX_S14_S18_S1A_T6_T7_T9_mT8_S1C_bDpT10_ENKUlT_T0_E_clISt17integral_constantIbLb1EES1P_EEDaS1K_S1L_EUlS1K_E_NS1_11comp_targetILNS1_3genE10ELNS1_11target_archE1200ELNS1_3gpuE4ELNS1_3repE0EEENS1_30default_config_static_selectorELNS0_4arch9wavefront6targetE0EEEvSY_
; %bb.0:
	.section	.rodata,"a",@progbits
	.p2align	6, 0x0
	.amdhsa_kernel _ZN7rocprim17ROCPRIM_400000_NS6detail17trampoline_kernelINS0_13select_configILj256ELj13ELNS0_17block_load_methodE3ELS4_3ELS4_3ELNS0_20block_scan_algorithmE0ELj4294967295EEENS1_25partition_config_selectorILNS1_17partition_subalgoE3EjNS0_10empty_typeEbEEZZNS1_14partition_implILS8_3ELb0ES6_jNS0_17counting_iteratorIjlEEPS9_SE_NS0_5tupleIJPjSE_EEENSF_IJSE_SE_EEES9_SG_JZNS1_25segmented_radix_sort_implINS0_14default_configELb0EPKbPbPKlPlN2at6native12_GLOBAL__N_18offset_tEEE10hipError_tPvRmT1_PNSt15iterator_traitsISY_E10value_typeET2_T3_PNSZ_IS14_E10value_typeET4_jRbjT5_S1A_jjP12ihipStream_tbEUljE_EEESV_SW_SX_S14_S18_S1A_T6_T7_T9_mT8_S1C_bDpT10_ENKUlT_T0_E_clISt17integral_constantIbLb1EES1P_EEDaS1K_S1L_EUlS1K_E_NS1_11comp_targetILNS1_3genE10ELNS1_11target_archE1200ELNS1_3gpuE4ELNS1_3repE0EEENS1_30default_config_static_selectorELNS0_4arch9wavefront6targetE0EEEvSY_
		.amdhsa_group_segment_fixed_size 0
		.amdhsa_private_segment_fixed_size 0
		.amdhsa_kernarg_size 152
		.amdhsa_user_sgpr_count 2
		.amdhsa_user_sgpr_dispatch_ptr 0
		.amdhsa_user_sgpr_queue_ptr 0
		.amdhsa_user_sgpr_kernarg_segment_ptr 1
		.amdhsa_user_sgpr_dispatch_id 0
		.amdhsa_user_sgpr_kernarg_preload_length 0
		.amdhsa_user_sgpr_kernarg_preload_offset 0
		.amdhsa_user_sgpr_private_segment_size 0
		.amdhsa_wavefront_size32 1
		.amdhsa_uses_dynamic_stack 0
		.amdhsa_enable_private_segment 0
		.amdhsa_system_sgpr_workgroup_id_x 1
		.amdhsa_system_sgpr_workgroup_id_y 0
		.amdhsa_system_sgpr_workgroup_id_z 0
		.amdhsa_system_sgpr_workgroup_info 0
		.amdhsa_system_vgpr_workitem_id 0
		.amdhsa_next_free_vgpr 1
		.amdhsa_next_free_sgpr 1
		.amdhsa_named_barrier_count 0
		.amdhsa_reserve_vcc 0
		.amdhsa_float_round_mode_32 0
		.amdhsa_float_round_mode_16_64 0
		.amdhsa_float_denorm_mode_32 3
		.amdhsa_float_denorm_mode_16_64 3
		.amdhsa_fp16_overflow 0
		.amdhsa_memory_ordered 1
		.amdhsa_forward_progress 1
		.amdhsa_inst_pref_size 0
		.amdhsa_round_robin_scheduling 0
		.amdhsa_exception_fp_ieee_invalid_op 0
		.amdhsa_exception_fp_denorm_src 0
		.amdhsa_exception_fp_ieee_div_zero 0
		.amdhsa_exception_fp_ieee_overflow 0
		.amdhsa_exception_fp_ieee_underflow 0
		.amdhsa_exception_fp_ieee_inexact 0
		.amdhsa_exception_int_div_zero 0
	.end_amdhsa_kernel
	.section	.text._ZN7rocprim17ROCPRIM_400000_NS6detail17trampoline_kernelINS0_13select_configILj256ELj13ELNS0_17block_load_methodE3ELS4_3ELS4_3ELNS0_20block_scan_algorithmE0ELj4294967295EEENS1_25partition_config_selectorILNS1_17partition_subalgoE3EjNS0_10empty_typeEbEEZZNS1_14partition_implILS8_3ELb0ES6_jNS0_17counting_iteratorIjlEEPS9_SE_NS0_5tupleIJPjSE_EEENSF_IJSE_SE_EEES9_SG_JZNS1_25segmented_radix_sort_implINS0_14default_configELb0EPKbPbPKlPlN2at6native12_GLOBAL__N_18offset_tEEE10hipError_tPvRmT1_PNSt15iterator_traitsISY_E10value_typeET2_T3_PNSZ_IS14_E10value_typeET4_jRbjT5_S1A_jjP12ihipStream_tbEUljE_EEESV_SW_SX_S14_S18_S1A_T6_T7_T9_mT8_S1C_bDpT10_ENKUlT_T0_E_clISt17integral_constantIbLb1EES1P_EEDaS1K_S1L_EUlS1K_E_NS1_11comp_targetILNS1_3genE10ELNS1_11target_archE1200ELNS1_3gpuE4ELNS1_3repE0EEENS1_30default_config_static_selectorELNS0_4arch9wavefront6targetE0EEEvSY_,"axG",@progbits,_ZN7rocprim17ROCPRIM_400000_NS6detail17trampoline_kernelINS0_13select_configILj256ELj13ELNS0_17block_load_methodE3ELS4_3ELS4_3ELNS0_20block_scan_algorithmE0ELj4294967295EEENS1_25partition_config_selectorILNS1_17partition_subalgoE3EjNS0_10empty_typeEbEEZZNS1_14partition_implILS8_3ELb0ES6_jNS0_17counting_iteratorIjlEEPS9_SE_NS0_5tupleIJPjSE_EEENSF_IJSE_SE_EEES9_SG_JZNS1_25segmented_radix_sort_implINS0_14default_configELb0EPKbPbPKlPlN2at6native12_GLOBAL__N_18offset_tEEE10hipError_tPvRmT1_PNSt15iterator_traitsISY_E10value_typeET2_T3_PNSZ_IS14_E10value_typeET4_jRbjT5_S1A_jjP12ihipStream_tbEUljE_EEESV_SW_SX_S14_S18_S1A_T6_T7_T9_mT8_S1C_bDpT10_ENKUlT_T0_E_clISt17integral_constantIbLb1EES1P_EEDaS1K_S1L_EUlS1K_E_NS1_11comp_targetILNS1_3genE10ELNS1_11target_archE1200ELNS1_3gpuE4ELNS1_3repE0EEENS1_30default_config_static_selectorELNS0_4arch9wavefront6targetE0EEEvSY_,comdat
.Lfunc_end1607:
	.size	_ZN7rocprim17ROCPRIM_400000_NS6detail17trampoline_kernelINS0_13select_configILj256ELj13ELNS0_17block_load_methodE3ELS4_3ELS4_3ELNS0_20block_scan_algorithmE0ELj4294967295EEENS1_25partition_config_selectorILNS1_17partition_subalgoE3EjNS0_10empty_typeEbEEZZNS1_14partition_implILS8_3ELb0ES6_jNS0_17counting_iteratorIjlEEPS9_SE_NS0_5tupleIJPjSE_EEENSF_IJSE_SE_EEES9_SG_JZNS1_25segmented_radix_sort_implINS0_14default_configELb0EPKbPbPKlPlN2at6native12_GLOBAL__N_18offset_tEEE10hipError_tPvRmT1_PNSt15iterator_traitsISY_E10value_typeET2_T3_PNSZ_IS14_E10value_typeET4_jRbjT5_S1A_jjP12ihipStream_tbEUljE_EEESV_SW_SX_S14_S18_S1A_T6_T7_T9_mT8_S1C_bDpT10_ENKUlT_T0_E_clISt17integral_constantIbLb1EES1P_EEDaS1K_S1L_EUlS1K_E_NS1_11comp_targetILNS1_3genE10ELNS1_11target_archE1200ELNS1_3gpuE4ELNS1_3repE0EEENS1_30default_config_static_selectorELNS0_4arch9wavefront6targetE0EEEvSY_, .Lfunc_end1607-_ZN7rocprim17ROCPRIM_400000_NS6detail17trampoline_kernelINS0_13select_configILj256ELj13ELNS0_17block_load_methodE3ELS4_3ELS4_3ELNS0_20block_scan_algorithmE0ELj4294967295EEENS1_25partition_config_selectorILNS1_17partition_subalgoE3EjNS0_10empty_typeEbEEZZNS1_14partition_implILS8_3ELb0ES6_jNS0_17counting_iteratorIjlEEPS9_SE_NS0_5tupleIJPjSE_EEENSF_IJSE_SE_EEES9_SG_JZNS1_25segmented_radix_sort_implINS0_14default_configELb0EPKbPbPKlPlN2at6native12_GLOBAL__N_18offset_tEEE10hipError_tPvRmT1_PNSt15iterator_traitsISY_E10value_typeET2_T3_PNSZ_IS14_E10value_typeET4_jRbjT5_S1A_jjP12ihipStream_tbEUljE_EEESV_SW_SX_S14_S18_S1A_T6_T7_T9_mT8_S1C_bDpT10_ENKUlT_T0_E_clISt17integral_constantIbLb1EES1P_EEDaS1K_S1L_EUlS1K_E_NS1_11comp_targetILNS1_3genE10ELNS1_11target_archE1200ELNS1_3gpuE4ELNS1_3repE0EEENS1_30default_config_static_selectorELNS0_4arch9wavefront6targetE0EEEvSY_
                                        ; -- End function
	.set _ZN7rocprim17ROCPRIM_400000_NS6detail17trampoline_kernelINS0_13select_configILj256ELj13ELNS0_17block_load_methodE3ELS4_3ELS4_3ELNS0_20block_scan_algorithmE0ELj4294967295EEENS1_25partition_config_selectorILNS1_17partition_subalgoE3EjNS0_10empty_typeEbEEZZNS1_14partition_implILS8_3ELb0ES6_jNS0_17counting_iteratorIjlEEPS9_SE_NS0_5tupleIJPjSE_EEENSF_IJSE_SE_EEES9_SG_JZNS1_25segmented_radix_sort_implINS0_14default_configELb0EPKbPbPKlPlN2at6native12_GLOBAL__N_18offset_tEEE10hipError_tPvRmT1_PNSt15iterator_traitsISY_E10value_typeET2_T3_PNSZ_IS14_E10value_typeET4_jRbjT5_S1A_jjP12ihipStream_tbEUljE_EEESV_SW_SX_S14_S18_S1A_T6_T7_T9_mT8_S1C_bDpT10_ENKUlT_T0_E_clISt17integral_constantIbLb1EES1P_EEDaS1K_S1L_EUlS1K_E_NS1_11comp_targetILNS1_3genE10ELNS1_11target_archE1200ELNS1_3gpuE4ELNS1_3repE0EEENS1_30default_config_static_selectorELNS0_4arch9wavefront6targetE0EEEvSY_.num_vgpr, 0
	.set _ZN7rocprim17ROCPRIM_400000_NS6detail17trampoline_kernelINS0_13select_configILj256ELj13ELNS0_17block_load_methodE3ELS4_3ELS4_3ELNS0_20block_scan_algorithmE0ELj4294967295EEENS1_25partition_config_selectorILNS1_17partition_subalgoE3EjNS0_10empty_typeEbEEZZNS1_14partition_implILS8_3ELb0ES6_jNS0_17counting_iteratorIjlEEPS9_SE_NS0_5tupleIJPjSE_EEENSF_IJSE_SE_EEES9_SG_JZNS1_25segmented_radix_sort_implINS0_14default_configELb0EPKbPbPKlPlN2at6native12_GLOBAL__N_18offset_tEEE10hipError_tPvRmT1_PNSt15iterator_traitsISY_E10value_typeET2_T3_PNSZ_IS14_E10value_typeET4_jRbjT5_S1A_jjP12ihipStream_tbEUljE_EEESV_SW_SX_S14_S18_S1A_T6_T7_T9_mT8_S1C_bDpT10_ENKUlT_T0_E_clISt17integral_constantIbLb1EES1P_EEDaS1K_S1L_EUlS1K_E_NS1_11comp_targetILNS1_3genE10ELNS1_11target_archE1200ELNS1_3gpuE4ELNS1_3repE0EEENS1_30default_config_static_selectorELNS0_4arch9wavefront6targetE0EEEvSY_.num_agpr, 0
	.set _ZN7rocprim17ROCPRIM_400000_NS6detail17trampoline_kernelINS0_13select_configILj256ELj13ELNS0_17block_load_methodE3ELS4_3ELS4_3ELNS0_20block_scan_algorithmE0ELj4294967295EEENS1_25partition_config_selectorILNS1_17partition_subalgoE3EjNS0_10empty_typeEbEEZZNS1_14partition_implILS8_3ELb0ES6_jNS0_17counting_iteratorIjlEEPS9_SE_NS0_5tupleIJPjSE_EEENSF_IJSE_SE_EEES9_SG_JZNS1_25segmented_radix_sort_implINS0_14default_configELb0EPKbPbPKlPlN2at6native12_GLOBAL__N_18offset_tEEE10hipError_tPvRmT1_PNSt15iterator_traitsISY_E10value_typeET2_T3_PNSZ_IS14_E10value_typeET4_jRbjT5_S1A_jjP12ihipStream_tbEUljE_EEESV_SW_SX_S14_S18_S1A_T6_T7_T9_mT8_S1C_bDpT10_ENKUlT_T0_E_clISt17integral_constantIbLb1EES1P_EEDaS1K_S1L_EUlS1K_E_NS1_11comp_targetILNS1_3genE10ELNS1_11target_archE1200ELNS1_3gpuE4ELNS1_3repE0EEENS1_30default_config_static_selectorELNS0_4arch9wavefront6targetE0EEEvSY_.numbered_sgpr, 0
	.set _ZN7rocprim17ROCPRIM_400000_NS6detail17trampoline_kernelINS0_13select_configILj256ELj13ELNS0_17block_load_methodE3ELS4_3ELS4_3ELNS0_20block_scan_algorithmE0ELj4294967295EEENS1_25partition_config_selectorILNS1_17partition_subalgoE3EjNS0_10empty_typeEbEEZZNS1_14partition_implILS8_3ELb0ES6_jNS0_17counting_iteratorIjlEEPS9_SE_NS0_5tupleIJPjSE_EEENSF_IJSE_SE_EEES9_SG_JZNS1_25segmented_radix_sort_implINS0_14default_configELb0EPKbPbPKlPlN2at6native12_GLOBAL__N_18offset_tEEE10hipError_tPvRmT1_PNSt15iterator_traitsISY_E10value_typeET2_T3_PNSZ_IS14_E10value_typeET4_jRbjT5_S1A_jjP12ihipStream_tbEUljE_EEESV_SW_SX_S14_S18_S1A_T6_T7_T9_mT8_S1C_bDpT10_ENKUlT_T0_E_clISt17integral_constantIbLb1EES1P_EEDaS1K_S1L_EUlS1K_E_NS1_11comp_targetILNS1_3genE10ELNS1_11target_archE1200ELNS1_3gpuE4ELNS1_3repE0EEENS1_30default_config_static_selectorELNS0_4arch9wavefront6targetE0EEEvSY_.num_named_barrier, 0
	.set _ZN7rocprim17ROCPRIM_400000_NS6detail17trampoline_kernelINS0_13select_configILj256ELj13ELNS0_17block_load_methodE3ELS4_3ELS4_3ELNS0_20block_scan_algorithmE0ELj4294967295EEENS1_25partition_config_selectorILNS1_17partition_subalgoE3EjNS0_10empty_typeEbEEZZNS1_14partition_implILS8_3ELb0ES6_jNS0_17counting_iteratorIjlEEPS9_SE_NS0_5tupleIJPjSE_EEENSF_IJSE_SE_EEES9_SG_JZNS1_25segmented_radix_sort_implINS0_14default_configELb0EPKbPbPKlPlN2at6native12_GLOBAL__N_18offset_tEEE10hipError_tPvRmT1_PNSt15iterator_traitsISY_E10value_typeET2_T3_PNSZ_IS14_E10value_typeET4_jRbjT5_S1A_jjP12ihipStream_tbEUljE_EEESV_SW_SX_S14_S18_S1A_T6_T7_T9_mT8_S1C_bDpT10_ENKUlT_T0_E_clISt17integral_constantIbLb1EES1P_EEDaS1K_S1L_EUlS1K_E_NS1_11comp_targetILNS1_3genE10ELNS1_11target_archE1200ELNS1_3gpuE4ELNS1_3repE0EEENS1_30default_config_static_selectorELNS0_4arch9wavefront6targetE0EEEvSY_.private_seg_size, 0
	.set _ZN7rocprim17ROCPRIM_400000_NS6detail17trampoline_kernelINS0_13select_configILj256ELj13ELNS0_17block_load_methodE3ELS4_3ELS4_3ELNS0_20block_scan_algorithmE0ELj4294967295EEENS1_25partition_config_selectorILNS1_17partition_subalgoE3EjNS0_10empty_typeEbEEZZNS1_14partition_implILS8_3ELb0ES6_jNS0_17counting_iteratorIjlEEPS9_SE_NS0_5tupleIJPjSE_EEENSF_IJSE_SE_EEES9_SG_JZNS1_25segmented_radix_sort_implINS0_14default_configELb0EPKbPbPKlPlN2at6native12_GLOBAL__N_18offset_tEEE10hipError_tPvRmT1_PNSt15iterator_traitsISY_E10value_typeET2_T3_PNSZ_IS14_E10value_typeET4_jRbjT5_S1A_jjP12ihipStream_tbEUljE_EEESV_SW_SX_S14_S18_S1A_T6_T7_T9_mT8_S1C_bDpT10_ENKUlT_T0_E_clISt17integral_constantIbLb1EES1P_EEDaS1K_S1L_EUlS1K_E_NS1_11comp_targetILNS1_3genE10ELNS1_11target_archE1200ELNS1_3gpuE4ELNS1_3repE0EEENS1_30default_config_static_selectorELNS0_4arch9wavefront6targetE0EEEvSY_.uses_vcc, 0
	.set _ZN7rocprim17ROCPRIM_400000_NS6detail17trampoline_kernelINS0_13select_configILj256ELj13ELNS0_17block_load_methodE3ELS4_3ELS4_3ELNS0_20block_scan_algorithmE0ELj4294967295EEENS1_25partition_config_selectorILNS1_17partition_subalgoE3EjNS0_10empty_typeEbEEZZNS1_14partition_implILS8_3ELb0ES6_jNS0_17counting_iteratorIjlEEPS9_SE_NS0_5tupleIJPjSE_EEENSF_IJSE_SE_EEES9_SG_JZNS1_25segmented_radix_sort_implINS0_14default_configELb0EPKbPbPKlPlN2at6native12_GLOBAL__N_18offset_tEEE10hipError_tPvRmT1_PNSt15iterator_traitsISY_E10value_typeET2_T3_PNSZ_IS14_E10value_typeET4_jRbjT5_S1A_jjP12ihipStream_tbEUljE_EEESV_SW_SX_S14_S18_S1A_T6_T7_T9_mT8_S1C_bDpT10_ENKUlT_T0_E_clISt17integral_constantIbLb1EES1P_EEDaS1K_S1L_EUlS1K_E_NS1_11comp_targetILNS1_3genE10ELNS1_11target_archE1200ELNS1_3gpuE4ELNS1_3repE0EEENS1_30default_config_static_selectorELNS0_4arch9wavefront6targetE0EEEvSY_.uses_flat_scratch, 0
	.set _ZN7rocprim17ROCPRIM_400000_NS6detail17trampoline_kernelINS0_13select_configILj256ELj13ELNS0_17block_load_methodE3ELS4_3ELS4_3ELNS0_20block_scan_algorithmE0ELj4294967295EEENS1_25partition_config_selectorILNS1_17partition_subalgoE3EjNS0_10empty_typeEbEEZZNS1_14partition_implILS8_3ELb0ES6_jNS0_17counting_iteratorIjlEEPS9_SE_NS0_5tupleIJPjSE_EEENSF_IJSE_SE_EEES9_SG_JZNS1_25segmented_radix_sort_implINS0_14default_configELb0EPKbPbPKlPlN2at6native12_GLOBAL__N_18offset_tEEE10hipError_tPvRmT1_PNSt15iterator_traitsISY_E10value_typeET2_T3_PNSZ_IS14_E10value_typeET4_jRbjT5_S1A_jjP12ihipStream_tbEUljE_EEESV_SW_SX_S14_S18_S1A_T6_T7_T9_mT8_S1C_bDpT10_ENKUlT_T0_E_clISt17integral_constantIbLb1EES1P_EEDaS1K_S1L_EUlS1K_E_NS1_11comp_targetILNS1_3genE10ELNS1_11target_archE1200ELNS1_3gpuE4ELNS1_3repE0EEENS1_30default_config_static_selectorELNS0_4arch9wavefront6targetE0EEEvSY_.has_dyn_sized_stack, 0
	.set _ZN7rocprim17ROCPRIM_400000_NS6detail17trampoline_kernelINS0_13select_configILj256ELj13ELNS0_17block_load_methodE3ELS4_3ELS4_3ELNS0_20block_scan_algorithmE0ELj4294967295EEENS1_25partition_config_selectorILNS1_17partition_subalgoE3EjNS0_10empty_typeEbEEZZNS1_14partition_implILS8_3ELb0ES6_jNS0_17counting_iteratorIjlEEPS9_SE_NS0_5tupleIJPjSE_EEENSF_IJSE_SE_EEES9_SG_JZNS1_25segmented_radix_sort_implINS0_14default_configELb0EPKbPbPKlPlN2at6native12_GLOBAL__N_18offset_tEEE10hipError_tPvRmT1_PNSt15iterator_traitsISY_E10value_typeET2_T3_PNSZ_IS14_E10value_typeET4_jRbjT5_S1A_jjP12ihipStream_tbEUljE_EEESV_SW_SX_S14_S18_S1A_T6_T7_T9_mT8_S1C_bDpT10_ENKUlT_T0_E_clISt17integral_constantIbLb1EES1P_EEDaS1K_S1L_EUlS1K_E_NS1_11comp_targetILNS1_3genE10ELNS1_11target_archE1200ELNS1_3gpuE4ELNS1_3repE0EEENS1_30default_config_static_selectorELNS0_4arch9wavefront6targetE0EEEvSY_.has_recursion, 0
	.set _ZN7rocprim17ROCPRIM_400000_NS6detail17trampoline_kernelINS0_13select_configILj256ELj13ELNS0_17block_load_methodE3ELS4_3ELS4_3ELNS0_20block_scan_algorithmE0ELj4294967295EEENS1_25partition_config_selectorILNS1_17partition_subalgoE3EjNS0_10empty_typeEbEEZZNS1_14partition_implILS8_3ELb0ES6_jNS0_17counting_iteratorIjlEEPS9_SE_NS0_5tupleIJPjSE_EEENSF_IJSE_SE_EEES9_SG_JZNS1_25segmented_radix_sort_implINS0_14default_configELb0EPKbPbPKlPlN2at6native12_GLOBAL__N_18offset_tEEE10hipError_tPvRmT1_PNSt15iterator_traitsISY_E10value_typeET2_T3_PNSZ_IS14_E10value_typeET4_jRbjT5_S1A_jjP12ihipStream_tbEUljE_EEESV_SW_SX_S14_S18_S1A_T6_T7_T9_mT8_S1C_bDpT10_ENKUlT_T0_E_clISt17integral_constantIbLb1EES1P_EEDaS1K_S1L_EUlS1K_E_NS1_11comp_targetILNS1_3genE10ELNS1_11target_archE1200ELNS1_3gpuE4ELNS1_3repE0EEENS1_30default_config_static_selectorELNS0_4arch9wavefront6targetE0EEEvSY_.has_indirect_call, 0
	.section	.AMDGPU.csdata,"",@progbits
; Kernel info:
; codeLenInByte = 0
; TotalNumSgprs: 0
; NumVgprs: 0
; ScratchSize: 0
; MemoryBound: 0
; FloatMode: 240
; IeeeMode: 1
; LDSByteSize: 0 bytes/workgroup (compile time only)
; SGPRBlocks: 0
; VGPRBlocks: 0
; NumSGPRsForWavesPerEU: 1
; NumVGPRsForWavesPerEU: 1
; NamedBarCnt: 0
; Occupancy: 16
; WaveLimiterHint : 0
; COMPUTE_PGM_RSRC2:SCRATCH_EN: 0
; COMPUTE_PGM_RSRC2:USER_SGPR: 2
; COMPUTE_PGM_RSRC2:TRAP_HANDLER: 0
; COMPUTE_PGM_RSRC2:TGID_X_EN: 1
; COMPUTE_PGM_RSRC2:TGID_Y_EN: 0
; COMPUTE_PGM_RSRC2:TGID_Z_EN: 0
; COMPUTE_PGM_RSRC2:TIDIG_COMP_CNT: 0
	.section	.text._ZN7rocprim17ROCPRIM_400000_NS6detail17trampoline_kernelINS0_13select_configILj256ELj13ELNS0_17block_load_methodE3ELS4_3ELS4_3ELNS0_20block_scan_algorithmE0ELj4294967295EEENS1_25partition_config_selectorILNS1_17partition_subalgoE3EjNS0_10empty_typeEbEEZZNS1_14partition_implILS8_3ELb0ES6_jNS0_17counting_iteratorIjlEEPS9_SE_NS0_5tupleIJPjSE_EEENSF_IJSE_SE_EEES9_SG_JZNS1_25segmented_radix_sort_implINS0_14default_configELb0EPKbPbPKlPlN2at6native12_GLOBAL__N_18offset_tEEE10hipError_tPvRmT1_PNSt15iterator_traitsISY_E10value_typeET2_T3_PNSZ_IS14_E10value_typeET4_jRbjT5_S1A_jjP12ihipStream_tbEUljE_EEESV_SW_SX_S14_S18_S1A_T6_T7_T9_mT8_S1C_bDpT10_ENKUlT_T0_E_clISt17integral_constantIbLb1EES1P_EEDaS1K_S1L_EUlS1K_E_NS1_11comp_targetILNS1_3genE9ELNS1_11target_archE1100ELNS1_3gpuE3ELNS1_3repE0EEENS1_30default_config_static_selectorELNS0_4arch9wavefront6targetE0EEEvSY_,"axG",@progbits,_ZN7rocprim17ROCPRIM_400000_NS6detail17trampoline_kernelINS0_13select_configILj256ELj13ELNS0_17block_load_methodE3ELS4_3ELS4_3ELNS0_20block_scan_algorithmE0ELj4294967295EEENS1_25partition_config_selectorILNS1_17partition_subalgoE3EjNS0_10empty_typeEbEEZZNS1_14partition_implILS8_3ELb0ES6_jNS0_17counting_iteratorIjlEEPS9_SE_NS0_5tupleIJPjSE_EEENSF_IJSE_SE_EEES9_SG_JZNS1_25segmented_radix_sort_implINS0_14default_configELb0EPKbPbPKlPlN2at6native12_GLOBAL__N_18offset_tEEE10hipError_tPvRmT1_PNSt15iterator_traitsISY_E10value_typeET2_T3_PNSZ_IS14_E10value_typeET4_jRbjT5_S1A_jjP12ihipStream_tbEUljE_EEESV_SW_SX_S14_S18_S1A_T6_T7_T9_mT8_S1C_bDpT10_ENKUlT_T0_E_clISt17integral_constantIbLb1EES1P_EEDaS1K_S1L_EUlS1K_E_NS1_11comp_targetILNS1_3genE9ELNS1_11target_archE1100ELNS1_3gpuE3ELNS1_3repE0EEENS1_30default_config_static_selectorELNS0_4arch9wavefront6targetE0EEEvSY_,comdat
	.globl	_ZN7rocprim17ROCPRIM_400000_NS6detail17trampoline_kernelINS0_13select_configILj256ELj13ELNS0_17block_load_methodE3ELS4_3ELS4_3ELNS0_20block_scan_algorithmE0ELj4294967295EEENS1_25partition_config_selectorILNS1_17partition_subalgoE3EjNS0_10empty_typeEbEEZZNS1_14partition_implILS8_3ELb0ES6_jNS0_17counting_iteratorIjlEEPS9_SE_NS0_5tupleIJPjSE_EEENSF_IJSE_SE_EEES9_SG_JZNS1_25segmented_radix_sort_implINS0_14default_configELb0EPKbPbPKlPlN2at6native12_GLOBAL__N_18offset_tEEE10hipError_tPvRmT1_PNSt15iterator_traitsISY_E10value_typeET2_T3_PNSZ_IS14_E10value_typeET4_jRbjT5_S1A_jjP12ihipStream_tbEUljE_EEESV_SW_SX_S14_S18_S1A_T6_T7_T9_mT8_S1C_bDpT10_ENKUlT_T0_E_clISt17integral_constantIbLb1EES1P_EEDaS1K_S1L_EUlS1K_E_NS1_11comp_targetILNS1_3genE9ELNS1_11target_archE1100ELNS1_3gpuE3ELNS1_3repE0EEENS1_30default_config_static_selectorELNS0_4arch9wavefront6targetE0EEEvSY_ ; -- Begin function _ZN7rocprim17ROCPRIM_400000_NS6detail17trampoline_kernelINS0_13select_configILj256ELj13ELNS0_17block_load_methodE3ELS4_3ELS4_3ELNS0_20block_scan_algorithmE0ELj4294967295EEENS1_25partition_config_selectorILNS1_17partition_subalgoE3EjNS0_10empty_typeEbEEZZNS1_14partition_implILS8_3ELb0ES6_jNS0_17counting_iteratorIjlEEPS9_SE_NS0_5tupleIJPjSE_EEENSF_IJSE_SE_EEES9_SG_JZNS1_25segmented_radix_sort_implINS0_14default_configELb0EPKbPbPKlPlN2at6native12_GLOBAL__N_18offset_tEEE10hipError_tPvRmT1_PNSt15iterator_traitsISY_E10value_typeET2_T3_PNSZ_IS14_E10value_typeET4_jRbjT5_S1A_jjP12ihipStream_tbEUljE_EEESV_SW_SX_S14_S18_S1A_T6_T7_T9_mT8_S1C_bDpT10_ENKUlT_T0_E_clISt17integral_constantIbLb1EES1P_EEDaS1K_S1L_EUlS1K_E_NS1_11comp_targetILNS1_3genE9ELNS1_11target_archE1100ELNS1_3gpuE3ELNS1_3repE0EEENS1_30default_config_static_selectorELNS0_4arch9wavefront6targetE0EEEvSY_
	.p2align	8
	.type	_ZN7rocprim17ROCPRIM_400000_NS6detail17trampoline_kernelINS0_13select_configILj256ELj13ELNS0_17block_load_methodE3ELS4_3ELS4_3ELNS0_20block_scan_algorithmE0ELj4294967295EEENS1_25partition_config_selectorILNS1_17partition_subalgoE3EjNS0_10empty_typeEbEEZZNS1_14partition_implILS8_3ELb0ES6_jNS0_17counting_iteratorIjlEEPS9_SE_NS0_5tupleIJPjSE_EEENSF_IJSE_SE_EEES9_SG_JZNS1_25segmented_radix_sort_implINS0_14default_configELb0EPKbPbPKlPlN2at6native12_GLOBAL__N_18offset_tEEE10hipError_tPvRmT1_PNSt15iterator_traitsISY_E10value_typeET2_T3_PNSZ_IS14_E10value_typeET4_jRbjT5_S1A_jjP12ihipStream_tbEUljE_EEESV_SW_SX_S14_S18_S1A_T6_T7_T9_mT8_S1C_bDpT10_ENKUlT_T0_E_clISt17integral_constantIbLb1EES1P_EEDaS1K_S1L_EUlS1K_E_NS1_11comp_targetILNS1_3genE9ELNS1_11target_archE1100ELNS1_3gpuE3ELNS1_3repE0EEENS1_30default_config_static_selectorELNS0_4arch9wavefront6targetE0EEEvSY_,@function
_ZN7rocprim17ROCPRIM_400000_NS6detail17trampoline_kernelINS0_13select_configILj256ELj13ELNS0_17block_load_methodE3ELS4_3ELS4_3ELNS0_20block_scan_algorithmE0ELj4294967295EEENS1_25partition_config_selectorILNS1_17partition_subalgoE3EjNS0_10empty_typeEbEEZZNS1_14partition_implILS8_3ELb0ES6_jNS0_17counting_iteratorIjlEEPS9_SE_NS0_5tupleIJPjSE_EEENSF_IJSE_SE_EEES9_SG_JZNS1_25segmented_radix_sort_implINS0_14default_configELb0EPKbPbPKlPlN2at6native12_GLOBAL__N_18offset_tEEE10hipError_tPvRmT1_PNSt15iterator_traitsISY_E10value_typeET2_T3_PNSZ_IS14_E10value_typeET4_jRbjT5_S1A_jjP12ihipStream_tbEUljE_EEESV_SW_SX_S14_S18_S1A_T6_T7_T9_mT8_S1C_bDpT10_ENKUlT_T0_E_clISt17integral_constantIbLb1EES1P_EEDaS1K_S1L_EUlS1K_E_NS1_11comp_targetILNS1_3genE9ELNS1_11target_archE1100ELNS1_3gpuE3ELNS1_3repE0EEENS1_30default_config_static_selectorELNS0_4arch9wavefront6targetE0EEEvSY_: ; @_ZN7rocprim17ROCPRIM_400000_NS6detail17trampoline_kernelINS0_13select_configILj256ELj13ELNS0_17block_load_methodE3ELS4_3ELS4_3ELNS0_20block_scan_algorithmE0ELj4294967295EEENS1_25partition_config_selectorILNS1_17partition_subalgoE3EjNS0_10empty_typeEbEEZZNS1_14partition_implILS8_3ELb0ES6_jNS0_17counting_iteratorIjlEEPS9_SE_NS0_5tupleIJPjSE_EEENSF_IJSE_SE_EEES9_SG_JZNS1_25segmented_radix_sort_implINS0_14default_configELb0EPKbPbPKlPlN2at6native12_GLOBAL__N_18offset_tEEE10hipError_tPvRmT1_PNSt15iterator_traitsISY_E10value_typeET2_T3_PNSZ_IS14_E10value_typeET4_jRbjT5_S1A_jjP12ihipStream_tbEUljE_EEESV_SW_SX_S14_S18_S1A_T6_T7_T9_mT8_S1C_bDpT10_ENKUlT_T0_E_clISt17integral_constantIbLb1EES1P_EEDaS1K_S1L_EUlS1K_E_NS1_11comp_targetILNS1_3genE9ELNS1_11target_archE1100ELNS1_3gpuE3ELNS1_3repE0EEENS1_30default_config_static_selectorELNS0_4arch9wavefront6targetE0EEEvSY_
; %bb.0:
	.section	.rodata,"a",@progbits
	.p2align	6, 0x0
	.amdhsa_kernel _ZN7rocprim17ROCPRIM_400000_NS6detail17trampoline_kernelINS0_13select_configILj256ELj13ELNS0_17block_load_methodE3ELS4_3ELS4_3ELNS0_20block_scan_algorithmE0ELj4294967295EEENS1_25partition_config_selectorILNS1_17partition_subalgoE3EjNS0_10empty_typeEbEEZZNS1_14partition_implILS8_3ELb0ES6_jNS0_17counting_iteratorIjlEEPS9_SE_NS0_5tupleIJPjSE_EEENSF_IJSE_SE_EEES9_SG_JZNS1_25segmented_radix_sort_implINS0_14default_configELb0EPKbPbPKlPlN2at6native12_GLOBAL__N_18offset_tEEE10hipError_tPvRmT1_PNSt15iterator_traitsISY_E10value_typeET2_T3_PNSZ_IS14_E10value_typeET4_jRbjT5_S1A_jjP12ihipStream_tbEUljE_EEESV_SW_SX_S14_S18_S1A_T6_T7_T9_mT8_S1C_bDpT10_ENKUlT_T0_E_clISt17integral_constantIbLb1EES1P_EEDaS1K_S1L_EUlS1K_E_NS1_11comp_targetILNS1_3genE9ELNS1_11target_archE1100ELNS1_3gpuE3ELNS1_3repE0EEENS1_30default_config_static_selectorELNS0_4arch9wavefront6targetE0EEEvSY_
		.amdhsa_group_segment_fixed_size 0
		.amdhsa_private_segment_fixed_size 0
		.amdhsa_kernarg_size 152
		.amdhsa_user_sgpr_count 2
		.amdhsa_user_sgpr_dispatch_ptr 0
		.amdhsa_user_sgpr_queue_ptr 0
		.amdhsa_user_sgpr_kernarg_segment_ptr 1
		.amdhsa_user_sgpr_dispatch_id 0
		.amdhsa_user_sgpr_kernarg_preload_length 0
		.amdhsa_user_sgpr_kernarg_preload_offset 0
		.amdhsa_user_sgpr_private_segment_size 0
		.amdhsa_wavefront_size32 1
		.amdhsa_uses_dynamic_stack 0
		.amdhsa_enable_private_segment 0
		.amdhsa_system_sgpr_workgroup_id_x 1
		.amdhsa_system_sgpr_workgroup_id_y 0
		.amdhsa_system_sgpr_workgroup_id_z 0
		.amdhsa_system_sgpr_workgroup_info 0
		.amdhsa_system_vgpr_workitem_id 0
		.amdhsa_next_free_vgpr 1
		.amdhsa_next_free_sgpr 1
		.amdhsa_named_barrier_count 0
		.amdhsa_reserve_vcc 0
		.amdhsa_float_round_mode_32 0
		.amdhsa_float_round_mode_16_64 0
		.amdhsa_float_denorm_mode_32 3
		.amdhsa_float_denorm_mode_16_64 3
		.amdhsa_fp16_overflow 0
		.amdhsa_memory_ordered 1
		.amdhsa_forward_progress 1
		.amdhsa_inst_pref_size 0
		.amdhsa_round_robin_scheduling 0
		.amdhsa_exception_fp_ieee_invalid_op 0
		.amdhsa_exception_fp_denorm_src 0
		.amdhsa_exception_fp_ieee_div_zero 0
		.amdhsa_exception_fp_ieee_overflow 0
		.amdhsa_exception_fp_ieee_underflow 0
		.amdhsa_exception_fp_ieee_inexact 0
		.amdhsa_exception_int_div_zero 0
	.end_amdhsa_kernel
	.section	.text._ZN7rocprim17ROCPRIM_400000_NS6detail17trampoline_kernelINS0_13select_configILj256ELj13ELNS0_17block_load_methodE3ELS4_3ELS4_3ELNS0_20block_scan_algorithmE0ELj4294967295EEENS1_25partition_config_selectorILNS1_17partition_subalgoE3EjNS0_10empty_typeEbEEZZNS1_14partition_implILS8_3ELb0ES6_jNS0_17counting_iteratorIjlEEPS9_SE_NS0_5tupleIJPjSE_EEENSF_IJSE_SE_EEES9_SG_JZNS1_25segmented_radix_sort_implINS0_14default_configELb0EPKbPbPKlPlN2at6native12_GLOBAL__N_18offset_tEEE10hipError_tPvRmT1_PNSt15iterator_traitsISY_E10value_typeET2_T3_PNSZ_IS14_E10value_typeET4_jRbjT5_S1A_jjP12ihipStream_tbEUljE_EEESV_SW_SX_S14_S18_S1A_T6_T7_T9_mT8_S1C_bDpT10_ENKUlT_T0_E_clISt17integral_constantIbLb1EES1P_EEDaS1K_S1L_EUlS1K_E_NS1_11comp_targetILNS1_3genE9ELNS1_11target_archE1100ELNS1_3gpuE3ELNS1_3repE0EEENS1_30default_config_static_selectorELNS0_4arch9wavefront6targetE0EEEvSY_,"axG",@progbits,_ZN7rocprim17ROCPRIM_400000_NS6detail17trampoline_kernelINS0_13select_configILj256ELj13ELNS0_17block_load_methodE3ELS4_3ELS4_3ELNS0_20block_scan_algorithmE0ELj4294967295EEENS1_25partition_config_selectorILNS1_17partition_subalgoE3EjNS0_10empty_typeEbEEZZNS1_14partition_implILS8_3ELb0ES6_jNS0_17counting_iteratorIjlEEPS9_SE_NS0_5tupleIJPjSE_EEENSF_IJSE_SE_EEES9_SG_JZNS1_25segmented_radix_sort_implINS0_14default_configELb0EPKbPbPKlPlN2at6native12_GLOBAL__N_18offset_tEEE10hipError_tPvRmT1_PNSt15iterator_traitsISY_E10value_typeET2_T3_PNSZ_IS14_E10value_typeET4_jRbjT5_S1A_jjP12ihipStream_tbEUljE_EEESV_SW_SX_S14_S18_S1A_T6_T7_T9_mT8_S1C_bDpT10_ENKUlT_T0_E_clISt17integral_constantIbLb1EES1P_EEDaS1K_S1L_EUlS1K_E_NS1_11comp_targetILNS1_3genE9ELNS1_11target_archE1100ELNS1_3gpuE3ELNS1_3repE0EEENS1_30default_config_static_selectorELNS0_4arch9wavefront6targetE0EEEvSY_,comdat
.Lfunc_end1608:
	.size	_ZN7rocprim17ROCPRIM_400000_NS6detail17trampoline_kernelINS0_13select_configILj256ELj13ELNS0_17block_load_methodE3ELS4_3ELS4_3ELNS0_20block_scan_algorithmE0ELj4294967295EEENS1_25partition_config_selectorILNS1_17partition_subalgoE3EjNS0_10empty_typeEbEEZZNS1_14partition_implILS8_3ELb0ES6_jNS0_17counting_iteratorIjlEEPS9_SE_NS0_5tupleIJPjSE_EEENSF_IJSE_SE_EEES9_SG_JZNS1_25segmented_radix_sort_implINS0_14default_configELb0EPKbPbPKlPlN2at6native12_GLOBAL__N_18offset_tEEE10hipError_tPvRmT1_PNSt15iterator_traitsISY_E10value_typeET2_T3_PNSZ_IS14_E10value_typeET4_jRbjT5_S1A_jjP12ihipStream_tbEUljE_EEESV_SW_SX_S14_S18_S1A_T6_T7_T9_mT8_S1C_bDpT10_ENKUlT_T0_E_clISt17integral_constantIbLb1EES1P_EEDaS1K_S1L_EUlS1K_E_NS1_11comp_targetILNS1_3genE9ELNS1_11target_archE1100ELNS1_3gpuE3ELNS1_3repE0EEENS1_30default_config_static_selectorELNS0_4arch9wavefront6targetE0EEEvSY_, .Lfunc_end1608-_ZN7rocprim17ROCPRIM_400000_NS6detail17trampoline_kernelINS0_13select_configILj256ELj13ELNS0_17block_load_methodE3ELS4_3ELS4_3ELNS0_20block_scan_algorithmE0ELj4294967295EEENS1_25partition_config_selectorILNS1_17partition_subalgoE3EjNS0_10empty_typeEbEEZZNS1_14partition_implILS8_3ELb0ES6_jNS0_17counting_iteratorIjlEEPS9_SE_NS0_5tupleIJPjSE_EEENSF_IJSE_SE_EEES9_SG_JZNS1_25segmented_radix_sort_implINS0_14default_configELb0EPKbPbPKlPlN2at6native12_GLOBAL__N_18offset_tEEE10hipError_tPvRmT1_PNSt15iterator_traitsISY_E10value_typeET2_T3_PNSZ_IS14_E10value_typeET4_jRbjT5_S1A_jjP12ihipStream_tbEUljE_EEESV_SW_SX_S14_S18_S1A_T6_T7_T9_mT8_S1C_bDpT10_ENKUlT_T0_E_clISt17integral_constantIbLb1EES1P_EEDaS1K_S1L_EUlS1K_E_NS1_11comp_targetILNS1_3genE9ELNS1_11target_archE1100ELNS1_3gpuE3ELNS1_3repE0EEENS1_30default_config_static_selectorELNS0_4arch9wavefront6targetE0EEEvSY_
                                        ; -- End function
	.set _ZN7rocprim17ROCPRIM_400000_NS6detail17trampoline_kernelINS0_13select_configILj256ELj13ELNS0_17block_load_methodE3ELS4_3ELS4_3ELNS0_20block_scan_algorithmE0ELj4294967295EEENS1_25partition_config_selectorILNS1_17partition_subalgoE3EjNS0_10empty_typeEbEEZZNS1_14partition_implILS8_3ELb0ES6_jNS0_17counting_iteratorIjlEEPS9_SE_NS0_5tupleIJPjSE_EEENSF_IJSE_SE_EEES9_SG_JZNS1_25segmented_radix_sort_implINS0_14default_configELb0EPKbPbPKlPlN2at6native12_GLOBAL__N_18offset_tEEE10hipError_tPvRmT1_PNSt15iterator_traitsISY_E10value_typeET2_T3_PNSZ_IS14_E10value_typeET4_jRbjT5_S1A_jjP12ihipStream_tbEUljE_EEESV_SW_SX_S14_S18_S1A_T6_T7_T9_mT8_S1C_bDpT10_ENKUlT_T0_E_clISt17integral_constantIbLb1EES1P_EEDaS1K_S1L_EUlS1K_E_NS1_11comp_targetILNS1_3genE9ELNS1_11target_archE1100ELNS1_3gpuE3ELNS1_3repE0EEENS1_30default_config_static_selectorELNS0_4arch9wavefront6targetE0EEEvSY_.num_vgpr, 0
	.set _ZN7rocprim17ROCPRIM_400000_NS6detail17trampoline_kernelINS0_13select_configILj256ELj13ELNS0_17block_load_methodE3ELS4_3ELS4_3ELNS0_20block_scan_algorithmE0ELj4294967295EEENS1_25partition_config_selectorILNS1_17partition_subalgoE3EjNS0_10empty_typeEbEEZZNS1_14partition_implILS8_3ELb0ES6_jNS0_17counting_iteratorIjlEEPS9_SE_NS0_5tupleIJPjSE_EEENSF_IJSE_SE_EEES9_SG_JZNS1_25segmented_radix_sort_implINS0_14default_configELb0EPKbPbPKlPlN2at6native12_GLOBAL__N_18offset_tEEE10hipError_tPvRmT1_PNSt15iterator_traitsISY_E10value_typeET2_T3_PNSZ_IS14_E10value_typeET4_jRbjT5_S1A_jjP12ihipStream_tbEUljE_EEESV_SW_SX_S14_S18_S1A_T6_T7_T9_mT8_S1C_bDpT10_ENKUlT_T0_E_clISt17integral_constantIbLb1EES1P_EEDaS1K_S1L_EUlS1K_E_NS1_11comp_targetILNS1_3genE9ELNS1_11target_archE1100ELNS1_3gpuE3ELNS1_3repE0EEENS1_30default_config_static_selectorELNS0_4arch9wavefront6targetE0EEEvSY_.num_agpr, 0
	.set _ZN7rocprim17ROCPRIM_400000_NS6detail17trampoline_kernelINS0_13select_configILj256ELj13ELNS0_17block_load_methodE3ELS4_3ELS4_3ELNS0_20block_scan_algorithmE0ELj4294967295EEENS1_25partition_config_selectorILNS1_17partition_subalgoE3EjNS0_10empty_typeEbEEZZNS1_14partition_implILS8_3ELb0ES6_jNS0_17counting_iteratorIjlEEPS9_SE_NS0_5tupleIJPjSE_EEENSF_IJSE_SE_EEES9_SG_JZNS1_25segmented_radix_sort_implINS0_14default_configELb0EPKbPbPKlPlN2at6native12_GLOBAL__N_18offset_tEEE10hipError_tPvRmT1_PNSt15iterator_traitsISY_E10value_typeET2_T3_PNSZ_IS14_E10value_typeET4_jRbjT5_S1A_jjP12ihipStream_tbEUljE_EEESV_SW_SX_S14_S18_S1A_T6_T7_T9_mT8_S1C_bDpT10_ENKUlT_T0_E_clISt17integral_constantIbLb1EES1P_EEDaS1K_S1L_EUlS1K_E_NS1_11comp_targetILNS1_3genE9ELNS1_11target_archE1100ELNS1_3gpuE3ELNS1_3repE0EEENS1_30default_config_static_selectorELNS0_4arch9wavefront6targetE0EEEvSY_.numbered_sgpr, 0
	.set _ZN7rocprim17ROCPRIM_400000_NS6detail17trampoline_kernelINS0_13select_configILj256ELj13ELNS0_17block_load_methodE3ELS4_3ELS4_3ELNS0_20block_scan_algorithmE0ELj4294967295EEENS1_25partition_config_selectorILNS1_17partition_subalgoE3EjNS0_10empty_typeEbEEZZNS1_14partition_implILS8_3ELb0ES6_jNS0_17counting_iteratorIjlEEPS9_SE_NS0_5tupleIJPjSE_EEENSF_IJSE_SE_EEES9_SG_JZNS1_25segmented_radix_sort_implINS0_14default_configELb0EPKbPbPKlPlN2at6native12_GLOBAL__N_18offset_tEEE10hipError_tPvRmT1_PNSt15iterator_traitsISY_E10value_typeET2_T3_PNSZ_IS14_E10value_typeET4_jRbjT5_S1A_jjP12ihipStream_tbEUljE_EEESV_SW_SX_S14_S18_S1A_T6_T7_T9_mT8_S1C_bDpT10_ENKUlT_T0_E_clISt17integral_constantIbLb1EES1P_EEDaS1K_S1L_EUlS1K_E_NS1_11comp_targetILNS1_3genE9ELNS1_11target_archE1100ELNS1_3gpuE3ELNS1_3repE0EEENS1_30default_config_static_selectorELNS0_4arch9wavefront6targetE0EEEvSY_.num_named_barrier, 0
	.set _ZN7rocprim17ROCPRIM_400000_NS6detail17trampoline_kernelINS0_13select_configILj256ELj13ELNS0_17block_load_methodE3ELS4_3ELS4_3ELNS0_20block_scan_algorithmE0ELj4294967295EEENS1_25partition_config_selectorILNS1_17partition_subalgoE3EjNS0_10empty_typeEbEEZZNS1_14partition_implILS8_3ELb0ES6_jNS0_17counting_iteratorIjlEEPS9_SE_NS0_5tupleIJPjSE_EEENSF_IJSE_SE_EEES9_SG_JZNS1_25segmented_radix_sort_implINS0_14default_configELb0EPKbPbPKlPlN2at6native12_GLOBAL__N_18offset_tEEE10hipError_tPvRmT1_PNSt15iterator_traitsISY_E10value_typeET2_T3_PNSZ_IS14_E10value_typeET4_jRbjT5_S1A_jjP12ihipStream_tbEUljE_EEESV_SW_SX_S14_S18_S1A_T6_T7_T9_mT8_S1C_bDpT10_ENKUlT_T0_E_clISt17integral_constantIbLb1EES1P_EEDaS1K_S1L_EUlS1K_E_NS1_11comp_targetILNS1_3genE9ELNS1_11target_archE1100ELNS1_3gpuE3ELNS1_3repE0EEENS1_30default_config_static_selectorELNS0_4arch9wavefront6targetE0EEEvSY_.private_seg_size, 0
	.set _ZN7rocprim17ROCPRIM_400000_NS6detail17trampoline_kernelINS0_13select_configILj256ELj13ELNS0_17block_load_methodE3ELS4_3ELS4_3ELNS0_20block_scan_algorithmE0ELj4294967295EEENS1_25partition_config_selectorILNS1_17partition_subalgoE3EjNS0_10empty_typeEbEEZZNS1_14partition_implILS8_3ELb0ES6_jNS0_17counting_iteratorIjlEEPS9_SE_NS0_5tupleIJPjSE_EEENSF_IJSE_SE_EEES9_SG_JZNS1_25segmented_radix_sort_implINS0_14default_configELb0EPKbPbPKlPlN2at6native12_GLOBAL__N_18offset_tEEE10hipError_tPvRmT1_PNSt15iterator_traitsISY_E10value_typeET2_T3_PNSZ_IS14_E10value_typeET4_jRbjT5_S1A_jjP12ihipStream_tbEUljE_EEESV_SW_SX_S14_S18_S1A_T6_T7_T9_mT8_S1C_bDpT10_ENKUlT_T0_E_clISt17integral_constantIbLb1EES1P_EEDaS1K_S1L_EUlS1K_E_NS1_11comp_targetILNS1_3genE9ELNS1_11target_archE1100ELNS1_3gpuE3ELNS1_3repE0EEENS1_30default_config_static_selectorELNS0_4arch9wavefront6targetE0EEEvSY_.uses_vcc, 0
	.set _ZN7rocprim17ROCPRIM_400000_NS6detail17trampoline_kernelINS0_13select_configILj256ELj13ELNS0_17block_load_methodE3ELS4_3ELS4_3ELNS0_20block_scan_algorithmE0ELj4294967295EEENS1_25partition_config_selectorILNS1_17partition_subalgoE3EjNS0_10empty_typeEbEEZZNS1_14partition_implILS8_3ELb0ES6_jNS0_17counting_iteratorIjlEEPS9_SE_NS0_5tupleIJPjSE_EEENSF_IJSE_SE_EEES9_SG_JZNS1_25segmented_radix_sort_implINS0_14default_configELb0EPKbPbPKlPlN2at6native12_GLOBAL__N_18offset_tEEE10hipError_tPvRmT1_PNSt15iterator_traitsISY_E10value_typeET2_T3_PNSZ_IS14_E10value_typeET4_jRbjT5_S1A_jjP12ihipStream_tbEUljE_EEESV_SW_SX_S14_S18_S1A_T6_T7_T9_mT8_S1C_bDpT10_ENKUlT_T0_E_clISt17integral_constantIbLb1EES1P_EEDaS1K_S1L_EUlS1K_E_NS1_11comp_targetILNS1_3genE9ELNS1_11target_archE1100ELNS1_3gpuE3ELNS1_3repE0EEENS1_30default_config_static_selectorELNS0_4arch9wavefront6targetE0EEEvSY_.uses_flat_scratch, 0
	.set _ZN7rocprim17ROCPRIM_400000_NS6detail17trampoline_kernelINS0_13select_configILj256ELj13ELNS0_17block_load_methodE3ELS4_3ELS4_3ELNS0_20block_scan_algorithmE0ELj4294967295EEENS1_25partition_config_selectorILNS1_17partition_subalgoE3EjNS0_10empty_typeEbEEZZNS1_14partition_implILS8_3ELb0ES6_jNS0_17counting_iteratorIjlEEPS9_SE_NS0_5tupleIJPjSE_EEENSF_IJSE_SE_EEES9_SG_JZNS1_25segmented_radix_sort_implINS0_14default_configELb0EPKbPbPKlPlN2at6native12_GLOBAL__N_18offset_tEEE10hipError_tPvRmT1_PNSt15iterator_traitsISY_E10value_typeET2_T3_PNSZ_IS14_E10value_typeET4_jRbjT5_S1A_jjP12ihipStream_tbEUljE_EEESV_SW_SX_S14_S18_S1A_T6_T7_T9_mT8_S1C_bDpT10_ENKUlT_T0_E_clISt17integral_constantIbLb1EES1P_EEDaS1K_S1L_EUlS1K_E_NS1_11comp_targetILNS1_3genE9ELNS1_11target_archE1100ELNS1_3gpuE3ELNS1_3repE0EEENS1_30default_config_static_selectorELNS0_4arch9wavefront6targetE0EEEvSY_.has_dyn_sized_stack, 0
	.set _ZN7rocprim17ROCPRIM_400000_NS6detail17trampoline_kernelINS0_13select_configILj256ELj13ELNS0_17block_load_methodE3ELS4_3ELS4_3ELNS0_20block_scan_algorithmE0ELj4294967295EEENS1_25partition_config_selectorILNS1_17partition_subalgoE3EjNS0_10empty_typeEbEEZZNS1_14partition_implILS8_3ELb0ES6_jNS0_17counting_iteratorIjlEEPS9_SE_NS0_5tupleIJPjSE_EEENSF_IJSE_SE_EEES9_SG_JZNS1_25segmented_radix_sort_implINS0_14default_configELb0EPKbPbPKlPlN2at6native12_GLOBAL__N_18offset_tEEE10hipError_tPvRmT1_PNSt15iterator_traitsISY_E10value_typeET2_T3_PNSZ_IS14_E10value_typeET4_jRbjT5_S1A_jjP12ihipStream_tbEUljE_EEESV_SW_SX_S14_S18_S1A_T6_T7_T9_mT8_S1C_bDpT10_ENKUlT_T0_E_clISt17integral_constantIbLb1EES1P_EEDaS1K_S1L_EUlS1K_E_NS1_11comp_targetILNS1_3genE9ELNS1_11target_archE1100ELNS1_3gpuE3ELNS1_3repE0EEENS1_30default_config_static_selectorELNS0_4arch9wavefront6targetE0EEEvSY_.has_recursion, 0
	.set _ZN7rocprim17ROCPRIM_400000_NS6detail17trampoline_kernelINS0_13select_configILj256ELj13ELNS0_17block_load_methodE3ELS4_3ELS4_3ELNS0_20block_scan_algorithmE0ELj4294967295EEENS1_25partition_config_selectorILNS1_17partition_subalgoE3EjNS0_10empty_typeEbEEZZNS1_14partition_implILS8_3ELb0ES6_jNS0_17counting_iteratorIjlEEPS9_SE_NS0_5tupleIJPjSE_EEENSF_IJSE_SE_EEES9_SG_JZNS1_25segmented_radix_sort_implINS0_14default_configELb0EPKbPbPKlPlN2at6native12_GLOBAL__N_18offset_tEEE10hipError_tPvRmT1_PNSt15iterator_traitsISY_E10value_typeET2_T3_PNSZ_IS14_E10value_typeET4_jRbjT5_S1A_jjP12ihipStream_tbEUljE_EEESV_SW_SX_S14_S18_S1A_T6_T7_T9_mT8_S1C_bDpT10_ENKUlT_T0_E_clISt17integral_constantIbLb1EES1P_EEDaS1K_S1L_EUlS1K_E_NS1_11comp_targetILNS1_3genE9ELNS1_11target_archE1100ELNS1_3gpuE3ELNS1_3repE0EEENS1_30default_config_static_selectorELNS0_4arch9wavefront6targetE0EEEvSY_.has_indirect_call, 0
	.section	.AMDGPU.csdata,"",@progbits
; Kernel info:
; codeLenInByte = 0
; TotalNumSgprs: 0
; NumVgprs: 0
; ScratchSize: 0
; MemoryBound: 0
; FloatMode: 240
; IeeeMode: 1
; LDSByteSize: 0 bytes/workgroup (compile time only)
; SGPRBlocks: 0
; VGPRBlocks: 0
; NumSGPRsForWavesPerEU: 1
; NumVGPRsForWavesPerEU: 1
; NamedBarCnt: 0
; Occupancy: 16
; WaveLimiterHint : 0
; COMPUTE_PGM_RSRC2:SCRATCH_EN: 0
; COMPUTE_PGM_RSRC2:USER_SGPR: 2
; COMPUTE_PGM_RSRC2:TRAP_HANDLER: 0
; COMPUTE_PGM_RSRC2:TGID_X_EN: 1
; COMPUTE_PGM_RSRC2:TGID_Y_EN: 0
; COMPUTE_PGM_RSRC2:TGID_Z_EN: 0
; COMPUTE_PGM_RSRC2:TIDIG_COMP_CNT: 0
	.section	.text._ZN7rocprim17ROCPRIM_400000_NS6detail17trampoline_kernelINS0_13select_configILj256ELj13ELNS0_17block_load_methodE3ELS4_3ELS4_3ELNS0_20block_scan_algorithmE0ELj4294967295EEENS1_25partition_config_selectorILNS1_17partition_subalgoE3EjNS0_10empty_typeEbEEZZNS1_14partition_implILS8_3ELb0ES6_jNS0_17counting_iteratorIjlEEPS9_SE_NS0_5tupleIJPjSE_EEENSF_IJSE_SE_EEES9_SG_JZNS1_25segmented_radix_sort_implINS0_14default_configELb0EPKbPbPKlPlN2at6native12_GLOBAL__N_18offset_tEEE10hipError_tPvRmT1_PNSt15iterator_traitsISY_E10value_typeET2_T3_PNSZ_IS14_E10value_typeET4_jRbjT5_S1A_jjP12ihipStream_tbEUljE_EEESV_SW_SX_S14_S18_S1A_T6_T7_T9_mT8_S1C_bDpT10_ENKUlT_T0_E_clISt17integral_constantIbLb1EES1P_EEDaS1K_S1L_EUlS1K_E_NS1_11comp_targetILNS1_3genE8ELNS1_11target_archE1030ELNS1_3gpuE2ELNS1_3repE0EEENS1_30default_config_static_selectorELNS0_4arch9wavefront6targetE0EEEvSY_,"axG",@progbits,_ZN7rocprim17ROCPRIM_400000_NS6detail17trampoline_kernelINS0_13select_configILj256ELj13ELNS0_17block_load_methodE3ELS4_3ELS4_3ELNS0_20block_scan_algorithmE0ELj4294967295EEENS1_25partition_config_selectorILNS1_17partition_subalgoE3EjNS0_10empty_typeEbEEZZNS1_14partition_implILS8_3ELb0ES6_jNS0_17counting_iteratorIjlEEPS9_SE_NS0_5tupleIJPjSE_EEENSF_IJSE_SE_EEES9_SG_JZNS1_25segmented_radix_sort_implINS0_14default_configELb0EPKbPbPKlPlN2at6native12_GLOBAL__N_18offset_tEEE10hipError_tPvRmT1_PNSt15iterator_traitsISY_E10value_typeET2_T3_PNSZ_IS14_E10value_typeET4_jRbjT5_S1A_jjP12ihipStream_tbEUljE_EEESV_SW_SX_S14_S18_S1A_T6_T7_T9_mT8_S1C_bDpT10_ENKUlT_T0_E_clISt17integral_constantIbLb1EES1P_EEDaS1K_S1L_EUlS1K_E_NS1_11comp_targetILNS1_3genE8ELNS1_11target_archE1030ELNS1_3gpuE2ELNS1_3repE0EEENS1_30default_config_static_selectorELNS0_4arch9wavefront6targetE0EEEvSY_,comdat
	.globl	_ZN7rocprim17ROCPRIM_400000_NS6detail17trampoline_kernelINS0_13select_configILj256ELj13ELNS0_17block_load_methodE3ELS4_3ELS4_3ELNS0_20block_scan_algorithmE0ELj4294967295EEENS1_25partition_config_selectorILNS1_17partition_subalgoE3EjNS0_10empty_typeEbEEZZNS1_14partition_implILS8_3ELb0ES6_jNS0_17counting_iteratorIjlEEPS9_SE_NS0_5tupleIJPjSE_EEENSF_IJSE_SE_EEES9_SG_JZNS1_25segmented_radix_sort_implINS0_14default_configELb0EPKbPbPKlPlN2at6native12_GLOBAL__N_18offset_tEEE10hipError_tPvRmT1_PNSt15iterator_traitsISY_E10value_typeET2_T3_PNSZ_IS14_E10value_typeET4_jRbjT5_S1A_jjP12ihipStream_tbEUljE_EEESV_SW_SX_S14_S18_S1A_T6_T7_T9_mT8_S1C_bDpT10_ENKUlT_T0_E_clISt17integral_constantIbLb1EES1P_EEDaS1K_S1L_EUlS1K_E_NS1_11comp_targetILNS1_3genE8ELNS1_11target_archE1030ELNS1_3gpuE2ELNS1_3repE0EEENS1_30default_config_static_selectorELNS0_4arch9wavefront6targetE0EEEvSY_ ; -- Begin function _ZN7rocprim17ROCPRIM_400000_NS6detail17trampoline_kernelINS0_13select_configILj256ELj13ELNS0_17block_load_methodE3ELS4_3ELS4_3ELNS0_20block_scan_algorithmE0ELj4294967295EEENS1_25partition_config_selectorILNS1_17partition_subalgoE3EjNS0_10empty_typeEbEEZZNS1_14partition_implILS8_3ELb0ES6_jNS0_17counting_iteratorIjlEEPS9_SE_NS0_5tupleIJPjSE_EEENSF_IJSE_SE_EEES9_SG_JZNS1_25segmented_radix_sort_implINS0_14default_configELb0EPKbPbPKlPlN2at6native12_GLOBAL__N_18offset_tEEE10hipError_tPvRmT1_PNSt15iterator_traitsISY_E10value_typeET2_T3_PNSZ_IS14_E10value_typeET4_jRbjT5_S1A_jjP12ihipStream_tbEUljE_EEESV_SW_SX_S14_S18_S1A_T6_T7_T9_mT8_S1C_bDpT10_ENKUlT_T0_E_clISt17integral_constantIbLb1EES1P_EEDaS1K_S1L_EUlS1K_E_NS1_11comp_targetILNS1_3genE8ELNS1_11target_archE1030ELNS1_3gpuE2ELNS1_3repE0EEENS1_30default_config_static_selectorELNS0_4arch9wavefront6targetE0EEEvSY_
	.p2align	8
	.type	_ZN7rocprim17ROCPRIM_400000_NS6detail17trampoline_kernelINS0_13select_configILj256ELj13ELNS0_17block_load_methodE3ELS4_3ELS4_3ELNS0_20block_scan_algorithmE0ELj4294967295EEENS1_25partition_config_selectorILNS1_17partition_subalgoE3EjNS0_10empty_typeEbEEZZNS1_14partition_implILS8_3ELb0ES6_jNS0_17counting_iteratorIjlEEPS9_SE_NS0_5tupleIJPjSE_EEENSF_IJSE_SE_EEES9_SG_JZNS1_25segmented_radix_sort_implINS0_14default_configELb0EPKbPbPKlPlN2at6native12_GLOBAL__N_18offset_tEEE10hipError_tPvRmT1_PNSt15iterator_traitsISY_E10value_typeET2_T3_PNSZ_IS14_E10value_typeET4_jRbjT5_S1A_jjP12ihipStream_tbEUljE_EEESV_SW_SX_S14_S18_S1A_T6_T7_T9_mT8_S1C_bDpT10_ENKUlT_T0_E_clISt17integral_constantIbLb1EES1P_EEDaS1K_S1L_EUlS1K_E_NS1_11comp_targetILNS1_3genE8ELNS1_11target_archE1030ELNS1_3gpuE2ELNS1_3repE0EEENS1_30default_config_static_selectorELNS0_4arch9wavefront6targetE0EEEvSY_,@function
_ZN7rocprim17ROCPRIM_400000_NS6detail17trampoline_kernelINS0_13select_configILj256ELj13ELNS0_17block_load_methodE3ELS4_3ELS4_3ELNS0_20block_scan_algorithmE0ELj4294967295EEENS1_25partition_config_selectorILNS1_17partition_subalgoE3EjNS0_10empty_typeEbEEZZNS1_14partition_implILS8_3ELb0ES6_jNS0_17counting_iteratorIjlEEPS9_SE_NS0_5tupleIJPjSE_EEENSF_IJSE_SE_EEES9_SG_JZNS1_25segmented_radix_sort_implINS0_14default_configELb0EPKbPbPKlPlN2at6native12_GLOBAL__N_18offset_tEEE10hipError_tPvRmT1_PNSt15iterator_traitsISY_E10value_typeET2_T3_PNSZ_IS14_E10value_typeET4_jRbjT5_S1A_jjP12ihipStream_tbEUljE_EEESV_SW_SX_S14_S18_S1A_T6_T7_T9_mT8_S1C_bDpT10_ENKUlT_T0_E_clISt17integral_constantIbLb1EES1P_EEDaS1K_S1L_EUlS1K_E_NS1_11comp_targetILNS1_3genE8ELNS1_11target_archE1030ELNS1_3gpuE2ELNS1_3repE0EEENS1_30default_config_static_selectorELNS0_4arch9wavefront6targetE0EEEvSY_: ; @_ZN7rocprim17ROCPRIM_400000_NS6detail17trampoline_kernelINS0_13select_configILj256ELj13ELNS0_17block_load_methodE3ELS4_3ELS4_3ELNS0_20block_scan_algorithmE0ELj4294967295EEENS1_25partition_config_selectorILNS1_17partition_subalgoE3EjNS0_10empty_typeEbEEZZNS1_14partition_implILS8_3ELb0ES6_jNS0_17counting_iteratorIjlEEPS9_SE_NS0_5tupleIJPjSE_EEENSF_IJSE_SE_EEES9_SG_JZNS1_25segmented_radix_sort_implINS0_14default_configELb0EPKbPbPKlPlN2at6native12_GLOBAL__N_18offset_tEEE10hipError_tPvRmT1_PNSt15iterator_traitsISY_E10value_typeET2_T3_PNSZ_IS14_E10value_typeET4_jRbjT5_S1A_jjP12ihipStream_tbEUljE_EEESV_SW_SX_S14_S18_S1A_T6_T7_T9_mT8_S1C_bDpT10_ENKUlT_T0_E_clISt17integral_constantIbLb1EES1P_EEDaS1K_S1L_EUlS1K_E_NS1_11comp_targetILNS1_3genE8ELNS1_11target_archE1030ELNS1_3gpuE2ELNS1_3repE0EEENS1_30default_config_static_selectorELNS0_4arch9wavefront6targetE0EEEvSY_
; %bb.0:
	.section	.rodata,"a",@progbits
	.p2align	6, 0x0
	.amdhsa_kernel _ZN7rocprim17ROCPRIM_400000_NS6detail17trampoline_kernelINS0_13select_configILj256ELj13ELNS0_17block_load_methodE3ELS4_3ELS4_3ELNS0_20block_scan_algorithmE0ELj4294967295EEENS1_25partition_config_selectorILNS1_17partition_subalgoE3EjNS0_10empty_typeEbEEZZNS1_14partition_implILS8_3ELb0ES6_jNS0_17counting_iteratorIjlEEPS9_SE_NS0_5tupleIJPjSE_EEENSF_IJSE_SE_EEES9_SG_JZNS1_25segmented_radix_sort_implINS0_14default_configELb0EPKbPbPKlPlN2at6native12_GLOBAL__N_18offset_tEEE10hipError_tPvRmT1_PNSt15iterator_traitsISY_E10value_typeET2_T3_PNSZ_IS14_E10value_typeET4_jRbjT5_S1A_jjP12ihipStream_tbEUljE_EEESV_SW_SX_S14_S18_S1A_T6_T7_T9_mT8_S1C_bDpT10_ENKUlT_T0_E_clISt17integral_constantIbLb1EES1P_EEDaS1K_S1L_EUlS1K_E_NS1_11comp_targetILNS1_3genE8ELNS1_11target_archE1030ELNS1_3gpuE2ELNS1_3repE0EEENS1_30default_config_static_selectorELNS0_4arch9wavefront6targetE0EEEvSY_
		.amdhsa_group_segment_fixed_size 0
		.amdhsa_private_segment_fixed_size 0
		.amdhsa_kernarg_size 152
		.amdhsa_user_sgpr_count 2
		.amdhsa_user_sgpr_dispatch_ptr 0
		.amdhsa_user_sgpr_queue_ptr 0
		.amdhsa_user_sgpr_kernarg_segment_ptr 1
		.amdhsa_user_sgpr_dispatch_id 0
		.amdhsa_user_sgpr_kernarg_preload_length 0
		.amdhsa_user_sgpr_kernarg_preload_offset 0
		.amdhsa_user_sgpr_private_segment_size 0
		.amdhsa_wavefront_size32 1
		.amdhsa_uses_dynamic_stack 0
		.amdhsa_enable_private_segment 0
		.amdhsa_system_sgpr_workgroup_id_x 1
		.amdhsa_system_sgpr_workgroup_id_y 0
		.amdhsa_system_sgpr_workgroup_id_z 0
		.amdhsa_system_sgpr_workgroup_info 0
		.amdhsa_system_vgpr_workitem_id 0
		.amdhsa_next_free_vgpr 1
		.amdhsa_next_free_sgpr 1
		.amdhsa_named_barrier_count 0
		.amdhsa_reserve_vcc 0
		.amdhsa_float_round_mode_32 0
		.amdhsa_float_round_mode_16_64 0
		.amdhsa_float_denorm_mode_32 3
		.amdhsa_float_denorm_mode_16_64 3
		.amdhsa_fp16_overflow 0
		.amdhsa_memory_ordered 1
		.amdhsa_forward_progress 1
		.amdhsa_inst_pref_size 0
		.amdhsa_round_robin_scheduling 0
		.amdhsa_exception_fp_ieee_invalid_op 0
		.amdhsa_exception_fp_denorm_src 0
		.amdhsa_exception_fp_ieee_div_zero 0
		.amdhsa_exception_fp_ieee_overflow 0
		.amdhsa_exception_fp_ieee_underflow 0
		.amdhsa_exception_fp_ieee_inexact 0
		.amdhsa_exception_int_div_zero 0
	.end_amdhsa_kernel
	.section	.text._ZN7rocprim17ROCPRIM_400000_NS6detail17trampoline_kernelINS0_13select_configILj256ELj13ELNS0_17block_load_methodE3ELS4_3ELS4_3ELNS0_20block_scan_algorithmE0ELj4294967295EEENS1_25partition_config_selectorILNS1_17partition_subalgoE3EjNS0_10empty_typeEbEEZZNS1_14partition_implILS8_3ELb0ES6_jNS0_17counting_iteratorIjlEEPS9_SE_NS0_5tupleIJPjSE_EEENSF_IJSE_SE_EEES9_SG_JZNS1_25segmented_radix_sort_implINS0_14default_configELb0EPKbPbPKlPlN2at6native12_GLOBAL__N_18offset_tEEE10hipError_tPvRmT1_PNSt15iterator_traitsISY_E10value_typeET2_T3_PNSZ_IS14_E10value_typeET4_jRbjT5_S1A_jjP12ihipStream_tbEUljE_EEESV_SW_SX_S14_S18_S1A_T6_T7_T9_mT8_S1C_bDpT10_ENKUlT_T0_E_clISt17integral_constantIbLb1EES1P_EEDaS1K_S1L_EUlS1K_E_NS1_11comp_targetILNS1_3genE8ELNS1_11target_archE1030ELNS1_3gpuE2ELNS1_3repE0EEENS1_30default_config_static_selectorELNS0_4arch9wavefront6targetE0EEEvSY_,"axG",@progbits,_ZN7rocprim17ROCPRIM_400000_NS6detail17trampoline_kernelINS0_13select_configILj256ELj13ELNS0_17block_load_methodE3ELS4_3ELS4_3ELNS0_20block_scan_algorithmE0ELj4294967295EEENS1_25partition_config_selectorILNS1_17partition_subalgoE3EjNS0_10empty_typeEbEEZZNS1_14partition_implILS8_3ELb0ES6_jNS0_17counting_iteratorIjlEEPS9_SE_NS0_5tupleIJPjSE_EEENSF_IJSE_SE_EEES9_SG_JZNS1_25segmented_radix_sort_implINS0_14default_configELb0EPKbPbPKlPlN2at6native12_GLOBAL__N_18offset_tEEE10hipError_tPvRmT1_PNSt15iterator_traitsISY_E10value_typeET2_T3_PNSZ_IS14_E10value_typeET4_jRbjT5_S1A_jjP12ihipStream_tbEUljE_EEESV_SW_SX_S14_S18_S1A_T6_T7_T9_mT8_S1C_bDpT10_ENKUlT_T0_E_clISt17integral_constantIbLb1EES1P_EEDaS1K_S1L_EUlS1K_E_NS1_11comp_targetILNS1_3genE8ELNS1_11target_archE1030ELNS1_3gpuE2ELNS1_3repE0EEENS1_30default_config_static_selectorELNS0_4arch9wavefront6targetE0EEEvSY_,comdat
.Lfunc_end1609:
	.size	_ZN7rocprim17ROCPRIM_400000_NS6detail17trampoline_kernelINS0_13select_configILj256ELj13ELNS0_17block_load_methodE3ELS4_3ELS4_3ELNS0_20block_scan_algorithmE0ELj4294967295EEENS1_25partition_config_selectorILNS1_17partition_subalgoE3EjNS0_10empty_typeEbEEZZNS1_14partition_implILS8_3ELb0ES6_jNS0_17counting_iteratorIjlEEPS9_SE_NS0_5tupleIJPjSE_EEENSF_IJSE_SE_EEES9_SG_JZNS1_25segmented_radix_sort_implINS0_14default_configELb0EPKbPbPKlPlN2at6native12_GLOBAL__N_18offset_tEEE10hipError_tPvRmT1_PNSt15iterator_traitsISY_E10value_typeET2_T3_PNSZ_IS14_E10value_typeET4_jRbjT5_S1A_jjP12ihipStream_tbEUljE_EEESV_SW_SX_S14_S18_S1A_T6_T7_T9_mT8_S1C_bDpT10_ENKUlT_T0_E_clISt17integral_constantIbLb1EES1P_EEDaS1K_S1L_EUlS1K_E_NS1_11comp_targetILNS1_3genE8ELNS1_11target_archE1030ELNS1_3gpuE2ELNS1_3repE0EEENS1_30default_config_static_selectorELNS0_4arch9wavefront6targetE0EEEvSY_, .Lfunc_end1609-_ZN7rocprim17ROCPRIM_400000_NS6detail17trampoline_kernelINS0_13select_configILj256ELj13ELNS0_17block_load_methodE3ELS4_3ELS4_3ELNS0_20block_scan_algorithmE0ELj4294967295EEENS1_25partition_config_selectorILNS1_17partition_subalgoE3EjNS0_10empty_typeEbEEZZNS1_14partition_implILS8_3ELb0ES6_jNS0_17counting_iteratorIjlEEPS9_SE_NS0_5tupleIJPjSE_EEENSF_IJSE_SE_EEES9_SG_JZNS1_25segmented_radix_sort_implINS0_14default_configELb0EPKbPbPKlPlN2at6native12_GLOBAL__N_18offset_tEEE10hipError_tPvRmT1_PNSt15iterator_traitsISY_E10value_typeET2_T3_PNSZ_IS14_E10value_typeET4_jRbjT5_S1A_jjP12ihipStream_tbEUljE_EEESV_SW_SX_S14_S18_S1A_T6_T7_T9_mT8_S1C_bDpT10_ENKUlT_T0_E_clISt17integral_constantIbLb1EES1P_EEDaS1K_S1L_EUlS1K_E_NS1_11comp_targetILNS1_3genE8ELNS1_11target_archE1030ELNS1_3gpuE2ELNS1_3repE0EEENS1_30default_config_static_selectorELNS0_4arch9wavefront6targetE0EEEvSY_
                                        ; -- End function
	.set _ZN7rocprim17ROCPRIM_400000_NS6detail17trampoline_kernelINS0_13select_configILj256ELj13ELNS0_17block_load_methodE3ELS4_3ELS4_3ELNS0_20block_scan_algorithmE0ELj4294967295EEENS1_25partition_config_selectorILNS1_17partition_subalgoE3EjNS0_10empty_typeEbEEZZNS1_14partition_implILS8_3ELb0ES6_jNS0_17counting_iteratorIjlEEPS9_SE_NS0_5tupleIJPjSE_EEENSF_IJSE_SE_EEES9_SG_JZNS1_25segmented_radix_sort_implINS0_14default_configELb0EPKbPbPKlPlN2at6native12_GLOBAL__N_18offset_tEEE10hipError_tPvRmT1_PNSt15iterator_traitsISY_E10value_typeET2_T3_PNSZ_IS14_E10value_typeET4_jRbjT5_S1A_jjP12ihipStream_tbEUljE_EEESV_SW_SX_S14_S18_S1A_T6_T7_T9_mT8_S1C_bDpT10_ENKUlT_T0_E_clISt17integral_constantIbLb1EES1P_EEDaS1K_S1L_EUlS1K_E_NS1_11comp_targetILNS1_3genE8ELNS1_11target_archE1030ELNS1_3gpuE2ELNS1_3repE0EEENS1_30default_config_static_selectorELNS0_4arch9wavefront6targetE0EEEvSY_.num_vgpr, 0
	.set _ZN7rocprim17ROCPRIM_400000_NS6detail17trampoline_kernelINS0_13select_configILj256ELj13ELNS0_17block_load_methodE3ELS4_3ELS4_3ELNS0_20block_scan_algorithmE0ELj4294967295EEENS1_25partition_config_selectorILNS1_17partition_subalgoE3EjNS0_10empty_typeEbEEZZNS1_14partition_implILS8_3ELb0ES6_jNS0_17counting_iteratorIjlEEPS9_SE_NS0_5tupleIJPjSE_EEENSF_IJSE_SE_EEES9_SG_JZNS1_25segmented_radix_sort_implINS0_14default_configELb0EPKbPbPKlPlN2at6native12_GLOBAL__N_18offset_tEEE10hipError_tPvRmT1_PNSt15iterator_traitsISY_E10value_typeET2_T3_PNSZ_IS14_E10value_typeET4_jRbjT5_S1A_jjP12ihipStream_tbEUljE_EEESV_SW_SX_S14_S18_S1A_T6_T7_T9_mT8_S1C_bDpT10_ENKUlT_T0_E_clISt17integral_constantIbLb1EES1P_EEDaS1K_S1L_EUlS1K_E_NS1_11comp_targetILNS1_3genE8ELNS1_11target_archE1030ELNS1_3gpuE2ELNS1_3repE0EEENS1_30default_config_static_selectorELNS0_4arch9wavefront6targetE0EEEvSY_.num_agpr, 0
	.set _ZN7rocprim17ROCPRIM_400000_NS6detail17trampoline_kernelINS0_13select_configILj256ELj13ELNS0_17block_load_methodE3ELS4_3ELS4_3ELNS0_20block_scan_algorithmE0ELj4294967295EEENS1_25partition_config_selectorILNS1_17partition_subalgoE3EjNS0_10empty_typeEbEEZZNS1_14partition_implILS8_3ELb0ES6_jNS0_17counting_iteratorIjlEEPS9_SE_NS0_5tupleIJPjSE_EEENSF_IJSE_SE_EEES9_SG_JZNS1_25segmented_radix_sort_implINS0_14default_configELb0EPKbPbPKlPlN2at6native12_GLOBAL__N_18offset_tEEE10hipError_tPvRmT1_PNSt15iterator_traitsISY_E10value_typeET2_T3_PNSZ_IS14_E10value_typeET4_jRbjT5_S1A_jjP12ihipStream_tbEUljE_EEESV_SW_SX_S14_S18_S1A_T6_T7_T9_mT8_S1C_bDpT10_ENKUlT_T0_E_clISt17integral_constantIbLb1EES1P_EEDaS1K_S1L_EUlS1K_E_NS1_11comp_targetILNS1_3genE8ELNS1_11target_archE1030ELNS1_3gpuE2ELNS1_3repE0EEENS1_30default_config_static_selectorELNS0_4arch9wavefront6targetE0EEEvSY_.numbered_sgpr, 0
	.set _ZN7rocprim17ROCPRIM_400000_NS6detail17trampoline_kernelINS0_13select_configILj256ELj13ELNS0_17block_load_methodE3ELS4_3ELS4_3ELNS0_20block_scan_algorithmE0ELj4294967295EEENS1_25partition_config_selectorILNS1_17partition_subalgoE3EjNS0_10empty_typeEbEEZZNS1_14partition_implILS8_3ELb0ES6_jNS0_17counting_iteratorIjlEEPS9_SE_NS0_5tupleIJPjSE_EEENSF_IJSE_SE_EEES9_SG_JZNS1_25segmented_radix_sort_implINS0_14default_configELb0EPKbPbPKlPlN2at6native12_GLOBAL__N_18offset_tEEE10hipError_tPvRmT1_PNSt15iterator_traitsISY_E10value_typeET2_T3_PNSZ_IS14_E10value_typeET4_jRbjT5_S1A_jjP12ihipStream_tbEUljE_EEESV_SW_SX_S14_S18_S1A_T6_T7_T9_mT8_S1C_bDpT10_ENKUlT_T0_E_clISt17integral_constantIbLb1EES1P_EEDaS1K_S1L_EUlS1K_E_NS1_11comp_targetILNS1_3genE8ELNS1_11target_archE1030ELNS1_3gpuE2ELNS1_3repE0EEENS1_30default_config_static_selectorELNS0_4arch9wavefront6targetE0EEEvSY_.num_named_barrier, 0
	.set _ZN7rocprim17ROCPRIM_400000_NS6detail17trampoline_kernelINS0_13select_configILj256ELj13ELNS0_17block_load_methodE3ELS4_3ELS4_3ELNS0_20block_scan_algorithmE0ELj4294967295EEENS1_25partition_config_selectorILNS1_17partition_subalgoE3EjNS0_10empty_typeEbEEZZNS1_14partition_implILS8_3ELb0ES6_jNS0_17counting_iteratorIjlEEPS9_SE_NS0_5tupleIJPjSE_EEENSF_IJSE_SE_EEES9_SG_JZNS1_25segmented_radix_sort_implINS0_14default_configELb0EPKbPbPKlPlN2at6native12_GLOBAL__N_18offset_tEEE10hipError_tPvRmT1_PNSt15iterator_traitsISY_E10value_typeET2_T3_PNSZ_IS14_E10value_typeET4_jRbjT5_S1A_jjP12ihipStream_tbEUljE_EEESV_SW_SX_S14_S18_S1A_T6_T7_T9_mT8_S1C_bDpT10_ENKUlT_T0_E_clISt17integral_constantIbLb1EES1P_EEDaS1K_S1L_EUlS1K_E_NS1_11comp_targetILNS1_3genE8ELNS1_11target_archE1030ELNS1_3gpuE2ELNS1_3repE0EEENS1_30default_config_static_selectorELNS0_4arch9wavefront6targetE0EEEvSY_.private_seg_size, 0
	.set _ZN7rocprim17ROCPRIM_400000_NS6detail17trampoline_kernelINS0_13select_configILj256ELj13ELNS0_17block_load_methodE3ELS4_3ELS4_3ELNS0_20block_scan_algorithmE0ELj4294967295EEENS1_25partition_config_selectorILNS1_17partition_subalgoE3EjNS0_10empty_typeEbEEZZNS1_14partition_implILS8_3ELb0ES6_jNS0_17counting_iteratorIjlEEPS9_SE_NS0_5tupleIJPjSE_EEENSF_IJSE_SE_EEES9_SG_JZNS1_25segmented_radix_sort_implINS0_14default_configELb0EPKbPbPKlPlN2at6native12_GLOBAL__N_18offset_tEEE10hipError_tPvRmT1_PNSt15iterator_traitsISY_E10value_typeET2_T3_PNSZ_IS14_E10value_typeET4_jRbjT5_S1A_jjP12ihipStream_tbEUljE_EEESV_SW_SX_S14_S18_S1A_T6_T7_T9_mT8_S1C_bDpT10_ENKUlT_T0_E_clISt17integral_constantIbLb1EES1P_EEDaS1K_S1L_EUlS1K_E_NS1_11comp_targetILNS1_3genE8ELNS1_11target_archE1030ELNS1_3gpuE2ELNS1_3repE0EEENS1_30default_config_static_selectorELNS0_4arch9wavefront6targetE0EEEvSY_.uses_vcc, 0
	.set _ZN7rocprim17ROCPRIM_400000_NS6detail17trampoline_kernelINS0_13select_configILj256ELj13ELNS0_17block_load_methodE3ELS4_3ELS4_3ELNS0_20block_scan_algorithmE0ELj4294967295EEENS1_25partition_config_selectorILNS1_17partition_subalgoE3EjNS0_10empty_typeEbEEZZNS1_14partition_implILS8_3ELb0ES6_jNS0_17counting_iteratorIjlEEPS9_SE_NS0_5tupleIJPjSE_EEENSF_IJSE_SE_EEES9_SG_JZNS1_25segmented_radix_sort_implINS0_14default_configELb0EPKbPbPKlPlN2at6native12_GLOBAL__N_18offset_tEEE10hipError_tPvRmT1_PNSt15iterator_traitsISY_E10value_typeET2_T3_PNSZ_IS14_E10value_typeET4_jRbjT5_S1A_jjP12ihipStream_tbEUljE_EEESV_SW_SX_S14_S18_S1A_T6_T7_T9_mT8_S1C_bDpT10_ENKUlT_T0_E_clISt17integral_constantIbLb1EES1P_EEDaS1K_S1L_EUlS1K_E_NS1_11comp_targetILNS1_3genE8ELNS1_11target_archE1030ELNS1_3gpuE2ELNS1_3repE0EEENS1_30default_config_static_selectorELNS0_4arch9wavefront6targetE0EEEvSY_.uses_flat_scratch, 0
	.set _ZN7rocprim17ROCPRIM_400000_NS6detail17trampoline_kernelINS0_13select_configILj256ELj13ELNS0_17block_load_methodE3ELS4_3ELS4_3ELNS0_20block_scan_algorithmE0ELj4294967295EEENS1_25partition_config_selectorILNS1_17partition_subalgoE3EjNS0_10empty_typeEbEEZZNS1_14partition_implILS8_3ELb0ES6_jNS0_17counting_iteratorIjlEEPS9_SE_NS0_5tupleIJPjSE_EEENSF_IJSE_SE_EEES9_SG_JZNS1_25segmented_radix_sort_implINS0_14default_configELb0EPKbPbPKlPlN2at6native12_GLOBAL__N_18offset_tEEE10hipError_tPvRmT1_PNSt15iterator_traitsISY_E10value_typeET2_T3_PNSZ_IS14_E10value_typeET4_jRbjT5_S1A_jjP12ihipStream_tbEUljE_EEESV_SW_SX_S14_S18_S1A_T6_T7_T9_mT8_S1C_bDpT10_ENKUlT_T0_E_clISt17integral_constantIbLb1EES1P_EEDaS1K_S1L_EUlS1K_E_NS1_11comp_targetILNS1_3genE8ELNS1_11target_archE1030ELNS1_3gpuE2ELNS1_3repE0EEENS1_30default_config_static_selectorELNS0_4arch9wavefront6targetE0EEEvSY_.has_dyn_sized_stack, 0
	.set _ZN7rocprim17ROCPRIM_400000_NS6detail17trampoline_kernelINS0_13select_configILj256ELj13ELNS0_17block_load_methodE3ELS4_3ELS4_3ELNS0_20block_scan_algorithmE0ELj4294967295EEENS1_25partition_config_selectorILNS1_17partition_subalgoE3EjNS0_10empty_typeEbEEZZNS1_14partition_implILS8_3ELb0ES6_jNS0_17counting_iteratorIjlEEPS9_SE_NS0_5tupleIJPjSE_EEENSF_IJSE_SE_EEES9_SG_JZNS1_25segmented_radix_sort_implINS0_14default_configELb0EPKbPbPKlPlN2at6native12_GLOBAL__N_18offset_tEEE10hipError_tPvRmT1_PNSt15iterator_traitsISY_E10value_typeET2_T3_PNSZ_IS14_E10value_typeET4_jRbjT5_S1A_jjP12ihipStream_tbEUljE_EEESV_SW_SX_S14_S18_S1A_T6_T7_T9_mT8_S1C_bDpT10_ENKUlT_T0_E_clISt17integral_constantIbLb1EES1P_EEDaS1K_S1L_EUlS1K_E_NS1_11comp_targetILNS1_3genE8ELNS1_11target_archE1030ELNS1_3gpuE2ELNS1_3repE0EEENS1_30default_config_static_selectorELNS0_4arch9wavefront6targetE0EEEvSY_.has_recursion, 0
	.set _ZN7rocprim17ROCPRIM_400000_NS6detail17trampoline_kernelINS0_13select_configILj256ELj13ELNS0_17block_load_methodE3ELS4_3ELS4_3ELNS0_20block_scan_algorithmE0ELj4294967295EEENS1_25partition_config_selectorILNS1_17partition_subalgoE3EjNS0_10empty_typeEbEEZZNS1_14partition_implILS8_3ELb0ES6_jNS0_17counting_iteratorIjlEEPS9_SE_NS0_5tupleIJPjSE_EEENSF_IJSE_SE_EEES9_SG_JZNS1_25segmented_radix_sort_implINS0_14default_configELb0EPKbPbPKlPlN2at6native12_GLOBAL__N_18offset_tEEE10hipError_tPvRmT1_PNSt15iterator_traitsISY_E10value_typeET2_T3_PNSZ_IS14_E10value_typeET4_jRbjT5_S1A_jjP12ihipStream_tbEUljE_EEESV_SW_SX_S14_S18_S1A_T6_T7_T9_mT8_S1C_bDpT10_ENKUlT_T0_E_clISt17integral_constantIbLb1EES1P_EEDaS1K_S1L_EUlS1K_E_NS1_11comp_targetILNS1_3genE8ELNS1_11target_archE1030ELNS1_3gpuE2ELNS1_3repE0EEENS1_30default_config_static_selectorELNS0_4arch9wavefront6targetE0EEEvSY_.has_indirect_call, 0
	.section	.AMDGPU.csdata,"",@progbits
; Kernel info:
; codeLenInByte = 0
; TotalNumSgprs: 0
; NumVgprs: 0
; ScratchSize: 0
; MemoryBound: 0
; FloatMode: 240
; IeeeMode: 1
; LDSByteSize: 0 bytes/workgroup (compile time only)
; SGPRBlocks: 0
; VGPRBlocks: 0
; NumSGPRsForWavesPerEU: 1
; NumVGPRsForWavesPerEU: 1
; NamedBarCnt: 0
; Occupancy: 16
; WaveLimiterHint : 0
; COMPUTE_PGM_RSRC2:SCRATCH_EN: 0
; COMPUTE_PGM_RSRC2:USER_SGPR: 2
; COMPUTE_PGM_RSRC2:TRAP_HANDLER: 0
; COMPUTE_PGM_RSRC2:TGID_X_EN: 1
; COMPUTE_PGM_RSRC2:TGID_Y_EN: 0
; COMPUTE_PGM_RSRC2:TGID_Z_EN: 0
; COMPUTE_PGM_RSRC2:TIDIG_COMP_CNT: 0
	.section	.text._ZN7rocprim17ROCPRIM_400000_NS6detail17trampoline_kernelINS0_13select_configILj256ELj13ELNS0_17block_load_methodE3ELS4_3ELS4_3ELNS0_20block_scan_algorithmE0ELj4294967295EEENS1_25partition_config_selectorILNS1_17partition_subalgoE3EjNS0_10empty_typeEbEEZZNS1_14partition_implILS8_3ELb0ES6_jNS0_17counting_iteratorIjlEEPS9_SE_NS0_5tupleIJPjSE_EEENSF_IJSE_SE_EEES9_SG_JZNS1_25segmented_radix_sort_implINS0_14default_configELb0EPKbPbPKlPlN2at6native12_GLOBAL__N_18offset_tEEE10hipError_tPvRmT1_PNSt15iterator_traitsISY_E10value_typeET2_T3_PNSZ_IS14_E10value_typeET4_jRbjT5_S1A_jjP12ihipStream_tbEUljE_EEESV_SW_SX_S14_S18_S1A_T6_T7_T9_mT8_S1C_bDpT10_ENKUlT_T0_E_clISt17integral_constantIbLb1EES1O_IbLb0EEEEDaS1K_S1L_EUlS1K_E_NS1_11comp_targetILNS1_3genE0ELNS1_11target_archE4294967295ELNS1_3gpuE0ELNS1_3repE0EEENS1_30default_config_static_selectorELNS0_4arch9wavefront6targetE0EEEvSY_,"axG",@progbits,_ZN7rocprim17ROCPRIM_400000_NS6detail17trampoline_kernelINS0_13select_configILj256ELj13ELNS0_17block_load_methodE3ELS4_3ELS4_3ELNS0_20block_scan_algorithmE0ELj4294967295EEENS1_25partition_config_selectorILNS1_17partition_subalgoE3EjNS0_10empty_typeEbEEZZNS1_14partition_implILS8_3ELb0ES6_jNS0_17counting_iteratorIjlEEPS9_SE_NS0_5tupleIJPjSE_EEENSF_IJSE_SE_EEES9_SG_JZNS1_25segmented_radix_sort_implINS0_14default_configELb0EPKbPbPKlPlN2at6native12_GLOBAL__N_18offset_tEEE10hipError_tPvRmT1_PNSt15iterator_traitsISY_E10value_typeET2_T3_PNSZ_IS14_E10value_typeET4_jRbjT5_S1A_jjP12ihipStream_tbEUljE_EEESV_SW_SX_S14_S18_S1A_T6_T7_T9_mT8_S1C_bDpT10_ENKUlT_T0_E_clISt17integral_constantIbLb1EES1O_IbLb0EEEEDaS1K_S1L_EUlS1K_E_NS1_11comp_targetILNS1_3genE0ELNS1_11target_archE4294967295ELNS1_3gpuE0ELNS1_3repE0EEENS1_30default_config_static_selectorELNS0_4arch9wavefront6targetE0EEEvSY_,comdat
	.globl	_ZN7rocprim17ROCPRIM_400000_NS6detail17trampoline_kernelINS0_13select_configILj256ELj13ELNS0_17block_load_methodE3ELS4_3ELS4_3ELNS0_20block_scan_algorithmE0ELj4294967295EEENS1_25partition_config_selectorILNS1_17partition_subalgoE3EjNS0_10empty_typeEbEEZZNS1_14partition_implILS8_3ELb0ES6_jNS0_17counting_iteratorIjlEEPS9_SE_NS0_5tupleIJPjSE_EEENSF_IJSE_SE_EEES9_SG_JZNS1_25segmented_radix_sort_implINS0_14default_configELb0EPKbPbPKlPlN2at6native12_GLOBAL__N_18offset_tEEE10hipError_tPvRmT1_PNSt15iterator_traitsISY_E10value_typeET2_T3_PNSZ_IS14_E10value_typeET4_jRbjT5_S1A_jjP12ihipStream_tbEUljE_EEESV_SW_SX_S14_S18_S1A_T6_T7_T9_mT8_S1C_bDpT10_ENKUlT_T0_E_clISt17integral_constantIbLb1EES1O_IbLb0EEEEDaS1K_S1L_EUlS1K_E_NS1_11comp_targetILNS1_3genE0ELNS1_11target_archE4294967295ELNS1_3gpuE0ELNS1_3repE0EEENS1_30default_config_static_selectorELNS0_4arch9wavefront6targetE0EEEvSY_ ; -- Begin function _ZN7rocprim17ROCPRIM_400000_NS6detail17trampoline_kernelINS0_13select_configILj256ELj13ELNS0_17block_load_methodE3ELS4_3ELS4_3ELNS0_20block_scan_algorithmE0ELj4294967295EEENS1_25partition_config_selectorILNS1_17partition_subalgoE3EjNS0_10empty_typeEbEEZZNS1_14partition_implILS8_3ELb0ES6_jNS0_17counting_iteratorIjlEEPS9_SE_NS0_5tupleIJPjSE_EEENSF_IJSE_SE_EEES9_SG_JZNS1_25segmented_radix_sort_implINS0_14default_configELb0EPKbPbPKlPlN2at6native12_GLOBAL__N_18offset_tEEE10hipError_tPvRmT1_PNSt15iterator_traitsISY_E10value_typeET2_T3_PNSZ_IS14_E10value_typeET4_jRbjT5_S1A_jjP12ihipStream_tbEUljE_EEESV_SW_SX_S14_S18_S1A_T6_T7_T9_mT8_S1C_bDpT10_ENKUlT_T0_E_clISt17integral_constantIbLb1EES1O_IbLb0EEEEDaS1K_S1L_EUlS1K_E_NS1_11comp_targetILNS1_3genE0ELNS1_11target_archE4294967295ELNS1_3gpuE0ELNS1_3repE0EEENS1_30default_config_static_selectorELNS0_4arch9wavefront6targetE0EEEvSY_
	.p2align	8
	.type	_ZN7rocprim17ROCPRIM_400000_NS6detail17trampoline_kernelINS0_13select_configILj256ELj13ELNS0_17block_load_methodE3ELS4_3ELS4_3ELNS0_20block_scan_algorithmE0ELj4294967295EEENS1_25partition_config_selectorILNS1_17partition_subalgoE3EjNS0_10empty_typeEbEEZZNS1_14partition_implILS8_3ELb0ES6_jNS0_17counting_iteratorIjlEEPS9_SE_NS0_5tupleIJPjSE_EEENSF_IJSE_SE_EEES9_SG_JZNS1_25segmented_radix_sort_implINS0_14default_configELb0EPKbPbPKlPlN2at6native12_GLOBAL__N_18offset_tEEE10hipError_tPvRmT1_PNSt15iterator_traitsISY_E10value_typeET2_T3_PNSZ_IS14_E10value_typeET4_jRbjT5_S1A_jjP12ihipStream_tbEUljE_EEESV_SW_SX_S14_S18_S1A_T6_T7_T9_mT8_S1C_bDpT10_ENKUlT_T0_E_clISt17integral_constantIbLb1EES1O_IbLb0EEEEDaS1K_S1L_EUlS1K_E_NS1_11comp_targetILNS1_3genE0ELNS1_11target_archE4294967295ELNS1_3gpuE0ELNS1_3repE0EEENS1_30default_config_static_selectorELNS0_4arch9wavefront6targetE0EEEvSY_,@function
_ZN7rocprim17ROCPRIM_400000_NS6detail17trampoline_kernelINS0_13select_configILj256ELj13ELNS0_17block_load_methodE3ELS4_3ELS4_3ELNS0_20block_scan_algorithmE0ELj4294967295EEENS1_25partition_config_selectorILNS1_17partition_subalgoE3EjNS0_10empty_typeEbEEZZNS1_14partition_implILS8_3ELb0ES6_jNS0_17counting_iteratorIjlEEPS9_SE_NS0_5tupleIJPjSE_EEENSF_IJSE_SE_EEES9_SG_JZNS1_25segmented_radix_sort_implINS0_14default_configELb0EPKbPbPKlPlN2at6native12_GLOBAL__N_18offset_tEEE10hipError_tPvRmT1_PNSt15iterator_traitsISY_E10value_typeET2_T3_PNSZ_IS14_E10value_typeET4_jRbjT5_S1A_jjP12ihipStream_tbEUljE_EEESV_SW_SX_S14_S18_S1A_T6_T7_T9_mT8_S1C_bDpT10_ENKUlT_T0_E_clISt17integral_constantIbLb1EES1O_IbLb0EEEEDaS1K_S1L_EUlS1K_E_NS1_11comp_targetILNS1_3genE0ELNS1_11target_archE4294967295ELNS1_3gpuE0ELNS1_3repE0EEENS1_30default_config_static_selectorELNS0_4arch9wavefront6targetE0EEEvSY_: ; @_ZN7rocprim17ROCPRIM_400000_NS6detail17trampoline_kernelINS0_13select_configILj256ELj13ELNS0_17block_load_methodE3ELS4_3ELS4_3ELNS0_20block_scan_algorithmE0ELj4294967295EEENS1_25partition_config_selectorILNS1_17partition_subalgoE3EjNS0_10empty_typeEbEEZZNS1_14partition_implILS8_3ELb0ES6_jNS0_17counting_iteratorIjlEEPS9_SE_NS0_5tupleIJPjSE_EEENSF_IJSE_SE_EEES9_SG_JZNS1_25segmented_radix_sort_implINS0_14default_configELb0EPKbPbPKlPlN2at6native12_GLOBAL__N_18offset_tEEE10hipError_tPvRmT1_PNSt15iterator_traitsISY_E10value_typeET2_T3_PNSZ_IS14_E10value_typeET4_jRbjT5_S1A_jjP12ihipStream_tbEUljE_EEESV_SW_SX_S14_S18_S1A_T6_T7_T9_mT8_S1C_bDpT10_ENKUlT_T0_E_clISt17integral_constantIbLb1EES1O_IbLb0EEEEDaS1K_S1L_EUlS1K_E_NS1_11comp_targetILNS1_3genE0ELNS1_11target_archE4294967295ELNS1_3gpuE0ELNS1_3repE0EEENS1_30default_config_static_selectorELNS0_4arch9wavefront6targetE0EEEvSY_
; %bb.0:
	s_endpgm
	.section	.rodata,"a",@progbits
	.p2align	6, 0x0
	.amdhsa_kernel _ZN7rocprim17ROCPRIM_400000_NS6detail17trampoline_kernelINS0_13select_configILj256ELj13ELNS0_17block_load_methodE3ELS4_3ELS4_3ELNS0_20block_scan_algorithmE0ELj4294967295EEENS1_25partition_config_selectorILNS1_17partition_subalgoE3EjNS0_10empty_typeEbEEZZNS1_14partition_implILS8_3ELb0ES6_jNS0_17counting_iteratorIjlEEPS9_SE_NS0_5tupleIJPjSE_EEENSF_IJSE_SE_EEES9_SG_JZNS1_25segmented_radix_sort_implINS0_14default_configELb0EPKbPbPKlPlN2at6native12_GLOBAL__N_18offset_tEEE10hipError_tPvRmT1_PNSt15iterator_traitsISY_E10value_typeET2_T3_PNSZ_IS14_E10value_typeET4_jRbjT5_S1A_jjP12ihipStream_tbEUljE_EEESV_SW_SX_S14_S18_S1A_T6_T7_T9_mT8_S1C_bDpT10_ENKUlT_T0_E_clISt17integral_constantIbLb1EES1O_IbLb0EEEEDaS1K_S1L_EUlS1K_E_NS1_11comp_targetILNS1_3genE0ELNS1_11target_archE4294967295ELNS1_3gpuE0ELNS1_3repE0EEENS1_30default_config_static_selectorELNS0_4arch9wavefront6targetE0EEEvSY_
		.amdhsa_group_segment_fixed_size 0
		.amdhsa_private_segment_fixed_size 0
		.amdhsa_kernarg_size 144
		.amdhsa_user_sgpr_count 2
		.amdhsa_user_sgpr_dispatch_ptr 0
		.amdhsa_user_sgpr_queue_ptr 0
		.amdhsa_user_sgpr_kernarg_segment_ptr 1
		.amdhsa_user_sgpr_dispatch_id 0
		.amdhsa_user_sgpr_kernarg_preload_length 0
		.amdhsa_user_sgpr_kernarg_preload_offset 0
		.amdhsa_user_sgpr_private_segment_size 0
		.amdhsa_wavefront_size32 1
		.amdhsa_uses_dynamic_stack 0
		.amdhsa_enable_private_segment 0
		.amdhsa_system_sgpr_workgroup_id_x 1
		.amdhsa_system_sgpr_workgroup_id_y 0
		.amdhsa_system_sgpr_workgroup_id_z 0
		.amdhsa_system_sgpr_workgroup_info 0
		.amdhsa_system_vgpr_workitem_id 0
		.amdhsa_next_free_vgpr 1
		.amdhsa_next_free_sgpr 1
		.amdhsa_named_barrier_count 0
		.amdhsa_reserve_vcc 0
		.amdhsa_float_round_mode_32 0
		.amdhsa_float_round_mode_16_64 0
		.amdhsa_float_denorm_mode_32 3
		.amdhsa_float_denorm_mode_16_64 3
		.amdhsa_fp16_overflow 0
		.amdhsa_memory_ordered 1
		.amdhsa_forward_progress 1
		.amdhsa_inst_pref_size 1
		.amdhsa_round_robin_scheduling 0
		.amdhsa_exception_fp_ieee_invalid_op 0
		.amdhsa_exception_fp_denorm_src 0
		.amdhsa_exception_fp_ieee_div_zero 0
		.amdhsa_exception_fp_ieee_overflow 0
		.amdhsa_exception_fp_ieee_underflow 0
		.amdhsa_exception_fp_ieee_inexact 0
		.amdhsa_exception_int_div_zero 0
	.end_amdhsa_kernel
	.section	.text._ZN7rocprim17ROCPRIM_400000_NS6detail17trampoline_kernelINS0_13select_configILj256ELj13ELNS0_17block_load_methodE3ELS4_3ELS4_3ELNS0_20block_scan_algorithmE0ELj4294967295EEENS1_25partition_config_selectorILNS1_17partition_subalgoE3EjNS0_10empty_typeEbEEZZNS1_14partition_implILS8_3ELb0ES6_jNS0_17counting_iteratorIjlEEPS9_SE_NS0_5tupleIJPjSE_EEENSF_IJSE_SE_EEES9_SG_JZNS1_25segmented_radix_sort_implINS0_14default_configELb0EPKbPbPKlPlN2at6native12_GLOBAL__N_18offset_tEEE10hipError_tPvRmT1_PNSt15iterator_traitsISY_E10value_typeET2_T3_PNSZ_IS14_E10value_typeET4_jRbjT5_S1A_jjP12ihipStream_tbEUljE_EEESV_SW_SX_S14_S18_S1A_T6_T7_T9_mT8_S1C_bDpT10_ENKUlT_T0_E_clISt17integral_constantIbLb1EES1O_IbLb0EEEEDaS1K_S1L_EUlS1K_E_NS1_11comp_targetILNS1_3genE0ELNS1_11target_archE4294967295ELNS1_3gpuE0ELNS1_3repE0EEENS1_30default_config_static_selectorELNS0_4arch9wavefront6targetE0EEEvSY_,"axG",@progbits,_ZN7rocprim17ROCPRIM_400000_NS6detail17trampoline_kernelINS0_13select_configILj256ELj13ELNS0_17block_load_methodE3ELS4_3ELS4_3ELNS0_20block_scan_algorithmE0ELj4294967295EEENS1_25partition_config_selectorILNS1_17partition_subalgoE3EjNS0_10empty_typeEbEEZZNS1_14partition_implILS8_3ELb0ES6_jNS0_17counting_iteratorIjlEEPS9_SE_NS0_5tupleIJPjSE_EEENSF_IJSE_SE_EEES9_SG_JZNS1_25segmented_radix_sort_implINS0_14default_configELb0EPKbPbPKlPlN2at6native12_GLOBAL__N_18offset_tEEE10hipError_tPvRmT1_PNSt15iterator_traitsISY_E10value_typeET2_T3_PNSZ_IS14_E10value_typeET4_jRbjT5_S1A_jjP12ihipStream_tbEUljE_EEESV_SW_SX_S14_S18_S1A_T6_T7_T9_mT8_S1C_bDpT10_ENKUlT_T0_E_clISt17integral_constantIbLb1EES1O_IbLb0EEEEDaS1K_S1L_EUlS1K_E_NS1_11comp_targetILNS1_3genE0ELNS1_11target_archE4294967295ELNS1_3gpuE0ELNS1_3repE0EEENS1_30default_config_static_selectorELNS0_4arch9wavefront6targetE0EEEvSY_,comdat
.Lfunc_end1610:
	.size	_ZN7rocprim17ROCPRIM_400000_NS6detail17trampoline_kernelINS0_13select_configILj256ELj13ELNS0_17block_load_methodE3ELS4_3ELS4_3ELNS0_20block_scan_algorithmE0ELj4294967295EEENS1_25partition_config_selectorILNS1_17partition_subalgoE3EjNS0_10empty_typeEbEEZZNS1_14partition_implILS8_3ELb0ES6_jNS0_17counting_iteratorIjlEEPS9_SE_NS0_5tupleIJPjSE_EEENSF_IJSE_SE_EEES9_SG_JZNS1_25segmented_radix_sort_implINS0_14default_configELb0EPKbPbPKlPlN2at6native12_GLOBAL__N_18offset_tEEE10hipError_tPvRmT1_PNSt15iterator_traitsISY_E10value_typeET2_T3_PNSZ_IS14_E10value_typeET4_jRbjT5_S1A_jjP12ihipStream_tbEUljE_EEESV_SW_SX_S14_S18_S1A_T6_T7_T9_mT8_S1C_bDpT10_ENKUlT_T0_E_clISt17integral_constantIbLb1EES1O_IbLb0EEEEDaS1K_S1L_EUlS1K_E_NS1_11comp_targetILNS1_3genE0ELNS1_11target_archE4294967295ELNS1_3gpuE0ELNS1_3repE0EEENS1_30default_config_static_selectorELNS0_4arch9wavefront6targetE0EEEvSY_, .Lfunc_end1610-_ZN7rocprim17ROCPRIM_400000_NS6detail17trampoline_kernelINS0_13select_configILj256ELj13ELNS0_17block_load_methodE3ELS4_3ELS4_3ELNS0_20block_scan_algorithmE0ELj4294967295EEENS1_25partition_config_selectorILNS1_17partition_subalgoE3EjNS0_10empty_typeEbEEZZNS1_14partition_implILS8_3ELb0ES6_jNS0_17counting_iteratorIjlEEPS9_SE_NS0_5tupleIJPjSE_EEENSF_IJSE_SE_EEES9_SG_JZNS1_25segmented_radix_sort_implINS0_14default_configELb0EPKbPbPKlPlN2at6native12_GLOBAL__N_18offset_tEEE10hipError_tPvRmT1_PNSt15iterator_traitsISY_E10value_typeET2_T3_PNSZ_IS14_E10value_typeET4_jRbjT5_S1A_jjP12ihipStream_tbEUljE_EEESV_SW_SX_S14_S18_S1A_T6_T7_T9_mT8_S1C_bDpT10_ENKUlT_T0_E_clISt17integral_constantIbLb1EES1O_IbLb0EEEEDaS1K_S1L_EUlS1K_E_NS1_11comp_targetILNS1_3genE0ELNS1_11target_archE4294967295ELNS1_3gpuE0ELNS1_3repE0EEENS1_30default_config_static_selectorELNS0_4arch9wavefront6targetE0EEEvSY_
                                        ; -- End function
	.set _ZN7rocprim17ROCPRIM_400000_NS6detail17trampoline_kernelINS0_13select_configILj256ELj13ELNS0_17block_load_methodE3ELS4_3ELS4_3ELNS0_20block_scan_algorithmE0ELj4294967295EEENS1_25partition_config_selectorILNS1_17partition_subalgoE3EjNS0_10empty_typeEbEEZZNS1_14partition_implILS8_3ELb0ES6_jNS0_17counting_iteratorIjlEEPS9_SE_NS0_5tupleIJPjSE_EEENSF_IJSE_SE_EEES9_SG_JZNS1_25segmented_radix_sort_implINS0_14default_configELb0EPKbPbPKlPlN2at6native12_GLOBAL__N_18offset_tEEE10hipError_tPvRmT1_PNSt15iterator_traitsISY_E10value_typeET2_T3_PNSZ_IS14_E10value_typeET4_jRbjT5_S1A_jjP12ihipStream_tbEUljE_EEESV_SW_SX_S14_S18_S1A_T6_T7_T9_mT8_S1C_bDpT10_ENKUlT_T0_E_clISt17integral_constantIbLb1EES1O_IbLb0EEEEDaS1K_S1L_EUlS1K_E_NS1_11comp_targetILNS1_3genE0ELNS1_11target_archE4294967295ELNS1_3gpuE0ELNS1_3repE0EEENS1_30default_config_static_selectorELNS0_4arch9wavefront6targetE0EEEvSY_.num_vgpr, 0
	.set _ZN7rocprim17ROCPRIM_400000_NS6detail17trampoline_kernelINS0_13select_configILj256ELj13ELNS0_17block_load_methodE3ELS4_3ELS4_3ELNS0_20block_scan_algorithmE0ELj4294967295EEENS1_25partition_config_selectorILNS1_17partition_subalgoE3EjNS0_10empty_typeEbEEZZNS1_14partition_implILS8_3ELb0ES6_jNS0_17counting_iteratorIjlEEPS9_SE_NS0_5tupleIJPjSE_EEENSF_IJSE_SE_EEES9_SG_JZNS1_25segmented_radix_sort_implINS0_14default_configELb0EPKbPbPKlPlN2at6native12_GLOBAL__N_18offset_tEEE10hipError_tPvRmT1_PNSt15iterator_traitsISY_E10value_typeET2_T3_PNSZ_IS14_E10value_typeET4_jRbjT5_S1A_jjP12ihipStream_tbEUljE_EEESV_SW_SX_S14_S18_S1A_T6_T7_T9_mT8_S1C_bDpT10_ENKUlT_T0_E_clISt17integral_constantIbLb1EES1O_IbLb0EEEEDaS1K_S1L_EUlS1K_E_NS1_11comp_targetILNS1_3genE0ELNS1_11target_archE4294967295ELNS1_3gpuE0ELNS1_3repE0EEENS1_30default_config_static_selectorELNS0_4arch9wavefront6targetE0EEEvSY_.num_agpr, 0
	.set _ZN7rocprim17ROCPRIM_400000_NS6detail17trampoline_kernelINS0_13select_configILj256ELj13ELNS0_17block_load_methodE3ELS4_3ELS4_3ELNS0_20block_scan_algorithmE0ELj4294967295EEENS1_25partition_config_selectorILNS1_17partition_subalgoE3EjNS0_10empty_typeEbEEZZNS1_14partition_implILS8_3ELb0ES6_jNS0_17counting_iteratorIjlEEPS9_SE_NS0_5tupleIJPjSE_EEENSF_IJSE_SE_EEES9_SG_JZNS1_25segmented_radix_sort_implINS0_14default_configELb0EPKbPbPKlPlN2at6native12_GLOBAL__N_18offset_tEEE10hipError_tPvRmT1_PNSt15iterator_traitsISY_E10value_typeET2_T3_PNSZ_IS14_E10value_typeET4_jRbjT5_S1A_jjP12ihipStream_tbEUljE_EEESV_SW_SX_S14_S18_S1A_T6_T7_T9_mT8_S1C_bDpT10_ENKUlT_T0_E_clISt17integral_constantIbLb1EES1O_IbLb0EEEEDaS1K_S1L_EUlS1K_E_NS1_11comp_targetILNS1_3genE0ELNS1_11target_archE4294967295ELNS1_3gpuE0ELNS1_3repE0EEENS1_30default_config_static_selectorELNS0_4arch9wavefront6targetE0EEEvSY_.numbered_sgpr, 0
	.set _ZN7rocprim17ROCPRIM_400000_NS6detail17trampoline_kernelINS0_13select_configILj256ELj13ELNS0_17block_load_methodE3ELS4_3ELS4_3ELNS0_20block_scan_algorithmE0ELj4294967295EEENS1_25partition_config_selectorILNS1_17partition_subalgoE3EjNS0_10empty_typeEbEEZZNS1_14partition_implILS8_3ELb0ES6_jNS0_17counting_iteratorIjlEEPS9_SE_NS0_5tupleIJPjSE_EEENSF_IJSE_SE_EEES9_SG_JZNS1_25segmented_radix_sort_implINS0_14default_configELb0EPKbPbPKlPlN2at6native12_GLOBAL__N_18offset_tEEE10hipError_tPvRmT1_PNSt15iterator_traitsISY_E10value_typeET2_T3_PNSZ_IS14_E10value_typeET4_jRbjT5_S1A_jjP12ihipStream_tbEUljE_EEESV_SW_SX_S14_S18_S1A_T6_T7_T9_mT8_S1C_bDpT10_ENKUlT_T0_E_clISt17integral_constantIbLb1EES1O_IbLb0EEEEDaS1K_S1L_EUlS1K_E_NS1_11comp_targetILNS1_3genE0ELNS1_11target_archE4294967295ELNS1_3gpuE0ELNS1_3repE0EEENS1_30default_config_static_selectorELNS0_4arch9wavefront6targetE0EEEvSY_.num_named_barrier, 0
	.set _ZN7rocprim17ROCPRIM_400000_NS6detail17trampoline_kernelINS0_13select_configILj256ELj13ELNS0_17block_load_methodE3ELS4_3ELS4_3ELNS0_20block_scan_algorithmE0ELj4294967295EEENS1_25partition_config_selectorILNS1_17partition_subalgoE3EjNS0_10empty_typeEbEEZZNS1_14partition_implILS8_3ELb0ES6_jNS0_17counting_iteratorIjlEEPS9_SE_NS0_5tupleIJPjSE_EEENSF_IJSE_SE_EEES9_SG_JZNS1_25segmented_radix_sort_implINS0_14default_configELb0EPKbPbPKlPlN2at6native12_GLOBAL__N_18offset_tEEE10hipError_tPvRmT1_PNSt15iterator_traitsISY_E10value_typeET2_T3_PNSZ_IS14_E10value_typeET4_jRbjT5_S1A_jjP12ihipStream_tbEUljE_EEESV_SW_SX_S14_S18_S1A_T6_T7_T9_mT8_S1C_bDpT10_ENKUlT_T0_E_clISt17integral_constantIbLb1EES1O_IbLb0EEEEDaS1K_S1L_EUlS1K_E_NS1_11comp_targetILNS1_3genE0ELNS1_11target_archE4294967295ELNS1_3gpuE0ELNS1_3repE0EEENS1_30default_config_static_selectorELNS0_4arch9wavefront6targetE0EEEvSY_.private_seg_size, 0
	.set _ZN7rocprim17ROCPRIM_400000_NS6detail17trampoline_kernelINS0_13select_configILj256ELj13ELNS0_17block_load_methodE3ELS4_3ELS4_3ELNS0_20block_scan_algorithmE0ELj4294967295EEENS1_25partition_config_selectorILNS1_17partition_subalgoE3EjNS0_10empty_typeEbEEZZNS1_14partition_implILS8_3ELb0ES6_jNS0_17counting_iteratorIjlEEPS9_SE_NS0_5tupleIJPjSE_EEENSF_IJSE_SE_EEES9_SG_JZNS1_25segmented_radix_sort_implINS0_14default_configELb0EPKbPbPKlPlN2at6native12_GLOBAL__N_18offset_tEEE10hipError_tPvRmT1_PNSt15iterator_traitsISY_E10value_typeET2_T3_PNSZ_IS14_E10value_typeET4_jRbjT5_S1A_jjP12ihipStream_tbEUljE_EEESV_SW_SX_S14_S18_S1A_T6_T7_T9_mT8_S1C_bDpT10_ENKUlT_T0_E_clISt17integral_constantIbLb1EES1O_IbLb0EEEEDaS1K_S1L_EUlS1K_E_NS1_11comp_targetILNS1_3genE0ELNS1_11target_archE4294967295ELNS1_3gpuE0ELNS1_3repE0EEENS1_30default_config_static_selectorELNS0_4arch9wavefront6targetE0EEEvSY_.uses_vcc, 0
	.set _ZN7rocprim17ROCPRIM_400000_NS6detail17trampoline_kernelINS0_13select_configILj256ELj13ELNS0_17block_load_methodE3ELS4_3ELS4_3ELNS0_20block_scan_algorithmE0ELj4294967295EEENS1_25partition_config_selectorILNS1_17partition_subalgoE3EjNS0_10empty_typeEbEEZZNS1_14partition_implILS8_3ELb0ES6_jNS0_17counting_iteratorIjlEEPS9_SE_NS0_5tupleIJPjSE_EEENSF_IJSE_SE_EEES9_SG_JZNS1_25segmented_radix_sort_implINS0_14default_configELb0EPKbPbPKlPlN2at6native12_GLOBAL__N_18offset_tEEE10hipError_tPvRmT1_PNSt15iterator_traitsISY_E10value_typeET2_T3_PNSZ_IS14_E10value_typeET4_jRbjT5_S1A_jjP12ihipStream_tbEUljE_EEESV_SW_SX_S14_S18_S1A_T6_T7_T9_mT8_S1C_bDpT10_ENKUlT_T0_E_clISt17integral_constantIbLb1EES1O_IbLb0EEEEDaS1K_S1L_EUlS1K_E_NS1_11comp_targetILNS1_3genE0ELNS1_11target_archE4294967295ELNS1_3gpuE0ELNS1_3repE0EEENS1_30default_config_static_selectorELNS0_4arch9wavefront6targetE0EEEvSY_.uses_flat_scratch, 0
	.set _ZN7rocprim17ROCPRIM_400000_NS6detail17trampoline_kernelINS0_13select_configILj256ELj13ELNS0_17block_load_methodE3ELS4_3ELS4_3ELNS0_20block_scan_algorithmE0ELj4294967295EEENS1_25partition_config_selectorILNS1_17partition_subalgoE3EjNS0_10empty_typeEbEEZZNS1_14partition_implILS8_3ELb0ES6_jNS0_17counting_iteratorIjlEEPS9_SE_NS0_5tupleIJPjSE_EEENSF_IJSE_SE_EEES9_SG_JZNS1_25segmented_radix_sort_implINS0_14default_configELb0EPKbPbPKlPlN2at6native12_GLOBAL__N_18offset_tEEE10hipError_tPvRmT1_PNSt15iterator_traitsISY_E10value_typeET2_T3_PNSZ_IS14_E10value_typeET4_jRbjT5_S1A_jjP12ihipStream_tbEUljE_EEESV_SW_SX_S14_S18_S1A_T6_T7_T9_mT8_S1C_bDpT10_ENKUlT_T0_E_clISt17integral_constantIbLb1EES1O_IbLb0EEEEDaS1K_S1L_EUlS1K_E_NS1_11comp_targetILNS1_3genE0ELNS1_11target_archE4294967295ELNS1_3gpuE0ELNS1_3repE0EEENS1_30default_config_static_selectorELNS0_4arch9wavefront6targetE0EEEvSY_.has_dyn_sized_stack, 0
	.set _ZN7rocprim17ROCPRIM_400000_NS6detail17trampoline_kernelINS0_13select_configILj256ELj13ELNS0_17block_load_methodE3ELS4_3ELS4_3ELNS0_20block_scan_algorithmE0ELj4294967295EEENS1_25partition_config_selectorILNS1_17partition_subalgoE3EjNS0_10empty_typeEbEEZZNS1_14partition_implILS8_3ELb0ES6_jNS0_17counting_iteratorIjlEEPS9_SE_NS0_5tupleIJPjSE_EEENSF_IJSE_SE_EEES9_SG_JZNS1_25segmented_radix_sort_implINS0_14default_configELb0EPKbPbPKlPlN2at6native12_GLOBAL__N_18offset_tEEE10hipError_tPvRmT1_PNSt15iterator_traitsISY_E10value_typeET2_T3_PNSZ_IS14_E10value_typeET4_jRbjT5_S1A_jjP12ihipStream_tbEUljE_EEESV_SW_SX_S14_S18_S1A_T6_T7_T9_mT8_S1C_bDpT10_ENKUlT_T0_E_clISt17integral_constantIbLb1EES1O_IbLb0EEEEDaS1K_S1L_EUlS1K_E_NS1_11comp_targetILNS1_3genE0ELNS1_11target_archE4294967295ELNS1_3gpuE0ELNS1_3repE0EEENS1_30default_config_static_selectorELNS0_4arch9wavefront6targetE0EEEvSY_.has_recursion, 0
	.set _ZN7rocprim17ROCPRIM_400000_NS6detail17trampoline_kernelINS0_13select_configILj256ELj13ELNS0_17block_load_methodE3ELS4_3ELS4_3ELNS0_20block_scan_algorithmE0ELj4294967295EEENS1_25partition_config_selectorILNS1_17partition_subalgoE3EjNS0_10empty_typeEbEEZZNS1_14partition_implILS8_3ELb0ES6_jNS0_17counting_iteratorIjlEEPS9_SE_NS0_5tupleIJPjSE_EEENSF_IJSE_SE_EEES9_SG_JZNS1_25segmented_radix_sort_implINS0_14default_configELb0EPKbPbPKlPlN2at6native12_GLOBAL__N_18offset_tEEE10hipError_tPvRmT1_PNSt15iterator_traitsISY_E10value_typeET2_T3_PNSZ_IS14_E10value_typeET4_jRbjT5_S1A_jjP12ihipStream_tbEUljE_EEESV_SW_SX_S14_S18_S1A_T6_T7_T9_mT8_S1C_bDpT10_ENKUlT_T0_E_clISt17integral_constantIbLb1EES1O_IbLb0EEEEDaS1K_S1L_EUlS1K_E_NS1_11comp_targetILNS1_3genE0ELNS1_11target_archE4294967295ELNS1_3gpuE0ELNS1_3repE0EEENS1_30default_config_static_selectorELNS0_4arch9wavefront6targetE0EEEvSY_.has_indirect_call, 0
	.section	.AMDGPU.csdata,"",@progbits
; Kernel info:
; codeLenInByte = 4
; TotalNumSgprs: 0
; NumVgprs: 0
; ScratchSize: 0
; MemoryBound: 0
; FloatMode: 240
; IeeeMode: 1
; LDSByteSize: 0 bytes/workgroup (compile time only)
; SGPRBlocks: 0
; VGPRBlocks: 0
; NumSGPRsForWavesPerEU: 1
; NumVGPRsForWavesPerEU: 1
; NamedBarCnt: 0
; Occupancy: 16
; WaveLimiterHint : 0
; COMPUTE_PGM_RSRC2:SCRATCH_EN: 0
; COMPUTE_PGM_RSRC2:USER_SGPR: 2
; COMPUTE_PGM_RSRC2:TRAP_HANDLER: 0
; COMPUTE_PGM_RSRC2:TGID_X_EN: 1
; COMPUTE_PGM_RSRC2:TGID_Y_EN: 0
; COMPUTE_PGM_RSRC2:TGID_Z_EN: 0
; COMPUTE_PGM_RSRC2:TIDIG_COMP_CNT: 0
	.section	.text._ZN7rocprim17ROCPRIM_400000_NS6detail17trampoline_kernelINS0_13select_configILj256ELj13ELNS0_17block_load_methodE3ELS4_3ELS4_3ELNS0_20block_scan_algorithmE0ELj4294967295EEENS1_25partition_config_selectorILNS1_17partition_subalgoE3EjNS0_10empty_typeEbEEZZNS1_14partition_implILS8_3ELb0ES6_jNS0_17counting_iteratorIjlEEPS9_SE_NS0_5tupleIJPjSE_EEENSF_IJSE_SE_EEES9_SG_JZNS1_25segmented_radix_sort_implINS0_14default_configELb0EPKbPbPKlPlN2at6native12_GLOBAL__N_18offset_tEEE10hipError_tPvRmT1_PNSt15iterator_traitsISY_E10value_typeET2_T3_PNSZ_IS14_E10value_typeET4_jRbjT5_S1A_jjP12ihipStream_tbEUljE_EEESV_SW_SX_S14_S18_S1A_T6_T7_T9_mT8_S1C_bDpT10_ENKUlT_T0_E_clISt17integral_constantIbLb1EES1O_IbLb0EEEEDaS1K_S1L_EUlS1K_E_NS1_11comp_targetILNS1_3genE5ELNS1_11target_archE942ELNS1_3gpuE9ELNS1_3repE0EEENS1_30default_config_static_selectorELNS0_4arch9wavefront6targetE0EEEvSY_,"axG",@progbits,_ZN7rocprim17ROCPRIM_400000_NS6detail17trampoline_kernelINS0_13select_configILj256ELj13ELNS0_17block_load_methodE3ELS4_3ELS4_3ELNS0_20block_scan_algorithmE0ELj4294967295EEENS1_25partition_config_selectorILNS1_17partition_subalgoE3EjNS0_10empty_typeEbEEZZNS1_14partition_implILS8_3ELb0ES6_jNS0_17counting_iteratorIjlEEPS9_SE_NS0_5tupleIJPjSE_EEENSF_IJSE_SE_EEES9_SG_JZNS1_25segmented_radix_sort_implINS0_14default_configELb0EPKbPbPKlPlN2at6native12_GLOBAL__N_18offset_tEEE10hipError_tPvRmT1_PNSt15iterator_traitsISY_E10value_typeET2_T3_PNSZ_IS14_E10value_typeET4_jRbjT5_S1A_jjP12ihipStream_tbEUljE_EEESV_SW_SX_S14_S18_S1A_T6_T7_T9_mT8_S1C_bDpT10_ENKUlT_T0_E_clISt17integral_constantIbLb1EES1O_IbLb0EEEEDaS1K_S1L_EUlS1K_E_NS1_11comp_targetILNS1_3genE5ELNS1_11target_archE942ELNS1_3gpuE9ELNS1_3repE0EEENS1_30default_config_static_selectorELNS0_4arch9wavefront6targetE0EEEvSY_,comdat
	.globl	_ZN7rocprim17ROCPRIM_400000_NS6detail17trampoline_kernelINS0_13select_configILj256ELj13ELNS0_17block_load_methodE3ELS4_3ELS4_3ELNS0_20block_scan_algorithmE0ELj4294967295EEENS1_25partition_config_selectorILNS1_17partition_subalgoE3EjNS0_10empty_typeEbEEZZNS1_14partition_implILS8_3ELb0ES6_jNS0_17counting_iteratorIjlEEPS9_SE_NS0_5tupleIJPjSE_EEENSF_IJSE_SE_EEES9_SG_JZNS1_25segmented_radix_sort_implINS0_14default_configELb0EPKbPbPKlPlN2at6native12_GLOBAL__N_18offset_tEEE10hipError_tPvRmT1_PNSt15iterator_traitsISY_E10value_typeET2_T3_PNSZ_IS14_E10value_typeET4_jRbjT5_S1A_jjP12ihipStream_tbEUljE_EEESV_SW_SX_S14_S18_S1A_T6_T7_T9_mT8_S1C_bDpT10_ENKUlT_T0_E_clISt17integral_constantIbLb1EES1O_IbLb0EEEEDaS1K_S1L_EUlS1K_E_NS1_11comp_targetILNS1_3genE5ELNS1_11target_archE942ELNS1_3gpuE9ELNS1_3repE0EEENS1_30default_config_static_selectorELNS0_4arch9wavefront6targetE0EEEvSY_ ; -- Begin function _ZN7rocprim17ROCPRIM_400000_NS6detail17trampoline_kernelINS0_13select_configILj256ELj13ELNS0_17block_load_methodE3ELS4_3ELS4_3ELNS0_20block_scan_algorithmE0ELj4294967295EEENS1_25partition_config_selectorILNS1_17partition_subalgoE3EjNS0_10empty_typeEbEEZZNS1_14partition_implILS8_3ELb0ES6_jNS0_17counting_iteratorIjlEEPS9_SE_NS0_5tupleIJPjSE_EEENSF_IJSE_SE_EEES9_SG_JZNS1_25segmented_radix_sort_implINS0_14default_configELb0EPKbPbPKlPlN2at6native12_GLOBAL__N_18offset_tEEE10hipError_tPvRmT1_PNSt15iterator_traitsISY_E10value_typeET2_T3_PNSZ_IS14_E10value_typeET4_jRbjT5_S1A_jjP12ihipStream_tbEUljE_EEESV_SW_SX_S14_S18_S1A_T6_T7_T9_mT8_S1C_bDpT10_ENKUlT_T0_E_clISt17integral_constantIbLb1EES1O_IbLb0EEEEDaS1K_S1L_EUlS1K_E_NS1_11comp_targetILNS1_3genE5ELNS1_11target_archE942ELNS1_3gpuE9ELNS1_3repE0EEENS1_30default_config_static_selectorELNS0_4arch9wavefront6targetE0EEEvSY_
	.p2align	8
	.type	_ZN7rocprim17ROCPRIM_400000_NS6detail17trampoline_kernelINS0_13select_configILj256ELj13ELNS0_17block_load_methodE3ELS4_3ELS4_3ELNS0_20block_scan_algorithmE0ELj4294967295EEENS1_25partition_config_selectorILNS1_17partition_subalgoE3EjNS0_10empty_typeEbEEZZNS1_14partition_implILS8_3ELb0ES6_jNS0_17counting_iteratorIjlEEPS9_SE_NS0_5tupleIJPjSE_EEENSF_IJSE_SE_EEES9_SG_JZNS1_25segmented_radix_sort_implINS0_14default_configELb0EPKbPbPKlPlN2at6native12_GLOBAL__N_18offset_tEEE10hipError_tPvRmT1_PNSt15iterator_traitsISY_E10value_typeET2_T3_PNSZ_IS14_E10value_typeET4_jRbjT5_S1A_jjP12ihipStream_tbEUljE_EEESV_SW_SX_S14_S18_S1A_T6_T7_T9_mT8_S1C_bDpT10_ENKUlT_T0_E_clISt17integral_constantIbLb1EES1O_IbLb0EEEEDaS1K_S1L_EUlS1K_E_NS1_11comp_targetILNS1_3genE5ELNS1_11target_archE942ELNS1_3gpuE9ELNS1_3repE0EEENS1_30default_config_static_selectorELNS0_4arch9wavefront6targetE0EEEvSY_,@function
_ZN7rocprim17ROCPRIM_400000_NS6detail17trampoline_kernelINS0_13select_configILj256ELj13ELNS0_17block_load_methodE3ELS4_3ELS4_3ELNS0_20block_scan_algorithmE0ELj4294967295EEENS1_25partition_config_selectorILNS1_17partition_subalgoE3EjNS0_10empty_typeEbEEZZNS1_14partition_implILS8_3ELb0ES6_jNS0_17counting_iteratorIjlEEPS9_SE_NS0_5tupleIJPjSE_EEENSF_IJSE_SE_EEES9_SG_JZNS1_25segmented_radix_sort_implINS0_14default_configELb0EPKbPbPKlPlN2at6native12_GLOBAL__N_18offset_tEEE10hipError_tPvRmT1_PNSt15iterator_traitsISY_E10value_typeET2_T3_PNSZ_IS14_E10value_typeET4_jRbjT5_S1A_jjP12ihipStream_tbEUljE_EEESV_SW_SX_S14_S18_S1A_T6_T7_T9_mT8_S1C_bDpT10_ENKUlT_T0_E_clISt17integral_constantIbLb1EES1O_IbLb0EEEEDaS1K_S1L_EUlS1K_E_NS1_11comp_targetILNS1_3genE5ELNS1_11target_archE942ELNS1_3gpuE9ELNS1_3repE0EEENS1_30default_config_static_selectorELNS0_4arch9wavefront6targetE0EEEvSY_: ; @_ZN7rocprim17ROCPRIM_400000_NS6detail17trampoline_kernelINS0_13select_configILj256ELj13ELNS0_17block_load_methodE3ELS4_3ELS4_3ELNS0_20block_scan_algorithmE0ELj4294967295EEENS1_25partition_config_selectorILNS1_17partition_subalgoE3EjNS0_10empty_typeEbEEZZNS1_14partition_implILS8_3ELb0ES6_jNS0_17counting_iteratorIjlEEPS9_SE_NS0_5tupleIJPjSE_EEENSF_IJSE_SE_EEES9_SG_JZNS1_25segmented_radix_sort_implINS0_14default_configELb0EPKbPbPKlPlN2at6native12_GLOBAL__N_18offset_tEEE10hipError_tPvRmT1_PNSt15iterator_traitsISY_E10value_typeET2_T3_PNSZ_IS14_E10value_typeET4_jRbjT5_S1A_jjP12ihipStream_tbEUljE_EEESV_SW_SX_S14_S18_S1A_T6_T7_T9_mT8_S1C_bDpT10_ENKUlT_T0_E_clISt17integral_constantIbLb1EES1O_IbLb0EEEEDaS1K_S1L_EUlS1K_E_NS1_11comp_targetILNS1_3genE5ELNS1_11target_archE942ELNS1_3gpuE9ELNS1_3repE0EEENS1_30default_config_static_selectorELNS0_4arch9wavefront6targetE0EEEvSY_
; %bb.0:
	.section	.rodata,"a",@progbits
	.p2align	6, 0x0
	.amdhsa_kernel _ZN7rocprim17ROCPRIM_400000_NS6detail17trampoline_kernelINS0_13select_configILj256ELj13ELNS0_17block_load_methodE3ELS4_3ELS4_3ELNS0_20block_scan_algorithmE0ELj4294967295EEENS1_25partition_config_selectorILNS1_17partition_subalgoE3EjNS0_10empty_typeEbEEZZNS1_14partition_implILS8_3ELb0ES6_jNS0_17counting_iteratorIjlEEPS9_SE_NS0_5tupleIJPjSE_EEENSF_IJSE_SE_EEES9_SG_JZNS1_25segmented_radix_sort_implINS0_14default_configELb0EPKbPbPKlPlN2at6native12_GLOBAL__N_18offset_tEEE10hipError_tPvRmT1_PNSt15iterator_traitsISY_E10value_typeET2_T3_PNSZ_IS14_E10value_typeET4_jRbjT5_S1A_jjP12ihipStream_tbEUljE_EEESV_SW_SX_S14_S18_S1A_T6_T7_T9_mT8_S1C_bDpT10_ENKUlT_T0_E_clISt17integral_constantIbLb1EES1O_IbLb0EEEEDaS1K_S1L_EUlS1K_E_NS1_11comp_targetILNS1_3genE5ELNS1_11target_archE942ELNS1_3gpuE9ELNS1_3repE0EEENS1_30default_config_static_selectorELNS0_4arch9wavefront6targetE0EEEvSY_
		.amdhsa_group_segment_fixed_size 0
		.amdhsa_private_segment_fixed_size 0
		.amdhsa_kernarg_size 144
		.amdhsa_user_sgpr_count 2
		.amdhsa_user_sgpr_dispatch_ptr 0
		.amdhsa_user_sgpr_queue_ptr 0
		.amdhsa_user_sgpr_kernarg_segment_ptr 1
		.amdhsa_user_sgpr_dispatch_id 0
		.amdhsa_user_sgpr_kernarg_preload_length 0
		.amdhsa_user_sgpr_kernarg_preload_offset 0
		.amdhsa_user_sgpr_private_segment_size 0
		.amdhsa_wavefront_size32 1
		.amdhsa_uses_dynamic_stack 0
		.amdhsa_enable_private_segment 0
		.amdhsa_system_sgpr_workgroup_id_x 1
		.amdhsa_system_sgpr_workgroup_id_y 0
		.amdhsa_system_sgpr_workgroup_id_z 0
		.amdhsa_system_sgpr_workgroup_info 0
		.amdhsa_system_vgpr_workitem_id 0
		.amdhsa_next_free_vgpr 1
		.amdhsa_next_free_sgpr 1
		.amdhsa_named_barrier_count 0
		.amdhsa_reserve_vcc 0
		.amdhsa_float_round_mode_32 0
		.amdhsa_float_round_mode_16_64 0
		.amdhsa_float_denorm_mode_32 3
		.amdhsa_float_denorm_mode_16_64 3
		.amdhsa_fp16_overflow 0
		.amdhsa_memory_ordered 1
		.amdhsa_forward_progress 1
		.amdhsa_inst_pref_size 0
		.amdhsa_round_robin_scheduling 0
		.amdhsa_exception_fp_ieee_invalid_op 0
		.amdhsa_exception_fp_denorm_src 0
		.amdhsa_exception_fp_ieee_div_zero 0
		.amdhsa_exception_fp_ieee_overflow 0
		.amdhsa_exception_fp_ieee_underflow 0
		.amdhsa_exception_fp_ieee_inexact 0
		.amdhsa_exception_int_div_zero 0
	.end_amdhsa_kernel
	.section	.text._ZN7rocprim17ROCPRIM_400000_NS6detail17trampoline_kernelINS0_13select_configILj256ELj13ELNS0_17block_load_methodE3ELS4_3ELS4_3ELNS0_20block_scan_algorithmE0ELj4294967295EEENS1_25partition_config_selectorILNS1_17partition_subalgoE3EjNS0_10empty_typeEbEEZZNS1_14partition_implILS8_3ELb0ES6_jNS0_17counting_iteratorIjlEEPS9_SE_NS0_5tupleIJPjSE_EEENSF_IJSE_SE_EEES9_SG_JZNS1_25segmented_radix_sort_implINS0_14default_configELb0EPKbPbPKlPlN2at6native12_GLOBAL__N_18offset_tEEE10hipError_tPvRmT1_PNSt15iterator_traitsISY_E10value_typeET2_T3_PNSZ_IS14_E10value_typeET4_jRbjT5_S1A_jjP12ihipStream_tbEUljE_EEESV_SW_SX_S14_S18_S1A_T6_T7_T9_mT8_S1C_bDpT10_ENKUlT_T0_E_clISt17integral_constantIbLb1EES1O_IbLb0EEEEDaS1K_S1L_EUlS1K_E_NS1_11comp_targetILNS1_3genE5ELNS1_11target_archE942ELNS1_3gpuE9ELNS1_3repE0EEENS1_30default_config_static_selectorELNS0_4arch9wavefront6targetE0EEEvSY_,"axG",@progbits,_ZN7rocprim17ROCPRIM_400000_NS6detail17trampoline_kernelINS0_13select_configILj256ELj13ELNS0_17block_load_methodE3ELS4_3ELS4_3ELNS0_20block_scan_algorithmE0ELj4294967295EEENS1_25partition_config_selectorILNS1_17partition_subalgoE3EjNS0_10empty_typeEbEEZZNS1_14partition_implILS8_3ELb0ES6_jNS0_17counting_iteratorIjlEEPS9_SE_NS0_5tupleIJPjSE_EEENSF_IJSE_SE_EEES9_SG_JZNS1_25segmented_radix_sort_implINS0_14default_configELb0EPKbPbPKlPlN2at6native12_GLOBAL__N_18offset_tEEE10hipError_tPvRmT1_PNSt15iterator_traitsISY_E10value_typeET2_T3_PNSZ_IS14_E10value_typeET4_jRbjT5_S1A_jjP12ihipStream_tbEUljE_EEESV_SW_SX_S14_S18_S1A_T6_T7_T9_mT8_S1C_bDpT10_ENKUlT_T0_E_clISt17integral_constantIbLb1EES1O_IbLb0EEEEDaS1K_S1L_EUlS1K_E_NS1_11comp_targetILNS1_3genE5ELNS1_11target_archE942ELNS1_3gpuE9ELNS1_3repE0EEENS1_30default_config_static_selectorELNS0_4arch9wavefront6targetE0EEEvSY_,comdat
.Lfunc_end1611:
	.size	_ZN7rocprim17ROCPRIM_400000_NS6detail17trampoline_kernelINS0_13select_configILj256ELj13ELNS0_17block_load_methodE3ELS4_3ELS4_3ELNS0_20block_scan_algorithmE0ELj4294967295EEENS1_25partition_config_selectorILNS1_17partition_subalgoE3EjNS0_10empty_typeEbEEZZNS1_14partition_implILS8_3ELb0ES6_jNS0_17counting_iteratorIjlEEPS9_SE_NS0_5tupleIJPjSE_EEENSF_IJSE_SE_EEES9_SG_JZNS1_25segmented_radix_sort_implINS0_14default_configELb0EPKbPbPKlPlN2at6native12_GLOBAL__N_18offset_tEEE10hipError_tPvRmT1_PNSt15iterator_traitsISY_E10value_typeET2_T3_PNSZ_IS14_E10value_typeET4_jRbjT5_S1A_jjP12ihipStream_tbEUljE_EEESV_SW_SX_S14_S18_S1A_T6_T7_T9_mT8_S1C_bDpT10_ENKUlT_T0_E_clISt17integral_constantIbLb1EES1O_IbLb0EEEEDaS1K_S1L_EUlS1K_E_NS1_11comp_targetILNS1_3genE5ELNS1_11target_archE942ELNS1_3gpuE9ELNS1_3repE0EEENS1_30default_config_static_selectorELNS0_4arch9wavefront6targetE0EEEvSY_, .Lfunc_end1611-_ZN7rocprim17ROCPRIM_400000_NS6detail17trampoline_kernelINS0_13select_configILj256ELj13ELNS0_17block_load_methodE3ELS4_3ELS4_3ELNS0_20block_scan_algorithmE0ELj4294967295EEENS1_25partition_config_selectorILNS1_17partition_subalgoE3EjNS0_10empty_typeEbEEZZNS1_14partition_implILS8_3ELb0ES6_jNS0_17counting_iteratorIjlEEPS9_SE_NS0_5tupleIJPjSE_EEENSF_IJSE_SE_EEES9_SG_JZNS1_25segmented_radix_sort_implINS0_14default_configELb0EPKbPbPKlPlN2at6native12_GLOBAL__N_18offset_tEEE10hipError_tPvRmT1_PNSt15iterator_traitsISY_E10value_typeET2_T3_PNSZ_IS14_E10value_typeET4_jRbjT5_S1A_jjP12ihipStream_tbEUljE_EEESV_SW_SX_S14_S18_S1A_T6_T7_T9_mT8_S1C_bDpT10_ENKUlT_T0_E_clISt17integral_constantIbLb1EES1O_IbLb0EEEEDaS1K_S1L_EUlS1K_E_NS1_11comp_targetILNS1_3genE5ELNS1_11target_archE942ELNS1_3gpuE9ELNS1_3repE0EEENS1_30default_config_static_selectorELNS0_4arch9wavefront6targetE0EEEvSY_
                                        ; -- End function
	.set _ZN7rocprim17ROCPRIM_400000_NS6detail17trampoline_kernelINS0_13select_configILj256ELj13ELNS0_17block_load_methodE3ELS4_3ELS4_3ELNS0_20block_scan_algorithmE0ELj4294967295EEENS1_25partition_config_selectorILNS1_17partition_subalgoE3EjNS0_10empty_typeEbEEZZNS1_14partition_implILS8_3ELb0ES6_jNS0_17counting_iteratorIjlEEPS9_SE_NS0_5tupleIJPjSE_EEENSF_IJSE_SE_EEES9_SG_JZNS1_25segmented_radix_sort_implINS0_14default_configELb0EPKbPbPKlPlN2at6native12_GLOBAL__N_18offset_tEEE10hipError_tPvRmT1_PNSt15iterator_traitsISY_E10value_typeET2_T3_PNSZ_IS14_E10value_typeET4_jRbjT5_S1A_jjP12ihipStream_tbEUljE_EEESV_SW_SX_S14_S18_S1A_T6_T7_T9_mT8_S1C_bDpT10_ENKUlT_T0_E_clISt17integral_constantIbLb1EES1O_IbLb0EEEEDaS1K_S1L_EUlS1K_E_NS1_11comp_targetILNS1_3genE5ELNS1_11target_archE942ELNS1_3gpuE9ELNS1_3repE0EEENS1_30default_config_static_selectorELNS0_4arch9wavefront6targetE0EEEvSY_.num_vgpr, 0
	.set _ZN7rocprim17ROCPRIM_400000_NS6detail17trampoline_kernelINS0_13select_configILj256ELj13ELNS0_17block_load_methodE3ELS4_3ELS4_3ELNS0_20block_scan_algorithmE0ELj4294967295EEENS1_25partition_config_selectorILNS1_17partition_subalgoE3EjNS0_10empty_typeEbEEZZNS1_14partition_implILS8_3ELb0ES6_jNS0_17counting_iteratorIjlEEPS9_SE_NS0_5tupleIJPjSE_EEENSF_IJSE_SE_EEES9_SG_JZNS1_25segmented_radix_sort_implINS0_14default_configELb0EPKbPbPKlPlN2at6native12_GLOBAL__N_18offset_tEEE10hipError_tPvRmT1_PNSt15iterator_traitsISY_E10value_typeET2_T3_PNSZ_IS14_E10value_typeET4_jRbjT5_S1A_jjP12ihipStream_tbEUljE_EEESV_SW_SX_S14_S18_S1A_T6_T7_T9_mT8_S1C_bDpT10_ENKUlT_T0_E_clISt17integral_constantIbLb1EES1O_IbLb0EEEEDaS1K_S1L_EUlS1K_E_NS1_11comp_targetILNS1_3genE5ELNS1_11target_archE942ELNS1_3gpuE9ELNS1_3repE0EEENS1_30default_config_static_selectorELNS0_4arch9wavefront6targetE0EEEvSY_.num_agpr, 0
	.set _ZN7rocprim17ROCPRIM_400000_NS6detail17trampoline_kernelINS0_13select_configILj256ELj13ELNS0_17block_load_methodE3ELS4_3ELS4_3ELNS0_20block_scan_algorithmE0ELj4294967295EEENS1_25partition_config_selectorILNS1_17partition_subalgoE3EjNS0_10empty_typeEbEEZZNS1_14partition_implILS8_3ELb0ES6_jNS0_17counting_iteratorIjlEEPS9_SE_NS0_5tupleIJPjSE_EEENSF_IJSE_SE_EEES9_SG_JZNS1_25segmented_radix_sort_implINS0_14default_configELb0EPKbPbPKlPlN2at6native12_GLOBAL__N_18offset_tEEE10hipError_tPvRmT1_PNSt15iterator_traitsISY_E10value_typeET2_T3_PNSZ_IS14_E10value_typeET4_jRbjT5_S1A_jjP12ihipStream_tbEUljE_EEESV_SW_SX_S14_S18_S1A_T6_T7_T9_mT8_S1C_bDpT10_ENKUlT_T0_E_clISt17integral_constantIbLb1EES1O_IbLb0EEEEDaS1K_S1L_EUlS1K_E_NS1_11comp_targetILNS1_3genE5ELNS1_11target_archE942ELNS1_3gpuE9ELNS1_3repE0EEENS1_30default_config_static_selectorELNS0_4arch9wavefront6targetE0EEEvSY_.numbered_sgpr, 0
	.set _ZN7rocprim17ROCPRIM_400000_NS6detail17trampoline_kernelINS0_13select_configILj256ELj13ELNS0_17block_load_methodE3ELS4_3ELS4_3ELNS0_20block_scan_algorithmE0ELj4294967295EEENS1_25partition_config_selectorILNS1_17partition_subalgoE3EjNS0_10empty_typeEbEEZZNS1_14partition_implILS8_3ELb0ES6_jNS0_17counting_iteratorIjlEEPS9_SE_NS0_5tupleIJPjSE_EEENSF_IJSE_SE_EEES9_SG_JZNS1_25segmented_radix_sort_implINS0_14default_configELb0EPKbPbPKlPlN2at6native12_GLOBAL__N_18offset_tEEE10hipError_tPvRmT1_PNSt15iterator_traitsISY_E10value_typeET2_T3_PNSZ_IS14_E10value_typeET4_jRbjT5_S1A_jjP12ihipStream_tbEUljE_EEESV_SW_SX_S14_S18_S1A_T6_T7_T9_mT8_S1C_bDpT10_ENKUlT_T0_E_clISt17integral_constantIbLb1EES1O_IbLb0EEEEDaS1K_S1L_EUlS1K_E_NS1_11comp_targetILNS1_3genE5ELNS1_11target_archE942ELNS1_3gpuE9ELNS1_3repE0EEENS1_30default_config_static_selectorELNS0_4arch9wavefront6targetE0EEEvSY_.num_named_barrier, 0
	.set _ZN7rocprim17ROCPRIM_400000_NS6detail17trampoline_kernelINS0_13select_configILj256ELj13ELNS0_17block_load_methodE3ELS4_3ELS4_3ELNS0_20block_scan_algorithmE0ELj4294967295EEENS1_25partition_config_selectorILNS1_17partition_subalgoE3EjNS0_10empty_typeEbEEZZNS1_14partition_implILS8_3ELb0ES6_jNS0_17counting_iteratorIjlEEPS9_SE_NS0_5tupleIJPjSE_EEENSF_IJSE_SE_EEES9_SG_JZNS1_25segmented_radix_sort_implINS0_14default_configELb0EPKbPbPKlPlN2at6native12_GLOBAL__N_18offset_tEEE10hipError_tPvRmT1_PNSt15iterator_traitsISY_E10value_typeET2_T3_PNSZ_IS14_E10value_typeET4_jRbjT5_S1A_jjP12ihipStream_tbEUljE_EEESV_SW_SX_S14_S18_S1A_T6_T7_T9_mT8_S1C_bDpT10_ENKUlT_T0_E_clISt17integral_constantIbLb1EES1O_IbLb0EEEEDaS1K_S1L_EUlS1K_E_NS1_11comp_targetILNS1_3genE5ELNS1_11target_archE942ELNS1_3gpuE9ELNS1_3repE0EEENS1_30default_config_static_selectorELNS0_4arch9wavefront6targetE0EEEvSY_.private_seg_size, 0
	.set _ZN7rocprim17ROCPRIM_400000_NS6detail17trampoline_kernelINS0_13select_configILj256ELj13ELNS0_17block_load_methodE3ELS4_3ELS4_3ELNS0_20block_scan_algorithmE0ELj4294967295EEENS1_25partition_config_selectorILNS1_17partition_subalgoE3EjNS0_10empty_typeEbEEZZNS1_14partition_implILS8_3ELb0ES6_jNS0_17counting_iteratorIjlEEPS9_SE_NS0_5tupleIJPjSE_EEENSF_IJSE_SE_EEES9_SG_JZNS1_25segmented_radix_sort_implINS0_14default_configELb0EPKbPbPKlPlN2at6native12_GLOBAL__N_18offset_tEEE10hipError_tPvRmT1_PNSt15iterator_traitsISY_E10value_typeET2_T3_PNSZ_IS14_E10value_typeET4_jRbjT5_S1A_jjP12ihipStream_tbEUljE_EEESV_SW_SX_S14_S18_S1A_T6_T7_T9_mT8_S1C_bDpT10_ENKUlT_T0_E_clISt17integral_constantIbLb1EES1O_IbLb0EEEEDaS1K_S1L_EUlS1K_E_NS1_11comp_targetILNS1_3genE5ELNS1_11target_archE942ELNS1_3gpuE9ELNS1_3repE0EEENS1_30default_config_static_selectorELNS0_4arch9wavefront6targetE0EEEvSY_.uses_vcc, 0
	.set _ZN7rocprim17ROCPRIM_400000_NS6detail17trampoline_kernelINS0_13select_configILj256ELj13ELNS0_17block_load_methodE3ELS4_3ELS4_3ELNS0_20block_scan_algorithmE0ELj4294967295EEENS1_25partition_config_selectorILNS1_17partition_subalgoE3EjNS0_10empty_typeEbEEZZNS1_14partition_implILS8_3ELb0ES6_jNS0_17counting_iteratorIjlEEPS9_SE_NS0_5tupleIJPjSE_EEENSF_IJSE_SE_EEES9_SG_JZNS1_25segmented_radix_sort_implINS0_14default_configELb0EPKbPbPKlPlN2at6native12_GLOBAL__N_18offset_tEEE10hipError_tPvRmT1_PNSt15iterator_traitsISY_E10value_typeET2_T3_PNSZ_IS14_E10value_typeET4_jRbjT5_S1A_jjP12ihipStream_tbEUljE_EEESV_SW_SX_S14_S18_S1A_T6_T7_T9_mT8_S1C_bDpT10_ENKUlT_T0_E_clISt17integral_constantIbLb1EES1O_IbLb0EEEEDaS1K_S1L_EUlS1K_E_NS1_11comp_targetILNS1_3genE5ELNS1_11target_archE942ELNS1_3gpuE9ELNS1_3repE0EEENS1_30default_config_static_selectorELNS0_4arch9wavefront6targetE0EEEvSY_.uses_flat_scratch, 0
	.set _ZN7rocprim17ROCPRIM_400000_NS6detail17trampoline_kernelINS0_13select_configILj256ELj13ELNS0_17block_load_methodE3ELS4_3ELS4_3ELNS0_20block_scan_algorithmE0ELj4294967295EEENS1_25partition_config_selectorILNS1_17partition_subalgoE3EjNS0_10empty_typeEbEEZZNS1_14partition_implILS8_3ELb0ES6_jNS0_17counting_iteratorIjlEEPS9_SE_NS0_5tupleIJPjSE_EEENSF_IJSE_SE_EEES9_SG_JZNS1_25segmented_radix_sort_implINS0_14default_configELb0EPKbPbPKlPlN2at6native12_GLOBAL__N_18offset_tEEE10hipError_tPvRmT1_PNSt15iterator_traitsISY_E10value_typeET2_T3_PNSZ_IS14_E10value_typeET4_jRbjT5_S1A_jjP12ihipStream_tbEUljE_EEESV_SW_SX_S14_S18_S1A_T6_T7_T9_mT8_S1C_bDpT10_ENKUlT_T0_E_clISt17integral_constantIbLb1EES1O_IbLb0EEEEDaS1K_S1L_EUlS1K_E_NS1_11comp_targetILNS1_3genE5ELNS1_11target_archE942ELNS1_3gpuE9ELNS1_3repE0EEENS1_30default_config_static_selectorELNS0_4arch9wavefront6targetE0EEEvSY_.has_dyn_sized_stack, 0
	.set _ZN7rocprim17ROCPRIM_400000_NS6detail17trampoline_kernelINS0_13select_configILj256ELj13ELNS0_17block_load_methodE3ELS4_3ELS4_3ELNS0_20block_scan_algorithmE0ELj4294967295EEENS1_25partition_config_selectorILNS1_17partition_subalgoE3EjNS0_10empty_typeEbEEZZNS1_14partition_implILS8_3ELb0ES6_jNS0_17counting_iteratorIjlEEPS9_SE_NS0_5tupleIJPjSE_EEENSF_IJSE_SE_EEES9_SG_JZNS1_25segmented_radix_sort_implINS0_14default_configELb0EPKbPbPKlPlN2at6native12_GLOBAL__N_18offset_tEEE10hipError_tPvRmT1_PNSt15iterator_traitsISY_E10value_typeET2_T3_PNSZ_IS14_E10value_typeET4_jRbjT5_S1A_jjP12ihipStream_tbEUljE_EEESV_SW_SX_S14_S18_S1A_T6_T7_T9_mT8_S1C_bDpT10_ENKUlT_T0_E_clISt17integral_constantIbLb1EES1O_IbLb0EEEEDaS1K_S1L_EUlS1K_E_NS1_11comp_targetILNS1_3genE5ELNS1_11target_archE942ELNS1_3gpuE9ELNS1_3repE0EEENS1_30default_config_static_selectorELNS0_4arch9wavefront6targetE0EEEvSY_.has_recursion, 0
	.set _ZN7rocprim17ROCPRIM_400000_NS6detail17trampoline_kernelINS0_13select_configILj256ELj13ELNS0_17block_load_methodE3ELS4_3ELS4_3ELNS0_20block_scan_algorithmE0ELj4294967295EEENS1_25partition_config_selectorILNS1_17partition_subalgoE3EjNS0_10empty_typeEbEEZZNS1_14partition_implILS8_3ELb0ES6_jNS0_17counting_iteratorIjlEEPS9_SE_NS0_5tupleIJPjSE_EEENSF_IJSE_SE_EEES9_SG_JZNS1_25segmented_radix_sort_implINS0_14default_configELb0EPKbPbPKlPlN2at6native12_GLOBAL__N_18offset_tEEE10hipError_tPvRmT1_PNSt15iterator_traitsISY_E10value_typeET2_T3_PNSZ_IS14_E10value_typeET4_jRbjT5_S1A_jjP12ihipStream_tbEUljE_EEESV_SW_SX_S14_S18_S1A_T6_T7_T9_mT8_S1C_bDpT10_ENKUlT_T0_E_clISt17integral_constantIbLb1EES1O_IbLb0EEEEDaS1K_S1L_EUlS1K_E_NS1_11comp_targetILNS1_3genE5ELNS1_11target_archE942ELNS1_3gpuE9ELNS1_3repE0EEENS1_30default_config_static_selectorELNS0_4arch9wavefront6targetE0EEEvSY_.has_indirect_call, 0
	.section	.AMDGPU.csdata,"",@progbits
; Kernel info:
; codeLenInByte = 0
; TotalNumSgprs: 0
; NumVgprs: 0
; ScratchSize: 0
; MemoryBound: 0
; FloatMode: 240
; IeeeMode: 1
; LDSByteSize: 0 bytes/workgroup (compile time only)
; SGPRBlocks: 0
; VGPRBlocks: 0
; NumSGPRsForWavesPerEU: 1
; NumVGPRsForWavesPerEU: 1
; NamedBarCnt: 0
; Occupancy: 16
; WaveLimiterHint : 0
; COMPUTE_PGM_RSRC2:SCRATCH_EN: 0
; COMPUTE_PGM_RSRC2:USER_SGPR: 2
; COMPUTE_PGM_RSRC2:TRAP_HANDLER: 0
; COMPUTE_PGM_RSRC2:TGID_X_EN: 1
; COMPUTE_PGM_RSRC2:TGID_Y_EN: 0
; COMPUTE_PGM_RSRC2:TGID_Z_EN: 0
; COMPUTE_PGM_RSRC2:TIDIG_COMP_CNT: 0
	.section	.text._ZN7rocprim17ROCPRIM_400000_NS6detail17trampoline_kernelINS0_13select_configILj256ELj13ELNS0_17block_load_methodE3ELS4_3ELS4_3ELNS0_20block_scan_algorithmE0ELj4294967295EEENS1_25partition_config_selectorILNS1_17partition_subalgoE3EjNS0_10empty_typeEbEEZZNS1_14partition_implILS8_3ELb0ES6_jNS0_17counting_iteratorIjlEEPS9_SE_NS0_5tupleIJPjSE_EEENSF_IJSE_SE_EEES9_SG_JZNS1_25segmented_radix_sort_implINS0_14default_configELb0EPKbPbPKlPlN2at6native12_GLOBAL__N_18offset_tEEE10hipError_tPvRmT1_PNSt15iterator_traitsISY_E10value_typeET2_T3_PNSZ_IS14_E10value_typeET4_jRbjT5_S1A_jjP12ihipStream_tbEUljE_EEESV_SW_SX_S14_S18_S1A_T6_T7_T9_mT8_S1C_bDpT10_ENKUlT_T0_E_clISt17integral_constantIbLb1EES1O_IbLb0EEEEDaS1K_S1L_EUlS1K_E_NS1_11comp_targetILNS1_3genE4ELNS1_11target_archE910ELNS1_3gpuE8ELNS1_3repE0EEENS1_30default_config_static_selectorELNS0_4arch9wavefront6targetE0EEEvSY_,"axG",@progbits,_ZN7rocprim17ROCPRIM_400000_NS6detail17trampoline_kernelINS0_13select_configILj256ELj13ELNS0_17block_load_methodE3ELS4_3ELS4_3ELNS0_20block_scan_algorithmE0ELj4294967295EEENS1_25partition_config_selectorILNS1_17partition_subalgoE3EjNS0_10empty_typeEbEEZZNS1_14partition_implILS8_3ELb0ES6_jNS0_17counting_iteratorIjlEEPS9_SE_NS0_5tupleIJPjSE_EEENSF_IJSE_SE_EEES9_SG_JZNS1_25segmented_radix_sort_implINS0_14default_configELb0EPKbPbPKlPlN2at6native12_GLOBAL__N_18offset_tEEE10hipError_tPvRmT1_PNSt15iterator_traitsISY_E10value_typeET2_T3_PNSZ_IS14_E10value_typeET4_jRbjT5_S1A_jjP12ihipStream_tbEUljE_EEESV_SW_SX_S14_S18_S1A_T6_T7_T9_mT8_S1C_bDpT10_ENKUlT_T0_E_clISt17integral_constantIbLb1EES1O_IbLb0EEEEDaS1K_S1L_EUlS1K_E_NS1_11comp_targetILNS1_3genE4ELNS1_11target_archE910ELNS1_3gpuE8ELNS1_3repE0EEENS1_30default_config_static_selectorELNS0_4arch9wavefront6targetE0EEEvSY_,comdat
	.globl	_ZN7rocprim17ROCPRIM_400000_NS6detail17trampoline_kernelINS0_13select_configILj256ELj13ELNS0_17block_load_methodE3ELS4_3ELS4_3ELNS0_20block_scan_algorithmE0ELj4294967295EEENS1_25partition_config_selectorILNS1_17partition_subalgoE3EjNS0_10empty_typeEbEEZZNS1_14partition_implILS8_3ELb0ES6_jNS0_17counting_iteratorIjlEEPS9_SE_NS0_5tupleIJPjSE_EEENSF_IJSE_SE_EEES9_SG_JZNS1_25segmented_radix_sort_implINS0_14default_configELb0EPKbPbPKlPlN2at6native12_GLOBAL__N_18offset_tEEE10hipError_tPvRmT1_PNSt15iterator_traitsISY_E10value_typeET2_T3_PNSZ_IS14_E10value_typeET4_jRbjT5_S1A_jjP12ihipStream_tbEUljE_EEESV_SW_SX_S14_S18_S1A_T6_T7_T9_mT8_S1C_bDpT10_ENKUlT_T0_E_clISt17integral_constantIbLb1EES1O_IbLb0EEEEDaS1K_S1L_EUlS1K_E_NS1_11comp_targetILNS1_3genE4ELNS1_11target_archE910ELNS1_3gpuE8ELNS1_3repE0EEENS1_30default_config_static_selectorELNS0_4arch9wavefront6targetE0EEEvSY_ ; -- Begin function _ZN7rocprim17ROCPRIM_400000_NS6detail17trampoline_kernelINS0_13select_configILj256ELj13ELNS0_17block_load_methodE3ELS4_3ELS4_3ELNS0_20block_scan_algorithmE0ELj4294967295EEENS1_25partition_config_selectorILNS1_17partition_subalgoE3EjNS0_10empty_typeEbEEZZNS1_14partition_implILS8_3ELb0ES6_jNS0_17counting_iteratorIjlEEPS9_SE_NS0_5tupleIJPjSE_EEENSF_IJSE_SE_EEES9_SG_JZNS1_25segmented_radix_sort_implINS0_14default_configELb0EPKbPbPKlPlN2at6native12_GLOBAL__N_18offset_tEEE10hipError_tPvRmT1_PNSt15iterator_traitsISY_E10value_typeET2_T3_PNSZ_IS14_E10value_typeET4_jRbjT5_S1A_jjP12ihipStream_tbEUljE_EEESV_SW_SX_S14_S18_S1A_T6_T7_T9_mT8_S1C_bDpT10_ENKUlT_T0_E_clISt17integral_constantIbLb1EES1O_IbLb0EEEEDaS1K_S1L_EUlS1K_E_NS1_11comp_targetILNS1_3genE4ELNS1_11target_archE910ELNS1_3gpuE8ELNS1_3repE0EEENS1_30default_config_static_selectorELNS0_4arch9wavefront6targetE0EEEvSY_
	.p2align	8
	.type	_ZN7rocprim17ROCPRIM_400000_NS6detail17trampoline_kernelINS0_13select_configILj256ELj13ELNS0_17block_load_methodE3ELS4_3ELS4_3ELNS0_20block_scan_algorithmE0ELj4294967295EEENS1_25partition_config_selectorILNS1_17partition_subalgoE3EjNS0_10empty_typeEbEEZZNS1_14partition_implILS8_3ELb0ES6_jNS0_17counting_iteratorIjlEEPS9_SE_NS0_5tupleIJPjSE_EEENSF_IJSE_SE_EEES9_SG_JZNS1_25segmented_radix_sort_implINS0_14default_configELb0EPKbPbPKlPlN2at6native12_GLOBAL__N_18offset_tEEE10hipError_tPvRmT1_PNSt15iterator_traitsISY_E10value_typeET2_T3_PNSZ_IS14_E10value_typeET4_jRbjT5_S1A_jjP12ihipStream_tbEUljE_EEESV_SW_SX_S14_S18_S1A_T6_T7_T9_mT8_S1C_bDpT10_ENKUlT_T0_E_clISt17integral_constantIbLb1EES1O_IbLb0EEEEDaS1K_S1L_EUlS1K_E_NS1_11comp_targetILNS1_3genE4ELNS1_11target_archE910ELNS1_3gpuE8ELNS1_3repE0EEENS1_30default_config_static_selectorELNS0_4arch9wavefront6targetE0EEEvSY_,@function
_ZN7rocprim17ROCPRIM_400000_NS6detail17trampoline_kernelINS0_13select_configILj256ELj13ELNS0_17block_load_methodE3ELS4_3ELS4_3ELNS0_20block_scan_algorithmE0ELj4294967295EEENS1_25partition_config_selectorILNS1_17partition_subalgoE3EjNS0_10empty_typeEbEEZZNS1_14partition_implILS8_3ELb0ES6_jNS0_17counting_iteratorIjlEEPS9_SE_NS0_5tupleIJPjSE_EEENSF_IJSE_SE_EEES9_SG_JZNS1_25segmented_radix_sort_implINS0_14default_configELb0EPKbPbPKlPlN2at6native12_GLOBAL__N_18offset_tEEE10hipError_tPvRmT1_PNSt15iterator_traitsISY_E10value_typeET2_T3_PNSZ_IS14_E10value_typeET4_jRbjT5_S1A_jjP12ihipStream_tbEUljE_EEESV_SW_SX_S14_S18_S1A_T6_T7_T9_mT8_S1C_bDpT10_ENKUlT_T0_E_clISt17integral_constantIbLb1EES1O_IbLb0EEEEDaS1K_S1L_EUlS1K_E_NS1_11comp_targetILNS1_3genE4ELNS1_11target_archE910ELNS1_3gpuE8ELNS1_3repE0EEENS1_30default_config_static_selectorELNS0_4arch9wavefront6targetE0EEEvSY_: ; @_ZN7rocprim17ROCPRIM_400000_NS6detail17trampoline_kernelINS0_13select_configILj256ELj13ELNS0_17block_load_methodE3ELS4_3ELS4_3ELNS0_20block_scan_algorithmE0ELj4294967295EEENS1_25partition_config_selectorILNS1_17partition_subalgoE3EjNS0_10empty_typeEbEEZZNS1_14partition_implILS8_3ELb0ES6_jNS0_17counting_iteratorIjlEEPS9_SE_NS0_5tupleIJPjSE_EEENSF_IJSE_SE_EEES9_SG_JZNS1_25segmented_radix_sort_implINS0_14default_configELb0EPKbPbPKlPlN2at6native12_GLOBAL__N_18offset_tEEE10hipError_tPvRmT1_PNSt15iterator_traitsISY_E10value_typeET2_T3_PNSZ_IS14_E10value_typeET4_jRbjT5_S1A_jjP12ihipStream_tbEUljE_EEESV_SW_SX_S14_S18_S1A_T6_T7_T9_mT8_S1C_bDpT10_ENKUlT_T0_E_clISt17integral_constantIbLb1EES1O_IbLb0EEEEDaS1K_S1L_EUlS1K_E_NS1_11comp_targetILNS1_3genE4ELNS1_11target_archE910ELNS1_3gpuE8ELNS1_3repE0EEENS1_30default_config_static_selectorELNS0_4arch9wavefront6targetE0EEEvSY_
; %bb.0:
	.section	.rodata,"a",@progbits
	.p2align	6, 0x0
	.amdhsa_kernel _ZN7rocprim17ROCPRIM_400000_NS6detail17trampoline_kernelINS0_13select_configILj256ELj13ELNS0_17block_load_methodE3ELS4_3ELS4_3ELNS0_20block_scan_algorithmE0ELj4294967295EEENS1_25partition_config_selectorILNS1_17partition_subalgoE3EjNS0_10empty_typeEbEEZZNS1_14partition_implILS8_3ELb0ES6_jNS0_17counting_iteratorIjlEEPS9_SE_NS0_5tupleIJPjSE_EEENSF_IJSE_SE_EEES9_SG_JZNS1_25segmented_radix_sort_implINS0_14default_configELb0EPKbPbPKlPlN2at6native12_GLOBAL__N_18offset_tEEE10hipError_tPvRmT1_PNSt15iterator_traitsISY_E10value_typeET2_T3_PNSZ_IS14_E10value_typeET4_jRbjT5_S1A_jjP12ihipStream_tbEUljE_EEESV_SW_SX_S14_S18_S1A_T6_T7_T9_mT8_S1C_bDpT10_ENKUlT_T0_E_clISt17integral_constantIbLb1EES1O_IbLb0EEEEDaS1K_S1L_EUlS1K_E_NS1_11comp_targetILNS1_3genE4ELNS1_11target_archE910ELNS1_3gpuE8ELNS1_3repE0EEENS1_30default_config_static_selectorELNS0_4arch9wavefront6targetE0EEEvSY_
		.amdhsa_group_segment_fixed_size 0
		.amdhsa_private_segment_fixed_size 0
		.amdhsa_kernarg_size 144
		.amdhsa_user_sgpr_count 2
		.amdhsa_user_sgpr_dispatch_ptr 0
		.amdhsa_user_sgpr_queue_ptr 0
		.amdhsa_user_sgpr_kernarg_segment_ptr 1
		.amdhsa_user_sgpr_dispatch_id 0
		.amdhsa_user_sgpr_kernarg_preload_length 0
		.amdhsa_user_sgpr_kernarg_preload_offset 0
		.amdhsa_user_sgpr_private_segment_size 0
		.amdhsa_wavefront_size32 1
		.amdhsa_uses_dynamic_stack 0
		.amdhsa_enable_private_segment 0
		.amdhsa_system_sgpr_workgroup_id_x 1
		.amdhsa_system_sgpr_workgroup_id_y 0
		.amdhsa_system_sgpr_workgroup_id_z 0
		.amdhsa_system_sgpr_workgroup_info 0
		.amdhsa_system_vgpr_workitem_id 0
		.amdhsa_next_free_vgpr 1
		.amdhsa_next_free_sgpr 1
		.amdhsa_named_barrier_count 0
		.amdhsa_reserve_vcc 0
		.amdhsa_float_round_mode_32 0
		.amdhsa_float_round_mode_16_64 0
		.amdhsa_float_denorm_mode_32 3
		.amdhsa_float_denorm_mode_16_64 3
		.amdhsa_fp16_overflow 0
		.amdhsa_memory_ordered 1
		.amdhsa_forward_progress 1
		.amdhsa_inst_pref_size 0
		.amdhsa_round_robin_scheduling 0
		.amdhsa_exception_fp_ieee_invalid_op 0
		.amdhsa_exception_fp_denorm_src 0
		.amdhsa_exception_fp_ieee_div_zero 0
		.amdhsa_exception_fp_ieee_overflow 0
		.amdhsa_exception_fp_ieee_underflow 0
		.amdhsa_exception_fp_ieee_inexact 0
		.amdhsa_exception_int_div_zero 0
	.end_amdhsa_kernel
	.section	.text._ZN7rocprim17ROCPRIM_400000_NS6detail17trampoline_kernelINS0_13select_configILj256ELj13ELNS0_17block_load_methodE3ELS4_3ELS4_3ELNS0_20block_scan_algorithmE0ELj4294967295EEENS1_25partition_config_selectorILNS1_17partition_subalgoE3EjNS0_10empty_typeEbEEZZNS1_14partition_implILS8_3ELb0ES6_jNS0_17counting_iteratorIjlEEPS9_SE_NS0_5tupleIJPjSE_EEENSF_IJSE_SE_EEES9_SG_JZNS1_25segmented_radix_sort_implINS0_14default_configELb0EPKbPbPKlPlN2at6native12_GLOBAL__N_18offset_tEEE10hipError_tPvRmT1_PNSt15iterator_traitsISY_E10value_typeET2_T3_PNSZ_IS14_E10value_typeET4_jRbjT5_S1A_jjP12ihipStream_tbEUljE_EEESV_SW_SX_S14_S18_S1A_T6_T7_T9_mT8_S1C_bDpT10_ENKUlT_T0_E_clISt17integral_constantIbLb1EES1O_IbLb0EEEEDaS1K_S1L_EUlS1K_E_NS1_11comp_targetILNS1_3genE4ELNS1_11target_archE910ELNS1_3gpuE8ELNS1_3repE0EEENS1_30default_config_static_selectorELNS0_4arch9wavefront6targetE0EEEvSY_,"axG",@progbits,_ZN7rocprim17ROCPRIM_400000_NS6detail17trampoline_kernelINS0_13select_configILj256ELj13ELNS0_17block_load_methodE3ELS4_3ELS4_3ELNS0_20block_scan_algorithmE0ELj4294967295EEENS1_25partition_config_selectorILNS1_17partition_subalgoE3EjNS0_10empty_typeEbEEZZNS1_14partition_implILS8_3ELb0ES6_jNS0_17counting_iteratorIjlEEPS9_SE_NS0_5tupleIJPjSE_EEENSF_IJSE_SE_EEES9_SG_JZNS1_25segmented_radix_sort_implINS0_14default_configELb0EPKbPbPKlPlN2at6native12_GLOBAL__N_18offset_tEEE10hipError_tPvRmT1_PNSt15iterator_traitsISY_E10value_typeET2_T3_PNSZ_IS14_E10value_typeET4_jRbjT5_S1A_jjP12ihipStream_tbEUljE_EEESV_SW_SX_S14_S18_S1A_T6_T7_T9_mT8_S1C_bDpT10_ENKUlT_T0_E_clISt17integral_constantIbLb1EES1O_IbLb0EEEEDaS1K_S1L_EUlS1K_E_NS1_11comp_targetILNS1_3genE4ELNS1_11target_archE910ELNS1_3gpuE8ELNS1_3repE0EEENS1_30default_config_static_selectorELNS0_4arch9wavefront6targetE0EEEvSY_,comdat
.Lfunc_end1612:
	.size	_ZN7rocprim17ROCPRIM_400000_NS6detail17trampoline_kernelINS0_13select_configILj256ELj13ELNS0_17block_load_methodE3ELS4_3ELS4_3ELNS0_20block_scan_algorithmE0ELj4294967295EEENS1_25partition_config_selectorILNS1_17partition_subalgoE3EjNS0_10empty_typeEbEEZZNS1_14partition_implILS8_3ELb0ES6_jNS0_17counting_iteratorIjlEEPS9_SE_NS0_5tupleIJPjSE_EEENSF_IJSE_SE_EEES9_SG_JZNS1_25segmented_radix_sort_implINS0_14default_configELb0EPKbPbPKlPlN2at6native12_GLOBAL__N_18offset_tEEE10hipError_tPvRmT1_PNSt15iterator_traitsISY_E10value_typeET2_T3_PNSZ_IS14_E10value_typeET4_jRbjT5_S1A_jjP12ihipStream_tbEUljE_EEESV_SW_SX_S14_S18_S1A_T6_T7_T9_mT8_S1C_bDpT10_ENKUlT_T0_E_clISt17integral_constantIbLb1EES1O_IbLb0EEEEDaS1K_S1L_EUlS1K_E_NS1_11comp_targetILNS1_3genE4ELNS1_11target_archE910ELNS1_3gpuE8ELNS1_3repE0EEENS1_30default_config_static_selectorELNS0_4arch9wavefront6targetE0EEEvSY_, .Lfunc_end1612-_ZN7rocprim17ROCPRIM_400000_NS6detail17trampoline_kernelINS0_13select_configILj256ELj13ELNS0_17block_load_methodE3ELS4_3ELS4_3ELNS0_20block_scan_algorithmE0ELj4294967295EEENS1_25partition_config_selectorILNS1_17partition_subalgoE3EjNS0_10empty_typeEbEEZZNS1_14partition_implILS8_3ELb0ES6_jNS0_17counting_iteratorIjlEEPS9_SE_NS0_5tupleIJPjSE_EEENSF_IJSE_SE_EEES9_SG_JZNS1_25segmented_radix_sort_implINS0_14default_configELb0EPKbPbPKlPlN2at6native12_GLOBAL__N_18offset_tEEE10hipError_tPvRmT1_PNSt15iterator_traitsISY_E10value_typeET2_T3_PNSZ_IS14_E10value_typeET4_jRbjT5_S1A_jjP12ihipStream_tbEUljE_EEESV_SW_SX_S14_S18_S1A_T6_T7_T9_mT8_S1C_bDpT10_ENKUlT_T0_E_clISt17integral_constantIbLb1EES1O_IbLb0EEEEDaS1K_S1L_EUlS1K_E_NS1_11comp_targetILNS1_3genE4ELNS1_11target_archE910ELNS1_3gpuE8ELNS1_3repE0EEENS1_30default_config_static_selectorELNS0_4arch9wavefront6targetE0EEEvSY_
                                        ; -- End function
	.set _ZN7rocprim17ROCPRIM_400000_NS6detail17trampoline_kernelINS0_13select_configILj256ELj13ELNS0_17block_load_methodE3ELS4_3ELS4_3ELNS0_20block_scan_algorithmE0ELj4294967295EEENS1_25partition_config_selectorILNS1_17partition_subalgoE3EjNS0_10empty_typeEbEEZZNS1_14partition_implILS8_3ELb0ES6_jNS0_17counting_iteratorIjlEEPS9_SE_NS0_5tupleIJPjSE_EEENSF_IJSE_SE_EEES9_SG_JZNS1_25segmented_radix_sort_implINS0_14default_configELb0EPKbPbPKlPlN2at6native12_GLOBAL__N_18offset_tEEE10hipError_tPvRmT1_PNSt15iterator_traitsISY_E10value_typeET2_T3_PNSZ_IS14_E10value_typeET4_jRbjT5_S1A_jjP12ihipStream_tbEUljE_EEESV_SW_SX_S14_S18_S1A_T6_T7_T9_mT8_S1C_bDpT10_ENKUlT_T0_E_clISt17integral_constantIbLb1EES1O_IbLb0EEEEDaS1K_S1L_EUlS1K_E_NS1_11comp_targetILNS1_3genE4ELNS1_11target_archE910ELNS1_3gpuE8ELNS1_3repE0EEENS1_30default_config_static_selectorELNS0_4arch9wavefront6targetE0EEEvSY_.num_vgpr, 0
	.set _ZN7rocprim17ROCPRIM_400000_NS6detail17trampoline_kernelINS0_13select_configILj256ELj13ELNS0_17block_load_methodE3ELS4_3ELS4_3ELNS0_20block_scan_algorithmE0ELj4294967295EEENS1_25partition_config_selectorILNS1_17partition_subalgoE3EjNS0_10empty_typeEbEEZZNS1_14partition_implILS8_3ELb0ES6_jNS0_17counting_iteratorIjlEEPS9_SE_NS0_5tupleIJPjSE_EEENSF_IJSE_SE_EEES9_SG_JZNS1_25segmented_radix_sort_implINS0_14default_configELb0EPKbPbPKlPlN2at6native12_GLOBAL__N_18offset_tEEE10hipError_tPvRmT1_PNSt15iterator_traitsISY_E10value_typeET2_T3_PNSZ_IS14_E10value_typeET4_jRbjT5_S1A_jjP12ihipStream_tbEUljE_EEESV_SW_SX_S14_S18_S1A_T6_T7_T9_mT8_S1C_bDpT10_ENKUlT_T0_E_clISt17integral_constantIbLb1EES1O_IbLb0EEEEDaS1K_S1L_EUlS1K_E_NS1_11comp_targetILNS1_3genE4ELNS1_11target_archE910ELNS1_3gpuE8ELNS1_3repE0EEENS1_30default_config_static_selectorELNS0_4arch9wavefront6targetE0EEEvSY_.num_agpr, 0
	.set _ZN7rocprim17ROCPRIM_400000_NS6detail17trampoline_kernelINS0_13select_configILj256ELj13ELNS0_17block_load_methodE3ELS4_3ELS4_3ELNS0_20block_scan_algorithmE0ELj4294967295EEENS1_25partition_config_selectorILNS1_17partition_subalgoE3EjNS0_10empty_typeEbEEZZNS1_14partition_implILS8_3ELb0ES6_jNS0_17counting_iteratorIjlEEPS9_SE_NS0_5tupleIJPjSE_EEENSF_IJSE_SE_EEES9_SG_JZNS1_25segmented_radix_sort_implINS0_14default_configELb0EPKbPbPKlPlN2at6native12_GLOBAL__N_18offset_tEEE10hipError_tPvRmT1_PNSt15iterator_traitsISY_E10value_typeET2_T3_PNSZ_IS14_E10value_typeET4_jRbjT5_S1A_jjP12ihipStream_tbEUljE_EEESV_SW_SX_S14_S18_S1A_T6_T7_T9_mT8_S1C_bDpT10_ENKUlT_T0_E_clISt17integral_constantIbLb1EES1O_IbLb0EEEEDaS1K_S1L_EUlS1K_E_NS1_11comp_targetILNS1_3genE4ELNS1_11target_archE910ELNS1_3gpuE8ELNS1_3repE0EEENS1_30default_config_static_selectorELNS0_4arch9wavefront6targetE0EEEvSY_.numbered_sgpr, 0
	.set _ZN7rocprim17ROCPRIM_400000_NS6detail17trampoline_kernelINS0_13select_configILj256ELj13ELNS0_17block_load_methodE3ELS4_3ELS4_3ELNS0_20block_scan_algorithmE0ELj4294967295EEENS1_25partition_config_selectorILNS1_17partition_subalgoE3EjNS0_10empty_typeEbEEZZNS1_14partition_implILS8_3ELb0ES6_jNS0_17counting_iteratorIjlEEPS9_SE_NS0_5tupleIJPjSE_EEENSF_IJSE_SE_EEES9_SG_JZNS1_25segmented_radix_sort_implINS0_14default_configELb0EPKbPbPKlPlN2at6native12_GLOBAL__N_18offset_tEEE10hipError_tPvRmT1_PNSt15iterator_traitsISY_E10value_typeET2_T3_PNSZ_IS14_E10value_typeET4_jRbjT5_S1A_jjP12ihipStream_tbEUljE_EEESV_SW_SX_S14_S18_S1A_T6_T7_T9_mT8_S1C_bDpT10_ENKUlT_T0_E_clISt17integral_constantIbLb1EES1O_IbLb0EEEEDaS1K_S1L_EUlS1K_E_NS1_11comp_targetILNS1_3genE4ELNS1_11target_archE910ELNS1_3gpuE8ELNS1_3repE0EEENS1_30default_config_static_selectorELNS0_4arch9wavefront6targetE0EEEvSY_.num_named_barrier, 0
	.set _ZN7rocprim17ROCPRIM_400000_NS6detail17trampoline_kernelINS0_13select_configILj256ELj13ELNS0_17block_load_methodE3ELS4_3ELS4_3ELNS0_20block_scan_algorithmE0ELj4294967295EEENS1_25partition_config_selectorILNS1_17partition_subalgoE3EjNS0_10empty_typeEbEEZZNS1_14partition_implILS8_3ELb0ES6_jNS0_17counting_iteratorIjlEEPS9_SE_NS0_5tupleIJPjSE_EEENSF_IJSE_SE_EEES9_SG_JZNS1_25segmented_radix_sort_implINS0_14default_configELb0EPKbPbPKlPlN2at6native12_GLOBAL__N_18offset_tEEE10hipError_tPvRmT1_PNSt15iterator_traitsISY_E10value_typeET2_T3_PNSZ_IS14_E10value_typeET4_jRbjT5_S1A_jjP12ihipStream_tbEUljE_EEESV_SW_SX_S14_S18_S1A_T6_T7_T9_mT8_S1C_bDpT10_ENKUlT_T0_E_clISt17integral_constantIbLb1EES1O_IbLb0EEEEDaS1K_S1L_EUlS1K_E_NS1_11comp_targetILNS1_3genE4ELNS1_11target_archE910ELNS1_3gpuE8ELNS1_3repE0EEENS1_30default_config_static_selectorELNS0_4arch9wavefront6targetE0EEEvSY_.private_seg_size, 0
	.set _ZN7rocprim17ROCPRIM_400000_NS6detail17trampoline_kernelINS0_13select_configILj256ELj13ELNS0_17block_load_methodE3ELS4_3ELS4_3ELNS0_20block_scan_algorithmE0ELj4294967295EEENS1_25partition_config_selectorILNS1_17partition_subalgoE3EjNS0_10empty_typeEbEEZZNS1_14partition_implILS8_3ELb0ES6_jNS0_17counting_iteratorIjlEEPS9_SE_NS0_5tupleIJPjSE_EEENSF_IJSE_SE_EEES9_SG_JZNS1_25segmented_radix_sort_implINS0_14default_configELb0EPKbPbPKlPlN2at6native12_GLOBAL__N_18offset_tEEE10hipError_tPvRmT1_PNSt15iterator_traitsISY_E10value_typeET2_T3_PNSZ_IS14_E10value_typeET4_jRbjT5_S1A_jjP12ihipStream_tbEUljE_EEESV_SW_SX_S14_S18_S1A_T6_T7_T9_mT8_S1C_bDpT10_ENKUlT_T0_E_clISt17integral_constantIbLb1EES1O_IbLb0EEEEDaS1K_S1L_EUlS1K_E_NS1_11comp_targetILNS1_3genE4ELNS1_11target_archE910ELNS1_3gpuE8ELNS1_3repE0EEENS1_30default_config_static_selectorELNS0_4arch9wavefront6targetE0EEEvSY_.uses_vcc, 0
	.set _ZN7rocprim17ROCPRIM_400000_NS6detail17trampoline_kernelINS0_13select_configILj256ELj13ELNS0_17block_load_methodE3ELS4_3ELS4_3ELNS0_20block_scan_algorithmE0ELj4294967295EEENS1_25partition_config_selectorILNS1_17partition_subalgoE3EjNS0_10empty_typeEbEEZZNS1_14partition_implILS8_3ELb0ES6_jNS0_17counting_iteratorIjlEEPS9_SE_NS0_5tupleIJPjSE_EEENSF_IJSE_SE_EEES9_SG_JZNS1_25segmented_radix_sort_implINS0_14default_configELb0EPKbPbPKlPlN2at6native12_GLOBAL__N_18offset_tEEE10hipError_tPvRmT1_PNSt15iterator_traitsISY_E10value_typeET2_T3_PNSZ_IS14_E10value_typeET4_jRbjT5_S1A_jjP12ihipStream_tbEUljE_EEESV_SW_SX_S14_S18_S1A_T6_T7_T9_mT8_S1C_bDpT10_ENKUlT_T0_E_clISt17integral_constantIbLb1EES1O_IbLb0EEEEDaS1K_S1L_EUlS1K_E_NS1_11comp_targetILNS1_3genE4ELNS1_11target_archE910ELNS1_3gpuE8ELNS1_3repE0EEENS1_30default_config_static_selectorELNS0_4arch9wavefront6targetE0EEEvSY_.uses_flat_scratch, 0
	.set _ZN7rocprim17ROCPRIM_400000_NS6detail17trampoline_kernelINS0_13select_configILj256ELj13ELNS0_17block_load_methodE3ELS4_3ELS4_3ELNS0_20block_scan_algorithmE0ELj4294967295EEENS1_25partition_config_selectorILNS1_17partition_subalgoE3EjNS0_10empty_typeEbEEZZNS1_14partition_implILS8_3ELb0ES6_jNS0_17counting_iteratorIjlEEPS9_SE_NS0_5tupleIJPjSE_EEENSF_IJSE_SE_EEES9_SG_JZNS1_25segmented_radix_sort_implINS0_14default_configELb0EPKbPbPKlPlN2at6native12_GLOBAL__N_18offset_tEEE10hipError_tPvRmT1_PNSt15iterator_traitsISY_E10value_typeET2_T3_PNSZ_IS14_E10value_typeET4_jRbjT5_S1A_jjP12ihipStream_tbEUljE_EEESV_SW_SX_S14_S18_S1A_T6_T7_T9_mT8_S1C_bDpT10_ENKUlT_T0_E_clISt17integral_constantIbLb1EES1O_IbLb0EEEEDaS1K_S1L_EUlS1K_E_NS1_11comp_targetILNS1_3genE4ELNS1_11target_archE910ELNS1_3gpuE8ELNS1_3repE0EEENS1_30default_config_static_selectorELNS0_4arch9wavefront6targetE0EEEvSY_.has_dyn_sized_stack, 0
	.set _ZN7rocprim17ROCPRIM_400000_NS6detail17trampoline_kernelINS0_13select_configILj256ELj13ELNS0_17block_load_methodE3ELS4_3ELS4_3ELNS0_20block_scan_algorithmE0ELj4294967295EEENS1_25partition_config_selectorILNS1_17partition_subalgoE3EjNS0_10empty_typeEbEEZZNS1_14partition_implILS8_3ELb0ES6_jNS0_17counting_iteratorIjlEEPS9_SE_NS0_5tupleIJPjSE_EEENSF_IJSE_SE_EEES9_SG_JZNS1_25segmented_radix_sort_implINS0_14default_configELb0EPKbPbPKlPlN2at6native12_GLOBAL__N_18offset_tEEE10hipError_tPvRmT1_PNSt15iterator_traitsISY_E10value_typeET2_T3_PNSZ_IS14_E10value_typeET4_jRbjT5_S1A_jjP12ihipStream_tbEUljE_EEESV_SW_SX_S14_S18_S1A_T6_T7_T9_mT8_S1C_bDpT10_ENKUlT_T0_E_clISt17integral_constantIbLb1EES1O_IbLb0EEEEDaS1K_S1L_EUlS1K_E_NS1_11comp_targetILNS1_3genE4ELNS1_11target_archE910ELNS1_3gpuE8ELNS1_3repE0EEENS1_30default_config_static_selectorELNS0_4arch9wavefront6targetE0EEEvSY_.has_recursion, 0
	.set _ZN7rocprim17ROCPRIM_400000_NS6detail17trampoline_kernelINS0_13select_configILj256ELj13ELNS0_17block_load_methodE3ELS4_3ELS4_3ELNS0_20block_scan_algorithmE0ELj4294967295EEENS1_25partition_config_selectorILNS1_17partition_subalgoE3EjNS0_10empty_typeEbEEZZNS1_14partition_implILS8_3ELb0ES6_jNS0_17counting_iteratorIjlEEPS9_SE_NS0_5tupleIJPjSE_EEENSF_IJSE_SE_EEES9_SG_JZNS1_25segmented_radix_sort_implINS0_14default_configELb0EPKbPbPKlPlN2at6native12_GLOBAL__N_18offset_tEEE10hipError_tPvRmT1_PNSt15iterator_traitsISY_E10value_typeET2_T3_PNSZ_IS14_E10value_typeET4_jRbjT5_S1A_jjP12ihipStream_tbEUljE_EEESV_SW_SX_S14_S18_S1A_T6_T7_T9_mT8_S1C_bDpT10_ENKUlT_T0_E_clISt17integral_constantIbLb1EES1O_IbLb0EEEEDaS1K_S1L_EUlS1K_E_NS1_11comp_targetILNS1_3genE4ELNS1_11target_archE910ELNS1_3gpuE8ELNS1_3repE0EEENS1_30default_config_static_selectorELNS0_4arch9wavefront6targetE0EEEvSY_.has_indirect_call, 0
	.section	.AMDGPU.csdata,"",@progbits
; Kernel info:
; codeLenInByte = 0
; TotalNumSgprs: 0
; NumVgprs: 0
; ScratchSize: 0
; MemoryBound: 0
; FloatMode: 240
; IeeeMode: 1
; LDSByteSize: 0 bytes/workgroup (compile time only)
; SGPRBlocks: 0
; VGPRBlocks: 0
; NumSGPRsForWavesPerEU: 1
; NumVGPRsForWavesPerEU: 1
; NamedBarCnt: 0
; Occupancy: 16
; WaveLimiterHint : 0
; COMPUTE_PGM_RSRC2:SCRATCH_EN: 0
; COMPUTE_PGM_RSRC2:USER_SGPR: 2
; COMPUTE_PGM_RSRC2:TRAP_HANDLER: 0
; COMPUTE_PGM_RSRC2:TGID_X_EN: 1
; COMPUTE_PGM_RSRC2:TGID_Y_EN: 0
; COMPUTE_PGM_RSRC2:TGID_Z_EN: 0
; COMPUTE_PGM_RSRC2:TIDIG_COMP_CNT: 0
	.section	.text._ZN7rocprim17ROCPRIM_400000_NS6detail17trampoline_kernelINS0_13select_configILj256ELj13ELNS0_17block_load_methodE3ELS4_3ELS4_3ELNS0_20block_scan_algorithmE0ELj4294967295EEENS1_25partition_config_selectorILNS1_17partition_subalgoE3EjNS0_10empty_typeEbEEZZNS1_14partition_implILS8_3ELb0ES6_jNS0_17counting_iteratorIjlEEPS9_SE_NS0_5tupleIJPjSE_EEENSF_IJSE_SE_EEES9_SG_JZNS1_25segmented_radix_sort_implINS0_14default_configELb0EPKbPbPKlPlN2at6native12_GLOBAL__N_18offset_tEEE10hipError_tPvRmT1_PNSt15iterator_traitsISY_E10value_typeET2_T3_PNSZ_IS14_E10value_typeET4_jRbjT5_S1A_jjP12ihipStream_tbEUljE_EEESV_SW_SX_S14_S18_S1A_T6_T7_T9_mT8_S1C_bDpT10_ENKUlT_T0_E_clISt17integral_constantIbLb1EES1O_IbLb0EEEEDaS1K_S1L_EUlS1K_E_NS1_11comp_targetILNS1_3genE3ELNS1_11target_archE908ELNS1_3gpuE7ELNS1_3repE0EEENS1_30default_config_static_selectorELNS0_4arch9wavefront6targetE0EEEvSY_,"axG",@progbits,_ZN7rocprim17ROCPRIM_400000_NS6detail17trampoline_kernelINS0_13select_configILj256ELj13ELNS0_17block_load_methodE3ELS4_3ELS4_3ELNS0_20block_scan_algorithmE0ELj4294967295EEENS1_25partition_config_selectorILNS1_17partition_subalgoE3EjNS0_10empty_typeEbEEZZNS1_14partition_implILS8_3ELb0ES6_jNS0_17counting_iteratorIjlEEPS9_SE_NS0_5tupleIJPjSE_EEENSF_IJSE_SE_EEES9_SG_JZNS1_25segmented_radix_sort_implINS0_14default_configELb0EPKbPbPKlPlN2at6native12_GLOBAL__N_18offset_tEEE10hipError_tPvRmT1_PNSt15iterator_traitsISY_E10value_typeET2_T3_PNSZ_IS14_E10value_typeET4_jRbjT5_S1A_jjP12ihipStream_tbEUljE_EEESV_SW_SX_S14_S18_S1A_T6_T7_T9_mT8_S1C_bDpT10_ENKUlT_T0_E_clISt17integral_constantIbLb1EES1O_IbLb0EEEEDaS1K_S1L_EUlS1K_E_NS1_11comp_targetILNS1_3genE3ELNS1_11target_archE908ELNS1_3gpuE7ELNS1_3repE0EEENS1_30default_config_static_selectorELNS0_4arch9wavefront6targetE0EEEvSY_,comdat
	.globl	_ZN7rocprim17ROCPRIM_400000_NS6detail17trampoline_kernelINS0_13select_configILj256ELj13ELNS0_17block_load_methodE3ELS4_3ELS4_3ELNS0_20block_scan_algorithmE0ELj4294967295EEENS1_25partition_config_selectorILNS1_17partition_subalgoE3EjNS0_10empty_typeEbEEZZNS1_14partition_implILS8_3ELb0ES6_jNS0_17counting_iteratorIjlEEPS9_SE_NS0_5tupleIJPjSE_EEENSF_IJSE_SE_EEES9_SG_JZNS1_25segmented_radix_sort_implINS0_14default_configELb0EPKbPbPKlPlN2at6native12_GLOBAL__N_18offset_tEEE10hipError_tPvRmT1_PNSt15iterator_traitsISY_E10value_typeET2_T3_PNSZ_IS14_E10value_typeET4_jRbjT5_S1A_jjP12ihipStream_tbEUljE_EEESV_SW_SX_S14_S18_S1A_T6_T7_T9_mT8_S1C_bDpT10_ENKUlT_T0_E_clISt17integral_constantIbLb1EES1O_IbLb0EEEEDaS1K_S1L_EUlS1K_E_NS1_11comp_targetILNS1_3genE3ELNS1_11target_archE908ELNS1_3gpuE7ELNS1_3repE0EEENS1_30default_config_static_selectorELNS0_4arch9wavefront6targetE0EEEvSY_ ; -- Begin function _ZN7rocprim17ROCPRIM_400000_NS6detail17trampoline_kernelINS0_13select_configILj256ELj13ELNS0_17block_load_methodE3ELS4_3ELS4_3ELNS0_20block_scan_algorithmE0ELj4294967295EEENS1_25partition_config_selectorILNS1_17partition_subalgoE3EjNS0_10empty_typeEbEEZZNS1_14partition_implILS8_3ELb0ES6_jNS0_17counting_iteratorIjlEEPS9_SE_NS0_5tupleIJPjSE_EEENSF_IJSE_SE_EEES9_SG_JZNS1_25segmented_radix_sort_implINS0_14default_configELb0EPKbPbPKlPlN2at6native12_GLOBAL__N_18offset_tEEE10hipError_tPvRmT1_PNSt15iterator_traitsISY_E10value_typeET2_T3_PNSZ_IS14_E10value_typeET4_jRbjT5_S1A_jjP12ihipStream_tbEUljE_EEESV_SW_SX_S14_S18_S1A_T6_T7_T9_mT8_S1C_bDpT10_ENKUlT_T0_E_clISt17integral_constantIbLb1EES1O_IbLb0EEEEDaS1K_S1L_EUlS1K_E_NS1_11comp_targetILNS1_3genE3ELNS1_11target_archE908ELNS1_3gpuE7ELNS1_3repE0EEENS1_30default_config_static_selectorELNS0_4arch9wavefront6targetE0EEEvSY_
	.p2align	8
	.type	_ZN7rocprim17ROCPRIM_400000_NS6detail17trampoline_kernelINS0_13select_configILj256ELj13ELNS0_17block_load_methodE3ELS4_3ELS4_3ELNS0_20block_scan_algorithmE0ELj4294967295EEENS1_25partition_config_selectorILNS1_17partition_subalgoE3EjNS0_10empty_typeEbEEZZNS1_14partition_implILS8_3ELb0ES6_jNS0_17counting_iteratorIjlEEPS9_SE_NS0_5tupleIJPjSE_EEENSF_IJSE_SE_EEES9_SG_JZNS1_25segmented_radix_sort_implINS0_14default_configELb0EPKbPbPKlPlN2at6native12_GLOBAL__N_18offset_tEEE10hipError_tPvRmT1_PNSt15iterator_traitsISY_E10value_typeET2_T3_PNSZ_IS14_E10value_typeET4_jRbjT5_S1A_jjP12ihipStream_tbEUljE_EEESV_SW_SX_S14_S18_S1A_T6_T7_T9_mT8_S1C_bDpT10_ENKUlT_T0_E_clISt17integral_constantIbLb1EES1O_IbLb0EEEEDaS1K_S1L_EUlS1K_E_NS1_11comp_targetILNS1_3genE3ELNS1_11target_archE908ELNS1_3gpuE7ELNS1_3repE0EEENS1_30default_config_static_selectorELNS0_4arch9wavefront6targetE0EEEvSY_,@function
_ZN7rocprim17ROCPRIM_400000_NS6detail17trampoline_kernelINS0_13select_configILj256ELj13ELNS0_17block_load_methodE3ELS4_3ELS4_3ELNS0_20block_scan_algorithmE0ELj4294967295EEENS1_25partition_config_selectorILNS1_17partition_subalgoE3EjNS0_10empty_typeEbEEZZNS1_14partition_implILS8_3ELb0ES6_jNS0_17counting_iteratorIjlEEPS9_SE_NS0_5tupleIJPjSE_EEENSF_IJSE_SE_EEES9_SG_JZNS1_25segmented_radix_sort_implINS0_14default_configELb0EPKbPbPKlPlN2at6native12_GLOBAL__N_18offset_tEEE10hipError_tPvRmT1_PNSt15iterator_traitsISY_E10value_typeET2_T3_PNSZ_IS14_E10value_typeET4_jRbjT5_S1A_jjP12ihipStream_tbEUljE_EEESV_SW_SX_S14_S18_S1A_T6_T7_T9_mT8_S1C_bDpT10_ENKUlT_T0_E_clISt17integral_constantIbLb1EES1O_IbLb0EEEEDaS1K_S1L_EUlS1K_E_NS1_11comp_targetILNS1_3genE3ELNS1_11target_archE908ELNS1_3gpuE7ELNS1_3repE0EEENS1_30default_config_static_selectorELNS0_4arch9wavefront6targetE0EEEvSY_: ; @_ZN7rocprim17ROCPRIM_400000_NS6detail17trampoline_kernelINS0_13select_configILj256ELj13ELNS0_17block_load_methodE3ELS4_3ELS4_3ELNS0_20block_scan_algorithmE0ELj4294967295EEENS1_25partition_config_selectorILNS1_17partition_subalgoE3EjNS0_10empty_typeEbEEZZNS1_14partition_implILS8_3ELb0ES6_jNS0_17counting_iteratorIjlEEPS9_SE_NS0_5tupleIJPjSE_EEENSF_IJSE_SE_EEES9_SG_JZNS1_25segmented_radix_sort_implINS0_14default_configELb0EPKbPbPKlPlN2at6native12_GLOBAL__N_18offset_tEEE10hipError_tPvRmT1_PNSt15iterator_traitsISY_E10value_typeET2_T3_PNSZ_IS14_E10value_typeET4_jRbjT5_S1A_jjP12ihipStream_tbEUljE_EEESV_SW_SX_S14_S18_S1A_T6_T7_T9_mT8_S1C_bDpT10_ENKUlT_T0_E_clISt17integral_constantIbLb1EES1O_IbLb0EEEEDaS1K_S1L_EUlS1K_E_NS1_11comp_targetILNS1_3genE3ELNS1_11target_archE908ELNS1_3gpuE7ELNS1_3repE0EEENS1_30default_config_static_selectorELNS0_4arch9wavefront6targetE0EEEvSY_
; %bb.0:
	.section	.rodata,"a",@progbits
	.p2align	6, 0x0
	.amdhsa_kernel _ZN7rocprim17ROCPRIM_400000_NS6detail17trampoline_kernelINS0_13select_configILj256ELj13ELNS0_17block_load_methodE3ELS4_3ELS4_3ELNS0_20block_scan_algorithmE0ELj4294967295EEENS1_25partition_config_selectorILNS1_17partition_subalgoE3EjNS0_10empty_typeEbEEZZNS1_14partition_implILS8_3ELb0ES6_jNS0_17counting_iteratorIjlEEPS9_SE_NS0_5tupleIJPjSE_EEENSF_IJSE_SE_EEES9_SG_JZNS1_25segmented_radix_sort_implINS0_14default_configELb0EPKbPbPKlPlN2at6native12_GLOBAL__N_18offset_tEEE10hipError_tPvRmT1_PNSt15iterator_traitsISY_E10value_typeET2_T3_PNSZ_IS14_E10value_typeET4_jRbjT5_S1A_jjP12ihipStream_tbEUljE_EEESV_SW_SX_S14_S18_S1A_T6_T7_T9_mT8_S1C_bDpT10_ENKUlT_T0_E_clISt17integral_constantIbLb1EES1O_IbLb0EEEEDaS1K_S1L_EUlS1K_E_NS1_11comp_targetILNS1_3genE3ELNS1_11target_archE908ELNS1_3gpuE7ELNS1_3repE0EEENS1_30default_config_static_selectorELNS0_4arch9wavefront6targetE0EEEvSY_
		.amdhsa_group_segment_fixed_size 0
		.amdhsa_private_segment_fixed_size 0
		.amdhsa_kernarg_size 144
		.amdhsa_user_sgpr_count 2
		.amdhsa_user_sgpr_dispatch_ptr 0
		.amdhsa_user_sgpr_queue_ptr 0
		.amdhsa_user_sgpr_kernarg_segment_ptr 1
		.amdhsa_user_sgpr_dispatch_id 0
		.amdhsa_user_sgpr_kernarg_preload_length 0
		.amdhsa_user_sgpr_kernarg_preload_offset 0
		.amdhsa_user_sgpr_private_segment_size 0
		.amdhsa_wavefront_size32 1
		.amdhsa_uses_dynamic_stack 0
		.amdhsa_enable_private_segment 0
		.amdhsa_system_sgpr_workgroup_id_x 1
		.amdhsa_system_sgpr_workgroup_id_y 0
		.amdhsa_system_sgpr_workgroup_id_z 0
		.amdhsa_system_sgpr_workgroup_info 0
		.amdhsa_system_vgpr_workitem_id 0
		.amdhsa_next_free_vgpr 1
		.amdhsa_next_free_sgpr 1
		.amdhsa_named_barrier_count 0
		.amdhsa_reserve_vcc 0
		.amdhsa_float_round_mode_32 0
		.amdhsa_float_round_mode_16_64 0
		.amdhsa_float_denorm_mode_32 3
		.amdhsa_float_denorm_mode_16_64 3
		.amdhsa_fp16_overflow 0
		.amdhsa_memory_ordered 1
		.amdhsa_forward_progress 1
		.amdhsa_inst_pref_size 0
		.amdhsa_round_robin_scheduling 0
		.amdhsa_exception_fp_ieee_invalid_op 0
		.amdhsa_exception_fp_denorm_src 0
		.amdhsa_exception_fp_ieee_div_zero 0
		.amdhsa_exception_fp_ieee_overflow 0
		.amdhsa_exception_fp_ieee_underflow 0
		.amdhsa_exception_fp_ieee_inexact 0
		.amdhsa_exception_int_div_zero 0
	.end_amdhsa_kernel
	.section	.text._ZN7rocprim17ROCPRIM_400000_NS6detail17trampoline_kernelINS0_13select_configILj256ELj13ELNS0_17block_load_methodE3ELS4_3ELS4_3ELNS0_20block_scan_algorithmE0ELj4294967295EEENS1_25partition_config_selectorILNS1_17partition_subalgoE3EjNS0_10empty_typeEbEEZZNS1_14partition_implILS8_3ELb0ES6_jNS0_17counting_iteratorIjlEEPS9_SE_NS0_5tupleIJPjSE_EEENSF_IJSE_SE_EEES9_SG_JZNS1_25segmented_radix_sort_implINS0_14default_configELb0EPKbPbPKlPlN2at6native12_GLOBAL__N_18offset_tEEE10hipError_tPvRmT1_PNSt15iterator_traitsISY_E10value_typeET2_T3_PNSZ_IS14_E10value_typeET4_jRbjT5_S1A_jjP12ihipStream_tbEUljE_EEESV_SW_SX_S14_S18_S1A_T6_T7_T9_mT8_S1C_bDpT10_ENKUlT_T0_E_clISt17integral_constantIbLb1EES1O_IbLb0EEEEDaS1K_S1L_EUlS1K_E_NS1_11comp_targetILNS1_3genE3ELNS1_11target_archE908ELNS1_3gpuE7ELNS1_3repE0EEENS1_30default_config_static_selectorELNS0_4arch9wavefront6targetE0EEEvSY_,"axG",@progbits,_ZN7rocprim17ROCPRIM_400000_NS6detail17trampoline_kernelINS0_13select_configILj256ELj13ELNS0_17block_load_methodE3ELS4_3ELS4_3ELNS0_20block_scan_algorithmE0ELj4294967295EEENS1_25partition_config_selectorILNS1_17partition_subalgoE3EjNS0_10empty_typeEbEEZZNS1_14partition_implILS8_3ELb0ES6_jNS0_17counting_iteratorIjlEEPS9_SE_NS0_5tupleIJPjSE_EEENSF_IJSE_SE_EEES9_SG_JZNS1_25segmented_radix_sort_implINS0_14default_configELb0EPKbPbPKlPlN2at6native12_GLOBAL__N_18offset_tEEE10hipError_tPvRmT1_PNSt15iterator_traitsISY_E10value_typeET2_T3_PNSZ_IS14_E10value_typeET4_jRbjT5_S1A_jjP12ihipStream_tbEUljE_EEESV_SW_SX_S14_S18_S1A_T6_T7_T9_mT8_S1C_bDpT10_ENKUlT_T0_E_clISt17integral_constantIbLb1EES1O_IbLb0EEEEDaS1K_S1L_EUlS1K_E_NS1_11comp_targetILNS1_3genE3ELNS1_11target_archE908ELNS1_3gpuE7ELNS1_3repE0EEENS1_30default_config_static_selectorELNS0_4arch9wavefront6targetE0EEEvSY_,comdat
.Lfunc_end1613:
	.size	_ZN7rocprim17ROCPRIM_400000_NS6detail17trampoline_kernelINS0_13select_configILj256ELj13ELNS0_17block_load_methodE3ELS4_3ELS4_3ELNS0_20block_scan_algorithmE0ELj4294967295EEENS1_25partition_config_selectorILNS1_17partition_subalgoE3EjNS0_10empty_typeEbEEZZNS1_14partition_implILS8_3ELb0ES6_jNS0_17counting_iteratorIjlEEPS9_SE_NS0_5tupleIJPjSE_EEENSF_IJSE_SE_EEES9_SG_JZNS1_25segmented_radix_sort_implINS0_14default_configELb0EPKbPbPKlPlN2at6native12_GLOBAL__N_18offset_tEEE10hipError_tPvRmT1_PNSt15iterator_traitsISY_E10value_typeET2_T3_PNSZ_IS14_E10value_typeET4_jRbjT5_S1A_jjP12ihipStream_tbEUljE_EEESV_SW_SX_S14_S18_S1A_T6_T7_T9_mT8_S1C_bDpT10_ENKUlT_T0_E_clISt17integral_constantIbLb1EES1O_IbLb0EEEEDaS1K_S1L_EUlS1K_E_NS1_11comp_targetILNS1_3genE3ELNS1_11target_archE908ELNS1_3gpuE7ELNS1_3repE0EEENS1_30default_config_static_selectorELNS0_4arch9wavefront6targetE0EEEvSY_, .Lfunc_end1613-_ZN7rocprim17ROCPRIM_400000_NS6detail17trampoline_kernelINS0_13select_configILj256ELj13ELNS0_17block_load_methodE3ELS4_3ELS4_3ELNS0_20block_scan_algorithmE0ELj4294967295EEENS1_25partition_config_selectorILNS1_17partition_subalgoE3EjNS0_10empty_typeEbEEZZNS1_14partition_implILS8_3ELb0ES6_jNS0_17counting_iteratorIjlEEPS9_SE_NS0_5tupleIJPjSE_EEENSF_IJSE_SE_EEES9_SG_JZNS1_25segmented_radix_sort_implINS0_14default_configELb0EPKbPbPKlPlN2at6native12_GLOBAL__N_18offset_tEEE10hipError_tPvRmT1_PNSt15iterator_traitsISY_E10value_typeET2_T3_PNSZ_IS14_E10value_typeET4_jRbjT5_S1A_jjP12ihipStream_tbEUljE_EEESV_SW_SX_S14_S18_S1A_T6_T7_T9_mT8_S1C_bDpT10_ENKUlT_T0_E_clISt17integral_constantIbLb1EES1O_IbLb0EEEEDaS1K_S1L_EUlS1K_E_NS1_11comp_targetILNS1_3genE3ELNS1_11target_archE908ELNS1_3gpuE7ELNS1_3repE0EEENS1_30default_config_static_selectorELNS0_4arch9wavefront6targetE0EEEvSY_
                                        ; -- End function
	.set _ZN7rocprim17ROCPRIM_400000_NS6detail17trampoline_kernelINS0_13select_configILj256ELj13ELNS0_17block_load_methodE3ELS4_3ELS4_3ELNS0_20block_scan_algorithmE0ELj4294967295EEENS1_25partition_config_selectorILNS1_17partition_subalgoE3EjNS0_10empty_typeEbEEZZNS1_14partition_implILS8_3ELb0ES6_jNS0_17counting_iteratorIjlEEPS9_SE_NS0_5tupleIJPjSE_EEENSF_IJSE_SE_EEES9_SG_JZNS1_25segmented_radix_sort_implINS0_14default_configELb0EPKbPbPKlPlN2at6native12_GLOBAL__N_18offset_tEEE10hipError_tPvRmT1_PNSt15iterator_traitsISY_E10value_typeET2_T3_PNSZ_IS14_E10value_typeET4_jRbjT5_S1A_jjP12ihipStream_tbEUljE_EEESV_SW_SX_S14_S18_S1A_T6_T7_T9_mT8_S1C_bDpT10_ENKUlT_T0_E_clISt17integral_constantIbLb1EES1O_IbLb0EEEEDaS1K_S1L_EUlS1K_E_NS1_11comp_targetILNS1_3genE3ELNS1_11target_archE908ELNS1_3gpuE7ELNS1_3repE0EEENS1_30default_config_static_selectorELNS0_4arch9wavefront6targetE0EEEvSY_.num_vgpr, 0
	.set _ZN7rocprim17ROCPRIM_400000_NS6detail17trampoline_kernelINS0_13select_configILj256ELj13ELNS0_17block_load_methodE3ELS4_3ELS4_3ELNS0_20block_scan_algorithmE0ELj4294967295EEENS1_25partition_config_selectorILNS1_17partition_subalgoE3EjNS0_10empty_typeEbEEZZNS1_14partition_implILS8_3ELb0ES6_jNS0_17counting_iteratorIjlEEPS9_SE_NS0_5tupleIJPjSE_EEENSF_IJSE_SE_EEES9_SG_JZNS1_25segmented_radix_sort_implINS0_14default_configELb0EPKbPbPKlPlN2at6native12_GLOBAL__N_18offset_tEEE10hipError_tPvRmT1_PNSt15iterator_traitsISY_E10value_typeET2_T3_PNSZ_IS14_E10value_typeET4_jRbjT5_S1A_jjP12ihipStream_tbEUljE_EEESV_SW_SX_S14_S18_S1A_T6_T7_T9_mT8_S1C_bDpT10_ENKUlT_T0_E_clISt17integral_constantIbLb1EES1O_IbLb0EEEEDaS1K_S1L_EUlS1K_E_NS1_11comp_targetILNS1_3genE3ELNS1_11target_archE908ELNS1_3gpuE7ELNS1_3repE0EEENS1_30default_config_static_selectorELNS0_4arch9wavefront6targetE0EEEvSY_.num_agpr, 0
	.set _ZN7rocprim17ROCPRIM_400000_NS6detail17trampoline_kernelINS0_13select_configILj256ELj13ELNS0_17block_load_methodE3ELS4_3ELS4_3ELNS0_20block_scan_algorithmE0ELj4294967295EEENS1_25partition_config_selectorILNS1_17partition_subalgoE3EjNS0_10empty_typeEbEEZZNS1_14partition_implILS8_3ELb0ES6_jNS0_17counting_iteratorIjlEEPS9_SE_NS0_5tupleIJPjSE_EEENSF_IJSE_SE_EEES9_SG_JZNS1_25segmented_radix_sort_implINS0_14default_configELb0EPKbPbPKlPlN2at6native12_GLOBAL__N_18offset_tEEE10hipError_tPvRmT1_PNSt15iterator_traitsISY_E10value_typeET2_T3_PNSZ_IS14_E10value_typeET4_jRbjT5_S1A_jjP12ihipStream_tbEUljE_EEESV_SW_SX_S14_S18_S1A_T6_T7_T9_mT8_S1C_bDpT10_ENKUlT_T0_E_clISt17integral_constantIbLb1EES1O_IbLb0EEEEDaS1K_S1L_EUlS1K_E_NS1_11comp_targetILNS1_3genE3ELNS1_11target_archE908ELNS1_3gpuE7ELNS1_3repE0EEENS1_30default_config_static_selectorELNS0_4arch9wavefront6targetE0EEEvSY_.numbered_sgpr, 0
	.set _ZN7rocprim17ROCPRIM_400000_NS6detail17trampoline_kernelINS0_13select_configILj256ELj13ELNS0_17block_load_methodE3ELS4_3ELS4_3ELNS0_20block_scan_algorithmE0ELj4294967295EEENS1_25partition_config_selectorILNS1_17partition_subalgoE3EjNS0_10empty_typeEbEEZZNS1_14partition_implILS8_3ELb0ES6_jNS0_17counting_iteratorIjlEEPS9_SE_NS0_5tupleIJPjSE_EEENSF_IJSE_SE_EEES9_SG_JZNS1_25segmented_radix_sort_implINS0_14default_configELb0EPKbPbPKlPlN2at6native12_GLOBAL__N_18offset_tEEE10hipError_tPvRmT1_PNSt15iterator_traitsISY_E10value_typeET2_T3_PNSZ_IS14_E10value_typeET4_jRbjT5_S1A_jjP12ihipStream_tbEUljE_EEESV_SW_SX_S14_S18_S1A_T6_T7_T9_mT8_S1C_bDpT10_ENKUlT_T0_E_clISt17integral_constantIbLb1EES1O_IbLb0EEEEDaS1K_S1L_EUlS1K_E_NS1_11comp_targetILNS1_3genE3ELNS1_11target_archE908ELNS1_3gpuE7ELNS1_3repE0EEENS1_30default_config_static_selectorELNS0_4arch9wavefront6targetE0EEEvSY_.num_named_barrier, 0
	.set _ZN7rocprim17ROCPRIM_400000_NS6detail17trampoline_kernelINS0_13select_configILj256ELj13ELNS0_17block_load_methodE3ELS4_3ELS4_3ELNS0_20block_scan_algorithmE0ELj4294967295EEENS1_25partition_config_selectorILNS1_17partition_subalgoE3EjNS0_10empty_typeEbEEZZNS1_14partition_implILS8_3ELb0ES6_jNS0_17counting_iteratorIjlEEPS9_SE_NS0_5tupleIJPjSE_EEENSF_IJSE_SE_EEES9_SG_JZNS1_25segmented_radix_sort_implINS0_14default_configELb0EPKbPbPKlPlN2at6native12_GLOBAL__N_18offset_tEEE10hipError_tPvRmT1_PNSt15iterator_traitsISY_E10value_typeET2_T3_PNSZ_IS14_E10value_typeET4_jRbjT5_S1A_jjP12ihipStream_tbEUljE_EEESV_SW_SX_S14_S18_S1A_T6_T7_T9_mT8_S1C_bDpT10_ENKUlT_T0_E_clISt17integral_constantIbLb1EES1O_IbLb0EEEEDaS1K_S1L_EUlS1K_E_NS1_11comp_targetILNS1_3genE3ELNS1_11target_archE908ELNS1_3gpuE7ELNS1_3repE0EEENS1_30default_config_static_selectorELNS0_4arch9wavefront6targetE0EEEvSY_.private_seg_size, 0
	.set _ZN7rocprim17ROCPRIM_400000_NS6detail17trampoline_kernelINS0_13select_configILj256ELj13ELNS0_17block_load_methodE3ELS4_3ELS4_3ELNS0_20block_scan_algorithmE0ELj4294967295EEENS1_25partition_config_selectorILNS1_17partition_subalgoE3EjNS0_10empty_typeEbEEZZNS1_14partition_implILS8_3ELb0ES6_jNS0_17counting_iteratorIjlEEPS9_SE_NS0_5tupleIJPjSE_EEENSF_IJSE_SE_EEES9_SG_JZNS1_25segmented_radix_sort_implINS0_14default_configELb0EPKbPbPKlPlN2at6native12_GLOBAL__N_18offset_tEEE10hipError_tPvRmT1_PNSt15iterator_traitsISY_E10value_typeET2_T3_PNSZ_IS14_E10value_typeET4_jRbjT5_S1A_jjP12ihipStream_tbEUljE_EEESV_SW_SX_S14_S18_S1A_T6_T7_T9_mT8_S1C_bDpT10_ENKUlT_T0_E_clISt17integral_constantIbLb1EES1O_IbLb0EEEEDaS1K_S1L_EUlS1K_E_NS1_11comp_targetILNS1_3genE3ELNS1_11target_archE908ELNS1_3gpuE7ELNS1_3repE0EEENS1_30default_config_static_selectorELNS0_4arch9wavefront6targetE0EEEvSY_.uses_vcc, 0
	.set _ZN7rocprim17ROCPRIM_400000_NS6detail17trampoline_kernelINS0_13select_configILj256ELj13ELNS0_17block_load_methodE3ELS4_3ELS4_3ELNS0_20block_scan_algorithmE0ELj4294967295EEENS1_25partition_config_selectorILNS1_17partition_subalgoE3EjNS0_10empty_typeEbEEZZNS1_14partition_implILS8_3ELb0ES6_jNS0_17counting_iteratorIjlEEPS9_SE_NS0_5tupleIJPjSE_EEENSF_IJSE_SE_EEES9_SG_JZNS1_25segmented_radix_sort_implINS0_14default_configELb0EPKbPbPKlPlN2at6native12_GLOBAL__N_18offset_tEEE10hipError_tPvRmT1_PNSt15iterator_traitsISY_E10value_typeET2_T3_PNSZ_IS14_E10value_typeET4_jRbjT5_S1A_jjP12ihipStream_tbEUljE_EEESV_SW_SX_S14_S18_S1A_T6_T7_T9_mT8_S1C_bDpT10_ENKUlT_T0_E_clISt17integral_constantIbLb1EES1O_IbLb0EEEEDaS1K_S1L_EUlS1K_E_NS1_11comp_targetILNS1_3genE3ELNS1_11target_archE908ELNS1_3gpuE7ELNS1_3repE0EEENS1_30default_config_static_selectorELNS0_4arch9wavefront6targetE0EEEvSY_.uses_flat_scratch, 0
	.set _ZN7rocprim17ROCPRIM_400000_NS6detail17trampoline_kernelINS0_13select_configILj256ELj13ELNS0_17block_load_methodE3ELS4_3ELS4_3ELNS0_20block_scan_algorithmE0ELj4294967295EEENS1_25partition_config_selectorILNS1_17partition_subalgoE3EjNS0_10empty_typeEbEEZZNS1_14partition_implILS8_3ELb0ES6_jNS0_17counting_iteratorIjlEEPS9_SE_NS0_5tupleIJPjSE_EEENSF_IJSE_SE_EEES9_SG_JZNS1_25segmented_radix_sort_implINS0_14default_configELb0EPKbPbPKlPlN2at6native12_GLOBAL__N_18offset_tEEE10hipError_tPvRmT1_PNSt15iterator_traitsISY_E10value_typeET2_T3_PNSZ_IS14_E10value_typeET4_jRbjT5_S1A_jjP12ihipStream_tbEUljE_EEESV_SW_SX_S14_S18_S1A_T6_T7_T9_mT8_S1C_bDpT10_ENKUlT_T0_E_clISt17integral_constantIbLb1EES1O_IbLb0EEEEDaS1K_S1L_EUlS1K_E_NS1_11comp_targetILNS1_3genE3ELNS1_11target_archE908ELNS1_3gpuE7ELNS1_3repE0EEENS1_30default_config_static_selectorELNS0_4arch9wavefront6targetE0EEEvSY_.has_dyn_sized_stack, 0
	.set _ZN7rocprim17ROCPRIM_400000_NS6detail17trampoline_kernelINS0_13select_configILj256ELj13ELNS0_17block_load_methodE3ELS4_3ELS4_3ELNS0_20block_scan_algorithmE0ELj4294967295EEENS1_25partition_config_selectorILNS1_17partition_subalgoE3EjNS0_10empty_typeEbEEZZNS1_14partition_implILS8_3ELb0ES6_jNS0_17counting_iteratorIjlEEPS9_SE_NS0_5tupleIJPjSE_EEENSF_IJSE_SE_EEES9_SG_JZNS1_25segmented_radix_sort_implINS0_14default_configELb0EPKbPbPKlPlN2at6native12_GLOBAL__N_18offset_tEEE10hipError_tPvRmT1_PNSt15iterator_traitsISY_E10value_typeET2_T3_PNSZ_IS14_E10value_typeET4_jRbjT5_S1A_jjP12ihipStream_tbEUljE_EEESV_SW_SX_S14_S18_S1A_T6_T7_T9_mT8_S1C_bDpT10_ENKUlT_T0_E_clISt17integral_constantIbLb1EES1O_IbLb0EEEEDaS1K_S1L_EUlS1K_E_NS1_11comp_targetILNS1_3genE3ELNS1_11target_archE908ELNS1_3gpuE7ELNS1_3repE0EEENS1_30default_config_static_selectorELNS0_4arch9wavefront6targetE0EEEvSY_.has_recursion, 0
	.set _ZN7rocprim17ROCPRIM_400000_NS6detail17trampoline_kernelINS0_13select_configILj256ELj13ELNS0_17block_load_methodE3ELS4_3ELS4_3ELNS0_20block_scan_algorithmE0ELj4294967295EEENS1_25partition_config_selectorILNS1_17partition_subalgoE3EjNS0_10empty_typeEbEEZZNS1_14partition_implILS8_3ELb0ES6_jNS0_17counting_iteratorIjlEEPS9_SE_NS0_5tupleIJPjSE_EEENSF_IJSE_SE_EEES9_SG_JZNS1_25segmented_radix_sort_implINS0_14default_configELb0EPKbPbPKlPlN2at6native12_GLOBAL__N_18offset_tEEE10hipError_tPvRmT1_PNSt15iterator_traitsISY_E10value_typeET2_T3_PNSZ_IS14_E10value_typeET4_jRbjT5_S1A_jjP12ihipStream_tbEUljE_EEESV_SW_SX_S14_S18_S1A_T6_T7_T9_mT8_S1C_bDpT10_ENKUlT_T0_E_clISt17integral_constantIbLb1EES1O_IbLb0EEEEDaS1K_S1L_EUlS1K_E_NS1_11comp_targetILNS1_3genE3ELNS1_11target_archE908ELNS1_3gpuE7ELNS1_3repE0EEENS1_30default_config_static_selectorELNS0_4arch9wavefront6targetE0EEEvSY_.has_indirect_call, 0
	.section	.AMDGPU.csdata,"",@progbits
; Kernel info:
; codeLenInByte = 0
; TotalNumSgprs: 0
; NumVgprs: 0
; ScratchSize: 0
; MemoryBound: 0
; FloatMode: 240
; IeeeMode: 1
; LDSByteSize: 0 bytes/workgroup (compile time only)
; SGPRBlocks: 0
; VGPRBlocks: 0
; NumSGPRsForWavesPerEU: 1
; NumVGPRsForWavesPerEU: 1
; NamedBarCnt: 0
; Occupancy: 16
; WaveLimiterHint : 0
; COMPUTE_PGM_RSRC2:SCRATCH_EN: 0
; COMPUTE_PGM_RSRC2:USER_SGPR: 2
; COMPUTE_PGM_RSRC2:TRAP_HANDLER: 0
; COMPUTE_PGM_RSRC2:TGID_X_EN: 1
; COMPUTE_PGM_RSRC2:TGID_Y_EN: 0
; COMPUTE_PGM_RSRC2:TGID_Z_EN: 0
; COMPUTE_PGM_RSRC2:TIDIG_COMP_CNT: 0
	.section	.text._ZN7rocprim17ROCPRIM_400000_NS6detail17trampoline_kernelINS0_13select_configILj256ELj13ELNS0_17block_load_methodE3ELS4_3ELS4_3ELNS0_20block_scan_algorithmE0ELj4294967295EEENS1_25partition_config_selectorILNS1_17partition_subalgoE3EjNS0_10empty_typeEbEEZZNS1_14partition_implILS8_3ELb0ES6_jNS0_17counting_iteratorIjlEEPS9_SE_NS0_5tupleIJPjSE_EEENSF_IJSE_SE_EEES9_SG_JZNS1_25segmented_radix_sort_implINS0_14default_configELb0EPKbPbPKlPlN2at6native12_GLOBAL__N_18offset_tEEE10hipError_tPvRmT1_PNSt15iterator_traitsISY_E10value_typeET2_T3_PNSZ_IS14_E10value_typeET4_jRbjT5_S1A_jjP12ihipStream_tbEUljE_EEESV_SW_SX_S14_S18_S1A_T6_T7_T9_mT8_S1C_bDpT10_ENKUlT_T0_E_clISt17integral_constantIbLb1EES1O_IbLb0EEEEDaS1K_S1L_EUlS1K_E_NS1_11comp_targetILNS1_3genE2ELNS1_11target_archE906ELNS1_3gpuE6ELNS1_3repE0EEENS1_30default_config_static_selectorELNS0_4arch9wavefront6targetE0EEEvSY_,"axG",@progbits,_ZN7rocprim17ROCPRIM_400000_NS6detail17trampoline_kernelINS0_13select_configILj256ELj13ELNS0_17block_load_methodE3ELS4_3ELS4_3ELNS0_20block_scan_algorithmE0ELj4294967295EEENS1_25partition_config_selectorILNS1_17partition_subalgoE3EjNS0_10empty_typeEbEEZZNS1_14partition_implILS8_3ELb0ES6_jNS0_17counting_iteratorIjlEEPS9_SE_NS0_5tupleIJPjSE_EEENSF_IJSE_SE_EEES9_SG_JZNS1_25segmented_radix_sort_implINS0_14default_configELb0EPKbPbPKlPlN2at6native12_GLOBAL__N_18offset_tEEE10hipError_tPvRmT1_PNSt15iterator_traitsISY_E10value_typeET2_T3_PNSZ_IS14_E10value_typeET4_jRbjT5_S1A_jjP12ihipStream_tbEUljE_EEESV_SW_SX_S14_S18_S1A_T6_T7_T9_mT8_S1C_bDpT10_ENKUlT_T0_E_clISt17integral_constantIbLb1EES1O_IbLb0EEEEDaS1K_S1L_EUlS1K_E_NS1_11comp_targetILNS1_3genE2ELNS1_11target_archE906ELNS1_3gpuE6ELNS1_3repE0EEENS1_30default_config_static_selectorELNS0_4arch9wavefront6targetE0EEEvSY_,comdat
	.globl	_ZN7rocprim17ROCPRIM_400000_NS6detail17trampoline_kernelINS0_13select_configILj256ELj13ELNS0_17block_load_methodE3ELS4_3ELS4_3ELNS0_20block_scan_algorithmE0ELj4294967295EEENS1_25partition_config_selectorILNS1_17partition_subalgoE3EjNS0_10empty_typeEbEEZZNS1_14partition_implILS8_3ELb0ES6_jNS0_17counting_iteratorIjlEEPS9_SE_NS0_5tupleIJPjSE_EEENSF_IJSE_SE_EEES9_SG_JZNS1_25segmented_radix_sort_implINS0_14default_configELb0EPKbPbPKlPlN2at6native12_GLOBAL__N_18offset_tEEE10hipError_tPvRmT1_PNSt15iterator_traitsISY_E10value_typeET2_T3_PNSZ_IS14_E10value_typeET4_jRbjT5_S1A_jjP12ihipStream_tbEUljE_EEESV_SW_SX_S14_S18_S1A_T6_T7_T9_mT8_S1C_bDpT10_ENKUlT_T0_E_clISt17integral_constantIbLb1EES1O_IbLb0EEEEDaS1K_S1L_EUlS1K_E_NS1_11comp_targetILNS1_3genE2ELNS1_11target_archE906ELNS1_3gpuE6ELNS1_3repE0EEENS1_30default_config_static_selectorELNS0_4arch9wavefront6targetE0EEEvSY_ ; -- Begin function _ZN7rocprim17ROCPRIM_400000_NS6detail17trampoline_kernelINS0_13select_configILj256ELj13ELNS0_17block_load_methodE3ELS4_3ELS4_3ELNS0_20block_scan_algorithmE0ELj4294967295EEENS1_25partition_config_selectorILNS1_17partition_subalgoE3EjNS0_10empty_typeEbEEZZNS1_14partition_implILS8_3ELb0ES6_jNS0_17counting_iteratorIjlEEPS9_SE_NS0_5tupleIJPjSE_EEENSF_IJSE_SE_EEES9_SG_JZNS1_25segmented_radix_sort_implINS0_14default_configELb0EPKbPbPKlPlN2at6native12_GLOBAL__N_18offset_tEEE10hipError_tPvRmT1_PNSt15iterator_traitsISY_E10value_typeET2_T3_PNSZ_IS14_E10value_typeET4_jRbjT5_S1A_jjP12ihipStream_tbEUljE_EEESV_SW_SX_S14_S18_S1A_T6_T7_T9_mT8_S1C_bDpT10_ENKUlT_T0_E_clISt17integral_constantIbLb1EES1O_IbLb0EEEEDaS1K_S1L_EUlS1K_E_NS1_11comp_targetILNS1_3genE2ELNS1_11target_archE906ELNS1_3gpuE6ELNS1_3repE0EEENS1_30default_config_static_selectorELNS0_4arch9wavefront6targetE0EEEvSY_
	.p2align	8
	.type	_ZN7rocprim17ROCPRIM_400000_NS6detail17trampoline_kernelINS0_13select_configILj256ELj13ELNS0_17block_load_methodE3ELS4_3ELS4_3ELNS0_20block_scan_algorithmE0ELj4294967295EEENS1_25partition_config_selectorILNS1_17partition_subalgoE3EjNS0_10empty_typeEbEEZZNS1_14partition_implILS8_3ELb0ES6_jNS0_17counting_iteratorIjlEEPS9_SE_NS0_5tupleIJPjSE_EEENSF_IJSE_SE_EEES9_SG_JZNS1_25segmented_radix_sort_implINS0_14default_configELb0EPKbPbPKlPlN2at6native12_GLOBAL__N_18offset_tEEE10hipError_tPvRmT1_PNSt15iterator_traitsISY_E10value_typeET2_T3_PNSZ_IS14_E10value_typeET4_jRbjT5_S1A_jjP12ihipStream_tbEUljE_EEESV_SW_SX_S14_S18_S1A_T6_T7_T9_mT8_S1C_bDpT10_ENKUlT_T0_E_clISt17integral_constantIbLb1EES1O_IbLb0EEEEDaS1K_S1L_EUlS1K_E_NS1_11comp_targetILNS1_3genE2ELNS1_11target_archE906ELNS1_3gpuE6ELNS1_3repE0EEENS1_30default_config_static_selectorELNS0_4arch9wavefront6targetE0EEEvSY_,@function
_ZN7rocprim17ROCPRIM_400000_NS6detail17trampoline_kernelINS0_13select_configILj256ELj13ELNS0_17block_load_methodE3ELS4_3ELS4_3ELNS0_20block_scan_algorithmE0ELj4294967295EEENS1_25partition_config_selectorILNS1_17partition_subalgoE3EjNS0_10empty_typeEbEEZZNS1_14partition_implILS8_3ELb0ES6_jNS0_17counting_iteratorIjlEEPS9_SE_NS0_5tupleIJPjSE_EEENSF_IJSE_SE_EEES9_SG_JZNS1_25segmented_radix_sort_implINS0_14default_configELb0EPKbPbPKlPlN2at6native12_GLOBAL__N_18offset_tEEE10hipError_tPvRmT1_PNSt15iterator_traitsISY_E10value_typeET2_T3_PNSZ_IS14_E10value_typeET4_jRbjT5_S1A_jjP12ihipStream_tbEUljE_EEESV_SW_SX_S14_S18_S1A_T6_T7_T9_mT8_S1C_bDpT10_ENKUlT_T0_E_clISt17integral_constantIbLb1EES1O_IbLb0EEEEDaS1K_S1L_EUlS1K_E_NS1_11comp_targetILNS1_3genE2ELNS1_11target_archE906ELNS1_3gpuE6ELNS1_3repE0EEENS1_30default_config_static_selectorELNS0_4arch9wavefront6targetE0EEEvSY_: ; @_ZN7rocprim17ROCPRIM_400000_NS6detail17trampoline_kernelINS0_13select_configILj256ELj13ELNS0_17block_load_methodE3ELS4_3ELS4_3ELNS0_20block_scan_algorithmE0ELj4294967295EEENS1_25partition_config_selectorILNS1_17partition_subalgoE3EjNS0_10empty_typeEbEEZZNS1_14partition_implILS8_3ELb0ES6_jNS0_17counting_iteratorIjlEEPS9_SE_NS0_5tupleIJPjSE_EEENSF_IJSE_SE_EEES9_SG_JZNS1_25segmented_radix_sort_implINS0_14default_configELb0EPKbPbPKlPlN2at6native12_GLOBAL__N_18offset_tEEE10hipError_tPvRmT1_PNSt15iterator_traitsISY_E10value_typeET2_T3_PNSZ_IS14_E10value_typeET4_jRbjT5_S1A_jjP12ihipStream_tbEUljE_EEESV_SW_SX_S14_S18_S1A_T6_T7_T9_mT8_S1C_bDpT10_ENKUlT_T0_E_clISt17integral_constantIbLb1EES1O_IbLb0EEEEDaS1K_S1L_EUlS1K_E_NS1_11comp_targetILNS1_3genE2ELNS1_11target_archE906ELNS1_3gpuE6ELNS1_3repE0EEENS1_30default_config_static_selectorELNS0_4arch9wavefront6targetE0EEEvSY_
; %bb.0:
	.section	.rodata,"a",@progbits
	.p2align	6, 0x0
	.amdhsa_kernel _ZN7rocprim17ROCPRIM_400000_NS6detail17trampoline_kernelINS0_13select_configILj256ELj13ELNS0_17block_load_methodE3ELS4_3ELS4_3ELNS0_20block_scan_algorithmE0ELj4294967295EEENS1_25partition_config_selectorILNS1_17partition_subalgoE3EjNS0_10empty_typeEbEEZZNS1_14partition_implILS8_3ELb0ES6_jNS0_17counting_iteratorIjlEEPS9_SE_NS0_5tupleIJPjSE_EEENSF_IJSE_SE_EEES9_SG_JZNS1_25segmented_radix_sort_implINS0_14default_configELb0EPKbPbPKlPlN2at6native12_GLOBAL__N_18offset_tEEE10hipError_tPvRmT1_PNSt15iterator_traitsISY_E10value_typeET2_T3_PNSZ_IS14_E10value_typeET4_jRbjT5_S1A_jjP12ihipStream_tbEUljE_EEESV_SW_SX_S14_S18_S1A_T6_T7_T9_mT8_S1C_bDpT10_ENKUlT_T0_E_clISt17integral_constantIbLb1EES1O_IbLb0EEEEDaS1K_S1L_EUlS1K_E_NS1_11comp_targetILNS1_3genE2ELNS1_11target_archE906ELNS1_3gpuE6ELNS1_3repE0EEENS1_30default_config_static_selectorELNS0_4arch9wavefront6targetE0EEEvSY_
		.amdhsa_group_segment_fixed_size 0
		.amdhsa_private_segment_fixed_size 0
		.amdhsa_kernarg_size 144
		.amdhsa_user_sgpr_count 2
		.amdhsa_user_sgpr_dispatch_ptr 0
		.amdhsa_user_sgpr_queue_ptr 0
		.amdhsa_user_sgpr_kernarg_segment_ptr 1
		.amdhsa_user_sgpr_dispatch_id 0
		.amdhsa_user_sgpr_kernarg_preload_length 0
		.amdhsa_user_sgpr_kernarg_preload_offset 0
		.amdhsa_user_sgpr_private_segment_size 0
		.amdhsa_wavefront_size32 1
		.amdhsa_uses_dynamic_stack 0
		.amdhsa_enable_private_segment 0
		.amdhsa_system_sgpr_workgroup_id_x 1
		.amdhsa_system_sgpr_workgroup_id_y 0
		.amdhsa_system_sgpr_workgroup_id_z 0
		.amdhsa_system_sgpr_workgroup_info 0
		.amdhsa_system_vgpr_workitem_id 0
		.amdhsa_next_free_vgpr 1
		.amdhsa_next_free_sgpr 1
		.amdhsa_named_barrier_count 0
		.amdhsa_reserve_vcc 0
		.amdhsa_float_round_mode_32 0
		.amdhsa_float_round_mode_16_64 0
		.amdhsa_float_denorm_mode_32 3
		.amdhsa_float_denorm_mode_16_64 3
		.amdhsa_fp16_overflow 0
		.amdhsa_memory_ordered 1
		.amdhsa_forward_progress 1
		.amdhsa_inst_pref_size 0
		.amdhsa_round_robin_scheduling 0
		.amdhsa_exception_fp_ieee_invalid_op 0
		.amdhsa_exception_fp_denorm_src 0
		.amdhsa_exception_fp_ieee_div_zero 0
		.amdhsa_exception_fp_ieee_overflow 0
		.amdhsa_exception_fp_ieee_underflow 0
		.amdhsa_exception_fp_ieee_inexact 0
		.amdhsa_exception_int_div_zero 0
	.end_amdhsa_kernel
	.section	.text._ZN7rocprim17ROCPRIM_400000_NS6detail17trampoline_kernelINS0_13select_configILj256ELj13ELNS0_17block_load_methodE3ELS4_3ELS4_3ELNS0_20block_scan_algorithmE0ELj4294967295EEENS1_25partition_config_selectorILNS1_17partition_subalgoE3EjNS0_10empty_typeEbEEZZNS1_14partition_implILS8_3ELb0ES6_jNS0_17counting_iteratorIjlEEPS9_SE_NS0_5tupleIJPjSE_EEENSF_IJSE_SE_EEES9_SG_JZNS1_25segmented_radix_sort_implINS0_14default_configELb0EPKbPbPKlPlN2at6native12_GLOBAL__N_18offset_tEEE10hipError_tPvRmT1_PNSt15iterator_traitsISY_E10value_typeET2_T3_PNSZ_IS14_E10value_typeET4_jRbjT5_S1A_jjP12ihipStream_tbEUljE_EEESV_SW_SX_S14_S18_S1A_T6_T7_T9_mT8_S1C_bDpT10_ENKUlT_T0_E_clISt17integral_constantIbLb1EES1O_IbLb0EEEEDaS1K_S1L_EUlS1K_E_NS1_11comp_targetILNS1_3genE2ELNS1_11target_archE906ELNS1_3gpuE6ELNS1_3repE0EEENS1_30default_config_static_selectorELNS0_4arch9wavefront6targetE0EEEvSY_,"axG",@progbits,_ZN7rocprim17ROCPRIM_400000_NS6detail17trampoline_kernelINS0_13select_configILj256ELj13ELNS0_17block_load_methodE3ELS4_3ELS4_3ELNS0_20block_scan_algorithmE0ELj4294967295EEENS1_25partition_config_selectorILNS1_17partition_subalgoE3EjNS0_10empty_typeEbEEZZNS1_14partition_implILS8_3ELb0ES6_jNS0_17counting_iteratorIjlEEPS9_SE_NS0_5tupleIJPjSE_EEENSF_IJSE_SE_EEES9_SG_JZNS1_25segmented_radix_sort_implINS0_14default_configELb0EPKbPbPKlPlN2at6native12_GLOBAL__N_18offset_tEEE10hipError_tPvRmT1_PNSt15iterator_traitsISY_E10value_typeET2_T3_PNSZ_IS14_E10value_typeET4_jRbjT5_S1A_jjP12ihipStream_tbEUljE_EEESV_SW_SX_S14_S18_S1A_T6_T7_T9_mT8_S1C_bDpT10_ENKUlT_T0_E_clISt17integral_constantIbLb1EES1O_IbLb0EEEEDaS1K_S1L_EUlS1K_E_NS1_11comp_targetILNS1_3genE2ELNS1_11target_archE906ELNS1_3gpuE6ELNS1_3repE0EEENS1_30default_config_static_selectorELNS0_4arch9wavefront6targetE0EEEvSY_,comdat
.Lfunc_end1614:
	.size	_ZN7rocprim17ROCPRIM_400000_NS6detail17trampoline_kernelINS0_13select_configILj256ELj13ELNS0_17block_load_methodE3ELS4_3ELS4_3ELNS0_20block_scan_algorithmE0ELj4294967295EEENS1_25partition_config_selectorILNS1_17partition_subalgoE3EjNS0_10empty_typeEbEEZZNS1_14partition_implILS8_3ELb0ES6_jNS0_17counting_iteratorIjlEEPS9_SE_NS0_5tupleIJPjSE_EEENSF_IJSE_SE_EEES9_SG_JZNS1_25segmented_radix_sort_implINS0_14default_configELb0EPKbPbPKlPlN2at6native12_GLOBAL__N_18offset_tEEE10hipError_tPvRmT1_PNSt15iterator_traitsISY_E10value_typeET2_T3_PNSZ_IS14_E10value_typeET4_jRbjT5_S1A_jjP12ihipStream_tbEUljE_EEESV_SW_SX_S14_S18_S1A_T6_T7_T9_mT8_S1C_bDpT10_ENKUlT_T0_E_clISt17integral_constantIbLb1EES1O_IbLb0EEEEDaS1K_S1L_EUlS1K_E_NS1_11comp_targetILNS1_3genE2ELNS1_11target_archE906ELNS1_3gpuE6ELNS1_3repE0EEENS1_30default_config_static_selectorELNS0_4arch9wavefront6targetE0EEEvSY_, .Lfunc_end1614-_ZN7rocprim17ROCPRIM_400000_NS6detail17trampoline_kernelINS0_13select_configILj256ELj13ELNS0_17block_load_methodE3ELS4_3ELS4_3ELNS0_20block_scan_algorithmE0ELj4294967295EEENS1_25partition_config_selectorILNS1_17partition_subalgoE3EjNS0_10empty_typeEbEEZZNS1_14partition_implILS8_3ELb0ES6_jNS0_17counting_iteratorIjlEEPS9_SE_NS0_5tupleIJPjSE_EEENSF_IJSE_SE_EEES9_SG_JZNS1_25segmented_radix_sort_implINS0_14default_configELb0EPKbPbPKlPlN2at6native12_GLOBAL__N_18offset_tEEE10hipError_tPvRmT1_PNSt15iterator_traitsISY_E10value_typeET2_T3_PNSZ_IS14_E10value_typeET4_jRbjT5_S1A_jjP12ihipStream_tbEUljE_EEESV_SW_SX_S14_S18_S1A_T6_T7_T9_mT8_S1C_bDpT10_ENKUlT_T0_E_clISt17integral_constantIbLb1EES1O_IbLb0EEEEDaS1K_S1L_EUlS1K_E_NS1_11comp_targetILNS1_3genE2ELNS1_11target_archE906ELNS1_3gpuE6ELNS1_3repE0EEENS1_30default_config_static_selectorELNS0_4arch9wavefront6targetE0EEEvSY_
                                        ; -- End function
	.set _ZN7rocprim17ROCPRIM_400000_NS6detail17trampoline_kernelINS0_13select_configILj256ELj13ELNS0_17block_load_methodE3ELS4_3ELS4_3ELNS0_20block_scan_algorithmE0ELj4294967295EEENS1_25partition_config_selectorILNS1_17partition_subalgoE3EjNS0_10empty_typeEbEEZZNS1_14partition_implILS8_3ELb0ES6_jNS0_17counting_iteratorIjlEEPS9_SE_NS0_5tupleIJPjSE_EEENSF_IJSE_SE_EEES9_SG_JZNS1_25segmented_radix_sort_implINS0_14default_configELb0EPKbPbPKlPlN2at6native12_GLOBAL__N_18offset_tEEE10hipError_tPvRmT1_PNSt15iterator_traitsISY_E10value_typeET2_T3_PNSZ_IS14_E10value_typeET4_jRbjT5_S1A_jjP12ihipStream_tbEUljE_EEESV_SW_SX_S14_S18_S1A_T6_T7_T9_mT8_S1C_bDpT10_ENKUlT_T0_E_clISt17integral_constantIbLb1EES1O_IbLb0EEEEDaS1K_S1L_EUlS1K_E_NS1_11comp_targetILNS1_3genE2ELNS1_11target_archE906ELNS1_3gpuE6ELNS1_3repE0EEENS1_30default_config_static_selectorELNS0_4arch9wavefront6targetE0EEEvSY_.num_vgpr, 0
	.set _ZN7rocprim17ROCPRIM_400000_NS6detail17trampoline_kernelINS0_13select_configILj256ELj13ELNS0_17block_load_methodE3ELS4_3ELS4_3ELNS0_20block_scan_algorithmE0ELj4294967295EEENS1_25partition_config_selectorILNS1_17partition_subalgoE3EjNS0_10empty_typeEbEEZZNS1_14partition_implILS8_3ELb0ES6_jNS0_17counting_iteratorIjlEEPS9_SE_NS0_5tupleIJPjSE_EEENSF_IJSE_SE_EEES9_SG_JZNS1_25segmented_radix_sort_implINS0_14default_configELb0EPKbPbPKlPlN2at6native12_GLOBAL__N_18offset_tEEE10hipError_tPvRmT1_PNSt15iterator_traitsISY_E10value_typeET2_T3_PNSZ_IS14_E10value_typeET4_jRbjT5_S1A_jjP12ihipStream_tbEUljE_EEESV_SW_SX_S14_S18_S1A_T6_T7_T9_mT8_S1C_bDpT10_ENKUlT_T0_E_clISt17integral_constantIbLb1EES1O_IbLb0EEEEDaS1K_S1L_EUlS1K_E_NS1_11comp_targetILNS1_3genE2ELNS1_11target_archE906ELNS1_3gpuE6ELNS1_3repE0EEENS1_30default_config_static_selectorELNS0_4arch9wavefront6targetE0EEEvSY_.num_agpr, 0
	.set _ZN7rocprim17ROCPRIM_400000_NS6detail17trampoline_kernelINS0_13select_configILj256ELj13ELNS0_17block_load_methodE3ELS4_3ELS4_3ELNS0_20block_scan_algorithmE0ELj4294967295EEENS1_25partition_config_selectorILNS1_17partition_subalgoE3EjNS0_10empty_typeEbEEZZNS1_14partition_implILS8_3ELb0ES6_jNS0_17counting_iteratorIjlEEPS9_SE_NS0_5tupleIJPjSE_EEENSF_IJSE_SE_EEES9_SG_JZNS1_25segmented_radix_sort_implINS0_14default_configELb0EPKbPbPKlPlN2at6native12_GLOBAL__N_18offset_tEEE10hipError_tPvRmT1_PNSt15iterator_traitsISY_E10value_typeET2_T3_PNSZ_IS14_E10value_typeET4_jRbjT5_S1A_jjP12ihipStream_tbEUljE_EEESV_SW_SX_S14_S18_S1A_T6_T7_T9_mT8_S1C_bDpT10_ENKUlT_T0_E_clISt17integral_constantIbLb1EES1O_IbLb0EEEEDaS1K_S1L_EUlS1K_E_NS1_11comp_targetILNS1_3genE2ELNS1_11target_archE906ELNS1_3gpuE6ELNS1_3repE0EEENS1_30default_config_static_selectorELNS0_4arch9wavefront6targetE0EEEvSY_.numbered_sgpr, 0
	.set _ZN7rocprim17ROCPRIM_400000_NS6detail17trampoline_kernelINS0_13select_configILj256ELj13ELNS0_17block_load_methodE3ELS4_3ELS4_3ELNS0_20block_scan_algorithmE0ELj4294967295EEENS1_25partition_config_selectorILNS1_17partition_subalgoE3EjNS0_10empty_typeEbEEZZNS1_14partition_implILS8_3ELb0ES6_jNS0_17counting_iteratorIjlEEPS9_SE_NS0_5tupleIJPjSE_EEENSF_IJSE_SE_EEES9_SG_JZNS1_25segmented_radix_sort_implINS0_14default_configELb0EPKbPbPKlPlN2at6native12_GLOBAL__N_18offset_tEEE10hipError_tPvRmT1_PNSt15iterator_traitsISY_E10value_typeET2_T3_PNSZ_IS14_E10value_typeET4_jRbjT5_S1A_jjP12ihipStream_tbEUljE_EEESV_SW_SX_S14_S18_S1A_T6_T7_T9_mT8_S1C_bDpT10_ENKUlT_T0_E_clISt17integral_constantIbLb1EES1O_IbLb0EEEEDaS1K_S1L_EUlS1K_E_NS1_11comp_targetILNS1_3genE2ELNS1_11target_archE906ELNS1_3gpuE6ELNS1_3repE0EEENS1_30default_config_static_selectorELNS0_4arch9wavefront6targetE0EEEvSY_.num_named_barrier, 0
	.set _ZN7rocprim17ROCPRIM_400000_NS6detail17trampoline_kernelINS0_13select_configILj256ELj13ELNS0_17block_load_methodE3ELS4_3ELS4_3ELNS0_20block_scan_algorithmE0ELj4294967295EEENS1_25partition_config_selectorILNS1_17partition_subalgoE3EjNS0_10empty_typeEbEEZZNS1_14partition_implILS8_3ELb0ES6_jNS0_17counting_iteratorIjlEEPS9_SE_NS0_5tupleIJPjSE_EEENSF_IJSE_SE_EEES9_SG_JZNS1_25segmented_radix_sort_implINS0_14default_configELb0EPKbPbPKlPlN2at6native12_GLOBAL__N_18offset_tEEE10hipError_tPvRmT1_PNSt15iterator_traitsISY_E10value_typeET2_T3_PNSZ_IS14_E10value_typeET4_jRbjT5_S1A_jjP12ihipStream_tbEUljE_EEESV_SW_SX_S14_S18_S1A_T6_T7_T9_mT8_S1C_bDpT10_ENKUlT_T0_E_clISt17integral_constantIbLb1EES1O_IbLb0EEEEDaS1K_S1L_EUlS1K_E_NS1_11comp_targetILNS1_3genE2ELNS1_11target_archE906ELNS1_3gpuE6ELNS1_3repE0EEENS1_30default_config_static_selectorELNS0_4arch9wavefront6targetE0EEEvSY_.private_seg_size, 0
	.set _ZN7rocprim17ROCPRIM_400000_NS6detail17trampoline_kernelINS0_13select_configILj256ELj13ELNS0_17block_load_methodE3ELS4_3ELS4_3ELNS0_20block_scan_algorithmE0ELj4294967295EEENS1_25partition_config_selectorILNS1_17partition_subalgoE3EjNS0_10empty_typeEbEEZZNS1_14partition_implILS8_3ELb0ES6_jNS0_17counting_iteratorIjlEEPS9_SE_NS0_5tupleIJPjSE_EEENSF_IJSE_SE_EEES9_SG_JZNS1_25segmented_radix_sort_implINS0_14default_configELb0EPKbPbPKlPlN2at6native12_GLOBAL__N_18offset_tEEE10hipError_tPvRmT1_PNSt15iterator_traitsISY_E10value_typeET2_T3_PNSZ_IS14_E10value_typeET4_jRbjT5_S1A_jjP12ihipStream_tbEUljE_EEESV_SW_SX_S14_S18_S1A_T6_T7_T9_mT8_S1C_bDpT10_ENKUlT_T0_E_clISt17integral_constantIbLb1EES1O_IbLb0EEEEDaS1K_S1L_EUlS1K_E_NS1_11comp_targetILNS1_3genE2ELNS1_11target_archE906ELNS1_3gpuE6ELNS1_3repE0EEENS1_30default_config_static_selectorELNS0_4arch9wavefront6targetE0EEEvSY_.uses_vcc, 0
	.set _ZN7rocprim17ROCPRIM_400000_NS6detail17trampoline_kernelINS0_13select_configILj256ELj13ELNS0_17block_load_methodE3ELS4_3ELS4_3ELNS0_20block_scan_algorithmE0ELj4294967295EEENS1_25partition_config_selectorILNS1_17partition_subalgoE3EjNS0_10empty_typeEbEEZZNS1_14partition_implILS8_3ELb0ES6_jNS0_17counting_iteratorIjlEEPS9_SE_NS0_5tupleIJPjSE_EEENSF_IJSE_SE_EEES9_SG_JZNS1_25segmented_radix_sort_implINS0_14default_configELb0EPKbPbPKlPlN2at6native12_GLOBAL__N_18offset_tEEE10hipError_tPvRmT1_PNSt15iterator_traitsISY_E10value_typeET2_T3_PNSZ_IS14_E10value_typeET4_jRbjT5_S1A_jjP12ihipStream_tbEUljE_EEESV_SW_SX_S14_S18_S1A_T6_T7_T9_mT8_S1C_bDpT10_ENKUlT_T0_E_clISt17integral_constantIbLb1EES1O_IbLb0EEEEDaS1K_S1L_EUlS1K_E_NS1_11comp_targetILNS1_3genE2ELNS1_11target_archE906ELNS1_3gpuE6ELNS1_3repE0EEENS1_30default_config_static_selectorELNS0_4arch9wavefront6targetE0EEEvSY_.uses_flat_scratch, 0
	.set _ZN7rocprim17ROCPRIM_400000_NS6detail17trampoline_kernelINS0_13select_configILj256ELj13ELNS0_17block_load_methodE3ELS4_3ELS4_3ELNS0_20block_scan_algorithmE0ELj4294967295EEENS1_25partition_config_selectorILNS1_17partition_subalgoE3EjNS0_10empty_typeEbEEZZNS1_14partition_implILS8_3ELb0ES6_jNS0_17counting_iteratorIjlEEPS9_SE_NS0_5tupleIJPjSE_EEENSF_IJSE_SE_EEES9_SG_JZNS1_25segmented_radix_sort_implINS0_14default_configELb0EPKbPbPKlPlN2at6native12_GLOBAL__N_18offset_tEEE10hipError_tPvRmT1_PNSt15iterator_traitsISY_E10value_typeET2_T3_PNSZ_IS14_E10value_typeET4_jRbjT5_S1A_jjP12ihipStream_tbEUljE_EEESV_SW_SX_S14_S18_S1A_T6_T7_T9_mT8_S1C_bDpT10_ENKUlT_T0_E_clISt17integral_constantIbLb1EES1O_IbLb0EEEEDaS1K_S1L_EUlS1K_E_NS1_11comp_targetILNS1_3genE2ELNS1_11target_archE906ELNS1_3gpuE6ELNS1_3repE0EEENS1_30default_config_static_selectorELNS0_4arch9wavefront6targetE0EEEvSY_.has_dyn_sized_stack, 0
	.set _ZN7rocprim17ROCPRIM_400000_NS6detail17trampoline_kernelINS0_13select_configILj256ELj13ELNS0_17block_load_methodE3ELS4_3ELS4_3ELNS0_20block_scan_algorithmE0ELj4294967295EEENS1_25partition_config_selectorILNS1_17partition_subalgoE3EjNS0_10empty_typeEbEEZZNS1_14partition_implILS8_3ELb0ES6_jNS0_17counting_iteratorIjlEEPS9_SE_NS0_5tupleIJPjSE_EEENSF_IJSE_SE_EEES9_SG_JZNS1_25segmented_radix_sort_implINS0_14default_configELb0EPKbPbPKlPlN2at6native12_GLOBAL__N_18offset_tEEE10hipError_tPvRmT1_PNSt15iterator_traitsISY_E10value_typeET2_T3_PNSZ_IS14_E10value_typeET4_jRbjT5_S1A_jjP12ihipStream_tbEUljE_EEESV_SW_SX_S14_S18_S1A_T6_T7_T9_mT8_S1C_bDpT10_ENKUlT_T0_E_clISt17integral_constantIbLb1EES1O_IbLb0EEEEDaS1K_S1L_EUlS1K_E_NS1_11comp_targetILNS1_3genE2ELNS1_11target_archE906ELNS1_3gpuE6ELNS1_3repE0EEENS1_30default_config_static_selectorELNS0_4arch9wavefront6targetE0EEEvSY_.has_recursion, 0
	.set _ZN7rocprim17ROCPRIM_400000_NS6detail17trampoline_kernelINS0_13select_configILj256ELj13ELNS0_17block_load_methodE3ELS4_3ELS4_3ELNS0_20block_scan_algorithmE0ELj4294967295EEENS1_25partition_config_selectorILNS1_17partition_subalgoE3EjNS0_10empty_typeEbEEZZNS1_14partition_implILS8_3ELb0ES6_jNS0_17counting_iteratorIjlEEPS9_SE_NS0_5tupleIJPjSE_EEENSF_IJSE_SE_EEES9_SG_JZNS1_25segmented_radix_sort_implINS0_14default_configELb0EPKbPbPKlPlN2at6native12_GLOBAL__N_18offset_tEEE10hipError_tPvRmT1_PNSt15iterator_traitsISY_E10value_typeET2_T3_PNSZ_IS14_E10value_typeET4_jRbjT5_S1A_jjP12ihipStream_tbEUljE_EEESV_SW_SX_S14_S18_S1A_T6_T7_T9_mT8_S1C_bDpT10_ENKUlT_T0_E_clISt17integral_constantIbLb1EES1O_IbLb0EEEEDaS1K_S1L_EUlS1K_E_NS1_11comp_targetILNS1_3genE2ELNS1_11target_archE906ELNS1_3gpuE6ELNS1_3repE0EEENS1_30default_config_static_selectorELNS0_4arch9wavefront6targetE0EEEvSY_.has_indirect_call, 0
	.section	.AMDGPU.csdata,"",@progbits
; Kernel info:
; codeLenInByte = 0
; TotalNumSgprs: 0
; NumVgprs: 0
; ScratchSize: 0
; MemoryBound: 0
; FloatMode: 240
; IeeeMode: 1
; LDSByteSize: 0 bytes/workgroup (compile time only)
; SGPRBlocks: 0
; VGPRBlocks: 0
; NumSGPRsForWavesPerEU: 1
; NumVGPRsForWavesPerEU: 1
; NamedBarCnt: 0
; Occupancy: 16
; WaveLimiterHint : 0
; COMPUTE_PGM_RSRC2:SCRATCH_EN: 0
; COMPUTE_PGM_RSRC2:USER_SGPR: 2
; COMPUTE_PGM_RSRC2:TRAP_HANDLER: 0
; COMPUTE_PGM_RSRC2:TGID_X_EN: 1
; COMPUTE_PGM_RSRC2:TGID_Y_EN: 0
; COMPUTE_PGM_RSRC2:TGID_Z_EN: 0
; COMPUTE_PGM_RSRC2:TIDIG_COMP_CNT: 0
	.section	.text._ZN7rocprim17ROCPRIM_400000_NS6detail17trampoline_kernelINS0_13select_configILj256ELj13ELNS0_17block_load_methodE3ELS4_3ELS4_3ELNS0_20block_scan_algorithmE0ELj4294967295EEENS1_25partition_config_selectorILNS1_17partition_subalgoE3EjNS0_10empty_typeEbEEZZNS1_14partition_implILS8_3ELb0ES6_jNS0_17counting_iteratorIjlEEPS9_SE_NS0_5tupleIJPjSE_EEENSF_IJSE_SE_EEES9_SG_JZNS1_25segmented_radix_sort_implINS0_14default_configELb0EPKbPbPKlPlN2at6native12_GLOBAL__N_18offset_tEEE10hipError_tPvRmT1_PNSt15iterator_traitsISY_E10value_typeET2_T3_PNSZ_IS14_E10value_typeET4_jRbjT5_S1A_jjP12ihipStream_tbEUljE_EEESV_SW_SX_S14_S18_S1A_T6_T7_T9_mT8_S1C_bDpT10_ENKUlT_T0_E_clISt17integral_constantIbLb1EES1O_IbLb0EEEEDaS1K_S1L_EUlS1K_E_NS1_11comp_targetILNS1_3genE10ELNS1_11target_archE1200ELNS1_3gpuE4ELNS1_3repE0EEENS1_30default_config_static_selectorELNS0_4arch9wavefront6targetE0EEEvSY_,"axG",@progbits,_ZN7rocprim17ROCPRIM_400000_NS6detail17trampoline_kernelINS0_13select_configILj256ELj13ELNS0_17block_load_methodE3ELS4_3ELS4_3ELNS0_20block_scan_algorithmE0ELj4294967295EEENS1_25partition_config_selectorILNS1_17partition_subalgoE3EjNS0_10empty_typeEbEEZZNS1_14partition_implILS8_3ELb0ES6_jNS0_17counting_iteratorIjlEEPS9_SE_NS0_5tupleIJPjSE_EEENSF_IJSE_SE_EEES9_SG_JZNS1_25segmented_radix_sort_implINS0_14default_configELb0EPKbPbPKlPlN2at6native12_GLOBAL__N_18offset_tEEE10hipError_tPvRmT1_PNSt15iterator_traitsISY_E10value_typeET2_T3_PNSZ_IS14_E10value_typeET4_jRbjT5_S1A_jjP12ihipStream_tbEUljE_EEESV_SW_SX_S14_S18_S1A_T6_T7_T9_mT8_S1C_bDpT10_ENKUlT_T0_E_clISt17integral_constantIbLb1EES1O_IbLb0EEEEDaS1K_S1L_EUlS1K_E_NS1_11comp_targetILNS1_3genE10ELNS1_11target_archE1200ELNS1_3gpuE4ELNS1_3repE0EEENS1_30default_config_static_selectorELNS0_4arch9wavefront6targetE0EEEvSY_,comdat
	.globl	_ZN7rocprim17ROCPRIM_400000_NS6detail17trampoline_kernelINS0_13select_configILj256ELj13ELNS0_17block_load_methodE3ELS4_3ELS4_3ELNS0_20block_scan_algorithmE0ELj4294967295EEENS1_25partition_config_selectorILNS1_17partition_subalgoE3EjNS0_10empty_typeEbEEZZNS1_14partition_implILS8_3ELb0ES6_jNS0_17counting_iteratorIjlEEPS9_SE_NS0_5tupleIJPjSE_EEENSF_IJSE_SE_EEES9_SG_JZNS1_25segmented_radix_sort_implINS0_14default_configELb0EPKbPbPKlPlN2at6native12_GLOBAL__N_18offset_tEEE10hipError_tPvRmT1_PNSt15iterator_traitsISY_E10value_typeET2_T3_PNSZ_IS14_E10value_typeET4_jRbjT5_S1A_jjP12ihipStream_tbEUljE_EEESV_SW_SX_S14_S18_S1A_T6_T7_T9_mT8_S1C_bDpT10_ENKUlT_T0_E_clISt17integral_constantIbLb1EES1O_IbLb0EEEEDaS1K_S1L_EUlS1K_E_NS1_11comp_targetILNS1_3genE10ELNS1_11target_archE1200ELNS1_3gpuE4ELNS1_3repE0EEENS1_30default_config_static_selectorELNS0_4arch9wavefront6targetE0EEEvSY_ ; -- Begin function _ZN7rocprim17ROCPRIM_400000_NS6detail17trampoline_kernelINS0_13select_configILj256ELj13ELNS0_17block_load_methodE3ELS4_3ELS4_3ELNS0_20block_scan_algorithmE0ELj4294967295EEENS1_25partition_config_selectorILNS1_17partition_subalgoE3EjNS0_10empty_typeEbEEZZNS1_14partition_implILS8_3ELb0ES6_jNS0_17counting_iteratorIjlEEPS9_SE_NS0_5tupleIJPjSE_EEENSF_IJSE_SE_EEES9_SG_JZNS1_25segmented_radix_sort_implINS0_14default_configELb0EPKbPbPKlPlN2at6native12_GLOBAL__N_18offset_tEEE10hipError_tPvRmT1_PNSt15iterator_traitsISY_E10value_typeET2_T3_PNSZ_IS14_E10value_typeET4_jRbjT5_S1A_jjP12ihipStream_tbEUljE_EEESV_SW_SX_S14_S18_S1A_T6_T7_T9_mT8_S1C_bDpT10_ENKUlT_T0_E_clISt17integral_constantIbLb1EES1O_IbLb0EEEEDaS1K_S1L_EUlS1K_E_NS1_11comp_targetILNS1_3genE10ELNS1_11target_archE1200ELNS1_3gpuE4ELNS1_3repE0EEENS1_30default_config_static_selectorELNS0_4arch9wavefront6targetE0EEEvSY_
	.p2align	8
	.type	_ZN7rocprim17ROCPRIM_400000_NS6detail17trampoline_kernelINS0_13select_configILj256ELj13ELNS0_17block_load_methodE3ELS4_3ELS4_3ELNS0_20block_scan_algorithmE0ELj4294967295EEENS1_25partition_config_selectorILNS1_17partition_subalgoE3EjNS0_10empty_typeEbEEZZNS1_14partition_implILS8_3ELb0ES6_jNS0_17counting_iteratorIjlEEPS9_SE_NS0_5tupleIJPjSE_EEENSF_IJSE_SE_EEES9_SG_JZNS1_25segmented_radix_sort_implINS0_14default_configELb0EPKbPbPKlPlN2at6native12_GLOBAL__N_18offset_tEEE10hipError_tPvRmT1_PNSt15iterator_traitsISY_E10value_typeET2_T3_PNSZ_IS14_E10value_typeET4_jRbjT5_S1A_jjP12ihipStream_tbEUljE_EEESV_SW_SX_S14_S18_S1A_T6_T7_T9_mT8_S1C_bDpT10_ENKUlT_T0_E_clISt17integral_constantIbLb1EES1O_IbLb0EEEEDaS1K_S1L_EUlS1K_E_NS1_11comp_targetILNS1_3genE10ELNS1_11target_archE1200ELNS1_3gpuE4ELNS1_3repE0EEENS1_30default_config_static_selectorELNS0_4arch9wavefront6targetE0EEEvSY_,@function
_ZN7rocprim17ROCPRIM_400000_NS6detail17trampoline_kernelINS0_13select_configILj256ELj13ELNS0_17block_load_methodE3ELS4_3ELS4_3ELNS0_20block_scan_algorithmE0ELj4294967295EEENS1_25partition_config_selectorILNS1_17partition_subalgoE3EjNS0_10empty_typeEbEEZZNS1_14partition_implILS8_3ELb0ES6_jNS0_17counting_iteratorIjlEEPS9_SE_NS0_5tupleIJPjSE_EEENSF_IJSE_SE_EEES9_SG_JZNS1_25segmented_radix_sort_implINS0_14default_configELb0EPKbPbPKlPlN2at6native12_GLOBAL__N_18offset_tEEE10hipError_tPvRmT1_PNSt15iterator_traitsISY_E10value_typeET2_T3_PNSZ_IS14_E10value_typeET4_jRbjT5_S1A_jjP12ihipStream_tbEUljE_EEESV_SW_SX_S14_S18_S1A_T6_T7_T9_mT8_S1C_bDpT10_ENKUlT_T0_E_clISt17integral_constantIbLb1EES1O_IbLb0EEEEDaS1K_S1L_EUlS1K_E_NS1_11comp_targetILNS1_3genE10ELNS1_11target_archE1200ELNS1_3gpuE4ELNS1_3repE0EEENS1_30default_config_static_selectorELNS0_4arch9wavefront6targetE0EEEvSY_: ; @_ZN7rocprim17ROCPRIM_400000_NS6detail17trampoline_kernelINS0_13select_configILj256ELj13ELNS0_17block_load_methodE3ELS4_3ELS4_3ELNS0_20block_scan_algorithmE0ELj4294967295EEENS1_25partition_config_selectorILNS1_17partition_subalgoE3EjNS0_10empty_typeEbEEZZNS1_14partition_implILS8_3ELb0ES6_jNS0_17counting_iteratorIjlEEPS9_SE_NS0_5tupleIJPjSE_EEENSF_IJSE_SE_EEES9_SG_JZNS1_25segmented_radix_sort_implINS0_14default_configELb0EPKbPbPKlPlN2at6native12_GLOBAL__N_18offset_tEEE10hipError_tPvRmT1_PNSt15iterator_traitsISY_E10value_typeET2_T3_PNSZ_IS14_E10value_typeET4_jRbjT5_S1A_jjP12ihipStream_tbEUljE_EEESV_SW_SX_S14_S18_S1A_T6_T7_T9_mT8_S1C_bDpT10_ENKUlT_T0_E_clISt17integral_constantIbLb1EES1O_IbLb0EEEEDaS1K_S1L_EUlS1K_E_NS1_11comp_targetILNS1_3genE10ELNS1_11target_archE1200ELNS1_3gpuE4ELNS1_3repE0EEENS1_30default_config_static_selectorELNS0_4arch9wavefront6targetE0EEEvSY_
; %bb.0:
	.section	.rodata,"a",@progbits
	.p2align	6, 0x0
	.amdhsa_kernel _ZN7rocprim17ROCPRIM_400000_NS6detail17trampoline_kernelINS0_13select_configILj256ELj13ELNS0_17block_load_methodE3ELS4_3ELS4_3ELNS0_20block_scan_algorithmE0ELj4294967295EEENS1_25partition_config_selectorILNS1_17partition_subalgoE3EjNS0_10empty_typeEbEEZZNS1_14partition_implILS8_3ELb0ES6_jNS0_17counting_iteratorIjlEEPS9_SE_NS0_5tupleIJPjSE_EEENSF_IJSE_SE_EEES9_SG_JZNS1_25segmented_radix_sort_implINS0_14default_configELb0EPKbPbPKlPlN2at6native12_GLOBAL__N_18offset_tEEE10hipError_tPvRmT1_PNSt15iterator_traitsISY_E10value_typeET2_T3_PNSZ_IS14_E10value_typeET4_jRbjT5_S1A_jjP12ihipStream_tbEUljE_EEESV_SW_SX_S14_S18_S1A_T6_T7_T9_mT8_S1C_bDpT10_ENKUlT_T0_E_clISt17integral_constantIbLb1EES1O_IbLb0EEEEDaS1K_S1L_EUlS1K_E_NS1_11comp_targetILNS1_3genE10ELNS1_11target_archE1200ELNS1_3gpuE4ELNS1_3repE0EEENS1_30default_config_static_selectorELNS0_4arch9wavefront6targetE0EEEvSY_
		.amdhsa_group_segment_fixed_size 0
		.amdhsa_private_segment_fixed_size 0
		.amdhsa_kernarg_size 144
		.amdhsa_user_sgpr_count 2
		.amdhsa_user_sgpr_dispatch_ptr 0
		.amdhsa_user_sgpr_queue_ptr 0
		.amdhsa_user_sgpr_kernarg_segment_ptr 1
		.amdhsa_user_sgpr_dispatch_id 0
		.amdhsa_user_sgpr_kernarg_preload_length 0
		.amdhsa_user_sgpr_kernarg_preload_offset 0
		.amdhsa_user_sgpr_private_segment_size 0
		.amdhsa_wavefront_size32 1
		.amdhsa_uses_dynamic_stack 0
		.amdhsa_enable_private_segment 0
		.amdhsa_system_sgpr_workgroup_id_x 1
		.amdhsa_system_sgpr_workgroup_id_y 0
		.amdhsa_system_sgpr_workgroup_id_z 0
		.amdhsa_system_sgpr_workgroup_info 0
		.amdhsa_system_vgpr_workitem_id 0
		.amdhsa_next_free_vgpr 1
		.amdhsa_next_free_sgpr 1
		.amdhsa_named_barrier_count 0
		.amdhsa_reserve_vcc 0
		.amdhsa_float_round_mode_32 0
		.amdhsa_float_round_mode_16_64 0
		.amdhsa_float_denorm_mode_32 3
		.amdhsa_float_denorm_mode_16_64 3
		.amdhsa_fp16_overflow 0
		.amdhsa_memory_ordered 1
		.amdhsa_forward_progress 1
		.amdhsa_inst_pref_size 0
		.amdhsa_round_robin_scheduling 0
		.amdhsa_exception_fp_ieee_invalid_op 0
		.amdhsa_exception_fp_denorm_src 0
		.amdhsa_exception_fp_ieee_div_zero 0
		.amdhsa_exception_fp_ieee_overflow 0
		.amdhsa_exception_fp_ieee_underflow 0
		.amdhsa_exception_fp_ieee_inexact 0
		.amdhsa_exception_int_div_zero 0
	.end_amdhsa_kernel
	.section	.text._ZN7rocprim17ROCPRIM_400000_NS6detail17trampoline_kernelINS0_13select_configILj256ELj13ELNS0_17block_load_methodE3ELS4_3ELS4_3ELNS0_20block_scan_algorithmE0ELj4294967295EEENS1_25partition_config_selectorILNS1_17partition_subalgoE3EjNS0_10empty_typeEbEEZZNS1_14partition_implILS8_3ELb0ES6_jNS0_17counting_iteratorIjlEEPS9_SE_NS0_5tupleIJPjSE_EEENSF_IJSE_SE_EEES9_SG_JZNS1_25segmented_radix_sort_implINS0_14default_configELb0EPKbPbPKlPlN2at6native12_GLOBAL__N_18offset_tEEE10hipError_tPvRmT1_PNSt15iterator_traitsISY_E10value_typeET2_T3_PNSZ_IS14_E10value_typeET4_jRbjT5_S1A_jjP12ihipStream_tbEUljE_EEESV_SW_SX_S14_S18_S1A_T6_T7_T9_mT8_S1C_bDpT10_ENKUlT_T0_E_clISt17integral_constantIbLb1EES1O_IbLb0EEEEDaS1K_S1L_EUlS1K_E_NS1_11comp_targetILNS1_3genE10ELNS1_11target_archE1200ELNS1_3gpuE4ELNS1_3repE0EEENS1_30default_config_static_selectorELNS0_4arch9wavefront6targetE0EEEvSY_,"axG",@progbits,_ZN7rocprim17ROCPRIM_400000_NS6detail17trampoline_kernelINS0_13select_configILj256ELj13ELNS0_17block_load_methodE3ELS4_3ELS4_3ELNS0_20block_scan_algorithmE0ELj4294967295EEENS1_25partition_config_selectorILNS1_17partition_subalgoE3EjNS0_10empty_typeEbEEZZNS1_14partition_implILS8_3ELb0ES6_jNS0_17counting_iteratorIjlEEPS9_SE_NS0_5tupleIJPjSE_EEENSF_IJSE_SE_EEES9_SG_JZNS1_25segmented_radix_sort_implINS0_14default_configELb0EPKbPbPKlPlN2at6native12_GLOBAL__N_18offset_tEEE10hipError_tPvRmT1_PNSt15iterator_traitsISY_E10value_typeET2_T3_PNSZ_IS14_E10value_typeET4_jRbjT5_S1A_jjP12ihipStream_tbEUljE_EEESV_SW_SX_S14_S18_S1A_T6_T7_T9_mT8_S1C_bDpT10_ENKUlT_T0_E_clISt17integral_constantIbLb1EES1O_IbLb0EEEEDaS1K_S1L_EUlS1K_E_NS1_11comp_targetILNS1_3genE10ELNS1_11target_archE1200ELNS1_3gpuE4ELNS1_3repE0EEENS1_30default_config_static_selectorELNS0_4arch9wavefront6targetE0EEEvSY_,comdat
.Lfunc_end1615:
	.size	_ZN7rocprim17ROCPRIM_400000_NS6detail17trampoline_kernelINS0_13select_configILj256ELj13ELNS0_17block_load_methodE3ELS4_3ELS4_3ELNS0_20block_scan_algorithmE0ELj4294967295EEENS1_25partition_config_selectorILNS1_17partition_subalgoE3EjNS0_10empty_typeEbEEZZNS1_14partition_implILS8_3ELb0ES6_jNS0_17counting_iteratorIjlEEPS9_SE_NS0_5tupleIJPjSE_EEENSF_IJSE_SE_EEES9_SG_JZNS1_25segmented_radix_sort_implINS0_14default_configELb0EPKbPbPKlPlN2at6native12_GLOBAL__N_18offset_tEEE10hipError_tPvRmT1_PNSt15iterator_traitsISY_E10value_typeET2_T3_PNSZ_IS14_E10value_typeET4_jRbjT5_S1A_jjP12ihipStream_tbEUljE_EEESV_SW_SX_S14_S18_S1A_T6_T7_T9_mT8_S1C_bDpT10_ENKUlT_T0_E_clISt17integral_constantIbLb1EES1O_IbLb0EEEEDaS1K_S1L_EUlS1K_E_NS1_11comp_targetILNS1_3genE10ELNS1_11target_archE1200ELNS1_3gpuE4ELNS1_3repE0EEENS1_30default_config_static_selectorELNS0_4arch9wavefront6targetE0EEEvSY_, .Lfunc_end1615-_ZN7rocprim17ROCPRIM_400000_NS6detail17trampoline_kernelINS0_13select_configILj256ELj13ELNS0_17block_load_methodE3ELS4_3ELS4_3ELNS0_20block_scan_algorithmE0ELj4294967295EEENS1_25partition_config_selectorILNS1_17partition_subalgoE3EjNS0_10empty_typeEbEEZZNS1_14partition_implILS8_3ELb0ES6_jNS0_17counting_iteratorIjlEEPS9_SE_NS0_5tupleIJPjSE_EEENSF_IJSE_SE_EEES9_SG_JZNS1_25segmented_radix_sort_implINS0_14default_configELb0EPKbPbPKlPlN2at6native12_GLOBAL__N_18offset_tEEE10hipError_tPvRmT1_PNSt15iterator_traitsISY_E10value_typeET2_T3_PNSZ_IS14_E10value_typeET4_jRbjT5_S1A_jjP12ihipStream_tbEUljE_EEESV_SW_SX_S14_S18_S1A_T6_T7_T9_mT8_S1C_bDpT10_ENKUlT_T0_E_clISt17integral_constantIbLb1EES1O_IbLb0EEEEDaS1K_S1L_EUlS1K_E_NS1_11comp_targetILNS1_3genE10ELNS1_11target_archE1200ELNS1_3gpuE4ELNS1_3repE0EEENS1_30default_config_static_selectorELNS0_4arch9wavefront6targetE0EEEvSY_
                                        ; -- End function
	.set _ZN7rocprim17ROCPRIM_400000_NS6detail17trampoline_kernelINS0_13select_configILj256ELj13ELNS0_17block_load_methodE3ELS4_3ELS4_3ELNS0_20block_scan_algorithmE0ELj4294967295EEENS1_25partition_config_selectorILNS1_17partition_subalgoE3EjNS0_10empty_typeEbEEZZNS1_14partition_implILS8_3ELb0ES6_jNS0_17counting_iteratorIjlEEPS9_SE_NS0_5tupleIJPjSE_EEENSF_IJSE_SE_EEES9_SG_JZNS1_25segmented_radix_sort_implINS0_14default_configELb0EPKbPbPKlPlN2at6native12_GLOBAL__N_18offset_tEEE10hipError_tPvRmT1_PNSt15iterator_traitsISY_E10value_typeET2_T3_PNSZ_IS14_E10value_typeET4_jRbjT5_S1A_jjP12ihipStream_tbEUljE_EEESV_SW_SX_S14_S18_S1A_T6_T7_T9_mT8_S1C_bDpT10_ENKUlT_T0_E_clISt17integral_constantIbLb1EES1O_IbLb0EEEEDaS1K_S1L_EUlS1K_E_NS1_11comp_targetILNS1_3genE10ELNS1_11target_archE1200ELNS1_3gpuE4ELNS1_3repE0EEENS1_30default_config_static_selectorELNS0_4arch9wavefront6targetE0EEEvSY_.num_vgpr, 0
	.set _ZN7rocprim17ROCPRIM_400000_NS6detail17trampoline_kernelINS0_13select_configILj256ELj13ELNS0_17block_load_methodE3ELS4_3ELS4_3ELNS0_20block_scan_algorithmE0ELj4294967295EEENS1_25partition_config_selectorILNS1_17partition_subalgoE3EjNS0_10empty_typeEbEEZZNS1_14partition_implILS8_3ELb0ES6_jNS0_17counting_iteratorIjlEEPS9_SE_NS0_5tupleIJPjSE_EEENSF_IJSE_SE_EEES9_SG_JZNS1_25segmented_radix_sort_implINS0_14default_configELb0EPKbPbPKlPlN2at6native12_GLOBAL__N_18offset_tEEE10hipError_tPvRmT1_PNSt15iterator_traitsISY_E10value_typeET2_T3_PNSZ_IS14_E10value_typeET4_jRbjT5_S1A_jjP12ihipStream_tbEUljE_EEESV_SW_SX_S14_S18_S1A_T6_T7_T9_mT8_S1C_bDpT10_ENKUlT_T0_E_clISt17integral_constantIbLb1EES1O_IbLb0EEEEDaS1K_S1L_EUlS1K_E_NS1_11comp_targetILNS1_3genE10ELNS1_11target_archE1200ELNS1_3gpuE4ELNS1_3repE0EEENS1_30default_config_static_selectorELNS0_4arch9wavefront6targetE0EEEvSY_.num_agpr, 0
	.set _ZN7rocprim17ROCPRIM_400000_NS6detail17trampoline_kernelINS0_13select_configILj256ELj13ELNS0_17block_load_methodE3ELS4_3ELS4_3ELNS0_20block_scan_algorithmE0ELj4294967295EEENS1_25partition_config_selectorILNS1_17partition_subalgoE3EjNS0_10empty_typeEbEEZZNS1_14partition_implILS8_3ELb0ES6_jNS0_17counting_iteratorIjlEEPS9_SE_NS0_5tupleIJPjSE_EEENSF_IJSE_SE_EEES9_SG_JZNS1_25segmented_radix_sort_implINS0_14default_configELb0EPKbPbPKlPlN2at6native12_GLOBAL__N_18offset_tEEE10hipError_tPvRmT1_PNSt15iterator_traitsISY_E10value_typeET2_T3_PNSZ_IS14_E10value_typeET4_jRbjT5_S1A_jjP12ihipStream_tbEUljE_EEESV_SW_SX_S14_S18_S1A_T6_T7_T9_mT8_S1C_bDpT10_ENKUlT_T0_E_clISt17integral_constantIbLb1EES1O_IbLb0EEEEDaS1K_S1L_EUlS1K_E_NS1_11comp_targetILNS1_3genE10ELNS1_11target_archE1200ELNS1_3gpuE4ELNS1_3repE0EEENS1_30default_config_static_selectorELNS0_4arch9wavefront6targetE0EEEvSY_.numbered_sgpr, 0
	.set _ZN7rocprim17ROCPRIM_400000_NS6detail17trampoline_kernelINS0_13select_configILj256ELj13ELNS0_17block_load_methodE3ELS4_3ELS4_3ELNS0_20block_scan_algorithmE0ELj4294967295EEENS1_25partition_config_selectorILNS1_17partition_subalgoE3EjNS0_10empty_typeEbEEZZNS1_14partition_implILS8_3ELb0ES6_jNS0_17counting_iteratorIjlEEPS9_SE_NS0_5tupleIJPjSE_EEENSF_IJSE_SE_EEES9_SG_JZNS1_25segmented_radix_sort_implINS0_14default_configELb0EPKbPbPKlPlN2at6native12_GLOBAL__N_18offset_tEEE10hipError_tPvRmT1_PNSt15iterator_traitsISY_E10value_typeET2_T3_PNSZ_IS14_E10value_typeET4_jRbjT5_S1A_jjP12ihipStream_tbEUljE_EEESV_SW_SX_S14_S18_S1A_T6_T7_T9_mT8_S1C_bDpT10_ENKUlT_T0_E_clISt17integral_constantIbLb1EES1O_IbLb0EEEEDaS1K_S1L_EUlS1K_E_NS1_11comp_targetILNS1_3genE10ELNS1_11target_archE1200ELNS1_3gpuE4ELNS1_3repE0EEENS1_30default_config_static_selectorELNS0_4arch9wavefront6targetE0EEEvSY_.num_named_barrier, 0
	.set _ZN7rocprim17ROCPRIM_400000_NS6detail17trampoline_kernelINS0_13select_configILj256ELj13ELNS0_17block_load_methodE3ELS4_3ELS4_3ELNS0_20block_scan_algorithmE0ELj4294967295EEENS1_25partition_config_selectorILNS1_17partition_subalgoE3EjNS0_10empty_typeEbEEZZNS1_14partition_implILS8_3ELb0ES6_jNS0_17counting_iteratorIjlEEPS9_SE_NS0_5tupleIJPjSE_EEENSF_IJSE_SE_EEES9_SG_JZNS1_25segmented_radix_sort_implINS0_14default_configELb0EPKbPbPKlPlN2at6native12_GLOBAL__N_18offset_tEEE10hipError_tPvRmT1_PNSt15iterator_traitsISY_E10value_typeET2_T3_PNSZ_IS14_E10value_typeET4_jRbjT5_S1A_jjP12ihipStream_tbEUljE_EEESV_SW_SX_S14_S18_S1A_T6_T7_T9_mT8_S1C_bDpT10_ENKUlT_T0_E_clISt17integral_constantIbLb1EES1O_IbLb0EEEEDaS1K_S1L_EUlS1K_E_NS1_11comp_targetILNS1_3genE10ELNS1_11target_archE1200ELNS1_3gpuE4ELNS1_3repE0EEENS1_30default_config_static_selectorELNS0_4arch9wavefront6targetE0EEEvSY_.private_seg_size, 0
	.set _ZN7rocprim17ROCPRIM_400000_NS6detail17trampoline_kernelINS0_13select_configILj256ELj13ELNS0_17block_load_methodE3ELS4_3ELS4_3ELNS0_20block_scan_algorithmE0ELj4294967295EEENS1_25partition_config_selectorILNS1_17partition_subalgoE3EjNS0_10empty_typeEbEEZZNS1_14partition_implILS8_3ELb0ES6_jNS0_17counting_iteratorIjlEEPS9_SE_NS0_5tupleIJPjSE_EEENSF_IJSE_SE_EEES9_SG_JZNS1_25segmented_radix_sort_implINS0_14default_configELb0EPKbPbPKlPlN2at6native12_GLOBAL__N_18offset_tEEE10hipError_tPvRmT1_PNSt15iterator_traitsISY_E10value_typeET2_T3_PNSZ_IS14_E10value_typeET4_jRbjT5_S1A_jjP12ihipStream_tbEUljE_EEESV_SW_SX_S14_S18_S1A_T6_T7_T9_mT8_S1C_bDpT10_ENKUlT_T0_E_clISt17integral_constantIbLb1EES1O_IbLb0EEEEDaS1K_S1L_EUlS1K_E_NS1_11comp_targetILNS1_3genE10ELNS1_11target_archE1200ELNS1_3gpuE4ELNS1_3repE0EEENS1_30default_config_static_selectorELNS0_4arch9wavefront6targetE0EEEvSY_.uses_vcc, 0
	.set _ZN7rocprim17ROCPRIM_400000_NS6detail17trampoline_kernelINS0_13select_configILj256ELj13ELNS0_17block_load_methodE3ELS4_3ELS4_3ELNS0_20block_scan_algorithmE0ELj4294967295EEENS1_25partition_config_selectorILNS1_17partition_subalgoE3EjNS0_10empty_typeEbEEZZNS1_14partition_implILS8_3ELb0ES6_jNS0_17counting_iteratorIjlEEPS9_SE_NS0_5tupleIJPjSE_EEENSF_IJSE_SE_EEES9_SG_JZNS1_25segmented_radix_sort_implINS0_14default_configELb0EPKbPbPKlPlN2at6native12_GLOBAL__N_18offset_tEEE10hipError_tPvRmT1_PNSt15iterator_traitsISY_E10value_typeET2_T3_PNSZ_IS14_E10value_typeET4_jRbjT5_S1A_jjP12ihipStream_tbEUljE_EEESV_SW_SX_S14_S18_S1A_T6_T7_T9_mT8_S1C_bDpT10_ENKUlT_T0_E_clISt17integral_constantIbLb1EES1O_IbLb0EEEEDaS1K_S1L_EUlS1K_E_NS1_11comp_targetILNS1_3genE10ELNS1_11target_archE1200ELNS1_3gpuE4ELNS1_3repE0EEENS1_30default_config_static_selectorELNS0_4arch9wavefront6targetE0EEEvSY_.uses_flat_scratch, 0
	.set _ZN7rocprim17ROCPRIM_400000_NS6detail17trampoline_kernelINS0_13select_configILj256ELj13ELNS0_17block_load_methodE3ELS4_3ELS4_3ELNS0_20block_scan_algorithmE0ELj4294967295EEENS1_25partition_config_selectorILNS1_17partition_subalgoE3EjNS0_10empty_typeEbEEZZNS1_14partition_implILS8_3ELb0ES6_jNS0_17counting_iteratorIjlEEPS9_SE_NS0_5tupleIJPjSE_EEENSF_IJSE_SE_EEES9_SG_JZNS1_25segmented_radix_sort_implINS0_14default_configELb0EPKbPbPKlPlN2at6native12_GLOBAL__N_18offset_tEEE10hipError_tPvRmT1_PNSt15iterator_traitsISY_E10value_typeET2_T3_PNSZ_IS14_E10value_typeET4_jRbjT5_S1A_jjP12ihipStream_tbEUljE_EEESV_SW_SX_S14_S18_S1A_T6_T7_T9_mT8_S1C_bDpT10_ENKUlT_T0_E_clISt17integral_constantIbLb1EES1O_IbLb0EEEEDaS1K_S1L_EUlS1K_E_NS1_11comp_targetILNS1_3genE10ELNS1_11target_archE1200ELNS1_3gpuE4ELNS1_3repE0EEENS1_30default_config_static_selectorELNS0_4arch9wavefront6targetE0EEEvSY_.has_dyn_sized_stack, 0
	.set _ZN7rocprim17ROCPRIM_400000_NS6detail17trampoline_kernelINS0_13select_configILj256ELj13ELNS0_17block_load_methodE3ELS4_3ELS4_3ELNS0_20block_scan_algorithmE0ELj4294967295EEENS1_25partition_config_selectorILNS1_17partition_subalgoE3EjNS0_10empty_typeEbEEZZNS1_14partition_implILS8_3ELb0ES6_jNS0_17counting_iteratorIjlEEPS9_SE_NS0_5tupleIJPjSE_EEENSF_IJSE_SE_EEES9_SG_JZNS1_25segmented_radix_sort_implINS0_14default_configELb0EPKbPbPKlPlN2at6native12_GLOBAL__N_18offset_tEEE10hipError_tPvRmT1_PNSt15iterator_traitsISY_E10value_typeET2_T3_PNSZ_IS14_E10value_typeET4_jRbjT5_S1A_jjP12ihipStream_tbEUljE_EEESV_SW_SX_S14_S18_S1A_T6_T7_T9_mT8_S1C_bDpT10_ENKUlT_T0_E_clISt17integral_constantIbLb1EES1O_IbLb0EEEEDaS1K_S1L_EUlS1K_E_NS1_11comp_targetILNS1_3genE10ELNS1_11target_archE1200ELNS1_3gpuE4ELNS1_3repE0EEENS1_30default_config_static_selectorELNS0_4arch9wavefront6targetE0EEEvSY_.has_recursion, 0
	.set _ZN7rocprim17ROCPRIM_400000_NS6detail17trampoline_kernelINS0_13select_configILj256ELj13ELNS0_17block_load_methodE3ELS4_3ELS4_3ELNS0_20block_scan_algorithmE0ELj4294967295EEENS1_25partition_config_selectorILNS1_17partition_subalgoE3EjNS0_10empty_typeEbEEZZNS1_14partition_implILS8_3ELb0ES6_jNS0_17counting_iteratorIjlEEPS9_SE_NS0_5tupleIJPjSE_EEENSF_IJSE_SE_EEES9_SG_JZNS1_25segmented_radix_sort_implINS0_14default_configELb0EPKbPbPKlPlN2at6native12_GLOBAL__N_18offset_tEEE10hipError_tPvRmT1_PNSt15iterator_traitsISY_E10value_typeET2_T3_PNSZ_IS14_E10value_typeET4_jRbjT5_S1A_jjP12ihipStream_tbEUljE_EEESV_SW_SX_S14_S18_S1A_T6_T7_T9_mT8_S1C_bDpT10_ENKUlT_T0_E_clISt17integral_constantIbLb1EES1O_IbLb0EEEEDaS1K_S1L_EUlS1K_E_NS1_11comp_targetILNS1_3genE10ELNS1_11target_archE1200ELNS1_3gpuE4ELNS1_3repE0EEENS1_30default_config_static_selectorELNS0_4arch9wavefront6targetE0EEEvSY_.has_indirect_call, 0
	.section	.AMDGPU.csdata,"",@progbits
; Kernel info:
; codeLenInByte = 0
; TotalNumSgprs: 0
; NumVgprs: 0
; ScratchSize: 0
; MemoryBound: 0
; FloatMode: 240
; IeeeMode: 1
; LDSByteSize: 0 bytes/workgroup (compile time only)
; SGPRBlocks: 0
; VGPRBlocks: 0
; NumSGPRsForWavesPerEU: 1
; NumVGPRsForWavesPerEU: 1
; NamedBarCnt: 0
; Occupancy: 16
; WaveLimiterHint : 0
; COMPUTE_PGM_RSRC2:SCRATCH_EN: 0
; COMPUTE_PGM_RSRC2:USER_SGPR: 2
; COMPUTE_PGM_RSRC2:TRAP_HANDLER: 0
; COMPUTE_PGM_RSRC2:TGID_X_EN: 1
; COMPUTE_PGM_RSRC2:TGID_Y_EN: 0
; COMPUTE_PGM_RSRC2:TGID_Z_EN: 0
; COMPUTE_PGM_RSRC2:TIDIG_COMP_CNT: 0
	.section	.text._ZN7rocprim17ROCPRIM_400000_NS6detail17trampoline_kernelINS0_13select_configILj256ELj13ELNS0_17block_load_methodE3ELS4_3ELS4_3ELNS0_20block_scan_algorithmE0ELj4294967295EEENS1_25partition_config_selectorILNS1_17partition_subalgoE3EjNS0_10empty_typeEbEEZZNS1_14partition_implILS8_3ELb0ES6_jNS0_17counting_iteratorIjlEEPS9_SE_NS0_5tupleIJPjSE_EEENSF_IJSE_SE_EEES9_SG_JZNS1_25segmented_radix_sort_implINS0_14default_configELb0EPKbPbPKlPlN2at6native12_GLOBAL__N_18offset_tEEE10hipError_tPvRmT1_PNSt15iterator_traitsISY_E10value_typeET2_T3_PNSZ_IS14_E10value_typeET4_jRbjT5_S1A_jjP12ihipStream_tbEUljE_EEESV_SW_SX_S14_S18_S1A_T6_T7_T9_mT8_S1C_bDpT10_ENKUlT_T0_E_clISt17integral_constantIbLb1EES1O_IbLb0EEEEDaS1K_S1L_EUlS1K_E_NS1_11comp_targetILNS1_3genE9ELNS1_11target_archE1100ELNS1_3gpuE3ELNS1_3repE0EEENS1_30default_config_static_selectorELNS0_4arch9wavefront6targetE0EEEvSY_,"axG",@progbits,_ZN7rocprim17ROCPRIM_400000_NS6detail17trampoline_kernelINS0_13select_configILj256ELj13ELNS0_17block_load_methodE3ELS4_3ELS4_3ELNS0_20block_scan_algorithmE0ELj4294967295EEENS1_25partition_config_selectorILNS1_17partition_subalgoE3EjNS0_10empty_typeEbEEZZNS1_14partition_implILS8_3ELb0ES6_jNS0_17counting_iteratorIjlEEPS9_SE_NS0_5tupleIJPjSE_EEENSF_IJSE_SE_EEES9_SG_JZNS1_25segmented_radix_sort_implINS0_14default_configELb0EPKbPbPKlPlN2at6native12_GLOBAL__N_18offset_tEEE10hipError_tPvRmT1_PNSt15iterator_traitsISY_E10value_typeET2_T3_PNSZ_IS14_E10value_typeET4_jRbjT5_S1A_jjP12ihipStream_tbEUljE_EEESV_SW_SX_S14_S18_S1A_T6_T7_T9_mT8_S1C_bDpT10_ENKUlT_T0_E_clISt17integral_constantIbLb1EES1O_IbLb0EEEEDaS1K_S1L_EUlS1K_E_NS1_11comp_targetILNS1_3genE9ELNS1_11target_archE1100ELNS1_3gpuE3ELNS1_3repE0EEENS1_30default_config_static_selectorELNS0_4arch9wavefront6targetE0EEEvSY_,comdat
	.globl	_ZN7rocprim17ROCPRIM_400000_NS6detail17trampoline_kernelINS0_13select_configILj256ELj13ELNS0_17block_load_methodE3ELS4_3ELS4_3ELNS0_20block_scan_algorithmE0ELj4294967295EEENS1_25partition_config_selectorILNS1_17partition_subalgoE3EjNS0_10empty_typeEbEEZZNS1_14partition_implILS8_3ELb0ES6_jNS0_17counting_iteratorIjlEEPS9_SE_NS0_5tupleIJPjSE_EEENSF_IJSE_SE_EEES9_SG_JZNS1_25segmented_radix_sort_implINS0_14default_configELb0EPKbPbPKlPlN2at6native12_GLOBAL__N_18offset_tEEE10hipError_tPvRmT1_PNSt15iterator_traitsISY_E10value_typeET2_T3_PNSZ_IS14_E10value_typeET4_jRbjT5_S1A_jjP12ihipStream_tbEUljE_EEESV_SW_SX_S14_S18_S1A_T6_T7_T9_mT8_S1C_bDpT10_ENKUlT_T0_E_clISt17integral_constantIbLb1EES1O_IbLb0EEEEDaS1K_S1L_EUlS1K_E_NS1_11comp_targetILNS1_3genE9ELNS1_11target_archE1100ELNS1_3gpuE3ELNS1_3repE0EEENS1_30default_config_static_selectorELNS0_4arch9wavefront6targetE0EEEvSY_ ; -- Begin function _ZN7rocprim17ROCPRIM_400000_NS6detail17trampoline_kernelINS0_13select_configILj256ELj13ELNS0_17block_load_methodE3ELS4_3ELS4_3ELNS0_20block_scan_algorithmE0ELj4294967295EEENS1_25partition_config_selectorILNS1_17partition_subalgoE3EjNS0_10empty_typeEbEEZZNS1_14partition_implILS8_3ELb0ES6_jNS0_17counting_iteratorIjlEEPS9_SE_NS0_5tupleIJPjSE_EEENSF_IJSE_SE_EEES9_SG_JZNS1_25segmented_radix_sort_implINS0_14default_configELb0EPKbPbPKlPlN2at6native12_GLOBAL__N_18offset_tEEE10hipError_tPvRmT1_PNSt15iterator_traitsISY_E10value_typeET2_T3_PNSZ_IS14_E10value_typeET4_jRbjT5_S1A_jjP12ihipStream_tbEUljE_EEESV_SW_SX_S14_S18_S1A_T6_T7_T9_mT8_S1C_bDpT10_ENKUlT_T0_E_clISt17integral_constantIbLb1EES1O_IbLb0EEEEDaS1K_S1L_EUlS1K_E_NS1_11comp_targetILNS1_3genE9ELNS1_11target_archE1100ELNS1_3gpuE3ELNS1_3repE0EEENS1_30default_config_static_selectorELNS0_4arch9wavefront6targetE0EEEvSY_
	.p2align	8
	.type	_ZN7rocprim17ROCPRIM_400000_NS6detail17trampoline_kernelINS0_13select_configILj256ELj13ELNS0_17block_load_methodE3ELS4_3ELS4_3ELNS0_20block_scan_algorithmE0ELj4294967295EEENS1_25partition_config_selectorILNS1_17partition_subalgoE3EjNS0_10empty_typeEbEEZZNS1_14partition_implILS8_3ELb0ES6_jNS0_17counting_iteratorIjlEEPS9_SE_NS0_5tupleIJPjSE_EEENSF_IJSE_SE_EEES9_SG_JZNS1_25segmented_radix_sort_implINS0_14default_configELb0EPKbPbPKlPlN2at6native12_GLOBAL__N_18offset_tEEE10hipError_tPvRmT1_PNSt15iterator_traitsISY_E10value_typeET2_T3_PNSZ_IS14_E10value_typeET4_jRbjT5_S1A_jjP12ihipStream_tbEUljE_EEESV_SW_SX_S14_S18_S1A_T6_T7_T9_mT8_S1C_bDpT10_ENKUlT_T0_E_clISt17integral_constantIbLb1EES1O_IbLb0EEEEDaS1K_S1L_EUlS1K_E_NS1_11comp_targetILNS1_3genE9ELNS1_11target_archE1100ELNS1_3gpuE3ELNS1_3repE0EEENS1_30default_config_static_selectorELNS0_4arch9wavefront6targetE0EEEvSY_,@function
_ZN7rocprim17ROCPRIM_400000_NS6detail17trampoline_kernelINS0_13select_configILj256ELj13ELNS0_17block_load_methodE3ELS4_3ELS4_3ELNS0_20block_scan_algorithmE0ELj4294967295EEENS1_25partition_config_selectorILNS1_17partition_subalgoE3EjNS0_10empty_typeEbEEZZNS1_14partition_implILS8_3ELb0ES6_jNS0_17counting_iteratorIjlEEPS9_SE_NS0_5tupleIJPjSE_EEENSF_IJSE_SE_EEES9_SG_JZNS1_25segmented_radix_sort_implINS0_14default_configELb0EPKbPbPKlPlN2at6native12_GLOBAL__N_18offset_tEEE10hipError_tPvRmT1_PNSt15iterator_traitsISY_E10value_typeET2_T3_PNSZ_IS14_E10value_typeET4_jRbjT5_S1A_jjP12ihipStream_tbEUljE_EEESV_SW_SX_S14_S18_S1A_T6_T7_T9_mT8_S1C_bDpT10_ENKUlT_T0_E_clISt17integral_constantIbLb1EES1O_IbLb0EEEEDaS1K_S1L_EUlS1K_E_NS1_11comp_targetILNS1_3genE9ELNS1_11target_archE1100ELNS1_3gpuE3ELNS1_3repE0EEENS1_30default_config_static_selectorELNS0_4arch9wavefront6targetE0EEEvSY_: ; @_ZN7rocprim17ROCPRIM_400000_NS6detail17trampoline_kernelINS0_13select_configILj256ELj13ELNS0_17block_load_methodE3ELS4_3ELS4_3ELNS0_20block_scan_algorithmE0ELj4294967295EEENS1_25partition_config_selectorILNS1_17partition_subalgoE3EjNS0_10empty_typeEbEEZZNS1_14partition_implILS8_3ELb0ES6_jNS0_17counting_iteratorIjlEEPS9_SE_NS0_5tupleIJPjSE_EEENSF_IJSE_SE_EEES9_SG_JZNS1_25segmented_radix_sort_implINS0_14default_configELb0EPKbPbPKlPlN2at6native12_GLOBAL__N_18offset_tEEE10hipError_tPvRmT1_PNSt15iterator_traitsISY_E10value_typeET2_T3_PNSZ_IS14_E10value_typeET4_jRbjT5_S1A_jjP12ihipStream_tbEUljE_EEESV_SW_SX_S14_S18_S1A_T6_T7_T9_mT8_S1C_bDpT10_ENKUlT_T0_E_clISt17integral_constantIbLb1EES1O_IbLb0EEEEDaS1K_S1L_EUlS1K_E_NS1_11comp_targetILNS1_3genE9ELNS1_11target_archE1100ELNS1_3gpuE3ELNS1_3repE0EEENS1_30default_config_static_selectorELNS0_4arch9wavefront6targetE0EEEvSY_
; %bb.0:
	.section	.rodata,"a",@progbits
	.p2align	6, 0x0
	.amdhsa_kernel _ZN7rocprim17ROCPRIM_400000_NS6detail17trampoline_kernelINS0_13select_configILj256ELj13ELNS0_17block_load_methodE3ELS4_3ELS4_3ELNS0_20block_scan_algorithmE0ELj4294967295EEENS1_25partition_config_selectorILNS1_17partition_subalgoE3EjNS0_10empty_typeEbEEZZNS1_14partition_implILS8_3ELb0ES6_jNS0_17counting_iteratorIjlEEPS9_SE_NS0_5tupleIJPjSE_EEENSF_IJSE_SE_EEES9_SG_JZNS1_25segmented_radix_sort_implINS0_14default_configELb0EPKbPbPKlPlN2at6native12_GLOBAL__N_18offset_tEEE10hipError_tPvRmT1_PNSt15iterator_traitsISY_E10value_typeET2_T3_PNSZ_IS14_E10value_typeET4_jRbjT5_S1A_jjP12ihipStream_tbEUljE_EEESV_SW_SX_S14_S18_S1A_T6_T7_T9_mT8_S1C_bDpT10_ENKUlT_T0_E_clISt17integral_constantIbLb1EES1O_IbLb0EEEEDaS1K_S1L_EUlS1K_E_NS1_11comp_targetILNS1_3genE9ELNS1_11target_archE1100ELNS1_3gpuE3ELNS1_3repE0EEENS1_30default_config_static_selectorELNS0_4arch9wavefront6targetE0EEEvSY_
		.amdhsa_group_segment_fixed_size 0
		.amdhsa_private_segment_fixed_size 0
		.amdhsa_kernarg_size 144
		.amdhsa_user_sgpr_count 2
		.amdhsa_user_sgpr_dispatch_ptr 0
		.amdhsa_user_sgpr_queue_ptr 0
		.amdhsa_user_sgpr_kernarg_segment_ptr 1
		.amdhsa_user_sgpr_dispatch_id 0
		.amdhsa_user_sgpr_kernarg_preload_length 0
		.amdhsa_user_sgpr_kernarg_preload_offset 0
		.amdhsa_user_sgpr_private_segment_size 0
		.amdhsa_wavefront_size32 1
		.amdhsa_uses_dynamic_stack 0
		.amdhsa_enable_private_segment 0
		.amdhsa_system_sgpr_workgroup_id_x 1
		.amdhsa_system_sgpr_workgroup_id_y 0
		.amdhsa_system_sgpr_workgroup_id_z 0
		.amdhsa_system_sgpr_workgroup_info 0
		.amdhsa_system_vgpr_workitem_id 0
		.amdhsa_next_free_vgpr 1
		.amdhsa_next_free_sgpr 1
		.amdhsa_named_barrier_count 0
		.amdhsa_reserve_vcc 0
		.amdhsa_float_round_mode_32 0
		.amdhsa_float_round_mode_16_64 0
		.amdhsa_float_denorm_mode_32 3
		.amdhsa_float_denorm_mode_16_64 3
		.amdhsa_fp16_overflow 0
		.amdhsa_memory_ordered 1
		.amdhsa_forward_progress 1
		.amdhsa_inst_pref_size 0
		.amdhsa_round_robin_scheduling 0
		.amdhsa_exception_fp_ieee_invalid_op 0
		.amdhsa_exception_fp_denorm_src 0
		.amdhsa_exception_fp_ieee_div_zero 0
		.amdhsa_exception_fp_ieee_overflow 0
		.amdhsa_exception_fp_ieee_underflow 0
		.amdhsa_exception_fp_ieee_inexact 0
		.amdhsa_exception_int_div_zero 0
	.end_amdhsa_kernel
	.section	.text._ZN7rocprim17ROCPRIM_400000_NS6detail17trampoline_kernelINS0_13select_configILj256ELj13ELNS0_17block_load_methodE3ELS4_3ELS4_3ELNS0_20block_scan_algorithmE0ELj4294967295EEENS1_25partition_config_selectorILNS1_17partition_subalgoE3EjNS0_10empty_typeEbEEZZNS1_14partition_implILS8_3ELb0ES6_jNS0_17counting_iteratorIjlEEPS9_SE_NS0_5tupleIJPjSE_EEENSF_IJSE_SE_EEES9_SG_JZNS1_25segmented_radix_sort_implINS0_14default_configELb0EPKbPbPKlPlN2at6native12_GLOBAL__N_18offset_tEEE10hipError_tPvRmT1_PNSt15iterator_traitsISY_E10value_typeET2_T3_PNSZ_IS14_E10value_typeET4_jRbjT5_S1A_jjP12ihipStream_tbEUljE_EEESV_SW_SX_S14_S18_S1A_T6_T7_T9_mT8_S1C_bDpT10_ENKUlT_T0_E_clISt17integral_constantIbLb1EES1O_IbLb0EEEEDaS1K_S1L_EUlS1K_E_NS1_11comp_targetILNS1_3genE9ELNS1_11target_archE1100ELNS1_3gpuE3ELNS1_3repE0EEENS1_30default_config_static_selectorELNS0_4arch9wavefront6targetE0EEEvSY_,"axG",@progbits,_ZN7rocprim17ROCPRIM_400000_NS6detail17trampoline_kernelINS0_13select_configILj256ELj13ELNS0_17block_load_methodE3ELS4_3ELS4_3ELNS0_20block_scan_algorithmE0ELj4294967295EEENS1_25partition_config_selectorILNS1_17partition_subalgoE3EjNS0_10empty_typeEbEEZZNS1_14partition_implILS8_3ELb0ES6_jNS0_17counting_iteratorIjlEEPS9_SE_NS0_5tupleIJPjSE_EEENSF_IJSE_SE_EEES9_SG_JZNS1_25segmented_radix_sort_implINS0_14default_configELb0EPKbPbPKlPlN2at6native12_GLOBAL__N_18offset_tEEE10hipError_tPvRmT1_PNSt15iterator_traitsISY_E10value_typeET2_T3_PNSZ_IS14_E10value_typeET4_jRbjT5_S1A_jjP12ihipStream_tbEUljE_EEESV_SW_SX_S14_S18_S1A_T6_T7_T9_mT8_S1C_bDpT10_ENKUlT_T0_E_clISt17integral_constantIbLb1EES1O_IbLb0EEEEDaS1K_S1L_EUlS1K_E_NS1_11comp_targetILNS1_3genE9ELNS1_11target_archE1100ELNS1_3gpuE3ELNS1_3repE0EEENS1_30default_config_static_selectorELNS0_4arch9wavefront6targetE0EEEvSY_,comdat
.Lfunc_end1616:
	.size	_ZN7rocprim17ROCPRIM_400000_NS6detail17trampoline_kernelINS0_13select_configILj256ELj13ELNS0_17block_load_methodE3ELS4_3ELS4_3ELNS0_20block_scan_algorithmE0ELj4294967295EEENS1_25partition_config_selectorILNS1_17partition_subalgoE3EjNS0_10empty_typeEbEEZZNS1_14partition_implILS8_3ELb0ES6_jNS0_17counting_iteratorIjlEEPS9_SE_NS0_5tupleIJPjSE_EEENSF_IJSE_SE_EEES9_SG_JZNS1_25segmented_radix_sort_implINS0_14default_configELb0EPKbPbPKlPlN2at6native12_GLOBAL__N_18offset_tEEE10hipError_tPvRmT1_PNSt15iterator_traitsISY_E10value_typeET2_T3_PNSZ_IS14_E10value_typeET4_jRbjT5_S1A_jjP12ihipStream_tbEUljE_EEESV_SW_SX_S14_S18_S1A_T6_T7_T9_mT8_S1C_bDpT10_ENKUlT_T0_E_clISt17integral_constantIbLb1EES1O_IbLb0EEEEDaS1K_S1L_EUlS1K_E_NS1_11comp_targetILNS1_3genE9ELNS1_11target_archE1100ELNS1_3gpuE3ELNS1_3repE0EEENS1_30default_config_static_selectorELNS0_4arch9wavefront6targetE0EEEvSY_, .Lfunc_end1616-_ZN7rocprim17ROCPRIM_400000_NS6detail17trampoline_kernelINS0_13select_configILj256ELj13ELNS0_17block_load_methodE3ELS4_3ELS4_3ELNS0_20block_scan_algorithmE0ELj4294967295EEENS1_25partition_config_selectorILNS1_17partition_subalgoE3EjNS0_10empty_typeEbEEZZNS1_14partition_implILS8_3ELb0ES6_jNS0_17counting_iteratorIjlEEPS9_SE_NS0_5tupleIJPjSE_EEENSF_IJSE_SE_EEES9_SG_JZNS1_25segmented_radix_sort_implINS0_14default_configELb0EPKbPbPKlPlN2at6native12_GLOBAL__N_18offset_tEEE10hipError_tPvRmT1_PNSt15iterator_traitsISY_E10value_typeET2_T3_PNSZ_IS14_E10value_typeET4_jRbjT5_S1A_jjP12ihipStream_tbEUljE_EEESV_SW_SX_S14_S18_S1A_T6_T7_T9_mT8_S1C_bDpT10_ENKUlT_T0_E_clISt17integral_constantIbLb1EES1O_IbLb0EEEEDaS1K_S1L_EUlS1K_E_NS1_11comp_targetILNS1_3genE9ELNS1_11target_archE1100ELNS1_3gpuE3ELNS1_3repE0EEENS1_30default_config_static_selectorELNS0_4arch9wavefront6targetE0EEEvSY_
                                        ; -- End function
	.set _ZN7rocprim17ROCPRIM_400000_NS6detail17trampoline_kernelINS0_13select_configILj256ELj13ELNS0_17block_load_methodE3ELS4_3ELS4_3ELNS0_20block_scan_algorithmE0ELj4294967295EEENS1_25partition_config_selectorILNS1_17partition_subalgoE3EjNS0_10empty_typeEbEEZZNS1_14partition_implILS8_3ELb0ES6_jNS0_17counting_iteratorIjlEEPS9_SE_NS0_5tupleIJPjSE_EEENSF_IJSE_SE_EEES9_SG_JZNS1_25segmented_radix_sort_implINS0_14default_configELb0EPKbPbPKlPlN2at6native12_GLOBAL__N_18offset_tEEE10hipError_tPvRmT1_PNSt15iterator_traitsISY_E10value_typeET2_T3_PNSZ_IS14_E10value_typeET4_jRbjT5_S1A_jjP12ihipStream_tbEUljE_EEESV_SW_SX_S14_S18_S1A_T6_T7_T9_mT8_S1C_bDpT10_ENKUlT_T0_E_clISt17integral_constantIbLb1EES1O_IbLb0EEEEDaS1K_S1L_EUlS1K_E_NS1_11comp_targetILNS1_3genE9ELNS1_11target_archE1100ELNS1_3gpuE3ELNS1_3repE0EEENS1_30default_config_static_selectorELNS0_4arch9wavefront6targetE0EEEvSY_.num_vgpr, 0
	.set _ZN7rocprim17ROCPRIM_400000_NS6detail17trampoline_kernelINS0_13select_configILj256ELj13ELNS0_17block_load_methodE3ELS4_3ELS4_3ELNS0_20block_scan_algorithmE0ELj4294967295EEENS1_25partition_config_selectorILNS1_17partition_subalgoE3EjNS0_10empty_typeEbEEZZNS1_14partition_implILS8_3ELb0ES6_jNS0_17counting_iteratorIjlEEPS9_SE_NS0_5tupleIJPjSE_EEENSF_IJSE_SE_EEES9_SG_JZNS1_25segmented_radix_sort_implINS0_14default_configELb0EPKbPbPKlPlN2at6native12_GLOBAL__N_18offset_tEEE10hipError_tPvRmT1_PNSt15iterator_traitsISY_E10value_typeET2_T3_PNSZ_IS14_E10value_typeET4_jRbjT5_S1A_jjP12ihipStream_tbEUljE_EEESV_SW_SX_S14_S18_S1A_T6_T7_T9_mT8_S1C_bDpT10_ENKUlT_T0_E_clISt17integral_constantIbLb1EES1O_IbLb0EEEEDaS1K_S1L_EUlS1K_E_NS1_11comp_targetILNS1_3genE9ELNS1_11target_archE1100ELNS1_3gpuE3ELNS1_3repE0EEENS1_30default_config_static_selectorELNS0_4arch9wavefront6targetE0EEEvSY_.num_agpr, 0
	.set _ZN7rocprim17ROCPRIM_400000_NS6detail17trampoline_kernelINS0_13select_configILj256ELj13ELNS0_17block_load_methodE3ELS4_3ELS4_3ELNS0_20block_scan_algorithmE0ELj4294967295EEENS1_25partition_config_selectorILNS1_17partition_subalgoE3EjNS0_10empty_typeEbEEZZNS1_14partition_implILS8_3ELb0ES6_jNS0_17counting_iteratorIjlEEPS9_SE_NS0_5tupleIJPjSE_EEENSF_IJSE_SE_EEES9_SG_JZNS1_25segmented_radix_sort_implINS0_14default_configELb0EPKbPbPKlPlN2at6native12_GLOBAL__N_18offset_tEEE10hipError_tPvRmT1_PNSt15iterator_traitsISY_E10value_typeET2_T3_PNSZ_IS14_E10value_typeET4_jRbjT5_S1A_jjP12ihipStream_tbEUljE_EEESV_SW_SX_S14_S18_S1A_T6_T7_T9_mT8_S1C_bDpT10_ENKUlT_T0_E_clISt17integral_constantIbLb1EES1O_IbLb0EEEEDaS1K_S1L_EUlS1K_E_NS1_11comp_targetILNS1_3genE9ELNS1_11target_archE1100ELNS1_3gpuE3ELNS1_3repE0EEENS1_30default_config_static_selectorELNS0_4arch9wavefront6targetE0EEEvSY_.numbered_sgpr, 0
	.set _ZN7rocprim17ROCPRIM_400000_NS6detail17trampoline_kernelINS0_13select_configILj256ELj13ELNS0_17block_load_methodE3ELS4_3ELS4_3ELNS0_20block_scan_algorithmE0ELj4294967295EEENS1_25partition_config_selectorILNS1_17partition_subalgoE3EjNS0_10empty_typeEbEEZZNS1_14partition_implILS8_3ELb0ES6_jNS0_17counting_iteratorIjlEEPS9_SE_NS0_5tupleIJPjSE_EEENSF_IJSE_SE_EEES9_SG_JZNS1_25segmented_radix_sort_implINS0_14default_configELb0EPKbPbPKlPlN2at6native12_GLOBAL__N_18offset_tEEE10hipError_tPvRmT1_PNSt15iterator_traitsISY_E10value_typeET2_T3_PNSZ_IS14_E10value_typeET4_jRbjT5_S1A_jjP12ihipStream_tbEUljE_EEESV_SW_SX_S14_S18_S1A_T6_T7_T9_mT8_S1C_bDpT10_ENKUlT_T0_E_clISt17integral_constantIbLb1EES1O_IbLb0EEEEDaS1K_S1L_EUlS1K_E_NS1_11comp_targetILNS1_3genE9ELNS1_11target_archE1100ELNS1_3gpuE3ELNS1_3repE0EEENS1_30default_config_static_selectorELNS0_4arch9wavefront6targetE0EEEvSY_.num_named_barrier, 0
	.set _ZN7rocprim17ROCPRIM_400000_NS6detail17trampoline_kernelINS0_13select_configILj256ELj13ELNS0_17block_load_methodE3ELS4_3ELS4_3ELNS0_20block_scan_algorithmE0ELj4294967295EEENS1_25partition_config_selectorILNS1_17partition_subalgoE3EjNS0_10empty_typeEbEEZZNS1_14partition_implILS8_3ELb0ES6_jNS0_17counting_iteratorIjlEEPS9_SE_NS0_5tupleIJPjSE_EEENSF_IJSE_SE_EEES9_SG_JZNS1_25segmented_radix_sort_implINS0_14default_configELb0EPKbPbPKlPlN2at6native12_GLOBAL__N_18offset_tEEE10hipError_tPvRmT1_PNSt15iterator_traitsISY_E10value_typeET2_T3_PNSZ_IS14_E10value_typeET4_jRbjT5_S1A_jjP12ihipStream_tbEUljE_EEESV_SW_SX_S14_S18_S1A_T6_T7_T9_mT8_S1C_bDpT10_ENKUlT_T0_E_clISt17integral_constantIbLb1EES1O_IbLb0EEEEDaS1K_S1L_EUlS1K_E_NS1_11comp_targetILNS1_3genE9ELNS1_11target_archE1100ELNS1_3gpuE3ELNS1_3repE0EEENS1_30default_config_static_selectorELNS0_4arch9wavefront6targetE0EEEvSY_.private_seg_size, 0
	.set _ZN7rocprim17ROCPRIM_400000_NS6detail17trampoline_kernelINS0_13select_configILj256ELj13ELNS0_17block_load_methodE3ELS4_3ELS4_3ELNS0_20block_scan_algorithmE0ELj4294967295EEENS1_25partition_config_selectorILNS1_17partition_subalgoE3EjNS0_10empty_typeEbEEZZNS1_14partition_implILS8_3ELb0ES6_jNS0_17counting_iteratorIjlEEPS9_SE_NS0_5tupleIJPjSE_EEENSF_IJSE_SE_EEES9_SG_JZNS1_25segmented_radix_sort_implINS0_14default_configELb0EPKbPbPKlPlN2at6native12_GLOBAL__N_18offset_tEEE10hipError_tPvRmT1_PNSt15iterator_traitsISY_E10value_typeET2_T3_PNSZ_IS14_E10value_typeET4_jRbjT5_S1A_jjP12ihipStream_tbEUljE_EEESV_SW_SX_S14_S18_S1A_T6_T7_T9_mT8_S1C_bDpT10_ENKUlT_T0_E_clISt17integral_constantIbLb1EES1O_IbLb0EEEEDaS1K_S1L_EUlS1K_E_NS1_11comp_targetILNS1_3genE9ELNS1_11target_archE1100ELNS1_3gpuE3ELNS1_3repE0EEENS1_30default_config_static_selectorELNS0_4arch9wavefront6targetE0EEEvSY_.uses_vcc, 0
	.set _ZN7rocprim17ROCPRIM_400000_NS6detail17trampoline_kernelINS0_13select_configILj256ELj13ELNS0_17block_load_methodE3ELS4_3ELS4_3ELNS0_20block_scan_algorithmE0ELj4294967295EEENS1_25partition_config_selectorILNS1_17partition_subalgoE3EjNS0_10empty_typeEbEEZZNS1_14partition_implILS8_3ELb0ES6_jNS0_17counting_iteratorIjlEEPS9_SE_NS0_5tupleIJPjSE_EEENSF_IJSE_SE_EEES9_SG_JZNS1_25segmented_radix_sort_implINS0_14default_configELb0EPKbPbPKlPlN2at6native12_GLOBAL__N_18offset_tEEE10hipError_tPvRmT1_PNSt15iterator_traitsISY_E10value_typeET2_T3_PNSZ_IS14_E10value_typeET4_jRbjT5_S1A_jjP12ihipStream_tbEUljE_EEESV_SW_SX_S14_S18_S1A_T6_T7_T9_mT8_S1C_bDpT10_ENKUlT_T0_E_clISt17integral_constantIbLb1EES1O_IbLb0EEEEDaS1K_S1L_EUlS1K_E_NS1_11comp_targetILNS1_3genE9ELNS1_11target_archE1100ELNS1_3gpuE3ELNS1_3repE0EEENS1_30default_config_static_selectorELNS0_4arch9wavefront6targetE0EEEvSY_.uses_flat_scratch, 0
	.set _ZN7rocprim17ROCPRIM_400000_NS6detail17trampoline_kernelINS0_13select_configILj256ELj13ELNS0_17block_load_methodE3ELS4_3ELS4_3ELNS0_20block_scan_algorithmE0ELj4294967295EEENS1_25partition_config_selectorILNS1_17partition_subalgoE3EjNS0_10empty_typeEbEEZZNS1_14partition_implILS8_3ELb0ES6_jNS0_17counting_iteratorIjlEEPS9_SE_NS0_5tupleIJPjSE_EEENSF_IJSE_SE_EEES9_SG_JZNS1_25segmented_radix_sort_implINS0_14default_configELb0EPKbPbPKlPlN2at6native12_GLOBAL__N_18offset_tEEE10hipError_tPvRmT1_PNSt15iterator_traitsISY_E10value_typeET2_T3_PNSZ_IS14_E10value_typeET4_jRbjT5_S1A_jjP12ihipStream_tbEUljE_EEESV_SW_SX_S14_S18_S1A_T6_T7_T9_mT8_S1C_bDpT10_ENKUlT_T0_E_clISt17integral_constantIbLb1EES1O_IbLb0EEEEDaS1K_S1L_EUlS1K_E_NS1_11comp_targetILNS1_3genE9ELNS1_11target_archE1100ELNS1_3gpuE3ELNS1_3repE0EEENS1_30default_config_static_selectorELNS0_4arch9wavefront6targetE0EEEvSY_.has_dyn_sized_stack, 0
	.set _ZN7rocprim17ROCPRIM_400000_NS6detail17trampoline_kernelINS0_13select_configILj256ELj13ELNS0_17block_load_methodE3ELS4_3ELS4_3ELNS0_20block_scan_algorithmE0ELj4294967295EEENS1_25partition_config_selectorILNS1_17partition_subalgoE3EjNS0_10empty_typeEbEEZZNS1_14partition_implILS8_3ELb0ES6_jNS0_17counting_iteratorIjlEEPS9_SE_NS0_5tupleIJPjSE_EEENSF_IJSE_SE_EEES9_SG_JZNS1_25segmented_radix_sort_implINS0_14default_configELb0EPKbPbPKlPlN2at6native12_GLOBAL__N_18offset_tEEE10hipError_tPvRmT1_PNSt15iterator_traitsISY_E10value_typeET2_T3_PNSZ_IS14_E10value_typeET4_jRbjT5_S1A_jjP12ihipStream_tbEUljE_EEESV_SW_SX_S14_S18_S1A_T6_T7_T9_mT8_S1C_bDpT10_ENKUlT_T0_E_clISt17integral_constantIbLb1EES1O_IbLb0EEEEDaS1K_S1L_EUlS1K_E_NS1_11comp_targetILNS1_3genE9ELNS1_11target_archE1100ELNS1_3gpuE3ELNS1_3repE0EEENS1_30default_config_static_selectorELNS0_4arch9wavefront6targetE0EEEvSY_.has_recursion, 0
	.set _ZN7rocprim17ROCPRIM_400000_NS6detail17trampoline_kernelINS0_13select_configILj256ELj13ELNS0_17block_load_methodE3ELS4_3ELS4_3ELNS0_20block_scan_algorithmE0ELj4294967295EEENS1_25partition_config_selectorILNS1_17partition_subalgoE3EjNS0_10empty_typeEbEEZZNS1_14partition_implILS8_3ELb0ES6_jNS0_17counting_iteratorIjlEEPS9_SE_NS0_5tupleIJPjSE_EEENSF_IJSE_SE_EEES9_SG_JZNS1_25segmented_radix_sort_implINS0_14default_configELb0EPKbPbPKlPlN2at6native12_GLOBAL__N_18offset_tEEE10hipError_tPvRmT1_PNSt15iterator_traitsISY_E10value_typeET2_T3_PNSZ_IS14_E10value_typeET4_jRbjT5_S1A_jjP12ihipStream_tbEUljE_EEESV_SW_SX_S14_S18_S1A_T6_T7_T9_mT8_S1C_bDpT10_ENKUlT_T0_E_clISt17integral_constantIbLb1EES1O_IbLb0EEEEDaS1K_S1L_EUlS1K_E_NS1_11comp_targetILNS1_3genE9ELNS1_11target_archE1100ELNS1_3gpuE3ELNS1_3repE0EEENS1_30default_config_static_selectorELNS0_4arch9wavefront6targetE0EEEvSY_.has_indirect_call, 0
	.section	.AMDGPU.csdata,"",@progbits
; Kernel info:
; codeLenInByte = 0
; TotalNumSgprs: 0
; NumVgprs: 0
; ScratchSize: 0
; MemoryBound: 0
; FloatMode: 240
; IeeeMode: 1
; LDSByteSize: 0 bytes/workgroup (compile time only)
; SGPRBlocks: 0
; VGPRBlocks: 0
; NumSGPRsForWavesPerEU: 1
; NumVGPRsForWavesPerEU: 1
; NamedBarCnt: 0
; Occupancy: 16
; WaveLimiterHint : 0
; COMPUTE_PGM_RSRC2:SCRATCH_EN: 0
; COMPUTE_PGM_RSRC2:USER_SGPR: 2
; COMPUTE_PGM_RSRC2:TRAP_HANDLER: 0
; COMPUTE_PGM_RSRC2:TGID_X_EN: 1
; COMPUTE_PGM_RSRC2:TGID_Y_EN: 0
; COMPUTE_PGM_RSRC2:TGID_Z_EN: 0
; COMPUTE_PGM_RSRC2:TIDIG_COMP_CNT: 0
	.section	.text._ZN7rocprim17ROCPRIM_400000_NS6detail17trampoline_kernelINS0_13select_configILj256ELj13ELNS0_17block_load_methodE3ELS4_3ELS4_3ELNS0_20block_scan_algorithmE0ELj4294967295EEENS1_25partition_config_selectorILNS1_17partition_subalgoE3EjNS0_10empty_typeEbEEZZNS1_14partition_implILS8_3ELb0ES6_jNS0_17counting_iteratorIjlEEPS9_SE_NS0_5tupleIJPjSE_EEENSF_IJSE_SE_EEES9_SG_JZNS1_25segmented_radix_sort_implINS0_14default_configELb0EPKbPbPKlPlN2at6native12_GLOBAL__N_18offset_tEEE10hipError_tPvRmT1_PNSt15iterator_traitsISY_E10value_typeET2_T3_PNSZ_IS14_E10value_typeET4_jRbjT5_S1A_jjP12ihipStream_tbEUljE_EEESV_SW_SX_S14_S18_S1A_T6_T7_T9_mT8_S1C_bDpT10_ENKUlT_T0_E_clISt17integral_constantIbLb1EES1O_IbLb0EEEEDaS1K_S1L_EUlS1K_E_NS1_11comp_targetILNS1_3genE8ELNS1_11target_archE1030ELNS1_3gpuE2ELNS1_3repE0EEENS1_30default_config_static_selectorELNS0_4arch9wavefront6targetE0EEEvSY_,"axG",@progbits,_ZN7rocprim17ROCPRIM_400000_NS6detail17trampoline_kernelINS0_13select_configILj256ELj13ELNS0_17block_load_methodE3ELS4_3ELS4_3ELNS0_20block_scan_algorithmE0ELj4294967295EEENS1_25partition_config_selectorILNS1_17partition_subalgoE3EjNS0_10empty_typeEbEEZZNS1_14partition_implILS8_3ELb0ES6_jNS0_17counting_iteratorIjlEEPS9_SE_NS0_5tupleIJPjSE_EEENSF_IJSE_SE_EEES9_SG_JZNS1_25segmented_radix_sort_implINS0_14default_configELb0EPKbPbPKlPlN2at6native12_GLOBAL__N_18offset_tEEE10hipError_tPvRmT1_PNSt15iterator_traitsISY_E10value_typeET2_T3_PNSZ_IS14_E10value_typeET4_jRbjT5_S1A_jjP12ihipStream_tbEUljE_EEESV_SW_SX_S14_S18_S1A_T6_T7_T9_mT8_S1C_bDpT10_ENKUlT_T0_E_clISt17integral_constantIbLb1EES1O_IbLb0EEEEDaS1K_S1L_EUlS1K_E_NS1_11comp_targetILNS1_3genE8ELNS1_11target_archE1030ELNS1_3gpuE2ELNS1_3repE0EEENS1_30default_config_static_selectorELNS0_4arch9wavefront6targetE0EEEvSY_,comdat
	.globl	_ZN7rocprim17ROCPRIM_400000_NS6detail17trampoline_kernelINS0_13select_configILj256ELj13ELNS0_17block_load_methodE3ELS4_3ELS4_3ELNS0_20block_scan_algorithmE0ELj4294967295EEENS1_25partition_config_selectorILNS1_17partition_subalgoE3EjNS0_10empty_typeEbEEZZNS1_14partition_implILS8_3ELb0ES6_jNS0_17counting_iteratorIjlEEPS9_SE_NS0_5tupleIJPjSE_EEENSF_IJSE_SE_EEES9_SG_JZNS1_25segmented_radix_sort_implINS0_14default_configELb0EPKbPbPKlPlN2at6native12_GLOBAL__N_18offset_tEEE10hipError_tPvRmT1_PNSt15iterator_traitsISY_E10value_typeET2_T3_PNSZ_IS14_E10value_typeET4_jRbjT5_S1A_jjP12ihipStream_tbEUljE_EEESV_SW_SX_S14_S18_S1A_T6_T7_T9_mT8_S1C_bDpT10_ENKUlT_T0_E_clISt17integral_constantIbLb1EES1O_IbLb0EEEEDaS1K_S1L_EUlS1K_E_NS1_11comp_targetILNS1_3genE8ELNS1_11target_archE1030ELNS1_3gpuE2ELNS1_3repE0EEENS1_30default_config_static_selectorELNS0_4arch9wavefront6targetE0EEEvSY_ ; -- Begin function _ZN7rocprim17ROCPRIM_400000_NS6detail17trampoline_kernelINS0_13select_configILj256ELj13ELNS0_17block_load_methodE3ELS4_3ELS4_3ELNS0_20block_scan_algorithmE0ELj4294967295EEENS1_25partition_config_selectorILNS1_17partition_subalgoE3EjNS0_10empty_typeEbEEZZNS1_14partition_implILS8_3ELb0ES6_jNS0_17counting_iteratorIjlEEPS9_SE_NS0_5tupleIJPjSE_EEENSF_IJSE_SE_EEES9_SG_JZNS1_25segmented_radix_sort_implINS0_14default_configELb0EPKbPbPKlPlN2at6native12_GLOBAL__N_18offset_tEEE10hipError_tPvRmT1_PNSt15iterator_traitsISY_E10value_typeET2_T3_PNSZ_IS14_E10value_typeET4_jRbjT5_S1A_jjP12ihipStream_tbEUljE_EEESV_SW_SX_S14_S18_S1A_T6_T7_T9_mT8_S1C_bDpT10_ENKUlT_T0_E_clISt17integral_constantIbLb1EES1O_IbLb0EEEEDaS1K_S1L_EUlS1K_E_NS1_11comp_targetILNS1_3genE8ELNS1_11target_archE1030ELNS1_3gpuE2ELNS1_3repE0EEENS1_30default_config_static_selectorELNS0_4arch9wavefront6targetE0EEEvSY_
	.p2align	8
	.type	_ZN7rocprim17ROCPRIM_400000_NS6detail17trampoline_kernelINS0_13select_configILj256ELj13ELNS0_17block_load_methodE3ELS4_3ELS4_3ELNS0_20block_scan_algorithmE0ELj4294967295EEENS1_25partition_config_selectorILNS1_17partition_subalgoE3EjNS0_10empty_typeEbEEZZNS1_14partition_implILS8_3ELb0ES6_jNS0_17counting_iteratorIjlEEPS9_SE_NS0_5tupleIJPjSE_EEENSF_IJSE_SE_EEES9_SG_JZNS1_25segmented_radix_sort_implINS0_14default_configELb0EPKbPbPKlPlN2at6native12_GLOBAL__N_18offset_tEEE10hipError_tPvRmT1_PNSt15iterator_traitsISY_E10value_typeET2_T3_PNSZ_IS14_E10value_typeET4_jRbjT5_S1A_jjP12ihipStream_tbEUljE_EEESV_SW_SX_S14_S18_S1A_T6_T7_T9_mT8_S1C_bDpT10_ENKUlT_T0_E_clISt17integral_constantIbLb1EES1O_IbLb0EEEEDaS1K_S1L_EUlS1K_E_NS1_11comp_targetILNS1_3genE8ELNS1_11target_archE1030ELNS1_3gpuE2ELNS1_3repE0EEENS1_30default_config_static_selectorELNS0_4arch9wavefront6targetE0EEEvSY_,@function
_ZN7rocprim17ROCPRIM_400000_NS6detail17trampoline_kernelINS0_13select_configILj256ELj13ELNS0_17block_load_methodE3ELS4_3ELS4_3ELNS0_20block_scan_algorithmE0ELj4294967295EEENS1_25partition_config_selectorILNS1_17partition_subalgoE3EjNS0_10empty_typeEbEEZZNS1_14partition_implILS8_3ELb0ES6_jNS0_17counting_iteratorIjlEEPS9_SE_NS0_5tupleIJPjSE_EEENSF_IJSE_SE_EEES9_SG_JZNS1_25segmented_radix_sort_implINS0_14default_configELb0EPKbPbPKlPlN2at6native12_GLOBAL__N_18offset_tEEE10hipError_tPvRmT1_PNSt15iterator_traitsISY_E10value_typeET2_T3_PNSZ_IS14_E10value_typeET4_jRbjT5_S1A_jjP12ihipStream_tbEUljE_EEESV_SW_SX_S14_S18_S1A_T6_T7_T9_mT8_S1C_bDpT10_ENKUlT_T0_E_clISt17integral_constantIbLb1EES1O_IbLb0EEEEDaS1K_S1L_EUlS1K_E_NS1_11comp_targetILNS1_3genE8ELNS1_11target_archE1030ELNS1_3gpuE2ELNS1_3repE0EEENS1_30default_config_static_selectorELNS0_4arch9wavefront6targetE0EEEvSY_: ; @_ZN7rocprim17ROCPRIM_400000_NS6detail17trampoline_kernelINS0_13select_configILj256ELj13ELNS0_17block_load_methodE3ELS4_3ELS4_3ELNS0_20block_scan_algorithmE0ELj4294967295EEENS1_25partition_config_selectorILNS1_17partition_subalgoE3EjNS0_10empty_typeEbEEZZNS1_14partition_implILS8_3ELb0ES6_jNS0_17counting_iteratorIjlEEPS9_SE_NS0_5tupleIJPjSE_EEENSF_IJSE_SE_EEES9_SG_JZNS1_25segmented_radix_sort_implINS0_14default_configELb0EPKbPbPKlPlN2at6native12_GLOBAL__N_18offset_tEEE10hipError_tPvRmT1_PNSt15iterator_traitsISY_E10value_typeET2_T3_PNSZ_IS14_E10value_typeET4_jRbjT5_S1A_jjP12ihipStream_tbEUljE_EEESV_SW_SX_S14_S18_S1A_T6_T7_T9_mT8_S1C_bDpT10_ENKUlT_T0_E_clISt17integral_constantIbLb1EES1O_IbLb0EEEEDaS1K_S1L_EUlS1K_E_NS1_11comp_targetILNS1_3genE8ELNS1_11target_archE1030ELNS1_3gpuE2ELNS1_3repE0EEENS1_30default_config_static_selectorELNS0_4arch9wavefront6targetE0EEEvSY_
; %bb.0:
	.section	.rodata,"a",@progbits
	.p2align	6, 0x0
	.amdhsa_kernel _ZN7rocprim17ROCPRIM_400000_NS6detail17trampoline_kernelINS0_13select_configILj256ELj13ELNS0_17block_load_methodE3ELS4_3ELS4_3ELNS0_20block_scan_algorithmE0ELj4294967295EEENS1_25partition_config_selectorILNS1_17partition_subalgoE3EjNS0_10empty_typeEbEEZZNS1_14partition_implILS8_3ELb0ES6_jNS0_17counting_iteratorIjlEEPS9_SE_NS0_5tupleIJPjSE_EEENSF_IJSE_SE_EEES9_SG_JZNS1_25segmented_radix_sort_implINS0_14default_configELb0EPKbPbPKlPlN2at6native12_GLOBAL__N_18offset_tEEE10hipError_tPvRmT1_PNSt15iterator_traitsISY_E10value_typeET2_T3_PNSZ_IS14_E10value_typeET4_jRbjT5_S1A_jjP12ihipStream_tbEUljE_EEESV_SW_SX_S14_S18_S1A_T6_T7_T9_mT8_S1C_bDpT10_ENKUlT_T0_E_clISt17integral_constantIbLb1EES1O_IbLb0EEEEDaS1K_S1L_EUlS1K_E_NS1_11comp_targetILNS1_3genE8ELNS1_11target_archE1030ELNS1_3gpuE2ELNS1_3repE0EEENS1_30default_config_static_selectorELNS0_4arch9wavefront6targetE0EEEvSY_
		.amdhsa_group_segment_fixed_size 0
		.amdhsa_private_segment_fixed_size 0
		.amdhsa_kernarg_size 144
		.amdhsa_user_sgpr_count 2
		.amdhsa_user_sgpr_dispatch_ptr 0
		.amdhsa_user_sgpr_queue_ptr 0
		.amdhsa_user_sgpr_kernarg_segment_ptr 1
		.amdhsa_user_sgpr_dispatch_id 0
		.amdhsa_user_sgpr_kernarg_preload_length 0
		.amdhsa_user_sgpr_kernarg_preload_offset 0
		.amdhsa_user_sgpr_private_segment_size 0
		.amdhsa_wavefront_size32 1
		.amdhsa_uses_dynamic_stack 0
		.amdhsa_enable_private_segment 0
		.amdhsa_system_sgpr_workgroup_id_x 1
		.amdhsa_system_sgpr_workgroup_id_y 0
		.amdhsa_system_sgpr_workgroup_id_z 0
		.amdhsa_system_sgpr_workgroup_info 0
		.amdhsa_system_vgpr_workitem_id 0
		.amdhsa_next_free_vgpr 1
		.amdhsa_next_free_sgpr 1
		.amdhsa_named_barrier_count 0
		.amdhsa_reserve_vcc 0
		.amdhsa_float_round_mode_32 0
		.amdhsa_float_round_mode_16_64 0
		.amdhsa_float_denorm_mode_32 3
		.amdhsa_float_denorm_mode_16_64 3
		.amdhsa_fp16_overflow 0
		.amdhsa_memory_ordered 1
		.amdhsa_forward_progress 1
		.amdhsa_inst_pref_size 0
		.amdhsa_round_robin_scheduling 0
		.amdhsa_exception_fp_ieee_invalid_op 0
		.amdhsa_exception_fp_denorm_src 0
		.amdhsa_exception_fp_ieee_div_zero 0
		.amdhsa_exception_fp_ieee_overflow 0
		.amdhsa_exception_fp_ieee_underflow 0
		.amdhsa_exception_fp_ieee_inexact 0
		.amdhsa_exception_int_div_zero 0
	.end_amdhsa_kernel
	.section	.text._ZN7rocprim17ROCPRIM_400000_NS6detail17trampoline_kernelINS0_13select_configILj256ELj13ELNS0_17block_load_methodE3ELS4_3ELS4_3ELNS0_20block_scan_algorithmE0ELj4294967295EEENS1_25partition_config_selectorILNS1_17partition_subalgoE3EjNS0_10empty_typeEbEEZZNS1_14partition_implILS8_3ELb0ES6_jNS0_17counting_iteratorIjlEEPS9_SE_NS0_5tupleIJPjSE_EEENSF_IJSE_SE_EEES9_SG_JZNS1_25segmented_radix_sort_implINS0_14default_configELb0EPKbPbPKlPlN2at6native12_GLOBAL__N_18offset_tEEE10hipError_tPvRmT1_PNSt15iterator_traitsISY_E10value_typeET2_T3_PNSZ_IS14_E10value_typeET4_jRbjT5_S1A_jjP12ihipStream_tbEUljE_EEESV_SW_SX_S14_S18_S1A_T6_T7_T9_mT8_S1C_bDpT10_ENKUlT_T0_E_clISt17integral_constantIbLb1EES1O_IbLb0EEEEDaS1K_S1L_EUlS1K_E_NS1_11comp_targetILNS1_3genE8ELNS1_11target_archE1030ELNS1_3gpuE2ELNS1_3repE0EEENS1_30default_config_static_selectorELNS0_4arch9wavefront6targetE0EEEvSY_,"axG",@progbits,_ZN7rocprim17ROCPRIM_400000_NS6detail17trampoline_kernelINS0_13select_configILj256ELj13ELNS0_17block_load_methodE3ELS4_3ELS4_3ELNS0_20block_scan_algorithmE0ELj4294967295EEENS1_25partition_config_selectorILNS1_17partition_subalgoE3EjNS0_10empty_typeEbEEZZNS1_14partition_implILS8_3ELb0ES6_jNS0_17counting_iteratorIjlEEPS9_SE_NS0_5tupleIJPjSE_EEENSF_IJSE_SE_EEES9_SG_JZNS1_25segmented_radix_sort_implINS0_14default_configELb0EPKbPbPKlPlN2at6native12_GLOBAL__N_18offset_tEEE10hipError_tPvRmT1_PNSt15iterator_traitsISY_E10value_typeET2_T3_PNSZ_IS14_E10value_typeET4_jRbjT5_S1A_jjP12ihipStream_tbEUljE_EEESV_SW_SX_S14_S18_S1A_T6_T7_T9_mT8_S1C_bDpT10_ENKUlT_T0_E_clISt17integral_constantIbLb1EES1O_IbLb0EEEEDaS1K_S1L_EUlS1K_E_NS1_11comp_targetILNS1_3genE8ELNS1_11target_archE1030ELNS1_3gpuE2ELNS1_3repE0EEENS1_30default_config_static_selectorELNS0_4arch9wavefront6targetE0EEEvSY_,comdat
.Lfunc_end1617:
	.size	_ZN7rocprim17ROCPRIM_400000_NS6detail17trampoline_kernelINS0_13select_configILj256ELj13ELNS0_17block_load_methodE3ELS4_3ELS4_3ELNS0_20block_scan_algorithmE0ELj4294967295EEENS1_25partition_config_selectorILNS1_17partition_subalgoE3EjNS0_10empty_typeEbEEZZNS1_14partition_implILS8_3ELb0ES6_jNS0_17counting_iteratorIjlEEPS9_SE_NS0_5tupleIJPjSE_EEENSF_IJSE_SE_EEES9_SG_JZNS1_25segmented_radix_sort_implINS0_14default_configELb0EPKbPbPKlPlN2at6native12_GLOBAL__N_18offset_tEEE10hipError_tPvRmT1_PNSt15iterator_traitsISY_E10value_typeET2_T3_PNSZ_IS14_E10value_typeET4_jRbjT5_S1A_jjP12ihipStream_tbEUljE_EEESV_SW_SX_S14_S18_S1A_T6_T7_T9_mT8_S1C_bDpT10_ENKUlT_T0_E_clISt17integral_constantIbLb1EES1O_IbLb0EEEEDaS1K_S1L_EUlS1K_E_NS1_11comp_targetILNS1_3genE8ELNS1_11target_archE1030ELNS1_3gpuE2ELNS1_3repE0EEENS1_30default_config_static_selectorELNS0_4arch9wavefront6targetE0EEEvSY_, .Lfunc_end1617-_ZN7rocprim17ROCPRIM_400000_NS6detail17trampoline_kernelINS0_13select_configILj256ELj13ELNS0_17block_load_methodE3ELS4_3ELS4_3ELNS0_20block_scan_algorithmE0ELj4294967295EEENS1_25partition_config_selectorILNS1_17partition_subalgoE3EjNS0_10empty_typeEbEEZZNS1_14partition_implILS8_3ELb0ES6_jNS0_17counting_iteratorIjlEEPS9_SE_NS0_5tupleIJPjSE_EEENSF_IJSE_SE_EEES9_SG_JZNS1_25segmented_radix_sort_implINS0_14default_configELb0EPKbPbPKlPlN2at6native12_GLOBAL__N_18offset_tEEE10hipError_tPvRmT1_PNSt15iterator_traitsISY_E10value_typeET2_T3_PNSZ_IS14_E10value_typeET4_jRbjT5_S1A_jjP12ihipStream_tbEUljE_EEESV_SW_SX_S14_S18_S1A_T6_T7_T9_mT8_S1C_bDpT10_ENKUlT_T0_E_clISt17integral_constantIbLb1EES1O_IbLb0EEEEDaS1K_S1L_EUlS1K_E_NS1_11comp_targetILNS1_3genE8ELNS1_11target_archE1030ELNS1_3gpuE2ELNS1_3repE0EEENS1_30default_config_static_selectorELNS0_4arch9wavefront6targetE0EEEvSY_
                                        ; -- End function
	.set _ZN7rocprim17ROCPRIM_400000_NS6detail17trampoline_kernelINS0_13select_configILj256ELj13ELNS0_17block_load_methodE3ELS4_3ELS4_3ELNS0_20block_scan_algorithmE0ELj4294967295EEENS1_25partition_config_selectorILNS1_17partition_subalgoE3EjNS0_10empty_typeEbEEZZNS1_14partition_implILS8_3ELb0ES6_jNS0_17counting_iteratorIjlEEPS9_SE_NS0_5tupleIJPjSE_EEENSF_IJSE_SE_EEES9_SG_JZNS1_25segmented_radix_sort_implINS0_14default_configELb0EPKbPbPKlPlN2at6native12_GLOBAL__N_18offset_tEEE10hipError_tPvRmT1_PNSt15iterator_traitsISY_E10value_typeET2_T3_PNSZ_IS14_E10value_typeET4_jRbjT5_S1A_jjP12ihipStream_tbEUljE_EEESV_SW_SX_S14_S18_S1A_T6_T7_T9_mT8_S1C_bDpT10_ENKUlT_T0_E_clISt17integral_constantIbLb1EES1O_IbLb0EEEEDaS1K_S1L_EUlS1K_E_NS1_11comp_targetILNS1_3genE8ELNS1_11target_archE1030ELNS1_3gpuE2ELNS1_3repE0EEENS1_30default_config_static_selectorELNS0_4arch9wavefront6targetE0EEEvSY_.num_vgpr, 0
	.set _ZN7rocprim17ROCPRIM_400000_NS6detail17trampoline_kernelINS0_13select_configILj256ELj13ELNS0_17block_load_methodE3ELS4_3ELS4_3ELNS0_20block_scan_algorithmE0ELj4294967295EEENS1_25partition_config_selectorILNS1_17partition_subalgoE3EjNS0_10empty_typeEbEEZZNS1_14partition_implILS8_3ELb0ES6_jNS0_17counting_iteratorIjlEEPS9_SE_NS0_5tupleIJPjSE_EEENSF_IJSE_SE_EEES9_SG_JZNS1_25segmented_radix_sort_implINS0_14default_configELb0EPKbPbPKlPlN2at6native12_GLOBAL__N_18offset_tEEE10hipError_tPvRmT1_PNSt15iterator_traitsISY_E10value_typeET2_T3_PNSZ_IS14_E10value_typeET4_jRbjT5_S1A_jjP12ihipStream_tbEUljE_EEESV_SW_SX_S14_S18_S1A_T6_T7_T9_mT8_S1C_bDpT10_ENKUlT_T0_E_clISt17integral_constantIbLb1EES1O_IbLb0EEEEDaS1K_S1L_EUlS1K_E_NS1_11comp_targetILNS1_3genE8ELNS1_11target_archE1030ELNS1_3gpuE2ELNS1_3repE0EEENS1_30default_config_static_selectorELNS0_4arch9wavefront6targetE0EEEvSY_.num_agpr, 0
	.set _ZN7rocprim17ROCPRIM_400000_NS6detail17trampoline_kernelINS0_13select_configILj256ELj13ELNS0_17block_load_methodE3ELS4_3ELS4_3ELNS0_20block_scan_algorithmE0ELj4294967295EEENS1_25partition_config_selectorILNS1_17partition_subalgoE3EjNS0_10empty_typeEbEEZZNS1_14partition_implILS8_3ELb0ES6_jNS0_17counting_iteratorIjlEEPS9_SE_NS0_5tupleIJPjSE_EEENSF_IJSE_SE_EEES9_SG_JZNS1_25segmented_radix_sort_implINS0_14default_configELb0EPKbPbPKlPlN2at6native12_GLOBAL__N_18offset_tEEE10hipError_tPvRmT1_PNSt15iterator_traitsISY_E10value_typeET2_T3_PNSZ_IS14_E10value_typeET4_jRbjT5_S1A_jjP12ihipStream_tbEUljE_EEESV_SW_SX_S14_S18_S1A_T6_T7_T9_mT8_S1C_bDpT10_ENKUlT_T0_E_clISt17integral_constantIbLb1EES1O_IbLb0EEEEDaS1K_S1L_EUlS1K_E_NS1_11comp_targetILNS1_3genE8ELNS1_11target_archE1030ELNS1_3gpuE2ELNS1_3repE0EEENS1_30default_config_static_selectorELNS0_4arch9wavefront6targetE0EEEvSY_.numbered_sgpr, 0
	.set _ZN7rocprim17ROCPRIM_400000_NS6detail17trampoline_kernelINS0_13select_configILj256ELj13ELNS0_17block_load_methodE3ELS4_3ELS4_3ELNS0_20block_scan_algorithmE0ELj4294967295EEENS1_25partition_config_selectorILNS1_17partition_subalgoE3EjNS0_10empty_typeEbEEZZNS1_14partition_implILS8_3ELb0ES6_jNS0_17counting_iteratorIjlEEPS9_SE_NS0_5tupleIJPjSE_EEENSF_IJSE_SE_EEES9_SG_JZNS1_25segmented_radix_sort_implINS0_14default_configELb0EPKbPbPKlPlN2at6native12_GLOBAL__N_18offset_tEEE10hipError_tPvRmT1_PNSt15iterator_traitsISY_E10value_typeET2_T3_PNSZ_IS14_E10value_typeET4_jRbjT5_S1A_jjP12ihipStream_tbEUljE_EEESV_SW_SX_S14_S18_S1A_T6_T7_T9_mT8_S1C_bDpT10_ENKUlT_T0_E_clISt17integral_constantIbLb1EES1O_IbLb0EEEEDaS1K_S1L_EUlS1K_E_NS1_11comp_targetILNS1_3genE8ELNS1_11target_archE1030ELNS1_3gpuE2ELNS1_3repE0EEENS1_30default_config_static_selectorELNS0_4arch9wavefront6targetE0EEEvSY_.num_named_barrier, 0
	.set _ZN7rocprim17ROCPRIM_400000_NS6detail17trampoline_kernelINS0_13select_configILj256ELj13ELNS0_17block_load_methodE3ELS4_3ELS4_3ELNS0_20block_scan_algorithmE0ELj4294967295EEENS1_25partition_config_selectorILNS1_17partition_subalgoE3EjNS0_10empty_typeEbEEZZNS1_14partition_implILS8_3ELb0ES6_jNS0_17counting_iteratorIjlEEPS9_SE_NS0_5tupleIJPjSE_EEENSF_IJSE_SE_EEES9_SG_JZNS1_25segmented_radix_sort_implINS0_14default_configELb0EPKbPbPKlPlN2at6native12_GLOBAL__N_18offset_tEEE10hipError_tPvRmT1_PNSt15iterator_traitsISY_E10value_typeET2_T3_PNSZ_IS14_E10value_typeET4_jRbjT5_S1A_jjP12ihipStream_tbEUljE_EEESV_SW_SX_S14_S18_S1A_T6_T7_T9_mT8_S1C_bDpT10_ENKUlT_T0_E_clISt17integral_constantIbLb1EES1O_IbLb0EEEEDaS1K_S1L_EUlS1K_E_NS1_11comp_targetILNS1_3genE8ELNS1_11target_archE1030ELNS1_3gpuE2ELNS1_3repE0EEENS1_30default_config_static_selectorELNS0_4arch9wavefront6targetE0EEEvSY_.private_seg_size, 0
	.set _ZN7rocprim17ROCPRIM_400000_NS6detail17trampoline_kernelINS0_13select_configILj256ELj13ELNS0_17block_load_methodE3ELS4_3ELS4_3ELNS0_20block_scan_algorithmE0ELj4294967295EEENS1_25partition_config_selectorILNS1_17partition_subalgoE3EjNS0_10empty_typeEbEEZZNS1_14partition_implILS8_3ELb0ES6_jNS0_17counting_iteratorIjlEEPS9_SE_NS0_5tupleIJPjSE_EEENSF_IJSE_SE_EEES9_SG_JZNS1_25segmented_radix_sort_implINS0_14default_configELb0EPKbPbPKlPlN2at6native12_GLOBAL__N_18offset_tEEE10hipError_tPvRmT1_PNSt15iterator_traitsISY_E10value_typeET2_T3_PNSZ_IS14_E10value_typeET4_jRbjT5_S1A_jjP12ihipStream_tbEUljE_EEESV_SW_SX_S14_S18_S1A_T6_T7_T9_mT8_S1C_bDpT10_ENKUlT_T0_E_clISt17integral_constantIbLb1EES1O_IbLb0EEEEDaS1K_S1L_EUlS1K_E_NS1_11comp_targetILNS1_3genE8ELNS1_11target_archE1030ELNS1_3gpuE2ELNS1_3repE0EEENS1_30default_config_static_selectorELNS0_4arch9wavefront6targetE0EEEvSY_.uses_vcc, 0
	.set _ZN7rocprim17ROCPRIM_400000_NS6detail17trampoline_kernelINS0_13select_configILj256ELj13ELNS0_17block_load_methodE3ELS4_3ELS4_3ELNS0_20block_scan_algorithmE0ELj4294967295EEENS1_25partition_config_selectorILNS1_17partition_subalgoE3EjNS0_10empty_typeEbEEZZNS1_14partition_implILS8_3ELb0ES6_jNS0_17counting_iteratorIjlEEPS9_SE_NS0_5tupleIJPjSE_EEENSF_IJSE_SE_EEES9_SG_JZNS1_25segmented_radix_sort_implINS0_14default_configELb0EPKbPbPKlPlN2at6native12_GLOBAL__N_18offset_tEEE10hipError_tPvRmT1_PNSt15iterator_traitsISY_E10value_typeET2_T3_PNSZ_IS14_E10value_typeET4_jRbjT5_S1A_jjP12ihipStream_tbEUljE_EEESV_SW_SX_S14_S18_S1A_T6_T7_T9_mT8_S1C_bDpT10_ENKUlT_T0_E_clISt17integral_constantIbLb1EES1O_IbLb0EEEEDaS1K_S1L_EUlS1K_E_NS1_11comp_targetILNS1_3genE8ELNS1_11target_archE1030ELNS1_3gpuE2ELNS1_3repE0EEENS1_30default_config_static_selectorELNS0_4arch9wavefront6targetE0EEEvSY_.uses_flat_scratch, 0
	.set _ZN7rocprim17ROCPRIM_400000_NS6detail17trampoline_kernelINS0_13select_configILj256ELj13ELNS0_17block_load_methodE3ELS4_3ELS4_3ELNS0_20block_scan_algorithmE0ELj4294967295EEENS1_25partition_config_selectorILNS1_17partition_subalgoE3EjNS0_10empty_typeEbEEZZNS1_14partition_implILS8_3ELb0ES6_jNS0_17counting_iteratorIjlEEPS9_SE_NS0_5tupleIJPjSE_EEENSF_IJSE_SE_EEES9_SG_JZNS1_25segmented_radix_sort_implINS0_14default_configELb0EPKbPbPKlPlN2at6native12_GLOBAL__N_18offset_tEEE10hipError_tPvRmT1_PNSt15iterator_traitsISY_E10value_typeET2_T3_PNSZ_IS14_E10value_typeET4_jRbjT5_S1A_jjP12ihipStream_tbEUljE_EEESV_SW_SX_S14_S18_S1A_T6_T7_T9_mT8_S1C_bDpT10_ENKUlT_T0_E_clISt17integral_constantIbLb1EES1O_IbLb0EEEEDaS1K_S1L_EUlS1K_E_NS1_11comp_targetILNS1_3genE8ELNS1_11target_archE1030ELNS1_3gpuE2ELNS1_3repE0EEENS1_30default_config_static_selectorELNS0_4arch9wavefront6targetE0EEEvSY_.has_dyn_sized_stack, 0
	.set _ZN7rocprim17ROCPRIM_400000_NS6detail17trampoline_kernelINS0_13select_configILj256ELj13ELNS0_17block_load_methodE3ELS4_3ELS4_3ELNS0_20block_scan_algorithmE0ELj4294967295EEENS1_25partition_config_selectorILNS1_17partition_subalgoE3EjNS0_10empty_typeEbEEZZNS1_14partition_implILS8_3ELb0ES6_jNS0_17counting_iteratorIjlEEPS9_SE_NS0_5tupleIJPjSE_EEENSF_IJSE_SE_EEES9_SG_JZNS1_25segmented_radix_sort_implINS0_14default_configELb0EPKbPbPKlPlN2at6native12_GLOBAL__N_18offset_tEEE10hipError_tPvRmT1_PNSt15iterator_traitsISY_E10value_typeET2_T3_PNSZ_IS14_E10value_typeET4_jRbjT5_S1A_jjP12ihipStream_tbEUljE_EEESV_SW_SX_S14_S18_S1A_T6_T7_T9_mT8_S1C_bDpT10_ENKUlT_T0_E_clISt17integral_constantIbLb1EES1O_IbLb0EEEEDaS1K_S1L_EUlS1K_E_NS1_11comp_targetILNS1_3genE8ELNS1_11target_archE1030ELNS1_3gpuE2ELNS1_3repE0EEENS1_30default_config_static_selectorELNS0_4arch9wavefront6targetE0EEEvSY_.has_recursion, 0
	.set _ZN7rocprim17ROCPRIM_400000_NS6detail17trampoline_kernelINS0_13select_configILj256ELj13ELNS0_17block_load_methodE3ELS4_3ELS4_3ELNS0_20block_scan_algorithmE0ELj4294967295EEENS1_25partition_config_selectorILNS1_17partition_subalgoE3EjNS0_10empty_typeEbEEZZNS1_14partition_implILS8_3ELb0ES6_jNS0_17counting_iteratorIjlEEPS9_SE_NS0_5tupleIJPjSE_EEENSF_IJSE_SE_EEES9_SG_JZNS1_25segmented_radix_sort_implINS0_14default_configELb0EPKbPbPKlPlN2at6native12_GLOBAL__N_18offset_tEEE10hipError_tPvRmT1_PNSt15iterator_traitsISY_E10value_typeET2_T3_PNSZ_IS14_E10value_typeET4_jRbjT5_S1A_jjP12ihipStream_tbEUljE_EEESV_SW_SX_S14_S18_S1A_T6_T7_T9_mT8_S1C_bDpT10_ENKUlT_T0_E_clISt17integral_constantIbLb1EES1O_IbLb0EEEEDaS1K_S1L_EUlS1K_E_NS1_11comp_targetILNS1_3genE8ELNS1_11target_archE1030ELNS1_3gpuE2ELNS1_3repE0EEENS1_30default_config_static_selectorELNS0_4arch9wavefront6targetE0EEEvSY_.has_indirect_call, 0
	.section	.AMDGPU.csdata,"",@progbits
; Kernel info:
; codeLenInByte = 0
; TotalNumSgprs: 0
; NumVgprs: 0
; ScratchSize: 0
; MemoryBound: 0
; FloatMode: 240
; IeeeMode: 1
; LDSByteSize: 0 bytes/workgroup (compile time only)
; SGPRBlocks: 0
; VGPRBlocks: 0
; NumSGPRsForWavesPerEU: 1
; NumVGPRsForWavesPerEU: 1
; NamedBarCnt: 0
; Occupancy: 16
; WaveLimiterHint : 0
; COMPUTE_PGM_RSRC2:SCRATCH_EN: 0
; COMPUTE_PGM_RSRC2:USER_SGPR: 2
; COMPUTE_PGM_RSRC2:TRAP_HANDLER: 0
; COMPUTE_PGM_RSRC2:TGID_X_EN: 1
; COMPUTE_PGM_RSRC2:TGID_Y_EN: 0
; COMPUTE_PGM_RSRC2:TGID_Z_EN: 0
; COMPUTE_PGM_RSRC2:TIDIG_COMP_CNT: 0
	.section	.text._ZN7rocprim17ROCPRIM_400000_NS6detail17trampoline_kernelINS0_13select_configILj256ELj13ELNS0_17block_load_methodE3ELS4_3ELS4_3ELNS0_20block_scan_algorithmE0ELj4294967295EEENS1_25partition_config_selectorILNS1_17partition_subalgoE3EjNS0_10empty_typeEbEEZZNS1_14partition_implILS8_3ELb0ES6_jNS0_17counting_iteratorIjlEEPS9_SE_NS0_5tupleIJPjSE_EEENSF_IJSE_SE_EEES9_SG_JZNS1_25segmented_radix_sort_implINS0_14default_configELb0EPKbPbPKlPlN2at6native12_GLOBAL__N_18offset_tEEE10hipError_tPvRmT1_PNSt15iterator_traitsISY_E10value_typeET2_T3_PNSZ_IS14_E10value_typeET4_jRbjT5_S1A_jjP12ihipStream_tbEUljE_EEESV_SW_SX_S14_S18_S1A_T6_T7_T9_mT8_S1C_bDpT10_ENKUlT_T0_E_clISt17integral_constantIbLb0EES1O_IbLb1EEEEDaS1K_S1L_EUlS1K_E_NS1_11comp_targetILNS1_3genE0ELNS1_11target_archE4294967295ELNS1_3gpuE0ELNS1_3repE0EEENS1_30default_config_static_selectorELNS0_4arch9wavefront6targetE0EEEvSY_,"axG",@progbits,_ZN7rocprim17ROCPRIM_400000_NS6detail17trampoline_kernelINS0_13select_configILj256ELj13ELNS0_17block_load_methodE3ELS4_3ELS4_3ELNS0_20block_scan_algorithmE0ELj4294967295EEENS1_25partition_config_selectorILNS1_17partition_subalgoE3EjNS0_10empty_typeEbEEZZNS1_14partition_implILS8_3ELb0ES6_jNS0_17counting_iteratorIjlEEPS9_SE_NS0_5tupleIJPjSE_EEENSF_IJSE_SE_EEES9_SG_JZNS1_25segmented_radix_sort_implINS0_14default_configELb0EPKbPbPKlPlN2at6native12_GLOBAL__N_18offset_tEEE10hipError_tPvRmT1_PNSt15iterator_traitsISY_E10value_typeET2_T3_PNSZ_IS14_E10value_typeET4_jRbjT5_S1A_jjP12ihipStream_tbEUljE_EEESV_SW_SX_S14_S18_S1A_T6_T7_T9_mT8_S1C_bDpT10_ENKUlT_T0_E_clISt17integral_constantIbLb0EES1O_IbLb1EEEEDaS1K_S1L_EUlS1K_E_NS1_11comp_targetILNS1_3genE0ELNS1_11target_archE4294967295ELNS1_3gpuE0ELNS1_3repE0EEENS1_30default_config_static_selectorELNS0_4arch9wavefront6targetE0EEEvSY_,comdat
	.globl	_ZN7rocprim17ROCPRIM_400000_NS6detail17trampoline_kernelINS0_13select_configILj256ELj13ELNS0_17block_load_methodE3ELS4_3ELS4_3ELNS0_20block_scan_algorithmE0ELj4294967295EEENS1_25partition_config_selectorILNS1_17partition_subalgoE3EjNS0_10empty_typeEbEEZZNS1_14partition_implILS8_3ELb0ES6_jNS0_17counting_iteratorIjlEEPS9_SE_NS0_5tupleIJPjSE_EEENSF_IJSE_SE_EEES9_SG_JZNS1_25segmented_radix_sort_implINS0_14default_configELb0EPKbPbPKlPlN2at6native12_GLOBAL__N_18offset_tEEE10hipError_tPvRmT1_PNSt15iterator_traitsISY_E10value_typeET2_T3_PNSZ_IS14_E10value_typeET4_jRbjT5_S1A_jjP12ihipStream_tbEUljE_EEESV_SW_SX_S14_S18_S1A_T6_T7_T9_mT8_S1C_bDpT10_ENKUlT_T0_E_clISt17integral_constantIbLb0EES1O_IbLb1EEEEDaS1K_S1L_EUlS1K_E_NS1_11comp_targetILNS1_3genE0ELNS1_11target_archE4294967295ELNS1_3gpuE0ELNS1_3repE0EEENS1_30default_config_static_selectorELNS0_4arch9wavefront6targetE0EEEvSY_ ; -- Begin function _ZN7rocprim17ROCPRIM_400000_NS6detail17trampoline_kernelINS0_13select_configILj256ELj13ELNS0_17block_load_methodE3ELS4_3ELS4_3ELNS0_20block_scan_algorithmE0ELj4294967295EEENS1_25partition_config_selectorILNS1_17partition_subalgoE3EjNS0_10empty_typeEbEEZZNS1_14partition_implILS8_3ELb0ES6_jNS0_17counting_iteratorIjlEEPS9_SE_NS0_5tupleIJPjSE_EEENSF_IJSE_SE_EEES9_SG_JZNS1_25segmented_radix_sort_implINS0_14default_configELb0EPKbPbPKlPlN2at6native12_GLOBAL__N_18offset_tEEE10hipError_tPvRmT1_PNSt15iterator_traitsISY_E10value_typeET2_T3_PNSZ_IS14_E10value_typeET4_jRbjT5_S1A_jjP12ihipStream_tbEUljE_EEESV_SW_SX_S14_S18_S1A_T6_T7_T9_mT8_S1C_bDpT10_ENKUlT_T0_E_clISt17integral_constantIbLb0EES1O_IbLb1EEEEDaS1K_S1L_EUlS1K_E_NS1_11comp_targetILNS1_3genE0ELNS1_11target_archE4294967295ELNS1_3gpuE0ELNS1_3repE0EEENS1_30default_config_static_selectorELNS0_4arch9wavefront6targetE0EEEvSY_
	.p2align	8
	.type	_ZN7rocprim17ROCPRIM_400000_NS6detail17trampoline_kernelINS0_13select_configILj256ELj13ELNS0_17block_load_methodE3ELS4_3ELS4_3ELNS0_20block_scan_algorithmE0ELj4294967295EEENS1_25partition_config_selectorILNS1_17partition_subalgoE3EjNS0_10empty_typeEbEEZZNS1_14partition_implILS8_3ELb0ES6_jNS0_17counting_iteratorIjlEEPS9_SE_NS0_5tupleIJPjSE_EEENSF_IJSE_SE_EEES9_SG_JZNS1_25segmented_radix_sort_implINS0_14default_configELb0EPKbPbPKlPlN2at6native12_GLOBAL__N_18offset_tEEE10hipError_tPvRmT1_PNSt15iterator_traitsISY_E10value_typeET2_T3_PNSZ_IS14_E10value_typeET4_jRbjT5_S1A_jjP12ihipStream_tbEUljE_EEESV_SW_SX_S14_S18_S1A_T6_T7_T9_mT8_S1C_bDpT10_ENKUlT_T0_E_clISt17integral_constantIbLb0EES1O_IbLb1EEEEDaS1K_S1L_EUlS1K_E_NS1_11comp_targetILNS1_3genE0ELNS1_11target_archE4294967295ELNS1_3gpuE0ELNS1_3repE0EEENS1_30default_config_static_selectorELNS0_4arch9wavefront6targetE0EEEvSY_,@function
_ZN7rocprim17ROCPRIM_400000_NS6detail17trampoline_kernelINS0_13select_configILj256ELj13ELNS0_17block_load_methodE3ELS4_3ELS4_3ELNS0_20block_scan_algorithmE0ELj4294967295EEENS1_25partition_config_selectorILNS1_17partition_subalgoE3EjNS0_10empty_typeEbEEZZNS1_14partition_implILS8_3ELb0ES6_jNS0_17counting_iteratorIjlEEPS9_SE_NS0_5tupleIJPjSE_EEENSF_IJSE_SE_EEES9_SG_JZNS1_25segmented_radix_sort_implINS0_14default_configELb0EPKbPbPKlPlN2at6native12_GLOBAL__N_18offset_tEEE10hipError_tPvRmT1_PNSt15iterator_traitsISY_E10value_typeET2_T3_PNSZ_IS14_E10value_typeET4_jRbjT5_S1A_jjP12ihipStream_tbEUljE_EEESV_SW_SX_S14_S18_S1A_T6_T7_T9_mT8_S1C_bDpT10_ENKUlT_T0_E_clISt17integral_constantIbLb0EES1O_IbLb1EEEEDaS1K_S1L_EUlS1K_E_NS1_11comp_targetILNS1_3genE0ELNS1_11target_archE4294967295ELNS1_3gpuE0ELNS1_3repE0EEENS1_30default_config_static_selectorELNS0_4arch9wavefront6targetE0EEEvSY_: ; @_ZN7rocprim17ROCPRIM_400000_NS6detail17trampoline_kernelINS0_13select_configILj256ELj13ELNS0_17block_load_methodE3ELS4_3ELS4_3ELNS0_20block_scan_algorithmE0ELj4294967295EEENS1_25partition_config_selectorILNS1_17partition_subalgoE3EjNS0_10empty_typeEbEEZZNS1_14partition_implILS8_3ELb0ES6_jNS0_17counting_iteratorIjlEEPS9_SE_NS0_5tupleIJPjSE_EEENSF_IJSE_SE_EEES9_SG_JZNS1_25segmented_radix_sort_implINS0_14default_configELb0EPKbPbPKlPlN2at6native12_GLOBAL__N_18offset_tEEE10hipError_tPvRmT1_PNSt15iterator_traitsISY_E10value_typeET2_T3_PNSZ_IS14_E10value_typeET4_jRbjT5_S1A_jjP12ihipStream_tbEUljE_EEESV_SW_SX_S14_S18_S1A_T6_T7_T9_mT8_S1C_bDpT10_ENKUlT_T0_E_clISt17integral_constantIbLb0EES1O_IbLb1EEEEDaS1K_S1L_EUlS1K_E_NS1_11comp_targetILNS1_3genE0ELNS1_11target_archE4294967295ELNS1_3gpuE0ELNS1_3repE0EEENS1_30default_config_static_selectorELNS0_4arch9wavefront6targetE0EEEvSY_
; %bb.0:
	s_clause 0x5
	s_load_b64 s[16:17], s[0:1], 0x10
	s_load_b128 s[12:15], s[0:1], 0x48
	s_load_b64 s[18:19], s[0:1], 0x58
	s_load_b64 s[20:21], s[0:1], 0x68
	s_load_b32 s3, s[0:1], 0x90
	s_load_b128 s[4:7], s[0:1], 0x80
	v_cmp_eq_u32_e64 s2, 0, v0
	s_and_saveexec_b32 s8, s2
	s_cbranch_execz .LBB1618_4
; %bb.1:
	s_mov_b32 s10, exec_lo
	s_mov_b32 s9, exec_lo
	v_mbcnt_lo_u32_b32 v1, s10, 0
                                        ; implicit-def: $vgpr2
	s_delay_alu instid0(VALU_DEP_1)
	v_cmpx_eq_u32_e32 0, v1
	s_cbranch_execz .LBB1618_3
; %bb.2:
	s_load_b64 s[22:23], s[0:1], 0x78
	s_bcnt1_i32_b32 s10, s10
	s_delay_alu instid0(SALU_CYCLE_1)
	v_dual_mov_b32 v2, 0 :: v_dual_mov_b32 v3, s10
	s_wait_xcnt 0x0
	s_wait_kmcnt 0x0
	global_atomic_add_u32 v2, v2, v3, s[22:23] th:TH_ATOMIC_RETURN scope:SCOPE_DEV
.LBB1618_3:
	s_wait_xcnt 0x0
	s_or_b32 exec_lo, exec_lo, s9
	s_wait_loadcnt 0x0
	v_readfirstlane_b32 s9, v2
	s_delay_alu instid0(VALU_DEP_1)
	v_dual_mov_b32 v2, 0 :: v_dual_add_nc_u32 v1, s9, v1
	ds_store_b32 v2, v1
.LBB1618_4:
	s_or_b32 exec_lo, exec_lo, s8
	v_dual_mov_b32 v1, 0 :: v_dual_lshlrev_b32 v19, 2, v0
	s_clause 0x2
	s_load_b32 s8, s[0:1], 0x8
	s_load_b64 s[10:11], s[0:1], 0x28
	s_load_b32 s9, s[0:1], 0x70
	s_wait_dscnt 0x0
	s_barrier_signal -1
	s_barrier_wait -1
	ds_load_b32 v4, v1
	s_wait_dscnt 0x0
	s_barrier_signal -1
	s_barrier_wait -1
	s_wait_kmcnt 0x0
	global_load_b64 v[42:43], v1, s[14:15]
	s_mov_b32 s1, 0
	s_add_co_i32 s8, s8, s16
	s_mul_i32 s0, s9, 0xd00
	s_add_co_i32 s9, s9, -1
	s_wait_xcnt 0x0
	s_add_nc_u64 s[14:15], s[16:17], s[0:1]
	s_add_co_i32 s0, s0, s16
	v_cmp_gt_u64_e64 s1, s[18:19], s[14:15]
	v_readfirstlane_b32 s23, v4
	s_sub_co_i32 s22, s18, s0
	v_cmp_ne_u32_e32 vcc_lo, s9, v4
	s_addk_co_i32 s22, 0xd00
	s_mov_b32 s15, -1
	s_cmp_eq_u32 s23, s9
	s_mul_i32 s14, s23, 0xd00
	s_cselect_b32 s9, -1, 0
	s_or_b32 s1, s1, vcc_lo
	s_delay_alu instid0(SALU_CYCLE_1)
	s_and_b32 vcc_lo, exec_lo, s1
	s_cbranch_vccz .LBB1618_6
; %bb.5:
	v_add3_u32 v1, s14, s8, v0
	s_mov_b32 s15, 0
	s_delay_alu instid0(VALU_DEP_1)
	v_add_nc_u32_e32 v2, 0x100, v1
	v_add_nc_u32_e32 v3, 0x200, v1
	;; [unrolled: 1-line block ×12, first 2 shown]
	ds_store_2addr_stride64_b32 v19, v1, v2 offset1:4
	ds_store_2addr_stride64_b32 v19, v3, v5 offset0:8 offset1:12
	ds_store_2addr_stride64_b32 v19, v6, v7 offset0:16 offset1:20
	;; [unrolled: 1-line block ×5, first 2 shown]
	ds_store_b32 v19, v14 offset:12288
	s_wait_loadcnt_dscnt 0x0
	s_barrier_signal -1
	s_barrier_wait -1
.LBB1618_6:
	v_cmp_gt_u32_e64 s0, s22, v0
	v_or_b32_e32 v40, 0x100, v0
	v_or_b32_e32 v38, 0x200, v0
	;; [unrolled: 1-line block ×12, first 2 shown]
	s_and_not1_b32 vcc_lo, exec_lo, s15
	s_cbranch_vccnz .LBB1618_8
; %bb.7:
	s_add_co_i32 s8, s14, s8
	v_cmp_gt_u32_e32 vcc_lo, s22, v40
	v_dual_add_nc_u32 v1, s8, v0 :: v_dual_add_nc_u32 v3, s8, v38
	v_dual_add_nc_u32 v2, s8, v40 :: v_dual_add_nc_u32 v8, s8, v30
	s_delay_alu instid0(VALU_DEP_2) | instskip(NEXT) | instid1(VALU_DEP_2)
	v_dual_add_nc_u32 v9, s8, v28 :: v_dual_cndmask_b32 v1, 0, v1, s0
	v_dual_cndmask_b32 v2, 0, v2 :: v_dual_add_nc_u32 v5, s8, v36
	v_cmp_gt_u32_e32 vcc_lo, s22, v38
	v_dual_add_nc_u32 v12, s8, v22 :: v_dual_add_nc_u32 v13, s8, v20
	v_dual_add_nc_u32 v6, s8, v34 :: v_dual_add_nc_u32 v7, s8, v32
	v_cndmask_b32_e32 v3, 0, v3, vcc_lo
	v_cmp_gt_u32_e32 vcc_lo, s22, v36
	v_dual_add_nc_u32 v10, s8, v26 :: v_dual_add_nc_u32 v11, s8, v24
	v_cndmask_b32_e32 v5, 0, v5, vcc_lo
	v_cmp_gt_u32_e32 vcc_lo, s22, v34
	v_cndmask_b32_e32 v6, 0, v6, vcc_lo
	v_cmp_gt_u32_e32 vcc_lo, s22, v32
	;; [unrolled: 2-line block ×7, first 2 shown]
	v_dual_add_nc_u32 v14, s8, v18 :: v_dual_cndmask_b32 v12, 0, v12, vcc_lo
	v_cmp_gt_u32_e32 vcc_lo, s22, v20
	v_cndmask_b32_e32 v13, 0, v13, vcc_lo
	v_cmp_gt_u32_e32 vcc_lo, s22, v18
	s_delay_alu instid0(VALU_DEP_4)
	v_cndmask_b32_e32 v14, 0, v14, vcc_lo
	ds_store_2addr_stride64_b32 v19, v1, v2 offset1:4
	ds_store_2addr_stride64_b32 v19, v3, v5 offset0:8 offset1:12
	ds_store_2addr_stride64_b32 v19, v6, v7 offset0:16 offset1:20
	;; [unrolled: 1-line block ×5, first 2 shown]
	ds_store_b32 v19, v14 offset:12288
	s_wait_loadcnt_dscnt 0x0
	s_barrier_signal -1
	s_barrier_wait -1
.LBB1618_8:
	v_mul_u32_u24_e32 v23, 13, v0
	s_wait_loadcnt 0x0
	v_cndmask_b32_e64 v21, 0, 1, s1
	s_and_not1_b32 vcc_lo, exec_lo, s1
	s_delay_alu instid0(VALU_DEP_2)
	v_lshlrev_b32_e32 v2, 2, v23
	ds_load_2addr_b32 v[52:53], v2 offset0:2 offset1:3
	ds_load_2addr_b32 v[48:49], v2 offset0:6 offset1:7
	ds_load_2addr_b32 v[50:51], v2 offset0:4 offset1:5
	ds_load_2addr_b32 v[54:55], v2 offset1:1
	ds_load_2addr_b32 v[44:45], v2 offset0:10 offset1:11
	ds_load_b32 v1, v2 offset:48
	ds_load_2addr_b32 v[46:47], v2 offset0:8 offset1:9
	s_wait_dscnt 0x0
	s_barrier_signal -1
	s_barrier_wait -1
	s_cbranch_vccnz .LBB1618_10
; %bb.9:
	v_dual_add_nc_u32 v2, s5, v53 :: v_dual_add_nc_u32 v3, s5, v55
	v_dual_add_nc_u32 v5, s5, v54 :: v_dual_add_nc_u32 v6, s5, v52
	;; [unrolled: 1-line block ×4, first 2 shown]
	s_delay_alu instid0(VALU_DEP_3) | instskip(NEXT) | instid1(VALU_DEP_4)
	v_mul_lo_u32 v6, v6, s4
	v_mul_lo_u32 v5, v5, s4
	;; [unrolled: 1-line block ×8, first 2 shown]
	v_dual_add_nc_u32 v11, s5, v50 :: v_dual_add_nc_u32 v12, s7, v50
	v_dual_add_nc_u32 v13, s5, v48 :: v_dual_add_nc_u32 v15, s7, v45
	v_add_nc_u32_e32 v16, s5, v44
	s_delay_alu instid0(VALU_DEP_3) | instskip(NEXT) | instid1(VALU_DEP_4)
	v_mul_lo_u32 v11, v11, s4
	v_mul_lo_u32 v12, v12, s6
	v_dual_sub_nc_u32 v2, v2, v7 :: v_dual_sub_nc_u32 v3, v3, v8
	v_dual_sub_nc_u32 v5, v5, v9 :: v_dual_sub_nc_u32 v6, v6, v10
	v_dual_add_nc_u32 v7, s5, v51 :: v_dual_add_nc_u32 v8, s7, v51
	v_dual_add_nc_u32 v9, s5, v49 :: v_dual_add_nc_u32 v10, s7, v49
	s_delay_alu instid0(VALU_DEP_4) | instskip(NEXT) | instid1(VALU_DEP_3)
	v_cmp_lt_u32_e32 vcc_lo, s3, v2
	v_mul_lo_u32 v7, v7, s4
	s_delay_alu instid0(VALU_DEP_4) | instskip(NEXT) | instid1(VALU_DEP_4)
	v_mul_lo_u32 v8, v8, s6
	v_mul_lo_u32 v9, v9, s4
	v_mul_lo_u32 v10, v10, s6
	v_cndmask_b32_e64 v2, 0, 1, vcc_lo
	v_cmp_lt_u32_e32 vcc_lo, s3, v3
	v_dual_add_nc_u32 v17, s7, v47 :: v_dual_add_nc_u32 v25, s7, v46
	v_mul_lo_u32 v15, v15, s6
	v_add_nc_u32_e32 v14, s5, v46
	v_cndmask_b32_e64 v3, 0, 1, vcc_lo
	s_delay_alu instid0(VALU_DEP_4) | instskip(SKIP_4) | instid1(VALU_DEP_3)
	v_mul_lo_u32 v17, v17, s6
	v_sub_nc_u32_e32 v7, v7, v8
	v_dual_add_nc_u32 v8, s7, v48 :: v_dual_sub_nc_u32 v9, v9, v10
	v_dual_sub_nc_u32 v10, v11, v12 :: v_dual_add_nc_u32 v11, s5, v45
	v_mul_lo_u32 v13, v13, s4
	v_mul_lo_u32 v8, v8, s6
	v_add_nc_u32_e32 v12, s5, v47
	v_cmp_lt_u32_e32 vcc_lo, s3, v7
	v_mul_lo_u32 v11, v11, s4
	v_lshlrev_b16 v3, 8, v3
	v_mul_lo_u32 v14, v14, s4
	v_mul_lo_u32 v12, v12, s4
	v_cndmask_b32_e64 v7, 0, 1, vcc_lo
	v_cmp_lt_u32_e32 vcc_lo, s3, v9
	v_lshrrev_b32_e32 v3, 8, v3
	v_mul_lo_u32 v25, v25, s6
	v_sub_nc_u32_e32 v8, v13, v8
	v_lshlrev_b16 v7, 8, v7
	v_cndmask_b32_e64 v9, 0, 1, vcc_lo
	v_sub_nc_u32_e32 v11, v11, v15
	v_cmp_lt_u32_e32 vcc_lo, s3, v5
	s_delay_alu instid0(VALU_DEP_4)
	v_dual_add_nc_u32 v27, s7, v44 :: v_dual_lshrrev_b32 v7, 8, v7
	v_sub_nc_u32_e32 v12, v12, v17
	v_mul_lo_u32 v13, v16, s4
	v_cndmask_b32_e64 v5, 0, 1, vcc_lo
	v_cmp_lt_u32_e32 vcc_lo, s3, v11
	v_mul_lo_u32 v16, v27, s6
	v_dual_add_nc_u32 v15, s5, v1 :: v_dual_add_nc_u32 v27, s7, v1
	v_lshlrev_b16 v2, 8, v2
	v_cndmask_b32_e64 v11, 0, 1, vcc_lo
	v_cmp_lt_u32_e32 vcc_lo, s3, v12
	s_delay_alu instid0(VALU_DEP_4)
	v_mul_lo_u32 v15, v15, s4
	v_mul_lo_u32 v17, v27, s6
	v_sub_nc_u32_e32 v14, v14, v25
	v_lshlrev_b16 v3, 8, v3
	v_cndmask_b32_e64 v12, 0, 1, vcc_lo
	v_cmp_lt_u32_e32 vcc_lo, s3, v6
	v_dual_sub_nc_u32 v13, v13, v16 :: v_dual_lshrrev_b32 v2, 8, v2
	s_delay_alu instid0(VALU_DEP_4)
	v_or_b32_e32 v3, v5, v3
	v_lshlrev_b16 v5, 8, v11
	v_cndmask_b32_e64 v6, 0, 1, vcc_lo
	v_cmp_lt_u32_e32 vcc_lo, s3, v10
	v_lshlrev_b16 v11, 8, v12
	v_lshlrev_b16 v9, 8, v9
	v_sub_nc_u32_e32 v12, v15, v17
	v_lshlrev_b16 v2, 8, v2
	v_cndmask_b32_e64 v10, 0, 1, vcc_lo
	v_cmp_lt_u32_e32 vcc_lo, s3, v8
	v_lshlrev_b16 v7, 8, v7
	v_dual_lshrrev_b32 v11, 8, v11 :: v_dual_lshrrev_b32 v5, 8, v5
	v_or_b32_e32 v2, v6, v2
	v_cndmask_b32_e64 v8, 0, 1, vcc_lo
	v_cmp_lt_u32_e32 vcc_lo, s3, v14
	s_delay_alu instid0(VALU_DEP_4)
	v_lshlrev_b16 v11, 8, v11
	v_lshlrev_b16 v5, 8, v5
	v_dual_lshlrev_b32 v2, 16, v2 :: v_dual_bitop2_b32 v6, v10, v7 bitop3:0x54
	v_cndmask_b32_e64 v14, 0, 1, vcc_lo
	v_cmp_lt_u32_e32 vcc_lo, s3, v13
	v_or_b32_e32 v7, v8, v9
	v_and_b32_e32 v3, 0xffff, v3
	v_and_b32_e32 v6, 0xffff, v6
	v_cndmask_b32_e64 v13, 0, 1, vcc_lo
	s_delay_alu instid0(VALU_DEP_4) | instskip(SKIP_2) | instid1(VALU_DEP_4)
	v_lshlrev_b32_e32 v7, 16, v7
	v_cmp_lt_u32_e32 vcc_lo, s3, v12
	v_or_b32_e32 v35, v3, v2
	v_or_b32_e32 v5, v13, v5
	;; [unrolled: 1-line block ×3, first 2 shown]
	v_cndmask_b32_e64 v25, 0, 1, vcc_lo
	s_delay_alu instid0(VALU_DEP_3) | instskip(NEXT) | instid1(VALU_DEP_3)
	v_dual_lshlrev_b32 v5, 16, v5 :: v_dual_bitop2_b32 v31, v6, v7 bitop3:0x54
	v_and_b32_e32 v8, 0xffff, v8
	s_delay_alu instid0(VALU_DEP_1)
	v_or_b32_e32 v27, v8, v5
	s_cbranch_execz .LBB1618_11
	s_branch .LBB1618_38
.LBB1618_10:
                                        ; implicit-def: $vgpr25
                                        ; implicit-def: $vgpr27
                                        ; implicit-def: $vgpr31
                                        ; implicit-def: $vgpr35
.LBB1618_11:
	v_dual_mov_b32 v3, 0 :: v_dual_mov_b32 v2, 0
	s_mov_b32 s0, exec_lo
	v_cmpx_gt_u32_e64 s22, v23
	s_cbranch_execz .LBB1618_13
; %bb.12:
	v_dual_add_nc_u32 v2, s5, v54 :: v_dual_add_nc_u32 v5, s7, v54
	s_delay_alu instid0(VALU_DEP_1) | instskip(NEXT) | instid1(VALU_DEP_2)
	v_mul_lo_u32 v2, v2, s4
	v_mul_lo_u32 v5, v5, s6
	s_delay_alu instid0(VALU_DEP_1) | instskip(NEXT) | instid1(VALU_DEP_1)
	v_sub_nc_u32_e32 v2, v2, v5
	v_cmp_lt_u32_e32 vcc_lo, s3, v2
	v_cndmask_b32_e64 v2, 0, 1, vcc_lo
.LBB1618_13:
	s_or_b32 exec_lo, exec_lo, s0
	v_add_nc_u32_e32 v5, 1, v23
	s_mov_b32 s0, exec_lo
	s_delay_alu instid0(VALU_DEP_1)
	v_cmpx_gt_u32_e64 s22, v5
	s_cbranch_execz .LBB1618_15
; %bb.14:
	v_dual_add_nc_u32 v3, s5, v55 :: v_dual_add_nc_u32 v5, s7, v55
	s_delay_alu instid0(VALU_DEP_1) | instskip(NEXT) | instid1(VALU_DEP_2)
	v_mul_lo_u32 v3, v3, s4
	v_mul_lo_u32 v5, v5, s6
	s_delay_alu instid0(VALU_DEP_1) | instskip(NEXT) | instid1(VALU_DEP_1)
	v_sub_nc_u32_e32 v3, v3, v5
	v_cmp_lt_u32_e32 vcc_lo, s3, v3
	v_cndmask_b32_e64 v3, 0, 1, vcc_lo
.LBB1618_15:
	s_or_b32 exec_lo, exec_lo, s0
	v_dual_mov_b32 v6, 0 :: v_dual_add_nc_u32 v5, 2, v23
	s_delay_alu instid0(VALU_DEP_1)
	v_cmp_gt_u32_e32 vcc_lo, s22, v5
	v_mov_b32_e32 v5, 0
	s_and_saveexec_b32 s0, vcc_lo
	s_cbranch_execz .LBB1618_17
; %bb.16:
	v_dual_add_nc_u32 v5, s5, v52 :: v_dual_add_nc_u32 v7, s7, v52
	s_delay_alu instid0(VALU_DEP_1) | instskip(NEXT) | instid1(VALU_DEP_2)
	v_mul_lo_u32 v5, v5, s4
	v_mul_lo_u32 v7, v7, s6
	s_delay_alu instid0(VALU_DEP_1) | instskip(NEXT) | instid1(VALU_DEP_1)
	v_sub_nc_u32_e32 v5, v5, v7
	v_cmp_lt_u32_e32 vcc_lo, s3, v5
	v_cndmask_b32_e64 v5, 0, 1, vcc_lo
.LBB1618_17:
	s_or_b32 exec_lo, exec_lo, s0
	v_add_nc_u32_e32 v7, 3, v23
	s_mov_b32 s0, exec_lo
	s_delay_alu instid0(VALU_DEP_1)
	v_cmpx_gt_u32_e64 s22, v7
	s_cbranch_execz .LBB1618_19
; %bb.18:
	v_dual_add_nc_u32 v6, s5, v53 :: v_dual_add_nc_u32 v7, s7, v53
	s_delay_alu instid0(VALU_DEP_1) | instskip(NEXT) | instid1(VALU_DEP_2)
	v_mul_lo_u32 v6, v6, s4
	v_mul_lo_u32 v7, v7, s6
	s_delay_alu instid0(VALU_DEP_1) | instskip(NEXT) | instid1(VALU_DEP_1)
	v_sub_nc_u32_e32 v6, v6, v7
	v_cmp_lt_u32_e32 vcc_lo, s3, v6
	v_cndmask_b32_e64 v6, 0, 1, vcc_lo
.LBB1618_19:
	s_or_b32 exec_lo, exec_lo, s0
	v_dual_mov_b32 v8, 0 :: v_dual_add_nc_u32 v7, 4, v23
	s_delay_alu instid0(VALU_DEP_1)
	v_cmp_gt_u32_e32 vcc_lo, s22, v7
	v_mov_b32_e32 v7, 0
	s_and_saveexec_b32 s0, vcc_lo
	s_cbranch_execz .LBB1618_21
; %bb.20:
	v_dual_add_nc_u32 v7, s5, v50 :: v_dual_add_nc_u32 v9, s7, v50
	s_delay_alu instid0(VALU_DEP_1) | instskip(NEXT) | instid1(VALU_DEP_2)
	v_mul_lo_u32 v7, v7, s4
	v_mul_lo_u32 v9, v9, s6
	s_delay_alu instid0(VALU_DEP_1) | instskip(NEXT) | instid1(VALU_DEP_1)
	v_sub_nc_u32_e32 v7, v7, v9
	v_cmp_lt_u32_e32 vcc_lo, s3, v7
	v_cndmask_b32_e64 v7, 0, 1, vcc_lo
.LBB1618_21:
	s_or_b32 exec_lo, exec_lo, s0
	v_add_nc_u32_e32 v9, 5, v23
	s_mov_b32 s0, exec_lo
	s_delay_alu instid0(VALU_DEP_1)
	v_cmpx_gt_u32_e64 s22, v9
	s_cbranch_execz .LBB1618_23
; %bb.22:
	v_dual_add_nc_u32 v8, s5, v51 :: v_dual_add_nc_u32 v9, s7, v51
	s_delay_alu instid0(VALU_DEP_1) | instskip(NEXT) | instid1(VALU_DEP_2)
	v_mul_lo_u32 v8, v8, s4
	v_mul_lo_u32 v9, v9, s6
	s_delay_alu instid0(VALU_DEP_1) | instskip(NEXT) | instid1(VALU_DEP_1)
	v_sub_nc_u32_e32 v8, v8, v9
	v_cmp_lt_u32_e32 vcc_lo, s3, v8
	v_cndmask_b32_e64 v8, 0, 1, vcc_lo
.LBB1618_23:
	s_or_b32 exec_lo, exec_lo, s0
	v_dual_mov_b32 v10, 0 :: v_dual_add_nc_u32 v9, 6, v23
	s_delay_alu instid0(VALU_DEP_1)
	v_cmp_gt_u32_e32 vcc_lo, s22, v9
	v_mov_b32_e32 v9, 0
	s_and_saveexec_b32 s0, vcc_lo
	s_cbranch_execz .LBB1618_25
; %bb.24:
	v_dual_add_nc_u32 v9, s5, v48 :: v_dual_add_nc_u32 v11, s7, v48
	s_delay_alu instid0(VALU_DEP_1) | instskip(NEXT) | instid1(VALU_DEP_2)
	v_mul_lo_u32 v9, v9, s4
	v_mul_lo_u32 v11, v11, s6
	s_delay_alu instid0(VALU_DEP_1) | instskip(NEXT) | instid1(VALU_DEP_1)
	v_sub_nc_u32_e32 v9, v9, v11
	v_cmp_lt_u32_e32 vcc_lo, s3, v9
	v_cndmask_b32_e64 v9, 0, 1, vcc_lo
.LBB1618_25:
	s_or_b32 exec_lo, exec_lo, s0
	v_add_nc_u32_e32 v11, 7, v23
	s_mov_b32 s0, exec_lo
	s_delay_alu instid0(VALU_DEP_1)
	v_cmpx_gt_u32_e64 s22, v11
	s_cbranch_execz .LBB1618_27
; %bb.26:
	v_dual_add_nc_u32 v10, s5, v49 :: v_dual_add_nc_u32 v11, s7, v49
	s_delay_alu instid0(VALU_DEP_1) | instskip(NEXT) | instid1(VALU_DEP_2)
	v_mul_lo_u32 v10, v10, s4
	v_mul_lo_u32 v11, v11, s6
	s_delay_alu instid0(VALU_DEP_1) | instskip(NEXT) | instid1(VALU_DEP_1)
	v_sub_nc_u32_e32 v10, v10, v11
	v_cmp_lt_u32_e32 vcc_lo, s3, v10
	v_cndmask_b32_e64 v10, 0, 1, vcc_lo
.LBB1618_27:
	s_or_b32 exec_lo, exec_lo, s0
	v_dual_mov_b32 v12, 0 :: v_dual_add_nc_u32 v11, 8, v23
	s_delay_alu instid0(VALU_DEP_1)
	v_cmp_gt_u32_e32 vcc_lo, s22, v11
	v_mov_b32_e32 v11, 0
	s_and_saveexec_b32 s0, vcc_lo
	s_cbranch_execz .LBB1618_29
; %bb.28:
	v_dual_add_nc_u32 v11, s5, v46 :: v_dual_add_nc_u32 v13, s7, v46
	s_delay_alu instid0(VALU_DEP_1) | instskip(NEXT) | instid1(VALU_DEP_2)
	v_mul_lo_u32 v11, v11, s4
	v_mul_lo_u32 v13, v13, s6
	s_delay_alu instid0(VALU_DEP_1) | instskip(NEXT) | instid1(VALU_DEP_1)
	v_sub_nc_u32_e32 v11, v11, v13
	v_cmp_lt_u32_e32 vcc_lo, s3, v11
	v_cndmask_b32_e64 v11, 0, 1, vcc_lo
.LBB1618_29:
	s_or_b32 exec_lo, exec_lo, s0
	v_add_nc_u32_e32 v13, 9, v23
	s_mov_b32 s0, exec_lo
	s_delay_alu instid0(VALU_DEP_1)
	v_cmpx_gt_u32_e64 s22, v13
	s_cbranch_execz .LBB1618_31
; %bb.30:
	v_dual_add_nc_u32 v12, s5, v47 :: v_dual_add_nc_u32 v13, s7, v47
	s_delay_alu instid0(VALU_DEP_1) | instskip(NEXT) | instid1(VALU_DEP_2)
	v_mul_lo_u32 v12, v12, s4
	v_mul_lo_u32 v13, v13, s6
	s_delay_alu instid0(VALU_DEP_1) | instskip(NEXT) | instid1(VALU_DEP_1)
	v_sub_nc_u32_e32 v12, v12, v13
	v_cmp_lt_u32_e32 vcc_lo, s3, v12
	v_cndmask_b32_e64 v12, 0, 1, vcc_lo
.LBB1618_31:
	s_or_b32 exec_lo, exec_lo, s0
	v_dual_mov_b32 v14, 0 :: v_dual_add_nc_u32 v13, 10, v23
	s_delay_alu instid0(VALU_DEP_1)
	v_cmp_gt_u32_e32 vcc_lo, s22, v13
	v_mov_b32_e32 v13, 0
	s_and_saveexec_b32 s0, vcc_lo
	s_cbranch_execz .LBB1618_33
; %bb.32:
	v_dual_add_nc_u32 v13, s5, v44 :: v_dual_add_nc_u32 v15, s7, v44
	s_delay_alu instid0(VALU_DEP_1) | instskip(NEXT) | instid1(VALU_DEP_2)
	v_mul_lo_u32 v13, v13, s4
	v_mul_lo_u32 v15, v15, s6
	s_delay_alu instid0(VALU_DEP_1) | instskip(NEXT) | instid1(VALU_DEP_1)
	v_sub_nc_u32_e32 v13, v13, v15
	v_cmp_lt_u32_e32 vcc_lo, s3, v13
	v_cndmask_b32_e64 v13, 0, 1, vcc_lo
.LBB1618_33:
	s_or_b32 exec_lo, exec_lo, s0
	v_add_nc_u32_e32 v15, 11, v23
	s_mov_b32 s0, exec_lo
	s_delay_alu instid0(VALU_DEP_1)
	v_cmpx_gt_u32_e64 s22, v15
	s_cbranch_execz .LBB1618_35
; %bb.34:
	v_dual_add_nc_u32 v14, s5, v45 :: v_dual_add_nc_u32 v15, s7, v45
	s_delay_alu instid0(VALU_DEP_1) | instskip(NEXT) | instid1(VALU_DEP_2)
	v_mul_lo_u32 v14, v14, s4
	v_mul_lo_u32 v15, v15, s6
	s_delay_alu instid0(VALU_DEP_1) | instskip(NEXT) | instid1(VALU_DEP_1)
	v_sub_nc_u32_e32 v14, v14, v15
	v_cmp_lt_u32_e32 vcc_lo, s3, v14
	v_cndmask_b32_e64 v14, 0, 1, vcc_lo
.LBB1618_35:
	s_or_b32 exec_lo, exec_lo, s0
	v_dual_add_nc_u32 v15, 12, v23 :: v_dual_mov_b32 v25, 0
	s_mov_b32 s0, exec_lo
	s_delay_alu instid0(VALU_DEP_1)
	v_cmpx_gt_u32_e64 s22, v15
	s_cbranch_execz .LBB1618_37
; %bb.36:
	v_dual_add_nc_u32 v15, s7, v1 :: v_dual_add_nc_u32 v16, s5, v1
	s_delay_alu instid0(VALU_DEP_1) | instskip(NEXT) | instid1(VALU_DEP_2)
	v_mul_lo_u32 v15, v15, s6
	v_mul_lo_u32 v16, v16, s4
	s_delay_alu instid0(VALU_DEP_1) | instskip(NEXT) | instid1(VALU_DEP_1)
	v_sub_nc_u32_e32 v15, v16, v15
	v_cmp_lt_u32_e32 vcc_lo, s3, v15
	v_cndmask_b32_e64 v25, 0, 1, vcc_lo
.LBB1618_37:
	s_or_b32 exec_lo, exec_lo, s0
	v_lshlrev_b16 v6, 8, v6
	v_lshlrev_b16 v8, 8, v8
	;; [unrolled: 1-line block ×5, first 2 shown]
	v_or_b32_e32 v5, v5, v6
	v_or_b32_e32 v6, v7, v8
	;; [unrolled: 1-line block ×3, first 2 shown]
	s_delay_alu instid0(VALU_DEP_1) | instskip(NEXT) | instid1(VALU_DEP_4)
	v_dual_lshlrev_b32 v7, 16, v7 :: v_dual_bitop2_b32 v8, v11, v12 bitop3:0x54
	v_dual_lshlrev_b32 v5, 16, v5 :: v_dual_bitop2_b32 v2, v2, v3 bitop3:0x54
	v_lshlrev_b16 v3, 8, v14
	s_delay_alu instid0(VALU_DEP_3) | instskip(NEXT) | instid1(VALU_DEP_3)
	v_and_b32_e32 v8, 0xffff, v8
	v_and_b32_e32 v2, 0xffff, v2
	s_delay_alu instid0(VALU_DEP_3) | instskip(NEXT) | instid1(VALU_DEP_1)
	v_or_b32_e32 v3, v13, v3
	v_dual_lshlrev_b32 v3, 16, v3 :: v_dual_bitop2_b32 v35, v2, v5 bitop3:0x54
	v_and_b32_e32 v6, 0xffff, v6
	s_delay_alu instid0(VALU_DEP_2) | instskip(NEXT) | instid1(VALU_DEP_2)
	v_or_b32_e32 v27, v8, v3
	v_or_b32_e32 v31, v6, v7
.LBB1618_38:
	s_delay_alu instid0(VALU_DEP_4) | instskip(SKIP_2) | instid1(VALU_DEP_4)
	v_bfe_u32 v39, v35, 16, 8
	v_bfe_u32 v41, v35, 8, 8
	v_and_b32_e32 v57, 0xff, v35
	v_and_b32_e32 v58, 0xff, v31
	v_mbcnt_lo_u32_b32 v64, -1, 0
	v_lshrrev_b32_e32 v37, 24, v35
	v_bfe_u32 v59, v31, 16, 8
	v_add3_u32 v2, v41, v57, v39
	v_bfe_u32 v60, v31, 8, 8
	v_dual_lshrrev_b32 v33, 24, v31 :: v_dual_bitop2_b32 v5, 15, v64 bitop3:0x40
	v_lshrrev_b32_e32 v65, 5, v0
	s_delay_alu instid0(VALU_DEP_4)
	v_add3_u32 v2, v2, v37, v58
	v_and_b32_e32 v61, 0xff, v27
	v_bfe_u32 v62, v27, 16, 8
	v_bfe_u32 v63, v27, 8, 8
	v_dual_lshrrev_b32 v29, 24, v27 :: v_dual_bitop2_b32 v6, 31, v0 bitop3:0x54
	v_add3_u32 v2, v2, v60, v59
	v_and_b32_e32 v3, 0xff, v25
	v_and_b32_e32 v7, 16, v64
	v_cmp_ne_u32_e32 vcc_lo, 0, v4
	v_cmp_eq_u32_e64 s6, 0, v5
	v_add3_u32 v2, v2, v33, v61
	v_cmp_lt_u32_e64 s5, 1, v5
	v_cmp_lt_u32_e64 s4, 3, v5
	;; [unrolled: 1-line block ×3, first 2 shown]
	v_cmp_eq_u32_e64 s1, 0, v7
	v_add3_u32 v2, v2, v63, v62
	v_cmp_eq_u32_e64 s0, v0, v6
	s_mov_b32 s7, -1
	v_add3_u32 v66, v2, v29, v3
	s_cbranch_vccz .LBB1618_60
; %bb.39:
	s_delay_alu instid0(VALU_DEP_1) | instskip(NEXT) | instid1(VALU_DEP_1)
	v_mov_b32_dpp v2, v66 row_shr:1 row_mask:0xf bank_mask:0xf
	v_cndmask_b32_e64 v2, v2, 0, s6
	s_delay_alu instid0(VALU_DEP_1) | instskip(NEXT) | instid1(VALU_DEP_1)
	v_add_nc_u32_e32 v2, v2, v66
	v_mov_b32_dpp v3, v2 row_shr:2 row_mask:0xf bank_mask:0xf
	s_delay_alu instid0(VALU_DEP_1) | instskip(NEXT) | instid1(VALU_DEP_1)
	v_cndmask_b32_e64 v3, 0, v3, s5
	v_add_nc_u32_e32 v2, v2, v3
	s_delay_alu instid0(VALU_DEP_1) | instskip(NEXT) | instid1(VALU_DEP_1)
	v_mov_b32_dpp v3, v2 row_shr:4 row_mask:0xf bank_mask:0xf
	v_cndmask_b32_e64 v3, 0, v3, s4
	s_delay_alu instid0(VALU_DEP_1) | instskip(NEXT) | instid1(VALU_DEP_1)
	v_add_nc_u32_e32 v2, v2, v3
	v_mov_b32_dpp v3, v2 row_shr:8 row_mask:0xf bank_mask:0xf
	s_delay_alu instid0(VALU_DEP_1) | instskip(NEXT) | instid1(VALU_DEP_1)
	v_cndmask_b32_e64 v3, 0, v3, s3
	v_add_nc_u32_e32 v2, v2, v3
	ds_swizzle_b32 v3, v2 offset:swizzle(BROADCAST,32,15)
	s_wait_dscnt 0x0
	v_cndmask_b32_e64 v3, v3, 0, s1
	s_delay_alu instid0(VALU_DEP_1)
	v_add_nc_u32_e32 v2, v2, v3
	s_and_saveexec_b32 s7, s0
; %bb.40:
	v_lshlrev_b32_e32 v3, 2, v65
	ds_store_b32 v3, v2
; %bb.41:
	s_or_b32 exec_lo, exec_lo, s7
	s_delay_alu instid0(SALU_CYCLE_1)
	s_mov_b32 s7, exec_lo
	s_wait_dscnt 0x0
	s_barrier_signal -1
	s_barrier_wait -1
	v_cmpx_gt_u32_e32 8, v0
	s_cbranch_execz .LBB1618_43
; %bb.42:
	ds_load_b32 v3, v19
	s_wait_dscnt 0x0
	v_mov_b32_dpp v6, v3 row_shr:1 row_mask:0xf bank_mask:0xf
	v_and_b32_e32 v5, 7, v64
	s_delay_alu instid0(VALU_DEP_1) | instskip(NEXT) | instid1(VALU_DEP_3)
	v_cmp_ne_u32_e32 vcc_lo, 0, v5
	v_cndmask_b32_e32 v6, 0, v6, vcc_lo
	v_cmp_lt_u32_e32 vcc_lo, 1, v5
	s_delay_alu instid0(VALU_DEP_2) | instskip(NEXT) | instid1(VALU_DEP_1)
	v_add_nc_u32_e32 v3, v6, v3
	v_mov_b32_dpp v6, v3 row_shr:2 row_mask:0xf bank_mask:0xf
	s_delay_alu instid0(VALU_DEP_1) | instskip(SKIP_1) | instid1(VALU_DEP_2)
	v_cndmask_b32_e32 v6, 0, v6, vcc_lo
	v_cmp_lt_u32_e32 vcc_lo, 3, v5
	v_add_nc_u32_e32 v3, v3, v6
	s_delay_alu instid0(VALU_DEP_1) | instskip(NEXT) | instid1(VALU_DEP_1)
	v_mov_b32_dpp v6, v3 row_shr:4 row_mask:0xf bank_mask:0xf
	v_cndmask_b32_e32 v5, 0, v6, vcc_lo
	s_delay_alu instid0(VALU_DEP_1)
	v_add_nc_u32_e32 v3, v3, v5
	ds_store_b32 v19, v3
.LBB1618_43:
	s_or_b32 exec_lo, exec_lo, s7
	s_delay_alu instid0(SALU_CYCLE_1)
	s_mov_b32 s8, exec_lo
	v_cmp_gt_u32_e32 vcc_lo, 32, v0
	s_wait_dscnt 0x0
	s_barrier_signal -1
	s_barrier_wait -1
                                        ; implicit-def: $vgpr10
	v_cmpx_lt_u32_e32 31, v0
	s_cbranch_execz .LBB1618_45
; %bb.44:
	v_lshl_add_u32 v3, v65, 2, -4
	ds_load_b32 v10, v3
	s_wait_dscnt 0x0
	v_add_nc_u32_e32 v2, v10, v2
.LBB1618_45:
	s_or_b32 exec_lo, exec_lo, s8
	v_sub_co_u32 v3, s7, v64, 1
	s_delay_alu instid0(VALU_DEP_1) | instskip(NEXT) | instid1(VALU_DEP_1)
	v_cmp_gt_i32_e64 s8, 0, v3
	v_cndmask_b32_e64 v3, v3, v64, s8
	s_delay_alu instid0(VALU_DEP_1)
	v_lshlrev_b32_e32 v3, 2, v3
	ds_bpermute_b32 v11, v3, v2
	s_and_saveexec_b32 s8, vcc_lo
	s_cbranch_execz .LBB1618_65
; %bb.46:
	v_dual_mov_b32 v9, 0 :: v_dual_add_nc_u32 v12, 32, v4
	ds_load_b32 v2, v9 offset:28
	s_and_saveexec_b32 s15, s7
	s_cbranch_execz .LBB1618_48
; %bb.47:
	v_mov_b32_e32 v3, 1
	s_wait_dscnt 0x0
	global_store_b64 v12, v[2:3], s[20:21] scale_offset scope:SCOPE_DEV
.LBB1618_48:
	s_wait_xcnt 0x0
	s_or_b32 exec_lo, exec_lo, s15
	v_xad_u32 v4, v64, -1, v4
	s_mov_b32 s23, 0
	s_mov_b32 s15, exec_lo
	s_delay_alu instid0(VALU_DEP_1) | instskip(SKIP_4) | instid1(VALU_DEP_1)
	v_add_nc_u32_e32 v8, 32, v4
	global_load_b64 v[6:7], v8, s[20:21] scale_offset scope:SCOPE_DEV
	s_wait_loadcnt 0x0
	v_and_b32_e32 v3, 0xff, v7
	s_wait_xcnt 0x0
	v_cmpx_eq_u16_e32 0, v3
	s_cbranch_execz .LBB1618_52
; %bb.49:
	v_lshl_add_u64 v[8:9], v[8:9], 3, s[20:21]
.LBB1618_50:                            ; =>This Inner Loop Header: Depth=1
	global_load_b64 v[6:7], v[8:9], off scope:SCOPE_DEV
	s_wait_loadcnt 0x0
	v_and_b32_e32 v3, 0xff, v7
	s_delay_alu instid0(VALU_DEP_1)
	v_cmp_ne_u16_e32 vcc_lo, 0, v3
	s_or_b32 s23, vcc_lo, s23
	s_wait_xcnt 0x0
	s_and_not1_b32 exec_lo, exec_lo, s23
	s_cbranch_execnz .LBB1618_50
; %bb.51:
	s_or_b32 exec_lo, exec_lo, s23
.LBB1618_52:
	s_delay_alu instid0(SALU_CYCLE_1)
	s_or_b32 exec_lo, exec_lo, s15
	v_cmp_ne_u32_e32 vcc_lo, 31, v64
	v_lshlrev_b32_e64 v14, v64, -1
	v_lshl_or_b32 v69, v64, 2, 64
	v_dual_add_nc_u32 v16, 2, v64 :: v_dual_add_nc_u32 v56, 4, v64
	v_add_co_ci_u32_e64 v3, null, 0, v64, vcc_lo
	v_dual_add_nc_u32 v68, 8, v64 :: v_dual_add_nc_u32 v70, 16, v64
	s_delay_alu instid0(VALU_DEP_2)
	v_lshlrev_b32_e32 v13, 2, v3
	v_and_b32_e32 v3, 0xff, v7
	ds_bpermute_b32 v5, v13, v6
	v_cmp_eq_u16_e32 vcc_lo, 2, v3
	v_and_or_b32 v3, vcc_lo, v14, 0x80000000
	v_cmp_gt_u32_e32 vcc_lo, 30, v64
	s_delay_alu instid0(VALU_DEP_2) | instskip(SKIP_1) | instid1(VALU_DEP_2)
	v_ctz_i32_b32_e32 v3, v3
	v_cndmask_b32_e64 v8, 0, 2, vcc_lo
	v_cmp_lt_u32_e32 vcc_lo, v64, v3
	s_delay_alu instid0(VALU_DEP_2) | instskip(SKIP_3) | instid1(VALU_DEP_2)
	v_add_lshl_u32 v15, v8, v64, 2
	s_wait_dscnt 0x0
	v_cndmask_b32_e32 v5, 0, v5, vcc_lo
	v_cmp_gt_u32_e32 vcc_lo, 28, v64
	v_add_nc_u32_e32 v5, v5, v6
	v_cndmask_b32_e64 v8, 0, 4, vcc_lo
	v_cmp_le_u32_e32 vcc_lo, v16, v3
	ds_bpermute_b32 v6, v15, v5
	v_add_lshl_u32 v17, v8, v64, 2
	s_wait_dscnt 0x0
	v_cndmask_b32_e32 v6, 0, v6, vcc_lo
	v_cmp_gt_u32_e32 vcc_lo, 24, v64
	v_cndmask_b32_e64 v8, 0, 8, vcc_lo
	v_cmp_le_u32_e32 vcc_lo, v56, v3
	s_delay_alu instid0(VALU_DEP_4) | instskip(NEXT) | instid1(VALU_DEP_3)
	v_add_nc_u32_e32 v5, v5, v6
	v_add_lshl_u32 v67, v8, v64, 2
	ds_bpermute_b32 v6, v17, v5
	s_wait_dscnt 0x0
	v_cndmask_b32_e32 v6, 0, v6, vcc_lo
	v_cmp_le_u32_e32 vcc_lo, v68, v3
	s_delay_alu instid0(VALU_DEP_2) | instskip(SKIP_4) | instid1(VALU_DEP_2)
	v_add_nc_u32_e32 v5, v5, v6
	ds_bpermute_b32 v6, v67, v5
	s_wait_dscnt 0x0
	v_cndmask_b32_e32 v6, 0, v6, vcc_lo
	v_cmp_le_u32_e32 vcc_lo, v70, v3
	v_add_nc_u32_e32 v5, v5, v6
	ds_bpermute_b32 v6, v69, v5
	s_wait_dscnt 0x0
	v_cndmask_b32_e32 v3, 0, v6, vcc_lo
	s_delay_alu instid0(VALU_DEP_1)
	v_dual_mov_b32 v5, 0 :: v_dual_add_nc_u32 v6, v5, v3
	s_branch .LBB1618_56
.LBB1618_53:                            ;   in Loop: Header=BB1618_56 Depth=1
	s_or_b32 exec_lo, exec_lo, s23
.LBB1618_54:                            ;   in Loop: Header=BB1618_56 Depth=1
	s_delay_alu instid0(SALU_CYCLE_1)
	s_or_b32 exec_lo, exec_lo, s15
	v_and_b32_e32 v8, 0xff, v7
	ds_bpermute_b32 v9, v13, v6
	v_subrev_nc_u32_e32 v4, 32, v4
	s_mov_b32 s15, 0
	v_cmp_eq_u16_e32 vcc_lo, 2, v8
	v_and_or_b32 v8, vcc_lo, v14, 0x80000000
	s_delay_alu instid0(VALU_DEP_1) | instskip(NEXT) | instid1(VALU_DEP_1)
	v_ctz_i32_b32_e32 v8, v8
	v_cmp_lt_u32_e32 vcc_lo, v64, v8
	s_wait_dscnt 0x0
	v_cndmask_b32_e32 v9, 0, v9, vcc_lo
	v_cmp_le_u32_e32 vcc_lo, v16, v8
	s_delay_alu instid0(VALU_DEP_2) | instskip(SKIP_4) | instid1(VALU_DEP_2)
	v_add_nc_u32_e32 v6, v9, v6
	ds_bpermute_b32 v9, v15, v6
	s_wait_dscnt 0x0
	v_cndmask_b32_e32 v9, 0, v9, vcc_lo
	v_cmp_le_u32_e32 vcc_lo, v56, v8
	v_add_nc_u32_e32 v6, v6, v9
	ds_bpermute_b32 v9, v17, v6
	s_wait_dscnt 0x0
	v_cndmask_b32_e32 v9, 0, v9, vcc_lo
	v_cmp_le_u32_e32 vcc_lo, v68, v8
	s_delay_alu instid0(VALU_DEP_2) | instskip(SKIP_4) | instid1(VALU_DEP_2)
	v_add_nc_u32_e32 v6, v6, v9
	ds_bpermute_b32 v9, v67, v6
	s_wait_dscnt 0x0
	v_cndmask_b32_e32 v9, 0, v9, vcc_lo
	v_cmp_le_u32_e32 vcc_lo, v70, v8
	v_add_nc_u32_e32 v6, v6, v9
	ds_bpermute_b32 v9, v69, v6
	s_wait_dscnt 0x0
	v_cndmask_b32_e32 v8, 0, v9, vcc_lo
	s_delay_alu instid0(VALU_DEP_1)
	v_add3_u32 v6, v8, v3, v6
.LBB1618_55:                            ;   in Loop: Header=BB1618_56 Depth=1
	s_and_b32 vcc_lo, exec_lo, s15
	s_cbranch_vccnz .LBB1618_61
.LBB1618_56:                            ; =>This Loop Header: Depth=1
                                        ;     Child Loop BB1618_59 Depth 2
	v_and_b32_e32 v3, 0xff, v7
	s_mov_b32 s15, -1
                                        ; implicit-def: $vgpr7
	s_delay_alu instid0(VALU_DEP_1)
	v_cmp_ne_u16_e32 vcc_lo, 2, v3
	v_mov_b32_e32 v3, v6
                                        ; implicit-def: $vgpr6
	s_cmp_lg_u32 vcc_lo, exec_lo
	s_cbranch_scc1 .LBB1618_55
; %bb.57:                               ;   in Loop: Header=BB1618_56 Depth=1
	global_load_b64 v[6:7], v4, s[20:21] scale_offset scope:SCOPE_DEV
	s_mov_b32 s15, exec_lo
	s_wait_loadcnt 0x0
	v_and_b32_e32 v8, 0xff, v7
	s_wait_xcnt 0x0
	s_delay_alu instid0(VALU_DEP_1)
	v_cmpx_eq_u16_e32 0, v8
	s_cbranch_execz .LBB1618_54
; %bb.58:                               ;   in Loop: Header=BB1618_56 Depth=1
	v_lshl_add_u64 v[8:9], v[4:5], 3, s[20:21]
	s_mov_b32 s23, 0
.LBB1618_59:                            ;   Parent Loop BB1618_56 Depth=1
                                        ; =>  This Inner Loop Header: Depth=2
	global_load_b64 v[6:7], v[8:9], off scope:SCOPE_DEV
	s_wait_loadcnt 0x0
	v_and_b32_e32 v71, 0xff, v7
	s_delay_alu instid0(VALU_DEP_1)
	v_cmp_ne_u16_e32 vcc_lo, 0, v71
	s_or_b32 s23, vcc_lo, s23
	s_wait_xcnt 0x0
	s_and_not1_b32 exec_lo, exec_lo, s23
	s_cbranch_execnz .LBB1618_59
	s_branch .LBB1618_53
.LBB1618_60:
                                        ; implicit-def: $vgpr2_vgpr3_vgpr4_vgpr5_vgpr6_vgpr7_vgpr8_vgpr9_vgpr10_vgpr11_vgpr12_vgpr13_vgpr14_vgpr15_vgpr16_vgpr17
                                        ; implicit-def: $vgpr56
                                        ; implicit-def: $vgpr16
	s_and_b32 vcc_lo, exec_lo, s7
	s_cbranch_vccnz .LBB1618_66
	s_branch .LBB1618_75
.LBB1618_61:
	s_and_saveexec_b32 s15, s7
	s_cbranch_execz .LBB1618_63
; %bb.62:
	v_dual_mov_b32 v5, 2 :: v_dual_add_nc_u32 v4, v3, v2
	v_mov_b32_e32 v6, 0
	global_store_b64 v12, v[4:5], s[20:21] scale_offset scope:SCOPE_DEV
	ds_store_b64 v6, v[2:3] offset:13312
.LBB1618_63:
	s_wait_xcnt 0x0
	s_or_b32 exec_lo, exec_lo, s15
	s_delay_alu instid0(SALU_CYCLE_1)
	s_and_b32 exec_lo, exec_lo, s2
; %bb.64:
	v_mov_b32_e32 v2, 0
	ds_store_b32 v2, v3 offset:28
.LBB1618_65:
	s_or_b32 exec_lo, exec_lo, s8
	s_wait_dscnt 0x0
	v_dual_mov_b32 v12, 0 :: v_dual_cndmask_b32 v3, v11, v10, s7
	s_wait_storecnt 0x0
	s_barrier_signal -1
	s_barrier_wait -1
	ds_load_b32 v2, v12 offset:28
	v_cndmask_b32_e64 v3, v3, 0, s2
	s_wait_dscnt 0x0
	s_barrier_signal -1
	s_barrier_wait -1
	ds_load_b64 v[16:17], v12 offset:13312
	v_add_nc_u32_e32 v2, v2, v3
	s_wait_dscnt 0x0
	s_delay_alu instid0(VALU_DEP_1) | instskip(NEXT) | instid1(VALU_DEP_1)
	v_dual_mov_b32 v56, v17 :: v_dual_add_nc_u32 v3, v2, v57
	v_add_nc_u32_e32 v4, v3, v41
	s_delay_alu instid0(VALU_DEP_1) | instskip(NEXT) | instid1(VALU_DEP_1)
	v_add_nc_u32_e32 v5, v4, v39
	v_add_nc_u32_e32 v6, v5, v37
	s_delay_alu instid0(VALU_DEP_1) | instskip(NEXT) | instid1(VALU_DEP_1)
	v_add_nc_u32_e32 v7, v6, v58
	;; [unrolled: 3-line block ×5, first 2 shown]
	v_add_nc_u32_e32 v14, v13, v29
	s_branch .LBB1618_75
.LBB1618_66:
	v_mov_b32_dpp v2, v66 row_shr:1 row_mask:0xf bank_mask:0xf
	s_delay_alu instid0(VALU_DEP_1) | instskip(NEXT) | instid1(VALU_DEP_1)
	v_cndmask_b32_e64 v2, v2, 0, s6
	v_add_nc_u32_e32 v2, v2, v66
	s_delay_alu instid0(VALU_DEP_1) | instskip(NEXT) | instid1(VALU_DEP_1)
	v_mov_b32_dpp v3, v2 row_shr:2 row_mask:0xf bank_mask:0xf
	v_cndmask_b32_e64 v3, 0, v3, s5
	s_delay_alu instid0(VALU_DEP_1) | instskip(NEXT) | instid1(VALU_DEP_1)
	v_add_nc_u32_e32 v2, v2, v3
	v_mov_b32_dpp v3, v2 row_shr:4 row_mask:0xf bank_mask:0xf
	s_delay_alu instid0(VALU_DEP_1) | instskip(NEXT) | instid1(VALU_DEP_1)
	v_cndmask_b32_e64 v3, 0, v3, s4
	v_add_nc_u32_e32 v2, v2, v3
	s_delay_alu instid0(VALU_DEP_1) | instskip(NEXT) | instid1(VALU_DEP_1)
	v_mov_b32_dpp v3, v2 row_shr:8 row_mask:0xf bank_mask:0xf
	v_cndmask_b32_e64 v3, 0, v3, s3
	s_delay_alu instid0(VALU_DEP_1) | instskip(SKIP_3) | instid1(VALU_DEP_1)
	v_add_nc_u32_e32 v2, v2, v3
	ds_swizzle_b32 v3, v2 offset:swizzle(BROADCAST,32,15)
	s_wait_dscnt 0x0
	v_cndmask_b32_e64 v3, v3, 0, s1
	v_add_nc_u32_e32 v2, v2, v3
	s_and_saveexec_b32 s1, s0
; %bb.67:
	v_lshlrev_b32_e32 v3, 2, v65
	ds_store_b32 v3, v2
; %bb.68:
	s_or_b32 exec_lo, exec_lo, s1
	s_delay_alu instid0(SALU_CYCLE_1)
	s_mov_b32 s0, exec_lo
	s_wait_dscnt 0x0
	s_barrier_signal -1
	s_barrier_wait -1
	v_cmpx_gt_u32_e32 8, v0
	s_cbranch_execz .LBB1618_70
; %bb.69:
	ds_load_b32 v3, v19
	s_wait_dscnt 0x0
	v_mov_b32_dpp v5, v3 row_shr:1 row_mask:0xf bank_mask:0xf
	v_and_b32_e32 v4, 7, v64
	s_delay_alu instid0(VALU_DEP_1) | instskip(NEXT) | instid1(VALU_DEP_3)
	v_cmp_ne_u32_e32 vcc_lo, 0, v4
	v_cndmask_b32_e32 v5, 0, v5, vcc_lo
	v_cmp_lt_u32_e32 vcc_lo, 1, v4
	s_delay_alu instid0(VALU_DEP_2) | instskip(NEXT) | instid1(VALU_DEP_1)
	v_add_nc_u32_e32 v3, v5, v3
	v_mov_b32_dpp v5, v3 row_shr:2 row_mask:0xf bank_mask:0xf
	s_delay_alu instid0(VALU_DEP_1) | instskip(SKIP_1) | instid1(VALU_DEP_2)
	v_cndmask_b32_e32 v5, 0, v5, vcc_lo
	v_cmp_lt_u32_e32 vcc_lo, 3, v4
	v_add_nc_u32_e32 v3, v3, v5
	s_delay_alu instid0(VALU_DEP_1) | instskip(NEXT) | instid1(VALU_DEP_1)
	v_mov_b32_dpp v5, v3 row_shr:4 row_mask:0xf bank_mask:0xf
	v_cndmask_b32_e32 v4, 0, v5, vcc_lo
	s_delay_alu instid0(VALU_DEP_1)
	v_add_nc_u32_e32 v3, v3, v4
	ds_store_b32 v19, v3
.LBB1618_70:
	s_or_b32 exec_lo, exec_lo, s0
	v_dual_mov_b32 v4, 0 :: v_dual_mov_b32 v3, 0
	s_mov_b32 s0, exec_lo
	s_wait_dscnt 0x0
	s_barrier_signal -1
	s_barrier_wait -1
	v_cmpx_lt_u32_e32 31, v0
; %bb.71:
	v_lshl_add_u32 v3, v65, 2, -4
	ds_load_b32 v3, v3
; %bb.72:
	s_or_b32 exec_lo, exec_lo, s0
	v_sub_co_u32 v5, vcc_lo, v64, 1
	ds_load_b32 v16, v4 offset:28
	s_wait_dscnt 0x1
	v_add_nc_u32_e32 v2, v3, v2
	v_cmp_gt_i32_e64 s0, 0, v5
	s_delay_alu instid0(VALU_DEP_1) | instskip(NEXT) | instid1(VALU_DEP_1)
	v_cndmask_b32_e64 v5, v5, v64, s0
	v_lshlrev_b32_e32 v5, 2, v5
	ds_bpermute_b32 v2, v5, v2
	s_and_saveexec_b32 s0, s2
	s_cbranch_execz .LBB1618_74
; %bb.73:
	v_dual_mov_b32 v4, 0 :: v_dual_mov_b32 v17, 2
	s_wait_dscnt 0x1
	global_store_b64 v4, v[16:17], s[20:21] offset:256 scope:SCOPE_DEV
.LBB1618_74:
	s_wait_xcnt 0x0
	s_or_b32 exec_lo, exec_lo, s0
	s_wait_dscnt 0x0
	v_cndmask_b32_e32 v2, v2, v3, vcc_lo
	s_wait_storecnt 0x0
	s_barrier_signal -1
	s_barrier_wait -1
	s_delay_alu instid0(VALU_DEP_1) | instskip(NEXT) | instid1(VALU_DEP_1)
	v_cndmask_b32_e64 v2, v2, 0, s2
	v_dual_mov_b32 v56, 0 :: v_dual_add_nc_u32 v3, v2, v57
	s_delay_alu instid0(VALU_DEP_1) | instskip(NEXT) | instid1(VALU_DEP_1)
	v_add_nc_u32_e32 v4, v3, v41
	v_add_nc_u32_e32 v5, v4, v39
	s_delay_alu instid0(VALU_DEP_1) | instskip(NEXT) | instid1(VALU_DEP_1)
	v_add_nc_u32_e32 v6, v5, v37
	v_add_nc_u32_e32 v7, v6, v58
	;; [unrolled: 3-line block ×5, first 2 shown]
	s_delay_alu instid0(VALU_DEP_1)
	v_add_nc_u32_e32 v14, v13, v29
.LBB1618_75:
	v_dual_lshrrev_b32 v57, 16, v35 :: v_dual_lshrrev_b32 v58, 8, v35
	v_dual_add_nc_u32 v23, v16, v23 :: v_dual_sub_nc_u32 v3, v3, v56
	v_dual_sub_nc_u32 v2, v2, v56 :: v_dual_bitop2_b32 v35, 1, v35 bitop3:0x40
	s_delay_alu instid0(VALU_DEP_3) | instskip(NEXT) | instid1(VALU_DEP_3)
	v_dual_sub_nc_u32 v4, v4, v56 :: v_dual_bitop2_b32 v58, 1, v58 bitop3:0x40
	v_dual_sub_nc_u32 v59, v23, v3 :: v_dual_bitop2_b32 v57, 1, v57 bitop3:0x40
	s_delay_alu instid0(VALU_DEP_3) | instskip(NEXT) | instid1(VALU_DEP_4)
	v_dual_sub_nc_u32 v60, v23, v2 :: v_dual_sub_nc_u32 v5, v5, v56
	v_cmp_eq_u32_e32 vcc_lo, 1, v35
	s_delay_alu instid0(VALU_DEP_3) | instskip(SKIP_1) | instid1(VALU_DEP_4)
	v_dual_sub_nc_u32 v61, v23, v4 :: v_dual_add_nc_u32 v59, 1, v59
	v_dual_lshrrev_b32 v41, 8, v31 :: v_dual_lshrrev_b32 v39, 16, v31
	v_cndmask_b32_e32 v2, v60, v2, vcc_lo
	v_cmp_eq_u32_e32 vcc_lo, 1, v58
	v_dual_lshrrev_b32 v15, 16, v27 :: v_dual_lshrrev_b32 v17, 8, v27
	v_cndmask_b32_e32 v3, v59, v3, vcc_lo
	s_delay_alu instid0(VALU_DEP_4)
	v_dual_sub_nc_u32 v35, v23, v5 :: v_dual_lshlrev_b32 v2, 2, v2
	v_and_b32_e32 v37, 1, v37
	v_add_nc_u32_e32 v58, 2, v61
	v_cmp_eq_u32_e32 vcc_lo, 1, v57
	v_lshlrev_b32_e32 v3, 2, v3
	v_add_nc_u32_e32 v35, 3, v35
	ds_store_b32 v2, v54
	ds_store_b32 v3, v55
	v_cndmask_b32_e32 v4, v58, v4, vcc_lo
	v_cmp_eq_u32_e32 vcc_lo, 1, v37
	v_dual_cndmask_b32 v5, v35, v5 :: v_dual_sub_nc_u32 v6, v6, v56
	s_delay_alu instid0(VALU_DEP_1) | instskip(NEXT) | instid1(VALU_DEP_2)
	v_dual_lshlrev_b32 v3, 2, v4 :: v_dual_lshlrev_b32 v4, 2, v5
	v_sub_nc_u32_e32 v2, v23, v6
	v_dual_sub_nc_u32 v5, v7, v56 :: v_dual_bitop2_b32 v7, 1, v31 bitop3:0x40
	s_delay_alu instid0(VALU_DEP_2)
	v_add_nc_u32_e32 v2, 4, v2
	ds_store_b32 v3, v52
	ds_store_b32 v4, v53
	v_cmp_eq_u32_e32 vcc_lo, 1, v7
	v_dual_sub_nc_u32 v4, v8, v56 :: v_dual_cndmask_b32 v2, v2, v6, vcc_lo
	v_sub_nc_u32_e32 v3, v23, v5
	v_dual_sub_nc_u32 v7, v9, v56 :: v_dual_bitop2_b32 v6, 1, v41 bitop3:0x40
	s_delay_alu instid0(VALU_DEP_2) | instskip(NEXT) | instid1(VALU_DEP_2)
	v_dual_lshlrev_b32 v2, 2, v2 :: v_dual_add_nc_u32 v3, 5, v3
	v_cmp_eq_u32_e32 vcc_lo, 1, v6
	v_dual_sub_nc_u32 v8, v23, v4 :: v_dual_bitop2_b32 v6, 1, v39 bitop3:0x40
	ds_store_b32 v2, v50
	v_and_b32_e32 v2, 1, v33
	v_cndmask_b32_e32 v3, v3, v5, vcc_lo
	v_dual_sub_nc_u32 v5, v23, v7 :: v_dual_add_nc_u32 v8, 6, v8
	v_cmp_eq_u32_e32 vcc_lo, 1, v6
	s_delay_alu instid0(VALU_DEP_3) | instskip(NEXT) | instid1(VALU_DEP_3)
	v_dual_sub_nc_u32 v6, v11, v56 :: v_dual_lshlrev_b32 v3, 2, v3
	v_dual_cndmask_b32 v4, v8, v4 :: v_dual_add_nc_u32 v5, 7, v5
	v_cmp_eq_u32_e32 vcc_lo, 1, v2
	ds_store_b32 v3, v51
	v_dual_sub_nc_u32 v3, v23, v6 :: v_dual_sub_nc_u32 v8, v14, v56
	v_dual_lshlrev_b32 v4, 2, v4 :: v_dual_cndmask_b32 v2, v5, v7, vcc_lo
	v_dual_sub_nc_u32 v5, v10, v56 :: v_dual_bitop2_b32 v7, 1, v17 bitop3:0x40
	s_delay_alu instid0(VALU_DEP_3)
	v_add_nc_u32_e32 v3, 9, v3
	ds_store_b32 v4, v48
	v_dual_lshlrev_b32 v2, 2, v2 :: v_dual_sub_nc_u32 v4, v23, v5
	v_cmp_eq_u32_e32 vcc_lo, 1, v7
	v_sub_nc_u32_e32 v7, v12, v56
	v_sub_nc_u32_e32 v9, v23, v8
	ds_store_b32 v2, v49
	v_dual_add_nc_u32 v4, 8, v4 :: v_dual_bitop2_b32 v2, 1, v27 bitop3:0x40
	v_dual_cndmask_b32 v3, v3, v6 :: v_dual_sub_nc_u32 v6, v13, v56
	s_delay_alu instid0(VALU_DEP_2) | instskip(NEXT) | instid1(VALU_DEP_2)
	v_cmp_eq_u32_e32 vcc_lo, 1, v2
	v_dual_cndmask_b32 v2, v4, v5, vcc_lo :: v_dual_sub_nc_u32 v4, v23, v6
	v_and_b32_e32 v10, 1, v15
	v_dual_sub_nc_u32 v5, v23, v7 :: v_dual_bitop2_b32 v12, 1, v25 bitop3:0x40
	s_delay_alu instid0(VALU_DEP_3) | instskip(SKIP_1) | instid1(VALU_DEP_1)
	v_dual_lshlrev_b32 v2, 2, v2 :: v_dual_add_nc_u32 v4, 11, v4
	v_and_b32_e32 v11, 1, v29
	v_cmp_eq_u32_e32 vcc_lo, 1, v11
	s_delay_alu instid0(VALU_DEP_3) | instskip(SKIP_3) | instid1(VALU_DEP_1)
	v_cndmask_b32_e32 v4, v4, v6, vcc_lo
	v_cmp_eq_u32_e32 vcc_lo, 1, v10
	v_add_nc_u32_e32 v9, 12, v9
	v_add_nc_u32_e32 v5, 10, v5
	v_cndmask_b32_e32 v5, v5, v7, vcc_lo
	v_cmp_eq_u32_e32 vcc_lo, 1, v12
	s_delay_alu instid0(VALU_DEP_2) | instskip(SKIP_3) | instid1(VALU_DEP_3)
	v_dual_lshlrev_b32 v3, 2, v3 :: v_dual_lshlrev_b32 v5, 2, v5
	v_cndmask_b32_e32 v6, v9, v8, vcc_lo
	v_lshlrev_b32_e32 v4, 2, v4
	v_cmp_ne_u32_e32 vcc_lo, 1, v21
	v_lshlrev_b32_e32 v6, 2, v6
	ds_store_b32 v2, v46
	ds_store_b32 v3, v47
	ds_store_b32 v5, v44
	ds_store_b32 v4, v45
	ds_store_b32 v6, v1
	s_wait_dscnt 0x0
	s_barrier_signal -1
	s_barrier_wait -1
	ds_load_2addr_stride64_b32 v[14:15], v19 offset1:4
	ds_load_2addr_stride64_b32 v[12:13], v19 offset0:8 offset1:12
	ds_load_2addr_stride64_b32 v[10:11], v19 offset0:16 offset1:20
	;; [unrolled: 1-line block ×5, first 2 shown]
	ds_load_b32 v46, v19 offset:12288
	v_mov_b32_e32 v1, 0
	s_and_b32 vcc_lo, exec_lo, vcc_lo
	s_delay_alu instid0(VALU_DEP_1) | instskip(SKIP_2) | instid1(VALU_DEP_3)
	v_dual_mov_b32 v29, v1 :: v_dual_mov_b32 v57, v1
	v_dual_mov_b32 v41, v1 :: v_dual_mov_b32 v39, v1
	;; [unrolled: 1-line block ×3, first 2 shown]
	v_add_nc_u64_e32 v[2:3], v[42:43], v[56:57]
	v_dual_mov_b32 v33, v1 :: v_dual_mov_b32 v31, v1
	v_dual_mov_b32 v27, v1 :: v_dual_mov_b32 v25, v1
	;; [unrolled: 1-line block ×3, first 2 shown]
	v_mov_b32_e32 v19, v1
	s_cbranch_vccnz .LBB1618_132
; %bb.76:
	v_mov_b32_e32 v17, v1
	s_mov_b32 s15, 0
	v_sub_nc_u64_e64 v[42:43], v[2:3], s[16:17]
	s_sub_nc_u64 s[0:1], s[18:19], s[14:15]
	s_delay_alu instid0(VALU_DEP_2) | instid1(SALU_CYCLE_1)
	v_add_nc_u64_e32 v[44:45], s[0:1], v[16:17]
	s_mov_b32 s0, exec_lo
	s_delay_alu instid0(VALU_DEP_1)
	v_add_nc_u64_e32 v[42:43], v[44:45], v[42:43]
                                        ; implicit-def: $vgpr44_vgpr45
	v_cmpx_ge_u32_e64 v0, v16
	s_xor_b32 s0, exec_lo, s0
; %bb.77:
	v_not_b32_e32 v44, v0
	s_delay_alu instid0(VALU_DEP_1) | instskip(NEXT) | instid1(VALU_DEP_1)
	v_ashrrev_i32_e32 v45, 31, v44
	v_add_nc_u64_e32 v[44:45], v[42:43], v[44:45]
; %bb.78:
	s_and_not1_saveexec_b32 s0, s0
; %bb.79:
	v_add_nc_u64_e32 v[44:45], v[2:3], v[0:1]
; %bb.80:
	s_or_b32 exec_lo, exec_lo, s0
	s_delay_alu instid0(VALU_DEP_1)
	v_lshl_add_u64 v[44:45], v[44:45], 2, s[10:11]
	s_mov_b32 s0, exec_lo
	s_wait_dscnt 0x6
	global_store_b32 v[44:45], v14, off
                                        ; implicit-def: $vgpr44_vgpr45
	s_wait_xcnt 0x0
	v_cmpx_ge_u32_e64 v40, v16
	s_xor_b32 s0, exec_lo, s0
; %bb.81:
	v_xor_b32_e32 v44, 0xfffffeff, v0
	s_delay_alu instid0(VALU_DEP_1) | instskip(NEXT) | instid1(VALU_DEP_1)
	v_ashrrev_i32_e32 v45, 31, v44
	v_add_nc_u64_e32 v[44:45], v[42:43], v[44:45]
; %bb.82:
	s_and_not1_saveexec_b32 s0, s0
; %bb.83:
	v_add_nc_u64_e32 v[44:45], v[2:3], v[40:41]
; %bb.84:
	s_or_b32 exec_lo, exec_lo, s0
	s_delay_alu instid0(VALU_DEP_1)
	v_lshl_add_u64 v[44:45], v[44:45], 2, s[10:11]
	s_mov_b32 s0, exec_lo
	global_store_b32 v[44:45], v15, off
                                        ; implicit-def: $vgpr44_vgpr45
	s_wait_xcnt 0x0
	v_cmpx_ge_u32_e64 v38, v16
	s_xor_b32 s0, exec_lo, s0
; %bb.85:
	v_xor_b32_e32 v44, 0xfffffdff, v0
	s_delay_alu instid0(VALU_DEP_1) | instskip(NEXT) | instid1(VALU_DEP_1)
	v_ashrrev_i32_e32 v45, 31, v44
	v_add_nc_u64_e32 v[44:45], v[42:43], v[44:45]
; %bb.86:
	s_and_not1_saveexec_b32 s0, s0
; %bb.87:
	v_add_nc_u64_e32 v[44:45], v[2:3], v[38:39]
; %bb.88:
	s_or_b32 exec_lo, exec_lo, s0
	s_delay_alu instid0(VALU_DEP_1)
	v_lshl_add_u64 v[44:45], v[44:45], 2, s[10:11]
	s_mov_b32 s0, exec_lo
	s_wait_dscnt 0x5
	global_store_b32 v[44:45], v12, off
                                        ; implicit-def: $vgpr44_vgpr45
	s_wait_xcnt 0x0
	v_cmpx_ge_u32_e64 v36, v16
	s_xor_b32 s0, exec_lo, s0
; %bb.89:
	v_xor_b32_e32 v44, 0xfffffcff, v0
	s_delay_alu instid0(VALU_DEP_1) | instskip(NEXT) | instid1(VALU_DEP_1)
	v_ashrrev_i32_e32 v45, 31, v44
	v_add_nc_u64_e32 v[44:45], v[42:43], v[44:45]
; %bb.90:
	s_and_not1_saveexec_b32 s0, s0
; %bb.91:
	v_add_nc_u64_e32 v[44:45], v[2:3], v[36:37]
; %bb.92:
	s_or_b32 exec_lo, exec_lo, s0
	s_delay_alu instid0(VALU_DEP_1)
	v_lshl_add_u64 v[44:45], v[44:45], 2, s[10:11]
	s_mov_b32 s0, exec_lo
	global_store_b32 v[44:45], v13, off
                                        ; implicit-def: $vgpr44_vgpr45
	s_wait_xcnt 0x0
	v_cmpx_ge_u32_e64 v34, v16
	s_xor_b32 s0, exec_lo, s0
; %bb.93:
	v_xor_b32_e32 v44, 0xfffffbff, v0
	;; [unrolled: 39-line block ×6, first 2 shown]
	s_delay_alu instid0(VALU_DEP_1) | instskip(NEXT) | instid1(VALU_DEP_1)
	v_ashrrev_i32_e32 v45, 31, v44
	v_add_nc_u64_e32 v[44:45], v[42:43], v[44:45]
; %bb.126:
	s_and_not1_saveexec_b32 s0, s0
; %bb.127:
	v_add_nc_u64_e32 v[44:45], v[2:3], v[18:19]
; %bb.128:
	s_or_b32 exec_lo, exec_lo, s0
	s_mov_b32 s0, -1
.LBB1618_129:
	s_delay_alu instid0(SALU_CYCLE_1)
	s_and_saveexec_b32 s1, s0
	s_cbranch_execz .LBB1618_212
.LBB1618_130:
	s_delay_alu instid0(VALU_DEP_1)
	v_lshl_add_u64 v[0:1], v[44:45], 2, s[10:11]
	s_wait_dscnt 0x0
	global_store_b32 v[0:1], v46, off
	s_wait_xcnt 0x0
	s_or_b32 exec_lo, exec_lo, s1
	s_and_b32 s0, s2, s9
	s_delay_alu instid0(SALU_CYCLE_1)
	s_and_saveexec_b32 s1, s0
	s_cbranch_execnz .LBB1618_213
.LBB1618_131:
	s_sendmsg sendmsg(MSG_DEALLOC_VGPRS)
	s_endpgm
.LBB1618_132:
	s_mov_b32 s0, 0
                                        ; implicit-def: $vgpr44_vgpr45
	s_cbranch_execz .LBB1618_129
; %bb.133:
	s_mov_b32 s15, 0
	v_mov_b32_e32 v17, 0
	s_add_nc_u64 s[4:5], s[16:17], s[14:15]
	s_mov_b32 s1, exec_lo
	s_sub_nc_u64 s[4:5], s[18:19], s[4:5]
	s_delay_alu instid0(VALU_DEP_1) | instid1(SALU_CYCLE_1)
	v_add_nc_u64_e32 v[42:43], s[4:5], v[16:17]
	s_delay_alu instid0(VALU_DEP_1)
	v_add_nc_u64_e32 v[42:43], v[42:43], v[2:3]
	v_cmpx_gt_u32_e64 s22, v0
	s_cbranch_execz .LBB1618_169
; %bb.134:
	s_mov_b32 s3, exec_lo
                                        ; implicit-def: $vgpr44_vgpr45
	v_cmpx_ge_u32_e64 v0, v16
	s_xor_b32 s3, exec_lo, s3
; %bb.135:
	v_not_b32_e32 v44, v0
	s_delay_alu instid0(VALU_DEP_1) | instskip(NEXT) | instid1(VALU_DEP_1)
	v_ashrrev_i32_e32 v45, 31, v44
	v_add_nc_u64_e32 v[44:45], v[42:43], v[44:45]
; %bb.136:
	s_and_not1_saveexec_b32 s3, s3
; %bb.137:
	v_add_nc_u64_e32 v[44:45], v[2:3], v[0:1]
; %bb.138:
	s_or_b32 exec_lo, exec_lo, s3
	s_delay_alu instid0(VALU_DEP_1) | instskip(SKIP_4) | instid1(SALU_CYCLE_1)
	v_lshl_add_u64 v[44:45], v[44:45], 2, s[10:11]
	s_wait_dscnt 0x6
	global_store_b32 v[44:45], v14, off
	s_wait_xcnt 0x0
	s_or_b32 exec_lo, exec_lo, s1
	s_mov_b32 s1, exec_lo
	v_cmpx_gt_u32_e64 s22, v40
	s_cbranch_execnz .LBB1618_170
.LBB1618_139:
	s_or_b32 exec_lo, exec_lo, s1
	s_delay_alu instid0(SALU_CYCLE_1)
	s_mov_b32 s1, exec_lo
	v_cmpx_gt_u32_e64 s22, v38
	s_cbranch_execz .LBB1618_175
.LBB1618_140:
	s_mov_b32 s3, exec_lo
                                        ; implicit-def: $vgpr14_vgpr15
	v_cmpx_ge_u32_e64 v38, v16
	s_xor_b32 s3, exec_lo, s3
	s_cbranch_execz .LBB1618_142
; %bb.141:
	s_wait_dscnt 0x6
	v_xor_b32_e32 v14, 0xfffffdff, v0
                                        ; implicit-def: $vgpr38_vgpr39
	s_delay_alu instid0(VALU_DEP_1) | instskip(NEXT) | instid1(VALU_DEP_1)
	v_ashrrev_i32_e32 v15, 31, v14
	v_add_nc_u64_e32 v[14:15], v[42:43], v[14:15]
.LBB1618_142:
	s_and_not1_saveexec_b32 s3, s3
	s_cbranch_execz .LBB1618_144
; %bb.143:
	s_wait_dscnt 0x6
	v_add_nc_u64_e32 v[14:15], v[2:3], v[38:39]
.LBB1618_144:
	s_or_b32 exec_lo, exec_lo, s3
	s_wait_dscnt 0x6
	s_delay_alu instid0(VALU_DEP_1) | instskip(SKIP_4) | instid1(SALU_CYCLE_1)
	v_lshl_add_u64 v[14:15], v[14:15], 2, s[10:11]
	s_wait_dscnt 0x5
	global_store_b32 v[14:15], v12, off
	s_wait_xcnt 0x0
	s_or_b32 exec_lo, exec_lo, s1
	s_mov_b32 s1, exec_lo
	v_cmpx_gt_u32_e64 s22, v36
	s_cbranch_execnz .LBB1618_176
.LBB1618_145:
	s_or_b32 exec_lo, exec_lo, s1
	s_delay_alu instid0(SALU_CYCLE_1)
	s_mov_b32 s1, exec_lo
	v_cmpx_gt_u32_e64 s22, v34
	s_cbranch_execz .LBB1618_181
.LBB1618_146:
	s_mov_b32 s3, exec_lo
                                        ; implicit-def: $vgpr12_vgpr13
	v_cmpx_ge_u32_e64 v34, v16
	s_xor_b32 s3, exec_lo, s3
	s_cbranch_execz .LBB1618_148
; %bb.147:
	s_wait_dscnt 0x5
	v_xor_b32_e32 v12, 0xfffffbff, v0
                                        ; implicit-def: $vgpr34_vgpr35
	s_delay_alu instid0(VALU_DEP_1) | instskip(NEXT) | instid1(VALU_DEP_1)
	v_ashrrev_i32_e32 v13, 31, v12
	v_add_nc_u64_e32 v[12:13], v[42:43], v[12:13]
.LBB1618_148:
	s_and_not1_saveexec_b32 s3, s3
	s_cbranch_execz .LBB1618_150
; %bb.149:
	s_wait_dscnt 0x5
	v_add_nc_u64_e32 v[12:13], v[2:3], v[34:35]
.LBB1618_150:
	s_or_b32 exec_lo, exec_lo, s3
	s_wait_dscnt 0x5
	s_delay_alu instid0(VALU_DEP_1) | instskip(SKIP_4) | instid1(SALU_CYCLE_1)
	v_lshl_add_u64 v[12:13], v[12:13], 2, s[10:11]
	s_wait_dscnt 0x4
	global_store_b32 v[12:13], v10, off
	s_wait_xcnt 0x0
	s_or_b32 exec_lo, exec_lo, s1
	s_mov_b32 s1, exec_lo
	v_cmpx_gt_u32_e64 s22, v32
	s_cbranch_execnz .LBB1618_182
.LBB1618_151:
	s_or_b32 exec_lo, exec_lo, s1
	s_delay_alu instid0(SALU_CYCLE_1)
	s_mov_b32 s1, exec_lo
	v_cmpx_gt_u32_e64 s22, v30
	s_cbranch_execz .LBB1618_187
.LBB1618_152:
	s_mov_b32 s3, exec_lo
                                        ; implicit-def: $vgpr10_vgpr11
	v_cmpx_ge_u32_e64 v30, v16
	s_xor_b32 s3, exec_lo, s3
	s_cbranch_execz .LBB1618_154
; %bb.153:
	s_wait_dscnt 0x4
	v_xor_b32_e32 v10, 0xfffff9ff, v0
                                        ; implicit-def: $vgpr30_vgpr31
	s_delay_alu instid0(VALU_DEP_1) | instskip(NEXT) | instid1(VALU_DEP_1)
	v_ashrrev_i32_e32 v11, 31, v10
	v_add_nc_u64_e32 v[10:11], v[42:43], v[10:11]
.LBB1618_154:
	s_and_not1_saveexec_b32 s3, s3
	s_cbranch_execz .LBB1618_156
; %bb.155:
	s_wait_dscnt 0x4
	v_add_nc_u64_e32 v[10:11], v[2:3], v[30:31]
.LBB1618_156:
	s_or_b32 exec_lo, exec_lo, s3
	s_wait_dscnt 0x4
	s_delay_alu instid0(VALU_DEP_1) | instskip(SKIP_4) | instid1(SALU_CYCLE_1)
	v_lshl_add_u64 v[10:11], v[10:11], 2, s[10:11]
	s_wait_dscnt 0x3
	global_store_b32 v[10:11], v8, off
	s_wait_xcnt 0x0
	s_or_b32 exec_lo, exec_lo, s1
	s_mov_b32 s1, exec_lo
	v_cmpx_gt_u32_e64 s22, v28
	s_cbranch_execnz .LBB1618_188
.LBB1618_157:
	s_or_b32 exec_lo, exec_lo, s1
	s_delay_alu instid0(SALU_CYCLE_1)
	s_mov_b32 s1, exec_lo
	v_cmpx_gt_u32_e64 s22, v26
	s_cbranch_execz .LBB1618_193
.LBB1618_158:
	s_mov_b32 s3, exec_lo
                                        ; implicit-def: $vgpr8_vgpr9
	v_cmpx_ge_u32_e64 v26, v16
	s_xor_b32 s3, exec_lo, s3
	s_cbranch_execz .LBB1618_160
; %bb.159:
	s_wait_dscnt 0x3
	v_xor_b32_e32 v8, 0xfffff7ff, v0
                                        ; implicit-def: $vgpr26_vgpr27
	s_delay_alu instid0(VALU_DEP_1) | instskip(NEXT) | instid1(VALU_DEP_1)
	v_ashrrev_i32_e32 v9, 31, v8
	v_add_nc_u64_e32 v[8:9], v[42:43], v[8:9]
.LBB1618_160:
	s_and_not1_saveexec_b32 s3, s3
	s_cbranch_execz .LBB1618_162
; %bb.161:
	s_wait_dscnt 0x3
	v_add_nc_u64_e32 v[8:9], v[2:3], v[26:27]
.LBB1618_162:
	s_or_b32 exec_lo, exec_lo, s3
	s_wait_dscnt 0x3
	s_delay_alu instid0(VALU_DEP_1) | instskip(SKIP_4) | instid1(SALU_CYCLE_1)
	v_lshl_add_u64 v[8:9], v[8:9], 2, s[10:11]
	s_wait_dscnt 0x2
	global_store_b32 v[8:9], v6, off
	s_wait_xcnt 0x0
	s_or_b32 exec_lo, exec_lo, s1
	s_mov_b32 s1, exec_lo
	v_cmpx_gt_u32_e64 s22, v24
	s_cbranch_execnz .LBB1618_194
.LBB1618_163:
	s_or_b32 exec_lo, exec_lo, s1
	s_delay_alu instid0(SALU_CYCLE_1)
	s_mov_b32 s1, exec_lo
	v_cmpx_gt_u32_e64 s22, v22
	s_cbranch_execz .LBB1618_199
.LBB1618_164:
	s_mov_b32 s3, exec_lo
                                        ; implicit-def: $vgpr6_vgpr7
	v_cmpx_ge_u32_e64 v22, v16
	s_xor_b32 s3, exec_lo, s3
	s_cbranch_execz .LBB1618_166
; %bb.165:
	s_wait_dscnt 0x2
	v_xor_b32_e32 v6, 0xfffff5ff, v0
                                        ; implicit-def: $vgpr22_vgpr23
	s_delay_alu instid0(VALU_DEP_1) | instskip(NEXT) | instid1(VALU_DEP_1)
	v_ashrrev_i32_e32 v7, 31, v6
	v_add_nc_u64_e32 v[6:7], v[42:43], v[6:7]
.LBB1618_166:
	s_and_not1_saveexec_b32 s3, s3
	s_cbranch_execz .LBB1618_168
; %bb.167:
	s_wait_dscnt 0x2
	v_add_nc_u64_e32 v[6:7], v[2:3], v[22:23]
.LBB1618_168:
	s_or_b32 exec_lo, exec_lo, s3
	s_wait_dscnt 0x2
	s_delay_alu instid0(VALU_DEP_1) | instskip(SKIP_4) | instid1(SALU_CYCLE_1)
	v_lshl_add_u64 v[6:7], v[6:7], 2, s[10:11]
	s_wait_dscnt 0x1
	global_store_b32 v[6:7], v4, off
	s_wait_xcnt 0x0
	s_or_b32 exec_lo, exec_lo, s1
	s_mov_b32 s1, exec_lo
	v_cmpx_gt_u32_e64 s22, v20
	s_cbranch_execz .LBB1618_205
	s_branch .LBB1618_200
.LBB1618_169:
	s_or_b32 exec_lo, exec_lo, s1
	s_delay_alu instid0(SALU_CYCLE_1)
	s_mov_b32 s1, exec_lo
	v_cmpx_gt_u32_e64 s22, v40
	s_cbranch_execz .LBB1618_139
.LBB1618_170:
	s_mov_b32 s3, exec_lo
                                        ; implicit-def: $vgpr44_vgpr45
	v_cmpx_ge_u32_e64 v40, v16
	s_xor_b32 s3, exec_lo, s3
; %bb.171:
	v_xor_b32_e32 v40, 0xfffffeff, v0
	s_delay_alu instid0(VALU_DEP_1) | instskip(NEXT) | instid1(VALU_DEP_1)
	v_ashrrev_i32_e32 v41, 31, v40
	v_add_nc_u64_e32 v[44:45], v[42:43], v[40:41]
                                        ; implicit-def: $vgpr40_vgpr41
; %bb.172:
	s_and_not1_saveexec_b32 s3, s3
; %bb.173:
	v_add_nc_u64_e32 v[44:45], v[2:3], v[40:41]
; %bb.174:
	s_or_b32 exec_lo, exec_lo, s3
	s_delay_alu instid0(VALU_DEP_1) | instskip(SKIP_4) | instid1(SALU_CYCLE_1)
	v_lshl_add_u64 v[40:41], v[44:45], 2, s[10:11]
	s_wait_dscnt 0x6
	global_store_b32 v[40:41], v15, off
	s_wait_xcnt 0x0
	s_or_b32 exec_lo, exec_lo, s1
	s_mov_b32 s1, exec_lo
	v_cmpx_gt_u32_e64 s22, v38
	s_cbranch_execnz .LBB1618_140
.LBB1618_175:
	s_or_b32 exec_lo, exec_lo, s1
	s_delay_alu instid0(SALU_CYCLE_1)
	s_mov_b32 s1, exec_lo
	v_cmpx_gt_u32_e64 s22, v36
	s_cbranch_execz .LBB1618_145
.LBB1618_176:
	s_mov_b32 s3, exec_lo
                                        ; implicit-def: $vgpr14_vgpr15
	v_cmpx_ge_u32_e64 v36, v16
	s_xor_b32 s3, exec_lo, s3
	s_cbranch_execz .LBB1618_178
; %bb.177:
	s_wait_dscnt 0x6
	v_xor_b32_e32 v14, 0xfffffcff, v0
                                        ; implicit-def: $vgpr36_vgpr37
	s_delay_alu instid0(VALU_DEP_1) | instskip(NEXT) | instid1(VALU_DEP_1)
	v_ashrrev_i32_e32 v15, 31, v14
	v_add_nc_u64_e32 v[14:15], v[42:43], v[14:15]
.LBB1618_178:
	s_and_not1_saveexec_b32 s3, s3
	s_cbranch_execz .LBB1618_180
; %bb.179:
	s_wait_dscnt 0x6
	v_add_nc_u64_e32 v[14:15], v[2:3], v[36:37]
.LBB1618_180:
	s_or_b32 exec_lo, exec_lo, s3
	s_wait_dscnt 0x6
	s_delay_alu instid0(VALU_DEP_1) | instskip(SKIP_4) | instid1(SALU_CYCLE_1)
	v_lshl_add_u64 v[14:15], v[14:15], 2, s[10:11]
	s_wait_dscnt 0x5
	global_store_b32 v[14:15], v13, off
	s_wait_xcnt 0x0
	s_or_b32 exec_lo, exec_lo, s1
	s_mov_b32 s1, exec_lo
	v_cmpx_gt_u32_e64 s22, v34
	s_cbranch_execnz .LBB1618_146
.LBB1618_181:
	s_or_b32 exec_lo, exec_lo, s1
	s_delay_alu instid0(SALU_CYCLE_1)
	s_mov_b32 s1, exec_lo
	v_cmpx_gt_u32_e64 s22, v32
	s_cbranch_execz .LBB1618_151
.LBB1618_182:
	s_mov_b32 s3, exec_lo
                                        ; implicit-def: $vgpr12_vgpr13
	v_cmpx_ge_u32_e64 v32, v16
	s_xor_b32 s3, exec_lo, s3
	s_cbranch_execz .LBB1618_184
; %bb.183:
	s_wait_dscnt 0x5
	v_xor_b32_e32 v12, 0xfffffaff, v0
                                        ; implicit-def: $vgpr32_vgpr33
	s_delay_alu instid0(VALU_DEP_1) | instskip(NEXT) | instid1(VALU_DEP_1)
	v_ashrrev_i32_e32 v13, 31, v12
	v_add_nc_u64_e32 v[12:13], v[42:43], v[12:13]
.LBB1618_184:
	s_and_not1_saveexec_b32 s3, s3
	s_cbranch_execz .LBB1618_186
; %bb.185:
	s_wait_dscnt 0x5
	v_add_nc_u64_e32 v[12:13], v[2:3], v[32:33]
.LBB1618_186:
	s_or_b32 exec_lo, exec_lo, s3
	s_wait_dscnt 0x5
	s_delay_alu instid0(VALU_DEP_1) | instskip(SKIP_4) | instid1(SALU_CYCLE_1)
	v_lshl_add_u64 v[12:13], v[12:13], 2, s[10:11]
	s_wait_dscnt 0x4
	global_store_b32 v[12:13], v11, off
	s_wait_xcnt 0x0
	s_or_b32 exec_lo, exec_lo, s1
	s_mov_b32 s1, exec_lo
	v_cmpx_gt_u32_e64 s22, v30
	s_cbranch_execnz .LBB1618_152
.LBB1618_187:
	s_or_b32 exec_lo, exec_lo, s1
	s_delay_alu instid0(SALU_CYCLE_1)
	s_mov_b32 s1, exec_lo
	v_cmpx_gt_u32_e64 s22, v28
	s_cbranch_execz .LBB1618_157
.LBB1618_188:
	s_mov_b32 s3, exec_lo
                                        ; implicit-def: $vgpr10_vgpr11
	v_cmpx_ge_u32_e64 v28, v16
	s_xor_b32 s3, exec_lo, s3
	s_cbranch_execz .LBB1618_190
; %bb.189:
	s_wait_dscnt 0x4
	v_xor_b32_e32 v10, 0xfffff8ff, v0
                                        ; implicit-def: $vgpr28_vgpr29
	s_delay_alu instid0(VALU_DEP_1) | instskip(NEXT) | instid1(VALU_DEP_1)
	v_ashrrev_i32_e32 v11, 31, v10
	v_add_nc_u64_e32 v[10:11], v[42:43], v[10:11]
.LBB1618_190:
	s_and_not1_saveexec_b32 s3, s3
	s_cbranch_execz .LBB1618_192
; %bb.191:
	s_wait_dscnt 0x4
	v_add_nc_u64_e32 v[10:11], v[2:3], v[28:29]
.LBB1618_192:
	s_or_b32 exec_lo, exec_lo, s3
	s_wait_dscnt 0x4
	s_delay_alu instid0(VALU_DEP_1) | instskip(SKIP_4) | instid1(SALU_CYCLE_1)
	v_lshl_add_u64 v[10:11], v[10:11], 2, s[10:11]
	s_wait_dscnt 0x3
	global_store_b32 v[10:11], v9, off
	s_wait_xcnt 0x0
	s_or_b32 exec_lo, exec_lo, s1
	s_mov_b32 s1, exec_lo
	v_cmpx_gt_u32_e64 s22, v26
	s_cbranch_execnz .LBB1618_158
.LBB1618_193:
	s_or_b32 exec_lo, exec_lo, s1
	s_delay_alu instid0(SALU_CYCLE_1)
	s_mov_b32 s1, exec_lo
	v_cmpx_gt_u32_e64 s22, v24
	s_cbranch_execz .LBB1618_163
.LBB1618_194:
	s_mov_b32 s3, exec_lo
                                        ; implicit-def: $vgpr8_vgpr9
	v_cmpx_ge_u32_e64 v24, v16
	s_xor_b32 s3, exec_lo, s3
	s_cbranch_execz .LBB1618_196
; %bb.195:
	s_wait_dscnt 0x3
	v_xor_b32_e32 v8, 0xfffff6ff, v0
                                        ; implicit-def: $vgpr24_vgpr25
	s_delay_alu instid0(VALU_DEP_1) | instskip(NEXT) | instid1(VALU_DEP_1)
	v_ashrrev_i32_e32 v9, 31, v8
	v_add_nc_u64_e32 v[8:9], v[42:43], v[8:9]
.LBB1618_196:
	s_and_not1_saveexec_b32 s3, s3
	s_cbranch_execz .LBB1618_198
; %bb.197:
	s_wait_dscnt 0x3
	v_add_nc_u64_e32 v[8:9], v[2:3], v[24:25]
.LBB1618_198:
	s_or_b32 exec_lo, exec_lo, s3
	s_wait_dscnt 0x3
	s_delay_alu instid0(VALU_DEP_1) | instskip(SKIP_4) | instid1(SALU_CYCLE_1)
	v_lshl_add_u64 v[8:9], v[8:9], 2, s[10:11]
	s_wait_dscnt 0x2
	global_store_b32 v[8:9], v7, off
	s_wait_xcnt 0x0
	s_or_b32 exec_lo, exec_lo, s1
	s_mov_b32 s1, exec_lo
	v_cmpx_gt_u32_e64 s22, v22
	s_cbranch_execnz .LBB1618_164
.LBB1618_199:
	s_or_b32 exec_lo, exec_lo, s1
	s_delay_alu instid0(SALU_CYCLE_1)
	s_mov_b32 s1, exec_lo
	v_cmpx_gt_u32_e64 s22, v20
	s_cbranch_execz .LBB1618_205
.LBB1618_200:
	s_mov_b32 s3, exec_lo
                                        ; implicit-def: $vgpr6_vgpr7
	v_cmpx_ge_u32_e64 v20, v16
	s_xor_b32 s3, exec_lo, s3
	s_cbranch_execz .LBB1618_202
; %bb.201:
	s_wait_dscnt 0x2
	v_xor_b32_e32 v6, 0xfffff4ff, v0
                                        ; implicit-def: $vgpr20_vgpr21
	s_delay_alu instid0(VALU_DEP_1) | instskip(NEXT) | instid1(VALU_DEP_1)
	v_ashrrev_i32_e32 v7, 31, v6
	v_add_nc_u64_e32 v[6:7], v[42:43], v[6:7]
.LBB1618_202:
	s_and_not1_saveexec_b32 s3, s3
	s_cbranch_execz .LBB1618_204
; %bb.203:
	s_wait_dscnt 0x2
	v_add_nc_u64_e32 v[6:7], v[2:3], v[20:21]
.LBB1618_204:
	s_or_b32 exec_lo, exec_lo, s3
	s_wait_dscnt 0x2
	s_delay_alu instid0(VALU_DEP_1)
	v_lshl_add_u64 v[6:7], v[6:7], 2, s[10:11]
	s_wait_dscnt 0x1
	global_store_b32 v[6:7], v5, off
.LBB1618_205:
	s_wait_xcnt 0x0
	s_or_b32 exec_lo, exec_lo, s1
	s_delay_alu instid0(SALU_CYCLE_1)
	s_mov_b32 s1, exec_lo
                                        ; implicit-def: $vgpr44_vgpr45
	v_cmpx_gt_u32_e64 s22, v18
	s_cbranch_execz .LBB1618_211
; %bb.206:
	s_mov_b32 s3, exec_lo
                                        ; implicit-def: $vgpr44_vgpr45
	v_cmpx_ge_u32_e64 v18, v16
	s_xor_b32 s3, exec_lo, s3
; %bb.207:
	v_xor_b32_e32 v0, 0xfffff3ff, v0
                                        ; implicit-def: $vgpr18_vgpr19
	s_delay_alu instid0(VALU_DEP_1) | instskip(NEXT) | instid1(VALU_DEP_1)
	v_ashrrev_i32_e32 v1, 31, v0
	v_add_nc_u64_e32 v[44:45], v[42:43], v[0:1]
; %bb.208:
	s_and_not1_saveexec_b32 s3, s3
; %bb.209:
	v_add_nc_u64_e32 v[44:45], v[2:3], v[18:19]
; %bb.210:
	s_or_b32 exec_lo, exec_lo, s3
	s_delay_alu instid0(SALU_CYCLE_1)
	s_or_b32 s0, s0, exec_lo
.LBB1618_211:
	s_or_b32 exec_lo, exec_lo, s1
	s_and_saveexec_b32 s1, s0
	s_cbranch_execnz .LBB1618_130
.LBB1618_212:
	s_or_b32 exec_lo, exec_lo, s1
	s_and_b32 s0, s2, s9
	s_delay_alu instid0(SALU_CYCLE_1)
	s_and_saveexec_b32 s1, s0
	s_cbranch_execz .LBB1618_131
.LBB1618_213:
	v_mov_b32_e32 v17, 0
	s_delay_alu instid0(VALU_DEP_1)
	v_add_nc_u64_e32 v[0:1], v[2:3], v[16:17]
	global_store_b64 v17, v[0:1], s[12:13]
	s_sendmsg sendmsg(MSG_DEALLOC_VGPRS)
	s_endpgm
	.section	.rodata,"a",@progbits
	.p2align	6, 0x0
	.amdhsa_kernel _ZN7rocprim17ROCPRIM_400000_NS6detail17trampoline_kernelINS0_13select_configILj256ELj13ELNS0_17block_load_methodE3ELS4_3ELS4_3ELNS0_20block_scan_algorithmE0ELj4294967295EEENS1_25partition_config_selectorILNS1_17partition_subalgoE3EjNS0_10empty_typeEbEEZZNS1_14partition_implILS8_3ELb0ES6_jNS0_17counting_iteratorIjlEEPS9_SE_NS0_5tupleIJPjSE_EEENSF_IJSE_SE_EEES9_SG_JZNS1_25segmented_radix_sort_implINS0_14default_configELb0EPKbPbPKlPlN2at6native12_GLOBAL__N_18offset_tEEE10hipError_tPvRmT1_PNSt15iterator_traitsISY_E10value_typeET2_T3_PNSZ_IS14_E10value_typeET4_jRbjT5_S1A_jjP12ihipStream_tbEUljE_EEESV_SW_SX_S14_S18_S1A_T6_T7_T9_mT8_S1C_bDpT10_ENKUlT_T0_E_clISt17integral_constantIbLb0EES1O_IbLb1EEEEDaS1K_S1L_EUlS1K_E_NS1_11comp_targetILNS1_3genE0ELNS1_11target_archE4294967295ELNS1_3gpuE0ELNS1_3repE0EEENS1_30default_config_static_selectorELNS0_4arch9wavefront6targetE0EEEvSY_
		.amdhsa_group_segment_fixed_size 13320
		.amdhsa_private_segment_fixed_size 0
		.amdhsa_kernarg_size 152
		.amdhsa_user_sgpr_count 2
		.amdhsa_user_sgpr_dispatch_ptr 0
		.amdhsa_user_sgpr_queue_ptr 0
		.amdhsa_user_sgpr_kernarg_segment_ptr 1
		.amdhsa_user_sgpr_dispatch_id 0
		.amdhsa_user_sgpr_kernarg_preload_length 0
		.amdhsa_user_sgpr_kernarg_preload_offset 0
		.amdhsa_user_sgpr_private_segment_size 0
		.amdhsa_wavefront_size32 1
		.amdhsa_uses_dynamic_stack 0
		.amdhsa_enable_private_segment 0
		.amdhsa_system_sgpr_workgroup_id_x 1
		.amdhsa_system_sgpr_workgroup_id_y 0
		.amdhsa_system_sgpr_workgroup_id_z 0
		.amdhsa_system_sgpr_workgroup_info 0
		.amdhsa_system_vgpr_workitem_id 0
		.amdhsa_next_free_vgpr 72
		.amdhsa_next_free_sgpr 24
		.amdhsa_named_barrier_count 0
		.amdhsa_reserve_vcc 1
		.amdhsa_float_round_mode_32 0
		.amdhsa_float_round_mode_16_64 0
		.amdhsa_float_denorm_mode_32 3
		.amdhsa_float_denorm_mode_16_64 3
		.amdhsa_fp16_overflow 0
		.amdhsa_memory_ordered 1
		.amdhsa_forward_progress 1
		.amdhsa_inst_pref_size 71
		.amdhsa_round_robin_scheduling 0
		.amdhsa_exception_fp_ieee_invalid_op 0
		.amdhsa_exception_fp_denorm_src 0
		.amdhsa_exception_fp_ieee_div_zero 0
		.amdhsa_exception_fp_ieee_overflow 0
		.amdhsa_exception_fp_ieee_underflow 0
		.amdhsa_exception_fp_ieee_inexact 0
		.amdhsa_exception_int_div_zero 0
	.end_amdhsa_kernel
	.section	.text._ZN7rocprim17ROCPRIM_400000_NS6detail17trampoline_kernelINS0_13select_configILj256ELj13ELNS0_17block_load_methodE3ELS4_3ELS4_3ELNS0_20block_scan_algorithmE0ELj4294967295EEENS1_25partition_config_selectorILNS1_17partition_subalgoE3EjNS0_10empty_typeEbEEZZNS1_14partition_implILS8_3ELb0ES6_jNS0_17counting_iteratorIjlEEPS9_SE_NS0_5tupleIJPjSE_EEENSF_IJSE_SE_EEES9_SG_JZNS1_25segmented_radix_sort_implINS0_14default_configELb0EPKbPbPKlPlN2at6native12_GLOBAL__N_18offset_tEEE10hipError_tPvRmT1_PNSt15iterator_traitsISY_E10value_typeET2_T3_PNSZ_IS14_E10value_typeET4_jRbjT5_S1A_jjP12ihipStream_tbEUljE_EEESV_SW_SX_S14_S18_S1A_T6_T7_T9_mT8_S1C_bDpT10_ENKUlT_T0_E_clISt17integral_constantIbLb0EES1O_IbLb1EEEEDaS1K_S1L_EUlS1K_E_NS1_11comp_targetILNS1_3genE0ELNS1_11target_archE4294967295ELNS1_3gpuE0ELNS1_3repE0EEENS1_30default_config_static_selectorELNS0_4arch9wavefront6targetE0EEEvSY_,"axG",@progbits,_ZN7rocprim17ROCPRIM_400000_NS6detail17trampoline_kernelINS0_13select_configILj256ELj13ELNS0_17block_load_methodE3ELS4_3ELS4_3ELNS0_20block_scan_algorithmE0ELj4294967295EEENS1_25partition_config_selectorILNS1_17partition_subalgoE3EjNS0_10empty_typeEbEEZZNS1_14partition_implILS8_3ELb0ES6_jNS0_17counting_iteratorIjlEEPS9_SE_NS0_5tupleIJPjSE_EEENSF_IJSE_SE_EEES9_SG_JZNS1_25segmented_radix_sort_implINS0_14default_configELb0EPKbPbPKlPlN2at6native12_GLOBAL__N_18offset_tEEE10hipError_tPvRmT1_PNSt15iterator_traitsISY_E10value_typeET2_T3_PNSZ_IS14_E10value_typeET4_jRbjT5_S1A_jjP12ihipStream_tbEUljE_EEESV_SW_SX_S14_S18_S1A_T6_T7_T9_mT8_S1C_bDpT10_ENKUlT_T0_E_clISt17integral_constantIbLb0EES1O_IbLb1EEEEDaS1K_S1L_EUlS1K_E_NS1_11comp_targetILNS1_3genE0ELNS1_11target_archE4294967295ELNS1_3gpuE0ELNS1_3repE0EEENS1_30default_config_static_selectorELNS0_4arch9wavefront6targetE0EEEvSY_,comdat
.Lfunc_end1618:
	.size	_ZN7rocprim17ROCPRIM_400000_NS6detail17trampoline_kernelINS0_13select_configILj256ELj13ELNS0_17block_load_methodE3ELS4_3ELS4_3ELNS0_20block_scan_algorithmE0ELj4294967295EEENS1_25partition_config_selectorILNS1_17partition_subalgoE3EjNS0_10empty_typeEbEEZZNS1_14partition_implILS8_3ELb0ES6_jNS0_17counting_iteratorIjlEEPS9_SE_NS0_5tupleIJPjSE_EEENSF_IJSE_SE_EEES9_SG_JZNS1_25segmented_radix_sort_implINS0_14default_configELb0EPKbPbPKlPlN2at6native12_GLOBAL__N_18offset_tEEE10hipError_tPvRmT1_PNSt15iterator_traitsISY_E10value_typeET2_T3_PNSZ_IS14_E10value_typeET4_jRbjT5_S1A_jjP12ihipStream_tbEUljE_EEESV_SW_SX_S14_S18_S1A_T6_T7_T9_mT8_S1C_bDpT10_ENKUlT_T0_E_clISt17integral_constantIbLb0EES1O_IbLb1EEEEDaS1K_S1L_EUlS1K_E_NS1_11comp_targetILNS1_3genE0ELNS1_11target_archE4294967295ELNS1_3gpuE0ELNS1_3repE0EEENS1_30default_config_static_selectorELNS0_4arch9wavefront6targetE0EEEvSY_, .Lfunc_end1618-_ZN7rocprim17ROCPRIM_400000_NS6detail17trampoline_kernelINS0_13select_configILj256ELj13ELNS0_17block_load_methodE3ELS4_3ELS4_3ELNS0_20block_scan_algorithmE0ELj4294967295EEENS1_25partition_config_selectorILNS1_17partition_subalgoE3EjNS0_10empty_typeEbEEZZNS1_14partition_implILS8_3ELb0ES6_jNS0_17counting_iteratorIjlEEPS9_SE_NS0_5tupleIJPjSE_EEENSF_IJSE_SE_EEES9_SG_JZNS1_25segmented_radix_sort_implINS0_14default_configELb0EPKbPbPKlPlN2at6native12_GLOBAL__N_18offset_tEEE10hipError_tPvRmT1_PNSt15iterator_traitsISY_E10value_typeET2_T3_PNSZ_IS14_E10value_typeET4_jRbjT5_S1A_jjP12ihipStream_tbEUljE_EEESV_SW_SX_S14_S18_S1A_T6_T7_T9_mT8_S1C_bDpT10_ENKUlT_T0_E_clISt17integral_constantIbLb0EES1O_IbLb1EEEEDaS1K_S1L_EUlS1K_E_NS1_11comp_targetILNS1_3genE0ELNS1_11target_archE4294967295ELNS1_3gpuE0ELNS1_3repE0EEENS1_30default_config_static_selectorELNS0_4arch9wavefront6targetE0EEEvSY_
                                        ; -- End function
	.set _ZN7rocprim17ROCPRIM_400000_NS6detail17trampoline_kernelINS0_13select_configILj256ELj13ELNS0_17block_load_methodE3ELS4_3ELS4_3ELNS0_20block_scan_algorithmE0ELj4294967295EEENS1_25partition_config_selectorILNS1_17partition_subalgoE3EjNS0_10empty_typeEbEEZZNS1_14partition_implILS8_3ELb0ES6_jNS0_17counting_iteratorIjlEEPS9_SE_NS0_5tupleIJPjSE_EEENSF_IJSE_SE_EEES9_SG_JZNS1_25segmented_radix_sort_implINS0_14default_configELb0EPKbPbPKlPlN2at6native12_GLOBAL__N_18offset_tEEE10hipError_tPvRmT1_PNSt15iterator_traitsISY_E10value_typeET2_T3_PNSZ_IS14_E10value_typeET4_jRbjT5_S1A_jjP12ihipStream_tbEUljE_EEESV_SW_SX_S14_S18_S1A_T6_T7_T9_mT8_S1C_bDpT10_ENKUlT_T0_E_clISt17integral_constantIbLb0EES1O_IbLb1EEEEDaS1K_S1L_EUlS1K_E_NS1_11comp_targetILNS1_3genE0ELNS1_11target_archE4294967295ELNS1_3gpuE0ELNS1_3repE0EEENS1_30default_config_static_selectorELNS0_4arch9wavefront6targetE0EEEvSY_.num_vgpr, 72
	.set _ZN7rocprim17ROCPRIM_400000_NS6detail17trampoline_kernelINS0_13select_configILj256ELj13ELNS0_17block_load_methodE3ELS4_3ELS4_3ELNS0_20block_scan_algorithmE0ELj4294967295EEENS1_25partition_config_selectorILNS1_17partition_subalgoE3EjNS0_10empty_typeEbEEZZNS1_14partition_implILS8_3ELb0ES6_jNS0_17counting_iteratorIjlEEPS9_SE_NS0_5tupleIJPjSE_EEENSF_IJSE_SE_EEES9_SG_JZNS1_25segmented_radix_sort_implINS0_14default_configELb0EPKbPbPKlPlN2at6native12_GLOBAL__N_18offset_tEEE10hipError_tPvRmT1_PNSt15iterator_traitsISY_E10value_typeET2_T3_PNSZ_IS14_E10value_typeET4_jRbjT5_S1A_jjP12ihipStream_tbEUljE_EEESV_SW_SX_S14_S18_S1A_T6_T7_T9_mT8_S1C_bDpT10_ENKUlT_T0_E_clISt17integral_constantIbLb0EES1O_IbLb1EEEEDaS1K_S1L_EUlS1K_E_NS1_11comp_targetILNS1_3genE0ELNS1_11target_archE4294967295ELNS1_3gpuE0ELNS1_3repE0EEENS1_30default_config_static_selectorELNS0_4arch9wavefront6targetE0EEEvSY_.num_agpr, 0
	.set _ZN7rocprim17ROCPRIM_400000_NS6detail17trampoline_kernelINS0_13select_configILj256ELj13ELNS0_17block_load_methodE3ELS4_3ELS4_3ELNS0_20block_scan_algorithmE0ELj4294967295EEENS1_25partition_config_selectorILNS1_17partition_subalgoE3EjNS0_10empty_typeEbEEZZNS1_14partition_implILS8_3ELb0ES6_jNS0_17counting_iteratorIjlEEPS9_SE_NS0_5tupleIJPjSE_EEENSF_IJSE_SE_EEES9_SG_JZNS1_25segmented_radix_sort_implINS0_14default_configELb0EPKbPbPKlPlN2at6native12_GLOBAL__N_18offset_tEEE10hipError_tPvRmT1_PNSt15iterator_traitsISY_E10value_typeET2_T3_PNSZ_IS14_E10value_typeET4_jRbjT5_S1A_jjP12ihipStream_tbEUljE_EEESV_SW_SX_S14_S18_S1A_T6_T7_T9_mT8_S1C_bDpT10_ENKUlT_T0_E_clISt17integral_constantIbLb0EES1O_IbLb1EEEEDaS1K_S1L_EUlS1K_E_NS1_11comp_targetILNS1_3genE0ELNS1_11target_archE4294967295ELNS1_3gpuE0ELNS1_3repE0EEENS1_30default_config_static_selectorELNS0_4arch9wavefront6targetE0EEEvSY_.numbered_sgpr, 24
	.set _ZN7rocprim17ROCPRIM_400000_NS6detail17trampoline_kernelINS0_13select_configILj256ELj13ELNS0_17block_load_methodE3ELS4_3ELS4_3ELNS0_20block_scan_algorithmE0ELj4294967295EEENS1_25partition_config_selectorILNS1_17partition_subalgoE3EjNS0_10empty_typeEbEEZZNS1_14partition_implILS8_3ELb0ES6_jNS0_17counting_iteratorIjlEEPS9_SE_NS0_5tupleIJPjSE_EEENSF_IJSE_SE_EEES9_SG_JZNS1_25segmented_radix_sort_implINS0_14default_configELb0EPKbPbPKlPlN2at6native12_GLOBAL__N_18offset_tEEE10hipError_tPvRmT1_PNSt15iterator_traitsISY_E10value_typeET2_T3_PNSZ_IS14_E10value_typeET4_jRbjT5_S1A_jjP12ihipStream_tbEUljE_EEESV_SW_SX_S14_S18_S1A_T6_T7_T9_mT8_S1C_bDpT10_ENKUlT_T0_E_clISt17integral_constantIbLb0EES1O_IbLb1EEEEDaS1K_S1L_EUlS1K_E_NS1_11comp_targetILNS1_3genE0ELNS1_11target_archE4294967295ELNS1_3gpuE0ELNS1_3repE0EEENS1_30default_config_static_selectorELNS0_4arch9wavefront6targetE0EEEvSY_.num_named_barrier, 0
	.set _ZN7rocprim17ROCPRIM_400000_NS6detail17trampoline_kernelINS0_13select_configILj256ELj13ELNS0_17block_load_methodE3ELS4_3ELS4_3ELNS0_20block_scan_algorithmE0ELj4294967295EEENS1_25partition_config_selectorILNS1_17partition_subalgoE3EjNS0_10empty_typeEbEEZZNS1_14partition_implILS8_3ELb0ES6_jNS0_17counting_iteratorIjlEEPS9_SE_NS0_5tupleIJPjSE_EEENSF_IJSE_SE_EEES9_SG_JZNS1_25segmented_radix_sort_implINS0_14default_configELb0EPKbPbPKlPlN2at6native12_GLOBAL__N_18offset_tEEE10hipError_tPvRmT1_PNSt15iterator_traitsISY_E10value_typeET2_T3_PNSZ_IS14_E10value_typeET4_jRbjT5_S1A_jjP12ihipStream_tbEUljE_EEESV_SW_SX_S14_S18_S1A_T6_T7_T9_mT8_S1C_bDpT10_ENKUlT_T0_E_clISt17integral_constantIbLb0EES1O_IbLb1EEEEDaS1K_S1L_EUlS1K_E_NS1_11comp_targetILNS1_3genE0ELNS1_11target_archE4294967295ELNS1_3gpuE0ELNS1_3repE0EEENS1_30default_config_static_selectorELNS0_4arch9wavefront6targetE0EEEvSY_.private_seg_size, 0
	.set _ZN7rocprim17ROCPRIM_400000_NS6detail17trampoline_kernelINS0_13select_configILj256ELj13ELNS0_17block_load_methodE3ELS4_3ELS4_3ELNS0_20block_scan_algorithmE0ELj4294967295EEENS1_25partition_config_selectorILNS1_17partition_subalgoE3EjNS0_10empty_typeEbEEZZNS1_14partition_implILS8_3ELb0ES6_jNS0_17counting_iteratorIjlEEPS9_SE_NS0_5tupleIJPjSE_EEENSF_IJSE_SE_EEES9_SG_JZNS1_25segmented_radix_sort_implINS0_14default_configELb0EPKbPbPKlPlN2at6native12_GLOBAL__N_18offset_tEEE10hipError_tPvRmT1_PNSt15iterator_traitsISY_E10value_typeET2_T3_PNSZ_IS14_E10value_typeET4_jRbjT5_S1A_jjP12ihipStream_tbEUljE_EEESV_SW_SX_S14_S18_S1A_T6_T7_T9_mT8_S1C_bDpT10_ENKUlT_T0_E_clISt17integral_constantIbLb0EES1O_IbLb1EEEEDaS1K_S1L_EUlS1K_E_NS1_11comp_targetILNS1_3genE0ELNS1_11target_archE4294967295ELNS1_3gpuE0ELNS1_3repE0EEENS1_30default_config_static_selectorELNS0_4arch9wavefront6targetE0EEEvSY_.uses_vcc, 1
	.set _ZN7rocprim17ROCPRIM_400000_NS6detail17trampoline_kernelINS0_13select_configILj256ELj13ELNS0_17block_load_methodE3ELS4_3ELS4_3ELNS0_20block_scan_algorithmE0ELj4294967295EEENS1_25partition_config_selectorILNS1_17partition_subalgoE3EjNS0_10empty_typeEbEEZZNS1_14partition_implILS8_3ELb0ES6_jNS0_17counting_iteratorIjlEEPS9_SE_NS0_5tupleIJPjSE_EEENSF_IJSE_SE_EEES9_SG_JZNS1_25segmented_radix_sort_implINS0_14default_configELb0EPKbPbPKlPlN2at6native12_GLOBAL__N_18offset_tEEE10hipError_tPvRmT1_PNSt15iterator_traitsISY_E10value_typeET2_T3_PNSZ_IS14_E10value_typeET4_jRbjT5_S1A_jjP12ihipStream_tbEUljE_EEESV_SW_SX_S14_S18_S1A_T6_T7_T9_mT8_S1C_bDpT10_ENKUlT_T0_E_clISt17integral_constantIbLb0EES1O_IbLb1EEEEDaS1K_S1L_EUlS1K_E_NS1_11comp_targetILNS1_3genE0ELNS1_11target_archE4294967295ELNS1_3gpuE0ELNS1_3repE0EEENS1_30default_config_static_selectorELNS0_4arch9wavefront6targetE0EEEvSY_.uses_flat_scratch, 0
	.set _ZN7rocprim17ROCPRIM_400000_NS6detail17trampoline_kernelINS0_13select_configILj256ELj13ELNS0_17block_load_methodE3ELS4_3ELS4_3ELNS0_20block_scan_algorithmE0ELj4294967295EEENS1_25partition_config_selectorILNS1_17partition_subalgoE3EjNS0_10empty_typeEbEEZZNS1_14partition_implILS8_3ELb0ES6_jNS0_17counting_iteratorIjlEEPS9_SE_NS0_5tupleIJPjSE_EEENSF_IJSE_SE_EEES9_SG_JZNS1_25segmented_radix_sort_implINS0_14default_configELb0EPKbPbPKlPlN2at6native12_GLOBAL__N_18offset_tEEE10hipError_tPvRmT1_PNSt15iterator_traitsISY_E10value_typeET2_T3_PNSZ_IS14_E10value_typeET4_jRbjT5_S1A_jjP12ihipStream_tbEUljE_EEESV_SW_SX_S14_S18_S1A_T6_T7_T9_mT8_S1C_bDpT10_ENKUlT_T0_E_clISt17integral_constantIbLb0EES1O_IbLb1EEEEDaS1K_S1L_EUlS1K_E_NS1_11comp_targetILNS1_3genE0ELNS1_11target_archE4294967295ELNS1_3gpuE0ELNS1_3repE0EEENS1_30default_config_static_selectorELNS0_4arch9wavefront6targetE0EEEvSY_.has_dyn_sized_stack, 0
	.set _ZN7rocprim17ROCPRIM_400000_NS6detail17trampoline_kernelINS0_13select_configILj256ELj13ELNS0_17block_load_methodE3ELS4_3ELS4_3ELNS0_20block_scan_algorithmE0ELj4294967295EEENS1_25partition_config_selectorILNS1_17partition_subalgoE3EjNS0_10empty_typeEbEEZZNS1_14partition_implILS8_3ELb0ES6_jNS0_17counting_iteratorIjlEEPS9_SE_NS0_5tupleIJPjSE_EEENSF_IJSE_SE_EEES9_SG_JZNS1_25segmented_radix_sort_implINS0_14default_configELb0EPKbPbPKlPlN2at6native12_GLOBAL__N_18offset_tEEE10hipError_tPvRmT1_PNSt15iterator_traitsISY_E10value_typeET2_T3_PNSZ_IS14_E10value_typeET4_jRbjT5_S1A_jjP12ihipStream_tbEUljE_EEESV_SW_SX_S14_S18_S1A_T6_T7_T9_mT8_S1C_bDpT10_ENKUlT_T0_E_clISt17integral_constantIbLb0EES1O_IbLb1EEEEDaS1K_S1L_EUlS1K_E_NS1_11comp_targetILNS1_3genE0ELNS1_11target_archE4294967295ELNS1_3gpuE0ELNS1_3repE0EEENS1_30default_config_static_selectorELNS0_4arch9wavefront6targetE0EEEvSY_.has_recursion, 0
	.set _ZN7rocprim17ROCPRIM_400000_NS6detail17trampoline_kernelINS0_13select_configILj256ELj13ELNS0_17block_load_methodE3ELS4_3ELS4_3ELNS0_20block_scan_algorithmE0ELj4294967295EEENS1_25partition_config_selectorILNS1_17partition_subalgoE3EjNS0_10empty_typeEbEEZZNS1_14partition_implILS8_3ELb0ES6_jNS0_17counting_iteratorIjlEEPS9_SE_NS0_5tupleIJPjSE_EEENSF_IJSE_SE_EEES9_SG_JZNS1_25segmented_radix_sort_implINS0_14default_configELb0EPKbPbPKlPlN2at6native12_GLOBAL__N_18offset_tEEE10hipError_tPvRmT1_PNSt15iterator_traitsISY_E10value_typeET2_T3_PNSZ_IS14_E10value_typeET4_jRbjT5_S1A_jjP12ihipStream_tbEUljE_EEESV_SW_SX_S14_S18_S1A_T6_T7_T9_mT8_S1C_bDpT10_ENKUlT_T0_E_clISt17integral_constantIbLb0EES1O_IbLb1EEEEDaS1K_S1L_EUlS1K_E_NS1_11comp_targetILNS1_3genE0ELNS1_11target_archE4294967295ELNS1_3gpuE0ELNS1_3repE0EEENS1_30default_config_static_selectorELNS0_4arch9wavefront6targetE0EEEvSY_.has_indirect_call, 0
	.section	.AMDGPU.csdata,"",@progbits
; Kernel info:
; codeLenInByte = 9040
; TotalNumSgprs: 26
; NumVgprs: 72
; ScratchSize: 0
; MemoryBound: 0
; FloatMode: 240
; IeeeMode: 1
; LDSByteSize: 13320 bytes/workgroup (compile time only)
; SGPRBlocks: 0
; VGPRBlocks: 4
; NumSGPRsForWavesPerEU: 26
; NumVGPRsForWavesPerEU: 72
; NamedBarCnt: 0
; Occupancy: 12
; WaveLimiterHint : 0
; COMPUTE_PGM_RSRC2:SCRATCH_EN: 0
; COMPUTE_PGM_RSRC2:USER_SGPR: 2
; COMPUTE_PGM_RSRC2:TRAP_HANDLER: 0
; COMPUTE_PGM_RSRC2:TGID_X_EN: 1
; COMPUTE_PGM_RSRC2:TGID_Y_EN: 0
; COMPUTE_PGM_RSRC2:TGID_Z_EN: 0
; COMPUTE_PGM_RSRC2:TIDIG_COMP_CNT: 0
	.section	.text._ZN7rocprim17ROCPRIM_400000_NS6detail17trampoline_kernelINS0_13select_configILj256ELj13ELNS0_17block_load_methodE3ELS4_3ELS4_3ELNS0_20block_scan_algorithmE0ELj4294967295EEENS1_25partition_config_selectorILNS1_17partition_subalgoE3EjNS0_10empty_typeEbEEZZNS1_14partition_implILS8_3ELb0ES6_jNS0_17counting_iteratorIjlEEPS9_SE_NS0_5tupleIJPjSE_EEENSF_IJSE_SE_EEES9_SG_JZNS1_25segmented_radix_sort_implINS0_14default_configELb0EPKbPbPKlPlN2at6native12_GLOBAL__N_18offset_tEEE10hipError_tPvRmT1_PNSt15iterator_traitsISY_E10value_typeET2_T3_PNSZ_IS14_E10value_typeET4_jRbjT5_S1A_jjP12ihipStream_tbEUljE_EEESV_SW_SX_S14_S18_S1A_T6_T7_T9_mT8_S1C_bDpT10_ENKUlT_T0_E_clISt17integral_constantIbLb0EES1O_IbLb1EEEEDaS1K_S1L_EUlS1K_E_NS1_11comp_targetILNS1_3genE5ELNS1_11target_archE942ELNS1_3gpuE9ELNS1_3repE0EEENS1_30default_config_static_selectorELNS0_4arch9wavefront6targetE0EEEvSY_,"axG",@progbits,_ZN7rocprim17ROCPRIM_400000_NS6detail17trampoline_kernelINS0_13select_configILj256ELj13ELNS0_17block_load_methodE3ELS4_3ELS4_3ELNS0_20block_scan_algorithmE0ELj4294967295EEENS1_25partition_config_selectorILNS1_17partition_subalgoE3EjNS0_10empty_typeEbEEZZNS1_14partition_implILS8_3ELb0ES6_jNS0_17counting_iteratorIjlEEPS9_SE_NS0_5tupleIJPjSE_EEENSF_IJSE_SE_EEES9_SG_JZNS1_25segmented_radix_sort_implINS0_14default_configELb0EPKbPbPKlPlN2at6native12_GLOBAL__N_18offset_tEEE10hipError_tPvRmT1_PNSt15iterator_traitsISY_E10value_typeET2_T3_PNSZ_IS14_E10value_typeET4_jRbjT5_S1A_jjP12ihipStream_tbEUljE_EEESV_SW_SX_S14_S18_S1A_T6_T7_T9_mT8_S1C_bDpT10_ENKUlT_T0_E_clISt17integral_constantIbLb0EES1O_IbLb1EEEEDaS1K_S1L_EUlS1K_E_NS1_11comp_targetILNS1_3genE5ELNS1_11target_archE942ELNS1_3gpuE9ELNS1_3repE0EEENS1_30default_config_static_selectorELNS0_4arch9wavefront6targetE0EEEvSY_,comdat
	.globl	_ZN7rocprim17ROCPRIM_400000_NS6detail17trampoline_kernelINS0_13select_configILj256ELj13ELNS0_17block_load_methodE3ELS4_3ELS4_3ELNS0_20block_scan_algorithmE0ELj4294967295EEENS1_25partition_config_selectorILNS1_17partition_subalgoE3EjNS0_10empty_typeEbEEZZNS1_14partition_implILS8_3ELb0ES6_jNS0_17counting_iteratorIjlEEPS9_SE_NS0_5tupleIJPjSE_EEENSF_IJSE_SE_EEES9_SG_JZNS1_25segmented_radix_sort_implINS0_14default_configELb0EPKbPbPKlPlN2at6native12_GLOBAL__N_18offset_tEEE10hipError_tPvRmT1_PNSt15iterator_traitsISY_E10value_typeET2_T3_PNSZ_IS14_E10value_typeET4_jRbjT5_S1A_jjP12ihipStream_tbEUljE_EEESV_SW_SX_S14_S18_S1A_T6_T7_T9_mT8_S1C_bDpT10_ENKUlT_T0_E_clISt17integral_constantIbLb0EES1O_IbLb1EEEEDaS1K_S1L_EUlS1K_E_NS1_11comp_targetILNS1_3genE5ELNS1_11target_archE942ELNS1_3gpuE9ELNS1_3repE0EEENS1_30default_config_static_selectorELNS0_4arch9wavefront6targetE0EEEvSY_ ; -- Begin function _ZN7rocprim17ROCPRIM_400000_NS6detail17trampoline_kernelINS0_13select_configILj256ELj13ELNS0_17block_load_methodE3ELS4_3ELS4_3ELNS0_20block_scan_algorithmE0ELj4294967295EEENS1_25partition_config_selectorILNS1_17partition_subalgoE3EjNS0_10empty_typeEbEEZZNS1_14partition_implILS8_3ELb0ES6_jNS0_17counting_iteratorIjlEEPS9_SE_NS0_5tupleIJPjSE_EEENSF_IJSE_SE_EEES9_SG_JZNS1_25segmented_radix_sort_implINS0_14default_configELb0EPKbPbPKlPlN2at6native12_GLOBAL__N_18offset_tEEE10hipError_tPvRmT1_PNSt15iterator_traitsISY_E10value_typeET2_T3_PNSZ_IS14_E10value_typeET4_jRbjT5_S1A_jjP12ihipStream_tbEUljE_EEESV_SW_SX_S14_S18_S1A_T6_T7_T9_mT8_S1C_bDpT10_ENKUlT_T0_E_clISt17integral_constantIbLb0EES1O_IbLb1EEEEDaS1K_S1L_EUlS1K_E_NS1_11comp_targetILNS1_3genE5ELNS1_11target_archE942ELNS1_3gpuE9ELNS1_3repE0EEENS1_30default_config_static_selectorELNS0_4arch9wavefront6targetE0EEEvSY_
	.p2align	8
	.type	_ZN7rocprim17ROCPRIM_400000_NS6detail17trampoline_kernelINS0_13select_configILj256ELj13ELNS0_17block_load_methodE3ELS4_3ELS4_3ELNS0_20block_scan_algorithmE0ELj4294967295EEENS1_25partition_config_selectorILNS1_17partition_subalgoE3EjNS0_10empty_typeEbEEZZNS1_14partition_implILS8_3ELb0ES6_jNS0_17counting_iteratorIjlEEPS9_SE_NS0_5tupleIJPjSE_EEENSF_IJSE_SE_EEES9_SG_JZNS1_25segmented_radix_sort_implINS0_14default_configELb0EPKbPbPKlPlN2at6native12_GLOBAL__N_18offset_tEEE10hipError_tPvRmT1_PNSt15iterator_traitsISY_E10value_typeET2_T3_PNSZ_IS14_E10value_typeET4_jRbjT5_S1A_jjP12ihipStream_tbEUljE_EEESV_SW_SX_S14_S18_S1A_T6_T7_T9_mT8_S1C_bDpT10_ENKUlT_T0_E_clISt17integral_constantIbLb0EES1O_IbLb1EEEEDaS1K_S1L_EUlS1K_E_NS1_11comp_targetILNS1_3genE5ELNS1_11target_archE942ELNS1_3gpuE9ELNS1_3repE0EEENS1_30default_config_static_selectorELNS0_4arch9wavefront6targetE0EEEvSY_,@function
_ZN7rocprim17ROCPRIM_400000_NS6detail17trampoline_kernelINS0_13select_configILj256ELj13ELNS0_17block_load_methodE3ELS4_3ELS4_3ELNS0_20block_scan_algorithmE0ELj4294967295EEENS1_25partition_config_selectorILNS1_17partition_subalgoE3EjNS0_10empty_typeEbEEZZNS1_14partition_implILS8_3ELb0ES6_jNS0_17counting_iteratorIjlEEPS9_SE_NS0_5tupleIJPjSE_EEENSF_IJSE_SE_EEES9_SG_JZNS1_25segmented_radix_sort_implINS0_14default_configELb0EPKbPbPKlPlN2at6native12_GLOBAL__N_18offset_tEEE10hipError_tPvRmT1_PNSt15iterator_traitsISY_E10value_typeET2_T3_PNSZ_IS14_E10value_typeET4_jRbjT5_S1A_jjP12ihipStream_tbEUljE_EEESV_SW_SX_S14_S18_S1A_T6_T7_T9_mT8_S1C_bDpT10_ENKUlT_T0_E_clISt17integral_constantIbLb0EES1O_IbLb1EEEEDaS1K_S1L_EUlS1K_E_NS1_11comp_targetILNS1_3genE5ELNS1_11target_archE942ELNS1_3gpuE9ELNS1_3repE0EEENS1_30default_config_static_selectorELNS0_4arch9wavefront6targetE0EEEvSY_: ; @_ZN7rocprim17ROCPRIM_400000_NS6detail17trampoline_kernelINS0_13select_configILj256ELj13ELNS0_17block_load_methodE3ELS4_3ELS4_3ELNS0_20block_scan_algorithmE0ELj4294967295EEENS1_25partition_config_selectorILNS1_17partition_subalgoE3EjNS0_10empty_typeEbEEZZNS1_14partition_implILS8_3ELb0ES6_jNS0_17counting_iteratorIjlEEPS9_SE_NS0_5tupleIJPjSE_EEENSF_IJSE_SE_EEES9_SG_JZNS1_25segmented_radix_sort_implINS0_14default_configELb0EPKbPbPKlPlN2at6native12_GLOBAL__N_18offset_tEEE10hipError_tPvRmT1_PNSt15iterator_traitsISY_E10value_typeET2_T3_PNSZ_IS14_E10value_typeET4_jRbjT5_S1A_jjP12ihipStream_tbEUljE_EEESV_SW_SX_S14_S18_S1A_T6_T7_T9_mT8_S1C_bDpT10_ENKUlT_T0_E_clISt17integral_constantIbLb0EES1O_IbLb1EEEEDaS1K_S1L_EUlS1K_E_NS1_11comp_targetILNS1_3genE5ELNS1_11target_archE942ELNS1_3gpuE9ELNS1_3repE0EEENS1_30default_config_static_selectorELNS0_4arch9wavefront6targetE0EEEvSY_
; %bb.0:
	.section	.rodata,"a",@progbits
	.p2align	6, 0x0
	.amdhsa_kernel _ZN7rocprim17ROCPRIM_400000_NS6detail17trampoline_kernelINS0_13select_configILj256ELj13ELNS0_17block_load_methodE3ELS4_3ELS4_3ELNS0_20block_scan_algorithmE0ELj4294967295EEENS1_25partition_config_selectorILNS1_17partition_subalgoE3EjNS0_10empty_typeEbEEZZNS1_14partition_implILS8_3ELb0ES6_jNS0_17counting_iteratorIjlEEPS9_SE_NS0_5tupleIJPjSE_EEENSF_IJSE_SE_EEES9_SG_JZNS1_25segmented_radix_sort_implINS0_14default_configELb0EPKbPbPKlPlN2at6native12_GLOBAL__N_18offset_tEEE10hipError_tPvRmT1_PNSt15iterator_traitsISY_E10value_typeET2_T3_PNSZ_IS14_E10value_typeET4_jRbjT5_S1A_jjP12ihipStream_tbEUljE_EEESV_SW_SX_S14_S18_S1A_T6_T7_T9_mT8_S1C_bDpT10_ENKUlT_T0_E_clISt17integral_constantIbLb0EES1O_IbLb1EEEEDaS1K_S1L_EUlS1K_E_NS1_11comp_targetILNS1_3genE5ELNS1_11target_archE942ELNS1_3gpuE9ELNS1_3repE0EEENS1_30default_config_static_selectorELNS0_4arch9wavefront6targetE0EEEvSY_
		.amdhsa_group_segment_fixed_size 0
		.amdhsa_private_segment_fixed_size 0
		.amdhsa_kernarg_size 152
		.amdhsa_user_sgpr_count 2
		.amdhsa_user_sgpr_dispatch_ptr 0
		.amdhsa_user_sgpr_queue_ptr 0
		.amdhsa_user_sgpr_kernarg_segment_ptr 1
		.amdhsa_user_sgpr_dispatch_id 0
		.amdhsa_user_sgpr_kernarg_preload_length 0
		.amdhsa_user_sgpr_kernarg_preload_offset 0
		.amdhsa_user_sgpr_private_segment_size 0
		.amdhsa_wavefront_size32 1
		.amdhsa_uses_dynamic_stack 0
		.amdhsa_enable_private_segment 0
		.amdhsa_system_sgpr_workgroup_id_x 1
		.amdhsa_system_sgpr_workgroup_id_y 0
		.amdhsa_system_sgpr_workgroup_id_z 0
		.amdhsa_system_sgpr_workgroup_info 0
		.amdhsa_system_vgpr_workitem_id 0
		.amdhsa_next_free_vgpr 1
		.amdhsa_next_free_sgpr 1
		.amdhsa_named_barrier_count 0
		.amdhsa_reserve_vcc 0
		.amdhsa_float_round_mode_32 0
		.amdhsa_float_round_mode_16_64 0
		.amdhsa_float_denorm_mode_32 3
		.amdhsa_float_denorm_mode_16_64 3
		.amdhsa_fp16_overflow 0
		.amdhsa_memory_ordered 1
		.amdhsa_forward_progress 1
		.amdhsa_inst_pref_size 0
		.amdhsa_round_robin_scheduling 0
		.amdhsa_exception_fp_ieee_invalid_op 0
		.amdhsa_exception_fp_denorm_src 0
		.amdhsa_exception_fp_ieee_div_zero 0
		.amdhsa_exception_fp_ieee_overflow 0
		.amdhsa_exception_fp_ieee_underflow 0
		.amdhsa_exception_fp_ieee_inexact 0
		.amdhsa_exception_int_div_zero 0
	.end_amdhsa_kernel
	.section	.text._ZN7rocprim17ROCPRIM_400000_NS6detail17trampoline_kernelINS0_13select_configILj256ELj13ELNS0_17block_load_methodE3ELS4_3ELS4_3ELNS0_20block_scan_algorithmE0ELj4294967295EEENS1_25partition_config_selectorILNS1_17partition_subalgoE3EjNS0_10empty_typeEbEEZZNS1_14partition_implILS8_3ELb0ES6_jNS0_17counting_iteratorIjlEEPS9_SE_NS0_5tupleIJPjSE_EEENSF_IJSE_SE_EEES9_SG_JZNS1_25segmented_radix_sort_implINS0_14default_configELb0EPKbPbPKlPlN2at6native12_GLOBAL__N_18offset_tEEE10hipError_tPvRmT1_PNSt15iterator_traitsISY_E10value_typeET2_T3_PNSZ_IS14_E10value_typeET4_jRbjT5_S1A_jjP12ihipStream_tbEUljE_EEESV_SW_SX_S14_S18_S1A_T6_T7_T9_mT8_S1C_bDpT10_ENKUlT_T0_E_clISt17integral_constantIbLb0EES1O_IbLb1EEEEDaS1K_S1L_EUlS1K_E_NS1_11comp_targetILNS1_3genE5ELNS1_11target_archE942ELNS1_3gpuE9ELNS1_3repE0EEENS1_30default_config_static_selectorELNS0_4arch9wavefront6targetE0EEEvSY_,"axG",@progbits,_ZN7rocprim17ROCPRIM_400000_NS6detail17trampoline_kernelINS0_13select_configILj256ELj13ELNS0_17block_load_methodE3ELS4_3ELS4_3ELNS0_20block_scan_algorithmE0ELj4294967295EEENS1_25partition_config_selectorILNS1_17partition_subalgoE3EjNS0_10empty_typeEbEEZZNS1_14partition_implILS8_3ELb0ES6_jNS0_17counting_iteratorIjlEEPS9_SE_NS0_5tupleIJPjSE_EEENSF_IJSE_SE_EEES9_SG_JZNS1_25segmented_radix_sort_implINS0_14default_configELb0EPKbPbPKlPlN2at6native12_GLOBAL__N_18offset_tEEE10hipError_tPvRmT1_PNSt15iterator_traitsISY_E10value_typeET2_T3_PNSZ_IS14_E10value_typeET4_jRbjT5_S1A_jjP12ihipStream_tbEUljE_EEESV_SW_SX_S14_S18_S1A_T6_T7_T9_mT8_S1C_bDpT10_ENKUlT_T0_E_clISt17integral_constantIbLb0EES1O_IbLb1EEEEDaS1K_S1L_EUlS1K_E_NS1_11comp_targetILNS1_3genE5ELNS1_11target_archE942ELNS1_3gpuE9ELNS1_3repE0EEENS1_30default_config_static_selectorELNS0_4arch9wavefront6targetE0EEEvSY_,comdat
.Lfunc_end1619:
	.size	_ZN7rocprim17ROCPRIM_400000_NS6detail17trampoline_kernelINS0_13select_configILj256ELj13ELNS0_17block_load_methodE3ELS4_3ELS4_3ELNS0_20block_scan_algorithmE0ELj4294967295EEENS1_25partition_config_selectorILNS1_17partition_subalgoE3EjNS0_10empty_typeEbEEZZNS1_14partition_implILS8_3ELb0ES6_jNS0_17counting_iteratorIjlEEPS9_SE_NS0_5tupleIJPjSE_EEENSF_IJSE_SE_EEES9_SG_JZNS1_25segmented_radix_sort_implINS0_14default_configELb0EPKbPbPKlPlN2at6native12_GLOBAL__N_18offset_tEEE10hipError_tPvRmT1_PNSt15iterator_traitsISY_E10value_typeET2_T3_PNSZ_IS14_E10value_typeET4_jRbjT5_S1A_jjP12ihipStream_tbEUljE_EEESV_SW_SX_S14_S18_S1A_T6_T7_T9_mT8_S1C_bDpT10_ENKUlT_T0_E_clISt17integral_constantIbLb0EES1O_IbLb1EEEEDaS1K_S1L_EUlS1K_E_NS1_11comp_targetILNS1_3genE5ELNS1_11target_archE942ELNS1_3gpuE9ELNS1_3repE0EEENS1_30default_config_static_selectorELNS0_4arch9wavefront6targetE0EEEvSY_, .Lfunc_end1619-_ZN7rocprim17ROCPRIM_400000_NS6detail17trampoline_kernelINS0_13select_configILj256ELj13ELNS0_17block_load_methodE3ELS4_3ELS4_3ELNS0_20block_scan_algorithmE0ELj4294967295EEENS1_25partition_config_selectorILNS1_17partition_subalgoE3EjNS0_10empty_typeEbEEZZNS1_14partition_implILS8_3ELb0ES6_jNS0_17counting_iteratorIjlEEPS9_SE_NS0_5tupleIJPjSE_EEENSF_IJSE_SE_EEES9_SG_JZNS1_25segmented_radix_sort_implINS0_14default_configELb0EPKbPbPKlPlN2at6native12_GLOBAL__N_18offset_tEEE10hipError_tPvRmT1_PNSt15iterator_traitsISY_E10value_typeET2_T3_PNSZ_IS14_E10value_typeET4_jRbjT5_S1A_jjP12ihipStream_tbEUljE_EEESV_SW_SX_S14_S18_S1A_T6_T7_T9_mT8_S1C_bDpT10_ENKUlT_T0_E_clISt17integral_constantIbLb0EES1O_IbLb1EEEEDaS1K_S1L_EUlS1K_E_NS1_11comp_targetILNS1_3genE5ELNS1_11target_archE942ELNS1_3gpuE9ELNS1_3repE0EEENS1_30default_config_static_selectorELNS0_4arch9wavefront6targetE0EEEvSY_
                                        ; -- End function
	.set _ZN7rocprim17ROCPRIM_400000_NS6detail17trampoline_kernelINS0_13select_configILj256ELj13ELNS0_17block_load_methodE3ELS4_3ELS4_3ELNS0_20block_scan_algorithmE0ELj4294967295EEENS1_25partition_config_selectorILNS1_17partition_subalgoE3EjNS0_10empty_typeEbEEZZNS1_14partition_implILS8_3ELb0ES6_jNS0_17counting_iteratorIjlEEPS9_SE_NS0_5tupleIJPjSE_EEENSF_IJSE_SE_EEES9_SG_JZNS1_25segmented_radix_sort_implINS0_14default_configELb0EPKbPbPKlPlN2at6native12_GLOBAL__N_18offset_tEEE10hipError_tPvRmT1_PNSt15iterator_traitsISY_E10value_typeET2_T3_PNSZ_IS14_E10value_typeET4_jRbjT5_S1A_jjP12ihipStream_tbEUljE_EEESV_SW_SX_S14_S18_S1A_T6_T7_T9_mT8_S1C_bDpT10_ENKUlT_T0_E_clISt17integral_constantIbLb0EES1O_IbLb1EEEEDaS1K_S1L_EUlS1K_E_NS1_11comp_targetILNS1_3genE5ELNS1_11target_archE942ELNS1_3gpuE9ELNS1_3repE0EEENS1_30default_config_static_selectorELNS0_4arch9wavefront6targetE0EEEvSY_.num_vgpr, 0
	.set _ZN7rocprim17ROCPRIM_400000_NS6detail17trampoline_kernelINS0_13select_configILj256ELj13ELNS0_17block_load_methodE3ELS4_3ELS4_3ELNS0_20block_scan_algorithmE0ELj4294967295EEENS1_25partition_config_selectorILNS1_17partition_subalgoE3EjNS0_10empty_typeEbEEZZNS1_14partition_implILS8_3ELb0ES6_jNS0_17counting_iteratorIjlEEPS9_SE_NS0_5tupleIJPjSE_EEENSF_IJSE_SE_EEES9_SG_JZNS1_25segmented_radix_sort_implINS0_14default_configELb0EPKbPbPKlPlN2at6native12_GLOBAL__N_18offset_tEEE10hipError_tPvRmT1_PNSt15iterator_traitsISY_E10value_typeET2_T3_PNSZ_IS14_E10value_typeET4_jRbjT5_S1A_jjP12ihipStream_tbEUljE_EEESV_SW_SX_S14_S18_S1A_T6_T7_T9_mT8_S1C_bDpT10_ENKUlT_T0_E_clISt17integral_constantIbLb0EES1O_IbLb1EEEEDaS1K_S1L_EUlS1K_E_NS1_11comp_targetILNS1_3genE5ELNS1_11target_archE942ELNS1_3gpuE9ELNS1_3repE0EEENS1_30default_config_static_selectorELNS0_4arch9wavefront6targetE0EEEvSY_.num_agpr, 0
	.set _ZN7rocprim17ROCPRIM_400000_NS6detail17trampoline_kernelINS0_13select_configILj256ELj13ELNS0_17block_load_methodE3ELS4_3ELS4_3ELNS0_20block_scan_algorithmE0ELj4294967295EEENS1_25partition_config_selectorILNS1_17partition_subalgoE3EjNS0_10empty_typeEbEEZZNS1_14partition_implILS8_3ELb0ES6_jNS0_17counting_iteratorIjlEEPS9_SE_NS0_5tupleIJPjSE_EEENSF_IJSE_SE_EEES9_SG_JZNS1_25segmented_radix_sort_implINS0_14default_configELb0EPKbPbPKlPlN2at6native12_GLOBAL__N_18offset_tEEE10hipError_tPvRmT1_PNSt15iterator_traitsISY_E10value_typeET2_T3_PNSZ_IS14_E10value_typeET4_jRbjT5_S1A_jjP12ihipStream_tbEUljE_EEESV_SW_SX_S14_S18_S1A_T6_T7_T9_mT8_S1C_bDpT10_ENKUlT_T0_E_clISt17integral_constantIbLb0EES1O_IbLb1EEEEDaS1K_S1L_EUlS1K_E_NS1_11comp_targetILNS1_3genE5ELNS1_11target_archE942ELNS1_3gpuE9ELNS1_3repE0EEENS1_30default_config_static_selectorELNS0_4arch9wavefront6targetE0EEEvSY_.numbered_sgpr, 0
	.set _ZN7rocprim17ROCPRIM_400000_NS6detail17trampoline_kernelINS0_13select_configILj256ELj13ELNS0_17block_load_methodE3ELS4_3ELS4_3ELNS0_20block_scan_algorithmE0ELj4294967295EEENS1_25partition_config_selectorILNS1_17partition_subalgoE3EjNS0_10empty_typeEbEEZZNS1_14partition_implILS8_3ELb0ES6_jNS0_17counting_iteratorIjlEEPS9_SE_NS0_5tupleIJPjSE_EEENSF_IJSE_SE_EEES9_SG_JZNS1_25segmented_radix_sort_implINS0_14default_configELb0EPKbPbPKlPlN2at6native12_GLOBAL__N_18offset_tEEE10hipError_tPvRmT1_PNSt15iterator_traitsISY_E10value_typeET2_T3_PNSZ_IS14_E10value_typeET4_jRbjT5_S1A_jjP12ihipStream_tbEUljE_EEESV_SW_SX_S14_S18_S1A_T6_T7_T9_mT8_S1C_bDpT10_ENKUlT_T0_E_clISt17integral_constantIbLb0EES1O_IbLb1EEEEDaS1K_S1L_EUlS1K_E_NS1_11comp_targetILNS1_3genE5ELNS1_11target_archE942ELNS1_3gpuE9ELNS1_3repE0EEENS1_30default_config_static_selectorELNS0_4arch9wavefront6targetE0EEEvSY_.num_named_barrier, 0
	.set _ZN7rocprim17ROCPRIM_400000_NS6detail17trampoline_kernelINS0_13select_configILj256ELj13ELNS0_17block_load_methodE3ELS4_3ELS4_3ELNS0_20block_scan_algorithmE0ELj4294967295EEENS1_25partition_config_selectorILNS1_17partition_subalgoE3EjNS0_10empty_typeEbEEZZNS1_14partition_implILS8_3ELb0ES6_jNS0_17counting_iteratorIjlEEPS9_SE_NS0_5tupleIJPjSE_EEENSF_IJSE_SE_EEES9_SG_JZNS1_25segmented_radix_sort_implINS0_14default_configELb0EPKbPbPKlPlN2at6native12_GLOBAL__N_18offset_tEEE10hipError_tPvRmT1_PNSt15iterator_traitsISY_E10value_typeET2_T3_PNSZ_IS14_E10value_typeET4_jRbjT5_S1A_jjP12ihipStream_tbEUljE_EEESV_SW_SX_S14_S18_S1A_T6_T7_T9_mT8_S1C_bDpT10_ENKUlT_T0_E_clISt17integral_constantIbLb0EES1O_IbLb1EEEEDaS1K_S1L_EUlS1K_E_NS1_11comp_targetILNS1_3genE5ELNS1_11target_archE942ELNS1_3gpuE9ELNS1_3repE0EEENS1_30default_config_static_selectorELNS0_4arch9wavefront6targetE0EEEvSY_.private_seg_size, 0
	.set _ZN7rocprim17ROCPRIM_400000_NS6detail17trampoline_kernelINS0_13select_configILj256ELj13ELNS0_17block_load_methodE3ELS4_3ELS4_3ELNS0_20block_scan_algorithmE0ELj4294967295EEENS1_25partition_config_selectorILNS1_17partition_subalgoE3EjNS0_10empty_typeEbEEZZNS1_14partition_implILS8_3ELb0ES6_jNS0_17counting_iteratorIjlEEPS9_SE_NS0_5tupleIJPjSE_EEENSF_IJSE_SE_EEES9_SG_JZNS1_25segmented_radix_sort_implINS0_14default_configELb0EPKbPbPKlPlN2at6native12_GLOBAL__N_18offset_tEEE10hipError_tPvRmT1_PNSt15iterator_traitsISY_E10value_typeET2_T3_PNSZ_IS14_E10value_typeET4_jRbjT5_S1A_jjP12ihipStream_tbEUljE_EEESV_SW_SX_S14_S18_S1A_T6_T7_T9_mT8_S1C_bDpT10_ENKUlT_T0_E_clISt17integral_constantIbLb0EES1O_IbLb1EEEEDaS1K_S1L_EUlS1K_E_NS1_11comp_targetILNS1_3genE5ELNS1_11target_archE942ELNS1_3gpuE9ELNS1_3repE0EEENS1_30default_config_static_selectorELNS0_4arch9wavefront6targetE0EEEvSY_.uses_vcc, 0
	.set _ZN7rocprim17ROCPRIM_400000_NS6detail17trampoline_kernelINS0_13select_configILj256ELj13ELNS0_17block_load_methodE3ELS4_3ELS4_3ELNS0_20block_scan_algorithmE0ELj4294967295EEENS1_25partition_config_selectorILNS1_17partition_subalgoE3EjNS0_10empty_typeEbEEZZNS1_14partition_implILS8_3ELb0ES6_jNS0_17counting_iteratorIjlEEPS9_SE_NS0_5tupleIJPjSE_EEENSF_IJSE_SE_EEES9_SG_JZNS1_25segmented_radix_sort_implINS0_14default_configELb0EPKbPbPKlPlN2at6native12_GLOBAL__N_18offset_tEEE10hipError_tPvRmT1_PNSt15iterator_traitsISY_E10value_typeET2_T3_PNSZ_IS14_E10value_typeET4_jRbjT5_S1A_jjP12ihipStream_tbEUljE_EEESV_SW_SX_S14_S18_S1A_T6_T7_T9_mT8_S1C_bDpT10_ENKUlT_T0_E_clISt17integral_constantIbLb0EES1O_IbLb1EEEEDaS1K_S1L_EUlS1K_E_NS1_11comp_targetILNS1_3genE5ELNS1_11target_archE942ELNS1_3gpuE9ELNS1_3repE0EEENS1_30default_config_static_selectorELNS0_4arch9wavefront6targetE0EEEvSY_.uses_flat_scratch, 0
	.set _ZN7rocprim17ROCPRIM_400000_NS6detail17trampoline_kernelINS0_13select_configILj256ELj13ELNS0_17block_load_methodE3ELS4_3ELS4_3ELNS0_20block_scan_algorithmE0ELj4294967295EEENS1_25partition_config_selectorILNS1_17partition_subalgoE3EjNS0_10empty_typeEbEEZZNS1_14partition_implILS8_3ELb0ES6_jNS0_17counting_iteratorIjlEEPS9_SE_NS0_5tupleIJPjSE_EEENSF_IJSE_SE_EEES9_SG_JZNS1_25segmented_radix_sort_implINS0_14default_configELb0EPKbPbPKlPlN2at6native12_GLOBAL__N_18offset_tEEE10hipError_tPvRmT1_PNSt15iterator_traitsISY_E10value_typeET2_T3_PNSZ_IS14_E10value_typeET4_jRbjT5_S1A_jjP12ihipStream_tbEUljE_EEESV_SW_SX_S14_S18_S1A_T6_T7_T9_mT8_S1C_bDpT10_ENKUlT_T0_E_clISt17integral_constantIbLb0EES1O_IbLb1EEEEDaS1K_S1L_EUlS1K_E_NS1_11comp_targetILNS1_3genE5ELNS1_11target_archE942ELNS1_3gpuE9ELNS1_3repE0EEENS1_30default_config_static_selectorELNS0_4arch9wavefront6targetE0EEEvSY_.has_dyn_sized_stack, 0
	.set _ZN7rocprim17ROCPRIM_400000_NS6detail17trampoline_kernelINS0_13select_configILj256ELj13ELNS0_17block_load_methodE3ELS4_3ELS4_3ELNS0_20block_scan_algorithmE0ELj4294967295EEENS1_25partition_config_selectorILNS1_17partition_subalgoE3EjNS0_10empty_typeEbEEZZNS1_14partition_implILS8_3ELb0ES6_jNS0_17counting_iteratorIjlEEPS9_SE_NS0_5tupleIJPjSE_EEENSF_IJSE_SE_EEES9_SG_JZNS1_25segmented_radix_sort_implINS0_14default_configELb0EPKbPbPKlPlN2at6native12_GLOBAL__N_18offset_tEEE10hipError_tPvRmT1_PNSt15iterator_traitsISY_E10value_typeET2_T3_PNSZ_IS14_E10value_typeET4_jRbjT5_S1A_jjP12ihipStream_tbEUljE_EEESV_SW_SX_S14_S18_S1A_T6_T7_T9_mT8_S1C_bDpT10_ENKUlT_T0_E_clISt17integral_constantIbLb0EES1O_IbLb1EEEEDaS1K_S1L_EUlS1K_E_NS1_11comp_targetILNS1_3genE5ELNS1_11target_archE942ELNS1_3gpuE9ELNS1_3repE0EEENS1_30default_config_static_selectorELNS0_4arch9wavefront6targetE0EEEvSY_.has_recursion, 0
	.set _ZN7rocprim17ROCPRIM_400000_NS6detail17trampoline_kernelINS0_13select_configILj256ELj13ELNS0_17block_load_methodE3ELS4_3ELS4_3ELNS0_20block_scan_algorithmE0ELj4294967295EEENS1_25partition_config_selectorILNS1_17partition_subalgoE3EjNS0_10empty_typeEbEEZZNS1_14partition_implILS8_3ELb0ES6_jNS0_17counting_iteratorIjlEEPS9_SE_NS0_5tupleIJPjSE_EEENSF_IJSE_SE_EEES9_SG_JZNS1_25segmented_radix_sort_implINS0_14default_configELb0EPKbPbPKlPlN2at6native12_GLOBAL__N_18offset_tEEE10hipError_tPvRmT1_PNSt15iterator_traitsISY_E10value_typeET2_T3_PNSZ_IS14_E10value_typeET4_jRbjT5_S1A_jjP12ihipStream_tbEUljE_EEESV_SW_SX_S14_S18_S1A_T6_T7_T9_mT8_S1C_bDpT10_ENKUlT_T0_E_clISt17integral_constantIbLb0EES1O_IbLb1EEEEDaS1K_S1L_EUlS1K_E_NS1_11comp_targetILNS1_3genE5ELNS1_11target_archE942ELNS1_3gpuE9ELNS1_3repE0EEENS1_30default_config_static_selectorELNS0_4arch9wavefront6targetE0EEEvSY_.has_indirect_call, 0
	.section	.AMDGPU.csdata,"",@progbits
; Kernel info:
; codeLenInByte = 0
; TotalNumSgprs: 0
; NumVgprs: 0
; ScratchSize: 0
; MemoryBound: 0
; FloatMode: 240
; IeeeMode: 1
; LDSByteSize: 0 bytes/workgroup (compile time only)
; SGPRBlocks: 0
; VGPRBlocks: 0
; NumSGPRsForWavesPerEU: 1
; NumVGPRsForWavesPerEU: 1
; NamedBarCnt: 0
; Occupancy: 16
; WaveLimiterHint : 0
; COMPUTE_PGM_RSRC2:SCRATCH_EN: 0
; COMPUTE_PGM_RSRC2:USER_SGPR: 2
; COMPUTE_PGM_RSRC2:TRAP_HANDLER: 0
; COMPUTE_PGM_RSRC2:TGID_X_EN: 1
; COMPUTE_PGM_RSRC2:TGID_Y_EN: 0
; COMPUTE_PGM_RSRC2:TGID_Z_EN: 0
; COMPUTE_PGM_RSRC2:TIDIG_COMP_CNT: 0
	.section	.text._ZN7rocprim17ROCPRIM_400000_NS6detail17trampoline_kernelINS0_13select_configILj256ELj13ELNS0_17block_load_methodE3ELS4_3ELS4_3ELNS0_20block_scan_algorithmE0ELj4294967295EEENS1_25partition_config_selectorILNS1_17partition_subalgoE3EjNS0_10empty_typeEbEEZZNS1_14partition_implILS8_3ELb0ES6_jNS0_17counting_iteratorIjlEEPS9_SE_NS0_5tupleIJPjSE_EEENSF_IJSE_SE_EEES9_SG_JZNS1_25segmented_radix_sort_implINS0_14default_configELb0EPKbPbPKlPlN2at6native12_GLOBAL__N_18offset_tEEE10hipError_tPvRmT1_PNSt15iterator_traitsISY_E10value_typeET2_T3_PNSZ_IS14_E10value_typeET4_jRbjT5_S1A_jjP12ihipStream_tbEUljE_EEESV_SW_SX_S14_S18_S1A_T6_T7_T9_mT8_S1C_bDpT10_ENKUlT_T0_E_clISt17integral_constantIbLb0EES1O_IbLb1EEEEDaS1K_S1L_EUlS1K_E_NS1_11comp_targetILNS1_3genE4ELNS1_11target_archE910ELNS1_3gpuE8ELNS1_3repE0EEENS1_30default_config_static_selectorELNS0_4arch9wavefront6targetE0EEEvSY_,"axG",@progbits,_ZN7rocprim17ROCPRIM_400000_NS6detail17trampoline_kernelINS0_13select_configILj256ELj13ELNS0_17block_load_methodE3ELS4_3ELS4_3ELNS0_20block_scan_algorithmE0ELj4294967295EEENS1_25partition_config_selectorILNS1_17partition_subalgoE3EjNS0_10empty_typeEbEEZZNS1_14partition_implILS8_3ELb0ES6_jNS0_17counting_iteratorIjlEEPS9_SE_NS0_5tupleIJPjSE_EEENSF_IJSE_SE_EEES9_SG_JZNS1_25segmented_radix_sort_implINS0_14default_configELb0EPKbPbPKlPlN2at6native12_GLOBAL__N_18offset_tEEE10hipError_tPvRmT1_PNSt15iterator_traitsISY_E10value_typeET2_T3_PNSZ_IS14_E10value_typeET4_jRbjT5_S1A_jjP12ihipStream_tbEUljE_EEESV_SW_SX_S14_S18_S1A_T6_T7_T9_mT8_S1C_bDpT10_ENKUlT_T0_E_clISt17integral_constantIbLb0EES1O_IbLb1EEEEDaS1K_S1L_EUlS1K_E_NS1_11comp_targetILNS1_3genE4ELNS1_11target_archE910ELNS1_3gpuE8ELNS1_3repE0EEENS1_30default_config_static_selectorELNS0_4arch9wavefront6targetE0EEEvSY_,comdat
	.globl	_ZN7rocprim17ROCPRIM_400000_NS6detail17trampoline_kernelINS0_13select_configILj256ELj13ELNS0_17block_load_methodE3ELS4_3ELS4_3ELNS0_20block_scan_algorithmE0ELj4294967295EEENS1_25partition_config_selectorILNS1_17partition_subalgoE3EjNS0_10empty_typeEbEEZZNS1_14partition_implILS8_3ELb0ES6_jNS0_17counting_iteratorIjlEEPS9_SE_NS0_5tupleIJPjSE_EEENSF_IJSE_SE_EEES9_SG_JZNS1_25segmented_radix_sort_implINS0_14default_configELb0EPKbPbPKlPlN2at6native12_GLOBAL__N_18offset_tEEE10hipError_tPvRmT1_PNSt15iterator_traitsISY_E10value_typeET2_T3_PNSZ_IS14_E10value_typeET4_jRbjT5_S1A_jjP12ihipStream_tbEUljE_EEESV_SW_SX_S14_S18_S1A_T6_T7_T9_mT8_S1C_bDpT10_ENKUlT_T0_E_clISt17integral_constantIbLb0EES1O_IbLb1EEEEDaS1K_S1L_EUlS1K_E_NS1_11comp_targetILNS1_3genE4ELNS1_11target_archE910ELNS1_3gpuE8ELNS1_3repE0EEENS1_30default_config_static_selectorELNS0_4arch9wavefront6targetE0EEEvSY_ ; -- Begin function _ZN7rocprim17ROCPRIM_400000_NS6detail17trampoline_kernelINS0_13select_configILj256ELj13ELNS0_17block_load_methodE3ELS4_3ELS4_3ELNS0_20block_scan_algorithmE0ELj4294967295EEENS1_25partition_config_selectorILNS1_17partition_subalgoE3EjNS0_10empty_typeEbEEZZNS1_14partition_implILS8_3ELb0ES6_jNS0_17counting_iteratorIjlEEPS9_SE_NS0_5tupleIJPjSE_EEENSF_IJSE_SE_EEES9_SG_JZNS1_25segmented_radix_sort_implINS0_14default_configELb0EPKbPbPKlPlN2at6native12_GLOBAL__N_18offset_tEEE10hipError_tPvRmT1_PNSt15iterator_traitsISY_E10value_typeET2_T3_PNSZ_IS14_E10value_typeET4_jRbjT5_S1A_jjP12ihipStream_tbEUljE_EEESV_SW_SX_S14_S18_S1A_T6_T7_T9_mT8_S1C_bDpT10_ENKUlT_T0_E_clISt17integral_constantIbLb0EES1O_IbLb1EEEEDaS1K_S1L_EUlS1K_E_NS1_11comp_targetILNS1_3genE4ELNS1_11target_archE910ELNS1_3gpuE8ELNS1_3repE0EEENS1_30default_config_static_selectorELNS0_4arch9wavefront6targetE0EEEvSY_
	.p2align	8
	.type	_ZN7rocprim17ROCPRIM_400000_NS6detail17trampoline_kernelINS0_13select_configILj256ELj13ELNS0_17block_load_methodE3ELS4_3ELS4_3ELNS0_20block_scan_algorithmE0ELj4294967295EEENS1_25partition_config_selectorILNS1_17partition_subalgoE3EjNS0_10empty_typeEbEEZZNS1_14partition_implILS8_3ELb0ES6_jNS0_17counting_iteratorIjlEEPS9_SE_NS0_5tupleIJPjSE_EEENSF_IJSE_SE_EEES9_SG_JZNS1_25segmented_radix_sort_implINS0_14default_configELb0EPKbPbPKlPlN2at6native12_GLOBAL__N_18offset_tEEE10hipError_tPvRmT1_PNSt15iterator_traitsISY_E10value_typeET2_T3_PNSZ_IS14_E10value_typeET4_jRbjT5_S1A_jjP12ihipStream_tbEUljE_EEESV_SW_SX_S14_S18_S1A_T6_T7_T9_mT8_S1C_bDpT10_ENKUlT_T0_E_clISt17integral_constantIbLb0EES1O_IbLb1EEEEDaS1K_S1L_EUlS1K_E_NS1_11comp_targetILNS1_3genE4ELNS1_11target_archE910ELNS1_3gpuE8ELNS1_3repE0EEENS1_30default_config_static_selectorELNS0_4arch9wavefront6targetE0EEEvSY_,@function
_ZN7rocprim17ROCPRIM_400000_NS6detail17trampoline_kernelINS0_13select_configILj256ELj13ELNS0_17block_load_methodE3ELS4_3ELS4_3ELNS0_20block_scan_algorithmE0ELj4294967295EEENS1_25partition_config_selectorILNS1_17partition_subalgoE3EjNS0_10empty_typeEbEEZZNS1_14partition_implILS8_3ELb0ES6_jNS0_17counting_iteratorIjlEEPS9_SE_NS0_5tupleIJPjSE_EEENSF_IJSE_SE_EEES9_SG_JZNS1_25segmented_radix_sort_implINS0_14default_configELb0EPKbPbPKlPlN2at6native12_GLOBAL__N_18offset_tEEE10hipError_tPvRmT1_PNSt15iterator_traitsISY_E10value_typeET2_T3_PNSZ_IS14_E10value_typeET4_jRbjT5_S1A_jjP12ihipStream_tbEUljE_EEESV_SW_SX_S14_S18_S1A_T6_T7_T9_mT8_S1C_bDpT10_ENKUlT_T0_E_clISt17integral_constantIbLb0EES1O_IbLb1EEEEDaS1K_S1L_EUlS1K_E_NS1_11comp_targetILNS1_3genE4ELNS1_11target_archE910ELNS1_3gpuE8ELNS1_3repE0EEENS1_30default_config_static_selectorELNS0_4arch9wavefront6targetE0EEEvSY_: ; @_ZN7rocprim17ROCPRIM_400000_NS6detail17trampoline_kernelINS0_13select_configILj256ELj13ELNS0_17block_load_methodE3ELS4_3ELS4_3ELNS0_20block_scan_algorithmE0ELj4294967295EEENS1_25partition_config_selectorILNS1_17partition_subalgoE3EjNS0_10empty_typeEbEEZZNS1_14partition_implILS8_3ELb0ES6_jNS0_17counting_iteratorIjlEEPS9_SE_NS0_5tupleIJPjSE_EEENSF_IJSE_SE_EEES9_SG_JZNS1_25segmented_radix_sort_implINS0_14default_configELb0EPKbPbPKlPlN2at6native12_GLOBAL__N_18offset_tEEE10hipError_tPvRmT1_PNSt15iterator_traitsISY_E10value_typeET2_T3_PNSZ_IS14_E10value_typeET4_jRbjT5_S1A_jjP12ihipStream_tbEUljE_EEESV_SW_SX_S14_S18_S1A_T6_T7_T9_mT8_S1C_bDpT10_ENKUlT_T0_E_clISt17integral_constantIbLb0EES1O_IbLb1EEEEDaS1K_S1L_EUlS1K_E_NS1_11comp_targetILNS1_3genE4ELNS1_11target_archE910ELNS1_3gpuE8ELNS1_3repE0EEENS1_30default_config_static_selectorELNS0_4arch9wavefront6targetE0EEEvSY_
; %bb.0:
	.section	.rodata,"a",@progbits
	.p2align	6, 0x0
	.amdhsa_kernel _ZN7rocprim17ROCPRIM_400000_NS6detail17trampoline_kernelINS0_13select_configILj256ELj13ELNS0_17block_load_methodE3ELS4_3ELS4_3ELNS0_20block_scan_algorithmE0ELj4294967295EEENS1_25partition_config_selectorILNS1_17partition_subalgoE3EjNS0_10empty_typeEbEEZZNS1_14partition_implILS8_3ELb0ES6_jNS0_17counting_iteratorIjlEEPS9_SE_NS0_5tupleIJPjSE_EEENSF_IJSE_SE_EEES9_SG_JZNS1_25segmented_radix_sort_implINS0_14default_configELb0EPKbPbPKlPlN2at6native12_GLOBAL__N_18offset_tEEE10hipError_tPvRmT1_PNSt15iterator_traitsISY_E10value_typeET2_T3_PNSZ_IS14_E10value_typeET4_jRbjT5_S1A_jjP12ihipStream_tbEUljE_EEESV_SW_SX_S14_S18_S1A_T6_T7_T9_mT8_S1C_bDpT10_ENKUlT_T0_E_clISt17integral_constantIbLb0EES1O_IbLb1EEEEDaS1K_S1L_EUlS1K_E_NS1_11comp_targetILNS1_3genE4ELNS1_11target_archE910ELNS1_3gpuE8ELNS1_3repE0EEENS1_30default_config_static_selectorELNS0_4arch9wavefront6targetE0EEEvSY_
		.amdhsa_group_segment_fixed_size 0
		.amdhsa_private_segment_fixed_size 0
		.amdhsa_kernarg_size 152
		.amdhsa_user_sgpr_count 2
		.amdhsa_user_sgpr_dispatch_ptr 0
		.amdhsa_user_sgpr_queue_ptr 0
		.amdhsa_user_sgpr_kernarg_segment_ptr 1
		.amdhsa_user_sgpr_dispatch_id 0
		.amdhsa_user_sgpr_kernarg_preload_length 0
		.amdhsa_user_sgpr_kernarg_preload_offset 0
		.amdhsa_user_sgpr_private_segment_size 0
		.amdhsa_wavefront_size32 1
		.amdhsa_uses_dynamic_stack 0
		.amdhsa_enable_private_segment 0
		.amdhsa_system_sgpr_workgroup_id_x 1
		.amdhsa_system_sgpr_workgroup_id_y 0
		.amdhsa_system_sgpr_workgroup_id_z 0
		.amdhsa_system_sgpr_workgroup_info 0
		.amdhsa_system_vgpr_workitem_id 0
		.amdhsa_next_free_vgpr 1
		.amdhsa_next_free_sgpr 1
		.amdhsa_named_barrier_count 0
		.amdhsa_reserve_vcc 0
		.amdhsa_float_round_mode_32 0
		.amdhsa_float_round_mode_16_64 0
		.amdhsa_float_denorm_mode_32 3
		.amdhsa_float_denorm_mode_16_64 3
		.amdhsa_fp16_overflow 0
		.amdhsa_memory_ordered 1
		.amdhsa_forward_progress 1
		.amdhsa_inst_pref_size 0
		.amdhsa_round_robin_scheduling 0
		.amdhsa_exception_fp_ieee_invalid_op 0
		.amdhsa_exception_fp_denorm_src 0
		.amdhsa_exception_fp_ieee_div_zero 0
		.amdhsa_exception_fp_ieee_overflow 0
		.amdhsa_exception_fp_ieee_underflow 0
		.amdhsa_exception_fp_ieee_inexact 0
		.amdhsa_exception_int_div_zero 0
	.end_amdhsa_kernel
	.section	.text._ZN7rocprim17ROCPRIM_400000_NS6detail17trampoline_kernelINS0_13select_configILj256ELj13ELNS0_17block_load_methodE3ELS4_3ELS4_3ELNS0_20block_scan_algorithmE0ELj4294967295EEENS1_25partition_config_selectorILNS1_17partition_subalgoE3EjNS0_10empty_typeEbEEZZNS1_14partition_implILS8_3ELb0ES6_jNS0_17counting_iteratorIjlEEPS9_SE_NS0_5tupleIJPjSE_EEENSF_IJSE_SE_EEES9_SG_JZNS1_25segmented_radix_sort_implINS0_14default_configELb0EPKbPbPKlPlN2at6native12_GLOBAL__N_18offset_tEEE10hipError_tPvRmT1_PNSt15iterator_traitsISY_E10value_typeET2_T3_PNSZ_IS14_E10value_typeET4_jRbjT5_S1A_jjP12ihipStream_tbEUljE_EEESV_SW_SX_S14_S18_S1A_T6_T7_T9_mT8_S1C_bDpT10_ENKUlT_T0_E_clISt17integral_constantIbLb0EES1O_IbLb1EEEEDaS1K_S1L_EUlS1K_E_NS1_11comp_targetILNS1_3genE4ELNS1_11target_archE910ELNS1_3gpuE8ELNS1_3repE0EEENS1_30default_config_static_selectorELNS0_4arch9wavefront6targetE0EEEvSY_,"axG",@progbits,_ZN7rocprim17ROCPRIM_400000_NS6detail17trampoline_kernelINS0_13select_configILj256ELj13ELNS0_17block_load_methodE3ELS4_3ELS4_3ELNS0_20block_scan_algorithmE0ELj4294967295EEENS1_25partition_config_selectorILNS1_17partition_subalgoE3EjNS0_10empty_typeEbEEZZNS1_14partition_implILS8_3ELb0ES6_jNS0_17counting_iteratorIjlEEPS9_SE_NS0_5tupleIJPjSE_EEENSF_IJSE_SE_EEES9_SG_JZNS1_25segmented_radix_sort_implINS0_14default_configELb0EPKbPbPKlPlN2at6native12_GLOBAL__N_18offset_tEEE10hipError_tPvRmT1_PNSt15iterator_traitsISY_E10value_typeET2_T3_PNSZ_IS14_E10value_typeET4_jRbjT5_S1A_jjP12ihipStream_tbEUljE_EEESV_SW_SX_S14_S18_S1A_T6_T7_T9_mT8_S1C_bDpT10_ENKUlT_T0_E_clISt17integral_constantIbLb0EES1O_IbLb1EEEEDaS1K_S1L_EUlS1K_E_NS1_11comp_targetILNS1_3genE4ELNS1_11target_archE910ELNS1_3gpuE8ELNS1_3repE0EEENS1_30default_config_static_selectorELNS0_4arch9wavefront6targetE0EEEvSY_,comdat
.Lfunc_end1620:
	.size	_ZN7rocprim17ROCPRIM_400000_NS6detail17trampoline_kernelINS0_13select_configILj256ELj13ELNS0_17block_load_methodE3ELS4_3ELS4_3ELNS0_20block_scan_algorithmE0ELj4294967295EEENS1_25partition_config_selectorILNS1_17partition_subalgoE3EjNS0_10empty_typeEbEEZZNS1_14partition_implILS8_3ELb0ES6_jNS0_17counting_iteratorIjlEEPS9_SE_NS0_5tupleIJPjSE_EEENSF_IJSE_SE_EEES9_SG_JZNS1_25segmented_radix_sort_implINS0_14default_configELb0EPKbPbPKlPlN2at6native12_GLOBAL__N_18offset_tEEE10hipError_tPvRmT1_PNSt15iterator_traitsISY_E10value_typeET2_T3_PNSZ_IS14_E10value_typeET4_jRbjT5_S1A_jjP12ihipStream_tbEUljE_EEESV_SW_SX_S14_S18_S1A_T6_T7_T9_mT8_S1C_bDpT10_ENKUlT_T0_E_clISt17integral_constantIbLb0EES1O_IbLb1EEEEDaS1K_S1L_EUlS1K_E_NS1_11comp_targetILNS1_3genE4ELNS1_11target_archE910ELNS1_3gpuE8ELNS1_3repE0EEENS1_30default_config_static_selectorELNS0_4arch9wavefront6targetE0EEEvSY_, .Lfunc_end1620-_ZN7rocprim17ROCPRIM_400000_NS6detail17trampoline_kernelINS0_13select_configILj256ELj13ELNS0_17block_load_methodE3ELS4_3ELS4_3ELNS0_20block_scan_algorithmE0ELj4294967295EEENS1_25partition_config_selectorILNS1_17partition_subalgoE3EjNS0_10empty_typeEbEEZZNS1_14partition_implILS8_3ELb0ES6_jNS0_17counting_iteratorIjlEEPS9_SE_NS0_5tupleIJPjSE_EEENSF_IJSE_SE_EEES9_SG_JZNS1_25segmented_radix_sort_implINS0_14default_configELb0EPKbPbPKlPlN2at6native12_GLOBAL__N_18offset_tEEE10hipError_tPvRmT1_PNSt15iterator_traitsISY_E10value_typeET2_T3_PNSZ_IS14_E10value_typeET4_jRbjT5_S1A_jjP12ihipStream_tbEUljE_EEESV_SW_SX_S14_S18_S1A_T6_T7_T9_mT8_S1C_bDpT10_ENKUlT_T0_E_clISt17integral_constantIbLb0EES1O_IbLb1EEEEDaS1K_S1L_EUlS1K_E_NS1_11comp_targetILNS1_3genE4ELNS1_11target_archE910ELNS1_3gpuE8ELNS1_3repE0EEENS1_30default_config_static_selectorELNS0_4arch9wavefront6targetE0EEEvSY_
                                        ; -- End function
	.set _ZN7rocprim17ROCPRIM_400000_NS6detail17trampoline_kernelINS0_13select_configILj256ELj13ELNS0_17block_load_methodE3ELS4_3ELS4_3ELNS0_20block_scan_algorithmE0ELj4294967295EEENS1_25partition_config_selectorILNS1_17partition_subalgoE3EjNS0_10empty_typeEbEEZZNS1_14partition_implILS8_3ELb0ES6_jNS0_17counting_iteratorIjlEEPS9_SE_NS0_5tupleIJPjSE_EEENSF_IJSE_SE_EEES9_SG_JZNS1_25segmented_radix_sort_implINS0_14default_configELb0EPKbPbPKlPlN2at6native12_GLOBAL__N_18offset_tEEE10hipError_tPvRmT1_PNSt15iterator_traitsISY_E10value_typeET2_T3_PNSZ_IS14_E10value_typeET4_jRbjT5_S1A_jjP12ihipStream_tbEUljE_EEESV_SW_SX_S14_S18_S1A_T6_T7_T9_mT8_S1C_bDpT10_ENKUlT_T0_E_clISt17integral_constantIbLb0EES1O_IbLb1EEEEDaS1K_S1L_EUlS1K_E_NS1_11comp_targetILNS1_3genE4ELNS1_11target_archE910ELNS1_3gpuE8ELNS1_3repE0EEENS1_30default_config_static_selectorELNS0_4arch9wavefront6targetE0EEEvSY_.num_vgpr, 0
	.set _ZN7rocprim17ROCPRIM_400000_NS6detail17trampoline_kernelINS0_13select_configILj256ELj13ELNS0_17block_load_methodE3ELS4_3ELS4_3ELNS0_20block_scan_algorithmE0ELj4294967295EEENS1_25partition_config_selectorILNS1_17partition_subalgoE3EjNS0_10empty_typeEbEEZZNS1_14partition_implILS8_3ELb0ES6_jNS0_17counting_iteratorIjlEEPS9_SE_NS0_5tupleIJPjSE_EEENSF_IJSE_SE_EEES9_SG_JZNS1_25segmented_radix_sort_implINS0_14default_configELb0EPKbPbPKlPlN2at6native12_GLOBAL__N_18offset_tEEE10hipError_tPvRmT1_PNSt15iterator_traitsISY_E10value_typeET2_T3_PNSZ_IS14_E10value_typeET4_jRbjT5_S1A_jjP12ihipStream_tbEUljE_EEESV_SW_SX_S14_S18_S1A_T6_T7_T9_mT8_S1C_bDpT10_ENKUlT_T0_E_clISt17integral_constantIbLb0EES1O_IbLb1EEEEDaS1K_S1L_EUlS1K_E_NS1_11comp_targetILNS1_3genE4ELNS1_11target_archE910ELNS1_3gpuE8ELNS1_3repE0EEENS1_30default_config_static_selectorELNS0_4arch9wavefront6targetE0EEEvSY_.num_agpr, 0
	.set _ZN7rocprim17ROCPRIM_400000_NS6detail17trampoline_kernelINS0_13select_configILj256ELj13ELNS0_17block_load_methodE3ELS4_3ELS4_3ELNS0_20block_scan_algorithmE0ELj4294967295EEENS1_25partition_config_selectorILNS1_17partition_subalgoE3EjNS0_10empty_typeEbEEZZNS1_14partition_implILS8_3ELb0ES6_jNS0_17counting_iteratorIjlEEPS9_SE_NS0_5tupleIJPjSE_EEENSF_IJSE_SE_EEES9_SG_JZNS1_25segmented_radix_sort_implINS0_14default_configELb0EPKbPbPKlPlN2at6native12_GLOBAL__N_18offset_tEEE10hipError_tPvRmT1_PNSt15iterator_traitsISY_E10value_typeET2_T3_PNSZ_IS14_E10value_typeET4_jRbjT5_S1A_jjP12ihipStream_tbEUljE_EEESV_SW_SX_S14_S18_S1A_T6_T7_T9_mT8_S1C_bDpT10_ENKUlT_T0_E_clISt17integral_constantIbLb0EES1O_IbLb1EEEEDaS1K_S1L_EUlS1K_E_NS1_11comp_targetILNS1_3genE4ELNS1_11target_archE910ELNS1_3gpuE8ELNS1_3repE0EEENS1_30default_config_static_selectorELNS0_4arch9wavefront6targetE0EEEvSY_.numbered_sgpr, 0
	.set _ZN7rocprim17ROCPRIM_400000_NS6detail17trampoline_kernelINS0_13select_configILj256ELj13ELNS0_17block_load_methodE3ELS4_3ELS4_3ELNS0_20block_scan_algorithmE0ELj4294967295EEENS1_25partition_config_selectorILNS1_17partition_subalgoE3EjNS0_10empty_typeEbEEZZNS1_14partition_implILS8_3ELb0ES6_jNS0_17counting_iteratorIjlEEPS9_SE_NS0_5tupleIJPjSE_EEENSF_IJSE_SE_EEES9_SG_JZNS1_25segmented_radix_sort_implINS0_14default_configELb0EPKbPbPKlPlN2at6native12_GLOBAL__N_18offset_tEEE10hipError_tPvRmT1_PNSt15iterator_traitsISY_E10value_typeET2_T3_PNSZ_IS14_E10value_typeET4_jRbjT5_S1A_jjP12ihipStream_tbEUljE_EEESV_SW_SX_S14_S18_S1A_T6_T7_T9_mT8_S1C_bDpT10_ENKUlT_T0_E_clISt17integral_constantIbLb0EES1O_IbLb1EEEEDaS1K_S1L_EUlS1K_E_NS1_11comp_targetILNS1_3genE4ELNS1_11target_archE910ELNS1_3gpuE8ELNS1_3repE0EEENS1_30default_config_static_selectorELNS0_4arch9wavefront6targetE0EEEvSY_.num_named_barrier, 0
	.set _ZN7rocprim17ROCPRIM_400000_NS6detail17trampoline_kernelINS0_13select_configILj256ELj13ELNS0_17block_load_methodE3ELS4_3ELS4_3ELNS0_20block_scan_algorithmE0ELj4294967295EEENS1_25partition_config_selectorILNS1_17partition_subalgoE3EjNS0_10empty_typeEbEEZZNS1_14partition_implILS8_3ELb0ES6_jNS0_17counting_iteratorIjlEEPS9_SE_NS0_5tupleIJPjSE_EEENSF_IJSE_SE_EEES9_SG_JZNS1_25segmented_radix_sort_implINS0_14default_configELb0EPKbPbPKlPlN2at6native12_GLOBAL__N_18offset_tEEE10hipError_tPvRmT1_PNSt15iterator_traitsISY_E10value_typeET2_T3_PNSZ_IS14_E10value_typeET4_jRbjT5_S1A_jjP12ihipStream_tbEUljE_EEESV_SW_SX_S14_S18_S1A_T6_T7_T9_mT8_S1C_bDpT10_ENKUlT_T0_E_clISt17integral_constantIbLb0EES1O_IbLb1EEEEDaS1K_S1L_EUlS1K_E_NS1_11comp_targetILNS1_3genE4ELNS1_11target_archE910ELNS1_3gpuE8ELNS1_3repE0EEENS1_30default_config_static_selectorELNS0_4arch9wavefront6targetE0EEEvSY_.private_seg_size, 0
	.set _ZN7rocprim17ROCPRIM_400000_NS6detail17trampoline_kernelINS0_13select_configILj256ELj13ELNS0_17block_load_methodE3ELS4_3ELS4_3ELNS0_20block_scan_algorithmE0ELj4294967295EEENS1_25partition_config_selectorILNS1_17partition_subalgoE3EjNS0_10empty_typeEbEEZZNS1_14partition_implILS8_3ELb0ES6_jNS0_17counting_iteratorIjlEEPS9_SE_NS0_5tupleIJPjSE_EEENSF_IJSE_SE_EEES9_SG_JZNS1_25segmented_radix_sort_implINS0_14default_configELb0EPKbPbPKlPlN2at6native12_GLOBAL__N_18offset_tEEE10hipError_tPvRmT1_PNSt15iterator_traitsISY_E10value_typeET2_T3_PNSZ_IS14_E10value_typeET4_jRbjT5_S1A_jjP12ihipStream_tbEUljE_EEESV_SW_SX_S14_S18_S1A_T6_T7_T9_mT8_S1C_bDpT10_ENKUlT_T0_E_clISt17integral_constantIbLb0EES1O_IbLb1EEEEDaS1K_S1L_EUlS1K_E_NS1_11comp_targetILNS1_3genE4ELNS1_11target_archE910ELNS1_3gpuE8ELNS1_3repE0EEENS1_30default_config_static_selectorELNS0_4arch9wavefront6targetE0EEEvSY_.uses_vcc, 0
	.set _ZN7rocprim17ROCPRIM_400000_NS6detail17trampoline_kernelINS0_13select_configILj256ELj13ELNS0_17block_load_methodE3ELS4_3ELS4_3ELNS0_20block_scan_algorithmE0ELj4294967295EEENS1_25partition_config_selectorILNS1_17partition_subalgoE3EjNS0_10empty_typeEbEEZZNS1_14partition_implILS8_3ELb0ES6_jNS0_17counting_iteratorIjlEEPS9_SE_NS0_5tupleIJPjSE_EEENSF_IJSE_SE_EEES9_SG_JZNS1_25segmented_radix_sort_implINS0_14default_configELb0EPKbPbPKlPlN2at6native12_GLOBAL__N_18offset_tEEE10hipError_tPvRmT1_PNSt15iterator_traitsISY_E10value_typeET2_T3_PNSZ_IS14_E10value_typeET4_jRbjT5_S1A_jjP12ihipStream_tbEUljE_EEESV_SW_SX_S14_S18_S1A_T6_T7_T9_mT8_S1C_bDpT10_ENKUlT_T0_E_clISt17integral_constantIbLb0EES1O_IbLb1EEEEDaS1K_S1L_EUlS1K_E_NS1_11comp_targetILNS1_3genE4ELNS1_11target_archE910ELNS1_3gpuE8ELNS1_3repE0EEENS1_30default_config_static_selectorELNS0_4arch9wavefront6targetE0EEEvSY_.uses_flat_scratch, 0
	.set _ZN7rocprim17ROCPRIM_400000_NS6detail17trampoline_kernelINS0_13select_configILj256ELj13ELNS0_17block_load_methodE3ELS4_3ELS4_3ELNS0_20block_scan_algorithmE0ELj4294967295EEENS1_25partition_config_selectorILNS1_17partition_subalgoE3EjNS0_10empty_typeEbEEZZNS1_14partition_implILS8_3ELb0ES6_jNS0_17counting_iteratorIjlEEPS9_SE_NS0_5tupleIJPjSE_EEENSF_IJSE_SE_EEES9_SG_JZNS1_25segmented_radix_sort_implINS0_14default_configELb0EPKbPbPKlPlN2at6native12_GLOBAL__N_18offset_tEEE10hipError_tPvRmT1_PNSt15iterator_traitsISY_E10value_typeET2_T3_PNSZ_IS14_E10value_typeET4_jRbjT5_S1A_jjP12ihipStream_tbEUljE_EEESV_SW_SX_S14_S18_S1A_T6_T7_T9_mT8_S1C_bDpT10_ENKUlT_T0_E_clISt17integral_constantIbLb0EES1O_IbLb1EEEEDaS1K_S1L_EUlS1K_E_NS1_11comp_targetILNS1_3genE4ELNS1_11target_archE910ELNS1_3gpuE8ELNS1_3repE0EEENS1_30default_config_static_selectorELNS0_4arch9wavefront6targetE0EEEvSY_.has_dyn_sized_stack, 0
	.set _ZN7rocprim17ROCPRIM_400000_NS6detail17trampoline_kernelINS0_13select_configILj256ELj13ELNS0_17block_load_methodE3ELS4_3ELS4_3ELNS0_20block_scan_algorithmE0ELj4294967295EEENS1_25partition_config_selectorILNS1_17partition_subalgoE3EjNS0_10empty_typeEbEEZZNS1_14partition_implILS8_3ELb0ES6_jNS0_17counting_iteratorIjlEEPS9_SE_NS0_5tupleIJPjSE_EEENSF_IJSE_SE_EEES9_SG_JZNS1_25segmented_radix_sort_implINS0_14default_configELb0EPKbPbPKlPlN2at6native12_GLOBAL__N_18offset_tEEE10hipError_tPvRmT1_PNSt15iterator_traitsISY_E10value_typeET2_T3_PNSZ_IS14_E10value_typeET4_jRbjT5_S1A_jjP12ihipStream_tbEUljE_EEESV_SW_SX_S14_S18_S1A_T6_T7_T9_mT8_S1C_bDpT10_ENKUlT_T0_E_clISt17integral_constantIbLb0EES1O_IbLb1EEEEDaS1K_S1L_EUlS1K_E_NS1_11comp_targetILNS1_3genE4ELNS1_11target_archE910ELNS1_3gpuE8ELNS1_3repE0EEENS1_30default_config_static_selectorELNS0_4arch9wavefront6targetE0EEEvSY_.has_recursion, 0
	.set _ZN7rocprim17ROCPRIM_400000_NS6detail17trampoline_kernelINS0_13select_configILj256ELj13ELNS0_17block_load_methodE3ELS4_3ELS4_3ELNS0_20block_scan_algorithmE0ELj4294967295EEENS1_25partition_config_selectorILNS1_17partition_subalgoE3EjNS0_10empty_typeEbEEZZNS1_14partition_implILS8_3ELb0ES6_jNS0_17counting_iteratorIjlEEPS9_SE_NS0_5tupleIJPjSE_EEENSF_IJSE_SE_EEES9_SG_JZNS1_25segmented_radix_sort_implINS0_14default_configELb0EPKbPbPKlPlN2at6native12_GLOBAL__N_18offset_tEEE10hipError_tPvRmT1_PNSt15iterator_traitsISY_E10value_typeET2_T3_PNSZ_IS14_E10value_typeET4_jRbjT5_S1A_jjP12ihipStream_tbEUljE_EEESV_SW_SX_S14_S18_S1A_T6_T7_T9_mT8_S1C_bDpT10_ENKUlT_T0_E_clISt17integral_constantIbLb0EES1O_IbLb1EEEEDaS1K_S1L_EUlS1K_E_NS1_11comp_targetILNS1_3genE4ELNS1_11target_archE910ELNS1_3gpuE8ELNS1_3repE0EEENS1_30default_config_static_selectorELNS0_4arch9wavefront6targetE0EEEvSY_.has_indirect_call, 0
	.section	.AMDGPU.csdata,"",@progbits
; Kernel info:
; codeLenInByte = 0
; TotalNumSgprs: 0
; NumVgprs: 0
; ScratchSize: 0
; MemoryBound: 0
; FloatMode: 240
; IeeeMode: 1
; LDSByteSize: 0 bytes/workgroup (compile time only)
; SGPRBlocks: 0
; VGPRBlocks: 0
; NumSGPRsForWavesPerEU: 1
; NumVGPRsForWavesPerEU: 1
; NamedBarCnt: 0
; Occupancy: 16
; WaveLimiterHint : 0
; COMPUTE_PGM_RSRC2:SCRATCH_EN: 0
; COMPUTE_PGM_RSRC2:USER_SGPR: 2
; COMPUTE_PGM_RSRC2:TRAP_HANDLER: 0
; COMPUTE_PGM_RSRC2:TGID_X_EN: 1
; COMPUTE_PGM_RSRC2:TGID_Y_EN: 0
; COMPUTE_PGM_RSRC2:TGID_Z_EN: 0
; COMPUTE_PGM_RSRC2:TIDIG_COMP_CNT: 0
	.section	.text._ZN7rocprim17ROCPRIM_400000_NS6detail17trampoline_kernelINS0_13select_configILj256ELj13ELNS0_17block_load_methodE3ELS4_3ELS4_3ELNS0_20block_scan_algorithmE0ELj4294967295EEENS1_25partition_config_selectorILNS1_17partition_subalgoE3EjNS0_10empty_typeEbEEZZNS1_14partition_implILS8_3ELb0ES6_jNS0_17counting_iteratorIjlEEPS9_SE_NS0_5tupleIJPjSE_EEENSF_IJSE_SE_EEES9_SG_JZNS1_25segmented_radix_sort_implINS0_14default_configELb0EPKbPbPKlPlN2at6native12_GLOBAL__N_18offset_tEEE10hipError_tPvRmT1_PNSt15iterator_traitsISY_E10value_typeET2_T3_PNSZ_IS14_E10value_typeET4_jRbjT5_S1A_jjP12ihipStream_tbEUljE_EEESV_SW_SX_S14_S18_S1A_T6_T7_T9_mT8_S1C_bDpT10_ENKUlT_T0_E_clISt17integral_constantIbLb0EES1O_IbLb1EEEEDaS1K_S1L_EUlS1K_E_NS1_11comp_targetILNS1_3genE3ELNS1_11target_archE908ELNS1_3gpuE7ELNS1_3repE0EEENS1_30default_config_static_selectorELNS0_4arch9wavefront6targetE0EEEvSY_,"axG",@progbits,_ZN7rocprim17ROCPRIM_400000_NS6detail17trampoline_kernelINS0_13select_configILj256ELj13ELNS0_17block_load_methodE3ELS4_3ELS4_3ELNS0_20block_scan_algorithmE0ELj4294967295EEENS1_25partition_config_selectorILNS1_17partition_subalgoE3EjNS0_10empty_typeEbEEZZNS1_14partition_implILS8_3ELb0ES6_jNS0_17counting_iteratorIjlEEPS9_SE_NS0_5tupleIJPjSE_EEENSF_IJSE_SE_EEES9_SG_JZNS1_25segmented_radix_sort_implINS0_14default_configELb0EPKbPbPKlPlN2at6native12_GLOBAL__N_18offset_tEEE10hipError_tPvRmT1_PNSt15iterator_traitsISY_E10value_typeET2_T3_PNSZ_IS14_E10value_typeET4_jRbjT5_S1A_jjP12ihipStream_tbEUljE_EEESV_SW_SX_S14_S18_S1A_T6_T7_T9_mT8_S1C_bDpT10_ENKUlT_T0_E_clISt17integral_constantIbLb0EES1O_IbLb1EEEEDaS1K_S1L_EUlS1K_E_NS1_11comp_targetILNS1_3genE3ELNS1_11target_archE908ELNS1_3gpuE7ELNS1_3repE0EEENS1_30default_config_static_selectorELNS0_4arch9wavefront6targetE0EEEvSY_,comdat
	.globl	_ZN7rocprim17ROCPRIM_400000_NS6detail17trampoline_kernelINS0_13select_configILj256ELj13ELNS0_17block_load_methodE3ELS4_3ELS4_3ELNS0_20block_scan_algorithmE0ELj4294967295EEENS1_25partition_config_selectorILNS1_17partition_subalgoE3EjNS0_10empty_typeEbEEZZNS1_14partition_implILS8_3ELb0ES6_jNS0_17counting_iteratorIjlEEPS9_SE_NS0_5tupleIJPjSE_EEENSF_IJSE_SE_EEES9_SG_JZNS1_25segmented_radix_sort_implINS0_14default_configELb0EPKbPbPKlPlN2at6native12_GLOBAL__N_18offset_tEEE10hipError_tPvRmT1_PNSt15iterator_traitsISY_E10value_typeET2_T3_PNSZ_IS14_E10value_typeET4_jRbjT5_S1A_jjP12ihipStream_tbEUljE_EEESV_SW_SX_S14_S18_S1A_T6_T7_T9_mT8_S1C_bDpT10_ENKUlT_T0_E_clISt17integral_constantIbLb0EES1O_IbLb1EEEEDaS1K_S1L_EUlS1K_E_NS1_11comp_targetILNS1_3genE3ELNS1_11target_archE908ELNS1_3gpuE7ELNS1_3repE0EEENS1_30default_config_static_selectorELNS0_4arch9wavefront6targetE0EEEvSY_ ; -- Begin function _ZN7rocprim17ROCPRIM_400000_NS6detail17trampoline_kernelINS0_13select_configILj256ELj13ELNS0_17block_load_methodE3ELS4_3ELS4_3ELNS0_20block_scan_algorithmE0ELj4294967295EEENS1_25partition_config_selectorILNS1_17partition_subalgoE3EjNS0_10empty_typeEbEEZZNS1_14partition_implILS8_3ELb0ES6_jNS0_17counting_iteratorIjlEEPS9_SE_NS0_5tupleIJPjSE_EEENSF_IJSE_SE_EEES9_SG_JZNS1_25segmented_radix_sort_implINS0_14default_configELb0EPKbPbPKlPlN2at6native12_GLOBAL__N_18offset_tEEE10hipError_tPvRmT1_PNSt15iterator_traitsISY_E10value_typeET2_T3_PNSZ_IS14_E10value_typeET4_jRbjT5_S1A_jjP12ihipStream_tbEUljE_EEESV_SW_SX_S14_S18_S1A_T6_T7_T9_mT8_S1C_bDpT10_ENKUlT_T0_E_clISt17integral_constantIbLb0EES1O_IbLb1EEEEDaS1K_S1L_EUlS1K_E_NS1_11comp_targetILNS1_3genE3ELNS1_11target_archE908ELNS1_3gpuE7ELNS1_3repE0EEENS1_30default_config_static_selectorELNS0_4arch9wavefront6targetE0EEEvSY_
	.p2align	8
	.type	_ZN7rocprim17ROCPRIM_400000_NS6detail17trampoline_kernelINS0_13select_configILj256ELj13ELNS0_17block_load_methodE3ELS4_3ELS4_3ELNS0_20block_scan_algorithmE0ELj4294967295EEENS1_25partition_config_selectorILNS1_17partition_subalgoE3EjNS0_10empty_typeEbEEZZNS1_14partition_implILS8_3ELb0ES6_jNS0_17counting_iteratorIjlEEPS9_SE_NS0_5tupleIJPjSE_EEENSF_IJSE_SE_EEES9_SG_JZNS1_25segmented_radix_sort_implINS0_14default_configELb0EPKbPbPKlPlN2at6native12_GLOBAL__N_18offset_tEEE10hipError_tPvRmT1_PNSt15iterator_traitsISY_E10value_typeET2_T3_PNSZ_IS14_E10value_typeET4_jRbjT5_S1A_jjP12ihipStream_tbEUljE_EEESV_SW_SX_S14_S18_S1A_T6_T7_T9_mT8_S1C_bDpT10_ENKUlT_T0_E_clISt17integral_constantIbLb0EES1O_IbLb1EEEEDaS1K_S1L_EUlS1K_E_NS1_11comp_targetILNS1_3genE3ELNS1_11target_archE908ELNS1_3gpuE7ELNS1_3repE0EEENS1_30default_config_static_selectorELNS0_4arch9wavefront6targetE0EEEvSY_,@function
_ZN7rocprim17ROCPRIM_400000_NS6detail17trampoline_kernelINS0_13select_configILj256ELj13ELNS0_17block_load_methodE3ELS4_3ELS4_3ELNS0_20block_scan_algorithmE0ELj4294967295EEENS1_25partition_config_selectorILNS1_17partition_subalgoE3EjNS0_10empty_typeEbEEZZNS1_14partition_implILS8_3ELb0ES6_jNS0_17counting_iteratorIjlEEPS9_SE_NS0_5tupleIJPjSE_EEENSF_IJSE_SE_EEES9_SG_JZNS1_25segmented_radix_sort_implINS0_14default_configELb0EPKbPbPKlPlN2at6native12_GLOBAL__N_18offset_tEEE10hipError_tPvRmT1_PNSt15iterator_traitsISY_E10value_typeET2_T3_PNSZ_IS14_E10value_typeET4_jRbjT5_S1A_jjP12ihipStream_tbEUljE_EEESV_SW_SX_S14_S18_S1A_T6_T7_T9_mT8_S1C_bDpT10_ENKUlT_T0_E_clISt17integral_constantIbLb0EES1O_IbLb1EEEEDaS1K_S1L_EUlS1K_E_NS1_11comp_targetILNS1_3genE3ELNS1_11target_archE908ELNS1_3gpuE7ELNS1_3repE0EEENS1_30default_config_static_selectorELNS0_4arch9wavefront6targetE0EEEvSY_: ; @_ZN7rocprim17ROCPRIM_400000_NS6detail17trampoline_kernelINS0_13select_configILj256ELj13ELNS0_17block_load_methodE3ELS4_3ELS4_3ELNS0_20block_scan_algorithmE0ELj4294967295EEENS1_25partition_config_selectorILNS1_17partition_subalgoE3EjNS0_10empty_typeEbEEZZNS1_14partition_implILS8_3ELb0ES6_jNS0_17counting_iteratorIjlEEPS9_SE_NS0_5tupleIJPjSE_EEENSF_IJSE_SE_EEES9_SG_JZNS1_25segmented_radix_sort_implINS0_14default_configELb0EPKbPbPKlPlN2at6native12_GLOBAL__N_18offset_tEEE10hipError_tPvRmT1_PNSt15iterator_traitsISY_E10value_typeET2_T3_PNSZ_IS14_E10value_typeET4_jRbjT5_S1A_jjP12ihipStream_tbEUljE_EEESV_SW_SX_S14_S18_S1A_T6_T7_T9_mT8_S1C_bDpT10_ENKUlT_T0_E_clISt17integral_constantIbLb0EES1O_IbLb1EEEEDaS1K_S1L_EUlS1K_E_NS1_11comp_targetILNS1_3genE3ELNS1_11target_archE908ELNS1_3gpuE7ELNS1_3repE0EEENS1_30default_config_static_selectorELNS0_4arch9wavefront6targetE0EEEvSY_
; %bb.0:
	.section	.rodata,"a",@progbits
	.p2align	6, 0x0
	.amdhsa_kernel _ZN7rocprim17ROCPRIM_400000_NS6detail17trampoline_kernelINS0_13select_configILj256ELj13ELNS0_17block_load_methodE3ELS4_3ELS4_3ELNS0_20block_scan_algorithmE0ELj4294967295EEENS1_25partition_config_selectorILNS1_17partition_subalgoE3EjNS0_10empty_typeEbEEZZNS1_14partition_implILS8_3ELb0ES6_jNS0_17counting_iteratorIjlEEPS9_SE_NS0_5tupleIJPjSE_EEENSF_IJSE_SE_EEES9_SG_JZNS1_25segmented_radix_sort_implINS0_14default_configELb0EPKbPbPKlPlN2at6native12_GLOBAL__N_18offset_tEEE10hipError_tPvRmT1_PNSt15iterator_traitsISY_E10value_typeET2_T3_PNSZ_IS14_E10value_typeET4_jRbjT5_S1A_jjP12ihipStream_tbEUljE_EEESV_SW_SX_S14_S18_S1A_T6_T7_T9_mT8_S1C_bDpT10_ENKUlT_T0_E_clISt17integral_constantIbLb0EES1O_IbLb1EEEEDaS1K_S1L_EUlS1K_E_NS1_11comp_targetILNS1_3genE3ELNS1_11target_archE908ELNS1_3gpuE7ELNS1_3repE0EEENS1_30default_config_static_selectorELNS0_4arch9wavefront6targetE0EEEvSY_
		.amdhsa_group_segment_fixed_size 0
		.amdhsa_private_segment_fixed_size 0
		.amdhsa_kernarg_size 152
		.amdhsa_user_sgpr_count 2
		.amdhsa_user_sgpr_dispatch_ptr 0
		.amdhsa_user_sgpr_queue_ptr 0
		.amdhsa_user_sgpr_kernarg_segment_ptr 1
		.amdhsa_user_sgpr_dispatch_id 0
		.amdhsa_user_sgpr_kernarg_preload_length 0
		.amdhsa_user_sgpr_kernarg_preload_offset 0
		.amdhsa_user_sgpr_private_segment_size 0
		.amdhsa_wavefront_size32 1
		.amdhsa_uses_dynamic_stack 0
		.amdhsa_enable_private_segment 0
		.amdhsa_system_sgpr_workgroup_id_x 1
		.amdhsa_system_sgpr_workgroup_id_y 0
		.amdhsa_system_sgpr_workgroup_id_z 0
		.amdhsa_system_sgpr_workgroup_info 0
		.amdhsa_system_vgpr_workitem_id 0
		.amdhsa_next_free_vgpr 1
		.amdhsa_next_free_sgpr 1
		.amdhsa_named_barrier_count 0
		.amdhsa_reserve_vcc 0
		.amdhsa_float_round_mode_32 0
		.amdhsa_float_round_mode_16_64 0
		.amdhsa_float_denorm_mode_32 3
		.amdhsa_float_denorm_mode_16_64 3
		.amdhsa_fp16_overflow 0
		.amdhsa_memory_ordered 1
		.amdhsa_forward_progress 1
		.amdhsa_inst_pref_size 0
		.amdhsa_round_robin_scheduling 0
		.amdhsa_exception_fp_ieee_invalid_op 0
		.amdhsa_exception_fp_denorm_src 0
		.amdhsa_exception_fp_ieee_div_zero 0
		.amdhsa_exception_fp_ieee_overflow 0
		.amdhsa_exception_fp_ieee_underflow 0
		.amdhsa_exception_fp_ieee_inexact 0
		.amdhsa_exception_int_div_zero 0
	.end_amdhsa_kernel
	.section	.text._ZN7rocprim17ROCPRIM_400000_NS6detail17trampoline_kernelINS0_13select_configILj256ELj13ELNS0_17block_load_methodE3ELS4_3ELS4_3ELNS0_20block_scan_algorithmE0ELj4294967295EEENS1_25partition_config_selectorILNS1_17partition_subalgoE3EjNS0_10empty_typeEbEEZZNS1_14partition_implILS8_3ELb0ES6_jNS0_17counting_iteratorIjlEEPS9_SE_NS0_5tupleIJPjSE_EEENSF_IJSE_SE_EEES9_SG_JZNS1_25segmented_radix_sort_implINS0_14default_configELb0EPKbPbPKlPlN2at6native12_GLOBAL__N_18offset_tEEE10hipError_tPvRmT1_PNSt15iterator_traitsISY_E10value_typeET2_T3_PNSZ_IS14_E10value_typeET4_jRbjT5_S1A_jjP12ihipStream_tbEUljE_EEESV_SW_SX_S14_S18_S1A_T6_T7_T9_mT8_S1C_bDpT10_ENKUlT_T0_E_clISt17integral_constantIbLb0EES1O_IbLb1EEEEDaS1K_S1L_EUlS1K_E_NS1_11comp_targetILNS1_3genE3ELNS1_11target_archE908ELNS1_3gpuE7ELNS1_3repE0EEENS1_30default_config_static_selectorELNS0_4arch9wavefront6targetE0EEEvSY_,"axG",@progbits,_ZN7rocprim17ROCPRIM_400000_NS6detail17trampoline_kernelINS0_13select_configILj256ELj13ELNS0_17block_load_methodE3ELS4_3ELS4_3ELNS0_20block_scan_algorithmE0ELj4294967295EEENS1_25partition_config_selectorILNS1_17partition_subalgoE3EjNS0_10empty_typeEbEEZZNS1_14partition_implILS8_3ELb0ES6_jNS0_17counting_iteratorIjlEEPS9_SE_NS0_5tupleIJPjSE_EEENSF_IJSE_SE_EEES9_SG_JZNS1_25segmented_radix_sort_implINS0_14default_configELb0EPKbPbPKlPlN2at6native12_GLOBAL__N_18offset_tEEE10hipError_tPvRmT1_PNSt15iterator_traitsISY_E10value_typeET2_T3_PNSZ_IS14_E10value_typeET4_jRbjT5_S1A_jjP12ihipStream_tbEUljE_EEESV_SW_SX_S14_S18_S1A_T6_T7_T9_mT8_S1C_bDpT10_ENKUlT_T0_E_clISt17integral_constantIbLb0EES1O_IbLb1EEEEDaS1K_S1L_EUlS1K_E_NS1_11comp_targetILNS1_3genE3ELNS1_11target_archE908ELNS1_3gpuE7ELNS1_3repE0EEENS1_30default_config_static_selectorELNS0_4arch9wavefront6targetE0EEEvSY_,comdat
.Lfunc_end1621:
	.size	_ZN7rocprim17ROCPRIM_400000_NS6detail17trampoline_kernelINS0_13select_configILj256ELj13ELNS0_17block_load_methodE3ELS4_3ELS4_3ELNS0_20block_scan_algorithmE0ELj4294967295EEENS1_25partition_config_selectorILNS1_17partition_subalgoE3EjNS0_10empty_typeEbEEZZNS1_14partition_implILS8_3ELb0ES6_jNS0_17counting_iteratorIjlEEPS9_SE_NS0_5tupleIJPjSE_EEENSF_IJSE_SE_EEES9_SG_JZNS1_25segmented_radix_sort_implINS0_14default_configELb0EPKbPbPKlPlN2at6native12_GLOBAL__N_18offset_tEEE10hipError_tPvRmT1_PNSt15iterator_traitsISY_E10value_typeET2_T3_PNSZ_IS14_E10value_typeET4_jRbjT5_S1A_jjP12ihipStream_tbEUljE_EEESV_SW_SX_S14_S18_S1A_T6_T7_T9_mT8_S1C_bDpT10_ENKUlT_T0_E_clISt17integral_constantIbLb0EES1O_IbLb1EEEEDaS1K_S1L_EUlS1K_E_NS1_11comp_targetILNS1_3genE3ELNS1_11target_archE908ELNS1_3gpuE7ELNS1_3repE0EEENS1_30default_config_static_selectorELNS0_4arch9wavefront6targetE0EEEvSY_, .Lfunc_end1621-_ZN7rocprim17ROCPRIM_400000_NS6detail17trampoline_kernelINS0_13select_configILj256ELj13ELNS0_17block_load_methodE3ELS4_3ELS4_3ELNS0_20block_scan_algorithmE0ELj4294967295EEENS1_25partition_config_selectorILNS1_17partition_subalgoE3EjNS0_10empty_typeEbEEZZNS1_14partition_implILS8_3ELb0ES6_jNS0_17counting_iteratorIjlEEPS9_SE_NS0_5tupleIJPjSE_EEENSF_IJSE_SE_EEES9_SG_JZNS1_25segmented_radix_sort_implINS0_14default_configELb0EPKbPbPKlPlN2at6native12_GLOBAL__N_18offset_tEEE10hipError_tPvRmT1_PNSt15iterator_traitsISY_E10value_typeET2_T3_PNSZ_IS14_E10value_typeET4_jRbjT5_S1A_jjP12ihipStream_tbEUljE_EEESV_SW_SX_S14_S18_S1A_T6_T7_T9_mT8_S1C_bDpT10_ENKUlT_T0_E_clISt17integral_constantIbLb0EES1O_IbLb1EEEEDaS1K_S1L_EUlS1K_E_NS1_11comp_targetILNS1_3genE3ELNS1_11target_archE908ELNS1_3gpuE7ELNS1_3repE0EEENS1_30default_config_static_selectorELNS0_4arch9wavefront6targetE0EEEvSY_
                                        ; -- End function
	.set _ZN7rocprim17ROCPRIM_400000_NS6detail17trampoline_kernelINS0_13select_configILj256ELj13ELNS0_17block_load_methodE3ELS4_3ELS4_3ELNS0_20block_scan_algorithmE0ELj4294967295EEENS1_25partition_config_selectorILNS1_17partition_subalgoE3EjNS0_10empty_typeEbEEZZNS1_14partition_implILS8_3ELb0ES6_jNS0_17counting_iteratorIjlEEPS9_SE_NS0_5tupleIJPjSE_EEENSF_IJSE_SE_EEES9_SG_JZNS1_25segmented_radix_sort_implINS0_14default_configELb0EPKbPbPKlPlN2at6native12_GLOBAL__N_18offset_tEEE10hipError_tPvRmT1_PNSt15iterator_traitsISY_E10value_typeET2_T3_PNSZ_IS14_E10value_typeET4_jRbjT5_S1A_jjP12ihipStream_tbEUljE_EEESV_SW_SX_S14_S18_S1A_T6_T7_T9_mT8_S1C_bDpT10_ENKUlT_T0_E_clISt17integral_constantIbLb0EES1O_IbLb1EEEEDaS1K_S1L_EUlS1K_E_NS1_11comp_targetILNS1_3genE3ELNS1_11target_archE908ELNS1_3gpuE7ELNS1_3repE0EEENS1_30default_config_static_selectorELNS0_4arch9wavefront6targetE0EEEvSY_.num_vgpr, 0
	.set _ZN7rocprim17ROCPRIM_400000_NS6detail17trampoline_kernelINS0_13select_configILj256ELj13ELNS0_17block_load_methodE3ELS4_3ELS4_3ELNS0_20block_scan_algorithmE0ELj4294967295EEENS1_25partition_config_selectorILNS1_17partition_subalgoE3EjNS0_10empty_typeEbEEZZNS1_14partition_implILS8_3ELb0ES6_jNS0_17counting_iteratorIjlEEPS9_SE_NS0_5tupleIJPjSE_EEENSF_IJSE_SE_EEES9_SG_JZNS1_25segmented_radix_sort_implINS0_14default_configELb0EPKbPbPKlPlN2at6native12_GLOBAL__N_18offset_tEEE10hipError_tPvRmT1_PNSt15iterator_traitsISY_E10value_typeET2_T3_PNSZ_IS14_E10value_typeET4_jRbjT5_S1A_jjP12ihipStream_tbEUljE_EEESV_SW_SX_S14_S18_S1A_T6_T7_T9_mT8_S1C_bDpT10_ENKUlT_T0_E_clISt17integral_constantIbLb0EES1O_IbLb1EEEEDaS1K_S1L_EUlS1K_E_NS1_11comp_targetILNS1_3genE3ELNS1_11target_archE908ELNS1_3gpuE7ELNS1_3repE0EEENS1_30default_config_static_selectorELNS0_4arch9wavefront6targetE0EEEvSY_.num_agpr, 0
	.set _ZN7rocprim17ROCPRIM_400000_NS6detail17trampoline_kernelINS0_13select_configILj256ELj13ELNS0_17block_load_methodE3ELS4_3ELS4_3ELNS0_20block_scan_algorithmE0ELj4294967295EEENS1_25partition_config_selectorILNS1_17partition_subalgoE3EjNS0_10empty_typeEbEEZZNS1_14partition_implILS8_3ELb0ES6_jNS0_17counting_iteratorIjlEEPS9_SE_NS0_5tupleIJPjSE_EEENSF_IJSE_SE_EEES9_SG_JZNS1_25segmented_radix_sort_implINS0_14default_configELb0EPKbPbPKlPlN2at6native12_GLOBAL__N_18offset_tEEE10hipError_tPvRmT1_PNSt15iterator_traitsISY_E10value_typeET2_T3_PNSZ_IS14_E10value_typeET4_jRbjT5_S1A_jjP12ihipStream_tbEUljE_EEESV_SW_SX_S14_S18_S1A_T6_T7_T9_mT8_S1C_bDpT10_ENKUlT_T0_E_clISt17integral_constantIbLb0EES1O_IbLb1EEEEDaS1K_S1L_EUlS1K_E_NS1_11comp_targetILNS1_3genE3ELNS1_11target_archE908ELNS1_3gpuE7ELNS1_3repE0EEENS1_30default_config_static_selectorELNS0_4arch9wavefront6targetE0EEEvSY_.numbered_sgpr, 0
	.set _ZN7rocprim17ROCPRIM_400000_NS6detail17trampoline_kernelINS0_13select_configILj256ELj13ELNS0_17block_load_methodE3ELS4_3ELS4_3ELNS0_20block_scan_algorithmE0ELj4294967295EEENS1_25partition_config_selectorILNS1_17partition_subalgoE3EjNS0_10empty_typeEbEEZZNS1_14partition_implILS8_3ELb0ES6_jNS0_17counting_iteratorIjlEEPS9_SE_NS0_5tupleIJPjSE_EEENSF_IJSE_SE_EEES9_SG_JZNS1_25segmented_radix_sort_implINS0_14default_configELb0EPKbPbPKlPlN2at6native12_GLOBAL__N_18offset_tEEE10hipError_tPvRmT1_PNSt15iterator_traitsISY_E10value_typeET2_T3_PNSZ_IS14_E10value_typeET4_jRbjT5_S1A_jjP12ihipStream_tbEUljE_EEESV_SW_SX_S14_S18_S1A_T6_T7_T9_mT8_S1C_bDpT10_ENKUlT_T0_E_clISt17integral_constantIbLb0EES1O_IbLb1EEEEDaS1K_S1L_EUlS1K_E_NS1_11comp_targetILNS1_3genE3ELNS1_11target_archE908ELNS1_3gpuE7ELNS1_3repE0EEENS1_30default_config_static_selectorELNS0_4arch9wavefront6targetE0EEEvSY_.num_named_barrier, 0
	.set _ZN7rocprim17ROCPRIM_400000_NS6detail17trampoline_kernelINS0_13select_configILj256ELj13ELNS0_17block_load_methodE3ELS4_3ELS4_3ELNS0_20block_scan_algorithmE0ELj4294967295EEENS1_25partition_config_selectorILNS1_17partition_subalgoE3EjNS0_10empty_typeEbEEZZNS1_14partition_implILS8_3ELb0ES6_jNS0_17counting_iteratorIjlEEPS9_SE_NS0_5tupleIJPjSE_EEENSF_IJSE_SE_EEES9_SG_JZNS1_25segmented_radix_sort_implINS0_14default_configELb0EPKbPbPKlPlN2at6native12_GLOBAL__N_18offset_tEEE10hipError_tPvRmT1_PNSt15iterator_traitsISY_E10value_typeET2_T3_PNSZ_IS14_E10value_typeET4_jRbjT5_S1A_jjP12ihipStream_tbEUljE_EEESV_SW_SX_S14_S18_S1A_T6_T7_T9_mT8_S1C_bDpT10_ENKUlT_T0_E_clISt17integral_constantIbLb0EES1O_IbLb1EEEEDaS1K_S1L_EUlS1K_E_NS1_11comp_targetILNS1_3genE3ELNS1_11target_archE908ELNS1_3gpuE7ELNS1_3repE0EEENS1_30default_config_static_selectorELNS0_4arch9wavefront6targetE0EEEvSY_.private_seg_size, 0
	.set _ZN7rocprim17ROCPRIM_400000_NS6detail17trampoline_kernelINS0_13select_configILj256ELj13ELNS0_17block_load_methodE3ELS4_3ELS4_3ELNS0_20block_scan_algorithmE0ELj4294967295EEENS1_25partition_config_selectorILNS1_17partition_subalgoE3EjNS0_10empty_typeEbEEZZNS1_14partition_implILS8_3ELb0ES6_jNS0_17counting_iteratorIjlEEPS9_SE_NS0_5tupleIJPjSE_EEENSF_IJSE_SE_EEES9_SG_JZNS1_25segmented_radix_sort_implINS0_14default_configELb0EPKbPbPKlPlN2at6native12_GLOBAL__N_18offset_tEEE10hipError_tPvRmT1_PNSt15iterator_traitsISY_E10value_typeET2_T3_PNSZ_IS14_E10value_typeET4_jRbjT5_S1A_jjP12ihipStream_tbEUljE_EEESV_SW_SX_S14_S18_S1A_T6_T7_T9_mT8_S1C_bDpT10_ENKUlT_T0_E_clISt17integral_constantIbLb0EES1O_IbLb1EEEEDaS1K_S1L_EUlS1K_E_NS1_11comp_targetILNS1_3genE3ELNS1_11target_archE908ELNS1_3gpuE7ELNS1_3repE0EEENS1_30default_config_static_selectorELNS0_4arch9wavefront6targetE0EEEvSY_.uses_vcc, 0
	.set _ZN7rocprim17ROCPRIM_400000_NS6detail17trampoline_kernelINS0_13select_configILj256ELj13ELNS0_17block_load_methodE3ELS4_3ELS4_3ELNS0_20block_scan_algorithmE0ELj4294967295EEENS1_25partition_config_selectorILNS1_17partition_subalgoE3EjNS0_10empty_typeEbEEZZNS1_14partition_implILS8_3ELb0ES6_jNS0_17counting_iteratorIjlEEPS9_SE_NS0_5tupleIJPjSE_EEENSF_IJSE_SE_EEES9_SG_JZNS1_25segmented_radix_sort_implINS0_14default_configELb0EPKbPbPKlPlN2at6native12_GLOBAL__N_18offset_tEEE10hipError_tPvRmT1_PNSt15iterator_traitsISY_E10value_typeET2_T3_PNSZ_IS14_E10value_typeET4_jRbjT5_S1A_jjP12ihipStream_tbEUljE_EEESV_SW_SX_S14_S18_S1A_T6_T7_T9_mT8_S1C_bDpT10_ENKUlT_T0_E_clISt17integral_constantIbLb0EES1O_IbLb1EEEEDaS1K_S1L_EUlS1K_E_NS1_11comp_targetILNS1_3genE3ELNS1_11target_archE908ELNS1_3gpuE7ELNS1_3repE0EEENS1_30default_config_static_selectorELNS0_4arch9wavefront6targetE0EEEvSY_.uses_flat_scratch, 0
	.set _ZN7rocprim17ROCPRIM_400000_NS6detail17trampoline_kernelINS0_13select_configILj256ELj13ELNS0_17block_load_methodE3ELS4_3ELS4_3ELNS0_20block_scan_algorithmE0ELj4294967295EEENS1_25partition_config_selectorILNS1_17partition_subalgoE3EjNS0_10empty_typeEbEEZZNS1_14partition_implILS8_3ELb0ES6_jNS0_17counting_iteratorIjlEEPS9_SE_NS0_5tupleIJPjSE_EEENSF_IJSE_SE_EEES9_SG_JZNS1_25segmented_radix_sort_implINS0_14default_configELb0EPKbPbPKlPlN2at6native12_GLOBAL__N_18offset_tEEE10hipError_tPvRmT1_PNSt15iterator_traitsISY_E10value_typeET2_T3_PNSZ_IS14_E10value_typeET4_jRbjT5_S1A_jjP12ihipStream_tbEUljE_EEESV_SW_SX_S14_S18_S1A_T6_T7_T9_mT8_S1C_bDpT10_ENKUlT_T0_E_clISt17integral_constantIbLb0EES1O_IbLb1EEEEDaS1K_S1L_EUlS1K_E_NS1_11comp_targetILNS1_3genE3ELNS1_11target_archE908ELNS1_3gpuE7ELNS1_3repE0EEENS1_30default_config_static_selectorELNS0_4arch9wavefront6targetE0EEEvSY_.has_dyn_sized_stack, 0
	.set _ZN7rocprim17ROCPRIM_400000_NS6detail17trampoline_kernelINS0_13select_configILj256ELj13ELNS0_17block_load_methodE3ELS4_3ELS4_3ELNS0_20block_scan_algorithmE0ELj4294967295EEENS1_25partition_config_selectorILNS1_17partition_subalgoE3EjNS0_10empty_typeEbEEZZNS1_14partition_implILS8_3ELb0ES6_jNS0_17counting_iteratorIjlEEPS9_SE_NS0_5tupleIJPjSE_EEENSF_IJSE_SE_EEES9_SG_JZNS1_25segmented_radix_sort_implINS0_14default_configELb0EPKbPbPKlPlN2at6native12_GLOBAL__N_18offset_tEEE10hipError_tPvRmT1_PNSt15iterator_traitsISY_E10value_typeET2_T3_PNSZ_IS14_E10value_typeET4_jRbjT5_S1A_jjP12ihipStream_tbEUljE_EEESV_SW_SX_S14_S18_S1A_T6_T7_T9_mT8_S1C_bDpT10_ENKUlT_T0_E_clISt17integral_constantIbLb0EES1O_IbLb1EEEEDaS1K_S1L_EUlS1K_E_NS1_11comp_targetILNS1_3genE3ELNS1_11target_archE908ELNS1_3gpuE7ELNS1_3repE0EEENS1_30default_config_static_selectorELNS0_4arch9wavefront6targetE0EEEvSY_.has_recursion, 0
	.set _ZN7rocprim17ROCPRIM_400000_NS6detail17trampoline_kernelINS0_13select_configILj256ELj13ELNS0_17block_load_methodE3ELS4_3ELS4_3ELNS0_20block_scan_algorithmE0ELj4294967295EEENS1_25partition_config_selectorILNS1_17partition_subalgoE3EjNS0_10empty_typeEbEEZZNS1_14partition_implILS8_3ELb0ES6_jNS0_17counting_iteratorIjlEEPS9_SE_NS0_5tupleIJPjSE_EEENSF_IJSE_SE_EEES9_SG_JZNS1_25segmented_radix_sort_implINS0_14default_configELb0EPKbPbPKlPlN2at6native12_GLOBAL__N_18offset_tEEE10hipError_tPvRmT1_PNSt15iterator_traitsISY_E10value_typeET2_T3_PNSZ_IS14_E10value_typeET4_jRbjT5_S1A_jjP12ihipStream_tbEUljE_EEESV_SW_SX_S14_S18_S1A_T6_T7_T9_mT8_S1C_bDpT10_ENKUlT_T0_E_clISt17integral_constantIbLb0EES1O_IbLb1EEEEDaS1K_S1L_EUlS1K_E_NS1_11comp_targetILNS1_3genE3ELNS1_11target_archE908ELNS1_3gpuE7ELNS1_3repE0EEENS1_30default_config_static_selectorELNS0_4arch9wavefront6targetE0EEEvSY_.has_indirect_call, 0
	.section	.AMDGPU.csdata,"",@progbits
; Kernel info:
; codeLenInByte = 0
; TotalNumSgprs: 0
; NumVgprs: 0
; ScratchSize: 0
; MemoryBound: 0
; FloatMode: 240
; IeeeMode: 1
; LDSByteSize: 0 bytes/workgroup (compile time only)
; SGPRBlocks: 0
; VGPRBlocks: 0
; NumSGPRsForWavesPerEU: 1
; NumVGPRsForWavesPerEU: 1
; NamedBarCnt: 0
; Occupancy: 16
; WaveLimiterHint : 0
; COMPUTE_PGM_RSRC2:SCRATCH_EN: 0
; COMPUTE_PGM_RSRC2:USER_SGPR: 2
; COMPUTE_PGM_RSRC2:TRAP_HANDLER: 0
; COMPUTE_PGM_RSRC2:TGID_X_EN: 1
; COMPUTE_PGM_RSRC2:TGID_Y_EN: 0
; COMPUTE_PGM_RSRC2:TGID_Z_EN: 0
; COMPUTE_PGM_RSRC2:TIDIG_COMP_CNT: 0
	.section	.text._ZN7rocprim17ROCPRIM_400000_NS6detail17trampoline_kernelINS0_13select_configILj256ELj13ELNS0_17block_load_methodE3ELS4_3ELS4_3ELNS0_20block_scan_algorithmE0ELj4294967295EEENS1_25partition_config_selectorILNS1_17partition_subalgoE3EjNS0_10empty_typeEbEEZZNS1_14partition_implILS8_3ELb0ES6_jNS0_17counting_iteratorIjlEEPS9_SE_NS0_5tupleIJPjSE_EEENSF_IJSE_SE_EEES9_SG_JZNS1_25segmented_radix_sort_implINS0_14default_configELb0EPKbPbPKlPlN2at6native12_GLOBAL__N_18offset_tEEE10hipError_tPvRmT1_PNSt15iterator_traitsISY_E10value_typeET2_T3_PNSZ_IS14_E10value_typeET4_jRbjT5_S1A_jjP12ihipStream_tbEUljE_EEESV_SW_SX_S14_S18_S1A_T6_T7_T9_mT8_S1C_bDpT10_ENKUlT_T0_E_clISt17integral_constantIbLb0EES1O_IbLb1EEEEDaS1K_S1L_EUlS1K_E_NS1_11comp_targetILNS1_3genE2ELNS1_11target_archE906ELNS1_3gpuE6ELNS1_3repE0EEENS1_30default_config_static_selectorELNS0_4arch9wavefront6targetE0EEEvSY_,"axG",@progbits,_ZN7rocprim17ROCPRIM_400000_NS6detail17trampoline_kernelINS0_13select_configILj256ELj13ELNS0_17block_load_methodE3ELS4_3ELS4_3ELNS0_20block_scan_algorithmE0ELj4294967295EEENS1_25partition_config_selectorILNS1_17partition_subalgoE3EjNS0_10empty_typeEbEEZZNS1_14partition_implILS8_3ELb0ES6_jNS0_17counting_iteratorIjlEEPS9_SE_NS0_5tupleIJPjSE_EEENSF_IJSE_SE_EEES9_SG_JZNS1_25segmented_radix_sort_implINS0_14default_configELb0EPKbPbPKlPlN2at6native12_GLOBAL__N_18offset_tEEE10hipError_tPvRmT1_PNSt15iterator_traitsISY_E10value_typeET2_T3_PNSZ_IS14_E10value_typeET4_jRbjT5_S1A_jjP12ihipStream_tbEUljE_EEESV_SW_SX_S14_S18_S1A_T6_T7_T9_mT8_S1C_bDpT10_ENKUlT_T0_E_clISt17integral_constantIbLb0EES1O_IbLb1EEEEDaS1K_S1L_EUlS1K_E_NS1_11comp_targetILNS1_3genE2ELNS1_11target_archE906ELNS1_3gpuE6ELNS1_3repE0EEENS1_30default_config_static_selectorELNS0_4arch9wavefront6targetE0EEEvSY_,comdat
	.globl	_ZN7rocprim17ROCPRIM_400000_NS6detail17trampoline_kernelINS0_13select_configILj256ELj13ELNS0_17block_load_methodE3ELS4_3ELS4_3ELNS0_20block_scan_algorithmE0ELj4294967295EEENS1_25partition_config_selectorILNS1_17partition_subalgoE3EjNS0_10empty_typeEbEEZZNS1_14partition_implILS8_3ELb0ES6_jNS0_17counting_iteratorIjlEEPS9_SE_NS0_5tupleIJPjSE_EEENSF_IJSE_SE_EEES9_SG_JZNS1_25segmented_radix_sort_implINS0_14default_configELb0EPKbPbPKlPlN2at6native12_GLOBAL__N_18offset_tEEE10hipError_tPvRmT1_PNSt15iterator_traitsISY_E10value_typeET2_T3_PNSZ_IS14_E10value_typeET4_jRbjT5_S1A_jjP12ihipStream_tbEUljE_EEESV_SW_SX_S14_S18_S1A_T6_T7_T9_mT8_S1C_bDpT10_ENKUlT_T0_E_clISt17integral_constantIbLb0EES1O_IbLb1EEEEDaS1K_S1L_EUlS1K_E_NS1_11comp_targetILNS1_3genE2ELNS1_11target_archE906ELNS1_3gpuE6ELNS1_3repE0EEENS1_30default_config_static_selectorELNS0_4arch9wavefront6targetE0EEEvSY_ ; -- Begin function _ZN7rocprim17ROCPRIM_400000_NS6detail17trampoline_kernelINS0_13select_configILj256ELj13ELNS0_17block_load_methodE3ELS4_3ELS4_3ELNS0_20block_scan_algorithmE0ELj4294967295EEENS1_25partition_config_selectorILNS1_17partition_subalgoE3EjNS0_10empty_typeEbEEZZNS1_14partition_implILS8_3ELb0ES6_jNS0_17counting_iteratorIjlEEPS9_SE_NS0_5tupleIJPjSE_EEENSF_IJSE_SE_EEES9_SG_JZNS1_25segmented_radix_sort_implINS0_14default_configELb0EPKbPbPKlPlN2at6native12_GLOBAL__N_18offset_tEEE10hipError_tPvRmT1_PNSt15iterator_traitsISY_E10value_typeET2_T3_PNSZ_IS14_E10value_typeET4_jRbjT5_S1A_jjP12ihipStream_tbEUljE_EEESV_SW_SX_S14_S18_S1A_T6_T7_T9_mT8_S1C_bDpT10_ENKUlT_T0_E_clISt17integral_constantIbLb0EES1O_IbLb1EEEEDaS1K_S1L_EUlS1K_E_NS1_11comp_targetILNS1_3genE2ELNS1_11target_archE906ELNS1_3gpuE6ELNS1_3repE0EEENS1_30default_config_static_selectorELNS0_4arch9wavefront6targetE0EEEvSY_
	.p2align	8
	.type	_ZN7rocprim17ROCPRIM_400000_NS6detail17trampoline_kernelINS0_13select_configILj256ELj13ELNS0_17block_load_methodE3ELS4_3ELS4_3ELNS0_20block_scan_algorithmE0ELj4294967295EEENS1_25partition_config_selectorILNS1_17partition_subalgoE3EjNS0_10empty_typeEbEEZZNS1_14partition_implILS8_3ELb0ES6_jNS0_17counting_iteratorIjlEEPS9_SE_NS0_5tupleIJPjSE_EEENSF_IJSE_SE_EEES9_SG_JZNS1_25segmented_radix_sort_implINS0_14default_configELb0EPKbPbPKlPlN2at6native12_GLOBAL__N_18offset_tEEE10hipError_tPvRmT1_PNSt15iterator_traitsISY_E10value_typeET2_T3_PNSZ_IS14_E10value_typeET4_jRbjT5_S1A_jjP12ihipStream_tbEUljE_EEESV_SW_SX_S14_S18_S1A_T6_T7_T9_mT8_S1C_bDpT10_ENKUlT_T0_E_clISt17integral_constantIbLb0EES1O_IbLb1EEEEDaS1K_S1L_EUlS1K_E_NS1_11comp_targetILNS1_3genE2ELNS1_11target_archE906ELNS1_3gpuE6ELNS1_3repE0EEENS1_30default_config_static_selectorELNS0_4arch9wavefront6targetE0EEEvSY_,@function
_ZN7rocprim17ROCPRIM_400000_NS6detail17trampoline_kernelINS0_13select_configILj256ELj13ELNS0_17block_load_methodE3ELS4_3ELS4_3ELNS0_20block_scan_algorithmE0ELj4294967295EEENS1_25partition_config_selectorILNS1_17partition_subalgoE3EjNS0_10empty_typeEbEEZZNS1_14partition_implILS8_3ELb0ES6_jNS0_17counting_iteratorIjlEEPS9_SE_NS0_5tupleIJPjSE_EEENSF_IJSE_SE_EEES9_SG_JZNS1_25segmented_radix_sort_implINS0_14default_configELb0EPKbPbPKlPlN2at6native12_GLOBAL__N_18offset_tEEE10hipError_tPvRmT1_PNSt15iterator_traitsISY_E10value_typeET2_T3_PNSZ_IS14_E10value_typeET4_jRbjT5_S1A_jjP12ihipStream_tbEUljE_EEESV_SW_SX_S14_S18_S1A_T6_T7_T9_mT8_S1C_bDpT10_ENKUlT_T0_E_clISt17integral_constantIbLb0EES1O_IbLb1EEEEDaS1K_S1L_EUlS1K_E_NS1_11comp_targetILNS1_3genE2ELNS1_11target_archE906ELNS1_3gpuE6ELNS1_3repE0EEENS1_30default_config_static_selectorELNS0_4arch9wavefront6targetE0EEEvSY_: ; @_ZN7rocprim17ROCPRIM_400000_NS6detail17trampoline_kernelINS0_13select_configILj256ELj13ELNS0_17block_load_methodE3ELS4_3ELS4_3ELNS0_20block_scan_algorithmE0ELj4294967295EEENS1_25partition_config_selectorILNS1_17partition_subalgoE3EjNS0_10empty_typeEbEEZZNS1_14partition_implILS8_3ELb0ES6_jNS0_17counting_iteratorIjlEEPS9_SE_NS0_5tupleIJPjSE_EEENSF_IJSE_SE_EEES9_SG_JZNS1_25segmented_radix_sort_implINS0_14default_configELb0EPKbPbPKlPlN2at6native12_GLOBAL__N_18offset_tEEE10hipError_tPvRmT1_PNSt15iterator_traitsISY_E10value_typeET2_T3_PNSZ_IS14_E10value_typeET4_jRbjT5_S1A_jjP12ihipStream_tbEUljE_EEESV_SW_SX_S14_S18_S1A_T6_T7_T9_mT8_S1C_bDpT10_ENKUlT_T0_E_clISt17integral_constantIbLb0EES1O_IbLb1EEEEDaS1K_S1L_EUlS1K_E_NS1_11comp_targetILNS1_3genE2ELNS1_11target_archE906ELNS1_3gpuE6ELNS1_3repE0EEENS1_30default_config_static_selectorELNS0_4arch9wavefront6targetE0EEEvSY_
; %bb.0:
	.section	.rodata,"a",@progbits
	.p2align	6, 0x0
	.amdhsa_kernel _ZN7rocprim17ROCPRIM_400000_NS6detail17trampoline_kernelINS0_13select_configILj256ELj13ELNS0_17block_load_methodE3ELS4_3ELS4_3ELNS0_20block_scan_algorithmE0ELj4294967295EEENS1_25partition_config_selectorILNS1_17partition_subalgoE3EjNS0_10empty_typeEbEEZZNS1_14partition_implILS8_3ELb0ES6_jNS0_17counting_iteratorIjlEEPS9_SE_NS0_5tupleIJPjSE_EEENSF_IJSE_SE_EEES9_SG_JZNS1_25segmented_radix_sort_implINS0_14default_configELb0EPKbPbPKlPlN2at6native12_GLOBAL__N_18offset_tEEE10hipError_tPvRmT1_PNSt15iterator_traitsISY_E10value_typeET2_T3_PNSZ_IS14_E10value_typeET4_jRbjT5_S1A_jjP12ihipStream_tbEUljE_EEESV_SW_SX_S14_S18_S1A_T6_T7_T9_mT8_S1C_bDpT10_ENKUlT_T0_E_clISt17integral_constantIbLb0EES1O_IbLb1EEEEDaS1K_S1L_EUlS1K_E_NS1_11comp_targetILNS1_3genE2ELNS1_11target_archE906ELNS1_3gpuE6ELNS1_3repE0EEENS1_30default_config_static_selectorELNS0_4arch9wavefront6targetE0EEEvSY_
		.amdhsa_group_segment_fixed_size 0
		.amdhsa_private_segment_fixed_size 0
		.amdhsa_kernarg_size 152
		.amdhsa_user_sgpr_count 2
		.amdhsa_user_sgpr_dispatch_ptr 0
		.amdhsa_user_sgpr_queue_ptr 0
		.amdhsa_user_sgpr_kernarg_segment_ptr 1
		.amdhsa_user_sgpr_dispatch_id 0
		.amdhsa_user_sgpr_kernarg_preload_length 0
		.amdhsa_user_sgpr_kernarg_preload_offset 0
		.amdhsa_user_sgpr_private_segment_size 0
		.amdhsa_wavefront_size32 1
		.amdhsa_uses_dynamic_stack 0
		.amdhsa_enable_private_segment 0
		.amdhsa_system_sgpr_workgroup_id_x 1
		.amdhsa_system_sgpr_workgroup_id_y 0
		.amdhsa_system_sgpr_workgroup_id_z 0
		.amdhsa_system_sgpr_workgroup_info 0
		.amdhsa_system_vgpr_workitem_id 0
		.amdhsa_next_free_vgpr 1
		.amdhsa_next_free_sgpr 1
		.amdhsa_named_barrier_count 0
		.amdhsa_reserve_vcc 0
		.amdhsa_float_round_mode_32 0
		.amdhsa_float_round_mode_16_64 0
		.amdhsa_float_denorm_mode_32 3
		.amdhsa_float_denorm_mode_16_64 3
		.amdhsa_fp16_overflow 0
		.amdhsa_memory_ordered 1
		.amdhsa_forward_progress 1
		.amdhsa_inst_pref_size 0
		.amdhsa_round_robin_scheduling 0
		.amdhsa_exception_fp_ieee_invalid_op 0
		.amdhsa_exception_fp_denorm_src 0
		.amdhsa_exception_fp_ieee_div_zero 0
		.amdhsa_exception_fp_ieee_overflow 0
		.amdhsa_exception_fp_ieee_underflow 0
		.amdhsa_exception_fp_ieee_inexact 0
		.amdhsa_exception_int_div_zero 0
	.end_amdhsa_kernel
	.section	.text._ZN7rocprim17ROCPRIM_400000_NS6detail17trampoline_kernelINS0_13select_configILj256ELj13ELNS0_17block_load_methodE3ELS4_3ELS4_3ELNS0_20block_scan_algorithmE0ELj4294967295EEENS1_25partition_config_selectorILNS1_17partition_subalgoE3EjNS0_10empty_typeEbEEZZNS1_14partition_implILS8_3ELb0ES6_jNS0_17counting_iteratorIjlEEPS9_SE_NS0_5tupleIJPjSE_EEENSF_IJSE_SE_EEES9_SG_JZNS1_25segmented_radix_sort_implINS0_14default_configELb0EPKbPbPKlPlN2at6native12_GLOBAL__N_18offset_tEEE10hipError_tPvRmT1_PNSt15iterator_traitsISY_E10value_typeET2_T3_PNSZ_IS14_E10value_typeET4_jRbjT5_S1A_jjP12ihipStream_tbEUljE_EEESV_SW_SX_S14_S18_S1A_T6_T7_T9_mT8_S1C_bDpT10_ENKUlT_T0_E_clISt17integral_constantIbLb0EES1O_IbLb1EEEEDaS1K_S1L_EUlS1K_E_NS1_11comp_targetILNS1_3genE2ELNS1_11target_archE906ELNS1_3gpuE6ELNS1_3repE0EEENS1_30default_config_static_selectorELNS0_4arch9wavefront6targetE0EEEvSY_,"axG",@progbits,_ZN7rocprim17ROCPRIM_400000_NS6detail17trampoline_kernelINS0_13select_configILj256ELj13ELNS0_17block_load_methodE3ELS4_3ELS4_3ELNS0_20block_scan_algorithmE0ELj4294967295EEENS1_25partition_config_selectorILNS1_17partition_subalgoE3EjNS0_10empty_typeEbEEZZNS1_14partition_implILS8_3ELb0ES6_jNS0_17counting_iteratorIjlEEPS9_SE_NS0_5tupleIJPjSE_EEENSF_IJSE_SE_EEES9_SG_JZNS1_25segmented_radix_sort_implINS0_14default_configELb0EPKbPbPKlPlN2at6native12_GLOBAL__N_18offset_tEEE10hipError_tPvRmT1_PNSt15iterator_traitsISY_E10value_typeET2_T3_PNSZ_IS14_E10value_typeET4_jRbjT5_S1A_jjP12ihipStream_tbEUljE_EEESV_SW_SX_S14_S18_S1A_T6_T7_T9_mT8_S1C_bDpT10_ENKUlT_T0_E_clISt17integral_constantIbLb0EES1O_IbLb1EEEEDaS1K_S1L_EUlS1K_E_NS1_11comp_targetILNS1_3genE2ELNS1_11target_archE906ELNS1_3gpuE6ELNS1_3repE0EEENS1_30default_config_static_selectorELNS0_4arch9wavefront6targetE0EEEvSY_,comdat
.Lfunc_end1622:
	.size	_ZN7rocprim17ROCPRIM_400000_NS6detail17trampoline_kernelINS0_13select_configILj256ELj13ELNS0_17block_load_methodE3ELS4_3ELS4_3ELNS0_20block_scan_algorithmE0ELj4294967295EEENS1_25partition_config_selectorILNS1_17partition_subalgoE3EjNS0_10empty_typeEbEEZZNS1_14partition_implILS8_3ELb0ES6_jNS0_17counting_iteratorIjlEEPS9_SE_NS0_5tupleIJPjSE_EEENSF_IJSE_SE_EEES9_SG_JZNS1_25segmented_radix_sort_implINS0_14default_configELb0EPKbPbPKlPlN2at6native12_GLOBAL__N_18offset_tEEE10hipError_tPvRmT1_PNSt15iterator_traitsISY_E10value_typeET2_T3_PNSZ_IS14_E10value_typeET4_jRbjT5_S1A_jjP12ihipStream_tbEUljE_EEESV_SW_SX_S14_S18_S1A_T6_T7_T9_mT8_S1C_bDpT10_ENKUlT_T0_E_clISt17integral_constantIbLb0EES1O_IbLb1EEEEDaS1K_S1L_EUlS1K_E_NS1_11comp_targetILNS1_3genE2ELNS1_11target_archE906ELNS1_3gpuE6ELNS1_3repE0EEENS1_30default_config_static_selectorELNS0_4arch9wavefront6targetE0EEEvSY_, .Lfunc_end1622-_ZN7rocprim17ROCPRIM_400000_NS6detail17trampoline_kernelINS0_13select_configILj256ELj13ELNS0_17block_load_methodE3ELS4_3ELS4_3ELNS0_20block_scan_algorithmE0ELj4294967295EEENS1_25partition_config_selectorILNS1_17partition_subalgoE3EjNS0_10empty_typeEbEEZZNS1_14partition_implILS8_3ELb0ES6_jNS0_17counting_iteratorIjlEEPS9_SE_NS0_5tupleIJPjSE_EEENSF_IJSE_SE_EEES9_SG_JZNS1_25segmented_radix_sort_implINS0_14default_configELb0EPKbPbPKlPlN2at6native12_GLOBAL__N_18offset_tEEE10hipError_tPvRmT1_PNSt15iterator_traitsISY_E10value_typeET2_T3_PNSZ_IS14_E10value_typeET4_jRbjT5_S1A_jjP12ihipStream_tbEUljE_EEESV_SW_SX_S14_S18_S1A_T6_T7_T9_mT8_S1C_bDpT10_ENKUlT_T0_E_clISt17integral_constantIbLb0EES1O_IbLb1EEEEDaS1K_S1L_EUlS1K_E_NS1_11comp_targetILNS1_3genE2ELNS1_11target_archE906ELNS1_3gpuE6ELNS1_3repE0EEENS1_30default_config_static_selectorELNS0_4arch9wavefront6targetE0EEEvSY_
                                        ; -- End function
	.set _ZN7rocprim17ROCPRIM_400000_NS6detail17trampoline_kernelINS0_13select_configILj256ELj13ELNS0_17block_load_methodE3ELS4_3ELS4_3ELNS0_20block_scan_algorithmE0ELj4294967295EEENS1_25partition_config_selectorILNS1_17partition_subalgoE3EjNS0_10empty_typeEbEEZZNS1_14partition_implILS8_3ELb0ES6_jNS0_17counting_iteratorIjlEEPS9_SE_NS0_5tupleIJPjSE_EEENSF_IJSE_SE_EEES9_SG_JZNS1_25segmented_radix_sort_implINS0_14default_configELb0EPKbPbPKlPlN2at6native12_GLOBAL__N_18offset_tEEE10hipError_tPvRmT1_PNSt15iterator_traitsISY_E10value_typeET2_T3_PNSZ_IS14_E10value_typeET4_jRbjT5_S1A_jjP12ihipStream_tbEUljE_EEESV_SW_SX_S14_S18_S1A_T6_T7_T9_mT8_S1C_bDpT10_ENKUlT_T0_E_clISt17integral_constantIbLb0EES1O_IbLb1EEEEDaS1K_S1L_EUlS1K_E_NS1_11comp_targetILNS1_3genE2ELNS1_11target_archE906ELNS1_3gpuE6ELNS1_3repE0EEENS1_30default_config_static_selectorELNS0_4arch9wavefront6targetE0EEEvSY_.num_vgpr, 0
	.set _ZN7rocprim17ROCPRIM_400000_NS6detail17trampoline_kernelINS0_13select_configILj256ELj13ELNS0_17block_load_methodE3ELS4_3ELS4_3ELNS0_20block_scan_algorithmE0ELj4294967295EEENS1_25partition_config_selectorILNS1_17partition_subalgoE3EjNS0_10empty_typeEbEEZZNS1_14partition_implILS8_3ELb0ES6_jNS0_17counting_iteratorIjlEEPS9_SE_NS0_5tupleIJPjSE_EEENSF_IJSE_SE_EEES9_SG_JZNS1_25segmented_radix_sort_implINS0_14default_configELb0EPKbPbPKlPlN2at6native12_GLOBAL__N_18offset_tEEE10hipError_tPvRmT1_PNSt15iterator_traitsISY_E10value_typeET2_T3_PNSZ_IS14_E10value_typeET4_jRbjT5_S1A_jjP12ihipStream_tbEUljE_EEESV_SW_SX_S14_S18_S1A_T6_T7_T9_mT8_S1C_bDpT10_ENKUlT_T0_E_clISt17integral_constantIbLb0EES1O_IbLb1EEEEDaS1K_S1L_EUlS1K_E_NS1_11comp_targetILNS1_3genE2ELNS1_11target_archE906ELNS1_3gpuE6ELNS1_3repE0EEENS1_30default_config_static_selectorELNS0_4arch9wavefront6targetE0EEEvSY_.num_agpr, 0
	.set _ZN7rocprim17ROCPRIM_400000_NS6detail17trampoline_kernelINS0_13select_configILj256ELj13ELNS0_17block_load_methodE3ELS4_3ELS4_3ELNS0_20block_scan_algorithmE0ELj4294967295EEENS1_25partition_config_selectorILNS1_17partition_subalgoE3EjNS0_10empty_typeEbEEZZNS1_14partition_implILS8_3ELb0ES6_jNS0_17counting_iteratorIjlEEPS9_SE_NS0_5tupleIJPjSE_EEENSF_IJSE_SE_EEES9_SG_JZNS1_25segmented_radix_sort_implINS0_14default_configELb0EPKbPbPKlPlN2at6native12_GLOBAL__N_18offset_tEEE10hipError_tPvRmT1_PNSt15iterator_traitsISY_E10value_typeET2_T3_PNSZ_IS14_E10value_typeET4_jRbjT5_S1A_jjP12ihipStream_tbEUljE_EEESV_SW_SX_S14_S18_S1A_T6_T7_T9_mT8_S1C_bDpT10_ENKUlT_T0_E_clISt17integral_constantIbLb0EES1O_IbLb1EEEEDaS1K_S1L_EUlS1K_E_NS1_11comp_targetILNS1_3genE2ELNS1_11target_archE906ELNS1_3gpuE6ELNS1_3repE0EEENS1_30default_config_static_selectorELNS0_4arch9wavefront6targetE0EEEvSY_.numbered_sgpr, 0
	.set _ZN7rocprim17ROCPRIM_400000_NS6detail17trampoline_kernelINS0_13select_configILj256ELj13ELNS0_17block_load_methodE3ELS4_3ELS4_3ELNS0_20block_scan_algorithmE0ELj4294967295EEENS1_25partition_config_selectorILNS1_17partition_subalgoE3EjNS0_10empty_typeEbEEZZNS1_14partition_implILS8_3ELb0ES6_jNS0_17counting_iteratorIjlEEPS9_SE_NS0_5tupleIJPjSE_EEENSF_IJSE_SE_EEES9_SG_JZNS1_25segmented_radix_sort_implINS0_14default_configELb0EPKbPbPKlPlN2at6native12_GLOBAL__N_18offset_tEEE10hipError_tPvRmT1_PNSt15iterator_traitsISY_E10value_typeET2_T3_PNSZ_IS14_E10value_typeET4_jRbjT5_S1A_jjP12ihipStream_tbEUljE_EEESV_SW_SX_S14_S18_S1A_T6_T7_T9_mT8_S1C_bDpT10_ENKUlT_T0_E_clISt17integral_constantIbLb0EES1O_IbLb1EEEEDaS1K_S1L_EUlS1K_E_NS1_11comp_targetILNS1_3genE2ELNS1_11target_archE906ELNS1_3gpuE6ELNS1_3repE0EEENS1_30default_config_static_selectorELNS0_4arch9wavefront6targetE0EEEvSY_.num_named_barrier, 0
	.set _ZN7rocprim17ROCPRIM_400000_NS6detail17trampoline_kernelINS0_13select_configILj256ELj13ELNS0_17block_load_methodE3ELS4_3ELS4_3ELNS0_20block_scan_algorithmE0ELj4294967295EEENS1_25partition_config_selectorILNS1_17partition_subalgoE3EjNS0_10empty_typeEbEEZZNS1_14partition_implILS8_3ELb0ES6_jNS0_17counting_iteratorIjlEEPS9_SE_NS0_5tupleIJPjSE_EEENSF_IJSE_SE_EEES9_SG_JZNS1_25segmented_radix_sort_implINS0_14default_configELb0EPKbPbPKlPlN2at6native12_GLOBAL__N_18offset_tEEE10hipError_tPvRmT1_PNSt15iterator_traitsISY_E10value_typeET2_T3_PNSZ_IS14_E10value_typeET4_jRbjT5_S1A_jjP12ihipStream_tbEUljE_EEESV_SW_SX_S14_S18_S1A_T6_T7_T9_mT8_S1C_bDpT10_ENKUlT_T0_E_clISt17integral_constantIbLb0EES1O_IbLb1EEEEDaS1K_S1L_EUlS1K_E_NS1_11comp_targetILNS1_3genE2ELNS1_11target_archE906ELNS1_3gpuE6ELNS1_3repE0EEENS1_30default_config_static_selectorELNS0_4arch9wavefront6targetE0EEEvSY_.private_seg_size, 0
	.set _ZN7rocprim17ROCPRIM_400000_NS6detail17trampoline_kernelINS0_13select_configILj256ELj13ELNS0_17block_load_methodE3ELS4_3ELS4_3ELNS0_20block_scan_algorithmE0ELj4294967295EEENS1_25partition_config_selectorILNS1_17partition_subalgoE3EjNS0_10empty_typeEbEEZZNS1_14partition_implILS8_3ELb0ES6_jNS0_17counting_iteratorIjlEEPS9_SE_NS0_5tupleIJPjSE_EEENSF_IJSE_SE_EEES9_SG_JZNS1_25segmented_radix_sort_implINS0_14default_configELb0EPKbPbPKlPlN2at6native12_GLOBAL__N_18offset_tEEE10hipError_tPvRmT1_PNSt15iterator_traitsISY_E10value_typeET2_T3_PNSZ_IS14_E10value_typeET4_jRbjT5_S1A_jjP12ihipStream_tbEUljE_EEESV_SW_SX_S14_S18_S1A_T6_T7_T9_mT8_S1C_bDpT10_ENKUlT_T0_E_clISt17integral_constantIbLb0EES1O_IbLb1EEEEDaS1K_S1L_EUlS1K_E_NS1_11comp_targetILNS1_3genE2ELNS1_11target_archE906ELNS1_3gpuE6ELNS1_3repE0EEENS1_30default_config_static_selectorELNS0_4arch9wavefront6targetE0EEEvSY_.uses_vcc, 0
	.set _ZN7rocprim17ROCPRIM_400000_NS6detail17trampoline_kernelINS0_13select_configILj256ELj13ELNS0_17block_load_methodE3ELS4_3ELS4_3ELNS0_20block_scan_algorithmE0ELj4294967295EEENS1_25partition_config_selectorILNS1_17partition_subalgoE3EjNS0_10empty_typeEbEEZZNS1_14partition_implILS8_3ELb0ES6_jNS0_17counting_iteratorIjlEEPS9_SE_NS0_5tupleIJPjSE_EEENSF_IJSE_SE_EEES9_SG_JZNS1_25segmented_radix_sort_implINS0_14default_configELb0EPKbPbPKlPlN2at6native12_GLOBAL__N_18offset_tEEE10hipError_tPvRmT1_PNSt15iterator_traitsISY_E10value_typeET2_T3_PNSZ_IS14_E10value_typeET4_jRbjT5_S1A_jjP12ihipStream_tbEUljE_EEESV_SW_SX_S14_S18_S1A_T6_T7_T9_mT8_S1C_bDpT10_ENKUlT_T0_E_clISt17integral_constantIbLb0EES1O_IbLb1EEEEDaS1K_S1L_EUlS1K_E_NS1_11comp_targetILNS1_3genE2ELNS1_11target_archE906ELNS1_3gpuE6ELNS1_3repE0EEENS1_30default_config_static_selectorELNS0_4arch9wavefront6targetE0EEEvSY_.uses_flat_scratch, 0
	.set _ZN7rocprim17ROCPRIM_400000_NS6detail17trampoline_kernelINS0_13select_configILj256ELj13ELNS0_17block_load_methodE3ELS4_3ELS4_3ELNS0_20block_scan_algorithmE0ELj4294967295EEENS1_25partition_config_selectorILNS1_17partition_subalgoE3EjNS0_10empty_typeEbEEZZNS1_14partition_implILS8_3ELb0ES6_jNS0_17counting_iteratorIjlEEPS9_SE_NS0_5tupleIJPjSE_EEENSF_IJSE_SE_EEES9_SG_JZNS1_25segmented_radix_sort_implINS0_14default_configELb0EPKbPbPKlPlN2at6native12_GLOBAL__N_18offset_tEEE10hipError_tPvRmT1_PNSt15iterator_traitsISY_E10value_typeET2_T3_PNSZ_IS14_E10value_typeET4_jRbjT5_S1A_jjP12ihipStream_tbEUljE_EEESV_SW_SX_S14_S18_S1A_T6_T7_T9_mT8_S1C_bDpT10_ENKUlT_T0_E_clISt17integral_constantIbLb0EES1O_IbLb1EEEEDaS1K_S1L_EUlS1K_E_NS1_11comp_targetILNS1_3genE2ELNS1_11target_archE906ELNS1_3gpuE6ELNS1_3repE0EEENS1_30default_config_static_selectorELNS0_4arch9wavefront6targetE0EEEvSY_.has_dyn_sized_stack, 0
	.set _ZN7rocprim17ROCPRIM_400000_NS6detail17trampoline_kernelINS0_13select_configILj256ELj13ELNS0_17block_load_methodE3ELS4_3ELS4_3ELNS0_20block_scan_algorithmE0ELj4294967295EEENS1_25partition_config_selectorILNS1_17partition_subalgoE3EjNS0_10empty_typeEbEEZZNS1_14partition_implILS8_3ELb0ES6_jNS0_17counting_iteratorIjlEEPS9_SE_NS0_5tupleIJPjSE_EEENSF_IJSE_SE_EEES9_SG_JZNS1_25segmented_radix_sort_implINS0_14default_configELb0EPKbPbPKlPlN2at6native12_GLOBAL__N_18offset_tEEE10hipError_tPvRmT1_PNSt15iterator_traitsISY_E10value_typeET2_T3_PNSZ_IS14_E10value_typeET4_jRbjT5_S1A_jjP12ihipStream_tbEUljE_EEESV_SW_SX_S14_S18_S1A_T6_T7_T9_mT8_S1C_bDpT10_ENKUlT_T0_E_clISt17integral_constantIbLb0EES1O_IbLb1EEEEDaS1K_S1L_EUlS1K_E_NS1_11comp_targetILNS1_3genE2ELNS1_11target_archE906ELNS1_3gpuE6ELNS1_3repE0EEENS1_30default_config_static_selectorELNS0_4arch9wavefront6targetE0EEEvSY_.has_recursion, 0
	.set _ZN7rocprim17ROCPRIM_400000_NS6detail17trampoline_kernelINS0_13select_configILj256ELj13ELNS0_17block_load_methodE3ELS4_3ELS4_3ELNS0_20block_scan_algorithmE0ELj4294967295EEENS1_25partition_config_selectorILNS1_17partition_subalgoE3EjNS0_10empty_typeEbEEZZNS1_14partition_implILS8_3ELb0ES6_jNS0_17counting_iteratorIjlEEPS9_SE_NS0_5tupleIJPjSE_EEENSF_IJSE_SE_EEES9_SG_JZNS1_25segmented_radix_sort_implINS0_14default_configELb0EPKbPbPKlPlN2at6native12_GLOBAL__N_18offset_tEEE10hipError_tPvRmT1_PNSt15iterator_traitsISY_E10value_typeET2_T3_PNSZ_IS14_E10value_typeET4_jRbjT5_S1A_jjP12ihipStream_tbEUljE_EEESV_SW_SX_S14_S18_S1A_T6_T7_T9_mT8_S1C_bDpT10_ENKUlT_T0_E_clISt17integral_constantIbLb0EES1O_IbLb1EEEEDaS1K_S1L_EUlS1K_E_NS1_11comp_targetILNS1_3genE2ELNS1_11target_archE906ELNS1_3gpuE6ELNS1_3repE0EEENS1_30default_config_static_selectorELNS0_4arch9wavefront6targetE0EEEvSY_.has_indirect_call, 0
	.section	.AMDGPU.csdata,"",@progbits
; Kernel info:
; codeLenInByte = 0
; TotalNumSgprs: 0
; NumVgprs: 0
; ScratchSize: 0
; MemoryBound: 0
; FloatMode: 240
; IeeeMode: 1
; LDSByteSize: 0 bytes/workgroup (compile time only)
; SGPRBlocks: 0
; VGPRBlocks: 0
; NumSGPRsForWavesPerEU: 1
; NumVGPRsForWavesPerEU: 1
; NamedBarCnt: 0
; Occupancy: 16
; WaveLimiterHint : 0
; COMPUTE_PGM_RSRC2:SCRATCH_EN: 0
; COMPUTE_PGM_RSRC2:USER_SGPR: 2
; COMPUTE_PGM_RSRC2:TRAP_HANDLER: 0
; COMPUTE_PGM_RSRC2:TGID_X_EN: 1
; COMPUTE_PGM_RSRC2:TGID_Y_EN: 0
; COMPUTE_PGM_RSRC2:TGID_Z_EN: 0
; COMPUTE_PGM_RSRC2:TIDIG_COMP_CNT: 0
	.section	.text._ZN7rocprim17ROCPRIM_400000_NS6detail17trampoline_kernelINS0_13select_configILj256ELj13ELNS0_17block_load_methodE3ELS4_3ELS4_3ELNS0_20block_scan_algorithmE0ELj4294967295EEENS1_25partition_config_selectorILNS1_17partition_subalgoE3EjNS0_10empty_typeEbEEZZNS1_14partition_implILS8_3ELb0ES6_jNS0_17counting_iteratorIjlEEPS9_SE_NS0_5tupleIJPjSE_EEENSF_IJSE_SE_EEES9_SG_JZNS1_25segmented_radix_sort_implINS0_14default_configELb0EPKbPbPKlPlN2at6native12_GLOBAL__N_18offset_tEEE10hipError_tPvRmT1_PNSt15iterator_traitsISY_E10value_typeET2_T3_PNSZ_IS14_E10value_typeET4_jRbjT5_S1A_jjP12ihipStream_tbEUljE_EEESV_SW_SX_S14_S18_S1A_T6_T7_T9_mT8_S1C_bDpT10_ENKUlT_T0_E_clISt17integral_constantIbLb0EES1O_IbLb1EEEEDaS1K_S1L_EUlS1K_E_NS1_11comp_targetILNS1_3genE10ELNS1_11target_archE1200ELNS1_3gpuE4ELNS1_3repE0EEENS1_30default_config_static_selectorELNS0_4arch9wavefront6targetE0EEEvSY_,"axG",@progbits,_ZN7rocprim17ROCPRIM_400000_NS6detail17trampoline_kernelINS0_13select_configILj256ELj13ELNS0_17block_load_methodE3ELS4_3ELS4_3ELNS0_20block_scan_algorithmE0ELj4294967295EEENS1_25partition_config_selectorILNS1_17partition_subalgoE3EjNS0_10empty_typeEbEEZZNS1_14partition_implILS8_3ELb0ES6_jNS0_17counting_iteratorIjlEEPS9_SE_NS0_5tupleIJPjSE_EEENSF_IJSE_SE_EEES9_SG_JZNS1_25segmented_radix_sort_implINS0_14default_configELb0EPKbPbPKlPlN2at6native12_GLOBAL__N_18offset_tEEE10hipError_tPvRmT1_PNSt15iterator_traitsISY_E10value_typeET2_T3_PNSZ_IS14_E10value_typeET4_jRbjT5_S1A_jjP12ihipStream_tbEUljE_EEESV_SW_SX_S14_S18_S1A_T6_T7_T9_mT8_S1C_bDpT10_ENKUlT_T0_E_clISt17integral_constantIbLb0EES1O_IbLb1EEEEDaS1K_S1L_EUlS1K_E_NS1_11comp_targetILNS1_3genE10ELNS1_11target_archE1200ELNS1_3gpuE4ELNS1_3repE0EEENS1_30default_config_static_selectorELNS0_4arch9wavefront6targetE0EEEvSY_,comdat
	.globl	_ZN7rocprim17ROCPRIM_400000_NS6detail17trampoline_kernelINS0_13select_configILj256ELj13ELNS0_17block_load_methodE3ELS4_3ELS4_3ELNS0_20block_scan_algorithmE0ELj4294967295EEENS1_25partition_config_selectorILNS1_17partition_subalgoE3EjNS0_10empty_typeEbEEZZNS1_14partition_implILS8_3ELb0ES6_jNS0_17counting_iteratorIjlEEPS9_SE_NS0_5tupleIJPjSE_EEENSF_IJSE_SE_EEES9_SG_JZNS1_25segmented_radix_sort_implINS0_14default_configELb0EPKbPbPKlPlN2at6native12_GLOBAL__N_18offset_tEEE10hipError_tPvRmT1_PNSt15iterator_traitsISY_E10value_typeET2_T3_PNSZ_IS14_E10value_typeET4_jRbjT5_S1A_jjP12ihipStream_tbEUljE_EEESV_SW_SX_S14_S18_S1A_T6_T7_T9_mT8_S1C_bDpT10_ENKUlT_T0_E_clISt17integral_constantIbLb0EES1O_IbLb1EEEEDaS1K_S1L_EUlS1K_E_NS1_11comp_targetILNS1_3genE10ELNS1_11target_archE1200ELNS1_3gpuE4ELNS1_3repE0EEENS1_30default_config_static_selectorELNS0_4arch9wavefront6targetE0EEEvSY_ ; -- Begin function _ZN7rocprim17ROCPRIM_400000_NS6detail17trampoline_kernelINS0_13select_configILj256ELj13ELNS0_17block_load_methodE3ELS4_3ELS4_3ELNS0_20block_scan_algorithmE0ELj4294967295EEENS1_25partition_config_selectorILNS1_17partition_subalgoE3EjNS0_10empty_typeEbEEZZNS1_14partition_implILS8_3ELb0ES6_jNS0_17counting_iteratorIjlEEPS9_SE_NS0_5tupleIJPjSE_EEENSF_IJSE_SE_EEES9_SG_JZNS1_25segmented_radix_sort_implINS0_14default_configELb0EPKbPbPKlPlN2at6native12_GLOBAL__N_18offset_tEEE10hipError_tPvRmT1_PNSt15iterator_traitsISY_E10value_typeET2_T3_PNSZ_IS14_E10value_typeET4_jRbjT5_S1A_jjP12ihipStream_tbEUljE_EEESV_SW_SX_S14_S18_S1A_T6_T7_T9_mT8_S1C_bDpT10_ENKUlT_T0_E_clISt17integral_constantIbLb0EES1O_IbLb1EEEEDaS1K_S1L_EUlS1K_E_NS1_11comp_targetILNS1_3genE10ELNS1_11target_archE1200ELNS1_3gpuE4ELNS1_3repE0EEENS1_30default_config_static_selectorELNS0_4arch9wavefront6targetE0EEEvSY_
	.p2align	8
	.type	_ZN7rocprim17ROCPRIM_400000_NS6detail17trampoline_kernelINS0_13select_configILj256ELj13ELNS0_17block_load_methodE3ELS4_3ELS4_3ELNS0_20block_scan_algorithmE0ELj4294967295EEENS1_25partition_config_selectorILNS1_17partition_subalgoE3EjNS0_10empty_typeEbEEZZNS1_14partition_implILS8_3ELb0ES6_jNS0_17counting_iteratorIjlEEPS9_SE_NS0_5tupleIJPjSE_EEENSF_IJSE_SE_EEES9_SG_JZNS1_25segmented_radix_sort_implINS0_14default_configELb0EPKbPbPKlPlN2at6native12_GLOBAL__N_18offset_tEEE10hipError_tPvRmT1_PNSt15iterator_traitsISY_E10value_typeET2_T3_PNSZ_IS14_E10value_typeET4_jRbjT5_S1A_jjP12ihipStream_tbEUljE_EEESV_SW_SX_S14_S18_S1A_T6_T7_T9_mT8_S1C_bDpT10_ENKUlT_T0_E_clISt17integral_constantIbLb0EES1O_IbLb1EEEEDaS1K_S1L_EUlS1K_E_NS1_11comp_targetILNS1_3genE10ELNS1_11target_archE1200ELNS1_3gpuE4ELNS1_3repE0EEENS1_30default_config_static_selectorELNS0_4arch9wavefront6targetE0EEEvSY_,@function
_ZN7rocprim17ROCPRIM_400000_NS6detail17trampoline_kernelINS0_13select_configILj256ELj13ELNS0_17block_load_methodE3ELS4_3ELS4_3ELNS0_20block_scan_algorithmE0ELj4294967295EEENS1_25partition_config_selectorILNS1_17partition_subalgoE3EjNS0_10empty_typeEbEEZZNS1_14partition_implILS8_3ELb0ES6_jNS0_17counting_iteratorIjlEEPS9_SE_NS0_5tupleIJPjSE_EEENSF_IJSE_SE_EEES9_SG_JZNS1_25segmented_radix_sort_implINS0_14default_configELb0EPKbPbPKlPlN2at6native12_GLOBAL__N_18offset_tEEE10hipError_tPvRmT1_PNSt15iterator_traitsISY_E10value_typeET2_T3_PNSZ_IS14_E10value_typeET4_jRbjT5_S1A_jjP12ihipStream_tbEUljE_EEESV_SW_SX_S14_S18_S1A_T6_T7_T9_mT8_S1C_bDpT10_ENKUlT_T0_E_clISt17integral_constantIbLb0EES1O_IbLb1EEEEDaS1K_S1L_EUlS1K_E_NS1_11comp_targetILNS1_3genE10ELNS1_11target_archE1200ELNS1_3gpuE4ELNS1_3repE0EEENS1_30default_config_static_selectorELNS0_4arch9wavefront6targetE0EEEvSY_: ; @_ZN7rocprim17ROCPRIM_400000_NS6detail17trampoline_kernelINS0_13select_configILj256ELj13ELNS0_17block_load_methodE3ELS4_3ELS4_3ELNS0_20block_scan_algorithmE0ELj4294967295EEENS1_25partition_config_selectorILNS1_17partition_subalgoE3EjNS0_10empty_typeEbEEZZNS1_14partition_implILS8_3ELb0ES6_jNS0_17counting_iteratorIjlEEPS9_SE_NS0_5tupleIJPjSE_EEENSF_IJSE_SE_EEES9_SG_JZNS1_25segmented_radix_sort_implINS0_14default_configELb0EPKbPbPKlPlN2at6native12_GLOBAL__N_18offset_tEEE10hipError_tPvRmT1_PNSt15iterator_traitsISY_E10value_typeET2_T3_PNSZ_IS14_E10value_typeET4_jRbjT5_S1A_jjP12ihipStream_tbEUljE_EEESV_SW_SX_S14_S18_S1A_T6_T7_T9_mT8_S1C_bDpT10_ENKUlT_T0_E_clISt17integral_constantIbLb0EES1O_IbLb1EEEEDaS1K_S1L_EUlS1K_E_NS1_11comp_targetILNS1_3genE10ELNS1_11target_archE1200ELNS1_3gpuE4ELNS1_3repE0EEENS1_30default_config_static_selectorELNS0_4arch9wavefront6targetE0EEEvSY_
; %bb.0:
	.section	.rodata,"a",@progbits
	.p2align	6, 0x0
	.amdhsa_kernel _ZN7rocprim17ROCPRIM_400000_NS6detail17trampoline_kernelINS0_13select_configILj256ELj13ELNS0_17block_load_methodE3ELS4_3ELS4_3ELNS0_20block_scan_algorithmE0ELj4294967295EEENS1_25partition_config_selectorILNS1_17partition_subalgoE3EjNS0_10empty_typeEbEEZZNS1_14partition_implILS8_3ELb0ES6_jNS0_17counting_iteratorIjlEEPS9_SE_NS0_5tupleIJPjSE_EEENSF_IJSE_SE_EEES9_SG_JZNS1_25segmented_radix_sort_implINS0_14default_configELb0EPKbPbPKlPlN2at6native12_GLOBAL__N_18offset_tEEE10hipError_tPvRmT1_PNSt15iterator_traitsISY_E10value_typeET2_T3_PNSZ_IS14_E10value_typeET4_jRbjT5_S1A_jjP12ihipStream_tbEUljE_EEESV_SW_SX_S14_S18_S1A_T6_T7_T9_mT8_S1C_bDpT10_ENKUlT_T0_E_clISt17integral_constantIbLb0EES1O_IbLb1EEEEDaS1K_S1L_EUlS1K_E_NS1_11comp_targetILNS1_3genE10ELNS1_11target_archE1200ELNS1_3gpuE4ELNS1_3repE0EEENS1_30default_config_static_selectorELNS0_4arch9wavefront6targetE0EEEvSY_
		.amdhsa_group_segment_fixed_size 0
		.amdhsa_private_segment_fixed_size 0
		.amdhsa_kernarg_size 152
		.amdhsa_user_sgpr_count 2
		.amdhsa_user_sgpr_dispatch_ptr 0
		.amdhsa_user_sgpr_queue_ptr 0
		.amdhsa_user_sgpr_kernarg_segment_ptr 1
		.amdhsa_user_sgpr_dispatch_id 0
		.amdhsa_user_sgpr_kernarg_preload_length 0
		.amdhsa_user_sgpr_kernarg_preload_offset 0
		.amdhsa_user_sgpr_private_segment_size 0
		.amdhsa_wavefront_size32 1
		.amdhsa_uses_dynamic_stack 0
		.amdhsa_enable_private_segment 0
		.amdhsa_system_sgpr_workgroup_id_x 1
		.amdhsa_system_sgpr_workgroup_id_y 0
		.amdhsa_system_sgpr_workgroup_id_z 0
		.amdhsa_system_sgpr_workgroup_info 0
		.amdhsa_system_vgpr_workitem_id 0
		.amdhsa_next_free_vgpr 1
		.amdhsa_next_free_sgpr 1
		.amdhsa_named_barrier_count 0
		.amdhsa_reserve_vcc 0
		.amdhsa_float_round_mode_32 0
		.amdhsa_float_round_mode_16_64 0
		.amdhsa_float_denorm_mode_32 3
		.amdhsa_float_denorm_mode_16_64 3
		.amdhsa_fp16_overflow 0
		.amdhsa_memory_ordered 1
		.amdhsa_forward_progress 1
		.amdhsa_inst_pref_size 0
		.amdhsa_round_robin_scheduling 0
		.amdhsa_exception_fp_ieee_invalid_op 0
		.amdhsa_exception_fp_denorm_src 0
		.amdhsa_exception_fp_ieee_div_zero 0
		.amdhsa_exception_fp_ieee_overflow 0
		.amdhsa_exception_fp_ieee_underflow 0
		.amdhsa_exception_fp_ieee_inexact 0
		.amdhsa_exception_int_div_zero 0
	.end_amdhsa_kernel
	.section	.text._ZN7rocprim17ROCPRIM_400000_NS6detail17trampoline_kernelINS0_13select_configILj256ELj13ELNS0_17block_load_methodE3ELS4_3ELS4_3ELNS0_20block_scan_algorithmE0ELj4294967295EEENS1_25partition_config_selectorILNS1_17partition_subalgoE3EjNS0_10empty_typeEbEEZZNS1_14partition_implILS8_3ELb0ES6_jNS0_17counting_iteratorIjlEEPS9_SE_NS0_5tupleIJPjSE_EEENSF_IJSE_SE_EEES9_SG_JZNS1_25segmented_radix_sort_implINS0_14default_configELb0EPKbPbPKlPlN2at6native12_GLOBAL__N_18offset_tEEE10hipError_tPvRmT1_PNSt15iterator_traitsISY_E10value_typeET2_T3_PNSZ_IS14_E10value_typeET4_jRbjT5_S1A_jjP12ihipStream_tbEUljE_EEESV_SW_SX_S14_S18_S1A_T6_T7_T9_mT8_S1C_bDpT10_ENKUlT_T0_E_clISt17integral_constantIbLb0EES1O_IbLb1EEEEDaS1K_S1L_EUlS1K_E_NS1_11comp_targetILNS1_3genE10ELNS1_11target_archE1200ELNS1_3gpuE4ELNS1_3repE0EEENS1_30default_config_static_selectorELNS0_4arch9wavefront6targetE0EEEvSY_,"axG",@progbits,_ZN7rocprim17ROCPRIM_400000_NS6detail17trampoline_kernelINS0_13select_configILj256ELj13ELNS0_17block_load_methodE3ELS4_3ELS4_3ELNS0_20block_scan_algorithmE0ELj4294967295EEENS1_25partition_config_selectorILNS1_17partition_subalgoE3EjNS0_10empty_typeEbEEZZNS1_14partition_implILS8_3ELb0ES6_jNS0_17counting_iteratorIjlEEPS9_SE_NS0_5tupleIJPjSE_EEENSF_IJSE_SE_EEES9_SG_JZNS1_25segmented_radix_sort_implINS0_14default_configELb0EPKbPbPKlPlN2at6native12_GLOBAL__N_18offset_tEEE10hipError_tPvRmT1_PNSt15iterator_traitsISY_E10value_typeET2_T3_PNSZ_IS14_E10value_typeET4_jRbjT5_S1A_jjP12ihipStream_tbEUljE_EEESV_SW_SX_S14_S18_S1A_T6_T7_T9_mT8_S1C_bDpT10_ENKUlT_T0_E_clISt17integral_constantIbLb0EES1O_IbLb1EEEEDaS1K_S1L_EUlS1K_E_NS1_11comp_targetILNS1_3genE10ELNS1_11target_archE1200ELNS1_3gpuE4ELNS1_3repE0EEENS1_30default_config_static_selectorELNS0_4arch9wavefront6targetE0EEEvSY_,comdat
.Lfunc_end1623:
	.size	_ZN7rocprim17ROCPRIM_400000_NS6detail17trampoline_kernelINS0_13select_configILj256ELj13ELNS0_17block_load_methodE3ELS4_3ELS4_3ELNS0_20block_scan_algorithmE0ELj4294967295EEENS1_25partition_config_selectorILNS1_17partition_subalgoE3EjNS0_10empty_typeEbEEZZNS1_14partition_implILS8_3ELb0ES6_jNS0_17counting_iteratorIjlEEPS9_SE_NS0_5tupleIJPjSE_EEENSF_IJSE_SE_EEES9_SG_JZNS1_25segmented_radix_sort_implINS0_14default_configELb0EPKbPbPKlPlN2at6native12_GLOBAL__N_18offset_tEEE10hipError_tPvRmT1_PNSt15iterator_traitsISY_E10value_typeET2_T3_PNSZ_IS14_E10value_typeET4_jRbjT5_S1A_jjP12ihipStream_tbEUljE_EEESV_SW_SX_S14_S18_S1A_T6_T7_T9_mT8_S1C_bDpT10_ENKUlT_T0_E_clISt17integral_constantIbLb0EES1O_IbLb1EEEEDaS1K_S1L_EUlS1K_E_NS1_11comp_targetILNS1_3genE10ELNS1_11target_archE1200ELNS1_3gpuE4ELNS1_3repE0EEENS1_30default_config_static_selectorELNS0_4arch9wavefront6targetE0EEEvSY_, .Lfunc_end1623-_ZN7rocprim17ROCPRIM_400000_NS6detail17trampoline_kernelINS0_13select_configILj256ELj13ELNS0_17block_load_methodE3ELS4_3ELS4_3ELNS0_20block_scan_algorithmE0ELj4294967295EEENS1_25partition_config_selectorILNS1_17partition_subalgoE3EjNS0_10empty_typeEbEEZZNS1_14partition_implILS8_3ELb0ES6_jNS0_17counting_iteratorIjlEEPS9_SE_NS0_5tupleIJPjSE_EEENSF_IJSE_SE_EEES9_SG_JZNS1_25segmented_radix_sort_implINS0_14default_configELb0EPKbPbPKlPlN2at6native12_GLOBAL__N_18offset_tEEE10hipError_tPvRmT1_PNSt15iterator_traitsISY_E10value_typeET2_T3_PNSZ_IS14_E10value_typeET4_jRbjT5_S1A_jjP12ihipStream_tbEUljE_EEESV_SW_SX_S14_S18_S1A_T6_T7_T9_mT8_S1C_bDpT10_ENKUlT_T0_E_clISt17integral_constantIbLb0EES1O_IbLb1EEEEDaS1K_S1L_EUlS1K_E_NS1_11comp_targetILNS1_3genE10ELNS1_11target_archE1200ELNS1_3gpuE4ELNS1_3repE0EEENS1_30default_config_static_selectorELNS0_4arch9wavefront6targetE0EEEvSY_
                                        ; -- End function
	.set _ZN7rocprim17ROCPRIM_400000_NS6detail17trampoline_kernelINS0_13select_configILj256ELj13ELNS0_17block_load_methodE3ELS4_3ELS4_3ELNS0_20block_scan_algorithmE0ELj4294967295EEENS1_25partition_config_selectorILNS1_17partition_subalgoE3EjNS0_10empty_typeEbEEZZNS1_14partition_implILS8_3ELb0ES6_jNS0_17counting_iteratorIjlEEPS9_SE_NS0_5tupleIJPjSE_EEENSF_IJSE_SE_EEES9_SG_JZNS1_25segmented_radix_sort_implINS0_14default_configELb0EPKbPbPKlPlN2at6native12_GLOBAL__N_18offset_tEEE10hipError_tPvRmT1_PNSt15iterator_traitsISY_E10value_typeET2_T3_PNSZ_IS14_E10value_typeET4_jRbjT5_S1A_jjP12ihipStream_tbEUljE_EEESV_SW_SX_S14_S18_S1A_T6_T7_T9_mT8_S1C_bDpT10_ENKUlT_T0_E_clISt17integral_constantIbLb0EES1O_IbLb1EEEEDaS1K_S1L_EUlS1K_E_NS1_11comp_targetILNS1_3genE10ELNS1_11target_archE1200ELNS1_3gpuE4ELNS1_3repE0EEENS1_30default_config_static_selectorELNS0_4arch9wavefront6targetE0EEEvSY_.num_vgpr, 0
	.set _ZN7rocprim17ROCPRIM_400000_NS6detail17trampoline_kernelINS0_13select_configILj256ELj13ELNS0_17block_load_methodE3ELS4_3ELS4_3ELNS0_20block_scan_algorithmE0ELj4294967295EEENS1_25partition_config_selectorILNS1_17partition_subalgoE3EjNS0_10empty_typeEbEEZZNS1_14partition_implILS8_3ELb0ES6_jNS0_17counting_iteratorIjlEEPS9_SE_NS0_5tupleIJPjSE_EEENSF_IJSE_SE_EEES9_SG_JZNS1_25segmented_radix_sort_implINS0_14default_configELb0EPKbPbPKlPlN2at6native12_GLOBAL__N_18offset_tEEE10hipError_tPvRmT1_PNSt15iterator_traitsISY_E10value_typeET2_T3_PNSZ_IS14_E10value_typeET4_jRbjT5_S1A_jjP12ihipStream_tbEUljE_EEESV_SW_SX_S14_S18_S1A_T6_T7_T9_mT8_S1C_bDpT10_ENKUlT_T0_E_clISt17integral_constantIbLb0EES1O_IbLb1EEEEDaS1K_S1L_EUlS1K_E_NS1_11comp_targetILNS1_3genE10ELNS1_11target_archE1200ELNS1_3gpuE4ELNS1_3repE0EEENS1_30default_config_static_selectorELNS0_4arch9wavefront6targetE0EEEvSY_.num_agpr, 0
	.set _ZN7rocprim17ROCPRIM_400000_NS6detail17trampoline_kernelINS0_13select_configILj256ELj13ELNS0_17block_load_methodE3ELS4_3ELS4_3ELNS0_20block_scan_algorithmE0ELj4294967295EEENS1_25partition_config_selectorILNS1_17partition_subalgoE3EjNS0_10empty_typeEbEEZZNS1_14partition_implILS8_3ELb0ES6_jNS0_17counting_iteratorIjlEEPS9_SE_NS0_5tupleIJPjSE_EEENSF_IJSE_SE_EEES9_SG_JZNS1_25segmented_radix_sort_implINS0_14default_configELb0EPKbPbPKlPlN2at6native12_GLOBAL__N_18offset_tEEE10hipError_tPvRmT1_PNSt15iterator_traitsISY_E10value_typeET2_T3_PNSZ_IS14_E10value_typeET4_jRbjT5_S1A_jjP12ihipStream_tbEUljE_EEESV_SW_SX_S14_S18_S1A_T6_T7_T9_mT8_S1C_bDpT10_ENKUlT_T0_E_clISt17integral_constantIbLb0EES1O_IbLb1EEEEDaS1K_S1L_EUlS1K_E_NS1_11comp_targetILNS1_3genE10ELNS1_11target_archE1200ELNS1_3gpuE4ELNS1_3repE0EEENS1_30default_config_static_selectorELNS0_4arch9wavefront6targetE0EEEvSY_.numbered_sgpr, 0
	.set _ZN7rocprim17ROCPRIM_400000_NS6detail17trampoline_kernelINS0_13select_configILj256ELj13ELNS0_17block_load_methodE3ELS4_3ELS4_3ELNS0_20block_scan_algorithmE0ELj4294967295EEENS1_25partition_config_selectorILNS1_17partition_subalgoE3EjNS0_10empty_typeEbEEZZNS1_14partition_implILS8_3ELb0ES6_jNS0_17counting_iteratorIjlEEPS9_SE_NS0_5tupleIJPjSE_EEENSF_IJSE_SE_EEES9_SG_JZNS1_25segmented_radix_sort_implINS0_14default_configELb0EPKbPbPKlPlN2at6native12_GLOBAL__N_18offset_tEEE10hipError_tPvRmT1_PNSt15iterator_traitsISY_E10value_typeET2_T3_PNSZ_IS14_E10value_typeET4_jRbjT5_S1A_jjP12ihipStream_tbEUljE_EEESV_SW_SX_S14_S18_S1A_T6_T7_T9_mT8_S1C_bDpT10_ENKUlT_T0_E_clISt17integral_constantIbLb0EES1O_IbLb1EEEEDaS1K_S1L_EUlS1K_E_NS1_11comp_targetILNS1_3genE10ELNS1_11target_archE1200ELNS1_3gpuE4ELNS1_3repE0EEENS1_30default_config_static_selectorELNS0_4arch9wavefront6targetE0EEEvSY_.num_named_barrier, 0
	.set _ZN7rocprim17ROCPRIM_400000_NS6detail17trampoline_kernelINS0_13select_configILj256ELj13ELNS0_17block_load_methodE3ELS4_3ELS4_3ELNS0_20block_scan_algorithmE0ELj4294967295EEENS1_25partition_config_selectorILNS1_17partition_subalgoE3EjNS0_10empty_typeEbEEZZNS1_14partition_implILS8_3ELb0ES6_jNS0_17counting_iteratorIjlEEPS9_SE_NS0_5tupleIJPjSE_EEENSF_IJSE_SE_EEES9_SG_JZNS1_25segmented_radix_sort_implINS0_14default_configELb0EPKbPbPKlPlN2at6native12_GLOBAL__N_18offset_tEEE10hipError_tPvRmT1_PNSt15iterator_traitsISY_E10value_typeET2_T3_PNSZ_IS14_E10value_typeET4_jRbjT5_S1A_jjP12ihipStream_tbEUljE_EEESV_SW_SX_S14_S18_S1A_T6_T7_T9_mT8_S1C_bDpT10_ENKUlT_T0_E_clISt17integral_constantIbLb0EES1O_IbLb1EEEEDaS1K_S1L_EUlS1K_E_NS1_11comp_targetILNS1_3genE10ELNS1_11target_archE1200ELNS1_3gpuE4ELNS1_3repE0EEENS1_30default_config_static_selectorELNS0_4arch9wavefront6targetE0EEEvSY_.private_seg_size, 0
	.set _ZN7rocprim17ROCPRIM_400000_NS6detail17trampoline_kernelINS0_13select_configILj256ELj13ELNS0_17block_load_methodE3ELS4_3ELS4_3ELNS0_20block_scan_algorithmE0ELj4294967295EEENS1_25partition_config_selectorILNS1_17partition_subalgoE3EjNS0_10empty_typeEbEEZZNS1_14partition_implILS8_3ELb0ES6_jNS0_17counting_iteratorIjlEEPS9_SE_NS0_5tupleIJPjSE_EEENSF_IJSE_SE_EEES9_SG_JZNS1_25segmented_radix_sort_implINS0_14default_configELb0EPKbPbPKlPlN2at6native12_GLOBAL__N_18offset_tEEE10hipError_tPvRmT1_PNSt15iterator_traitsISY_E10value_typeET2_T3_PNSZ_IS14_E10value_typeET4_jRbjT5_S1A_jjP12ihipStream_tbEUljE_EEESV_SW_SX_S14_S18_S1A_T6_T7_T9_mT8_S1C_bDpT10_ENKUlT_T0_E_clISt17integral_constantIbLb0EES1O_IbLb1EEEEDaS1K_S1L_EUlS1K_E_NS1_11comp_targetILNS1_3genE10ELNS1_11target_archE1200ELNS1_3gpuE4ELNS1_3repE0EEENS1_30default_config_static_selectorELNS0_4arch9wavefront6targetE0EEEvSY_.uses_vcc, 0
	.set _ZN7rocprim17ROCPRIM_400000_NS6detail17trampoline_kernelINS0_13select_configILj256ELj13ELNS0_17block_load_methodE3ELS4_3ELS4_3ELNS0_20block_scan_algorithmE0ELj4294967295EEENS1_25partition_config_selectorILNS1_17partition_subalgoE3EjNS0_10empty_typeEbEEZZNS1_14partition_implILS8_3ELb0ES6_jNS0_17counting_iteratorIjlEEPS9_SE_NS0_5tupleIJPjSE_EEENSF_IJSE_SE_EEES9_SG_JZNS1_25segmented_radix_sort_implINS0_14default_configELb0EPKbPbPKlPlN2at6native12_GLOBAL__N_18offset_tEEE10hipError_tPvRmT1_PNSt15iterator_traitsISY_E10value_typeET2_T3_PNSZ_IS14_E10value_typeET4_jRbjT5_S1A_jjP12ihipStream_tbEUljE_EEESV_SW_SX_S14_S18_S1A_T6_T7_T9_mT8_S1C_bDpT10_ENKUlT_T0_E_clISt17integral_constantIbLb0EES1O_IbLb1EEEEDaS1K_S1L_EUlS1K_E_NS1_11comp_targetILNS1_3genE10ELNS1_11target_archE1200ELNS1_3gpuE4ELNS1_3repE0EEENS1_30default_config_static_selectorELNS0_4arch9wavefront6targetE0EEEvSY_.uses_flat_scratch, 0
	.set _ZN7rocprim17ROCPRIM_400000_NS6detail17trampoline_kernelINS0_13select_configILj256ELj13ELNS0_17block_load_methodE3ELS4_3ELS4_3ELNS0_20block_scan_algorithmE0ELj4294967295EEENS1_25partition_config_selectorILNS1_17partition_subalgoE3EjNS0_10empty_typeEbEEZZNS1_14partition_implILS8_3ELb0ES6_jNS0_17counting_iteratorIjlEEPS9_SE_NS0_5tupleIJPjSE_EEENSF_IJSE_SE_EEES9_SG_JZNS1_25segmented_radix_sort_implINS0_14default_configELb0EPKbPbPKlPlN2at6native12_GLOBAL__N_18offset_tEEE10hipError_tPvRmT1_PNSt15iterator_traitsISY_E10value_typeET2_T3_PNSZ_IS14_E10value_typeET4_jRbjT5_S1A_jjP12ihipStream_tbEUljE_EEESV_SW_SX_S14_S18_S1A_T6_T7_T9_mT8_S1C_bDpT10_ENKUlT_T0_E_clISt17integral_constantIbLb0EES1O_IbLb1EEEEDaS1K_S1L_EUlS1K_E_NS1_11comp_targetILNS1_3genE10ELNS1_11target_archE1200ELNS1_3gpuE4ELNS1_3repE0EEENS1_30default_config_static_selectorELNS0_4arch9wavefront6targetE0EEEvSY_.has_dyn_sized_stack, 0
	.set _ZN7rocprim17ROCPRIM_400000_NS6detail17trampoline_kernelINS0_13select_configILj256ELj13ELNS0_17block_load_methodE3ELS4_3ELS4_3ELNS0_20block_scan_algorithmE0ELj4294967295EEENS1_25partition_config_selectorILNS1_17partition_subalgoE3EjNS0_10empty_typeEbEEZZNS1_14partition_implILS8_3ELb0ES6_jNS0_17counting_iteratorIjlEEPS9_SE_NS0_5tupleIJPjSE_EEENSF_IJSE_SE_EEES9_SG_JZNS1_25segmented_radix_sort_implINS0_14default_configELb0EPKbPbPKlPlN2at6native12_GLOBAL__N_18offset_tEEE10hipError_tPvRmT1_PNSt15iterator_traitsISY_E10value_typeET2_T3_PNSZ_IS14_E10value_typeET4_jRbjT5_S1A_jjP12ihipStream_tbEUljE_EEESV_SW_SX_S14_S18_S1A_T6_T7_T9_mT8_S1C_bDpT10_ENKUlT_T0_E_clISt17integral_constantIbLb0EES1O_IbLb1EEEEDaS1K_S1L_EUlS1K_E_NS1_11comp_targetILNS1_3genE10ELNS1_11target_archE1200ELNS1_3gpuE4ELNS1_3repE0EEENS1_30default_config_static_selectorELNS0_4arch9wavefront6targetE0EEEvSY_.has_recursion, 0
	.set _ZN7rocprim17ROCPRIM_400000_NS6detail17trampoline_kernelINS0_13select_configILj256ELj13ELNS0_17block_load_methodE3ELS4_3ELS4_3ELNS0_20block_scan_algorithmE0ELj4294967295EEENS1_25partition_config_selectorILNS1_17partition_subalgoE3EjNS0_10empty_typeEbEEZZNS1_14partition_implILS8_3ELb0ES6_jNS0_17counting_iteratorIjlEEPS9_SE_NS0_5tupleIJPjSE_EEENSF_IJSE_SE_EEES9_SG_JZNS1_25segmented_radix_sort_implINS0_14default_configELb0EPKbPbPKlPlN2at6native12_GLOBAL__N_18offset_tEEE10hipError_tPvRmT1_PNSt15iterator_traitsISY_E10value_typeET2_T3_PNSZ_IS14_E10value_typeET4_jRbjT5_S1A_jjP12ihipStream_tbEUljE_EEESV_SW_SX_S14_S18_S1A_T6_T7_T9_mT8_S1C_bDpT10_ENKUlT_T0_E_clISt17integral_constantIbLb0EES1O_IbLb1EEEEDaS1K_S1L_EUlS1K_E_NS1_11comp_targetILNS1_3genE10ELNS1_11target_archE1200ELNS1_3gpuE4ELNS1_3repE0EEENS1_30default_config_static_selectorELNS0_4arch9wavefront6targetE0EEEvSY_.has_indirect_call, 0
	.section	.AMDGPU.csdata,"",@progbits
; Kernel info:
; codeLenInByte = 0
; TotalNumSgprs: 0
; NumVgprs: 0
; ScratchSize: 0
; MemoryBound: 0
; FloatMode: 240
; IeeeMode: 1
; LDSByteSize: 0 bytes/workgroup (compile time only)
; SGPRBlocks: 0
; VGPRBlocks: 0
; NumSGPRsForWavesPerEU: 1
; NumVGPRsForWavesPerEU: 1
; NamedBarCnt: 0
; Occupancy: 16
; WaveLimiterHint : 0
; COMPUTE_PGM_RSRC2:SCRATCH_EN: 0
; COMPUTE_PGM_RSRC2:USER_SGPR: 2
; COMPUTE_PGM_RSRC2:TRAP_HANDLER: 0
; COMPUTE_PGM_RSRC2:TGID_X_EN: 1
; COMPUTE_PGM_RSRC2:TGID_Y_EN: 0
; COMPUTE_PGM_RSRC2:TGID_Z_EN: 0
; COMPUTE_PGM_RSRC2:TIDIG_COMP_CNT: 0
	.section	.text._ZN7rocprim17ROCPRIM_400000_NS6detail17trampoline_kernelINS0_13select_configILj256ELj13ELNS0_17block_load_methodE3ELS4_3ELS4_3ELNS0_20block_scan_algorithmE0ELj4294967295EEENS1_25partition_config_selectorILNS1_17partition_subalgoE3EjNS0_10empty_typeEbEEZZNS1_14partition_implILS8_3ELb0ES6_jNS0_17counting_iteratorIjlEEPS9_SE_NS0_5tupleIJPjSE_EEENSF_IJSE_SE_EEES9_SG_JZNS1_25segmented_radix_sort_implINS0_14default_configELb0EPKbPbPKlPlN2at6native12_GLOBAL__N_18offset_tEEE10hipError_tPvRmT1_PNSt15iterator_traitsISY_E10value_typeET2_T3_PNSZ_IS14_E10value_typeET4_jRbjT5_S1A_jjP12ihipStream_tbEUljE_EEESV_SW_SX_S14_S18_S1A_T6_T7_T9_mT8_S1C_bDpT10_ENKUlT_T0_E_clISt17integral_constantIbLb0EES1O_IbLb1EEEEDaS1K_S1L_EUlS1K_E_NS1_11comp_targetILNS1_3genE9ELNS1_11target_archE1100ELNS1_3gpuE3ELNS1_3repE0EEENS1_30default_config_static_selectorELNS0_4arch9wavefront6targetE0EEEvSY_,"axG",@progbits,_ZN7rocprim17ROCPRIM_400000_NS6detail17trampoline_kernelINS0_13select_configILj256ELj13ELNS0_17block_load_methodE3ELS4_3ELS4_3ELNS0_20block_scan_algorithmE0ELj4294967295EEENS1_25partition_config_selectorILNS1_17partition_subalgoE3EjNS0_10empty_typeEbEEZZNS1_14partition_implILS8_3ELb0ES6_jNS0_17counting_iteratorIjlEEPS9_SE_NS0_5tupleIJPjSE_EEENSF_IJSE_SE_EEES9_SG_JZNS1_25segmented_radix_sort_implINS0_14default_configELb0EPKbPbPKlPlN2at6native12_GLOBAL__N_18offset_tEEE10hipError_tPvRmT1_PNSt15iterator_traitsISY_E10value_typeET2_T3_PNSZ_IS14_E10value_typeET4_jRbjT5_S1A_jjP12ihipStream_tbEUljE_EEESV_SW_SX_S14_S18_S1A_T6_T7_T9_mT8_S1C_bDpT10_ENKUlT_T0_E_clISt17integral_constantIbLb0EES1O_IbLb1EEEEDaS1K_S1L_EUlS1K_E_NS1_11comp_targetILNS1_3genE9ELNS1_11target_archE1100ELNS1_3gpuE3ELNS1_3repE0EEENS1_30default_config_static_selectorELNS0_4arch9wavefront6targetE0EEEvSY_,comdat
	.globl	_ZN7rocprim17ROCPRIM_400000_NS6detail17trampoline_kernelINS0_13select_configILj256ELj13ELNS0_17block_load_methodE3ELS4_3ELS4_3ELNS0_20block_scan_algorithmE0ELj4294967295EEENS1_25partition_config_selectorILNS1_17partition_subalgoE3EjNS0_10empty_typeEbEEZZNS1_14partition_implILS8_3ELb0ES6_jNS0_17counting_iteratorIjlEEPS9_SE_NS0_5tupleIJPjSE_EEENSF_IJSE_SE_EEES9_SG_JZNS1_25segmented_radix_sort_implINS0_14default_configELb0EPKbPbPKlPlN2at6native12_GLOBAL__N_18offset_tEEE10hipError_tPvRmT1_PNSt15iterator_traitsISY_E10value_typeET2_T3_PNSZ_IS14_E10value_typeET4_jRbjT5_S1A_jjP12ihipStream_tbEUljE_EEESV_SW_SX_S14_S18_S1A_T6_T7_T9_mT8_S1C_bDpT10_ENKUlT_T0_E_clISt17integral_constantIbLb0EES1O_IbLb1EEEEDaS1K_S1L_EUlS1K_E_NS1_11comp_targetILNS1_3genE9ELNS1_11target_archE1100ELNS1_3gpuE3ELNS1_3repE0EEENS1_30default_config_static_selectorELNS0_4arch9wavefront6targetE0EEEvSY_ ; -- Begin function _ZN7rocprim17ROCPRIM_400000_NS6detail17trampoline_kernelINS0_13select_configILj256ELj13ELNS0_17block_load_methodE3ELS4_3ELS4_3ELNS0_20block_scan_algorithmE0ELj4294967295EEENS1_25partition_config_selectorILNS1_17partition_subalgoE3EjNS0_10empty_typeEbEEZZNS1_14partition_implILS8_3ELb0ES6_jNS0_17counting_iteratorIjlEEPS9_SE_NS0_5tupleIJPjSE_EEENSF_IJSE_SE_EEES9_SG_JZNS1_25segmented_radix_sort_implINS0_14default_configELb0EPKbPbPKlPlN2at6native12_GLOBAL__N_18offset_tEEE10hipError_tPvRmT1_PNSt15iterator_traitsISY_E10value_typeET2_T3_PNSZ_IS14_E10value_typeET4_jRbjT5_S1A_jjP12ihipStream_tbEUljE_EEESV_SW_SX_S14_S18_S1A_T6_T7_T9_mT8_S1C_bDpT10_ENKUlT_T0_E_clISt17integral_constantIbLb0EES1O_IbLb1EEEEDaS1K_S1L_EUlS1K_E_NS1_11comp_targetILNS1_3genE9ELNS1_11target_archE1100ELNS1_3gpuE3ELNS1_3repE0EEENS1_30default_config_static_selectorELNS0_4arch9wavefront6targetE0EEEvSY_
	.p2align	8
	.type	_ZN7rocprim17ROCPRIM_400000_NS6detail17trampoline_kernelINS0_13select_configILj256ELj13ELNS0_17block_load_methodE3ELS4_3ELS4_3ELNS0_20block_scan_algorithmE0ELj4294967295EEENS1_25partition_config_selectorILNS1_17partition_subalgoE3EjNS0_10empty_typeEbEEZZNS1_14partition_implILS8_3ELb0ES6_jNS0_17counting_iteratorIjlEEPS9_SE_NS0_5tupleIJPjSE_EEENSF_IJSE_SE_EEES9_SG_JZNS1_25segmented_radix_sort_implINS0_14default_configELb0EPKbPbPKlPlN2at6native12_GLOBAL__N_18offset_tEEE10hipError_tPvRmT1_PNSt15iterator_traitsISY_E10value_typeET2_T3_PNSZ_IS14_E10value_typeET4_jRbjT5_S1A_jjP12ihipStream_tbEUljE_EEESV_SW_SX_S14_S18_S1A_T6_T7_T9_mT8_S1C_bDpT10_ENKUlT_T0_E_clISt17integral_constantIbLb0EES1O_IbLb1EEEEDaS1K_S1L_EUlS1K_E_NS1_11comp_targetILNS1_3genE9ELNS1_11target_archE1100ELNS1_3gpuE3ELNS1_3repE0EEENS1_30default_config_static_selectorELNS0_4arch9wavefront6targetE0EEEvSY_,@function
_ZN7rocprim17ROCPRIM_400000_NS6detail17trampoline_kernelINS0_13select_configILj256ELj13ELNS0_17block_load_methodE3ELS4_3ELS4_3ELNS0_20block_scan_algorithmE0ELj4294967295EEENS1_25partition_config_selectorILNS1_17partition_subalgoE3EjNS0_10empty_typeEbEEZZNS1_14partition_implILS8_3ELb0ES6_jNS0_17counting_iteratorIjlEEPS9_SE_NS0_5tupleIJPjSE_EEENSF_IJSE_SE_EEES9_SG_JZNS1_25segmented_radix_sort_implINS0_14default_configELb0EPKbPbPKlPlN2at6native12_GLOBAL__N_18offset_tEEE10hipError_tPvRmT1_PNSt15iterator_traitsISY_E10value_typeET2_T3_PNSZ_IS14_E10value_typeET4_jRbjT5_S1A_jjP12ihipStream_tbEUljE_EEESV_SW_SX_S14_S18_S1A_T6_T7_T9_mT8_S1C_bDpT10_ENKUlT_T0_E_clISt17integral_constantIbLb0EES1O_IbLb1EEEEDaS1K_S1L_EUlS1K_E_NS1_11comp_targetILNS1_3genE9ELNS1_11target_archE1100ELNS1_3gpuE3ELNS1_3repE0EEENS1_30default_config_static_selectorELNS0_4arch9wavefront6targetE0EEEvSY_: ; @_ZN7rocprim17ROCPRIM_400000_NS6detail17trampoline_kernelINS0_13select_configILj256ELj13ELNS0_17block_load_methodE3ELS4_3ELS4_3ELNS0_20block_scan_algorithmE0ELj4294967295EEENS1_25partition_config_selectorILNS1_17partition_subalgoE3EjNS0_10empty_typeEbEEZZNS1_14partition_implILS8_3ELb0ES6_jNS0_17counting_iteratorIjlEEPS9_SE_NS0_5tupleIJPjSE_EEENSF_IJSE_SE_EEES9_SG_JZNS1_25segmented_radix_sort_implINS0_14default_configELb0EPKbPbPKlPlN2at6native12_GLOBAL__N_18offset_tEEE10hipError_tPvRmT1_PNSt15iterator_traitsISY_E10value_typeET2_T3_PNSZ_IS14_E10value_typeET4_jRbjT5_S1A_jjP12ihipStream_tbEUljE_EEESV_SW_SX_S14_S18_S1A_T6_T7_T9_mT8_S1C_bDpT10_ENKUlT_T0_E_clISt17integral_constantIbLb0EES1O_IbLb1EEEEDaS1K_S1L_EUlS1K_E_NS1_11comp_targetILNS1_3genE9ELNS1_11target_archE1100ELNS1_3gpuE3ELNS1_3repE0EEENS1_30default_config_static_selectorELNS0_4arch9wavefront6targetE0EEEvSY_
; %bb.0:
	.section	.rodata,"a",@progbits
	.p2align	6, 0x0
	.amdhsa_kernel _ZN7rocprim17ROCPRIM_400000_NS6detail17trampoline_kernelINS0_13select_configILj256ELj13ELNS0_17block_load_methodE3ELS4_3ELS4_3ELNS0_20block_scan_algorithmE0ELj4294967295EEENS1_25partition_config_selectorILNS1_17partition_subalgoE3EjNS0_10empty_typeEbEEZZNS1_14partition_implILS8_3ELb0ES6_jNS0_17counting_iteratorIjlEEPS9_SE_NS0_5tupleIJPjSE_EEENSF_IJSE_SE_EEES9_SG_JZNS1_25segmented_radix_sort_implINS0_14default_configELb0EPKbPbPKlPlN2at6native12_GLOBAL__N_18offset_tEEE10hipError_tPvRmT1_PNSt15iterator_traitsISY_E10value_typeET2_T3_PNSZ_IS14_E10value_typeET4_jRbjT5_S1A_jjP12ihipStream_tbEUljE_EEESV_SW_SX_S14_S18_S1A_T6_T7_T9_mT8_S1C_bDpT10_ENKUlT_T0_E_clISt17integral_constantIbLb0EES1O_IbLb1EEEEDaS1K_S1L_EUlS1K_E_NS1_11comp_targetILNS1_3genE9ELNS1_11target_archE1100ELNS1_3gpuE3ELNS1_3repE0EEENS1_30default_config_static_selectorELNS0_4arch9wavefront6targetE0EEEvSY_
		.amdhsa_group_segment_fixed_size 0
		.amdhsa_private_segment_fixed_size 0
		.amdhsa_kernarg_size 152
		.amdhsa_user_sgpr_count 2
		.amdhsa_user_sgpr_dispatch_ptr 0
		.amdhsa_user_sgpr_queue_ptr 0
		.amdhsa_user_sgpr_kernarg_segment_ptr 1
		.amdhsa_user_sgpr_dispatch_id 0
		.amdhsa_user_sgpr_kernarg_preload_length 0
		.amdhsa_user_sgpr_kernarg_preload_offset 0
		.amdhsa_user_sgpr_private_segment_size 0
		.amdhsa_wavefront_size32 1
		.amdhsa_uses_dynamic_stack 0
		.amdhsa_enable_private_segment 0
		.amdhsa_system_sgpr_workgroup_id_x 1
		.amdhsa_system_sgpr_workgroup_id_y 0
		.amdhsa_system_sgpr_workgroup_id_z 0
		.amdhsa_system_sgpr_workgroup_info 0
		.amdhsa_system_vgpr_workitem_id 0
		.amdhsa_next_free_vgpr 1
		.amdhsa_next_free_sgpr 1
		.amdhsa_named_barrier_count 0
		.amdhsa_reserve_vcc 0
		.amdhsa_float_round_mode_32 0
		.amdhsa_float_round_mode_16_64 0
		.amdhsa_float_denorm_mode_32 3
		.amdhsa_float_denorm_mode_16_64 3
		.amdhsa_fp16_overflow 0
		.amdhsa_memory_ordered 1
		.amdhsa_forward_progress 1
		.amdhsa_inst_pref_size 0
		.amdhsa_round_robin_scheduling 0
		.amdhsa_exception_fp_ieee_invalid_op 0
		.amdhsa_exception_fp_denorm_src 0
		.amdhsa_exception_fp_ieee_div_zero 0
		.amdhsa_exception_fp_ieee_overflow 0
		.amdhsa_exception_fp_ieee_underflow 0
		.amdhsa_exception_fp_ieee_inexact 0
		.amdhsa_exception_int_div_zero 0
	.end_amdhsa_kernel
	.section	.text._ZN7rocprim17ROCPRIM_400000_NS6detail17trampoline_kernelINS0_13select_configILj256ELj13ELNS0_17block_load_methodE3ELS4_3ELS4_3ELNS0_20block_scan_algorithmE0ELj4294967295EEENS1_25partition_config_selectorILNS1_17partition_subalgoE3EjNS0_10empty_typeEbEEZZNS1_14partition_implILS8_3ELb0ES6_jNS0_17counting_iteratorIjlEEPS9_SE_NS0_5tupleIJPjSE_EEENSF_IJSE_SE_EEES9_SG_JZNS1_25segmented_radix_sort_implINS0_14default_configELb0EPKbPbPKlPlN2at6native12_GLOBAL__N_18offset_tEEE10hipError_tPvRmT1_PNSt15iterator_traitsISY_E10value_typeET2_T3_PNSZ_IS14_E10value_typeET4_jRbjT5_S1A_jjP12ihipStream_tbEUljE_EEESV_SW_SX_S14_S18_S1A_T6_T7_T9_mT8_S1C_bDpT10_ENKUlT_T0_E_clISt17integral_constantIbLb0EES1O_IbLb1EEEEDaS1K_S1L_EUlS1K_E_NS1_11comp_targetILNS1_3genE9ELNS1_11target_archE1100ELNS1_3gpuE3ELNS1_3repE0EEENS1_30default_config_static_selectorELNS0_4arch9wavefront6targetE0EEEvSY_,"axG",@progbits,_ZN7rocprim17ROCPRIM_400000_NS6detail17trampoline_kernelINS0_13select_configILj256ELj13ELNS0_17block_load_methodE3ELS4_3ELS4_3ELNS0_20block_scan_algorithmE0ELj4294967295EEENS1_25partition_config_selectorILNS1_17partition_subalgoE3EjNS0_10empty_typeEbEEZZNS1_14partition_implILS8_3ELb0ES6_jNS0_17counting_iteratorIjlEEPS9_SE_NS0_5tupleIJPjSE_EEENSF_IJSE_SE_EEES9_SG_JZNS1_25segmented_radix_sort_implINS0_14default_configELb0EPKbPbPKlPlN2at6native12_GLOBAL__N_18offset_tEEE10hipError_tPvRmT1_PNSt15iterator_traitsISY_E10value_typeET2_T3_PNSZ_IS14_E10value_typeET4_jRbjT5_S1A_jjP12ihipStream_tbEUljE_EEESV_SW_SX_S14_S18_S1A_T6_T7_T9_mT8_S1C_bDpT10_ENKUlT_T0_E_clISt17integral_constantIbLb0EES1O_IbLb1EEEEDaS1K_S1L_EUlS1K_E_NS1_11comp_targetILNS1_3genE9ELNS1_11target_archE1100ELNS1_3gpuE3ELNS1_3repE0EEENS1_30default_config_static_selectorELNS0_4arch9wavefront6targetE0EEEvSY_,comdat
.Lfunc_end1624:
	.size	_ZN7rocprim17ROCPRIM_400000_NS6detail17trampoline_kernelINS0_13select_configILj256ELj13ELNS0_17block_load_methodE3ELS4_3ELS4_3ELNS0_20block_scan_algorithmE0ELj4294967295EEENS1_25partition_config_selectorILNS1_17partition_subalgoE3EjNS0_10empty_typeEbEEZZNS1_14partition_implILS8_3ELb0ES6_jNS0_17counting_iteratorIjlEEPS9_SE_NS0_5tupleIJPjSE_EEENSF_IJSE_SE_EEES9_SG_JZNS1_25segmented_radix_sort_implINS0_14default_configELb0EPKbPbPKlPlN2at6native12_GLOBAL__N_18offset_tEEE10hipError_tPvRmT1_PNSt15iterator_traitsISY_E10value_typeET2_T3_PNSZ_IS14_E10value_typeET4_jRbjT5_S1A_jjP12ihipStream_tbEUljE_EEESV_SW_SX_S14_S18_S1A_T6_T7_T9_mT8_S1C_bDpT10_ENKUlT_T0_E_clISt17integral_constantIbLb0EES1O_IbLb1EEEEDaS1K_S1L_EUlS1K_E_NS1_11comp_targetILNS1_3genE9ELNS1_11target_archE1100ELNS1_3gpuE3ELNS1_3repE0EEENS1_30default_config_static_selectorELNS0_4arch9wavefront6targetE0EEEvSY_, .Lfunc_end1624-_ZN7rocprim17ROCPRIM_400000_NS6detail17trampoline_kernelINS0_13select_configILj256ELj13ELNS0_17block_load_methodE3ELS4_3ELS4_3ELNS0_20block_scan_algorithmE0ELj4294967295EEENS1_25partition_config_selectorILNS1_17partition_subalgoE3EjNS0_10empty_typeEbEEZZNS1_14partition_implILS8_3ELb0ES6_jNS0_17counting_iteratorIjlEEPS9_SE_NS0_5tupleIJPjSE_EEENSF_IJSE_SE_EEES9_SG_JZNS1_25segmented_radix_sort_implINS0_14default_configELb0EPKbPbPKlPlN2at6native12_GLOBAL__N_18offset_tEEE10hipError_tPvRmT1_PNSt15iterator_traitsISY_E10value_typeET2_T3_PNSZ_IS14_E10value_typeET4_jRbjT5_S1A_jjP12ihipStream_tbEUljE_EEESV_SW_SX_S14_S18_S1A_T6_T7_T9_mT8_S1C_bDpT10_ENKUlT_T0_E_clISt17integral_constantIbLb0EES1O_IbLb1EEEEDaS1K_S1L_EUlS1K_E_NS1_11comp_targetILNS1_3genE9ELNS1_11target_archE1100ELNS1_3gpuE3ELNS1_3repE0EEENS1_30default_config_static_selectorELNS0_4arch9wavefront6targetE0EEEvSY_
                                        ; -- End function
	.set _ZN7rocprim17ROCPRIM_400000_NS6detail17trampoline_kernelINS0_13select_configILj256ELj13ELNS0_17block_load_methodE3ELS4_3ELS4_3ELNS0_20block_scan_algorithmE0ELj4294967295EEENS1_25partition_config_selectorILNS1_17partition_subalgoE3EjNS0_10empty_typeEbEEZZNS1_14partition_implILS8_3ELb0ES6_jNS0_17counting_iteratorIjlEEPS9_SE_NS0_5tupleIJPjSE_EEENSF_IJSE_SE_EEES9_SG_JZNS1_25segmented_radix_sort_implINS0_14default_configELb0EPKbPbPKlPlN2at6native12_GLOBAL__N_18offset_tEEE10hipError_tPvRmT1_PNSt15iterator_traitsISY_E10value_typeET2_T3_PNSZ_IS14_E10value_typeET4_jRbjT5_S1A_jjP12ihipStream_tbEUljE_EEESV_SW_SX_S14_S18_S1A_T6_T7_T9_mT8_S1C_bDpT10_ENKUlT_T0_E_clISt17integral_constantIbLb0EES1O_IbLb1EEEEDaS1K_S1L_EUlS1K_E_NS1_11comp_targetILNS1_3genE9ELNS1_11target_archE1100ELNS1_3gpuE3ELNS1_3repE0EEENS1_30default_config_static_selectorELNS0_4arch9wavefront6targetE0EEEvSY_.num_vgpr, 0
	.set _ZN7rocprim17ROCPRIM_400000_NS6detail17trampoline_kernelINS0_13select_configILj256ELj13ELNS0_17block_load_methodE3ELS4_3ELS4_3ELNS0_20block_scan_algorithmE0ELj4294967295EEENS1_25partition_config_selectorILNS1_17partition_subalgoE3EjNS0_10empty_typeEbEEZZNS1_14partition_implILS8_3ELb0ES6_jNS0_17counting_iteratorIjlEEPS9_SE_NS0_5tupleIJPjSE_EEENSF_IJSE_SE_EEES9_SG_JZNS1_25segmented_radix_sort_implINS0_14default_configELb0EPKbPbPKlPlN2at6native12_GLOBAL__N_18offset_tEEE10hipError_tPvRmT1_PNSt15iterator_traitsISY_E10value_typeET2_T3_PNSZ_IS14_E10value_typeET4_jRbjT5_S1A_jjP12ihipStream_tbEUljE_EEESV_SW_SX_S14_S18_S1A_T6_T7_T9_mT8_S1C_bDpT10_ENKUlT_T0_E_clISt17integral_constantIbLb0EES1O_IbLb1EEEEDaS1K_S1L_EUlS1K_E_NS1_11comp_targetILNS1_3genE9ELNS1_11target_archE1100ELNS1_3gpuE3ELNS1_3repE0EEENS1_30default_config_static_selectorELNS0_4arch9wavefront6targetE0EEEvSY_.num_agpr, 0
	.set _ZN7rocprim17ROCPRIM_400000_NS6detail17trampoline_kernelINS0_13select_configILj256ELj13ELNS0_17block_load_methodE3ELS4_3ELS4_3ELNS0_20block_scan_algorithmE0ELj4294967295EEENS1_25partition_config_selectorILNS1_17partition_subalgoE3EjNS0_10empty_typeEbEEZZNS1_14partition_implILS8_3ELb0ES6_jNS0_17counting_iteratorIjlEEPS9_SE_NS0_5tupleIJPjSE_EEENSF_IJSE_SE_EEES9_SG_JZNS1_25segmented_radix_sort_implINS0_14default_configELb0EPKbPbPKlPlN2at6native12_GLOBAL__N_18offset_tEEE10hipError_tPvRmT1_PNSt15iterator_traitsISY_E10value_typeET2_T3_PNSZ_IS14_E10value_typeET4_jRbjT5_S1A_jjP12ihipStream_tbEUljE_EEESV_SW_SX_S14_S18_S1A_T6_T7_T9_mT8_S1C_bDpT10_ENKUlT_T0_E_clISt17integral_constantIbLb0EES1O_IbLb1EEEEDaS1K_S1L_EUlS1K_E_NS1_11comp_targetILNS1_3genE9ELNS1_11target_archE1100ELNS1_3gpuE3ELNS1_3repE0EEENS1_30default_config_static_selectorELNS0_4arch9wavefront6targetE0EEEvSY_.numbered_sgpr, 0
	.set _ZN7rocprim17ROCPRIM_400000_NS6detail17trampoline_kernelINS0_13select_configILj256ELj13ELNS0_17block_load_methodE3ELS4_3ELS4_3ELNS0_20block_scan_algorithmE0ELj4294967295EEENS1_25partition_config_selectorILNS1_17partition_subalgoE3EjNS0_10empty_typeEbEEZZNS1_14partition_implILS8_3ELb0ES6_jNS0_17counting_iteratorIjlEEPS9_SE_NS0_5tupleIJPjSE_EEENSF_IJSE_SE_EEES9_SG_JZNS1_25segmented_radix_sort_implINS0_14default_configELb0EPKbPbPKlPlN2at6native12_GLOBAL__N_18offset_tEEE10hipError_tPvRmT1_PNSt15iterator_traitsISY_E10value_typeET2_T3_PNSZ_IS14_E10value_typeET4_jRbjT5_S1A_jjP12ihipStream_tbEUljE_EEESV_SW_SX_S14_S18_S1A_T6_T7_T9_mT8_S1C_bDpT10_ENKUlT_T0_E_clISt17integral_constantIbLb0EES1O_IbLb1EEEEDaS1K_S1L_EUlS1K_E_NS1_11comp_targetILNS1_3genE9ELNS1_11target_archE1100ELNS1_3gpuE3ELNS1_3repE0EEENS1_30default_config_static_selectorELNS0_4arch9wavefront6targetE0EEEvSY_.num_named_barrier, 0
	.set _ZN7rocprim17ROCPRIM_400000_NS6detail17trampoline_kernelINS0_13select_configILj256ELj13ELNS0_17block_load_methodE3ELS4_3ELS4_3ELNS0_20block_scan_algorithmE0ELj4294967295EEENS1_25partition_config_selectorILNS1_17partition_subalgoE3EjNS0_10empty_typeEbEEZZNS1_14partition_implILS8_3ELb0ES6_jNS0_17counting_iteratorIjlEEPS9_SE_NS0_5tupleIJPjSE_EEENSF_IJSE_SE_EEES9_SG_JZNS1_25segmented_radix_sort_implINS0_14default_configELb0EPKbPbPKlPlN2at6native12_GLOBAL__N_18offset_tEEE10hipError_tPvRmT1_PNSt15iterator_traitsISY_E10value_typeET2_T3_PNSZ_IS14_E10value_typeET4_jRbjT5_S1A_jjP12ihipStream_tbEUljE_EEESV_SW_SX_S14_S18_S1A_T6_T7_T9_mT8_S1C_bDpT10_ENKUlT_T0_E_clISt17integral_constantIbLb0EES1O_IbLb1EEEEDaS1K_S1L_EUlS1K_E_NS1_11comp_targetILNS1_3genE9ELNS1_11target_archE1100ELNS1_3gpuE3ELNS1_3repE0EEENS1_30default_config_static_selectorELNS0_4arch9wavefront6targetE0EEEvSY_.private_seg_size, 0
	.set _ZN7rocprim17ROCPRIM_400000_NS6detail17trampoline_kernelINS0_13select_configILj256ELj13ELNS0_17block_load_methodE3ELS4_3ELS4_3ELNS0_20block_scan_algorithmE0ELj4294967295EEENS1_25partition_config_selectorILNS1_17partition_subalgoE3EjNS0_10empty_typeEbEEZZNS1_14partition_implILS8_3ELb0ES6_jNS0_17counting_iteratorIjlEEPS9_SE_NS0_5tupleIJPjSE_EEENSF_IJSE_SE_EEES9_SG_JZNS1_25segmented_radix_sort_implINS0_14default_configELb0EPKbPbPKlPlN2at6native12_GLOBAL__N_18offset_tEEE10hipError_tPvRmT1_PNSt15iterator_traitsISY_E10value_typeET2_T3_PNSZ_IS14_E10value_typeET4_jRbjT5_S1A_jjP12ihipStream_tbEUljE_EEESV_SW_SX_S14_S18_S1A_T6_T7_T9_mT8_S1C_bDpT10_ENKUlT_T0_E_clISt17integral_constantIbLb0EES1O_IbLb1EEEEDaS1K_S1L_EUlS1K_E_NS1_11comp_targetILNS1_3genE9ELNS1_11target_archE1100ELNS1_3gpuE3ELNS1_3repE0EEENS1_30default_config_static_selectorELNS0_4arch9wavefront6targetE0EEEvSY_.uses_vcc, 0
	.set _ZN7rocprim17ROCPRIM_400000_NS6detail17trampoline_kernelINS0_13select_configILj256ELj13ELNS0_17block_load_methodE3ELS4_3ELS4_3ELNS0_20block_scan_algorithmE0ELj4294967295EEENS1_25partition_config_selectorILNS1_17partition_subalgoE3EjNS0_10empty_typeEbEEZZNS1_14partition_implILS8_3ELb0ES6_jNS0_17counting_iteratorIjlEEPS9_SE_NS0_5tupleIJPjSE_EEENSF_IJSE_SE_EEES9_SG_JZNS1_25segmented_radix_sort_implINS0_14default_configELb0EPKbPbPKlPlN2at6native12_GLOBAL__N_18offset_tEEE10hipError_tPvRmT1_PNSt15iterator_traitsISY_E10value_typeET2_T3_PNSZ_IS14_E10value_typeET4_jRbjT5_S1A_jjP12ihipStream_tbEUljE_EEESV_SW_SX_S14_S18_S1A_T6_T7_T9_mT8_S1C_bDpT10_ENKUlT_T0_E_clISt17integral_constantIbLb0EES1O_IbLb1EEEEDaS1K_S1L_EUlS1K_E_NS1_11comp_targetILNS1_3genE9ELNS1_11target_archE1100ELNS1_3gpuE3ELNS1_3repE0EEENS1_30default_config_static_selectorELNS0_4arch9wavefront6targetE0EEEvSY_.uses_flat_scratch, 0
	.set _ZN7rocprim17ROCPRIM_400000_NS6detail17trampoline_kernelINS0_13select_configILj256ELj13ELNS0_17block_load_methodE3ELS4_3ELS4_3ELNS0_20block_scan_algorithmE0ELj4294967295EEENS1_25partition_config_selectorILNS1_17partition_subalgoE3EjNS0_10empty_typeEbEEZZNS1_14partition_implILS8_3ELb0ES6_jNS0_17counting_iteratorIjlEEPS9_SE_NS0_5tupleIJPjSE_EEENSF_IJSE_SE_EEES9_SG_JZNS1_25segmented_radix_sort_implINS0_14default_configELb0EPKbPbPKlPlN2at6native12_GLOBAL__N_18offset_tEEE10hipError_tPvRmT1_PNSt15iterator_traitsISY_E10value_typeET2_T3_PNSZ_IS14_E10value_typeET4_jRbjT5_S1A_jjP12ihipStream_tbEUljE_EEESV_SW_SX_S14_S18_S1A_T6_T7_T9_mT8_S1C_bDpT10_ENKUlT_T0_E_clISt17integral_constantIbLb0EES1O_IbLb1EEEEDaS1K_S1L_EUlS1K_E_NS1_11comp_targetILNS1_3genE9ELNS1_11target_archE1100ELNS1_3gpuE3ELNS1_3repE0EEENS1_30default_config_static_selectorELNS0_4arch9wavefront6targetE0EEEvSY_.has_dyn_sized_stack, 0
	.set _ZN7rocprim17ROCPRIM_400000_NS6detail17trampoline_kernelINS0_13select_configILj256ELj13ELNS0_17block_load_methodE3ELS4_3ELS4_3ELNS0_20block_scan_algorithmE0ELj4294967295EEENS1_25partition_config_selectorILNS1_17partition_subalgoE3EjNS0_10empty_typeEbEEZZNS1_14partition_implILS8_3ELb0ES6_jNS0_17counting_iteratorIjlEEPS9_SE_NS0_5tupleIJPjSE_EEENSF_IJSE_SE_EEES9_SG_JZNS1_25segmented_radix_sort_implINS0_14default_configELb0EPKbPbPKlPlN2at6native12_GLOBAL__N_18offset_tEEE10hipError_tPvRmT1_PNSt15iterator_traitsISY_E10value_typeET2_T3_PNSZ_IS14_E10value_typeET4_jRbjT5_S1A_jjP12ihipStream_tbEUljE_EEESV_SW_SX_S14_S18_S1A_T6_T7_T9_mT8_S1C_bDpT10_ENKUlT_T0_E_clISt17integral_constantIbLb0EES1O_IbLb1EEEEDaS1K_S1L_EUlS1K_E_NS1_11comp_targetILNS1_3genE9ELNS1_11target_archE1100ELNS1_3gpuE3ELNS1_3repE0EEENS1_30default_config_static_selectorELNS0_4arch9wavefront6targetE0EEEvSY_.has_recursion, 0
	.set _ZN7rocprim17ROCPRIM_400000_NS6detail17trampoline_kernelINS0_13select_configILj256ELj13ELNS0_17block_load_methodE3ELS4_3ELS4_3ELNS0_20block_scan_algorithmE0ELj4294967295EEENS1_25partition_config_selectorILNS1_17partition_subalgoE3EjNS0_10empty_typeEbEEZZNS1_14partition_implILS8_3ELb0ES6_jNS0_17counting_iteratorIjlEEPS9_SE_NS0_5tupleIJPjSE_EEENSF_IJSE_SE_EEES9_SG_JZNS1_25segmented_radix_sort_implINS0_14default_configELb0EPKbPbPKlPlN2at6native12_GLOBAL__N_18offset_tEEE10hipError_tPvRmT1_PNSt15iterator_traitsISY_E10value_typeET2_T3_PNSZ_IS14_E10value_typeET4_jRbjT5_S1A_jjP12ihipStream_tbEUljE_EEESV_SW_SX_S14_S18_S1A_T6_T7_T9_mT8_S1C_bDpT10_ENKUlT_T0_E_clISt17integral_constantIbLb0EES1O_IbLb1EEEEDaS1K_S1L_EUlS1K_E_NS1_11comp_targetILNS1_3genE9ELNS1_11target_archE1100ELNS1_3gpuE3ELNS1_3repE0EEENS1_30default_config_static_selectorELNS0_4arch9wavefront6targetE0EEEvSY_.has_indirect_call, 0
	.section	.AMDGPU.csdata,"",@progbits
; Kernel info:
; codeLenInByte = 0
; TotalNumSgprs: 0
; NumVgprs: 0
; ScratchSize: 0
; MemoryBound: 0
; FloatMode: 240
; IeeeMode: 1
; LDSByteSize: 0 bytes/workgroup (compile time only)
; SGPRBlocks: 0
; VGPRBlocks: 0
; NumSGPRsForWavesPerEU: 1
; NumVGPRsForWavesPerEU: 1
; NamedBarCnt: 0
; Occupancy: 16
; WaveLimiterHint : 0
; COMPUTE_PGM_RSRC2:SCRATCH_EN: 0
; COMPUTE_PGM_RSRC2:USER_SGPR: 2
; COMPUTE_PGM_RSRC2:TRAP_HANDLER: 0
; COMPUTE_PGM_RSRC2:TGID_X_EN: 1
; COMPUTE_PGM_RSRC2:TGID_Y_EN: 0
; COMPUTE_PGM_RSRC2:TGID_Z_EN: 0
; COMPUTE_PGM_RSRC2:TIDIG_COMP_CNT: 0
	.section	.text._ZN7rocprim17ROCPRIM_400000_NS6detail17trampoline_kernelINS0_13select_configILj256ELj13ELNS0_17block_load_methodE3ELS4_3ELS4_3ELNS0_20block_scan_algorithmE0ELj4294967295EEENS1_25partition_config_selectorILNS1_17partition_subalgoE3EjNS0_10empty_typeEbEEZZNS1_14partition_implILS8_3ELb0ES6_jNS0_17counting_iteratorIjlEEPS9_SE_NS0_5tupleIJPjSE_EEENSF_IJSE_SE_EEES9_SG_JZNS1_25segmented_radix_sort_implINS0_14default_configELb0EPKbPbPKlPlN2at6native12_GLOBAL__N_18offset_tEEE10hipError_tPvRmT1_PNSt15iterator_traitsISY_E10value_typeET2_T3_PNSZ_IS14_E10value_typeET4_jRbjT5_S1A_jjP12ihipStream_tbEUljE_EEESV_SW_SX_S14_S18_S1A_T6_T7_T9_mT8_S1C_bDpT10_ENKUlT_T0_E_clISt17integral_constantIbLb0EES1O_IbLb1EEEEDaS1K_S1L_EUlS1K_E_NS1_11comp_targetILNS1_3genE8ELNS1_11target_archE1030ELNS1_3gpuE2ELNS1_3repE0EEENS1_30default_config_static_selectorELNS0_4arch9wavefront6targetE0EEEvSY_,"axG",@progbits,_ZN7rocprim17ROCPRIM_400000_NS6detail17trampoline_kernelINS0_13select_configILj256ELj13ELNS0_17block_load_methodE3ELS4_3ELS4_3ELNS0_20block_scan_algorithmE0ELj4294967295EEENS1_25partition_config_selectorILNS1_17partition_subalgoE3EjNS0_10empty_typeEbEEZZNS1_14partition_implILS8_3ELb0ES6_jNS0_17counting_iteratorIjlEEPS9_SE_NS0_5tupleIJPjSE_EEENSF_IJSE_SE_EEES9_SG_JZNS1_25segmented_radix_sort_implINS0_14default_configELb0EPKbPbPKlPlN2at6native12_GLOBAL__N_18offset_tEEE10hipError_tPvRmT1_PNSt15iterator_traitsISY_E10value_typeET2_T3_PNSZ_IS14_E10value_typeET4_jRbjT5_S1A_jjP12ihipStream_tbEUljE_EEESV_SW_SX_S14_S18_S1A_T6_T7_T9_mT8_S1C_bDpT10_ENKUlT_T0_E_clISt17integral_constantIbLb0EES1O_IbLb1EEEEDaS1K_S1L_EUlS1K_E_NS1_11comp_targetILNS1_3genE8ELNS1_11target_archE1030ELNS1_3gpuE2ELNS1_3repE0EEENS1_30default_config_static_selectorELNS0_4arch9wavefront6targetE0EEEvSY_,comdat
	.globl	_ZN7rocprim17ROCPRIM_400000_NS6detail17trampoline_kernelINS0_13select_configILj256ELj13ELNS0_17block_load_methodE3ELS4_3ELS4_3ELNS0_20block_scan_algorithmE0ELj4294967295EEENS1_25partition_config_selectorILNS1_17partition_subalgoE3EjNS0_10empty_typeEbEEZZNS1_14partition_implILS8_3ELb0ES6_jNS0_17counting_iteratorIjlEEPS9_SE_NS0_5tupleIJPjSE_EEENSF_IJSE_SE_EEES9_SG_JZNS1_25segmented_radix_sort_implINS0_14default_configELb0EPKbPbPKlPlN2at6native12_GLOBAL__N_18offset_tEEE10hipError_tPvRmT1_PNSt15iterator_traitsISY_E10value_typeET2_T3_PNSZ_IS14_E10value_typeET4_jRbjT5_S1A_jjP12ihipStream_tbEUljE_EEESV_SW_SX_S14_S18_S1A_T6_T7_T9_mT8_S1C_bDpT10_ENKUlT_T0_E_clISt17integral_constantIbLb0EES1O_IbLb1EEEEDaS1K_S1L_EUlS1K_E_NS1_11comp_targetILNS1_3genE8ELNS1_11target_archE1030ELNS1_3gpuE2ELNS1_3repE0EEENS1_30default_config_static_selectorELNS0_4arch9wavefront6targetE0EEEvSY_ ; -- Begin function _ZN7rocprim17ROCPRIM_400000_NS6detail17trampoline_kernelINS0_13select_configILj256ELj13ELNS0_17block_load_methodE3ELS4_3ELS4_3ELNS0_20block_scan_algorithmE0ELj4294967295EEENS1_25partition_config_selectorILNS1_17partition_subalgoE3EjNS0_10empty_typeEbEEZZNS1_14partition_implILS8_3ELb0ES6_jNS0_17counting_iteratorIjlEEPS9_SE_NS0_5tupleIJPjSE_EEENSF_IJSE_SE_EEES9_SG_JZNS1_25segmented_radix_sort_implINS0_14default_configELb0EPKbPbPKlPlN2at6native12_GLOBAL__N_18offset_tEEE10hipError_tPvRmT1_PNSt15iterator_traitsISY_E10value_typeET2_T3_PNSZ_IS14_E10value_typeET4_jRbjT5_S1A_jjP12ihipStream_tbEUljE_EEESV_SW_SX_S14_S18_S1A_T6_T7_T9_mT8_S1C_bDpT10_ENKUlT_T0_E_clISt17integral_constantIbLb0EES1O_IbLb1EEEEDaS1K_S1L_EUlS1K_E_NS1_11comp_targetILNS1_3genE8ELNS1_11target_archE1030ELNS1_3gpuE2ELNS1_3repE0EEENS1_30default_config_static_selectorELNS0_4arch9wavefront6targetE0EEEvSY_
	.p2align	8
	.type	_ZN7rocprim17ROCPRIM_400000_NS6detail17trampoline_kernelINS0_13select_configILj256ELj13ELNS0_17block_load_methodE3ELS4_3ELS4_3ELNS0_20block_scan_algorithmE0ELj4294967295EEENS1_25partition_config_selectorILNS1_17partition_subalgoE3EjNS0_10empty_typeEbEEZZNS1_14partition_implILS8_3ELb0ES6_jNS0_17counting_iteratorIjlEEPS9_SE_NS0_5tupleIJPjSE_EEENSF_IJSE_SE_EEES9_SG_JZNS1_25segmented_radix_sort_implINS0_14default_configELb0EPKbPbPKlPlN2at6native12_GLOBAL__N_18offset_tEEE10hipError_tPvRmT1_PNSt15iterator_traitsISY_E10value_typeET2_T3_PNSZ_IS14_E10value_typeET4_jRbjT5_S1A_jjP12ihipStream_tbEUljE_EEESV_SW_SX_S14_S18_S1A_T6_T7_T9_mT8_S1C_bDpT10_ENKUlT_T0_E_clISt17integral_constantIbLb0EES1O_IbLb1EEEEDaS1K_S1L_EUlS1K_E_NS1_11comp_targetILNS1_3genE8ELNS1_11target_archE1030ELNS1_3gpuE2ELNS1_3repE0EEENS1_30default_config_static_selectorELNS0_4arch9wavefront6targetE0EEEvSY_,@function
_ZN7rocprim17ROCPRIM_400000_NS6detail17trampoline_kernelINS0_13select_configILj256ELj13ELNS0_17block_load_methodE3ELS4_3ELS4_3ELNS0_20block_scan_algorithmE0ELj4294967295EEENS1_25partition_config_selectorILNS1_17partition_subalgoE3EjNS0_10empty_typeEbEEZZNS1_14partition_implILS8_3ELb0ES6_jNS0_17counting_iteratorIjlEEPS9_SE_NS0_5tupleIJPjSE_EEENSF_IJSE_SE_EEES9_SG_JZNS1_25segmented_radix_sort_implINS0_14default_configELb0EPKbPbPKlPlN2at6native12_GLOBAL__N_18offset_tEEE10hipError_tPvRmT1_PNSt15iterator_traitsISY_E10value_typeET2_T3_PNSZ_IS14_E10value_typeET4_jRbjT5_S1A_jjP12ihipStream_tbEUljE_EEESV_SW_SX_S14_S18_S1A_T6_T7_T9_mT8_S1C_bDpT10_ENKUlT_T0_E_clISt17integral_constantIbLb0EES1O_IbLb1EEEEDaS1K_S1L_EUlS1K_E_NS1_11comp_targetILNS1_3genE8ELNS1_11target_archE1030ELNS1_3gpuE2ELNS1_3repE0EEENS1_30default_config_static_selectorELNS0_4arch9wavefront6targetE0EEEvSY_: ; @_ZN7rocprim17ROCPRIM_400000_NS6detail17trampoline_kernelINS0_13select_configILj256ELj13ELNS0_17block_load_methodE3ELS4_3ELS4_3ELNS0_20block_scan_algorithmE0ELj4294967295EEENS1_25partition_config_selectorILNS1_17partition_subalgoE3EjNS0_10empty_typeEbEEZZNS1_14partition_implILS8_3ELb0ES6_jNS0_17counting_iteratorIjlEEPS9_SE_NS0_5tupleIJPjSE_EEENSF_IJSE_SE_EEES9_SG_JZNS1_25segmented_radix_sort_implINS0_14default_configELb0EPKbPbPKlPlN2at6native12_GLOBAL__N_18offset_tEEE10hipError_tPvRmT1_PNSt15iterator_traitsISY_E10value_typeET2_T3_PNSZ_IS14_E10value_typeET4_jRbjT5_S1A_jjP12ihipStream_tbEUljE_EEESV_SW_SX_S14_S18_S1A_T6_T7_T9_mT8_S1C_bDpT10_ENKUlT_T0_E_clISt17integral_constantIbLb0EES1O_IbLb1EEEEDaS1K_S1L_EUlS1K_E_NS1_11comp_targetILNS1_3genE8ELNS1_11target_archE1030ELNS1_3gpuE2ELNS1_3repE0EEENS1_30default_config_static_selectorELNS0_4arch9wavefront6targetE0EEEvSY_
; %bb.0:
	.section	.rodata,"a",@progbits
	.p2align	6, 0x0
	.amdhsa_kernel _ZN7rocprim17ROCPRIM_400000_NS6detail17trampoline_kernelINS0_13select_configILj256ELj13ELNS0_17block_load_methodE3ELS4_3ELS4_3ELNS0_20block_scan_algorithmE0ELj4294967295EEENS1_25partition_config_selectorILNS1_17partition_subalgoE3EjNS0_10empty_typeEbEEZZNS1_14partition_implILS8_3ELb0ES6_jNS0_17counting_iteratorIjlEEPS9_SE_NS0_5tupleIJPjSE_EEENSF_IJSE_SE_EEES9_SG_JZNS1_25segmented_radix_sort_implINS0_14default_configELb0EPKbPbPKlPlN2at6native12_GLOBAL__N_18offset_tEEE10hipError_tPvRmT1_PNSt15iterator_traitsISY_E10value_typeET2_T3_PNSZ_IS14_E10value_typeET4_jRbjT5_S1A_jjP12ihipStream_tbEUljE_EEESV_SW_SX_S14_S18_S1A_T6_T7_T9_mT8_S1C_bDpT10_ENKUlT_T0_E_clISt17integral_constantIbLb0EES1O_IbLb1EEEEDaS1K_S1L_EUlS1K_E_NS1_11comp_targetILNS1_3genE8ELNS1_11target_archE1030ELNS1_3gpuE2ELNS1_3repE0EEENS1_30default_config_static_selectorELNS0_4arch9wavefront6targetE0EEEvSY_
		.amdhsa_group_segment_fixed_size 0
		.amdhsa_private_segment_fixed_size 0
		.amdhsa_kernarg_size 152
		.amdhsa_user_sgpr_count 2
		.amdhsa_user_sgpr_dispatch_ptr 0
		.amdhsa_user_sgpr_queue_ptr 0
		.amdhsa_user_sgpr_kernarg_segment_ptr 1
		.amdhsa_user_sgpr_dispatch_id 0
		.amdhsa_user_sgpr_kernarg_preload_length 0
		.amdhsa_user_sgpr_kernarg_preload_offset 0
		.amdhsa_user_sgpr_private_segment_size 0
		.amdhsa_wavefront_size32 1
		.amdhsa_uses_dynamic_stack 0
		.amdhsa_enable_private_segment 0
		.amdhsa_system_sgpr_workgroup_id_x 1
		.amdhsa_system_sgpr_workgroup_id_y 0
		.amdhsa_system_sgpr_workgroup_id_z 0
		.amdhsa_system_sgpr_workgroup_info 0
		.amdhsa_system_vgpr_workitem_id 0
		.amdhsa_next_free_vgpr 1
		.amdhsa_next_free_sgpr 1
		.amdhsa_named_barrier_count 0
		.amdhsa_reserve_vcc 0
		.amdhsa_float_round_mode_32 0
		.amdhsa_float_round_mode_16_64 0
		.amdhsa_float_denorm_mode_32 3
		.amdhsa_float_denorm_mode_16_64 3
		.amdhsa_fp16_overflow 0
		.amdhsa_memory_ordered 1
		.amdhsa_forward_progress 1
		.amdhsa_inst_pref_size 0
		.amdhsa_round_robin_scheduling 0
		.amdhsa_exception_fp_ieee_invalid_op 0
		.amdhsa_exception_fp_denorm_src 0
		.amdhsa_exception_fp_ieee_div_zero 0
		.amdhsa_exception_fp_ieee_overflow 0
		.amdhsa_exception_fp_ieee_underflow 0
		.amdhsa_exception_fp_ieee_inexact 0
		.amdhsa_exception_int_div_zero 0
	.end_amdhsa_kernel
	.section	.text._ZN7rocprim17ROCPRIM_400000_NS6detail17trampoline_kernelINS0_13select_configILj256ELj13ELNS0_17block_load_methodE3ELS4_3ELS4_3ELNS0_20block_scan_algorithmE0ELj4294967295EEENS1_25partition_config_selectorILNS1_17partition_subalgoE3EjNS0_10empty_typeEbEEZZNS1_14partition_implILS8_3ELb0ES6_jNS0_17counting_iteratorIjlEEPS9_SE_NS0_5tupleIJPjSE_EEENSF_IJSE_SE_EEES9_SG_JZNS1_25segmented_radix_sort_implINS0_14default_configELb0EPKbPbPKlPlN2at6native12_GLOBAL__N_18offset_tEEE10hipError_tPvRmT1_PNSt15iterator_traitsISY_E10value_typeET2_T3_PNSZ_IS14_E10value_typeET4_jRbjT5_S1A_jjP12ihipStream_tbEUljE_EEESV_SW_SX_S14_S18_S1A_T6_T7_T9_mT8_S1C_bDpT10_ENKUlT_T0_E_clISt17integral_constantIbLb0EES1O_IbLb1EEEEDaS1K_S1L_EUlS1K_E_NS1_11comp_targetILNS1_3genE8ELNS1_11target_archE1030ELNS1_3gpuE2ELNS1_3repE0EEENS1_30default_config_static_selectorELNS0_4arch9wavefront6targetE0EEEvSY_,"axG",@progbits,_ZN7rocprim17ROCPRIM_400000_NS6detail17trampoline_kernelINS0_13select_configILj256ELj13ELNS0_17block_load_methodE3ELS4_3ELS4_3ELNS0_20block_scan_algorithmE0ELj4294967295EEENS1_25partition_config_selectorILNS1_17partition_subalgoE3EjNS0_10empty_typeEbEEZZNS1_14partition_implILS8_3ELb0ES6_jNS0_17counting_iteratorIjlEEPS9_SE_NS0_5tupleIJPjSE_EEENSF_IJSE_SE_EEES9_SG_JZNS1_25segmented_radix_sort_implINS0_14default_configELb0EPKbPbPKlPlN2at6native12_GLOBAL__N_18offset_tEEE10hipError_tPvRmT1_PNSt15iterator_traitsISY_E10value_typeET2_T3_PNSZ_IS14_E10value_typeET4_jRbjT5_S1A_jjP12ihipStream_tbEUljE_EEESV_SW_SX_S14_S18_S1A_T6_T7_T9_mT8_S1C_bDpT10_ENKUlT_T0_E_clISt17integral_constantIbLb0EES1O_IbLb1EEEEDaS1K_S1L_EUlS1K_E_NS1_11comp_targetILNS1_3genE8ELNS1_11target_archE1030ELNS1_3gpuE2ELNS1_3repE0EEENS1_30default_config_static_selectorELNS0_4arch9wavefront6targetE0EEEvSY_,comdat
.Lfunc_end1625:
	.size	_ZN7rocprim17ROCPRIM_400000_NS6detail17trampoline_kernelINS0_13select_configILj256ELj13ELNS0_17block_load_methodE3ELS4_3ELS4_3ELNS0_20block_scan_algorithmE0ELj4294967295EEENS1_25partition_config_selectorILNS1_17partition_subalgoE3EjNS0_10empty_typeEbEEZZNS1_14partition_implILS8_3ELb0ES6_jNS0_17counting_iteratorIjlEEPS9_SE_NS0_5tupleIJPjSE_EEENSF_IJSE_SE_EEES9_SG_JZNS1_25segmented_radix_sort_implINS0_14default_configELb0EPKbPbPKlPlN2at6native12_GLOBAL__N_18offset_tEEE10hipError_tPvRmT1_PNSt15iterator_traitsISY_E10value_typeET2_T3_PNSZ_IS14_E10value_typeET4_jRbjT5_S1A_jjP12ihipStream_tbEUljE_EEESV_SW_SX_S14_S18_S1A_T6_T7_T9_mT8_S1C_bDpT10_ENKUlT_T0_E_clISt17integral_constantIbLb0EES1O_IbLb1EEEEDaS1K_S1L_EUlS1K_E_NS1_11comp_targetILNS1_3genE8ELNS1_11target_archE1030ELNS1_3gpuE2ELNS1_3repE0EEENS1_30default_config_static_selectorELNS0_4arch9wavefront6targetE0EEEvSY_, .Lfunc_end1625-_ZN7rocprim17ROCPRIM_400000_NS6detail17trampoline_kernelINS0_13select_configILj256ELj13ELNS0_17block_load_methodE3ELS4_3ELS4_3ELNS0_20block_scan_algorithmE0ELj4294967295EEENS1_25partition_config_selectorILNS1_17partition_subalgoE3EjNS0_10empty_typeEbEEZZNS1_14partition_implILS8_3ELb0ES6_jNS0_17counting_iteratorIjlEEPS9_SE_NS0_5tupleIJPjSE_EEENSF_IJSE_SE_EEES9_SG_JZNS1_25segmented_radix_sort_implINS0_14default_configELb0EPKbPbPKlPlN2at6native12_GLOBAL__N_18offset_tEEE10hipError_tPvRmT1_PNSt15iterator_traitsISY_E10value_typeET2_T3_PNSZ_IS14_E10value_typeET4_jRbjT5_S1A_jjP12ihipStream_tbEUljE_EEESV_SW_SX_S14_S18_S1A_T6_T7_T9_mT8_S1C_bDpT10_ENKUlT_T0_E_clISt17integral_constantIbLb0EES1O_IbLb1EEEEDaS1K_S1L_EUlS1K_E_NS1_11comp_targetILNS1_3genE8ELNS1_11target_archE1030ELNS1_3gpuE2ELNS1_3repE0EEENS1_30default_config_static_selectorELNS0_4arch9wavefront6targetE0EEEvSY_
                                        ; -- End function
	.set _ZN7rocprim17ROCPRIM_400000_NS6detail17trampoline_kernelINS0_13select_configILj256ELj13ELNS0_17block_load_methodE3ELS4_3ELS4_3ELNS0_20block_scan_algorithmE0ELj4294967295EEENS1_25partition_config_selectorILNS1_17partition_subalgoE3EjNS0_10empty_typeEbEEZZNS1_14partition_implILS8_3ELb0ES6_jNS0_17counting_iteratorIjlEEPS9_SE_NS0_5tupleIJPjSE_EEENSF_IJSE_SE_EEES9_SG_JZNS1_25segmented_radix_sort_implINS0_14default_configELb0EPKbPbPKlPlN2at6native12_GLOBAL__N_18offset_tEEE10hipError_tPvRmT1_PNSt15iterator_traitsISY_E10value_typeET2_T3_PNSZ_IS14_E10value_typeET4_jRbjT5_S1A_jjP12ihipStream_tbEUljE_EEESV_SW_SX_S14_S18_S1A_T6_T7_T9_mT8_S1C_bDpT10_ENKUlT_T0_E_clISt17integral_constantIbLb0EES1O_IbLb1EEEEDaS1K_S1L_EUlS1K_E_NS1_11comp_targetILNS1_3genE8ELNS1_11target_archE1030ELNS1_3gpuE2ELNS1_3repE0EEENS1_30default_config_static_selectorELNS0_4arch9wavefront6targetE0EEEvSY_.num_vgpr, 0
	.set _ZN7rocprim17ROCPRIM_400000_NS6detail17trampoline_kernelINS0_13select_configILj256ELj13ELNS0_17block_load_methodE3ELS4_3ELS4_3ELNS0_20block_scan_algorithmE0ELj4294967295EEENS1_25partition_config_selectorILNS1_17partition_subalgoE3EjNS0_10empty_typeEbEEZZNS1_14partition_implILS8_3ELb0ES6_jNS0_17counting_iteratorIjlEEPS9_SE_NS0_5tupleIJPjSE_EEENSF_IJSE_SE_EEES9_SG_JZNS1_25segmented_radix_sort_implINS0_14default_configELb0EPKbPbPKlPlN2at6native12_GLOBAL__N_18offset_tEEE10hipError_tPvRmT1_PNSt15iterator_traitsISY_E10value_typeET2_T3_PNSZ_IS14_E10value_typeET4_jRbjT5_S1A_jjP12ihipStream_tbEUljE_EEESV_SW_SX_S14_S18_S1A_T6_T7_T9_mT8_S1C_bDpT10_ENKUlT_T0_E_clISt17integral_constantIbLb0EES1O_IbLb1EEEEDaS1K_S1L_EUlS1K_E_NS1_11comp_targetILNS1_3genE8ELNS1_11target_archE1030ELNS1_3gpuE2ELNS1_3repE0EEENS1_30default_config_static_selectorELNS0_4arch9wavefront6targetE0EEEvSY_.num_agpr, 0
	.set _ZN7rocprim17ROCPRIM_400000_NS6detail17trampoline_kernelINS0_13select_configILj256ELj13ELNS0_17block_load_methodE3ELS4_3ELS4_3ELNS0_20block_scan_algorithmE0ELj4294967295EEENS1_25partition_config_selectorILNS1_17partition_subalgoE3EjNS0_10empty_typeEbEEZZNS1_14partition_implILS8_3ELb0ES6_jNS0_17counting_iteratorIjlEEPS9_SE_NS0_5tupleIJPjSE_EEENSF_IJSE_SE_EEES9_SG_JZNS1_25segmented_radix_sort_implINS0_14default_configELb0EPKbPbPKlPlN2at6native12_GLOBAL__N_18offset_tEEE10hipError_tPvRmT1_PNSt15iterator_traitsISY_E10value_typeET2_T3_PNSZ_IS14_E10value_typeET4_jRbjT5_S1A_jjP12ihipStream_tbEUljE_EEESV_SW_SX_S14_S18_S1A_T6_T7_T9_mT8_S1C_bDpT10_ENKUlT_T0_E_clISt17integral_constantIbLb0EES1O_IbLb1EEEEDaS1K_S1L_EUlS1K_E_NS1_11comp_targetILNS1_3genE8ELNS1_11target_archE1030ELNS1_3gpuE2ELNS1_3repE0EEENS1_30default_config_static_selectorELNS0_4arch9wavefront6targetE0EEEvSY_.numbered_sgpr, 0
	.set _ZN7rocprim17ROCPRIM_400000_NS6detail17trampoline_kernelINS0_13select_configILj256ELj13ELNS0_17block_load_methodE3ELS4_3ELS4_3ELNS0_20block_scan_algorithmE0ELj4294967295EEENS1_25partition_config_selectorILNS1_17partition_subalgoE3EjNS0_10empty_typeEbEEZZNS1_14partition_implILS8_3ELb0ES6_jNS0_17counting_iteratorIjlEEPS9_SE_NS0_5tupleIJPjSE_EEENSF_IJSE_SE_EEES9_SG_JZNS1_25segmented_radix_sort_implINS0_14default_configELb0EPKbPbPKlPlN2at6native12_GLOBAL__N_18offset_tEEE10hipError_tPvRmT1_PNSt15iterator_traitsISY_E10value_typeET2_T3_PNSZ_IS14_E10value_typeET4_jRbjT5_S1A_jjP12ihipStream_tbEUljE_EEESV_SW_SX_S14_S18_S1A_T6_T7_T9_mT8_S1C_bDpT10_ENKUlT_T0_E_clISt17integral_constantIbLb0EES1O_IbLb1EEEEDaS1K_S1L_EUlS1K_E_NS1_11comp_targetILNS1_3genE8ELNS1_11target_archE1030ELNS1_3gpuE2ELNS1_3repE0EEENS1_30default_config_static_selectorELNS0_4arch9wavefront6targetE0EEEvSY_.num_named_barrier, 0
	.set _ZN7rocprim17ROCPRIM_400000_NS6detail17trampoline_kernelINS0_13select_configILj256ELj13ELNS0_17block_load_methodE3ELS4_3ELS4_3ELNS0_20block_scan_algorithmE0ELj4294967295EEENS1_25partition_config_selectorILNS1_17partition_subalgoE3EjNS0_10empty_typeEbEEZZNS1_14partition_implILS8_3ELb0ES6_jNS0_17counting_iteratorIjlEEPS9_SE_NS0_5tupleIJPjSE_EEENSF_IJSE_SE_EEES9_SG_JZNS1_25segmented_radix_sort_implINS0_14default_configELb0EPKbPbPKlPlN2at6native12_GLOBAL__N_18offset_tEEE10hipError_tPvRmT1_PNSt15iterator_traitsISY_E10value_typeET2_T3_PNSZ_IS14_E10value_typeET4_jRbjT5_S1A_jjP12ihipStream_tbEUljE_EEESV_SW_SX_S14_S18_S1A_T6_T7_T9_mT8_S1C_bDpT10_ENKUlT_T0_E_clISt17integral_constantIbLb0EES1O_IbLb1EEEEDaS1K_S1L_EUlS1K_E_NS1_11comp_targetILNS1_3genE8ELNS1_11target_archE1030ELNS1_3gpuE2ELNS1_3repE0EEENS1_30default_config_static_selectorELNS0_4arch9wavefront6targetE0EEEvSY_.private_seg_size, 0
	.set _ZN7rocprim17ROCPRIM_400000_NS6detail17trampoline_kernelINS0_13select_configILj256ELj13ELNS0_17block_load_methodE3ELS4_3ELS4_3ELNS0_20block_scan_algorithmE0ELj4294967295EEENS1_25partition_config_selectorILNS1_17partition_subalgoE3EjNS0_10empty_typeEbEEZZNS1_14partition_implILS8_3ELb0ES6_jNS0_17counting_iteratorIjlEEPS9_SE_NS0_5tupleIJPjSE_EEENSF_IJSE_SE_EEES9_SG_JZNS1_25segmented_radix_sort_implINS0_14default_configELb0EPKbPbPKlPlN2at6native12_GLOBAL__N_18offset_tEEE10hipError_tPvRmT1_PNSt15iterator_traitsISY_E10value_typeET2_T3_PNSZ_IS14_E10value_typeET4_jRbjT5_S1A_jjP12ihipStream_tbEUljE_EEESV_SW_SX_S14_S18_S1A_T6_T7_T9_mT8_S1C_bDpT10_ENKUlT_T0_E_clISt17integral_constantIbLb0EES1O_IbLb1EEEEDaS1K_S1L_EUlS1K_E_NS1_11comp_targetILNS1_3genE8ELNS1_11target_archE1030ELNS1_3gpuE2ELNS1_3repE0EEENS1_30default_config_static_selectorELNS0_4arch9wavefront6targetE0EEEvSY_.uses_vcc, 0
	.set _ZN7rocprim17ROCPRIM_400000_NS6detail17trampoline_kernelINS0_13select_configILj256ELj13ELNS0_17block_load_methodE3ELS4_3ELS4_3ELNS0_20block_scan_algorithmE0ELj4294967295EEENS1_25partition_config_selectorILNS1_17partition_subalgoE3EjNS0_10empty_typeEbEEZZNS1_14partition_implILS8_3ELb0ES6_jNS0_17counting_iteratorIjlEEPS9_SE_NS0_5tupleIJPjSE_EEENSF_IJSE_SE_EEES9_SG_JZNS1_25segmented_radix_sort_implINS0_14default_configELb0EPKbPbPKlPlN2at6native12_GLOBAL__N_18offset_tEEE10hipError_tPvRmT1_PNSt15iterator_traitsISY_E10value_typeET2_T3_PNSZ_IS14_E10value_typeET4_jRbjT5_S1A_jjP12ihipStream_tbEUljE_EEESV_SW_SX_S14_S18_S1A_T6_T7_T9_mT8_S1C_bDpT10_ENKUlT_T0_E_clISt17integral_constantIbLb0EES1O_IbLb1EEEEDaS1K_S1L_EUlS1K_E_NS1_11comp_targetILNS1_3genE8ELNS1_11target_archE1030ELNS1_3gpuE2ELNS1_3repE0EEENS1_30default_config_static_selectorELNS0_4arch9wavefront6targetE0EEEvSY_.uses_flat_scratch, 0
	.set _ZN7rocprim17ROCPRIM_400000_NS6detail17trampoline_kernelINS0_13select_configILj256ELj13ELNS0_17block_load_methodE3ELS4_3ELS4_3ELNS0_20block_scan_algorithmE0ELj4294967295EEENS1_25partition_config_selectorILNS1_17partition_subalgoE3EjNS0_10empty_typeEbEEZZNS1_14partition_implILS8_3ELb0ES6_jNS0_17counting_iteratorIjlEEPS9_SE_NS0_5tupleIJPjSE_EEENSF_IJSE_SE_EEES9_SG_JZNS1_25segmented_radix_sort_implINS0_14default_configELb0EPKbPbPKlPlN2at6native12_GLOBAL__N_18offset_tEEE10hipError_tPvRmT1_PNSt15iterator_traitsISY_E10value_typeET2_T3_PNSZ_IS14_E10value_typeET4_jRbjT5_S1A_jjP12ihipStream_tbEUljE_EEESV_SW_SX_S14_S18_S1A_T6_T7_T9_mT8_S1C_bDpT10_ENKUlT_T0_E_clISt17integral_constantIbLb0EES1O_IbLb1EEEEDaS1K_S1L_EUlS1K_E_NS1_11comp_targetILNS1_3genE8ELNS1_11target_archE1030ELNS1_3gpuE2ELNS1_3repE0EEENS1_30default_config_static_selectorELNS0_4arch9wavefront6targetE0EEEvSY_.has_dyn_sized_stack, 0
	.set _ZN7rocprim17ROCPRIM_400000_NS6detail17trampoline_kernelINS0_13select_configILj256ELj13ELNS0_17block_load_methodE3ELS4_3ELS4_3ELNS0_20block_scan_algorithmE0ELj4294967295EEENS1_25partition_config_selectorILNS1_17partition_subalgoE3EjNS0_10empty_typeEbEEZZNS1_14partition_implILS8_3ELb0ES6_jNS0_17counting_iteratorIjlEEPS9_SE_NS0_5tupleIJPjSE_EEENSF_IJSE_SE_EEES9_SG_JZNS1_25segmented_radix_sort_implINS0_14default_configELb0EPKbPbPKlPlN2at6native12_GLOBAL__N_18offset_tEEE10hipError_tPvRmT1_PNSt15iterator_traitsISY_E10value_typeET2_T3_PNSZ_IS14_E10value_typeET4_jRbjT5_S1A_jjP12ihipStream_tbEUljE_EEESV_SW_SX_S14_S18_S1A_T6_T7_T9_mT8_S1C_bDpT10_ENKUlT_T0_E_clISt17integral_constantIbLb0EES1O_IbLb1EEEEDaS1K_S1L_EUlS1K_E_NS1_11comp_targetILNS1_3genE8ELNS1_11target_archE1030ELNS1_3gpuE2ELNS1_3repE0EEENS1_30default_config_static_selectorELNS0_4arch9wavefront6targetE0EEEvSY_.has_recursion, 0
	.set _ZN7rocprim17ROCPRIM_400000_NS6detail17trampoline_kernelINS0_13select_configILj256ELj13ELNS0_17block_load_methodE3ELS4_3ELS4_3ELNS0_20block_scan_algorithmE0ELj4294967295EEENS1_25partition_config_selectorILNS1_17partition_subalgoE3EjNS0_10empty_typeEbEEZZNS1_14partition_implILS8_3ELb0ES6_jNS0_17counting_iteratorIjlEEPS9_SE_NS0_5tupleIJPjSE_EEENSF_IJSE_SE_EEES9_SG_JZNS1_25segmented_radix_sort_implINS0_14default_configELb0EPKbPbPKlPlN2at6native12_GLOBAL__N_18offset_tEEE10hipError_tPvRmT1_PNSt15iterator_traitsISY_E10value_typeET2_T3_PNSZ_IS14_E10value_typeET4_jRbjT5_S1A_jjP12ihipStream_tbEUljE_EEESV_SW_SX_S14_S18_S1A_T6_T7_T9_mT8_S1C_bDpT10_ENKUlT_T0_E_clISt17integral_constantIbLb0EES1O_IbLb1EEEEDaS1K_S1L_EUlS1K_E_NS1_11comp_targetILNS1_3genE8ELNS1_11target_archE1030ELNS1_3gpuE2ELNS1_3repE0EEENS1_30default_config_static_selectorELNS0_4arch9wavefront6targetE0EEEvSY_.has_indirect_call, 0
	.section	.AMDGPU.csdata,"",@progbits
; Kernel info:
; codeLenInByte = 0
; TotalNumSgprs: 0
; NumVgprs: 0
; ScratchSize: 0
; MemoryBound: 0
; FloatMode: 240
; IeeeMode: 1
; LDSByteSize: 0 bytes/workgroup (compile time only)
; SGPRBlocks: 0
; VGPRBlocks: 0
; NumSGPRsForWavesPerEU: 1
; NumVGPRsForWavesPerEU: 1
; NamedBarCnt: 0
; Occupancy: 16
; WaveLimiterHint : 0
; COMPUTE_PGM_RSRC2:SCRATCH_EN: 0
; COMPUTE_PGM_RSRC2:USER_SGPR: 2
; COMPUTE_PGM_RSRC2:TRAP_HANDLER: 0
; COMPUTE_PGM_RSRC2:TGID_X_EN: 1
; COMPUTE_PGM_RSRC2:TGID_Y_EN: 0
; COMPUTE_PGM_RSRC2:TGID_Z_EN: 0
; COMPUTE_PGM_RSRC2:TIDIG_COMP_CNT: 0
	.text
	.p2align	2                               ; -- Begin function _ZN7rocprim17ROCPRIM_400000_NS6detail40segmented_radix_sort_single_block_helperIblLj256ELj17ELb0EE4sortIPKbPbPKlPlEEbT_T0_T1_T2_jjjjRNS3_12storage_typeE
	.type	_ZN7rocprim17ROCPRIM_400000_NS6detail40segmented_radix_sort_single_block_helperIblLj256ELj17ELb0EE4sortIPKbPbPKlPlEEbT_T0_T1_T2_jjjjRNS3_12storage_typeE,@function
_ZN7rocprim17ROCPRIM_400000_NS6detail40segmented_radix_sort_single_block_helperIblLj256ELj17ELb0EE4sortIPKbPbPKlPlEEbT_T0_T1_T2_jjjjRNS3_12storage_typeE: ; @_ZN7rocprim17ROCPRIM_400000_NS6detail40segmented_radix_sort_single_block_helperIblLj256ELj17ELb0EE4sortIPKbPbPKlPlEEbT_T0_T1_T2_jjjjRNS3_12storage_typeE
; %bb.0:
	s_wait_loadcnt_dscnt 0x0
	s_wait_kmcnt 0x0
	s_set_vgpr_msb 64                       ;  msbs: dst=1 src0=0 src1=0 src2=0
	v_sub_nc_u32_e32 v12 /*v268*/, v9, v8
	s_mov_b32 s18, exec_lo
	s_set_vgpr_msb 4                        ;  msbs: dst=0 src0=0 src1=1 src2=0
	s_delay_alu instid0(VALU_DEP_1)
	v_cmpx_gt_u32_e32 0x1101, v12 /*v268*/
	s_set_vgpr_msb 0                        ;  msbs: dst=0 src0=0 src1=0 src2=0
	s_cbranch_execz .LBB1626_382
; %bb.1:
	v_bfe_u32 v9, v31, 10, 10
	v_bfe_u32 v15, v31, 20, 10
	v_and_b32_e32 v14, 0x3ff, v31
	v_mbcnt_lo_u32_b32 v16, -1, 0
	s_getreg_b32 s19, hwreg(HW_REG_IB_STS2, 6, 4)
	s_mov_b32 s0, exec_lo
	s_set_vgpr_msb 4                        ;  msbs: dst=0 src0=0 src1=1 src2=0
	v_cmpx_lt_u32_e32 0x800, v12 /*v268*/
	s_xor_b32 s20, exec_lo, s0
	s_set_vgpr_msb 0                        ;  msbs: dst=0 src0=0 src1=0 src2=0
	s_cbranch_execz .LBB1626_151
; %bb.2:
	s_load_b64 s[0:1], s[8:9], 0x0
	s_bfe_u32 s3, ttmp6, 0x4000c
	s_bfe_u32 s5, ttmp6, 0x40010
	s_and_b32 s4, ttmp7, 0xffff
	s_add_co_i32 s3, s3, 1
	s_add_co_i32 s5, s5, 1
	s_and_b32 s2, ttmp6, 15
	s_bfe_u32 s6, ttmp6, 0x40004
	s_mul_i32 s3, ttmp9, s3
	s_mul_i32 s5, s4, s5
	s_add_co_i32 s2, s2, s3
	s_add_co_i32 s6, s6, s5
	s_cmp_eq_u32 s19, 0
	s_mov_b32 s3, 0
	s_cselect_b32 s2, ttmp9, s2
	s_cselect_b32 s4, s4, s6
	s_set_vgpr_msb 64                       ;  msbs: dst=1 src0=0 src1=0 src2=0
	v_dual_mov_b32 v19 /*v275*/, 1 :: v_dual_mov_b32 v26 /*v282*/, 1
	v_dual_mov_b32 v23 /*v279*/, 1 :: v_dual_mov_b32 v24 /*v280*/, 1
	s_wait_kmcnt 0x0
	s_cmp_lt_u32 s2, s0
	v_dual_mov_b32 v25 /*v281*/, 1 :: v_dual_mov_b32 v17 /*v273*/, 1
	s_cselect_b32 s2, 12, 18
	s_cmp_lt_u32 s4, s1
	s_mov_b32 s1, s3
	s_cselect_b32 s0, 14, 20
	v_dual_mov_b32 v18 /*v274*/, 1 :: v_dual_mov_b32 v20 /*v276*/, 1
	s_add_nc_u64 s[0:1], s[8:9], s[0:1]
	v_dual_mov_b32 v22 /*v278*/, 1 :: v_dual_mov_b32 v21 /*v277*/, 1
	s_load_u16 s4, s[0:1], 0x0
	s_wait_xcnt 0x0
	s_add_nc_u64 s[0:1], s[8:9], s[2:3]
	v_dual_mov_b32 v13 /*v269*/, 1 :: v_dual_mov_b32 v14 /*v270*/, 1
	s_load_u16 s0, s[0:1], 0x0
	v_dual_mov_b32 v15 /*v271*/, 1 :: v_dual_mov_b32 v16 /*v272*/, 1
	s_set_vgpr_msb 0                        ;  msbs: dst=0 src0=0 src1=0 src2=0
	v_mov_b32_e32 v39, 1
	s_wait_kmcnt 0x0
	v_mad_u32_u24 v9, v15, s4, v9
	v_mov_b32_e32 v15, 1
	s_delay_alu instid0(VALU_DEP_2) | instskip(SKIP_1) | instid1(VALU_DEP_1)
	v_mad_u32 v38, v9, s0, v14
	v_mov_b32_e32 v9, 0
	v_add_nc_u64_e32 v[18:19], v[0:1], v[8:9]
	v_dual_mov_b32 v17, v9 :: v_dual_mov_b32 v1, v9
	s_delay_alu instid0(VALU_DEP_4) | instskip(NEXT) | instid1(VALU_DEP_2)
	v_and_b32_e32 v0, 0xffffffe0, v38
	v_add_nc_u64_e32 v[18:19], v[18:19], v[16:17]
	s_delay_alu instid0(VALU_DEP_2) | instskip(NEXT) | instid1(VALU_DEP_1)
	v_lshl_add_u32 v0, v0, 4, v0
	v_or_b32_e32 v17, v0, v16
	s_delay_alu instid0(VALU_DEP_3) | instskip(SKIP_1) | instid1(VALU_DEP_2)
	v_add_nc_u64_e32 v[18:19], v[18:19], v[0:1]
	s_set_vgpr_msb 4                        ;  msbs: dst=0 src0=0 src1=1 src2=0
	v_cmp_lt_u32_e32 vcc_lo, v17, v12 /*v268*/
	s_and_saveexec_b32 s0, vcc_lo
	s_set_vgpr_msb 0                        ;  msbs: dst=0 src0=0 src1=0 src2=0
	s_cbranch_execz .LBB1626_4
; %bb.3:
	s_set_vgpr_msb 64                       ;  msbs: dst=1 src0=0 src1=0 src2=0
	flat_load_u8 v26 /*v282*/, v[18:19]
	v_dual_mov_b32 v23 /*v279*/, 1 :: v_dual_mov_b32 v24 /*v280*/, 1
	v_dual_mov_b32 v25 /*v281*/, 1 :: v_dual_mov_b32 v17 /*v273*/, 1
	;; [unrolled: 1-line block ×4, first 2 shown]
	s_set_vgpr_msb 0                        ;  msbs: dst=0 src0=0 src1=0 src2=0
	v_dual_mov_b32 v39, 1 :: v_dual_mov_b32 v15, 1
	s_set_vgpr_msb 64                       ;  msbs: dst=1 src0=0 src1=0 src2=0
	v_dual_mov_b32 v13 /*v269*/, 1 :: v_dual_mov_b32 v14 /*v270*/, 1
	v_dual_mov_b32 v15 /*v271*/, 1 :: v_dual_mov_b32 v16 /*v272*/, 1
.LBB1626_4:
	s_wait_xcnt 0x0
	s_or_b32 exec_lo, exec_lo, s0
	s_set_vgpr_msb 0                        ;  msbs: dst=0 src0=0 src1=0 src2=0
	v_add_nc_u32_e32 v20, 32, v17
	s_set_vgpr_msb 0x41                     ;  msbs: dst=1 src0=1 src1=0 src2=0
	v_mov_b32_e32 v27 /*v283*/, v19 /*v275*/
	s_set_vgpr_msb 4                        ;  msbs: dst=0 src0=0 src1=1 src2=0
	s_delay_alu instid0(VALU_DEP_2)
	v_cmp_lt_u32_e64 s0, v20, v12 /*v268*/
	s_and_saveexec_b32 s1, s0
	s_set_vgpr_msb 0                        ;  msbs: dst=0 src0=0 src1=0 src2=0
	s_cbranch_execz .LBB1626_6
; %bb.5:
	s_set_vgpr_msb 64                       ;  msbs: dst=1 src0=0 src1=0 src2=0
	flat_load_u8 v27 /*v283*/, v[18:19] offset:32
.LBB1626_6:
	s_wait_xcnt 0x0
	s_or_b32 exec_lo, exec_lo, s1
	s_set_vgpr_msb 0                        ;  msbs: dst=0 src0=0 src1=0 src2=0
	v_add_nc_u32_e32 v20, 64, v17
	s_set_vgpr_msb 4                        ;  msbs: dst=0 src0=0 src1=1 src2=0
	s_delay_alu instid0(VALU_DEP_1)
	v_cmp_lt_u32_e64 s1, v20, v12 /*v268*/
	s_and_saveexec_b32 s2, s1
	s_set_vgpr_msb 0                        ;  msbs: dst=0 src0=0 src1=0 src2=0
	s_cbranch_execz .LBB1626_8
; %bb.7:
	s_set_vgpr_msb 64                       ;  msbs: dst=1 src0=0 src1=0 src2=0
	flat_load_u8 v19 /*v275*/, v[18:19] offset:64
.LBB1626_8:
	s_wait_xcnt 0x0
	s_or_b32 exec_lo, exec_lo, s2
	s_set_vgpr_msb 0                        ;  msbs: dst=0 src0=0 src1=0 src2=0
	v_add_nc_u32_e32 v20, 0x60, v17
	s_set_vgpr_msb 4                        ;  msbs: dst=0 src0=0 src1=1 src2=0
	s_delay_alu instid0(VALU_DEP_1)
	;; [unrolled: 14-line block ×10, first 2 shown]
	v_cmp_lt_u32_e64 s12, v20, v12 /*v268*/
	s_and_saveexec_b32 s13, s12
	s_set_vgpr_msb 0                        ;  msbs: dst=0 src0=0 src1=0 src2=0
	s_cbranch_execz .LBB1626_26
; %bb.25:
	flat_load_u8 v39, v[18:19] offset:352
.LBB1626_26:
	s_wait_xcnt 0x0
	s_or_b32 exec_lo, exec_lo, s13
	v_add_nc_u32_e32 v20, 0x180, v17
	s_set_vgpr_msb 4                        ;  msbs: dst=0 src0=0 src1=1 src2=0
	s_delay_alu instid0(VALU_DEP_1)
	v_cmp_lt_u32_e64 s13, v20, v12 /*v268*/
	s_and_saveexec_b32 s14, s13
	s_set_vgpr_msb 0                        ;  msbs: dst=0 src0=0 src1=0 src2=0
	s_cbranch_execz .LBB1626_28
; %bb.27:
	s_set_vgpr_msb 64                       ;  msbs: dst=1 src0=0 src1=0 src2=0
	flat_load_u8 v13 /*v269*/, v[18:19] offset:384
.LBB1626_28:
	s_wait_xcnt 0x0
	s_or_b32 exec_lo, exec_lo, s14
	s_set_vgpr_msb 0                        ;  msbs: dst=0 src0=0 src1=0 src2=0
	v_add_nc_u32_e32 v20, 0x1a0, v17
	s_set_vgpr_msb 4                        ;  msbs: dst=0 src0=0 src1=1 src2=0
	s_delay_alu instid0(VALU_DEP_1)
	v_cmp_lt_u32_e64 s14, v20, v12 /*v268*/
	s_and_saveexec_b32 s15, s14
	s_set_vgpr_msb 0                        ;  msbs: dst=0 src0=0 src1=0 src2=0
	s_cbranch_execz .LBB1626_30
; %bb.29:
	s_set_vgpr_msb 64                       ;  msbs: dst=1 src0=0 src1=0 src2=0
	flat_load_u8 v14 /*v270*/, v[18:19] offset:416
.LBB1626_30:
	s_wait_xcnt 0x0
	s_or_b32 exec_lo, exec_lo, s15
	s_set_vgpr_msb 0                        ;  msbs: dst=0 src0=0 src1=0 src2=0
	v_add_nc_u32_e32 v20, 0x1c0, v17
	s_set_vgpr_msb 4                        ;  msbs: dst=0 src0=0 src1=1 src2=0
	s_delay_alu instid0(VALU_DEP_1)
	v_cmp_lt_u32_e64 s15, v20, v12 /*v268*/
	s_and_saveexec_b32 s16, s15
	s_set_vgpr_msb 0                        ;  msbs: dst=0 src0=0 src1=0 src2=0
	s_cbranch_execz .LBB1626_32
; %bb.31:
	s_set_vgpr_msb 64                       ;  msbs: dst=1 src0=0 src1=0 src2=0
	flat_load_u8 v15 /*v271*/, v[18:19] offset:448
.LBB1626_32:
	s_wait_xcnt 0x0
	s_or_b32 exec_lo, exec_lo, s16
	s_set_vgpr_msb 0                        ;  msbs: dst=0 src0=0 src1=0 src2=0
	v_add_nc_u32_e32 v20, 0x1e0, v17
	s_set_vgpr_msb 4                        ;  msbs: dst=0 src0=0 src1=1 src2=0
	s_delay_alu instid0(VALU_DEP_1)
	v_cmp_lt_u32_e64 s16, v20, v12 /*v268*/
	s_and_saveexec_b32 s17, s16
	s_set_vgpr_msb 0                        ;  msbs: dst=0 src0=0 src1=0 src2=0
	s_cbranch_execz .LBB1626_34
; %bb.33:
	s_set_vgpr_msb 64                       ;  msbs: dst=1 src0=0 src1=0 src2=0
	flat_load_u8 v16 /*v272*/, v[18:19] offset:480
.LBB1626_34:
	s_wait_xcnt 0x0
	s_or_b32 exec_lo, exec_lo, s17
	s_set_vgpr_msb 0                        ;  msbs: dst=0 src0=0 src1=0 src2=0
	v_add_nc_u32_e32 v17, 0x200, v17
	s_set_vgpr_msb 4                        ;  msbs: dst=0 src0=0 src1=1 src2=0
	s_delay_alu instid0(VALU_DEP_1)
	v_cmp_lt_u32_e64 s17, v17, v12 /*v268*/
	s_and_saveexec_b32 s21, s17
	s_set_vgpr_msb 0                        ;  msbs: dst=0 src0=0 src1=0 src2=0
	s_cbranch_execz .LBB1626_36
; %bb.35:
	flat_load_u8 v15, v[18:19] offset:512
.LBB1626_36:
	s_wait_xcnt 0x0
	s_or_b32 exec_lo, exec_lo, s21
	v_lshl_add_u64 v[4:5], v[8:9], 3, v[4:5]
	v_dual_mov_b32 v19, 0 :: v_dual_lshlrev_b32 v18, 3, v16
                                        ; implicit-def: $vgpr80_vgpr81
	s_delay_alu instid0(VALU_DEP_1) | instskip(NEXT) | instid1(VALU_DEP_1)
	v_add_nc_u64_e32 v[4:5], v[4:5], v[18:19]
	v_lshl_add_u64 v[0:1], v[0:1], 3, v[4:5]
	s_and_saveexec_b32 s21, vcc_lo
	s_cbranch_execnz .LBB1626_204
; %bb.37:
	s_or_b32 exec_lo, exec_lo, s21
                                        ; implicit-def: $vgpr82_vgpr83
	s_and_saveexec_b32 s21, s0
	s_cbranch_execnz .LBB1626_205
.LBB1626_38:
	s_or_b32 exec_lo, exec_lo, s21
                                        ; implicit-def: $vgpr84_vgpr85
	s_and_saveexec_b32 s0, s1
	s_cbranch_execnz .LBB1626_206
.LBB1626_39:
	s_or_b32 exec_lo, exec_lo, s0
                                        ; implicit-def: $vgpr86_vgpr87
	s_and_saveexec_b32 s0, s2
	s_cbranch_execnz .LBB1626_207
.LBB1626_40:
	s_or_b32 exec_lo, exec_lo, s0
                                        ; implicit-def: $vgpr96_vgpr97
	s_and_saveexec_b32 s0, s3
	s_cbranch_execnz .LBB1626_208
.LBB1626_41:
	s_or_b32 exec_lo, exec_lo, s0
                                        ; implicit-def: $vgpr98_vgpr99
	s_and_saveexec_b32 s0, s4
	s_cbranch_execnz .LBB1626_209
.LBB1626_42:
	s_or_b32 exec_lo, exec_lo, s0
                                        ; implicit-def: $vgpr100_vgpr101
	s_and_saveexec_b32 s0, s5
	s_cbranch_execnz .LBB1626_210
.LBB1626_43:
	s_or_b32 exec_lo, exec_lo, s0
                                        ; implicit-def: $vgpr102_vgpr103
	s_and_saveexec_b32 s0, s6
	s_cbranch_execnz .LBB1626_211
.LBB1626_44:
	s_or_b32 exec_lo, exec_lo, s0
                                        ; implicit-def: $vgpr114_vgpr115
	s_and_saveexec_b32 s0, s7
	s_cbranch_execnz .LBB1626_212
.LBB1626_45:
	s_or_b32 exec_lo, exec_lo, s0
                                        ; implicit-def: $vgpr146_vgpr147
	s_and_saveexec_b32 s0, s10
	s_cbranch_execnz .LBB1626_213
.LBB1626_46:
	s_or_b32 exec_lo, exec_lo, s0
                                        ; implicit-def: $vgpr148_vgpr149
	s_and_saveexec_b32 s0, s11
	s_cbranch_execnz .LBB1626_214
.LBB1626_47:
	s_or_b32 exec_lo, exec_lo, s0
                                        ; implicit-def: $vgpr150_vgpr151
	s_and_saveexec_b32 s0, s12
	s_cbranch_execnz .LBB1626_215
.LBB1626_48:
	s_or_b32 exec_lo, exec_lo, s0
                                        ; implicit-def: $vgpr182_vgpr183
	s_and_saveexec_b32 s0, s13
	s_cbranch_execnz .LBB1626_216
.LBB1626_49:
	s_or_b32 exec_lo, exec_lo, s0
                                        ; implicit-def: $vgpr194_vgpr195
	s_and_saveexec_b32 s0, s14
	s_cbranch_execnz .LBB1626_217
.LBB1626_50:
	s_or_b32 exec_lo, exec_lo, s0
                                        ; implicit-def: $vgpr196_vgpr197
	s_and_saveexec_b32 s0, s15
	s_cbranch_execnz .LBB1626_218
.LBB1626_51:
	s_or_b32 exec_lo, exec_lo, s0
                                        ; implicit-def: $vgpr198_vgpr199
	s_and_saveexec_b32 s0, s16
	s_cbranch_execnz .LBB1626_219
.LBB1626_52:
	s_or_b32 exec_lo, exec_lo, s0
                                        ; implicit-def: $vgpr208_vgpr209
	s_and_saveexec_b32 s0, s17
	s_cbranch_execz .LBB1626_54
.LBB1626_53:
	flat_load_b64 v[208:209], v[0:1] offset:4096
.LBB1626_54:
	s_wait_xcnt 0x0
	s_or_b32 exec_lo, exec_lo, s0
	v_lshl_add_u32 v0, v14, 5, v12
	v_and_b32_e32 v1, 0x3e0, v14
	v_sub_co_u32 v19, s3, v16, 1
	v_and_b32_e32 v4, 15, v16
	s_set_vgpr_msb 64                       ;  msbs: dst=1 src0=0 src1=0 src2=0
	v_dual_add_nc_u32 v28 /*v284*/, 32, v0 :: v_dual_add_nc_u32 v29 /*v285*/, 36, v0
	v_dual_add_nc_u32 v30 /*v286*/, 40, v0 :: v_dual_add_nc_u32 v31 /*v287*/, 44, v0
	;; [unrolled: 1-line block ×4, first 2 shown]
	s_set_vgpr_msb 0                        ;  msbs: dst=0 src0=0 src1=0 src2=0
	v_mul_u32_u24_e32 v0, 17, v1
	v_min_u32_e32 v5, 0xe0, v1
	v_mov_b32_e32 v1, 0
	v_cmp_gt_i32_e64 s7, 0, v19
	v_and_b32_e32 v17, 16, v16
	v_or_b32_e32 v0, v16, v0
	s_get_pc_i64 s[0:1]
	s_add_nc_u64 s[0:1], s[0:1], _ZN7rocprim17ROCPRIM_400000_NS16block_radix_sortIbLj256ELj17ElLj1ELj1ELj8ELNS0_26block_radix_rank_algorithmE2ELNS0_18block_padding_hintE2ELNS0_4arch9wavefront6targetE0EE19radix_bits_per_passE@rel64+4
	v_cmp_eq_u32_e32 vcc_lo, 0, v4
	s_load_b32 s16, s[0:1], 0x0
	s_wait_xcnt 0x0
	v_cmp_lt_u32_e64 s0, 1, v4
	v_cmp_lt_u32_e64 s1, 3, v4
	;; [unrolled: 1-line block ×3, first 2 shown]
	v_dual_cndmask_b32 v20, v19, v16, s7 :: v_dual_bitop2_b32 v18, 31, v5 bitop3:0x54
	v_cmp_eq_u32_e64 s4, 0, v17
	v_lshrrev_b32_e32 v17, 3, v14
	v_add_nc_u64_e32 v[4:5], v[12:13], v[0:1]
	v_and_b32_e32 v16, 7, v16
	v_cmp_eq_u32_e64 s5, v14, v18
	s_set_vgpr_msb 64                       ;  msbs: dst=1 src0=0 src1=0 src2=0
	v_lshrrev_b32_e32 v36 /*v292*/, 5, v38
	v_cmp_gt_u32_e64 s6, 8, v14
	v_cmp_lt_u32_e64 s7, 31, v14
	v_cmp_eq_u32_e64 s11, 0, v16
	s_set_vgpr_msb 0                        ;  msbs: dst=0 src0=0 src1=0 src2=0
	v_mad_nc_u64_u32 v[18:19], v0, 7, v[4:5]
	v_and_b32_e32 v0, 0x7c, v17
	v_cmp_lt_u32_e64 s12, 1, v16
	v_cmp_lt_u32_e64 s13, 3, v16
	v_mov_b64_e32 v[16:17], 0
	v_lshlrev_b32_e32 v5, 2, v20
	v_cmp_eq_u32_e64 s10, 0, v14
	v_add_nc_u32_e32 v19, v12, v0
	s_set_vgpr_msb 64                       ;  msbs: dst=1 src0=0 src1=0 src2=0
	v_lshl_add_u32 v37 /*v293*/, v14, 2, v12
	v_sub_nc_u32_e32 v46 /*v302*/, v11, v10
	s_mov_b32 s17, 0
	v_add_nc_u32_e32 v38 /*v294*/, 0x900, v18
	v_add_nc_u32_e32 v39 /*v295*/, 0xa00, v18
	;; [unrolled: 1-line block ×8, first 2 shown]
	s_wait_storecnt 0x0
	s_wait_loadcnt_dscnt 0x0
	s_barrier_signal -1
	s_barrier_wait -1
	s_set_vgpr_msb 0                        ;  msbs: dst=0 src0=0 src1=0 src2=0
	s_branch .LBB1626_56
.LBB1626_55:                            ;   in Loop: Header=BB1626_56 Depth=1
	s_or_b32 exec_lo, exec_lo, s15
	s_delay_alu instid0(SALU_CYCLE_1) | instskip(NEXT) | instid1(SALU_CYCLE_1)
	s_and_b32 s14, exec_lo, s21
	s_or_b32 s17, s14, s17
	s_delay_alu instid0(SALU_CYCLE_1)
	s_and_not1_b32 exec_lo, exec_lo, s17
	s_cbranch_execz .LBB1626_98
.LBB1626_56:                            ; =>This Inner Loop Header: Depth=1
	s_wait_kmcnt 0x0
	s_set_vgpr_msb 4                        ;  msbs: dst=0 src0=0 src1=1 src2=0
	v_min_u32_e32 v0, s16, v46 /*v302*/
	v_and_b32_e32 v20, 0xff, v26 /*v282*/
	v_mov_b64_e32 v[68:69], v[82:83]
	v_mov_b64_e32 v[70:71], v[80:81]
	;; [unrolled: 1-line block ×3, first 2 shown]
	v_lshlrev_b32_e64 v82, v0, -1
	s_set_vgpr_msb 0                        ;  msbs: dst=0 src0=0 src1=0 src2=0
	v_lshrrev_b32_e32 v0, v10, v20
	v_mov_b64_e32 v[48:49], v[86:87]
	v_mov_b64_e32 v[36:37], v[96:97]
	;; [unrolled: 1-line block ×4, first 2 shown]
	v_bitop3_b32 v0, v0, v82, v0 bitop3:0x30
	v_mov_b64_e32 v[52:53], v[102:103]
	v_mov_b64_e32 v[30:31], v[114:115]
	;; [unrolled: 1-line block ×4, first 2 shown]
	v_add_co_u32 v26, s14, v0, -1
	s_delay_alu instid0(VALU_DEP_1)
	v_cndmask_b32_e64 v20, 0, 1, s14
	v_lshlrev_b32_e32 v0, 3, v0
	v_mov_b64_e32 v[64:65], v[150:151]
	v_mov_b64_e32 v[54:55], v[182:183]
	;; [unrolled: 1-line block ×3, first 2 shown]
	v_cmp_ne_u32_e64 s14, 0, v20
	s_set_vgpr_msb 4                        ;  msbs: dst=0 src0=0 src1=1 src2=0
	v_add_lshl_u32 v0, v0, v36 /*v292*/, 2
	v_mov_b64_e32 v[20:21], v[194:195]
	v_mov_b64_e32 v[22:23], v[198:199]
	s_set_vgpr_msb 1                        ;  msbs: dst=0 src0=1 src1=0 src2=0
	ds_store_b64 v28 /*v284*/, v[16:17]
	ds_store_b64 v30 /*v286*/, v[16:17]
	v_bitop3_b32 v83, s14, exec_lo, v26 bitop3:0x48
	s_set_vgpr_msb 0                        ;  msbs: dst=0 src0=0 src1=0 src2=0
	v_add_nc_u64_e32 v[80:81], v[12:13], v[0:1]
	v_mov_b64_e32 v[26:27], v[208:209]
	s_set_vgpr_msb 1                        ;  msbs: dst=0 src0=1 src1=0 src2=0
	ds_store_b64 v32 /*v288*/, v[16:17]
	ds_store_b64 v34 /*v290*/, v[16:17]
	s_wait_dscnt 0x0
	s_set_vgpr_msb 0                        ;  msbs: dst=0 src0=0 src1=0 src2=0
	v_mbcnt_lo_u32_b32 v0, v83, 0
	v_cmp_ne_u32_e64 s15, 0, v83
	s_barrier_signal -1
	v_add_nc_u64_e32 v[80:81], 32, v[80:81]
	s_barrier_wait -1
	v_cmp_eq_u32_e64 s14, 0, v0
	; wave barrier
	s_and_b32 s15, s15, s14
	s_delay_alu instid0(SALU_CYCLE_1)
	s_and_saveexec_b32 s14, s15
; %bb.57:                               ;   in Loop: Header=BB1626_56 Depth=1
	v_bcnt_u32_b32 v81, v83, 0
	ds_store_b32 v80, v81
; %bb.58:                               ;   in Loop: Header=BB1626_56 Depth=1
	s_or_b32 exec_lo, exec_lo, s14
	s_set_vgpr_msb 4                        ;  msbs: dst=0 src0=0 src1=1 src2=0
	v_and_b32_e32 v81, 0xff, v27 /*v283*/
	v_not_b32_e32 v113, v82
	; wave barrier
	s_set_vgpr_msb 16                       ;  msbs: dst=0 src0=0 src1=0 src2=1
	s_delay_alu instid0(VALU_DEP_2) | instskip(NEXT) | instid1(VALU_DEP_1)
	v_lshrrev_b32_e32 v81, v10, v81
	v_and_b32_e32 v81, v81, v113
	s_delay_alu instid0(VALU_DEP_1) | instskip(SKIP_1) | instid1(VALU_DEP_1)
	v_lshl_add_u32 v82, v81, 3, v36 /*v292*/
	v_add_co_u32 v83, s14, v81, -1
	v_cndmask_b32_e64 v81, 0, 1, s14
	s_set_vgpr_msb 0                        ;  msbs: dst=0 src0=0 src1=0 src2=0
	s_delay_alu instid0(VALU_DEP_3) | instskip(NEXT) | instid1(VALU_DEP_2)
	v_lshl_add_u32 v85, v82, 2, v12
	v_cmp_ne_u32_e64 s14, 0, v81
	ds_load_b32 v81, v85 offset:32
	; wave barrier
	v_bitop3_b32 v84, s14, exec_lo, v83 bitop3:0x48
	v_add_nc_u32_e32 v83, 32, v85
	s_delay_alu instid0(VALU_DEP_2) | instskip(SKIP_1) | instid1(VALU_DEP_2)
	v_mbcnt_lo_u32_b32 v82, v84, 0
	v_cmp_ne_u32_e64 s15, 0, v84
	v_cmp_eq_u32_e64 s14, 0, v82
	s_and_b32 s15, s15, s14
	s_delay_alu instid0(SALU_CYCLE_1)
	s_and_saveexec_b32 s14, s15
	s_cbranch_execz .LBB1626_60
; %bb.59:                               ;   in Loop: Header=BB1626_56 Depth=1
	s_wait_dscnt 0x0
	v_bcnt_u32_b32 v84, v84, v81
	ds_store_b32 v83, v84
.LBB1626_60:                            ;   in Loop: Header=BB1626_56 Depth=1
	s_or_b32 exec_lo, exec_lo, s14
	s_set_vgpr_msb 4                        ;  msbs: dst=0 src0=0 src1=1 src2=0
	v_and_b32_e32 v84, 0xff, v19 /*v275*/
	; wave barrier
	s_set_vgpr_msb 16                       ;  msbs: dst=0 src0=0 src1=0 src2=1
	s_delay_alu instid0(VALU_DEP_1) | instskip(NEXT) | instid1(VALU_DEP_1)
	v_lshrrev_b32_e32 v84, v10, v84
	v_and_b32_e32 v84, v84, v113
	s_delay_alu instid0(VALU_DEP_1) | instskip(SKIP_1) | instid1(VALU_DEP_1)
	v_lshl_add_u32 v85, v84, 3, v36 /*v292*/
	v_add_co_u32 v86, s14, v84, -1
	v_cndmask_b32_e64 v84, 0, 1, s14
	s_set_vgpr_msb 0                        ;  msbs: dst=0 src0=0 src1=0 src2=0
	s_delay_alu instid0(VALU_DEP_3) | instskip(NEXT) | instid1(VALU_DEP_2)
	v_lshl_add_u32 v96, v85, 2, v12
	v_cmp_ne_u32_e64 s14, 0, v84
	ds_load_b32 v84, v96 offset:32
	; wave barrier
	v_bitop3_b32 v87, s14, exec_lo, v86 bitop3:0x48
	v_add_nc_u32_e32 v86, 32, v96
	s_delay_alu instid0(VALU_DEP_2) | instskip(SKIP_1) | instid1(VALU_DEP_2)
	v_mbcnt_lo_u32_b32 v85, v87, 0
	v_cmp_ne_u32_e64 s15, 0, v87
	v_cmp_eq_u32_e64 s14, 0, v85
	s_and_b32 s15, s15, s14
	s_delay_alu instid0(SALU_CYCLE_1)
	s_and_saveexec_b32 s14, s15
	s_cbranch_execz .LBB1626_62
; %bb.61:                               ;   in Loop: Header=BB1626_56 Depth=1
	s_wait_dscnt 0x0
	v_bcnt_u32_b32 v87, v87, v84
	ds_store_b32 v86, v87
.LBB1626_62:                            ;   in Loop: Header=BB1626_56 Depth=1
	s_or_b32 exec_lo, exec_lo, s14
	s_set_vgpr_msb 4                        ;  msbs: dst=0 src0=0 src1=1 src2=0
	v_and_b32_e32 v87, 0xff, v23 /*v279*/
	; wave barrier
	s_set_vgpr_msb 16                       ;  msbs: dst=0 src0=0 src1=0 src2=1
	s_delay_alu instid0(VALU_DEP_1) | instskip(NEXT) | instid1(VALU_DEP_1)
	;; [unrolled: 33-line block ×7, first 2 shown]
	v_lshrrev_b32_e32 v117, v10, v117
	v_and_b32_e32 v117, v117, v113
	s_delay_alu instid0(VALU_DEP_1) | instskip(SKIP_1) | instid1(VALU_DEP_1)
	v_lshl_add_u32 v118, v117, 3, v36 /*v292*/
	v_add_co_u32 v117, s14, v117, -1
	v_cndmask_b32_e64 v119, 0, 1, s14
	s_set_vgpr_msb 0                        ;  msbs: dst=0 src0=0 src1=0 src2=0
	s_delay_alu instid0(VALU_DEP_3) | instskip(NEXT) | instid1(VALU_DEP_2)
	v_lshl_add_u32 v118, v118, 2, v12
	v_cmp_ne_u32_e64 s14, 0, v119
	ds_load_b32 v146, v118 offset:32
	v_add_nc_u32_e32 v118, 32, v118
	v_bitop3_b32 v117, s14, exec_lo, v117 bitop3:0x48
	; wave barrier
	s_delay_alu instid0(VALU_DEP_1) | instskip(SKIP_1) | instid1(VALU_DEP_2)
	v_mbcnt_lo_u32_b32 v147, v117, 0
	v_cmp_ne_u32_e64 s15, 0, v117
	v_cmp_eq_u32_e64 s14, 0, v147
	s_and_b32 s15, s15, s14
	s_delay_alu instid0(SALU_CYCLE_1)
	s_and_saveexec_b32 s14, s15
	s_cbranch_execz .LBB1626_74
; %bb.73:                               ;   in Loop: Header=BB1626_56 Depth=1
	s_wait_dscnt 0x0
	v_bcnt_u32_b32 v117, v117, v146
	ds_store_b32 v118, v117
.LBB1626_74:                            ;   in Loop: Header=BB1626_56 Depth=1
	s_or_b32 exec_lo, exec_lo, s14
	s_set_vgpr_msb 4                        ;  msbs: dst=0 src0=0 src1=1 src2=0
	v_and_b32_e32 v117, 0xff, v22 /*v278*/
	; wave barrier
	s_set_vgpr_msb 16                       ;  msbs: dst=0 src0=0 src1=0 src2=1
	s_delay_alu instid0(VALU_DEP_1) | instskip(NEXT) | instid1(VALU_DEP_1)
	v_lshrrev_b32_e32 v117, v10, v117
	v_and_b32_e32 v117, v117, v113
	s_delay_alu instid0(VALU_DEP_1) | instskip(SKIP_1) | instid1(VALU_DEP_1)
	v_lshl_add_u32 v119, v117, 3, v36 /*v292*/
	v_add_co_u32 v117, s14, v117, -1
	v_cndmask_b32_e64 v129, 0, 1, s14
	s_set_vgpr_msb 0                        ;  msbs: dst=0 src0=0 src1=0 src2=0
	s_delay_alu instid0(VALU_DEP_3) | instskip(NEXT) | instid1(VALU_DEP_2)
	v_lshl_add_u32 v119, v119, 2, v12
	v_cmp_ne_u32_e64 s14, 0, v129
	ds_load_b32 v148, v119 offset:32
	v_add_nc_u32_e32 v130, 32, v119
	v_bitop3_b32 v117, s14, exec_lo, v117 bitop3:0x48
	; wave barrier
	s_delay_alu instid0(VALU_DEP_1) | instskip(SKIP_1) | instid1(VALU_DEP_2)
	v_mbcnt_lo_u32_b32 v149, v117, 0
	v_cmp_ne_u32_e64 s15, 0, v117
	v_cmp_eq_u32_e64 s14, 0, v149
	s_and_b32 s15, s15, s14
	s_delay_alu instid0(SALU_CYCLE_1)
	s_and_saveexec_b32 s14, s15
	s_cbranch_execz .LBB1626_76
; %bb.75:                               ;   in Loop: Header=BB1626_56 Depth=1
	s_wait_dscnt 0x0
	v_bcnt_u32_b32 v117, v117, v148
	ds_store_b32 v130, v117
.LBB1626_76:                            ;   in Loop: Header=BB1626_56 Depth=1
	s_or_b32 exec_lo, exec_lo, s14
	s_set_vgpr_msb 4                        ;  msbs: dst=0 src0=0 src1=1 src2=0
	v_and_b32_e32 v117, 0xff, v21 /*v277*/
	; wave barrier
	s_set_vgpr_msb 16                       ;  msbs: dst=0 src0=0 src1=0 src2=1
	s_delay_alu instid0(VALU_DEP_1) | instskip(NEXT) | instid1(VALU_DEP_1)
	v_lshrrev_b32_e32 v117, v10, v117
	v_and_b32_e32 v117, v117, v113
	s_delay_alu instid0(VALU_DEP_1) | instskip(SKIP_1) | instid1(VALU_DEP_1)
	v_lshl_add_u32 v119, v117, 3, v36 /*v292*/
	v_add_co_u32 v117, s14, v117, -1
	v_cndmask_b32_e64 v129, 0, 1, s14
	s_set_vgpr_msb 0                        ;  msbs: dst=0 src0=0 src1=0 src2=0
	s_delay_alu instid0(VALU_DEP_3) | instskip(NEXT) | instid1(VALU_DEP_2)
	v_lshl_add_u32 v119, v119, 2, v12
	v_cmp_ne_u32_e64 s14, 0, v129
	ds_load_b32 v150, v119 offset:32
	v_add_nc_u32_e32 v132, 32, v119
	v_bitop3_b32 v117, s14, exec_lo, v117 bitop3:0x48
	; wave barrier
	s_delay_alu instid0(VALU_DEP_1) | instskip(SKIP_1) | instid1(VALU_DEP_2)
	v_mbcnt_lo_u32_b32 v151, v117, 0
	v_cmp_ne_u32_e64 s15, 0, v117
	v_cmp_eq_u32_e64 s14, 0, v151
	s_and_b32 s15, s15, s14
	s_delay_alu instid0(SALU_CYCLE_1)
	s_and_saveexec_b32 s14, s15
	s_cbranch_execz .LBB1626_78
; %bb.77:                               ;   in Loop: Header=BB1626_56 Depth=1
	s_wait_dscnt 0x0
	v_bcnt_u32_b32 v117, v117, v150
	ds_store_b32 v132, v117
.LBB1626_78:                            ;   in Loop: Header=BB1626_56 Depth=1
	s_or_b32 exec_lo, exec_lo, s14
	v_and_b32_e32 v117, 0xff, v39
	; wave barrier
	s_delay_alu instid0(VALU_DEP_1) | instskip(NEXT) | instid1(VALU_DEP_1)
	v_lshrrev_b32_e32 v117, v10, v117
	v_and_b32_e32 v117, v117, v113
	s_set_vgpr_msb 16                       ;  msbs: dst=0 src0=0 src1=0 src2=1
	s_delay_alu instid0(VALU_DEP_1) | instskip(SKIP_1) | instid1(VALU_DEP_1)
	v_lshl_add_u32 v119, v117, 3, v36 /*v292*/
	v_add_co_u32 v117, s14, v117, -1
	v_cndmask_b32_e64 v129, 0, 1, s14
	s_set_vgpr_msb 0                        ;  msbs: dst=0 src0=0 src1=0 src2=0
	s_delay_alu instid0(VALU_DEP_3) | instskip(NEXT) | instid1(VALU_DEP_2)
	v_lshl_add_u32 v119, v119, 2, v12
	v_cmp_ne_u32_e64 s14, 0, v129
	ds_load_b32 v164, v119 offset:32
	v_add_nc_u32_e32 v134, 32, v119
	v_bitop3_b32 v117, s14, exec_lo, v117 bitop3:0x48
	; wave barrier
	s_delay_alu instid0(VALU_DEP_1) | instskip(SKIP_1) | instid1(VALU_DEP_2)
	v_mbcnt_lo_u32_b32 v166, v117, 0
	v_cmp_ne_u32_e64 s15, 0, v117
	v_cmp_eq_u32_e64 s14, 0, v166
	s_and_b32 s15, s15, s14
	s_delay_alu instid0(SALU_CYCLE_1)
	s_and_saveexec_b32 s14, s15
	s_cbranch_execz .LBB1626_80
; %bb.79:                               ;   in Loop: Header=BB1626_56 Depth=1
	s_wait_dscnt 0x0
	v_bcnt_u32_b32 v117, v117, v164
	ds_store_b32 v134, v117
.LBB1626_80:                            ;   in Loop: Header=BB1626_56 Depth=1
	s_or_b32 exec_lo, exec_lo, s14
	s_set_vgpr_msb 4                        ;  msbs: dst=0 src0=0 src1=1 src2=0
	v_and_b32_e32 v117, 0xff, v13 /*v269*/
	; wave barrier
	s_set_vgpr_msb 16                       ;  msbs: dst=0 src0=0 src1=0 src2=1
	s_delay_alu instid0(VALU_DEP_1) | instskip(NEXT) | instid1(VALU_DEP_1)
	v_lshrrev_b32_e32 v117, v10, v117
	v_and_b32_e32 v117, v117, v113
	s_delay_alu instid0(VALU_DEP_1) | instskip(SKIP_1) | instid1(VALU_DEP_1)
	v_lshl_add_u32 v119, v117, 3, v36 /*v292*/
	v_add_co_u32 v117, s14, v117, -1
	v_cndmask_b32_e64 v129, 0, 1, s14
	s_set_vgpr_msb 0                        ;  msbs: dst=0 src0=0 src1=0 src2=0
	s_delay_alu instid0(VALU_DEP_3) | instskip(NEXT) | instid1(VALU_DEP_2)
	v_lshl_add_u32 v119, v119, 2, v12
	v_cmp_ne_u32_e64 s14, 0, v129
	ds_load_b32 v167, v119 offset:32
	v_add_nc_u32_e32 v160, 32, v119
	v_bitop3_b32 v117, s14, exec_lo, v117 bitop3:0x48
	; wave barrier
	s_delay_alu instid0(VALU_DEP_1) | instskip(SKIP_1) | instid1(VALU_DEP_2)
	v_mbcnt_lo_u32_b32 v176, v117, 0
	v_cmp_ne_u32_e64 s15, 0, v117
	v_cmp_eq_u32_e64 s14, 0, v176
	s_and_b32 s15, s15, s14
	s_delay_alu instid0(SALU_CYCLE_1)
	s_and_saveexec_b32 s14, s15
	s_cbranch_execz .LBB1626_82
; %bb.81:                               ;   in Loop: Header=BB1626_56 Depth=1
	s_wait_dscnt 0x0
	v_bcnt_u32_b32 v117, v117, v167
	ds_store_b32 v160, v117
.LBB1626_82:                            ;   in Loop: Header=BB1626_56 Depth=1
	s_or_b32 exec_lo, exec_lo, s14
	s_set_vgpr_msb 4                        ;  msbs: dst=0 src0=0 src1=1 src2=0
	v_and_b32_e32 v117, 0xff, v14 /*v270*/
	; wave barrier
	s_set_vgpr_msb 16                       ;  msbs: dst=0 src0=0 src1=0 src2=1
	s_delay_alu instid0(VALU_DEP_1) | instskip(NEXT) | instid1(VALU_DEP_1)
	v_lshrrev_b32_e32 v117, v10, v117
	v_and_b32_e32 v117, v117, v113
	s_delay_alu instid0(VALU_DEP_1) | instskip(SKIP_1) | instid1(VALU_DEP_1)
	v_lshl_add_u32 v119, v117, 3, v36 /*v292*/
	v_add_co_u32 v117, s14, v117, -1
	v_cndmask_b32_e64 v129, 0, 1, s14
	s_set_vgpr_msb 0                        ;  msbs: dst=0 src0=0 src1=0 src2=0
	s_delay_alu instid0(VALU_DEP_3) | instskip(NEXT) | instid1(VALU_DEP_2)
	v_lshl_add_u32 v119, v119, 2, v12
	v_cmp_ne_u32_e64 s14, 0, v129
	ds_load_b32 v177, v119 offset:32
	v_add_nc_u32_e32 v161, 32, v119
	v_bitop3_b32 v117, s14, exec_lo, v117 bitop3:0x48
	; wave barrier
	s_delay_alu instid0(VALU_DEP_1) | instskip(SKIP_1) | instid1(VALU_DEP_2)
	v_mbcnt_lo_u32_b32 v178, v117, 0
	v_cmp_ne_u32_e64 s15, 0, v117
	v_cmp_eq_u32_e64 s14, 0, v178
	s_and_b32 s15, s15, s14
	s_delay_alu instid0(SALU_CYCLE_1)
	s_and_saveexec_b32 s14, s15
	s_cbranch_execz .LBB1626_84
; %bb.83:                               ;   in Loop: Header=BB1626_56 Depth=1
	s_wait_dscnt 0x0
	v_bcnt_u32_b32 v117, v117, v177
	ds_store_b32 v161, v117
.LBB1626_84:                            ;   in Loop: Header=BB1626_56 Depth=1
	s_or_b32 exec_lo, exec_lo, s14
	s_set_vgpr_msb 4                        ;  msbs: dst=0 src0=0 src1=1 src2=0
	v_and_b32_e32 v117, 0xff, v15 /*v271*/
	; wave barrier
	s_set_vgpr_msb 16                       ;  msbs: dst=0 src0=0 src1=0 src2=1
	s_delay_alu instid0(VALU_DEP_1) | instskip(NEXT) | instid1(VALU_DEP_1)
	v_lshrrev_b32_e32 v117, v10, v117
	v_and_b32_e32 v117, v117, v113
	s_delay_alu instid0(VALU_DEP_1) | instskip(SKIP_1) | instid1(VALU_DEP_1)
	v_lshl_add_u32 v119, v117, 3, v36 /*v292*/
	v_add_co_u32 v117, s14, v117, -1
	v_cndmask_b32_e64 v129, 0, 1, s14
	s_set_vgpr_msb 0                        ;  msbs: dst=0 src0=0 src1=0 src2=0
	s_delay_alu instid0(VALU_DEP_3) | instskip(NEXT) | instid1(VALU_DEP_2)
	v_lshl_add_u32 v119, v119, 2, v12
	v_cmp_ne_u32_e64 s14, 0, v129
	ds_load_b32 v179, v119 offset:32
	v_add_nc_u32_e32 v162, 32, v119
	v_bitop3_b32 v117, s14, exec_lo, v117 bitop3:0x48
	; wave barrier
	s_delay_alu instid0(VALU_DEP_1) | instskip(SKIP_1) | instid1(VALU_DEP_2)
	v_mbcnt_lo_u32_b32 v181, v117, 0
	v_cmp_ne_u32_e64 s15, 0, v117
	v_cmp_eq_u32_e64 s14, 0, v181
	s_and_b32 s15, s15, s14
	s_delay_alu instid0(SALU_CYCLE_1)
	s_and_saveexec_b32 s14, s15
	s_cbranch_execz .LBB1626_86
; %bb.85:                               ;   in Loop: Header=BB1626_56 Depth=1
	s_wait_dscnt 0x0
	v_bcnt_u32_b32 v117, v117, v179
	ds_store_b32 v162, v117
.LBB1626_86:                            ;   in Loop: Header=BB1626_56 Depth=1
	s_or_b32 exec_lo, exec_lo, s14
	s_set_vgpr_msb 4                        ;  msbs: dst=0 src0=0 src1=1 src2=0
	v_and_b32_e32 v117, 0xff, v16 /*v272*/
	; wave barrier
	s_set_vgpr_msb 16                       ;  msbs: dst=0 src0=0 src1=0 src2=1
	s_delay_alu instid0(VALU_DEP_1) | instskip(NEXT) | instid1(VALU_DEP_1)
	v_lshrrev_b32_e32 v117, v10, v117
	v_and_b32_e32 v117, v117, v113
	s_delay_alu instid0(VALU_DEP_1) | instskip(SKIP_1) | instid1(VALU_DEP_1)
	v_lshl_add_u32 v119, v117, 3, v36 /*v292*/
	v_add_co_u32 v117, s14, v117, -1
	v_cndmask_b32_e64 v129, 0, 1, s14
	s_set_vgpr_msb 0                        ;  msbs: dst=0 src0=0 src1=0 src2=0
	s_delay_alu instid0(VALU_DEP_3) | instskip(NEXT) | instid1(VALU_DEP_2)
	v_lshl_add_u32 v119, v119, 2, v12
	v_cmp_ne_u32_e64 s14, 0, v129
	ds_load_b32 v182, v119 offset:32
	v_add_nc_u32_e32 v163, 32, v119
	v_bitop3_b32 v117, s14, exec_lo, v117 bitop3:0x48
	; wave barrier
	s_delay_alu instid0(VALU_DEP_1) | instskip(SKIP_1) | instid1(VALU_DEP_2)
	v_mbcnt_lo_u32_b32 v183, v117, 0
	v_cmp_ne_u32_e64 s15, 0, v117
	v_cmp_eq_u32_e64 s14, 0, v183
	s_and_b32 s15, s15, s14
	s_delay_alu instid0(SALU_CYCLE_1)
	s_and_saveexec_b32 s14, s15
	s_cbranch_execz .LBB1626_88
; %bb.87:                               ;   in Loop: Header=BB1626_56 Depth=1
	s_wait_dscnt 0x0
	v_bcnt_u32_b32 v117, v117, v182
	ds_store_b32 v163, v117
.LBB1626_88:                            ;   in Loop: Header=BB1626_56 Depth=1
	s_or_b32 exec_lo, exec_lo, s14
	v_and_b32_e32 v117, 0xff, v15
	; wave barrier
	s_delay_alu instid0(VALU_DEP_1) | instskip(NEXT) | instid1(VALU_DEP_1)
	v_lshrrev_b32_e32 v117, v10, v117
	v_and_b32_e32 v113, v117, v113
	s_set_vgpr_msb 16                       ;  msbs: dst=0 src0=0 src1=0 src2=1
	s_delay_alu instid0(VALU_DEP_1) | instskip(SKIP_1) | instid1(VALU_DEP_1)
	v_lshl_add_u32 v117, v113, 3, v36 /*v292*/
	v_add_co_u32 v113, s14, v113, -1
	v_cndmask_b32_e64 v119, 0, 1, s14
	s_set_vgpr_msb 0                        ;  msbs: dst=0 src0=0 src1=0 src2=0
	s_delay_alu instid0(VALU_DEP_3) | instskip(NEXT) | instid1(VALU_DEP_2)
	v_lshl_add_u32 v117, v117, 2, v12
	v_cmp_ne_u32_e64 s14, 0, v119
	ds_load_b32 v193, v117 offset:32
	v_add_nc_u32_e32 v165, 32, v117
	v_bitop3_b32 v113, s14, exec_lo, v113 bitop3:0x48
	; wave barrier
	s_delay_alu instid0(VALU_DEP_1) | instskip(SKIP_1) | instid1(VALU_DEP_2)
	v_mbcnt_lo_u32_b32 v194, v113, 0
	v_cmp_ne_u32_e64 s15, 0, v113
	v_cmp_eq_u32_e64 s14, 0, v194
	s_and_b32 s15, s15, s14
	s_delay_alu instid0(SALU_CYCLE_1)
	s_and_saveexec_b32 s14, s15
	s_cbranch_execz .LBB1626_90
; %bb.89:                               ;   in Loop: Header=BB1626_56 Depth=1
	s_wait_dscnt 0x0
	v_bcnt_u32_b32 v113, v113, v193
	ds_store_b32 v165, v113
.LBB1626_90:                            ;   in Loop: Header=BB1626_56 Depth=1
	s_or_b32 exec_lo, exec_lo, s14
	; wave barrier
	s_wait_dscnt 0x0
	s_barrier_signal -1
	s_barrier_wait -1
	s_set_vgpr_msb 1                        ;  msbs: dst=0 src0=1 src1=0 src2=0
	ds_load_b32 v133, v28 /*v284*/
	ds_load_b32 v131, v29 /*v285*/
	;; [unrolled: 1-line block ×8, first 2 shown]
	s_wait_dscnt 0x6
	s_set_vgpr_msb 0                        ;  msbs: dst=0 src0=0 src1=0 src2=0
	v_add_nc_u32_e32 v145, v131, v133
	s_wait_dscnt 0x4
	s_delay_alu instid0(VALU_DEP_1) | instskip(SKIP_1) | instid1(VALU_DEP_1)
	v_add3_u32 v145, v145, v119, v113
	s_wait_dscnt 0x2
	v_add3_u32 v145, v145, v117, v129
	s_wait_dscnt 0x0
	s_delay_alu instid0(VALU_DEP_1) | instskip(NEXT) | instid1(VALU_DEP_1)
	v_add3_u32 v135, v145, v180, v135
	v_mov_b32_dpp v145, v135 row_shr:1 row_mask:0xf bank_mask:0xf
	s_delay_alu instid0(VALU_DEP_1) | instskip(NEXT) | instid1(VALU_DEP_1)
	v_cndmask_b32_e64 v145, v145, 0, vcc_lo
	v_add_nc_u32_e32 v135, v145, v135
	s_delay_alu instid0(VALU_DEP_1) | instskip(NEXT) | instid1(VALU_DEP_1)
	v_mov_b32_dpp v145, v135 row_shr:2 row_mask:0xf bank_mask:0xf
	v_cndmask_b32_e64 v145, 0, v145, s0
	s_delay_alu instid0(VALU_DEP_1) | instskip(NEXT) | instid1(VALU_DEP_1)
	v_add_nc_u32_e32 v135, v135, v145
	v_mov_b32_dpp v145, v135 row_shr:4 row_mask:0xf bank_mask:0xf
	s_delay_alu instid0(VALU_DEP_1) | instskip(NEXT) | instid1(VALU_DEP_1)
	v_cndmask_b32_e64 v145, 0, v145, s1
	v_add_nc_u32_e32 v135, v135, v145
	s_delay_alu instid0(VALU_DEP_1) | instskip(NEXT) | instid1(VALU_DEP_1)
	v_mov_b32_dpp v145, v135 row_shr:8 row_mask:0xf bank_mask:0xf
	v_cndmask_b32_e64 v145, 0, v145, s2
	s_delay_alu instid0(VALU_DEP_1) | instskip(SKIP_3) | instid1(VALU_DEP_1)
	v_add_nc_u32_e32 v135, v135, v145
	ds_swizzle_b32 v145, v135 offset:swizzle(BROADCAST,32,15)
	s_wait_dscnt 0x0
	v_cndmask_b32_e64 v145, v145, 0, s4
	v_add_nc_u32_e32 v135, v135, v145
	s_and_saveexec_b32 s14, s5
; %bb.91:                               ;   in Loop: Header=BB1626_56 Depth=1
	ds_store_b32 v19, v135
; %bb.92:                               ;   in Loop: Header=BB1626_56 Depth=1
	s_or_b32 exec_lo, exec_lo, s14
	s_wait_dscnt 0x0
	s_barrier_signal -1
	s_barrier_wait -1
	s_and_saveexec_b32 s14, s6
	s_cbranch_execz .LBB1626_94
; %bb.93:                               ;   in Loop: Header=BB1626_56 Depth=1
	s_set_vgpr_msb 1                        ;  msbs: dst=0 src0=1 src1=0 src2=0
	ds_load_b32 v145, v37 /*v293*/
	s_wait_dscnt 0x0
	s_set_vgpr_msb 0                        ;  msbs: dst=0 src0=0 src1=0 src2=0
	v_mov_b32_dpp v192, v145 row_shr:1 row_mask:0xf bank_mask:0xf
	s_delay_alu instid0(VALU_DEP_1) | instskip(NEXT) | instid1(VALU_DEP_1)
	v_cndmask_b32_e64 v192, v192, 0, s11
	v_add_nc_u32_e32 v145, v192, v145
	s_delay_alu instid0(VALU_DEP_1) | instskip(NEXT) | instid1(VALU_DEP_1)
	v_mov_b32_dpp v192, v145 row_shr:2 row_mask:0xf bank_mask:0xf
	v_cndmask_b32_e64 v192, 0, v192, s12
	s_delay_alu instid0(VALU_DEP_1) | instskip(NEXT) | instid1(VALU_DEP_1)
	v_add_nc_u32_e32 v145, v145, v192
	v_mov_b32_dpp v192, v145 row_shr:4 row_mask:0xf bank_mask:0xf
	s_delay_alu instid0(VALU_DEP_1) | instskip(NEXT) | instid1(VALU_DEP_1)
	v_cndmask_b32_e64 v192, 0, v192, s13
	v_add_nc_u32_e32 v145, v145, v192
	s_set_vgpr_msb 1                        ;  msbs: dst=0 src0=1 src1=0 src2=0
	ds_store_b32 v37 /*v293*/, v145
.LBB1626_94:                            ;   in Loop: Header=BB1626_56 Depth=1
	s_or_b32 exec_lo, exec_lo, s14
	s_set_vgpr_msb 0                        ;  msbs: dst=0 src0=0 src1=0 src2=0
	v_mov_b32_e32 v145, 0
	s_wait_dscnt 0x0
	s_barrier_signal -1
	s_barrier_wait -1
	s_and_saveexec_b32 s14, s7
; %bb.95:                               ;   in Loop: Header=BB1626_56 Depth=1
	v_add_nc_u32_e32 v145, -4, v19
	ds_load_b32 v145, v145
; %bb.96:                               ;   in Loop: Header=BB1626_56 Depth=1
	s_or_b32 exec_lo, exec_lo, s14
	s_wait_dscnt 0x0
	v_dual_add_nc_u32 v135, v145, v135 :: v_dual_add_nc_u32 v10, 8, v10
	s_set_vgpr_msb 0x41                     ;  msbs: dst=1 src0=1 src1=0 src2=0
	v_dual_mov_b32 v47 /*v303*/, v26 /*v282*/ :: v_dual_mov_b32 v48 /*v304*/, v27 /*v283*/
	v_dual_mov_b32 v49 /*v305*/, v19 /*v275*/ :: v_dual_mov_b32 v50 /*v306*/, v23 /*v279*/
	s_set_vgpr_msb 0                        ;  msbs: dst=0 src0=0 src1=0 src2=0
	ds_bpermute_b32 v135, v5, v135
	s_set_vgpr_msb 0x41                     ;  msbs: dst=1 src0=1 src1=0 src2=0
	v_dual_mov_b32 v51 /*v307*/, v24 /*v280*/ :: v_dual_mov_b32 v52 /*v308*/, v25 /*v281*/
	v_dual_mov_b32 v53 /*v309*/, v17 /*v273*/ :: v_dual_mov_b32 v54 /*v310*/, v18 /*v274*/
	;; [unrolled: 1-line block ×4, first 2 shown]
	s_set_vgpr_msb 64                       ;  msbs: dst=1 src0=0 src1=0 src2=0
	v_mov_b32_e32 v58 /*v314*/, v39
	s_set_vgpr_msb 0x41                     ;  msbs: dst=1 src0=1 src1=0 src2=0
	v_dual_mov_b32 v60 /*v316*/, v14 /*v270*/ :: v_dual_mov_b32 v61 /*v317*/, v15 /*v271*/
	v_mov_b32_e32 v62 /*v318*/, v16 /*v272*/
	s_mov_b32 s21, -1
	s_mov_b32 s15, exec_lo
	s_wait_dscnt 0x0
	s_set_vgpr_msb 0                        ;  msbs: dst=0 src0=0 src1=0 src2=0
	v_cndmask_b32_e64 v135, v135, v145, s3
	s_delay_alu instid0(VALU_DEP_1) | instskip(NEXT) | instid1(VALU_DEP_1)
	v_cndmask_b32_e64 v192, v135, 0, s10
	v_dual_mov_b32 v135, v1 :: v_dual_add_nc_u32 v195, v192, v133
	s_delay_alu instid0(VALU_DEP_1) | instskip(NEXT) | instid1(VALU_DEP_1)
	v_dual_mov_b32 v133, v1 :: v_dual_add_nc_u32 v196, v195, v131
	v_dual_mov_b32 v131, v1 :: v_dual_add_nc_u32 v197, v196, v119
	v_mov_b32_e32 v119, v1
	s_delay_alu instid0(VALU_DEP_2)
	v_add_nc_u32_e32 v198, v197, v113
	s_set_vgpr_msb 1                        ;  msbs: dst=0 src0=1 src1=0 src2=0
	ds_store_b32 v28 /*v284*/, v192
	ds_store_b32 v29 /*v285*/, v195
	;; [unrolled: 1-line block ×3, first 2 shown]
	s_set_vgpr_msb 0                        ;  msbs: dst=0 src0=0 src1=0 src2=0
	v_dual_mov_b32 v113, v1 :: v_dual_add_nc_u32 v199, v198, v117
	v_dual_mov_b32 v117, v1 :: v_dual_mov_b32 v145, v1
	s_delay_alu instid0(VALU_DEP_2) | instskip(NEXT) | instid1(VALU_DEP_1)
	v_dual_mov_b32 v129, v1 :: v_dual_add_nc_u32 v208, v199, v129
	v_add_nc_u32_e32 v180, v208, v180
	s_set_vgpr_msb 1                        ;  msbs: dst=0 src0=1 src1=0 src2=0
	ds_store_b32 v31 /*v287*/, v197
	ds_store_b32 v32 /*v288*/, v198
	;; [unrolled: 1-line block ×5, first 2 shown]
	s_wait_dscnt 0x0
	s_barrier_signal -1
	s_barrier_wait -1
	s_set_vgpr_msb 0                        ;  msbs: dst=0 src0=0 src1=0 src2=0
	ds_load_b32 v80, v80
	ds_load_b32 v83, v83
	;; [unrolled: 1-line block ×17, first 2 shown]
	v_dual_mov_b32 v161, v1 :: v_dual_mov_b32 v163, v1
	s_wait_dscnt 0x10
	v_dual_mov_b32 v165, v1 :: v_dual_add_nc_u32 v0, v80, v0
	s_wait_dscnt 0xf
	v_add3_u32 v118, v82, v81, v83
	s_wait_dscnt 0xe
	v_add3_u32 v132, v85, v84, v86
	;; [unrolled: 2-line block ×16, first 2 shown]
	v_dual_mov_b32 v193, v1 :: v_dual_mov_b32 v181, v1
	v_dual_mov_b32 v179, v1 :: v_dual_mov_b32 v177, v1
	v_mov_b32_e32 v167, v1
	v_add_nc_u64_e32 v[210:211], v[12:13], v[0:1]
	v_add_nc_u64_e32 v[212:213], v[12:13], v[118:119]
	;; [unrolled: 1-line block ×11, first 2 shown]
	s_set_vgpr_msb 64                       ;  msbs: dst=1 src0=0 src1=0 src2=0
	v_add_nc_u64_e32 v[0:1] /*v[256:257]*/, v[12:13], v[164:165]
	v_add_nc_u64_e32 v[2:3] /*v[258:259]*/, v[12:13], v[192:193]
	;; [unrolled: 1-line block ×5, first 2 shown]
	s_set_vgpr_msb 0                        ;  msbs: dst=0 src0=0 src1=0 src2=0
	v_mov_b32_e32 v113, v15
	s_set_vgpr_msb 64                       ;  msbs: dst=1 src0=0 src1=0 src2=0
	v_add_nc_u64_e32 v[10:11] /*v[266:267]*/, v[12:13], v[166:167]
                                        ; implicit-def: $vgpr80_vgpr81
                                        ; implicit-def: $vgpr82_vgpr83
                                        ; implicit-def: $vgpr84_vgpr85
                                        ; implicit-def: $vgpr86_vgpr87
                                        ; implicit-def: $vgpr96_vgpr97
                                        ; implicit-def: $vgpr98_vgpr99
                                        ; implicit-def: $vgpr100_vgpr101
                                        ; implicit-def: $vgpr102_vgpr103
                                        ; implicit-def: $vgpr114_vgpr115
                                        ; implicit-def: $vgpr146_vgpr147
                                        ; implicit-def: $vgpr148_vgpr149
                                        ; implicit-def: $vgpr150_vgpr151
                                        ; implicit-def: $vgpr182_vgpr183
                                        ; implicit-def: $vgpr194_vgpr195
                                        ; implicit-def: $vgpr196_vgpr197
                                        ; implicit-def: $vgpr198_vgpr199
                                        ; implicit-def: $vgpr208_vgpr209
	v_cmpx_lt_u32_e64 v10, v11
	s_set_vgpr_msb 0                        ;  msbs: dst=0 src0=0 src1=0 src2=0
	s_cbranch_execz .LBB1626_55
; %bb.97:                               ;   in Loop: Header=BB1626_56 Depth=1
	s_barrier_signal -1
	s_barrier_wait -1
	s_set_vgpr_msb 4                        ;  msbs: dst=0 src0=0 src1=1 src2=0
	ds_store_b8 v210, v26 /*v282*/
	ds_store_b8 v212, v27 /*v283*/
	;; [unrolled: 1-line block ×11, first 2 shown]
	s_set_vgpr_msb 1                        ;  msbs: dst=0 src0=1 src1=0 src2=0
	ds_store_b8 v0 /*v256*/, v39
	s_set_vgpr_msb 5                        ;  msbs: dst=0 src0=1 src1=1 src2=0
	ds_store_b8 v2 /*v258*/, v13 /*v269*/
	ds_store_b8 v4 /*v260*/, v14 /*v270*/
	ds_store_b8 v6 /*v262*/, v15 /*v271*/
	ds_store_b8 v8 /*v264*/, v16 /*v272*/
	s_set_vgpr_msb 1                        ;  msbs: dst=0 src0=1 src1=0 src2=0
	ds_store_b8 v10 /*v266*/, v15
	v_add_nc_u32_e32 v15, 0x200, v4
	v_add_nc_u32_e32 v39, 0x1e0, v4
	;; [unrolled: 1-line block ×6, first 2 shown]
	s_wait_dscnt 0x0
	s_barrier_signal -1
	s_barrier_wait -1
	s_set_vgpr_msb 0                        ;  msbs: dst=0 src0=0 src1=0 src2=0
	ds_load_u8 v15, v15
	s_set_vgpr_msb 64                       ;  msbs: dst=1 src0=0 src1=0 src2=0
	ds_load_u8 v16 /*v272*/, v39
	ds_load_u8 v15 /*v271*/, v80
	;; [unrolled: 1-line block ×4, first 2 shown]
	s_set_vgpr_msb 0                        ;  msbs: dst=0 src0=0 src1=0 src2=0
	ds_load_u8 v39, v83
	v_add_nc_u32_e32 v80, 0x140, v4
	v_add_nc_u32_e32 v81, 0x120, v4
	v_add_nc_u32_e32 v82, 0x100, v4
	v_add_nc_u32_e32 v83, 0xe0, v4
	v_add_nc_u32_e32 v84, 0xc0, v4
	s_set_vgpr_msb 64                       ;  msbs: dst=1 src0=0 src1=0 src2=0
	ds_load_u8 v21 /*v277*/, v80
	ds_load_u8 v22 /*v278*/, v81
	;; [unrolled: 1-line block ×5, first 2 shown]
	s_set_vgpr_msb 0                        ;  msbs: dst=0 src0=0 src1=0 src2=0
	v_add_nc_u32_e32 v80, 0xa0, v4
	v_add_nc_u32_e32 v81, 0x80, v4
	;; [unrolled: 1-line block ×3, first 2 shown]
	v_dual_add_nc_u32 v83, 64, v4 :: v_dual_add_nc_u32 v84, 32, v4
	s_set_vgpr_msb 64                       ;  msbs: dst=1 src0=0 src1=0 src2=0
	ds_load_u8 v25 /*v281*/, v80
	ds_load_u8 v24 /*v280*/, v81
	;; [unrolled: 1-line block ×5, first 2 shown]
	s_set_vgpr_msb 0                        ;  msbs: dst=0 src0=0 src1=0 src2=0
	v_mad_nc_u64_u32 v[80:81], v0, 7, v[210:211]
	v_mad_nc_u64_u32 v[82:83], v118, 7, v[212:213]
	;; [unrolled: 1-line block ×6, first 2 shown]
	s_set_vgpr_msb 64                       ;  msbs: dst=1 src0=0 src1=0 src2=0
	ds_load_u8 v26 /*v282*/, v4
	s_wait_dscnt 0x0
	s_barrier_signal -1
	s_barrier_wait -1
	ds_store_b64 v80, v[70:71]
	ds_store_b64 v82, v[68:69]
	;; [unrolled: 1-line block ×6, first 2 shown]
	s_set_vgpr_msb 0                        ;  msbs: dst=0 src0=0 src1=0 src2=0
	v_mad_nc_u64_u32 v[80:81], v134, 7, v[230:231]
	v_mad_nc_u64_u32 v[82:83], v144, 7, v[240:241]
	;; [unrolled: 1-line block ×5, first 2 shown]
	s_set_vgpr_msb 16                       ;  msbs: dst=0 src0=0 src1=0 src2=1
	v_mad_nc_u64_u32 v[98:99], v164, 7, v[0:1] /*v[256:257]*/
	v_mad_nc_u64_u32 v[100:101], v192, 7, v[2:3] /*v[258:259]*/
	;; [unrolled: 1-line block ×6, first 2 shown]
	ds_store_b64 v80, v[32:33]
	ds_store_b64 v82, v[52:53]
	;; [unrolled: 1-line block ×11, first 2 shown]
	v_add_nc_u32_e32 v96, 0x400, v18
	v_add_nc_u32_e32 v82, 0x100, v18
	;; [unrolled: 1-line block ×8, first 2 shown]
	s_wait_dscnt 0x0
	s_barrier_signal -1
	s_barrier_wait -1
	ds_load_b64 v[80:81], v18
	ds_load_b64 v[82:83], v82
	;; [unrolled: 1-line block ×9, first 2 shown]
	s_set_vgpr_msb 1                        ;  msbs: dst=0 src0=1 src1=0 src2=0
	ds_load_b64 v[146:147], v38 /*v294*/
	ds_load_b64 v[148:149], v39 /*v295*/
	;; [unrolled: 1-line block ×8, first 2 shown]
	s_set_vgpr_msb 0x44                     ;  msbs: dst=1 src0=0 src1=1 src2=0
	v_add_nc_u32_e32 v46 /*v302*/, -8, v46 /*v302*/
	s_xor_b32 s21, exec_lo, -1
	s_wait_dscnt 0x0
	s_barrier_signal -1
	s_barrier_wait -1
	s_set_vgpr_msb 0                        ;  msbs: dst=0 src0=0 src1=0 src2=0
	s_branch .LBB1626_55
.LBB1626_98:
	s_or_b32 exec_lo, exec_lo, s17
	v_dual_add_nc_u32 v1, v12, v14 :: v_dual_mov_b32 v39, 0
	v_lshl_add_u32 v0, v0, 3, v12
	v_lshl_add_u32 v10, v118, 3, v12
	;; [unrolled: 1-line block ×3, first 2 shown]
	s_barrier_signal -1
	s_barrier_wait -1
	s_set_vgpr_msb 4                        ;  msbs: dst=0 src0=0 src1=1 src2=0
	ds_store_b8 v210, v47 /*v303*/
	ds_store_b8 v212, v48 /*v304*/
	;; [unrolled: 1-line block ×11, first 2 shown]
	s_set_vgpr_msb 5                        ;  msbs: dst=0 src0=1 src1=1 src2=0
	ds_store_b8 v0 /*v256*/, v58 /*v314*/
	ds_store_b8 v2 /*v258*/, v59 /*v315*/
	;; [unrolled: 1-line block ×5, first 2 shown]
	s_set_vgpr_msb 1                        ;  msbs: dst=0 src0=1 src1=0 src2=0
	ds_store_b8 v10 /*v266*/, v113
	s_wait_dscnt 0x0
	s_barrier_signal -1
	s_barrier_wait -1
	s_set_vgpr_msb 0                        ;  msbs: dst=0 src0=0 src1=0 src2=0
	ds_load_u8 v102, v1
	ds_load_u8 v101, v1 offset:256
	ds_load_u8 v100, v1 offset:512
	;; [unrolled: 1-line block ×16, first 2 shown]
	s_wait_dscnt 0x0
	s_barrier_signal -1
	s_barrier_wait -1
	ds_store_b64 v0, v[70:71]
	ds_store_b64 v10, v[68:69]
	;; [unrolled: 1-line block ×3, first 2 shown]
	v_lshl_add_u32 v0, v112, 3, v12
	v_lshl_add_u32 v10, v116, 3, v12
	;; [unrolled: 1-line block ×5, first 2 shown]
	ds_store_b64 v0, v[48:49]
	ds_store_b64 v10, v[36:37]
	;; [unrolled: 1-line block ×5, first 2 shown]
	v_lshl_add_u32 v0, v128, 3, v12
	v_lshl_add_u32 v10, v160, 3, v12
	;; [unrolled: 1-line block ×5, first 2 shown]
	ds_store_b64 v0, v[30:31]
	ds_store_b64 v10, v[28:29]
	ds_store_b64 v11, v[50:51]
	ds_store_b64 v13, v[64:65]
	ds_store_b64 v15, v[54:55]
	v_lshl_add_u32 v0, v180, 3, v12
	v_mul_u32_u24_e32 v13, 7, v14
	v_lshl_add_u32 v10, v178, 3, v12
	v_lshl_add_u32 v11, v176, 3, v12
	v_lshl_add_u32 v12, v166, 3, v12
	ds_store_b64 v0, v[20:21]
	ds_store_b64 v10, v[24:25]
	;; [unrolled: 1-line block ×4, first 2 shown]
	v_add_nc_u32_e32 v0, v1, v13
	s_wait_dscnt 0x0
	s_barrier_signal -1
	s_barrier_wait -1
	ds_load_2addr_stride64_b64 v[48:51], v0 offset1:4
	ds_load_2addr_stride64_b64 v[34:37], v0 offset0:8 offset1:12
	ds_load_2addr_stride64_b64 v[30:33], v0 offset0:16 offset1:20
	;; [unrolled: 1-line block ×7, first 2 shown]
	ds_load_b64 v[0:1], v0 offset:32768
	v_add_nc_u64_e32 v[2:3], v[2:3], v[8:9]
	s_set_vgpr_msb 4                        ;  msbs: dst=0 src0=0 src1=1 src2=0
	v_cmp_lt_u32_e32 vcc_lo, v38, v12 /*v268*/
	s_wait_dscnt 0x0
	s_barrier_signal -1
	s_barrier_wait -1
	s_set_vgpr_msb 0                        ;  msbs: dst=0 src0=0 src1=0 src2=0
	v_add_nc_u64_e32 v[2:3], v[2:3], v[38:39]
	s_and_saveexec_b32 s0, vcc_lo
	s_cbranch_execz .LBB1626_100
; %bb.99:
	flat_store_b8 v[2:3], v102
.LBB1626_100:
	s_wait_xcnt 0x0
	s_or_b32 exec_lo, exec_lo, s0
	v_add_nc_u32_e32 v52, 0x100, v38
	s_set_vgpr_msb 4                        ;  msbs: dst=0 src0=0 src1=1 src2=0
	s_delay_alu instid0(VALU_DEP_1)
	v_cmp_lt_u32_e64 s0, v52, v12 /*v268*/
	s_and_saveexec_b32 s1, s0
	s_set_vgpr_msb 0                        ;  msbs: dst=0 src0=0 src1=0 src2=0
	s_cbranch_execz .LBB1626_102
; %bb.101:
	flat_store_b8 v[2:3], v101 offset:256
.LBB1626_102:
	s_wait_xcnt 0x0
	s_or_b32 exec_lo, exec_lo, s1
	v_add_nc_u32_e32 v52, 0x200, v38
	s_set_vgpr_msb 4                        ;  msbs: dst=0 src0=0 src1=1 src2=0
	s_delay_alu instid0(VALU_DEP_1)
	v_cmp_lt_u32_e64 s1, v52, v12 /*v268*/
	s_and_saveexec_b32 s2, s1
	s_set_vgpr_msb 0                        ;  msbs: dst=0 src0=0 src1=0 src2=0
	s_cbranch_execz .LBB1626_104
; %bb.103:
	flat_store_b8 v[2:3], v100 offset:512
.LBB1626_104:
	;; [unrolled: 12-line block ×16, first 2 shown]
	s_wait_xcnt 0x0
	s_or_b32 exec_lo, exec_lo, s21
	v_lshl_add_u64 v[2:3], v[8:9], 3, v[6:7]
	s_delay_alu instid0(VALU_DEP_1)
	v_lshl_add_u64 v[2:3], v[38:39], 3, v[2:3]
	s_and_saveexec_b32 s21, vcc_lo
	s_cbranch_execnz .LBB1626_220
; %bb.133:
	s_or_b32 exec_lo, exec_lo, s21
	s_and_saveexec_b32 s21, s0
	s_cbranch_execnz .LBB1626_221
.LBB1626_134:
	s_or_b32 exec_lo, exec_lo, s21
	s_and_saveexec_b32 s0, s1
	s_cbranch_execnz .LBB1626_222
.LBB1626_135:
	s_or_b32 exec_lo, exec_lo, s0
	s_and_saveexec_b32 s0, s2
	s_cbranch_execnz .LBB1626_223
.LBB1626_136:
	s_or_b32 exec_lo, exec_lo, s0
	s_and_saveexec_b32 s0, s3
	s_cbranch_execnz .LBB1626_224
.LBB1626_137:
	s_or_b32 exec_lo, exec_lo, s0
	s_and_saveexec_b32 s0, s4
	s_cbranch_execnz .LBB1626_225
.LBB1626_138:
	s_or_b32 exec_lo, exec_lo, s0
	s_and_saveexec_b32 s0, s5
	s_cbranch_execnz .LBB1626_226
.LBB1626_139:
	s_or_b32 exec_lo, exec_lo, s0
	s_and_saveexec_b32 s0, s6
	s_cbranch_execnz .LBB1626_227
.LBB1626_140:
	s_or_b32 exec_lo, exec_lo, s0
	s_and_saveexec_b32 s0, s7
	s_cbranch_execnz .LBB1626_228
.LBB1626_141:
	s_or_b32 exec_lo, exec_lo, s0
	s_and_saveexec_b32 s0, s10
	s_cbranch_execnz .LBB1626_229
.LBB1626_142:
	s_or_b32 exec_lo, exec_lo, s0
	s_and_saveexec_b32 s0, s11
	s_cbranch_execnz .LBB1626_230
.LBB1626_143:
	s_or_b32 exec_lo, exec_lo, s0
	s_and_saveexec_b32 s0, s12
	s_cbranch_execnz .LBB1626_231
.LBB1626_144:
	s_or_b32 exec_lo, exec_lo, s0
	s_and_saveexec_b32 s0, s13
	s_cbranch_execnz .LBB1626_232
.LBB1626_145:
	s_or_b32 exec_lo, exec_lo, s0
	s_and_saveexec_b32 s0, s14
	s_cbranch_execnz .LBB1626_233
.LBB1626_146:
	s_or_b32 exec_lo, exec_lo, s0
	s_and_saveexec_b32 s0, s15
	s_cbranch_execnz .LBB1626_234
.LBB1626_147:
	s_or_b32 exec_lo, exec_lo, s0
	s_and_saveexec_b32 s0, s16
	s_cbranch_execnz .LBB1626_235
.LBB1626_148:
	s_or_b32 exec_lo, exec_lo, s0
	s_and_saveexec_b32 s0, s17
	s_cbranch_execz .LBB1626_150
.LBB1626_149:
	flat_store_b64 v[2:3], v[0:1] offset:32768
.LBB1626_150:
	s_wait_xcnt 0x0
	s_or_b32 exec_lo, exec_lo, s0
                                        ; implicit-def: $vgpr268
                                        ; implicit-def: $vgpr8
                                        ; implicit-def: $vgpr10
                                        ; implicit-def: $vgpr11
                                        ; implicit-def: $vgpr0_vgpr1
                                        ; implicit-def: $vgpr2_vgpr3
                                        ; implicit-def: $vgpr4_vgpr5
                                        ; implicit-def: $vgpr6_vgpr7
                                        ; implicit-def: $vgpr12_vgpr13
                                        ; implicit-def: $vgpr9
                                        ; implicit-def: $vgpr15
                                        ; implicit-def: $vgpr14
                                        ; implicit-def: $vgpr16
.LBB1626_151:
	s_and_not1_saveexec_b32 s0, s20
	s_cbranch_execz .LBB1626_382
; %bb.152:
	s_mov_b32 s0, exec_lo
	s_set_vgpr_msb 4                        ;  msbs: dst=0 src0=0 src1=1 src2=0
	v_cmpx_lt_u32_e32 0x400, v12 /*v268*/
	s_xor_b32 s16, exec_lo, s0
	s_set_vgpr_msb 0                        ;  msbs: dst=0 src0=0 src1=0 src2=0
	s_cbranch_execz .LBB1626_262
; %bb.153:
	s_load_b64 s[0:1], s[8:9], 0x0
	s_bfe_u32 s3, ttmp6, 0x4000c
	s_bfe_u32 s5, ttmp6, 0x40010
	s_and_b32 s4, ttmp7, 0xffff
	s_add_co_i32 s3, s3, 1
	s_add_co_i32 s5, s5, 1
	s_and_b32 s2, ttmp6, 15
	s_bfe_u32 s6, ttmp6, 0x40004
	s_mul_i32 s3, ttmp9, s3
	s_mul_i32 s5, s4, s5
	s_add_co_i32 s2, s2, s3
	s_add_co_i32 s6, s6, s5
	s_cmp_eq_u32 s19, 0
	s_mov_b32 s3, 0
	s_cselect_b32 s2, ttmp9, s2
	s_cselect_b32 s4, s4, s6
	v_dual_mov_b32 v27, 1 :: v_dual_mov_b32 v128, 1
	v_dual_mov_b32 v131, 1 :: v_dual_mov_b32 v129, 1
	s_wait_kmcnt 0x0
	s_cmp_lt_u32 s2, s0
	v_dual_mov_b32 v130, 1 :: v_dual_mov_b32 v132, 1
	s_cselect_b32 s2, 12, 18
	s_cmp_lt_u32 s4, s1
	s_mov_b32 s1, s3
	s_cselect_b32 s0, 14, 20
	s_delay_alu instid0(SALU_CYCLE_1)
	s_add_nc_u64 s[0:1], s[8:9], s[0:1]
	s_load_u16 s4, s[0:1], 0x0
	s_wait_xcnt 0x0
	s_add_nc_u64 s[0:1], s[8:9], s[2:3]
	s_load_u16 s0, s[0:1], 0x0
	s_wait_kmcnt 0x0
	v_mad_u32_u24 v9, v15, s4, v9
	v_mov_b32_e32 v15, 1
	s_delay_alu instid0(VALU_DEP_2) | instskip(SKIP_1) | instid1(VALU_DEP_1)
	v_mad_u32 v26, v9, s0, v14
	v_mov_b32_e32 v9, 0
	v_add_nc_u64_e32 v[18:19], v[0:1], v[8:9]
	s_delay_alu instid0(VALU_DEP_3) | instskip(NEXT) | instid1(VALU_DEP_1)
	v_dual_mov_b32 v17, v9 :: v_dual_lshlrev_b32 v0, 3, v26
	v_and_b32_e32 v0, 0xffffff00, v0
	s_delay_alu instid0(VALU_DEP_2) | instskip(NEXT) | instid1(VALU_DEP_2)
	v_add_nc_u64_e32 v[18:19], v[18:19], v[16:17]
	v_dual_mov_b32 v1, v9 :: v_dual_bitop2_b32 v17, v0, v16 bitop3:0x54
	s_delay_alu instid0(VALU_DEP_1) | instskip(SKIP_1) | instid1(VALU_DEP_2)
	v_add_nc_u64_e32 v[18:19], v[18:19], v[0:1]
	s_set_vgpr_msb 4                        ;  msbs: dst=0 src0=0 src1=1 src2=0
	v_cmp_lt_u32_e32 vcc_lo, v17, v12 /*v268*/
	s_and_saveexec_b32 s0, vcc_lo
	s_set_vgpr_msb 0                        ;  msbs: dst=0 src0=0 src1=0 src2=0
	s_cbranch_execz .LBB1626_155
; %bb.154:
	flat_load_u8 v27, v[18:19]
	v_dual_mov_b32 v128, 1 :: v_dual_mov_b32 v131, 1
	v_dual_mov_b32 v129, 1 :: v_dual_mov_b32 v130, 1
	v_mov_b32_e32 v132, 1
.LBB1626_155:
	s_wait_xcnt 0x0
	s_or_b32 exec_lo, exec_lo, s0
	v_dual_mov_b32 v133, v15 :: v_dual_bitop2_b32 v20, 32, v17 bitop3:0x54
	s_set_vgpr_msb 4                        ;  msbs: dst=0 src0=0 src1=1 src2=0
	s_delay_alu instid0(VALU_DEP_1)
	v_cmp_lt_u32_e64 s0, v20, v12 /*v268*/
	s_and_saveexec_b32 s1, s0
	s_set_vgpr_msb 0                        ;  msbs: dst=0 src0=0 src1=0 src2=0
	s_cbranch_execz .LBB1626_157
; %bb.156:
	flat_load_u8 v133, v[18:19] offset:32
.LBB1626_157:
	s_wait_xcnt 0x0
	s_or_b32 exec_lo, exec_lo, s1
	v_or_b32_e32 v20, 64, v17
	s_set_vgpr_msb 4                        ;  msbs: dst=0 src0=0 src1=1 src2=0
	s_delay_alu instid0(VALU_DEP_1)
	v_cmp_lt_u32_e64 s1, v20, v12 /*v268*/
	s_and_saveexec_b32 s2, s1
	s_set_vgpr_msb 0                        ;  msbs: dst=0 src0=0 src1=0 src2=0
	s_cbranch_execz .LBB1626_159
; %bb.158:
	flat_load_u8 v15, v[18:19] offset:64
.LBB1626_159:
	s_wait_xcnt 0x0
	s_or_b32 exec_lo, exec_lo, s2
	v_or_b32_e32 v20, 0x60, v17
	;; [unrolled: 12-line block ×6, first 2 shown]
	s_set_vgpr_msb 4                        ;  msbs: dst=0 src0=0 src1=1 src2=0
	s_delay_alu instid0(VALU_DEP_1)
	v_cmp_lt_u32_e64 s6, v17, v12 /*v268*/
	s_and_saveexec_b32 s7, s6
	s_set_vgpr_msb 0                        ;  msbs: dst=0 src0=0 src1=0 src2=0
	s_cbranch_execz .LBB1626_169
; %bb.168:
	flat_load_u8 v132, v[18:19] offset:224
.LBB1626_169:
	s_wait_xcnt 0x0
	s_or_b32 exec_lo, exec_lo, s7
	v_lshl_add_u64 v[4:5], v[8:9], 3, v[4:5]
	v_dual_mov_b32 v19, 0 :: v_dual_lshlrev_b32 v18, 3, v16
                                        ; implicit-def: $vgpr34_vgpr35
	s_delay_alu instid0(VALU_DEP_1) | instskip(NEXT) | instid1(VALU_DEP_1)
	v_add_nc_u64_e32 v[4:5], v[4:5], v[18:19]
	v_lshl_add_u64 v[0:1], v[0:1], 3, v[4:5]
	s_and_saveexec_b32 s7, vcc_lo
	s_cbranch_execnz .LBB1626_295
; %bb.170:
	s_or_b32 exec_lo, exec_lo, s7
                                        ; implicit-def: $vgpr36_vgpr37
	s_and_saveexec_b32 s7, s0
	s_cbranch_execnz .LBB1626_296
.LBB1626_171:
	s_or_b32 exec_lo, exec_lo, s7
                                        ; implicit-def: $vgpr38_vgpr39
	s_and_saveexec_b32 s0, s1
	s_cbranch_execnz .LBB1626_297
.LBB1626_172:
	s_or_b32 exec_lo, exec_lo, s0
                                        ; implicit-def: $vgpr48_vgpr49
	s_and_saveexec_b32 s0, s2
	s_cbranch_execnz .LBB1626_298
.LBB1626_173:
	s_or_b32 exec_lo, exec_lo, s0
                                        ; implicit-def: $vgpr50_vgpr51
	s_and_saveexec_b32 s0, s3
	s_cbranch_execnz .LBB1626_299
.LBB1626_174:
	s_or_b32 exec_lo, exec_lo, s0
                                        ; implicit-def: $vgpr52_vgpr53
	s_and_saveexec_b32 s0, s4
	s_cbranch_execnz .LBB1626_300
.LBB1626_175:
	s_or_b32 exec_lo, exec_lo, s0
                                        ; implicit-def: $vgpr54_vgpr55
	s_and_saveexec_b32 s0, s5
	s_cbranch_execnz .LBB1626_301
.LBB1626_176:
	s_or_b32 exec_lo, exec_lo, s0
                                        ; implicit-def: $vgpr64_vgpr65
	s_and_saveexec_b32 s0, s6
	s_cbranch_execz .LBB1626_178
.LBB1626_177:
	flat_load_b64 v[64:65], v[0:1] offset:1792
.LBB1626_178:
	s_wait_xcnt 0x0
	s_or_b32 exec_lo, exec_lo, s0
	v_lshl_add_u32 v0, v14, 5, v12
	v_lshlrev_b32_e32 v1, 3, v14
	v_sub_co_u32 v17, s2, v16, 1
	v_dual_lshrrev_b32 v150, 5, v26 :: v_dual_bitop2_b32 v4, 15, v16 bitop3:0x40
	s_delay_alu instid0(VALU_DEP_4)
	v_dual_add_nc_u32 v134, 32, v0 :: v_dual_add_nc_u32 v135, 36, v0
	v_dual_add_nc_u32 v144, 40, v0 :: v_dual_add_nc_u32 v145, 44, v0
	;; [unrolled: 1-line block ×4, first 2 shown]
	v_and_b32_e32 v0, 0x3e0, v14
	v_and_b32_e32 v5, 16, v16
	v_cmp_gt_i32_e64 s5, 0, v17
	s_get_pc_i64 s[0:1]
	s_add_nc_u64 s[0:1], s[0:1], _ZN7rocprim17ROCPRIM_400000_NS16block_radix_sortIbLj256ELj8ElLj1ELj1ELj8ELNS0_26block_radix_rank_algorithmE2ELNS0_18block_padding_hintE2ELNS0_4arch9wavefront6targetE0EE19radix_bits_per_passE@rel64+4
	v_cmp_eq_u32_e32 vcc_lo, 0, v4
	v_min_u32_e32 v0, 0xe0, v0
	s_load_b32 s17, s[0:1], 0x0
	s_wait_xcnt 0x0
	v_cmp_lt_u32_e64 s0, 1, v4
	v_cmp_lt_u32_e64 s1, 3, v4
	;; [unrolled: 1-line block ×3, first 2 shown]
	v_dual_lshrrev_b32 v4, 3, v14 :: v_dual_bitop2_b32 v0, 31, v0 bitop3:0x54
	v_cmp_eq_u32_e64 s4, 0, v5
	v_cndmask_b32_e64 v5, v17, v16, s5
	v_cmp_gt_u32_e64 s6, 8, v14
	s_delay_alu instid0(VALU_DEP_4) | instskip(SKIP_1) | instid1(VALU_DEP_4)
	v_cmp_eq_u32_e64 s5, v14, v0
	v_and_b32_e32 v0, 0x7c, v4
	v_dual_lshlrev_b32 v151, 2, v5 :: v_dual_bitop2_b32 v4, 7, v16 bitop3:0x40
	v_and_or_b32 v5, 0x1f00, v1, v16
	s_delay_alu instid0(VALU_DEP_3) | instskip(NEXT) | instid1(VALU_DEP_3)
	v_dual_mov_b32 v1, 0 :: v_dual_add_nc_u32 v160, v12, v0
	v_cmp_eq_u32_e64 s11, 0, v4
	v_cmp_lt_u32_e64 s12, 1, v4
	s_delay_alu instid0(VALU_DEP_4) | instskip(SKIP_4) | instid1(VALU_DEP_4)
	v_add_nc_u32_e32 v162, v12, v5
	v_mul_u32_u24_e32 v0, 7, v5
	v_cmp_lt_u32_e64 s13, 3, v4
	v_mov_b64_e32 v[4:5], 0
	v_cmp_lt_u32_e64 s7, 31, v14
	v_dual_add_nc_u32 v165, 64, v162 :: v_dual_add_nc_u32 v167, v162, v0
	v_cmp_eq_u32_e64 s10, 0, v14
	v_lshl_add_u32 v161, v14, 2, v12
	v_dual_add_nc_u32 v163, -4, v160 :: v_dual_add_nc_u32 v164, 32, v162
	v_add_nc_u32_e32 v166, 0x60, v162
	v_add_nc_u32_e32 v176, 0x80, v162
	;; [unrolled: 1-line block ×12, first 2 shown]
	v_sub_nc_u32_e32 v195, v11, v10
	s_mov_b32 s20, 0
	s_wait_storecnt 0x0
	s_wait_loadcnt_dscnt 0x0
	s_barrier_signal -1
	s_barrier_wait -1
	s_branch .LBB1626_180
.LBB1626_179:                           ;   in Loop: Header=BB1626_180 Depth=1
	s_or_b32 exec_lo, exec_lo, s15
	s_delay_alu instid0(SALU_CYCLE_1) | instskip(NEXT) | instid1(SALU_CYCLE_1)
	s_and_b32 s14, exec_lo, s21
	s_or_b32 s20, s14, s20
	s_delay_alu instid0(SALU_CYCLE_1)
	s_and_not1_b32 exec_lo, exec_lo, s20
	s_cbranch_execz .LBB1626_236
.LBB1626_180:                           ; =>This Inner Loop Header: Depth=1
	s_wait_kmcnt 0x0
	v_min_u32_e32 v0, s17, v195
	v_and_b32_e32 v16, 0xff, v27
	v_mov_b64_e32 v[28:29], v[36:37]
	v_mov_b64_e32 v[32:33], v[38:39]
	;; [unrolled: 1-line block ×3, first 2 shown]
	v_lshlrev_b32_e64 v66, v0, -1
	v_lshrrev_b32_e32 v0, v10, v16
	v_mov_b64_e32 v[16:17], v[34:35]
	v_mov_b64_e32 v[22:23], v[52:53]
	v_mov_b64_e32 v[20:21], v[54:55]
	ds_store_b64 v134, v[4:5]
	ds_store_b64 v144, v[4:5]
	v_bitop3_b32 v0, v0, v66, v0 bitop3:0x30
	ds_store_b64 v146, v[4:5]
	ds_store_b64 v148, v[4:5]
	s_wait_dscnt 0x0
	s_barrier_signal -1
	s_barrier_wait -1
	v_add_co_u32 v24, s14, v0, -1
	s_delay_alu instid0(VALU_DEP_1) | instskip(SKIP_1) | instid1(VALU_DEP_2)
	v_cndmask_b32_e64 v18, 0, 1, s14
	v_lshlrev_b32_e32 v0, 3, v0
	; wave barrier
	v_cmp_ne_u32_e64 s14, 0, v18
	s_delay_alu instid0(VALU_DEP_2) | instskip(SKIP_1) | instid1(VALU_DEP_3)
	v_add_lshl_u32 v0, v0, v150, 2
	v_mov_b64_e32 v[18:19], v[50:51]
	v_bitop3_b32 v36, s14, exec_lo, v24 bitop3:0x48
	s_delay_alu instid0(VALU_DEP_3) | instskip(SKIP_1) | instid1(VALU_DEP_3)
	v_add_nc_u64_e32 v[34:35], v[12:13], v[0:1]
	v_mov_b64_e32 v[24:25], v[64:65]
	v_mbcnt_lo_u32_b32 v0, v36, 0
	v_cmp_ne_u32_e64 s15, 0, v36
	s_delay_alu instid0(VALU_DEP_4) | instskip(NEXT) | instid1(VALU_DEP_3)
	v_add_nc_u64_e32 v[34:35], 32, v[34:35]
	v_cmp_eq_u32_e64 s14, 0, v0
	s_and_b32 s15, s15, s14
	s_delay_alu instid0(SALU_CYCLE_1)
	s_and_saveexec_b32 s14, s15
; %bb.181:                              ;   in Loop: Header=BB1626_180 Depth=1
	v_bcnt_u32_b32 v35, v36, 0
	ds_store_b32 v34, v35
; %bb.182:                              ;   in Loop: Header=BB1626_180 Depth=1
	s_or_b32 exec_lo, exec_lo, s14
	v_and_b32_e32 v35, 0xff, v133
	v_not_b32_e32 v65, v66
	; wave barrier
	s_delay_alu instid0(VALU_DEP_2) | instskip(NEXT) | instid1(VALU_DEP_1)
	v_lshrrev_b32_e32 v35, v10, v35
	v_and_b32_e32 v35, v35, v65
	s_delay_alu instid0(VALU_DEP_1) | instskip(SKIP_1) | instid1(VALU_DEP_1)
	v_lshl_add_u32 v36, v35, 3, v150
	v_add_co_u32 v37, s14, v35, -1
	v_cndmask_b32_e64 v35, 0, 1, s14
	s_delay_alu instid0(VALU_DEP_3) | instskip(NEXT) | instid1(VALU_DEP_2)
	v_lshl_add_u32 v38, v36, 2, v12
	v_cmp_ne_u32_e64 s14, 0, v35
	ds_load_b32 v35, v38 offset:32
	v_add_nc_u32_e32 v39, 32, v38
	v_bitop3_b32 v37, s14, exec_lo, v37 bitop3:0x48
	; wave barrier
	s_delay_alu instid0(VALU_DEP_1) | instskip(SKIP_1) | instid1(VALU_DEP_2)
	v_mbcnt_lo_u32_b32 v36, v37, 0
	v_cmp_ne_u32_e64 s15, 0, v37
	v_cmp_eq_u32_e64 s14, 0, v36
	s_and_b32 s15, s15, s14
	s_delay_alu instid0(SALU_CYCLE_1)
	s_and_saveexec_b32 s14, s15
	s_cbranch_execz .LBB1626_184
; %bb.183:                              ;   in Loop: Header=BB1626_180 Depth=1
	s_wait_dscnt 0x0
	v_bcnt_u32_b32 v37, v37, v35
	ds_store_b32 v39, v37
.LBB1626_184:                           ;   in Loop: Header=BB1626_180 Depth=1
	s_or_b32 exec_lo, exec_lo, s14
	v_and_b32_e32 v37, 0xff, v15
	; wave barrier
	s_delay_alu instid0(VALU_DEP_1) | instskip(NEXT) | instid1(VALU_DEP_1)
	v_lshrrev_b32_e32 v37, v10, v37
	v_and_b32_e32 v37, v37, v65
	s_delay_alu instid0(VALU_DEP_1) | instskip(SKIP_1) | instid1(VALU_DEP_1)
	v_lshl_add_u32 v38, v37, 3, v150
	v_add_co_u32 v48, s14, v37, -1
	v_cndmask_b32_e64 v37, 0, 1, s14
	s_delay_alu instid0(VALU_DEP_3) | instskip(NEXT) | instid1(VALU_DEP_2)
	v_lshl_add_u32 v49, v38, 2, v12
	v_cmp_ne_u32_e64 s14, 0, v37
	ds_load_b32 v37, v49 offset:32
	v_add_nc_u32_e32 v50, 32, v49
	v_bitop3_b32 v48, s14, exec_lo, v48 bitop3:0x48
	; wave barrier
	s_delay_alu instid0(VALU_DEP_1) | instskip(SKIP_1) | instid1(VALU_DEP_2)
	v_mbcnt_lo_u32_b32 v38, v48, 0
	v_cmp_ne_u32_e64 s15, 0, v48
	v_cmp_eq_u32_e64 s14, 0, v38
	s_and_b32 s15, s15, s14
	s_delay_alu instid0(SALU_CYCLE_1)
	s_and_saveexec_b32 s14, s15
	s_cbranch_execz .LBB1626_186
; %bb.185:                              ;   in Loop: Header=BB1626_180 Depth=1
	s_wait_dscnt 0x0
	v_bcnt_u32_b32 v48, v48, v37
	ds_store_b32 v50, v48
.LBB1626_186:                           ;   in Loop: Header=BB1626_180 Depth=1
	s_or_b32 exec_lo, exec_lo, s14
	v_and_b32_e32 v48, 0xff, v128
	; wave barrier
	s_delay_alu instid0(VALU_DEP_1) | instskip(NEXT) | instid1(VALU_DEP_1)
	v_lshrrev_b32_e32 v48, v10, v48
	v_and_b32_e32 v48, v48, v65
	s_delay_alu instid0(VALU_DEP_1) | instskip(NEXT) | instid1(VALU_DEP_1)
	v_lshl_add_u32 v49, v48, 3, v150
	v_lshl_add_u32 v52, v49, 2, v12
	s_delay_alu instid0(VALU_DEP_1) | instskip(SKIP_1) | instid1(VALU_DEP_1)
	v_add_nc_u32_e32 v53, 32, v52
	v_add_co_u32 v51, s14, v48, -1
	v_cndmask_b32_e64 v48, 0, 1, s14
	s_delay_alu instid0(VALU_DEP_1) | instskip(SKIP_2) | instid1(VALU_DEP_1)
	v_cmp_ne_u32_e64 s14, 0, v48
	ds_load_b32 v48, v52 offset:32
	; wave barrier
	v_bitop3_b32 v51, s14, exec_lo, v51 bitop3:0x48
	v_mbcnt_lo_u32_b32 v49, v51, 0
	v_cmp_ne_u32_e64 s15, 0, v51
	s_delay_alu instid0(VALU_DEP_2) | instskip(SKIP_1) | instid1(SALU_CYCLE_1)
	v_cmp_eq_u32_e64 s14, 0, v49
	s_and_b32 s15, s15, s14
	s_and_saveexec_b32 s14, s15
	s_cbranch_execz .LBB1626_188
; %bb.187:                              ;   in Loop: Header=BB1626_180 Depth=1
	s_wait_dscnt 0x0
	v_bcnt_u32_b32 v51, v51, v48
	ds_store_b32 v53, v51
.LBB1626_188:                           ;   in Loop: Header=BB1626_180 Depth=1
	s_or_b32 exec_lo, exec_lo, s14
	v_and_b32_e32 v51, 0xff, v131
	; wave barrier
	s_delay_alu instid0(VALU_DEP_1) | instskip(NEXT) | instid1(VALU_DEP_1)
	v_lshrrev_b32_e32 v51, v10, v51
	v_and_b32_e32 v51, v51, v65
	s_delay_alu instid0(VALU_DEP_1) | instskip(NEXT) | instid1(VALU_DEP_1)
	v_lshl_add_u32 v52, v51, 3, v150
	v_lshl_add_u32 v55, v52, 2, v12
	s_delay_alu instid0(VALU_DEP_1) | instskip(SKIP_1) | instid1(VALU_DEP_1)
	v_add_nc_u32_e32 v64, 32, v55
	v_add_co_u32 v54, s14, v51, -1
	v_cndmask_b32_e64 v51, 0, 1, s14
	s_delay_alu instid0(VALU_DEP_1) | instskip(SKIP_2) | instid1(VALU_DEP_1)
	v_cmp_ne_u32_e64 s14, 0, v51
	ds_load_b32 v51, v55 offset:32
	; wave barrier
	v_bitop3_b32 v54, s14, exec_lo, v54 bitop3:0x48
	v_mbcnt_lo_u32_b32 v52, v54, 0
	v_cmp_ne_u32_e64 s15, 0, v54
	s_delay_alu instid0(VALU_DEP_2) | instskip(SKIP_1) | instid1(SALU_CYCLE_1)
	v_cmp_eq_u32_e64 s14, 0, v52
	s_and_b32 s15, s15, s14
	s_and_saveexec_b32 s14, s15
	s_cbranch_execz .LBB1626_190
; %bb.189:                              ;   in Loop: Header=BB1626_180 Depth=1
	s_wait_dscnt 0x0
	v_bcnt_u32_b32 v54, v54, v51
	ds_store_b32 v64, v54
.LBB1626_190:                           ;   in Loop: Header=BB1626_180 Depth=1
	s_or_b32 exec_lo, exec_lo, s14
	v_and_b32_e32 v54, 0xff, v129
	; wave barrier
	s_delay_alu instid0(VALU_DEP_1) | instskip(NEXT) | instid1(VALU_DEP_1)
	v_lshrrev_b32_e32 v54, v10, v54
	v_and_b32_e32 v54, v54, v65
	s_delay_alu instid0(VALU_DEP_1) | instskip(SKIP_1) | instid1(VALU_DEP_1)
	v_lshl_add_u32 v55, v54, 3, v150
	v_add_co_u32 v66, s14, v54, -1
	v_cndmask_b32_e64 v54, 0, 1, s14
	s_delay_alu instid0(VALU_DEP_3) | instskip(NEXT) | instid1(VALU_DEP_2)
	v_lshl_add_u32 v68, v55, 2, v12
	v_cmp_ne_u32_e64 s14, 0, v54
	ds_load_b32 v54, v68 offset:32
	; wave barrier
	v_bitop3_b32 v67, s14, exec_lo, v66 bitop3:0x48
	v_add_nc_u32_e32 v66, 32, v68
	s_delay_alu instid0(VALU_DEP_2) | instskip(SKIP_1) | instid1(VALU_DEP_2)
	v_mbcnt_lo_u32_b32 v55, v67, 0
	v_cmp_ne_u32_e64 s15, 0, v67
	v_cmp_eq_u32_e64 s14, 0, v55
	s_and_b32 s15, s15, s14
	s_delay_alu instid0(SALU_CYCLE_1)
	s_and_saveexec_b32 s14, s15
	s_cbranch_execz .LBB1626_192
; %bb.191:                              ;   in Loop: Header=BB1626_180 Depth=1
	s_wait_dscnt 0x0
	v_bcnt_u32_b32 v67, v67, v54
	ds_store_b32 v66, v67
.LBB1626_192:                           ;   in Loop: Header=BB1626_180 Depth=1
	s_or_b32 exec_lo, exec_lo, s14
	v_and_b32_e32 v67, 0xff, v130
	; wave barrier
	s_delay_alu instid0(VALU_DEP_1) | instskip(NEXT) | instid1(VALU_DEP_1)
	v_lshrrev_b32_e32 v67, v10, v67
	v_and_b32_e32 v67, v67, v65
	s_delay_alu instid0(VALU_DEP_1) | instskip(SKIP_1) | instid1(VALU_DEP_1)
	v_lshl_add_u32 v68, v67, 3, v150
	v_add_co_u32 v67, s14, v67, -1
	v_cndmask_b32_e64 v69, 0, 1, s14
	s_delay_alu instid0(VALU_DEP_3) | instskip(NEXT) | instid1(VALU_DEP_2)
	v_lshl_add_u32 v70, v68, 2, v12
	v_cmp_ne_u32_e64 s14, 0, v69
	ds_load_b32 v84, v70 offset:32
	; wave barrier
	v_bitop3_b32 v68, s14, exec_lo, v67 bitop3:0x48
	v_add_nc_u32_e32 v67, 32, v70
	s_delay_alu instid0(VALU_DEP_2) | instskip(SKIP_1) | instid1(VALU_DEP_2)
	v_mbcnt_lo_u32_b32 v86, v68, 0
	v_cmp_ne_u32_e64 s15, 0, v68
	v_cmp_eq_u32_e64 s14, 0, v86
	s_and_b32 s15, s15, s14
	s_delay_alu instid0(SALU_CYCLE_1)
	s_and_saveexec_b32 s14, s15
	s_cbranch_execz .LBB1626_194
; %bb.193:                              ;   in Loop: Header=BB1626_180 Depth=1
	s_wait_dscnt 0x0
	v_bcnt_u32_b32 v68, v68, v84
	ds_store_b32 v67, v68
.LBB1626_194:                           ;   in Loop: Header=BB1626_180 Depth=1
	s_or_b32 exec_lo, exec_lo, s14
	v_and_b32_e32 v68, 0xff, v132
	; wave barrier
	s_delay_alu instid0(VALU_DEP_1) | instskip(NEXT) | instid1(VALU_DEP_1)
	v_lshrrev_b32_e32 v68, v10, v68
	v_and_b32_e32 v65, v68, v65
	s_delay_alu instid0(VALU_DEP_1) | instskip(SKIP_1) | instid1(VALU_DEP_1)
	v_lshl_add_u32 v68, v65, 3, v150
	v_add_co_u32 v69, s14, v65, -1
	v_cndmask_b32_e64 v65, 0, 1, s14
	s_delay_alu instid0(VALU_DEP_3) | instskip(NEXT) | instid1(VALU_DEP_2)
	v_lshl_add_u32 v68, v68, 2, v12
	v_cmp_ne_u32_e64 s14, 0, v65
	ds_load_b32 v65, v68 offset:32
	v_add_nc_u32_e32 v68, 32, v68
	v_bitop3_b32 v69, s14, exec_lo, v69 bitop3:0x48
	; wave barrier
	s_delay_alu instid0(VALU_DEP_1) | instskip(SKIP_1) | instid1(VALU_DEP_2)
	v_mbcnt_lo_u32_b32 v96, v69, 0
	v_cmp_ne_u32_e64 s15, 0, v69
	v_cmp_eq_u32_e64 s14, 0, v96
	s_and_b32 s15, s15, s14
	s_delay_alu instid0(SALU_CYCLE_1)
	s_and_saveexec_b32 s14, s15
	s_cbranch_execz .LBB1626_196
; %bb.195:                              ;   in Loop: Header=BB1626_180 Depth=1
	s_wait_dscnt 0x0
	v_bcnt_u32_b32 v69, v69, v65
	ds_store_b32 v68, v69
.LBB1626_196:                           ;   in Loop: Header=BB1626_180 Depth=1
	s_or_b32 exec_lo, exec_lo, s14
	; wave barrier
	s_wait_dscnt 0x0
	s_barrier_signal -1
	s_barrier_wait -1
	ds_load_b32 v71, v134
	ds_load_b32 v80, v135
	;; [unrolled: 1-line block ×8, first 2 shown]
	s_wait_dscnt 0x6
	v_add_nc_u32_e32 v87, v80, v71
	s_wait_dscnt 0x4
	s_delay_alu instid0(VALU_DEP_1) | instskip(SKIP_1) | instid1(VALU_DEP_1)
	v_add3_u32 v87, v87, v81, v82
	s_wait_dscnt 0x2
	v_add3_u32 v87, v87, v83, v70
	s_wait_dscnt 0x0
	s_delay_alu instid0(VALU_DEP_1) | instskip(NEXT) | instid1(VALU_DEP_1)
	v_add3_u32 v85, v87, v69, v85
	v_mov_b32_dpp v87, v85 row_shr:1 row_mask:0xf bank_mask:0xf
	s_delay_alu instid0(VALU_DEP_1) | instskip(NEXT) | instid1(VALU_DEP_1)
	v_cndmask_b32_e64 v87, v87, 0, vcc_lo
	v_add_nc_u32_e32 v85, v87, v85
	s_delay_alu instid0(VALU_DEP_1) | instskip(NEXT) | instid1(VALU_DEP_1)
	v_mov_b32_dpp v87, v85 row_shr:2 row_mask:0xf bank_mask:0xf
	v_cndmask_b32_e64 v87, 0, v87, s0
	s_delay_alu instid0(VALU_DEP_1) | instskip(NEXT) | instid1(VALU_DEP_1)
	v_add_nc_u32_e32 v85, v85, v87
	v_mov_b32_dpp v87, v85 row_shr:4 row_mask:0xf bank_mask:0xf
	s_delay_alu instid0(VALU_DEP_1) | instskip(NEXT) | instid1(VALU_DEP_1)
	v_cndmask_b32_e64 v87, 0, v87, s1
	v_add_nc_u32_e32 v85, v85, v87
	s_delay_alu instid0(VALU_DEP_1) | instskip(NEXT) | instid1(VALU_DEP_1)
	v_mov_b32_dpp v87, v85 row_shr:8 row_mask:0xf bank_mask:0xf
	v_cndmask_b32_e64 v87, 0, v87, s3
	s_delay_alu instid0(VALU_DEP_1) | instskip(SKIP_3) | instid1(VALU_DEP_1)
	v_add_nc_u32_e32 v85, v85, v87
	ds_swizzle_b32 v87, v85 offset:swizzle(BROADCAST,32,15)
	s_wait_dscnt 0x0
	v_cndmask_b32_e64 v87, v87, 0, s4
	v_add_nc_u32_e32 v85, v85, v87
	s_and_saveexec_b32 s14, s5
; %bb.197:                              ;   in Loop: Header=BB1626_180 Depth=1
	ds_store_b32 v160, v85
; %bb.198:                              ;   in Loop: Header=BB1626_180 Depth=1
	s_or_b32 exec_lo, exec_lo, s14
	s_wait_dscnt 0x0
	s_barrier_signal -1
	s_barrier_wait -1
	s_and_saveexec_b32 s14, s6
	s_cbranch_execz .LBB1626_200
; %bb.199:                              ;   in Loop: Header=BB1626_180 Depth=1
	ds_load_b32 v87, v161
	s_wait_dscnt 0x0
	v_mov_b32_dpp v97, v87 row_shr:1 row_mask:0xf bank_mask:0xf
	s_delay_alu instid0(VALU_DEP_1) | instskip(NEXT) | instid1(VALU_DEP_1)
	v_cndmask_b32_e64 v97, v97, 0, s11
	v_add_nc_u32_e32 v87, v97, v87
	s_delay_alu instid0(VALU_DEP_1) | instskip(NEXT) | instid1(VALU_DEP_1)
	v_mov_b32_dpp v97, v87 row_shr:2 row_mask:0xf bank_mask:0xf
	v_cndmask_b32_e64 v97, 0, v97, s12
	s_delay_alu instid0(VALU_DEP_1) | instskip(NEXT) | instid1(VALU_DEP_1)
	v_add_nc_u32_e32 v87, v87, v97
	v_mov_b32_dpp v97, v87 row_shr:4 row_mask:0xf bank_mask:0xf
	s_delay_alu instid0(VALU_DEP_1) | instskip(NEXT) | instid1(VALU_DEP_1)
	v_cndmask_b32_e64 v97, 0, v97, s13
	v_add_nc_u32_e32 v87, v87, v97
	ds_store_b32 v161, v87
.LBB1626_200:                           ;   in Loop: Header=BB1626_180 Depth=1
	s_or_b32 exec_lo, exec_lo, s14
	v_mov_b32_e32 v87, 0
	s_wait_dscnt 0x0
	s_barrier_signal -1
	s_barrier_wait -1
	s_and_saveexec_b32 s14, s7
; %bb.201:                              ;   in Loop: Header=BB1626_180 Depth=1
	ds_load_b32 v87, v163
; %bb.202:                              ;   in Loop: Header=BB1626_180 Depth=1
	s_or_b32 exec_lo, exec_lo, s14
	s_wait_dscnt 0x0
	v_dual_add_nc_u32 v85, v87, v85 :: v_dual_add_nc_u32 v10, 8, v10
	v_dual_mov_b32 v199, v128 :: v_dual_mov_b32 v208, v131
	v_dual_mov_b32 v209, v129 :: v_dual_mov_b32 v210, v130
	ds_bpermute_b32 v85, v151, v85
	s_mov_b32 s21, -1
	s_mov_b32 s15, exec_lo
	s_wait_dscnt 0x0
	v_dual_mov_b32 v196, v27 :: v_dual_cndmask_b32 v85, v85, v87, s2
	v_mov_b32_e32 v87, v1
	s_delay_alu instid0(VALU_DEP_2) | instskip(NEXT) | instid1(VALU_DEP_1)
	v_cndmask_b32_e64 v85, v85, 0, s10
	v_add_nc_u32_e32 v71, v85, v71
	s_delay_alu instid0(VALU_DEP_1) | instskip(NEXT) | instid1(VALU_DEP_1)
	v_add_nc_u32_e32 v80, v71, v80
	v_add_nc_u32_e32 v81, v80, v81
	ds_store_b32 v134, v85
	ds_store_b32 v135, v71
	;; [unrolled: 1-line block ×3, first 2 shown]
	v_dual_mov_b32 v71, v1 :: v_dual_mov_b32 v85, v1
	v_add_nc_u32_e32 v82, v81, v82
	s_delay_alu instid0(VALU_DEP_1) | instskip(NEXT) | instid1(VALU_DEP_1)
	v_dual_add_nc_u32 v83, v82, v83 :: v_dual_mov_b32 v197, v133
	v_add_nc_u32_e32 v70, v83, v70
	s_delay_alu instid0(VALU_DEP_1)
	v_dual_mov_b32 v198, v15 :: v_dual_add_nc_u32 v69, v70, v69
	ds_store_b32 v145, v81
	ds_store_b32 v146, v82
	;; [unrolled: 1-line block ×5, first 2 shown]
	s_wait_dscnt 0x0
	s_barrier_signal -1
	s_barrier_wait -1
	ds_load_b32 v34, v34
	ds_load_b32 v39, v39
	;; [unrolled: 1-line block ×8, first 2 shown]
	v_dual_mov_b32 v67, v1 :: v_dual_mov_b32 v69, v1
	v_dual_mov_b32 v81, v1 :: v_dual_mov_b32 v83, v1
	s_wait_dscnt 0x0
	v_add_nc_u32_e32 v0, v34, v0
	v_add3_u32 v66, v36, v35, v39
	v_add3_u32 v68, v38, v37, v50
	;; [unrolled: 1-line block ×7, first 2 shown]
	v_add_nc_u64_e32 v[116:117], v[12:13], v[66:67]
	v_add_nc_u64_e32 v[114:115], v[12:13], v[68:69]
	;; [unrolled: 1-line block ×7, first 2 shown]
	v_mov_b32_e32 v67, v132
	v_add_nc_u64_e32 v[118:119], v[12:13], v[0:1]
                                        ; implicit-def: $vgpr34_vgpr35
                                        ; implicit-def: $vgpr36_vgpr37
                                        ; implicit-def: $vgpr38_vgpr39
                                        ; implicit-def: $vgpr48_vgpr49
                                        ; implicit-def: $vgpr50_vgpr51
                                        ; implicit-def: $vgpr52_vgpr53
                                        ; implicit-def: $vgpr54_vgpr55
                                        ; implicit-def: $vgpr64_vgpr65
	v_cmpx_lt_u32_e64 v10, v11
	s_cbranch_execz .LBB1626_179
; %bb.203:                              ;   in Loop: Header=BB1626_180 Depth=1
	s_delay_alu instid0(VALU_DEP_2)
	v_mad_nc_u64_u32 v[34:35], v0, 7, v[118:119]
	v_mad_nc_u64_u32 v[36:37], v66, 7, v[116:117]
	;; [unrolled: 1-line block ×8, first 2 shown]
	s_barrier_signal -1
	s_barrier_wait -1
	ds_store_b8 v118, v27
	ds_store_b8 v116, v133
	;; [unrolled: 1-line block ×8, first 2 shown]
	s_wait_dscnt 0x0
	s_barrier_signal -1
	s_barrier_wait -1
	ds_load_u8 v132, v179
	ds_load_u8 v130, v178
	;; [unrolled: 1-line block ×8, first 2 shown]
	s_wait_dscnt 0x0
	s_barrier_signal -1
	s_barrier_wait -1
	ds_store_b64 v34, v[16:17]
	ds_store_b64 v36, v[28:29]
	;; [unrolled: 1-line block ×8, first 2 shown]
	s_wait_dscnt 0x0
	s_barrier_signal -1
	s_barrier_wait -1
	ds_load_b64 v[34:35], v167
	ds_load_b64 v[36:37], v180
	;; [unrolled: 1-line block ×8, first 2 shown]
	v_add_nc_u32_e32 v195, -8, v195
	s_xor_b32 s21, exec_lo, -1
	s_wait_dscnt 0x0
	s_barrier_signal -1
	s_barrier_wait -1
	s_branch .LBB1626_179
.LBB1626_204:
	flat_load_b64 v[80:81], v[0:1]
	s_wait_xcnt 0x0
	s_or_b32 exec_lo, exec_lo, s21
                                        ; implicit-def: $vgpr82_vgpr83
	s_and_saveexec_b32 s21, s0
	s_cbranch_execz .LBB1626_38
.LBB1626_205:
	flat_load_b64 v[82:83], v[0:1] offset:256
	s_wait_xcnt 0x0
	s_or_b32 exec_lo, exec_lo, s21
                                        ; implicit-def: $vgpr84_vgpr85
	s_and_saveexec_b32 s0, s1
	s_cbranch_execz .LBB1626_39
.LBB1626_206:
	flat_load_b64 v[84:85], v[0:1] offset:512
	s_wait_xcnt 0x0
	s_or_b32 exec_lo, exec_lo, s0
                                        ; implicit-def: $vgpr86_vgpr87
	s_and_saveexec_b32 s0, s2
	s_cbranch_execz .LBB1626_40
.LBB1626_207:
	flat_load_b64 v[86:87], v[0:1] offset:768
	s_wait_xcnt 0x0
	s_or_b32 exec_lo, exec_lo, s0
                                        ; implicit-def: $vgpr96_vgpr97
	s_and_saveexec_b32 s0, s3
	s_cbranch_execz .LBB1626_41
.LBB1626_208:
	flat_load_b64 v[96:97], v[0:1] offset:1024
	s_wait_xcnt 0x0
	s_or_b32 exec_lo, exec_lo, s0
                                        ; implicit-def: $vgpr98_vgpr99
	s_and_saveexec_b32 s0, s4
	s_cbranch_execz .LBB1626_42
.LBB1626_209:
	flat_load_b64 v[98:99], v[0:1] offset:1280
	s_wait_xcnt 0x0
	s_or_b32 exec_lo, exec_lo, s0
                                        ; implicit-def: $vgpr100_vgpr101
	s_and_saveexec_b32 s0, s5
	s_cbranch_execz .LBB1626_43
.LBB1626_210:
	flat_load_b64 v[100:101], v[0:1] offset:1536
	s_wait_xcnt 0x0
	s_or_b32 exec_lo, exec_lo, s0
                                        ; implicit-def: $vgpr102_vgpr103
	s_and_saveexec_b32 s0, s6
	s_cbranch_execz .LBB1626_44
.LBB1626_211:
	flat_load_b64 v[102:103], v[0:1] offset:1792
	s_wait_xcnt 0x0
	s_or_b32 exec_lo, exec_lo, s0
                                        ; implicit-def: $vgpr114_vgpr115
	s_and_saveexec_b32 s0, s7
	s_cbranch_execz .LBB1626_45
.LBB1626_212:
	flat_load_b64 v[114:115], v[0:1] offset:2048
	s_wait_xcnt 0x0
	s_or_b32 exec_lo, exec_lo, s0
                                        ; implicit-def: $vgpr146_vgpr147
	s_and_saveexec_b32 s0, s10
	s_cbranch_execz .LBB1626_46
.LBB1626_213:
	flat_load_b64 v[146:147], v[0:1] offset:2304
	s_wait_xcnt 0x0
	s_or_b32 exec_lo, exec_lo, s0
                                        ; implicit-def: $vgpr148_vgpr149
	s_and_saveexec_b32 s0, s11
	s_cbranch_execz .LBB1626_47
.LBB1626_214:
	flat_load_b64 v[148:149], v[0:1] offset:2560
	s_wait_xcnt 0x0
	s_or_b32 exec_lo, exec_lo, s0
                                        ; implicit-def: $vgpr150_vgpr151
	s_and_saveexec_b32 s0, s12
	s_cbranch_execz .LBB1626_48
.LBB1626_215:
	flat_load_b64 v[150:151], v[0:1] offset:2816
	s_wait_xcnt 0x0
	s_or_b32 exec_lo, exec_lo, s0
                                        ; implicit-def: $vgpr182_vgpr183
	s_and_saveexec_b32 s0, s13
	s_cbranch_execz .LBB1626_49
.LBB1626_216:
	flat_load_b64 v[182:183], v[0:1] offset:3072
	s_wait_xcnt 0x0
	s_or_b32 exec_lo, exec_lo, s0
                                        ; implicit-def: $vgpr194_vgpr195
	s_and_saveexec_b32 s0, s14
	s_cbranch_execz .LBB1626_50
.LBB1626_217:
	flat_load_b64 v[194:195], v[0:1] offset:3328
	s_wait_xcnt 0x0
	s_or_b32 exec_lo, exec_lo, s0
                                        ; implicit-def: $vgpr196_vgpr197
	s_and_saveexec_b32 s0, s15
	s_cbranch_execz .LBB1626_51
.LBB1626_218:
	flat_load_b64 v[196:197], v[0:1] offset:3584
	s_wait_xcnt 0x0
	s_or_b32 exec_lo, exec_lo, s0
                                        ; implicit-def: $vgpr198_vgpr199
	s_and_saveexec_b32 s0, s16
	s_cbranch_execz .LBB1626_52
.LBB1626_219:
	flat_load_b64 v[198:199], v[0:1] offset:3840
	s_wait_xcnt 0x0
	s_or_b32 exec_lo, exec_lo, s0
                                        ; implicit-def: $vgpr208_vgpr209
	s_and_saveexec_b32 s0, s17
	s_cbranch_execnz .LBB1626_53
	s_branch .LBB1626_54
.LBB1626_220:
	flat_store_b64 v[2:3], v[48:49]
	s_wait_xcnt 0x0
	s_or_b32 exec_lo, exec_lo, s21
	s_and_saveexec_b32 s21, s0
	s_cbranch_execz .LBB1626_134
.LBB1626_221:
	flat_store_b64 v[2:3], v[50:51] offset:2048
	s_wait_xcnt 0x0
	s_or_b32 exec_lo, exec_lo, s21
	s_and_saveexec_b32 s0, s1
	s_cbranch_execz .LBB1626_135
.LBB1626_222:
	flat_store_b64 v[2:3], v[34:35] offset:4096
	s_wait_xcnt 0x0
	s_or_b32 exec_lo, exec_lo, s0
	s_and_saveexec_b32 s0, s2
	s_cbranch_execz .LBB1626_136
.LBB1626_223:
	flat_store_b64 v[2:3], v[36:37] offset:6144
	s_wait_xcnt 0x0
	s_or_b32 exec_lo, exec_lo, s0
	s_and_saveexec_b32 s0, s3
	s_cbranch_execz .LBB1626_137
.LBB1626_224:
	flat_store_b64 v[2:3], v[30:31] offset:8192
	s_wait_xcnt 0x0
	s_or_b32 exec_lo, exec_lo, s0
	s_and_saveexec_b32 s0, s4
	s_cbranch_execz .LBB1626_138
.LBB1626_225:
	flat_store_b64 v[2:3], v[32:33] offset:10240
	s_wait_xcnt 0x0
	s_or_b32 exec_lo, exec_lo, s0
	s_and_saveexec_b32 s0, s5
	s_cbranch_execz .LBB1626_139
.LBB1626_226:
	flat_store_b64 v[2:3], v[26:27] offset:12288
	s_wait_xcnt 0x0
	s_or_b32 exec_lo, exec_lo, s0
	s_and_saveexec_b32 s0, s6
	s_cbranch_execz .LBB1626_140
.LBB1626_227:
	flat_store_b64 v[2:3], v[28:29] offset:14336
	s_wait_xcnt 0x0
	s_or_b32 exec_lo, exec_lo, s0
	s_and_saveexec_b32 s0, s7
	s_cbranch_execz .LBB1626_141
.LBB1626_228:
	flat_store_b64 v[2:3], v[22:23] offset:16384
	s_wait_xcnt 0x0
	s_or_b32 exec_lo, exec_lo, s0
	s_and_saveexec_b32 s0, s10
	s_cbranch_execz .LBB1626_142
.LBB1626_229:
	flat_store_b64 v[2:3], v[24:25] offset:18432
	s_wait_xcnt 0x0
	s_or_b32 exec_lo, exec_lo, s0
	s_and_saveexec_b32 s0, s11
	s_cbranch_execz .LBB1626_143
.LBB1626_230:
	flat_store_b64 v[2:3], v[18:19] offset:20480
	s_wait_xcnt 0x0
	s_or_b32 exec_lo, exec_lo, s0
	s_and_saveexec_b32 s0, s12
	s_cbranch_execz .LBB1626_144
.LBB1626_231:
	flat_store_b64 v[2:3], v[20:21] offset:22528
	s_wait_xcnt 0x0
	s_or_b32 exec_lo, exec_lo, s0
	s_and_saveexec_b32 s0, s13
	s_cbranch_execz .LBB1626_145
.LBB1626_232:
	flat_store_b64 v[2:3], v[14:15] offset:24576
	s_wait_xcnt 0x0
	s_or_b32 exec_lo, exec_lo, s0
	s_and_saveexec_b32 s0, s14
	s_cbranch_execz .LBB1626_146
.LBB1626_233:
	flat_store_b64 v[2:3], v[16:17] offset:26624
	s_wait_xcnt 0x0
	s_or_b32 exec_lo, exec_lo, s0
	s_and_saveexec_b32 s0, s15
	s_cbranch_execz .LBB1626_147
.LBB1626_234:
	flat_store_b64 v[2:3], v[10:11] offset:28672
	s_wait_xcnt 0x0
	s_or_b32 exec_lo, exec_lo, s0
	s_and_saveexec_b32 s0, s16
	s_cbranch_execz .LBB1626_148
.LBB1626_235:
	flat_store_b64 v[2:3], v[12:13] offset:30720
	s_wait_xcnt 0x0
	s_or_b32 exec_lo, exec_lo, s0
	s_and_saveexec_b32 s0, s17
	s_cbranch_execnz .LBB1626_149
	s_branch .LBB1626_150
.LBB1626_236:
	s_or_b32 exec_lo, exec_lo, s20
	v_mad_nc_u64_u32 v[0:1], v0, 7, v[118:119]
	v_mad_nc_u64_u32 v[10:11], v66, 7, v[116:117]
	v_dual_add_nc_u32 v15, v12, v14 :: v_dual_mov_b32 v27, 0
	v_mad_nc_u64_u32 v[12:13], v68, 7, v[114:115]
	v_mad_nc_u64_u32 v[48:49], v80, 7, v[112:113]
	;; [unrolled: 1-line block ×3, first 2 shown]
	s_barrier_signal -1
	s_barrier_wait -1
	ds_store_b8 v118, v196
	ds_store_b8 v116, v197
	;; [unrolled: 1-line block ×8, first 2 shown]
	s_wait_dscnt 0x0
	s_barrier_signal -1
	s_barrier_wait -1
	ds_load_u8 v39, v15
	ds_load_u8 v38, v15 offset:256
	ds_load_u8 v37, v15 offset:512
	;; [unrolled: 1-line block ×7, first 2 shown]
	s_wait_dscnt 0x0
	s_barrier_signal -1
	v_mad_nc_u64_u32 v[52:53], v82, 7, v[100:101]
	s_barrier_wait -1
	ds_store_b64 v0, v[16:17]
	ds_store_b64 v10, v[28:29]
	;; [unrolled: 1-line block ×4, first 2 shown]
	v_mul_u32_u24_e32 v0, 7, v14
	v_mad_nc_u64_u32 v[54:55], v84, 7, v[98:99]
	v_mad_nc_u64_u32 v[64:65], v86, 7, v[96:97]
	ds_store_b64 v50, v[18:19]
	ds_store_b64 v52, v[22:23]
	;; [unrolled: 1-line block ×4, first 2 shown]
	v_add_nc_u32_e32 v0, v15, v0
	s_wait_dscnt 0x0
	s_barrier_signal -1
	s_barrier_wait -1
	ds_load_2addr_stride64_b64 v[22:25], v0 offset1:4
	ds_load_2addr_stride64_b64 v[18:21], v0 offset0:8 offset1:12
	ds_load_2addr_stride64_b64 v[14:17], v0 offset0:16 offset1:20
	;; [unrolled: 1-line block ×3, first 2 shown]
	v_add_nc_u64_e32 v[0:1], v[2:3], v[8:9]
	s_set_vgpr_msb 4                        ;  msbs: dst=0 src0=0 src1=1 src2=0
	v_cmp_lt_u32_e32 vcc_lo, v26, v12 /*v268*/
	s_wait_dscnt 0x0
	s_barrier_signal -1
	s_barrier_wait -1
	s_set_vgpr_msb 0                        ;  msbs: dst=0 src0=0 src1=0 src2=0
	v_add_nc_u64_e32 v[0:1], v[0:1], v[26:27]
	s_and_saveexec_b32 s0, vcc_lo
	s_cbranch_execz .LBB1626_238
; %bb.237:
	flat_store_b8 v[0:1], v39
.LBB1626_238:
	s_wait_xcnt 0x0
	s_or_b32 exec_lo, exec_lo, s0
	v_add_nc_u32_e32 v2, 0x100, v26
	s_set_vgpr_msb 4                        ;  msbs: dst=0 src0=0 src1=1 src2=0
	s_delay_alu instid0(VALU_DEP_1)
	v_cmp_lt_u32_e64 s0, v2, v12 /*v268*/
	s_and_saveexec_b32 s1, s0
	s_set_vgpr_msb 0                        ;  msbs: dst=0 src0=0 src1=0 src2=0
	s_cbranch_execz .LBB1626_240
; %bb.239:
	flat_store_b8 v[0:1], v38 offset:256
.LBB1626_240:
	s_wait_xcnt 0x0
	s_or_b32 exec_lo, exec_lo, s1
	v_add_nc_u32_e32 v2, 0x200, v26
	s_set_vgpr_msb 4                        ;  msbs: dst=0 src0=0 src1=1 src2=0
	s_delay_alu instid0(VALU_DEP_1)
	v_cmp_lt_u32_e64 s1, v2, v12 /*v268*/
	s_and_saveexec_b32 s2, s1
	s_set_vgpr_msb 0                        ;  msbs: dst=0 src0=0 src1=0 src2=0
	s_cbranch_execz .LBB1626_242
; %bb.241:
	flat_store_b8 v[0:1], v37 offset:512
.LBB1626_242:
	;; [unrolled: 12-line block ×7, first 2 shown]
	s_wait_xcnt 0x0
	s_or_b32 exec_lo, exec_lo, s7
	v_lshl_add_u64 v[0:1], v[8:9], 3, v[6:7]
	s_delay_alu instid0(VALU_DEP_1)
	v_lshl_add_u64 v[0:1], v[26:27], 3, v[0:1]
	s_and_saveexec_b32 s7, vcc_lo
	s_cbranch_execnz .LBB1626_302
; %bb.253:
	s_or_b32 exec_lo, exec_lo, s7
	s_and_saveexec_b32 s7, s0
	s_cbranch_execnz .LBB1626_303
.LBB1626_254:
	s_or_b32 exec_lo, exec_lo, s7
	s_and_saveexec_b32 s0, s1
	s_cbranch_execnz .LBB1626_304
.LBB1626_255:
	s_or_b32 exec_lo, exec_lo, s0
	s_and_saveexec_b32 s0, s2
	s_cbranch_execnz .LBB1626_305
.LBB1626_256:
	s_or_b32 exec_lo, exec_lo, s0
	s_and_saveexec_b32 s0, s3
	s_cbranch_execnz .LBB1626_306
.LBB1626_257:
	s_or_b32 exec_lo, exec_lo, s0
	s_and_saveexec_b32 s0, s4
	s_cbranch_execnz .LBB1626_307
.LBB1626_258:
	s_or_b32 exec_lo, exec_lo, s0
	s_and_saveexec_b32 s0, s5
	s_cbranch_execnz .LBB1626_308
.LBB1626_259:
	s_or_b32 exec_lo, exec_lo, s0
	s_and_saveexec_b32 s0, s6
	s_cbranch_execz .LBB1626_261
.LBB1626_260:
	flat_store_b64 v[0:1], v[12:13] offset:14336
.LBB1626_261:
	s_wait_xcnt 0x0
	s_or_b32 exec_lo, exec_lo, s0
                                        ; implicit-def: $vgpr268
                                        ; implicit-def: $vgpr8
                                        ; implicit-def: $vgpr10
                                        ; implicit-def: $vgpr11
                                        ; implicit-def: $vgpr0_vgpr1
                                        ; implicit-def: $vgpr2_vgpr3
                                        ; implicit-def: $vgpr4_vgpr5
                                        ; implicit-def: $vgpr6_vgpr7
                                        ; implicit-def: $vgpr12_vgpr13
                                        ; implicit-def: $vgpr9
                                        ; implicit-def: $vgpr15
                                        ; implicit-def: $vgpr14
                                        ; implicit-def: $vgpr16
.LBB1626_262:
	s_and_not1_saveexec_b32 s0, s16
	s_cbranch_execz .LBB1626_382
; %bb.263:
	s_mov_b32 s0, exec_lo
	s_set_vgpr_msb 4                        ;  msbs: dst=0 src0=0 src1=1 src2=0
	v_cmpx_lt_u32_e32 0x200, v12 /*v268*/
	s_xor_b32 s16, exec_lo, s0
	s_set_vgpr_msb 0                        ;  msbs: dst=0 src0=0 src1=0 src2=0
	s_cbranch_execz .LBB1626_323
; %bb.264:
	s_load_b64 s[0:1], s[8:9], 0x0
	s_bfe_u32 s3, ttmp6, 0x4000c
	s_bfe_u32 s5, ttmp6, 0x40010
	s_and_b32 s4, ttmp7, 0xffff
	s_add_co_i32 s3, s3, 1
	s_add_co_i32 s5, s5, 1
	s_and_b32 s2, ttmp6, 15
	s_bfe_u32 s6, ttmp6, 0x40004
	s_mul_i32 s3, ttmp9, s3
	s_mul_i32 s5, s4, s5
	s_add_co_i32 s2, s2, s3
	s_add_co_i32 s6, s6, s5
	s_cmp_eq_u32 s19, 0
	s_mov_b32 s3, 0
	s_cselect_b32 s2, ttmp9, s2
	s_cselect_b32 s4, s4, s6
	v_dual_mov_b32 v64, 1 :: v_dual_mov_b32 v19, 1
	s_wait_kmcnt 0x0
	s_cmp_lt_u32 s2, s0
	s_cselect_b32 s2, 12, 18
	s_cmp_lt_u32 s4, s1
	s_mov_b32 s1, s3
	s_cselect_b32 s0, 14, 20
	s_delay_alu instid0(SALU_CYCLE_1)
	s_add_nc_u64 s[0:1], s[8:9], s[0:1]
	s_load_u16 s4, s[0:1], 0x0
	s_wait_xcnt 0x0
	s_add_nc_u64 s[0:1], s[8:9], s[2:3]
	s_load_u16 s0, s[0:1], 0x0
	s_wait_kmcnt 0x0
	v_mad_u32_u24 v9, v15, s4, v9
	v_mov_b32_e32 v15, 1
	s_delay_alu instid0(VALU_DEP_2) | instskip(SKIP_1) | instid1(VALU_DEP_1)
	v_mad_u32 v18, v9, s0, v14
	v_mov_b32_e32 v9, 0
	v_add_nc_u64_e32 v[20:21], v[0:1], v[8:9]
	s_delay_alu instid0(VALU_DEP_3) | instskip(SKIP_1) | instid1(VALU_DEP_2)
	v_dual_mov_b32 v17, v9 :: v_dual_lshlrev_b32 v0, 2, v18
	v_mov_b32_e32 v1, v9
	v_and_b32_e32 v0, 0xffffff80, v0
	s_delay_alu instid0(VALU_DEP_3) | instskip(NEXT) | instid1(VALU_DEP_2)
	v_add_nc_u64_e32 v[20:21], v[20:21], v[16:17]
	v_or_b32_e32 v17, v0, v16
	s_delay_alu instid0(VALU_DEP_2) | instskip(SKIP_1) | instid1(VALU_DEP_2)
	v_add_nc_u64_e32 v[20:21], v[20:21], v[0:1]
	s_set_vgpr_msb 4                        ;  msbs: dst=0 src0=0 src1=1 src2=0
	v_cmp_lt_u32_e32 vcc_lo, v17, v12 /*v268*/
	s_and_saveexec_b32 s0, vcc_lo
	s_set_vgpr_msb 0                        ;  msbs: dst=0 src0=0 src1=0 src2=0
	s_cbranch_execz .LBB1626_266
; %bb.265:
	flat_load_u8 v64, v[20:21]
	v_mov_b32_e32 v15, 1
.LBB1626_266:
	s_wait_xcnt 0x0
	s_or_b32 exec_lo, exec_lo, s0
	v_dual_mov_b32 v65, v19 :: v_dual_bitop2_b32 v22, 32, v17 bitop3:0x54
	s_set_vgpr_msb 4                        ;  msbs: dst=0 src0=0 src1=1 src2=0
	s_delay_alu instid0(VALU_DEP_1)
	v_cmp_lt_u32_e64 s0, v22, v12 /*v268*/
	s_and_saveexec_b32 s1, s0
	s_set_vgpr_msb 0                        ;  msbs: dst=0 src0=0 src1=0 src2=0
	s_cbranch_execz .LBB1626_268
; %bb.267:
	flat_load_u8 v65, v[20:21] offset:32
.LBB1626_268:
	s_wait_xcnt 0x0
	s_or_b32 exec_lo, exec_lo, s1
	v_or_b32_e32 v22, 64, v17
	s_set_vgpr_msb 4                        ;  msbs: dst=0 src0=0 src1=1 src2=0
	s_delay_alu instid0(VALU_DEP_1)
	v_cmp_lt_u32_e64 s1, v22, v12 /*v268*/
	s_and_saveexec_b32 s2, s1
	s_set_vgpr_msb 0                        ;  msbs: dst=0 src0=0 src1=0 src2=0
	s_cbranch_execz .LBB1626_270
; %bb.269:
	flat_load_u8 v19, v[20:21] offset:64
.LBB1626_270:
	s_wait_xcnt 0x0
	s_or_b32 exec_lo, exec_lo, s2
	v_or_b32_e32 v17, 0x60, v17
	s_set_vgpr_msb 4                        ;  msbs: dst=0 src0=0 src1=1 src2=0
	s_delay_alu instid0(VALU_DEP_1)
	v_cmp_lt_u32_e64 s2, v17, v12 /*v268*/
	s_and_saveexec_b32 s3, s2
	s_set_vgpr_msb 0                        ;  msbs: dst=0 src0=0 src1=0 src2=0
	s_cbranch_execz .LBB1626_272
; %bb.271:
	flat_load_u8 v15, v[20:21] offset:96
.LBB1626_272:
	s_wait_xcnt 0x0
	s_or_b32 exec_lo, exec_lo, s3
	v_lshl_add_u64 v[4:5], v[8:9], 3, v[4:5]
	v_dual_mov_b32 v21, 0 :: v_dual_lshlrev_b32 v20, 3, v16
                                        ; implicit-def: $vgpr26_vgpr27
	s_delay_alu instid0(VALU_DEP_1) | instskip(NEXT) | instid1(VALU_DEP_1)
	v_add_nc_u64_e32 v[4:5], v[4:5], v[20:21]
	v_lshl_add_u64 v[0:1], v[0:1], 3, v[4:5]
	s_and_saveexec_b32 s3, vcc_lo
	s_cbranch_execnz .LBB1626_347
; %bb.273:
	s_or_b32 exec_lo, exec_lo, s3
                                        ; implicit-def: $vgpr28_vgpr29
	s_and_saveexec_b32 s3, s0
	s_cbranch_execnz .LBB1626_348
.LBB1626_274:
	s_or_b32 exec_lo, exec_lo, s3
                                        ; implicit-def: $vgpr30_vgpr31
	s_and_saveexec_b32 s0, s1
	s_cbranch_execnz .LBB1626_349
.LBB1626_275:
	s_or_b32 exec_lo, exec_lo, s0
                                        ; implicit-def: $vgpr32_vgpr33
	s_and_saveexec_b32 s0, s2
	s_cbranch_execz .LBB1626_277
.LBB1626_276:
	flat_load_b64 v[32:33], v[0:1] offset:768
.LBB1626_277:
	s_wait_xcnt 0x0
	s_or_b32 exec_lo, exec_lo, s0
	v_lshl_add_u32 v0, v14, 5, v12
	v_and_b32_e32 v1, 0x3e0, v14
	v_dual_lshrrev_b32 v82, 5, v18 :: v_dual_bitop2_b32 v4, 15, v16 bitop3:0x40
	v_sub_co_u32 v5, s2, v16, 1
	s_delay_alu instid0(VALU_DEP_4)
	v_dual_add_nc_u32 v66, 32, v0 :: v_dual_add_nc_u32 v67, 36, v0
	v_dual_add_nc_u32 v68, 40, v0 :: v_dual_add_nc_u32 v69, 44, v0
	v_dual_add_nc_u32 v70, 48, v0 :: v_dual_add_nc_u32 v71, 52, v0
	v_dual_add_nc_u32 v80, 56, v0 :: v_dual_add_nc_u32 v81, 60, v0
	v_min_u32_e32 v0, 0xe0, v1
	s_get_pc_i64 s[0:1]
	s_add_nc_u64 s[0:1], s[0:1], _ZN7rocprim17ROCPRIM_400000_NS16block_radix_sortIbLj256ELj4ElLj1ELj1ELj8ELNS0_26block_radix_rank_algorithmE2ELNS0_18block_padding_hintE2ELNS0_4arch9wavefront6targetE0EE19radix_bits_per_passE@rel64+4
	v_cmp_eq_u32_e32 vcc_lo, 0, v4
	s_load_b32 s17, s[0:1], 0x0
	s_wait_xcnt 0x0
	v_cmp_lt_u32_e64 s0, 1, v4
	v_or_b32_e32 v0, 31, v0
	v_cmp_lt_u32_e64 s1, 3, v4
	v_and_b32_e32 v1, 16, v16
	v_cmp_lt_u32_e64 s3, 7, v4
	v_cmp_gt_i32_e64 s6, 0, v5
	v_lshlrev_b32_e32 v4, 2, v14
	v_cmp_eq_u32_e64 s5, v14, v0
	v_lshrrev_b32_e32 v0, 3, v14
	v_cmp_eq_u32_e64 s4, 0, v1
	v_cndmask_b32_e64 v1, v5, v16, s6
	v_and_or_b32 v5, 0xf80, v4, v16
	v_cmp_gt_u32_e64 s6, 8, v14
	v_and_b32_e32 v0, 0x7c, v0
	v_cmp_lt_u32_e64 s7, 31, v14
	v_cmp_eq_u32_e64 s10, 0, v14
	v_add_nc_u32_e32 v85, v12, v5
	v_mul_u32_u24_e32 v5, 7, v5
	v_add_nc_u32_e32 v84, v12, v0
	v_and_b32_e32 v0, 7, v16
	v_dual_add_nc_u32 v86, v12, v4 :: v_dual_lshlrev_b32 v83, 2, v1
	s_delay_alu instid0(VALU_DEP_4) | instskip(SKIP_1) | instid1(VALU_DEP_4)
	v_dual_mov_b32 v1, 0 :: v_dual_add_nc_u32 v87, v85, v5
	v_mov_b64_e32 v[4:5], 0
	v_cmp_eq_u32_e64 s11, 0, v0
	v_cmp_lt_u32_e64 s12, 1, v0
	v_cmp_lt_u32_e64 s13, 3, v0
	v_dual_add_nc_u32 v96, -4, v84 :: v_dual_add_nc_u32 v97, 32, v85
	v_dual_add_nc_u32 v98, 64, v85 :: v_dual_sub_nc_u32 v103, v11, v10
	v_add_nc_u32_e32 v99, 0x60, v85
	v_add_nc_u32_e32 v100, 0x100, v87
	;; [unrolled: 1-line block ×4, first 2 shown]
	s_mov_b32 s20, 0
	s_wait_storecnt 0x0
	s_wait_loadcnt_dscnt 0x0
	s_barrier_signal -1
	s_barrier_wait -1
	s_branch .LBB1626_279
.LBB1626_278:                           ;   in Loop: Header=BB1626_279 Depth=1
	s_or_b32 exec_lo, exec_lo, s15
	s_delay_alu instid0(SALU_CYCLE_1) | instskip(NEXT) | instid1(SALU_CYCLE_1)
	s_and_b32 s14, exec_lo, s21
	s_or_b32 s20, s14, s20
	s_delay_alu instid0(SALU_CYCLE_1)
	s_and_not1_b32 exec_lo, exec_lo, s20
	s_cbranch_execz .LBB1626_309
.LBB1626_279:                           ; =>This Inner Loop Header: Depth=1
	s_wait_kmcnt 0x0
	v_min_u32_e32 v0, s17, v103
	v_and_b32_e32 v16, 0xff, v64
	v_mov_b64_e32 v[22:23], v[28:29]
	v_mov_b64_e32 v[20:21], v[30:31]
	ds_store_b64 v66, v[4:5]
	ds_store_b64 v68, v[4:5]
	v_lshlrev_b32_e64 v34, v0, -1
	v_lshrrev_b32_e32 v0, v10, v16
	ds_store_b64 v70, v[4:5]
	ds_store_b64 v80, v[4:5]
	s_wait_dscnt 0x0
	s_barrier_signal -1
	s_barrier_wait -1
	v_bitop3_b32 v0, v0, v34, v0 bitop3:0x30
	; wave barrier
	s_delay_alu instid0(VALU_DEP_1) | instskip(NEXT) | instid1(VALU_DEP_1)
	v_add_co_u32 v24, s14, v0, -1
	v_cndmask_b32_e64 v16, 0, 1, s14
	v_lshlrev_b32_e32 v0, 3, v0
	s_delay_alu instid0(VALU_DEP_2) | instskip(NEXT) | instid1(VALU_DEP_2)
	v_cmp_ne_u32_e64 s14, 0, v16
	v_add_lshl_u32 v0, v0, v82, 2
	v_mov_b64_e32 v[16:17], v[26:27]
	s_delay_alu instid0(VALU_DEP_3) | instskip(NEXT) | instid1(VALU_DEP_3)
	v_bitop3_b32 v28, s14, exec_lo, v24 bitop3:0x48
	v_add_nc_u64_e32 v[26:27], v[12:13], v[0:1]
	v_mov_b64_e32 v[24:25], v[32:33]
	s_delay_alu instid0(VALU_DEP_3) | instskip(SKIP_1) | instid1(VALU_DEP_4)
	v_mbcnt_lo_u32_b32 v0, v28, 0
	v_cmp_ne_u32_e64 s15, 0, v28
	v_add_nc_u64_e32 v[26:27], 32, v[26:27]
	s_delay_alu instid0(VALU_DEP_3) | instskip(SKIP_1) | instid1(SALU_CYCLE_1)
	v_cmp_eq_u32_e64 s14, 0, v0
	s_and_b32 s15, s15, s14
	s_and_saveexec_b32 s14, s15
; %bb.280:                              ;   in Loop: Header=BB1626_279 Depth=1
	v_bcnt_u32_b32 v27, v28, 0
	ds_store_b32 v26, v27
; %bb.281:                              ;   in Loop: Header=BB1626_279 Depth=1
	s_or_b32 exec_lo, exec_lo, s14
	v_and_b32_e32 v27, 0xff, v65
	v_not_b32_e32 v33, v34
	; wave barrier
	s_delay_alu instid0(VALU_DEP_2) | instskip(NEXT) | instid1(VALU_DEP_1)
	v_lshrrev_b32_e32 v27, v10, v27
	v_and_b32_e32 v27, v27, v33
	s_delay_alu instid0(VALU_DEP_1) | instskip(SKIP_1) | instid1(VALU_DEP_1)
	v_lshl_add_u32 v28, v27, 3, v82
	v_add_co_u32 v29, s14, v27, -1
	v_cndmask_b32_e64 v27, 0, 1, s14
	s_delay_alu instid0(VALU_DEP_3) | instskip(NEXT) | instid1(VALU_DEP_2)
	v_lshl_add_u32 v31, v28, 2, v12
	v_cmp_ne_u32_e64 s14, 0, v27
	ds_load_b32 v27, v31 offset:32
	; wave barrier
	v_bitop3_b32 v30, s14, exec_lo, v29 bitop3:0x48
	v_add_nc_u32_e32 v29, 32, v31
	s_delay_alu instid0(VALU_DEP_2) | instskip(SKIP_1) | instid1(VALU_DEP_2)
	v_mbcnt_lo_u32_b32 v28, v30, 0
	v_cmp_ne_u32_e64 s15, 0, v30
	v_cmp_eq_u32_e64 s14, 0, v28
	s_and_b32 s15, s15, s14
	s_delay_alu instid0(SALU_CYCLE_1)
	s_and_saveexec_b32 s14, s15
	s_cbranch_execz .LBB1626_283
; %bb.282:                              ;   in Loop: Header=BB1626_279 Depth=1
	s_wait_dscnt 0x0
	v_bcnt_u32_b32 v30, v30, v27
	ds_store_b32 v29, v30
.LBB1626_283:                           ;   in Loop: Header=BB1626_279 Depth=1
	s_or_b32 exec_lo, exec_lo, s14
	v_and_b32_e32 v30, 0xff, v19
	; wave barrier
	s_delay_alu instid0(VALU_DEP_1) | instskip(NEXT) | instid1(VALU_DEP_1)
	v_lshrrev_b32_e32 v30, v10, v30
	v_and_b32_e32 v30, v30, v33
	s_delay_alu instid0(VALU_DEP_1) | instskip(SKIP_1) | instid1(VALU_DEP_1)
	v_lshl_add_u32 v31, v30, 3, v82
	v_add_co_u32 v32, s14, v30, -1
	v_cndmask_b32_e64 v30, 0, 1, s14
	s_delay_alu instid0(VALU_DEP_3) | instskip(NEXT) | instid1(VALU_DEP_2)
	v_lshl_add_u32 v35, v31, 2, v12
	v_cmp_ne_u32_e64 s14, 0, v30
	ds_load_b32 v30, v35 offset:32
	; wave barrier
	v_bitop3_b32 v34, s14, exec_lo, v32 bitop3:0x48
	v_add_nc_u32_e32 v32, 32, v35
	s_delay_alu instid0(VALU_DEP_2) | instskip(SKIP_1) | instid1(VALU_DEP_2)
	v_mbcnt_lo_u32_b32 v31, v34, 0
	v_cmp_ne_u32_e64 s15, 0, v34
	v_cmp_eq_u32_e64 s14, 0, v31
	s_and_b32 s15, s15, s14
	s_delay_alu instid0(SALU_CYCLE_1)
	s_and_saveexec_b32 s14, s15
	s_cbranch_execz .LBB1626_285
; %bb.284:                              ;   in Loop: Header=BB1626_279 Depth=1
	s_wait_dscnt 0x0
	v_bcnt_u32_b32 v34, v34, v30
	ds_store_b32 v32, v34
.LBB1626_285:                           ;   in Loop: Header=BB1626_279 Depth=1
	s_or_b32 exec_lo, exec_lo, s14
	v_and_b32_e32 v34, 0xff, v15
	; wave barrier
	s_delay_alu instid0(VALU_DEP_1) | instskip(NEXT) | instid1(VALU_DEP_1)
	v_lshrrev_b32_e32 v34, v10, v34
	v_and_b32_e32 v33, v34, v33
	s_delay_alu instid0(VALU_DEP_1) | instskip(SKIP_1) | instid1(VALU_DEP_1)
	v_lshl_add_u32 v34, v33, 3, v82
	v_add_co_u32 v35, s14, v33, -1
	v_cndmask_b32_e64 v33, 0, 1, s14
	s_delay_alu instid0(VALU_DEP_3) | instskip(NEXT) | instid1(VALU_DEP_2)
	v_lshl_add_u32 v37, v34, 2, v12
	v_cmp_ne_u32_e64 s14, 0, v33
	ds_load_b32 v33, v37 offset:32
	; wave barrier
	v_bitop3_b32 v36, s14, exec_lo, v35 bitop3:0x48
	v_add_nc_u32_e32 v35, 32, v37
	s_delay_alu instid0(VALU_DEP_2) | instskip(SKIP_1) | instid1(VALU_DEP_2)
	v_mbcnt_lo_u32_b32 v34, v36, 0
	v_cmp_ne_u32_e64 s15, 0, v36
	v_cmp_eq_u32_e64 s14, 0, v34
	s_and_b32 s15, s15, s14
	s_delay_alu instid0(SALU_CYCLE_1)
	s_and_saveexec_b32 s14, s15
	s_cbranch_execz .LBB1626_287
; %bb.286:                              ;   in Loop: Header=BB1626_279 Depth=1
	s_wait_dscnt 0x0
	v_bcnt_u32_b32 v36, v36, v33
	ds_store_b32 v35, v36
.LBB1626_287:                           ;   in Loop: Header=BB1626_279 Depth=1
	s_or_b32 exec_lo, exec_lo, s14
	; wave barrier
	s_wait_dscnt 0x0
	s_barrier_signal -1
	s_barrier_wait -1
	ds_load_b32 v37, v66
	ds_load_b32 v38, v67
	;; [unrolled: 1-line block ×8, first 2 shown]
	s_wait_dscnt 0x6
	v_add_nc_u32_e32 v52, v38, v37
	s_wait_dscnt 0x4
	s_delay_alu instid0(VALU_DEP_1) | instskip(SKIP_1) | instid1(VALU_DEP_1)
	v_add3_u32 v52, v52, v39, v48
	s_wait_dscnt 0x2
	v_add3_u32 v52, v52, v49, v50
	s_wait_dscnt 0x0
	s_delay_alu instid0(VALU_DEP_1) | instskip(NEXT) | instid1(VALU_DEP_1)
	v_add3_u32 v51, v52, v36, v51
	v_mov_b32_dpp v52, v51 row_shr:1 row_mask:0xf bank_mask:0xf
	s_delay_alu instid0(VALU_DEP_1) | instskip(NEXT) | instid1(VALU_DEP_1)
	v_cndmask_b32_e64 v52, v52, 0, vcc_lo
	v_add_nc_u32_e32 v51, v52, v51
	s_delay_alu instid0(VALU_DEP_1) | instskip(NEXT) | instid1(VALU_DEP_1)
	v_mov_b32_dpp v52, v51 row_shr:2 row_mask:0xf bank_mask:0xf
	v_cndmask_b32_e64 v52, 0, v52, s0
	s_delay_alu instid0(VALU_DEP_1) | instskip(NEXT) | instid1(VALU_DEP_1)
	v_add_nc_u32_e32 v51, v51, v52
	v_mov_b32_dpp v52, v51 row_shr:4 row_mask:0xf bank_mask:0xf
	s_delay_alu instid0(VALU_DEP_1) | instskip(NEXT) | instid1(VALU_DEP_1)
	v_cndmask_b32_e64 v52, 0, v52, s1
	v_add_nc_u32_e32 v51, v51, v52
	s_delay_alu instid0(VALU_DEP_1) | instskip(NEXT) | instid1(VALU_DEP_1)
	v_mov_b32_dpp v52, v51 row_shr:8 row_mask:0xf bank_mask:0xf
	v_cndmask_b32_e64 v52, 0, v52, s3
	s_delay_alu instid0(VALU_DEP_1) | instskip(SKIP_3) | instid1(VALU_DEP_1)
	v_add_nc_u32_e32 v51, v51, v52
	ds_swizzle_b32 v52, v51 offset:swizzle(BROADCAST,32,15)
	s_wait_dscnt 0x0
	v_cndmask_b32_e64 v52, v52, 0, s4
	v_add_nc_u32_e32 v51, v51, v52
	s_and_saveexec_b32 s14, s5
; %bb.288:                              ;   in Loop: Header=BB1626_279 Depth=1
	ds_store_b32 v84, v51
; %bb.289:                              ;   in Loop: Header=BB1626_279 Depth=1
	s_or_b32 exec_lo, exec_lo, s14
	s_wait_dscnt 0x0
	s_barrier_signal -1
	s_barrier_wait -1
	s_and_saveexec_b32 s14, s6
	s_cbranch_execz .LBB1626_291
; %bb.290:                              ;   in Loop: Header=BB1626_279 Depth=1
	ds_load_b32 v52, v86
	s_wait_dscnt 0x0
	v_mov_b32_dpp v53, v52 row_shr:1 row_mask:0xf bank_mask:0xf
	s_delay_alu instid0(VALU_DEP_1) | instskip(NEXT) | instid1(VALU_DEP_1)
	v_cndmask_b32_e64 v53, v53, 0, s11
	v_add_nc_u32_e32 v52, v53, v52
	s_delay_alu instid0(VALU_DEP_1) | instskip(NEXT) | instid1(VALU_DEP_1)
	v_mov_b32_dpp v53, v52 row_shr:2 row_mask:0xf bank_mask:0xf
	v_cndmask_b32_e64 v53, 0, v53, s12
	s_delay_alu instid0(VALU_DEP_1) | instskip(NEXT) | instid1(VALU_DEP_1)
	v_add_nc_u32_e32 v52, v52, v53
	v_mov_b32_dpp v53, v52 row_shr:4 row_mask:0xf bank_mask:0xf
	s_delay_alu instid0(VALU_DEP_1) | instskip(NEXT) | instid1(VALU_DEP_1)
	v_cndmask_b32_e64 v53, 0, v53, s13
	v_add_nc_u32_e32 v52, v52, v53
	ds_store_b32 v86, v52
.LBB1626_291:                           ;   in Loop: Header=BB1626_279 Depth=1
	s_or_b32 exec_lo, exec_lo, s14
	v_mov_b32_e32 v52, 0
	s_wait_dscnt 0x0
	s_barrier_signal -1
	s_barrier_wait -1
	s_and_saveexec_b32 s14, s7
; %bb.292:                              ;   in Loop: Header=BB1626_279 Depth=1
	ds_load_b32 v52, v96
; %bb.293:                              ;   in Loop: Header=BB1626_279 Depth=1
	s_or_b32 exec_lo, exec_lo, s14
	s_wait_dscnt 0x0
	v_dual_add_nc_u32 v51, v52, v51 :: v_dual_mov_b32 v113, v65
	v_dual_mov_b32 v114, v19 :: v_dual_add_nc_u32 v10, 8, v10
	s_mov_b32 s21, -1
	ds_bpermute_b32 v51, v83, v51
	s_mov_b32 s15, exec_lo
	s_wait_dscnt 0x0
	v_dual_mov_b32 v112, v64 :: v_dual_cndmask_b32 v51, v51, v52, s2
	s_delay_alu instid0(VALU_DEP_1) | instskip(NEXT) | instid1(VALU_DEP_1)
	v_cndmask_b32_e64 v51, v51, 0, s10
	v_add_nc_u32_e32 v37, v51, v37
	s_delay_alu instid0(VALU_DEP_1) | instskip(NEXT) | instid1(VALU_DEP_1)
	v_add_nc_u32_e32 v38, v37, v38
	v_add_nc_u32_e32 v39, v38, v39
	s_delay_alu instid0(VALU_DEP_1) | instskip(NEXT) | instid1(VALU_DEP_1)
	v_add_nc_u32_e32 v48, v39, v48
	v_add_nc_u32_e32 v49, v48, v49
	s_delay_alu instid0(VALU_DEP_1)
	v_add_nc_u32_e32 v50, v49, v50
	ds_store_b32 v66, v51
	ds_store_b32 v67, v37
	;; [unrolled: 1-line block ×3, first 2 shown]
	v_dual_mov_b32 v37, v1 :: v_dual_add_nc_u32 v36, v50, v36
	ds_store_b32 v69, v39
	ds_store_b32 v70, v48
	;; [unrolled: 1-line block ×5, first 2 shown]
	s_wait_dscnt 0x0
	s_barrier_signal -1
	s_barrier_wait -1
	ds_load_b32 v26, v26
	ds_load_b32 v29, v29
	;; [unrolled: 1-line block ×4, first 2 shown]
	v_dual_mov_b32 v49, v1 :: v_dual_mov_b32 v39, v1
	s_wait_dscnt 0x0
	v_add_nc_u32_e32 v48, v26, v0
	v_add3_u32 v0, v28, v27, v29
	v_add3_u32 v38, v31, v30, v32
	v_add3_u32 v36, v34, v33, v35
                                        ; implicit-def: $vgpr26_vgpr27
                                        ; implicit-def: $vgpr28_vgpr29
                                        ; implicit-def: $vgpr30_vgpr31
                                        ; implicit-def: $vgpr32_vgpr33
	s_delay_alu instid0(VALU_DEP_4) | instskip(NEXT) | instid1(VALU_DEP_4)
	v_add_nc_u64_e32 v[54:55], v[12:13], v[48:49]
	v_add_nc_u64_e32 v[52:53], v[12:13], v[0:1]
	s_delay_alu instid0(VALU_DEP_4) | instskip(NEXT) | instid1(VALU_DEP_3)
	v_add_nc_u64_e32 v[50:51], v[12:13], v[38:39]
	v_mad_nc_u64_u32 v[34:35], v48, 7, v[54:55]
	v_add_nc_u64_e32 v[48:49], v[12:13], v[36:37]
	v_mov_b32_e32 v35, v15
	v_cmpx_lt_u32_e64 v10, v11
	s_cbranch_execz .LBB1626_278
; %bb.294:                              ;   in Loop: Header=BB1626_279 Depth=1
	v_mad_nc_u64_u32 v[26:27], v0, 7, v[52:53]
	v_mad_nc_u64_u32 v[28:29], v38, 7, v[50:51]
	;; [unrolled: 1-line block ×3, first 2 shown]
	s_barrier_signal -1
	s_barrier_wait -1
	ds_store_b8 v54, v64
	ds_store_b8 v52, v65
	;; [unrolled: 1-line block ×4, first 2 shown]
	s_wait_dscnt 0x0
	s_barrier_signal -1
	s_barrier_wait -1
	ds_load_u8 v15, v99
	ds_load_u8 v19, v98
	;; [unrolled: 1-line block ×4, first 2 shown]
	s_wait_dscnt 0x0
	s_barrier_signal -1
	s_barrier_wait -1
	ds_store_b64 v34, v[16:17]
	ds_store_b64 v26, v[22:23]
	ds_store_b64 v28, v[20:21]
	ds_store_b64 v30, v[24:25]
	s_wait_dscnt 0x0
	s_barrier_signal -1
	s_barrier_wait -1
	ds_load_b64 v[26:27], v87
	ds_load_b64 v[28:29], v100
	;; [unrolled: 1-line block ×4, first 2 shown]
	v_add_nc_u32_e32 v103, -8, v103
	s_xor_b32 s21, exec_lo, -1
	s_wait_dscnt 0x0
	s_barrier_signal -1
	s_barrier_wait -1
	s_branch .LBB1626_278
.LBB1626_295:
	flat_load_b64 v[34:35], v[0:1]
	s_wait_xcnt 0x0
	s_or_b32 exec_lo, exec_lo, s7
                                        ; implicit-def: $vgpr36_vgpr37
	s_and_saveexec_b32 s7, s0
	s_cbranch_execz .LBB1626_171
.LBB1626_296:
	flat_load_b64 v[36:37], v[0:1] offset:256
	s_wait_xcnt 0x0
	s_or_b32 exec_lo, exec_lo, s7
                                        ; implicit-def: $vgpr38_vgpr39
	s_and_saveexec_b32 s0, s1
	s_cbranch_execz .LBB1626_172
.LBB1626_297:
	flat_load_b64 v[38:39], v[0:1] offset:512
	s_wait_xcnt 0x0
	s_or_b32 exec_lo, exec_lo, s0
                                        ; implicit-def: $vgpr48_vgpr49
	s_and_saveexec_b32 s0, s2
	s_cbranch_execz .LBB1626_173
.LBB1626_298:
	flat_load_b64 v[48:49], v[0:1] offset:768
	s_wait_xcnt 0x0
	s_or_b32 exec_lo, exec_lo, s0
                                        ; implicit-def: $vgpr50_vgpr51
	s_and_saveexec_b32 s0, s3
	s_cbranch_execz .LBB1626_174
.LBB1626_299:
	flat_load_b64 v[50:51], v[0:1] offset:1024
	s_wait_xcnt 0x0
	s_or_b32 exec_lo, exec_lo, s0
                                        ; implicit-def: $vgpr52_vgpr53
	s_and_saveexec_b32 s0, s4
	s_cbranch_execz .LBB1626_175
.LBB1626_300:
	flat_load_b64 v[52:53], v[0:1] offset:1280
	s_wait_xcnt 0x0
	s_or_b32 exec_lo, exec_lo, s0
                                        ; implicit-def: $vgpr54_vgpr55
	s_and_saveexec_b32 s0, s5
	s_cbranch_execz .LBB1626_176
.LBB1626_301:
	flat_load_b64 v[54:55], v[0:1] offset:1536
	s_wait_xcnt 0x0
	s_or_b32 exec_lo, exec_lo, s0
                                        ; implicit-def: $vgpr64_vgpr65
	s_and_saveexec_b32 s0, s6
	s_cbranch_execnz .LBB1626_177
	s_branch .LBB1626_178
.LBB1626_302:
	flat_store_b64 v[0:1], v[22:23]
	s_wait_xcnt 0x0
	s_or_b32 exec_lo, exec_lo, s7
	s_and_saveexec_b32 s7, s0
	s_cbranch_execz .LBB1626_254
.LBB1626_303:
	flat_store_b64 v[0:1], v[24:25] offset:2048
	s_wait_xcnt 0x0
	s_or_b32 exec_lo, exec_lo, s7
	s_and_saveexec_b32 s0, s1
	s_cbranch_execz .LBB1626_255
.LBB1626_304:
	flat_store_b64 v[0:1], v[18:19] offset:4096
	s_wait_xcnt 0x0
	s_or_b32 exec_lo, exec_lo, s0
	s_and_saveexec_b32 s0, s2
	s_cbranch_execz .LBB1626_256
.LBB1626_305:
	flat_store_b64 v[0:1], v[20:21] offset:6144
	s_wait_xcnt 0x0
	s_or_b32 exec_lo, exec_lo, s0
	s_and_saveexec_b32 s0, s3
	s_cbranch_execz .LBB1626_257
.LBB1626_306:
	flat_store_b64 v[0:1], v[14:15] offset:8192
	s_wait_xcnt 0x0
	s_or_b32 exec_lo, exec_lo, s0
	s_and_saveexec_b32 s0, s4
	s_cbranch_execz .LBB1626_258
.LBB1626_307:
	flat_store_b64 v[0:1], v[16:17] offset:10240
	s_wait_xcnt 0x0
	s_or_b32 exec_lo, exec_lo, s0
	s_and_saveexec_b32 s0, s5
	s_cbranch_execz .LBB1626_259
.LBB1626_308:
	flat_store_b64 v[0:1], v[10:11] offset:12288
	s_wait_xcnt 0x0
	s_or_b32 exec_lo, exec_lo, s0
	s_and_saveexec_b32 s0, s6
	s_cbranch_execnz .LBB1626_260
	s_branch .LBB1626_261
.LBB1626_309:
	s_or_b32 exec_lo, exec_lo, s20
	v_mad_nc_u64_u32 v[0:1], v0, 7, v[52:53]
	v_mad_nc_u64_u32 v[10:11], v38, 7, v[50:51]
	v_dual_add_nc_u32 v15, v12, v14 :: v_dual_mov_b32 v19, 0
	v_mad_nc_u64_u32 v[12:13], v36, 7, v[48:49]
	v_mul_u32_u24_e32 v1, 7, v14
	s_barrier_signal -1
	s_barrier_wait -1
	ds_store_b8 v54, v112
	ds_store_b8 v52, v113
	;; [unrolled: 1-line block ×4, first 2 shown]
	s_wait_dscnt 0x0
	s_barrier_signal -1
	s_barrier_wait -1
	ds_load_u8 v27, v15
	ds_load_u8 v26, v15 offset:256
	ds_load_u8 v5, v15 offset:512
	ds_load_u8 v4, v15 offset:768
	s_wait_dscnt 0x0
	s_barrier_signal -1
	s_barrier_wait -1
	ds_store_b64 v34, v[16:17]
	ds_store_b64 v0, v[22:23]
	;; [unrolled: 1-line block ×4, first 2 shown]
	v_add_nc_u32_e32 v0, v15, v1
	s_wait_dscnt 0x0
	s_barrier_signal -1
	s_barrier_wait -1
	ds_load_2addr_stride64_b64 v[14:17], v0 offset1:4
	ds_load_2addr_stride64_b64 v[10:13], v0 offset0:8 offset1:12
	v_add_nc_u64_e32 v[0:1], v[2:3], v[8:9]
	s_set_vgpr_msb 4                        ;  msbs: dst=0 src0=0 src1=1 src2=0
	v_cmp_lt_u32_e32 vcc_lo, v18, v12 /*v268*/
	s_wait_dscnt 0x0
	s_barrier_signal -1
	s_barrier_wait -1
	s_set_vgpr_msb 0                        ;  msbs: dst=0 src0=0 src1=0 src2=0
	v_add_nc_u64_e32 v[0:1], v[0:1], v[18:19]
	s_and_saveexec_b32 s0, vcc_lo
	s_cbranch_execz .LBB1626_311
; %bb.310:
	flat_store_b8 v[0:1], v27
.LBB1626_311:
	s_wait_xcnt 0x0
	s_or_b32 exec_lo, exec_lo, s0
	v_add_nc_u32_e32 v2, 0x100, v18
	s_set_vgpr_msb 4                        ;  msbs: dst=0 src0=0 src1=1 src2=0
	s_delay_alu instid0(VALU_DEP_1)
	v_cmp_lt_u32_e64 s0, v2, v12 /*v268*/
	s_and_saveexec_b32 s1, s0
	s_set_vgpr_msb 0                        ;  msbs: dst=0 src0=0 src1=0 src2=0
	s_cbranch_execz .LBB1626_313
; %bb.312:
	flat_store_b8 v[0:1], v26 offset:256
.LBB1626_313:
	s_wait_xcnt 0x0
	s_or_b32 exec_lo, exec_lo, s1
	v_add_nc_u32_e32 v2, 0x200, v18
	s_set_vgpr_msb 4                        ;  msbs: dst=0 src0=0 src1=1 src2=0
	s_delay_alu instid0(VALU_DEP_1)
	v_cmp_lt_u32_e64 s1, v2, v12 /*v268*/
	s_and_saveexec_b32 s2, s1
	s_set_vgpr_msb 0                        ;  msbs: dst=0 src0=0 src1=0 src2=0
	s_cbranch_execz .LBB1626_315
; %bb.314:
	flat_store_b8 v[0:1], v5 offset:512
.LBB1626_315:
	;; [unrolled: 12-line block ×3, first 2 shown]
	s_wait_xcnt 0x0
	s_or_b32 exec_lo, exec_lo, s3
	v_lshl_add_u64 v[0:1], v[8:9], 3, v[6:7]
	s_delay_alu instid0(VALU_DEP_1)
	v_lshl_add_u64 v[0:1], v[18:19], 3, v[0:1]
	s_and_saveexec_b32 s3, vcc_lo
	s_cbranch_execnz .LBB1626_350
; %bb.318:
	s_or_b32 exec_lo, exec_lo, s3
	s_and_saveexec_b32 s3, s0
	s_cbranch_execnz .LBB1626_351
.LBB1626_319:
	s_or_b32 exec_lo, exec_lo, s3
	s_and_saveexec_b32 s0, s1
	s_cbranch_execnz .LBB1626_352
.LBB1626_320:
	s_or_b32 exec_lo, exec_lo, s0
	s_and_saveexec_b32 s0, s2
	s_cbranch_execz .LBB1626_322
.LBB1626_321:
	flat_store_b64 v[0:1], v[12:13] offset:6144
.LBB1626_322:
	s_wait_xcnt 0x0
	s_or_b32 exec_lo, exec_lo, s0
                                        ; implicit-def: $vgpr268
                                        ; implicit-def: $vgpr8
                                        ; implicit-def: $vgpr10
                                        ; implicit-def: $vgpr11
                                        ; implicit-def: $vgpr0_vgpr1
                                        ; implicit-def: $vgpr2_vgpr3
                                        ; implicit-def: $vgpr4_vgpr5
                                        ; implicit-def: $vgpr6_vgpr7
                                        ; implicit-def: $vgpr12_vgpr13
                                        ; implicit-def: $vgpr9
                                        ; implicit-def: $vgpr15
                                        ; implicit-def: $vgpr14
                                        ; implicit-def: $vgpr16
.LBB1626_323:
	s_and_not1_saveexec_b32 s0, s16
	s_cbranch_execz .LBB1626_382
; %bb.324:
	s_load_b64 s[0:1], s[8:9], 0x0
	s_bfe_u32 s3, ttmp6, 0x4000c
	s_bfe_u32 s5, ttmp6, 0x40010
	s_and_b32 s4, ttmp7, 0xffff
	s_add_co_i32 s3, s3, 1
	s_add_co_i32 s5, s5, 1
	s_and_b32 s2, ttmp6, 15
	s_bfe_u32 s6, ttmp6, 0x40004
	s_mul_i32 s3, ttmp9, s3
	s_mul_i32 s5, s4, s5
	s_add_co_i32 s2, s2, s3
	s_add_co_i32 s6, s6, s5
	s_cmp_eq_u32 s19, 0
	s_cselect_b32 s2, ttmp9, s2
	s_cselect_b32 s3, s4, s6
	s_wait_kmcnt 0x0
	s_cmp_lt_u32 s2, s0
	s_cselect_b32 s0, 12, 18
	s_cmp_lt_u32 s3, s1
	s_mov_b32 s1, 0
	s_cselect_b32 s2, 14, 20
	s_mov_b32 s3, s1
	s_add_nc_u64 s[0:1], s[8:9], s[0:1]
	s_add_nc_u64 s[2:3], s[8:9], s[2:3]
	s_clause 0x1
	s_load_u16 s0, s[0:1], 0x0
	s_nop 0
	s_load_u16 s2, s[2:3], 0x0
	s_wait_kmcnt 0x0
	v_mad_u32_u24 v9, v15, s2, v9
	s_delay_alu instid0(VALU_DEP_1)
	v_mad_u32 v18, v9, s0, v14
	v_mov_b32_e32 v9, 0
	s_mov_b32 s0, exec_lo
	s_set_vgpr_msb 4                        ;  msbs: dst=0 src0=0 src1=1 src2=0
	v_cmpx_lt_u32_e32 0x100, v12 /*v268*/
	s_xor_b32 s14, exec_lo, s0
	s_set_vgpr_msb 0                        ;  msbs: dst=0 src0=0 src1=0 src2=0
	s_cbranch_execz .LBB1626_362
; %bb.325:
	v_add_nc_u64_e32 v[20:21], v[0:1], v[8:9]
	s_delay_alu instid0(VALU_DEP_4) | instskip(SKIP_1) | instid1(VALU_DEP_2)
	v_dual_mov_b32 v17, v9 :: v_dual_lshlrev_b32 v0, 1, v18
	v_dual_mov_b32 v15, 1 :: v_dual_mov_b32 v19, 1
	v_and_b32_e32 v0, 0xffffffc0, v0
	s_delay_alu instid0(VALU_DEP_3) | instskip(NEXT) | instid1(VALU_DEP_2)
	v_add_nc_u64_e32 v[20:21], v[20:21], v[16:17]
	v_dual_mov_b32 v1, v9 :: v_dual_bitop2_b32 v17, v16, v0 bitop3:0x54
	s_delay_alu instid0(VALU_DEP_1) | instskip(SKIP_1) | instid1(VALU_DEP_2)
	v_add_nc_u64_e32 v[20:21], v[20:21], v[0:1]
	s_set_vgpr_msb 4                        ;  msbs: dst=0 src0=0 src1=1 src2=0
	v_cmp_lt_u32_e32 vcc_lo, v17, v12 /*v268*/
	s_and_saveexec_b32 s0, vcc_lo
	s_set_vgpr_msb 0                        ;  msbs: dst=0 src0=0 src1=0 src2=0
	s_cbranch_execz .LBB1626_327
; %bb.326:
	flat_load_u8 v19, v[20:21]
.LBB1626_327:
	s_wait_xcnt 0x0
	s_or_b32 exec_lo, exec_lo, s0
	v_or_b32_e32 v17, 32, v17
	s_set_vgpr_msb 4                        ;  msbs: dst=0 src0=0 src1=1 src2=0
	s_delay_alu instid0(VALU_DEP_1)
	v_cmp_lt_u32_e64 s0, v17, v12 /*v268*/
	s_and_saveexec_b32 s1, s0
	s_set_vgpr_msb 0                        ;  msbs: dst=0 src0=0 src1=0 src2=0
	s_cbranch_execz .LBB1626_329
; %bb.328:
	flat_load_u8 v15, v[20:21] offset:32
.LBB1626_329:
	s_wait_xcnt 0x0
	s_or_b32 exec_lo, exec_lo, s1
	v_lshl_add_u64 v[4:5], v[8:9], 3, v[4:5]
	v_dual_mov_b32 v21, 0 :: v_dual_lshlrev_b32 v20, 3, v16
	v_mov_b64_e32 v[24:25], 0
	v_mov_b64_e32 v[22:23], 0
	s_delay_alu instid0(VALU_DEP_3) | instskip(NEXT) | instid1(VALU_DEP_1)
	v_add_nc_u64_e32 v[4:5], v[4:5], v[20:21]
	v_lshl_add_u64 v[0:1], v[0:1], 3, v[4:5]
	s_and_saveexec_b32 s1, vcc_lo
	s_cbranch_execz .LBB1626_331
; %bb.330:
	flat_load_b64 v[22:23], v[0:1]
.LBB1626_331:
	s_wait_xcnt 0x0
	s_or_b32 exec_lo, exec_lo, s1
	s_and_saveexec_b32 s1, s0
	s_cbranch_execz .LBB1626_333
; %bb.332:
	flat_load_b64 v[24:25], v[0:1] offset:256
.LBB1626_333:
	s_wait_xcnt 0x0
	s_or_b32 exec_lo, exec_lo, s1
	v_lshl_add_u32 v0, v14, 5, v12
	v_and_b32_e32 v1, 0x3e0, v14
	v_dual_lshrrev_b32 v50, 5, v18 :: v_dual_bitop2_b32 v4, 15, v16 bitop3:0x40
	s_get_pc_i64 s[0:1]
	s_add_nc_u64 s[0:1], s[0:1], _ZN7rocprim17ROCPRIM_400000_NS16block_radix_sortIbLj256ELj2ElLj1ELj1ELj8ELNS0_26block_radix_rank_algorithmE2ELNS0_18block_padding_hintE2ELNS0_4arch9wavefront6targetE0EE19radix_bits_per_passE@rel64+4
	v_dual_add_nc_u32 v34, 32, v0 :: v_dual_add_nc_u32 v35, 36, v0
	v_dual_add_nc_u32 v36, 40, v0 :: v_dual_add_nc_u32 v37, 44, v0
	;; [unrolled: 1-line block ×4, first 2 shown]
	v_min_u32_e32 v0, 0xe0, v1
	s_load_b32 s15, s[0:1], 0x0
	v_cmp_eq_u32_e32 vcc_lo, 0, v4
	s_wait_xcnt 0x0
	v_cmp_lt_u32_e64 s0, 1, v4
	v_cmp_lt_u32_e64 s1, 3, v4
	v_and_b32_e32 v1, 16, v16
	v_or_b32_e32 v0, 31, v0
	v_cmp_lt_u32_e64 s2, 7, v4
	v_sub_co_u32 v4, s3, v16, 1
	v_cmp_lt_u32_e64 s7, 31, v14
	s_delay_alu instid0(VALU_DEP_4)
	v_cmp_eq_u32_e64 s5, v14, v0
	v_lshrrev_b32_e32 v0, 3, v14
	v_cmp_eq_u32_e64 s4, 0, v1
	v_lshlrev_b32_e32 v1, 1, v14
	v_cmp_gt_i32_e64 s6, 0, v4
	v_cmp_eq_u32_e64 s8, 0, v14
	v_and_b32_e32 v0, 0x7c, v0
	v_lshl_add_u32 v54, v14, 2, v12
	v_and_or_b32 v1, 0x7c0, v1, v16
	v_cndmask_b32_e64 v4, v4, v16, s6
	v_cmp_gt_u32_e64 s6, 8, v14
	v_add_nc_u32_e32 v52, v12, v0
	s_delay_alu instid0(VALU_DEP_4) | instskip(NEXT) | instid1(VALU_DEP_4)
	v_dual_add_nc_u32 v53, v12, v1 :: v_dual_bitop2_b32 v0, 7, v16 bitop3:0x40
	v_lshlrev_b32_e32 v51, 2, v4
	v_mul_u32_u24_e32 v4, 7, v1
	v_mov_b32_e32 v1, 0
	s_delay_alu instid0(VALU_DEP_4)
	v_cmp_eq_u32_e64 s9, 0, v0
	v_cmp_lt_u32_e64 s10, 1, v0
	v_cmp_lt_u32_e64 s11, 3, v0
	v_dual_add_nc_u32 v55, v53, v4 :: v_dual_add_nc_u32 v65, 32, v53
	v_mov_b64_e32 v[4:5], 0
	v_dual_add_nc_u32 v64, -4, v52 :: v_dual_sub_nc_u32 v67, v11, v10
	s_delay_alu instid0(VALU_DEP_3)
	v_add_nc_u32_e32 v66, 0x100, v55
	s_mov_b32 s16, 0
	s_wait_storecnt 0x0
	s_wait_loadcnt_dscnt 0x0
	s_barrier_signal -1
	s_barrier_wait -1
	s_branch .LBB1626_335
.LBB1626_334:                           ;   in Loop: Header=BB1626_335 Depth=1
	s_or_b32 exec_lo, exec_lo, s13
	s_delay_alu instid0(SALU_CYCLE_1) | instskip(NEXT) | instid1(SALU_CYCLE_1)
	s_and_b32 s12, exec_lo, s17
	s_or_b32 s16, s12, s16
	s_delay_alu instid0(SALU_CYCLE_1)
	s_and_not1_b32 exec_lo, exec_lo, s16
	s_cbranch_execz .LBB1626_353
.LBB1626_335:                           ; =>This Inner Loop Header: Depth=1
	s_wait_kmcnt 0x0
	v_min_u32_e32 v0, s15, v67
	v_and_b32_e32 v16, 0xff, v19
	ds_store_b64 v34, v[4:5]
	ds_store_b64 v36, v[4:5]
	;; [unrolled: 1-line block ×4, first 2 shown]
	s_wait_dscnt 0x0
	v_lshlrev_b32_e64 v26, v0, -1
	v_lshrrev_b32_e32 v0, v10, v16
	s_barrier_signal -1
	s_barrier_wait -1
	s_delay_alu instid0(VALU_DEP_1) | instskip(NEXT) | instid1(VALU_DEP_1)
	v_bitop3_b32 v0, v0, v26, v0 bitop3:0x30
	; wave barrier
	v_add_co_u32 v20, s12, v0, -1
	s_delay_alu instid0(VALU_DEP_1) | instskip(SKIP_1) | instid1(VALU_DEP_2)
	v_cndmask_b32_e64 v16, 0, 1, s12
	v_lshlrev_b32_e32 v0, 3, v0
	v_cmp_ne_u32_e64 s12, 0, v16
	s_delay_alu instid0(VALU_DEP_2) | instskip(SKIP_1) | instid1(VALU_DEP_3)
	v_add_lshl_u32 v0, v0, v50, 2
	v_mov_b64_e32 v[16:17], v[24:25]
	v_bitop3_b32 v24, s12, exec_lo, v20 bitop3:0x48
	v_mov_b64_e32 v[20:21], v[22:23]
	s_delay_alu instid0(VALU_DEP_4) | instskip(NEXT) | instid1(VALU_DEP_3)
	v_add_nc_u64_e32 v[22:23], v[12:13], v[0:1]
	v_mbcnt_lo_u32_b32 v0, v24, 0
	v_cmp_ne_u32_e64 s13, 0, v24
	s_delay_alu instid0(VALU_DEP_3) | instskip(NEXT) | instid1(VALU_DEP_3)
	v_add_nc_u64_e32 v[22:23], 32, v[22:23]
	v_cmp_eq_u32_e64 s12, 0, v0
	s_and_b32 s13, s13, s12
	s_delay_alu instid0(SALU_CYCLE_1)
	s_and_saveexec_b32 s12, s13
; %bb.336:                              ;   in Loop: Header=BB1626_335 Depth=1
	v_bcnt_u32_b32 v23, v24, 0
	ds_store_b32 v22, v23
; %bb.337:                              ;   in Loop: Header=BB1626_335 Depth=1
	s_or_b32 exec_lo, exec_lo, s12
	v_and_b32_e32 v23, 0xff, v15
	v_not_b32_e32 v24, v26
	; wave barrier
	s_delay_alu instid0(VALU_DEP_2) | instskip(NEXT) | instid1(VALU_DEP_1)
	v_lshrrev_b32_e32 v23, v10, v23
	v_and_b32_e32 v23, v23, v24
	s_delay_alu instid0(VALU_DEP_1) | instskip(SKIP_1) | instid1(VALU_DEP_1)
	v_lshl_add_u32 v24, v23, 3, v50
	v_add_co_u32 v25, s12, v23, -1
	v_cndmask_b32_e64 v23, 0, 1, s12
	s_delay_alu instid0(VALU_DEP_3) | instskip(NEXT) | instid1(VALU_DEP_2)
	v_lshl_add_u32 v27, v24, 2, v12
	v_cmp_ne_u32_e64 s12, 0, v23
	ds_load_b32 v23, v27 offset:32
	; wave barrier
	v_bitop3_b32 v26, s12, exec_lo, v25 bitop3:0x48
	v_add_nc_u32_e32 v25, 32, v27
	s_delay_alu instid0(VALU_DEP_2) | instskip(SKIP_1) | instid1(VALU_DEP_2)
	v_mbcnt_lo_u32_b32 v24, v26, 0
	v_cmp_ne_u32_e64 s13, 0, v26
	v_cmp_eq_u32_e64 s12, 0, v24
	s_and_b32 s13, s13, s12
	s_delay_alu instid0(SALU_CYCLE_1)
	s_and_saveexec_b32 s12, s13
	s_cbranch_execz .LBB1626_339
; %bb.338:                              ;   in Loop: Header=BB1626_335 Depth=1
	s_wait_dscnt 0x0
	v_bcnt_u32_b32 v26, v26, v23
	ds_store_b32 v25, v26
.LBB1626_339:                           ;   in Loop: Header=BB1626_335 Depth=1
	s_or_b32 exec_lo, exec_lo, s12
	; wave barrier
	s_wait_dscnt 0x0
	s_barrier_signal -1
	s_barrier_wait -1
	ds_load_b32 v27, v34
	ds_load_b32 v28, v35
	;; [unrolled: 1-line block ×8, first 2 shown]
	s_wait_dscnt 0x6
	v_add_nc_u32_e32 v68, v28, v27
	s_wait_dscnt 0x4
	s_delay_alu instid0(VALU_DEP_1) | instskip(SKIP_1) | instid1(VALU_DEP_1)
	v_add3_u32 v68, v68, v29, v30
	s_wait_dscnt 0x2
	v_add3_u32 v68, v68, v31, v32
	s_wait_dscnt 0x0
	s_delay_alu instid0(VALU_DEP_1) | instskip(NEXT) | instid1(VALU_DEP_1)
	v_add3_u32 v33, v68, v26, v33
	v_mov_b32_dpp v68, v33 row_shr:1 row_mask:0xf bank_mask:0xf
	s_delay_alu instid0(VALU_DEP_1) | instskip(NEXT) | instid1(VALU_DEP_1)
	v_cndmask_b32_e64 v68, v68, 0, vcc_lo
	v_add_nc_u32_e32 v33, v68, v33
	s_delay_alu instid0(VALU_DEP_1) | instskip(NEXT) | instid1(VALU_DEP_1)
	v_mov_b32_dpp v68, v33 row_shr:2 row_mask:0xf bank_mask:0xf
	v_cndmask_b32_e64 v68, 0, v68, s0
	s_delay_alu instid0(VALU_DEP_1) | instskip(NEXT) | instid1(VALU_DEP_1)
	v_add_nc_u32_e32 v33, v33, v68
	v_mov_b32_dpp v68, v33 row_shr:4 row_mask:0xf bank_mask:0xf
	s_delay_alu instid0(VALU_DEP_1) | instskip(NEXT) | instid1(VALU_DEP_1)
	v_cndmask_b32_e64 v68, 0, v68, s1
	v_add_nc_u32_e32 v33, v33, v68
	s_delay_alu instid0(VALU_DEP_1) | instskip(NEXT) | instid1(VALU_DEP_1)
	v_mov_b32_dpp v68, v33 row_shr:8 row_mask:0xf bank_mask:0xf
	v_cndmask_b32_e64 v68, 0, v68, s2
	s_delay_alu instid0(VALU_DEP_1) | instskip(SKIP_3) | instid1(VALU_DEP_1)
	v_add_nc_u32_e32 v33, v33, v68
	ds_swizzle_b32 v68, v33 offset:swizzle(BROADCAST,32,15)
	s_wait_dscnt 0x0
	v_cndmask_b32_e64 v68, v68, 0, s4
	v_add_nc_u32_e32 v33, v33, v68
	s_and_saveexec_b32 s12, s5
; %bb.340:                              ;   in Loop: Header=BB1626_335 Depth=1
	ds_store_b32 v52, v33
; %bb.341:                              ;   in Loop: Header=BB1626_335 Depth=1
	s_or_b32 exec_lo, exec_lo, s12
	s_wait_dscnt 0x0
	s_barrier_signal -1
	s_barrier_wait -1
	s_and_saveexec_b32 s12, s6
	s_cbranch_execz .LBB1626_343
; %bb.342:                              ;   in Loop: Header=BB1626_335 Depth=1
	ds_load_b32 v68, v54
	s_wait_dscnt 0x0
	v_mov_b32_dpp v69, v68 row_shr:1 row_mask:0xf bank_mask:0xf
	s_delay_alu instid0(VALU_DEP_1) | instskip(NEXT) | instid1(VALU_DEP_1)
	v_cndmask_b32_e64 v69, v69, 0, s9
	v_add_nc_u32_e32 v68, v69, v68
	s_delay_alu instid0(VALU_DEP_1) | instskip(NEXT) | instid1(VALU_DEP_1)
	v_mov_b32_dpp v69, v68 row_shr:2 row_mask:0xf bank_mask:0xf
	v_cndmask_b32_e64 v69, 0, v69, s10
	s_delay_alu instid0(VALU_DEP_1) | instskip(NEXT) | instid1(VALU_DEP_1)
	v_add_nc_u32_e32 v68, v68, v69
	v_mov_b32_dpp v69, v68 row_shr:4 row_mask:0xf bank_mask:0xf
	s_delay_alu instid0(VALU_DEP_1) | instskip(NEXT) | instid1(VALU_DEP_1)
	v_cndmask_b32_e64 v69, 0, v69, s11
	v_add_nc_u32_e32 v68, v68, v69
	ds_store_b32 v54, v68
.LBB1626_343:                           ;   in Loop: Header=BB1626_335 Depth=1
	s_or_b32 exec_lo, exec_lo, s12
	v_mov_b32_e32 v68, 0
	s_wait_dscnt 0x0
	s_barrier_signal -1
	s_barrier_wait -1
	s_and_saveexec_b32 s12, s7
; %bb.344:                              ;   in Loop: Header=BB1626_335 Depth=1
	ds_load_b32 v68, v64
; %bb.345:                              ;   in Loop: Header=BB1626_335 Depth=1
	s_or_b32 exec_lo, exec_lo, s12
	s_wait_dscnt 0x0
	v_add_nc_u32_e32 v33, v68, v33
	s_mov_b32 s17, -1
	s_mov_b32 s13, exec_lo
	v_add_nc_u32_e32 v10, 8, v10
	ds_bpermute_b32 v33, v51, v33
	s_wait_dscnt 0x0
	v_cndmask_b32_e64 v33, v33, v68, s3
	s_delay_alu instid0(VALU_DEP_1) | instskip(NEXT) | instid1(VALU_DEP_1)
	v_cndmask_b32_e64 v33, v33, 0, s8
	v_add_nc_u32_e32 v27, v33, v27
	s_delay_alu instid0(VALU_DEP_1) | instskip(NEXT) | instid1(VALU_DEP_1)
	v_add_nc_u32_e32 v28, v27, v28
	v_add_nc_u32_e32 v29, v28, v29
	s_delay_alu instid0(VALU_DEP_1) | instskip(NEXT) | instid1(VALU_DEP_1)
	v_add_nc_u32_e32 v30, v29, v30
	v_add_nc_u32_e32 v31, v30, v31
	s_delay_alu instid0(VALU_DEP_1)
	v_add_nc_u32_e32 v32, v31, v32
	ds_store_b32 v34, v33
	ds_store_b32 v35, v27
	;; [unrolled: 1-line block ×3, first 2 shown]
	v_add_nc_u32_e32 v26, v32, v26
	ds_store_b32 v37, v29
	ds_store_b32 v38, v30
	;; [unrolled: 1-line block ×5, first 2 shown]
	s_wait_dscnt 0x0
	s_barrier_signal -1
	s_barrier_wait -1
	ds_load_b32 v22, v22
	ds_load_b32 v26, v25
	v_mov_b32_e32 v25, v1
	s_wait_dscnt 0x0
	v_add_nc_u32_e32 v0, v22, v0
	v_add3_u32 v24, v24, v23, v26
                                        ; implicit-def: $vgpr22_vgpr23
	s_delay_alu instid0(VALU_DEP_2) | instskip(NEXT) | instid1(VALU_DEP_2)
	v_add_nc_u64_e32 v[30:31], v[12:13], v[0:1]
	v_add_nc_u64_e32 v[32:33], v[12:13], v[24:25]
	s_delay_alu instid0(VALU_DEP_2) | instskip(NEXT) | instid1(VALU_DEP_2)
	v_mad_nc_u64_u32 v[26:27], v0, 7, v[30:31]
	v_mad_nc_u64_u32 v[28:29], v24, 7, v[32:33]
	v_dual_mov_b32 v0, v19 :: v_dual_mov_b32 v27, v15
                                        ; implicit-def: $vgpr24_vgpr25
	v_cmpx_lt_u32_e64 v10, v11
	s_cbranch_execz .LBB1626_334
; %bb.346:                              ;   in Loop: Header=BB1626_335 Depth=1
	s_barrier_signal -1
	s_barrier_wait -1
	ds_store_b8 v30, v19
	ds_store_b8 v32, v15
	s_wait_dscnt 0x0
	s_barrier_signal -1
	s_barrier_wait -1
	ds_load_u8 v15, v65
	ds_load_u8 v19, v53
	s_wait_dscnt 0x0
	s_barrier_signal -1
	s_barrier_wait -1
	ds_store_b64 v26, v[20:21]
	ds_store_b64 v28, v[16:17]
	s_wait_dscnt 0x0
	s_barrier_signal -1
	s_barrier_wait -1
	ds_load_b64 v[22:23], v55
	ds_load_b64 v[24:25], v66
	v_add_nc_u32_e32 v67, -8, v67
	s_xor_b32 s17, exec_lo, -1
	s_wait_dscnt 0x0
	s_barrier_signal -1
	s_barrier_wait -1
	s_branch .LBB1626_334
.LBB1626_347:
	flat_load_b64 v[26:27], v[0:1]
	s_wait_xcnt 0x0
	s_or_b32 exec_lo, exec_lo, s3
                                        ; implicit-def: $vgpr28_vgpr29
	s_and_saveexec_b32 s3, s0
	s_cbranch_execz .LBB1626_274
.LBB1626_348:
	flat_load_b64 v[28:29], v[0:1] offset:256
	s_wait_xcnt 0x0
	s_or_b32 exec_lo, exec_lo, s3
                                        ; implicit-def: $vgpr30_vgpr31
	s_and_saveexec_b32 s0, s1
	s_cbranch_execz .LBB1626_275
.LBB1626_349:
	flat_load_b64 v[30:31], v[0:1] offset:512
	s_wait_xcnt 0x0
	s_or_b32 exec_lo, exec_lo, s0
                                        ; implicit-def: $vgpr32_vgpr33
	s_and_saveexec_b32 s0, s2
	s_cbranch_execnz .LBB1626_276
	s_branch .LBB1626_277
.LBB1626_350:
	flat_store_b64 v[0:1], v[14:15]
	s_wait_xcnt 0x0
	s_or_b32 exec_lo, exec_lo, s3
	s_and_saveexec_b32 s3, s0
	s_cbranch_execz .LBB1626_319
.LBB1626_351:
	flat_store_b64 v[0:1], v[16:17] offset:2048
	s_wait_xcnt 0x0
	s_or_b32 exec_lo, exec_lo, s3
	s_and_saveexec_b32 s0, s1
	s_cbranch_execz .LBB1626_320
.LBB1626_352:
	flat_store_b64 v[0:1], v[10:11] offset:4096
	s_wait_xcnt 0x0
	s_or_b32 exec_lo, exec_lo, s0
	s_and_saveexec_b32 s0, s2
	s_cbranch_execnz .LBB1626_321
	s_branch .LBB1626_322
.LBB1626_353:
	s_or_b32 exec_lo, exec_lo, s16
	s_barrier_signal -1
	s_barrier_wait -1
	ds_store_b8 v30, v0
	ds_store_b8 v32, v27
	v_dual_mov_b32 v19, 0 :: v_dual_add_nc_u32 v0, v12, v14
	v_mul_u32_u24_e32 v1, 7, v14
	s_wait_dscnt 0x0
	s_barrier_signal -1
	s_barrier_wait -1
	ds_load_u8 v5, v0
	ds_load_u8 v4, v0 offset:256
	v_add_nc_u32_e32 v0, v0, v1
	s_wait_dscnt 0x0
	s_barrier_signal -1
	s_barrier_wait -1
	ds_store_b64 v26, v[20:21]
	ds_store_b64 v28, v[16:17]
	s_wait_dscnt 0x0
	s_barrier_signal -1
	s_barrier_wait -1
	ds_load_2addr_stride64_b64 v[10:13], v0 offset1:4
	v_add_nc_u64_e32 v[0:1], v[2:3], v[8:9]
	s_set_vgpr_msb 4                        ;  msbs: dst=0 src0=0 src1=1 src2=0
	v_cmp_lt_u32_e32 vcc_lo, v18, v12 /*v268*/
	s_wait_dscnt 0x0
	s_barrier_signal -1
	s_barrier_wait -1
	s_set_vgpr_msb 0                        ;  msbs: dst=0 src0=0 src1=0 src2=0
	v_add_nc_u64_e32 v[0:1], v[0:1], v[18:19]
	s_and_saveexec_b32 s0, vcc_lo
	s_cbranch_execz .LBB1626_355
; %bb.354:
	flat_store_b8 v[0:1], v5
.LBB1626_355:
	s_wait_xcnt 0x0
	s_or_b32 exec_lo, exec_lo, s0
	v_add_nc_u32_e32 v2, 0x100, v18
	s_set_vgpr_msb 4                        ;  msbs: dst=0 src0=0 src1=1 src2=0
	s_delay_alu instid0(VALU_DEP_1)
	v_cmp_lt_u32_e64 s0, v2, v12 /*v268*/
	s_and_saveexec_b32 s1, s0
	s_set_vgpr_msb 0                        ;  msbs: dst=0 src0=0 src1=0 src2=0
	s_cbranch_execz .LBB1626_357
; %bb.356:
	flat_store_b8 v[0:1], v4 offset:256
.LBB1626_357:
	s_wait_xcnt 0x0
	s_or_b32 exec_lo, exec_lo, s1
	v_lshl_add_u64 v[0:1], v[8:9], 3, v[6:7]
	s_delay_alu instid0(VALU_DEP_1)
	v_lshl_add_u64 v[0:1], v[18:19], 3, v[0:1]
	s_and_saveexec_b32 s1, vcc_lo
	s_cbranch_execz .LBB1626_359
; %bb.358:
	flat_store_b64 v[0:1], v[10:11]
.LBB1626_359:
	s_wait_xcnt 0x0
	s_or_b32 exec_lo, exec_lo, s1
	s_and_saveexec_b32 s1, s0
	s_cbranch_execz .LBB1626_361
; %bb.360:
	flat_store_b64 v[0:1], v[12:13] offset:2048
.LBB1626_361:
	s_wait_xcnt 0x0
	s_or_b32 exec_lo, exec_lo, s1
                                        ; implicit-def: $vgpr18
                                        ; implicit-def: $vgpr8_vgpr9
                                        ; implicit-def: $vgpr268
                                        ; implicit-def: $vgpr10
                                        ; implicit-def: $vgpr11
                                        ; implicit-def: $vgpr0_vgpr1
                                        ; implicit-def: $vgpr2_vgpr3
                                        ; implicit-def: $vgpr4_vgpr5
                                        ; implicit-def: $vgpr6_vgpr7
                                        ; implicit-def: $vgpr12_vgpr13
                                        ; implicit-def: $vgpr14
                                        ; implicit-def: $vgpr16
.LBB1626_362:
	s_and_not1_saveexec_b32 s0, s14
	s_cbranch_execz .LBB1626_382
; %bb.363:
	s_delay_alu instid0(VALU_DEP_3) | instskip(NEXT) | instid1(VALU_DEP_1)
	v_and_b32_e32 v22, 0xffffffe0, v18
	v_dual_mov_b32 v39, 1 :: v_dual_bitop2_b32 v15, v16, v22 bitop3:0x54
	s_set_vgpr_msb 4                        ;  msbs: dst=0 src0=0 src1=1 src2=0
	s_delay_alu instid0(VALU_DEP_1)
	v_cmp_lt_u32_e32 vcc_lo, v15, v12 /*v268*/
	s_and_saveexec_b32 s0, vcc_lo
	s_set_vgpr_msb 0                        ;  msbs: dst=0 src0=0 src1=0 src2=0
	s_cbranch_execz .LBB1626_365
; %bb.364:
	v_add_nc_u64_e32 v[0:1], v[0:1], v[8:9]
	v_mov_b32_e32 v17, 0
	s_delay_alu instid0(VALU_DEP_1) | instskip(NEXT) | instid1(VALU_DEP_3)
	v_mov_b32_e32 v23, v17
	v_add_nc_u64_e32 v[0:1], v[0:1], v[16:17]
	s_delay_alu instid0(VALU_DEP_1)
	v_add_nc_u64_e32 v[0:1], v[0:1], v[22:23]
	flat_load_u8 v39, v[0:1]
.LBB1626_365:
	s_wait_xcnt 0x0
	s_or_b32 exec_lo, exec_lo, s0
                                        ; implicit-def: $vgpr20_vgpr21
	s_and_saveexec_b32 s0, vcc_lo
	s_cbranch_execz .LBB1626_367
; %bb.366:
	v_lshl_add_u64 v[0:1], v[8:9], 3, v[4:5]
	v_dual_mov_b32 v5, 0 :: v_dual_lshlrev_b32 v4, 3, v16
	s_delay_alu instid0(VALU_DEP_1) | instskip(SKIP_1) | instid1(VALU_DEP_1)
	v_add_nc_u64_e32 v[0:1], v[0:1], v[4:5]
	v_mov_b32_e32 v23, v5
	v_lshl_add_u64 v[0:1], v[22:23], 3, v[0:1]
	flat_load_b64 v[20:21], v[0:1]
.LBB1626_367:
	s_wait_xcnt 0x0
	s_or_b32 exec_lo, exec_lo, s0
	v_lshl_add_u32 v0, v14, 5, v12
	v_sub_co_u32 v17, s2, v16, 1
	v_dual_lshrrev_b32 v30, 5, v18 :: v_dual_bitop2_b32 v1, 15, v16 bitop3:0x40
	s_delay_alu instid0(VALU_DEP_3)
	v_dual_add_nc_u32 v15, 32, v0 :: v_dual_add_nc_u32 v19, 36, v0
	v_dual_add_nc_u32 v24, 40, v0 :: v_dual_add_nc_u32 v25, 44, v0
	v_dual_add_nc_u32 v26, 48, v0 :: v_dual_add_nc_u32 v27, 52, v0
	v_dual_add_nc_u32 v28, 56, v0 :: v_dual_add_nc_u32 v29, 60, v0
	v_and_b32_e32 v0, 0x3e0, v14
	v_and_b32_e32 v5, 16, v16
	v_cmp_gt_i32_e64 s5, 0, v17
	s_get_pc_i64 s[0:1]
	s_add_nc_u64 s[0:1], s[0:1], _ZN7rocprim17ROCPRIM_400000_NS16block_radix_sortIbLj256ELj1ElLj1ELj1ELj8ELNS0_26block_radix_rank_algorithmE2ELNS0_18block_padding_hintE2ELNS0_4arch9wavefront6targetE0EE19radix_bits_per_passE@rel64+4
	v_cmp_eq_u32_e32 vcc_lo, 0, v1
	v_min_u32_e32 v4, 0xe0, v0
	s_load_b32 s14, s[0:1], 0x0
	s_wait_xcnt 0x0
	v_cmp_lt_u32_e64 s0, 1, v1
	v_cmp_lt_u32_e64 s1, 3, v1
	;; [unrolled: 1-line block ×3, first 2 shown]
	v_dual_lshrrev_b32 v4, 3, v14 :: v_dual_bitop2_b32 v1, 31, v4 bitop3:0x54
	v_cmp_eq_u32_e64 s4, 0, v5
	v_cndmask_b32_e64 v5, v17, v16, s5
	v_or_b32_e32 v0, v16, v0
	v_cmp_gt_u32_e64 s6, 8, v14
	v_cmp_lt_u32_e64 s7, 31, v14
	v_cmp_eq_u32_e64 s8, 0, v14
	v_lshlrev_b32_e32 v31, 2, v5
	v_cmp_eq_u32_e64 s5, v14, v1
	v_and_b32_e32 v1, 0x7c, v4
	v_and_b32_e32 v4, 7, v16
	v_lshl_add_u32 v33, v14, 2, v12
	v_sub_nc_u32_e32 v37, v11, v10
	s_mov_b32 s15, 0
	v_dual_mov_b32 v1, 0 :: v_dual_add_nc_u32 v32, v12, v1
	v_add_nc_u32_e32 v34, v12, v0
	v_mul_u32_u24_e32 v0, 7, v0
	v_cmp_eq_u32_e64 s9, 0, v4
	v_cmp_lt_u32_e64 s10, 1, v4
	v_cmp_lt_u32_e64 s11, 3, v4
	v_mov_b64_e32 v[4:5], 0
	v_add_nc_u32_e32 v35, -4, v32
	v_add_nc_u32_e32 v36, v34, v0
	s_wait_storecnt 0x0
	s_wait_loadcnt_dscnt 0x0
	s_barrier_signal -1
	s_barrier_wait -1
	s_branch .LBB1626_369
.LBB1626_368:                           ;   in Loop: Header=BB1626_369 Depth=1
	s_or_b32 exec_lo, exec_lo, s13
	s_delay_alu instid0(SALU_CYCLE_1) | instskip(NEXT) | instid1(SALU_CYCLE_1)
	s_and_b32 s12, exec_lo, s16
	s_or_b32 s15, s12, s15
	s_delay_alu instid0(SALU_CYCLE_1)
	s_and_not1_b32 exec_lo, exec_lo, s15
	s_cbranch_execz .LBB1626_379
.LBB1626_369:                           ; =>This Inner Loop Header: Depth=1
	v_mov_b32_e32 v38, v39
	s_wait_kmcnt 0x0
	v_min_u32_e32 v16, s14, v37
	ds_store_b64 v15, v[4:5]
	ds_store_b64 v24, v[4:5]
	;; [unrolled: 1-line block ×4, first 2 shown]
	s_wait_dscnt 0x0
	v_and_b32_e32 v0, 0xff, v38
	s_barrier_signal -1
	s_barrier_wait -1
	s_delay_alu instid0(VALU_DEP_1) | instskip(NEXT) | instid1(VALU_DEP_1)
	v_lshrrev_b32_e32 v0, v10, v0
	; wave barrier
	v_bfe_u32 v0, v0, 0, v16
	s_delay_alu instid0(VALU_DEP_1) | instskip(NEXT) | instid1(VALU_DEP_1)
	v_add_co_u32 v16, s12, v0, -1
	v_cndmask_b32_e64 v17, 0, 1, s12
	v_lshlrev_b32_e32 v0, 3, v0
	s_delay_alu instid0(VALU_DEP_2) | instskip(NEXT) | instid1(VALU_DEP_2)
	v_cmp_ne_u32_e64 s12, 0, v17
	v_add_lshl_u32 v0, v0, v30, 2
	s_delay_alu instid0(VALU_DEP_2) | instskip(SKIP_1) | instid1(VALU_DEP_3)
	v_bitop3_b32 v22, s12, exec_lo, v16 bitop3:0x48
	v_mov_b64_e32 v[16:17], v[20:21]
	v_add_nc_u64_e32 v[20:21], v[12:13], v[0:1]
	s_delay_alu instid0(VALU_DEP_3) | instskip(SKIP_1) | instid1(VALU_DEP_3)
	v_mbcnt_lo_u32_b32 v0, v22, 0
	v_cmp_ne_u32_e64 s13, 0, v22
	v_add_nc_u64_e32 v[20:21], 32, v[20:21]
	s_delay_alu instid0(VALU_DEP_3) | instskip(SKIP_1) | instid1(SALU_CYCLE_1)
	v_cmp_eq_u32_e64 s12, 0, v0
	s_and_b32 s13, s13, s12
	s_and_saveexec_b32 s12, s13
; %bb.370:                              ;   in Loop: Header=BB1626_369 Depth=1
	v_bcnt_u32_b32 v21, v22, 0
	ds_store_b32 v20, v21
; %bb.371:                              ;   in Loop: Header=BB1626_369 Depth=1
	s_or_b32 exec_lo, exec_lo, s12
	; wave barrier
	s_wait_dscnt 0x0
	s_barrier_signal -1
	s_barrier_wait -1
	ds_load_b32 v22, v15
	ds_load_b32 v23, v19
	;; [unrolled: 1-line block ×8, first 2 shown]
	s_wait_dscnt 0x6
	v_add_nc_u32_e32 v52, v23, v22
	s_wait_dscnt 0x4
	s_delay_alu instid0(VALU_DEP_1) | instskip(SKIP_1) | instid1(VALU_DEP_1)
	v_add3_u32 v52, v52, v39, v48
	s_wait_dscnt 0x2
	v_add3_u32 v52, v52, v49, v50
	s_wait_dscnt 0x0
	s_delay_alu instid0(VALU_DEP_1) | instskip(NEXT) | instid1(VALU_DEP_1)
	v_add3_u32 v51, v52, v21, v51
	v_mov_b32_dpp v52, v51 row_shr:1 row_mask:0xf bank_mask:0xf
	s_delay_alu instid0(VALU_DEP_1) | instskip(NEXT) | instid1(VALU_DEP_1)
	v_cndmask_b32_e64 v52, v52, 0, vcc_lo
	v_add_nc_u32_e32 v51, v52, v51
	s_delay_alu instid0(VALU_DEP_1) | instskip(NEXT) | instid1(VALU_DEP_1)
	v_mov_b32_dpp v52, v51 row_shr:2 row_mask:0xf bank_mask:0xf
	v_cndmask_b32_e64 v52, 0, v52, s0
	s_delay_alu instid0(VALU_DEP_1) | instskip(NEXT) | instid1(VALU_DEP_1)
	v_add_nc_u32_e32 v51, v51, v52
	v_mov_b32_dpp v52, v51 row_shr:4 row_mask:0xf bank_mask:0xf
	s_delay_alu instid0(VALU_DEP_1) | instskip(NEXT) | instid1(VALU_DEP_1)
	v_cndmask_b32_e64 v52, 0, v52, s1
	v_add_nc_u32_e32 v51, v51, v52
	s_delay_alu instid0(VALU_DEP_1) | instskip(NEXT) | instid1(VALU_DEP_1)
	v_mov_b32_dpp v52, v51 row_shr:8 row_mask:0xf bank_mask:0xf
	v_cndmask_b32_e64 v52, 0, v52, s3
	s_delay_alu instid0(VALU_DEP_1) | instskip(SKIP_3) | instid1(VALU_DEP_1)
	v_add_nc_u32_e32 v51, v51, v52
	ds_swizzle_b32 v52, v51 offset:swizzle(BROADCAST,32,15)
	s_wait_dscnt 0x0
	v_cndmask_b32_e64 v52, v52, 0, s4
	v_add_nc_u32_e32 v51, v51, v52
	s_and_saveexec_b32 s12, s5
; %bb.372:                              ;   in Loop: Header=BB1626_369 Depth=1
	ds_store_b32 v32, v51
; %bb.373:                              ;   in Loop: Header=BB1626_369 Depth=1
	s_or_b32 exec_lo, exec_lo, s12
	s_wait_dscnt 0x0
	s_barrier_signal -1
	s_barrier_wait -1
	s_and_saveexec_b32 s12, s6
	s_cbranch_execz .LBB1626_375
; %bb.374:                              ;   in Loop: Header=BB1626_369 Depth=1
	ds_load_b32 v52, v33
	s_wait_dscnt 0x0
	v_mov_b32_dpp v53, v52 row_shr:1 row_mask:0xf bank_mask:0xf
	s_delay_alu instid0(VALU_DEP_1) | instskip(NEXT) | instid1(VALU_DEP_1)
	v_cndmask_b32_e64 v53, v53, 0, s9
	v_add_nc_u32_e32 v52, v53, v52
	s_delay_alu instid0(VALU_DEP_1) | instskip(NEXT) | instid1(VALU_DEP_1)
	v_mov_b32_dpp v53, v52 row_shr:2 row_mask:0xf bank_mask:0xf
	v_cndmask_b32_e64 v53, 0, v53, s10
	s_delay_alu instid0(VALU_DEP_1) | instskip(NEXT) | instid1(VALU_DEP_1)
	v_add_nc_u32_e32 v52, v52, v53
	v_mov_b32_dpp v53, v52 row_shr:4 row_mask:0xf bank_mask:0xf
	s_delay_alu instid0(VALU_DEP_1) | instskip(NEXT) | instid1(VALU_DEP_1)
	v_cndmask_b32_e64 v53, 0, v53, s11
	v_add_nc_u32_e32 v52, v52, v53
	ds_store_b32 v33, v52
.LBB1626_375:                           ;   in Loop: Header=BB1626_369 Depth=1
	s_or_b32 exec_lo, exec_lo, s12
	v_mov_b32_e32 v52, 0
	s_wait_dscnt 0x0
	s_barrier_signal -1
	s_barrier_wait -1
	s_and_saveexec_b32 s12, s7
; %bb.376:                              ;   in Loop: Header=BB1626_369 Depth=1
	ds_load_b32 v52, v35
; %bb.377:                              ;   in Loop: Header=BB1626_369 Depth=1
	s_or_b32 exec_lo, exec_lo, s12
	s_wait_dscnt 0x0
	v_dual_add_nc_u32 v51, v52, v51 :: v_dual_add_nc_u32 v10, 8, v10
	s_mov_b32 s16, -1
	s_mov_b32 s13, exec_lo
	ds_bpermute_b32 v51, v31, v51
	s_wait_dscnt 0x0
	v_cndmask_b32_e64 v51, v51, v52, s2
	s_delay_alu instid0(VALU_DEP_1) | instskip(NEXT) | instid1(VALU_DEP_1)
	v_cndmask_b32_e64 v51, v51, 0, s8
	v_add_nc_u32_e32 v22, v51, v22
	s_delay_alu instid0(VALU_DEP_1) | instskip(NEXT) | instid1(VALU_DEP_1)
	v_add_nc_u32_e32 v23, v22, v23
	v_add_nc_u32_e32 v39, v23, v39
	s_delay_alu instid0(VALU_DEP_1) | instskip(NEXT) | instid1(VALU_DEP_1)
	v_add_nc_u32_e32 v48, v39, v48
	v_add_nc_u32_e32 v49, v48, v49
	ds_store_b32 v15, v51
	ds_store_b32 v19, v22
	;; [unrolled: 1-line block ×3, first 2 shown]
	v_add_nc_u32_e32 v50, v49, v50
	s_delay_alu instid0(VALU_DEP_1)
	v_add_nc_u32_e32 v21, v50, v21
	ds_store_b32 v25, v39
	ds_store_b32 v26, v48
	;; [unrolled: 1-line block ×5, first 2 shown]
	s_wait_dscnt 0x0
	s_barrier_signal -1
	s_barrier_wait -1
	ds_load_b32 v20, v20
	s_wait_dscnt 0x0
                                        ; implicit-def: $vgpr39
	v_add_nc_u32_e32 v0, v20, v0
                                        ; implicit-def: $vgpr20_vgpr21
	s_delay_alu instid0(VALU_DEP_1)
	v_add_nc_u64_e32 v[22:23], v[12:13], v[0:1]
	v_cmpx_lt_u32_e64 v10, v11
	s_cbranch_execz .LBB1626_368
; %bb.378:                              ;   in Loop: Header=BB1626_369 Depth=1
	s_delay_alu instid0(VALU_DEP_2)
	v_mad_nc_u64_u32 v[20:21], v0, 7, v[22:23]
	s_barrier_signal -1
	s_barrier_wait -1
	ds_store_b8 v22, v38
	s_wait_dscnt 0x0
	s_barrier_signal -1
	s_barrier_wait -1
	ds_load_u8 v39, v34
	s_wait_dscnt 0x0
	s_barrier_signal -1
	s_barrier_wait -1
	ds_store_b64 v20, v[16:17]
	s_wait_dscnt 0x0
	s_barrier_signal -1
	s_barrier_wait -1
	ds_load_b64 v[20:21], v36
	v_add_nc_u32_e32 v37, -8, v37
	s_xor_b32 s16, exec_lo, -1
	s_wait_dscnt 0x0
	s_barrier_signal -1
	s_barrier_wait -1
	s_branch .LBB1626_368
.LBB1626_379:
	s_or_b32 exec_lo, exec_lo, s15
	v_mad_nc_u64_u32 v[0:1], v0, 7, v[22:23]
	v_add_nc_u32_e32 v5, v12, v14
	v_mul_u32_u24_e32 v1, 7, v14
	s_barrier_signal -1
	s_barrier_wait -1
	ds_store_b8 v22, v38
	s_wait_dscnt 0x0
	s_barrier_signal -1
	s_barrier_wait -1
	ds_load_u8 v4, v5
	s_wait_dscnt 0x0
	s_barrier_signal -1
	s_barrier_wait -1
	ds_store_b64 v0, v[16:17]
	v_add_nc_u32_e32 v0, v5, v1
	s_wait_dscnt 0x0
	s_barrier_signal -1
	s_barrier_wait -1
	ds_load_b64 v[0:1], v0
	s_mov_b32 s0, exec_lo
	s_wait_dscnt 0x0
	s_barrier_signal -1
	s_barrier_wait -1
	s_set_vgpr_msb 4                        ;  msbs: dst=0 src0=0 src1=1 src2=0
	v_cmpx_lt_u32_e64 v18, v12 /*v268*/
	s_set_vgpr_msb 0                        ;  msbs: dst=0 src0=0 src1=0 src2=0
	s_cbranch_execz .LBB1626_381
; %bb.380:
	v_add_nc_u64_e32 v[2:3], v[2:3], v[8:9]
	v_mov_b32_e32 v19, 0
	v_lshl_add_u64 v[6:7], v[8:9], 3, v[6:7]
	s_delay_alu instid0(VALU_DEP_1) | instskip(NEXT) | instid1(VALU_DEP_4)
	v_lshl_add_u64 v[6:7], v[18:19], 3, v[6:7]
	v_add_nc_u64_e32 v[2:3], v[2:3], v[18:19]
	flat_store_b8 v[2:3], v4
	flat_store_b64 v[6:7], v[0:1]
.LBB1626_381:
	s_wait_xcnt 0x0
	s_or_b32 exec_lo, exec_lo, s0
.LBB1626_382:
	s_delay_alu instid0(SALU_CYCLE_1)
	s_or_b32 exec_lo, exec_lo, s18
	s_wait_dscnt 0x0
	s_set_pc_i64 s[30:31]
.Lfunc_end1626:
	.size	_ZN7rocprim17ROCPRIM_400000_NS6detail40segmented_radix_sort_single_block_helperIblLj256ELj17ELb0EE4sortIPKbPbPKlPlEEbT_T0_T1_T2_jjjjRNS3_12storage_typeE, .Lfunc_end1626-_ZN7rocprim17ROCPRIM_400000_NS6detail40segmented_radix_sort_single_block_helperIblLj256ELj17ELb0EE4sortIPKbPbPKlPlEEbT_T0_T1_T2_jjjjRNS3_12storage_typeE
                                        ; -- End function
	.set .L_ZN7rocprim17ROCPRIM_400000_NS6detail40segmented_radix_sort_single_block_helperIblLj256ELj17ELb0EE4sortIPKbPbPKlPlEEbT_T0_T1_T2_jjjjRNS3_12storage_typeE.num_vgpr, 319
	.set .L_ZN7rocprim17ROCPRIM_400000_NS6detail40segmented_radix_sort_single_block_helperIblLj256ELj17ELb0EE4sortIPKbPbPKlPlEEbT_T0_T1_T2_jjjjRNS3_12storage_typeE.num_agpr, 0
	.set .L_ZN7rocprim17ROCPRIM_400000_NS6detail40segmented_radix_sort_single_block_helperIblLj256ELj17ELb0EE4sortIPKbPbPKlPlEEbT_T0_T1_T2_jjjjRNS3_12storage_typeE.numbered_sgpr, 32
	.set .L_ZN7rocprim17ROCPRIM_400000_NS6detail40segmented_radix_sort_single_block_helperIblLj256ELj17ELb0EE4sortIPKbPbPKlPlEEbT_T0_T1_T2_jjjjRNS3_12storage_typeE.num_named_barrier, 0
	.set .L_ZN7rocprim17ROCPRIM_400000_NS6detail40segmented_radix_sort_single_block_helperIblLj256ELj17ELb0EE4sortIPKbPbPKlPlEEbT_T0_T1_T2_jjjjRNS3_12storage_typeE.private_seg_size, 0
	.set .L_ZN7rocprim17ROCPRIM_400000_NS6detail40segmented_radix_sort_single_block_helperIblLj256ELj17ELb0EE4sortIPKbPbPKlPlEEbT_T0_T1_T2_jjjjRNS3_12storage_typeE.uses_vcc, 1
	.set .L_ZN7rocprim17ROCPRIM_400000_NS6detail40segmented_radix_sort_single_block_helperIblLj256ELj17ELb0EE4sortIPKbPbPKlPlEEbT_T0_T1_T2_jjjjRNS3_12storage_typeE.uses_flat_scratch, 0
	.set .L_ZN7rocprim17ROCPRIM_400000_NS6detail40segmented_radix_sort_single_block_helperIblLj256ELj17ELb0EE4sortIPKbPbPKlPlEEbT_T0_T1_T2_jjjjRNS3_12storage_typeE.has_dyn_sized_stack, 0
	.set .L_ZN7rocprim17ROCPRIM_400000_NS6detail40segmented_radix_sort_single_block_helperIblLj256ELj17ELb0EE4sortIPKbPbPKlPlEEbT_T0_T1_T2_jjjjRNS3_12storage_typeE.has_recursion, 0
	.set .L_ZN7rocprim17ROCPRIM_400000_NS6detail40segmented_radix_sort_single_block_helperIblLj256ELj17ELb0EE4sortIPKbPbPKlPlEEbT_T0_T1_T2_jjjjRNS3_12storage_typeE.has_indirect_call, 0
	.section	.AMDGPU.csdata,"",@progbits
; Function info:
; codeLenInByte = 22956
; TotalNumSgprs: 34
; NumVgprs: 319
; ScratchSize: 0
; MemoryBound: 1
	.section	.text._ZN7rocprim17ROCPRIM_400000_NS6detail17trampoline_kernelINS0_14default_configENS1_36segmented_radix_sort_config_selectorIblEEZNS1_25segmented_radix_sort_implIS3_Lb0EPKbPbPKlPlN2at6native12_GLOBAL__N_18offset_tEEE10hipError_tPvRmT1_PNSt15iterator_traitsISK_E10value_typeET2_T3_PNSL_ISQ_E10value_typeET4_jRbjT5_SW_jjP12ihipStream_tbEUlT_E_NS1_11comp_targetILNS1_3genE0ELNS1_11target_archE4294967295ELNS1_3gpuE0ELNS1_3repE0EEENS1_30default_config_static_selectorELNS0_4arch9wavefront6targetE0EEEvSK_,"axG",@progbits,_ZN7rocprim17ROCPRIM_400000_NS6detail17trampoline_kernelINS0_14default_configENS1_36segmented_radix_sort_config_selectorIblEEZNS1_25segmented_radix_sort_implIS3_Lb0EPKbPbPKlPlN2at6native12_GLOBAL__N_18offset_tEEE10hipError_tPvRmT1_PNSt15iterator_traitsISK_E10value_typeET2_T3_PNSL_ISQ_E10value_typeET4_jRbjT5_SW_jjP12ihipStream_tbEUlT_E_NS1_11comp_targetILNS1_3genE0ELNS1_11target_archE4294967295ELNS1_3gpuE0ELNS1_3repE0EEENS1_30default_config_static_selectorELNS0_4arch9wavefront6targetE0EEEvSK_,comdat
	.globl	_ZN7rocprim17ROCPRIM_400000_NS6detail17trampoline_kernelINS0_14default_configENS1_36segmented_radix_sort_config_selectorIblEEZNS1_25segmented_radix_sort_implIS3_Lb0EPKbPbPKlPlN2at6native12_GLOBAL__N_18offset_tEEE10hipError_tPvRmT1_PNSt15iterator_traitsISK_E10value_typeET2_T3_PNSL_ISQ_E10value_typeET4_jRbjT5_SW_jjP12ihipStream_tbEUlT_E_NS1_11comp_targetILNS1_3genE0ELNS1_11target_archE4294967295ELNS1_3gpuE0ELNS1_3repE0EEENS1_30default_config_static_selectorELNS0_4arch9wavefront6targetE0EEEvSK_ ; -- Begin function _ZN7rocprim17ROCPRIM_400000_NS6detail17trampoline_kernelINS0_14default_configENS1_36segmented_radix_sort_config_selectorIblEEZNS1_25segmented_radix_sort_implIS3_Lb0EPKbPbPKlPlN2at6native12_GLOBAL__N_18offset_tEEE10hipError_tPvRmT1_PNSt15iterator_traitsISK_E10value_typeET2_T3_PNSL_ISQ_E10value_typeET4_jRbjT5_SW_jjP12ihipStream_tbEUlT_E_NS1_11comp_targetILNS1_3genE0ELNS1_11target_archE4294967295ELNS1_3gpuE0ELNS1_3repE0EEENS1_30default_config_static_selectorELNS0_4arch9wavefront6targetE0EEEvSK_
	.p2align	8
	.type	_ZN7rocprim17ROCPRIM_400000_NS6detail17trampoline_kernelINS0_14default_configENS1_36segmented_radix_sort_config_selectorIblEEZNS1_25segmented_radix_sort_implIS3_Lb0EPKbPbPKlPlN2at6native12_GLOBAL__N_18offset_tEEE10hipError_tPvRmT1_PNSt15iterator_traitsISK_E10value_typeET2_T3_PNSL_ISQ_E10value_typeET4_jRbjT5_SW_jjP12ihipStream_tbEUlT_E_NS1_11comp_targetILNS1_3genE0ELNS1_11target_archE4294967295ELNS1_3gpuE0ELNS1_3repE0EEENS1_30default_config_static_selectorELNS0_4arch9wavefront6targetE0EEEvSK_,@function
_ZN7rocprim17ROCPRIM_400000_NS6detail17trampoline_kernelINS0_14default_configENS1_36segmented_radix_sort_config_selectorIblEEZNS1_25segmented_radix_sort_implIS3_Lb0EPKbPbPKlPlN2at6native12_GLOBAL__N_18offset_tEEE10hipError_tPvRmT1_PNSt15iterator_traitsISK_E10value_typeET2_T3_PNSL_ISQ_E10value_typeET4_jRbjT5_SW_jjP12ihipStream_tbEUlT_E_NS1_11comp_targetILNS1_3genE0ELNS1_11target_archE4294967295ELNS1_3gpuE0ELNS1_3repE0EEENS1_30default_config_static_selectorELNS0_4arch9wavefront6targetE0EEEvSK_: ; @_ZN7rocprim17ROCPRIM_400000_NS6detail17trampoline_kernelINS0_14default_configENS1_36segmented_radix_sort_config_selectorIblEEZNS1_25segmented_radix_sort_implIS3_Lb0EPKbPbPKlPlN2at6native12_GLOBAL__N_18offset_tEEE10hipError_tPvRmT1_PNSt15iterator_traitsISK_E10value_typeET2_T3_PNSL_ISQ_E10value_typeET4_jRbjT5_SW_jjP12ihipStream_tbEUlT_E_NS1_11comp_targetILNS1_3genE0ELNS1_11target_archE4294967295ELNS1_3gpuE0ELNS1_3repE0EEENS1_30default_config_static_selectorELNS0_4arch9wavefront6targetE0EEEvSK_
; %bb.0:
	s_load_b64 s[8:9], s[2:3], 0x38
	s_bfe_u32 s4, ttmp6, 0x4000c
	s_and_b32 s5, ttmp6, 15
	s_add_co_i32 s4, s4, 1
	s_getreg_b32 s28, hwreg(HW_REG_IB_STS2, 6, 4)
	s_mul_i32 s4, ttmp9, s4
	s_mov_b32 s32, 0
	s_add_co_i32 s5, s5, s4
	s_cmp_eq_u32 s28, 0
	s_cselect_b32 s51, ttmp9, s5
	s_load_b128 s[4:7], s[2:3], 0x40
	s_wait_kmcnt 0x0
	s_load_b32 s10, s[8:9], s51 offset:0x0 scale_offset
	s_wait_kmcnt 0x0
	s_add_co_i32 s54, s10, s7
	s_add_co_i32 s55, s10, s5
	s_mul_i32 s54, s54, s6
	s_mul_i32 s55, s55, s4
	s_delay_alu instid0(SALU_CYCLE_1)
	s_cmp_le_u32 s54, s55
	s_cbranch_scc1 .LBB1627_1254
; %bb.1:
	s_clause 0x3
	s_load_b32 s4, s[2:3], 0x30
	s_load_b128 s[44:47], s[2:3], 0x20
	s_load_b96 s[48:50], s[2:3], 0x50
	s_load_b256 s[36:43], s[2:3], 0x0
	s_wait_kmcnt 0x0
	s_bitcmp1_b32 s4, 0
	s_mov_b32 s4, -1
	s_cselect_b32 s56, -1, 0
	s_sub_co_i32 s57, s54, s55
	s_delay_alu instid0(SALU_CYCLE_1)
	s_cmp_lt_u32 s57, 0x1101
	s_cbranch_scc0 .LBB1627_7
; %bb.2:
	v_cndmask_b32_e64 v1, 0, 1, s56
	s_and_b32 s4, s48, 1
	s_get_pc_i64 s[22:23]
	s_add_nc_u64 s[22:23], s[22:23], _ZN7rocprim17ROCPRIM_400000_NS6detail40segmented_radix_sort_single_block_helperIblLj256ELj17ELb0EE4sortIPKbPbPKlPlEEbT_T0_T1_T2_jjjjRNS3_12storage_typeE@rel64+4
	s_delay_alu instid0(VALU_DEP_1)
	v_cmp_ne_u32_e32 vcc_lo, s4, v1
	s_mov_b32 s4, -1
	s_cbranch_vccnz .LBB1627_4
; %bb.3:
	s_mov_b64 s[4:5], src_shared_base
	v_dual_mov_b32 v31, v0 :: v_dual_mov_b32 v40, v0
	v_dual_mov_b32 v0, s36 :: v_dual_mov_b32 v1, s37
	;; [unrolled: 1-line block ×8, first 2 shown]
	s_add_nc_u64 s[8:9], s[2:3], 0x60
	s_mov_b64 s[6:7], s[0:1]
	s_mov_b64 s[24:25], s[2:3]
	;; [unrolled: 1-line block ×3, first 2 shown]
	s_swap_pc_i64 s[30:31], s[22:23]
	v_mov_b32_e32 v0, v40
	s_mov_b64 s[0:1], s[26:27]
	s_mov_b64 s[2:3], s[24:25]
	s_mov_b32 s4, 0
.LBB1627_4:
	s_delay_alu instid0(SALU_CYCLE_1)
	s_and_not1_b32 vcc_lo, exec_lo, s4
	s_cbranch_vccnz .LBB1627_6
; %bb.5:
	s_mov_b64 s[4:5], src_shared_base
	v_dual_mov_b32 v31, v0 :: v_dual_mov_b32 v40, v0
	v_dual_mov_b32 v0, s36 :: v_dual_mov_b32 v1, s37
	;; [unrolled: 1-line block ×8, first 2 shown]
	s_add_nc_u64 s[8:9], s[2:3], 0x60
	s_mov_b64 s[6:7], s[0:1]
	s_mov_b64 s[24:25], s[2:3]
	s_swap_pc_i64 s[30:31], s[22:23]
	v_mov_b32_e32 v0, v40
	s_mov_b64 s[2:3], s[24:25]
.LBB1627_6:
	s_mov_b32 s4, 0
.LBB1627_7:
	s_delay_alu instid0(SALU_CYCLE_1)
	s_and_not1_b32 vcc_lo, exec_lo, s4
	s_cbranch_vccnz .LBB1627_1254
; %bb.8:
	s_cmp_ge_u32 s49, s50
	s_cbranch_scc1 .LBB1627_1254
; %bb.9:
	v_dual_mov_b32 v1, 0 :: v_dual_bitop2_b32 v6, 3, v0 bitop3:0x40
	v_and_b32_e32 v2, 0x3ff, v0
	v_and_b32_e32 v8, 0xe0, v0
	s_bfe_u32 s6, ttmp6, 0x40010
	s_delay_alu instid0(VALU_DEP_3)
	v_mov_b32_e32 v3, v1
	v_bfe_u32 v89, v0, 20, 10
	v_lshlrev_b32_e32 v66, 2, v2
	v_min_u32_e32 v7, 0x60, v8
	v_dual_lshrrev_b32 v9, 3, v0 :: v_dual_lshlrev_b32 v84, 2, v6
	v_mul_u32_u24_e32 v6, 17, v8
	s_delay_alu instid0(VALU_DEP_4) | instskip(NEXT) | instid1(VALU_DEP_4)
	v_mad_u32_u24 v85, v2, 12, v66
	v_or_b32_e32 v7, 31, v7
	s_delay_alu instid0(VALU_DEP_4) | instskip(SKIP_1) | instid1(VALU_DEP_4)
	v_and_b32_e32 v83, 28, v9
	v_dual_lshlrev_b32 v9, 4, v2 :: v_dual_bitop2_b32 v8, 31, v8 bitop3:0x54
	v_add_nc_u32_e32 v90, v85, v66
	s_delay_alu instid0(VALU_DEP_4) | instskip(NEXT) | instid1(VALU_DEP_4)
	v_cmp_eq_u32_e64 s1, v2, v7
	v_dual_mov_b32 v7, v1 :: v_dual_add_nc_u32 v88, 0x89fc, v83
	s_add_nc_u64 s[52:53], s[2:3], 0x60
	v_bfe_u32 v91, v0, 10, 10
	v_cmp_eq_u32_e64 s2, v2, v8
	v_dual_add_nc_u32 v8, 1, v2 :: v_dual_sub_nc_u32 v92, v90, v9
	v_lshlrev_b32_e32 v0, 3, v6
	s_add_co_i32 s6, s6, 1
	s_bfe_u32 s7, ttmp6, 0x40004
	s_mul_i32 s6, ttmp7, s6
	v_add_nc_u64_e32 v[4:5], s[40:41], v[2:3]
	s_add_co_i32 s8, s7, s6
	v_mul_u32_u24_e32 v93, 36, v8
	v_cmp_ne_u32_e64 s7, 0x80, v8
	v_add_nc_u64_e32 v[8:9], s[46:47], v[0:1]
	v_add_nc_u64_e32 v[10:11], s[40:41], v[6:7]
	v_add_nc_u64_e32 v[12:13], s[38:39], v[2:3]
	v_add_nc_u64_e32 v[14:15], s[44:45], v[0:1]
	v_add_nc_u64_e32 v[16:17], s[38:39], v[6:7]
	v_add_nc_u64_e32 v[18:19], s[36:37], v[2:3]
	v_add_nc_u64_e32 v[20:21], s[42:43], v[0:1]
	v_add_nc_u64_e32 v[22:23], s[36:37], v[6:7]
	v_or_b32_e32 v67, 0x100, v2
	v_or_b32_e32 v68, 0x200, v2
	;; [unrolled: 1-line block ×16, first 2 shown]
	v_cmp_gt_u32_e64 s0, 0x80, v2
	v_or_b32_e32 v86, 0x8a00, v83
	v_cmp_gt_u32_e64 s4, 4, v2
	v_add_nc_u32_e32 v87, 0x8a00, v66
	v_cmp_lt_u32_e64 s5, 31, v2
	v_cmp_gt_u32_e64 s3, 8, v2
	v_cmp_eq_u32_e64 s6, 0, v2
	v_dual_mov_b32 v7, 1 :: v_dual_lshlrev_b32 v94, 5, v2
	v_mul_u32_u24_e32 v95, 7, v2
	v_mbcnt_lo_u32_b32 v0, -1, 0
	s_cmp_eq_u32 s28, 0
	s_mov_b32 s35, 0
	s_cselect_b32 s42, ttmp7, s8
	s_mov_b32 s43, s49
	s_branch .LBB1627_12
.LBB1627_10:                            ;   in Loop: Header=BB1627_12 Depth=1
	s_wait_dscnt 0x0
	s_barrier_signal -1
	s_barrier_wait -1
.LBB1627_11:                            ;   in Loop: Header=BB1627_12 Depth=1
	s_add_co_i32 s43, s43, 7
	s_delay_alu instid0(SALU_CYCLE_1)
	s_cmp_ge_u32 s43, s50
	s_cbranch_scc1 .LBB1627_1254
.LBB1627_12:                            ; =>This Loop Header: Depth=1
                                        ;     Child Loop BB1627_16 Depth 2
                                        ;     Child Loop BB1627_100 Depth 2
	;; [unrolled: 1-line block ×8, first 2 shown]
	s_sub_co_i32 s8, s50, s43
	s_xor_b32 s56, s56, -1
	s_min_u32 s8, s8, 7
	ds_store_2addr_stride64_b32 v66, v1, v1 offset1:4
	s_lshl_b32 s8, -1, s8
	s_wait_storecnt_dscnt 0x0
	s_not_b32 s48, s8
	s_cmp_lg_u32 s43, s49
	s_mov_b32 s8, -1
	s_cbranch_scc0 .LBB1627_634
; %bb.13:                               ;   in Loop: Header=BB1627_12 Depth=1
	s_and_b32 vcc_lo, exec_lo, s56
	s_cbranch_vccz .LBB1627_323
; %bb.14:                               ;   in Loop: Header=BB1627_12 Depth=1
	v_dual_mov_b32 v39, 0 :: v_dual_mov_b32 v42, 0
	v_dual_mov_b32 v41, 0 :: v_dual_mov_b32 v40, 0
	;; [unrolled: 1-line block ×8, first 2 shown]
	v_mov_b32_e32 v26, 0
	s_mov_b32 s8, s57
	s_mov_b32 s34, s55
	s_barrier_signal -1
	s_barrier_wait -1
	s_branch .LBB1627_16
.LBB1627_15:                            ;   in Loop: Header=BB1627_16 Depth=2
	s_or_b32 exec_lo, exec_lo, s10
	s_addk_co_i32 s8, 0xef00
	s_cmp_ge_u32 s9, s54
	s_mov_b32 s34, s9
	s_cbranch_scc1 .LBB1627_88
.LBB1627_16:                            ;   Parent Loop BB1627_12 Depth=1
                                        ; =>  This Inner Loop Header: Depth=2
	s_add_co_i32 s9, s34, 0x1100
	s_mov_b32 s10, -1
	s_cmp_gt_u32 s9, s54
                                        ; implicit-def: $vgpr24
                                        ; implicit-def: $vgpr25
                                        ; implicit-def: $vgpr43
                                        ; implicit-def: $vgpr44
                                        ; implicit-def: $vgpr45
                                        ; implicit-def: $vgpr46
                                        ; implicit-def: $vgpr47
                                        ; implicit-def: $vgpr48
                                        ; implicit-def: $vgpr49
                                        ; implicit-def: $vgpr50
                                        ; implicit-def: $vgpr51
                                        ; implicit-def: $vgpr52
                                        ; implicit-def: $vgpr53
                                        ; implicit-def: $vgpr54
                                        ; implicit-def: $vgpr55
                                        ; implicit-def: $vgpr56
                                        ; implicit-def: $vgpr57
	s_cbranch_scc1 .LBB1627_18
; %bb.17:                               ;   in Loop: Header=BB1627_16 Depth=2
	v_add_nc_u64_e32 v[58:59], s[34:35], v[4:5]
	s_mov_b32 s10, 0
	s_clause 0x10
	global_load_u8 v57, v[58:59], off offset:4096
	global_load_u8 v56, v[58:59], off offset:3840
	;; [unrolled: 1-line block ×16, first 2 shown]
	global_load_u8 v24, v[58:59], off
.LBB1627_18:                            ;   in Loop: Header=BB1627_16 Depth=2
	s_and_not1_b32 vcc_lo, exec_lo, s10
	s_movk_i32 s10, 0x1100
	s_cbranch_vccnz .LBB1627_38
; %bb.19:                               ;   in Loop: Header=BB1627_16 Depth=2
	s_add_nc_u64 s[10:11], s[40:41], s[34:35]
	s_wait_loadcnt 0x0
	v_add_nc_u64_e32 v[24:25], s[10:11], v[2:3]
	s_mov_b32 s10, exec_lo
	s_wait_xcnt 0x0
	v_cmpx_gt_u32_e64 s8, v2
	s_cbranch_execnz .LBB1627_72
; %bb.20:                               ;   in Loop: Header=BB1627_16 Depth=2
	s_or_b32 exec_lo, exec_lo, s10
	s_delay_alu instid0(SALU_CYCLE_1)
	s_mov_b32 s10, exec_lo
	v_cmpx_gt_u32_e64 s8, v67
	s_cbranch_execnz .LBB1627_73
.LBB1627_21:                            ;   in Loop: Header=BB1627_16 Depth=2
	s_or_b32 exec_lo, exec_lo, s10
	s_delay_alu instid0(SALU_CYCLE_1)
	s_mov_b32 s10, exec_lo
	v_cmpx_gt_u32_e64 s8, v68
	s_cbranch_execnz .LBB1627_74
.LBB1627_22:                            ;   in Loop: Header=BB1627_16 Depth=2
	s_or_b32 exec_lo, exec_lo, s10
	s_delay_alu instid0(SALU_CYCLE_1)
	s_mov_b32 s10, exec_lo
	v_cmpx_gt_u32_e64 s8, v69
	s_cbranch_execnz .LBB1627_75
.LBB1627_23:                            ;   in Loop: Header=BB1627_16 Depth=2
	s_or_b32 exec_lo, exec_lo, s10
	s_delay_alu instid0(SALU_CYCLE_1)
	s_mov_b32 s10, exec_lo
	v_cmpx_gt_u32_e64 s8, v70
	s_cbranch_execnz .LBB1627_76
.LBB1627_24:                            ;   in Loop: Header=BB1627_16 Depth=2
	s_or_b32 exec_lo, exec_lo, s10
	s_delay_alu instid0(SALU_CYCLE_1)
	s_mov_b32 s10, exec_lo
	v_cmpx_gt_u32_e64 s8, v71
	s_cbranch_execnz .LBB1627_77
.LBB1627_25:                            ;   in Loop: Header=BB1627_16 Depth=2
	s_or_b32 exec_lo, exec_lo, s10
	s_delay_alu instid0(SALU_CYCLE_1)
	s_mov_b32 s10, exec_lo
	v_cmpx_gt_u32_e64 s8, v72
	s_cbranch_execnz .LBB1627_78
.LBB1627_26:                            ;   in Loop: Header=BB1627_16 Depth=2
	s_or_b32 exec_lo, exec_lo, s10
	s_delay_alu instid0(SALU_CYCLE_1)
	s_mov_b32 s10, exec_lo
	v_cmpx_gt_u32_e64 s8, v73
	s_cbranch_execnz .LBB1627_79
.LBB1627_27:                            ;   in Loop: Header=BB1627_16 Depth=2
	s_or_b32 exec_lo, exec_lo, s10
	s_delay_alu instid0(SALU_CYCLE_1)
	s_mov_b32 s10, exec_lo
	v_cmpx_gt_u32_e64 s8, v74
	s_cbranch_execnz .LBB1627_80
.LBB1627_28:                            ;   in Loop: Header=BB1627_16 Depth=2
	s_or_b32 exec_lo, exec_lo, s10
	s_delay_alu instid0(SALU_CYCLE_1)
	s_mov_b32 s10, exec_lo
	v_cmpx_gt_u32_e64 s8, v75
	s_cbranch_execnz .LBB1627_81
.LBB1627_29:                            ;   in Loop: Header=BB1627_16 Depth=2
	s_or_b32 exec_lo, exec_lo, s10
	s_delay_alu instid0(SALU_CYCLE_1)
	s_mov_b32 s10, exec_lo
	v_cmpx_gt_u32_e64 s8, v76
	s_cbranch_execnz .LBB1627_82
.LBB1627_30:                            ;   in Loop: Header=BB1627_16 Depth=2
	s_or_b32 exec_lo, exec_lo, s10
	s_delay_alu instid0(SALU_CYCLE_1)
	s_mov_b32 s10, exec_lo
	v_cmpx_gt_u32_e64 s8, v77
	s_cbranch_execnz .LBB1627_83
.LBB1627_31:                            ;   in Loop: Header=BB1627_16 Depth=2
	s_or_b32 exec_lo, exec_lo, s10
	s_delay_alu instid0(SALU_CYCLE_1)
	s_mov_b32 s10, exec_lo
	v_cmpx_gt_u32_e64 s8, v78
	s_cbranch_execnz .LBB1627_84
.LBB1627_32:                            ;   in Loop: Header=BB1627_16 Depth=2
	s_or_b32 exec_lo, exec_lo, s10
	s_delay_alu instid0(SALU_CYCLE_1)
	s_mov_b32 s10, exec_lo
	v_cmpx_gt_u32_e64 s8, v79
	s_cbranch_execnz .LBB1627_85
.LBB1627_33:                            ;   in Loop: Header=BB1627_16 Depth=2
	s_or_b32 exec_lo, exec_lo, s10
	s_delay_alu instid0(SALU_CYCLE_1)
	s_mov_b32 s10, exec_lo
	v_cmpx_gt_u32_e64 s8, v80
	s_cbranch_execnz .LBB1627_86
.LBB1627_34:                            ;   in Loop: Header=BB1627_16 Depth=2
	s_or_b32 exec_lo, exec_lo, s10
	s_delay_alu instid0(SALU_CYCLE_1)
	s_mov_b32 s10, exec_lo
	v_cmpx_gt_u32_e64 s8, v81
	s_cbranch_execnz .LBB1627_87
.LBB1627_35:                            ;   in Loop: Header=BB1627_16 Depth=2
	s_or_b32 exec_lo, exec_lo, s10
	s_delay_alu instid0(SALU_CYCLE_1)
	s_mov_b32 s10, exec_lo
	v_cmpx_gt_u32_e64 s8, v82
	s_cbranch_execz .LBB1627_37
.LBB1627_36:                            ;   in Loop: Header=BB1627_16 Depth=2
	global_load_u8 v26, v[24:25], off offset:4096
.LBB1627_37:                            ;   in Loop: Header=BB1627_16 Depth=2
	s_wait_xcnt 0x0
	s_or_b32 exec_lo, exec_lo, s10
	s_wait_loadcnt 0x0
	v_dual_mov_b32 v24, v39 :: v_dual_mov_b32 v25, v42
	v_dual_mov_b32 v43, v41 :: v_dual_mov_b32 v44, v40
	;; [unrolled: 1-line block ×8, first 2 shown]
	v_mov_b32_e32 v57, v26
	s_mov_b32 s10, s8
.LBB1627_38:                            ;   in Loop: Header=BB1627_16 Depth=2
	s_wait_loadcnt 0xf
	s_delay_alu instid0(VALU_DEP_1)
	v_dual_mov_b32 v26, v57 :: v_dual_mov_b32 v27, v56
	s_wait_loadcnt 0xd
	v_dual_mov_b32 v28, v55 :: v_dual_mov_b32 v29, v54
	s_wait_loadcnt 0xb
	;; [unrolled: 2-line block ×8, first 2 shown]
	v_mov_b32_e32 v39, v24
	s_mov_b32 s11, exec_lo
	s_wait_xcnt 0x0
	v_cmpx_gt_u32_e64 s10, v2
	s_cbranch_execnz .LBB1627_55
; %bb.39:                               ;   in Loop: Header=BB1627_16 Depth=2
	s_or_b32 exec_lo, exec_lo, s11
	s_delay_alu instid0(SALU_CYCLE_1)
	s_mov_b32 s11, exec_lo
	v_cmpx_gt_u32_e64 s10, v67
	s_cbranch_execnz .LBB1627_56
.LBB1627_40:                            ;   in Loop: Header=BB1627_16 Depth=2
	s_or_b32 exec_lo, exec_lo, s11
	s_delay_alu instid0(SALU_CYCLE_1)
	s_mov_b32 s11, exec_lo
	v_cmpx_gt_u32_e64 s10, v68
	s_cbranch_execnz .LBB1627_57
.LBB1627_41:                            ;   in Loop: Header=BB1627_16 Depth=2
	s_or_b32 exec_lo, exec_lo, s11
	s_delay_alu instid0(SALU_CYCLE_1)
	s_mov_b32 s11, exec_lo
	v_cmpx_gt_u32_e64 s10, v69
	s_cbranch_execnz .LBB1627_58
.LBB1627_42:                            ;   in Loop: Header=BB1627_16 Depth=2
	s_or_b32 exec_lo, exec_lo, s11
	s_delay_alu instid0(SALU_CYCLE_1)
	s_mov_b32 s11, exec_lo
	v_cmpx_gt_u32_e64 s10, v70
	s_cbranch_execnz .LBB1627_59
.LBB1627_43:                            ;   in Loop: Header=BB1627_16 Depth=2
	s_or_b32 exec_lo, exec_lo, s11
	s_delay_alu instid0(SALU_CYCLE_1)
	s_mov_b32 s11, exec_lo
	v_cmpx_gt_u32_e64 s10, v71
	s_cbranch_execnz .LBB1627_60
.LBB1627_44:                            ;   in Loop: Header=BB1627_16 Depth=2
	s_or_b32 exec_lo, exec_lo, s11
	s_delay_alu instid0(SALU_CYCLE_1)
	s_mov_b32 s11, exec_lo
	v_cmpx_gt_u32_e64 s10, v72
	s_cbranch_execnz .LBB1627_61
.LBB1627_45:                            ;   in Loop: Header=BB1627_16 Depth=2
	s_or_b32 exec_lo, exec_lo, s11
	s_delay_alu instid0(SALU_CYCLE_1)
	s_mov_b32 s11, exec_lo
	v_cmpx_gt_u32_e64 s10, v73
	s_cbranch_execnz .LBB1627_62
.LBB1627_46:                            ;   in Loop: Header=BB1627_16 Depth=2
	s_or_b32 exec_lo, exec_lo, s11
	s_delay_alu instid0(SALU_CYCLE_1)
	s_mov_b32 s11, exec_lo
	v_cmpx_gt_u32_e64 s10, v74
	s_cbranch_execnz .LBB1627_63
.LBB1627_47:                            ;   in Loop: Header=BB1627_16 Depth=2
	s_or_b32 exec_lo, exec_lo, s11
	s_delay_alu instid0(SALU_CYCLE_1)
	s_mov_b32 s11, exec_lo
	v_cmpx_gt_u32_e64 s10, v75
	s_cbranch_execnz .LBB1627_64
.LBB1627_48:                            ;   in Loop: Header=BB1627_16 Depth=2
	s_or_b32 exec_lo, exec_lo, s11
	s_delay_alu instid0(SALU_CYCLE_1)
	s_mov_b32 s11, exec_lo
	v_cmpx_gt_u32_e64 s10, v76
	s_cbranch_execnz .LBB1627_65
.LBB1627_49:                            ;   in Loop: Header=BB1627_16 Depth=2
	s_or_b32 exec_lo, exec_lo, s11
	s_delay_alu instid0(SALU_CYCLE_1)
	s_mov_b32 s11, exec_lo
	v_cmpx_gt_u32_e64 s10, v77
	s_cbranch_execnz .LBB1627_66
.LBB1627_50:                            ;   in Loop: Header=BB1627_16 Depth=2
	s_or_b32 exec_lo, exec_lo, s11
	s_delay_alu instid0(SALU_CYCLE_1)
	s_mov_b32 s11, exec_lo
	v_cmpx_gt_u32_e64 s10, v78
	s_cbranch_execnz .LBB1627_67
.LBB1627_51:                            ;   in Loop: Header=BB1627_16 Depth=2
	s_or_b32 exec_lo, exec_lo, s11
	s_delay_alu instid0(SALU_CYCLE_1)
	s_mov_b32 s11, exec_lo
	v_cmpx_gt_u32_e64 s10, v79
	s_cbranch_execnz .LBB1627_68
.LBB1627_52:                            ;   in Loop: Header=BB1627_16 Depth=2
	s_or_b32 exec_lo, exec_lo, s11
	s_delay_alu instid0(SALU_CYCLE_1)
	s_mov_b32 s11, exec_lo
	v_cmpx_gt_u32_e64 s10, v80
	s_cbranch_execnz .LBB1627_69
.LBB1627_53:                            ;   in Loop: Header=BB1627_16 Depth=2
	s_or_b32 exec_lo, exec_lo, s11
	s_delay_alu instid0(SALU_CYCLE_1)
	s_mov_b32 s11, exec_lo
	v_cmpx_gt_u32_e64 s10, v81
	s_cbranch_execnz .LBB1627_70
.LBB1627_54:                            ;   in Loop: Header=BB1627_16 Depth=2
	s_or_b32 exec_lo, exec_lo, s11
	v_cmp_gt_u32_e32 vcc_lo, s10, v82
	s_and_saveexec_b32 s10, vcc_lo
	s_cbranch_execz .LBB1627_15
	s_branch .LBB1627_71
.LBB1627_55:                            ;   in Loop: Header=BB1627_16 Depth=2
	v_and_b32_e32 v24, 1, v39
	s_delay_alu instid0(VALU_DEP_1) | instskip(NEXT) | instid1(VALU_DEP_1)
	v_lshrrev_b32_e32 v24, s43, v24
	v_and_b32_e32 v24, s48, v24
	s_delay_alu instid0(VALU_DEP_1) | instskip(SKIP_2) | instid1(SALU_CYCLE_1)
	v_lshl_or_b32 v24, v24, 4, v84
	ds_add_u32 v24, v7
	s_or_b32 exec_lo, exec_lo, s11
	s_mov_b32 s11, exec_lo
	v_cmpx_gt_u32_e64 s10, v67
	s_cbranch_execz .LBB1627_40
.LBB1627_56:                            ;   in Loop: Header=BB1627_16 Depth=2
	v_and_b32_e32 v24, 1, v42
	s_delay_alu instid0(VALU_DEP_1) | instskip(NEXT) | instid1(VALU_DEP_1)
	v_lshrrev_b32_e32 v24, s43, v24
	v_and_b32_e32 v24, s48, v24
	s_delay_alu instid0(VALU_DEP_1) | instskip(SKIP_2) | instid1(SALU_CYCLE_1)
	v_lshl_or_b32 v24, v24, 4, v84
	ds_add_u32 v24, v7
	s_or_b32 exec_lo, exec_lo, s11
	s_mov_b32 s11, exec_lo
	v_cmpx_gt_u32_e64 s10, v68
	s_cbranch_execz .LBB1627_41
.LBB1627_57:                            ;   in Loop: Header=BB1627_16 Depth=2
	v_and_b32_e32 v24, 1, v41
	s_delay_alu instid0(VALU_DEP_1) | instskip(NEXT) | instid1(VALU_DEP_1)
	v_lshrrev_b32_e32 v24, s43, v24
	v_and_b32_e32 v24, s48, v24
	s_delay_alu instid0(VALU_DEP_1) | instskip(SKIP_2) | instid1(SALU_CYCLE_1)
	v_lshl_or_b32 v24, v24, 4, v84
	ds_add_u32 v24, v7
	s_or_b32 exec_lo, exec_lo, s11
	s_mov_b32 s11, exec_lo
	v_cmpx_gt_u32_e64 s10, v69
	s_cbranch_execz .LBB1627_42
.LBB1627_58:                            ;   in Loop: Header=BB1627_16 Depth=2
	v_and_b32_e32 v24, 1, v40
	s_delay_alu instid0(VALU_DEP_1) | instskip(NEXT) | instid1(VALU_DEP_1)
	v_lshrrev_b32_e32 v24, s43, v24
	v_and_b32_e32 v24, s48, v24
	s_delay_alu instid0(VALU_DEP_1) | instskip(SKIP_2) | instid1(SALU_CYCLE_1)
	v_lshl_or_b32 v24, v24, 4, v84
	ds_add_u32 v24, v7
	s_or_b32 exec_lo, exec_lo, s11
	s_mov_b32 s11, exec_lo
	v_cmpx_gt_u32_e64 s10, v70
	s_cbranch_execz .LBB1627_43
.LBB1627_59:                            ;   in Loop: Header=BB1627_16 Depth=2
	v_and_b32_e32 v24, 1, v38
	s_delay_alu instid0(VALU_DEP_1) | instskip(NEXT) | instid1(VALU_DEP_1)
	v_lshrrev_b32_e32 v24, s43, v24
	v_and_b32_e32 v24, s48, v24
	s_delay_alu instid0(VALU_DEP_1) | instskip(SKIP_2) | instid1(SALU_CYCLE_1)
	v_lshl_or_b32 v24, v24, 4, v84
	ds_add_u32 v24, v7
	s_or_b32 exec_lo, exec_lo, s11
	s_mov_b32 s11, exec_lo
	v_cmpx_gt_u32_e64 s10, v71
	s_cbranch_execz .LBB1627_44
.LBB1627_60:                            ;   in Loop: Header=BB1627_16 Depth=2
	v_and_b32_e32 v24, 1, v37
	s_delay_alu instid0(VALU_DEP_1) | instskip(NEXT) | instid1(VALU_DEP_1)
	v_lshrrev_b32_e32 v24, s43, v24
	v_and_b32_e32 v24, s48, v24
	s_delay_alu instid0(VALU_DEP_1) | instskip(SKIP_2) | instid1(SALU_CYCLE_1)
	v_lshl_or_b32 v24, v24, 4, v84
	ds_add_u32 v24, v7
	s_or_b32 exec_lo, exec_lo, s11
	s_mov_b32 s11, exec_lo
	v_cmpx_gt_u32_e64 s10, v72
	s_cbranch_execz .LBB1627_45
.LBB1627_61:                            ;   in Loop: Header=BB1627_16 Depth=2
	v_and_b32_e32 v24, 1, v36
	s_delay_alu instid0(VALU_DEP_1) | instskip(NEXT) | instid1(VALU_DEP_1)
	v_lshrrev_b32_e32 v24, s43, v24
	v_and_b32_e32 v24, s48, v24
	s_delay_alu instid0(VALU_DEP_1) | instskip(SKIP_2) | instid1(SALU_CYCLE_1)
	v_lshl_or_b32 v24, v24, 4, v84
	ds_add_u32 v24, v7
	s_or_b32 exec_lo, exec_lo, s11
	s_mov_b32 s11, exec_lo
	v_cmpx_gt_u32_e64 s10, v73
	s_cbranch_execz .LBB1627_46
.LBB1627_62:                            ;   in Loop: Header=BB1627_16 Depth=2
	v_and_b32_e32 v24, 1, v35
	s_delay_alu instid0(VALU_DEP_1) | instskip(NEXT) | instid1(VALU_DEP_1)
	v_lshrrev_b32_e32 v24, s43, v24
	v_and_b32_e32 v24, s48, v24
	s_delay_alu instid0(VALU_DEP_1) | instskip(SKIP_2) | instid1(SALU_CYCLE_1)
	v_lshl_or_b32 v24, v24, 4, v84
	ds_add_u32 v24, v7
	s_or_b32 exec_lo, exec_lo, s11
	s_mov_b32 s11, exec_lo
	v_cmpx_gt_u32_e64 s10, v74
	s_cbranch_execz .LBB1627_47
.LBB1627_63:                            ;   in Loop: Header=BB1627_16 Depth=2
	v_and_b32_e32 v24, 1, v34
	s_delay_alu instid0(VALU_DEP_1) | instskip(NEXT) | instid1(VALU_DEP_1)
	v_lshrrev_b32_e32 v24, s43, v24
	v_and_b32_e32 v24, s48, v24
	s_delay_alu instid0(VALU_DEP_1) | instskip(SKIP_2) | instid1(SALU_CYCLE_1)
	v_lshl_or_b32 v24, v24, 4, v84
	ds_add_u32 v24, v7
	s_or_b32 exec_lo, exec_lo, s11
	s_mov_b32 s11, exec_lo
	v_cmpx_gt_u32_e64 s10, v75
	s_cbranch_execz .LBB1627_48
.LBB1627_64:                            ;   in Loop: Header=BB1627_16 Depth=2
	v_and_b32_e32 v24, 1, v33
	s_delay_alu instid0(VALU_DEP_1) | instskip(NEXT) | instid1(VALU_DEP_1)
	v_lshrrev_b32_e32 v24, s43, v24
	v_and_b32_e32 v24, s48, v24
	s_delay_alu instid0(VALU_DEP_1) | instskip(SKIP_2) | instid1(SALU_CYCLE_1)
	v_lshl_or_b32 v24, v24, 4, v84
	ds_add_u32 v24, v7
	s_or_b32 exec_lo, exec_lo, s11
	s_mov_b32 s11, exec_lo
	v_cmpx_gt_u32_e64 s10, v76
	s_cbranch_execz .LBB1627_49
.LBB1627_65:                            ;   in Loop: Header=BB1627_16 Depth=2
	v_and_b32_e32 v24, 1, v32
	s_delay_alu instid0(VALU_DEP_1) | instskip(NEXT) | instid1(VALU_DEP_1)
	v_lshrrev_b32_e32 v24, s43, v24
	v_and_b32_e32 v24, s48, v24
	s_delay_alu instid0(VALU_DEP_1) | instskip(SKIP_2) | instid1(SALU_CYCLE_1)
	v_lshl_or_b32 v24, v24, 4, v84
	ds_add_u32 v24, v7
	s_or_b32 exec_lo, exec_lo, s11
	s_mov_b32 s11, exec_lo
	v_cmpx_gt_u32_e64 s10, v77
	s_cbranch_execz .LBB1627_50
.LBB1627_66:                            ;   in Loop: Header=BB1627_16 Depth=2
	v_and_b32_e32 v24, 1, v31
	s_delay_alu instid0(VALU_DEP_1) | instskip(NEXT) | instid1(VALU_DEP_1)
	v_lshrrev_b32_e32 v24, s43, v24
	v_and_b32_e32 v24, s48, v24
	s_delay_alu instid0(VALU_DEP_1) | instskip(SKIP_2) | instid1(SALU_CYCLE_1)
	v_lshl_or_b32 v24, v24, 4, v84
	ds_add_u32 v24, v7
	s_or_b32 exec_lo, exec_lo, s11
	s_mov_b32 s11, exec_lo
	v_cmpx_gt_u32_e64 s10, v78
	s_cbranch_execz .LBB1627_51
.LBB1627_67:                            ;   in Loop: Header=BB1627_16 Depth=2
	v_and_b32_e32 v24, 1, v30
	s_delay_alu instid0(VALU_DEP_1) | instskip(NEXT) | instid1(VALU_DEP_1)
	v_lshrrev_b32_e32 v24, s43, v24
	v_and_b32_e32 v24, s48, v24
	s_delay_alu instid0(VALU_DEP_1) | instskip(SKIP_2) | instid1(SALU_CYCLE_1)
	v_lshl_or_b32 v24, v24, 4, v84
	ds_add_u32 v24, v7
	s_or_b32 exec_lo, exec_lo, s11
	s_mov_b32 s11, exec_lo
	v_cmpx_gt_u32_e64 s10, v79
	s_cbranch_execz .LBB1627_52
.LBB1627_68:                            ;   in Loop: Header=BB1627_16 Depth=2
	v_and_b32_e32 v24, 1, v29
	s_delay_alu instid0(VALU_DEP_1) | instskip(NEXT) | instid1(VALU_DEP_1)
	v_lshrrev_b32_e32 v24, s43, v24
	v_and_b32_e32 v24, s48, v24
	s_delay_alu instid0(VALU_DEP_1) | instskip(SKIP_2) | instid1(SALU_CYCLE_1)
	v_lshl_or_b32 v24, v24, 4, v84
	ds_add_u32 v24, v7
	s_or_b32 exec_lo, exec_lo, s11
	s_mov_b32 s11, exec_lo
	v_cmpx_gt_u32_e64 s10, v80
	s_cbranch_execz .LBB1627_53
.LBB1627_69:                            ;   in Loop: Header=BB1627_16 Depth=2
	v_and_b32_e32 v24, 1, v28
	s_delay_alu instid0(VALU_DEP_1) | instskip(NEXT) | instid1(VALU_DEP_1)
	v_lshrrev_b32_e32 v24, s43, v24
	v_and_b32_e32 v24, s48, v24
	s_delay_alu instid0(VALU_DEP_1) | instskip(SKIP_2) | instid1(SALU_CYCLE_1)
	v_lshl_or_b32 v24, v24, 4, v84
	ds_add_u32 v24, v7
	s_or_b32 exec_lo, exec_lo, s11
	s_mov_b32 s11, exec_lo
	v_cmpx_gt_u32_e64 s10, v81
	s_cbranch_execz .LBB1627_54
.LBB1627_70:                            ;   in Loop: Header=BB1627_16 Depth=2
	v_and_b32_e32 v24, 1, v27
	s_delay_alu instid0(VALU_DEP_1) | instskip(NEXT) | instid1(VALU_DEP_1)
	v_lshrrev_b32_e32 v24, s43, v24
	v_and_b32_e32 v24, s48, v24
	s_delay_alu instid0(VALU_DEP_1)
	v_lshl_or_b32 v24, v24, 4, v84
	ds_add_u32 v24, v7
	s_or_b32 exec_lo, exec_lo, s11
	v_cmp_gt_u32_e32 vcc_lo, s10, v82
	s_and_saveexec_b32 s10, vcc_lo
	s_cbranch_execz .LBB1627_15
.LBB1627_71:                            ;   in Loop: Header=BB1627_16 Depth=2
	v_and_b32_e32 v24, 1, v26
	s_delay_alu instid0(VALU_DEP_1) | instskip(NEXT) | instid1(VALU_DEP_1)
	v_lshrrev_b32_e32 v24, s43, v24
	v_and_b32_e32 v24, s48, v24
	s_delay_alu instid0(VALU_DEP_1)
	v_lshl_or_b32 v24, v24, 4, v84
	ds_add_u32 v24, v7
	s_branch .LBB1627_15
.LBB1627_72:                            ;   in Loop: Header=BB1627_16 Depth=2
	global_load_u8 v39, v[24:25], off
	s_wait_xcnt 0x0
	s_or_b32 exec_lo, exec_lo, s10
	s_delay_alu instid0(SALU_CYCLE_1)
	s_mov_b32 s10, exec_lo
	v_cmpx_gt_u32_e64 s8, v67
	s_cbranch_execz .LBB1627_21
.LBB1627_73:                            ;   in Loop: Header=BB1627_16 Depth=2
	global_load_u8 v42, v[24:25], off offset:256
	s_wait_xcnt 0x0
	s_or_b32 exec_lo, exec_lo, s10
	s_delay_alu instid0(SALU_CYCLE_1)
	s_mov_b32 s10, exec_lo
	v_cmpx_gt_u32_e64 s8, v68
	s_cbranch_execz .LBB1627_22
.LBB1627_74:                            ;   in Loop: Header=BB1627_16 Depth=2
	global_load_u8 v41, v[24:25], off offset:512
	s_wait_xcnt 0x0
	s_or_b32 exec_lo, exec_lo, s10
	s_delay_alu instid0(SALU_CYCLE_1)
	s_mov_b32 s10, exec_lo
	v_cmpx_gt_u32_e64 s8, v69
	s_cbranch_execz .LBB1627_23
.LBB1627_75:                            ;   in Loop: Header=BB1627_16 Depth=2
	global_load_u8 v40, v[24:25], off offset:768
	s_wait_xcnt 0x0
	s_or_b32 exec_lo, exec_lo, s10
	s_delay_alu instid0(SALU_CYCLE_1)
	s_mov_b32 s10, exec_lo
	v_cmpx_gt_u32_e64 s8, v70
	s_cbranch_execz .LBB1627_24
.LBB1627_76:                            ;   in Loop: Header=BB1627_16 Depth=2
	global_load_u8 v38, v[24:25], off offset:1024
	s_wait_xcnt 0x0
	s_or_b32 exec_lo, exec_lo, s10
	s_delay_alu instid0(SALU_CYCLE_1)
	s_mov_b32 s10, exec_lo
	v_cmpx_gt_u32_e64 s8, v71
	s_cbranch_execz .LBB1627_25
.LBB1627_77:                            ;   in Loop: Header=BB1627_16 Depth=2
	global_load_u8 v37, v[24:25], off offset:1280
	s_wait_xcnt 0x0
	s_or_b32 exec_lo, exec_lo, s10
	s_delay_alu instid0(SALU_CYCLE_1)
	s_mov_b32 s10, exec_lo
	v_cmpx_gt_u32_e64 s8, v72
	s_cbranch_execz .LBB1627_26
.LBB1627_78:                            ;   in Loop: Header=BB1627_16 Depth=2
	global_load_u8 v36, v[24:25], off offset:1536
	s_wait_xcnt 0x0
	s_or_b32 exec_lo, exec_lo, s10
	s_delay_alu instid0(SALU_CYCLE_1)
	s_mov_b32 s10, exec_lo
	v_cmpx_gt_u32_e64 s8, v73
	s_cbranch_execz .LBB1627_27
.LBB1627_79:                            ;   in Loop: Header=BB1627_16 Depth=2
	global_load_u8 v35, v[24:25], off offset:1792
	s_wait_xcnt 0x0
	s_or_b32 exec_lo, exec_lo, s10
	s_delay_alu instid0(SALU_CYCLE_1)
	s_mov_b32 s10, exec_lo
	v_cmpx_gt_u32_e64 s8, v74
	s_cbranch_execz .LBB1627_28
.LBB1627_80:                            ;   in Loop: Header=BB1627_16 Depth=2
	global_load_u8 v34, v[24:25], off offset:2048
	s_wait_xcnt 0x0
	s_or_b32 exec_lo, exec_lo, s10
	s_delay_alu instid0(SALU_CYCLE_1)
	s_mov_b32 s10, exec_lo
	v_cmpx_gt_u32_e64 s8, v75
	s_cbranch_execz .LBB1627_29
.LBB1627_81:                            ;   in Loop: Header=BB1627_16 Depth=2
	global_load_u8 v33, v[24:25], off offset:2304
	s_wait_xcnt 0x0
	s_or_b32 exec_lo, exec_lo, s10
	s_delay_alu instid0(SALU_CYCLE_1)
	s_mov_b32 s10, exec_lo
	v_cmpx_gt_u32_e64 s8, v76
	s_cbranch_execz .LBB1627_30
.LBB1627_82:                            ;   in Loop: Header=BB1627_16 Depth=2
	global_load_u8 v32, v[24:25], off offset:2560
	s_wait_xcnt 0x0
	s_or_b32 exec_lo, exec_lo, s10
	s_delay_alu instid0(SALU_CYCLE_1)
	s_mov_b32 s10, exec_lo
	v_cmpx_gt_u32_e64 s8, v77
	s_cbranch_execz .LBB1627_31
.LBB1627_83:                            ;   in Loop: Header=BB1627_16 Depth=2
	global_load_u8 v31, v[24:25], off offset:2816
	s_wait_xcnt 0x0
	s_or_b32 exec_lo, exec_lo, s10
	s_delay_alu instid0(SALU_CYCLE_1)
	s_mov_b32 s10, exec_lo
	v_cmpx_gt_u32_e64 s8, v78
	s_cbranch_execz .LBB1627_32
.LBB1627_84:                            ;   in Loop: Header=BB1627_16 Depth=2
	global_load_u8 v30, v[24:25], off offset:3072
	s_wait_xcnt 0x0
	s_or_b32 exec_lo, exec_lo, s10
	s_delay_alu instid0(SALU_CYCLE_1)
	s_mov_b32 s10, exec_lo
	v_cmpx_gt_u32_e64 s8, v79
	s_cbranch_execz .LBB1627_33
.LBB1627_85:                            ;   in Loop: Header=BB1627_16 Depth=2
	global_load_u8 v29, v[24:25], off offset:3328
	s_wait_xcnt 0x0
	s_or_b32 exec_lo, exec_lo, s10
	s_delay_alu instid0(SALU_CYCLE_1)
	s_mov_b32 s10, exec_lo
	v_cmpx_gt_u32_e64 s8, v80
	s_cbranch_execz .LBB1627_34
.LBB1627_86:                            ;   in Loop: Header=BB1627_16 Depth=2
	global_load_u8 v28, v[24:25], off offset:3584
	s_wait_xcnt 0x0
	s_or_b32 exec_lo, exec_lo, s10
	s_delay_alu instid0(SALU_CYCLE_1)
	s_mov_b32 s10, exec_lo
	v_cmpx_gt_u32_e64 s8, v81
	s_cbranch_execz .LBB1627_35
.LBB1627_87:                            ;   in Loop: Header=BB1627_16 Depth=2
	global_load_u8 v27, v[24:25], off offset:3840
	s_wait_xcnt 0x0
	s_or_b32 exec_lo, exec_lo, s10
	s_delay_alu instid0(SALU_CYCLE_1)
	s_mov_b32 s10, exec_lo
	v_cmpx_gt_u32_e64 s8, v82
	s_cbranch_execnz .LBB1627_36
	s_branch .LBB1627_37
.LBB1627_88:                            ;   in Loop: Header=BB1627_12 Depth=1
	v_mov_b32_e32 v24, 0
	s_wait_dscnt 0x0
	s_barrier_signal -1
	s_barrier_wait -1
	s_and_saveexec_b32 s8, s0
	s_cbranch_execz .LBB1627_90
; %bb.89:                               ;   in Loop: Header=BB1627_12 Depth=1
	ds_load_2addr_b64 v[24:27], v85 offset1:1
	s_wait_dscnt 0x0
	v_add_nc_u32_e32 v24, v25, v24
	s_delay_alu instid0(VALU_DEP_1)
	v_add3_u32 v24, v24, v26, v27
.LBB1627_90:                            ;   in Loop: Header=BB1627_12 Depth=1
	s_or_b32 exec_lo, exec_lo, s8
	v_and_b32_e32 v25, 15, v0
	s_delay_alu instid0(VALU_DEP_2) | instskip(SKIP_1) | instid1(VALU_DEP_3)
	v_mov_b32_dpp v26, v24 row_shr:1 row_mask:0xf bank_mask:0xf
	v_and_b32_e32 v27, 16, v0
	v_cmp_eq_u32_e64 s8, 0, v25
	v_cmp_lt_u32_e64 s9, 1, v25
	s_delay_alu instid0(VALU_DEP_3) | instskip(NEXT) | instid1(VALU_DEP_3)
	v_cmp_eq_u32_e64 s12, 0, v27
	v_cndmask_b32_e64 v26, v26, 0, s8
	s_delay_alu instid0(VALU_DEP_1) | instskip(NEXT) | instid1(VALU_DEP_1)
	v_add_nc_u32_e32 v24, v26, v24
	v_mov_b32_dpp v26, v24 row_shr:2 row_mask:0xf bank_mask:0xf
	s_delay_alu instid0(VALU_DEP_1) | instskip(SKIP_2) | instid1(VALU_DEP_3)
	v_cndmask_b32_e64 v26, 0, v26, s9
	v_cmp_lt_u32_e64 s11, 7, v25
	v_cmp_lt_u32_e64 s10, 3, v25
	v_add_nc_u32_e32 v24, v24, v26
	s_delay_alu instid0(VALU_DEP_1) | instskip(NEXT) | instid1(VALU_DEP_1)
	v_mov_b32_dpp v26, v24 row_shr:4 row_mask:0xf bank_mask:0xf
	v_cndmask_b32_e64 v26, 0, v26, s10
	s_delay_alu instid0(VALU_DEP_1) | instskip(NEXT) | instid1(VALU_DEP_1)
	v_add_nc_u32_e32 v24, v24, v26
	v_mov_b32_dpp v26, v24 row_shr:8 row_mask:0xf bank_mask:0xf
	s_delay_alu instid0(VALU_DEP_1) | instskip(SKIP_1) | instid1(VALU_DEP_2)
	v_cndmask_b32_e64 v25, 0, v26, s11
	v_bfe_i32 v26, v0, 4, 1
	v_add_nc_u32_e32 v24, v24, v25
	ds_swizzle_b32 v25, v24 offset:swizzle(BROADCAST,32,15)
	s_wait_dscnt 0x0
	v_and_b32_e32 v25, v26, v25
	s_delay_alu instid0(VALU_DEP_1)
	v_add_nc_u32_e32 v24, v24, v25
	s_and_saveexec_b32 s13, s1
; %bb.91:                               ;   in Loop: Header=BB1627_12 Depth=1
	ds_store_b32 v86, v24
; %bb.92:                               ;   in Loop: Header=BB1627_12 Depth=1
	s_or_b32 exec_lo, exec_lo, s13
	s_wait_dscnt 0x0
	s_barrier_signal -1
	s_barrier_wait -1
	s_and_saveexec_b32 s13, s4
	s_cbranch_execz .LBB1627_94
; %bb.93:                               ;   in Loop: Header=BB1627_12 Depth=1
	ds_load_b32 v25, v87
	s_wait_dscnt 0x0
	v_mov_b32_dpp v27, v25 row_shr:1 row_mask:0xf bank_mask:0xf
	v_and_b32_e32 v26, 3, v0
	s_delay_alu instid0(VALU_DEP_1) | instskip(NEXT) | instid1(VALU_DEP_3)
	v_cmp_ne_u32_e32 vcc_lo, 0, v26
	v_cndmask_b32_e32 v27, 0, v27, vcc_lo
	v_cmp_lt_u32_e32 vcc_lo, 1, v26
	s_delay_alu instid0(VALU_DEP_2) | instskip(NEXT) | instid1(VALU_DEP_1)
	v_add_nc_u32_e32 v25, v27, v25
	v_mov_b32_dpp v27, v25 row_shr:2 row_mask:0xf bank_mask:0xf
	s_delay_alu instid0(VALU_DEP_1) | instskip(NEXT) | instid1(VALU_DEP_1)
	v_cndmask_b32_e32 v26, 0, v27, vcc_lo
	v_add_nc_u32_e32 v25, v25, v26
	ds_store_b32 v87, v25
.LBB1627_94:                            ;   in Loop: Header=BB1627_12 Depth=1
	s_or_b32 exec_lo, exec_lo, s13
	v_mov_b32_e32 v25, 0
	s_wait_dscnt 0x0
	s_barrier_signal -1
	s_barrier_wait -1
	s_and_saveexec_b32 s13, s5
; %bb.95:                               ;   in Loop: Header=BB1627_12 Depth=1
	ds_load_b32 v25, v88
; %bb.96:                               ;   in Loop: Header=BB1627_12 Depth=1
	s_or_b32 exec_lo, exec_lo, s13
	v_sub_co_u32 v26, s13, v0, 1
	s_wait_dscnt 0x0
	s_barrier_signal -1
	s_barrier_wait -1
	s_delay_alu instid0(VALU_DEP_1) | instskip(SKIP_1) | instid1(VALU_DEP_1)
	v_cmp_gt_i32_e32 vcc_lo, 0, v26
	v_cndmask_b32_e32 v26, v26, v0, vcc_lo
	v_dual_add_nc_u32 v24, v25, v24 :: v_dual_lshlrev_b32 v96, 2, v26
	ds_bpermute_b32 v24, v96, v24
	s_and_saveexec_b32 s14, s0
	s_cbranch_execz .LBB1627_98
; %bb.97:                               ;   in Loop: Header=BB1627_12 Depth=1
	s_wait_dscnt 0x0
	v_cndmask_b32_e64 v24, v24, v25, s13
	s_delay_alu instid0(VALU_DEP_1)
	v_add_nc_u32_e32 v24, s55, v24
	ds_store_b32 v66, v24
.LBB1627_98:                            ;   in Loop: Header=BB1627_12 Depth=1
	s_or_b32 exec_lo, exec_lo, s14
	s_clause 0x1
	s_load_b32 s14, s[52:53], 0x4
	s_load_b32 s17, s[52:53], 0xc
	s_wait_dscnt 0x0
	v_dual_lshlrev_b32 v24, 3, v0 :: v_dual_bitop2_b32 v26, 7, v0 bitop3:0x40
	v_dual_mov_b32 v25, v1 :: v_dual_bitop2_b32 v97, v0, v6 bitop3:0x54
	s_mov_b32 s58, s57
	s_delay_alu instid0(VALU_DEP_2) | instskip(NEXT) | instid1(VALU_DEP_2)
	v_cmp_lt_u32_e64 s16, 3, v26
                                        ; implicit-def: $vgpr30_vgpr31
                                        ; implicit-def: $vgpr32_vgpr33
                                        ; implicit-def: $vgpr34_vgpr35
                                        ; implicit-def: $vgpr36_vgpr37
                                        ; implicit-def: $vgpr38_vgpr39
                                        ; implicit-def: $vgpr40_vgpr41
                                        ; implicit-def: $vgpr42_vgpr43
                                        ; implicit-def: $vgpr44_vgpr45
                                        ; implicit-def: $vgpr46_vgpr47
                                        ; implicit-def: $vgpr48_vgpr49
                                        ; implicit-def: $vgpr50_vgpr51
                                        ; implicit-def: $vgpr52_vgpr53
                                        ; implicit-def: $vgpr54_vgpr55
                                        ; implicit-def: $vgpr56_vgpr57
                                        ; implicit-def: $vgpr58_vgpr59
                                        ; implicit-def: $vgpr60_vgpr61
                                        ; implicit-def: $vgpr115
                                        ; implicit-def: $vgpr116
                                        ; implicit-def: $vgpr117
                                        ; implicit-def: $vgpr118
                                        ; implicit-def: $vgpr119
                                        ; implicit-def: $vgpr120
                                        ; implicit-def: $vgpr121
                                        ; implicit-def: $vgpr122
                                        ; implicit-def: $vgpr123
                                        ; implicit-def: $vgpr124
                                        ; implicit-def: $vgpr125
                                        ; implicit-def: $vgpr126
                                        ; implicit-def: $vgpr127
                                        ; implicit-def: $vgpr128
                                        ; implicit-def: $vgpr129
                                        ; implicit-def: $vgpr130
                                        ; implicit-def: $vgpr131
                                        ; implicit-def: $vgpr132
                                        ; implicit-def: $vgpr133
	v_add_nc_u64_e32 v[24:25], v[8:9], v[24:25]
	s_delay_alu instid0(VALU_DEP_3)
	v_dual_add_nc_u32 v98, 32, v97 :: v_dual_add_nc_u32 v99, 64, v97
	v_add_nc_u32_e32 v100, 0x60, v97
	v_add_nc_u32_e32 v101, 0x80, v97
	;; [unrolled: 1-line block ×8, first 2 shown]
	s_wait_kmcnt 0x0
	s_cmp_lt_u32 s42, s14
	v_add_nc_u32_e32 v108, 0x160, v97
	s_cselect_b32 s34, 14, 20
	s_and_b32 s17, s17, 0xffff
	s_add_nc_u64 s[14:15], s[52:53], s[34:35]
	v_add_nc_u32_e32 v109, 0x180, v97
	s_load_u16 s18, s[14:15], 0x0
	s_wait_xcnt 0x0
	v_cmp_eq_u32_e64 s14, 0, v26
	v_cmp_lt_u32_e64 s15, 1, v26
	v_add_nc_u32_e32 v110, 0x1a0, v97
	v_add_nc_u32_e32 v111, 0x1c0, v97
	;; [unrolled: 1-line block ×4, first 2 shown]
	s_mov_b32 s34, s55
	s_wait_kmcnt 0x0
	v_mad_u32_u24 v26, v89, s18, v91
	s_delay_alu instid0(VALU_DEP_1) | instskip(NEXT) | instid1(VALU_DEP_1)
	v_mad_u32 v26, v26, s17, v2
	v_lshrrev_b32_e32 v28, 3, v26
	v_add_nc_u64_e32 v[26:27], v[10:11], v[0:1]
	s_delay_alu instid0(VALU_DEP_2)
	v_and_b32_e32 v114, 0x1ffffffc, v28
                                        ; implicit-def: $vgpr28_vgpr29
	s_branch .LBB1627_100
.LBB1627_99:                            ;   in Loop: Header=BB1627_100 Depth=2
	s_or_b32 exec_lo, exec_lo, s17
	s_addk_co_i32 s58, 0xef00
	s_cmp_lt_u32 s59, s54
	s_mov_b32 s34, s59
	s_cbranch_scc0 .LBB1627_322
.LBB1627_100:                           ;   Parent Loop BB1627_12 Depth=1
                                        ; =>  This Inner Loop Header: Depth=2
	s_add_co_i32 s59, s34, 0x1100
	s_delay_alu instid0(SALU_CYCLE_1)
	s_cmp_gt_u32 s59, s54
	s_cbranch_scc1 .LBB1627_102
; %bb.101:                              ;   in Loop: Header=BB1627_100 Depth=2
	s_delay_alu instid0(VALU_DEP_2)
	v_add_nc_u64_e32 v[62:63], s[34:35], v[26:27]
	s_mov_b32 s17, -1
	s_clause 0xf
	global_load_u8 v135, v[62:63], off
	global_load_u8 v136, v[62:63], off offset:32
	global_load_u8 v137, v[62:63], off offset:64
	;; [unrolled: 1-line block ×15, first 2 shown]
	s_movk_i32 s18, 0x1100
	s_cbranch_execz .LBB1627_103
	s_branch .LBB1627_136
.LBB1627_102:                           ;   in Loop: Header=BB1627_100 Depth=2
	s_mov_b32 s17, 0
                                        ; implicit-def: $vgpr135
                                        ; implicit-def: $vgpr136
                                        ; implicit-def: $vgpr137
                                        ; implicit-def: $vgpr138
                                        ; implicit-def: $vgpr139
                                        ; implicit-def: $vgpr140
                                        ; implicit-def: $vgpr141
                                        ; implicit-def: $vgpr142
                                        ; implicit-def: $vgpr143
                                        ; implicit-def: $vgpr144
                                        ; implicit-def: $vgpr145
                                        ; implicit-def: $vgpr146
                                        ; implicit-def: $vgpr147
                                        ; implicit-def: $vgpr148
                                        ; implicit-def: $vgpr149
                                        ; implicit-def: $vgpr150
	s_movk_i32 s18, 0x1100
.LBB1627_103:                           ;   in Loop: Header=BB1627_100 Depth=2
	s_wait_xcnt 0x0
	v_add_nc_u64_e32 v[62:63], s[34:35], v[26:27]
	s_wait_loadcnt 0xe
	v_dual_mov_b32 v136, 1 :: v_dual_mov_b32 v135, 1
	s_mov_b32 s17, exec_lo
	v_cmpx_gt_u32_e64 s58, v97
	s_cbranch_execz .LBB1627_105
; %bb.104:                              ;   in Loop: Header=BB1627_100 Depth=2
	global_load_u8 v135, v[62:63], off
.LBB1627_105:                           ;   in Loop: Header=BB1627_100 Depth=2
	s_wait_xcnt 0x0
	s_or_b32 exec_lo, exec_lo, s17
	s_delay_alu instid0(SALU_CYCLE_1)
	s_mov_b32 s17, exec_lo
	v_cmpx_gt_u32_e64 s58, v98
	s_cbranch_execz .LBB1627_107
; %bb.106:                              ;   in Loop: Header=BB1627_100 Depth=2
	global_load_u8 v136, v[62:63], off offset:32
.LBB1627_107:                           ;   in Loop: Header=BB1627_100 Depth=2
	s_wait_xcnt 0x0
	s_or_b32 exec_lo, exec_lo, s17
	s_wait_loadcnt 0xc
	v_dual_mov_b32 v138, 1 :: v_dual_mov_b32 v137, 1
	s_mov_b32 s17, exec_lo
	v_cmpx_gt_u32_e64 s58, v99
	s_cbranch_execz .LBB1627_109
; %bb.108:                              ;   in Loop: Header=BB1627_100 Depth=2
	global_load_u8 v137, v[62:63], off offset:64
.LBB1627_109:                           ;   in Loop: Header=BB1627_100 Depth=2
	s_wait_xcnt 0x0
	s_or_b32 exec_lo, exec_lo, s17
	s_delay_alu instid0(SALU_CYCLE_1)
	s_mov_b32 s17, exec_lo
	v_cmpx_gt_u32_e64 s58, v100
	s_cbranch_execz .LBB1627_111
; %bb.110:                              ;   in Loop: Header=BB1627_100 Depth=2
	global_load_u8 v138, v[62:63], off offset:96
.LBB1627_111:                           ;   in Loop: Header=BB1627_100 Depth=2
	s_wait_xcnt 0x0
	s_or_b32 exec_lo, exec_lo, s17
	s_wait_loadcnt 0xa
	v_dual_mov_b32 v140, 1 :: v_dual_mov_b32 v139, 1
	s_mov_b32 s17, exec_lo
	v_cmpx_gt_u32_e64 s58, v101
	s_cbranch_execz .LBB1627_113
; %bb.112:                              ;   in Loop: Header=BB1627_100 Depth=2
	global_load_u8 v139, v[62:63], off offset:128
.LBB1627_113:                           ;   in Loop: Header=BB1627_100 Depth=2
	;; [unrolled: 19-line block ×7, first 2 shown]
	s_wait_xcnt 0x0
	s_or_b32 exec_lo, exec_lo, s17
	s_delay_alu instid0(SALU_CYCLE_1)
	s_mov_b32 s17, exec_lo
	v_cmpx_gt_u32_e64 s58, v112
	s_cbranch_execz .LBB1627_135
; %bb.134:                              ;   in Loop: Header=BB1627_100 Depth=2
	global_load_u8 v150, v[62:63], off offset:480
.LBB1627_135:                           ;   in Loop: Header=BB1627_100 Depth=2
	s_wait_xcnt 0x0
	s_or_b32 exec_lo, exec_lo, s17
	v_cmp_gt_u32_e64 s17, s58, v113
	s_sub_co_i32 s18, s54, s34
.LBB1627_136:                           ;   in Loop: Header=BB1627_100 Depth=2
	v_dual_mov_b32 v151, 1 :: v_dual_mov_b32 v134, s58
	s_wait_xcnt 0x0
	s_and_saveexec_b32 s19, s17
	s_cbranch_execz .LBB1627_138
; %bb.137:                              ;   in Loop: Header=BB1627_100 Depth=2
	v_add_nc_u64_e32 v[62:63], s[34:35], v[26:27]
	v_mov_b32_e32 v134, s18
	global_load_u8 v151, v[62:63], off offset:512
.LBB1627_138:                           ;   in Loop: Header=BB1627_100 Depth=2
	s_wait_xcnt 0x0
	s_or_b32 exec_lo, exec_lo, s19
	s_wait_loadcnt 0xf
	v_and_b32_e32 v62, 0xff, v135
	ds_store_2addr_b32 v90, v1, v1 offset0:136 offset1:137
	ds_store_2addr_b32 v90, v1, v1 offset0:138 offset1:139
	ds_store_b32 v90, v1 offset:560
	s_wait_loadcnt_dscnt 0x0
	s_barrier_signal -1
	s_barrier_wait -1
	v_lshrrev_b32_e32 v62, s43, v62
	; wave barrier
	s_delay_alu instid0(VALU_DEP_1) | instskip(NEXT) | instid1(VALU_DEP_1)
	v_and_b32_e32 v63, s48, v62
	v_add_co_u32 v62, s17, v63, -1
	s_delay_alu instid0(VALU_DEP_1) | instskip(SKIP_1) | instid1(VALU_DEP_2)
	v_cndmask_b32_e64 v64, 0, 1, s17
	v_mul_u32_u24_e32 v63, 36, v63
	v_cmp_ne_u32_e32 vcc_lo, 0, v64
	s_delay_alu instid0(VALU_DEP_2) | instskip(SKIP_1) | instid1(VALU_DEP_1)
	v_add_nc_u32_e32 v155, v114, v63
	v_bitop3_b32 v62, vcc_lo, exec_lo, v62 bitop3:0x48
	v_mbcnt_lo_u32_b32 v152, v62, 0
	v_cmp_ne_u32_e64 s17, 0, v62
	s_delay_alu instid0(VALU_DEP_2) | instskip(SKIP_1) | instid1(SALU_CYCLE_1)
	v_cmp_eq_u32_e32 vcc_lo, 0, v152
	s_and_b32 s18, s17, vcc_lo
	s_and_saveexec_b32 s17, s18
; %bb.139:                              ;   in Loop: Header=BB1627_100 Depth=2
	v_bcnt_u32_b32 v62, v62, 0
	ds_store_b32 v155, v62 offset:544
; %bb.140:                              ;   in Loop: Header=BB1627_100 Depth=2
	s_or_b32 exec_lo, exec_lo, s17
	v_and_b32_e32 v62, 0xff, v136
	; wave barrier
	s_delay_alu instid0(VALU_DEP_1) | instskip(NEXT) | instid1(VALU_DEP_1)
	v_lshrrev_b32_e32 v62, s43, v62
	v_and_b32_e32 v63, s48, v62
	s_delay_alu instid0(VALU_DEP_1) | instskip(NEXT) | instid1(VALU_DEP_1)
	v_add_co_u32 v62, s17, v63, -1
	v_cndmask_b32_e64 v64, 0, 1, s17
	v_mad_u32_u24 v65, v63, 36, v114
	v_mul_u32_u24_e32 v63, 36, v63
	s_delay_alu instid0(VALU_DEP_3) | instskip(SKIP_3) | instid1(VALU_DEP_1)
	v_cmp_ne_u32_e32 vcc_lo, 0, v64
	ds_load_b32 v153, v65 offset:544
	v_add_nc_u32_e32 v158, v114, v63
	; wave barrier
	v_bitop3_b32 v62, vcc_lo, exec_lo, v62 bitop3:0x48
	v_mbcnt_lo_u32_b32 v154, v62, 0
	v_cmp_ne_u32_e64 s17, 0, v62
	s_delay_alu instid0(VALU_DEP_2) | instskip(SKIP_1) | instid1(SALU_CYCLE_1)
	v_cmp_eq_u32_e32 vcc_lo, 0, v154
	s_and_b32 s18, s17, vcc_lo
	s_and_saveexec_b32 s17, s18
	s_cbranch_execz .LBB1627_142
; %bb.141:                              ;   in Loop: Header=BB1627_100 Depth=2
	s_wait_dscnt 0x0
	v_bcnt_u32_b32 v62, v62, v153
	ds_store_b32 v158, v62 offset:544
.LBB1627_142:                           ;   in Loop: Header=BB1627_100 Depth=2
	s_or_b32 exec_lo, exec_lo, s17
	v_and_b32_e32 v62, 0xff, v137
	; wave barrier
	s_delay_alu instid0(VALU_DEP_1) | instskip(NEXT) | instid1(VALU_DEP_1)
	v_lshrrev_b32_e32 v62, s43, v62
	v_and_b32_e32 v63, s48, v62
	s_delay_alu instid0(VALU_DEP_1) | instskip(NEXT) | instid1(VALU_DEP_1)
	v_add_co_u32 v62, s17, v63, -1
	v_cndmask_b32_e64 v64, 0, 1, s17
	v_mad_u32_u24 v65, v63, 36, v114
	v_mul_u32_u24_e32 v63, 36, v63
	s_delay_alu instid0(VALU_DEP_3) | instskip(SKIP_3) | instid1(VALU_DEP_1)
	v_cmp_ne_u32_e32 vcc_lo, 0, v64
	ds_load_b32 v156, v65 offset:544
	v_add_nc_u32_e32 v161, v114, v63
	; wave barrier
	v_bitop3_b32 v62, vcc_lo, exec_lo, v62 bitop3:0x48
	v_mbcnt_lo_u32_b32 v157, v62, 0
	v_cmp_ne_u32_e64 s17, 0, v62
	s_delay_alu instid0(VALU_DEP_2) | instskip(SKIP_1) | instid1(SALU_CYCLE_1)
	v_cmp_eq_u32_e32 vcc_lo, 0, v157
	s_and_b32 s18, s17, vcc_lo
	s_and_saveexec_b32 s17, s18
	s_cbranch_execz .LBB1627_144
; %bb.143:                              ;   in Loop: Header=BB1627_100 Depth=2
	s_wait_dscnt 0x0
	v_bcnt_u32_b32 v62, v62, v156
	ds_store_b32 v161, v62 offset:544
.LBB1627_144:                           ;   in Loop: Header=BB1627_100 Depth=2
	;; [unrolled: 29-line block ×16, first 2 shown]
	s_or_b32 exec_lo, exec_lo, s17
	; wave barrier
	s_wait_dscnt 0x0
	s_barrier_signal -1
	s_barrier_wait -1
	ds_load_2addr_b32 v[64:65], v90 offset0:136 offset1:137
	ds_load_2addr_b32 v[62:63], v90 offset0:138 offset1:139
	ds_load_b32 v202, v90 offset:560
	s_wait_dscnt 0x1
	v_add3_u32 v203, v65, v64, v62
	s_wait_dscnt 0x0
	s_delay_alu instid0(VALU_DEP_1) | instskip(NEXT) | instid1(VALU_DEP_1)
	v_add3_u32 v202, v203, v63, v202
	v_mov_b32_dpp v203, v202 row_shr:1 row_mask:0xf bank_mask:0xf
	s_delay_alu instid0(VALU_DEP_1) | instskip(NEXT) | instid1(VALU_DEP_1)
	v_cndmask_b32_e64 v203, v203, 0, s8
	v_add_nc_u32_e32 v202, v203, v202
	s_delay_alu instid0(VALU_DEP_1) | instskip(NEXT) | instid1(VALU_DEP_1)
	v_mov_b32_dpp v203, v202 row_shr:2 row_mask:0xf bank_mask:0xf
	v_cndmask_b32_e64 v203, 0, v203, s9
	s_delay_alu instid0(VALU_DEP_1) | instskip(NEXT) | instid1(VALU_DEP_1)
	v_add_nc_u32_e32 v202, v202, v203
	v_mov_b32_dpp v203, v202 row_shr:4 row_mask:0xf bank_mask:0xf
	s_delay_alu instid0(VALU_DEP_1) | instskip(NEXT) | instid1(VALU_DEP_1)
	v_cndmask_b32_e64 v203, 0, v203, s10
	v_add_nc_u32_e32 v202, v202, v203
	s_delay_alu instid0(VALU_DEP_1) | instskip(NEXT) | instid1(VALU_DEP_1)
	v_mov_b32_dpp v203, v202 row_shr:8 row_mask:0xf bank_mask:0xf
	v_cndmask_b32_e64 v203, 0, v203, s11
	s_delay_alu instid0(VALU_DEP_1) | instskip(SKIP_3) | instid1(VALU_DEP_1)
	v_add_nc_u32_e32 v202, v202, v203
	ds_swizzle_b32 v203, v202 offset:swizzle(BROADCAST,32,15)
	s_wait_dscnt 0x0
	v_cndmask_b32_e64 v203, v203, 0, s12
	v_add_nc_u32_e32 v202, v202, v203
	s_and_saveexec_b32 s17, s2
; %bb.173:                              ;   in Loop: Header=BB1627_100 Depth=2
	ds_store_b32 v83, v202 offset:512
; %bb.174:                              ;   in Loop: Header=BB1627_100 Depth=2
	s_or_b32 exec_lo, exec_lo, s17
	s_wait_dscnt 0x0
	s_barrier_signal -1
	s_barrier_wait -1
	s_and_saveexec_b32 s17, s3
	s_cbranch_execz .LBB1627_176
; %bb.175:                              ;   in Loop: Header=BB1627_100 Depth=2
	ds_load_b32 v203, v92 offset:512
	s_wait_dscnt 0x0
	v_mov_b32_dpp v204, v203 row_shr:1 row_mask:0xf bank_mask:0xf
	s_delay_alu instid0(VALU_DEP_1) | instskip(NEXT) | instid1(VALU_DEP_1)
	v_cndmask_b32_e64 v204, v204, 0, s14
	v_add_nc_u32_e32 v203, v204, v203
	s_delay_alu instid0(VALU_DEP_1) | instskip(NEXT) | instid1(VALU_DEP_1)
	v_mov_b32_dpp v204, v203 row_shr:2 row_mask:0xf bank_mask:0xf
	v_cndmask_b32_e64 v204, 0, v204, s15
	s_delay_alu instid0(VALU_DEP_1) | instskip(NEXT) | instid1(VALU_DEP_1)
	v_add_nc_u32_e32 v203, v203, v204
	v_mov_b32_dpp v204, v203 row_shr:4 row_mask:0xf bank_mask:0xf
	s_delay_alu instid0(VALU_DEP_1) | instskip(NEXT) | instid1(VALU_DEP_1)
	v_cndmask_b32_e64 v204, 0, v204, s16
	v_add_nc_u32_e32 v203, v203, v204
	ds_store_b32 v92, v203 offset:512
.LBB1627_176:                           ;   in Loop: Header=BB1627_100 Depth=2
	s_or_b32 exec_lo, exec_lo, s17
	v_mov_b32_e32 v203, 0
	s_wait_dscnt 0x0
	s_barrier_signal -1
	s_barrier_wait -1
	s_and_saveexec_b32 s17, s5
; %bb.177:                              ;   in Loop: Header=BB1627_100 Depth=2
	ds_load_b32 v203, v83 offset:508
; %bb.178:                              ;   in Loop: Header=BB1627_100 Depth=2
	s_or_b32 exec_lo, exec_lo, s17
	s_wait_dscnt 0x0
	v_add_nc_u32_e32 v202, v203, v202
	ds_bpermute_b32 v202, v96, v202
	s_wait_dscnt 0x0
	v_cndmask_b32_e64 v202, v202, v203, s13
	s_delay_alu instid0(VALU_DEP_1) | instskip(NEXT) | instid1(VALU_DEP_1)
	v_cndmask_b32_e64 v202, v202, 0, s6
	v_add_nc_u32_e32 v64, v202, v64
	s_delay_alu instid0(VALU_DEP_1) | instskip(NEXT) | instid1(VALU_DEP_1)
	v_add_nc_u32_e32 v65, v64, v65
	v_add_nc_u32_e32 v62, v65, v62
	s_delay_alu instid0(VALU_DEP_1)
	v_add_nc_u32_e32 v63, v62, v63
	ds_store_2addr_b32 v90, v202, v64 offset0:136 offset1:137
	ds_store_2addr_b32 v90, v65, v62 offset0:138 offset1:139
	ds_store_b32 v90, v63 offset:560
	s_wait_dscnt 0x0
	s_barrier_signal -1
	s_barrier_wait -1
	ds_load_b32 v62, v155 offset:544
	ds_load_b32 v63, v158 offset:544
	;; [unrolled: 1-line block ×17, first 2 shown]
	s_and_saveexec_b32 s17, s0
	s_cbranch_execz .LBB1627_182
; %bb.179:                              ;   in Loop: Header=BB1627_100 Depth=2
	v_dual_mov_b32 v133, 0x1100 :: v_dual_add_nc_u32 v132, v92, v94
	ds_load_b32 v132, v132 offset:544
	s_and_saveexec_b32 s18, s7
; %bb.180:                              ;   in Loop: Header=BB1627_100 Depth=2
	ds_load_b32 v133, v93 offset:544
; %bb.181:                              ;   in Loop: Header=BB1627_100 Depth=2
	s_or_b32 exec_lo, exec_lo, s18
	s_wait_dscnt 0x0
	v_sub_nc_u32_e32 v133, v133, v132
.LBB1627_182:                           ;   in Loop: Header=BB1627_100 Depth=2
	s_or_b32 exec_lo, exec_lo, s17
	s_wait_dscnt 0x0
	s_barrier_signal -1
	s_barrier_wait -1
	s_and_saveexec_b32 s17, s0
	s_cbranch_execz .LBB1627_184
; %bb.183:                              ;   in Loop: Header=BB1627_100 Depth=2
	ds_load_b32 v161, v66
	s_wait_dscnt 0x0
	v_sub_nc_u32_e32 v161, v161, v132
	ds_store_b32 v66, v161
.LBB1627_184:                           ;   in Loop: Header=BB1627_100 Depth=2
	s_or_b32 exec_lo, exec_lo, s17
	v_add_nc_u32_e32 v166, v62, v152
	v_add3_u32 v165, v154, v153, v63
	v_add3_u32 v164, v157, v156, v64
	;; [unrolled: 1-line block ×16, first 2 shown]
	v_cmp_lt_u32_e32 vcc_lo, v2, v134
	ds_store_b8 v166, v135 offset:512
	ds_store_b8 v165, v136 offset:512
	;; [unrolled: 1-line block ×17, first 2 shown]
	s_wait_dscnt 0x0
	s_barrier_signal -1
	s_barrier_wait -1
	s_and_saveexec_b32 s17, vcc_lo
	s_cbranch_execnz .LBB1627_257
; %bb.185:                              ;   in Loop: Header=BB1627_100 Depth=2
	s_or_b32 exec_lo, exec_lo, s17
	v_cmp_lt_u32_e64 s17, v67, v134
	s_and_saveexec_b32 s18, s17
	s_cbranch_execnz .LBB1627_258
.LBB1627_186:                           ;   in Loop: Header=BB1627_100 Depth=2
	s_or_b32 exec_lo, exec_lo, s18
	v_cmp_lt_u32_e64 s18, v68, v134
	s_and_saveexec_b32 s19, s18
	s_cbranch_execnz .LBB1627_259
.LBB1627_187:                           ;   in Loop: Header=BB1627_100 Depth=2
	s_or_b32 exec_lo, exec_lo, s19
	v_cmp_lt_u32_e64 s19, v69, v134
	s_and_saveexec_b32 s20, s19
	s_cbranch_execnz .LBB1627_260
.LBB1627_188:                           ;   in Loop: Header=BB1627_100 Depth=2
	s_or_b32 exec_lo, exec_lo, s20
	v_cmp_lt_u32_e64 s20, v70, v134
	s_and_saveexec_b32 s21, s20
	s_cbranch_execnz .LBB1627_261
.LBB1627_189:                           ;   in Loop: Header=BB1627_100 Depth=2
	s_or_b32 exec_lo, exec_lo, s21
	v_cmp_lt_u32_e64 s21, v71, v134
	s_and_saveexec_b32 s22, s21
	s_cbranch_execnz .LBB1627_262
.LBB1627_190:                           ;   in Loop: Header=BB1627_100 Depth=2
	s_or_b32 exec_lo, exec_lo, s22
	v_cmp_lt_u32_e64 s22, v72, v134
	s_and_saveexec_b32 s23, s22
	s_cbranch_execnz .LBB1627_263
.LBB1627_191:                           ;   in Loop: Header=BB1627_100 Depth=2
	s_or_b32 exec_lo, exec_lo, s23
	v_cmp_lt_u32_e64 s23, v73, v134
	s_and_saveexec_b32 s24, s23
	s_cbranch_execnz .LBB1627_264
.LBB1627_192:                           ;   in Loop: Header=BB1627_100 Depth=2
	s_or_b32 exec_lo, exec_lo, s24
	v_cmp_lt_u32_e64 s24, v74, v134
	s_and_saveexec_b32 s25, s24
	s_cbranch_execnz .LBB1627_265
.LBB1627_193:                           ;   in Loop: Header=BB1627_100 Depth=2
	s_or_b32 exec_lo, exec_lo, s25
	v_cmp_lt_u32_e64 s25, v75, v134
	s_and_saveexec_b32 s26, s25
	s_cbranch_execnz .LBB1627_266
.LBB1627_194:                           ;   in Loop: Header=BB1627_100 Depth=2
	s_or_b32 exec_lo, exec_lo, s26
	v_cmp_lt_u32_e64 s26, v76, v134
	s_and_saveexec_b32 s27, s26
	s_cbranch_execnz .LBB1627_267
.LBB1627_195:                           ;   in Loop: Header=BB1627_100 Depth=2
	s_or_b32 exec_lo, exec_lo, s27
	v_cmp_lt_u32_e64 s27, v77, v134
	s_and_saveexec_b32 s28, s27
	s_cbranch_execnz .LBB1627_268
.LBB1627_196:                           ;   in Loop: Header=BB1627_100 Depth=2
	s_or_b32 exec_lo, exec_lo, s28
	v_cmp_lt_u32_e64 s28, v78, v134
	s_and_saveexec_b32 s29, s28
	s_cbranch_execnz .LBB1627_269
.LBB1627_197:                           ;   in Loop: Header=BB1627_100 Depth=2
	s_or_b32 exec_lo, exec_lo, s29
	v_cmp_lt_u32_e64 s29, v79, v134
	s_and_saveexec_b32 s30, s29
	s_cbranch_execnz .LBB1627_270
.LBB1627_198:                           ;   in Loop: Header=BB1627_100 Depth=2
	s_or_b32 exec_lo, exec_lo, s30
	v_cmp_lt_u32_e64 s30, v80, v134
	s_and_saveexec_b32 s31, s30
	s_cbranch_execnz .LBB1627_271
.LBB1627_199:                           ;   in Loop: Header=BB1627_100 Depth=2
	s_or_b32 exec_lo, exec_lo, s31
	v_cmp_lt_u32_e64 s31, v81, v134
	s_and_saveexec_b32 s33, s31
	s_cbranch_execnz .LBB1627_272
.LBB1627_200:                           ;   in Loop: Header=BB1627_100 Depth=2
	s_or_b32 exec_lo, exec_lo, s33
	v_cmp_lt_u32_e64 s33, v82, v134
	s_and_saveexec_b32 s60, s33
	s_cbranch_execz .LBB1627_202
.LBB1627_201:                           ;   in Loop: Header=BB1627_100 Depth=2
	ds_load_u8 v62, v2 offset:4608
	s_wait_dscnt 0x0
	v_and_b32_e32 v63, 1, v62
	s_delay_alu instid0(VALU_DEP_1) | instskip(NEXT) | instid1(VALU_DEP_1)
	v_lshrrev_b32_e32 v63, s43, v63
	v_and_b32_e32 v63, s48, v63
	s_delay_alu instid0(VALU_DEP_1)
	v_lshlrev_b32_e32 v63, 2, v63
	ds_load_b32 v63, v63
	s_wait_dscnt 0x0
	v_add_nc_u32_e32 v63, v63, v82
	global_store_b8 v63, v62, s[38:39]
.LBB1627_202:                           ;   in Loop: Header=BB1627_100 Depth=2
	s_wait_xcnt 0x0
	s_or_b32 exec_lo, exec_lo, s60
	v_lshl_add_u64 v[62:63], s[34:35], 3, v[24:25]
	v_cmp_lt_u32_e64 s34, v97, v134
	s_and_saveexec_b32 s60, s34
	s_delay_alu instid0(SALU_CYCLE_1)
	s_xor_b32 s34, exec_lo, s60
	s_cbranch_execnz .LBB1627_273
; %bb.203:                              ;   in Loop: Header=BB1627_100 Depth=2
	s_or_b32 exec_lo, exec_lo, s34
	s_delay_alu instid0(SALU_CYCLE_1)
	s_mov_b32 s60, exec_lo
	v_cmpx_lt_u32_e64 v98, v134
	s_cbranch_execnz .LBB1627_274
.LBB1627_204:                           ;   in Loop: Header=BB1627_100 Depth=2
	s_or_b32 exec_lo, exec_lo, s60
	s_delay_alu instid0(SALU_CYCLE_1)
	s_mov_b32 s60, exec_lo
	v_cmpx_lt_u32_e64 v99, v134
	s_cbranch_execnz .LBB1627_275
.LBB1627_205:                           ;   in Loop: Header=BB1627_100 Depth=2
	s_or_b32 exec_lo, exec_lo, s60
	s_delay_alu instid0(SALU_CYCLE_1)
	s_mov_b32 s60, exec_lo
	v_cmpx_lt_u32_e64 v100, v134
	s_cbranch_execnz .LBB1627_276
.LBB1627_206:                           ;   in Loop: Header=BB1627_100 Depth=2
	s_or_b32 exec_lo, exec_lo, s60
	s_delay_alu instid0(SALU_CYCLE_1)
	s_mov_b32 s60, exec_lo
	v_cmpx_lt_u32_e64 v101, v134
	s_cbranch_execnz .LBB1627_277
.LBB1627_207:                           ;   in Loop: Header=BB1627_100 Depth=2
	s_or_b32 exec_lo, exec_lo, s60
	s_delay_alu instid0(SALU_CYCLE_1)
	s_mov_b32 s60, exec_lo
	v_cmpx_lt_u32_e64 v102, v134
	s_cbranch_execnz .LBB1627_278
.LBB1627_208:                           ;   in Loop: Header=BB1627_100 Depth=2
	s_or_b32 exec_lo, exec_lo, s60
	s_delay_alu instid0(SALU_CYCLE_1)
	s_mov_b32 s60, exec_lo
	v_cmpx_lt_u32_e64 v103, v134
	s_cbranch_execnz .LBB1627_279
.LBB1627_209:                           ;   in Loop: Header=BB1627_100 Depth=2
	s_or_b32 exec_lo, exec_lo, s60
	s_delay_alu instid0(SALU_CYCLE_1)
	s_mov_b32 s60, exec_lo
	v_cmpx_lt_u32_e64 v104, v134
	s_cbranch_execnz .LBB1627_280
.LBB1627_210:                           ;   in Loop: Header=BB1627_100 Depth=2
	s_or_b32 exec_lo, exec_lo, s60
	s_delay_alu instid0(SALU_CYCLE_1)
	s_mov_b32 s60, exec_lo
	v_cmpx_lt_u32_e64 v105, v134
	s_cbranch_execnz .LBB1627_281
.LBB1627_211:                           ;   in Loop: Header=BB1627_100 Depth=2
	s_or_b32 exec_lo, exec_lo, s60
	s_delay_alu instid0(SALU_CYCLE_1)
	s_mov_b32 s60, exec_lo
	v_cmpx_lt_u32_e64 v106, v134
	s_cbranch_execnz .LBB1627_282
.LBB1627_212:                           ;   in Loop: Header=BB1627_100 Depth=2
	s_or_b32 exec_lo, exec_lo, s60
	s_delay_alu instid0(SALU_CYCLE_1)
	s_mov_b32 s60, exec_lo
	v_cmpx_lt_u32_e64 v107, v134
	s_cbranch_execnz .LBB1627_283
.LBB1627_213:                           ;   in Loop: Header=BB1627_100 Depth=2
	s_or_b32 exec_lo, exec_lo, s60
	s_delay_alu instid0(SALU_CYCLE_1)
	s_mov_b32 s60, exec_lo
	v_cmpx_lt_u32_e64 v108, v134
	s_cbranch_execnz .LBB1627_284
.LBB1627_214:                           ;   in Loop: Header=BB1627_100 Depth=2
	s_or_b32 exec_lo, exec_lo, s60
	s_delay_alu instid0(SALU_CYCLE_1)
	s_mov_b32 s60, exec_lo
	v_cmpx_lt_u32_e64 v109, v134
	s_cbranch_execnz .LBB1627_285
.LBB1627_215:                           ;   in Loop: Header=BB1627_100 Depth=2
	s_or_b32 exec_lo, exec_lo, s60
	s_delay_alu instid0(SALU_CYCLE_1)
	s_mov_b32 s60, exec_lo
	v_cmpx_lt_u32_e64 v110, v134
	s_cbranch_execnz .LBB1627_286
.LBB1627_216:                           ;   in Loop: Header=BB1627_100 Depth=2
	s_or_b32 exec_lo, exec_lo, s60
	s_delay_alu instid0(SALU_CYCLE_1)
	s_mov_b32 s60, exec_lo
	v_cmpx_lt_u32_e64 v111, v134
	s_cbranch_execnz .LBB1627_287
.LBB1627_217:                           ;   in Loop: Header=BB1627_100 Depth=2
	s_or_b32 exec_lo, exec_lo, s60
	s_delay_alu instid0(SALU_CYCLE_1)
	s_mov_b32 s60, exec_lo
	v_cmpx_lt_u32_e64 v112, v134
	s_cbranch_execnz .LBB1627_288
.LBB1627_218:                           ;   in Loop: Header=BB1627_100 Depth=2
	s_or_b32 exec_lo, exec_lo, s60
	s_delay_alu instid0(SALU_CYCLE_1)
	s_mov_b32 s60, exec_lo
	v_cmpx_lt_u32_e64 v113, v134
	s_cbranch_execnz .LBB1627_289
.LBB1627_219:                           ;   in Loop: Header=BB1627_100 Depth=2
	s_or_b32 exec_lo, exec_lo, s60
	s_and_saveexec_b32 s34, vcc_lo
	s_cbranch_execnz .LBB1627_290
.LBB1627_220:                           ;   in Loop: Header=BB1627_100 Depth=2
	s_or_b32 exec_lo, exec_lo, s34
	s_and_saveexec_b32 s34, s17
	s_cbranch_execnz .LBB1627_291
.LBB1627_221:                           ;   in Loop: Header=BB1627_100 Depth=2
	s_or_b32 exec_lo, exec_lo, s34
	s_and_saveexec_b32 s34, s18
	s_cbranch_execnz .LBB1627_292
.LBB1627_222:                           ;   in Loop: Header=BB1627_100 Depth=2
	s_or_b32 exec_lo, exec_lo, s34
	s_and_saveexec_b32 s34, s19
	s_cbranch_execnz .LBB1627_293
.LBB1627_223:                           ;   in Loop: Header=BB1627_100 Depth=2
	s_or_b32 exec_lo, exec_lo, s34
	s_and_saveexec_b32 s34, s20
	s_cbranch_execnz .LBB1627_294
.LBB1627_224:                           ;   in Loop: Header=BB1627_100 Depth=2
	s_or_b32 exec_lo, exec_lo, s34
	s_and_saveexec_b32 s34, s21
	s_cbranch_execnz .LBB1627_295
.LBB1627_225:                           ;   in Loop: Header=BB1627_100 Depth=2
	s_or_b32 exec_lo, exec_lo, s34
	s_and_saveexec_b32 s34, s22
	s_cbranch_execnz .LBB1627_296
.LBB1627_226:                           ;   in Loop: Header=BB1627_100 Depth=2
	s_or_b32 exec_lo, exec_lo, s34
	s_and_saveexec_b32 s34, s23
	s_cbranch_execnz .LBB1627_297
.LBB1627_227:                           ;   in Loop: Header=BB1627_100 Depth=2
	s_or_b32 exec_lo, exec_lo, s34
	s_and_saveexec_b32 s34, s24
	s_cbranch_execnz .LBB1627_298
.LBB1627_228:                           ;   in Loop: Header=BB1627_100 Depth=2
	s_or_b32 exec_lo, exec_lo, s34
	s_and_saveexec_b32 s34, s25
	s_cbranch_execnz .LBB1627_299
.LBB1627_229:                           ;   in Loop: Header=BB1627_100 Depth=2
	s_or_b32 exec_lo, exec_lo, s34
	s_and_saveexec_b32 s34, s26
	s_cbranch_execnz .LBB1627_300
.LBB1627_230:                           ;   in Loop: Header=BB1627_100 Depth=2
	s_or_b32 exec_lo, exec_lo, s34
	s_and_saveexec_b32 s34, s27
	s_cbranch_execnz .LBB1627_301
.LBB1627_231:                           ;   in Loop: Header=BB1627_100 Depth=2
	s_or_b32 exec_lo, exec_lo, s34
	s_and_saveexec_b32 s34, s28
	s_cbranch_execnz .LBB1627_302
.LBB1627_232:                           ;   in Loop: Header=BB1627_100 Depth=2
	s_or_b32 exec_lo, exec_lo, s34
	s_and_saveexec_b32 s34, s29
	s_cbranch_execnz .LBB1627_303
.LBB1627_233:                           ;   in Loop: Header=BB1627_100 Depth=2
	s_or_b32 exec_lo, exec_lo, s34
	s_and_saveexec_b32 s34, s30
	s_cbranch_execnz .LBB1627_304
.LBB1627_234:                           ;   in Loop: Header=BB1627_100 Depth=2
	s_or_b32 exec_lo, exec_lo, s34
	s_and_saveexec_b32 s34, s31
	s_cbranch_execnz .LBB1627_305
.LBB1627_235:                           ;   in Loop: Header=BB1627_100 Depth=2
	s_or_b32 exec_lo, exec_lo, s34
	s_and_saveexec_b32 s34, s33
	s_cbranch_execz .LBB1627_237
.LBB1627_236:                           ;   in Loop: Header=BB1627_100 Depth=2
	ds_load_u8 v62, v2 offset:4608
	s_wait_dscnt 0x0
	v_lshrrev_b32_e32 v62, s43, v62
	s_delay_alu instid0(VALU_DEP_1)
	v_and_b32_e32 v115, s48, v62
.LBB1627_237:                           ;   in Loop: Header=BB1627_100 Depth=2
	s_or_b32 exec_lo, exec_lo, s34
	v_dual_lshlrev_b32 v62, 3, v166 :: v_dual_lshlrev_b32 v63, 3, v165
	s_wait_loadcnt 0x0
	s_wait_storecnt 0x0
	s_barrier_signal -1
	s_barrier_wait -1
	ds_store_b64 v62, v[60:61] offset:512
	ds_store_b64 v63, v[58:59] offset:512
	v_dual_lshlrev_b32 v62, 3, v164 :: v_dual_lshlrev_b32 v63, 3, v163
	v_dual_lshlrev_b32 v134, 3, v162 :: v_dual_lshlrev_b32 v135, 3, v161
	v_lshlrev_b32_e32 v136, 3, v160
	ds_store_b64 v62, v[56:57] offset:512
	ds_store_b64 v63, v[54:55] offset:512
	ds_store_b64 v134, v[52:53] offset:512
	ds_store_b64 v135, v[50:51] offset:512
	ds_store_b64 v136, v[48:49] offset:512
	v_dual_lshlrev_b32 v62, 3, v159 :: v_dual_lshlrev_b32 v63, 3, v158
	v_dual_lshlrev_b32 v134, 3, v157 :: v_dual_lshlrev_b32 v135, 3, v156
	v_lshlrev_b32_e32 v136, 3, v155
	ds_store_b64 v62, v[46:47] offset:512
	ds_store_b64 v63, v[44:45] offset:512
	ds_store_b64 v134, v[42:43] offset:512
	;; [unrolled: 8-line block ×3, first 2 shown]
	ds_store_b64 v65, v[30:31] offset:512
	ds_store_b64 v64, v[28:29] offset:512
	s_wait_dscnt 0x0
	s_barrier_signal -1
	s_barrier_wait -1
	s_and_saveexec_b32 s34, vcc_lo
	s_cbranch_execnz .LBB1627_306
; %bb.238:                              ;   in Loop: Header=BB1627_100 Depth=2
	s_or_b32 exec_lo, exec_lo, s34
	s_and_saveexec_b32 s34, s17
	s_cbranch_execnz .LBB1627_307
.LBB1627_239:                           ;   in Loop: Header=BB1627_100 Depth=2
	s_or_b32 exec_lo, exec_lo, s34
	s_and_saveexec_b32 s17, s18
	s_cbranch_execnz .LBB1627_308
.LBB1627_240:                           ;   in Loop: Header=BB1627_100 Depth=2
	s_or_b32 exec_lo, exec_lo, s17
	s_and_saveexec_b32 s17, s19
	s_cbranch_execnz .LBB1627_309
.LBB1627_241:                           ;   in Loop: Header=BB1627_100 Depth=2
	s_or_b32 exec_lo, exec_lo, s17
	s_and_saveexec_b32 s17, s20
	s_cbranch_execnz .LBB1627_310
.LBB1627_242:                           ;   in Loop: Header=BB1627_100 Depth=2
	s_or_b32 exec_lo, exec_lo, s17
	s_and_saveexec_b32 s17, s21
	s_cbranch_execnz .LBB1627_311
.LBB1627_243:                           ;   in Loop: Header=BB1627_100 Depth=2
	s_or_b32 exec_lo, exec_lo, s17
	s_and_saveexec_b32 s17, s22
	s_cbranch_execnz .LBB1627_312
.LBB1627_244:                           ;   in Loop: Header=BB1627_100 Depth=2
	s_or_b32 exec_lo, exec_lo, s17
	s_and_saveexec_b32 s17, s23
	s_cbranch_execnz .LBB1627_313
.LBB1627_245:                           ;   in Loop: Header=BB1627_100 Depth=2
	s_or_b32 exec_lo, exec_lo, s17
	s_and_saveexec_b32 s17, s24
	s_cbranch_execnz .LBB1627_314
.LBB1627_246:                           ;   in Loop: Header=BB1627_100 Depth=2
	s_or_b32 exec_lo, exec_lo, s17
	s_and_saveexec_b32 s17, s25
	s_cbranch_execnz .LBB1627_315
.LBB1627_247:                           ;   in Loop: Header=BB1627_100 Depth=2
	s_or_b32 exec_lo, exec_lo, s17
	s_and_saveexec_b32 s17, s26
	s_cbranch_execnz .LBB1627_316
.LBB1627_248:                           ;   in Loop: Header=BB1627_100 Depth=2
	s_or_b32 exec_lo, exec_lo, s17
	s_and_saveexec_b32 s17, s27
	s_cbranch_execnz .LBB1627_317
.LBB1627_249:                           ;   in Loop: Header=BB1627_100 Depth=2
	s_or_b32 exec_lo, exec_lo, s17
	s_and_saveexec_b32 s17, s28
	s_cbranch_execnz .LBB1627_318
.LBB1627_250:                           ;   in Loop: Header=BB1627_100 Depth=2
	s_or_b32 exec_lo, exec_lo, s17
	s_and_saveexec_b32 s17, s29
	s_cbranch_execnz .LBB1627_319
.LBB1627_251:                           ;   in Loop: Header=BB1627_100 Depth=2
	s_or_b32 exec_lo, exec_lo, s17
	s_and_saveexec_b32 s17, s30
	s_cbranch_execnz .LBB1627_320
.LBB1627_252:                           ;   in Loop: Header=BB1627_100 Depth=2
	s_or_b32 exec_lo, exec_lo, s17
	s_and_saveexec_b32 s17, s31
	s_cbranch_execnz .LBB1627_321
.LBB1627_253:                           ;   in Loop: Header=BB1627_100 Depth=2
	s_or_b32 exec_lo, exec_lo, s17
	s_and_saveexec_b32 s17, s33
	s_cbranch_execz .LBB1627_255
.LBB1627_254:                           ;   in Loop: Header=BB1627_100 Depth=2
	v_lshlrev_b32_e32 v62, 2, v115
	v_add_nc_u32_e32 v63, v2, v95
	ds_load_b32 v64, v62
	ds_load_b64 v[62:63], v63 offset:33280
	s_wait_dscnt 0x1
	v_add_nc_u32_e32 v64, v64, v82
	s_wait_dscnt 0x0
	global_store_b64 v64, v[62:63], s[44:45] scale_offset
.LBB1627_255:                           ;   in Loop: Header=BB1627_100 Depth=2
	s_wait_xcnt 0x0
	s_or_b32 exec_lo, exec_lo, s17
	s_wait_storecnt 0x0
	s_barrier_signal -1
	s_barrier_wait -1
	s_and_saveexec_b32 s17, s0
	s_cbranch_execz .LBB1627_99
; %bb.256:                              ;   in Loop: Header=BB1627_100 Depth=2
	ds_load_b32 v62, v66
	s_wait_dscnt 0x0
	v_add3_u32 v62, v132, v133, v62
	ds_store_b32 v66, v62
	s_branch .LBB1627_99
.LBB1627_257:                           ;   in Loop: Header=BB1627_100 Depth=2
	ds_load_u8 v62, v2 offset:512
	s_wait_dscnt 0x0
	v_and_b32_e32 v63, 1, v62
	s_delay_alu instid0(VALU_DEP_1) | instskip(NEXT) | instid1(VALU_DEP_1)
	v_lshrrev_b32_e32 v63, s43, v63
	v_and_b32_e32 v63, s48, v63
	s_delay_alu instid0(VALU_DEP_1)
	v_lshlrev_b32_e32 v63, 2, v63
	ds_load_b32 v63, v63
	s_wait_dscnt 0x0
	v_add_nc_u32_e32 v63, v63, v2
	global_store_b8 v63, v62, s[38:39]
	s_wait_xcnt 0x0
	s_or_b32 exec_lo, exec_lo, s17
	v_cmp_lt_u32_e64 s17, v67, v134
	s_and_saveexec_b32 s18, s17
	s_cbranch_execz .LBB1627_186
.LBB1627_258:                           ;   in Loop: Header=BB1627_100 Depth=2
	ds_load_u8 v62, v2 offset:768
	s_wait_dscnt 0x0
	v_and_b32_e32 v63, 1, v62
	s_delay_alu instid0(VALU_DEP_1) | instskip(NEXT) | instid1(VALU_DEP_1)
	v_lshrrev_b32_e32 v63, s43, v63
	v_and_b32_e32 v63, s48, v63
	s_delay_alu instid0(VALU_DEP_1)
	v_lshlrev_b32_e32 v63, 2, v63
	ds_load_b32 v63, v63
	s_wait_dscnt 0x0
	v_add_nc_u32_e32 v63, v63, v67
	global_store_b8 v63, v62, s[38:39]
	s_wait_xcnt 0x0
	s_or_b32 exec_lo, exec_lo, s18
	v_cmp_lt_u32_e64 s18, v68, v134
	s_and_saveexec_b32 s19, s18
	s_cbranch_execz .LBB1627_187
.LBB1627_259:                           ;   in Loop: Header=BB1627_100 Depth=2
	ds_load_u8 v62, v2 offset:1024
	s_wait_dscnt 0x0
	v_and_b32_e32 v63, 1, v62
	s_delay_alu instid0(VALU_DEP_1) | instskip(NEXT) | instid1(VALU_DEP_1)
	v_lshrrev_b32_e32 v63, s43, v63
	v_and_b32_e32 v63, s48, v63
	s_delay_alu instid0(VALU_DEP_1)
	v_lshlrev_b32_e32 v63, 2, v63
	ds_load_b32 v63, v63
	s_wait_dscnt 0x0
	v_add_nc_u32_e32 v63, v63, v68
	global_store_b8 v63, v62, s[38:39]
	s_wait_xcnt 0x0
	s_or_b32 exec_lo, exec_lo, s19
	v_cmp_lt_u32_e64 s19, v69, v134
	s_and_saveexec_b32 s20, s19
	s_cbranch_execz .LBB1627_188
.LBB1627_260:                           ;   in Loop: Header=BB1627_100 Depth=2
	ds_load_u8 v62, v2 offset:1280
	s_wait_dscnt 0x0
	v_and_b32_e32 v63, 1, v62
	s_delay_alu instid0(VALU_DEP_1) | instskip(NEXT) | instid1(VALU_DEP_1)
	v_lshrrev_b32_e32 v63, s43, v63
	v_and_b32_e32 v63, s48, v63
	s_delay_alu instid0(VALU_DEP_1)
	v_lshlrev_b32_e32 v63, 2, v63
	ds_load_b32 v63, v63
	s_wait_dscnt 0x0
	v_add_nc_u32_e32 v63, v63, v69
	global_store_b8 v63, v62, s[38:39]
	s_wait_xcnt 0x0
	s_or_b32 exec_lo, exec_lo, s20
	v_cmp_lt_u32_e64 s20, v70, v134
	s_and_saveexec_b32 s21, s20
	s_cbranch_execz .LBB1627_189
.LBB1627_261:                           ;   in Loop: Header=BB1627_100 Depth=2
	ds_load_u8 v62, v2 offset:1536
	s_wait_dscnt 0x0
	v_and_b32_e32 v63, 1, v62
	s_delay_alu instid0(VALU_DEP_1) | instskip(NEXT) | instid1(VALU_DEP_1)
	v_lshrrev_b32_e32 v63, s43, v63
	v_and_b32_e32 v63, s48, v63
	s_delay_alu instid0(VALU_DEP_1)
	v_lshlrev_b32_e32 v63, 2, v63
	ds_load_b32 v63, v63
	s_wait_dscnt 0x0
	v_add_nc_u32_e32 v63, v63, v70
	global_store_b8 v63, v62, s[38:39]
	s_wait_xcnt 0x0
	s_or_b32 exec_lo, exec_lo, s21
	v_cmp_lt_u32_e64 s21, v71, v134
	s_and_saveexec_b32 s22, s21
	s_cbranch_execz .LBB1627_190
.LBB1627_262:                           ;   in Loop: Header=BB1627_100 Depth=2
	ds_load_u8 v62, v2 offset:1792
	s_wait_dscnt 0x0
	v_and_b32_e32 v63, 1, v62
	s_delay_alu instid0(VALU_DEP_1) | instskip(NEXT) | instid1(VALU_DEP_1)
	v_lshrrev_b32_e32 v63, s43, v63
	v_and_b32_e32 v63, s48, v63
	s_delay_alu instid0(VALU_DEP_1)
	v_lshlrev_b32_e32 v63, 2, v63
	ds_load_b32 v63, v63
	s_wait_dscnt 0x0
	v_add_nc_u32_e32 v63, v63, v71
	global_store_b8 v63, v62, s[38:39]
	s_wait_xcnt 0x0
	s_or_b32 exec_lo, exec_lo, s22
	v_cmp_lt_u32_e64 s22, v72, v134
	s_and_saveexec_b32 s23, s22
	s_cbranch_execz .LBB1627_191
.LBB1627_263:                           ;   in Loop: Header=BB1627_100 Depth=2
	ds_load_u8 v62, v2 offset:2048
	s_wait_dscnt 0x0
	v_and_b32_e32 v63, 1, v62
	s_delay_alu instid0(VALU_DEP_1) | instskip(NEXT) | instid1(VALU_DEP_1)
	v_lshrrev_b32_e32 v63, s43, v63
	v_and_b32_e32 v63, s48, v63
	s_delay_alu instid0(VALU_DEP_1)
	v_lshlrev_b32_e32 v63, 2, v63
	ds_load_b32 v63, v63
	s_wait_dscnt 0x0
	v_add_nc_u32_e32 v63, v63, v72
	global_store_b8 v63, v62, s[38:39]
	s_wait_xcnt 0x0
	s_or_b32 exec_lo, exec_lo, s23
	v_cmp_lt_u32_e64 s23, v73, v134
	s_and_saveexec_b32 s24, s23
	s_cbranch_execz .LBB1627_192
.LBB1627_264:                           ;   in Loop: Header=BB1627_100 Depth=2
	ds_load_u8 v62, v2 offset:2304
	s_wait_dscnt 0x0
	v_and_b32_e32 v63, 1, v62
	s_delay_alu instid0(VALU_DEP_1) | instskip(NEXT) | instid1(VALU_DEP_1)
	v_lshrrev_b32_e32 v63, s43, v63
	v_and_b32_e32 v63, s48, v63
	s_delay_alu instid0(VALU_DEP_1)
	v_lshlrev_b32_e32 v63, 2, v63
	ds_load_b32 v63, v63
	s_wait_dscnt 0x0
	v_add_nc_u32_e32 v63, v63, v73
	global_store_b8 v63, v62, s[38:39]
	s_wait_xcnt 0x0
	s_or_b32 exec_lo, exec_lo, s24
	v_cmp_lt_u32_e64 s24, v74, v134
	s_and_saveexec_b32 s25, s24
	s_cbranch_execz .LBB1627_193
.LBB1627_265:                           ;   in Loop: Header=BB1627_100 Depth=2
	ds_load_u8 v62, v2 offset:2560
	s_wait_dscnt 0x0
	v_and_b32_e32 v63, 1, v62
	s_delay_alu instid0(VALU_DEP_1) | instskip(NEXT) | instid1(VALU_DEP_1)
	v_lshrrev_b32_e32 v63, s43, v63
	v_and_b32_e32 v63, s48, v63
	s_delay_alu instid0(VALU_DEP_1)
	v_lshlrev_b32_e32 v63, 2, v63
	ds_load_b32 v63, v63
	s_wait_dscnt 0x0
	v_add_nc_u32_e32 v63, v63, v74
	global_store_b8 v63, v62, s[38:39]
	s_wait_xcnt 0x0
	s_or_b32 exec_lo, exec_lo, s25
	v_cmp_lt_u32_e64 s25, v75, v134
	s_and_saveexec_b32 s26, s25
	s_cbranch_execz .LBB1627_194
.LBB1627_266:                           ;   in Loop: Header=BB1627_100 Depth=2
	ds_load_u8 v62, v2 offset:2816
	s_wait_dscnt 0x0
	v_and_b32_e32 v63, 1, v62
	s_delay_alu instid0(VALU_DEP_1) | instskip(NEXT) | instid1(VALU_DEP_1)
	v_lshrrev_b32_e32 v63, s43, v63
	v_and_b32_e32 v63, s48, v63
	s_delay_alu instid0(VALU_DEP_1)
	v_lshlrev_b32_e32 v63, 2, v63
	ds_load_b32 v63, v63
	s_wait_dscnt 0x0
	v_add_nc_u32_e32 v63, v63, v75
	global_store_b8 v63, v62, s[38:39]
	s_wait_xcnt 0x0
	s_or_b32 exec_lo, exec_lo, s26
	v_cmp_lt_u32_e64 s26, v76, v134
	s_and_saveexec_b32 s27, s26
	s_cbranch_execz .LBB1627_195
.LBB1627_267:                           ;   in Loop: Header=BB1627_100 Depth=2
	ds_load_u8 v62, v2 offset:3072
	s_wait_dscnt 0x0
	v_and_b32_e32 v63, 1, v62
	s_delay_alu instid0(VALU_DEP_1) | instskip(NEXT) | instid1(VALU_DEP_1)
	v_lshrrev_b32_e32 v63, s43, v63
	v_and_b32_e32 v63, s48, v63
	s_delay_alu instid0(VALU_DEP_1)
	v_lshlrev_b32_e32 v63, 2, v63
	ds_load_b32 v63, v63
	s_wait_dscnt 0x0
	v_add_nc_u32_e32 v63, v63, v76
	global_store_b8 v63, v62, s[38:39]
	s_wait_xcnt 0x0
	s_or_b32 exec_lo, exec_lo, s27
	v_cmp_lt_u32_e64 s27, v77, v134
	s_and_saveexec_b32 s28, s27
	s_cbranch_execz .LBB1627_196
.LBB1627_268:                           ;   in Loop: Header=BB1627_100 Depth=2
	ds_load_u8 v62, v2 offset:3328
	s_wait_dscnt 0x0
	v_and_b32_e32 v63, 1, v62
	s_delay_alu instid0(VALU_DEP_1) | instskip(NEXT) | instid1(VALU_DEP_1)
	v_lshrrev_b32_e32 v63, s43, v63
	v_and_b32_e32 v63, s48, v63
	s_delay_alu instid0(VALU_DEP_1)
	v_lshlrev_b32_e32 v63, 2, v63
	ds_load_b32 v63, v63
	s_wait_dscnt 0x0
	v_add_nc_u32_e32 v63, v63, v77
	global_store_b8 v63, v62, s[38:39]
	s_wait_xcnt 0x0
	s_or_b32 exec_lo, exec_lo, s28
	v_cmp_lt_u32_e64 s28, v78, v134
	s_and_saveexec_b32 s29, s28
	s_cbranch_execz .LBB1627_197
.LBB1627_269:                           ;   in Loop: Header=BB1627_100 Depth=2
	ds_load_u8 v62, v2 offset:3584
	s_wait_dscnt 0x0
	v_and_b32_e32 v63, 1, v62
	s_delay_alu instid0(VALU_DEP_1) | instskip(NEXT) | instid1(VALU_DEP_1)
	v_lshrrev_b32_e32 v63, s43, v63
	v_and_b32_e32 v63, s48, v63
	s_delay_alu instid0(VALU_DEP_1)
	v_lshlrev_b32_e32 v63, 2, v63
	ds_load_b32 v63, v63
	s_wait_dscnt 0x0
	v_add_nc_u32_e32 v63, v63, v78
	global_store_b8 v63, v62, s[38:39]
	s_wait_xcnt 0x0
	s_or_b32 exec_lo, exec_lo, s29
	v_cmp_lt_u32_e64 s29, v79, v134
	s_and_saveexec_b32 s30, s29
	s_cbranch_execz .LBB1627_198
.LBB1627_270:                           ;   in Loop: Header=BB1627_100 Depth=2
	ds_load_u8 v62, v2 offset:3840
	s_wait_dscnt 0x0
	v_and_b32_e32 v63, 1, v62
	s_delay_alu instid0(VALU_DEP_1) | instskip(NEXT) | instid1(VALU_DEP_1)
	v_lshrrev_b32_e32 v63, s43, v63
	v_and_b32_e32 v63, s48, v63
	s_delay_alu instid0(VALU_DEP_1)
	v_lshlrev_b32_e32 v63, 2, v63
	ds_load_b32 v63, v63
	s_wait_dscnt 0x0
	v_add_nc_u32_e32 v63, v63, v79
	global_store_b8 v63, v62, s[38:39]
	s_wait_xcnt 0x0
	s_or_b32 exec_lo, exec_lo, s30
	v_cmp_lt_u32_e64 s30, v80, v134
	s_and_saveexec_b32 s31, s30
	s_cbranch_execz .LBB1627_199
.LBB1627_271:                           ;   in Loop: Header=BB1627_100 Depth=2
	ds_load_u8 v62, v2 offset:4096
	s_wait_dscnt 0x0
	v_and_b32_e32 v63, 1, v62
	s_delay_alu instid0(VALU_DEP_1) | instskip(NEXT) | instid1(VALU_DEP_1)
	v_lshrrev_b32_e32 v63, s43, v63
	v_and_b32_e32 v63, s48, v63
	s_delay_alu instid0(VALU_DEP_1)
	v_lshlrev_b32_e32 v63, 2, v63
	ds_load_b32 v63, v63
	s_wait_dscnt 0x0
	v_add_nc_u32_e32 v63, v63, v80
	global_store_b8 v63, v62, s[38:39]
	s_wait_xcnt 0x0
	s_or_b32 exec_lo, exec_lo, s31
	v_cmp_lt_u32_e64 s31, v81, v134
	s_and_saveexec_b32 s33, s31
	s_cbranch_execz .LBB1627_200
.LBB1627_272:                           ;   in Loop: Header=BB1627_100 Depth=2
	ds_load_u8 v62, v2 offset:4352
	s_wait_dscnt 0x0
	v_and_b32_e32 v63, 1, v62
	s_delay_alu instid0(VALU_DEP_1) | instskip(NEXT) | instid1(VALU_DEP_1)
	v_lshrrev_b32_e32 v63, s43, v63
	v_and_b32_e32 v63, s48, v63
	s_delay_alu instid0(VALU_DEP_1)
	v_lshlrev_b32_e32 v63, 2, v63
	ds_load_b32 v63, v63
	s_wait_dscnt 0x0
	v_add_nc_u32_e32 v63, v63, v81
	global_store_b8 v63, v62, s[38:39]
	s_wait_xcnt 0x0
	s_or_b32 exec_lo, exec_lo, s33
	v_cmp_lt_u32_e64 s33, v82, v134
	s_and_saveexec_b32 s60, s33
	s_cbranch_execnz .LBB1627_201
	s_branch .LBB1627_202
.LBB1627_273:                           ;   in Loop: Header=BB1627_100 Depth=2
	global_load_b64 v[60:61], v[62:63], off
	s_wait_xcnt 0x0
	s_or_b32 exec_lo, exec_lo, s34
	s_delay_alu instid0(SALU_CYCLE_1)
	s_mov_b32 s60, exec_lo
	v_cmpx_lt_u32_e64 v98, v134
	s_cbranch_execz .LBB1627_204
.LBB1627_274:                           ;   in Loop: Header=BB1627_100 Depth=2
	global_load_b64 v[58:59], v[62:63], off offset:256
	s_wait_xcnt 0x0
	s_or_b32 exec_lo, exec_lo, s60
	s_delay_alu instid0(SALU_CYCLE_1)
	s_mov_b32 s60, exec_lo
	v_cmpx_lt_u32_e64 v99, v134
	s_cbranch_execz .LBB1627_205
.LBB1627_275:                           ;   in Loop: Header=BB1627_100 Depth=2
	global_load_b64 v[56:57], v[62:63], off offset:512
	s_wait_xcnt 0x0
	s_or_b32 exec_lo, exec_lo, s60
	s_delay_alu instid0(SALU_CYCLE_1)
	s_mov_b32 s60, exec_lo
	v_cmpx_lt_u32_e64 v100, v134
	s_cbranch_execz .LBB1627_206
.LBB1627_276:                           ;   in Loop: Header=BB1627_100 Depth=2
	global_load_b64 v[54:55], v[62:63], off offset:768
	s_wait_xcnt 0x0
	s_or_b32 exec_lo, exec_lo, s60
	s_delay_alu instid0(SALU_CYCLE_1)
	s_mov_b32 s60, exec_lo
	v_cmpx_lt_u32_e64 v101, v134
	s_cbranch_execz .LBB1627_207
.LBB1627_277:                           ;   in Loop: Header=BB1627_100 Depth=2
	global_load_b64 v[52:53], v[62:63], off offset:1024
	s_wait_xcnt 0x0
	s_or_b32 exec_lo, exec_lo, s60
	s_delay_alu instid0(SALU_CYCLE_1)
	s_mov_b32 s60, exec_lo
	v_cmpx_lt_u32_e64 v102, v134
	s_cbranch_execz .LBB1627_208
.LBB1627_278:                           ;   in Loop: Header=BB1627_100 Depth=2
	global_load_b64 v[50:51], v[62:63], off offset:1280
	s_wait_xcnt 0x0
	s_or_b32 exec_lo, exec_lo, s60
	s_delay_alu instid0(SALU_CYCLE_1)
	s_mov_b32 s60, exec_lo
	v_cmpx_lt_u32_e64 v103, v134
	s_cbranch_execz .LBB1627_209
.LBB1627_279:                           ;   in Loop: Header=BB1627_100 Depth=2
	global_load_b64 v[48:49], v[62:63], off offset:1536
	s_wait_xcnt 0x0
	s_or_b32 exec_lo, exec_lo, s60
	s_delay_alu instid0(SALU_CYCLE_1)
	s_mov_b32 s60, exec_lo
	v_cmpx_lt_u32_e64 v104, v134
	s_cbranch_execz .LBB1627_210
.LBB1627_280:                           ;   in Loop: Header=BB1627_100 Depth=2
	global_load_b64 v[46:47], v[62:63], off offset:1792
	s_wait_xcnt 0x0
	s_or_b32 exec_lo, exec_lo, s60
	s_delay_alu instid0(SALU_CYCLE_1)
	s_mov_b32 s60, exec_lo
	v_cmpx_lt_u32_e64 v105, v134
	s_cbranch_execz .LBB1627_211
.LBB1627_281:                           ;   in Loop: Header=BB1627_100 Depth=2
	global_load_b64 v[44:45], v[62:63], off offset:2048
	s_wait_xcnt 0x0
	s_or_b32 exec_lo, exec_lo, s60
	s_delay_alu instid0(SALU_CYCLE_1)
	s_mov_b32 s60, exec_lo
	v_cmpx_lt_u32_e64 v106, v134
	s_cbranch_execz .LBB1627_212
.LBB1627_282:                           ;   in Loop: Header=BB1627_100 Depth=2
	global_load_b64 v[42:43], v[62:63], off offset:2304
	s_wait_xcnt 0x0
	s_or_b32 exec_lo, exec_lo, s60
	s_delay_alu instid0(SALU_CYCLE_1)
	s_mov_b32 s60, exec_lo
	v_cmpx_lt_u32_e64 v107, v134
	s_cbranch_execz .LBB1627_213
.LBB1627_283:                           ;   in Loop: Header=BB1627_100 Depth=2
	global_load_b64 v[40:41], v[62:63], off offset:2560
	s_wait_xcnt 0x0
	s_or_b32 exec_lo, exec_lo, s60
	s_delay_alu instid0(SALU_CYCLE_1)
	s_mov_b32 s60, exec_lo
	v_cmpx_lt_u32_e64 v108, v134
	s_cbranch_execz .LBB1627_214
.LBB1627_284:                           ;   in Loop: Header=BB1627_100 Depth=2
	global_load_b64 v[38:39], v[62:63], off offset:2816
	s_wait_xcnt 0x0
	s_or_b32 exec_lo, exec_lo, s60
	s_delay_alu instid0(SALU_CYCLE_1)
	s_mov_b32 s60, exec_lo
	v_cmpx_lt_u32_e64 v109, v134
	s_cbranch_execz .LBB1627_215
.LBB1627_285:                           ;   in Loop: Header=BB1627_100 Depth=2
	global_load_b64 v[36:37], v[62:63], off offset:3072
	s_wait_xcnt 0x0
	s_or_b32 exec_lo, exec_lo, s60
	s_delay_alu instid0(SALU_CYCLE_1)
	s_mov_b32 s60, exec_lo
	v_cmpx_lt_u32_e64 v110, v134
	s_cbranch_execz .LBB1627_216
.LBB1627_286:                           ;   in Loop: Header=BB1627_100 Depth=2
	global_load_b64 v[34:35], v[62:63], off offset:3328
	s_wait_xcnt 0x0
	s_or_b32 exec_lo, exec_lo, s60
	s_delay_alu instid0(SALU_CYCLE_1)
	s_mov_b32 s60, exec_lo
	v_cmpx_lt_u32_e64 v111, v134
	s_cbranch_execz .LBB1627_217
.LBB1627_287:                           ;   in Loop: Header=BB1627_100 Depth=2
	global_load_b64 v[32:33], v[62:63], off offset:3584
	s_wait_xcnt 0x0
	s_or_b32 exec_lo, exec_lo, s60
	s_delay_alu instid0(SALU_CYCLE_1)
	s_mov_b32 s60, exec_lo
	v_cmpx_lt_u32_e64 v112, v134
	s_cbranch_execz .LBB1627_218
.LBB1627_288:                           ;   in Loop: Header=BB1627_100 Depth=2
	global_load_b64 v[30:31], v[62:63], off offset:3840
	s_wait_xcnt 0x0
	s_or_b32 exec_lo, exec_lo, s60
	s_delay_alu instid0(SALU_CYCLE_1)
	s_mov_b32 s60, exec_lo
	v_cmpx_lt_u32_e64 v113, v134
	s_cbranch_execz .LBB1627_219
.LBB1627_289:                           ;   in Loop: Header=BB1627_100 Depth=2
	global_load_b64 v[28:29], v[62:63], off offset:4096
	s_wait_xcnt 0x0
	s_or_b32 exec_lo, exec_lo, s60
	s_and_saveexec_b32 s34, vcc_lo
	s_cbranch_execz .LBB1627_220
.LBB1627_290:                           ;   in Loop: Header=BB1627_100 Depth=2
	ds_load_u8 v62, v2 offset:512
	s_wait_dscnt 0x0
	v_lshrrev_b32_e32 v62, s43, v62
	s_delay_alu instid0(VALU_DEP_1)
	v_and_b32_e32 v131, s48, v62
	s_or_b32 exec_lo, exec_lo, s34
	s_and_saveexec_b32 s34, s17
	s_cbranch_execz .LBB1627_221
.LBB1627_291:                           ;   in Loop: Header=BB1627_100 Depth=2
	ds_load_u8 v62, v2 offset:768
	s_wait_dscnt 0x0
	v_lshrrev_b32_e32 v62, s43, v62
	s_delay_alu instid0(VALU_DEP_1)
	v_and_b32_e32 v130, s48, v62
	s_or_b32 exec_lo, exec_lo, s34
	s_and_saveexec_b32 s34, s18
	s_cbranch_execz .LBB1627_222
.LBB1627_292:                           ;   in Loop: Header=BB1627_100 Depth=2
	ds_load_u8 v62, v2 offset:1024
	s_wait_dscnt 0x0
	v_lshrrev_b32_e32 v62, s43, v62
	s_delay_alu instid0(VALU_DEP_1)
	v_and_b32_e32 v129, s48, v62
	s_or_b32 exec_lo, exec_lo, s34
	s_and_saveexec_b32 s34, s19
	s_cbranch_execz .LBB1627_223
.LBB1627_293:                           ;   in Loop: Header=BB1627_100 Depth=2
	ds_load_u8 v62, v2 offset:1280
	s_wait_dscnt 0x0
	v_lshrrev_b32_e32 v62, s43, v62
	s_delay_alu instid0(VALU_DEP_1)
	v_and_b32_e32 v128, s48, v62
	s_or_b32 exec_lo, exec_lo, s34
	s_and_saveexec_b32 s34, s20
	s_cbranch_execz .LBB1627_224
.LBB1627_294:                           ;   in Loop: Header=BB1627_100 Depth=2
	ds_load_u8 v62, v2 offset:1536
	s_wait_dscnt 0x0
	v_lshrrev_b32_e32 v62, s43, v62
	s_delay_alu instid0(VALU_DEP_1)
	v_and_b32_e32 v127, s48, v62
	s_or_b32 exec_lo, exec_lo, s34
	s_and_saveexec_b32 s34, s21
	s_cbranch_execz .LBB1627_225
.LBB1627_295:                           ;   in Loop: Header=BB1627_100 Depth=2
	ds_load_u8 v62, v2 offset:1792
	s_wait_dscnt 0x0
	v_lshrrev_b32_e32 v62, s43, v62
	s_delay_alu instid0(VALU_DEP_1)
	v_and_b32_e32 v126, s48, v62
	s_or_b32 exec_lo, exec_lo, s34
	s_and_saveexec_b32 s34, s22
	s_cbranch_execz .LBB1627_226
.LBB1627_296:                           ;   in Loop: Header=BB1627_100 Depth=2
	ds_load_u8 v62, v2 offset:2048
	s_wait_dscnt 0x0
	v_lshrrev_b32_e32 v62, s43, v62
	s_delay_alu instid0(VALU_DEP_1)
	v_and_b32_e32 v125, s48, v62
	s_or_b32 exec_lo, exec_lo, s34
	s_and_saveexec_b32 s34, s23
	s_cbranch_execz .LBB1627_227
.LBB1627_297:                           ;   in Loop: Header=BB1627_100 Depth=2
	ds_load_u8 v62, v2 offset:2304
	s_wait_dscnt 0x0
	v_lshrrev_b32_e32 v62, s43, v62
	s_delay_alu instid0(VALU_DEP_1)
	v_and_b32_e32 v124, s48, v62
	s_or_b32 exec_lo, exec_lo, s34
	s_and_saveexec_b32 s34, s24
	s_cbranch_execz .LBB1627_228
.LBB1627_298:                           ;   in Loop: Header=BB1627_100 Depth=2
	ds_load_u8 v62, v2 offset:2560
	s_wait_dscnt 0x0
	v_lshrrev_b32_e32 v62, s43, v62
	s_delay_alu instid0(VALU_DEP_1)
	v_and_b32_e32 v123, s48, v62
	s_or_b32 exec_lo, exec_lo, s34
	s_and_saveexec_b32 s34, s25
	s_cbranch_execz .LBB1627_229
.LBB1627_299:                           ;   in Loop: Header=BB1627_100 Depth=2
	ds_load_u8 v62, v2 offset:2816
	s_wait_dscnt 0x0
	v_lshrrev_b32_e32 v62, s43, v62
	s_delay_alu instid0(VALU_DEP_1)
	v_and_b32_e32 v122, s48, v62
	s_or_b32 exec_lo, exec_lo, s34
	s_and_saveexec_b32 s34, s26
	s_cbranch_execz .LBB1627_230
.LBB1627_300:                           ;   in Loop: Header=BB1627_100 Depth=2
	ds_load_u8 v62, v2 offset:3072
	s_wait_dscnt 0x0
	v_lshrrev_b32_e32 v62, s43, v62
	s_delay_alu instid0(VALU_DEP_1)
	v_and_b32_e32 v121, s48, v62
	s_or_b32 exec_lo, exec_lo, s34
	s_and_saveexec_b32 s34, s27
	s_cbranch_execz .LBB1627_231
.LBB1627_301:                           ;   in Loop: Header=BB1627_100 Depth=2
	ds_load_u8 v62, v2 offset:3328
	s_wait_dscnt 0x0
	v_lshrrev_b32_e32 v62, s43, v62
	s_delay_alu instid0(VALU_DEP_1)
	v_and_b32_e32 v120, s48, v62
	s_or_b32 exec_lo, exec_lo, s34
	s_and_saveexec_b32 s34, s28
	s_cbranch_execz .LBB1627_232
.LBB1627_302:                           ;   in Loop: Header=BB1627_100 Depth=2
	ds_load_u8 v62, v2 offset:3584
	s_wait_dscnt 0x0
	v_lshrrev_b32_e32 v62, s43, v62
	s_delay_alu instid0(VALU_DEP_1)
	v_and_b32_e32 v119, s48, v62
	s_or_b32 exec_lo, exec_lo, s34
	s_and_saveexec_b32 s34, s29
	s_cbranch_execz .LBB1627_233
.LBB1627_303:                           ;   in Loop: Header=BB1627_100 Depth=2
	ds_load_u8 v62, v2 offset:3840
	s_wait_dscnt 0x0
	v_lshrrev_b32_e32 v62, s43, v62
	s_delay_alu instid0(VALU_DEP_1)
	v_and_b32_e32 v118, s48, v62
	s_or_b32 exec_lo, exec_lo, s34
	s_and_saveexec_b32 s34, s30
	s_cbranch_execz .LBB1627_234
.LBB1627_304:                           ;   in Loop: Header=BB1627_100 Depth=2
	ds_load_u8 v62, v2 offset:4096
	s_wait_dscnt 0x0
	v_lshrrev_b32_e32 v62, s43, v62
	s_delay_alu instid0(VALU_DEP_1)
	v_and_b32_e32 v117, s48, v62
	s_or_b32 exec_lo, exec_lo, s34
	s_and_saveexec_b32 s34, s31
	s_cbranch_execz .LBB1627_235
.LBB1627_305:                           ;   in Loop: Header=BB1627_100 Depth=2
	ds_load_u8 v62, v2 offset:4352
	s_wait_dscnt 0x0
	v_lshrrev_b32_e32 v62, s43, v62
	s_delay_alu instid0(VALU_DEP_1)
	v_and_b32_e32 v116, s48, v62
	s_or_b32 exec_lo, exec_lo, s34
	s_and_saveexec_b32 s34, s33
	s_cbranch_execnz .LBB1627_236
	s_branch .LBB1627_237
.LBB1627_306:                           ;   in Loop: Header=BB1627_100 Depth=2
	v_lshlrev_b32_e32 v62, 2, v131
	v_add_nc_u32_e32 v63, v2, v95
	ds_load_b32 v64, v62
	ds_load_b64 v[62:63], v63 offset:512
	s_wait_dscnt 0x1
	v_add_nc_u32_e32 v64, v64, v2
	s_wait_dscnt 0x0
	global_store_b64 v64, v[62:63], s[44:45] scale_offset
	s_wait_xcnt 0x0
	s_or_b32 exec_lo, exec_lo, s34
	s_and_saveexec_b32 s34, s17
	s_cbranch_execz .LBB1627_239
.LBB1627_307:                           ;   in Loop: Header=BB1627_100 Depth=2
	v_dual_lshlrev_b32 v62, 2, v130 :: v_dual_add_nc_u32 v63, v2, v95
	ds_load_b32 v64, v62
	ds_load_b64 v[62:63], v63 offset:2560
	s_wait_dscnt 0x1
	v_add_nc_u32_e32 v64, v64, v67
	s_wait_dscnt 0x0
	global_store_b64 v64, v[62:63], s[44:45] scale_offset
	s_wait_xcnt 0x0
	s_or_b32 exec_lo, exec_lo, s34
	s_and_saveexec_b32 s17, s18
	s_cbranch_execz .LBB1627_240
.LBB1627_308:                           ;   in Loop: Header=BB1627_100 Depth=2
	v_dual_lshlrev_b32 v62, 2, v129 :: v_dual_add_nc_u32 v63, v2, v95
	ds_load_b32 v64, v62
	ds_load_b64 v[62:63], v63 offset:4608
	s_wait_dscnt 0x1
	v_add_nc_u32_e32 v64, v64, v68
	s_wait_dscnt 0x0
	global_store_b64 v64, v[62:63], s[44:45] scale_offset
	s_wait_xcnt 0x0
	s_or_b32 exec_lo, exec_lo, s17
	s_and_saveexec_b32 s17, s19
	s_cbranch_execz .LBB1627_241
.LBB1627_309:                           ;   in Loop: Header=BB1627_100 Depth=2
	v_dual_lshlrev_b32 v62, 2, v128 :: v_dual_add_nc_u32 v63, v2, v95
	ds_load_b32 v64, v62
	ds_load_b64 v[62:63], v63 offset:6656
	s_wait_dscnt 0x1
	v_add_nc_u32_e32 v64, v64, v69
	s_wait_dscnt 0x0
	global_store_b64 v64, v[62:63], s[44:45] scale_offset
	s_wait_xcnt 0x0
	s_or_b32 exec_lo, exec_lo, s17
	s_and_saveexec_b32 s17, s20
	s_cbranch_execz .LBB1627_242
.LBB1627_310:                           ;   in Loop: Header=BB1627_100 Depth=2
	v_lshlrev_b32_e32 v62, 2, v127
	v_add_nc_u32_e32 v63, v2, v95
	ds_load_b32 v64, v62
	ds_load_b64 v[62:63], v63 offset:8704
	s_wait_dscnt 0x1
	v_add_nc_u32_e32 v64, v64, v70
	s_wait_dscnt 0x0
	global_store_b64 v64, v[62:63], s[44:45] scale_offset
	s_wait_xcnt 0x0
	s_or_b32 exec_lo, exec_lo, s17
	s_and_saveexec_b32 s17, s21
	s_cbranch_execz .LBB1627_243
.LBB1627_311:                           ;   in Loop: Header=BB1627_100 Depth=2
	v_dual_lshlrev_b32 v62, 2, v126 :: v_dual_add_nc_u32 v63, v2, v95
	ds_load_b32 v64, v62
	ds_load_b64 v[62:63], v63 offset:10752
	s_wait_dscnt 0x1
	v_add_nc_u32_e32 v64, v64, v71
	s_wait_dscnt 0x0
	global_store_b64 v64, v[62:63], s[44:45] scale_offset
	s_wait_xcnt 0x0
	s_or_b32 exec_lo, exec_lo, s17
	s_and_saveexec_b32 s17, s22
	s_cbranch_execz .LBB1627_244
.LBB1627_312:                           ;   in Loop: Header=BB1627_100 Depth=2
	v_dual_lshlrev_b32 v62, 2, v125 :: v_dual_add_nc_u32 v63, v2, v95
	ds_load_b32 v64, v62
	ds_load_b64 v[62:63], v63 offset:12800
	s_wait_dscnt 0x1
	v_add_nc_u32_e32 v64, v64, v72
	s_wait_dscnt 0x0
	global_store_b64 v64, v[62:63], s[44:45] scale_offset
	s_wait_xcnt 0x0
	s_or_b32 exec_lo, exec_lo, s17
	s_and_saveexec_b32 s17, s23
	s_cbranch_execz .LBB1627_245
.LBB1627_313:                           ;   in Loop: Header=BB1627_100 Depth=2
	v_dual_lshlrev_b32 v62, 2, v124 :: v_dual_add_nc_u32 v63, v2, v95
	ds_load_b32 v64, v62
	ds_load_b64 v[62:63], v63 offset:14848
	s_wait_dscnt 0x1
	v_add_nc_u32_e32 v64, v64, v73
	s_wait_dscnt 0x0
	global_store_b64 v64, v[62:63], s[44:45] scale_offset
	s_wait_xcnt 0x0
	s_or_b32 exec_lo, exec_lo, s17
	s_and_saveexec_b32 s17, s24
	s_cbranch_execz .LBB1627_246
.LBB1627_314:                           ;   in Loop: Header=BB1627_100 Depth=2
	v_lshlrev_b32_e32 v62, 2, v123
	v_add_nc_u32_e32 v63, v2, v95
	ds_load_b32 v64, v62
	ds_load_b64 v[62:63], v63 offset:16896
	s_wait_dscnt 0x1
	v_add_nc_u32_e32 v64, v64, v74
	s_wait_dscnt 0x0
	global_store_b64 v64, v[62:63], s[44:45] scale_offset
	s_wait_xcnt 0x0
	s_or_b32 exec_lo, exec_lo, s17
	s_and_saveexec_b32 s17, s25
	s_cbranch_execz .LBB1627_247
.LBB1627_315:                           ;   in Loop: Header=BB1627_100 Depth=2
	v_dual_lshlrev_b32 v62, 2, v122 :: v_dual_add_nc_u32 v63, v2, v95
	ds_load_b32 v64, v62
	ds_load_b64 v[62:63], v63 offset:18944
	s_wait_dscnt 0x1
	v_add_nc_u32_e32 v64, v64, v75
	s_wait_dscnt 0x0
	global_store_b64 v64, v[62:63], s[44:45] scale_offset
	s_wait_xcnt 0x0
	s_or_b32 exec_lo, exec_lo, s17
	s_and_saveexec_b32 s17, s26
	s_cbranch_execz .LBB1627_248
.LBB1627_316:                           ;   in Loop: Header=BB1627_100 Depth=2
	v_dual_lshlrev_b32 v62, 2, v121 :: v_dual_add_nc_u32 v63, v2, v95
	ds_load_b32 v64, v62
	ds_load_b64 v[62:63], v63 offset:20992
	s_wait_dscnt 0x1
	v_add_nc_u32_e32 v64, v64, v76
	s_wait_dscnt 0x0
	global_store_b64 v64, v[62:63], s[44:45] scale_offset
	s_wait_xcnt 0x0
	s_or_b32 exec_lo, exec_lo, s17
	s_and_saveexec_b32 s17, s27
	s_cbranch_execz .LBB1627_249
.LBB1627_317:                           ;   in Loop: Header=BB1627_100 Depth=2
	v_dual_lshlrev_b32 v62, 2, v120 :: v_dual_add_nc_u32 v63, v2, v95
	ds_load_b32 v64, v62
	ds_load_b64 v[62:63], v63 offset:23040
	s_wait_dscnt 0x1
	v_add_nc_u32_e32 v64, v64, v77
	s_wait_dscnt 0x0
	global_store_b64 v64, v[62:63], s[44:45] scale_offset
	s_wait_xcnt 0x0
	s_or_b32 exec_lo, exec_lo, s17
	s_and_saveexec_b32 s17, s28
	s_cbranch_execz .LBB1627_250
.LBB1627_318:                           ;   in Loop: Header=BB1627_100 Depth=2
	v_lshlrev_b32_e32 v62, 2, v119
	v_add_nc_u32_e32 v63, v2, v95
	ds_load_b32 v64, v62
	ds_load_b64 v[62:63], v63 offset:25088
	s_wait_dscnt 0x1
	v_add_nc_u32_e32 v64, v64, v78
	s_wait_dscnt 0x0
	global_store_b64 v64, v[62:63], s[44:45] scale_offset
	s_wait_xcnt 0x0
	s_or_b32 exec_lo, exec_lo, s17
	s_and_saveexec_b32 s17, s29
	s_cbranch_execz .LBB1627_251
.LBB1627_319:                           ;   in Loop: Header=BB1627_100 Depth=2
	v_dual_lshlrev_b32 v62, 2, v118 :: v_dual_add_nc_u32 v63, v2, v95
	ds_load_b32 v64, v62
	ds_load_b64 v[62:63], v63 offset:27136
	s_wait_dscnt 0x1
	v_add_nc_u32_e32 v64, v64, v79
	s_wait_dscnt 0x0
	global_store_b64 v64, v[62:63], s[44:45] scale_offset
	s_wait_xcnt 0x0
	s_or_b32 exec_lo, exec_lo, s17
	s_and_saveexec_b32 s17, s30
	s_cbranch_execz .LBB1627_252
.LBB1627_320:                           ;   in Loop: Header=BB1627_100 Depth=2
	v_dual_lshlrev_b32 v62, 2, v117 :: v_dual_add_nc_u32 v63, v2, v95
	ds_load_b32 v64, v62
	ds_load_b64 v[62:63], v63 offset:29184
	s_wait_dscnt 0x1
	v_add_nc_u32_e32 v64, v64, v80
	s_wait_dscnt 0x0
	global_store_b64 v64, v[62:63], s[44:45] scale_offset
	s_wait_xcnt 0x0
	s_or_b32 exec_lo, exec_lo, s17
	s_and_saveexec_b32 s17, s31
	s_cbranch_execz .LBB1627_253
.LBB1627_321:                           ;   in Loop: Header=BB1627_100 Depth=2
	v_dual_lshlrev_b32 v62, 2, v116 :: v_dual_add_nc_u32 v63, v2, v95
	ds_load_b32 v64, v62
	ds_load_b64 v[62:63], v63 offset:31232
	s_wait_dscnt 0x1
	v_add_nc_u32_e32 v64, v64, v81
	s_wait_dscnt 0x0
	global_store_b64 v64, v[62:63], s[44:45] scale_offset
	s_wait_xcnt 0x0
	s_or_b32 exec_lo, exec_lo, s17
	s_and_saveexec_b32 s17, s33
	s_cbranch_execnz .LBB1627_254
	s_branch .LBB1627_255
.LBB1627_322:                           ;   in Loop: Header=BB1627_12 Depth=1
	s_wait_dscnt 0x0
	s_barrier_signal -1
	s_mov_b32 s8, 0
	s_barrier_wait -1
.LBB1627_323:                           ;   in Loop: Header=BB1627_12 Depth=1
	s_and_b32 vcc_lo, exec_lo, s8
	s_cbranch_vccz .LBB1627_633
; %bb.324:                              ;   in Loop: Header=BB1627_12 Depth=1
	v_dual_mov_b32 v39, 0 :: v_dual_mov_b32 v42, 0
	v_dual_mov_b32 v41, 0 :: v_dual_mov_b32 v40, 0
	v_dual_mov_b32 v38, 0 :: v_dual_mov_b32 v37, 0
	v_dual_mov_b32 v36, 0 :: v_dual_mov_b32 v35, 0
	v_dual_mov_b32 v34, 0 :: v_dual_mov_b32 v33, 0
	v_dual_mov_b32 v32, 0 :: v_dual_mov_b32 v31, 0
	v_dual_mov_b32 v30, 0 :: v_dual_mov_b32 v29, 0
	v_dual_mov_b32 v28, 0 :: v_dual_mov_b32 v27, 0
	v_mov_b32_e32 v26, 0
	s_mov_b32 s8, s57
	s_mov_b32 s34, s55
	s_barrier_signal -1
	s_barrier_wait -1
	s_branch .LBB1627_326
.LBB1627_325:                           ;   in Loop: Header=BB1627_326 Depth=2
	s_or_b32 exec_lo, exec_lo, s10
	s_addk_co_i32 s8, 0xef00
	s_cmp_ge_u32 s9, s54
	s_mov_b32 s34, s9
	s_cbranch_scc1 .LBB1627_398
.LBB1627_326:                           ;   Parent Loop BB1627_12 Depth=1
                                        ; =>  This Inner Loop Header: Depth=2
	s_add_co_i32 s9, s34, 0x1100
	s_mov_b32 s10, -1
	s_cmp_gt_u32 s9, s54
                                        ; implicit-def: $vgpr24
                                        ; implicit-def: $vgpr25
                                        ; implicit-def: $vgpr43
                                        ; implicit-def: $vgpr44
                                        ; implicit-def: $vgpr45
                                        ; implicit-def: $vgpr46
                                        ; implicit-def: $vgpr47
                                        ; implicit-def: $vgpr48
                                        ; implicit-def: $vgpr49
                                        ; implicit-def: $vgpr50
                                        ; implicit-def: $vgpr51
                                        ; implicit-def: $vgpr52
                                        ; implicit-def: $vgpr53
                                        ; implicit-def: $vgpr54
                                        ; implicit-def: $vgpr55
                                        ; implicit-def: $vgpr56
                                        ; implicit-def: $vgpr57
	s_cbranch_scc1 .LBB1627_328
; %bb.327:                              ;   in Loop: Header=BB1627_326 Depth=2
	v_add_nc_u64_e32 v[58:59], s[34:35], v[12:13]
	s_mov_b32 s10, 0
	s_clause 0x10
	global_load_u8 v57, v[58:59], off offset:4096
	global_load_u8 v56, v[58:59], off offset:3840
	;; [unrolled: 1-line block ×16, first 2 shown]
	global_load_u8 v24, v[58:59], off
.LBB1627_328:                           ;   in Loop: Header=BB1627_326 Depth=2
	s_and_not1_b32 vcc_lo, exec_lo, s10
	s_movk_i32 s10, 0x1100
	s_cbranch_vccnz .LBB1627_348
; %bb.329:                              ;   in Loop: Header=BB1627_326 Depth=2
	s_add_nc_u64 s[10:11], s[38:39], s[34:35]
	s_wait_loadcnt 0x0
	v_add_nc_u64_e32 v[24:25], s[10:11], v[2:3]
	s_mov_b32 s10, exec_lo
	s_wait_xcnt 0x0
	v_cmpx_gt_u32_e64 s8, v2
	s_cbranch_execnz .LBB1627_382
; %bb.330:                              ;   in Loop: Header=BB1627_326 Depth=2
	s_or_b32 exec_lo, exec_lo, s10
	s_delay_alu instid0(SALU_CYCLE_1)
	s_mov_b32 s10, exec_lo
	v_cmpx_gt_u32_e64 s8, v67
	s_cbranch_execnz .LBB1627_383
.LBB1627_331:                           ;   in Loop: Header=BB1627_326 Depth=2
	s_or_b32 exec_lo, exec_lo, s10
	s_delay_alu instid0(SALU_CYCLE_1)
	s_mov_b32 s10, exec_lo
	v_cmpx_gt_u32_e64 s8, v68
	s_cbranch_execnz .LBB1627_384
.LBB1627_332:                           ;   in Loop: Header=BB1627_326 Depth=2
	s_or_b32 exec_lo, exec_lo, s10
	s_delay_alu instid0(SALU_CYCLE_1)
	s_mov_b32 s10, exec_lo
	v_cmpx_gt_u32_e64 s8, v69
	s_cbranch_execnz .LBB1627_385
.LBB1627_333:                           ;   in Loop: Header=BB1627_326 Depth=2
	s_or_b32 exec_lo, exec_lo, s10
	s_delay_alu instid0(SALU_CYCLE_1)
	s_mov_b32 s10, exec_lo
	v_cmpx_gt_u32_e64 s8, v70
	s_cbranch_execnz .LBB1627_386
.LBB1627_334:                           ;   in Loop: Header=BB1627_326 Depth=2
	s_or_b32 exec_lo, exec_lo, s10
	s_delay_alu instid0(SALU_CYCLE_1)
	s_mov_b32 s10, exec_lo
	v_cmpx_gt_u32_e64 s8, v71
	s_cbranch_execnz .LBB1627_387
.LBB1627_335:                           ;   in Loop: Header=BB1627_326 Depth=2
	s_or_b32 exec_lo, exec_lo, s10
	s_delay_alu instid0(SALU_CYCLE_1)
	s_mov_b32 s10, exec_lo
	v_cmpx_gt_u32_e64 s8, v72
	s_cbranch_execnz .LBB1627_388
.LBB1627_336:                           ;   in Loop: Header=BB1627_326 Depth=2
	s_or_b32 exec_lo, exec_lo, s10
	s_delay_alu instid0(SALU_CYCLE_1)
	s_mov_b32 s10, exec_lo
	v_cmpx_gt_u32_e64 s8, v73
	s_cbranch_execnz .LBB1627_389
.LBB1627_337:                           ;   in Loop: Header=BB1627_326 Depth=2
	s_or_b32 exec_lo, exec_lo, s10
	s_delay_alu instid0(SALU_CYCLE_1)
	s_mov_b32 s10, exec_lo
	v_cmpx_gt_u32_e64 s8, v74
	s_cbranch_execnz .LBB1627_390
.LBB1627_338:                           ;   in Loop: Header=BB1627_326 Depth=2
	s_or_b32 exec_lo, exec_lo, s10
	s_delay_alu instid0(SALU_CYCLE_1)
	s_mov_b32 s10, exec_lo
	v_cmpx_gt_u32_e64 s8, v75
	s_cbranch_execnz .LBB1627_391
.LBB1627_339:                           ;   in Loop: Header=BB1627_326 Depth=2
	s_or_b32 exec_lo, exec_lo, s10
	s_delay_alu instid0(SALU_CYCLE_1)
	s_mov_b32 s10, exec_lo
	v_cmpx_gt_u32_e64 s8, v76
	s_cbranch_execnz .LBB1627_392
.LBB1627_340:                           ;   in Loop: Header=BB1627_326 Depth=2
	s_or_b32 exec_lo, exec_lo, s10
	s_delay_alu instid0(SALU_CYCLE_1)
	s_mov_b32 s10, exec_lo
	v_cmpx_gt_u32_e64 s8, v77
	s_cbranch_execnz .LBB1627_393
.LBB1627_341:                           ;   in Loop: Header=BB1627_326 Depth=2
	s_or_b32 exec_lo, exec_lo, s10
	s_delay_alu instid0(SALU_CYCLE_1)
	s_mov_b32 s10, exec_lo
	v_cmpx_gt_u32_e64 s8, v78
	s_cbranch_execnz .LBB1627_394
.LBB1627_342:                           ;   in Loop: Header=BB1627_326 Depth=2
	s_or_b32 exec_lo, exec_lo, s10
	s_delay_alu instid0(SALU_CYCLE_1)
	s_mov_b32 s10, exec_lo
	v_cmpx_gt_u32_e64 s8, v79
	s_cbranch_execnz .LBB1627_395
.LBB1627_343:                           ;   in Loop: Header=BB1627_326 Depth=2
	s_or_b32 exec_lo, exec_lo, s10
	s_delay_alu instid0(SALU_CYCLE_1)
	s_mov_b32 s10, exec_lo
	v_cmpx_gt_u32_e64 s8, v80
	s_cbranch_execnz .LBB1627_396
.LBB1627_344:                           ;   in Loop: Header=BB1627_326 Depth=2
	s_or_b32 exec_lo, exec_lo, s10
	s_delay_alu instid0(SALU_CYCLE_1)
	s_mov_b32 s10, exec_lo
	v_cmpx_gt_u32_e64 s8, v81
	s_cbranch_execnz .LBB1627_397
.LBB1627_345:                           ;   in Loop: Header=BB1627_326 Depth=2
	s_or_b32 exec_lo, exec_lo, s10
	s_delay_alu instid0(SALU_CYCLE_1)
	s_mov_b32 s10, exec_lo
	v_cmpx_gt_u32_e64 s8, v82
	s_cbranch_execz .LBB1627_347
.LBB1627_346:                           ;   in Loop: Header=BB1627_326 Depth=2
	global_load_u8 v26, v[24:25], off offset:4096
.LBB1627_347:                           ;   in Loop: Header=BB1627_326 Depth=2
	s_wait_xcnt 0x0
	s_or_b32 exec_lo, exec_lo, s10
	s_wait_loadcnt 0x0
	v_dual_mov_b32 v24, v39 :: v_dual_mov_b32 v25, v42
	v_dual_mov_b32 v43, v41 :: v_dual_mov_b32 v44, v40
	;; [unrolled: 1-line block ×8, first 2 shown]
	v_mov_b32_e32 v57, v26
	s_mov_b32 s10, s8
.LBB1627_348:                           ;   in Loop: Header=BB1627_326 Depth=2
	s_wait_loadcnt 0xf
	s_delay_alu instid0(VALU_DEP_1)
	v_dual_mov_b32 v26, v57 :: v_dual_mov_b32 v27, v56
	s_wait_loadcnt 0xd
	v_dual_mov_b32 v28, v55 :: v_dual_mov_b32 v29, v54
	s_wait_loadcnt 0xb
	v_dual_mov_b32 v30, v53 :: v_dual_mov_b32 v31, v52
	s_wait_loadcnt 0x9
	v_dual_mov_b32 v32, v51 :: v_dual_mov_b32 v33, v50
	s_wait_loadcnt 0x7
	v_dual_mov_b32 v34, v49 :: v_dual_mov_b32 v35, v48
	s_wait_loadcnt 0x5
	v_dual_mov_b32 v36, v47 :: v_dual_mov_b32 v37, v46
	s_wait_loadcnt 0x3
	v_dual_mov_b32 v38, v45 :: v_dual_mov_b32 v40, v44
	s_wait_loadcnt 0x1
	v_dual_mov_b32 v41, v43 :: v_dual_mov_b32 v42, v25
	s_wait_loadcnt 0x0
	v_mov_b32_e32 v39, v24
	s_mov_b32 s11, exec_lo
	s_wait_xcnt 0x0
	v_cmpx_gt_u32_e64 s10, v2
	s_cbranch_execnz .LBB1627_365
; %bb.349:                              ;   in Loop: Header=BB1627_326 Depth=2
	s_or_b32 exec_lo, exec_lo, s11
	s_delay_alu instid0(SALU_CYCLE_1)
	s_mov_b32 s11, exec_lo
	v_cmpx_gt_u32_e64 s10, v67
	s_cbranch_execnz .LBB1627_366
.LBB1627_350:                           ;   in Loop: Header=BB1627_326 Depth=2
	s_or_b32 exec_lo, exec_lo, s11
	s_delay_alu instid0(SALU_CYCLE_1)
	s_mov_b32 s11, exec_lo
	v_cmpx_gt_u32_e64 s10, v68
	s_cbranch_execnz .LBB1627_367
.LBB1627_351:                           ;   in Loop: Header=BB1627_326 Depth=2
	s_or_b32 exec_lo, exec_lo, s11
	s_delay_alu instid0(SALU_CYCLE_1)
	s_mov_b32 s11, exec_lo
	v_cmpx_gt_u32_e64 s10, v69
	s_cbranch_execnz .LBB1627_368
.LBB1627_352:                           ;   in Loop: Header=BB1627_326 Depth=2
	s_or_b32 exec_lo, exec_lo, s11
	s_delay_alu instid0(SALU_CYCLE_1)
	s_mov_b32 s11, exec_lo
	v_cmpx_gt_u32_e64 s10, v70
	s_cbranch_execnz .LBB1627_369
.LBB1627_353:                           ;   in Loop: Header=BB1627_326 Depth=2
	s_or_b32 exec_lo, exec_lo, s11
	s_delay_alu instid0(SALU_CYCLE_1)
	s_mov_b32 s11, exec_lo
	v_cmpx_gt_u32_e64 s10, v71
	s_cbranch_execnz .LBB1627_370
.LBB1627_354:                           ;   in Loop: Header=BB1627_326 Depth=2
	s_or_b32 exec_lo, exec_lo, s11
	s_delay_alu instid0(SALU_CYCLE_1)
	s_mov_b32 s11, exec_lo
	v_cmpx_gt_u32_e64 s10, v72
	s_cbranch_execnz .LBB1627_371
.LBB1627_355:                           ;   in Loop: Header=BB1627_326 Depth=2
	s_or_b32 exec_lo, exec_lo, s11
	s_delay_alu instid0(SALU_CYCLE_1)
	s_mov_b32 s11, exec_lo
	v_cmpx_gt_u32_e64 s10, v73
	s_cbranch_execnz .LBB1627_372
.LBB1627_356:                           ;   in Loop: Header=BB1627_326 Depth=2
	s_or_b32 exec_lo, exec_lo, s11
	s_delay_alu instid0(SALU_CYCLE_1)
	s_mov_b32 s11, exec_lo
	v_cmpx_gt_u32_e64 s10, v74
	s_cbranch_execnz .LBB1627_373
.LBB1627_357:                           ;   in Loop: Header=BB1627_326 Depth=2
	s_or_b32 exec_lo, exec_lo, s11
	s_delay_alu instid0(SALU_CYCLE_1)
	s_mov_b32 s11, exec_lo
	v_cmpx_gt_u32_e64 s10, v75
	s_cbranch_execnz .LBB1627_374
.LBB1627_358:                           ;   in Loop: Header=BB1627_326 Depth=2
	s_or_b32 exec_lo, exec_lo, s11
	s_delay_alu instid0(SALU_CYCLE_1)
	s_mov_b32 s11, exec_lo
	v_cmpx_gt_u32_e64 s10, v76
	s_cbranch_execnz .LBB1627_375
.LBB1627_359:                           ;   in Loop: Header=BB1627_326 Depth=2
	s_or_b32 exec_lo, exec_lo, s11
	s_delay_alu instid0(SALU_CYCLE_1)
	s_mov_b32 s11, exec_lo
	v_cmpx_gt_u32_e64 s10, v77
	s_cbranch_execnz .LBB1627_376
.LBB1627_360:                           ;   in Loop: Header=BB1627_326 Depth=2
	s_or_b32 exec_lo, exec_lo, s11
	s_delay_alu instid0(SALU_CYCLE_1)
	s_mov_b32 s11, exec_lo
	v_cmpx_gt_u32_e64 s10, v78
	s_cbranch_execnz .LBB1627_377
.LBB1627_361:                           ;   in Loop: Header=BB1627_326 Depth=2
	s_or_b32 exec_lo, exec_lo, s11
	s_delay_alu instid0(SALU_CYCLE_1)
	s_mov_b32 s11, exec_lo
	v_cmpx_gt_u32_e64 s10, v79
	s_cbranch_execnz .LBB1627_378
.LBB1627_362:                           ;   in Loop: Header=BB1627_326 Depth=2
	s_or_b32 exec_lo, exec_lo, s11
	s_delay_alu instid0(SALU_CYCLE_1)
	s_mov_b32 s11, exec_lo
	v_cmpx_gt_u32_e64 s10, v80
	s_cbranch_execnz .LBB1627_379
.LBB1627_363:                           ;   in Loop: Header=BB1627_326 Depth=2
	s_or_b32 exec_lo, exec_lo, s11
	s_delay_alu instid0(SALU_CYCLE_1)
	s_mov_b32 s11, exec_lo
	v_cmpx_gt_u32_e64 s10, v81
	s_cbranch_execnz .LBB1627_380
.LBB1627_364:                           ;   in Loop: Header=BB1627_326 Depth=2
	s_or_b32 exec_lo, exec_lo, s11
	v_cmp_gt_u32_e32 vcc_lo, s10, v82
	s_and_saveexec_b32 s10, vcc_lo
	s_cbranch_execz .LBB1627_325
	s_branch .LBB1627_381
.LBB1627_365:                           ;   in Loop: Header=BB1627_326 Depth=2
	v_and_b32_e32 v24, 1, v39
	s_delay_alu instid0(VALU_DEP_1) | instskip(NEXT) | instid1(VALU_DEP_1)
	v_lshrrev_b32_e32 v24, s43, v24
	v_and_b32_e32 v24, s48, v24
	s_delay_alu instid0(VALU_DEP_1) | instskip(SKIP_2) | instid1(SALU_CYCLE_1)
	v_lshl_or_b32 v24, v24, 4, v84
	ds_add_u32 v24, v7
	s_or_b32 exec_lo, exec_lo, s11
	s_mov_b32 s11, exec_lo
	v_cmpx_gt_u32_e64 s10, v67
	s_cbranch_execz .LBB1627_350
.LBB1627_366:                           ;   in Loop: Header=BB1627_326 Depth=2
	v_and_b32_e32 v24, 1, v42
	s_delay_alu instid0(VALU_DEP_1) | instskip(NEXT) | instid1(VALU_DEP_1)
	v_lshrrev_b32_e32 v24, s43, v24
	v_and_b32_e32 v24, s48, v24
	s_delay_alu instid0(VALU_DEP_1) | instskip(SKIP_2) | instid1(SALU_CYCLE_1)
	v_lshl_or_b32 v24, v24, 4, v84
	ds_add_u32 v24, v7
	s_or_b32 exec_lo, exec_lo, s11
	s_mov_b32 s11, exec_lo
	v_cmpx_gt_u32_e64 s10, v68
	s_cbranch_execz .LBB1627_351
.LBB1627_367:                           ;   in Loop: Header=BB1627_326 Depth=2
	v_and_b32_e32 v24, 1, v41
	s_delay_alu instid0(VALU_DEP_1) | instskip(NEXT) | instid1(VALU_DEP_1)
	v_lshrrev_b32_e32 v24, s43, v24
	v_and_b32_e32 v24, s48, v24
	s_delay_alu instid0(VALU_DEP_1) | instskip(SKIP_2) | instid1(SALU_CYCLE_1)
	v_lshl_or_b32 v24, v24, 4, v84
	ds_add_u32 v24, v7
	s_or_b32 exec_lo, exec_lo, s11
	s_mov_b32 s11, exec_lo
	v_cmpx_gt_u32_e64 s10, v69
	s_cbranch_execz .LBB1627_352
.LBB1627_368:                           ;   in Loop: Header=BB1627_326 Depth=2
	v_and_b32_e32 v24, 1, v40
	s_delay_alu instid0(VALU_DEP_1) | instskip(NEXT) | instid1(VALU_DEP_1)
	v_lshrrev_b32_e32 v24, s43, v24
	v_and_b32_e32 v24, s48, v24
	s_delay_alu instid0(VALU_DEP_1) | instskip(SKIP_2) | instid1(SALU_CYCLE_1)
	v_lshl_or_b32 v24, v24, 4, v84
	ds_add_u32 v24, v7
	s_or_b32 exec_lo, exec_lo, s11
	s_mov_b32 s11, exec_lo
	v_cmpx_gt_u32_e64 s10, v70
	s_cbranch_execz .LBB1627_353
.LBB1627_369:                           ;   in Loop: Header=BB1627_326 Depth=2
	v_and_b32_e32 v24, 1, v38
	s_delay_alu instid0(VALU_DEP_1) | instskip(NEXT) | instid1(VALU_DEP_1)
	v_lshrrev_b32_e32 v24, s43, v24
	v_and_b32_e32 v24, s48, v24
	s_delay_alu instid0(VALU_DEP_1) | instskip(SKIP_2) | instid1(SALU_CYCLE_1)
	v_lshl_or_b32 v24, v24, 4, v84
	ds_add_u32 v24, v7
	s_or_b32 exec_lo, exec_lo, s11
	s_mov_b32 s11, exec_lo
	v_cmpx_gt_u32_e64 s10, v71
	s_cbranch_execz .LBB1627_354
.LBB1627_370:                           ;   in Loop: Header=BB1627_326 Depth=2
	v_and_b32_e32 v24, 1, v37
	s_delay_alu instid0(VALU_DEP_1) | instskip(NEXT) | instid1(VALU_DEP_1)
	v_lshrrev_b32_e32 v24, s43, v24
	v_and_b32_e32 v24, s48, v24
	s_delay_alu instid0(VALU_DEP_1) | instskip(SKIP_2) | instid1(SALU_CYCLE_1)
	v_lshl_or_b32 v24, v24, 4, v84
	ds_add_u32 v24, v7
	s_or_b32 exec_lo, exec_lo, s11
	s_mov_b32 s11, exec_lo
	v_cmpx_gt_u32_e64 s10, v72
	s_cbranch_execz .LBB1627_355
.LBB1627_371:                           ;   in Loop: Header=BB1627_326 Depth=2
	v_and_b32_e32 v24, 1, v36
	s_delay_alu instid0(VALU_DEP_1) | instskip(NEXT) | instid1(VALU_DEP_1)
	v_lshrrev_b32_e32 v24, s43, v24
	v_and_b32_e32 v24, s48, v24
	s_delay_alu instid0(VALU_DEP_1) | instskip(SKIP_2) | instid1(SALU_CYCLE_1)
	v_lshl_or_b32 v24, v24, 4, v84
	ds_add_u32 v24, v7
	s_or_b32 exec_lo, exec_lo, s11
	s_mov_b32 s11, exec_lo
	v_cmpx_gt_u32_e64 s10, v73
	s_cbranch_execz .LBB1627_356
.LBB1627_372:                           ;   in Loop: Header=BB1627_326 Depth=2
	v_and_b32_e32 v24, 1, v35
	s_delay_alu instid0(VALU_DEP_1) | instskip(NEXT) | instid1(VALU_DEP_1)
	v_lshrrev_b32_e32 v24, s43, v24
	v_and_b32_e32 v24, s48, v24
	s_delay_alu instid0(VALU_DEP_1) | instskip(SKIP_2) | instid1(SALU_CYCLE_1)
	v_lshl_or_b32 v24, v24, 4, v84
	ds_add_u32 v24, v7
	s_or_b32 exec_lo, exec_lo, s11
	s_mov_b32 s11, exec_lo
	v_cmpx_gt_u32_e64 s10, v74
	s_cbranch_execz .LBB1627_357
.LBB1627_373:                           ;   in Loop: Header=BB1627_326 Depth=2
	v_and_b32_e32 v24, 1, v34
	s_delay_alu instid0(VALU_DEP_1) | instskip(NEXT) | instid1(VALU_DEP_1)
	v_lshrrev_b32_e32 v24, s43, v24
	v_and_b32_e32 v24, s48, v24
	s_delay_alu instid0(VALU_DEP_1) | instskip(SKIP_2) | instid1(SALU_CYCLE_1)
	v_lshl_or_b32 v24, v24, 4, v84
	ds_add_u32 v24, v7
	s_or_b32 exec_lo, exec_lo, s11
	s_mov_b32 s11, exec_lo
	v_cmpx_gt_u32_e64 s10, v75
	s_cbranch_execz .LBB1627_358
.LBB1627_374:                           ;   in Loop: Header=BB1627_326 Depth=2
	v_and_b32_e32 v24, 1, v33
	s_delay_alu instid0(VALU_DEP_1) | instskip(NEXT) | instid1(VALU_DEP_1)
	v_lshrrev_b32_e32 v24, s43, v24
	v_and_b32_e32 v24, s48, v24
	s_delay_alu instid0(VALU_DEP_1) | instskip(SKIP_2) | instid1(SALU_CYCLE_1)
	v_lshl_or_b32 v24, v24, 4, v84
	ds_add_u32 v24, v7
	s_or_b32 exec_lo, exec_lo, s11
	s_mov_b32 s11, exec_lo
	v_cmpx_gt_u32_e64 s10, v76
	s_cbranch_execz .LBB1627_359
.LBB1627_375:                           ;   in Loop: Header=BB1627_326 Depth=2
	v_and_b32_e32 v24, 1, v32
	s_delay_alu instid0(VALU_DEP_1) | instskip(NEXT) | instid1(VALU_DEP_1)
	v_lshrrev_b32_e32 v24, s43, v24
	v_and_b32_e32 v24, s48, v24
	s_delay_alu instid0(VALU_DEP_1) | instskip(SKIP_2) | instid1(SALU_CYCLE_1)
	v_lshl_or_b32 v24, v24, 4, v84
	ds_add_u32 v24, v7
	s_or_b32 exec_lo, exec_lo, s11
	s_mov_b32 s11, exec_lo
	v_cmpx_gt_u32_e64 s10, v77
	s_cbranch_execz .LBB1627_360
.LBB1627_376:                           ;   in Loop: Header=BB1627_326 Depth=2
	v_and_b32_e32 v24, 1, v31
	s_delay_alu instid0(VALU_DEP_1) | instskip(NEXT) | instid1(VALU_DEP_1)
	v_lshrrev_b32_e32 v24, s43, v24
	v_and_b32_e32 v24, s48, v24
	s_delay_alu instid0(VALU_DEP_1) | instskip(SKIP_2) | instid1(SALU_CYCLE_1)
	v_lshl_or_b32 v24, v24, 4, v84
	ds_add_u32 v24, v7
	s_or_b32 exec_lo, exec_lo, s11
	s_mov_b32 s11, exec_lo
	v_cmpx_gt_u32_e64 s10, v78
	s_cbranch_execz .LBB1627_361
.LBB1627_377:                           ;   in Loop: Header=BB1627_326 Depth=2
	v_and_b32_e32 v24, 1, v30
	s_delay_alu instid0(VALU_DEP_1) | instskip(NEXT) | instid1(VALU_DEP_1)
	v_lshrrev_b32_e32 v24, s43, v24
	v_and_b32_e32 v24, s48, v24
	s_delay_alu instid0(VALU_DEP_1) | instskip(SKIP_2) | instid1(SALU_CYCLE_1)
	v_lshl_or_b32 v24, v24, 4, v84
	ds_add_u32 v24, v7
	s_or_b32 exec_lo, exec_lo, s11
	s_mov_b32 s11, exec_lo
	v_cmpx_gt_u32_e64 s10, v79
	s_cbranch_execz .LBB1627_362
.LBB1627_378:                           ;   in Loop: Header=BB1627_326 Depth=2
	v_and_b32_e32 v24, 1, v29
	s_delay_alu instid0(VALU_DEP_1) | instskip(NEXT) | instid1(VALU_DEP_1)
	v_lshrrev_b32_e32 v24, s43, v24
	v_and_b32_e32 v24, s48, v24
	s_delay_alu instid0(VALU_DEP_1) | instskip(SKIP_2) | instid1(SALU_CYCLE_1)
	v_lshl_or_b32 v24, v24, 4, v84
	ds_add_u32 v24, v7
	s_or_b32 exec_lo, exec_lo, s11
	s_mov_b32 s11, exec_lo
	v_cmpx_gt_u32_e64 s10, v80
	s_cbranch_execz .LBB1627_363
.LBB1627_379:                           ;   in Loop: Header=BB1627_326 Depth=2
	v_and_b32_e32 v24, 1, v28
	s_delay_alu instid0(VALU_DEP_1) | instskip(NEXT) | instid1(VALU_DEP_1)
	v_lshrrev_b32_e32 v24, s43, v24
	v_and_b32_e32 v24, s48, v24
	s_delay_alu instid0(VALU_DEP_1) | instskip(SKIP_2) | instid1(SALU_CYCLE_1)
	v_lshl_or_b32 v24, v24, 4, v84
	ds_add_u32 v24, v7
	s_or_b32 exec_lo, exec_lo, s11
	s_mov_b32 s11, exec_lo
	v_cmpx_gt_u32_e64 s10, v81
	s_cbranch_execz .LBB1627_364
.LBB1627_380:                           ;   in Loop: Header=BB1627_326 Depth=2
	v_and_b32_e32 v24, 1, v27
	s_delay_alu instid0(VALU_DEP_1) | instskip(NEXT) | instid1(VALU_DEP_1)
	v_lshrrev_b32_e32 v24, s43, v24
	v_and_b32_e32 v24, s48, v24
	s_delay_alu instid0(VALU_DEP_1)
	v_lshl_or_b32 v24, v24, 4, v84
	ds_add_u32 v24, v7
	s_or_b32 exec_lo, exec_lo, s11
	v_cmp_gt_u32_e32 vcc_lo, s10, v82
	s_and_saveexec_b32 s10, vcc_lo
	s_cbranch_execz .LBB1627_325
.LBB1627_381:                           ;   in Loop: Header=BB1627_326 Depth=2
	v_and_b32_e32 v24, 1, v26
	s_delay_alu instid0(VALU_DEP_1) | instskip(NEXT) | instid1(VALU_DEP_1)
	v_lshrrev_b32_e32 v24, s43, v24
	v_and_b32_e32 v24, s48, v24
	s_delay_alu instid0(VALU_DEP_1)
	v_lshl_or_b32 v24, v24, 4, v84
	ds_add_u32 v24, v7
	s_branch .LBB1627_325
.LBB1627_382:                           ;   in Loop: Header=BB1627_326 Depth=2
	global_load_u8 v39, v[24:25], off
	s_wait_xcnt 0x0
	s_or_b32 exec_lo, exec_lo, s10
	s_delay_alu instid0(SALU_CYCLE_1)
	s_mov_b32 s10, exec_lo
	v_cmpx_gt_u32_e64 s8, v67
	s_cbranch_execz .LBB1627_331
.LBB1627_383:                           ;   in Loop: Header=BB1627_326 Depth=2
	global_load_u8 v42, v[24:25], off offset:256
	s_wait_xcnt 0x0
	s_or_b32 exec_lo, exec_lo, s10
	s_delay_alu instid0(SALU_CYCLE_1)
	s_mov_b32 s10, exec_lo
	v_cmpx_gt_u32_e64 s8, v68
	s_cbranch_execz .LBB1627_332
.LBB1627_384:                           ;   in Loop: Header=BB1627_326 Depth=2
	global_load_u8 v41, v[24:25], off offset:512
	s_wait_xcnt 0x0
	s_or_b32 exec_lo, exec_lo, s10
	s_delay_alu instid0(SALU_CYCLE_1)
	s_mov_b32 s10, exec_lo
	v_cmpx_gt_u32_e64 s8, v69
	s_cbranch_execz .LBB1627_333
.LBB1627_385:                           ;   in Loop: Header=BB1627_326 Depth=2
	global_load_u8 v40, v[24:25], off offset:768
	s_wait_xcnt 0x0
	s_or_b32 exec_lo, exec_lo, s10
	s_delay_alu instid0(SALU_CYCLE_1)
	s_mov_b32 s10, exec_lo
	v_cmpx_gt_u32_e64 s8, v70
	s_cbranch_execz .LBB1627_334
.LBB1627_386:                           ;   in Loop: Header=BB1627_326 Depth=2
	global_load_u8 v38, v[24:25], off offset:1024
	s_wait_xcnt 0x0
	s_or_b32 exec_lo, exec_lo, s10
	s_delay_alu instid0(SALU_CYCLE_1)
	s_mov_b32 s10, exec_lo
	v_cmpx_gt_u32_e64 s8, v71
	s_cbranch_execz .LBB1627_335
.LBB1627_387:                           ;   in Loop: Header=BB1627_326 Depth=2
	global_load_u8 v37, v[24:25], off offset:1280
	s_wait_xcnt 0x0
	s_or_b32 exec_lo, exec_lo, s10
	s_delay_alu instid0(SALU_CYCLE_1)
	s_mov_b32 s10, exec_lo
	v_cmpx_gt_u32_e64 s8, v72
	s_cbranch_execz .LBB1627_336
.LBB1627_388:                           ;   in Loop: Header=BB1627_326 Depth=2
	global_load_u8 v36, v[24:25], off offset:1536
	s_wait_xcnt 0x0
	s_or_b32 exec_lo, exec_lo, s10
	s_delay_alu instid0(SALU_CYCLE_1)
	s_mov_b32 s10, exec_lo
	v_cmpx_gt_u32_e64 s8, v73
	s_cbranch_execz .LBB1627_337
.LBB1627_389:                           ;   in Loop: Header=BB1627_326 Depth=2
	global_load_u8 v35, v[24:25], off offset:1792
	s_wait_xcnt 0x0
	s_or_b32 exec_lo, exec_lo, s10
	s_delay_alu instid0(SALU_CYCLE_1)
	s_mov_b32 s10, exec_lo
	v_cmpx_gt_u32_e64 s8, v74
	s_cbranch_execz .LBB1627_338
.LBB1627_390:                           ;   in Loop: Header=BB1627_326 Depth=2
	global_load_u8 v34, v[24:25], off offset:2048
	s_wait_xcnt 0x0
	s_or_b32 exec_lo, exec_lo, s10
	s_delay_alu instid0(SALU_CYCLE_1)
	s_mov_b32 s10, exec_lo
	v_cmpx_gt_u32_e64 s8, v75
	s_cbranch_execz .LBB1627_339
.LBB1627_391:                           ;   in Loop: Header=BB1627_326 Depth=2
	global_load_u8 v33, v[24:25], off offset:2304
	s_wait_xcnt 0x0
	s_or_b32 exec_lo, exec_lo, s10
	s_delay_alu instid0(SALU_CYCLE_1)
	s_mov_b32 s10, exec_lo
	v_cmpx_gt_u32_e64 s8, v76
	s_cbranch_execz .LBB1627_340
.LBB1627_392:                           ;   in Loop: Header=BB1627_326 Depth=2
	global_load_u8 v32, v[24:25], off offset:2560
	s_wait_xcnt 0x0
	s_or_b32 exec_lo, exec_lo, s10
	s_delay_alu instid0(SALU_CYCLE_1)
	s_mov_b32 s10, exec_lo
	v_cmpx_gt_u32_e64 s8, v77
	s_cbranch_execz .LBB1627_341
.LBB1627_393:                           ;   in Loop: Header=BB1627_326 Depth=2
	global_load_u8 v31, v[24:25], off offset:2816
	s_wait_xcnt 0x0
	s_or_b32 exec_lo, exec_lo, s10
	s_delay_alu instid0(SALU_CYCLE_1)
	s_mov_b32 s10, exec_lo
	v_cmpx_gt_u32_e64 s8, v78
	s_cbranch_execz .LBB1627_342
.LBB1627_394:                           ;   in Loop: Header=BB1627_326 Depth=2
	global_load_u8 v30, v[24:25], off offset:3072
	s_wait_xcnt 0x0
	s_or_b32 exec_lo, exec_lo, s10
	s_delay_alu instid0(SALU_CYCLE_1)
	s_mov_b32 s10, exec_lo
	v_cmpx_gt_u32_e64 s8, v79
	s_cbranch_execz .LBB1627_343
.LBB1627_395:                           ;   in Loop: Header=BB1627_326 Depth=2
	global_load_u8 v29, v[24:25], off offset:3328
	s_wait_xcnt 0x0
	s_or_b32 exec_lo, exec_lo, s10
	s_delay_alu instid0(SALU_CYCLE_1)
	s_mov_b32 s10, exec_lo
	v_cmpx_gt_u32_e64 s8, v80
	s_cbranch_execz .LBB1627_344
.LBB1627_396:                           ;   in Loop: Header=BB1627_326 Depth=2
	global_load_u8 v28, v[24:25], off offset:3584
	s_wait_xcnt 0x0
	s_or_b32 exec_lo, exec_lo, s10
	s_delay_alu instid0(SALU_CYCLE_1)
	s_mov_b32 s10, exec_lo
	v_cmpx_gt_u32_e64 s8, v81
	s_cbranch_execz .LBB1627_345
.LBB1627_397:                           ;   in Loop: Header=BB1627_326 Depth=2
	global_load_u8 v27, v[24:25], off offset:3840
	s_wait_xcnt 0x0
	s_or_b32 exec_lo, exec_lo, s10
	s_delay_alu instid0(SALU_CYCLE_1)
	s_mov_b32 s10, exec_lo
	v_cmpx_gt_u32_e64 s8, v82
	s_cbranch_execnz .LBB1627_346
	s_branch .LBB1627_347
.LBB1627_398:                           ;   in Loop: Header=BB1627_12 Depth=1
	v_mov_b32_e32 v24, 0
	s_wait_dscnt 0x0
	s_barrier_signal -1
	s_barrier_wait -1
	s_and_saveexec_b32 s8, s0
	s_cbranch_execz .LBB1627_400
; %bb.399:                              ;   in Loop: Header=BB1627_12 Depth=1
	ds_load_2addr_b64 v[24:27], v85 offset1:1
	s_wait_dscnt 0x0
	v_add_nc_u32_e32 v24, v25, v24
	s_delay_alu instid0(VALU_DEP_1)
	v_add3_u32 v24, v24, v26, v27
.LBB1627_400:                           ;   in Loop: Header=BB1627_12 Depth=1
	s_or_b32 exec_lo, exec_lo, s8
	v_and_b32_e32 v25, 15, v0
	s_delay_alu instid0(VALU_DEP_2) | instskip(SKIP_1) | instid1(VALU_DEP_3)
	v_mov_b32_dpp v26, v24 row_shr:1 row_mask:0xf bank_mask:0xf
	v_and_b32_e32 v27, 16, v0
	v_cmp_eq_u32_e64 s8, 0, v25
	v_cmp_lt_u32_e64 s9, 1, v25
	s_delay_alu instid0(VALU_DEP_3) | instskip(NEXT) | instid1(VALU_DEP_3)
	v_cmp_eq_u32_e64 s12, 0, v27
	v_cndmask_b32_e64 v26, v26, 0, s8
	s_delay_alu instid0(VALU_DEP_1) | instskip(NEXT) | instid1(VALU_DEP_1)
	v_add_nc_u32_e32 v24, v26, v24
	v_mov_b32_dpp v26, v24 row_shr:2 row_mask:0xf bank_mask:0xf
	s_delay_alu instid0(VALU_DEP_1) | instskip(SKIP_2) | instid1(VALU_DEP_3)
	v_cndmask_b32_e64 v26, 0, v26, s9
	v_cmp_lt_u32_e64 s11, 7, v25
	v_cmp_lt_u32_e64 s10, 3, v25
	v_add_nc_u32_e32 v24, v24, v26
	s_delay_alu instid0(VALU_DEP_1) | instskip(NEXT) | instid1(VALU_DEP_1)
	v_mov_b32_dpp v26, v24 row_shr:4 row_mask:0xf bank_mask:0xf
	v_cndmask_b32_e64 v26, 0, v26, s10
	s_delay_alu instid0(VALU_DEP_1) | instskip(NEXT) | instid1(VALU_DEP_1)
	v_add_nc_u32_e32 v24, v24, v26
	v_mov_b32_dpp v26, v24 row_shr:8 row_mask:0xf bank_mask:0xf
	s_delay_alu instid0(VALU_DEP_1) | instskip(SKIP_1) | instid1(VALU_DEP_2)
	v_cndmask_b32_e64 v25, 0, v26, s11
	v_bfe_i32 v26, v0, 4, 1
	v_add_nc_u32_e32 v24, v24, v25
	ds_swizzle_b32 v25, v24 offset:swizzle(BROADCAST,32,15)
	s_wait_dscnt 0x0
	v_and_b32_e32 v25, v26, v25
	s_delay_alu instid0(VALU_DEP_1)
	v_add_nc_u32_e32 v24, v24, v25
	s_and_saveexec_b32 s13, s1
; %bb.401:                              ;   in Loop: Header=BB1627_12 Depth=1
	ds_store_b32 v86, v24
; %bb.402:                              ;   in Loop: Header=BB1627_12 Depth=1
	s_or_b32 exec_lo, exec_lo, s13
	s_wait_dscnt 0x0
	s_barrier_signal -1
	s_barrier_wait -1
	s_and_saveexec_b32 s13, s4
	s_cbranch_execz .LBB1627_404
; %bb.403:                              ;   in Loop: Header=BB1627_12 Depth=1
	ds_load_b32 v25, v87
	s_wait_dscnt 0x0
	v_mov_b32_dpp v27, v25 row_shr:1 row_mask:0xf bank_mask:0xf
	v_and_b32_e32 v26, 3, v0
	s_delay_alu instid0(VALU_DEP_1) | instskip(NEXT) | instid1(VALU_DEP_3)
	v_cmp_ne_u32_e32 vcc_lo, 0, v26
	v_cndmask_b32_e32 v27, 0, v27, vcc_lo
	v_cmp_lt_u32_e32 vcc_lo, 1, v26
	s_delay_alu instid0(VALU_DEP_2) | instskip(NEXT) | instid1(VALU_DEP_1)
	v_add_nc_u32_e32 v25, v27, v25
	v_mov_b32_dpp v27, v25 row_shr:2 row_mask:0xf bank_mask:0xf
	s_delay_alu instid0(VALU_DEP_1) | instskip(NEXT) | instid1(VALU_DEP_1)
	v_cndmask_b32_e32 v26, 0, v27, vcc_lo
	v_add_nc_u32_e32 v25, v25, v26
	ds_store_b32 v87, v25
.LBB1627_404:                           ;   in Loop: Header=BB1627_12 Depth=1
	s_or_b32 exec_lo, exec_lo, s13
	v_mov_b32_e32 v25, 0
	s_wait_dscnt 0x0
	s_barrier_signal -1
	s_barrier_wait -1
	s_and_saveexec_b32 s13, s5
; %bb.405:                              ;   in Loop: Header=BB1627_12 Depth=1
	ds_load_b32 v25, v88
; %bb.406:                              ;   in Loop: Header=BB1627_12 Depth=1
	s_or_b32 exec_lo, exec_lo, s13
	v_sub_co_u32 v26, s13, v0, 1
	s_wait_dscnt 0x0
	s_barrier_signal -1
	s_barrier_wait -1
	s_delay_alu instid0(VALU_DEP_1) | instskip(SKIP_1) | instid1(VALU_DEP_1)
	v_cmp_gt_i32_e32 vcc_lo, 0, v26
	v_cndmask_b32_e32 v26, v26, v0, vcc_lo
	v_dual_add_nc_u32 v24, v25, v24 :: v_dual_lshlrev_b32 v96, 2, v26
	ds_bpermute_b32 v24, v96, v24
	s_and_saveexec_b32 s14, s0
	s_cbranch_execz .LBB1627_408
; %bb.407:                              ;   in Loop: Header=BB1627_12 Depth=1
	s_wait_dscnt 0x0
	v_cndmask_b32_e64 v24, v24, v25, s13
	s_delay_alu instid0(VALU_DEP_1)
	v_add_nc_u32_e32 v24, s55, v24
	ds_store_b32 v66, v24
.LBB1627_408:                           ;   in Loop: Header=BB1627_12 Depth=1
	s_or_b32 exec_lo, exec_lo, s14
	s_load_b64 s[14:15], s[52:53], 0x0
	s_wait_dscnt 0x0
	v_dual_lshlrev_b32 v24, 3, v0 :: v_dual_bitop2_b32 v26, 7, v0 bitop3:0x40
	v_dual_mov_b32 v25, v1 :: v_dual_bitop2_b32 v97, v0, v6 bitop3:0x54
	s_mov_b32 s58, s57
                                        ; implicit-def: $vgpr30_vgpr31
                                        ; implicit-def: $vgpr32_vgpr33
                                        ; implicit-def: $vgpr34_vgpr35
                                        ; implicit-def: $vgpr36_vgpr37
                                        ; implicit-def: $vgpr38_vgpr39
                                        ; implicit-def: $vgpr40_vgpr41
                                        ; implicit-def: $vgpr42_vgpr43
                                        ; implicit-def: $vgpr44_vgpr45
                                        ; implicit-def: $vgpr46_vgpr47
                                        ; implicit-def: $vgpr48_vgpr49
                                        ; implicit-def: $vgpr50_vgpr51
                                        ; implicit-def: $vgpr52_vgpr53
                                        ; implicit-def: $vgpr54_vgpr55
                                        ; implicit-def: $vgpr56_vgpr57
                                        ; implicit-def: $vgpr58_vgpr59
                                        ; implicit-def: $vgpr60_vgpr61
                                        ; implicit-def: $vgpr115
                                        ; implicit-def: $vgpr116
                                        ; implicit-def: $vgpr117
                                        ; implicit-def: $vgpr118
                                        ; implicit-def: $vgpr119
                                        ; implicit-def: $vgpr120
                                        ; implicit-def: $vgpr121
                                        ; implicit-def: $vgpr122
                                        ; implicit-def: $vgpr123
                                        ; implicit-def: $vgpr124
                                        ; implicit-def: $vgpr125
                                        ; implicit-def: $vgpr126
                                        ; implicit-def: $vgpr127
                                        ; implicit-def: $vgpr128
                                        ; implicit-def: $vgpr129
                                        ; implicit-def: $vgpr130
                                        ; implicit-def: $vgpr131
                                        ; implicit-def: $vgpr132
                                        ; implicit-def: $vgpr133
	s_delay_alu instid0(VALU_DEP_1) | instskip(NEXT) | instid1(VALU_DEP_2)
	v_add_nc_u64_e32 v[24:25], v[14:15], v[24:25]
	v_dual_add_nc_u32 v98, 32, v97 :: v_dual_add_nc_u32 v99, 64, v97
	v_add_nc_u32_e32 v100, 0x60, v97
	v_add_nc_u32_e32 v101, 0x80, v97
	v_add_nc_u32_e32 v102, 0xa0, v97
	v_add_nc_u32_e32 v103, 0xc0, v97
	v_add_nc_u32_e32 v104, 0xe0, v97
	v_add_nc_u32_e32 v105, 0x100, v97
	v_add_nc_u32_e32 v106, 0x120, v97
	v_add_nc_u32_e32 v107, 0x140, v97
	v_add_nc_u32_e32 v108, 0x160, v97
	s_wait_kmcnt 0x0
	s_cmp_lt_u32 s51, s14
	v_add_nc_u32_e32 v109, 0x180, v97
	s_cselect_b32 s34, 12, 18
	s_cmp_lt_u32 s42, s15
	s_mov_b32 s15, s35
	s_cselect_b32 s14, 14, 20
	v_add_nc_u32_e32 v110, 0x1a0, v97
	s_add_nc_u64 s[14:15], s[52:53], s[14:15]
	v_add_nc_u32_e32 v111, 0x1c0, v97
	s_load_u16 s16, s[14:15], 0x0
	s_wait_xcnt 0x0
	s_add_nc_u64 s[14:15], s[52:53], s[34:35]
	v_add_nc_u32_e32 v112, 0x1e0, v97
	s_load_u16 s17, s[14:15], 0x0
	s_wait_xcnt 0x0
	v_cmp_eq_u32_e64 s14, 0, v26
	v_cmp_lt_u32_e64 s15, 1, v26
	v_add_nc_u32_e32 v113, 0x200, v97
	s_mov_b32 s34, s55
	s_wait_kmcnt 0x0
	v_mad_u32_u24 v27, v89, s16, v91
	v_cmp_lt_u32_e64 s16, 3, v26
	s_delay_alu instid0(VALU_DEP_2) | instskip(NEXT) | instid1(VALU_DEP_1)
	v_mad_u32 v26, v27, s17, v2
	v_lshrrev_b32_e32 v28, 3, v26
	v_add_nc_u64_e32 v[26:27], v[16:17], v[0:1]
	s_delay_alu instid0(VALU_DEP_2)
	v_and_b32_e32 v114, 0x1ffffffc, v28
                                        ; implicit-def: $vgpr28_vgpr29
	s_branch .LBB1627_410
.LBB1627_409:                           ;   in Loop: Header=BB1627_410 Depth=2
	s_or_b32 exec_lo, exec_lo, s17
	s_addk_co_i32 s58, 0xef00
	s_cmp_lt_u32 s59, s54
	s_mov_b32 s34, s59
	s_cbranch_scc0 .LBB1627_632
.LBB1627_410:                           ;   Parent Loop BB1627_12 Depth=1
                                        ; =>  This Inner Loop Header: Depth=2
	s_add_co_i32 s59, s34, 0x1100
	s_delay_alu instid0(SALU_CYCLE_1)
	s_cmp_gt_u32 s59, s54
	s_cbranch_scc1 .LBB1627_412
; %bb.411:                              ;   in Loop: Header=BB1627_410 Depth=2
	s_delay_alu instid0(VALU_DEP_2)
	v_add_nc_u64_e32 v[62:63], s[34:35], v[26:27]
	s_mov_b32 s17, -1
	s_clause 0xf
	global_load_u8 v135, v[62:63], off
	global_load_u8 v136, v[62:63], off offset:32
	global_load_u8 v137, v[62:63], off offset:64
	;; [unrolled: 1-line block ×15, first 2 shown]
	s_movk_i32 s18, 0x1100
	s_cbranch_execz .LBB1627_413
	s_branch .LBB1627_446
.LBB1627_412:                           ;   in Loop: Header=BB1627_410 Depth=2
	s_mov_b32 s17, 0
                                        ; implicit-def: $vgpr135
                                        ; implicit-def: $vgpr136
                                        ; implicit-def: $vgpr137
                                        ; implicit-def: $vgpr138
                                        ; implicit-def: $vgpr139
                                        ; implicit-def: $vgpr140
                                        ; implicit-def: $vgpr141
                                        ; implicit-def: $vgpr142
                                        ; implicit-def: $vgpr143
                                        ; implicit-def: $vgpr144
                                        ; implicit-def: $vgpr145
                                        ; implicit-def: $vgpr146
                                        ; implicit-def: $vgpr147
                                        ; implicit-def: $vgpr148
                                        ; implicit-def: $vgpr149
                                        ; implicit-def: $vgpr150
	s_movk_i32 s18, 0x1100
.LBB1627_413:                           ;   in Loop: Header=BB1627_410 Depth=2
	s_wait_xcnt 0x0
	v_add_nc_u64_e32 v[62:63], s[34:35], v[26:27]
	s_wait_loadcnt 0xe
	v_dual_mov_b32 v136, 1 :: v_dual_mov_b32 v135, 1
	s_mov_b32 s17, exec_lo
	v_cmpx_gt_u32_e64 s58, v97
	s_cbranch_execz .LBB1627_415
; %bb.414:                              ;   in Loop: Header=BB1627_410 Depth=2
	global_load_u8 v135, v[62:63], off
.LBB1627_415:                           ;   in Loop: Header=BB1627_410 Depth=2
	s_wait_xcnt 0x0
	s_or_b32 exec_lo, exec_lo, s17
	s_delay_alu instid0(SALU_CYCLE_1)
	s_mov_b32 s17, exec_lo
	v_cmpx_gt_u32_e64 s58, v98
	s_cbranch_execz .LBB1627_417
; %bb.416:                              ;   in Loop: Header=BB1627_410 Depth=2
	global_load_u8 v136, v[62:63], off offset:32
.LBB1627_417:                           ;   in Loop: Header=BB1627_410 Depth=2
	s_wait_xcnt 0x0
	s_or_b32 exec_lo, exec_lo, s17
	s_wait_loadcnt 0xc
	v_dual_mov_b32 v138, 1 :: v_dual_mov_b32 v137, 1
	s_mov_b32 s17, exec_lo
	v_cmpx_gt_u32_e64 s58, v99
	s_cbranch_execz .LBB1627_419
; %bb.418:                              ;   in Loop: Header=BB1627_410 Depth=2
	global_load_u8 v137, v[62:63], off offset:64
.LBB1627_419:                           ;   in Loop: Header=BB1627_410 Depth=2
	s_wait_xcnt 0x0
	s_or_b32 exec_lo, exec_lo, s17
	s_delay_alu instid0(SALU_CYCLE_1)
	s_mov_b32 s17, exec_lo
	v_cmpx_gt_u32_e64 s58, v100
	s_cbranch_execz .LBB1627_421
; %bb.420:                              ;   in Loop: Header=BB1627_410 Depth=2
	global_load_u8 v138, v[62:63], off offset:96
.LBB1627_421:                           ;   in Loop: Header=BB1627_410 Depth=2
	s_wait_xcnt 0x0
	s_or_b32 exec_lo, exec_lo, s17
	s_wait_loadcnt 0xa
	v_dual_mov_b32 v140, 1 :: v_dual_mov_b32 v139, 1
	s_mov_b32 s17, exec_lo
	v_cmpx_gt_u32_e64 s58, v101
	s_cbranch_execz .LBB1627_423
; %bb.422:                              ;   in Loop: Header=BB1627_410 Depth=2
	global_load_u8 v139, v[62:63], off offset:128
.LBB1627_423:                           ;   in Loop: Header=BB1627_410 Depth=2
	;; [unrolled: 19-line block ×7, first 2 shown]
	s_wait_xcnt 0x0
	s_or_b32 exec_lo, exec_lo, s17
	s_delay_alu instid0(SALU_CYCLE_1)
	s_mov_b32 s17, exec_lo
	v_cmpx_gt_u32_e64 s58, v112
	s_cbranch_execz .LBB1627_445
; %bb.444:                              ;   in Loop: Header=BB1627_410 Depth=2
	global_load_u8 v150, v[62:63], off offset:480
.LBB1627_445:                           ;   in Loop: Header=BB1627_410 Depth=2
	s_wait_xcnt 0x0
	s_or_b32 exec_lo, exec_lo, s17
	v_cmp_gt_u32_e64 s17, s58, v113
	s_sub_co_i32 s18, s54, s34
.LBB1627_446:                           ;   in Loop: Header=BB1627_410 Depth=2
	v_dual_mov_b32 v151, 1 :: v_dual_mov_b32 v134, s58
	s_wait_xcnt 0x0
	s_and_saveexec_b32 s19, s17
	s_cbranch_execz .LBB1627_448
; %bb.447:                              ;   in Loop: Header=BB1627_410 Depth=2
	v_add_nc_u64_e32 v[62:63], s[34:35], v[26:27]
	v_mov_b32_e32 v134, s18
	global_load_u8 v151, v[62:63], off offset:512
.LBB1627_448:                           ;   in Loop: Header=BB1627_410 Depth=2
	s_wait_xcnt 0x0
	s_or_b32 exec_lo, exec_lo, s19
	s_wait_loadcnt 0xf
	v_and_b32_e32 v62, 0xff, v135
	ds_store_2addr_b32 v90, v1, v1 offset0:136 offset1:137
	ds_store_2addr_b32 v90, v1, v1 offset0:138 offset1:139
	ds_store_b32 v90, v1 offset:560
	s_wait_loadcnt_dscnt 0x0
	s_barrier_signal -1
	s_barrier_wait -1
	v_lshrrev_b32_e32 v62, s43, v62
	; wave barrier
	s_delay_alu instid0(VALU_DEP_1) | instskip(NEXT) | instid1(VALU_DEP_1)
	v_and_b32_e32 v63, s48, v62
	v_add_co_u32 v62, s17, v63, -1
	s_delay_alu instid0(VALU_DEP_1) | instskip(SKIP_1) | instid1(VALU_DEP_2)
	v_cndmask_b32_e64 v64, 0, 1, s17
	v_mul_u32_u24_e32 v63, 36, v63
	v_cmp_ne_u32_e32 vcc_lo, 0, v64
	s_delay_alu instid0(VALU_DEP_2) | instskip(SKIP_1) | instid1(VALU_DEP_1)
	v_add_nc_u32_e32 v155, v114, v63
	v_bitop3_b32 v62, vcc_lo, exec_lo, v62 bitop3:0x48
	v_mbcnt_lo_u32_b32 v152, v62, 0
	v_cmp_ne_u32_e64 s17, 0, v62
	s_delay_alu instid0(VALU_DEP_2) | instskip(SKIP_1) | instid1(SALU_CYCLE_1)
	v_cmp_eq_u32_e32 vcc_lo, 0, v152
	s_and_b32 s18, s17, vcc_lo
	s_and_saveexec_b32 s17, s18
; %bb.449:                              ;   in Loop: Header=BB1627_410 Depth=2
	v_bcnt_u32_b32 v62, v62, 0
	ds_store_b32 v155, v62 offset:544
; %bb.450:                              ;   in Loop: Header=BB1627_410 Depth=2
	s_or_b32 exec_lo, exec_lo, s17
	v_and_b32_e32 v62, 0xff, v136
	; wave barrier
	s_delay_alu instid0(VALU_DEP_1) | instskip(NEXT) | instid1(VALU_DEP_1)
	v_lshrrev_b32_e32 v62, s43, v62
	v_and_b32_e32 v63, s48, v62
	s_delay_alu instid0(VALU_DEP_1) | instskip(NEXT) | instid1(VALU_DEP_1)
	v_add_co_u32 v62, s17, v63, -1
	v_cndmask_b32_e64 v64, 0, 1, s17
	v_mad_u32_u24 v65, v63, 36, v114
	v_mul_u32_u24_e32 v63, 36, v63
	s_delay_alu instid0(VALU_DEP_3) | instskip(SKIP_3) | instid1(VALU_DEP_1)
	v_cmp_ne_u32_e32 vcc_lo, 0, v64
	ds_load_b32 v153, v65 offset:544
	v_add_nc_u32_e32 v158, v114, v63
	; wave barrier
	v_bitop3_b32 v62, vcc_lo, exec_lo, v62 bitop3:0x48
	v_mbcnt_lo_u32_b32 v154, v62, 0
	v_cmp_ne_u32_e64 s17, 0, v62
	s_delay_alu instid0(VALU_DEP_2) | instskip(SKIP_1) | instid1(SALU_CYCLE_1)
	v_cmp_eq_u32_e32 vcc_lo, 0, v154
	s_and_b32 s18, s17, vcc_lo
	s_and_saveexec_b32 s17, s18
	s_cbranch_execz .LBB1627_452
; %bb.451:                              ;   in Loop: Header=BB1627_410 Depth=2
	s_wait_dscnt 0x0
	v_bcnt_u32_b32 v62, v62, v153
	ds_store_b32 v158, v62 offset:544
.LBB1627_452:                           ;   in Loop: Header=BB1627_410 Depth=2
	s_or_b32 exec_lo, exec_lo, s17
	v_and_b32_e32 v62, 0xff, v137
	; wave barrier
	s_delay_alu instid0(VALU_DEP_1) | instskip(NEXT) | instid1(VALU_DEP_1)
	v_lshrrev_b32_e32 v62, s43, v62
	v_and_b32_e32 v63, s48, v62
	s_delay_alu instid0(VALU_DEP_1) | instskip(NEXT) | instid1(VALU_DEP_1)
	v_add_co_u32 v62, s17, v63, -1
	v_cndmask_b32_e64 v64, 0, 1, s17
	v_mad_u32_u24 v65, v63, 36, v114
	v_mul_u32_u24_e32 v63, 36, v63
	s_delay_alu instid0(VALU_DEP_3) | instskip(SKIP_3) | instid1(VALU_DEP_1)
	v_cmp_ne_u32_e32 vcc_lo, 0, v64
	ds_load_b32 v156, v65 offset:544
	v_add_nc_u32_e32 v161, v114, v63
	; wave barrier
	v_bitop3_b32 v62, vcc_lo, exec_lo, v62 bitop3:0x48
	v_mbcnt_lo_u32_b32 v157, v62, 0
	v_cmp_ne_u32_e64 s17, 0, v62
	s_delay_alu instid0(VALU_DEP_2) | instskip(SKIP_1) | instid1(SALU_CYCLE_1)
	v_cmp_eq_u32_e32 vcc_lo, 0, v157
	s_and_b32 s18, s17, vcc_lo
	s_and_saveexec_b32 s17, s18
	s_cbranch_execz .LBB1627_454
; %bb.453:                              ;   in Loop: Header=BB1627_410 Depth=2
	s_wait_dscnt 0x0
	v_bcnt_u32_b32 v62, v62, v156
	ds_store_b32 v161, v62 offset:544
.LBB1627_454:                           ;   in Loop: Header=BB1627_410 Depth=2
	s_or_b32 exec_lo, exec_lo, s17
	v_and_b32_e32 v62, 0xff, v138
	; wave barrier
	s_delay_alu instid0(VALU_DEP_1) | instskip(NEXT) | instid1(VALU_DEP_1)
	v_lshrrev_b32_e32 v62, s43, v62
	v_and_b32_e32 v63, s48, v62
	s_delay_alu instid0(VALU_DEP_1) | instskip(NEXT) | instid1(VALU_DEP_1)
	v_add_co_u32 v62, s17, v63, -1
	v_cndmask_b32_e64 v64, 0, 1, s17
	v_mad_u32_u24 v65, v63, 36, v114
	v_mul_u32_u24_e32 v63, 36, v63
	s_delay_alu instid0(VALU_DEP_3) | instskip(SKIP_3) | instid1(VALU_DEP_1)
	v_cmp_ne_u32_e32 vcc_lo, 0, v64
	ds_load_b32 v159, v65 offset:544
	v_add_nc_u32_e32 v163, v114, v63
	; wave barrier
	v_bitop3_b32 v62, vcc_lo, exec_lo, v62 bitop3:0x48
	v_mbcnt_lo_u32_b32 v160, v62, 0
	v_cmp_ne_u32_e64 s17, 0, v62
	s_delay_alu instid0(VALU_DEP_2) | instskip(SKIP_1) | instid1(SALU_CYCLE_1)
	v_cmp_eq_u32_e32 vcc_lo, 0, v160
	s_and_b32 s18, s17, vcc_lo
	s_and_saveexec_b32 s17, s18
	s_cbranch_execz .LBB1627_456
; %bb.455:                              ;   in Loop: Header=BB1627_410 Depth=2
	s_wait_dscnt 0x0
	v_bcnt_u32_b32 v62, v62, v159
	ds_store_b32 v163, v62 offset:544
.LBB1627_456:                           ;   in Loop: Header=BB1627_410 Depth=2
	s_or_b32 exec_lo, exec_lo, s17
	v_and_b32_e32 v62, 0xff, v139
	; wave barrier
	s_delay_alu instid0(VALU_DEP_1) | instskip(NEXT) | instid1(VALU_DEP_1)
	v_lshrrev_b32_e32 v62, s43, v62
	v_and_b32_e32 v63, s48, v62
	s_delay_alu instid0(VALU_DEP_1) | instskip(NEXT) | instid1(VALU_DEP_1)
	v_add_co_u32 v62, s17, v63, -1
	v_cndmask_b32_e64 v64, 0, 1, s17
	v_mad_u32_u24 v65, v63, 36, v114
	v_mul_u32_u24_e32 v63, 36, v63
	s_delay_alu instid0(VALU_DEP_3) | instskip(SKIP_3) | instid1(VALU_DEP_1)
	v_cmp_ne_u32_e32 vcc_lo, 0, v64
	ds_load_b32 v162, v65 offset:544
	v_add_nc_u32_e32 v164, v114, v63
	; wave barrier
	v_bitop3_b32 v62, vcc_lo, exec_lo, v62 bitop3:0x48
	v_mbcnt_lo_u32_b32 v167, v62, 0
	v_cmp_ne_u32_e64 s17, 0, v62
	s_delay_alu instid0(VALU_DEP_2) | instskip(SKIP_1) | instid1(SALU_CYCLE_1)
	v_cmp_eq_u32_e32 vcc_lo, 0, v167
	s_and_b32 s18, s17, vcc_lo
	s_and_saveexec_b32 s17, s18
	s_cbranch_execz .LBB1627_458
; %bb.457:                              ;   in Loop: Header=BB1627_410 Depth=2
	s_wait_dscnt 0x0
	v_bcnt_u32_b32 v62, v62, v162
	ds_store_b32 v164, v62 offset:544
.LBB1627_458:                           ;   in Loop: Header=BB1627_410 Depth=2
	s_or_b32 exec_lo, exec_lo, s17
	v_and_b32_e32 v62, 0xff, v140
	; wave barrier
	s_delay_alu instid0(VALU_DEP_1) | instskip(NEXT) | instid1(VALU_DEP_1)
	v_lshrrev_b32_e32 v62, s43, v62
	v_and_b32_e32 v63, s48, v62
	s_delay_alu instid0(VALU_DEP_1) | instskip(NEXT) | instid1(VALU_DEP_1)
	v_add_co_u32 v62, s17, v63, -1
	v_cndmask_b32_e64 v64, 0, 1, s17
	v_mad_u32_u24 v65, v63, 36, v114
	v_mul_u32_u24_e32 v63, 36, v63
	s_delay_alu instid0(VALU_DEP_3) | instskip(SKIP_3) | instid1(VALU_DEP_1)
	v_cmp_ne_u32_e32 vcc_lo, 0, v64
	ds_load_b32 v168, v65 offset:544
	v_add_nc_u32_e32 v165, v114, v63
	; wave barrier
	v_bitop3_b32 v62, vcc_lo, exec_lo, v62 bitop3:0x48
	v_mbcnt_lo_u32_b32 v169, v62, 0
	v_cmp_ne_u32_e64 s17, 0, v62
	s_delay_alu instid0(VALU_DEP_2) | instskip(SKIP_1) | instid1(SALU_CYCLE_1)
	v_cmp_eq_u32_e32 vcc_lo, 0, v169
	s_and_b32 s18, s17, vcc_lo
	s_and_saveexec_b32 s17, s18
	s_cbranch_execz .LBB1627_460
; %bb.459:                              ;   in Loop: Header=BB1627_410 Depth=2
	s_wait_dscnt 0x0
	v_bcnt_u32_b32 v62, v62, v168
	ds_store_b32 v165, v62 offset:544
.LBB1627_460:                           ;   in Loop: Header=BB1627_410 Depth=2
	s_or_b32 exec_lo, exec_lo, s17
	v_and_b32_e32 v62, 0xff, v141
	; wave barrier
	s_delay_alu instid0(VALU_DEP_1) | instskip(NEXT) | instid1(VALU_DEP_1)
	v_lshrrev_b32_e32 v62, s43, v62
	v_and_b32_e32 v63, s48, v62
	s_delay_alu instid0(VALU_DEP_1) | instskip(NEXT) | instid1(VALU_DEP_1)
	v_add_co_u32 v62, s17, v63, -1
	v_cndmask_b32_e64 v64, 0, 1, s17
	v_mad_u32_u24 v65, v63, 36, v114
	v_mul_u32_u24_e32 v63, 36, v63
	s_delay_alu instid0(VALU_DEP_3) | instskip(SKIP_3) | instid1(VALU_DEP_1)
	v_cmp_ne_u32_e32 vcc_lo, 0, v64
	ds_load_b32 v170, v65 offset:544
	v_add_nc_u32_e32 v166, v114, v63
	; wave barrier
	v_bitop3_b32 v62, vcc_lo, exec_lo, v62 bitop3:0x48
	v_mbcnt_lo_u32_b32 v171, v62, 0
	v_cmp_ne_u32_e64 s17, 0, v62
	s_delay_alu instid0(VALU_DEP_2) | instskip(SKIP_1) | instid1(SALU_CYCLE_1)
	v_cmp_eq_u32_e32 vcc_lo, 0, v171
	s_and_b32 s18, s17, vcc_lo
	s_and_saveexec_b32 s17, s18
	s_cbranch_execz .LBB1627_462
; %bb.461:                              ;   in Loop: Header=BB1627_410 Depth=2
	s_wait_dscnt 0x0
	v_bcnt_u32_b32 v62, v62, v170
	ds_store_b32 v166, v62 offset:544
.LBB1627_462:                           ;   in Loop: Header=BB1627_410 Depth=2
	s_or_b32 exec_lo, exec_lo, s17
	v_and_b32_e32 v62, 0xff, v142
	; wave barrier
	s_delay_alu instid0(VALU_DEP_1) | instskip(NEXT) | instid1(VALU_DEP_1)
	v_lshrrev_b32_e32 v62, s43, v62
	v_and_b32_e32 v63, s48, v62
	s_delay_alu instid0(VALU_DEP_1) | instskip(NEXT) | instid1(VALU_DEP_1)
	v_add_co_u32 v62, s17, v63, -1
	v_cndmask_b32_e64 v64, 0, 1, s17
	v_mad_u32_u24 v65, v63, 36, v114
	v_mul_u32_u24_e32 v63, 36, v63
	s_delay_alu instid0(VALU_DEP_3) | instskip(SKIP_3) | instid1(VALU_DEP_1)
	v_cmp_ne_u32_e32 vcc_lo, 0, v64
	ds_load_b32 v172, v65 offset:544
	v_add_nc_u32_e32 v176, v114, v63
	; wave barrier
	v_bitop3_b32 v62, vcc_lo, exec_lo, v62 bitop3:0x48
	v_mbcnt_lo_u32_b32 v173, v62, 0
	v_cmp_ne_u32_e64 s17, 0, v62
	s_delay_alu instid0(VALU_DEP_2) | instskip(SKIP_1) | instid1(SALU_CYCLE_1)
	v_cmp_eq_u32_e32 vcc_lo, 0, v173
	s_and_b32 s18, s17, vcc_lo
	s_and_saveexec_b32 s17, s18
	s_cbranch_execz .LBB1627_464
; %bb.463:                              ;   in Loop: Header=BB1627_410 Depth=2
	s_wait_dscnt 0x0
	v_bcnt_u32_b32 v62, v62, v172
	ds_store_b32 v176, v62 offset:544
.LBB1627_464:                           ;   in Loop: Header=BB1627_410 Depth=2
	s_or_b32 exec_lo, exec_lo, s17
	v_and_b32_e32 v62, 0xff, v143
	; wave barrier
	s_delay_alu instid0(VALU_DEP_1) | instskip(NEXT) | instid1(VALU_DEP_1)
	v_lshrrev_b32_e32 v62, s43, v62
	v_and_b32_e32 v63, s48, v62
	s_delay_alu instid0(VALU_DEP_1) | instskip(NEXT) | instid1(VALU_DEP_1)
	v_add_co_u32 v62, s17, v63, -1
	v_cndmask_b32_e64 v64, 0, 1, s17
	v_mad_u32_u24 v65, v63, 36, v114
	v_mul_u32_u24_e32 v63, 36, v63
	s_delay_alu instid0(VALU_DEP_3) | instskip(SKIP_3) | instid1(VALU_DEP_1)
	v_cmp_ne_u32_e32 vcc_lo, 0, v64
	ds_load_b32 v174, v65 offset:544
	v_add_nc_u32_e32 v179, v114, v63
	; wave barrier
	v_bitop3_b32 v62, vcc_lo, exec_lo, v62 bitop3:0x48
	v_mbcnt_lo_u32_b32 v175, v62, 0
	v_cmp_ne_u32_e64 s17, 0, v62
	s_delay_alu instid0(VALU_DEP_2) | instskip(SKIP_1) | instid1(SALU_CYCLE_1)
	v_cmp_eq_u32_e32 vcc_lo, 0, v175
	s_and_b32 s18, s17, vcc_lo
	s_and_saveexec_b32 s17, s18
	s_cbranch_execz .LBB1627_466
; %bb.465:                              ;   in Loop: Header=BB1627_410 Depth=2
	s_wait_dscnt 0x0
	v_bcnt_u32_b32 v62, v62, v174
	ds_store_b32 v179, v62 offset:544
.LBB1627_466:                           ;   in Loop: Header=BB1627_410 Depth=2
	s_or_b32 exec_lo, exec_lo, s17
	v_and_b32_e32 v62, 0xff, v144
	; wave barrier
	s_delay_alu instid0(VALU_DEP_1) | instskip(NEXT) | instid1(VALU_DEP_1)
	v_lshrrev_b32_e32 v62, s43, v62
	v_and_b32_e32 v63, s48, v62
	s_delay_alu instid0(VALU_DEP_1) | instskip(NEXT) | instid1(VALU_DEP_1)
	v_add_co_u32 v62, s17, v63, -1
	v_cndmask_b32_e64 v64, 0, 1, s17
	v_mad_u32_u24 v65, v63, 36, v114
	v_mul_u32_u24_e32 v63, 36, v63
	s_delay_alu instid0(VALU_DEP_3) | instskip(SKIP_3) | instid1(VALU_DEP_1)
	v_cmp_ne_u32_e32 vcc_lo, 0, v64
	ds_load_b32 v177, v65 offset:544
	v_add_nc_u32_e32 v182, v114, v63
	; wave barrier
	v_bitop3_b32 v62, vcc_lo, exec_lo, v62 bitop3:0x48
	v_mbcnt_lo_u32_b32 v178, v62, 0
	v_cmp_ne_u32_e64 s17, 0, v62
	s_delay_alu instid0(VALU_DEP_2) | instskip(SKIP_1) | instid1(SALU_CYCLE_1)
	v_cmp_eq_u32_e32 vcc_lo, 0, v178
	s_and_b32 s18, s17, vcc_lo
	s_and_saveexec_b32 s17, s18
	s_cbranch_execz .LBB1627_468
; %bb.467:                              ;   in Loop: Header=BB1627_410 Depth=2
	s_wait_dscnt 0x0
	v_bcnt_u32_b32 v62, v62, v177
	ds_store_b32 v182, v62 offset:544
.LBB1627_468:                           ;   in Loop: Header=BB1627_410 Depth=2
	s_or_b32 exec_lo, exec_lo, s17
	v_and_b32_e32 v62, 0xff, v145
	; wave barrier
	s_delay_alu instid0(VALU_DEP_1) | instskip(NEXT) | instid1(VALU_DEP_1)
	v_lshrrev_b32_e32 v62, s43, v62
	v_and_b32_e32 v63, s48, v62
	s_delay_alu instid0(VALU_DEP_1) | instskip(NEXT) | instid1(VALU_DEP_1)
	v_add_co_u32 v62, s17, v63, -1
	v_cndmask_b32_e64 v64, 0, 1, s17
	v_mad_u32_u24 v65, v63, 36, v114
	v_mul_u32_u24_e32 v63, 36, v63
	s_delay_alu instid0(VALU_DEP_3) | instskip(SKIP_3) | instid1(VALU_DEP_1)
	v_cmp_ne_u32_e32 vcc_lo, 0, v64
	ds_load_b32 v180, v65 offset:544
	v_add_nc_u32_e32 v185, v114, v63
	; wave barrier
	v_bitop3_b32 v62, vcc_lo, exec_lo, v62 bitop3:0x48
	v_mbcnt_lo_u32_b32 v181, v62, 0
	v_cmp_ne_u32_e64 s17, 0, v62
	s_delay_alu instid0(VALU_DEP_2) | instskip(SKIP_1) | instid1(SALU_CYCLE_1)
	v_cmp_eq_u32_e32 vcc_lo, 0, v181
	s_and_b32 s18, s17, vcc_lo
	s_and_saveexec_b32 s17, s18
	s_cbranch_execz .LBB1627_470
; %bb.469:                              ;   in Loop: Header=BB1627_410 Depth=2
	s_wait_dscnt 0x0
	v_bcnt_u32_b32 v62, v62, v180
	ds_store_b32 v185, v62 offset:544
.LBB1627_470:                           ;   in Loop: Header=BB1627_410 Depth=2
	s_or_b32 exec_lo, exec_lo, s17
	v_and_b32_e32 v62, 0xff, v146
	; wave barrier
	s_delay_alu instid0(VALU_DEP_1) | instskip(NEXT) | instid1(VALU_DEP_1)
	v_lshrrev_b32_e32 v62, s43, v62
	v_and_b32_e32 v63, s48, v62
	s_delay_alu instid0(VALU_DEP_1) | instskip(NEXT) | instid1(VALU_DEP_1)
	v_add_co_u32 v62, s17, v63, -1
	v_cndmask_b32_e64 v64, 0, 1, s17
	v_mad_u32_u24 v65, v63, 36, v114
	v_mul_u32_u24_e32 v63, 36, v63
	s_delay_alu instid0(VALU_DEP_3) | instskip(SKIP_3) | instid1(VALU_DEP_1)
	v_cmp_ne_u32_e32 vcc_lo, 0, v64
	ds_load_b32 v183, v65 offset:544
	v_add_nc_u32_e32 v188, v114, v63
	; wave barrier
	v_bitop3_b32 v62, vcc_lo, exec_lo, v62 bitop3:0x48
	v_mbcnt_lo_u32_b32 v184, v62, 0
	v_cmp_ne_u32_e64 s17, 0, v62
	s_delay_alu instid0(VALU_DEP_2) | instskip(SKIP_1) | instid1(SALU_CYCLE_1)
	v_cmp_eq_u32_e32 vcc_lo, 0, v184
	s_and_b32 s18, s17, vcc_lo
	s_and_saveexec_b32 s17, s18
	s_cbranch_execz .LBB1627_472
; %bb.471:                              ;   in Loop: Header=BB1627_410 Depth=2
	s_wait_dscnt 0x0
	v_bcnt_u32_b32 v62, v62, v183
	ds_store_b32 v188, v62 offset:544
.LBB1627_472:                           ;   in Loop: Header=BB1627_410 Depth=2
	s_or_b32 exec_lo, exec_lo, s17
	v_and_b32_e32 v62, 0xff, v147
	; wave barrier
	s_delay_alu instid0(VALU_DEP_1) | instskip(NEXT) | instid1(VALU_DEP_1)
	v_lshrrev_b32_e32 v62, s43, v62
	v_and_b32_e32 v63, s48, v62
	s_delay_alu instid0(VALU_DEP_1) | instskip(NEXT) | instid1(VALU_DEP_1)
	v_add_co_u32 v62, s17, v63, -1
	v_cndmask_b32_e64 v64, 0, 1, s17
	v_mad_u32_u24 v65, v63, 36, v114
	v_mul_u32_u24_e32 v63, 36, v63
	s_delay_alu instid0(VALU_DEP_3) | instskip(SKIP_3) | instid1(VALU_DEP_1)
	v_cmp_ne_u32_e32 vcc_lo, 0, v64
	ds_load_b32 v186, v65 offset:544
	v_add_nc_u32_e32 v191, v114, v63
	; wave barrier
	v_bitop3_b32 v62, vcc_lo, exec_lo, v62 bitop3:0x48
	v_mbcnt_lo_u32_b32 v187, v62, 0
	v_cmp_ne_u32_e64 s17, 0, v62
	s_delay_alu instid0(VALU_DEP_2) | instskip(SKIP_1) | instid1(SALU_CYCLE_1)
	v_cmp_eq_u32_e32 vcc_lo, 0, v187
	s_and_b32 s18, s17, vcc_lo
	s_and_saveexec_b32 s17, s18
	s_cbranch_execz .LBB1627_474
; %bb.473:                              ;   in Loop: Header=BB1627_410 Depth=2
	s_wait_dscnt 0x0
	v_bcnt_u32_b32 v62, v62, v186
	ds_store_b32 v191, v62 offset:544
.LBB1627_474:                           ;   in Loop: Header=BB1627_410 Depth=2
	s_or_b32 exec_lo, exec_lo, s17
	v_and_b32_e32 v62, 0xff, v148
	; wave barrier
	s_delay_alu instid0(VALU_DEP_1) | instskip(NEXT) | instid1(VALU_DEP_1)
	v_lshrrev_b32_e32 v62, s43, v62
	v_and_b32_e32 v63, s48, v62
	s_delay_alu instid0(VALU_DEP_1) | instskip(NEXT) | instid1(VALU_DEP_1)
	v_add_co_u32 v62, s17, v63, -1
	v_cndmask_b32_e64 v64, 0, 1, s17
	v_mad_u32_u24 v65, v63, 36, v114
	v_mul_u32_u24_e32 v63, 36, v63
	s_delay_alu instid0(VALU_DEP_3) | instskip(SKIP_3) | instid1(VALU_DEP_1)
	v_cmp_ne_u32_e32 vcc_lo, 0, v64
	ds_load_b32 v189, v65 offset:544
	v_add_nc_u32_e32 v194, v114, v63
	; wave barrier
	v_bitop3_b32 v62, vcc_lo, exec_lo, v62 bitop3:0x48
	v_mbcnt_lo_u32_b32 v190, v62, 0
	v_cmp_ne_u32_e64 s17, 0, v62
	s_delay_alu instid0(VALU_DEP_2) | instskip(SKIP_1) | instid1(SALU_CYCLE_1)
	v_cmp_eq_u32_e32 vcc_lo, 0, v190
	s_and_b32 s18, s17, vcc_lo
	s_and_saveexec_b32 s17, s18
	s_cbranch_execz .LBB1627_476
; %bb.475:                              ;   in Loop: Header=BB1627_410 Depth=2
	s_wait_dscnt 0x0
	v_bcnt_u32_b32 v62, v62, v189
	ds_store_b32 v194, v62 offset:544
.LBB1627_476:                           ;   in Loop: Header=BB1627_410 Depth=2
	s_or_b32 exec_lo, exec_lo, s17
	v_and_b32_e32 v62, 0xff, v149
	; wave barrier
	s_delay_alu instid0(VALU_DEP_1) | instskip(NEXT) | instid1(VALU_DEP_1)
	v_lshrrev_b32_e32 v62, s43, v62
	v_and_b32_e32 v63, s48, v62
	s_delay_alu instid0(VALU_DEP_1) | instskip(NEXT) | instid1(VALU_DEP_1)
	v_add_co_u32 v62, s17, v63, -1
	v_cndmask_b32_e64 v64, 0, 1, s17
	v_mad_u32_u24 v65, v63, 36, v114
	v_mul_u32_u24_e32 v63, 36, v63
	s_delay_alu instid0(VALU_DEP_3) | instskip(SKIP_3) | instid1(VALU_DEP_1)
	v_cmp_ne_u32_e32 vcc_lo, 0, v64
	ds_load_b32 v192, v65 offset:544
	v_add_nc_u32_e32 v197, v114, v63
	; wave barrier
	v_bitop3_b32 v62, vcc_lo, exec_lo, v62 bitop3:0x48
	v_mbcnt_lo_u32_b32 v193, v62, 0
	v_cmp_ne_u32_e64 s17, 0, v62
	s_delay_alu instid0(VALU_DEP_2) | instskip(SKIP_1) | instid1(SALU_CYCLE_1)
	v_cmp_eq_u32_e32 vcc_lo, 0, v193
	s_and_b32 s18, s17, vcc_lo
	s_and_saveexec_b32 s17, s18
	s_cbranch_execz .LBB1627_478
; %bb.477:                              ;   in Loop: Header=BB1627_410 Depth=2
	s_wait_dscnt 0x0
	v_bcnt_u32_b32 v62, v62, v192
	ds_store_b32 v197, v62 offset:544
.LBB1627_478:                           ;   in Loop: Header=BB1627_410 Depth=2
	s_or_b32 exec_lo, exec_lo, s17
	v_and_b32_e32 v62, 0xff, v150
	; wave barrier
	s_delay_alu instid0(VALU_DEP_1) | instskip(NEXT) | instid1(VALU_DEP_1)
	v_lshrrev_b32_e32 v62, s43, v62
	v_and_b32_e32 v63, s48, v62
	s_delay_alu instid0(VALU_DEP_1) | instskip(NEXT) | instid1(VALU_DEP_1)
	v_add_co_u32 v62, s17, v63, -1
	v_cndmask_b32_e64 v64, 0, 1, s17
	v_mad_u32_u24 v65, v63, 36, v114
	v_mul_u32_u24_e32 v63, 36, v63
	s_delay_alu instid0(VALU_DEP_3) | instskip(SKIP_3) | instid1(VALU_DEP_1)
	v_cmp_ne_u32_e32 vcc_lo, 0, v64
	ds_load_b32 v195, v65 offset:544
	v_add_nc_u32_e32 v200, v114, v63
	; wave barrier
	v_bitop3_b32 v62, vcc_lo, exec_lo, v62 bitop3:0x48
	v_mbcnt_lo_u32_b32 v196, v62, 0
	v_cmp_ne_u32_e64 s17, 0, v62
	s_delay_alu instid0(VALU_DEP_2) | instskip(SKIP_1) | instid1(SALU_CYCLE_1)
	v_cmp_eq_u32_e32 vcc_lo, 0, v196
	s_and_b32 s18, s17, vcc_lo
	s_and_saveexec_b32 s17, s18
	s_cbranch_execz .LBB1627_480
; %bb.479:                              ;   in Loop: Header=BB1627_410 Depth=2
	s_wait_dscnt 0x0
	v_bcnt_u32_b32 v62, v62, v195
	ds_store_b32 v200, v62 offset:544
.LBB1627_480:                           ;   in Loop: Header=BB1627_410 Depth=2
	s_or_b32 exec_lo, exec_lo, s17
	v_and_b32_e32 v62, 0xff, v151
	; wave barrier
	s_delay_alu instid0(VALU_DEP_1) | instskip(NEXT) | instid1(VALU_DEP_1)
	v_lshrrev_b32_e32 v62, s43, v62
	v_and_b32_e32 v63, s48, v62
	s_delay_alu instid0(VALU_DEP_1) | instskip(NEXT) | instid1(VALU_DEP_1)
	v_add_co_u32 v62, s17, v63, -1
	v_cndmask_b32_e64 v64, 0, 1, s17
	v_mad_u32_u24 v65, v63, 36, v114
	v_mul_u32_u24_e32 v63, 36, v63
	s_delay_alu instid0(VALU_DEP_3) | instskip(SKIP_3) | instid1(VALU_DEP_1)
	v_cmp_ne_u32_e32 vcc_lo, 0, v64
	ds_load_b32 v198, v65 offset:544
	v_add_nc_u32_e32 v201, v114, v63
	; wave barrier
	v_bitop3_b32 v62, vcc_lo, exec_lo, v62 bitop3:0x48
	v_mbcnt_lo_u32_b32 v199, v62, 0
	v_cmp_ne_u32_e64 s17, 0, v62
	s_delay_alu instid0(VALU_DEP_2) | instskip(SKIP_1) | instid1(SALU_CYCLE_1)
	v_cmp_eq_u32_e32 vcc_lo, 0, v199
	s_and_b32 s18, s17, vcc_lo
	s_and_saveexec_b32 s17, s18
	s_cbranch_execz .LBB1627_482
; %bb.481:                              ;   in Loop: Header=BB1627_410 Depth=2
	s_wait_dscnt 0x0
	v_bcnt_u32_b32 v62, v62, v198
	ds_store_b32 v201, v62 offset:544
.LBB1627_482:                           ;   in Loop: Header=BB1627_410 Depth=2
	s_or_b32 exec_lo, exec_lo, s17
	; wave barrier
	s_wait_dscnt 0x0
	s_barrier_signal -1
	s_barrier_wait -1
	ds_load_2addr_b32 v[64:65], v90 offset0:136 offset1:137
	ds_load_2addr_b32 v[62:63], v90 offset0:138 offset1:139
	ds_load_b32 v202, v90 offset:560
	s_wait_dscnt 0x1
	v_add3_u32 v203, v65, v64, v62
	s_wait_dscnt 0x0
	s_delay_alu instid0(VALU_DEP_1) | instskip(NEXT) | instid1(VALU_DEP_1)
	v_add3_u32 v202, v203, v63, v202
	v_mov_b32_dpp v203, v202 row_shr:1 row_mask:0xf bank_mask:0xf
	s_delay_alu instid0(VALU_DEP_1) | instskip(NEXT) | instid1(VALU_DEP_1)
	v_cndmask_b32_e64 v203, v203, 0, s8
	v_add_nc_u32_e32 v202, v203, v202
	s_delay_alu instid0(VALU_DEP_1) | instskip(NEXT) | instid1(VALU_DEP_1)
	v_mov_b32_dpp v203, v202 row_shr:2 row_mask:0xf bank_mask:0xf
	v_cndmask_b32_e64 v203, 0, v203, s9
	s_delay_alu instid0(VALU_DEP_1) | instskip(NEXT) | instid1(VALU_DEP_1)
	v_add_nc_u32_e32 v202, v202, v203
	v_mov_b32_dpp v203, v202 row_shr:4 row_mask:0xf bank_mask:0xf
	s_delay_alu instid0(VALU_DEP_1) | instskip(NEXT) | instid1(VALU_DEP_1)
	v_cndmask_b32_e64 v203, 0, v203, s10
	v_add_nc_u32_e32 v202, v202, v203
	s_delay_alu instid0(VALU_DEP_1) | instskip(NEXT) | instid1(VALU_DEP_1)
	v_mov_b32_dpp v203, v202 row_shr:8 row_mask:0xf bank_mask:0xf
	v_cndmask_b32_e64 v203, 0, v203, s11
	s_delay_alu instid0(VALU_DEP_1) | instskip(SKIP_3) | instid1(VALU_DEP_1)
	v_add_nc_u32_e32 v202, v202, v203
	ds_swizzle_b32 v203, v202 offset:swizzle(BROADCAST,32,15)
	s_wait_dscnt 0x0
	v_cndmask_b32_e64 v203, v203, 0, s12
	v_add_nc_u32_e32 v202, v202, v203
	s_and_saveexec_b32 s17, s2
; %bb.483:                              ;   in Loop: Header=BB1627_410 Depth=2
	ds_store_b32 v83, v202 offset:512
; %bb.484:                              ;   in Loop: Header=BB1627_410 Depth=2
	s_or_b32 exec_lo, exec_lo, s17
	s_wait_dscnt 0x0
	s_barrier_signal -1
	s_barrier_wait -1
	s_and_saveexec_b32 s17, s3
	s_cbranch_execz .LBB1627_486
; %bb.485:                              ;   in Loop: Header=BB1627_410 Depth=2
	ds_load_b32 v203, v92 offset:512
	s_wait_dscnt 0x0
	v_mov_b32_dpp v204, v203 row_shr:1 row_mask:0xf bank_mask:0xf
	s_delay_alu instid0(VALU_DEP_1) | instskip(NEXT) | instid1(VALU_DEP_1)
	v_cndmask_b32_e64 v204, v204, 0, s14
	v_add_nc_u32_e32 v203, v204, v203
	s_delay_alu instid0(VALU_DEP_1) | instskip(NEXT) | instid1(VALU_DEP_1)
	v_mov_b32_dpp v204, v203 row_shr:2 row_mask:0xf bank_mask:0xf
	v_cndmask_b32_e64 v204, 0, v204, s15
	s_delay_alu instid0(VALU_DEP_1) | instskip(NEXT) | instid1(VALU_DEP_1)
	v_add_nc_u32_e32 v203, v203, v204
	v_mov_b32_dpp v204, v203 row_shr:4 row_mask:0xf bank_mask:0xf
	s_delay_alu instid0(VALU_DEP_1) | instskip(NEXT) | instid1(VALU_DEP_1)
	v_cndmask_b32_e64 v204, 0, v204, s16
	v_add_nc_u32_e32 v203, v203, v204
	ds_store_b32 v92, v203 offset:512
.LBB1627_486:                           ;   in Loop: Header=BB1627_410 Depth=2
	s_or_b32 exec_lo, exec_lo, s17
	v_mov_b32_e32 v203, 0
	s_wait_dscnt 0x0
	s_barrier_signal -1
	s_barrier_wait -1
	s_and_saveexec_b32 s17, s5
; %bb.487:                              ;   in Loop: Header=BB1627_410 Depth=2
	ds_load_b32 v203, v83 offset:508
; %bb.488:                              ;   in Loop: Header=BB1627_410 Depth=2
	s_or_b32 exec_lo, exec_lo, s17
	s_wait_dscnt 0x0
	v_add_nc_u32_e32 v202, v203, v202
	ds_bpermute_b32 v202, v96, v202
	s_wait_dscnt 0x0
	v_cndmask_b32_e64 v202, v202, v203, s13
	s_delay_alu instid0(VALU_DEP_1) | instskip(NEXT) | instid1(VALU_DEP_1)
	v_cndmask_b32_e64 v202, v202, 0, s6
	v_add_nc_u32_e32 v64, v202, v64
	s_delay_alu instid0(VALU_DEP_1) | instskip(NEXT) | instid1(VALU_DEP_1)
	v_add_nc_u32_e32 v65, v64, v65
	v_add_nc_u32_e32 v62, v65, v62
	s_delay_alu instid0(VALU_DEP_1)
	v_add_nc_u32_e32 v63, v62, v63
	ds_store_2addr_b32 v90, v202, v64 offset0:136 offset1:137
	ds_store_2addr_b32 v90, v65, v62 offset0:138 offset1:139
	ds_store_b32 v90, v63 offset:560
	s_wait_dscnt 0x0
	s_barrier_signal -1
	s_barrier_wait -1
	ds_load_b32 v62, v155 offset:544
	ds_load_b32 v63, v158 offset:544
	;; [unrolled: 1-line block ×17, first 2 shown]
	s_and_saveexec_b32 s17, s0
	s_cbranch_execz .LBB1627_492
; %bb.489:                              ;   in Loop: Header=BB1627_410 Depth=2
	v_dual_mov_b32 v133, 0x1100 :: v_dual_add_nc_u32 v132, v92, v94
	ds_load_b32 v132, v132 offset:544
	s_and_saveexec_b32 s18, s7
; %bb.490:                              ;   in Loop: Header=BB1627_410 Depth=2
	ds_load_b32 v133, v93 offset:544
; %bb.491:                              ;   in Loop: Header=BB1627_410 Depth=2
	s_or_b32 exec_lo, exec_lo, s18
	s_wait_dscnt 0x0
	v_sub_nc_u32_e32 v133, v133, v132
.LBB1627_492:                           ;   in Loop: Header=BB1627_410 Depth=2
	s_or_b32 exec_lo, exec_lo, s17
	s_wait_dscnt 0x0
	s_barrier_signal -1
	s_barrier_wait -1
	s_and_saveexec_b32 s17, s0
	s_cbranch_execz .LBB1627_494
; %bb.493:                              ;   in Loop: Header=BB1627_410 Depth=2
	ds_load_b32 v161, v66
	s_wait_dscnt 0x0
	v_sub_nc_u32_e32 v161, v161, v132
	ds_store_b32 v66, v161
.LBB1627_494:                           ;   in Loop: Header=BB1627_410 Depth=2
	s_or_b32 exec_lo, exec_lo, s17
	v_add_nc_u32_e32 v166, v62, v152
	v_add3_u32 v165, v154, v153, v63
	v_add3_u32 v164, v157, v156, v64
	;; [unrolled: 1-line block ×16, first 2 shown]
	v_cmp_lt_u32_e32 vcc_lo, v2, v134
	ds_store_b8 v166, v135 offset:512
	ds_store_b8 v165, v136 offset:512
	;; [unrolled: 1-line block ×17, first 2 shown]
	s_wait_dscnt 0x0
	s_barrier_signal -1
	s_barrier_wait -1
	s_and_saveexec_b32 s17, vcc_lo
	s_cbranch_execnz .LBB1627_567
; %bb.495:                              ;   in Loop: Header=BB1627_410 Depth=2
	s_or_b32 exec_lo, exec_lo, s17
	v_cmp_lt_u32_e64 s17, v67, v134
	s_and_saveexec_b32 s18, s17
	s_cbranch_execnz .LBB1627_568
.LBB1627_496:                           ;   in Loop: Header=BB1627_410 Depth=2
	s_or_b32 exec_lo, exec_lo, s18
	v_cmp_lt_u32_e64 s18, v68, v134
	s_and_saveexec_b32 s19, s18
	s_cbranch_execnz .LBB1627_569
.LBB1627_497:                           ;   in Loop: Header=BB1627_410 Depth=2
	s_or_b32 exec_lo, exec_lo, s19
	v_cmp_lt_u32_e64 s19, v69, v134
	s_and_saveexec_b32 s20, s19
	s_cbranch_execnz .LBB1627_570
.LBB1627_498:                           ;   in Loop: Header=BB1627_410 Depth=2
	s_or_b32 exec_lo, exec_lo, s20
	v_cmp_lt_u32_e64 s20, v70, v134
	s_and_saveexec_b32 s21, s20
	s_cbranch_execnz .LBB1627_571
.LBB1627_499:                           ;   in Loop: Header=BB1627_410 Depth=2
	s_or_b32 exec_lo, exec_lo, s21
	v_cmp_lt_u32_e64 s21, v71, v134
	s_and_saveexec_b32 s22, s21
	s_cbranch_execnz .LBB1627_572
.LBB1627_500:                           ;   in Loop: Header=BB1627_410 Depth=2
	s_or_b32 exec_lo, exec_lo, s22
	v_cmp_lt_u32_e64 s22, v72, v134
	s_and_saveexec_b32 s23, s22
	s_cbranch_execnz .LBB1627_573
.LBB1627_501:                           ;   in Loop: Header=BB1627_410 Depth=2
	s_or_b32 exec_lo, exec_lo, s23
	v_cmp_lt_u32_e64 s23, v73, v134
	s_and_saveexec_b32 s24, s23
	s_cbranch_execnz .LBB1627_574
.LBB1627_502:                           ;   in Loop: Header=BB1627_410 Depth=2
	s_or_b32 exec_lo, exec_lo, s24
	v_cmp_lt_u32_e64 s24, v74, v134
	s_and_saveexec_b32 s25, s24
	s_cbranch_execnz .LBB1627_575
.LBB1627_503:                           ;   in Loop: Header=BB1627_410 Depth=2
	s_or_b32 exec_lo, exec_lo, s25
	v_cmp_lt_u32_e64 s25, v75, v134
	s_and_saveexec_b32 s26, s25
	s_cbranch_execnz .LBB1627_576
.LBB1627_504:                           ;   in Loop: Header=BB1627_410 Depth=2
	s_or_b32 exec_lo, exec_lo, s26
	v_cmp_lt_u32_e64 s26, v76, v134
	s_and_saveexec_b32 s27, s26
	s_cbranch_execnz .LBB1627_577
.LBB1627_505:                           ;   in Loop: Header=BB1627_410 Depth=2
	s_or_b32 exec_lo, exec_lo, s27
	v_cmp_lt_u32_e64 s27, v77, v134
	s_and_saveexec_b32 s28, s27
	s_cbranch_execnz .LBB1627_578
.LBB1627_506:                           ;   in Loop: Header=BB1627_410 Depth=2
	s_or_b32 exec_lo, exec_lo, s28
	v_cmp_lt_u32_e64 s28, v78, v134
	s_and_saveexec_b32 s29, s28
	s_cbranch_execnz .LBB1627_579
.LBB1627_507:                           ;   in Loop: Header=BB1627_410 Depth=2
	s_or_b32 exec_lo, exec_lo, s29
	v_cmp_lt_u32_e64 s29, v79, v134
	s_and_saveexec_b32 s30, s29
	s_cbranch_execnz .LBB1627_580
.LBB1627_508:                           ;   in Loop: Header=BB1627_410 Depth=2
	s_or_b32 exec_lo, exec_lo, s30
	v_cmp_lt_u32_e64 s30, v80, v134
	s_and_saveexec_b32 s31, s30
	s_cbranch_execnz .LBB1627_581
.LBB1627_509:                           ;   in Loop: Header=BB1627_410 Depth=2
	s_or_b32 exec_lo, exec_lo, s31
	v_cmp_lt_u32_e64 s31, v81, v134
	s_and_saveexec_b32 s33, s31
	s_cbranch_execnz .LBB1627_582
.LBB1627_510:                           ;   in Loop: Header=BB1627_410 Depth=2
	s_or_b32 exec_lo, exec_lo, s33
	v_cmp_lt_u32_e64 s33, v82, v134
	s_and_saveexec_b32 s60, s33
	s_cbranch_execz .LBB1627_512
.LBB1627_511:                           ;   in Loop: Header=BB1627_410 Depth=2
	ds_load_u8 v62, v2 offset:4608
	s_wait_dscnt 0x0
	v_and_b32_e32 v63, 1, v62
	s_delay_alu instid0(VALU_DEP_1) | instskip(NEXT) | instid1(VALU_DEP_1)
	v_lshrrev_b32_e32 v63, s43, v63
	v_and_b32_e32 v63, s48, v63
	s_delay_alu instid0(VALU_DEP_1)
	v_lshlrev_b32_e32 v63, 2, v63
	ds_load_b32 v63, v63
	s_wait_dscnt 0x0
	v_add_nc_u32_e32 v63, v63, v82
	global_store_b8 v63, v62, s[40:41]
.LBB1627_512:                           ;   in Loop: Header=BB1627_410 Depth=2
	s_wait_xcnt 0x0
	s_or_b32 exec_lo, exec_lo, s60
	v_lshl_add_u64 v[62:63], s[34:35], 3, v[24:25]
	v_cmp_lt_u32_e64 s34, v97, v134
	s_and_saveexec_b32 s60, s34
	s_delay_alu instid0(SALU_CYCLE_1)
	s_xor_b32 s34, exec_lo, s60
	s_cbranch_execnz .LBB1627_583
; %bb.513:                              ;   in Loop: Header=BB1627_410 Depth=2
	s_or_b32 exec_lo, exec_lo, s34
	s_delay_alu instid0(SALU_CYCLE_1)
	s_mov_b32 s60, exec_lo
	v_cmpx_lt_u32_e64 v98, v134
	s_cbranch_execnz .LBB1627_584
.LBB1627_514:                           ;   in Loop: Header=BB1627_410 Depth=2
	s_or_b32 exec_lo, exec_lo, s60
	s_delay_alu instid0(SALU_CYCLE_1)
	s_mov_b32 s60, exec_lo
	v_cmpx_lt_u32_e64 v99, v134
	s_cbranch_execnz .LBB1627_585
.LBB1627_515:                           ;   in Loop: Header=BB1627_410 Depth=2
	s_or_b32 exec_lo, exec_lo, s60
	s_delay_alu instid0(SALU_CYCLE_1)
	s_mov_b32 s60, exec_lo
	v_cmpx_lt_u32_e64 v100, v134
	s_cbranch_execnz .LBB1627_586
.LBB1627_516:                           ;   in Loop: Header=BB1627_410 Depth=2
	s_or_b32 exec_lo, exec_lo, s60
	s_delay_alu instid0(SALU_CYCLE_1)
	s_mov_b32 s60, exec_lo
	v_cmpx_lt_u32_e64 v101, v134
	s_cbranch_execnz .LBB1627_587
.LBB1627_517:                           ;   in Loop: Header=BB1627_410 Depth=2
	s_or_b32 exec_lo, exec_lo, s60
	s_delay_alu instid0(SALU_CYCLE_1)
	s_mov_b32 s60, exec_lo
	v_cmpx_lt_u32_e64 v102, v134
	s_cbranch_execnz .LBB1627_588
.LBB1627_518:                           ;   in Loop: Header=BB1627_410 Depth=2
	s_or_b32 exec_lo, exec_lo, s60
	s_delay_alu instid0(SALU_CYCLE_1)
	s_mov_b32 s60, exec_lo
	v_cmpx_lt_u32_e64 v103, v134
	s_cbranch_execnz .LBB1627_589
.LBB1627_519:                           ;   in Loop: Header=BB1627_410 Depth=2
	s_or_b32 exec_lo, exec_lo, s60
	s_delay_alu instid0(SALU_CYCLE_1)
	s_mov_b32 s60, exec_lo
	v_cmpx_lt_u32_e64 v104, v134
	s_cbranch_execnz .LBB1627_590
.LBB1627_520:                           ;   in Loop: Header=BB1627_410 Depth=2
	s_or_b32 exec_lo, exec_lo, s60
	s_delay_alu instid0(SALU_CYCLE_1)
	s_mov_b32 s60, exec_lo
	v_cmpx_lt_u32_e64 v105, v134
	s_cbranch_execnz .LBB1627_591
.LBB1627_521:                           ;   in Loop: Header=BB1627_410 Depth=2
	s_or_b32 exec_lo, exec_lo, s60
	s_delay_alu instid0(SALU_CYCLE_1)
	s_mov_b32 s60, exec_lo
	v_cmpx_lt_u32_e64 v106, v134
	s_cbranch_execnz .LBB1627_592
.LBB1627_522:                           ;   in Loop: Header=BB1627_410 Depth=2
	s_or_b32 exec_lo, exec_lo, s60
	s_delay_alu instid0(SALU_CYCLE_1)
	s_mov_b32 s60, exec_lo
	v_cmpx_lt_u32_e64 v107, v134
	s_cbranch_execnz .LBB1627_593
.LBB1627_523:                           ;   in Loop: Header=BB1627_410 Depth=2
	s_or_b32 exec_lo, exec_lo, s60
	s_delay_alu instid0(SALU_CYCLE_1)
	s_mov_b32 s60, exec_lo
	v_cmpx_lt_u32_e64 v108, v134
	s_cbranch_execnz .LBB1627_594
.LBB1627_524:                           ;   in Loop: Header=BB1627_410 Depth=2
	s_or_b32 exec_lo, exec_lo, s60
	s_delay_alu instid0(SALU_CYCLE_1)
	s_mov_b32 s60, exec_lo
	v_cmpx_lt_u32_e64 v109, v134
	s_cbranch_execnz .LBB1627_595
.LBB1627_525:                           ;   in Loop: Header=BB1627_410 Depth=2
	s_or_b32 exec_lo, exec_lo, s60
	s_delay_alu instid0(SALU_CYCLE_1)
	s_mov_b32 s60, exec_lo
	v_cmpx_lt_u32_e64 v110, v134
	s_cbranch_execnz .LBB1627_596
.LBB1627_526:                           ;   in Loop: Header=BB1627_410 Depth=2
	s_or_b32 exec_lo, exec_lo, s60
	s_delay_alu instid0(SALU_CYCLE_1)
	s_mov_b32 s60, exec_lo
	v_cmpx_lt_u32_e64 v111, v134
	s_cbranch_execnz .LBB1627_597
.LBB1627_527:                           ;   in Loop: Header=BB1627_410 Depth=2
	s_or_b32 exec_lo, exec_lo, s60
	s_delay_alu instid0(SALU_CYCLE_1)
	s_mov_b32 s60, exec_lo
	v_cmpx_lt_u32_e64 v112, v134
	s_cbranch_execnz .LBB1627_598
.LBB1627_528:                           ;   in Loop: Header=BB1627_410 Depth=2
	s_or_b32 exec_lo, exec_lo, s60
	s_delay_alu instid0(SALU_CYCLE_1)
	s_mov_b32 s60, exec_lo
	v_cmpx_lt_u32_e64 v113, v134
	s_cbranch_execnz .LBB1627_599
.LBB1627_529:                           ;   in Loop: Header=BB1627_410 Depth=2
	s_or_b32 exec_lo, exec_lo, s60
	s_and_saveexec_b32 s34, vcc_lo
	s_cbranch_execnz .LBB1627_600
.LBB1627_530:                           ;   in Loop: Header=BB1627_410 Depth=2
	s_or_b32 exec_lo, exec_lo, s34
	s_and_saveexec_b32 s34, s17
	s_cbranch_execnz .LBB1627_601
.LBB1627_531:                           ;   in Loop: Header=BB1627_410 Depth=2
	s_or_b32 exec_lo, exec_lo, s34
	s_and_saveexec_b32 s34, s18
	s_cbranch_execnz .LBB1627_602
.LBB1627_532:                           ;   in Loop: Header=BB1627_410 Depth=2
	s_or_b32 exec_lo, exec_lo, s34
	s_and_saveexec_b32 s34, s19
	s_cbranch_execnz .LBB1627_603
.LBB1627_533:                           ;   in Loop: Header=BB1627_410 Depth=2
	s_or_b32 exec_lo, exec_lo, s34
	s_and_saveexec_b32 s34, s20
	s_cbranch_execnz .LBB1627_604
.LBB1627_534:                           ;   in Loop: Header=BB1627_410 Depth=2
	s_or_b32 exec_lo, exec_lo, s34
	s_and_saveexec_b32 s34, s21
	s_cbranch_execnz .LBB1627_605
.LBB1627_535:                           ;   in Loop: Header=BB1627_410 Depth=2
	s_or_b32 exec_lo, exec_lo, s34
	s_and_saveexec_b32 s34, s22
	s_cbranch_execnz .LBB1627_606
.LBB1627_536:                           ;   in Loop: Header=BB1627_410 Depth=2
	s_or_b32 exec_lo, exec_lo, s34
	s_and_saveexec_b32 s34, s23
	s_cbranch_execnz .LBB1627_607
.LBB1627_537:                           ;   in Loop: Header=BB1627_410 Depth=2
	s_or_b32 exec_lo, exec_lo, s34
	s_and_saveexec_b32 s34, s24
	s_cbranch_execnz .LBB1627_608
.LBB1627_538:                           ;   in Loop: Header=BB1627_410 Depth=2
	s_or_b32 exec_lo, exec_lo, s34
	s_and_saveexec_b32 s34, s25
	s_cbranch_execnz .LBB1627_609
.LBB1627_539:                           ;   in Loop: Header=BB1627_410 Depth=2
	s_or_b32 exec_lo, exec_lo, s34
	s_and_saveexec_b32 s34, s26
	s_cbranch_execnz .LBB1627_610
.LBB1627_540:                           ;   in Loop: Header=BB1627_410 Depth=2
	s_or_b32 exec_lo, exec_lo, s34
	s_and_saveexec_b32 s34, s27
	s_cbranch_execnz .LBB1627_611
.LBB1627_541:                           ;   in Loop: Header=BB1627_410 Depth=2
	s_or_b32 exec_lo, exec_lo, s34
	s_and_saveexec_b32 s34, s28
	s_cbranch_execnz .LBB1627_612
.LBB1627_542:                           ;   in Loop: Header=BB1627_410 Depth=2
	s_or_b32 exec_lo, exec_lo, s34
	s_and_saveexec_b32 s34, s29
	s_cbranch_execnz .LBB1627_613
.LBB1627_543:                           ;   in Loop: Header=BB1627_410 Depth=2
	s_or_b32 exec_lo, exec_lo, s34
	s_and_saveexec_b32 s34, s30
	s_cbranch_execnz .LBB1627_614
.LBB1627_544:                           ;   in Loop: Header=BB1627_410 Depth=2
	s_or_b32 exec_lo, exec_lo, s34
	s_and_saveexec_b32 s34, s31
	s_cbranch_execnz .LBB1627_615
.LBB1627_545:                           ;   in Loop: Header=BB1627_410 Depth=2
	s_or_b32 exec_lo, exec_lo, s34
	s_and_saveexec_b32 s34, s33
	s_cbranch_execz .LBB1627_547
.LBB1627_546:                           ;   in Loop: Header=BB1627_410 Depth=2
	ds_load_u8 v62, v2 offset:4608
	s_wait_dscnt 0x0
	v_lshrrev_b32_e32 v62, s43, v62
	s_delay_alu instid0(VALU_DEP_1)
	v_and_b32_e32 v115, s48, v62
.LBB1627_547:                           ;   in Loop: Header=BB1627_410 Depth=2
	s_or_b32 exec_lo, exec_lo, s34
	v_dual_lshlrev_b32 v62, 3, v166 :: v_dual_lshlrev_b32 v63, 3, v165
	s_wait_loadcnt 0x0
	s_wait_storecnt 0x0
	s_barrier_signal -1
	s_barrier_wait -1
	ds_store_b64 v62, v[60:61] offset:512
	ds_store_b64 v63, v[58:59] offset:512
	v_dual_lshlrev_b32 v62, 3, v164 :: v_dual_lshlrev_b32 v63, 3, v163
	v_dual_lshlrev_b32 v134, 3, v162 :: v_dual_lshlrev_b32 v135, 3, v161
	v_lshlrev_b32_e32 v136, 3, v160
	ds_store_b64 v62, v[56:57] offset:512
	ds_store_b64 v63, v[54:55] offset:512
	ds_store_b64 v134, v[52:53] offset:512
	ds_store_b64 v135, v[50:51] offset:512
	ds_store_b64 v136, v[48:49] offset:512
	v_dual_lshlrev_b32 v62, 3, v159 :: v_dual_lshlrev_b32 v63, 3, v158
	v_dual_lshlrev_b32 v134, 3, v157 :: v_dual_lshlrev_b32 v135, 3, v156
	v_lshlrev_b32_e32 v136, 3, v155
	ds_store_b64 v62, v[46:47] offset:512
	ds_store_b64 v63, v[44:45] offset:512
	ds_store_b64 v134, v[42:43] offset:512
	;; [unrolled: 8-line block ×3, first 2 shown]
	ds_store_b64 v65, v[30:31] offset:512
	ds_store_b64 v64, v[28:29] offset:512
	s_wait_dscnt 0x0
	s_barrier_signal -1
	s_barrier_wait -1
	s_and_saveexec_b32 s34, vcc_lo
	s_cbranch_execnz .LBB1627_616
; %bb.548:                              ;   in Loop: Header=BB1627_410 Depth=2
	s_or_b32 exec_lo, exec_lo, s34
	s_and_saveexec_b32 s34, s17
	s_cbranch_execnz .LBB1627_617
.LBB1627_549:                           ;   in Loop: Header=BB1627_410 Depth=2
	s_or_b32 exec_lo, exec_lo, s34
	s_and_saveexec_b32 s17, s18
	s_cbranch_execnz .LBB1627_618
.LBB1627_550:                           ;   in Loop: Header=BB1627_410 Depth=2
	s_or_b32 exec_lo, exec_lo, s17
	s_and_saveexec_b32 s17, s19
	s_cbranch_execnz .LBB1627_619
.LBB1627_551:                           ;   in Loop: Header=BB1627_410 Depth=2
	s_or_b32 exec_lo, exec_lo, s17
	s_and_saveexec_b32 s17, s20
	s_cbranch_execnz .LBB1627_620
.LBB1627_552:                           ;   in Loop: Header=BB1627_410 Depth=2
	s_or_b32 exec_lo, exec_lo, s17
	s_and_saveexec_b32 s17, s21
	s_cbranch_execnz .LBB1627_621
.LBB1627_553:                           ;   in Loop: Header=BB1627_410 Depth=2
	s_or_b32 exec_lo, exec_lo, s17
	s_and_saveexec_b32 s17, s22
	s_cbranch_execnz .LBB1627_622
.LBB1627_554:                           ;   in Loop: Header=BB1627_410 Depth=2
	s_or_b32 exec_lo, exec_lo, s17
	s_and_saveexec_b32 s17, s23
	s_cbranch_execnz .LBB1627_623
.LBB1627_555:                           ;   in Loop: Header=BB1627_410 Depth=2
	s_or_b32 exec_lo, exec_lo, s17
	s_and_saveexec_b32 s17, s24
	s_cbranch_execnz .LBB1627_624
.LBB1627_556:                           ;   in Loop: Header=BB1627_410 Depth=2
	s_or_b32 exec_lo, exec_lo, s17
	s_and_saveexec_b32 s17, s25
	s_cbranch_execnz .LBB1627_625
.LBB1627_557:                           ;   in Loop: Header=BB1627_410 Depth=2
	s_or_b32 exec_lo, exec_lo, s17
	s_and_saveexec_b32 s17, s26
	s_cbranch_execnz .LBB1627_626
.LBB1627_558:                           ;   in Loop: Header=BB1627_410 Depth=2
	s_or_b32 exec_lo, exec_lo, s17
	s_and_saveexec_b32 s17, s27
	s_cbranch_execnz .LBB1627_627
.LBB1627_559:                           ;   in Loop: Header=BB1627_410 Depth=2
	s_or_b32 exec_lo, exec_lo, s17
	s_and_saveexec_b32 s17, s28
	s_cbranch_execnz .LBB1627_628
.LBB1627_560:                           ;   in Loop: Header=BB1627_410 Depth=2
	s_or_b32 exec_lo, exec_lo, s17
	s_and_saveexec_b32 s17, s29
	s_cbranch_execnz .LBB1627_629
.LBB1627_561:                           ;   in Loop: Header=BB1627_410 Depth=2
	s_or_b32 exec_lo, exec_lo, s17
	s_and_saveexec_b32 s17, s30
	s_cbranch_execnz .LBB1627_630
.LBB1627_562:                           ;   in Loop: Header=BB1627_410 Depth=2
	s_or_b32 exec_lo, exec_lo, s17
	s_and_saveexec_b32 s17, s31
	s_cbranch_execnz .LBB1627_631
.LBB1627_563:                           ;   in Loop: Header=BB1627_410 Depth=2
	s_or_b32 exec_lo, exec_lo, s17
	s_and_saveexec_b32 s17, s33
	s_cbranch_execz .LBB1627_565
.LBB1627_564:                           ;   in Loop: Header=BB1627_410 Depth=2
	v_lshlrev_b32_e32 v62, 2, v115
	v_add_nc_u32_e32 v63, v2, v95
	ds_load_b32 v64, v62
	ds_load_b64 v[62:63], v63 offset:33280
	s_wait_dscnt 0x1
	v_add_nc_u32_e32 v64, v64, v82
	s_wait_dscnt 0x0
	global_store_b64 v64, v[62:63], s[46:47] scale_offset
.LBB1627_565:                           ;   in Loop: Header=BB1627_410 Depth=2
	s_wait_xcnt 0x0
	s_or_b32 exec_lo, exec_lo, s17
	s_wait_storecnt 0x0
	s_barrier_signal -1
	s_barrier_wait -1
	s_and_saveexec_b32 s17, s0
	s_cbranch_execz .LBB1627_409
; %bb.566:                              ;   in Loop: Header=BB1627_410 Depth=2
	ds_load_b32 v62, v66
	s_wait_dscnt 0x0
	v_add3_u32 v62, v132, v133, v62
	ds_store_b32 v66, v62
	s_branch .LBB1627_409
.LBB1627_567:                           ;   in Loop: Header=BB1627_410 Depth=2
	ds_load_u8 v62, v2 offset:512
	s_wait_dscnt 0x0
	v_and_b32_e32 v63, 1, v62
	s_delay_alu instid0(VALU_DEP_1) | instskip(NEXT) | instid1(VALU_DEP_1)
	v_lshrrev_b32_e32 v63, s43, v63
	v_and_b32_e32 v63, s48, v63
	s_delay_alu instid0(VALU_DEP_1)
	v_lshlrev_b32_e32 v63, 2, v63
	ds_load_b32 v63, v63
	s_wait_dscnt 0x0
	v_add_nc_u32_e32 v63, v63, v2
	global_store_b8 v63, v62, s[40:41]
	s_wait_xcnt 0x0
	s_or_b32 exec_lo, exec_lo, s17
	v_cmp_lt_u32_e64 s17, v67, v134
	s_and_saveexec_b32 s18, s17
	s_cbranch_execz .LBB1627_496
.LBB1627_568:                           ;   in Loop: Header=BB1627_410 Depth=2
	ds_load_u8 v62, v2 offset:768
	s_wait_dscnt 0x0
	v_and_b32_e32 v63, 1, v62
	s_delay_alu instid0(VALU_DEP_1) | instskip(NEXT) | instid1(VALU_DEP_1)
	v_lshrrev_b32_e32 v63, s43, v63
	v_and_b32_e32 v63, s48, v63
	s_delay_alu instid0(VALU_DEP_1)
	v_lshlrev_b32_e32 v63, 2, v63
	ds_load_b32 v63, v63
	s_wait_dscnt 0x0
	v_add_nc_u32_e32 v63, v63, v67
	global_store_b8 v63, v62, s[40:41]
	s_wait_xcnt 0x0
	s_or_b32 exec_lo, exec_lo, s18
	v_cmp_lt_u32_e64 s18, v68, v134
	s_and_saveexec_b32 s19, s18
	s_cbranch_execz .LBB1627_497
.LBB1627_569:                           ;   in Loop: Header=BB1627_410 Depth=2
	ds_load_u8 v62, v2 offset:1024
	s_wait_dscnt 0x0
	v_and_b32_e32 v63, 1, v62
	s_delay_alu instid0(VALU_DEP_1) | instskip(NEXT) | instid1(VALU_DEP_1)
	v_lshrrev_b32_e32 v63, s43, v63
	v_and_b32_e32 v63, s48, v63
	s_delay_alu instid0(VALU_DEP_1)
	v_lshlrev_b32_e32 v63, 2, v63
	ds_load_b32 v63, v63
	s_wait_dscnt 0x0
	v_add_nc_u32_e32 v63, v63, v68
	global_store_b8 v63, v62, s[40:41]
	s_wait_xcnt 0x0
	s_or_b32 exec_lo, exec_lo, s19
	v_cmp_lt_u32_e64 s19, v69, v134
	s_and_saveexec_b32 s20, s19
	s_cbranch_execz .LBB1627_498
.LBB1627_570:                           ;   in Loop: Header=BB1627_410 Depth=2
	ds_load_u8 v62, v2 offset:1280
	s_wait_dscnt 0x0
	v_and_b32_e32 v63, 1, v62
	s_delay_alu instid0(VALU_DEP_1) | instskip(NEXT) | instid1(VALU_DEP_1)
	v_lshrrev_b32_e32 v63, s43, v63
	v_and_b32_e32 v63, s48, v63
	s_delay_alu instid0(VALU_DEP_1)
	v_lshlrev_b32_e32 v63, 2, v63
	ds_load_b32 v63, v63
	s_wait_dscnt 0x0
	v_add_nc_u32_e32 v63, v63, v69
	global_store_b8 v63, v62, s[40:41]
	s_wait_xcnt 0x0
	s_or_b32 exec_lo, exec_lo, s20
	v_cmp_lt_u32_e64 s20, v70, v134
	s_and_saveexec_b32 s21, s20
	s_cbranch_execz .LBB1627_499
.LBB1627_571:                           ;   in Loop: Header=BB1627_410 Depth=2
	ds_load_u8 v62, v2 offset:1536
	s_wait_dscnt 0x0
	v_and_b32_e32 v63, 1, v62
	s_delay_alu instid0(VALU_DEP_1) | instskip(NEXT) | instid1(VALU_DEP_1)
	v_lshrrev_b32_e32 v63, s43, v63
	v_and_b32_e32 v63, s48, v63
	s_delay_alu instid0(VALU_DEP_1)
	v_lshlrev_b32_e32 v63, 2, v63
	ds_load_b32 v63, v63
	s_wait_dscnt 0x0
	v_add_nc_u32_e32 v63, v63, v70
	global_store_b8 v63, v62, s[40:41]
	s_wait_xcnt 0x0
	s_or_b32 exec_lo, exec_lo, s21
	v_cmp_lt_u32_e64 s21, v71, v134
	s_and_saveexec_b32 s22, s21
	s_cbranch_execz .LBB1627_500
.LBB1627_572:                           ;   in Loop: Header=BB1627_410 Depth=2
	ds_load_u8 v62, v2 offset:1792
	s_wait_dscnt 0x0
	v_and_b32_e32 v63, 1, v62
	s_delay_alu instid0(VALU_DEP_1) | instskip(NEXT) | instid1(VALU_DEP_1)
	v_lshrrev_b32_e32 v63, s43, v63
	v_and_b32_e32 v63, s48, v63
	s_delay_alu instid0(VALU_DEP_1)
	v_lshlrev_b32_e32 v63, 2, v63
	ds_load_b32 v63, v63
	s_wait_dscnt 0x0
	v_add_nc_u32_e32 v63, v63, v71
	global_store_b8 v63, v62, s[40:41]
	s_wait_xcnt 0x0
	s_or_b32 exec_lo, exec_lo, s22
	v_cmp_lt_u32_e64 s22, v72, v134
	s_and_saveexec_b32 s23, s22
	s_cbranch_execz .LBB1627_501
.LBB1627_573:                           ;   in Loop: Header=BB1627_410 Depth=2
	ds_load_u8 v62, v2 offset:2048
	s_wait_dscnt 0x0
	v_and_b32_e32 v63, 1, v62
	s_delay_alu instid0(VALU_DEP_1) | instskip(NEXT) | instid1(VALU_DEP_1)
	v_lshrrev_b32_e32 v63, s43, v63
	v_and_b32_e32 v63, s48, v63
	s_delay_alu instid0(VALU_DEP_1)
	v_lshlrev_b32_e32 v63, 2, v63
	ds_load_b32 v63, v63
	s_wait_dscnt 0x0
	v_add_nc_u32_e32 v63, v63, v72
	global_store_b8 v63, v62, s[40:41]
	s_wait_xcnt 0x0
	s_or_b32 exec_lo, exec_lo, s23
	v_cmp_lt_u32_e64 s23, v73, v134
	s_and_saveexec_b32 s24, s23
	s_cbranch_execz .LBB1627_502
.LBB1627_574:                           ;   in Loop: Header=BB1627_410 Depth=2
	ds_load_u8 v62, v2 offset:2304
	s_wait_dscnt 0x0
	v_and_b32_e32 v63, 1, v62
	s_delay_alu instid0(VALU_DEP_1) | instskip(NEXT) | instid1(VALU_DEP_1)
	v_lshrrev_b32_e32 v63, s43, v63
	v_and_b32_e32 v63, s48, v63
	s_delay_alu instid0(VALU_DEP_1)
	v_lshlrev_b32_e32 v63, 2, v63
	ds_load_b32 v63, v63
	s_wait_dscnt 0x0
	v_add_nc_u32_e32 v63, v63, v73
	global_store_b8 v63, v62, s[40:41]
	s_wait_xcnt 0x0
	s_or_b32 exec_lo, exec_lo, s24
	v_cmp_lt_u32_e64 s24, v74, v134
	s_and_saveexec_b32 s25, s24
	s_cbranch_execz .LBB1627_503
.LBB1627_575:                           ;   in Loop: Header=BB1627_410 Depth=2
	ds_load_u8 v62, v2 offset:2560
	s_wait_dscnt 0x0
	v_and_b32_e32 v63, 1, v62
	s_delay_alu instid0(VALU_DEP_1) | instskip(NEXT) | instid1(VALU_DEP_1)
	v_lshrrev_b32_e32 v63, s43, v63
	v_and_b32_e32 v63, s48, v63
	s_delay_alu instid0(VALU_DEP_1)
	v_lshlrev_b32_e32 v63, 2, v63
	ds_load_b32 v63, v63
	s_wait_dscnt 0x0
	v_add_nc_u32_e32 v63, v63, v74
	global_store_b8 v63, v62, s[40:41]
	s_wait_xcnt 0x0
	s_or_b32 exec_lo, exec_lo, s25
	v_cmp_lt_u32_e64 s25, v75, v134
	s_and_saveexec_b32 s26, s25
	s_cbranch_execz .LBB1627_504
.LBB1627_576:                           ;   in Loop: Header=BB1627_410 Depth=2
	ds_load_u8 v62, v2 offset:2816
	s_wait_dscnt 0x0
	v_and_b32_e32 v63, 1, v62
	s_delay_alu instid0(VALU_DEP_1) | instskip(NEXT) | instid1(VALU_DEP_1)
	v_lshrrev_b32_e32 v63, s43, v63
	v_and_b32_e32 v63, s48, v63
	s_delay_alu instid0(VALU_DEP_1)
	v_lshlrev_b32_e32 v63, 2, v63
	ds_load_b32 v63, v63
	s_wait_dscnt 0x0
	v_add_nc_u32_e32 v63, v63, v75
	global_store_b8 v63, v62, s[40:41]
	s_wait_xcnt 0x0
	s_or_b32 exec_lo, exec_lo, s26
	v_cmp_lt_u32_e64 s26, v76, v134
	s_and_saveexec_b32 s27, s26
	s_cbranch_execz .LBB1627_505
.LBB1627_577:                           ;   in Loop: Header=BB1627_410 Depth=2
	ds_load_u8 v62, v2 offset:3072
	s_wait_dscnt 0x0
	v_and_b32_e32 v63, 1, v62
	s_delay_alu instid0(VALU_DEP_1) | instskip(NEXT) | instid1(VALU_DEP_1)
	v_lshrrev_b32_e32 v63, s43, v63
	v_and_b32_e32 v63, s48, v63
	s_delay_alu instid0(VALU_DEP_1)
	v_lshlrev_b32_e32 v63, 2, v63
	ds_load_b32 v63, v63
	s_wait_dscnt 0x0
	v_add_nc_u32_e32 v63, v63, v76
	global_store_b8 v63, v62, s[40:41]
	s_wait_xcnt 0x0
	s_or_b32 exec_lo, exec_lo, s27
	v_cmp_lt_u32_e64 s27, v77, v134
	s_and_saveexec_b32 s28, s27
	s_cbranch_execz .LBB1627_506
.LBB1627_578:                           ;   in Loop: Header=BB1627_410 Depth=2
	ds_load_u8 v62, v2 offset:3328
	s_wait_dscnt 0x0
	v_and_b32_e32 v63, 1, v62
	s_delay_alu instid0(VALU_DEP_1) | instskip(NEXT) | instid1(VALU_DEP_1)
	v_lshrrev_b32_e32 v63, s43, v63
	v_and_b32_e32 v63, s48, v63
	s_delay_alu instid0(VALU_DEP_1)
	v_lshlrev_b32_e32 v63, 2, v63
	ds_load_b32 v63, v63
	s_wait_dscnt 0x0
	v_add_nc_u32_e32 v63, v63, v77
	global_store_b8 v63, v62, s[40:41]
	s_wait_xcnt 0x0
	s_or_b32 exec_lo, exec_lo, s28
	v_cmp_lt_u32_e64 s28, v78, v134
	s_and_saveexec_b32 s29, s28
	s_cbranch_execz .LBB1627_507
.LBB1627_579:                           ;   in Loop: Header=BB1627_410 Depth=2
	ds_load_u8 v62, v2 offset:3584
	s_wait_dscnt 0x0
	v_and_b32_e32 v63, 1, v62
	s_delay_alu instid0(VALU_DEP_1) | instskip(NEXT) | instid1(VALU_DEP_1)
	v_lshrrev_b32_e32 v63, s43, v63
	v_and_b32_e32 v63, s48, v63
	s_delay_alu instid0(VALU_DEP_1)
	v_lshlrev_b32_e32 v63, 2, v63
	ds_load_b32 v63, v63
	s_wait_dscnt 0x0
	v_add_nc_u32_e32 v63, v63, v78
	global_store_b8 v63, v62, s[40:41]
	s_wait_xcnt 0x0
	s_or_b32 exec_lo, exec_lo, s29
	v_cmp_lt_u32_e64 s29, v79, v134
	s_and_saveexec_b32 s30, s29
	s_cbranch_execz .LBB1627_508
.LBB1627_580:                           ;   in Loop: Header=BB1627_410 Depth=2
	ds_load_u8 v62, v2 offset:3840
	s_wait_dscnt 0x0
	v_and_b32_e32 v63, 1, v62
	s_delay_alu instid0(VALU_DEP_1) | instskip(NEXT) | instid1(VALU_DEP_1)
	v_lshrrev_b32_e32 v63, s43, v63
	v_and_b32_e32 v63, s48, v63
	s_delay_alu instid0(VALU_DEP_1)
	v_lshlrev_b32_e32 v63, 2, v63
	ds_load_b32 v63, v63
	s_wait_dscnt 0x0
	v_add_nc_u32_e32 v63, v63, v79
	global_store_b8 v63, v62, s[40:41]
	s_wait_xcnt 0x0
	s_or_b32 exec_lo, exec_lo, s30
	v_cmp_lt_u32_e64 s30, v80, v134
	s_and_saveexec_b32 s31, s30
	s_cbranch_execz .LBB1627_509
.LBB1627_581:                           ;   in Loop: Header=BB1627_410 Depth=2
	ds_load_u8 v62, v2 offset:4096
	s_wait_dscnt 0x0
	v_and_b32_e32 v63, 1, v62
	s_delay_alu instid0(VALU_DEP_1) | instskip(NEXT) | instid1(VALU_DEP_1)
	v_lshrrev_b32_e32 v63, s43, v63
	v_and_b32_e32 v63, s48, v63
	s_delay_alu instid0(VALU_DEP_1)
	v_lshlrev_b32_e32 v63, 2, v63
	ds_load_b32 v63, v63
	s_wait_dscnt 0x0
	v_add_nc_u32_e32 v63, v63, v80
	global_store_b8 v63, v62, s[40:41]
	s_wait_xcnt 0x0
	s_or_b32 exec_lo, exec_lo, s31
	v_cmp_lt_u32_e64 s31, v81, v134
	s_and_saveexec_b32 s33, s31
	s_cbranch_execz .LBB1627_510
.LBB1627_582:                           ;   in Loop: Header=BB1627_410 Depth=2
	ds_load_u8 v62, v2 offset:4352
	s_wait_dscnt 0x0
	v_and_b32_e32 v63, 1, v62
	s_delay_alu instid0(VALU_DEP_1) | instskip(NEXT) | instid1(VALU_DEP_1)
	v_lshrrev_b32_e32 v63, s43, v63
	v_and_b32_e32 v63, s48, v63
	s_delay_alu instid0(VALU_DEP_1)
	v_lshlrev_b32_e32 v63, 2, v63
	ds_load_b32 v63, v63
	s_wait_dscnt 0x0
	v_add_nc_u32_e32 v63, v63, v81
	global_store_b8 v63, v62, s[40:41]
	s_wait_xcnt 0x0
	s_or_b32 exec_lo, exec_lo, s33
	v_cmp_lt_u32_e64 s33, v82, v134
	s_and_saveexec_b32 s60, s33
	s_cbranch_execnz .LBB1627_511
	s_branch .LBB1627_512
.LBB1627_583:                           ;   in Loop: Header=BB1627_410 Depth=2
	global_load_b64 v[60:61], v[62:63], off
	s_wait_xcnt 0x0
	s_or_b32 exec_lo, exec_lo, s34
	s_delay_alu instid0(SALU_CYCLE_1)
	s_mov_b32 s60, exec_lo
	v_cmpx_lt_u32_e64 v98, v134
	s_cbranch_execz .LBB1627_514
.LBB1627_584:                           ;   in Loop: Header=BB1627_410 Depth=2
	global_load_b64 v[58:59], v[62:63], off offset:256
	s_wait_xcnt 0x0
	s_or_b32 exec_lo, exec_lo, s60
	s_delay_alu instid0(SALU_CYCLE_1)
	s_mov_b32 s60, exec_lo
	v_cmpx_lt_u32_e64 v99, v134
	s_cbranch_execz .LBB1627_515
.LBB1627_585:                           ;   in Loop: Header=BB1627_410 Depth=2
	global_load_b64 v[56:57], v[62:63], off offset:512
	s_wait_xcnt 0x0
	s_or_b32 exec_lo, exec_lo, s60
	s_delay_alu instid0(SALU_CYCLE_1)
	s_mov_b32 s60, exec_lo
	v_cmpx_lt_u32_e64 v100, v134
	s_cbranch_execz .LBB1627_516
.LBB1627_586:                           ;   in Loop: Header=BB1627_410 Depth=2
	global_load_b64 v[54:55], v[62:63], off offset:768
	s_wait_xcnt 0x0
	s_or_b32 exec_lo, exec_lo, s60
	s_delay_alu instid0(SALU_CYCLE_1)
	s_mov_b32 s60, exec_lo
	v_cmpx_lt_u32_e64 v101, v134
	s_cbranch_execz .LBB1627_517
.LBB1627_587:                           ;   in Loop: Header=BB1627_410 Depth=2
	global_load_b64 v[52:53], v[62:63], off offset:1024
	s_wait_xcnt 0x0
	s_or_b32 exec_lo, exec_lo, s60
	s_delay_alu instid0(SALU_CYCLE_1)
	s_mov_b32 s60, exec_lo
	v_cmpx_lt_u32_e64 v102, v134
	s_cbranch_execz .LBB1627_518
.LBB1627_588:                           ;   in Loop: Header=BB1627_410 Depth=2
	global_load_b64 v[50:51], v[62:63], off offset:1280
	s_wait_xcnt 0x0
	s_or_b32 exec_lo, exec_lo, s60
	s_delay_alu instid0(SALU_CYCLE_1)
	s_mov_b32 s60, exec_lo
	v_cmpx_lt_u32_e64 v103, v134
	s_cbranch_execz .LBB1627_519
.LBB1627_589:                           ;   in Loop: Header=BB1627_410 Depth=2
	global_load_b64 v[48:49], v[62:63], off offset:1536
	s_wait_xcnt 0x0
	s_or_b32 exec_lo, exec_lo, s60
	s_delay_alu instid0(SALU_CYCLE_1)
	s_mov_b32 s60, exec_lo
	v_cmpx_lt_u32_e64 v104, v134
	s_cbranch_execz .LBB1627_520
.LBB1627_590:                           ;   in Loop: Header=BB1627_410 Depth=2
	global_load_b64 v[46:47], v[62:63], off offset:1792
	s_wait_xcnt 0x0
	s_or_b32 exec_lo, exec_lo, s60
	s_delay_alu instid0(SALU_CYCLE_1)
	s_mov_b32 s60, exec_lo
	v_cmpx_lt_u32_e64 v105, v134
	s_cbranch_execz .LBB1627_521
.LBB1627_591:                           ;   in Loop: Header=BB1627_410 Depth=2
	global_load_b64 v[44:45], v[62:63], off offset:2048
	s_wait_xcnt 0x0
	s_or_b32 exec_lo, exec_lo, s60
	s_delay_alu instid0(SALU_CYCLE_1)
	s_mov_b32 s60, exec_lo
	v_cmpx_lt_u32_e64 v106, v134
	s_cbranch_execz .LBB1627_522
.LBB1627_592:                           ;   in Loop: Header=BB1627_410 Depth=2
	global_load_b64 v[42:43], v[62:63], off offset:2304
	s_wait_xcnt 0x0
	s_or_b32 exec_lo, exec_lo, s60
	s_delay_alu instid0(SALU_CYCLE_1)
	s_mov_b32 s60, exec_lo
	v_cmpx_lt_u32_e64 v107, v134
	s_cbranch_execz .LBB1627_523
.LBB1627_593:                           ;   in Loop: Header=BB1627_410 Depth=2
	global_load_b64 v[40:41], v[62:63], off offset:2560
	s_wait_xcnt 0x0
	s_or_b32 exec_lo, exec_lo, s60
	s_delay_alu instid0(SALU_CYCLE_1)
	s_mov_b32 s60, exec_lo
	v_cmpx_lt_u32_e64 v108, v134
	s_cbranch_execz .LBB1627_524
.LBB1627_594:                           ;   in Loop: Header=BB1627_410 Depth=2
	global_load_b64 v[38:39], v[62:63], off offset:2816
	s_wait_xcnt 0x0
	s_or_b32 exec_lo, exec_lo, s60
	s_delay_alu instid0(SALU_CYCLE_1)
	s_mov_b32 s60, exec_lo
	v_cmpx_lt_u32_e64 v109, v134
	s_cbranch_execz .LBB1627_525
.LBB1627_595:                           ;   in Loop: Header=BB1627_410 Depth=2
	global_load_b64 v[36:37], v[62:63], off offset:3072
	s_wait_xcnt 0x0
	s_or_b32 exec_lo, exec_lo, s60
	s_delay_alu instid0(SALU_CYCLE_1)
	s_mov_b32 s60, exec_lo
	v_cmpx_lt_u32_e64 v110, v134
	s_cbranch_execz .LBB1627_526
.LBB1627_596:                           ;   in Loop: Header=BB1627_410 Depth=2
	global_load_b64 v[34:35], v[62:63], off offset:3328
	s_wait_xcnt 0x0
	s_or_b32 exec_lo, exec_lo, s60
	s_delay_alu instid0(SALU_CYCLE_1)
	s_mov_b32 s60, exec_lo
	v_cmpx_lt_u32_e64 v111, v134
	s_cbranch_execz .LBB1627_527
.LBB1627_597:                           ;   in Loop: Header=BB1627_410 Depth=2
	global_load_b64 v[32:33], v[62:63], off offset:3584
	s_wait_xcnt 0x0
	s_or_b32 exec_lo, exec_lo, s60
	s_delay_alu instid0(SALU_CYCLE_1)
	s_mov_b32 s60, exec_lo
	v_cmpx_lt_u32_e64 v112, v134
	s_cbranch_execz .LBB1627_528
.LBB1627_598:                           ;   in Loop: Header=BB1627_410 Depth=2
	global_load_b64 v[30:31], v[62:63], off offset:3840
	s_wait_xcnt 0x0
	s_or_b32 exec_lo, exec_lo, s60
	s_delay_alu instid0(SALU_CYCLE_1)
	s_mov_b32 s60, exec_lo
	v_cmpx_lt_u32_e64 v113, v134
	s_cbranch_execz .LBB1627_529
.LBB1627_599:                           ;   in Loop: Header=BB1627_410 Depth=2
	global_load_b64 v[28:29], v[62:63], off offset:4096
	s_wait_xcnt 0x0
	s_or_b32 exec_lo, exec_lo, s60
	s_and_saveexec_b32 s34, vcc_lo
	s_cbranch_execz .LBB1627_530
.LBB1627_600:                           ;   in Loop: Header=BB1627_410 Depth=2
	ds_load_u8 v62, v2 offset:512
	s_wait_dscnt 0x0
	v_lshrrev_b32_e32 v62, s43, v62
	s_delay_alu instid0(VALU_DEP_1)
	v_and_b32_e32 v131, s48, v62
	s_or_b32 exec_lo, exec_lo, s34
	s_and_saveexec_b32 s34, s17
	s_cbranch_execz .LBB1627_531
.LBB1627_601:                           ;   in Loop: Header=BB1627_410 Depth=2
	ds_load_u8 v62, v2 offset:768
	s_wait_dscnt 0x0
	v_lshrrev_b32_e32 v62, s43, v62
	s_delay_alu instid0(VALU_DEP_1)
	v_and_b32_e32 v130, s48, v62
	s_or_b32 exec_lo, exec_lo, s34
	s_and_saveexec_b32 s34, s18
	s_cbranch_execz .LBB1627_532
.LBB1627_602:                           ;   in Loop: Header=BB1627_410 Depth=2
	ds_load_u8 v62, v2 offset:1024
	s_wait_dscnt 0x0
	v_lshrrev_b32_e32 v62, s43, v62
	s_delay_alu instid0(VALU_DEP_1)
	v_and_b32_e32 v129, s48, v62
	s_or_b32 exec_lo, exec_lo, s34
	s_and_saveexec_b32 s34, s19
	s_cbranch_execz .LBB1627_533
.LBB1627_603:                           ;   in Loop: Header=BB1627_410 Depth=2
	ds_load_u8 v62, v2 offset:1280
	s_wait_dscnt 0x0
	v_lshrrev_b32_e32 v62, s43, v62
	s_delay_alu instid0(VALU_DEP_1)
	v_and_b32_e32 v128, s48, v62
	s_or_b32 exec_lo, exec_lo, s34
	s_and_saveexec_b32 s34, s20
	s_cbranch_execz .LBB1627_534
.LBB1627_604:                           ;   in Loop: Header=BB1627_410 Depth=2
	ds_load_u8 v62, v2 offset:1536
	s_wait_dscnt 0x0
	v_lshrrev_b32_e32 v62, s43, v62
	s_delay_alu instid0(VALU_DEP_1)
	v_and_b32_e32 v127, s48, v62
	s_or_b32 exec_lo, exec_lo, s34
	s_and_saveexec_b32 s34, s21
	s_cbranch_execz .LBB1627_535
.LBB1627_605:                           ;   in Loop: Header=BB1627_410 Depth=2
	ds_load_u8 v62, v2 offset:1792
	s_wait_dscnt 0x0
	v_lshrrev_b32_e32 v62, s43, v62
	s_delay_alu instid0(VALU_DEP_1)
	v_and_b32_e32 v126, s48, v62
	s_or_b32 exec_lo, exec_lo, s34
	s_and_saveexec_b32 s34, s22
	s_cbranch_execz .LBB1627_536
.LBB1627_606:                           ;   in Loop: Header=BB1627_410 Depth=2
	ds_load_u8 v62, v2 offset:2048
	s_wait_dscnt 0x0
	v_lshrrev_b32_e32 v62, s43, v62
	s_delay_alu instid0(VALU_DEP_1)
	v_and_b32_e32 v125, s48, v62
	s_or_b32 exec_lo, exec_lo, s34
	s_and_saveexec_b32 s34, s23
	s_cbranch_execz .LBB1627_537
.LBB1627_607:                           ;   in Loop: Header=BB1627_410 Depth=2
	ds_load_u8 v62, v2 offset:2304
	s_wait_dscnt 0x0
	v_lshrrev_b32_e32 v62, s43, v62
	s_delay_alu instid0(VALU_DEP_1)
	v_and_b32_e32 v124, s48, v62
	s_or_b32 exec_lo, exec_lo, s34
	s_and_saveexec_b32 s34, s24
	s_cbranch_execz .LBB1627_538
.LBB1627_608:                           ;   in Loop: Header=BB1627_410 Depth=2
	ds_load_u8 v62, v2 offset:2560
	s_wait_dscnt 0x0
	v_lshrrev_b32_e32 v62, s43, v62
	s_delay_alu instid0(VALU_DEP_1)
	v_and_b32_e32 v123, s48, v62
	s_or_b32 exec_lo, exec_lo, s34
	s_and_saveexec_b32 s34, s25
	s_cbranch_execz .LBB1627_539
.LBB1627_609:                           ;   in Loop: Header=BB1627_410 Depth=2
	ds_load_u8 v62, v2 offset:2816
	s_wait_dscnt 0x0
	v_lshrrev_b32_e32 v62, s43, v62
	s_delay_alu instid0(VALU_DEP_1)
	v_and_b32_e32 v122, s48, v62
	s_or_b32 exec_lo, exec_lo, s34
	s_and_saveexec_b32 s34, s26
	s_cbranch_execz .LBB1627_540
.LBB1627_610:                           ;   in Loop: Header=BB1627_410 Depth=2
	ds_load_u8 v62, v2 offset:3072
	s_wait_dscnt 0x0
	v_lshrrev_b32_e32 v62, s43, v62
	s_delay_alu instid0(VALU_DEP_1)
	v_and_b32_e32 v121, s48, v62
	s_or_b32 exec_lo, exec_lo, s34
	s_and_saveexec_b32 s34, s27
	s_cbranch_execz .LBB1627_541
.LBB1627_611:                           ;   in Loop: Header=BB1627_410 Depth=2
	ds_load_u8 v62, v2 offset:3328
	s_wait_dscnt 0x0
	v_lshrrev_b32_e32 v62, s43, v62
	s_delay_alu instid0(VALU_DEP_1)
	v_and_b32_e32 v120, s48, v62
	s_or_b32 exec_lo, exec_lo, s34
	s_and_saveexec_b32 s34, s28
	s_cbranch_execz .LBB1627_542
.LBB1627_612:                           ;   in Loop: Header=BB1627_410 Depth=2
	ds_load_u8 v62, v2 offset:3584
	s_wait_dscnt 0x0
	v_lshrrev_b32_e32 v62, s43, v62
	s_delay_alu instid0(VALU_DEP_1)
	v_and_b32_e32 v119, s48, v62
	s_or_b32 exec_lo, exec_lo, s34
	s_and_saveexec_b32 s34, s29
	s_cbranch_execz .LBB1627_543
.LBB1627_613:                           ;   in Loop: Header=BB1627_410 Depth=2
	ds_load_u8 v62, v2 offset:3840
	s_wait_dscnt 0x0
	v_lshrrev_b32_e32 v62, s43, v62
	s_delay_alu instid0(VALU_DEP_1)
	v_and_b32_e32 v118, s48, v62
	s_or_b32 exec_lo, exec_lo, s34
	s_and_saveexec_b32 s34, s30
	s_cbranch_execz .LBB1627_544
.LBB1627_614:                           ;   in Loop: Header=BB1627_410 Depth=2
	ds_load_u8 v62, v2 offset:4096
	s_wait_dscnt 0x0
	v_lshrrev_b32_e32 v62, s43, v62
	s_delay_alu instid0(VALU_DEP_1)
	v_and_b32_e32 v117, s48, v62
	s_or_b32 exec_lo, exec_lo, s34
	s_and_saveexec_b32 s34, s31
	s_cbranch_execz .LBB1627_545
.LBB1627_615:                           ;   in Loop: Header=BB1627_410 Depth=2
	ds_load_u8 v62, v2 offset:4352
	s_wait_dscnt 0x0
	v_lshrrev_b32_e32 v62, s43, v62
	s_delay_alu instid0(VALU_DEP_1)
	v_and_b32_e32 v116, s48, v62
	s_or_b32 exec_lo, exec_lo, s34
	s_and_saveexec_b32 s34, s33
	s_cbranch_execnz .LBB1627_546
	s_branch .LBB1627_547
.LBB1627_616:                           ;   in Loop: Header=BB1627_410 Depth=2
	v_lshlrev_b32_e32 v62, 2, v131
	v_add_nc_u32_e32 v63, v2, v95
	ds_load_b32 v64, v62
	ds_load_b64 v[62:63], v63 offset:512
	s_wait_dscnt 0x1
	v_add_nc_u32_e32 v64, v64, v2
	s_wait_dscnt 0x0
	global_store_b64 v64, v[62:63], s[46:47] scale_offset
	s_wait_xcnt 0x0
	s_or_b32 exec_lo, exec_lo, s34
	s_and_saveexec_b32 s34, s17
	s_cbranch_execz .LBB1627_549
.LBB1627_617:                           ;   in Loop: Header=BB1627_410 Depth=2
	v_dual_lshlrev_b32 v62, 2, v130 :: v_dual_add_nc_u32 v63, v2, v95
	ds_load_b32 v64, v62
	ds_load_b64 v[62:63], v63 offset:2560
	s_wait_dscnt 0x1
	v_add_nc_u32_e32 v64, v64, v67
	s_wait_dscnt 0x0
	global_store_b64 v64, v[62:63], s[46:47] scale_offset
	s_wait_xcnt 0x0
	s_or_b32 exec_lo, exec_lo, s34
	s_and_saveexec_b32 s17, s18
	s_cbranch_execz .LBB1627_550
.LBB1627_618:                           ;   in Loop: Header=BB1627_410 Depth=2
	v_dual_lshlrev_b32 v62, 2, v129 :: v_dual_add_nc_u32 v63, v2, v95
	ds_load_b32 v64, v62
	ds_load_b64 v[62:63], v63 offset:4608
	s_wait_dscnt 0x1
	v_add_nc_u32_e32 v64, v64, v68
	s_wait_dscnt 0x0
	global_store_b64 v64, v[62:63], s[46:47] scale_offset
	s_wait_xcnt 0x0
	s_or_b32 exec_lo, exec_lo, s17
	s_and_saveexec_b32 s17, s19
	s_cbranch_execz .LBB1627_551
.LBB1627_619:                           ;   in Loop: Header=BB1627_410 Depth=2
	v_dual_lshlrev_b32 v62, 2, v128 :: v_dual_add_nc_u32 v63, v2, v95
	ds_load_b32 v64, v62
	ds_load_b64 v[62:63], v63 offset:6656
	s_wait_dscnt 0x1
	v_add_nc_u32_e32 v64, v64, v69
	s_wait_dscnt 0x0
	global_store_b64 v64, v[62:63], s[46:47] scale_offset
	s_wait_xcnt 0x0
	s_or_b32 exec_lo, exec_lo, s17
	s_and_saveexec_b32 s17, s20
	s_cbranch_execz .LBB1627_552
.LBB1627_620:                           ;   in Loop: Header=BB1627_410 Depth=2
	v_lshlrev_b32_e32 v62, 2, v127
	v_add_nc_u32_e32 v63, v2, v95
	ds_load_b32 v64, v62
	ds_load_b64 v[62:63], v63 offset:8704
	s_wait_dscnt 0x1
	v_add_nc_u32_e32 v64, v64, v70
	s_wait_dscnt 0x0
	global_store_b64 v64, v[62:63], s[46:47] scale_offset
	s_wait_xcnt 0x0
	s_or_b32 exec_lo, exec_lo, s17
	s_and_saveexec_b32 s17, s21
	s_cbranch_execz .LBB1627_553
.LBB1627_621:                           ;   in Loop: Header=BB1627_410 Depth=2
	v_dual_lshlrev_b32 v62, 2, v126 :: v_dual_add_nc_u32 v63, v2, v95
	ds_load_b32 v64, v62
	ds_load_b64 v[62:63], v63 offset:10752
	s_wait_dscnt 0x1
	v_add_nc_u32_e32 v64, v64, v71
	s_wait_dscnt 0x0
	global_store_b64 v64, v[62:63], s[46:47] scale_offset
	s_wait_xcnt 0x0
	s_or_b32 exec_lo, exec_lo, s17
	s_and_saveexec_b32 s17, s22
	s_cbranch_execz .LBB1627_554
.LBB1627_622:                           ;   in Loop: Header=BB1627_410 Depth=2
	v_dual_lshlrev_b32 v62, 2, v125 :: v_dual_add_nc_u32 v63, v2, v95
	ds_load_b32 v64, v62
	ds_load_b64 v[62:63], v63 offset:12800
	s_wait_dscnt 0x1
	v_add_nc_u32_e32 v64, v64, v72
	s_wait_dscnt 0x0
	global_store_b64 v64, v[62:63], s[46:47] scale_offset
	s_wait_xcnt 0x0
	s_or_b32 exec_lo, exec_lo, s17
	s_and_saveexec_b32 s17, s23
	s_cbranch_execz .LBB1627_555
.LBB1627_623:                           ;   in Loop: Header=BB1627_410 Depth=2
	v_dual_lshlrev_b32 v62, 2, v124 :: v_dual_add_nc_u32 v63, v2, v95
	ds_load_b32 v64, v62
	ds_load_b64 v[62:63], v63 offset:14848
	s_wait_dscnt 0x1
	v_add_nc_u32_e32 v64, v64, v73
	s_wait_dscnt 0x0
	global_store_b64 v64, v[62:63], s[46:47] scale_offset
	s_wait_xcnt 0x0
	s_or_b32 exec_lo, exec_lo, s17
	s_and_saveexec_b32 s17, s24
	s_cbranch_execz .LBB1627_556
.LBB1627_624:                           ;   in Loop: Header=BB1627_410 Depth=2
	v_lshlrev_b32_e32 v62, 2, v123
	v_add_nc_u32_e32 v63, v2, v95
	ds_load_b32 v64, v62
	ds_load_b64 v[62:63], v63 offset:16896
	s_wait_dscnt 0x1
	v_add_nc_u32_e32 v64, v64, v74
	s_wait_dscnt 0x0
	global_store_b64 v64, v[62:63], s[46:47] scale_offset
	s_wait_xcnt 0x0
	s_or_b32 exec_lo, exec_lo, s17
	s_and_saveexec_b32 s17, s25
	s_cbranch_execz .LBB1627_557
.LBB1627_625:                           ;   in Loop: Header=BB1627_410 Depth=2
	v_dual_lshlrev_b32 v62, 2, v122 :: v_dual_add_nc_u32 v63, v2, v95
	ds_load_b32 v64, v62
	ds_load_b64 v[62:63], v63 offset:18944
	s_wait_dscnt 0x1
	v_add_nc_u32_e32 v64, v64, v75
	s_wait_dscnt 0x0
	global_store_b64 v64, v[62:63], s[46:47] scale_offset
	s_wait_xcnt 0x0
	s_or_b32 exec_lo, exec_lo, s17
	s_and_saveexec_b32 s17, s26
	s_cbranch_execz .LBB1627_558
.LBB1627_626:                           ;   in Loop: Header=BB1627_410 Depth=2
	v_dual_lshlrev_b32 v62, 2, v121 :: v_dual_add_nc_u32 v63, v2, v95
	ds_load_b32 v64, v62
	ds_load_b64 v[62:63], v63 offset:20992
	s_wait_dscnt 0x1
	v_add_nc_u32_e32 v64, v64, v76
	s_wait_dscnt 0x0
	global_store_b64 v64, v[62:63], s[46:47] scale_offset
	s_wait_xcnt 0x0
	s_or_b32 exec_lo, exec_lo, s17
	s_and_saveexec_b32 s17, s27
	s_cbranch_execz .LBB1627_559
.LBB1627_627:                           ;   in Loop: Header=BB1627_410 Depth=2
	v_dual_lshlrev_b32 v62, 2, v120 :: v_dual_add_nc_u32 v63, v2, v95
	ds_load_b32 v64, v62
	ds_load_b64 v[62:63], v63 offset:23040
	s_wait_dscnt 0x1
	v_add_nc_u32_e32 v64, v64, v77
	s_wait_dscnt 0x0
	global_store_b64 v64, v[62:63], s[46:47] scale_offset
	s_wait_xcnt 0x0
	s_or_b32 exec_lo, exec_lo, s17
	s_and_saveexec_b32 s17, s28
	s_cbranch_execz .LBB1627_560
.LBB1627_628:                           ;   in Loop: Header=BB1627_410 Depth=2
	v_lshlrev_b32_e32 v62, 2, v119
	v_add_nc_u32_e32 v63, v2, v95
	ds_load_b32 v64, v62
	ds_load_b64 v[62:63], v63 offset:25088
	s_wait_dscnt 0x1
	v_add_nc_u32_e32 v64, v64, v78
	s_wait_dscnt 0x0
	global_store_b64 v64, v[62:63], s[46:47] scale_offset
	s_wait_xcnt 0x0
	s_or_b32 exec_lo, exec_lo, s17
	s_and_saveexec_b32 s17, s29
	s_cbranch_execz .LBB1627_561
.LBB1627_629:                           ;   in Loop: Header=BB1627_410 Depth=2
	v_dual_lshlrev_b32 v62, 2, v118 :: v_dual_add_nc_u32 v63, v2, v95
	ds_load_b32 v64, v62
	ds_load_b64 v[62:63], v63 offset:27136
	s_wait_dscnt 0x1
	v_add_nc_u32_e32 v64, v64, v79
	s_wait_dscnt 0x0
	global_store_b64 v64, v[62:63], s[46:47] scale_offset
	s_wait_xcnt 0x0
	s_or_b32 exec_lo, exec_lo, s17
	s_and_saveexec_b32 s17, s30
	s_cbranch_execz .LBB1627_562
.LBB1627_630:                           ;   in Loop: Header=BB1627_410 Depth=2
	v_dual_lshlrev_b32 v62, 2, v117 :: v_dual_add_nc_u32 v63, v2, v95
	ds_load_b32 v64, v62
	ds_load_b64 v[62:63], v63 offset:29184
	s_wait_dscnt 0x1
	v_add_nc_u32_e32 v64, v64, v80
	s_wait_dscnt 0x0
	global_store_b64 v64, v[62:63], s[46:47] scale_offset
	s_wait_xcnt 0x0
	s_or_b32 exec_lo, exec_lo, s17
	s_and_saveexec_b32 s17, s31
	s_cbranch_execz .LBB1627_563
.LBB1627_631:                           ;   in Loop: Header=BB1627_410 Depth=2
	v_dual_lshlrev_b32 v62, 2, v116 :: v_dual_add_nc_u32 v63, v2, v95
	ds_load_b32 v64, v62
	ds_load_b64 v[62:63], v63 offset:31232
	s_wait_dscnt 0x1
	v_add_nc_u32_e32 v64, v64, v81
	s_wait_dscnt 0x0
	global_store_b64 v64, v[62:63], s[46:47] scale_offset
	s_wait_xcnt 0x0
	s_or_b32 exec_lo, exec_lo, s17
	s_and_saveexec_b32 s17, s33
	s_cbranch_execnz .LBB1627_564
	s_branch .LBB1627_565
.LBB1627_632:                           ;   in Loop: Header=BB1627_12 Depth=1
	s_wait_dscnt 0x0
	s_barrier_signal -1
	s_barrier_wait -1
.LBB1627_633:                           ;   in Loop: Header=BB1627_12 Depth=1
	s_mov_b32 s8, 0
.LBB1627_634:                           ;   in Loop: Header=BB1627_12 Depth=1
	s_delay_alu instid0(SALU_CYCLE_1)
	s_and_not1_b32 vcc_lo, exec_lo, s8
	s_cbranch_vccnz .LBB1627_11
; %bb.635:                              ;   in Loop: Header=BB1627_12 Depth=1
	s_and_b32 vcc_lo, exec_lo, s56
	s_mov_b32 s8, -1
	s_cbranch_vccz .LBB1627_945
; %bb.636:                              ;   in Loop: Header=BB1627_12 Depth=1
	v_dual_mov_b32 v39, 0 :: v_dual_mov_b32 v42, 0
	v_dual_mov_b32 v41, 0 :: v_dual_mov_b32 v40, 0
	;; [unrolled: 1-line block ×8, first 2 shown]
	v_mov_b32_e32 v26, 0
	s_mov_b32 s8, s57
	s_mov_b32 s34, s55
	s_barrier_signal -1
	s_barrier_wait -1
	s_branch .LBB1627_638
.LBB1627_637:                           ;   in Loop: Header=BB1627_638 Depth=2
	s_or_b32 exec_lo, exec_lo, s10
	s_addk_co_i32 s8, 0xef00
	s_cmp_ge_u32 s9, s54
	s_mov_b32 s34, s9
	s_cbranch_scc1 .LBB1627_710
.LBB1627_638:                           ;   Parent Loop BB1627_12 Depth=1
                                        ; =>  This Inner Loop Header: Depth=2
	s_add_co_i32 s9, s34, 0x1100
	s_mov_b32 s10, -1
	s_cmp_gt_u32 s9, s54
                                        ; implicit-def: $vgpr24
                                        ; implicit-def: $vgpr25
                                        ; implicit-def: $vgpr43
                                        ; implicit-def: $vgpr44
                                        ; implicit-def: $vgpr45
                                        ; implicit-def: $vgpr46
                                        ; implicit-def: $vgpr47
                                        ; implicit-def: $vgpr48
                                        ; implicit-def: $vgpr49
                                        ; implicit-def: $vgpr50
                                        ; implicit-def: $vgpr51
                                        ; implicit-def: $vgpr52
                                        ; implicit-def: $vgpr53
                                        ; implicit-def: $vgpr54
                                        ; implicit-def: $vgpr55
                                        ; implicit-def: $vgpr56
                                        ; implicit-def: $vgpr57
	s_cbranch_scc1 .LBB1627_640
; %bb.639:                              ;   in Loop: Header=BB1627_638 Depth=2
	v_add_nc_u64_e32 v[58:59], s[34:35], v[18:19]
	s_mov_b32 s10, 0
	s_clause 0x10
	global_load_u8 v57, v[58:59], off offset:4096
	global_load_u8 v56, v[58:59], off offset:3840
	;; [unrolled: 1-line block ×16, first 2 shown]
	global_load_u8 v24, v[58:59], off
.LBB1627_640:                           ;   in Loop: Header=BB1627_638 Depth=2
	s_and_not1_b32 vcc_lo, exec_lo, s10
	s_movk_i32 s10, 0x1100
	s_cbranch_vccnz .LBB1627_660
; %bb.641:                              ;   in Loop: Header=BB1627_638 Depth=2
	s_add_nc_u64 s[10:11], s[36:37], s[34:35]
	s_wait_loadcnt 0x0
	v_add_nc_u64_e32 v[24:25], s[10:11], v[2:3]
	s_mov_b32 s10, exec_lo
	s_wait_xcnt 0x0
	v_cmpx_gt_u32_e64 s8, v2
	s_cbranch_execnz .LBB1627_694
; %bb.642:                              ;   in Loop: Header=BB1627_638 Depth=2
	s_or_b32 exec_lo, exec_lo, s10
	s_delay_alu instid0(SALU_CYCLE_1)
	s_mov_b32 s10, exec_lo
	v_cmpx_gt_u32_e64 s8, v67
	s_cbranch_execnz .LBB1627_695
.LBB1627_643:                           ;   in Loop: Header=BB1627_638 Depth=2
	s_or_b32 exec_lo, exec_lo, s10
	s_delay_alu instid0(SALU_CYCLE_1)
	s_mov_b32 s10, exec_lo
	v_cmpx_gt_u32_e64 s8, v68
	s_cbranch_execnz .LBB1627_696
.LBB1627_644:                           ;   in Loop: Header=BB1627_638 Depth=2
	s_or_b32 exec_lo, exec_lo, s10
	s_delay_alu instid0(SALU_CYCLE_1)
	s_mov_b32 s10, exec_lo
	v_cmpx_gt_u32_e64 s8, v69
	s_cbranch_execnz .LBB1627_697
.LBB1627_645:                           ;   in Loop: Header=BB1627_638 Depth=2
	s_or_b32 exec_lo, exec_lo, s10
	s_delay_alu instid0(SALU_CYCLE_1)
	s_mov_b32 s10, exec_lo
	v_cmpx_gt_u32_e64 s8, v70
	s_cbranch_execnz .LBB1627_698
.LBB1627_646:                           ;   in Loop: Header=BB1627_638 Depth=2
	s_or_b32 exec_lo, exec_lo, s10
	s_delay_alu instid0(SALU_CYCLE_1)
	s_mov_b32 s10, exec_lo
	v_cmpx_gt_u32_e64 s8, v71
	s_cbranch_execnz .LBB1627_699
.LBB1627_647:                           ;   in Loop: Header=BB1627_638 Depth=2
	s_or_b32 exec_lo, exec_lo, s10
	s_delay_alu instid0(SALU_CYCLE_1)
	s_mov_b32 s10, exec_lo
	v_cmpx_gt_u32_e64 s8, v72
	s_cbranch_execnz .LBB1627_700
.LBB1627_648:                           ;   in Loop: Header=BB1627_638 Depth=2
	s_or_b32 exec_lo, exec_lo, s10
	s_delay_alu instid0(SALU_CYCLE_1)
	s_mov_b32 s10, exec_lo
	v_cmpx_gt_u32_e64 s8, v73
	s_cbranch_execnz .LBB1627_701
.LBB1627_649:                           ;   in Loop: Header=BB1627_638 Depth=2
	s_or_b32 exec_lo, exec_lo, s10
	s_delay_alu instid0(SALU_CYCLE_1)
	s_mov_b32 s10, exec_lo
	v_cmpx_gt_u32_e64 s8, v74
	s_cbranch_execnz .LBB1627_702
.LBB1627_650:                           ;   in Loop: Header=BB1627_638 Depth=2
	s_or_b32 exec_lo, exec_lo, s10
	s_delay_alu instid0(SALU_CYCLE_1)
	s_mov_b32 s10, exec_lo
	v_cmpx_gt_u32_e64 s8, v75
	s_cbranch_execnz .LBB1627_703
.LBB1627_651:                           ;   in Loop: Header=BB1627_638 Depth=2
	s_or_b32 exec_lo, exec_lo, s10
	s_delay_alu instid0(SALU_CYCLE_1)
	s_mov_b32 s10, exec_lo
	v_cmpx_gt_u32_e64 s8, v76
	s_cbranch_execnz .LBB1627_704
.LBB1627_652:                           ;   in Loop: Header=BB1627_638 Depth=2
	s_or_b32 exec_lo, exec_lo, s10
	s_delay_alu instid0(SALU_CYCLE_1)
	s_mov_b32 s10, exec_lo
	v_cmpx_gt_u32_e64 s8, v77
	s_cbranch_execnz .LBB1627_705
.LBB1627_653:                           ;   in Loop: Header=BB1627_638 Depth=2
	s_or_b32 exec_lo, exec_lo, s10
	s_delay_alu instid0(SALU_CYCLE_1)
	s_mov_b32 s10, exec_lo
	v_cmpx_gt_u32_e64 s8, v78
	s_cbranch_execnz .LBB1627_706
.LBB1627_654:                           ;   in Loop: Header=BB1627_638 Depth=2
	s_or_b32 exec_lo, exec_lo, s10
	s_delay_alu instid0(SALU_CYCLE_1)
	s_mov_b32 s10, exec_lo
	v_cmpx_gt_u32_e64 s8, v79
	s_cbranch_execnz .LBB1627_707
.LBB1627_655:                           ;   in Loop: Header=BB1627_638 Depth=2
	s_or_b32 exec_lo, exec_lo, s10
	s_delay_alu instid0(SALU_CYCLE_1)
	s_mov_b32 s10, exec_lo
	v_cmpx_gt_u32_e64 s8, v80
	s_cbranch_execnz .LBB1627_708
.LBB1627_656:                           ;   in Loop: Header=BB1627_638 Depth=2
	s_or_b32 exec_lo, exec_lo, s10
	s_delay_alu instid0(SALU_CYCLE_1)
	s_mov_b32 s10, exec_lo
	v_cmpx_gt_u32_e64 s8, v81
	s_cbranch_execnz .LBB1627_709
.LBB1627_657:                           ;   in Loop: Header=BB1627_638 Depth=2
	s_or_b32 exec_lo, exec_lo, s10
	s_delay_alu instid0(SALU_CYCLE_1)
	s_mov_b32 s10, exec_lo
	v_cmpx_gt_u32_e64 s8, v82
	s_cbranch_execz .LBB1627_659
.LBB1627_658:                           ;   in Loop: Header=BB1627_638 Depth=2
	global_load_u8 v26, v[24:25], off offset:4096
.LBB1627_659:                           ;   in Loop: Header=BB1627_638 Depth=2
	s_wait_xcnt 0x0
	s_or_b32 exec_lo, exec_lo, s10
	s_wait_loadcnt 0x0
	v_dual_mov_b32 v24, v39 :: v_dual_mov_b32 v25, v42
	v_dual_mov_b32 v43, v41 :: v_dual_mov_b32 v44, v40
	;; [unrolled: 1-line block ×8, first 2 shown]
	v_mov_b32_e32 v57, v26
	s_mov_b32 s10, s8
.LBB1627_660:                           ;   in Loop: Header=BB1627_638 Depth=2
	s_wait_loadcnt 0xf
	s_delay_alu instid0(VALU_DEP_1)
	v_dual_mov_b32 v26, v57 :: v_dual_mov_b32 v27, v56
	s_wait_loadcnt 0xd
	v_dual_mov_b32 v28, v55 :: v_dual_mov_b32 v29, v54
	s_wait_loadcnt 0xb
	;; [unrolled: 2-line block ×8, first 2 shown]
	v_mov_b32_e32 v39, v24
	s_mov_b32 s11, exec_lo
	s_wait_xcnt 0x0
	v_cmpx_gt_u32_e64 s10, v2
	s_cbranch_execnz .LBB1627_677
; %bb.661:                              ;   in Loop: Header=BB1627_638 Depth=2
	s_or_b32 exec_lo, exec_lo, s11
	s_delay_alu instid0(SALU_CYCLE_1)
	s_mov_b32 s11, exec_lo
	v_cmpx_gt_u32_e64 s10, v67
	s_cbranch_execnz .LBB1627_678
.LBB1627_662:                           ;   in Loop: Header=BB1627_638 Depth=2
	s_or_b32 exec_lo, exec_lo, s11
	s_delay_alu instid0(SALU_CYCLE_1)
	s_mov_b32 s11, exec_lo
	v_cmpx_gt_u32_e64 s10, v68
	s_cbranch_execnz .LBB1627_679
.LBB1627_663:                           ;   in Loop: Header=BB1627_638 Depth=2
	s_or_b32 exec_lo, exec_lo, s11
	s_delay_alu instid0(SALU_CYCLE_1)
	s_mov_b32 s11, exec_lo
	v_cmpx_gt_u32_e64 s10, v69
	s_cbranch_execnz .LBB1627_680
.LBB1627_664:                           ;   in Loop: Header=BB1627_638 Depth=2
	s_or_b32 exec_lo, exec_lo, s11
	s_delay_alu instid0(SALU_CYCLE_1)
	s_mov_b32 s11, exec_lo
	v_cmpx_gt_u32_e64 s10, v70
	s_cbranch_execnz .LBB1627_681
.LBB1627_665:                           ;   in Loop: Header=BB1627_638 Depth=2
	s_or_b32 exec_lo, exec_lo, s11
	s_delay_alu instid0(SALU_CYCLE_1)
	s_mov_b32 s11, exec_lo
	v_cmpx_gt_u32_e64 s10, v71
	s_cbranch_execnz .LBB1627_682
.LBB1627_666:                           ;   in Loop: Header=BB1627_638 Depth=2
	s_or_b32 exec_lo, exec_lo, s11
	s_delay_alu instid0(SALU_CYCLE_1)
	s_mov_b32 s11, exec_lo
	v_cmpx_gt_u32_e64 s10, v72
	s_cbranch_execnz .LBB1627_683
.LBB1627_667:                           ;   in Loop: Header=BB1627_638 Depth=2
	s_or_b32 exec_lo, exec_lo, s11
	s_delay_alu instid0(SALU_CYCLE_1)
	s_mov_b32 s11, exec_lo
	v_cmpx_gt_u32_e64 s10, v73
	s_cbranch_execnz .LBB1627_684
.LBB1627_668:                           ;   in Loop: Header=BB1627_638 Depth=2
	s_or_b32 exec_lo, exec_lo, s11
	s_delay_alu instid0(SALU_CYCLE_1)
	s_mov_b32 s11, exec_lo
	v_cmpx_gt_u32_e64 s10, v74
	s_cbranch_execnz .LBB1627_685
.LBB1627_669:                           ;   in Loop: Header=BB1627_638 Depth=2
	s_or_b32 exec_lo, exec_lo, s11
	s_delay_alu instid0(SALU_CYCLE_1)
	s_mov_b32 s11, exec_lo
	v_cmpx_gt_u32_e64 s10, v75
	s_cbranch_execnz .LBB1627_686
.LBB1627_670:                           ;   in Loop: Header=BB1627_638 Depth=2
	s_or_b32 exec_lo, exec_lo, s11
	s_delay_alu instid0(SALU_CYCLE_1)
	s_mov_b32 s11, exec_lo
	v_cmpx_gt_u32_e64 s10, v76
	s_cbranch_execnz .LBB1627_687
.LBB1627_671:                           ;   in Loop: Header=BB1627_638 Depth=2
	s_or_b32 exec_lo, exec_lo, s11
	s_delay_alu instid0(SALU_CYCLE_1)
	s_mov_b32 s11, exec_lo
	v_cmpx_gt_u32_e64 s10, v77
	s_cbranch_execnz .LBB1627_688
.LBB1627_672:                           ;   in Loop: Header=BB1627_638 Depth=2
	s_or_b32 exec_lo, exec_lo, s11
	s_delay_alu instid0(SALU_CYCLE_1)
	s_mov_b32 s11, exec_lo
	v_cmpx_gt_u32_e64 s10, v78
	s_cbranch_execnz .LBB1627_689
.LBB1627_673:                           ;   in Loop: Header=BB1627_638 Depth=2
	s_or_b32 exec_lo, exec_lo, s11
	s_delay_alu instid0(SALU_CYCLE_1)
	s_mov_b32 s11, exec_lo
	v_cmpx_gt_u32_e64 s10, v79
	s_cbranch_execnz .LBB1627_690
.LBB1627_674:                           ;   in Loop: Header=BB1627_638 Depth=2
	s_or_b32 exec_lo, exec_lo, s11
	s_delay_alu instid0(SALU_CYCLE_1)
	s_mov_b32 s11, exec_lo
	v_cmpx_gt_u32_e64 s10, v80
	s_cbranch_execnz .LBB1627_691
.LBB1627_675:                           ;   in Loop: Header=BB1627_638 Depth=2
	s_or_b32 exec_lo, exec_lo, s11
	s_delay_alu instid0(SALU_CYCLE_1)
	s_mov_b32 s11, exec_lo
	v_cmpx_gt_u32_e64 s10, v81
	s_cbranch_execnz .LBB1627_692
.LBB1627_676:                           ;   in Loop: Header=BB1627_638 Depth=2
	s_or_b32 exec_lo, exec_lo, s11
	v_cmp_gt_u32_e32 vcc_lo, s10, v82
	s_and_saveexec_b32 s10, vcc_lo
	s_cbranch_execz .LBB1627_637
	s_branch .LBB1627_693
.LBB1627_677:                           ;   in Loop: Header=BB1627_638 Depth=2
	v_and_b32_e32 v24, 1, v39
	s_delay_alu instid0(VALU_DEP_1) | instskip(NEXT) | instid1(VALU_DEP_1)
	v_lshrrev_b32_e32 v24, s49, v24
	v_and_b32_e32 v24, s48, v24
	s_delay_alu instid0(VALU_DEP_1) | instskip(SKIP_2) | instid1(SALU_CYCLE_1)
	v_lshl_or_b32 v24, v24, 4, v84
	ds_add_u32 v24, v7
	s_or_b32 exec_lo, exec_lo, s11
	s_mov_b32 s11, exec_lo
	v_cmpx_gt_u32_e64 s10, v67
	s_cbranch_execz .LBB1627_662
.LBB1627_678:                           ;   in Loop: Header=BB1627_638 Depth=2
	v_and_b32_e32 v24, 1, v42
	s_delay_alu instid0(VALU_DEP_1) | instskip(NEXT) | instid1(VALU_DEP_1)
	v_lshrrev_b32_e32 v24, s49, v24
	v_and_b32_e32 v24, s48, v24
	s_delay_alu instid0(VALU_DEP_1) | instskip(SKIP_2) | instid1(SALU_CYCLE_1)
	v_lshl_or_b32 v24, v24, 4, v84
	ds_add_u32 v24, v7
	s_or_b32 exec_lo, exec_lo, s11
	s_mov_b32 s11, exec_lo
	v_cmpx_gt_u32_e64 s10, v68
	s_cbranch_execz .LBB1627_663
.LBB1627_679:                           ;   in Loop: Header=BB1627_638 Depth=2
	v_and_b32_e32 v24, 1, v41
	s_delay_alu instid0(VALU_DEP_1) | instskip(NEXT) | instid1(VALU_DEP_1)
	v_lshrrev_b32_e32 v24, s49, v24
	v_and_b32_e32 v24, s48, v24
	s_delay_alu instid0(VALU_DEP_1) | instskip(SKIP_2) | instid1(SALU_CYCLE_1)
	v_lshl_or_b32 v24, v24, 4, v84
	ds_add_u32 v24, v7
	s_or_b32 exec_lo, exec_lo, s11
	s_mov_b32 s11, exec_lo
	v_cmpx_gt_u32_e64 s10, v69
	s_cbranch_execz .LBB1627_664
.LBB1627_680:                           ;   in Loop: Header=BB1627_638 Depth=2
	v_and_b32_e32 v24, 1, v40
	s_delay_alu instid0(VALU_DEP_1) | instskip(NEXT) | instid1(VALU_DEP_1)
	v_lshrrev_b32_e32 v24, s49, v24
	v_and_b32_e32 v24, s48, v24
	s_delay_alu instid0(VALU_DEP_1) | instskip(SKIP_2) | instid1(SALU_CYCLE_1)
	v_lshl_or_b32 v24, v24, 4, v84
	ds_add_u32 v24, v7
	s_or_b32 exec_lo, exec_lo, s11
	s_mov_b32 s11, exec_lo
	v_cmpx_gt_u32_e64 s10, v70
	s_cbranch_execz .LBB1627_665
.LBB1627_681:                           ;   in Loop: Header=BB1627_638 Depth=2
	v_and_b32_e32 v24, 1, v38
	s_delay_alu instid0(VALU_DEP_1) | instskip(NEXT) | instid1(VALU_DEP_1)
	v_lshrrev_b32_e32 v24, s49, v24
	v_and_b32_e32 v24, s48, v24
	s_delay_alu instid0(VALU_DEP_1) | instskip(SKIP_2) | instid1(SALU_CYCLE_1)
	v_lshl_or_b32 v24, v24, 4, v84
	ds_add_u32 v24, v7
	s_or_b32 exec_lo, exec_lo, s11
	s_mov_b32 s11, exec_lo
	v_cmpx_gt_u32_e64 s10, v71
	s_cbranch_execz .LBB1627_666
.LBB1627_682:                           ;   in Loop: Header=BB1627_638 Depth=2
	v_and_b32_e32 v24, 1, v37
	s_delay_alu instid0(VALU_DEP_1) | instskip(NEXT) | instid1(VALU_DEP_1)
	v_lshrrev_b32_e32 v24, s49, v24
	v_and_b32_e32 v24, s48, v24
	s_delay_alu instid0(VALU_DEP_1) | instskip(SKIP_2) | instid1(SALU_CYCLE_1)
	v_lshl_or_b32 v24, v24, 4, v84
	ds_add_u32 v24, v7
	s_or_b32 exec_lo, exec_lo, s11
	s_mov_b32 s11, exec_lo
	v_cmpx_gt_u32_e64 s10, v72
	s_cbranch_execz .LBB1627_667
.LBB1627_683:                           ;   in Loop: Header=BB1627_638 Depth=2
	v_and_b32_e32 v24, 1, v36
	s_delay_alu instid0(VALU_DEP_1) | instskip(NEXT) | instid1(VALU_DEP_1)
	v_lshrrev_b32_e32 v24, s49, v24
	v_and_b32_e32 v24, s48, v24
	s_delay_alu instid0(VALU_DEP_1) | instskip(SKIP_2) | instid1(SALU_CYCLE_1)
	v_lshl_or_b32 v24, v24, 4, v84
	ds_add_u32 v24, v7
	s_or_b32 exec_lo, exec_lo, s11
	s_mov_b32 s11, exec_lo
	v_cmpx_gt_u32_e64 s10, v73
	s_cbranch_execz .LBB1627_668
.LBB1627_684:                           ;   in Loop: Header=BB1627_638 Depth=2
	v_and_b32_e32 v24, 1, v35
	s_delay_alu instid0(VALU_DEP_1) | instskip(NEXT) | instid1(VALU_DEP_1)
	v_lshrrev_b32_e32 v24, s49, v24
	v_and_b32_e32 v24, s48, v24
	s_delay_alu instid0(VALU_DEP_1) | instskip(SKIP_2) | instid1(SALU_CYCLE_1)
	v_lshl_or_b32 v24, v24, 4, v84
	ds_add_u32 v24, v7
	s_or_b32 exec_lo, exec_lo, s11
	s_mov_b32 s11, exec_lo
	v_cmpx_gt_u32_e64 s10, v74
	s_cbranch_execz .LBB1627_669
.LBB1627_685:                           ;   in Loop: Header=BB1627_638 Depth=2
	v_and_b32_e32 v24, 1, v34
	s_delay_alu instid0(VALU_DEP_1) | instskip(NEXT) | instid1(VALU_DEP_1)
	v_lshrrev_b32_e32 v24, s49, v24
	v_and_b32_e32 v24, s48, v24
	s_delay_alu instid0(VALU_DEP_1) | instskip(SKIP_2) | instid1(SALU_CYCLE_1)
	v_lshl_or_b32 v24, v24, 4, v84
	ds_add_u32 v24, v7
	s_or_b32 exec_lo, exec_lo, s11
	s_mov_b32 s11, exec_lo
	v_cmpx_gt_u32_e64 s10, v75
	s_cbranch_execz .LBB1627_670
.LBB1627_686:                           ;   in Loop: Header=BB1627_638 Depth=2
	v_and_b32_e32 v24, 1, v33
	s_delay_alu instid0(VALU_DEP_1) | instskip(NEXT) | instid1(VALU_DEP_1)
	v_lshrrev_b32_e32 v24, s49, v24
	v_and_b32_e32 v24, s48, v24
	s_delay_alu instid0(VALU_DEP_1) | instskip(SKIP_2) | instid1(SALU_CYCLE_1)
	v_lshl_or_b32 v24, v24, 4, v84
	ds_add_u32 v24, v7
	s_or_b32 exec_lo, exec_lo, s11
	s_mov_b32 s11, exec_lo
	v_cmpx_gt_u32_e64 s10, v76
	s_cbranch_execz .LBB1627_671
.LBB1627_687:                           ;   in Loop: Header=BB1627_638 Depth=2
	v_and_b32_e32 v24, 1, v32
	s_delay_alu instid0(VALU_DEP_1) | instskip(NEXT) | instid1(VALU_DEP_1)
	v_lshrrev_b32_e32 v24, s49, v24
	v_and_b32_e32 v24, s48, v24
	s_delay_alu instid0(VALU_DEP_1) | instskip(SKIP_2) | instid1(SALU_CYCLE_1)
	v_lshl_or_b32 v24, v24, 4, v84
	ds_add_u32 v24, v7
	s_or_b32 exec_lo, exec_lo, s11
	s_mov_b32 s11, exec_lo
	v_cmpx_gt_u32_e64 s10, v77
	s_cbranch_execz .LBB1627_672
.LBB1627_688:                           ;   in Loop: Header=BB1627_638 Depth=2
	v_and_b32_e32 v24, 1, v31
	s_delay_alu instid0(VALU_DEP_1) | instskip(NEXT) | instid1(VALU_DEP_1)
	v_lshrrev_b32_e32 v24, s49, v24
	v_and_b32_e32 v24, s48, v24
	s_delay_alu instid0(VALU_DEP_1) | instskip(SKIP_2) | instid1(SALU_CYCLE_1)
	v_lshl_or_b32 v24, v24, 4, v84
	ds_add_u32 v24, v7
	s_or_b32 exec_lo, exec_lo, s11
	s_mov_b32 s11, exec_lo
	v_cmpx_gt_u32_e64 s10, v78
	s_cbranch_execz .LBB1627_673
.LBB1627_689:                           ;   in Loop: Header=BB1627_638 Depth=2
	v_and_b32_e32 v24, 1, v30
	s_delay_alu instid0(VALU_DEP_1) | instskip(NEXT) | instid1(VALU_DEP_1)
	v_lshrrev_b32_e32 v24, s49, v24
	v_and_b32_e32 v24, s48, v24
	s_delay_alu instid0(VALU_DEP_1) | instskip(SKIP_2) | instid1(SALU_CYCLE_1)
	v_lshl_or_b32 v24, v24, 4, v84
	ds_add_u32 v24, v7
	s_or_b32 exec_lo, exec_lo, s11
	s_mov_b32 s11, exec_lo
	v_cmpx_gt_u32_e64 s10, v79
	s_cbranch_execz .LBB1627_674
.LBB1627_690:                           ;   in Loop: Header=BB1627_638 Depth=2
	v_and_b32_e32 v24, 1, v29
	s_delay_alu instid0(VALU_DEP_1) | instskip(NEXT) | instid1(VALU_DEP_1)
	v_lshrrev_b32_e32 v24, s49, v24
	v_and_b32_e32 v24, s48, v24
	s_delay_alu instid0(VALU_DEP_1) | instskip(SKIP_2) | instid1(SALU_CYCLE_1)
	v_lshl_or_b32 v24, v24, 4, v84
	ds_add_u32 v24, v7
	s_or_b32 exec_lo, exec_lo, s11
	s_mov_b32 s11, exec_lo
	v_cmpx_gt_u32_e64 s10, v80
	s_cbranch_execz .LBB1627_675
.LBB1627_691:                           ;   in Loop: Header=BB1627_638 Depth=2
	v_and_b32_e32 v24, 1, v28
	s_delay_alu instid0(VALU_DEP_1) | instskip(NEXT) | instid1(VALU_DEP_1)
	v_lshrrev_b32_e32 v24, s49, v24
	v_and_b32_e32 v24, s48, v24
	s_delay_alu instid0(VALU_DEP_1) | instskip(SKIP_2) | instid1(SALU_CYCLE_1)
	v_lshl_or_b32 v24, v24, 4, v84
	ds_add_u32 v24, v7
	s_or_b32 exec_lo, exec_lo, s11
	s_mov_b32 s11, exec_lo
	v_cmpx_gt_u32_e64 s10, v81
	s_cbranch_execz .LBB1627_676
.LBB1627_692:                           ;   in Loop: Header=BB1627_638 Depth=2
	v_and_b32_e32 v24, 1, v27
	s_delay_alu instid0(VALU_DEP_1) | instskip(NEXT) | instid1(VALU_DEP_1)
	v_lshrrev_b32_e32 v24, s49, v24
	v_and_b32_e32 v24, s48, v24
	s_delay_alu instid0(VALU_DEP_1)
	v_lshl_or_b32 v24, v24, 4, v84
	ds_add_u32 v24, v7
	s_or_b32 exec_lo, exec_lo, s11
	v_cmp_gt_u32_e32 vcc_lo, s10, v82
	s_and_saveexec_b32 s10, vcc_lo
	s_cbranch_execz .LBB1627_637
.LBB1627_693:                           ;   in Loop: Header=BB1627_638 Depth=2
	v_and_b32_e32 v24, 1, v26
	s_delay_alu instid0(VALU_DEP_1) | instskip(NEXT) | instid1(VALU_DEP_1)
	v_lshrrev_b32_e32 v24, s49, v24
	v_and_b32_e32 v24, s48, v24
	s_delay_alu instid0(VALU_DEP_1)
	v_lshl_or_b32 v24, v24, 4, v84
	ds_add_u32 v24, v7
	s_branch .LBB1627_637
.LBB1627_694:                           ;   in Loop: Header=BB1627_638 Depth=2
	global_load_u8 v39, v[24:25], off
	s_wait_xcnt 0x0
	s_or_b32 exec_lo, exec_lo, s10
	s_delay_alu instid0(SALU_CYCLE_1)
	s_mov_b32 s10, exec_lo
	v_cmpx_gt_u32_e64 s8, v67
	s_cbranch_execz .LBB1627_643
.LBB1627_695:                           ;   in Loop: Header=BB1627_638 Depth=2
	global_load_u8 v42, v[24:25], off offset:256
	s_wait_xcnt 0x0
	s_or_b32 exec_lo, exec_lo, s10
	s_delay_alu instid0(SALU_CYCLE_1)
	s_mov_b32 s10, exec_lo
	v_cmpx_gt_u32_e64 s8, v68
	s_cbranch_execz .LBB1627_644
.LBB1627_696:                           ;   in Loop: Header=BB1627_638 Depth=2
	global_load_u8 v41, v[24:25], off offset:512
	s_wait_xcnt 0x0
	s_or_b32 exec_lo, exec_lo, s10
	s_delay_alu instid0(SALU_CYCLE_1)
	s_mov_b32 s10, exec_lo
	v_cmpx_gt_u32_e64 s8, v69
	s_cbranch_execz .LBB1627_645
.LBB1627_697:                           ;   in Loop: Header=BB1627_638 Depth=2
	global_load_u8 v40, v[24:25], off offset:768
	s_wait_xcnt 0x0
	s_or_b32 exec_lo, exec_lo, s10
	s_delay_alu instid0(SALU_CYCLE_1)
	s_mov_b32 s10, exec_lo
	v_cmpx_gt_u32_e64 s8, v70
	s_cbranch_execz .LBB1627_646
.LBB1627_698:                           ;   in Loop: Header=BB1627_638 Depth=2
	global_load_u8 v38, v[24:25], off offset:1024
	s_wait_xcnt 0x0
	s_or_b32 exec_lo, exec_lo, s10
	s_delay_alu instid0(SALU_CYCLE_1)
	s_mov_b32 s10, exec_lo
	v_cmpx_gt_u32_e64 s8, v71
	s_cbranch_execz .LBB1627_647
.LBB1627_699:                           ;   in Loop: Header=BB1627_638 Depth=2
	global_load_u8 v37, v[24:25], off offset:1280
	s_wait_xcnt 0x0
	s_or_b32 exec_lo, exec_lo, s10
	s_delay_alu instid0(SALU_CYCLE_1)
	s_mov_b32 s10, exec_lo
	v_cmpx_gt_u32_e64 s8, v72
	s_cbranch_execz .LBB1627_648
.LBB1627_700:                           ;   in Loop: Header=BB1627_638 Depth=2
	global_load_u8 v36, v[24:25], off offset:1536
	s_wait_xcnt 0x0
	s_or_b32 exec_lo, exec_lo, s10
	s_delay_alu instid0(SALU_CYCLE_1)
	s_mov_b32 s10, exec_lo
	v_cmpx_gt_u32_e64 s8, v73
	s_cbranch_execz .LBB1627_649
.LBB1627_701:                           ;   in Loop: Header=BB1627_638 Depth=2
	global_load_u8 v35, v[24:25], off offset:1792
	s_wait_xcnt 0x0
	s_or_b32 exec_lo, exec_lo, s10
	s_delay_alu instid0(SALU_CYCLE_1)
	s_mov_b32 s10, exec_lo
	v_cmpx_gt_u32_e64 s8, v74
	s_cbranch_execz .LBB1627_650
.LBB1627_702:                           ;   in Loop: Header=BB1627_638 Depth=2
	global_load_u8 v34, v[24:25], off offset:2048
	s_wait_xcnt 0x0
	s_or_b32 exec_lo, exec_lo, s10
	s_delay_alu instid0(SALU_CYCLE_1)
	s_mov_b32 s10, exec_lo
	v_cmpx_gt_u32_e64 s8, v75
	s_cbranch_execz .LBB1627_651
.LBB1627_703:                           ;   in Loop: Header=BB1627_638 Depth=2
	global_load_u8 v33, v[24:25], off offset:2304
	s_wait_xcnt 0x0
	s_or_b32 exec_lo, exec_lo, s10
	s_delay_alu instid0(SALU_CYCLE_1)
	s_mov_b32 s10, exec_lo
	v_cmpx_gt_u32_e64 s8, v76
	s_cbranch_execz .LBB1627_652
.LBB1627_704:                           ;   in Loop: Header=BB1627_638 Depth=2
	global_load_u8 v32, v[24:25], off offset:2560
	s_wait_xcnt 0x0
	s_or_b32 exec_lo, exec_lo, s10
	s_delay_alu instid0(SALU_CYCLE_1)
	s_mov_b32 s10, exec_lo
	v_cmpx_gt_u32_e64 s8, v77
	s_cbranch_execz .LBB1627_653
.LBB1627_705:                           ;   in Loop: Header=BB1627_638 Depth=2
	global_load_u8 v31, v[24:25], off offset:2816
	s_wait_xcnt 0x0
	s_or_b32 exec_lo, exec_lo, s10
	s_delay_alu instid0(SALU_CYCLE_1)
	s_mov_b32 s10, exec_lo
	v_cmpx_gt_u32_e64 s8, v78
	s_cbranch_execz .LBB1627_654
.LBB1627_706:                           ;   in Loop: Header=BB1627_638 Depth=2
	global_load_u8 v30, v[24:25], off offset:3072
	s_wait_xcnt 0x0
	s_or_b32 exec_lo, exec_lo, s10
	s_delay_alu instid0(SALU_CYCLE_1)
	s_mov_b32 s10, exec_lo
	v_cmpx_gt_u32_e64 s8, v79
	s_cbranch_execz .LBB1627_655
.LBB1627_707:                           ;   in Loop: Header=BB1627_638 Depth=2
	global_load_u8 v29, v[24:25], off offset:3328
	s_wait_xcnt 0x0
	s_or_b32 exec_lo, exec_lo, s10
	s_delay_alu instid0(SALU_CYCLE_1)
	s_mov_b32 s10, exec_lo
	v_cmpx_gt_u32_e64 s8, v80
	s_cbranch_execz .LBB1627_656
.LBB1627_708:                           ;   in Loop: Header=BB1627_638 Depth=2
	global_load_u8 v28, v[24:25], off offset:3584
	s_wait_xcnt 0x0
	s_or_b32 exec_lo, exec_lo, s10
	s_delay_alu instid0(SALU_CYCLE_1)
	s_mov_b32 s10, exec_lo
	v_cmpx_gt_u32_e64 s8, v81
	s_cbranch_execz .LBB1627_657
.LBB1627_709:                           ;   in Loop: Header=BB1627_638 Depth=2
	global_load_u8 v27, v[24:25], off offset:3840
	s_wait_xcnt 0x0
	s_or_b32 exec_lo, exec_lo, s10
	s_delay_alu instid0(SALU_CYCLE_1)
	s_mov_b32 s10, exec_lo
	v_cmpx_gt_u32_e64 s8, v82
	s_cbranch_execnz .LBB1627_658
	s_branch .LBB1627_659
.LBB1627_710:                           ;   in Loop: Header=BB1627_12 Depth=1
	v_mov_b32_e32 v24, 0
	s_wait_dscnt 0x0
	s_barrier_signal -1
	s_barrier_wait -1
	s_and_saveexec_b32 s8, s0
	s_cbranch_execz .LBB1627_712
; %bb.711:                              ;   in Loop: Header=BB1627_12 Depth=1
	ds_load_2addr_b64 v[24:27], v85 offset1:1
	s_wait_dscnt 0x0
	v_add_nc_u32_e32 v24, v25, v24
	s_delay_alu instid0(VALU_DEP_1)
	v_add3_u32 v24, v24, v26, v27
.LBB1627_712:                           ;   in Loop: Header=BB1627_12 Depth=1
	s_or_b32 exec_lo, exec_lo, s8
	v_and_b32_e32 v25, 15, v0
	s_delay_alu instid0(VALU_DEP_2) | instskip(SKIP_1) | instid1(VALU_DEP_3)
	v_mov_b32_dpp v26, v24 row_shr:1 row_mask:0xf bank_mask:0xf
	v_and_b32_e32 v27, 16, v0
	v_cmp_eq_u32_e64 s8, 0, v25
	v_cmp_lt_u32_e64 s9, 1, v25
	s_delay_alu instid0(VALU_DEP_3) | instskip(NEXT) | instid1(VALU_DEP_3)
	v_cmp_eq_u32_e64 s12, 0, v27
	v_cndmask_b32_e64 v26, v26, 0, s8
	s_delay_alu instid0(VALU_DEP_1) | instskip(NEXT) | instid1(VALU_DEP_1)
	v_add_nc_u32_e32 v24, v26, v24
	v_mov_b32_dpp v26, v24 row_shr:2 row_mask:0xf bank_mask:0xf
	s_delay_alu instid0(VALU_DEP_1) | instskip(SKIP_2) | instid1(VALU_DEP_3)
	v_cndmask_b32_e64 v26, 0, v26, s9
	v_cmp_lt_u32_e64 s11, 7, v25
	v_cmp_lt_u32_e64 s10, 3, v25
	v_add_nc_u32_e32 v24, v24, v26
	s_delay_alu instid0(VALU_DEP_1) | instskip(NEXT) | instid1(VALU_DEP_1)
	v_mov_b32_dpp v26, v24 row_shr:4 row_mask:0xf bank_mask:0xf
	v_cndmask_b32_e64 v26, 0, v26, s10
	s_delay_alu instid0(VALU_DEP_1) | instskip(NEXT) | instid1(VALU_DEP_1)
	v_add_nc_u32_e32 v24, v24, v26
	v_mov_b32_dpp v26, v24 row_shr:8 row_mask:0xf bank_mask:0xf
	s_delay_alu instid0(VALU_DEP_1) | instskip(SKIP_1) | instid1(VALU_DEP_2)
	v_cndmask_b32_e64 v25, 0, v26, s11
	v_bfe_i32 v26, v0, 4, 1
	v_add_nc_u32_e32 v24, v24, v25
	ds_swizzle_b32 v25, v24 offset:swizzle(BROADCAST,32,15)
	s_wait_dscnt 0x0
	v_and_b32_e32 v25, v26, v25
	s_delay_alu instid0(VALU_DEP_1)
	v_add_nc_u32_e32 v24, v24, v25
	s_and_saveexec_b32 s13, s1
; %bb.713:                              ;   in Loop: Header=BB1627_12 Depth=1
	ds_store_b32 v86, v24
; %bb.714:                              ;   in Loop: Header=BB1627_12 Depth=1
	s_or_b32 exec_lo, exec_lo, s13
	s_wait_dscnt 0x0
	s_barrier_signal -1
	s_barrier_wait -1
	s_and_saveexec_b32 s13, s4
	s_cbranch_execz .LBB1627_716
; %bb.715:                              ;   in Loop: Header=BB1627_12 Depth=1
	ds_load_b32 v25, v87
	s_wait_dscnt 0x0
	v_mov_b32_dpp v27, v25 row_shr:1 row_mask:0xf bank_mask:0xf
	v_and_b32_e32 v26, 3, v0
	s_delay_alu instid0(VALU_DEP_1) | instskip(NEXT) | instid1(VALU_DEP_3)
	v_cmp_ne_u32_e32 vcc_lo, 0, v26
	v_cndmask_b32_e32 v27, 0, v27, vcc_lo
	v_cmp_lt_u32_e32 vcc_lo, 1, v26
	s_delay_alu instid0(VALU_DEP_2) | instskip(NEXT) | instid1(VALU_DEP_1)
	v_add_nc_u32_e32 v25, v27, v25
	v_mov_b32_dpp v27, v25 row_shr:2 row_mask:0xf bank_mask:0xf
	s_delay_alu instid0(VALU_DEP_1) | instskip(NEXT) | instid1(VALU_DEP_1)
	v_cndmask_b32_e32 v26, 0, v27, vcc_lo
	v_add_nc_u32_e32 v25, v25, v26
	ds_store_b32 v87, v25
.LBB1627_716:                           ;   in Loop: Header=BB1627_12 Depth=1
	s_or_b32 exec_lo, exec_lo, s13
	v_mov_b32_e32 v25, 0
	s_wait_dscnt 0x0
	s_barrier_signal -1
	s_barrier_wait -1
	s_and_saveexec_b32 s13, s5
; %bb.717:                              ;   in Loop: Header=BB1627_12 Depth=1
	ds_load_b32 v25, v88
; %bb.718:                              ;   in Loop: Header=BB1627_12 Depth=1
	s_or_b32 exec_lo, exec_lo, s13
	v_sub_co_u32 v26, s13, v0, 1
	s_wait_dscnt 0x0
	s_barrier_signal -1
	s_barrier_wait -1
	s_delay_alu instid0(VALU_DEP_1) | instskip(SKIP_1) | instid1(VALU_DEP_1)
	v_cmp_gt_i32_e32 vcc_lo, 0, v26
	v_cndmask_b32_e32 v26, v26, v0, vcc_lo
	v_dual_add_nc_u32 v24, v25, v24 :: v_dual_lshlrev_b32 v96, 2, v26
	ds_bpermute_b32 v24, v96, v24
	s_and_saveexec_b32 s14, s0
	s_cbranch_execz .LBB1627_720
; %bb.719:                              ;   in Loop: Header=BB1627_12 Depth=1
	s_wait_dscnt 0x0
	v_cndmask_b32_e64 v24, v24, v25, s13
	s_delay_alu instid0(VALU_DEP_1)
	v_add_nc_u32_e32 v24, s55, v24
	ds_store_b32 v66, v24
.LBB1627_720:                           ;   in Loop: Header=BB1627_12 Depth=1
	s_or_b32 exec_lo, exec_lo, s14
	s_load_b64 s[14:15], s[52:53], 0x0
	s_wait_dscnt 0x0
	v_dual_lshlrev_b32 v24, 3, v0 :: v_dual_bitop2_b32 v26, 7, v0 bitop3:0x40
	v_dual_mov_b32 v25, v1 :: v_dual_bitop2_b32 v97, v0, v6 bitop3:0x54
	s_mov_b32 s58, s57
                                        ; implicit-def: $vgpr30_vgpr31
                                        ; implicit-def: $vgpr32_vgpr33
                                        ; implicit-def: $vgpr34_vgpr35
                                        ; implicit-def: $vgpr36_vgpr37
                                        ; implicit-def: $vgpr38_vgpr39
                                        ; implicit-def: $vgpr40_vgpr41
                                        ; implicit-def: $vgpr42_vgpr43
                                        ; implicit-def: $vgpr44_vgpr45
                                        ; implicit-def: $vgpr46_vgpr47
                                        ; implicit-def: $vgpr48_vgpr49
                                        ; implicit-def: $vgpr50_vgpr51
                                        ; implicit-def: $vgpr52_vgpr53
                                        ; implicit-def: $vgpr54_vgpr55
                                        ; implicit-def: $vgpr56_vgpr57
                                        ; implicit-def: $vgpr58_vgpr59
                                        ; implicit-def: $vgpr60_vgpr61
                                        ; implicit-def: $vgpr115
                                        ; implicit-def: $vgpr116
                                        ; implicit-def: $vgpr117
                                        ; implicit-def: $vgpr118
                                        ; implicit-def: $vgpr119
                                        ; implicit-def: $vgpr120
                                        ; implicit-def: $vgpr121
                                        ; implicit-def: $vgpr122
                                        ; implicit-def: $vgpr123
                                        ; implicit-def: $vgpr124
                                        ; implicit-def: $vgpr125
                                        ; implicit-def: $vgpr126
                                        ; implicit-def: $vgpr127
                                        ; implicit-def: $vgpr128
                                        ; implicit-def: $vgpr129
                                        ; implicit-def: $vgpr130
                                        ; implicit-def: $vgpr131
                                        ; implicit-def: $vgpr132
                                        ; implicit-def: $vgpr133
	s_delay_alu instid0(VALU_DEP_1) | instskip(NEXT) | instid1(VALU_DEP_2)
	v_add_nc_u64_e32 v[24:25], v[20:21], v[24:25]
	v_dual_add_nc_u32 v98, 32, v97 :: v_dual_add_nc_u32 v99, 64, v97
	v_add_nc_u32_e32 v100, 0x60, v97
	v_add_nc_u32_e32 v101, 0x80, v97
	;; [unrolled: 1-line block ×9, first 2 shown]
	s_wait_kmcnt 0x0
	s_cmp_lt_u32 s51, s14
	v_add_nc_u32_e32 v109, 0x180, v97
	s_cselect_b32 s34, 12, 18
	s_cmp_lt_u32 s42, s15
	s_mov_b32 s15, s35
	s_cselect_b32 s14, 14, 20
	v_add_nc_u32_e32 v110, 0x1a0, v97
	s_add_nc_u64 s[14:15], s[52:53], s[14:15]
	v_add_nc_u32_e32 v111, 0x1c0, v97
	s_load_u16 s16, s[14:15], 0x0
	s_wait_xcnt 0x0
	s_add_nc_u64 s[14:15], s[52:53], s[34:35]
	v_add_nc_u32_e32 v112, 0x1e0, v97
	s_load_u16 s17, s[14:15], 0x0
	s_wait_xcnt 0x0
	v_cmp_eq_u32_e64 s14, 0, v26
	v_cmp_lt_u32_e64 s15, 1, v26
	v_add_nc_u32_e32 v113, 0x200, v97
	s_mov_b32 s34, s55
	s_wait_kmcnt 0x0
	v_mad_u32_u24 v27, v89, s16, v91
	v_cmp_lt_u32_e64 s16, 3, v26
	s_delay_alu instid0(VALU_DEP_2) | instskip(NEXT) | instid1(VALU_DEP_1)
	v_mad_u32 v26, v27, s17, v2
	v_lshrrev_b32_e32 v28, 3, v26
	v_add_nc_u64_e32 v[26:27], v[22:23], v[0:1]
	s_delay_alu instid0(VALU_DEP_2)
	v_and_b32_e32 v114, 0x1ffffffc, v28
                                        ; implicit-def: $vgpr28_vgpr29
	s_branch .LBB1627_722
.LBB1627_721:                           ;   in Loop: Header=BB1627_722 Depth=2
	s_or_b32 exec_lo, exec_lo, s17
	s_addk_co_i32 s58, 0xef00
	s_cmp_lt_u32 s59, s54
	s_mov_b32 s34, s59
	s_cbranch_scc0 .LBB1627_944
.LBB1627_722:                           ;   Parent Loop BB1627_12 Depth=1
                                        ; =>  This Inner Loop Header: Depth=2
	s_add_co_i32 s59, s34, 0x1100
	s_delay_alu instid0(SALU_CYCLE_1)
	s_cmp_gt_u32 s59, s54
	s_cbranch_scc1 .LBB1627_724
; %bb.723:                              ;   in Loop: Header=BB1627_722 Depth=2
	s_delay_alu instid0(VALU_DEP_2)
	v_add_nc_u64_e32 v[62:63], s[34:35], v[26:27]
	s_mov_b32 s17, -1
	s_clause 0xf
	global_load_u8 v135, v[62:63], off
	global_load_u8 v136, v[62:63], off offset:32
	global_load_u8 v137, v[62:63], off offset:64
	global_load_u8 v138, v[62:63], off offset:96
	global_load_u8 v139, v[62:63], off offset:128
	global_load_u8 v140, v[62:63], off offset:160
	global_load_u8 v141, v[62:63], off offset:192
	global_load_u8 v142, v[62:63], off offset:224
	global_load_u8 v143, v[62:63], off offset:256
	global_load_u8 v144, v[62:63], off offset:288
	global_load_u8 v145, v[62:63], off offset:320
	global_load_u8 v146, v[62:63], off offset:352
	global_load_u8 v147, v[62:63], off offset:384
	global_load_u8 v148, v[62:63], off offset:416
	global_load_u8 v149, v[62:63], off offset:448
	global_load_u8 v150, v[62:63], off offset:480
	s_movk_i32 s18, 0x1100
	s_cbranch_execz .LBB1627_725
	s_branch .LBB1627_758
.LBB1627_724:                           ;   in Loop: Header=BB1627_722 Depth=2
	s_mov_b32 s17, 0
                                        ; implicit-def: $vgpr135
                                        ; implicit-def: $vgpr136
                                        ; implicit-def: $vgpr137
                                        ; implicit-def: $vgpr138
                                        ; implicit-def: $vgpr139
                                        ; implicit-def: $vgpr140
                                        ; implicit-def: $vgpr141
                                        ; implicit-def: $vgpr142
                                        ; implicit-def: $vgpr143
                                        ; implicit-def: $vgpr144
                                        ; implicit-def: $vgpr145
                                        ; implicit-def: $vgpr146
                                        ; implicit-def: $vgpr147
                                        ; implicit-def: $vgpr148
                                        ; implicit-def: $vgpr149
                                        ; implicit-def: $vgpr150
	s_movk_i32 s18, 0x1100
.LBB1627_725:                           ;   in Loop: Header=BB1627_722 Depth=2
	s_wait_xcnt 0x0
	v_add_nc_u64_e32 v[62:63], s[34:35], v[26:27]
	s_wait_loadcnt 0xe
	v_dual_mov_b32 v136, 1 :: v_dual_mov_b32 v135, 1
	s_mov_b32 s17, exec_lo
	v_cmpx_gt_u32_e64 s58, v97
	s_cbranch_execz .LBB1627_727
; %bb.726:                              ;   in Loop: Header=BB1627_722 Depth=2
	global_load_u8 v135, v[62:63], off
.LBB1627_727:                           ;   in Loop: Header=BB1627_722 Depth=2
	s_wait_xcnt 0x0
	s_or_b32 exec_lo, exec_lo, s17
	s_delay_alu instid0(SALU_CYCLE_1)
	s_mov_b32 s17, exec_lo
	v_cmpx_gt_u32_e64 s58, v98
	s_cbranch_execz .LBB1627_729
; %bb.728:                              ;   in Loop: Header=BB1627_722 Depth=2
	global_load_u8 v136, v[62:63], off offset:32
.LBB1627_729:                           ;   in Loop: Header=BB1627_722 Depth=2
	s_wait_xcnt 0x0
	s_or_b32 exec_lo, exec_lo, s17
	s_wait_loadcnt 0xc
	v_dual_mov_b32 v138, 1 :: v_dual_mov_b32 v137, 1
	s_mov_b32 s17, exec_lo
	v_cmpx_gt_u32_e64 s58, v99
	s_cbranch_execz .LBB1627_731
; %bb.730:                              ;   in Loop: Header=BB1627_722 Depth=2
	global_load_u8 v137, v[62:63], off offset:64
.LBB1627_731:                           ;   in Loop: Header=BB1627_722 Depth=2
	s_wait_xcnt 0x0
	s_or_b32 exec_lo, exec_lo, s17
	s_delay_alu instid0(SALU_CYCLE_1)
	s_mov_b32 s17, exec_lo
	v_cmpx_gt_u32_e64 s58, v100
	s_cbranch_execz .LBB1627_733
; %bb.732:                              ;   in Loop: Header=BB1627_722 Depth=2
	global_load_u8 v138, v[62:63], off offset:96
.LBB1627_733:                           ;   in Loop: Header=BB1627_722 Depth=2
	s_wait_xcnt 0x0
	s_or_b32 exec_lo, exec_lo, s17
	s_wait_loadcnt 0xa
	v_dual_mov_b32 v140, 1 :: v_dual_mov_b32 v139, 1
	s_mov_b32 s17, exec_lo
	v_cmpx_gt_u32_e64 s58, v101
	s_cbranch_execz .LBB1627_735
; %bb.734:                              ;   in Loop: Header=BB1627_722 Depth=2
	global_load_u8 v139, v[62:63], off offset:128
.LBB1627_735:                           ;   in Loop: Header=BB1627_722 Depth=2
	;; [unrolled: 19-line block ×7, first 2 shown]
	s_wait_xcnt 0x0
	s_or_b32 exec_lo, exec_lo, s17
	s_delay_alu instid0(SALU_CYCLE_1)
	s_mov_b32 s17, exec_lo
	v_cmpx_gt_u32_e64 s58, v112
	s_cbranch_execz .LBB1627_757
; %bb.756:                              ;   in Loop: Header=BB1627_722 Depth=2
	global_load_u8 v150, v[62:63], off offset:480
.LBB1627_757:                           ;   in Loop: Header=BB1627_722 Depth=2
	s_wait_xcnt 0x0
	s_or_b32 exec_lo, exec_lo, s17
	v_cmp_gt_u32_e64 s17, s58, v113
	s_sub_co_i32 s18, s54, s34
.LBB1627_758:                           ;   in Loop: Header=BB1627_722 Depth=2
	v_dual_mov_b32 v151, 1 :: v_dual_mov_b32 v134, s58
	s_wait_xcnt 0x0
	s_and_saveexec_b32 s19, s17
	s_cbranch_execz .LBB1627_760
; %bb.759:                              ;   in Loop: Header=BB1627_722 Depth=2
	v_add_nc_u64_e32 v[62:63], s[34:35], v[26:27]
	v_mov_b32_e32 v134, s18
	global_load_u8 v151, v[62:63], off offset:512
.LBB1627_760:                           ;   in Loop: Header=BB1627_722 Depth=2
	s_wait_xcnt 0x0
	s_or_b32 exec_lo, exec_lo, s19
	s_wait_loadcnt 0xf
	v_and_b32_e32 v62, 0xff, v135
	ds_store_2addr_b32 v90, v1, v1 offset0:136 offset1:137
	ds_store_2addr_b32 v90, v1, v1 offset0:138 offset1:139
	ds_store_b32 v90, v1 offset:560
	s_wait_loadcnt_dscnt 0x0
	s_barrier_signal -1
	s_barrier_wait -1
	v_lshrrev_b32_e32 v62, s49, v62
	; wave barrier
	s_delay_alu instid0(VALU_DEP_1) | instskip(NEXT) | instid1(VALU_DEP_1)
	v_and_b32_e32 v63, s48, v62
	v_add_co_u32 v62, s17, v63, -1
	s_delay_alu instid0(VALU_DEP_1) | instskip(SKIP_1) | instid1(VALU_DEP_2)
	v_cndmask_b32_e64 v64, 0, 1, s17
	v_mul_u32_u24_e32 v63, 36, v63
	v_cmp_ne_u32_e32 vcc_lo, 0, v64
	s_delay_alu instid0(VALU_DEP_2) | instskip(SKIP_1) | instid1(VALU_DEP_1)
	v_add_nc_u32_e32 v155, v114, v63
	v_bitop3_b32 v62, vcc_lo, exec_lo, v62 bitop3:0x48
	v_mbcnt_lo_u32_b32 v152, v62, 0
	v_cmp_ne_u32_e64 s17, 0, v62
	s_delay_alu instid0(VALU_DEP_2) | instskip(SKIP_1) | instid1(SALU_CYCLE_1)
	v_cmp_eq_u32_e32 vcc_lo, 0, v152
	s_and_b32 s18, s17, vcc_lo
	s_and_saveexec_b32 s17, s18
; %bb.761:                              ;   in Loop: Header=BB1627_722 Depth=2
	v_bcnt_u32_b32 v62, v62, 0
	ds_store_b32 v155, v62 offset:544
; %bb.762:                              ;   in Loop: Header=BB1627_722 Depth=2
	s_or_b32 exec_lo, exec_lo, s17
	v_and_b32_e32 v62, 0xff, v136
	; wave barrier
	s_delay_alu instid0(VALU_DEP_1) | instskip(NEXT) | instid1(VALU_DEP_1)
	v_lshrrev_b32_e32 v62, s49, v62
	v_and_b32_e32 v63, s48, v62
	s_delay_alu instid0(VALU_DEP_1) | instskip(NEXT) | instid1(VALU_DEP_1)
	v_add_co_u32 v62, s17, v63, -1
	v_cndmask_b32_e64 v64, 0, 1, s17
	v_mad_u32_u24 v65, v63, 36, v114
	v_mul_u32_u24_e32 v63, 36, v63
	s_delay_alu instid0(VALU_DEP_3) | instskip(SKIP_3) | instid1(VALU_DEP_1)
	v_cmp_ne_u32_e32 vcc_lo, 0, v64
	ds_load_b32 v153, v65 offset:544
	v_add_nc_u32_e32 v158, v114, v63
	; wave barrier
	v_bitop3_b32 v62, vcc_lo, exec_lo, v62 bitop3:0x48
	v_mbcnt_lo_u32_b32 v154, v62, 0
	v_cmp_ne_u32_e64 s17, 0, v62
	s_delay_alu instid0(VALU_DEP_2) | instskip(SKIP_1) | instid1(SALU_CYCLE_1)
	v_cmp_eq_u32_e32 vcc_lo, 0, v154
	s_and_b32 s18, s17, vcc_lo
	s_and_saveexec_b32 s17, s18
	s_cbranch_execz .LBB1627_764
; %bb.763:                              ;   in Loop: Header=BB1627_722 Depth=2
	s_wait_dscnt 0x0
	v_bcnt_u32_b32 v62, v62, v153
	ds_store_b32 v158, v62 offset:544
.LBB1627_764:                           ;   in Loop: Header=BB1627_722 Depth=2
	s_or_b32 exec_lo, exec_lo, s17
	v_and_b32_e32 v62, 0xff, v137
	; wave barrier
	s_delay_alu instid0(VALU_DEP_1) | instskip(NEXT) | instid1(VALU_DEP_1)
	v_lshrrev_b32_e32 v62, s49, v62
	v_and_b32_e32 v63, s48, v62
	s_delay_alu instid0(VALU_DEP_1) | instskip(NEXT) | instid1(VALU_DEP_1)
	v_add_co_u32 v62, s17, v63, -1
	v_cndmask_b32_e64 v64, 0, 1, s17
	v_mad_u32_u24 v65, v63, 36, v114
	v_mul_u32_u24_e32 v63, 36, v63
	s_delay_alu instid0(VALU_DEP_3) | instskip(SKIP_3) | instid1(VALU_DEP_1)
	v_cmp_ne_u32_e32 vcc_lo, 0, v64
	ds_load_b32 v156, v65 offset:544
	v_add_nc_u32_e32 v161, v114, v63
	; wave barrier
	v_bitop3_b32 v62, vcc_lo, exec_lo, v62 bitop3:0x48
	v_mbcnt_lo_u32_b32 v157, v62, 0
	v_cmp_ne_u32_e64 s17, 0, v62
	s_delay_alu instid0(VALU_DEP_2) | instskip(SKIP_1) | instid1(SALU_CYCLE_1)
	v_cmp_eq_u32_e32 vcc_lo, 0, v157
	s_and_b32 s18, s17, vcc_lo
	s_and_saveexec_b32 s17, s18
	s_cbranch_execz .LBB1627_766
; %bb.765:                              ;   in Loop: Header=BB1627_722 Depth=2
	s_wait_dscnt 0x0
	v_bcnt_u32_b32 v62, v62, v156
	ds_store_b32 v161, v62 offset:544
.LBB1627_766:                           ;   in Loop: Header=BB1627_722 Depth=2
	;; [unrolled: 29-line block ×16, first 2 shown]
	s_or_b32 exec_lo, exec_lo, s17
	; wave barrier
	s_wait_dscnt 0x0
	s_barrier_signal -1
	s_barrier_wait -1
	ds_load_2addr_b32 v[64:65], v90 offset0:136 offset1:137
	ds_load_2addr_b32 v[62:63], v90 offset0:138 offset1:139
	ds_load_b32 v202, v90 offset:560
	s_wait_dscnt 0x1
	v_add3_u32 v203, v65, v64, v62
	s_wait_dscnt 0x0
	s_delay_alu instid0(VALU_DEP_1) | instskip(NEXT) | instid1(VALU_DEP_1)
	v_add3_u32 v202, v203, v63, v202
	v_mov_b32_dpp v203, v202 row_shr:1 row_mask:0xf bank_mask:0xf
	s_delay_alu instid0(VALU_DEP_1) | instskip(NEXT) | instid1(VALU_DEP_1)
	v_cndmask_b32_e64 v203, v203, 0, s8
	v_add_nc_u32_e32 v202, v203, v202
	s_delay_alu instid0(VALU_DEP_1) | instskip(NEXT) | instid1(VALU_DEP_1)
	v_mov_b32_dpp v203, v202 row_shr:2 row_mask:0xf bank_mask:0xf
	v_cndmask_b32_e64 v203, 0, v203, s9
	s_delay_alu instid0(VALU_DEP_1) | instskip(NEXT) | instid1(VALU_DEP_1)
	v_add_nc_u32_e32 v202, v202, v203
	v_mov_b32_dpp v203, v202 row_shr:4 row_mask:0xf bank_mask:0xf
	s_delay_alu instid0(VALU_DEP_1) | instskip(NEXT) | instid1(VALU_DEP_1)
	v_cndmask_b32_e64 v203, 0, v203, s10
	v_add_nc_u32_e32 v202, v202, v203
	s_delay_alu instid0(VALU_DEP_1) | instskip(NEXT) | instid1(VALU_DEP_1)
	v_mov_b32_dpp v203, v202 row_shr:8 row_mask:0xf bank_mask:0xf
	v_cndmask_b32_e64 v203, 0, v203, s11
	s_delay_alu instid0(VALU_DEP_1) | instskip(SKIP_3) | instid1(VALU_DEP_1)
	v_add_nc_u32_e32 v202, v202, v203
	ds_swizzle_b32 v203, v202 offset:swizzle(BROADCAST,32,15)
	s_wait_dscnt 0x0
	v_cndmask_b32_e64 v203, v203, 0, s12
	v_add_nc_u32_e32 v202, v202, v203
	s_and_saveexec_b32 s17, s2
; %bb.795:                              ;   in Loop: Header=BB1627_722 Depth=2
	ds_store_b32 v83, v202 offset:512
; %bb.796:                              ;   in Loop: Header=BB1627_722 Depth=2
	s_or_b32 exec_lo, exec_lo, s17
	s_wait_dscnt 0x0
	s_barrier_signal -1
	s_barrier_wait -1
	s_and_saveexec_b32 s17, s3
	s_cbranch_execz .LBB1627_798
; %bb.797:                              ;   in Loop: Header=BB1627_722 Depth=2
	ds_load_b32 v203, v92 offset:512
	s_wait_dscnt 0x0
	v_mov_b32_dpp v204, v203 row_shr:1 row_mask:0xf bank_mask:0xf
	s_delay_alu instid0(VALU_DEP_1) | instskip(NEXT) | instid1(VALU_DEP_1)
	v_cndmask_b32_e64 v204, v204, 0, s14
	v_add_nc_u32_e32 v203, v204, v203
	s_delay_alu instid0(VALU_DEP_1) | instskip(NEXT) | instid1(VALU_DEP_1)
	v_mov_b32_dpp v204, v203 row_shr:2 row_mask:0xf bank_mask:0xf
	v_cndmask_b32_e64 v204, 0, v204, s15
	s_delay_alu instid0(VALU_DEP_1) | instskip(NEXT) | instid1(VALU_DEP_1)
	v_add_nc_u32_e32 v203, v203, v204
	v_mov_b32_dpp v204, v203 row_shr:4 row_mask:0xf bank_mask:0xf
	s_delay_alu instid0(VALU_DEP_1) | instskip(NEXT) | instid1(VALU_DEP_1)
	v_cndmask_b32_e64 v204, 0, v204, s16
	v_add_nc_u32_e32 v203, v203, v204
	ds_store_b32 v92, v203 offset:512
.LBB1627_798:                           ;   in Loop: Header=BB1627_722 Depth=2
	s_or_b32 exec_lo, exec_lo, s17
	v_mov_b32_e32 v203, 0
	s_wait_dscnt 0x0
	s_barrier_signal -1
	s_barrier_wait -1
	s_and_saveexec_b32 s17, s5
; %bb.799:                              ;   in Loop: Header=BB1627_722 Depth=2
	ds_load_b32 v203, v83 offset:508
; %bb.800:                              ;   in Loop: Header=BB1627_722 Depth=2
	s_or_b32 exec_lo, exec_lo, s17
	s_wait_dscnt 0x0
	v_add_nc_u32_e32 v202, v203, v202
	ds_bpermute_b32 v202, v96, v202
	s_wait_dscnt 0x0
	v_cndmask_b32_e64 v202, v202, v203, s13
	s_delay_alu instid0(VALU_DEP_1) | instskip(NEXT) | instid1(VALU_DEP_1)
	v_cndmask_b32_e64 v202, v202, 0, s6
	v_add_nc_u32_e32 v64, v202, v64
	s_delay_alu instid0(VALU_DEP_1) | instskip(NEXT) | instid1(VALU_DEP_1)
	v_add_nc_u32_e32 v65, v64, v65
	v_add_nc_u32_e32 v62, v65, v62
	s_delay_alu instid0(VALU_DEP_1)
	v_add_nc_u32_e32 v63, v62, v63
	ds_store_2addr_b32 v90, v202, v64 offset0:136 offset1:137
	ds_store_2addr_b32 v90, v65, v62 offset0:138 offset1:139
	ds_store_b32 v90, v63 offset:560
	s_wait_dscnt 0x0
	s_barrier_signal -1
	s_barrier_wait -1
	ds_load_b32 v62, v155 offset:544
	ds_load_b32 v63, v158 offset:544
	;; [unrolled: 1-line block ×17, first 2 shown]
	s_and_saveexec_b32 s17, s0
	s_cbranch_execz .LBB1627_804
; %bb.801:                              ;   in Loop: Header=BB1627_722 Depth=2
	v_dual_mov_b32 v133, 0x1100 :: v_dual_add_nc_u32 v132, v92, v94
	ds_load_b32 v132, v132 offset:544
	s_and_saveexec_b32 s18, s7
; %bb.802:                              ;   in Loop: Header=BB1627_722 Depth=2
	ds_load_b32 v133, v93 offset:544
; %bb.803:                              ;   in Loop: Header=BB1627_722 Depth=2
	s_or_b32 exec_lo, exec_lo, s18
	s_wait_dscnt 0x0
	v_sub_nc_u32_e32 v133, v133, v132
.LBB1627_804:                           ;   in Loop: Header=BB1627_722 Depth=2
	s_or_b32 exec_lo, exec_lo, s17
	s_wait_dscnt 0x0
	s_barrier_signal -1
	s_barrier_wait -1
	s_and_saveexec_b32 s17, s0
	s_cbranch_execz .LBB1627_806
; %bb.805:                              ;   in Loop: Header=BB1627_722 Depth=2
	ds_load_b32 v161, v66
	s_wait_dscnt 0x0
	v_sub_nc_u32_e32 v161, v161, v132
	ds_store_b32 v66, v161
.LBB1627_806:                           ;   in Loop: Header=BB1627_722 Depth=2
	s_or_b32 exec_lo, exec_lo, s17
	v_add_nc_u32_e32 v166, v62, v152
	v_add3_u32 v165, v154, v153, v63
	v_add3_u32 v164, v157, v156, v64
	;; [unrolled: 1-line block ×16, first 2 shown]
	v_cmp_lt_u32_e32 vcc_lo, v2, v134
	ds_store_b8 v166, v135 offset:512
	ds_store_b8 v165, v136 offset:512
	;; [unrolled: 1-line block ×17, first 2 shown]
	s_wait_dscnt 0x0
	s_barrier_signal -1
	s_barrier_wait -1
	s_and_saveexec_b32 s17, vcc_lo
	s_cbranch_execnz .LBB1627_879
; %bb.807:                              ;   in Loop: Header=BB1627_722 Depth=2
	s_or_b32 exec_lo, exec_lo, s17
	v_cmp_lt_u32_e64 s17, v67, v134
	s_and_saveexec_b32 s18, s17
	s_cbranch_execnz .LBB1627_880
.LBB1627_808:                           ;   in Loop: Header=BB1627_722 Depth=2
	s_or_b32 exec_lo, exec_lo, s18
	v_cmp_lt_u32_e64 s18, v68, v134
	s_and_saveexec_b32 s19, s18
	s_cbranch_execnz .LBB1627_881
.LBB1627_809:                           ;   in Loop: Header=BB1627_722 Depth=2
	s_or_b32 exec_lo, exec_lo, s19
	v_cmp_lt_u32_e64 s19, v69, v134
	s_and_saveexec_b32 s20, s19
	s_cbranch_execnz .LBB1627_882
.LBB1627_810:                           ;   in Loop: Header=BB1627_722 Depth=2
	s_or_b32 exec_lo, exec_lo, s20
	v_cmp_lt_u32_e64 s20, v70, v134
	s_and_saveexec_b32 s21, s20
	s_cbranch_execnz .LBB1627_883
.LBB1627_811:                           ;   in Loop: Header=BB1627_722 Depth=2
	s_or_b32 exec_lo, exec_lo, s21
	v_cmp_lt_u32_e64 s21, v71, v134
	s_and_saveexec_b32 s22, s21
	s_cbranch_execnz .LBB1627_884
.LBB1627_812:                           ;   in Loop: Header=BB1627_722 Depth=2
	s_or_b32 exec_lo, exec_lo, s22
	v_cmp_lt_u32_e64 s22, v72, v134
	s_and_saveexec_b32 s23, s22
	s_cbranch_execnz .LBB1627_885
.LBB1627_813:                           ;   in Loop: Header=BB1627_722 Depth=2
	s_or_b32 exec_lo, exec_lo, s23
	v_cmp_lt_u32_e64 s23, v73, v134
	s_and_saveexec_b32 s24, s23
	s_cbranch_execnz .LBB1627_886
.LBB1627_814:                           ;   in Loop: Header=BB1627_722 Depth=2
	s_or_b32 exec_lo, exec_lo, s24
	v_cmp_lt_u32_e64 s24, v74, v134
	s_and_saveexec_b32 s25, s24
	s_cbranch_execnz .LBB1627_887
.LBB1627_815:                           ;   in Loop: Header=BB1627_722 Depth=2
	s_or_b32 exec_lo, exec_lo, s25
	v_cmp_lt_u32_e64 s25, v75, v134
	s_and_saveexec_b32 s26, s25
	s_cbranch_execnz .LBB1627_888
.LBB1627_816:                           ;   in Loop: Header=BB1627_722 Depth=2
	s_or_b32 exec_lo, exec_lo, s26
	v_cmp_lt_u32_e64 s26, v76, v134
	s_and_saveexec_b32 s27, s26
	s_cbranch_execnz .LBB1627_889
.LBB1627_817:                           ;   in Loop: Header=BB1627_722 Depth=2
	s_or_b32 exec_lo, exec_lo, s27
	v_cmp_lt_u32_e64 s27, v77, v134
	s_and_saveexec_b32 s28, s27
	s_cbranch_execnz .LBB1627_890
.LBB1627_818:                           ;   in Loop: Header=BB1627_722 Depth=2
	s_or_b32 exec_lo, exec_lo, s28
	v_cmp_lt_u32_e64 s28, v78, v134
	s_and_saveexec_b32 s29, s28
	s_cbranch_execnz .LBB1627_891
.LBB1627_819:                           ;   in Loop: Header=BB1627_722 Depth=2
	s_or_b32 exec_lo, exec_lo, s29
	v_cmp_lt_u32_e64 s29, v79, v134
	s_and_saveexec_b32 s30, s29
	s_cbranch_execnz .LBB1627_892
.LBB1627_820:                           ;   in Loop: Header=BB1627_722 Depth=2
	s_or_b32 exec_lo, exec_lo, s30
	v_cmp_lt_u32_e64 s30, v80, v134
	s_and_saveexec_b32 s31, s30
	s_cbranch_execnz .LBB1627_893
.LBB1627_821:                           ;   in Loop: Header=BB1627_722 Depth=2
	s_or_b32 exec_lo, exec_lo, s31
	v_cmp_lt_u32_e64 s31, v81, v134
	s_and_saveexec_b32 s33, s31
	s_cbranch_execnz .LBB1627_894
.LBB1627_822:                           ;   in Loop: Header=BB1627_722 Depth=2
	s_or_b32 exec_lo, exec_lo, s33
	v_cmp_lt_u32_e64 s33, v82, v134
	s_and_saveexec_b32 s60, s33
	s_cbranch_execz .LBB1627_824
.LBB1627_823:                           ;   in Loop: Header=BB1627_722 Depth=2
	ds_load_u8 v62, v2 offset:4608
	s_wait_dscnt 0x0
	v_and_b32_e32 v63, 1, v62
	s_delay_alu instid0(VALU_DEP_1) | instskip(NEXT) | instid1(VALU_DEP_1)
	v_lshrrev_b32_e32 v63, s49, v63
	v_and_b32_e32 v63, s48, v63
	s_delay_alu instid0(VALU_DEP_1)
	v_lshlrev_b32_e32 v63, 2, v63
	ds_load_b32 v63, v63
	s_wait_dscnt 0x0
	v_add_nc_u32_e32 v63, v63, v82
	global_store_b8 v63, v62, s[38:39]
.LBB1627_824:                           ;   in Loop: Header=BB1627_722 Depth=2
	s_wait_xcnt 0x0
	s_or_b32 exec_lo, exec_lo, s60
	v_lshl_add_u64 v[62:63], s[34:35], 3, v[24:25]
	v_cmp_lt_u32_e64 s34, v97, v134
	s_and_saveexec_b32 s60, s34
	s_delay_alu instid0(SALU_CYCLE_1)
	s_xor_b32 s34, exec_lo, s60
	s_cbranch_execnz .LBB1627_895
; %bb.825:                              ;   in Loop: Header=BB1627_722 Depth=2
	s_or_b32 exec_lo, exec_lo, s34
	s_delay_alu instid0(SALU_CYCLE_1)
	s_mov_b32 s60, exec_lo
	v_cmpx_lt_u32_e64 v98, v134
	s_cbranch_execnz .LBB1627_896
.LBB1627_826:                           ;   in Loop: Header=BB1627_722 Depth=2
	s_or_b32 exec_lo, exec_lo, s60
	s_delay_alu instid0(SALU_CYCLE_1)
	s_mov_b32 s60, exec_lo
	v_cmpx_lt_u32_e64 v99, v134
	s_cbranch_execnz .LBB1627_897
.LBB1627_827:                           ;   in Loop: Header=BB1627_722 Depth=2
	s_or_b32 exec_lo, exec_lo, s60
	s_delay_alu instid0(SALU_CYCLE_1)
	s_mov_b32 s60, exec_lo
	v_cmpx_lt_u32_e64 v100, v134
	s_cbranch_execnz .LBB1627_898
.LBB1627_828:                           ;   in Loop: Header=BB1627_722 Depth=2
	s_or_b32 exec_lo, exec_lo, s60
	s_delay_alu instid0(SALU_CYCLE_1)
	s_mov_b32 s60, exec_lo
	v_cmpx_lt_u32_e64 v101, v134
	s_cbranch_execnz .LBB1627_899
.LBB1627_829:                           ;   in Loop: Header=BB1627_722 Depth=2
	s_or_b32 exec_lo, exec_lo, s60
	s_delay_alu instid0(SALU_CYCLE_1)
	s_mov_b32 s60, exec_lo
	v_cmpx_lt_u32_e64 v102, v134
	s_cbranch_execnz .LBB1627_900
.LBB1627_830:                           ;   in Loop: Header=BB1627_722 Depth=2
	s_or_b32 exec_lo, exec_lo, s60
	s_delay_alu instid0(SALU_CYCLE_1)
	s_mov_b32 s60, exec_lo
	v_cmpx_lt_u32_e64 v103, v134
	s_cbranch_execnz .LBB1627_901
.LBB1627_831:                           ;   in Loop: Header=BB1627_722 Depth=2
	s_or_b32 exec_lo, exec_lo, s60
	s_delay_alu instid0(SALU_CYCLE_1)
	s_mov_b32 s60, exec_lo
	v_cmpx_lt_u32_e64 v104, v134
	s_cbranch_execnz .LBB1627_902
.LBB1627_832:                           ;   in Loop: Header=BB1627_722 Depth=2
	s_or_b32 exec_lo, exec_lo, s60
	s_delay_alu instid0(SALU_CYCLE_1)
	s_mov_b32 s60, exec_lo
	v_cmpx_lt_u32_e64 v105, v134
	s_cbranch_execnz .LBB1627_903
.LBB1627_833:                           ;   in Loop: Header=BB1627_722 Depth=2
	s_or_b32 exec_lo, exec_lo, s60
	s_delay_alu instid0(SALU_CYCLE_1)
	s_mov_b32 s60, exec_lo
	v_cmpx_lt_u32_e64 v106, v134
	s_cbranch_execnz .LBB1627_904
.LBB1627_834:                           ;   in Loop: Header=BB1627_722 Depth=2
	s_or_b32 exec_lo, exec_lo, s60
	s_delay_alu instid0(SALU_CYCLE_1)
	s_mov_b32 s60, exec_lo
	v_cmpx_lt_u32_e64 v107, v134
	s_cbranch_execnz .LBB1627_905
.LBB1627_835:                           ;   in Loop: Header=BB1627_722 Depth=2
	s_or_b32 exec_lo, exec_lo, s60
	s_delay_alu instid0(SALU_CYCLE_1)
	s_mov_b32 s60, exec_lo
	v_cmpx_lt_u32_e64 v108, v134
	s_cbranch_execnz .LBB1627_906
.LBB1627_836:                           ;   in Loop: Header=BB1627_722 Depth=2
	s_or_b32 exec_lo, exec_lo, s60
	s_delay_alu instid0(SALU_CYCLE_1)
	s_mov_b32 s60, exec_lo
	v_cmpx_lt_u32_e64 v109, v134
	s_cbranch_execnz .LBB1627_907
.LBB1627_837:                           ;   in Loop: Header=BB1627_722 Depth=2
	s_or_b32 exec_lo, exec_lo, s60
	s_delay_alu instid0(SALU_CYCLE_1)
	s_mov_b32 s60, exec_lo
	v_cmpx_lt_u32_e64 v110, v134
	s_cbranch_execnz .LBB1627_908
.LBB1627_838:                           ;   in Loop: Header=BB1627_722 Depth=2
	s_or_b32 exec_lo, exec_lo, s60
	s_delay_alu instid0(SALU_CYCLE_1)
	s_mov_b32 s60, exec_lo
	v_cmpx_lt_u32_e64 v111, v134
	s_cbranch_execnz .LBB1627_909
.LBB1627_839:                           ;   in Loop: Header=BB1627_722 Depth=2
	s_or_b32 exec_lo, exec_lo, s60
	s_delay_alu instid0(SALU_CYCLE_1)
	s_mov_b32 s60, exec_lo
	v_cmpx_lt_u32_e64 v112, v134
	s_cbranch_execnz .LBB1627_910
.LBB1627_840:                           ;   in Loop: Header=BB1627_722 Depth=2
	s_or_b32 exec_lo, exec_lo, s60
	s_delay_alu instid0(SALU_CYCLE_1)
	s_mov_b32 s60, exec_lo
	v_cmpx_lt_u32_e64 v113, v134
	s_cbranch_execnz .LBB1627_911
.LBB1627_841:                           ;   in Loop: Header=BB1627_722 Depth=2
	s_or_b32 exec_lo, exec_lo, s60
	s_and_saveexec_b32 s34, vcc_lo
	s_cbranch_execnz .LBB1627_912
.LBB1627_842:                           ;   in Loop: Header=BB1627_722 Depth=2
	s_or_b32 exec_lo, exec_lo, s34
	s_and_saveexec_b32 s34, s17
	s_cbranch_execnz .LBB1627_913
.LBB1627_843:                           ;   in Loop: Header=BB1627_722 Depth=2
	s_or_b32 exec_lo, exec_lo, s34
	s_and_saveexec_b32 s34, s18
	s_cbranch_execnz .LBB1627_914
.LBB1627_844:                           ;   in Loop: Header=BB1627_722 Depth=2
	s_or_b32 exec_lo, exec_lo, s34
	s_and_saveexec_b32 s34, s19
	s_cbranch_execnz .LBB1627_915
.LBB1627_845:                           ;   in Loop: Header=BB1627_722 Depth=2
	s_or_b32 exec_lo, exec_lo, s34
	s_and_saveexec_b32 s34, s20
	s_cbranch_execnz .LBB1627_916
.LBB1627_846:                           ;   in Loop: Header=BB1627_722 Depth=2
	s_or_b32 exec_lo, exec_lo, s34
	s_and_saveexec_b32 s34, s21
	s_cbranch_execnz .LBB1627_917
.LBB1627_847:                           ;   in Loop: Header=BB1627_722 Depth=2
	s_or_b32 exec_lo, exec_lo, s34
	s_and_saveexec_b32 s34, s22
	s_cbranch_execnz .LBB1627_918
.LBB1627_848:                           ;   in Loop: Header=BB1627_722 Depth=2
	s_or_b32 exec_lo, exec_lo, s34
	s_and_saveexec_b32 s34, s23
	s_cbranch_execnz .LBB1627_919
.LBB1627_849:                           ;   in Loop: Header=BB1627_722 Depth=2
	s_or_b32 exec_lo, exec_lo, s34
	s_and_saveexec_b32 s34, s24
	s_cbranch_execnz .LBB1627_920
.LBB1627_850:                           ;   in Loop: Header=BB1627_722 Depth=2
	s_or_b32 exec_lo, exec_lo, s34
	s_and_saveexec_b32 s34, s25
	s_cbranch_execnz .LBB1627_921
.LBB1627_851:                           ;   in Loop: Header=BB1627_722 Depth=2
	s_or_b32 exec_lo, exec_lo, s34
	s_and_saveexec_b32 s34, s26
	s_cbranch_execnz .LBB1627_922
.LBB1627_852:                           ;   in Loop: Header=BB1627_722 Depth=2
	s_or_b32 exec_lo, exec_lo, s34
	s_and_saveexec_b32 s34, s27
	s_cbranch_execnz .LBB1627_923
.LBB1627_853:                           ;   in Loop: Header=BB1627_722 Depth=2
	s_or_b32 exec_lo, exec_lo, s34
	s_and_saveexec_b32 s34, s28
	s_cbranch_execnz .LBB1627_924
.LBB1627_854:                           ;   in Loop: Header=BB1627_722 Depth=2
	s_or_b32 exec_lo, exec_lo, s34
	s_and_saveexec_b32 s34, s29
	s_cbranch_execnz .LBB1627_925
.LBB1627_855:                           ;   in Loop: Header=BB1627_722 Depth=2
	s_or_b32 exec_lo, exec_lo, s34
	s_and_saveexec_b32 s34, s30
	s_cbranch_execnz .LBB1627_926
.LBB1627_856:                           ;   in Loop: Header=BB1627_722 Depth=2
	s_or_b32 exec_lo, exec_lo, s34
	s_and_saveexec_b32 s34, s31
	s_cbranch_execnz .LBB1627_927
.LBB1627_857:                           ;   in Loop: Header=BB1627_722 Depth=2
	s_or_b32 exec_lo, exec_lo, s34
	s_and_saveexec_b32 s34, s33
	s_cbranch_execz .LBB1627_859
.LBB1627_858:                           ;   in Loop: Header=BB1627_722 Depth=2
	ds_load_u8 v62, v2 offset:4608
	s_wait_dscnt 0x0
	v_lshrrev_b32_e32 v62, s49, v62
	s_delay_alu instid0(VALU_DEP_1)
	v_and_b32_e32 v115, s48, v62
.LBB1627_859:                           ;   in Loop: Header=BB1627_722 Depth=2
	s_or_b32 exec_lo, exec_lo, s34
	v_dual_lshlrev_b32 v62, 3, v166 :: v_dual_lshlrev_b32 v63, 3, v165
	s_wait_loadcnt 0x0
	s_wait_storecnt 0x0
	s_barrier_signal -1
	s_barrier_wait -1
	ds_store_b64 v62, v[60:61] offset:512
	ds_store_b64 v63, v[58:59] offset:512
	v_dual_lshlrev_b32 v62, 3, v164 :: v_dual_lshlrev_b32 v63, 3, v163
	v_dual_lshlrev_b32 v134, 3, v162 :: v_dual_lshlrev_b32 v135, 3, v161
	v_lshlrev_b32_e32 v136, 3, v160
	ds_store_b64 v62, v[56:57] offset:512
	ds_store_b64 v63, v[54:55] offset:512
	ds_store_b64 v134, v[52:53] offset:512
	ds_store_b64 v135, v[50:51] offset:512
	ds_store_b64 v136, v[48:49] offset:512
	v_dual_lshlrev_b32 v62, 3, v159 :: v_dual_lshlrev_b32 v63, 3, v158
	v_dual_lshlrev_b32 v134, 3, v157 :: v_dual_lshlrev_b32 v135, 3, v156
	v_lshlrev_b32_e32 v136, 3, v155
	ds_store_b64 v62, v[46:47] offset:512
	ds_store_b64 v63, v[44:45] offset:512
	ds_store_b64 v134, v[42:43] offset:512
	;; [unrolled: 8-line block ×3, first 2 shown]
	ds_store_b64 v65, v[30:31] offset:512
	ds_store_b64 v64, v[28:29] offset:512
	s_wait_dscnt 0x0
	s_barrier_signal -1
	s_barrier_wait -1
	s_and_saveexec_b32 s34, vcc_lo
	s_cbranch_execnz .LBB1627_928
; %bb.860:                              ;   in Loop: Header=BB1627_722 Depth=2
	s_or_b32 exec_lo, exec_lo, s34
	s_and_saveexec_b32 s34, s17
	s_cbranch_execnz .LBB1627_929
.LBB1627_861:                           ;   in Loop: Header=BB1627_722 Depth=2
	s_or_b32 exec_lo, exec_lo, s34
	s_and_saveexec_b32 s17, s18
	s_cbranch_execnz .LBB1627_930
.LBB1627_862:                           ;   in Loop: Header=BB1627_722 Depth=2
	s_or_b32 exec_lo, exec_lo, s17
	s_and_saveexec_b32 s17, s19
	s_cbranch_execnz .LBB1627_931
.LBB1627_863:                           ;   in Loop: Header=BB1627_722 Depth=2
	s_or_b32 exec_lo, exec_lo, s17
	s_and_saveexec_b32 s17, s20
	s_cbranch_execnz .LBB1627_932
.LBB1627_864:                           ;   in Loop: Header=BB1627_722 Depth=2
	s_or_b32 exec_lo, exec_lo, s17
	s_and_saveexec_b32 s17, s21
	s_cbranch_execnz .LBB1627_933
.LBB1627_865:                           ;   in Loop: Header=BB1627_722 Depth=2
	s_or_b32 exec_lo, exec_lo, s17
	s_and_saveexec_b32 s17, s22
	s_cbranch_execnz .LBB1627_934
.LBB1627_866:                           ;   in Loop: Header=BB1627_722 Depth=2
	s_or_b32 exec_lo, exec_lo, s17
	s_and_saveexec_b32 s17, s23
	s_cbranch_execnz .LBB1627_935
.LBB1627_867:                           ;   in Loop: Header=BB1627_722 Depth=2
	s_or_b32 exec_lo, exec_lo, s17
	s_and_saveexec_b32 s17, s24
	s_cbranch_execnz .LBB1627_936
.LBB1627_868:                           ;   in Loop: Header=BB1627_722 Depth=2
	s_or_b32 exec_lo, exec_lo, s17
	s_and_saveexec_b32 s17, s25
	s_cbranch_execnz .LBB1627_937
.LBB1627_869:                           ;   in Loop: Header=BB1627_722 Depth=2
	s_or_b32 exec_lo, exec_lo, s17
	s_and_saveexec_b32 s17, s26
	s_cbranch_execnz .LBB1627_938
.LBB1627_870:                           ;   in Loop: Header=BB1627_722 Depth=2
	s_or_b32 exec_lo, exec_lo, s17
	s_and_saveexec_b32 s17, s27
	s_cbranch_execnz .LBB1627_939
.LBB1627_871:                           ;   in Loop: Header=BB1627_722 Depth=2
	s_or_b32 exec_lo, exec_lo, s17
	s_and_saveexec_b32 s17, s28
	s_cbranch_execnz .LBB1627_940
.LBB1627_872:                           ;   in Loop: Header=BB1627_722 Depth=2
	s_or_b32 exec_lo, exec_lo, s17
	s_and_saveexec_b32 s17, s29
	s_cbranch_execnz .LBB1627_941
.LBB1627_873:                           ;   in Loop: Header=BB1627_722 Depth=2
	s_or_b32 exec_lo, exec_lo, s17
	s_and_saveexec_b32 s17, s30
	s_cbranch_execnz .LBB1627_942
.LBB1627_874:                           ;   in Loop: Header=BB1627_722 Depth=2
	s_or_b32 exec_lo, exec_lo, s17
	s_and_saveexec_b32 s17, s31
	s_cbranch_execnz .LBB1627_943
.LBB1627_875:                           ;   in Loop: Header=BB1627_722 Depth=2
	s_or_b32 exec_lo, exec_lo, s17
	s_and_saveexec_b32 s17, s33
	s_cbranch_execz .LBB1627_877
.LBB1627_876:                           ;   in Loop: Header=BB1627_722 Depth=2
	v_lshlrev_b32_e32 v62, 2, v115
	v_add_nc_u32_e32 v63, v2, v95
	ds_load_b32 v64, v62
	ds_load_b64 v[62:63], v63 offset:33280
	s_wait_dscnt 0x1
	v_add_nc_u32_e32 v64, v64, v82
	s_wait_dscnt 0x0
	global_store_b64 v64, v[62:63], s[44:45] scale_offset
.LBB1627_877:                           ;   in Loop: Header=BB1627_722 Depth=2
	s_wait_xcnt 0x0
	s_or_b32 exec_lo, exec_lo, s17
	s_wait_storecnt 0x0
	s_barrier_signal -1
	s_barrier_wait -1
	s_and_saveexec_b32 s17, s0
	s_cbranch_execz .LBB1627_721
; %bb.878:                              ;   in Loop: Header=BB1627_722 Depth=2
	ds_load_b32 v62, v66
	s_wait_dscnt 0x0
	v_add3_u32 v62, v132, v133, v62
	ds_store_b32 v66, v62
	s_branch .LBB1627_721
.LBB1627_879:                           ;   in Loop: Header=BB1627_722 Depth=2
	ds_load_u8 v62, v2 offset:512
	s_wait_dscnt 0x0
	v_and_b32_e32 v63, 1, v62
	s_delay_alu instid0(VALU_DEP_1) | instskip(NEXT) | instid1(VALU_DEP_1)
	v_lshrrev_b32_e32 v63, s49, v63
	v_and_b32_e32 v63, s48, v63
	s_delay_alu instid0(VALU_DEP_1)
	v_lshlrev_b32_e32 v63, 2, v63
	ds_load_b32 v63, v63
	s_wait_dscnt 0x0
	v_add_nc_u32_e32 v63, v63, v2
	global_store_b8 v63, v62, s[38:39]
	s_wait_xcnt 0x0
	s_or_b32 exec_lo, exec_lo, s17
	v_cmp_lt_u32_e64 s17, v67, v134
	s_and_saveexec_b32 s18, s17
	s_cbranch_execz .LBB1627_808
.LBB1627_880:                           ;   in Loop: Header=BB1627_722 Depth=2
	ds_load_u8 v62, v2 offset:768
	s_wait_dscnt 0x0
	v_and_b32_e32 v63, 1, v62
	s_delay_alu instid0(VALU_DEP_1) | instskip(NEXT) | instid1(VALU_DEP_1)
	v_lshrrev_b32_e32 v63, s49, v63
	v_and_b32_e32 v63, s48, v63
	s_delay_alu instid0(VALU_DEP_1)
	v_lshlrev_b32_e32 v63, 2, v63
	ds_load_b32 v63, v63
	s_wait_dscnt 0x0
	v_add_nc_u32_e32 v63, v63, v67
	global_store_b8 v63, v62, s[38:39]
	s_wait_xcnt 0x0
	s_or_b32 exec_lo, exec_lo, s18
	v_cmp_lt_u32_e64 s18, v68, v134
	s_and_saveexec_b32 s19, s18
	s_cbranch_execz .LBB1627_809
.LBB1627_881:                           ;   in Loop: Header=BB1627_722 Depth=2
	ds_load_u8 v62, v2 offset:1024
	s_wait_dscnt 0x0
	v_and_b32_e32 v63, 1, v62
	s_delay_alu instid0(VALU_DEP_1) | instskip(NEXT) | instid1(VALU_DEP_1)
	v_lshrrev_b32_e32 v63, s49, v63
	v_and_b32_e32 v63, s48, v63
	s_delay_alu instid0(VALU_DEP_1)
	v_lshlrev_b32_e32 v63, 2, v63
	ds_load_b32 v63, v63
	s_wait_dscnt 0x0
	v_add_nc_u32_e32 v63, v63, v68
	global_store_b8 v63, v62, s[38:39]
	s_wait_xcnt 0x0
	s_or_b32 exec_lo, exec_lo, s19
	v_cmp_lt_u32_e64 s19, v69, v134
	s_and_saveexec_b32 s20, s19
	s_cbranch_execz .LBB1627_810
.LBB1627_882:                           ;   in Loop: Header=BB1627_722 Depth=2
	ds_load_u8 v62, v2 offset:1280
	s_wait_dscnt 0x0
	v_and_b32_e32 v63, 1, v62
	s_delay_alu instid0(VALU_DEP_1) | instskip(NEXT) | instid1(VALU_DEP_1)
	v_lshrrev_b32_e32 v63, s49, v63
	v_and_b32_e32 v63, s48, v63
	s_delay_alu instid0(VALU_DEP_1)
	v_lshlrev_b32_e32 v63, 2, v63
	ds_load_b32 v63, v63
	s_wait_dscnt 0x0
	v_add_nc_u32_e32 v63, v63, v69
	global_store_b8 v63, v62, s[38:39]
	s_wait_xcnt 0x0
	s_or_b32 exec_lo, exec_lo, s20
	v_cmp_lt_u32_e64 s20, v70, v134
	s_and_saveexec_b32 s21, s20
	s_cbranch_execz .LBB1627_811
.LBB1627_883:                           ;   in Loop: Header=BB1627_722 Depth=2
	ds_load_u8 v62, v2 offset:1536
	s_wait_dscnt 0x0
	v_and_b32_e32 v63, 1, v62
	s_delay_alu instid0(VALU_DEP_1) | instskip(NEXT) | instid1(VALU_DEP_1)
	v_lshrrev_b32_e32 v63, s49, v63
	v_and_b32_e32 v63, s48, v63
	s_delay_alu instid0(VALU_DEP_1)
	v_lshlrev_b32_e32 v63, 2, v63
	ds_load_b32 v63, v63
	s_wait_dscnt 0x0
	v_add_nc_u32_e32 v63, v63, v70
	global_store_b8 v63, v62, s[38:39]
	s_wait_xcnt 0x0
	s_or_b32 exec_lo, exec_lo, s21
	v_cmp_lt_u32_e64 s21, v71, v134
	s_and_saveexec_b32 s22, s21
	s_cbranch_execz .LBB1627_812
.LBB1627_884:                           ;   in Loop: Header=BB1627_722 Depth=2
	ds_load_u8 v62, v2 offset:1792
	s_wait_dscnt 0x0
	v_and_b32_e32 v63, 1, v62
	s_delay_alu instid0(VALU_DEP_1) | instskip(NEXT) | instid1(VALU_DEP_1)
	v_lshrrev_b32_e32 v63, s49, v63
	v_and_b32_e32 v63, s48, v63
	s_delay_alu instid0(VALU_DEP_1)
	v_lshlrev_b32_e32 v63, 2, v63
	ds_load_b32 v63, v63
	s_wait_dscnt 0x0
	v_add_nc_u32_e32 v63, v63, v71
	global_store_b8 v63, v62, s[38:39]
	s_wait_xcnt 0x0
	s_or_b32 exec_lo, exec_lo, s22
	v_cmp_lt_u32_e64 s22, v72, v134
	s_and_saveexec_b32 s23, s22
	s_cbranch_execz .LBB1627_813
.LBB1627_885:                           ;   in Loop: Header=BB1627_722 Depth=2
	ds_load_u8 v62, v2 offset:2048
	s_wait_dscnt 0x0
	v_and_b32_e32 v63, 1, v62
	s_delay_alu instid0(VALU_DEP_1) | instskip(NEXT) | instid1(VALU_DEP_1)
	v_lshrrev_b32_e32 v63, s49, v63
	v_and_b32_e32 v63, s48, v63
	s_delay_alu instid0(VALU_DEP_1)
	v_lshlrev_b32_e32 v63, 2, v63
	ds_load_b32 v63, v63
	s_wait_dscnt 0x0
	v_add_nc_u32_e32 v63, v63, v72
	global_store_b8 v63, v62, s[38:39]
	s_wait_xcnt 0x0
	s_or_b32 exec_lo, exec_lo, s23
	v_cmp_lt_u32_e64 s23, v73, v134
	s_and_saveexec_b32 s24, s23
	s_cbranch_execz .LBB1627_814
.LBB1627_886:                           ;   in Loop: Header=BB1627_722 Depth=2
	ds_load_u8 v62, v2 offset:2304
	s_wait_dscnt 0x0
	v_and_b32_e32 v63, 1, v62
	s_delay_alu instid0(VALU_DEP_1) | instskip(NEXT) | instid1(VALU_DEP_1)
	v_lshrrev_b32_e32 v63, s49, v63
	v_and_b32_e32 v63, s48, v63
	s_delay_alu instid0(VALU_DEP_1)
	v_lshlrev_b32_e32 v63, 2, v63
	ds_load_b32 v63, v63
	s_wait_dscnt 0x0
	v_add_nc_u32_e32 v63, v63, v73
	global_store_b8 v63, v62, s[38:39]
	s_wait_xcnt 0x0
	s_or_b32 exec_lo, exec_lo, s24
	v_cmp_lt_u32_e64 s24, v74, v134
	s_and_saveexec_b32 s25, s24
	s_cbranch_execz .LBB1627_815
.LBB1627_887:                           ;   in Loop: Header=BB1627_722 Depth=2
	ds_load_u8 v62, v2 offset:2560
	s_wait_dscnt 0x0
	v_and_b32_e32 v63, 1, v62
	s_delay_alu instid0(VALU_DEP_1) | instskip(NEXT) | instid1(VALU_DEP_1)
	v_lshrrev_b32_e32 v63, s49, v63
	v_and_b32_e32 v63, s48, v63
	s_delay_alu instid0(VALU_DEP_1)
	v_lshlrev_b32_e32 v63, 2, v63
	ds_load_b32 v63, v63
	s_wait_dscnt 0x0
	v_add_nc_u32_e32 v63, v63, v74
	global_store_b8 v63, v62, s[38:39]
	s_wait_xcnt 0x0
	s_or_b32 exec_lo, exec_lo, s25
	v_cmp_lt_u32_e64 s25, v75, v134
	s_and_saveexec_b32 s26, s25
	s_cbranch_execz .LBB1627_816
.LBB1627_888:                           ;   in Loop: Header=BB1627_722 Depth=2
	ds_load_u8 v62, v2 offset:2816
	s_wait_dscnt 0x0
	v_and_b32_e32 v63, 1, v62
	s_delay_alu instid0(VALU_DEP_1) | instskip(NEXT) | instid1(VALU_DEP_1)
	v_lshrrev_b32_e32 v63, s49, v63
	v_and_b32_e32 v63, s48, v63
	s_delay_alu instid0(VALU_DEP_1)
	v_lshlrev_b32_e32 v63, 2, v63
	ds_load_b32 v63, v63
	s_wait_dscnt 0x0
	v_add_nc_u32_e32 v63, v63, v75
	global_store_b8 v63, v62, s[38:39]
	s_wait_xcnt 0x0
	s_or_b32 exec_lo, exec_lo, s26
	v_cmp_lt_u32_e64 s26, v76, v134
	s_and_saveexec_b32 s27, s26
	s_cbranch_execz .LBB1627_817
.LBB1627_889:                           ;   in Loop: Header=BB1627_722 Depth=2
	ds_load_u8 v62, v2 offset:3072
	s_wait_dscnt 0x0
	v_and_b32_e32 v63, 1, v62
	s_delay_alu instid0(VALU_DEP_1) | instskip(NEXT) | instid1(VALU_DEP_1)
	v_lshrrev_b32_e32 v63, s49, v63
	v_and_b32_e32 v63, s48, v63
	s_delay_alu instid0(VALU_DEP_1)
	v_lshlrev_b32_e32 v63, 2, v63
	ds_load_b32 v63, v63
	s_wait_dscnt 0x0
	v_add_nc_u32_e32 v63, v63, v76
	global_store_b8 v63, v62, s[38:39]
	s_wait_xcnt 0x0
	s_or_b32 exec_lo, exec_lo, s27
	v_cmp_lt_u32_e64 s27, v77, v134
	s_and_saveexec_b32 s28, s27
	s_cbranch_execz .LBB1627_818
.LBB1627_890:                           ;   in Loop: Header=BB1627_722 Depth=2
	ds_load_u8 v62, v2 offset:3328
	s_wait_dscnt 0x0
	v_and_b32_e32 v63, 1, v62
	s_delay_alu instid0(VALU_DEP_1) | instskip(NEXT) | instid1(VALU_DEP_1)
	v_lshrrev_b32_e32 v63, s49, v63
	v_and_b32_e32 v63, s48, v63
	s_delay_alu instid0(VALU_DEP_1)
	v_lshlrev_b32_e32 v63, 2, v63
	ds_load_b32 v63, v63
	s_wait_dscnt 0x0
	v_add_nc_u32_e32 v63, v63, v77
	global_store_b8 v63, v62, s[38:39]
	s_wait_xcnt 0x0
	s_or_b32 exec_lo, exec_lo, s28
	v_cmp_lt_u32_e64 s28, v78, v134
	s_and_saveexec_b32 s29, s28
	s_cbranch_execz .LBB1627_819
.LBB1627_891:                           ;   in Loop: Header=BB1627_722 Depth=2
	ds_load_u8 v62, v2 offset:3584
	s_wait_dscnt 0x0
	v_and_b32_e32 v63, 1, v62
	s_delay_alu instid0(VALU_DEP_1) | instskip(NEXT) | instid1(VALU_DEP_1)
	v_lshrrev_b32_e32 v63, s49, v63
	v_and_b32_e32 v63, s48, v63
	s_delay_alu instid0(VALU_DEP_1)
	v_lshlrev_b32_e32 v63, 2, v63
	ds_load_b32 v63, v63
	s_wait_dscnt 0x0
	v_add_nc_u32_e32 v63, v63, v78
	global_store_b8 v63, v62, s[38:39]
	s_wait_xcnt 0x0
	s_or_b32 exec_lo, exec_lo, s29
	v_cmp_lt_u32_e64 s29, v79, v134
	s_and_saveexec_b32 s30, s29
	s_cbranch_execz .LBB1627_820
.LBB1627_892:                           ;   in Loop: Header=BB1627_722 Depth=2
	ds_load_u8 v62, v2 offset:3840
	s_wait_dscnt 0x0
	v_and_b32_e32 v63, 1, v62
	s_delay_alu instid0(VALU_DEP_1) | instskip(NEXT) | instid1(VALU_DEP_1)
	v_lshrrev_b32_e32 v63, s49, v63
	v_and_b32_e32 v63, s48, v63
	s_delay_alu instid0(VALU_DEP_1)
	v_lshlrev_b32_e32 v63, 2, v63
	ds_load_b32 v63, v63
	s_wait_dscnt 0x0
	v_add_nc_u32_e32 v63, v63, v79
	global_store_b8 v63, v62, s[38:39]
	s_wait_xcnt 0x0
	s_or_b32 exec_lo, exec_lo, s30
	v_cmp_lt_u32_e64 s30, v80, v134
	s_and_saveexec_b32 s31, s30
	s_cbranch_execz .LBB1627_821
.LBB1627_893:                           ;   in Loop: Header=BB1627_722 Depth=2
	ds_load_u8 v62, v2 offset:4096
	s_wait_dscnt 0x0
	v_and_b32_e32 v63, 1, v62
	s_delay_alu instid0(VALU_DEP_1) | instskip(NEXT) | instid1(VALU_DEP_1)
	v_lshrrev_b32_e32 v63, s49, v63
	v_and_b32_e32 v63, s48, v63
	s_delay_alu instid0(VALU_DEP_1)
	v_lshlrev_b32_e32 v63, 2, v63
	ds_load_b32 v63, v63
	s_wait_dscnt 0x0
	v_add_nc_u32_e32 v63, v63, v80
	global_store_b8 v63, v62, s[38:39]
	s_wait_xcnt 0x0
	s_or_b32 exec_lo, exec_lo, s31
	v_cmp_lt_u32_e64 s31, v81, v134
	s_and_saveexec_b32 s33, s31
	s_cbranch_execz .LBB1627_822
.LBB1627_894:                           ;   in Loop: Header=BB1627_722 Depth=2
	ds_load_u8 v62, v2 offset:4352
	s_wait_dscnt 0x0
	v_and_b32_e32 v63, 1, v62
	s_delay_alu instid0(VALU_DEP_1) | instskip(NEXT) | instid1(VALU_DEP_1)
	v_lshrrev_b32_e32 v63, s49, v63
	v_and_b32_e32 v63, s48, v63
	s_delay_alu instid0(VALU_DEP_1)
	v_lshlrev_b32_e32 v63, 2, v63
	ds_load_b32 v63, v63
	s_wait_dscnt 0x0
	v_add_nc_u32_e32 v63, v63, v81
	global_store_b8 v63, v62, s[38:39]
	s_wait_xcnt 0x0
	s_or_b32 exec_lo, exec_lo, s33
	v_cmp_lt_u32_e64 s33, v82, v134
	s_and_saveexec_b32 s60, s33
	s_cbranch_execnz .LBB1627_823
	s_branch .LBB1627_824
.LBB1627_895:                           ;   in Loop: Header=BB1627_722 Depth=2
	global_load_b64 v[60:61], v[62:63], off
	s_wait_xcnt 0x0
	s_or_b32 exec_lo, exec_lo, s34
	s_delay_alu instid0(SALU_CYCLE_1)
	s_mov_b32 s60, exec_lo
	v_cmpx_lt_u32_e64 v98, v134
	s_cbranch_execz .LBB1627_826
.LBB1627_896:                           ;   in Loop: Header=BB1627_722 Depth=2
	global_load_b64 v[58:59], v[62:63], off offset:256
	s_wait_xcnt 0x0
	s_or_b32 exec_lo, exec_lo, s60
	s_delay_alu instid0(SALU_CYCLE_1)
	s_mov_b32 s60, exec_lo
	v_cmpx_lt_u32_e64 v99, v134
	s_cbranch_execz .LBB1627_827
.LBB1627_897:                           ;   in Loop: Header=BB1627_722 Depth=2
	global_load_b64 v[56:57], v[62:63], off offset:512
	s_wait_xcnt 0x0
	s_or_b32 exec_lo, exec_lo, s60
	s_delay_alu instid0(SALU_CYCLE_1)
	s_mov_b32 s60, exec_lo
	v_cmpx_lt_u32_e64 v100, v134
	s_cbranch_execz .LBB1627_828
.LBB1627_898:                           ;   in Loop: Header=BB1627_722 Depth=2
	global_load_b64 v[54:55], v[62:63], off offset:768
	s_wait_xcnt 0x0
	s_or_b32 exec_lo, exec_lo, s60
	s_delay_alu instid0(SALU_CYCLE_1)
	s_mov_b32 s60, exec_lo
	v_cmpx_lt_u32_e64 v101, v134
	s_cbranch_execz .LBB1627_829
.LBB1627_899:                           ;   in Loop: Header=BB1627_722 Depth=2
	global_load_b64 v[52:53], v[62:63], off offset:1024
	s_wait_xcnt 0x0
	s_or_b32 exec_lo, exec_lo, s60
	s_delay_alu instid0(SALU_CYCLE_1)
	s_mov_b32 s60, exec_lo
	v_cmpx_lt_u32_e64 v102, v134
	s_cbranch_execz .LBB1627_830
.LBB1627_900:                           ;   in Loop: Header=BB1627_722 Depth=2
	global_load_b64 v[50:51], v[62:63], off offset:1280
	s_wait_xcnt 0x0
	s_or_b32 exec_lo, exec_lo, s60
	s_delay_alu instid0(SALU_CYCLE_1)
	s_mov_b32 s60, exec_lo
	v_cmpx_lt_u32_e64 v103, v134
	s_cbranch_execz .LBB1627_831
.LBB1627_901:                           ;   in Loop: Header=BB1627_722 Depth=2
	global_load_b64 v[48:49], v[62:63], off offset:1536
	s_wait_xcnt 0x0
	s_or_b32 exec_lo, exec_lo, s60
	s_delay_alu instid0(SALU_CYCLE_1)
	s_mov_b32 s60, exec_lo
	v_cmpx_lt_u32_e64 v104, v134
	s_cbranch_execz .LBB1627_832
.LBB1627_902:                           ;   in Loop: Header=BB1627_722 Depth=2
	global_load_b64 v[46:47], v[62:63], off offset:1792
	s_wait_xcnt 0x0
	s_or_b32 exec_lo, exec_lo, s60
	s_delay_alu instid0(SALU_CYCLE_1)
	s_mov_b32 s60, exec_lo
	v_cmpx_lt_u32_e64 v105, v134
	s_cbranch_execz .LBB1627_833
.LBB1627_903:                           ;   in Loop: Header=BB1627_722 Depth=2
	global_load_b64 v[44:45], v[62:63], off offset:2048
	s_wait_xcnt 0x0
	s_or_b32 exec_lo, exec_lo, s60
	s_delay_alu instid0(SALU_CYCLE_1)
	s_mov_b32 s60, exec_lo
	v_cmpx_lt_u32_e64 v106, v134
	s_cbranch_execz .LBB1627_834
.LBB1627_904:                           ;   in Loop: Header=BB1627_722 Depth=2
	global_load_b64 v[42:43], v[62:63], off offset:2304
	s_wait_xcnt 0x0
	s_or_b32 exec_lo, exec_lo, s60
	s_delay_alu instid0(SALU_CYCLE_1)
	s_mov_b32 s60, exec_lo
	v_cmpx_lt_u32_e64 v107, v134
	s_cbranch_execz .LBB1627_835
.LBB1627_905:                           ;   in Loop: Header=BB1627_722 Depth=2
	global_load_b64 v[40:41], v[62:63], off offset:2560
	s_wait_xcnt 0x0
	s_or_b32 exec_lo, exec_lo, s60
	s_delay_alu instid0(SALU_CYCLE_1)
	s_mov_b32 s60, exec_lo
	v_cmpx_lt_u32_e64 v108, v134
	s_cbranch_execz .LBB1627_836
.LBB1627_906:                           ;   in Loop: Header=BB1627_722 Depth=2
	global_load_b64 v[38:39], v[62:63], off offset:2816
	s_wait_xcnt 0x0
	s_or_b32 exec_lo, exec_lo, s60
	s_delay_alu instid0(SALU_CYCLE_1)
	s_mov_b32 s60, exec_lo
	v_cmpx_lt_u32_e64 v109, v134
	s_cbranch_execz .LBB1627_837
.LBB1627_907:                           ;   in Loop: Header=BB1627_722 Depth=2
	global_load_b64 v[36:37], v[62:63], off offset:3072
	s_wait_xcnt 0x0
	s_or_b32 exec_lo, exec_lo, s60
	s_delay_alu instid0(SALU_CYCLE_1)
	s_mov_b32 s60, exec_lo
	v_cmpx_lt_u32_e64 v110, v134
	s_cbranch_execz .LBB1627_838
.LBB1627_908:                           ;   in Loop: Header=BB1627_722 Depth=2
	global_load_b64 v[34:35], v[62:63], off offset:3328
	s_wait_xcnt 0x0
	s_or_b32 exec_lo, exec_lo, s60
	s_delay_alu instid0(SALU_CYCLE_1)
	s_mov_b32 s60, exec_lo
	v_cmpx_lt_u32_e64 v111, v134
	s_cbranch_execz .LBB1627_839
.LBB1627_909:                           ;   in Loop: Header=BB1627_722 Depth=2
	global_load_b64 v[32:33], v[62:63], off offset:3584
	s_wait_xcnt 0x0
	s_or_b32 exec_lo, exec_lo, s60
	s_delay_alu instid0(SALU_CYCLE_1)
	s_mov_b32 s60, exec_lo
	v_cmpx_lt_u32_e64 v112, v134
	s_cbranch_execz .LBB1627_840
.LBB1627_910:                           ;   in Loop: Header=BB1627_722 Depth=2
	global_load_b64 v[30:31], v[62:63], off offset:3840
	s_wait_xcnt 0x0
	s_or_b32 exec_lo, exec_lo, s60
	s_delay_alu instid0(SALU_CYCLE_1)
	s_mov_b32 s60, exec_lo
	v_cmpx_lt_u32_e64 v113, v134
	s_cbranch_execz .LBB1627_841
.LBB1627_911:                           ;   in Loop: Header=BB1627_722 Depth=2
	global_load_b64 v[28:29], v[62:63], off offset:4096
	s_wait_xcnt 0x0
	s_or_b32 exec_lo, exec_lo, s60
	s_and_saveexec_b32 s34, vcc_lo
	s_cbranch_execz .LBB1627_842
.LBB1627_912:                           ;   in Loop: Header=BB1627_722 Depth=2
	ds_load_u8 v62, v2 offset:512
	s_wait_dscnt 0x0
	v_lshrrev_b32_e32 v62, s49, v62
	s_delay_alu instid0(VALU_DEP_1)
	v_and_b32_e32 v131, s48, v62
	s_or_b32 exec_lo, exec_lo, s34
	s_and_saveexec_b32 s34, s17
	s_cbranch_execz .LBB1627_843
.LBB1627_913:                           ;   in Loop: Header=BB1627_722 Depth=2
	ds_load_u8 v62, v2 offset:768
	s_wait_dscnt 0x0
	v_lshrrev_b32_e32 v62, s49, v62
	s_delay_alu instid0(VALU_DEP_1)
	v_and_b32_e32 v130, s48, v62
	s_or_b32 exec_lo, exec_lo, s34
	s_and_saveexec_b32 s34, s18
	s_cbranch_execz .LBB1627_844
.LBB1627_914:                           ;   in Loop: Header=BB1627_722 Depth=2
	ds_load_u8 v62, v2 offset:1024
	s_wait_dscnt 0x0
	v_lshrrev_b32_e32 v62, s49, v62
	s_delay_alu instid0(VALU_DEP_1)
	v_and_b32_e32 v129, s48, v62
	s_or_b32 exec_lo, exec_lo, s34
	s_and_saveexec_b32 s34, s19
	s_cbranch_execz .LBB1627_845
.LBB1627_915:                           ;   in Loop: Header=BB1627_722 Depth=2
	ds_load_u8 v62, v2 offset:1280
	s_wait_dscnt 0x0
	v_lshrrev_b32_e32 v62, s49, v62
	s_delay_alu instid0(VALU_DEP_1)
	v_and_b32_e32 v128, s48, v62
	s_or_b32 exec_lo, exec_lo, s34
	s_and_saveexec_b32 s34, s20
	s_cbranch_execz .LBB1627_846
.LBB1627_916:                           ;   in Loop: Header=BB1627_722 Depth=2
	ds_load_u8 v62, v2 offset:1536
	s_wait_dscnt 0x0
	v_lshrrev_b32_e32 v62, s49, v62
	s_delay_alu instid0(VALU_DEP_1)
	v_and_b32_e32 v127, s48, v62
	s_or_b32 exec_lo, exec_lo, s34
	s_and_saveexec_b32 s34, s21
	s_cbranch_execz .LBB1627_847
.LBB1627_917:                           ;   in Loop: Header=BB1627_722 Depth=2
	ds_load_u8 v62, v2 offset:1792
	s_wait_dscnt 0x0
	v_lshrrev_b32_e32 v62, s49, v62
	s_delay_alu instid0(VALU_DEP_1)
	v_and_b32_e32 v126, s48, v62
	s_or_b32 exec_lo, exec_lo, s34
	s_and_saveexec_b32 s34, s22
	s_cbranch_execz .LBB1627_848
.LBB1627_918:                           ;   in Loop: Header=BB1627_722 Depth=2
	ds_load_u8 v62, v2 offset:2048
	s_wait_dscnt 0x0
	v_lshrrev_b32_e32 v62, s49, v62
	s_delay_alu instid0(VALU_DEP_1)
	v_and_b32_e32 v125, s48, v62
	s_or_b32 exec_lo, exec_lo, s34
	s_and_saveexec_b32 s34, s23
	s_cbranch_execz .LBB1627_849
.LBB1627_919:                           ;   in Loop: Header=BB1627_722 Depth=2
	ds_load_u8 v62, v2 offset:2304
	s_wait_dscnt 0x0
	v_lshrrev_b32_e32 v62, s49, v62
	s_delay_alu instid0(VALU_DEP_1)
	v_and_b32_e32 v124, s48, v62
	s_or_b32 exec_lo, exec_lo, s34
	s_and_saveexec_b32 s34, s24
	s_cbranch_execz .LBB1627_850
.LBB1627_920:                           ;   in Loop: Header=BB1627_722 Depth=2
	ds_load_u8 v62, v2 offset:2560
	s_wait_dscnt 0x0
	v_lshrrev_b32_e32 v62, s49, v62
	s_delay_alu instid0(VALU_DEP_1)
	v_and_b32_e32 v123, s48, v62
	s_or_b32 exec_lo, exec_lo, s34
	s_and_saveexec_b32 s34, s25
	s_cbranch_execz .LBB1627_851
.LBB1627_921:                           ;   in Loop: Header=BB1627_722 Depth=2
	ds_load_u8 v62, v2 offset:2816
	s_wait_dscnt 0x0
	v_lshrrev_b32_e32 v62, s49, v62
	s_delay_alu instid0(VALU_DEP_1)
	v_and_b32_e32 v122, s48, v62
	s_or_b32 exec_lo, exec_lo, s34
	s_and_saveexec_b32 s34, s26
	s_cbranch_execz .LBB1627_852
.LBB1627_922:                           ;   in Loop: Header=BB1627_722 Depth=2
	ds_load_u8 v62, v2 offset:3072
	s_wait_dscnt 0x0
	v_lshrrev_b32_e32 v62, s49, v62
	s_delay_alu instid0(VALU_DEP_1)
	v_and_b32_e32 v121, s48, v62
	s_or_b32 exec_lo, exec_lo, s34
	s_and_saveexec_b32 s34, s27
	s_cbranch_execz .LBB1627_853
.LBB1627_923:                           ;   in Loop: Header=BB1627_722 Depth=2
	ds_load_u8 v62, v2 offset:3328
	s_wait_dscnt 0x0
	v_lshrrev_b32_e32 v62, s49, v62
	s_delay_alu instid0(VALU_DEP_1)
	v_and_b32_e32 v120, s48, v62
	s_or_b32 exec_lo, exec_lo, s34
	s_and_saveexec_b32 s34, s28
	s_cbranch_execz .LBB1627_854
.LBB1627_924:                           ;   in Loop: Header=BB1627_722 Depth=2
	ds_load_u8 v62, v2 offset:3584
	s_wait_dscnt 0x0
	v_lshrrev_b32_e32 v62, s49, v62
	s_delay_alu instid0(VALU_DEP_1)
	v_and_b32_e32 v119, s48, v62
	s_or_b32 exec_lo, exec_lo, s34
	s_and_saveexec_b32 s34, s29
	s_cbranch_execz .LBB1627_855
.LBB1627_925:                           ;   in Loop: Header=BB1627_722 Depth=2
	ds_load_u8 v62, v2 offset:3840
	s_wait_dscnt 0x0
	v_lshrrev_b32_e32 v62, s49, v62
	s_delay_alu instid0(VALU_DEP_1)
	v_and_b32_e32 v118, s48, v62
	s_or_b32 exec_lo, exec_lo, s34
	s_and_saveexec_b32 s34, s30
	s_cbranch_execz .LBB1627_856
.LBB1627_926:                           ;   in Loop: Header=BB1627_722 Depth=2
	ds_load_u8 v62, v2 offset:4096
	s_wait_dscnt 0x0
	v_lshrrev_b32_e32 v62, s49, v62
	s_delay_alu instid0(VALU_DEP_1)
	v_and_b32_e32 v117, s48, v62
	s_or_b32 exec_lo, exec_lo, s34
	s_and_saveexec_b32 s34, s31
	s_cbranch_execz .LBB1627_857
.LBB1627_927:                           ;   in Loop: Header=BB1627_722 Depth=2
	ds_load_u8 v62, v2 offset:4352
	s_wait_dscnt 0x0
	v_lshrrev_b32_e32 v62, s49, v62
	s_delay_alu instid0(VALU_DEP_1)
	v_and_b32_e32 v116, s48, v62
	s_or_b32 exec_lo, exec_lo, s34
	s_and_saveexec_b32 s34, s33
	s_cbranch_execnz .LBB1627_858
	s_branch .LBB1627_859
.LBB1627_928:                           ;   in Loop: Header=BB1627_722 Depth=2
	v_lshlrev_b32_e32 v62, 2, v131
	v_add_nc_u32_e32 v63, v2, v95
	ds_load_b32 v64, v62
	ds_load_b64 v[62:63], v63 offset:512
	s_wait_dscnt 0x1
	v_add_nc_u32_e32 v64, v64, v2
	s_wait_dscnt 0x0
	global_store_b64 v64, v[62:63], s[44:45] scale_offset
	s_wait_xcnt 0x0
	s_or_b32 exec_lo, exec_lo, s34
	s_and_saveexec_b32 s34, s17
	s_cbranch_execz .LBB1627_861
.LBB1627_929:                           ;   in Loop: Header=BB1627_722 Depth=2
	v_dual_lshlrev_b32 v62, 2, v130 :: v_dual_add_nc_u32 v63, v2, v95
	ds_load_b32 v64, v62
	ds_load_b64 v[62:63], v63 offset:2560
	s_wait_dscnt 0x1
	v_add_nc_u32_e32 v64, v64, v67
	s_wait_dscnt 0x0
	global_store_b64 v64, v[62:63], s[44:45] scale_offset
	s_wait_xcnt 0x0
	s_or_b32 exec_lo, exec_lo, s34
	s_and_saveexec_b32 s17, s18
	s_cbranch_execz .LBB1627_862
.LBB1627_930:                           ;   in Loop: Header=BB1627_722 Depth=2
	v_dual_lshlrev_b32 v62, 2, v129 :: v_dual_add_nc_u32 v63, v2, v95
	ds_load_b32 v64, v62
	ds_load_b64 v[62:63], v63 offset:4608
	s_wait_dscnt 0x1
	v_add_nc_u32_e32 v64, v64, v68
	s_wait_dscnt 0x0
	global_store_b64 v64, v[62:63], s[44:45] scale_offset
	s_wait_xcnt 0x0
	s_or_b32 exec_lo, exec_lo, s17
	s_and_saveexec_b32 s17, s19
	s_cbranch_execz .LBB1627_863
.LBB1627_931:                           ;   in Loop: Header=BB1627_722 Depth=2
	v_dual_lshlrev_b32 v62, 2, v128 :: v_dual_add_nc_u32 v63, v2, v95
	ds_load_b32 v64, v62
	ds_load_b64 v[62:63], v63 offset:6656
	s_wait_dscnt 0x1
	v_add_nc_u32_e32 v64, v64, v69
	s_wait_dscnt 0x0
	global_store_b64 v64, v[62:63], s[44:45] scale_offset
	s_wait_xcnt 0x0
	s_or_b32 exec_lo, exec_lo, s17
	s_and_saveexec_b32 s17, s20
	s_cbranch_execz .LBB1627_864
.LBB1627_932:                           ;   in Loop: Header=BB1627_722 Depth=2
	v_lshlrev_b32_e32 v62, 2, v127
	v_add_nc_u32_e32 v63, v2, v95
	ds_load_b32 v64, v62
	ds_load_b64 v[62:63], v63 offset:8704
	s_wait_dscnt 0x1
	v_add_nc_u32_e32 v64, v64, v70
	s_wait_dscnt 0x0
	global_store_b64 v64, v[62:63], s[44:45] scale_offset
	s_wait_xcnt 0x0
	s_or_b32 exec_lo, exec_lo, s17
	s_and_saveexec_b32 s17, s21
	s_cbranch_execz .LBB1627_865
.LBB1627_933:                           ;   in Loop: Header=BB1627_722 Depth=2
	v_dual_lshlrev_b32 v62, 2, v126 :: v_dual_add_nc_u32 v63, v2, v95
	ds_load_b32 v64, v62
	ds_load_b64 v[62:63], v63 offset:10752
	s_wait_dscnt 0x1
	v_add_nc_u32_e32 v64, v64, v71
	s_wait_dscnt 0x0
	global_store_b64 v64, v[62:63], s[44:45] scale_offset
	s_wait_xcnt 0x0
	s_or_b32 exec_lo, exec_lo, s17
	s_and_saveexec_b32 s17, s22
	s_cbranch_execz .LBB1627_866
.LBB1627_934:                           ;   in Loop: Header=BB1627_722 Depth=2
	v_dual_lshlrev_b32 v62, 2, v125 :: v_dual_add_nc_u32 v63, v2, v95
	ds_load_b32 v64, v62
	ds_load_b64 v[62:63], v63 offset:12800
	s_wait_dscnt 0x1
	v_add_nc_u32_e32 v64, v64, v72
	s_wait_dscnt 0x0
	global_store_b64 v64, v[62:63], s[44:45] scale_offset
	s_wait_xcnt 0x0
	s_or_b32 exec_lo, exec_lo, s17
	s_and_saveexec_b32 s17, s23
	s_cbranch_execz .LBB1627_867
.LBB1627_935:                           ;   in Loop: Header=BB1627_722 Depth=2
	v_dual_lshlrev_b32 v62, 2, v124 :: v_dual_add_nc_u32 v63, v2, v95
	ds_load_b32 v64, v62
	ds_load_b64 v[62:63], v63 offset:14848
	s_wait_dscnt 0x1
	v_add_nc_u32_e32 v64, v64, v73
	s_wait_dscnt 0x0
	global_store_b64 v64, v[62:63], s[44:45] scale_offset
	s_wait_xcnt 0x0
	s_or_b32 exec_lo, exec_lo, s17
	s_and_saveexec_b32 s17, s24
	s_cbranch_execz .LBB1627_868
.LBB1627_936:                           ;   in Loop: Header=BB1627_722 Depth=2
	v_lshlrev_b32_e32 v62, 2, v123
	v_add_nc_u32_e32 v63, v2, v95
	ds_load_b32 v64, v62
	ds_load_b64 v[62:63], v63 offset:16896
	s_wait_dscnt 0x1
	v_add_nc_u32_e32 v64, v64, v74
	s_wait_dscnt 0x0
	global_store_b64 v64, v[62:63], s[44:45] scale_offset
	s_wait_xcnt 0x0
	s_or_b32 exec_lo, exec_lo, s17
	s_and_saveexec_b32 s17, s25
	s_cbranch_execz .LBB1627_869
.LBB1627_937:                           ;   in Loop: Header=BB1627_722 Depth=2
	v_dual_lshlrev_b32 v62, 2, v122 :: v_dual_add_nc_u32 v63, v2, v95
	ds_load_b32 v64, v62
	ds_load_b64 v[62:63], v63 offset:18944
	s_wait_dscnt 0x1
	v_add_nc_u32_e32 v64, v64, v75
	s_wait_dscnt 0x0
	global_store_b64 v64, v[62:63], s[44:45] scale_offset
	s_wait_xcnt 0x0
	s_or_b32 exec_lo, exec_lo, s17
	s_and_saveexec_b32 s17, s26
	s_cbranch_execz .LBB1627_870
.LBB1627_938:                           ;   in Loop: Header=BB1627_722 Depth=2
	v_dual_lshlrev_b32 v62, 2, v121 :: v_dual_add_nc_u32 v63, v2, v95
	ds_load_b32 v64, v62
	ds_load_b64 v[62:63], v63 offset:20992
	s_wait_dscnt 0x1
	v_add_nc_u32_e32 v64, v64, v76
	s_wait_dscnt 0x0
	global_store_b64 v64, v[62:63], s[44:45] scale_offset
	s_wait_xcnt 0x0
	s_or_b32 exec_lo, exec_lo, s17
	s_and_saveexec_b32 s17, s27
	s_cbranch_execz .LBB1627_871
.LBB1627_939:                           ;   in Loop: Header=BB1627_722 Depth=2
	v_dual_lshlrev_b32 v62, 2, v120 :: v_dual_add_nc_u32 v63, v2, v95
	ds_load_b32 v64, v62
	ds_load_b64 v[62:63], v63 offset:23040
	s_wait_dscnt 0x1
	v_add_nc_u32_e32 v64, v64, v77
	s_wait_dscnt 0x0
	global_store_b64 v64, v[62:63], s[44:45] scale_offset
	s_wait_xcnt 0x0
	s_or_b32 exec_lo, exec_lo, s17
	s_and_saveexec_b32 s17, s28
	s_cbranch_execz .LBB1627_872
.LBB1627_940:                           ;   in Loop: Header=BB1627_722 Depth=2
	v_lshlrev_b32_e32 v62, 2, v119
	v_add_nc_u32_e32 v63, v2, v95
	ds_load_b32 v64, v62
	ds_load_b64 v[62:63], v63 offset:25088
	s_wait_dscnt 0x1
	v_add_nc_u32_e32 v64, v64, v78
	s_wait_dscnt 0x0
	global_store_b64 v64, v[62:63], s[44:45] scale_offset
	s_wait_xcnt 0x0
	s_or_b32 exec_lo, exec_lo, s17
	s_and_saveexec_b32 s17, s29
	s_cbranch_execz .LBB1627_873
.LBB1627_941:                           ;   in Loop: Header=BB1627_722 Depth=2
	v_dual_lshlrev_b32 v62, 2, v118 :: v_dual_add_nc_u32 v63, v2, v95
	ds_load_b32 v64, v62
	ds_load_b64 v[62:63], v63 offset:27136
	s_wait_dscnt 0x1
	v_add_nc_u32_e32 v64, v64, v79
	s_wait_dscnt 0x0
	global_store_b64 v64, v[62:63], s[44:45] scale_offset
	s_wait_xcnt 0x0
	s_or_b32 exec_lo, exec_lo, s17
	s_and_saveexec_b32 s17, s30
	s_cbranch_execz .LBB1627_874
.LBB1627_942:                           ;   in Loop: Header=BB1627_722 Depth=2
	v_dual_lshlrev_b32 v62, 2, v117 :: v_dual_add_nc_u32 v63, v2, v95
	ds_load_b32 v64, v62
	ds_load_b64 v[62:63], v63 offset:29184
	s_wait_dscnt 0x1
	v_add_nc_u32_e32 v64, v64, v80
	s_wait_dscnt 0x0
	global_store_b64 v64, v[62:63], s[44:45] scale_offset
	s_wait_xcnt 0x0
	s_or_b32 exec_lo, exec_lo, s17
	s_and_saveexec_b32 s17, s31
	s_cbranch_execz .LBB1627_875
.LBB1627_943:                           ;   in Loop: Header=BB1627_722 Depth=2
	v_dual_lshlrev_b32 v62, 2, v116 :: v_dual_add_nc_u32 v63, v2, v95
	ds_load_b32 v64, v62
	ds_load_b64 v[62:63], v63 offset:31232
	s_wait_dscnt 0x1
	v_add_nc_u32_e32 v64, v64, v81
	s_wait_dscnt 0x0
	global_store_b64 v64, v[62:63], s[44:45] scale_offset
	s_wait_xcnt 0x0
	s_or_b32 exec_lo, exec_lo, s17
	s_and_saveexec_b32 s17, s33
	s_cbranch_execnz .LBB1627_876
	s_branch .LBB1627_877
.LBB1627_944:                           ;   in Loop: Header=BB1627_12 Depth=1
	s_wait_dscnt 0x0
	s_barrier_signal -1
	s_mov_b32 s8, 0
	s_barrier_wait -1
.LBB1627_945:                           ;   in Loop: Header=BB1627_12 Depth=1
	s_and_b32 vcc_lo, exec_lo, s8
	s_cbranch_vccz .LBB1627_11
; %bb.946:                              ;   in Loop: Header=BB1627_12 Depth=1
	v_dual_mov_b32 v39, 0 :: v_dual_mov_b32 v42, 0
	v_dual_mov_b32 v41, 0 :: v_dual_mov_b32 v40, 0
	;; [unrolled: 1-line block ×8, first 2 shown]
	v_mov_b32_e32 v26, 0
	s_mov_b32 s8, s57
	s_mov_b32 s34, s55
	s_barrier_signal -1
	s_barrier_wait -1
	s_branch .LBB1627_948
.LBB1627_947:                           ;   in Loop: Header=BB1627_948 Depth=2
	s_or_b32 exec_lo, exec_lo, s10
	s_addk_co_i32 s8, 0xef00
	s_cmp_ge_u32 s9, s54
	s_mov_b32 s34, s9
	s_cbranch_scc1 .LBB1627_1020
.LBB1627_948:                           ;   Parent Loop BB1627_12 Depth=1
                                        ; =>  This Inner Loop Header: Depth=2
	s_add_co_i32 s9, s34, 0x1100
	s_mov_b32 s10, -1
	s_cmp_gt_u32 s9, s54
                                        ; implicit-def: $vgpr24
                                        ; implicit-def: $vgpr25
                                        ; implicit-def: $vgpr43
                                        ; implicit-def: $vgpr44
                                        ; implicit-def: $vgpr45
                                        ; implicit-def: $vgpr46
                                        ; implicit-def: $vgpr47
                                        ; implicit-def: $vgpr48
                                        ; implicit-def: $vgpr49
                                        ; implicit-def: $vgpr50
                                        ; implicit-def: $vgpr51
                                        ; implicit-def: $vgpr52
                                        ; implicit-def: $vgpr53
                                        ; implicit-def: $vgpr54
                                        ; implicit-def: $vgpr55
                                        ; implicit-def: $vgpr56
                                        ; implicit-def: $vgpr57
	s_cbranch_scc1 .LBB1627_950
; %bb.949:                              ;   in Loop: Header=BB1627_948 Depth=2
	v_add_nc_u64_e32 v[58:59], s[34:35], v[18:19]
	s_mov_b32 s10, 0
	s_clause 0x10
	global_load_u8 v57, v[58:59], off offset:4096
	global_load_u8 v56, v[58:59], off offset:3840
	;; [unrolled: 1-line block ×16, first 2 shown]
	global_load_u8 v24, v[58:59], off
.LBB1627_950:                           ;   in Loop: Header=BB1627_948 Depth=2
	s_and_not1_b32 vcc_lo, exec_lo, s10
	s_movk_i32 s10, 0x1100
	s_cbranch_vccnz .LBB1627_970
; %bb.951:                              ;   in Loop: Header=BB1627_948 Depth=2
	s_add_nc_u64 s[10:11], s[36:37], s[34:35]
	s_wait_loadcnt 0x0
	v_add_nc_u64_e32 v[24:25], s[10:11], v[2:3]
	s_mov_b32 s10, exec_lo
	s_wait_xcnt 0x0
	v_cmpx_gt_u32_e64 s8, v2
	s_cbranch_execnz .LBB1627_1004
; %bb.952:                              ;   in Loop: Header=BB1627_948 Depth=2
	s_or_b32 exec_lo, exec_lo, s10
	s_delay_alu instid0(SALU_CYCLE_1)
	s_mov_b32 s10, exec_lo
	v_cmpx_gt_u32_e64 s8, v67
	s_cbranch_execnz .LBB1627_1005
.LBB1627_953:                           ;   in Loop: Header=BB1627_948 Depth=2
	s_or_b32 exec_lo, exec_lo, s10
	s_delay_alu instid0(SALU_CYCLE_1)
	s_mov_b32 s10, exec_lo
	v_cmpx_gt_u32_e64 s8, v68
	s_cbranch_execnz .LBB1627_1006
.LBB1627_954:                           ;   in Loop: Header=BB1627_948 Depth=2
	s_or_b32 exec_lo, exec_lo, s10
	s_delay_alu instid0(SALU_CYCLE_1)
	s_mov_b32 s10, exec_lo
	v_cmpx_gt_u32_e64 s8, v69
	s_cbranch_execnz .LBB1627_1007
.LBB1627_955:                           ;   in Loop: Header=BB1627_948 Depth=2
	s_or_b32 exec_lo, exec_lo, s10
	s_delay_alu instid0(SALU_CYCLE_1)
	s_mov_b32 s10, exec_lo
	v_cmpx_gt_u32_e64 s8, v70
	s_cbranch_execnz .LBB1627_1008
.LBB1627_956:                           ;   in Loop: Header=BB1627_948 Depth=2
	s_or_b32 exec_lo, exec_lo, s10
	s_delay_alu instid0(SALU_CYCLE_1)
	s_mov_b32 s10, exec_lo
	v_cmpx_gt_u32_e64 s8, v71
	s_cbranch_execnz .LBB1627_1009
.LBB1627_957:                           ;   in Loop: Header=BB1627_948 Depth=2
	s_or_b32 exec_lo, exec_lo, s10
	s_delay_alu instid0(SALU_CYCLE_1)
	s_mov_b32 s10, exec_lo
	v_cmpx_gt_u32_e64 s8, v72
	s_cbranch_execnz .LBB1627_1010
.LBB1627_958:                           ;   in Loop: Header=BB1627_948 Depth=2
	s_or_b32 exec_lo, exec_lo, s10
	s_delay_alu instid0(SALU_CYCLE_1)
	s_mov_b32 s10, exec_lo
	v_cmpx_gt_u32_e64 s8, v73
	s_cbranch_execnz .LBB1627_1011
.LBB1627_959:                           ;   in Loop: Header=BB1627_948 Depth=2
	s_or_b32 exec_lo, exec_lo, s10
	s_delay_alu instid0(SALU_CYCLE_1)
	s_mov_b32 s10, exec_lo
	v_cmpx_gt_u32_e64 s8, v74
	s_cbranch_execnz .LBB1627_1012
.LBB1627_960:                           ;   in Loop: Header=BB1627_948 Depth=2
	s_or_b32 exec_lo, exec_lo, s10
	s_delay_alu instid0(SALU_CYCLE_1)
	s_mov_b32 s10, exec_lo
	v_cmpx_gt_u32_e64 s8, v75
	s_cbranch_execnz .LBB1627_1013
.LBB1627_961:                           ;   in Loop: Header=BB1627_948 Depth=2
	s_or_b32 exec_lo, exec_lo, s10
	s_delay_alu instid0(SALU_CYCLE_1)
	s_mov_b32 s10, exec_lo
	v_cmpx_gt_u32_e64 s8, v76
	s_cbranch_execnz .LBB1627_1014
.LBB1627_962:                           ;   in Loop: Header=BB1627_948 Depth=2
	s_or_b32 exec_lo, exec_lo, s10
	s_delay_alu instid0(SALU_CYCLE_1)
	s_mov_b32 s10, exec_lo
	v_cmpx_gt_u32_e64 s8, v77
	s_cbranch_execnz .LBB1627_1015
.LBB1627_963:                           ;   in Loop: Header=BB1627_948 Depth=2
	s_or_b32 exec_lo, exec_lo, s10
	s_delay_alu instid0(SALU_CYCLE_1)
	s_mov_b32 s10, exec_lo
	v_cmpx_gt_u32_e64 s8, v78
	s_cbranch_execnz .LBB1627_1016
.LBB1627_964:                           ;   in Loop: Header=BB1627_948 Depth=2
	s_or_b32 exec_lo, exec_lo, s10
	s_delay_alu instid0(SALU_CYCLE_1)
	s_mov_b32 s10, exec_lo
	v_cmpx_gt_u32_e64 s8, v79
	s_cbranch_execnz .LBB1627_1017
.LBB1627_965:                           ;   in Loop: Header=BB1627_948 Depth=2
	s_or_b32 exec_lo, exec_lo, s10
	s_delay_alu instid0(SALU_CYCLE_1)
	s_mov_b32 s10, exec_lo
	v_cmpx_gt_u32_e64 s8, v80
	s_cbranch_execnz .LBB1627_1018
.LBB1627_966:                           ;   in Loop: Header=BB1627_948 Depth=2
	s_or_b32 exec_lo, exec_lo, s10
	s_delay_alu instid0(SALU_CYCLE_1)
	s_mov_b32 s10, exec_lo
	v_cmpx_gt_u32_e64 s8, v81
	s_cbranch_execnz .LBB1627_1019
.LBB1627_967:                           ;   in Loop: Header=BB1627_948 Depth=2
	s_or_b32 exec_lo, exec_lo, s10
	s_delay_alu instid0(SALU_CYCLE_1)
	s_mov_b32 s10, exec_lo
	v_cmpx_gt_u32_e64 s8, v82
	s_cbranch_execz .LBB1627_969
.LBB1627_968:                           ;   in Loop: Header=BB1627_948 Depth=2
	global_load_u8 v26, v[24:25], off offset:4096
.LBB1627_969:                           ;   in Loop: Header=BB1627_948 Depth=2
	s_wait_xcnt 0x0
	s_or_b32 exec_lo, exec_lo, s10
	s_wait_loadcnt 0x0
	v_dual_mov_b32 v24, v39 :: v_dual_mov_b32 v25, v42
	v_dual_mov_b32 v43, v41 :: v_dual_mov_b32 v44, v40
	;; [unrolled: 1-line block ×8, first 2 shown]
	v_mov_b32_e32 v57, v26
	s_mov_b32 s10, s8
.LBB1627_970:                           ;   in Loop: Header=BB1627_948 Depth=2
	s_wait_loadcnt 0xf
	s_delay_alu instid0(VALU_DEP_1)
	v_dual_mov_b32 v26, v57 :: v_dual_mov_b32 v27, v56
	s_wait_loadcnt 0xd
	v_dual_mov_b32 v28, v55 :: v_dual_mov_b32 v29, v54
	s_wait_loadcnt 0xb
	;; [unrolled: 2-line block ×8, first 2 shown]
	v_mov_b32_e32 v39, v24
	s_mov_b32 s11, exec_lo
	s_wait_xcnt 0x0
	v_cmpx_gt_u32_e64 s10, v2
	s_cbranch_execnz .LBB1627_987
; %bb.971:                              ;   in Loop: Header=BB1627_948 Depth=2
	s_or_b32 exec_lo, exec_lo, s11
	s_delay_alu instid0(SALU_CYCLE_1)
	s_mov_b32 s11, exec_lo
	v_cmpx_gt_u32_e64 s10, v67
	s_cbranch_execnz .LBB1627_988
.LBB1627_972:                           ;   in Loop: Header=BB1627_948 Depth=2
	s_or_b32 exec_lo, exec_lo, s11
	s_delay_alu instid0(SALU_CYCLE_1)
	s_mov_b32 s11, exec_lo
	v_cmpx_gt_u32_e64 s10, v68
	s_cbranch_execnz .LBB1627_989
.LBB1627_973:                           ;   in Loop: Header=BB1627_948 Depth=2
	s_or_b32 exec_lo, exec_lo, s11
	s_delay_alu instid0(SALU_CYCLE_1)
	s_mov_b32 s11, exec_lo
	v_cmpx_gt_u32_e64 s10, v69
	s_cbranch_execnz .LBB1627_990
.LBB1627_974:                           ;   in Loop: Header=BB1627_948 Depth=2
	s_or_b32 exec_lo, exec_lo, s11
	s_delay_alu instid0(SALU_CYCLE_1)
	s_mov_b32 s11, exec_lo
	v_cmpx_gt_u32_e64 s10, v70
	s_cbranch_execnz .LBB1627_991
.LBB1627_975:                           ;   in Loop: Header=BB1627_948 Depth=2
	s_or_b32 exec_lo, exec_lo, s11
	s_delay_alu instid0(SALU_CYCLE_1)
	s_mov_b32 s11, exec_lo
	v_cmpx_gt_u32_e64 s10, v71
	s_cbranch_execnz .LBB1627_992
.LBB1627_976:                           ;   in Loop: Header=BB1627_948 Depth=2
	s_or_b32 exec_lo, exec_lo, s11
	s_delay_alu instid0(SALU_CYCLE_1)
	s_mov_b32 s11, exec_lo
	v_cmpx_gt_u32_e64 s10, v72
	s_cbranch_execnz .LBB1627_993
.LBB1627_977:                           ;   in Loop: Header=BB1627_948 Depth=2
	s_or_b32 exec_lo, exec_lo, s11
	s_delay_alu instid0(SALU_CYCLE_1)
	s_mov_b32 s11, exec_lo
	v_cmpx_gt_u32_e64 s10, v73
	s_cbranch_execnz .LBB1627_994
.LBB1627_978:                           ;   in Loop: Header=BB1627_948 Depth=2
	s_or_b32 exec_lo, exec_lo, s11
	s_delay_alu instid0(SALU_CYCLE_1)
	s_mov_b32 s11, exec_lo
	v_cmpx_gt_u32_e64 s10, v74
	s_cbranch_execnz .LBB1627_995
.LBB1627_979:                           ;   in Loop: Header=BB1627_948 Depth=2
	s_or_b32 exec_lo, exec_lo, s11
	s_delay_alu instid0(SALU_CYCLE_1)
	s_mov_b32 s11, exec_lo
	v_cmpx_gt_u32_e64 s10, v75
	s_cbranch_execnz .LBB1627_996
.LBB1627_980:                           ;   in Loop: Header=BB1627_948 Depth=2
	s_or_b32 exec_lo, exec_lo, s11
	s_delay_alu instid0(SALU_CYCLE_1)
	s_mov_b32 s11, exec_lo
	v_cmpx_gt_u32_e64 s10, v76
	s_cbranch_execnz .LBB1627_997
.LBB1627_981:                           ;   in Loop: Header=BB1627_948 Depth=2
	s_or_b32 exec_lo, exec_lo, s11
	s_delay_alu instid0(SALU_CYCLE_1)
	s_mov_b32 s11, exec_lo
	v_cmpx_gt_u32_e64 s10, v77
	s_cbranch_execnz .LBB1627_998
.LBB1627_982:                           ;   in Loop: Header=BB1627_948 Depth=2
	s_or_b32 exec_lo, exec_lo, s11
	s_delay_alu instid0(SALU_CYCLE_1)
	s_mov_b32 s11, exec_lo
	v_cmpx_gt_u32_e64 s10, v78
	s_cbranch_execnz .LBB1627_999
.LBB1627_983:                           ;   in Loop: Header=BB1627_948 Depth=2
	s_or_b32 exec_lo, exec_lo, s11
	s_delay_alu instid0(SALU_CYCLE_1)
	s_mov_b32 s11, exec_lo
	v_cmpx_gt_u32_e64 s10, v79
	s_cbranch_execnz .LBB1627_1000
.LBB1627_984:                           ;   in Loop: Header=BB1627_948 Depth=2
	s_or_b32 exec_lo, exec_lo, s11
	s_delay_alu instid0(SALU_CYCLE_1)
	s_mov_b32 s11, exec_lo
	v_cmpx_gt_u32_e64 s10, v80
	s_cbranch_execnz .LBB1627_1001
.LBB1627_985:                           ;   in Loop: Header=BB1627_948 Depth=2
	s_or_b32 exec_lo, exec_lo, s11
	s_delay_alu instid0(SALU_CYCLE_1)
	s_mov_b32 s11, exec_lo
	v_cmpx_gt_u32_e64 s10, v81
	s_cbranch_execnz .LBB1627_1002
.LBB1627_986:                           ;   in Loop: Header=BB1627_948 Depth=2
	s_or_b32 exec_lo, exec_lo, s11
	v_cmp_gt_u32_e32 vcc_lo, s10, v82
	s_and_saveexec_b32 s10, vcc_lo
	s_cbranch_execz .LBB1627_947
	s_branch .LBB1627_1003
.LBB1627_987:                           ;   in Loop: Header=BB1627_948 Depth=2
	v_and_b32_e32 v24, 1, v39
	s_delay_alu instid0(VALU_DEP_1) | instskip(NEXT) | instid1(VALU_DEP_1)
	v_lshrrev_b32_e32 v24, s49, v24
	v_and_b32_e32 v24, s48, v24
	s_delay_alu instid0(VALU_DEP_1) | instskip(SKIP_2) | instid1(SALU_CYCLE_1)
	v_lshl_or_b32 v24, v24, 4, v84
	ds_add_u32 v24, v7
	s_or_b32 exec_lo, exec_lo, s11
	s_mov_b32 s11, exec_lo
	v_cmpx_gt_u32_e64 s10, v67
	s_cbranch_execz .LBB1627_972
.LBB1627_988:                           ;   in Loop: Header=BB1627_948 Depth=2
	v_and_b32_e32 v24, 1, v42
	s_delay_alu instid0(VALU_DEP_1) | instskip(NEXT) | instid1(VALU_DEP_1)
	v_lshrrev_b32_e32 v24, s49, v24
	v_and_b32_e32 v24, s48, v24
	s_delay_alu instid0(VALU_DEP_1) | instskip(SKIP_2) | instid1(SALU_CYCLE_1)
	v_lshl_or_b32 v24, v24, 4, v84
	ds_add_u32 v24, v7
	s_or_b32 exec_lo, exec_lo, s11
	s_mov_b32 s11, exec_lo
	v_cmpx_gt_u32_e64 s10, v68
	s_cbranch_execz .LBB1627_973
.LBB1627_989:                           ;   in Loop: Header=BB1627_948 Depth=2
	v_and_b32_e32 v24, 1, v41
	s_delay_alu instid0(VALU_DEP_1) | instskip(NEXT) | instid1(VALU_DEP_1)
	v_lshrrev_b32_e32 v24, s49, v24
	v_and_b32_e32 v24, s48, v24
	s_delay_alu instid0(VALU_DEP_1) | instskip(SKIP_2) | instid1(SALU_CYCLE_1)
	v_lshl_or_b32 v24, v24, 4, v84
	ds_add_u32 v24, v7
	s_or_b32 exec_lo, exec_lo, s11
	s_mov_b32 s11, exec_lo
	v_cmpx_gt_u32_e64 s10, v69
	s_cbranch_execz .LBB1627_974
.LBB1627_990:                           ;   in Loop: Header=BB1627_948 Depth=2
	v_and_b32_e32 v24, 1, v40
	s_delay_alu instid0(VALU_DEP_1) | instskip(NEXT) | instid1(VALU_DEP_1)
	v_lshrrev_b32_e32 v24, s49, v24
	v_and_b32_e32 v24, s48, v24
	s_delay_alu instid0(VALU_DEP_1) | instskip(SKIP_2) | instid1(SALU_CYCLE_1)
	v_lshl_or_b32 v24, v24, 4, v84
	ds_add_u32 v24, v7
	s_or_b32 exec_lo, exec_lo, s11
	s_mov_b32 s11, exec_lo
	v_cmpx_gt_u32_e64 s10, v70
	s_cbranch_execz .LBB1627_975
.LBB1627_991:                           ;   in Loop: Header=BB1627_948 Depth=2
	v_and_b32_e32 v24, 1, v38
	s_delay_alu instid0(VALU_DEP_1) | instskip(NEXT) | instid1(VALU_DEP_1)
	v_lshrrev_b32_e32 v24, s49, v24
	v_and_b32_e32 v24, s48, v24
	s_delay_alu instid0(VALU_DEP_1) | instskip(SKIP_2) | instid1(SALU_CYCLE_1)
	v_lshl_or_b32 v24, v24, 4, v84
	ds_add_u32 v24, v7
	s_or_b32 exec_lo, exec_lo, s11
	s_mov_b32 s11, exec_lo
	v_cmpx_gt_u32_e64 s10, v71
	s_cbranch_execz .LBB1627_976
.LBB1627_992:                           ;   in Loop: Header=BB1627_948 Depth=2
	v_and_b32_e32 v24, 1, v37
	s_delay_alu instid0(VALU_DEP_1) | instskip(NEXT) | instid1(VALU_DEP_1)
	v_lshrrev_b32_e32 v24, s49, v24
	v_and_b32_e32 v24, s48, v24
	s_delay_alu instid0(VALU_DEP_1) | instskip(SKIP_2) | instid1(SALU_CYCLE_1)
	v_lshl_or_b32 v24, v24, 4, v84
	ds_add_u32 v24, v7
	s_or_b32 exec_lo, exec_lo, s11
	s_mov_b32 s11, exec_lo
	v_cmpx_gt_u32_e64 s10, v72
	s_cbranch_execz .LBB1627_977
.LBB1627_993:                           ;   in Loop: Header=BB1627_948 Depth=2
	v_and_b32_e32 v24, 1, v36
	s_delay_alu instid0(VALU_DEP_1) | instskip(NEXT) | instid1(VALU_DEP_1)
	v_lshrrev_b32_e32 v24, s49, v24
	v_and_b32_e32 v24, s48, v24
	s_delay_alu instid0(VALU_DEP_1) | instskip(SKIP_2) | instid1(SALU_CYCLE_1)
	v_lshl_or_b32 v24, v24, 4, v84
	ds_add_u32 v24, v7
	s_or_b32 exec_lo, exec_lo, s11
	s_mov_b32 s11, exec_lo
	v_cmpx_gt_u32_e64 s10, v73
	s_cbranch_execz .LBB1627_978
.LBB1627_994:                           ;   in Loop: Header=BB1627_948 Depth=2
	v_and_b32_e32 v24, 1, v35
	s_delay_alu instid0(VALU_DEP_1) | instskip(NEXT) | instid1(VALU_DEP_1)
	v_lshrrev_b32_e32 v24, s49, v24
	v_and_b32_e32 v24, s48, v24
	s_delay_alu instid0(VALU_DEP_1) | instskip(SKIP_2) | instid1(SALU_CYCLE_1)
	v_lshl_or_b32 v24, v24, 4, v84
	ds_add_u32 v24, v7
	s_or_b32 exec_lo, exec_lo, s11
	s_mov_b32 s11, exec_lo
	v_cmpx_gt_u32_e64 s10, v74
	s_cbranch_execz .LBB1627_979
.LBB1627_995:                           ;   in Loop: Header=BB1627_948 Depth=2
	v_and_b32_e32 v24, 1, v34
	s_delay_alu instid0(VALU_DEP_1) | instskip(NEXT) | instid1(VALU_DEP_1)
	v_lshrrev_b32_e32 v24, s49, v24
	v_and_b32_e32 v24, s48, v24
	s_delay_alu instid0(VALU_DEP_1) | instskip(SKIP_2) | instid1(SALU_CYCLE_1)
	v_lshl_or_b32 v24, v24, 4, v84
	ds_add_u32 v24, v7
	s_or_b32 exec_lo, exec_lo, s11
	s_mov_b32 s11, exec_lo
	v_cmpx_gt_u32_e64 s10, v75
	s_cbranch_execz .LBB1627_980
.LBB1627_996:                           ;   in Loop: Header=BB1627_948 Depth=2
	v_and_b32_e32 v24, 1, v33
	s_delay_alu instid0(VALU_DEP_1) | instskip(NEXT) | instid1(VALU_DEP_1)
	v_lshrrev_b32_e32 v24, s49, v24
	v_and_b32_e32 v24, s48, v24
	s_delay_alu instid0(VALU_DEP_1) | instskip(SKIP_2) | instid1(SALU_CYCLE_1)
	v_lshl_or_b32 v24, v24, 4, v84
	ds_add_u32 v24, v7
	s_or_b32 exec_lo, exec_lo, s11
	s_mov_b32 s11, exec_lo
	v_cmpx_gt_u32_e64 s10, v76
	s_cbranch_execz .LBB1627_981
.LBB1627_997:                           ;   in Loop: Header=BB1627_948 Depth=2
	v_and_b32_e32 v24, 1, v32
	s_delay_alu instid0(VALU_DEP_1) | instskip(NEXT) | instid1(VALU_DEP_1)
	v_lshrrev_b32_e32 v24, s49, v24
	v_and_b32_e32 v24, s48, v24
	s_delay_alu instid0(VALU_DEP_1) | instskip(SKIP_2) | instid1(SALU_CYCLE_1)
	v_lshl_or_b32 v24, v24, 4, v84
	ds_add_u32 v24, v7
	s_or_b32 exec_lo, exec_lo, s11
	s_mov_b32 s11, exec_lo
	v_cmpx_gt_u32_e64 s10, v77
	s_cbranch_execz .LBB1627_982
.LBB1627_998:                           ;   in Loop: Header=BB1627_948 Depth=2
	v_and_b32_e32 v24, 1, v31
	s_delay_alu instid0(VALU_DEP_1) | instskip(NEXT) | instid1(VALU_DEP_1)
	v_lshrrev_b32_e32 v24, s49, v24
	v_and_b32_e32 v24, s48, v24
	s_delay_alu instid0(VALU_DEP_1) | instskip(SKIP_2) | instid1(SALU_CYCLE_1)
	v_lshl_or_b32 v24, v24, 4, v84
	ds_add_u32 v24, v7
	s_or_b32 exec_lo, exec_lo, s11
	s_mov_b32 s11, exec_lo
	v_cmpx_gt_u32_e64 s10, v78
	s_cbranch_execz .LBB1627_983
.LBB1627_999:                           ;   in Loop: Header=BB1627_948 Depth=2
	v_and_b32_e32 v24, 1, v30
	s_delay_alu instid0(VALU_DEP_1) | instskip(NEXT) | instid1(VALU_DEP_1)
	v_lshrrev_b32_e32 v24, s49, v24
	v_and_b32_e32 v24, s48, v24
	s_delay_alu instid0(VALU_DEP_1) | instskip(SKIP_2) | instid1(SALU_CYCLE_1)
	v_lshl_or_b32 v24, v24, 4, v84
	ds_add_u32 v24, v7
	s_or_b32 exec_lo, exec_lo, s11
	s_mov_b32 s11, exec_lo
	v_cmpx_gt_u32_e64 s10, v79
	s_cbranch_execz .LBB1627_984
.LBB1627_1000:                          ;   in Loop: Header=BB1627_948 Depth=2
	v_and_b32_e32 v24, 1, v29
	s_delay_alu instid0(VALU_DEP_1) | instskip(NEXT) | instid1(VALU_DEP_1)
	v_lshrrev_b32_e32 v24, s49, v24
	v_and_b32_e32 v24, s48, v24
	s_delay_alu instid0(VALU_DEP_1) | instskip(SKIP_2) | instid1(SALU_CYCLE_1)
	v_lshl_or_b32 v24, v24, 4, v84
	ds_add_u32 v24, v7
	s_or_b32 exec_lo, exec_lo, s11
	s_mov_b32 s11, exec_lo
	v_cmpx_gt_u32_e64 s10, v80
	s_cbranch_execz .LBB1627_985
.LBB1627_1001:                          ;   in Loop: Header=BB1627_948 Depth=2
	v_and_b32_e32 v24, 1, v28
	s_delay_alu instid0(VALU_DEP_1) | instskip(NEXT) | instid1(VALU_DEP_1)
	v_lshrrev_b32_e32 v24, s49, v24
	v_and_b32_e32 v24, s48, v24
	s_delay_alu instid0(VALU_DEP_1) | instskip(SKIP_2) | instid1(SALU_CYCLE_1)
	v_lshl_or_b32 v24, v24, 4, v84
	ds_add_u32 v24, v7
	s_or_b32 exec_lo, exec_lo, s11
	s_mov_b32 s11, exec_lo
	v_cmpx_gt_u32_e64 s10, v81
	s_cbranch_execz .LBB1627_986
.LBB1627_1002:                          ;   in Loop: Header=BB1627_948 Depth=2
	v_and_b32_e32 v24, 1, v27
	s_delay_alu instid0(VALU_DEP_1) | instskip(NEXT) | instid1(VALU_DEP_1)
	v_lshrrev_b32_e32 v24, s49, v24
	v_and_b32_e32 v24, s48, v24
	s_delay_alu instid0(VALU_DEP_1)
	v_lshl_or_b32 v24, v24, 4, v84
	ds_add_u32 v24, v7
	s_or_b32 exec_lo, exec_lo, s11
	v_cmp_gt_u32_e32 vcc_lo, s10, v82
	s_and_saveexec_b32 s10, vcc_lo
	s_cbranch_execz .LBB1627_947
.LBB1627_1003:                          ;   in Loop: Header=BB1627_948 Depth=2
	v_and_b32_e32 v24, 1, v26
	s_delay_alu instid0(VALU_DEP_1) | instskip(NEXT) | instid1(VALU_DEP_1)
	v_lshrrev_b32_e32 v24, s49, v24
	v_and_b32_e32 v24, s48, v24
	s_delay_alu instid0(VALU_DEP_1)
	v_lshl_or_b32 v24, v24, 4, v84
	ds_add_u32 v24, v7
	s_branch .LBB1627_947
.LBB1627_1004:                          ;   in Loop: Header=BB1627_948 Depth=2
	global_load_u8 v39, v[24:25], off
	s_wait_xcnt 0x0
	s_or_b32 exec_lo, exec_lo, s10
	s_delay_alu instid0(SALU_CYCLE_1)
	s_mov_b32 s10, exec_lo
	v_cmpx_gt_u32_e64 s8, v67
	s_cbranch_execz .LBB1627_953
.LBB1627_1005:                          ;   in Loop: Header=BB1627_948 Depth=2
	global_load_u8 v42, v[24:25], off offset:256
	s_wait_xcnt 0x0
	s_or_b32 exec_lo, exec_lo, s10
	s_delay_alu instid0(SALU_CYCLE_1)
	s_mov_b32 s10, exec_lo
	v_cmpx_gt_u32_e64 s8, v68
	s_cbranch_execz .LBB1627_954
.LBB1627_1006:                          ;   in Loop: Header=BB1627_948 Depth=2
	global_load_u8 v41, v[24:25], off offset:512
	s_wait_xcnt 0x0
	s_or_b32 exec_lo, exec_lo, s10
	s_delay_alu instid0(SALU_CYCLE_1)
	s_mov_b32 s10, exec_lo
	v_cmpx_gt_u32_e64 s8, v69
	s_cbranch_execz .LBB1627_955
.LBB1627_1007:                          ;   in Loop: Header=BB1627_948 Depth=2
	global_load_u8 v40, v[24:25], off offset:768
	s_wait_xcnt 0x0
	s_or_b32 exec_lo, exec_lo, s10
	s_delay_alu instid0(SALU_CYCLE_1)
	s_mov_b32 s10, exec_lo
	v_cmpx_gt_u32_e64 s8, v70
	s_cbranch_execz .LBB1627_956
.LBB1627_1008:                          ;   in Loop: Header=BB1627_948 Depth=2
	global_load_u8 v38, v[24:25], off offset:1024
	s_wait_xcnt 0x0
	s_or_b32 exec_lo, exec_lo, s10
	s_delay_alu instid0(SALU_CYCLE_1)
	s_mov_b32 s10, exec_lo
	v_cmpx_gt_u32_e64 s8, v71
	s_cbranch_execz .LBB1627_957
.LBB1627_1009:                          ;   in Loop: Header=BB1627_948 Depth=2
	global_load_u8 v37, v[24:25], off offset:1280
	s_wait_xcnt 0x0
	s_or_b32 exec_lo, exec_lo, s10
	s_delay_alu instid0(SALU_CYCLE_1)
	s_mov_b32 s10, exec_lo
	v_cmpx_gt_u32_e64 s8, v72
	s_cbranch_execz .LBB1627_958
.LBB1627_1010:                          ;   in Loop: Header=BB1627_948 Depth=2
	global_load_u8 v36, v[24:25], off offset:1536
	s_wait_xcnt 0x0
	s_or_b32 exec_lo, exec_lo, s10
	s_delay_alu instid0(SALU_CYCLE_1)
	s_mov_b32 s10, exec_lo
	v_cmpx_gt_u32_e64 s8, v73
	s_cbranch_execz .LBB1627_959
.LBB1627_1011:                          ;   in Loop: Header=BB1627_948 Depth=2
	global_load_u8 v35, v[24:25], off offset:1792
	s_wait_xcnt 0x0
	s_or_b32 exec_lo, exec_lo, s10
	s_delay_alu instid0(SALU_CYCLE_1)
	s_mov_b32 s10, exec_lo
	v_cmpx_gt_u32_e64 s8, v74
	s_cbranch_execz .LBB1627_960
.LBB1627_1012:                          ;   in Loop: Header=BB1627_948 Depth=2
	global_load_u8 v34, v[24:25], off offset:2048
	s_wait_xcnt 0x0
	s_or_b32 exec_lo, exec_lo, s10
	s_delay_alu instid0(SALU_CYCLE_1)
	s_mov_b32 s10, exec_lo
	v_cmpx_gt_u32_e64 s8, v75
	s_cbranch_execz .LBB1627_961
.LBB1627_1013:                          ;   in Loop: Header=BB1627_948 Depth=2
	global_load_u8 v33, v[24:25], off offset:2304
	s_wait_xcnt 0x0
	s_or_b32 exec_lo, exec_lo, s10
	s_delay_alu instid0(SALU_CYCLE_1)
	s_mov_b32 s10, exec_lo
	v_cmpx_gt_u32_e64 s8, v76
	s_cbranch_execz .LBB1627_962
.LBB1627_1014:                          ;   in Loop: Header=BB1627_948 Depth=2
	global_load_u8 v32, v[24:25], off offset:2560
	s_wait_xcnt 0x0
	s_or_b32 exec_lo, exec_lo, s10
	s_delay_alu instid0(SALU_CYCLE_1)
	s_mov_b32 s10, exec_lo
	v_cmpx_gt_u32_e64 s8, v77
	s_cbranch_execz .LBB1627_963
.LBB1627_1015:                          ;   in Loop: Header=BB1627_948 Depth=2
	global_load_u8 v31, v[24:25], off offset:2816
	s_wait_xcnt 0x0
	s_or_b32 exec_lo, exec_lo, s10
	s_delay_alu instid0(SALU_CYCLE_1)
	s_mov_b32 s10, exec_lo
	v_cmpx_gt_u32_e64 s8, v78
	s_cbranch_execz .LBB1627_964
.LBB1627_1016:                          ;   in Loop: Header=BB1627_948 Depth=2
	global_load_u8 v30, v[24:25], off offset:3072
	s_wait_xcnt 0x0
	s_or_b32 exec_lo, exec_lo, s10
	s_delay_alu instid0(SALU_CYCLE_1)
	s_mov_b32 s10, exec_lo
	v_cmpx_gt_u32_e64 s8, v79
	s_cbranch_execz .LBB1627_965
.LBB1627_1017:                          ;   in Loop: Header=BB1627_948 Depth=2
	global_load_u8 v29, v[24:25], off offset:3328
	s_wait_xcnt 0x0
	s_or_b32 exec_lo, exec_lo, s10
	s_delay_alu instid0(SALU_CYCLE_1)
	s_mov_b32 s10, exec_lo
	v_cmpx_gt_u32_e64 s8, v80
	s_cbranch_execz .LBB1627_966
.LBB1627_1018:                          ;   in Loop: Header=BB1627_948 Depth=2
	global_load_u8 v28, v[24:25], off offset:3584
	s_wait_xcnt 0x0
	s_or_b32 exec_lo, exec_lo, s10
	s_delay_alu instid0(SALU_CYCLE_1)
	s_mov_b32 s10, exec_lo
	v_cmpx_gt_u32_e64 s8, v81
	s_cbranch_execz .LBB1627_967
.LBB1627_1019:                          ;   in Loop: Header=BB1627_948 Depth=2
	global_load_u8 v27, v[24:25], off offset:3840
	s_wait_xcnt 0x0
	s_or_b32 exec_lo, exec_lo, s10
	s_delay_alu instid0(SALU_CYCLE_1)
	s_mov_b32 s10, exec_lo
	v_cmpx_gt_u32_e64 s8, v82
	s_cbranch_execnz .LBB1627_968
	s_branch .LBB1627_969
.LBB1627_1020:                          ;   in Loop: Header=BB1627_12 Depth=1
	v_mov_b32_e32 v24, 0
	s_wait_dscnt 0x0
	s_barrier_signal -1
	s_barrier_wait -1
	s_and_saveexec_b32 s8, s0
	s_cbranch_execz .LBB1627_1022
; %bb.1021:                             ;   in Loop: Header=BB1627_12 Depth=1
	ds_load_2addr_b64 v[24:27], v85 offset1:1
	s_wait_dscnt 0x0
	v_add_nc_u32_e32 v24, v25, v24
	s_delay_alu instid0(VALU_DEP_1)
	v_add3_u32 v24, v24, v26, v27
.LBB1627_1022:                          ;   in Loop: Header=BB1627_12 Depth=1
	s_or_b32 exec_lo, exec_lo, s8
	v_and_b32_e32 v25, 15, v0
	s_delay_alu instid0(VALU_DEP_2) | instskip(SKIP_1) | instid1(VALU_DEP_3)
	v_mov_b32_dpp v26, v24 row_shr:1 row_mask:0xf bank_mask:0xf
	v_and_b32_e32 v27, 16, v0
	v_cmp_eq_u32_e64 s8, 0, v25
	v_cmp_lt_u32_e64 s9, 1, v25
	s_delay_alu instid0(VALU_DEP_3) | instskip(NEXT) | instid1(VALU_DEP_3)
	v_cmp_eq_u32_e64 s12, 0, v27
	v_cndmask_b32_e64 v26, v26, 0, s8
	s_delay_alu instid0(VALU_DEP_1) | instskip(NEXT) | instid1(VALU_DEP_1)
	v_add_nc_u32_e32 v24, v26, v24
	v_mov_b32_dpp v26, v24 row_shr:2 row_mask:0xf bank_mask:0xf
	s_delay_alu instid0(VALU_DEP_1) | instskip(SKIP_2) | instid1(VALU_DEP_3)
	v_cndmask_b32_e64 v26, 0, v26, s9
	v_cmp_lt_u32_e64 s11, 7, v25
	v_cmp_lt_u32_e64 s10, 3, v25
	v_add_nc_u32_e32 v24, v24, v26
	s_delay_alu instid0(VALU_DEP_1) | instskip(NEXT) | instid1(VALU_DEP_1)
	v_mov_b32_dpp v26, v24 row_shr:4 row_mask:0xf bank_mask:0xf
	v_cndmask_b32_e64 v26, 0, v26, s10
	s_delay_alu instid0(VALU_DEP_1) | instskip(NEXT) | instid1(VALU_DEP_1)
	v_add_nc_u32_e32 v24, v24, v26
	v_mov_b32_dpp v26, v24 row_shr:8 row_mask:0xf bank_mask:0xf
	s_delay_alu instid0(VALU_DEP_1) | instskip(SKIP_1) | instid1(VALU_DEP_2)
	v_cndmask_b32_e64 v25, 0, v26, s11
	v_bfe_i32 v26, v0, 4, 1
	v_add_nc_u32_e32 v24, v24, v25
	ds_swizzle_b32 v25, v24 offset:swizzle(BROADCAST,32,15)
	s_wait_dscnt 0x0
	v_and_b32_e32 v25, v26, v25
	s_delay_alu instid0(VALU_DEP_1)
	v_add_nc_u32_e32 v24, v24, v25
	s_and_saveexec_b32 s13, s1
; %bb.1023:                             ;   in Loop: Header=BB1627_12 Depth=1
	ds_store_b32 v86, v24
; %bb.1024:                             ;   in Loop: Header=BB1627_12 Depth=1
	s_or_b32 exec_lo, exec_lo, s13
	s_wait_dscnt 0x0
	s_barrier_signal -1
	s_barrier_wait -1
	s_and_saveexec_b32 s13, s4
	s_cbranch_execz .LBB1627_1026
; %bb.1025:                             ;   in Loop: Header=BB1627_12 Depth=1
	ds_load_b32 v25, v87
	s_wait_dscnt 0x0
	v_mov_b32_dpp v27, v25 row_shr:1 row_mask:0xf bank_mask:0xf
	v_and_b32_e32 v26, 3, v0
	s_delay_alu instid0(VALU_DEP_1) | instskip(NEXT) | instid1(VALU_DEP_3)
	v_cmp_ne_u32_e32 vcc_lo, 0, v26
	v_cndmask_b32_e32 v27, 0, v27, vcc_lo
	v_cmp_lt_u32_e32 vcc_lo, 1, v26
	s_delay_alu instid0(VALU_DEP_2) | instskip(NEXT) | instid1(VALU_DEP_1)
	v_add_nc_u32_e32 v25, v27, v25
	v_mov_b32_dpp v27, v25 row_shr:2 row_mask:0xf bank_mask:0xf
	s_delay_alu instid0(VALU_DEP_1) | instskip(NEXT) | instid1(VALU_DEP_1)
	v_cndmask_b32_e32 v26, 0, v27, vcc_lo
	v_add_nc_u32_e32 v25, v25, v26
	ds_store_b32 v87, v25
.LBB1627_1026:                          ;   in Loop: Header=BB1627_12 Depth=1
	s_or_b32 exec_lo, exec_lo, s13
	v_mov_b32_e32 v25, 0
	s_wait_dscnt 0x0
	s_barrier_signal -1
	s_barrier_wait -1
	s_and_saveexec_b32 s13, s5
; %bb.1027:                             ;   in Loop: Header=BB1627_12 Depth=1
	ds_load_b32 v25, v88
; %bb.1028:                             ;   in Loop: Header=BB1627_12 Depth=1
	s_or_b32 exec_lo, exec_lo, s13
	v_sub_co_u32 v26, s13, v0, 1
	s_wait_dscnt 0x0
	s_barrier_signal -1
	s_barrier_wait -1
	s_delay_alu instid0(VALU_DEP_1) | instskip(SKIP_1) | instid1(VALU_DEP_1)
	v_cmp_gt_i32_e32 vcc_lo, 0, v26
	v_cndmask_b32_e32 v26, v26, v0, vcc_lo
	v_dual_add_nc_u32 v24, v25, v24 :: v_dual_lshlrev_b32 v96, 2, v26
	ds_bpermute_b32 v24, v96, v24
	s_and_saveexec_b32 s14, s0
	s_cbranch_execz .LBB1627_1030
; %bb.1029:                             ;   in Loop: Header=BB1627_12 Depth=1
	s_wait_dscnt 0x0
	v_cndmask_b32_e64 v24, v24, v25, s13
	s_delay_alu instid0(VALU_DEP_1)
	v_add_nc_u32_e32 v24, s55, v24
	ds_store_b32 v66, v24
.LBB1627_1030:                          ;   in Loop: Header=BB1627_12 Depth=1
	s_or_b32 exec_lo, exec_lo, s14
	s_load_b64 s[14:15], s[52:53], 0x0
	s_wait_dscnt 0x0
	v_dual_lshlrev_b32 v24, 3, v0 :: v_dual_bitop2_b32 v26, 7, v0 bitop3:0x40
	v_dual_mov_b32 v25, v1 :: v_dual_bitop2_b32 v97, v0, v6 bitop3:0x54
	s_mov_b32 s58, s57
                                        ; implicit-def: $vgpr30_vgpr31
                                        ; implicit-def: $vgpr32_vgpr33
                                        ; implicit-def: $vgpr34_vgpr35
                                        ; implicit-def: $vgpr36_vgpr37
                                        ; implicit-def: $vgpr38_vgpr39
                                        ; implicit-def: $vgpr40_vgpr41
                                        ; implicit-def: $vgpr42_vgpr43
                                        ; implicit-def: $vgpr44_vgpr45
                                        ; implicit-def: $vgpr46_vgpr47
                                        ; implicit-def: $vgpr48_vgpr49
                                        ; implicit-def: $vgpr50_vgpr51
                                        ; implicit-def: $vgpr52_vgpr53
                                        ; implicit-def: $vgpr54_vgpr55
                                        ; implicit-def: $vgpr56_vgpr57
                                        ; implicit-def: $vgpr58_vgpr59
                                        ; implicit-def: $vgpr60_vgpr61
                                        ; implicit-def: $vgpr115
                                        ; implicit-def: $vgpr116
                                        ; implicit-def: $vgpr117
                                        ; implicit-def: $vgpr118
                                        ; implicit-def: $vgpr119
                                        ; implicit-def: $vgpr120
                                        ; implicit-def: $vgpr121
                                        ; implicit-def: $vgpr122
                                        ; implicit-def: $vgpr123
                                        ; implicit-def: $vgpr124
                                        ; implicit-def: $vgpr125
                                        ; implicit-def: $vgpr126
                                        ; implicit-def: $vgpr127
                                        ; implicit-def: $vgpr128
                                        ; implicit-def: $vgpr129
                                        ; implicit-def: $vgpr130
                                        ; implicit-def: $vgpr131
                                        ; implicit-def: $vgpr132
                                        ; implicit-def: $vgpr133
	s_delay_alu instid0(VALU_DEP_1) | instskip(NEXT) | instid1(VALU_DEP_2)
	v_add_nc_u64_e32 v[24:25], v[20:21], v[24:25]
	v_dual_add_nc_u32 v98, 32, v97 :: v_dual_add_nc_u32 v99, 64, v97
	v_add_nc_u32_e32 v100, 0x60, v97
	v_add_nc_u32_e32 v101, 0x80, v97
	;; [unrolled: 1-line block ×9, first 2 shown]
	s_wait_kmcnt 0x0
	s_cmp_lt_u32 s51, s14
	v_add_nc_u32_e32 v109, 0x180, v97
	s_cselect_b32 s34, 12, 18
	s_cmp_lt_u32 s42, s15
	s_mov_b32 s15, s35
	s_cselect_b32 s14, 14, 20
	v_add_nc_u32_e32 v110, 0x1a0, v97
	s_add_nc_u64 s[14:15], s[52:53], s[14:15]
	v_add_nc_u32_e32 v111, 0x1c0, v97
	s_load_u16 s16, s[14:15], 0x0
	s_wait_xcnt 0x0
	s_add_nc_u64 s[14:15], s[52:53], s[34:35]
	v_add_nc_u32_e32 v112, 0x1e0, v97
	s_load_u16 s17, s[14:15], 0x0
	s_wait_xcnt 0x0
	v_cmp_eq_u32_e64 s14, 0, v26
	v_cmp_lt_u32_e64 s15, 1, v26
	v_add_nc_u32_e32 v113, 0x200, v97
	s_mov_b32 s34, s55
	s_wait_kmcnt 0x0
	v_mad_u32_u24 v27, v89, s16, v91
	v_cmp_lt_u32_e64 s16, 3, v26
	s_delay_alu instid0(VALU_DEP_2) | instskip(NEXT) | instid1(VALU_DEP_1)
	v_mad_u32 v26, v27, s17, v2
	v_lshrrev_b32_e32 v28, 3, v26
	v_add_nc_u64_e32 v[26:27], v[22:23], v[0:1]
	s_delay_alu instid0(VALU_DEP_2)
	v_and_b32_e32 v114, 0x1ffffffc, v28
                                        ; implicit-def: $vgpr28_vgpr29
	s_branch .LBB1627_1032
.LBB1627_1031:                          ;   in Loop: Header=BB1627_1032 Depth=2
	s_or_b32 exec_lo, exec_lo, s17
	s_addk_co_i32 s58, 0xef00
	s_cmp_lt_u32 s59, s54
	s_mov_b32 s34, s59
	s_cbranch_scc0 .LBB1627_10
.LBB1627_1032:                          ;   Parent Loop BB1627_12 Depth=1
                                        ; =>  This Inner Loop Header: Depth=2
	s_add_co_i32 s59, s34, 0x1100
	s_delay_alu instid0(SALU_CYCLE_1)
	s_cmp_gt_u32 s59, s54
	s_cbranch_scc1 .LBB1627_1034
; %bb.1033:                             ;   in Loop: Header=BB1627_1032 Depth=2
	s_delay_alu instid0(VALU_DEP_2)
	v_add_nc_u64_e32 v[62:63], s[34:35], v[26:27]
	s_mov_b32 s17, -1
	s_clause 0xf
	global_load_u8 v135, v[62:63], off
	global_load_u8 v136, v[62:63], off offset:32
	global_load_u8 v137, v[62:63], off offset:64
	global_load_u8 v138, v[62:63], off offset:96
	global_load_u8 v139, v[62:63], off offset:128
	global_load_u8 v140, v[62:63], off offset:160
	global_load_u8 v141, v[62:63], off offset:192
	global_load_u8 v142, v[62:63], off offset:224
	global_load_u8 v143, v[62:63], off offset:256
	global_load_u8 v144, v[62:63], off offset:288
	global_load_u8 v145, v[62:63], off offset:320
	global_load_u8 v146, v[62:63], off offset:352
	global_load_u8 v147, v[62:63], off offset:384
	global_load_u8 v148, v[62:63], off offset:416
	global_load_u8 v149, v[62:63], off offset:448
	global_load_u8 v150, v[62:63], off offset:480
	s_movk_i32 s18, 0x1100
	s_cbranch_execz .LBB1627_1035
	s_branch .LBB1627_1068
.LBB1627_1034:                          ;   in Loop: Header=BB1627_1032 Depth=2
	s_mov_b32 s17, 0
                                        ; implicit-def: $vgpr135
                                        ; implicit-def: $vgpr136
                                        ; implicit-def: $vgpr137
                                        ; implicit-def: $vgpr138
                                        ; implicit-def: $vgpr139
                                        ; implicit-def: $vgpr140
                                        ; implicit-def: $vgpr141
                                        ; implicit-def: $vgpr142
                                        ; implicit-def: $vgpr143
                                        ; implicit-def: $vgpr144
                                        ; implicit-def: $vgpr145
                                        ; implicit-def: $vgpr146
                                        ; implicit-def: $vgpr147
                                        ; implicit-def: $vgpr148
                                        ; implicit-def: $vgpr149
                                        ; implicit-def: $vgpr150
	s_movk_i32 s18, 0x1100
.LBB1627_1035:                          ;   in Loop: Header=BB1627_1032 Depth=2
	s_wait_xcnt 0x0
	v_add_nc_u64_e32 v[62:63], s[34:35], v[26:27]
	s_wait_loadcnt 0xe
	v_dual_mov_b32 v136, 1 :: v_dual_mov_b32 v135, 1
	s_mov_b32 s17, exec_lo
	v_cmpx_gt_u32_e64 s58, v97
	s_cbranch_execz .LBB1627_1037
; %bb.1036:                             ;   in Loop: Header=BB1627_1032 Depth=2
	global_load_u8 v135, v[62:63], off
.LBB1627_1037:                          ;   in Loop: Header=BB1627_1032 Depth=2
	s_wait_xcnt 0x0
	s_or_b32 exec_lo, exec_lo, s17
	s_delay_alu instid0(SALU_CYCLE_1)
	s_mov_b32 s17, exec_lo
	v_cmpx_gt_u32_e64 s58, v98
	s_cbranch_execz .LBB1627_1039
; %bb.1038:                             ;   in Loop: Header=BB1627_1032 Depth=2
	global_load_u8 v136, v[62:63], off offset:32
.LBB1627_1039:                          ;   in Loop: Header=BB1627_1032 Depth=2
	s_wait_xcnt 0x0
	s_or_b32 exec_lo, exec_lo, s17
	s_wait_loadcnt 0xc
	v_dual_mov_b32 v138, 1 :: v_dual_mov_b32 v137, 1
	s_mov_b32 s17, exec_lo
	v_cmpx_gt_u32_e64 s58, v99
	s_cbranch_execz .LBB1627_1041
; %bb.1040:                             ;   in Loop: Header=BB1627_1032 Depth=2
	global_load_u8 v137, v[62:63], off offset:64
.LBB1627_1041:                          ;   in Loop: Header=BB1627_1032 Depth=2
	s_wait_xcnt 0x0
	s_or_b32 exec_lo, exec_lo, s17
	s_delay_alu instid0(SALU_CYCLE_1)
	s_mov_b32 s17, exec_lo
	v_cmpx_gt_u32_e64 s58, v100
	s_cbranch_execz .LBB1627_1043
; %bb.1042:                             ;   in Loop: Header=BB1627_1032 Depth=2
	global_load_u8 v138, v[62:63], off offset:96
.LBB1627_1043:                          ;   in Loop: Header=BB1627_1032 Depth=2
	s_wait_xcnt 0x0
	s_or_b32 exec_lo, exec_lo, s17
	s_wait_loadcnt 0xa
	v_dual_mov_b32 v140, 1 :: v_dual_mov_b32 v139, 1
	s_mov_b32 s17, exec_lo
	v_cmpx_gt_u32_e64 s58, v101
	s_cbranch_execz .LBB1627_1045
; %bb.1044:                             ;   in Loop: Header=BB1627_1032 Depth=2
	global_load_u8 v139, v[62:63], off offset:128
.LBB1627_1045:                          ;   in Loop: Header=BB1627_1032 Depth=2
	;; [unrolled: 19-line block ×7, first 2 shown]
	s_wait_xcnt 0x0
	s_or_b32 exec_lo, exec_lo, s17
	s_delay_alu instid0(SALU_CYCLE_1)
	s_mov_b32 s17, exec_lo
	v_cmpx_gt_u32_e64 s58, v112
	s_cbranch_execz .LBB1627_1067
; %bb.1066:                             ;   in Loop: Header=BB1627_1032 Depth=2
	global_load_u8 v150, v[62:63], off offset:480
.LBB1627_1067:                          ;   in Loop: Header=BB1627_1032 Depth=2
	s_wait_xcnt 0x0
	s_or_b32 exec_lo, exec_lo, s17
	v_cmp_gt_u32_e64 s17, s58, v113
	s_sub_co_i32 s18, s54, s34
.LBB1627_1068:                          ;   in Loop: Header=BB1627_1032 Depth=2
	v_dual_mov_b32 v151, 1 :: v_dual_mov_b32 v134, s58
	s_wait_xcnt 0x0
	s_and_saveexec_b32 s19, s17
	s_cbranch_execz .LBB1627_1070
; %bb.1069:                             ;   in Loop: Header=BB1627_1032 Depth=2
	v_add_nc_u64_e32 v[62:63], s[34:35], v[26:27]
	v_mov_b32_e32 v134, s18
	global_load_u8 v151, v[62:63], off offset:512
.LBB1627_1070:                          ;   in Loop: Header=BB1627_1032 Depth=2
	s_wait_xcnt 0x0
	s_or_b32 exec_lo, exec_lo, s19
	s_wait_loadcnt 0xf
	v_and_b32_e32 v62, 0xff, v135
	ds_store_2addr_b32 v90, v1, v1 offset0:136 offset1:137
	ds_store_2addr_b32 v90, v1, v1 offset0:138 offset1:139
	ds_store_b32 v90, v1 offset:560
	s_wait_loadcnt_dscnt 0x0
	s_barrier_signal -1
	s_barrier_wait -1
	v_lshrrev_b32_e32 v62, s49, v62
	; wave barrier
	s_delay_alu instid0(VALU_DEP_1) | instskip(NEXT) | instid1(VALU_DEP_1)
	v_and_b32_e32 v63, s48, v62
	v_add_co_u32 v62, s17, v63, -1
	s_delay_alu instid0(VALU_DEP_1) | instskip(SKIP_1) | instid1(VALU_DEP_2)
	v_cndmask_b32_e64 v64, 0, 1, s17
	v_mul_u32_u24_e32 v63, 36, v63
	v_cmp_ne_u32_e32 vcc_lo, 0, v64
	s_delay_alu instid0(VALU_DEP_2) | instskip(SKIP_1) | instid1(VALU_DEP_1)
	v_add_nc_u32_e32 v155, v114, v63
	v_bitop3_b32 v62, vcc_lo, exec_lo, v62 bitop3:0x48
	v_mbcnt_lo_u32_b32 v152, v62, 0
	v_cmp_ne_u32_e64 s17, 0, v62
	s_delay_alu instid0(VALU_DEP_2) | instskip(SKIP_1) | instid1(SALU_CYCLE_1)
	v_cmp_eq_u32_e32 vcc_lo, 0, v152
	s_and_b32 s18, s17, vcc_lo
	s_and_saveexec_b32 s17, s18
; %bb.1071:                             ;   in Loop: Header=BB1627_1032 Depth=2
	v_bcnt_u32_b32 v62, v62, 0
	ds_store_b32 v155, v62 offset:544
; %bb.1072:                             ;   in Loop: Header=BB1627_1032 Depth=2
	s_or_b32 exec_lo, exec_lo, s17
	v_and_b32_e32 v62, 0xff, v136
	; wave barrier
	s_delay_alu instid0(VALU_DEP_1) | instskip(NEXT) | instid1(VALU_DEP_1)
	v_lshrrev_b32_e32 v62, s49, v62
	v_and_b32_e32 v63, s48, v62
	s_delay_alu instid0(VALU_DEP_1) | instskip(NEXT) | instid1(VALU_DEP_1)
	v_add_co_u32 v62, s17, v63, -1
	v_cndmask_b32_e64 v64, 0, 1, s17
	v_mad_u32_u24 v65, v63, 36, v114
	v_mul_u32_u24_e32 v63, 36, v63
	s_delay_alu instid0(VALU_DEP_3) | instskip(SKIP_3) | instid1(VALU_DEP_1)
	v_cmp_ne_u32_e32 vcc_lo, 0, v64
	ds_load_b32 v153, v65 offset:544
	v_add_nc_u32_e32 v158, v114, v63
	; wave barrier
	v_bitop3_b32 v62, vcc_lo, exec_lo, v62 bitop3:0x48
	v_mbcnt_lo_u32_b32 v154, v62, 0
	v_cmp_ne_u32_e64 s17, 0, v62
	s_delay_alu instid0(VALU_DEP_2) | instskip(SKIP_1) | instid1(SALU_CYCLE_1)
	v_cmp_eq_u32_e32 vcc_lo, 0, v154
	s_and_b32 s18, s17, vcc_lo
	s_and_saveexec_b32 s17, s18
	s_cbranch_execz .LBB1627_1074
; %bb.1073:                             ;   in Loop: Header=BB1627_1032 Depth=2
	s_wait_dscnt 0x0
	v_bcnt_u32_b32 v62, v62, v153
	ds_store_b32 v158, v62 offset:544
.LBB1627_1074:                          ;   in Loop: Header=BB1627_1032 Depth=2
	s_or_b32 exec_lo, exec_lo, s17
	v_and_b32_e32 v62, 0xff, v137
	; wave barrier
	s_delay_alu instid0(VALU_DEP_1) | instskip(NEXT) | instid1(VALU_DEP_1)
	v_lshrrev_b32_e32 v62, s49, v62
	v_and_b32_e32 v63, s48, v62
	s_delay_alu instid0(VALU_DEP_1) | instskip(NEXT) | instid1(VALU_DEP_1)
	v_add_co_u32 v62, s17, v63, -1
	v_cndmask_b32_e64 v64, 0, 1, s17
	v_mad_u32_u24 v65, v63, 36, v114
	v_mul_u32_u24_e32 v63, 36, v63
	s_delay_alu instid0(VALU_DEP_3) | instskip(SKIP_3) | instid1(VALU_DEP_1)
	v_cmp_ne_u32_e32 vcc_lo, 0, v64
	ds_load_b32 v156, v65 offset:544
	v_add_nc_u32_e32 v161, v114, v63
	; wave barrier
	v_bitop3_b32 v62, vcc_lo, exec_lo, v62 bitop3:0x48
	v_mbcnt_lo_u32_b32 v157, v62, 0
	v_cmp_ne_u32_e64 s17, 0, v62
	s_delay_alu instid0(VALU_DEP_2) | instskip(SKIP_1) | instid1(SALU_CYCLE_1)
	v_cmp_eq_u32_e32 vcc_lo, 0, v157
	s_and_b32 s18, s17, vcc_lo
	s_and_saveexec_b32 s17, s18
	s_cbranch_execz .LBB1627_1076
; %bb.1075:                             ;   in Loop: Header=BB1627_1032 Depth=2
	s_wait_dscnt 0x0
	v_bcnt_u32_b32 v62, v62, v156
	ds_store_b32 v161, v62 offset:544
.LBB1627_1076:                          ;   in Loop: Header=BB1627_1032 Depth=2
	;; [unrolled: 29-line block ×16, first 2 shown]
	s_or_b32 exec_lo, exec_lo, s17
	; wave barrier
	s_wait_dscnt 0x0
	s_barrier_signal -1
	s_barrier_wait -1
	ds_load_2addr_b32 v[64:65], v90 offset0:136 offset1:137
	ds_load_2addr_b32 v[62:63], v90 offset0:138 offset1:139
	ds_load_b32 v202, v90 offset:560
	s_wait_dscnt 0x1
	v_add3_u32 v203, v65, v64, v62
	s_wait_dscnt 0x0
	s_delay_alu instid0(VALU_DEP_1) | instskip(NEXT) | instid1(VALU_DEP_1)
	v_add3_u32 v202, v203, v63, v202
	v_mov_b32_dpp v203, v202 row_shr:1 row_mask:0xf bank_mask:0xf
	s_delay_alu instid0(VALU_DEP_1) | instskip(NEXT) | instid1(VALU_DEP_1)
	v_cndmask_b32_e64 v203, v203, 0, s8
	v_add_nc_u32_e32 v202, v203, v202
	s_delay_alu instid0(VALU_DEP_1) | instskip(NEXT) | instid1(VALU_DEP_1)
	v_mov_b32_dpp v203, v202 row_shr:2 row_mask:0xf bank_mask:0xf
	v_cndmask_b32_e64 v203, 0, v203, s9
	s_delay_alu instid0(VALU_DEP_1) | instskip(NEXT) | instid1(VALU_DEP_1)
	v_add_nc_u32_e32 v202, v202, v203
	v_mov_b32_dpp v203, v202 row_shr:4 row_mask:0xf bank_mask:0xf
	s_delay_alu instid0(VALU_DEP_1) | instskip(NEXT) | instid1(VALU_DEP_1)
	v_cndmask_b32_e64 v203, 0, v203, s10
	v_add_nc_u32_e32 v202, v202, v203
	s_delay_alu instid0(VALU_DEP_1) | instskip(NEXT) | instid1(VALU_DEP_1)
	v_mov_b32_dpp v203, v202 row_shr:8 row_mask:0xf bank_mask:0xf
	v_cndmask_b32_e64 v203, 0, v203, s11
	s_delay_alu instid0(VALU_DEP_1) | instskip(SKIP_3) | instid1(VALU_DEP_1)
	v_add_nc_u32_e32 v202, v202, v203
	ds_swizzle_b32 v203, v202 offset:swizzle(BROADCAST,32,15)
	s_wait_dscnt 0x0
	v_cndmask_b32_e64 v203, v203, 0, s12
	v_add_nc_u32_e32 v202, v202, v203
	s_and_saveexec_b32 s17, s2
; %bb.1105:                             ;   in Loop: Header=BB1627_1032 Depth=2
	ds_store_b32 v83, v202 offset:512
; %bb.1106:                             ;   in Loop: Header=BB1627_1032 Depth=2
	s_or_b32 exec_lo, exec_lo, s17
	s_wait_dscnt 0x0
	s_barrier_signal -1
	s_barrier_wait -1
	s_and_saveexec_b32 s17, s3
	s_cbranch_execz .LBB1627_1108
; %bb.1107:                             ;   in Loop: Header=BB1627_1032 Depth=2
	ds_load_b32 v203, v92 offset:512
	s_wait_dscnt 0x0
	v_mov_b32_dpp v204, v203 row_shr:1 row_mask:0xf bank_mask:0xf
	s_delay_alu instid0(VALU_DEP_1) | instskip(NEXT) | instid1(VALU_DEP_1)
	v_cndmask_b32_e64 v204, v204, 0, s14
	v_add_nc_u32_e32 v203, v204, v203
	s_delay_alu instid0(VALU_DEP_1) | instskip(NEXT) | instid1(VALU_DEP_1)
	v_mov_b32_dpp v204, v203 row_shr:2 row_mask:0xf bank_mask:0xf
	v_cndmask_b32_e64 v204, 0, v204, s15
	s_delay_alu instid0(VALU_DEP_1) | instskip(NEXT) | instid1(VALU_DEP_1)
	v_add_nc_u32_e32 v203, v203, v204
	v_mov_b32_dpp v204, v203 row_shr:4 row_mask:0xf bank_mask:0xf
	s_delay_alu instid0(VALU_DEP_1) | instskip(NEXT) | instid1(VALU_DEP_1)
	v_cndmask_b32_e64 v204, 0, v204, s16
	v_add_nc_u32_e32 v203, v203, v204
	ds_store_b32 v92, v203 offset:512
.LBB1627_1108:                          ;   in Loop: Header=BB1627_1032 Depth=2
	s_or_b32 exec_lo, exec_lo, s17
	v_mov_b32_e32 v203, 0
	s_wait_dscnt 0x0
	s_barrier_signal -1
	s_barrier_wait -1
	s_and_saveexec_b32 s17, s5
; %bb.1109:                             ;   in Loop: Header=BB1627_1032 Depth=2
	ds_load_b32 v203, v83 offset:508
; %bb.1110:                             ;   in Loop: Header=BB1627_1032 Depth=2
	s_or_b32 exec_lo, exec_lo, s17
	s_wait_dscnt 0x0
	v_add_nc_u32_e32 v202, v203, v202
	ds_bpermute_b32 v202, v96, v202
	s_wait_dscnt 0x0
	v_cndmask_b32_e64 v202, v202, v203, s13
	s_delay_alu instid0(VALU_DEP_1) | instskip(NEXT) | instid1(VALU_DEP_1)
	v_cndmask_b32_e64 v202, v202, 0, s6
	v_add_nc_u32_e32 v64, v202, v64
	s_delay_alu instid0(VALU_DEP_1) | instskip(NEXT) | instid1(VALU_DEP_1)
	v_add_nc_u32_e32 v65, v64, v65
	v_add_nc_u32_e32 v62, v65, v62
	s_delay_alu instid0(VALU_DEP_1)
	v_add_nc_u32_e32 v63, v62, v63
	ds_store_2addr_b32 v90, v202, v64 offset0:136 offset1:137
	ds_store_2addr_b32 v90, v65, v62 offset0:138 offset1:139
	ds_store_b32 v90, v63 offset:560
	s_wait_dscnt 0x0
	s_barrier_signal -1
	s_barrier_wait -1
	ds_load_b32 v62, v155 offset:544
	ds_load_b32 v63, v158 offset:544
	;; [unrolled: 1-line block ×17, first 2 shown]
	s_and_saveexec_b32 s17, s0
	s_cbranch_execz .LBB1627_1114
; %bb.1111:                             ;   in Loop: Header=BB1627_1032 Depth=2
	v_dual_mov_b32 v133, 0x1100 :: v_dual_add_nc_u32 v132, v92, v94
	ds_load_b32 v132, v132 offset:544
	s_and_saveexec_b32 s18, s7
; %bb.1112:                             ;   in Loop: Header=BB1627_1032 Depth=2
	ds_load_b32 v133, v93 offset:544
; %bb.1113:                             ;   in Loop: Header=BB1627_1032 Depth=2
	s_or_b32 exec_lo, exec_lo, s18
	s_wait_dscnt 0x0
	v_sub_nc_u32_e32 v133, v133, v132
.LBB1627_1114:                          ;   in Loop: Header=BB1627_1032 Depth=2
	s_or_b32 exec_lo, exec_lo, s17
	s_wait_dscnt 0x0
	s_barrier_signal -1
	s_barrier_wait -1
	s_and_saveexec_b32 s17, s0
	s_cbranch_execz .LBB1627_1116
; %bb.1115:                             ;   in Loop: Header=BB1627_1032 Depth=2
	ds_load_b32 v161, v66
	s_wait_dscnt 0x0
	v_sub_nc_u32_e32 v161, v161, v132
	ds_store_b32 v66, v161
.LBB1627_1116:                          ;   in Loop: Header=BB1627_1032 Depth=2
	s_or_b32 exec_lo, exec_lo, s17
	v_add_nc_u32_e32 v166, v62, v152
	v_add3_u32 v165, v154, v153, v63
	v_add3_u32 v164, v157, v156, v64
	;; [unrolled: 1-line block ×16, first 2 shown]
	v_cmp_lt_u32_e32 vcc_lo, v2, v134
	ds_store_b8 v166, v135 offset:512
	ds_store_b8 v165, v136 offset:512
	;; [unrolled: 1-line block ×17, first 2 shown]
	s_wait_dscnt 0x0
	s_barrier_signal -1
	s_barrier_wait -1
	s_and_saveexec_b32 s17, vcc_lo
	s_cbranch_execnz .LBB1627_1189
; %bb.1117:                             ;   in Loop: Header=BB1627_1032 Depth=2
	s_or_b32 exec_lo, exec_lo, s17
	v_cmp_lt_u32_e64 s17, v67, v134
	s_and_saveexec_b32 s18, s17
	s_cbranch_execnz .LBB1627_1190
.LBB1627_1118:                          ;   in Loop: Header=BB1627_1032 Depth=2
	s_or_b32 exec_lo, exec_lo, s18
	v_cmp_lt_u32_e64 s18, v68, v134
	s_and_saveexec_b32 s19, s18
	s_cbranch_execnz .LBB1627_1191
.LBB1627_1119:                          ;   in Loop: Header=BB1627_1032 Depth=2
	s_or_b32 exec_lo, exec_lo, s19
	v_cmp_lt_u32_e64 s19, v69, v134
	s_and_saveexec_b32 s20, s19
	s_cbranch_execnz .LBB1627_1192
.LBB1627_1120:                          ;   in Loop: Header=BB1627_1032 Depth=2
	s_or_b32 exec_lo, exec_lo, s20
	v_cmp_lt_u32_e64 s20, v70, v134
	s_and_saveexec_b32 s21, s20
	s_cbranch_execnz .LBB1627_1193
.LBB1627_1121:                          ;   in Loop: Header=BB1627_1032 Depth=2
	s_or_b32 exec_lo, exec_lo, s21
	v_cmp_lt_u32_e64 s21, v71, v134
	s_and_saveexec_b32 s22, s21
	s_cbranch_execnz .LBB1627_1194
.LBB1627_1122:                          ;   in Loop: Header=BB1627_1032 Depth=2
	s_or_b32 exec_lo, exec_lo, s22
	v_cmp_lt_u32_e64 s22, v72, v134
	s_and_saveexec_b32 s23, s22
	s_cbranch_execnz .LBB1627_1195
.LBB1627_1123:                          ;   in Loop: Header=BB1627_1032 Depth=2
	s_or_b32 exec_lo, exec_lo, s23
	v_cmp_lt_u32_e64 s23, v73, v134
	s_and_saveexec_b32 s24, s23
	s_cbranch_execnz .LBB1627_1196
.LBB1627_1124:                          ;   in Loop: Header=BB1627_1032 Depth=2
	s_or_b32 exec_lo, exec_lo, s24
	v_cmp_lt_u32_e64 s24, v74, v134
	s_and_saveexec_b32 s25, s24
	s_cbranch_execnz .LBB1627_1197
.LBB1627_1125:                          ;   in Loop: Header=BB1627_1032 Depth=2
	s_or_b32 exec_lo, exec_lo, s25
	v_cmp_lt_u32_e64 s25, v75, v134
	s_and_saveexec_b32 s26, s25
	s_cbranch_execnz .LBB1627_1198
.LBB1627_1126:                          ;   in Loop: Header=BB1627_1032 Depth=2
	s_or_b32 exec_lo, exec_lo, s26
	v_cmp_lt_u32_e64 s26, v76, v134
	s_and_saveexec_b32 s27, s26
	s_cbranch_execnz .LBB1627_1199
.LBB1627_1127:                          ;   in Loop: Header=BB1627_1032 Depth=2
	s_or_b32 exec_lo, exec_lo, s27
	v_cmp_lt_u32_e64 s27, v77, v134
	s_and_saveexec_b32 s28, s27
	s_cbranch_execnz .LBB1627_1200
.LBB1627_1128:                          ;   in Loop: Header=BB1627_1032 Depth=2
	s_or_b32 exec_lo, exec_lo, s28
	v_cmp_lt_u32_e64 s28, v78, v134
	s_and_saveexec_b32 s29, s28
	s_cbranch_execnz .LBB1627_1201
.LBB1627_1129:                          ;   in Loop: Header=BB1627_1032 Depth=2
	s_or_b32 exec_lo, exec_lo, s29
	v_cmp_lt_u32_e64 s29, v79, v134
	s_and_saveexec_b32 s30, s29
	s_cbranch_execnz .LBB1627_1202
.LBB1627_1130:                          ;   in Loop: Header=BB1627_1032 Depth=2
	s_or_b32 exec_lo, exec_lo, s30
	v_cmp_lt_u32_e64 s30, v80, v134
	s_and_saveexec_b32 s31, s30
	s_cbranch_execnz .LBB1627_1203
.LBB1627_1131:                          ;   in Loop: Header=BB1627_1032 Depth=2
	s_or_b32 exec_lo, exec_lo, s31
	v_cmp_lt_u32_e64 s31, v81, v134
	s_and_saveexec_b32 s33, s31
	s_cbranch_execnz .LBB1627_1204
.LBB1627_1132:                          ;   in Loop: Header=BB1627_1032 Depth=2
	s_or_b32 exec_lo, exec_lo, s33
	v_cmp_lt_u32_e64 s33, v82, v134
	s_and_saveexec_b32 s60, s33
	s_cbranch_execz .LBB1627_1134
.LBB1627_1133:                          ;   in Loop: Header=BB1627_1032 Depth=2
	ds_load_u8 v62, v2 offset:4608
	s_wait_dscnt 0x0
	v_and_b32_e32 v63, 1, v62
	s_delay_alu instid0(VALU_DEP_1) | instskip(NEXT) | instid1(VALU_DEP_1)
	v_lshrrev_b32_e32 v63, s49, v63
	v_and_b32_e32 v63, s48, v63
	s_delay_alu instid0(VALU_DEP_1)
	v_lshlrev_b32_e32 v63, 2, v63
	ds_load_b32 v63, v63
	s_wait_dscnt 0x0
	v_add_nc_u32_e32 v63, v63, v82
	global_store_b8 v63, v62, s[40:41]
.LBB1627_1134:                          ;   in Loop: Header=BB1627_1032 Depth=2
	s_wait_xcnt 0x0
	s_or_b32 exec_lo, exec_lo, s60
	v_lshl_add_u64 v[62:63], s[34:35], 3, v[24:25]
	v_cmp_lt_u32_e64 s34, v97, v134
	s_and_saveexec_b32 s60, s34
	s_delay_alu instid0(SALU_CYCLE_1)
	s_xor_b32 s34, exec_lo, s60
	s_cbranch_execnz .LBB1627_1205
; %bb.1135:                             ;   in Loop: Header=BB1627_1032 Depth=2
	s_or_b32 exec_lo, exec_lo, s34
	s_delay_alu instid0(SALU_CYCLE_1)
	s_mov_b32 s60, exec_lo
	v_cmpx_lt_u32_e64 v98, v134
	s_cbranch_execnz .LBB1627_1206
.LBB1627_1136:                          ;   in Loop: Header=BB1627_1032 Depth=2
	s_or_b32 exec_lo, exec_lo, s60
	s_delay_alu instid0(SALU_CYCLE_1)
	s_mov_b32 s60, exec_lo
	v_cmpx_lt_u32_e64 v99, v134
	s_cbranch_execnz .LBB1627_1207
.LBB1627_1137:                          ;   in Loop: Header=BB1627_1032 Depth=2
	s_or_b32 exec_lo, exec_lo, s60
	s_delay_alu instid0(SALU_CYCLE_1)
	s_mov_b32 s60, exec_lo
	v_cmpx_lt_u32_e64 v100, v134
	s_cbranch_execnz .LBB1627_1208
.LBB1627_1138:                          ;   in Loop: Header=BB1627_1032 Depth=2
	s_or_b32 exec_lo, exec_lo, s60
	s_delay_alu instid0(SALU_CYCLE_1)
	s_mov_b32 s60, exec_lo
	v_cmpx_lt_u32_e64 v101, v134
	s_cbranch_execnz .LBB1627_1209
.LBB1627_1139:                          ;   in Loop: Header=BB1627_1032 Depth=2
	s_or_b32 exec_lo, exec_lo, s60
	s_delay_alu instid0(SALU_CYCLE_1)
	s_mov_b32 s60, exec_lo
	v_cmpx_lt_u32_e64 v102, v134
	s_cbranch_execnz .LBB1627_1210
.LBB1627_1140:                          ;   in Loop: Header=BB1627_1032 Depth=2
	s_or_b32 exec_lo, exec_lo, s60
	s_delay_alu instid0(SALU_CYCLE_1)
	s_mov_b32 s60, exec_lo
	v_cmpx_lt_u32_e64 v103, v134
	s_cbranch_execnz .LBB1627_1211
.LBB1627_1141:                          ;   in Loop: Header=BB1627_1032 Depth=2
	s_or_b32 exec_lo, exec_lo, s60
	s_delay_alu instid0(SALU_CYCLE_1)
	s_mov_b32 s60, exec_lo
	v_cmpx_lt_u32_e64 v104, v134
	s_cbranch_execnz .LBB1627_1212
.LBB1627_1142:                          ;   in Loop: Header=BB1627_1032 Depth=2
	s_or_b32 exec_lo, exec_lo, s60
	s_delay_alu instid0(SALU_CYCLE_1)
	s_mov_b32 s60, exec_lo
	v_cmpx_lt_u32_e64 v105, v134
	s_cbranch_execnz .LBB1627_1213
.LBB1627_1143:                          ;   in Loop: Header=BB1627_1032 Depth=2
	s_or_b32 exec_lo, exec_lo, s60
	s_delay_alu instid0(SALU_CYCLE_1)
	s_mov_b32 s60, exec_lo
	v_cmpx_lt_u32_e64 v106, v134
	s_cbranch_execnz .LBB1627_1214
.LBB1627_1144:                          ;   in Loop: Header=BB1627_1032 Depth=2
	s_or_b32 exec_lo, exec_lo, s60
	s_delay_alu instid0(SALU_CYCLE_1)
	s_mov_b32 s60, exec_lo
	v_cmpx_lt_u32_e64 v107, v134
	s_cbranch_execnz .LBB1627_1215
.LBB1627_1145:                          ;   in Loop: Header=BB1627_1032 Depth=2
	s_or_b32 exec_lo, exec_lo, s60
	s_delay_alu instid0(SALU_CYCLE_1)
	s_mov_b32 s60, exec_lo
	v_cmpx_lt_u32_e64 v108, v134
	s_cbranch_execnz .LBB1627_1216
.LBB1627_1146:                          ;   in Loop: Header=BB1627_1032 Depth=2
	s_or_b32 exec_lo, exec_lo, s60
	s_delay_alu instid0(SALU_CYCLE_1)
	s_mov_b32 s60, exec_lo
	v_cmpx_lt_u32_e64 v109, v134
	s_cbranch_execnz .LBB1627_1217
.LBB1627_1147:                          ;   in Loop: Header=BB1627_1032 Depth=2
	s_or_b32 exec_lo, exec_lo, s60
	s_delay_alu instid0(SALU_CYCLE_1)
	s_mov_b32 s60, exec_lo
	v_cmpx_lt_u32_e64 v110, v134
	s_cbranch_execnz .LBB1627_1218
.LBB1627_1148:                          ;   in Loop: Header=BB1627_1032 Depth=2
	s_or_b32 exec_lo, exec_lo, s60
	s_delay_alu instid0(SALU_CYCLE_1)
	s_mov_b32 s60, exec_lo
	v_cmpx_lt_u32_e64 v111, v134
	s_cbranch_execnz .LBB1627_1219
.LBB1627_1149:                          ;   in Loop: Header=BB1627_1032 Depth=2
	s_or_b32 exec_lo, exec_lo, s60
	s_delay_alu instid0(SALU_CYCLE_1)
	s_mov_b32 s60, exec_lo
	v_cmpx_lt_u32_e64 v112, v134
	s_cbranch_execnz .LBB1627_1220
.LBB1627_1150:                          ;   in Loop: Header=BB1627_1032 Depth=2
	s_or_b32 exec_lo, exec_lo, s60
	s_delay_alu instid0(SALU_CYCLE_1)
	s_mov_b32 s60, exec_lo
	v_cmpx_lt_u32_e64 v113, v134
	s_cbranch_execnz .LBB1627_1221
.LBB1627_1151:                          ;   in Loop: Header=BB1627_1032 Depth=2
	s_or_b32 exec_lo, exec_lo, s60
	s_and_saveexec_b32 s34, vcc_lo
	s_cbranch_execnz .LBB1627_1222
.LBB1627_1152:                          ;   in Loop: Header=BB1627_1032 Depth=2
	s_or_b32 exec_lo, exec_lo, s34
	s_and_saveexec_b32 s34, s17
	s_cbranch_execnz .LBB1627_1223
.LBB1627_1153:                          ;   in Loop: Header=BB1627_1032 Depth=2
	s_or_b32 exec_lo, exec_lo, s34
	s_and_saveexec_b32 s34, s18
	s_cbranch_execnz .LBB1627_1224
.LBB1627_1154:                          ;   in Loop: Header=BB1627_1032 Depth=2
	s_or_b32 exec_lo, exec_lo, s34
	s_and_saveexec_b32 s34, s19
	s_cbranch_execnz .LBB1627_1225
.LBB1627_1155:                          ;   in Loop: Header=BB1627_1032 Depth=2
	s_or_b32 exec_lo, exec_lo, s34
	s_and_saveexec_b32 s34, s20
	s_cbranch_execnz .LBB1627_1226
.LBB1627_1156:                          ;   in Loop: Header=BB1627_1032 Depth=2
	s_or_b32 exec_lo, exec_lo, s34
	s_and_saveexec_b32 s34, s21
	s_cbranch_execnz .LBB1627_1227
.LBB1627_1157:                          ;   in Loop: Header=BB1627_1032 Depth=2
	s_or_b32 exec_lo, exec_lo, s34
	s_and_saveexec_b32 s34, s22
	s_cbranch_execnz .LBB1627_1228
.LBB1627_1158:                          ;   in Loop: Header=BB1627_1032 Depth=2
	s_or_b32 exec_lo, exec_lo, s34
	s_and_saveexec_b32 s34, s23
	s_cbranch_execnz .LBB1627_1229
.LBB1627_1159:                          ;   in Loop: Header=BB1627_1032 Depth=2
	s_or_b32 exec_lo, exec_lo, s34
	s_and_saveexec_b32 s34, s24
	s_cbranch_execnz .LBB1627_1230
.LBB1627_1160:                          ;   in Loop: Header=BB1627_1032 Depth=2
	s_or_b32 exec_lo, exec_lo, s34
	s_and_saveexec_b32 s34, s25
	s_cbranch_execnz .LBB1627_1231
.LBB1627_1161:                          ;   in Loop: Header=BB1627_1032 Depth=2
	s_or_b32 exec_lo, exec_lo, s34
	s_and_saveexec_b32 s34, s26
	s_cbranch_execnz .LBB1627_1232
.LBB1627_1162:                          ;   in Loop: Header=BB1627_1032 Depth=2
	s_or_b32 exec_lo, exec_lo, s34
	s_and_saveexec_b32 s34, s27
	s_cbranch_execnz .LBB1627_1233
.LBB1627_1163:                          ;   in Loop: Header=BB1627_1032 Depth=2
	s_or_b32 exec_lo, exec_lo, s34
	s_and_saveexec_b32 s34, s28
	s_cbranch_execnz .LBB1627_1234
.LBB1627_1164:                          ;   in Loop: Header=BB1627_1032 Depth=2
	s_or_b32 exec_lo, exec_lo, s34
	s_and_saveexec_b32 s34, s29
	s_cbranch_execnz .LBB1627_1235
.LBB1627_1165:                          ;   in Loop: Header=BB1627_1032 Depth=2
	s_or_b32 exec_lo, exec_lo, s34
	s_and_saveexec_b32 s34, s30
	s_cbranch_execnz .LBB1627_1236
.LBB1627_1166:                          ;   in Loop: Header=BB1627_1032 Depth=2
	s_or_b32 exec_lo, exec_lo, s34
	s_and_saveexec_b32 s34, s31
	s_cbranch_execnz .LBB1627_1237
.LBB1627_1167:                          ;   in Loop: Header=BB1627_1032 Depth=2
	s_or_b32 exec_lo, exec_lo, s34
	s_and_saveexec_b32 s34, s33
	s_cbranch_execz .LBB1627_1169
.LBB1627_1168:                          ;   in Loop: Header=BB1627_1032 Depth=2
	ds_load_u8 v62, v2 offset:4608
	s_wait_dscnt 0x0
	v_lshrrev_b32_e32 v62, s49, v62
	s_delay_alu instid0(VALU_DEP_1)
	v_and_b32_e32 v115, s48, v62
.LBB1627_1169:                          ;   in Loop: Header=BB1627_1032 Depth=2
	s_or_b32 exec_lo, exec_lo, s34
	v_dual_lshlrev_b32 v62, 3, v166 :: v_dual_lshlrev_b32 v63, 3, v165
	s_wait_loadcnt 0x0
	s_wait_storecnt 0x0
	s_barrier_signal -1
	s_barrier_wait -1
	ds_store_b64 v62, v[60:61] offset:512
	ds_store_b64 v63, v[58:59] offset:512
	v_dual_lshlrev_b32 v62, 3, v164 :: v_dual_lshlrev_b32 v63, 3, v163
	v_dual_lshlrev_b32 v134, 3, v162 :: v_dual_lshlrev_b32 v135, 3, v161
	v_lshlrev_b32_e32 v136, 3, v160
	ds_store_b64 v62, v[56:57] offset:512
	ds_store_b64 v63, v[54:55] offset:512
	ds_store_b64 v134, v[52:53] offset:512
	ds_store_b64 v135, v[50:51] offset:512
	ds_store_b64 v136, v[48:49] offset:512
	v_dual_lshlrev_b32 v62, 3, v159 :: v_dual_lshlrev_b32 v63, 3, v158
	v_dual_lshlrev_b32 v134, 3, v157 :: v_dual_lshlrev_b32 v135, 3, v156
	v_lshlrev_b32_e32 v136, 3, v155
	ds_store_b64 v62, v[46:47] offset:512
	ds_store_b64 v63, v[44:45] offset:512
	ds_store_b64 v134, v[42:43] offset:512
	;; [unrolled: 8-line block ×3, first 2 shown]
	ds_store_b64 v65, v[30:31] offset:512
	ds_store_b64 v64, v[28:29] offset:512
	v_add_nc_u32_e32 v62, v2, v95
	s_wait_dscnt 0x0
	s_barrier_signal -1
	s_barrier_wait -1
	s_and_saveexec_b32 s34, vcc_lo
	s_cbranch_execnz .LBB1627_1238
; %bb.1170:                             ;   in Loop: Header=BB1627_1032 Depth=2
	s_or_b32 exec_lo, exec_lo, s34
	s_and_saveexec_b32 s34, s17
	s_cbranch_execnz .LBB1627_1239
.LBB1627_1171:                          ;   in Loop: Header=BB1627_1032 Depth=2
	s_or_b32 exec_lo, exec_lo, s34
	s_and_saveexec_b32 s17, s18
	s_cbranch_execnz .LBB1627_1240
.LBB1627_1172:                          ;   in Loop: Header=BB1627_1032 Depth=2
	s_or_b32 exec_lo, exec_lo, s17
	s_and_saveexec_b32 s17, s19
	s_cbranch_execnz .LBB1627_1241
.LBB1627_1173:                          ;   in Loop: Header=BB1627_1032 Depth=2
	s_or_b32 exec_lo, exec_lo, s17
	s_and_saveexec_b32 s17, s20
	s_cbranch_execnz .LBB1627_1242
.LBB1627_1174:                          ;   in Loop: Header=BB1627_1032 Depth=2
	s_or_b32 exec_lo, exec_lo, s17
	s_and_saveexec_b32 s17, s21
	s_cbranch_execnz .LBB1627_1243
.LBB1627_1175:                          ;   in Loop: Header=BB1627_1032 Depth=2
	s_or_b32 exec_lo, exec_lo, s17
	s_and_saveexec_b32 s17, s22
	s_cbranch_execnz .LBB1627_1244
.LBB1627_1176:                          ;   in Loop: Header=BB1627_1032 Depth=2
	s_or_b32 exec_lo, exec_lo, s17
	s_and_saveexec_b32 s17, s23
	s_cbranch_execnz .LBB1627_1245
.LBB1627_1177:                          ;   in Loop: Header=BB1627_1032 Depth=2
	s_or_b32 exec_lo, exec_lo, s17
	s_and_saveexec_b32 s17, s24
	s_cbranch_execnz .LBB1627_1246
.LBB1627_1178:                          ;   in Loop: Header=BB1627_1032 Depth=2
	s_or_b32 exec_lo, exec_lo, s17
	s_and_saveexec_b32 s17, s25
	s_cbranch_execnz .LBB1627_1247
.LBB1627_1179:                          ;   in Loop: Header=BB1627_1032 Depth=2
	s_or_b32 exec_lo, exec_lo, s17
	s_and_saveexec_b32 s17, s26
	s_cbranch_execnz .LBB1627_1248
.LBB1627_1180:                          ;   in Loop: Header=BB1627_1032 Depth=2
	s_or_b32 exec_lo, exec_lo, s17
	s_and_saveexec_b32 s17, s27
	s_cbranch_execnz .LBB1627_1249
.LBB1627_1181:                          ;   in Loop: Header=BB1627_1032 Depth=2
	s_or_b32 exec_lo, exec_lo, s17
	s_and_saveexec_b32 s17, s28
	s_cbranch_execnz .LBB1627_1250
.LBB1627_1182:                          ;   in Loop: Header=BB1627_1032 Depth=2
	s_or_b32 exec_lo, exec_lo, s17
	s_and_saveexec_b32 s17, s29
	s_cbranch_execnz .LBB1627_1251
.LBB1627_1183:                          ;   in Loop: Header=BB1627_1032 Depth=2
	s_or_b32 exec_lo, exec_lo, s17
	s_and_saveexec_b32 s17, s30
	s_cbranch_execnz .LBB1627_1252
.LBB1627_1184:                          ;   in Loop: Header=BB1627_1032 Depth=2
	s_or_b32 exec_lo, exec_lo, s17
	s_and_saveexec_b32 s17, s31
	s_cbranch_execnz .LBB1627_1253
.LBB1627_1185:                          ;   in Loop: Header=BB1627_1032 Depth=2
	s_or_b32 exec_lo, exec_lo, s17
	s_and_saveexec_b32 s17, s33
	s_cbranch_execz .LBB1627_1187
.LBB1627_1186:                          ;   in Loop: Header=BB1627_1032 Depth=2
	v_lshlrev_b32_e32 v63, 2, v115
	ds_load_b32 v64, v63
	ds_load_b64 v[62:63], v62 offset:33280
	s_wait_dscnt 0x1
	v_add_nc_u32_e32 v64, v64, v82
	s_wait_dscnt 0x0
	global_store_b64 v64, v[62:63], s[46:47] scale_offset
.LBB1627_1187:                          ;   in Loop: Header=BB1627_1032 Depth=2
	s_wait_xcnt 0x0
	s_or_b32 exec_lo, exec_lo, s17
	s_wait_storecnt 0x0
	s_barrier_signal -1
	s_barrier_wait -1
	s_and_saveexec_b32 s17, s0
	s_cbranch_execz .LBB1627_1031
; %bb.1188:                             ;   in Loop: Header=BB1627_1032 Depth=2
	ds_load_b32 v62, v66
	s_wait_dscnt 0x0
	v_add3_u32 v62, v132, v133, v62
	ds_store_b32 v66, v62
	s_branch .LBB1627_1031
.LBB1627_1189:                          ;   in Loop: Header=BB1627_1032 Depth=2
	ds_load_u8 v62, v2 offset:512
	s_wait_dscnt 0x0
	v_and_b32_e32 v63, 1, v62
	s_delay_alu instid0(VALU_DEP_1) | instskip(NEXT) | instid1(VALU_DEP_1)
	v_lshrrev_b32_e32 v63, s49, v63
	v_and_b32_e32 v63, s48, v63
	s_delay_alu instid0(VALU_DEP_1)
	v_lshlrev_b32_e32 v63, 2, v63
	ds_load_b32 v63, v63
	s_wait_dscnt 0x0
	v_add_nc_u32_e32 v63, v63, v2
	global_store_b8 v63, v62, s[40:41]
	s_wait_xcnt 0x0
	s_or_b32 exec_lo, exec_lo, s17
	v_cmp_lt_u32_e64 s17, v67, v134
	s_and_saveexec_b32 s18, s17
	s_cbranch_execz .LBB1627_1118
.LBB1627_1190:                          ;   in Loop: Header=BB1627_1032 Depth=2
	ds_load_u8 v62, v2 offset:768
	s_wait_dscnt 0x0
	v_and_b32_e32 v63, 1, v62
	s_delay_alu instid0(VALU_DEP_1) | instskip(NEXT) | instid1(VALU_DEP_1)
	v_lshrrev_b32_e32 v63, s49, v63
	v_and_b32_e32 v63, s48, v63
	s_delay_alu instid0(VALU_DEP_1)
	v_lshlrev_b32_e32 v63, 2, v63
	ds_load_b32 v63, v63
	s_wait_dscnt 0x0
	v_add_nc_u32_e32 v63, v63, v67
	global_store_b8 v63, v62, s[40:41]
	s_wait_xcnt 0x0
	s_or_b32 exec_lo, exec_lo, s18
	v_cmp_lt_u32_e64 s18, v68, v134
	s_and_saveexec_b32 s19, s18
	s_cbranch_execz .LBB1627_1119
.LBB1627_1191:                          ;   in Loop: Header=BB1627_1032 Depth=2
	ds_load_u8 v62, v2 offset:1024
	s_wait_dscnt 0x0
	v_and_b32_e32 v63, 1, v62
	s_delay_alu instid0(VALU_DEP_1) | instskip(NEXT) | instid1(VALU_DEP_1)
	v_lshrrev_b32_e32 v63, s49, v63
	v_and_b32_e32 v63, s48, v63
	s_delay_alu instid0(VALU_DEP_1)
	v_lshlrev_b32_e32 v63, 2, v63
	ds_load_b32 v63, v63
	s_wait_dscnt 0x0
	v_add_nc_u32_e32 v63, v63, v68
	global_store_b8 v63, v62, s[40:41]
	s_wait_xcnt 0x0
	s_or_b32 exec_lo, exec_lo, s19
	v_cmp_lt_u32_e64 s19, v69, v134
	s_and_saveexec_b32 s20, s19
	s_cbranch_execz .LBB1627_1120
.LBB1627_1192:                          ;   in Loop: Header=BB1627_1032 Depth=2
	ds_load_u8 v62, v2 offset:1280
	s_wait_dscnt 0x0
	v_and_b32_e32 v63, 1, v62
	s_delay_alu instid0(VALU_DEP_1) | instskip(NEXT) | instid1(VALU_DEP_1)
	v_lshrrev_b32_e32 v63, s49, v63
	v_and_b32_e32 v63, s48, v63
	s_delay_alu instid0(VALU_DEP_1)
	v_lshlrev_b32_e32 v63, 2, v63
	ds_load_b32 v63, v63
	s_wait_dscnt 0x0
	v_add_nc_u32_e32 v63, v63, v69
	global_store_b8 v63, v62, s[40:41]
	s_wait_xcnt 0x0
	s_or_b32 exec_lo, exec_lo, s20
	v_cmp_lt_u32_e64 s20, v70, v134
	s_and_saveexec_b32 s21, s20
	s_cbranch_execz .LBB1627_1121
.LBB1627_1193:                          ;   in Loop: Header=BB1627_1032 Depth=2
	ds_load_u8 v62, v2 offset:1536
	s_wait_dscnt 0x0
	v_and_b32_e32 v63, 1, v62
	s_delay_alu instid0(VALU_DEP_1) | instskip(NEXT) | instid1(VALU_DEP_1)
	v_lshrrev_b32_e32 v63, s49, v63
	v_and_b32_e32 v63, s48, v63
	s_delay_alu instid0(VALU_DEP_1)
	v_lshlrev_b32_e32 v63, 2, v63
	ds_load_b32 v63, v63
	s_wait_dscnt 0x0
	v_add_nc_u32_e32 v63, v63, v70
	global_store_b8 v63, v62, s[40:41]
	s_wait_xcnt 0x0
	s_or_b32 exec_lo, exec_lo, s21
	v_cmp_lt_u32_e64 s21, v71, v134
	s_and_saveexec_b32 s22, s21
	s_cbranch_execz .LBB1627_1122
.LBB1627_1194:                          ;   in Loop: Header=BB1627_1032 Depth=2
	ds_load_u8 v62, v2 offset:1792
	s_wait_dscnt 0x0
	v_and_b32_e32 v63, 1, v62
	s_delay_alu instid0(VALU_DEP_1) | instskip(NEXT) | instid1(VALU_DEP_1)
	v_lshrrev_b32_e32 v63, s49, v63
	v_and_b32_e32 v63, s48, v63
	s_delay_alu instid0(VALU_DEP_1)
	v_lshlrev_b32_e32 v63, 2, v63
	ds_load_b32 v63, v63
	s_wait_dscnt 0x0
	v_add_nc_u32_e32 v63, v63, v71
	global_store_b8 v63, v62, s[40:41]
	s_wait_xcnt 0x0
	s_or_b32 exec_lo, exec_lo, s22
	v_cmp_lt_u32_e64 s22, v72, v134
	s_and_saveexec_b32 s23, s22
	s_cbranch_execz .LBB1627_1123
.LBB1627_1195:                          ;   in Loop: Header=BB1627_1032 Depth=2
	ds_load_u8 v62, v2 offset:2048
	s_wait_dscnt 0x0
	v_and_b32_e32 v63, 1, v62
	s_delay_alu instid0(VALU_DEP_1) | instskip(NEXT) | instid1(VALU_DEP_1)
	v_lshrrev_b32_e32 v63, s49, v63
	v_and_b32_e32 v63, s48, v63
	s_delay_alu instid0(VALU_DEP_1)
	v_lshlrev_b32_e32 v63, 2, v63
	ds_load_b32 v63, v63
	s_wait_dscnt 0x0
	v_add_nc_u32_e32 v63, v63, v72
	global_store_b8 v63, v62, s[40:41]
	s_wait_xcnt 0x0
	s_or_b32 exec_lo, exec_lo, s23
	v_cmp_lt_u32_e64 s23, v73, v134
	s_and_saveexec_b32 s24, s23
	s_cbranch_execz .LBB1627_1124
.LBB1627_1196:                          ;   in Loop: Header=BB1627_1032 Depth=2
	ds_load_u8 v62, v2 offset:2304
	s_wait_dscnt 0x0
	v_and_b32_e32 v63, 1, v62
	s_delay_alu instid0(VALU_DEP_1) | instskip(NEXT) | instid1(VALU_DEP_1)
	v_lshrrev_b32_e32 v63, s49, v63
	v_and_b32_e32 v63, s48, v63
	s_delay_alu instid0(VALU_DEP_1)
	v_lshlrev_b32_e32 v63, 2, v63
	ds_load_b32 v63, v63
	s_wait_dscnt 0x0
	v_add_nc_u32_e32 v63, v63, v73
	global_store_b8 v63, v62, s[40:41]
	s_wait_xcnt 0x0
	s_or_b32 exec_lo, exec_lo, s24
	v_cmp_lt_u32_e64 s24, v74, v134
	s_and_saveexec_b32 s25, s24
	s_cbranch_execz .LBB1627_1125
.LBB1627_1197:                          ;   in Loop: Header=BB1627_1032 Depth=2
	ds_load_u8 v62, v2 offset:2560
	s_wait_dscnt 0x0
	v_and_b32_e32 v63, 1, v62
	s_delay_alu instid0(VALU_DEP_1) | instskip(NEXT) | instid1(VALU_DEP_1)
	v_lshrrev_b32_e32 v63, s49, v63
	v_and_b32_e32 v63, s48, v63
	s_delay_alu instid0(VALU_DEP_1)
	v_lshlrev_b32_e32 v63, 2, v63
	ds_load_b32 v63, v63
	s_wait_dscnt 0x0
	v_add_nc_u32_e32 v63, v63, v74
	global_store_b8 v63, v62, s[40:41]
	s_wait_xcnt 0x0
	s_or_b32 exec_lo, exec_lo, s25
	v_cmp_lt_u32_e64 s25, v75, v134
	s_and_saveexec_b32 s26, s25
	s_cbranch_execz .LBB1627_1126
.LBB1627_1198:                          ;   in Loop: Header=BB1627_1032 Depth=2
	ds_load_u8 v62, v2 offset:2816
	s_wait_dscnt 0x0
	v_and_b32_e32 v63, 1, v62
	s_delay_alu instid0(VALU_DEP_1) | instskip(NEXT) | instid1(VALU_DEP_1)
	v_lshrrev_b32_e32 v63, s49, v63
	v_and_b32_e32 v63, s48, v63
	s_delay_alu instid0(VALU_DEP_1)
	v_lshlrev_b32_e32 v63, 2, v63
	ds_load_b32 v63, v63
	s_wait_dscnt 0x0
	v_add_nc_u32_e32 v63, v63, v75
	global_store_b8 v63, v62, s[40:41]
	s_wait_xcnt 0x0
	s_or_b32 exec_lo, exec_lo, s26
	v_cmp_lt_u32_e64 s26, v76, v134
	s_and_saveexec_b32 s27, s26
	s_cbranch_execz .LBB1627_1127
.LBB1627_1199:                          ;   in Loop: Header=BB1627_1032 Depth=2
	ds_load_u8 v62, v2 offset:3072
	s_wait_dscnt 0x0
	v_and_b32_e32 v63, 1, v62
	s_delay_alu instid0(VALU_DEP_1) | instskip(NEXT) | instid1(VALU_DEP_1)
	v_lshrrev_b32_e32 v63, s49, v63
	v_and_b32_e32 v63, s48, v63
	s_delay_alu instid0(VALU_DEP_1)
	v_lshlrev_b32_e32 v63, 2, v63
	ds_load_b32 v63, v63
	s_wait_dscnt 0x0
	v_add_nc_u32_e32 v63, v63, v76
	global_store_b8 v63, v62, s[40:41]
	s_wait_xcnt 0x0
	s_or_b32 exec_lo, exec_lo, s27
	v_cmp_lt_u32_e64 s27, v77, v134
	s_and_saveexec_b32 s28, s27
	s_cbranch_execz .LBB1627_1128
.LBB1627_1200:                          ;   in Loop: Header=BB1627_1032 Depth=2
	ds_load_u8 v62, v2 offset:3328
	s_wait_dscnt 0x0
	v_and_b32_e32 v63, 1, v62
	s_delay_alu instid0(VALU_DEP_1) | instskip(NEXT) | instid1(VALU_DEP_1)
	v_lshrrev_b32_e32 v63, s49, v63
	v_and_b32_e32 v63, s48, v63
	s_delay_alu instid0(VALU_DEP_1)
	v_lshlrev_b32_e32 v63, 2, v63
	ds_load_b32 v63, v63
	s_wait_dscnt 0x0
	v_add_nc_u32_e32 v63, v63, v77
	global_store_b8 v63, v62, s[40:41]
	s_wait_xcnt 0x0
	s_or_b32 exec_lo, exec_lo, s28
	v_cmp_lt_u32_e64 s28, v78, v134
	s_and_saveexec_b32 s29, s28
	s_cbranch_execz .LBB1627_1129
.LBB1627_1201:                          ;   in Loop: Header=BB1627_1032 Depth=2
	ds_load_u8 v62, v2 offset:3584
	s_wait_dscnt 0x0
	v_and_b32_e32 v63, 1, v62
	s_delay_alu instid0(VALU_DEP_1) | instskip(NEXT) | instid1(VALU_DEP_1)
	v_lshrrev_b32_e32 v63, s49, v63
	v_and_b32_e32 v63, s48, v63
	s_delay_alu instid0(VALU_DEP_1)
	v_lshlrev_b32_e32 v63, 2, v63
	ds_load_b32 v63, v63
	s_wait_dscnt 0x0
	v_add_nc_u32_e32 v63, v63, v78
	global_store_b8 v63, v62, s[40:41]
	s_wait_xcnt 0x0
	s_or_b32 exec_lo, exec_lo, s29
	v_cmp_lt_u32_e64 s29, v79, v134
	s_and_saveexec_b32 s30, s29
	s_cbranch_execz .LBB1627_1130
.LBB1627_1202:                          ;   in Loop: Header=BB1627_1032 Depth=2
	ds_load_u8 v62, v2 offset:3840
	s_wait_dscnt 0x0
	v_and_b32_e32 v63, 1, v62
	s_delay_alu instid0(VALU_DEP_1) | instskip(NEXT) | instid1(VALU_DEP_1)
	v_lshrrev_b32_e32 v63, s49, v63
	v_and_b32_e32 v63, s48, v63
	s_delay_alu instid0(VALU_DEP_1)
	v_lshlrev_b32_e32 v63, 2, v63
	ds_load_b32 v63, v63
	s_wait_dscnt 0x0
	v_add_nc_u32_e32 v63, v63, v79
	global_store_b8 v63, v62, s[40:41]
	s_wait_xcnt 0x0
	s_or_b32 exec_lo, exec_lo, s30
	v_cmp_lt_u32_e64 s30, v80, v134
	s_and_saveexec_b32 s31, s30
	s_cbranch_execz .LBB1627_1131
.LBB1627_1203:                          ;   in Loop: Header=BB1627_1032 Depth=2
	ds_load_u8 v62, v2 offset:4096
	s_wait_dscnt 0x0
	v_and_b32_e32 v63, 1, v62
	s_delay_alu instid0(VALU_DEP_1) | instskip(NEXT) | instid1(VALU_DEP_1)
	v_lshrrev_b32_e32 v63, s49, v63
	v_and_b32_e32 v63, s48, v63
	s_delay_alu instid0(VALU_DEP_1)
	v_lshlrev_b32_e32 v63, 2, v63
	ds_load_b32 v63, v63
	s_wait_dscnt 0x0
	v_add_nc_u32_e32 v63, v63, v80
	global_store_b8 v63, v62, s[40:41]
	s_wait_xcnt 0x0
	s_or_b32 exec_lo, exec_lo, s31
	v_cmp_lt_u32_e64 s31, v81, v134
	s_and_saveexec_b32 s33, s31
	s_cbranch_execz .LBB1627_1132
.LBB1627_1204:                          ;   in Loop: Header=BB1627_1032 Depth=2
	ds_load_u8 v62, v2 offset:4352
	s_wait_dscnt 0x0
	v_and_b32_e32 v63, 1, v62
	s_delay_alu instid0(VALU_DEP_1) | instskip(NEXT) | instid1(VALU_DEP_1)
	v_lshrrev_b32_e32 v63, s49, v63
	v_and_b32_e32 v63, s48, v63
	s_delay_alu instid0(VALU_DEP_1)
	v_lshlrev_b32_e32 v63, 2, v63
	ds_load_b32 v63, v63
	s_wait_dscnt 0x0
	v_add_nc_u32_e32 v63, v63, v81
	global_store_b8 v63, v62, s[40:41]
	s_wait_xcnt 0x0
	s_or_b32 exec_lo, exec_lo, s33
	v_cmp_lt_u32_e64 s33, v82, v134
	s_and_saveexec_b32 s60, s33
	s_cbranch_execnz .LBB1627_1133
	s_branch .LBB1627_1134
.LBB1627_1205:                          ;   in Loop: Header=BB1627_1032 Depth=2
	global_load_b64 v[60:61], v[62:63], off
	s_wait_xcnt 0x0
	s_or_b32 exec_lo, exec_lo, s34
	s_delay_alu instid0(SALU_CYCLE_1)
	s_mov_b32 s60, exec_lo
	v_cmpx_lt_u32_e64 v98, v134
	s_cbranch_execz .LBB1627_1136
.LBB1627_1206:                          ;   in Loop: Header=BB1627_1032 Depth=2
	global_load_b64 v[58:59], v[62:63], off offset:256
	s_wait_xcnt 0x0
	s_or_b32 exec_lo, exec_lo, s60
	s_delay_alu instid0(SALU_CYCLE_1)
	s_mov_b32 s60, exec_lo
	v_cmpx_lt_u32_e64 v99, v134
	s_cbranch_execz .LBB1627_1137
.LBB1627_1207:                          ;   in Loop: Header=BB1627_1032 Depth=2
	global_load_b64 v[56:57], v[62:63], off offset:512
	s_wait_xcnt 0x0
	s_or_b32 exec_lo, exec_lo, s60
	s_delay_alu instid0(SALU_CYCLE_1)
	s_mov_b32 s60, exec_lo
	v_cmpx_lt_u32_e64 v100, v134
	s_cbranch_execz .LBB1627_1138
.LBB1627_1208:                          ;   in Loop: Header=BB1627_1032 Depth=2
	global_load_b64 v[54:55], v[62:63], off offset:768
	s_wait_xcnt 0x0
	s_or_b32 exec_lo, exec_lo, s60
	s_delay_alu instid0(SALU_CYCLE_1)
	s_mov_b32 s60, exec_lo
	v_cmpx_lt_u32_e64 v101, v134
	s_cbranch_execz .LBB1627_1139
.LBB1627_1209:                          ;   in Loop: Header=BB1627_1032 Depth=2
	global_load_b64 v[52:53], v[62:63], off offset:1024
	s_wait_xcnt 0x0
	s_or_b32 exec_lo, exec_lo, s60
	s_delay_alu instid0(SALU_CYCLE_1)
	s_mov_b32 s60, exec_lo
	v_cmpx_lt_u32_e64 v102, v134
	s_cbranch_execz .LBB1627_1140
.LBB1627_1210:                          ;   in Loop: Header=BB1627_1032 Depth=2
	global_load_b64 v[50:51], v[62:63], off offset:1280
	s_wait_xcnt 0x0
	s_or_b32 exec_lo, exec_lo, s60
	s_delay_alu instid0(SALU_CYCLE_1)
	s_mov_b32 s60, exec_lo
	v_cmpx_lt_u32_e64 v103, v134
	s_cbranch_execz .LBB1627_1141
.LBB1627_1211:                          ;   in Loop: Header=BB1627_1032 Depth=2
	global_load_b64 v[48:49], v[62:63], off offset:1536
	s_wait_xcnt 0x0
	s_or_b32 exec_lo, exec_lo, s60
	s_delay_alu instid0(SALU_CYCLE_1)
	s_mov_b32 s60, exec_lo
	v_cmpx_lt_u32_e64 v104, v134
	s_cbranch_execz .LBB1627_1142
.LBB1627_1212:                          ;   in Loop: Header=BB1627_1032 Depth=2
	global_load_b64 v[46:47], v[62:63], off offset:1792
	s_wait_xcnt 0x0
	s_or_b32 exec_lo, exec_lo, s60
	s_delay_alu instid0(SALU_CYCLE_1)
	s_mov_b32 s60, exec_lo
	v_cmpx_lt_u32_e64 v105, v134
	s_cbranch_execz .LBB1627_1143
.LBB1627_1213:                          ;   in Loop: Header=BB1627_1032 Depth=2
	global_load_b64 v[44:45], v[62:63], off offset:2048
	s_wait_xcnt 0x0
	s_or_b32 exec_lo, exec_lo, s60
	s_delay_alu instid0(SALU_CYCLE_1)
	s_mov_b32 s60, exec_lo
	v_cmpx_lt_u32_e64 v106, v134
	s_cbranch_execz .LBB1627_1144
.LBB1627_1214:                          ;   in Loop: Header=BB1627_1032 Depth=2
	global_load_b64 v[42:43], v[62:63], off offset:2304
	s_wait_xcnt 0x0
	s_or_b32 exec_lo, exec_lo, s60
	s_delay_alu instid0(SALU_CYCLE_1)
	s_mov_b32 s60, exec_lo
	v_cmpx_lt_u32_e64 v107, v134
	s_cbranch_execz .LBB1627_1145
.LBB1627_1215:                          ;   in Loop: Header=BB1627_1032 Depth=2
	global_load_b64 v[40:41], v[62:63], off offset:2560
	s_wait_xcnt 0x0
	s_or_b32 exec_lo, exec_lo, s60
	s_delay_alu instid0(SALU_CYCLE_1)
	s_mov_b32 s60, exec_lo
	v_cmpx_lt_u32_e64 v108, v134
	s_cbranch_execz .LBB1627_1146
.LBB1627_1216:                          ;   in Loop: Header=BB1627_1032 Depth=2
	global_load_b64 v[38:39], v[62:63], off offset:2816
	s_wait_xcnt 0x0
	s_or_b32 exec_lo, exec_lo, s60
	s_delay_alu instid0(SALU_CYCLE_1)
	s_mov_b32 s60, exec_lo
	v_cmpx_lt_u32_e64 v109, v134
	s_cbranch_execz .LBB1627_1147
.LBB1627_1217:                          ;   in Loop: Header=BB1627_1032 Depth=2
	global_load_b64 v[36:37], v[62:63], off offset:3072
	s_wait_xcnt 0x0
	s_or_b32 exec_lo, exec_lo, s60
	s_delay_alu instid0(SALU_CYCLE_1)
	s_mov_b32 s60, exec_lo
	v_cmpx_lt_u32_e64 v110, v134
	s_cbranch_execz .LBB1627_1148
.LBB1627_1218:                          ;   in Loop: Header=BB1627_1032 Depth=2
	global_load_b64 v[34:35], v[62:63], off offset:3328
	s_wait_xcnt 0x0
	s_or_b32 exec_lo, exec_lo, s60
	s_delay_alu instid0(SALU_CYCLE_1)
	s_mov_b32 s60, exec_lo
	v_cmpx_lt_u32_e64 v111, v134
	s_cbranch_execz .LBB1627_1149
.LBB1627_1219:                          ;   in Loop: Header=BB1627_1032 Depth=2
	global_load_b64 v[32:33], v[62:63], off offset:3584
	s_wait_xcnt 0x0
	s_or_b32 exec_lo, exec_lo, s60
	s_delay_alu instid0(SALU_CYCLE_1)
	s_mov_b32 s60, exec_lo
	v_cmpx_lt_u32_e64 v112, v134
	s_cbranch_execz .LBB1627_1150
.LBB1627_1220:                          ;   in Loop: Header=BB1627_1032 Depth=2
	global_load_b64 v[30:31], v[62:63], off offset:3840
	s_wait_xcnt 0x0
	s_or_b32 exec_lo, exec_lo, s60
	s_delay_alu instid0(SALU_CYCLE_1)
	s_mov_b32 s60, exec_lo
	v_cmpx_lt_u32_e64 v113, v134
	s_cbranch_execz .LBB1627_1151
.LBB1627_1221:                          ;   in Loop: Header=BB1627_1032 Depth=2
	global_load_b64 v[28:29], v[62:63], off offset:4096
	s_wait_xcnt 0x0
	s_or_b32 exec_lo, exec_lo, s60
	s_and_saveexec_b32 s34, vcc_lo
	s_cbranch_execz .LBB1627_1152
.LBB1627_1222:                          ;   in Loop: Header=BB1627_1032 Depth=2
	ds_load_u8 v62, v2 offset:512
	s_wait_dscnt 0x0
	v_lshrrev_b32_e32 v62, s49, v62
	s_delay_alu instid0(VALU_DEP_1)
	v_and_b32_e32 v131, s48, v62
	s_or_b32 exec_lo, exec_lo, s34
	s_and_saveexec_b32 s34, s17
	s_cbranch_execz .LBB1627_1153
.LBB1627_1223:                          ;   in Loop: Header=BB1627_1032 Depth=2
	ds_load_u8 v62, v2 offset:768
	s_wait_dscnt 0x0
	v_lshrrev_b32_e32 v62, s49, v62
	s_delay_alu instid0(VALU_DEP_1)
	v_and_b32_e32 v130, s48, v62
	s_or_b32 exec_lo, exec_lo, s34
	s_and_saveexec_b32 s34, s18
	s_cbranch_execz .LBB1627_1154
.LBB1627_1224:                          ;   in Loop: Header=BB1627_1032 Depth=2
	ds_load_u8 v62, v2 offset:1024
	s_wait_dscnt 0x0
	v_lshrrev_b32_e32 v62, s49, v62
	s_delay_alu instid0(VALU_DEP_1)
	v_and_b32_e32 v129, s48, v62
	s_or_b32 exec_lo, exec_lo, s34
	s_and_saveexec_b32 s34, s19
	s_cbranch_execz .LBB1627_1155
.LBB1627_1225:                          ;   in Loop: Header=BB1627_1032 Depth=2
	ds_load_u8 v62, v2 offset:1280
	s_wait_dscnt 0x0
	v_lshrrev_b32_e32 v62, s49, v62
	s_delay_alu instid0(VALU_DEP_1)
	v_and_b32_e32 v128, s48, v62
	s_or_b32 exec_lo, exec_lo, s34
	s_and_saveexec_b32 s34, s20
	s_cbranch_execz .LBB1627_1156
.LBB1627_1226:                          ;   in Loop: Header=BB1627_1032 Depth=2
	ds_load_u8 v62, v2 offset:1536
	s_wait_dscnt 0x0
	v_lshrrev_b32_e32 v62, s49, v62
	s_delay_alu instid0(VALU_DEP_1)
	v_and_b32_e32 v127, s48, v62
	s_or_b32 exec_lo, exec_lo, s34
	s_and_saveexec_b32 s34, s21
	s_cbranch_execz .LBB1627_1157
.LBB1627_1227:                          ;   in Loop: Header=BB1627_1032 Depth=2
	ds_load_u8 v62, v2 offset:1792
	s_wait_dscnt 0x0
	v_lshrrev_b32_e32 v62, s49, v62
	s_delay_alu instid0(VALU_DEP_1)
	v_and_b32_e32 v126, s48, v62
	s_or_b32 exec_lo, exec_lo, s34
	s_and_saveexec_b32 s34, s22
	s_cbranch_execz .LBB1627_1158
.LBB1627_1228:                          ;   in Loop: Header=BB1627_1032 Depth=2
	ds_load_u8 v62, v2 offset:2048
	s_wait_dscnt 0x0
	v_lshrrev_b32_e32 v62, s49, v62
	s_delay_alu instid0(VALU_DEP_1)
	v_and_b32_e32 v125, s48, v62
	s_or_b32 exec_lo, exec_lo, s34
	s_and_saveexec_b32 s34, s23
	s_cbranch_execz .LBB1627_1159
.LBB1627_1229:                          ;   in Loop: Header=BB1627_1032 Depth=2
	ds_load_u8 v62, v2 offset:2304
	s_wait_dscnt 0x0
	v_lshrrev_b32_e32 v62, s49, v62
	s_delay_alu instid0(VALU_DEP_1)
	v_and_b32_e32 v124, s48, v62
	s_or_b32 exec_lo, exec_lo, s34
	s_and_saveexec_b32 s34, s24
	s_cbranch_execz .LBB1627_1160
.LBB1627_1230:                          ;   in Loop: Header=BB1627_1032 Depth=2
	ds_load_u8 v62, v2 offset:2560
	s_wait_dscnt 0x0
	v_lshrrev_b32_e32 v62, s49, v62
	s_delay_alu instid0(VALU_DEP_1)
	v_and_b32_e32 v123, s48, v62
	s_or_b32 exec_lo, exec_lo, s34
	s_and_saveexec_b32 s34, s25
	s_cbranch_execz .LBB1627_1161
.LBB1627_1231:                          ;   in Loop: Header=BB1627_1032 Depth=2
	ds_load_u8 v62, v2 offset:2816
	s_wait_dscnt 0x0
	v_lshrrev_b32_e32 v62, s49, v62
	s_delay_alu instid0(VALU_DEP_1)
	v_and_b32_e32 v122, s48, v62
	s_or_b32 exec_lo, exec_lo, s34
	s_and_saveexec_b32 s34, s26
	s_cbranch_execz .LBB1627_1162
.LBB1627_1232:                          ;   in Loop: Header=BB1627_1032 Depth=2
	ds_load_u8 v62, v2 offset:3072
	s_wait_dscnt 0x0
	v_lshrrev_b32_e32 v62, s49, v62
	s_delay_alu instid0(VALU_DEP_1)
	v_and_b32_e32 v121, s48, v62
	s_or_b32 exec_lo, exec_lo, s34
	s_and_saveexec_b32 s34, s27
	s_cbranch_execz .LBB1627_1163
.LBB1627_1233:                          ;   in Loop: Header=BB1627_1032 Depth=2
	ds_load_u8 v62, v2 offset:3328
	s_wait_dscnt 0x0
	v_lshrrev_b32_e32 v62, s49, v62
	s_delay_alu instid0(VALU_DEP_1)
	v_and_b32_e32 v120, s48, v62
	s_or_b32 exec_lo, exec_lo, s34
	s_and_saveexec_b32 s34, s28
	s_cbranch_execz .LBB1627_1164
.LBB1627_1234:                          ;   in Loop: Header=BB1627_1032 Depth=2
	ds_load_u8 v62, v2 offset:3584
	s_wait_dscnt 0x0
	v_lshrrev_b32_e32 v62, s49, v62
	s_delay_alu instid0(VALU_DEP_1)
	v_and_b32_e32 v119, s48, v62
	s_or_b32 exec_lo, exec_lo, s34
	s_and_saveexec_b32 s34, s29
	s_cbranch_execz .LBB1627_1165
.LBB1627_1235:                          ;   in Loop: Header=BB1627_1032 Depth=2
	ds_load_u8 v62, v2 offset:3840
	s_wait_dscnt 0x0
	v_lshrrev_b32_e32 v62, s49, v62
	s_delay_alu instid0(VALU_DEP_1)
	v_and_b32_e32 v118, s48, v62
	s_or_b32 exec_lo, exec_lo, s34
	s_and_saveexec_b32 s34, s30
	s_cbranch_execz .LBB1627_1166
.LBB1627_1236:                          ;   in Loop: Header=BB1627_1032 Depth=2
	ds_load_u8 v62, v2 offset:4096
	s_wait_dscnt 0x0
	v_lshrrev_b32_e32 v62, s49, v62
	s_delay_alu instid0(VALU_DEP_1)
	v_and_b32_e32 v117, s48, v62
	s_or_b32 exec_lo, exec_lo, s34
	s_and_saveexec_b32 s34, s31
	s_cbranch_execz .LBB1627_1167
.LBB1627_1237:                          ;   in Loop: Header=BB1627_1032 Depth=2
	ds_load_u8 v62, v2 offset:4352
	s_wait_dscnt 0x0
	v_lshrrev_b32_e32 v62, s49, v62
	s_delay_alu instid0(VALU_DEP_1)
	v_and_b32_e32 v116, s48, v62
	s_or_b32 exec_lo, exec_lo, s34
	s_and_saveexec_b32 s34, s33
	s_cbranch_execnz .LBB1627_1168
	s_branch .LBB1627_1169
.LBB1627_1238:                          ;   in Loop: Header=BB1627_1032 Depth=2
	v_lshlrev_b32_e32 v63, 2, v131
	ds_load_b32 v63, v63
	ds_load_b64 v[64:65], v62 offset:512
	s_wait_dscnt 0x1
	v_add_nc_u32_e32 v63, v63, v2
	s_wait_dscnt 0x0
	global_store_b64 v63, v[64:65], s[46:47] scale_offset
	s_wait_xcnt 0x0
	s_or_b32 exec_lo, exec_lo, s34
	s_and_saveexec_b32 s34, s17
	s_cbranch_execz .LBB1627_1171
.LBB1627_1239:                          ;   in Loop: Header=BB1627_1032 Depth=2
	v_lshlrev_b32_e32 v63, 2, v130
	ds_load_b32 v63, v63
	ds_load_b64 v[64:65], v62 offset:2560
	s_wait_dscnt 0x1
	v_add_nc_u32_e32 v63, v63, v67
	s_wait_dscnt 0x0
	global_store_b64 v63, v[64:65], s[46:47] scale_offset
	s_wait_xcnt 0x0
	s_or_b32 exec_lo, exec_lo, s34
	s_and_saveexec_b32 s17, s18
	s_cbranch_execz .LBB1627_1172
.LBB1627_1240:                          ;   in Loop: Header=BB1627_1032 Depth=2
	v_lshlrev_b32_e32 v63, 2, v129
	ds_load_b32 v63, v63
	ds_load_b64 v[64:65], v62 offset:4608
	s_wait_dscnt 0x1
	v_add_nc_u32_e32 v63, v63, v68
	s_wait_dscnt 0x0
	global_store_b64 v63, v[64:65], s[46:47] scale_offset
	s_wait_xcnt 0x0
	s_or_b32 exec_lo, exec_lo, s17
	s_and_saveexec_b32 s17, s19
	s_cbranch_execz .LBB1627_1173
.LBB1627_1241:                          ;   in Loop: Header=BB1627_1032 Depth=2
	v_lshlrev_b32_e32 v63, 2, v128
	ds_load_b32 v63, v63
	ds_load_b64 v[64:65], v62 offset:6656
	s_wait_dscnt 0x1
	v_add_nc_u32_e32 v63, v63, v69
	s_wait_dscnt 0x0
	global_store_b64 v63, v[64:65], s[46:47] scale_offset
	s_wait_xcnt 0x0
	s_or_b32 exec_lo, exec_lo, s17
	s_and_saveexec_b32 s17, s20
	s_cbranch_execz .LBB1627_1174
.LBB1627_1242:                          ;   in Loop: Header=BB1627_1032 Depth=2
	v_lshlrev_b32_e32 v63, 2, v127
	ds_load_b32 v63, v63
	ds_load_b64 v[64:65], v62 offset:8704
	s_wait_dscnt 0x1
	v_add_nc_u32_e32 v63, v63, v70
	s_wait_dscnt 0x0
	global_store_b64 v63, v[64:65], s[46:47] scale_offset
	s_wait_xcnt 0x0
	s_or_b32 exec_lo, exec_lo, s17
	s_and_saveexec_b32 s17, s21
	s_cbranch_execz .LBB1627_1175
.LBB1627_1243:                          ;   in Loop: Header=BB1627_1032 Depth=2
	v_lshlrev_b32_e32 v63, 2, v126
	ds_load_b32 v63, v63
	ds_load_b64 v[64:65], v62 offset:10752
	s_wait_dscnt 0x1
	v_add_nc_u32_e32 v63, v63, v71
	s_wait_dscnt 0x0
	global_store_b64 v63, v[64:65], s[46:47] scale_offset
	s_wait_xcnt 0x0
	s_or_b32 exec_lo, exec_lo, s17
	s_and_saveexec_b32 s17, s22
	s_cbranch_execz .LBB1627_1176
.LBB1627_1244:                          ;   in Loop: Header=BB1627_1032 Depth=2
	v_lshlrev_b32_e32 v63, 2, v125
	ds_load_b32 v63, v63
	ds_load_b64 v[64:65], v62 offset:12800
	s_wait_dscnt 0x1
	v_add_nc_u32_e32 v63, v63, v72
	s_wait_dscnt 0x0
	global_store_b64 v63, v[64:65], s[46:47] scale_offset
	s_wait_xcnt 0x0
	s_or_b32 exec_lo, exec_lo, s17
	s_and_saveexec_b32 s17, s23
	s_cbranch_execz .LBB1627_1177
.LBB1627_1245:                          ;   in Loop: Header=BB1627_1032 Depth=2
	v_lshlrev_b32_e32 v63, 2, v124
	ds_load_b32 v63, v63
	ds_load_b64 v[64:65], v62 offset:14848
	s_wait_dscnt 0x1
	v_add_nc_u32_e32 v63, v63, v73
	s_wait_dscnt 0x0
	global_store_b64 v63, v[64:65], s[46:47] scale_offset
	s_wait_xcnt 0x0
	s_or_b32 exec_lo, exec_lo, s17
	s_and_saveexec_b32 s17, s24
	s_cbranch_execz .LBB1627_1178
.LBB1627_1246:                          ;   in Loop: Header=BB1627_1032 Depth=2
	v_lshlrev_b32_e32 v63, 2, v123
	ds_load_b32 v63, v63
	ds_load_b64 v[64:65], v62 offset:16896
	s_wait_dscnt 0x1
	v_add_nc_u32_e32 v63, v63, v74
	s_wait_dscnt 0x0
	global_store_b64 v63, v[64:65], s[46:47] scale_offset
	s_wait_xcnt 0x0
	s_or_b32 exec_lo, exec_lo, s17
	s_and_saveexec_b32 s17, s25
	s_cbranch_execz .LBB1627_1179
.LBB1627_1247:                          ;   in Loop: Header=BB1627_1032 Depth=2
	v_lshlrev_b32_e32 v63, 2, v122
	ds_load_b32 v63, v63
	ds_load_b64 v[64:65], v62 offset:18944
	s_wait_dscnt 0x1
	v_add_nc_u32_e32 v63, v63, v75
	s_wait_dscnt 0x0
	global_store_b64 v63, v[64:65], s[46:47] scale_offset
	s_wait_xcnt 0x0
	s_or_b32 exec_lo, exec_lo, s17
	s_and_saveexec_b32 s17, s26
	s_cbranch_execz .LBB1627_1180
.LBB1627_1248:                          ;   in Loop: Header=BB1627_1032 Depth=2
	v_lshlrev_b32_e32 v63, 2, v121
	ds_load_b32 v63, v63
	ds_load_b64 v[64:65], v62 offset:20992
	s_wait_dscnt 0x1
	v_add_nc_u32_e32 v63, v63, v76
	s_wait_dscnt 0x0
	global_store_b64 v63, v[64:65], s[46:47] scale_offset
	s_wait_xcnt 0x0
	s_or_b32 exec_lo, exec_lo, s17
	s_and_saveexec_b32 s17, s27
	s_cbranch_execz .LBB1627_1181
.LBB1627_1249:                          ;   in Loop: Header=BB1627_1032 Depth=2
	v_lshlrev_b32_e32 v63, 2, v120
	ds_load_b32 v63, v63
	ds_load_b64 v[64:65], v62 offset:23040
	s_wait_dscnt 0x1
	v_add_nc_u32_e32 v63, v63, v77
	s_wait_dscnt 0x0
	global_store_b64 v63, v[64:65], s[46:47] scale_offset
	s_wait_xcnt 0x0
	s_or_b32 exec_lo, exec_lo, s17
	s_and_saveexec_b32 s17, s28
	s_cbranch_execz .LBB1627_1182
.LBB1627_1250:                          ;   in Loop: Header=BB1627_1032 Depth=2
	v_lshlrev_b32_e32 v63, 2, v119
	ds_load_b32 v63, v63
	ds_load_b64 v[64:65], v62 offset:25088
	s_wait_dscnt 0x1
	v_add_nc_u32_e32 v63, v63, v78
	s_wait_dscnt 0x0
	global_store_b64 v63, v[64:65], s[46:47] scale_offset
	s_wait_xcnt 0x0
	s_or_b32 exec_lo, exec_lo, s17
	s_and_saveexec_b32 s17, s29
	s_cbranch_execz .LBB1627_1183
.LBB1627_1251:                          ;   in Loop: Header=BB1627_1032 Depth=2
	v_lshlrev_b32_e32 v63, 2, v118
	ds_load_b32 v63, v63
	ds_load_b64 v[64:65], v62 offset:27136
	s_wait_dscnt 0x1
	v_add_nc_u32_e32 v63, v63, v79
	s_wait_dscnt 0x0
	global_store_b64 v63, v[64:65], s[46:47] scale_offset
	s_wait_xcnt 0x0
	s_or_b32 exec_lo, exec_lo, s17
	s_and_saveexec_b32 s17, s30
	s_cbranch_execz .LBB1627_1184
.LBB1627_1252:                          ;   in Loop: Header=BB1627_1032 Depth=2
	v_lshlrev_b32_e32 v63, 2, v117
	ds_load_b32 v63, v63
	ds_load_b64 v[64:65], v62 offset:29184
	s_wait_dscnt 0x1
	v_add_nc_u32_e32 v63, v63, v80
	s_wait_dscnt 0x0
	global_store_b64 v63, v[64:65], s[46:47] scale_offset
	s_wait_xcnt 0x0
	s_or_b32 exec_lo, exec_lo, s17
	s_and_saveexec_b32 s17, s31
	s_cbranch_execz .LBB1627_1185
.LBB1627_1253:                          ;   in Loop: Header=BB1627_1032 Depth=2
	v_lshlrev_b32_e32 v63, 2, v116
	ds_load_b32 v63, v63
	ds_load_b64 v[64:65], v62 offset:31232
	s_wait_dscnt 0x1
	v_add_nc_u32_e32 v63, v63, v81
	s_wait_dscnt 0x0
	global_store_b64 v63, v[64:65], s[46:47] scale_offset
	s_wait_xcnt 0x0
	s_or_b32 exec_lo, exec_lo, s17
	s_and_saveexec_b32 s17, s33
	s_cbranch_execnz .LBB1627_1186
	s_branch .LBB1627_1187
.LBB1627_1254:
	s_endpgm
	.section	.rodata,"a",@progbits
	.p2align	6, 0x0
	.amdhsa_kernel _ZN7rocprim17ROCPRIM_400000_NS6detail17trampoline_kernelINS0_14default_configENS1_36segmented_radix_sort_config_selectorIblEEZNS1_25segmented_radix_sort_implIS3_Lb0EPKbPbPKlPlN2at6native12_GLOBAL__N_18offset_tEEE10hipError_tPvRmT1_PNSt15iterator_traitsISK_E10value_typeET2_T3_PNSL_ISQ_E10value_typeET4_jRbjT5_SW_jjP12ihipStream_tbEUlT_E_NS1_11comp_targetILNS1_3genE0ELNS1_11target_archE4294967295ELNS1_3gpuE0ELNS1_3repE0EEENS1_30default_config_static_selectorELNS0_4arch9wavefront6targetE0EEEvSK_
		.amdhsa_group_segment_fixed_size 35344
		.amdhsa_private_segment_fixed_size 0
		.amdhsa_kernarg_size 352
		.amdhsa_user_sgpr_count 4
		.amdhsa_user_sgpr_dispatch_ptr 0
		.amdhsa_user_sgpr_queue_ptr 1
		.amdhsa_user_sgpr_kernarg_segment_ptr 1
		.amdhsa_user_sgpr_dispatch_id 0
		.amdhsa_user_sgpr_kernarg_preload_length 0
		.amdhsa_user_sgpr_kernarg_preload_offset 0
		.amdhsa_user_sgpr_private_segment_size 0
		.amdhsa_wavefront_size32 1
		.amdhsa_uses_dynamic_stack 0
		.amdhsa_enable_private_segment 0
		.amdhsa_system_sgpr_workgroup_id_x 1
		.amdhsa_system_sgpr_workgroup_id_y 1
		.amdhsa_system_sgpr_workgroup_id_z 0
		.amdhsa_system_sgpr_workgroup_info 0
		.amdhsa_system_vgpr_workitem_id 2
		.amdhsa_next_free_vgpr 319
		.amdhsa_next_free_sgpr 61
		.amdhsa_named_barrier_count 0
		.amdhsa_reserve_vcc 1
		.amdhsa_float_round_mode_32 0
		.amdhsa_float_round_mode_16_64 0
		.amdhsa_float_denorm_mode_32 3
		.amdhsa_float_denorm_mode_16_64 3
		.amdhsa_fp16_overflow 0
		.amdhsa_memory_ordered 1
		.amdhsa_forward_progress 1
		.amdhsa_inst_pref_size 255
		.amdhsa_round_robin_scheduling 0
		.amdhsa_exception_fp_ieee_invalid_op 0
		.amdhsa_exception_fp_denorm_src 0
		.amdhsa_exception_fp_ieee_div_zero 0
		.amdhsa_exception_fp_ieee_overflow 0
		.amdhsa_exception_fp_ieee_underflow 0
		.amdhsa_exception_fp_ieee_inexact 0
		.amdhsa_exception_int_div_zero 0
	.end_amdhsa_kernel
	.section	.text._ZN7rocprim17ROCPRIM_400000_NS6detail17trampoline_kernelINS0_14default_configENS1_36segmented_radix_sort_config_selectorIblEEZNS1_25segmented_radix_sort_implIS3_Lb0EPKbPbPKlPlN2at6native12_GLOBAL__N_18offset_tEEE10hipError_tPvRmT1_PNSt15iterator_traitsISK_E10value_typeET2_T3_PNSL_ISQ_E10value_typeET4_jRbjT5_SW_jjP12ihipStream_tbEUlT_E_NS1_11comp_targetILNS1_3genE0ELNS1_11target_archE4294967295ELNS1_3gpuE0ELNS1_3repE0EEENS1_30default_config_static_selectorELNS0_4arch9wavefront6targetE0EEEvSK_,"axG",@progbits,_ZN7rocprim17ROCPRIM_400000_NS6detail17trampoline_kernelINS0_14default_configENS1_36segmented_radix_sort_config_selectorIblEEZNS1_25segmented_radix_sort_implIS3_Lb0EPKbPbPKlPlN2at6native12_GLOBAL__N_18offset_tEEE10hipError_tPvRmT1_PNSt15iterator_traitsISK_E10value_typeET2_T3_PNSL_ISQ_E10value_typeET4_jRbjT5_SW_jjP12ihipStream_tbEUlT_E_NS1_11comp_targetILNS1_3genE0ELNS1_11target_archE4294967295ELNS1_3gpuE0ELNS1_3repE0EEENS1_30default_config_static_selectorELNS0_4arch9wavefront6targetE0EEEvSK_,comdat
.Lfunc_end1627:
	.size	_ZN7rocprim17ROCPRIM_400000_NS6detail17trampoline_kernelINS0_14default_configENS1_36segmented_radix_sort_config_selectorIblEEZNS1_25segmented_radix_sort_implIS3_Lb0EPKbPbPKlPlN2at6native12_GLOBAL__N_18offset_tEEE10hipError_tPvRmT1_PNSt15iterator_traitsISK_E10value_typeET2_T3_PNSL_ISQ_E10value_typeET4_jRbjT5_SW_jjP12ihipStream_tbEUlT_E_NS1_11comp_targetILNS1_3genE0ELNS1_11target_archE4294967295ELNS1_3gpuE0ELNS1_3repE0EEENS1_30default_config_static_selectorELNS0_4arch9wavefront6targetE0EEEvSK_, .Lfunc_end1627-_ZN7rocprim17ROCPRIM_400000_NS6detail17trampoline_kernelINS0_14default_configENS1_36segmented_radix_sort_config_selectorIblEEZNS1_25segmented_radix_sort_implIS3_Lb0EPKbPbPKlPlN2at6native12_GLOBAL__N_18offset_tEEE10hipError_tPvRmT1_PNSt15iterator_traitsISK_E10value_typeET2_T3_PNSL_ISQ_E10value_typeET4_jRbjT5_SW_jjP12ihipStream_tbEUlT_E_NS1_11comp_targetILNS1_3genE0ELNS1_11target_archE4294967295ELNS1_3gpuE0ELNS1_3repE0EEENS1_30default_config_static_selectorELNS0_4arch9wavefront6targetE0EEEvSK_
                                        ; -- End function
	.set _ZN7rocprim17ROCPRIM_400000_NS6detail17trampoline_kernelINS0_14default_configENS1_36segmented_radix_sort_config_selectorIblEEZNS1_25segmented_radix_sort_implIS3_Lb0EPKbPbPKlPlN2at6native12_GLOBAL__N_18offset_tEEE10hipError_tPvRmT1_PNSt15iterator_traitsISK_E10value_typeET2_T3_PNSL_ISQ_E10value_typeET4_jRbjT5_SW_jjP12ihipStream_tbEUlT_E_NS1_11comp_targetILNS1_3genE0ELNS1_11target_archE4294967295ELNS1_3gpuE0ELNS1_3repE0EEENS1_30default_config_static_selectorELNS0_4arch9wavefront6targetE0EEEvSK_.num_vgpr, max(205, .L_ZN7rocprim17ROCPRIM_400000_NS6detail40segmented_radix_sort_single_block_helperIblLj256ELj17ELb0EE4sortIPKbPbPKlPlEEbT_T0_T1_T2_jjjjRNS3_12storage_typeE.num_vgpr)
	.set _ZN7rocprim17ROCPRIM_400000_NS6detail17trampoline_kernelINS0_14default_configENS1_36segmented_radix_sort_config_selectorIblEEZNS1_25segmented_radix_sort_implIS3_Lb0EPKbPbPKlPlN2at6native12_GLOBAL__N_18offset_tEEE10hipError_tPvRmT1_PNSt15iterator_traitsISK_E10value_typeET2_T3_PNSL_ISQ_E10value_typeET4_jRbjT5_SW_jjP12ihipStream_tbEUlT_E_NS1_11comp_targetILNS1_3genE0ELNS1_11target_archE4294967295ELNS1_3gpuE0ELNS1_3repE0EEENS1_30default_config_static_selectorELNS0_4arch9wavefront6targetE0EEEvSK_.num_agpr, max(0, .L_ZN7rocprim17ROCPRIM_400000_NS6detail40segmented_radix_sort_single_block_helperIblLj256ELj17ELb0EE4sortIPKbPbPKlPlEEbT_T0_T1_T2_jjjjRNS3_12storage_typeE.num_agpr)
	.set _ZN7rocprim17ROCPRIM_400000_NS6detail17trampoline_kernelINS0_14default_configENS1_36segmented_radix_sort_config_selectorIblEEZNS1_25segmented_radix_sort_implIS3_Lb0EPKbPbPKlPlN2at6native12_GLOBAL__N_18offset_tEEE10hipError_tPvRmT1_PNSt15iterator_traitsISK_E10value_typeET2_T3_PNSL_ISQ_E10value_typeET4_jRbjT5_SW_jjP12ihipStream_tbEUlT_E_NS1_11comp_targetILNS1_3genE0ELNS1_11target_archE4294967295ELNS1_3gpuE0ELNS1_3repE0EEENS1_30default_config_static_selectorELNS0_4arch9wavefront6targetE0EEEvSK_.numbered_sgpr, max(61, .L_ZN7rocprim17ROCPRIM_400000_NS6detail40segmented_radix_sort_single_block_helperIblLj256ELj17ELb0EE4sortIPKbPbPKlPlEEbT_T0_T1_T2_jjjjRNS3_12storage_typeE.numbered_sgpr)
	.set _ZN7rocprim17ROCPRIM_400000_NS6detail17trampoline_kernelINS0_14default_configENS1_36segmented_radix_sort_config_selectorIblEEZNS1_25segmented_radix_sort_implIS3_Lb0EPKbPbPKlPlN2at6native12_GLOBAL__N_18offset_tEEE10hipError_tPvRmT1_PNSt15iterator_traitsISK_E10value_typeET2_T3_PNSL_ISQ_E10value_typeET4_jRbjT5_SW_jjP12ihipStream_tbEUlT_E_NS1_11comp_targetILNS1_3genE0ELNS1_11target_archE4294967295ELNS1_3gpuE0ELNS1_3repE0EEENS1_30default_config_static_selectorELNS0_4arch9wavefront6targetE0EEEvSK_.num_named_barrier, max(0, .L_ZN7rocprim17ROCPRIM_400000_NS6detail40segmented_radix_sort_single_block_helperIblLj256ELj17ELb0EE4sortIPKbPbPKlPlEEbT_T0_T1_T2_jjjjRNS3_12storage_typeE.num_named_barrier)
	.set _ZN7rocprim17ROCPRIM_400000_NS6detail17trampoline_kernelINS0_14default_configENS1_36segmented_radix_sort_config_selectorIblEEZNS1_25segmented_radix_sort_implIS3_Lb0EPKbPbPKlPlN2at6native12_GLOBAL__N_18offset_tEEE10hipError_tPvRmT1_PNSt15iterator_traitsISK_E10value_typeET2_T3_PNSL_ISQ_E10value_typeET4_jRbjT5_SW_jjP12ihipStream_tbEUlT_E_NS1_11comp_targetILNS1_3genE0ELNS1_11target_archE4294967295ELNS1_3gpuE0ELNS1_3repE0EEENS1_30default_config_static_selectorELNS0_4arch9wavefront6targetE0EEEvSK_.private_seg_size, 0+max(.L_ZN7rocprim17ROCPRIM_400000_NS6detail40segmented_radix_sort_single_block_helperIblLj256ELj17ELb0EE4sortIPKbPbPKlPlEEbT_T0_T1_T2_jjjjRNS3_12storage_typeE.private_seg_size)
	.set _ZN7rocprim17ROCPRIM_400000_NS6detail17trampoline_kernelINS0_14default_configENS1_36segmented_radix_sort_config_selectorIblEEZNS1_25segmented_radix_sort_implIS3_Lb0EPKbPbPKlPlN2at6native12_GLOBAL__N_18offset_tEEE10hipError_tPvRmT1_PNSt15iterator_traitsISK_E10value_typeET2_T3_PNSL_ISQ_E10value_typeET4_jRbjT5_SW_jjP12ihipStream_tbEUlT_E_NS1_11comp_targetILNS1_3genE0ELNS1_11target_archE4294967295ELNS1_3gpuE0ELNS1_3repE0EEENS1_30default_config_static_selectorELNS0_4arch9wavefront6targetE0EEEvSK_.uses_vcc, or(1, .L_ZN7rocprim17ROCPRIM_400000_NS6detail40segmented_radix_sort_single_block_helperIblLj256ELj17ELb0EE4sortIPKbPbPKlPlEEbT_T0_T1_T2_jjjjRNS3_12storage_typeE.uses_vcc)
	.set _ZN7rocprim17ROCPRIM_400000_NS6detail17trampoline_kernelINS0_14default_configENS1_36segmented_radix_sort_config_selectorIblEEZNS1_25segmented_radix_sort_implIS3_Lb0EPKbPbPKlPlN2at6native12_GLOBAL__N_18offset_tEEE10hipError_tPvRmT1_PNSt15iterator_traitsISK_E10value_typeET2_T3_PNSL_ISQ_E10value_typeET4_jRbjT5_SW_jjP12ihipStream_tbEUlT_E_NS1_11comp_targetILNS1_3genE0ELNS1_11target_archE4294967295ELNS1_3gpuE0ELNS1_3repE0EEENS1_30default_config_static_selectorELNS0_4arch9wavefront6targetE0EEEvSK_.uses_flat_scratch, or(0, .L_ZN7rocprim17ROCPRIM_400000_NS6detail40segmented_radix_sort_single_block_helperIblLj256ELj17ELb0EE4sortIPKbPbPKlPlEEbT_T0_T1_T2_jjjjRNS3_12storage_typeE.uses_flat_scratch)
	.set _ZN7rocprim17ROCPRIM_400000_NS6detail17trampoline_kernelINS0_14default_configENS1_36segmented_radix_sort_config_selectorIblEEZNS1_25segmented_radix_sort_implIS3_Lb0EPKbPbPKlPlN2at6native12_GLOBAL__N_18offset_tEEE10hipError_tPvRmT1_PNSt15iterator_traitsISK_E10value_typeET2_T3_PNSL_ISQ_E10value_typeET4_jRbjT5_SW_jjP12ihipStream_tbEUlT_E_NS1_11comp_targetILNS1_3genE0ELNS1_11target_archE4294967295ELNS1_3gpuE0ELNS1_3repE0EEENS1_30default_config_static_selectorELNS0_4arch9wavefront6targetE0EEEvSK_.has_dyn_sized_stack, or(0, .L_ZN7rocprim17ROCPRIM_400000_NS6detail40segmented_radix_sort_single_block_helperIblLj256ELj17ELb0EE4sortIPKbPbPKlPlEEbT_T0_T1_T2_jjjjRNS3_12storage_typeE.has_dyn_sized_stack)
	.set _ZN7rocprim17ROCPRIM_400000_NS6detail17trampoline_kernelINS0_14default_configENS1_36segmented_radix_sort_config_selectorIblEEZNS1_25segmented_radix_sort_implIS3_Lb0EPKbPbPKlPlN2at6native12_GLOBAL__N_18offset_tEEE10hipError_tPvRmT1_PNSt15iterator_traitsISK_E10value_typeET2_T3_PNSL_ISQ_E10value_typeET4_jRbjT5_SW_jjP12ihipStream_tbEUlT_E_NS1_11comp_targetILNS1_3genE0ELNS1_11target_archE4294967295ELNS1_3gpuE0ELNS1_3repE0EEENS1_30default_config_static_selectorELNS0_4arch9wavefront6targetE0EEEvSK_.has_recursion, or(0, .L_ZN7rocprim17ROCPRIM_400000_NS6detail40segmented_radix_sort_single_block_helperIblLj256ELj17ELb0EE4sortIPKbPbPKlPlEEbT_T0_T1_T2_jjjjRNS3_12storage_typeE.has_recursion)
	.set _ZN7rocprim17ROCPRIM_400000_NS6detail17trampoline_kernelINS0_14default_configENS1_36segmented_radix_sort_config_selectorIblEEZNS1_25segmented_radix_sort_implIS3_Lb0EPKbPbPKlPlN2at6native12_GLOBAL__N_18offset_tEEE10hipError_tPvRmT1_PNSt15iterator_traitsISK_E10value_typeET2_T3_PNSL_ISQ_E10value_typeET4_jRbjT5_SW_jjP12ihipStream_tbEUlT_E_NS1_11comp_targetILNS1_3genE0ELNS1_11target_archE4294967295ELNS1_3gpuE0ELNS1_3repE0EEENS1_30default_config_static_selectorELNS0_4arch9wavefront6targetE0EEEvSK_.has_indirect_call, or(0, .L_ZN7rocprim17ROCPRIM_400000_NS6detail40segmented_radix_sort_single_block_helperIblLj256ELj17ELb0EE4sortIPKbPbPKlPlEEbT_T0_T1_T2_jjjjRNS3_12storage_typeE.has_indirect_call)
	.section	.AMDGPU.csdata,"",@progbits
; Kernel info:
; codeLenInByte = 55060
; TotalNumSgprs: 63
; NumVgprs: 319
; ScratchSize: 0
; MemoryBound: 0
; FloatMode: 240
; IeeeMode: 1
; LDSByteSize: 35344 bytes/workgroup (compile time only)
; SGPRBlocks: 0
; VGPRBlocks: 19
; NumSGPRsForWavesPerEU: 63
; NumVGPRsForWavesPerEU: 319
; NamedBarCnt: 0
; Occupancy: 3
; WaveLimiterHint : 1
; COMPUTE_PGM_RSRC2:SCRATCH_EN: 0
; COMPUTE_PGM_RSRC2:USER_SGPR: 4
; COMPUTE_PGM_RSRC2:TRAP_HANDLER: 0
; COMPUTE_PGM_RSRC2:TGID_X_EN: 1
; COMPUTE_PGM_RSRC2:TGID_Y_EN: 1
; COMPUTE_PGM_RSRC2:TGID_Z_EN: 0
; COMPUTE_PGM_RSRC2:TIDIG_COMP_CNT: 2
	.section	.text._ZN7rocprim17ROCPRIM_400000_NS6detail17trampoline_kernelINS0_14default_configENS1_36segmented_radix_sort_config_selectorIblEEZNS1_25segmented_radix_sort_implIS3_Lb0EPKbPbPKlPlN2at6native12_GLOBAL__N_18offset_tEEE10hipError_tPvRmT1_PNSt15iterator_traitsISK_E10value_typeET2_T3_PNSL_ISQ_E10value_typeET4_jRbjT5_SW_jjP12ihipStream_tbEUlT_E_NS1_11comp_targetILNS1_3genE5ELNS1_11target_archE942ELNS1_3gpuE9ELNS1_3repE0EEENS1_30default_config_static_selectorELNS0_4arch9wavefront6targetE0EEEvSK_,"axG",@progbits,_ZN7rocprim17ROCPRIM_400000_NS6detail17trampoline_kernelINS0_14default_configENS1_36segmented_radix_sort_config_selectorIblEEZNS1_25segmented_radix_sort_implIS3_Lb0EPKbPbPKlPlN2at6native12_GLOBAL__N_18offset_tEEE10hipError_tPvRmT1_PNSt15iterator_traitsISK_E10value_typeET2_T3_PNSL_ISQ_E10value_typeET4_jRbjT5_SW_jjP12ihipStream_tbEUlT_E_NS1_11comp_targetILNS1_3genE5ELNS1_11target_archE942ELNS1_3gpuE9ELNS1_3repE0EEENS1_30default_config_static_selectorELNS0_4arch9wavefront6targetE0EEEvSK_,comdat
	.globl	_ZN7rocprim17ROCPRIM_400000_NS6detail17trampoline_kernelINS0_14default_configENS1_36segmented_radix_sort_config_selectorIblEEZNS1_25segmented_radix_sort_implIS3_Lb0EPKbPbPKlPlN2at6native12_GLOBAL__N_18offset_tEEE10hipError_tPvRmT1_PNSt15iterator_traitsISK_E10value_typeET2_T3_PNSL_ISQ_E10value_typeET4_jRbjT5_SW_jjP12ihipStream_tbEUlT_E_NS1_11comp_targetILNS1_3genE5ELNS1_11target_archE942ELNS1_3gpuE9ELNS1_3repE0EEENS1_30default_config_static_selectorELNS0_4arch9wavefront6targetE0EEEvSK_ ; -- Begin function _ZN7rocprim17ROCPRIM_400000_NS6detail17trampoline_kernelINS0_14default_configENS1_36segmented_radix_sort_config_selectorIblEEZNS1_25segmented_radix_sort_implIS3_Lb0EPKbPbPKlPlN2at6native12_GLOBAL__N_18offset_tEEE10hipError_tPvRmT1_PNSt15iterator_traitsISK_E10value_typeET2_T3_PNSL_ISQ_E10value_typeET4_jRbjT5_SW_jjP12ihipStream_tbEUlT_E_NS1_11comp_targetILNS1_3genE5ELNS1_11target_archE942ELNS1_3gpuE9ELNS1_3repE0EEENS1_30default_config_static_selectorELNS0_4arch9wavefront6targetE0EEEvSK_
	.p2align	8
	.type	_ZN7rocprim17ROCPRIM_400000_NS6detail17trampoline_kernelINS0_14default_configENS1_36segmented_radix_sort_config_selectorIblEEZNS1_25segmented_radix_sort_implIS3_Lb0EPKbPbPKlPlN2at6native12_GLOBAL__N_18offset_tEEE10hipError_tPvRmT1_PNSt15iterator_traitsISK_E10value_typeET2_T3_PNSL_ISQ_E10value_typeET4_jRbjT5_SW_jjP12ihipStream_tbEUlT_E_NS1_11comp_targetILNS1_3genE5ELNS1_11target_archE942ELNS1_3gpuE9ELNS1_3repE0EEENS1_30default_config_static_selectorELNS0_4arch9wavefront6targetE0EEEvSK_,@function
_ZN7rocprim17ROCPRIM_400000_NS6detail17trampoline_kernelINS0_14default_configENS1_36segmented_radix_sort_config_selectorIblEEZNS1_25segmented_radix_sort_implIS3_Lb0EPKbPbPKlPlN2at6native12_GLOBAL__N_18offset_tEEE10hipError_tPvRmT1_PNSt15iterator_traitsISK_E10value_typeET2_T3_PNSL_ISQ_E10value_typeET4_jRbjT5_SW_jjP12ihipStream_tbEUlT_E_NS1_11comp_targetILNS1_3genE5ELNS1_11target_archE942ELNS1_3gpuE9ELNS1_3repE0EEENS1_30default_config_static_selectorELNS0_4arch9wavefront6targetE0EEEvSK_: ; @_ZN7rocprim17ROCPRIM_400000_NS6detail17trampoline_kernelINS0_14default_configENS1_36segmented_radix_sort_config_selectorIblEEZNS1_25segmented_radix_sort_implIS3_Lb0EPKbPbPKlPlN2at6native12_GLOBAL__N_18offset_tEEE10hipError_tPvRmT1_PNSt15iterator_traitsISK_E10value_typeET2_T3_PNSL_ISQ_E10value_typeET4_jRbjT5_SW_jjP12ihipStream_tbEUlT_E_NS1_11comp_targetILNS1_3genE5ELNS1_11target_archE942ELNS1_3gpuE9ELNS1_3repE0EEENS1_30default_config_static_selectorELNS0_4arch9wavefront6targetE0EEEvSK_
; %bb.0:
	.section	.rodata,"a",@progbits
	.p2align	6, 0x0
	.amdhsa_kernel _ZN7rocprim17ROCPRIM_400000_NS6detail17trampoline_kernelINS0_14default_configENS1_36segmented_radix_sort_config_selectorIblEEZNS1_25segmented_radix_sort_implIS3_Lb0EPKbPbPKlPlN2at6native12_GLOBAL__N_18offset_tEEE10hipError_tPvRmT1_PNSt15iterator_traitsISK_E10value_typeET2_T3_PNSL_ISQ_E10value_typeET4_jRbjT5_SW_jjP12ihipStream_tbEUlT_E_NS1_11comp_targetILNS1_3genE5ELNS1_11target_archE942ELNS1_3gpuE9ELNS1_3repE0EEENS1_30default_config_static_selectorELNS0_4arch9wavefront6targetE0EEEvSK_
		.amdhsa_group_segment_fixed_size 0
		.amdhsa_private_segment_fixed_size 0
		.amdhsa_kernarg_size 96
		.amdhsa_user_sgpr_count 2
		.amdhsa_user_sgpr_dispatch_ptr 0
		.amdhsa_user_sgpr_queue_ptr 0
		.amdhsa_user_sgpr_kernarg_segment_ptr 1
		.amdhsa_user_sgpr_dispatch_id 0
		.amdhsa_user_sgpr_kernarg_preload_length 0
		.amdhsa_user_sgpr_kernarg_preload_offset 0
		.amdhsa_user_sgpr_private_segment_size 0
		.amdhsa_wavefront_size32 1
		.amdhsa_uses_dynamic_stack 0
		.amdhsa_enable_private_segment 0
		.amdhsa_system_sgpr_workgroup_id_x 1
		.amdhsa_system_sgpr_workgroup_id_y 0
		.amdhsa_system_sgpr_workgroup_id_z 0
		.amdhsa_system_sgpr_workgroup_info 0
		.amdhsa_system_vgpr_workitem_id 0
		.amdhsa_next_free_vgpr 1
		.amdhsa_next_free_sgpr 1
		.amdhsa_named_barrier_count 0
		.amdhsa_reserve_vcc 0
		.amdhsa_float_round_mode_32 0
		.amdhsa_float_round_mode_16_64 0
		.amdhsa_float_denorm_mode_32 3
		.amdhsa_float_denorm_mode_16_64 3
		.amdhsa_fp16_overflow 0
		.amdhsa_memory_ordered 1
		.amdhsa_forward_progress 1
		.amdhsa_inst_pref_size 0
		.amdhsa_round_robin_scheduling 0
		.amdhsa_exception_fp_ieee_invalid_op 0
		.amdhsa_exception_fp_denorm_src 0
		.amdhsa_exception_fp_ieee_div_zero 0
		.amdhsa_exception_fp_ieee_overflow 0
		.amdhsa_exception_fp_ieee_underflow 0
		.amdhsa_exception_fp_ieee_inexact 0
		.amdhsa_exception_int_div_zero 0
	.end_amdhsa_kernel
	.section	.text._ZN7rocprim17ROCPRIM_400000_NS6detail17trampoline_kernelINS0_14default_configENS1_36segmented_radix_sort_config_selectorIblEEZNS1_25segmented_radix_sort_implIS3_Lb0EPKbPbPKlPlN2at6native12_GLOBAL__N_18offset_tEEE10hipError_tPvRmT1_PNSt15iterator_traitsISK_E10value_typeET2_T3_PNSL_ISQ_E10value_typeET4_jRbjT5_SW_jjP12ihipStream_tbEUlT_E_NS1_11comp_targetILNS1_3genE5ELNS1_11target_archE942ELNS1_3gpuE9ELNS1_3repE0EEENS1_30default_config_static_selectorELNS0_4arch9wavefront6targetE0EEEvSK_,"axG",@progbits,_ZN7rocprim17ROCPRIM_400000_NS6detail17trampoline_kernelINS0_14default_configENS1_36segmented_radix_sort_config_selectorIblEEZNS1_25segmented_radix_sort_implIS3_Lb0EPKbPbPKlPlN2at6native12_GLOBAL__N_18offset_tEEE10hipError_tPvRmT1_PNSt15iterator_traitsISK_E10value_typeET2_T3_PNSL_ISQ_E10value_typeET4_jRbjT5_SW_jjP12ihipStream_tbEUlT_E_NS1_11comp_targetILNS1_3genE5ELNS1_11target_archE942ELNS1_3gpuE9ELNS1_3repE0EEENS1_30default_config_static_selectorELNS0_4arch9wavefront6targetE0EEEvSK_,comdat
.Lfunc_end1628:
	.size	_ZN7rocprim17ROCPRIM_400000_NS6detail17trampoline_kernelINS0_14default_configENS1_36segmented_radix_sort_config_selectorIblEEZNS1_25segmented_radix_sort_implIS3_Lb0EPKbPbPKlPlN2at6native12_GLOBAL__N_18offset_tEEE10hipError_tPvRmT1_PNSt15iterator_traitsISK_E10value_typeET2_T3_PNSL_ISQ_E10value_typeET4_jRbjT5_SW_jjP12ihipStream_tbEUlT_E_NS1_11comp_targetILNS1_3genE5ELNS1_11target_archE942ELNS1_3gpuE9ELNS1_3repE0EEENS1_30default_config_static_selectorELNS0_4arch9wavefront6targetE0EEEvSK_, .Lfunc_end1628-_ZN7rocprim17ROCPRIM_400000_NS6detail17trampoline_kernelINS0_14default_configENS1_36segmented_radix_sort_config_selectorIblEEZNS1_25segmented_radix_sort_implIS3_Lb0EPKbPbPKlPlN2at6native12_GLOBAL__N_18offset_tEEE10hipError_tPvRmT1_PNSt15iterator_traitsISK_E10value_typeET2_T3_PNSL_ISQ_E10value_typeET4_jRbjT5_SW_jjP12ihipStream_tbEUlT_E_NS1_11comp_targetILNS1_3genE5ELNS1_11target_archE942ELNS1_3gpuE9ELNS1_3repE0EEENS1_30default_config_static_selectorELNS0_4arch9wavefront6targetE0EEEvSK_
                                        ; -- End function
	.set _ZN7rocprim17ROCPRIM_400000_NS6detail17trampoline_kernelINS0_14default_configENS1_36segmented_radix_sort_config_selectorIblEEZNS1_25segmented_radix_sort_implIS3_Lb0EPKbPbPKlPlN2at6native12_GLOBAL__N_18offset_tEEE10hipError_tPvRmT1_PNSt15iterator_traitsISK_E10value_typeET2_T3_PNSL_ISQ_E10value_typeET4_jRbjT5_SW_jjP12ihipStream_tbEUlT_E_NS1_11comp_targetILNS1_3genE5ELNS1_11target_archE942ELNS1_3gpuE9ELNS1_3repE0EEENS1_30default_config_static_selectorELNS0_4arch9wavefront6targetE0EEEvSK_.num_vgpr, 0
	.set _ZN7rocprim17ROCPRIM_400000_NS6detail17trampoline_kernelINS0_14default_configENS1_36segmented_radix_sort_config_selectorIblEEZNS1_25segmented_radix_sort_implIS3_Lb0EPKbPbPKlPlN2at6native12_GLOBAL__N_18offset_tEEE10hipError_tPvRmT1_PNSt15iterator_traitsISK_E10value_typeET2_T3_PNSL_ISQ_E10value_typeET4_jRbjT5_SW_jjP12ihipStream_tbEUlT_E_NS1_11comp_targetILNS1_3genE5ELNS1_11target_archE942ELNS1_3gpuE9ELNS1_3repE0EEENS1_30default_config_static_selectorELNS0_4arch9wavefront6targetE0EEEvSK_.num_agpr, 0
	.set _ZN7rocprim17ROCPRIM_400000_NS6detail17trampoline_kernelINS0_14default_configENS1_36segmented_radix_sort_config_selectorIblEEZNS1_25segmented_radix_sort_implIS3_Lb0EPKbPbPKlPlN2at6native12_GLOBAL__N_18offset_tEEE10hipError_tPvRmT1_PNSt15iterator_traitsISK_E10value_typeET2_T3_PNSL_ISQ_E10value_typeET4_jRbjT5_SW_jjP12ihipStream_tbEUlT_E_NS1_11comp_targetILNS1_3genE5ELNS1_11target_archE942ELNS1_3gpuE9ELNS1_3repE0EEENS1_30default_config_static_selectorELNS0_4arch9wavefront6targetE0EEEvSK_.numbered_sgpr, 0
	.set _ZN7rocprim17ROCPRIM_400000_NS6detail17trampoline_kernelINS0_14default_configENS1_36segmented_radix_sort_config_selectorIblEEZNS1_25segmented_radix_sort_implIS3_Lb0EPKbPbPKlPlN2at6native12_GLOBAL__N_18offset_tEEE10hipError_tPvRmT1_PNSt15iterator_traitsISK_E10value_typeET2_T3_PNSL_ISQ_E10value_typeET4_jRbjT5_SW_jjP12ihipStream_tbEUlT_E_NS1_11comp_targetILNS1_3genE5ELNS1_11target_archE942ELNS1_3gpuE9ELNS1_3repE0EEENS1_30default_config_static_selectorELNS0_4arch9wavefront6targetE0EEEvSK_.num_named_barrier, 0
	.set _ZN7rocprim17ROCPRIM_400000_NS6detail17trampoline_kernelINS0_14default_configENS1_36segmented_radix_sort_config_selectorIblEEZNS1_25segmented_radix_sort_implIS3_Lb0EPKbPbPKlPlN2at6native12_GLOBAL__N_18offset_tEEE10hipError_tPvRmT1_PNSt15iterator_traitsISK_E10value_typeET2_T3_PNSL_ISQ_E10value_typeET4_jRbjT5_SW_jjP12ihipStream_tbEUlT_E_NS1_11comp_targetILNS1_3genE5ELNS1_11target_archE942ELNS1_3gpuE9ELNS1_3repE0EEENS1_30default_config_static_selectorELNS0_4arch9wavefront6targetE0EEEvSK_.private_seg_size, 0
	.set _ZN7rocprim17ROCPRIM_400000_NS6detail17trampoline_kernelINS0_14default_configENS1_36segmented_radix_sort_config_selectorIblEEZNS1_25segmented_radix_sort_implIS3_Lb0EPKbPbPKlPlN2at6native12_GLOBAL__N_18offset_tEEE10hipError_tPvRmT1_PNSt15iterator_traitsISK_E10value_typeET2_T3_PNSL_ISQ_E10value_typeET4_jRbjT5_SW_jjP12ihipStream_tbEUlT_E_NS1_11comp_targetILNS1_3genE5ELNS1_11target_archE942ELNS1_3gpuE9ELNS1_3repE0EEENS1_30default_config_static_selectorELNS0_4arch9wavefront6targetE0EEEvSK_.uses_vcc, 0
	.set _ZN7rocprim17ROCPRIM_400000_NS6detail17trampoline_kernelINS0_14default_configENS1_36segmented_radix_sort_config_selectorIblEEZNS1_25segmented_radix_sort_implIS3_Lb0EPKbPbPKlPlN2at6native12_GLOBAL__N_18offset_tEEE10hipError_tPvRmT1_PNSt15iterator_traitsISK_E10value_typeET2_T3_PNSL_ISQ_E10value_typeET4_jRbjT5_SW_jjP12ihipStream_tbEUlT_E_NS1_11comp_targetILNS1_3genE5ELNS1_11target_archE942ELNS1_3gpuE9ELNS1_3repE0EEENS1_30default_config_static_selectorELNS0_4arch9wavefront6targetE0EEEvSK_.uses_flat_scratch, 0
	.set _ZN7rocprim17ROCPRIM_400000_NS6detail17trampoline_kernelINS0_14default_configENS1_36segmented_radix_sort_config_selectorIblEEZNS1_25segmented_radix_sort_implIS3_Lb0EPKbPbPKlPlN2at6native12_GLOBAL__N_18offset_tEEE10hipError_tPvRmT1_PNSt15iterator_traitsISK_E10value_typeET2_T3_PNSL_ISQ_E10value_typeET4_jRbjT5_SW_jjP12ihipStream_tbEUlT_E_NS1_11comp_targetILNS1_3genE5ELNS1_11target_archE942ELNS1_3gpuE9ELNS1_3repE0EEENS1_30default_config_static_selectorELNS0_4arch9wavefront6targetE0EEEvSK_.has_dyn_sized_stack, 0
	.set _ZN7rocprim17ROCPRIM_400000_NS6detail17trampoline_kernelINS0_14default_configENS1_36segmented_radix_sort_config_selectorIblEEZNS1_25segmented_radix_sort_implIS3_Lb0EPKbPbPKlPlN2at6native12_GLOBAL__N_18offset_tEEE10hipError_tPvRmT1_PNSt15iterator_traitsISK_E10value_typeET2_T3_PNSL_ISQ_E10value_typeET4_jRbjT5_SW_jjP12ihipStream_tbEUlT_E_NS1_11comp_targetILNS1_3genE5ELNS1_11target_archE942ELNS1_3gpuE9ELNS1_3repE0EEENS1_30default_config_static_selectorELNS0_4arch9wavefront6targetE0EEEvSK_.has_recursion, 0
	.set _ZN7rocprim17ROCPRIM_400000_NS6detail17trampoline_kernelINS0_14default_configENS1_36segmented_radix_sort_config_selectorIblEEZNS1_25segmented_radix_sort_implIS3_Lb0EPKbPbPKlPlN2at6native12_GLOBAL__N_18offset_tEEE10hipError_tPvRmT1_PNSt15iterator_traitsISK_E10value_typeET2_T3_PNSL_ISQ_E10value_typeET4_jRbjT5_SW_jjP12ihipStream_tbEUlT_E_NS1_11comp_targetILNS1_3genE5ELNS1_11target_archE942ELNS1_3gpuE9ELNS1_3repE0EEENS1_30default_config_static_selectorELNS0_4arch9wavefront6targetE0EEEvSK_.has_indirect_call, 0
	.section	.AMDGPU.csdata,"",@progbits
; Kernel info:
; codeLenInByte = 0
; TotalNumSgprs: 0
; NumVgprs: 0
; ScratchSize: 0
; MemoryBound: 0
; FloatMode: 240
; IeeeMode: 1
; LDSByteSize: 0 bytes/workgroup (compile time only)
; SGPRBlocks: 0
; VGPRBlocks: 0
; NumSGPRsForWavesPerEU: 1
; NumVGPRsForWavesPerEU: 1
; NamedBarCnt: 0
; Occupancy: 16
; WaveLimiterHint : 0
; COMPUTE_PGM_RSRC2:SCRATCH_EN: 0
; COMPUTE_PGM_RSRC2:USER_SGPR: 2
; COMPUTE_PGM_RSRC2:TRAP_HANDLER: 0
; COMPUTE_PGM_RSRC2:TGID_X_EN: 1
; COMPUTE_PGM_RSRC2:TGID_Y_EN: 0
; COMPUTE_PGM_RSRC2:TGID_Z_EN: 0
; COMPUTE_PGM_RSRC2:TIDIG_COMP_CNT: 0
	.section	.text._ZN7rocprim17ROCPRIM_400000_NS6detail17trampoline_kernelINS0_14default_configENS1_36segmented_radix_sort_config_selectorIblEEZNS1_25segmented_radix_sort_implIS3_Lb0EPKbPbPKlPlN2at6native12_GLOBAL__N_18offset_tEEE10hipError_tPvRmT1_PNSt15iterator_traitsISK_E10value_typeET2_T3_PNSL_ISQ_E10value_typeET4_jRbjT5_SW_jjP12ihipStream_tbEUlT_E_NS1_11comp_targetILNS1_3genE4ELNS1_11target_archE910ELNS1_3gpuE8ELNS1_3repE0EEENS1_30default_config_static_selectorELNS0_4arch9wavefront6targetE0EEEvSK_,"axG",@progbits,_ZN7rocprim17ROCPRIM_400000_NS6detail17trampoline_kernelINS0_14default_configENS1_36segmented_radix_sort_config_selectorIblEEZNS1_25segmented_radix_sort_implIS3_Lb0EPKbPbPKlPlN2at6native12_GLOBAL__N_18offset_tEEE10hipError_tPvRmT1_PNSt15iterator_traitsISK_E10value_typeET2_T3_PNSL_ISQ_E10value_typeET4_jRbjT5_SW_jjP12ihipStream_tbEUlT_E_NS1_11comp_targetILNS1_3genE4ELNS1_11target_archE910ELNS1_3gpuE8ELNS1_3repE0EEENS1_30default_config_static_selectorELNS0_4arch9wavefront6targetE0EEEvSK_,comdat
	.globl	_ZN7rocprim17ROCPRIM_400000_NS6detail17trampoline_kernelINS0_14default_configENS1_36segmented_radix_sort_config_selectorIblEEZNS1_25segmented_radix_sort_implIS3_Lb0EPKbPbPKlPlN2at6native12_GLOBAL__N_18offset_tEEE10hipError_tPvRmT1_PNSt15iterator_traitsISK_E10value_typeET2_T3_PNSL_ISQ_E10value_typeET4_jRbjT5_SW_jjP12ihipStream_tbEUlT_E_NS1_11comp_targetILNS1_3genE4ELNS1_11target_archE910ELNS1_3gpuE8ELNS1_3repE0EEENS1_30default_config_static_selectorELNS0_4arch9wavefront6targetE0EEEvSK_ ; -- Begin function _ZN7rocprim17ROCPRIM_400000_NS6detail17trampoline_kernelINS0_14default_configENS1_36segmented_radix_sort_config_selectorIblEEZNS1_25segmented_radix_sort_implIS3_Lb0EPKbPbPKlPlN2at6native12_GLOBAL__N_18offset_tEEE10hipError_tPvRmT1_PNSt15iterator_traitsISK_E10value_typeET2_T3_PNSL_ISQ_E10value_typeET4_jRbjT5_SW_jjP12ihipStream_tbEUlT_E_NS1_11comp_targetILNS1_3genE4ELNS1_11target_archE910ELNS1_3gpuE8ELNS1_3repE0EEENS1_30default_config_static_selectorELNS0_4arch9wavefront6targetE0EEEvSK_
	.p2align	8
	.type	_ZN7rocprim17ROCPRIM_400000_NS6detail17trampoline_kernelINS0_14default_configENS1_36segmented_radix_sort_config_selectorIblEEZNS1_25segmented_radix_sort_implIS3_Lb0EPKbPbPKlPlN2at6native12_GLOBAL__N_18offset_tEEE10hipError_tPvRmT1_PNSt15iterator_traitsISK_E10value_typeET2_T3_PNSL_ISQ_E10value_typeET4_jRbjT5_SW_jjP12ihipStream_tbEUlT_E_NS1_11comp_targetILNS1_3genE4ELNS1_11target_archE910ELNS1_3gpuE8ELNS1_3repE0EEENS1_30default_config_static_selectorELNS0_4arch9wavefront6targetE0EEEvSK_,@function
_ZN7rocprim17ROCPRIM_400000_NS6detail17trampoline_kernelINS0_14default_configENS1_36segmented_radix_sort_config_selectorIblEEZNS1_25segmented_radix_sort_implIS3_Lb0EPKbPbPKlPlN2at6native12_GLOBAL__N_18offset_tEEE10hipError_tPvRmT1_PNSt15iterator_traitsISK_E10value_typeET2_T3_PNSL_ISQ_E10value_typeET4_jRbjT5_SW_jjP12ihipStream_tbEUlT_E_NS1_11comp_targetILNS1_3genE4ELNS1_11target_archE910ELNS1_3gpuE8ELNS1_3repE0EEENS1_30default_config_static_selectorELNS0_4arch9wavefront6targetE0EEEvSK_: ; @_ZN7rocprim17ROCPRIM_400000_NS6detail17trampoline_kernelINS0_14default_configENS1_36segmented_radix_sort_config_selectorIblEEZNS1_25segmented_radix_sort_implIS3_Lb0EPKbPbPKlPlN2at6native12_GLOBAL__N_18offset_tEEE10hipError_tPvRmT1_PNSt15iterator_traitsISK_E10value_typeET2_T3_PNSL_ISQ_E10value_typeET4_jRbjT5_SW_jjP12ihipStream_tbEUlT_E_NS1_11comp_targetILNS1_3genE4ELNS1_11target_archE910ELNS1_3gpuE8ELNS1_3repE0EEENS1_30default_config_static_selectorELNS0_4arch9wavefront6targetE0EEEvSK_
; %bb.0:
	.section	.rodata,"a",@progbits
	.p2align	6, 0x0
	.amdhsa_kernel _ZN7rocprim17ROCPRIM_400000_NS6detail17trampoline_kernelINS0_14default_configENS1_36segmented_radix_sort_config_selectorIblEEZNS1_25segmented_radix_sort_implIS3_Lb0EPKbPbPKlPlN2at6native12_GLOBAL__N_18offset_tEEE10hipError_tPvRmT1_PNSt15iterator_traitsISK_E10value_typeET2_T3_PNSL_ISQ_E10value_typeET4_jRbjT5_SW_jjP12ihipStream_tbEUlT_E_NS1_11comp_targetILNS1_3genE4ELNS1_11target_archE910ELNS1_3gpuE8ELNS1_3repE0EEENS1_30default_config_static_selectorELNS0_4arch9wavefront6targetE0EEEvSK_
		.amdhsa_group_segment_fixed_size 0
		.amdhsa_private_segment_fixed_size 0
		.amdhsa_kernarg_size 96
		.amdhsa_user_sgpr_count 2
		.amdhsa_user_sgpr_dispatch_ptr 0
		.amdhsa_user_sgpr_queue_ptr 0
		.amdhsa_user_sgpr_kernarg_segment_ptr 1
		.amdhsa_user_sgpr_dispatch_id 0
		.amdhsa_user_sgpr_kernarg_preload_length 0
		.amdhsa_user_sgpr_kernarg_preload_offset 0
		.amdhsa_user_sgpr_private_segment_size 0
		.amdhsa_wavefront_size32 1
		.amdhsa_uses_dynamic_stack 0
		.amdhsa_enable_private_segment 0
		.amdhsa_system_sgpr_workgroup_id_x 1
		.amdhsa_system_sgpr_workgroup_id_y 0
		.amdhsa_system_sgpr_workgroup_id_z 0
		.amdhsa_system_sgpr_workgroup_info 0
		.amdhsa_system_vgpr_workitem_id 0
		.amdhsa_next_free_vgpr 1
		.amdhsa_next_free_sgpr 1
		.amdhsa_named_barrier_count 0
		.amdhsa_reserve_vcc 0
		.amdhsa_float_round_mode_32 0
		.amdhsa_float_round_mode_16_64 0
		.amdhsa_float_denorm_mode_32 3
		.amdhsa_float_denorm_mode_16_64 3
		.amdhsa_fp16_overflow 0
		.amdhsa_memory_ordered 1
		.amdhsa_forward_progress 1
		.amdhsa_inst_pref_size 0
		.amdhsa_round_robin_scheduling 0
		.amdhsa_exception_fp_ieee_invalid_op 0
		.amdhsa_exception_fp_denorm_src 0
		.amdhsa_exception_fp_ieee_div_zero 0
		.amdhsa_exception_fp_ieee_overflow 0
		.amdhsa_exception_fp_ieee_underflow 0
		.amdhsa_exception_fp_ieee_inexact 0
		.amdhsa_exception_int_div_zero 0
	.end_amdhsa_kernel
	.section	.text._ZN7rocprim17ROCPRIM_400000_NS6detail17trampoline_kernelINS0_14default_configENS1_36segmented_radix_sort_config_selectorIblEEZNS1_25segmented_radix_sort_implIS3_Lb0EPKbPbPKlPlN2at6native12_GLOBAL__N_18offset_tEEE10hipError_tPvRmT1_PNSt15iterator_traitsISK_E10value_typeET2_T3_PNSL_ISQ_E10value_typeET4_jRbjT5_SW_jjP12ihipStream_tbEUlT_E_NS1_11comp_targetILNS1_3genE4ELNS1_11target_archE910ELNS1_3gpuE8ELNS1_3repE0EEENS1_30default_config_static_selectorELNS0_4arch9wavefront6targetE0EEEvSK_,"axG",@progbits,_ZN7rocprim17ROCPRIM_400000_NS6detail17trampoline_kernelINS0_14default_configENS1_36segmented_radix_sort_config_selectorIblEEZNS1_25segmented_radix_sort_implIS3_Lb0EPKbPbPKlPlN2at6native12_GLOBAL__N_18offset_tEEE10hipError_tPvRmT1_PNSt15iterator_traitsISK_E10value_typeET2_T3_PNSL_ISQ_E10value_typeET4_jRbjT5_SW_jjP12ihipStream_tbEUlT_E_NS1_11comp_targetILNS1_3genE4ELNS1_11target_archE910ELNS1_3gpuE8ELNS1_3repE0EEENS1_30default_config_static_selectorELNS0_4arch9wavefront6targetE0EEEvSK_,comdat
.Lfunc_end1629:
	.size	_ZN7rocprim17ROCPRIM_400000_NS6detail17trampoline_kernelINS0_14default_configENS1_36segmented_radix_sort_config_selectorIblEEZNS1_25segmented_radix_sort_implIS3_Lb0EPKbPbPKlPlN2at6native12_GLOBAL__N_18offset_tEEE10hipError_tPvRmT1_PNSt15iterator_traitsISK_E10value_typeET2_T3_PNSL_ISQ_E10value_typeET4_jRbjT5_SW_jjP12ihipStream_tbEUlT_E_NS1_11comp_targetILNS1_3genE4ELNS1_11target_archE910ELNS1_3gpuE8ELNS1_3repE0EEENS1_30default_config_static_selectorELNS0_4arch9wavefront6targetE0EEEvSK_, .Lfunc_end1629-_ZN7rocprim17ROCPRIM_400000_NS6detail17trampoline_kernelINS0_14default_configENS1_36segmented_radix_sort_config_selectorIblEEZNS1_25segmented_radix_sort_implIS3_Lb0EPKbPbPKlPlN2at6native12_GLOBAL__N_18offset_tEEE10hipError_tPvRmT1_PNSt15iterator_traitsISK_E10value_typeET2_T3_PNSL_ISQ_E10value_typeET4_jRbjT5_SW_jjP12ihipStream_tbEUlT_E_NS1_11comp_targetILNS1_3genE4ELNS1_11target_archE910ELNS1_3gpuE8ELNS1_3repE0EEENS1_30default_config_static_selectorELNS0_4arch9wavefront6targetE0EEEvSK_
                                        ; -- End function
	.set _ZN7rocprim17ROCPRIM_400000_NS6detail17trampoline_kernelINS0_14default_configENS1_36segmented_radix_sort_config_selectorIblEEZNS1_25segmented_radix_sort_implIS3_Lb0EPKbPbPKlPlN2at6native12_GLOBAL__N_18offset_tEEE10hipError_tPvRmT1_PNSt15iterator_traitsISK_E10value_typeET2_T3_PNSL_ISQ_E10value_typeET4_jRbjT5_SW_jjP12ihipStream_tbEUlT_E_NS1_11comp_targetILNS1_3genE4ELNS1_11target_archE910ELNS1_3gpuE8ELNS1_3repE0EEENS1_30default_config_static_selectorELNS0_4arch9wavefront6targetE0EEEvSK_.num_vgpr, 0
	.set _ZN7rocprim17ROCPRIM_400000_NS6detail17trampoline_kernelINS0_14default_configENS1_36segmented_radix_sort_config_selectorIblEEZNS1_25segmented_radix_sort_implIS3_Lb0EPKbPbPKlPlN2at6native12_GLOBAL__N_18offset_tEEE10hipError_tPvRmT1_PNSt15iterator_traitsISK_E10value_typeET2_T3_PNSL_ISQ_E10value_typeET4_jRbjT5_SW_jjP12ihipStream_tbEUlT_E_NS1_11comp_targetILNS1_3genE4ELNS1_11target_archE910ELNS1_3gpuE8ELNS1_3repE0EEENS1_30default_config_static_selectorELNS0_4arch9wavefront6targetE0EEEvSK_.num_agpr, 0
	.set _ZN7rocprim17ROCPRIM_400000_NS6detail17trampoline_kernelINS0_14default_configENS1_36segmented_radix_sort_config_selectorIblEEZNS1_25segmented_radix_sort_implIS3_Lb0EPKbPbPKlPlN2at6native12_GLOBAL__N_18offset_tEEE10hipError_tPvRmT1_PNSt15iterator_traitsISK_E10value_typeET2_T3_PNSL_ISQ_E10value_typeET4_jRbjT5_SW_jjP12ihipStream_tbEUlT_E_NS1_11comp_targetILNS1_3genE4ELNS1_11target_archE910ELNS1_3gpuE8ELNS1_3repE0EEENS1_30default_config_static_selectorELNS0_4arch9wavefront6targetE0EEEvSK_.numbered_sgpr, 0
	.set _ZN7rocprim17ROCPRIM_400000_NS6detail17trampoline_kernelINS0_14default_configENS1_36segmented_radix_sort_config_selectorIblEEZNS1_25segmented_radix_sort_implIS3_Lb0EPKbPbPKlPlN2at6native12_GLOBAL__N_18offset_tEEE10hipError_tPvRmT1_PNSt15iterator_traitsISK_E10value_typeET2_T3_PNSL_ISQ_E10value_typeET4_jRbjT5_SW_jjP12ihipStream_tbEUlT_E_NS1_11comp_targetILNS1_3genE4ELNS1_11target_archE910ELNS1_3gpuE8ELNS1_3repE0EEENS1_30default_config_static_selectorELNS0_4arch9wavefront6targetE0EEEvSK_.num_named_barrier, 0
	.set _ZN7rocprim17ROCPRIM_400000_NS6detail17trampoline_kernelINS0_14default_configENS1_36segmented_radix_sort_config_selectorIblEEZNS1_25segmented_radix_sort_implIS3_Lb0EPKbPbPKlPlN2at6native12_GLOBAL__N_18offset_tEEE10hipError_tPvRmT1_PNSt15iterator_traitsISK_E10value_typeET2_T3_PNSL_ISQ_E10value_typeET4_jRbjT5_SW_jjP12ihipStream_tbEUlT_E_NS1_11comp_targetILNS1_3genE4ELNS1_11target_archE910ELNS1_3gpuE8ELNS1_3repE0EEENS1_30default_config_static_selectorELNS0_4arch9wavefront6targetE0EEEvSK_.private_seg_size, 0
	.set _ZN7rocprim17ROCPRIM_400000_NS6detail17trampoline_kernelINS0_14default_configENS1_36segmented_radix_sort_config_selectorIblEEZNS1_25segmented_radix_sort_implIS3_Lb0EPKbPbPKlPlN2at6native12_GLOBAL__N_18offset_tEEE10hipError_tPvRmT1_PNSt15iterator_traitsISK_E10value_typeET2_T3_PNSL_ISQ_E10value_typeET4_jRbjT5_SW_jjP12ihipStream_tbEUlT_E_NS1_11comp_targetILNS1_3genE4ELNS1_11target_archE910ELNS1_3gpuE8ELNS1_3repE0EEENS1_30default_config_static_selectorELNS0_4arch9wavefront6targetE0EEEvSK_.uses_vcc, 0
	.set _ZN7rocprim17ROCPRIM_400000_NS6detail17trampoline_kernelINS0_14default_configENS1_36segmented_radix_sort_config_selectorIblEEZNS1_25segmented_radix_sort_implIS3_Lb0EPKbPbPKlPlN2at6native12_GLOBAL__N_18offset_tEEE10hipError_tPvRmT1_PNSt15iterator_traitsISK_E10value_typeET2_T3_PNSL_ISQ_E10value_typeET4_jRbjT5_SW_jjP12ihipStream_tbEUlT_E_NS1_11comp_targetILNS1_3genE4ELNS1_11target_archE910ELNS1_3gpuE8ELNS1_3repE0EEENS1_30default_config_static_selectorELNS0_4arch9wavefront6targetE0EEEvSK_.uses_flat_scratch, 0
	.set _ZN7rocprim17ROCPRIM_400000_NS6detail17trampoline_kernelINS0_14default_configENS1_36segmented_radix_sort_config_selectorIblEEZNS1_25segmented_radix_sort_implIS3_Lb0EPKbPbPKlPlN2at6native12_GLOBAL__N_18offset_tEEE10hipError_tPvRmT1_PNSt15iterator_traitsISK_E10value_typeET2_T3_PNSL_ISQ_E10value_typeET4_jRbjT5_SW_jjP12ihipStream_tbEUlT_E_NS1_11comp_targetILNS1_3genE4ELNS1_11target_archE910ELNS1_3gpuE8ELNS1_3repE0EEENS1_30default_config_static_selectorELNS0_4arch9wavefront6targetE0EEEvSK_.has_dyn_sized_stack, 0
	.set _ZN7rocprim17ROCPRIM_400000_NS6detail17trampoline_kernelINS0_14default_configENS1_36segmented_radix_sort_config_selectorIblEEZNS1_25segmented_radix_sort_implIS3_Lb0EPKbPbPKlPlN2at6native12_GLOBAL__N_18offset_tEEE10hipError_tPvRmT1_PNSt15iterator_traitsISK_E10value_typeET2_T3_PNSL_ISQ_E10value_typeET4_jRbjT5_SW_jjP12ihipStream_tbEUlT_E_NS1_11comp_targetILNS1_3genE4ELNS1_11target_archE910ELNS1_3gpuE8ELNS1_3repE0EEENS1_30default_config_static_selectorELNS0_4arch9wavefront6targetE0EEEvSK_.has_recursion, 0
	.set _ZN7rocprim17ROCPRIM_400000_NS6detail17trampoline_kernelINS0_14default_configENS1_36segmented_radix_sort_config_selectorIblEEZNS1_25segmented_radix_sort_implIS3_Lb0EPKbPbPKlPlN2at6native12_GLOBAL__N_18offset_tEEE10hipError_tPvRmT1_PNSt15iterator_traitsISK_E10value_typeET2_T3_PNSL_ISQ_E10value_typeET4_jRbjT5_SW_jjP12ihipStream_tbEUlT_E_NS1_11comp_targetILNS1_3genE4ELNS1_11target_archE910ELNS1_3gpuE8ELNS1_3repE0EEENS1_30default_config_static_selectorELNS0_4arch9wavefront6targetE0EEEvSK_.has_indirect_call, 0
	.section	.AMDGPU.csdata,"",@progbits
; Kernel info:
; codeLenInByte = 0
; TotalNumSgprs: 0
; NumVgprs: 0
; ScratchSize: 0
; MemoryBound: 0
; FloatMode: 240
; IeeeMode: 1
; LDSByteSize: 0 bytes/workgroup (compile time only)
; SGPRBlocks: 0
; VGPRBlocks: 0
; NumSGPRsForWavesPerEU: 1
; NumVGPRsForWavesPerEU: 1
; NamedBarCnt: 0
; Occupancy: 16
; WaveLimiterHint : 0
; COMPUTE_PGM_RSRC2:SCRATCH_EN: 0
; COMPUTE_PGM_RSRC2:USER_SGPR: 2
; COMPUTE_PGM_RSRC2:TRAP_HANDLER: 0
; COMPUTE_PGM_RSRC2:TGID_X_EN: 1
; COMPUTE_PGM_RSRC2:TGID_Y_EN: 0
; COMPUTE_PGM_RSRC2:TGID_Z_EN: 0
; COMPUTE_PGM_RSRC2:TIDIG_COMP_CNT: 0
	.section	.text._ZN7rocprim17ROCPRIM_400000_NS6detail17trampoline_kernelINS0_14default_configENS1_36segmented_radix_sort_config_selectorIblEEZNS1_25segmented_radix_sort_implIS3_Lb0EPKbPbPKlPlN2at6native12_GLOBAL__N_18offset_tEEE10hipError_tPvRmT1_PNSt15iterator_traitsISK_E10value_typeET2_T3_PNSL_ISQ_E10value_typeET4_jRbjT5_SW_jjP12ihipStream_tbEUlT_E_NS1_11comp_targetILNS1_3genE3ELNS1_11target_archE908ELNS1_3gpuE7ELNS1_3repE0EEENS1_30default_config_static_selectorELNS0_4arch9wavefront6targetE0EEEvSK_,"axG",@progbits,_ZN7rocprim17ROCPRIM_400000_NS6detail17trampoline_kernelINS0_14default_configENS1_36segmented_radix_sort_config_selectorIblEEZNS1_25segmented_radix_sort_implIS3_Lb0EPKbPbPKlPlN2at6native12_GLOBAL__N_18offset_tEEE10hipError_tPvRmT1_PNSt15iterator_traitsISK_E10value_typeET2_T3_PNSL_ISQ_E10value_typeET4_jRbjT5_SW_jjP12ihipStream_tbEUlT_E_NS1_11comp_targetILNS1_3genE3ELNS1_11target_archE908ELNS1_3gpuE7ELNS1_3repE0EEENS1_30default_config_static_selectorELNS0_4arch9wavefront6targetE0EEEvSK_,comdat
	.globl	_ZN7rocprim17ROCPRIM_400000_NS6detail17trampoline_kernelINS0_14default_configENS1_36segmented_radix_sort_config_selectorIblEEZNS1_25segmented_radix_sort_implIS3_Lb0EPKbPbPKlPlN2at6native12_GLOBAL__N_18offset_tEEE10hipError_tPvRmT1_PNSt15iterator_traitsISK_E10value_typeET2_T3_PNSL_ISQ_E10value_typeET4_jRbjT5_SW_jjP12ihipStream_tbEUlT_E_NS1_11comp_targetILNS1_3genE3ELNS1_11target_archE908ELNS1_3gpuE7ELNS1_3repE0EEENS1_30default_config_static_selectorELNS0_4arch9wavefront6targetE0EEEvSK_ ; -- Begin function _ZN7rocprim17ROCPRIM_400000_NS6detail17trampoline_kernelINS0_14default_configENS1_36segmented_radix_sort_config_selectorIblEEZNS1_25segmented_radix_sort_implIS3_Lb0EPKbPbPKlPlN2at6native12_GLOBAL__N_18offset_tEEE10hipError_tPvRmT1_PNSt15iterator_traitsISK_E10value_typeET2_T3_PNSL_ISQ_E10value_typeET4_jRbjT5_SW_jjP12ihipStream_tbEUlT_E_NS1_11comp_targetILNS1_3genE3ELNS1_11target_archE908ELNS1_3gpuE7ELNS1_3repE0EEENS1_30default_config_static_selectorELNS0_4arch9wavefront6targetE0EEEvSK_
	.p2align	8
	.type	_ZN7rocprim17ROCPRIM_400000_NS6detail17trampoline_kernelINS0_14default_configENS1_36segmented_radix_sort_config_selectorIblEEZNS1_25segmented_radix_sort_implIS3_Lb0EPKbPbPKlPlN2at6native12_GLOBAL__N_18offset_tEEE10hipError_tPvRmT1_PNSt15iterator_traitsISK_E10value_typeET2_T3_PNSL_ISQ_E10value_typeET4_jRbjT5_SW_jjP12ihipStream_tbEUlT_E_NS1_11comp_targetILNS1_3genE3ELNS1_11target_archE908ELNS1_3gpuE7ELNS1_3repE0EEENS1_30default_config_static_selectorELNS0_4arch9wavefront6targetE0EEEvSK_,@function
_ZN7rocprim17ROCPRIM_400000_NS6detail17trampoline_kernelINS0_14default_configENS1_36segmented_radix_sort_config_selectorIblEEZNS1_25segmented_radix_sort_implIS3_Lb0EPKbPbPKlPlN2at6native12_GLOBAL__N_18offset_tEEE10hipError_tPvRmT1_PNSt15iterator_traitsISK_E10value_typeET2_T3_PNSL_ISQ_E10value_typeET4_jRbjT5_SW_jjP12ihipStream_tbEUlT_E_NS1_11comp_targetILNS1_3genE3ELNS1_11target_archE908ELNS1_3gpuE7ELNS1_3repE0EEENS1_30default_config_static_selectorELNS0_4arch9wavefront6targetE0EEEvSK_: ; @_ZN7rocprim17ROCPRIM_400000_NS6detail17trampoline_kernelINS0_14default_configENS1_36segmented_radix_sort_config_selectorIblEEZNS1_25segmented_radix_sort_implIS3_Lb0EPKbPbPKlPlN2at6native12_GLOBAL__N_18offset_tEEE10hipError_tPvRmT1_PNSt15iterator_traitsISK_E10value_typeET2_T3_PNSL_ISQ_E10value_typeET4_jRbjT5_SW_jjP12ihipStream_tbEUlT_E_NS1_11comp_targetILNS1_3genE3ELNS1_11target_archE908ELNS1_3gpuE7ELNS1_3repE0EEENS1_30default_config_static_selectorELNS0_4arch9wavefront6targetE0EEEvSK_
; %bb.0:
	.section	.rodata,"a",@progbits
	.p2align	6, 0x0
	.amdhsa_kernel _ZN7rocprim17ROCPRIM_400000_NS6detail17trampoline_kernelINS0_14default_configENS1_36segmented_radix_sort_config_selectorIblEEZNS1_25segmented_radix_sort_implIS3_Lb0EPKbPbPKlPlN2at6native12_GLOBAL__N_18offset_tEEE10hipError_tPvRmT1_PNSt15iterator_traitsISK_E10value_typeET2_T3_PNSL_ISQ_E10value_typeET4_jRbjT5_SW_jjP12ihipStream_tbEUlT_E_NS1_11comp_targetILNS1_3genE3ELNS1_11target_archE908ELNS1_3gpuE7ELNS1_3repE0EEENS1_30default_config_static_selectorELNS0_4arch9wavefront6targetE0EEEvSK_
		.amdhsa_group_segment_fixed_size 0
		.amdhsa_private_segment_fixed_size 0
		.amdhsa_kernarg_size 96
		.amdhsa_user_sgpr_count 2
		.amdhsa_user_sgpr_dispatch_ptr 0
		.amdhsa_user_sgpr_queue_ptr 0
		.amdhsa_user_sgpr_kernarg_segment_ptr 1
		.amdhsa_user_sgpr_dispatch_id 0
		.amdhsa_user_sgpr_kernarg_preload_length 0
		.amdhsa_user_sgpr_kernarg_preload_offset 0
		.amdhsa_user_sgpr_private_segment_size 0
		.amdhsa_wavefront_size32 1
		.amdhsa_uses_dynamic_stack 0
		.amdhsa_enable_private_segment 0
		.amdhsa_system_sgpr_workgroup_id_x 1
		.amdhsa_system_sgpr_workgroup_id_y 0
		.amdhsa_system_sgpr_workgroup_id_z 0
		.amdhsa_system_sgpr_workgroup_info 0
		.amdhsa_system_vgpr_workitem_id 0
		.amdhsa_next_free_vgpr 1
		.amdhsa_next_free_sgpr 1
		.amdhsa_named_barrier_count 0
		.amdhsa_reserve_vcc 0
		.amdhsa_float_round_mode_32 0
		.amdhsa_float_round_mode_16_64 0
		.amdhsa_float_denorm_mode_32 3
		.amdhsa_float_denorm_mode_16_64 3
		.amdhsa_fp16_overflow 0
		.amdhsa_memory_ordered 1
		.amdhsa_forward_progress 1
		.amdhsa_inst_pref_size 0
		.amdhsa_round_robin_scheduling 0
		.amdhsa_exception_fp_ieee_invalid_op 0
		.amdhsa_exception_fp_denorm_src 0
		.amdhsa_exception_fp_ieee_div_zero 0
		.amdhsa_exception_fp_ieee_overflow 0
		.amdhsa_exception_fp_ieee_underflow 0
		.amdhsa_exception_fp_ieee_inexact 0
		.amdhsa_exception_int_div_zero 0
	.end_amdhsa_kernel
	.section	.text._ZN7rocprim17ROCPRIM_400000_NS6detail17trampoline_kernelINS0_14default_configENS1_36segmented_radix_sort_config_selectorIblEEZNS1_25segmented_radix_sort_implIS3_Lb0EPKbPbPKlPlN2at6native12_GLOBAL__N_18offset_tEEE10hipError_tPvRmT1_PNSt15iterator_traitsISK_E10value_typeET2_T3_PNSL_ISQ_E10value_typeET4_jRbjT5_SW_jjP12ihipStream_tbEUlT_E_NS1_11comp_targetILNS1_3genE3ELNS1_11target_archE908ELNS1_3gpuE7ELNS1_3repE0EEENS1_30default_config_static_selectorELNS0_4arch9wavefront6targetE0EEEvSK_,"axG",@progbits,_ZN7rocprim17ROCPRIM_400000_NS6detail17trampoline_kernelINS0_14default_configENS1_36segmented_radix_sort_config_selectorIblEEZNS1_25segmented_radix_sort_implIS3_Lb0EPKbPbPKlPlN2at6native12_GLOBAL__N_18offset_tEEE10hipError_tPvRmT1_PNSt15iterator_traitsISK_E10value_typeET2_T3_PNSL_ISQ_E10value_typeET4_jRbjT5_SW_jjP12ihipStream_tbEUlT_E_NS1_11comp_targetILNS1_3genE3ELNS1_11target_archE908ELNS1_3gpuE7ELNS1_3repE0EEENS1_30default_config_static_selectorELNS0_4arch9wavefront6targetE0EEEvSK_,comdat
.Lfunc_end1630:
	.size	_ZN7rocprim17ROCPRIM_400000_NS6detail17trampoline_kernelINS0_14default_configENS1_36segmented_radix_sort_config_selectorIblEEZNS1_25segmented_radix_sort_implIS3_Lb0EPKbPbPKlPlN2at6native12_GLOBAL__N_18offset_tEEE10hipError_tPvRmT1_PNSt15iterator_traitsISK_E10value_typeET2_T3_PNSL_ISQ_E10value_typeET4_jRbjT5_SW_jjP12ihipStream_tbEUlT_E_NS1_11comp_targetILNS1_3genE3ELNS1_11target_archE908ELNS1_3gpuE7ELNS1_3repE0EEENS1_30default_config_static_selectorELNS0_4arch9wavefront6targetE0EEEvSK_, .Lfunc_end1630-_ZN7rocprim17ROCPRIM_400000_NS6detail17trampoline_kernelINS0_14default_configENS1_36segmented_radix_sort_config_selectorIblEEZNS1_25segmented_radix_sort_implIS3_Lb0EPKbPbPKlPlN2at6native12_GLOBAL__N_18offset_tEEE10hipError_tPvRmT1_PNSt15iterator_traitsISK_E10value_typeET2_T3_PNSL_ISQ_E10value_typeET4_jRbjT5_SW_jjP12ihipStream_tbEUlT_E_NS1_11comp_targetILNS1_3genE3ELNS1_11target_archE908ELNS1_3gpuE7ELNS1_3repE0EEENS1_30default_config_static_selectorELNS0_4arch9wavefront6targetE0EEEvSK_
                                        ; -- End function
	.set _ZN7rocprim17ROCPRIM_400000_NS6detail17trampoline_kernelINS0_14default_configENS1_36segmented_radix_sort_config_selectorIblEEZNS1_25segmented_radix_sort_implIS3_Lb0EPKbPbPKlPlN2at6native12_GLOBAL__N_18offset_tEEE10hipError_tPvRmT1_PNSt15iterator_traitsISK_E10value_typeET2_T3_PNSL_ISQ_E10value_typeET4_jRbjT5_SW_jjP12ihipStream_tbEUlT_E_NS1_11comp_targetILNS1_3genE3ELNS1_11target_archE908ELNS1_3gpuE7ELNS1_3repE0EEENS1_30default_config_static_selectorELNS0_4arch9wavefront6targetE0EEEvSK_.num_vgpr, 0
	.set _ZN7rocprim17ROCPRIM_400000_NS6detail17trampoline_kernelINS0_14default_configENS1_36segmented_radix_sort_config_selectorIblEEZNS1_25segmented_radix_sort_implIS3_Lb0EPKbPbPKlPlN2at6native12_GLOBAL__N_18offset_tEEE10hipError_tPvRmT1_PNSt15iterator_traitsISK_E10value_typeET2_T3_PNSL_ISQ_E10value_typeET4_jRbjT5_SW_jjP12ihipStream_tbEUlT_E_NS1_11comp_targetILNS1_3genE3ELNS1_11target_archE908ELNS1_3gpuE7ELNS1_3repE0EEENS1_30default_config_static_selectorELNS0_4arch9wavefront6targetE0EEEvSK_.num_agpr, 0
	.set _ZN7rocprim17ROCPRIM_400000_NS6detail17trampoline_kernelINS0_14default_configENS1_36segmented_radix_sort_config_selectorIblEEZNS1_25segmented_radix_sort_implIS3_Lb0EPKbPbPKlPlN2at6native12_GLOBAL__N_18offset_tEEE10hipError_tPvRmT1_PNSt15iterator_traitsISK_E10value_typeET2_T3_PNSL_ISQ_E10value_typeET4_jRbjT5_SW_jjP12ihipStream_tbEUlT_E_NS1_11comp_targetILNS1_3genE3ELNS1_11target_archE908ELNS1_3gpuE7ELNS1_3repE0EEENS1_30default_config_static_selectorELNS0_4arch9wavefront6targetE0EEEvSK_.numbered_sgpr, 0
	.set _ZN7rocprim17ROCPRIM_400000_NS6detail17trampoline_kernelINS0_14default_configENS1_36segmented_radix_sort_config_selectorIblEEZNS1_25segmented_radix_sort_implIS3_Lb0EPKbPbPKlPlN2at6native12_GLOBAL__N_18offset_tEEE10hipError_tPvRmT1_PNSt15iterator_traitsISK_E10value_typeET2_T3_PNSL_ISQ_E10value_typeET4_jRbjT5_SW_jjP12ihipStream_tbEUlT_E_NS1_11comp_targetILNS1_3genE3ELNS1_11target_archE908ELNS1_3gpuE7ELNS1_3repE0EEENS1_30default_config_static_selectorELNS0_4arch9wavefront6targetE0EEEvSK_.num_named_barrier, 0
	.set _ZN7rocprim17ROCPRIM_400000_NS6detail17trampoline_kernelINS0_14default_configENS1_36segmented_radix_sort_config_selectorIblEEZNS1_25segmented_radix_sort_implIS3_Lb0EPKbPbPKlPlN2at6native12_GLOBAL__N_18offset_tEEE10hipError_tPvRmT1_PNSt15iterator_traitsISK_E10value_typeET2_T3_PNSL_ISQ_E10value_typeET4_jRbjT5_SW_jjP12ihipStream_tbEUlT_E_NS1_11comp_targetILNS1_3genE3ELNS1_11target_archE908ELNS1_3gpuE7ELNS1_3repE0EEENS1_30default_config_static_selectorELNS0_4arch9wavefront6targetE0EEEvSK_.private_seg_size, 0
	.set _ZN7rocprim17ROCPRIM_400000_NS6detail17trampoline_kernelINS0_14default_configENS1_36segmented_radix_sort_config_selectorIblEEZNS1_25segmented_radix_sort_implIS3_Lb0EPKbPbPKlPlN2at6native12_GLOBAL__N_18offset_tEEE10hipError_tPvRmT1_PNSt15iterator_traitsISK_E10value_typeET2_T3_PNSL_ISQ_E10value_typeET4_jRbjT5_SW_jjP12ihipStream_tbEUlT_E_NS1_11comp_targetILNS1_3genE3ELNS1_11target_archE908ELNS1_3gpuE7ELNS1_3repE0EEENS1_30default_config_static_selectorELNS0_4arch9wavefront6targetE0EEEvSK_.uses_vcc, 0
	.set _ZN7rocprim17ROCPRIM_400000_NS6detail17trampoline_kernelINS0_14default_configENS1_36segmented_radix_sort_config_selectorIblEEZNS1_25segmented_radix_sort_implIS3_Lb0EPKbPbPKlPlN2at6native12_GLOBAL__N_18offset_tEEE10hipError_tPvRmT1_PNSt15iterator_traitsISK_E10value_typeET2_T3_PNSL_ISQ_E10value_typeET4_jRbjT5_SW_jjP12ihipStream_tbEUlT_E_NS1_11comp_targetILNS1_3genE3ELNS1_11target_archE908ELNS1_3gpuE7ELNS1_3repE0EEENS1_30default_config_static_selectorELNS0_4arch9wavefront6targetE0EEEvSK_.uses_flat_scratch, 0
	.set _ZN7rocprim17ROCPRIM_400000_NS6detail17trampoline_kernelINS0_14default_configENS1_36segmented_radix_sort_config_selectorIblEEZNS1_25segmented_radix_sort_implIS3_Lb0EPKbPbPKlPlN2at6native12_GLOBAL__N_18offset_tEEE10hipError_tPvRmT1_PNSt15iterator_traitsISK_E10value_typeET2_T3_PNSL_ISQ_E10value_typeET4_jRbjT5_SW_jjP12ihipStream_tbEUlT_E_NS1_11comp_targetILNS1_3genE3ELNS1_11target_archE908ELNS1_3gpuE7ELNS1_3repE0EEENS1_30default_config_static_selectorELNS0_4arch9wavefront6targetE0EEEvSK_.has_dyn_sized_stack, 0
	.set _ZN7rocprim17ROCPRIM_400000_NS6detail17trampoline_kernelINS0_14default_configENS1_36segmented_radix_sort_config_selectorIblEEZNS1_25segmented_radix_sort_implIS3_Lb0EPKbPbPKlPlN2at6native12_GLOBAL__N_18offset_tEEE10hipError_tPvRmT1_PNSt15iterator_traitsISK_E10value_typeET2_T3_PNSL_ISQ_E10value_typeET4_jRbjT5_SW_jjP12ihipStream_tbEUlT_E_NS1_11comp_targetILNS1_3genE3ELNS1_11target_archE908ELNS1_3gpuE7ELNS1_3repE0EEENS1_30default_config_static_selectorELNS0_4arch9wavefront6targetE0EEEvSK_.has_recursion, 0
	.set _ZN7rocprim17ROCPRIM_400000_NS6detail17trampoline_kernelINS0_14default_configENS1_36segmented_radix_sort_config_selectorIblEEZNS1_25segmented_radix_sort_implIS3_Lb0EPKbPbPKlPlN2at6native12_GLOBAL__N_18offset_tEEE10hipError_tPvRmT1_PNSt15iterator_traitsISK_E10value_typeET2_T3_PNSL_ISQ_E10value_typeET4_jRbjT5_SW_jjP12ihipStream_tbEUlT_E_NS1_11comp_targetILNS1_3genE3ELNS1_11target_archE908ELNS1_3gpuE7ELNS1_3repE0EEENS1_30default_config_static_selectorELNS0_4arch9wavefront6targetE0EEEvSK_.has_indirect_call, 0
	.section	.AMDGPU.csdata,"",@progbits
; Kernel info:
; codeLenInByte = 0
; TotalNumSgprs: 0
; NumVgprs: 0
; ScratchSize: 0
; MemoryBound: 0
; FloatMode: 240
; IeeeMode: 1
; LDSByteSize: 0 bytes/workgroup (compile time only)
; SGPRBlocks: 0
; VGPRBlocks: 0
; NumSGPRsForWavesPerEU: 1
; NumVGPRsForWavesPerEU: 1
; NamedBarCnt: 0
; Occupancy: 16
; WaveLimiterHint : 0
; COMPUTE_PGM_RSRC2:SCRATCH_EN: 0
; COMPUTE_PGM_RSRC2:USER_SGPR: 2
; COMPUTE_PGM_RSRC2:TRAP_HANDLER: 0
; COMPUTE_PGM_RSRC2:TGID_X_EN: 1
; COMPUTE_PGM_RSRC2:TGID_Y_EN: 0
; COMPUTE_PGM_RSRC2:TGID_Z_EN: 0
; COMPUTE_PGM_RSRC2:TIDIG_COMP_CNT: 0
	.section	.text._ZN7rocprim17ROCPRIM_400000_NS6detail17trampoline_kernelINS0_14default_configENS1_36segmented_radix_sort_config_selectorIblEEZNS1_25segmented_radix_sort_implIS3_Lb0EPKbPbPKlPlN2at6native12_GLOBAL__N_18offset_tEEE10hipError_tPvRmT1_PNSt15iterator_traitsISK_E10value_typeET2_T3_PNSL_ISQ_E10value_typeET4_jRbjT5_SW_jjP12ihipStream_tbEUlT_E_NS1_11comp_targetILNS1_3genE2ELNS1_11target_archE906ELNS1_3gpuE6ELNS1_3repE0EEENS1_30default_config_static_selectorELNS0_4arch9wavefront6targetE0EEEvSK_,"axG",@progbits,_ZN7rocprim17ROCPRIM_400000_NS6detail17trampoline_kernelINS0_14default_configENS1_36segmented_radix_sort_config_selectorIblEEZNS1_25segmented_radix_sort_implIS3_Lb0EPKbPbPKlPlN2at6native12_GLOBAL__N_18offset_tEEE10hipError_tPvRmT1_PNSt15iterator_traitsISK_E10value_typeET2_T3_PNSL_ISQ_E10value_typeET4_jRbjT5_SW_jjP12ihipStream_tbEUlT_E_NS1_11comp_targetILNS1_3genE2ELNS1_11target_archE906ELNS1_3gpuE6ELNS1_3repE0EEENS1_30default_config_static_selectorELNS0_4arch9wavefront6targetE0EEEvSK_,comdat
	.globl	_ZN7rocprim17ROCPRIM_400000_NS6detail17trampoline_kernelINS0_14default_configENS1_36segmented_radix_sort_config_selectorIblEEZNS1_25segmented_radix_sort_implIS3_Lb0EPKbPbPKlPlN2at6native12_GLOBAL__N_18offset_tEEE10hipError_tPvRmT1_PNSt15iterator_traitsISK_E10value_typeET2_T3_PNSL_ISQ_E10value_typeET4_jRbjT5_SW_jjP12ihipStream_tbEUlT_E_NS1_11comp_targetILNS1_3genE2ELNS1_11target_archE906ELNS1_3gpuE6ELNS1_3repE0EEENS1_30default_config_static_selectorELNS0_4arch9wavefront6targetE0EEEvSK_ ; -- Begin function _ZN7rocprim17ROCPRIM_400000_NS6detail17trampoline_kernelINS0_14default_configENS1_36segmented_radix_sort_config_selectorIblEEZNS1_25segmented_radix_sort_implIS3_Lb0EPKbPbPKlPlN2at6native12_GLOBAL__N_18offset_tEEE10hipError_tPvRmT1_PNSt15iterator_traitsISK_E10value_typeET2_T3_PNSL_ISQ_E10value_typeET4_jRbjT5_SW_jjP12ihipStream_tbEUlT_E_NS1_11comp_targetILNS1_3genE2ELNS1_11target_archE906ELNS1_3gpuE6ELNS1_3repE0EEENS1_30default_config_static_selectorELNS0_4arch9wavefront6targetE0EEEvSK_
	.p2align	8
	.type	_ZN7rocprim17ROCPRIM_400000_NS6detail17trampoline_kernelINS0_14default_configENS1_36segmented_radix_sort_config_selectorIblEEZNS1_25segmented_radix_sort_implIS3_Lb0EPKbPbPKlPlN2at6native12_GLOBAL__N_18offset_tEEE10hipError_tPvRmT1_PNSt15iterator_traitsISK_E10value_typeET2_T3_PNSL_ISQ_E10value_typeET4_jRbjT5_SW_jjP12ihipStream_tbEUlT_E_NS1_11comp_targetILNS1_3genE2ELNS1_11target_archE906ELNS1_3gpuE6ELNS1_3repE0EEENS1_30default_config_static_selectorELNS0_4arch9wavefront6targetE0EEEvSK_,@function
_ZN7rocprim17ROCPRIM_400000_NS6detail17trampoline_kernelINS0_14default_configENS1_36segmented_radix_sort_config_selectorIblEEZNS1_25segmented_radix_sort_implIS3_Lb0EPKbPbPKlPlN2at6native12_GLOBAL__N_18offset_tEEE10hipError_tPvRmT1_PNSt15iterator_traitsISK_E10value_typeET2_T3_PNSL_ISQ_E10value_typeET4_jRbjT5_SW_jjP12ihipStream_tbEUlT_E_NS1_11comp_targetILNS1_3genE2ELNS1_11target_archE906ELNS1_3gpuE6ELNS1_3repE0EEENS1_30default_config_static_selectorELNS0_4arch9wavefront6targetE0EEEvSK_: ; @_ZN7rocprim17ROCPRIM_400000_NS6detail17trampoline_kernelINS0_14default_configENS1_36segmented_radix_sort_config_selectorIblEEZNS1_25segmented_radix_sort_implIS3_Lb0EPKbPbPKlPlN2at6native12_GLOBAL__N_18offset_tEEE10hipError_tPvRmT1_PNSt15iterator_traitsISK_E10value_typeET2_T3_PNSL_ISQ_E10value_typeET4_jRbjT5_SW_jjP12ihipStream_tbEUlT_E_NS1_11comp_targetILNS1_3genE2ELNS1_11target_archE906ELNS1_3gpuE6ELNS1_3repE0EEENS1_30default_config_static_selectorELNS0_4arch9wavefront6targetE0EEEvSK_
; %bb.0:
	.section	.rodata,"a",@progbits
	.p2align	6, 0x0
	.amdhsa_kernel _ZN7rocprim17ROCPRIM_400000_NS6detail17trampoline_kernelINS0_14default_configENS1_36segmented_radix_sort_config_selectorIblEEZNS1_25segmented_radix_sort_implIS3_Lb0EPKbPbPKlPlN2at6native12_GLOBAL__N_18offset_tEEE10hipError_tPvRmT1_PNSt15iterator_traitsISK_E10value_typeET2_T3_PNSL_ISQ_E10value_typeET4_jRbjT5_SW_jjP12ihipStream_tbEUlT_E_NS1_11comp_targetILNS1_3genE2ELNS1_11target_archE906ELNS1_3gpuE6ELNS1_3repE0EEENS1_30default_config_static_selectorELNS0_4arch9wavefront6targetE0EEEvSK_
		.amdhsa_group_segment_fixed_size 0
		.amdhsa_private_segment_fixed_size 0
		.amdhsa_kernarg_size 96
		.amdhsa_user_sgpr_count 2
		.amdhsa_user_sgpr_dispatch_ptr 0
		.amdhsa_user_sgpr_queue_ptr 0
		.amdhsa_user_sgpr_kernarg_segment_ptr 1
		.amdhsa_user_sgpr_dispatch_id 0
		.amdhsa_user_sgpr_kernarg_preload_length 0
		.amdhsa_user_sgpr_kernarg_preload_offset 0
		.amdhsa_user_sgpr_private_segment_size 0
		.amdhsa_wavefront_size32 1
		.amdhsa_uses_dynamic_stack 0
		.amdhsa_enable_private_segment 0
		.amdhsa_system_sgpr_workgroup_id_x 1
		.amdhsa_system_sgpr_workgroup_id_y 0
		.amdhsa_system_sgpr_workgroup_id_z 0
		.amdhsa_system_sgpr_workgroup_info 0
		.amdhsa_system_vgpr_workitem_id 0
		.amdhsa_next_free_vgpr 1
		.amdhsa_next_free_sgpr 1
		.amdhsa_named_barrier_count 0
		.amdhsa_reserve_vcc 0
		.amdhsa_float_round_mode_32 0
		.amdhsa_float_round_mode_16_64 0
		.amdhsa_float_denorm_mode_32 3
		.amdhsa_float_denorm_mode_16_64 3
		.amdhsa_fp16_overflow 0
		.amdhsa_memory_ordered 1
		.amdhsa_forward_progress 1
		.amdhsa_inst_pref_size 0
		.amdhsa_round_robin_scheduling 0
		.amdhsa_exception_fp_ieee_invalid_op 0
		.amdhsa_exception_fp_denorm_src 0
		.amdhsa_exception_fp_ieee_div_zero 0
		.amdhsa_exception_fp_ieee_overflow 0
		.amdhsa_exception_fp_ieee_underflow 0
		.amdhsa_exception_fp_ieee_inexact 0
		.amdhsa_exception_int_div_zero 0
	.end_amdhsa_kernel
	.section	.text._ZN7rocprim17ROCPRIM_400000_NS6detail17trampoline_kernelINS0_14default_configENS1_36segmented_radix_sort_config_selectorIblEEZNS1_25segmented_radix_sort_implIS3_Lb0EPKbPbPKlPlN2at6native12_GLOBAL__N_18offset_tEEE10hipError_tPvRmT1_PNSt15iterator_traitsISK_E10value_typeET2_T3_PNSL_ISQ_E10value_typeET4_jRbjT5_SW_jjP12ihipStream_tbEUlT_E_NS1_11comp_targetILNS1_3genE2ELNS1_11target_archE906ELNS1_3gpuE6ELNS1_3repE0EEENS1_30default_config_static_selectorELNS0_4arch9wavefront6targetE0EEEvSK_,"axG",@progbits,_ZN7rocprim17ROCPRIM_400000_NS6detail17trampoline_kernelINS0_14default_configENS1_36segmented_radix_sort_config_selectorIblEEZNS1_25segmented_radix_sort_implIS3_Lb0EPKbPbPKlPlN2at6native12_GLOBAL__N_18offset_tEEE10hipError_tPvRmT1_PNSt15iterator_traitsISK_E10value_typeET2_T3_PNSL_ISQ_E10value_typeET4_jRbjT5_SW_jjP12ihipStream_tbEUlT_E_NS1_11comp_targetILNS1_3genE2ELNS1_11target_archE906ELNS1_3gpuE6ELNS1_3repE0EEENS1_30default_config_static_selectorELNS0_4arch9wavefront6targetE0EEEvSK_,comdat
.Lfunc_end1631:
	.size	_ZN7rocprim17ROCPRIM_400000_NS6detail17trampoline_kernelINS0_14default_configENS1_36segmented_radix_sort_config_selectorIblEEZNS1_25segmented_radix_sort_implIS3_Lb0EPKbPbPKlPlN2at6native12_GLOBAL__N_18offset_tEEE10hipError_tPvRmT1_PNSt15iterator_traitsISK_E10value_typeET2_T3_PNSL_ISQ_E10value_typeET4_jRbjT5_SW_jjP12ihipStream_tbEUlT_E_NS1_11comp_targetILNS1_3genE2ELNS1_11target_archE906ELNS1_3gpuE6ELNS1_3repE0EEENS1_30default_config_static_selectorELNS0_4arch9wavefront6targetE0EEEvSK_, .Lfunc_end1631-_ZN7rocprim17ROCPRIM_400000_NS6detail17trampoline_kernelINS0_14default_configENS1_36segmented_radix_sort_config_selectorIblEEZNS1_25segmented_radix_sort_implIS3_Lb0EPKbPbPKlPlN2at6native12_GLOBAL__N_18offset_tEEE10hipError_tPvRmT1_PNSt15iterator_traitsISK_E10value_typeET2_T3_PNSL_ISQ_E10value_typeET4_jRbjT5_SW_jjP12ihipStream_tbEUlT_E_NS1_11comp_targetILNS1_3genE2ELNS1_11target_archE906ELNS1_3gpuE6ELNS1_3repE0EEENS1_30default_config_static_selectorELNS0_4arch9wavefront6targetE0EEEvSK_
                                        ; -- End function
	.set _ZN7rocprim17ROCPRIM_400000_NS6detail17trampoline_kernelINS0_14default_configENS1_36segmented_radix_sort_config_selectorIblEEZNS1_25segmented_radix_sort_implIS3_Lb0EPKbPbPKlPlN2at6native12_GLOBAL__N_18offset_tEEE10hipError_tPvRmT1_PNSt15iterator_traitsISK_E10value_typeET2_T3_PNSL_ISQ_E10value_typeET4_jRbjT5_SW_jjP12ihipStream_tbEUlT_E_NS1_11comp_targetILNS1_3genE2ELNS1_11target_archE906ELNS1_3gpuE6ELNS1_3repE0EEENS1_30default_config_static_selectorELNS0_4arch9wavefront6targetE0EEEvSK_.num_vgpr, 0
	.set _ZN7rocprim17ROCPRIM_400000_NS6detail17trampoline_kernelINS0_14default_configENS1_36segmented_radix_sort_config_selectorIblEEZNS1_25segmented_radix_sort_implIS3_Lb0EPKbPbPKlPlN2at6native12_GLOBAL__N_18offset_tEEE10hipError_tPvRmT1_PNSt15iterator_traitsISK_E10value_typeET2_T3_PNSL_ISQ_E10value_typeET4_jRbjT5_SW_jjP12ihipStream_tbEUlT_E_NS1_11comp_targetILNS1_3genE2ELNS1_11target_archE906ELNS1_3gpuE6ELNS1_3repE0EEENS1_30default_config_static_selectorELNS0_4arch9wavefront6targetE0EEEvSK_.num_agpr, 0
	.set _ZN7rocprim17ROCPRIM_400000_NS6detail17trampoline_kernelINS0_14default_configENS1_36segmented_radix_sort_config_selectorIblEEZNS1_25segmented_radix_sort_implIS3_Lb0EPKbPbPKlPlN2at6native12_GLOBAL__N_18offset_tEEE10hipError_tPvRmT1_PNSt15iterator_traitsISK_E10value_typeET2_T3_PNSL_ISQ_E10value_typeET4_jRbjT5_SW_jjP12ihipStream_tbEUlT_E_NS1_11comp_targetILNS1_3genE2ELNS1_11target_archE906ELNS1_3gpuE6ELNS1_3repE0EEENS1_30default_config_static_selectorELNS0_4arch9wavefront6targetE0EEEvSK_.numbered_sgpr, 0
	.set _ZN7rocprim17ROCPRIM_400000_NS6detail17trampoline_kernelINS0_14default_configENS1_36segmented_radix_sort_config_selectorIblEEZNS1_25segmented_radix_sort_implIS3_Lb0EPKbPbPKlPlN2at6native12_GLOBAL__N_18offset_tEEE10hipError_tPvRmT1_PNSt15iterator_traitsISK_E10value_typeET2_T3_PNSL_ISQ_E10value_typeET4_jRbjT5_SW_jjP12ihipStream_tbEUlT_E_NS1_11comp_targetILNS1_3genE2ELNS1_11target_archE906ELNS1_3gpuE6ELNS1_3repE0EEENS1_30default_config_static_selectorELNS0_4arch9wavefront6targetE0EEEvSK_.num_named_barrier, 0
	.set _ZN7rocprim17ROCPRIM_400000_NS6detail17trampoline_kernelINS0_14default_configENS1_36segmented_radix_sort_config_selectorIblEEZNS1_25segmented_radix_sort_implIS3_Lb0EPKbPbPKlPlN2at6native12_GLOBAL__N_18offset_tEEE10hipError_tPvRmT1_PNSt15iterator_traitsISK_E10value_typeET2_T3_PNSL_ISQ_E10value_typeET4_jRbjT5_SW_jjP12ihipStream_tbEUlT_E_NS1_11comp_targetILNS1_3genE2ELNS1_11target_archE906ELNS1_3gpuE6ELNS1_3repE0EEENS1_30default_config_static_selectorELNS0_4arch9wavefront6targetE0EEEvSK_.private_seg_size, 0
	.set _ZN7rocprim17ROCPRIM_400000_NS6detail17trampoline_kernelINS0_14default_configENS1_36segmented_radix_sort_config_selectorIblEEZNS1_25segmented_radix_sort_implIS3_Lb0EPKbPbPKlPlN2at6native12_GLOBAL__N_18offset_tEEE10hipError_tPvRmT1_PNSt15iterator_traitsISK_E10value_typeET2_T3_PNSL_ISQ_E10value_typeET4_jRbjT5_SW_jjP12ihipStream_tbEUlT_E_NS1_11comp_targetILNS1_3genE2ELNS1_11target_archE906ELNS1_3gpuE6ELNS1_3repE0EEENS1_30default_config_static_selectorELNS0_4arch9wavefront6targetE0EEEvSK_.uses_vcc, 0
	.set _ZN7rocprim17ROCPRIM_400000_NS6detail17trampoline_kernelINS0_14default_configENS1_36segmented_radix_sort_config_selectorIblEEZNS1_25segmented_radix_sort_implIS3_Lb0EPKbPbPKlPlN2at6native12_GLOBAL__N_18offset_tEEE10hipError_tPvRmT1_PNSt15iterator_traitsISK_E10value_typeET2_T3_PNSL_ISQ_E10value_typeET4_jRbjT5_SW_jjP12ihipStream_tbEUlT_E_NS1_11comp_targetILNS1_3genE2ELNS1_11target_archE906ELNS1_3gpuE6ELNS1_3repE0EEENS1_30default_config_static_selectorELNS0_4arch9wavefront6targetE0EEEvSK_.uses_flat_scratch, 0
	.set _ZN7rocprim17ROCPRIM_400000_NS6detail17trampoline_kernelINS0_14default_configENS1_36segmented_radix_sort_config_selectorIblEEZNS1_25segmented_radix_sort_implIS3_Lb0EPKbPbPKlPlN2at6native12_GLOBAL__N_18offset_tEEE10hipError_tPvRmT1_PNSt15iterator_traitsISK_E10value_typeET2_T3_PNSL_ISQ_E10value_typeET4_jRbjT5_SW_jjP12ihipStream_tbEUlT_E_NS1_11comp_targetILNS1_3genE2ELNS1_11target_archE906ELNS1_3gpuE6ELNS1_3repE0EEENS1_30default_config_static_selectorELNS0_4arch9wavefront6targetE0EEEvSK_.has_dyn_sized_stack, 0
	.set _ZN7rocprim17ROCPRIM_400000_NS6detail17trampoline_kernelINS0_14default_configENS1_36segmented_radix_sort_config_selectorIblEEZNS1_25segmented_radix_sort_implIS3_Lb0EPKbPbPKlPlN2at6native12_GLOBAL__N_18offset_tEEE10hipError_tPvRmT1_PNSt15iterator_traitsISK_E10value_typeET2_T3_PNSL_ISQ_E10value_typeET4_jRbjT5_SW_jjP12ihipStream_tbEUlT_E_NS1_11comp_targetILNS1_3genE2ELNS1_11target_archE906ELNS1_3gpuE6ELNS1_3repE0EEENS1_30default_config_static_selectorELNS0_4arch9wavefront6targetE0EEEvSK_.has_recursion, 0
	.set _ZN7rocprim17ROCPRIM_400000_NS6detail17trampoline_kernelINS0_14default_configENS1_36segmented_radix_sort_config_selectorIblEEZNS1_25segmented_radix_sort_implIS3_Lb0EPKbPbPKlPlN2at6native12_GLOBAL__N_18offset_tEEE10hipError_tPvRmT1_PNSt15iterator_traitsISK_E10value_typeET2_T3_PNSL_ISQ_E10value_typeET4_jRbjT5_SW_jjP12ihipStream_tbEUlT_E_NS1_11comp_targetILNS1_3genE2ELNS1_11target_archE906ELNS1_3gpuE6ELNS1_3repE0EEENS1_30default_config_static_selectorELNS0_4arch9wavefront6targetE0EEEvSK_.has_indirect_call, 0
	.section	.AMDGPU.csdata,"",@progbits
; Kernel info:
; codeLenInByte = 0
; TotalNumSgprs: 0
; NumVgprs: 0
; ScratchSize: 0
; MemoryBound: 0
; FloatMode: 240
; IeeeMode: 1
; LDSByteSize: 0 bytes/workgroup (compile time only)
; SGPRBlocks: 0
; VGPRBlocks: 0
; NumSGPRsForWavesPerEU: 1
; NumVGPRsForWavesPerEU: 1
; NamedBarCnt: 0
; Occupancy: 16
; WaveLimiterHint : 0
; COMPUTE_PGM_RSRC2:SCRATCH_EN: 0
; COMPUTE_PGM_RSRC2:USER_SGPR: 2
; COMPUTE_PGM_RSRC2:TRAP_HANDLER: 0
; COMPUTE_PGM_RSRC2:TGID_X_EN: 1
; COMPUTE_PGM_RSRC2:TGID_Y_EN: 0
; COMPUTE_PGM_RSRC2:TGID_Z_EN: 0
; COMPUTE_PGM_RSRC2:TIDIG_COMP_CNT: 0
	.section	.text._ZN7rocprim17ROCPRIM_400000_NS6detail17trampoline_kernelINS0_14default_configENS1_36segmented_radix_sort_config_selectorIblEEZNS1_25segmented_radix_sort_implIS3_Lb0EPKbPbPKlPlN2at6native12_GLOBAL__N_18offset_tEEE10hipError_tPvRmT1_PNSt15iterator_traitsISK_E10value_typeET2_T3_PNSL_ISQ_E10value_typeET4_jRbjT5_SW_jjP12ihipStream_tbEUlT_E_NS1_11comp_targetILNS1_3genE10ELNS1_11target_archE1201ELNS1_3gpuE5ELNS1_3repE0EEENS1_30default_config_static_selectorELNS0_4arch9wavefront6targetE0EEEvSK_,"axG",@progbits,_ZN7rocprim17ROCPRIM_400000_NS6detail17trampoline_kernelINS0_14default_configENS1_36segmented_radix_sort_config_selectorIblEEZNS1_25segmented_radix_sort_implIS3_Lb0EPKbPbPKlPlN2at6native12_GLOBAL__N_18offset_tEEE10hipError_tPvRmT1_PNSt15iterator_traitsISK_E10value_typeET2_T3_PNSL_ISQ_E10value_typeET4_jRbjT5_SW_jjP12ihipStream_tbEUlT_E_NS1_11comp_targetILNS1_3genE10ELNS1_11target_archE1201ELNS1_3gpuE5ELNS1_3repE0EEENS1_30default_config_static_selectorELNS0_4arch9wavefront6targetE0EEEvSK_,comdat
	.globl	_ZN7rocprim17ROCPRIM_400000_NS6detail17trampoline_kernelINS0_14default_configENS1_36segmented_radix_sort_config_selectorIblEEZNS1_25segmented_radix_sort_implIS3_Lb0EPKbPbPKlPlN2at6native12_GLOBAL__N_18offset_tEEE10hipError_tPvRmT1_PNSt15iterator_traitsISK_E10value_typeET2_T3_PNSL_ISQ_E10value_typeET4_jRbjT5_SW_jjP12ihipStream_tbEUlT_E_NS1_11comp_targetILNS1_3genE10ELNS1_11target_archE1201ELNS1_3gpuE5ELNS1_3repE0EEENS1_30default_config_static_selectorELNS0_4arch9wavefront6targetE0EEEvSK_ ; -- Begin function _ZN7rocprim17ROCPRIM_400000_NS6detail17trampoline_kernelINS0_14default_configENS1_36segmented_radix_sort_config_selectorIblEEZNS1_25segmented_radix_sort_implIS3_Lb0EPKbPbPKlPlN2at6native12_GLOBAL__N_18offset_tEEE10hipError_tPvRmT1_PNSt15iterator_traitsISK_E10value_typeET2_T3_PNSL_ISQ_E10value_typeET4_jRbjT5_SW_jjP12ihipStream_tbEUlT_E_NS1_11comp_targetILNS1_3genE10ELNS1_11target_archE1201ELNS1_3gpuE5ELNS1_3repE0EEENS1_30default_config_static_selectorELNS0_4arch9wavefront6targetE0EEEvSK_
	.p2align	8
	.type	_ZN7rocprim17ROCPRIM_400000_NS6detail17trampoline_kernelINS0_14default_configENS1_36segmented_radix_sort_config_selectorIblEEZNS1_25segmented_radix_sort_implIS3_Lb0EPKbPbPKlPlN2at6native12_GLOBAL__N_18offset_tEEE10hipError_tPvRmT1_PNSt15iterator_traitsISK_E10value_typeET2_T3_PNSL_ISQ_E10value_typeET4_jRbjT5_SW_jjP12ihipStream_tbEUlT_E_NS1_11comp_targetILNS1_3genE10ELNS1_11target_archE1201ELNS1_3gpuE5ELNS1_3repE0EEENS1_30default_config_static_selectorELNS0_4arch9wavefront6targetE0EEEvSK_,@function
_ZN7rocprim17ROCPRIM_400000_NS6detail17trampoline_kernelINS0_14default_configENS1_36segmented_radix_sort_config_selectorIblEEZNS1_25segmented_radix_sort_implIS3_Lb0EPKbPbPKlPlN2at6native12_GLOBAL__N_18offset_tEEE10hipError_tPvRmT1_PNSt15iterator_traitsISK_E10value_typeET2_T3_PNSL_ISQ_E10value_typeET4_jRbjT5_SW_jjP12ihipStream_tbEUlT_E_NS1_11comp_targetILNS1_3genE10ELNS1_11target_archE1201ELNS1_3gpuE5ELNS1_3repE0EEENS1_30default_config_static_selectorELNS0_4arch9wavefront6targetE0EEEvSK_: ; @_ZN7rocprim17ROCPRIM_400000_NS6detail17trampoline_kernelINS0_14default_configENS1_36segmented_radix_sort_config_selectorIblEEZNS1_25segmented_radix_sort_implIS3_Lb0EPKbPbPKlPlN2at6native12_GLOBAL__N_18offset_tEEE10hipError_tPvRmT1_PNSt15iterator_traitsISK_E10value_typeET2_T3_PNSL_ISQ_E10value_typeET4_jRbjT5_SW_jjP12ihipStream_tbEUlT_E_NS1_11comp_targetILNS1_3genE10ELNS1_11target_archE1201ELNS1_3gpuE5ELNS1_3repE0EEENS1_30default_config_static_selectorELNS0_4arch9wavefront6targetE0EEEvSK_
; %bb.0:
	.section	.rodata,"a",@progbits
	.p2align	6, 0x0
	.amdhsa_kernel _ZN7rocprim17ROCPRIM_400000_NS6detail17trampoline_kernelINS0_14default_configENS1_36segmented_radix_sort_config_selectorIblEEZNS1_25segmented_radix_sort_implIS3_Lb0EPKbPbPKlPlN2at6native12_GLOBAL__N_18offset_tEEE10hipError_tPvRmT1_PNSt15iterator_traitsISK_E10value_typeET2_T3_PNSL_ISQ_E10value_typeET4_jRbjT5_SW_jjP12ihipStream_tbEUlT_E_NS1_11comp_targetILNS1_3genE10ELNS1_11target_archE1201ELNS1_3gpuE5ELNS1_3repE0EEENS1_30default_config_static_selectorELNS0_4arch9wavefront6targetE0EEEvSK_
		.amdhsa_group_segment_fixed_size 0
		.amdhsa_private_segment_fixed_size 0
		.amdhsa_kernarg_size 96
		.amdhsa_user_sgpr_count 2
		.amdhsa_user_sgpr_dispatch_ptr 0
		.amdhsa_user_sgpr_queue_ptr 0
		.amdhsa_user_sgpr_kernarg_segment_ptr 1
		.amdhsa_user_sgpr_dispatch_id 0
		.amdhsa_user_sgpr_kernarg_preload_length 0
		.amdhsa_user_sgpr_kernarg_preload_offset 0
		.amdhsa_user_sgpr_private_segment_size 0
		.amdhsa_wavefront_size32 1
		.amdhsa_uses_dynamic_stack 0
		.amdhsa_enable_private_segment 0
		.amdhsa_system_sgpr_workgroup_id_x 1
		.amdhsa_system_sgpr_workgroup_id_y 0
		.amdhsa_system_sgpr_workgroup_id_z 0
		.amdhsa_system_sgpr_workgroup_info 0
		.amdhsa_system_vgpr_workitem_id 0
		.amdhsa_next_free_vgpr 1
		.amdhsa_next_free_sgpr 1
		.amdhsa_named_barrier_count 0
		.amdhsa_reserve_vcc 0
		.amdhsa_float_round_mode_32 0
		.amdhsa_float_round_mode_16_64 0
		.amdhsa_float_denorm_mode_32 3
		.amdhsa_float_denorm_mode_16_64 3
		.amdhsa_fp16_overflow 0
		.amdhsa_memory_ordered 1
		.amdhsa_forward_progress 1
		.amdhsa_inst_pref_size 0
		.amdhsa_round_robin_scheduling 0
		.amdhsa_exception_fp_ieee_invalid_op 0
		.amdhsa_exception_fp_denorm_src 0
		.amdhsa_exception_fp_ieee_div_zero 0
		.amdhsa_exception_fp_ieee_overflow 0
		.amdhsa_exception_fp_ieee_underflow 0
		.amdhsa_exception_fp_ieee_inexact 0
		.amdhsa_exception_int_div_zero 0
	.end_amdhsa_kernel
	.section	.text._ZN7rocprim17ROCPRIM_400000_NS6detail17trampoline_kernelINS0_14default_configENS1_36segmented_radix_sort_config_selectorIblEEZNS1_25segmented_radix_sort_implIS3_Lb0EPKbPbPKlPlN2at6native12_GLOBAL__N_18offset_tEEE10hipError_tPvRmT1_PNSt15iterator_traitsISK_E10value_typeET2_T3_PNSL_ISQ_E10value_typeET4_jRbjT5_SW_jjP12ihipStream_tbEUlT_E_NS1_11comp_targetILNS1_3genE10ELNS1_11target_archE1201ELNS1_3gpuE5ELNS1_3repE0EEENS1_30default_config_static_selectorELNS0_4arch9wavefront6targetE0EEEvSK_,"axG",@progbits,_ZN7rocprim17ROCPRIM_400000_NS6detail17trampoline_kernelINS0_14default_configENS1_36segmented_radix_sort_config_selectorIblEEZNS1_25segmented_radix_sort_implIS3_Lb0EPKbPbPKlPlN2at6native12_GLOBAL__N_18offset_tEEE10hipError_tPvRmT1_PNSt15iterator_traitsISK_E10value_typeET2_T3_PNSL_ISQ_E10value_typeET4_jRbjT5_SW_jjP12ihipStream_tbEUlT_E_NS1_11comp_targetILNS1_3genE10ELNS1_11target_archE1201ELNS1_3gpuE5ELNS1_3repE0EEENS1_30default_config_static_selectorELNS0_4arch9wavefront6targetE0EEEvSK_,comdat
.Lfunc_end1632:
	.size	_ZN7rocprim17ROCPRIM_400000_NS6detail17trampoline_kernelINS0_14default_configENS1_36segmented_radix_sort_config_selectorIblEEZNS1_25segmented_radix_sort_implIS3_Lb0EPKbPbPKlPlN2at6native12_GLOBAL__N_18offset_tEEE10hipError_tPvRmT1_PNSt15iterator_traitsISK_E10value_typeET2_T3_PNSL_ISQ_E10value_typeET4_jRbjT5_SW_jjP12ihipStream_tbEUlT_E_NS1_11comp_targetILNS1_3genE10ELNS1_11target_archE1201ELNS1_3gpuE5ELNS1_3repE0EEENS1_30default_config_static_selectorELNS0_4arch9wavefront6targetE0EEEvSK_, .Lfunc_end1632-_ZN7rocprim17ROCPRIM_400000_NS6detail17trampoline_kernelINS0_14default_configENS1_36segmented_radix_sort_config_selectorIblEEZNS1_25segmented_radix_sort_implIS3_Lb0EPKbPbPKlPlN2at6native12_GLOBAL__N_18offset_tEEE10hipError_tPvRmT1_PNSt15iterator_traitsISK_E10value_typeET2_T3_PNSL_ISQ_E10value_typeET4_jRbjT5_SW_jjP12ihipStream_tbEUlT_E_NS1_11comp_targetILNS1_3genE10ELNS1_11target_archE1201ELNS1_3gpuE5ELNS1_3repE0EEENS1_30default_config_static_selectorELNS0_4arch9wavefront6targetE0EEEvSK_
                                        ; -- End function
	.set _ZN7rocprim17ROCPRIM_400000_NS6detail17trampoline_kernelINS0_14default_configENS1_36segmented_radix_sort_config_selectorIblEEZNS1_25segmented_radix_sort_implIS3_Lb0EPKbPbPKlPlN2at6native12_GLOBAL__N_18offset_tEEE10hipError_tPvRmT1_PNSt15iterator_traitsISK_E10value_typeET2_T3_PNSL_ISQ_E10value_typeET4_jRbjT5_SW_jjP12ihipStream_tbEUlT_E_NS1_11comp_targetILNS1_3genE10ELNS1_11target_archE1201ELNS1_3gpuE5ELNS1_3repE0EEENS1_30default_config_static_selectorELNS0_4arch9wavefront6targetE0EEEvSK_.num_vgpr, 0
	.set _ZN7rocprim17ROCPRIM_400000_NS6detail17trampoline_kernelINS0_14default_configENS1_36segmented_radix_sort_config_selectorIblEEZNS1_25segmented_radix_sort_implIS3_Lb0EPKbPbPKlPlN2at6native12_GLOBAL__N_18offset_tEEE10hipError_tPvRmT1_PNSt15iterator_traitsISK_E10value_typeET2_T3_PNSL_ISQ_E10value_typeET4_jRbjT5_SW_jjP12ihipStream_tbEUlT_E_NS1_11comp_targetILNS1_3genE10ELNS1_11target_archE1201ELNS1_3gpuE5ELNS1_3repE0EEENS1_30default_config_static_selectorELNS0_4arch9wavefront6targetE0EEEvSK_.num_agpr, 0
	.set _ZN7rocprim17ROCPRIM_400000_NS6detail17trampoline_kernelINS0_14default_configENS1_36segmented_radix_sort_config_selectorIblEEZNS1_25segmented_radix_sort_implIS3_Lb0EPKbPbPKlPlN2at6native12_GLOBAL__N_18offset_tEEE10hipError_tPvRmT1_PNSt15iterator_traitsISK_E10value_typeET2_T3_PNSL_ISQ_E10value_typeET4_jRbjT5_SW_jjP12ihipStream_tbEUlT_E_NS1_11comp_targetILNS1_3genE10ELNS1_11target_archE1201ELNS1_3gpuE5ELNS1_3repE0EEENS1_30default_config_static_selectorELNS0_4arch9wavefront6targetE0EEEvSK_.numbered_sgpr, 0
	.set _ZN7rocprim17ROCPRIM_400000_NS6detail17trampoline_kernelINS0_14default_configENS1_36segmented_radix_sort_config_selectorIblEEZNS1_25segmented_radix_sort_implIS3_Lb0EPKbPbPKlPlN2at6native12_GLOBAL__N_18offset_tEEE10hipError_tPvRmT1_PNSt15iterator_traitsISK_E10value_typeET2_T3_PNSL_ISQ_E10value_typeET4_jRbjT5_SW_jjP12ihipStream_tbEUlT_E_NS1_11comp_targetILNS1_3genE10ELNS1_11target_archE1201ELNS1_3gpuE5ELNS1_3repE0EEENS1_30default_config_static_selectorELNS0_4arch9wavefront6targetE0EEEvSK_.num_named_barrier, 0
	.set _ZN7rocprim17ROCPRIM_400000_NS6detail17trampoline_kernelINS0_14default_configENS1_36segmented_radix_sort_config_selectorIblEEZNS1_25segmented_radix_sort_implIS3_Lb0EPKbPbPKlPlN2at6native12_GLOBAL__N_18offset_tEEE10hipError_tPvRmT1_PNSt15iterator_traitsISK_E10value_typeET2_T3_PNSL_ISQ_E10value_typeET4_jRbjT5_SW_jjP12ihipStream_tbEUlT_E_NS1_11comp_targetILNS1_3genE10ELNS1_11target_archE1201ELNS1_3gpuE5ELNS1_3repE0EEENS1_30default_config_static_selectorELNS0_4arch9wavefront6targetE0EEEvSK_.private_seg_size, 0
	.set _ZN7rocprim17ROCPRIM_400000_NS6detail17trampoline_kernelINS0_14default_configENS1_36segmented_radix_sort_config_selectorIblEEZNS1_25segmented_radix_sort_implIS3_Lb0EPKbPbPKlPlN2at6native12_GLOBAL__N_18offset_tEEE10hipError_tPvRmT1_PNSt15iterator_traitsISK_E10value_typeET2_T3_PNSL_ISQ_E10value_typeET4_jRbjT5_SW_jjP12ihipStream_tbEUlT_E_NS1_11comp_targetILNS1_3genE10ELNS1_11target_archE1201ELNS1_3gpuE5ELNS1_3repE0EEENS1_30default_config_static_selectorELNS0_4arch9wavefront6targetE0EEEvSK_.uses_vcc, 0
	.set _ZN7rocprim17ROCPRIM_400000_NS6detail17trampoline_kernelINS0_14default_configENS1_36segmented_radix_sort_config_selectorIblEEZNS1_25segmented_radix_sort_implIS3_Lb0EPKbPbPKlPlN2at6native12_GLOBAL__N_18offset_tEEE10hipError_tPvRmT1_PNSt15iterator_traitsISK_E10value_typeET2_T3_PNSL_ISQ_E10value_typeET4_jRbjT5_SW_jjP12ihipStream_tbEUlT_E_NS1_11comp_targetILNS1_3genE10ELNS1_11target_archE1201ELNS1_3gpuE5ELNS1_3repE0EEENS1_30default_config_static_selectorELNS0_4arch9wavefront6targetE0EEEvSK_.uses_flat_scratch, 0
	.set _ZN7rocprim17ROCPRIM_400000_NS6detail17trampoline_kernelINS0_14default_configENS1_36segmented_radix_sort_config_selectorIblEEZNS1_25segmented_radix_sort_implIS3_Lb0EPKbPbPKlPlN2at6native12_GLOBAL__N_18offset_tEEE10hipError_tPvRmT1_PNSt15iterator_traitsISK_E10value_typeET2_T3_PNSL_ISQ_E10value_typeET4_jRbjT5_SW_jjP12ihipStream_tbEUlT_E_NS1_11comp_targetILNS1_3genE10ELNS1_11target_archE1201ELNS1_3gpuE5ELNS1_3repE0EEENS1_30default_config_static_selectorELNS0_4arch9wavefront6targetE0EEEvSK_.has_dyn_sized_stack, 0
	.set _ZN7rocprim17ROCPRIM_400000_NS6detail17trampoline_kernelINS0_14default_configENS1_36segmented_radix_sort_config_selectorIblEEZNS1_25segmented_radix_sort_implIS3_Lb0EPKbPbPKlPlN2at6native12_GLOBAL__N_18offset_tEEE10hipError_tPvRmT1_PNSt15iterator_traitsISK_E10value_typeET2_T3_PNSL_ISQ_E10value_typeET4_jRbjT5_SW_jjP12ihipStream_tbEUlT_E_NS1_11comp_targetILNS1_3genE10ELNS1_11target_archE1201ELNS1_3gpuE5ELNS1_3repE0EEENS1_30default_config_static_selectorELNS0_4arch9wavefront6targetE0EEEvSK_.has_recursion, 0
	.set _ZN7rocprim17ROCPRIM_400000_NS6detail17trampoline_kernelINS0_14default_configENS1_36segmented_radix_sort_config_selectorIblEEZNS1_25segmented_radix_sort_implIS3_Lb0EPKbPbPKlPlN2at6native12_GLOBAL__N_18offset_tEEE10hipError_tPvRmT1_PNSt15iterator_traitsISK_E10value_typeET2_T3_PNSL_ISQ_E10value_typeET4_jRbjT5_SW_jjP12ihipStream_tbEUlT_E_NS1_11comp_targetILNS1_3genE10ELNS1_11target_archE1201ELNS1_3gpuE5ELNS1_3repE0EEENS1_30default_config_static_selectorELNS0_4arch9wavefront6targetE0EEEvSK_.has_indirect_call, 0
	.section	.AMDGPU.csdata,"",@progbits
; Kernel info:
; codeLenInByte = 0
; TotalNumSgprs: 0
; NumVgprs: 0
; ScratchSize: 0
; MemoryBound: 0
; FloatMode: 240
; IeeeMode: 1
; LDSByteSize: 0 bytes/workgroup (compile time only)
; SGPRBlocks: 0
; VGPRBlocks: 0
; NumSGPRsForWavesPerEU: 1
; NumVGPRsForWavesPerEU: 1
; NamedBarCnt: 0
; Occupancy: 16
; WaveLimiterHint : 0
; COMPUTE_PGM_RSRC2:SCRATCH_EN: 0
; COMPUTE_PGM_RSRC2:USER_SGPR: 2
; COMPUTE_PGM_RSRC2:TRAP_HANDLER: 0
; COMPUTE_PGM_RSRC2:TGID_X_EN: 1
; COMPUTE_PGM_RSRC2:TGID_Y_EN: 0
; COMPUTE_PGM_RSRC2:TGID_Z_EN: 0
; COMPUTE_PGM_RSRC2:TIDIG_COMP_CNT: 0
	.section	.text._ZN7rocprim17ROCPRIM_400000_NS6detail17trampoline_kernelINS0_14default_configENS1_36segmented_radix_sort_config_selectorIblEEZNS1_25segmented_radix_sort_implIS3_Lb0EPKbPbPKlPlN2at6native12_GLOBAL__N_18offset_tEEE10hipError_tPvRmT1_PNSt15iterator_traitsISK_E10value_typeET2_T3_PNSL_ISQ_E10value_typeET4_jRbjT5_SW_jjP12ihipStream_tbEUlT_E_NS1_11comp_targetILNS1_3genE10ELNS1_11target_archE1200ELNS1_3gpuE4ELNS1_3repE0EEENS1_30default_config_static_selectorELNS0_4arch9wavefront6targetE0EEEvSK_,"axG",@progbits,_ZN7rocprim17ROCPRIM_400000_NS6detail17trampoline_kernelINS0_14default_configENS1_36segmented_radix_sort_config_selectorIblEEZNS1_25segmented_radix_sort_implIS3_Lb0EPKbPbPKlPlN2at6native12_GLOBAL__N_18offset_tEEE10hipError_tPvRmT1_PNSt15iterator_traitsISK_E10value_typeET2_T3_PNSL_ISQ_E10value_typeET4_jRbjT5_SW_jjP12ihipStream_tbEUlT_E_NS1_11comp_targetILNS1_3genE10ELNS1_11target_archE1200ELNS1_3gpuE4ELNS1_3repE0EEENS1_30default_config_static_selectorELNS0_4arch9wavefront6targetE0EEEvSK_,comdat
	.globl	_ZN7rocprim17ROCPRIM_400000_NS6detail17trampoline_kernelINS0_14default_configENS1_36segmented_radix_sort_config_selectorIblEEZNS1_25segmented_radix_sort_implIS3_Lb0EPKbPbPKlPlN2at6native12_GLOBAL__N_18offset_tEEE10hipError_tPvRmT1_PNSt15iterator_traitsISK_E10value_typeET2_T3_PNSL_ISQ_E10value_typeET4_jRbjT5_SW_jjP12ihipStream_tbEUlT_E_NS1_11comp_targetILNS1_3genE10ELNS1_11target_archE1200ELNS1_3gpuE4ELNS1_3repE0EEENS1_30default_config_static_selectorELNS0_4arch9wavefront6targetE0EEEvSK_ ; -- Begin function _ZN7rocprim17ROCPRIM_400000_NS6detail17trampoline_kernelINS0_14default_configENS1_36segmented_radix_sort_config_selectorIblEEZNS1_25segmented_radix_sort_implIS3_Lb0EPKbPbPKlPlN2at6native12_GLOBAL__N_18offset_tEEE10hipError_tPvRmT1_PNSt15iterator_traitsISK_E10value_typeET2_T3_PNSL_ISQ_E10value_typeET4_jRbjT5_SW_jjP12ihipStream_tbEUlT_E_NS1_11comp_targetILNS1_3genE10ELNS1_11target_archE1200ELNS1_3gpuE4ELNS1_3repE0EEENS1_30default_config_static_selectorELNS0_4arch9wavefront6targetE0EEEvSK_
	.p2align	8
	.type	_ZN7rocprim17ROCPRIM_400000_NS6detail17trampoline_kernelINS0_14default_configENS1_36segmented_radix_sort_config_selectorIblEEZNS1_25segmented_radix_sort_implIS3_Lb0EPKbPbPKlPlN2at6native12_GLOBAL__N_18offset_tEEE10hipError_tPvRmT1_PNSt15iterator_traitsISK_E10value_typeET2_T3_PNSL_ISQ_E10value_typeET4_jRbjT5_SW_jjP12ihipStream_tbEUlT_E_NS1_11comp_targetILNS1_3genE10ELNS1_11target_archE1200ELNS1_3gpuE4ELNS1_3repE0EEENS1_30default_config_static_selectorELNS0_4arch9wavefront6targetE0EEEvSK_,@function
_ZN7rocprim17ROCPRIM_400000_NS6detail17trampoline_kernelINS0_14default_configENS1_36segmented_radix_sort_config_selectorIblEEZNS1_25segmented_radix_sort_implIS3_Lb0EPKbPbPKlPlN2at6native12_GLOBAL__N_18offset_tEEE10hipError_tPvRmT1_PNSt15iterator_traitsISK_E10value_typeET2_T3_PNSL_ISQ_E10value_typeET4_jRbjT5_SW_jjP12ihipStream_tbEUlT_E_NS1_11comp_targetILNS1_3genE10ELNS1_11target_archE1200ELNS1_3gpuE4ELNS1_3repE0EEENS1_30default_config_static_selectorELNS0_4arch9wavefront6targetE0EEEvSK_: ; @_ZN7rocprim17ROCPRIM_400000_NS6detail17trampoline_kernelINS0_14default_configENS1_36segmented_radix_sort_config_selectorIblEEZNS1_25segmented_radix_sort_implIS3_Lb0EPKbPbPKlPlN2at6native12_GLOBAL__N_18offset_tEEE10hipError_tPvRmT1_PNSt15iterator_traitsISK_E10value_typeET2_T3_PNSL_ISQ_E10value_typeET4_jRbjT5_SW_jjP12ihipStream_tbEUlT_E_NS1_11comp_targetILNS1_3genE10ELNS1_11target_archE1200ELNS1_3gpuE4ELNS1_3repE0EEENS1_30default_config_static_selectorELNS0_4arch9wavefront6targetE0EEEvSK_
; %bb.0:
	.section	.rodata,"a",@progbits
	.p2align	6, 0x0
	.amdhsa_kernel _ZN7rocprim17ROCPRIM_400000_NS6detail17trampoline_kernelINS0_14default_configENS1_36segmented_radix_sort_config_selectorIblEEZNS1_25segmented_radix_sort_implIS3_Lb0EPKbPbPKlPlN2at6native12_GLOBAL__N_18offset_tEEE10hipError_tPvRmT1_PNSt15iterator_traitsISK_E10value_typeET2_T3_PNSL_ISQ_E10value_typeET4_jRbjT5_SW_jjP12ihipStream_tbEUlT_E_NS1_11comp_targetILNS1_3genE10ELNS1_11target_archE1200ELNS1_3gpuE4ELNS1_3repE0EEENS1_30default_config_static_selectorELNS0_4arch9wavefront6targetE0EEEvSK_
		.amdhsa_group_segment_fixed_size 0
		.amdhsa_private_segment_fixed_size 0
		.amdhsa_kernarg_size 96
		.amdhsa_user_sgpr_count 2
		.amdhsa_user_sgpr_dispatch_ptr 0
		.amdhsa_user_sgpr_queue_ptr 0
		.amdhsa_user_sgpr_kernarg_segment_ptr 1
		.amdhsa_user_sgpr_dispatch_id 0
		.amdhsa_user_sgpr_kernarg_preload_length 0
		.amdhsa_user_sgpr_kernarg_preload_offset 0
		.amdhsa_user_sgpr_private_segment_size 0
		.amdhsa_wavefront_size32 1
		.amdhsa_uses_dynamic_stack 0
		.amdhsa_enable_private_segment 0
		.amdhsa_system_sgpr_workgroup_id_x 1
		.amdhsa_system_sgpr_workgroup_id_y 0
		.amdhsa_system_sgpr_workgroup_id_z 0
		.amdhsa_system_sgpr_workgroup_info 0
		.amdhsa_system_vgpr_workitem_id 0
		.amdhsa_next_free_vgpr 1
		.amdhsa_next_free_sgpr 1
		.amdhsa_named_barrier_count 0
		.amdhsa_reserve_vcc 0
		.amdhsa_float_round_mode_32 0
		.amdhsa_float_round_mode_16_64 0
		.amdhsa_float_denorm_mode_32 3
		.amdhsa_float_denorm_mode_16_64 3
		.amdhsa_fp16_overflow 0
		.amdhsa_memory_ordered 1
		.amdhsa_forward_progress 1
		.amdhsa_inst_pref_size 0
		.amdhsa_round_robin_scheduling 0
		.amdhsa_exception_fp_ieee_invalid_op 0
		.amdhsa_exception_fp_denorm_src 0
		.amdhsa_exception_fp_ieee_div_zero 0
		.amdhsa_exception_fp_ieee_overflow 0
		.amdhsa_exception_fp_ieee_underflow 0
		.amdhsa_exception_fp_ieee_inexact 0
		.amdhsa_exception_int_div_zero 0
	.end_amdhsa_kernel
	.section	.text._ZN7rocprim17ROCPRIM_400000_NS6detail17trampoline_kernelINS0_14default_configENS1_36segmented_radix_sort_config_selectorIblEEZNS1_25segmented_radix_sort_implIS3_Lb0EPKbPbPKlPlN2at6native12_GLOBAL__N_18offset_tEEE10hipError_tPvRmT1_PNSt15iterator_traitsISK_E10value_typeET2_T3_PNSL_ISQ_E10value_typeET4_jRbjT5_SW_jjP12ihipStream_tbEUlT_E_NS1_11comp_targetILNS1_3genE10ELNS1_11target_archE1200ELNS1_3gpuE4ELNS1_3repE0EEENS1_30default_config_static_selectorELNS0_4arch9wavefront6targetE0EEEvSK_,"axG",@progbits,_ZN7rocprim17ROCPRIM_400000_NS6detail17trampoline_kernelINS0_14default_configENS1_36segmented_radix_sort_config_selectorIblEEZNS1_25segmented_radix_sort_implIS3_Lb0EPKbPbPKlPlN2at6native12_GLOBAL__N_18offset_tEEE10hipError_tPvRmT1_PNSt15iterator_traitsISK_E10value_typeET2_T3_PNSL_ISQ_E10value_typeET4_jRbjT5_SW_jjP12ihipStream_tbEUlT_E_NS1_11comp_targetILNS1_3genE10ELNS1_11target_archE1200ELNS1_3gpuE4ELNS1_3repE0EEENS1_30default_config_static_selectorELNS0_4arch9wavefront6targetE0EEEvSK_,comdat
.Lfunc_end1633:
	.size	_ZN7rocprim17ROCPRIM_400000_NS6detail17trampoline_kernelINS0_14default_configENS1_36segmented_radix_sort_config_selectorIblEEZNS1_25segmented_radix_sort_implIS3_Lb0EPKbPbPKlPlN2at6native12_GLOBAL__N_18offset_tEEE10hipError_tPvRmT1_PNSt15iterator_traitsISK_E10value_typeET2_T3_PNSL_ISQ_E10value_typeET4_jRbjT5_SW_jjP12ihipStream_tbEUlT_E_NS1_11comp_targetILNS1_3genE10ELNS1_11target_archE1200ELNS1_3gpuE4ELNS1_3repE0EEENS1_30default_config_static_selectorELNS0_4arch9wavefront6targetE0EEEvSK_, .Lfunc_end1633-_ZN7rocprim17ROCPRIM_400000_NS6detail17trampoline_kernelINS0_14default_configENS1_36segmented_radix_sort_config_selectorIblEEZNS1_25segmented_radix_sort_implIS3_Lb0EPKbPbPKlPlN2at6native12_GLOBAL__N_18offset_tEEE10hipError_tPvRmT1_PNSt15iterator_traitsISK_E10value_typeET2_T3_PNSL_ISQ_E10value_typeET4_jRbjT5_SW_jjP12ihipStream_tbEUlT_E_NS1_11comp_targetILNS1_3genE10ELNS1_11target_archE1200ELNS1_3gpuE4ELNS1_3repE0EEENS1_30default_config_static_selectorELNS0_4arch9wavefront6targetE0EEEvSK_
                                        ; -- End function
	.set _ZN7rocprim17ROCPRIM_400000_NS6detail17trampoline_kernelINS0_14default_configENS1_36segmented_radix_sort_config_selectorIblEEZNS1_25segmented_radix_sort_implIS3_Lb0EPKbPbPKlPlN2at6native12_GLOBAL__N_18offset_tEEE10hipError_tPvRmT1_PNSt15iterator_traitsISK_E10value_typeET2_T3_PNSL_ISQ_E10value_typeET4_jRbjT5_SW_jjP12ihipStream_tbEUlT_E_NS1_11comp_targetILNS1_3genE10ELNS1_11target_archE1200ELNS1_3gpuE4ELNS1_3repE0EEENS1_30default_config_static_selectorELNS0_4arch9wavefront6targetE0EEEvSK_.num_vgpr, 0
	.set _ZN7rocprim17ROCPRIM_400000_NS6detail17trampoline_kernelINS0_14default_configENS1_36segmented_radix_sort_config_selectorIblEEZNS1_25segmented_radix_sort_implIS3_Lb0EPKbPbPKlPlN2at6native12_GLOBAL__N_18offset_tEEE10hipError_tPvRmT1_PNSt15iterator_traitsISK_E10value_typeET2_T3_PNSL_ISQ_E10value_typeET4_jRbjT5_SW_jjP12ihipStream_tbEUlT_E_NS1_11comp_targetILNS1_3genE10ELNS1_11target_archE1200ELNS1_3gpuE4ELNS1_3repE0EEENS1_30default_config_static_selectorELNS0_4arch9wavefront6targetE0EEEvSK_.num_agpr, 0
	.set _ZN7rocprim17ROCPRIM_400000_NS6detail17trampoline_kernelINS0_14default_configENS1_36segmented_radix_sort_config_selectorIblEEZNS1_25segmented_radix_sort_implIS3_Lb0EPKbPbPKlPlN2at6native12_GLOBAL__N_18offset_tEEE10hipError_tPvRmT1_PNSt15iterator_traitsISK_E10value_typeET2_T3_PNSL_ISQ_E10value_typeET4_jRbjT5_SW_jjP12ihipStream_tbEUlT_E_NS1_11comp_targetILNS1_3genE10ELNS1_11target_archE1200ELNS1_3gpuE4ELNS1_3repE0EEENS1_30default_config_static_selectorELNS0_4arch9wavefront6targetE0EEEvSK_.numbered_sgpr, 0
	.set _ZN7rocprim17ROCPRIM_400000_NS6detail17trampoline_kernelINS0_14default_configENS1_36segmented_radix_sort_config_selectorIblEEZNS1_25segmented_radix_sort_implIS3_Lb0EPKbPbPKlPlN2at6native12_GLOBAL__N_18offset_tEEE10hipError_tPvRmT1_PNSt15iterator_traitsISK_E10value_typeET2_T3_PNSL_ISQ_E10value_typeET4_jRbjT5_SW_jjP12ihipStream_tbEUlT_E_NS1_11comp_targetILNS1_3genE10ELNS1_11target_archE1200ELNS1_3gpuE4ELNS1_3repE0EEENS1_30default_config_static_selectorELNS0_4arch9wavefront6targetE0EEEvSK_.num_named_barrier, 0
	.set _ZN7rocprim17ROCPRIM_400000_NS6detail17trampoline_kernelINS0_14default_configENS1_36segmented_radix_sort_config_selectorIblEEZNS1_25segmented_radix_sort_implIS3_Lb0EPKbPbPKlPlN2at6native12_GLOBAL__N_18offset_tEEE10hipError_tPvRmT1_PNSt15iterator_traitsISK_E10value_typeET2_T3_PNSL_ISQ_E10value_typeET4_jRbjT5_SW_jjP12ihipStream_tbEUlT_E_NS1_11comp_targetILNS1_3genE10ELNS1_11target_archE1200ELNS1_3gpuE4ELNS1_3repE0EEENS1_30default_config_static_selectorELNS0_4arch9wavefront6targetE0EEEvSK_.private_seg_size, 0
	.set _ZN7rocprim17ROCPRIM_400000_NS6detail17trampoline_kernelINS0_14default_configENS1_36segmented_radix_sort_config_selectorIblEEZNS1_25segmented_radix_sort_implIS3_Lb0EPKbPbPKlPlN2at6native12_GLOBAL__N_18offset_tEEE10hipError_tPvRmT1_PNSt15iterator_traitsISK_E10value_typeET2_T3_PNSL_ISQ_E10value_typeET4_jRbjT5_SW_jjP12ihipStream_tbEUlT_E_NS1_11comp_targetILNS1_3genE10ELNS1_11target_archE1200ELNS1_3gpuE4ELNS1_3repE0EEENS1_30default_config_static_selectorELNS0_4arch9wavefront6targetE0EEEvSK_.uses_vcc, 0
	.set _ZN7rocprim17ROCPRIM_400000_NS6detail17trampoline_kernelINS0_14default_configENS1_36segmented_radix_sort_config_selectorIblEEZNS1_25segmented_radix_sort_implIS3_Lb0EPKbPbPKlPlN2at6native12_GLOBAL__N_18offset_tEEE10hipError_tPvRmT1_PNSt15iterator_traitsISK_E10value_typeET2_T3_PNSL_ISQ_E10value_typeET4_jRbjT5_SW_jjP12ihipStream_tbEUlT_E_NS1_11comp_targetILNS1_3genE10ELNS1_11target_archE1200ELNS1_3gpuE4ELNS1_3repE0EEENS1_30default_config_static_selectorELNS0_4arch9wavefront6targetE0EEEvSK_.uses_flat_scratch, 0
	.set _ZN7rocprim17ROCPRIM_400000_NS6detail17trampoline_kernelINS0_14default_configENS1_36segmented_radix_sort_config_selectorIblEEZNS1_25segmented_radix_sort_implIS3_Lb0EPKbPbPKlPlN2at6native12_GLOBAL__N_18offset_tEEE10hipError_tPvRmT1_PNSt15iterator_traitsISK_E10value_typeET2_T3_PNSL_ISQ_E10value_typeET4_jRbjT5_SW_jjP12ihipStream_tbEUlT_E_NS1_11comp_targetILNS1_3genE10ELNS1_11target_archE1200ELNS1_3gpuE4ELNS1_3repE0EEENS1_30default_config_static_selectorELNS0_4arch9wavefront6targetE0EEEvSK_.has_dyn_sized_stack, 0
	.set _ZN7rocprim17ROCPRIM_400000_NS6detail17trampoline_kernelINS0_14default_configENS1_36segmented_radix_sort_config_selectorIblEEZNS1_25segmented_radix_sort_implIS3_Lb0EPKbPbPKlPlN2at6native12_GLOBAL__N_18offset_tEEE10hipError_tPvRmT1_PNSt15iterator_traitsISK_E10value_typeET2_T3_PNSL_ISQ_E10value_typeET4_jRbjT5_SW_jjP12ihipStream_tbEUlT_E_NS1_11comp_targetILNS1_3genE10ELNS1_11target_archE1200ELNS1_3gpuE4ELNS1_3repE0EEENS1_30default_config_static_selectorELNS0_4arch9wavefront6targetE0EEEvSK_.has_recursion, 0
	.set _ZN7rocprim17ROCPRIM_400000_NS6detail17trampoline_kernelINS0_14default_configENS1_36segmented_radix_sort_config_selectorIblEEZNS1_25segmented_radix_sort_implIS3_Lb0EPKbPbPKlPlN2at6native12_GLOBAL__N_18offset_tEEE10hipError_tPvRmT1_PNSt15iterator_traitsISK_E10value_typeET2_T3_PNSL_ISQ_E10value_typeET4_jRbjT5_SW_jjP12ihipStream_tbEUlT_E_NS1_11comp_targetILNS1_3genE10ELNS1_11target_archE1200ELNS1_3gpuE4ELNS1_3repE0EEENS1_30default_config_static_selectorELNS0_4arch9wavefront6targetE0EEEvSK_.has_indirect_call, 0
	.section	.AMDGPU.csdata,"",@progbits
; Kernel info:
; codeLenInByte = 0
; TotalNumSgprs: 0
; NumVgprs: 0
; ScratchSize: 0
; MemoryBound: 0
; FloatMode: 240
; IeeeMode: 1
; LDSByteSize: 0 bytes/workgroup (compile time only)
; SGPRBlocks: 0
; VGPRBlocks: 0
; NumSGPRsForWavesPerEU: 1
; NumVGPRsForWavesPerEU: 1
; NamedBarCnt: 0
; Occupancy: 16
; WaveLimiterHint : 0
; COMPUTE_PGM_RSRC2:SCRATCH_EN: 0
; COMPUTE_PGM_RSRC2:USER_SGPR: 2
; COMPUTE_PGM_RSRC2:TRAP_HANDLER: 0
; COMPUTE_PGM_RSRC2:TGID_X_EN: 1
; COMPUTE_PGM_RSRC2:TGID_Y_EN: 0
; COMPUTE_PGM_RSRC2:TGID_Z_EN: 0
; COMPUTE_PGM_RSRC2:TIDIG_COMP_CNT: 0
	.section	.text._ZN7rocprim17ROCPRIM_400000_NS6detail17trampoline_kernelINS0_14default_configENS1_36segmented_radix_sort_config_selectorIblEEZNS1_25segmented_radix_sort_implIS3_Lb0EPKbPbPKlPlN2at6native12_GLOBAL__N_18offset_tEEE10hipError_tPvRmT1_PNSt15iterator_traitsISK_E10value_typeET2_T3_PNSL_ISQ_E10value_typeET4_jRbjT5_SW_jjP12ihipStream_tbEUlT_E_NS1_11comp_targetILNS1_3genE9ELNS1_11target_archE1100ELNS1_3gpuE3ELNS1_3repE0EEENS1_30default_config_static_selectorELNS0_4arch9wavefront6targetE0EEEvSK_,"axG",@progbits,_ZN7rocprim17ROCPRIM_400000_NS6detail17trampoline_kernelINS0_14default_configENS1_36segmented_radix_sort_config_selectorIblEEZNS1_25segmented_radix_sort_implIS3_Lb0EPKbPbPKlPlN2at6native12_GLOBAL__N_18offset_tEEE10hipError_tPvRmT1_PNSt15iterator_traitsISK_E10value_typeET2_T3_PNSL_ISQ_E10value_typeET4_jRbjT5_SW_jjP12ihipStream_tbEUlT_E_NS1_11comp_targetILNS1_3genE9ELNS1_11target_archE1100ELNS1_3gpuE3ELNS1_3repE0EEENS1_30default_config_static_selectorELNS0_4arch9wavefront6targetE0EEEvSK_,comdat
	.globl	_ZN7rocprim17ROCPRIM_400000_NS6detail17trampoline_kernelINS0_14default_configENS1_36segmented_radix_sort_config_selectorIblEEZNS1_25segmented_radix_sort_implIS3_Lb0EPKbPbPKlPlN2at6native12_GLOBAL__N_18offset_tEEE10hipError_tPvRmT1_PNSt15iterator_traitsISK_E10value_typeET2_T3_PNSL_ISQ_E10value_typeET4_jRbjT5_SW_jjP12ihipStream_tbEUlT_E_NS1_11comp_targetILNS1_3genE9ELNS1_11target_archE1100ELNS1_3gpuE3ELNS1_3repE0EEENS1_30default_config_static_selectorELNS0_4arch9wavefront6targetE0EEEvSK_ ; -- Begin function _ZN7rocprim17ROCPRIM_400000_NS6detail17trampoline_kernelINS0_14default_configENS1_36segmented_radix_sort_config_selectorIblEEZNS1_25segmented_radix_sort_implIS3_Lb0EPKbPbPKlPlN2at6native12_GLOBAL__N_18offset_tEEE10hipError_tPvRmT1_PNSt15iterator_traitsISK_E10value_typeET2_T3_PNSL_ISQ_E10value_typeET4_jRbjT5_SW_jjP12ihipStream_tbEUlT_E_NS1_11comp_targetILNS1_3genE9ELNS1_11target_archE1100ELNS1_3gpuE3ELNS1_3repE0EEENS1_30default_config_static_selectorELNS0_4arch9wavefront6targetE0EEEvSK_
	.p2align	8
	.type	_ZN7rocprim17ROCPRIM_400000_NS6detail17trampoline_kernelINS0_14default_configENS1_36segmented_radix_sort_config_selectorIblEEZNS1_25segmented_radix_sort_implIS3_Lb0EPKbPbPKlPlN2at6native12_GLOBAL__N_18offset_tEEE10hipError_tPvRmT1_PNSt15iterator_traitsISK_E10value_typeET2_T3_PNSL_ISQ_E10value_typeET4_jRbjT5_SW_jjP12ihipStream_tbEUlT_E_NS1_11comp_targetILNS1_3genE9ELNS1_11target_archE1100ELNS1_3gpuE3ELNS1_3repE0EEENS1_30default_config_static_selectorELNS0_4arch9wavefront6targetE0EEEvSK_,@function
_ZN7rocprim17ROCPRIM_400000_NS6detail17trampoline_kernelINS0_14default_configENS1_36segmented_radix_sort_config_selectorIblEEZNS1_25segmented_radix_sort_implIS3_Lb0EPKbPbPKlPlN2at6native12_GLOBAL__N_18offset_tEEE10hipError_tPvRmT1_PNSt15iterator_traitsISK_E10value_typeET2_T3_PNSL_ISQ_E10value_typeET4_jRbjT5_SW_jjP12ihipStream_tbEUlT_E_NS1_11comp_targetILNS1_3genE9ELNS1_11target_archE1100ELNS1_3gpuE3ELNS1_3repE0EEENS1_30default_config_static_selectorELNS0_4arch9wavefront6targetE0EEEvSK_: ; @_ZN7rocprim17ROCPRIM_400000_NS6detail17trampoline_kernelINS0_14default_configENS1_36segmented_radix_sort_config_selectorIblEEZNS1_25segmented_radix_sort_implIS3_Lb0EPKbPbPKlPlN2at6native12_GLOBAL__N_18offset_tEEE10hipError_tPvRmT1_PNSt15iterator_traitsISK_E10value_typeET2_T3_PNSL_ISQ_E10value_typeET4_jRbjT5_SW_jjP12ihipStream_tbEUlT_E_NS1_11comp_targetILNS1_3genE9ELNS1_11target_archE1100ELNS1_3gpuE3ELNS1_3repE0EEENS1_30default_config_static_selectorELNS0_4arch9wavefront6targetE0EEEvSK_
; %bb.0:
	.section	.rodata,"a",@progbits
	.p2align	6, 0x0
	.amdhsa_kernel _ZN7rocprim17ROCPRIM_400000_NS6detail17trampoline_kernelINS0_14default_configENS1_36segmented_radix_sort_config_selectorIblEEZNS1_25segmented_radix_sort_implIS3_Lb0EPKbPbPKlPlN2at6native12_GLOBAL__N_18offset_tEEE10hipError_tPvRmT1_PNSt15iterator_traitsISK_E10value_typeET2_T3_PNSL_ISQ_E10value_typeET4_jRbjT5_SW_jjP12ihipStream_tbEUlT_E_NS1_11comp_targetILNS1_3genE9ELNS1_11target_archE1100ELNS1_3gpuE3ELNS1_3repE0EEENS1_30default_config_static_selectorELNS0_4arch9wavefront6targetE0EEEvSK_
		.amdhsa_group_segment_fixed_size 0
		.amdhsa_private_segment_fixed_size 0
		.amdhsa_kernarg_size 96
		.amdhsa_user_sgpr_count 2
		.amdhsa_user_sgpr_dispatch_ptr 0
		.amdhsa_user_sgpr_queue_ptr 0
		.amdhsa_user_sgpr_kernarg_segment_ptr 1
		.amdhsa_user_sgpr_dispatch_id 0
		.amdhsa_user_sgpr_kernarg_preload_length 0
		.amdhsa_user_sgpr_kernarg_preload_offset 0
		.amdhsa_user_sgpr_private_segment_size 0
		.amdhsa_wavefront_size32 1
		.amdhsa_uses_dynamic_stack 0
		.amdhsa_enable_private_segment 0
		.amdhsa_system_sgpr_workgroup_id_x 1
		.amdhsa_system_sgpr_workgroup_id_y 0
		.amdhsa_system_sgpr_workgroup_id_z 0
		.amdhsa_system_sgpr_workgroup_info 0
		.amdhsa_system_vgpr_workitem_id 0
		.amdhsa_next_free_vgpr 1
		.amdhsa_next_free_sgpr 1
		.amdhsa_named_barrier_count 0
		.amdhsa_reserve_vcc 0
		.amdhsa_float_round_mode_32 0
		.amdhsa_float_round_mode_16_64 0
		.amdhsa_float_denorm_mode_32 3
		.amdhsa_float_denorm_mode_16_64 3
		.amdhsa_fp16_overflow 0
		.amdhsa_memory_ordered 1
		.amdhsa_forward_progress 1
		.amdhsa_inst_pref_size 0
		.amdhsa_round_robin_scheduling 0
		.amdhsa_exception_fp_ieee_invalid_op 0
		.amdhsa_exception_fp_denorm_src 0
		.amdhsa_exception_fp_ieee_div_zero 0
		.amdhsa_exception_fp_ieee_overflow 0
		.amdhsa_exception_fp_ieee_underflow 0
		.amdhsa_exception_fp_ieee_inexact 0
		.amdhsa_exception_int_div_zero 0
	.end_amdhsa_kernel
	.section	.text._ZN7rocprim17ROCPRIM_400000_NS6detail17trampoline_kernelINS0_14default_configENS1_36segmented_radix_sort_config_selectorIblEEZNS1_25segmented_radix_sort_implIS3_Lb0EPKbPbPKlPlN2at6native12_GLOBAL__N_18offset_tEEE10hipError_tPvRmT1_PNSt15iterator_traitsISK_E10value_typeET2_T3_PNSL_ISQ_E10value_typeET4_jRbjT5_SW_jjP12ihipStream_tbEUlT_E_NS1_11comp_targetILNS1_3genE9ELNS1_11target_archE1100ELNS1_3gpuE3ELNS1_3repE0EEENS1_30default_config_static_selectorELNS0_4arch9wavefront6targetE0EEEvSK_,"axG",@progbits,_ZN7rocprim17ROCPRIM_400000_NS6detail17trampoline_kernelINS0_14default_configENS1_36segmented_radix_sort_config_selectorIblEEZNS1_25segmented_radix_sort_implIS3_Lb0EPKbPbPKlPlN2at6native12_GLOBAL__N_18offset_tEEE10hipError_tPvRmT1_PNSt15iterator_traitsISK_E10value_typeET2_T3_PNSL_ISQ_E10value_typeET4_jRbjT5_SW_jjP12ihipStream_tbEUlT_E_NS1_11comp_targetILNS1_3genE9ELNS1_11target_archE1100ELNS1_3gpuE3ELNS1_3repE0EEENS1_30default_config_static_selectorELNS0_4arch9wavefront6targetE0EEEvSK_,comdat
.Lfunc_end1634:
	.size	_ZN7rocprim17ROCPRIM_400000_NS6detail17trampoline_kernelINS0_14default_configENS1_36segmented_radix_sort_config_selectorIblEEZNS1_25segmented_radix_sort_implIS3_Lb0EPKbPbPKlPlN2at6native12_GLOBAL__N_18offset_tEEE10hipError_tPvRmT1_PNSt15iterator_traitsISK_E10value_typeET2_T3_PNSL_ISQ_E10value_typeET4_jRbjT5_SW_jjP12ihipStream_tbEUlT_E_NS1_11comp_targetILNS1_3genE9ELNS1_11target_archE1100ELNS1_3gpuE3ELNS1_3repE0EEENS1_30default_config_static_selectorELNS0_4arch9wavefront6targetE0EEEvSK_, .Lfunc_end1634-_ZN7rocprim17ROCPRIM_400000_NS6detail17trampoline_kernelINS0_14default_configENS1_36segmented_radix_sort_config_selectorIblEEZNS1_25segmented_radix_sort_implIS3_Lb0EPKbPbPKlPlN2at6native12_GLOBAL__N_18offset_tEEE10hipError_tPvRmT1_PNSt15iterator_traitsISK_E10value_typeET2_T3_PNSL_ISQ_E10value_typeET4_jRbjT5_SW_jjP12ihipStream_tbEUlT_E_NS1_11comp_targetILNS1_3genE9ELNS1_11target_archE1100ELNS1_3gpuE3ELNS1_3repE0EEENS1_30default_config_static_selectorELNS0_4arch9wavefront6targetE0EEEvSK_
                                        ; -- End function
	.set _ZN7rocprim17ROCPRIM_400000_NS6detail17trampoline_kernelINS0_14default_configENS1_36segmented_radix_sort_config_selectorIblEEZNS1_25segmented_radix_sort_implIS3_Lb0EPKbPbPKlPlN2at6native12_GLOBAL__N_18offset_tEEE10hipError_tPvRmT1_PNSt15iterator_traitsISK_E10value_typeET2_T3_PNSL_ISQ_E10value_typeET4_jRbjT5_SW_jjP12ihipStream_tbEUlT_E_NS1_11comp_targetILNS1_3genE9ELNS1_11target_archE1100ELNS1_3gpuE3ELNS1_3repE0EEENS1_30default_config_static_selectorELNS0_4arch9wavefront6targetE0EEEvSK_.num_vgpr, 0
	.set _ZN7rocprim17ROCPRIM_400000_NS6detail17trampoline_kernelINS0_14default_configENS1_36segmented_radix_sort_config_selectorIblEEZNS1_25segmented_radix_sort_implIS3_Lb0EPKbPbPKlPlN2at6native12_GLOBAL__N_18offset_tEEE10hipError_tPvRmT1_PNSt15iterator_traitsISK_E10value_typeET2_T3_PNSL_ISQ_E10value_typeET4_jRbjT5_SW_jjP12ihipStream_tbEUlT_E_NS1_11comp_targetILNS1_3genE9ELNS1_11target_archE1100ELNS1_3gpuE3ELNS1_3repE0EEENS1_30default_config_static_selectorELNS0_4arch9wavefront6targetE0EEEvSK_.num_agpr, 0
	.set _ZN7rocprim17ROCPRIM_400000_NS6detail17trampoline_kernelINS0_14default_configENS1_36segmented_radix_sort_config_selectorIblEEZNS1_25segmented_radix_sort_implIS3_Lb0EPKbPbPKlPlN2at6native12_GLOBAL__N_18offset_tEEE10hipError_tPvRmT1_PNSt15iterator_traitsISK_E10value_typeET2_T3_PNSL_ISQ_E10value_typeET4_jRbjT5_SW_jjP12ihipStream_tbEUlT_E_NS1_11comp_targetILNS1_3genE9ELNS1_11target_archE1100ELNS1_3gpuE3ELNS1_3repE0EEENS1_30default_config_static_selectorELNS0_4arch9wavefront6targetE0EEEvSK_.numbered_sgpr, 0
	.set _ZN7rocprim17ROCPRIM_400000_NS6detail17trampoline_kernelINS0_14default_configENS1_36segmented_radix_sort_config_selectorIblEEZNS1_25segmented_radix_sort_implIS3_Lb0EPKbPbPKlPlN2at6native12_GLOBAL__N_18offset_tEEE10hipError_tPvRmT1_PNSt15iterator_traitsISK_E10value_typeET2_T3_PNSL_ISQ_E10value_typeET4_jRbjT5_SW_jjP12ihipStream_tbEUlT_E_NS1_11comp_targetILNS1_3genE9ELNS1_11target_archE1100ELNS1_3gpuE3ELNS1_3repE0EEENS1_30default_config_static_selectorELNS0_4arch9wavefront6targetE0EEEvSK_.num_named_barrier, 0
	.set _ZN7rocprim17ROCPRIM_400000_NS6detail17trampoline_kernelINS0_14default_configENS1_36segmented_radix_sort_config_selectorIblEEZNS1_25segmented_radix_sort_implIS3_Lb0EPKbPbPKlPlN2at6native12_GLOBAL__N_18offset_tEEE10hipError_tPvRmT1_PNSt15iterator_traitsISK_E10value_typeET2_T3_PNSL_ISQ_E10value_typeET4_jRbjT5_SW_jjP12ihipStream_tbEUlT_E_NS1_11comp_targetILNS1_3genE9ELNS1_11target_archE1100ELNS1_3gpuE3ELNS1_3repE0EEENS1_30default_config_static_selectorELNS0_4arch9wavefront6targetE0EEEvSK_.private_seg_size, 0
	.set _ZN7rocprim17ROCPRIM_400000_NS6detail17trampoline_kernelINS0_14default_configENS1_36segmented_radix_sort_config_selectorIblEEZNS1_25segmented_radix_sort_implIS3_Lb0EPKbPbPKlPlN2at6native12_GLOBAL__N_18offset_tEEE10hipError_tPvRmT1_PNSt15iterator_traitsISK_E10value_typeET2_T3_PNSL_ISQ_E10value_typeET4_jRbjT5_SW_jjP12ihipStream_tbEUlT_E_NS1_11comp_targetILNS1_3genE9ELNS1_11target_archE1100ELNS1_3gpuE3ELNS1_3repE0EEENS1_30default_config_static_selectorELNS0_4arch9wavefront6targetE0EEEvSK_.uses_vcc, 0
	.set _ZN7rocprim17ROCPRIM_400000_NS6detail17trampoline_kernelINS0_14default_configENS1_36segmented_radix_sort_config_selectorIblEEZNS1_25segmented_radix_sort_implIS3_Lb0EPKbPbPKlPlN2at6native12_GLOBAL__N_18offset_tEEE10hipError_tPvRmT1_PNSt15iterator_traitsISK_E10value_typeET2_T3_PNSL_ISQ_E10value_typeET4_jRbjT5_SW_jjP12ihipStream_tbEUlT_E_NS1_11comp_targetILNS1_3genE9ELNS1_11target_archE1100ELNS1_3gpuE3ELNS1_3repE0EEENS1_30default_config_static_selectorELNS0_4arch9wavefront6targetE0EEEvSK_.uses_flat_scratch, 0
	.set _ZN7rocprim17ROCPRIM_400000_NS6detail17trampoline_kernelINS0_14default_configENS1_36segmented_radix_sort_config_selectorIblEEZNS1_25segmented_radix_sort_implIS3_Lb0EPKbPbPKlPlN2at6native12_GLOBAL__N_18offset_tEEE10hipError_tPvRmT1_PNSt15iterator_traitsISK_E10value_typeET2_T3_PNSL_ISQ_E10value_typeET4_jRbjT5_SW_jjP12ihipStream_tbEUlT_E_NS1_11comp_targetILNS1_3genE9ELNS1_11target_archE1100ELNS1_3gpuE3ELNS1_3repE0EEENS1_30default_config_static_selectorELNS0_4arch9wavefront6targetE0EEEvSK_.has_dyn_sized_stack, 0
	.set _ZN7rocprim17ROCPRIM_400000_NS6detail17trampoline_kernelINS0_14default_configENS1_36segmented_radix_sort_config_selectorIblEEZNS1_25segmented_radix_sort_implIS3_Lb0EPKbPbPKlPlN2at6native12_GLOBAL__N_18offset_tEEE10hipError_tPvRmT1_PNSt15iterator_traitsISK_E10value_typeET2_T3_PNSL_ISQ_E10value_typeET4_jRbjT5_SW_jjP12ihipStream_tbEUlT_E_NS1_11comp_targetILNS1_3genE9ELNS1_11target_archE1100ELNS1_3gpuE3ELNS1_3repE0EEENS1_30default_config_static_selectorELNS0_4arch9wavefront6targetE0EEEvSK_.has_recursion, 0
	.set _ZN7rocprim17ROCPRIM_400000_NS6detail17trampoline_kernelINS0_14default_configENS1_36segmented_radix_sort_config_selectorIblEEZNS1_25segmented_radix_sort_implIS3_Lb0EPKbPbPKlPlN2at6native12_GLOBAL__N_18offset_tEEE10hipError_tPvRmT1_PNSt15iterator_traitsISK_E10value_typeET2_T3_PNSL_ISQ_E10value_typeET4_jRbjT5_SW_jjP12ihipStream_tbEUlT_E_NS1_11comp_targetILNS1_3genE9ELNS1_11target_archE1100ELNS1_3gpuE3ELNS1_3repE0EEENS1_30default_config_static_selectorELNS0_4arch9wavefront6targetE0EEEvSK_.has_indirect_call, 0
	.section	.AMDGPU.csdata,"",@progbits
; Kernel info:
; codeLenInByte = 0
; TotalNumSgprs: 0
; NumVgprs: 0
; ScratchSize: 0
; MemoryBound: 0
; FloatMode: 240
; IeeeMode: 1
; LDSByteSize: 0 bytes/workgroup (compile time only)
; SGPRBlocks: 0
; VGPRBlocks: 0
; NumSGPRsForWavesPerEU: 1
; NumVGPRsForWavesPerEU: 1
; NamedBarCnt: 0
; Occupancy: 16
; WaveLimiterHint : 0
; COMPUTE_PGM_RSRC2:SCRATCH_EN: 0
; COMPUTE_PGM_RSRC2:USER_SGPR: 2
; COMPUTE_PGM_RSRC2:TRAP_HANDLER: 0
; COMPUTE_PGM_RSRC2:TGID_X_EN: 1
; COMPUTE_PGM_RSRC2:TGID_Y_EN: 0
; COMPUTE_PGM_RSRC2:TGID_Z_EN: 0
; COMPUTE_PGM_RSRC2:TIDIG_COMP_CNT: 0
	.section	.text._ZN7rocprim17ROCPRIM_400000_NS6detail17trampoline_kernelINS0_14default_configENS1_36segmented_radix_sort_config_selectorIblEEZNS1_25segmented_radix_sort_implIS3_Lb0EPKbPbPKlPlN2at6native12_GLOBAL__N_18offset_tEEE10hipError_tPvRmT1_PNSt15iterator_traitsISK_E10value_typeET2_T3_PNSL_ISQ_E10value_typeET4_jRbjT5_SW_jjP12ihipStream_tbEUlT_E_NS1_11comp_targetILNS1_3genE8ELNS1_11target_archE1030ELNS1_3gpuE2ELNS1_3repE0EEENS1_30default_config_static_selectorELNS0_4arch9wavefront6targetE0EEEvSK_,"axG",@progbits,_ZN7rocprim17ROCPRIM_400000_NS6detail17trampoline_kernelINS0_14default_configENS1_36segmented_radix_sort_config_selectorIblEEZNS1_25segmented_radix_sort_implIS3_Lb0EPKbPbPKlPlN2at6native12_GLOBAL__N_18offset_tEEE10hipError_tPvRmT1_PNSt15iterator_traitsISK_E10value_typeET2_T3_PNSL_ISQ_E10value_typeET4_jRbjT5_SW_jjP12ihipStream_tbEUlT_E_NS1_11comp_targetILNS1_3genE8ELNS1_11target_archE1030ELNS1_3gpuE2ELNS1_3repE0EEENS1_30default_config_static_selectorELNS0_4arch9wavefront6targetE0EEEvSK_,comdat
	.globl	_ZN7rocprim17ROCPRIM_400000_NS6detail17trampoline_kernelINS0_14default_configENS1_36segmented_radix_sort_config_selectorIblEEZNS1_25segmented_radix_sort_implIS3_Lb0EPKbPbPKlPlN2at6native12_GLOBAL__N_18offset_tEEE10hipError_tPvRmT1_PNSt15iterator_traitsISK_E10value_typeET2_T3_PNSL_ISQ_E10value_typeET4_jRbjT5_SW_jjP12ihipStream_tbEUlT_E_NS1_11comp_targetILNS1_3genE8ELNS1_11target_archE1030ELNS1_3gpuE2ELNS1_3repE0EEENS1_30default_config_static_selectorELNS0_4arch9wavefront6targetE0EEEvSK_ ; -- Begin function _ZN7rocprim17ROCPRIM_400000_NS6detail17trampoline_kernelINS0_14default_configENS1_36segmented_radix_sort_config_selectorIblEEZNS1_25segmented_radix_sort_implIS3_Lb0EPKbPbPKlPlN2at6native12_GLOBAL__N_18offset_tEEE10hipError_tPvRmT1_PNSt15iterator_traitsISK_E10value_typeET2_T3_PNSL_ISQ_E10value_typeET4_jRbjT5_SW_jjP12ihipStream_tbEUlT_E_NS1_11comp_targetILNS1_3genE8ELNS1_11target_archE1030ELNS1_3gpuE2ELNS1_3repE0EEENS1_30default_config_static_selectorELNS0_4arch9wavefront6targetE0EEEvSK_
	.p2align	8
	.type	_ZN7rocprim17ROCPRIM_400000_NS6detail17trampoline_kernelINS0_14default_configENS1_36segmented_radix_sort_config_selectorIblEEZNS1_25segmented_radix_sort_implIS3_Lb0EPKbPbPKlPlN2at6native12_GLOBAL__N_18offset_tEEE10hipError_tPvRmT1_PNSt15iterator_traitsISK_E10value_typeET2_T3_PNSL_ISQ_E10value_typeET4_jRbjT5_SW_jjP12ihipStream_tbEUlT_E_NS1_11comp_targetILNS1_3genE8ELNS1_11target_archE1030ELNS1_3gpuE2ELNS1_3repE0EEENS1_30default_config_static_selectorELNS0_4arch9wavefront6targetE0EEEvSK_,@function
_ZN7rocprim17ROCPRIM_400000_NS6detail17trampoline_kernelINS0_14default_configENS1_36segmented_radix_sort_config_selectorIblEEZNS1_25segmented_radix_sort_implIS3_Lb0EPKbPbPKlPlN2at6native12_GLOBAL__N_18offset_tEEE10hipError_tPvRmT1_PNSt15iterator_traitsISK_E10value_typeET2_T3_PNSL_ISQ_E10value_typeET4_jRbjT5_SW_jjP12ihipStream_tbEUlT_E_NS1_11comp_targetILNS1_3genE8ELNS1_11target_archE1030ELNS1_3gpuE2ELNS1_3repE0EEENS1_30default_config_static_selectorELNS0_4arch9wavefront6targetE0EEEvSK_: ; @_ZN7rocprim17ROCPRIM_400000_NS6detail17trampoline_kernelINS0_14default_configENS1_36segmented_radix_sort_config_selectorIblEEZNS1_25segmented_radix_sort_implIS3_Lb0EPKbPbPKlPlN2at6native12_GLOBAL__N_18offset_tEEE10hipError_tPvRmT1_PNSt15iterator_traitsISK_E10value_typeET2_T3_PNSL_ISQ_E10value_typeET4_jRbjT5_SW_jjP12ihipStream_tbEUlT_E_NS1_11comp_targetILNS1_3genE8ELNS1_11target_archE1030ELNS1_3gpuE2ELNS1_3repE0EEENS1_30default_config_static_selectorELNS0_4arch9wavefront6targetE0EEEvSK_
; %bb.0:
	.section	.rodata,"a",@progbits
	.p2align	6, 0x0
	.amdhsa_kernel _ZN7rocprim17ROCPRIM_400000_NS6detail17trampoline_kernelINS0_14default_configENS1_36segmented_radix_sort_config_selectorIblEEZNS1_25segmented_radix_sort_implIS3_Lb0EPKbPbPKlPlN2at6native12_GLOBAL__N_18offset_tEEE10hipError_tPvRmT1_PNSt15iterator_traitsISK_E10value_typeET2_T3_PNSL_ISQ_E10value_typeET4_jRbjT5_SW_jjP12ihipStream_tbEUlT_E_NS1_11comp_targetILNS1_3genE8ELNS1_11target_archE1030ELNS1_3gpuE2ELNS1_3repE0EEENS1_30default_config_static_selectorELNS0_4arch9wavefront6targetE0EEEvSK_
		.amdhsa_group_segment_fixed_size 0
		.amdhsa_private_segment_fixed_size 0
		.amdhsa_kernarg_size 96
		.amdhsa_user_sgpr_count 2
		.amdhsa_user_sgpr_dispatch_ptr 0
		.amdhsa_user_sgpr_queue_ptr 0
		.amdhsa_user_sgpr_kernarg_segment_ptr 1
		.amdhsa_user_sgpr_dispatch_id 0
		.amdhsa_user_sgpr_kernarg_preload_length 0
		.amdhsa_user_sgpr_kernarg_preload_offset 0
		.amdhsa_user_sgpr_private_segment_size 0
		.amdhsa_wavefront_size32 1
		.amdhsa_uses_dynamic_stack 0
		.amdhsa_enable_private_segment 0
		.amdhsa_system_sgpr_workgroup_id_x 1
		.amdhsa_system_sgpr_workgroup_id_y 0
		.amdhsa_system_sgpr_workgroup_id_z 0
		.amdhsa_system_sgpr_workgroup_info 0
		.amdhsa_system_vgpr_workitem_id 0
		.amdhsa_next_free_vgpr 1
		.amdhsa_next_free_sgpr 1
		.amdhsa_named_barrier_count 0
		.amdhsa_reserve_vcc 0
		.amdhsa_float_round_mode_32 0
		.amdhsa_float_round_mode_16_64 0
		.amdhsa_float_denorm_mode_32 3
		.amdhsa_float_denorm_mode_16_64 3
		.amdhsa_fp16_overflow 0
		.amdhsa_memory_ordered 1
		.amdhsa_forward_progress 1
		.amdhsa_inst_pref_size 0
		.amdhsa_round_robin_scheduling 0
		.amdhsa_exception_fp_ieee_invalid_op 0
		.amdhsa_exception_fp_denorm_src 0
		.amdhsa_exception_fp_ieee_div_zero 0
		.amdhsa_exception_fp_ieee_overflow 0
		.amdhsa_exception_fp_ieee_underflow 0
		.amdhsa_exception_fp_ieee_inexact 0
		.amdhsa_exception_int_div_zero 0
	.end_amdhsa_kernel
	.section	.text._ZN7rocprim17ROCPRIM_400000_NS6detail17trampoline_kernelINS0_14default_configENS1_36segmented_radix_sort_config_selectorIblEEZNS1_25segmented_radix_sort_implIS3_Lb0EPKbPbPKlPlN2at6native12_GLOBAL__N_18offset_tEEE10hipError_tPvRmT1_PNSt15iterator_traitsISK_E10value_typeET2_T3_PNSL_ISQ_E10value_typeET4_jRbjT5_SW_jjP12ihipStream_tbEUlT_E_NS1_11comp_targetILNS1_3genE8ELNS1_11target_archE1030ELNS1_3gpuE2ELNS1_3repE0EEENS1_30default_config_static_selectorELNS0_4arch9wavefront6targetE0EEEvSK_,"axG",@progbits,_ZN7rocprim17ROCPRIM_400000_NS6detail17trampoline_kernelINS0_14default_configENS1_36segmented_radix_sort_config_selectorIblEEZNS1_25segmented_radix_sort_implIS3_Lb0EPKbPbPKlPlN2at6native12_GLOBAL__N_18offset_tEEE10hipError_tPvRmT1_PNSt15iterator_traitsISK_E10value_typeET2_T3_PNSL_ISQ_E10value_typeET4_jRbjT5_SW_jjP12ihipStream_tbEUlT_E_NS1_11comp_targetILNS1_3genE8ELNS1_11target_archE1030ELNS1_3gpuE2ELNS1_3repE0EEENS1_30default_config_static_selectorELNS0_4arch9wavefront6targetE0EEEvSK_,comdat
.Lfunc_end1635:
	.size	_ZN7rocprim17ROCPRIM_400000_NS6detail17trampoline_kernelINS0_14default_configENS1_36segmented_radix_sort_config_selectorIblEEZNS1_25segmented_radix_sort_implIS3_Lb0EPKbPbPKlPlN2at6native12_GLOBAL__N_18offset_tEEE10hipError_tPvRmT1_PNSt15iterator_traitsISK_E10value_typeET2_T3_PNSL_ISQ_E10value_typeET4_jRbjT5_SW_jjP12ihipStream_tbEUlT_E_NS1_11comp_targetILNS1_3genE8ELNS1_11target_archE1030ELNS1_3gpuE2ELNS1_3repE0EEENS1_30default_config_static_selectorELNS0_4arch9wavefront6targetE0EEEvSK_, .Lfunc_end1635-_ZN7rocprim17ROCPRIM_400000_NS6detail17trampoline_kernelINS0_14default_configENS1_36segmented_radix_sort_config_selectorIblEEZNS1_25segmented_radix_sort_implIS3_Lb0EPKbPbPKlPlN2at6native12_GLOBAL__N_18offset_tEEE10hipError_tPvRmT1_PNSt15iterator_traitsISK_E10value_typeET2_T3_PNSL_ISQ_E10value_typeET4_jRbjT5_SW_jjP12ihipStream_tbEUlT_E_NS1_11comp_targetILNS1_3genE8ELNS1_11target_archE1030ELNS1_3gpuE2ELNS1_3repE0EEENS1_30default_config_static_selectorELNS0_4arch9wavefront6targetE0EEEvSK_
                                        ; -- End function
	.set _ZN7rocprim17ROCPRIM_400000_NS6detail17trampoline_kernelINS0_14default_configENS1_36segmented_radix_sort_config_selectorIblEEZNS1_25segmented_radix_sort_implIS3_Lb0EPKbPbPKlPlN2at6native12_GLOBAL__N_18offset_tEEE10hipError_tPvRmT1_PNSt15iterator_traitsISK_E10value_typeET2_T3_PNSL_ISQ_E10value_typeET4_jRbjT5_SW_jjP12ihipStream_tbEUlT_E_NS1_11comp_targetILNS1_3genE8ELNS1_11target_archE1030ELNS1_3gpuE2ELNS1_3repE0EEENS1_30default_config_static_selectorELNS0_4arch9wavefront6targetE0EEEvSK_.num_vgpr, 0
	.set _ZN7rocprim17ROCPRIM_400000_NS6detail17trampoline_kernelINS0_14default_configENS1_36segmented_radix_sort_config_selectorIblEEZNS1_25segmented_radix_sort_implIS3_Lb0EPKbPbPKlPlN2at6native12_GLOBAL__N_18offset_tEEE10hipError_tPvRmT1_PNSt15iterator_traitsISK_E10value_typeET2_T3_PNSL_ISQ_E10value_typeET4_jRbjT5_SW_jjP12ihipStream_tbEUlT_E_NS1_11comp_targetILNS1_3genE8ELNS1_11target_archE1030ELNS1_3gpuE2ELNS1_3repE0EEENS1_30default_config_static_selectorELNS0_4arch9wavefront6targetE0EEEvSK_.num_agpr, 0
	.set _ZN7rocprim17ROCPRIM_400000_NS6detail17trampoline_kernelINS0_14default_configENS1_36segmented_radix_sort_config_selectorIblEEZNS1_25segmented_radix_sort_implIS3_Lb0EPKbPbPKlPlN2at6native12_GLOBAL__N_18offset_tEEE10hipError_tPvRmT1_PNSt15iterator_traitsISK_E10value_typeET2_T3_PNSL_ISQ_E10value_typeET4_jRbjT5_SW_jjP12ihipStream_tbEUlT_E_NS1_11comp_targetILNS1_3genE8ELNS1_11target_archE1030ELNS1_3gpuE2ELNS1_3repE0EEENS1_30default_config_static_selectorELNS0_4arch9wavefront6targetE0EEEvSK_.numbered_sgpr, 0
	.set _ZN7rocprim17ROCPRIM_400000_NS6detail17trampoline_kernelINS0_14default_configENS1_36segmented_radix_sort_config_selectorIblEEZNS1_25segmented_radix_sort_implIS3_Lb0EPKbPbPKlPlN2at6native12_GLOBAL__N_18offset_tEEE10hipError_tPvRmT1_PNSt15iterator_traitsISK_E10value_typeET2_T3_PNSL_ISQ_E10value_typeET4_jRbjT5_SW_jjP12ihipStream_tbEUlT_E_NS1_11comp_targetILNS1_3genE8ELNS1_11target_archE1030ELNS1_3gpuE2ELNS1_3repE0EEENS1_30default_config_static_selectorELNS0_4arch9wavefront6targetE0EEEvSK_.num_named_barrier, 0
	.set _ZN7rocprim17ROCPRIM_400000_NS6detail17trampoline_kernelINS0_14default_configENS1_36segmented_radix_sort_config_selectorIblEEZNS1_25segmented_radix_sort_implIS3_Lb0EPKbPbPKlPlN2at6native12_GLOBAL__N_18offset_tEEE10hipError_tPvRmT1_PNSt15iterator_traitsISK_E10value_typeET2_T3_PNSL_ISQ_E10value_typeET4_jRbjT5_SW_jjP12ihipStream_tbEUlT_E_NS1_11comp_targetILNS1_3genE8ELNS1_11target_archE1030ELNS1_3gpuE2ELNS1_3repE0EEENS1_30default_config_static_selectorELNS0_4arch9wavefront6targetE0EEEvSK_.private_seg_size, 0
	.set _ZN7rocprim17ROCPRIM_400000_NS6detail17trampoline_kernelINS0_14default_configENS1_36segmented_radix_sort_config_selectorIblEEZNS1_25segmented_radix_sort_implIS3_Lb0EPKbPbPKlPlN2at6native12_GLOBAL__N_18offset_tEEE10hipError_tPvRmT1_PNSt15iterator_traitsISK_E10value_typeET2_T3_PNSL_ISQ_E10value_typeET4_jRbjT5_SW_jjP12ihipStream_tbEUlT_E_NS1_11comp_targetILNS1_3genE8ELNS1_11target_archE1030ELNS1_3gpuE2ELNS1_3repE0EEENS1_30default_config_static_selectorELNS0_4arch9wavefront6targetE0EEEvSK_.uses_vcc, 0
	.set _ZN7rocprim17ROCPRIM_400000_NS6detail17trampoline_kernelINS0_14default_configENS1_36segmented_radix_sort_config_selectorIblEEZNS1_25segmented_radix_sort_implIS3_Lb0EPKbPbPKlPlN2at6native12_GLOBAL__N_18offset_tEEE10hipError_tPvRmT1_PNSt15iterator_traitsISK_E10value_typeET2_T3_PNSL_ISQ_E10value_typeET4_jRbjT5_SW_jjP12ihipStream_tbEUlT_E_NS1_11comp_targetILNS1_3genE8ELNS1_11target_archE1030ELNS1_3gpuE2ELNS1_3repE0EEENS1_30default_config_static_selectorELNS0_4arch9wavefront6targetE0EEEvSK_.uses_flat_scratch, 0
	.set _ZN7rocprim17ROCPRIM_400000_NS6detail17trampoline_kernelINS0_14default_configENS1_36segmented_radix_sort_config_selectorIblEEZNS1_25segmented_radix_sort_implIS3_Lb0EPKbPbPKlPlN2at6native12_GLOBAL__N_18offset_tEEE10hipError_tPvRmT1_PNSt15iterator_traitsISK_E10value_typeET2_T3_PNSL_ISQ_E10value_typeET4_jRbjT5_SW_jjP12ihipStream_tbEUlT_E_NS1_11comp_targetILNS1_3genE8ELNS1_11target_archE1030ELNS1_3gpuE2ELNS1_3repE0EEENS1_30default_config_static_selectorELNS0_4arch9wavefront6targetE0EEEvSK_.has_dyn_sized_stack, 0
	.set _ZN7rocprim17ROCPRIM_400000_NS6detail17trampoline_kernelINS0_14default_configENS1_36segmented_radix_sort_config_selectorIblEEZNS1_25segmented_radix_sort_implIS3_Lb0EPKbPbPKlPlN2at6native12_GLOBAL__N_18offset_tEEE10hipError_tPvRmT1_PNSt15iterator_traitsISK_E10value_typeET2_T3_PNSL_ISQ_E10value_typeET4_jRbjT5_SW_jjP12ihipStream_tbEUlT_E_NS1_11comp_targetILNS1_3genE8ELNS1_11target_archE1030ELNS1_3gpuE2ELNS1_3repE0EEENS1_30default_config_static_selectorELNS0_4arch9wavefront6targetE0EEEvSK_.has_recursion, 0
	.set _ZN7rocprim17ROCPRIM_400000_NS6detail17trampoline_kernelINS0_14default_configENS1_36segmented_radix_sort_config_selectorIblEEZNS1_25segmented_radix_sort_implIS3_Lb0EPKbPbPKlPlN2at6native12_GLOBAL__N_18offset_tEEE10hipError_tPvRmT1_PNSt15iterator_traitsISK_E10value_typeET2_T3_PNSL_ISQ_E10value_typeET4_jRbjT5_SW_jjP12ihipStream_tbEUlT_E_NS1_11comp_targetILNS1_3genE8ELNS1_11target_archE1030ELNS1_3gpuE2ELNS1_3repE0EEENS1_30default_config_static_selectorELNS0_4arch9wavefront6targetE0EEEvSK_.has_indirect_call, 0
	.section	.AMDGPU.csdata,"",@progbits
; Kernel info:
; codeLenInByte = 0
; TotalNumSgprs: 0
; NumVgprs: 0
; ScratchSize: 0
; MemoryBound: 0
; FloatMode: 240
; IeeeMode: 1
; LDSByteSize: 0 bytes/workgroup (compile time only)
; SGPRBlocks: 0
; VGPRBlocks: 0
; NumSGPRsForWavesPerEU: 1
; NumVGPRsForWavesPerEU: 1
; NamedBarCnt: 0
; Occupancy: 16
; WaveLimiterHint : 0
; COMPUTE_PGM_RSRC2:SCRATCH_EN: 0
; COMPUTE_PGM_RSRC2:USER_SGPR: 2
; COMPUTE_PGM_RSRC2:TRAP_HANDLER: 0
; COMPUTE_PGM_RSRC2:TGID_X_EN: 1
; COMPUTE_PGM_RSRC2:TGID_Y_EN: 0
; COMPUTE_PGM_RSRC2:TGID_Z_EN: 0
; COMPUTE_PGM_RSRC2:TIDIG_COMP_CNT: 0
	.text
	.p2align	2                               ; -- Begin function _ZN7rocprim17ROCPRIM_400000_NS6detail26segmented_warp_sort_helperINS1_20WarpSortHelperConfigILj32ELj4ELj256EEEblLi256ELb0EvE4sortIPKbPbPKlPlEEvT_T0_T1_T2_jjjjRNS5_12storage_typeE
	.type	_ZN7rocprim17ROCPRIM_400000_NS6detail26segmented_warp_sort_helperINS1_20WarpSortHelperConfigILj32ELj4ELj256EEEblLi256ELb0EvE4sortIPKbPbPKlPlEEvT_T0_T1_T2_jjjjRNS5_12storage_typeE,@function
_ZN7rocprim17ROCPRIM_400000_NS6detail26segmented_warp_sort_helperINS1_20WarpSortHelperConfigILj32ELj4ELj256EEEblLi256ELb0EvE4sortIPKbPbPKlPlEEvT_T0_T1_T2_jjjjRNS5_12storage_typeE: ; @_ZN7rocprim17ROCPRIM_400000_NS6detail26segmented_warp_sort_helperINS1_20WarpSortHelperConfigILj32ELj4ELj256EEEblLi256ELb0EvE4sortIPKbPbPKlPlEEvT_T0_T1_T2_jjjjRNS5_12storage_typeE
; %bb.0:
	s_wait_loadcnt_dscnt 0x0
	s_wait_kmcnt 0x0
	v_dual_mov_b32 v14, v9 :: v_dual_mov_b32 v9, 0
	v_mbcnt_lo_u32_b32 v15, -1, 0
	v_dual_mov_b32 v34, 1 :: v_dual_mov_b32 v30, 1
	s_delay_alu instid0(VALU_DEP_3) | instskip(NEXT) | instid1(VALU_DEP_4)
	v_sub_nc_u32_e32 v16, v14, v8
	v_add_nc_u64_e32 v[18:19], v[0:1], v[8:9]
	s_delay_alu instid0(VALU_DEP_4) | instskip(NEXT) | instid1(VALU_DEP_1)
	v_dual_mov_b32 v1, v9 :: v_dual_lshlrev_b32 v0, 2, v15
	v_cmp_lt_u32_e32 vcc_lo, v0, v16
	s_delay_alu instid0(VALU_DEP_2)
	v_add_nc_u64_e32 v[14:15], v[18:19], v[0:1]
	s_and_saveexec_b32 s0, vcc_lo
	s_cbranch_execz .LBB1636_2
; %bb.1:
	flat_load_u8 v34, v[14:15]
.LBB1636_2:
	s_wait_xcnt 0x0
	s_or_b32 exec_lo, exec_lo, s0
	v_or_b32_e32 v17, 1, v0
	s_delay_alu instid0(VALU_DEP_1)
	v_cmp_lt_u32_e64 s0, v17, v16
	s_and_saveexec_b32 s1, s0
	s_cbranch_execz .LBB1636_4
; %bb.3:
	flat_load_u8 v30, v[14:15] offset:1
.LBB1636_4:
	s_wait_xcnt 0x0
	s_or_b32 exec_lo, exec_lo, s1
	v_dual_mov_b32 v32, 1 :: v_dual_bitop2_b32 v17, 2, v0 bitop3:0x54
	v_mov_b32_e32 v33, 1
	s_delay_alu instid0(VALU_DEP_2)
	v_cmp_lt_u32_e64 s1, v17, v16
	s_and_saveexec_b32 s2, s1
	s_cbranch_execz .LBB1636_6
; %bb.5:
	flat_load_u8 v33, v[14:15] offset:2
.LBB1636_6:
	s_wait_xcnt 0x0
	s_or_b32 exec_lo, exec_lo, s2
	v_or_b32_e32 v17, 3, v0
	s_delay_alu instid0(VALU_DEP_1)
	v_cmp_lt_u32_e64 s2, v17, v16
	s_and_saveexec_b32 s3, s2
	s_cbranch_execz .LBB1636_8
; %bb.7:
	flat_load_u8 v32, v[14:15] offset:3
.LBB1636_8:
	s_wait_xcnt 0x0
	s_or_b32 exec_lo, exec_lo, s3
	v_lshl_add_u64 v[14:15], v[8:9], 3, v[4:5]
	v_dual_mov_b32 v5, 0 :: v_dual_lshlrev_b32 v4, 3, v0
	v_mov_b64_e32 v[22:23], 0
	; wave barrier
	s_delay_alu instid0(VALU_DEP_2)
	v_add_nc_u64_e32 v[18:19], v[14:15], v[4:5]
	v_mov_b64_e32 v[14:15], 0
	s_and_saveexec_b32 s3, vcc_lo
	s_cbranch_execz .LBB1636_10
; %bb.9:
	flat_load_b64 v[14:15], v[18:19]
.LBB1636_10:
	s_wait_xcnt 0x0
	s_or_b32 exec_lo, exec_lo, s3
	s_mov_b32 s3, 0
	s_delay_alu instid0(SALU_CYCLE_1)
	v_dual_mov_b32 v28, s3 :: v_dual_mov_b32 v29, s3
	v_dual_mov_b32 v24, s3 :: v_dual_mov_b32 v25, s3
	;; [unrolled: 1-line block ×3, first 2 shown]
	s_and_saveexec_b32 s4, s0
	s_cbranch_execz .LBB1636_12
; %bb.11:
	flat_load_b64 v[28:29], v[18:19] offset:8
	v_dual_mov_b32 v24, s3 :: v_dual_mov_b32 v25, s3
	v_dual_mov_b32 v26, s3 :: v_dual_mov_b32 v27, s3
	s_wait_loadcnt_dscnt 0x0
	v_mov_b64_e32 v[22:23], v[28:29]
.LBB1636_12:
	s_wait_xcnt 0x0
	s_or_b32 exec_lo, exec_lo, s4
	v_mov_b64_e32 v[20:21], 0
	v_mov_b64_e32 v[16:17], 0
	s_and_saveexec_b32 s3, s1
	s_cbranch_execz .LBB1636_14
; %bb.13:
	flat_load_b64 v[24:25], v[18:19] offset:16
	s_mov_b32 s4, 0
	s_delay_alu instid0(SALU_CYCLE_1)
	v_dual_mov_b32 v26, s4 :: v_dual_mov_b32 v27, s4
	s_wait_loadcnt_dscnt 0x0
	v_mov_b64_e32 v[16:17], v[24:25]
.LBB1636_14:
	s_wait_xcnt 0x0
	s_or_b32 exec_lo, exec_lo, s3
	s_and_saveexec_b32 s3, s2
	s_cbranch_execz .LBB1636_16
; %bb.15:
	flat_load_b64 v[26:27], v[18:19] offset:24
	s_wait_loadcnt_dscnt 0x0
	v_mov_b64_e32 v[20:21], v[26:27]
.LBB1636_16:
	s_wait_xcnt 0x0
	s_or_b32 exec_lo, exec_lo, s3
	v_cmp_ne_u32_e64 s3, 0, v10
	v_cmp_ne_u32_e64 s4, 8, v11
	v_bfe_u32 v5, v31, 10, 10
	v_bfe_u32 v19, v31, 20, 10
	v_and_b32_e32 v18, 0x3ff, v31
	s_mov_b32 s5, 0
	s_or_b32 s3, s3, s4
	s_getreg_b32 s11, hwreg(HW_REG_IB_STS2, 6, 4)
	; wave barrier
	s_and_saveexec_b32 s4, s3
	s_delay_alu instid0(SALU_CYCLE_1)
	s_xor_b32 s12, exec_lo, s4
	s_cbranch_execz .LBB1636_78
; %bb.17:
	v_cmp_ne_u32_e64 s3, 0, v11
	v_cmp_ne_u32_e64 s4, 0, v10
	s_load_b64 s[6:7], s[8:9], 0x0
	s_bfe_u32 s13, ttmp6, 0x40010
	s_and_b32 s10, ttmp7, 0xffff
	s_add_co_i32 s13, s13, 1
	s_xor_b32 s3, s4, s3
	s_bfe_u32 s4, ttmp6, 0x4000c
	v_cndmask_b32_e64 v10, 0, 1, s3
	s_add_co_i32 s4, s4, 1
	s_and_b32 s3, ttmp6, 15
	s_bfe_u32 s14, ttmp6, 0x40004
	s_mul_i32 s4, ttmp9, s4
	s_clause 0x1
	scratch_store_b8 off, v10, s32 offset:6
	scratch_load_u8 v10, off, s32 offset:6
	s_mul_i32 s13, s10, s13
	s_add_co_i32 s3, s3, s4
	s_add_co_i32 s14, s14, s13
	s_cmp_eq_u32 s11, 0
	s_cselect_b32 s3, ttmp9, s3
	s_cselect_b32 s10, s10, s14
	s_wait_kmcnt 0x0
	s_cmp_lt_u32 s3, s6
	s_cselect_b32 s4, 12, 18
	s_cmp_lt_u32 s10, s7
	s_mov_b32 s7, s5
	s_cselect_b32 s6, 14, 20
	s_add_nc_u64 s[4:5], s[8:9], s[4:5]
	s_add_nc_u64 s[6:7], s[8:9], s[6:7]
	s_load_u16 s4, s[4:5], 0x0
	s_wait_loadcnt 0x0
	v_and_b32_e32 v10, 1, v10
	s_load_u16 s3, s[6:7], 0x0
	s_wait_xcnt 0x0
	s_mov_b32 s6, exec_lo
	s_delay_alu instid0(VALU_DEP_1)
	v_and_b32_e32 v11, 1, v10
	s_clause 0x1
	scratch_store_b8 off, v10, s32 offset:5
	scratch_store_b8 off, v11, s32 offset:4
	s_wait_kmcnt 0x0
	v_mad_u32_u24 v5, v19, s3, v5
	v_cmp_eq_u32_e64 s3, 1, v10
	s_delay_alu instid0(VALU_DEP_2) | instskip(NEXT) | instid1(VALU_DEP_1)
	v_mul_lo_u32 v5, v5, s4
	v_add_lshl_u32 v5, v5, v18, 2
	s_wait_xcnt 0x0
	s_delay_alu instid0(VALU_DEP_1)
	v_cmpx_gt_u32_e32 0x400, v5
	s_cbranch_execz .LBB1636_27
; %bb.18:
	scratch_load_u8 v10, off, s32 offset:4
	v_mov_b64_e32 v[18:19], v[24:25]
	s_wait_loadcnt_dscnt 0x0
	v_bitop3_b16 v11, v10, 1, v30 bitop3:0x80
	v_bitop3_b16 v16, v10, 1, v34 bitop3:0x80
	;; [unrolled: 1-line block ×4, first 2 shown]
	s_delay_alu instid0(VALU_DEP_3) | instskip(SKIP_1) | instid1(VALU_DEP_3)
	v_cmp_gt_u16_e64 s4, v16, v11
	v_and_b32_e32 v22, v10, v33
	v_cmp_gt_u16_e64 s5, v21, v20
	v_mov_b64_e32 v[20:21], v[26:27]
	s_delay_alu instid0(VALU_DEP_4)
	v_dual_cndmask_b32 v17, v29, v15, s4 :: v_dual_cndmask_b32 v16, v28, v14, s4
	v_dual_cndmask_b32 v15, v15, v29, s4 :: v_dual_cndmask_b32 v14, v14, v28, s4
	s_wait_xcnt 0x0
	s_and_saveexec_b32 s7, s5
; %bb.19:
	v_mov_b64_e32 v[18:19], v[26:27]
	v_mov_b64_e32 v[20:21], v[24:25]
	v_dual_mov_b32 v22, 0 :: v_dual_mov_b32 v33, v32
	v_mov_b32_e32 v32, 1
; %bb.20:
	s_or_b32 exec_lo, exec_lo, s7
	v_cndmask_b32_e64 v11, v30, 1, s4
	s_delay_alu instid0(VALU_DEP_3) | instskip(NEXT) | instid1(VALU_DEP_2)
	v_and_b32_e32 v24, 0xff, v22
	v_bitop3_b16 v23, v11, 0xff, v10 bitop3:0x80
	v_and_b32_e32 v22, v11, v10
	s_delay_alu instid0(VALU_DEP_2) | instskip(SKIP_1) | instid1(SALU_CYCLE_1)
	v_cmp_gt_u16_e64 s5, v23, v24
	s_and_saveexec_b32 s7, s5
	s_xor_b32 s5, exec_lo, s7
	s_cbranch_execz .LBB1636_22
; %bb.21:
	v_mov_b64_e32 v[54:55], v[20:21]
	v_mov_b64_e32 v[48:49], v[14:15]
	;; [unrolled: 1-line block ×4, first 2 shown]
	v_dual_mov_b32 v50, v18 :: v_dual_mov_b32 v51, v19
	v_dual_mov_b32 v52, v16 :: v_dual_mov_b32 v53, v17
	;; [unrolled: 1-line block ×3, first 2 shown]
	v_mov_b64_e32 v[14:15], v[48:49]
	s_delay_alu instid0(VALU_DEP_4) | instskip(NEXT) | instid1(VALU_DEP_4)
	v_mov_b64_e32 v[16:17], v[50:51]
	v_mov_b64_e32 v[18:19], v[52:53]
	v_dual_mov_b32 v22, 0 :: v_dual_mov_b32 v11, v33
	v_mov_b64_e32 v[20:21], v[54:55]
	v_mov_b32_e32 v33, 1
.LBB1636_22:
	s_or_b32 exec_lo, exec_lo, s5
	v_cndmask_b32_e64 v24, v34, v30, s4
	v_and_b32_e32 v22, 0xff, v22
	v_bitop3_b16 v26, v32, 0xff, v10 bitop3:0x80
	v_bitop3_b16 v27, v33, 0xff, v10 bitop3:0x80
	s_mov_b32 s7, exec_lo
	v_bitop3_b16 v23, v24, 0xff, v10 bitop3:0x80
	s_delay_alu instid0(VALU_DEP_1) | instskip(SKIP_1) | instid1(VALU_DEP_2)
	v_cmp_gt_u16_e64 s4, v23, v22
	v_and_b32_e32 v25, v33, v10
	v_dual_cndmask_b32 v23, v17, v15, s4 :: v_dual_cndmask_b32 v22, v16, v14, s4
	v_dual_cndmask_b32 v14, v14, v16, s4 :: v_dual_cndmask_b32 v15, v15, v17, s4
	v_cmpx_gt_u16_e64 v27, v26
; %bb.23:
	v_mov_b64_e32 v[16:17], v[18:19]
	v_mov_b64_e32 v[18:19], v[20:21]
	v_dual_mov_b32 v25, 0 :: v_dual_mov_b32 v33, v32
	v_mov_b32_e32 v32, 1
	s_delay_alu instid0(VALU_DEP_4)
	v_mov_b64_e32 v[20:21], v[16:17]
; %bb.24:
	s_or_b32 exec_lo, exec_lo, s7
	v_cndmask_b32_e64 v30, v11, 1, s4
	v_and_b32_e32 v16, 0xff, v25
	s_delay_alu instid0(VALU_DEP_2) | instskip(NEXT) | instid1(VALU_DEP_1)
	v_bitop3_b16 v10, v30, 0xff, v10 bitop3:0x80
	v_cmp_gt_u16_e64 s5, v10, v16
	v_mov_b64_e32 v[16:17], v[18:19]
	s_and_saveexec_b32 s7, s5
; %bb.25:
	v_dual_mov_b32 v10, 1 :: v_dual_mov_b32 v30, v33
	v_mov_b64_e32 v[16:17], v[22:23]
	v_mov_b64_e32 v[22:23], v[18:19]
	s_delay_alu instid0(VALU_DEP_3)
	v_mov_b32_e32 v33, v10
; %bb.26:
	s_or_b32 exec_lo, exec_lo, s7
	v_cndmask_b32_e64 v34, v24, v11, s4
.LBB1636_27:
	s_or_b32 exec_lo, exec_lo, s6
	v_and_b32_e32 v24, 0xffffff80, v5
	v_dual_mov_b32 v25, 0 :: v_dual_bitop2_b32 v18, 4, v0 bitop3:0x54
	s_mov_b32 s5, exec_lo
	s_delay_alu instid0(VALU_DEP_1) | instskip(NEXT) | instid1(VALU_DEP_1)
	v_add_nc_u64_e32 v[12:13], v[12:13], v[24:25]
	v_mad_nc_u64_u32 v[10:11], v24, 7, v[12:13]
	v_cndmask_b32_e64 v11, 0, 1, s3
	v_add_nc_u32_e32 v5, v12, v0
	scratch_store_b8 off, v11, s32 offset:3
	s_wait_xcnt 0x0
	v_sub_nc_u32_e64 v11, 0x400, v24 clamp
	v_and_b32_e32 v24, 0x78, v0
	v_lshl_add_u32 v48, v0, 3, v10
	s_wait_dscnt 0x0
	ds_store_b8 v5, v34
	ds_store_b8 v5, v30 offset:1
	ds_store_b8 v5, v33 offset:2
	;; [unrolled: 1-line block ×3, first 2 shown]
	ds_store_2addr_b64 v48, v[14:15], v[22:23] offset0:128 offset1:129
	ds_store_2addr_b64 v48, v[16:17], v[20:21] offset0:130 offset1:131
	; wave barrier
	scratch_load_u8 v19, off, s32 offset:3
	v_min_u32_e32 v18, v11, v18
	s_delay_alu instid0(VALU_DEP_1) | instskip(NEXT) | instid1(VALU_DEP_1)
	v_add_min_u32_e64 v49, v18, 4, v11
	v_dual_sub_nc_u32 v27, v49, v18 :: v_dual_bitop2_b32 v26, 4, v0 bitop3:0x40
	s_delay_alu instid0(VALU_DEP_1) | instskip(SKIP_1) | instid1(VALU_DEP_2)
	v_min_u32_e32 v50, v11, v26
	v_sub_nc_u32_e32 v26, v18, v24
	v_sub_nc_u32_e64 v51, v50, v27 clamp
	s_wait_loadcnt 0x0
	v_and_b32_e32 v19, 1, v19
	s_delay_alu instid0(VALU_DEP_3) | instskip(NEXT) | instid1(VALU_DEP_2)
	v_min_u32_e32 v31, v50, v26
	v_cmp_eq_u32_e64 s3, 1, v19
	scratch_store_b8 off, v19, s32 offset:2
	s_wait_xcnt 0x0
	v_cmpx_lt_u32_e64 v51, v31
	s_cbranch_execz .LBB1636_31
; %bb.28:
	scratch_load_u8 v35, off, s32 offset:2
	v_mov_b32_e32 v19, v25
	v_add_nc_u64_e32 v[26:27], v[12:13], v[24:25]
	s_mov_b32 s6, 0
	s_delay_alu instid0(VALU_DEP_2)
	v_add_nc_u64_e32 v[28:29], v[12:13], v[18:19]
.LBB1636_29:                            ; =>This Inner Loop Header: Depth=1
	v_add_nc_u32_e32 v19, v31, v51
	s_delay_alu instid0(VALU_DEP_1) | instskip(NEXT) | instid1(VALU_DEP_1)
	v_lshrrev_b32_e32 v19, 1, v19
	v_not_b32_e32 v25, v19
	v_dual_add_nc_u32 v27, v26, v19 :: v_dual_add_nc_u32 v29, 1, v19
	s_delay_alu instid0(VALU_DEP_2)
	v_add3_u32 v25, v50, v25, v28
	ds_load_u8 v27, v27
	ds_load_u8 v25, v25
	s_wait_loadcnt_dscnt 0x1
	v_bitop3_b16 v27, v27, 1, v35 bitop3:0x80
	s_wait_dscnt 0x0
	v_bitop3_b16 v25, v25, 1, v35 bitop3:0x80
	s_delay_alu instid0(VALU_DEP_1) | instskip(NEXT) | instid1(VALU_DEP_1)
	v_cmp_gt_u16_e64 s4, v27, v25
	v_cndmask_b32_e64 v31, v31, v19, s4
	v_cndmask_b32_e64 v51, v29, v51, s4
	s_delay_alu instid0(VALU_DEP_1)
	v_cmp_ge_u32_e64 s4, v51, v31
	s_or_b32 s6, s4, s6
	s_wait_xcnt 0x0
	s_and_not1_b32 exec_lo, exec_lo, s6
	s_cbranch_execnz .LBB1636_29
; %bb.30:
	s_or_b32 exec_lo, exec_lo, s6
.LBB1636_31:
	s_delay_alu instid0(SALU_CYCLE_1)
	s_or_b32 exec_lo, exec_lo, s5
	v_cndmask_b32_e64 v19, 0, 1, s3
	v_dual_add_nc_u32 v39, 3, v5 :: v_dual_add_nc_u32 v25, v18, v50
	v_add_nc_u32_e32 v26, v51, v24
	v_add_nc_u32_e32 v31, 0x400, v48
	s_clause 0x1
	scratch_store_b8 off, v19, s32 offset:1
	scratch_load_u8 v19, off, s32 offset:1
	v_sub_nc_u32_e32 v25, v25, v51
	v_cmp_le_u32_e64 s3, v26, v18
	v_dual_add_nc_u32 v35, 1, v5 :: v_dual_add_nc_u32 v37, 2, v5
	v_add_nc_u32_e32 v36, 0x408, v48
	s_delay_alu instid0(VALU_DEP_4)
	v_cmp_le_u32_e64 s4, v25, v49
	v_add_nc_u32_e32 v38, 0x410, v48
	v_add_nc_u32_e32 v48, 0x418, v48
	s_or_b32 s3, s3, s4
	s_wait_loadcnt 0x0
	v_and_b32_e32 v19, 1, v19
	scratch_store_b8 off, v19, s32
	s_wait_xcnt 0x0
	s_and_saveexec_b32 s13, s3
	s_cbranch_execz .LBB1636_37
; %bb.32:
	v_cmp_ge_u32_e64 s3, v26, v18
	s_mov_b32 s5, exec_lo
                                        ; implicit-def: $vgpr19
	v_cmpx_lt_u32_e64 v26, v18
; %bb.33:
	v_add_nc_u32_e32 v14, v12, v26
	ds_load_u8 v19, v14
; %bb.34:
	s_or_b32 exec_lo, exec_lo, s5
	v_cmp_ge_u32_e64 s4, v25, v49
	s_mov_b32 s6, exec_lo
                                        ; implicit-def: $vgpr24
	v_cmpx_lt_u32_e64 v25, v49
; %bb.35:
	v_add_nc_u32_e32 v14, v12, v25
	ds_load_u8 v24, v14
; %bb.36:
	s_or_b32 exec_lo, exec_lo, s6
	scratch_load_u8 v14, off, s32
	v_cndmask_b32_e64 v17, 0, 1, s4
	s_or_b32 s3, s3, s4
	s_wait_loadcnt_dscnt 0x0
	v_bitop3_b16 v15, v14, 1, v24 bitop3:0x80
	v_bitop3_b16 v16, v14, 1, v19 bitop3:0x80
	s_delay_alu instid0(VALU_DEP_1) | instskip(NEXT) | instid1(VALU_DEP_1)
	v_cmp_le_u16_e64 s5, v16, v15
	v_cndmask_b32_e64 v15, 0, 1, s5
	s_delay_alu instid0(VALU_DEP_1) | instskip(NEXT) | instid1(VALU_DEP_1)
	v_cndmask_b32_e64 v15, v15, v17, s3
	v_and_b32_e32 v15, 1, v15
	s_delay_alu instid0(VALU_DEP_1) | instskip(NEXT) | instid1(VALU_DEP_1)
	v_cmp_eq_u32_e64 s3, 1, v15
	v_cndmask_b32_e64 v15, v25, v26, s3
	v_dual_cndmask_b32 v16, v49, v18, s3 :: v_dual_cndmask_b32 v34, v24, v19, s3
	s_delay_alu instid0(VALU_DEP_2) | instskip(NEXT) | instid1(VALU_DEP_1)
	v_add_nc_u32_e32 v17, 1, v15
	v_add_min_u32_e64 v16, v16, -1, v17
	s_delay_alu instid0(VALU_DEP_1)
	v_add_nc_u32_e32 v16, v12, v16
	ds_load_u8 v16, v16
	s_wait_dscnt 0x0
	v_cndmask_b32_e64 v27, v16, v24, s3
	v_dual_cndmask_b32 v28, v19, v16, s3 :: v_dual_cndmask_b32 v21, v26, v17, s3
	v_cndmask_b32_e64 v17, v17, v25, s3
	v_lshl_add_u32 v15, v15, 3, v10
	s_delay_alu instid0(VALU_DEP_4) | instskip(NEXT) | instid1(VALU_DEP_4)
	v_and_b32_e32 v16, v27, v14
	v_and_b32_e32 v20, v28, v14
	v_cmp_lt_u32_e64 s4, v21, v18
	v_cmp_ge_u32_e64 s6, v17, v49
	s_delay_alu instid0(VALU_DEP_4) | instskip(NEXT) | instid1(VALU_DEP_4)
	v_and_b32_e32 v16, 0xff, v16
	v_and_b32_e32 v20, 0xff, v20
	s_delay_alu instid0(VALU_DEP_1) | instskip(SKIP_1) | instid1(SALU_CYCLE_1)
	v_cmp_le_u16_e64 s5, v20, v16
	s_and_b32 s4, s4, s5
	s_or_b32 s4, s6, s4
	s_delay_alu instid0(SALU_CYCLE_1) | instskip(NEXT) | instid1(VALU_DEP_1)
	v_cndmask_b32_e64 v16, v17, v21, s4
	v_dual_cndmask_b32 v20, v49, v18, s4 :: v_dual_add_nc_u32 v22, 1, v16
	s_delay_alu instid0(VALU_DEP_1) | instskip(SKIP_1) | instid1(VALU_DEP_2)
	v_add_min_u32_e64 v20, v20, -1, v22
	v_dual_cndmask_b32 v21, v21, v22, s4 :: v_dual_cndmask_b32 v17, v22, v17, s4
	v_add_nc_u32_e32 v20, v12, v20
	s_delay_alu instid0(VALU_DEP_2) | instskip(NEXT) | instid1(VALU_DEP_3)
	v_cmp_lt_u32_e64 s5, v21, v18
	v_cmp_ge_u32_e64 s7, v17, v49
	v_lshl_add_u32 v16, v16, 3, v10
	ds_load_u8 v20, v20
	s_wait_dscnt 0x0
	v_cndmask_b32_e64 v26, v28, v20, s4
	s_delay_alu instid0(VALU_DEP_1) | instskip(NEXT) | instid1(VALU_DEP_1)
	v_dual_cndmask_b32 v25, v20, v27, s4 :: v_dual_bitop2_b32 v23, v26, v14 bitop3:0x40
	v_and_b32_e32 v20, v25, v14
	s_delay_alu instid0(VALU_DEP_2) | instskip(NEXT) | instid1(VALU_DEP_2)
	v_and_b32_e32 v23, 0xff, v23
	v_and_b32_e32 v20, 0xff, v20
	s_delay_alu instid0(VALU_DEP_1) | instskip(SKIP_1) | instid1(SALU_CYCLE_1)
	v_cmp_le_u16_e64 s6, v23, v20
	s_and_b32 s5, s5, s6
	s_or_b32 s5, s7, s5
	s_delay_alu instid0(SALU_CYCLE_1) | instskip(SKIP_1) | instid1(VALU_DEP_1)
	v_dual_cndmask_b32 v30, v27, v28, s4 :: v_dual_cndmask_b32 v33, v25, v26, s5
	v_cndmask_b32_e64 v20, v17, v21, s5
	v_dual_cndmask_b32 v22, v49, v18, s5 :: v_dual_add_nc_u32 v23, 1, v20
	s_delay_alu instid0(VALU_DEP_1) | instskip(SKIP_1) | instid1(VALU_DEP_2)
	v_add_min_u32_e64 v22, v22, -1, v23
	v_dual_cndmask_b32 v21, v21, v23, s5 :: v_dual_cndmask_b32 v17, v23, v17, s5
	v_add_nc_u32_e32 v22, v12, v22
	s_delay_alu instid0(VALU_DEP_2) | instskip(NEXT) | instid1(VALU_DEP_3)
	v_cmp_lt_u32_e64 s6, v21, v18
	v_cmp_ge_u32_e64 s10, v17, v49
	ds_load_u8 v22, v22
	s_wait_dscnt 0x0
	v_cndmask_b32_e64 v32, v26, v22, s5
	v_cndmask_b32_e64 v29, v22, v25, s5
	s_delay_alu instid0(VALU_DEP_1) | instskip(NEXT) | instid1(VALU_DEP_3)
	v_and_b32_e32 v22, v29, v14
	v_and_b32_e32 v14, v32, v14
	s_delay_alu instid0(VALU_DEP_2) | instskip(NEXT) | instid1(VALU_DEP_2)
	v_and_b32_e32 v22, 0xff, v22
	v_and_b32_e32 v14, 0xff, v14
	s_delay_alu instid0(VALU_DEP_1) | instskip(SKIP_1) | instid1(SALU_CYCLE_1)
	v_cmp_le_u16_e64 s7, v14, v22
	s_and_b32 s6, s6, s7
	s_or_b32 s6, s10, s6
	s_delay_alu instid0(SALU_CYCLE_1) | instskip(SKIP_2) | instid1(VALU_DEP_3)
	v_cndmask_b32_e64 v14, v17, v21, s6
	v_lshl_add_u32 v17, v20, 3, v10
	v_cndmask_b32_e64 v32, v29, v32, s6
	v_lshl_add_u32 v18, v14, 3, v10
	ds_load_b64 v[14:15], v15 offset:1024
	ds_load_b64 v[22:23], v16 offset:1024
	;; [unrolled: 1-line block ×4, first 2 shown]
.LBB1636_37:
	s_wait_xcnt 0x0
	s_or_b32 exec_lo, exec_lo, s13
	; wave barrier
	ds_store_b8 v5, v34
	s_wait_dscnt 0x4
	ds_store_b64 v31, v[14:15]
	ds_store_b8 v35, v30
	s_wait_dscnt 0x5
	ds_store_b64 v36, v[22:23]
	;; [unrolled: 3-line block ×4, first 2 shown]
	; wave barrier
	scratch_load_u8 v19, off, s32 offset:3
	v_and_b32_e32 v24, 0x70, v0
	s_mov_b32 s5, exec_lo
	s_delay_alu instid0(VALU_DEP_1) | instskip(NEXT) | instid1(VALU_DEP_1)
	v_or_b32_e32 v18, 8, v24
	v_min_u32_e32 v18, v11, v18
	s_delay_alu instid0(VALU_DEP_1) | instskip(NEXT) | instid1(VALU_DEP_1)
	v_add_min_u32_e64 v49, v18, 8, v11
	v_dual_sub_nc_u32 v26, v49, v18 :: v_dual_bitop2_b32 v25, 12, v0 bitop3:0x40
	s_delay_alu instid0(VALU_DEP_1) | instskip(SKIP_1) | instid1(VALU_DEP_2)
	v_min_u32_e32 v50, v11, v25
	v_sub_nc_u32_e32 v25, v18, v24
	v_sub_nc_u32_e64 v51, v50, v26 clamp
	s_wait_loadcnt 0x0
	v_and_b32_e32 v19, 1, v19
	s_delay_alu instid0(VALU_DEP_3) | instskip(NEXT) | instid1(VALU_DEP_2)
	v_min_u32_e32 v52, v50, v25
	v_cmp_eq_u32_e64 s3, 1, v19
	scratch_store_b8 off, v19, s32 offset:2
	s_wait_xcnt 0x0
	v_cmpx_lt_u32_e64 v51, v52
	s_cbranch_execz .LBB1636_41
; %bb.38:
	scratch_load_u8 v53, off, s32 offset:2
	v_mov_b32_e32 v25, 0
	s_mov_b32 s6, 0
	s_delay_alu instid0(VALU_DEP_1) | instskip(SKIP_1) | instid1(VALU_DEP_2)
	v_mov_b32_e32 v19, v25
	v_add_nc_u64_e32 v[26:27], v[12:13], v[24:25]
	v_add_nc_u64_e32 v[28:29], v[12:13], v[18:19]
.LBB1636_39:                            ; =>This Inner Loop Header: Depth=1
	v_add_nc_u32_e32 v19, v52, v51
	s_delay_alu instid0(VALU_DEP_1) | instskip(NEXT) | instid1(VALU_DEP_1)
	v_lshrrev_b32_e32 v19, 1, v19
	v_not_b32_e32 v25, v19
	v_dual_add_nc_u32 v27, v26, v19 :: v_dual_add_nc_u32 v29, 1, v19
	s_delay_alu instid0(VALU_DEP_2)
	v_add3_u32 v25, v50, v25, v28
	ds_load_u8 v27, v27
	ds_load_u8 v25, v25
	s_wait_loadcnt_dscnt 0x1
	v_bitop3_b16 v27, v27, 1, v53 bitop3:0x80
	s_wait_dscnt 0x0
	v_bitop3_b16 v25, v25, 1, v53 bitop3:0x80
	s_delay_alu instid0(VALU_DEP_1) | instskip(NEXT) | instid1(VALU_DEP_1)
	v_cmp_gt_u16_e64 s4, v27, v25
	v_cndmask_b32_e64 v52, v52, v19, s4
	v_cndmask_b32_e64 v51, v29, v51, s4
	s_delay_alu instid0(VALU_DEP_1)
	v_cmp_ge_u32_e64 s4, v51, v52
	s_or_b32 s6, s4, s6
	s_wait_xcnt 0x0
	s_and_not1_b32 exec_lo, exec_lo, s6
	s_cbranch_execnz .LBB1636_39
; %bb.40:
	s_or_b32 exec_lo, exec_lo, s6
.LBB1636_41:
	s_delay_alu instid0(SALU_CYCLE_1)
	s_or_b32 exec_lo, exec_lo, s5
	v_cndmask_b32_e64 v19, 0, 1, s3
	v_dual_add_nc_u32 v25, v18, v50 :: v_dual_add_nc_u32 v26, v51, v24
	s_clause 0x1
	scratch_store_b8 off, v19, s32 offset:1
	scratch_load_u8 v19, off, s32 offset:1
	v_sub_nc_u32_e32 v25, v25, v51
	v_cmp_le_u32_e64 s3, v26, v18
	s_delay_alu instid0(VALU_DEP_2)
	v_cmp_le_u32_e64 s4, v25, v49
	s_or_b32 s3, s3, s4
	s_wait_loadcnt 0x0
	v_and_b32_e32 v19, 1, v19
	scratch_store_b8 off, v19, s32
	s_wait_xcnt 0x0
	s_and_saveexec_b32 s13, s3
	s_cbranch_execz .LBB1636_47
; %bb.42:
	v_cmp_ge_u32_e64 s3, v26, v18
	s_mov_b32 s5, exec_lo
                                        ; implicit-def: $vgpr19
	v_cmpx_lt_u32_e64 v26, v18
; %bb.43:
	v_add_nc_u32_e32 v14, v12, v26
	ds_load_u8 v19, v14
; %bb.44:
	s_or_b32 exec_lo, exec_lo, s5
	v_cmp_ge_u32_e64 s4, v25, v49
	s_mov_b32 s6, exec_lo
                                        ; implicit-def: $vgpr24
	v_cmpx_lt_u32_e64 v25, v49
; %bb.45:
	v_add_nc_u32_e32 v14, v12, v25
	ds_load_u8 v24, v14
; %bb.46:
	s_or_b32 exec_lo, exec_lo, s6
	scratch_load_u8 v14, off, s32
	v_cndmask_b32_e64 v17, 0, 1, s4
	s_or_b32 s3, s3, s4
	s_wait_loadcnt_dscnt 0x0
	v_bitop3_b16 v15, v14, 1, v24 bitop3:0x80
	v_bitop3_b16 v16, v14, 1, v19 bitop3:0x80
	s_delay_alu instid0(VALU_DEP_1) | instskip(NEXT) | instid1(VALU_DEP_1)
	v_cmp_le_u16_e64 s5, v16, v15
	v_cndmask_b32_e64 v15, 0, 1, s5
	s_delay_alu instid0(VALU_DEP_1) | instskip(NEXT) | instid1(VALU_DEP_1)
	v_cndmask_b32_e64 v15, v15, v17, s3
	v_and_b32_e32 v15, 1, v15
	s_delay_alu instid0(VALU_DEP_1) | instskip(NEXT) | instid1(VALU_DEP_1)
	v_cmp_eq_u32_e64 s3, 1, v15
	v_cndmask_b32_e64 v15, v25, v26, s3
	v_dual_cndmask_b32 v16, v49, v18, s3 :: v_dual_cndmask_b32 v34, v24, v19, s3
	s_delay_alu instid0(VALU_DEP_2) | instskip(NEXT) | instid1(VALU_DEP_1)
	v_add_nc_u32_e32 v17, 1, v15
	v_add_min_u32_e64 v16, v16, -1, v17
	s_delay_alu instid0(VALU_DEP_1)
	v_add_nc_u32_e32 v16, v12, v16
	ds_load_u8 v16, v16
	s_wait_dscnt 0x0
	v_cndmask_b32_e64 v27, v16, v24, s3
	v_dual_cndmask_b32 v28, v19, v16, s3 :: v_dual_cndmask_b32 v21, v26, v17, s3
	v_cndmask_b32_e64 v17, v17, v25, s3
	v_lshl_add_u32 v15, v15, 3, v10
	s_delay_alu instid0(VALU_DEP_4) | instskip(NEXT) | instid1(VALU_DEP_4)
	v_and_b32_e32 v16, v27, v14
	v_and_b32_e32 v20, v28, v14
	v_cmp_lt_u32_e64 s4, v21, v18
	v_cmp_ge_u32_e64 s6, v17, v49
	s_delay_alu instid0(VALU_DEP_4) | instskip(NEXT) | instid1(VALU_DEP_4)
	v_and_b32_e32 v16, 0xff, v16
	v_and_b32_e32 v20, 0xff, v20
	s_delay_alu instid0(VALU_DEP_1) | instskip(SKIP_1) | instid1(SALU_CYCLE_1)
	v_cmp_le_u16_e64 s5, v20, v16
	s_and_b32 s4, s4, s5
	s_or_b32 s4, s6, s4
	s_delay_alu instid0(SALU_CYCLE_1) | instskip(NEXT) | instid1(VALU_DEP_1)
	v_cndmask_b32_e64 v16, v17, v21, s4
	v_dual_cndmask_b32 v20, v49, v18, s4 :: v_dual_add_nc_u32 v22, 1, v16
	s_delay_alu instid0(VALU_DEP_1) | instskip(SKIP_1) | instid1(VALU_DEP_2)
	v_add_min_u32_e64 v20, v20, -1, v22
	v_dual_cndmask_b32 v21, v21, v22, s4 :: v_dual_cndmask_b32 v17, v22, v17, s4
	v_add_nc_u32_e32 v20, v12, v20
	s_delay_alu instid0(VALU_DEP_2) | instskip(NEXT) | instid1(VALU_DEP_3)
	v_cmp_lt_u32_e64 s5, v21, v18
	v_cmp_ge_u32_e64 s7, v17, v49
	v_lshl_add_u32 v16, v16, 3, v10
	ds_load_u8 v20, v20
	s_wait_dscnt 0x0
	v_cndmask_b32_e64 v26, v28, v20, s4
	s_delay_alu instid0(VALU_DEP_1) | instskip(NEXT) | instid1(VALU_DEP_1)
	v_dual_cndmask_b32 v25, v20, v27, s4 :: v_dual_bitop2_b32 v23, v26, v14 bitop3:0x40
	v_and_b32_e32 v20, v25, v14
	s_delay_alu instid0(VALU_DEP_2) | instskip(NEXT) | instid1(VALU_DEP_2)
	v_and_b32_e32 v23, 0xff, v23
	v_and_b32_e32 v20, 0xff, v20
	s_delay_alu instid0(VALU_DEP_1) | instskip(SKIP_1) | instid1(SALU_CYCLE_1)
	v_cmp_le_u16_e64 s6, v23, v20
	s_and_b32 s5, s5, s6
	s_or_b32 s5, s7, s5
	s_delay_alu instid0(SALU_CYCLE_1) | instskip(SKIP_1) | instid1(VALU_DEP_1)
	v_dual_cndmask_b32 v30, v27, v28, s4 :: v_dual_cndmask_b32 v33, v25, v26, s5
	v_cndmask_b32_e64 v20, v17, v21, s5
	v_dual_cndmask_b32 v22, v49, v18, s5 :: v_dual_add_nc_u32 v23, 1, v20
	s_delay_alu instid0(VALU_DEP_1) | instskip(SKIP_1) | instid1(VALU_DEP_2)
	v_add_min_u32_e64 v22, v22, -1, v23
	v_dual_cndmask_b32 v21, v21, v23, s5 :: v_dual_cndmask_b32 v17, v23, v17, s5
	v_add_nc_u32_e32 v22, v12, v22
	s_delay_alu instid0(VALU_DEP_2) | instskip(NEXT) | instid1(VALU_DEP_3)
	v_cmp_lt_u32_e64 s6, v21, v18
	v_cmp_ge_u32_e64 s10, v17, v49
	ds_load_u8 v22, v22
	s_wait_dscnt 0x0
	v_cndmask_b32_e64 v32, v26, v22, s5
	v_cndmask_b32_e64 v29, v22, v25, s5
	s_delay_alu instid0(VALU_DEP_1) | instskip(NEXT) | instid1(VALU_DEP_3)
	v_and_b32_e32 v22, v29, v14
	v_and_b32_e32 v14, v32, v14
	s_delay_alu instid0(VALU_DEP_2) | instskip(NEXT) | instid1(VALU_DEP_2)
	v_and_b32_e32 v22, 0xff, v22
	v_and_b32_e32 v14, 0xff, v14
	s_delay_alu instid0(VALU_DEP_1) | instskip(SKIP_1) | instid1(SALU_CYCLE_1)
	v_cmp_le_u16_e64 s7, v14, v22
	s_and_b32 s6, s6, s7
	s_or_b32 s6, s10, s6
	s_delay_alu instid0(SALU_CYCLE_1) | instskip(SKIP_2) | instid1(VALU_DEP_3)
	v_cndmask_b32_e64 v14, v17, v21, s6
	v_lshl_add_u32 v17, v20, 3, v10
	v_cndmask_b32_e64 v32, v29, v32, s6
	v_lshl_add_u32 v18, v14, 3, v10
	ds_load_b64 v[14:15], v15 offset:1024
	ds_load_b64 v[22:23], v16 offset:1024
	;; [unrolled: 1-line block ×4, first 2 shown]
.LBB1636_47:
	s_wait_xcnt 0x0
	s_or_b32 exec_lo, exec_lo, s13
	; wave barrier
	ds_store_b8 v5, v34
	s_wait_dscnt 0x4
	ds_store_b64 v31, v[14:15]
	ds_store_b8 v35, v30
	s_wait_dscnt 0x5
	ds_store_b64 v36, v[22:23]
	ds_store_b8 v37, v33
	s_wait_dscnt 0x6
	ds_store_b64 v38, v[16:17]
	ds_store_b8 v39, v32
	s_wait_dscnt 0x7
	ds_store_b64 v48, v[20:21]
	; wave barrier
	scratch_load_u8 v19, off, s32 offset:3
	v_and_b32_e32 v24, 0x60, v0
	s_mov_b32 s5, exec_lo
	s_delay_alu instid0(VALU_DEP_1) | instskip(NEXT) | instid1(VALU_DEP_1)
	v_or_b32_e32 v18, 16, v24
	v_min_u32_e32 v18, v11, v18
	s_delay_alu instid0(VALU_DEP_1) | instskip(NEXT) | instid1(VALU_DEP_1)
	v_add_min_u32_e64 v49, v18, 16, v11
	v_dual_sub_nc_u32 v26, v49, v18 :: v_dual_bitop2_b32 v25, 28, v0 bitop3:0x40
	s_delay_alu instid0(VALU_DEP_1) | instskip(SKIP_1) | instid1(VALU_DEP_2)
	v_min_u32_e32 v50, v11, v25
	v_sub_nc_u32_e32 v25, v18, v24
	v_sub_nc_u32_e64 v51, v50, v26 clamp
	s_wait_loadcnt 0x0
	v_and_b32_e32 v19, 1, v19
	s_delay_alu instid0(VALU_DEP_3) | instskip(NEXT) | instid1(VALU_DEP_2)
	v_min_u32_e32 v52, v50, v25
	v_cmp_eq_u32_e64 s3, 1, v19
	scratch_store_b8 off, v19, s32 offset:2
	s_wait_xcnt 0x0
	v_cmpx_lt_u32_e64 v51, v52
	s_cbranch_execz .LBB1636_51
; %bb.48:
	scratch_load_u8 v53, off, s32 offset:2
	v_mov_b32_e32 v25, 0
	s_mov_b32 s6, 0
	s_delay_alu instid0(VALU_DEP_1) | instskip(SKIP_1) | instid1(VALU_DEP_2)
	v_mov_b32_e32 v19, v25
	v_add_nc_u64_e32 v[26:27], v[12:13], v[24:25]
	v_add_nc_u64_e32 v[28:29], v[12:13], v[18:19]
.LBB1636_49:                            ; =>This Inner Loop Header: Depth=1
	v_add_nc_u32_e32 v19, v52, v51
	s_delay_alu instid0(VALU_DEP_1) | instskip(NEXT) | instid1(VALU_DEP_1)
	v_lshrrev_b32_e32 v19, 1, v19
	v_not_b32_e32 v25, v19
	v_dual_add_nc_u32 v27, v26, v19 :: v_dual_add_nc_u32 v29, 1, v19
	s_delay_alu instid0(VALU_DEP_2)
	v_add3_u32 v25, v50, v25, v28
	ds_load_u8 v27, v27
	ds_load_u8 v25, v25
	s_wait_loadcnt_dscnt 0x1
	v_bitop3_b16 v27, v27, 1, v53 bitop3:0x80
	s_wait_dscnt 0x0
	v_bitop3_b16 v25, v25, 1, v53 bitop3:0x80
	s_delay_alu instid0(VALU_DEP_1) | instskip(NEXT) | instid1(VALU_DEP_1)
	v_cmp_gt_u16_e64 s4, v27, v25
	v_cndmask_b32_e64 v52, v52, v19, s4
	v_cndmask_b32_e64 v51, v29, v51, s4
	s_delay_alu instid0(VALU_DEP_1)
	v_cmp_ge_u32_e64 s4, v51, v52
	s_or_b32 s6, s4, s6
	s_wait_xcnt 0x0
	s_and_not1_b32 exec_lo, exec_lo, s6
	s_cbranch_execnz .LBB1636_49
; %bb.50:
	s_or_b32 exec_lo, exec_lo, s6
.LBB1636_51:
	s_delay_alu instid0(SALU_CYCLE_1)
	s_or_b32 exec_lo, exec_lo, s5
	v_cndmask_b32_e64 v19, 0, 1, s3
	v_dual_add_nc_u32 v25, v18, v50 :: v_dual_add_nc_u32 v26, v51, v24
	s_clause 0x1
	scratch_store_b8 off, v19, s32 offset:1
	scratch_load_u8 v19, off, s32 offset:1
	v_sub_nc_u32_e32 v25, v25, v51
	v_cmp_le_u32_e64 s3, v26, v18
	s_delay_alu instid0(VALU_DEP_2)
	v_cmp_le_u32_e64 s4, v25, v49
	s_or_b32 s3, s3, s4
	s_wait_loadcnt 0x0
	v_and_b32_e32 v19, 1, v19
	scratch_store_b8 off, v19, s32
	s_wait_xcnt 0x0
	s_and_saveexec_b32 s13, s3
	s_cbranch_execz .LBB1636_57
; %bb.52:
	v_cmp_ge_u32_e64 s3, v26, v18
	s_mov_b32 s5, exec_lo
                                        ; implicit-def: $vgpr19
	v_cmpx_lt_u32_e64 v26, v18
; %bb.53:
	v_add_nc_u32_e32 v14, v12, v26
	ds_load_u8 v19, v14
; %bb.54:
	s_or_b32 exec_lo, exec_lo, s5
	v_cmp_ge_u32_e64 s4, v25, v49
	s_mov_b32 s6, exec_lo
                                        ; implicit-def: $vgpr24
	v_cmpx_lt_u32_e64 v25, v49
; %bb.55:
	v_add_nc_u32_e32 v14, v12, v25
	ds_load_u8 v24, v14
; %bb.56:
	s_or_b32 exec_lo, exec_lo, s6
	scratch_load_u8 v14, off, s32
	v_cndmask_b32_e64 v17, 0, 1, s4
	s_or_b32 s3, s3, s4
	s_wait_loadcnt_dscnt 0x0
	v_bitop3_b16 v15, v14, 1, v24 bitop3:0x80
	v_bitop3_b16 v16, v14, 1, v19 bitop3:0x80
	s_delay_alu instid0(VALU_DEP_1) | instskip(NEXT) | instid1(VALU_DEP_1)
	v_cmp_le_u16_e64 s5, v16, v15
	v_cndmask_b32_e64 v15, 0, 1, s5
	s_delay_alu instid0(VALU_DEP_1) | instskip(NEXT) | instid1(VALU_DEP_1)
	v_cndmask_b32_e64 v15, v15, v17, s3
	v_and_b32_e32 v15, 1, v15
	s_delay_alu instid0(VALU_DEP_1) | instskip(NEXT) | instid1(VALU_DEP_1)
	v_cmp_eq_u32_e64 s3, 1, v15
	v_cndmask_b32_e64 v15, v25, v26, s3
	v_dual_cndmask_b32 v16, v49, v18, s3 :: v_dual_cndmask_b32 v34, v24, v19, s3
	s_delay_alu instid0(VALU_DEP_2) | instskip(NEXT) | instid1(VALU_DEP_1)
	v_add_nc_u32_e32 v17, 1, v15
	v_add_min_u32_e64 v16, v16, -1, v17
	s_delay_alu instid0(VALU_DEP_1)
	v_add_nc_u32_e32 v16, v12, v16
	ds_load_u8 v16, v16
	s_wait_dscnt 0x0
	v_cndmask_b32_e64 v27, v16, v24, s3
	v_dual_cndmask_b32 v28, v19, v16, s3 :: v_dual_cndmask_b32 v21, v26, v17, s3
	v_cndmask_b32_e64 v17, v17, v25, s3
	v_lshl_add_u32 v15, v15, 3, v10
	s_delay_alu instid0(VALU_DEP_4) | instskip(NEXT) | instid1(VALU_DEP_4)
	v_and_b32_e32 v16, v27, v14
	v_and_b32_e32 v20, v28, v14
	v_cmp_lt_u32_e64 s4, v21, v18
	v_cmp_ge_u32_e64 s6, v17, v49
	s_delay_alu instid0(VALU_DEP_4) | instskip(NEXT) | instid1(VALU_DEP_4)
	v_and_b32_e32 v16, 0xff, v16
	v_and_b32_e32 v20, 0xff, v20
	s_delay_alu instid0(VALU_DEP_1) | instskip(SKIP_1) | instid1(SALU_CYCLE_1)
	v_cmp_le_u16_e64 s5, v20, v16
	s_and_b32 s4, s4, s5
	s_or_b32 s4, s6, s4
	s_delay_alu instid0(SALU_CYCLE_1) | instskip(NEXT) | instid1(VALU_DEP_1)
	v_cndmask_b32_e64 v16, v17, v21, s4
	v_dual_cndmask_b32 v20, v49, v18, s4 :: v_dual_add_nc_u32 v22, 1, v16
	s_delay_alu instid0(VALU_DEP_1) | instskip(SKIP_1) | instid1(VALU_DEP_2)
	v_add_min_u32_e64 v20, v20, -1, v22
	v_dual_cndmask_b32 v21, v21, v22, s4 :: v_dual_cndmask_b32 v17, v22, v17, s4
	v_add_nc_u32_e32 v20, v12, v20
	s_delay_alu instid0(VALU_DEP_2) | instskip(NEXT) | instid1(VALU_DEP_3)
	v_cmp_lt_u32_e64 s5, v21, v18
	v_cmp_ge_u32_e64 s7, v17, v49
	v_lshl_add_u32 v16, v16, 3, v10
	ds_load_u8 v20, v20
	s_wait_dscnt 0x0
	v_cndmask_b32_e64 v26, v28, v20, s4
	s_delay_alu instid0(VALU_DEP_1) | instskip(NEXT) | instid1(VALU_DEP_1)
	v_dual_cndmask_b32 v25, v20, v27, s4 :: v_dual_bitop2_b32 v23, v26, v14 bitop3:0x40
	v_and_b32_e32 v20, v25, v14
	s_delay_alu instid0(VALU_DEP_2) | instskip(NEXT) | instid1(VALU_DEP_2)
	v_and_b32_e32 v23, 0xff, v23
	v_and_b32_e32 v20, 0xff, v20
	s_delay_alu instid0(VALU_DEP_1) | instskip(SKIP_1) | instid1(SALU_CYCLE_1)
	v_cmp_le_u16_e64 s6, v23, v20
	s_and_b32 s5, s5, s6
	s_or_b32 s5, s7, s5
	s_delay_alu instid0(SALU_CYCLE_1) | instskip(SKIP_1) | instid1(VALU_DEP_1)
	v_dual_cndmask_b32 v30, v27, v28, s4 :: v_dual_cndmask_b32 v33, v25, v26, s5
	v_cndmask_b32_e64 v20, v17, v21, s5
	v_dual_cndmask_b32 v22, v49, v18, s5 :: v_dual_add_nc_u32 v23, 1, v20
	s_delay_alu instid0(VALU_DEP_1) | instskip(SKIP_1) | instid1(VALU_DEP_2)
	v_add_min_u32_e64 v22, v22, -1, v23
	v_dual_cndmask_b32 v21, v21, v23, s5 :: v_dual_cndmask_b32 v17, v23, v17, s5
	v_add_nc_u32_e32 v22, v12, v22
	s_delay_alu instid0(VALU_DEP_2) | instskip(NEXT) | instid1(VALU_DEP_3)
	v_cmp_lt_u32_e64 s6, v21, v18
	v_cmp_ge_u32_e64 s10, v17, v49
	ds_load_u8 v22, v22
	s_wait_dscnt 0x0
	v_cndmask_b32_e64 v32, v26, v22, s5
	v_cndmask_b32_e64 v29, v22, v25, s5
	s_delay_alu instid0(VALU_DEP_1) | instskip(NEXT) | instid1(VALU_DEP_3)
	v_and_b32_e32 v22, v29, v14
	v_and_b32_e32 v14, v32, v14
	s_delay_alu instid0(VALU_DEP_2) | instskip(NEXT) | instid1(VALU_DEP_2)
	v_and_b32_e32 v22, 0xff, v22
	v_and_b32_e32 v14, 0xff, v14
	s_delay_alu instid0(VALU_DEP_1) | instskip(SKIP_1) | instid1(SALU_CYCLE_1)
	v_cmp_le_u16_e64 s7, v14, v22
	s_and_b32 s6, s6, s7
	s_or_b32 s6, s10, s6
	s_delay_alu instid0(SALU_CYCLE_1) | instskip(SKIP_2) | instid1(VALU_DEP_3)
	v_cndmask_b32_e64 v14, v17, v21, s6
	v_lshl_add_u32 v17, v20, 3, v10
	v_cndmask_b32_e64 v32, v29, v32, s6
	v_lshl_add_u32 v18, v14, 3, v10
	ds_load_b64 v[14:15], v15 offset:1024
	ds_load_b64 v[22:23], v16 offset:1024
	;; [unrolled: 1-line block ×4, first 2 shown]
.LBB1636_57:
	s_wait_xcnt 0x0
	s_or_b32 exec_lo, exec_lo, s13
	; wave barrier
	ds_store_b8 v5, v34
	s_wait_dscnt 0x4
	ds_store_b64 v31, v[14:15]
	ds_store_b8 v35, v30
	s_wait_dscnt 0x5
	ds_store_b64 v36, v[22:23]
	;; [unrolled: 3-line block ×4, first 2 shown]
	; wave barrier
	scratch_load_u8 v19, off, s32 offset:3
	v_and_b32_e32 v24, 64, v0
	v_and_b32_e32 v25, 60, v0
	s_mov_b32 s5, exec_lo
	s_delay_alu instid0(VALU_DEP_2) | instskip(NEXT) | instid1(VALU_DEP_2)
	v_or_b32_e32 v18, 32, v24
	v_min_u32_e32 v50, v11, v25
	s_delay_alu instid0(VALU_DEP_2) | instskip(NEXT) | instid1(VALU_DEP_1)
	v_min_u32_e32 v18, v11, v18
	v_add_min_u32_e64 v49, v18, 32, v11
	s_delay_alu instid0(VALU_DEP_1) | instskip(NEXT) | instid1(VALU_DEP_1)
	v_dual_sub_nc_u32 v26, v49, v18 :: v_dual_sub_nc_u32 v25, v18, v24
	v_sub_nc_u32_e64 v51, v50, v26 clamp
	s_wait_loadcnt 0x0
	v_and_b32_e32 v19, 1, v19
	s_delay_alu instid0(VALU_DEP_3) | instskip(NEXT) | instid1(VALU_DEP_2)
	v_min_u32_e32 v52, v50, v25
	v_cmp_eq_u32_e64 s3, 1, v19
	scratch_store_b8 off, v19, s32 offset:2
	s_wait_xcnt 0x0
	v_cmpx_lt_u32_e64 v51, v52
	s_cbranch_execz .LBB1636_61
; %bb.58:
	scratch_load_u8 v53, off, s32 offset:2
	v_mov_b32_e32 v25, 0
	s_mov_b32 s6, 0
	s_delay_alu instid0(VALU_DEP_1) | instskip(SKIP_1) | instid1(VALU_DEP_2)
	v_mov_b32_e32 v19, v25
	v_add_nc_u64_e32 v[26:27], v[12:13], v[24:25]
	v_add_nc_u64_e32 v[28:29], v[12:13], v[18:19]
.LBB1636_59:                            ; =>This Inner Loop Header: Depth=1
	v_add_nc_u32_e32 v19, v52, v51
	s_delay_alu instid0(VALU_DEP_1) | instskip(NEXT) | instid1(VALU_DEP_1)
	v_lshrrev_b32_e32 v19, 1, v19
	v_not_b32_e32 v25, v19
	v_dual_add_nc_u32 v27, v26, v19 :: v_dual_add_nc_u32 v29, 1, v19
	s_delay_alu instid0(VALU_DEP_2)
	v_add3_u32 v25, v50, v25, v28
	ds_load_u8 v27, v27
	ds_load_u8 v25, v25
	s_wait_loadcnt_dscnt 0x1
	v_bitop3_b16 v27, v27, 1, v53 bitop3:0x80
	s_wait_dscnt 0x0
	v_bitop3_b16 v25, v25, 1, v53 bitop3:0x80
	s_delay_alu instid0(VALU_DEP_1) | instskip(NEXT) | instid1(VALU_DEP_1)
	v_cmp_gt_u16_e64 s4, v27, v25
	v_cndmask_b32_e64 v52, v52, v19, s4
	v_cndmask_b32_e64 v51, v29, v51, s4
	s_delay_alu instid0(VALU_DEP_1)
	v_cmp_ge_u32_e64 s4, v51, v52
	s_or_b32 s6, s4, s6
	s_wait_xcnt 0x0
	s_and_not1_b32 exec_lo, exec_lo, s6
	s_cbranch_execnz .LBB1636_59
; %bb.60:
	s_or_b32 exec_lo, exec_lo, s6
.LBB1636_61:
	s_delay_alu instid0(SALU_CYCLE_1)
	s_or_b32 exec_lo, exec_lo, s5
	v_cndmask_b32_e64 v19, 0, 1, s3
	v_dual_add_nc_u32 v25, v18, v50 :: v_dual_add_nc_u32 v26, v51, v24
	s_clause 0x1
	scratch_store_b8 off, v19, s32 offset:1
	scratch_load_u8 v19, off, s32 offset:1
	v_sub_nc_u32_e32 v25, v25, v51
	v_cmp_le_u32_e64 s3, v26, v18
	s_delay_alu instid0(VALU_DEP_2)
	v_cmp_le_u32_e64 s4, v25, v49
	s_or_b32 s3, s3, s4
	s_wait_loadcnt 0x0
	v_and_b32_e32 v19, 1, v19
	scratch_store_b8 off, v19, s32
	s_wait_xcnt 0x0
	s_and_saveexec_b32 s13, s3
	s_cbranch_execz .LBB1636_67
; %bb.62:
	v_cmp_ge_u32_e64 s3, v26, v18
	s_mov_b32 s5, exec_lo
                                        ; implicit-def: $vgpr19
	v_cmpx_lt_u32_e64 v26, v18
; %bb.63:
	v_add_nc_u32_e32 v14, v12, v26
	ds_load_u8 v19, v14
; %bb.64:
	s_or_b32 exec_lo, exec_lo, s5
	v_cmp_ge_u32_e64 s4, v25, v49
	s_mov_b32 s6, exec_lo
                                        ; implicit-def: $vgpr24
	v_cmpx_lt_u32_e64 v25, v49
; %bb.65:
	v_add_nc_u32_e32 v14, v12, v25
	ds_load_u8 v24, v14
; %bb.66:
	s_or_b32 exec_lo, exec_lo, s6
	scratch_load_u8 v14, off, s32
	v_cndmask_b32_e64 v17, 0, 1, s4
	s_or_b32 s3, s3, s4
	s_wait_loadcnt_dscnt 0x0
	v_bitop3_b16 v15, v14, 1, v24 bitop3:0x80
	v_bitop3_b16 v16, v14, 1, v19 bitop3:0x80
	s_delay_alu instid0(VALU_DEP_1) | instskip(NEXT) | instid1(VALU_DEP_1)
	v_cmp_le_u16_e64 s5, v16, v15
	v_cndmask_b32_e64 v15, 0, 1, s5
	s_delay_alu instid0(VALU_DEP_1) | instskip(NEXT) | instid1(VALU_DEP_1)
	v_cndmask_b32_e64 v15, v15, v17, s3
	v_and_b32_e32 v15, 1, v15
	s_delay_alu instid0(VALU_DEP_1) | instskip(NEXT) | instid1(VALU_DEP_1)
	v_cmp_eq_u32_e64 s3, 1, v15
	v_cndmask_b32_e64 v15, v25, v26, s3
	v_dual_cndmask_b32 v16, v49, v18, s3 :: v_dual_cndmask_b32 v34, v24, v19, s3
	s_delay_alu instid0(VALU_DEP_2) | instskip(NEXT) | instid1(VALU_DEP_1)
	v_add_nc_u32_e32 v17, 1, v15
	v_add_min_u32_e64 v16, v16, -1, v17
	s_delay_alu instid0(VALU_DEP_1)
	v_add_nc_u32_e32 v16, v12, v16
	ds_load_u8 v16, v16
	s_wait_dscnt 0x0
	v_cndmask_b32_e64 v27, v16, v24, s3
	v_dual_cndmask_b32 v28, v19, v16, s3 :: v_dual_cndmask_b32 v21, v26, v17, s3
	v_cndmask_b32_e64 v17, v17, v25, s3
	v_lshl_add_u32 v15, v15, 3, v10
	s_delay_alu instid0(VALU_DEP_4) | instskip(NEXT) | instid1(VALU_DEP_4)
	v_and_b32_e32 v16, v27, v14
	v_and_b32_e32 v20, v28, v14
	v_cmp_lt_u32_e64 s4, v21, v18
	v_cmp_ge_u32_e64 s6, v17, v49
	s_delay_alu instid0(VALU_DEP_4) | instskip(NEXT) | instid1(VALU_DEP_4)
	v_and_b32_e32 v16, 0xff, v16
	v_and_b32_e32 v20, 0xff, v20
	s_delay_alu instid0(VALU_DEP_1) | instskip(SKIP_1) | instid1(SALU_CYCLE_1)
	v_cmp_le_u16_e64 s5, v20, v16
	s_and_b32 s4, s4, s5
	s_or_b32 s4, s6, s4
	s_delay_alu instid0(SALU_CYCLE_1) | instskip(NEXT) | instid1(VALU_DEP_1)
	v_cndmask_b32_e64 v16, v17, v21, s4
	v_dual_cndmask_b32 v20, v49, v18, s4 :: v_dual_add_nc_u32 v22, 1, v16
	s_delay_alu instid0(VALU_DEP_1) | instskip(SKIP_1) | instid1(VALU_DEP_2)
	v_add_min_u32_e64 v20, v20, -1, v22
	v_dual_cndmask_b32 v21, v21, v22, s4 :: v_dual_cndmask_b32 v17, v22, v17, s4
	v_add_nc_u32_e32 v20, v12, v20
	s_delay_alu instid0(VALU_DEP_2) | instskip(NEXT) | instid1(VALU_DEP_3)
	v_cmp_lt_u32_e64 s5, v21, v18
	v_cmp_ge_u32_e64 s7, v17, v49
	v_lshl_add_u32 v16, v16, 3, v10
	ds_load_u8 v20, v20
	s_wait_dscnt 0x0
	v_cndmask_b32_e64 v26, v28, v20, s4
	s_delay_alu instid0(VALU_DEP_1) | instskip(NEXT) | instid1(VALU_DEP_1)
	v_dual_cndmask_b32 v25, v20, v27, s4 :: v_dual_bitop2_b32 v23, v26, v14 bitop3:0x40
	v_and_b32_e32 v20, v25, v14
	s_delay_alu instid0(VALU_DEP_2) | instskip(NEXT) | instid1(VALU_DEP_2)
	v_and_b32_e32 v23, 0xff, v23
	v_and_b32_e32 v20, 0xff, v20
	s_delay_alu instid0(VALU_DEP_1) | instskip(SKIP_1) | instid1(SALU_CYCLE_1)
	v_cmp_le_u16_e64 s6, v23, v20
	s_and_b32 s5, s5, s6
	s_or_b32 s5, s7, s5
	s_delay_alu instid0(SALU_CYCLE_1) | instskip(SKIP_1) | instid1(VALU_DEP_1)
	v_dual_cndmask_b32 v30, v27, v28, s4 :: v_dual_cndmask_b32 v33, v25, v26, s5
	v_cndmask_b32_e64 v20, v17, v21, s5
	v_dual_cndmask_b32 v22, v49, v18, s5 :: v_dual_add_nc_u32 v23, 1, v20
	s_delay_alu instid0(VALU_DEP_1) | instskip(SKIP_1) | instid1(VALU_DEP_2)
	v_add_min_u32_e64 v22, v22, -1, v23
	v_dual_cndmask_b32 v21, v21, v23, s5 :: v_dual_cndmask_b32 v17, v23, v17, s5
	v_add_nc_u32_e32 v22, v12, v22
	s_delay_alu instid0(VALU_DEP_2) | instskip(NEXT) | instid1(VALU_DEP_3)
	v_cmp_lt_u32_e64 s6, v21, v18
	v_cmp_ge_u32_e64 s10, v17, v49
	ds_load_u8 v22, v22
	s_wait_dscnt 0x0
	v_cndmask_b32_e64 v32, v26, v22, s5
	v_cndmask_b32_e64 v29, v22, v25, s5
	s_delay_alu instid0(VALU_DEP_1) | instskip(NEXT) | instid1(VALU_DEP_3)
	v_and_b32_e32 v22, v29, v14
	v_and_b32_e32 v14, v32, v14
	s_delay_alu instid0(VALU_DEP_2) | instskip(NEXT) | instid1(VALU_DEP_2)
	v_and_b32_e32 v22, 0xff, v22
	v_and_b32_e32 v14, 0xff, v14
	s_delay_alu instid0(VALU_DEP_1) | instskip(SKIP_1) | instid1(SALU_CYCLE_1)
	v_cmp_le_u16_e64 s7, v14, v22
	s_and_b32 s6, s6, s7
	s_or_b32 s6, s10, s6
	s_delay_alu instid0(SALU_CYCLE_1) | instskip(SKIP_2) | instid1(VALU_DEP_3)
	v_cndmask_b32_e64 v14, v17, v21, s6
	v_lshl_add_u32 v17, v20, 3, v10
	v_cndmask_b32_e64 v32, v29, v32, s6
	v_lshl_add_u32 v18, v14, 3, v10
	ds_load_b64 v[14:15], v15 offset:1024
	ds_load_b64 v[22:23], v16 offset:1024
	;; [unrolled: 1-line block ×4, first 2 shown]
.LBB1636_67:
	s_wait_xcnt 0x0
	s_or_b32 exec_lo, exec_lo, s13
	; wave barrier
	ds_store_b8 v5, v34
	s_wait_dscnt 0x4
	ds_store_b64 v31, v[14:15]
	ds_store_b8 v35, v30
	s_wait_dscnt 0x5
	ds_store_b64 v36, v[22:23]
	;; [unrolled: 3-line block ×4, first 2 shown]
	; wave barrier
	scratch_load_u8 v19, off, s32 offset:3
	v_min_u32_e32 v18, 64, v11
	v_min_u32_e32 v26, v11, v0
	s_mov_b32 s5, exec_lo
	s_delay_alu instid0(VALU_DEP_2) | instskip(NEXT) | instid1(VALU_DEP_2)
	v_add_min_u32_e64 v5, v18, 64, v11
	v_min_u32_e32 v27, v26, v18
	s_wait_loadcnt 0x0
	s_delay_alu instid0(VALU_DEP_2) | instskip(NEXT) | instid1(VALU_DEP_1)
	v_dual_sub_nc_u32 v11, v5, v18 :: v_dual_bitop2_b32 v19, 1, v19 bitop3:0x40
	v_sub_nc_u32_e64 v11, v26, v11 clamp
	s_delay_alu instid0(VALU_DEP_2)
	v_cmp_eq_u32_e64 s3, 1, v19
	scratch_store_b8 off, v19, s32 offset:2
	s_wait_xcnt 0x0
	v_cmpx_lt_u32_e64 v11, v27
	s_cbranch_execz .LBB1636_71
; %bb.68:
	scratch_load_u8 v28, off, s32 offset:2
	v_mov_b32_e32 v19, 0
	s_mov_b32 s6, 0
	s_delay_alu instid0(VALU_DEP_1)
	v_add_nc_u64_e32 v[24:25], v[12:13], v[18:19]
.LBB1636_69:                            ; =>This Inner Loop Header: Depth=1
	v_add_nc_u32_e32 v13, v27, v11
	s_delay_alu instid0(VALU_DEP_1) | instskip(NEXT) | instid1(VALU_DEP_1)
	v_lshrrev_b32_e32 v13, 1, v13
	v_not_b32_e32 v19, v13
	v_dual_add_nc_u32 v25, v12, v13 :: v_dual_add_nc_u32 v29, 1, v13
	s_delay_alu instid0(VALU_DEP_2)
	v_add3_u32 v19, v26, v19, v24
	ds_load_u8 v25, v25
	ds_load_u8 v19, v19
	s_wait_loadcnt_dscnt 0x1
	v_bitop3_b16 v25, v25, 1, v28 bitop3:0x80
	s_wait_dscnt 0x0
	v_bitop3_b16 v19, v19, 1, v28 bitop3:0x80
	s_delay_alu instid0(VALU_DEP_1) | instskip(NEXT) | instid1(VALU_DEP_1)
	v_cmp_gt_u16_e64 s4, v25, v19
	v_dual_cndmask_b32 v27, v27, v13, s4 :: v_dual_cndmask_b32 v11, v29, v11, s4
	s_delay_alu instid0(VALU_DEP_1)
	v_cmp_ge_u32_e64 s4, v11, v27
	s_or_b32 s6, s4, s6
	s_wait_xcnt 0x0
	s_and_not1_b32 exec_lo, exec_lo, s6
	s_cbranch_execnz .LBB1636_69
; %bb.70:
	s_or_b32 exec_lo, exec_lo, s6
.LBB1636_71:
	s_delay_alu instid0(SALU_CYCLE_1)
	s_or_b32 exec_lo, exec_lo, s5
	v_cndmask_b32_e64 v13, 0, 1, s3
	v_cmp_le_u32_e64 s3, v11, v18
	s_clause 0x1
	scratch_store_b8 off, v13, s32 offset:1
	scratch_load_u8 v13, off, s32 offset:1
	s_wait_loadcnt 0x0
	v_dual_add_nc_u32 v19, v18, v26 :: v_dual_bitop2_b32 v13, 1, v13 bitop3:0x40
	s_delay_alu instid0(VALU_DEP_1)
	v_sub_nc_u32_e32 v24, v19, v11
	scratch_store_b8 off, v13, s32
	v_cmp_le_u32_e64 s4, v24, v5
	s_or_b32 s3, s3, s4
	s_wait_xcnt 0x0
	s_and_saveexec_b32 s13, s3
	s_cbranch_execz .LBB1636_77
; %bb.72:
	v_cmp_ge_u32_e64 s3, v11, v18
	s_mov_b32 s5, exec_lo
                                        ; implicit-def: $vgpr13
	v_cmpx_lt_u32_e64 v11, v18
; %bb.73:
	v_add_nc_u32_e32 v13, v12, v11
	ds_load_u8 v13, v13
; %bb.74:
	s_or_b32 exec_lo, exec_lo, s5
	v_cmp_ge_u32_e64 s4, v24, v5
	s_mov_b32 s6, exec_lo
                                        ; implicit-def: $vgpr19
	v_cmpx_lt_u32_e64 v24, v5
; %bb.75:
	v_add_nc_u32_e32 v14, v12, v24
	ds_load_u8 v19, v14
; %bb.76:
	s_or_b32 exec_lo, exec_lo, s6
	scratch_load_u8 v14, off, s32
	v_cndmask_b32_e64 v17, 0, 1, s4
	s_or_b32 s3, s3, s4
	s_wait_loadcnt_dscnt 0x0
	v_bitop3_b16 v15, v14, 1, v19 bitop3:0x80
	v_bitop3_b16 v16, v14, 1, v13 bitop3:0x80
	s_delay_alu instid0(VALU_DEP_1) | instskip(NEXT) | instid1(VALU_DEP_1)
	v_cmp_le_u16_e64 s5, v16, v15
	v_cndmask_b32_e64 v15, 0, 1, s5
	s_delay_alu instid0(VALU_DEP_1) | instskip(NEXT) | instid1(VALU_DEP_1)
	v_cndmask_b32_e64 v15, v15, v17, s3
	v_and_b32_e32 v15, 1, v15
	s_delay_alu instid0(VALU_DEP_1) | instskip(NEXT) | instid1(VALU_DEP_1)
	v_cmp_eq_u32_e64 s3, 1, v15
	v_dual_cndmask_b32 v15, v24, v11, s3 :: v_dual_cndmask_b32 v16, v5, v18, s3
	s_delay_alu instid0(VALU_DEP_1) | instskip(NEXT) | instid1(VALU_DEP_1)
	v_dual_cndmask_b32 v34, v19, v13, s3 :: v_dual_add_nc_u32 v17, 1, v15
	v_add_min_u32_e64 v16, v16, -1, v17
	s_delay_alu instid0(VALU_DEP_1) | instskip(SKIP_3) | instid1(VALU_DEP_1)
	v_add_nc_u32_e32 v16, v12, v16
	ds_load_u8 v16, v16
	s_wait_dscnt 0x0
	v_dual_cndmask_b32 v26, v13, v16, s3 :: v_dual_cndmask_b32 v25, v16, v19, s3
	v_and_b32_e32 v20, v26, v14
	s_delay_alu instid0(VALU_DEP_2) | instskip(SKIP_1) | instid1(VALU_DEP_3)
	v_dual_cndmask_b32 v11, v11, v17, s3 :: v_dual_bitop2_b32 v16, v25, v14 bitop3:0x40
	v_cndmask_b32_e64 v17, v17, v24, s3
	v_and_b32_e32 v20, 0xff, v20
	s_delay_alu instid0(VALU_DEP_3) | instskip(NEXT) | instid1(VALU_DEP_4)
	v_and_b32_e32 v16, 0xff, v16
	v_cmp_lt_u32_e64 s4, v11, v18
	s_delay_alu instid0(VALU_DEP_4) | instskip(NEXT) | instid1(VALU_DEP_3)
	v_cmp_ge_u32_e64 s6, v17, v5
	v_cmp_le_u16_e64 s5, v20, v16
	s_and_b32 s4, s4, s5
	s_delay_alu instid0(SALU_CYCLE_1) | instskip(NEXT) | instid1(SALU_CYCLE_1)
	s_or_b32 s4, s6, s4
	v_cndmask_b32_e64 v16, v17, v11, s4
	s_delay_alu instid0(VALU_DEP_1) | instskip(NEXT) | instid1(VALU_DEP_1)
	v_dual_cndmask_b32 v20, v5, v18, s4 :: v_dual_add_nc_u32 v21, 1, v16
	v_add_min_u32_e64 v20, v20, -1, v21
	v_cndmask_b32_e64 v11, v11, v21, s4
	s_delay_alu instid0(VALU_DEP_2) | instskip(NEXT) | instid1(VALU_DEP_2)
	v_dual_cndmask_b32 v17, v21, v17, s4 :: v_dual_add_nc_u32 v20, v12, v20
	v_cmp_lt_u32_e64 s5, v11, v18
	s_delay_alu instid0(VALU_DEP_2) | instskip(SKIP_4) | instid1(VALU_DEP_1)
	v_cmp_ge_u32_e64 s7, v17, v5
	v_lshl_add_u32 v16, v16, 3, v10
	ds_load_u8 v20, v20
	s_wait_dscnt 0x0
	v_dual_cndmask_b32 v24, v20, v25, s4 :: v_dual_cndmask_b32 v27, v26, v20, s4
	v_and_b32_e32 v20, v24, v14
	s_delay_alu instid0(VALU_DEP_2) | instskip(NEXT) | instid1(VALU_DEP_2)
	v_and_b32_e32 v22, v27, v14
	v_and_b32_e32 v20, 0xff, v20
	s_delay_alu instid0(VALU_DEP_2) | instskip(NEXT) | instid1(VALU_DEP_1)
	v_and_b32_e32 v22, 0xff, v22
	v_cmp_le_u16_e64 s6, v22, v20
	s_and_b32 s5, s5, s6
	s_delay_alu instid0(SALU_CYCLE_1) | instskip(NEXT) | instid1(SALU_CYCLE_1)
	s_or_b32 s5, s7, s5
	v_dual_cndmask_b32 v30, v25, v26, s4 :: v_dual_cndmask_b32 v33, v24, v27, s5
	v_cndmask_b32_e64 v20, v17, v11, s5
	s_delay_alu instid0(VALU_DEP_1) | instskip(NEXT) | instid1(VALU_DEP_1)
	v_dual_cndmask_b32 v21, v5, v18, s5 :: v_dual_add_nc_u32 v22, 1, v20
	v_add_min_u32_e64 v21, v21, -1, v22
	v_dual_cndmask_b32 v11, v11, v22, s5 :: v_dual_cndmask_b32 v17, v22, v17, s5
	s_delay_alu instid0(VALU_DEP_2) | instskip(NEXT) | instid1(VALU_DEP_2)
	v_add_nc_u32_e32 v12, v12, v21
	v_cmp_lt_u32_e64 s6, v11, v18
	s_delay_alu instid0(VALU_DEP_3) | instskip(SKIP_3) | instid1(VALU_DEP_1)
	v_cmp_ge_u32_e64 s10, v17, v5
	ds_load_u8 v12, v12
	s_wait_dscnt 0x0
	v_cndmask_b32_e64 v28, v12, v24, s5
	v_dual_cndmask_b32 v12, v27, v12, s5 :: v_dual_bitop2_b32 v21, v28, v14 bitop3:0x40
	s_delay_alu instid0(VALU_DEP_1) | instskip(NEXT) | instid1(VALU_DEP_2)
	v_and_b32_e32 v14, v12, v14
	v_and_b32_e32 v21, 0xff, v21
	s_delay_alu instid0(VALU_DEP_2) | instskip(NEXT) | instid1(VALU_DEP_1)
	v_and_b32_e32 v14, 0xff, v14
	v_cmp_le_u16_e64 s7, v14, v21
	s_and_b32 s6, s6, s7
	s_delay_alu instid0(SALU_CYCLE_1) | instskip(NEXT) | instid1(SALU_CYCLE_1)
	s_or_b32 s6, s10, s6
	v_cndmask_b32_e64 v5, v17, v11, s6
	v_lshl_add_u32 v11, v15, 3, v10
	v_lshl_add_u32 v17, v20, 3, v10
	v_cndmask_b32_e64 v32, v28, v12, s6
	s_delay_alu instid0(VALU_DEP_4)
	v_lshl_add_u32 v5, v5, 3, v10
	ds_load_b64 v[14:15], v11 offset:1024
	ds_load_b64 v[22:23], v16 offset:1024
	;; [unrolled: 1-line block ×4, first 2 shown]
.LBB1636_77:
	s_wait_xcnt 0x0
	s_or_b32 exec_lo, exec_lo, s13
	; wave barrier
	s_wait_storecnt_dscnt 0x0
	s_barrier_signal -1
	s_barrier_wait -1
                                        ; implicit-def: $vgpr12_vgpr13
                                        ; implicit-def: $vgpr5
                                        ; implicit-def: $vgpr19
                                        ; implicit-def: $vgpr18
                                        ; implicit-def: $vgpr26_vgpr27
                                        ; implicit-def: $vgpr24_vgpr25
                                        ; implicit-def: $vgpr28_vgpr29
.LBB1636_78:
	s_and_not1_saveexec_b32 s10, s12
	s_cbranch_execz .LBB1636_134
; %bb.79:
	s_load_b64 s[4:5], s[8:9], 0x0
	s_bfe_u32 s6, ttmp6, 0x4000c
	s_bfe_u32 s12, ttmp6, 0x40010
	s_and_b32 s7, ttmp7, 0xffff
	s_add_co_i32 s6, s6, 1
	s_add_co_i32 s12, s12, 1
	s_and_b32 s3, ttmp6, 15
	s_bfe_u32 s13, ttmp6, 0x40004
	s_mul_i32 s6, ttmp9, s6
	s_mul_i32 s12, s7, s12
	s_add_co_i32 s3, s3, s6
	s_add_co_i32 s13, s13, s12
	s_cmp_eq_u32 s11, 0
	s_cselect_b32 s3, ttmp9, s3
	s_cselect_b32 s6, s7, s13
	s_wait_kmcnt 0x0
	s_cmp_lt_u32 s3, s4
	s_cselect_b32 s4, 12, 18
	s_cmp_lt_u32 s6, s5
	s_mov_b32 s5, 0
	s_cselect_b32 s6, 14, 20
	s_mov_b32 s7, s5
	s_add_nc_u64 s[4:5], s[8:9], s[4:5]
	s_add_nc_u64 s[6:7], s[8:9], s[6:7]
	s_clause 0x1
	s_load_u16 s4, s[4:5], 0x0
	s_nop 0
	s_load_u16 s3, s[6:7], 0x0
	s_wait_xcnt 0x0
	s_mov_b32 s6, exec_lo
	s_wait_kmcnt 0x0
	v_mad_u32_u24 v5, v19, s3, v5
	s_delay_alu instid0(VALU_DEP_1) | instskip(NEXT) | instid1(VALU_DEP_1)
	v_mul_lo_u32 v5, v5, s4
	v_add_lshl_u32 v5, v5, v18, 2
	s_delay_alu instid0(VALU_DEP_1)
	v_cmpx_gt_u32_e32 0x400, v5
	s_cbranch_execz .LBB1636_83
; %bb.80:
	s_wait_loadcnt_dscnt 0x0
	v_and_b32_e32 v10, 0xff, v30
	v_and_b32_e32 v11, 0xff, v34
	v_and_b32_e32 v16, 0xff, v32
	v_and_b32_e32 v17, 0xff, v33
	s_mov_b32 s7, exec_lo
	s_delay_alu instid0(VALU_DEP_3) | instskip(NEXT) | instid1(VALU_DEP_2)
	v_cmp_gt_u16_e64 s3, v11, v10
	v_cmp_gt_u16_e64 s4, v17, v16
	s_delay_alu instid0(VALU_DEP_2) | instskip(SKIP_1) | instid1(VALU_DEP_3)
	v_cndmask_b32_e64 v11, v30, 1, s3
	v_cndmask_b32_e64 v10, v34, 0, s3
	;; [unrolled: 1-line block ×3, first 2 shown]
	v_dual_cndmask_b32 v20, v14, v28, s3 :: v_dual_cndmask_b32 v21, v15, v29, s3
	s_delay_alu instid0(VALU_DEP_4) | instskip(NEXT) | instid1(VALU_DEP_4)
	v_and_b32_e32 v19, 0xff, v11
	v_and_b32_e32 v17, 0xff, v10
	s_delay_alu instid0(VALU_DEP_4) | instskip(SKIP_2) | instid1(VALU_DEP_3)
	v_and_b32_e32 v18, 0xff, v16
	v_dual_cndmask_b32 v15, v29, v15, s3 :: v_dual_cndmask_b32 v14, v28, v14, s3
	v_dual_cndmask_b32 v28, v27, v25, s4 :: v_dual_cndmask_b32 v22, v24, v26, s4
	v_cmp_gt_u16_e64 s5, v19, v18
	v_dual_cndmask_b32 v19, v26, v24, s4 :: v_dual_cndmask_b32 v24, v25, v27, s4
	s_delay_alu instid0(VALU_DEP_2)
	v_cndmask_b32_e64 v18, v11, 0, s5
	v_cndmask_b32_e64 v11, v32, 1, s4
	;; [unrolled: 1-line block ×5, first 2 shown]
	v_and_b32_e32 v23, 0xff, v18
	v_and_b32_e32 v25, 0xff, v11
	s_delay_alu instid0(VALU_DEP_2) | instskip(SKIP_2) | instid1(VALU_DEP_3)
	v_cmp_gt_u16_e64 s3, v17, v23
	v_and_b32_e32 v17, 0xff, v16
	v_cndmask_b32_e64 v23, v15, v24, s5
	v_cndmask_b32_e64 v30, v18, 1, s3
	s_delay_alu instid0(VALU_DEP_3) | instskip(SKIP_1) | instid1(VALU_DEP_4)
	v_cmp_gt_u16_e64 s4, v17, v25
	v_cndmask_b32_e64 v18, v24, v15, s5
	v_dual_cndmask_b32 v15, v21, v23, s3 :: v_dual_cndmask_b32 v14, v20, v22, s3
	s_delay_alu instid0(VALU_DEP_4) | instskip(NEXT) | instid1(VALU_DEP_4)
	v_and_b32_e32 v24, 0xff, v30
	v_cndmask_b32_e64 v33, v16, 0, s4
	v_dual_cndmask_b32 v23, v23, v21, s3 :: v_dual_cndmask_b32 v22, v22, v20, s3
	v_dual_cndmask_b32 v21, v28, v18, s4 :: v_dual_cndmask_b32 v17, v18, v28, s4
	s_delay_alu instid0(VALU_DEP_3) | instskip(SKIP_1) | instid1(VALU_DEP_2)
	v_and_b32_e32 v25, 0xff, v33
	v_dual_cndmask_b32 v20, v19, v26, s4 :: v_dual_cndmask_b32 v16, v26, v19, s4
	v_cmpx_gt_u16_e64 v24, v25
; %bb.81:
	s_delay_alu instid0(VALU_DEP_2) | instskip(SKIP_2) | instid1(VALU_DEP_3)
	v_mov_b64_e32 v[18:19], v[16:17]
	v_mov_b64_e32 v[16:17], v[22:23]
	v_dual_mov_b32 v30, 0 :: v_dual_mov_b32 v33, 1
	v_mov_b64_e32 v[22:23], v[18:19]
; %bb.82:
	s_or_b32 exec_lo, exec_lo, s7
	v_cndmask_b32_e64 v34, v10, 0, s3
	v_cndmask_b32_e64 v32, v11, 1, s4
.LBB1636_83:
	s_or_b32 exec_lo, exec_lo, s6
	v_and_b32_e32 v24, 0xffffff80, v5
	v_dual_mov_b32 v25, 0 :: v_dual_bitop2_b32 v10, 4, v0 bitop3:0x54
	s_mov_b32 s4, exec_lo
	s_delay_alu instid0(VALU_DEP_2) | instskip(NEXT) | instid1(VALU_DEP_2)
	v_sub_nc_u32_e64 v5, 0x400, v24 clamp
	v_add_nc_u64_e32 v[12:13], v[12:13], v[24:25]
	v_and_b32_e32 v19, 4, v0
	s_delay_alu instid0(VALU_DEP_3) | instskip(NEXT) | instid1(VALU_DEP_2)
	v_min_u32_e32 v18, v5, v10
	v_min_u32_e32 v50, v5, v19
	s_delay_alu instid0(VALU_DEP_4) | instskip(SKIP_1) | instid1(VALU_DEP_4)
	v_mad_nc_u64_u32 v[10:11], v24, 7, v[12:13]
	v_and_b32_e32 v24, 0x78, v0
	v_add_min_u32_e64 v49, v18, 4, v5
	s_delay_alu instid0(VALU_DEP_1) | instskip(NEXT) | instid1(VALU_DEP_1)
	v_dual_sub_nc_u32 v11, v18, v24 :: v_dual_sub_nc_u32 v19, v49, v18
	v_min_u32_e32 v31, v50, v11
	v_lshl_add_u32 v35, v0, 3, v10
	s_delay_alu instid0(VALU_DEP_3)
	v_sub_nc_u32_e64 v51, v50, v19 clamp
	v_add_nc_u32_e32 v11, v12, v0
	s_wait_loadcnt_dscnt 0x0
	ds_store_2addr_b64 v35, v[14:15], v[22:23] offset0:128 offset1:129
	ds_store_b8 v11, v34
	ds_store_b8 v11, v30 offset:1
	ds_store_b8 v11, v33 offset:2
	;; [unrolled: 1-line block ×3, first 2 shown]
	ds_store_2addr_b64 v35, v[16:17], v[20:21] offset0:130 offset1:131
	; wave barrier
	v_cmpx_lt_u32_e64 v51, v31
	s_cbranch_execz .LBB1636_87
; %bb.84:
	v_mov_b32_e32 v19, v25
	v_add_nc_u64_e32 v[26:27], v[12:13], v[24:25]
	s_mov_b32 s5, 0
	s_delay_alu instid0(VALU_DEP_2)
	v_add_nc_u64_e32 v[28:29], v[12:13], v[18:19]
.LBB1636_85:                            ; =>This Inner Loop Header: Depth=1
	v_add_nc_u32_e32 v19, v31, v51
	s_delay_alu instid0(VALU_DEP_1) | instskip(NEXT) | instid1(VALU_DEP_1)
	v_lshrrev_b32_e32 v19, 1, v19
	v_not_b32_e32 v25, v19
	v_dual_add_nc_u32 v27, v26, v19 :: v_dual_add_nc_u32 v29, 1, v19
	s_delay_alu instid0(VALU_DEP_2) | instskip(SKIP_4) | instid1(VALU_DEP_1)
	v_add3_u32 v25, v50, v25, v28
	ds_load_u8 v27, v27
	ds_load_u8 v25, v25
	s_wait_dscnt 0x0
	v_cmp_gt_u16_e64 s3, v27, v25
	v_cndmask_b32_e64 v31, v31, v19, s3
	v_cndmask_b32_e64 v51, v29, v51, s3
	s_delay_alu instid0(VALU_DEP_1) | instskip(SKIP_1) | instid1(SALU_CYCLE_1)
	v_cmp_ge_u32_e64 s3, v51, v31
	s_or_b32 s5, s3, s5
	s_and_not1_b32 exec_lo, exec_lo, s5
	s_cbranch_execnz .LBB1636_85
; %bb.86:
	s_or_b32 exec_lo, exec_lo, s5
.LBB1636_87:
	s_delay_alu instid0(SALU_CYCLE_1) | instskip(SKIP_4) | instid1(VALU_DEP_4)
	s_or_b32 exec_lo, exec_lo, s4
	v_dual_add_nc_u32 v31, 3, v11 :: v_dual_add_nc_u32 v19, v18, v50
	v_add_nc_u32_e32 v26, v51, v24
	v_add_nc_u32_e32 v48, 0x400, v35
	v_dual_add_nc_u32 v36, 1, v11 :: v_dual_add_nc_u32 v38, 2, v11
	v_sub_nc_u32_e32 v25, v19, v51
	s_delay_alu instid0(VALU_DEP_4)
	v_cmp_le_u32_e64 s3, v26, v18
	v_add_nc_u32_e32 v37, 0x408, v35
	v_add_nc_u32_e32 v39, 0x410, v35
	;; [unrolled: 1-line block ×3, first 2 shown]
	v_cmp_le_u32_e64 s4, v25, v49
	s_or_b32 s3, s3, s4
	s_delay_alu instid0(SALU_CYCLE_1)
	s_and_saveexec_b32 s9, s3
	s_cbranch_execz .LBB1636_93
; %bb.88:
	v_cmp_lt_u32_e64 s3, v26, v18
                                        ; implicit-def: $vgpr19
	s_and_saveexec_b32 s4, s3
; %bb.89:
	v_add_nc_u32_e32 v14, v12, v26
	ds_load_u8 v19, v14
; %bb.90:
	s_or_b32 exec_lo, exec_lo, s4
	v_cmp_ge_u32_e64 s4, v25, v49
	s_mov_b32 s6, exec_lo
                                        ; implicit-def: $vgpr24
	v_cmpx_lt_u32_e64 v25, v49
; %bb.91:
	v_add_nc_u32_e32 v14, v12, v25
	ds_load_u8 v24, v14
; %bb.92:
	s_or_b32 exec_lo, exec_lo, s6
	s_wait_dscnt 0x0
	v_and_b32_e32 v14, 0xff, v24
	v_and_b32_e32 v15, 0xff, v19
	s_delay_alu instid0(VALU_DEP_1) | instskip(SKIP_1) | instid1(SALU_CYCLE_1)
	v_cmp_le_u16_e64 s5, v15, v14
	s_and_b32 s3, s3, s5
	s_or_b32 s3, s4, s3
	s_delay_alu instid0(SALU_CYCLE_1) | instskip(NEXT) | instid1(VALU_DEP_1)
	v_cndmask_b32_e64 v14, v25, v26, s3
	v_add_nc_u32_e32 v16, 1, v14
	v_cndmask_b32_e64 v15, v49, v18, s3
	s_delay_alu instid0(VALU_DEP_1) | instskip(NEXT) | instid1(VALU_DEP_1)
	v_add_min_u32_e64 v15, v15, -1, v16
	v_add_nc_u32_e32 v15, v12, v15
	v_lshl_add_u32 v14, v14, 3, v10
	ds_load_u8 v15, v15
	s_wait_dscnt 0x0
	v_cndmask_b32_e64 v27, v15, v24, s3
	v_dual_cndmask_b32 v28, v19, v15, s3 :: v_dual_cndmask_b32 v15, v26, v16, s3
	v_cndmask_b32_e64 v16, v16, v25, s3
	s_delay_alu instid0(VALU_DEP_3) | instskip(NEXT) | instid1(VALU_DEP_3)
	v_and_b32_e32 v17, 0xff, v27
	v_and_b32_e32 v20, 0xff, v28
	s_delay_alu instid0(VALU_DEP_4) | instskip(NEXT) | instid1(VALU_DEP_4)
	v_cmp_lt_u32_e64 s4, v15, v18
	v_cmp_ge_u32_e64 s6, v16, v49
	s_delay_alu instid0(VALU_DEP_3) | instskip(SKIP_1) | instid1(SALU_CYCLE_1)
	v_cmp_le_u16_e64 s5, v20, v17
	s_and_b32 s4, s4, s5
	s_or_b32 s4, s6, s4
	s_delay_alu instid0(SALU_CYCLE_1) | instskip(NEXT) | instid1(VALU_DEP_1)
	v_dual_cndmask_b32 v17, v16, v15, s4 :: v_dual_cndmask_b32 v20, v49, v18, s4
	v_dual_cndmask_b32 v30, v27, v28, s4 :: v_dual_add_nc_u32 v21, 1, v17
	s_delay_alu instid0(VALU_DEP_1) | instskip(NEXT) | instid1(VALU_DEP_1)
	v_add_min_u32_e64 v20, v20, -1, v21
	v_dual_add_nc_u32 v20, v12, v20 :: v_dual_cndmask_b32 v15, v15, v21, s4
	v_cndmask_b32_e64 v16, v21, v16, s4
	ds_load_u8 v20, v20
	v_cmp_lt_u32_e64 s5, v15, v18
	v_cmp_ge_u32_e64 s7, v16, v49
	s_wait_dscnt 0x0
	v_cndmask_b32_e64 v25, v20, v27, s4
	v_cndmask_b32_e64 v26, v28, v20, s4
	s_delay_alu instid0(VALU_DEP_2) | instskip(NEXT) | instid1(VALU_DEP_2)
	v_and_b32_e32 v20, 0xff, v25
	v_and_b32_e32 v22, 0xff, v26
	s_delay_alu instid0(VALU_DEP_1) | instskip(SKIP_1) | instid1(SALU_CYCLE_1)
	v_cmp_le_u16_e64 s6, v22, v20
	s_and_b32 s5, s5, s6
	s_or_b32 s5, s7, s5
	s_delay_alu instid0(SALU_CYCLE_1) | instskip(SKIP_1) | instid1(VALU_DEP_2)
	v_dual_cndmask_b32 v20, v16, v15, s5 :: v_dual_cndmask_b32 v21, v49, v18, s5
	v_dual_cndmask_b32 v34, v24, v19, s3 :: v_dual_cndmask_b32 v33, v25, v26, s5
	v_add_nc_u32_e32 v22, 1, v20
	s_delay_alu instid0(VALU_DEP_1) | instskip(NEXT) | instid1(VALU_DEP_1)
	v_add_min_u32_e64 v21, v21, -1, v22
	v_add_nc_u32_e32 v21, v12, v21
	ds_load_u8 v21, v21
	s_wait_dscnt 0x0
	v_cndmask_b32_e64 v29, v21, v25, s5
	v_dual_cndmask_b32 v32, v26, v21, s5 :: v_dual_cndmask_b32 v15, v15, v22, s5
	v_cndmask_b32_e64 v16, v22, v16, s5
	s_delay_alu instid0(VALU_DEP_3) | instskip(NEXT) | instid1(VALU_DEP_3)
	v_and_b32_e32 v21, 0xff, v29
	v_and_b32_e32 v23, 0xff, v32
	s_delay_alu instid0(VALU_DEP_4) | instskip(NEXT) | instid1(VALU_DEP_4)
	v_cmp_lt_u32_e64 s6, v15, v18
	v_cmp_ge_u32_e64 s8, v16, v49
	s_delay_alu instid0(VALU_DEP_3) | instskip(SKIP_1) | instid1(SALU_CYCLE_1)
	v_cmp_le_u16_e64 s7, v23, v21
	s_and_b32 s6, s6, s7
	s_or_b32 s6, s8, s6
	s_delay_alu instid0(SALU_CYCLE_1) | instskip(SKIP_3) | instid1(VALU_DEP_4)
	v_cndmask_b32_e64 v15, v16, v15, s6
	v_lshl_add_u32 v16, v17, 3, v10
	v_lshl_add_u32 v17, v20, 3, v10
	v_cndmask_b32_e64 v32, v29, v32, s6
	v_lshl_add_u32 v18, v15, 3, v10
	ds_load_b64 v[14:15], v14 offset:1024
	ds_load_b64 v[22:23], v16 offset:1024
	;; [unrolled: 1-line block ×4, first 2 shown]
.LBB1636_93:
	s_or_b32 exec_lo, exec_lo, s9
	v_and_b32_e32 v24, 0x70, v0
	v_and_b32_e32 v19, 12, v0
	s_mov_b32 s4, exec_lo
	; wave barrier
	s_delay_alu instid0(VALU_DEP_2) | instskip(NEXT) | instid1(VALU_DEP_2)
	v_or_b32_e32 v18, 8, v24
	v_min_u32_e32 v50, v5, v19
	ds_store_b8 v11, v34
	s_wait_dscnt 0x4
	ds_store_b64 v48, v[14:15]
	ds_store_b8 v36, v30
	s_wait_dscnt 0x5
	ds_store_b64 v37, v[22:23]
	;; [unrolled: 3-line block ×4, first 2 shown]
	v_min_u32_e32 v18, v5, v18
	; wave barrier
	s_delay_alu instid0(VALU_DEP_1) | instskip(NEXT) | instid1(VALU_DEP_1)
	v_add_min_u32_e64 v49, v18, 8, v5
	v_dual_sub_nc_u32 v25, v18, v24 :: v_dual_sub_nc_u32 v19, v49, v18
	s_delay_alu instid0(VALU_DEP_1) | instskip(NEXT) | instid1(VALU_DEP_2)
	v_min_u32_e32 v52, v50, v25
	v_sub_nc_u32_e64 v51, v50, v19 clamp
	s_delay_alu instid0(VALU_DEP_1)
	v_cmpx_lt_u32_e64 v51, v52
	s_cbranch_execz .LBB1636_97
; %bb.94:
	v_mov_b32_e32 v25, 0
	s_mov_b32 s5, 0
	s_delay_alu instid0(VALU_DEP_1) | instskip(SKIP_1) | instid1(VALU_DEP_2)
	v_mov_b32_e32 v19, v25
	v_add_nc_u64_e32 v[26:27], v[12:13], v[24:25]
	v_add_nc_u64_e32 v[28:29], v[12:13], v[18:19]
.LBB1636_95:                            ; =>This Inner Loop Header: Depth=1
	v_add_nc_u32_e32 v19, v52, v51
	s_delay_alu instid0(VALU_DEP_1) | instskip(NEXT) | instid1(VALU_DEP_1)
	v_lshrrev_b32_e32 v19, 1, v19
	v_not_b32_e32 v25, v19
	v_dual_add_nc_u32 v27, v26, v19 :: v_dual_add_nc_u32 v29, 1, v19
	s_delay_alu instid0(VALU_DEP_2) | instskip(SKIP_4) | instid1(VALU_DEP_1)
	v_add3_u32 v25, v50, v25, v28
	ds_load_u8 v27, v27
	ds_load_u8 v25, v25
	s_wait_dscnt 0x0
	v_cmp_gt_u16_e64 s3, v27, v25
	v_cndmask_b32_e64 v52, v52, v19, s3
	v_cndmask_b32_e64 v51, v29, v51, s3
	s_delay_alu instid0(VALU_DEP_1) | instskip(SKIP_1) | instid1(SALU_CYCLE_1)
	v_cmp_ge_u32_e64 s3, v51, v52
	s_or_b32 s5, s3, s5
	s_and_not1_b32 exec_lo, exec_lo, s5
	s_cbranch_execnz .LBB1636_95
; %bb.96:
	s_or_b32 exec_lo, exec_lo, s5
.LBB1636_97:
	s_delay_alu instid0(SALU_CYCLE_1) | instskip(SKIP_1) | instid1(VALU_DEP_1)
	s_or_b32 exec_lo, exec_lo, s4
	v_dual_add_nc_u32 v19, v18, v50 :: v_dual_add_nc_u32 v26, v51, v24
	v_sub_nc_u32_e32 v25, v19, v51
	s_delay_alu instid0(VALU_DEP_2) | instskip(NEXT) | instid1(VALU_DEP_2)
	v_cmp_le_u32_e64 s3, v26, v18
	v_cmp_le_u32_e64 s4, v25, v49
	s_or_b32 s3, s3, s4
	s_delay_alu instid0(SALU_CYCLE_1)
	s_and_saveexec_b32 s9, s3
	s_cbranch_execz .LBB1636_103
; %bb.98:
	v_cmp_lt_u32_e64 s3, v26, v18
                                        ; implicit-def: $vgpr19
	s_and_saveexec_b32 s4, s3
; %bb.99:
	v_add_nc_u32_e32 v14, v12, v26
	ds_load_u8 v19, v14
; %bb.100:
	s_or_b32 exec_lo, exec_lo, s4
	v_cmp_ge_u32_e64 s4, v25, v49
	s_mov_b32 s6, exec_lo
                                        ; implicit-def: $vgpr24
	v_cmpx_lt_u32_e64 v25, v49
; %bb.101:
	v_add_nc_u32_e32 v14, v12, v25
	ds_load_u8 v24, v14
; %bb.102:
	s_or_b32 exec_lo, exec_lo, s6
	s_wait_dscnt 0x0
	v_and_b32_e32 v14, 0xff, v24
	v_and_b32_e32 v15, 0xff, v19
	s_delay_alu instid0(VALU_DEP_1) | instskip(SKIP_1) | instid1(SALU_CYCLE_1)
	v_cmp_le_u16_e64 s5, v15, v14
	s_and_b32 s3, s3, s5
	s_or_b32 s3, s4, s3
	s_delay_alu instid0(SALU_CYCLE_1) | instskip(NEXT) | instid1(VALU_DEP_1)
	v_cndmask_b32_e64 v14, v25, v26, s3
	v_add_nc_u32_e32 v16, 1, v14
	v_cndmask_b32_e64 v15, v49, v18, s3
	s_delay_alu instid0(VALU_DEP_1) | instskip(NEXT) | instid1(VALU_DEP_1)
	v_add_min_u32_e64 v15, v15, -1, v16
	v_add_nc_u32_e32 v15, v12, v15
	v_lshl_add_u32 v14, v14, 3, v10
	ds_load_u8 v15, v15
	s_wait_dscnt 0x0
	v_cndmask_b32_e64 v27, v15, v24, s3
	v_dual_cndmask_b32 v28, v19, v15, s3 :: v_dual_cndmask_b32 v15, v26, v16, s3
	v_cndmask_b32_e64 v16, v16, v25, s3
	s_delay_alu instid0(VALU_DEP_3) | instskip(NEXT) | instid1(VALU_DEP_3)
	v_and_b32_e32 v17, 0xff, v27
	v_and_b32_e32 v20, 0xff, v28
	s_delay_alu instid0(VALU_DEP_4) | instskip(NEXT) | instid1(VALU_DEP_4)
	v_cmp_lt_u32_e64 s4, v15, v18
	v_cmp_ge_u32_e64 s6, v16, v49
	s_delay_alu instid0(VALU_DEP_3) | instskip(SKIP_1) | instid1(SALU_CYCLE_1)
	v_cmp_le_u16_e64 s5, v20, v17
	s_and_b32 s4, s4, s5
	s_or_b32 s4, s6, s4
	s_delay_alu instid0(SALU_CYCLE_1) | instskip(NEXT) | instid1(VALU_DEP_1)
	v_dual_cndmask_b32 v17, v16, v15, s4 :: v_dual_cndmask_b32 v20, v49, v18, s4
	v_dual_cndmask_b32 v30, v27, v28, s4 :: v_dual_add_nc_u32 v21, 1, v17
	s_delay_alu instid0(VALU_DEP_1) | instskip(NEXT) | instid1(VALU_DEP_1)
	v_add_min_u32_e64 v20, v20, -1, v21
	v_dual_add_nc_u32 v20, v12, v20 :: v_dual_cndmask_b32 v15, v15, v21, s4
	v_cndmask_b32_e64 v16, v21, v16, s4
	ds_load_u8 v20, v20
	v_cmp_lt_u32_e64 s5, v15, v18
	v_cmp_ge_u32_e64 s7, v16, v49
	s_wait_dscnt 0x0
	v_cndmask_b32_e64 v25, v20, v27, s4
	v_cndmask_b32_e64 v26, v28, v20, s4
	s_delay_alu instid0(VALU_DEP_2) | instskip(NEXT) | instid1(VALU_DEP_2)
	v_and_b32_e32 v20, 0xff, v25
	v_and_b32_e32 v22, 0xff, v26
	s_delay_alu instid0(VALU_DEP_1) | instskip(SKIP_1) | instid1(SALU_CYCLE_1)
	v_cmp_le_u16_e64 s6, v22, v20
	s_and_b32 s5, s5, s6
	s_or_b32 s5, s7, s5
	s_delay_alu instid0(SALU_CYCLE_1) | instskip(SKIP_1) | instid1(VALU_DEP_2)
	v_dual_cndmask_b32 v20, v16, v15, s5 :: v_dual_cndmask_b32 v21, v49, v18, s5
	v_dual_cndmask_b32 v34, v24, v19, s3 :: v_dual_cndmask_b32 v33, v25, v26, s5
	v_add_nc_u32_e32 v22, 1, v20
	s_delay_alu instid0(VALU_DEP_1) | instskip(NEXT) | instid1(VALU_DEP_1)
	v_add_min_u32_e64 v21, v21, -1, v22
	v_add_nc_u32_e32 v21, v12, v21
	ds_load_u8 v21, v21
	s_wait_dscnt 0x0
	v_cndmask_b32_e64 v29, v21, v25, s5
	v_dual_cndmask_b32 v32, v26, v21, s5 :: v_dual_cndmask_b32 v15, v15, v22, s5
	v_cndmask_b32_e64 v16, v22, v16, s5
	s_delay_alu instid0(VALU_DEP_3) | instskip(NEXT) | instid1(VALU_DEP_3)
	v_and_b32_e32 v21, 0xff, v29
	v_and_b32_e32 v23, 0xff, v32
	s_delay_alu instid0(VALU_DEP_4) | instskip(NEXT) | instid1(VALU_DEP_4)
	v_cmp_lt_u32_e64 s6, v15, v18
	v_cmp_ge_u32_e64 s8, v16, v49
	s_delay_alu instid0(VALU_DEP_3) | instskip(SKIP_1) | instid1(SALU_CYCLE_1)
	v_cmp_le_u16_e64 s7, v23, v21
	s_and_b32 s6, s6, s7
	s_or_b32 s6, s8, s6
	s_delay_alu instid0(SALU_CYCLE_1) | instskip(SKIP_3) | instid1(VALU_DEP_4)
	v_cndmask_b32_e64 v15, v16, v15, s6
	v_lshl_add_u32 v16, v17, 3, v10
	v_lshl_add_u32 v17, v20, 3, v10
	v_cndmask_b32_e64 v32, v29, v32, s6
	v_lshl_add_u32 v18, v15, 3, v10
	ds_load_b64 v[14:15], v14 offset:1024
	ds_load_b64 v[22:23], v16 offset:1024
	;; [unrolled: 1-line block ×4, first 2 shown]
.LBB1636_103:
	s_or_b32 exec_lo, exec_lo, s9
	v_and_b32_e32 v24, 0x60, v0
	v_and_b32_e32 v19, 28, v0
	s_mov_b32 s4, exec_lo
	; wave barrier
	s_delay_alu instid0(VALU_DEP_2) | instskip(NEXT) | instid1(VALU_DEP_2)
	v_or_b32_e32 v18, 16, v24
	v_min_u32_e32 v50, v5, v19
	ds_store_b8 v11, v34
	s_wait_dscnt 0x4
	ds_store_b64 v48, v[14:15]
	ds_store_b8 v36, v30
	s_wait_dscnt 0x5
	ds_store_b64 v37, v[22:23]
	;; [unrolled: 3-line block ×4, first 2 shown]
	v_min_u32_e32 v18, v5, v18
	; wave barrier
	s_delay_alu instid0(VALU_DEP_1) | instskip(NEXT) | instid1(VALU_DEP_1)
	v_add_min_u32_e64 v49, v18, 16, v5
	v_dual_sub_nc_u32 v25, v18, v24 :: v_dual_sub_nc_u32 v19, v49, v18
	s_delay_alu instid0(VALU_DEP_1) | instskip(NEXT) | instid1(VALU_DEP_2)
	v_min_u32_e32 v52, v50, v25
	v_sub_nc_u32_e64 v51, v50, v19 clamp
	s_delay_alu instid0(VALU_DEP_1)
	v_cmpx_lt_u32_e64 v51, v52
	s_cbranch_execz .LBB1636_107
; %bb.104:
	v_mov_b32_e32 v25, 0
	s_mov_b32 s5, 0
	s_delay_alu instid0(VALU_DEP_1) | instskip(SKIP_1) | instid1(VALU_DEP_2)
	v_mov_b32_e32 v19, v25
	v_add_nc_u64_e32 v[26:27], v[12:13], v[24:25]
	v_add_nc_u64_e32 v[28:29], v[12:13], v[18:19]
.LBB1636_105:                           ; =>This Inner Loop Header: Depth=1
	v_add_nc_u32_e32 v19, v52, v51
	s_delay_alu instid0(VALU_DEP_1) | instskip(NEXT) | instid1(VALU_DEP_1)
	v_lshrrev_b32_e32 v19, 1, v19
	v_not_b32_e32 v25, v19
	v_dual_add_nc_u32 v27, v26, v19 :: v_dual_add_nc_u32 v29, 1, v19
	s_delay_alu instid0(VALU_DEP_2) | instskip(SKIP_4) | instid1(VALU_DEP_1)
	v_add3_u32 v25, v50, v25, v28
	ds_load_u8 v27, v27
	ds_load_u8 v25, v25
	s_wait_dscnt 0x0
	v_cmp_gt_u16_e64 s3, v27, v25
	v_cndmask_b32_e64 v52, v52, v19, s3
	v_cndmask_b32_e64 v51, v29, v51, s3
	s_delay_alu instid0(VALU_DEP_1) | instskip(SKIP_1) | instid1(SALU_CYCLE_1)
	v_cmp_ge_u32_e64 s3, v51, v52
	s_or_b32 s5, s3, s5
	s_and_not1_b32 exec_lo, exec_lo, s5
	s_cbranch_execnz .LBB1636_105
; %bb.106:
	s_or_b32 exec_lo, exec_lo, s5
.LBB1636_107:
	s_delay_alu instid0(SALU_CYCLE_1) | instskip(SKIP_1) | instid1(VALU_DEP_1)
	s_or_b32 exec_lo, exec_lo, s4
	v_dual_add_nc_u32 v19, v18, v50 :: v_dual_add_nc_u32 v26, v51, v24
	v_sub_nc_u32_e32 v25, v19, v51
	s_delay_alu instid0(VALU_DEP_2) | instskip(NEXT) | instid1(VALU_DEP_2)
	v_cmp_le_u32_e64 s3, v26, v18
	v_cmp_le_u32_e64 s4, v25, v49
	s_or_b32 s3, s3, s4
	s_delay_alu instid0(SALU_CYCLE_1)
	s_and_saveexec_b32 s9, s3
	s_cbranch_execz .LBB1636_113
; %bb.108:
	v_cmp_lt_u32_e64 s3, v26, v18
                                        ; implicit-def: $vgpr19
	s_and_saveexec_b32 s4, s3
; %bb.109:
	v_add_nc_u32_e32 v14, v12, v26
	ds_load_u8 v19, v14
; %bb.110:
	s_or_b32 exec_lo, exec_lo, s4
	v_cmp_ge_u32_e64 s4, v25, v49
	s_mov_b32 s6, exec_lo
                                        ; implicit-def: $vgpr24
	v_cmpx_lt_u32_e64 v25, v49
; %bb.111:
	v_add_nc_u32_e32 v14, v12, v25
	ds_load_u8 v24, v14
; %bb.112:
	s_or_b32 exec_lo, exec_lo, s6
	s_wait_dscnt 0x0
	v_and_b32_e32 v14, 0xff, v24
	v_and_b32_e32 v15, 0xff, v19
	s_delay_alu instid0(VALU_DEP_1) | instskip(SKIP_1) | instid1(SALU_CYCLE_1)
	v_cmp_le_u16_e64 s5, v15, v14
	s_and_b32 s3, s3, s5
	s_or_b32 s3, s4, s3
	s_delay_alu instid0(SALU_CYCLE_1) | instskip(NEXT) | instid1(VALU_DEP_1)
	v_cndmask_b32_e64 v14, v25, v26, s3
	v_add_nc_u32_e32 v16, 1, v14
	v_cndmask_b32_e64 v15, v49, v18, s3
	s_delay_alu instid0(VALU_DEP_1) | instskip(NEXT) | instid1(VALU_DEP_1)
	v_add_min_u32_e64 v15, v15, -1, v16
	v_add_nc_u32_e32 v15, v12, v15
	v_lshl_add_u32 v14, v14, 3, v10
	ds_load_u8 v15, v15
	s_wait_dscnt 0x0
	v_cndmask_b32_e64 v27, v15, v24, s3
	v_dual_cndmask_b32 v28, v19, v15, s3 :: v_dual_cndmask_b32 v15, v26, v16, s3
	v_cndmask_b32_e64 v16, v16, v25, s3
	s_delay_alu instid0(VALU_DEP_3) | instskip(NEXT) | instid1(VALU_DEP_3)
	v_and_b32_e32 v17, 0xff, v27
	v_and_b32_e32 v20, 0xff, v28
	s_delay_alu instid0(VALU_DEP_4) | instskip(NEXT) | instid1(VALU_DEP_4)
	v_cmp_lt_u32_e64 s4, v15, v18
	v_cmp_ge_u32_e64 s6, v16, v49
	s_delay_alu instid0(VALU_DEP_3) | instskip(SKIP_1) | instid1(SALU_CYCLE_1)
	v_cmp_le_u16_e64 s5, v20, v17
	s_and_b32 s4, s4, s5
	s_or_b32 s4, s6, s4
	s_delay_alu instid0(SALU_CYCLE_1) | instskip(NEXT) | instid1(VALU_DEP_1)
	v_dual_cndmask_b32 v17, v16, v15, s4 :: v_dual_cndmask_b32 v20, v49, v18, s4
	v_dual_cndmask_b32 v30, v27, v28, s4 :: v_dual_add_nc_u32 v21, 1, v17
	s_delay_alu instid0(VALU_DEP_1) | instskip(NEXT) | instid1(VALU_DEP_1)
	v_add_min_u32_e64 v20, v20, -1, v21
	v_dual_add_nc_u32 v20, v12, v20 :: v_dual_cndmask_b32 v15, v15, v21, s4
	v_cndmask_b32_e64 v16, v21, v16, s4
	ds_load_u8 v20, v20
	v_cmp_lt_u32_e64 s5, v15, v18
	v_cmp_ge_u32_e64 s7, v16, v49
	s_wait_dscnt 0x0
	v_cndmask_b32_e64 v25, v20, v27, s4
	v_cndmask_b32_e64 v26, v28, v20, s4
	s_delay_alu instid0(VALU_DEP_2) | instskip(NEXT) | instid1(VALU_DEP_2)
	v_and_b32_e32 v20, 0xff, v25
	v_and_b32_e32 v22, 0xff, v26
	s_delay_alu instid0(VALU_DEP_1) | instskip(SKIP_1) | instid1(SALU_CYCLE_1)
	v_cmp_le_u16_e64 s6, v22, v20
	s_and_b32 s5, s5, s6
	s_or_b32 s5, s7, s5
	s_delay_alu instid0(SALU_CYCLE_1) | instskip(SKIP_1) | instid1(VALU_DEP_2)
	v_dual_cndmask_b32 v20, v16, v15, s5 :: v_dual_cndmask_b32 v21, v49, v18, s5
	v_dual_cndmask_b32 v34, v24, v19, s3 :: v_dual_cndmask_b32 v33, v25, v26, s5
	v_add_nc_u32_e32 v22, 1, v20
	s_delay_alu instid0(VALU_DEP_1) | instskip(NEXT) | instid1(VALU_DEP_1)
	v_add_min_u32_e64 v21, v21, -1, v22
	v_add_nc_u32_e32 v21, v12, v21
	ds_load_u8 v21, v21
	s_wait_dscnt 0x0
	v_cndmask_b32_e64 v29, v21, v25, s5
	v_dual_cndmask_b32 v32, v26, v21, s5 :: v_dual_cndmask_b32 v15, v15, v22, s5
	v_cndmask_b32_e64 v16, v22, v16, s5
	s_delay_alu instid0(VALU_DEP_3) | instskip(NEXT) | instid1(VALU_DEP_3)
	v_and_b32_e32 v21, 0xff, v29
	v_and_b32_e32 v23, 0xff, v32
	s_delay_alu instid0(VALU_DEP_4) | instskip(NEXT) | instid1(VALU_DEP_4)
	v_cmp_lt_u32_e64 s6, v15, v18
	v_cmp_ge_u32_e64 s8, v16, v49
	s_delay_alu instid0(VALU_DEP_3) | instskip(SKIP_1) | instid1(SALU_CYCLE_1)
	v_cmp_le_u16_e64 s7, v23, v21
	s_and_b32 s6, s6, s7
	s_or_b32 s6, s8, s6
	s_delay_alu instid0(SALU_CYCLE_1) | instskip(SKIP_3) | instid1(VALU_DEP_4)
	v_cndmask_b32_e64 v15, v16, v15, s6
	v_lshl_add_u32 v16, v17, 3, v10
	v_lshl_add_u32 v17, v20, 3, v10
	v_cndmask_b32_e64 v32, v29, v32, s6
	v_lshl_add_u32 v18, v15, 3, v10
	ds_load_b64 v[14:15], v14 offset:1024
	ds_load_b64 v[22:23], v16 offset:1024
	;; [unrolled: 1-line block ×4, first 2 shown]
.LBB1636_113:
	s_or_b32 exec_lo, exec_lo, s9
	v_and_b32_e32 v24, 64, v0
	v_and_b32_e32 v19, 60, v0
	s_mov_b32 s4, exec_lo
	; wave barrier
	s_delay_alu instid0(VALU_DEP_2) | instskip(NEXT) | instid1(VALU_DEP_2)
	v_or_b32_e32 v18, 32, v24
	v_min_u32_e32 v50, v5, v19
	ds_store_b8 v11, v34
	s_wait_dscnt 0x4
	ds_store_b64 v48, v[14:15]
	ds_store_b8 v36, v30
	s_wait_dscnt 0x5
	ds_store_b64 v37, v[22:23]
	;; [unrolled: 3-line block ×4, first 2 shown]
	v_min_u32_e32 v18, v5, v18
	; wave barrier
	s_delay_alu instid0(VALU_DEP_1) | instskip(NEXT) | instid1(VALU_DEP_1)
	v_add_min_u32_e64 v49, v18, 32, v5
	v_dual_sub_nc_u32 v19, v49, v18 :: v_dual_sub_nc_u32 v25, v18, v24
	s_delay_alu instid0(VALU_DEP_1) | instskip(NEXT) | instid1(VALU_DEP_2)
	v_sub_nc_u32_e64 v51, v50, v19 clamp
	v_min_u32_e32 v52, v50, v25
	s_delay_alu instid0(VALU_DEP_1)
	v_cmpx_lt_u32_e64 v51, v52
	s_cbranch_execz .LBB1636_117
; %bb.114:
	v_mov_b32_e32 v25, 0
	s_mov_b32 s5, 0
	s_delay_alu instid0(VALU_DEP_1) | instskip(SKIP_1) | instid1(VALU_DEP_2)
	v_mov_b32_e32 v19, v25
	v_add_nc_u64_e32 v[26:27], v[12:13], v[24:25]
	v_add_nc_u64_e32 v[28:29], v[12:13], v[18:19]
.LBB1636_115:                           ; =>This Inner Loop Header: Depth=1
	v_add_nc_u32_e32 v19, v52, v51
	s_delay_alu instid0(VALU_DEP_1) | instskip(NEXT) | instid1(VALU_DEP_1)
	v_lshrrev_b32_e32 v19, 1, v19
	v_not_b32_e32 v25, v19
	v_dual_add_nc_u32 v27, v26, v19 :: v_dual_add_nc_u32 v29, 1, v19
	s_delay_alu instid0(VALU_DEP_2) | instskip(SKIP_4) | instid1(VALU_DEP_1)
	v_add3_u32 v25, v50, v25, v28
	ds_load_u8 v27, v27
	ds_load_u8 v25, v25
	s_wait_dscnt 0x0
	v_cmp_gt_u16_e64 s3, v27, v25
	v_cndmask_b32_e64 v52, v52, v19, s3
	v_cndmask_b32_e64 v51, v29, v51, s3
	s_delay_alu instid0(VALU_DEP_1) | instskip(SKIP_1) | instid1(SALU_CYCLE_1)
	v_cmp_ge_u32_e64 s3, v51, v52
	s_or_b32 s5, s3, s5
	s_and_not1_b32 exec_lo, exec_lo, s5
	s_cbranch_execnz .LBB1636_115
; %bb.116:
	s_or_b32 exec_lo, exec_lo, s5
.LBB1636_117:
	s_delay_alu instid0(SALU_CYCLE_1) | instskip(SKIP_1) | instid1(VALU_DEP_1)
	s_or_b32 exec_lo, exec_lo, s4
	v_dual_add_nc_u32 v19, v18, v50 :: v_dual_add_nc_u32 v26, v51, v24
	v_sub_nc_u32_e32 v25, v19, v51
	s_delay_alu instid0(VALU_DEP_2) | instskip(NEXT) | instid1(VALU_DEP_2)
	v_cmp_le_u32_e64 s3, v26, v18
	v_cmp_le_u32_e64 s4, v25, v49
	s_or_b32 s3, s3, s4
	s_delay_alu instid0(SALU_CYCLE_1)
	s_and_saveexec_b32 s9, s3
	s_cbranch_execz .LBB1636_123
; %bb.118:
	v_cmp_lt_u32_e64 s3, v26, v18
                                        ; implicit-def: $vgpr19
	s_and_saveexec_b32 s4, s3
; %bb.119:
	v_add_nc_u32_e32 v14, v12, v26
	ds_load_u8 v19, v14
; %bb.120:
	s_or_b32 exec_lo, exec_lo, s4
	v_cmp_ge_u32_e64 s4, v25, v49
	s_mov_b32 s6, exec_lo
                                        ; implicit-def: $vgpr24
	v_cmpx_lt_u32_e64 v25, v49
; %bb.121:
	v_add_nc_u32_e32 v14, v12, v25
	ds_load_u8 v24, v14
; %bb.122:
	s_or_b32 exec_lo, exec_lo, s6
	s_wait_dscnt 0x0
	v_and_b32_e32 v14, 0xff, v24
	v_and_b32_e32 v15, 0xff, v19
	s_delay_alu instid0(VALU_DEP_1) | instskip(SKIP_1) | instid1(SALU_CYCLE_1)
	v_cmp_le_u16_e64 s5, v15, v14
	s_and_b32 s3, s3, s5
	s_or_b32 s3, s4, s3
	s_delay_alu instid0(SALU_CYCLE_1) | instskip(NEXT) | instid1(VALU_DEP_1)
	v_cndmask_b32_e64 v14, v25, v26, s3
	v_add_nc_u32_e32 v16, 1, v14
	v_cndmask_b32_e64 v15, v49, v18, s3
	s_delay_alu instid0(VALU_DEP_1) | instskip(NEXT) | instid1(VALU_DEP_1)
	v_add_min_u32_e64 v15, v15, -1, v16
	v_add_nc_u32_e32 v15, v12, v15
	v_lshl_add_u32 v14, v14, 3, v10
	ds_load_u8 v15, v15
	s_wait_dscnt 0x0
	v_cndmask_b32_e64 v27, v15, v24, s3
	v_dual_cndmask_b32 v28, v19, v15, s3 :: v_dual_cndmask_b32 v15, v26, v16, s3
	v_cndmask_b32_e64 v16, v16, v25, s3
	s_delay_alu instid0(VALU_DEP_3) | instskip(NEXT) | instid1(VALU_DEP_3)
	v_and_b32_e32 v17, 0xff, v27
	v_and_b32_e32 v20, 0xff, v28
	s_delay_alu instid0(VALU_DEP_4) | instskip(NEXT) | instid1(VALU_DEP_4)
	v_cmp_lt_u32_e64 s4, v15, v18
	v_cmp_ge_u32_e64 s6, v16, v49
	s_delay_alu instid0(VALU_DEP_3) | instskip(SKIP_1) | instid1(SALU_CYCLE_1)
	v_cmp_le_u16_e64 s5, v20, v17
	s_and_b32 s4, s4, s5
	s_or_b32 s4, s6, s4
	s_delay_alu instid0(SALU_CYCLE_1) | instskip(NEXT) | instid1(VALU_DEP_1)
	v_dual_cndmask_b32 v17, v16, v15, s4 :: v_dual_cndmask_b32 v20, v49, v18, s4
	v_dual_cndmask_b32 v30, v27, v28, s4 :: v_dual_add_nc_u32 v21, 1, v17
	s_delay_alu instid0(VALU_DEP_1) | instskip(NEXT) | instid1(VALU_DEP_1)
	v_add_min_u32_e64 v20, v20, -1, v21
	v_dual_add_nc_u32 v20, v12, v20 :: v_dual_cndmask_b32 v15, v15, v21, s4
	v_cndmask_b32_e64 v16, v21, v16, s4
	ds_load_u8 v20, v20
	v_cmp_lt_u32_e64 s5, v15, v18
	v_cmp_ge_u32_e64 s7, v16, v49
	s_wait_dscnt 0x0
	v_cndmask_b32_e64 v25, v20, v27, s4
	v_cndmask_b32_e64 v26, v28, v20, s4
	s_delay_alu instid0(VALU_DEP_2) | instskip(NEXT) | instid1(VALU_DEP_2)
	v_and_b32_e32 v20, 0xff, v25
	v_and_b32_e32 v22, 0xff, v26
	s_delay_alu instid0(VALU_DEP_1) | instskip(SKIP_1) | instid1(SALU_CYCLE_1)
	v_cmp_le_u16_e64 s6, v22, v20
	s_and_b32 s5, s5, s6
	s_or_b32 s5, s7, s5
	s_delay_alu instid0(SALU_CYCLE_1) | instskip(SKIP_1) | instid1(VALU_DEP_2)
	v_dual_cndmask_b32 v20, v16, v15, s5 :: v_dual_cndmask_b32 v21, v49, v18, s5
	v_dual_cndmask_b32 v34, v24, v19, s3 :: v_dual_cndmask_b32 v33, v25, v26, s5
	v_add_nc_u32_e32 v22, 1, v20
	s_delay_alu instid0(VALU_DEP_1) | instskip(NEXT) | instid1(VALU_DEP_1)
	v_add_min_u32_e64 v21, v21, -1, v22
	v_add_nc_u32_e32 v21, v12, v21
	ds_load_u8 v21, v21
	s_wait_dscnt 0x0
	v_cndmask_b32_e64 v29, v21, v25, s5
	v_dual_cndmask_b32 v32, v26, v21, s5 :: v_dual_cndmask_b32 v15, v15, v22, s5
	v_cndmask_b32_e64 v16, v22, v16, s5
	s_delay_alu instid0(VALU_DEP_3) | instskip(NEXT) | instid1(VALU_DEP_3)
	v_and_b32_e32 v21, 0xff, v29
	v_and_b32_e32 v23, 0xff, v32
	s_delay_alu instid0(VALU_DEP_4) | instskip(NEXT) | instid1(VALU_DEP_4)
	v_cmp_lt_u32_e64 s6, v15, v18
	v_cmp_ge_u32_e64 s8, v16, v49
	s_delay_alu instid0(VALU_DEP_3) | instskip(SKIP_1) | instid1(SALU_CYCLE_1)
	v_cmp_le_u16_e64 s7, v23, v21
	s_and_b32 s6, s6, s7
	s_or_b32 s6, s8, s6
	s_delay_alu instid0(SALU_CYCLE_1) | instskip(SKIP_3) | instid1(VALU_DEP_4)
	v_cndmask_b32_e64 v15, v16, v15, s6
	v_lshl_add_u32 v16, v17, 3, v10
	v_lshl_add_u32 v17, v20, 3, v10
	v_cndmask_b32_e64 v32, v29, v32, s6
	v_lshl_add_u32 v18, v15, 3, v10
	ds_load_b64 v[14:15], v14 offset:1024
	ds_load_b64 v[22:23], v16 offset:1024
	;; [unrolled: 1-line block ×4, first 2 shown]
.LBB1636_123:
	s_or_b32 exec_lo, exec_lo, s9
	v_min_u32_e32 v18, 64, v5
	v_min_u32_e32 v27, v5, v0
	; wave barrier
	ds_store_b8 v11, v34
	s_wait_dscnt 0x4
	ds_store_b64 v48, v[14:15]
	v_add_min_u32_e64 v26, v18, 64, v5
	v_min_u32_e32 v11, v27, v18
	s_mov_b32 s4, exec_lo
	ds_store_b8 v36, v30
	s_wait_dscnt 0x5
	ds_store_b64 v37, v[22:23]
	ds_store_b8 v38, v33
	s_wait_dscnt 0x6
	ds_store_b64 v39, v[16:17]
	;; [unrolled: 3-line block ×3, first 2 shown]
	v_sub_nc_u32_e32 v5, v26, v18
	; wave barrier
	s_delay_alu instid0(VALU_DEP_1) | instskip(NEXT) | instid1(VALU_DEP_1)
	v_sub_nc_u32_e64 v5, v27, v5 clamp
	v_cmpx_lt_u32_e64 v5, v11
	s_cbranch_execz .LBB1636_127
; %bb.124:
	v_mov_b32_e32 v19, 0
	s_mov_b32 s5, 0
	s_delay_alu instid0(VALU_DEP_1)
	v_add_nc_u64_e32 v[24:25], v[12:13], v[18:19]
.LBB1636_125:                           ; =>This Inner Loop Header: Depth=1
	v_add_nc_u32_e32 v13, v11, v5
	s_delay_alu instid0(VALU_DEP_1) | instskip(NEXT) | instid1(VALU_DEP_1)
	v_lshrrev_b32_e32 v13, 1, v13
	v_not_b32_e32 v19, v13
	v_dual_add_nc_u32 v25, v12, v13 :: v_dual_add_nc_u32 v28, 1, v13
	s_delay_alu instid0(VALU_DEP_2) | instskip(SKIP_4) | instid1(VALU_DEP_1)
	v_add3_u32 v19, v27, v19, v24
	ds_load_u8 v25, v25
	ds_load_u8 v19, v19
	s_wait_dscnt 0x0
	v_cmp_gt_u16_e64 s3, v25, v19
	v_cndmask_b32_e64 v11, v11, v13, s3
	v_cndmask_b32_e64 v5, v28, v5, s3
	s_delay_alu instid0(VALU_DEP_1) | instskip(SKIP_1) | instid1(SALU_CYCLE_1)
	v_cmp_ge_u32_e64 s3, v5, v11
	s_or_b32 s5, s3, s5
	s_and_not1_b32 exec_lo, exec_lo, s5
	s_cbranch_execnz .LBB1636_125
; %bb.126:
	s_or_b32 exec_lo, exec_lo, s5
.LBB1636_127:
	s_delay_alu instid0(SALU_CYCLE_1) | instskip(SKIP_2) | instid1(VALU_DEP_2)
	s_or_b32 exec_lo, exec_lo, s4
	v_add_nc_u32_e32 v11, v18, v27
	v_cmp_le_u32_e64 s3, v5, v18
	v_sub_nc_u32_e32 v19, v11, v5
	s_delay_alu instid0(VALU_DEP_1) | instskip(SKIP_1) | instid1(SALU_CYCLE_1)
	v_cmp_le_u32_e64 s4, v19, v26
	s_or_b32 s3, s3, s4
	s_and_saveexec_b32 s9, s3
	s_cbranch_execz .LBB1636_133
; %bb.128:
	v_cmp_lt_u32_e64 s3, v5, v18
                                        ; implicit-def: $vgpr11
	s_and_saveexec_b32 s4, s3
; %bb.129:
	v_add_nc_u32_e32 v11, v12, v5
	ds_load_u8 v11, v11
; %bb.130:
	s_or_b32 exec_lo, exec_lo, s4
	v_cmp_ge_u32_e64 s4, v19, v26
	s_mov_b32 s6, exec_lo
                                        ; implicit-def: $vgpr13
	v_cmpx_lt_u32_e64 v19, v26
; %bb.131:
	v_add_nc_u32_e32 v13, v12, v19
	ds_load_u8 v13, v13
; %bb.132:
	s_or_b32 exec_lo, exec_lo, s6
	s_wait_dscnt 0x0
	v_and_b32_e32 v14, 0xff, v13
	v_and_b32_e32 v15, 0xff, v11
	s_delay_alu instid0(VALU_DEP_1) | instskip(SKIP_1) | instid1(SALU_CYCLE_1)
	v_cmp_le_u16_e64 s5, v15, v14
	s_and_b32 s3, s3, s5
	s_or_b32 s3, s4, s3
	s_delay_alu instid0(SALU_CYCLE_1) | instskip(NEXT) | instid1(VALU_DEP_1)
	v_dual_cndmask_b32 v14, v19, v5, s3 :: v_dual_cndmask_b32 v15, v26, v18, s3
	v_dual_cndmask_b32 v34, v13, v11, s3 :: v_dual_add_nc_u32 v16, 1, v14
	v_lshl_add_u32 v14, v14, 3, v10
	s_delay_alu instid0(VALU_DEP_2) | instskip(NEXT) | instid1(VALU_DEP_1)
	v_add_min_u32_e64 v15, v15, -1, v16
	v_dual_add_nc_u32 v15, v12, v15 :: v_dual_cndmask_b32 v5, v5, v16, s3
	v_cndmask_b32_e64 v16, v16, v19, s3
	ds_load_u8 v15, v15
	v_cmp_lt_u32_e64 s4, v5, v18
	v_cmp_ge_u32_e64 s6, v16, v26
	s_wait_dscnt 0x0
	v_cndmask_b32_e64 v24, v15, v13, s3
	v_cndmask_b32_e64 v25, v11, v15, s3
	s_delay_alu instid0(VALU_DEP_2) | instskip(NEXT) | instid1(VALU_DEP_2)
	v_and_b32_e32 v15, 0xff, v24
	v_and_b32_e32 v17, 0xff, v25
	s_delay_alu instid0(VALU_DEP_1) | instskip(SKIP_1) | instid1(SALU_CYCLE_1)
	v_cmp_le_u16_e64 s5, v17, v15
	s_and_b32 s4, s4, s5
	s_or_b32 s4, s6, s4
	s_delay_alu instid0(SALU_CYCLE_1) | instskip(NEXT) | instid1(VALU_DEP_1)
	v_dual_cndmask_b32 v17, v26, v18, s4 :: v_dual_cndmask_b32 v15, v16, v5, s4
	v_add_nc_u32_e32 v19, 1, v15
	s_delay_alu instid0(VALU_DEP_1) | instskip(NEXT) | instid1(VALU_DEP_1)
	v_add_min_u32_e64 v17, v17, -1, v19
	v_dual_add_nc_u32 v17, v12, v17 :: v_dual_cndmask_b32 v5, v5, v19, s4
	v_cndmask_b32_e64 v16, v19, v16, s4
	ds_load_u8 v17, v17
	v_cmp_lt_u32_e64 s5, v5, v18
	v_cmp_ge_u32_e64 s7, v16, v26
	s_wait_dscnt 0x0
	v_cndmask_b32_e64 v27, v17, v24, s4
	v_cndmask_b32_e64 v28, v25, v17, s4
	s_delay_alu instid0(VALU_DEP_2) | instskip(NEXT) | instid1(VALU_DEP_2)
	v_and_b32_e32 v17, 0xff, v27
	v_and_b32_e32 v20, 0xff, v28
	s_delay_alu instid0(VALU_DEP_1) | instskip(SKIP_1) | instid1(SALU_CYCLE_1)
	v_cmp_le_u16_e64 s6, v20, v17
	s_and_b32 s5, s5, s6
	s_or_b32 s5, s7, s5
	s_delay_alu instid0(SALU_CYCLE_1) | instskip(NEXT) | instid1(VALU_DEP_1)
	v_dual_cndmask_b32 v19, v26, v18, s5 :: v_dual_cndmask_b32 v17, v16, v5, s5
	v_dual_cndmask_b32 v33, v27, v28, s5 :: v_dual_add_nc_u32 v20, 1, v17
	v_lshl_add_u32 v17, v17, 3, v10
	s_delay_alu instid0(VALU_DEP_2) | instskip(NEXT) | instid1(VALU_DEP_1)
	v_add_min_u32_e64 v19, v19, -1, v20
	v_dual_add_nc_u32 v12, v12, v19 :: v_dual_cndmask_b32 v5, v5, v20, s5
	v_cndmask_b32_e64 v16, v20, v16, s5
	ds_load_u8 v12, v12
	v_cmp_lt_u32_e64 s6, v5, v18
	v_cmp_ge_u32_e64 s8, v16, v26
	s_wait_dscnt 0x0
	v_cndmask_b32_e64 v19, v12, v27, s5
	v_cndmask_b32_e64 v12, v28, v12, s5
	s_delay_alu instid0(VALU_DEP_2) | instskip(NEXT) | instid1(VALU_DEP_2)
	v_and_b32_e32 v21, 0xff, v19
	v_and_b32_e32 v22, 0xff, v12
	s_delay_alu instid0(VALU_DEP_1) | instskip(SKIP_1) | instid1(SALU_CYCLE_1)
	v_cmp_le_u16_e64 s7, v22, v21
	s_and_b32 s6, s6, s7
	s_or_b32 s6, s8, s6
	s_delay_alu instid0(SALU_CYCLE_1) | instskip(SKIP_2) | instid1(VALU_DEP_2)
	v_dual_cndmask_b32 v30, v24, v25, s4 :: v_dual_cndmask_b32 v32, v19, v12, s6
	v_cndmask_b32_e64 v5, v16, v5, s6
	v_lshl_add_u32 v16, v15, 3, v10
	v_lshl_add_u32 v5, v5, 3, v10
	ds_load_b64 v[14:15], v14 offset:1024
	ds_load_b64 v[22:23], v16 offset:1024
	;; [unrolled: 1-line block ×4, first 2 shown]
.LBB1636_133:
	s_or_b32 exec_lo, exec_lo, s9
	; wave barrier
	s_wait_storecnt_dscnt 0x0
	s_barrier_signal -1
	s_barrier_wait -1
.LBB1636_134:
	s_or_b32 exec_lo, exec_lo, s10
	v_add_nc_u64_e32 v[2:3], v[2:3], v[8:9]
	; wave barrier
	s_delay_alu instid0(VALU_DEP_1)
	v_add_nc_u64_e32 v[0:1], v[2:3], v[0:1]
	s_and_saveexec_b32 s3, vcc_lo
	s_cbranch_execnz .LBB1636_144
; %bb.135:
	s_or_b32 exec_lo, exec_lo, s3
	s_and_saveexec_b32 s3, s0
	s_cbranch_execnz .LBB1636_145
.LBB1636_136:
	s_or_b32 exec_lo, exec_lo, s3
	s_and_saveexec_b32 s3, s1
	s_cbranch_execnz .LBB1636_146
.LBB1636_137:
	s_or_b32 exec_lo, exec_lo, s3
	s_and_saveexec_b32 s3, s2
	s_cbranch_execz .LBB1636_139
.LBB1636_138:
	s_wait_loadcnt_dscnt 0x0
	flat_store_b8 v[0:1], v32 offset:3
.LBB1636_139:
	s_wait_xcnt 0x0
	s_or_b32 exec_lo, exec_lo, s3
	v_lshl_add_u64 v[0:1], v[8:9], 3, v[6:7]
	v_mov_b32_e32 v5, 0
	; wave barrier
	s_delay_alu instid0(VALU_DEP_1)
	v_add_nc_u64_e32 v[0:1], v[0:1], v[4:5]
	s_and_saveexec_b32 s3, vcc_lo
	s_cbranch_execnz .LBB1636_147
; %bb.140:
	s_or_b32 exec_lo, exec_lo, s3
	s_and_saveexec_b32 s3, s0
	s_cbranch_execnz .LBB1636_148
.LBB1636_141:
	s_or_b32 exec_lo, exec_lo, s3
	s_and_saveexec_b32 s0, s1
	s_cbranch_execnz .LBB1636_149
.LBB1636_142:
	s_or_b32 exec_lo, exec_lo, s0
	s_and_saveexec_b32 s0, s2
	s_cbranch_execnz .LBB1636_150
.LBB1636_143:
	s_or_b32 exec_lo, exec_lo, s0
	s_wait_loadcnt_dscnt 0x0
	s_set_pc_i64 s[30:31]
.LBB1636_144:
	s_wait_loadcnt_dscnt 0x0
	flat_store_b8 v[0:1], v34
	s_wait_xcnt 0x0
	s_or_b32 exec_lo, exec_lo, s3
	s_and_saveexec_b32 s3, s0
	s_cbranch_execz .LBB1636_136
.LBB1636_145:
	s_wait_loadcnt_dscnt 0x0
	flat_store_b8 v[0:1], v30 offset:1
	s_wait_xcnt 0x0
	s_or_b32 exec_lo, exec_lo, s3
	s_and_saveexec_b32 s3, s1
	s_cbranch_execz .LBB1636_137
.LBB1636_146:
	s_wait_loadcnt_dscnt 0x0
	flat_store_b8 v[0:1], v33 offset:2
	s_wait_xcnt 0x0
	s_or_b32 exec_lo, exec_lo, s3
	s_and_saveexec_b32 s3, s2
	s_cbranch_execnz .LBB1636_138
	s_branch .LBB1636_139
.LBB1636_147:
	s_wait_loadcnt_dscnt 0x0
	flat_store_b64 v[0:1], v[14:15]
	s_wait_xcnt 0x0
	s_or_b32 exec_lo, exec_lo, s3
	s_and_saveexec_b32 s3, s0
	s_cbranch_execz .LBB1636_141
.LBB1636_148:
	flat_store_b64 v[0:1], v[22:23] offset:8
	s_wait_xcnt 0x0
	s_or_b32 exec_lo, exec_lo, s3
	s_and_saveexec_b32 s0, s1
	s_cbranch_execz .LBB1636_142
.LBB1636_149:
	flat_store_b64 v[0:1], v[16:17] offset:16
	s_wait_xcnt 0x0
	s_or_b32 exec_lo, exec_lo, s0
	s_and_saveexec_b32 s0, s2
	s_cbranch_execz .LBB1636_143
.LBB1636_150:
	flat_store_b64 v[0:1], v[20:21] offset:24
	s_wait_xcnt 0x0
	s_or_b32 exec_lo, exec_lo, s0
	s_wait_loadcnt_dscnt 0x0
	s_set_pc_i64 s[30:31]
.Lfunc_end1636:
	.size	_ZN7rocprim17ROCPRIM_400000_NS6detail26segmented_warp_sort_helperINS1_20WarpSortHelperConfigILj32ELj4ELj256EEEblLi256ELb0EvE4sortIPKbPbPKlPlEEvT_T0_T1_T2_jjjjRNS5_12storage_typeE, .Lfunc_end1636-_ZN7rocprim17ROCPRIM_400000_NS6detail26segmented_warp_sort_helperINS1_20WarpSortHelperConfigILj32ELj4ELj256EEEblLi256ELb0EvE4sortIPKbPbPKlPlEEvT_T0_T1_T2_jjjjRNS5_12storage_typeE
                                        ; -- End function
	.set .L_ZN7rocprim17ROCPRIM_400000_NS6detail26segmented_warp_sort_helperINS1_20WarpSortHelperConfigILj32ELj4ELj256EEEblLi256ELb0EvE4sortIPKbPbPKlPlEEvT_T0_T1_T2_jjjjRNS5_12storage_typeE.num_vgpr, 56
	.set .L_ZN7rocprim17ROCPRIM_400000_NS6detail26segmented_warp_sort_helperINS1_20WarpSortHelperConfigILj32ELj4ELj256EEEblLi256ELb0EvE4sortIPKbPbPKlPlEEvT_T0_T1_T2_jjjjRNS5_12storage_typeE.num_agpr, 0
	.set .L_ZN7rocprim17ROCPRIM_400000_NS6detail26segmented_warp_sort_helperINS1_20WarpSortHelperConfigILj32ELj4ELj256EEEblLi256ELb0EvE4sortIPKbPbPKlPlEEvT_T0_T1_T2_jjjjRNS5_12storage_typeE.numbered_sgpr, 33
	.set .L_ZN7rocprim17ROCPRIM_400000_NS6detail26segmented_warp_sort_helperINS1_20WarpSortHelperConfigILj32ELj4ELj256EEEblLi256ELb0EvE4sortIPKbPbPKlPlEEvT_T0_T1_T2_jjjjRNS5_12storage_typeE.num_named_barrier, 0
	.set .L_ZN7rocprim17ROCPRIM_400000_NS6detail26segmented_warp_sort_helperINS1_20WarpSortHelperConfigILj32ELj4ELj256EEEblLi256ELb0EvE4sortIPKbPbPKlPlEEvT_T0_T1_T2_jjjjRNS5_12storage_typeE.private_seg_size, 12
	.set .L_ZN7rocprim17ROCPRIM_400000_NS6detail26segmented_warp_sort_helperINS1_20WarpSortHelperConfigILj32ELj4ELj256EEEblLi256ELb0EvE4sortIPKbPbPKlPlEEvT_T0_T1_T2_jjjjRNS5_12storage_typeE.uses_vcc, 1
	.set .L_ZN7rocprim17ROCPRIM_400000_NS6detail26segmented_warp_sort_helperINS1_20WarpSortHelperConfigILj32ELj4ELj256EEEblLi256ELb0EvE4sortIPKbPbPKlPlEEvT_T0_T1_T2_jjjjRNS5_12storage_typeE.uses_flat_scratch, 1
	.set .L_ZN7rocprim17ROCPRIM_400000_NS6detail26segmented_warp_sort_helperINS1_20WarpSortHelperConfigILj32ELj4ELj256EEEblLi256ELb0EvE4sortIPKbPbPKlPlEEvT_T0_T1_T2_jjjjRNS5_12storage_typeE.has_dyn_sized_stack, 0
	.set .L_ZN7rocprim17ROCPRIM_400000_NS6detail26segmented_warp_sort_helperINS1_20WarpSortHelperConfigILj32ELj4ELj256EEEblLi256ELb0EvE4sortIPKbPbPKlPlEEvT_T0_T1_T2_jjjjRNS5_12storage_typeE.has_recursion, 0
	.set .L_ZN7rocprim17ROCPRIM_400000_NS6detail26segmented_warp_sort_helperINS1_20WarpSortHelperConfigILj32ELj4ELj256EEEblLi256ELb0EvE4sortIPKbPbPKlPlEEvT_T0_T1_T2_jjjjRNS5_12storage_typeE.has_indirect_call, 0
	.section	.AMDGPU.csdata,"",@progbits
; Function info:
; codeLenInByte = 13528
; TotalNumSgprs: 35
; NumVgprs: 56
; ScratchSize: 12
; MemoryBound: 1
	.section	.text._ZN7rocprim17ROCPRIM_400000_NS6detail17trampoline_kernelINS0_14default_configENS1_36segmented_radix_sort_config_selectorIblEEZNS1_25segmented_radix_sort_implIS3_Lb0EPKbPbPKlPlN2at6native12_GLOBAL__N_18offset_tEEE10hipError_tPvRmT1_PNSt15iterator_traitsISK_E10value_typeET2_T3_PNSL_ISQ_E10value_typeET4_jRbjT5_SW_jjP12ihipStream_tbEUlT_E0_NS1_11comp_targetILNS1_3genE0ELNS1_11target_archE4294967295ELNS1_3gpuE0ELNS1_3repE0EEENS1_60segmented_radix_sort_warp_sort_medium_config_static_selectorELNS0_4arch9wavefront6targetE0EEEvSK_,"axG",@progbits,_ZN7rocprim17ROCPRIM_400000_NS6detail17trampoline_kernelINS0_14default_configENS1_36segmented_radix_sort_config_selectorIblEEZNS1_25segmented_radix_sort_implIS3_Lb0EPKbPbPKlPlN2at6native12_GLOBAL__N_18offset_tEEE10hipError_tPvRmT1_PNSt15iterator_traitsISK_E10value_typeET2_T3_PNSL_ISQ_E10value_typeET4_jRbjT5_SW_jjP12ihipStream_tbEUlT_E0_NS1_11comp_targetILNS1_3genE0ELNS1_11target_archE4294967295ELNS1_3gpuE0ELNS1_3repE0EEENS1_60segmented_radix_sort_warp_sort_medium_config_static_selectorELNS0_4arch9wavefront6targetE0EEEvSK_,comdat
	.globl	_ZN7rocprim17ROCPRIM_400000_NS6detail17trampoline_kernelINS0_14default_configENS1_36segmented_radix_sort_config_selectorIblEEZNS1_25segmented_radix_sort_implIS3_Lb0EPKbPbPKlPlN2at6native12_GLOBAL__N_18offset_tEEE10hipError_tPvRmT1_PNSt15iterator_traitsISK_E10value_typeET2_T3_PNSL_ISQ_E10value_typeET4_jRbjT5_SW_jjP12ihipStream_tbEUlT_E0_NS1_11comp_targetILNS1_3genE0ELNS1_11target_archE4294967295ELNS1_3gpuE0ELNS1_3repE0EEENS1_60segmented_radix_sort_warp_sort_medium_config_static_selectorELNS0_4arch9wavefront6targetE0EEEvSK_ ; -- Begin function _ZN7rocprim17ROCPRIM_400000_NS6detail17trampoline_kernelINS0_14default_configENS1_36segmented_radix_sort_config_selectorIblEEZNS1_25segmented_radix_sort_implIS3_Lb0EPKbPbPKlPlN2at6native12_GLOBAL__N_18offset_tEEE10hipError_tPvRmT1_PNSt15iterator_traitsISK_E10value_typeET2_T3_PNSL_ISQ_E10value_typeET4_jRbjT5_SW_jjP12ihipStream_tbEUlT_E0_NS1_11comp_targetILNS1_3genE0ELNS1_11target_archE4294967295ELNS1_3gpuE0ELNS1_3repE0EEENS1_60segmented_radix_sort_warp_sort_medium_config_static_selectorELNS0_4arch9wavefront6targetE0EEEvSK_
	.p2align	8
	.type	_ZN7rocprim17ROCPRIM_400000_NS6detail17trampoline_kernelINS0_14default_configENS1_36segmented_radix_sort_config_selectorIblEEZNS1_25segmented_radix_sort_implIS3_Lb0EPKbPbPKlPlN2at6native12_GLOBAL__N_18offset_tEEE10hipError_tPvRmT1_PNSt15iterator_traitsISK_E10value_typeET2_T3_PNSL_ISQ_E10value_typeET4_jRbjT5_SW_jjP12ihipStream_tbEUlT_E0_NS1_11comp_targetILNS1_3genE0ELNS1_11target_archE4294967295ELNS1_3gpuE0ELNS1_3repE0EEENS1_60segmented_radix_sort_warp_sort_medium_config_static_selectorELNS0_4arch9wavefront6targetE0EEEvSK_,@function
_ZN7rocprim17ROCPRIM_400000_NS6detail17trampoline_kernelINS0_14default_configENS1_36segmented_radix_sort_config_selectorIblEEZNS1_25segmented_radix_sort_implIS3_Lb0EPKbPbPKlPlN2at6native12_GLOBAL__N_18offset_tEEE10hipError_tPvRmT1_PNSt15iterator_traitsISK_E10value_typeET2_T3_PNSL_ISQ_E10value_typeET4_jRbjT5_SW_jjP12ihipStream_tbEUlT_E0_NS1_11comp_targetILNS1_3genE0ELNS1_11target_archE4294967295ELNS1_3gpuE0ELNS1_3repE0EEENS1_60segmented_radix_sort_warp_sort_medium_config_static_selectorELNS0_4arch9wavefront6targetE0EEEvSK_: ; @_ZN7rocprim17ROCPRIM_400000_NS6detail17trampoline_kernelINS0_14default_configENS1_36segmented_radix_sort_config_selectorIblEEZNS1_25segmented_radix_sort_implIS3_Lb0EPKbPbPKlPlN2at6native12_GLOBAL__N_18offset_tEEE10hipError_tPvRmT1_PNSt15iterator_traitsISK_E10value_typeET2_T3_PNSL_ISQ_E10value_typeET4_jRbjT5_SW_jjP12ihipStream_tbEUlT_E0_NS1_11comp_targetILNS1_3genE0ELNS1_11target_archE4294967295ELNS1_3gpuE0ELNS1_3repE0EEENS1_60segmented_radix_sort_warp_sort_medium_config_static_selectorELNS0_4arch9wavefront6targetE0EEEvSK_
; %bb.0:
	s_load_b32 s4, s[2:3], 0x64
	v_bfe_u32 v1, v0, 10, 10
	v_bfe_u32 v2, v0, 20, 10
	v_and_b32_e32 v3, 0x3ff, v0
	s_and_b32 s6, ttmp6, 15
	s_getreg_b32 s7, hwreg(HW_REG_IB_STS2, 6, 4)
	s_mov_b32 s32, 0
	s_wait_kmcnt 0x0
	s_lshr_b32 s5, s4, 16
	s_and_b32 s4, s4, 0xffff
	v_mad_u32_u24 v1, v2, s5, v1
	s_bfe_u32 s5, ttmp6, 0x4000c
	s_delay_alu instid0(SALU_CYCLE_1) | instskip(NEXT) | instid1(SALU_CYCLE_1)
	s_add_co_i32 s5, s5, 1
	s_mul_i32 s5, ttmp9, s5
	s_delay_alu instid0(VALU_DEP_1) | instskip(SKIP_4) | instid1(VALU_DEP_1)
	v_mad_u32 v1, v1, s4, v3
	s_load_b32 s4, s[2:3], 0x34
	s_add_co_i32 s6, s6, s5
	s_cmp_eq_u32 s7, 0
	s_cselect_b32 s5, ttmp9, s6
	v_lshrrev_b32_e32 v1, 5, v1
	s_delay_alu instid0(VALU_DEP_1) | instskip(SKIP_1) | instid1(VALU_DEP_1)
	v_lshl_add_u32 v1, s5, 3, v1
	s_wait_kmcnt 0x0
	v_cmp_gt_u32_e32 vcc_lo, s4, v1
	s_and_saveexec_b32 s4, vcc_lo
	s_cbranch_execz .LBB1637_6
; %bb.1:
	s_clause 0x1
	s_load_b64 s[8:9], s[2:3], 0x38
	s_load_b128 s[4:7], s[2:3], 0x40
	s_wait_kmcnt 0x0
	global_load_b32 v1, v1, s[8:9] scale_offset
	s_wait_loadcnt 0x0
	v_dual_add_nc_u32 v2, s5, v1 :: v_dual_add_nc_u32 v1, s7, v1
	s_delay_alu instid0(VALU_DEP_1) | instskip(NEXT) | instid1(VALU_DEP_2)
	v_mul_lo_u32 v8, v2, s4
	v_mul_lo_u32 v40, v1, s6
	s_delay_alu instid0(VALU_DEP_1)
	v_cmp_gt_u32_e32 vcc_lo, v40, v8
	s_and_b32 exec_lo, exec_lo, vcc_lo
	s_cbranch_execz .LBB1637_6
; %bb.2:
	s_clause 0x3
	s_load_b32 s4, s[2:3], 0x30
	s_load_b128 s[36:39], s[2:3], 0x20
	s_load_b256 s[20:27], s[2:3], 0x0
	s_load_b64 s[18:19], s[2:3], 0x50
	s_add_nc_u64 s[16:17], s[2:3], 0x58
	s_get_pc_i64 s[28:29]
	s_add_nc_u64 s[28:29], s[28:29], _ZN7rocprim17ROCPRIM_400000_NS6detail26segmented_warp_sort_helperINS1_20WarpSortHelperConfigILj32ELj4ELj256EEEblLi256ELb0EvE4sortIPKbPbPKlPlEEvT_T0_T1_T2_jjjjRNS5_12storage_typeE@rel64+4
	s_wait_kmcnt 0x0
	s_bitcmp0_b32 s4, 0
	s_mov_b32 s4, -1
	s_cbranch_scc0 .LBB1637_4
; %bb.3:
	s_mov_b64 s[2:3], src_shared_base
	v_dual_mov_b32 v31, v0 :: v_dual_mov_b32 v41, v0
	v_dual_mov_b32 v0, s20 :: v_dual_mov_b32 v1, s21
	;; [unrolled: 1-line block ×7, first 2 shown]
	v_mov_b32_e32 v13, s3
	s_mov_b64 s[6:7], s[0:1]
	s_mov_b64 s[8:9], s[16:17]
	;; [unrolled: 1-line block ×3, first 2 shown]
	s_swap_pc_i64 s[30:31], s[28:29]
	v_mov_b32_e32 v0, v41
	s_mov_b64 s[0:1], s[22:23]
	s_mov_b32 s4, 0
.LBB1637_4:
	s_delay_alu instid0(SALU_CYCLE_1)
	s_and_not1_b32 vcc_lo, exec_lo, s4
	s_cbranch_vccnz .LBB1637_6
; %bb.5:
	s_mov_b64 s[2:3], src_shared_base
	v_dual_mov_b32 v31, v0 :: v_dual_mov_b32 v0, s20
	v_dual_mov_b32 v1, s21 :: v_dual_mov_b32 v2, s24
	;; [unrolled: 1-line block ×7, first 2 shown]
	s_mov_b64 s[6:7], s[0:1]
	s_mov_b64 s[8:9], s[16:17]
	s_swap_pc_i64 s[30:31], s[28:29]
.LBB1637_6:
	s_endpgm
	.section	.rodata,"a",@progbits
	.p2align	6, 0x0
	.amdhsa_kernel _ZN7rocprim17ROCPRIM_400000_NS6detail17trampoline_kernelINS0_14default_configENS1_36segmented_radix_sort_config_selectorIblEEZNS1_25segmented_radix_sort_implIS3_Lb0EPKbPbPKlPlN2at6native12_GLOBAL__N_18offset_tEEE10hipError_tPvRmT1_PNSt15iterator_traitsISK_E10value_typeET2_T3_PNSL_ISQ_E10value_typeET4_jRbjT5_SW_jjP12ihipStream_tbEUlT_E0_NS1_11comp_targetILNS1_3genE0ELNS1_11target_archE4294967295ELNS1_3gpuE0ELNS1_3repE0EEENS1_60segmented_radix_sort_warp_sort_medium_config_static_selectorELNS0_4arch9wavefront6targetE0EEEvSK_
		.amdhsa_group_segment_fixed_size 9216
		.amdhsa_private_segment_fixed_size 12
		.amdhsa_kernarg_size 344
		.amdhsa_user_sgpr_count 4
		.amdhsa_user_sgpr_dispatch_ptr 0
		.amdhsa_user_sgpr_queue_ptr 1
		.amdhsa_user_sgpr_kernarg_segment_ptr 1
		.amdhsa_user_sgpr_dispatch_id 0
		.amdhsa_user_sgpr_kernarg_preload_length 0
		.amdhsa_user_sgpr_kernarg_preload_offset 0
		.amdhsa_user_sgpr_private_segment_size 0
		.amdhsa_wavefront_size32 1
		.amdhsa_uses_dynamic_stack 0
		.amdhsa_enable_private_segment 1
		.amdhsa_system_sgpr_workgroup_id_x 1
		.amdhsa_system_sgpr_workgroup_id_y 1
		.amdhsa_system_sgpr_workgroup_id_z 0
		.amdhsa_system_sgpr_workgroup_info 0
		.amdhsa_system_vgpr_workitem_id 2
		.amdhsa_next_free_vgpr 56
		.amdhsa_next_free_sgpr 40
		.amdhsa_named_barrier_count 0
		.amdhsa_reserve_vcc 1
		.amdhsa_float_round_mode_32 0
		.amdhsa_float_round_mode_16_64 0
		.amdhsa_float_denorm_mode_32 3
		.amdhsa_float_denorm_mode_16_64 3
		.amdhsa_fp16_overflow 0
		.amdhsa_memory_ordered 1
		.amdhsa_forward_progress 1
		.amdhsa_inst_pref_size 4
		.amdhsa_round_robin_scheduling 0
		.amdhsa_exception_fp_ieee_invalid_op 0
		.amdhsa_exception_fp_denorm_src 0
		.amdhsa_exception_fp_ieee_div_zero 0
		.amdhsa_exception_fp_ieee_overflow 0
		.amdhsa_exception_fp_ieee_underflow 0
		.amdhsa_exception_fp_ieee_inexact 0
		.amdhsa_exception_int_div_zero 0
	.end_amdhsa_kernel
	.section	.text._ZN7rocprim17ROCPRIM_400000_NS6detail17trampoline_kernelINS0_14default_configENS1_36segmented_radix_sort_config_selectorIblEEZNS1_25segmented_radix_sort_implIS3_Lb0EPKbPbPKlPlN2at6native12_GLOBAL__N_18offset_tEEE10hipError_tPvRmT1_PNSt15iterator_traitsISK_E10value_typeET2_T3_PNSL_ISQ_E10value_typeET4_jRbjT5_SW_jjP12ihipStream_tbEUlT_E0_NS1_11comp_targetILNS1_3genE0ELNS1_11target_archE4294967295ELNS1_3gpuE0ELNS1_3repE0EEENS1_60segmented_radix_sort_warp_sort_medium_config_static_selectorELNS0_4arch9wavefront6targetE0EEEvSK_,"axG",@progbits,_ZN7rocprim17ROCPRIM_400000_NS6detail17trampoline_kernelINS0_14default_configENS1_36segmented_radix_sort_config_selectorIblEEZNS1_25segmented_radix_sort_implIS3_Lb0EPKbPbPKlPlN2at6native12_GLOBAL__N_18offset_tEEE10hipError_tPvRmT1_PNSt15iterator_traitsISK_E10value_typeET2_T3_PNSL_ISQ_E10value_typeET4_jRbjT5_SW_jjP12ihipStream_tbEUlT_E0_NS1_11comp_targetILNS1_3genE0ELNS1_11target_archE4294967295ELNS1_3gpuE0ELNS1_3repE0EEENS1_60segmented_radix_sort_warp_sort_medium_config_static_selectorELNS0_4arch9wavefront6targetE0EEEvSK_,comdat
.Lfunc_end1637:
	.size	_ZN7rocprim17ROCPRIM_400000_NS6detail17trampoline_kernelINS0_14default_configENS1_36segmented_radix_sort_config_selectorIblEEZNS1_25segmented_radix_sort_implIS3_Lb0EPKbPbPKlPlN2at6native12_GLOBAL__N_18offset_tEEE10hipError_tPvRmT1_PNSt15iterator_traitsISK_E10value_typeET2_T3_PNSL_ISQ_E10value_typeET4_jRbjT5_SW_jjP12ihipStream_tbEUlT_E0_NS1_11comp_targetILNS1_3genE0ELNS1_11target_archE4294967295ELNS1_3gpuE0ELNS1_3repE0EEENS1_60segmented_radix_sort_warp_sort_medium_config_static_selectorELNS0_4arch9wavefront6targetE0EEEvSK_, .Lfunc_end1637-_ZN7rocprim17ROCPRIM_400000_NS6detail17trampoline_kernelINS0_14default_configENS1_36segmented_radix_sort_config_selectorIblEEZNS1_25segmented_radix_sort_implIS3_Lb0EPKbPbPKlPlN2at6native12_GLOBAL__N_18offset_tEEE10hipError_tPvRmT1_PNSt15iterator_traitsISK_E10value_typeET2_T3_PNSL_ISQ_E10value_typeET4_jRbjT5_SW_jjP12ihipStream_tbEUlT_E0_NS1_11comp_targetILNS1_3genE0ELNS1_11target_archE4294967295ELNS1_3gpuE0ELNS1_3repE0EEENS1_60segmented_radix_sort_warp_sort_medium_config_static_selectorELNS0_4arch9wavefront6targetE0EEEvSK_
                                        ; -- End function
	.set _ZN7rocprim17ROCPRIM_400000_NS6detail17trampoline_kernelINS0_14default_configENS1_36segmented_radix_sort_config_selectorIblEEZNS1_25segmented_radix_sort_implIS3_Lb0EPKbPbPKlPlN2at6native12_GLOBAL__N_18offset_tEEE10hipError_tPvRmT1_PNSt15iterator_traitsISK_E10value_typeET2_T3_PNSL_ISQ_E10value_typeET4_jRbjT5_SW_jjP12ihipStream_tbEUlT_E0_NS1_11comp_targetILNS1_3genE0ELNS1_11target_archE4294967295ELNS1_3gpuE0ELNS1_3repE0EEENS1_60segmented_radix_sort_warp_sort_medium_config_static_selectorELNS0_4arch9wavefront6targetE0EEEvSK_.num_vgpr, max(42, .L_ZN7rocprim17ROCPRIM_400000_NS6detail26segmented_warp_sort_helperINS1_20WarpSortHelperConfigILj32ELj4ELj256EEEblLi256ELb0EvE4sortIPKbPbPKlPlEEvT_T0_T1_T2_jjjjRNS5_12storage_typeE.num_vgpr)
	.set _ZN7rocprim17ROCPRIM_400000_NS6detail17trampoline_kernelINS0_14default_configENS1_36segmented_radix_sort_config_selectorIblEEZNS1_25segmented_radix_sort_implIS3_Lb0EPKbPbPKlPlN2at6native12_GLOBAL__N_18offset_tEEE10hipError_tPvRmT1_PNSt15iterator_traitsISK_E10value_typeET2_T3_PNSL_ISQ_E10value_typeET4_jRbjT5_SW_jjP12ihipStream_tbEUlT_E0_NS1_11comp_targetILNS1_3genE0ELNS1_11target_archE4294967295ELNS1_3gpuE0ELNS1_3repE0EEENS1_60segmented_radix_sort_warp_sort_medium_config_static_selectorELNS0_4arch9wavefront6targetE0EEEvSK_.num_agpr, max(0, .L_ZN7rocprim17ROCPRIM_400000_NS6detail26segmented_warp_sort_helperINS1_20WarpSortHelperConfigILj32ELj4ELj256EEEblLi256ELb0EvE4sortIPKbPbPKlPlEEvT_T0_T1_T2_jjjjRNS5_12storage_typeE.num_agpr)
	.set _ZN7rocprim17ROCPRIM_400000_NS6detail17trampoline_kernelINS0_14default_configENS1_36segmented_radix_sort_config_selectorIblEEZNS1_25segmented_radix_sort_implIS3_Lb0EPKbPbPKlPlN2at6native12_GLOBAL__N_18offset_tEEE10hipError_tPvRmT1_PNSt15iterator_traitsISK_E10value_typeET2_T3_PNSL_ISQ_E10value_typeET4_jRbjT5_SW_jjP12ihipStream_tbEUlT_E0_NS1_11comp_targetILNS1_3genE0ELNS1_11target_archE4294967295ELNS1_3gpuE0ELNS1_3repE0EEENS1_60segmented_radix_sort_warp_sort_medium_config_static_selectorELNS0_4arch9wavefront6targetE0EEEvSK_.numbered_sgpr, max(40, .L_ZN7rocprim17ROCPRIM_400000_NS6detail26segmented_warp_sort_helperINS1_20WarpSortHelperConfigILj32ELj4ELj256EEEblLi256ELb0EvE4sortIPKbPbPKlPlEEvT_T0_T1_T2_jjjjRNS5_12storage_typeE.numbered_sgpr)
	.set _ZN7rocprim17ROCPRIM_400000_NS6detail17trampoline_kernelINS0_14default_configENS1_36segmented_radix_sort_config_selectorIblEEZNS1_25segmented_radix_sort_implIS3_Lb0EPKbPbPKlPlN2at6native12_GLOBAL__N_18offset_tEEE10hipError_tPvRmT1_PNSt15iterator_traitsISK_E10value_typeET2_T3_PNSL_ISQ_E10value_typeET4_jRbjT5_SW_jjP12ihipStream_tbEUlT_E0_NS1_11comp_targetILNS1_3genE0ELNS1_11target_archE4294967295ELNS1_3gpuE0ELNS1_3repE0EEENS1_60segmented_radix_sort_warp_sort_medium_config_static_selectorELNS0_4arch9wavefront6targetE0EEEvSK_.num_named_barrier, max(0, .L_ZN7rocprim17ROCPRIM_400000_NS6detail26segmented_warp_sort_helperINS1_20WarpSortHelperConfigILj32ELj4ELj256EEEblLi256ELb0EvE4sortIPKbPbPKlPlEEvT_T0_T1_T2_jjjjRNS5_12storage_typeE.num_named_barrier)
	.set _ZN7rocprim17ROCPRIM_400000_NS6detail17trampoline_kernelINS0_14default_configENS1_36segmented_radix_sort_config_selectorIblEEZNS1_25segmented_radix_sort_implIS3_Lb0EPKbPbPKlPlN2at6native12_GLOBAL__N_18offset_tEEE10hipError_tPvRmT1_PNSt15iterator_traitsISK_E10value_typeET2_T3_PNSL_ISQ_E10value_typeET4_jRbjT5_SW_jjP12ihipStream_tbEUlT_E0_NS1_11comp_targetILNS1_3genE0ELNS1_11target_archE4294967295ELNS1_3gpuE0ELNS1_3repE0EEENS1_60segmented_radix_sort_warp_sort_medium_config_static_selectorELNS0_4arch9wavefront6targetE0EEEvSK_.private_seg_size, 0+max(.L_ZN7rocprim17ROCPRIM_400000_NS6detail26segmented_warp_sort_helperINS1_20WarpSortHelperConfigILj32ELj4ELj256EEEblLi256ELb0EvE4sortIPKbPbPKlPlEEvT_T0_T1_T2_jjjjRNS5_12storage_typeE.private_seg_size)
	.set _ZN7rocprim17ROCPRIM_400000_NS6detail17trampoline_kernelINS0_14default_configENS1_36segmented_radix_sort_config_selectorIblEEZNS1_25segmented_radix_sort_implIS3_Lb0EPKbPbPKlPlN2at6native12_GLOBAL__N_18offset_tEEE10hipError_tPvRmT1_PNSt15iterator_traitsISK_E10value_typeET2_T3_PNSL_ISQ_E10value_typeET4_jRbjT5_SW_jjP12ihipStream_tbEUlT_E0_NS1_11comp_targetILNS1_3genE0ELNS1_11target_archE4294967295ELNS1_3gpuE0ELNS1_3repE0EEENS1_60segmented_radix_sort_warp_sort_medium_config_static_selectorELNS0_4arch9wavefront6targetE0EEEvSK_.uses_vcc, or(1, .L_ZN7rocprim17ROCPRIM_400000_NS6detail26segmented_warp_sort_helperINS1_20WarpSortHelperConfigILj32ELj4ELj256EEEblLi256ELb0EvE4sortIPKbPbPKlPlEEvT_T0_T1_T2_jjjjRNS5_12storage_typeE.uses_vcc)
	.set _ZN7rocprim17ROCPRIM_400000_NS6detail17trampoline_kernelINS0_14default_configENS1_36segmented_radix_sort_config_selectorIblEEZNS1_25segmented_radix_sort_implIS3_Lb0EPKbPbPKlPlN2at6native12_GLOBAL__N_18offset_tEEE10hipError_tPvRmT1_PNSt15iterator_traitsISK_E10value_typeET2_T3_PNSL_ISQ_E10value_typeET4_jRbjT5_SW_jjP12ihipStream_tbEUlT_E0_NS1_11comp_targetILNS1_3genE0ELNS1_11target_archE4294967295ELNS1_3gpuE0ELNS1_3repE0EEENS1_60segmented_radix_sort_warp_sort_medium_config_static_selectorELNS0_4arch9wavefront6targetE0EEEvSK_.uses_flat_scratch, or(0, .L_ZN7rocprim17ROCPRIM_400000_NS6detail26segmented_warp_sort_helperINS1_20WarpSortHelperConfigILj32ELj4ELj256EEEblLi256ELb0EvE4sortIPKbPbPKlPlEEvT_T0_T1_T2_jjjjRNS5_12storage_typeE.uses_flat_scratch)
	.set _ZN7rocprim17ROCPRIM_400000_NS6detail17trampoline_kernelINS0_14default_configENS1_36segmented_radix_sort_config_selectorIblEEZNS1_25segmented_radix_sort_implIS3_Lb0EPKbPbPKlPlN2at6native12_GLOBAL__N_18offset_tEEE10hipError_tPvRmT1_PNSt15iterator_traitsISK_E10value_typeET2_T3_PNSL_ISQ_E10value_typeET4_jRbjT5_SW_jjP12ihipStream_tbEUlT_E0_NS1_11comp_targetILNS1_3genE0ELNS1_11target_archE4294967295ELNS1_3gpuE0ELNS1_3repE0EEENS1_60segmented_radix_sort_warp_sort_medium_config_static_selectorELNS0_4arch9wavefront6targetE0EEEvSK_.has_dyn_sized_stack, or(0, .L_ZN7rocprim17ROCPRIM_400000_NS6detail26segmented_warp_sort_helperINS1_20WarpSortHelperConfigILj32ELj4ELj256EEEblLi256ELb0EvE4sortIPKbPbPKlPlEEvT_T0_T1_T2_jjjjRNS5_12storage_typeE.has_dyn_sized_stack)
	.set _ZN7rocprim17ROCPRIM_400000_NS6detail17trampoline_kernelINS0_14default_configENS1_36segmented_radix_sort_config_selectorIblEEZNS1_25segmented_radix_sort_implIS3_Lb0EPKbPbPKlPlN2at6native12_GLOBAL__N_18offset_tEEE10hipError_tPvRmT1_PNSt15iterator_traitsISK_E10value_typeET2_T3_PNSL_ISQ_E10value_typeET4_jRbjT5_SW_jjP12ihipStream_tbEUlT_E0_NS1_11comp_targetILNS1_3genE0ELNS1_11target_archE4294967295ELNS1_3gpuE0ELNS1_3repE0EEENS1_60segmented_radix_sort_warp_sort_medium_config_static_selectorELNS0_4arch9wavefront6targetE0EEEvSK_.has_recursion, or(0, .L_ZN7rocprim17ROCPRIM_400000_NS6detail26segmented_warp_sort_helperINS1_20WarpSortHelperConfigILj32ELj4ELj256EEEblLi256ELb0EvE4sortIPKbPbPKlPlEEvT_T0_T1_T2_jjjjRNS5_12storage_typeE.has_recursion)
	.set _ZN7rocprim17ROCPRIM_400000_NS6detail17trampoline_kernelINS0_14default_configENS1_36segmented_radix_sort_config_selectorIblEEZNS1_25segmented_radix_sort_implIS3_Lb0EPKbPbPKlPlN2at6native12_GLOBAL__N_18offset_tEEE10hipError_tPvRmT1_PNSt15iterator_traitsISK_E10value_typeET2_T3_PNSL_ISQ_E10value_typeET4_jRbjT5_SW_jjP12ihipStream_tbEUlT_E0_NS1_11comp_targetILNS1_3genE0ELNS1_11target_archE4294967295ELNS1_3gpuE0ELNS1_3repE0EEENS1_60segmented_radix_sort_warp_sort_medium_config_static_selectorELNS0_4arch9wavefront6targetE0EEEvSK_.has_indirect_call, or(0, .L_ZN7rocprim17ROCPRIM_400000_NS6detail26segmented_warp_sort_helperINS1_20WarpSortHelperConfigILj32ELj4ELj256EEEblLi256ELb0EvE4sortIPKbPbPKlPlEEvT_T0_T1_T2_jjjjRNS5_12storage_typeE.has_indirect_call)
	.section	.AMDGPU.csdata,"",@progbits
; Kernel info:
; codeLenInByte = 504
; TotalNumSgprs: 42
; NumVgprs: 56
; ScratchSize: 12
; MemoryBound: 0
; FloatMode: 240
; IeeeMode: 1
; LDSByteSize: 9216 bytes/workgroup (compile time only)
; SGPRBlocks: 0
; VGPRBlocks: 3
; NumSGPRsForWavesPerEU: 42
; NumVGPRsForWavesPerEU: 56
; NamedBarCnt: 0
; Occupancy: 16
; WaveLimiterHint : 0
; COMPUTE_PGM_RSRC2:SCRATCH_EN: 1
; COMPUTE_PGM_RSRC2:USER_SGPR: 4
; COMPUTE_PGM_RSRC2:TRAP_HANDLER: 0
; COMPUTE_PGM_RSRC2:TGID_X_EN: 1
; COMPUTE_PGM_RSRC2:TGID_Y_EN: 1
; COMPUTE_PGM_RSRC2:TGID_Z_EN: 0
; COMPUTE_PGM_RSRC2:TIDIG_COMP_CNT: 2
	.section	.text._ZN7rocprim17ROCPRIM_400000_NS6detail17trampoline_kernelINS0_14default_configENS1_36segmented_radix_sort_config_selectorIblEEZNS1_25segmented_radix_sort_implIS3_Lb0EPKbPbPKlPlN2at6native12_GLOBAL__N_18offset_tEEE10hipError_tPvRmT1_PNSt15iterator_traitsISK_E10value_typeET2_T3_PNSL_ISQ_E10value_typeET4_jRbjT5_SW_jjP12ihipStream_tbEUlT_E0_NS1_11comp_targetILNS1_3genE5ELNS1_11target_archE942ELNS1_3gpuE9ELNS1_3repE0EEENS1_60segmented_radix_sort_warp_sort_medium_config_static_selectorELNS0_4arch9wavefront6targetE0EEEvSK_,"axG",@progbits,_ZN7rocprim17ROCPRIM_400000_NS6detail17trampoline_kernelINS0_14default_configENS1_36segmented_radix_sort_config_selectorIblEEZNS1_25segmented_radix_sort_implIS3_Lb0EPKbPbPKlPlN2at6native12_GLOBAL__N_18offset_tEEE10hipError_tPvRmT1_PNSt15iterator_traitsISK_E10value_typeET2_T3_PNSL_ISQ_E10value_typeET4_jRbjT5_SW_jjP12ihipStream_tbEUlT_E0_NS1_11comp_targetILNS1_3genE5ELNS1_11target_archE942ELNS1_3gpuE9ELNS1_3repE0EEENS1_60segmented_radix_sort_warp_sort_medium_config_static_selectorELNS0_4arch9wavefront6targetE0EEEvSK_,comdat
	.globl	_ZN7rocprim17ROCPRIM_400000_NS6detail17trampoline_kernelINS0_14default_configENS1_36segmented_radix_sort_config_selectorIblEEZNS1_25segmented_radix_sort_implIS3_Lb0EPKbPbPKlPlN2at6native12_GLOBAL__N_18offset_tEEE10hipError_tPvRmT1_PNSt15iterator_traitsISK_E10value_typeET2_T3_PNSL_ISQ_E10value_typeET4_jRbjT5_SW_jjP12ihipStream_tbEUlT_E0_NS1_11comp_targetILNS1_3genE5ELNS1_11target_archE942ELNS1_3gpuE9ELNS1_3repE0EEENS1_60segmented_radix_sort_warp_sort_medium_config_static_selectorELNS0_4arch9wavefront6targetE0EEEvSK_ ; -- Begin function _ZN7rocprim17ROCPRIM_400000_NS6detail17trampoline_kernelINS0_14default_configENS1_36segmented_radix_sort_config_selectorIblEEZNS1_25segmented_radix_sort_implIS3_Lb0EPKbPbPKlPlN2at6native12_GLOBAL__N_18offset_tEEE10hipError_tPvRmT1_PNSt15iterator_traitsISK_E10value_typeET2_T3_PNSL_ISQ_E10value_typeET4_jRbjT5_SW_jjP12ihipStream_tbEUlT_E0_NS1_11comp_targetILNS1_3genE5ELNS1_11target_archE942ELNS1_3gpuE9ELNS1_3repE0EEENS1_60segmented_radix_sort_warp_sort_medium_config_static_selectorELNS0_4arch9wavefront6targetE0EEEvSK_
	.p2align	8
	.type	_ZN7rocprim17ROCPRIM_400000_NS6detail17trampoline_kernelINS0_14default_configENS1_36segmented_radix_sort_config_selectorIblEEZNS1_25segmented_radix_sort_implIS3_Lb0EPKbPbPKlPlN2at6native12_GLOBAL__N_18offset_tEEE10hipError_tPvRmT1_PNSt15iterator_traitsISK_E10value_typeET2_T3_PNSL_ISQ_E10value_typeET4_jRbjT5_SW_jjP12ihipStream_tbEUlT_E0_NS1_11comp_targetILNS1_3genE5ELNS1_11target_archE942ELNS1_3gpuE9ELNS1_3repE0EEENS1_60segmented_radix_sort_warp_sort_medium_config_static_selectorELNS0_4arch9wavefront6targetE0EEEvSK_,@function
_ZN7rocprim17ROCPRIM_400000_NS6detail17trampoline_kernelINS0_14default_configENS1_36segmented_radix_sort_config_selectorIblEEZNS1_25segmented_radix_sort_implIS3_Lb0EPKbPbPKlPlN2at6native12_GLOBAL__N_18offset_tEEE10hipError_tPvRmT1_PNSt15iterator_traitsISK_E10value_typeET2_T3_PNSL_ISQ_E10value_typeET4_jRbjT5_SW_jjP12ihipStream_tbEUlT_E0_NS1_11comp_targetILNS1_3genE5ELNS1_11target_archE942ELNS1_3gpuE9ELNS1_3repE0EEENS1_60segmented_radix_sort_warp_sort_medium_config_static_selectorELNS0_4arch9wavefront6targetE0EEEvSK_: ; @_ZN7rocprim17ROCPRIM_400000_NS6detail17trampoline_kernelINS0_14default_configENS1_36segmented_radix_sort_config_selectorIblEEZNS1_25segmented_radix_sort_implIS3_Lb0EPKbPbPKlPlN2at6native12_GLOBAL__N_18offset_tEEE10hipError_tPvRmT1_PNSt15iterator_traitsISK_E10value_typeET2_T3_PNSL_ISQ_E10value_typeET4_jRbjT5_SW_jjP12ihipStream_tbEUlT_E0_NS1_11comp_targetILNS1_3genE5ELNS1_11target_archE942ELNS1_3gpuE9ELNS1_3repE0EEENS1_60segmented_radix_sort_warp_sort_medium_config_static_selectorELNS0_4arch9wavefront6targetE0EEEvSK_
; %bb.0:
	.section	.rodata,"a",@progbits
	.p2align	6, 0x0
	.amdhsa_kernel _ZN7rocprim17ROCPRIM_400000_NS6detail17trampoline_kernelINS0_14default_configENS1_36segmented_radix_sort_config_selectorIblEEZNS1_25segmented_radix_sort_implIS3_Lb0EPKbPbPKlPlN2at6native12_GLOBAL__N_18offset_tEEE10hipError_tPvRmT1_PNSt15iterator_traitsISK_E10value_typeET2_T3_PNSL_ISQ_E10value_typeET4_jRbjT5_SW_jjP12ihipStream_tbEUlT_E0_NS1_11comp_targetILNS1_3genE5ELNS1_11target_archE942ELNS1_3gpuE9ELNS1_3repE0EEENS1_60segmented_radix_sort_warp_sort_medium_config_static_selectorELNS0_4arch9wavefront6targetE0EEEvSK_
		.amdhsa_group_segment_fixed_size 0
		.amdhsa_private_segment_fixed_size 0
		.amdhsa_kernarg_size 88
		.amdhsa_user_sgpr_count 2
		.amdhsa_user_sgpr_dispatch_ptr 0
		.amdhsa_user_sgpr_queue_ptr 0
		.amdhsa_user_sgpr_kernarg_segment_ptr 1
		.amdhsa_user_sgpr_dispatch_id 0
		.amdhsa_user_sgpr_kernarg_preload_length 0
		.amdhsa_user_sgpr_kernarg_preload_offset 0
		.amdhsa_user_sgpr_private_segment_size 0
		.amdhsa_wavefront_size32 1
		.amdhsa_uses_dynamic_stack 0
		.amdhsa_enable_private_segment 0
		.amdhsa_system_sgpr_workgroup_id_x 1
		.amdhsa_system_sgpr_workgroup_id_y 0
		.amdhsa_system_sgpr_workgroup_id_z 0
		.amdhsa_system_sgpr_workgroup_info 0
		.amdhsa_system_vgpr_workitem_id 0
		.amdhsa_next_free_vgpr 1
		.amdhsa_next_free_sgpr 1
		.amdhsa_named_barrier_count 0
		.amdhsa_reserve_vcc 0
		.amdhsa_float_round_mode_32 0
		.amdhsa_float_round_mode_16_64 0
		.amdhsa_float_denorm_mode_32 3
		.amdhsa_float_denorm_mode_16_64 3
		.amdhsa_fp16_overflow 0
		.amdhsa_memory_ordered 1
		.amdhsa_forward_progress 1
		.amdhsa_inst_pref_size 0
		.amdhsa_round_robin_scheduling 0
		.amdhsa_exception_fp_ieee_invalid_op 0
		.amdhsa_exception_fp_denorm_src 0
		.amdhsa_exception_fp_ieee_div_zero 0
		.amdhsa_exception_fp_ieee_overflow 0
		.amdhsa_exception_fp_ieee_underflow 0
		.amdhsa_exception_fp_ieee_inexact 0
		.amdhsa_exception_int_div_zero 0
	.end_amdhsa_kernel
	.section	.text._ZN7rocprim17ROCPRIM_400000_NS6detail17trampoline_kernelINS0_14default_configENS1_36segmented_radix_sort_config_selectorIblEEZNS1_25segmented_radix_sort_implIS3_Lb0EPKbPbPKlPlN2at6native12_GLOBAL__N_18offset_tEEE10hipError_tPvRmT1_PNSt15iterator_traitsISK_E10value_typeET2_T3_PNSL_ISQ_E10value_typeET4_jRbjT5_SW_jjP12ihipStream_tbEUlT_E0_NS1_11comp_targetILNS1_3genE5ELNS1_11target_archE942ELNS1_3gpuE9ELNS1_3repE0EEENS1_60segmented_radix_sort_warp_sort_medium_config_static_selectorELNS0_4arch9wavefront6targetE0EEEvSK_,"axG",@progbits,_ZN7rocprim17ROCPRIM_400000_NS6detail17trampoline_kernelINS0_14default_configENS1_36segmented_radix_sort_config_selectorIblEEZNS1_25segmented_radix_sort_implIS3_Lb0EPKbPbPKlPlN2at6native12_GLOBAL__N_18offset_tEEE10hipError_tPvRmT1_PNSt15iterator_traitsISK_E10value_typeET2_T3_PNSL_ISQ_E10value_typeET4_jRbjT5_SW_jjP12ihipStream_tbEUlT_E0_NS1_11comp_targetILNS1_3genE5ELNS1_11target_archE942ELNS1_3gpuE9ELNS1_3repE0EEENS1_60segmented_radix_sort_warp_sort_medium_config_static_selectorELNS0_4arch9wavefront6targetE0EEEvSK_,comdat
.Lfunc_end1638:
	.size	_ZN7rocprim17ROCPRIM_400000_NS6detail17trampoline_kernelINS0_14default_configENS1_36segmented_radix_sort_config_selectorIblEEZNS1_25segmented_radix_sort_implIS3_Lb0EPKbPbPKlPlN2at6native12_GLOBAL__N_18offset_tEEE10hipError_tPvRmT1_PNSt15iterator_traitsISK_E10value_typeET2_T3_PNSL_ISQ_E10value_typeET4_jRbjT5_SW_jjP12ihipStream_tbEUlT_E0_NS1_11comp_targetILNS1_3genE5ELNS1_11target_archE942ELNS1_3gpuE9ELNS1_3repE0EEENS1_60segmented_radix_sort_warp_sort_medium_config_static_selectorELNS0_4arch9wavefront6targetE0EEEvSK_, .Lfunc_end1638-_ZN7rocprim17ROCPRIM_400000_NS6detail17trampoline_kernelINS0_14default_configENS1_36segmented_radix_sort_config_selectorIblEEZNS1_25segmented_radix_sort_implIS3_Lb0EPKbPbPKlPlN2at6native12_GLOBAL__N_18offset_tEEE10hipError_tPvRmT1_PNSt15iterator_traitsISK_E10value_typeET2_T3_PNSL_ISQ_E10value_typeET4_jRbjT5_SW_jjP12ihipStream_tbEUlT_E0_NS1_11comp_targetILNS1_3genE5ELNS1_11target_archE942ELNS1_3gpuE9ELNS1_3repE0EEENS1_60segmented_radix_sort_warp_sort_medium_config_static_selectorELNS0_4arch9wavefront6targetE0EEEvSK_
                                        ; -- End function
	.set _ZN7rocprim17ROCPRIM_400000_NS6detail17trampoline_kernelINS0_14default_configENS1_36segmented_radix_sort_config_selectorIblEEZNS1_25segmented_radix_sort_implIS3_Lb0EPKbPbPKlPlN2at6native12_GLOBAL__N_18offset_tEEE10hipError_tPvRmT1_PNSt15iterator_traitsISK_E10value_typeET2_T3_PNSL_ISQ_E10value_typeET4_jRbjT5_SW_jjP12ihipStream_tbEUlT_E0_NS1_11comp_targetILNS1_3genE5ELNS1_11target_archE942ELNS1_3gpuE9ELNS1_3repE0EEENS1_60segmented_radix_sort_warp_sort_medium_config_static_selectorELNS0_4arch9wavefront6targetE0EEEvSK_.num_vgpr, 0
	.set _ZN7rocprim17ROCPRIM_400000_NS6detail17trampoline_kernelINS0_14default_configENS1_36segmented_radix_sort_config_selectorIblEEZNS1_25segmented_radix_sort_implIS3_Lb0EPKbPbPKlPlN2at6native12_GLOBAL__N_18offset_tEEE10hipError_tPvRmT1_PNSt15iterator_traitsISK_E10value_typeET2_T3_PNSL_ISQ_E10value_typeET4_jRbjT5_SW_jjP12ihipStream_tbEUlT_E0_NS1_11comp_targetILNS1_3genE5ELNS1_11target_archE942ELNS1_3gpuE9ELNS1_3repE0EEENS1_60segmented_radix_sort_warp_sort_medium_config_static_selectorELNS0_4arch9wavefront6targetE0EEEvSK_.num_agpr, 0
	.set _ZN7rocprim17ROCPRIM_400000_NS6detail17trampoline_kernelINS0_14default_configENS1_36segmented_radix_sort_config_selectorIblEEZNS1_25segmented_radix_sort_implIS3_Lb0EPKbPbPKlPlN2at6native12_GLOBAL__N_18offset_tEEE10hipError_tPvRmT1_PNSt15iterator_traitsISK_E10value_typeET2_T3_PNSL_ISQ_E10value_typeET4_jRbjT5_SW_jjP12ihipStream_tbEUlT_E0_NS1_11comp_targetILNS1_3genE5ELNS1_11target_archE942ELNS1_3gpuE9ELNS1_3repE0EEENS1_60segmented_radix_sort_warp_sort_medium_config_static_selectorELNS0_4arch9wavefront6targetE0EEEvSK_.numbered_sgpr, 0
	.set _ZN7rocprim17ROCPRIM_400000_NS6detail17trampoline_kernelINS0_14default_configENS1_36segmented_radix_sort_config_selectorIblEEZNS1_25segmented_radix_sort_implIS3_Lb0EPKbPbPKlPlN2at6native12_GLOBAL__N_18offset_tEEE10hipError_tPvRmT1_PNSt15iterator_traitsISK_E10value_typeET2_T3_PNSL_ISQ_E10value_typeET4_jRbjT5_SW_jjP12ihipStream_tbEUlT_E0_NS1_11comp_targetILNS1_3genE5ELNS1_11target_archE942ELNS1_3gpuE9ELNS1_3repE0EEENS1_60segmented_radix_sort_warp_sort_medium_config_static_selectorELNS0_4arch9wavefront6targetE0EEEvSK_.num_named_barrier, 0
	.set _ZN7rocprim17ROCPRIM_400000_NS6detail17trampoline_kernelINS0_14default_configENS1_36segmented_radix_sort_config_selectorIblEEZNS1_25segmented_radix_sort_implIS3_Lb0EPKbPbPKlPlN2at6native12_GLOBAL__N_18offset_tEEE10hipError_tPvRmT1_PNSt15iterator_traitsISK_E10value_typeET2_T3_PNSL_ISQ_E10value_typeET4_jRbjT5_SW_jjP12ihipStream_tbEUlT_E0_NS1_11comp_targetILNS1_3genE5ELNS1_11target_archE942ELNS1_3gpuE9ELNS1_3repE0EEENS1_60segmented_radix_sort_warp_sort_medium_config_static_selectorELNS0_4arch9wavefront6targetE0EEEvSK_.private_seg_size, 0
	.set _ZN7rocprim17ROCPRIM_400000_NS6detail17trampoline_kernelINS0_14default_configENS1_36segmented_radix_sort_config_selectorIblEEZNS1_25segmented_radix_sort_implIS3_Lb0EPKbPbPKlPlN2at6native12_GLOBAL__N_18offset_tEEE10hipError_tPvRmT1_PNSt15iterator_traitsISK_E10value_typeET2_T3_PNSL_ISQ_E10value_typeET4_jRbjT5_SW_jjP12ihipStream_tbEUlT_E0_NS1_11comp_targetILNS1_3genE5ELNS1_11target_archE942ELNS1_3gpuE9ELNS1_3repE0EEENS1_60segmented_radix_sort_warp_sort_medium_config_static_selectorELNS0_4arch9wavefront6targetE0EEEvSK_.uses_vcc, 0
	.set _ZN7rocprim17ROCPRIM_400000_NS6detail17trampoline_kernelINS0_14default_configENS1_36segmented_radix_sort_config_selectorIblEEZNS1_25segmented_radix_sort_implIS3_Lb0EPKbPbPKlPlN2at6native12_GLOBAL__N_18offset_tEEE10hipError_tPvRmT1_PNSt15iterator_traitsISK_E10value_typeET2_T3_PNSL_ISQ_E10value_typeET4_jRbjT5_SW_jjP12ihipStream_tbEUlT_E0_NS1_11comp_targetILNS1_3genE5ELNS1_11target_archE942ELNS1_3gpuE9ELNS1_3repE0EEENS1_60segmented_radix_sort_warp_sort_medium_config_static_selectorELNS0_4arch9wavefront6targetE0EEEvSK_.uses_flat_scratch, 0
	.set _ZN7rocprim17ROCPRIM_400000_NS6detail17trampoline_kernelINS0_14default_configENS1_36segmented_radix_sort_config_selectorIblEEZNS1_25segmented_radix_sort_implIS3_Lb0EPKbPbPKlPlN2at6native12_GLOBAL__N_18offset_tEEE10hipError_tPvRmT1_PNSt15iterator_traitsISK_E10value_typeET2_T3_PNSL_ISQ_E10value_typeET4_jRbjT5_SW_jjP12ihipStream_tbEUlT_E0_NS1_11comp_targetILNS1_3genE5ELNS1_11target_archE942ELNS1_3gpuE9ELNS1_3repE0EEENS1_60segmented_radix_sort_warp_sort_medium_config_static_selectorELNS0_4arch9wavefront6targetE0EEEvSK_.has_dyn_sized_stack, 0
	.set _ZN7rocprim17ROCPRIM_400000_NS6detail17trampoline_kernelINS0_14default_configENS1_36segmented_radix_sort_config_selectorIblEEZNS1_25segmented_radix_sort_implIS3_Lb0EPKbPbPKlPlN2at6native12_GLOBAL__N_18offset_tEEE10hipError_tPvRmT1_PNSt15iterator_traitsISK_E10value_typeET2_T3_PNSL_ISQ_E10value_typeET4_jRbjT5_SW_jjP12ihipStream_tbEUlT_E0_NS1_11comp_targetILNS1_3genE5ELNS1_11target_archE942ELNS1_3gpuE9ELNS1_3repE0EEENS1_60segmented_radix_sort_warp_sort_medium_config_static_selectorELNS0_4arch9wavefront6targetE0EEEvSK_.has_recursion, 0
	.set _ZN7rocprim17ROCPRIM_400000_NS6detail17trampoline_kernelINS0_14default_configENS1_36segmented_radix_sort_config_selectorIblEEZNS1_25segmented_radix_sort_implIS3_Lb0EPKbPbPKlPlN2at6native12_GLOBAL__N_18offset_tEEE10hipError_tPvRmT1_PNSt15iterator_traitsISK_E10value_typeET2_T3_PNSL_ISQ_E10value_typeET4_jRbjT5_SW_jjP12ihipStream_tbEUlT_E0_NS1_11comp_targetILNS1_3genE5ELNS1_11target_archE942ELNS1_3gpuE9ELNS1_3repE0EEENS1_60segmented_radix_sort_warp_sort_medium_config_static_selectorELNS0_4arch9wavefront6targetE0EEEvSK_.has_indirect_call, 0
	.section	.AMDGPU.csdata,"",@progbits
; Kernel info:
; codeLenInByte = 0
; TotalNumSgprs: 0
; NumVgprs: 0
; ScratchSize: 0
; MemoryBound: 0
; FloatMode: 240
; IeeeMode: 1
; LDSByteSize: 0 bytes/workgroup (compile time only)
; SGPRBlocks: 0
; VGPRBlocks: 0
; NumSGPRsForWavesPerEU: 1
; NumVGPRsForWavesPerEU: 1
; NamedBarCnt: 0
; Occupancy: 16
; WaveLimiterHint : 0
; COMPUTE_PGM_RSRC2:SCRATCH_EN: 0
; COMPUTE_PGM_RSRC2:USER_SGPR: 2
; COMPUTE_PGM_RSRC2:TRAP_HANDLER: 0
; COMPUTE_PGM_RSRC2:TGID_X_EN: 1
; COMPUTE_PGM_RSRC2:TGID_Y_EN: 0
; COMPUTE_PGM_RSRC2:TGID_Z_EN: 0
; COMPUTE_PGM_RSRC2:TIDIG_COMP_CNT: 0
	.section	.text._ZN7rocprim17ROCPRIM_400000_NS6detail17trampoline_kernelINS0_14default_configENS1_36segmented_radix_sort_config_selectorIblEEZNS1_25segmented_radix_sort_implIS3_Lb0EPKbPbPKlPlN2at6native12_GLOBAL__N_18offset_tEEE10hipError_tPvRmT1_PNSt15iterator_traitsISK_E10value_typeET2_T3_PNSL_ISQ_E10value_typeET4_jRbjT5_SW_jjP12ihipStream_tbEUlT_E0_NS1_11comp_targetILNS1_3genE4ELNS1_11target_archE910ELNS1_3gpuE8ELNS1_3repE0EEENS1_60segmented_radix_sort_warp_sort_medium_config_static_selectorELNS0_4arch9wavefront6targetE0EEEvSK_,"axG",@progbits,_ZN7rocprim17ROCPRIM_400000_NS6detail17trampoline_kernelINS0_14default_configENS1_36segmented_radix_sort_config_selectorIblEEZNS1_25segmented_radix_sort_implIS3_Lb0EPKbPbPKlPlN2at6native12_GLOBAL__N_18offset_tEEE10hipError_tPvRmT1_PNSt15iterator_traitsISK_E10value_typeET2_T3_PNSL_ISQ_E10value_typeET4_jRbjT5_SW_jjP12ihipStream_tbEUlT_E0_NS1_11comp_targetILNS1_3genE4ELNS1_11target_archE910ELNS1_3gpuE8ELNS1_3repE0EEENS1_60segmented_radix_sort_warp_sort_medium_config_static_selectorELNS0_4arch9wavefront6targetE0EEEvSK_,comdat
	.globl	_ZN7rocprim17ROCPRIM_400000_NS6detail17trampoline_kernelINS0_14default_configENS1_36segmented_radix_sort_config_selectorIblEEZNS1_25segmented_radix_sort_implIS3_Lb0EPKbPbPKlPlN2at6native12_GLOBAL__N_18offset_tEEE10hipError_tPvRmT1_PNSt15iterator_traitsISK_E10value_typeET2_T3_PNSL_ISQ_E10value_typeET4_jRbjT5_SW_jjP12ihipStream_tbEUlT_E0_NS1_11comp_targetILNS1_3genE4ELNS1_11target_archE910ELNS1_3gpuE8ELNS1_3repE0EEENS1_60segmented_radix_sort_warp_sort_medium_config_static_selectorELNS0_4arch9wavefront6targetE0EEEvSK_ ; -- Begin function _ZN7rocprim17ROCPRIM_400000_NS6detail17trampoline_kernelINS0_14default_configENS1_36segmented_radix_sort_config_selectorIblEEZNS1_25segmented_radix_sort_implIS3_Lb0EPKbPbPKlPlN2at6native12_GLOBAL__N_18offset_tEEE10hipError_tPvRmT1_PNSt15iterator_traitsISK_E10value_typeET2_T3_PNSL_ISQ_E10value_typeET4_jRbjT5_SW_jjP12ihipStream_tbEUlT_E0_NS1_11comp_targetILNS1_3genE4ELNS1_11target_archE910ELNS1_3gpuE8ELNS1_3repE0EEENS1_60segmented_radix_sort_warp_sort_medium_config_static_selectorELNS0_4arch9wavefront6targetE0EEEvSK_
	.p2align	8
	.type	_ZN7rocprim17ROCPRIM_400000_NS6detail17trampoline_kernelINS0_14default_configENS1_36segmented_radix_sort_config_selectorIblEEZNS1_25segmented_radix_sort_implIS3_Lb0EPKbPbPKlPlN2at6native12_GLOBAL__N_18offset_tEEE10hipError_tPvRmT1_PNSt15iterator_traitsISK_E10value_typeET2_T3_PNSL_ISQ_E10value_typeET4_jRbjT5_SW_jjP12ihipStream_tbEUlT_E0_NS1_11comp_targetILNS1_3genE4ELNS1_11target_archE910ELNS1_3gpuE8ELNS1_3repE0EEENS1_60segmented_radix_sort_warp_sort_medium_config_static_selectorELNS0_4arch9wavefront6targetE0EEEvSK_,@function
_ZN7rocprim17ROCPRIM_400000_NS6detail17trampoline_kernelINS0_14default_configENS1_36segmented_radix_sort_config_selectorIblEEZNS1_25segmented_radix_sort_implIS3_Lb0EPKbPbPKlPlN2at6native12_GLOBAL__N_18offset_tEEE10hipError_tPvRmT1_PNSt15iterator_traitsISK_E10value_typeET2_T3_PNSL_ISQ_E10value_typeET4_jRbjT5_SW_jjP12ihipStream_tbEUlT_E0_NS1_11comp_targetILNS1_3genE4ELNS1_11target_archE910ELNS1_3gpuE8ELNS1_3repE0EEENS1_60segmented_radix_sort_warp_sort_medium_config_static_selectorELNS0_4arch9wavefront6targetE0EEEvSK_: ; @_ZN7rocprim17ROCPRIM_400000_NS6detail17trampoline_kernelINS0_14default_configENS1_36segmented_radix_sort_config_selectorIblEEZNS1_25segmented_radix_sort_implIS3_Lb0EPKbPbPKlPlN2at6native12_GLOBAL__N_18offset_tEEE10hipError_tPvRmT1_PNSt15iterator_traitsISK_E10value_typeET2_T3_PNSL_ISQ_E10value_typeET4_jRbjT5_SW_jjP12ihipStream_tbEUlT_E0_NS1_11comp_targetILNS1_3genE4ELNS1_11target_archE910ELNS1_3gpuE8ELNS1_3repE0EEENS1_60segmented_radix_sort_warp_sort_medium_config_static_selectorELNS0_4arch9wavefront6targetE0EEEvSK_
; %bb.0:
	.section	.rodata,"a",@progbits
	.p2align	6, 0x0
	.amdhsa_kernel _ZN7rocprim17ROCPRIM_400000_NS6detail17trampoline_kernelINS0_14default_configENS1_36segmented_radix_sort_config_selectorIblEEZNS1_25segmented_radix_sort_implIS3_Lb0EPKbPbPKlPlN2at6native12_GLOBAL__N_18offset_tEEE10hipError_tPvRmT1_PNSt15iterator_traitsISK_E10value_typeET2_T3_PNSL_ISQ_E10value_typeET4_jRbjT5_SW_jjP12ihipStream_tbEUlT_E0_NS1_11comp_targetILNS1_3genE4ELNS1_11target_archE910ELNS1_3gpuE8ELNS1_3repE0EEENS1_60segmented_radix_sort_warp_sort_medium_config_static_selectorELNS0_4arch9wavefront6targetE0EEEvSK_
		.amdhsa_group_segment_fixed_size 0
		.amdhsa_private_segment_fixed_size 0
		.amdhsa_kernarg_size 88
		.amdhsa_user_sgpr_count 2
		.amdhsa_user_sgpr_dispatch_ptr 0
		.amdhsa_user_sgpr_queue_ptr 0
		.amdhsa_user_sgpr_kernarg_segment_ptr 1
		.amdhsa_user_sgpr_dispatch_id 0
		.amdhsa_user_sgpr_kernarg_preload_length 0
		.amdhsa_user_sgpr_kernarg_preload_offset 0
		.amdhsa_user_sgpr_private_segment_size 0
		.amdhsa_wavefront_size32 1
		.amdhsa_uses_dynamic_stack 0
		.amdhsa_enable_private_segment 0
		.amdhsa_system_sgpr_workgroup_id_x 1
		.amdhsa_system_sgpr_workgroup_id_y 0
		.amdhsa_system_sgpr_workgroup_id_z 0
		.amdhsa_system_sgpr_workgroup_info 0
		.amdhsa_system_vgpr_workitem_id 0
		.amdhsa_next_free_vgpr 1
		.amdhsa_next_free_sgpr 1
		.amdhsa_named_barrier_count 0
		.amdhsa_reserve_vcc 0
		.amdhsa_float_round_mode_32 0
		.amdhsa_float_round_mode_16_64 0
		.amdhsa_float_denorm_mode_32 3
		.amdhsa_float_denorm_mode_16_64 3
		.amdhsa_fp16_overflow 0
		.amdhsa_memory_ordered 1
		.amdhsa_forward_progress 1
		.amdhsa_inst_pref_size 0
		.amdhsa_round_robin_scheduling 0
		.amdhsa_exception_fp_ieee_invalid_op 0
		.amdhsa_exception_fp_denorm_src 0
		.amdhsa_exception_fp_ieee_div_zero 0
		.amdhsa_exception_fp_ieee_overflow 0
		.amdhsa_exception_fp_ieee_underflow 0
		.amdhsa_exception_fp_ieee_inexact 0
		.amdhsa_exception_int_div_zero 0
	.end_amdhsa_kernel
	.section	.text._ZN7rocprim17ROCPRIM_400000_NS6detail17trampoline_kernelINS0_14default_configENS1_36segmented_radix_sort_config_selectorIblEEZNS1_25segmented_radix_sort_implIS3_Lb0EPKbPbPKlPlN2at6native12_GLOBAL__N_18offset_tEEE10hipError_tPvRmT1_PNSt15iterator_traitsISK_E10value_typeET2_T3_PNSL_ISQ_E10value_typeET4_jRbjT5_SW_jjP12ihipStream_tbEUlT_E0_NS1_11comp_targetILNS1_3genE4ELNS1_11target_archE910ELNS1_3gpuE8ELNS1_3repE0EEENS1_60segmented_radix_sort_warp_sort_medium_config_static_selectorELNS0_4arch9wavefront6targetE0EEEvSK_,"axG",@progbits,_ZN7rocprim17ROCPRIM_400000_NS6detail17trampoline_kernelINS0_14default_configENS1_36segmented_radix_sort_config_selectorIblEEZNS1_25segmented_radix_sort_implIS3_Lb0EPKbPbPKlPlN2at6native12_GLOBAL__N_18offset_tEEE10hipError_tPvRmT1_PNSt15iterator_traitsISK_E10value_typeET2_T3_PNSL_ISQ_E10value_typeET4_jRbjT5_SW_jjP12ihipStream_tbEUlT_E0_NS1_11comp_targetILNS1_3genE4ELNS1_11target_archE910ELNS1_3gpuE8ELNS1_3repE0EEENS1_60segmented_radix_sort_warp_sort_medium_config_static_selectorELNS0_4arch9wavefront6targetE0EEEvSK_,comdat
.Lfunc_end1639:
	.size	_ZN7rocprim17ROCPRIM_400000_NS6detail17trampoline_kernelINS0_14default_configENS1_36segmented_radix_sort_config_selectorIblEEZNS1_25segmented_radix_sort_implIS3_Lb0EPKbPbPKlPlN2at6native12_GLOBAL__N_18offset_tEEE10hipError_tPvRmT1_PNSt15iterator_traitsISK_E10value_typeET2_T3_PNSL_ISQ_E10value_typeET4_jRbjT5_SW_jjP12ihipStream_tbEUlT_E0_NS1_11comp_targetILNS1_3genE4ELNS1_11target_archE910ELNS1_3gpuE8ELNS1_3repE0EEENS1_60segmented_radix_sort_warp_sort_medium_config_static_selectorELNS0_4arch9wavefront6targetE0EEEvSK_, .Lfunc_end1639-_ZN7rocprim17ROCPRIM_400000_NS6detail17trampoline_kernelINS0_14default_configENS1_36segmented_radix_sort_config_selectorIblEEZNS1_25segmented_radix_sort_implIS3_Lb0EPKbPbPKlPlN2at6native12_GLOBAL__N_18offset_tEEE10hipError_tPvRmT1_PNSt15iterator_traitsISK_E10value_typeET2_T3_PNSL_ISQ_E10value_typeET4_jRbjT5_SW_jjP12ihipStream_tbEUlT_E0_NS1_11comp_targetILNS1_3genE4ELNS1_11target_archE910ELNS1_3gpuE8ELNS1_3repE0EEENS1_60segmented_radix_sort_warp_sort_medium_config_static_selectorELNS0_4arch9wavefront6targetE0EEEvSK_
                                        ; -- End function
	.set _ZN7rocprim17ROCPRIM_400000_NS6detail17trampoline_kernelINS0_14default_configENS1_36segmented_radix_sort_config_selectorIblEEZNS1_25segmented_radix_sort_implIS3_Lb0EPKbPbPKlPlN2at6native12_GLOBAL__N_18offset_tEEE10hipError_tPvRmT1_PNSt15iterator_traitsISK_E10value_typeET2_T3_PNSL_ISQ_E10value_typeET4_jRbjT5_SW_jjP12ihipStream_tbEUlT_E0_NS1_11comp_targetILNS1_3genE4ELNS1_11target_archE910ELNS1_3gpuE8ELNS1_3repE0EEENS1_60segmented_radix_sort_warp_sort_medium_config_static_selectorELNS0_4arch9wavefront6targetE0EEEvSK_.num_vgpr, 0
	.set _ZN7rocprim17ROCPRIM_400000_NS6detail17trampoline_kernelINS0_14default_configENS1_36segmented_radix_sort_config_selectorIblEEZNS1_25segmented_radix_sort_implIS3_Lb0EPKbPbPKlPlN2at6native12_GLOBAL__N_18offset_tEEE10hipError_tPvRmT1_PNSt15iterator_traitsISK_E10value_typeET2_T3_PNSL_ISQ_E10value_typeET4_jRbjT5_SW_jjP12ihipStream_tbEUlT_E0_NS1_11comp_targetILNS1_3genE4ELNS1_11target_archE910ELNS1_3gpuE8ELNS1_3repE0EEENS1_60segmented_radix_sort_warp_sort_medium_config_static_selectorELNS0_4arch9wavefront6targetE0EEEvSK_.num_agpr, 0
	.set _ZN7rocprim17ROCPRIM_400000_NS6detail17trampoline_kernelINS0_14default_configENS1_36segmented_radix_sort_config_selectorIblEEZNS1_25segmented_radix_sort_implIS3_Lb0EPKbPbPKlPlN2at6native12_GLOBAL__N_18offset_tEEE10hipError_tPvRmT1_PNSt15iterator_traitsISK_E10value_typeET2_T3_PNSL_ISQ_E10value_typeET4_jRbjT5_SW_jjP12ihipStream_tbEUlT_E0_NS1_11comp_targetILNS1_3genE4ELNS1_11target_archE910ELNS1_3gpuE8ELNS1_3repE0EEENS1_60segmented_radix_sort_warp_sort_medium_config_static_selectorELNS0_4arch9wavefront6targetE0EEEvSK_.numbered_sgpr, 0
	.set _ZN7rocprim17ROCPRIM_400000_NS6detail17trampoline_kernelINS0_14default_configENS1_36segmented_radix_sort_config_selectorIblEEZNS1_25segmented_radix_sort_implIS3_Lb0EPKbPbPKlPlN2at6native12_GLOBAL__N_18offset_tEEE10hipError_tPvRmT1_PNSt15iterator_traitsISK_E10value_typeET2_T3_PNSL_ISQ_E10value_typeET4_jRbjT5_SW_jjP12ihipStream_tbEUlT_E0_NS1_11comp_targetILNS1_3genE4ELNS1_11target_archE910ELNS1_3gpuE8ELNS1_3repE0EEENS1_60segmented_radix_sort_warp_sort_medium_config_static_selectorELNS0_4arch9wavefront6targetE0EEEvSK_.num_named_barrier, 0
	.set _ZN7rocprim17ROCPRIM_400000_NS6detail17trampoline_kernelINS0_14default_configENS1_36segmented_radix_sort_config_selectorIblEEZNS1_25segmented_radix_sort_implIS3_Lb0EPKbPbPKlPlN2at6native12_GLOBAL__N_18offset_tEEE10hipError_tPvRmT1_PNSt15iterator_traitsISK_E10value_typeET2_T3_PNSL_ISQ_E10value_typeET4_jRbjT5_SW_jjP12ihipStream_tbEUlT_E0_NS1_11comp_targetILNS1_3genE4ELNS1_11target_archE910ELNS1_3gpuE8ELNS1_3repE0EEENS1_60segmented_radix_sort_warp_sort_medium_config_static_selectorELNS0_4arch9wavefront6targetE0EEEvSK_.private_seg_size, 0
	.set _ZN7rocprim17ROCPRIM_400000_NS6detail17trampoline_kernelINS0_14default_configENS1_36segmented_radix_sort_config_selectorIblEEZNS1_25segmented_radix_sort_implIS3_Lb0EPKbPbPKlPlN2at6native12_GLOBAL__N_18offset_tEEE10hipError_tPvRmT1_PNSt15iterator_traitsISK_E10value_typeET2_T3_PNSL_ISQ_E10value_typeET4_jRbjT5_SW_jjP12ihipStream_tbEUlT_E0_NS1_11comp_targetILNS1_3genE4ELNS1_11target_archE910ELNS1_3gpuE8ELNS1_3repE0EEENS1_60segmented_radix_sort_warp_sort_medium_config_static_selectorELNS0_4arch9wavefront6targetE0EEEvSK_.uses_vcc, 0
	.set _ZN7rocprim17ROCPRIM_400000_NS6detail17trampoline_kernelINS0_14default_configENS1_36segmented_radix_sort_config_selectorIblEEZNS1_25segmented_radix_sort_implIS3_Lb0EPKbPbPKlPlN2at6native12_GLOBAL__N_18offset_tEEE10hipError_tPvRmT1_PNSt15iterator_traitsISK_E10value_typeET2_T3_PNSL_ISQ_E10value_typeET4_jRbjT5_SW_jjP12ihipStream_tbEUlT_E0_NS1_11comp_targetILNS1_3genE4ELNS1_11target_archE910ELNS1_3gpuE8ELNS1_3repE0EEENS1_60segmented_radix_sort_warp_sort_medium_config_static_selectorELNS0_4arch9wavefront6targetE0EEEvSK_.uses_flat_scratch, 0
	.set _ZN7rocprim17ROCPRIM_400000_NS6detail17trampoline_kernelINS0_14default_configENS1_36segmented_radix_sort_config_selectorIblEEZNS1_25segmented_radix_sort_implIS3_Lb0EPKbPbPKlPlN2at6native12_GLOBAL__N_18offset_tEEE10hipError_tPvRmT1_PNSt15iterator_traitsISK_E10value_typeET2_T3_PNSL_ISQ_E10value_typeET4_jRbjT5_SW_jjP12ihipStream_tbEUlT_E0_NS1_11comp_targetILNS1_3genE4ELNS1_11target_archE910ELNS1_3gpuE8ELNS1_3repE0EEENS1_60segmented_radix_sort_warp_sort_medium_config_static_selectorELNS0_4arch9wavefront6targetE0EEEvSK_.has_dyn_sized_stack, 0
	.set _ZN7rocprim17ROCPRIM_400000_NS6detail17trampoline_kernelINS0_14default_configENS1_36segmented_radix_sort_config_selectorIblEEZNS1_25segmented_radix_sort_implIS3_Lb0EPKbPbPKlPlN2at6native12_GLOBAL__N_18offset_tEEE10hipError_tPvRmT1_PNSt15iterator_traitsISK_E10value_typeET2_T3_PNSL_ISQ_E10value_typeET4_jRbjT5_SW_jjP12ihipStream_tbEUlT_E0_NS1_11comp_targetILNS1_3genE4ELNS1_11target_archE910ELNS1_3gpuE8ELNS1_3repE0EEENS1_60segmented_radix_sort_warp_sort_medium_config_static_selectorELNS0_4arch9wavefront6targetE0EEEvSK_.has_recursion, 0
	.set _ZN7rocprim17ROCPRIM_400000_NS6detail17trampoline_kernelINS0_14default_configENS1_36segmented_radix_sort_config_selectorIblEEZNS1_25segmented_radix_sort_implIS3_Lb0EPKbPbPKlPlN2at6native12_GLOBAL__N_18offset_tEEE10hipError_tPvRmT1_PNSt15iterator_traitsISK_E10value_typeET2_T3_PNSL_ISQ_E10value_typeET4_jRbjT5_SW_jjP12ihipStream_tbEUlT_E0_NS1_11comp_targetILNS1_3genE4ELNS1_11target_archE910ELNS1_3gpuE8ELNS1_3repE0EEENS1_60segmented_radix_sort_warp_sort_medium_config_static_selectorELNS0_4arch9wavefront6targetE0EEEvSK_.has_indirect_call, 0
	.section	.AMDGPU.csdata,"",@progbits
; Kernel info:
; codeLenInByte = 0
; TotalNumSgprs: 0
; NumVgprs: 0
; ScratchSize: 0
; MemoryBound: 0
; FloatMode: 240
; IeeeMode: 1
; LDSByteSize: 0 bytes/workgroup (compile time only)
; SGPRBlocks: 0
; VGPRBlocks: 0
; NumSGPRsForWavesPerEU: 1
; NumVGPRsForWavesPerEU: 1
; NamedBarCnt: 0
; Occupancy: 16
; WaveLimiterHint : 0
; COMPUTE_PGM_RSRC2:SCRATCH_EN: 0
; COMPUTE_PGM_RSRC2:USER_SGPR: 2
; COMPUTE_PGM_RSRC2:TRAP_HANDLER: 0
; COMPUTE_PGM_RSRC2:TGID_X_EN: 1
; COMPUTE_PGM_RSRC2:TGID_Y_EN: 0
; COMPUTE_PGM_RSRC2:TGID_Z_EN: 0
; COMPUTE_PGM_RSRC2:TIDIG_COMP_CNT: 0
	.section	.text._ZN7rocprim17ROCPRIM_400000_NS6detail17trampoline_kernelINS0_14default_configENS1_36segmented_radix_sort_config_selectorIblEEZNS1_25segmented_radix_sort_implIS3_Lb0EPKbPbPKlPlN2at6native12_GLOBAL__N_18offset_tEEE10hipError_tPvRmT1_PNSt15iterator_traitsISK_E10value_typeET2_T3_PNSL_ISQ_E10value_typeET4_jRbjT5_SW_jjP12ihipStream_tbEUlT_E0_NS1_11comp_targetILNS1_3genE3ELNS1_11target_archE908ELNS1_3gpuE7ELNS1_3repE0EEENS1_60segmented_radix_sort_warp_sort_medium_config_static_selectorELNS0_4arch9wavefront6targetE0EEEvSK_,"axG",@progbits,_ZN7rocprim17ROCPRIM_400000_NS6detail17trampoline_kernelINS0_14default_configENS1_36segmented_radix_sort_config_selectorIblEEZNS1_25segmented_radix_sort_implIS3_Lb0EPKbPbPKlPlN2at6native12_GLOBAL__N_18offset_tEEE10hipError_tPvRmT1_PNSt15iterator_traitsISK_E10value_typeET2_T3_PNSL_ISQ_E10value_typeET4_jRbjT5_SW_jjP12ihipStream_tbEUlT_E0_NS1_11comp_targetILNS1_3genE3ELNS1_11target_archE908ELNS1_3gpuE7ELNS1_3repE0EEENS1_60segmented_radix_sort_warp_sort_medium_config_static_selectorELNS0_4arch9wavefront6targetE0EEEvSK_,comdat
	.globl	_ZN7rocprim17ROCPRIM_400000_NS6detail17trampoline_kernelINS0_14default_configENS1_36segmented_radix_sort_config_selectorIblEEZNS1_25segmented_radix_sort_implIS3_Lb0EPKbPbPKlPlN2at6native12_GLOBAL__N_18offset_tEEE10hipError_tPvRmT1_PNSt15iterator_traitsISK_E10value_typeET2_T3_PNSL_ISQ_E10value_typeET4_jRbjT5_SW_jjP12ihipStream_tbEUlT_E0_NS1_11comp_targetILNS1_3genE3ELNS1_11target_archE908ELNS1_3gpuE7ELNS1_3repE0EEENS1_60segmented_radix_sort_warp_sort_medium_config_static_selectorELNS0_4arch9wavefront6targetE0EEEvSK_ ; -- Begin function _ZN7rocprim17ROCPRIM_400000_NS6detail17trampoline_kernelINS0_14default_configENS1_36segmented_radix_sort_config_selectorIblEEZNS1_25segmented_radix_sort_implIS3_Lb0EPKbPbPKlPlN2at6native12_GLOBAL__N_18offset_tEEE10hipError_tPvRmT1_PNSt15iterator_traitsISK_E10value_typeET2_T3_PNSL_ISQ_E10value_typeET4_jRbjT5_SW_jjP12ihipStream_tbEUlT_E0_NS1_11comp_targetILNS1_3genE3ELNS1_11target_archE908ELNS1_3gpuE7ELNS1_3repE0EEENS1_60segmented_radix_sort_warp_sort_medium_config_static_selectorELNS0_4arch9wavefront6targetE0EEEvSK_
	.p2align	8
	.type	_ZN7rocprim17ROCPRIM_400000_NS6detail17trampoline_kernelINS0_14default_configENS1_36segmented_radix_sort_config_selectorIblEEZNS1_25segmented_radix_sort_implIS3_Lb0EPKbPbPKlPlN2at6native12_GLOBAL__N_18offset_tEEE10hipError_tPvRmT1_PNSt15iterator_traitsISK_E10value_typeET2_T3_PNSL_ISQ_E10value_typeET4_jRbjT5_SW_jjP12ihipStream_tbEUlT_E0_NS1_11comp_targetILNS1_3genE3ELNS1_11target_archE908ELNS1_3gpuE7ELNS1_3repE0EEENS1_60segmented_radix_sort_warp_sort_medium_config_static_selectorELNS0_4arch9wavefront6targetE0EEEvSK_,@function
_ZN7rocprim17ROCPRIM_400000_NS6detail17trampoline_kernelINS0_14default_configENS1_36segmented_radix_sort_config_selectorIblEEZNS1_25segmented_radix_sort_implIS3_Lb0EPKbPbPKlPlN2at6native12_GLOBAL__N_18offset_tEEE10hipError_tPvRmT1_PNSt15iterator_traitsISK_E10value_typeET2_T3_PNSL_ISQ_E10value_typeET4_jRbjT5_SW_jjP12ihipStream_tbEUlT_E0_NS1_11comp_targetILNS1_3genE3ELNS1_11target_archE908ELNS1_3gpuE7ELNS1_3repE0EEENS1_60segmented_radix_sort_warp_sort_medium_config_static_selectorELNS0_4arch9wavefront6targetE0EEEvSK_: ; @_ZN7rocprim17ROCPRIM_400000_NS6detail17trampoline_kernelINS0_14default_configENS1_36segmented_radix_sort_config_selectorIblEEZNS1_25segmented_radix_sort_implIS3_Lb0EPKbPbPKlPlN2at6native12_GLOBAL__N_18offset_tEEE10hipError_tPvRmT1_PNSt15iterator_traitsISK_E10value_typeET2_T3_PNSL_ISQ_E10value_typeET4_jRbjT5_SW_jjP12ihipStream_tbEUlT_E0_NS1_11comp_targetILNS1_3genE3ELNS1_11target_archE908ELNS1_3gpuE7ELNS1_3repE0EEENS1_60segmented_radix_sort_warp_sort_medium_config_static_selectorELNS0_4arch9wavefront6targetE0EEEvSK_
; %bb.0:
	.section	.rodata,"a",@progbits
	.p2align	6, 0x0
	.amdhsa_kernel _ZN7rocprim17ROCPRIM_400000_NS6detail17trampoline_kernelINS0_14default_configENS1_36segmented_radix_sort_config_selectorIblEEZNS1_25segmented_radix_sort_implIS3_Lb0EPKbPbPKlPlN2at6native12_GLOBAL__N_18offset_tEEE10hipError_tPvRmT1_PNSt15iterator_traitsISK_E10value_typeET2_T3_PNSL_ISQ_E10value_typeET4_jRbjT5_SW_jjP12ihipStream_tbEUlT_E0_NS1_11comp_targetILNS1_3genE3ELNS1_11target_archE908ELNS1_3gpuE7ELNS1_3repE0EEENS1_60segmented_radix_sort_warp_sort_medium_config_static_selectorELNS0_4arch9wavefront6targetE0EEEvSK_
		.amdhsa_group_segment_fixed_size 0
		.amdhsa_private_segment_fixed_size 0
		.amdhsa_kernarg_size 88
		.amdhsa_user_sgpr_count 2
		.amdhsa_user_sgpr_dispatch_ptr 0
		.amdhsa_user_sgpr_queue_ptr 0
		.amdhsa_user_sgpr_kernarg_segment_ptr 1
		.amdhsa_user_sgpr_dispatch_id 0
		.amdhsa_user_sgpr_kernarg_preload_length 0
		.amdhsa_user_sgpr_kernarg_preload_offset 0
		.amdhsa_user_sgpr_private_segment_size 0
		.amdhsa_wavefront_size32 1
		.amdhsa_uses_dynamic_stack 0
		.amdhsa_enable_private_segment 0
		.amdhsa_system_sgpr_workgroup_id_x 1
		.amdhsa_system_sgpr_workgroup_id_y 0
		.amdhsa_system_sgpr_workgroup_id_z 0
		.amdhsa_system_sgpr_workgroup_info 0
		.amdhsa_system_vgpr_workitem_id 0
		.amdhsa_next_free_vgpr 1
		.amdhsa_next_free_sgpr 1
		.amdhsa_named_barrier_count 0
		.amdhsa_reserve_vcc 0
		.amdhsa_float_round_mode_32 0
		.amdhsa_float_round_mode_16_64 0
		.amdhsa_float_denorm_mode_32 3
		.amdhsa_float_denorm_mode_16_64 3
		.amdhsa_fp16_overflow 0
		.amdhsa_memory_ordered 1
		.amdhsa_forward_progress 1
		.amdhsa_inst_pref_size 0
		.amdhsa_round_robin_scheduling 0
		.amdhsa_exception_fp_ieee_invalid_op 0
		.amdhsa_exception_fp_denorm_src 0
		.amdhsa_exception_fp_ieee_div_zero 0
		.amdhsa_exception_fp_ieee_overflow 0
		.amdhsa_exception_fp_ieee_underflow 0
		.amdhsa_exception_fp_ieee_inexact 0
		.amdhsa_exception_int_div_zero 0
	.end_amdhsa_kernel
	.section	.text._ZN7rocprim17ROCPRIM_400000_NS6detail17trampoline_kernelINS0_14default_configENS1_36segmented_radix_sort_config_selectorIblEEZNS1_25segmented_radix_sort_implIS3_Lb0EPKbPbPKlPlN2at6native12_GLOBAL__N_18offset_tEEE10hipError_tPvRmT1_PNSt15iterator_traitsISK_E10value_typeET2_T3_PNSL_ISQ_E10value_typeET4_jRbjT5_SW_jjP12ihipStream_tbEUlT_E0_NS1_11comp_targetILNS1_3genE3ELNS1_11target_archE908ELNS1_3gpuE7ELNS1_3repE0EEENS1_60segmented_radix_sort_warp_sort_medium_config_static_selectorELNS0_4arch9wavefront6targetE0EEEvSK_,"axG",@progbits,_ZN7rocprim17ROCPRIM_400000_NS6detail17trampoline_kernelINS0_14default_configENS1_36segmented_radix_sort_config_selectorIblEEZNS1_25segmented_radix_sort_implIS3_Lb0EPKbPbPKlPlN2at6native12_GLOBAL__N_18offset_tEEE10hipError_tPvRmT1_PNSt15iterator_traitsISK_E10value_typeET2_T3_PNSL_ISQ_E10value_typeET4_jRbjT5_SW_jjP12ihipStream_tbEUlT_E0_NS1_11comp_targetILNS1_3genE3ELNS1_11target_archE908ELNS1_3gpuE7ELNS1_3repE0EEENS1_60segmented_radix_sort_warp_sort_medium_config_static_selectorELNS0_4arch9wavefront6targetE0EEEvSK_,comdat
.Lfunc_end1640:
	.size	_ZN7rocprim17ROCPRIM_400000_NS6detail17trampoline_kernelINS0_14default_configENS1_36segmented_radix_sort_config_selectorIblEEZNS1_25segmented_radix_sort_implIS3_Lb0EPKbPbPKlPlN2at6native12_GLOBAL__N_18offset_tEEE10hipError_tPvRmT1_PNSt15iterator_traitsISK_E10value_typeET2_T3_PNSL_ISQ_E10value_typeET4_jRbjT5_SW_jjP12ihipStream_tbEUlT_E0_NS1_11comp_targetILNS1_3genE3ELNS1_11target_archE908ELNS1_3gpuE7ELNS1_3repE0EEENS1_60segmented_radix_sort_warp_sort_medium_config_static_selectorELNS0_4arch9wavefront6targetE0EEEvSK_, .Lfunc_end1640-_ZN7rocprim17ROCPRIM_400000_NS6detail17trampoline_kernelINS0_14default_configENS1_36segmented_radix_sort_config_selectorIblEEZNS1_25segmented_radix_sort_implIS3_Lb0EPKbPbPKlPlN2at6native12_GLOBAL__N_18offset_tEEE10hipError_tPvRmT1_PNSt15iterator_traitsISK_E10value_typeET2_T3_PNSL_ISQ_E10value_typeET4_jRbjT5_SW_jjP12ihipStream_tbEUlT_E0_NS1_11comp_targetILNS1_3genE3ELNS1_11target_archE908ELNS1_3gpuE7ELNS1_3repE0EEENS1_60segmented_radix_sort_warp_sort_medium_config_static_selectorELNS0_4arch9wavefront6targetE0EEEvSK_
                                        ; -- End function
	.set _ZN7rocprim17ROCPRIM_400000_NS6detail17trampoline_kernelINS0_14default_configENS1_36segmented_radix_sort_config_selectorIblEEZNS1_25segmented_radix_sort_implIS3_Lb0EPKbPbPKlPlN2at6native12_GLOBAL__N_18offset_tEEE10hipError_tPvRmT1_PNSt15iterator_traitsISK_E10value_typeET2_T3_PNSL_ISQ_E10value_typeET4_jRbjT5_SW_jjP12ihipStream_tbEUlT_E0_NS1_11comp_targetILNS1_3genE3ELNS1_11target_archE908ELNS1_3gpuE7ELNS1_3repE0EEENS1_60segmented_radix_sort_warp_sort_medium_config_static_selectorELNS0_4arch9wavefront6targetE0EEEvSK_.num_vgpr, 0
	.set _ZN7rocprim17ROCPRIM_400000_NS6detail17trampoline_kernelINS0_14default_configENS1_36segmented_radix_sort_config_selectorIblEEZNS1_25segmented_radix_sort_implIS3_Lb0EPKbPbPKlPlN2at6native12_GLOBAL__N_18offset_tEEE10hipError_tPvRmT1_PNSt15iterator_traitsISK_E10value_typeET2_T3_PNSL_ISQ_E10value_typeET4_jRbjT5_SW_jjP12ihipStream_tbEUlT_E0_NS1_11comp_targetILNS1_3genE3ELNS1_11target_archE908ELNS1_3gpuE7ELNS1_3repE0EEENS1_60segmented_radix_sort_warp_sort_medium_config_static_selectorELNS0_4arch9wavefront6targetE0EEEvSK_.num_agpr, 0
	.set _ZN7rocprim17ROCPRIM_400000_NS6detail17trampoline_kernelINS0_14default_configENS1_36segmented_radix_sort_config_selectorIblEEZNS1_25segmented_radix_sort_implIS3_Lb0EPKbPbPKlPlN2at6native12_GLOBAL__N_18offset_tEEE10hipError_tPvRmT1_PNSt15iterator_traitsISK_E10value_typeET2_T3_PNSL_ISQ_E10value_typeET4_jRbjT5_SW_jjP12ihipStream_tbEUlT_E0_NS1_11comp_targetILNS1_3genE3ELNS1_11target_archE908ELNS1_3gpuE7ELNS1_3repE0EEENS1_60segmented_radix_sort_warp_sort_medium_config_static_selectorELNS0_4arch9wavefront6targetE0EEEvSK_.numbered_sgpr, 0
	.set _ZN7rocprim17ROCPRIM_400000_NS6detail17trampoline_kernelINS0_14default_configENS1_36segmented_radix_sort_config_selectorIblEEZNS1_25segmented_radix_sort_implIS3_Lb0EPKbPbPKlPlN2at6native12_GLOBAL__N_18offset_tEEE10hipError_tPvRmT1_PNSt15iterator_traitsISK_E10value_typeET2_T3_PNSL_ISQ_E10value_typeET4_jRbjT5_SW_jjP12ihipStream_tbEUlT_E0_NS1_11comp_targetILNS1_3genE3ELNS1_11target_archE908ELNS1_3gpuE7ELNS1_3repE0EEENS1_60segmented_radix_sort_warp_sort_medium_config_static_selectorELNS0_4arch9wavefront6targetE0EEEvSK_.num_named_barrier, 0
	.set _ZN7rocprim17ROCPRIM_400000_NS6detail17trampoline_kernelINS0_14default_configENS1_36segmented_radix_sort_config_selectorIblEEZNS1_25segmented_radix_sort_implIS3_Lb0EPKbPbPKlPlN2at6native12_GLOBAL__N_18offset_tEEE10hipError_tPvRmT1_PNSt15iterator_traitsISK_E10value_typeET2_T3_PNSL_ISQ_E10value_typeET4_jRbjT5_SW_jjP12ihipStream_tbEUlT_E0_NS1_11comp_targetILNS1_3genE3ELNS1_11target_archE908ELNS1_3gpuE7ELNS1_3repE0EEENS1_60segmented_radix_sort_warp_sort_medium_config_static_selectorELNS0_4arch9wavefront6targetE0EEEvSK_.private_seg_size, 0
	.set _ZN7rocprim17ROCPRIM_400000_NS6detail17trampoline_kernelINS0_14default_configENS1_36segmented_radix_sort_config_selectorIblEEZNS1_25segmented_radix_sort_implIS3_Lb0EPKbPbPKlPlN2at6native12_GLOBAL__N_18offset_tEEE10hipError_tPvRmT1_PNSt15iterator_traitsISK_E10value_typeET2_T3_PNSL_ISQ_E10value_typeET4_jRbjT5_SW_jjP12ihipStream_tbEUlT_E0_NS1_11comp_targetILNS1_3genE3ELNS1_11target_archE908ELNS1_3gpuE7ELNS1_3repE0EEENS1_60segmented_radix_sort_warp_sort_medium_config_static_selectorELNS0_4arch9wavefront6targetE0EEEvSK_.uses_vcc, 0
	.set _ZN7rocprim17ROCPRIM_400000_NS6detail17trampoline_kernelINS0_14default_configENS1_36segmented_radix_sort_config_selectorIblEEZNS1_25segmented_radix_sort_implIS3_Lb0EPKbPbPKlPlN2at6native12_GLOBAL__N_18offset_tEEE10hipError_tPvRmT1_PNSt15iterator_traitsISK_E10value_typeET2_T3_PNSL_ISQ_E10value_typeET4_jRbjT5_SW_jjP12ihipStream_tbEUlT_E0_NS1_11comp_targetILNS1_3genE3ELNS1_11target_archE908ELNS1_3gpuE7ELNS1_3repE0EEENS1_60segmented_radix_sort_warp_sort_medium_config_static_selectorELNS0_4arch9wavefront6targetE0EEEvSK_.uses_flat_scratch, 0
	.set _ZN7rocprim17ROCPRIM_400000_NS6detail17trampoline_kernelINS0_14default_configENS1_36segmented_radix_sort_config_selectorIblEEZNS1_25segmented_radix_sort_implIS3_Lb0EPKbPbPKlPlN2at6native12_GLOBAL__N_18offset_tEEE10hipError_tPvRmT1_PNSt15iterator_traitsISK_E10value_typeET2_T3_PNSL_ISQ_E10value_typeET4_jRbjT5_SW_jjP12ihipStream_tbEUlT_E0_NS1_11comp_targetILNS1_3genE3ELNS1_11target_archE908ELNS1_3gpuE7ELNS1_3repE0EEENS1_60segmented_radix_sort_warp_sort_medium_config_static_selectorELNS0_4arch9wavefront6targetE0EEEvSK_.has_dyn_sized_stack, 0
	.set _ZN7rocprim17ROCPRIM_400000_NS6detail17trampoline_kernelINS0_14default_configENS1_36segmented_radix_sort_config_selectorIblEEZNS1_25segmented_radix_sort_implIS3_Lb0EPKbPbPKlPlN2at6native12_GLOBAL__N_18offset_tEEE10hipError_tPvRmT1_PNSt15iterator_traitsISK_E10value_typeET2_T3_PNSL_ISQ_E10value_typeET4_jRbjT5_SW_jjP12ihipStream_tbEUlT_E0_NS1_11comp_targetILNS1_3genE3ELNS1_11target_archE908ELNS1_3gpuE7ELNS1_3repE0EEENS1_60segmented_radix_sort_warp_sort_medium_config_static_selectorELNS0_4arch9wavefront6targetE0EEEvSK_.has_recursion, 0
	.set _ZN7rocprim17ROCPRIM_400000_NS6detail17trampoline_kernelINS0_14default_configENS1_36segmented_radix_sort_config_selectorIblEEZNS1_25segmented_radix_sort_implIS3_Lb0EPKbPbPKlPlN2at6native12_GLOBAL__N_18offset_tEEE10hipError_tPvRmT1_PNSt15iterator_traitsISK_E10value_typeET2_T3_PNSL_ISQ_E10value_typeET4_jRbjT5_SW_jjP12ihipStream_tbEUlT_E0_NS1_11comp_targetILNS1_3genE3ELNS1_11target_archE908ELNS1_3gpuE7ELNS1_3repE0EEENS1_60segmented_radix_sort_warp_sort_medium_config_static_selectorELNS0_4arch9wavefront6targetE0EEEvSK_.has_indirect_call, 0
	.section	.AMDGPU.csdata,"",@progbits
; Kernel info:
; codeLenInByte = 0
; TotalNumSgprs: 0
; NumVgprs: 0
; ScratchSize: 0
; MemoryBound: 0
; FloatMode: 240
; IeeeMode: 1
; LDSByteSize: 0 bytes/workgroup (compile time only)
; SGPRBlocks: 0
; VGPRBlocks: 0
; NumSGPRsForWavesPerEU: 1
; NumVGPRsForWavesPerEU: 1
; NamedBarCnt: 0
; Occupancy: 16
; WaveLimiterHint : 0
; COMPUTE_PGM_RSRC2:SCRATCH_EN: 0
; COMPUTE_PGM_RSRC2:USER_SGPR: 2
; COMPUTE_PGM_RSRC2:TRAP_HANDLER: 0
; COMPUTE_PGM_RSRC2:TGID_X_EN: 1
; COMPUTE_PGM_RSRC2:TGID_Y_EN: 0
; COMPUTE_PGM_RSRC2:TGID_Z_EN: 0
; COMPUTE_PGM_RSRC2:TIDIG_COMP_CNT: 0
	.section	.text._ZN7rocprim17ROCPRIM_400000_NS6detail17trampoline_kernelINS0_14default_configENS1_36segmented_radix_sort_config_selectorIblEEZNS1_25segmented_radix_sort_implIS3_Lb0EPKbPbPKlPlN2at6native12_GLOBAL__N_18offset_tEEE10hipError_tPvRmT1_PNSt15iterator_traitsISK_E10value_typeET2_T3_PNSL_ISQ_E10value_typeET4_jRbjT5_SW_jjP12ihipStream_tbEUlT_E0_NS1_11comp_targetILNS1_3genE2ELNS1_11target_archE906ELNS1_3gpuE6ELNS1_3repE0EEENS1_60segmented_radix_sort_warp_sort_medium_config_static_selectorELNS0_4arch9wavefront6targetE0EEEvSK_,"axG",@progbits,_ZN7rocprim17ROCPRIM_400000_NS6detail17trampoline_kernelINS0_14default_configENS1_36segmented_radix_sort_config_selectorIblEEZNS1_25segmented_radix_sort_implIS3_Lb0EPKbPbPKlPlN2at6native12_GLOBAL__N_18offset_tEEE10hipError_tPvRmT1_PNSt15iterator_traitsISK_E10value_typeET2_T3_PNSL_ISQ_E10value_typeET4_jRbjT5_SW_jjP12ihipStream_tbEUlT_E0_NS1_11comp_targetILNS1_3genE2ELNS1_11target_archE906ELNS1_3gpuE6ELNS1_3repE0EEENS1_60segmented_radix_sort_warp_sort_medium_config_static_selectorELNS0_4arch9wavefront6targetE0EEEvSK_,comdat
	.globl	_ZN7rocprim17ROCPRIM_400000_NS6detail17trampoline_kernelINS0_14default_configENS1_36segmented_radix_sort_config_selectorIblEEZNS1_25segmented_radix_sort_implIS3_Lb0EPKbPbPKlPlN2at6native12_GLOBAL__N_18offset_tEEE10hipError_tPvRmT1_PNSt15iterator_traitsISK_E10value_typeET2_T3_PNSL_ISQ_E10value_typeET4_jRbjT5_SW_jjP12ihipStream_tbEUlT_E0_NS1_11comp_targetILNS1_3genE2ELNS1_11target_archE906ELNS1_3gpuE6ELNS1_3repE0EEENS1_60segmented_radix_sort_warp_sort_medium_config_static_selectorELNS0_4arch9wavefront6targetE0EEEvSK_ ; -- Begin function _ZN7rocprim17ROCPRIM_400000_NS6detail17trampoline_kernelINS0_14default_configENS1_36segmented_radix_sort_config_selectorIblEEZNS1_25segmented_radix_sort_implIS3_Lb0EPKbPbPKlPlN2at6native12_GLOBAL__N_18offset_tEEE10hipError_tPvRmT1_PNSt15iterator_traitsISK_E10value_typeET2_T3_PNSL_ISQ_E10value_typeET4_jRbjT5_SW_jjP12ihipStream_tbEUlT_E0_NS1_11comp_targetILNS1_3genE2ELNS1_11target_archE906ELNS1_3gpuE6ELNS1_3repE0EEENS1_60segmented_radix_sort_warp_sort_medium_config_static_selectorELNS0_4arch9wavefront6targetE0EEEvSK_
	.p2align	8
	.type	_ZN7rocprim17ROCPRIM_400000_NS6detail17trampoline_kernelINS0_14default_configENS1_36segmented_radix_sort_config_selectorIblEEZNS1_25segmented_radix_sort_implIS3_Lb0EPKbPbPKlPlN2at6native12_GLOBAL__N_18offset_tEEE10hipError_tPvRmT1_PNSt15iterator_traitsISK_E10value_typeET2_T3_PNSL_ISQ_E10value_typeET4_jRbjT5_SW_jjP12ihipStream_tbEUlT_E0_NS1_11comp_targetILNS1_3genE2ELNS1_11target_archE906ELNS1_3gpuE6ELNS1_3repE0EEENS1_60segmented_radix_sort_warp_sort_medium_config_static_selectorELNS0_4arch9wavefront6targetE0EEEvSK_,@function
_ZN7rocprim17ROCPRIM_400000_NS6detail17trampoline_kernelINS0_14default_configENS1_36segmented_radix_sort_config_selectorIblEEZNS1_25segmented_radix_sort_implIS3_Lb0EPKbPbPKlPlN2at6native12_GLOBAL__N_18offset_tEEE10hipError_tPvRmT1_PNSt15iterator_traitsISK_E10value_typeET2_T3_PNSL_ISQ_E10value_typeET4_jRbjT5_SW_jjP12ihipStream_tbEUlT_E0_NS1_11comp_targetILNS1_3genE2ELNS1_11target_archE906ELNS1_3gpuE6ELNS1_3repE0EEENS1_60segmented_radix_sort_warp_sort_medium_config_static_selectorELNS0_4arch9wavefront6targetE0EEEvSK_: ; @_ZN7rocprim17ROCPRIM_400000_NS6detail17trampoline_kernelINS0_14default_configENS1_36segmented_radix_sort_config_selectorIblEEZNS1_25segmented_radix_sort_implIS3_Lb0EPKbPbPKlPlN2at6native12_GLOBAL__N_18offset_tEEE10hipError_tPvRmT1_PNSt15iterator_traitsISK_E10value_typeET2_T3_PNSL_ISQ_E10value_typeET4_jRbjT5_SW_jjP12ihipStream_tbEUlT_E0_NS1_11comp_targetILNS1_3genE2ELNS1_11target_archE906ELNS1_3gpuE6ELNS1_3repE0EEENS1_60segmented_radix_sort_warp_sort_medium_config_static_selectorELNS0_4arch9wavefront6targetE0EEEvSK_
; %bb.0:
	.section	.rodata,"a",@progbits
	.p2align	6, 0x0
	.amdhsa_kernel _ZN7rocprim17ROCPRIM_400000_NS6detail17trampoline_kernelINS0_14default_configENS1_36segmented_radix_sort_config_selectorIblEEZNS1_25segmented_radix_sort_implIS3_Lb0EPKbPbPKlPlN2at6native12_GLOBAL__N_18offset_tEEE10hipError_tPvRmT1_PNSt15iterator_traitsISK_E10value_typeET2_T3_PNSL_ISQ_E10value_typeET4_jRbjT5_SW_jjP12ihipStream_tbEUlT_E0_NS1_11comp_targetILNS1_3genE2ELNS1_11target_archE906ELNS1_3gpuE6ELNS1_3repE0EEENS1_60segmented_radix_sort_warp_sort_medium_config_static_selectorELNS0_4arch9wavefront6targetE0EEEvSK_
		.amdhsa_group_segment_fixed_size 0
		.amdhsa_private_segment_fixed_size 0
		.amdhsa_kernarg_size 88
		.amdhsa_user_sgpr_count 2
		.amdhsa_user_sgpr_dispatch_ptr 0
		.amdhsa_user_sgpr_queue_ptr 0
		.amdhsa_user_sgpr_kernarg_segment_ptr 1
		.amdhsa_user_sgpr_dispatch_id 0
		.amdhsa_user_sgpr_kernarg_preload_length 0
		.amdhsa_user_sgpr_kernarg_preload_offset 0
		.amdhsa_user_sgpr_private_segment_size 0
		.amdhsa_wavefront_size32 1
		.amdhsa_uses_dynamic_stack 0
		.amdhsa_enable_private_segment 0
		.amdhsa_system_sgpr_workgroup_id_x 1
		.amdhsa_system_sgpr_workgroup_id_y 0
		.amdhsa_system_sgpr_workgroup_id_z 0
		.amdhsa_system_sgpr_workgroup_info 0
		.amdhsa_system_vgpr_workitem_id 0
		.amdhsa_next_free_vgpr 1
		.amdhsa_next_free_sgpr 1
		.amdhsa_named_barrier_count 0
		.amdhsa_reserve_vcc 0
		.amdhsa_float_round_mode_32 0
		.amdhsa_float_round_mode_16_64 0
		.amdhsa_float_denorm_mode_32 3
		.amdhsa_float_denorm_mode_16_64 3
		.amdhsa_fp16_overflow 0
		.amdhsa_memory_ordered 1
		.amdhsa_forward_progress 1
		.amdhsa_inst_pref_size 0
		.amdhsa_round_robin_scheduling 0
		.amdhsa_exception_fp_ieee_invalid_op 0
		.amdhsa_exception_fp_denorm_src 0
		.amdhsa_exception_fp_ieee_div_zero 0
		.amdhsa_exception_fp_ieee_overflow 0
		.amdhsa_exception_fp_ieee_underflow 0
		.amdhsa_exception_fp_ieee_inexact 0
		.amdhsa_exception_int_div_zero 0
	.end_amdhsa_kernel
	.section	.text._ZN7rocprim17ROCPRIM_400000_NS6detail17trampoline_kernelINS0_14default_configENS1_36segmented_radix_sort_config_selectorIblEEZNS1_25segmented_radix_sort_implIS3_Lb0EPKbPbPKlPlN2at6native12_GLOBAL__N_18offset_tEEE10hipError_tPvRmT1_PNSt15iterator_traitsISK_E10value_typeET2_T3_PNSL_ISQ_E10value_typeET4_jRbjT5_SW_jjP12ihipStream_tbEUlT_E0_NS1_11comp_targetILNS1_3genE2ELNS1_11target_archE906ELNS1_3gpuE6ELNS1_3repE0EEENS1_60segmented_radix_sort_warp_sort_medium_config_static_selectorELNS0_4arch9wavefront6targetE0EEEvSK_,"axG",@progbits,_ZN7rocprim17ROCPRIM_400000_NS6detail17trampoline_kernelINS0_14default_configENS1_36segmented_radix_sort_config_selectorIblEEZNS1_25segmented_radix_sort_implIS3_Lb0EPKbPbPKlPlN2at6native12_GLOBAL__N_18offset_tEEE10hipError_tPvRmT1_PNSt15iterator_traitsISK_E10value_typeET2_T3_PNSL_ISQ_E10value_typeET4_jRbjT5_SW_jjP12ihipStream_tbEUlT_E0_NS1_11comp_targetILNS1_3genE2ELNS1_11target_archE906ELNS1_3gpuE6ELNS1_3repE0EEENS1_60segmented_radix_sort_warp_sort_medium_config_static_selectorELNS0_4arch9wavefront6targetE0EEEvSK_,comdat
.Lfunc_end1641:
	.size	_ZN7rocprim17ROCPRIM_400000_NS6detail17trampoline_kernelINS0_14default_configENS1_36segmented_radix_sort_config_selectorIblEEZNS1_25segmented_radix_sort_implIS3_Lb0EPKbPbPKlPlN2at6native12_GLOBAL__N_18offset_tEEE10hipError_tPvRmT1_PNSt15iterator_traitsISK_E10value_typeET2_T3_PNSL_ISQ_E10value_typeET4_jRbjT5_SW_jjP12ihipStream_tbEUlT_E0_NS1_11comp_targetILNS1_3genE2ELNS1_11target_archE906ELNS1_3gpuE6ELNS1_3repE0EEENS1_60segmented_radix_sort_warp_sort_medium_config_static_selectorELNS0_4arch9wavefront6targetE0EEEvSK_, .Lfunc_end1641-_ZN7rocprim17ROCPRIM_400000_NS6detail17trampoline_kernelINS0_14default_configENS1_36segmented_radix_sort_config_selectorIblEEZNS1_25segmented_radix_sort_implIS3_Lb0EPKbPbPKlPlN2at6native12_GLOBAL__N_18offset_tEEE10hipError_tPvRmT1_PNSt15iterator_traitsISK_E10value_typeET2_T3_PNSL_ISQ_E10value_typeET4_jRbjT5_SW_jjP12ihipStream_tbEUlT_E0_NS1_11comp_targetILNS1_3genE2ELNS1_11target_archE906ELNS1_3gpuE6ELNS1_3repE0EEENS1_60segmented_radix_sort_warp_sort_medium_config_static_selectorELNS0_4arch9wavefront6targetE0EEEvSK_
                                        ; -- End function
	.set _ZN7rocprim17ROCPRIM_400000_NS6detail17trampoline_kernelINS0_14default_configENS1_36segmented_radix_sort_config_selectorIblEEZNS1_25segmented_radix_sort_implIS3_Lb0EPKbPbPKlPlN2at6native12_GLOBAL__N_18offset_tEEE10hipError_tPvRmT1_PNSt15iterator_traitsISK_E10value_typeET2_T3_PNSL_ISQ_E10value_typeET4_jRbjT5_SW_jjP12ihipStream_tbEUlT_E0_NS1_11comp_targetILNS1_3genE2ELNS1_11target_archE906ELNS1_3gpuE6ELNS1_3repE0EEENS1_60segmented_radix_sort_warp_sort_medium_config_static_selectorELNS0_4arch9wavefront6targetE0EEEvSK_.num_vgpr, 0
	.set _ZN7rocprim17ROCPRIM_400000_NS6detail17trampoline_kernelINS0_14default_configENS1_36segmented_radix_sort_config_selectorIblEEZNS1_25segmented_radix_sort_implIS3_Lb0EPKbPbPKlPlN2at6native12_GLOBAL__N_18offset_tEEE10hipError_tPvRmT1_PNSt15iterator_traitsISK_E10value_typeET2_T3_PNSL_ISQ_E10value_typeET4_jRbjT5_SW_jjP12ihipStream_tbEUlT_E0_NS1_11comp_targetILNS1_3genE2ELNS1_11target_archE906ELNS1_3gpuE6ELNS1_3repE0EEENS1_60segmented_radix_sort_warp_sort_medium_config_static_selectorELNS0_4arch9wavefront6targetE0EEEvSK_.num_agpr, 0
	.set _ZN7rocprim17ROCPRIM_400000_NS6detail17trampoline_kernelINS0_14default_configENS1_36segmented_radix_sort_config_selectorIblEEZNS1_25segmented_radix_sort_implIS3_Lb0EPKbPbPKlPlN2at6native12_GLOBAL__N_18offset_tEEE10hipError_tPvRmT1_PNSt15iterator_traitsISK_E10value_typeET2_T3_PNSL_ISQ_E10value_typeET4_jRbjT5_SW_jjP12ihipStream_tbEUlT_E0_NS1_11comp_targetILNS1_3genE2ELNS1_11target_archE906ELNS1_3gpuE6ELNS1_3repE0EEENS1_60segmented_radix_sort_warp_sort_medium_config_static_selectorELNS0_4arch9wavefront6targetE0EEEvSK_.numbered_sgpr, 0
	.set _ZN7rocprim17ROCPRIM_400000_NS6detail17trampoline_kernelINS0_14default_configENS1_36segmented_radix_sort_config_selectorIblEEZNS1_25segmented_radix_sort_implIS3_Lb0EPKbPbPKlPlN2at6native12_GLOBAL__N_18offset_tEEE10hipError_tPvRmT1_PNSt15iterator_traitsISK_E10value_typeET2_T3_PNSL_ISQ_E10value_typeET4_jRbjT5_SW_jjP12ihipStream_tbEUlT_E0_NS1_11comp_targetILNS1_3genE2ELNS1_11target_archE906ELNS1_3gpuE6ELNS1_3repE0EEENS1_60segmented_radix_sort_warp_sort_medium_config_static_selectorELNS0_4arch9wavefront6targetE0EEEvSK_.num_named_barrier, 0
	.set _ZN7rocprim17ROCPRIM_400000_NS6detail17trampoline_kernelINS0_14default_configENS1_36segmented_radix_sort_config_selectorIblEEZNS1_25segmented_radix_sort_implIS3_Lb0EPKbPbPKlPlN2at6native12_GLOBAL__N_18offset_tEEE10hipError_tPvRmT1_PNSt15iterator_traitsISK_E10value_typeET2_T3_PNSL_ISQ_E10value_typeET4_jRbjT5_SW_jjP12ihipStream_tbEUlT_E0_NS1_11comp_targetILNS1_3genE2ELNS1_11target_archE906ELNS1_3gpuE6ELNS1_3repE0EEENS1_60segmented_radix_sort_warp_sort_medium_config_static_selectorELNS0_4arch9wavefront6targetE0EEEvSK_.private_seg_size, 0
	.set _ZN7rocprim17ROCPRIM_400000_NS6detail17trampoline_kernelINS0_14default_configENS1_36segmented_radix_sort_config_selectorIblEEZNS1_25segmented_radix_sort_implIS3_Lb0EPKbPbPKlPlN2at6native12_GLOBAL__N_18offset_tEEE10hipError_tPvRmT1_PNSt15iterator_traitsISK_E10value_typeET2_T3_PNSL_ISQ_E10value_typeET4_jRbjT5_SW_jjP12ihipStream_tbEUlT_E0_NS1_11comp_targetILNS1_3genE2ELNS1_11target_archE906ELNS1_3gpuE6ELNS1_3repE0EEENS1_60segmented_radix_sort_warp_sort_medium_config_static_selectorELNS0_4arch9wavefront6targetE0EEEvSK_.uses_vcc, 0
	.set _ZN7rocprim17ROCPRIM_400000_NS6detail17trampoline_kernelINS0_14default_configENS1_36segmented_radix_sort_config_selectorIblEEZNS1_25segmented_radix_sort_implIS3_Lb0EPKbPbPKlPlN2at6native12_GLOBAL__N_18offset_tEEE10hipError_tPvRmT1_PNSt15iterator_traitsISK_E10value_typeET2_T3_PNSL_ISQ_E10value_typeET4_jRbjT5_SW_jjP12ihipStream_tbEUlT_E0_NS1_11comp_targetILNS1_3genE2ELNS1_11target_archE906ELNS1_3gpuE6ELNS1_3repE0EEENS1_60segmented_radix_sort_warp_sort_medium_config_static_selectorELNS0_4arch9wavefront6targetE0EEEvSK_.uses_flat_scratch, 0
	.set _ZN7rocprim17ROCPRIM_400000_NS6detail17trampoline_kernelINS0_14default_configENS1_36segmented_radix_sort_config_selectorIblEEZNS1_25segmented_radix_sort_implIS3_Lb0EPKbPbPKlPlN2at6native12_GLOBAL__N_18offset_tEEE10hipError_tPvRmT1_PNSt15iterator_traitsISK_E10value_typeET2_T3_PNSL_ISQ_E10value_typeET4_jRbjT5_SW_jjP12ihipStream_tbEUlT_E0_NS1_11comp_targetILNS1_3genE2ELNS1_11target_archE906ELNS1_3gpuE6ELNS1_3repE0EEENS1_60segmented_radix_sort_warp_sort_medium_config_static_selectorELNS0_4arch9wavefront6targetE0EEEvSK_.has_dyn_sized_stack, 0
	.set _ZN7rocprim17ROCPRIM_400000_NS6detail17trampoline_kernelINS0_14default_configENS1_36segmented_radix_sort_config_selectorIblEEZNS1_25segmented_radix_sort_implIS3_Lb0EPKbPbPKlPlN2at6native12_GLOBAL__N_18offset_tEEE10hipError_tPvRmT1_PNSt15iterator_traitsISK_E10value_typeET2_T3_PNSL_ISQ_E10value_typeET4_jRbjT5_SW_jjP12ihipStream_tbEUlT_E0_NS1_11comp_targetILNS1_3genE2ELNS1_11target_archE906ELNS1_3gpuE6ELNS1_3repE0EEENS1_60segmented_radix_sort_warp_sort_medium_config_static_selectorELNS0_4arch9wavefront6targetE0EEEvSK_.has_recursion, 0
	.set _ZN7rocprim17ROCPRIM_400000_NS6detail17trampoline_kernelINS0_14default_configENS1_36segmented_radix_sort_config_selectorIblEEZNS1_25segmented_radix_sort_implIS3_Lb0EPKbPbPKlPlN2at6native12_GLOBAL__N_18offset_tEEE10hipError_tPvRmT1_PNSt15iterator_traitsISK_E10value_typeET2_T3_PNSL_ISQ_E10value_typeET4_jRbjT5_SW_jjP12ihipStream_tbEUlT_E0_NS1_11comp_targetILNS1_3genE2ELNS1_11target_archE906ELNS1_3gpuE6ELNS1_3repE0EEENS1_60segmented_radix_sort_warp_sort_medium_config_static_selectorELNS0_4arch9wavefront6targetE0EEEvSK_.has_indirect_call, 0
	.section	.AMDGPU.csdata,"",@progbits
; Kernel info:
; codeLenInByte = 0
; TotalNumSgprs: 0
; NumVgprs: 0
; ScratchSize: 0
; MemoryBound: 0
; FloatMode: 240
; IeeeMode: 1
; LDSByteSize: 0 bytes/workgroup (compile time only)
; SGPRBlocks: 0
; VGPRBlocks: 0
; NumSGPRsForWavesPerEU: 1
; NumVGPRsForWavesPerEU: 1
; NamedBarCnt: 0
; Occupancy: 16
; WaveLimiterHint : 0
; COMPUTE_PGM_RSRC2:SCRATCH_EN: 0
; COMPUTE_PGM_RSRC2:USER_SGPR: 2
; COMPUTE_PGM_RSRC2:TRAP_HANDLER: 0
; COMPUTE_PGM_RSRC2:TGID_X_EN: 1
; COMPUTE_PGM_RSRC2:TGID_Y_EN: 0
; COMPUTE_PGM_RSRC2:TGID_Z_EN: 0
; COMPUTE_PGM_RSRC2:TIDIG_COMP_CNT: 0
	.section	.text._ZN7rocprim17ROCPRIM_400000_NS6detail17trampoline_kernelINS0_14default_configENS1_36segmented_radix_sort_config_selectorIblEEZNS1_25segmented_radix_sort_implIS3_Lb0EPKbPbPKlPlN2at6native12_GLOBAL__N_18offset_tEEE10hipError_tPvRmT1_PNSt15iterator_traitsISK_E10value_typeET2_T3_PNSL_ISQ_E10value_typeET4_jRbjT5_SW_jjP12ihipStream_tbEUlT_E0_NS1_11comp_targetILNS1_3genE10ELNS1_11target_archE1201ELNS1_3gpuE5ELNS1_3repE0EEENS1_60segmented_radix_sort_warp_sort_medium_config_static_selectorELNS0_4arch9wavefront6targetE0EEEvSK_,"axG",@progbits,_ZN7rocprim17ROCPRIM_400000_NS6detail17trampoline_kernelINS0_14default_configENS1_36segmented_radix_sort_config_selectorIblEEZNS1_25segmented_radix_sort_implIS3_Lb0EPKbPbPKlPlN2at6native12_GLOBAL__N_18offset_tEEE10hipError_tPvRmT1_PNSt15iterator_traitsISK_E10value_typeET2_T3_PNSL_ISQ_E10value_typeET4_jRbjT5_SW_jjP12ihipStream_tbEUlT_E0_NS1_11comp_targetILNS1_3genE10ELNS1_11target_archE1201ELNS1_3gpuE5ELNS1_3repE0EEENS1_60segmented_radix_sort_warp_sort_medium_config_static_selectorELNS0_4arch9wavefront6targetE0EEEvSK_,comdat
	.globl	_ZN7rocprim17ROCPRIM_400000_NS6detail17trampoline_kernelINS0_14default_configENS1_36segmented_radix_sort_config_selectorIblEEZNS1_25segmented_radix_sort_implIS3_Lb0EPKbPbPKlPlN2at6native12_GLOBAL__N_18offset_tEEE10hipError_tPvRmT1_PNSt15iterator_traitsISK_E10value_typeET2_T3_PNSL_ISQ_E10value_typeET4_jRbjT5_SW_jjP12ihipStream_tbEUlT_E0_NS1_11comp_targetILNS1_3genE10ELNS1_11target_archE1201ELNS1_3gpuE5ELNS1_3repE0EEENS1_60segmented_radix_sort_warp_sort_medium_config_static_selectorELNS0_4arch9wavefront6targetE0EEEvSK_ ; -- Begin function _ZN7rocprim17ROCPRIM_400000_NS6detail17trampoline_kernelINS0_14default_configENS1_36segmented_radix_sort_config_selectorIblEEZNS1_25segmented_radix_sort_implIS3_Lb0EPKbPbPKlPlN2at6native12_GLOBAL__N_18offset_tEEE10hipError_tPvRmT1_PNSt15iterator_traitsISK_E10value_typeET2_T3_PNSL_ISQ_E10value_typeET4_jRbjT5_SW_jjP12ihipStream_tbEUlT_E0_NS1_11comp_targetILNS1_3genE10ELNS1_11target_archE1201ELNS1_3gpuE5ELNS1_3repE0EEENS1_60segmented_radix_sort_warp_sort_medium_config_static_selectorELNS0_4arch9wavefront6targetE0EEEvSK_
	.p2align	8
	.type	_ZN7rocprim17ROCPRIM_400000_NS6detail17trampoline_kernelINS0_14default_configENS1_36segmented_radix_sort_config_selectorIblEEZNS1_25segmented_radix_sort_implIS3_Lb0EPKbPbPKlPlN2at6native12_GLOBAL__N_18offset_tEEE10hipError_tPvRmT1_PNSt15iterator_traitsISK_E10value_typeET2_T3_PNSL_ISQ_E10value_typeET4_jRbjT5_SW_jjP12ihipStream_tbEUlT_E0_NS1_11comp_targetILNS1_3genE10ELNS1_11target_archE1201ELNS1_3gpuE5ELNS1_3repE0EEENS1_60segmented_radix_sort_warp_sort_medium_config_static_selectorELNS0_4arch9wavefront6targetE0EEEvSK_,@function
_ZN7rocprim17ROCPRIM_400000_NS6detail17trampoline_kernelINS0_14default_configENS1_36segmented_radix_sort_config_selectorIblEEZNS1_25segmented_radix_sort_implIS3_Lb0EPKbPbPKlPlN2at6native12_GLOBAL__N_18offset_tEEE10hipError_tPvRmT1_PNSt15iterator_traitsISK_E10value_typeET2_T3_PNSL_ISQ_E10value_typeET4_jRbjT5_SW_jjP12ihipStream_tbEUlT_E0_NS1_11comp_targetILNS1_3genE10ELNS1_11target_archE1201ELNS1_3gpuE5ELNS1_3repE0EEENS1_60segmented_radix_sort_warp_sort_medium_config_static_selectorELNS0_4arch9wavefront6targetE0EEEvSK_: ; @_ZN7rocprim17ROCPRIM_400000_NS6detail17trampoline_kernelINS0_14default_configENS1_36segmented_radix_sort_config_selectorIblEEZNS1_25segmented_radix_sort_implIS3_Lb0EPKbPbPKlPlN2at6native12_GLOBAL__N_18offset_tEEE10hipError_tPvRmT1_PNSt15iterator_traitsISK_E10value_typeET2_T3_PNSL_ISQ_E10value_typeET4_jRbjT5_SW_jjP12ihipStream_tbEUlT_E0_NS1_11comp_targetILNS1_3genE10ELNS1_11target_archE1201ELNS1_3gpuE5ELNS1_3repE0EEENS1_60segmented_radix_sort_warp_sort_medium_config_static_selectorELNS0_4arch9wavefront6targetE0EEEvSK_
; %bb.0:
	.section	.rodata,"a",@progbits
	.p2align	6, 0x0
	.amdhsa_kernel _ZN7rocprim17ROCPRIM_400000_NS6detail17trampoline_kernelINS0_14default_configENS1_36segmented_radix_sort_config_selectorIblEEZNS1_25segmented_radix_sort_implIS3_Lb0EPKbPbPKlPlN2at6native12_GLOBAL__N_18offset_tEEE10hipError_tPvRmT1_PNSt15iterator_traitsISK_E10value_typeET2_T3_PNSL_ISQ_E10value_typeET4_jRbjT5_SW_jjP12ihipStream_tbEUlT_E0_NS1_11comp_targetILNS1_3genE10ELNS1_11target_archE1201ELNS1_3gpuE5ELNS1_3repE0EEENS1_60segmented_radix_sort_warp_sort_medium_config_static_selectorELNS0_4arch9wavefront6targetE0EEEvSK_
		.amdhsa_group_segment_fixed_size 0
		.amdhsa_private_segment_fixed_size 0
		.amdhsa_kernarg_size 88
		.amdhsa_user_sgpr_count 2
		.amdhsa_user_sgpr_dispatch_ptr 0
		.amdhsa_user_sgpr_queue_ptr 0
		.amdhsa_user_sgpr_kernarg_segment_ptr 1
		.amdhsa_user_sgpr_dispatch_id 0
		.amdhsa_user_sgpr_kernarg_preload_length 0
		.amdhsa_user_sgpr_kernarg_preload_offset 0
		.amdhsa_user_sgpr_private_segment_size 0
		.amdhsa_wavefront_size32 1
		.amdhsa_uses_dynamic_stack 0
		.amdhsa_enable_private_segment 0
		.amdhsa_system_sgpr_workgroup_id_x 1
		.amdhsa_system_sgpr_workgroup_id_y 0
		.amdhsa_system_sgpr_workgroup_id_z 0
		.amdhsa_system_sgpr_workgroup_info 0
		.amdhsa_system_vgpr_workitem_id 0
		.amdhsa_next_free_vgpr 1
		.amdhsa_next_free_sgpr 1
		.amdhsa_named_barrier_count 0
		.amdhsa_reserve_vcc 0
		.amdhsa_float_round_mode_32 0
		.amdhsa_float_round_mode_16_64 0
		.amdhsa_float_denorm_mode_32 3
		.amdhsa_float_denorm_mode_16_64 3
		.amdhsa_fp16_overflow 0
		.amdhsa_memory_ordered 1
		.amdhsa_forward_progress 1
		.amdhsa_inst_pref_size 0
		.amdhsa_round_robin_scheduling 0
		.amdhsa_exception_fp_ieee_invalid_op 0
		.amdhsa_exception_fp_denorm_src 0
		.amdhsa_exception_fp_ieee_div_zero 0
		.amdhsa_exception_fp_ieee_overflow 0
		.amdhsa_exception_fp_ieee_underflow 0
		.amdhsa_exception_fp_ieee_inexact 0
		.amdhsa_exception_int_div_zero 0
	.end_amdhsa_kernel
	.section	.text._ZN7rocprim17ROCPRIM_400000_NS6detail17trampoline_kernelINS0_14default_configENS1_36segmented_radix_sort_config_selectorIblEEZNS1_25segmented_radix_sort_implIS3_Lb0EPKbPbPKlPlN2at6native12_GLOBAL__N_18offset_tEEE10hipError_tPvRmT1_PNSt15iterator_traitsISK_E10value_typeET2_T3_PNSL_ISQ_E10value_typeET4_jRbjT5_SW_jjP12ihipStream_tbEUlT_E0_NS1_11comp_targetILNS1_3genE10ELNS1_11target_archE1201ELNS1_3gpuE5ELNS1_3repE0EEENS1_60segmented_radix_sort_warp_sort_medium_config_static_selectorELNS0_4arch9wavefront6targetE0EEEvSK_,"axG",@progbits,_ZN7rocprim17ROCPRIM_400000_NS6detail17trampoline_kernelINS0_14default_configENS1_36segmented_radix_sort_config_selectorIblEEZNS1_25segmented_radix_sort_implIS3_Lb0EPKbPbPKlPlN2at6native12_GLOBAL__N_18offset_tEEE10hipError_tPvRmT1_PNSt15iterator_traitsISK_E10value_typeET2_T3_PNSL_ISQ_E10value_typeET4_jRbjT5_SW_jjP12ihipStream_tbEUlT_E0_NS1_11comp_targetILNS1_3genE10ELNS1_11target_archE1201ELNS1_3gpuE5ELNS1_3repE0EEENS1_60segmented_radix_sort_warp_sort_medium_config_static_selectorELNS0_4arch9wavefront6targetE0EEEvSK_,comdat
.Lfunc_end1642:
	.size	_ZN7rocprim17ROCPRIM_400000_NS6detail17trampoline_kernelINS0_14default_configENS1_36segmented_radix_sort_config_selectorIblEEZNS1_25segmented_radix_sort_implIS3_Lb0EPKbPbPKlPlN2at6native12_GLOBAL__N_18offset_tEEE10hipError_tPvRmT1_PNSt15iterator_traitsISK_E10value_typeET2_T3_PNSL_ISQ_E10value_typeET4_jRbjT5_SW_jjP12ihipStream_tbEUlT_E0_NS1_11comp_targetILNS1_3genE10ELNS1_11target_archE1201ELNS1_3gpuE5ELNS1_3repE0EEENS1_60segmented_radix_sort_warp_sort_medium_config_static_selectorELNS0_4arch9wavefront6targetE0EEEvSK_, .Lfunc_end1642-_ZN7rocprim17ROCPRIM_400000_NS6detail17trampoline_kernelINS0_14default_configENS1_36segmented_radix_sort_config_selectorIblEEZNS1_25segmented_radix_sort_implIS3_Lb0EPKbPbPKlPlN2at6native12_GLOBAL__N_18offset_tEEE10hipError_tPvRmT1_PNSt15iterator_traitsISK_E10value_typeET2_T3_PNSL_ISQ_E10value_typeET4_jRbjT5_SW_jjP12ihipStream_tbEUlT_E0_NS1_11comp_targetILNS1_3genE10ELNS1_11target_archE1201ELNS1_3gpuE5ELNS1_3repE0EEENS1_60segmented_radix_sort_warp_sort_medium_config_static_selectorELNS0_4arch9wavefront6targetE0EEEvSK_
                                        ; -- End function
	.set _ZN7rocprim17ROCPRIM_400000_NS6detail17trampoline_kernelINS0_14default_configENS1_36segmented_radix_sort_config_selectorIblEEZNS1_25segmented_radix_sort_implIS3_Lb0EPKbPbPKlPlN2at6native12_GLOBAL__N_18offset_tEEE10hipError_tPvRmT1_PNSt15iterator_traitsISK_E10value_typeET2_T3_PNSL_ISQ_E10value_typeET4_jRbjT5_SW_jjP12ihipStream_tbEUlT_E0_NS1_11comp_targetILNS1_3genE10ELNS1_11target_archE1201ELNS1_3gpuE5ELNS1_3repE0EEENS1_60segmented_radix_sort_warp_sort_medium_config_static_selectorELNS0_4arch9wavefront6targetE0EEEvSK_.num_vgpr, 0
	.set _ZN7rocprim17ROCPRIM_400000_NS6detail17trampoline_kernelINS0_14default_configENS1_36segmented_radix_sort_config_selectorIblEEZNS1_25segmented_radix_sort_implIS3_Lb0EPKbPbPKlPlN2at6native12_GLOBAL__N_18offset_tEEE10hipError_tPvRmT1_PNSt15iterator_traitsISK_E10value_typeET2_T3_PNSL_ISQ_E10value_typeET4_jRbjT5_SW_jjP12ihipStream_tbEUlT_E0_NS1_11comp_targetILNS1_3genE10ELNS1_11target_archE1201ELNS1_3gpuE5ELNS1_3repE0EEENS1_60segmented_radix_sort_warp_sort_medium_config_static_selectorELNS0_4arch9wavefront6targetE0EEEvSK_.num_agpr, 0
	.set _ZN7rocprim17ROCPRIM_400000_NS6detail17trampoline_kernelINS0_14default_configENS1_36segmented_radix_sort_config_selectorIblEEZNS1_25segmented_radix_sort_implIS3_Lb0EPKbPbPKlPlN2at6native12_GLOBAL__N_18offset_tEEE10hipError_tPvRmT1_PNSt15iterator_traitsISK_E10value_typeET2_T3_PNSL_ISQ_E10value_typeET4_jRbjT5_SW_jjP12ihipStream_tbEUlT_E0_NS1_11comp_targetILNS1_3genE10ELNS1_11target_archE1201ELNS1_3gpuE5ELNS1_3repE0EEENS1_60segmented_radix_sort_warp_sort_medium_config_static_selectorELNS0_4arch9wavefront6targetE0EEEvSK_.numbered_sgpr, 0
	.set _ZN7rocprim17ROCPRIM_400000_NS6detail17trampoline_kernelINS0_14default_configENS1_36segmented_radix_sort_config_selectorIblEEZNS1_25segmented_radix_sort_implIS3_Lb0EPKbPbPKlPlN2at6native12_GLOBAL__N_18offset_tEEE10hipError_tPvRmT1_PNSt15iterator_traitsISK_E10value_typeET2_T3_PNSL_ISQ_E10value_typeET4_jRbjT5_SW_jjP12ihipStream_tbEUlT_E0_NS1_11comp_targetILNS1_3genE10ELNS1_11target_archE1201ELNS1_3gpuE5ELNS1_3repE0EEENS1_60segmented_radix_sort_warp_sort_medium_config_static_selectorELNS0_4arch9wavefront6targetE0EEEvSK_.num_named_barrier, 0
	.set _ZN7rocprim17ROCPRIM_400000_NS6detail17trampoline_kernelINS0_14default_configENS1_36segmented_radix_sort_config_selectorIblEEZNS1_25segmented_radix_sort_implIS3_Lb0EPKbPbPKlPlN2at6native12_GLOBAL__N_18offset_tEEE10hipError_tPvRmT1_PNSt15iterator_traitsISK_E10value_typeET2_T3_PNSL_ISQ_E10value_typeET4_jRbjT5_SW_jjP12ihipStream_tbEUlT_E0_NS1_11comp_targetILNS1_3genE10ELNS1_11target_archE1201ELNS1_3gpuE5ELNS1_3repE0EEENS1_60segmented_radix_sort_warp_sort_medium_config_static_selectorELNS0_4arch9wavefront6targetE0EEEvSK_.private_seg_size, 0
	.set _ZN7rocprim17ROCPRIM_400000_NS6detail17trampoline_kernelINS0_14default_configENS1_36segmented_radix_sort_config_selectorIblEEZNS1_25segmented_radix_sort_implIS3_Lb0EPKbPbPKlPlN2at6native12_GLOBAL__N_18offset_tEEE10hipError_tPvRmT1_PNSt15iterator_traitsISK_E10value_typeET2_T3_PNSL_ISQ_E10value_typeET4_jRbjT5_SW_jjP12ihipStream_tbEUlT_E0_NS1_11comp_targetILNS1_3genE10ELNS1_11target_archE1201ELNS1_3gpuE5ELNS1_3repE0EEENS1_60segmented_radix_sort_warp_sort_medium_config_static_selectorELNS0_4arch9wavefront6targetE0EEEvSK_.uses_vcc, 0
	.set _ZN7rocprim17ROCPRIM_400000_NS6detail17trampoline_kernelINS0_14default_configENS1_36segmented_radix_sort_config_selectorIblEEZNS1_25segmented_radix_sort_implIS3_Lb0EPKbPbPKlPlN2at6native12_GLOBAL__N_18offset_tEEE10hipError_tPvRmT1_PNSt15iterator_traitsISK_E10value_typeET2_T3_PNSL_ISQ_E10value_typeET4_jRbjT5_SW_jjP12ihipStream_tbEUlT_E0_NS1_11comp_targetILNS1_3genE10ELNS1_11target_archE1201ELNS1_3gpuE5ELNS1_3repE0EEENS1_60segmented_radix_sort_warp_sort_medium_config_static_selectorELNS0_4arch9wavefront6targetE0EEEvSK_.uses_flat_scratch, 0
	.set _ZN7rocprim17ROCPRIM_400000_NS6detail17trampoline_kernelINS0_14default_configENS1_36segmented_radix_sort_config_selectorIblEEZNS1_25segmented_radix_sort_implIS3_Lb0EPKbPbPKlPlN2at6native12_GLOBAL__N_18offset_tEEE10hipError_tPvRmT1_PNSt15iterator_traitsISK_E10value_typeET2_T3_PNSL_ISQ_E10value_typeET4_jRbjT5_SW_jjP12ihipStream_tbEUlT_E0_NS1_11comp_targetILNS1_3genE10ELNS1_11target_archE1201ELNS1_3gpuE5ELNS1_3repE0EEENS1_60segmented_radix_sort_warp_sort_medium_config_static_selectorELNS0_4arch9wavefront6targetE0EEEvSK_.has_dyn_sized_stack, 0
	.set _ZN7rocprim17ROCPRIM_400000_NS6detail17trampoline_kernelINS0_14default_configENS1_36segmented_radix_sort_config_selectorIblEEZNS1_25segmented_radix_sort_implIS3_Lb0EPKbPbPKlPlN2at6native12_GLOBAL__N_18offset_tEEE10hipError_tPvRmT1_PNSt15iterator_traitsISK_E10value_typeET2_T3_PNSL_ISQ_E10value_typeET4_jRbjT5_SW_jjP12ihipStream_tbEUlT_E0_NS1_11comp_targetILNS1_3genE10ELNS1_11target_archE1201ELNS1_3gpuE5ELNS1_3repE0EEENS1_60segmented_radix_sort_warp_sort_medium_config_static_selectorELNS0_4arch9wavefront6targetE0EEEvSK_.has_recursion, 0
	.set _ZN7rocprim17ROCPRIM_400000_NS6detail17trampoline_kernelINS0_14default_configENS1_36segmented_radix_sort_config_selectorIblEEZNS1_25segmented_radix_sort_implIS3_Lb0EPKbPbPKlPlN2at6native12_GLOBAL__N_18offset_tEEE10hipError_tPvRmT1_PNSt15iterator_traitsISK_E10value_typeET2_T3_PNSL_ISQ_E10value_typeET4_jRbjT5_SW_jjP12ihipStream_tbEUlT_E0_NS1_11comp_targetILNS1_3genE10ELNS1_11target_archE1201ELNS1_3gpuE5ELNS1_3repE0EEENS1_60segmented_radix_sort_warp_sort_medium_config_static_selectorELNS0_4arch9wavefront6targetE0EEEvSK_.has_indirect_call, 0
	.section	.AMDGPU.csdata,"",@progbits
; Kernel info:
; codeLenInByte = 0
; TotalNumSgprs: 0
; NumVgprs: 0
; ScratchSize: 0
; MemoryBound: 0
; FloatMode: 240
; IeeeMode: 1
; LDSByteSize: 0 bytes/workgroup (compile time only)
; SGPRBlocks: 0
; VGPRBlocks: 0
; NumSGPRsForWavesPerEU: 1
; NumVGPRsForWavesPerEU: 1
; NamedBarCnt: 0
; Occupancy: 16
; WaveLimiterHint : 0
; COMPUTE_PGM_RSRC2:SCRATCH_EN: 0
; COMPUTE_PGM_RSRC2:USER_SGPR: 2
; COMPUTE_PGM_RSRC2:TRAP_HANDLER: 0
; COMPUTE_PGM_RSRC2:TGID_X_EN: 1
; COMPUTE_PGM_RSRC2:TGID_Y_EN: 0
; COMPUTE_PGM_RSRC2:TGID_Z_EN: 0
; COMPUTE_PGM_RSRC2:TIDIG_COMP_CNT: 0
	.section	.text._ZN7rocprim17ROCPRIM_400000_NS6detail17trampoline_kernelINS0_14default_configENS1_36segmented_radix_sort_config_selectorIblEEZNS1_25segmented_radix_sort_implIS3_Lb0EPKbPbPKlPlN2at6native12_GLOBAL__N_18offset_tEEE10hipError_tPvRmT1_PNSt15iterator_traitsISK_E10value_typeET2_T3_PNSL_ISQ_E10value_typeET4_jRbjT5_SW_jjP12ihipStream_tbEUlT_E0_NS1_11comp_targetILNS1_3genE10ELNS1_11target_archE1200ELNS1_3gpuE4ELNS1_3repE0EEENS1_60segmented_radix_sort_warp_sort_medium_config_static_selectorELNS0_4arch9wavefront6targetE0EEEvSK_,"axG",@progbits,_ZN7rocprim17ROCPRIM_400000_NS6detail17trampoline_kernelINS0_14default_configENS1_36segmented_radix_sort_config_selectorIblEEZNS1_25segmented_radix_sort_implIS3_Lb0EPKbPbPKlPlN2at6native12_GLOBAL__N_18offset_tEEE10hipError_tPvRmT1_PNSt15iterator_traitsISK_E10value_typeET2_T3_PNSL_ISQ_E10value_typeET4_jRbjT5_SW_jjP12ihipStream_tbEUlT_E0_NS1_11comp_targetILNS1_3genE10ELNS1_11target_archE1200ELNS1_3gpuE4ELNS1_3repE0EEENS1_60segmented_radix_sort_warp_sort_medium_config_static_selectorELNS0_4arch9wavefront6targetE0EEEvSK_,comdat
	.globl	_ZN7rocprim17ROCPRIM_400000_NS6detail17trampoline_kernelINS0_14default_configENS1_36segmented_radix_sort_config_selectorIblEEZNS1_25segmented_radix_sort_implIS3_Lb0EPKbPbPKlPlN2at6native12_GLOBAL__N_18offset_tEEE10hipError_tPvRmT1_PNSt15iterator_traitsISK_E10value_typeET2_T3_PNSL_ISQ_E10value_typeET4_jRbjT5_SW_jjP12ihipStream_tbEUlT_E0_NS1_11comp_targetILNS1_3genE10ELNS1_11target_archE1200ELNS1_3gpuE4ELNS1_3repE0EEENS1_60segmented_radix_sort_warp_sort_medium_config_static_selectorELNS0_4arch9wavefront6targetE0EEEvSK_ ; -- Begin function _ZN7rocprim17ROCPRIM_400000_NS6detail17trampoline_kernelINS0_14default_configENS1_36segmented_radix_sort_config_selectorIblEEZNS1_25segmented_radix_sort_implIS3_Lb0EPKbPbPKlPlN2at6native12_GLOBAL__N_18offset_tEEE10hipError_tPvRmT1_PNSt15iterator_traitsISK_E10value_typeET2_T3_PNSL_ISQ_E10value_typeET4_jRbjT5_SW_jjP12ihipStream_tbEUlT_E0_NS1_11comp_targetILNS1_3genE10ELNS1_11target_archE1200ELNS1_3gpuE4ELNS1_3repE0EEENS1_60segmented_radix_sort_warp_sort_medium_config_static_selectorELNS0_4arch9wavefront6targetE0EEEvSK_
	.p2align	8
	.type	_ZN7rocprim17ROCPRIM_400000_NS6detail17trampoline_kernelINS0_14default_configENS1_36segmented_radix_sort_config_selectorIblEEZNS1_25segmented_radix_sort_implIS3_Lb0EPKbPbPKlPlN2at6native12_GLOBAL__N_18offset_tEEE10hipError_tPvRmT1_PNSt15iterator_traitsISK_E10value_typeET2_T3_PNSL_ISQ_E10value_typeET4_jRbjT5_SW_jjP12ihipStream_tbEUlT_E0_NS1_11comp_targetILNS1_3genE10ELNS1_11target_archE1200ELNS1_3gpuE4ELNS1_3repE0EEENS1_60segmented_radix_sort_warp_sort_medium_config_static_selectorELNS0_4arch9wavefront6targetE0EEEvSK_,@function
_ZN7rocprim17ROCPRIM_400000_NS6detail17trampoline_kernelINS0_14default_configENS1_36segmented_radix_sort_config_selectorIblEEZNS1_25segmented_radix_sort_implIS3_Lb0EPKbPbPKlPlN2at6native12_GLOBAL__N_18offset_tEEE10hipError_tPvRmT1_PNSt15iterator_traitsISK_E10value_typeET2_T3_PNSL_ISQ_E10value_typeET4_jRbjT5_SW_jjP12ihipStream_tbEUlT_E0_NS1_11comp_targetILNS1_3genE10ELNS1_11target_archE1200ELNS1_3gpuE4ELNS1_3repE0EEENS1_60segmented_radix_sort_warp_sort_medium_config_static_selectorELNS0_4arch9wavefront6targetE0EEEvSK_: ; @_ZN7rocprim17ROCPRIM_400000_NS6detail17trampoline_kernelINS0_14default_configENS1_36segmented_radix_sort_config_selectorIblEEZNS1_25segmented_radix_sort_implIS3_Lb0EPKbPbPKlPlN2at6native12_GLOBAL__N_18offset_tEEE10hipError_tPvRmT1_PNSt15iterator_traitsISK_E10value_typeET2_T3_PNSL_ISQ_E10value_typeET4_jRbjT5_SW_jjP12ihipStream_tbEUlT_E0_NS1_11comp_targetILNS1_3genE10ELNS1_11target_archE1200ELNS1_3gpuE4ELNS1_3repE0EEENS1_60segmented_radix_sort_warp_sort_medium_config_static_selectorELNS0_4arch9wavefront6targetE0EEEvSK_
; %bb.0:
	.section	.rodata,"a",@progbits
	.p2align	6, 0x0
	.amdhsa_kernel _ZN7rocprim17ROCPRIM_400000_NS6detail17trampoline_kernelINS0_14default_configENS1_36segmented_radix_sort_config_selectorIblEEZNS1_25segmented_radix_sort_implIS3_Lb0EPKbPbPKlPlN2at6native12_GLOBAL__N_18offset_tEEE10hipError_tPvRmT1_PNSt15iterator_traitsISK_E10value_typeET2_T3_PNSL_ISQ_E10value_typeET4_jRbjT5_SW_jjP12ihipStream_tbEUlT_E0_NS1_11comp_targetILNS1_3genE10ELNS1_11target_archE1200ELNS1_3gpuE4ELNS1_3repE0EEENS1_60segmented_radix_sort_warp_sort_medium_config_static_selectorELNS0_4arch9wavefront6targetE0EEEvSK_
		.amdhsa_group_segment_fixed_size 0
		.amdhsa_private_segment_fixed_size 0
		.amdhsa_kernarg_size 88
		.amdhsa_user_sgpr_count 2
		.amdhsa_user_sgpr_dispatch_ptr 0
		.amdhsa_user_sgpr_queue_ptr 0
		.amdhsa_user_sgpr_kernarg_segment_ptr 1
		.amdhsa_user_sgpr_dispatch_id 0
		.amdhsa_user_sgpr_kernarg_preload_length 0
		.amdhsa_user_sgpr_kernarg_preload_offset 0
		.amdhsa_user_sgpr_private_segment_size 0
		.amdhsa_wavefront_size32 1
		.amdhsa_uses_dynamic_stack 0
		.amdhsa_enable_private_segment 0
		.amdhsa_system_sgpr_workgroup_id_x 1
		.amdhsa_system_sgpr_workgroup_id_y 0
		.amdhsa_system_sgpr_workgroup_id_z 0
		.amdhsa_system_sgpr_workgroup_info 0
		.amdhsa_system_vgpr_workitem_id 0
		.amdhsa_next_free_vgpr 1
		.amdhsa_next_free_sgpr 1
		.amdhsa_named_barrier_count 0
		.amdhsa_reserve_vcc 0
		.amdhsa_float_round_mode_32 0
		.amdhsa_float_round_mode_16_64 0
		.amdhsa_float_denorm_mode_32 3
		.amdhsa_float_denorm_mode_16_64 3
		.amdhsa_fp16_overflow 0
		.amdhsa_memory_ordered 1
		.amdhsa_forward_progress 1
		.amdhsa_inst_pref_size 0
		.amdhsa_round_robin_scheduling 0
		.amdhsa_exception_fp_ieee_invalid_op 0
		.amdhsa_exception_fp_denorm_src 0
		.amdhsa_exception_fp_ieee_div_zero 0
		.amdhsa_exception_fp_ieee_overflow 0
		.amdhsa_exception_fp_ieee_underflow 0
		.amdhsa_exception_fp_ieee_inexact 0
		.amdhsa_exception_int_div_zero 0
	.end_amdhsa_kernel
	.section	.text._ZN7rocprim17ROCPRIM_400000_NS6detail17trampoline_kernelINS0_14default_configENS1_36segmented_radix_sort_config_selectorIblEEZNS1_25segmented_radix_sort_implIS3_Lb0EPKbPbPKlPlN2at6native12_GLOBAL__N_18offset_tEEE10hipError_tPvRmT1_PNSt15iterator_traitsISK_E10value_typeET2_T3_PNSL_ISQ_E10value_typeET4_jRbjT5_SW_jjP12ihipStream_tbEUlT_E0_NS1_11comp_targetILNS1_3genE10ELNS1_11target_archE1200ELNS1_3gpuE4ELNS1_3repE0EEENS1_60segmented_radix_sort_warp_sort_medium_config_static_selectorELNS0_4arch9wavefront6targetE0EEEvSK_,"axG",@progbits,_ZN7rocprim17ROCPRIM_400000_NS6detail17trampoline_kernelINS0_14default_configENS1_36segmented_radix_sort_config_selectorIblEEZNS1_25segmented_radix_sort_implIS3_Lb0EPKbPbPKlPlN2at6native12_GLOBAL__N_18offset_tEEE10hipError_tPvRmT1_PNSt15iterator_traitsISK_E10value_typeET2_T3_PNSL_ISQ_E10value_typeET4_jRbjT5_SW_jjP12ihipStream_tbEUlT_E0_NS1_11comp_targetILNS1_3genE10ELNS1_11target_archE1200ELNS1_3gpuE4ELNS1_3repE0EEENS1_60segmented_radix_sort_warp_sort_medium_config_static_selectorELNS0_4arch9wavefront6targetE0EEEvSK_,comdat
.Lfunc_end1643:
	.size	_ZN7rocprim17ROCPRIM_400000_NS6detail17trampoline_kernelINS0_14default_configENS1_36segmented_radix_sort_config_selectorIblEEZNS1_25segmented_radix_sort_implIS3_Lb0EPKbPbPKlPlN2at6native12_GLOBAL__N_18offset_tEEE10hipError_tPvRmT1_PNSt15iterator_traitsISK_E10value_typeET2_T3_PNSL_ISQ_E10value_typeET4_jRbjT5_SW_jjP12ihipStream_tbEUlT_E0_NS1_11comp_targetILNS1_3genE10ELNS1_11target_archE1200ELNS1_3gpuE4ELNS1_3repE0EEENS1_60segmented_radix_sort_warp_sort_medium_config_static_selectorELNS0_4arch9wavefront6targetE0EEEvSK_, .Lfunc_end1643-_ZN7rocprim17ROCPRIM_400000_NS6detail17trampoline_kernelINS0_14default_configENS1_36segmented_radix_sort_config_selectorIblEEZNS1_25segmented_radix_sort_implIS3_Lb0EPKbPbPKlPlN2at6native12_GLOBAL__N_18offset_tEEE10hipError_tPvRmT1_PNSt15iterator_traitsISK_E10value_typeET2_T3_PNSL_ISQ_E10value_typeET4_jRbjT5_SW_jjP12ihipStream_tbEUlT_E0_NS1_11comp_targetILNS1_3genE10ELNS1_11target_archE1200ELNS1_3gpuE4ELNS1_3repE0EEENS1_60segmented_radix_sort_warp_sort_medium_config_static_selectorELNS0_4arch9wavefront6targetE0EEEvSK_
                                        ; -- End function
	.set _ZN7rocprim17ROCPRIM_400000_NS6detail17trampoline_kernelINS0_14default_configENS1_36segmented_radix_sort_config_selectorIblEEZNS1_25segmented_radix_sort_implIS3_Lb0EPKbPbPKlPlN2at6native12_GLOBAL__N_18offset_tEEE10hipError_tPvRmT1_PNSt15iterator_traitsISK_E10value_typeET2_T3_PNSL_ISQ_E10value_typeET4_jRbjT5_SW_jjP12ihipStream_tbEUlT_E0_NS1_11comp_targetILNS1_3genE10ELNS1_11target_archE1200ELNS1_3gpuE4ELNS1_3repE0EEENS1_60segmented_radix_sort_warp_sort_medium_config_static_selectorELNS0_4arch9wavefront6targetE0EEEvSK_.num_vgpr, 0
	.set _ZN7rocprim17ROCPRIM_400000_NS6detail17trampoline_kernelINS0_14default_configENS1_36segmented_radix_sort_config_selectorIblEEZNS1_25segmented_radix_sort_implIS3_Lb0EPKbPbPKlPlN2at6native12_GLOBAL__N_18offset_tEEE10hipError_tPvRmT1_PNSt15iterator_traitsISK_E10value_typeET2_T3_PNSL_ISQ_E10value_typeET4_jRbjT5_SW_jjP12ihipStream_tbEUlT_E0_NS1_11comp_targetILNS1_3genE10ELNS1_11target_archE1200ELNS1_3gpuE4ELNS1_3repE0EEENS1_60segmented_radix_sort_warp_sort_medium_config_static_selectorELNS0_4arch9wavefront6targetE0EEEvSK_.num_agpr, 0
	.set _ZN7rocprim17ROCPRIM_400000_NS6detail17trampoline_kernelINS0_14default_configENS1_36segmented_radix_sort_config_selectorIblEEZNS1_25segmented_radix_sort_implIS3_Lb0EPKbPbPKlPlN2at6native12_GLOBAL__N_18offset_tEEE10hipError_tPvRmT1_PNSt15iterator_traitsISK_E10value_typeET2_T3_PNSL_ISQ_E10value_typeET4_jRbjT5_SW_jjP12ihipStream_tbEUlT_E0_NS1_11comp_targetILNS1_3genE10ELNS1_11target_archE1200ELNS1_3gpuE4ELNS1_3repE0EEENS1_60segmented_radix_sort_warp_sort_medium_config_static_selectorELNS0_4arch9wavefront6targetE0EEEvSK_.numbered_sgpr, 0
	.set _ZN7rocprim17ROCPRIM_400000_NS6detail17trampoline_kernelINS0_14default_configENS1_36segmented_radix_sort_config_selectorIblEEZNS1_25segmented_radix_sort_implIS3_Lb0EPKbPbPKlPlN2at6native12_GLOBAL__N_18offset_tEEE10hipError_tPvRmT1_PNSt15iterator_traitsISK_E10value_typeET2_T3_PNSL_ISQ_E10value_typeET4_jRbjT5_SW_jjP12ihipStream_tbEUlT_E0_NS1_11comp_targetILNS1_3genE10ELNS1_11target_archE1200ELNS1_3gpuE4ELNS1_3repE0EEENS1_60segmented_radix_sort_warp_sort_medium_config_static_selectorELNS0_4arch9wavefront6targetE0EEEvSK_.num_named_barrier, 0
	.set _ZN7rocprim17ROCPRIM_400000_NS6detail17trampoline_kernelINS0_14default_configENS1_36segmented_radix_sort_config_selectorIblEEZNS1_25segmented_radix_sort_implIS3_Lb0EPKbPbPKlPlN2at6native12_GLOBAL__N_18offset_tEEE10hipError_tPvRmT1_PNSt15iterator_traitsISK_E10value_typeET2_T3_PNSL_ISQ_E10value_typeET4_jRbjT5_SW_jjP12ihipStream_tbEUlT_E0_NS1_11comp_targetILNS1_3genE10ELNS1_11target_archE1200ELNS1_3gpuE4ELNS1_3repE0EEENS1_60segmented_radix_sort_warp_sort_medium_config_static_selectorELNS0_4arch9wavefront6targetE0EEEvSK_.private_seg_size, 0
	.set _ZN7rocprim17ROCPRIM_400000_NS6detail17trampoline_kernelINS0_14default_configENS1_36segmented_radix_sort_config_selectorIblEEZNS1_25segmented_radix_sort_implIS3_Lb0EPKbPbPKlPlN2at6native12_GLOBAL__N_18offset_tEEE10hipError_tPvRmT1_PNSt15iterator_traitsISK_E10value_typeET2_T3_PNSL_ISQ_E10value_typeET4_jRbjT5_SW_jjP12ihipStream_tbEUlT_E0_NS1_11comp_targetILNS1_3genE10ELNS1_11target_archE1200ELNS1_3gpuE4ELNS1_3repE0EEENS1_60segmented_radix_sort_warp_sort_medium_config_static_selectorELNS0_4arch9wavefront6targetE0EEEvSK_.uses_vcc, 0
	.set _ZN7rocprim17ROCPRIM_400000_NS6detail17trampoline_kernelINS0_14default_configENS1_36segmented_radix_sort_config_selectorIblEEZNS1_25segmented_radix_sort_implIS3_Lb0EPKbPbPKlPlN2at6native12_GLOBAL__N_18offset_tEEE10hipError_tPvRmT1_PNSt15iterator_traitsISK_E10value_typeET2_T3_PNSL_ISQ_E10value_typeET4_jRbjT5_SW_jjP12ihipStream_tbEUlT_E0_NS1_11comp_targetILNS1_3genE10ELNS1_11target_archE1200ELNS1_3gpuE4ELNS1_3repE0EEENS1_60segmented_radix_sort_warp_sort_medium_config_static_selectorELNS0_4arch9wavefront6targetE0EEEvSK_.uses_flat_scratch, 0
	.set _ZN7rocprim17ROCPRIM_400000_NS6detail17trampoline_kernelINS0_14default_configENS1_36segmented_radix_sort_config_selectorIblEEZNS1_25segmented_radix_sort_implIS3_Lb0EPKbPbPKlPlN2at6native12_GLOBAL__N_18offset_tEEE10hipError_tPvRmT1_PNSt15iterator_traitsISK_E10value_typeET2_T3_PNSL_ISQ_E10value_typeET4_jRbjT5_SW_jjP12ihipStream_tbEUlT_E0_NS1_11comp_targetILNS1_3genE10ELNS1_11target_archE1200ELNS1_3gpuE4ELNS1_3repE0EEENS1_60segmented_radix_sort_warp_sort_medium_config_static_selectorELNS0_4arch9wavefront6targetE0EEEvSK_.has_dyn_sized_stack, 0
	.set _ZN7rocprim17ROCPRIM_400000_NS6detail17trampoline_kernelINS0_14default_configENS1_36segmented_radix_sort_config_selectorIblEEZNS1_25segmented_radix_sort_implIS3_Lb0EPKbPbPKlPlN2at6native12_GLOBAL__N_18offset_tEEE10hipError_tPvRmT1_PNSt15iterator_traitsISK_E10value_typeET2_T3_PNSL_ISQ_E10value_typeET4_jRbjT5_SW_jjP12ihipStream_tbEUlT_E0_NS1_11comp_targetILNS1_3genE10ELNS1_11target_archE1200ELNS1_3gpuE4ELNS1_3repE0EEENS1_60segmented_radix_sort_warp_sort_medium_config_static_selectorELNS0_4arch9wavefront6targetE0EEEvSK_.has_recursion, 0
	.set _ZN7rocprim17ROCPRIM_400000_NS6detail17trampoline_kernelINS0_14default_configENS1_36segmented_radix_sort_config_selectorIblEEZNS1_25segmented_radix_sort_implIS3_Lb0EPKbPbPKlPlN2at6native12_GLOBAL__N_18offset_tEEE10hipError_tPvRmT1_PNSt15iterator_traitsISK_E10value_typeET2_T3_PNSL_ISQ_E10value_typeET4_jRbjT5_SW_jjP12ihipStream_tbEUlT_E0_NS1_11comp_targetILNS1_3genE10ELNS1_11target_archE1200ELNS1_3gpuE4ELNS1_3repE0EEENS1_60segmented_radix_sort_warp_sort_medium_config_static_selectorELNS0_4arch9wavefront6targetE0EEEvSK_.has_indirect_call, 0
	.section	.AMDGPU.csdata,"",@progbits
; Kernel info:
; codeLenInByte = 0
; TotalNumSgprs: 0
; NumVgprs: 0
; ScratchSize: 0
; MemoryBound: 0
; FloatMode: 240
; IeeeMode: 1
; LDSByteSize: 0 bytes/workgroup (compile time only)
; SGPRBlocks: 0
; VGPRBlocks: 0
; NumSGPRsForWavesPerEU: 1
; NumVGPRsForWavesPerEU: 1
; NamedBarCnt: 0
; Occupancy: 16
; WaveLimiterHint : 0
; COMPUTE_PGM_RSRC2:SCRATCH_EN: 0
; COMPUTE_PGM_RSRC2:USER_SGPR: 2
; COMPUTE_PGM_RSRC2:TRAP_HANDLER: 0
; COMPUTE_PGM_RSRC2:TGID_X_EN: 1
; COMPUTE_PGM_RSRC2:TGID_Y_EN: 0
; COMPUTE_PGM_RSRC2:TGID_Z_EN: 0
; COMPUTE_PGM_RSRC2:TIDIG_COMP_CNT: 0
	.section	.text._ZN7rocprim17ROCPRIM_400000_NS6detail17trampoline_kernelINS0_14default_configENS1_36segmented_radix_sort_config_selectorIblEEZNS1_25segmented_radix_sort_implIS3_Lb0EPKbPbPKlPlN2at6native12_GLOBAL__N_18offset_tEEE10hipError_tPvRmT1_PNSt15iterator_traitsISK_E10value_typeET2_T3_PNSL_ISQ_E10value_typeET4_jRbjT5_SW_jjP12ihipStream_tbEUlT_E0_NS1_11comp_targetILNS1_3genE9ELNS1_11target_archE1100ELNS1_3gpuE3ELNS1_3repE0EEENS1_60segmented_radix_sort_warp_sort_medium_config_static_selectorELNS0_4arch9wavefront6targetE0EEEvSK_,"axG",@progbits,_ZN7rocprim17ROCPRIM_400000_NS6detail17trampoline_kernelINS0_14default_configENS1_36segmented_radix_sort_config_selectorIblEEZNS1_25segmented_radix_sort_implIS3_Lb0EPKbPbPKlPlN2at6native12_GLOBAL__N_18offset_tEEE10hipError_tPvRmT1_PNSt15iterator_traitsISK_E10value_typeET2_T3_PNSL_ISQ_E10value_typeET4_jRbjT5_SW_jjP12ihipStream_tbEUlT_E0_NS1_11comp_targetILNS1_3genE9ELNS1_11target_archE1100ELNS1_3gpuE3ELNS1_3repE0EEENS1_60segmented_radix_sort_warp_sort_medium_config_static_selectorELNS0_4arch9wavefront6targetE0EEEvSK_,comdat
	.globl	_ZN7rocprim17ROCPRIM_400000_NS6detail17trampoline_kernelINS0_14default_configENS1_36segmented_radix_sort_config_selectorIblEEZNS1_25segmented_radix_sort_implIS3_Lb0EPKbPbPKlPlN2at6native12_GLOBAL__N_18offset_tEEE10hipError_tPvRmT1_PNSt15iterator_traitsISK_E10value_typeET2_T3_PNSL_ISQ_E10value_typeET4_jRbjT5_SW_jjP12ihipStream_tbEUlT_E0_NS1_11comp_targetILNS1_3genE9ELNS1_11target_archE1100ELNS1_3gpuE3ELNS1_3repE0EEENS1_60segmented_radix_sort_warp_sort_medium_config_static_selectorELNS0_4arch9wavefront6targetE0EEEvSK_ ; -- Begin function _ZN7rocprim17ROCPRIM_400000_NS6detail17trampoline_kernelINS0_14default_configENS1_36segmented_radix_sort_config_selectorIblEEZNS1_25segmented_radix_sort_implIS3_Lb0EPKbPbPKlPlN2at6native12_GLOBAL__N_18offset_tEEE10hipError_tPvRmT1_PNSt15iterator_traitsISK_E10value_typeET2_T3_PNSL_ISQ_E10value_typeET4_jRbjT5_SW_jjP12ihipStream_tbEUlT_E0_NS1_11comp_targetILNS1_3genE9ELNS1_11target_archE1100ELNS1_3gpuE3ELNS1_3repE0EEENS1_60segmented_radix_sort_warp_sort_medium_config_static_selectorELNS0_4arch9wavefront6targetE0EEEvSK_
	.p2align	8
	.type	_ZN7rocprim17ROCPRIM_400000_NS6detail17trampoline_kernelINS0_14default_configENS1_36segmented_radix_sort_config_selectorIblEEZNS1_25segmented_radix_sort_implIS3_Lb0EPKbPbPKlPlN2at6native12_GLOBAL__N_18offset_tEEE10hipError_tPvRmT1_PNSt15iterator_traitsISK_E10value_typeET2_T3_PNSL_ISQ_E10value_typeET4_jRbjT5_SW_jjP12ihipStream_tbEUlT_E0_NS1_11comp_targetILNS1_3genE9ELNS1_11target_archE1100ELNS1_3gpuE3ELNS1_3repE0EEENS1_60segmented_radix_sort_warp_sort_medium_config_static_selectorELNS0_4arch9wavefront6targetE0EEEvSK_,@function
_ZN7rocprim17ROCPRIM_400000_NS6detail17trampoline_kernelINS0_14default_configENS1_36segmented_radix_sort_config_selectorIblEEZNS1_25segmented_radix_sort_implIS3_Lb0EPKbPbPKlPlN2at6native12_GLOBAL__N_18offset_tEEE10hipError_tPvRmT1_PNSt15iterator_traitsISK_E10value_typeET2_T3_PNSL_ISQ_E10value_typeET4_jRbjT5_SW_jjP12ihipStream_tbEUlT_E0_NS1_11comp_targetILNS1_3genE9ELNS1_11target_archE1100ELNS1_3gpuE3ELNS1_3repE0EEENS1_60segmented_radix_sort_warp_sort_medium_config_static_selectorELNS0_4arch9wavefront6targetE0EEEvSK_: ; @_ZN7rocprim17ROCPRIM_400000_NS6detail17trampoline_kernelINS0_14default_configENS1_36segmented_radix_sort_config_selectorIblEEZNS1_25segmented_radix_sort_implIS3_Lb0EPKbPbPKlPlN2at6native12_GLOBAL__N_18offset_tEEE10hipError_tPvRmT1_PNSt15iterator_traitsISK_E10value_typeET2_T3_PNSL_ISQ_E10value_typeET4_jRbjT5_SW_jjP12ihipStream_tbEUlT_E0_NS1_11comp_targetILNS1_3genE9ELNS1_11target_archE1100ELNS1_3gpuE3ELNS1_3repE0EEENS1_60segmented_radix_sort_warp_sort_medium_config_static_selectorELNS0_4arch9wavefront6targetE0EEEvSK_
; %bb.0:
	.section	.rodata,"a",@progbits
	.p2align	6, 0x0
	.amdhsa_kernel _ZN7rocprim17ROCPRIM_400000_NS6detail17trampoline_kernelINS0_14default_configENS1_36segmented_radix_sort_config_selectorIblEEZNS1_25segmented_radix_sort_implIS3_Lb0EPKbPbPKlPlN2at6native12_GLOBAL__N_18offset_tEEE10hipError_tPvRmT1_PNSt15iterator_traitsISK_E10value_typeET2_T3_PNSL_ISQ_E10value_typeET4_jRbjT5_SW_jjP12ihipStream_tbEUlT_E0_NS1_11comp_targetILNS1_3genE9ELNS1_11target_archE1100ELNS1_3gpuE3ELNS1_3repE0EEENS1_60segmented_radix_sort_warp_sort_medium_config_static_selectorELNS0_4arch9wavefront6targetE0EEEvSK_
		.amdhsa_group_segment_fixed_size 0
		.amdhsa_private_segment_fixed_size 0
		.amdhsa_kernarg_size 88
		.amdhsa_user_sgpr_count 2
		.amdhsa_user_sgpr_dispatch_ptr 0
		.amdhsa_user_sgpr_queue_ptr 0
		.amdhsa_user_sgpr_kernarg_segment_ptr 1
		.amdhsa_user_sgpr_dispatch_id 0
		.amdhsa_user_sgpr_kernarg_preload_length 0
		.amdhsa_user_sgpr_kernarg_preload_offset 0
		.amdhsa_user_sgpr_private_segment_size 0
		.amdhsa_wavefront_size32 1
		.amdhsa_uses_dynamic_stack 0
		.amdhsa_enable_private_segment 0
		.amdhsa_system_sgpr_workgroup_id_x 1
		.amdhsa_system_sgpr_workgroup_id_y 0
		.amdhsa_system_sgpr_workgroup_id_z 0
		.amdhsa_system_sgpr_workgroup_info 0
		.amdhsa_system_vgpr_workitem_id 0
		.amdhsa_next_free_vgpr 1
		.amdhsa_next_free_sgpr 1
		.amdhsa_named_barrier_count 0
		.amdhsa_reserve_vcc 0
		.amdhsa_float_round_mode_32 0
		.amdhsa_float_round_mode_16_64 0
		.amdhsa_float_denorm_mode_32 3
		.amdhsa_float_denorm_mode_16_64 3
		.amdhsa_fp16_overflow 0
		.amdhsa_memory_ordered 1
		.amdhsa_forward_progress 1
		.amdhsa_inst_pref_size 0
		.amdhsa_round_robin_scheduling 0
		.amdhsa_exception_fp_ieee_invalid_op 0
		.amdhsa_exception_fp_denorm_src 0
		.amdhsa_exception_fp_ieee_div_zero 0
		.amdhsa_exception_fp_ieee_overflow 0
		.amdhsa_exception_fp_ieee_underflow 0
		.amdhsa_exception_fp_ieee_inexact 0
		.amdhsa_exception_int_div_zero 0
	.end_amdhsa_kernel
	.section	.text._ZN7rocprim17ROCPRIM_400000_NS6detail17trampoline_kernelINS0_14default_configENS1_36segmented_radix_sort_config_selectorIblEEZNS1_25segmented_radix_sort_implIS3_Lb0EPKbPbPKlPlN2at6native12_GLOBAL__N_18offset_tEEE10hipError_tPvRmT1_PNSt15iterator_traitsISK_E10value_typeET2_T3_PNSL_ISQ_E10value_typeET4_jRbjT5_SW_jjP12ihipStream_tbEUlT_E0_NS1_11comp_targetILNS1_3genE9ELNS1_11target_archE1100ELNS1_3gpuE3ELNS1_3repE0EEENS1_60segmented_radix_sort_warp_sort_medium_config_static_selectorELNS0_4arch9wavefront6targetE0EEEvSK_,"axG",@progbits,_ZN7rocprim17ROCPRIM_400000_NS6detail17trampoline_kernelINS0_14default_configENS1_36segmented_radix_sort_config_selectorIblEEZNS1_25segmented_radix_sort_implIS3_Lb0EPKbPbPKlPlN2at6native12_GLOBAL__N_18offset_tEEE10hipError_tPvRmT1_PNSt15iterator_traitsISK_E10value_typeET2_T3_PNSL_ISQ_E10value_typeET4_jRbjT5_SW_jjP12ihipStream_tbEUlT_E0_NS1_11comp_targetILNS1_3genE9ELNS1_11target_archE1100ELNS1_3gpuE3ELNS1_3repE0EEENS1_60segmented_radix_sort_warp_sort_medium_config_static_selectorELNS0_4arch9wavefront6targetE0EEEvSK_,comdat
.Lfunc_end1644:
	.size	_ZN7rocprim17ROCPRIM_400000_NS6detail17trampoline_kernelINS0_14default_configENS1_36segmented_radix_sort_config_selectorIblEEZNS1_25segmented_radix_sort_implIS3_Lb0EPKbPbPKlPlN2at6native12_GLOBAL__N_18offset_tEEE10hipError_tPvRmT1_PNSt15iterator_traitsISK_E10value_typeET2_T3_PNSL_ISQ_E10value_typeET4_jRbjT5_SW_jjP12ihipStream_tbEUlT_E0_NS1_11comp_targetILNS1_3genE9ELNS1_11target_archE1100ELNS1_3gpuE3ELNS1_3repE0EEENS1_60segmented_radix_sort_warp_sort_medium_config_static_selectorELNS0_4arch9wavefront6targetE0EEEvSK_, .Lfunc_end1644-_ZN7rocprim17ROCPRIM_400000_NS6detail17trampoline_kernelINS0_14default_configENS1_36segmented_radix_sort_config_selectorIblEEZNS1_25segmented_radix_sort_implIS3_Lb0EPKbPbPKlPlN2at6native12_GLOBAL__N_18offset_tEEE10hipError_tPvRmT1_PNSt15iterator_traitsISK_E10value_typeET2_T3_PNSL_ISQ_E10value_typeET4_jRbjT5_SW_jjP12ihipStream_tbEUlT_E0_NS1_11comp_targetILNS1_3genE9ELNS1_11target_archE1100ELNS1_3gpuE3ELNS1_3repE0EEENS1_60segmented_radix_sort_warp_sort_medium_config_static_selectorELNS0_4arch9wavefront6targetE0EEEvSK_
                                        ; -- End function
	.set _ZN7rocprim17ROCPRIM_400000_NS6detail17trampoline_kernelINS0_14default_configENS1_36segmented_radix_sort_config_selectorIblEEZNS1_25segmented_radix_sort_implIS3_Lb0EPKbPbPKlPlN2at6native12_GLOBAL__N_18offset_tEEE10hipError_tPvRmT1_PNSt15iterator_traitsISK_E10value_typeET2_T3_PNSL_ISQ_E10value_typeET4_jRbjT5_SW_jjP12ihipStream_tbEUlT_E0_NS1_11comp_targetILNS1_3genE9ELNS1_11target_archE1100ELNS1_3gpuE3ELNS1_3repE0EEENS1_60segmented_radix_sort_warp_sort_medium_config_static_selectorELNS0_4arch9wavefront6targetE0EEEvSK_.num_vgpr, 0
	.set _ZN7rocprim17ROCPRIM_400000_NS6detail17trampoline_kernelINS0_14default_configENS1_36segmented_radix_sort_config_selectorIblEEZNS1_25segmented_radix_sort_implIS3_Lb0EPKbPbPKlPlN2at6native12_GLOBAL__N_18offset_tEEE10hipError_tPvRmT1_PNSt15iterator_traitsISK_E10value_typeET2_T3_PNSL_ISQ_E10value_typeET4_jRbjT5_SW_jjP12ihipStream_tbEUlT_E0_NS1_11comp_targetILNS1_3genE9ELNS1_11target_archE1100ELNS1_3gpuE3ELNS1_3repE0EEENS1_60segmented_radix_sort_warp_sort_medium_config_static_selectorELNS0_4arch9wavefront6targetE0EEEvSK_.num_agpr, 0
	.set _ZN7rocprim17ROCPRIM_400000_NS6detail17trampoline_kernelINS0_14default_configENS1_36segmented_radix_sort_config_selectorIblEEZNS1_25segmented_radix_sort_implIS3_Lb0EPKbPbPKlPlN2at6native12_GLOBAL__N_18offset_tEEE10hipError_tPvRmT1_PNSt15iterator_traitsISK_E10value_typeET2_T3_PNSL_ISQ_E10value_typeET4_jRbjT5_SW_jjP12ihipStream_tbEUlT_E0_NS1_11comp_targetILNS1_3genE9ELNS1_11target_archE1100ELNS1_3gpuE3ELNS1_3repE0EEENS1_60segmented_radix_sort_warp_sort_medium_config_static_selectorELNS0_4arch9wavefront6targetE0EEEvSK_.numbered_sgpr, 0
	.set _ZN7rocprim17ROCPRIM_400000_NS6detail17trampoline_kernelINS0_14default_configENS1_36segmented_radix_sort_config_selectorIblEEZNS1_25segmented_radix_sort_implIS3_Lb0EPKbPbPKlPlN2at6native12_GLOBAL__N_18offset_tEEE10hipError_tPvRmT1_PNSt15iterator_traitsISK_E10value_typeET2_T3_PNSL_ISQ_E10value_typeET4_jRbjT5_SW_jjP12ihipStream_tbEUlT_E0_NS1_11comp_targetILNS1_3genE9ELNS1_11target_archE1100ELNS1_3gpuE3ELNS1_3repE0EEENS1_60segmented_radix_sort_warp_sort_medium_config_static_selectorELNS0_4arch9wavefront6targetE0EEEvSK_.num_named_barrier, 0
	.set _ZN7rocprim17ROCPRIM_400000_NS6detail17trampoline_kernelINS0_14default_configENS1_36segmented_radix_sort_config_selectorIblEEZNS1_25segmented_radix_sort_implIS3_Lb0EPKbPbPKlPlN2at6native12_GLOBAL__N_18offset_tEEE10hipError_tPvRmT1_PNSt15iterator_traitsISK_E10value_typeET2_T3_PNSL_ISQ_E10value_typeET4_jRbjT5_SW_jjP12ihipStream_tbEUlT_E0_NS1_11comp_targetILNS1_3genE9ELNS1_11target_archE1100ELNS1_3gpuE3ELNS1_3repE0EEENS1_60segmented_radix_sort_warp_sort_medium_config_static_selectorELNS0_4arch9wavefront6targetE0EEEvSK_.private_seg_size, 0
	.set _ZN7rocprim17ROCPRIM_400000_NS6detail17trampoline_kernelINS0_14default_configENS1_36segmented_radix_sort_config_selectorIblEEZNS1_25segmented_radix_sort_implIS3_Lb0EPKbPbPKlPlN2at6native12_GLOBAL__N_18offset_tEEE10hipError_tPvRmT1_PNSt15iterator_traitsISK_E10value_typeET2_T3_PNSL_ISQ_E10value_typeET4_jRbjT5_SW_jjP12ihipStream_tbEUlT_E0_NS1_11comp_targetILNS1_3genE9ELNS1_11target_archE1100ELNS1_3gpuE3ELNS1_3repE0EEENS1_60segmented_radix_sort_warp_sort_medium_config_static_selectorELNS0_4arch9wavefront6targetE0EEEvSK_.uses_vcc, 0
	.set _ZN7rocprim17ROCPRIM_400000_NS6detail17trampoline_kernelINS0_14default_configENS1_36segmented_radix_sort_config_selectorIblEEZNS1_25segmented_radix_sort_implIS3_Lb0EPKbPbPKlPlN2at6native12_GLOBAL__N_18offset_tEEE10hipError_tPvRmT1_PNSt15iterator_traitsISK_E10value_typeET2_T3_PNSL_ISQ_E10value_typeET4_jRbjT5_SW_jjP12ihipStream_tbEUlT_E0_NS1_11comp_targetILNS1_3genE9ELNS1_11target_archE1100ELNS1_3gpuE3ELNS1_3repE0EEENS1_60segmented_radix_sort_warp_sort_medium_config_static_selectorELNS0_4arch9wavefront6targetE0EEEvSK_.uses_flat_scratch, 0
	.set _ZN7rocprim17ROCPRIM_400000_NS6detail17trampoline_kernelINS0_14default_configENS1_36segmented_radix_sort_config_selectorIblEEZNS1_25segmented_radix_sort_implIS3_Lb0EPKbPbPKlPlN2at6native12_GLOBAL__N_18offset_tEEE10hipError_tPvRmT1_PNSt15iterator_traitsISK_E10value_typeET2_T3_PNSL_ISQ_E10value_typeET4_jRbjT5_SW_jjP12ihipStream_tbEUlT_E0_NS1_11comp_targetILNS1_3genE9ELNS1_11target_archE1100ELNS1_3gpuE3ELNS1_3repE0EEENS1_60segmented_radix_sort_warp_sort_medium_config_static_selectorELNS0_4arch9wavefront6targetE0EEEvSK_.has_dyn_sized_stack, 0
	.set _ZN7rocprim17ROCPRIM_400000_NS6detail17trampoline_kernelINS0_14default_configENS1_36segmented_radix_sort_config_selectorIblEEZNS1_25segmented_radix_sort_implIS3_Lb0EPKbPbPKlPlN2at6native12_GLOBAL__N_18offset_tEEE10hipError_tPvRmT1_PNSt15iterator_traitsISK_E10value_typeET2_T3_PNSL_ISQ_E10value_typeET4_jRbjT5_SW_jjP12ihipStream_tbEUlT_E0_NS1_11comp_targetILNS1_3genE9ELNS1_11target_archE1100ELNS1_3gpuE3ELNS1_3repE0EEENS1_60segmented_radix_sort_warp_sort_medium_config_static_selectorELNS0_4arch9wavefront6targetE0EEEvSK_.has_recursion, 0
	.set _ZN7rocprim17ROCPRIM_400000_NS6detail17trampoline_kernelINS0_14default_configENS1_36segmented_radix_sort_config_selectorIblEEZNS1_25segmented_radix_sort_implIS3_Lb0EPKbPbPKlPlN2at6native12_GLOBAL__N_18offset_tEEE10hipError_tPvRmT1_PNSt15iterator_traitsISK_E10value_typeET2_T3_PNSL_ISQ_E10value_typeET4_jRbjT5_SW_jjP12ihipStream_tbEUlT_E0_NS1_11comp_targetILNS1_3genE9ELNS1_11target_archE1100ELNS1_3gpuE3ELNS1_3repE0EEENS1_60segmented_radix_sort_warp_sort_medium_config_static_selectorELNS0_4arch9wavefront6targetE0EEEvSK_.has_indirect_call, 0
	.section	.AMDGPU.csdata,"",@progbits
; Kernel info:
; codeLenInByte = 0
; TotalNumSgprs: 0
; NumVgprs: 0
; ScratchSize: 0
; MemoryBound: 0
; FloatMode: 240
; IeeeMode: 1
; LDSByteSize: 0 bytes/workgroup (compile time only)
; SGPRBlocks: 0
; VGPRBlocks: 0
; NumSGPRsForWavesPerEU: 1
; NumVGPRsForWavesPerEU: 1
; NamedBarCnt: 0
; Occupancy: 16
; WaveLimiterHint : 0
; COMPUTE_PGM_RSRC2:SCRATCH_EN: 0
; COMPUTE_PGM_RSRC2:USER_SGPR: 2
; COMPUTE_PGM_RSRC2:TRAP_HANDLER: 0
; COMPUTE_PGM_RSRC2:TGID_X_EN: 1
; COMPUTE_PGM_RSRC2:TGID_Y_EN: 0
; COMPUTE_PGM_RSRC2:TGID_Z_EN: 0
; COMPUTE_PGM_RSRC2:TIDIG_COMP_CNT: 0
	.section	.text._ZN7rocprim17ROCPRIM_400000_NS6detail17trampoline_kernelINS0_14default_configENS1_36segmented_radix_sort_config_selectorIblEEZNS1_25segmented_radix_sort_implIS3_Lb0EPKbPbPKlPlN2at6native12_GLOBAL__N_18offset_tEEE10hipError_tPvRmT1_PNSt15iterator_traitsISK_E10value_typeET2_T3_PNSL_ISQ_E10value_typeET4_jRbjT5_SW_jjP12ihipStream_tbEUlT_E0_NS1_11comp_targetILNS1_3genE8ELNS1_11target_archE1030ELNS1_3gpuE2ELNS1_3repE0EEENS1_60segmented_radix_sort_warp_sort_medium_config_static_selectorELNS0_4arch9wavefront6targetE0EEEvSK_,"axG",@progbits,_ZN7rocprim17ROCPRIM_400000_NS6detail17trampoline_kernelINS0_14default_configENS1_36segmented_radix_sort_config_selectorIblEEZNS1_25segmented_radix_sort_implIS3_Lb0EPKbPbPKlPlN2at6native12_GLOBAL__N_18offset_tEEE10hipError_tPvRmT1_PNSt15iterator_traitsISK_E10value_typeET2_T3_PNSL_ISQ_E10value_typeET4_jRbjT5_SW_jjP12ihipStream_tbEUlT_E0_NS1_11comp_targetILNS1_3genE8ELNS1_11target_archE1030ELNS1_3gpuE2ELNS1_3repE0EEENS1_60segmented_radix_sort_warp_sort_medium_config_static_selectorELNS0_4arch9wavefront6targetE0EEEvSK_,comdat
	.globl	_ZN7rocprim17ROCPRIM_400000_NS6detail17trampoline_kernelINS0_14default_configENS1_36segmented_radix_sort_config_selectorIblEEZNS1_25segmented_radix_sort_implIS3_Lb0EPKbPbPKlPlN2at6native12_GLOBAL__N_18offset_tEEE10hipError_tPvRmT1_PNSt15iterator_traitsISK_E10value_typeET2_T3_PNSL_ISQ_E10value_typeET4_jRbjT5_SW_jjP12ihipStream_tbEUlT_E0_NS1_11comp_targetILNS1_3genE8ELNS1_11target_archE1030ELNS1_3gpuE2ELNS1_3repE0EEENS1_60segmented_radix_sort_warp_sort_medium_config_static_selectorELNS0_4arch9wavefront6targetE0EEEvSK_ ; -- Begin function _ZN7rocprim17ROCPRIM_400000_NS6detail17trampoline_kernelINS0_14default_configENS1_36segmented_radix_sort_config_selectorIblEEZNS1_25segmented_radix_sort_implIS3_Lb0EPKbPbPKlPlN2at6native12_GLOBAL__N_18offset_tEEE10hipError_tPvRmT1_PNSt15iterator_traitsISK_E10value_typeET2_T3_PNSL_ISQ_E10value_typeET4_jRbjT5_SW_jjP12ihipStream_tbEUlT_E0_NS1_11comp_targetILNS1_3genE8ELNS1_11target_archE1030ELNS1_3gpuE2ELNS1_3repE0EEENS1_60segmented_radix_sort_warp_sort_medium_config_static_selectorELNS0_4arch9wavefront6targetE0EEEvSK_
	.p2align	8
	.type	_ZN7rocprim17ROCPRIM_400000_NS6detail17trampoline_kernelINS0_14default_configENS1_36segmented_radix_sort_config_selectorIblEEZNS1_25segmented_radix_sort_implIS3_Lb0EPKbPbPKlPlN2at6native12_GLOBAL__N_18offset_tEEE10hipError_tPvRmT1_PNSt15iterator_traitsISK_E10value_typeET2_T3_PNSL_ISQ_E10value_typeET4_jRbjT5_SW_jjP12ihipStream_tbEUlT_E0_NS1_11comp_targetILNS1_3genE8ELNS1_11target_archE1030ELNS1_3gpuE2ELNS1_3repE0EEENS1_60segmented_radix_sort_warp_sort_medium_config_static_selectorELNS0_4arch9wavefront6targetE0EEEvSK_,@function
_ZN7rocprim17ROCPRIM_400000_NS6detail17trampoline_kernelINS0_14default_configENS1_36segmented_radix_sort_config_selectorIblEEZNS1_25segmented_radix_sort_implIS3_Lb0EPKbPbPKlPlN2at6native12_GLOBAL__N_18offset_tEEE10hipError_tPvRmT1_PNSt15iterator_traitsISK_E10value_typeET2_T3_PNSL_ISQ_E10value_typeET4_jRbjT5_SW_jjP12ihipStream_tbEUlT_E0_NS1_11comp_targetILNS1_3genE8ELNS1_11target_archE1030ELNS1_3gpuE2ELNS1_3repE0EEENS1_60segmented_radix_sort_warp_sort_medium_config_static_selectorELNS0_4arch9wavefront6targetE0EEEvSK_: ; @_ZN7rocprim17ROCPRIM_400000_NS6detail17trampoline_kernelINS0_14default_configENS1_36segmented_radix_sort_config_selectorIblEEZNS1_25segmented_radix_sort_implIS3_Lb0EPKbPbPKlPlN2at6native12_GLOBAL__N_18offset_tEEE10hipError_tPvRmT1_PNSt15iterator_traitsISK_E10value_typeET2_T3_PNSL_ISQ_E10value_typeET4_jRbjT5_SW_jjP12ihipStream_tbEUlT_E0_NS1_11comp_targetILNS1_3genE8ELNS1_11target_archE1030ELNS1_3gpuE2ELNS1_3repE0EEENS1_60segmented_radix_sort_warp_sort_medium_config_static_selectorELNS0_4arch9wavefront6targetE0EEEvSK_
; %bb.0:
	.section	.rodata,"a",@progbits
	.p2align	6, 0x0
	.amdhsa_kernel _ZN7rocprim17ROCPRIM_400000_NS6detail17trampoline_kernelINS0_14default_configENS1_36segmented_radix_sort_config_selectorIblEEZNS1_25segmented_radix_sort_implIS3_Lb0EPKbPbPKlPlN2at6native12_GLOBAL__N_18offset_tEEE10hipError_tPvRmT1_PNSt15iterator_traitsISK_E10value_typeET2_T3_PNSL_ISQ_E10value_typeET4_jRbjT5_SW_jjP12ihipStream_tbEUlT_E0_NS1_11comp_targetILNS1_3genE8ELNS1_11target_archE1030ELNS1_3gpuE2ELNS1_3repE0EEENS1_60segmented_radix_sort_warp_sort_medium_config_static_selectorELNS0_4arch9wavefront6targetE0EEEvSK_
		.amdhsa_group_segment_fixed_size 0
		.amdhsa_private_segment_fixed_size 0
		.amdhsa_kernarg_size 88
		.amdhsa_user_sgpr_count 2
		.amdhsa_user_sgpr_dispatch_ptr 0
		.amdhsa_user_sgpr_queue_ptr 0
		.amdhsa_user_sgpr_kernarg_segment_ptr 1
		.amdhsa_user_sgpr_dispatch_id 0
		.amdhsa_user_sgpr_kernarg_preload_length 0
		.amdhsa_user_sgpr_kernarg_preload_offset 0
		.amdhsa_user_sgpr_private_segment_size 0
		.amdhsa_wavefront_size32 1
		.amdhsa_uses_dynamic_stack 0
		.amdhsa_enable_private_segment 0
		.amdhsa_system_sgpr_workgroup_id_x 1
		.amdhsa_system_sgpr_workgroup_id_y 0
		.amdhsa_system_sgpr_workgroup_id_z 0
		.amdhsa_system_sgpr_workgroup_info 0
		.amdhsa_system_vgpr_workitem_id 0
		.amdhsa_next_free_vgpr 1
		.amdhsa_next_free_sgpr 1
		.amdhsa_named_barrier_count 0
		.amdhsa_reserve_vcc 0
		.amdhsa_float_round_mode_32 0
		.amdhsa_float_round_mode_16_64 0
		.amdhsa_float_denorm_mode_32 3
		.amdhsa_float_denorm_mode_16_64 3
		.amdhsa_fp16_overflow 0
		.amdhsa_memory_ordered 1
		.amdhsa_forward_progress 1
		.amdhsa_inst_pref_size 0
		.amdhsa_round_robin_scheduling 0
		.amdhsa_exception_fp_ieee_invalid_op 0
		.amdhsa_exception_fp_denorm_src 0
		.amdhsa_exception_fp_ieee_div_zero 0
		.amdhsa_exception_fp_ieee_overflow 0
		.amdhsa_exception_fp_ieee_underflow 0
		.amdhsa_exception_fp_ieee_inexact 0
		.amdhsa_exception_int_div_zero 0
	.end_amdhsa_kernel
	.section	.text._ZN7rocprim17ROCPRIM_400000_NS6detail17trampoline_kernelINS0_14default_configENS1_36segmented_radix_sort_config_selectorIblEEZNS1_25segmented_radix_sort_implIS3_Lb0EPKbPbPKlPlN2at6native12_GLOBAL__N_18offset_tEEE10hipError_tPvRmT1_PNSt15iterator_traitsISK_E10value_typeET2_T3_PNSL_ISQ_E10value_typeET4_jRbjT5_SW_jjP12ihipStream_tbEUlT_E0_NS1_11comp_targetILNS1_3genE8ELNS1_11target_archE1030ELNS1_3gpuE2ELNS1_3repE0EEENS1_60segmented_radix_sort_warp_sort_medium_config_static_selectorELNS0_4arch9wavefront6targetE0EEEvSK_,"axG",@progbits,_ZN7rocprim17ROCPRIM_400000_NS6detail17trampoline_kernelINS0_14default_configENS1_36segmented_radix_sort_config_selectorIblEEZNS1_25segmented_radix_sort_implIS3_Lb0EPKbPbPKlPlN2at6native12_GLOBAL__N_18offset_tEEE10hipError_tPvRmT1_PNSt15iterator_traitsISK_E10value_typeET2_T3_PNSL_ISQ_E10value_typeET4_jRbjT5_SW_jjP12ihipStream_tbEUlT_E0_NS1_11comp_targetILNS1_3genE8ELNS1_11target_archE1030ELNS1_3gpuE2ELNS1_3repE0EEENS1_60segmented_radix_sort_warp_sort_medium_config_static_selectorELNS0_4arch9wavefront6targetE0EEEvSK_,comdat
.Lfunc_end1645:
	.size	_ZN7rocprim17ROCPRIM_400000_NS6detail17trampoline_kernelINS0_14default_configENS1_36segmented_radix_sort_config_selectorIblEEZNS1_25segmented_radix_sort_implIS3_Lb0EPKbPbPKlPlN2at6native12_GLOBAL__N_18offset_tEEE10hipError_tPvRmT1_PNSt15iterator_traitsISK_E10value_typeET2_T3_PNSL_ISQ_E10value_typeET4_jRbjT5_SW_jjP12ihipStream_tbEUlT_E0_NS1_11comp_targetILNS1_3genE8ELNS1_11target_archE1030ELNS1_3gpuE2ELNS1_3repE0EEENS1_60segmented_radix_sort_warp_sort_medium_config_static_selectorELNS0_4arch9wavefront6targetE0EEEvSK_, .Lfunc_end1645-_ZN7rocprim17ROCPRIM_400000_NS6detail17trampoline_kernelINS0_14default_configENS1_36segmented_radix_sort_config_selectorIblEEZNS1_25segmented_radix_sort_implIS3_Lb0EPKbPbPKlPlN2at6native12_GLOBAL__N_18offset_tEEE10hipError_tPvRmT1_PNSt15iterator_traitsISK_E10value_typeET2_T3_PNSL_ISQ_E10value_typeET4_jRbjT5_SW_jjP12ihipStream_tbEUlT_E0_NS1_11comp_targetILNS1_3genE8ELNS1_11target_archE1030ELNS1_3gpuE2ELNS1_3repE0EEENS1_60segmented_radix_sort_warp_sort_medium_config_static_selectorELNS0_4arch9wavefront6targetE0EEEvSK_
                                        ; -- End function
	.set _ZN7rocprim17ROCPRIM_400000_NS6detail17trampoline_kernelINS0_14default_configENS1_36segmented_radix_sort_config_selectorIblEEZNS1_25segmented_radix_sort_implIS3_Lb0EPKbPbPKlPlN2at6native12_GLOBAL__N_18offset_tEEE10hipError_tPvRmT1_PNSt15iterator_traitsISK_E10value_typeET2_T3_PNSL_ISQ_E10value_typeET4_jRbjT5_SW_jjP12ihipStream_tbEUlT_E0_NS1_11comp_targetILNS1_3genE8ELNS1_11target_archE1030ELNS1_3gpuE2ELNS1_3repE0EEENS1_60segmented_radix_sort_warp_sort_medium_config_static_selectorELNS0_4arch9wavefront6targetE0EEEvSK_.num_vgpr, 0
	.set _ZN7rocprim17ROCPRIM_400000_NS6detail17trampoline_kernelINS0_14default_configENS1_36segmented_radix_sort_config_selectorIblEEZNS1_25segmented_radix_sort_implIS3_Lb0EPKbPbPKlPlN2at6native12_GLOBAL__N_18offset_tEEE10hipError_tPvRmT1_PNSt15iterator_traitsISK_E10value_typeET2_T3_PNSL_ISQ_E10value_typeET4_jRbjT5_SW_jjP12ihipStream_tbEUlT_E0_NS1_11comp_targetILNS1_3genE8ELNS1_11target_archE1030ELNS1_3gpuE2ELNS1_3repE0EEENS1_60segmented_radix_sort_warp_sort_medium_config_static_selectorELNS0_4arch9wavefront6targetE0EEEvSK_.num_agpr, 0
	.set _ZN7rocprim17ROCPRIM_400000_NS6detail17trampoline_kernelINS0_14default_configENS1_36segmented_radix_sort_config_selectorIblEEZNS1_25segmented_radix_sort_implIS3_Lb0EPKbPbPKlPlN2at6native12_GLOBAL__N_18offset_tEEE10hipError_tPvRmT1_PNSt15iterator_traitsISK_E10value_typeET2_T3_PNSL_ISQ_E10value_typeET4_jRbjT5_SW_jjP12ihipStream_tbEUlT_E0_NS1_11comp_targetILNS1_3genE8ELNS1_11target_archE1030ELNS1_3gpuE2ELNS1_3repE0EEENS1_60segmented_radix_sort_warp_sort_medium_config_static_selectorELNS0_4arch9wavefront6targetE0EEEvSK_.numbered_sgpr, 0
	.set _ZN7rocprim17ROCPRIM_400000_NS6detail17trampoline_kernelINS0_14default_configENS1_36segmented_radix_sort_config_selectorIblEEZNS1_25segmented_radix_sort_implIS3_Lb0EPKbPbPKlPlN2at6native12_GLOBAL__N_18offset_tEEE10hipError_tPvRmT1_PNSt15iterator_traitsISK_E10value_typeET2_T3_PNSL_ISQ_E10value_typeET4_jRbjT5_SW_jjP12ihipStream_tbEUlT_E0_NS1_11comp_targetILNS1_3genE8ELNS1_11target_archE1030ELNS1_3gpuE2ELNS1_3repE0EEENS1_60segmented_radix_sort_warp_sort_medium_config_static_selectorELNS0_4arch9wavefront6targetE0EEEvSK_.num_named_barrier, 0
	.set _ZN7rocprim17ROCPRIM_400000_NS6detail17trampoline_kernelINS0_14default_configENS1_36segmented_radix_sort_config_selectorIblEEZNS1_25segmented_radix_sort_implIS3_Lb0EPKbPbPKlPlN2at6native12_GLOBAL__N_18offset_tEEE10hipError_tPvRmT1_PNSt15iterator_traitsISK_E10value_typeET2_T3_PNSL_ISQ_E10value_typeET4_jRbjT5_SW_jjP12ihipStream_tbEUlT_E0_NS1_11comp_targetILNS1_3genE8ELNS1_11target_archE1030ELNS1_3gpuE2ELNS1_3repE0EEENS1_60segmented_radix_sort_warp_sort_medium_config_static_selectorELNS0_4arch9wavefront6targetE0EEEvSK_.private_seg_size, 0
	.set _ZN7rocprim17ROCPRIM_400000_NS6detail17trampoline_kernelINS0_14default_configENS1_36segmented_radix_sort_config_selectorIblEEZNS1_25segmented_radix_sort_implIS3_Lb0EPKbPbPKlPlN2at6native12_GLOBAL__N_18offset_tEEE10hipError_tPvRmT1_PNSt15iterator_traitsISK_E10value_typeET2_T3_PNSL_ISQ_E10value_typeET4_jRbjT5_SW_jjP12ihipStream_tbEUlT_E0_NS1_11comp_targetILNS1_3genE8ELNS1_11target_archE1030ELNS1_3gpuE2ELNS1_3repE0EEENS1_60segmented_radix_sort_warp_sort_medium_config_static_selectorELNS0_4arch9wavefront6targetE0EEEvSK_.uses_vcc, 0
	.set _ZN7rocprim17ROCPRIM_400000_NS6detail17trampoline_kernelINS0_14default_configENS1_36segmented_radix_sort_config_selectorIblEEZNS1_25segmented_radix_sort_implIS3_Lb0EPKbPbPKlPlN2at6native12_GLOBAL__N_18offset_tEEE10hipError_tPvRmT1_PNSt15iterator_traitsISK_E10value_typeET2_T3_PNSL_ISQ_E10value_typeET4_jRbjT5_SW_jjP12ihipStream_tbEUlT_E0_NS1_11comp_targetILNS1_3genE8ELNS1_11target_archE1030ELNS1_3gpuE2ELNS1_3repE0EEENS1_60segmented_radix_sort_warp_sort_medium_config_static_selectorELNS0_4arch9wavefront6targetE0EEEvSK_.uses_flat_scratch, 0
	.set _ZN7rocprim17ROCPRIM_400000_NS6detail17trampoline_kernelINS0_14default_configENS1_36segmented_radix_sort_config_selectorIblEEZNS1_25segmented_radix_sort_implIS3_Lb0EPKbPbPKlPlN2at6native12_GLOBAL__N_18offset_tEEE10hipError_tPvRmT1_PNSt15iterator_traitsISK_E10value_typeET2_T3_PNSL_ISQ_E10value_typeET4_jRbjT5_SW_jjP12ihipStream_tbEUlT_E0_NS1_11comp_targetILNS1_3genE8ELNS1_11target_archE1030ELNS1_3gpuE2ELNS1_3repE0EEENS1_60segmented_radix_sort_warp_sort_medium_config_static_selectorELNS0_4arch9wavefront6targetE0EEEvSK_.has_dyn_sized_stack, 0
	.set _ZN7rocprim17ROCPRIM_400000_NS6detail17trampoline_kernelINS0_14default_configENS1_36segmented_radix_sort_config_selectorIblEEZNS1_25segmented_radix_sort_implIS3_Lb0EPKbPbPKlPlN2at6native12_GLOBAL__N_18offset_tEEE10hipError_tPvRmT1_PNSt15iterator_traitsISK_E10value_typeET2_T3_PNSL_ISQ_E10value_typeET4_jRbjT5_SW_jjP12ihipStream_tbEUlT_E0_NS1_11comp_targetILNS1_3genE8ELNS1_11target_archE1030ELNS1_3gpuE2ELNS1_3repE0EEENS1_60segmented_radix_sort_warp_sort_medium_config_static_selectorELNS0_4arch9wavefront6targetE0EEEvSK_.has_recursion, 0
	.set _ZN7rocprim17ROCPRIM_400000_NS6detail17trampoline_kernelINS0_14default_configENS1_36segmented_radix_sort_config_selectorIblEEZNS1_25segmented_radix_sort_implIS3_Lb0EPKbPbPKlPlN2at6native12_GLOBAL__N_18offset_tEEE10hipError_tPvRmT1_PNSt15iterator_traitsISK_E10value_typeET2_T3_PNSL_ISQ_E10value_typeET4_jRbjT5_SW_jjP12ihipStream_tbEUlT_E0_NS1_11comp_targetILNS1_3genE8ELNS1_11target_archE1030ELNS1_3gpuE2ELNS1_3repE0EEENS1_60segmented_radix_sort_warp_sort_medium_config_static_selectorELNS0_4arch9wavefront6targetE0EEEvSK_.has_indirect_call, 0
	.section	.AMDGPU.csdata,"",@progbits
; Kernel info:
; codeLenInByte = 0
; TotalNumSgprs: 0
; NumVgprs: 0
; ScratchSize: 0
; MemoryBound: 0
; FloatMode: 240
; IeeeMode: 1
; LDSByteSize: 0 bytes/workgroup (compile time only)
; SGPRBlocks: 0
; VGPRBlocks: 0
; NumSGPRsForWavesPerEU: 1
; NumVGPRsForWavesPerEU: 1
; NamedBarCnt: 0
; Occupancy: 16
; WaveLimiterHint : 0
; COMPUTE_PGM_RSRC2:SCRATCH_EN: 0
; COMPUTE_PGM_RSRC2:USER_SGPR: 2
; COMPUTE_PGM_RSRC2:TRAP_HANDLER: 0
; COMPUTE_PGM_RSRC2:TGID_X_EN: 1
; COMPUTE_PGM_RSRC2:TGID_Y_EN: 0
; COMPUTE_PGM_RSRC2:TGID_Z_EN: 0
; COMPUTE_PGM_RSRC2:TIDIG_COMP_CNT: 0
	.section	.text._ZN7rocprim17ROCPRIM_400000_NS6detail17trampoline_kernelINS0_14default_configENS1_36segmented_radix_sort_config_selectorIblEEZNS1_25segmented_radix_sort_implIS3_Lb0EPKbPbPKlPlN2at6native12_GLOBAL__N_18offset_tEEE10hipError_tPvRmT1_PNSt15iterator_traitsISK_E10value_typeET2_T3_PNSL_ISQ_E10value_typeET4_jRbjT5_SW_jjP12ihipStream_tbEUlT_E1_NS1_11comp_targetILNS1_3genE0ELNS1_11target_archE4294967295ELNS1_3gpuE0ELNS1_3repE0EEENS1_59segmented_radix_sort_warp_sort_small_config_static_selectorELNS0_4arch9wavefront6targetE0EEEvSK_,"axG",@progbits,_ZN7rocprim17ROCPRIM_400000_NS6detail17trampoline_kernelINS0_14default_configENS1_36segmented_radix_sort_config_selectorIblEEZNS1_25segmented_radix_sort_implIS3_Lb0EPKbPbPKlPlN2at6native12_GLOBAL__N_18offset_tEEE10hipError_tPvRmT1_PNSt15iterator_traitsISK_E10value_typeET2_T3_PNSL_ISQ_E10value_typeET4_jRbjT5_SW_jjP12ihipStream_tbEUlT_E1_NS1_11comp_targetILNS1_3genE0ELNS1_11target_archE4294967295ELNS1_3gpuE0ELNS1_3repE0EEENS1_59segmented_radix_sort_warp_sort_small_config_static_selectorELNS0_4arch9wavefront6targetE0EEEvSK_,comdat
	.globl	_ZN7rocprim17ROCPRIM_400000_NS6detail17trampoline_kernelINS0_14default_configENS1_36segmented_radix_sort_config_selectorIblEEZNS1_25segmented_radix_sort_implIS3_Lb0EPKbPbPKlPlN2at6native12_GLOBAL__N_18offset_tEEE10hipError_tPvRmT1_PNSt15iterator_traitsISK_E10value_typeET2_T3_PNSL_ISQ_E10value_typeET4_jRbjT5_SW_jjP12ihipStream_tbEUlT_E1_NS1_11comp_targetILNS1_3genE0ELNS1_11target_archE4294967295ELNS1_3gpuE0ELNS1_3repE0EEENS1_59segmented_radix_sort_warp_sort_small_config_static_selectorELNS0_4arch9wavefront6targetE0EEEvSK_ ; -- Begin function _ZN7rocprim17ROCPRIM_400000_NS6detail17trampoline_kernelINS0_14default_configENS1_36segmented_radix_sort_config_selectorIblEEZNS1_25segmented_radix_sort_implIS3_Lb0EPKbPbPKlPlN2at6native12_GLOBAL__N_18offset_tEEE10hipError_tPvRmT1_PNSt15iterator_traitsISK_E10value_typeET2_T3_PNSL_ISQ_E10value_typeET4_jRbjT5_SW_jjP12ihipStream_tbEUlT_E1_NS1_11comp_targetILNS1_3genE0ELNS1_11target_archE4294967295ELNS1_3gpuE0ELNS1_3repE0EEENS1_59segmented_radix_sort_warp_sort_small_config_static_selectorELNS0_4arch9wavefront6targetE0EEEvSK_
	.p2align	8
	.type	_ZN7rocprim17ROCPRIM_400000_NS6detail17trampoline_kernelINS0_14default_configENS1_36segmented_radix_sort_config_selectorIblEEZNS1_25segmented_radix_sort_implIS3_Lb0EPKbPbPKlPlN2at6native12_GLOBAL__N_18offset_tEEE10hipError_tPvRmT1_PNSt15iterator_traitsISK_E10value_typeET2_T3_PNSL_ISQ_E10value_typeET4_jRbjT5_SW_jjP12ihipStream_tbEUlT_E1_NS1_11comp_targetILNS1_3genE0ELNS1_11target_archE4294967295ELNS1_3gpuE0ELNS1_3repE0EEENS1_59segmented_radix_sort_warp_sort_small_config_static_selectorELNS0_4arch9wavefront6targetE0EEEvSK_,@function
_ZN7rocprim17ROCPRIM_400000_NS6detail17trampoline_kernelINS0_14default_configENS1_36segmented_radix_sort_config_selectorIblEEZNS1_25segmented_radix_sort_implIS3_Lb0EPKbPbPKlPlN2at6native12_GLOBAL__N_18offset_tEEE10hipError_tPvRmT1_PNSt15iterator_traitsISK_E10value_typeET2_T3_PNSL_ISQ_E10value_typeET4_jRbjT5_SW_jjP12ihipStream_tbEUlT_E1_NS1_11comp_targetILNS1_3genE0ELNS1_11target_archE4294967295ELNS1_3gpuE0ELNS1_3repE0EEENS1_59segmented_radix_sort_warp_sort_small_config_static_selectorELNS0_4arch9wavefront6targetE0EEEvSK_: ; @_ZN7rocprim17ROCPRIM_400000_NS6detail17trampoline_kernelINS0_14default_configENS1_36segmented_radix_sort_config_selectorIblEEZNS1_25segmented_radix_sort_implIS3_Lb0EPKbPbPKlPlN2at6native12_GLOBAL__N_18offset_tEEE10hipError_tPvRmT1_PNSt15iterator_traitsISK_E10value_typeET2_T3_PNSL_ISQ_E10value_typeET4_jRbjT5_SW_jjP12ihipStream_tbEUlT_E1_NS1_11comp_targetILNS1_3genE0ELNS1_11target_archE4294967295ELNS1_3gpuE0ELNS1_3repE0EEENS1_59segmented_radix_sort_warp_sort_small_config_static_selectorELNS0_4arch9wavefront6targetE0EEEvSK_
; %bb.0:
	s_load_b32 s4, s[2:3], 0x64
	v_bfe_u32 v1, v0, 10, 10
	v_bfe_u32 v2, v0, 20, 10
	v_and_b32_e32 v3, 0x3ff, v0
	s_and_b32 s6, ttmp6, 15
	s_getreg_b32 s7, hwreg(HW_REG_IB_STS2, 6, 4)
	s_mov_b32 s32, 0
	s_wait_kmcnt 0x0
	s_lshr_b32 s5, s4, 16
	s_and_b32 s4, s4, 0xffff
	v_mad_u32_u24 v1, v2, s5, v1
	s_bfe_u32 s5, ttmp6, 0x4000c
	s_delay_alu instid0(SALU_CYCLE_1) | instskip(NEXT) | instid1(SALU_CYCLE_1)
	s_add_co_i32 s5, s5, 1
	s_mul_i32 s5, ttmp9, s5
	s_delay_alu instid0(VALU_DEP_1) | instskip(SKIP_4) | instid1(VALU_DEP_1)
	v_mad_u32 v1, v1, s4, v3
	s_load_b32 s4, s[2:3], 0x34
	s_add_co_i32 s6, s6, s5
	s_cmp_eq_u32 s7, 0
	s_cselect_b32 s5, ttmp9, s6
	v_lshrrev_b32_e32 v1, 5, v1
	s_delay_alu instid0(VALU_DEP_1) | instskip(SKIP_1) | instid1(VALU_DEP_1)
	v_lshl_add_u32 v2, s5, 3, v1
	s_wait_kmcnt 0x0
	v_cmp_gt_u32_e32 vcc_lo, s4, v2
	s_and_saveexec_b32 s4, vcc_lo
	s_cbranch_execz .LBB1646_6
; %bb.1:
	s_clause 0x1
	s_load_b64 s[8:9], s[2:3], 0x38
	s_load_b128 s[4:7], s[2:3], 0x40
	v_mov_b32_e32 v3, 0
	s_delay_alu instid0(VALU_DEP_1) | instskip(SKIP_1) | instid1(VALU_DEP_1)
	v_lshlrev_b64_e32 v[2:3], 2, v[2:3]
	s_wait_kmcnt 0x0
	v_sub_nc_u64_e32 v[2:3], s[8:9], v[2:3]
	global_load_b32 v1, v[2:3], off offset:-4
	s_wait_loadcnt 0x0
	v_dual_add_nc_u32 v2, s5, v1 :: v_dual_add_nc_u32 v1, s7, v1
	s_delay_alu instid0(VALU_DEP_1) | instskip(NEXT) | instid1(VALU_DEP_2)
	v_mul_lo_u32 v8, v2, s4
	v_mul_lo_u32 v40, v1, s6
	s_delay_alu instid0(VALU_DEP_1)
	v_cmp_gt_u32_e32 vcc_lo, v40, v8
	s_and_b32 exec_lo, exec_lo, vcc_lo
	s_cbranch_execz .LBB1646_6
; %bb.2:
	s_clause 0x3
	s_load_b32 s4, s[2:3], 0x30
	s_load_b128 s[36:39], s[2:3], 0x20
	s_load_b256 s[20:27], s[2:3], 0x0
	s_load_b64 s[18:19], s[2:3], 0x50
	s_add_nc_u64 s[16:17], s[2:3], 0x58
	s_get_pc_i64 s[28:29]
	s_add_nc_u64 s[28:29], s[28:29], _ZN7rocprim17ROCPRIM_400000_NS6detail26segmented_warp_sort_helperINS1_20WarpSortHelperConfigILj32ELj4ELj256EEEblLi256ELb0EvE4sortIPKbPbPKlPlEEvT_T0_T1_T2_jjjjRNS5_12storage_typeE@rel64+4
	s_wait_kmcnt 0x0
	s_bitcmp0_b32 s4, 0
	s_mov_b32 s4, -1
	s_cbranch_scc0 .LBB1646_4
; %bb.3:
	s_mov_b64 s[2:3], src_shared_base
	v_dual_mov_b32 v31, v0 :: v_dual_mov_b32 v41, v0
	v_dual_mov_b32 v0, s20 :: v_dual_mov_b32 v1, s21
	;; [unrolled: 1-line block ×7, first 2 shown]
	v_mov_b32_e32 v13, s3
	s_mov_b64 s[6:7], s[0:1]
	s_mov_b64 s[8:9], s[16:17]
	;; [unrolled: 1-line block ×3, first 2 shown]
	s_swap_pc_i64 s[30:31], s[28:29]
	v_mov_b32_e32 v0, v41
	s_mov_b64 s[0:1], s[22:23]
	s_mov_b32 s4, 0
.LBB1646_4:
	s_delay_alu instid0(SALU_CYCLE_1)
	s_and_not1_b32 vcc_lo, exec_lo, s4
	s_cbranch_vccnz .LBB1646_6
; %bb.5:
	s_mov_b64 s[2:3], src_shared_base
	v_dual_mov_b32 v31, v0 :: v_dual_mov_b32 v0, s20
	v_dual_mov_b32 v1, s21 :: v_dual_mov_b32 v2, s24
	;; [unrolled: 1-line block ×7, first 2 shown]
	s_mov_b64 s[6:7], s[0:1]
	s_mov_b64 s[8:9], s[16:17]
	s_swap_pc_i64 s[30:31], s[28:29]
.LBB1646_6:
	s_endpgm
	.section	.rodata,"a",@progbits
	.p2align	6, 0x0
	.amdhsa_kernel _ZN7rocprim17ROCPRIM_400000_NS6detail17trampoline_kernelINS0_14default_configENS1_36segmented_radix_sort_config_selectorIblEEZNS1_25segmented_radix_sort_implIS3_Lb0EPKbPbPKlPlN2at6native12_GLOBAL__N_18offset_tEEE10hipError_tPvRmT1_PNSt15iterator_traitsISK_E10value_typeET2_T3_PNSL_ISQ_E10value_typeET4_jRbjT5_SW_jjP12ihipStream_tbEUlT_E1_NS1_11comp_targetILNS1_3genE0ELNS1_11target_archE4294967295ELNS1_3gpuE0ELNS1_3repE0EEENS1_59segmented_radix_sort_warp_sort_small_config_static_selectorELNS0_4arch9wavefront6targetE0EEEvSK_
		.amdhsa_group_segment_fixed_size 9216
		.amdhsa_private_segment_fixed_size 12
		.amdhsa_kernarg_size 344
		.amdhsa_user_sgpr_count 4
		.amdhsa_user_sgpr_dispatch_ptr 0
		.amdhsa_user_sgpr_queue_ptr 1
		.amdhsa_user_sgpr_kernarg_segment_ptr 1
		.amdhsa_user_sgpr_dispatch_id 0
		.amdhsa_user_sgpr_kernarg_preload_length 0
		.amdhsa_user_sgpr_kernarg_preload_offset 0
		.amdhsa_user_sgpr_private_segment_size 0
		.amdhsa_wavefront_size32 1
		.amdhsa_uses_dynamic_stack 0
		.amdhsa_enable_private_segment 1
		.amdhsa_system_sgpr_workgroup_id_x 1
		.amdhsa_system_sgpr_workgroup_id_y 1
		.amdhsa_system_sgpr_workgroup_id_z 0
		.amdhsa_system_sgpr_workgroup_info 0
		.amdhsa_system_vgpr_workitem_id 2
		.amdhsa_next_free_vgpr 56
		.amdhsa_next_free_sgpr 40
		.amdhsa_named_barrier_count 0
		.amdhsa_reserve_vcc 1
		.amdhsa_float_round_mode_32 0
		.amdhsa_float_round_mode_16_64 0
		.amdhsa_float_denorm_mode_32 3
		.amdhsa_float_denorm_mode_16_64 3
		.amdhsa_fp16_overflow 0
		.amdhsa_memory_ordered 1
		.amdhsa_forward_progress 1
		.amdhsa_inst_pref_size 5
		.amdhsa_round_robin_scheduling 0
		.amdhsa_exception_fp_ieee_invalid_op 0
		.amdhsa_exception_fp_denorm_src 0
		.amdhsa_exception_fp_ieee_div_zero 0
		.amdhsa_exception_fp_ieee_overflow 0
		.amdhsa_exception_fp_ieee_underflow 0
		.amdhsa_exception_fp_ieee_inexact 0
		.amdhsa_exception_int_div_zero 0
	.end_amdhsa_kernel
	.section	.text._ZN7rocprim17ROCPRIM_400000_NS6detail17trampoline_kernelINS0_14default_configENS1_36segmented_radix_sort_config_selectorIblEEZNS1_25segmented_radix_sort_implIS3_Lb0EPKbPbPKlPlN2at6native12_GLOBAL__N_18offset_tEEE10hipError_tPvRmT1_PNSt15iterator_traitsISK_E10value_typeET2_T3_PNSL_ISQ_E10value_typeET4_jRbjT5_SW_jjP12ihipStream_tbEUlT_E1_NS1_11comp_targetILNS1_3genE0ELNS1_11target_archE4294967295ELNS1_3gpuE0ELNS1_3repE0EEENS1_59segmented_radix_sort_warp_sort_small_config_static_selectorELNS0_4arch9wavefront6targetE0EEEvSK_,"axG",@progbits,_ZN7rocprim17ROCPRIM_400000_NS6detail17trampoline_kernelINS0_14default_configENS1_36segmented_radix_sort_config_selectorIblEEZNS1_25segmented_radix_sort_implIS3_Lb0EPKbPbPKlPlN2at6native12_GLOBAL__N_18offset_tEEE10hipError_tPvRmT1_PNSt15iterator_traitsISK_E10value_typeET2_T3_PNSL_ISQ_E10value_typeET4_jRbjT5_SW_jjP12ihipStream_tbEUlT_E1_NS1_11comp_targetILNS1_3genE0ELNS1_11target_archE4294967295ELNS1_3gpuE0ELNS1_3repE0EEENS1_59segmented_radix_sort_warp_sort_small_config_static_selectorELNS0_4arch9wavefront6targetE0EEEvSK_,comdat
.Lfunc_end1646:
	.size	_ZN7rocprim17ROCPRIM_400000_NS6detail17trampoline_kernelINS0_14default_configENS1_36segmented_radix_sort_config_selectorIblEEZNS1_25segmented_radix_sort_implIS3_Lb0EPKbPbPKlPlN2at6native12_GLOBAL__N_18offset_tEEE10hipError_tPvRmT1_PNSt15iterator_traitsISK_E10value_typeET2_T3_PNSL_ISQ_E10value_typeET4_jRbjT5_SW_jjP12ihipStream_tbEUlT_E1_NS1_11comp_targetILNS1_3genE0ELNS1_11target_archE4294967295ELNS1_3gpuE0ELNS1_3repE0EEENS1_59segmented_radix_sort_warp_sort_small_config_static_selectorELNS0_4arch9wavefront6targetE0EEEvSK_, .Lfunc_end1646-_ZN7rocprim17ROCPRIM_400000_NS6detail17trampoline_kernelINS0_14default_configENS1_36segmented_radix_sort_config_selectorIblEEZNS1_25segmented_radix_sort_implIS3_Lb0EPKbPbPKlPlN2at6native12_GLOBAL__N_18offset_tEEE10hipError_tPvRmT1_PNSt15iterator_traitsISK_E10value_typeET2_T3_PNSL_ISQ_E10value_typeET4_jRbjT5_SW_jjP12ihipStream_tbEUlT_E1_NS1_11comp_targetILNS1_3genE0ELNS1_11target_archE4294967295ELNS1_3gpuE0ELNS1_3repE0EEENS1_59segmented_radix_sort_warp_sort_small_config_static_selectorELNS0_4arch9wavefront6targetE0EEEvSK_
                                        ; -- End function
	.set _ZN7rocprim17ROCPRIM_400000_NS6detail17trampoline_kernelINS0_14default_configENS1_36segmented_radix_sort_config_selectorIblEEZNS1_25segmented_radix_sort_implIS3_Lb0EPKbPbPKlPlN2at6native12_GLOBAL__N_18offset_tEEE10hipError_tPvRmT1_PNSt15iterator_traitsISK_E10value_typeET2_T3_PNSL_ISQ_E10value_typeET4_jRbjT5_SW_jjP12ihipStream_tbEUlT_E1_NS1_11comp_targetILNS1_3genE0ELNS1_11target_archE4294967295ELNS1_3gpuE0ELNS1_3repE0EEENS1_59segmented_radix_sort_warp_sort_small_config_static_selectorELNS0_4arch9wavefront6targetE0EEEvSK_.num_vgpr, max(42, .L_ZN7rocprim17ROCPRIM_400000_NS6detail26segmented_warp_sort_helperINS1_20WarpSortHelperConfigILj32ELj4ELj256EEEblLi256ELb0EvE4sortIPKbPbPKlPlEEvT_T0_T1_T2_jjjjRNS5_12storage_typeE.num_vgpr)
	.set _ZN7rocprim17ROCPRIM_400000_NS6detail17trampoline_kernelINS0_14default_configENS1_36segmented_radix_sort_config_selectorIblEEZNS1_25segmented_radix_sort_implIS3_Lb0EPKbPbPKlPlN2at6native12_GLOBAL__N_18offset_tEEE10hipError_tPvRmT1_PNSt15iterator_traitsISK_E10value_typeET2_T3_PNSL_ISQ_E10value_typeET4_jRbjT5_SW_jjP12ihipStream_tbEUlT_E1_NS1_11comp_targetILNS1_3genE0ELNS1_11target_archE4294967295ELNS1_3gpuE0ELNS1_3repE0EEENS1_59segmented_radix_sort_warp_sort_small_config_static_selectorELNS0_4arch9wavefront6targetE0EEEvSK_.num_agpr, max(0, .L_ZN7rocprim17ROCPRIM_400000_NS6detail26segmented_warp_sort_helperINS1_20WarpSortHelperConfigILj32ELj4ELj256EEEblLi256ELb0EvE4sortIPKbPbPKlPlEEvT_T0_T1_T2_jjjjRNS5_12storage_typeE.num_agpr)
	.set _ZN7rocprim17ROCPRIM_400000_NS6detail17trampoline_kernelINS0_14default_configENS1_36segmented_radix_sort_config_selectorIblEEZNS1_25segmented_radix_sort_implIS3_Lb0EPKbPbPKlPlN2at6native12_GLOBAL__N_18offset_tEEE10hipError_tPvRmT1_PNSt15iterator_traitsISK_E10value_typeET2_T3_PNSL_ISQ_E10value_typeET4_jRbjT5_SW_jjP12ihipStream_tbEUlT_E1_NS1_11comp_targetILNS1_3genE0ELNS1_11target_archE4294967295ELNS1_3gpuE0ELNS1_3repE0EEENS1_59segmented_radix_sort_warp_sort_small_config_static_selectorELNS0_4arch9wavefront6targetE0EEEvSK_.numbered_sgpr, max(40, .L_ZN7rocprim17ROCPRIM_400000_NS6detail26segmented_warp_sort_helperINS1_20WarpSortHelperConfigILj32ELj4ELj256EEEblLi256ELb0EvE4sortIPKbPbPKlPlEEvT_T0_T1_T2_jjjjRNS5_12storage_typeE.numbered_sgpr)
	.set _ZN7rocprim17ROCPRIM_400000_NS6detail17trampoline_kernelINS0_14default_configENS1_36segmented_radix_sort_config_selectorIblEEZNS1_25segmented_radix_sort_implIS3_Lb0EPKbPbPKlPlN2at6native12_GLOBAL__N_18offset_tEEE10hipError_tPvRmT1_PNSt15iterator_traitsISK_E10value_typeET2_T3_PNSL_ISQ_E10value_typeET4_jRbjT5_SW_jjP12ihipStream_tbEUlT_E1_NS1_11comp_targetILNS1_3genE0ELNS1_11target_archE4294967295ELNS1_3gpuE0ELNS1_3repE0EEENS1_59segmented_radix_sort_warp_sort_small_config_static_selectorELNS0_4arch9wavefront6targetE0EEEvSK_.num_named_barrier, max(0, .L_ZN7rocprim17ROCPRIM_400000_NS6detail26segmented_warp_sort_helperINS1_20WarpSortHelperConfigILj32ELj4ELj256EEEblLi256ELb0EvE4sortIPKbPbPKlPlEEvT_T0_T1_T2_jjjjRNS5_12storage_typeE.num_named_barrier)
	.set _ZN7rocprim17ROCPRIM_400000_NS6detail17trampoline_kernelINS0_14default_configENS1_36segmented_radix_sort_config_selectorIblEEZNS1_25segmented_radix_sort_implIS3_Lb0EPKbPbPKlPlN2at6native12_GLOBAL__N_18offset_tEEE10hipError_tPvRmT1_PNSt15iterator_traitsISK_E10value_typeET2_T3_PNSL_ISQ_E10value_typeET4_jRbjT5_SW_jjP12ihipStream_tbEUlT_E1_NS1_11comp_targetILNS1_3genE0ELNS1_11target_archE4294967295ELNS1_3gpuE0ELNS1_3repE0EEENS1_59segmented_radix_sort_warp_sort_small_config_static_selectorELNS0_4arch9wavefront6targetE0EEEvSK_.private_seg_size, 0+max(.L_ZN7rocprim17ROCPRIM_400000_NS6detail26segmented_warp_sort_helperINS1_20WarpSortHelperConfigILj32ELj4ELj256EEEblLi256ELb0EvE4sortIPKbPbPKlPlEEvT_T0_T1_T2_jjjjRNS5_12storage_typeE.private_seg_size)
	.set _ZN7rocprim17ROCPRIM_400000_NS6detail17trampoline_kernelINS0_14default_configENS1_36segmented_radix_sort_config_selectorIblEEZNS1_25segmented_radix_sort_implIS3_Lb0EPKbPbPKlPlN2at6native12_GLOBAL__N_18offset_tEEE10hipError_tPvRmT1_PNSt15iterator_traitsISK_E10value_typeET2_T3_PNSL_ISQ_E10value_typeET4_jRbjT5_SW_jjP12ihipStream_tbEUlT_E1_NS1_11comp_targetILNS1_3genE0ELNS1_11target_archE4294967295ELNS1_3gpuE0ELNS1_3repE0EEENS1_59segmented_radix_sort_warp_sort_small_config_static_selectorELNS0_4arch9wavefront6targetE0EEEvSK_.uses_vcc, or(1, .L_ZN7rocprim17ROCPRIM_400000_NS6detail26segmented_warp_sort_helperINS1_20WarpSortHelperConfigILj32ELj4ELj256EEEblLi256ELb0EvE4sortIPKbPbPKlPlEEvT_T0_T1_T2_jjjjRNS5_12storage_typeE.uses_vcc)
	.set _ZN7rocprim17ROCPRIM_400000_NS6detail17trampoline_kernelINS0_14default_configENS1_36segmented_radix_sort_config_selectorIblEEZNS1_25segmented_radix_sort_implIS3_Lb0EPKbPbPKlPlN2at6native12_GLOBAL__N_18offset_tEEE10hipError_tPvRmT1_PNSt15iterator_traitsISK_E10value_typeET2_T3_PNSL_ISQ_E10value_typeET4_jRbjT5_SW_jjP12ihipStream_tbEUlT_E1_NS1_11comp_targetILNS1_3genE0ELNS1_11target_archE4294967295ELNS1_3gpuE0ELNS1_3repE0EEENS1_59segmented_radix_sort_warp_sort_small_config_static_selectorELNS0_4arch9wavefront6targetE0EEEvSK_.uses_flat_scratch, or(0, .L_ZN7rocprim17ROCPRIM_400000_NS6detail26segmented_warp_sort_helperINS1_20WarpSortHelperConfigILj32ELj4ELj256EEEblLi256ELb0EvE4sortIPKbPbPKlPlEEvT_T0_T1_T2_jjjjRNS5_12storage_typeE.uses_flat_scratch)
	.set _ZN7rocprim17ROCPRIM_400000_NS6detail17trampoline_kernelINS0_14default_configENS1_36segmented_radix_sort_config_selectorIblEEZNS1_25segmented_radix_sort_implIS3_Lb0EPKbPbPKlPlN2at6native12_GLOBAL__N_18offset_tEEE10hipError_tPvRmT1_PNSt15iterator_traitsISK_E10value_typeET2_T3_PNSL_ISQ_E10value_typeET4_jRbjT5_SW_jjP12ihipStream_tbEUlT_E1_NS1_11comp_targetILNS1_3genE0ELNS1_11target_archE4294967295ELNS1_3gpuE0ELNS1_3repE0EEENS1_59segmented_radix_sort_warp_sort_small_config_static_selectorELNS0_4arch9wavefront6targetE0EEEvSK_.has_dyn_sized_stack, or(0, .L_ZN7rocprim17ROCPRIM_400000_NS6detail26segmented_warp_sort_helperINS1_20WarpSortHelperConfigILj32ELj4ELj256EEEblLi256ELb0EvE4sortIPKbPbPKlPlEEvT_T0_T1_T2_jjjjRNS5_12storage_typeE.has_dyn_sized_stack)
	.set _ZN7rocprim17ROCPRIM_400000_NS6detail17trampoline_kernelINS0_14default_configENS1_36segmented_radix_sort_config_selectorIblEEZNS1_25segmented_radix_sort_implIS3_Lb0EPKbPbPKlPlN2at6native12_GLOBAL__N_18offset_tEEE10hipError_tPvRmT1_PNSt15iterator_traitsISK_E10value_typeET2_T3_PNSL_ISQ_E10value_typeET4_jRbjT5_SW_jjP12ihipStream_tbEUlT_E1_NS1_11comp_targetILNS1_3genE0ELNS1_11target_archE4294967295ELNS1_3gpuE0ELNS1_3repE0EEENS1_59segmented_radix_sort_warp_sort_small_config_static_selectorELNS0_4arch9wavefront6targetE0EEEvSK_.has_recursion, or(0, .L_ZN7rocprim17ROCPRIM_400000_NS6detail26segmented_warp_sort_helperINS1_20WarpSortHelperConfigILj32ELj4ELj256EEEblLi256ELb0EvE4sortIPKbPbPKlPlEEvT_T0_T1_T2_jjjjRNS5_12storage_typeE.has_recursion)
	.set _ZN7rocprim17ROCPRIM_400000_NS6detail17trampoline_kernelINS0_14default_configENS1_36segmented_radix_sort_config_selectorIblEEZNS1_25segmented_radix_sort_implIS3_Lb0EPKbPbPKlPlN2at6native12_GLOBAL__N_18offset_tEEE10hipError_tPvRmT1_PNSt15iterator_traitsISK_E10value_typeET2_T3_PNSL_ISQ_E10value_typeET4_jRbjT5_SW_jjP12ihipStream_tbEUlT_E1_NS1_11comp_targetILNS1_3genE0ELNS1_11target_archE4294967295ELNS1_3gpuE0ELNS1_3repE0EEENS1_59segmented_radix_sort_warp_sort_small_config_static_selectorELNS0_4arch9wavefront6targetE0EEEvSK_.has_indirect_call, or(0, .L_ZN7rocprim17ROCPRIM_400000_NS6detail26segmented_warp_sort_helperINS1_20WarpSortHelperConfigILj32ELj4ELj256EEEblLi256ELb0EvE4sortIPKbPbPKlPlEEvT_T0_T1_T2_jjjjRNS5_12storage_typeE.has_indirect_call)
	.section	.AMDGPU.csdata,"",@progbits
; Kernel info:
; codeLenInByte = 520
; TotalNumSgprs: 42
; NumVgprs: 56
; ScratchSize: 12
; MemoryBound: 0
; FloatMode: 240
; IeeeMode: 1
; LDSByteSize: 9216 bytes/workgroup (compile time only)
; SGPRBlocks: 0
; VGPRBlocks: 3
; NumSGPRsForWavesPerEU: 42
; NumVGPRsForWavesPerEU: 56
; NamedBarCnt: 0
; Occupancy: 16
; WaveLimiterHint : 0
; COMPUTE_PGM_RSRC2:SCRATCH_EN: 1
; COMPUTE_PGM_RSRC2:USER_SGPR: 4
; COMPUTE_PGM_RSRC2:TRAP_HANDLER: 0
; COMPUTE_PGM_RSRC2:TGID_X_EN: 1
; COMPUTE_PGM_RSRC2:TGID_Y_EN: 1
; COMPUTE_PGM_RSRC2:TGID_Z_EN: 0
; COMPUTE_PGM_RSRC2:TIDIG_COMP_CNT: 2
	.section	.text._ZN7rocprim17ROCPRIM_400000_NS6detail17trampoline_kernelINS0_14default_configENS1_36segmented_radix_sort_config_selectorIblEEZNS1_25segmented_radix_sort_implIS3_Lb0EPKbPbPKlPlN2at6native12_GLOBAL__N_18offset_tEEE10hipError_tPvRmT1_PNSt15iterator_traitsISK_E10value_typeET2_T3_PNSL_ISQ_E10value_typeET4_jRbjT5_SW_jjP12ihipStream_tbEUlT_E1_NS1_11comp_targetILNS1_3genE5ELNS1_11target_archE942ELNS1_3gpuE9ELNS1_3repE0EEENS1_59segmented_radix_sort_warp_sort_small_config_static_selectorELNS0_4arch9wavefront6targetE0EEEvSK_,"axG",@progbits,_ZN7rocprim17ROCPRIM_400000_NS6detail17trampoline_kernelINS0_14default_configENS1_36segmented_radix_sort_config_selectorIblEEZNS1_25segmented_radix_sort_implIS3_Lb0EPKbPbPKlPlN2at6native12_GLOBAL__N_18offset_tEEE10hipError_tPvRmT1_PNSt15iterator_traitsISK_E10value_typeET2_T3_PNSL_ISQ_E10value_typeET4_jRbjT5_SW_jjP12ihipStream_tbEUlT_E1_NS1_11comp_targetILNS1_3genE5ELNS1_11target_archE942ELNS1_3gpuE9ELNS1_3repE0EEENS1_59segmented_radix_sort_warp_sort_small_config_static_selectorELNS0_4arch9wavefront6targetE0EEEvSK_,comdat
	.globl	_ZN7rocprim17ROCPRIM_400000_NS6detail17trampoline_kernelINS0_14default_configENS1_36segmented_radix_sort_config_selectorIblEEZNS1_25segmented_radix_sort_implIS3_Lb0EPKbPbPKlPlN2at6native12_GLOBAL__N_18offset_tEEE10hipError_tPvRmT1_PNSt15iterator_traitsISK_E10value_typeET2_T3_PNSL_ISQ_E10value_typeET4_jRbjT5_SW_jjP12ihipStream_tbEUlT_E1_NS1_11comp_targetILNS1_3genE5ELNS1_11target_archE942ELNS1_3gpuE9ELNS1_3repE0EEENS1_59segmented_radix_sort_warp_sort_small_config_static_selectorELNS0_4arch9wavefront6targetE0EEEvSK_ ; -- Begin function _ZN7rocprim17ROCPRIM_400000_NS6detail17trampoline_kernelINS0_14default_configENS1_36segmented_radix_sort_config_selectorIblEEZNS1_25segmented_radix_sort_implIS3_Lb0EPKbPbPKlPlN2at6native12_GLOBAL__N_18offset_tEEE10hipError_tPvRmT1_PNSt15iterator_traitsISK_E10value_typeET2_T3_PNSL_ISQ_E10value_typeET4_jRbjT5_SW_jjP12ihipStream_tbEUlT_E1_NS1_11comp_targetILNS1_3genE5ELNS1_11target_archE942ELNS1_3gpuE9ELNS1_3repE0EEENS1_59segmented_radix_sort_warp_sort_small_config_static_selectorELNS0_4arch9wavefront6targetE0EEEvSK_
	.p2align	8
	.type	_ZN7rocprim17ROCPRIM_400000_NS6detail17trampoline_kernelINS0_14default_configENS1_36segmented_radix_sort_config_selectorIblEEZNS1_25segmented_radix_sort_implIS3_Lb0EPKbPbPKlPlN2at6native12_GLOBAL__N_18offset_tEEE10hipError_tPvRmT1_PNSt15iterator_traitsISK_E10value_typeET2_T3_PNSL_ISQ_E10value_typeET4_jRbjT5_SW_jjP12ihipStream_tbEUlT_E1_NS1_11comp_targetILNS1_3genE5ELNS1_11target_archE942ELNS1_3gpuE9ELNS1_3repE0EEENS1_59segmented_radix_sort_warp_sort_small_config_static_selectorELNS0_4arch9wavefront6targetE0EEEvSK_,@function
_ZN7rocprim17ROCPRIM_400000_NS6detail17trampoline_kernelINS0_14default_configENS1_36segmented_radix_sort_config_selectorIblEEZNS1_25segmented_radix_sort_implIS3_Lb0EPKbPbPKlPlN2at6native12_GLOBAL__N_18offset_tEEE10hipError_tPvRmT1_PNSt15iterator_traitsISK_E10value_typeET2_T3_PNSL_ISQ_E10value_typeET4_jRbjT5_SW_jjP12ihipStream_tbEUlT_E1_NS1_11comp_targetILNS1_3genE5ELNS1_11target_archE942ELNS1_3gpuE9ELNS1_3repE0EEENS1_59segmented_radix_sort_warp_sort_small_config_static_selectorELNS0_4arch9wavefront6targetE0EEEvSK_: ; @_ZN7rocprim17ROCPRIM_400000_NS6detail17trampoline_kernelINS0_14default_configENS1_36segmented_radix_sort_config_selectorIblEEZNS1_25segmented_radix_sort_implIS3_Lb0EPKbPbPKlPlN2at6native12_GLOBAL__N_18offset_tEEE10hipError_tPvRmT1_PNSt15iterator_traitsISK_E10value_typeET2_T3_PNSL_ISQ_E10value_typeET4_jRbjT5_SW_jjP12ihipStream_tbEUlT_E1_NS1_11comp_targetILNS1_3genE5ELNS1_11target_archE942ELNS1_3gpuE9ELNS1_3repE0EEENS1_59segmented_radix_sort_warp_sort_small_config_static_selectorELNS0_4arch9wavefront6targetE0EEEvSK_
; %bb.0:
	.section	.rodata,"a",@progbits
	.p2align	6, 0x0
	.amdhsa_kernel _ZN7rocprim17ROCPRIM_400000_NS6detail17trampoline_kernelINS0_14default_configENS1_36segmented_radix_sort_config_selectorIblEEZNS1_25segmented_radix_sort_implIS3_Lb0EPKbPbPKlPlN2at6native12_GLOBAL__N_18offset_tEEE10hipError_tPvRmT1_PNSt15iterator_traitsISK_E10value_typeET2_T3_PNSL_ISQ_E10value_typeET4_jRbjT5_SW_jjP12ihipStream_tbEUlT_E1_NS1_11comp_targetILNS1_3genE5ELNS1_11target_archE942ELNS1_3gpuE9ELNS1_3repE0EEENS1_59segmented_radix_sort_warp_sort_small_config_static_selectorELNS0_4arch9wavefront6targetE0EEEvSK_
		.amdhsa_group_segment_fixed_size 0
		.amdhsa_private_segment_fixed_size 0
		.amdhsa_kernarg_size 88
		.amdhsa_user_sgpr_count 2
		.amdhsa_user_sgpr_dispatch_ptr 0
		.amdhsa_user_sgpr_queue_ptr 0
		.amdhsa_user_sgpr_kernarg_segment_ptr 1
		.amdhsa_user_sgpr_dispatch_id 0
		.amdhsa_user_sgpr_kernarg_preload_length 0
		.amdhsa_user_sgpr_kernarg_preload_offset 0
		.amdhsa_user_sgpr_private_segment_size 0
		.amdhsa_wavefront_size32 1
		.amdhsa_uses_dynamic_stack 0
		.amdhsa_enable_private_segment 0
		.amdhsa_system_sgpr_workgroup_id_x 1
		.amdhsa_system_sgpr_workgroup_id_y 0
		.amdhsa_system_sgpr_workgroup_id_z 0
		.amdhsa_system_sgpr_workgroup_info 0
		.amdhsa_system_vgpr_workitem_id 0
		.amdhsa_next_free_vgpr 1
		.amdhsa_next_free_sgpr 1
		.amdhsa_named_barrier_count 0
		.amdhsa_reserve_vcc 0
		.amdhsa_float_round_mode_32 0
		.amdhsa_float_round_mode_16_64 0
		.amdhsa_float_denorm_mode_32 3
		.amdhsa_float_denorm_mode_16_64 3
		.amdhsa_fp16_overflow 0
		.amdhsa_memory_ordered 1
		.amdhsa_forward_progress 1
		.amdhsa_inst_pref_size 0
		.amdhsa_round_robin_scheduling 0
		.amdhsa_exception_fp_ieee_invalid_op 0
		.amdhsa_exception_fp_denorm_src 0
		.amdhsa_exception_fp_ieee_div_zero 0
		.amdhsa_exception_fp_ieee_overflow 0
		.amdhsa_exception_fp_ieee_underflow 0
		.amdhsa_exception_fp_ieee_inexact 0
		.amdhsa_exception_int_div_zero 0
	.end_amdhsa_kernel
	.section	.text._ZN7rocprim17ROCPRIM_400000_NS6detail17trampoline_kernelINS0_14default_configENS1_36segmented_radix_sort_config_selectorIblEEZNS1_25segmented_radix_sort_implIS3_Lb0EPKbPbPKlPlN2at6native12_GLOBAL__N_18offset_tEEE10hipError_tPvRmT1_PNSt15iterator_traitsISK_E10value_typeET2_T3_PNSL_ISQ_E10value_typeET4_jRbjT5_SW_jjP12ihipStream_tbEUlT_E1_NS1_11comp_targetILNS1_3genE5ELNS1_11target_archE942ELNS1_3gpuE9ELNS1_3repE0EEENS1_59segmented_radix_sort_warp_sort_small_config_static_selectorELNS0_4arch9wavefront6targetE0EEEvSK_,"axG",@progbits,_ZN7rocprim17ROCPRIM_400000_NS6detail17trampoline_kernelINS0_14default_configENS1_36segmented_radix_sort_config_selectorIblEEZNS1_25segmented_radix_sort_implIS3_Lb0EPKbPbPKlPlN2at6native12_GLOBAL__N_18offset_tEEE10hipError_tPvRmT1_PNSt15iterator_traitsISK_E10value_typeET2_T3_PNSL_ISQ_E10value_typeET4_jRbjT5_SW_jjP12ihipStream_tbEUlT_E1_NS1_11comp_targetILNS1_3genE5ELNS1_11target_archE942ELNS1_3gpuE9ELNS1_3repE0EEENS1_59segmented_radix_sort_warp_sort_small_config_static_selectorELNS0_4arch9wavefront6targetE0EEEvSK_,comdat
.Lfunc_end1647:
	.size	_ZN7rocprim17ROCPRIM_400000_NS6detail17trampoline_kernelINS0_14default_configENS1_36segmented_radix_sort_config_selectorIblEEZNS1_25segmented_radix_sort_implIS3_Lb0EPKbPbPKlPlN2at6native12_GLOBAL__N_18offset_tEEE10hipError_tPvRmT1_PNSt15iterator_traitsISK_E10value_typeET2_T3_PNSL_ISQ_E10value_typeET4_jRbjT5_SW_jjP12ihipStream_tbEUlT_E1_NS1_11comp_targetILNS1_3genE5ELNS1_11target_archE942ELNS1_3gpuE9ELNS1_3repE0EEENS1_59segmented_radix_sort_warp_sort_small_config_static_selectorELNS0_4arch9wavefront6targetE0EEEvSK_, .Lfunc_end1647-_ZN7rocprim17ROCPRIM_400000_NS6detail17trampoline_kernelINS0_14default_configENS1_36segmented_radix_sort_config_selectorIblEEZNS1_25segmented_radix_sort_implIS3_Lb0EPKbPbPKlPlN2at6native12_GLOBAL__N_18offset_tEEE10hipError_tPvRmT1_PNSt15iterator_traitsISK_E10value_typeET2_T3_PNSL_ISQ_E10value_typeET4_jRbjT5_SW_jjP12ihipStream_tbEUlT_E1_NS1_11comp_targetILNS1_3genE5ELNS1_11target_archE942ELNS1_3gpuE9ELNS1_3repE0EEENS1_59segmented_radix_sort_warp_sort_small_config_static_selectorELNS0_4arch9wavefront6targetE0EEEvSK_
                                        ; -- End function
	.set _ZN7rocprim17ROCPRIM_400000_NS6detail17trampoline_kernelINS0_14default_configENS1_36segmented_radix_sort_config_selectorIblEEZNS1_25segmented_radix_sort_implIS3_Lb0EPKbPbPKlPlN2at6native12_GLOBAL__N_18offset_tEEE10hipError_tPvRmT1_PNSt15iterator_traitsISK_E10value_typeET2_T3_PNSL_ISQ_E10value_typeET4_jRbjT5_SW_jjP12ihipStream_tbEUlT_E1_NS1_11comp_targetILNS1_3genE5ELNS1_11target_archE942ELNS1_3gpuE9ELNS1_3repE0EEENS1_59segmented_radix_sort_warp_sort_small_config_static_selectorELNS0_4arch9wavefront6targetE0EEEvSK_.num_vgpr, 0
	.set _ZN7rocprim17ROCPRIM_400000_NS6detail17trampoline_kernelINS0_14default_configENS1_36segmented_radix_sort_config_selectorIblEEZNS1_25segmented_radix_sort_implIS3_Lb0EPKbPbPKlPlN2at6native12_GLOBAL__N_18offset_tEEE10hipError_tPvRmT1_PNSt15iterator_traitsISK_E10value_typeET2_T3_PNSL_ISQ_E10value_typeET4_jRbjT5_SW_jjP12ihipStream_tbEUlT_E1_NS1_11comp_targetILNS1_3genE5ELNS1_11target_archE942ELNS1_3gpuE9ELNS1_3repE0EEENS1_59segmented_radix_sort_warp_sort_small_config_static_selectorELNS0_4arch9wavefront6targetE0EEEvSK_.num_agpr, 0
	.set _ZN7rocprim17ROCPRIM_400000_NS6detail17trampoline_kernelINS0_14default_configENS1_36segmented_radix_sort_config_selectorIblEEZNS1_25segmented_radix_sort_implIS3_Lb0EPKbPbPKlPlN2at6native12_GLOBAL__N_18offset_tEEE10hipError_tPvRmT1_PNSt15iterator_traitsISK_E10value_typeET2_T3_PNSL_ISQ_E10value_typeET4_jRbjT5_SW_jjP12ihipStream_tbEUlT_E1_NS1_11comp_targetILNS1_3genE5ELNS1_11target_archE942ELNS1_3gpuE9ELNS1_3repE0EEENS1_59segmented_radix_sort_warp_sort_small_config_static_selectorELNS0_4arch9wavefront6targetE0EEEvSK_.numbered_sgpr, 0
	.set _ZN7rocprim17ROCPRIM_400000_NS6detail17trampoline_kernelINS0_14default_configENS1_36segmented_radix_sort_config_selectorIblEEZNS1_25segmented_radix_sort_implIS3_Lb0EPKbPbPKlPlN2at6native12_GLOBAL__N_18offset_tEEE10hipError_tPvRmT1_PNSt15iterator_traitsISK_E10value_typeET2_T3_PNSL_ISQ_E10value_typeET4_jRbjT5_SW_jjP12ihipStream_tbEUlT_E1_NS1_11comp_targetILNS1_3genE5ELNS1_11target_archE942ELNS1_3gpuE9ELNS1_3repE0EEENS1_59segmented_radix_sort_warp_sort_small_config_static_selectorELNS0_4arch9wavefront6targetE0EEEvSK_.num_named_barrier, 0
	.set _ZN7rocprim17ROCPRIM_400000_NS6detail17trampoline_kernelINS0_14default_configENS1_36segmented_radix_sort_config_selectorIblEEZNS1_25segmented_radix_sort_implIS3_Lb0EPKbPbPKlPlN2at6native12_GLOBAL__N_18offset_tEEE10hipError_tPvRmT1_PNSt15iterator_traitsISK_E10value_typeET2_T3_PNSL_ISQ_E10value_typeET4_jRbjT5_SW_jjP12ihipStream_tbEUlT_E1_NS1_11comp_targetILNS1_3genE5ELNS1_11target_archE942ELNS1_3gpuE9ELNS1_3repE0EEENS1_59segmented_radix_sort_warp_sort_small_config_static_selectorELNS0_4arch9wavefront6targetE0EEEvSK_.private_seg_size, 0
	.set _ZN7rocprim17ROCPRIM_400000_NS6detail17trampoline_kernelINS0_14default_configENS1_36segmented_radix_sort_config_selectorIblEEZNS1_25segmented_radix_sort_implIS3_Lb0EPKbPbPKlPlN2at6native12_GLOBAL__N_18offset_tEEE10hipError_tPvRmT1_PNSt15iterator_traitsISK_E10value_typeET2_T3_PNSL_ISQ_E10value_typeET4_jRbjT5_SW_jjP12ihipStream_tbEUlT_E1_NS1_11comp_targetILNS1_3genE5ELNS1_11target_archE942ELNS1_3gpuE9ELNS1_3repE0EEENS1_59segmented_radix_sort_warp_sort_small_config_static_selectorELNS0_4arch9wavefront6targetE0EEEvSK_.uses_vcc, 0
	.set _ZN7rocprim17ROCPRIM_400000_NS6detail17trampoline_kernelINS0_14default_configENS1_36segmented_radix_sort_config_selectorIblEEZNS1_25segmented_radix_sort_implIS3_Lb0EPKbPbPKlPlN2at6native12_GLOBAL__N_18offset_tEEE10hipError_tPvRmT1_PNSt15iterator_traitsISK_E10value_typeET2_T3_PNSL_ISQ_E10value_typeET4_jRbjT5_SW_jjP12ihipStream_tbEUlT_E1_NS1_11comp_targetILNS1_3genE5ELNS1_11target_archE942ELNS1_3gpuE9ELNS1_3repE0EEENS1_59segmented_radix_sort_warp_sort_small_config_static_selectorELNS0_4arch9wavefront6targetE0EEEvSK_.uses_flat_scratch, 0
	.set _ZN7rocprim17ROCPRIM_400000_NS6detail17trampoline_kernelINS0_14default_configENS1_36segmented_radix_sort_config_selectorIblEEZNS1_25segmented_radix_sort_implIS3_Lb0EPKbPbPKlPlN2at6native12_GLOBAL__N_18offset_tEEE10hipError_tPvRmT1_PNSt15iterator_traitsISK_E10value_typeET2_T3_PNSL_ISQ_E10value_typeET4_jRbjT5_SW_jjP12ihipStream_tbEUlT_E1_NS1_11comp_targetILNS1_3genE5ELNS1_11target_archE942ELNS1_3gpuE9ELNS1_3repE0EEENS1_59segmented_radix_sort_warp_sort_small_config_static_selectorELNS0_4arch9wavefront6targetE0EEEvSK_.has_dyn_sized_stack, 0
	.set _ZN7rocprim17ROCPRIM_400000_NS6detail17trampoline_kernelINS0_14default_configENS1_36segmented_radix_sort_config_selectorIblEEZNS1_25segmented_radix_sort_implIS3_Lb0EPKbPbPKlPlN2at6native12_GLOBAL__N_18offset_tEEE10hipError_tPvRmT1_PNSt15iterator_traitsISK_E10value_typeET2_T3_PNSL_ISQ_E10value_typeET4_jRbjT5_SW_jjP12ihipStream_tbEUlT_E1_NS1_11comp_targetILNS1_3genE5ELNS1_11target_archE942ELNS1_3gpuE9ELNS1_3repE0EEENS1_59segmented_radix_sort_warp_sort_small_config_static_selectorELNS0_4arch9wavefront6targetE0EEEvSK_.has_recursion, 0
	.set _ZN7rocprim17ROCPRIM_400000_NS6detail17trampoline_kernelINS0_14default_configENS1_36segmented_radix_sort_config_selectorIblEEZNS1_25segmented_radix_sort_implIS3_Lb0EPKbPbPKlPlN2at6native12_GLOBAL__N_18offset_tEEE10hipError_tPvRmT1_PNSt15iterator_traitsISK_E10value_typeET2_T3_PNSL_ISQ_E10value_typeET4_jRbjT5_SW_jjP12ihipStream_tbEUlT_E1_NS1_11comp_targetILNS1_3genE5ELNS1_11target_archE942ELNS1_3gpuE9ELNS1_3repE0EEENS1_59segmented_radix_sort_warp_sort_small_config_static_selectorELNS0_4arch9wavefront6targetE0EEEvSK_.has_indirect_call, 0
	.section	.AMDGPU.csdata,"",@progbits
; Kernel info:
; codeLenInByte = 0
; TotalNumSgprs: 0
; NumVgprs: 0
; ScratchSize: 0
; MemoryBound: 0
; FloatMode: 240
; IeeeMode: 1
; LDSByteSize: 0 bytes/workgroup (compile time only)
; SGPRBlocks: 0
; VGPRBlocks: 0
; NumSGPRsForWavesPerEU: 1
; NumVGPRsForWavesPerEU: 1
; NamedBarCnt: 0
; Occupancy: 16
; WaveLimiterHint : 0
; COMPUTE_PGM_RSRC2:SCRATCH_EN: 0
; COMPUTE_PGM_RSRC2:USER_SGPR: 2
; COMPUTE_PGM_RSRC2:TRAP_HANDLER: 0
; COMPUTE_PGM_RSRC2:TGID_X_EN: 1
; COMPUTE_PGM_RSRC2:TGID_Y_EN: 0
; COMPUTE_PGM_RSRC2:TGID_Z_EN: 0
; COMPUTE_PGM_RSRC2:TIDIG_COMP_CNT: 0
	.section	.text._ZN7rocprim17ROCPRIM_400000_NS6detail17trampoline_kernelINS0_14default_configENS1_36segmented_radix_sort_config_selectorIblEEZNS1_25segmented_radix_sort_implIS3_Lb0EPKbPbPKlPlN2at6native12_GLOBAL__N_18offset_tEEE10hipError_tPvRmT1_PNSt15iterator_traitsISK_E10value_typeET2_T3_PNSL_ISQ_E10value_typeET4_jRbjT5_SW_jjP12ihipStream_tbEUlT_E1_NS1_11comp_targetILNS1_3genE4ELNS1_11target_archE910ELNS1_3gpuE8ELNS1_3repE0EEENS1_59segmented_radix_sort_warp_sort_small_config_static_selectorELNS0_4arch9wavefront6targetE0EEEvSK_,"axG",@progbits,_ZN7rocprim17ROCPRIM_400000_NS6detail17trampoline_kernelINS0_14default_configENS1_36segmented_radix_sort_config_selectorIblEEZNS1_25segmented_radix_sort_implIS3_Lb0EPKbPbPKlPlN2at6native12_GLOBAL__N_18offset_tEEE10hipError_tPvRmT1_PNSt15iterator_traitsISK_E10value_typeET2_T3_PNSL_ISQ_E10value_typeET4_jRbjT5_SW_jjP12ihipStream_tbEUlT_E1_NS1_11comp_targetILNS1_3genE4ELNS1_11target_archE910ELNS1_3gpuE8ELNS1_3repE0EEENS1_59segmented_radix_sort_warp_sort_small_config_static_selectorELNS0_4arch9wavefront6targetE0EEEvSK_,comdat
	.globl	_ZN7rocprim17ROCPRIM_400000_NS6detail17trampoline_kernelINS0_14default_configENS1_36segmented_radix_sort_config_selectorIblEEZNS1_25segmented_radix_sort_implIS3_Lb0EPKbPbPKlPlN2at6native12_GLOBAL__N_18offset_tEEE10hipError_tPvRmT1_PNSt15iterator_traitsISK_E10value_typeET2_T3_PNSL_ISQ_E10value_typeET4_jRbjT5_SW_jjP12ihipStream_tbEUlT_E1_NS1_11comp_targetILNS1_3genE4ELNS1_11target_archE910ELNS1_3gpuE8ELNS1_3repE0EEENS1_59segmented_radix_sort_warp_sort_small_config_static_selectorELNS0_4arch9wavefront6targetE0EEEvSK_ ; -- Begin function _ZN7rocprim17ROCPRIM_400000_NS6detail17trampoline_kernelINS0_14default_configENS1_36segmented_radix_sort_config_selectorIblEEZNS1_25segmented_radix_sort_implIS3_Lb0EPKbPbPKlPlN2at6native12_GLOBAL__N_18offset_tEEE10hipError_tPvRmT1_PNSt15iterator_traitsISK_E10value_typeET2_T3_PNSL_ISQ_E10value_typeET4_jRbjT5_SW_jjP12ihipStream_tbEUlT_E1_NS1_11comp_targetILNS1_3genE4ELNS1_11target_archE910ELNS1_3gpuE8ELNS1_3repE0EEENS1_59segmented_radix_sort_warp_sort_small_config_static_selectorELNS0_4arch9wavefront6targetE0EEEvSK_
	.p2align	8
	.type	_ZN7rocprim17ROCPRIM_400000_NS6detail17trampoline_kernelINS0_14default_configENS1_36segmented_radix_sort_config_selectorIblEEZNS1_25segmented_radix_sort_implIS3_Lb0EPKbPbPKlPlN2at6native12_GLOBAL__N_18offset_tEEE10hipError_tPvRmT1_PNSt15iterator_traitsISK_E10value_typeET2_T3_PNSL_ISQ_E10value_typeET4_jRbjT5_SW_jjP12ihipStream_tbEUlT_E1_NS1_11comp_targetILNS1_3genE4ELNS1_11target_archE910ELNS1_3gpuE8ELNS1_3repE0EEENS1_59segmented_radix_sort_warp_sort_small_config_static_selectorELNS0_4arch9wavefront6targetE0EEEvSK_,@function
_ZN7rocprim17ROCPRIM_400000_NS6detail17trampoline_kernelINS0_14default_configENS1_36segmented_radix_sort_config_selectorIblEEZNS1_25segmented_radix_sort_implIS3_Lb0EPKbPbPKlPlN2at6native12_GLOBAL__N_18offset_tEEE10hipError_tPvRmT1_PNSt15iterator_traitsISK_E10value_typeET2_T3_PNSL_ISQ_E10value_typeET4_jRbjT5_SW_jjP12ihipStream_tbEUlT_E1_NS1_11comp_targetILNS1_3genE4ELNS1_11target_archE910ELNS1_3gpuE8ELNS1_3repE0EEENS1_59segmented_radix_sort_warp_sort_small_config_static_selectorELNS0_4arch9wavefront6targetE0EEEvSK_: ; @_ZN7rocprim17ROCPRIM_400000_NS6detail17trampoline_kernelINS0_14default_configENS1_36segmented_radix_sort_config_selectorIblEEZNS1_25segmented_radix_sort_implIS3_Lb0EPKbPbPKlPlN2at6native12_GLOBAL__N_18offset_tEEE10hipError_tPvRmT1_PNSt15iterator_traitsISK_E10value_typeET2_T3_PNSL_ISQ_E10value_typeET4_jRbjT5_SW_jjP12ihipStream_tbEUlT_E1_NS1_11comp_targetILNS1_3genE4ELNS1_11target_archE910ELNS1_3gpuE8ELNS1_3repE0EEENS1_59segmented_radix_sort_warp_sort_small_config_static_selectorELNS0_4arch9wavefront6targetE0EEEvSK_
; %bb.0:
	.section	.rodata,"a",@progbits
	.p2align	6, 0x0
	.amdhsa_kernel _ZN7rocprim17ROCPRIM_400000_NS6detail17trampoline_kernelINS0_14default_configENS1_36segmented_radix_sort_config_selectorIblEEZNS1_25segmented_radix_sort_implIS3_Lb0EPKbPbPKlPlN2at6native12_GLOBAL__N_18offset_tEEE10hipError_tPvRmT1_PNSt15iterator_traitsISK_E10value_typeET2_T3_PNSL_ISQ_E10value_typeET4_jRbjT5_SW_jjP12ihipStream_tbEUlT_E1_NS1_11comp_targetILNS1_3genE4ELNS1_11target_archE910ELNS1_3gpuE8ELNS1_3repE0EEENS1_59segmented_radix_sort_warp_sort_small_config_static_selectorELNS0_4arch9wavefront6targetE0EEEvSK_
		.amdhsa_group_segment_fixed_size 0
		.amdhsa_private_segment_fixed_size 0
		.amdhsa_kernarg_size 88
		.amdhsa_user_sgpr_count 2
		.amdhsa_user_sgpr_dispatch_ptr 0
		.amdhsa_user_sgpr_queue_ptr 0
		.amdhsa_user_sgpr_kernarg_segment_ptr 1
		.amdhsa_user_sgpr_dispatch_id 0
		.amdhsa_user_sgpr_kernarg_preload_length 0
		.amdhsa_user_sgpr_kernarg_preload_offset 0
		.amdhsa_user_sgpr_private_segment_size 0
		.amdhsa_wavefront_size32 1
		.amdhsa_uses_dynamic_stack 0
		.amdhsa_enable_private_segment 0
		.amdhsa_system_sgpr_workgroup_id_x 1
		.amdhsa_system_sgpr_workgroup_id_y 0
		.amdhsa_system_sgpr_workgroup_id_z 0
		.amdhsa_system_sgpr_workgroup_info 0
		.amdhsa_system_vgpr_workitem_id 0
		.amdhsa_next_free_vgpr 1
		.amdhsa_next_free_sgpr 1
		.amdhsa_named_barrier_count 0
		.amdhsa_reserve_vcc 0
		.amdhsa_float_round_mode_32 0
		.amdhsa_float_round_mode_16_64 0
		.amdhsa_float_denorm_mode_32 3
		.amdhsa_float_denorm_mode_16_64 3
		.amdhsa_fp16_overflow 0
		.amdhsa_memory_ordered 1
		.amdhsa_forward_progress 1
		.amdhsa_inst_pref_size 0
		.amdhsa_round_robin_scheduling 0
		.amdhsa_exception_fp_ieee_invalid_op 0
		.amdhsa_exception_fp_denorm_src 0
		.amdhsa_exception_fp_ieee_div_zero 0
		.amdhsa_exception_fp_ieee_overflow 0
		.amdhsa_exception_fp_ieee_underflow 0
		.amdhsa_exception_fp_ieee_inexact 0
		.amdhsa_exception_int_div_zero 0
	.end_amdhsa_kernel
	.section	.text._ZN7rocprim17ROCPRIM_400000_NS6detail17trampoline_kernelINS0_14default_configENS1_36segmented_radix_sort_config_selectorIblEEZNS1_25segmented_radix_sort_implIS3_Lb0EPKbPbPKlPlN2at6native12_GLOBAL__N_18offset_tEEE10hipError_tPvRmT1_PNSt15iterator_traitsISK_E10value_typeET2_T3_PNSL_ISQ_E10value_typeET4_jRbjT5_SW_jjP12ihipStream_tbEUlT_E1_NS1_11comp_targetILNS1_3genE4ELNS1_11target_archE910ELNS1_3gpuE8ELNS1_3repE0EEENS1_59segmented_radix_sort_warp_sort_small_config_static_selectorELNS0_4arch9wavefront6targetE0EEEvSK_,"axG",@progbits,_ZN7rocprim17ROCPRIM_400000_NS6detail17trampoline_kernelINS0_14default_configENS1_36segmented_radix_sort_config_selectorIblEEZNS1_25segmented_radix_sort_implIS3_Lb0EPKbPbPKlPlN2at6native12_GLOBAL__N_18offset_tEEE10hipError_tPvRmT1_PNSt15iterator_traitsISK_E10value_typeET2_T3_PNSL_ISQ_E10value_typeET4_jRbjT5_SW_jjP12ihipStream_tbEUlT_E1_NS1_11comp_targetILNS1_3genE4ELNS1_11target_archE910ELNS1_3gpuE8ELNS1_3repE0EEENS1_59segmented_radix_sort_warp_sort_small_config_static_selectorELNS0_4arch9wavefront6targetE0EEEvSK_,comdat
.Lfunc_end1648:
	.size	_ZN7rocprim17ROCPRIM_400000_NS6detail17trampoline_kernelINS0_14default_configENS1_36segmented_radix_sort_config_selectorIblEEZNS1_25segmented_radix_sort_implIS3_Lb0EPKbPbPKlPlN2at6native12_GLOBAL__N_18offset_tEEE10hipError_tPvRmT1_PNSt15iterator_traitsISK_E10value_typeET2_T3_PNSL_ISQ_E10value_typeET4_jRbjT5_SW_jjP12ihipStream_tbEUlT_E1_NS1_11comp_targetILNS1_3genE4ELNS1_11target_archE910ELNS1_3gpuE8ELNS1_3repE0EEENS1_59segmented_radix_sort_warp_sort_small_config_static_selectorELNS0_4arch9wavefront6targetE0EEEvSK_, .Lfunc_end1648-_ZN7rocprim17ROCPRIM_400000_NS6detail17trampoline_kernelINS0_14default_configENS1_36segmented_radix_sort_config_selectorIblEEZNS1_25segmented_radix_sort_implIS3_Lb0EPKbPbPKlPlN2at6native12_GLOBAL__N_18offset_tEEE10hipError_tPvRmT1_PNSt15iterator_traitsISK_E10value_typeET2_T3_PNSL_ISQ_E10value_typeET4_jRbjT5_SW_jjP12ihipStream_tbEUlT_E1_NS1_11comp_targetILNS1_3genE4ELNS1_11target_archE910ELNS1_3gpuE8ELNS1_3repE0EEENS1_59segmented_radix_sort_warp_sort_small_config_static_selectorELNS0_4arch9wavefront6targetE0EEEvSK_
                                        ; -- End function
	.set _ZN7rocprim17ROCPRIM_400000_NS6detail17trampoline_kernelINS0_14default_configENS1_36segmented_radix_sort_config_selectorIblEEZNS1_25segmented_radix_sort_implIS3_Lb0EPKbPbPKlPlN2at6native12_GLOBAL__N_18offset_tEEE10hipError_tPvRmT1_PNSt15iterator_traitsISK_E10value_typeET2_T3_PNSL_ISQ_E10value_typeET4_jRbjT5_SW_jjP12ihipStream_tbEUlT_E1_NS1_11comp_targetILNS1_3genE4ELNS1_11target_archE910ELNS1_3gpuE8ELNS1_3repE0EEENS1_59segmented_radix_sort_warp_sort_small_config_static_selectorELNS0_4arch9wavefront6targetE0EEEvSK_.num_vgpr, 0
	.set _ZN7rocprim17ROCPRIM_400000_NS6detail17trampoline_kernelINS0_14default_configENS1_36segmented_radix_sort_config_selectorIblEEZNS1_25segmented_radix_sort_implIS3_Lb0EPKbPbPKlPlN2at6native12_GLOBAL__N_18offset_tEEE10hipError_tPvRmT1_PNSt15iterator_traitsISK_E10value_typeET2_T3_PNSL_ISQ_E10value_typeET4_jRbjT5_SW_jjP12ihipStream_tbEUlT_E1_NS1_11comp_targetILNS1_3genE4ELNS1_11target_archE910ELNS1_3gpuE8ELNS1_3repE0EEENS1_59segmented_radix_sort_warp_sort_small_config_static_selectorELNS0_4arch9wavefront6targetE0EEEvSK_.num_agpr, 0
	.set _ZN7rocprim17ROCPRIM_400000_NS6detail17trampoline_kernelINS0_14default_configENS1_36segmented_radix_sort_config_selectorIblEEZNS1_25segmented_radix_sort_implIS3_Lb0EPKbPbPKlPlN2at6native12_GLOBAL__N_18offset_tEEE10hipError_tPvRmT1_PNSt15iterator_traitsISK_E10value_typeET2_T3_PNSL_ISQ_E10value_typeET4_jRbjT5_SW_jjP12ihipStream_tbEUlT_E1_NS1_11comp_targetILNS1_3genE4ELNS1_11target_archE910ELNS1_3gpuE8ELNS1_3repE0EEENS1_59segmented_radix_sort_warp_sort_small_config_static_selectorELNS0_4arch9wavefront6targetE0EEEvSK_.numbered_sgpr, 0
	.set _ZN7rocprim17ROCPRIM_400000_NS6detail17trampoline_kernelINS0_14default_configENS1_36segmented_radix_sort_config_selectorIblEEZNS1_25segmented_radix_sort_implIS3_Lb0EPKbPbPKlPlN2at6native12_GLOBAL__N_18offset_tEEE10hipError_tPvRmT1_PNSt15iterator_traitsISK_E10value_typeET2_T3_PNSL_ISQ_E10value_typeET4_jRbjT5_SW_jjP12ihipStream_tbEUlT_E1_NS1_11comp_targetILNS1_3genE4ELNS1_11target_archE910ELNS1_3gpuE8ELNS1_3repE0EEENS1_59segmented_radix_sort_warp_sort_small_config_static_selectorELNS0_4arch9wavefront6targetE0EEEvSK_.num_named_barrier, 0
	.set _ZN7rocprim17ROCPRIM_400000_NS6detail17trampoline_kernelINS0_14default_configENS1_36segmented_radix_sort_config_selectorIblEEZNS1_25segmented_radix_sort_implIS3_Lb0EPKbPbPKlPlN2at6native12_GLOBAL__N_18offset_tEEE10hipError_tPvRmT1_PNSt15iterator_traitsISK_E10value_typeET2_T3_PNSL_ISQ_E10value_typeET4_jRbjT5_SW_jjP12ihipStream_tbEUlT_E1_NS1_11comp_targetILNS1_3genE4ELNS1_11target_archE910ELNS1_3gpuE8ELNS1_3repE0EEENS1_59segmented_radix_sort_warp_sort_small_config_static_selectorELNS0_4arch9wavefront6targetE0EEEvSK_.private_seg_size, 0
	.set _ZN7rocprim17ROCPRIM_400000_NS6detail17trampoline_kernelINS0_14default_configENS1_36segmented_radix_sort_config_selectorIblEEZNS1_25segmented_radix_sort_implIS3_Lb0EPKbPbPKlPlN2at6native12_GLOBAL__N_18offset_tEEE10hipError_tPvRmT1_PNSt15iterator_traitsISK_E10value_typeET2_T3_PNSL_ISQ_E10value_typeET4_jRbjT5_SW_jjP12ihipStream_tbEUlT_E1_NS1_11comp_targetILNS1_3genE4ELNS1_11target_archE910ELNS1_3gpuE8ELNS1_3repE0EEENS1_59segmented_radix_sort_warp_sort_small_config_static_selectorELNS0_4arch9wavefront6targetE0EEEvSK_.uses_vcc, 0
	.set _ZN7rocprim17ROCPRIM_400000_NS6detail17trampoline_kernelINS0_14default_configENS1_36segmented_radix_sort_config_selectorIblEEZNS1_25segmented_radix_sort_implIS3_Lb0EPKbPbPKlPlN2at6native12_GLOBAL__N_18offset_tEEE10hipError_tPvRmT1_PNSt15iterator_traitsISK_E10value_typeET2_T3_PNSL_ISQ_E10value_typeET4_jRbjT5_SW_jjP12ihipStream_tbEUlT_E1_NS1_11comp_targetILNS1_3genE4ELNS1_11target_archE910ELNS1_3gpuE8ELNS1_3repE0EEENS1_59segmented_radix_sort_warp_sort_small_config_static_selectorELNS0_4arch9wavefront6targetE0EEEvSK_.uses_flat_scratch, 0
	.set _ZN7rocprim17ROCPRIM_400000_NS6detail17trampoline_kernelINS0_14default_configENS1_36segmented_radix_sort_config_selectorIblEEZNS1_25segmented_radix_sort_implIS3_Lb0EPKbPbPKlPlN2at6native12_GLOBAL__N_18offset_tEEE10hipError_tPvRmT1_PNSt15iterator_traitsISK_E10value_typeET2_T3_PNSL_ISQ_E10value_typeET4_jRbjT5_SW_jjP12ihipStream_tbEUlT_E1_NS1_11comp_targetILNS1_3genE4ELNS1_11target_archE910ELNS1_3gpuE8ELNS1_3repE0EEENS1_59segmented_radix_sort_warp_sort_small_config_static_selectorELNS0_4arch9wavefront6targetE0EEEvSK_.has_dyn_sized_stack, 0
	.set _ZN7rocprim17ROCPRIM_400000_NS6detail17trampoline_kernelINS0_14default_configENS1_36segmented_radix_sort_config_selectorIblEEZNS1_25segmented_radix_sort_implIS3_Lb0EPKbPbPKlPlN2at6native12_GLOBAL__N_18offset_tEEE10hipError_tPvRmT1_PNSt15iterator_traitsISK_E10value_typeET2_T3_PNSL_ISQ_E10value_typeET4_jRbjT5_SW_jjP12ihipStream_tbEUlT_E1_NS1_11comp_targetILNS1_3genE4ELNS1_11target_archE910ELNS1_3gpuE8ELNS1_3repE0EEENS1_59segmented_radix_sort_warp_sort_small_config_static_selectorELNS0_4arch9wavefront6targetE0EEEvSK_.has_recursion, 0
	.set _ZN7rocprim17ROCPRIM_400000_NS6detail17trampoline_kernelINS0_14default_configENS1_36segmented_radix_sort_config_selectorIblEEZNS1_25segmented_radix_sort_implIS3_Lb0EPKbPbPKlPlN2at6native12_GLOBAL__N_18offset_tEEE10hipError_tPvRmT1_PNSt15iterator_traitsISK_E10value_typeET2_T3_PNSL_ISQ_E10value_typeET4_jRbjT5_SW_jjP12ihipStream_tbEUlT_E1_NS1_11comp_targetILNS1_3genE4ELNS1_11target_archE910ELNS1_3gpuE8ELNS1_3repE0EEENS1_59segmented_radix_sort_warp_sort_small_config_static_selectorELNS0_4arch9wavefront6targetE0EEEvSK_.has_indirect_call, 0
	.section	.AMDGPU.csdata,"",@progbits
; Kernel info:
; codeLenInByte = 0
; TotalNumSgprs: 0
; NumVgprs: 0
; ScratchSize: 0
; MemoryBound: 0
; FloatMode: 240
; IeeeMode: 1
; LDSByteSize: 0 bytes/workgroup (compile time only)
; SGPRBlocks: 0
; VGPRBlocks: 0
; NumSGPRsForWavesPerEU: 1
; NumVGPRsForWavesPerEU: 1
; NamedBarCnt: 0
; Occupancy: 16
; WaveLimiterHint : 0
; COMPUTE_PGM_RSRC2:SCRATCH_EN: 0
; COMPUTE_PGM_RSRC2:USER_SGPR: 2
; COMPUTE_PGM_RSRC2:TRAP_HANDLER: 0
; COMPUTE_PGM_RSRC2:TGID_X_EN: 1
; COMPUTE_PGM_RSRC2:TGID_Y_EN: 0
; COMPUTE_PGM_RSRC2:TGID_Z_EN: 0
; COMPUTE_PGM_RSRC2:TIDIG_COMP_CNT: 0
	.section	.text._ZN7rocprim17ROCPRIM_400000_NS6detail17trampoline_kernelINS0_14default_configENS1_36segmented_radix_sort_config_selectorIblEEZNS1_25segmented_radix_sort_implIS3_Lb0EPKbPbPKlPlN2at6native12_GLOBAL__N_18offset_tEEE10hipError_tPvRmT1_PNSt15iterator_traitsISK_E10value_typeET2_T3_PNSL_ISQ_E10value_typeET4_jRbjT5_SW_jjP12ihipStream_tbEUlT_E1_NS1_11comp_targetILNS1_3genE3ELNS1_11target_archE908ELNS1_3gpuE7ELNS1_3repE0EEENS1_59segmented_radix_sort_warp_sort_small_config_static_selectorELNS0_4arch9wavefront6targetE0EEEvSK_,"axG",@progbits,_ZN7rocprim17ROCPRIM_400000_NS6detail17trampoline_kernelINS0_14default_configENS1_36segmented_radix_sort_config_selectorIblEEZNS1_25segmented_radix_sort_implIS3_Lb0EPKbPbPKlPlN2at6native12_GLOBAL__N_18offset_tEEE10hipError_tPvRmT1_PNSt15iterator_traitsISK_E10value_typeET2_T3_PNSL_ISQ_E10value_typeET4_jRbjT5_SW_jjP12ihipStream_tbEUlT_E1_NS1_11comp_targetILNS1_3genE3ELNS1_11target_archE908ELNS1_3gpuE7ELNS1_3repE0EEENS1_59segmented_radix_sort_warp_sort_small_config_static_selectorELNS0_4arch9wavefront6targetE0EEEvSK_,comdat
	.globl	_ZN7rocprim17ROCPRIM_400000_NS6detail17trampoline_kernelINS0_14default_configENS1_36segmented_radix_sort_config_selectorIblEEZNS1_25segmented_radix_sort_implIS3_Lb0EPKbPbPKlPlN2at6native12_GLOBAL__N_18offset_tEEE10hipError_tPvRmT1_PNSt15iterator_traitsISK_E10value_typeET2_T3_PNSL_ISQ_E10value_typeET4_jRbjT5_SW_jjP12ihipStream_tbEUlT_E1_NS1_11comp_targetILNS1_3genE3ELNS1_11target_archE908ELNS1_3gpuE7ELNS1_3repE0EEENS1_59segmented_radix_sort_warp_sort_small_config_static_selectorELNS0_4arch9wavefront6targetE0EEEvSK_ ; -- Begin function _ZN7rocprim17ROCPRIM_400000_NS6detail17trampoline_kernelINS0_14default_configENS1_36segmented_radix_sort_config_selectorIblEEZNS1_25segmented_radix_sort_implIS3_Lb0EPKbPbPKlPlN2at6native12_GLOBAL__N_18offset_tEEE10hipError_tPvRmT1_PNSt15iterator_traitsISK_E10value_typeET2_T3_PNSL_ISQ_E10value_typeET4_jRbjT5_SW_jjP12ihipStream_tbEUlT_E1_NS1_11comp_targetILNS1_3genE3ELNS1_11target_archE908ELNS1_3gpuE7ELNS1_3repE0EEENS1_59segmented_radix_sort_warp_sort_small_config_static_selectorELNS0_4arch9wavefront6targetE0EEEvSK_
	.p2align	8
	.type	_ZN7rocprim17ROCPRIM_400000_NS6detail17trampoline_kernelINS0_14default_configENS1_36segmented_radix_sort_config_selectorIblEEZNS1_25segmented_radix_sort_implIS3_Lb0EPKbPbPKlPlN2at6native12_GLOBAL__N_18offset_tEEE10hipError_tPvRmT1_PNSt15iterator_traitsISK_E10value_typeET2_T3_PNSL_ISQ_E10value_typeET4_jRbjT5_SW_jjP12ihipStream_tbEUlT_E1_NS1_11comp_targetILNS1_3genE3ELNS1_11target_archE908ELNS1_3gpuE7ELNS1_3repE0EEENS1_59segmented_radix_sort_warp_sort_small_config_static_selectorELNS0_4arch9wavefront6targetE0EEEvSK_,@function
_ZN7rocprim17ROCPRIM_400000_NS6detail17trampoline_kernelINS0_14default_configENS1_36segmented_radix_sort_config_selectorIblEEZNS1_25segmented_radix_sort_implIS3_Lb0EPKbPbPKlPlN2at6native12_GLOBAL__N_18offset_tEEE10hipError_tPvRmT1_PNSt15iterator_traitsISK_E10value_typeET2_T3_PNSL_ISQ_E10value_typeET4_jRbjT5_SW_jjP12ihipStream_tbEUlT_E1_NS1_11comp_targetILNS1_3genE3ELNS1_11target_archE908ELNS1_3gpuE7ELNS1_3repE0EEENS1_59segmented_radix_sort_warp_sort_small_config_static_selectorELNS0_4arch9wavefront6targetE0EEEvSK_: ; @_ZN7rocprim17ROCPRIM_400000_NS6detail17trampoline_kernelINS0_14default_configENS1_36segmented_radix_sort_config_selectorIblEEZNS1_25segmented_radix_sort_implIS3_Lb0EPKbPbPKlPlN2at6native12_GLOBAL__N_18offset_tEEE10hipError_tPvRmT1_PNSt15iterator_traitsISK_E10value_typeET2_T3_PNSL_ISQ_E10value_typeET4_jRbjT5_SW_jjP12ihipStream_tbEUlT_E1_NS1_11comp_targetILNS1_3genE3ELNS1_11target_archE908ELNS1_3gpuE7ELNS1_3repE0EEENS1_59segmented_radix_sort_warp_sort_small_config_static_selectorELNS0_4arch9wavefront6targetE0EEEvSK_
; %bb.0:
	.section	.rodata,"a",@progbits
	.p2align	6, 0x0
	.amdhsa_kernel _ZN7rocprim17ROCPRIM_400000_NS6detail17trampoline_kernelINS0_14default_configENS1_36segmented_radix_sort_config_selectorIblEEZNS1_25segmented_radix_sort_implIS3_Lb0EPKbPbPKlPlN2at6native12_GLOBAL__N_18offset_tEEE10hipError_tPvRmT1_PNSt15iterator_traitsISK_E10value_typeET2_T3_PNSL_ISQ_E10value_typeET4_jRbjT5_SW_jjP12ihipStream_tbEUlT_E1_NS1_11comp_targetILNS1_3genE3ELNS1_11target_archE908ELNS1_3gpuE7ELNS1_3repE0EEENS1_59segmented_radix_sort_warp_sort_small_config_static_selectorELNS0_4arch9wavefront6targetE0EEEvSK_
		.amdhsa_group_segment_fixed_size 0
		.amdhsa_private_segment_fixed_size 0
		.amdhsa_kernarg_size 88
		.amdhsa_user_sgpr_count 2
		.amdhsa_user_sgpr_dispatch_ptr 0
		.amdhsa_user_sgpr_queue_ptr 0
		.amdhsa_user_sgpr_kernarg_segment_ptr 1
		.amdhsa_user_sgpr_dispatch_id 0
		.amdhsa_user_sgpr_kernarg_preload_length 0
		.amdhsa_user_sgpr_kernarg_preload_offset 0
		.amdhsa_user_sgpr_private_segment_size 0
		.amdhsa_wavefront_size32 1
		.amdhsa_uses_dynamic_stack 0
		.amdhsa_enable_private_segment 0
		.amdhsa_system_sgpr_workgroup_id_x 1
		.amdhsa_system_sgpr_workgroup_id_y 0
		.amdhsa_system_sgpr_workgroup_id_z 0
		.amdhsa_system_sgpr_workgroup_info 0
		.amdhsa_system_vgpr_workitem_id 0
		.amdhsa_next_free_vgpr 1
		.amdhsa_next_free_sgpr 1
		.amdhsa_named_barrier_count 0
		.amdhsa_reserve_vcc 0
		.amdhsa_float_round_mode_32 0
		.amdhsa_float_round_mode_16_64 0
		.amdhsa_float_denorm_mode_32 3
		.amdhsa_float_denorm_mode_16_64 3
		.amdhsa_fp16_overflow 0
		.amdhsa_memory_ordered 1
		.amdhsa_forward_progress 1
		.amdhsa_inst_pref_size 0
		.amdhsa_round_robin_scheduling 0
		.amdhsa_exception_fp_ieee_invalid_op 0
		.amdhsa_exception_fp_denorm_src 0
		.amdhsa_exception_fp_ieee_div_zero 0
		.amdhsa_exception_fp_ieee_overflow 0
		.amdhsa_exception_fp_ieee_underflow 0
		.amdhsa_exception_fp_ieee_inexact 0
		.amdhsa_exception_int_div_zero 0
	.end_amdhsa_kernel
	.section	.text._ZN7rocprim17ROCPRIM_400000_NS6detail17trampoline_kernelINS0_14default_configENS1_36segmented_radix_sort_config_selectorIblEEZNS1_25segmented_radix_sort_implIS3_Lb0EPKbPbPKlPlN2at6native12_GLOBAL__N_18offset_tEEE10hipError_tPvRmT1_PNSt15iterator_traitsISK_E10value_typeET2_T3_PNSL_ISQ_E10value_typeET4_jRbjT5_SW_jjP12ihipStream_tbEUlT_E1_NS1_11comp_targetILNS1_3genE3ELNS1_11target_archE908ELNS1_3gpuE7ELNS1_3repE0EEENS1_59segmented_radix_sort_warp_sort_small_config_static_selectorELNS0_4arch9wavefront6targetE0EEEvSK_,"axG",@progbits,_ZN7rocprim17ROCPRIM_400000_NS6detail17trampoline_kernelINS0_14default_configENS1_36segmented_radix_sort_config_selectorIblEEZNS1_25segmented_radix_sort_implIS3_Lb0EPKbPbPKlPlN2at6native12_GLOBAL__N_18offset_tEEE10hipError_tPvRmT1_PNSt15iterator_traitsISK_E10value_typeET2_T3_PNSL_ISQ_E10value_typeET4_jRbjT5_SW_jjP12ihipStream_tbEUlT_E1_NS1_11comp_targetILNS1_3genE3ELNS1_11target_archE908ELNS1_3gpuE7ELNS1_3repE0EEENS1_59segmented_radix_sort_warp_sort_small_config_static_selectorELNS0_4arch9wavefront6targetE0EEEvSK_,comdat
.Lfunc_end1649:
	.size	_ZN7rocprim17ROCPRIM_400000_NS6detail17trampoline_kernelINS0_14default_configENS1_36segmented_radix_sort_config_selectorIblEEZNS1_25segmented_radix_sort_implIS3_Lb0EPKbPbPKlPlN2at6native12_GLOBAL__N_18offset_tEEE10hipError_tPvRmT1_PNSt15iterator_traitsISK_E10value_typeET2_T3_PNSL_ISQ_E10value_typeET4_jRbjT5_SW_jjP12ihipStream_tbEUlT_E1_NS1_11comp_targetILNS1_3genE3ELNS1_11target_archE908ELNS1_3gpuE7ELNS1_3repE0EEENS1_59segmented_radix_sort_warp_sort_small_config_static_selectorELNS0_4arch9wavefront6targetE0EEEvSK_, .Lfunc_end1649-_ZN7rocprim17ROCPRIM_400000_NS6detail17trampoline_kernelINS0_14default_configENS1_36segmented_radix_sort_config_selectorIblEEZNS1_25segmented_radix_sort_implIS3_Lb0EPKbPbPKlPlN2at6native12_GLOBAL__N_18offset_tEEE10hipError_tPvRmT1_PNSt15iterator_traitsISK_E10value_typeET2_T3_PNSL_ISQ_E10value_typeET4_jRbjT5_SW_jjP12ihipStream_tbEUlT_E1_NS1_11comp_targetILNS1_3genE3ELNS1_11target_archE908ELNS1_3gpuE7ELNS1_3repE0EEENS1_59segmented_radix_sort_warp_sort_small_config_static_selectorELNS0_4arch9wavefront6targetE0EEEvSK_
                                        ; -- End function
	.set _ZN7rocprim17ROCPRIM_400000_NS6detail17trampoline_kernelINS0_14default_configENS1_36segmented_radix_sort_config_selectorIblEEZNS1_25segmented_radix_sort_implIS3_Lb0EPKbPbPKlPlN2at6native12_GLOBAL__N_18offset_tEEE10hipError_tPvRmT1_PNSt15iterator_traitsISK_E10value_typeET2_T3_PNSL_ISQ_E10value_typeET4_jRbjT5_SW_jjP12ihipStream_tbEUlT_E1_NS1_11comp_targetILNS1_3genE3ELNS1_11target_archE908ELNS1_3gpuE7ELNS1_3repE0EEENS1_59segmented_radix_sort_warp_sort_small_config_static_selectorELNS0_4arch9wavefront6targetE0EEEvSK_.num_vgpr, 0
	.set _ZN7rocprim17ROCPRIM_400000_NS6detail17trampoline_kernelINS0_14default_configENS1_36segmented_radix_sort_config_selectorIblEEZNS1_25segmented_radix_sort_implIS3_Lb0EPKbPbPKlPlN2at6native12_GLOBAL__N_18offset_tEEE10hipError_tPvRmT1_PNSt15iterator_traitsISK_E10value_typeET2_T3_PNSL_ISQ_E10value_typeET4_jRbjT5_SW_jjP12ihipStream_tbEUlT_E1_NS1_11comp_targetILNS1_3genE3ELNS1_11target_archE908ELNS1_3gpuE7ELNS1_3repE0EEENS1_59segmented_radix_sort_warp_sort_small_config_static_selectorELNS0_4arch9wavefront6targetE0EEEvSK_.num_agpr, 0
	.set _ZN7rocprim17ROCPRIM_400000_NS6detail17trampoline_kernelINS0_14default_configENS1_36segmented_radix_sort_config_selectorIblEEZNS1_25segmented_radix_sort_implIS3_Lb0EPKbPbPKlPlN2at6native12_GLOBAL__N_18offset_tEEE10hipError_tPvRmT1_PNSt15iterator_traitsISK_E10value_typeET2_T3_PNSL_ISQ_E10value_typeET4_jRbjT5_SW_jjP12ihipStream_tbEUlT_E1_NS1_11comp_targetILNS1_3genE3ELNS1_11target_archE908ELNS1_3gpuE7ELNS1_3repE0EEENS1_59segmented_radix_sort_warp_sort_small_config_static_selectorELNS0_4arch9wavefront6targetE0EEEvSK_.numbered_sgpr, 0
	.set _ZN7rocprim17ROCPRIM_400000_NS6detail17trampoline_kernelINS0_14default_configENS1_36segmented_radix_sort_config_selectorIblEEZNS1_25segmented_radix_sort_implIS3_Lb0EPKbPbPKlPlN2at6native12_GLOBAL__N_18offset_tEEE10hipError_tPvRmT1_PNSt15iterator_traitsISK_E10value_typeET2_T3_PNSL_ISQ_E10value_typeET4_jRbjT5_SW_jjP12ihipStream_tbEUlT_E1_NS1_11comp_targetILNS1_3genE3ELNS1_11target_archE908ELNS1_3gpuE7ELNS1_3repE0EEENS1_59segmented_radix_sort_warp_sort_small_config_static_selectorELNS0_4arch9wavefront6targetE0EEEvSK_.num_named_barrier, 0
	.set _ZN7rocprim17ROCPRIM_400000_NS6detail17trampoline_kernelINS0_14default_configENS1_36segmented_radix_sort_config_selectorIblEEZNS1_25segmented_radix_sort_implIS3_Lb0EPKbPbPKlPlN2at6native12_GLOBAL__N_18offset_tEEE10hipError_tPvRmT1_PNSt15iterator_traitsISK_E10value_typeET2_T3_PNSL_ISQ_E10value_typeET4_jRbjT5_SW_jjP12ihipStream_tbEUlT_E1_NS1_11comp_targetILNS1_3genE3ELNS1_11target_archE908ELNS1_3gpuE7ELNS1_3repE0EEENS1_59segmented_radix_sort_warp_sort_small_config_static_selectorELNS0_4arch9wavefront6targetE0EEEvSK_.private_seg_size, 0
	.set _ZN7rocprim17ROCPRIM_400000_NS6detail17trampoline_kernelINS0_14default_configENS1_36segmented_radix_sort_config_selectorIblEEZNS1_25segmented_radix_sort_implIS3_Lb0EPKbPbPKlPlN2at6native12_GLOBAL__N_18offset_tEEE10hipError_tPvRmT1_PNSt15iterator_traitsISK_E10value_typeET2_T3_PNSL_ISQ_E10value_typeET4_jRbjT5_SW_jjP12ihipStream_tbEUlT_E1_NS1_11comp_targetILNS1_3genE3ELNS1_11target_archE908ELNS1_3gpuE7ELNS1_3repE0EEENS1_59segmented_radix_sort_warp_sort_small_config_static_selectorELNS0_4arch9wavefront6targetE0EEEvSK_.uses_vcc, 0
	.set _ZN7rocprim17ROCPRIM_400000_NS6detail17trampoline_kernelINS0_14default_configENS1_36segmented_radix_sort_config_selectorIblEEZNS1_25segmented_radix_sort_implIS3_Lb0EPKbPbPKlPlN2at6native12_GLOBAL__N_18offset_tEEE10hipError_tPvRmT1_PNSt15iterator_traitsISK_E10value_typeET2_T3_PNSL_ISQ_E10value_typeET4_jRbjT5_SW_jjP12ihipStream_tbEUlT_E1_NS1_11comp_targetILNS1_3genE3ELNS1_11target_archE908ELNS1_3gpuE7ELNS1_3repE0EEENS1_59segmented_radix_sort_warp_sort_small_config_static_selectorELNS0_4arch9wavefront6targetE0EEEvSK_.uses_flat_scratch, 0
	.set _ZN7rocprim17ROCPRIM_400000_NS6detail17trampoline_kernelINS0_14default_configENS1_36segmented_radix_sort_config_selectorIblEEZNS1_25segmented_radix_sort_implIS3_Lb0EPKbPbPKlPlN2at6native12_GLOBAL__N_18offset_tEEE10hipError_tPvRmT1_PNSt15iterator_traitsISK_E10value_typeET2_T3_PNSL_ISQ_E10value_typeET4_jRbjT5_SW_jjP12ihipStream_tbEUlT_E1_NS1_11comp_targetILNS1_3genE3ELNS1_11target_archE908ELNS1_3gpuE7ELNS1_3repE0EEENS1_59segmented_radix_sort_warp_sort_small_config_static_selectorELNS0_4arch9wavefront6targetE0EEEvSK_.has_dyn_sized_stack, 0
	.set _ZN7rocprim17ROCPRIM_400000_NS6detail17trampoline_kernelINS0_14default_configENS1_36segmented_radix_sort_config_selectorIblEEZNS1_25segmented_radix_sort_implIS3_Lb0EPKbPbPKlPlN2at6native12_GLOBAL__N_18offset_tEEE10hipError_tPvRmT1_PNSt15iterator_traitsISK_E10value_typeET2_T3_PNSL_ISQ_E10value_typeET4_jRbjT5_SW_jjP12ihipStream_tbEUlT_E1_NS1_11comp_targetILNS1_3genE3ELNS1_11target_archE908ELNS1_3gpuE7ELNS1_3repE0EEENS1_59segmented_radix_sort_warp_sort_small_config_static_selectorELNS0_4arch9wavefront6targetE0EEEvSK_.has_recursion, 0
	.set _ZN7rocprim17ROCPRIM_400000_NS6detail17trampoline_kernelINS0_14default_configENS1_36segmented_radix_sort_config_selectorIblEEZNS1_25segmented_radix_sort_implIS3_Lb0EPKbPbPKlPlN2at6native12_GLOBAL__N_18offset_tEEE10hipError_tPvRmT1_PNSt15iterator_traitsISK_E10value_typeET2_T3_PNSL_ISQ_E10value_typeET4_jRbjT5_SW_jjP12ihipStream_tbEUlT_E1_NS1_11comp_targetILNS1_3genE3ELNS1_11target_archE908ELNS1_3gpuE7ELNS1_3repE0EEENS1_59segmented_radix_sort_warp_sort_small_config_static_selectorELNS0_4arch9wavefront6targetE0EEEvSK_.has_indirect_call, 0
	.section	.AMDGPU.csdata,"",@progbits
; Kernel info:
; codeLenInByte = 0
; TotalNumSgprs: 0
; NumVgprs: 0
; ScratchSize: 0
; MemoryBound: 0
; FloatMode: 240
; IeeeMode: 1
; LDSByteSize: 0 bytes/workgroup (compile time only)
; SGPRBlocks: 0
; VGPRBlocks: 0
; NumSGPRsForWavesPerEU: 1
; NumVGPRsForWavesPerEU: 1
; NamedBarCnt: 0
; Occupancy: 16
; WaveLimiterHint : 0
; COMPUTE_PGM_RSRC2:SCRATCH_EN: 0
; COMPUTE_PGM_RSRC2:USER_SGPR: 2
; COMPUTE_PGM_RSRC2:TRAP_HANDLER: 0
; COMPUTE_PGM_RSRC2:TGID_X_EN: 1
; COMPUTE_PGM_RSRC2:TGID_Y_EN: 0
; COMPUTE_PGM_RSRC2:TGID_Z_EN: 0
; COMPUTE_PGM_RSRC2:TIDIG_COMP_CNT: 0
	.section	.text._ZN7rocprim17ROCPRIM_400000_NS6detail17trampoline_kernelINS0_14default_configENS1_36segmented_radix_sort_config_selectorIblEEZNS1_25segmented_radix_sort_implIS3_Lb0EPKbPbPKlPlN2at6native12_GLOBAL__N_18offset_tEEE10hipError_tPvRmT1_PNSt15iterator_traitsISK_E10value_typeET2_T3_PNSL_ISQ_E10value_typeET4_jRbjT5_SW_jjP12ihipStream_tbEUlT_E1_NS1_11comp_targetILNS1_3genE2ELNS1_11target_archE906ELNS1_3gpuE6ELNS1_3repE0EEENS1_59segmented_radix_sort_warp_sort_small_config_static_selectorELNS0_4arch9wavefront6targetE0EEEvSK_,"axG",@progbits,_ZN7rocprim17ROCPRIM_400000_NS6detail17trampoline_kernelINS0_14default_configENS1_36segmented_radix_sort_config_selectorIblEEZNS1_25segmented_radix_sort_implIS3_Lb0EPKbPbPKlPlN2at6native12_GLOBAL__N_18offset_tEEE10hipError_tPvRmT1_PNSt15iterator_traitsISK_E10value_typeET2_T3_PNSL_ISQ_E10value_typeET4_jRbjT5_SW_jjP12ihipStream_tbEUlT_E1_NS1_11comp_targetILNS1_3genE2ELNS1_11target_archE906ELNS1_3gpuE6ELNS1_3repE0EEENS1_59segmented_radix_sort_warp_sort_small_config_static_selectorELNS0_4arch9wavefront6targetE0EEEvSK_,comdat
	.globl	_ZN7rocprim17ROCPRIM_400000_NS6detail17trampoline_kernelINS0_14default_configENS1_36segmented_radix_sort_config_selectorIblEEZNS1_25segmented_radix_sort_implIS3_Lb0EPKbPbPKlPlN2at6native12_GLOBAL__N_18offset_tEEE10hipError_tPvRmT1_PNSt15iterator_traitsISK_E10value_typeET2_T3_PNSL_ISQ_E10value_typeET4_jRbjT5_SW_jjP12ihipStream_tbEUlT_E1_NS1_11comp_targetILNS1_3genE2ELNS1_11target_archE906ELNS1_3gpuE6ELNS1_3repE0EEENS1_59segmented_radix_sort_warp_sort_small_config_static_selectorELNS0_4arch9wavefront6targetE0EEEvSK_ ; -- Begin function _ZN7rocprim17ROCPRIM_400000_NS6detail17trampoline_kernelINS0_14default_configENS1_36segmented_radix_sort_config_selectorIblEEZNS1_25segmented_radix_sort_implIS3_Lb0EPKbPbPKlPlN2at6native12_GLOBAL__N_18offset_tEEE10hipError_tPvRmT1_PNSt15iterator_traitsISK_E10value_typeET2_T3_PNSL_ISQ_E10value_typeET4_jRbjT5_SW_jjP12ihipStream_tbEUlT_E1_NS1_11comp_targetILNS1_3genE2ELNS1_11target_archE906ELNS1_3gpuE6ELNS1_3repE0EEENS1_59segmented_radix_sort_warp_sort_small_config_static_selectorELNS0_4arch9wavefront6targetE0EEEvSK_
	.p2align	8
	.type	_ZN7rocprim17ROCPRIM_400000_NS6detail17trampoline_kernelINS0_14default_configENS1_36segmented_radix_sort_config_selectorIblEEZNS1_25segmented_radix_sort_implIS3_Lb0EPKbPbPKlPlN2at6native12_GLOBAL__N_18offset_tEEE10hipError_tPvRmT1_PNSt15iterator_traitsISK_E10value_typeET2_T3_PNSL_ISQ_E10value_typeET4_jRbjT5_SW_jjP12ihipStream_tbEUlT_E1_NS1_11comp_targetILNS1_3genE2ELNS1_11target_archE906ELNS1_3gpuE6ELNS1_3repE0EEENS1_59segmented_radix_sort_warp_sort_small_config_static_selectorELNS0_4arch9wavefront6targetE0EEEvSK_,@function
_ZN7rocprim17ROCPRIM_400000_NS6detail17trampoline_kernelINS0_14default_configENS1_36segmented_radix_sort_config_selectorIblEEZNS1_25segmented_radix_sort_implIS3_Lb0EPKbPbPKlPlN2at6native12_GLOBAL__N_18offset_tEEE10hipError_tPvRmT1_PNSt15iterator_traitsISK_E10value_typeET2_T3_PNSL_ISQ_E10value_typeET4_jRbjT5_SW_jjP12ihipStream_tbEUlT_E1_NS1_11comp_targetILNS1_3genE2ELNS1_11target_archE906ELNS1_3gpuE6ELNS1_3repE0EEENS1_59segmented_radix_sort_warp_sort_small_config_static_selectorELNS0_4arch9wavefront6targetE0EEEvSK_: ; @_ZN7rocprim17ROCPRIM_400000_NS6detail17trampoline_kernelINS0_14default_configENS1_36segmented_radix_sort_config_selectorIblEEZNS1_25segmented_radix_sort_implIS3_Lb0EPKbPbPKlPlN2at6native12_GLOBAL__N_18offset_tEEE10hipError_tPvRmT1_PNSt15iterator_traitsISK_E10value_typeET2_T3_PNSL_ISQ_E10value_typeET4_jRbjT5_SW_jjP12ihipStream_tbEUlT_E1_NS1_11comp_targetILNS1_3genE2ELNS1_11target_archE906ELNS1_3gpuE6ELNS1_3repE0EEENS1_59segmented_radix_sort_warp_sort_small_config_static_selectorELNS0_4arch9wavefront6targetE0EEEvSK_
; %bb.0:
	.section	.rodata,"a",@progbits
	.p2align	6, 0x0
	.amdhsa_kernel _ZN7rocprim17ROCPRIM_400000_NS6detail17trampoline_kernelINS0_14default_configENS1_36segmented_radix_sort_config_selectorIblEEZNS1_25segmented_radix_sort_implIS3_Lb0EPKbPbPKlPlN2at6native12_GLOBAL__N_18offset_tEEE10hipError_tPvRmT1_PNSt15iterator_traitsISK_E10value_typeET2_T3_PNSL_ISQ_E10value_typeET4_jRbjT5_SW_jjP12ihipStream_tbEUlT_E1_NS1_11comp_targetILNS1_3genE2ELNS1_11target_archE906ELNS1_3gpuE6ELNS1_3repE0EEENS1_59segmented_radix_sort_warp_sort_small_config_static_selectorELNS0_4arch9wavefront6targetE0EEEvSK_
		.amdhsa_group_segment_fixed_size 0
		.amdhsa_private_segment_fixed_size 0
		.amdhsa_kernarg_size 88
		.amdhsa_user_sgpr_count 2
		.amdhsa_user_sgpr_dispatch_ptr 0
		.amdhsa_user_sgpr_queue_ptr 0
		.amdhsa_user_sgpr_kernarg_segment_ptr 1
		.amdhsa_user_sgpr_dispatch_id 0
		.amdhsa_user_sgpr_kernarg_preload_length 0
		.amdhsa_user_sgpr_kernarg_preload_offset 0
		.amdhsa_user_sgpr_private_segment_size 0
		.amdhsa_wavefront_size32 1
		.amdhsa_uses_dynamic_stack 0
		.amdhsa_enable_private_segment 0
		.amdhsa_system_sgpr_workgroup_id_x 1
		.amdhsa_system_sgpr_workgroup_id_y 0
		.amdhsa_system_sgpr_workgroup_id_z 0
		.amdhsa_system_sgpr_workgroup_info 0
		.amdhsa_system_vgpr_workitem_id 0
		.amdhsa_next_free_vgpr 1
		.amdhsa_next_free_sgpr 1
		.amdhsa_named_barrier_count 0
		.amdhsa_reserve_vcc 0
		.amdhsa_float_round_mode_32 0
		.amdhsa_float_round_mode_16_64 0
		.amdhsa_float_denorm_mode_32 3
		.amdhsa_float_denorm_mode_16_64 3
		.amdhsa_fp16_overflow 0
		.amdhsa_memory_ordered 1
		.amdhsa_forward_progress 1
		.amdhsa_inst_pref_size 0
		.amdhsa_round_robin_scheduling 0
		.amdhsa_exception_fp_ieee_invalid_op 0
		.amdhsa_exception_fp_denorm_src 0
		.amdhsa_exception_fp_ieee_div_zero 0
		.amdhsa_exception_fp_ieee_overflow 0
		.amdhsa_exception_fp_ieee_underflow 0
		.amdhsa_exception_fp_ieee_inexact 0
		.amdhsa_exception_int_div_zero 0
	.end_amdhsa_kernel
	.section	.text._ZN7rocprim17ROCPRIM_400000_NS6detail17trampoline_kernelINS0_14default_configENS1_36segmented_radix_sort_config_selectorIblEEZNS1_25segmented_radix_sort_implIS3_Lb0EPKbPbPKlPlN2at6native12_GLOBAL__N_18offset_tEEE10hipError_tPvRmT1_PNSt15iterator_traitsISK_E10value_typeET2_T3_PNSL_ISQ_E10value_typeET4_jRbjT5_SW_jjP12ihipStream_tbEUlT_E1_NS1_11comp_targetILNS1_3genE2ELNS1_11target_archE906ELNS1_3gpuE6ELNS1_3repE0EEENS1_59segmented_radix_sort_warp_sort_small_config_static_selectorELNS0_4arch9wavefront6targetE0EEEvSK_,"axG",@progbits,_ZN7rocprim17ROCPRIM_400000_NS6detail17trampoline_kernelINS0_14default_configENS1_36segmented_radix_sort_config_selectorIblEEZNS1_25segmented_radix_sort_implIS3_Lb0EPKbPbPKlPlN2at6native12_GLOBAL__N_18offset_tEEE10hipError_tPvRmT1_PNSt15iterator_traitsISK_E10value_typeET2_T3_PNSL_ISQ_E10value_typeET4_jRbjT5_SW_jjP12ihipStream_tbEUlT_E1_NS1_11comp_targetILNS1_3genE2ELNS1_11target_archE906ELNS1_3gpuE6ELNS1_3repE0EEENS1_59segmented_radix_sort_warp_sort_small_config_static_selectorELNS0_4arch9wavefront6targetE0EEEvSK_,comdat
.Lfunc_end1650:
	.size	_ZN7rocprim17ROCPRIM_400000_NS6detail17trampoline_kernelINS0_14default_configENS1_36segmented_radix_sort_config_selectorIblEEZNS1_25segmented_radix_sort_implIS3_Lb0EPKbPbPKlPlN2at6native12_GLOBAL__N_18offset_tEEE10hipError_tPvRmT1_PNSt15iterator_traitsISK_E10value_typeET2_T3_PNSL_ISQ_E10value_typeET4_jRbjT5_SW_jjP12ihipStream_tbEUlT_E1_NS1_11comp_targetILNS1_3genE2ELNS1_11target_archE906ELNS1_3gpuE6ELNS1_3repE0EEENS1_59segmented_radix_sort_warp_sort_small_config_static_selectorELNS0_4arch9wavefront6targetE0EEEvSK_, .Lfunc_end1650-_ZN7rocprim17ROCPRIM_400000_NS6detail17trampoline_kernelINS0_14default_configENS1_36segmented_radix_sort_config_selectorIblEEZNS1_25segmented_radix_sort_implIS3_Lb0EPKbPbPKlPlN2at6native12_GLOBAL__N_18offset_tEEE10hipError_tPvRmT1_PNSt15iterator_traitsISK_E10value_typeET2_T3_PNSL_ISQ_E10value_typeET4_jRbjT5_SW_jjP12ihipStream_tbEUlT_E1_NS1_11comp_targetILNS1_3genE2ELNS1_11target_archE906ELNS1_3gpuE6ELNS1_3repE0EEENS1_59segmented_radix_sort_warp_sort_small_config_static_selectorELNS0_4arch9wavefront6targetE0EEEvSK_
                                        ; -- End function
	.set _ZN7rocprim17ROCPRIM_400000_NS6detail17trampoline_kernelINS0_14default_configENS1_36segmented_radix_sort_config_selectorIblEEZNS1_25segmented_radix_sort_implIS3_Lb0EPKbPbPKlPlN2at6native12_GLOBAL__N_18offset_tEEE10hipError_tPvRmT1_PNSt15iterator_traitsISK_E10value_typeET2_T3_PNSL_ISQ_E10value_typeET4_jRbjT5_SW_jjP12ihipStream_tbEUlT_E1_NS1_11comp_targetILNS1_3genE2ELNS1_11target_archE906ELNS1_3gpuE6ELNS1_3repE0EEENS1_59segmented_radix_sort_warp_sort_small_config_static_selectorELNS0_4arch9wavefront6targetE0EEEvSK_.num_vgpr, 0
	.set _ZN7rocprim17ROCPRIM_400000_NS6detail17trampoline_kernelINS0_14default_configENS1_36segmented_radix_sort_config_selectorIblEEZNS1_25segmented_radix_sort_implIS3_Lb0EPKbPbPKlPlN2at6native12_GLOBAL__N_18offset_tEEE10hipError_tPvRmT1_PNSt15iterator_traitsISK_E10value_typeET2_T3_PNSL_ISQ_E10value_typeET4_jRbjT5_SW_jjP12ihipStream_tbEUlT_E1_NS1_11comp_targetILNS1_3genE2ELNS1_11target_archE906ELNS1_3gpuE6ELNS1_3repE0EEENS1_59segmented_radix_sort_warp_sort_small_config_static_selectorELNS0_4arch9wavefront6targetE0EEEvSK_.num_agpr, 0
	.set _ZN7rocprim17ROCPRIM_400000_NS6detail17trampoline_kernelINS0_14default_configENS1_36segmented_radix_sort_config_selectorIblEEZNS1_25segmented_radix_sort_implIS3_Lb0EPKbPbPKlPlN2at6native12_GLOBAL__N_18offset_tEEE10hipError_tPvRmT1_PNSt15iterator_traitsISK_E10value_typeET2_T3_PNSL_ISQ_E10value_typeET4_jRbjT5_SW_jjP12ihipStream_tbEUlT_E1_NS1_11comp_targetILNS1_3genE2ELNS1_11target_archE906ELNS1_3gpuE6ELNS1_3repE0EEENS1_59segmented_radix_sort_warp_sort_small_config_static_selectorELNS0_4arch9wavefront6targetE0EEEvSK_.numbered_sgpr, 0
	.set _ZN7rocprim17ROCPRIM_400000_NS6detail17trampoline_kernelINS0_14default_configENS1_36segmented_radix_sort_config_selectorIblEEZNS1_25segmented_radix_sort_implIS3_Lb0EPKbPbPKlPlN2at6native12_GLOBAL__N_18offset_tEEE10hipError_tPvRmT1_PNSt15iterator_traitsISK_E10value_typeET2_T3_PNSL_ISQ_E10value_typeET4_jRbjT5_SW_jjP12ihipStream_tbEUlT_E1_NS1_11comp_targetILNS1_3genE2ELNS1_11target_archE906ELNS1_3gpuE6ELNS1_3repE0EEENS1_59segmented_radix_sort_warp_sort_small_config_static_selectorELNS0_4arch9wavefront6targetE0EEEvSK_.num_named_barrier, 0
	.set _ZN7rocprim17ROCPRIM_400000_NS6detail17trampoline_kernelINS0_14default_configENS1_36segmented_radix_sort_config_selectorIblEEZNS1_25segmented_radix_sort_implIS3_Lb0EPKbPbPKlPlN2at6native12_GLOBAL__N_18offset_tEEE10hipError_tPvRmT1_PNSt15iterator_traitsISK_E10value_typeET2_T3_PNSL_ISQ_E10value_typeET4_jRbjT5_SW_jjP12ihipStream_tbEUlT_E1_NS1_11comp_targetILNS1_3genE2ELNS1_11target_archE906ELNS1_3gpuE6ELNS1_3repE0EEENS1_59segmented_radix_sort_warp_sort_small_config_static_selectorELNS0_4arch9wavefront6targetE0EEEvSK_.private_seg_size, 0
	.set _ZN7rocprim17ROCPRIM_400000_NS6detail17trampoline_kernelINS0_14default_configENS1_36segmented_radix_sort_config_selectorIblEEZNS1_25segmented_radix_sort_implIS3_Lb0EPKbPbPKlPlN2at6native12_GLOBAL__N_18offset_tEEE10hipError_tPvRmT1_PNSt15iterator_traitsISK_E10value_typeET2_T3_PNSL_ISQ_E10value_typeET4_jRbjT5_SW_jjP12ihipStream_tbEUlT_E1_NS1_11comp_targetILNS1_3genE2ELNS1_11target_archE906ELNS1_3gpuE6ELNS1_3repE0EEENS1_59segmented_radix_sort_warp_sort_small_config_static_selectorELNS0_4arch9wavefront6targetE0EEEvSK_.uses_vcc, 0
	.set _ZN7rocprim17ROCPRIM_400000_NS6detail17trampoline_kernelINS0_14default_configENS1_36segmented_radix_sort_config_selectorIblEEZNS1_25segmented_radix_sort_implIS3_Lb0EPKbPbPKlPlN2at6native12_GLOBAL__N_18offset_tEEE10hipError_tPvRmT1_PNSt15iterator_traitsISK_E10value_typeET2_T3_PNSL_ISQ_E10value_typeET4_jRbjT5_SW_jjP12ihipStream_tbEUlT_E1_NS1_11comp_targetILNS1_3genE2ELNS1_11target_archE906ELNS1_3gpuE6ELNS1_3repE0EEENS1_59segmented_radix_sort_warp_sort_small_config_static_selectorELNS0_4arch9wavefront6targetE0EEEvSK_.uses_flat_scratch, 0
	.set _ZN7rocprim17ROCPRIM_400000_NS6detail17trampoline_kernelINS0_14default_configENS1_36segmented_radix_sort_config_selectorIblEEZNS1_25segmented_radix_sort_implIS3_Lb0EPKbPbPKlPlN2at6native12_GLOBAL__N_18offset_tEEE10hipError_tPvRmT1_PNSt15iterator_traitsISK_E10value_typeET2_T3_PNSL_ISQ_E10value_typeET4_jRbjT5_SW_jjP12ihipStream_tbEUlT_E1_NS1_11comp_targetILNS1_3genE2ELNS1_11target_archE906ELNS1_3gpuE6ELNS1_3repE0EEENS1_59segmented_radix_sort_warp_sort_small_config_static_selectorELNS0_4arch9wavefront6targetE0EEEvSK_.has_dyn_sized_stack, 0
	.set _ZN7rocprim17ROCPRIM_400000_NS6detail17trampoline_kernelINS0_14default_configENS1_36segmented_radix_sort_config_selectorIblEEZNS1_25segmented_radix_sort_implIS3_Lb0EPKbPbPKlPlN2at6native12_GLOBAL__N_18offset_tEEE10hipError_tPvRmT1_PNSt15iterator_traitsISK_E10value_typeET2_T3_PNSL_ISQ_E10value_typeET4_jRbjT5_SW_jjP12ihipStream_tbEUlT_E1_NS1_11comp_targetILNS1_3genE2ELNS1_11target_archE906ELNS1_3gpuE6ELNS1_3repE0EEENS1_59segmented_radix_sort_warp_sort_small_config_static_selectorELNS0_4arch9wavefront6targetE0EEEvSK_.has_recursion, 0
	.set _ZN7rocprim17ROCPRIM_400000_NS6detail17trampoline_kernelINS0_14default_configENS1_36segmented_radix_sort_config_selectorIblEEZNS1_25segmented_radix_sort_implIS3_Lb0EPKbPbPKlPlN2at6native12_GLOBAL__N_18offset_tEEE10hipError_tPvRmT1_PNSt15iterator_traitsISK_E10value_typeET2_T3_PNSL_ISQ_E10value_typeET4_jRbjT5_SW_jjP12ihipStream_tbEUlT_E1_NS1_11comp_targetILNS1_3genE2ELNS1_11target_archE906ELNS1_3gpuE6ELNS1_3repE0EEENS1_59segmented_radix_sort_warp_sort_small_config_static_selectorELNS0_4arch9wavefront6targetE0EEEvSK_.has_indirect_call, 0
	.section	.AMDGPU.csdata,"",@progbits
; Kernel info:
; codeLenInByte = 0
; TotalNumSgprs: 0
; NumVgprs: 0
; ScratchSize: 0
; MemoryBound: 0
; FloatMode: 240
; IeeeMode: 1
; LDSByteSize: 0 bytes/workgroup (compile time only)
; SGPRBlocks: 0
; VGPRBlocks: 0
; NumSGPRsForWavesPerEU: 1
; NumVGPRsForWavesPerEU: 1
; NamedBarCnt: 0
; Occupancy: 16
; WaveLimiterHint : 0
; COMPUTE_PGM_RSRC2:SCRATCH_EN: 0
; COMPUTE_PGM_RSRC2:USER_SGPR: 2
; COMPUTE_PGM_RSRC2:TRAP_HANDLER: 0
; COMPUTE_PGM_RSRC2:TGID_X_EN: 1
; COMPUTE_PGM_RSRC2:TGID_Y_EN: 0
; COMPUTE_PGM_RSRC2:TGID_Z_EN: 0
; COMPUTE_PGM_RSRC2:TIDIG_COMP_CNT: 0
	.section	.text._ZN7rocprim17ROCPRIM_400000_NS6detail17trampoline_kernelINS0_14default_configENS1_36segmented_radix_sort_config_selectorIblEEZNS1_25segmented_radix_sort_implIS3_Lb0EPKbPbPKlPlN2at6native12_GLOBAL__N_18offset_tEEE10hipError_tPvRmT1_PNSt15iterator_traitsISK_E10value_typeET2_T3_PNSL_ISQ_E10value_typeET4_jRbjT5_SW_jjP12ihipStream_tbEUlT_E1_NS1_11comp_targetILNS1_3genE10ELNS1_11target_archE1201ELNS1_3gpuE5ELNS1_3repE0EEENS1_59segmented_radix_sort_warp_sort_small_config_static_selectorELNS0_4arch9wavefront6targetE0EEEvSK_,"axG",@progbits,_ZN7rocprim17ROCPRIM_400000_NS6detail17trampoline_kernelINS0_14default_configENS1_36segmented_radix_sort_config_selectorIblEEZNS1_25segmented_radix_sort_implIS3_Lb0EPKbPbPKlPlN2at6native12_GLOBAL__N_18offset_tEEE10hipError_tPvRmT1_PNSt15iterator_traitsISK_E10value_typeET2_T3_PNSL_ISQ_E10value_typeET4_jRbjT5_SW_jjP12ihipStream_tbEUlT_E1_NS1_11comp_targetILNS1_3genE10ELNS1_11target_archE1201ELNS1_3gpuE5ELNS1_3repE0EEENS1_59segmented_radix_sort_warp_sort_small_config_static_selectorELNS0_4arch9wavefront6targetE0EEEvSK_,comdat
	.globl	_ZN7rocprim17ROCPRIM_400000_NS6detail17trampoline_kernelINS0_14default_configENS1_36segmented_radix_sort_config_selectorIblEEZNS1_25segmented_radix_sort_implIS3_Lb0EPKbPbPKlPlN2at6native12_GLOBAL__N_18offset_tEEE10hipError_tPvRmT1_PNSt15iterator_traitsISK_E10value_typeET2_T3_PNSL_ISQ_E10value_typeET4_jRbjT5_SW_jjP12ihipStream_tbEUlT_E1_NS1_11comp_targetILNS1_3genE10ELNS1_11target_archE1201ELNS1_3gpuE5ELNS1_3repE0EEENS1_59segmented_radix_sort_warp_sort_small_config_static_selectorELNS0_4arch9wavefront6targetE0EEEvSK_ ; -- Begin function _ZN7rocprim17ROCPRIM_400000_NS6detail17trampoline_kernelINS0_14default_configENS1_36segmented_radix_sort_config_selectorIblEEZNS1_25segmented_radix_sort_implIS3_Lb0EPKbPbPKlPlN2at6native12_GLOBAL__N_18offset_tEEE10hipError_tPvRmT1_PNSt15iterator_traitsISK_E10value_typeET2_T3_PNSL_ISQ_E10value_typeET4_jRbjT5_SW_jjP12ihipStream_tbEUlT_E1_NS1_11comp_targetILNS1_3genE10ELNS1_11target_archE1201ELNS1_3gpuE5ELNS1_3repE0EEENS1_59segmented_radix_sort_warp_sort_small_config_static_selectorELNS0_4arch9wavefront6targetE0EEEvSK_
	.p2align	8
	.type	_ZN7rocprim17ROCPRIM_400000_NS6detail17trampoline_kernelINS0_14default_configENS1_36segmented_radix_sort_config_selectorIblEEZNS1_25segmented_radix_sort_implIS3_Lb0EPKbPbPKlPlN2at6native12_GLOBAL__N_18offset_tEEE10hipError_tPvRmT1_PNSt15iterator_traitsISK_E10value_typeET2_T3_PNSL_ISQ_E10value_typeET4_jRbjT5_SW_jjP12ihipStream_tbEUlT_E1_NS1_11comp_targetILNS1_3genE10ELNS1_11target_archE1201ELNS1_3gpuE5ELNS1_3repE0EEENS1_59segmented_radix_sort_warp_sort_small_config_static_selectorELNS0_4arch9wavefront6targetE0EEEvSK_,@function
_ZN7rocprim17ROCPRIM_400000_NS6detail17trampoline_kernelINS0_14default_configENS1_36segmented_radix_sort_config_selectorIblEEZNS1_25segmented_radix_sort_implIS3_Lb0EPKbPbPKlPlN2at6native12_GLOBAL__N_18offset_tEEE10hipError_tPvRmT1_PNSt15iterator_traitsISK_E10value_typeET2_T3_PNSL_ISQ_E10value_typeET4_jRbjT5_SW_jjP12ihipStream_tbEUlT_E1_NS1_11comp_targetILNS1_3genE10ELNS1_11target_archE1201ELNS1_3gpuE5ELNS1_3repE0EEENS1_59segmented_radix_sort_warp_sort_small_config_static_selectorELNS0_4arch9wavefront6targetE0EEEvSK_: ; @_ZN7rocprim17ROCPRIM_400000_NS6detail17trampoline_kernelINS0_14default_configENS1_36segmented_radix_sort_config_selectorIblEEZNS1_25segmented_radix_sort_implIS3_Lb0EPKbPbPKlPlN2at6native12_GLOBAL__N_18offset_tEEE10hipError_tPvRmT1_PNSt15iterator_traitsISK_E10value_typeET2_T3_PNSL_ISQ_E10value_typeET4_jRbjT5_SW_jjP12ihipStream_tbEUlT_E1_NS1_11comp_targetILNS1_3genE10ELNS1_11target_archE1201ELNS1_3gpuE5ELNS1_3repE0EEENS1_59segmented_radix_sort_warp_sort_small_config_static_selectorELNS0_4arch9wavefront6targetE0EEEvSK_
; %bb.0:
	.section	.rodata,"a",@progbits
	.p2align	6, 0x0
	.amdhsa_kernel _ZN7rocprim17ROCPRIM_400000_NS6detail17trampoline_kernelINS0_14default_configENS1_36segmented_radix_sort_config_selectorIblEEZNS1_25segmented_radix_sort_implIS3_Lb0EPKbPbPKlPlN2at6native12_GLOBAL__N_18offset_tEEE10hipError_tPvRmT1_PNSt15iterator_traitsISK_E10value_typeET2_T3_PNSL_ISQ_E10value_typeET4_jRbjT5_SW_jjP12ihipStream_tbEUlT_E1_NS1_11comp_targetILNS1_3genE10ELNS1_11target_archE1201ELNS1_3gpuE5ELNS1_3repE0EEENS1_59segmented_radix_sort_warp_sort_small_config_static_selectorELNS0_4arch9wavefront6targetE0EEEvSK_
		.amdhsa_group_segment_fixed_size 0
		.amdhsa_private_segment_fixed_size 0
		.amdhsa_kernarg_size 88
		.amdhsa_user_sgpr_count 2
		.amdhsa_user_sgpr_dispatch_ptr 0
		.amdhsa_user_sgpr_queue_ptr 0
		.amdhsa_user_sgpr_kernarg_segment_ptr 1
		.amdhsa_user_sgpr_dispatch_id 0
		.amdhsa_user_sgpr_kernarg_preload_length 0
		.amdhsa_user_sgpr_kernarg_preload_offset 0
		.amdhsa_user_sgpr_private_segment_size 0
		.amdhsa_wavefront_size32 1
		.amdhsa_uses_dynamic_stack 0
		.amdhsa_enable_private_segment 0
		.amdhsa_system_sgpr_workgroup_id_x 1
		.amdhsa_system_sgpr_workgroup_id_y 0
		.amdhsa_system_sgpr_workgroup_id_z 0
		.amdhsa_system_sgpr_workgroup_info 0
		.amdhsa_system_vgpr_workitem_id 0
		.amdhsa_next_free_vgpr 1
		.amdhsa_next_free_sgpr 1
		.amdhsa_named_barrier_count 0
		.amdhsa_reserve_vcc 0
		.amdhsa_float_round_mode_32 0
		.amdhsa_float_round_mode_16_64 0
		.amdhsa_float_denorm_mode_32 3
		.amdhsa_float_denorm_mode_16_64 3
		.amdhsa_fp16_overflow 0
		.amdhsa_memory_ordered 1
		.amdhsa_forward_progress 1
		.amdhsa_inst_pref_size 0
		.amdhsa_round_robin_scheduling 0
		.amdhsa_exception_fp_ieee_invalid_op 0
		.amdhsa_exception_fp_denorm_src 0
		.amdhsa_exception_fp_ieee_div_zero 0
		.amdhsa_exception_fp_ieee_overflow 0
		.amdhsa_exception_fp_ieee_underflow 0
		.amdhsa_exception_fp_ieee_inexact 0
		.amdhsa_exception_int_div_zero 0
	.end_amdhsa_kernel
	.section	.text._ZN7rocprim17ROCPRIM_400000_NS6detail17trampoline_kernelINS0_14default_configENS1_36segmented_radix_sort_config_selectorIblEEZNS1_25segmented_radix_sort_implIS3_Lb0EPKbPbPKlPlN2at6native12_GLOBAL__N_18offset_tEEE10hipError_tPvRmT1_PNSt15iterator_traitsISK_E10value_typeET2_T3_PNSL_ISQ_E10value_typeET4_jRbjT5_SW_jjP12ihipStream_tbEUlT_E1_NS1_11comp_targetILNS1_3genE10ELNS1_11target_archE1201ELNS1_3gpuE5ELNS1_3repE0EEENS1_59segmented_radix_sort_warp_sort_small_config_static_selectorELNS0_4arch9wavefront6targetE0EEEvSK_,"axG",@progbits,_ZN7rocprim17ROCPRIM_400000_NS6detail17trampoline_kernelINS0_14default_configENS1_36segmented_radix_sort_config_selectorIblEEZNS1_25segmented_radix_sort_implIS3_Lb0EPKbPbPKlPlN2at6native12_GLOBAL__N_18offset_tEEE10hipError_tPvRmT1_PNSt15iterator_traitsISK_E10value_typeET2_T3_PNSL_ISQ_E10value_typeET4_jRbjT5_SW_jjP12ihipStream_tbEUlT_E1_NS1_11comp_targetILNS1_3genE10ELNS1_11target_archE1201ELNS1_3gpuE5ELNS1_3repE0EEENS1_59segmented_radix_sort_warp_sort_small_config_static_selectorELNS0_4arch9wavefront6targetE0EEEvSK_,comdat
.Lfunc_end1651:
	.size	_ZN7rocprim17ROCPRIM_400000_NS6detail17trampoline_kernelINS0_14default_configENS1_36segmented_radix_sort_config_selectorIblEEZNS1_25segmented_radix_sort_implIS3_Lb0EPKbPbPKlPlN2at6native12_GLOBAL__N_18offset_tEEE10hipError_tPvRmT1_PNSt15iterator_traitsISK_E10value_typeET2_T3_PNSL_ISQ_E10value_typeET4_jRbjT5_SW_jjP12ihipStream_tbEUlT_E1_NS1_11comp_targetILNS1_3genE10ELNS1_11target_archE1201ELNS1_3gpuE5ELNS1_3repE0EEENS1_59segmented_radix_sort_warp_sort_small_config_static_selectorELNS0_4arch9wavefront6targetE0EEEvSK_, .Lfunc_end1651-_ZN7rocprim17ROCPRIM_400000_NS6detail17trampoline_kernelINS0_14default_configENS1_36segmented_radix_sort_config_selectorIblEEZNS1_25segmented_radix_sort_implIS3_Lb0EPKbPbPKlPlN2at6native12_GLOBAL__N_18offset_tEEE10hipError_tPvRmT1_PNSt15iterator_traitsISK_E10value_typeET2_T3_PNSL_ISQ_E10value_typeET4_jRbjT5_SW_jjP12ihipStream_tbEUlT_E1_NS1_11comp_targetILNS1_3genE10ELNS1_11target_archE1201ELNS1_3gpuE5ELNS1_3repE0EEENS1_59segmented_radix_sort_warp_sort_small_config_static_selectorELNS0_4arch9wavefront6targetE0EEEvSK_
                                        ; -- End function
	.set _ZN7rocprim17ROCPRIM_400000_NS6detail17trampoline_kernelINS0_14default_configENS1_36segmented_radix_sort_config_selectorIblEEZNS1_25segmented_radix_sort_implIS3_Lb0EPKbPbPKlPlN2at6native12_GLOBAL__N_18offset_tEEE10hipError_tPvRmT1_PNSt15iterator_traitsISK_E10value_typeET2_T3_PNSL_ISQ_E10value_typeET4_jRbjT5_SW_jjP12ihipStream_tbEUlT_E1_NS1_11comp_targetILNS1_3genE10ELNS1_11target_archE1201ELNS1_3gpuE5ELNS1_3repE0EEENS1_59segmented_radix_sort_warp_sort_small_config_static_selectorELNS0_4arch9wavefront6targetE0EEEvSK_.num_vgpr, 0
	.set _ZN7rocprim17ROCPRIM_400000_NS6detail17trampoline_kernelINS0_14default_configENS1_36segmented_radix_sort_config_selectorIblEEZNS1_25segmented_radix_sort_implIS3_Lb0EPKbPbPKlPlN2at6native12_GLOBAL__N_18offset_tEEE10hipError_tPvRmT1_PNSt15iterator_traitsISK_E10value_typeET2_T3_PNSL_ISQ_E10value_typeET4_jRbjT5_SW_jjP12ihipStream_tbEUlT_E1_NS1_11comp_targetILNS1_3genE10ELNS1_11target_archE1201ELNS1_3gpuE5ELNS1_3repE0EEENS1_59segmented_radix_sort_warp_sort_small_config_static_selectorELNS0_4arch9wavefront6targetE0EEEvSK_.num_agpr, 0
	.set _ZN7rocprim17ROCPRIM_400000_NS6detail17trampoline_kernelINS0_14default_configENS1_36segmented_radix_sort_config_selectorIblEEZNS1_25segmented_radix_sort_implIS3_Lb0EPKbPbPKlPlN2at6native12_GLOBAL__N_18offset_tEEE10hipError_tPvRmT1_PNSt15iterator_traitsISK_E10value_typeET2_T3_PNSL_ISQ_E10value_typeET4_jRbjT5_SW_jjP12ihipStream_tbEUlT_E1_NS1_11comp_targetILNS1_3genE10ELNS1_11target_archE1201ELNS1_3gpuE5ELNS1_3repE0EEENS1_59segmented_radix_sort_warp_sort_small_config_static_selectorELNS0_4arch9wavefront6targetE0EEEvSK_.numbered_sgpr, 0
	.set _ZN7rocprim17ROCPRIM_400000_NS6detail17trampoline_kernelINS0_14default_configENS1_36segmented_radix_sort_config_selectorIblEEZNS1_25segmented_radix_sort_implIS3_Lb0EPKbPbPKlPlN2at6native12_GLOBAL__N_18offset_tEEE10hipError_tPvRmT1_PNSt15iterator_traitsISK_E10value_typeET2_T3_PNSL_ISQ_E10value_typeET4_jRbjT5_SW_jjP12ihipStream_tbEUlT_E1_NS1_11comp_targetILNS1_3genE10ELNS1_11target_archE1201ELNS1_3gpuE5ELNS1_3repE0EEENS1_59segmented_radix_sort_warp_sort_small_config_static_selectorELNS0_4arch9wavefront6targetE0EEEvSK_.num_named_barrier, 0
	.set _ZN7rocprim17ROCPRIM_400000_NS6detail17trampoline_kernelINS0_14default_configENS1_36segmented_radix_sort_config_selectorIblEEZNS1_25segmented_radix_sort_implIS3_Lb0EPKbPbPKlPlN2at6native12_GLOBAL__N_18offset_tEEE10hipError_tPvRmT1_PNSt15iterator_traitsISK_E10value_typeET2_T3_PNSL_ISQ_E10value_typeET4_jRbjT5_SW_jjP12ihipStream_tbEUlT_E1_NS1_11comp_targetILNS1_3genE10ELNS1_11target_archE1201ELNS1_3gpuE5ELNS1_3repE0EEENS1_59segmented_radix_sort_warp_sort_small_config_static_selectorELNS0_4arch9wavefront6targetE0EEEvSK_.private_seg_size, 0
	.set _ZN7rocprim17ROCPRIM_400000_NS6detail17trampoline_kernelINS0_14default_configENS1_36segmented_radix_sort_config_selectorIblEEZNS1_25segmented_radix_sort_implIS3_Lb0EPKbPbPKlPlN2at6native12_GLOBAL__N_18offset_tEEE10hipError_tPvRmT1_PNSt15iterator_traitsISK_E10value_typeET2_T3_PNSL_ISQ_E10value_typeET4_jRbjT5_SW_jjP12ihipStream_tbEUlT_E1_NS1_11comp_targetILNS1_3genE10ELNS1_11target_archE1201ELNS1_3gpuE5ELNS1_3repE0EEENS1_59segmented_radix_sort_warp_sort_small_config_static_selectorELNS0_4arch9wavefront6targetE0EEEvSK_.uses_vcc, 0
	.set _ZN7rocprim17ROCPRIM_400000_NS6detail17trampoline_kernelINS0_14default_configENS1_36segmented_radix_sort_config_selectorIblEEZNS1_25segmented_radix_sort_implIS3_Lb0EPKbPbPKlPlN2at6native12_GLOBAL__N_18offset_tEEE10hipError_tPvRmT1_PNSt15iterator_traitsISK_E10value_typeET2_T3_PNSL_ISQ_E10value_typeET4_jRbjT5_SW_jjP12ihipStream_tbEUlT_E1_NS1_11comp_targetILNS1_3genE10ELNS1_11target_archE1201ELNS1_3gpuE5ELNS1_3repE0EEENS1_59segmented_radix_sort_warp_sort_small_config_static_selectorELNS0_4arch9wavefront6targetE0EEEvSK_.uses_flat_scratch, 0
	.set _ZN7rocprim17ROCPRIM_400000_NS6detail17trampoline_kernelINS0_14default_configENS1_36segmented_radix_sort_config_selectorIblEEZNS1_25segmented_radix_sort_implIS3_Lb0EPKbPbPKlPlN2at6native12_GLOBAL__N_18offset_tEEE10hipError_tPvRmT1_PNSt15iterator_traitsISK_E10value_typeET2_T3_PNSL_ISQ_E10value_typeET4_jRbjT5_SW_jjP12ihipStream_tbEUlT_E1_NS1_11comp_targetILNS1_3genE10ELNS1_11target_archE1201ELNS1_3gpuE5ELNS1_3repE0EEENS1_59segmented_radix_sort_warp_sort_small_config_static_selectorELNS0_4arch9wavefront6targetE0EEEvSK_.has_dyn_sized_stack, 0
	.set _ZN7rocprim17ROCPRIM_400000_NS6detail17trampoline_kernelINS0_14default_configENS1_36segmented_radix_sort_config_selectorIblEEZNS1_25segmented_radix_sort_implIS3_Lb0EPKbPbPKlPlN2at6native12_GLOBAL__N_18offset_tEEE10hipError_tPvRmT1_PNSt15iterator_traitsISK_E10value_typeET2_T3_PNSL_ISQ_E10value_typeET4_jRbjT5_SW_jjP12ihipStream_tbEUlT_E1_NS1_11comp_targetILNS1_3genE10ELNS1_11target_archE1201ELNS1_3gpuE5ELNS1_3repE0EEENS1_59segmented_radix_sort_warp_sort_small_config_static_selectorELNS0_4arch9wavefront6targetE0EEEvSK_.has_recursion, 0
	.set _ZN7rocprim17ROCPRIM_400000_NS6detail17trampoline_kernelINS0_14default_configENS1_36segmented_radix_sort_config_selectorIblEEZNS1_25segmented_radix_sort_implIS3_Lb0EPKbPbPKlPlN2at6native12_GLOBAL__N_18offset_tEEE10hipError_tPvRmT1_PNSt15iterator_traitsISK_E10value_typeET2_T3_PNSL_ISQ_E10value_typeET4_jRbjT5_SW_jjP12ihipStream_tbEUlT_E1_NS1_11comp_targetILNS1_3genE10ELNS1_11target_archE1201ELNS1_3gpuE5ELNS1_3repE0EEENS1_59segmented_radix_sort_warp_sort_small_config_static_selectorELNS0_4arch9wavefront6targetE0EEEvSK_.has_indirect_call, 0
	.section	.AMDGPU.csdata,"",@progbits
; Kernel info:
; codeLenInByte = 0
; TotalNumSgprs: 0
; NumVgprs: 0
; ScratchSize: 0
; MemoryBound: 0
; FloatMode: 240
; IeeeMode: 1
; LDSByteSize: 0 bytes/workgroup (compile time only)
; SGPRBlocks: 0
; VGPRBlocks: 0
; NumSGPRsForWavesPerEU: 1
; NumVGPRsForWavesPerEU: 1
; NamedBarCnt: 0
; Occupancy: 16
; WaveLimiterHint : 0
; COMPUTE_PGM_RSRC2:SCRATCH_EN: 0
; COMPUTE_PGM_RSRC2:USER_SGPR: 2
; COMPUTE_PGM_RSRC2:TRAP_HANDLER: 0
; COMPUTE_PGM_RSRC2:TGID_X_EN: 1
; COMPUTE_PGM_RSRC2:TGID_Y_EN: 0
; COMPUTE_PGM_RSRC2:TGID_Z_EN: 0
; COMPUTE_PGM_RSRC2:TIDIG_COMP_CNT: 0
	.section	.text._ZN7rocprim17ROCPRIM_400000_NS6detail17trampoline_kernelINS0_14default_configENS1_36segmented_radix_sort_config_selectorIblEEZNS1_25segmented_radix_sort_implIS3_Lb0EPKbPbPKlPlN2at6native12_GLOBAL__N_18offset_tEEE10hipError_tPvRmT1_PNSt15iterator_traitsISK_E10value_typeET2_T3_PNSL_ISQ_E10value_typeET4_jRbjT5_SW_jjP12ihipStream_tbEUlT_E1_NS1_11comp_targetILNS1_3genE10ELNS1_11target_archE1200ELNS1_3gpuE4ELNS1_3repE0EEENS1_59segmented_radix_sort_warp_sort_small_config_static_selectorELNS0_4arch9wavefront6targetE0EEEvSK_,"axG",@progbits,_ZN7rocprim17ROCPRIM_400000_NS6detail17trampoline_kernelINS0_14default_configENS1_36segmented_radix_sort_config_selectorIblEEZNS1_25segmented_radix_sort_implIS3_Lb0EPKbPbPKlPlN2at6native12_GLOBAL__N_18offset_tEEE10hipError_tPvRmT1_PNSt15iterator_traitsISK_E10value_typeET2_T3_PNSL_ISQ_E10value_typeET4_jRbjT5_SW_jjP12ihipStream_tbEUlT_E1_NS1_11comp_targetILNS1_3genE10ELNS1_11target_archE1200ELNS1_3gpuE4ELNS1_3repE0EEENS1_59segmented_radix_sort_warp_sort_small_config_static_selectorELNS0_4arch9wavefront6targetE0EEEvSK_,comdat
	.globl	_ZN7rocprim17ROCPRIM_400000_NS6detail17trampoline_kernelINS0_14default_configENS1_36segmented_radix_sort_config_selectorIblEEZNS1_25segmented_radix_sort_implIS3_Lb0EPKbPbPKlPlN2at6native12_GLOBAL__N_18offset_tEEE10hipError_tPvRmT1_PNSt15iterator_traitsISK_E10value_typeET2_T3_PNSL_ISQ_E10value_typeET4_jRbjT5_SW_jjP12ihipStream_tbEUlT_E1_NS1_11comp_targetILNS1_3genE10ELNS1_11target_archE1200ELNS1_3gpuE4ELNS1_3repE0EEENS1_59segmented_radix_sort_warp_sort_small_config_static_selectorELNS0_4arch9wavefront6targetE0EEEvSK_ ; -- Begin function _ZN7rocprim17ROCPRIM_400000_NS6detail17trampoline_kernelINS0_14default_configENS1_36segmented_radix_sort_config_selectorIblEEZNS1_25segmented_radix_sort_implIS3_Lb0EPKbPbPKlPlN2at6native12_GLOBAL__N_18offset_tEEE10hipError_tPvRmT1_PNSt15iterator_traitsISK_E10value_typeET2_T3_PNSL_ISQ_E10value_typeET4_jRbjT5_SW_jjP12ihipStream_tbEUlT_E1_NS1_11comp_targetILNS1_3genE10ELNS1_11target_archE1200ELNS1_3gpuE4ELNS1_3repE0EEENS1_59segmented_radix_sort_warp_sort_small_config_static_selectorELNS0_4arch9wavefront6targetE0EEEvSK_
	.p2align	8
	.type	_ZN7rocprim17ROCPRIM_400000_NS6detail17trampoline_kernelINS0_14default_configENS1_36segmented_radix_sort_config_selectorIblEEZNS1_25segmented_radix_sort_implIS3_Lb0EPKbPbPKlPlN2at6native12_GLOBAL__N_18offset_tEEE10hipError_tPvRmT1_PNSt15iterator_traitsISK_E10value_typeET2_T3_PNSL_ISQ_E10value_typeET4_jRbjT5_SW_jjP12ihipStream_tbEUlT_E1_NS1_11comp_targetILNS1_3genE10ELNS1_11target_archE1200ELNS1_3gpuE4ELNS1_3repE0EEENS1_59segmented_radix_sort_warp_sort_small_config_static_selectorELNS0_4arch9wavefront6targetE0EEEvSK_,@function
_ZN7rocprim17ROCPRIM_400000_NS6detail17trampoline_kernelINS0_14default_configENS1_36segmented_radix_sort_config_selectorIblEEZNS1_25segmented_radix_sort_implIS3_Lb0EPKbPbPKlPlN2at6native12_GLOBAL__N_18offset_tEEE10hipError_tPvRmT1_PNSt15iterator_traitsISK_E10value_typeET2_T3_PNSL_ISQ_E10value_typeET4_jRbjT5_SW_jjP12ihipStream_tbEUlT_E1_NS1_11comp_targetILNS1_3genE10ELNS1_11target_archE1200ELNS1_3gpuE4ELNS1_3repE0EEENS1_59segmented_radix_sort_warp_sort_small_config_static_selectorELNS0_4arch9wavefront6targetE0EEEvSK_: ; @_ZN7rocprim17ROCPRIM_400000_NS6detail17trampoline_kernelINS0_14default_configENS1_36segmented_radix_sort_config_selectorIblEEZNS1_25segmented_radix_sort_implIS3_Lb0EPKbPbPKlPlN2at6native12_GLOBAL__N_18offset_tEEE10hipError_tPvRmT1_PNSt15iterator_traitsISK_E10value_typeET2_T3_PNSL_ISQ_E10value_typeET4_jRbjT5_SW_jjP12ihipStream_tbEUlT_E1_NS1_11comp_targetILNS1_3genE10ELNS1_11target_archE1200ELNS1_3gpuE4ELNS1_3repE0EEENS1_59segmented_radix_sort_warp_sort_small_config_static_selectorELNS0_4arch9wavefront6targetE0EEEvSK_
; %bb.0:
	.section	.rodata,"a",@progbits
	.p2align	6, 0x0
	.amdhsa_kernel _ZN7rocprim17ROCPRIM_400000_NS6detail17trampoline_kernelINS0_14default_configENS1_36segmented_radix_sort_config_selectorIblEEZNS1_25segmented_radix_sort_implIS3_Lb0EPKbPbPKlPlN2at6native12_GLOBAL__N_18offset_tEEE10hipError_tPvRmT1_PNSt15iterator_traitsISK_E10value_typeET2_T3_PNSL_ISQ_E10value_typeET4_jRbjT5_SW_jjP12ihipStream_tbEUlT_E1_NS1_11comp_targetILNS1_3genE10ELNS1_11target_archE1200ELNS1_3gpuE4ELNS1_3repE0EEENS1_59segmented_radix_sort_warp_sort_small_config_static_selectorELNS0_4arch9wavefront6targetE0EEEvSK_
		.amdhsa_group_segment_fixed_size 0
		.amdhsa_private_segment_fixed_size 0
		.amdhsa_kernarg_size 88
		.amdhsa_user_sgpr_count 2
		.amdhsa_user_sgpr_dispatch_ptr 0
		.amdhsa_user_sgpr_queue_ptr 0
		.amdhsa_user_sgpr_kernarg_segment_ptr 1
		.amdhsa_user_sgpr_dispatch_id 0
		.amdhsa_user_sgpr_kernarg_preload_length 0
		.amdhsa_user_sgpr_kernarg_preload_offset 0
		.amdhsa_user_sgpr_private_segment_size 0
		.amdhsa_wavefront_size32 1
		.amdhsa_uses_dynamic_stack 0
		.amdhsa_enable_private_segment 0
		.amdhsa_system_sgpr_workgroup_id_x 1
		.amdhsa_system_sgpr_workgroup_id_y 0
		.amdhsa_system_sgpr_workgroup_id_z 0
		.amdhsa_system_sgpr_workgroup_info 0
		.amdhsa_system_vgpr_workitem_id 0
		.amdhsa_next_free_vgpr 1
		.amdhsa_next_free_sgpr 1
		.amdhsa_named_barrier_count 0
		.amdhsa_reserve_vcc 0
		.amdhsa_float_round_mode_32 0
		.amdhsa_float_round_mode_16_64 0
		.amdhsa_float_denorm_mode_32 3
		.amdhsa_float_denorm_mode_16_64 3
		.amdhsa_fp16_overflow 0
		.amdhsa_memory_ordered 1
		.amdhsa_forward_progress 1
		.amdhsa_inst_pref_size 0
		.amdhsa_round_robin_scheduling 0
		.amdhsa_exception_fp_ieee_invalid_op 0
		.amdhsa_exception_fp_denorm_src 0
		.amdhsa_exception_fp_ieee_div_zero 0
		.amdhsa_exception_fp_ieee_overflow 0
		.amdhsa_exception_fp_ieee_underflow 0
		.amdhsa_exception_fp_ieee_inexact 0
		.amdhsa_exception_int_div_zero 0
	.end_amdhsa_kernel
	.section	.text._ZN7rocprim17ROCPRIM_400000_NS6detail17trampoline_kernelINS0_14default_configENS1_36segmented_radix_sort_config_selectorIblEEZNS1_25segmented_radix_sort_implIS3_Lb0EPKbPbPKlPlN2at6native12_GLOBAL__N_18offset_tEEE10hipError_tPvRmT1_PNSt15iterator_traitsISK_E10value_typeET2_T3_PNSL_ISQ_E10value_typeET4_jRbjT5_SW_jjP12ihipStream_tbEUlT_E1_NS1_11comp_targetILNS1_3genE10ELNS1_11target_archE1200ELNS1_3gpuE4ELNS1_3repE0EEENS1_59segmented_radix_sort_warp_sort_small_config_static_selectorELNS0_4arch9wavefront6targetE0EEEvSK_,"axG",@progbits,_ZN7rocprim17ROCPRIM_400000_NS6detail17trampoline_kernelINS0_14default_configENS1_36segmented_radix_sort_config_selectorIblEEZNS1_25segmented_radix_sort_implIS3_Lb0EPKbPbPKlPlN2at6native12_GLOBAL__N_18offset_tEEE10hipError_tPvRmT1_PNSt15iterator_traitsISK_E10value_typeET2_T3_PNSL_ISQ_E10value_typeET4_jRbjT5_SW_jjP12ihipStream_tbEUlT_E1_NS1_11comp_targetILNS1_3genE10ELNS1_11target_archE1200ELNS1_3gpuE4ELNS1_3repE0EEENS1_59segmented_radix_sort_warp_sort_small_config_static_selectorELNS0_4arch9wavefront6targetE0EEEvSK_,comdat
.Lfunc_end1652:
	.size	_ZN7rocprim17ROCPRIM_400000_NS6detail17trampoline_kernelINS0_14default_configENS1_36segmented_radix_sort_config_selectorIblEEZNS1_25segmented_radix_sort_implIS3_Lb0EPKbPbPKlPlN2at6native12_GLOBAL__N_18offset_tEEE10hipError_tPvRmT1_PNSt15iterator_traitsISK_E10value_typeET2_T3_PNSL_ISQ_E10value_typeET4_jRbjT5_SW_jjP12ihipStream_tbEUlT_E1_NS1_11comp_targetILNS1_3genE10ELNS1_11target_archE1200ELNS1_3gpuE4ELNS1_3repE0EEENS1_59segmented_radix_sort_warp_sort_small_config_static_selectorELNS0_4arch9wavefront6targetE0EEEvSK_, .Lfunc_end1652-_ZN7rocprim17ROCPRIM_400000_NS6detail17trampoline_kernelINS0_14default_configENS1_36segmented_radix_sort_config_selectorIblEEZNS1_25segmented_radix_sort_implIS3_Lb0EPKbPbPKlPlN2at6native12_GLOBAL__N_18offset_tEEE10hipError_tPvRmT1_PNSt15iterator_traitsISK_E10value_typeET2_T3_PNSL_ISQ_E10value_typeET4_jRbjT5_SW_jjP12ihipStream_tbEUlT_E1_NS1_11comp_targetILNS1_3genE10ELNS1_11target_archE1200ELNS1_3gpuE4ELNS1_3repE0EEENS1_59segmented_radix_sort_warp_sort_small_config_static_selectorELNS0_4arch9wavefront6targetE0EEEvSK_
                                        ; -- End function
	.set _ZN7rocprim17ROCPRIM_400000_NS6detail17trampoline_kernelINS0_14default_configENS1_36segmented_radix_sort_config_selectorIblEEZNS1_25segmented_radix_sort_implIS3_Lb0EPKbPbPKlPlN2at6native12_GLOBAL__N_18offset_tEEE10hipError_tPvRmT1_PNSt15iterator_traitsISK_E10value_typeET2_T3_PNSL_ISQ_E10value_typeET4_jRbjT5_SW_jjP12ihipStream_tbEUlT_E1_NS1_11comp_targetILNS1_3genE10ELNS1_11target_archE1200ELNS1_3gpuE4ELNS1_3repE0EEENS1_59segmented_radix_sort_warp_sort_small_config_static_selectorELNS0_4arch9wavefront6targetE0EEEvSK_.num_vgpr, 0
	.set _ZN7rocprim17ROCPRIM_400000_NS6detail17trampoline_kernelINS0_14default_configENS1_36segmented_radix_sort_config_selectorIblEEZNS1_25segmented_radix_sort_implIS3_Lb0EPKbPbPKlPlN2at6native12_GLOBAL__N_18offset_tEEE10hipError_tPvRmT1_PNSt15iterator_traitsISK_E10value_typeET2_T3_PNSL_ISQ_E10value_typeET4_jRbjT5_SW_jjP12ihipStream_tbEUlT_E1_NS1_11comp_targetILNS1_3genE10ELNS1_11target_archE1200ELNS1_3gpuE4ELNS1_3repE0EEENS1_59segmented_radix_sort_warp_sort_small_config_static_selectorELNS0_4arch9wavefront6targetE0EEEvSK_.num_agpr, 0
	.set _ZN7rocprim17ROCPRIM_400000_NS6detail17trampoline_kernelINS0_14default_configENS1_36segmented_radix_sort_config_selectorIblEEZNS1_25segmented_radix_sort_implIS3_Lb0EPKbPbPKlPlN2at6native12_GLOBAL__N_18offset_tEEE10hipError_tPvRmT1_PNSt15iterator_traitsISK_E10value_typeET2_T3_PNSL_ISQ_E10value_typeET4_jRbjT5_SW_jjP12ihipStream_tbEUlT_E1_NS1_11comp_targetILNS1_3genE10ELNS1_11target_archE1200ELNS1_3gpuE4ELNS1_3repE0EEENS1_59segmented_radix_sort_warp_sort_small_config_static_selectorELNS0_4arch9wavefront6targetE0EEEvSK_.numbered_sgpr, 0
	.set _ZN7rocprim17ROCPRIM_400000_NS6detail17trampoline_kernelINS0_14default_configENS1_36segmented_radix_sort_config_selectorIblEEZNS1_25segmented_radix_sort_implIS3_Lb0EPKbPbPKlPlN2at6native12_GLOBAL__N_18offset_tEEE10hipError_tPvRmT1_PNSt15iterator_traitsISK_E10value_typeET2_T3_PNSL_ISQ_E10value_typeET4_jRbjT5_SW_jjP12ihipStream_tbEUlT_E1_NS1_11comp_targetILNS1_3genE10ELNS1_11target_archE1200ELNS1_3gpuE4ELNS1_3repE0EEENS1_59segmented_radix_sort_warp_sort_small_config_static_selectorELNS0_4arch9wavefront6targetE0EEEvSK_.num_named_barrier, 0
	.set _ZN7rocprim17ROCPRIM_400000_NS6detail17trampoline_kernelINS0_14default_configENS1_36segmented_radix_sort_config_selectorIblEEZNS1_25segmented_radix_sort_implIS3_Lb0EPKbPbPKlPlN2at6native12_GLOBAL__N_18offset_tEEE10hipError_tPvRmT1_PNSt15iterator_traitsISK_E10value_typeET2_T3_PNSL_ISQ_E10value_typeET4_jRbjT5_SW_jjP12ihipStream_tbEUlT_E1_NS1_11comp_targetILNS1_3genE10ELNS1_11target_archE1200ELNS1_3gpuE4ELNS1_3repE0EEENS1_59segmented_radix_sort_warp_sort_small_config_static_selectorELNS0_4arch9wavefront6targetE0EEEvSK_.private_seg_size, 0
	.set _ZN7rocprim17ROCPRIM_400000_NS6detail17trampoline_kernelINS0_14default_configENS1_36segmented_radix_sort_config_selectorIblEEZNS1_25segmented_radix_sort_implIS3_Lb0EPKbPbPKlPlN2at6native12_GLOBAL__N_18offset_tEEE10hipError_tPvRmT1_PNSt15iterator_traitsISK_E10value_typeET2_T3_PNSL_ISQ_E10value_typeET4_jRbjT5_SW_jjP12ihipStream_tbEUlT_E1_NS1_11comp_targetILNS1_3genE10ELNS1_11target_archE1200ELNS1_3gpuE4ELNS1_3repE0EEENS1_59segmented_radix_sort_warp_sort_small_config_static_selectorELNS0_4arch9wavefront6targetE0EEEvSK_.uses_vcc, 0
	.set _ZN7rocprim17ROCPRIM_400000_NS6detail17trampoline_kernelINS0_14default_configENS1_36segmented_radix_sort_config_selectorIblEEZNS1_25segmented_radix_sort_implIS3_Lb0EPKbPbPKlPlN2at6native12_GLOBAL__N_18offset_tEEE10hipError_tPvRmT1_PNSt15iterator_traitsISK_E10value_typeET2_T3_PNSL_ISQ_E10value_typeET4_jRbjT5_SW_jjP12ihipStream_tbEUlT_E1_NS1_11comp_targetILNS1_3genE10ELNS1_11target_archE1200ELNS1_3gpuE4ELNS1_3repE0EEENS1_59segmented_radix_sort_warp_sort_small_config_static_selectorELNS0_4arch9wavefront6targetE0EEEvSK_.uses_flat_scratch, 0
	.set _ZN7rocprim17ROCPRIM_400000_NS6detail17trampoline_kernelINS0_14default_configENS1_36segmented_radix_sort_config_selectorIblEEZNS1_25segmented_radix_sort_implIS3_Lb0EPKbPbPKlPlN2at6native12_GLOBAL__N_18offset_tEEE10hipError_tPvRmT1_PNSt15iterator_traitsISK_E10value_typeET2_T3_PNSL_ISQ_E10value_typeET4_jRbjT5_SW_jjP12ihipStream_tbEUlT_E1_NS1_11comp_targetILNS1_3genE10ELNS1_11target_archE1200ELNS1_3gpuE4ELNS1_3repE0EEENS1_59segmented_radix_sort_warp_sort_small_config_static_selectorELNS0_4arch9wavefront6targetE0EEEvSK_.has_dyn_sized_stack, 0
	.set _ZN7rocprim17ROCPRIM_400000_NS6detail17trampoline_kernelINS0_14default_configENS1_36segmented_radix_sort_config_selectorIblEEZNS1_25segmented_radix_sort_implIS3_Lb0EPKbPbPKlPlN2at6native12_GLOBAL__N_18offset_tEEE10hipError_tPvRmT1_PNSt15iterator_traitsISK_E10value_typeET2_T3_PNSL_ISQ_E10value_typeET4_jRbjT5_SW_jjP12ihipStream_tbEUlT_E1_NS1_11comp_targetILNS1_3genE10ELNS1_11target_archE1200ELNS1_3gpuE4ELNS1_3repE0EEENS1_59segmented_radix_sort_warp_sort_small_config_static_selectorELNS0_4arch9wavefront6targetE0EEEvSK_.has_recursion, 0
	.set _ZN7rocprim17ROCPRIM_400000_NS6detail17trampoline_kernelINS0_14default_configENS1_36segmented_radix_sort_config_selectorIblEEZNS1_25segmented_radix_sort_implIS3_Lb0EPKbPbPKlPlN2at6native12_GLOBAL__N_18offset_tEEE10hipError_tPvRmT1_PNSt15iterator_traitsISK_E10value_typeET2_T3_PNSL_ISQ_E10value_typeET4_jRbjT5_SW_jjP12ihipStream_tbEUlT_E1_NS1_11comp_targetILNS1_3genE10ELNS1_11target_archE1200ELNS1_3gpuE4ELNS1_3repE0EEENS1_59segmented_radix_sort_warp_sort_small_config_static_selectorELNS0_4arch9wavefront6targetE0EEEvSK_.has_indirect_call, 0
	.section	.AMDGPU.csdata,"",@progbits
; Kernel info:
; codeLenInByte = 0
; TotalNumSgprs: 0
; NumVgprs: 0
; ScratchSize: 0
; MemoryBound: 0
; FloatMode: 240
; IeeeMode: 1
; LDSByteSize: 0 bytes/workgroup (compile time only)
; SGPRBlocks: 0
; VGPRBlocks: 0
; NumSGPRsForWavesPerEU: 1
; NumVGPRsForWavesPerEU: 1
; NamedBarCnt: 0
; Occupancy: 16
; WaveLimiterHint : 0
; COMPUTE_PGM_RSRC2:SCRATCH_EN: 0
; COMPUTE_PGM_RSRC2:USER_SGPR: 2
; COMPUTE_PGM_RSRC2:TRAP_HANDLER: 0
; COMPUTE_PGM_RSRC2:TGID_X_EN: 1
; COMPUTE_PGM_RSRC2:TGID_Y_EN: 0
; COMPUTE_PGM_RSRC2:TGID_Z_EN: 0
; COMPUTE_PGM_RSRC2:TIDIG_COMP_CNT: 0
	.section	.text._ZN7rocprim17ROCPRIM_400000_NS6detail17trampoline_kernelINS0_14default_configENS1_36segmented_radix_sort_config_selectorIblEEZNS1_25segmented_radix_sort_implIS3_Lb0EPKbPbPKlPlN2at6native12_GLOBAL__N_18offset_tEEE10hipError_tPvRmT1_PNSt15iterator_traitsISK_E10value_typeET2_T3_PNSL_ISQ_E10value_typeET4_jRbjT5_SW_jjP12ihipStream_tbEUlT_E1_NS1_11comp_targetILNS1_3genE9ELNS1_11target_archE1100ELNS1_3gpuE3ELNS1_3repE0EEENS1_59segmented_radix_sort_warp_sort_small_config_static_selectorELNS0_4arch9wavefront6targetE0EEEvSK_,"axG",@progbits,_ZN7rocprim17ROCPRIM_400000_NS6detail17trampoline_kernelINS0_14default_configENS1_36segmented_radix_sort_config_selectorIblEEZNS1_25segmented_radix_sort_implIS3_Lb0EPKbPbPKlPlN2at6native12_GLOBAL__N_18offset_tEEE10hipError_tPvRmT1_PNSt15iterator_traitsISK_E10value_typeET2_T3_PNSL_ISQ_E10value_typeET4_jRbjT5_SW_jjP12ihipStream_tbEUlT_E1_NS1_11comp_targetILNS1_3genE9ELNS1_11target_archE1100ELNS1_3gpuE3ELNS1_3repE0EEENS1_59segmented_radix_sort_warp_sort_small_config_static_selectorELNS0_4arch9wavefront6targetE0EEEvSK_,comdat
	.globl	_ZN7rocprim17ROCPRIM_400000_NS6detail17trampoline_kernelINS0_14default_configENS1_36segmented_radix_sort_config_selectorIblEEZNS1_25segmented_radix_sort_implIS3_Lb0EPKbPbPKlPlN2at6native12_GLOBAL__N_18offset_tEEE10hipError_tPvRmT1_PNSt15iterator_traitsISK_E10value_typeET2_T3_PNSL_ISQ_E10value_typeET4_jRbjT5_SW_jjP12ihipStream_tbEUlT_E1_NS1_11comp_targetILNS1_3genE9ELNS1_11target_archE1100ELNS1_3gpuE3ELNS1_3repE0EEENS1_59segmented_radix_sort_warp_sort_small_config_static_selectorELNS0_4arch9wavefront6targetE0EEEvSK_ ; -- Begin function _ZN7rocprim17ROCPRIM_400000_NS6detail17trampoline_kernelINS0_14default_configENS1_36segmented_radix_sort_config_selectorIblEEZNS1_25segmented_radix_sort_implIS3_Lb0EPKbPbPKlPlN2at6native12_GLOBAL__N_18offset_tEEE10hipError_tPvRmT1_PNSt15iterator_traitsISK_E10value_typeET2_T3_PNSL_ISQ_E10value_typeET4_jRbjT5_SW_jjP12ihipStream_tbEUlT_E1_NS1_11comp_targetILNS1_3genE9ELNS1_11target_archE1100ELNS1_3gpuE3ELNS1_3repE0EEENS1_59segmented_radix_sort_warp_sort_small_config_static_selectorELNS0_4arch9wavefront6targetE0EEEvSK_
	.p2align	8
	.type	_ZN7rocprim17ROCPRIM_400000_NS6detail17trampoline_kernelINS0_14default_configENS1_36segmented_radix_sort_config_selectorIblEEZNS1_25segmented_radix_sort_implIS3_Lb0EPKbPbPKlPlN2at6native12_GLOBAL__N_18offset_tEEE10hipError_tPvRmT1_PNSt15iterator_traitsISK_E10value_typeET2_T3_PNSL_ISQ_E10value_typeET4_jRbjT5_SW_jjP12ihipStream_tbEUlT_E1_NS1_11comp_targetILNS1_3genE9ELNS1_11target_archE1100ELNS1_3gpuE3ELNS1_3repE0EEENS1_59segmented_radix_sort_warp_sort_small_config_static_selectorELNS0_4arch9wavefront6targetE0EEEvSK_,@function
_ZN7rocprim17ROCPRIM_400000_NS6detail17trampoline_kernelINS0_14default_configENS1_36segmented_radix_sort_config_selectorIblEEZNS1_25segmented_radix_sort_implIS3_Lb0EPKbPbPKlPlN2at6native12_GLOBAL__N_18offset_tEEE10hipError_tPvRmT1_PNSt15iterator_traitsISK_E10value_typeET2_T3_PNSL_ISQ_E10value_typeET4_jRbjT5_SW_jjP12ihipStream_tbEUlT_E1_NS1_11comp_targetILNS1_3genE9ELNS1_11target_archE1100ELNS1_3gpuE3ELNS1_3repE0EEENS1_59segmented_radix_sort_warp_sort_small_config_static_selectorELNS0_4arch9wavefront6targetE0EEEvSK_: ; @_ZN7rocprim17ROCPRIM_400000_NS6detail17trampoline_kernelINS0_14default_configENS1_36segmented_radix_sort_config_selectorIblEEZNS1_25segmented_radix_sort_implIS3_Lb0EPKbPbPKlPlN2at6native12_GLOBAL__N_18offset_tEEE10hipError_tPvRmT1_PNSt15iterator_traitsISK_E10value_typeET2_T3_PNSL_ISQ_E10value_typeET4_jRbjT5_SW_jjP12ihipStream_tbEUlT_E1_NS1_11comp_targetILNS1_3genE9ELNS1_11target_archE1100ELNS1_3gpuE3ELNS1_3repE0EEENS1_59segmented_radix_sort_warp_sort_small_config_static_selectorELNS0_4arch9wavefront6targetE0EEEvSK_
; %bb.0:
	.section	.rodata,"a",@progbits
	.p2align	6, 0x0
	.amdhsa_kernel _ZN7rocprim17ROCPRIM_400000_NS6detail17trampoline_kernelINS0_14default_configENS1_36segmented_radix_sort_config_selectorIblEEZNS1_25segmented_radix_sort_implIS3_Lb0EPKbPbPKlPlN2at6native12_GLOBAL__N_18offset_tEEE10hipError_tPvRmT1_PNSt15iterator_traitsISK_E10value_typeET2_T3_PNSL_ISQ_E10value_typeET4_jRbjT5_SW_jjP12ihipStream_tbEUlT_E1_NS1_11comp_targetILNS1_3genE9ELNS1_11target_archE1100ELNS1_3gpuE3ELNS1_3repE0EEENS1_59segmented_radix_sort_warp_sort_small_config_static_selectorELNS0_4arch9wavefront6targetE0EEEvSK_
		.amdhsa_group_segment_fixed_size 0
		.amdhsa_private_segment_fixed_size 0
		.amdhsa_kernarg_size 88
		.amdhsa_user_sgpr_count 2
		.amdhsa_user_sgpr_dispatch_ptr 0
		.amdhsa_user_sgpr_queue_ptr 0
		.amdhsa_user_sgpr_kernarg_segment_ptr 1
		.amdhsa_user_sgpr_dispatch_id 0
		.amdhsa_user_sgpr_kernarg_preload_length 0
		.amdhsa_user_sgpr_kernarg_preload_offset 0
		.amdhsa_user_sgpr_private_segment_size 0
		.amdhsa_wavefront_size32 1
		.amdhsa_uses_dynamic_stack 0
		.amdhsa_enable_private_segment 0
		.amdhsa_system_sgpr_workgroup_id_x 1
		.amdhsa_system_sgpr_workgroup_id_y 0
		.amdhsa_system_sgpr_workgroup_id_z 0
		.amdhsa_system_sgpr_workgroup_info 0
		.amdhsa_system_vgpr_workitem_id 0
		.amdhsa_next_free_vgpr 1
		.amdhsa_next_free_sgpr 1
		.amdhsa_named_barrier_count 0
		.amdhsa_reserve_vcc 0
		.amdhsa_float_round_mode_32 0
		.amdhsa_float_round_mode_16_64 0
		.amdhsa_float_denorm_mode_32 3
		.amdhsa_float_denorm_mode_16_64 3
		.amdhsa_fp16_overflow 0
		.amdhsa_memory_ordered 1
		.amdhsa_forward_progress 1
		.amdhsa_inst_pref_size 0
		.amdhsa_round_robin_scheduling 0
		.amdhsa_exception_fp_ieee_invalid_op 0
		.amdhsa_exception_fp_denorm_src 0
		.amdhsa_exception_fp_ieee_div_zero 0
		.amdhsa_exception_fp_ieee_overflow 0
		.amdhsa_exception_fp_ieee_underflow 0
		.amdhsa_exception_fp_ieee_inexact 0
		.amdhsa_exception_int_div_zero 0
	.end_amdhsa_kernel
	.section	.text._ZN7rocprim17ROCPRIM_400000_NS6detail17trampoline_kernelINS0_14default_configENS1_36segmented_radix_sort_config_selectorIblEEZNS1_25segmented_radix_sort_implIS3_Lb0EPKbPbPKlPlN2at6native12_GLOBAL__N_18offset_tEEE10hipError_tPvRmT1_PNSt15iterator_traitsISK_E10value_typeET2_T3_PNSL_ISQ_E10value_typeET4_jRbjT5_SW_jjP12ihipStream_tbEUlT_E1_NS1_11comp_targetILNS1_3genE9ELNS1_11target_archE1100ELNS1_3gpuE3ELNS1_3repE0EEENS1_59segmented_radix_sort_warp_sort_small_config_static_selectorELNS0_4arch9wavefront6targetE0EEEvSK_,"axG",@progbits,_ZN7rocprim17ROCPRIM_400000_NS6detail17trampoline_kernelINS0_14default_configENS1_36segmented_radix_sort_config_selectorIblEEZNS1_25segmented_radix_sort_implIS3_Lb0EPKbPbPKlPlN2at6native12_GLOBAL__N_18offset_tEEE10hipError_tPvRmT1_PNSt15iterator_traitsISK_E10value_typeET2_T3_PNSL_ISQ_E10value_typeET4_jRbjT5_SW_jjP12ihipStream_tbEUlT_E1_NS1_11comp_targetILNS1_3genE9ELNS1_11target_archE1100ELNS1_3gpuE3ELNS1_3repE0EEENS1_59segmented_radix_sort_warp_sort_small_config_static_selectorELNS0_4arch9wavefront6targetE0EEEvSK_,comdat
.Lfunc_end1653:
	.size	_ZN7rocprim17ROCPRIM_400000_NS6detail17trampoline_kernelINS0_14default_configENS1_36segmented_radix_sort_config_selectorIblEEZNS1_25segmented_radix_sort_implIS3_Lb0EPKbPbPKlPlN2at6native12_GLOBAL__N_18offset_tEEE10hipError_tPvRmT1_PNSt15iterator_traitsISK_E10value_typeET2_T3_PNSL_ISQ_E10value_typeET4_jRbjT5_SW_jjP12ihipStream_tbEUlT_E1_NS1_11comp_targetILNS1_3genE9ELNS1_11target_archE1100ELNS1_3gpuE3ELNS1_3repE0EEENS1_59segmented_radix_sort_warp_sort_small_config_static_selectorELNS0_4arch9wavefront6targetE0EEEvSK_, .Lfunc_end1653-_ZN7rocprim17ROCPRIM_400000_NS6detail17trampoline_kernelINS0_14default_configENS1_36segmented_radix_sort_config_selectorIblEEZNS1_25segmented_radix_sort_implIS3_Lb0EPKbPbPKlPlN2at6native12_GLOBAL__N_18offset_tEEE10hipError_tPvRmT1_PNSt15iterator_traitsISK_E10value_typeET2_T3_PNSL_ISQ_E10value_typeET4_jRbjT5_SW_jjP12ihipStream_tbEUlT_E1_NS1_11comp_targetILNS1_3genE9ELNS1_11target_archE1100ELNS1_3gpuE3ELNS1_3repE0EEENS1_59segmented_radix_sort_warp_sort_small_config_static_selectorELNS0_4arch9wavefront6targetE0EEEvSK_
                                        ; -- End function
	.set _ZN7rocprim17ROCPRIM_400000_NS6detail17trampoline_kernelINS0_14default_configENS1_36segmented_radix_sort_config_selectorIblEEZNS1_25segmented_radix_sort_implIS3_Lb0EPKbPbPKlPlN2at6native12_GLOBAL__N_18offset_tEEE10hipError_tPvRmT1_PNSt15iterator_traitsISK_E10value_typeET2_T3_PNSL_ISQ_E10value_typeET4_jRbjT5_SW_jjP12ihipStream_tbEUlT_E1_NS1_11comp_targetILNS1_3genE9ELNS1_11target_archE1100ELNS1_3gpuE3ELNS1_3repE0EEENS1_59segmented_radix_sort_warp_sort_small_config_static_selectorELNS0_4arch9wavefront6targetE0EEEvSK_.num_vgpr, 0
	.set _ZN7rocprim17ROCPRIM_400000_NS6detail17trampoline_kernelINS0_14default_configENS1_36segmented_radix_sort_config_selectorIblEEZNS1_25segmented_radix_sort_implIS3_Lb0EPKbPbPKlPlN2at6native12_GLOBAL__N_18offset_tEEE10hipError_tPvRmT1_PNSt15iterator_traitsISK_E10value_typeET2_T3_PNSL_ISQ_E10value_typeET4_jRbjT5_SW_jjP12ihipStream_tbEUlT_E1_NS1_11comp_targetILNS1_3genE9ELNS1_11target_archE1100ELNS1_3gpuE3ELNS1_3repE0EEENS1_59segmented_radix_sort_warp_sort_small_config_static_selectorELNS0_4arch9wavefront6targetE0EEEvSK_.num_agpr, 0
	.set _ZN7rocprim17ROCPRIM_400000_NS6detail17trampoline_kernelINS0_14default_configENS1_36segmented_radix_sort_config_selectorIblEEZNS1_25segmented_radix_sort_implIS3_Lb0EPKbPbPKlPlN2at6native12_GLOBAL__N_18offset_tEEE10hipError_tPvRmT1_PNSt15iterator_traitsISK_E10value_typeET2_T3_PNSL_ISQ_E10value_typeET4_jRbjT5_SW_jjP12ihipStream_tbEUlT_E1_NS1_11comp_targetILNS1_3genE9ELNS1_11target_archE1100ELNS1_3gpuE3ELNS1_3repE0EEENS1_59segmented_radix_sort_warp_sort_small_config_static_selectorELNS0_4arch9wavefront6targetE0EEEvSK_.numbered_sgpr, 0
	.set _ZN7rocprim17ROCPRIM_400000_NS6detail17trampoline_kernelINS0_14default_configENS1_36segmented_radix_sort_config_selectorIblEEZNS1_25segmented_radix_sort_implIS3_Lb0EPKbPbPKlPlN2at6native12_GLOBAL__N_18offset_tEEE10hipError_tPvRmT1_PNSt15iterator_traitsISK_E10value_typeET2_T3_PNSL_ISQ_E10value_typeET4_jRbjT5_SW_jjP12ihipStream_tbEUlT_E1_NS1_11comp_targetILNS1_3genE9ELNS1_11target_archE1100ELNS1_3gpuE3ELNS1_3repE0EEENS1_59segmented_radix_sort_warp_sort_small_config_static_selectorELNS0_4arch9wavefront6targetE0EEEvSK_.num_named_barrier, 0
	.set _ZN7rocprim17ROCPRIM_400000_NS6detail17trampoline_kernelINS0_14default_configENS1_36segmented_radix_sort_config_selectorIblEEZNS1_25segmented_radix_sort_implIS3_Lb0EPKbPbPKlPlN2at6native12_GLOBAL__N_18offset_tEEE10hipError_tPvRmT1_PNSt15iterator_traitsISK_E10value_typeET2_T3_PNSL_ISQ_E10value_typeET4_jRbjT5_SW_jjP12ihipStream_tbEUlT_E1_NS1_11comp_targetILNS1_3genE9ELNS1_11target_archE1100ELNS1_3gpuE3ELNS1_3repE0EEENS1_59segmented_radix_sort_warp_sort_small_config_static_selectorELNS0_4arch9wavefront6targetE0EEEvSK_.private_seg_size, 0
	.set _ZN7rocprim17ROCPRIM_400000_NS6detail17trampoline_kernelINS0_14default_configENS1_36segmented_radix_sort_config_selectorIblEEZNS1_25segmented_radix_sort_implIS3_Lb0EPKbPbPKlPlN2at6native12_GLOBAL__N_18offset_tEEE10hipError_tPvRmT1_PNSt15iterator_traitsISK_E10value_typeET2_T3_PNSL_ISQ_E10value_typeET4_jRbjT5_SW_jjP12ihipStream_tbEUlT_E1_NS1_11comp_targetILNS1_3genE9ELNS1_11target_archE1100ELNS1_3gpuE3ELNS1_3repE0EEENS1_59segmented_radix_sort_warp_sort_small_config_static_selectorELNS0_4arch9wavefront6targetE0EEEvSK_.uses_vcc, 0
	.set _ZN7rocprim17ROCPRIM_400000_NS6detail17trampoline_kernelINS0_14default_configENS1_36segmented_radix_sort_config_selectorIblEEZNS1_25segmented_radix_sort_implIS3_Lb0EPKbPbPKlPlN2at6native12_GLOBAL__N_18offset_tEEE10hipError_tPvRmT1_PNSt15iterator_traitsISK_E10value_typeET2_T3_PNSL_ISQ_E10value_typeET4_jRbjT5_SW_jjP12ihipStream_tbEUlT_E1_NS1_11comp_targetILNS1_3genE9ELNS1_11target_archE1100ELNS1_3gpuE3ELNS1_3repE0EEENS1_59segmented_radix_sort_warp_sort_small_config_static_selectorELNS0_4arch9wavefront6targetE0EEEvSK_.uses_flat_scratch, 0
	.set _ZN7rocprim17ROCPRIM_400000_NS6detail17trampoline_kernelINS0_14default_configENS1_36segmented_radix_sort_config_selectorIblEEZNS1_25segmented_radix_sort_implIS3_Lb0EPKbPbPKlPlN2at6native12_GLOBAL__N_18offset_tEEE10hipError_tPvRmT1_PNSt15iterator_traitsISK_E10value_typeET2_T3_PNSL_ISQ_E10value_typeET4_jRbjT5_SW_jjP12ihipStream_tbEUlT_E1_NS1_11comp_targetILNS1_3genE9ELNS1_11target_archE1100ELNS1_3gpuE3ELNS1_3repE0EEENS1_59segmented_radix_sort_warp_sort_small_config_static_selectorELNS0_4arch9wavefront6targetE0EEEvSK_.has_dyn_sized_stack, 0
	.set _ZN7rocprim17ROCPRIM_400000_NS6detail17trampoline_kernelINS0_14default_configENS1_36segmented_radix_sort_config_selectorIblEEZNS1_25segmented_radix_sort_implIS3_Lb0EPKbPbPKlPlN2at6native12_GLOBAL__N_18offset_tEEE10hipError_tPvRmT1_PNSt15iterator_traitsISK_E10value_typeET2_T3_PNSL_ISQ_E10value_typeET4_jRbjT5_SW_jjP12ihipStream_tbEUlT_E1_NS1_11comp_targetILNS1_3genE9ELNS1_11target_archE1100ELNS1_3gpuE3ELNS1_3repE0EEENS1_59segmented_radix_sort_warp_sort_small_config_static_selectorELNS0_4arch9wavefront6targetE0EEEvSK_.has_recursion, 0
	.set _ZN7rocprim17ROCPRIM_400000_NS6detail17trampoline_kernelINS0_14default_configENS1_36segmented_radix_sort_config_selectorIblEEZNS1_25segmented_radix_sort_implIS3_Lb0EPKbPbPKlPlN2at6native12_GLOBAL__N_18offset_tEEE10hipError_tPvRmT1_PNSt15iterator_traitsISK_E10value_typeET2_T3_PNSL_ISQ_E10value_typeET4_jRbjT5_SW_jjP12ihipStream_tbEUlT_E1_NS1_11comp_targetILNS1_3genE9ELNS1_11target_archE1100ELNS1_3gpuE3ELNS1_3repE0EEENS1_59segmented_radix_sort_warp_sort_small_config_static_selectorELNS0_4arch9wavefront6targetE0EEEvSK_.has_indirect_call, 0
	.section	.AMDGPU.csdata,"",@progbits
; Kernel info:
; codeLenInByte = 0
; TotalNumSgprs: 0
; NumVgprs: 0
; ScratchSize: 0
; MemoryBound: 0
; FloatMode: 240
; IeeeMode: 1
; LDSByteSize: 0 bytes/workgroup (compile time only)
; SGPRBlocks: 0
; VGPRBlocks: 0
; NumSGPRsForWavesPerEU: 1
; NumVGPRsForWavesPerEU: 1
; NamedBarCnt: 0
; Occupancy: 16
; WaveLimiterHint : 0
; COMPUTE_PGM_RSRC2:SCRATCH_EN: 0
; COMPUTE_PGM_RSRC2:USER_SGPR: 2
; COMPUTE_PGM_RSRC2:TRAP_HANDLER: 0
; COMPUTE_PGM_RSRC2:TGID_X_EN: 1
; COMPUTE_PGM_RSRC2:TGID_Y_EN: 0
; COMPUTE_PGM_RSRC2:TGID_Z_EN: 0
; COMPUTE_PGM_RSRC2:TIDIG_COMP_CNT: 0
	.section	.text._ZN7rocprim17ROCPRIM_400000_NS6detail17trampoline_kernelINS0_14default_configENS1_36segmented_radix_sort_config_selectorIblEEZNS1_25segmented_radix_sort_implIS3_Lb0EPKbPbPKlPlN2at6native12_GLOBAL__N_18offset_tEEE10hipError_tPvRmT1_PNSt15iterator_traitsISK_E10value_typeET2_T3_PNSL_ISQ_E10value_typeET4_jRbjT5_SW_jjP12ihipStream_tbEUlT_E1_NS1_11comp_targetILNS1_3genE8ELNS1_11target_archE1030ELNS1_3gpuE2ELNS1_3repE0EEENS1_59segmented_radix_sort_warp_sort_small_config_static_selectorELNS0_4arch9wavefront6targetE0EEEvSK_,"axG",@progbits,_ZN7rocprim17ROCPRIM_400000_NS6detail17trampoline_kernelINS0_14default_configENS1_36segmented_radix_sort_config_selectorIblEEZNS1_25segmented_radix_sort_implIS3_Lb0EPKbPbPKlPlN2at6native12_GLOBAL__N_18offset_tEEE10hipError_tPvRmT1_PNSt15iterator_traitsISK_E10value_typeET2_T3_PNSL_ISQ_E10value_typeET4_jRbjT5_SW_jjP12ihipStream_tbEUlT_E1_NS1_11comp_targetILNS1_3genE8ELNS1_11target_archE1030ELNS1_3gpuE2ELNS1_3repE0EEENS1_59segmented_radix_sort_warp_sort_small_config_static_selectorELNS0_4arch9wavefront6targetE0EEEvSK_,comdat
	.globl	_ZN7rocprim17ROCPRIM_400000_NS6detail17trampoline_kernelINS0_14default_configENS1_36segmented_radix_sort_config_selectorIblEEZNS1_25segmented_radix_sort_implIS3_Lb0EPKbPbPKlPlN2at6native12_GLOBAL__N_18offset_tEEE10hipError_tPvRmT1_PNSt15iterator_traitsISK_E10value_typeET2_T3_PNSL_ISQ_E10value_typeET4_jRbjT5_SW_jjP12ihipStream_tbEUlT_E1_NS1_11comp_targetILNS1_3genE8ELNS1_11target_archE1030ELNS1_3gpuE2ELNS1_3repE0EEENS1_59segmented_radix_sort_warp_sort_small_config_static_selectorELNS0_4arch9wavefront6targetE0EEEvSK_ ; -- Begin function _ZN7rocprim17ROCPRIM_400000_NS6detail17trampoline_kernelINS0_14default_configENS1_36segmented_radix_sort_config_selectorIblEEZNS1_25segmented_radix_sort_implIS3_Lb0EPKbPbPKlPlN2at6native12_GLOBAL__N_18offset_tEEE10hipError_tPvRmT1_PNSt15iterator_traitsISK_E10value_typeET2_T3_PNSL_ISQ_E10value_typeET4_jRbjT5_SW_jjP12ihipStream_tbEUlT_E1_NS1_11comp_targetILNS1_3genE8ELNS1_11target_archE1030ELNS1_3gpuE2ELNS1_3repE0EEENS1_59segmented_radix_sort_warp_sort_small_config_static_selectorELNS0_4arch9wavefront6targetE0EEEvSK_
	.p2align	8
	.type	_ZN7rocprim17ROCPRIM_400000_NS6detail17trampoline_kernelINS0_14default_configENS1_36segmented_radix_sort_config_selectorIblEEZNS1_25segmented_radix_sort_implIS3_Lb0EPKbPbPKlPlN2at6native12_GLOBAL__N_18offset_tEEE10hipError_tPvRmT1_PNSt15iterator_traitsISK_E10value_typeET2_T3_PNSL_ISQ_E10value_typeET4_jRbjT5_SW_jjP12ihipStream_tbEUlT_E1_NS1_11comp_targetILNS1_3genE8ELNS1_11target_archE1030ELNS1_3gpuE2ELNS1_3repE0EEENS1_59segmented_radix_sort_warp_sort_small_config_static_selectorELNS0_4arch9wavefront6targetE0EEEvSK_,@function
_ZN7rocprim17ROCPRIM_400000_NS6detail17trampoline_kernelINS0_14default_configENS1_36segmented_radix_sort_config_selectorIblEEZNS1_25segmented_radix_sort_implIS3_Lb0EPKbPbPKlPlN2at6native12_GLOBAL__N_18offset_tEEE10hipError_tPvRmT1_PNSt15iterator_traitsISK_E10value_typeET2_T3_PNSL_ISQ_E10value_typeET4_jRbjT5_SW_jjP12ihipStream_tbEUlT_E1_NS1_11comp_targetILNS1_3genE8ELNS1_11target_archE1030ELNS1_3gpuE2ELNS1_3repE0EEENS1_59segmented_radix_sort_warp_sort_small_config_static_selectorELNS0_4arch9wavefront6targetE0EEEvSK_: ; @_ZN7rocprim17ROCPRIM_400000_NS6detail17trampoline_kernelINS0_14default_configENS1_36segmented_radix_sort_config_selectorIblEEZNS1_25segmented_radix_sort_implIS3_Lb0EPKbPbPKlPlN2at6native12_GLOBAL__N_18offset_tEEE10hipError_tPvRmT1_PNSt15iterator_traitsISK_E10value_typeET2_T3_PNSL_ISQ_E10value_typeET4_jRbjT5_SW_jjP12ihipStream_tbEUlT_E1_NS1_11comp_targetILNS1_3genE8ELNS1_11target_archE1030ELNS1_3gpuE2ELNS1_3repE0EEENS1_59segmented_radix_sort_warp_sort_small_config_static_selectorELNS0_4arch9wavefront6targetE0EEEvSK_
; %bb.0:
	.section	.rodata,"a",@progbits
	.p2align	6, 0x0
	.amdhsa_kernel _ZN7rocprim17ROCPRIM_400000_NS6detail17trampoline_kernelINS0_14default_configENS1_36segmented_radix_sort_config_selectorIblEEZNS1_25segmented_radix_sort_implIS3_Lb0EPKbPbPKlPlN2at6native12_GLOBAL__N_18offset_tEEE10hipError_tPvRmT1_PNSt15iterator_traitsISK_E10value_typeET2_T3_PNSL_ISQ_E10value_typeET4_jRbjT5_SW_jjP12ihipStream_tbEUlT_E1_NS1_11comp_targetILNS1_3genE8ELNS1_11target_archE1030ELNS1_3gpuE2ELNS1_3repE0EEENS1_59segmented_radix_sort_warp_sort_small_config_static_selectorELNS0_4arch9wavefront6targetE0EEEvSK_
		.amdhsa_group_segment_fixed_size 0
		.amdhsa_private_segment_fixed_size 0
		.amdhsa_kernarg_size 88
		.amdhsa_user_sgpr_count 2
		.amdhsa_user_sgpr_dispatch_ptr 0
		.amdhsa_user_sgpr_queue_ptr 0
		.amdhsa_user_sgpr_kernarg_segment_ptr 1
		.amdhsa_user_sgpr_dispatch_id 0
		.amdhsa_user_sgpr_kernarg_preload_length 0
		.amdhsa_user_sgpr_kernarg_preload_offset 0
		.amdhsa_user_sgpr_private_segment_size 0
		.amdhsa_wavefront_size32 1
		.amdhsa_uses_dynamic_stack 0
		.amdhsa_enable_private_segment 0
		.amdhsa_system_sgpr_workgroup_id_x 1
		.amdhsa_system_sgpr_workgroup_id_y 0
		.amdhsa_system_sgpr_workgroup_id_z 0
		.amdhsa_system_sgpr_workgroup_info 0
		.amdhsa_system_vgpr_workitem_id 0
		.amdhsa_next_free_vgpr 1
		.amdhsa_next_free_sgpr 1
		.amdhsa_named_barrier_count 0
		.amdhsa_reserve_vcc 0
		.amdhsa_float_round_mode_32 0
		.amdhsa_float_round_mode_16_64 0
		.amdhsa_float_denorm_mode_32 3
		.amdhsa_float_denorm_mode_16_64 3
		.amdhsa_fp16_overflow 0
		.amdhsa_memory_ordered 1
		.amdhsa_forward_progress 1
		.amdhsa_inst_pref_size 0
		.amdhsa_round_robin_scheduling 0
		.amdhsa_exception_fp_ieee_invalid_op 0
		.amdhsa_exception_fp_denorm_src 0
		.amdhsa_exception_fp_ieee_div_zero 0
		.amdhsa_exception_fp_ieee_overflow 0
		.amdhsa_exception_fp_ieee_underflow 0
		.amdhsa_exception_fp_ieee_inexact 0
		.amdhsa_exception_int_div_zero 0
	.end_amdhsa_kernel
	.section	.text._ZN7rocprim17ROCPRIM_400000_NS6detail17trampoline_kernelINS0_14default_configENS1_36segmented_radix_sort_config_selectorIblEEZNS1_25segmented_radix_sort_implIS3_Lb0EPKbPbPKlPlN2at6native12_GLOBAL__N_18offset_tEEE10hipError_tPvRmT1_PNSt15iterator_traitsISK_E10value_typeET2_T3_PNSL_ISQ_E10value_typeET4_jRbjT5_SW_jjP12ihipStream_tbEUlT_E1_NS1_11comp_targetILNS1_3genE8ELNS1_11target_archE1030ELNS1_3gpuE2ELNS1_3repE0EEENS1_59segmented_radix_sort_warp_sort_small_config_static_selectorELNS0_4arch9wavefront6targetE0EEEvSK_,"axG",@progbits,_ZN7rocprim17ROCPRIM_400000_NS6detail17trampoline_kernelINS0_14default_configENS1_36segmented_radix_sort_config_selectorIblEEZNS1_25segmented_radix_sort_implIS3_Lb0EPKbPbPKlPlN2at6native12_GLOBAL__N_18offset_tEEE10hipError_tPvRmT1_PNSt15iterator_traitsISK_E10value_typeET2_T3_PNSL_ISQ_E10value_typeET4_jRbjT5_SW_jjP12ihipStream_tbEUlT_E1_NS1_11comp_targetILNS1_3genE8ELNS1_11target_archE1030ELNS1_3gpuE2ELNS1_3repE0EEENS1_59segmented_radix_sort_warp_sort_small_config_static_selectorELNS0_4arch9wavefront6targetE0EEEvSK_,comdat
.Lfunc_end1654:
	.size	_ZN7rocprim17ROCPRIM_400000_NS6detail17trampoline_kernelINS0_14default_configENS1_36segmented_radix_sort_config_selectorIblEEZNS1_25segmented_radix_sort_implIS3_Lb0EPKbPbPKlPlN2at6native12_GLOBAL__N_18offset_tEEE10hipError_tPvRmT1_PNSt15iterator_traitsISK_E10value_typeET2_T3_PNSL_ISQ_E10value_typeET4_jRbjT5_SW_jjP12ihipStream_tbEUlT_E1_NS1_11comp_targetILNS1_3genE8ELNS1_11target_archE1030ELNS1_3gpuE2ELNS1_3repE0EEENS1_59segmented_radix_sort_warp_sort_small_config_static_selectorELNS0_4arch9wavefront6targetE0EEEvSK_, .Lfunc_end1654-_ZN7rocprim17ROCPRIM_400000_NS6detail17trampoline_kernelINS0_14default_configENS1_36segmented_radix_sort_config_selectorIblEEZNS1_25segmented_radix_sort_implIS3_Lb0EPKbPbPKlPlN2at6native12_GLOBAL__N_18offset_tEEE10hipError_tPvRmT1_PNSt15iterator_traitsISK_E10value_typeET2_T3_PNSL_ISQ_E10value_typeET4_jRbjT5_SW_jjP12ihipStream_tbEUlT_E1_NS1_11comp_targetILNS1_3genE8ELNS1_11target_archE1030ELNS1_3gpuE2ELNS1_3repE0EEENS1_59segmented_radix_sort_warp_sort_small_config_static_selectorELNS0_4arch9wavefront6targetE0EEEvSK_
                                        ; -- End function
	.set _ZN7rocprim17ROCPRIM_400000_NS6detail17trampoline_kernelINS0_14default_configENS1_36segmented_radix_sort_config_selectorIblEEZNS1_25segmented_radix_sort_implIS3_Lb0EPKbPbPKlPlN2at6native12_GLOBAL__N_18offset_tEEE10hipError_tPvRmT1_PNSt15iterator_traitsISK_E10value_typeET2_T3_PNSL_ISQ_E10value_typeET4_jRbjT5_SW_jjP12ihipStream_tbEUlT_E1_NS1_11comp_targetILNS1_3genE8ELNS1_11target_archE1030ELNS1_3gpuE2ELNS1_3repE0EEENS1_59segmented_radix_sort_warp_sort_small_config_static_selectorELNS0_4arch9wavefront6targetE0EEEvSK_.num_vgpr, 0
	.set _ZN7rocprim17ROCPRIM_400000_NS6detail17trampoline_kernelINS0_14default_configENS1_36segmented_radix_sort_config_selectorIblEEZNS1_25segmented_radix_sort_implIS3_Lb0EPKbPbPKlPlN2at6native12_GLOBAL__N_18offset_tEEE10hipError_tPvRmT1_PNSt15iterator_traitsISK_E10value_typeET2_T3_PNSL_ISQ_E10value_typeET4_jRbjT5_SW_jjP12ihipStream_tbEUlT_E1_NS1_11comp_targetILNS1_3genE8ELNS1_11target_archE1030ELNS1_3gpuE2ELNS1_3repE0EEENS1_59segmented_radix_sort_warp_sort_small_config_static_selectorELNS0_4arch9wavefront6targetE0EEEvSK_.num_agpr, 0
	.set _ZN7rocprim17ROCPRIM_400000_NS6detail17trampoline_kernelINS0_14default_configENS1_36segmented_radix_sort_config_selectorIblEEZNS1_25segmented_radix_sort_implIS3_Lb0EPKbPbPKlPlN2at6native12_GLOBAL__N_18offset_tEEE10hipError_tPvRmT1_PNSt15iterator_traitsISK_E10value_typeET2_T3_PNSL_ISQ_E10value_typeET4_jRbjT5_SW_jjP12ihipStream_tbEUlT_E1_NS1_11comp_targetILNS1_3genE8ELNS1_11target_archE1030ELNS1_3gpuE2ELNS1_3repE0EEENS1_59segmented_radix_sort_warp_sort_small_config_static_selectorELNS0_4arch9wavefront6targetE0EEEvSK_.numbered_sgpr, 0
	.set _ZN7rocprim17ROCPRIM_400000_NS6detail17trampoline_kernelINS0_14default_configENS1_36segmented_radix_sort_config_selectorIblEEZNS1_25segmented_radix_sort_implIS3_Lb0EPKbPbPKlPlN2at6native12_GLOBAL__N_18offset_tEEE10hipError_tPvRmT1_PNSt15iterator_traitsISK_E10value_typeET2_T3_PNSL_ISQ_E10value_typeET4_jRbjT5_SW_jjP12ihipStream_tbEUlT_E1_NS1_11comp_targetILNS1_3genE8ELNS1_11target_archE1030ELNS1_3gpuE2ELNS1_3repE0EEENS1_59segmented_radix_sort_warp_sort_small_config_static_selectorELNS0_4arch9wavefront6targetE0EEEvSK_.num_named_barrier, 0
	.set _ZN7rocprim17ROCPRIM_400000_NS6detail17trampoline_kernelINS0_14default_configENS1_36segmented_radix_sort_config_selectorIblEEZNS1_25segmented_radix_sort_implIS3_Lb0EPKbPbPKlPlN2at6native12_GLOBAL__N_18offset_tEEE10hipError_tPvRmT1_PNSt15iterator_traitsISK_E10value_typeET2_T3_PNSL_ISQ_E10value_typeET4_jRbjT5_SW_jjP12ihipStream_tbEUlT_E1_NS1_11comp_targetILNS1_3genE8ELNS1_11target_archE1030ELNS1_3gpuE2ELNS1_3repE0EEENS1_59segmented_radix_sort_warp_sort_small_config_static_selectorELNS0_4arch9wavefront6targetE0EEEvSK_.private_seg_size, 0
	.set _ZN7rocprim17ROCPRIM_400000_NS6detail17trampoline_kernelINS0_14default_configENS1_36segmented_radix_sort_config_selectorIblEEZNS1_25segmented_radix_sort_implIS3_Lb0EPKbPbPKlPlN2at6native12_GLOBAL__N_18offset_tEEE10hipError_tPvRmT1_PNSt15iterator_traitsISK_E10value_typeET2_T3_PNSL_ISQ_E10value_typeET4_jRbjT5_SW_jjP12ihipStream_tbEUlT_E1_NS1_11comp_targetILNS1_3genE8ELNS1_11target_archE1030ELNS1_3gpuE2ELNS1_3repE0EEENS1_59segmented_radix_sort_warp_sort_small_config_static_selectorELNS0_4arch9wavefront6targetE0EEEvSK_.uses_vcc, 0
	.set _ZN7rocprim17ROCPRIM_400000_NS6detail17trampoline_kernelINS0_14default_configENS1_36segmented_radix_sort_config_selectorIblEEZNS1_25segmented_radix_sort_implIS3_Lb0EPKbPbPKlPlN2at6native12_GLOBAL__N_18offset_tEEE10hipError_tPvRmT1_PNSt15iterator_traitsISK_E10value_typeET2_T3_PNSL_ISQ_E10value_typeET4_jRbjT5_SW_jjP12ihipStream_tbEUlT_E1_NS1_11comp_targetILNS1_3genE8ELNS1_11target_archE1030ELNS1_3gpuE2ELNS1_3repE0EEENS1_59segmented_radix_sort_warp_sort_small_config_static_selectorELNS0_4arch9wavefront6targetE0EEEvSK_.uses_flat_scratch, 0
	.set _ZN7rocprim17ROCPRIM_400000_NS6detail17trampoline_kernelINS0_14default_configENS1_36segmented_radix_sort_config_selectorIblEEZNS1_25segmented_radix_sort_implIS3_Lb0EPKbPbPKlPlN2at6native12_GLOBAL__N_18offset_tEEE10hipError_tPvRmT1_PNSt15iterator_traitsISK_E10value_typeET2_T3_PNSL_ISQ_E10value_typeET4_jRbjT5_SW_jjP12ihipStream_tbEUlT_E1_NS1_11comp_targetILNS1_3genE8ELNS1_11target_archE1030ELNS1_3gpuE2ELNS1_3repE0EEENS1_59segmented_radix_sort_warp_sort_small_config_static_selectorELNS0_4arch9wavefront6targetE0EEEvSK_.has_dyn_sized_stack, 0
	.set _ZN7rocprim17ROCPRIM_400000_NS6detail17trampoline_kernelINS0_14default_configENS1_36segmented_radix_sort_config_selectorIblEEZNS1_25segmented_radix_sort_implIS3_Lb0EPKbPbPKlPlN2at6native12_GLOBAL__N_18offset_tEEE10hipError_tPvRmT1_PNSt15iterator_traitsISK_E10value_typeET2_T3_PNSL_ISQ_E10value_typeET4_jRbjT5_SW_jjP12ihipStream_tbEUlT_E1_NS1_11comp_targetILNS1_3genE8ELNS1_11target_archE1030ELNS1_3gpuE2ELNS1_3repE0EEENS1_59segmented_radix_sort_warp_sort_small_config_static_selectorELNS0_4arch9wavefront6targetE0EEEvSK_.has_recursion, 0
	.set _ZN7rocprim17ROCPRIM_400000_NS6detail17trampoline_kernelINS0_14default_configENS1_36segmented_radix_sort_config_selectorIblEEZNS1_25segmented_radix_sort_implIS3_Lb0EPKbPbPKlPlN2at6native12_GLOBAL__N_18offset_tEEE10hipError_tPvRmT1_PNSt15iterator_traitsISK_E10value_typeET2_T3_PNSL_ISQ_E10value_typeET4_jRbjT5_SW_jjP12ihipStream_tbEUlT_E1_NS1_11comp_targetILNS1_3genE8ELNS1_11target_archE1030ELNS1_3gpuE2ELNS1_3repE0EEENS1_59segmented_radix_sort_warp_sort_small_config_static_selectorELNS0_4arch9wavefront6targetE0EEEvSK_.has_indirect_call, 0
	.section	.AMDGPU.csdata,"",@progbits
; Kernel info:
; codeLenInByte = 0
; TotalNumSgprs: 0
; NumVgprs: 0
; ScratchSize: 0
; MemoryBound: 0
; FloatMode: 240
; IeeeMode: 1
; LDSByteSize: 0 bytes/workgroup (compile time only)
; SGPRBlocks: 0
; VGPRBlocks: 0
; NumSGPRsForWavesPerEU: 1
; NumVGPRsForWavesPerEU: 1
; NamedBarCnt: 0
; Occupancy: 16
; WaveLimiterHint : 0
; COMPUTE_PGM_RSRC2:SCRATCH_EN: 0
; COMPUTE_PGM_RSRC2:USER_SGPR: 2
; COMPUTE_PGM_RSRC2:TRAP_HANDLER: 0
; COMPUTE_PGM_RSRC2:TGID_X_EN: 1
; COMPUTE_PGM_RSRC2:TGID_Y_EN: 0
; COMPUTE_PGM_RSRC2:TGID_Z_EN: 0
; COMPUTE_PGM_RSRC2:TIDIG_COMP_CNT: 0
	.section	.text._ZN7rocprim17ROCPRIM_400000_NS6detail17trampoline_kernelINS0_14default_configENS1_36segmented_radix_sort_config_selectorIblEEZNS1_25segmented_radix_sort_implIS3_Lb0EPKbPbPKlPlN2at6native12_GLOBAL__N_18offset_tEEE10hipError_tPvRmT1_PNSt15iterator_traitsISK_E10value_typeET2_T3_PNSL_ISQ_E10value_typeET4_jRbjT5_SW_jjP12ihipStream_tbEUlT_E2_NS1_11comp_targetILNS1_3genE0ELNS1_11target_archE4294967295ELNS1_3gpuE0ELNS1_3repE0EEENS1_30default_config_static_selectorELNS0_4arch9wavefront6targetE0EEEvSK_,"axG",@progbits,_ZN7rocprim17ROCPRIM_400000_NS6detail17trampoline_kernelINS0_14default_configENS1_36segmented_radix_sort_config_selectorIblEEZNS1_25segmented_radix_sort_implIS3_Lb0EPKbPbPKlPlN2at6native12_GLOBAL__N_18offset_tEEE10hipError_tPvRmT1_PNSt15iterator_traitsISK_E10value_typeET2_T3_PNSL_ISQ_E10value_typeET4_jRbjT5_SW_jjP12ihipStream_tbEUlT_E2_NS1_11comp_targetILNS1_3genE0ELNS1_11target_archE4294967295ELNS1_3gpuE0ELNS1_3repE0EEENS1_30default_config_static_selectorELNS0_4arch9wavefront6targetE0EEEvSK_,comdat
	.globl	_ZN7rocprim17ROCPRIM_400000_NS6detail17trampoline_kernelINS0_14default_configENS1_36segmented_radix_sort_config_selectorIblEEZNS1_25segmented_radix_sort_implIS3_Lb0EPKbPbPKlPlN2at6native12_GLOBAL__N_18offset_tEEE10hipError_tPvRmT1_PNSt15iterator_traitsISK_E10value_typeET2_T3_PNSL_ISQ_E10value_typeET4_jRbjT5_SW_jjP12ihipStream_tbEUlT_E2_NS1_11comp_targetILNS1_3genE0ELNS1_11target_archE4294967295ELNS1_3gpuE0ELNS1_3repE0EEENS1_30default_config_static_selectorELNS0_4arch9wavefront6targetE0EEEvSK_ ; -- Begin function _ZN7rocprim17ROCPRIM_400000_NS6detail17trampoline_kernelINS0_14default_configENS1_36segmented_radix_sort_config_selectorIblEEZNS1_25segmented_radix_sort_implIS3_Lb0EPKbPbPKlPlN2at6native12_GLOBAL__N_18offset_tEEE10hipError_tPvRmT1_PNSt15iterator_traitsISK_E10value_typeET2_T3_PNSL_ISQ_E10value_typeET4_jRbjT5_SW_jjP12ihipStream_tbEUlT_E2_NS1_11comp_targetILNS1_3genE0ELNS1_11target_archE4294967295ELNS1_3gpuE0ELNS1_3repE0EEENS1_30default_config_static_selectorELNS0_4arch9wavefront6targetE0EEEvSK_
	.p2align	8
	.type	_ZN7rocprim17ROCPRIM_400000_NS6detail17trampoline_kernelINS0_14default_configENS1_36segmented_radix_sort_config_selectorIblEEZNS1_25segmented_radix_sort_implIS3_Lb0EPKbPbPKlPlN2at6native12_GLOBAL__N_18offset_tEEE10hipError_tPvRmT1_PNSt15iterator_traitsISK_E10value_typeET2_T3_PNSL_ISQ_E10value_typeET4_jRbjT5_SW_jjP12ihipStream_tbEUlT_E2_NS1_11comp_targetILNS1_3genE0ELNS1_11target_archE4294967295ELNS1_3gpuE0ELNS1_3repE0EEENS1_30default_config_static_selectorELNS0_4arch9wavefront6targetE0EEEvSK_,@function
_ZN7rocprim17ROCPRIM_400000_NS6detail17trampoline_kernelINS0_14default_configENS1_36segmented_radix_sort_config_selectorIblEEZNS1_25segmented_radix_sort_implIS3_Lb0EPKbPbPKlPlN2at6native12_GLOBAL__N_18offset_tEEE10hipError_tPvRmT1_PNSt15iterator_traitsISK_E10value_typeET2_T3_PNSL_ISQ_E10value_typeET4_jRbjT5_SW_jjP12ihipStream_tbEUlT_E2_NS1_11comp_targetILNS1_3genE0ELNS1_11target_archE4294967295ELNS1_3gpuE0ELNS1_3repE0EEENS1_30default_config_static_selectorELNS0_4arch9wavefront6targetE0EEEvSK_: ; @_ZN7rocprim17ROCPRIM_400000_NS6detail17trampoline_kernelINS0_14default_configENS1_36segmented_radix_sort_config_selectorIblEEZNS1_25segmented_radix_sort_implIS3_Lb0EPKbPbPKlPlN2at6native12_GLOBAL__N_18offset_tEEE10hipError_tPvRmT1_PNSt15iterator_traitsISK_E10value_typeET2_T3_PNSL_ISQ_E10value_typeET4_jRbjT5_SW_jjP12ihipStream_tbEUlT_E2_NS1_11comp_targetILNS1_3genE0ELNS1_11target_archE4294967295ELNS1_3gpuE0ELNS1_3repE0EEENS1_30default_config_static_selectorELNS0_4arch9wavefront6targetE0EEEvSK_
; %bb.0:
	s_load_b128 s[4:7], s[2:3], 0x34
	s_bfe_u32 s8, ttmp6, 0x4000c
	s_and_b32 s9, ttmp6, 15
	s_add_co_i32 s8, s8, 1
	s_getreg_b32 s28, hwreg(HW_REG_IB_STS2, 6, 4)
	s_mul_i32 s8, ttmp9, s8
	s_mov_b32 s32, 0
	s_add_co_i32 s9, s9, s8
	s_cmp_eq_u32 s28, 0
	s_cselect_b32 s51, ttmp9, s9
	s_wait_kmcnt 0x0
	s_add_co_i32 s54, s7, s51
	s_add_co_i32 s55, s5, s51
	s_mul_i32 s54, s54, s6
	s_mul_i32 s55, s55, s4
	s_delay_alu instid0(SALU_CYCLE_1)
	s_cmp_le_u32 s54, s55
	s_cbranch_scc1 .LBB1655_1262
; %bb.1:
	s_clause 0x3
	s_load_b32 s4, s[2:3], 0x30
	s_load_b128 s[44:47], s[2:3], 0x20
	s_load_b96 s[48:50], s[2:3], 0x44
	s_load_b256 s[36:43], s[2:3], 0x0
	s_wait_kmcnt 0x0
	s_bitcmp1_b32 s4, 0
	s_mov_b32 s4, -1
	s_cselect_b32 s56, -1, 0
	s_sub_co_i32 s57, s54, s55
	s_delay_alu instid0(SALU_CYCLE_1)
	s_cmp_lt_u32 s57, 0x1101
	s_cbranch_scc0 .LBB1655_15
; %bb.2:
	s_cmp_lt_u32 s57, 0x81
	s_cbranch_scc0 .LBB1655_9
; %bb.3:
	s_load_b32 s4, s[2:3], 0x5c
	v_bfe_u32 v1, v0, 10, 10
	v_bfe_u32 v2, v0, 20, 10
	s_mov_b32 s15, exec_lo
	s_wait_kmcnt 0x0
	s_lshr_b32 s5, s4, 16
	s_and_b32 s4, s4, 0xffff
	v_mad_u32_u24 v1, v2, s5, v1
	v_and_b32_e32 v2, 0x3ff, v0
	s_delay_alu instid0(VALU_DEP_1) | instskip(NEXT) | instid1(VALU_DEP_1)
	v_mad_u32 v1, v1, s4, v2
	v_cmpx_gt_u32_e32 32, v1
	s_cbranch_execz .LBB1655_8
; %bb.4:
	v_cndmask_b32_e64 v1, 0, 1, s56
	s_and_b32 s4, s48, 1
	s_get_pc_i64 s[16:17]
	s_add_nc_u64 s[16:17], s[16:17], _ZN7rocprim17ROCPRIM_400000_NS6detail26segmented_warp_sort_helperINS1_20WarpSortHelperConfigILj32ELj4ELj256EEEblLi256ELb0EvE4sortIPKbPbPKlPlEEvT_T0_T1_T2_jjjjRNS5_12storage_typeE@rel64+4
	s_delay_alu instid0(VALU_DEP_1)
	v_cmp_ne_u32_e32 vcc_lo, s4, v1
	s_mov_b32 s4, -1
	s_cbranch_vccnz .LBB1655_6
; %bb.5:
	s_mov_b64 s[4:5], src_shared_base
	v_dual_mov_b32 v31, v0 :: v_dual_mov_b32 v40, v0
	v_dual_mov_b32 v0, s36 :: v_dual_mov_b32 v1, s37
	;; [unrolled: 1-line block ×8, first 2 shown]
	s_add_nc_u64 s[8:9], s[2:3], 0x50
	s_mov_b64 s[6:7], s[0:1]
	s_mov_b64 s[18:19], s[2:3]
	;; [unrolled: 1-line block ×3, first 2 shown]
	s_swap_pc_i64 s[30:31], s[16:17]
	v_mov_b32_e32 v0, v40
	s_mov_b64 s[0:1], s[20:21]
	s_mov_b64 s[2:3], s[18:19]
	s_mov_b32 s4, 0
.LBB1655_6:
	s_delay_alu instid0(SALU_CYCLE_1)
	s_and_not1_b32 vcc_lo, exec_lo, s4
	s_cbranch_vccnz .LBB1655_8
; %bb.7:
	s_mov_b64 s[4:5], src_shared_base
	v_dual_mov_b32 v31, v0 :: v_dual_mov_b32 v40, v0
	v_dual_mov_b32 v0, s36 :: v_dual_mov_b32 v1, s37
	;; [unrolled: 1-line block ×8, first 2 shown]
	s_add_nc_u64 s[8:9], s[2:3], 0x50
	s_mov_b64 s[6:7], s[0:1]
	s_mov_b64 s[18:19], s[2:3]
	;; [unrolled: 1-line block ×3, first 2 shown]
	s_swap_pc_i64 s[30:31], s[16:17]
	v_mov_b32_e32 v0, v40
	s_mov_b64 s[0:1], s[20:21]
	s_mov_b64 s[2:3], s[18:19]
.LBB1655_8:
	s_or_b32 exec_lo, exec_lo, s15
	s_mov_b32 s4, 0
.LBB1655_9:
	s_delay_alu instid0(SALU_CYCLE_1)
	s_and_not1_b32 vcc_lo, exec_lo, s4
	s_cbranch_vccnz .LBB1655_14
; %bb.10:
	v_cndmask_b32_e64 v1, 0, 1, s56
	s_and_b32 s4, s48, 1
	s_get_pc_i64 s[22:23]
	s_add_nc_u64 s[22:23], s[22:23], _ZN7rocprim17ROCPRIM_400000_NS6detail40segmented_radix_sort_single_block_helperIblLj256ELj17ELb0EE4sortIPKbPbPKlPlEEbT_T0_T1_T2_jjjjRNS3_12storage_typeE@rel64+4
	s_delay_alu instid0(VALU_DEP_1)
	v_cmp_ne_u32_e32 vcc_lo, s4, v1
	s_mov_b32 s4, -1
	s_cbranch_vccnz .LBB1655_12
; %bb.11:
	s_mov_b64 s[4:5], src_shared_base
	v_dual_mov_b32 v31, v0 :: v_dual_mov_b32 v40, v0
	v_dual_mov_b32 v0, s36 :: v_dual_mov_b32 v1, s37
	;; [unrolled: 1-line block ×8, first 2 shown]
	s_add_nc_u64 s[8:9], s[2:3], 0x50
	s_mov_b64 s[6:7], s[0:1]
	s_mov_b64 s[24:25], s[2:3]
	;; [unrolled: 1-line block ×3, first 2 shown]
	s_swap_pc_i64 s[30:31], s[22:23]
	v_mov_b32_e32 v0, v40
	s_mov_b64 s[0:1], s[26:27]
	s_mov_b64 s[2:3], s[24:25]
	s_mov_b32 s4, 0
.LBB1655_12:
	s_delay_alu instid0(SALU_CYCLE_1)
	s_and_not1_b32 vcc_lo, exec_lo, s4
	s_cbranch_vccnz .LBB1655_14
; %bb.13:
	s_mov_b64 s[4:5], src_shared_base
	v_dual_mov_b32 v31, v0 :: v_dual_mov_b32 v40, v0
	v_dual_mov_b32 v0, s36 :: v_dual_mov_b32 v1, s37
	;; [unrolled: 1-line block ×8, first 2 shown]
	s_add_nc_u64 s[8:9], s[2:3], 0x50
	s_mov_b64 s[6:7], s[0:1]
	s_mov_b64 s[24:25], s[2:3]
	s_swap_pc_i64 s[30:31], s[22:23]
	v_mov_b32_e32 v0, v40
	s_mov_b64 s[2:3], s[24:25]
.LBB1655_14:
	s_mov_b32 s4, 0
.LBB1655_15:
	s_delay_alu instid0(SALU_CYCLE_1)
	s_and_not1_b32 vcc_lo, exec_lo, s4
	s_cbranch_vccnz .LBB1655_1262
; %bb.16:
	s_cmp_ge_u32 s49, s50
	s_cbranch_scc1 .LBB1655_1262
; %bb.17:
	v_dual_mov_b32 v1, 0 :: v_dual_bitop2_b32 v6, 3, v0 bitop3:0x40
	v_and_b32_e32 v2, 0x3ff, v0
	v_and_b32_e32 v8, 0xe0, v0
	s_bfe_u32 s6, ttmp6, 0x40010
	s_delay_alu instid0(VALU_DEP_3)
	v_mov_b32_e32 v3, v1
	v_bfe_u32 v89, v0, 20, 10
	v_lshlrev_b32_e32 v66, 2, v2
	v_min_u32_e32 v7, 0x60, v8
	v_dual_lshrrev_b32 v9, 3, v0 :: v_dual_lshlrev_b32 v84, 2, v6
	v_mul_u32_u24_e32 v6, 17, v8
	s_delay_alu instid0(VALU_DEP_4) | instskip(NEXT) | instid1(VALU_DEP_4)
	v_mad_u32_u24 v85, v2, 12, v66
	v_or_b32_e32 v7, 31, v7
	s_delay_alu instid0(VALU_DEP_4) | instskip(SKIP_1) | instid1(VALU_DEP_4)
	v_and_b32_e32 v83, 28, v9
	v_dual_lshlrev_b32 v9, 4, v2 :: v_dual_bitop2_b32 v8, 31, v8 bitop3:0x54
	v_add_nc_u32_e32 v90, v85, v66
	s_delay_alu instid0(VALU_DEP_4) | instskip(NEXT) | instid1(VALU_DEP_4)
	v_cmp_eq_u32_e64 s1, v2, v7
	v_dual_mov_b32 v7, v1 :: v_dual_add_nc_u32 v88, 0x89fc, v83
	s_add_nc_u64 s[52:53], s[2:3], 0x50
	v_bfe_u32 v91, v0, 10, 10
	v_cmp_eq_u32_e64 s2, v2, v8
	v_dual_add_nc_u32 v8, 1, v2 :: v_dual_sub_nc_u32 v92, v90, v9
	v_lshlrev_b32_e32 v0, 3, v6
	s_add_co_i32 s6, s6, 1
	s_bfe_u32 s7, ttmp6, 0x40004
	s_mul_i32 s6, ttmp7, s6
	v_add_nc_u64_e32 v[4:5], s[40:41], v[2:3]
	s_add_co_i32 s8, s7, s6
	v_mul_u32_u24_e32 v93, 36, v8
	v_cmp_ne_u32_e64 s7, 0x80, v8
	v_add_nc_u64_e32 v[8:9], s[46:47], v[0:1]
	v_add_nc_u64_e32 v[10:11], s[40:41], v[6:7]
	;; [unrolled: 1-line block ×8, first 2 shown]
	v_or_b32_e32 v67, 0x100, v2
	v_or_b32_e32 v68, 0x200, v2
	;; [unrolled: 1-line block ×16, first 2 shown]
	v_cmp_gt_u32_e64 s0, 0x80, v2
	v_or_b32_e32 v86, 0x8a00, v83
	v_cmp_gt_u32_e64 s4, 4, v2
	v_add_nc_u32_e32 v87, 0x8a00, v66
	v_cmp_lt_u32_e64 s5, 31, v2
	v_cmp_gt_u32_e64 s3, 8, v2
	v_cmp_eq_u32_e64 s6, 0, v2
	v_dual_mov_b32 v7, 1 :: v_dual_lshlrev_b32 v94, 5, v2
	v_mul_u32_u24_e32 v95, 7, v2
	v_mbcnt_lo_u32_b32 v0, -1, 0
	s_cmp_eq_u32 s28, 0
	s_mov_b32 s35, 0
	s_cselect_b32 s42, ttmp7, s8
	s_mov_b32 s43, s49
	s_branch .LBB1655_20
.LBB1655_18:                            ;   in Loop: Header=BB1655_20 Depth=1
	s_wait_dscnt 0x0
	s_barrier_signal -1
	s_barrier_wait -1
.LBB1655_19:                            ;   in Loop: Header=BB1655_20 Depth=1
	s_add_co_i32 s43, s43, 7
	s_delay_alu instid0(SALU_CYCLE_1)
	s_cmp_ge_u32 s43, s50
	s_cbranch_scc1 .LBB1655_1262
.LBB1655_20:                            ; =>This Loop Header: Depth=1
                                        ;     Child Loop BB1655_24 Depth 2
                                        ;     Child Loop BB1655_108 Depth 2
	;; [unrolled: 1-line block ×8, first 2 shown]
	s_sub_co_i32 s8, s50, s43
	s_xor_b32 s56, s56, -1
	s_min_u32 s8, s8, 7
	ds_store_2addr_stride64_b32 v66, v1, v1 offset1:4
	s_lshl_b32 s8, -1, s8
	s_wait_storecnt_dscnt 0x0
	s_not_b32 s48, s8
	s_cmp_lg_u32 s43, s49
	s_mov_b32 s8, -1
	s_cbranch_scc0 .LBB1655_642
; %bb.21:                               ;   in Loop: Header=BB1655_20 Depth=1
	s_and_b32 vcc_lo, exec_lo, s56
	s_cbranch_vccz .LBB1655_331
; %bb.22:                               ;   in Loop: Header=BB1655_20 Depth=1
	v_dual_mov_b32 v39, 0 :: v_dual_mov_b32 v42, 0
	v_dual_mov_b32 v41, 0 :: v_dual_mov_b32 v40, 0
	;; [unrolled: 1-line block ×8, first 2 shown]
	v_mov_b32_e32 v26, 0
	s_mov_b32 s8, s57
	s_mov_b32 s34, s55
	s_barrier_signal -1
	s_barrier_wait -1
	s_branch .LBB1655_24
.LBB1655_23:                            ;   in Loop: Header=BB1655_24 Depth=2
	s_or_b32 exec_lo, exec_lo, s10
	s_addk_co_i32 s8, 0xef00
	s_cmp_ge_u32 s9, s54
	s_mov_b32 s34, s9
	s_cbranch_scc1 .LBB1655_96
.LBB1655_24:                            ;   Parent Loop BB1655_20 Depth=1
                                        ; =>  This Inner Loop Header: Depth=2
	s_add_co_i32 s9, s34, 0x1100
	s_mov_b32 s10, -1
	s_cmp_gt_u32 s9, s54
                                        ; implicit-def: $vgpr24
                                        ; implicit-def: $vgpr25
                                        ; implicit-def: $vgpr43
                                        ; implicit-def: $vgpr44
                                        ; implicit-def: $vgpr45
                                        ; implicit-def: $vgpr46
                                        ; implicit-def: $vgpr47
                                        ; implicit-def: $vgpr48
                                        ; implicit-def: $vgpr49
                                        ; implicit-def: $vgpr50
                                        ; implicit-def: $vgpr51
                                        ; implicit-def: $vgpr52
                                        ; implicit-def: $vgpr53
                                        ; implicit-def: $vgpr54
                                        ; implicit-def: $vgpr55
                                        ; implicit-def: $vgpr56
                                        ; implicit-def: $vgpr57
	s_cbranch_scc1 .LBB1655_26
; %bb.25:                               ;   in Loop: Header=BB1655_24 Depth=2
	v_add_nc_u64_e32 v[58:59], s[34:35], v[4:5]
	s_mov_b32 s10, 0
	s_clause 0x10
	global_load_u8 v57, v[58:59], off offset:4096
	global_load_u8 v56, v[58:59], off offset:3840
	;; [unrolled: 1-line block ×16, first 2 shown]
	global_load_u8 v24, v[58:59], off
.LBB1655_26:                            ;   in Loop: Header=BB1655_24 Depth=2
	s_and_not1_b32 vcc_lo, exec_lo, s10
	s_movk_i32 s10, 0x1100
	s_cbranch_vccnz .LBB1655_46
; %bb.27:                               ;   in Loop: Header=BB1655_24 Depth=2
	s_add_nc_u64 s[10:11], s[40:41], s[34:35]
	s_wait_loadcnt 0x0
	v_add_nc_u64_e32 v[24:25], s[10:11], v[2:3]
	s_mov_b32 s10, exec_lo
	s_wait_xcnt 0x0
	v_cmpx_gt_u32_e64 s8, v2
	s_cbranch_execnz .LBB1655_80
; %bb.28:                               ;   in Loop: Header=BB1655_24 Depth=2
	s_or_b32 exec_lo, exec_lo, s10
	s_delay_alu instid0(SALU_CYCLE_1)
	s_mov_b32 s10, exec_lo
	v_cmpx_gt_u32_e64 s8, v67
	s_cbranch_execnz .LBB1655_81
.LBB1655_29:                            ;   in Loop: Header=BB1655_24 Depth=2
	s_or_b32 exec_lo, exec_lo, s10
	s_delay_alu instid0(SALU_CYCLE_1)
	s_mov_b32 s10, exec_lo
	v_cmpx_gt_u32_e64 s8, v68
	s_cbranch_execnz .LBB1655_82
.LBB1655_30:                            ;   in Loop: Header=BB1655_24 Depth=2
	s_or_b32 exec_lo, exec_lo, s10
	s_delay_alu instid0(SALU_CYCLE_1)
	s_mov_b32 s10, exec_lo
	v_cmpx_gt_u32_e64 s8, v69
	s_cbranch_execnz .LBB1655_83
.LBB1655_31:                            ;   in Loop: Header=BB1655_24 Depth=2
	s_or_b32 exec_lo, exec_lo, s10
	s_delay_alu instid0(SALU_CYCLE_1)
	s_mov_b32 s10, exec_lo
	v_cmpx_gt_u32_e64 s8, v70
	s_cbranch_execnz .LBB1655_84
.LBB1655_32:                            ;   in Loop: Header=BB1655_24 Depth=2
	s_or_b32 exec_lo, exec_lo, s10
	s_delay_alu instid0(SALU_CYCLE_1)
	s_mov_b32 s10, exec_lo
	v_cmpx_gt_u32_e64 s8, v71
	s_cbranch_execnz .LBB1655_85
.LBB1655_33:                            ;   in Loop: Header=BB1655_24 Depth=2
	s_or_b32 exec_lo, exec_lo, s10
	s_delay_alu instid0(SALU_CYCLE_1)
	s_mov_b32 s10, exec_lo
	v_cmpx_gt_u32_e64 s8, v72
	s_cbranch_execnz .LBB1655_86
.LBB1655_34:                            ;   in Loop: Header=BB1655_24 Depth=2
	s_or_b32 exec_lo, exec_lo, s10
	s_delay_alu instid0(SALU_CYCLE_1)
	s_mov_b32 s10, exec_lo
	v_cmpx_gt_u32_e64 s8, v73
	s_cbranch_execnz .LBB1655_87
.LBB1655_35:                            ;   in Loop: Header=BB1655_24 Depth=2
	s_or_b32 exec_lo, exec_lo, s10
	s_delay_alu instid0(SALU_CYCLE_1)
	s_mov_b32 s10, exec_lo
	v_cmpx_gt_u32_e64 s8, v74
	s_cbranch_execnz .LBB1655_88
.LBB1655_36:                            ;   in Loop: Header=BB1655_24 Depth=2
	s_or_b32 exec_lo, exec_lo, s10
	s_delay_alu instid0(SALU_CYCLE_1)
	s_mov_b32 s10, exec_lo
	v_cmpx_gt_u32_e64 s8, v75
	s_cbranch_execnz .LBB1655_89
.LBB1655_37:                            ;   in Loop: Header=BB1655_24 Depth=2
	s_or_b32 exec_lo, exec_lo, s10
	s_delay_alu instid0(SALU_CYCLE_1)
	s_mov_b32 s10, exec_lo
	v_cmpx_gt_u32_e64 s8, v76
	s_cbranch_execnz .LBB1655_90
.LBB1655_38:                            ;   in Loop: Header=BB1655_24 Depth=2
	s_or_b32 exec_lo, exec_lo, s10
	s_delay_alu instid0(SALU_CYCLE_1)
	s_mov_b32 s10, exec_lo
	v_cmpx_gt_u32_e64 s8, v77
	s_cbranch_execnz .LBB1655_91
.LBB1655_39:                            ;   in Loop: Header=BB1655_24 Depth=2
	s_or_b32 exec_lo, exec_lo, s10
	s_delay_alu instid0(SALU_CYCLE_1)
	s_mov_b32 s10, exec_lo
	v_cmpx_gt_u32_e64 s8, v78
	s_cbranch_execnz .LBB1655_92
.LBB1655_40:                            ;   in Loop: Header=BB1655_24 Depth=2
	s_or_b32 exec_lo, exec_lo, s10
	s_delay_alu instid0(SALU_CYCLE_1)
	s_mov_b32 s10, exec_lo
	v_cmpx_gt_u32_e64 s8, v79
	s_cbranch_execnz .LBB1655_93
.LBB1655_41:                            ;   in Loop: Header=BB1655_24 Depth=2
	s_or_b32 exec_lo, exec_lo, s10
	s_delay_alu instid0(SALU_CYCLE_1)
	s_mov_b32 s10, exec_lo
	v_cmpx_gt_u32_e64 s8, v80
	s_cbranch_execnz .LBB1655_94
.LBB1655_42:                            ;   in Loop: Header=BB1655_24 Depth=2
	s_or_b32 exec_lo, exec_lo, s10
	s_delay_alu instid0(SALU_CYCLE_1)
	s_mov_b32 s10, exec_lo
	v_cmpx_gt_u32_e64 s8, v81
	s_cbranch_execnz .LBB1655_95
.LBB1655_43:                            ;   in Loop: Header=BB1655_24 Depth=2
	s_or_b32 exec_lo, exec_lo, s10
	s_delay_alu instid0(SALU_CYCLE_1)
	s_mov_b32 s10, exec_lo
	v_cmpx_gt_u32_e64 s8, v82
	s_cbranch_execz .LBB1655_45
.LBB1655_44:                            ;   in Loop: Header=BB1655_24 Depth=2
	global_load_u8 v26, v[24:25], off offset:4096
.LBB1655_45:                            ;   in Loop: Header=BB1655_24 Depth=2
	s_wait_xcnt 0x0
	s_or_b32 exec_lo, exec_lo, s10
	s_wait_loadcnt 0x0
	v_dual_mov_b32 v24, v39 :: v_dual_mov_b32 v25, v42
	v_dual_mov_b32 v43, v41 :: v_dual_mov_b32 v44, v40
	;; [unrolled: 1-line block ×8, first 2 shown]
	v_mov_b32_e32 v57, v26
	s_mov_b32 s10, s8
.LBB1655_46:                            ;   in Loop: Header=BB1655_24 Depth=2
	s_wait_loadcnt 0xf
	s_delay_alu instid0(VALU_DEP_1)
	v_dual_mov_b32 v26, v57 :: v_dual_mov_b32 v27, v56
	s_wait_loadcnt 0xd
	v_dual_mov_b32 v28, v55 :: v_dual_mov_b32 v29, v54
	s_wait_loadcnt 0xb
	;; [unrolled: 2-line block ×8, first 2 shown]
	v_mov_b32_e32 v39, v24
	s_mov_b32 s11, exec_lo
	s_wait_xcnt 0x0
	v_cmpx_gt_u32_e64 s10, v2
	s_cbranch_execnz .LBB1655_63
; %bb.47:                               ;   in Loop: Header=BB1655_24 Depth=2
	s_or_b32 exec_lo, exec_lo, s11
	s_delay_alu instid0(SALU_CYCLE_1)
	s_mov_b32 s11, exec_lo
	v_cmpx_gt_u32_e64 s10, v67
	s_cbranch_execnz .LBB1655_64
.LBB1655_48:                            ;   in Loop: Header=BB1655_24 Depth=2
	s_or_b32 exec_lo, exec_lo, s11
	s_delay_alu instid0(SALU_CYCLE_1)
	s_mov_b32 s11, exec_lo
	v_cmpx_gt_u32_e64 s10, v68
	s_cbranch_execnz .LBB1655_65
.LBB1655_49:                            ;   in Loop: Header=BB1655_24 Depth=2
	s_or_b32 exec_lo, exec_lo, s11
	s_delay_alu instid0(SALU_CYCLE_1)
	s_mov_b32 s11, exec_lo
	v_cmpx_gt_u32_e64 s10, v69
	s_cbranch_execnz .LBB1655_66
.LBB1655_50:                            ;   in Loop: Header=BB1655_24 Depth=2
	s_or_b32 exec_lo, exec_lo, s11
	s_delay_alu instid0(SALU_CYCLE_1)
	s_mov_b32 s11, exec_lo
	v_cmpx_gt_u32_e64 s10, v70
	s_cbranch_execnz .LBB1655_67
.LBB1655_51:                            ;   in Loop: Header=BB1655_24 Depth=2
	s_or_b32 exec_lo, exec_lo, s11
	s_delay_alu instid0(SALU_CYCLE_1)
	s_mov_b32 s11, exec_lo
	v_cmpx_gt_u32_e64 s10, v71
	s_cbranch_execnz .LBB1655_68
.LBB1655_52:                            ;   in Loop: Header=BB1655_24 Depth=2
	s_or_b32 exec_lo, exec_lo, s11
	s_delay_alu instid0(SALU_CYCLE_1)
	s_mov_b32 s11, exec_lo
	v_cmpx_gt_u32_e64 s10, v72
	s_cbranch_execnz .LBB1655_69
.LBB1655_53:                            ;   in Loop: Header=BB1655_24 Depth=2
	s_or_b32 exec_lo, exec_lo, s11
	s_delay_alu instid0(SALU_CYCLE_1)
	s_mov_b32 s11, exec_lo
	v_cmpx_gt_u32_e64 s10, v73
	s_cbranch_execnz .LBB1655_70
.LBB1655_54:                            ;   in Loop: Header=BB1655_24 Depth=2
	s_or_b32 exec_lo, exec_lo, s11
	s_delay_alu instid0(SALU_CYCLE_1)
	s_mov_b32 s11, exec_lo
	v_cmpx_gt_u32_e64 s10, v74
	s_cbranch_execnz .LBB1655_71
.LBB1655_55:                            ;   in Loop: Header=BB1655_24 Depth=2
	s_or_b32 exec_lo, exec_lo, s11
	s_delay_alu instid0(SALU_CYCLE_1)
	s_mov_b32 s11, exec_lo
	v_cmpx_gt_u32_e64 s10, v75
	s_cbranch_execnz .LBB1655_72
.LBB1655_56:                            ;   in Loop: Header=BB1655_24 Depth=2
	s_or_b32 exec_lo, exec_lo, s11
	s_delay_alu instid0(SALU_CYCLE_1)
	s_mov_b32 s11, exec_lo
	v_cmpx_gt_u32_e64 s10, v76
	s_cbranch_execnz .LBB1655_73
.LBB1655_57:                            ;   in Loop: Header=BB1655_24 Depth=2
	s_or_b32 exec_lo, exec_lo, s11
	s_delay_alu instid0(SALU_CYCLE_1)
	s_mov_b32 s11, exec_lo
	v_cmpx_gt_u32_e64 s10, v77
	s_cbranch_execnz .LBB1655_74
.LBB1655_58:                            ;   in Loop: Header=BB1655_24 Depth=2
	s_or_b32 exec_lo, exec_lo, s11
	s_delay_alu instid0(SALU_CYCLE_1)
	s_mov_b32 s11, exec_lo
	v_cmpx_gt_u32_e64 s10, v78
	s_cbranch_execnz .LBB1655_75
.LBB1655_59:                            ;   in Loop: Header=BB1655_24 Depth=2
	s_or_b32 exec_lo, exec_lo, s11
	s_delay_alu instid0(SALU_CYCLE_1)
	s_mov_b32 s11, exec_lo
	v_cmpx_gt_u32_e64 s10, v79
	s_cbranch_execnz .LBB1655_76
.LBB1655_60:                            ;   in Loop: Header=BB1655_24 Depth=2
	s_or_b32 exec_lo, exec_lo, s11
	s_delay_alu instid0(SALU_CYCLE_1)
	s_mov_b32 s11, exec_lo
	v_cmpx_gt_u32_e64 s10, v80
	s_cbranch_execnz .LBB1655_77
.LBB1655_61:                            ;   in Loop: Header=BB1655_24 Depth=2
	s_or_b32 exec_lo, exec_lo, s11
	s_delay_alu instid0(SALU_CYCLE_1)
	s_mov_b32 s11, exec_lo
	v_cmpx_gt_u32_e64 s10, v81
	s_cbranch_execnz .LBB1655_78
.LBB1655_62:                            ;   in Loop: Header=BB1655_24 Depth=2
	s_or_b32 exec_lo, exec_lo, s11
	v_cmp_gt_u32_e32 vcc_lo, s10, v82
	s_and_saveexec_b32 s10, vcc_lo
	s_cbranch_execz .LBB1655_23
	s_branch .LBB1655_79
.LBB1655_63:                            ;   in Loop: Header=BB1655_24 Depth=2
	v_and_b32_e32 v24, 1, v39
	s_delay_alu instid0(VALU_DEP_1) | instskip(NEXT) | instid1(VALU_DEP_1)
	v_lshrrev_b32_e32 v24, s43, v24
	v_and_b32_e32 v24, s48, v24
	s_delay_alu instid0(VALU_DEP_1) | instskip(SKIP_2) | instid1(SALU_CYCLE_1)
	v_lshl_or_b32 v24, v24, 4, v84
	ds_add_u32 v24, v7
	s_or_b32 exec_lo, exec_lo, s11
	s_mov_b32 s11, exec_lo
	v_cmpx_gt_u32_e64 s10, v67
	s_cbranch_execz .LBB1655_48
.LBB1655_64:                            ;   in Loop: Header=BB1655_24 Depth=2
	v_and_b32_e32 v24, 1, v42
	s_delay_alu instid0(VALU_DEP_1) | instskip(NEXT) | instid1(VALU_DEP_1)
	v_lshrrev_b32_e32 v24, s43, v24
	v_and_b32_e32 v24, s48, v24
	s_delay_alu instid0(VALU_DEP_1) | instskip(SKIP_2) | instid1(SALU_CYCLE_1)
	v_lshl_or_b32 v24, v24, 4, v84
	ds_add_u32 v24, v7
	s_or_b32 exec_lo, exec_lo, s11
	s_mov_b32 s11, exec_lo
	v_cmpx_gt_u32_e64 s10, v68
	s_cbranch_execz .LBB1655_49
.LBB1655_65:                            ;   in Loop: Header=BB1655_24 Depth=2
	v_and_b32_e32 v24, 1, v41
	s_delay_alu instid0(VALU_DEP_1) | instskip(NEXT) | instid1(VALU_DEP_1)
	v_lshrrev_b32_e32 v24, s43, v24
	v_and_b32_e32 v24, s48, v24
	s_delay_alu instid0(VALU_DEP_1) | instskip(SKIP_2) | instid1(SALU_CYCLE_1)
	v_lshl_or_b32 v24, v24, 4, v84
	ds_add_u32 v24, v7
	s_or_b32 exec_lo, exec_lo, s11
	s_mov_b32 s11, exec_lo
	v_cmpx_gt_u32_e64 s10, v69
	s_cbranch_execz .LBB1655_50
.LBB1655_66:                            ;   in Loop: Header=BB1655_24 Depth=2
	v_and_b32_e32 v24, 1, v40
	s_delay_alu instid0(VALU_DEP_1) | instskip(NEXT) | instid1(VALU_DEP_1)
	v_lshrrev_b32_e32 v24, s43, v24
	v_and_b32_e32 v24, s48, v24
	s_delay_alu instid0(VALU_DEP_1) | instskip(SKIP_2) | instid1(SALU_CYCLE_1)
	v_lshl_or_b32 v24, v24, 4, v84
	ds_add_u32 v24, v7
	s_or_b32 exec_lo, exec_lo, s11
	s_mov_b32 s11, exec_lo
	v_cmpx_gt_u32_e64 s10, v70
	s_cbranch_execz .LBB1655_51
.LBB1655_67:                            ;   in Loop: Header=BB1655_24 Depth=2
	v_and_b32_e32 v24, 1, v38
	s_delay_alu instid0(VALU_DEP_1) | instskip(NEXT) | instid1(VALU_DEP_1)
	v_lshrrev_b32_e32 v24, s43, v24
	v_and_b32_e32 v24, s48, v24
	s_delay_alu instid0(VALU_DEP_1) | instskip(SKIP_2) | instid1(SALU_CYCLE_1)
	v_lshl_or_b32 v24, v24, 4, v84
	ds_add_u32 v24, v7
	s_or_b32 exec_lo, exec_lo, s11
	s_mov_b32 s11, exec_lo
	v_cmpx_gt_u32_e64 s10, v71
	s_cbranch_execz .LBB1655_52
.LBB1655_68:                            ;   in Loop: Header=BB1655_24 Depth=2
	v_and_b32_e32 v24, 1, v37
	s_delay_alu instid0(VALU_DEP_1) | instskip(NEXT) | instid1(VALU_DEP_1)
	v_lshrrev_b32_e32 v24, s43, v24
	v_and_b32_e32 v24, s48, v24
	s_delay_alu instid0(VALU_DEP_1) | instskip(SKIP_2) | instid1(SALU_CYCLE_1)
	v_lshl_or_b32 v24, v24, 4, v84
	ds_add_u32 v24, v7
	s_or_b32 exec_lo, exec_lo, s11
	s_mov_b32 s11, exec_lo
	v_cmpx_gt_u32_e64 s10, v72
	s_cbranch_execz .LBB1655_53
.LBB1655_69:                            ;   in Loop: Header=BB1655_24 Depth=2
	v_and_b32_e32 v24, 1, v36
	s_delay_alu instid0(VALU_DEP_1) | instskip(NEXT) | instid1(VALU_DEP_1)
	v_lshrrev_b32_e32 v24, s43, v24
	v_and_b32_e32 v24, s48, v24
	s_delay_alu instid0(VALU_DEP_1) | instskip(SKIP_2) | instid1(SALU_CYCLE_1)
	v_lshl_or_b32 v24, v24, 4, v84
	ds_add_u32 v24, v7
	s_or_b32 exec_lo, exec_lo, s11
	s_mov_b32 s11, exec_lo
	v_cmpx_gt_u32_e64 s10, v73
	s_cbranch_execz .LBB1655_54
.LBB1655_70:                            ;   in Loop: Header=BB1655_24 Depth=2
	v_and_b32_e32 v24, 1, v35
	s_delay_alu instid0(VALU_DEP_1) | instskip(NEXT) | instid1(VALU_DEP_1)
	v_lshrrev_b32_e32 v24, s43, v24
	v_and_b32_e32 v24, s48, v24
	s_delay_alu instid0(VALU_DEP_1) | instskip(SKIP_2) | instid1(SALU_CYCLE_1)
	v_lshl_or_b32 v24, v24, 4, v84
	ds_add_u32 v24, v7
	s_or_b32 exec_lo, exec_lo, s11
	s_mov_b32 s11, exec_lo
	v_cmpx_gt_u32_e64 s10, v74
	s_cbranch_execz .LBB1655_55
.LBB1655_71:                            ;   in Loop: Header=BB1655_24 Depth=2
	v_and_b32_e32 v24, 1, v34
	s_delay_alu instid0(VALU_DEP_1) | instskip(NEXT) | instid1(VALU_DEP_1)
	v_lshrrev_b32_e32 v24, s43, v24
	v_and_b32_e32 v24, s48, v24
	s_delay_alu instid0(VALU_DEP_1) | instskip(SKIP_2) | instid1(SALU_CYCLE_1)
	v_lshl_or_b32 v24, v24, 4, v84
	ds_add_u32 v24, v7
	s_or_b32 exec_lo, exec_lo, s11
	s_mov_b32 s11, exec_lo
	v_cmpx_gt_u32_e64 s10, v75
	s_cbranch_execz .LBB1655_56
.LBB1655_72:                            ;   in Loop: Header=BB1655_24 Depth=2
	v_and_b32_e32 v24, 1, v33
	s_delay_alu instid0(VALU_DEP_1) | instskip(NEXT) | instid1(VALU_DEP_1)
	v_lshrrev_b32_e32 v24, s43, v24
	v_and_b32_e32 v24, s48, v24
	s_delay_alu instid0(VALU_DEP_1) | instskip(SKIP_2) | instid1(SALU_CYCLE_1)
	v_lshl_or_b32 v24, v24, 4, v84
	ds_add_u32 v24, v7
	s_or_b32 exec_lo, exec_lo, s11
	s_mov_b32 s11, exec_lo
	v_cmpx_gt_u32_e64 s10, v76
	s_cbranch_execz .LBB1655_57
.LBB1655_73:                            ;   in Loop: Header=BB1655_24 Depth=2
	v_and_b32_e32 v24, 1, v32
	s_delay_alu instid0(VALU_DEP_1) | instskip(NEXT) | instid1(VALU_DEP_1)
	v_lshrrev_b32_e32 v24, s43, v24
	v_and_b32_e32 v24, s48, v24
	s_delay_alu instid0(VALU_DEP_1) | instskip(SKIP_2) | instid1(SALU_CYCLE_1)
	v_lshl_or_b32 v24, v24, 4, v84
	ds_add_u32 v24, v7
	s_or_b32 exec_lo, exec_lo, s11
	s_mov_b32 s11, exec_lo
	v_cmpx_gt_u32_e64 s10, v77
	s_cbranch_execz .LBB1655_58
.LBB1655_74:                            ;   in Loop: Header=BB1655_24 Depth=2
	v_and_b32_e32 v24, 1, v31
	s_delay_alu instid0(VALU_DEP_1) | instskip(NEXT) | instid1(VALU_DEP_1)
	v_lshrrev_b32_e32 v24, s43, v24
	v_and_b32_e32 v24, s48, v24
	s_delay_alu instid0(VALU_DEP_1) | instskip(SKIP_2) | instid1(SALU_CYCLE_1)
	v_lshl_or_b32 v24, v24, 4, v84
	ds_add_u32 v24, v7
	s_or_b32 exec_lo, exec_lo, s11
	s_mov_b32 s11, exec_lo
	v_cmpx_gt_u32_e64 s10, v78
	s_cbranch_execz .LBB1655_59
.LBB1655_75:                            ;   in Loop: Header=BB1655_24 Depth=2
	v_and_b32_e32 v24, 1, v30
	s_delay_alu instid0(VALU_DEP_1) | instskip(NEXT) | instid1(VALU_DEP_1)
	v_lshrrev_b32_e32 v24, s43, v24
	v_and_b32_e32 v24, s48, v24
	s_delay_alu instid0(VALU_DEP_1) | instskip(SKIP_2) | instid1(SALU_CYCLE_1)
	v_lshl_or_b32 v24, v24, 4, v84
	ds_add_u32 v24, v7
	s_or_b32 exec_lo, exec_lo, s11
	s_mov_b32 s11, exec_lo
	v_cmpx_gt_u32_e64 s10, v79
	s_cbranch_execz .LBB1655_60
.LBB1655_76:                            ;   in Loop: Header=BB1655_24 Depth=2
	v_and_b32_e32 v24, 1, v29
	s_delay_alu instid0(VALU_DEP_1) | instskip(NEXT) | instid1(VALU_DEP_1)
	v_lshrrev_b32_e32 v24, s43, v24
	v_and_b32_e32 v24, s48, v24
	s_delay_alu instid0(VALU_DEP_1) | instskip(SKIP_2) | instid1(SALU_CYCLE_1)
	v_lshl_or_b32 v24, v24, 4, v84
	ds_add_u32 v24, v7
	s_or_b32 exec_lo, exec_lo, s11
	s_mov_b32 s11, exec_lo
	v_cmpx_gt_u32_e64 s10, v80
	s_cbranch_execz .LBB1655_61
.LBB1655_77:                            ;   in Loop: Header=BB1655_24 Depth=2
	v_and_b32_e32 v24, 1, v28
	s_delay_alu instid0(VALU_DEP_1) | instskip(NEXT) | instid1(VALU_DEP_1)
	v_lshrrev_b32_e32 v24, s43, v24
	v_and_b32_e32 v24, s48, v24
	s_delay_alu instid0(VALU_DEP_1) | instskip(SKIP_2) | instid1(SALU_CYCLE_1)
	v_lshl_or_b32 v24, v24, 4, v84
	ds_add_u32 v24, v7
	s_or_b32 exec_lo, exec_lo, s11
	s_mov_b32 s11, exec_lo
	v_cmpx_gt_u32_e64 s10, v81
	s_cbranch_execz .LBB1655_62
.LBB1655_78:                            ;   in Loop: Header=BB1655_24 Depth=2
	v_and_b32_e32 v24, 1, v27
	s_delay_alu instid0(VALU_DEP_1) | instskip(NEXT) | instid1(VALU_DEP_1)
	v_lshrrev_b32_e32 v24, s43, v24
	v_and_b32_e32 v24, s48, v24
	s_delay_alu instid0(VALU_DEP_1)
	v_lshl_or_b32 v24, v24, 4, v84
	ds_add_u32 v24, v7
	s_or_b32 exec_lo, exec_lo, s11
	v_cmp_gt_u32_e32 vcc_lo, s10, v82
	s_and_saveexec_b32 s10, vcc_lo
	s_cbranch_execz .LBB1655_23
.LBB1655_79:                            ;   in Loop: Header=BB1655_24 Depth=2
	v_and_b32_e32 v24, 1, v26
	s_delay_alu instid0(VALU_DEP_1) | instskip(NEXT) | instid1(VALU_DEP_1)
	v_lshrrev_b32_e32 v24, s43, v24
	v_and_b32_e32 v24, s48, v24
	s_delay_alu instid0(VALU_DEP_1)
	v_lshl_or_b32 v24, v24, 4, v84
	ds_add_u32 v24, v7
	s_branch .LBB1655_23
.LBB1655_80:                            ;   in Loop: Header=BB1655_24 Depth=2
	global_load_u8 v39, v[24:25], off
	s_wait_xcnt 0x0
	s_or_b32 exec_lo, exec_lo, s10
	s_delay_alu instid0(SALU_CYCLE_1)
	s_mov_b32 s10, exec_lo
	v_cmpx_gt_u32_e64 s8, v67
	s_cbranch_execz .LBB1655_29
.LBB1655_81:                            ;   in Loop: Header=BB1655_24 Depth=2
	global_load_u8 v42, v[24:25], off offset:256
	s_wait_xcnt 0x0
	s_or_b32 exec_lo, exec_lo, s10
	s_delay_alu instid0(SALU_CYCLE_1)
	s_mov_b32 s10, exec_lo
	v_cmpx_gt_u32_e64 s8, v68
	s_cbranch_execz .LBB1655_30
.LBB1655_82:                            ;   in Loop: Header=BB1655_24 Depth=2
	global_load_u8 v41, v[24:25], off offset:512
	s_wait_xcnt 0x0
	s_or_b32 exec_lo, exec_lo, s10
	s_delay_alu instid0(SALU_CYCLE_1)
	s_mov_b32 s10, exec_lo
	v_cmpx_gt_u32_e64 s8, v69
	s_cbranch_execz .LBB1655_31
.LBB1655_83:                            ;   in Loop: Header=BB1655_24 Depth=2
	global_load_u8 v40, v[24:25], off offset:768
	s_wait_xcnt 0x0
	s_or_b32 exec_lo, exec_lo, s10
	s_delay_alu instid0(SALU_CYCLE_1)
	s_mov_b32 s10, exec_lo
	v_cmpx_gt_u32_e64 s8, v70
	s_cbranch_execz .LBB1655_32
.LBB1655_84:                            ;   in Loop: Header=BB1655_24 Depth=2
	global_load_u8 v38, v[24:25], off offset:1024
	s_wait_xcnt 0x0
	s_or_b32 exec_lo, exec_lo, s10
	s_delay_alu instid0(SALU_CYCLE_1)
	s_mov_b32 s10, exec_lo
	v_cmpx_gt_u32_e64 s8, v71
	s_cbranch_execz .LBB1655_33
.LBB1655_85:                            ;   in Loop: Header=BB1655_24 Depth=2
	global_load_u8 v37, v[24:25], off offset:1280
	s_wait_xcnt 0x0
	s_or_b32 exec_lo, exec_lo, s10
	s_delay_alu instid0(SALU_CYCLE_1)
	s_mov_b32 s10, exec_lo
	v_cmpx_gt_u32_e64 s8, v72
	s_cbranch_execz .LBB1655_34
.LBB1655_86:                            ;   in Loop: Header=BB1655_24 Depth=2
	global_load_u8 v36, v[24:25], off offset:1536
	s_wait_xcnt 0x0
	s_or_b32 exec_lo, exec_lo, s10
	s_delay_alu instid0(SALU_CYCLE_1)
	s_mov_b32 s10, exec_lo
	v_cmpx_gt_u32_e64 s8, v73
	s_cbranch_execz .LBB1655_35
.LBB1655_87:                            ;   in Loop: Header=BB1655_24 Depth=2
	global_load_u8 v35, v[24:25], off offset:1792
	s_wait_xcnt 0x0
	s_or_b32 exec_lo, exec_lo, s10
	s_delay_alu instid0(SALU_CYCLE_1)
	s_mov_b32 s10, exec_lo
	v_cmpx_gt_u32_e64 s8, v74
	s_cbranch_execz .LBB1655_36
.LBB1655_88:                            ;   in Loop: Header=BB1655_24 Depth=2
	global_load_u8 v34, v[24:25], off offset:2048
	s_wait_xcnt 0x0
	s_or_b32 exec_lo, exec_lo, s10
	s_delay_alu instid0(SALU_CYCLE_1)
	s_mov_b32 s10, exec_lo
	v_cmpx_gt_u32_e64 s8, v75
	s_cbranch_execz .LBB1655_37
.LBB1655_89:                            ;   in Loop: Header=BB1655_24 Depth=2
	global_load_u8 v33, v[24:25], off offset:2304
	s_wait_xcnt 0x0
	s_or_b32 exec_lo, exec_lo, s10
	s_delay_alu instid0(SALU_CYCLE_1)
	s_mov_b32 s10, exec_lo
	v_cmpx_gt_u32_e64 s8, v76
	s_cbranch_execz .LBB1655_38
.LBB1655_90:                            ;   in Loop: Header=BB1655_24 Depth=2
	global_load_u8 v32, v[24:25], off offset:2560
	s_wait_xcnt 0x0
	s_or_b32 exec_lo, exec_lo, s10
	s_delay_alu instid0(SALU_CYCLE_1)
	s_mov_b32 s10, exec_lo
	v_cmpx_gt_u32_e64 s8, v77
	s_cbranch_execz .LBB1655_39
.LBB1655_91:                            ;   in Loop: Header=BB1655_24 Depth=2
	global_load_u8 v31, v[24:25], off offset:2816
	s_wait_xcnt 0x0
	s_or_b32 exec_lo, exec_lo, s10
	s_delay_alu instid0(SALU_CYCLE_1)
	s_mov_b32 s10, exec_lo
	v_cmpx_gt_u32_e64 s8, v78
	s_cbranch_execz .LBB1655_40
.LBB1655_92:                            ;   in Loop: Header=BB1655_24 Depth=2
	global_load_u8 v30, v[24:25], off offset:3072
	s_wait_xcnt 0x0
	s_or_b32 exec_lo, exec_lo, s10
	s_delay_alu instid0(SALU_CYCLE_1)
	s_mov_b32 s10, exec_lo
	v_cmpx_gt_u32_e64 s8, v79
	s_cbranch_execz .LBB1655_41
.LBB1655_93:                            ;   in Loop: Header=BB1655_24 Depth=2
	global_load_u8 v29, v[24:25], off offset:3328
	s_wait_xcnt 0x0
	s_or_b32 exec_lo, exec_lo, s10
	s_delay_alu instid0(SALU_CYCLE_1)
	s_mov_b32 s10, exec_lo
	v_cmpx_gt_u32_e64 s8, v80
	s_cbranch_execz .LBB1655_42
.LBB1655_94:                            ;   in Loop: Header=BB1655_24 Depth=2
	global_load_u8 v28, v[24:25], off offset:3584
	s_wait_xcnt 0x0
	s_or_b32 exec_lo, exec_lo, s10
	s_delay_alu instid0(SALU_CYCLE_1)
	s_mov_b32 s10, exec_lo
	v_cmpx_gt_u32_e64 s8, v81
	s_cbranch_execz .LBB1655_43
.LBB1655_95:                            ;   in Loop: Header=BB1655_24 Depth=2
	global_load_u8 v27, v[24:25], off offset:3840
	s_wait_xcnt 0x0
	s_or_b32 exec_lo, exec_lo, s10
	s_delay_alu instid0(SALU_CYCLE_1)
	s_mov_b32 s10, exec_lo
	v_cmpx_gt_u32_e64 s8, v82
	s_cbranch_execnz .LBB1655_44
	s_branch .LBB1655_45
.LBB1655_96:                            ;   in Loop: Header=BB1655_20 Depth=1
	v_mov_b32_e32 v24, 0
	s_wait_dscnt 0x0
	s_barrier_signal -1
	s_barrier_wait -1
	s_and_saveexec_b32 s8, s0
	s_cbranch_execz .LBB1655_98
; %bb.97:                               ;   in Loop: Header=BB1655_20 Depth=1
	ds_load_2addr_b64 v[24:27], v85 offset1:1
	s_wait_dscnt 0x0
	v_add_nc_u32_e32 v24, v25, v24
	s_delay_alu instid0(VALU_DEP_1)
	v_add3_u32 v24, v24, v26, v27
.LBB1655_98:                            ;   in Loop: Header=BB1655_20 Depth=1
	s_or_b32 exec_lo, exec_lo, s8
	v_and_b32_e32 v25, 15, v0
	s_delay_alu instid0(VALU_DEP_2) | instskip(SKIP_1) | instid1(VALU_DEP_3)
	v_mov_b32_dpp v26, v24 row_shr:1 row_mask:0xf bank_mask:0xf
	v_and_b32_e32 v27, 16, v0
	v_cmp_eq_u32_e64 s8, 0, v25
	v_cmp_lt_u32_e64 s9, 1, v25
	s_delay_alu instid0(VALU_DEP_3) | instskip(NEXT) | instid1(VALU_DEP_3)
	v_cmp_eq_u32_e64 s12, 0, v27
	v_cndmask_b32_e64 v26, v26, 0, s8
	s_delay_alu instid0(VALU_DEP_1) | instskip(NEXT) | instid1(VALU_DEP_1)
	v_add_nc_u32_e32 v24, v26, v24
	v_mov_b32_dpp v26, v24 row_shr:2 row_mask:0xf bank_mask:0xf
	s_delay_alu instid0(VALU_DEP_1) | instskip(SKIP_2) | instid1(VALU_DEP_3)
	v_cndmask_b32_e64 v26, 0, v26, s9
	v_cmp_lt_u32_e64 s11, 7, v25
	v_cmp_lt_u32_e64 s10, 3, v25
	v_add_nc_u32_e32 v24, v24, v26
	s_delay_alu instid0(VALU_DEP_1) | instskip(NEXT) | instid1(VALU_DEP_1)
	v_mov_b32_dpp v26, v24 row_shr:4 row_mask:0xf bank_mask:0xf
	v_cndmask_b32_e64 v26, 0, v26, s10
	s_delay_alu instid0(VALU_DEP_1) | instskip(NEXT) | instid1(VALU_DEP_1)
	v_add_nc_u32_e32 v24, v24, v26
	v_mov_b32_dpp v26, v24 row_shr:8 row_mask:0xf bank_mask:0xf
	s_delay_alu instid0(VALU_DEP_1) | instskip(SKIP_1) | instid1(VALU_DEP_2)
	v_cndmask_b32_e64 v25, 0, v26, s11
	v_bfe_i32 v26, v0, 4, 1
	v_add_nc_u32_e32 v24, v24, v25
	ds_swizzle_b32 v25, v24 offset:swizzle(BROADCAST,32,15)
	s_wait_dscnt 0x0
	v_and_b32_e32 v25, v26, v25
	s_delay_alu instid0(VALU_DEP_1)
	v_add_nc_u32_e32 v24, v24, v25
	s_and_saveexec_b32 s13, s1
; %bb.99:                               ;   in Loop: Header=BB1655_20 Depth=1
	ds_store_b32 v86, v24
; %bb.100:                              ;   in Loop: Header=BB1655_20 Depth=1
	s_or_b32 exec_lo, exec_lo, s13
	s_wait_dscnt 0x0
	s_barrier_signal -1
	s_barrier_wait -1
	s_and_saveexec_b32 s13, s4
	s_cbranch_execz .LBB1655_102
; %bb.101:                              ;   in Loop: Header=BB1655_20 Depth=1
	ds_load_b32 v25, v87
	s_wait_dscnt 0x0
	v_mov_b32_dpp v27, v25 row_shr:1 row_mask:0xf bank_mask:0xf
	v_and_b32_e32 v26, 3, v0
	s_delay_alu instid0(VALU_DEP_1) | instskip(NEXT) | instid1(VALU_DEP_3)
	v_cmp_ne_u32_e32 vcc_lo, 0, v26
	v_cndmask_b32_e32 v27, 0, v27, vcc_lo
	v_cmp_lt_u32_e32 vcc_lo, 1, v26
	s_delay_alu instid0(VALU_DEP_2) | instskip(NEXT) | instid1(VALU_DEP_1)
	v_add_nc_u32_e32 v25, v27, v25
	v_mov_b32_dpp v27, v25 row_shr:2 row_mask:0xf bank_mask:0xf
	s_delay_alu instid0(VALU_DEP_1) | instskip(NEXT) | instid1(VALU_DEP_1)
	v_cndmask_b32_e32 v26, 0, v27, vcc_lo
	v_add_nc_u32_e32 v25, v25, v26
	ds_store_b32 v87, v25
.LBB1655_102:                           ;   in Loop: Header=BB1655_20 Depth=1
	s_or_b32 exec_lo, exec_lo, s13
	v_mov_b32_e32 v25, 0
	s_wait_dscnt 0x0
	s_barrier_signal -1
	s_barrier_wait -1
	s_and_saveexec_b32 s13, s5
; %bb.103:                              ;   in Loop: Header=BB1655_20 Depth=1
	ds_load_b32 v25, v88
; %bb.104:                              ;   in Loop: Header=BB1655_20 Depth=1
	s_or_b32 exec_lo, exec_lo, s13
	v_sub_co_u32 v26, s13, v0, 1
	s_wait_dscnt 0x0
	s_barrier_signal -1
	s_barrier_wait -1
	s_delay_alu instid0(VALU_DEP_1) | instskip(SKIP_1) | instid1(VALU_DEP_1)
	v_cmp_gt_i32_e32 vcc_lo, 0, v26
	v_cndmask_b32_e32 v26, v26, v0, vcc_lo
	v_dual_add_nc_u32 v24, v25, v24 :: v_dual_lshlrev_b32 v96, 2, v26
	ds_bpermute_b32 v24, v96, v24
	s_and_saveexec_b32 s14, s0
	s_cbranch_execz .LBB1655_106
; %bb.105:                              ;   in Loop: Header=BB1655_20 Depth=1
	s_wait_dscnt 0x0
	v_cndmask_b32_e64 v24, v24, v25, s13
	s_delay_alu instid0(VALU_DEP_1)
	v_add_nc_u32_e32 v24, s55, v24
	ds_store_b32 v66, v24
.LBB1655_106:                           ;   in Loop: Header=BB1655_20 Depth=1
	s_or_b32 exec_lo, exec_lo, s14
	s_clause 0x1
	s_load_b32 s14, s[52:53], 0x4
	s_load_b32 s17, s[52:53], 0xc
	s_wait_dscnt 0x0
	v_dual_lshlrev_b32 v24, 3, v0 :: v_dual_bitop2_b32 v26, 7, v0 bitop3:0x40
	v_dual_mov_b32 v25, v1 :: v_dual_bitop2_b32 v97, v0, v6 bitop3:0x54
	s_mov_b32 s58, s57
	s_delay_alu instid0(VALU_DEP_2) | instskip(NEXT) | instid1(VALU_DEP_2)
	v_cmp_lt_u32_e64 s16, 3, v26
                                        ; implicit-def: $vgpr30_vgpr31
                                        ; implicit-def: $vgpr32_vgpr33
                                        ; implicit-def: $vgpr34_vgpr35
                                        ; implicit-def: $vgpr36_vgpr37
                                        ; implicit-def: $vgpr38_vgpr39
                                        ; implicit-def: $vgpr40_vgpr41
                                        ; implicit-def: $vgpr42_vgpr43
                                        ; implicit-def: $vgpr44_vgpr45
                                        ; implicit-def: $vgpr46_vgpr47
                                        ; implicit-def: $vgpr48_vgpr49
                                        ; implicit-def: $vgpr50_vgpr51
                                        ; implicit-def: $vgpr52_vgpr53
                                        ; implicit-def: $vgpr54_vgpr55
                                        ; implicit-def: $vgpr56_vgpr57
                                        ; implicit-def: $vgpr58_vgpr59
                                        ; implicit-def: $vgpr60_vgpr61
                                        ; implicit-def: $vgpr115
                                        ; implicit-def: $vgpr116
                                        ; implicit-def: $vgpr117
                                        ; implicit-def: $vgpr118
                                        ; implicit-def: $vgpr119
                                        ; implicit-def: $vgpr120
                                        ; implicit-def: $vgpr121
                                        ; implicit-def: $vgpr122
                                        ; implicit-def: $vgpr123
                                        ; implicit-def: $vgpr124
                                        ; implicit-def: $vgpr125
                                        ; implicit-def: $vgpr126
                                        ; implicit-def: $vgpr127
                                        ; implicit-def: $vgpr128
                                        ; implicit-def: $vgpr129
                                        ; implicit-def: $vgpr130
                                        ; implicit-def: $vgpr131
                                        ; implicit-def: $vgpr132
                                        ; implicit-def: $vgpr133
	v_add_nc_u64_e32 v[24:25], v[8:9], v[24:25]
	s_delay_alu instid0(VALU_DEP_3)
	v_dual_add_nc_u32 v98, 32, v97 :: v_dual_add_nc_u32 v99, 64, v97
	v_add_nc_u32_e32 v100, 0x60, v97
	v_add_nc_u32_e32 v101, 0x80, v97
	;; [unrolled: 1-line block ×8, first 2 shown]
	s_wait_kmcnt 0x0
	s_cmp_lt_u32 s42, s14
	v_add_nc_u32_e32 v108, 0x160, v97
	s_cselect_b32 s34, 14, 20
	s_and_b32 s17, s17, 0xffff
	s_add_nc_u64 s[14:15], s[52:53], s[34:35]
	v_add_nc_u32_e32 v109, 0x180, v97
	s_load_u16 s18, s[14:15], 0x0
	s_wait_xcnt 0x0
	v_cmp_eq_u32_e64 s14, 0, v26
	v_cmp_lt_u32_e64 s15, 1, v26
	v_add_nc_u32_e32 v110, 0x1a0, v97
	v_add_nc_u32_e32 v111, 0x1c0, v97
	;; [unrolled: 1-line block ×4, first 2 shown]
	s_mov_b32 s34, s55
	s_wait_kmcnt 0x0
	v_mad_u32_u24 v26, v89, s18, v91
	s_delay_alu instid0(VALU_DEP_1) | instskip(NEXT) | instid1(VALU_DEP_1)
	v_mad_u32 v26, v26, s17, v2
	v_lshrrev_b32_e32 v28, 3, v26
	v_add_nc_u64_e32 v[26:27], v[10:11], v[0:1]
	s_delay_alu instid0(VALU_DEP_2)
	v_and_b32_e32 v114, 0x1ffffffc, v28
                                        ; implicit-def: $vgpr28_vgpr29
	s_branch .LBB1655_108
.LBB1655_107:                           ;   in Loop: Header=BB1655_108 Depth=2
	s_or_b32 exec_lo, exec_lo, s17
	s_addk_co_i32 s58, 0xef00
	s_cmp_lt_u32 s59, s54
	s_mov_b32 s34, s59
	s_cbranch_scc0 .LBB1655_330
.LBB1655_108:                           ;   Parent Loop BB1655_20 Depth=1
                                        ; =>  This Inner Loop Header: Depth=2
	s_add_co_i32 s59, s34, 0x1100
	s_delay_alu instid0(SALU_CYCLE_1)
	s_cmp_gt_u32 s59, s54
	s_cbranch_scc1 .LBB1655_110
; %bb.109:                              ;   in Loop: Header=BB1655_108 Depth=2
	s_delay_alu instid0(VALU_DEP_2)
	v_add_nc_u64_e32 v[62:63], s[34:35], v[26:27]
	s_mov_b32 s17, -1
	s_clause 0xf
	global_load_u8 v135, v[62:63], off
	global_load_u8 v136, v[62:63], off offset:32
	global_load_u8 v137, v[62:63], off offset:64
	;; [unrolled: 1-line block ×15, first 2 shown]
	s_movk_i32 s18, 0x1100
	s_cbranch_execz .LBB1655_111
	s_branch .LBB1655_144
.LBB1655_110:                           ;   in Loop: Header=BB1655_108 Depth=2
	s_mov_b32 s17, 0
                                        ; implicit-def: $vgpr135
                                        ; implicit-def: $vgpr136
                                        ; implicit-def: $vgpr137
                                        ; implicit-def: $vgpr138
                                        ; implicit-def: $vgpr139
                                        ; implicit-def: $vgpr140
                                        ; implicit-def: $vgpr141
                                        ; implicit-def: $vgpr142
                                        ; implicit-def: $vgpr143
                                        ; implicit-def: $vgpr144
                                        ; implicit-def: $vgpr145
                                        ; implicit-def: $vgpr146
                                        ; implicit-def: $vgpr147
                                        ; implicit-def: $vgpr148
                                        ; implicit-def: $vgpr149
                                        ; implicit-def: $vgpr150
	s_movk_i32 s18, 0x1100
.LBB1655_111:                           ;   in Loop: Header=BB1655_108 Depth=2
	s_wait_xcnt 0x0
	v_add_nc_u64_e32 v[62:63], s[34:35], v[26:27]
	s_wait_loadcnt 0xe
	v_dual_mov_b32 v136, 1 :: v_dual_mov_b32 v135, 1
	s_mov_b32 s17, exec_lo
	v_cmpx_gt_u32_e64 s58, v97
	s_cbranch_execz .LBB1655_113
; %bb.112:                              ;   in Loop: Header=BB1655_108 Depth=2
	global_load_u8 v135, v[62:63], off
.LBB1655_113:                           ;   in Loop: Header=BB1655_108 Depth=2
	s_wait_xcnt 0x0
	s_or_b32 exec_lo, exec_lo, s17
	s_delay_alu instid0(SALU_CYCLE_1)
	s_mov_b32 s17, exec_lo
	v_cmpx_gt_u32_e64 s58, v98
	s_cbranch_execz .LBB1655_115
; %bb.114:                              ;   in Loop: Header=BB1655_108 Depth=2
	global_load_u8 v136, v[62:63], off offset:32
.LBB1655_115:                           ;   in Loop: Header=BB1655_108 Depth=2
	s_wait_xcnt 0x0
	s_or_b32 exec_lo, exec_lo, s17
	s_wait_loadcnt 0xc
	v_dual_mov_b32 v138, 1 :: v_dual_mov_b32 v137, 1
	s_mov_b32 s17, exec_lo
	v_cmpx_gt_u32_e64 s58, v99
	s_cbranch_execz .LBB1655_117
; %bb.116:                              ;   in Loop: Header=BB1655_108 Depth=2
	global_load_u8 v137, v[62:63], off offset:64
.LBB1655_117:                           ;   in Loop: Header=BB1655_108 Depth=2
	s_wait_xcnt 0x0
	s_or_b32 exec_lo, exec_lo, s17
	s_delay_alu instid0(SALU_CYCLE_1)
	s_mov_b32 s17, exec_lo
	v_cmpx_gt_u32_e64 s58, v100
	s_cbranch_execz .LBB1655_119
; %bb.118:                              ;   in Loop: Header=BB1655_108 Depth=2
	global_load_u8 v138, v[62:63], off offset:96
.LBB1655_119:                           ;   in Loop: Header=BB1655_108 Depth=2
	s_wait_xcnt 0x0
	s_or_b32 exec_lo, exec_lo, s17
	s_wait_loadcnt 0xa
	v_dual_mov_b32 v140, 1 :: v_dual_mov_b32 v139, 1
	s_mov_b32 s17, exec_lo
	v_cmpx_gt_u32_e64 s58, v101
	s_cbranch_execz .LBB1655_121
; %bb.120:                              ;   in Loop: Header=BB1655_108 Depth=2
	global_load_u8 v139, v[62:63], off offset:128
.LBB1655_121:                           ;   in Loop: Header=BB1655_108 Depth=2
	;; [unrolled: 19-line block ×7, first 2 shown]
	s_wait_xcnt 0x0
	s_or_b32 exec_lo, exec_lo, s17
	s_delay_alu instid0(SALU_CYCLE_1)
	s_mov_b32 s17, exec_lo
	v_cmpx_gt_u32_e64 s58, v112
	s_cbranch_execz .LBB1655_143
; %bb.142:                              ;   in Loop: Header=BB1655_108 Depth=2
	global_load_u8 v150, v[62:63], off offset:480
.LBB1655_143:                           ;   in Loop: Header=BB1655_108 Depth=2
	s_wait_xcnt 0x0
	s_or_b32 exec_lo, exec_lo, s17
	v_cmp_gt_u32_e64 s17, s58, v113
	s_sub_co_i32 s18, s54, s34
.LBB1655_144:                           ;   in Loop: Header=BB1655_108 Depth=2
	v_dual_mov_b32 v151, 1 :: v_dual_mov_b32 v134, s58
	s_wait_xcnt 0x0
	s_and_saveexec_b32 s19, s17
	s_cbranch_execz .LBB1655_146
; %bb.145:                              ;   in Loop: Header=BB1655_108 Depth=2
	v_add_nc_u64_e32 v[62:63], s[34:35], v[26:27]
	v_mov_b32_e32 v134, s18
	global_load_u8 v151, v[62:63], off offset:512
.LBB1655_146:                           ;   in Loop: Header=BB1655_108 Depth=2
	s_wait_xcnt 0x0
	s_or_b32 exec_lo, exec_lo, s19
	s_wait_loadcnt 0xf
	v_and_b32_e32 v62, 0xff, v135
	ds_store_2addr_b32 v90, v1, v1 offset0:136 offset1:137
	ds_store_2addr_b32 v90, v1, v1 offset0:138 offset1:139
	ds_store_b32 v90, v1 offset:560
	s_wait_loadcnt_dscnt 0x0
	s_barrier_signal -1
	s_barrier_wait -1
	v_lshrrev_b32_e32 v62, s43, v62
	; wave barrier
	s_delay_alu instid0(VALU_DEP_1) | instskip(NEXT) | instid1(VALU_DEP_1)
	v_and_b32_e32 v63, s48, v62
	v_add_co_u32 v62, s17, v63, -1
	s_delay_alu instid0(VALU_DEP_1) | instskip(SKIP_1) | instid1(VALU_DEP_2)
	v_cndmask_b32_e64 v64, 0, 1, s17
	v_mul_u32_u24_e32 v63, 36, v63
	v_cmp_ne_u32_e32 vcc_lo, 0, v64
	s_delay_alu instid0(VALU_DEP_2) | instskip(SKIP_1) | instid1(VALU_DEP_1)
	v_add_nc_u32_e32 v155, v114, v63
	v_bitop3_b32 v62, vcc_lo, exec_lo, v62 bitop3:0x48
	v_mbcnt_lo_u32_b32 v152, v62, 0
	v_cmp_ne_u32_e64 s17, 0, v62
	s_delay_alu instid0(VALU_DEP_2) | instskip(SKIP_1) | instid1(SALU_CYCLE_1)
	v_cmp_eq_u32_e32 vcc_lo, 0, v152
	s_and_b32 s18, s17, vcc_lo
	s_and_saveexec_b32 s17, s18
; %bb.147:                              ;   in Loop: Header=BB1655_108 Depth=2
	v_bcnt_u32_b32 v62, v62, 0
	ds_store_b32 v155, v62 offset:544
; %bb.148:                              ;   in Loop: Header=BB1655_108 Depth=2
	s_or_b32 exec_lo, exec_lo, s17
	v_and_b32_e32 v62, 0xff, v136
	; wave barrier
	s_delay_alu instid0(VALU_DEP_1) | instskip(NEXT) | instid1(VALU_DEP_1)
	v_lshrrev_b32_e32 v62, s43, v62
	v_and_b32_e32 v63, s48, v62
	s_delay_alu instid0(VALU_DEP_1) | instskip(NEXT) | instid1(VALU_DEP_1)
	v_add_co_u32 v62, s17, v63, -1
	v_cndmask_b32_e64 v64, 0, 1, s17
	v_mad_u32_u24 v65, v63, 36, v114
	v_mul_u32_u24_e32 v63, 36, v63
	s_delay_alu instid0(VALU_DEP_3) | instskip(SKIP_3) | instid1(VALU_DEP_1)
	v_cmp_ne_u32_e32 vcc_lo, 0, v64
	ds_load_b32 v153, v65 offset:544
	v_add_nc_u32_e32 v158, v114, v63
	; wave barrier
	v_bitop3_b32 v62, vcc_lo, exec_lo, v62 bitop3:0x48
	v_mbcnt_lo_u32_b32 v154, v62, 0
	v_cmp_ne_u32_e64 s17, 0, v62
	s_delay_alu instid0(VALU_DEP_2) | instskip(SKIP_1) | instid1(SALU_CYCLE_1)
	v_cmp_eq_u32_e32 vcc_lo, 0, v154
	s_and_b32 s18, s17, vcc_lo
	s_and_saveexec_b32 s17, s18
	s_cbranch_execz .LBB1655_150
; %bb.149:                              ;   in Loop: Header=BB1655_108 Depth=2
	s_wait_dscnt 0x0
	v_bcnt_u32_b32 v62, v62, v153
	ds_store_b32 v158, v62 offset:544
.LBB1655_150:                           ;   in Loop: Header=BB1655_108 Depth=2
	s_or_b32 exec_lo, exec_lo, s17
	v_and_b32_e32 v62, 0xff, v137
	; wave barrier
	s_delay_alu instid0(VALU_DEP_1) | instskip(NEXT) | instid1(VALU_DEP_1)
	v_lshrrev_b32_e32 v62, s43, v62
	v_and_b32_e32 v63, s48, v62
	s_delay_alu instid0(VALU_DEP_1) | instskip(NEXT) | instid1(VALU_DEP_1)
	v_add_co_u32 v62, s17, v63, -1
	v_cndmask_b32_e64 v64, 0, 1, s17
	v_mad_u32_u24 v65, v63, 36, v114
	v_mul_u32_u24_e32 v63, 36, v63
	s_delay_alu instid0(VALU_DEP_3) | instskip(SKIP_3) | instid1(VALU_DEP_1)
	v_cmp_ne_u32_e32 vcc_lo, 0, v64
	ds_load_b32 v156, v65 offset:544
	v_add_nc_u32_e32 v161, v114, v63
	; wave barrier
	v_bitop3_b32 v62, vcc_lo, exec_lo, v62 bitop3:0x48
	v_mbcnt_lo_u32_b32 v157, v62, 0
	v_cmp_ne_u32_e64 s17, 0, v62
	s_delay_alu instid0(VALU_DEP_2) | instskip(SKIP_1) | instid1(SALU_CYCLE_1)
	v_cmp_eq_u32_e32 vcc_lo, 0, v157
	s_and_b32 s18, s17, vcc_lo
	s_and_saveexec_b32 s17, s18
	s_cbranch_execz .LBB1655_152
; %bb.151:                              ;   in Loop: Header=BB1655_108 Depth=2
	s_wait_dscnt 0x0
	v_bcnt_u32_b32 v62, v62, v156
	ds_store_b32 v161, v62 offset:544
.LBB1655_152:                           ;   in Loop: Header=BB1655_108 Depth=2
	;; [unrolled: 29-line block ×16, first 2 shown]
	s_or_b32 exec_lo, exec_lo, s17
	; wave barrier
	s_wait_dscnt 0x0
	s_barrier_signal -1
	s_barrier_wait -1
	ds_load_2addr_b32 v[64:65], v90 offset0:136 offset1:137
	ds_load_2addr_b32 v[62:63], v90 offset0:138 offset1:139
	ds_load_b32 v202, v90 offset:560
	s_wait_dscnt 0x1
	v_add3_u32 v203, v65, v64, v62
	s_wait_dscnt 0x0
	s_delay_alu instid0(VALU_DEP_1) | instskip(NEXT) | instid1(VALU_DEP_1)
	v_add3_u32 v202, v203, v63, v202
	v_mov_b32_dpp v203, v202 row_shr:1 row_mask:0xf bank_mask:0xf
	s_delay_alu instid0(VALU_DEP_1) | instskip(NEXT) | instid1(VALU_DEP_1)
	v_cndmask_b32_e64 v203, v203, 0, s8
	v_add_nc_u32_e32 v202, v203, v202
	s_delay_alu instid0(VALU_DEP_1) | instskip(NEXT) | instid1(VALU_DEP_1)
	v_mov_b32_dpp v203, v202 row_shr:2 row_mask:0xf bank_mask:0xf
	v_cndmask_b32_e64 v203, 0, v203, s9
	s_delay_alu instid0(VALU_DEP_1) | instskip(NEXT) | instid1(VALU_DEP_1)
	v_add_nc_u32_e32 v202, v202, v203
	v_mov_b32_dpp v203, v202 row_shr:4 row_mask:0xf bank_mask:0xf
	s_delay_alu instid0(VALU_DEP_1) | instskip(NEXT) | instid1(VALU_DEP_1)
	v_cndmask_b32_e64 v203, 0, v203, s10
	v_add_nc_u32_e32 v202, v202, v203
	s_delay_alu instid0(VALU_DEP_1) | instskip(NEXT) | instid1(VALU_DEP_1)
	v_mov_b32_dpp v203, v202 row_shr:8 row_mask:0xf bank_mask:0xf
	v_cndmask_b32_e64 v203, 0, v203, s11
	s_delay_alu instid0(VALU_DEP_1) | instskip(SKIP_3) | instid1(VALU_DEP_1)
	v_add_nc_u32_e32 v202, v202, v203
	ds_swizzle_b32 v203, v202 offset:swizzle(BROADCAST,32,15)
	s_wait_dscnt 0x0
	v_cndmask_b32_e64 v203, v203, 0, s12
	v_add_nc_u32_e32 v202, v202, v203
	s_and_saveexec_b32 s17, s2
; %bb.181:                              ;   in Loop: Header=BB1655_108 Depth=2
	ds_store_b32 v83, v202 offset:512
; %bb.182:                              ;   in Loop: Header=BB1655_108 Depth=2
	s_or_b32 exec_lo, exec_lo, s17
	s_wait_dscnt 0x0
	s_barrier_signal -1
	s_barrier_wait -1
	s_and_saveexec_b32 s17, s3
	s_cbranch_execz .LBB1655_184
; %bb.183:                              ;   in Loop: Header=BB1655_108 Depth=2
	ds_load_b32 v203, v92 offset:512
	s_wait_dscnt 0x0
	v_mov_b32_dpp v204, v203 row_shr:1 row_mask:0xf bank_mask:0xf
	s_delay_alu instid0(VALU_DEP_1) | instskip(NEXT) | instid1(VALU_DEP_1)
	v_cndmask_b32_e64 v204, v204, 0, s14
	v_add_nc_u32_e32 v203, v204, v203
	s_delay_alu instid0(VALU_DEP_1) | instskip(NEXT) | instid1(VALU_DEP_1)
	v_mov_b32_dpp v204, v203 row_shr:2 row_mask:0xf bank_mask:0xf
	v_cndmask_b32_e64 v204, 0, v204, s15
	s_delay_alu instid0(VALU_DEP_1) | instskip(NEXT) | instid1(VALU_DEP_1)
	v_add_nc_u32_e32 v203, v203, v204
	v_mov_b32_dpp v204, v203 row_shr:4 row_mask:0xf bank_mask:0xf
	s_delay_alu instid0(VALU_DEP_1) | instskip(NEXT) | instid1(VALU_DEP_1)
	v_cndmask_b32_e64 v204, 0, v204, s16
	v_add_nc_u32_e32 v203, v203, v204
	ds_store_b32 v92, v203 offset:512
.LBB1655_184:                           ;   in Loop: Header=BB1655_108 Depth=2
	s_or_b32 exec_lo, exec_lo, s17
	v_mov_b32_e32 v203, 0
	s_wait_dscnt 0x0
	s_barrier_signal -1
	s_barrier_wait -1
	s_and_saveexec_b32 s17, s5
; %bb.185:                              ;   in Loop: Header=BB1655_108 Depth=2
	ds_load_b32 v203, v83 offset:508
; %bb.186:                              ;   in Loop: Header=BB1655_108 Depth=2
	s_or_b32 exec_lo, exec_lo, s17
	s_wait_dscnt 0x0
	v_add_nc_u32_e32 v202, v203, v202
	ds_bpermute_b32 v202, v96, v202
	s_wait_dscnt 0x0
	v_cndmask_b32_e64 v202, v202, v203, s13
	s_delay_alu instid0(VALU_DEP_1) | instskip(NEXT) | instid1(VALU_DEP_1)
	v_cndmask_b32_e64 v202, v202, 0, s6
	v_add_nc_u32_e32 v64, v202, v64
	s_delay_alu instid0(VALU_DEP_1) | instskip(NEXT) | instid1(VALU_DEP_1)
	v_add_nc_u32_e32 v65, v64, v65
	v_add_nc_u32_e32 v62, v65, v62
	s_delay_alu instid0(VALU_DEP_1)
	v_add_nc_u32_e32 v63, v62, v63
	ds_store_2addr_b32 v90, v202, v64 offset0:136 offset1:137
	ds_store_2addr_b32 v90, v65, v62 offset0:138 offset1:139
	ds_store_b32 v90, v63 offset:560
	s_wait_dscnt 0x0
	s_barrier_signal -1
	s_barrier_wait -1
	ds_load_b32 v62, v155 offset:544
	ds_load_b32 v63, v158 offset:544
	;; [unrolled: 1-line block ×17, first 2 shown]
	s_and_saveexec_b32 s17, s0
	s_cbranch_execz .LBB1655_190
; %bb.187:                              ;   in Loop: Header=BB1655_108 Depth=2
	v_dual_mov_b32 v133, 0x1100 :: v_dual_add_nc_u32 v132, v92, v94
	ds_load_b32 v132, v132 offset:544
	s_and_saveexec_b32 s18, s7
; %bb.188:                              ;   in Loop: Header=BB1655_108 Depth=2
	ds_load_b32 v133, v93 offset:544
; %bb.189:                              ;   in Loop: Header=BB1655_108 Depth=2
	s_or_b32 exec_lo, exec_lo, s18
	s_wait_dscnt 0x0
	v_sub_nc_u32_e32 v133, v133, v132
.LBB1655_190:                           ;   in Loop: Header=BB1655_108 Depth=2
	s_or_b32 exec_lo, exec_lo, s17
	s_wait_dscnt 0x0
	s_barrier_signal -1
	s_barrier_wait -1
	s_and_saveexec_b32 s17, s0
	s_cbranch_execz .LBB1655_192
; %bb.191:                              ;   in Loop: Header=BB1655_108 Depth=2
	ds_load_b32 v161, v66
	s_wait_dscnt 0x0
	v_sub_nc_u32_e32 v161, v161, v132
	ds_store_b32 v66, v161
.LBB1655_192:                           ;   in Loop: Header=BB1655_108 Depth=2
	s_or_b32 exec_lo, exec_lo, s17
	v_add_nc_u32_e32 v166, v62, v152
	v_add3_u32 v165, v154, v153, v63
	v_add3_u32 v164, v157, v156, v64
	;; [unrolled: 1-line block ×16, first 2 shown]
	v_cmp_lt_u32_e32 vcc_lo, v2, v134
	ds_store_b8 v166, v135 offset:512
	ds_store_b8 v165, v136 offset:512
	;; [unrolled: 1-line block ×17, first 2 shown]
	s_wait_dscnt 0x0
	s_barrier_signal -1
	s_barrier_wait -1
	s_and_saveexec_b32 s17, vcc_lo
	s_cbranch_execnz .LBB1655_265
; %bb.193:                              ;   in Loop: Header=BB1655_108 Depth=2
	s_or_b32 exec_lo, exec_lo, s17
	v_cmp_lt_u32_e64 s17, v67, v134
	s_and_saveexec_b32 s18, s17
	s_cbranch_execnz .LBB1655_266
.LBB1655_194:                           ;   in Loop: Header=BB1655_108 Depth=2
	s_or_b32 exec_lo, exec_lo, s18
	v_cmp_lt_u32_e64 s18, v68, v134
	s_and_saveexec_b32 s19, s18
	s_cbranch_execnz .LBB1655_267
.LBB1655_195:                           ;   in Loop: Header=BB1655_108 Depth=2
	s_or_b32 exec_lo, exec_lo, s19
	v_cmp_lt_u32_e64 s19, v69, v134
	s_and_saveexec_b32 s20, s19
	s_cbranch_execnz .LBB1655_268
.LBB1655_196:                           ;   in Loop: Header=BB1655_108 Depth=2
	s_or_b32 exec_lo, exec_lo, s20
	v_cmp_lt_u32_e64 s20, v70, v134
	s_and_saveexec_b32 s21, s20
	s_cbranch_execnz .LBB1655_269
.LBB1655_197:                           ;   in Loop: Header=BB1655_108 Depth=2
	s_or_b32 exec_lo, exec_lo, s21
	v_cmp_lt_u32_e64 s21, v71, v134
	s_and_saveexec_b32 s22, s21
	s_cbranch_execnz .LBB1655_270
.LBB1655_198:                           ;   in Loop: Header=BB1655_108 Depth=2
	s_or_b32 exec_lo, exec_lo, s22
	v_cmp_lt_u32_e64 s22, v72, v134
	s_and_saveexec_b32 s23, s22
	s_cbranch_execnz .LBB1655_271
.LBB1655_199:                           ;   in Loop: Header=BB1655_108 Depth=2
	s_or_b32 exec_lo, exec_lo, s23
	v_cmp_lt_u32_e64 s23, v73, v134
	s_and_saveexec_b32 s24, s23
	s_cbranch_execnz .LBB1655_272
.LBB1655_200:                           ;   in Loop: Header=BB1655_108 Depth=2
	s_or_b32 exec_lo, exec_lo, s24
	v_cmp_lt_u32_e64 s24, v74, v134
	s_and_saveexec_b32 s25, s24
	s_cbranch_execnz .LBB1655_273
.LBB1655_201:                           ;   in Loop: Header=BB1655_108 Depth=2
	s_or_b32 exec_lo, exec_lo, s25
	v_cmp_lt_u32_e64 s25, v75, v134
	s_and_saveexec_b32 s26, s25
	s_cbranch_execnz .LBB1655_274
.LBB1655_202:                           ;   in Loop: Header=BB1655_108 Depth=2
	s_or_b32 exec_lo, exec_lo, s26
	v_cmp_lt_u32_e64 s26, v76, v134
	s_and_saveexec_b32 s27, s26
	s_cbranch_execnz .LBB1655_275
.LBB1655_203:                           ;   in Loop: Header=BB1655_108 Depth=2
	s_or_b32 exec_lo, exec_lo, s27
	v_cmp_lt_u32_e64 s27, v77, v134
	s_and_saveexec_b32 s28, s27
	s_cbranch_execnz .LBB1655_276
.LBB1655_204:                           ;   in Loop: Header=BB1655_108 Depth=2
	s_or_b32 exec_lo, exec_lo, s28
	v_cmp_lt_u32_e64 s28, v78, v134
	s_and_saveexec_b32 s29, s28
	s_cbranch_execnz .LBB1655_277
.LBB1655_205:                           ;   in Loop: Header=BB1655_108 Depth=2
	s_or_b32 exec_lo, exec_lo, s29
	v_cmp_lt_u32_e64 s29, v79, v134
	s_and_saveexec_b32 s30, s29
	s_cbranch_execnz .LBB1655_278
.LBB1655_206:                           ;   in Loop: Header=BB1655_108 Depth=2
	s_or_b32 exec_lo, exec_lo, s30
	v_cmp_lt_u32_e64 s30, v80, v134
	s_and_saveexec_b32 s31, s30
	s_cbranch_execnz .LBB1655_279
.LBB1655_207:                           ;   in Loop: Header=BB1655_108 Depth=2
	s_or_b32 exec_lo, exec_lo, s31
	v_cmp_lt_u32_e64 s31, v81, v134
	s_and_saveexec_b32 s33, s31
	s_cbranch_execnz .LBB1655_280
.LBB1655_208:                           ;   in Loop: Header=BB1655_108 Depth=2
	s_or_b32 exec_lo, exec_lo, s33
	v_cmp_lt_u32_e64 s33, v82, v134
	s_and_saveexec_b32 s60, s33
	s_cbranch_execz .LBB1655_210
.LBB1655_209:                           ;   in Loop: Header=BB1655_108 Depth=2
	ds_load_u8 v62, v2 offset:4608
	s_wait_dscnt 0x0
	v_and_b32_e32 v63, 1, v62
	s_delay_alu instid0(VALU_DEP_1) | instskip(NEXT) | instid1(VALU_DEP_1)
	v_lshrrev_b32_e32 v63, s43, v63
	v_and_b32_e32 v63, s48, v63
	s_delay_alu instid0(VALU_DEP_1)
	v_lshlrev_b32_e32 v63, 2, v63
	ds_load_b32 v63, v63
	s_wait_dscnt 0x0
	v_add_nc_u32_e32 v63, v63, v82
	global_store_b8 v63, v62, s[38:39]
.LBB1655_210:                           ;   in Loop: Header=BB1655_108 Depth=2
	s_wait_xcnt 0x0
	s_or_b32 exec_lo, exec_lo, s60
	v_lshl_add_u64 v[62:63], s[34:35], 3, v[24:25]
	v_cmp_lt_u32_e64 s34, v97, v134
	s_and_saveexec_b32 s60, s34
	s_delay_alu instid0(SALU_CYCLE_1)
	s_xor_b32 s34, exec_lo, s60
	s_cbranch_execnz .LBB1655_281
; %bb.211:                              ;   in Loop: Header=BB1655_108 Depth=2
	s_or_b32 exec_lo, exec_lo, s34
	s_delay_alu instid0(SALU_CYCLE_1)
	s_mov_b32 s60, exec_lo
	v_cmpx_lt_u32_e64 v98, v134
	s_cbranch_execnz .LBB1655_282
.LBB1655_212:                           ;   in Loop: Header=BB1655_108 Depth=2
	s_or_b32 exec_lo, exec_lo, s60
	s_delay_alu instid0(SALU_CYCLE_1)
	s_mov_b32 s60, exec_lo
	v_cmpx_lt_u32_e64 v99, v134
	s_cbranch_execnz .LBB1655_283
.LBB1655_213:                           ;   in Loop: Header=BB1655_108 Depth=2
	s_or_b32 exec_lo, exec_lo, s60
	s_delay_alu instid0(SALU_CYCLE_1)
	s_mov_b32 s60, exec_lo
	v_cmpx_lt_u32_e64 v100, v134
	s_cbranch_execnz .LBB1655_284
.LBB1655_214:                           ;   in Loop: Header=BB1655_108 Depth=2
	s_or_b32 exec_lo, exec_lo, s60
	s_delay_alu instid0(SALU_CYCLE_1)
	s_mov_b32 s60, exec_lo
	v_cmpx_lt_u32_e64 v101, v134
	s_cbranch_execnz .LBB1655_285
.LBB1655_215:                           ;   in Loop: Header=BB1655_108 Depth=2
	s_or_b32 exec_lo, exec_lo, s60
	s_delay_alu instid0(SALU_CYCLE_1)
	s_mov_b32 s60, exec_lo
	v_cmpx_lt_u32_e64 v102, v134
	s_cbranch_execnz .LBB1655_286
.LBB1655_216:                           ;   in Loop: Header=BB1655_108 Depth=2
	s_or_b32 exec_lo, exec_lo, s60
	s_delay_alu instid0(SALU_CYCLE_1)
	s_mov_b32 s60, exec_lo
	v_cmpx_lt_u32_e64 v103, v134
	s_cbranch_execnz .LBB1655_287
.LBB1655_217:                           ;   in Loop: Header=BB1655_108 Depth=2
	s_or_b32 exec_lo, exec_lo, s60
	s_delay_alu instid0(SALU_CYCLE_1)
	s_mov_b32 s60, exec_lo
	v_cmpx_lt_u32_e64 v104, v134
	s_cbranch_execnz .LBB1655_288
.LBB1655_218:                           ;   in Loop: Header=BB1655_108 Depth=2
	s_or_b32 exec_lo, exec_lo, s60
	s_delay_alu instid0(SALU_CYCLE_1)
	s_mov_b32 s60, exec_lo
	v_cmpx_lt_u32_e64 v105, v134
	s_cbranch_execnz .LBB1655_289
.LBB1655_219:                           ;   in Loop: Header=BB1655_108 Depth=2
	s_or_b32 exec_lo, exec_lo, s60
	s_delay_alu instid0(SALU_CYCLE_1)
	s_mov_b32 s60, exec_lo
	v_cmpx_lt_u32_e64 v106, v134
	s_cbranch_execnz .LBB1655_290
.LBB1655_220:                           ;   in Loop: Header=BB1655_108 Depth=2
	s_or_b32 exec_lo, exec_lo, s60
	s_delay_alu instid0(SALU_CYCLE_1)
	s_mov_b32 s60, exec_lo
	v_cmpx_lt_u32_e64 v107, v134
	s_cbranch_execnz .LBB1655_291
.LBB1655_221:                           ;   in Loop: Header=BB1655_108 Depth=2
	s_or_b32 exec_lo, exec_lo, s60
	s_delay_alu instid0(SALU_CYCLE_1)
	s_mov_b32 s60, exec_lo
	v_cmpx_lt_u32_e64 v108, v134
	s_cbranch_execnz .LBB1655_292
.LBB1655_222:                           ;   in Loop: Header=BB1655_108 Depth=2
	s_or_b32 exec_lo, exec_lo, s60
	s_delay_alu instid0(SALU_CYCLE_1)
	s_mov_b32 s60, exec_lo
	v_cmpx_lt_u32_e64 v109, v134
	s_cbranch_execnz .LBB1655_293
.LBB1655_223:                           ;   in Loop: Header=BB1655_108 Depth=2
	s_or_b32 exec_lo, exec_lo, s60
	s_delay_alu instid0(SALU_CYCLE_1)
	s_mov_b32 s60, exec_lo
	v_cmpx_lt_u32_e64 v110, v134
	s_cbranch_execnz .LBB1655_294
.LBB1655_224:                           ;   in Loop: Header=BB1655_108 Depth=2
	s_or_b32 exec_lo, exec_lo, s60
	s_delay_alu instid0(SALU_CYCLE_1)
	s_mov_b32 s60, exec_lo
	v_cmpx_lt_u32_e64 v111, v134
	s_cbranch_execnz .LBB1655_295
.LBB1655_225:                           ;   in Loop: Header=BB1655_108 Depth=2
	s_or_b32 exec_lo, exec_lo, s60
	s_delay_alu instid0(SALU_CYCLE_1)
	s_mov_b32 s60, exec_lo
	v_cmpx_lt_u32_e64 v112, v134
	s_cbranch_execnz .LBB1655_296
.LBB1655_226:                           ;   in Loop: Header=BB1655_108 Depth=2
	s_or_b32 exec_lo, exec_lo, s60
	s_delay_alu instid0(SALU_CYCLE_1)
	s_mov_b32 s60, exec_lo
	v_cmpx_lt_u32_e64 v113, v134
	s_cbranch_execnz .LBB1655_297
.LBB1655_227:                           ;   in Loop: Header=BB1655_108 Depth=2
	s_or_b32 exec_lo, exec_lo, s60
	s_and_saveexec_b32 s34, vcc_lo
	s_cbranch_execnz .LBB1655_298
.LBB1655_228:                           ;   in Loop: Header=BB1655_108 Depth=2
	s_or_b32 exec_lo, exec_lo, s34
	s_and_saveexec_b32 s34, s17
	s_cbranch_execnz .LBB1655_299
.LBB1655_229:                           ;   in Loop: Header=BB1655_108 Depth=2
	s_or_b32 exec_lo, exec_lo, s34
	s_and_saveexec_b32 s34, s18
	s_cbranch_execnz .LBB1655_300
.LBB1655_230:                           ;   in Loop: Header=BB1655_108 Depth=2
	s_or_b32 exec_lo, exec_lo, s34
	s_and_saveexec_b32 s34, s19
	s_cbranch_execnz .LBB1655_301
.LBB1655_231:                           ;   in Loop: Header=BB1655_108 Depth=2
	s_or_b32 exec_lo, exec_lo, s34
	s_and_saveexec_b32 s34, s20
	s_cbranch_execnz .LBB1655_302
.LBB1655_232:                           ;   in Loop: Header=BB1655_108 Depth=2
	s_or_b32 exec_lo, exec_lo, s34
	s_and_saveexec_b32 s34, s21
	s_cbranch_execnz .LBB1655_303
.LBB1655_233:                           ;   in Loop: Header=BB1655_108 Depth=2
	s_or_b32 exec_lo, exec_lo, s34
	s_and_saveexec_b32 s34, s22
	s_cbranch_execnz .LBB1655_304
.LBB1655_234:                           ;   in Loop: Header=BB1655_108 Depth=2
	s_or_b32 exec_lo, exec_lo, s34
	s_and_saveexec_b32 s34, s23
	s_cbranch_execnz .LBB1655_305
.LBB1655_235:                           ;   in Loop: Header=BB1655_108 Depth=2
	s_or_b32 exec_lo, exec_lo, s34
	s_and_saveexec_b32 s34, s24
	s_cbranch_execnz .LBB1655_306
.LBB1655_236:                           ;   in Loop: Header=BB1655_108 Depth=2
	s_or_b32 exec_lo, exec_lo, s34
	s_and_saveexec_b32 s34, s25
	s_cbranch_execnz .LBB1655_307
.LBB1655_237:                           ;   in Loop: Header=BB1655_108 Depth=2
	s_or_b32 exec_lo, exec_lo, s34
	s_and_saveexec_b32 s34, s26
	s_cbranch_execnz .LBB1655_308
.LBB1655_238:                           ;   in Loop: Header=BB1655_108 Depth=2
	s_or_b32 exec_lo, exec_lo, s34
	s_and_saveexec_b32 s34, s27
	s_cbranch_execnz .LBB1655_309
.LBB1655_239:                           ;   in Loop: Header=BB1655_108 Depth=2
	s_or_b32 exec_lo, exec_lo, s34
	s_and_saveexec_b32 s34, s28
	s_cbranch_execnz .LBB1655_310
.LBB1655_240:                           ;   in Loop: Header=BB1655_108 Depth=2
	s_or_b32 exec_lo, exec_lo, s34
	s_and_saveexec_b32 s34, s29
	s_cbranch_execnz .LBB1655_311
.LBB1655_241:                           ;   in Loop: Header=BB1655_108 Depth=2
	s_or_b32 exec_lo, exec_lo, s34
	s_and_saveexec_b32 s34, s30
	s_cbranch_execnz .LBB1655_312
.LBB1655_242:                           ;   in Loop: Header=BB1655_108 Depth=2
	s_or_b32 exec_lo, exec_lo, s34
	s_and_saveexec_b32 s34, s31
	s_cbranch_execnz .LBB1655_313
.LBB1655_243:                           ;   in Loop: Header=BB1655_108 Depth=2
	s_or_b32 exec_lo, exec_lo, s34
	s_and_saveexec_b32 s34, s33
	s_cbranch_execz .LBB1655_245
.LBB1655_244:                           ;   in Loop: Header=BB1655_108 Depth=2
	ds_load_u8 v62, v2 offset:4608
	s_wait_dscnt 0x0
	v_lshrrev_b32_e32 v62, s43, v62
	s_delay_alu instid0(VALU_DEP_1)
	v_and_b32_e32 v115, s48, v62
.LBB1655_245:                           ;   in Loop: Header=BB1655_108 Depth=2
	s_or_b32 exec_lo, exec_lo, s34
	v_dual_lshlrev_b32 v62, 3, v166 :: v_dual_lshlrev_b32 v63, 3, v165
	s_wait_loadcnt 0x0
	s_wait_storecnt 0x0
	s_barrier_signal -1
	s_barrier_wait -1
	ds_store_b64 v62, v[60:61] offset:512
	ds_store_b64 v63, v[58:59] offset:512
	v_dual_lshlrev_b32 v62, 3, v164 :: v_dual_lshlrev_b32 v63, 3, v163
	v_dual_lshlrev_b32 v134, 3, v162 :: v_dual_lshlrev_b32 v135, 3, v161
	v_lshlrev_b32_e32 v136, 3, v160
	ds_store_b64 v62, v[56:57] offset:512
	ds_store_b64 v63, v[54:55] offset:512
	ds_store_b64 v134, v[52:53] offset:512
	ds_store_b64 v135, v[50:51] offset:512
	ds_store_b64 v136, v[48:49] offset:512
	v_dual_lshlrev_b32 v62, 3, v159 :: v_dual_lshlrev_b32 v63, 3, v158
	v_dual_lshlrev_b32 v134, 3, v157 :: v_dual_lshlrev_b32 v135, 3, v156
	v_lshlrev_b32_e32 v136, 3, v155
	ds_store_b64 v62, v[46:47] offset:512
	ds_store_b64 v63, v[44:45] offset:512
	ds_store_b64 v134, v[42:43] offset:512
	ds_store_b64 v135, v[40:41] offset:512
	ds_store_b64 v136, v[38:39] offset:512
	v_dual_lshlrev_b32 v62, 3, v154 :: v_dual_lshlrev_b32 v63, 3, v153
	v_dual_lshlrev_b32 v134, 3, v152 :: v_dual_lshlrev_b32 v65, 3, v65
	v_lshlrev_b32_e32 v64, 3, v64
	ds_store_b64 v62, v[36:37] offset:512
	ds_store_b64 v63, v[34:35] offset:512
	ds_store_b64 v134, v[32:33] offset:512
	ds_store_b64 v65, v[30:31] offset:512
	ds_store_b64 v64, v[28:29] offset:512
	s_wait_dscnt 0x0
	s_barrier_signal -1
	s_barrier_wait -1
	s_and_saveexec_b32 s34, vcc_lo
	s_cbranch_execnz .LBB1655_314
; %bb.246:                              ;   in Loop: Header=BB1655_108 Depth=2
	s_or_b32 exec_lo, exec_lo, s34
	s_and_saveexec_b32 s34, s17
	s_cbranch_execnz .LBB1655_315
.LBB1655_247:                           ;   in Loop: Header=BB1655_108 Depth=2
	s_or_b32 exec_lo, exec_lo, s34
	s_and_saveexec_b32 s17, s18
	s_cbranch_execnz .LBB1655_316
.LBB1655_248:                           ;   in Loop: Header=BB1655_108 Depth=2
	s_or_b32 exec_lo, exec_lo, s17
	s_and_saveexec_b32 s17, s19
	s_cbranch_execnz .LBB1655_317
.LBB1655_249:                           ;   in Loop: Header=BB1655_108 Depth=2
	s_or_b32 exec_lo, exec_lo, s17
	s_and_saveexec_b32 s17, s20
	s_cbranch_execnz .LBB1655_318
.LBB1655_250:                           ;   in Loop: Header=BB1655_108 Depth=2
	s_or_b32 exec_lo, exec_lo, s17
	s_and_saveexec_b32 s17, s21
	s_cbranch_execnz .LBB1655_319
.LBB1655_251:                           ;   in Loop: Header=BB1655_108 Depth=2
	s_or_b32 exec_lo, exec_lo, s17
	s_and_saveexec_b32 s17, s22
	s_cbranch_execnz .LBB1655_320
.LBB1655_252:                           ;   in Loop: Header=BB1655_108 Depth=2
	s_or_b32 exec_lo, exec_lo, s17
	s_and_saveexec_b32 s17, s23
	s_cbranch_execnz .LBB1655_321
.LBB1655_253:                           ;   in Loop: Header=BB1655_108 Depth=2
	s_or_b32 exec_lo, exec_lo, s17
	s_and_saveexec_b32 s17, s24
	s_cbranch_execnz .LBB1655_322
.LBB1655_254:                           ;   in Loop: Header=BB1655_108 Depth=2
	s_or_b32 exec_lo, exec_lo, s17
	s_and_saveexec_b32 s17, s25
	s_cbranch_execnz .LBB1655_323
.LBB1655_255:                           ;   in Loop: Header=BB1655_108 Depth=2
	s_or_b32 exec_lo, exec_lo, s17
	s_and_saveexec_b32 s17, s26
	s_cbranch_execnz .LBB1655_324
.LBB1655_256:                           ;   in Loop: Header=BB1655_108 Depth=2
	s_or_b32 exec_lo, exec_lo, s17
	s_and_saveexec_b32 s17, s27
	s_cbranch_execnz .LBB1655_325
.LBB1655_257:                           ;   in Loop: Header=BB1655_108 Depth=2
	s_or_b32 exec_lo, exec_lo, s17
	s_and_saveexec_b32 s17, s28
	s_cbranch_execnz .LBB1655_326
.LBB1655_258:                           ;   in Loop: Header=BB1655_108 Depth=2
	s_or_b32 exec_lo, exec_lo, s17
	s_and_saveexec_b32 s17, s29
	s_cbranch_execnz .LBB1655_327
.LBB1655_259:                           ;   in Loop: Header=BB1655_108 Depth=2
	s_or_b32 exec_lo, exec_lo, s17
	s_and_saveexec_b32 s17, s30
	s_cbranch_execnz .LBB1655_328
.LBB1655_260:                           ;   in Loop: Header=BB1655_108 Depth=2
	s_or_b32 exec_lo, exec_lo, s17
	s_and_saveexec_b32 s17, s31
	s_cbranch_execnz .LBB1655_329
.LBB1655_261:                           ;   in Loop: Header=BB1655_108 Depth=2
	s_or_b32 exec_lo, exec_lo, s17
	s_and_saveexec_b32 s17, s33
	s_cbranch_execz .LBB1655_263
.LBB1655_262:                           ;   in Loop: Header=BB1655_108 Depth=2
	v_lshlrev_b32_e32 v62, 2, v115
	v_add_nc_u32_e32 v63, v2, v95
	ds_load_b32 v64, v62
	ds_load_b64 v[62:63], v63 offset:33280
	s_wait_dscnt 0x1
	v_add_nc_u32_e32 v64, v64, v82
	s_wait_dscnt 0x0
	global_store_b64 v64, v[62:63], s[44:45] scale_offset
.LBB1655_263:                           ;   in Loop: Header=BB1655_108 Depth=2
	s_wait_xcnt 0x0
	s_or_b32 exec_lo, exec_lo, s17
	s_wait_storecnt 0x0
	s_barrier_signal -1
	s_barrier_wait -1
	s_and_saveexec_b32 s17, s0
	s_cbranch_execz .LBB1655_107
; %bb.264:                              ;   in Loop: Header=BB1655_108 Depth=2
	ds_load_b32 v62, v66
	s_wait_dscnt 0x0
	v_add3_u32 v62, v132, v133, v62
	ds_store_b32 v66, v62
	s_branch .LBB1655_107
.LBB1655_265:                           ;   in Loop: Header=BB1655_108 Depth=2
	ds_load_u8 v62, v2 offset:512
	s_wait_dscnt 0x0
	v_and_b32_e32 v63, 1, v62
	s_delay_alu instid0(VALU_DEP_1) | instskip(NEXT) | instid1(VALU_DEP_1)
	v_lshrrev_b32_e32 v63, s43, v63
	v_and_b32_e32 v63, s48, v63
	s_delay_alu instid0(VALU_DEP_1)
	v_lshlrev_b32_e32 v63, 2, v63
	ds_load_b32 v63, v63
	s_wait_dscnt 0x0
	v_add_nc_u32_e32 v63, v63, v2
	global_store_b8 v63, v62, s[38:39]
	s_wait_xcnt 0x0
	s_or_b32 exec_lo, exec_lo, s17
	v_cmp_lt_u32_e64 s17, v67, v134
	s_and_saveexec_b32 s18, s17
	s_cbranch_execz .LBB1655_194
.LBB1655_266:                           ;   in Loop: Header=BB1655_108 Depth=2
	ds_load_u8 v62, v2 offset:768
	s_wait_dscnt 0x0
	v_and_b32_e32 v63, 1, v62
	s_delay_alu instid0(VALU_DEP_1) | instskip(NEXT) | instid1(VALU_DEP_1)
	v_lshrrev_b32_e32 v63, s43, v63
	v_and_b32_e32 v63, s48, v63
	s_delay_alu instid0(VALU_DEP_1)
	v_lshlrev_b32_e32 v63, 2, v63
	ds_load_b32 v63, v63
	s_wait_dscnt 0x0
	v_add_nc_u32_e32 v63, v63, v67
	global_store_b8 v63, v62, s[38:39]
	s_wait_xcnt 0x0
	s_or_b32 exec_lo, exec_lo, s18
	v_cmp_lt_u32_e64 s18, v68, v134
	s_and_saveexec_b32 s19, s18
	s_cbranch_execz .LBB1655_195
.LBB1655_267:                           ;   in Loop: Header=BB1655_108 Depth=2
	ds_load_u8 v62, v2 offset:1024
	s_wait_dscnt 0x0
	v_and_b32_e32 v63, 1, v62
	s_delay_alu instid0(VALU_DEP_1) | instskip(NEXT) | instid1(VALU_DEP_1)
	v_lshrrev_b32_e32 v63, s43, v63
	v_and_b32_e32 v63, s48, v63
	s_delay_alu instid0(VALU_DEP_1)
	v_lshlrev_b32_e32 v63, 2, v63
	ds_load_b32 v63, v63
	s_wait_dscnt 0x0
	v_add_nc_u32_e32 v63, v63, v68
	global_store_b8 v63, v62, s[38:39]
	s_wait_xcnt 0x0
	s_or_b32 exec_lo, exec_lo, s19
	v_cmp_lt_u32_e64 s19, v69, v134
	s_and_saveexec_b32 s20, s19
	s_cbranch_execz .LBB1655_196
.LBB1655_268:                           ;   in Loop: Header=BB1655_108 Depth=2
	ds_load_u8 v62, v2 offset:1280
	s_wait_dscnt 0x0
	v_and_b32_e32 v63, 1, v62
	s_delay_alu instid0(VALU_DEP_1) | instskip(NEXT) | instid1(VALU_DEP_1)
	v_lshrrev_b32_e32 v63, s43, v63
	v_and_b32_e32 v63, s48, v63
	s_delay_alu instid0(VALU_DEP_1)
	v_lshlrev_b32_e32 v63, 2, v63
	ds_load_b32 v63, v63
	s_wait_dscnt 0x0
	v_add_nc_u32_e32 v63, v63, v69
	global_store_b8 v63, v62, s[38:39]
	s_wait_xcnt 0x0
	s_or_b32 exec_lo, exec_lo, s20
	v_cmp_lt_u32_e64 s20, v70, v134
	s_and_saveexec_b32 s21, s20
	s_cbranch_execz .LBB1655_197
.LBB1655_269:                           ;   in Loop: Header=BB1655_108 Depth=2
	ds_load_u8 v62, v2 offset:1536
	s_wait_dscnt 0x0
	v_and_b32_e32 v63, 1, v62
	s_delay_alu instid0(VALU_DEP_1) | instskip(NEXT) | instid1(VALU_DEP_1)
	v_lshrrev_b32_e32 v63, s43, v63
	v_and_b32_e32 v63, s48, v63
	s_delay_alu instid0(VALU_DEP_1)
	v_lshlrev_b32_e32 v63, 2, v63
	ds_load_b32 v63, v63
	s_wait_dscnt 0x0
	v_add_nc_u32_e32 v63, v63, v70
	global_store_b8 v63, v62, s[38:39]
	s_wait_xcnt 0x0
	s_or_b32 exec_lo, exec_lo, s21
	v_cmp_lt_u32_e64 s21, v71, v134
	s_and_saveexec_b32 s22, s21
	s_cbranch_execz .LBB1655_198
.LBB1655_270:                           ;   in Loop: Header=BB1655_108 Depth=2
	ds_load_u8 v62, v2 offset:1792
	s_wait_dscnt 0x0
	v_and_b32_e32 v63, 1, v62
	s_delay_alu instid0(VALU_DEP_1) | instskip(NEXT) | instid1(VALU_DEP_1)
	v_lshrrev_b32_e32 v63, s43, v63
	v_and_b32_e32 v63, s48, v63
	s_delay_alu instid0(VALU_DEP_1)
	v_lshlrev_b32_e32 v63, 2, v63
	ds_load_b32 v63, v63
	s_wait_dscnt 0x0
	v_add_nc_u32_e32 v63, v63, v71
	global_store_b8 v63, v62, s[38:39]
	s_wait_xcnt 0x0
	s_or_b32 exec_lo, exec_lo, s22
	v_cmp_lt_u32_e64 s22, v72, v134
	s_and_saveexec_b32 s23, s22
	s_cbranch_execz .LBB1655_199
.LBB1655_271:                           ;   in Loop: Header=BB1655_108 Depth=2
	ds_load_u8 v62, v2 offset:2048
	s_wait_dscnt 0x0
	v_and_b32_e32 v63, 1, v62
	s_delay_alu instid0(VALU_DEP_1) | instskip(NEXT) | instid1(VALU_DEP_1)
	v_lshrrev_b32_e32 v63, s43, v63
	v_and_b32_e32 v63, s48, v63
	s_delay_alu instid0(VALU_DEP_1)
	v_lshlrev_b32_e32 v63, 2, v63
	ds_load_b32 v63, v63
	s_wait_dscnt 0x0
	v_add_nc_u32_e32 v63, v63, v72
	global_store_b8 v63, v62, s[38:39]
	s_wait_xcnt 0x0
	s_or_b32 exec_lo, exec_lo, s23
	v_cmp_lt_u32_e64 s23, v73, v134
	s_and_saveexec_b32 s24, s23
	s_cbranch_execz .LBB1655_200
.LBB1655_272:                           ;   in Loop: Header=BB1655_108 Depth=2
	ds_load_u8 v62, v2 offset:2304
	s_wait_dscnt 0x0
	v_and_b32_e32 v63, 1, v62
	s_delay_alu instid0(VALU_DEP_1) | instskip(NEXT) | instid1(VALU_DEP_1)
	v_lshrrev_b32_e32 v63, s43, v63
	v_and_b32_e32 v63, s48, v63
	s_delay_alu instid0(VALU_DEP_1)
	v_lshlrev_b32_e32 v63, 2, v63
	ds_load_b32 v63, v63
	s_wait_dscnt 0x0
	v_add_nc_u32_e32 v63, v63, v73
	global_store_b8 v63, v62, s[38:39]
	s_wait_xcnt 0x0
	s_or_b32 exec_lo, exec_lo, s24
	v_cmp_lt_u32_e64 s24, v74, v134
	s_and_saveexec_b32 s25, s24
	s_cbranch_execz .LBB1655_201
.LBB1655_273:                           ;   in Loop: Header=BB1655_108 Depth=2
	ds_load_u8 v62, v2 offset:2560
	s_wait_dscnt 0x0
	v_and_b32_e32 v63, 1, v62
	s_delay_alu instid0(VALU_DEP_1) | instskip(NEXT) | instid1(VALU_DEP_1)
	v_lshrrev_b32_e32 v63, s43, v63
	v_and_b32_e32 v63, s48, v63
	s_delay_alu instid0(VALU_DEP_1)
	v_lshlrev_b32_e32 v63, 2, v63
	ds_load_b32 v63, v63
	s_wait_dscnt 0x0
	v_add_nc_u32_e32 v63, v63, v74
	global_store_b8 v63, v62, s[38:39]
	s_wait_xcnt 0x0
	s_or_b32 exec_lo, exec_lo, s25
	v_cmp_lt_u32_e64 s25, v75, v134
	s_and_saveexec_b32 s26, s25
	s_cbranch_execz .LBB1655_202
.LBB1655_274:                           ;   in Loop: Header=BB1655_108 Depth=2
	ds_load_u8 v62, v2 offset:2816
	s_wait_dscnt 0x0
	v_and_b32_e32 v63, 1, v62
	s_delay_alu instid0(VALU_DEP_1) | instskip(NEXT) | instid1(VALU_DEP_1)
	v_lshrrev_b32_e32 v63, s43, v63
	v_and_b32_e32 v63, s48, v63
	s_delay_alu instid0(VALU_DEP_1)
	v_lshlrev_b32_e32 v63, 2, v63
	ds_load_b32 v63, v63
	s_wait_dscnt 0x0
	v_add_nc_u32_e32 v63, v63, v75
	global_store_b8 v63, v62, s[38:39]
	s_wait_xcnt 0x0
	s_or_b32 exec_lo, exec_lo, s26
	v_cmp_lt_u32_e64 s26, v76, v134
	s_and_saveexec_b32 s27, s26
	s_cbranch_execz .LBB1655_203
.LBB1655_275:                           ;   in Loop: Header=BB1655_108 Depth=2
	ds_load_u8 v62, v2 offset:3072
	s_wait_dscnt 0x0
	v_and_b32_e32 v63, 1, v62
	s_delay_alu instid0(VALU_DEP_1) | instskip(NEXT) | instid1(VALU_DEP_1)
	v_lshrrev_b32_e32 v63, s43, v63
	v_and_b32_e32 v63, s48, v63
	s_delay_alu instid0(VALU_DEP_1)
	v_lshlrev_b32_e32 v63, 2, v63
	ds_load_b32 v63, v63
	s_wait_dscnt 0x0
	v_add_nc_u32_e32 v63, v63, v76
	global_store_b8 v63, v62, s[38:39]
	s_wait_xcnt 0x0
	s_or_b32 exec_lo, exec_lo, s27
	v_cmp_lt_u32_e64 s27, v77, v134
	s_and_saveexec_b32 s28, s27
	s_cbranch_execz .LBB1655_204
.LBB1655_276:                           ;   in Loop: Header=BB1655_108 Depth=2
	ds_load_u8 v62, v2 offset:3328
	s_wait_dscnt 0x0
	v_and_b32_e32 v63, 1, v62
	s_delay_alu instid0(VALU_DEP_1) | instskip(NEXT) | instid1(VALU_DEP_1)
	v_lshrrev_b32_e32 v63, s43, v63
	v_and_b32_e32 v63, s48, v63
	s_delay_alu instid0(VALU_DEP_1)
	v_lshlrev_b32_e32 v63, 2, v63
	ds_load_b32 v63, v63
	s_wait_dscnt 0x0
	v_add_nc_u32_e32 v63, v63, v77
	global_store_b8 v63, v62, s[38:39]
	s_wait_xcnt 0x0
	s_or_b32 exec_lo, exec_lo, s28
	v_cmp_lt_u32_e64 s28, v78, v134
	s_and_saveexec_b32 s29, s28
	s_cbranch_execz .LBB1655_205
.LBB1655_277:                           ;   in Loop: Header=BB1655_108 Depth=2
	ds_load_u8 v62, v2 offset:3584
	s_wait_dscnt 0x0
	v_and_b32_e32 v63, 1, v62
	s_delay_alu instid0(VALU_DEP_1) | instskip(NEXT) | instid1(VALU_DEP_1)
	v_lshrrev_b32_e32 v63, s43, v63
	v_and_b32_e32 v63, s48, v63
	s_delay_alu instid0(VALU_DEP_1)
	v_lshlrev_b32_e32 v63, 2, v63
	ds_load_b32 v63, v63
	s_wait_dscnt 0x0
	v_add_nc_u32_e32 v63, v63, v78
	global_store_b8 v63, v62, s[38:39]
	s_wait_xcnt 0x0
	s_or_b32 exec_lo, exec_lo, s29
	v_cmp_lt_u32_e64 s29, v79, v134
	s_and_saveexec_b32 s30, s29
	s_cbranch_execz .LBB1655_206
.LBB1655_278:                           ;   in Loop: Header=BB1655_108 Depth=2
	ds_load_u8 v62, v2 offset:3840
	s_wait_dscnt 0x0
	v_and_b32_e32 v63, 1, v62
	s_delay_alu instid0(VALU_DEP_1) | instskip(NEXT) | instid1(VALU_DEP_1)
	v_lshrrev_b32_e32 v63, s43, v63
	v_and_b32_e32 v63, s48, v63
	s_delay_alu instid0(VALU_DEP_1)
	v_lshlrev_b32_e32 v63, 2, v63
	ds_load_b32 v63, v63
	s_wait_dscnt 0x0
	v_add_nc_u32_e32 v63, v63, v79
	global_store_b8 v63, v62, s[38:39]
	s_wait_xcnt 0x0
	s_or_b32 exec_lo, exec_lo, s30
	v_cmp_lt_u32_e64 s30, v80, v134
	s_and_saveexec_b32 s31, s30
	s_cbranch_execz .LBB1655_207
.LBB1655_279:                           ;   in Loop: Header=BB1655_108 Depth=2
	ds_load_u8 v62, v2 offset:4096
	s_wait_dscnt 0x0
	v_and_b32_e32 v63, 1, v62
	s_delay_alu instid0(VALU_DEP_1) | instskip(NEXT) | instid1(VALU_DEP_1)
	v_lshrrev_b32_e32 v63, s43, v63
	v_and_b32_e32 v63, s48, v63
	s_delay_alu instid0(VALU_DEP_1)
	v_lshlrev_b32_e32 v63, 2, v63
	ds_load_b32 v63, v63
	s_wait_dscnt 0x0
	v_add_nc_u32_e32 v63, v63, v80
	global_store_b8 v63, v62, s[38:39]
	s_wait_xcnt 0x0
	s_or_b32 exec_lo, exec_lo, s31
	v_cmp_lt_u32_e64 s31, v81, v134
	s_and_saveexec_b32 s33, s31
	s_cbranch_execz .LBB1655_208
.LBB1655_280:                           ;   in Loop: Header=BB1655_108 Depth=2
	ds_load_u8 v62, v2 offset:4352
	s_wait_dscnt 0x0
	v_and_b32_e32 v63, 1, v62
	s_delay_alu instid0(VALU_DEP_1) | instskip(NEXT) | instid1(VALU_DEP_1)
	v_lshrrev_b32_e32 v63, s43, v63
	v_and_b32_e32 v63, s48, v63
	s_delay_alu instid0(VALU_DEP_1)
	v_lshlrev_b32_e32 v63, 2, v63
	ds_load_b32 v63, v63
	s_wait_dscnt 0x0
	v_add_nc_u32_e32 v63, v63, v81
	global_store_b8 v63, v62, s[38:39]
	s_wait_xcnt 0x0
	s_or_b32 exec_lo, exec_lo, s33
	v_cmp_lt_u32_e64 s33, v82, v134
	s_and_saveexec_b32 s60, s33
	s_cbranch_execnz .LBB1655_209
	s_branch .LBB1655_210
.LBB1655_281:                           ;   in Loop: Header=BB1655_108 Depth=2
	global_load_b64 v[60:61], v[62:63], off
	s_wait_xcnt 0x0
	s_or_b32 exec_lo, exec_lo, s34
	s_delay_alu instid0(SALU_CYCLE_1)
	s_mov_b32 s60, exec_lo
	v_cmpx_lt_u32_e64 v98, v134
	s_cbranch_execz .LBB1655_212
.LBB1655_282:                           ;   in Loop: Header=BB1655_108 Depth=2
	global_load_b64 v[58:59], v[62:63], off offset:256
	s_wait_xcnt 0x0
	s_or_b32 exec_lo, exec_lo, s60
	s_delay_alu instid0(SALU_CYCLE_1)
	s_mov_b32 s60, exec_lo
	v_cmpx_lt_u32_e64 v99, v134
	s_cbranch_execz .LBB1655_213
.LBB1655_283:                           ;   in Loop: Header=BB1655_108 Depth=2
	global_load_b64 v[56:57], v[62:63], off offset:512
	s_wait_xcnt 0x0
	s_or_b32 exec_lo, exec_lo, s60
	s_delay_alu instid0(SALU_CYCLE_1)
	s_mov_b32 s60, exec_lo
	v_cmpx_lt_u32_e64 v100, v134
	s_cbranch_execz .LBB1655_214
.LBB1655_284:                           ;   in Loop: Header=BB1655_108 Depth=2
	global_load_b64 v[54:55], v[62:63], off offset:768
	s_wait_xcnt 0x0
	s_or_b32 exec_lo, exec_lo, s60
	s_delay_alu instid0(SALU_CYCLE_1)
	s_mov_b32 s60, exec_lo
	v_cmpx_lt_u32_e64 v101, v134
	s_cbranch_execz .LBB1655_215
.LBB1655_285:                           ;   in Loop: Header=BB1655_108 Depth=2
	global_load_b64 v[52:53], v[62:63], off offset:1024
	s_wait_xcnt 0x0
	s_or_b32 exec_lo, exec_lo, s60
	s_delay_alu instid0(SALU_CYCLE_1)
	s_mov_b32 s60, exec_lo
	v_cmpx_lt_u32_e64 v102, v134
	s_cbranch_execz .LBB1655_216
.LBB1655_286:                           ;   in Loop: Header=BB1655_108 Depth=2
	global_load_b64 v[50:51], v[62:63], off offset:1280
	s_wait_xcnt 0x0
	s_or_b32 exec_lo, exec_lo, s60
	s_delay_alu instid0(SALU_CYCLE_1)
	s_mov_b32 s60, exec_lo
	v_cmpx_lt_u32_e64 v103, v134
	s_cbranch_execz .LBB1655_217
.LBB1655_287:                           ;   in Loop: Header=BB1655_108 Depth=2
	global_load_b64 v[48:49], v[62:63], off offset:1536
	s_wait_xcnt 0x0
	s_or_b32 exec_lo, exec_lo, s60
	s_delay_alu instid0(SALU_CYCLE_1)
	s_mov_b32 s60, exec_lo
	v_cmpx_lt_u32_e64 v104, v134
	s_cbranch_execz .LBB1655_218
.LBB1655_288:                           ;   in Loop: Header=BB1655_108 Depth=2
	global_load_b64 v[46:47], v[62:63], off offset:1792
	s_wait_xcnt 0x0
	s_or_b32 exec_lo, exec_lo, s60
	s_delay_alu instid0(SALU_CYCLE_1)
	s_mov_b32 s60, exec_lo
	v_cmpx_lt_u32_e64 v105, v134
	s_cbranch_execz .LBB1655_219
.LBB1655_289:                           ;   in Loop: Header=BB1655_108 Depth=2
	global_load_b64 v[44:45], v[62:63], off offset:2048
	s_wait_xcnt 0x0
	s_or_b32 exec_lo, exec_lo, s60
	s_delay_alu instid0(SALU_CYCLE_1)
	s_mov_b32 s60, exec_lo
	v_cmpx_lt_u32_e64 v106, v134
	s_cbranch_execz .LBB1655_220
.LBB1655_290:                           ;   in Loop: Header=BB1655_108 Depth=2
	global_load_b64 v[42:43], v[62:63], off offset:2304
	s_wait_xcnt 0x0
	s_or_b32 exec_lo, exec_lo, s60
	s_delay_alu instid0(SALU_CYCLE_1)
	s_mov_b32 s60, exec_lo
	v_cmpx_lt_u32_e64 v107, v134
	s_cbranch_execz .LBB1655_221
.LBB1655_291:                           ;   in Loop: Header=BB1655_108 Depth=2
	global_load_b64 v[40:41], v[62:63], off offset:2560
	s_wait_xcnt 0x0
	s_or_b32 exec_lo, exec_lo, s60
	s_delay_alu instid0(SALU_CYCLE_1)
	s_mov_b32 s60, exec_lo
	v_cmpx_lt_u32_e64 v108, v134
	s_cbranch_execz .LBB1655_222
.LBB1655_292:                           ;   in Loop: Header=BB1655_108 Depth=2
	global_load_b64 v[38:39], v[62:63], off offset:2816
	s_wait_xcnt 0x0
	s_or_b32 exec_lo, exec_lo, s60
	s_delay_alu instid0(SALU_CYCLE_1)
	s_mov_b32 s60, exec_lo
	v_cmpx_lt_u32_e64 v109, v134
	s_cbranch_execz .LBB1655_223
.LBB1655_293:                           ;   in Loop: Header=BB1655_108 Depth=2
	global_load_b64 v[36:37], v[62:63], off offset:3072
	s_wait_xcnt 0x0
	s_or_b32 exec_lo, exec_lo, s60
	s_delay_alu instid0(SALU_CYCLE_1)
	s_mov_b32 s60, exec_lo
	v_cmpx_lt_u32_e64 v110, v134
	s_cbranch_execz .LBB1655_224
.LBB1655_294:                           ;   in Loop: Header=BB1655_108 Depth=2
	global_load_b64 v[34:35], v[62:63], off offset:3328
	s_wait_xcnt 0x0
	s_or_b32 exec_lo, exec_lo, s60
	s_delay_alu instid0(SALU_CYCLE_1)
	s_mov_b32 s60, exec_lo
	v_cmpx_lt_u32_e64 v111, v134
	s_cbranch_execz .LBB1655_225
.LBB1655_295:                           ;   in Loop: Header=BB1655_108 Depth=2
	global_load_b64 v[32:33], v[62:63], off offset:3584
	s_wait_xcnt 0x0
	s_or_b32 exec_lo, exec_lo, s60
	s_delay_alu instid0(SALU_CYCLE_1)
	s_mov_b32 s60, exec_lo
	v_cmpx_lt_u32_e64 v112, v134
	s_cbranch_execz .LBB1655_226
.LBB1655_296:                           ;   in Loop: Header=BB1655_108 Depth=2
	global_load_b64 v[30:31], v[62:63], off offset:3840
	s_wait_xcnt 0x0
	s_or_b32 exec_lo, exec_lo, s60
	s_delay_alu instid0(SALU_CYCLE_1)
	s_mov_b32 s60, exec_lo
	v_cmpx_lt_u32_e64 v113, v134
	s_cbranch_execz .LBB1655_227
.LBB1655_297:                           ;   in Loop: Header=BB1655_108 Depth=2
	global_load_b64 v[28:29], v[62:63], off offset:4096
	s_wait_xcnt 0x0
	s_or_b32 exec_lo, exec_lo, s60
	s_and_saveexec_b32 s34, vcc_lo
	s_cbranch_execz .LBB1655_228
.LBB1655_298:                           ;   in Loop: Header=BB1655_108 Depth=2
	ds_load_u8 v62, v2 offset:512
	s_wait_dscnt 0x0
	v_lshrrev_b32_e32 v62, s43, v62
	s_delay_alu instid0(VALU_DEP_1)
	v_and_b32_e32 v131, s48, v62
	s_or_b32 exec_lo, exec_lo, s34
	s_and_saveexec_b32 s34, s17
	s_cbranch_execz .LBB1655_229
.LBB1655_299:                           ;   in Loop: Header=BB1655_108 Depth=2
	ds_load_u8 v62, v2 offset:768
	s_wait_dscnt 0x0
	v_lshrrev_b32_e32 v62, s43, v62
	s_delay_alu instid0(VALU_DEP_1)
	v_and_b32_e32 v130, s48, v62
	s_or_b32 exec_lo, exec_lo, s34
	s_and_saveexec_b32 s34, s18
	s_cbranch_execz .LBB1655_230
.LBB1655_300:                           ;   in Loop: Header=BB1655_108 Depth=2
	ds_load_u8 v62, v2 offset:1024
	s_wait_dscnt 0x0
	v_lshrrev_b32_e32 v62, s43, v62
	s_delay_alu instid0(VALU_DEP_1)
	v_and_b32_e32 v129, s48, v62
	s_or_b32 exec_lo, exec_lo, s34
	s_and_saveexec_b32 s34, s19
	s_cbranch_execz .LBB1655_231
.LBB1655_301:                           ;   in Loop: Header=BB1655_108 Depth=2
	ds_load_u8 v62, v2 offset:1280
	s_wait_dscnt 0x0
	v_lshrrev_b32_e32 v62, s43, v62
	s_delay_alu instid0(VALU_DEP_1)
	v_and_b32_e32 v128, s48, v62
	s_or_b32 exec_lo, exec_lo, s34
	s_and_saveexec_b32 s34, s20
	s_cbranch_execz .LBB1655_232
.LBB1655_302:                           ;   in Loop: Header=BB1655_108 Depth=2
	ds_load_u8 v62, v2 offset:1536
	s_wait_dscnt 0x0
	v_lshrrev_b32_e32 v62, s43, v62
	s_delay_alu instid0(VALU_DEP_1)
	v_and_b32_e32 v127, s48, v62
	s_or_b32 exec_lo, exec_lo, s34
	s_and_saveexec_b32 s34, s21
	s_cbranch_execz .LBB1655_233
.LBB1655_303:                           ;   in Loop: Header=BB1655_108 Depth=2
	ds_load_u8 v62, v2 offset:1792
	s_wait_dscnt 0x0
	v_lshrrev_b32_e32 v62, s43, v62
	s_delay_alu instid0(VALU_DEP_1)
	v_and_b32_e32 v126, s48, v62
	s_or_b32 exec_lo, exec_lo, s34
	s_and_saveexec_b32 s34, s22
	s_cbranch_execz .LBB1655_234
.LBB1655_304:                           ;   in Loop: Header=BB1655_108 Depth=2
	ds_load_u8 v62, v2 offset:2048
	s_wait_dscnt 0x0
	v_lshrrev_b32_e32 v62, s43, v62
	s_delay_alu instid0(VALU_DEP_1)
	v_and_b32_e32 v125, s48, v62
	s_or_b32 exec_lo, exec_lo, s34
	s_and_saveexec_b32 s34, s23
	s_cbranch_execz .LBB1655_235
.LBB1655_305:                           ;   in Loop: Header=BB1655_108 Depth=2
	ds_load_u8 v62, v2 offset:2304
	s_wait_dscnt 0x0
	v_lshrrev_b32_e32 v62, s43, v62
	s_delay_alu instid0(VALU_DEP_1)
	v_and_b32_e32 v124, s48, v62
	s_or_b32 exec_lo, exec_lo, s34
	s_and_saveexec_b32 s34, s24
	s_cbranch_execz .LBB1655_236
.LBB1655_306:                           ;   in Loop: Header=BB1655_108 Depth=2
	ds_load_u8 v62, v2 offset:2560
	s_wait_dscnt 0x0
	v_lshrrev_b32_e32 v62, s43, v62
	s_delay_alu instid0(VALU_DEP_1)
	v_and_b32_e32 v123, s48, v62
	s_or_b32 exec_lo, exec_lo, s34
	s_and_saveexec_b32 s34, s25
	s_cbranch_execz .LBB1655_237
.LBB1655_307:                           ;   in Loop: Header=BB1655_108 Depth=2
	ds_load_u8 v62, v2 offset:2816
	s_wait_dscnt 0x0
	v_lshrrev_b32_e32 v62, s43, v62
	s_delay_alu instid0(VALU_DEP_1)
	v_and_b32_e32 v122, s48, v62
	s_or_b32 exec_lo, exec_lo, s34
	s_and_saveexec_b32 s34, s26
	s_cbranch_execz .LBB1655_238
.LBB1655_308:                           ;   in Loop: Header=BB1655_108 Depth=2
	ds_load_u8 v62, v2 offset:3072
	s_wait_dscnt 0x0
	v_lshrrev_b32_e32 v62, s43, v62
	s_delay_alu instid0(VALU_DEP_1)
	v_and_b32_e32 v121, s48, v62
	s_or_b32 exec_lo, exec_lo, s34
	s_and_saveexec_b32 s34, s27
	s_cbranch_execz .LBB1655_239
.LBB1655_309:                           ;   in Loop: Header=BB1655_108 Depth=2
	ds_load_u8 v62, v2 offset:3328
	s_wait_dscnt 0x0
	v_lshrrev_b32_e32 v62, s43, v62
	s_delay_alu instid0(VALU_DEP_1)
	v_and_b32_e32 v120, s48, v62
	s_or_b32 exec_lo, exec_lo, s34
	s_and_saveexec_b32 s34, s28
	s_cbranch_execz .LBB1655_240
.LBB1655_310:                           ;   in Loop: Header=BB1655_108 Depth=2
	ds_load_u8 v62, v2 offset:3584
	s_wait_dscnt 0x0
	v_lshrrev_b32_e32 v62, s43, v62
	s_delay_alu instid0(VALU_DEP_1)
	v_and_b32_e32 v119, s48, v62
	s_or_b32 exec_lo, exec_lo, s34
	s_and_saveexec_b32 s34, s29
	s_cbranch_execz .LBB1655_241
.LBB1655_311:                           ;   in Loop: Header=BB1655_108 Depth=2
	ds_load_u8 v62, v2 offset:3840
	s_wait_dscnt 0x0
	v_lshrrev_b32_e32 v62, s43, v62
	s_delay_alu instid0(VALU_DEP_1)
	v_and_b32_e32 v118, s48, v62
	s_or_b32 exec_lo, exec_lo, s34
	s_and_saveexec_b32 s34, s30
	s_cbranch_execz .LBB1655_242
.LBB1655_312:                           ;   in Loop: Header=BB1655_108 Depth=2
	ds_load_u8 v62, v2 offset:4096
	s_wait_dscnt 0x0
	v_lshrrev_b32_e32 v62, s43, v62
	s_delay_alu instid0(VALU_DEP_1)
	v_and_b32_e32 v117, s48, v62
	s_or_b32 exec_lo, exec_lo, s34
	s_and_saveexec_b32 s34, s31
	s_cbranch_execz .LBB1655_243
.LBB1655_313:                           ;   in Loop: Header=BB1655_108 Depth=2
	ds_load_u8 v62, v2 offset:4352
	s_wait_dscnt 0x0
	v_lshrrev_b32_e32 v62, s43, v62
	s_delay_alu instid0(VALU_DEP_1)
	v_and_b32_e32 v116, s48, v62
	s_or_b32 exec_lo, exec_lo, s34
	s_and_saveexec_b32 s34, s33
	s_cbranch_execnz .LBB1655_244
	s_branch .LBB1655_245
.LBB1655_314:                           ;   in Loop: Header=BB1655_108 Depth=2
	v_lshlrev_b32_e32 v62, 2, v131
	v_add_nc_u32_e32 v63, v2, v95
	ds_load_b32 v64, v62
	ds_load_b64 v[62:63], v63 offset:512
	s_wait_dscnt 0x1
	v_add_nc_u32_e32 v64, v64, v2
	s_wait_dscnt 0x0
	global_store_b64 v64, v[62:63], s[44:45] scale_offset
	s_wait_xcnt 0x0
	s_or_b32 exec_lo, exec_lo, s34
	s_and_saveexec_b32 s34, s17
	s_cbranch_execz .LBB1655_247
.LBB1655_315:                           ;   in Loop: Header=BB1655_108 Depth=2
	v_dual_lshlrev_b32 v62, 2, v130 :: v_dual_add_nc_u32 v63, v2, v95
	ds_load_b32 v64, v62
	ds_load_b64 v[62:63], v63 offset:2560
	s_wait_dscnt 0x1
	v_add_nc_u32_e32 v64, v64, v67
	s_wait_dscnt 0x0
	global_store_b64 v64, v[62:63], s[44:45] scale_offset
	s_wait_xcnt 0x0
	s_or_b32 exec_lo, exec_lo, s34
	s_and_saveexec_b32 s17, s18
	s_cbranch_execz .LBB1655_248
.LBB1655_316:                           ;   in Loop: Header=BB1655_108 Depth=2
	v_dual_lshlrev_b32 v62, 2, v129 :: v_dual_add_nc_u32 v63, v2, v95
	ds_load_b32 v64, v62
	ds_load_b64 v[62:63], v63 offset:4608
	s_wait_dscnt 0x1
	v_add_nc_u32_e32 v64, v64, v68
	s_wait_dscnt 0x0
	global_store_b64 v64, v[62:63], s[44:45] scale_offset
	s_wait_xcnt 0x0
	s_or_b32 exec_lo, exec_lo, s17
	s_and_saveexec_b32 s17, s19
	s_cbranch_execz .LBB1655_249
.LBB1655_317:                           ;   in Loop: Header=BB1655_108 Depth=2
	v_dual_lshlrev_b32 v62, 2, v128 :: v_dual_add_nc_u32 v63, v2, v95
	ds_load_b32 v64, v62
	ds_load_b64 v[62:63], v63 offset:6656
	s_wait_dscnt 0x1
	v_add_nc_u32_e32 v64, v64, v69
	s_wait_dscnt 0x0
	global_store_b64 v64, v[62:63], s[44:45] scale_offset
	s_wait_xcnt 0x0
	s_or_b32 exec_lo, exec_lo, s17
	s_and_saveexec_b32 s17, s20
	s_cbranch_execz .LBB1655_250
.LBB1655_318:                           ;   in Loop: Header=BB1655_108 Depth=2
	v_lshlrev_b32_e32 v62, 2, v127
	v_add_nc_u32_e32 v63, v2, v95
	ds_load_b32 v64, v62
	ds_load_b64 v[62:63], v63 offset:8704
	s_wait_dscnt 0x1
	v_add_nc_u32_e32 v64, v64, v70
	s_wait_dscnt 0x0
	global_store_b64 v64, v[62:63], s[44:45] scale_offset
	s_wait_xcnt 0x0
	s_or_b32 exec_lo, exec_lo, s17
	s_and_saveexec_b32 s17, s21
	s_cbranch_execz .LBB1655_251
.LBB1655_319:                           ;   in Loop: Header=BB1655_108 Depth=2
	v_dual_lshlrev_b32 v62, 2, v126 :: v_dual_add_nc_u32 v63, v2, v95
	ds_load_b32 v64, v62
	ds_load_b64 v[62:63], v63 offset:10752
	s_wait_dscnt 0x1
	v_add_nc_u32_e32 v64, v64, v71
	s_wait_dscnt 0x0
	global_store_b64 v64, v[62:63], s[44:45] scale_offset
	s_wait_xcnt 0x0
	s_or_b32 exec_lo, exec_lo, s17
	s_and_saveexec_b32 s17, s22
	s_cbranch_execz .LBB1655_252
.LBB1655_320:                           ;   in Loop: Header=BB1655_108 Depth=2
	v_dual_lshlrev_b32 v62, 2, v125 :: v_dual_add_nc_u32 v63, v2, v95
	ds_load_b32 v64, v62
	ds_load_b64 v[62:63], v63 offset:12800
	s_wait_dscnt 0x1
	v_add_nc_u32_e32 v64, v64, v72
	s_wait_dscnt 0x0
	global_store_b64 v64, v[62:63], s[44:45] scale_offset
	s_wait_xcnt 0x0
	s_or_b32 exec_lo, exec_lo, s17
	s_and_saveexec_b32 s17, s23
	s_cbranch_execz .LBB1655_253
.LBB1655_321:                           ;   in Loop: Header=BB1655_108 Depth=2
	v_dual_lshlrev_b32 v62, 2, v124 :: v_dual_add_nc_u32 v63, v2, v95
	ds_load_b32 v64, v62
	ds_load_b64 v[62:63], v63 offset:14848
	s_wait_dscnt 0x1
	v_add_nc_u32_e32 v64, v64, v73
	s_wait_dscnt 0x0
	global_store_b64 v64, v[62:63], s[44:45] scale_offset
	s_wait_xcnt 0x0
	s_or_b32 exec_lo, exec_lo, s17
	s_and_saveexec_b32 s17, s24
	s_cbranch_execz .LBB1655_254
.LBB1655_322:                           ;   in Loop: Header=BB1655_108 Depth=2
	v_lshlrev_b32_e32 v62, 2, v123
	v_add_nc_u32_e32 v63, v2, v95
	ds_load_b32 v64, v62
	ds_load_b64 v[62:63], v63 offset:16896
	s_wait_dscnt 0x1
	v_add_nc_u32_e32 v64, v64, v74
	s_wait_dscnt 0x0
	global_store_b64 v64, v[62:63], s[44:45] scale_offset
	s_wait_xcnt 0x0
	s_or_b32 exec_lo, exec_lo, s17
	s_and_saveexec_b32 s17, s25
	s_cbranch_execz .LBB1655_255
.LBB1655_323:                           ;   in Loop: Header=BB1655_108 Depth=2
	v_dual_lshlrev_b32 v62, 2, v122 :: v_dual_add_nc_u32 v63, v2, v95
	ds_load_b32 v64, v62
	ds_load_b64 v[62:63], v63 offset:18944
	s_wait_dscnt 0x1
	v_add_nc_u32_e32 v64, v64, v75
	s_wait_dscnt 0x0
	global_store_b64 v64, v[62:63], s[44:45] scale_offset
	s_wait_xcnt 0x0
	s_or_b32 exec_lo, exec_lo, s17
	s_and_saveexec_b32 s17, s26
	s_cbranch_execz .LBB1655_256
.LBB1655_324:                           ;   in Loop: Header=BB1655_108 Depth=2
	v_dual_lshlrev_b32 v62, 2, v121 :: v_dual_add_nc_u32 v63, v2, v95
	ds_load_b32 v64, v62
	ds_load_b64 v[62:63], v63 offset:20992
	s_wait_dscnt 0x1
	v_add_nc_u32_e32 v64, v64, v76
	s_wait_dscnt 0x0
	global_store_b64 v64, v[62:63], s[44:45] scale_offset
	s_wait_xcnt 0x0
	s_or_b32 exec_lo, exec_lo, s17
	s_and_saveexec_b32 s17, s27
	s_cbranch_execz .LBB1655_257
.LBB1655_325:                           ;   in Loop: Header=BB1655_108 Depth=2
	v_dual_lshlrev_b32 v62, 2, v120 :: v_dual_add_nc_u32 v63, v2, v95
	ds_load_b32 v64, v62
	ds_load_b64 v[62:63], v63 offset:23040
	s_wait_dscnt 0x1
	v_add_nc_u32_e32 v64, v64, v77
	s_wait_dscnt 0x0
	global_store_b64 v64, v[62:63], s[44:45] scale_offset
	s_wait_xcnt 0x0
	s_or_b32 exec_lo, exec_lo, s17
	s_and_saveexec_b32 s17, s28
	s_cbranch_execz .LBB1655_258
.LBB1655_326:                           ;   in Loop: Header=BB1655_108 Depth=2
	v_lshlrev_b32_e32 v62, 2, v119
	v_add_nc_u32_e32 v63, v2, v95
	ds_load_b32 v64, v62
	ds_load_b64 v[62:63], v63 offset:25088
	s_wait_dscnt 0x1
	v_add_nc_u32_e32 v64, v64, v78
	s_wait_dscnt 0x0
	global_store_b64 v64, v[62:63], s[44:45] scale_offset
	s_wait_xcnt 0x0
	s_or_b32 exec_lo, exec_lo, s17
	s_and_saveexec_b32 s17, s29
	s_cbranch_execz .LBB1655_259
.LBB1655_327:                           ;   in Loop: Header=BB1655_108 Depth=2
	v_dual_lshlrev_b32 v62, 2, v118 :: v_dual_add_nc_u32 v63, v2, v95
	ds_load_b32 v64, v62
	ds_load_b64 v[62:63], v63 offset:27136
	s_wait_dscnt 0x1
	v_add_nc_u32_e32 v64, v64, v79
	s_wait_dscnt 0x0
	global_store_b64 v64, v[62:63], s[44:45] scale_offset
	s_wait_xcnt 0x0
	s_or_b32 exec_lo, exec_lo, s17
	s_and_saveexec_b32 s17, s30
	s_cbranch_execz .LBB1655_260
.LBB1655_328:                           ;   in Loop: Header=BB1655_108 Depth=2
	v_dual_lshlrev_b32 v62, 2, v117 :: v_dual_add_nc_u32 v63, v2, v95
	ds_load_b32 v64, v62
	ds_load_b64 v[62:63], v63 offset:29184
	s_wait_dscnt 0x1
	v_add_nc_u32_e32 v64, v64, v80
	s_wait_dscnt 0x0
	global_store_b64 v64, v[62:63], s[44:45] scale_offset
	s_wait_xcnt 0x0
	s_or_b32 exec_lo, exec_lo, s17
	s_and_saveexec_b32 s17, s31
	s_cbranch_execz .LBB1655_261
.LBB1655_329:                           ;   in Loop: Header=BB1655_108 Depth=2
	v_dual_lshlrev_b32 v62, 2, v116 :: v_dual_add_nc_u32 v63, v2, v95
	ds_load_b32 v64, v62
	ds_load_b64 v[62:63], v63 offset:31232
	s_wait_dscnt 0x1
	v_add_nc_u32_e32 v64, v64, v81
	s_wait_dscnt 0x0
	global_store_b64 v64, v[62:63], s[44:45] scale_offset
	s_wait_xcnt 0x0
	s_or_b32 exec_lo, exec_lo, s17
	s_and_saveexec_b32 s17, s33
	s_cbranch_execnz .LBB1655_262
	s_branch .LBB1655_263
.LBB1655_330:                           ;   in Loop: Header=BB1655_20 Depth=1
	s_wait_dscnt 0x0
	s_barrier_signal -1
	s_mov_b32 s8, 0
	s_barrier_wait -1
.LBB1655_331:                           ;   in Loop: Header=BB1655_20 Depth=1
	s_and_b32 vcc_lo, exec_lo, s8
	s_cbranch_vccz .LBB1655_641
; %bb.332:                              ;   in Loop: Header=BB1655_20 Depth=1
	v_dual_mov_b32 v39, 0 :: v_dual_mov_b32 v42, 0
	v_dual_mov_b32 v41, 0 :: v_dual_mov_b32 v40, 0
	;; [unrolled: 1-line block ×8, first 2 shown]
	v_mov_b32_e32 v26, 0
	s_mov_b32 s8, s57
	s_mov_b32 s34, s55
	s_barrier_signal -1
	s_barrier_wait -1
	s_branch .LBB1655_334
.LBB1655_333:                           ;   in Loop: Header=BB1655_334 Depth=2
	s_or_b32 exec_lo, exec_lo, s10
	s_addk_co_i32 s8, 0xef00
	s_cmp_ge_u32 s9, s54
	s_mov_b32 s34, s9
	s_cbranch_scc1 .LBB1655_406
.LBB1655_334:                           ;   Parent Loop BB1655_20 Depth=1
                                        ; =>  This Inner Loop Header: Depth=2
	s_add_co_i32 s9, s34, 0x1100
	s_mov_b32 s10, -1
	s_cmp_gt_u32 s9, s54
                                        ; implicit-def: $vgpr24
                                        ; implicit-def: $vgpr25
                                        ; implicit-def: $vgpr43
                                        ; implicit-def: $vgpr44
                                        ; implicit-def: $vgpr45
                                        ; implicit-def: $vgpr46
                                        ; implicit-def: $vgpr47
                                        ; implicit-def: $vgpr48
                                        ; implicit-def: $vgpr49
                                        ; implicit-def: $vgpr50
                                        ; implicit-def: $vgpr51
                                        ; implicit-def: $vgpr52
                                        ; implicit-def: $vgpr53
                                        ; implicit-def: $vgpr54
                                        ; implicit-def: $vgpr55
                                        ; implicit-def: $vgpr56
                                        ; implicit-def: $vgpr57
	s_cbranch_scc1 .LBB1655_336
; %bb.335:                              ;   in Loop: Header=BB1655_334 Depth=2
	v_add_nc_u64_e32 v[58:59], s[34:35], v[12:13]
	s_mov_b32 s10, 0
	s_clause 0x10
	global_load_u8 v57, v[58:59], off offset:4096
	global_load_u8 v56, v[58:59], off offset:3840
	;; [unrolled: 1-line block ×16, first 2 shown]
	global_load_u8 v24, v[58:59], off
.LBB1655_336:                           ;   in Loop: Header=BB1655_334 Depth=2
	s_and_not1_b32 vcc_lo, exec_lo, s10
	s_movk_i32 s10, 0x1100
	s_cbranch_vccnz .LBB1655_356
; %bb.337:                              ;   in Loop: Header=BB1655_334 Depth=2
	s_add_nc_u64 s[10:11], s[38:39], s[34:35]
	s_wait_loadcnt 0x0
	v_add_nc_u64_e32 v[24:25], s[10:11], v[2:3]
	s_mov_b32 s10, exec_lo
	s_wait_xcnt 0x0
	v_cmpx_gt_u32_e64 s8, v2
	s_cbranch_execnz .LBB1655_390
; %bb.338:                              ;   in Loop: Header=BB1655_334 Depth=2
	s_or_b32 exec_lo, exec_lo, s10
	s_delay_alu instid0(SALU_CYCLE_1)
	s_mov_b32 s10, exec_lo
	v_cmpx_gt_u32_e64 s8, v67
	s_cbranch_execnz .LBB1655_391
.LBB1655_339:                           ;   in Loop: Header=BB1655_334 Depth=2
	s_or_b32 exec_lo, exec_lo, s10
	s_delay_alu instid0(SALU_CYCLE_1)
	s_mov_b32 s10, exec_lo
	v_cmpx_gt_u32_e64 s8, v68
	s_cbranch_execnz .LBB1655_392
.LBB1655_340:                           ;   in Loop: Header=BB1655_334 Depth=2
	s_or_b32 exec_lo, exec_lo, s10
	s_delay_alu instid0(SALU_CYCLE_1)
	s_mov_b32 s10, exec_lo
	v_cmpx_gt_u32_e64 s8, v69
	s_cbranch_execnz .LBB1655_393
.LBB1655_341:                           ;   in Loop: Header=BB1655_334 Depth=2
	s_or_b32 exec_lo, exec_lo, s10
	s_delay_alu instid0(SALU_CYCLE_1)
	s_mov_b32 s10, exec_lo
	v_cmpx_gt_u32_e64 s8, v70
	s_cbranch_execnz .LBB1655_394
.LBB1655_342:                           ;   in Loop: Header=BB1655_334 Depth=2
	s_or_b32 exec_lo, exec_lo, s10
	s_delay_alu instid0(SALU_CYCLE_1)
	s_mov_b32 s10, exec_lo
	v_cmpx_gt_u32_e64 s8, v71
	s_cbranch_execnz .LBB1655_395
.LBB1655_343:                           ;   in Loop: Header=BB1655_334 Depth=2
	s_or_b32 exec_lo, exec_lo, s10
	s_delay_alu instid0(SALU_CYCLE_1)
	s_mov_b32 s10, exec_lo
	v_cmpx_gt_u32_e64 s8, v72
	s_cbranch_execnz .LBB1655_396
.LBB1655_344:                           ;   in Loop: Header=BB1655_334 Depth=2
	s_or_b32 exec_lo, exec_lo, s10
	s_delay_alu instid0(SALU_CYCLE_1)
	s_mov_b32 s10, exec_lo
	v_cmpx_gt_u32_e64 s8, v73
	s_cbranch_execnz .LBB1655_397
.LBB1655_345:                           ;   in Loop: Header=BB1655_334 Depth=2
	s_or_b32 exec_lo, exec_lo, s10
	s_delay_alu instid0(SALU_CYCLE_1)
	s_mov_b32 s10, exec_lo
	v_cmpx_gt_u32_e64 s8, v74
	s_cbranch_execnz .LBB1655_398
.LBB1655_346:                           ;   in Loop: Header=BB1655_334 Depth=2
	s_or_b32 exec_lo, exec_lo, s10
	s_delay_alu instid0(SALU_CYCLE_1)
	s_mov_b32 s10, exec_lo
	v_cmpx_gt_u32_e64 s8, v75
	s_cbranch_execnz .LBB1655_399
.LBB1655_347:                           ;   in Loop: Header=BB1655_334 Depth=2
	s_or_b32 exec_lo, exec_lo, s10
	s_delay_alu instid0(SALU_CYCLE_1)
	s_mov_b32 s10, exec_lo
	v_cmpx_gt_u32_e64 s8, v76
	s_cbranch_execnz .LBB1655_400
.LBB1655_348:                           ;   in Loop: Header=BB1655_334 Depth=2
	s_or_b32 exec_lo, exec_lo, s10
	s_delay_alu instid0(SALU_CYCLE_1)
	s_mov_b32 s10, exec_lo
	v_cmpx_gt_u32_e64 s8, v77
	s_cbranch_execnz .LBB1655_401
.LBB1655_349:                           ;   in Loop: Header=BB1655_334 Depth=2
	s_or_b32 exec_lo, exec_lo, s10
	s_delay_alu instid0(SALU_CYCLE_1)
	s_mov_b32 s10, exec_lo
	v_cmpx_gt_u32_e64 s8, v78
	s_cbranch_execnz .LBB1655_402
.LBB1655_350:                           ;   in Loop: Header=BB1655_334 Depth=2
	s_or_b32 exec_lo, exec_lo, s10
	s_delay_alu instid0(SALU_CYCLE_1)
	s_mov_b32 s10, exec_lo
	v_cmpx_gt_u32_e64 s8, v79
	s_cbranch_execnz .LBB1655_403
.LBB1655_351:                           ;   in Loop: Header=BB1655_334 Depth=2
	s_or_b32 exec_lo, exec_lo, s10
	s_delay_alu instid0(SALU_CYCLE_1)
	s_mov_b32 s10, exec_lo
	v_cmpx_gt_u32_e64 s8, v80
	s_cbranch_execnz .LBB1655_404
.LBB1655_352:                           ;   in Loop: Header=BB1655_334 Depth=2
	s_or_b32 exec_lo, exec_lo, s10
	s_delay_alu instid0(SALU_CYCLE_1)
	s_mov_b32 s10, exec_lo
	v_cmpx_gt_u32_e64 s8, v81
	s_cbranch_execnz .LBB1655_405
.LBB1655_353:                           ;   in Loop: Header=BB1655_334 Depth=2
	s_or_b32 exec_lo, exec_lo, s10
	s_delay_alu instid0(SALU_CYCLE_1)
	s_mov_b32 s10, exec_lo
	v_cmpx_gt_u32_e64 s8, v82
	s_cbranch_execz .LBB1655_355
.LBB1655_354:                           ;   in Loop: Header=BB1655_334 Depth=2
	global_load_u8 v26, v[24:25], off offset:4096
.LBB1655_355:                           ;   in Loop: Header=BB1655_334 Depth=2
	s_wait_xcnt 0x0
	s_or_b32 exec_lo, exec_lo, s10
	s_wait_loadcnt 0x0
	v_dual_mov_b32 v24, v39 :: v_dual_mov_b32 v25, v42
	v_dual_mov_b32 v43, v41 :: v_dual_mov_b32 v44, v40
	;; [unrolled: 1-line block ×8, first 2 shown]
	v_mov_b32_e32 v57, v26
	s_mov_b32 s10, s8
.LBB1655_356:                           ;   in Loop: Header=BB1655_334 Depth=2
	s_wait_loadcnt 0xf
	s_delay_alu instid0(VALU_DEP_1)
	v_dual_mov_b32 v26, v57 :: v_dual_mov_b32 v27, v56
	s_wait_loadcnt 0xd
	v_dual_mov_b32 v28, v55 :: v_dual_mov_b32 v29, v54
	s_wait_loadcnt 0xb
	;; [unrolled: 2-line block ×8, first 2 shown]
	v_mov_b32_e32 v39, v24
	s_mov_b32 s11, exec_lo
	s_wait_xcnt 0x0
	v_cmpx_gt_u32_e64 s10, v2
	s_cbranch_execnz .LBB1655_373
; %bb.357:                              ;   in Loop: Header=BB1655_334 Depth=2
	s_or_b32 exec_lo, exec_lo, s11
	s_delay_alu instid0(SALU_CYCLE_1)
	s_mov_b32 s11, exec_lo
	v_cmpx_gt_u32_e64 s10, v67
	s_cbranch_execnz .LBB1655_374
.LBB1655_358:                           ;   in Loop: Header=BB1655_334 Depth=2
	s_or_b32 exec_lo, exec_lo, s11
	s_delay_alu instid0(SALU_CYCLE_1)
	s_mov_b32 s11, exec_lo
	v_cmpx_gt_u32_e64 s10, v68
	s_cbranch_execnz .LBB1655_375
.LBB1655_359:                           ;   in Loop: Header=BB1655_334 Depth=2
	s_or_b32 exec_lo, exec_lo, s11
	s_delay_alu instid0(SALU_CYCLE_1)
	s_mov_b32 s11, exec_lo
	v_cmpx_gt_u32_e64 s10, v69
	s_cbranch_execnz .LBB1655_376
.LBB1655_360:                           ;   in Loop: Header=BB1655_334 Depth=2
	s_or_b32 exec_lo, exec_lo, s11
	s_delay_alu instid0(SALU_CYCLE_1)
	s_mov_b32 s11, exec_lo
	v_cmpx_gt_u32_e64 s10, v70
	s_cbranch_execnz .LBB1655_377
.LBB1655_361:                           ;   in Loop: Header=BB1655_334 Depth=2
	s_or_b32 exec_lo, exec_lo, s11
	s_delay_alu instid0(SALU_CYCLE_1)
	s_mov_b32 s11, exec_lo
	v_cmpx_gt_u32_e64 s10, v71
	s_cbranch_execnz .LBB1655_378
.LBB1655_362:                           ;   in Loop: Header=BB1655_334 Depth=2
	s_or_b32 exec_lo, exec_lo, s11
	s_delay_alu instid0(SALU_CYCLE_1)
	s_mov_b32 s11, exec_lo
	v_cmpx_gt_u32_e64 s10, v72
	s_cbranch_execnz .LBB1655_379
.LBB1655_363:                           ;   in Loop: Header=BB1655_334 Depth=2
	s_or_b32 exec_lo, exec_lo, s11
	s_delay_alu instid0(SALU_CYCLE_1)
	s_mov_b32 s11, exec_lo
	v_cmpx_gt_u32_e64 s10, v73
	s_cbranch_execnz .LBB1655_380
.LBB1655_364:                           ;   in Loop: Header=BB1655_334 Depth=2
	s_or_b32 exec_lo, exec_lo, s11
	s_delay_alu instid0(SALU_CYCLE_1)
	s_mov_b32 s11, exec_lo
	v_cmpx_gt_u32_e64 s10, v74
	s_cbranch_execnz .LBB1655_381
.LBB1655_365:                           ;   in Loop: Header=BB1655_334 Depth=2
	s_or_b32 exec_lo, exec_lo, s11
	s_delay_alu instid0(SALU_CYCLE_1)
	s_mov_b32 s11, exec_lo
	v_cmpx_gt_u32_e64 s10, v75
	s_cbranch_execnz .LBB1655_382
.LBB1655_366:                           ;   in Loop: Header=BB1655_334 Depth=2
	s_or_b32 exec_lo, exec_lo, s11
	s_delay_alu instid0(SALU_CYCLE_1)
	s_mov_b32 s11, exec_lo
	v_cmpx_gt_u32_e64 s10, v76
	s_cbranch_execnz .LBB1655_383
.LBB1655_367:                           ;   in Loop: Header=BB1655_334 Depth=2
	s_or_b32 exec_lo, exec_lo, s11
	s_delay_alu instid0(SALU_CYCLE_1)
	s_mov_b32 s11, exec_lo
	v_cmpx_gt_u32_e64 s10, v77
	s_cbranch_execnz .LBB1655_384
.LBB1655_368:                           ;   in Loop: Header=BB1655_334 Depth=2
	s_or_b32 exec_lo, exec_lo, s11
	s_delay_alu instid0(SALU_CYCLE_1)
	s_mov_b32 s11, exec_lo
	v_cmpx_gt_u32_e64 s10, v78
	s_cbranch_execnz .LBB1655_385
.LBB1655_369:                           ;   in Loop: Header=BB1655_334 Depth=2
	s_or_b32 exec_lo, exec_lo, s11
	s_delay_alu instid0(SALU_CYCLE_1)
	s_mov_b32 s11, exec_lo
	v_cmpx_gt_u32_e64 s10, v79
	s_cbranch_execnz .LBB1655_386
.LBB1655_370:                           ;   in Loop: Header=BB1655_334 Depth=2
	s_or_b32 exec_lo, exec_lo, s11
	s_delay_alu instid0(SALU_CYCLE_1)
	s_mov_b32 s11, exec_lo
	v_cmpx_gt_u32_e64 s10, v80
	s_cbranch_execnz .LBB1655_387
.LBB1655_371:                           ;   in Loop: Header=BB1655_334 Depth=2
	s_or_b32 exec_lo, exec_lo, s11
	s_delay_alu instid0(SALU_CYCLE_1)
	s_mov_b32 s11, exec_lo
	v_cmpx_gt_u32_e64 s10, v81
	s_cbranch_execnz .LBB1655_388
.LBB1655_372:                           ;   in Loop: Header=BB1655_334 Depth=2
	s_or_b32 exec_lo, exec_lo, s11
	v_cmp_gt_u32_e32 vcc_lo, s10, v82
	s_and_saveexec_b32 s10, vcc_lo
	s_cbranch_execz .LBB1655_333
	s_branch .LBB1655_389
.LBB1655_373:                           ;   in Loop: Header=BB1655_334 Depth=2
	v_and_b32_e32 v24, 1, v39
	s_delay_alu instid0(VALU_DEP_1) | instskip(NEXT) | instid1(VALU_DEP_1)
	v_lshrrev_b32_e32 v24, s43, v24
	v_and_b32_e32 v24, s48, v24
	s_delay_alu instid0(VALU_DEP_1) | instskip(SKIP_2) | instid1(SALU_CYCLE_1)
	v_lshl_or_b32 v24, v24, 4, v84
	ds_add_u32 v24, v7
	s_or_b32 exec_lo, exec_lo, s11
	s_mov_b32 s11, exec_lo
	v_cmpx_gt_u32_e64 s10, v67
	s_cbranch_execz .LBB1655_358
.LBB1655_374:                           ;   in Loop: Header=BB1655_334 Depth=2
	v_and_b32_e32 v24, 1, v42
	s_delay_alu instid0(VALU_DEP_1) | instskip(NEXT) | instid1(VALU_DEP_1)
	v_lshrrev_b32_e32 v24, s43, v24
	v_and_b32_e32 v24, s48, v24
	s_delay_alu instid0(VALU_DEP_1) | instskip(SKIP_2) | instid1(SALU_CYCLE_1)
	v_lshl_or_b32 v24, v24, 4, v84
	ds_add_u32 v24, v7
	s_or_b32 exec_lo, exec_lo, s11
	s_mov_b32 s11, exec_lo
	v_cmpx_gt_u32_e64 s10, v68
	s_cbranch_execz .LBB1655_359
.LBB1655_375:                           ;   in Loop: Header=BB1655_334 Depth=2
	v_and_b32_e32 v24, 1, v41
	s_delay_alu instid0(VALU_DEP_1) | instskip(NEXT) | instid1(VALU_DEP_1)
	v_lshrrev_b32_e32 v24, s43, v24
	v_and_b32_e32 v24, s48, v24
	s_delay_alu instid0(VALU_DEP_1) | instskip(SKIP_2) | instid1(SALU_CYCLE_1)
	v_lshl_or_b32 v24, v24, 4, v84
	ds_add_u32 v24, v7
	s_or_b32 exec_lo, exec_lo, s11
	s_mov_b32 s11, exec_lo
	v_cmpx_gt_u32_e64 s10, v69
	s_cbranch_execz .LBB1655_360
.LBB1655_376:                           ;   in Loop: Header=BB1655_334 Depth=2
	v_and_b32_e32 v24, 1, v40
	s_delay_alu instid0(VALU_DEP_1) | instskip(NEXT) | instid1(VALU_DEP_1)
	v_lshrrev_b32_e32 v24, s43, v24
	v_and_b32_e32 v24, s48, v24
	s_delay_alu instid0(VALU_DEP_1) | instskip(SKIP_2) | instid1(SALU_CYCLE_1)
	v_lshl_or_b32 v24, v24, 4, v84
	ds_add_u32 v24, v7
	s_or_b32 exec_lo, exec_lo, s11
	s_mov_b32 s11, exec_lo
	v_cmpx_gt_u32_e64 s10, v70
	s_cbranch_execz .LBB1655_361
.LBB1655_377:                           ;   in Loop: Header=BB1655_334 Depth=2
	v_and_b32_e32 v24, 1, v38
	s_delay_alu instid0(VALU_DEP_1) | instskip(NEXT) | instid1(VALU_DEP_1)
	v_lshrrev_b32_e32 v24, s43, v24
	v_and_b32_e32 v24, s48, v24
	s_delay_alu instid0(VALU_DEP_1) | instskip(SKIP_2) | instid1(SALU_CYCLE_1)
	v_lshl_or_b32 v24, v24, 4, v84
	ds_add_u32 v24, v7
	s_or_b32 exec_lo, exec_lo, s11
	s_mov_b32 s11, exec_lo
	v_cmpx_gt_u32_e64 s10, v71
	s_cbranch_execz .LBB1655_362
.LBB1655_378:                           ;   in Loop: Header=BB1655_334 Depth=2
	v_and_b32_e32 v24, 1, v37
	s_delay_alu instid0(VALU_DEP_1) | instskip(NEXT) | instid1(VALU_DEP_1)
	v_lshrrev_b32_e32 v24, s43, v24
	v_and_b32_e32 v24, s48, v24
	s_delay_alu instid0(VALU_DEP_1) | instskip(SKIP_2) | instid1(SALU_CYCLE_1)
	v_lshl_or_b32 v24, v24, 4, v84
	ds_add_u32 v24, v7
	s_or_b32 exec_lo, exec_lo, s11
	s_mov_b32 s11, exec_lo
	v_cmpx_gt_u32_e64 s10, v72
	s_cbranch_execz .LBB1655_363
.LBB1655_379:                           ;   in Loop: Header=BB1655_334 Depth=2
	v_and_b32_e32 v24, 1, v36
	s_delay_alu instid0(VALU_DEP_1) | instskip(NEXT) | instid1(VALU_DEP_1)
	v_lshrrev_b32_e32 v24, s43, v24
	v_and_b32_e32 v24, s48, v24
	s_delay_alu instid0(VALU_DEP_1) | instskip(SKIP_2) | instid1(SALU_CYCLE_1)
	v_lshl_or_b32 v24, v24, 4, v84
	ds_add_u32 v24, v7
	s_or_b32 exec_lo, exec_lo, s11
	s_mov_b32 s11, exec_lo
	v_cmpx_gt_u32_e64 s10, v73
	s_cbranch_execz .LBB1655_364
.LBB1655_380:                           ;   in Loop: Header=BB1655_334 Depth=2
	v_and_b32_e32 v24, 1, v35
	s_delay_alu instid0(VALU_DEP_1) | instskip(NEXT) | instid1(VALU_DEP_1)
	v_lshrrev_b32_e32 v24, s43, v24
	v_and_b32_e32 v24, s48, v24
	s_delay_alu instid0(VALU_DEP_1) | instskip(SKIP_2) | instid1(SALU_CYCLE_1)
	v_lshl_or_b32 v24, v24, 4, v84
	ds_add_u32 v24, v7
	s_or_b32 exec_lo, exec_lo, s11
	s_mov_b32 s11, exec_lo
	v_cmpx_gt_u32_e64 s10, v74
	s_cbranch_execz .LBB1655_365
.LBB1655_381:                           ;   in Loop: Header=BB1655_334 Depth=2
	v_and_b32_e32 v24, 1, v34
	s_delay_alu instid0(VALU_DEP_1) | instskip(NEXT) | instid1(VALU_DEP_1)
	v_lshrrev_b32_e32 v24, s43, v24
	v_and_b32_e32 v24, s48, v24
	s_delay_alu instid0(VALU_DEP_1) | instskip(SKIP_2) | instid1(SALU_CYCLE_1)
	v_lshl_or_b32 v24, v24, 4, v84
	ds_add_u32 v24, v7
	s_or_b32 exec_lo, exec_lo, s11
	s_mov_b32 s11, exec_lo
	v_cmpx_gt_u32_e64 s10, v75
	s_cbranch_execz .LBB1655_366
.LBB1655_382:                           ;   in Loop: Header=BB1655_334 Depth=2
	v_and_b32_e32 v24, 1, v33
	s_delay_alu instid0(VALU_DEP_1) | instskip(NEXT) | instid1(VALU_DEP_1)
	v_lshrrev_b32_e32 v24, s43, v24
	v_and_b32_e32 v24, s48, v24
	s_delay_alu instid0(VALU_DEP_1) | instskip(SKIP_2) | instid1(SALU_CYCLE_1)
	v_lshl_or_b32 v24, v24, 4, v84
	ds_add_u32 v24, v7
	s_or_b32 exec_lo, exec_lo, s11
	s_mov_b32 s11, exec_lo
	v_cmpx_gt_u32_e64 s10, v76
	s_cbranch_execz .LBB1655_367
.LBB1655_383:                           ;   in Loop: Header=BB1655_334 Depth=2
	v_and_b32_e32 v24, 1, v32
	s_delay_alu instid0(VALU_DEP_1) | instskip(NEXT) | instid1(VALU_DEP_1)
	v_lshrrev_b32_e32 v24, s43, v24
	v_and_b32_e32 v24, s48, v24
	s_delay_alu instid0(VALU_DEP_1) | instskip(SKIP_2) | instid1(SALU_CYCLE_1)
	v_lshl_or_b32 v24, v24, 4, v84
	ds_add_u32 v24, v7
	s_or_b32 exec_lo, exec_lo, s11
	s_mov_b32 s11, exec_lo
	v_cmpx_gt_u32_e64 s10, v77
	s_cbranch_execz .LBB1655_368
.LBB1655_384:                           ;   in Loop: Header=BB1655_334 Depth=2
	v_and_b32_e32 v24, 1, v31
	s_delay_alu instid0(VALU_DEP_1) | instskip(NEXT) | instid1(VALU_DEP_1)
	v_lshrrev_b32_e32 v24, s43, v24
	v_and_b32_e32 v24, s48, v24
	s_delay_alu instid0(VALU_DEP_1) | instskip(SKIP_2) | instid1(SALU_CYCLE_1)
	v_lshl_or_b32 v24, v24, 4, v84
	ds_add_u32 v24, v7
	s_or_b32 exec_lo, exec_lo, s11
	s_mov_b32 s11, exec_lo
	v_cmpx_gt_u32_e64 s10, v78
	s_cbranch_execz .LBB1655_369
.LBB1655_385:                           ;   in Loop: Header=BB1655_334 Depth=2
	v_and_b32_e32 v24, 1, v30
	s_delay_alu instid0(VALU_DEP_1) | instskip(NEXT) | instid1(VALU_DEP_1)
	v_lshrrev_b32_e32 v24, s43, v24
	v_and_b32_e32 v24, s48, v24
	s_delay_alu instid0(VALU_DEP_1) | instskip(SKIP_2) | instid1(SALU_CYCLE_1)
	v_lshl_or_b32 v24, v24, 4, v84
	ds_add_u32 v24, v7
	s_or_b32 exec_lo, exec_lo, s11
	s_mov_b32 s11, exec_lo
	v_cmpx_gt_u32_e64 s10, v79
	s_cbranch_execz .LBB1655_370
.LBB1655_386:                           ;   in Loop: Header=BB1655_334 Depth=2
	v_and_b32_e32 v24, 1, v29
	s_delay_alu instid0(VALU_DEP_1) | instskip(NEXT) | instid1(VALU_DEP_1)
	v_lshrrev_b32_e32 v24, s43, v24
	v_and_b32_e32 v24, s48, v24
	s_delay_alu instid0(VALU_DEP_1) | instskip(SKIP_2) | instid1(SALU_CYCLE_1)
	v_lshl_or_b32 v24, v24, 4, v84
	ds_add_u32 v24, v7
	s_or_b32 exec_lo, exec_lo, s11
	s_mov_b32 s11, exec_lo
	v_cmpx_gt_u32_e64 s10, v80
	s_cbranch_execz .LBB1655_371
.LBB1655_387:                           ;   in Loop: Header=BB1655_334 Depth=2
	v_and_b32_e32 v24, 1, v28
	s_delay_alu instid0(VALU_DEP_1) | instskip(NEXT) | instid1(VALU_DEP_1)
	v_lshrrev_b32_e32 v24, s43, v24
	v_and_b32_e32 v24, s48, v24
	s_delay_alu instid0(VALU_DEP_1) | instskip(SKIP_2) | instid1(SALU_CYCLE_1)
	v_lshl_or_b32 v24, v24, 4, v84
	ds_add_u32 v24, v7
	s_or_b32 exec_lo, exec_lo, s11
	s_mov_b32 s11, exec_lo
	v_cmpx_gt_u32_e64 s10, v81
	s_cbranch_execz .LBB1655_372
.LBB1655_388:                           ;   in Loop: Header=BB1655_334 Depth=2
	v_and_b32_e32 v24, 1, v27
	s_delay_alu instid0(VALU_DEP_1) | instskip(NEXT) | instid1(VALU_DEP_1)
	v_lshrrev_b32_e32 v24, s43, v24
	v_and_b32_e32 v24, s48, v24
	s_delay_alu instid0(VALU_DEP_1)
	v_lshl_or_b32 v24, v24, 4, v84
	ds_add_u32 v24, v7
	s_or_b32 exec_lo, exec_lo, s11
	v_cmp_gt_u32_e32 vcc_lo, s10, v82
	s_and_saveexec_b32 s10, vcc_lo
	s_cbranch_execz .LBB1655_333
.LBB1655_389:                           ;   in Loop: Header=BB1655_334 Depth=2
	v_and_b32_e32 v24, 1, v26
	s_delay_alu instid0(VALU_DEP_1) | instskip(NEXT) | instid1(VALU_DEP_1)
	v_lshrrev_b32_e32 v24, s43, v24
	v_and_b32_e32 v24, s48, v24
	s_delay_alu instid0(VALU_DEP_1)
	v_lshl_or_b32 v24, v24, 4, v84
	ds_add_u32 v24, v7
	s_branch .LBB1655_333
.LBB1655_390:                           ;   in Loop: Header=BB1655_334 Depth=2
	global_load_u8 v39, v[24:25], off
	s_wait_xcnt 0x0
	s_or_b32 exec_lo, exec_lo, s10
	s_delay_alu instid0(SALU_CYCLE_1)
	s_mov_b32 s10, exec_lo
	v_cmpx_gt_u32_e64 s8, v67
	s_cbranch_execz .LBB1655_339
.LBB1655_391:                           ;   in Loop: Header=BB1655_334 Depth=2
	global_load_u8 v42, v[24:25], off offset:256
	s_wait_xcnt 0x0
	s_or_b32 exec_lo, exec_lo, s10
	s_delay_alu instid0(SALU_CYCLE_1)
	s_mov_b32 s10, exec_lo
	v_cmpx_gt_u32_e64 s8, v68
	s_cbranch_execz .LBB1655_340
.LBB1655_392:                           ;   in Loop: Header=BB1655_334 Depth=2
	global_load_u8 v41, v[24:25], off offset:512
	s_wait_xcnt 0x0
	s_or_b32 exec_lo, exec_lo, s10
	s_delay_alu instid0(SALU_CYCLE_1)
	s_mov_b32 s10, exec_lo
	v_cmpx_gt_u32_e64 s8, v69
	s_cbranch_execz .LBB1655_341
.LBB1655_393:                           ;   in Loop: Header=BB1655_334 Depth=2
	global_load_u8 v40, v[24:25], off offset:768
	s_wait_xcnt 0x0
	s_or_b32 exec_lo, exec_lo, s10
	s_delay_alu instid0(SALU_CYCLE_1)
	s_mov_b32 s10, exec_lo
	v_cmpx_gt_u32_e64 s8, v70
	s_cbranch_execz .LBB1655_342
.LBB1655_394:                           ;   in Loop: Header=BB1655_334 Depth=2
	global_load_u8 v38, v[24:25], off offset:1024
	s_wait_xcnt 0x0
	s_or_b32 exec_lo, exec_lo, s10
	s_delay_alu instid0(SALU_CYCLE_1)
	s_mov_b32 s10, exec_lo
	v_cmpx_gt_u32_e64 s8, v71
	s_cbranch_execz .LBB1655_343
.LBB1655_395:                           ;   in Loop: Header=BB1655_334 Depth=2
	global_load_u8 v37, v[24:25], off offset:1280
	s_wait_xcnt 0x0
	s_or_b32 exec_lo, exec_lo, s10
	s_delay_alu instid0(SALU_CYCLE_1)
	s_mov_b32 s10, exec_lo
	v_cmpx_gt_u32_e64 s8, v72
	s_cbranch_execz .LBB1655_344
.LBB1655_396:                           ;   in Loop: Header=BB1655_334 Depth=2
	global_load_u8 v36, v[24:25], off offset:1536
	s_wait_xcnt 0x0
	s_or_b32 exec_lo, exec_lo, s10
	s_delay_alu instid0(SALU_CYCLE_1)
	s_mov_b32 s10, exec_lo
	v_cmpx_gt_u32_e64 s8, v73
	s_cbranch_execz .LBB1655_345
.LBB1655_397:                           ;   in Loop: Header=BB1655_334 Depth=2
	global_load_u8 v35, v[24:25], off offset:1792
	s_wait_xcnt 0x0
	s_or_b32 exec_lo, exec_lo, s10
	s_delay_alu instid0(SALU_CYCLE_1)
	s_mov_b32 s10, exec_lo
	v_cmpx_gt_u32_e64 s8, v74
	s_cbranch_execz .LBB1655_346
.LBB1655_398:                           ;   in Loop: Header=BB1655_334 Depth=2
	global_load_u8 v34, v[24:25], off offset:2048
	s_wait_xcnt 0x0
	s_or_b32 exec_lo, exec_lo, s10
	s_delay_alu instid0(SALU_CYCLE_1)
	s_mov_b32 s10, exec_lo
	v_cmpx_gt_u32_e64 s8, v75
	s_cbranch_execz .LBB1655_347
.LBB1655_399:                           ;   in Loop: Header=BB1655_334 Depth=2
	global_load_u8 v33, v[24:25], off offset:2304
	s_wait_xcnt 0x0
	s_or_b32 exec_lo, exec_lo, s10
	s_delay_alu instid0(SALU_CYCLE_1)
	s_mov_b32 s10, exec_lo
	v_cmpx_gt_u32_e64 s8, v76
	s_cbranch_execz .LBB1655_348
.LBB1655_400:                           ;   in Loop: Header=BB1655_334 Depth=2
	global_load_u8 v32, v[24:25], off offset:2560
	s_wait_xcnt 0x0
	s_or_b32 exec_lo, exec_lo, s10
	s_delay_alu instid0(SALU_CYCLE_1)
	s_mov_b32 s10, exec_lo
	v_cmpx_gt_u32_e64 s8, v77
	s_cbranch_execz .LBB1655_349
.LBB1655_401:                           ;   in Loop: Header=BB1655_334 Depth=2
	global_load_u8 v31, v[24:25], off offset:2816
	s_wait_xcnt 0x0
	s_or_b32 exec_lo, exec_lo, s10
	s_delay_alu instid0(SALU_CYCLE_1)
	s_mov_b32 s10, exec_lo
	v_cmpx_gt_u32_e64 s8, v78
	s_cbranch_execz .LBB1655_350
.LBB1655_402:                           ;   in Loop: Header=BB1655_334 Depth=2
	global_load_u8 v30, v[24:25], off offset:3072
	s_wait_xcnt 0x0
	s_or_b32 exec_lo, exec_lo, s10
	s_delay_alu instid0(SALU_CYCLE_1)
	s_mov_b32 s10, exec_lo
	v_cmpx_gt_u32_e64 s8, v79
	s_cbranch_execz .LBB1655_351
.LBB1655_403:                           ;   in Loop: Header=BB1655_334 Depth=2
	global_load_u8 v29, v[24:25], off offset:3328
	s_wait_xcnt 0x0
	s_or_b32 exec_lo, exec_lo, s10
	s_delay_alu instid0(SALU_CYCLE_1)
	s_mov_b32 s10, exec_lo
	v_cmpx_gt_u32_e64 s8, v80
	s_cbranch_execz .LBB1655_352
.LBB1655_404:                           ;   in Loop: Header=BB1655_334 Depth=2
	global_load_u8 v28, v[24:25], off offset:3584
	s_wait_xcnt 0x0
	s_or_b32 exec_lo, exec_lo, s10
	s_delay_alu instid0(SALU_CYCLE_1)
	s_mov_b32 s10, exec_lo
	v_cmpx_gt_u32_e64 s8, v81
	s_cbranch_execz .LBB1655_353
.LBB1655_405:                           ;   in Loop: Header=BB1655_334 Depth=2
	global_load_u8 v27, v[24:25], off offset:3840
	s_wait_xcnt 0x0
	s_or_b32 exec_lo, exec_lo, s10
	s_delay_alu instid0(SALU_CYCLE_1)
	s_mov_b32 s10, exec_lo
	v_cmpx_gt_u32_e64 s8, v82
	s_cbranch_execnz .LBB1655_354
	s_branch .LBB1655_355
.LBB1655_406:                           ;   in Loop: Header=BB1655_20 Depth=1
	v_mov_b32_e32 v24, 0
	s_wait_dscnt 0x0
	s_barrier_signal -1
	s_barrier_wait -1
	s_and_saveexec_b32 s8, s0
	s_cbranch_execz .LBB1655_408
; %bb.407:                              ;   in Loop: Header=BB1655_20 Depth=1
	ds_load_2addr_b64 v[24:27], v85 offset1:1
	s_wait_dscnt 0x0
	v_add_nc_u32_e32 v24, v25, v24
	s_delay_alu instid0(VALU_DEP_1)
	v_add3_u32 v24, v24, v26, v27
.LBB1655_408:                           ;   in Loop: Header=BB1655_20 Depth=1
	s_or_b32 exec_lo, exec_lo, s8
	v_and_b32_e32 v25, 15, v0
	s_delay_alu instid0(VALU_DEP_2) | instskip(SKIP_1) | instid1(VALU_DEP_3)
	v_mov_b32_dpp v26, v24 row_shr:1 row_mask:0xf bank_mask:0xf
	v_and_b32_e32 v27, 16, v0
	v_cmp_eq_u32_e64 s8, 0, v25
	v_cmp_lt_u32_e64 s9, 1, v25
	s_delay_alu instid0(VALU_DEP_3) | instskip(NEXT) | instid1(VALU_DEP_3)
	v_cmp_eq_u32_e64 s12, 0, v27
	v_cndmask_b32_e64 v26, v26, 0, s8
	s_delay_alu instid0(VALU_DEP_1) | instskip(NEXT) | instid1(VALU_DEP_1)
	v_add_nc_u32_e32 v24, v26, v24
	v_mov_b32_dpp v26, v24 row_shr:2 row_mask:0xf bank_mask:0xf
	s_delay_alu instid0(VALU_DEP_1) | instskip(SKIP_2) | instid1(VALU_DEP_3)
	v_cndmask_b32_e64 v26, 0, v26, s9
	v_cmp_lt_u32_e64 s11, 7, v25
	v_cmp_lt_u32_e64 s10, 3, v25
	v_add_nc_u32_e32 v24, v24, v26
	s_delay_alu instid0(VALU_DEP_1) | instskip(NEXT) | instid1(VALU_DEP_1)
	v_mov_b32_dpp v26, v24 row_shr:4 row_mask:0xf bank_mask:0xf
	v_cndmask_b32_e64 v26, 0, v26, s10
	s_delay_alu instid0(VALU_DEP_1) | instskip(NEXT) | instid1(VALU_DEP_1)
	v_add_nc_u32_e32 v24, v24, v26
	v_mov_b32_dpp v26, v24 row_shr:8 row_mask:0xf bank_mask:0xf
	s_delay_alu instid0(VALU_DEP_1) | instskip(SKIP_1) | instid1(VALU_DEP_2)
	v_cndmask_b32_e64 v25, 0, v26, s11
	v_bfe_i32 v26, v0, 4, 1
	v_add_nc_u32_e32 v24, v24, v25
	ds_swizzle_b32 v25, v24 offset:swizzle(BROADCAST,32,15)
	s_wait_dscnt 0x0
	v_and_b32_e32 v25, v26, v25
	s_delay_alu instid0(VALU_DEP_1)
	v_add_nc_u32_e32 v24, v24, v25
	s_and_saveexec_b32 s13, s1
; %bb.409:                              ;   in Loop: Header=BB1655_20 Depth=1
	ds_store_b32 v86, v24
; %bb.410:                              ;   in Loop: Header=BB1655_20 Depth=1
	s_or_b32 exec_lo, exec_lo, s13
	s_wait_dscnt 0x0
	s_barrier_signal -1
	s_barrier_wait -1
	s_and_saveexec_b32 s13, s4
	s_cbranch_execz .LBB1655_412
; %bb.411:                              ;   in Loop: Header=BB1655_20 Depth=1
	ds_load_b32 v25, v87
	s_wait_dscnt 0x0
	v_mov_b32_dpp v27, v25 row_shr:1 row_mask:0xf bank_mask:0xf
	v_and_b32_e32 v26, 3, v0
	s_delay_alu instid0(VALU_DEP_1) | instskip(NEXT) | instid1(VALU_DEP_3)
	v_cmp_ne_u32_e32 vcc_lo, 0, v26
	v_cndmask_b32_e32 v27, 0, v27, vcc_lo
	v_cmp_lt_u32_e32 vcc_lo, 1, v26
	s_delay_alu instid0(VALU_DEP_2) | instskip(NEXT) | instid1(VALU_DEP_1)
	v_add_nc_u32_e32 v25, v27, v25
	v_mov_b32_dpp v27, v25 row_shr:2 row_mask:0xf bank_mask:0xf
	s_delay_alu instid0(VALU_DEP_1) | instskip(NEXT) | instid1(VALU_DEP_1)
	v_cndmask_b32_e32 v26, 0, v27, vcc_lo
	v_add_nc_u32_e32 v25, v25, v26
	ds_store_b32 v87, v25
.LBB1655_412:                           ;   in Loop: Header=BB1655_20 Depth=1
	s_or_b32 exec_lo, exec_lo, s13
	v_mov_b32_e32 v25, 0
	s_wait_dscnt 0x0
	s_barrier_signal -1
	s_barrier_wait -1
	s_and_saveexec_b32 s13, s5
; %bb.413:                              ;   in Loop: Header=BB1655_20 Depth=1
	ds_load_b32 v25, v88
; %bb.414:                              ;   in Loop: Header=BB1655_20 Depth=1
	s_or_b32 exec_lo, exec_lo, s13
	v_sub_co_u32 v26, s13, v0, 1
	s_wait_dscnt 0x0
	s_barrier_signal -1
	s_barrier_wait -1
	s_delay_alu instid0(VALU_DEP_1) | instskip(SKIP_1) | instid1(VALU_DEP_1)
	v_cmp_gt_i32_e32 vcc_lo, 0, v26
	v_cndmask_b32_e32 v26, v26, v0, vcc_lo
	v_dual_add_nc_u32 v24, v25, v24 :: v_dual_lshlrev_b32 v96, 2, v26
	ds_bpermute_b32 v24, v96, v24
	s_and_saveexec_b32 s14, s0
	s_cbranch_execz .LBB1655_416
; %bb.415:                              ;   in Loop: Header=BB1655_20 Depth=1
	s_wait_dscnt 0x0
	v_cndmask_b32_e64 v24, v24, v25, s13
	s_delay_alu instid0(VALU_DEP_1)
	v_add_nc_u32_e32 v24, s55, v24
	ds_store_b32 v66, v24
.LBB1655_416:                           ;   in Loop: Header=BB1655_20 Depth=1
	s_or_b32 exec_lo, exec_lo, s14
	s_load_b64 s[14:15], s[52:53], 0x0
	s_wait_dscnt 0x0
	v_dual_lshlrev_b32 v24, 3, v0 :: v_dual_bitop2_b32 v26, 7, v0 bitop3:0x40
	v_dual_mov_b32 v25, v1 :: v_dual_bitop2_b32 v97, v0, v6 bitop3:0x54
	s_mov_b32 s58, s57
                                        ; implicit-def: $vgpr30_vgpr31
                                        ; implicit-def: $vgpr32_vgpr33
                                        ; implicit-def: $vgpr34_vgpr35
                                        ; implicit-def: $vgpr36_vgpr37
                                        ; implicit-def: $vgpr38_vgpr39
                                        ; implicit-def: $vgpr40_vgpr41
                                        ; implicit-def: $vgpr42_vgpr43
                                        ; implicit-def: $vgpr44_vgpr45
                                        ; implicit-def: $vgpr46_vgpr47
                                        ; implicit-def: $vgpr48_vgpr49
                                        ; implicit-def: $vgpr50_vgpr51
                                        ; implicit-def: $vgpr52_vgpr53
                                        ; implicit-def: $vgpr54_vgpr55
                                        ; implicit-def: $vgpr56_vgpr57
                                        ; implicit-def: $vgpr58_vgpr59
                                        ; implicit-def: $vgpr60_vgpr61
                                        ; implicit-def: $vgpr115
                                        ; implicit-def: $vgpr116
                                        ; implicit-def: $vgpr117
                                        ; implicit-def: $vgpr118
                                        ; implicit-def: $vgpr119
                                        ; implicit-def: $vgpr120
                                        ; implicit-def: $vgpr121
                                        ; implicit-def: $vgpr122
                                        ; implicit-def: $vgpr123
                                        ; implicit-def: $vgpr124
                                        ; implicit-def: $vgpr125
                                        ; implicit-def: $vgpr126
                                        ; implicit-def: $vgpr127
                                        ; implicit-def: $vgpr128
                                        ; implicit-def: $vgpr129
                                        ; implicit-def: $vgpr130
                                        ; implicit-def: $vgpr131
                                        ; implicit-def: $vgpr132
                                        ; implicit-def: $vgpr133
	s_delay_alu instid0(VALU_DEP_1) | instskip(NEXT) | instid1(VALU_DEP_2)
	v_add_nc_u64_e32 v[24:25], v[14:15], v[24:25]
	v_dual_add_nc_u32 v98, 32, v97 :: v_dual_add_nc_u32 v99, 64, v97
	v_add_nc_u32_e32 v100, 0x60, v97
	v_add_nc_u32_e32 v101, 0x80, v97
	;; [unrolled: 1-line block ×9, first 2 shown]
	s_wait_kmcnt 0x0
	s_cmp_lt_u32 s51, s14
	v_add_nc_u32_e32 v109, 0x180, v97
	s_cselect_b32 s34, 12, 18
	s_cmp_lt_u32 s42, s15
	s_mov_b32 s15, s35
	s_cselect_b32 s14, 14, 20
	v_add_nc_u32_e32 v110, 0x1a0, v97
	s_add_nc_u64 s[14:15], s[52:53], s[14:15]
	v_add_nc_u32_e32 v111, 0x1c0, v97
	s_load_u16 s16, s[14:15], 0x0
	s_wait_xcnt 0x0
	s_add_nc_u64 s[14:15], s[52:53], s[34:35]
	v_add_nc_u32_e32 v112, 0x1e0, v97
	s_load_u16 s17, s[14:15], 0x0
	s_wait_xcnt 0x0
	v_cmp_eq_u32_e64 s14, 0, v26
	v_cmp_lt_u32_e64 s15, 1, v26
	v_add_nc_u32_e32 v113, 0x200, v97
	s_mov_b32 s34, s55
	s_wait_kmcnt 0x0
	v_mad_u32_u24 v27, v89, s16, v91
	v_cmp_lt_u32_e64 s16, 3, v26
	s_delay_alu instid0(VALU_DEP_2) | instskip(NEXT) | instid1(VALU_DEP_1)
	v_mad_u32 v26, v27, s17, v2
	v_lshrrev_b32_e32 v28, 3, v26
	v_add_nc_u64_e32 v[26:27], v[16:17], v[0:1]
	s_delay_alu instid0(VALU_DEP_2)
	v_and_b32_e32 v114, 0x1ffffffc, v28
                                        ; implicit-def: $vgpr28_vgpr29
	s_branch .LBB1655_418
.LBB1655_417:                           ;   in Loop: Header=BB1655_418 Depth=2
	s_or_b32 exec_lo, exec_lo, s17
	s_addk_co_i32 s58, 0xef00
	s_cmp_lt_u32 s59, s54
	s_mov_b32 s34, s59
	s_cbranch_scc0 .LBB1655_640
.LBB1655_418:                           ;   Parent Loop BB1655_20 Depth=1
                                        ; =>  This Inner Loop Header: Depth=2
	s_add_co_i32 s59, s34, 0x1100
	s_delay_alu instid0(SALU_CYCLE_1)
	s_cmp_gt_u32 s59, s54
	s_cbranch_scc1 .LBB1655_420
; %bb.419:                              ;   in Loop: Header=BB1655_418 Depth=2
	s_delay_alu instid0(VALU_DEP_2)
	v_add_nc_u64_e32 v[62:63], s[34:35], v[26:27]
	s_mov_b32 s17, -1
	s_clause 0xf
	global_load_u8 v135, v[62:63], off
	global_load_u8 v136, v[62:63], off offset:32
	global_load_u8 v137, v[62:63], off offset:64
	;; [unrolled: 1-line block ×15, first 2 shown]
	s_movk_i32 s18, 0x1100
	s_cbranch_execz .LBB1655_421
	s_branch .LBB1655_454
.LBB1655_420:                           ;   in Loop: Header=BB1655_418 Depth=2
	s_mov_b32 s17, 0
                                        ; implicit-def: $vgpr135
                                        ; implicit-def: $vgpr136
                                        ; implicit-def: $vgpr137
                                        ; implicit-def: $vgpr138
                                        ; implicit-def: $vgpr139
                                        ; implicit-def: $vgpr140
                                        ; implicit-def: $vgpr141
                                        ; implicit-def: $vgpr142
                                        ; implicit-def: $vgpr143
                                        ; implicit-def: $vgpr144
                                        ; implicit-def: $vgpr145
                                        ; implicit-def: $vgpr146
                                        ; implicit-def: $vgpr147
                                        ; implicit-def: $vgpr148
                                        ; implicit-def: $vgpr149
                                        ; implicit-def: $vgpr150
	s_movk_i32 s18, 0x1100
.LBB1655_421:                           ;   in Loop: Header=BB1655_418 Depth=2
	s_wait_xcnt 0x0
	v_add_nc_u64_e32 v[62:63], s[34:35], v[26:27]
	s_wait_loadcnt 0xe
	v_dual_mov_b32 v136, 1 :: v_dual_mov_b32 v135, 1
	s_mov_b32 s17, exec_lo
	v_cmpx_gt_u32_e64 s58, v97
	s_cbranch_execz .LBB1655_423
; %bb.422:                              ;   in Loop: Header=BB1655_418 Depth=2
	global_load_u8 v135, v[62:63], off
.LBB1655_423:                           ;   in Loop: Header=BB1655_418 Depth=2
	s_wait_xcnt 0x0
	s_or_b32 exec_lo, exec_lo, s17
	s_delay_alu instid0(SALU_CYCLE_1)
	s_mov_b32 s17, exec_lo
	v_cmpx_gt_u32_e64 s58, v98
	s_cbranch_execz .LBB1655_425
; %bb.424:                              ;   in Loop: Header=BB1655_418 Depth=2
	global_load_u8 v136, v[62:63], off offset:32
.LBB1655_425:                           ;   in Loop: Header=BB1655_418 Depth=2
	s_wait_xcnt 0x0
	s_or_b32 exec_lo, exec_lo, s17
	s_wait_loadcnt 0xc
	v_dual_mov_b32 v138, 1 :: v_dual_mov_b32 v137, 1
	s_mov_b32 s17, exec_lo
	v_cmpx_gt_u32_e64 s58, v99
	s_cbranch_execz .LBB1655_427
; %bb.426:                              ;   in Loop: Header=BB1655_418 Depth=2
	global_load_u8 v137, v[62:63], off offset:64
.LBB1655_427:                           ;   in Loop: Header=BB1655_418 Depth=2
	s_wait_xcnt 0x0
	s_or_b32 exec_lo, exec_lo, s17
	s_delay_alu instid0(SALU_CYCLE_1)
	s_mov_b32 s17, exec_lo
	v_cmpx_gt_u32_e64 s58, v100
	s_cbranch_execz .LBB1655_429
; %bb.428:                              ;   in Loop: Header=BB1655_418 Depth=2
	global_load_u8 v138, v[62:63], off offset:96
.LBB1655_429:                           ;   in Loop: Header=BB1655_418 Depth=2
	s_wait_xcnt 0x0
	s_or_b32 exec_lo, exec_lo, s17
	s_wait_loadcnt 0xa
	v_dual_mov_b32 v140, 1 :: v_dual_mov_b32 v139, 1
	s_mov_b32 s17, exec_lo
	v_cmpx_gt_u32_e64 s58, v101
	s_cbranch_execz .LBB1655_431
; %bb.430:                              ;   in Loop: Header=BB1655_418 Depth=2
	global_load_u8 v139, v[62:63], off offset:128
.LBB1655_431:                           ;   in Loop: Header=BB1655_418 Depth=2
	;; [unrolled: 19-line block ×7, first 2 shown]
	s_wait_xcnt 0x0
	s_or_b32 exec_lo, exec_lo, s17
	s_delay_alu instid0(SALU_CYCLE_1)
	s_mov_b32 s17, exec_lo
	v_cmpx_gt_u32_e64 s58, v112
	s_cbranch_execz .LBB1655_453
; %bb.452:                              ;   in Loop: Header=BB1655_418 Depth=2
	global_load_u8 v150, v[62:63], off offset:480
.LBB1655_453:                           ;   in Loop: Header=BB1655_418 Depth=2
	s_wait_xcnt 0x0
	s_or_b32 exec_lo, exec_lo, s17
	v_cmp_gt_u32_e64 s17, s58, v113
	s_sub_co_i32 s18, s54, s34
.LBB1655_454:                           ;   in Loop: Header=BB1655_418 Depth=2
	v_dual_mov_b32 v151, 1 :: v_dual_mov_b32 v134, s58
	s_wait_xcnt 0x0
	s_and_saveexec_b32 s19, s17
	s_cbranch_execz .LBB1655_456
; %bb.455:                              ;   in Loop: Header=BB1655_418 Depth=2
	v_add_nc_u64_e32 v[62:63], s[34:35], v[26:27]
	v_mov_b32_e32 v134, s18
	global_load_u8 v151, v[62:63], off offset:512
.LBB1655_456:                           ;   in Loop: Header=BB1655_418 Depth=2
	s_wait_xcnt 0x0
	s_or_b32 exec_lo, exec_lo, s19
	s_wait_loadcnt 0xf
	v_and_b32_e32 v62, 0xff, v135
	ds_store_2addr_b32 v90, v1, v1 offset0:136 offset1:137
	ds_store_2addr_b32 v90, v1, v1 offset0:138 offset1:139
	ds_store_b32 v90, v1 offset:560
	s_wait_loadcnt_dscnt 0x0
	s_barrier_signal -1
	s_barrier_wait -1
	v_lshrrev_b32_e32 v62, s43, v62
	; wave barrier
	s_delay_alu instid0(VALU_DEP_1) | instskip(NEXT) | instid1(VALU_DEP_1)
	v_and_b32_e32 v63, s48, v62
	v_add_co_u32 v62, s17, v63, -1
	s_delay_alu instid0(VALU_DEP_1) | instskip(SKIP_1) | instid1(VALU_DEP_2)
	v_cndmask_b32_e64 v64, 0, 1, s17
	v_mul_u32_u24_e32 v63, 36, v63
	v_cmp_ne_u32_e32 vcc_lo, 0, v64
	s_delay_alu instid0(VALU_DEP_2) | instskip(SKIP_1) | instid1(VALU_DEP_1)
	v_add_nc_u32_e32 v155, v114, v63
	v_bitop3_b32 v62, vcc_lo, exec_lo, v62 bitop3:0x48
	v_mbcnt_lo_u32_b32 v152, v62, 0
	v_cmp_ne_u32_e64 s17, 0, v62
	s_delay_alu instid0(VALU_DEP_2) | instskip(SKIP_1) | instid1(SALU_CYCLE_1)
	v_cmp_eq_u32_e32 vcc_lo, 0, v152
	s_and_b32 s18, s17, vcc_lo
	s_and_saveexec_b32 s17, s18
; %bb.457:                              ;   in Loop: Header=BB1655_418 Depth=2
	v_bcnt_u32_b32 v62, v62, 0
	ds_store_b32 v155, v62 offset:544
; %bb.458:                              ;   in Loop: Header=BB1655_418 Depth=2
	s_or_b32 exec_lo, exec_lo, s17
	v_and_b32_e32 v62, 0xff, v136
	; wave barrier
	s_delay_alu instid0(VALU_DEP_1) | instskip(NEXT) | instid1(VALU_DEP_1)
	v_lshrrev_b32_e32 v62, s43, v62
	v_and_b32_e32 v63, s48, v62
	s_delay_alu instid0(VALU_DEP_1) | instskip(NEXT) | instid1(VALU_DEP_1)
	v_add_co_u32 v62, s17, v63, -1
	v_cndmask_b32_e64 v64, 0, 1, s17
	v_mad_u32_u24 v65, v63, 36, v114
	v_mul_u32_u24_e32 v63, 36, v63
	s_delay_alu instid0(VALU_DEP_3) | instskip(SKIP_3) | instid1(VALU_DEP_1)
	v_cmp_ne_u32_e32 vcc_lo, 0, v64
	ds_load_b32 v153, v65 offset:544
	v_add_nc_u32_e32 v158, v114, v63
	; wave barrier
	v_bitop3_b32 v62, vcc_lo, exec_lo, v62 bitop3:0x48
	v_mbcnt_lo_u32_b32 v154, v62, 0
	v_cmp_ne_u32_e64 s17, 0, v62
	s_delay_alu instid0(VALU_DEP_2) | instskip(SKIP_1) | instid1(SALU_CYCLE_1)
	v_cmp_eq_u32_e32 vcc_lo, 0, v154
	s_and_b32 s18, s17, vcc_lo
	s_and_saveexec_b32 s17, s18
	s_cbranch_execz .LBB1655_460
; %bb.459:                              ;   in Loop: Header=BB1655_418 Depth=2
	s_wait_dscnt 0x0
	v_bcnt_u32_b32 v62, v62, v153
	ds_store_b32 v158, v62 offset:544
.LBB1655_460:                           ;   in Loop: Header=BB1655_418 Depth=2
	s_or_b32 exec_lo, exec_lo, s17
	v_and_b32_e32 v62, 0xff, v137
	; wave barrier
	s_delay_alu instid0(VALU_DEP_1) | instskip(NEXT) | instid1(VALU_DEP_1)
	v_lshrrev_b32_e32 v62, s43, v62
	v_and_b32_e32 v63, s48, v62
	s_delay_alu instid0(VALU_DEP_1) | instskip(NEXT) | instid1(VALU_DEP_1)
	v_add_co_u32 v62, s17, v63, -1
	v_cndmask_b32_e64 v64, 0, 1, s17
	v_mad_u32_u24 v65, v63, 36, v114
	v_mul_u32_u24_e32 v63, 36, v63
	s_delay_alu instid0(VALU_DEP_3) | instskip(SKIP_3) | instid1(VALU_DEP_1)
	v_cmp_ne_u32_e32 vcc_lo, 0, v64
	ds_load_b32 v156, v65 offset:544
	v_add_nc_u32_e32 v161, v114, v63
	; wave barrier
	v_bitop3_b32 v62, vcc_lo, exec_lo, v62 bitop3:0x48
	v_mbcnt_lo_u32_b32 v157, v62, 0
	v_cmp_ne_u32_e64 s17, 0, v62
	s_delay_alu instid0(VALU_DEP_2) | instskip(SKIP_1) | instid1(SALU_CYCLE_1)
	v_cmp_eq_u32_e32 vcc_lo, 0, v157
	s_and_b32 s18, s17, vcc_lo
	s_and_saveexec_b32 s17, s18
	s_cbranch_execz .LBB1655_462
; %bb.461:                              ;   in Loop: Header=BB1655_418 Depth=2
	s_wait_dscnt 0x0
	v_bcnt_u32_b32 v62, v62, v156
	ds_store_b32 v161, v62 offset:544
.LBB1655_462:                           ;   in Loop: Header=BB1655_418 Depth=2
	;; [unrolled: 29-line block ×16, first 2 shown]
	s_or_b32 exec_lo, exec_lo, s17
	; wave barrier
	s_wait_dscnt 0x0
	s_barrier_signal -1
	s_barrier_wait -1
	ds_load_2addr_b32 v[64:65], v90 offset0:136 offset1:137
	ds_load_2addr_b32 v[62:63], v90 offset0:138 offset1:139
	ds_load_b32 v202, v90 offset:560
	s_wait_dscnt 0x1
	v_add3_u32 v203, v65, v64, v62
	s_wait_dscnt 0x0
	s_delay_alu instid0(VALU_DEP_1) | instskip(NEXT) | instid1(VALU_DEP_1)
	v_add3_u32 v202, v203, v63, v202
	v_mov_b32_dpp v203, v202 row_shr:1 row_mask:0xf bank_mask:0xf
	s_delay_alu instid0(VALU_DEP_1) | instskip(NEXT) | instid1(VALU_DEP_1)
	v_cndmask_b32_e64 v203, v203, 0, s8
	v_add_nc_u32_e32 v202, v203, v202
	s_delay_alu instid0(VALU_DEP_1) | instskip(NEXT) | instid1(VALU_DEP_1)
	v_mov_b32_dpp v203, v202 row_shr:2 row_mask:0xf bank_mask:0xf
	v_cndmask_b32_e64 v203, 0, v203, s9
	s_delay_alu instid0(VALU_DEP_1) | instskip(NEXT) | instid1(VALU_DEP_1)
	v_add_nc_u32_e32 v202, v202, v203
	v_mov_b32_dpp v203, v202 row_shr:4 row_mask:0xf bank_mask:0xf
	s_delay_alu instid0(VALU_DEP_1) | instskip(NEXT) | instid1(VALU_DEP_1)
	v_cndmask_b32_e64 v203, 0, v203, s10
	v_add_nc_u32_e32 v202, v202, v203
	s_delay_alu instid0(VALU_DEP_1) | instskip(NEXT) | instid1(VALU_DEP_1)
	v_mov_b32_dpp v203, v202 row_shr:8 row_mask:0xf bank_mask:0xf
	v_cndmask_b32_e64 v203, 0, v203, s11
	s_delay_alu instid0(VALU_DEP_1) | instskip(SKIP_3) | instid1(VALU_DEP_1)
	v_add_nc_u32_e32 v202, v202, v203
	ds_swizzle_b32 v203, v202 offset:swizzle(BROADCAST,32,15)
	s_wait_dscnt 0x0
	v_cndmask_b32_e64 v203, v203, 0, s12
	v_add_nc_u32_e32 v202, v202, v203
	s_and_saveexec_b32 s17, s2
; %bb.491:                              ;   in Loop: Header=BB1655_418 Depth=2
	ds_store_b32 v83, v202 offset:512
; %bb.492:                              ;   in Loop: Header=BB1655_418 Depth=2
	s_or_b32 exec_lo, exec_lo, s17
	s_wait_dscnt 0x0
	s_barrier_signal -1
	s_barrier_wait -1
	s_and_saveexec_b32 s17, s3
	s_cbranch_execz .LBB1655_494
; %bb.493:                              ;   in Loop: Header=BB1655_418 Depth=2
	ds_load_b32 v203, v92 offset:512
	s_wait_dscnt 0x0
	v_mov_b32_dpp v204, v203 row_shr:1 row_mask:0xf bank_mask:0xf
	s_delay_alu instid0(VALU_DEP_1) | instskip(NEXT) | instid1(VALU_DEP_1)
	v_cndmask_b32_e64 v204, v204, 0, s14
	v_add_nc_u32_e32 v203, v204, v203
	s_delay_alu instid0(VALU_DEP_1) | instskip(NEXT) | instid1(VALU_DEP_1)
	v_mov_b32_dpp v204, v203 row_shr:2 row_mask:0xf bank_mask:0xf
	v_cndmask_b32_e64 v204, 0, v204, s15
	s_delay_alu instid0(VALU_DEP_1) | instskip(NEXT) | instid1(VALU_DEP_1)
	v_add_nc_u32_e32 v203, v203, v204
	v_mov_b32_dpp v204, v203 row_shr:4 row_mask:0xf bank_mask:0xf
	s_delay_alu instid0(VALU_DEP_1) | instskip(NEXT) | instid1(VALU_DEP_1)
	v_cndmask_b32_e64 v204, 0, v204, s16
	v_add_nc_u32_e32 v203, v203, v204
	ds_store_b32 v92, v203 offset:512
.LBB1655_494:                           ;   in Loop: Header=BB1655_418 Depth=2
	s_or_b32 exec_lo, exec_lo, s17
	v_mov_b32_e32 v203, 0
	s_wait_dscnt 0x0
	s_barrier_signal -1
	s_barrier_wait -1
	s_and_saveexec_b32 s17, s5
; %bb.495:                              ;   in Loop: Header=BB1655_418 Depth=2
	ds_load_b32 v203, v83 offset:508
; %bb.496:                              ;   in Loop: Header=BB1655_418 Depth=2
	s_or_b32 exec_lo, exec_lo, s17
	s_wait_dscnt 0x0
	v_add_nc_u32_e32 v202, v203, v202
	ds_bpermute_b32 v202, v96, v202
	s_wait_dscnt 0x0
	v_cndmask_b32_e64 v202, v202, v203, s13
	s_delay_alu instid0(VALU_DEP_1) | instskip(NEXT) | instid1(VALU_DEP_1)
	v_cndmask_b32_e64 v202, v202, 0, s6
	v_add_nc_u32_e32 v64, v202, v64
	s_delay_alu instid0(VALU_DEP_1) | instskip(NEXT) | instid1(VALU_DEP_1)
	v_add_nc_u32_e32 v65, v64, v65
	v_add_nc_u32_e32 v62, v65, v62
	s_delay_alu instid0(VALU_DEP_1)
	v_add_nc_u32_e32 v63, v62, v63
	ds_store_2addr_b32 v90, v202, v64 offset0:136 offset1:137
	ds_store_2addr_b32 v90, v65, v62 offset0:138 offset1:139
	ds_store_b32 v90, v63 offset:560
	s_wait_dscnt 0x0
	s_barrier_signal -1
	s_barrier_wait -1
	ds_load_b32 v62, v155 offset:544
	ds_load_b32 v63, v158 offset:544
	;; [unrolled: 1-line block ×17, first 2 shown]
	s_and_saveexec_b32 s17, s0
	s_cbranch_execz .LBB1655_500
; %bb.497:                              ;   in Loop: Header=BB1655_418 Depth=2
	v_dual_mov_b32 v133, 0x1100 :: v_dual_add_nc_u32 v132, v92, v94
	ds_load_b32 v132, v132 offset:544
	s_and_saveexec_b32 s18, s7
; %bb.498:                              ;   in Loop: Header=BB1655_418 Depth=2
	ds_load_b32 v133, v93 offset:544
; %bb.499:                              ;   in Loop: Header=BB1655_418 Depth=2
	s_or_b32 exec_lo, exec_lo, s18
	s_wait_dscnt 0x0
	v_sub_nc_u32_e32 v133, v133, v132
.LBB1655_500:                           ;   in Loop: Header=BB1655_418 Depth=2
	s_or_b32 exec_lo, exec_lo, s17
	s_wait_dscnt 0x0
	s_barrier_signal -1
	s_barrier_wait -1
	s_and_saveexec_b32 s17, s0
	s_cbranch_execz .LBB1655_502
; %bb.501:                              ;   in Loop: Header=BB1655_418 Depth=2
	ds_load_b32 v161, v66
	s_wait_dscnt 0x0
	v_sub_nc_u32_e32 v161, v161, v132
	ds_store_b32 v66, v161
.LBB1655_502:                           ;   in Loop: Header=BB1655_418 Depth=2
	s_or_b32 exec_lo, exec_lo, s17
	v_add_nc_u32_e32 v166, v62, v152
	v_add3_u32 v165, v154, v153, v63
	v_add3_u32 v164, v157, v156, v64
	;; [unrolled: 1-line block ×16, first 2 shown]
	v_cmp_lt_u32_e32 vcc_lo, v2, v134
	ds_store_b8 v166, v135 offset:512
	ds_store_b8 v165, v136 offset:512
	;; [unrolled: 1-line block ×17, first 2 shown]
	s_wait_dscnt 0x0
	s_barrier_signal -1
	s_barrier_wait -1
	s_and_saveexec_b32 s17, vcc_lo
	s_cbranch_execnz .LBB1655_575
; %bb.503:                              ;   in Loop: Header=BB1655_418 Depth=2
	s_or_b32 exec_lo, exec_lo, s17
	v_cmp_lt_u32_e64 s17, v67, v134
	s_and_saveexec_b32 s18, s17
	s_cbranch_execnz .LBB1655_576
.LBB1655_504:                           ;   in Loop: Header=BB1655_418 Depth=2
	s_or_b32 exec_lo, exec_lo, s18
	v_cmp_lt_u32_e64 s18, v68, v134
	s_and_saveexec_b32 s19, s18
	s_cbranch_execnz .LBB1655_577
.LBB1655_505:                           ;   in Loop: Header=BB1655_418 Depth=2
	s_or_b32 exec_lo, exec_lo, s19
	v_cmp_lt_u32_e64 s19, v69, v134
	s_and_saveexec_b32 s20, s19
	s_cbranch_execnz .LBB1655_578
.LBB1655_506:                           ;   in Loop: Header=BB1655_418 Depth=2
	s_or_b32 exec_lo, exec_lo, s20
	v_cmp_lt_u32_e64 s20, v70, v134
	s_and_saveexec_b32 s21, s20
	s_cbranch_execnz .LBB1655_579
.LBB1655_507:                           ;   in Loop: Header=BB1655_418 Depth=2
	s_or_b32 exec_lo, exec_lo, s21
	v_cmp_lt_u32_e64 s21, v71, v134
	s_and_saveexec_b32 s22, s21
	s_cbranch_execnz .LBB1655_580
.LBB1655_508:                           ;   in Loop: Header=BB1655_418 Depth=2
	s_or_b32 exec_lo, exec_lo, s22
	v_cmp_lt_u32_e64 s22, v72, v134
	s_and_saveexec_b32 s23, s22
	s_cbranch_execnz .LBB1655_581
.LBB1655_509:                           ;   in Loop: Header=BB1655_418 Depth=2
	s_or_b32 exec_lo, exec_lo, s23
	v_cmp_lt_u32_e64 s23, v73, v134
	s_and_saveexec_b32 s24, s23
	s_cbranch_execnz .LBB1655_582
.LBB1655_510:                           ;   in Loop: Header=BB1655_418 Depth=2
	s_or_b32 exec_lo, exec_lo, s24
	v_cmp_lt_u32_e64 s24, v74, v134
	s_and_saveexec_b32 s25, s24
	s_cbranch_execnz .LBB1655_583
.LBB1655_511:                           ;   in Loop: Header=BB1655_418 Depth=2
	s_or_b32 exec_lo, exec_lo, s25
	v_cmp_lt_u32_e64 s25, v75, v134
	s_and_saveexec_b32 s26, s25
	s_cbranch_execnz .LBB1655_584
.LBB1655_512:                           ;   in Loop: Header=BB1655_418 Depth=2
	s_or_b32 exec_lo, exec_lo, s26
	v_cmp_lt_u32_e64 s26, v76, v134
	s_and_saveexec_b32 s27, s26
	s_cbranch_execnz .LBB1655_585
.LBB1655_513:                           ;   in Loop: Header=BB1655_418 Depth=2
	s_or_b32 exec_lo, exec_lo, s27
	v_cmp_lt_u32_e64 s27, v77, v134
	s_and_saveexec_b32 s28, s27
	s_cbranch_execnz .LBB1655_586
.LBB1655_514:                           ;   in Loop: Header=BB1655_418 Depth=2
	s_or_b32 exec_lo, exec_lo, s28
	v_cmp_lt_u32_e64 s28, v78, v134
	s_and_saveexec_b32 s29, s28
	s_cbranch_execnz .LBB1655_587
.LBB1655_515:                           ;   in Loop: Header=BB1655_418 Depth=2
	s_or_b32 exec_lo, exec_lo, s29
	v_cmp_lt_u32_e64 s29, v79, v134
	s_and_saveexec_b32 s30, s29
	s_cbranch_execnz .LBB1655_588
.LBB1655_516:                           ;   in Loop: Header=BB1655_418 Depth=2
	s_or_b32 exec_lo, exec_lo, s30
	v_cmp_lt_u32_e64 s30, v80, v134
	s_and_saveexec_b32 s31, s30
	s_cbranch_execnz .LBB1655_589
.LBB1655_517:                           ;   in Loop: Header=BB1655_418 Depth=2
	s_or_b32 exec_lo, exec_lo, s31
	v_cmp_lt_u32_e64 s31, v81, v134
	s_and_saveexec_b32 s33, s31
	s_cbranch_execnz .LBB1655_590
.LBB1655_518:                           ;   in Loop: Header=BB1655_418 Depth=2
	s_or_b32 exec_lo, exec_lo, s33
	v_cmp_lt_u32_e64 s33, v82, v134
	s_and_saveexec_b32 s60, s33
	s_cbranch_execz .LBB1655_520
.LBB1655_519:                           ;   in Loop: Header=BB1655_418 Depth=2
	ds_load_u8 v62, v2 offset:4608
	s_wait_dscnt 0x0
	v_and_b32_e32 v63, 1, v62
	s_delay_alu instid0(VALU_DEP_1) | instskip(NEXT) | instid1(VALU_DEP_1)
	v_lshrrev_b32_e32 v63, s43, v63
	v_and_b32_e32 v63, s48, v63
	s_delay_alu instid0(VALU_DEP_1)
	v_lshlrev_b32_e32 v63, 2, v63
	ds_load_b32 v63, v63
	s_wait_dscnt 0x0
	v_add_nc_u32_e32 v63, v63, v82
	global_store_b8 v63, v62, s[40:41]
.LBB1655_520:                           ;   in Loop: Header=BB1655_418 Depth=2
	s_wait_xcnt 0x0
	s_or_b32 exec_lo, exec_lo, s60
	v_lshl_add_u64 v[62:63], s[34:35], 3, v[24:25]
	v_cmp_lt_u32_e64 s34, v97, v134
	s_and_saveexec_b32 s60, s34
	s_delay_alu instid0(SALU_CYCLE_1)
	s_xor_b32 s34, exec_lo, s60
	s_cbranch_execnz .LBB1655_591
; %bb.521:                              ;   in Loop: Header=BB1655_418 Depth=2
	s_or_b32 exec_lo, exec_lo, s34
	s_delay_alu instid0(SALU_CYCLE_1)
	s_mov_b32 s60, exec_lo
	v_cmpx_lt_u32_e64 v98, v134
	s_cbranch_execnz .LBB1655_592
.LBB1655_522:                           ;   in Loop: Header=BB1655_418 Depth=2
	s_or_b32 exec_lo, exec_lo, s60
	s_delay_alu instid0(SALU_CYCLE_1)
	s_mov_b32 s60, exec_lo
	v_cmpx_lt_u32_e64 v99, v134
	s_cbranch_execnz .LBB1655_593
.LBB1655_523:                           ;   in Loop: Header=BB1655_418 Depth=2
	s_or_b32 exec_lo, exec_lo, s60
	s_delay_alu instid0(SALU_CYCLE_1)
	s_mov_b32 s60, exec_lo
	v_cmpx_lt_u32_e64 v100, v134
	s_cbranch_execnz .LBB1655_594
.LBB1655_524:                           ;   in Loop: Header=BB1655_418 Depth=2
	s_or_b32 exec_lo, exec_lo, s60
	s_delay_alu instid0(SALU_CYCLE_1)
	s_mov_b32 s60, exec_lo
	v_cmpx_lt_u32_e64 v101, v134
	s_cbranch_execnz .LBB1655_595
.LBB1655_525:                           ;   in Loop: Header=BB1655_418 Depth=2
	s_or_b32 exec_lo, exec_lo, s60
	s_delay_alu instid0(SALU_CYCLE_1)
	s_mov_b32 s60, exec_lo
	v_cmpx_lt_u32_e64 v102, v134
	s_cbranch_execnz .LBB1655_596
.LBB1655_526:                           ;   in Loop: Header=BB1655_418 Depth=2
	s_or_b32 exec_lo, exec_lo, s60
	s_delay_alu instid0(SALU_CYCLE_1)
	s_mov_b32 s60, exec_lo
	v_cmpx_lt_u32_e64 v103, v134
	s_cbranch_execnz .LBB1655_597
.LBB1655_527:                           ;   in Loop: Header=BB1655_418 Depth=2
	s_or_b32 exec_lo, exec_lo, s60
	s_delay_alu instid0(SALU_CYCLE_1)
	s_mov_b32 s60, exec_lo
	v_cmpx_lt_u32_e64 v104, v134
	s_cbranch_execnz .LBB1655_598
.LBB1655_528:                           ;   in Loop: Header=BB1655_418 Depth=2
	s_or_b32 exec_lo, exec_lo, s60
	s_delay_alu instid0(SALU_CYCLE_1)
	s_mov_b32 s60, exec_lo
	v_cmpx_lt_u32_e64 v105, v134
	s_cbranch_execnz .LBB1655_599
.LBB1655_529:                           ;   in Loop: Header=BB1655_418 Depth=2
	s_or_b32 exec_lo, exec_lo, s60
	s_delay_alu instid0(SALU_CYCLE_1)
	s_mov_b32 s60, exec_lo
	v_cmpx_lt_u32_e64 v106, v134
	s_cbranch_execnz .LBB1655_600
.LBB1655_530:                           ;   in Loop: Header=BB1655_418 Depth=2
	s_or_b32 exec_lo, exec_lo, s60
	s_delay_alu instid0(SALU_CYCLE_1)
	s_mov_b32 s60, exec_lo
	v_cmpx_lt_u32_e64 v107, v134
	s_cbranch_execnz .LBB1655_601
.LBB1655_531:                           ;   in Loop: Header=BB1655_418 Depth=2
	s_or_b32 exec_lo, exec_lo, s60
	s_delay_alu instid0(SALU_CYCLE_1)
	s_mov_b32 s60, exec_lo
	v_cmpx_lt_u32_e64 v108, v134
	s_cbranch_execnz .LBB1655_602
.LBB1655_532:                           ;   in Loop: Header=BB1655_418 Depth=2
	s_or_b32 exec_lo, exec_lo, s60
	s_delay_alu instid0(SALU_CYCLE_1)
	s_mov_b32 s60, exec_lo
	v_cmpx_lt_u32_e64 v109, v134
	s_cbranch_execnz .LBB1655_603
.LBB1655_533:                           ;   in Loop: Header=BB1655_418 Depth=2
	s_or_b32 exec_lo, exec_lo, s60
	s_delay_alu instid0(SALU_CYCLE_1)
	s_mov_b32 s60, exec_lo
	v_cmpx_lt_u32_e64 v110, v134
	s_cbranch_execnz .LBB1655_604
.LBB1655_534:                           ;   in Loop: Header=BB1655_418 Depth=2
	s_or_b32 exec_lo, exec_lo, s60
	s_delay_alu instid0(SALU_CYCLE_1)
	s_mov_b32 s60, exec_lo
	v_cmpx_lt_u32_e64 v111, v134
	s_cbranch_execnz .LBB1655_605
.LBB1655_535:                           ;   in Loop: Header=BB1655_418 Depth=2
	s_or_b32 exec_lo, exec_lo, s60
	s_delay_alu instid0(SALU_CYCLE_1)
	s_mov_b32 s60, exec_lo
	v_cmpx_lt_u32_e64 v112, v134
	s_cbranch_execnz .LBB1655_606
.LBB1655_536:                           ;   in Loop: Header=BB1655_418 Depth=2
	s_or_b32 exec_lo, exec_lo, s60
	s_delay_alu instid0(SALU_CYCLE_1)
	s_mov_b32 s60, exec_lo
	v_cmpx_lt_u32_e64 v113, v134
	s_cbranch_execnz .LBB1655_607
.LBB1655_537:                           ;   in Loop: Header=BB1655_418 Depth=2
	s_or_b32 exec_lo, exec_lo, s60
	s_and_saveexec_b32 s34, vcc_lo
	s_cbranch_execnz .LBB1655_608
.LBB1655_538:                           ;   in Loop: Header=BB1655_418 Depth=2
	s_or_b32 exec_lo, exec_lo, s34
	s_and_saveexec_b32 s34, s17
	s_cbranch_execnz .LBB1655_609
.LBB1655_539:                           ;   in Loop: Header=BB1655_418 Depth=2
	s_or_b32 exec_lo, exec_lo, s34
	s_and_saveexec_b32 s34, s18
	s_cbranch_execnz .LBB1655_610
.LBB1655_540:                           ;   in Loop: Header=BB1655_418 Depth=2
	s_or_b32 exec_lo, exec_lo, s34
	s_and_saveexec_b32 s34, s19
	s_cbranch_execnz .LBB1655_611
.LBB1655_541:                           ;   in Loop: Header=BB1655_418 Depth=2
	s_or_b32 exec_lo, exec_lo, s34
	s_and_saveexec_b32 s34, s20
	s_cbranch_execnz .LBB1655_612
.LBB1655_542:                           ;   in Loop: Header=BB1655_418 Depth=2
	s_or_b32 exec_lo, exec_lo, s34
	s_and_saveexec_b32 s34, s21
	s_cbranch_execnz .LBB1655_613
.LBB1655_543:                           ;   in Loop: Header=BB1655_418 Depth=2
	s_or_b32 exec_lo, exec_lo, s34
	s_and_saveexec_b32 s34, s22
	s_cbranch_execnz .LBB1655_614
.LBB1655_544:                           ;   in Loop: Header=BB1655_418 Depth=2
	s_or_b32 exec_lo, exec_lo, s34
	s_and_saveexec_b32 s34, s23
	s_cbranch_execnz .LBB1655_615
.LBB1655_545:                           ;   in Loop: Header=BB1655_418 Depth=2
	s_or_b32 exec_lo, exec_lo, s34
	s_and_saveexec_b32 s34, s24
	s_cbranch_execnz .LBB1655_616
.LBB1655_546:                           ;   in Loop: Header=BB1655_418 Depth=2
	s_or_b32 exec_lo, exec_lo, s34
	s_and_saveexec_b32 s34, s25
	s_cbranch_execnz .LBB1655_617
.LBB1655_547:                           ;   in Loop: Header=BB1655_418 Depth=2
	s_or_b32 exec_lo, exec_lo, s34
	s_and_saveexec_b32 s34, s26
	s_cbranch_execnz .LBB1655_618
.LBB1655_548:                           ;   in Loop: Header=BB1655_418 Depth=2
	s_or_b32 exec_lo, exec_lo, s34
	s_and_saveexec_b32 s34, s27
	s_cbranch_execnz .LBB1655_619
.LBB1655_549:                           ;   in Loop: Header=BB1655_418 Depth=2
	s_or_b32 exec_lo, exec_lo, s34
	s_and_saveexec_b32 s34, s28
	s_cbranch_execnz .LBB1655_620
.LBB1655_550:                           ;   in Loop: Header=BB1655_418 Depth=2
	s_or_b32 exec_lo, exec_lo, s34
	s_and_saveexec_b32 s34, s29
	s_cbranch_execnz .LBB1655_621
.LBB1655_551:                           ;   in Loop: Header=BB1655_418 Depth=2
	s_or_b32 exec_lo, exec_lo, s34
	s_and_saveexec_b32 s34, s30
	s_cbranch_execnz .LBB1655_622
.LBB1655_552:                           ;   in Loop: Header=BB1655_418 Depth=2
	s_or_b32 exec_lo, exec_lo, s34
	s_and_saveexec_b32 s34, s31
	s_cbranch_execnz .LBB1655_623
.LBB1655_553:                           ;   in Loop: Header=BB1655_418 Depth=2
	s_or_b32 exec_lo, exec_lo, s34
	s_and_saveexec_b32 s34, s33
	s_cbranch_execz .LBB1655_555
.LBB1655_554:                           ;   in Loop: Header=BB1655_418 Depth=2
	ds_load_u8 v62, v2 offset:4608
	s_wait_dscnt 0x0
	v_lshrrev_b32_e32 v62, s43, v62
	s_delay_alu instid0(VALU_DEP_1)
	v_and_b32_e32 v115, s48, v62
.LBB1655_555:                           ;   in Loop: Header=BB1655_418 Depth=2
	s_or_b32 exec_lo, exec_lo, s34
	v_dual_lshlrev_b32 v62, 3, v166 :: v_dual_lshlrev_b32 v63, 3, v165
	s_wait_loadcnt 0x0
	s_wait_storecnt 0x0
	s_barrier_signal -1
	s_barrier_wait -1
	ds_store_b64 v62, v[60:61] offset:512
	ds_store_b64 v63, v[58:59] offset:512
	v_dual_lshlrev_b32 v62, 3, v164 :: v_dual_lshlrev_b32 v63, 3, v163
	v_dual_lshlrev_b32 v134, 3, v162 :: v_dual_lshlrev_b32 v135, 3, v161
	v_lshlrev_b32_e32 v136, 3, v160
	ds_store_b64 v62, v[56:57] offset:512
	ds_store_b64 v63, v[54:55] offset:512
	ds_store_b64 v134, v[52:53] offset:512
	ds_store_b64 v135, v[50:51] offset:512
	ds_store_b64 v136, v[48:49] offset:512
	v_dual_lshlrev_b32 v62, 3, v159 :: v_dual_lshlrev_b32 v63, 3, v158
	v_dual_lshlrev_b32 v134, 3, v157 :: v_dual_lshlrev_b32 v135, 3, v156
	v_lshlrev_b32_e32 v136, 3, v155
	ds_store_b64 v62, v[46:47] offset:512
	ds_store_b64 v63, v[44:45] offset:512
	ds_store_b64 v134, v[42:43] offset:512
	ds_store_b64 v135, v[40:41] offset:512
	ds_store_b64 v136, v[38:39] offset:512
	v_dual_lshlrev_b32 v62, 3, v154 :: v_dual_lshlrev_b32 v63, 3, v153
	v_dual_lshlrev_b32 v134, 3, v152 :: v_dual_lshlrev_b32 v65, 3, v65
	v_lshlrev_b32_e32 v64, 3, v64
	ds_store_b64 v62, v[36:37] offset:512
	ds_store_b64 v63, v[34:35] offset:512
	ds_store_b64 v134, v[32:33] offset:512
	ds_store_b64 v65, v[30:31] offset:512
	ds_store_b64 v64, v[28:29] offset:512
	s_wait_dscnt 0x0
	s_barrier_signal -1
	s_barrier_wait -1
	s_and_saveexec_b32 s34, vcc_lo
	s_cbranch_execnz .LBB1655_624
; %bb.556:                              ;   in Loop: Header=BB1655_418 Depth=2
	s_or_b32 exec_lo, exec_lo, s34
	s_and_saveexec_b32 s34, s17
	s_cbranch_execnz .LBB1655_625
.LBB1655_557:                           ;   in Loop: Header=BB1655_418 Depth=2
	s_or_b32 exec_lo, exec_lo, s34
	s_and_saveexec_b32 s17, s18
	s_cbranch_execnz .LBB1655_626
.LBB1655_558:                           ;   in Loop: Header=BB1655_418 Depth=2
	s_or_b32 exec_lo, exec_lo, s17
	s_and_saveexec_b32 s17, s19
	s_cbranch_execnz .LBB1655_627
.LBB1655_559:                           ;   in Loop: Header=BB1655_418 Depth=2
	s_or_b32 exec_lo, exec_lo, s17
	s_and_saveexec_b32 s17, s20
	s_cbranch_execnz .LBB1655_628
.LBB1655_560:                           ;   in Loop: Header=BB1655_418 Depth=2
	s_or_b32 exec_lo, exec_lo, s17
	s_and_saveexec_b32 s17, s21
	s_cbranch_execnz .LBB1655_629
.LBB1655_561:                           ;   in Loop: Header=BB1655_418 Depth=2
	s_or_b32 exec_lo, exec_lo, s17
	s_and_saveexec_b32 s17, s22
	s_cbranch_execnz .LBB1655_630
.LBB1655_562:                           ;   in Loop: Header=BB1655_418 Depth=2
	s_or_b32 exec_lo, exec_lo, s17
	s_and_saveexec_b32 s17, s23
	s_cbranch_execnz .LBB1655_631
.LBB1655_563:                           ;   in Loop: Header=BB1655_418 Depth=2
	s_or_b32 exec_lo, exec_lo, s17
	s_and_saveexec_b32 s17, s24
	s_cbranch_execnz .LBB1655_632
.LBB1655_564:                           ;   in Loop: Header=BB1655_418 Depth=2
	s_or_b32 exec_lo, exec_lo, s17
	s_and_saveexec_b32 s17, s25
	s_cbranch_execnz .LBB1655_633
.LBB1655_565:                           ;   in Loop: Header=BB1655_418 Depth=2
	s_or_b32 exec_lo, exec_lo, s17
	s_and_saveexec_b32 s17, s26
	s_cbranch_execnz .LBB1655_634
.LBB1655_566:                           ;   in Loop: Header=BB1655_418 Depth=2
	s_or_b32 exec_lo, exec_lo, s17
	s_and_saveexec_b32 s17, s27
	s_cbranch_execnz .LBB1655_635
.LBB1655_567:                           ;   in Loop: Header=BB1655_418 Depth=2
	s_or_b32 exec_lo, exec_lo, s17
	s_and_saveexec_b32 s17, s28
	s_cbranch_execnz .LBB1655_636
.LBB1655_568:                           ;   in Loop: Header=BB1655_418 Depth=2
	s_or_b32 exec_lo, exec_lo, s17
	s_and_saveexec_b32 s17, s29
	s_cbranch_execnz .LBB1655_637
.LBB1655_569:                           ;   in Loop: Header=BB1655_418 Depth=2
	s_or_b32 exec_lo, exec_lo, s17
	s_and_saveexec_b32 s17, s30
	s_cbranch_execnz .LBB1655_638
.LBB1655_570:                           ;   in Loop: Header=BB1655_418 Depth=2
	s_or_b32 exec_lo, exec_lo, s17
	s_and_saveexec_b32 s17, s31
	s_cbranch_execnz .LBB1655_639
.LBB1655_571:                           ;   in Loop: Header=BB1655_418 Depth=2
	s_or_b32 exec_lo, exec_lo, s17
	s_and_saveexec_b32 s17, s33
	s_cbranch_execz .LBB1655_573
.LBB1655_572:                           ;   in Loop: Header=BB1655_418 Depth=2
	v_lshlrev_b32_e32 v62, 2, v115
	v_add_nc_u32_e32 v63, v2, v95
	ds_load_b32 v64, v62
	ds_load_b64 v[62:63], v63 offset:33280
	s_wait_dscnt 0x1
	v_add_nc_u32_e32 v64, v64, v82
	s_wait_dscnt 0x0
	global_store_b64 v64, v[62:63], s[46:47] scale_offset
.LBB1655_573:                           ;   in Loop: Header=BB1655_418 Depth=2
	s_wait_xcnt 0x0
	s_or_b32 exec_lo, exec_lo, s17
	s_wait_storecnt 0x0
	s_barrier_signal -1
	s_barrier_wait -1
	s_and_saveexec_b32 s17, s0
	s_cbranch_execz .LBB1655_417
; %bb.574:                              ;   in Loop: Header=BB1655_418 Depth=2
	ds_load_b32 v62, v66
	s_wait_dscnt 0x0
	v_add3_u32 v62, v132, v133, v62
	ds_store_b32 v66, v62
	s_branch .LBB1655_417
.LBB1655_575:                           ;   in Loop: Header=BB1655_418 Depth=2
	ds_load_u8 v62, v2 offset:512
	s_wait_dscnt 0x0
	v_and_b32_e32 v63, 1, v62
	s_delay_alu instid0(VALU_DEP_1) | instskip(NEXT) | instid1(VALU_DEP_1)
	v_lshrrev_b32_e32 v63, s43, v63
	v_and_b32_e32 v63, s48, v63
	s_delay_alu instid0(VALU_DEP_1)
	v_lshlrev_b32_e32 v63, 2, v63
	ds_load_b32 v63, v63
	s_wait_dscnt 0x0
	v_add_nc_u32_e32 v63, v63, v2
	global_store_b8 v63, v62, s[40:41]
	s_wait_xcnt 0x0
	s_or_b32 exec_lo, exec_lo, s17
	v_cmp_lt_u32_e64 s17, v67, v134
	s_and_saveexec_b32 s18, s17
	s_cbranch_execz .LBB1655_504
.LBB1655_576:                           ;   in Loop: Header=BB1655_418 Depth=2
	ds_load_u8 v62, v2 offset:768
	s_wait_dscnt 0x0
	v_and_b32_e32 v63, 1, v62
	s_delay_alu instid0(VALU_DEP_1) | instskip(NEXT) | instid1(VALU_DEP_1)
	v_lshrrev_b32_e32 v63, s43, v63
	v_and_b32_e32 v63, s48, v63
	s_delay_alu instid0(VALU_DEP_1)
	v_lshlrev_b32_e32 v63, 2, v63
	ds_load_b32 v63, v63
	s_wait_dscnt 0x0
	v_add_nc_u32_e32 v63, v63, v67
	global_store_b8 v63, v62, s[40:41]
	s_wait_xcnt 0x0
	s_or_b32 exec_lo, exec_lo, s18
	v_cmp_lt_u32_e64 s18, v68, v134
	s_and_saveexec_b32 s19, s18
	s_cbranch_execz .LBB1655_505
.LBB1655_577:                           ;   in Loop: Header=BB1655_418 Depth=2
	ds_load_u8 v62, v2 offset:1024
	s_wait_dscnt 0x0
	v_and_b32_e32 v63, 1, v62
	s_delay_alu instid0(VALU_DEP_1) | instskip(NEXT) | instid1(VALU_DEP_1)
	v_lshrrev_b32_e32 v63, s43, v63
	v_and_b32_e32 v63, s48, v63
	s_delay_alu instid0(VALU_DEP_1)
	v_lshlrev_b32_e32 v63, 2, v63
	ds_load_b32 v63, v63
	s_wait_dscnt 0x0
	v_add_nc_u32_e32 v63, v63, v68
	global_store_b8 v63, v62, s[40:41]
	s_wait_xcnt 0x0
	s_or_b32 exec_lo, exec_lo, s19
	v_cmp_lt_u32_e64 s19, v69, v134
	s_and_saveexec_b32 s20, s19
	s_cbranch_execz .LBB1655_506
.LBB1655_578:                           ;   in Loop: Header=BB1655_418 Depth=2
	ds_load_u8 v62, v2 offset:1280
	s_wait_dscnt 0x0
	v_and_b32_e32 v63, 1, v62
	s_delay_alu instid0(VALU_DEP_1) | instskip(NEXT) | instid1(VALU_DEP_1)
	v_lshrrev_b32_e32 v63, s43, v63
	v_and_b32_e32 v63, s48, v63
	s_delay_alu instid0(VALU_DEP_1)
	v_lshlrev_b32_e32 v63, 2, v63
	ds_load_b32 v63, v63
	s_wait_dscnt 0x0
	v_add_nc_u32_e32 v63, v63, v69
	global_store_b8 v63, v62, s[40:41]
	s_wait_xcnt 0x0
	s_or_b32 exec_lo, exec_lo, s20
	v_cmp_lt_u32_e64 s20, v70, v134
	s_and_saveexec_b32 s21, s20
	s_cbranch_execz .LBB1655_507
.LBB1655_579:                           ;   in Loop: Header=BB1655_418 Depth=2
	ds_load_u8 v62, v2 offset:1536
	s_wait_dscnt 0x0
	v_and_b32_e32 v63, 1, v62
	s_delay_alu instid0(VALU_DEP_1) | instskip(NEXT) | instid1(VALU_DEP_1)
	v_lshrrev_b32_e32 v63, s43, v63
	v_and_b32_e32 v63, s48, v63
	s_delay_alu instid0(VALU_DEP_1)
	v_lshlrev_b32_e32 v63, 2, v63
	ds_load_b32 v63, v63
	s_wait_dscnt 0x0
	v_add_nc_u32_e32 v63, v63, v70
	global_store_b8 v63, v62, s[40:41]
	s_wait_xcnt 0x0
	s_or_b32 exec_lo, exec_lo, s21
	v_cmp_lt_u32_e64 s21, v71, v134
	s_and_saveexec_b32 s22, s21
	s_cbranch_execz .LBB1655_508
.LBB1655_580:                           ;   in Loop: Header=BB1655_418 Depth=2
	ds_load_u8 v62, v2 offset:1792
	s_wait_dscnt 0x0
	v_and_b32_e32 v63, 1, v62
	s_delay_alu instid0(VALU_DEP_1) | instskip(NEXT) | instid1(VALU_DEP_1)
	v_lshrrev_b32_e32 v63, s43, v63
	v_and_b32_e32 v63, s48, v63
	s_delay_alu instid0(VALU_DEP_1)
	v_lshlrev_b32_e32 v63, 2, v63
	ds_load_b32 v63, v63
	s_wait_dscnt 0x0
	v_add_nc_u32_e32 v63, v63, v71
	global_store_b8 v63, v62, s[40:41]
	s_wait_xcnt 0x0
	s_or_b32 exec_lo, exec_lo, s22
	v_cmp_lt_u32_e64 s22, v72, v134
	s_and_saveexec_b32 s23, s22
	s_cbranch_execz .LBB1655_509
.LBB1655_581:                           ;   in Loop: Header=BB1655_418 Depth=2
	ds_load_u8 v62, v2 offset:2048
	s_wait_dscnt 0x0
	v_and_b32_e32 v63, 1, v62
	s_delay_alu instid0(VALU_DEP_1) | instskip(NEXT) | instid1(VALU_DEP_1)
	v_lshrrev_b32_e32 v63, s43, v63
	v_and_b32_e32 v63, s48, v63
	s_delay_alu instid0(VALU_DEP_1)
	v_lshlrev_b32_e32 v63, 2, v63
	ds_load_b32 v63, v63
	s_wait_dscnt 0x0
	v_add_nc_u32_e32 v63, v63, v72
	global_store_b8 v63, v62, s[40:41]
	s_wait_xcnt 0x0
	s_or_b32 exec_lo, exec_lo, s23
	v_cmp_lt_u32_e64 s23, v73, v134
	s_and_saveexec_b32 s24, s23
	s_cbranch_execz .LBB1655_510
.LBB1655_582:                           ;   in Loop: Header=BB1655_418 Depth=2
	ds_load_u8 v62, v2 offset:2304
	s_wait_dscnt 0x0
	v_and_b32_e32 v63, 1, v62
	s_delay_alu instid0(VALU_DEP_1) | instskip(NEXT) | instid1(VALU_DEP_1)
	v_lshrrev_b32_e32 v63, s43, v63
	v_and_b32_e32 v63, s48, v63
	s_delay_alu instid0(VALU_DEP_1)
	v_lshlrev_b32_e32 v63, 2, v63
	ds_load_b32 v63, v63
	s_wait_dscnt 0x0
	v_add_nc_u32_e32 v63, v63, v73
	global_store_b8 v63, v62, s[40:41]
	s_wait_xcnt 0x0
	s_or_b32 exec_lo, exec_lo, s24
	v_cmp_lt_u32_e64 s24, v74, v134
	s_and_saveexec_b32 s25, s24
	s_cbranch_execz .LBB1655_511
.LBB1655_583:                           ;   in Loop: Header=BB1655_418 Depth=2
	ds_load_u8 v62, v2 offset:2560
	s_wait_dscnt 0x0
	v_and_b32_e32 v63, 1, v62
	s_delay_alu instid0(VALU_DEP_1) | instskip(NEXT) | instid1(VALU_DEP_1)
	v_lshrrev_b32_e32 v63, s43, v63
	v_and_b32_e32 v63, s48, v63
	s_delay_alu instid0(VALU_DEP_1)
	v_lshlrev_b32_e32 v63, 2, v63
	ds_load_b32 v63, v63
	s_wait_dscnt 0x0
	v_add_nc_u32_e32 v63, v63, v74
	global_store_b8 v63, v62, s[40:41]
	s_wait_xcnt 0x0
	s_or_b32 exec_lo, exec_lo, s25
	v_cmp_lt_u32_e64 s25, v75, v134
	s_and_saveexec_b32 s26, s25
	s_cbranch_execz .LBB1655_512
.LBB1655_584:                           ;   in Loop: Header=BB1655_418 Depth=2
	ds_load_u8 v62, v2 offset:2816
	s_wait_dscnt 0x0
	v_and_b32_e32 v63, 1, v62
	s_delay_alu instid0(VALU_DEP_1) | instskip(NEXT) | instid1(VALU_DEP_1)
	v_lshrrev_b32_e32 v63, s43, v63
	v_and_b32_e32 v63, s48, v63
	s_delay_alu instid0(VALU_DEP_1)
	v_lshlrev_b32_e32 v63, 2, v63
	ds_load_b32 v63, v63
	s_wait_dscnt 0x0
	v_add_nc_u32_e32 v63, v63, v75
	global_store_b8 v63, v62, s[40:41]
	s_wait_xcnt 0x0
	s_or_b32 exec_lo, exec_lo, s26
	v_cmp_lt_u32_e64 s26, v76, v134
	s_and_saveexec_b32 s27, s26
	s_cbranch_execz .LBB1655_513
.LBB1655_585:                           ;   in Loop: Header=BB1655_418 Depth=2
	ds_load_u8 v62, v2 offset:3072
	s_wait_dscnt 0x0
	v_and_b32_e32 v63, 1, v62
	s_delay_alu instid0(VALU_DEP_1) | instskip(NEXT) | instid1(VALU_DEP_1)
	v_lshrrev_b32_e32 v63, s43, v63
	v_and_b32_e32 v63, s48, v63
	s_delay_alu instid0(VALU_DEP_1)
	v_lshlrev_b32_e32 v63, 2, v63
	ds_load_b32 v63, v63
	s_wait_dscnt 0x0
	v_add_nc_u32_e32 v63, v63, v76
	global_store_b8 v63, v62, s[40:41]
	s_wait_xcnt 0x0
	s_or_b32 exec_lo, exec_lo, s27
	v_cmp_lt_u32_e64 s27, v77, v134
	s_and_saveexec_b32 s28, s27
	s_cbranch_execz .LBB1655_514
.LBB1655_586:                           ;   in Loop: Header=BB1655_418 Depth=2
	ds_load_u8 v62, v2 offset:3328
	s_wait_dscnt 0x0
	v_and_b32_e32 v63, 1, v62
	s_delay_alu instid0(VALU_DEP_1) | instskip(NEXT) | instid1(VALU_DEP_1)
	v_lshrrev_b32_e32 v63, s43, v63
	v_and_b32_e32 v63, s48, v63
	s_delay_alu instid0(VALU_DEP_1)
	v_lshlrev_b32_e32 v63, 2, v63
	ds_load_b32 v63, v63
	s_wait_dscnt 0x0
	v_add_nc_u32_e32 v63, v63, v77
	global_store_b8 v63, v62, s[40:41]
	s_wait_xcnt 0x0
	s_or_b32 exec_lo, exec_lo, s28
	v_cmp_lt_u32_e64 s28, v78, v134
	s_and_saveexec_b32 s29, s28
	s_cbranch_execz .LBB1655_515
.LBB1655_587:                           ;   in Loop: Header=BB1655_418 Depth=2
	ds_load_u8 v62, v2 offset:3584
	s_wait_dscnt 0x0
	v_and_b32_e32 v63, 1, v62
	s_delay_alu instid0(VALU_DEP_1) | instskip(NEXT) | instid1(VALU_DEP_1)
	v_lshrrev_b32_e32 v63, s43, v63
	v_and_b32_e32 v63, s48, v63
	s_delay_alu instid0(VALU_DEP_1)
	v_lshlrev_b32_e32 v63, 2, v63
	ds_load_b32 v63, v63
	s_wait_dscnt 0x0
	v_add_nc_u32_e32 v63, v63, v78
	global_store_b8 v63, v62, s[40:41]
	s_wait_xcnt 0x0
	s_or_b32 exec_lo, exec_lo, s29
	v_cmp_lt_u32_e64 s29, v79, v134
	s_and_saveexec_b32 s30, s29
	s_cbranch_execz .LBB1655_516
.LBB1655_588:                           ;   in Loop: Header=BB1655_418 Depth=2
	ds_load_u8 v62, v2 offset:3840
	s_wait_dscnt 0x0
	v_and_b32_e32 v63, 1, v62
	s_delay_alu instid0(VALU_DEP_1) | instskip(NEXT) | instid1(VALU_DEP_1)
	v_lshrrev_b32_e32 v63, s43, v63
	v_and_b32_e32 v63, s48, v63
	s_delay_alu instid0(VALU_DEP_1)
	v_lshlrev_b32_e32 v63, 2, v63
	ds_load_b32 v63, v63
	s_wait_dscnt 0x0
	v_add_nc_u32_e32 v63, v63, v79
	global_store_b8 v63, v62, s[40:41]
	s_wait_xcnt 0x0
	s_or_b32 exec_lo, exec_lo, s30
	v_cmp_lt_u32_e64 s30, v80, v134
	s_and_saveexec_b32 s31, s30
	s_cbranch_execz .LBB1655_517
.LBB1655_589:                           ;   in Loop: Header=BB1655_418 Depth=2
	ds_load_u8 v62, v2 offset:4096
	s_wait_dscnt 0x0
	v_and_b32_e32 v63, 1, v62
	s_delay_alu instid0(VALU_DEP_1) | instskip(NEXT) | instid1(VALU_DEP_1)
	v_lshrrev_b32_e32 v63, s43, v63
	v_and_b32_e32 v63, s48, v63
	s_delay_alu instid0(VALU_DEP_1)
	v_lshlrev_b32_e32 v63, 2, v63
	ds_load_b32 v63, v63
	s_wait_dscnt 0x0
	v_add_nc_u32_e32 v63, v63, v80
	global_store_b8 v63, v62, s[40:41]
	s_wait_xcnt 0x0
	s_or_b32 exec_lo, exec_lo, s31
	v_cmp_lt_u32_e64 s31, v81, v134
	s_and_saveexec_b32 s33, s31
	s_cbranch_execz .LBB1655_518
.LBB1655_590:                           ;   in Loop: Header=BB1655_418 Depth=2
	ds_load_u8 v62, v2 offset:4352
	s_wait_dscnt 0x0
	v_and_b32_e32 v63, 1, v62
	s_delay_alu instid0(VALU_DEP_1) | instskip(NEXT) | instid1(VALU_DEP_1)
	v_lshrrev_b32_e32 v63, s43, v63
	v_and_b32_e32 v63, s48, v63
	s_delay_alu instid0(VALU_DEP_1)
	v_lshlrev_b32_e32 v63, 2, v63
	ds_load_b32 v63, v63
	s_wait_dscnt 0x0
	v_add_nc_u32_e32 v63, v63, v81
	global_store_b8 v63, v62, s[40:41]
	s_wait_xcnt 0x0
	s_or_b32 exec_lo, exec_lo, s33
	v_cmp_lt_u32_e64 s33, v82, v134
	s_and_saveexec_b32 s60, s33
	s_cbranch_execnz .LBB1655_519
	s_branch .LBB1655_520
.LBB1655_591:                           ;   in Loop: Header=BB1655_418 Depth=2
	global_load_b64 v[60:61], v[62:63], off
	s_wait_xcnt 0x0
	s_or_b32 exec_lo, exec_lo, s34
	s_delay_alu instid0(SALU_CYCLE_1)
	s_mov_b32 s60, exec_lo
	v_cmpx_lt_u32_e64 v98, v134
	s_cbranch_execz .LBB1655_522
.LBB1655_592:                           ;   in Loop: Header=BB1655_418 Depth=2
	global_load_b64 v[58:59], v[62:63], off offset:256
	s_wait_xcnt 0x0
	s_or_b32 exec_lo, exec_lo, s60
	s_delay_alu instid0(SALU_CYCLE_1)
	s_mov_b32 s60, exec_lo
	v_cmpx_lt_u32_e64 v99, v134
	s_cbranch_execz .LBB1655_523
.LBB1655_593:                           ;   in Loop: Header=BB1655_418 Depth=2
	global_load_b64 v[56:57], v[62:63], off offset:512
	s_wait_xcnt 0x0
	s_or_b32 exec_lo, exec_lo, s60
	s_delay_alu instid0(SALU_CYCLE_1)
	s_mov_b32 s60, exec_lo
	v_cmpx_lt_u32_e64 v100, v134
	s_cbranch_execz .LBB1655_524
.LBB1655_594:                           ;   in Loop: Header=BB1655_418 Depth=2
	global_load_b64 v[54:55], v[62:63], off offset:768
	s_wait_xcnt 0x0
	s_or_b32 exec_lo, exec_lo, s60
	s_delay_alu instid0(SALU_CYCLE_1)
	s_mov_b32 s60, exec_lo
	v_cmpx_lt_u32_e64 v101, v134
	s_cbranch_execz .LBB1655_525
.LBB1655_595:                           ;   in Loop: Header=BB1655_418 Depth=2
	global_load_b64 v[52:53], v[62:63], off offset:1024
	s_wait_xcnt 0x0
	s_or_b32 exec_lo, exec_lo, s60
	s_delay_alu instid0(SALU_CYCLE_1)
	s_mov_b32 s60, exec_lo
	v_cmpx_lt_u32_e64 v102, v134
	s_cbranch_execz .LBB1655_526
.LBB1655_596:                           ;   in Loop: Header=BB1655_418 Depth=2
	global_load_b64 v[50:51], v[62:63], off offset:1280
	s_wait_xcnt 0x0
	s_or_b32 exec_lo, exec_lo, s60
	s_delay_alu instid0(SALU_CYCLE_1)
	s_mov_b32 s60, exec_lo
	v_cmpx_lt_u32_e64 v103, v134
	s_cbranch_execz .LBB1655_527
.LBB1655_597:                           ;   in Loop: Header=BB1655_418 Depth=2
	global_load_b64 v[48:49], v[62:63], off offset:1536
	s_wait_xcnt 0x0
	s_or_b32 exec_lo, exec_lo, s60
	s_delay_alu instid0(SALU_CYCLE_1)
	s_mov_b32 s60, exec_lo
	v_cmpx_lt_u32_e64 v104, v134
	s_cbranch_execz .LBB1655_528
.LBB1655_598:                           ;   in Loop: Header=BB1655_418 Depth=2
	global_load_b64 v[46:47], v[62:63], off offset:1792
	s_wait_xcnt 0x0
	s_or_b32 exec_lo, exec_lo, s60
	s_delay_alu instid0(SALU_CYCLE_1)
	s_mov_b32 s60, exec_lo
	v_cmpx_lt_u32_e64 v105, v134
	s_cbranch_execz .LBB1655_529
.LBB1655_599:                           ;   in Loop: Header=BB1655_418 Depth=2
	global_load_b64 v[44:45], v[62:63], off offset:2048
	s_wait_xcnt 0x0
	s_or_b32 exec_lo, exec_lo, s60
	s_delay_alu instid0(SALU_CYCLE_1)
	s_mov_b32 s60, exec_lo
	v_cmpx_lt_u32_e64 v106, v134
	s_cbranch_execz .LBB1655_530
.LBB1655_600:                           ;   in Loop: Header=BB1655_418 Depth=2
	global_load_b64 v[42:43], v[62:63], off offset:2304
	s_wait_xcnt 0x0
	s_or_b32 exec_lo, exec_lo, s60
	s_delay_alu instid0(SALU_CYCLE_1)
	s_mov_b32 s60, exec_lo
	v_cmpx_lt_u32_e64 v107, v134
	s_cbranch_execz .LBB1655_531
.LBB1655_601:                           ;   in Loop: Header=BB1655_418 Depth=2
	global_load_b64 v[40:41], v[62:63], off offset:2560
	s_wait_xcnt 0x0
	s_or_b32 exec_lo, exec_lo, s60
	s_delay_alu instid0(SALU_CYCLE_1)
	s_mov_b32 s60, exec_lo
	v_cmpx_lt_u32_e64 v108, v134
	s_cbranch_execz .LBB1655_532
.LBB1655_602:                           ;   in Loop: Header=BB1655_418 Depth=2
	global_load_b64 v[38:39], v[62:63], off offset:2816
	s_wait_xcnt 0x0
	s_or_b32 exec_lo, exec_lo, s60
	s_delay_alu instid0(SALU_CYCLE_1)
	s_mov_b32 s60, exec_lo
	v_cmpx_lt_u32_e64 v109, v134
	s_cbranch_execz .LBB1655_533
.LBB1655_603:                           ;   in Loop: Header=BB1655_418 Depth=2
	global_load_b64 v[36:37], v[62:63], off offset:3072
	s_wait_xcnt 0x0
	s_or_b32 exec_lo, exec_lo, s60
	s_delay_alu instid0(SALU_CYCLE_1)
	s_mov_b32 s60, exec_lo
	v_cmpx_lt_u32_e64 v110, v134
	s_cbranch_execz .LBB1655_534
.LBB1655_604:                           ;   in Loop: Header=BB1655_418 Depth=2
	global_load_b64 v[34:35], v[62:63], off offset:3328
	s_wait_xcnt 0x0
	s_or_b32 exec_lo, exec_lo, s60
	s_delay_alu instid0(SALU_CYCLE_1)
	s_mov_b32 s60, exec_lo
	v_cmpx_lt_u32_e64 v111, v134
	s_cbranch_execz .LBB1655_535
.LBB1655_605:                           ;   in Loop: Header=BB1655_418 Depth=2
	global_load_b64 v[32:33], v[62:63], off offset:3584
	s_wait_xcnt 0x0
	s_or_b32 exec_lo, exec_lo, s60
	s_delay_alu instid0(SALU_CYCLE_1)
	s_mov_b32 s60, exec_lo
	v_cmpx_lt_u32_e64 v112, v134
	s_cbranch_execz .LBB1655_536
.LBB1655_606:                           ;   in Loop: Header=BB1655_418 Depth=2
	global_load_b64 v[30:31], v[62:63], off offset:3840
	s_wait_xcnt 0x0
	s_or_b32 exec_lo, exec_lo, s60
	s_delay_alu instid0(SALU_CYCLE_1)
	s_mov_b32 s60, exec_lo
	v_cmpx_lt_u32_e64 v113, v134
	s_cbranch_execz .LBB1655_537
.LBB1655_607:                           ;   in Loop: Header=BB1655_418 Depth=2
	global_load_b64 v[28:29], v[62:63], off offset:4096
	s_wait_xcnt 0x0
	s_or_b32 exec_lo, exec_lo, s60
	s_and_saveexec_b32 s34, vcc_lo
	s_cbranch_execz .LBB1655_538
.LBB1655_608:                           ;   in Loop: Header=BB1655_418 Depth=2
	ds_load_u8 v62, v2 offset:512
	s_wait_dscnt 0x0
	v_lshrrev_b32_e32 v62, s43, v62
	s_delay_alu instid0(VALU_DEP_1)
	v_and_b32_e32 v131, s48, v62
	s_or_b32 exec_lo, exec_lo, s34
	s_and_saveexec_b32 s34, s17
	s_cbranch_execz .LBB1655_539
.LBB1655_609:                           ;   in Loop: Header=BB1655_418 Depth=2
	ds_load_u8 v62, v2 offset:768
	s_wait_dscnt 0x0
	v_lshrrev_b32_e32 v62, s43, v62
	s_delay_alu instid0(VALU_DEP_1)
	v_and_b32_e32 v130, s48, v62
	s_or_b32 exec_lo, exec_lo, s34
	s_and_saveexec_b32 s34, s18
	s_cbranch_execz .LBB1655_540
.LBB1655_610:                           ;   in Loop: Header=BB1655_418 Depth=2
	ds_load_u8 v62, v2 offset:1024
	s_wait_dscnt 0x0
	v_lshrrev_b32_e32 v62, s43, v62
	s_delay_alu instid0(VALU_DEP_1)
	v_and_b32_e32 v129, s48, v62
	s_or_b32 exec_lo, exec_lo, s34
	s_and_saveexec_b32 s34, s19
	s_cbranch_execz .LBB1655_541
.LBB1655_611:                           ;   in Loop: Header=BB1655_418 Depth=2
	ds_load_u8 v62, v2 offset:1280
	s_wait_dscnt 0x0
	v_lshrrev_b32_e32 v62, s43, v62
	s_delay_alu instid0(VALU_DEP_1)
	v_and_b32_e32 v128, s48, v62
	s_or_b32 exec_lo, exec_lo, s34
	s_and_saveexec_b32 s34, s20
	s_cbranch_execz .LBB1655_542
.LBB1655_612:                           ;   in Loop: Header=BB1655_418 Depth=2
	ds_load_u8 v62, v2 offset:1536
	s_wait_dscnt 0x0
	v_lshrrev_b32_e32 v62, s43, v62
	s_delay_alu instid0(VALU_DEP_1)
	v_and_b32_e32 v127, s48, v62
	s_or_b32 exec_lo, exec_lo, s34
	s_and_saveexec_b32 s34, s21
	s_cbranch_execz .LBB1655_543
.LBB1655_613:                           ;   in Loop: Header=BB1655_418 Depth=2
	ds_load_u8 v62, v2 offset:1792
	s_wait_dscnt 0x0
	v_lshrrev_b32_e32 v62, s43, v62
	s_delay_alu instid0(VALU_DEP_1)
	v_and_b32_e32 v126, s48, v62
	s_or_b32 exec_lo, exec_lo, s34
	s_and_saveexec_b32 s34, s22
	s_cbranch_execz .LBB1655_544
.LBB1655_614:                           ;   in Loop: Header=BB1655_418 Depth=2
	ds_load_u8 v62, v2 offset:2048
	s_wait_dscnt 0x0
	v_lshrrev_b32_e32 v62, s43, v62
	s_delay_alu instid0(VALU_DEP_1)
	v_and_b32_e32 v125, s48, v62
	s_or_b32 exec_lo, exec_lo, s34
	s_and_saveexec_b32 s34, s23
	s_cbranch_execz .LBB1655_545
.LBB1655_615:                           ;   in Loop: Header=BB1655_418 Depth=2
	ds_load_u8 v62, v2 offset:2304
	s_wait_dscnt 0x0
	v_lshrrev_b32_e32 v62, s43, v62
	s_delay_alu instid0(VALU_DEP_1)
	v_and_b32_e32 v124, s48, v62
	s_or_b32 exec_lo, exec_lo, s34
	s_and_saveexec_b32 s34, s24
	s_cbranch_execz .LBB1655_546
.LBB1655_616:                           ;   in Loop: Header=BB1655_418 Depth=2
	ds_load_u8 v62, v2 offset:2560
	s_wait_dscnt 0x0
	v_lshrrev_b32_e32 v62, s43, v62
	s_delay_alu instid0(VALU_DEP_1)
	v_and_b32_e32 v123, s48, v62
	s_or_b32 exec_lo, exec_lo, s34
	s_and_saveexec_b32 s34, s25
	s_cbranch_execz .LBB1655_547
.LBB1655_617:                           ;   in Loop: Header=BB1655_418 Depth=2
	ds_load_u8 v62, v2 offset:2816
	s_wait_dscnt 0x0
	v_lshrrev_b32_e32 v62, s43, v62
	s_delay_alu instid0(VALU_DEP_1)
	v_and_b32_e32 v122, s48, v62
	s_or_b32 exec_lo, exec_lo, s34
	s_and_saveexec_b32 s34, s26
	s_cbranch_execz .LBB1655_548
.LBB1655_618:                           ;   in Loop: Header=BB1655_418 Depth=2
	ds_load_u8 v62, v2 offset:3072
	s_wait_dscnt 0x0
	v_lshrrev_b32_e32 v62, s43, v62
	s_delay_alu instid0(VALU_DEP_1)
	v_and_b32_e32 v121, s48, v62
	s_or_b32 exec_lo, exec_lo, s34
	s_and_saveexec_b32 s34, s27
	s_cbranch_execz .LBB1655_549
.LBB1655_619:                           ;   in Loop: Header=BB1655_418 Depth=2
	ds_load_u8 v62, v2 offset:3328
	s_wait_dscnt 0x0
	v_lshrrev_b32_e32 v62, s43, v62
	s_delay_alu instid0(VALU_DEP_1)
	v_and_b32_e32 v120, s48, v62
	s_or_b32 exec_lo, exec_lo, s34
	s_and_saveexec_b32 s34, s28
	s_cbranch_execz .LBB1655_550
.LBB1655_620:                           ;   in Loop: Header=BB1655_418 Depth=2
	ds_load_u8 v62, v2 offset:3584
	s_wait_dscnt 0x0
	v_lshrrev_b32_e32 v62, s43, v62
	s_delay_alu instid0(VALU_DEP_1)
	v_and_b32_e32 v119, s48, v62
	s_or_b32 exec_lo, exec_lo, s34
	s_and_saveexec_b32 s34, s29
	s_cbranch_execz .LBB1655_551
.LBB1655_621:                           ;   in Loop: Header=BB1655_418 Depth=2
	ds_load_u8 v62, v2 offset:3840
	s_wait_dscnt 0x0
	v_lshrrev_b32_e32 v62, s43, v62
	s_delay_alu instid0(VALU_DEP_1)
	v_and_b32_e32 v118, s48, v62
	s_or_b32 exec_lo, exec_lo, s34
	s_and_saveexec_b32 s34, s30
	s_cbranch_execz .LBB1655_552
.LBB1655_622:                           ;   in Loop: Header=BB1655_418 Depth=2
	ds_load_u8 v62, v2 offset:4096
	s_wait_dscnt 0x0
	v_lshrrev_b32_e32 v62, s43, v62
	s_delay_alu instid0(VALU_DEP_1)
	v_and_b32_e32 v117, s48, v62
	s_or_b32 exec_lo, exec_lo, s34
	s_and_saveexec_b32 s34, s31
	s_cbranch_execz .LBB1655_553
.LBB1655_623:                           ;   in Loop: Header=BB1655_418 Depth=2
	ds_load_u8 v62, v2 offset:4352
	s_wait_dscnt 0x0
	v_lshrrev_b32_e32 v62, s43, v62
	s_delay_alu instid0(VALU_DEP_1)
	v_and_b32_e32 v116, s48, v62
	s_or_b32 exec_lo, exec_lo, s34
	s_and_saveexec_b32 s34, s33
	s_cbranch_execnz .LBB1655_554
	s_branch .LBB1655_555
.LBB1655_624:                           ;   in Loop: Header=BB1655_418 Depth=2
	v_lshlrev_b32_e32 v62, 2, v131
	v_add_nc_u32_e32 v63, v2, v95
	ds_load_b32 v64, v62
	ds_load_b64 v[62:63], v63 offset:512
	s_wait_dscnt 0x1
	v_add_nc_u32_e32 v64, v64, v2
	s_wait_dscnt 0x0
	global_store_b64 v64, v[62:63], s[46:47] scale_offset
	s_wait_xcnt 0x0
	s_or_b32 exec_lo, exec_lo, s34
	s_and_saveexec_b32 s34, s17
	s_cbranch_execz .LBB1655_557
.LBB1655_625:                           ;   in Loop: Header=BB1655_418 Depth=2
	v_dual_lshlrev_b32 v62, 2, v130 :: v_dual_add_nc_u32 v63, v2, v95
	ds_load_b32 v64, v62
	ds_load_b64 v[62:63], v63 offset:2560
	s_wait_dscnt 0x1
	v_add_nc_u32_e32 v64, v64, v67
	s_wait_dscnt 0x0
	global_store_b64 v64, v[62:63], s[46:47] scale_offset
	s_wait_xcnt 0x0
	s_or_b32 exec_lo, exec_lo, s34
	s_and_saveexec_b32 s17, s18
	s_cbranch_execz .LBB1655_558
.LBB1655_626:                           ;   in Loop: Header=BB1655_418 Depth=2
	v_dual_lshlrev_b32 v62, 2, v129 :: v_dual_add_nc_u32 v63, v2, v95
	ds_load_b32 v64, v62
	ds_load_b64 v[62:63], v63 offset:4608
	s_wait_dscnt 0x1
	v_add_nc_u32_e32 v64, v64, v68
	s_wait_dscnt 0x0
	global_store_b64 v64, v[62:63], s[46:47] scale_offset
	s_wait_xcnt 0x0
	s_or_b32 exec_lo, exec_lo, s17
	s_and_saveexec_b32 s17, s19
	s_cbranch_execz .LBB1655_559
.LBB1655_627:                           ;   in Loop: Header=BB1655_418 Depth=2
	v_dual_lshlrev_b32 v62, 2, v128 :: v_dual_add_nc_u32 v63, v2, v95
	ds_load_b32 v64, v62
	ds_load_b64 v[62:63], v63 offset:6656
	s_wait_dscnt 0x1
	v_add_nc_u32_e32 v64, v64, v69
	s_wait_dscnt 0x0
	global_store_b64 v64, v[62:63], s[46:47] scale_offset
	s_wait_xcnt 0x0
	s_or_b32 exec_lo, exec_lo, s17
	s_and_saveexec_b32 s17, s20
	s_cbranch_execz .LBB1655_560
.LBB1655_628:                           ;   in Loop: Header=BB1655_418 Depth=2
	v_lshlrev_b32_e32 v62, 2, v127
	v_add_nc_u32_e32 v63, v2, v95
	ds_load_b32 v64, v62
	ds_load_b64 v[62:63], v63 offset:8704
	s_wait_dscnt 0x1
	v_add_nc_u32_e32 v64, v64, v70
	s_wait_dscnt 0x0
	global_store_b64 v64, v[62:63], s[46:47] scale_offset
	s_wait_xcnt 0x0
	s_or_b32 exec_lo, exec_lo, s17
	s_and_saveexec_b32 s17, s21
	s_cbranch_execz .LBB1655_561
.LBB1655_629:                           ;   in Loop: Header=BB1655_418 Depth=2
	v_dual_lshlrev_b32 v62, 2, v126 :: v_dual_add_nc_u32 v63, v2, v95
	ds_load_b32 v64, v62
	ds_load_b64 v[62:63], v63 offset:10752
	s_wait_dscnt 0x1
	v_add_nc_u32_e32 v64, v64, v71
	s_wait_dscnt 0x0
	global_store_b64 v64, v[62:63], s[46:47] scale_offset
	s_wait_xcnt 0x0
	s_or_b32 exec_lo, exec_lo, s17
	s_and_saveexec_b32 s17, s22
	s_cbranch_execz .LBB1655_562
.LBB1655_630:                           ;   in Loop: Header=BB1655_418 Depth=2
	v_dual_lshlrev_b32 v62, 2, v125 :: v_dual_add_nc_u32 v63, v2, v95
	ds_load_b32 v64, v62
	ds_load_b64 v[62:63], v63 offset:12800
	s_wait_dscnt 0x1
	v_add_nc_u32_e32 v64, v64, v72
	s_wait_dscnt 0x0
	global_store_b64 v64, v[62:63], s[46:47] scale_offset
	s_wait_xcnt 0x0
	s_or_b32 exec_lo, exec_lo, s17
	s_and_saveexec_b32 s17, s23
	s_cbranch_execz .LBB1655_563
.LBB1655_631:                           ;   in Loop: Header=BB1655_418 Depth=2
	v_dual_lshlrev_b32 v62, 2, v124 :: v_dual_add_nc_u32 v63, v2, v95
	ds_load_b32 v64, v62
	ds_load_b64 v[62:63], v63 offset:14848
	s_wait_dscnt 0x1
	v_add_nc_u32_e32 v64, v64, v73
	s_wait_dscnt 0x0
	global_store_b64 v64, v[62:63], s[46:47] scale_offset
	s_wait_xcnt 0x0
	s_or_b32 exec_lo, exec_lo, s17
	s_and_saveexec_b32 s17, s24
	s_cbranch_execz .LBB1655_564
.LBB1655_632:                           ;   in Loop: Header=BB1655_418 Depth=2
	v_lshlrev_b32_e32 v62, 2, v123
	v_add_nc_u32_e32 v63, v2, v95
	ds_load_b32 v64, v62
	ds_load_b64 v[62:63], v63 offset:16896
	s_wait_dscnt 0x1
	v_add_nc_u32_e32 v64, v64, v74
	s_wait_dscnt 0x0
	global_store_b64 v64, v[62:63], s[46:47] scale_offset
	s_wait_xcnt 0x0
	s_or_b32 exec_lo, exec_lo, s17
	s_and_saveexec_b32 s17, s25
	s_cbranch_execz .LBB1655_565
.LBB1655_633:                           ;   in Loop: Header=BB1655_418 Depth=2
	v_dual_lshlrev_b32 v62, 2, v122 :: v_dual_add_nc_u32 v63, v2, v95
	ds_load_b32 v64, v62
	ds_load_b64 v[62:63], v63 offset:18944
	s_wait_dscnt 0x1
	v_add_nc_u32_e32 v64, v64, v75
	s_wait_dscnt 0x0
	global_store_b64 v64, v[62:63], s[46:47] scale_offset
	s_wait_xcnt 0x0
	s_or_b32 exec_lo, exec_lo, s17
	s_and_saveexec_b32 s17, s26
	s_cbranch_execz .LBB1655_566
.LBB1655_634:                           ;   in Loop: Header=BB1655_418 Depth=2
	v_dual_lshlrev_b32 v62, 2, v121 :: v_dual_add_nc_u32 v63, v2, v95
	ds_load_b32 v64, v62
	ds_load_b64 v[62:63], v63 offset:20992
	s_wait_dscnt 0x1
	v_add_nc_u32_e32 v64, v64, v76
	s_wait_dscnt 0x0
	global_store_b64 v64, v[62:63], s[46:47] scale_offset
	s_wait_xcnt 0x0
	s_or_b32 exec_lo, exec_lo, s17
	s_and_saveexec_b32 s17, s27
	s_cbranch_execz .LBB1655_567
.LBB1655_635:                           ;   in Loop: Header=BB1655_418 Depth=2
	v_dual_lshlrev_b32 v62, 2, v120 :: v_dual_add_nc_u32 v63, v2, v95
	ds_load_b32 v64, v62
	ds_load_b64 v[62:63], v63 offset:23040
	s_wait_dscnt 0x1
	v_add_nc_u32_e32 v64, v64, v77
	s_wait_dscnt 0x0
	global_store_b64 v64, v[62:63], s[46:47] scale_offset
	s_wait_xcnt 0x0
	s_or_b32 exec_lo, exec_lo, s17
	s_and_saveexec_b32 s17, s28
	s_cbranch_execz .LBB1655_568
.LBB1655_636:                           ;   in Loop: Header=BB1655_418 Depth=2
	v_lshlrev_b32_e32 v62, 2, v119
	v_add_nc_u32_e32 v63, v2, v95
	ds_load_b32 v64, v62
	ds_load_b64 v[62:63], v63 offset:25088
	s_wait_dscnt 0x1
	v_add_nc_u32_e32 v64, v64, v78
	s_wait_dscnt 0x0
	global_store_b64 v64, v[62:63], s[46:47] scale_offset
	s_wait_xcnt 0x0
	s_or_b32 exec_lo, exec_lo, s17
	s_and_saveexec_b32 s17, s29
	s_cbranch_execz .LBB1655_569
.LBB1655_637:                           ;   in Loop: Header=BB1655_418 Depth=2
	v_dual_lshlrev_b32 v62, 2, v118 :: v_dual_add_nc_u32 v63, v2, v95
	ds_load_b32 v64, v62
	ds_load_b64 v[62:63], v63 offset:27136
	s_wait_dscnt 0x1
	v_add_nc_u32_e32 v64, v64, v79
	s_wait_dscnt 0x0
	global_store_b64 v64, v[62:63], s[46:47] scale_offset
	s_wait_xcnt 0x0
	s_or_b32 exec_lo, exec_lo, s17
	s_and_saveexec_b32 s17, s30
	s_cbranch_execz .LBB1655_570
.LBB1655_638:                           ;   in Loop: Header=BB1655_418 Depth=2
	v_dual_lshlrev_b32 v62, 2, v117 :: v_dual_add_nc_u32 v63, v2, v95
	ds_load_b32 v64, v62
	ds_load_b64 v[62:63], v63 offset:29184
	s_wait_dscnt 0x1
	v_add_nc_u32_e32 v64, v64, v80
	s_wait_dscnt 0x0
	global_store_b64 v64, v[62:63], s[46:47] scale_offset
	s_wait_xcnt 0x0
	s_or_b32 exec_lo, exec_lo, s17
	s_and_saveexec_b32 s17, s31
	s_cbranch_execz .LBB1655_571
.LBB1655_639:                           ;   in Loop: Header=BB1655_418 Depth=2
	v_dual_lshlrev_b32 v62, 2, v116 :: v_dual_add_nc_u32 v63, v2, v95
	ds_load_b32 v64, v62
	ds_load_b64 v[62:63], v63 offset:31232
	s_wait_dscnt 0x1
	v_add_nc_u32_e32 v64, v64, v81
	s_wait_dscnt 0x0
	global_store_b64 v64, v[62:63], s[46:47] scale_offset
	s_wait_xcnt 0x0
	s_or_b32 exec_lo, exec_lo, s17
	s_and_saveexec_b32 s17, s33
	s_cbranch_execnz .LBB1655_572
	s_branch .LBB1655_573
.LBB1655_640:                           ;   in Loop: Header=BB1655_20 Depth=1
	s_wait_dscnt 0x0
	s_barrier_signal -1
	s_barrier_wait -1
.LBB1655_641:                           ;   in Loop: Header=BB1655_20 Depth=1
	s_mov_b32 s8, 0
.LBB1655_642:                           ;   in Loop: Header=BB1655_20 Depth=1
	s_delay_alu instid0(SALU_CYCLE_1)
	s_and_not1_b32 vcc_lo, exec_lo, s8
	s_cbranch_vccnz .LBB1655_19
; %bb.643:                              ;   in Loop: Header=BB1655_20 Depth=1
	s_and_b32 vcc_lo, exec_lo, s56
	s_mov_b32 s8, -1
	s_cbranch_vccz .LBB1655_953
; %bb.644:                              ;   in Loop: Header=BB1655_20 Depth=1
	v_dual_mov_b32 v39, 0 :: v_dual_mov_b32 v42, 0
	v_dual_mov_b32 v41, 0 :: v_dual_mov_b32 v40, 0
	;; [unrolled: 1-line block ×8, first 2 shown]
	v_mov_b32_e32 v26, 0
	s_mov_b32 s8, s57
	s_mov_b32 s34, s55
	s_barrier_signal -1
	s_barrier_wait -1
	s_branch .LBB1655_646
.LBB1655_645:                           ;   in Loop: Header=BB1655_646 Depth=2
	s_or_b32 exec_lo, exec_lo, s10
	s_addk_co_i32 s8, 0xef00
	s_cmp_ge_u32 s9, s54
	s_mov_b32 s34, s9
	s_cbranch_scc1 .LBB1655_718
.LBB1655_646:                           ;   Parent Loop BB1655_20 Depth=1
                                        ; =>  This Inner Loop Header: Depth=2
	s_add_co_i32 s9, s34, 0x1100
	s_mov_b32 s10, -1
	s_cmp_gt_u32 s9, s54
                                        ; implicit-def: $vgpr24
                                        ; implicit-def: $vgpr25
                                        ; implicit-def: $vgpr43
                                        ; implicit-def: $vgpr44
                                        ; implicit-def: $vgpr45
                                        ; implicit-def: $vgpr46
                                        ; implicit-def: $vgpr47
                                        ; implicit-def: $vgpr48
                                        ; implicit-def: $vgpr49
                                        ; implicit-def: $vgpr50
                                        ; implicit-def: $vgpr51
                                        ; implicit-def: $vgpr52
                                        ; implicit-def: $vgpr53
                                        ; implicit-def: $vgpr54
                                        ; implicit-def: $vgpr55
                                        ; implicit-def: $vgpr56
                                        ; implicit-def: $vgpr57
	s_cbranch_scc1 .LBB1655_648
; %bb.647:                              ;   in Loop: Header=BB1655_646 Depth=2
	v_add_nc_u64_e32 v[58:59], s[34:35], v[18:19]
	s_mov_b32 s10, 0
	s_clause 0x10
	global_load_u8 v57, v[58:59], off offset:4096
	global_load_u8 v56, v[58:59], off offset:3840
	;; [unrolled: 1-line block ×16, first 2 shown]
	global_load_u8 v24, v[58:59], off
.LBB1655_648:                           ;   in Loop: Header=BB1655_646 Depth=2
	s_and_not1_b32 vcc_lo, exec_lo, s10
	s_movk_i32 s10, 0x1100
	s_cbranch_vccnz .LBB1655_668
; %bb.649:                              ;   in Loop: Header=BB1655_646 Depth=2
	s_add_nc_u64 s[10:11], s[36:37], s[34:35]
	s_wait_loadcnt 0x0
	v_add_nc_u64_e32 v[24:25], s[10:11], v[2:3]
	s_mov_b32 s10, exec_lo
	s_wait_xcnt 0x0
	v_cmpx_gt_u32_e64 s8, v2
	s_cbranch_execnz .LBB1655_702
; %bb.650:                              ;   in Loop: Header=BB1655_646 Depth=2
	s_or_b32 exec_lo, exec_lo, s10
	s_delay_alu instid0(SALU_CYCLE_1)
	s_mov_b32 s10, exec_lo
	v_cmpx_gt_u32_e64 s8, v67
	s_cbranch_execnz .LBB1655_703
.LBB1655_651:                           ;   in Loop: Header=BB1655_646 Depth=2
	s_or_b32 exec_lo, exec_lo, s10
	s_delay_alu instid0(SALU_CYCLE_1)
	s_mov_b32 s10, exec_lo
	v_cmpx_gt_u32_e64 s8, v68
	s_cbranch_execnz .LBB1655_704
.LBB1655_652:                           ;   in Loop: Header=BB1655_646 Depth=2
	s_or_b32 exec_lo, exec_lo, s10
	s_delay_alu instid0(SALU_CYCLE_1)
	s_mov_b32 s10, exec_lo
	v_cmpx_gt_u32_e64 s8, v69
	s_cbranch_execnz .LBB1655_705
.LBB1655_653:                           ;   in Loop: Header=BB1655_646 Depth=2
	s_or_b32 exec_lo, exec_lo, s10
	s_delay_alu instid0(SALU_CYCLE_1)
	s_mov_b32 s10, exec_lo
	v_cmpx_gt_u32_e64 s8, v70
	s_cbranch_execnz .LBB1655_706
.LBB1655_654:                           ;   in Loop: Header=BB1655_646 Depth=2
	s_or_b32 exec_lo, exec_lo, s10
	s_delay_alu instid0(SALU_CYCLE_1)
	s_mov_b32 s10, exec_lo
	v_cmpx_gt_u32_e64 s8, v71
	s_cbranch_execnz .LBB1655_707
.LBB1655_655:                           ;   in Loop: Header=BB1655_646 Depth=2
	s_or_b32 exec_lo, exec_lo, s10
	s_delay_alu instid0(SALU_CYCLE_1)
	s_mov_b32 s10, exec_lo
	v_cmpx_gt_u32_e64 s8, v72
	s_cbranch_execnz .LBB1655_708
.LBB1655_656:                           ;   in Loop: Header=BB1655_646 Depth=2
	s_or_b32 exec_lo, exec_lo, s10
	s_delay_alu instid0(SALU_CYCLE_1)
	s_mov_b32 s10, exec_lo
	v_cmpx_gt_u32_e64 s8, v73
	s_cbranch_execnz .LBB1655_709
.LBB1655_657:                           ;   in Loop: Header=BB1655_646 Depth=2
	s_or_b32 exec_lo, exec_lo, s10
	s_delay_alu instid0(SALU_CYCLE_1)
	s_mov_b32 s10, exec_lo
	v_cmpx_gt_u32_e64 s8, v74
	s_cbranch_execnz .LBB1655_710
.LBB1655_658:                           ;   in Loop: Header=BB1655_646 Depth=2
	s_or_b32 exec_lo, exec_lo, s10
	s_delay_alu instid0(SALU_CYCLE_1)
	s_mov_b32 s10, exec_lo
	v_cmpx_gt_u32_e64 s8, v75
	s_cbranch_execnz .LBB1655_711
.LBB1655_659:                           ;   in Loop: Header=BB1655_646 Depth=2
	s_or_b32 exec_lo, exec_lo, s10
	s_delay_alu instid0(SALU_CYCLE_1)
	s_mov_b32 s10, exec_lo
	v_cmpx_gt_u32_e64 s8, v76
	s_cbranch_execnz .LBB1655_712
.LBB1655_660:                           ;   in Loop: Header=BB1655_646 Depth=2
	s_or_b32 exec_lo, exec_lo, s10
	s_delay_alu instid0(SALU_CYCLE_1)
	s_mov_b32 s10, exec_lo
	v_cmpx_gt_u32_e64 s8, v77
	s_cbranch_execnz .LBB1655_713
.LBB1655_661:                           ;   in Loop: Header=BB1655_646 Depth=2
	s_or_b32 exec_lo, exec_lo, s10
	s_delay_alu instid0(SALU_CYCLE_1)
	s_mov_b32 s10, exec_lo
	v_cmpx_gt_u32_e64 s8, v78
	s_cbranch_execnz .LBB1655_714
.LBB1655_662:                           ;   in Loop: Header=BB1655_646 Depth=2
	s_or_b32 exec_lo, exec_lo, s10
	s_delay_alu instid0(SALU_CYCLE_1)
	s_mov_b32 s10, exec_lo
	v_cmpx_gt_u32_e64 s8, v79
	s_cbranch_execnz .LBB1655_715
.LBB1655_663:                           ;   in Loop: Header=BB1655_646 Depth=2
	s_or_b32 exec_lo, exec_lo, s10
	s_delay_alu instid0(SALU_CYCLE_1)
	s_mov_b32 s10, exec_lo
	v_cmpx_gt_u32_e64 s8, v80
	s_cbranch_execnz .LBB1655_716
.LBB1655_664:                           ;   in Loop: Header=BB1655_646 Depth=2
	s_or_b32 exec_lo, exec_lo, s10
	s_delay_alu instid0(SALU_CYCLE_1)
	s_mov_b32 s10, exec_lo
	v_cmpx_gt_u32_e64 s8, v81
	s_cbranch_execnz .LBB1655_717
.LBB1655_665:                           ;   in Loop: Header=BB1655_646 Depth=2
	s_or_b32 exec_lo, exec_lo, s10
	s_delay_alu instid0(SALU_CYCLE_1)
	s_mov_b32 s10, exec_lo
	v_cmpx_gt_u32_e64 s8, v82
	s_cbranch_execz .LBB1655_667
.LBB1655_666:                           ;   in Loop: Header=BB1655_646 Depth=2
	global_load_u8 v26, v[24:25], off offset:4096
.LBB1655_667:                           ;   in Loop: Header=BB1655_646 Depth=2
	s_wait_xcnt 0x0
	s_or_b32 exec_lo, exec_lo, s10
	s_wait_loadcnt 0x0
	v_dual_mov_b32 v24, v39 :: v_dual_mov_b32 v25, v42
	v_dual_mov_b32 v43, v41 :: v_dual_mov_b32 v44, v40
	;; [unrolled: 1-line block ×8, first 2 shown]
	v_mov_b32_e32 v57, v26
	s_mov_b32 s10, s8
.LBB1655_668:                           ;   in Loop: Header=BB1655_646 Depth=2
	s_wait_loadcnt 0xf
	s_delay_alu instid0(VALU_DEP_1)
	v_dual_mov_b32 v26, v57 :: v_dual_mov_b32 v27, v56
	s_wait_loadcnt 0xd
	v_dual_mov_b32 v28, v55 :: v_dual_mov_b32 v29, v54
	s_wait_loadcnt 0xb
	;; [unrolled: 2-line block ×8, first 2 shown]
	v_mov_b32_e32 v39, v24
	s_mov_b32 s11, exec_lo
	s_wait_xcnt 0x0
	v_cmpx_gt_u32_e64 s10, v2
	s_cbranch_execnz .LBB1655_685
; %bb.669:                              ;   in Loop: Header=BB1655_646 Depth=2
	s_or_b32 exec_lo, exec_lo, s11
	s_delay_alu instid0(SALU_CYCLE_1)
	s_mov_b32 s11, exec_lo
	v_cmpx_gt_u32_e64 s10, v67
	s_cbranch_execnz .LBB1655_686
.LBB1655_670:                           ;   in Loop: Header=BB1655_646 Depth=2
	s_or_b32 exec_lo, exec_lo, s11
	s_delay_alu instid0(SALU_CYCLE_1)
	s_mov_b32 s11, exec_lo
	v_cmpx_gt_u32_e64 s10, v68
	s_cbranch_execnz .LBB1655_687
.LBB1655_671:                           ;   in Loop: Header=BB1655_646 Depth=2
	s_or_b32 exec_lo, exec_lo, s11
	s_delay_alu instid0(SALU_CYCLE_1)
	s_mov_b32 s11, exec_lo
	v_cmpx_gt_u32_e64 s10, v69
	s_cbranch_execnz .LBB1655_688
.LBB1655_672:                           ;   in Loop: Header=BB1655_646 Depth=2
	s_or_b32 exec_lo, exec_lo, s11
	s_delay_alu instid0(SALU_CYCLE_1)
	s_mov_b32 s11, exec_lo
	v_cmpx_gt_u32_e64 s10, v70
	s_cbranch_execnz .LBB1655_689
.LBB1655_673:                           ;   in Loop: Header=BB1655_646 Depth=2
	s_or_b32 exec_lo, exec_lo, s11
	s_delay_alu instid0(SALU_CYCLE_1)
	s_mov_b32 s11, exec_lo
	v_cmpx_gt_u32_e64 s10, v71
	s_cbranch_execnz .LBB1655_690
.LBB1655_674:                           ;   in Loop: Header=BB1655_646 Depth=2
	s_or_b32 exec_lo, exec_lo, s11
	s_delay_alu instid0(SALU_CYCLE_1)
	s_mov_b32 s11, exec_lo
	v_cmpx_gt_u32_e64 s10, v72
	s_cbranch_execnz .LBB1655_691
.LBB1655_675:                           ;   in Loop: Header=BB1655_646 Depth=2
	s_or_b32 exec_lo, exec_lo, s11
	s_delay_alu instid0(SALU_CYCLE_1)
	s_mov_b32 s11, exec_lo
	v_cmpx_gt_u32_e64 s10, v73
	s_cbranch_execnz .LBB1655_692
.LBB1655_676:                           ;   in Loop: Header=BB1655_646 Depth=2
	s_or_b32 exec_lo, exec_lo, s11
	s_delay_alu instid0(SALU_CYCLE_1)
	s_mov_b32 s11, exec_lo
	v_cmpx_gt_u32_e64 s10, v74
	s_cbranch_execnz .LBB1655_693
.LBB1655_677:                           ;   in Loop: Header=BB1655_646 Depth=2
	s_or_b32 exec_lo, exec_lo, s11
	s_delay_alu instid0(SALU_CYCLE_1)
	s_mov_b32 s11, exec_lo
	v_cmpx_gt_u32_e64 s10, v75
	s_cbranch_execnz .LBB1655_694
.LBB1655_678:                           ;   in Loop: Header=BB1655_646 Depth=2
	s_or_b32 exec_lo, exec_lo, s11
	s_delay_alu instid0(SALU_CYCLE_1)
	s_mov_b32 s11, exec_lo
	v_cmpx_gt_u32_e64 s10, v76
	s_cbranch_execnz .LBB1655_695
.LBB1655_679:                           ;   in Loop: Header=BB1655_646 Depth=2
	s_or_b32 exec_lo, exec_lo, s11
	s_delay_alu instid0(SALU_CYCLE_1)
	s_mov_b32 s11, exec_lo
	v_cmpx_gt_u32_e64 s10, v77
	s_cbranch_execnz .LBB1655_696
.LBB1655_680:                           ;   in Loop: Header=BB1655_646 Depth=2
	s_or_b32 exec_lo, exec_lo, s11
	s_delay_alu instid0(SALU_CYCLE_1)
	s_mov_b32 s11, exec_lo
	v_cmpx_gt_u32_e64 s10, v78
	s_cbranch_execnz .LBB1655_697
.LBB1655_681:                           ;   in Loop: Header=BB1655_646 Depth=2
	s_or_b32 exec_lo, exec_lo, s11
	s_delay_alu instid0(SALU_CYCLE_1)
	s_mov_b32 s11, exec_lo
	v_cmpx_gt_u32_e64 s10, v79
	s_cbranch_execnz .LBB1655_698
.LBB1655_682:                           ;   in Loop: Header=BB1655_646 Depth=2
	s_or_b32 exec_lo, exec_lo, s11
	s_delay_alu instid0(SALU_CYCLE_1)
	s_mov_b32 s11, exec_lo
	v_cmpx_gt_u32_e64 s10, v80
	s_cbranch_execnz .LBB1655_699
.LBB1655_683:                           ;   in Loop: Header=BB1655_646 Depth=2
	s_or_b32 exec_lo, exec_lo, s11
	s_delay_alu instid0(SALU_CYCLE_1)
	s_mov_b32 s11, exec_lo
	v_cmpx_gt_u32_e64 s10, v81
	s_cbranch_execnz .LBB1655_700
.LBB1655_684:                           ;   in Loop: Header=BB1655_646 Depth=2
	s_or_b32 exec_lo, exec_lo, s11
	v_cmp_gt_u32_e32 vcc_lo, s10, v82
	s_and_saveexec_b32 s10, vcc_lo
	s_cbranch_execz .LBB1655_645
	s_branch .LBB1655_701
.LBB1655_685:                           ;   in Loop: Header=BB1655_646 Depth=2
	v_and_b32_e32 v24, 1, v39
	s_delay_alu instid0(VALU_DEP_1) | instskip(NEXT) | instid1(VALU_DEP_1)
	v_lshrrev_b32_e32 v24, s49, v24
	v_and_b32_e32 v24, s48, v24
	s_delay_alu instid0(VALU_DEP_1) | instskip(SKIP_2) | instid1(SALU_CYCLE_1)
	v_lshl_or_b32 v24, v24, 4, v84
	ds_add_u32 v24, v7
	s_or_b32 exec_lo, exec_lo, s11
	s_mov_b32 s11, exec_lo
	v_cmpx_gt_u32_e64 s10, v67
	s_cbranch_execz .LBB1655_670
.LBB1655_686:                           ;   in Loop: Header=BB1655_646 Depth=2
	v_and_b32_e32 v24, 1, v42
	s_delay_alu instid0(VALU_DEP_1) | instskip(NEXT) | instid1(VALU_DEP_1)
	v_lshrrev_b32_e32 v24, s49, v24
	v_and_b32_e32 v24, s48, v24
	s_delay_alu instid0(VALU_DEP_1) | instskip(SKIP_2) | instid1(SALU_CYCLE_1)
	v_lshl_or_b32 v24, v24, 4, v84
	ds_add_u32 v24, v7
	s_or_b32 exec_lo, exec_lo, s11
	s_mov_b32 s11, exec_lo
	v_cmpx_gt_u32_e64 s10, v68
	s_cbranch_execz .LBB1655_671
.LBB1655_687:                           ;   in Loop: Header=BB1655_646 Depth=2
	v_and_b32_e32 v24, 1, v41
	s_delay_alu instid0(VALU_DEP_1) | instskip(NEXT) | instid1(VALU_DEP_1)
	v_lshrrev_b32_e32 v24, s49, v24
	v_and_b32_e32 v24, s48, v24
	s_delay_alu instid0(VALU_DEP_1) | instskip(SKIP_2) | instid1(SALU_CYCLE_1)
	v_lshl_or_b32 v24, v24, 4, v84
	ds_add_u32 v24, v7
	s_or_b32 exec_lo, exec_lo, s11
	s_mov_b32 s11, exec_lo
	v_cmpx_gt_u32_e64 s10, v69
	s_cbranch_execz .LBB1655_672
.LBB1655_688:                           ;   in Loop: Header=BB1655_646 Depth=2
	v_and_b32_e32 v24, 1, v40
	s_delay_alu instid0(VALU_DEP_1) | instskip(NEXT) | instid1(VALU_DEP_1)
	v_lshrrev_b32_e32 v24, s49, v24
	v_and_b32_e32 v24, s48, v24
	s_delay_alu instid0(VALU_DEP_1) | instskip(SKIP_2) | instid1(SALU_CYCLE_1)
	v_lshl_or_b32 v24, v24, 4, v84
	ds_add_u32 v24, v7
	s_or_b32 exec_lo, exec_lo, s11
	s_mov_b32 s11, exec_lo
	v_cmpx_gt_u32_e64 s10, v70
	s_cbranch_execz .LBB1655_673
.LBB1655_689:                           ;   in Loop: Header=BB1655_646 Depth=2
	v_and_b32_e32 v24, 1, v38
	s_delay_alu instid0(VALU_DEP_1) | instskip(NEXT) | instid1(VALU_DEP_1)
	v_lshrrev_b32_e32 v24, s49, v24
	v_and_b32_e32 v24, s48, v24
	s_delay_alu instid0(VALU_DEP_1) | instskip(SKIP_2) | instid1(SALU_CYCLE_1)
	v_lshl_or_b32 v24, v24, 4, v84
	ds_add_u32 v24, v7
	s_or_b32 exec_lo, exec_lo, s11
	s_mov_b32 s11, exec_lo
	v_cmpx_gt_u32_e64 s10, v71
	s_cbranch_execz .LBB1655_674
.LBB1655_690:                           ;   in Loop: Header=BB1655_646 Depth=2
	v_and_b32_e32 v24, 1, v37
	s_delay_alu instid0(VALU_DEP_1) | instskip(NEXT) | instid1(VALU_DEP_1)
	v_lshrrev_b32_e32 v24, s49, v24
	v_and_b32_e32 v24, s48, v24
	s_delay_alu instid0(VALU_DEP_1) | instskip(SKIP_2) | instid1(SALU_CYCLE_1)
	v_lshl_or_b32 v24, v24, 4, v84
	ds_add_u32 v24, v7
	s_or_b32 exec_lo, exec_lo, s11
	s_mov_b32 s11, exec_lo
	v_cmpx_gt_u32_e64 s10, v72
	s_cbranch_execz .LBB1655_675
.LBB1655_691:                           ;   in Loop: Header=BB1655_646 Depth=2
	v_and_b32_e32 v24, 1, v36
	s_delay_alu instid0(VALU_DEP_1) | instskip(NEXT) | instid1(VALU_DEP_1)
	v_lshrrev_b32_e32 v24, s49, v24
	v_and_b32_e32 v24, s48, v24
	s_delay_alu instid0(VALU_DEP_1) | instskip(SKIP_2) | instid1(SALU_CYCLE_1)
	v_lshl_or_b32 v24, v24, 4, v84
	ds_add_u32 v24, v7
	s_or_b32 exec_lo, exec_lo, s11
	s_mov_b32 s11, exec_lo
	v_cmpx_gt_u32_e64 s10, v73
	s_cbranch_execz .LBB1655_676
.LBB1655_692:                           ;   in Loop: Header=BB1655_646 Depth=2
	v_and_b32_e32 v24, 1, v35
	s_delay_alu instid0(VALU_DEP_1) | instskip(NEXT) | instid1(VALU_DEP_1)
	v_lshrrev_b32_e32 v24, s49, v24
	v_and_b32_e32 v24, s48, v24
	s_delay_alu instid0(VALU_DEP_1) | instskip(SKIP_2) | instid1(SALU_CYCLE_1)
	v_lshl_or_b32 v24, v24, 4, v84
	ds_add_u32 v24, v7
	s_or_b32 exec_lo, exec_lo, s11
	s_mov_b32 s11, exec_lo
	v_cmpx_gt_u32_e64 s10, v74
	s_cbranch_execz .LBB1655_677
.LBB1655_693:                           ;   in Loop: Header=BB1655_646 Depth=2
	v_and_b32_e32 v24, 1, v34
	s_delay_alu instid0(VALU_DEP_1) | instskip(NEXT) | instid1(VALU_DEP_1)
	v_lshrrev_b32_e32 v24, s49, v24
	v_and_b32_e32 v24, s48, v24
	s_delay_alu instid0(VALU_DEP_1) | instskip(SKIP_2) | instid1(SALU_CYCLE_1)
	v_lshl_or_b32 v24, v24, 4, v84
	ds_add_u32 v24, v7
	s_or_b32 exec_lo, exec_lo, s11
	s_mov_b32 s11, exec_lo
	v_cmpx_gt_u32_e64 s10, v75
	s_cbranch_execz .LBB1655_678
.LBB1655_694:                           ;   in Loop: Header=BB1655_646 Depth=2
	v_and_b32_e32 v24, 1, v33
	s_delay_alu instid0(VALU_DEP_1) | instskip(NEXT) | instid1(VALU_DEP_1)
	v_lshrrev_b32_e32 v24, s49, v24
	v_and_b32_e32 v24, s48, v24
	s_delay_alu instid0(VALU_DEP_1) | instskip(SKIP_2) | instid1(SALU_CYCLE_1)
	v_lshl_or_b32 v24, v24, 4, v84
	ds_add_u32 v24, v7
	s_or_b32 exec_lo, exec_lo, s11
	s_mov_b32 s11, exec_lo
	v_cmpx_gt_u32_e64 s10, v76
	s_cbranch_execz .LBB1655_679
.LBB1655_695:                           ;   in Loop: Header=BB1655_646 Depth=2
	v_and_b32_e32 v24, 1, v32
	s_delay_alu instid0(VALU_DEP_1) | instskip(NEXT) | instid1(VALU_DEP_1)
	v_lshrrev_b32_e32 v24, s49, v24
	v_and_b32_e32 v24, s48, v24
	s_delay_alu instid0(VALU_DEP_1) | instskip(SKIP_2) | instid1(SALU_CYCLE_1)
	v_lshl_or_b32 v24, v24, 4, v84
	ds_add_u32 v24, v7
	s_or_b32 exec_lo, exec_lo, s11
	s_mov_b32 s11, exec_lo
	v_cmpx_gt_u32_e64 s10, v77
	s_cbranch_execz .LBB1655_680
.LBB1655_696:                           ;   in Loop: Header=BB1655_646 Depth=2
	v_and_b32_e32 v24, 1, v31
	s_delay_alu instid0(VALU_DEP_1) | instskip(NEXT) | instid1(VALU_DEP_1)
	v_lshrrev_b32_e32 v24, s49, v24
	v_and_b32_e32 v24, s48, v24
	s_delay_alu instid0(VALU_DEP_1) | instskip(SKIP_2) | instid1(SALU_CYCLE_1)
	v_lshl_or_b32 v24, v24, 4, v84
	ds_add_u32 v24, v7
	s_or_b32 exec_lo, exec_lo, s11
	s_mov_b32 s11, exec_lo
	v_cmpx_gt_u32_e64 s10, v78
	s_cbranch_execz .LBB1655_681
.LBB1655_697:                           ;   in Loop: Header=BB1655_646 Depth=2
	v_and_b32_e32 v24, 1, v30
	s_delay_alu instid0(VALU_DEP_1) | instskip(NEXT) | instid1(VALU_DEP_1)
	v_lshrrev_b32_e32 v24, s49, v24
	v_and_b32_e32 v24, s48, v24
	s_delay_alu instid0(VALU_DEP_1) | instskip(SKIP_2) | instid1(SALU_CYCLE_1)
	v_lshl_or_b32 v24, v24, 4, v84
	ds_add_u32 v24, v7
	s_or_b32 exec_lo, exec_lo, s11
	s_mov_b32 s11, exec_lo
	v_cmpx_gt_u32_e64 s10, v79
	s_cbranch_execz .LBB1655_682
.LBB1655_698:                           ;   in Loop: Header=BB1655_646 Depth=2
	v_and_b32_e32 v24, 1, v29
	s_delay_alu instid0(VALU_DEP_1) | instskip(NEXT) | instid1(VALU_DEP_1)
	v_lshrrev_b32_e32 v24, s49, v24
	v_and_b32_e32 v24, s48, v24
	s_delay_alu instid0(VALU_DEP_1) | instskip(SKIP_2) | instid1(SALU_CYCLE_1)
	v_lshl_or_b32 v24, v24, 4, v84
	ds_add_u32 v24, v7
	s_or_b32 exec_lo, exec_lo, s11
	s_mov_b32 s11, exec_lo
	v_cmpx_gt_u32_e64 s10, v80
	s_cbranch_execz .LBB1655_683
.LBB1655_699:                           ;   in Loop: Header=BB1655_646 Depth=2
	v_and_b32_e32 v24, 1, v28
	s_delay_alu instid0(VALU_DEP_1) | instskip(NEXT) | instid1(VALU_DEP_1)
	v_lshrrev_b32_e32 v24, s49, v24
	v_and_b32_e32 v24, s48, v24
	s_delay_alu instid0(VALU_DEP_1) | instskip(SKIP_2) | instid1(SALU_CYCLE_1)
	v_lshl_or_b32 v24, v24, 4, v84
	ds_add_u32 v24, v7
	s_or_b32 exec_lo, exec_lo, s11
	s_mov_b32 s11, exec_lo
	v_cmpx_gt_u32_e64 s10, v81
	s_cbranch_execz .LBB1655_684
.LBB1655_700:                           ;   in Loop: Header=BB1655_646 Depth=2
	v_and_b32_e32 v24, 1, v27
	s_delay_alu instid0(VALU_DEP_1) | instskip(NEXT) | instid1(VALU_DEP_1)
	v_lshrrev_b32_e32 v24, s49, v24
	v_and_b32_e32 v24, s48, v24
	s_delay_alu instid0(VALU_DEP_1)
	v_lshl_or_b32 v24, v24, 4, v84
	ds_add_u32 v24, v7
	s_or_b32 exec_lo, exec_lo, s11
	v_cmp_gt_u32_e32 vcc_lo, s10, v82
	s_and_saveexec_b32 s10, vcc_lo
	s_cbranch_execz .LBB1655_645
.LBB1655_701:                           ;   in Loop: Header=BB1655_646 Depth=2
	v_and_b32_e32 v24, 1, v26
	s_delay_alu instid0(VALU_DEP_1) | instskip(NEXT) | instid1(VALU_DEP_1)
	v_lshrrev_b32_e32 v24, s49, v24
	v_and_b32_e32 v24, s48, v24
	s_delay_alu instid0(VALU_DEP_1)
	v_lshl_or_b32 v24, v24, 4, v84
	ds_add_u32 v24, v7
	s_branch .LBB1655_645
.LBB1655_702:                           ;   in Loop: Header=BB1655_646 Depth=2
	global_load_u8 v39, v[24:25], off
	s_wait_xcnt 0x0
	s_or_b32 exec_lo, exec_lo, s10
	s_delay_alu instid0(SALU_CYCLE_1)
	s_mov_b32 s10, exec_lo
	v_cmpx_gt_u32_e64 s8, v67
	s_cbranch_execz .LBB1655_651
.LBB1655_703:                           ;   in Loop: Header=BB1655_646 Depth=2
	global_load_u8 v42, v[24:25], off offset:256
	s_wait_xcnt 0x0
	s_or_b32 exec_lo, exec_lo, s10
	s_delay_alu instid0(SALU_CYCLE_1)
	s_mov_b32 s10, exec_lo
	v_cmpx_gt_u32_e64 s8, v68
	s_cbranch_execz .LBB1655_652
.LBB1655_704:                           ;   in Loop: Header=BB1655_646 Depth=2
	global_load_u8 v41, v[24:25], off offset:512
	s_wait_xcnt 0x0
	s_or_b32 exec_lo, exec_lo, s10
	s_delay_alu instid0(SALU_CYCLE_1)
	s_mov_b32 s10, exec_lo
	v_cmpx_gt_u32_e64 s8, v69
	s_cbranch_execz .LBB1655_653
.LBB1655_705:                           ;   in Loop: Header=BB1655_646 Depth=2
	global_load_u8 v40, v[24:25], off offset:768
	s_wait_xcnt 0x0
	s_or_b32 exec_lo, exec_lo, s10
	s_delay_alu instid0(SALU_CYCLE_1)
	s_mov_b32 s10, exec_lo
	v_cmpx_gt_u32_e64 s8, v70
	s_cbranch_execz .LBB1655_654
.LBB1655_706:                           ;   in Loop: Header=BB1655_646 Depth=2
	global_load_u8 v38, v[24:25], off offset:1024
	s_wait_xcnt 0x0
	s_or_b32 exec_lo, exec_lo, s10
	s_delay_alu instid0(SALU_CYCLE_1)
	s_mov_b32 s10, exec_lo
	v_cmpx_gt_u32_e64 s8, v71
	s_cbranch_execz .LBB1655_655
.LBB1655_707:                           ;   in Loop: Header=BB1655_646 Depth=2
	global_load_u8 v37, v[24:25], off offset:1280
	s_wait_xcnt 0x0
	s_or_b32 exec_lo, exec_lo, s10
	s_delay_alu instid0(SALU_CYCLE_1)
	s_mov_b32 s10, exec_lo
	v_cmpx_gt_u32_e64 s8, v72
	s_cbranch_execz .LBB1655_656
.LBB1655_708:                           ;   in Loop: Header=BB1655_646 Depth=2
	global_load_u8 v36, v[24:25], off offset:1536
	s_wait_xcnt 0x0
	s_or_b32 exec_lo, exec_lo, s10
	s_delay_alu instid0(SALU_CYCLE_1)
	s_mov_b32 s10, exec_lo
	v_cmpx_gt_u32_e64 s8, v73
	s_cbranch_execz .LBB1655_657
.LBB1655_709:                           ;   in Loop: Header=BB1655_646 Depth=2
	global_load_u8 v35, v[24:25], off offset:1792
	s_wait_xcnt 0x0
	s_or_b32 exec_lo, exec_lo, s10
	s_delay_alu instid0(SALU_CYCLE_1)
	s_mov_b32 s10, exec_lo
	v_cmpx_gt_u32_e64 s8, v74
	s_cbranch_execz .LBB1655_658
.LBB1655_710:                           ;   in Loop: Header=BB1655_646 Depth=2
	global_load_u8 v34, v[24:25], off offset:2048
	s_wait_xcnt 0x0
	s_or_b32 exec_lo, exec_lo, s10
	s_delay_alu instid0(SALU_CYCLE_1)
	s_mov_b32 s10, exec_lo
	v_cmpx_gt_u32_e64 s8, v75
	s_cbranch_execz .LBB1655_659
.LBB1655_711:                           ;   in Loop: Header=BB1655_646 Depth=2
	global_load_u8 v33, v[24:25], off offset:2304
	s_wait_xcnt 0x0
	s_or_b32 exec_lo, exec_lo, s10
	s_delay_alu instid0(SALU_CYCLE_1)
	s_mov_b32 s10, exec_lo
	v_cmpx_gt_u32_e64 s8, v76
	s_cbranch_execz .LBB1655_660
.LBB1655_712:                           ;   in Loop: Header=BB1655_646 Depth=2
	global_load_u8 v32, v[24:25], off offset:2560
	s_wait_xcnt 0x0
	s_or_b32 exec_lo, exec_lo, s10
	s_delay_alu instid0(SALU_CYCLE_1)
	s_mov_b32 s10, exec_lo
	v_cmpx_gt_u32_e64 s8, v77
	s_cbranch_execz .LBB1655_661
.LBB1655_713:                           ;   in Loop: Header=BB1655_646 Depth=2
	global_load_u8 v31, v[24:25], off offset:2816
	s_wait_xcnt 0x0
	s_or_b32 exec_lo, exec_lo, s10
	s_delay_alu instid0(SALU_CYCLE_1)
	s_mov_b32 s10, exec_lo
	v_cmpx_gt_u32_e64 s8, v78
	s_cbranch_execz .LBB1655_662
.LBB1655_714:                           ;   in Loop: Header=BB1655_646 Depth=2
	global_load_u8 v30, v[24:25], off offset:3072
	s_wait_xcnt 0x0
	s_or_b32 exec_lo, exec_lo, s10
	s_delay_alu instid0(SALU_CYCLE_1)
	s_mov_b32 s10, exec_lo
	v_cmpx_gt_u32_e64 s8, v79
	s_cbranch_execz .LBB1655_663
.LBB1655_715:                           ;   in Loop: Header=BB1655_646 Depth=2
	global_load_u8 v29, v[24:25], off offset:3328
	s_wait_xcnt 0x0
	s_or_b32 exec_lo, exec_lo, s10
	s_delay_alu instid0(SALU_CYCLE_1)
	s_mov_b32 s10, exec_lo
	v_cmpx_gt_u32_e64 s8, v80
	s_cbranch_execz .LBB1655_664
.LBB1655_716:                           ;   in Loop: Header=BB1655_646 Depth=2
	global_load_u8 v28, v[24:25], off offset:3584
	s_wait_xcnt 0x0
	s_or_b32 exec_lo, exec_lo, s10
	s_delay_alu instid0(SALU_CYCLE_1)
	s_mov_b32 s10, exec_lo
	v_cmpx_gt_u32_e64 s8, v81
	s_cbranch_execz .LBB1655_665
.LBB1655_717:                           ;   in Loop: Header=BB1655_646 Depth=2
	global_load_u8 v27, v[24:25], off offset:3840
	s_wait_xcnt 0x0
	s_or_b32 exec_lo, exec_lo, s10
	s_delay_alu instid0(SALU_CYCLE_1)
	s_mov_b32 s10, exec_lo
	v_cmpx_gt_u32_e64 s8, v82
	s_cbranch_execnz .LBB1655_666
	s_branch .LBB1655_667
.LBB1655_718:                           ;   in Loop: Header=BB1655_20 Depth=1
	v_mov_b32_e32 v24, 0
	s_wait_dscnt 0x0
	s_barrier_signal -1
	s_barrier_wait -1
	s_and_saveexec_b32 s8, s0
	s_cbranch_execz .LBB1655_720
; %bb.719:                              ;   in Loop: Header=BB1655_20 Depth=1
	ds_load_2addr_b64 v[24:27], v85 offset1:1
	s_wait_dscnt 0x0
	v_add_nc_u32_e32 v24, v25, v24
	s_delay_alu instid0(VALU_DEP_1)
	v_add3_u32 v24, v24, v26, v27
.LBB1655_720:                           ;   in Loop: Header=BB1655_20 Depth=1
	s_or_b32 exec_lo, exec_lo, s8
	v_and_b32_e32 v25, 15, v0
	s_delay_alu instid0(VALU_DEP_2) | instskip(SKIP_1) | instid1(VALU_DEP_3)
	v_mov_b32_dpp v26, v24 row_shr:1 row_mask:0xf bank_mask:0xf
	v_and_b32_e32 v27, 16, v0
	v_cmp_eq_u32_e64 s8, 0, v25
	v_cmp_lt_u32_e64 s9, 1, v25
	s_delay_alu instid0(VALU_DEP_3) | instskip(NEXT) | instid1(VALU_DEP_3)
	v_cmp_eq_u32_e64 s12, 0, v27
	v_cndmask_b32_e64 v26, v26, 0, s8
	s_delay_alu instid0(VALU_DEP_1) | instskip(NEXT) | instid1(VALU_DEP_1)
	v_add_nc_u32_e32 v24, v26, v24
	v_mov_b32_dpp v26, v24 row_shr:2 row_mask:0xf bank_mask:0xf
	s_delay_alu instid0(VALU_DEP_1) | instskip(SKIP_2) | instid1(VALU_DEP_3)
	v_cndmask_b32_e64 v26, 0, v26, s9
	v_cmp_lt_u32_e64 s11, 7, v25
	v_cmp_lt_u32_e64 s10, 3, v25
	v_add_nc_u32_e32 v24, v24, v26
	s_delay_alu instid0(VALU_DEP_1) | instskip(NEXT) | instid1(VALU_DEP_1)
	v_mov_b32_dpp v26, v24 row_shr:4 row_mask:0xf bank_mask:0xf
	v_cndmask_b32_e64 v26, 0, v26, s10
	s_delay_alu instid0(VALU_DEP_1) | instskip(NEXT) | instid1(VALU_DEP_1)
	v_add_nc_u32_e32 v24, v24, v26
	v_mov_b32_dpp v26, v24 row_shr:8 row_mask:0xf bank_mask:0xf
	s_delay_alu instid0(VALU_DEP_1) | instskip(SKIP_1) | instid1(VALU_DEP_2)
	v_cndmask_b32_e64 v25, 0, v26, s11
	v_bfe_i32 v26, v0, 4, 1
	v_add_nc_u32_e32 v24, v24, v25
	ds_swizzle_b32 v25, v24 offset:swizzle(BROADCAST,32,15)
	s_wait_dscnt 0x0
	v_and_b32_e32 v25, v26, v25
	s_delay_alu instid0(VALU_DEP_1)
	v_add_nc_u32_e32 v24, v24, v25
	s_and_saveexec_b32 s13, s1
; %bb.721:                              ;   in Loop: Header=BB1655_20 Depth=1
	ds_store_b32 v86, v24
; %bb.722:                              ;   in Loop: Header=BB1655_20 Depth=1
	s_or_b32 exec_lo, exec_lo, s13
	s_wait_dscnt 0x0
	s_barrier_signal -1
	s_barrier_wait -1
	s_and_saveexec_b32 s13, s4
	s_cbranch_execz .LBB1655_724
; %bb.723:                              ;   in Loop: Header=BB1655_20 Depth=1
	ds_load_b32 v25, v87
	s_wait_dscnt 0x0
	v_mov_b32_dpp v27, v25 row_shr:1 row_mask:0xf bank_mask:0xf
	v_and_b32_e32 v26, 3, v0
	s_delay_alu instid0(VALU_DEP_1) | instskip(NEXT) | instid1(VALU_DEP_3)
	v_cmp_ne_u32_e32 vcc_lo, 0, v26
	v_cndmask_b32_e32 v27, 0, v27, vcc_lo
	v_cmp_lt_u32_e32 vcc_lo, 1, v26
	s_delay_alu instid0(VALU_DEP_2) | instskip(NEXT) | instid1(VALU_DEP_1)
	v_add_nc_u32_e32 v25, v27, v25
	v_mov_b32_dpp v27, v25 row_shr:2 row_mask:0xf bank_mask:0xf
	s_delay_alu instid0(VALU_DEP_1) | instskip(NEXT) | instid1(VALU_DEP_1)
	v_cndmask_b32_e32 v26, 0, v27, vcc_lo
	v_add_nc_u32_e32 v25, v25, v26
	ds_store_b32 v87, v25
.LBB1655_724:                           ;   in Loop: Header=BB1655_20 Depth=1
	s_or_b32 exec_lo, exec_lo, s13
	v_mov_b32_e32 v25, 0
	s_wait_dscnt 0x0
	s_barrier_signal -1
	s_barrier_wait -1
	s_and_saveexec_b32 s13, s5
; %bb.725:                              ;   in Loop: Header=BB1655_20 Depth=1
	ds_load_b32 v25, v88
; %bb.726:                              ;   in Loop: Header=BB1655_20 Depth=1
	s_or_b32 exec_lo, exec_lo, s13
	v_sub_co_u32 v26, s13, v0, 1
	s_wait_dscnt 0x0
	s_barrier_signal -1
	s_barrier_wait -1
	s_delay_alu instid0(VALU_DEP_1) | instskip(SKIP_1) | instid1(VALU_DEP_1)
	v_cmp_gt_i32_e32 vcc_lo, 0, v26
	v_cndmask_b32_e32 v26, v26, v0, vcc_lo
	v_dual_add_nc_u32 v24, v25, v24 :: v_dual_lshlrev_b32 v96, 2, v26
	ds_bpermute_b32 v24, v96, v24
	s_and_saveexec_b32 s14, s0
	s_cbranch_execz .LBB1655_728
; %bb.727:                              ;   in Loop: Header=BB1655_20 Depth=1
	s_wait_dscnt 0x0
	v_cndmask_b32_e64 v24, v24, v25, s13
	s_delay_alu instid0(VALU_DEP_1)
	v_add_nc_u32_e32 v24, s55, v24
	ds_store_b32 v66, v24
.LBB1655_728:                           ;   in Loop: Header=BB1655_20 Depth=1
	s_or_b32 exec_lo, exec_lo, s14
	s_load_b64 s[14:15], s[52:53], 0x0
	s_wait_dscnt 0x0
	v_dual_lshlrev_b32 v24, 3, v0 :: v_dual_bitop2_b32 v26, 7, v0 bitop3:0x40
	v_dual_mov_b32 v25, v1 :: v_dual_bitop2_b32 v97, v0, v6 bitop3:0x54
	s_mov_b32 s58, s57
                                        ; implicit-def: $vgpr30_vgpr31
                                        ; implicit-def: $vgpr32_vgpr33
                                        ; implicit-def: $vgpr34_vgpr35
                                        ; implicit-def: $vgpr36_vgpr37
                                        ; implicit-def: $vgpr38_vgpr39
                                        ; implicit-def: $vgpr40_vgpr41
                                        ; implicit-def: $vgpr42_vgpr43
                                        ; implicit-def: $vgpr44_vgpr45
                                        ; implicit-def: $vgpr46_vgpr47
                                        ; implicit-def: $vgpr48_vgpr49
                                        ; implicit-def: $vgpr50_vgpr51
                                        ; implicit-def: $vgpr52_vgpr53
                                        ; implicit-def: $vgpr54_vgpr55
                                        ; implicit-def: $vgpr56_vgpr57
                                        ; implicit-def: $vgpr58_vgpr59
                                        ; implicit-def: $vgpr60_vgpr61
                                        ; implicit-def: $vgpr115
                                        ; implicit-def: $vgpr116
                                        ; implicit-def: $vgpr117
                                        ; implicit-def: $vgpr118
                                        ; implicit-def: $vgpr119
                                        ; implicit-def: $vgpr120
                                        ; implicit-def: $vgpr121
                                        ; implicit-def: $vgpr122
                                        ; implicit-def: $vgpr123
                                        ; implicit-def: $vgpr124
                                        ; implicit-def: $vgpr125
                                        ; implicit-def: $vgpr126
                                        ; implicit-def: $vgpr127
                                        ; implicit-def: $vgpr128
                                        ; implicit-def: $vgpr129
                                        ; implicit-def: $vgpr130
                                        ; implicit-def: $vgpr131
                                        ; implicit-def: $vgpr132
                                        ; implicit-def: $vgpr133
	s_delay_alu instid0(VALU_DEP_1) | instskip(NEXT) | instid1(VALU_DEP_2)
	v_add_nc_u64_e32 v[24:25], v[20:21], v[24:25]
	v_dual_add_nc_u32 v98, 32, v97 :: v_dual_add_nc_u32 v99, 64, v97
	v_add_nc_u32_e32 v100, 0x60, v97
	v_add_nc_u32_e32 v101, 0x80, v97
	;; [unrolled: 1-line block ×9, first 2 shown]
	s_wait_kmcnt 0x0
	s_cmp_lt_u32 s51, s14
	v_add_nc_u32_e32 v109, 0x180, v97
	s_cselect_b32 s34, 12, 18
	s_cmp_lt_u32 s42, s15
	s_mov_b32 s15, s35
	s_cselect_b32 s14, 14, 20
	v_add_nc_u32_e32 v110, 0x1a0, v97
	s_add_nc_u64 s[14:15], s[52:53], s[14:15]
	v_add_nc_u32_e32 v111, 0x1c0, v97
	s_load_u16 s16, s[14:15], 0x0
	s_wait_xcnt 0x0
	s_add_nc_u64 s[14:15], s[52:53], s[34:35]
	v_add_nc_u32_e32 v112, 0x1e0, v97
	s_load_u16 s17, s[14:15], 0x0
	s_wait_xcnt 0x0
	v_cmp_eq_u32_e64 s14, 0, v26
	v_cmp_lt_u32_e64 s15, 1, v26
	v_add_nc_u32_e32 v113, 0x200, v97
	s_mov_b32 s34, s55
	s_wait_kmcnt 0x0
	v_mad_u32_u24 v27, v89, s16, v91
	v_cmp_lt_u32_e64 s16, 3, v26
	s_delay_alu instid0(VALU_DEP_2) | instskip(NEXT) | instid1(VALU_DEP_1)
	v_mad_u32 v26, v27, s17, v2
	v_lshrrev_b32_e32 v28, 3, v26
	v_add_nc_u64_e32 v[26:27], v[22:23], v[0:1]
	s_delay_alu instid0(VALU_DEP_2)
	v_and_b32_e32 v114, 0x1ffffffc, v28
                                        ; implicit-def: $vgpr28_vgpr29
	s_branch .LBB1655_730
.LBB1655_729:                           ;   in Loop: Header=BB1655_730 Depth=2
	s_or_b32 exec_lo, exec_lo, s17
	s_addk_co_i32 s58, 0xef00
	s_cmp_lt_u32 s59, s54
	s_mov_b32 s34, s59
	s_cbranch_scc0 .LBB1655_952
.LBB1655_730:                           ;   Parent Loop BB1655_20 Depth=1
                                        ; =>  This Inner Loop Header: Depth=2
	s_add_co_i32 s59, s34, 0x1100
	s_delay_alu instid0(SALU_CYCLE_1)
	s_cmp_gt_u32 s59, s54
	s_cbranch_scc1 .LBB1655_732
; %bb.731:                              ;   in Loop: Header=BB1655_730 Depth=2
	s_delay_alu instid0(VALU_DEP_2)
	v_add_nc_u64_e32 v[62:63], s[34:35], v[26:27]
	s_mov_b32 s17, -1
	s_clause 0xf
	global_load_u8 v135, v[62:63], off
	global_load_u8 v136, v[62:63], off offset:32
	global_load_u8 v137, v[62:63], off offset:64
	;; [unrolled: 1-line block ×15, first 2 shown]
	s_movk_i32 s18, 0x1100
	s_cbranch_execz .LBB1655_733
	s_branch .LBB1655_766
.LBB1655_732:                           ;   in Loop: Header=BB1655_730 Depth=2
	s_mov_b32 s17, 0
                                        ; implicit-def: $vgpr135
                                        ; implicit-def: $vgpr136
                                        ; implicit-def: $vgpr137
                                        ; implicit-def: $vgpr138
                                        ; implicit-def: $vgpr139
                                        ; implicit-def: $vgpr140
                                        ; implicit-def: $vgpr141
                                        ; implicit-def: $vgpr142
                                        ; implicit-def: $vgpr143
                                        ; implicit-def: $vgpr144
                                        ; implicit-def: $vgpr145
                                        ; implicit-def: $vgpr146
                                        ; implicit-def: $vgpr147
                                        ; implicit-def: $vgpr148
                                        ; implicit-def: $vgpr149
                                        ; implicit-def: $vgpr150
	s_movk_i32 s18, 0x1100
.LBB1655_733:                           ;   in Loop: Header=BB1655_730 Depth=2
	s_wait_xcnt 0x0
	v_add_nc_u64_e32 v[62:63], s[34:35], v[26:27]
	s_wait_loadcnt 0xe
	v_dual_mov_b32 v136, 1 :: v_dual_mov_b32 v135, 1
	s_mov_b32 s17, exec_lo
	v_cmpx_gt_u32_e64 s58, v97
	s_cbranch_execz .LBB1655_735
; %bb.734:                              ;   in Loop: Header=BB1655_730 Depth=2
	global_load_u8 v135, v[62:63], off
.LBB1655_735:                           ;   in Loop: Header=BB1655_730 Depth=2
	s_wait_xcnt 0x0
	s_or_b32 exec_lo, exec_lo, s17
	s_delay_alu instid0(SALU_CYCLE_1)
	s_mov_b32 s17, exec_lo
	v_cmpx_gt_u32_e64 s58, v98
	s_cbranch_execz .LBB1655_737
; %bb.736:                              ;   in Loop: Header=BB1655_730 Depth=2
	global_load_u8 v136, v[62:63], off offset:32
.LBB1655_737:                           ;   in Loop: Header=BB1655_730 Depth=2
	s_wait_xcnt 0x0
	s_or_b32 exec_lo, exec_lo, s17
	s_wait_loadcnt 0xc
	v_dual_mov_b32 v138, 1 :: v_dual_mov_b32 v137, 1
	s_mov_b32 s17, exec_lo
	v_cmpx_gt_u32_e64 s58, v99
	s_cbranch_execz .LBB1655_739
; %bb.738:                              ;   in Loop: Header=BB1655_730 Depth=2
	global_load_u8 v137, v[62:63], off offset:64
.LBB1655_739:                           ;   in Loop: Header=BB1655_730 Depth=2
	s_wait_xcnt 0x0
	s_or_b32 exec_lo, exec_lo, s17
	s_delay_alu instid0(SALU_CYCLE_1)
	s_mov_b32 s17, exec_lo
	v_cmpx_gt_u32_e64 s58, v100
	s_cbranch_execz .LBB1655_741
; %bb.740:                              ;   in Loop: Header=BB1655_730 Depth=2
	global_load_u8 v138, v[62:63], off offset:96
.LBB1655_741:                           ;   in Loop: Header=BB1655_730 Depth=2
	s_wait_xcnt 0x0
	s_or_b32 exec_lo, exec_lo, s17
	s_wait_loadcnt 0xa
	v_dual_mov_b32 v140, 1 :: v_dual_mov_b32 v139, 1
	s_mov_b32 s17, exec_lo
	v_cmpx_gt_u32_e64 s58, v101
	s_cbranch_execz .LBB1655_743
; %bb.742:                              ;   in Loop: Header=BB1655_730 Depth=2
	global_load_u8 v139, v[62:63], off offset:128
.LBB1655_743:                           ;   in Loop: Header=BB1655_730 Depth=2
	;; [unrolled: 19-line block ×7, first 2 shown]
	s_wait_xcnt 0x0
	s_or_b32 exec_lo, exec_lo, s17
	s_delay_alu instid0(SALU_CYCLE_1)
	s_mov_b32 s17, exec_lo
	v_cmpx_gt_u32_e64 s58, v112
	s_cbranch_execz .LBB1655_765
; %bb.764:                              ;   in Loop: Header=BB1655_730 Depth=2
	global_load_u8 v150, v[62:63], off offset:480
.LBB1655_765:                           ;   in Loop: Header=BB1655_730 Depth=2
	s_wait_xcnt 0x0
	s_or_b32 exec_lo, exec_lo, s17
	v_cmp_gt_u32_e64 s17, s58, v113
	s_sub_co_i32 s18, s54, s34
.LBB1655_766:                           ;   in Loop: Header=BB1655_730 Depth=2
	v_dual_mov_b32 v151, 1 :: v_dual_mov_b32 v134, s58
	s_wait_xcnt 0x0
	s_and_saveexec_b32 s19, s17
	s_cbranch_execz .LBB1655_768
; %bb.767:                              ;   in Loop: Header=BB1655_730 Depth=2
	v_add_nc_u64_e32 v[62:63], s[34:35], v[26:27]
	v_mov_b32_e32 v134, s18
	global_load_u8 v151, v[62:63], off offset:512
.LBB1655_768:                           ;   in Loop: Header=BB1655_730 Depth=2
	s_wait_xcnt 0x0
	s_or_b32 exec_lo, exec_lo, s19
	s_wait_loadcnt 0xf
	v_and_b32_e32 v62, 0xff, v135
	ds_store_2addr_b32 v90, v1, v1 offset0:136 offset1:137
	ds_store_2addr_b32 v90, v1, v1 offset0:138 offset1:139
	ds_store_b32 v90, v1 offset:560
	s_wait_loadcnt_dscnt 0x0
	s_barrier_signal -1
	s_barrier_wait -1
	v_lshrrev_b32_e32 v62, s49, v62
	; wave barrier
	s_delay_alu instid0(VALU_DEP_1) | instskip(NEXT) | instid1(VALU_DEP_1)
	v_and_b32_e32 v63, s48, v62
	v_add_co_u32 v62, s17, v63, -1
	s_delay_alu instid0(VALU_DEP_1) | instskip(SKIP_1) | instid1(VALU_DEP_2)
	v_cndmask_b32_e64 v64, 0, 1, s17
	v_mul_u32_u24_e32 v63, 36, v63
	v_cmp_ne_u32_e32 vcc_lo, 0, v64
	s_delay_alu instid0(VALU_DEP_2) | instskip(SKIP_1) | instid1(VALU_DEP_1)
	v_add_nc_u32_e32 v155, v114, v63
	v_bitop3_b32 v62, vcc_lo, exec_lo, v62 bitop3:0x48
	v_mbcnt_lo_u32_b32 v152, v62, 0
	v_cmp_ne_u32_e64 s17, 0, v62
	s_delay_alu instid0(VALU_DEP_2) | instskip(SKIP_1) | instid1(SALU_CYCLE_1)
	v_cmp_eq_u32_e32 vcc_lo, 0, v152
	s_and_b32 s18, s17, vcc_lo
	s_and_saveexec_b32 s17, s18
; %bb.769:                              ;   in Loop: Header=BB1655_730 Depth=2
	v_bcnt_u32_b32 v62, v62, 0
	ds_store_b32 v155, v62 offset:544
; %bb.770:                              ;   in Loop: Header=BB1655_730 Depth=2
	s_or_b32 exec_lo, exec_lo, s17
	v_and_b32_e32 v62, 0xff, v136
	; wave barrier
	s_delay_alu instid0(VALU_DEP_1) | instskip(NEXT) | instid1(VALU_DEP_1)
	v_lshrrev_b32_e32 v62, s49, v62
	v_and_b32_e32 v63, s48, v62
	s_delay_alu instid0(VALU_DEP_1) | instskip(NEXT) | instid1(VALU_DEP_1)
	v_add_co_u32 v62, s17, v63, -1
	v_cndmask_b32_e64 v64, 0, 1, s17
	v_mad_u32_u24 v65, v63, 36, v114
	v_mul_u32_u24_e32 v63, 36, v63
	s_delay_alu instid0(VALU_DEP_3) | instskip(SKIP_3) | instid1(VALU_DEP_1)
	v_cmp_ne_u32_e32 vcc_lo, 0, v64
	ds_load_b32 v153, v65 offset:544
	v_add_nc_u32_e32 v158, v114, v63
	; wave barrier
	v_bitop3_b32 v62, vcc_lo, exec_lo, v62 bitop3:0x48
	v_mbcnt_lo_u32_b32 v154, v62, 0
	v_cmp_ne_u32_e64 s17, 0, v62
	s_delay_alu instid0(VALU_DEP_2) | instskip(SKIP_1) | instid1(SALU_CYCLE_1)
	v_cmp_eq_u32_e32 vcc_lo, 0, v154
	s_and_b32 s18, s17, vcc_lo
	s_and_saveexec_b32 s17, s18
	s_cbranch_execz .LBB1655_772
; %bb.771:                              ;   in Loop: Header=BB1655_730 Depth=2
	s_wait_dscnt 0x0
	v_bcnt_u32_b32 v62, v62, v153
	ds_store_b32 v158, v62 offset:544
.LBB1655_772:                           ;   in Loop: Header=BB1655_730 Depth=2
	s_or_b32 exec_lo, exec_lo, s17
	v_and_b32_e32 v62, 0xff, v137
	; wave barrier
	s_delay_alu instid0(VALU_DEP_1) | instskip(NEXT) | instid1(VALU_DEP_1)
	v_lshrrev_b32_e32 v62, s49, v62
	v_and_b32_e32 v63, s48, v62
	s_delay_alu instid0(VALU_DEP_1) | instskip(NEXT) | instid1(VALU_DEP_1)
	v_add_co_u32 v62, s17, v63, -1
	v_cndmask_b32_e64 v64, 0, 1, s17
	v_mad_u32_u24 v65, v63, 36, v114
	v_mul_u32_u24_e32 v63, 36, v63
	s_delay_alu instid0(VALU_DEP_3) | instskip(SKIP_3) | instid1(VALU_DEP_1)
	v_cmp_ne_u32_e32 vcc_lo, 0, v64
	ds_load_b32 v156, v65 offset:544
	v_add_nc_u32_e32 v161, v114, v63
	; wave barrier
	v_bitop3_b32 v62, vcc_lo, exec_lo, v62 bitop3:0x48
	v_mbcnt_lo_u32_b32 v157, v62, 0
	v_cmp_ne_u32_e64 s17, 0, v62
	s_delay_alu instid0(VALU_DEP_2) | instskip(SKIP_1) | instid1(SALU_CYCLE_1)
	v_cmp_eq_u32_e32 vcc_lo, 0, v157
	s_and_b32 s18, s17, vcc_lo
	s_and_saveexec_b32 s17, s18
	s_cbranch_execz .LBB1655_774
; %bb.773:                              ;   in Loop: Header=BB1655_730 Depth=2
	s_wait_dscnt 0x0
	v_bcnt_u32_b32 v62, v62, v156
	ds_store_b32 v161, v62 offset:544
.LBB1655_774:                           ;   in Loop: Header=BB1655_730 Depth=2
	s_or_b32 exec_lo, exec_lo, s17
	v_and_b32_e32 v62, 0xff, v138
	; wave barrier
	s_delay_alu instid0(VALU_DEP_1) | instskip(NEXT) | instid1(VALU_DEP_1)
	v_lshrrev_b32_e32 v62, s49, v62
	v_and_b32_e32 v63, s48, v62
	s_delay_alu instid0(VALU_DEP_1) | instskip(NEXT) | instid1(VALU_DEP_1)
	v_add_co_u32 v62, s17, v63, -1
	v_cndmask_b32_e64 v64, 0, 1, s17
	v_mad_u32_u24 v65, v63, 36, v114
	v_mul_u32_u24_e32 v63, 36, v63
	s_delay_alu instid0(VALU_DEP_3) | instskip(SKIP_3) | instid1(VALU_DEP_1)
	v_cmp_ne_u32_e32 vcc_lo, 0, v64
	ds_load_b32 v159, v65 offset:544
	v_add_nc_u32_e32 v163, v114, v63
	; wave barrier
	v_bitop3_b32 v62, vcc_lo, exec_lo, v62 bitop3:0x48
	v_mbcnt_lo_u32_b32 v160, v62, 0
	v_cmp_ne_u32_e64 s17, 0, v62
	s_delay_alu instid0(VALU_DEP_2) | instskip(SKIP_1) | instid1(SALU_CYCLE_1)
	v_cmp_eq_u32_e32 vcc_lo, 0, v160
	s_and_b32 s18, s17, vcc_lo
	s_and_saveexec_b32 s17, s18
	s_cbranch_execz .LBB1655_776
; %bb.775:                              ;   in Loop: Header=BB1655_730 Depth=2
	s_wait_dscnt 0x0
	v_bcnt_u32_b32 v62, v62, v159
	ds_store_b32 v163, v62 offset:544
.LBB1655_776:                           ;   in Loop: Header=BB1655_730 Depth=2
	s_or_b32 exec_lo, exec_lo, s17
	v_and_b32_e32 v62, 0xff, v139
	; wave barrier
	s_delay_alu instid0(VALU_DEP_1) | instskip(NEXT) | instid1(VALU_DEP_1)
	v_lshrrev_b32_e32 v62, s49, v62
	v_and_b32_e32 v63, s48, v62
	s_delay_alu instid0(VALU_DEP_1) | instskip(NEXT) | instid1(VALU_DEP_1)
	v_add_co_u32 v62, s17, v63, -1
	v_cndmask_b32_e64 v64, 0, 1, s17
	v_mad_u32_u24 v65, v63, 36, v114
	v_mul_u32_u24_e32 v63, 36, v63
	s_delay_alu instid0(VALU_DEP_3) | instskip(SKIP_3) | instid1(VALU_DEP_1)
	v_cmp_ne_u32_e32 vcc_lo, 0, v64
	ds_load_b32 v162, v65 offset:544
	v_add_nc_u32_e32 v164, v114, v63
	; wave barrier
	v_bitop3_b32 v62, vcc_lo, exec_lo, v62 bitop3:0x48
	v_mbcnt_lo_u32_b32 v167, v62, 0
	v_cmp_ne_u32_e64 s17, 0, v62
	s_delay_alu instid0(VALU_DEP_2) | instskip(SKIP_1) | instid1(SALU_CYCLE_1)
	v_cmp_eq_u32_e32 vcc_lo, 0, v167
	s_and_b32 s18, s17, vcc_lo
	s_and_saveexec_b32 s17, s18
	s_cbranch_execz .LBB1655_778
; %bb.777:                              ;   in Loop: Header=BB1655_730 Depth=2
	s_wait_dscnt 0x0
	v_bcnt_u32_b32 v62, v62, v162
	ds_store_b32 v164, v62 offset:544
.LBB1655_778:                           ;   in Loop: Header=BB1655_730 Depth=2
	s_or_b32 exec_lo, exec_lo, s17
	v_and_b32_e32 v62, 0xff, v140
	; wave barrier
	s_delay_alu instid0(VALU_DEP_1) | instskip(NEXT) | instid1(VALU_DEP_1)
	v_lshrrev_b32_e32 v62, s49, v62
	v_and_b32_e32 v63, s48, v62
	s_delay_alu instid0(VALU_DEP_1) | instskip(NEXT) | instid1(VALU_DEP_1)
	v_add_co_u32 v62, s17, v63, -1
	v_cndmask_b32_e64 v64, 0, 1, s17
	v_mad_u32_u24 v65, v63, 36, v114
	v_mul_u32_u24_e32 v63, 36, v63
	s_delay_alu instid0(VALU_DEP_3) | instskip(SKIP_3) | instid1(VALU_DEP_1)
	v_cmp_ne_u32_e32 vcc_lo, 0, v64
	ds_load_b32 v168, v65 offset:544
	v_add_nc_u32_e32 v165, v114, v63
	; wave barrier
	v_bitop3_b32 v62, vcc_lo, exec_lo, v62 bitop3:0x48
	v_mbcnt_lo_u32_b32 v169, v62, 0
	v_cmp_ne_u32_e64 s17, 0, v62
	s_delay_alu instid0(VALU_DEP_2) | instskip(SKIP_1) | instid1(SALU_CYCLE_1)
	v_cmp_eq_u32_e32 vcc_lo, 0, v169
	s_and_b32 s18, s17, vcc_lo
	s_and_saveexec_b32 s17, s18
	s_cbranch_execz .LBB1655_780
; %bb.779:                              ;   in Loop: Header=BB1655_730 Depth=2
	s_wait_dscnt 0x0
	v_bcnt_u32_b32 v62, v62, v168
	ds_store_b32 v165, v62 offset:544
.LBB1655_780:                           ;   in Loop: Header=BB1655_730 Depth=2
	s_or_b32 exec_lo, exec_lo, s17
	v_and_b32_e32 v62, 0xff, v141
	; wave barrier
	s_delay_alu instid0(VALU_DEP_1) | instskip(NEXT) | instid1(VALU_DEP_1)
	v_lshrrev_b32_e32 v62, s49, v62
	v_and_b32_e32 v63, s48, v62
	s_delay_alu instid0(VALU_DEP_1) | instskip(NEXT) | instid1(VALU_DEP_1)
	v_add_co_u32 v62, s17, v63, -1
	v_cndmask_b32_e64 v64, 0, 1, s17
	v_mad_u32_u24 v65, v63, 36, v114
	v_mul_u32_u24_e32 v63, 36, v63
	s_delay_alu instid0(VALU_DEP_3) | instskip(SKIP_3) | instid1(VALU_DEP_1)
	v_cmp_ne_u32_e32 vcc_lo, 0, v64
	ds_load_b32 v170, v65 offset:544
	v_add_nc_u32_e32 v166, v114, v63
	; wave barrier
	v_bitop3_b32 v62, vcc_lo, exec_lo, v62 bitop3:0x48
	v_mbcnt_lo_u32_b32 v171, v62, 0
	v_cmp_ne_u32_e64 s17, 0, v62
	s_delay_alu instid0(VALU_DEP_2) | instskip(SKIP_1) | instid1(SALU_CYCLE_1)
	v_cmp_eq_u32_e32 vcc_lo, 0, v171
	s_and_b32 s18, s17, vcc_lo
	s_and_saveexec_b32 s17, s18
	s_cbranch_execz .LBB1655_782
; %bb.781:                              ;   in Loop: Header=BB1655_730 Depth=2
	s_wait_dscnt 0x0
	v_bcnt_u32_b32 v62, v62, v170
	ds_store_b32 v166, v62 offset:544
.LBB1655_782:                           ;   in Loop: Header=BB1655_730 Depth=2
	s_or_b32 exec_lo, exec_lo, s17
	v_and_b32_e32 v62, 0xff, v142
	; wave barrier
	s_delay_alu instid0(VALU_DEP_1) | instskip(NEXT) | instid1(VALU_DEP_1)
	v_lshrrev_b32_e32 v62, s49, v62
	v_and_b32_e32 v63, s48, v62
	s_delay_alu instid0(VALU_DEP_1) | instskip(NEXT) | instid1(VALU_DEP_1)
	v_add_co_u32 v62, s17, v63, -1
	v_cndmask_b32_e64 v64, 0, 1, s17
	v_mad_u32_u24 v65, v63, 36, v114
	v_mul_u32_u24_e32 v63, 36, v63
	s_delay_alu instid0(VALU_DEP_3) | instskip(SKIP_3) | instid1(VALU_DEP_1)
	v_cmp_ne_u32_e32 vcc_lo, 0, v64
	ds_load_b32 v172, v65 offset:544
	v_add_nc_u32_e32 v176, v114, v63
	; wave barrier
	v_bitop3_b32 v62, vcc_lo, exec_lo, v62 bitop3:0x48
	v_mbcnt_lo_u32_b32 v173, v62, 0
	v_cmp_ne_u32_e64 s17, 0, v62
	s_delay_alu instid0(VALU_DEP_2) | instskip(SKIP_1) | instid1(SALU_CYCLE_1)
	v_cmp_eq_u32_e32 vcc_lo, 0, v173
	s_and_b32 s18, s17, vcc_lo
	s_and_saveexec_b32 s17, s18
	s_cbranch_execz .LBB1655_784
; %bb.783:                              ;   in Loop: Header=BB1655_730 Depth=2
	s_wait_dscnt 0x0
	v_bcnt_u32_b32 v62, v62, v172
	ds_store_b32 v176, v62 offset:544
.LBB1655_784:                           ;   in Loop: Header=BB1655_730 Depth=2
	s_or_b32 exec_lo, exec_lo, s17
	v_and_b32_e32 v62, 0xff, v143
	; wave barrier
	s_delay_alu instid0(VALU_DEP_1) | instskip(NEXT) | instid1(VALU_DEP_1)
	v_lshrrev_b32_e32 v62, s49, v62
	v_and_b32_e32 v63, s48, v62
	s_delay_alu instid0(VALU_DEP_1) | instskip(NEXT) | instid1(VALU_DEP_1)
	v_add_co_u32 v62, s17, v63, -1
	v_cndmask_b32_e64 v64, 0, 1, s17
	v_mad_u32_u24 v65, v63, 36, v114
	v_mul_u32_u24_e32 v63, 36, v63
	s_delay_alu instid0(VALU_DEP_3) | instskip(SKIP_3) | instid1(VALU_DEP_1)
	v_cmp_ne_u32_e32 vcc_lo, 0, v64
	ds_load_b32 v174, v65 offset:544
	v_add_nc_u32_e32 v179, v114, v63
	; wave barrier
	v_bitop3_b32 v62, vcc_lo, exec_lo, v62 bitop3:0x48
	v_mbcnt_lo_u32_b32 v175, v62, 0
	v_cmp_ne_u32_e64 s17, 0, v62
	s_delay_alu instid0(VALU_DEP_2) | instskip(SKIP_1) | instid1(SALU_CYCLE_1)
	v_cmp_eq_u32_e32 vcc_lo, 0, v175
	s_and_b32 s18, s17, vcc_lo
	s_and_saveexec_b32 s17, s18
	s_cbranch_execz .LBB1655_786
; %bb.785:                              ;   in Loop: Header=BB1655_730 Depth=2
	s_wait_dscnt 0x0
	v_bcnt_u32_b32 v62, v62, v174
	ds_store_b32 v179, v62 offset:544
.LBB1655_786:                           ;   in Loop: Header=BB1655_730 Depth=2
	s_or_b32 exec_lo, exec_lo, s17
	v_and_b32_e32 v62, 0xff, v144
	; wave barrier
	s_delay_alu instid0(VALU_DEP_1) | instskip(NEXT) | instid1(VALU_DEP_1)
	v_lshrrev_b32_e32 v62, s49, v62
	v_and_b32_e32 v63, s48, v62
	s_delay_alu instid0(VALU_DEP_1) | instskip(NEXT) | instid1(VALU_DEP_1)
	v_add_co_u32 v62, s17, v63, -1
	v_cndmask_b32_e64 v64, 0, 1, s17
	v_mad_u32_u24 v65, v63, 36, v114
	v_mul_u32_u24_e32 v63, 36, v63
	s_delay_alu instid0(VALU_DEP_3) | instskip(SKIP_3) | instid1(VALU_DEP_1)
	v_cmp_ne_u32_e32 vcc_lo, 0, v64
	ds_load_b32 v177, v65 offset:544
	v_add_nc_u32_e32 v182, v114, v63
	; wave barrier
	v_bitop3_b32 v62, vcc_lo, exec_lo, v62 bitop3:0x48
	v_mbcnt_lo_u32_b32 v178, v62, 0
	v_cmp_ne_u32_e64 s17, 0, v62
	s_delay_alu instid0(VALU_DEP_2) | instskip(SKIP_1) | instid1(SALU_CYCLE_1)
	v_cmp_eq_u32_e32 vcc_lo, 0, v178
	s_and_b32 s18, s17, vcc_lo
	s_and_saveexec_b32 s17, s18
	s_cbranch_execz .LBB1655_788
; %bb.787:                              ;   in Loop: Header=BB1655_730 Depth=2
	s_wait_dscnt 0x0
	v_bcnt_u32_b32 v62, v62, v177
	ds_store_b32 v182, v62 offset:544
.LBB1655_788:                           ;   in Loop: Header=BB1655_730 Depth=2
	s_or_b32 exec_lo, exec_lo, s17
	v_and_b32_e32 v62, 0xff, v145
	; wave barrier
	s_delay_alu instid0(VALU_DEP_1) | instskip(NEXT) | instid1(VALU_DEP_1)
	v_lshrrev_b32_e32 v62, s49, v62
	v_and_b32_e32 v63, s48, v62
	s_delay_alu instid0(VALU_DEP_1) | instskip(NEXT) | instid1(VALU_DEP_1)
	v_add_co_u32 v62, s17, v63, -1
	v_cndmask_b32_e64 v64, 0, 1, s17
	v_mad_u32_u24 v65, v63, 36, v114
	v_mul_u32_u24_e32 v63, 36, v63
	s_delay_alu instid0(VALU_DEP_3) | instskip(SKIP_3) | instid1(VALU_DEP_1)
	v_cmp_ne_u32_e32 vcc_lo, 0, v64
	ds_load_b32 v180, v65 offset:544
	v_add_nc_u32_e32 v185, v114, v63
	; wave barrier
	v_bitop3_b32 v62, vcc_lo, exec_lo, v62 bitop3:0x48
	v_mbcnt_lo_u32_b32 v181, v62, 0
	v_cmp_ne_u32_e64 s17, 0, v62
	s_delay_alu instid0(VALU_DEP_2) | instskip(SKIP_1) | instid1(SALU_CYCLE_1)
	v_cmp_eq_u32_e32 vcc_lo, 0, v181
	s_and_b32 s18, s17, vcc_lo
	s_and_saveexec_b32 s17, s18
	s_cbranch_execz .LBB1655_790
; %bb.789:                              ;   in Loop: Header=BB1655_730 Depth=2
	s_wait_dscnt 0x0
	v_bcnt_u32_b32 v62, v62, v180
	ds_store_b32 v185, v62 offset:544
.LBB1655_790:                           ;   in Loop: Header=BB1655_730 Depth=2
	s_or_b32 exec_lo, exec_lo, s17
	v_and_b32_e32 v62, 0xff, v146
	; wave barrier
	s_delay_alu instid0(VALU_DEP_1) | instskip(NEXT) | instid1(VALU_DEP_1)
	v_lshrrev_b32_e32 v62, s49, v62
	v_and_b32_e32 v63, s48, v62
	s_delay_alu instid0(VALU_DEP_1) | instskip(NEXT) | instid1(VALU_DEP_1)
	v_add_co_u32 v62, s17, v63, -1
	v_cndmask_b32_e64 v64, 0, 1, s17
	v_mad_u32_u24 v65, v63, 36, v114
	v_mul_u32_u24_e32 v63, 36, v63
	s_delay_alu instid0(VALU_DEP_3) | instskip(SKIP_3) | instid1(VALU_DEP_1)
	v_cmp_ne_u32_e32 vcc_lo, 0, v64
	ds_load_b32 v183, v65 offset:544
	v_add_nc_u32_e32 v188, v114, v63
	; wave barrier
	v_bitop3_b32 v62, vcc_lo, exec_lo, v62 bitop3:0x48
	v_mbcnt_lo_u32_b32 v184, v62, 0
	v_cmp_ne_u32_e64 s17, 0, v62
	s_delay_alu instid0(VALU_DEP_2) | instskip(SKIP_1) | instid1(SALU_CYCLE_1)
	v_cmp_eq_u32_e32 vcc_lo, 0, v184
	s_and_b32 s18, s17, vcc_lo
	s_and_saveexec_b32 s17, s18
	s_cbranch_execz .LBB1655_792
; %bb.791:                              ;   in Loop: Header=BB1655_730 Depth=2
	s_wait_dscnt 0x0
	v_bcnt_u32_b32 v62, v62, v183
	ds_store_b32 v188, v62 offset:544
.LBB1655_792:                           ;   in Loop: Header=BB1655_730 Depth=2
	s_or_b32 exec_lo, exec_lo, s17
	v_and_b32_e32 v62, 0xff, v147
	; wave barrier
	s_delay_alu instid0(VALU_DEP_1) | instskip(NEXT) | instid1(VALU_DEP_1)
	v_lshrrev_b32_e32 v62, s49, v62
	v_and_b32_e32 v63, s48, v62
	s_delay_alu instid0(VALU_DEP_1) | instskip(NEXT) | instid1(VALU_DEP_1)
	v_add_co_u32 v62, s17, v63, -1
	v_cndmask_b32_e64 v64, 0, 1, s17
	v_mad_u32_u24 v65, v63, 36, v114
	v_mul_u32_u24_e32 v63, 36, v63
	s_delay_alu instid0(VALU_DEP_3) | instskip(SKIP_3) | instid1(VALU_DEP_1)
	v_cmp_ne_u32_e32 vcc_lo, 0, v64
	ds_load_b32 v186, v65 offset:544
	v_add_nc_u32_e32 v191, v114, v63
	; wave barrier
	v_bitop3_b32 v62, vcc_lo, exec_lo, v62 bitop3:0x48
	v_mbcnt_lo_u32_b32 v187, v62, 0
	v_cmp_ne_u32_e64 s17, 0, v62
	s_delay_alu instid0(VALU_DEP_2) | instskip(SKIP_1) | instid1(SALU_CYCLE_1)
	v_cmp_eq_u32_e32 vcc_lo, 0, v187
	s_and_b32 s18, s17, vcc_lo
	s_and_saveexec_b32 s17, s18
	s_cbranch_execz .LBB1655_794
; %bb.793:                              ;   in Loop: Header=BB1655_730 Depth=2
	s_wait_dscnt 0x0
	v_bcnt_u32_b32 v62, v62, v186
	ds_store_b32 v191, v62 offset:544
.LBB1655_794:                           ;   in Loop: Header=BB1655_730 Depth=2
	s_or_b32 exec_lo, exec_lo, s17
	v_and_b32_e32 v62, 0xff, v148
	; wave barrier
	s_delay_alu instid0(VALU_DEP_1) | instskip(NEXT) | instid1(VALU_DEP_1)
	v_lshrrev_b32_e32 v62, s49, v62
	v_and_b32_e32 v63, s48, v62
	s_delay_alu instid0(VALU_DEP_1) | instskip(NEXT) | instid1(VALU_DEP_1)
	v_add_co_u32 v62, s17, v63, -1
	v_cndmask_b32_e64 v64, 0, 1, s17
	v_mad_u32_u24 v65, v63, 36, v114
	v_mul_u32_u24_e32 v63, 36, v63
	s_delay_alu instid0(VALU_DEP_3) | instskip(SKIP_3) | instid1(VALU_DEP_1)
	v_cmp_ne_u32_e32 vcc_lo, 0, v64
	ds_load_b32 v189, v65 offset:544
	v_add_nc_u32_e32 v194, v114, v63
	; wave barrier
	v_bitop3_b32 v62, vcc_lo, exec_lo, v62 bitop3:0x48
	v_mbcnt_lo_u32_b32 v190, v62, 0
	v_cmp_ne_u32_e64 s17, 0, v62
	s_delay_alu instid0(VALU_DEP_2) | instskip(SKIP_1) | instid1(SALU_CYCLE_1)
	v_cmp_eq_u32_e32 vcc_lo, 0, v190
	s_and_b32 s18, s17, vcc_lo
	s_and_saveexec_b32 s17, s18
	s_cbranch_execz .LBB1655_796
; %bb.795:                              ;   in Loop: Header=BB1655_730 Depth=2
	s_wait_dscnt 0x0
	v_bcnt_u32_b32 v62, v62, v189
	ds_store_b32 v194, v62 offset:544
.LBB1655_796:                           ;   in Loop: Header=BB1655_730 Depth=2
	s_or_b32 exec_lo, exec_lo, s17
	v_and_b32_e32 v62, 0xff, v149
	; wave barrier
	s_delay_alu instid0(VALU_DEP_1) | instskip(NEXT) | instid1(VALU_DEP_1)
	v_lshrrev_b32_e32 v62, s49, v62
	v_and_b32_e32 v63, s48, v62
	s_delay_alu instid0(VALU_DEP_1) | instskip(NEXT) | instid1(VALU_DEP_1)
	v_add_co_u32 v62, s17, v63, -1
	v_cndmask_b32_e64 v64, 0, 1, s17
	v_mad_u32_u24 v65, v63, 36, v114
	v_mul_u32_u24_e32 v63, 36, v63
	s_delay_alu instid0(VALU_DEP_3) | instskip(SKIP_3) | instid1(VALU_DEP_1)
	v_cmp_ne_u32_e32 vcc_lo, 0, v64
	ds_load_b32 v192, v65 offset:544
	v_add_nc_u32_e32 v197, v114, v63
	; wave barrier
	v_bitop3_b32 v62, vcc_lo, exec_lo, v62 bitop3:0x48
	v_mbcnt_lo_u32_b32 v193, v62, 0
	v_cmp_ne_u32_e64 s17, 0, v62
	s_delay_alu instid0(VALU_DEP_2) | instskip(SKIP_1) | instid1(SALU_CYCLE_1)
	v_cmp_eq_u32_e32 vcc_lo, 0, v193
	s_and_b32 s18, s17, vcc_lo
	s_and_saveexec_b32 s17, s18
	s_cbranch_execz .LBB1655_798
; %bb.797:                              ;   in Loop: Header=BB1655_730 Depth=2
	s_wait_dscnt 0x0
	v_bcnt_u32_b32 v62, v62, v192
	ds_store_b32 v197, v62 offset:544
.LBB1655_798:                           ;   in Loop: Header=BB1655_730 Depth=2
	s_or_b32 exec_lo, exec_lo, s17
	v_and_b32_e32 v62, 0xff, v150
	; wave barrier
	s_delay_alu instid0(VALU_DEP_1) | instskip(NEXT) | instid1(VALU_DEP_1)
	v_lshrrev_b32_e32 v62, s49, v62
	v_and_b32_e32 v63, s48, v62
	s_delay_alu instid0(VALU_DEP_1) | instskip(NEXT) | instid1(VALU_DEP_1)
	v_add_co_u32 v62, s17, v63, -1
	v_cndmask_b32_e64 v64, 0, 1, s17
	v_mad_u32_u24 v65, v63, 36, v114
	v_mul_u32_u24_e32 v63, 36, v63
	s_delay_alu instid0(VALU_DEP_3) | instskip(SKIP_3) | instid1(VALU_DEP_1)
	v_cmp_ne_u32_e32 vcc_lo, 0, v64
	ds_load_b32 v195, v65 offset:544
	v_add_nc_u32_e32 v200, v114, v63
	; wave barrier
	v_bitop3_b32 v62, vcc_lo, exec_lo, v62 bitop3:0x48
	v_mbcnt_lo_u32_b32 v196, v62, 0
	v_cmp_ne_u32_e64 s17, 0, v62
	s_delay_alu instid0(VALU_DEP_2) | instskip(SKIP_1) | instid1(SALU_CYCLE_1)
	v_cmp_eq_u32_e32 vcc_lo, 0, v196
	s_and_b32 s18, s17, vcc_lo
	s_and_saveexec_b32 s17, s18
	s_cbranch_execz .LBB1655_800
; %bb.799:                              ;   in Loop: Header=BB1655_730 Depth=2
	s_wait_dscnt 0x0
	v_bcnt_u32_b32 v62, v62, v195
	ds_store_b32 v200, v62 offset:544
.LBB1655_800:                           ;   in Loop: Header=BB1655_730 Depth=2
	s_or_b32 exec_lo, exec_lo, s17
	v_and_b32_e32 v62, 0xff, v151
	; wave barrier
	s_delay_alu instid0(VALU_DEP_1) | instskip(NEXT) | instid1(VALU_DEP_1)
	v_lshrrev_b32_e32 v62, s49, v62
	v_and_b32_e32 v63, s48, v62
	s_delay_alu instid0(VALU_DEP_1) | instskip(NEXT) | instid1(VALU_DEP_1)
	v_add_co_u32 v62, s17, v63, -1
	v_cndmask_b32_e64 v64, 0, 1, s17
	v_mad_u32_u24 v65, v63, 36, v114
	v_mul_u32_u24_e32 v63, 36, v63
	s_delay_alu instid0(VALU_DEP_3) | instskip(SKIP_3) | instid1(VALU_DEP_1)
	v_cmp_ne_u32_e32 vcc_lo, 0, v64
	ds_load_b32 v198, v65 offset:544
	v_add_nc_u32_e32 v201, v114, v63
	; wave barrier
	v_bitop3_b32 v62, vcc_lo, exec_lo, v62 bitop3:0x48
	v_mbcnt_lo_u32_b32 v199, v62, 0
	v_cmp_ne_u32_e64 s17, 0, v62
	s_delay_alu instid0(VALU_DEP_2) | instskip(SKIP_1) | instid1(SALU_CYCLE_1)
	v_cmp_eq_u32_e32 vcc_lo, 0, v199
	s_and_b32 s18, s17, vcc_lo
	s_and_saveexec_b32 s17, s18
	s_cbranch_execz .LBB1655_802
; %bb.801:                              ;   in Loop: Header=BB1655_730 Depth=2
	s_wait_dscnt 0x0
	v_bcnt_u32_b32 v62, v62, v198
	ds_store_b32 v201, v62 offset:544
.LBB1655_802:                           ;   in Loop: Header=BB1655_730 Depth=2
	s_or_b32 exec_lo, exec_lo, s17
	; wave barrier
	s_wait_dscnt 0x0
	s_barrier_signal -1
	s_barrier_wait -1
	ds_load_2addr_b32 v[64:65], v90 offset0:136 offset1:137
	ds_load_2addr_b32 v[62:63], v90 offset0:138 offset1:139
	ds_load_b32 v202, v90 offset:560
	s_wait_dscnt 0x1
	v_add3_u32 v203, v65, v64, v62
	s_wait_dscnt 0x0
	s_delay_alu instid0(VALU_DEP_1) | instskip(NEXT) | instid1(VALU_DEP_1)
	v_add3_u32 v202, v203, v63, v202
	v_mov_b32_dpp v203, v202 row_shr:1 row_mask:0xf bank_mask:0xf
	s_delay_alu instid0(VALU_DEP_1) | instskip(NEXT) | instid1(VALU_DEP_1)
	v_cndmask_b32_e64 v203, v203, 0, s8
	v_add_nc_u32_e32 v202, v203, v202
	s_delay_alu instid0(VALU_DEP_1) | instskip(NEXT) | instid1(VALU_DEP_1)
	v_mov_b32_dpp v203, v202 row_shr:2 row_mask:0xf bank_mask:0xf
	v_cndmask_b32_e64 v203, 0, v203, s9
	s_delay_alu instid0(VALU_DEP_1) | instskip(NEXT) | instid1(VALU_DEP_1)
	v_add_nc_u32_e32 v202, v202, v203
	v_mov_b32_dpp v203, v202 row_shr:4 row_mask:0xf bank_mask:0xf
	s_delay_alu instid0(VALU_DEP_1) | instskip(NEXT) | instid1(VALU_DEP_1)
	v_cndmask_b32_e64 v203, 0, v203, s10
	v_add_nc_u32_e32 v202, v202, v203
	s_delay_alu instid0(VALU_DEP_1) | instskip(NEXT) | instid1(VALU_DEP_1)
	v_mov_b32_dpp v203, v202 row_shr:8 row_mask:0xf bank_mask:0xf
	v_cndmask_b32_e64 v203, 0, v203, s11
	s_delay_alu instid0(VALU_DEP_1) | instskip(SKIP_3) | instid1(VALU_DEP_1)
	v_add_nc_u32_e32 v202, v202, v203
	ds_swizzle_b32 v203, v202 offset:swizzle(BROADCAST,32,15)
	s_wait_dscnt 0x0
	v_cndmask_b32_e64 v203, v203, 0, s12
	v_add_nc_u32_e32 v202, v202, v203
	s_and_saveexec_b32 s17, s2
; %bb.803:                              ;   in Loop: Header=BB1655_730 Depth=2
	ds_store_b32 v83, v202 offset:512
; %bb.804:                              ;   in Loop: Header=BB1655_730 Depth=2
	s_or_b32 exec_lo, exec_lo, s17
	s_wait_dscnt 0x0
	s_barrier_signal -1
	s_barrier_wait -1
	s_and_saveexec_b32 s17, s3
	s_cbranch_execz .LBB1655_806
; %bb.805:                              ;   in Loop: Header=BB1655_730 Depth=2
	ds_load_b32 v203, v92 offset:512
	s_wait_dscnt 0x0
	v_mov_b32_dpp v204, v203 row_shr:1 row_mask:0xf bank_mask:0xf
	s_delay_alu instid0(VALU_DEP_1) | instskip(NEXT) | instid1(VALU_DEP_1)
	v_cndmask_b32_e64 v204, v204, 0, s14
	v_add_nc_u32_e32 v203, v204, v203
	s_delay_alu instid0(VALU_DEP_1) | instskip(NEXT) | instid1(VALU_DEP_1)
	v_mov_b32_dpp v204, v203 row_shr:2 row_mask:0xf bank_mask:0xf
	v_cndmask_b32_e64 v204, 0, v204, s15
	s_delay_alu instid0(VALU_DEP_1) | instskip(NEXT) | instid1(VALU_DEP_1)
	v_add_nc_u32_e32 v203, v203, v204
	v_mov_b32_dpp v204, v203 row_shr:4 row_mask:0xf bank_mask:0xf
	s_delay_alu instid0(VALU_DEP_1) | instskip(NEXT) | instid1(VALU_DEP_1)
	v_cndmask_b32_e64 v204, 0, v204, s16
	v_add_nc_u32_e32 v203, v203, v204
	ds_store_b32 v92, v203 offset:512
.LBB1655_806:                           ;   in Loop: Header=BB1655_730 Depth=2
	s_or_b32 exec_lo, exec_lo, s17
	v_mov_b32_e32 v203, 0
	s_wait_dscnt 0x0
	s_barrier_signal -1
	s_barrier_wait -1
	s_and_saveexec_b32 s17, s5
; %bb.807:                              ;   in Loop: Header=BB1655_730 Depth=2
	ds_load_b32 v203, v83 offset:508
; %bb.808:                              ;   in Loop: Header=BB1655_730 Depth=2
	s_or_b32 exec_lo, exec_lo, s17
	s_wait_dscnt 0x0
	v_add_nc_u32_e32 v202, v203, v202
	ds_bpermute_b32 v202, v96, v202
	s_wait_dscnt 0x0
	v_cndmask_b32_e64 v202, v202, v203, s13
	s_delay_alu instid0(VALU_DEP_1) | instskip(NEXT) | instid1(VALU_DEP_1)
	v_cndmask_b32_e64 v202, v202, 0, s6
	v_add_nc_u32_e32 v64, v202, v64
	s_delay_alu instid0(VALU_DEP_1) | instskip(NEXT) | instid1(VALU_DEP_1)
	v_add_nc_u32_e32 v65, v64, v65
	v_add_nc_u32_e32 v62, v65, v62
	s_delay_alu instid0(VALU_DEP_1)
	v_add_nc_u32_e32 v63, v62, v63
	ds_store_2addr_b32 v90, v202, v64 offset0:136 offset1:137
	ds_store_2addr_b32 v90, v65, v62 offset0:138 offset1:139
	ds_store_b32 v90, v63 offset:560
	s_wait_dscnt 0x0
	s_barrier_signal -1
	s_barrier_wait -1
	ds_load_b32 v62, v155 offset:544
	ds_load_b32 v63, v158 offset:544
	;; [unrolled: 1-line block ×17, first 2 shown]
	s_and_saveexec_b32 s17, s0
	s_cbranch_execz .LBB1655_812
; %bb.809:                              ;   in Loop: Header=BB1655_730 Depth=2
	v_dual_mov_b32 v133, 0x1100 :: v_dual_add_nc_u32 v132, v92, v94
	ds_load_b32 v132, v132 offset:544
	s_and_saveexec_b32 s18, s7
; %bb.810:                              ;   in Loop: Header=BB1655_730 Depth=2
	ds_load_b32 v133, v93 offset:544
; %bb.811:                              ;   in Loop: Header=BB1655_730 Depth=2
	s_or_b32 exec_lo, exec_lo, s18
	s_wait_dscnt 0x0
	v_sub_nc_u32_e32 v133, v133, v132
.LBB1655_812:                           ;   in Loop: Header=BB1655_730 Depth=2
	s_or_b32 exec_lo, exec_lo, s17
	s_wait_dscnt 0x0
	s_barrier_signal -1
	s_barrier_wait -1
	s_and_saveexec_b32 s17, s0
	s_cbranch_execz .LBB1655_814
; %bb.813:                              ;   in Loop: Header=BB1655_730 Depth=2
	ds_load_b32 v161, v66
	s_wait_dscnt 0x0
	v_sub_nc_u32_e32 v161, v161, v132
	ds_store_b32 v66, v161
.LBB1655_814:                           ;   in Loop: Header=BB1655_730 Depth=2
	s_or_b32 exec_lo, exec_lo, s17
	v_add_nc_u32_e32 v166, v62, v152
	v_add3_u32 v165, v154, v153, v63
	v_add3_u32 v164, v157, v156, v64
	;; [unrolled: 1-line block ×16, first 2 shown]
	v_cmp_lt_u32_e32 vcc_lo, v2, v134
	ds_store_b8 v166, v135 offset:512
	ds_store_b8 v165, v136 offset:512
	;; [unrolled: 1-line block ×17, first 2 shown]
	s_wait_dscnt 0x0
	s_barrier_signal -1
	s_barrier_wait -1
	s_and_saveexec_b32 s17, vcc_lo
	s_cbranch_execnz .LBB1655_887
; %bb.815:                              ;   in Loop: Header=BB1655_730 Depth=2
	s_or_b32 exec_lo, exec_lo, s17
	v_cmp_lt_u32_e64 s17, v67, v134
	s_and_saveexec_b32 s18, s17
	s_cbranch_execnz .LBB1655_888
.LBB1655_816:                           ;   in Loop: Header=BB1655_730 Depth=2
	s_or_b32 exec_lo, exec_lo, s18
	v_cmp_lt_u32_e64 s18, v68, v134
	s_and_saveexec_b32 s19, s18
	s_cbranch_execnz .LBB1655_889
.LBB1655_817:                           ;   in Loop: Header=BB1655_730 Depth=2
	s_or_b32 exec_lo, exec_lo, s19
	v_cmp_lt_u32_e64 s19, v69, v134
	s_and_saveexec_b32 s20, s19
	s_cbranch_execnz .LBB1655_890
.LBB1655_818:                           ;   in Loop: Header=BB1655_730 Depth=2
	s_or_b32 exec_lo, exec_lo, s20
	v_cmp_lt_u32_e64 s20, v70, v134
	s_and_saveexec_b32 s21, s20
	s_cbranch_execnz .LBB1655_891
.LBB1655_819:                           ;   in Loop: Header=BB1655_730 Depth=2
	s_or_b32 exec_lo, exec_lo, s21
	v_cmp_lt_u32_e64 s21, v71, v134
	s_and_saveexec_b32 s22, s21
	s_cbranch_execnz .LBB1655_892
.LBB1655_820:                           ;   in Loop: Header=BB1655_730 Depth=2
	s_or_b32 exec_lo, exec_lo, s22
	v_cmp_lt_u32_e64 s22, v72, v134
	s_and_saveexec_b32 s23, s22
	s_cbranch_execnz .LBB1655_893
.LBB1655_821:                           ;   in Loop: Header=BB1655_730 Depth=2
	s_or_b32 exec_lo, exec_lo, s23
	v_cmp_lt_u32_e64 s23, v73, v134
	s_and_saveexec_b32 s24, s23
	s_cbranch_execnz .LBB1655_894
.LBB1655_822:                           ;   in Loop: Header=BB1655_730 Depth=2
	s_or_b32 exec_lo, exec_lo, s24
	v_cmp_lt_u32_e64 s24, v74, v134
	s_and_saveexec_b32 s25, s24
	s_cbranch_execnz .LBB1655_895
.LBB1655_823:                           ;   in Loop: Header=BB1655_730 Depth=2
	s_or_b32 exec_lo, exec_lo, s25
	v_cmp_lt_u32_e64 s25, v75, v134
	s_and_saveexec_b32 s26, s25
	s_cbranch_execnz .LBB1655_896
.LBB1655_824:                           ;   in Loop: Header=BB1655_730 Depth=2
	s_or_b32 exec_lo, exec_lo, s26
	v_cmp_lt_u32_e64 s26, v76, v134
	s_and_saveexec_b32 s27, s26
	s_cbranch_execnz .LBB1655_897
.LBB1655_825:                           ;   in Loop: Header=BB1655_730 Depth=2
	s_or_b32 exec_lo, exec_lo, s27
	v_cmp_lt_u32_e64 s27, v77, v134
	s_and_saveexec_b32 s28, s27
	s_cbranch_execnz .LBB1655_898
.LBB1655_826:                           ;   in Loop: Header=BB1655_730 Depth=2
	s_or_b32 exec_lo, exec_lo, s28
	v_cmp_lt_u32_e64 s28, v78, v134
	s_and_saveexec_b32 s29, s28
	s_cbranch_execnz .LBB1655_899
.LBB1655_827:                           ;   in Loop: Header=BB1655_730 Depth=2
	s_or_b32 exec_lo, exec_lo, s29
	v_cmp_lt_u32_e64 s29, v79, v134
	s_and_saveexec_b32 s30, s29
	s_cbranch_execnz .LBB1655_900
.LBB1655_828:                           ;   in Loop: Header=BB1655_730 Depth=2
	s_or_b32 exec_lo, exec_lo, s30
	v_cmp_lt_u32_e64 s30, v80, v134
	s_and_saveexec_b32 s31, s30
	s_cbranch_execnz .LBB1655_901
.LBB1655_829:                           ;   in Loop: Header=BB1655_730 Depth=2
	s_or_b32 exec_lo, exec_lo, s31
	v_cmp_lt_u32_e64 s31, v81, v134
	s_and_saveexec_b32 s33, s31
	s_cbranch_execnz .LBB1655_902
.LBB1655_830:                           ;   in Loop: Header=BB1655_730 Depth=2
	s_or_b32 exec_lo, exec_lo, s33
	v_cmp_lt_u32_e64 s33, v82, v134
	s_and_saveexec_b32 s60, s33
	s_cbranch_execz .LBB1655_832
.LBB1655_831:                           ;   in Loop: Header=BB1655_730 Depth=2
	ds_load_u8 v62, v2 offset:4608
	s_wait_dscnt 0x0
	v_and_b32_e32 v63, 1, v62
	s_delay_alu instid0(VALU_DEP_1) | instskip(NEXT) | instid1(VALU_DEP_1)
	v_lshrrev_b32_e32 v63, s49, v63
	v_and_b32_e32 v63, s48, v63
	s_delay_alu instid0(VALU_DEP_1)
	v_lshlrev_b32_e32 v63, 2, v63
	ds_load_b32 v63, v63
	s_wait_dscnt 0x0
	v_add_nc_u32_e32 v63, v63, v82
	global_store_b8 v63, v62, s[38:39]
.LBB1655_832:                           ;   in Loop: Header=BB1655_730 Depth=2
	s_wait_xcnt 0x0
	s_or_b32 exec_lo, exec_lo, s60
	v_lshl_add_u64 v[62:63], s[34:35], 3, v[24:25]
	v_cmp_lt_u32_e64 s34, v97, v134
	s_and_saveexec_b32 s60, s34
	s_delay_alu instid0(SALU_CYCLE_1)
	s_xor_b32 s34, exec_lo, s60
	s_cbranch_execnz .LBB1655_903
; %bb.833:                              ;   in Loop: Header=BB1655_730 Depth=2
	s_or_b32 exec_lo, exec_lo, s34
	s_delay_alu instid0(SALU_CYCLE_1)
	s_mov_b32 s60, exec_lo
	v_cmpx_lt_u32_e64 v98, v134
	s_cbranch_execnz .LBB1655_904
.LBB1655_834:                           ;   in Loop: Header=BB1655_730 Depth=2
	s_or_b32 exec_lo, exec_lo, s60
	s_delay_alu instid0(SALU_CYCLE_1)
	s_mov_b32 s60, exec_lo
	v_cmpx_lt_u32_e64 v99, v134
	s_cbranch_execnz .LBB1655_905
.LBB1655_835:                           ;   in Loop: Header=BB1655_730 Depth=2
	s_or_b32 exec_lo, exec_lo, s60
	s_delay_alu instid0(SALU_CYCLE_1)
	s_mov_b32 s60, exec_lo
	v_cmpx_lt_u32_e64 v100, v134
	s_cbranch_execnz .LBB1655_906
.LBB1655_836:                           ;   in Loop: Header=BB1655_730 Depth=2
	s_or_b32 exec_lo, exec_lo, s60
	s_delay_alu instid0(SALU_CYCLE_1)
	s_mov_b32 s60, exec_lo
	v_cmpx_lt_u32_e64 v101, v134
	s_cbranch_execnz .LBB1655_907
.LBB1655_837:                           ;   in Loop: Header=BB1655_730 Depth=2
	s_or_b32 exec_lo, exec_lo, s60
	s_delay_alu instid0(SALU_CYCLE_1)
	s_mov_b32 s60, exec_lo
	v_cmpx_lt_u32_e64 v102, v134
	s_cbranch_execnz .LBB1655_908
.LBB1655_838:                           ;   in Loop: Header=BB1655_730 Depth=2
	s_or_b32 exec_lo, exec_lo, s60
	s_delay_alu instid0(SALU_CYCLE_1)
	s_mov_b32 s60, exec_lo
	v_cmpx_lt_u32_e64 v103, v134
	s_cbranch_execnz .LBB1655_909
.LBB1655_839:                           ;   in Loop: Header=BB1655_730 Depth=2
	s_or_b32 exec_lo, exec_lo, s60
	s_delay_alu instid0(SALU_CYCLE_1)
	s_mov_b32 s60, exec_lo
	v_cmpx_lt_u32_e64 v104, v134
	s_cbranch_execnz .LBB1655_910
.LBB1655_840:                           ;   in Loop: Header=BB1655_730 Depth=2
	s_or_b32 exec_lo, exec_lo, s60
	s_delay_alu instid0(SALU_CYCLE_1)
	s_mov_b32 s60, exec_lo
	v_cmpx_lt_u32_e64 v105, v134
	s_cbranch_execnz .LBB1655_911
.LBB1655_841:                           ;   in Loop: Header=BB1655_730 Depth=2
	s_or_b32 exec_lo, exec_lo, s60
	s_delay_alu instid0(SALU_CYCLE_1)
	s_mov_b32 s60, exec_lo
	v_cmpx_lt_u32_e64 v106, v134
	s_cbranch_execnz .LBB1655_912
.LBB1655_842:                           ;   in Loop: Header=BB1655_730 Depth=2
	s_or_b32 exec_lo, exec_lo, s60
	s_delay_alu instid0(SALU_CYCLE_1)
	s_mov_b32 s60, exec_lo
	v_cmpx_lt_u32_e64 v107, v134
	s_cbranch_execnz .LBB1655_913
.LBB1655_843:                           ;   in Loop: Header=BB1655_730 Depth=2
	s_or_b32 exec_lo, exec_lo, s60
	s_delay_alu instid0(SALU_CYCLE_1)
	s_mov_b32 s60, exec_lo
	v_cmpx_lt_u32_e64 v108, v134
	s_cbranch_execnz .LBB1655_914
.LBB1655_844:                           ;   in Loop: Header=BB1655_730 Depth=2
	s_or_b32 exec_lo, exec_lo, s60
	s_delay_alu instid0(SALU_CYCLE_1)
	s_mov_b32 s60, exec_lo
	v_cmpx_lt_u32_e64 v109, v134
	s_cbranch_execnz .LBB1655_915
.LBB1655_845:                           ;   in Loop: Header=BB1655_730 Depth=2
	s_or_b32 exec_lo, exec_lo, s60
	s_delay_alu instid0(SALU_CYCLE_1)
	s_mov_b32 s60, exec_lo
	v_cmpx_lt_u32_e64 v110, v134
	s_cbranch_execnz .LBB1655_916
.LBB1655_846:                           ;   in Loop: Header=BB1655_730 Depth=2
	s_or_b32 exec_lo, exec_lo, s60
	s_delay_alu instid0(SALU_CYCLE_1)
	s_mov_b32 s60, exec_lo
	v_cmpx_lt_u32_e64 v111, v134
	s_cbranch_execnz .LBB1655_917
.LBB1655_847:                           ;   in Loop: Header=BB1655_730 Depth=2
	s_or_b32 exec_lo, exec_lo, s60
	s_delay_alu instid0(SALU_CYCLE_1)
	s_mov_b32 s60, exec_lo
	v_cmpx_lt_u32_e64 v112, v134
	s_cbranch_execnz .LBB1655_918
.LBB1655_848:                           ;   in Loop: Header=BB1655_730 Depth=2
	s_or_b32 exec_lo, exec_lo, s60
	s_delay_alu instid0(SALU_CYCLE_1)
	s_mov_b32 s60, exec_lo
	v_cmpx_lt_u32_e64 v113, v134
	s_cbranch_execnz .LBB1655_919
.LBB1655_849:                           ;   in Loop: Header=BB1655_730 Depth=2
	s_or_b32 exec_lo, exec_lo, s60
	s_and_saveexec_b32 s34, vcc_lo
	s_cbranch_execnz .LBB1655_920
.LBB1655_850:                           ;   in Loop: Header=BB1655_730 Depth=2
	s_or_b32 exec_lo, exec_lo, s34
	s_and_saveexec_b32 s34, s17
	s_cbranch_execnz .LBB1655_921
.LBB1655_851:                           ;   in Loop: Header=BB1655_730 Depth=2
	s_or_b32 exec_lo, exec_lo, s34
	s_and_saveexec_b32 s34, s18
	s_cbranch_execnz .LBB1655_922
.LBB1655_852:                           ;   in Loop: Header=BB1655_730 Depth=2
	s_or_b32 exec_lo, exec_lo, s34
	s_and_saveexec_b32 s34, s19
	s_cbranch_execnz .LBB1655_923
.LBB1655_853:                           ;   in Loop: Header=BB1655_730 Depth=2
	s_or_b32 exec_lo, exec_lo, s34
	s_and_saveexec_b32 s34, s20
	s_cbranch_execnz .LBB1655_924
.LBB1655_854:                           ;   in Loop: Header=BB1655_730 Depth=2
	s_or_b32 exec_lo, exec_lo, s34
	s_and_saveexec_b32 s34, s21
	s_cbranch_execnz .LBB1655_925
.LBB1655_855:                           ;   in Loop: Header=BB1655_730 Depth=2
	s_or_b32 exec_lo, exec_lo, s34
	s_and_saveexec_b32 s34, s22
	s_cbranch_execnz .LBB1655_926
.LBB1655_856:                           ;   in Loop: Header=BB1655_730 Depth=2
	s_or_b32 exec_lo, exec_lo, s34
	s_and_saveexec_b32 s34, s23
	s_cbranch_execnz .LBB1655_927
.LBB1655_857:                           ;   in Loop: Header=BB1655_730 Depth=2
	s_or_b32 exec_lo, exec_lo, s34
	s_and_saveexec_b32 s34, s24
	s_cbranch_execnz .LBB1655_928
.LBB1655_858:                           ;   in Loop: Header=BB1655_730 Depth=2
	s_or_b32 exec_lo, exec_lo, s34
	s_and_saveexec_b32 s34, s25
	s_cbranch_execnz .LBB1655_929
.LBB1655_859:                           ;   in Loop: Header=BB1655_730 Depth=2
	s_or_b32 exec_lo, exec_lo, s34
	s_and_saveexec_b32 s34, s26
	s_cbranch_execnz .LBB1655_930
.LBB1655_860:                           ;   in Loop: Header=BB1655_730 Depth=2
	s_or_b32 exec_lo, exec_lo, s34
	s_and_saveexec_b32 s34, s27
	s_cbranch_execnz .LBB1655_931
.LBB1655_861:                           ;   in Loop: Header=BB1655_730 Depth=2
	s_or_b32 exec_lo, exec_lo, s34
	s_and_saveexec_b32 s34, s28
	s_cbranch_execnz .LBB1655_932
.LBB1655_862:                           ;   in Loop: Header=BB1655_730 Depth=2
	s_or_b32 exec_lo, exec_lo, s34
	s_and_saveexec_b32 s34, s29
	s_cbranch_execnz .LBB1655_933
.LBB1655_863:                           ;   in Loop: Header=BB1655_730 Depth=2
	s_or_b32 exec_lo, exec_lo, s34
	s_and_saveexec_b32 s34, s30
	s_cbranch_execnz .LBB1655_934
.LBB1655_864:                           ;   in Loop: Header=BB1655_730 Depth=2
	s_or_b32 exec_lo, exec_lo, s34
	s_and_saveexec_b32 s34, s31
	s_cbranch_execnz .LBB1655_935
.LBB1655_865:                           ;   in Loop: Header=BB1655_730 Depth=2
	s_or_b32 exec_lo, exec_lo, s34
	s_and_saveexec_b32 s34, s33
	s_cbranch_execz .LBB1655_867
.LBB1655_866:                           ;   in Loop: Header=BB1655_730 Depth=2
	ds_load_u8 v62, v2 offset:4608
	s_wait_dscnt 0x0
	v_lshrrev_b32_e32 v62, s49, v62
	s_delay_alu instid0(VALU_DEP_1)
	v_and_b32_e32 v115, s48, v62
.LBB1655_867:                           ;   in Loop: Header=BB1655_730 Depth=2
	s_or_b32 exec_lo, exec_lo, s34
	v_dual_lshlrev_b32 v62, 3, v166 :: v_dual_lshlrev_b32 v63, 3, v165
	s_wait_loadcnt 0x0
	s_wait_storecnt 0x0
	s_barrier_signal -1
	s_barrier_wait -1
	ds_store_b64 v62, v[60:61] offset:512
	ds_store_b64 v63, v[58:59] offset:512
	v_dual_lshlrev_b32 v62, 3, v164 :: v_dual_lshlrev_b32 v63, 3, v163
	v_dual_lshlrev_b32 v134, 3, v162 :: v_dual_lshlrev_b32 v135, 3, v161
	v_lshlrev_b32_e32 v136, 3, v160
	ds_store_b64 v62, v[56:57] offset:512
	ds_store_b64 v63, v[54:55] offset:512
	ds_store_b64 v134, v[52:53] offset:512
	ds_store_b64 v135, v[50:51] offset:512
	ds_store_b64 v136, v[48:49] offset:512
	v_dual_lshlrev_b32 v62, 3, v159 :: v_dual_lshlrev_b32 v63, 3, v158
	v_dual_lshlrev_b32 v134, 3, v157 :: v_dual_lshlrev_b32 v135, 3, v156
	v_lshlrev_b32_e32 v136, 3, v155
	ds_store_b64 v62, v[46:47] offset:512
	ds_store_b64 v63, v[44:45] offset:512
	ds_store_b64 v134, v[42:43] offset:512
	;; [unrolled: 8-line block ×3, first 2 shown]
	ds_store_b64 v65, v[30:31] offset:512
	ds_store_b64 v64, v[28:29] offset:512
	s_wait_dscnt 0x0
	s_barrier_signal -1
	s_barrier_wait -1
	s_and_saveexec_b32 s34, vcc_lo
	s_cbranch_execnz .LBB1655_936
; %bb.868:                              ;   in Loop: Header=BB1655_730 Depth=2
	s_or_b32 exec_lo, exec_lo, s34
	s_and_saveexec_b32 s34, s17
	s_cbranch_execnz .LBB1655_937
.LBB1655_869:                           ;   in Loop: Header=BB1655_730 Depth=2
	s_or_b32 exec_lo, exec_lo, s34
	s_and_saveexec_b32 s17, s18
	s_cbranch_execnz .LBB1655_938
.LBB1655_870:                           ;   in Loop: Header=BB1655_730 Depth=2
	s_or_b32 exec_lo, exec_lo, s17
	s_and_saveexec_b32 s17, s19
	s_cbranch_execnz .LBB1655_939
.LBB1655_871:                           ;   in Loop: Header=BB1655_730 Depth=2
	s_or_b32 exec_lo, exec_lo, s17
	s_and_saveexec_b32 s17, s20
	s_cbranch_execnz .LBB1655_940
.LBB1655_872:                           ;   in Loop: Header=BB1655_730 Depth=2
	s_or_b32 exec_lo, exec_lo, s17
	s_and_saveexec_b32 s17, s21
	s_cbranch_execnz .LBB1655_941
.LBB1655_873:                           ;   in Loop: Header=BB1655_730 Depth=2
	s_or_b32 exec_lo, exec_lo, s17
	s_and_saveexec_b32 s17, s22
	s_cbranch_execnz .LBB1655_942
.LBB1655_874:                           ;   in Loop: Header=BB1655_730 Depth=2
	s_or_b32 exec_lo, exec_lo, s17
	s_and_saveexec_b32 s17, s23
	s_cbranch_execnz .LBB1655_943
.LBB1655_875:                           ;   in Loop: Header=BB1655_730 Depth=2
	s_or_b32 exec_lo, exec_lo, s17
	s_and_saveexec_b32 s17, s24
	s_cbranch_execnz .LBB1655_944
.LBB1655_876:                           ;   in Loop: Header=BB1655_730 Depth=2
	s_or_b32 exec_lo, exec_lo, s17
	s_and_saveexec_b32 s17, s25
	s_cbranch_execnz .LBB1655_945
.LBB1655_877:                           ;   in Loop: Header=BB1655_730 Depth=2
	s_or_b32 exec_lo, exec_lo, s17
	s_and_saveexec_b32 s17, s26
	s_cbranch_execnz .LBB1655_946
.LBB1655_878:                           ;   in Loop: Header=BB1655_730 Depth=2
	s_or_b32 exec_lo, exec_lo, s17
	s_and_saveexec_b32 s17, s27
	s_cbranch_execnz .LBB1655_947
.LBB1655_879:                           ;   in Loop: Header=BB1655_730 Depth=2
	s_or_b32 exec_lo, exec_lo, s17
	s_and_saveexec_b32 s17, s28
	s_cbranch_execnz .LBB1655_948
.LBB1655_880:                           ;   in Loop: Header=BB1655_730 Depth=2
	s_or_b32 exec_lo, exec_lo, s17
	s_and_saveexec_b32 s17, s29
	s_cbranch_execnz .LBB1655_949
.LBB1655_881:                           ;   in Loop: Header=BB1655_730 Depth=2
	s_or_b32 exec_lo, exec_lo, s17
	s_and_saveexec_b32 s17, s30
	s_cbranch_execnz .LBB1655_950
.LBB1655_882:                           ;   in Loop: Header=BB1655_730 Depth=2
	s_or_b32 exec_lo, exec_lo, s17
	s_and_saveexec_b32 s17, s31
	s_cbranch_execnz .LBB1655_951
.LBB1655_883:                           ;   in Loop: Header=BB1655_730 Depth=2
	s_or_b32 exec_lo, exec_lo, s17
	s_and_saveexec_b32 s17, s33
	s_cbranch_execz .LBB1655_885
.LBB1655_884:                           ;   in Loop: Header=BB1655_730 Depth=2
	v_lshlrev_b32_e32 v62, 2, v115
	v_add_nc_u32_e32 v63, v2, v95
	ds_load_b32 v64, v62
	ds_load_b64 v[62:63], v63 offset:33280
	s_wait_dscnt 0x1
	v_add_nc_u32_e32 v64, v64, v82
	s_wait_dscnt 0x0
	global_store_b64 v64, v[62:63], s[44:45] scale_offset
.LBB1655_885:                           ;   in Loop: Header=BB1655_730 Depth=2
	s_wait_xcnt 0x0
	s_or_b32 exec_lo, exec_lo, s17
	s_wait_storecnt 0x0
	s_barrier_signal -1
	s_barrier_wait -1
	s_and_saveexec_b32 s17, s0
	s_cbranch_execz .LBB1655_729
; %bb.886:                              ;   in Loop: Header=BB1655_730 Depth=2
	ds_load_b32 v62, v66
	s_wait_dscnt 0x0
	v_add3_u32 v62, v132, v133, v62
	ds_store_b32 v66, v62
	s_branch .LBB1655_729
.LBB1655_887:                           ;   in Loop: Header=BB1655_730 Depth=2
	ds_load_u8 v62, v2 offset:512
	s_wait_dscnt 0x0
	v_and_b32_e32 v63, 1, v62
	s_delay_alu instid0(VALU_DEP_1) | instskip(NEXT) | instid1(VALU_DEP_1)
	v_lshrrev_b32_e32 v63, s49, v63
	v_and_b32_e32 v63, s48, v63
	s_delay_alu instid0(VALU_DEP_1)
	v_lshlrev_b32_e32 v63, 2, v63
	ds_load_b32 v63, v63
	s_wait_dscnt 0x0
	v_add_nc_u32_e32 v63, v63, v2
	global_store_b8 v63, v62, s[38:39]
	s_wait_xcnt 0x0
	s_or_b32 exec_lo, exec_lo, s17
	v_cmp_lt_u32_e64 s17, v67, v134
	s_and_saveexec_b32 s18, s17
	s_cbranch_execz .LBB1655_816
.LBB1655_888:                           ;   in Loop: Header=BB1655_730 Depth=2
	ds_load_u8 v62, v2 offset:768
	s_wait_dscnt 0x0
	v_and_b32_e32 v63, 1, v62
	s_delay_alu instid0(VALU_DEP_1) | instskip(NEXT) | instid1(VALU_DEP_1)
	v_lshrrev_b32_e32 v63, s49, v63
	v_and_b32_e32 v63, s48, v63
	s_delay_alu instid0(VALU_DEP_1)
	v_lshlrev_b32_e32 v63, 2, v63
	ds_load_b32 v63, v63
	s_wait_dscnt 0x0
	v_add_nc_u32_e32 v63, v63, v67
	global_store_b8 v63, v62, s[38:39]
	s_wait_xcnt 0x0
	s_or_b32 exec_lo, exec_lo, s18
	v_cmp_lt_u32_e64 s18, v68, v134
	s_and_saveexec_b32 s19, s18
	s_cbranch_execz .LBB1655_817
.LBB1655_889:                           ;   in Loop: Header=BB1655_730 Depth=2
	ds_load_u8 v62, v2 offset:1024
	s_wait_dscnt 0x0
	v_and_b32_e32 v63, 1, v62
	s_delay_alu instid0(VALU_DEP_1) | instskip(NEXT) | instid1(VALU_DEP_1)
	v_lshrrev_b32_e32 v63, s49, v63
	v_and_b32_e32 v63, s48, v63
	s_delay_alu instid0(VALU_DEP_1)
	v_lshlrev_b32_e32 v63, 2, v63
	ds_load_b32 v63, v63
	s_wait_dscnt 0x0
	v_add_nc_u32_e32 v63, v63, v68
	global_store_b8 v63, v62, s[38:39]
	s_wait_xcnt 0x0
	s_or_b32 exec_lo, exec_lo, s19
	v_cmp_lt_u32_e64 s19, v69, v134
	s_and_saveexec_b32 s20, s19
	s_cbranch_execz .LBB1655_818
.LBB1655_890:                           ;   in Loop: Header=BB1655_730 Depth=2
	ds_load_u8 v62, v2 offset:1280
	s_wait_dscnt 0x0
	v_and_b32_e32 v63, 1, v62
	s_delay_alu instid0(VALU_DEP_1) | instskip(NEXT) | instid1(VALU_DEP_1)
	v_lshrrev_b32_e32 v63, s49, v63
	v_and_b32_e32 v63, s48, v63
	s_delay_alu instid0(VALU_DEP_1)
	v_lshlrev_b32_e32 v63, 2, v63
	ds_load_b32 v63, v63
	s_wait_dscnt 0x0
	v_add_nc_u32_e32 v63, v63, v69
	global_store_b8 v63, v62, s[38:39]
	s_wait_xcnt 0x0
	s_or_b32 exec_lo, exec_lo, s20
	v_cmp_lt_u32_e64 s20, v70, v134
	s_and_saveexec_b32 s21, s20
	s_cbranch_execz .LBB1655_819
.LBB1655_891:                           ;   in Loop: Header=BB1655_730 Depth=2
	ds_load_u8 v62, v2 offset:1536
	s_wait_dscnt 0x0
	v_and_b32_e32 v63, 1, v62
	s_delay_alu instid0(VALU_DEP_1) | instskip(NEXT) | instid1(VALU_DEP_1)
	v_lshrrev_b32_e32 v63, s49, v63
	v_and_b32_e32 v63, s48, v63
	s_delay_alu instid0(VALU_DEP_1)
	v_lshlrev_b32_e32 v63, 2, v63
	ds_load_b32 v63, v63
	s_wait_dscnt 0x0
	v_add_nc_u32_e32 v63, v63, v70
	global_store_b8 v63, v62, s[38:39]
	s_wait_xcnt 0x0
	s_or_b32 exec_lo, exec_lo, s21
	v_cmp_lt_u32_e64 s21, v71, v134
	s_and_saveexec_b32 s22, s21
	s_cbranch_execz .LBB1655_820
.LBB1655_892:                           ;   in Loop: Header=BB1655_730 Depth=2
	ds_load_u8 v62, v2 offset:1792
	s_wait_dscnt 0x0
	v_and_b32_e32 v63, 1, v62
	s_delay_alu instid0(VALU_DEP_1) | instskip(NEXT) | instid1(VALU_DEP_1)
	v_lshrrev_b32_e32 v63, s49, v63
	v_and_b32_e32 v63, s48, v63
	s_delay_alu instid0(VALU_DEP_1)
	v_lshlrev_b32_e32 v63, 2, v63
	ds_load_b32 v63, v63
	s_wait_dscnt 0x0
	v_add_nc_u32_e32 v63, v63, v71
	global_store_b8 v63, v62, s[38:39]
	s_wait_xcnt 0x0
	s_or_b32 exec_lo, exec_lo, s22
	v_cmp_lt_u32_e64 s22, v72, v134
	s_and_saveexec_b32 s23, s22
	s_cbranch_execz .LBB1655_821
.LBB1655_893:                           ;   in Loop: Header=BB1655_730 Depth=2
	ds_load_u8 v62, v2 offset:2048
	s_wait_dscnt 0x0
	v_and_b32_e32 v63, 1, v62
	s_delay_alu instid0(VALU_DEP_1) | instskip(NEXT) | instid1(VALU_DEP_1)
	v_lshrrev_b32_e32 v63, s49, v63
	v_and_b32_e32 v63, s48, v63
	s_delay_alu instid0(VALU_DEP_1)
	v_lshlrev_b32_e32 v63, 2, v63
	ds_load_b32 v63, v63
	s_wait_dscnt 0x0
	v_add_nc_u32_e32 v63, v63, v72
	global_store_b8 v63, v62, s[38:39]
	s_wait_xcnt 0x0
	s_or_b32 exec_lo, exec_lo, s23
	v_cmp_lt_u32_e64 s23, v73, v134
	s_and_saveexec_b32 s24, s23
	s_cbranch_execz .LBB1655_822
.LBB1655_894:                           ;   in Loop: Header=BB1655_730 Depth=2
	ds_load_u8 v62, v2 offset:2304
	s_wait_dscnt 0x0
	v_and_b32_e32 v63, 1, v62
	s_delay_alu instid0(VALU_DEP_1) | instskip(NEXT) | instid1(VALU_DEP_1)
	v_lshrrev_b32_e32 v63, s49, v63
	v_and_b32_e32 v63, s48, v63
	s_delay_alu instid0(VALU_DEP_1)
	v_lshlrev_b32_e32 v63, 2, v63
	ds_load_b32 v63, v63
	s_wait_dscnt 0x0
	v_add_nc_u32_e32 v63, v63, v73
	global_store_b8 v63, v62, s[38:39]
	s_wait_xcnt 0x0
	s_or_b32 exec_lo, exec_lo, s24
	v_cmp_lt_u32_e64 s24, v74, v134
	s_and_saveexec_b32 s25, s24
	s_cbranch_execz .LBB1655_823
.LBB1655_895:                           ;   in Loop: Header=BB1655_730 Depth=2
	ds_load_u8 v62, v2 offset:2560
	s_wait_dscnt 0x0
	v_and_b32_e32 v63, 1, v62
	s_delay_alu instid0(VALU_DEP_1) | instskip(NEXT) | instid1(VALU_DEP_1)
	v_lshrrev_b32_e32 v63, s49, v63
	v_and_b32_e32 v63, s48, v63
	s_delay_alu instid0(VALU_DEP_1)
	v_lshlrev_b32_e32 v63, 2, v63
	ds_load_b32 v63, v63
	s_wait_dscnt 0x0
	v_add_nc_u32_e32 v63, v63, v74
	global_store_b8 v63, v62, s[38:39]
	s_wait_xcnt 0x0
	s_or_b32 exec_lo, exec_lo, s25
	v_cmp_lt_u32_e64 s25, v75, v134
	s_and_saveexec_b32 s26, s25
	s_cbranch_execz .LBB1655_824
.LBB1655_896:                           ;   in Loop: Header=BB1655_730 Depth=2
	ds_load_u8 v62, v2 offset:2816
	s_wait_dscnt 0x0
	v_and_b32_e32 v63, 1, v62
	s_delay_alu instid0(VALU_DEP_1) | instskip(NEXT) | instid1(VALU_DEP_1)
	v_lshrrev_b32_e32 v63, s49, v63
	v_and_b32_e32 v63, s48, v63
	s_delay_alu instid0(VALU_DEP_1)
	v_lshlrev_b32_e32 v63, 2, v63
	ds_load_b32 v63, v63
	s_wait_dscnt 0x0
	v_add_nc_u32_e32 v63, v63, v75
	global_store_b8 v63, v62, s[38:39]
	s_wait_xcnt 0x0
	s_or_b32 exec_lo, exec_lo, s26
	v_cmp_lt_u32_e64 s26, v76, v134
	s_and_saveexec_b32 s27, s26
	s_cbranch_execz .LBB1655_825
.LBB1655_897:                           ;   in Loop: Header=BB1655_730 Depth=2
	ds_load_u8 v62, v2 offset:3072
	s_wait_dscnt 0x0
	v_and_b32_e32 v63, 1, v62
	s_delay_alu instid0(VALU_DEP_1) | instskip(NEXT) | instid1(VALU_DEP_1)
	v_lshrrev_b32_e32 v63, s49, v63
	v_and_b32_e32 v63, s48, v63
	s_delay_alu instid0(VALU_DEP_1)
	v_lshlrev_b32_e32 v63, 2, v63
	ds_load_b32 v63, v63
	s_wait_dscnt 0x0
	v_add_nc_u32_e32 v63, v63, v76
	global_store_b8 v63, v62, s[38:39]
	s_wait_xcnt 0x0
	s_or_b32 exec_lo, exec_lo, s27
	v_cmp_lt_u32_e64 s27, v77, v134
	s_and_saveexec_b32 s28, s27
	s_cbranch_execz .LBB1655_826
.LBB1655_898:                           ;   in Loop: Header=BB1655_730 Depth=2
	ds_load_u8 v62, v2 offset:3328
	s_wait_dscnt 0x0
	v_and_b32_e32 v63, 1, v62
	s_delay_alu instid0(VALU_DEP_1) | instskip(NEXT) | instid1(VALU_DEP_1)
	v_lshrrev_b32_e32 v63, s49, v63
	v_and_b32_e32 v63, s48, v63
	s_delay_alu instid0(VALU_DEP_1)
	v_lshlrev_b32_e32 v63, 2, v63
	ds_load_b32 v63, v63
	s_wait_dscnt 0x0
	v_add_nc_u32_e32 v63, v63, v77
	global_store_b8 v63, v62, s[38:39]
	s_wait_xcnt 0x0
	s_or_b32 exec_lo, exec_lo, s28
	v_cmp_lt_u32_e64 s28, v78, v134
	s_and_saveexec_b32 s29, s28
	s_cbranch_execz .LBB1655_827
.LBB1655_899:                           ;   in Loop: Header=BB1655_730 Depth=2
	ds_load_u8 v62, v2 offset:3584
	s_wait_dscnt 0x0
	v_and_b32_e32 v63, 1, v62
	s_delay_alu instid0(VALU_DEP_1) | instskip(NEXT) | instid1(VALU_DEP_1)
	v_lshrrev_b32_e32 v63, s49, v63
	v_and_b32_e32 v63, s48, v63
	s_delay_alu instid0(VALU_DEP_1)
	v_lshlrev_b32_e32 v63, 2, v63
	ds_load_b32 v63, v63
	s_wait_dscnt 0x0
	v_add_nc_u32_e32 v63, v63, v78
	global_store_b8 v63, v62, s[38:39]
	s_wait_xcnt 0x0
	s_or_b32 exec_lo, exec_lo, s29
	v_cmp_lt_u32_e64 s29, v79, v134
	s_and_saveexec_b32 s30, s29
	s_cbranch_execz .LBB1655_828
.LBB1655_900:                           ;   in Loop: Header=BB1655_730 Depth=2
	ds_load_u8 v62, v2 offset:3840
	s_wait_dscnt 0x0
	v_and_b32_e32 v63, 1, v62
	s_delay_alu instid0(VALU_DEP_1) | instskip(NEXT) | instid1(VALU_DEP_1)
	v_lshrrev_b32_e32 v63, s49, v63
	v_and_b32_e32 v63, s48, v63
	s_delay_alu instid0(VALU_DEP_1)
	v_lshlrev_b32_e32 v63, 2, v63
	ds_load_b32 v63, v63
	s_wait_dscnt 0x0
	v_add_nc_u32_e32 v63, v63, v79
	global_store_b8 v63, v62, s[38:39]
	s_wait_xcnt 0x0
	s_or_b32 exec_lo, exec_lo, s30
	v_cmp_lt_u32_e64 s30, v80, v134
	s_and_saveexec_b32 s31, s30
	s_cbranch_execz .LBB1655_829
.LBB1655_901:                           ;   in Loop: Header=BB1655_730 Depth=2
	ds_load_u8 v62, v2 offset:4096
	s_wait_dscnt 0x0
	v_and_b32_e32 v63, 1, v62
	s_delay_alu instid0(VALU_DEP_1) | instskip(NEXT) | instid1(VALU_DEP_1)
	v_lshrrev_b32_e32 v63, s49, v63
	v_and_b32_e32 v63, s48, v63
	s_delay_alu instid0(VALU_DEP_1)
	v_lshlrev_b32_e32 v63, 2, v63
	ds_load_b32 v63, v63
	s_wait_dscnt 0x0
	v_add_nc_u32_e32 v63, v63, v80
	global_store_b8 v63, v62, s[38:39]
	s_wait_xcnt 0x0
	s_or_b32 exec_lo, exec_lo, s31
	v_cmp_lt_u32_e64 s31, v81, v134
	s_and_saveexec_b32 s33, s31
	s_cbranch_execz .LBB1655_830
.LBB1655_902:                           ;   in Loop: Header=BB1655_730 Depth=2
	ds_load_u8 v62, v2 offset:4352
	s_wait_dscnt 0x0
	v_and_b32_e32 v63, 1, v62
	s_delay_alu instid0(VALU_DEP_1) | instskip(NEXT) | instid1(VALU_DEP_1)
	v_lshrrev_b32_e32 v63, s49, v63
	v_and_b32_e32 v63, s48, v63
	s_delay_alu instid0(VALU_DEP_1)
	v_lshlrev_b32_e32 v63, 2, v63
	ds_load_b32 v63, v63
	s_wait_dscnt 0x0
	v_add_nc_u32_e32 v63, v63, v81
	global_store_b8 v63, v62, s[38:39]
	s_wait_xcnt 0x0
	s_or_b32 exec_lo, exec_lo, s33
	v_cmp_lt_u32_e64 s33, v82, v134
	s_and_saveexec_b32 s60, s33
	s_cbranch_execnz .LBB1655_831
	s_branch .LBB1655_832
.LBB1655_903:                           ;   in Loop: Header=BB1655_730 Depth=2
	global_load_b64 v[60:61], v[62:63], off
	s_wait_xcnt 0x0
	s_or_b32 exec_lo, exec_lo, s34
	s_delay_alu instid0(SALU_CYCLE_1)
	s_mov_b32 s60, exec_lo
	v_cmpx_lt_u32_e64 v98, v134
	s_cbranch_execz .LBB1655_834
.LBB1655_904:                           ;   in Loop: Header=BB1655_730 Depth=2
	global_load_b64 v[58:59], v[62:63], off offset:256
	s_wait_xcnt 0x0
	s_or_b32 exec_lo, exec_lo, s60
	s_delay_alu instid0(SALU_CYCLE_1)
	s_mov_b32 s60, exec_lo
	v_cmpx_lt_u32_e64 v99, v134
	s_cbranch_execz .LBB1655_835
.LBB1655_905:                           ;   in Loop: Header=BB1655_730 Depth=2
	global_load_b64 v[56:57], v[62:63], off offset:512
	s_wait_xcnt 0x0
	s_or_b32 exec_lo, exec_lo, s60
	s_delay_alu instid0(SALU_CYCLE_1)
	s_mov_b32 s60, exec_lo
	v_cmpx_lt_u32_e64 v100, v134
	s_cbranch_execz .LBB1655_836
.LBB1655_906:                           ;   in Loop: Header=BB1655_730 Depth=2
	global_load_b64 v[54:55], v[62:63], off offset:768
	s_wait_xcnt 0x0
	s_or_b32 exec_lo, exec_lo, s60
	s_delay_alu instid0(SALU_CYCLE_1)
	s_mov_b32 s60, exec_lo
	v_cmpx_lt_u32_e64 v101, v134
	s_cbranch_execz .LBB1655_837
.LBB1655_907:                           ;   in Loop: Header=BB1655_730 Depth=2
	global_load_b64 v[52:53], v[62:63], off offset:1024
	s_wait_xcnt 0x0
	s_or_b32 exec_lo, exec_lo, s60
	s_delay_alu instid0(SALU_CYCLE_1)
	s_mov_b32 s60, exec_lo
	v_cmpx_lt_u32_e64 v102, v134
	s_cbranch_execz .LBB1655_838
.LBB1655_908:                           ;   in Loop: Header=BB1655_730 Depth=2
	global_load_b64 v[50:51], v[62:63], off offset:1280
	s_wait_xcnt 0x0
	s_or_b32 exec_lo, exec_lo, s60
	s_delay_alu instid0(SALU_CYCLE_1)
	s_mov_b32 s60, exec_lo
	v_cmpx_lt_u32_e64 v103, v134
	s_cbranch_execz .LBB1655_839
.LBB1655_909:                           ;   in Loop: Header=BB1655_730 Depth=2
	global_load_b64 v[48:49], v[62:63], off offset:1536
	s_wait_xcnt 0x0
	s_or_b32 exec_lo, exec_lo, s60
	s_delay_alu instid0(SALU_CYCLE_1)
	s_mov_b32 s60, exec_lo
	v_cmpx_lt_u32_e64 v104, v134
	s_cbranch_execz .LBB1655_840
.LBB1655_910:                           ;   in Loop: Header=BB1655_730 Depth=2
	global_load_b64 v[46:47], v[62:63], off offset:1792
	s_wait_xcnt 0x0
	s_or_b32 exec_lo, exec_lo, s60
	s_delay_alu instid0(SALU_CYCLE_1)
	s_mov_b32 s60, exec_lo
	v_cmpx_lt_u32_e64 v105, v134
	s_cbranch_execz .LBB1655_841
.LBB1655_911:                           ;   in Loop: Header=BB1655_730 Depth=2
	global_load_b64 v[44:45], v[62:63], off offset:2048
	s_wait_xcnt 0x0
	s_or_b32 exec_lo, exec_lo, s60
	s_delay_alu instid0(SALU_CYCLE_1)
	s_mov_b32 s60, exec_lo
	v_cmpx_lt_u32_e64 v106, v134
	s_cbranch_execz .LBB1655_842
.LBB1655_912:                           ;   in Loop: Header=BB1655_730 Depth=2
	global_load_b64 v[42:43], v[62:63], off offset:2304
	s_wait_xcnt 0x0
	s_or_b32 exec_lo, exec_lo, s60
	s_delay_alu instid0(SALU_CYCLE_1)
	s_mov_b32 s60, exec_lo
	v_cmpx_lt_u32_e64 v107, v134
	s_cbranch_execz .LBB1655_843
.LBB1655_913:                           ;   in Loop: Header=BB1655_730 Depth=2
	global_load_b64 v[40:41], v[62:63], off offset:2560
	s_wait_xcnt 0x0
	s_or_b32 exec_lo, exec_lo, s60
	s_delay_alu instid0(SALU_CYCLE_1)
	s_mov_b32 s60, exec_lo
	v_cmpx_lt_u32_e64 v108, v134
	s_cbranch_execz .LBB1655_844
.LBB1655_914:                           ;   in Loop: Header=BB1655_730 Depth=2
	global_load_b64 v[38:39], v[62:63], off offset:2816
	s_wait_xcnt 0x0
	s_or_b32 exec_lo, exec_lo, s60
	s_delay_alu instid0(SALU_CYCLE_1)
	s_mov_b32 s60, exec_lo
	v_cmpx_lt_u32_e64 v109, v134
	s_cbranch_execz .LBB1655_845
.LBB1655_915:                           ;   in Loop: Header=BB1655_730 Depth=2
	global_load_b64 v[36:37], v[62:63], off offset:3072
	s_wait_xcnt 0x0
	s_or_b32 exec_lo, exec_lo, s60
	s_delay_alu instid0(SALU_CYCLE_1)
	s_mov_b32 s60, exec_lo
	v_cmpx_lt_u32_e64 v110, v134
	s_cbranch_execz .LBB1655_846
.LBB1655_916:                           ;   in Loop: Header=BB1655_730 Depth=2
	global_load_b64 v[34:35], v[62:63], off offset:3328
	s_wait_xcnt 0x0
	s_or_b32 exec_lo, exec_lo, s60
	s_delay_alu instid0(SALU_CYCLE_1)
	s_mov_b32 s60, exec_lo
	v_cmpx_lt_u32_e64 v111, v134
	s_cbranch_execz .LBB1655_847
.LBB1655_917:                           ;   in Loop: Header=BB1655_730 Depth=2
	global_load_b64 v[32:33], v[62:63], off offset:3584
	s_wait_xcnt 0x0
	s_or_b32 exec_lo, exec_lo, s60
	s_delay_alu instid0(SALU_CYCLE_1)
	s_mov_b32 s60, exec_lo
	v_cmpx_lt_u32_e64 v112, v134
	s_cbranch_execz .LBB1655_848
.LBB1655_918:                           ;   in Loop: Header=BB1655_730 Depth=2
	global_load_b64 v[30:31], v[62:63], off offset:3840
	s_wait_xcnt 0x0
	s_or_b32 exec_lo, exec_lo, s60
	s_delay_alu instid0(SALU_CYCLE_1)
	s_mov_b32 s60, exec_lo
	v_cmpx_lt_u32_e64 v113, v134
	s_cbranch_execz .LBB1655_849
.LBB1655_919:                           ;   in Loop: Header=BB1655_730 Depth=2
	global_load_b64 v[28:29], v[62:63], off offset:4096
	s_wait_xcnt 0x0
	s_or_b32 exec_lo, exec_lo, s60
	s_and_saveexec_b32 s34, vcc_lo
	s_cbranch_execz .LBB1655_850
.LBB1655_920:                           ;   in Loop: Header=BB1655_730 Depth=2
	ds_load_u8 v62, v2 offset:512
	s_wait_dscnt 0x0
	v_lshrrev_b32_e32 v62, s49, v62
	s_delay_alu instid0(VALU_DEP_1)
	v_and_b32_e32 v131, s48, v62
	s_or_b32 exec_lo, exec_lo, s34
	s_and_saveexec_b32 s34, s17
	s_cbranch_execz .LBB1655_851
.LBB1655_921:                           ;   in Loop: Header=BB1655_730 Depth=2
	ds_load_u8 v62, v2 offset:768
	s_wait_dscnt 0x0
	v_lshrrev_b32_e32 v62, s49, v62
	s_delay_alu instid0(VALU_DEP_1)
	v_and_b32_e32 v130, s48, v62
	s_or_b32 exec_lo, exec_lo, s34
	s_and_saveexec_b32 s34, s18
	s_cbranch_execz .LBB1655_852
.LBB1655_922:                           ;   in Loop: Header=BB1655_730 Depth=2
	ds_load_u8 v62, v2 offset:1024
	s_wait_dscnt 0x0
	v_lshrrev_b32_e32 v62, s49, v62
	s_delay_alu instid0(VALU_DEP_1)
	v_and_b32_e32 v129, s48, v62
	s_or_b32 exec_lo, exec_lo, s34
	s_and_saveexec_b32 s34, s19
	s_cbranch_execz .LBB1655_853
.LBB1655_923:                           ;   in Loop: Header=BB1655_730 Depth=2
	ds_load_u8 v62, v2 offset:1280
	s_wait_dscnt 0x0
	v_lshrrev_b32_e32 v62, s49, v62
	s_delay_alu instid0(VALU_DEP_1)
	v_and_b32_e32 v128, s48, v62
	s_or_b32 exec_lo, exec_lo, s34
	s_and_saveexec_b32 s34, s20
	s_cbranch_execz .LBB1655_854
.LBB1655_924:                           ;   in Loop: Header=BB1655_730 Depth=2
	ds_load_u8 v62, v2 offset:1536
	s_wait_dscnt 0x0
	v_lshrrev_b32_e32 v62, s49, v62
	s_delay_alu instid0(VALU_DEP_1)
	v_and_b32_e32 v127, s48, v62
	s_or_b32 exec_lo, exec_lo, s34
	s_and_saveexec_b32 s34, s21
	s_cbranch_execz .LBB1655_855
.LBB1655_925:                           ;   in Loop: Header=BB1655_730 Depth=2
	ds_load_u8 v62, v2 offset:1792
	s_wait_dscnt 0x0
	v_lshrrev_b32_e32 v62, s49, v62
	s_delay_alu instid0(VALU_DEP_1)
	v_and_b32_e32 v126, s48, v62
	s_or_b32 exec_lo, exec_lo, s34
	s_and_saveexec_b32 s34, s22
	s_cbranch_execz .LBB1655_856
.LBB1655_926:                           ;   in Loop: Header=BB1655_730 Depth=2
	ds_load_u8 v62, v2 offset:2048
	s_wait_dscnt 0x0
	v_lshrrev_b32_e32 v62, s49, v62
	s_delay_alu instid0(VALU_DEP_1)
	v_and_b32_e32 v125, s48, v62
	s_or_b32 exec_lo, exec_lo, s34
	s_and_saveexec_b32 s34, s23
	s_cbranch_execz .LBB1655_857
.LBB1655_927:                           ;   in Loop: Header=BB1655_730 Depth=2
	ds_load_u8 v62, v2 offset:2304
	s_wait_dscnt 0x0
	v_lshrrev_b32_e32 v62, s49, v62
	s_delay_alu instid0(VALU_DEP_1)
	v_and_b32_e32 v124, s48, v62
	s_or_b32 exec_lo, exec_lo, s34
	s_and_saveexec_b32 s34, s24
	s_cbranch_execz .LBB1655_858
.LBB1655_928:                           ;   in Loop: Header=BB1655_730 Depth=2
	ds_load_u8 v62, v2 offset:2560
	s_wait_dscnt 0x0
	v_lshrrev_b32_e32 v62, s49, v62
	s_delay_alu instid0(VALU_DEP_1)
	v_and_b32_e32 v123, s48, v62
	s_or_b32 exec_lo, exec_lo, s34
	s_and_saveexec_b32 s34, s25
	s_cbranch_execz .LBB1655_859
.LBB1655_929:                           ;   in Loop: Header=BB1655_730 Depth=2
	ds_load_u8 v62, v2 offset:2816
	s_wait_dscnt 0x0
	v_lshrrev_b32_e32 v62, s49, v62
	s_delay_alu instid0(VALU_DEP_1)
	v_and_b32_e32 v122, s48, v62
	s_or_b32 exec_lo, exec_lo, s34
	s_and_saveexec_b32 s34, s26
	s_cbranch_execz .LBB1655_860
.LBB1655_930:                           ;   in Loop: Header=BB1655_730 Depth=2
	ds_load_u8 v62, v2 offset:3072
	s_wait_dscnt 0x0
	v_lshrrev_b32_e32 v62, s49, v62
	s_delay_alu instid0(VALU_DEP_1)
	v_and_b32_e32 v121, s48, v62
	s_or_b32 exec_lo, exec_lo, s34
	s_and_saveexec_b32 s34, s27
	s_cbranch_execz .LBB1655_861
.LBB1655_931:                           ;   in Loop: Header=BB1655_730 Depth=2
	ds_load_u8 v62, v2 offset:3328
	s_wait_dscnt 0x0
	v_lshrrev_b32_e32 v62, s49, v62
	s_delay_alu instid0(VALU_DEP_1)
	v_and_b32_e32 v120, s48, v62
	s_or_b32 exec_lo, exec_lo, s34
	s_and_saveexec_b32 s34, s28
	s_cbranch_execz .LBB1655_862
.LBB1655_932:                           ;   in Loop: Header=BB1655_730 Depth=2
	ds_load_u8 v62, v2 offset:3584
	s_wait_dscnt 0x0
	v_lshrrev_b32_e32 v62, s49, v62
	s_delay_alu instid0(VALU_DEP_1)
	v_and_b32_e32 v119, s48, v62
	s_or_b32 exec_lo, exec_lo, s34
	s_and_saveexec_b32 s34, s29
	s_cbranch_execz .LBB1655_863
.LBB1655_933:                           ;   in Loop: Header=BB1655_730 Depth=2
	ds_load_u8 v62, v2 offset:3840
	s_wait_dscnt 0x0
	v_lshrrev_b32_e32 v62, s49, v62
	s_delay_alu instid0(VALU_DEP_1)
	v_and_b32_e32 v118, s48, v62
	s_or_b32 exec_lo, exec_lo, s34
	s_and_saveexec_b32 s34, s30
	s_cbranch_execz .LBB1655_864
.LBB1655_934:                           ;   in Loop: Header=BB1655_730 Depth=2
	ds_load_u8 v62, v2 offset:4096
	s_wait_dscnt 0x0
	v_lshrrev_b32_e32 v62, s49, v62
	s_delay_alu instid0(VALU_DEP_1)
	v_and_b32_e32 v117, s48, v62
	s_or_b32 exec_lo, exec_lo, s34
	s_and_saveexec_b32 s34, s31
	s_cbranch_execz .LBB1655_865
.LBB1655_935:                           ;   in Loop: Header=BB1655_730 Depth=2
	ds_load_u8 v62, v2 offset:4352
	s_wait_dscnt 0x0
	v_lshrrev_b32_e32 v62, s49, v62
	s_delay_alu instid0(VALU_DEP_1)
	v_and_b32_e32 v116, s48, v62
	s_or_b32 exec_lo, exec_lo, s34
	s_and_saveexec_b32 s34, s33
	s_cbranch_execnz .LBB1655_866
	s_branch .LBB1655_867
.LBB1655_936:                           ;   in Loop: Header=BB1655_730 Depth=2
	v_lshlrev_b32_e32 v62, 2, v131
	v_add_nc_u32_e32 v63, v2, v95
	ds_load_b32 v64, v62
	ds_load_b64 v[62:63], v63 offset:512
	s_wait_dscnt 0x1
	v_add_nc_u32_e32 v64, v64, v2
	s_wait_dscnt 0x0
	global_store_b64 v64, v[62:63], s[44:45] scale_offset
	s_wait_xcnt 0x0
	s_or_b32 exec_lo, exec_lo, s34
	s_and_saveexec_b32 s34, s17
	s_cbranch_execz .LBB1655_869
.LBB1655_937:                           ;   in Loop: Header=BB1655_730 Depth=2
	v_dual_lshlrev_b32 v62, 2, v130 :: v_dual_add_nc_u32 v63, v2, v95
	ds_load_b32 v64, v62
	ds_load_b64 v[62:63], v63 offset:2560
	s_wait_dscnt 0x1
	v_add_nc_u32_e32 v64, v64, v67
	s_wait_dscnt 0x0
	global_store_b64 v64, v[62:63], s[44:45] scale_offset
	s_wait_xcnt 0x0
	s_or_b32 exec_lo, exec_lo, s34
	s_and_saveexec_b32 s17, s18
	s_cbranch_execz .LBB1655_870
.LBB1655_938:                           ;   in Loop: Header=BB1655_730 Depth=2
	v_dual_lshlrev_b32 v62, 2, v129 :: v_dual_add_nc_u32 v63, v2, v95
	ds_load_b32 v64, v62
	ds_load_b64 v[62:63], v63 offset:4608
	s_wait_dscnt 0x1
	v_add_nc_u32_e32 v64, v64, v68
	s_wait_dscnt 0x0
	global_store_b64 v64, v[62:63], s[44:45] scale_offset
	s_wait_xcnt 0x0
	s_or_b32 exec_lo, exec_lo, s17
	s_and_saveexec_b32 s17, s19
	s_cbranch_execz .LBB1655_871
.LBB1655_939:                           ;   in Loop: Header=BB1655_730 Depth=2
	v_dual_lshlrev_b32 v62, 2, v128 :: v_dual_add_nc_u32 v63, v2, v95
	ds_load_b32 v64, v62
	ds_load_b64 v[62:63], v63 offset:6656
	s_wait_dscnt 0x1
	v_add_nc_u32_e32 v64, v64, v69
	s_wait_dscnt 0x0
	global_store_b64 v64, v[62:63], s[44:45] scale_offset
	s_wait_xcnt 0x0
	s_or_b32 exec_lo, exec_lo, s17
	s_and_saveexec_b32 s17, s20
	s_cbranch_execz .LBB1655_872
.LBB1655_940:                           ;   in Loop: Header=BB1655_730 Depth=2
	v_lshlrev_b32_e32 v62, 2, v127
	v_add_nc_u32_e32 v63, v2, v95
	ds_load_b32 v64, v62
	ds_load_b64 v[62:63], v63 offset:8704
	s_wait_dscnt 0x1
	v_add_nc_u32_e32 v64, v64, v70
	s_wait_dscnt 0x0
	global_store_b64 v64, v[62:63], s[44:45] scale_offset
	s_wait_xcnt 0x0
	s_or_b32 exec_lo, exec_lo, s17
	s_and_saveexec_b32 s17, s21
	s_cbranch_execz .LBB1655_873
.LBB1655_941:                           ;   in Loop: Header=BB1655_730 Depth=2
	v_dual_lshlrev_b32 v62, 2, v126 :: v_dual_add_nc_u32 v63, v2, v95
	ds_load_b32 v64, v62
	ds_load_b64 v[62:63], v63 offset:10752
	s_wait_dscnt 0x1
	v_add_nc_u32_e32 v64, v64, v71
	s_wait_dscnt 0x0
	global_store_b64 v64, v[62:63], s[44:45] scale_offset
	s_wait_xcnt 0x0
	s_or_b32 exec_lo, exec_lo, s17
	s_and_saveexec_b32 s17, s22
	s_cbranch_execz .LBB1655_874
.LBB1655_942:                           ;   in Loop: Header=BB1655_730 Depth=2
	v_dual_lshlrev_b32 v62, 2, v125 :: v_dual_add_nc_u32 v63, v2, v95
	ds_load_b32 v64, v62
	ds_load_b64 v[62:63], v63 offset:12800
	s_wait_dscnt 0x1
	v_add_nc_u32_e32 v64, v64, v72
	s_wait_dscnt 0x0
	global_store_b64 v64, v[62:63], s[44:45] scale_offset
	s_wait_xcnt 0x0
	s_or_b32 exec_lo, exec_lo, s17
	s_and_saveexec_b32 s17, s23
	s_cbranch_execz .LBB1655_875
.LBB1655_943:                           ;   in Loop: Header=BB1655_730 Depth=2
	v_dual_lshlrev_b32 v62, 2, v124 :: v_dual_add_nc_u32 v63, v2, v95
	ds_load_b32 v64, v62
	ds_load_b64 v[62:63], v63 offset:14848
	s_wait_dscnt 0x1
	v_add_nc_u32_e32 v64, v64, v73
	s_wait_dscnt 0x0
	global_store_b64 v64, v[62:63], s[44:45] scale_offset
	s_wait_xcnt 0x0
	s_or_b32 exec_lo, exec_lo, s17
	s_and_saveexec_b32 s17, s24
	s_cbranch_execz .LBB1655_876
.LBB1655_944:                           ;   in Loop: Header=BB1655_730 Depth=2
	v_lshlrev_b32_e32 v62, 2, v123
	v_add_nc_u32_e32 v63, v2, v95
	ds_load_b32 v64, v62
	ds_load_b64 v[62:63], v63 offset:16896
	s_wait_dscnt 0x1
	v_add_nc_u32_e32 v64, v64, v74
	s_wait_dscnt 0x0
	global_store_b64 v64, v[62:63], s[44:45] scale_offset
	s_wait_xcnt 0x0
	s_or_b32 exec_lo, exec_lo, s17
	s_and_saveexec_b32 s17, s25
	s_cbranch_execz .LBB1655_877
.LBB1655_945:                           ;   in Loop: Header=BB1655_730 Depth=2
	v_dual_lshlrev_b32 v62, 2, v122 :: v_dual_add_nc_u32 v63, v2, v95
	ds_load_b32 v64, v62
	ds_load_b64 v[62:63], v63 offset:18944
	s_wait_dscnt 0x1
	v_add_nc_u32_e32 v64, v64, v75
	s_wait_dscnt 0x0
	global_store_b64 v64, v[62:63], s[44:45] scale_offset
	s_wait_xcnt 0x0
	s_or_b32 exec_lo, exec_lo, s17
	s_and_saveexec_b32 s17, s26
	s_cbranch_execz .LBB1655_878
.LBB1655_946:                           ;   in Loop: Header=BB1655_730 Depth=2
	v_dual_lshlrev_b32 v62, 2, v121 :: v_dual_add_nc_u32 v63, v2, v95
	ds_load_b32 v64, v62
	ds_load_b64 v[62:63], v63 offset:20992
	s_wait_dscnt 0x1
	v_add_nc_u32_e32 v64, v64, v76
	s_wait_dscnt 0x0
	global_store_b64 v64, v[62:63], s[44:45] scale_offset
	s_wait_xcnt 0x0
	s_or_b32 exec_lo, exec_lo, s17
	s_and_saveexec_b32 s17, s27
	s_cbranch_execz .LBB1655_879
.LBB1655_947:                           ;   in Loop: Header=BB1655_730 Depth=2
	v_dual_lshlrev_b32 v62, 2, v120 :: v_dual_add_nc_u32 v63, v2, v95
	ds_load_b32 v64, v62
	ds_load_b64 v[62:63], v63 offset:23040
	s_wait_dscnt 0x1
	v_add_nc_u32_e32 v64, v64, v77
	s_wait_dscnt 0x0
	global_store_b64 v64, v[62:63], s[44:45] scale_offset
	s_wait_xcnt 0x0
	s_or_b32 exec_lo, exec_lo, s17
	s_and_saveexec_b32 s17, s28
	s_cbranch_execz .LBB1655_880
.LBB1655_948:                           ;   in Loop: Header=BB1655_730 Depth=2
	v_lshlrev_b32_e32 v62, 2, v119
	v_add_nc_u32_e32 v63, v2, v95
	ds_load_b32 v64, v62
	ds_load_b64 v[62:63], v63 offset:25088
	s_wait_dscnt 0x1
	v_add_nc_u32_e32 v64, v64, v78
	s_wait_dscnt 0x0
	global_store_b64 v64, v[62:63], s[44:45] scale_offset
	s_wait_xcnt 0x0
	s_or_b32 exec_lo, exec_lo, s17
	s_and_saveexec_b32 s17, s29
	s_cbranch_execz .LBB1655_881
.LBB1655_949:                           ;   in Loop: Header=BB1655_730 Depth=2
	v_dual_lshlrev_b32 v62, 2, v118 :: v_dual_add_nc_u32 v63, v2, v95
	ds_load_b32 v64, v62
	ds_load_b64 v[62:63], v63 offset:27136
	s_wait_dscnt 0x1
	v_add_nc_u32_e32 v64, v64, v79
	s_wait_dscnt 0x0
	global_store_b64 v64, v[62:63], s[44:45] scale_offset
	s_wait_xcnt 0x0
	s_or_b32 exec_lo, exec_lo, s17
	s_and_saveexec_b32 s17, s30
	s_cbranch_execz .LBB1655_882
.LBB1655_950:                           ;   in Loop: Header=BB1655_730 Depth=2
	v_dual_lshlrev_b32 v62, 2, v117 :: v_dual_add_nc_u32 v63, v2, v95
	ds_load_b32 v64, v62
	ds_load_b64 v[62:63], v63 offset:29184
	s_wait_dscnt 0x1
	v_add_nc_u32_e32 v64, v64, v80
	s_wait_dscnt 0x0
	global_store_b64 v64, v[62:63], s[44:45] scale_offset
	s_wait_xcnt 0x0
	s_or_b32 exec_lo, exec_lo, s17
	s_and_saveexec_b32 s17, s31
	s_cbranch_execz .LBB1655_883
.LBB1655_951:                           ;   in Loop: Header=BB1655_730 Depth=2
	v_dual_lshlrev_b32 v62, 2, v116 :: v_dual_add_nc_u32 v63, v2, v95
	ds_load_b32 v64, v62
	ds_load_b64 v[62:63], v63 offset:31232
	s_wait_dscnt 0x1
	v_add_nc_u32_e32 v64, v64, v81
	s_wait_dscnt 0x0
	global_store_b64 v64, v[62:63], s[44:45] scale_offset
	s_wait_xcnt 0x0
	s_or_b32 exec_lo, exec_lo, s17
	s_and_saveexec_b32 s17, s33
	s_cbranch_execnz .LBB1655_884
	s_branch .LBB1655_885
.LBB1655_952:                           ;   in Loop: Header=BB1655_20 Depth=1
	s_wait_dscnt 0x0
	s_barrier_signal -1
	s_mov_b32 s8, 0
	s_barrier_wait -1
.LBB1655_953:                           ;   in Loop: Header=BB1655_20 Depth=1
	s_and_b32 vcc_lo, exec_lo, s8
	s_cbranch_vccz .LBB1655_19
; %bb.954:                              ;   in Loop: Header=BB1655_20 Depth=1
	v_dual_mov_b32 v39, 0 :: v_dual_mov_b32 v42, 0
	v_dual_mov_b32 v41, 0 :: v_dual_mov_b32 v40, 0
	;; [unrolled: 1-line block ×8, first 2 shown]
	v_mov_b32_e32 v26, 0
	s_mov_b32 s8, s57
	s_mov_b32 s34, s55
	s_barrier_signal -1
	s_barrier_wait -1
	s_branch .LBB1655_956
.LBB1655_955:                           ;   in Loop: Header=BB1655_956 Depth=2
	s_or_b32 exec_lo, exec_lo, s10
	s_addk_co_i32 s8, 0xef00
	s_cmp_ge_u32 s9, s54
	s_mov_b32 s34, s9
	s_cbranch_scc1 .LBB1655_1028
.LBB1655_956:                           ;   Parent Loop BB1655_20 Depth=1
                                        ; =>  This Inner Loop Header: Depth=2
	s_add_co_i32 s9, s34, 0x1100
	s_mov_b32 s10, -1
	s_cmp_gt_u32 s9, s54
                                        ; implicit-def: $vgpr24
                                        ; implicit-def: $vgpr25
                                        ; implicit-def: $vgpr43
                                        ; implicit-def: $vgpr44
                                        ; implicit-def: $vgpr45
                                        ; implicit-def: $vgpr46
                                        ; implicit-def: $vgpr47
                                        ; implicit-def: $vgpr48
                                        ; implicit-def: $vgpr49
                                        ; implicit-def: $vgpr50
                                        ; implicit-def: $vgpr51
                                        ; implicit-def: $vgpr52
                                        ; implicit-def: $vgpr53
                                        ; implicit-def: $vgpr54
                                        ; implicit-def: $vgpr55
                                        ; implicit-def: $vgpr56
                                        ; implicit-def: $vgpr57
	s_cbranch_scc1 .LBB1655_958
; %bb.957:                              ;   in Loop: Header=BB1655_956 Depth=2
	v_add_nc_u64_e32 v[58:59], s[34:35], v[18:19]
	s_mov_b32 s10, 0
	s_clause 0x10
	global_load_u8 v57, v[58:59], off offset:4096
	global_load_u8 v56, v[58:59], off offset:3840
	;; [unrolled: 1-line block ×16, first 2 shown]
	global_load_u8 v24, v[58:59], off
.LBB1655_958:                           ;   in Loop: Header=BB1655_956 Depth=2
	s_and_not1_b32 vcc_lo, exec_lo, s10
	s_movk_i32 s10, 0x1100
	s_cbranch_vccnz .LBB1655_978
; %bb.959:                              ;   in Loop: Header=BB1655_956 Depth=2
	s_add_nc_u64 s[10:11], s[36:37], s[34:35]
	s_wait_loadcnt 0x0
	v_add_nc_u64_e32 v[24:25], s[10:11], v[2:3]
	s_mov_b32 s10, exec_lo
	s_wait_xcnt 0x0
	v_cmpx_gt_u32_e64 s8, v2
	s_cbranch_execnz .LBB1655_1012
; %bb.960:                              ;   in Loop: Header=BB1655_956 Depth=2
	s_or_b32 exec_lo, exec_lo, s10
	s_delay_alu instid0(SALU_CYCLE_1)
	s_mov_b32 s10, exec_lo
	v_cmpx_gt_u32_e64 s8, v67
	s_cbranch_execnz .LBB1655_1013
.LBB1655_961:                           ;   in Loop: Header=BB1655_956 Depth=2
	s_or_b32 exec_lo, exec_lo, s10
	s_delay_alu instid0(SALU_CYCLE_1)
	s_mov_b32 s10, exec_lo
	v_cmpx_gt_u32_e64 s8, v68
	s_cbranch_execnz .LBB1655_1014
.LBB1655_962:                           ;   in Loop: Header=BB1655_956 Depth=2
	s_or_b32 exec_lo, exec_lo, s10
	s_delay_alu instid0(SALU_CYCLE_1)
	s_mov_b32 s10, exec_lo
	v_cmpx_gt_u32_e64 s8, v69
	s_cbranch_execnz .LBB1655_1015
.LBB1655_963:                           ;   in Loop: Header=BB1655_956 Depth=2
	s_or_b32 exec_lo, exec_lo, s10
	s_delay_alu instid0(SALU_CYCLE_1)
	s_mov_b32 s10, exec_lo
	v_cmpx_gt_u32_e64 s8, v70
	s_cbranch_execnz .LBB1655_1016
.LBB1655_964:                           ;   in Loop: Header=BB1655_956 Depth=2
	s_or_b32 exec_lo, exec_lo, s10
	s_delay_alu instid0(SALU_CYCLE_1)
	s_mov_b32 s10, exec_lo
	v_cmpx_gt_u32_e64 s8, v71
	s_cbranch_execnz .LBB1655_1017
.LBB1655_965:                           ;   in Loop: Header=BB1655_956 Depth=2
	s_or_b32 exec_lo, exec_lo, s10
	s_delay_alu instid0(SALU_CYCLE_1)
	s_mov_b32 s10, exec_lo
	v_cmpx_gt_u32_e64 s8, v72
	s_cbranch_execnz .LBB1655_1018
.LBB1655_966:                           ;   in Loop: Header=BB1655_956 Depth=2
	s_or_b32 exec_lo, exec_lo, s10
	s_delay_alu instid0(SALU_CYCLE_1)
	s_mov_b32 s10, exec_lo
	v_cmpx_gt_u32_e64 s8, v73
	s_cbranch_execnz .LBB1655_1019
.LBB1655_967:                           ;   in Loop: Header=BB1655_956 Depth=2
	s_or_b32 exec_lo, exec_lo, s10
	s_delay_alu instid0(SALU_CYCLE_1)
	s_mov_b32 s10, exec_lo
	v_cmpx_gt_u32_e64 s8, v74
	s_cbranch_execnz .LBB1655_1020
.LBB1655_968:                           ;   in Loop: Header=BB1655_956 Depth=2
	s_or_b32 exec_lo, exec_lo, s10
	s_delay_alu instid0(SALU_CYCLE_1)
	s_mov_b32 s10, exec_lo
	v_cmpx_gt_u32_e64 s8, v75
	s_cbranch_execnz .LBB1655_1021
.LBB1655_969:                           ;   in Loop: Header=BB1655_956 Depth=2
	s_or_b32 exec_lo, exec_lo, s10
	s_delay_alu instid0(SALU_CYCLE_1)
	s_mov_b32 s10, exec_lo
	v_cmpx_gt_u32_e64 s8, v76
	s_cbranch_execnz .LBB1655_1022
.LBB1655_970:                           ;   in Loop: Header=BB1655_956 Depth=2
	s_or_b32 exec_lo, exec_lo, s10
	s_delay_alu instid0(SALU_CYCLE_1)
	s_mov_b32 s10, exec_lo
	v_cmpx_gt_u32_e64 s8, v77
	s_cbranch_execnz .LBB1655_1023
.LBB1655_971:                           ;   in Loop: Header=BB1655_956 Depth=2
	s_or_b32 exec_lo, exec_lo, s10
	s_delay_alu instid0(SALU_CYCLE_1)
	s_mov_b32 s10, exec_lo
	v_cmpx_gt_u32_e64 s8, v78
	s_cbranch_execnz .LBB1655_1024
.LBB1655_972:                           ;   in Loop: Header=BB1655_956 Depth=2
	s_or_b32 exec_lo, exec_lo, s10
	s_delay_alu instid0(SALU_CYCLE_1)
	s_mov_b32 s10, exec_lo
	v_cmpx_gt_u32_e64 s8, v79
	s_cbranch_execnz .LBB1655_1025
.LBB1655_973:                           ;   in Loop: Header=BB1655_956 Depth=2
	s_or_b32 exec_lo, exec_lo, s10
	s_delay_alu instid0(SALU_CYCLE_1)
	s_mov_b32 s10, exec_lo
	v_cmpx_gt_u32_e64 s8, v80
	s_cbranch_execnz .LBB1655_1026
.LBB1655_974:                           ;   in Loop: Header=BB1655_956 Depth=2
	s_or_b32 exec_lo, exec_lo, s10
	s_delay_alu instid0(SALU_CYCLE_1)
	s_mov_b32 s10, exec_lo
	v_cmpx_gt_u32_e64 s8, v81
	s_cbranch_execnz .LBB1655_1027
.LBB1655_975:                           ;   in Loop: Header=BB1655_956 Depth=2
	s_or_b32 exec_lo, exec_lo, s10
	s_delay_alu instid0(SALU_CYCLE_1)
	s_mov_b32 s10, exec_lo
	v_cmpx_gt_u32_e64 s8, v82
	s_cbranch_execz .LBB1655_977
.LBB1655_976:                           ;   in Loop: Header=BB1655_956 Depth=2
	global_load_u8 v26, v[24:25], off offset:4096
.LBB1655_977:                           ;   in Loop: Header=BB1655_956 Depth=2
	s_wait_xcnt 0x0
	s_or_b32 exec_lo, exec_lo, s10
	s_wait_loadcnt 0x0
	v_dual_mov_b32 v24, v39 :: v_dual_mov_b32 v25, v42
	v_dual_mov_b32 v43, v41 :: v_dual_mov_b32 v44, v40
	;; [unrolled: 1-line block ×8, first 2 shown]
	v_mov_b32_e32 v57, v26
	s_mov_b32 s10, s8
.LBB1655_978:                           ;   in Loop: Header=BB1655_956 Depth=2
	s_wait_loadcnt 0xf
	s_delay_alu instid0(VALU_DEP_1)
	v_dual_mov_b32 v26, v57 :: v_dual_mov_b32 v27, v56
	s_wait_loadcnt 0xd
	v_dual_mov_b32 v28, v55 :: v_dual_mov_b32 v29, v54
	s_wait_loadcnt 0xb
	;; [unrolled: 2-line block ×8, first 2 shown]
	v_mov_b32_e32 v39, v24
	s_mov_b32 s11, exec_lo
	s_wait_xcnt 0x0
	v_cmpx_gt_u32_e64 s10, v2
	s_cbranch_execnz .LBB1655_995
; %bb.979:                              ;   in Loop: Header=BB1655_956 Depth=2
	s_or_b32 exec_lo, exec_lo, s11
	s_delay_alu instid0(SALU_CYCLE_1)
	s_mov_b32 s11, exec_lo
	v_cmpx_gt_u32_e64 s10, v67
	s_cbranch_execnz .LBB1655_996
.LBB1655_980:                           ;   in Loop: Header=BB1655_956 Depth=2
	s_or_b32 exec_lo, exec_lo, s11
	s_delay_alu instid0(SALU_CYCLE_1)
	s_mov_b32 s11, exec_lo
	v_cmpx_gt_u32_e64 s10, v68
	s_cbranch_execnz .LBB1655_997
.LBB1655_981:                           ;   in Loop: Header=BB1655_956 Depth=2
	s_or_b32 exec_lo, exec_lo, s11
	s_delay_alu instid0(SALU_CYCLE_1)
	s_mov_b32 s11, exec_lo
	v_cmpx_gt_u32_e64 s10, v69
	s_cbranch_execnz .LBB1655_998
.LBB1655_982:                           ;   in Loop: Header=BB1655_956 Depth=2
	s_or_b32 exec_lo, exec_lo, s11
	s_delay_alu instid0(SALU_CYCLE_1)
	s_mov_b32 s11, exec_lo
	v_cmpx_gt_u32_e64 s10, v70
	s_cbranch_execnz .LBB1655_999
.LBB1655_983:                           ;   in Loop: Header=BB1655_956 Depth=2
	s_or_b32 exec_lo, exec_lo, s11
	s_delay_alu instid0(SALU_CYCLE_1)
	s_mov_b32 s11, exec_lo
	v_cmpx_gt_u32_e64 s10, v71
	s_cbranch_execnz .LBB1655_1000
.LBB1655_984:                           ;   in Loop: Header=BB1655_956 Depth=2
	s_or_b32 exec_lo, exec_lo, s11
	s_delay_alu instid0(SALU_CYCLE_1)
	s_mov_b32 s11, exec_lo
	v_cmpx_gt_u32_e64 s10, v72
	s_cbranch_execnz .LBB1655_1001
.LBB1655_985:                           ;   in Loop: Header=BB1655_956 Depth=2
	s_or_b32 exec_lo, exec_lo, s11
	s_delay_alu instid0(SALU_CYCLE_1)
	s_mov_b32 s11, exec_lo
	v_cmpx_gt_u32_e64 s10, v73
	s_cbranch_execnz .LBB1655_1002
.LBB1655_986:                           ;   in Loop: Header=BB1655_956 Depth=2
	s_or_b32 exec_lo, exec_lo, s11
	s_delay_alu instid0(SALU_CYCLE_1)
	s_mov_b32 s11, exec_lo
	v_cmpx_gt_u32_e64 s10, v74
	s_cbranch_execnz .LBB1655_1003
.LBB1655_987:                           ;   in Loop: Header=BB1655_956 Depth=2
	s_or_b32 exec_lo, exec_lo, s11
	s_delay_alu instid0(SALU_CYCLE_1)
	s_mov_b32 s11, exec_lo
	v_cmpx_gt_u32_e64 s10, v75
	s_cbranch_execnz .LBB1655_1004
.LBB1655_988:                           ;   in Loop: Header=BB1655_956 Depth=2
	s_or_b32 exec_lo, exec_lo, s11
	s_delay_alu instid0(SALU_CYCLE_1)
	s_mov_b32 s11, exec_lo
	v_cmpx_gt_u32_e64 s10, v76
	s_cbranch_execnz .LBB1655_1005
.LBB1655_989:                           ;   in Loop: Header=BB1655_956 Depth=2
	s_or_b32 exec_lo, exec_lo, s11
	s_delay_alu instid0(SALU_CYCLE_1)
	s_mov_b32 s11, exec_lo
	v_cmpx_gt_u32_e64 s10, v77
	s_cbranch_execnz .LBB1655_1006
.LBB1655_990:                           ;   in Loop: Header=BB1655_956 Depth=2
	s_or_b32 exec_lo, exec_lo, s11
	s_delay_alu instid0(SALU_CYCLE_1)
	s_mov_b32 s11, exec_lo
	v_cmpx_gt_u32_e64 s10, v78
	s_cbranch_execnz .LBB1655_1007
.LBB1655_991:                           ;   in Loop: Header=BB1655_956 Depth=2
	s_or_b32 exec_lo, exec_lo, s11
	s_delay_alu instid0(SALU_CYCLE_1)
	s_mov_b32 s11, exec_lo
	v_cmpx_gt_u32_e64 s10, v79
	s_cbranch_execnz .LBB1655_1008
.LBB1655_992:                           ;   in Loop: Header=BB1655_956 Depth=2
	s_or_b32 exec_lo, exec_lo, s11
	s_delay_alu instid0(SALU_CYCLE_1)
	s_mov_b32 s11, exec_lo
	v_cmpx_gt_u32_e64 s10, v80
	s_cbranch_execnz .LBB1655_1009
.LBB1655_993:                           ;   in Loop: Header=BB1655_956 Depth=2
	s_or_b32 exec_lo, exec_lo, s11
	s_delay_alu instid0(SALU_CYCLE_1)
	s_mov_b32 s11, exec_lo
	v_cmpx_gt_u32_e64 s10, v81
	s_cbranch_execnz .LBB1655_1010
.LBB1655_994:                           ;   in Loop: Header=BB1655_956 Depth=2
	s_or_b32 exec_lo, exec_lo, s11
	v_cmp_gt_u32_e32 vcc_lo, s10, v82
	s_and_saveexec_b32 s10, vcc_lo
	s_cbranch_execz .LBB1655_955
	s_branch .LBB1655_1011
.LBB1655_995:                           ;   in Loop: Header=BB1655_956 Depth=2
	v_and_b32_e32 v24, 1, v39
	s_delay_alu instid0(VALU_DEP_1) | instskip(NEXT) | instid1(VALU_DEP_1)
	v_lshrrev_b32_e32 v24, s49, v24
	v_and_b32_e32 v24, s48, v24
	s_delay_alu instid0(VALU_DEP_1) | instskip(SKIP_2) | instid1(SALU_CYCLE_1)
	v_lshl_or_b32 v24, v24, 4, v84
	ds_add_u32 v24, v7
	s_or_b32 exec_lo, exec_lo, s11
	s_mov_b32 s11, exec_lo
	v_cmpx_gt_u32_e64 s10, v67
	s_cbranch_execz .LBB1655_980
.LBB1655_996:                           ;   in Loop: Header=BB1655_956 Depth=2
	v_and_b32_e32 v24, 1, v42
	s_delay_alu instid0(VALU_DEP_1) | instskip(NEXT) | instid1(VALU_DEP_1)
	v_lshrrev_b32_e32 v24, s49, v24
	v_and_b32_e32 v24, s48, v24
	s_delay_alu instid0(VALU_DEP_1) | instskip(SKIP_2) | instid1(SALU_CYCLE_1)
	v_lshl_or_b32 v24, v24, 4, v84
	ds_add_u32 v24, v7
	s_or_b32 exec_lo, exec_lo, s11
	s_mov_b32 s11, exec_lo
	v_cmpx_gt_u32_e64 s10, v68
	s_cbranch_execz .LBB1655_981
.LBB1655_997:                           ;   in Loop: Header=BB1655_956 Depth=2
	v_and_b32_e32 v24, 1, v41
	s_delay_alu instid0(VALU_DEP_1) | instskip(NEXT) | instid1(VALU_DEP_1)
	v_lshrrev_b32_e32 v24, s49, v24
	v_and_b32_e32 v24, s48, v24
	s_delay_alu instid0(VALU_DEP_1) | instskip(SKIP_2) | instid1(SALU_CYCLE_1)
	v_lshl_or_b32 v24, v24, 4, v84
	ds_add_u32 v24, v7
	s_or_b32 exec_lo, exec_lo, s11
	s_mov_b32 s11, exec_lo
	v_cmpx_gt_u32_e64 s10, v69
	s_cbranch_execz .LBB1655_982
.LBB1655_998:                           ;   in Loop: Header=BB1655_956 Depth=2
	v_and_b32_e32 v24, 1, v40
	s_delay_alu instid0(VALU_DEP_1) | instskip(NEXT) | instid1(VALU_DEP_1)
	v_lshrrev_b32_e32 v24, s49, v24
	v_and_b32_e32 v24, s48, v24
	s_delay_alu instid0(VALU_DEP_1) | instskip(SKIP_2) | instid1(SALU_CYCLE_1)
	v_lshl_or_b32 v24, v24, 4, v84
	ds_add_u32 v24, v7
	s_or_b32 exec_lo, exec_lo, s11
	s_mov_b32 s11, exec_lo
	v_cmpx_gt_u32_e64 s10, v70
	s_cbranch_execz .LBB1655_983
.LBB1655_999:                           ;   in Loop: Header=BB1655_956 Depth=2
	v_and_b32_e32 v24, 1, v38
	s_delay_alu instid0(VALU_DEP_1) | instskip(NEXT) | instid1(VALU_DEP_1)
	v_lshrrev_b32_e32 v24, s49, v24
	v_and_b32_e32 v24, s48, v24
	s_delay_alu instid0(VALU_DEP_1) | instskip(SKIP_2) | instid1(SALU_CYCLE_1)
	v_lshl_or_b32 v24, v24, 4, v84
	ds_add_u32 v24, v7
	s_or_b32 exec_lo, exec_lo, s11
	s_mov_b32 s11, exec_lo
	v_cmpx_gt_u32_e64 s10, v71
	s_cbranch_execz .LBB1655_984
.LBB1655_1000:                          ;   in Loop: Header=BB1655_956 Depth=2
	v_and_b32_e32 v24, 1, v37
	s_delay_alu instid0(VALU_DEP_1) | instskip(NEXT) | instid1(VALU_DEP_1)
	v_lshrrev_b32_e32 v24, s49, v24
	v_and_b32_e32 v24, s48, v24
	s_delay_alu instid0(VALU_DEP_1) | instskip(SKIP_2) | instid1(SALU_CYCLE_1)
	v_lshl_or_b32 v24, v24, 4, v84
	ds_add_u32 v24, v7
	s_or_b32 exec_lo, exec_lo, s11
	s_mov_b32 s11, exec_lo
	v_cmpx_gt_u32_e64 s10, v72
	s_cbranch_execz .LBB1655_985
.LBB1655_1001:                          ;   in Loop: Header=BB1655_956 Depth=2
	v_and_b32_e32 v24, 1, v36
	s_delay_alu instid0(VALU_DEP_1) | instskip(NEXT) | instid1(VALU_DEP_1)
	v_lshrrev_b32_e32 v24, s49, v24
	v_and_b32_e32 v24, s48, v24
	s_delay_alu instid0(VALU_DEP_1) | instskip(SKIP_2) | instid1(SALU_CYCLE_1)
	v_lshl_or_b32 v24, v24, 4, v84
	ds_add_u32 v24, v7
	s_or_b32 exec_lo, exec_lo, s11
	s_mov_b32 s11, exec_lo
	v_cmpx_gt_u32_e64 s10, v73
	s_cbranch_execz .LBB1655_986
.LBB1655_1002:                          ;   in Loop: Header=BB1655_956 Depth=2
	v_and_b32_e32 v24, 1, v35
	s_delay_alu instid0(VALU_DEP_1) | instskip(NEXT) | instid1(VALU_DEP_1)
	v_lshrrev_b32_e32 v24, s49, v24
	v_and_b32_e32 v24, s48, v24
	s_delay_alu instid0(VALU_DEP_1) | instskip(SKIP_2) | instid1(SALU_CYCLE_1)
	v_lshl_or_b32 v24, v24, 4, v84
	ds_add_u32 v24, v7
	s_or_b32 exec_lo, exec_lo, s11
	s_mov_b32 s11, exec_lo
	v_cmpx_gt_u32_e64 s10, v74
	s_cbranch_execz .LBB1655_987
.LBB1655_1003:                          ;   in Loop: Header=BB1655_956 Depth=2
	v_and_b32_e32 v24, 1, v34
	s_delay_alu instid0(VALU_DEP_1) | instskip(NEXT) | instid1(VALU_DEP_1)
	v_lshrrev_b32_e32 v24, s49, v24
	v_and_b32_e32 v24, s48, v24
	s_delay_alu instid0(VALU_DEP_1) | instskip(SKIP_2) | instid1(SALU_CYCLE_1)
	v_lshl_or_b32 v24, v24, 4, v84
	ds_add_u32 v24, v7
	s_or_b32 exec_lo, exec_lo, s11
	s_mov_b32 s11, exec_lo
	v_cmpx_gt_u32_e64 s10, v75
	s_cbranch_execz .LBB1655_988
.LBB1655_1004:                          ;   in Loop: Header=BB1655_956 Depth=2
	v_and_b32_e32 v24, 1, v33
	s_delay_alu instid0(VALU_DEP_1) | instskip(NEXT) | instid1(VALU_DEP_1)
	v_lshrrev_b32_e32 v24, s49, v24
	v_and_b32_e32 v24, s48, v24
	s_delay_alu instid0(VALU_DEP_1) | instskip(SKIP_2) | instid1(SALU_CYCLE_1)
	v_lshl_or_b32 v24, v24, 4, v84
	ds_add_u32 v24, v7
	s_or_b32 exec_lo, exec_lo, s11
	s_mov_b32 s11, exec_lo
	v_cmpx_gt_u32_e64 s10, v76
	s_cbranch_execz .LBB1655_989
.LBB1655_1005:                          ;   in Loop: Header=BB1655_956 Depth=2
	v_and_b32_e32 v24, 1, v32
	s_delay_alu instid0(VALU_DEP_1) | instskip(NEXT) | instid1(VALU_DEP_1)
	v_lshrrev_b32_e32 v24, s49, v24
	v_and_b32_e32 v24, s48, v24
	s_delay_alu instid0(VALU_DEP_1) | instskip(SKIP_2) | instid1(SALU_CYCLE_1)
	v_lshl_or_b32 v24, v24, 4, v84
	ds_add_u32 v24, v7
	s_or_b32 exec_lo, exec_lo, s11
	s_mov_b32 s11, exec_lo
	v_cmpx_gt_u32_e64 s10, v77
	s_cbranch_execz .LBB1655_990
.LBB1655_1006:                          ;   in Loop: Header=BB1655_956 Depth=2
	v_and_b32_e32 v24, 1, v31
	s_delay_alu instid0(VALU_DEP_1) | instskip(NEXT) | instid1(VALU_DEP_1)
	v_lshrrev_b32_e32 v24, s49, v24
	v_and_b32_e32 v24, s48, v24
	s_delay_alu instid0(VALU_DEP_1) | instskip(SKIP_2) | instid1(SALU_CYCLE_1)
	v_lshl_or_b32 v24, v24, 4, v84
	ds_add_u32 v24, v7
	s_or_b32 exec_lo, exec_lo, s11
	s_mov_b32 s11, exec_lo
	v_cmpx_gt_u32_e64 s10, v78
	s_cbranch_execz .LBB1655_991
.LBB1655_1007:                          ;   in Loop: Header=BB1655_956 Depth=2
	v_and_b32_e32 v24, 1, v30
	s_delay_alu instid0(VALU_DEP_1) | instskip(NEXT) | instid1(VALU_DEP_1)
	v_lshrrev_b32_e32 v24, s49, v24
	v_and_b32_e32 v24, s48, v24
	s_delay_alu instid0(VALU_DEP_1) | instskip(SKIP_2) | instid1(SALU_CYCLE_1)
	v_lshl_or_b32 v24, v24, 4, v84
	ds_add_u32 v24, v7
	s_or_b32 exec_lo, exec_lo, s11
	s_mov_b32 s11, exec_lo
	v_cmpx_gt_u32_e64 s10, v79
	s_cbranch_execz .LBB1655_992
.LBB1655_1008:                          ;   in Loop: Header=BB1655_956 Depth=2
	v_and_b32_e32 v24, 1, v29
	s_delay_alu instid0(VALU_DEP_1) | instskip(NEXT) | instid1(VALU_DEP_1)
	v_lshrrev_b32_e32 v24, s49, v24
	v_and_b32_e32 v24, s48, v24
	s_delay_alu instid0(VALU_DEP_1) | instskip(SKIP_2) | instid1(SALU_CYCLE_1)
	v_lshl_or_b32 v24, v24, 4, v84
	ds_add_u32 v24, v7
	s_or_b32 exec_lo, exec_lo, s11
	s_mov_b32 s11, exec_lo
	v_cmpx_gt_u32_e64 s10, v80
	s_cbranch_execz .LBB1655_993
.LBB1655_1009:                          ;   in Loop: Header=BB1655_956 Depth=2
	v_and_b32_e32 v24, 1, v28
	s_delay_alu instid0(VALU_DEP_1) | instskip(NEXT) | instid1(VALU_DEP_1)
	v_lshrrev_b32_e32 v24, s49, v24
	v_and_b32_e32 v24, s48, v24
	s_delay_alu instid0(VALU_DEP_1) | instskip(SKIP_2) | instid1(SALU_CYCLE_1)
	v_lshl_or_b32 v24, v24, 4, v84
	ds_add_u32 v24, v7
	s_or_b32 exec_lo, exec_lo, s11
	s_mov_b32 s11, exec_lo
	v_cmpx_gt_u32_e64 s10, v81
	s_cbranch_execz .LBB1655_994
.LBB1655_1010:                          ;   in Loop: Header=BB1655_956 Depth=2
	v_and_b32_e32 v24, 1, v27
	s_delay_alu instid0(VALU_DEP_1) | instskip(NEXT) | instid1(VALU_DEP_1)
	v_lshrrev_b32_e32 v24, s49, v24
	v_and_b32_e32 v24, s48, v24
	s_delay_alu instid0(VALU_DEP_1)
	v_lshl_or_b32 v24, v24, 4, v84
	ds_add_u32 v24, v7
	s_or_b32 exec_lo, exec_lo, s11
	v_cmp_gt_u32_e32 vcc_lo, s10, v82
	s_and_saveexec_b32 s10, vcc_lo
	s_cbranch_execz .LBB1655_955
.LBB1655_1011:                          ;   in Loop: Header=BB1655_956 Depth=2
	v_and_b32_e32 v24, 1, v26
	s_delay_alu instid0(VALU_DEP_1) | instskip(NEXT) | instid1(VALU_DEP_1)
	v_lshrrev_b32_e32 v24, s49, v24
	v_and_b32_e32 v24, s48, v24
	s_delay_alu instid0(VALU_DEP_1)
	v_lshl_or_b32 v24, v24, 4, v84
	ds_add_u32 v24, v7
	s_branch .LBB1655_955
.LBB1655_1012:                          ;   in Loop: Header=BB1655_956 Depth=2
	global_load_u8 v39, v[24:25], off
	s_wait_xcnt 0x0
	s_or_b32 exec_lo, exec_lo, s10
	s_delay_alu instid0(SALU_CYCLE_1)
	s_mov_b32 s10, exec_lo
	v_cmpx_gt_u32_e64 s8, v67
	s_cbranch_execz .LBB1655_961
.LBB1655_1013:                          ;   in Loop: Header=BB1655_956 Depth=2
	global_load_u8 v42, v[24:25], off offset:256
	s_wait_xcnt 0x0
	s_or_b32 exec_lo, exec_lo, s10
	s_delay_alu instid0(SALU_CYCLE_1)
	s_mov_b32 s10, exec_lo
	v_cmpx_gt_u32_e64 s8, v68
	s_cbranch_execz .LBB1655_962
.LBB1655_1014:                          ;   in Loop: Header=BB1655_956 Depth=2
	global_load_u8 v41, v[24:25], off offset:512
	s_wait_xcnt 0x0
	s_or_b32 exec_lo, exec_lo, s10
	s_delay_alu instid0(SALU_CYCLE_1)
	s_mov_b32 s10, exec_lo
	v_cmpx_gt_u32_e64 s8, v69
	s_cbranch_execz .LBB1655_963
.LBB1655_1015:                          ;   in Loop: Header=BB1655_956 Depth=2
	global_load_u8 v40, v[24:25], off offset:768
	s_wait_xcnt 0x0
	s_or_b32 exec_lo, exec_lo, s10
	s_delay_alu instid0(SALU_CYCLE_1)
	s_mov_b32 s10, exec_lo
	v_cmpx_gt_u32_e64 s8, v70
	s_cbranch_execz .LBB1655_964
.LBB1655_1016:                          ;   in Loop: Header=BB1655_956 Depth=2
	global_load_u8 v38, v[24:25], off offset:1024
	s_wait_xcnt 0x0
	s_or_b32 exec_lo, exec_lo, s10
	s_delay_alu instid0(SALU_CYCLE_1)
	s_mov_b32 s10, exec_lo
	v_cmpx_gt_u32_e64 s8, v71
	s_cbranch_execz .LBB1655_965
.LBB1655_1017:                          ;   in Loop: Header=BB1655_956 Depth=2
	global_load_u8 v37, v[24:25], off offset:1280
	s_wait_xcnt 0x0
	s_or_b32 exec_lo, exec_lo, s10
	s_delay_alu instid0(SALU_CYCLE_1)
	s_mov_b32 s10, exec_lo
	v_cmpx_gt_u32_e64 s8, v72
	s_cbranch_execz .LBB1655_966
.LBB1655_1018:                          ;   in Loop: Header=BB1655_956 Depth=2
	global_load_u8 v36, v[24:25], off offset:1536
	s_wait_xcnt 0x0
	s_or_b32 exec_lo, exec_lo, s10
	s_delay_alu instid0(SALU_CYCLE_1)
	s_mov_b32 s10, exec_lo
	v_cmpx_gt_u32_e64 s8, v73
	s_cbranch_execz .LBB1655_967
.LBB1655_1019:                          ;   in Loop: Header=BB1655_956 Depth=2
	global_load_u8 v35, v[24:25], off offset:1792
	s_wait_xcnt 0x0
	s_or_b32 exec_lo, exec_lo, s10
	s_delay_alu instid0(SALU_CYCLE_1)
	s_mov_b32 s10, exec_lo
	v_cmpx_gt_u32_e64 s8, v74
	s_cbranch_execz .LBB1655_968
.LBB1655_1020:                          ;   in Loop: Header=BB1655_956 Depth=2
	global_load_u8 v34, v[24:25], off offset:2048
	s_wait_xcnt 0x0
	s_or_b32 exec_lo, exec_lo, s10
	s_delay_alu instid0(SALU_CYCLE_1)
	s_mov_b32 s10, exec_lo
	v_cmpx_gt_u32_e64 s8, v75
	s_cbranch_execz .LBB1655_969
.LBB1655_1021:                          ;   in Loop: Header=BB1655_956 Depth=2
	global_load_u8 v33, v[24:25], off offset:2304
	s_wait_xcnt 0x0
	s_or_b32 exec_lo, exec_lo, s10
	s_delay_alu instid0(SALU_CYCLE_1)
	s_mov_b32 s10, exec_lo
	v_cmpx_gt_u32_e64 s8, v76
	s_cbranch_execz .LBB1655_970
.LBB1655_1022:                          ;   in Loop: Header=BB1655_956 Depth=2
	global_load_u8 v32, v[24:25], off offset:2560
	s_wait_xcnt 0x0
	s_or_b32 exec_lo, exec_lo, s10
	s_delay_alu instid0(SALU_CYCLE_1)
	s_mov_b32 s10, exec_lo
	v_cmpx_gt_u32_e64 s8, v77
	s_cbranch_execz .LBB1655_971
.LBB1655_1023:                          ;   in Loop: Header=BB1655_956 Depth=2
	global_load_u8 v31, v[24:25], off offset:2816
	s_wait_xcnt 0x0
	s_or_b32 exec_lo, exec_lo, s10
	s_delay_alu instid0(SALU_CYCLE_1)
	s_mov_b32 s10, exec_lo
	v_cmpx_gt_u32_e64 s8, v78
	s_cbranch_execz .LBB1655_972
.LBB1655_1024:                          ;   in Loop: Header=BB1655_956 Depth=2
	global_load_u8 v30, v[24:25], off offset:3072
	s_wait_xcnt 0x0
	s_or_b32 exec_lo, exec_lo, s10
	s_delay_alu instid0(SALU_CYCLE_1)
	s_mov_b32 s10, exec_lo
	v_cmpx_gt_u32_e64 s8, v79
	s_cbranch_execz .LBB1655_973
.LBB1655_1025:                          ;   in Loop: Header=BB1655_956 Depth=2
	global_load_u8 v29, v[24:25], off offset:3328
	s_wait_xcnt 0x0
	s_or_b32 exec_lo, exec_lo, s10
	s_delay_alu instid0(SALU_CYCLE_1)
	s_mov_b32 s10, exec_lo
	v_cmpx_gt_u32_e64 s8, v80
	s_cbranch_execz .LBB1655_974
.LBB1655_1026:                          ;   in Loop: Header=BB1655_956 Depth=2
	global_load_u8 v28, v[24:25], off offset:3584
	s_wait_xcnt 0x0
	s_or_b32 exec_lo, exec_lo, s10
	s_delay_alu instid0(SALU_CYCLE_1)
	s_mov_b32 s10, exec_lo
	v_cmpx_gt_u32_e64 s8, v81
	s_cbranch_execz .LBB1655_975
.LBB1655_1027:                          ;   in Loop: Header=BB1655_956 Depth=2
	global_load_u8 v27, v[24:25], off offset:3840
	s_wait_xcnt 0x0
	s_or_b32 exec_lo, exec_lo, s10
	s_delay_alu instid0(SALU_CYCLE_1)
	s_mov_b32 s10, exec_lo
	v_cmpx_gt_u32_e64 s8, v82
	s_cbranch_execnz .LBB1655_976
	s_branch .LBB1655_977
.LBB1655_1028:                          ;   in Loop: Header=BB1655_20 Depth=1
	v_mov_b32_e32 v24, 0
	s_wait_dscnt 0x0
	s_barrier_signal -1
	s_barrier_wait -1
	s_and_saveexec_b32 s8, s0
	s_cbranch_execz .LBB1655_1030
; %bb.1029:                             ;   in Loop: Header=BB1655_20 Depth=1
	ds_load_2addr_b64 v[24:27], v85 offset1:1
	s_wait_dscnt 0x0
	v_add_nc_u32_e32 v24, v25, v24
	s_delay_alu instid0(VALU_DEP_1)
	v_add3_u32 v24, v24, v26, v27
.LBB1655_1030:                          ;   in Loop: Header=BB1655_20 Depth=1
	s_or_b32 exec_lo, exec_lo, s8
	v_and_b32_e32 v25, 15, v0
	s_delay_alu instid0(VALU_DEP_2) | instskip(SKIP_1) | instid1(VALU_DEP_3)
	v_mov_b32_dpp v26, v24 row_shr:1 row_mask:0xf bank_mask:0xf
	v_and_b32_e32 v27, 16, v0
	v_cmp_eq_u32_e64 s8, 0, v25
	v_cmp_lt_u32_e64 s9, 1, v25
	s_delay_alu instid0(VALU_DEP_3) | instskip(NEXT) | instid1(VALU_DEP_3)
	v_cmp_eq_u32_e64 s12, 0, v27
	v_cndmask_b32_e64 v26, v26, 0, s8
	s_delay_alu instid0(VALU_DEP_1) | instskip(NEXT) | instid1(VALU_DEP_1)
	v_add_nc_u32_e32 v24, v26, v24
	v_mov_b32_dpp v26, v24 row_shr:2 row_mask:0xf bank_mask:0xf
	s_delay_alu instid0(VALU_DEP_1) | instskip(SKIP_2) | instid1(VALU_DEP_3)
	v_cndmask_b32_e64 v26, 0, v26, s9
	v_cmp_lt_u32_e64 s11, 7, v25
	v_cmp_lt_u32_e64 s10, 3, v25
	v_add_nc_u32_e32 v24, v24, v26
	s_delay_alu instid0(VALU_DEP_1) | instskip(NEXT) | instid1(VALU_DEP_1)
	v_mov_b32_dpp v26, v24 row_shr:4 row_mask:0xf bank_mask:0xf
	v_cndmask_b32_e64 v26, 0, v26, s10
	s_delay_alu instid0(VALU_DEP_1) | instskip(NEXT) | instid1(VALU_DEP_1)
	v_add_nc_u32_e32 v24, v24, v26
	v_mov_b32_dpp v26, v24 row_shr:8 row_mask:0xf bank_mask:0xf
	s_delay_alu instid0(VALU_DEP_1) | instskip(SKIP_1) | instid1(VALU_DEP_2)
	v_cndmask_b32_e64 v25, 0, v26, s11
	v_bfe_i32 v26, v0, 4, 1
	v_add_nc_u32_e32 v24, v24, v25
	ds_swizzle_b32 v25, v24 offset:swizzle(BROADCAST,32,15)
	s_wait_dscnt 0x0
	v_and_b32_e32 v25, v26, v25
	s_delay_alu instid0(VALU_DEP_1)
	v_add_nc_u32_e32 v24, v24, v25
	s_and_saveexec_b32 s13, s1
; %bb.1031:                             ;   in Loop: Header=BB1655_20 Depth=1
	ds_store_b32 v86, v24
; %bb.1032:                             ;   in Loop: Header=BB1655_20 Depth=1
	s_or_b32 exec_lo, exec_lo, s13
	s_wait_dscnt 0x0
	s_barrier_signal -1
	s_barrier_wait -1
	s_and_saveexec_b32 s13, s4
	s_cbranch_execz .LBB1655_1034
; %bb.1033:                             ;   in Loop: Header=BB1655_20 Depth=1
	ds_load_b32 v25, v87
	s_wait_dscnt 0x0
	v_mov_b32_dpp v27, v25 row_shr:1 row_mask:0xf bank_mask:0xf
	v_and_b32_e32 v26, 3, v0
	s_delay_alu instid0(VALU_DEP_1) | instskip(NEXT) | instid1(VALU_DEP_3)
	v_cmp_ne_u32_e32 vcc_lo, 0, v26
	v_cndmask_b32_e32 v27, 0, v27, vcc_lo
	v_cmp_lt_u32_e32 vcc_lo, 1, v26
	s_delay_alu instid0(VALU_DEP_2) | instskip(NEXT) | instid1(VALU_DEP_1)
	v_add_nc_u32_e32 v25, v27, v25
	v_mov_b32_dpp v27, v25 row_shr:2 row_mask:0xf bank_mask:0xf
	s_delay_alu instid0(VALU_DEP_1) | instskip(NEXT) | instid1(VALU_DEP_1)
	v_cndmask_b32_e32 v26, 0, v27, vcc_lo
	v_add_nc_u32_e32 v25, v25, v26
	ds_store_b32 v87, v25
.LBB1655_1034:                          ;   in Loop: Header=BB1655_20 Depth=1
	s_or_b32 exec_lo, exec_lo, s13
	v_mov_b32_e32 v25, 0
	s_wait_dscnt 0x0
	s_barrier_signal -1
	s_barrier_wait -1
	s_and_saveexec_b32 s13, s5
; %bb.1035:                             ;   in Loop: Header=BB1655_20 Depth=1
	ds_load_b32 v25, v88
; %bb.1036:                             ;   in Loop: Header=BB1655_20 Depth=1
	s_or_b32 exec_lo, exec_lo, s13
	v_sub_co_u32 v26, s13, v0, 1
	s_wait_dscnt 0x0
	s_barrier_signal -1
	s_barrier_wait -1
	s_delay_alu instid0(VALU_DEP_1) | instskip(SKIP_1) | instid1(VALU_DEP_1)
	v_cmp_gt_i32_e32 vcc_lo, 0, v26
	v_cndmask_b32_e32 v26, v26, v0, vcc_lo
	v_dual_add_nc_u32 v24, v25, v24 :: v_dual_lshlrev_b32 v96, 2, v26
	ds_bpermute_b32 v24, v96, v24
	s_and_saveexec_b32 s14, s0
	s_cbranch_execz .LBB1655_1038
; %bb.1037:                             ;   in Loop: Header=BB1655_20 Depth=1
	s_wait_dscnt 0x0
	v_cndmask_b32_e64 v24, v24, v25, s13
	s_delay_alu instid0(VALU_DEP_1)
	v_add_nc_u32_e32 v24, s55, v24
	ds_store_b32 v66, v24
.LBB1655_1038:                          ;   in Loop: Header=BB1655_20 Depth=1
	s_or_b32 exec_lo, exec_lo, s14
	s_load_b64 s[14:15], s[52:53], 0x0
	s_wait_dscnt 0x0
	v_dual_lshlrev_b32 v24, 3, v0 :: v_dual_bitop2_b32 v26, 7, v0 bitop3:0x40
	v_dual_mov_b32 v25, v1 :: v_dual_bitop2_b32 v97, v0, v6 bitop3:0x54
	s_mov_b32 s58, s57
                                        ; implicit-def: $vgpr30_vgpr31
                                        ; implicit-def: $vgpr32_vgpr33
                                        ; implicit-def: $vgpr34_vgpr35
                                        ; implicit-def: $vgpr36_vgpr37
                                        ; implicit-def: $vgpr38_vgpr39
                                        ; implicit-def: $vgpr40_vgpr41
                                        ; implicit-def: $vgpr42_vgpr43
                                        ; implicit-def: $vgpr44_vgpr45
                                        ; implicit-def: $vgpr46_vgpr47
                                        ; implicit-def: $vgpr48_vgpr49
                                        ; implicit-def: $vgpr50_vgpr51
                                        ; implicit-def: $vgpr52_vgpr53
                                        ; implicit-def: $vgpr54_vgpr55
                                        ; implicit-def: $vgpr56_vgpr57
                                        ; implicit-def: $vgpr58_vgpr59
                                        ; implicit-def: $vgpr60_vgpr61
                                        ; implicit-def: $vgpr115
                                        ; implicit-def: $vgpr116
                                        ; implicit-def: $vgpr117
                                        ; implicit-def: $vgpr118
                                        ; implicit-def: $vgpr119
                                        ; implicit-def: $vgpr120
                                        ; implicit-def: $vgpr121
                                        ; implicit-def: $vgpr122
                                        ; implicit-def: $vgpr123
                                        ; implicit-def: $vgpr124
                                        ; implicit-def: $vgpr125
                                        ; implicit-def: $vgpr126
                                        ; implicit-def: $vgpr127
                                        ; implicit-def: $vgpr128
                                        ; implicit-def: $vgpr129
                                        ; implicit-def: $vgpr130
                                        ; implicit-def: $vgpr131
                                        ; implicit-def: $vgpr132
                                        ; implicit-def: $vgpr133
	s_delay_alu instid0(VALU_DEP_1) | instskip(NEXT) | instid1(VALU_DEP_2)
	v_add_nc_u64_e32 v[24:25], v[20:21], v[24:25]
	v_dual_add_nc_u32 v98, 32, v97 :: v_dual_add_nc_u32 v99, 64, v97
	v_add_nc_u32_e32 v100, 0x60, v97
	v_add_nc_u32_e32 v101, 0x80, v97
	;; [unrolled: 1-line block ×9, first 2 shown]
	s_wait_kmcnt 0x0
	s_cmp_lt_u32 s51, s14
	v_add_nc_u32_e32 v109, 0x180, v97
	s_cselect_b32 s34, 12, 18
	s_cmp_lt_u32 s42, s15
	s_mov_b32 s15, s35
	s_cselect_b32 s14, 14, 20
	v_add_nc_u32_e32 v110, 0x1a0, v97
	s_add_nc_u64 s[14:15], s[52:53], s[14:15]
	v_add_nc_u32_e32 v111, 0x1c0, v97
	s_load_u16 s16, s[14:15], 0x0
	s_wait_xcnt 0x0
	s_add_nc_u64 s[14:15], s[52:53], s[34:35]
	v_add_nc_u32_e32 v112, 0x1e0, v97
	s_load_u16 s17, s[14:15], 0x0
	s_wait_xcnt 0x0
	v_cmp_eq_u32_e64 s14, 0, v26
	v_cmp_lt_u32_e64 s15, 1, v26
	v_add_nc_u32_e32 v113, 0x200, v97
	s_mov_b32 s34, s55
	s_wait_kmcnt 0x0
	v_mad_u32_u24 v27, v89, s16, v91
	v_cmp_lt_u32_e64 s16, 3, v26
	s_delay_alu instid0(VALU_DEP_2) | instskip(NEXT) | instid1(VALU_DEP_1)
	v_mad_u32 v26, v27, s17, v2
	v_lshrrev_b32_e32 v28, 3, v26
	v_add_nc_u64_e32 v[26:27], v[22:23], v[0:1]
	s_delay_alu instid0(VALU_DEP_2)
	v_and_b32_e32 v114, 0x1ffffffc, v28
                                        ; implicit-def: $vgpr28_vgpr29
	s_branch .LBB1655_1040
.LBB1655_1039:                          ;   in Loop: Header=BB1655_1040 Depth=2
	s_or_b32 exec_lo, exec_lo, s17
	s_addk_co_i32 s58, 0xef00
	s_cmp_lt_u32 s59, s54
	s_mov_b32 s34, s59
	s_cbranch_scc0 .LBB1655_18
.LBB1655_1040:                          ;   Parent Loop BB1655_20 Depth=1
                                        ; =>  This Inner Loop Header: Depth=2
	s_add_co_i32 s59, s34, 0x1100
	s_delay_alu instid0(SALU_CYCLE_1)
	s_cmp_gt_u32 s59, s54
	s_cbranch_scc1 .LBB1655_1042
; %bb.1041:                             ;   in Loop: Header=BB1655_1040 Depth=2
	s_delay_alu instid0(VALU_DEP_2)
	v_add_nc_u64_e32 v[62:63], s[34:35], v[26:27]
	s_mov_b32 s17, -1
	s_clause 0xf
	global_load_u8 v135, v[62:63], off
	global_load_u8 v136, v[62:63], off offset:32
	global_load_u8 v137, v[62:63], off offset:64
	;; [unrolled: 1-line block ×15, first 2 shown]
	s_movk_i32 s18, 0x1100
	s_cbranch_execz .LBB1655_1043
	s_branch .LBB1655_1076
.LBB1655_1042:                          ;   in Loop: Header=BB1655_1040 Depth=2
	s_mov_b32 s17, 0
                                        ; implicit-def: $vgpr135
                                        ; implicit-def: $vgpr136
                                        ; implicit-def: $vgpr137
                                        ; implicit-def: $vgpr138
                                        ; implicit-def: $vgpr139
                                        ; implicit-def: $vgpr140
                                        ; implicit-def: $vgpr141
                                        ; implicit-def: $vgpr142
                                        ; implicit-def: $vgpr143
                                        ; implicit-def: $vgpr144
                                        ; implicit-def: $vgpr145
                                        ; implicit-def: $vgpr146
                                        ; implicit-def: $vgpr147
                                        ; implicit-def: $vgpr148
                                        ; implicit-def: $vgpr149
                                        ; implicit-def: $vgpr150
	s_movk_i32 s18, 0x1100
.LBB1655_1043:                          ;   in Loop: Header=BB1655_1040 Depth=2
	s_wait_xcnt 0x0
	v_add_nc_u64_e32 v[62:63], s[34:35], v[26:27]
	s_wait_loadcnt 0xe
	v_dual_mov_b32 v136, 1 :: v_dual_mov_b32 v135, 1
	s_mov_b32 s17, exec_lo
	v_cmpx_gt_u32_e64 s58, v97
	s_cbranch_execz .LBB1655_1045
; %bb.1044:                             ;   in Loop: Header=BB1655_1040 Depth=2
	global_load_u8 v135, v[62:63], off
.LBB1655_1045:                          ;   in Loop: Header=BB1655_1040 Depth=2
	s_wait_xcnt 0x0
	s_or_b32 exec_lo, exec_lo, s17
	s_delay_alu instid0(SALU_CYCLE_1)
	s_mov_b32 s17, exec_lo
	v_cmpx_gt_u32_e64 s58, v98
	s_cbranch_execz .LBB1655_1047
; %bb.1046:                             ;   in Loop: Header=BB1655_1040 Depth=2
	global_load_u8 v136, v[62:63], off offset:32
.LBB1655_1047:                          ;   in Loop: Header=BB1655_1040 Depth=2
	s_wait_xcnt 0x0
	s_or_b32 exec_lo, exec_lo, s17
	s_wait_loadcnt 0xc
	v_dual_mov_b32 v138, 1 :: v_dual_mov_b32 v137, 1
	s_mov_b32 s17, exec_lo
	v_cmpx_gt_u32_e64 s58, v99
	s_cbranch_execz .LBB1655_1049
; %bb.1048:                             ;   in Loop: Header=BB1655_1040 Depth=2
	global_load_u8 v137, v[62:63], off offset:64
.LBB1655_1049:                          ;   in Loop: Header=BB1655_1040 Depth=2
	s_wait_xcnt 0x0
	s_or_b32 exec_lo, exec_lo, s17
	s_delay_alu instid0(SALU_CYCLE_1)
	s_mov_b32 s17, exec_lo
	v_cmpx_gt_u32_e64 s58, v100
	s_cbranch_execz .LBB1655_1051
; %bb.1050:                             ;   in Loop: Header=BB1655_1040 Depth=2
	global_load_u8 v138, v[62:63], off offset:96
.LBB1655_1051:                          ;   in Loop: Header=BB1655_1040 Depth=2
	s_wait_xcnt 0x0
	s_or_b32 exec_lo, exec_lo, s17
	s_wait_loadcnt 0xa
	v_dual_mov_b32 v140, 1 :: v_dual_mov_b32 v139, 1
	s_mov_b32 s17, exec_lo
	v_cmpx_gt_u32_e64 s58, v101
	s_cbranch_execz .LBB1655_1053
; %bb.1052:                             ;   in Loop: Header=BB1655_1040 Depth=2
	global_load_u8 v139, v[62:63], off offset:128
.LBB1655_1053:                          ;   in Loop: Header=BB1655_1040 Depth=2
	;; [unrolled: 19-line block ×7, first 2 shown]
	s_wait_xcnt 0x0
	s_or_b32 exec_lo, exec_lo, s17
	s_delay_alu instid0(SALU_CYCLE_1)
	s_mov_b32 s17, exec_lo
	v_cmpx_gt_u32_e64 s58, v112
	s_cbranch_execz .LBB1655_1075
; %bb.1074:                             ;   in Loop: Header=BB1655_1040 Depth=2
	global_load_u8 v150, v[62:63], off offset:480
.LBB1655_1075:                          ;   in Loop: Header=BB1655_1040 Depth=2
	s_wait_xcnt 0x0
	s_or_b32 exec_lo, exec_lo, s17
	v_cmp_gt_u32_e64 s17, s58, v113
	s_sub_co_i32 s18, s54, s34
.LBB1655_1076:                          ;   in Loop: Header=BB1655_1040 Depth=2
	v_dual_mov_b32 v151, 1 :: v_dual_mov_b32 v134, s58
	s_wait_xcnt 0x0
	s_and_saveexec_b32 s19, s17
	s_cbranch_execz .LBB1655_1078
; %bb.1077:                             ;   in Loop: Header=BB1655_1040 Depth=2
	v_add_nc_u64_e32 v[62:63], s[34:35], v[26:27]
	v_mov_b32_e32 v134, s18
	global_load_u8 v151, v[62:63], off offset:512
.LBB1655_1078:                          ;   in Loop: Header=BB1655_1040 Depth=2
	s_wait_xcnt 0x0
	s_or_b32 exec_lo, exec_lo, s19
	s_wait_loadcnt 0xf
	v_and_b32_e32 v62, 0xff, v135
	ds_store_2addr_b32 v90, v1, v1 offset0:136 offset1:137
	ds_store_2addr_b32 v90, v1, v1 offset0:138 offset1:139
	ds_store_b32 v90, v1 offset:560
	s_wait_loadcnt_dscnt 0x0
	s_barrier_signal -1
	s_barrier_wait -1
	v_lshrrev_b32_e32 v62, s49, v62
	; wave barrier
	s_delay_alu instid0(VALU_DEP_1) | instskip(NEXT) | instid1(VALU_DEP_1)
	v_and_b32_e32 v63, s48, v62
	v_add_co_u32 v62, s17, v63, -1
	s_delay_alu instid0(VALU_DEP_1) | instskip(SKIP_1) | instid1(VALU_DEP_2)
	v_cndmask_b32_e64 v64, 0, 1, s17
	v_mul_u32_u24_e32 v63, 36, v63
	v_cmp_ne_u32_e32 vcc_lo, 0, v64
	s_delay_alu instid0(VALU_DEP_2) | instskip(SKIP_1) | instid1(VALU_DEP_1)
	v_add_nc_u32_e32 v155, v114, v63
	v_bitop3_b32 v62, vcc_lo, exec_lo, v62 bitop3:0x48
	v_mbcnt_lo_u32_b32 v152, v62, 0
	v_cmp_ne_u32_e64 s17, 0, v62
	s_delay_alu instid0(VALU_DEP_2) | instskip(SKIP_1) | instid1(SALU_CYCLE_1)
	v_cmp_eq_u32_e32 vcc_lo, 0, v152
	s_and_b32 s18, s17, vcc_lo
	s_and_saveexec_b32 s17, s18
; %bb.1079:                             ;   in Loop: Header=BB1655_1040 Depth=2
	v_bcnt_u32_b32 v62, v62, 0
	ds_store_b32 v155, v62 offset:544
; %bb.1080:                             ;   in Loop: Header=BB1655_1040 Depth=2
	s_or_b32 exec_lo, exec_lo, s17
	v_and_b32_e32 v62, 0xff, v136
	; wave barrier
	s_delay_alu instid0(VALU_DEP_1) | instskip(NEXT) | instid1(VALU_DEP_1)
	v_lshrrev_b32_e32 v62, s49, v62
	v_and_b32_e32 v63, s48, v62
	s_delay_alu instid0(VALU_DEP_1) | instskip(NEXT) | instid1(VALU_DEP_1)
	v_add_co_u32 v62, s17, v63, -1
	v_cndmask_b32_e64 v64, 0, 1, s17
	v_mad_u32_u24 v65, v63, 36, v114
	v_mul_u32_u24_e32 v63, 36, v63
	s_delay_alu instid0(VALU_DEP_3) | instskip(SKIP_3) | instid1(VALU_DEP_1)
	v_cmp_ne_u32_e32 vcc_lo, 0, v64
	ds_load_b32 v153, v65 offset:544
	v_add_nc_u32_e32 v158, v114, v63
	; wave barrier
	v_bitop3_b32 v62, vcc_lo, exec_lo, v62 bitop3:0x48
	v_mbcnt_lo_u32_b32 v154, v62, 0
	v_cmp_ne_u32_e64 s17, 0, v62
	s_delay_alu instid0(VALU_DEP_2) | instskip(SKIP_1) | instid1(SALU_CYCLE_1)
	v_cmp_eq_u32_e32 vcc_lo, 0, v154
	s_and_b32 s18, s17, vcc_lo
	s_and_saveexec_b32 s17, s18
	s_cbranch_execz .LBB1655_1082
; %bb.1081:                             ;   in Loop: Header=BB1655_1040 Depth=2
	s_wait_dscnt 0x0
	v_bcnt_u32_b32 v62, v62, v153
	ds_store_b32 v158, v62 offset:544
.LBB1655_1082:                          ;   in Loop: Header=BB1655_1040 Depth=2
	s_or_b32 exec_lo, exec_lo, s17
	v_and_b32_e32 v62, 0xff, v137
	; wave barrier
	s_delay_alu instid0(VALU_DEP_1) | instskip(NEXT) | instid1(VALU_DEP_1)
	v_lshrrev_b32_e32 v62, s49, v62
	v_and_b32_e32 v63, s48, v62
	s_delay_alu instid0(VALU_DEP_1) | instskip(NEXT) | instid1(VALU_DEP_1)
	v_add_co_u32 v62, s17, v63, -1
	v_cndmask_b32_e64 v64, 0, 1, s17
	v_mad_u32_u24 v65, v63, 36, v114
	v_mul_u32_u24_e32 v63, 36, v63
	s_delay_alu instid0(VALU_DEP_3) | instskip(SKIP_3) | instid1(VALU_DEP_1)
	v_cmp_ne_u32_e32 vcc_lo, 0, v64
	ds_load_b32 v156, v65 offset:544
	v_add_nc_u32_e32 v161, v114, v63
	; wave barrier
	v_bitop3_b32 v62, vcc_lo, exec_lo, v62 bitop3:0x48
	v_mbcnt_lo_u32_b32 v157, v62, 0
	v_cmp_ne_u32_e64 s17, 0, v62
	s_delay_alu instid0(VALU_DEP_2) | instskip(SKIP_1) | instid1(SALU_CYCLE_1)
	v_cmp_eq_u32_e32 vcc_lo, 0, v157
	s_and_b32 s18, s17, vcc_lo
	s_and_saveexec_b32 s17, s18
	s_cbranch_execz .LBB1655_1084
; %bb.1083:                             ;   in Loop: Header=BB1655_1040 Depth=2
	s_wait_dscnt 0x0
	v_bcnt_u32_b32 v62, v62, v156
	ds_store_b32 v161, v62 offset:544
.LBB1655_1084:                          ;   in Loop: Header=BB1655_1040 Depth=2
	;; [unrolled: 29-line block ×16, first 2 shown]
	s_or_b32 exec_lo, exec_lo, s17
	; wave barrier
	s_wait_dscnt 0x0
	s_barrier_signal -1
	s_barrier_wait -1
	ds_load_2addr_b32 v[64:65], v90 offset0:136 offset1:137
	ds_load_2addr_b32 v[62:63], v90 offset0:138 offset1:139
	ds_load_b32 v202, v90 offset:560
	s_wait_dscnt 0x1
	v_add3_u32 v203, v65, v64, v62
	s_wait_dscnt 0x0
	s_delay_alu instid0(VALU_DEP_1) | instskip(NEXT) | instid1(VALU_DEP_1)
	v_add3_u32 v202, v203, v63, v202
	v_mov_b32_dpp v203, v202 row_shr:1 row_mask:0xf bank_mask:0xf
	s_delay_alu instid0(VALU_DEP_1) | instskip(NEXT) | instid1(VALU_DEP_1)
	v_cndmask_b32_e64 v203, v203, 0, s8
	v_add_nc_u32_e32 v202, v203, v202
	s_delay_alu instid0(VALU_DEP_1) | instskip(NEXT) | instid1(VALU_DEP_1)
	v_mov_b32_dpp v203, v202 row_shr:2 row_mask:0xf bank_mask:0xf
	v_cndmask_b32_e64 v203, 0, v203, s9
	s_delay_alu instid0(VALU_DEP_1) | instskip(NEXT) | instid1(VALU_DEP_1)
	v_add_nc_u32_e32 v202, v202, v203
	v_mov_b32_dpp v203, v202 row_shr:4 row_mask:0xf bank_mask:0xf
	s_delay_alu instid0(VALU_DEP_1) | instskip(NEXT) | instid1(VALU_DEP_1)
	v_cndmask_b32_e64 v203, 0, v203, s10
	v_add_nc_u32_e32 v202, v202, v203
	s_delay_alu instid0(VALU_DEP_1) | instskip(NEXT) | instid1(VALU_DEP_1)
	v_mov_b32_dpp v203, v202 row_shr:8 row_mask:0xf bank_mask:0xf
	v_cndmask_b32_e64 v203, 0, v203, s11
	s_delay_alu instid0(VALU_DEP_1) | instskip(SKIP_3) | instid1(VALU_DEP_1)
	v_add_nc_u32_e32 v202, v202, v203
	ds_swizzle_b32 v203, v202 offset:swizzle(BROADCAST,32,15)
	s_wait_dscnt 0x0
	v_cndmask_b32_e64 v203, v203, 0, s12
	v_add_nc_u32_e32 v202, v202, v203
	s_and_saveexec_b32 s17, s2
; %bb.1113:                             ;   in Loop: Header=BB1655_1040 Depth=2
	ds_store_b32 v83, v202 offset:512
; %bb.1114:                             ;   in Loop: Header=BB1655_1040 Depth=2
	s_or_b32 exec_lo, exec_lo, s17
	s_wait_dscnt 0x0
	s_barrier_signal -1
	s_barrier_wait -1
	s_and_saveexec_b32 s17, s3
	s_cbranch_execz .LBB1655_1116
; %bb.1115:                             ;   in Loop: Header=BB1655_1040 Depth=2
	ds_load_b32 v203, v92 offset:512
	s_wait_dscnt 0x0
	v_mov_b32_dpp v204, v203 row_shr:1 row_mask:0xf bank_mask:0xf
	s_delay_alu instid0(VALU_DEP_1) | instskip(NEXT) | instid1(VALU_DEP_1)
	v_cndmask_b32_e64 v204, v204, 0, s14
	v_add_nc_u32_e32 v203, v204, v203
	s_delay_alu instid0(VALU_DEP_1) | instskip(NEXT) | instid1(VALU_DEP_1)
	v_mov_b32_dpp v204, v203 row_shr:2 row_mask:0xf bank_mask:0xf
	v_cndmask_b32_e64 v204, 0, v204, s15
	s_delay_alu instid0(VALU_DEP_1) | instskip(NEXT) | instid1(VALU_DEP_1)
	v_add_nc_u32_e32 v203, v203, v204
	v_mov_b32_dpp v204, v203 row_shr:4 row_mask:0xf bank_mask:0xf
	s_delay_alu instid0(VALU_DEP_1) | instskip(NEXT) | instid1(VALU_DEP_1)
	v_cndmask_b32_e64 v204, 0, v204, s16
	v_add_nc_u32_e32 v203, v203, v204
	ds_store_b32 v92, v203 offset:512
.LBB1655_1116:                          ;   in Loop: Header=BB1655_1040 Depth=2
	s_or_b32 exec_lo, exec_lo, s17
	v_mov_b32_e32 v203, 0
	s_wait_dscnt 0x0
	s_barrier_signal -1
	s_barrier_wait -1
	s_and_saveexec_b32 s17, s5
; %bb.1117:                             ;   in Loop: Header=BB1655_1040 Depth=2
	ds_load_b32 v203, v83 offset:508
; %bb.1118:                             ;   in Loop: Header=BB1655_1040 Depth=2
	s_or_b32 exec_lo, exec_lo, s17
	s_wait_dscnt 0x0
	v_add_nc_u32_e32 v202, v203, v202
	ds_bpermute_b32 v202, v96, v202
	s_wait_dscnt 0x0
	v_cndmask_b32_e64 v202, v202, v203, s13
	s_delay_alu instid0(VALU_DEP_1) | instskip(NEXT) | instid1(VALU_DEP_1)
	v_cndmask_b32_e64 v202, v202, 0, s6
	v_add_nc_u32_e32 v64, v202, v64
	s_delay_alu instid0(VALU_DEP_1) | instskip(NEXT) | instid1(VALU_DEP_1)
	v_add_nc_u32_e32 v65, v64, v65
	v_add_nc_u32_e32 v62, v65, v62
	s_delay_alu instid0(VALU_DEP_1)
	v_add_nc_u32_e32 v63, v62, v63
	ds_store_2addr_b32 v90, v202, v64 offset0:136 offset1:137
	ds_store_2addr_b32 v90, v65, v62 offset0:138 offset1:139
	ds_store_b32 v90, v63 offset:560
	s_wait_dscnt 0x0
	s_barrier_signal -1
	s_barrier_wait -1
	ds_load_b32 v62, v155 offset:544
	ds_load_b32 v63, v158 offset:544
	ds_load_b32 v64, v161 offset:544
	ds_load_b32 v65, v163 offset:544
	ds_load_b32 v155, v164 offset:544
	ds_load_b32 v158, v165 offset:544
	ds_load_b32 v202, v166 offset:544
	ds_load_b32 v176, v176 offset:544
	ds_load_b32 v179, v179 offset:544
	ds_load_b32 v182, v182 offset:544
	ds_load_b32 v185, v185 offset:544
	ds_load_b32 v188, v188 offset:544
	ds_load_b32 v191, v191 offset:544
	ds_load_b32 v194, v194 offset:544
	ds_load_b32 v197, v197 offset:544
	ds_load_b32 v200, v200 offset:544
	ds_load_b32 v201, v201 offset:544
	s_and_saveexec_b32 s17, s0
	s_cbranch_execz .LBB1655_1122
; %bb.1119:                             ;   in Loop: Header=BB1655_1040 Depth=2
	v_dual_mov_b32 v133, 0x1100 :: v_dual_add_nc_u32 v132, v92, v94
	ds_load_b32 v132, v132 offset:544
	s_and_saveexec_b32 s18, s7
; %bb.1120:                             ;   in Loop: Header=BB1655_1040 Depth=2
	ds_load_b32 v133, v93 offset:544
; %bb.1121:                             ;   in Loop: Header=BB1655_1040 Depth=2
	s_or_b32 exec_lo, exec_lo, s18
	s_wait_dscnt 0x0
	v_sub_nc_u32_e32 v133, v133, v132
.LBB1655_1122:                          ;   in Loop: Header=BB1655_1040 Depth=2
	s_or_b32 exec_lo, exec_lo, s17
	s_wait_dscnt 0x0
	s_barrier_signal -1
	s_barrier_wait -1
	s_and_saveexec_b32 s17, s0
	s_cbranch_execz .LBB1655_1124
; %bb.1123:                             ;   in Loop: Header=BB1655_1040 Depth=2
	ds_load_b32 v161, v66
	s_wait_dscnt 0x0
	v_sub_nc_u32_e32 v161, v161, v132
	ds_store_b32 v66, v161
.LBB1655_1124:                          ;   in Loop: Header=BB1655_1040 Depth=2
	s_or_b32 exec_lo, exec_lo, s17
	v_add_nc_u32_e32 v166, v62, v152
	v_add3_u32 v165, v154, v153, v63
	v_add3_u32 v164, v157, v156, v64
	;; [unrolled: 1-line block ×16, first 2 shown]
	v_cmp_lt_u32_e32 vcc_lo, v2, v134
	ds_store_b8 v166, v135 offset:512
	ds_store_b8 v165, v136 offset:512
	;; [unrolled: 1-line block ×17, first 2 shown]
	s_wait_dscnt 0x0
	s_barrier_signal -1
	s_barrier_wait -1
	s_and_saveexec_b32 s17, vcc_lo
	s_cbranch_execnz .LBB1655_1197
; %bb.1125:                             ;   in Loop: Header=BB1655_1040 Depth=2
	s_or_b32 exec_lo, exec_lo, s17
	v_cmp_lt_u32_e64 s17, v67, v134
	s_and_saveexec_b32 s18, s17
	s_cbranch_execnz .LBB1655_1198
.LBB1655_1126:                          ;   in Loop: Header=BB1655_1040 Depth=2
	s_or_b32 exec_lo, exec_lo, s18
	v_cmp_lt_u32_e64 s18, v68, v134
	s_and_saveexec_b32 s19, s18
	s_cbranch_execnz .LBB1655_1199
.LBB1655_1127:                          ;   in Loop: Header=BB1655_1040 Depth=2
	s_or_b32 exec_lo, exec_lo, s19
	v_cmp_lt_u32_e64 s19, v69, v134
	s_and_saveexec_b32 s20, s19
	s_cbranch_execnz .LBB1655_1200
.LBB1655_1128:                          ;   in Loop: Header=BB1655_1040 Depth=2
	s_or_b32 exec_lo, exec_lo, s20
	v_cmp_lt_u32_e64 s20, v70, v134
	s_and_saveexec_b32 s21, s20
	s_cbranch_execnz .LBB1655_1201
.LBB1655_1129:                          ;   in Loop: Header=BB1655_1040 Depth=2
	s_or_b32 exec_lo, exec_lo, s21
	v_cmp_lt_u32_e64 s21, v71, v134
	s_and_saveexec_b32 s22, s21
	s_cbranch_execnz .LBB1655_1202
.LBB1655_1130:                          ;   in Loop: Header=BB1655_1040 Depth=2
	s_or_b32 exec_lo, exec_lo, s22
	v_cmp_lt_u32_e64 s22, v72, v134
	s_and_saveexec_b32 s23, s22
	s_cbranch_execnz .LBB1655_1203
.LBB1655_1131:                          ;   in Loop: Header=BB1655_1040 Depth=2
	s_or_b32 exec_lo, exec_lo, s23
	v_cmp_lt_u32_e64 s23, v73, v134
	s_and_saveexec_b32 s24, s23
	s_cbranch_execnz .LBB1655_1204
.LBB1655_1132:                          ;   in Loop: Header=BB1655_1040 Depth=2
	s_or_b32 exec_lo, exec_lo, s24
	v_cmp_lt_u32_e64 s24, v74, v134
	s_and_saveexec_b32 s25, s24
	s_cbranch_execnz .LBB1655_1205
.LBB1655_1133:                          ;   in Loop: Header=BB1655_1040 Depth=2
	s_or_b32 exec_lo, exec_lo, s25
	v_cmp_lt_u32_e64 s25, v75, v134
	s_and_saveexec_b32 s26, s25
	s_cbranch_execnz .LBB1655_1206
.LBB1655_1134:                          ;   in Loop: Header=BB1655_1040 Depth=2
	s_or_b32 exec_lo, exec_lo, s26
	v_cmp_lt_u32_e64 s26, v76, v134
	s_and_saveexec_b32 s27, s26
	s_cbranch_execnz .LBB1655_1207
.LBB1655_1135:                          ;   in Loop: Header=BB1655_1040 Depth=2
	s_or_b32 exec_lo, exec_lo, s27
	v_cmp_lt_u32_e64 s27, v77, v134
	s_and_saveexec_b32 s28, s27
	s_cbranch_execnz .LBB1655_1208
.LBB1655_1136:                          ;   in Loop: Header=BB1655_1040 Depth=2
	s_or_b32 exec_lo, exec_lo, s28
	v_cmp_lt_u32_e64 s28, v78, v134
	s_and_saveexec_b32 s29, s28
	s_cbranch_execnz .LBB1655_1209
.LBB1655_1137:                          ;   in Loop: Header=BB1655_1040 Depth=2
	s_or_b32 exec_lo, exec_lo, s29
	v_cmp_lt_u32_e64 s29, v79, v134
	s_and_saveexec_b32 s30, s29
	s_cbranch_execnz .LBB1655_1210
.LBB1655_1138:                          ;   in Loop: Header=BB1655_1040 Depth=2
	s_or_b32 exec_lo, exec_lo, s30
	v_cmp_lt_u32_e64 s30, v80, v134
	s_and_saveexec_b32 s31, s30
	s_cbranch_execnz .LBB1655_1211
.LBB1655_1139:                          ;   in Loop: Header=BB1655_1040 Depth=2
	s_or_b32 exec_lo, exec_lo, s31
	v_cmp_lt_u32_e64 s31, v81, v134
	s_and_saveexec_b32 s33, s31
	s_cbranch_execnz .LBB1655_1212
.LBB1655_1140:                          ;   in Loop: Header=BB1655_1040 Depth=2
	s_or_b32 exec_lo, exec_lo, s33
	v_cmp_lt_u32_e64 s33, v82, v134
	s_and_saveexec_b32 s60, s33
	s_cbranch_execz .LBB1655_1142
.LBB1655_1141:                          ;   in Loop: Header=BB1655_1040 Depth=2
	ds_load_u8 v62, v2 offset:4608
	s_wait_dscnt 0x0
	v_and_b32_e32 v63, 1, v62
	s_delay_alu instid0(VALU_DEP_1) | instskip(NEXT) | instid1(VALU_DEP_1)
	v_lshrrev_b32_e32 v63, s49, v63
	v_and_b32_e32 v63, s48, v63
	s_delay_alu instid0(VALU_DEP_1)
	v_lshlrev_b32_e32 v63, 2, v63
	ds_load_b32 v63, v63
	s_wait_dscnt 0x0
	v_add_nc_u32_e32 v63, v63, v82
	global_store_b8 v63, v62, s[40:41]
.LBB1655_1142:                          ;   in Loop: Header=BB1655_1040 Depth=2
	s_wait_xcnt 0x0
	s_or_b32 exec_lo, exec_lo, s60
	v_lshl_add_u64 v[62:63], s[34:35], 3, v[24:25]
	v_cmp_lt_u32_e64 s34, v97, v134
	s_and_saveexec_b32 s60, s34
	s_delay_alu instid0(SALU_CYCLE_1)
	s_xor_b32 s34, exec_lo, s60
	s_cbranch_execnz .LBB1655_1213
; %bb.1143:                             ;   in Loop: Header=BB1655_1040 Depth=2
	s_or_b32 exec_lo, exec_lo, s34
	s_delay_alu instid0(SALU_CYCLE_1)
	s_mov_b32 s60, exec_lo
	v_cmpx_lt_u32_e64 v98, v134
	s_cbranch_execnz .LBB1655_1214
.LBB1655_1144:                          ;   in Loop: Header=BB1655_1040 Depth=2
	s_or_b32 exec_lo, exec_lo, s60
	s_delay_alu instid0(SALU_CYCLE_1)
	s_mov_b32 s60, exec_lo
	v_cmpx_lt_u32_e64 v99, v134
	s_cbranch_execnz .LBB1655_1215
.LBB1655_1145:                          ;   in Loop: Header=BB1655_1040 Depth=2
	s_or_b32 exec_lo, exec_lo, s60
	s_delay_alu instid0(SALU_CYCLE_1)
	s_mov_b32 s60, exec_lo
	v_cmpx_lt_u32_e64 v100, v134
	s_cbranch_execnz .LBB1655_1216
.LBB1655_1146:                          ;   in Loop: Header=BB1655_1040 Depth=2
	s_or_b32 exec_lo, exec_lo, s60
	s_delay_alu instid0(SALU_CYCLE_1)
	s_mov_b32 s60, exec_lo
	v_cmpx_lt_u32_e64 v101, v134
	s_cbranch_execnz .LBB1655_1217
.LBB1655_1147:                          ;   in Loop: Header=BB1655_1040 Depth=2
	s_or_b32 exec_lo, exec_lo, s60
	s_delay_alu instid0(SALU_CYCLE_1)
	s_mov_b32 s60, exec_lo
	v_cmpx_lt_u32_e64 v102, v134
	s_cbranch_execnz .LBB1655_1218
.LBB1655_1148:                          ;   in Loop: Header=BB1655_1040 Depth=2
	s_or_b32 exec_lo, exec_lo, s60
	s_delay_alu instid0(SALU_CYCLE_1)
	s_mov_b32 s60, exec_lo
	v_cmpx_lt_u32_e64 v103, v134
	s_cbranch_execnz .LBB1655_1219
.LBB1655_1149:                          ;   in Loop: Header=BB1655_1040 Depth=2
	s_or_b32 exec_lo, exec_lo, s60
	s_delay_alu instid0(SALU_CYCLE_1)
	s_mov_b32 s60, exec_lo
	v_cmpx_lt_u32_e64 v104, v134
	s_cbranch_execnz .LBB1655_1220
.LBB1655_1150:                          ;   in Loop: Header=BB1655_1040 Depth=2
	s_or_b32 exec_lo, exec_lo, s60
	s_delay_alu instid0(SALU_CYCLE_1)
	s_mov_b32 s60, exec_lo
	v_cmpx_lt_u32_e64 v105, v134
	s_cbranch_execnz .LBB1655_1221
.LBB1655_1151:                          ;   in Loop: Header=BB1655_1040 Depth=2
	s_or_b32 exec_lo, exec_lo, s60
	s_delay_alu instid0(SALU_CYCLE_1)
	s_mov_b32 s60, exec_lo
	v_cmpx_lt_u32_e64 v106, v134
	s_cbranch_execnz .LBB1655_1222
.LBB1655_1152:                          ;   in Loop: Header=BB1655_1040 Depth=2
	s_or_b32 exec_lo, exec_lo, s60
	s_delay_alu instid0(SALU_CYCLE_1)
	s_mov_b32 s60, exec_lo
	v_cmpx_lt_u32_e64 v107, v134
	s_cbranch_execnz .LBB1655_1223
.LBB1655_1153:                          ;   in Loop: Header=BB1655_1040 Depth=2
	s_or_b32 exec_lo, exec_lo, s60
	s_delay_alu instid0(SALU_CYCLE_1)
	s_mov_b32 s60, exec_lo
	v_cmpx_lt_u32_e64 v108, v134
	s_cbranch_execnz .LBB1655_1224
.LBB1655_1154:                          ;   in Loop: Header=BB1655_1040 Depth=2
	s_or_b32 exec_lo, exec_lo, s60
	s_delay_alu instid0(SALU_CYCLE_1)
	s_mov_b32 s60, exec_lo
	v_cmpx_lt_u32_e64 v109, v134
	s_cbranch_execnz .LBB1655_1225
.LBB1655_1155:                          ;   in Loop: Header=BB1655_1040 Depth=2
	s_or_b32 exec_lo, exec_lo, s60
	s_delay_alu instid0(SALU_CYCLE_1)
	s_mov_b32 s60, exec_lo
	v_cmpx_lt_u32_e64 v110, v134
	s_cbranch_execnz .LBB1655_1226
.LBB1655_1156:                          ;   in Loop: Header=BB1655_1040 Depth=2
	s_or_b32 exec_lo, exec_lo, s60
	s_delay_alu instid0(SALU_CYCLE_1)
	s_mov_b32 s60, exec_lo
	v_cmpx_lt_u32_e64 v111, v134
	s_cbranch_execnz .LBB1655_1227
.LBB1655_1157:                          ;   in Loop: Header=BB1655_1040 Depth=2
	s_or_b32 exec_lo, exec_lo, s60
	s_delay_alu instid0(SALU_CYCLE_1)
	s_mov_b32 s60, exec_lo
	v_cmpx_lt_u32_e64 v112, v134
	s_cbranch_execnz .LBB1655_1228
.LBB1655_1158:                          ;   in Loop: Header=BB1655_1040 Depth=2
	s_or_b32 exec_lo, exec_lo, s60
	s_delay_alu instid0(SALU_CYCLE_1)
	s_mov_b32 s60, exec_lo
	v_cmpx_lt_u32_e64 v113, v134
	s_cbranch_execnz .LBB1655_1229
.LBB1655_1159:                          ;   in Loop: Header=BB1655_1040 Depth=2
	s_or_b32 exec_lo, exec_lo, s60
	s_and_saveexec_b32 s34, vcc_lo
	s_cbranch_execnz .LBB1655_1230
.LBB1655_1160:                          ;   in Loop: Header=BB1655_1040 Depth=2
	s_or_b32 exec_lo, exec_lo, s34
	s_and_saveexec_b32 s34, s17
	s_cbranch_execnz .LBB1655_1231
.LBB1655_1161:                          ;   in Loop: Header=BB1655_1040 Depth=2
	s_or_b32 exec_lo, exec_lo, s34
	s_and_saveexec_b32 s34, s18
	s_cbranch_execnz .LBB1655_1232
.LBB1655_1162:                          ;   in Loop: Header=BB1655_1040 Depth=2
	s_or_b32 exec_lo, exec_lo, s34
	s_and_saveexec_b32 s34, s19
	s_cbranch_execnz .LBB1655_1233
.LBB1655_1163:                          ;   in Loop: Header=BB1655_1040 Depth=2
	s_or_b32 exec_lo, exec_lo, s34
	s_and_saveexec_b32 s34, s20
	s_cbranch_execnz .LBB1655_1234
.LBB1655_1164:                          ;   in Loop: Header=BB1655_1040 Depth=2
	s_or_b32 exec_lo, exec_lo, s34
	s_and_saveexec_b32 s34, s21
	s_cbranch_execnz .LBB1655_1235
.LBB1655_1165:                          ;   in Loop: Header=BB1655_1040 Depth=2
	s_or_b32 exec_lo, exec_lo, s34
	s_and_saveexec_b32 s34, s22
	s_cbranch_execnz .LBB1655_1236
.LBB1655_1166:                          ;   in Loop: Header=BB1655_1040 Depth=2
	s_or_b32 exec_lo, exec_lo, s34
	s_and_saveexec_b32 s34, s23
	s_cbranch_execnz .LBB1655_1237
.LBB1655_1167:                          ;   in Loop: Header=BB1655_1040 Depth=2
	s_or_b32 exec_lo, exec_lo, s34
	s_and_saveexec_b32 s34, s24
	s_cbranch_execnz .LBB1655_1238
.LBB1655_1168:                          ;   in Loop: Header=BB1655_1040 Depth=2
	s_or_b32 exec_lo, exec_lo, s34
	s_and_saveexec_b32 s34, s25
	s_cbranch_execnz .LBB1655_1239
.LBB1655_1169:                          ;   in Loop: Header=BB1655_1040 Depth=2
	s_or_b32 exec_lo, exec_lo, s34
	s_and_saveexec_b32 s34, s26
	s_cbranch_execnz .LBB1655_1240
.LBB1655_1170:                          ;   in Loop: Header=BB1655_1040 Depth=2
	s_or_b32 exec_lo, exec_lo, s34
	s_and_saveexec_b32 s34, s27
	s_cbranch_execnz .LBB1655_1241
.LBB1655_1171:                          ;   in Loop: Header=BB1655_1040 Depth=2
	s_or_b32 exec_lo, exec_lo, s34
	s_and_saveexec_b32 s34, s28
	s_cbranch_execnz .LBB1655_1242
.LBB1655_1172:                          ;   in Loop: Header=BB1655_1040 Depth=2
	s_or_b32 exec_lo, exec_lo, s34
	s_and_saveexec_b32 s34, s29
	s_cbranch_execnz .LBB1655_1243
.LBB1655_1173:                          ;   in Loop: Header=BB1655_1040 Depth=2
	s_or_b32 exec_lo, exec_lo, s34
	s_and_saveexec_b32 s34, s30
	s_cbranch_execnz .LBB1655_1244
.LBB1655_1174:                          ;   in Loop: Header=BB1655_1040 Depth=2
	s_or_b32 exec_lo, exec_lo, s34
	s_and_saveexec_b32 s34, s31
	s_cbranch_execnz .LBB1655_1245
.LBB1655_1175:                          ;   in Loop: Header=BB1655_1040 Depth=2
	s_or_b32 exec_lo, exec_lo, s34
	s_and_saveexec_b32 s34, s33
	s_cbranch_execz .LBB1655_1177
.LBB1655_1176:                          ;   in Loop: Header=BB1655_1040 Depth=2
	ds_load_u8 v62, v2 offset:4608
	s_wait_dscnt 0x0
	v_lshrrev_b32_e32 v62, s49, v62
	s_delay_alu instid0(VALU_DEP_1)
	v_and_b32_e32 v115, s48, v62
.LBB1655_1177:                          ;   in Loop: Header=BB1655_1040 Depth=2
	s_or_b32 exec_lo, exec_lo, s34
	v_dual_lshlrev_b32 v62, 3, v166 :: v_dual_lshlrev_b32 v63, 3, v165
	s_wait_loadcnt 0x0
	s_wait_storecnt 0x0
	s_barrier_signal -1
	s_barrier_wait -1
	ds_store_b64 v62, v[60:61] offset:512
	ds_store_b64 v63, v[58:59] offset:512
	v_dual_lshlrev_b32 v62, 3, v164 :: v_dual_lshlrev_b32 v63, 3, v163
	v_dual_lshlrev_b32 v134, 3, v162 :: v_dual_lshlrev_b32 v135, 3, v161
	v_lshlrev_b32_e32 v136, 3, v160
	ds_store_b64 v62, v[56:57] offset:512
	ds_store_b64 v63, v[54:55] offset:512
	ds_store_b64 v134, v[52:53] offset:512
	ds_store_b64 v135, v[50:51] offset:512
	ds_store_b64 v136, v[48:49] offset:512
	v_dual_lshlrev_b32 v62, 3, v159 :: v_dual_lshlrev_b32 v63, 3, v158
	v_dual_lshlrev_b32 v134, 3, v157 :: v_dual_lshlrev_b32 v135, 3, v156
	v_lshlrev_b32_e32 v136, 3, v155
	ds_store_b64 v62, v[46:47] offset:512
	ds_store_b64 v63, v[44:45] offset:512
	ds_store_b64 v134, v[42:43] offset:512
	;; [unrolled: 8-line block ×3, first 2 shown]
	ds_store_b64 v65, v[30:31] offset:512
	ds_store_b64 v64, v[28:29] offset:512
	v_add_nc_u32_e32 v62, v2, v95
	s_wait_dscnt 0x0
	s_barrier_signal -1
	s_barrier_wait -1
	s_and_saveexec_b32 s34, vcc_lo
	s_cbranch_execnz .LBB1655_1246
; %bb.1178:                             ;   in Loop: Header=BB1655_1040 Depth=2
	s_or_b32 exec_lo, exec_lo, s34
	s_and_saveexec_b32 s34, s17
	s_cbranch_execnz .LBB1655_1247
.LBB1655_1179:                          ;   in Loop: Header=BB1655_1040 Depth=2
	s_or_b32 exec_lo, exec_lo, s34
	s_and_saveexec_b32 s17, s18
	s_cbranch_execnz .LBB1655_1248
.LBB1655_1180:                          ;   in Loop: Header=BB1655_1040 Depth=2
	s_or_b32 exec_lo, exec_lo, s17
	s_and_saveexec_b32 s17, s19
	s_cbranch_execnz .LBB1655_1249
.LBB1655_1181:                          ;   in Loop: Header=BB1655_1040 Depth=2
	s_or_b32 exec_lo, exec_lo, s17
	s_and_saveexec_b32 s17, s20
	s_cbranch_execnz .LBB1655_1250
.LBB1655_1182:                          ;   in Loop: Header=BB1655_1040 Depth=2
	s_or_b32 exec_lo, exec_lo, s17
	s_and_saveexec_b32 s17, s21
	s_cbranch_execnz .LBB1655_1251
.LBB1655_1183:                          ;   in Loop: Header=BB1655_1040 Depth=2
	s_or_b32 exec_lo, exec_lo, s17
	s_and_saveexec_b32 s17, s22
	s_cbranch_execnz .LBB1655_1252
.LBB1655_1184:                          ;   in Loop: Header=BB1655_1040 Depth=2
	s_or_b32 exec_lo, exec_lo, s17
	s_and_saveexec_b32 s17, s23
	s_cbranch_execnz .LBB1655_1253
.LBB1655_1185:                          ;   in Loop: Header=BB1655_1040 Depth=2
	s_or_b32 exec_lo, exec_lo, s17
	s_and_saveexec_b32 s17, s24
	s_cbranch_execnz .LBB1655_1254
.LBB1655_1186:                          ;   in Loop: Header=BB1655_1040 Depth=2
	s_or_b32 exec_lo, exec_lo, s17
	s_and_saveexec_b32 s17, s25
	s_cbranch_execnz .LBB1655_1255
.LBB1655_1187:                          ;   in Loop: Header=BB1655_1040 Depth=2
	s_or_b32 exec_lo, exec_lo, s17
	s_and_saveexec_b32 s17, s26
	s_cbranch_execnz .LBB1655_1256
.LBB1655_1188:                          ;   in Loop: Header=BB1655_1040 Depth=2
	s_or_b32 exec_lo, exec_lo, s17
	s_and_saveexec_b32 s17, s27
	s_cbranch_execnz .LBB1655_1257
.LBB1655_1189:                          ;   in Loop: Header=BB1655_1040 Depth=2
	s_or_b32 exec_lo, exec_lo, s17
	s_and_saveexec_b32 s17, s28
	s_cbranch_execnz .LBB1655_1258
.LBB1655_1190:                          ;   in Loop: Header=BB1655_1040 Depth=2
	s_or_b32 exec_lo, exec_lo, s17
	s_and_saveexec_b32 s17, s29
	s_cbranch_execnz .LBB1655_1259
.LBB1655_1191:                          ;   in Loop: Header=BB1655_1040 Depth=2
	s_or_b32 exec_lo, exec_lo, s17
	s_and_saveexec_b32 s17, s30
	s_cbranch_execnz .LBB1655_1260
.LBB1655_1192:                          ;   in Loop: Header=BB1655_1040 Depth=2
	s_or_b32 exec_lo, exec_lo, s17
	s_and_saveexec_b32 s17, s31
	s_cbranch_execnz .LBB1655_1261
.LBB1655_1193:                          ;   in Loop: Header=BB1655_1040 Depth=2
	s_or_b32 exec_lo, exec_lo, s17
	s_and_saveexec_b32 s17, s33
	s_cbranch_execz .LBB1655_1195
.LBB1655_1194:                          ;   in Loop: Header=BB1655_1040 Depth=2
	v_lshlrev_b32_e32 v63, 2, v115
	ds_load_b32 v64, v63
	ds_load_b64 v[62:63], v62 offset:33280
	s_wait_dscnt 0x1
	v_add_nc_u32_e32 v64, v64, v82
	s_wait_dscnt 0x0
	global_store_b64 v64, v[62:63], s[46:47] scale_offset
.LBB1655_1195:                          ;   in Loop: Header=BB1655_1040 Depth=2
	s_wait_xcnt 0x0
	s_or_b32 exec_lo, exec_lo, s17
	s_wait_storecnt 0x0
	s_barrier_signal -1
	s_barrier_wait -1
	s_and_saveexec_b32 s17, s0
	s_cbranch_execz .LBB1655_1039
; %bb.1196:                             ;   in Loop: Header=BB1655_1040 Depth=2
	ds_load_b32 v62, v66
	s_wait_dscnt 0x0
	v_add3_u32 v62, v132, v133, v62
	ds_store_b32 v66, v62
	s_branch .LBB1655_1039
.LBB1655_1197:                          ;   in Loop: Header=BB1655_1040 Depth=2
	ds_load_u8 v62, v2 offset:512
	s_wait_dscnt 0x0
	v_and_b32_e32 v63, 1, v62
	s_delay_alu instid0(VALU_DEP_1) | instskip(NEXT) | instid1(VALU_DEP_1)
	v_lshrrev_b32_e32 v63, s49, v63
	v_and_b32_e32 v63, s48, v63
	s_delay_alu instid0(VALU_DEP_1)
	v_lshlrev_b32_e32 v63, 2, v63
	ds_load_b32 v63, v63
	s_wait_dscnt 0x0
	v_add_nc_u32_e32 v63, v63, v2
	global_store_b8 v63, v62, s[40:41]
	s_wait_xcnt 0x0
	s_or_b32 exec_lo, exec_lo, s17
	v_cmp_lt_u32_e64 s17, v67, v134
	s_and_saveexec_b32 s18, s17
	s_cbranch_execz .LBB1655_1126
.LBB1655_1198:                          ;   in Loop: Header=BB1655_1040 Depth=2
	ds_load_u8 v62, v2 offset:768
	s_wait_dscnt 0x0
	v_and_b32_e32 v63, 1, v62
	s_delay_alu instid0(VALU_DEP_1) | instskip(NEXT) | instid1(VALU_DEP_1)
	v_lshrrev_b32_e32 v63, s49, v63
	v_and_b32_e32 v63, s48, v63
	s_delay_alu instid0(VALU_DEP_1)
	v_lshlrev_b32_e32 v63, 2, v63
	ds_load_b32 v63, v63
	s_wait_dscnt 0x0
	v_add_nc_u32_e32 v63, v63, v67
	global_store_b8 v63, v62, s[40:41]
	s_wait_xcnt 0x0
	s_or_b32 exec_lo, exec_lo, s18
	v_cmp_lt_u32_e64 s18, v68, v134
	s_and_saveexec_b32 s19, s18
	s_cbranch_execz .LBB1655_1127
.LBB1655_1199:                          ;   in Loop: Header=BB1655_1040 Depth=2
	ds_load_u8 v62, v2 offset:1024
	s_wait_dscnt 0x0
	v_and_b32_e32 v63, 1, v62
	s_delay_alu instid0(VALU_DEP_1) | instskip(NEXT) | instid1(VALU_DEP_1)
	v_lshrrev_b32_e32 v63, s49, v63
	v_and_b32_e32 v63, s48, v63
	s_delay_alu instid0(VALU_DEP_1)
	v_lshlrev_b32_e32 v63, 2, v63
	ds_load_b32 v63, v63
	s_wait_dscnt 0x0
	v_add_nc_u32_e32 v63, v63, v68
	global_store_b8 v63, v62, s[40:41]
	s_wait_xcnt 0x0
	s_or_b32 exec_lo, exec_lo, s19
	v_cmp_lt_u32_e64 s19, v69, v134
	s_and_saveexec_b32 s20, s19
	s_cbranch_execz .LBB1655_1128
.LBB1655_1200:                          ;   in Loop: Header=BB1655_1040 Depth=2
	ds_load_u8 v62, v2 offset:1280
	s_wait_dscnt 0x0
	v_and_b32_e32 v63, 1, v62
	s_delay_alu instid0(VALU_DEP_1) | instskip(NEXT) | instid1(VALU_DEP_1)
	v_lshrrev_b32_e32 v63, s49, v63
	v_and_b32_e32 v63, s48, v63
	s_delay_alu instid0(VALU_DEP_1)
	v_lshlrev_b32_e32 v63, 2, v63
	ds_load_b32 v63, v63
	s_wait_dscnt 0x0
	v_add_nc_u32_e32 v63, v63, v69
	global_store_b8 v63, v62, s[40:41]
	s_wait_xcnt 0x0
	s_or_b32 exec_lo, exec_lo, s20
	v_cmp_lt_u32_e64 s20, v70, v134
	s_and_saveexec_b32 s21, s20
	s_cbranch_execz .LBB1655_1129
.LBB1655_1201:                          ;   in Loop: Header=BB1655_1040 Depth=2
	ds_load_u8 v62, v2 offset:1536
	s_wait_dscnt 0x0
	v_and_b32_e32 v63, 1, v62
	s_delay_alu instid0(VALU_DEP_1) | instskip(NEXT) | instid1(VALU_DEP_1)
	v_lshrrev_b32_e32 v63, s49, v63
	v_and_b32_e32 v63, s48, v63
	s_delay_alu instid0(VALU_DEP_1)
	v_lshlrev_b32_e32 v63, 2, v63
	ds_load_b32 v63, v63
	s_wait_dscnt 0x0
	v_add_nc_u32_e32 v63, v63, v70
	global_store_b8 v63, v62, s[40:41]
	s_wait_xcnt 0x0
	s_or_b32 exec_lo, exec_lo, s21
	v_cmp_lt_u32_e64 s21, v71, v134
	s_and_saveexec_b32 s22, s21
	s_cbranch_execz .LBB1655_1130
.LBB1655_1202:                          ;   in Loop: Header=BB1655_1040 Depth=2
	ds_load_u8 v62, v2 offset:1792
	s_wait_dscnt 0x0
	v_and_b32_e32 v63, 1, v62
	s_delay_alu instid0(VALU_DEP_1) | instskip(NEXT) | instid1(VALU_DEP_1)
	v_lshrrev_b32_e32 v63, s49, v63
	v_and_b32_e32 v63, s48, v63
	s_delay_alu instid0(VALU_DEP_1)
	v_lshlrev_b32_e32 v63, 2, v63
	ds_load_b32 v63, v63
	s_wait_dscnt 0x0
	v_add_nc_u32_e32 v63, v63, v71
	global_store_b8 v63, v62, s[40:41]
	s_wait_xcnt 0x0
	s_or_b32 exec_lo, exec_lo, s22
	v_cmp_lt_u32_e64 s22, v72, v134
	s_and_saveexec_b32 s23, s22
	s_cbranch_execz .LBB1655_1131
.LBB1655_1203:                          ;   in Loop: Header=BB1655_1040 Depth=2
	ds_load_u8 v62, v2 offset:2048
	s_wait_dscnt 0x0
	v_and_b32_e32 v63, 1, v62
	s_delay_alu instid0(VALU_DEP_1) | instskip(NEXT) | instid1(VALU_DEP_1)
	v_lshrrev_b32_e32 v63, s49, v63
	v_and_b32_e32 v63, s48, v63
	s_delay_alu instid0(VALU_DEP_1)
	v_lshlrev_b32_e32 v63, 2, v63
	ds_load_b32 v63, v63
	s_wait_dscnt 0x0
	v_add_nc_u32_e32 v63, v63, v72
	global_store_b8 v63, v62, s[40:41]
	s_wait_xcnt 0x0
	s_or_b32 exec_lo, exec_lo, s23
	v_cmp_lt_u32_e64 s23, v73, v134
	s_and_saveexec_b32 s24, s23
	s_cbranch_execz .LBB1655_1132
.LBB1655_1204:                          ;   in Loop: Header=BB1655_1040 Depth=2
	ds_load_u8 v62, v2 offset:2304
	s_wait_dscnt 0x0
	v_and_b32_e32 v63, 1, v62
	s_delay_alu instid0(VALU_DEP_1) | instskip(NEXT) | instid1(VALU_DEP_1)
	v_lshrrev_b32_e32 v63, s49, v63
	v_and_b32_e32 v63, s48, v63
	s_delay_alu instid0(VALU_DEP_1)
	v_lshlrev_b32_e32 v63, 2, v63
	ds_load_b32 v63, v63
	s_wait_dscnt 0x0
	v_add_nc_u32_e32 v63, v63, v73
	global_store_b8 v63, v62, s[40:41]
	s_wait_xcnt 0x0
	s_or_b32 exec_lo, exec_lo, s24
	v_cmp_lt_u32_e64 s24, v74, v134
	s_and_saveexec_b32 s25, s24
	s_cbranch_execz .LBB1655_1133
.LBB1655_1205:                          ;   in Loop: Header=BB1655_1040 Depth=2
	ds_load_u8 v62, v2 offset:2560
	s_wait_dscnt 0x0
	v_and_b32_e32 v63, 1, v62
	s_delay_alu instid0(VALU_DEP_1) | instskip(NEXT) | instid1(VALU_DEP_1)
	v_lshrrev_b32_e32 v63, s49, v63
	v_and_b32_e32 v63, s48, v63
	s_delay_alu instid0(VALU_DEP_1)
	v_lshlrev_b32_e32 v63, 2, v63
	ds_load_b32 v63, v63
	s_wait_dscnt 0x0
	v_add_nc_u32_e32 v63, v63, v74
	global_store_b8 v63, v62, s[40:41]
	s_wait_xcnt 0x0
	s_or_b32 exec_lo, exec_lo, s25
	v_cmp_lt_u32_e64 s25, v75, v134
	s_and_saveexec_b32 s26, s25
	s_cbranch_execz .LBB1655_1134
.LBB1655_1206:                          ;   in Loop: Header=BB1655_1040 Depth=2
	ds_load_u8 v62, v2 offset:2816
	s_wait_dscnt 0x0
	v_and_b32_e32 v63, 1, v62
	s_delay_alu instid0(VALU_DEP_1) | instskip(NEXT) | instid1(VALU_DEP_1)
	v_lshrrev_b32_e32 v63, s49, v63
	v_and_b32_e32 v63, s48, v63
	s_delay_alu instid0(VALU_DEP_1)
	v_lshlrev_b32_e32 v63, 2, v63
	ds_load_b32 v63, v63
	s_wait_dscnt 0x0
	v_add_nc_u32_e32 v63, v63, v75
	global_store_b8 v63, v62, s[40:41]
	s_wait_xcnt 0x0
	s_or_b32 exec_lo, exec_lo, s26
	v_cmp_lt_u32_e64 s26, v76, v134
	s_and_saveexec_b32 s27, s26
	s_cbranch_execz .LBB1655_1135
.LBB1655_1207:                          ;   in Loop: Header=BB1655_1040 Depth=2
	ds_load_u8 v62, v2 offset:3072
	s_wait_dscnt 0x0
	v_and_b32_e32 v63, 1, v62
	s_delay_alu instid0(VALU_DEP_1) | instskip(NEXT) | instid1(VALU_DEP_1)
	v_lshrrev_b32_e32 v63, s49, v63
	v_and_b32_e32 v63, s48, v63
	s_delay_alu instid0(VALU_DEP_1)
	v_lshlrev_b32_e32 v63, 2, v63
	ds_load_b32 v63, v63
	s_wait_dscnt 0x0
	v_add_nc_u32_e32 v63, v63, v76
	global_store_b8 v63, v62, s[40:41]
	s_wait_xcnt 0x0
	s_or_b32 exec_lo, exec_lo, s27
	v_cmp_lt_u32_e64 s27, v77, v134
	s_and_saveexec_b32 s28, s27
	s_cbranch_execz .LBB1655_1136
.LBB1655_1208:                          ;   in Loop: Header=BB1655_1040 Depth=2
	ds_load_u8 v62, v2 offset:3328
	s_wait_dscnt 0x0
	v_and_b32_e32 v63, 1, v62
	s_delay_alu instid0(VALU_DEP_1) | instskip(NEXT) | instid1(VALU_DEP_1)
	v_lshrrev_b32_e32 v63, s49, v63
	v_and_b32_e32 v63, s48, v63
	s_delay_alu instid0(VALU_DEP_1)
	v_lshlrev_b32_e32 v63, 2, v63
	ds_load_b32 v63, v63
	s_wait_dscnt 0x0
	v_add_nc_u32_e32 v63, v63, v77
	global_store_b8 v63, v62, s[40:41]
	s_wait_xcnt 0x0
	s_or_b32 exec_lo, exec_lo, s28
	v_cmp_lt_u32_e64 s28, v78, v134
	s_and_saveexec_b32 s29, s28
	s_cbranch_execz .LBB1655_1137
.LBB1655_1209:                          ;   in Loop: Header=BB1655_1040 Depth=2
	ds_load_u8 v62, v2 offset:3584
	s_wait_dscnt 0x0
	v_and_b32_e32 v63, 1, v62
	s_delay_alu instid0(VALU_DEP_1) | instskip(NEXT) | instid1(VALU_DEP_1)
	v_lshrrev_b32_e32 v63, s49, v63
	v_and_b32_e32 v63, s48, v63
	s_delay_alu instid0(VALU_DEP_1)
	v_lshlrev_b32_e32 v63, 2, v63
	ds_load_b32 v63, v63
	s_wait_dscnt 0x0
	v_add_nc_u32_e32 v63, v63, v78
	global_store_b8 v63, v62, s[40:41]
	s_wait_xcnt 0x0
	s_or_b32 exec_lo, exec_lo, s29
	v_cmp_lt_u32_e64 s29, v79, v134
	s_and_saveexec_b32 s30, s29
	s_cbranch_execz .LBB1655_1138
.LBB1655_1210:                          ;   in Loop: Header=BB1655_1040 Depth=2
	ds_load_u8 v62, v2 offset:3840
	s_wait_dscnt 0x0
	v_and_b32_e32 v63, 1, v62
	s_delay_alu instid0(VALU_DEP_1) | instskip(NEXT) | instid1(VALU_DEP_1)
	v_lshrrev_b32_e32 v63, s49, v63
	v_and_b32_e32 v63, s48, v63
	s_delay_alu instid0(VALU_DEP_1)
	v_lshlrev_b32_e32 v63, 2, v63
	ds_load_b32 v63, v63
	s_wait_dscnt 0x0
	v_add_nc_u32_e32 v63, v63, v79
	global_store_b8 v63, v62, s[40:41]
	s_wait_xcnt 0x0
	s_or_b32 exec_lo, exec_lo, s30
	v_cmp_lt_u32_e64 s30, v80, v134
	s_and_saveexec_b32 s31, s30
	s_cbranch_execz .LBB1655_1139
.LBB1655_1211:                          ;   in Loop: Header=BB1655_1040 Depth=2
	ds_load_u8 v62, v2 offset:4096
	s_wait_dscnt 0x0
	v_and_b32_e32 v63, 1, v62
	s_delay_alu instid0(VALU_DEP_1) | instskip(NEXT) | instid1(VALU_DEP_1)
	v_lshrrev_b32_e32 v63, s49, v63
	v_and_b32_e32 v63, s48, v63
	s_delay_alu instid0(VALU_DEP_1)
	v_lshlrev_b32_e32 v63, 2, v63
	ds_load_b32 v63, v63
	s_wait_dscnt 0x0
	v_add_nc_u32_e32 v63, v63, v80
	global_store_b8 v63, v62, s[40:41]
	s_wait_xcnt 0x0
	s_or_b32 exec_lo, exec_lo, s31
	v_cmp_lt_u32_e64 s31, v81, v134
	s_and_saveexec_b32 s33, s31
	s_cbranch_execz .LBB1655_1140
.LBB1655_1212:                          ;   in Loop: Header=BB1655_1040 Depth=2
	ds_load_u8 v62, v2 offset:4352
	s_wait_dscnt 0x0
	v_and_b32_e32 v63, 1, v62
	s_delay_alu instid0(VALU_DEP_1) | instskip(NEXT) | instid1(VALU_DEP_1)
	v_lshrrev_b32_e32 v63, s49, v63
	v_and_b32_e32 v63, s48, v63
	s_delay_alu instid0(VALU_DEP_1)
	v_lshlrev_b32_e32 v63, 2, v63
	ds_load_b32 v63, v63
	s_wait_dscnt 0x0
	v_add_nc_u32_e32 v63, v63, v81
	global_store_b8 v63, v62, s[40:41]
	s_wait_xcnt 0x0
	s_or_b32 exec_lo, exec_lo, s33
	v_cmp_lt_u32_e64 s33, v82, v134
	s_and_saveexec_b32 s60, s33
	s_cbranch_execnz .LBB1655_1141
	s_branch .LBB1655_1142
.LBB1655_1213:                          ;   in Loop: Header=BB1655_1040 Depth=2
	global_load_b64 v[60:61], v[62:63], off
	s_wait_xcnt 0x0
	s_or_b32 exec_lo, exec_lo, s34
	s_delay_alu instid0(SALU_CYCLE_1)
	s_mov_b32 s60, exec_lo
	v_cmpx_lt_u32_e64 v98, v134
	s_cbranch_execz .LBB1655_1144
.LBB1655_1214:                          ;   in Loop: Header=BB1655_1040 Depth=2
	global_load_b64 v[58:59], v[62:63], off offset:256
	s_wait_xcnt 0x0
	s_or_b32 exec_lo, exec_lo, s60
	s_delay_alu instid0(SALU_CYCLE_1)
	s_mov_b32 s60, exec_lo
	v_cmpx_lt_u32_e64 v99, v134
	s_cbranch_execz .LBB1655_1145
.LBB1655_1215:                          ;   in Loop: Header=BB1655_1040 Depth=2
	global_load_b64 v[56:57], v[62:63], off offset:512
	s_wait_xcnt 0x0
	s_or_b32 exec_lo, exec_lo, s60
	s_delay_alu instid0(SALU_CYCLE_1)
	s_mov_b32 s60, exec_lo
	v_cmpx_lt_u32_e64 v100, v134
	s_cbranch_execz .LBB1655_1146
.LBB1655_1216:                          ;   in Loop: Header=BB1655_1040 Depth=2
	global_load_b64 v[54:55], v[62:63], off offset:768
	s_wait_xcnt 0x0
	s_or_b32 exec_lo, exec_lo, s60
	s_delay_alu instid0(SALU_CYCLE_1)
	s_mov_b32 s60, exec_lo
	v_cmpx_lt_u32_e64 v101, v134
	s_cbranch_execz .LBB1655_1147
.LBB1655_1217:                          ;   in Loop: Header=BB1655_1040 Depth=2
	global_load_b64 v[52:53], v[62:63], off offset:1024
	s_wait_xcnt 0x0
	s_or_b32 exec_lo, exec_lo, s60
	s_delay_alu instid0(SALU_CYCLE_1)
	s_mov_b32 s60, exec_lo
	v_cmpx_lt_u32_e64 v102, v134
	s_cbranch_execz .LBB1655_1148
.LBB1655_1218:                          ;   in Loop: Header=BB1655_1040 Depth=2
	global_load_b64 v[50:51], v[62:63], off offset:1280
	s_wait_xcnt 0x0
	s_or_b32 exec_lo, exec_lo, s60
	s_delay_alu instid0(SALU_CYCLE_1)
	s_mov_b32 s60, exec_lo
	v_cmpx_lt_u32_e64 v103, v134
	s_cbranch_execz .LBB1655_1149
.LBB1655_1219:                          ;   in Loop: Header=BB1655_1040 Depth=2
	global_load_b64 v[48:49], v[62:63], off offset:1536
	s_wait_xcnt 0x0
	s_or_b32 exec_lo, exec_lo, s60
	s_delay_alu instid0(SALU_CYCLE_1)
	s_mov_b32 s60, exec_lo
	v_cmpx_lt_u32_e64 v104, v134
	s_cbranch_execz .LBB1655_1150
.LBB1655_1220:                          ;   in Loop: Header=BB1655_1040 Depth=2
	global_load_b64 v[46:47], v[62:63], off offset:1792
	s_wait_xcnt 0x0
	s_or_b32 exec_lo, exec_lo, s60
	s_delay_alu instid0(SALU_CYCLE_1)
	s_mov_b32 s60, exec_lo
	v_cmpx_lt_u32_e64 v105, v134
	s_cbranch_execz .LBB1655_1151
.LBB1655_1221:                          ;   in Loop: Header=BB1655_1040 Depth=2
	global_load_b64 v[44:45], v[62:63], off offset:2048
	s_wait_xcnt 0x0
	s_or_b32 exec_lo, exec_lo, s60
	s_delay_alu instid0(SALU_CYCLE_1)
	s_mov_b32 s60, exec_lo
	v_cmpx_lt_u32_e64 v106, v134
	s_cbranch_execz .LBB1655_1152
.LBB1655_1222:                          ;   in Loop: Header=BB1655_1040 Depth=2
	global_load_b64 v[42:43], v[62:63], off offset:2304
	s_wait_xcnt 0x0
	s_or_b32 exec_lo, exec_lo, s60
	s_delay_alu instid0(SALU_CYCLE_1)
	s_mov_b32 s60, exec_lo
	v_cmpx_lt_u32_e64 v107, v134
	s_cbranch_execz .LBB1655_1153
.LBB1655_1223:                          ;   in Loop: Header=BB1655_1040 Depth=2
	global_load_b64 v[40:41], v[62:63], off offset:2560
	s_wait_xcnt 0x0
	s_or_b32 exec_lo, exec_lo, s60
	s_delay_alu instid0(SALU_CYCLE_1)
	s_mov_b32 s60, exec_lo
	v_cmpx_lt_u32_e64 v108, v134
	s_cbranch_execz .LBB1655_1154
.LBB1655_1224:                          ;   in Loop: Header=BB1655_1040 Depth=2
	global_load_b64 v[38:39], v[62:63], off offset:2816
	s_wait_xcnt 0x0
	s_or_b32 exec_lo, exec_lo, s60
	s_delay_alu instid0(SALU_CYCLE_1)
	s_mov_b32 s60, exec_lo
	v_cmpx_lt_u32_e64 v109, v134
	s_cbranch_execz .LBB1655_1155
.LBB1655_1225:                          ;   in Loop: Header=BB1655_1040 Depth=2
	global_load_b64 v[36:37], v[62:63], off offset:3072
	s_wait_xcnt 0x0
	s_or_b32 exec_lo, exec_lo, s60
	s_delay_alu instid0(SALU_CYCLE_1)
	s_mov_b32 s60, exec_lo
	v_cmpx_lt_u32_e64 v110, v134
	s_cbranch_execz .LBB1655_1156
.LBB1655_1226:                          ;   in Loop: Header=BB1655_1040 Depth=2
	global_load_b64 v[34:35], v[62:63], off offset:3328
	s_wait_xcnt 0x0
	s_or_b32 exec_lo, exec_lo, s60
	s_delay_alu instid0(SALU_CYCLE_1)
	s_mov_b32 s60, exec_lo
	v_cmpx_lt_u32_e64 v111, v134
	s_cbranch_execz .LBB1655_1157
.LBB1655_1227:                          ;   in Loop: Header=BB1655_1040 Depth=2
	global_load_b64 v[32:33], v[62:63], off offset:3584
	s_wait_xcnt 0x0
	s_or_b32 exec_lo, exec_lo, s60
	s_delay_alu instid0(SALU_CYCLE_1)
	s_mov_b32 s60, exec_lo
	v_cmpx_lt_u32_e64 v112, v134
	s_cbranch_execz .LBB1655_1158
.LBB1655_1228:                          ;   in Loop: Header=BB1655_1040 Depth=2
	global_load_b64 v[30:31], v[62:63], off offset:3840
	s_wait_xcnt 0x0
	s_or_b32 exec_lo, exec_lo, s60
	s_delay_alu instid0(SALU_CYCLE_1)
	s_mov_b32 s60, exec_lo
	v_cmpx_lt_u32_e64 v113, v134
	s_cbranch_execz .LBB1655_1159
.LBB1655_1229:                          ;   in Loop: Header=BB1655_1040 Depth=2
	global_load_b64 v[28:29], v[62:63], off offset:4096
	s_wait_xcnt 0x0
	s_or_b32 exec_lo, exec_lo, s60
	s_and_saveexec_b32 s34, vcc_lo
	s_cbranch_execz .LBB1655_1160
.LBB1655_1230:                          ;   in Loop: Header=BB1655_1040 Depth=2
	ds_load_u8 v62, v2 offset:512
	s_wait_dscnt 0x0
	v_lshrrev_b32_e32 v62, s49, v62
	s_delay_alu instid0(VALU_DEP_1)
	v_and_b32_e32 v131, s48, v62
	s_or_b32 exec_lo, exec_lo, s34
	s_and_saveexec_b32 s34, s17
	s_cbranch_execz .LBB1655_1161
.LBB1655_1231:                          ;   in Loop: Header=BB1655_1040 Depth=2
	ds_load_u8 v62, v2 offset:768
	s_wait_dscnt 0x0
	v_lshrrev_b32_e32 v62, s49, v62
	s_delay_alu instid0(VALU_DEP_1)
	v_and_b32_e32 v130, s48, v62
	s_or_b32 exec_lo, exec_lo, s34
	s_and_saveexec_b32 s34, s18
	s_cbranch_execz .LBB1655_1162
.LBB1655_1232:                          ;   in Loop: Header=BB1655_1040 Depth=2
	ds_load_u8 v62, v2 offset:1024
	s_wait_dscnt 0x0
	v_lshrrev_b32_e32 v62, s49, v62
	s_delay_alu instid0(VALU_DEP_1)
	v_and_b32_e32 v129, s48, v62
	s_or_b32 exec_lo, exec_lo, s34
	s_and_saveexec_b32 s34, s19
	s_cbranch_execz .LBB1655_1163
.LBB1655_1233:                          ;   in Loop: Header=BB1655_1040 Depth=2
	ds_load_u8 v62, v2 offset:1280
	s_wait_dscnt 0x0
	v_lshrrev_b32_e32 v62, s49, v62
	s_delay_alu instid0(VALU_DEP_1)
	v_and_b32_e32 v128, s48, v62
	s_or_b32 exec_lo, exec_lo, s34
	s_and_saveexec_b32 s34, s20
	s_cbranch_execz .LBB1655_1164
.LBB1655_1234:                          ;   in Loop: Header=BB1655_1040 Depth=2
	ds_load_u8 v62, v2 offset:1536
	s_wait_dscnt 0x0
	v_lshrrev_b32_e32 v62, s49, v62
	s_delay_alu instid0(VALU_DEP_1)
	v_and_b32_e32 v127, s48, v62
	s_or_b32 exec_lo, exec_lo, s34
	s_and_saveexec_b32 s34, s21
	s_cbranch_execz .LBB1655_1165
.LBB1655_1235:                          ;   in Loop: Header=BB1655_1040 Depth=2
	ds_load_u8 v62, v2 offset:1792
	s_wait_dscnt 0x0
	v_lshrrev_b32_e32 v62, s49, v62
	s_delay_alu instid0(VALU_DEP_1)
	v_and_b32_e32 v126, s48, v62
	s_or_b32 exec_lo, exec_lo, s34
	s_and_saveexec_b32 s34, s22
	s_cbranch_execz .LBB1655_1166
.LBB1655_1236:                          ;   in Loop: Header=BB1655_1040 Depth=2
	ds_load_u8 v62, v2 offset:2048
	s_wait_dscnt 0x0
	v_lshrrev_b32_e32 v62, s49, v62
	s_delay_alu instid0(VALU_DEP_1)
	v_and_b32_e32 v125, s48, v62
	s_or_b32 exec_lo, exec_lo, s34
	s_and_saveexec_b32 s34, s23
	s_cbranch_execz .LBB1655_1167
.LBB1655_1237:                          ;   in Loop: Header=BB1655_1040 Depth=2
	ds_load_u8 v62, v2 offset:2304
	s_wait_dscnt 0x0
	v_lshrrev_b32_e32 v62, s49, v62
	s_delay_alu instid0(VALU_DEP_1)
	v_and_b32_e32 v124, s48, v62
	s_or_b32 exec_lo, exec_lo, s34
	s_and_saveexec_b32 s34, s24
	s_cbranch_execz .LBB1655_1168
.LBB1655_1238:                          ;   in Loop: Header=BB1655_1040 Depth=2
	ds_load_u8 v62, v2 offset:2560
	s_wait_dscnt 0x0
	v_lshrrev_b32_e32 v62, s49, v62
	s_delay_alu instid0(VALU_DEP_1)
	v_and_b32_e32 v123, s48, v62
	s_or_b32 exec_lo, exec_lo, s34
	s_and_saveexec_b32 s34, s25
	s_cbranch_execz .LBB1655_1169
.LBB1655_1239:                          ;   in Loop: Header=BB1655_1040 Depth=2
	ds_load_u8 v62, v2 offset:2816
	s_wait_dscnt 0x0
	v_lshrrev_b32_e32 v62, s49, v62
	s_delay_alu instid0(VALU_DEP_1)
	v_and_b32_e32 v122, s48, v62
	s_or_b32 exec_lo, exec_lo, s34
	s_and_saveexec_b32 s34, s26
	s_cbranch_execz .LBB1655_1170
.LBB1655_1240:                          ;   in Loop: Header=BB1655_1040 Depth=2
	ds_load_u8 v62, v2 offset:3072
	s_wait_dscnt 0x0
	v_lshrrev_b32_e32 v62, s49, v62
	s_delay_alu instid0(VALU_DEP_1)
	v_and_b32_e32 v121, s48, v62
	s_or_b32 exec_lo, exec_lo, s34
	s_and_saveexec_b32 s34, s27
	s_cbranch_execz .LBB1655_1171
.LBB1655_1241:                          ;   in Loop: Header=BB1655_1040 Depth=2
	ds_load_u8 v62, v2 offset:3328
	s_wait_dscnt 0x0
	v_lshrrev_b32_e32 v62, s49, v62
	s_delay_alu instid0(VALU_DEP_1)
	v_and_b32_e32 v120, s48, v62
	s_or_b32 exec_lo, exec_lo, s34
	s_and_saveexec_b32 s34, s28
	s_cbranch_execz .LBB1655_1172
.LBB1655_1242:                          ;   in Loop: Header=BB1655_1040 Depth=2
	ds_load_u8 v62, v2 offset:3584
	s_wait_dscnt 0x0
	v_lshrrev_b32_e32 v62, s49, v62
	s_delay_alu instid0(VALU_DEP_1)
	v_and_b32_e32 v119, s48, v62
	s_or_b32 exec_lo, exec_lo, s34
	s_and_saveexec_b32 s34, s29
	s_cbranch_execz .LBB1655_1173
.LBB1655_1243:                          ;   in Loop: Header=BB1655_1040 Depth=2
	ds_load_u8 v62, v2 offset:3840
	s_wait_dscnt 0x0
	v_lshrrev_b32_e32 v62, s49, v62
	s_delay_alu instid0(VALU_DEP_1)
	v_and_b32_e32 v118, s48, v62
	s_or_b32 exec_lo, exec_lo, s34
	s_and_saveexec_b32 s34, s30
	s_cbranch_execz .LBB1655_1174
.LBB1655_1244:                          ;   in Loop: Header=BB1655_1040 Depth=2
	ds_load_u8 v62, v2 offset:4096
	s_wait_dscnt 0x0
	v_lshrrev_b32_e32 v62, s49, v62
	s_delay_alu instid0(VALU_DEP_1)
	v_and_b32_e32 v117, s48, v62
	s_or_b32 exec_lo, exec_lo, s34
	s_and_saveexec_b32 s34, s31
	s_cbranch_execz .LBB1655_1175
.LBB1655_1245:                          ;   in Loop: Header=BB1655_1040 Depth=2
	ds_load_u8 v62, v2 offset:4352
	s_wait_dscnt 0x0
	v_lshrrev_b32_e32 v62, s49, v62
	s_delay_alu instid0(VALU_DEP_1)
	v_and_b32_e32 v116, s48, v62
	s_or_b32 exec_lo, exec_lo, s34
	s_and_saveexec_b32 s34, s33
	s_cbranch_execnz .LBB1655_1176
	s_branch .LBB1655_1177
.LBB1655_1246:                          ;   in Loop: Header=BB1655_1040 Depth=2
	v_lshlrev_b32_e32 v63, 2, v131
	ds_load_b32 v63, v63
	ds_load_b64 v[64:65], v62 offset:512
	s_wait_dscnt 0x1
	v_add_nc_u32_e32 v63, v63, v2
	s_wait_dscnt 0x0
	global_store_b64 v63, v[64:65], s[46:47] scale_offset
	s_wait_xcnt 0x0
	s_or_b32 exec_lo, exec_lo, s34
	s_and_saveexec_b32 s34, s17
	s_cbranch_execz .LBB1655_1179
.LBB1655_1247:                          ;   in Loop: Header=BB1655_1040 Depth=2
	v_lshlrev_b32_e32 v63, 2, v130
	ds_load_b32 v63, v63
	ds_load_b64 v[64:65], v62 offset:2560
	s_wait_dscnt 0x1
	v_add_nc_u32_e32 v63, v63, v67
	s_wait_dscnt 0x0
	global_store_b64 v63, v[64:65], s[46:47] scale_offset
	s_wait_xcnt 0x0
	s_or_b32 exec_lo, exec_lo, s34
	s_and_saveexec_b32 s17, s18
	s_cbranch_execz .LBB1655_1180
.LBB1655_1248:                          ;   in Loop: Header=BB1655_1040 Depth=2
	v_lshlrev_b32_e32 v63, 2, v129
	ds_load_b32 v63, v63
	ds_load_b64 v[64:65], v62 offset:4608
	s_wait_dscnt 0x1
	v_add_nc_u32_e32 v63, v63, v68
	s_wait_dscnt 0x0
	global_store_b64 v63, v[64:65], s[46:47] scale_offset
	s_wait_xcnt 0x0
	s_or_b32 exec_lo, exec_lo, s17
	s_and_saveexec_b32 s17, s19
	s_cbranch_execz .LBB1655_1181
.LBB1655_1249:                          ;   in Loop: Header=BB1655_1040 Depth=2
	v_lshlrev_b32_e32 v63, 2, v128
	ds_load_b32 v63, v63
	ds_load_b64 v[64:65], v62 offset:6656
	s_wait_dscnt 0x1
	v_add_nc_u32_e32 v63, v63, v69
	s_wait_dscnt 0x0
	global_store_b64 v63, v[64:65], s[46:47] scale_offset
	s_wait_xcnt 0x0
	s_or_b32 exec_lo, exec_lo, s17
	s_and_saveexec_b32 s17, s20
	s_cbranch_execz .LBB1655_1182
.LBB1655_1250:                          ;   in Loop: Header=BB1655_1040 Depth=2
	v_lshlrev_b32_e32 v63, 2, v127
	ds_load_b32 v63, v63
	ds_load_b64 v[64:65], v62 offset:8704
	s_wait_dscnt 0x1
	v_add_nc_u32_e32 v63, v63, v70
	s_wait_dscnt 0x0
	global_store_b64 v63, v[64:65], s[46:47] scale_offset
	s_wait_xcnt 0x0
	s_or_b32 exec_lo, exec_lo, s17
	s_and_saveexec_b32 s17, s21
	s_cbranch_execz .LBB1655_1183
.LBB1655_1251:                          ;   in Loop: Header=BB1655_1040 Depth=2
	v_lshlrev_b32_e32 v63, 2, v126
	ds_load_b32 v63, v63
	ds_load_b64 v[64:65], v62 offset:10752
	s_wait_dscnt 0x1
	v_add_nc_u32_e32 v63, v63, v71
	s_wait_dscnt 0x0
	global_store_b64 v63, v[64:65], s[46:47] scale_offset
	s_wait_xcnt 0x0
	s_or_b32 exec_lo, exec_lo, s17
	s_and_saveexec_b32 s17, s22
	s_cbranch_execz .LBB1655_1184
.LBB1655_1252:                          ;   in Loop: Header=BB1655_1040 Depth=2
	v_lshlrev_b32_e32 v63, 2, v125
	ds_load_b32 v63, v63
	ds_load_b64 v[64:65], v62 offset:12800
	s_wait_dscnt 0x1
	v_add_nc_u32_e32 v63, v63, v72
	s_wait_dscnt 0x0
	global_store_b64 v63, v[64:65], s[46:47] scale_offset
	s_wait_xcnt 0x0
	s_or_b32 exec_lo, exec_lo, s17
	s_and_saveexec_b32 s17, s23
	s_cbranch_execz .LBB1655_1185
.LBB1655_1253:                          ;   in Loop: Header=BB1655_1040 Depth=2
	v_lshlrev_b32_e32 v63, 2, v124
	ds_load_b32 v63, v63
	ds_load_b64 v[64:65], v62 offset:14848
	s_wait_dscnt 0x1
	v_add_nc_u32_e32 v63, v63, v73
	s_wait_dscnt 0x0
	global_store_b64 v63, v[64:65], s[46:47] scale_offset
	s_wait_xcnt 0x0
	s_or_b32 exec_lo, exec_lo, s17
	s_and_saveexec_b32 s17, s24
	s_cbranch_execz .LBB1655_1186
.LBB1655_1254:                          ;   in Loop: Header=BB1655_1040 Depth=2
	v_lshlrev_b32_e32 v63, 2, v123
	ds_load_b32 v63, v63
	ds_load_b64 v[64:65], v62 offset:16896
	s_wait_dscnt 0x1
	v_add_nc_u32_e32 v63, v63, v74
	s_wait_dscnt 0x0
	global_store_b64 v63, v[64:65], s[46:47] scale_offset
	s_wait_xcnt 0x0
	s_or_b32 exec_lo, exec_lo, s17
	s_and_saveexec_b32 s17, s25
	s_cbranch_execz .LBB1655_1187
.LBB1655_1255:                          ;   in Loop: Header=BB1655_1040 Depth=2
	v_lshlrev_b32_e32 v63, 2, v122
	ds_load_b32 v63, v63
	ds_load_b64 v[64:65], v62 offset:18944
	s_wait_dscnt 0x1
	v_add_nc_u32_e32 v63, v63, v75
	s_wait_dscnt 0x0
	global_store_b64 v63, v[64:65], s[46:47] scale_offset
	s_wait_xcnt 0x0
	s_or_b32 exec_lo, exec_lo, s17
	s_and_saveexec_b32 s17, s26
	s_cbranch_execz .LBB1655_1188
.LBB1655_1256:                          ;   in Loop: Header=BB1655_1040 Depth=2
	v_lshlrev_b32_e32 v63, 2, v121
	ds_load_b32 v63, v63
	ds_load_b64 v[64:65], v62 offset:20992
	s_wait_dscnt 0x1
	v_add_nc_u32_e32 v63, v63, v76
	s_wait_dscnt 0x0
	global_store_b64 v63, v[64:65], s[46:47] scale_offset
	s_wait_xcnt 0x0
	s_or_b32 exec_lo, exec_lo, s17
	s_and_saveexec_b32 s17, s27
	s_cbranch_execz .LBB1655_1189
.LBB1655_1257:                          ;   in Loop: Header=BB1655_1040 Depth=2
	v_lshlrev_b32_e32 v63, 2, v120
	ds_load_b32 v63, v63
	ds_load_b64 v[64:65], v62 offset:23040
	s_wait_dscnt 0x1
	v_add_nc_u32_e32 v63, v63, v77
	s_wait_dscnt 0x0
	global_store_b64 v63, v[64:65], s[46:47] scale_offset
	s_wait_xcnt 0x0
	s_or_b32 exec_lo, exec_lo, s17
	s_and_saveexec_b32 s17, s28
	s_cbranch_execz .LBB1655_1190
.LBB1655_1258:                          ;   in Loop: Header=BB1655_1040 Depth=2
	v_lshlrev_b32_e32 v63, 2, v119
	ds_load_b32 v63, v63
	ds_load_b64 v[64:65], v62 offset:25088
	s_wait_dscnt 0x1
	v_add_nc_u32_e32 v63, v63, v78
	s_wait_dscnt 0x0
	global_store_b64 v63, v[64:65], s[46:47] scale_offset
	s_wait_xcnt 0x0
	s_or_b32 exec_lo, exec_lo, s17
	s_and_saveexec_b32 s17, s29
	s_cbranch_execz .LBB1655_1191
.LBB1655_1259:                          ;   in Loop: Header=BB1655_1040 Depth=2
	v_lshlrev_b32_e32 v63, 2, v118
	ds_load_b32 v63, v63
	ds_load_b64 v[64:65], v62 offset:27136
	s_wait_dscnt 0x1
	v_add_nc_u32_e32 v63, v63, v79
	s_wait_dscnt 0x0
	global_store_b64 v63, v[64:65], s[46:47] scale_offset
	s_wait_xcnt 0x0
	s_or_b32 exec_lo, exec_lo, s17
	s_and_saveexec_b32 s17, s30
	s_cbranch_execz .LBB1655_1192
.LBB1655_1260:                          ;   in Loop: Header=BB1655_1040 Depth=2
	v_lshlrev_b32_e32 v63, 2, v117
	ds_load_b32 v63, v63
	ds_load_b64 v[64:65], v62 offset:29184
	s_wait_dscnt 0x1
	v_add_nc_u32_e32 v63, v63, v80
	s_wait_dscnt 0x0
	global_store_b64 v63, v[64:65], s[46:47] scale_offset
	s_wait_xcnt 0x0
	s_or_b32 exec_lo, exec_lo, s17
	s_and_saveexec_b32 s17, s31
	s_cbranch_execz .LBB1655_1193
.LBB1655_1261:                          ;   in Loop: Header=BB1655_1040 Depth=2
	v_lshlrev_b32_e32 v63, 2, v116
	ds_load_b32 v63, v63
	ds_load_b64 v[64:65], v62 offset:31232
	s_wait_dscnt 0x1
	v_add_nc_u32_e32 v63, v63, v81
	s_wait_dscnt 0x0
	global_store_b64 v63, v[64:65], s[46:47] scale_offset
	s_wait_xcnt 0x0
	s_or_b32 exec_lo, exec_lo, s17
	s_and_saveexec_b32 s17, s33
	s_cbranch_execnz .LBB1655_1194
	s_branch .LBB1655_1195
.LBB1655_1262:
	s_endpgm
	.section	.rodata,"a",@progbits
	.p2align	6, 0x0
	.amdhsa_kernel _ZN7rocprim17ROCPRIM_400000_NS6detail17trampoline_kernelINS0_14default_configENS1_36segmented_radix_sort_config_selectorIblEEZNS1_25segmented_radix_sort_implIS3_Lb0EPKbPbPKlPlN2at6native12_GLOBAL__N_18offset_tEEE10hipError_tPvRmT1_PNSt15iterator_traitsISK_E10value_typeET2_T3_PNSL_ISQ_E10value_typeET4_jRbjT5_SW_jjP12ihipStream_tbEUlT_E2_NS1_11comp_targetILNS1_3genE0ELNS1_11target_archE4294967295ELNS1_3gpuE0ELNS1_3repE0EEENS1_30default_config_static_selectorELNS0_4arch9wavefront6targetE0EEEvSK_
		.amdhsa_group_segment_fixed_size 35344
		.amdhsa_private_segment_fixed_size 12
		.amdhsa_kernarg_size 336
		.amdhsa_user_sgpr_count 4
		.amdhsa_user_sgpr_dispatch_ptr 0
		.amdhsa_user_sgpr_queue_ptr 1
		.amdhsa_user_sgpr_kernarg_segment_ptr 1
		.amdhsa_user_sgpr_dispatch_id 0
		.amdhsa_user_sgpr_kernarg_preload_length 0
		.amdhsa_user_sgpr_kernarg_preload_offset 0
		.amdhsa_user_sgpr_private_segment_size 0
		.amdhsa_wavefront_size32 1
		.amdhsa_uses_dynamic_stack 0
		.amdhsa_enable_private_segment 1
		.amdhsa_system_sgpr_workgroup_id_x 1
		.amdhsa_system_sgpr_workgroup_id_y 1
		.amdhsa_system_sgpr_workgroup_id_z 0
		.amdhsa_system_sgpr_workgroup_info 0
		.amdhsa_system_vgpr_workitem_id 2
		.amdhsa_next_free_vgpr 319
		.amdhsa_next_free_sgpr 61
		.amdhsa_named_barrier_count 0
		.amdhsa_reserve_vcc 1
		.amdhsa_float_round_mode_32 0
		.amdhsa_float_round_mode_16_64 0
		.amdhsa_float_denorm_mode_32 3
		.amdhsa_float_denorm_mode_16_64 3
		.amdhsa_fp16_overflow 0
		.amdhsa_memory_ordered 1
		.amdhsa_forward_progress 1
		.amdhsa_inst_pref_size 255
		.amdhsa_round_robin_scheduling 0
		.amdhsa_exception_fp_ieee_invalid_op 0
		.amdhsa_exception_fp_denorm_src 0
		.amdhsa_exception_fp_ieee_div_zero 0
		.amdhsa_exception_fp_ieee_overflow 0
		.amdhsa_exception_fp_ieee_underflow 0
		.amdhsa_exception_fp_ieee_inexact 0
		.amdhsa_exception_int_div_zero 0
	.end_amdhsa_kernel
	.section	.text._ZN7rocprim17ROCPRIM_400000_NS6detail17trampoline_kernelINS0_14default_configENS1_36segmented_radix_sort_config_selectorIblEEZNS1_25segmented_radix_sort_implIS3_Lb0EPKbPbPKlPlN2at6native12_GLOBAL__N_18offset_tEEE10hipError_tPvRmT1_PNSt15iterator_traitsISK_E10value_typeET2_T3_PNSL_ISQ_E10value_typeET4_jRbjT5_SW_jjP12ihipStream_tbEUlT_E2_NS1_11comp_targetILNS1_3genE0ELNS1_11target_archE4294967295ELNS1_3gpuE0ELNS1_3repE0EEENS1_30default_config_static_selectorELNS0_4arch9wavefront6targetE0EEEvSK_,"axG",@progbits,_ZN7rocprim17ROCPRIM_400000_NS6detail17trampoline_kernelINS0_14default_configENS1_36segmented_radix_sort_config_selectorIblEEZNS1_25segmented_radix_sort_implIS3_Lb0EPKbPbPKlPlN2at6native12_GLOBAL__N_18offset_tEEE10hipError_tPvRmT1_PNSt15iterator_traitsISK_E10value_typeET2_T3_PNSL_ISQ_E10value_typeET4_jRbjT5_SW_jjP12ihipStream_tbEUlT_E2_NS1_11comp_targetILNS1_3genE0ELNS1_11target_archE4294967295ELNS1_3gpuE0ELNS1_3repE0EEENS1_30default_config_static_selectorELNS0_4arch9wavefront6targetE0EEEvSK_,comdat
.Lfunc_end1655:
	.size	_ZN7rocprim17ROCPRIM_400000_NS6detail17trampoline_kernelINS0_14default_configENS1_36segmented_radix_sort_config_selectorIblEEZNS1_25segmented_radix_sort_implIS3_Lb0EPKbPbPKlPlN2at6native12_GLOBAL__N_18offset_tEEE10hipError_tPvRmT1_PNSt15iterator_traitsISK_E10value_typeET2_T3_PNSL_ISQ_E10value_typeET4_jRbjT5_SW_jjP12ihipStream_tbEUlT_E2_NS1_11comp_targetILNS1_3genE0ELNS1_11target_archE4294967295ELNS1_3gpuE0ELNS1_3repE0EEENS1_30default_config_static_selectorELNS0_4arch9wavefront6targetE0EEEvSK_, .Lfunc_end1655-_ZN7rocprim17ROCPRIM_400000_NS6detail17trampoline_kernelINS0_14default_configENS1_36segmented_radix_sort_config_selectorIblEEZNS1_25segmented_radix_sort_implIS3_Lb0EPKbPbPKlPlN2at6native12_GLOBAL__N_18offset_tEEE10hipError_tPvRmT1_PNSt15iterator_traitsISK_E10value_typeET2_T3_PNSL_ISQ_E10value_typeET4_jRbjT5_SW_jjP12ihipStream_tbEUlT_E2_NS1_11comp_targetILNS1_3genE0ELNS1_11target_archE4294967295ELNS1_3gpuE0ELNS1_3repE0EEENS1_30default_config_static_selectorELNS0_4arch9wavefront6targetE0EEEvSK_
                                        ; -- End function
	.set _ZN7rocprim17ROCPRIM_400000_NS6detail17trampoline_kernelINS0_14default_configENS1_36segmented_radix_sort_config_selectorIblEEZNS1_25segmented_radix_sort_implIS3_Lb0EPKbPbPKlPlN2at6native12_GLOBAL__N_18offset_tEEE10hipError_tPvRmT1_PNSt15iterator_traitsISK_E10value_typeET2_T3_PNSL_ISQ_E10value_typeET4_jRbjT5_SW_jjP12ihipStream_tbEUlT_E2_NS1_11comp_targetILNS1_3genE0ELNS1_11target_archE4294967295ELNS1_3gpuE0ELNS1_3repE0EEENS1_30default_config_static_selectorELNS0_4arch9wavefront6targetE0EEEvSK_.num_vgpr, max(205, .L_ZN7rocprim17ROCPRIM_400000_NS6detail26segmented_warp_sort_helperINS1_20WarpSortHelperConfigILj32ELj4ELj256EEEblLi256ELb0EvE4sortIPKbPbPKlPlEEvT_T0_T1_T2_jjjjRNS5_12storage_typeE.num_vgpr, .L_ZN7rocprim17ROCPRIM_400000_NS6detail40segmented_radix_sort_single_block_helperIblLj256ELj17ELb0EE4sortIPKbPbPKlPlEEbT_T0_T1_T2_jjjjRNS3_12storage_typeE.num_vgpr)
	.set _ZN7rocprim17ROCPRIM_400000_NS6detail17trampoline_kernelINS0_14default_configENS1_36segmented_radix_sort_config_selectorIblEEZNS1_25segmented_radix_sort_implIS3_Lb0EPKbPbPKlPlN2at6native12_GLOBAL__N_18offset_tEEE10hipError_tPvRmT1_PNSt15iterator_traitsISK_E10value_typeET2_T3_PNSL_ISQ_E10value_typeET4_jRbjT5_SW_jjP12ihipStream_tbEUlT_E2_NS1_11comp_targetILNS1_3genE0ELNS1_11target_archE4294967295ELNS1_3gpuE0ELNS1_3repE0EEENS1_30default_config_static_selectorELNS0_4arch9wavefront6targetE0EEEvSK_.num_agpr, max(0, .L_ZN7rocprim17ROCPRIM_400000_NS6detail26segmented_warp_sort_helperINS1_20WarpSortHelperConfigILj32ELj4ELj256EEEblLi256ELb0EvE4sortIPKbPbPKlPlEEvT_T0_T1_T2_jjjjRNS5_12storage_typeE.num_agpr, .L_ZN7rocprim17ROCPRIM_400000_NS6detail40segmented_radix_sort_single_block_helperIblLj256ELj17ELb0EE4sortIPKbPbPKlPlEEbT_T0_T1_T2_jjjjRNS3_12storage_typeE.num_agpr)
	.set _ZN7rocprim17ROCPRIM_400000_NS6detail17trampoline_kernelINS0_14default_configENS1_36segmented_radix_sort_config_selectorIblEEZNS1_25segmented_radix_sort_implIS3_Lb0EPKbPbPKlPlN2at6native12_GLOBAL__N_18offset_tEEE10hipError_tPvRmT1_PNSt15iterator_traitsISK_E10value_typeET2_T3_PNSL_ISQ_E10value_typeET4_jRbjT5_SW_jjP12ihipStream_tbEUlT_E2_NS1_11comp_targetILNS1_3genE0ELNS1_11target_archE4294967295ELNS1_3gpuE0ELNS1_3repE0EEENS1_30default_config_static_selectorELNS0_4arch9wavefront6targetE0EEEvSK_.numbered_sgpr, max(61, .L_ZN7rocprim17ROCPRIM_400000_NS6detail26segmented_warp_sort_helperINS1_20WarpSortHelperConfigILj32ELj4ELj256EEEblLi256ELb0EvE4sortIPKbPbPKlPlEEvT_T0_T1_T2_jjjjRNS5_12storage_typeE.numbered_sgpr, .L_ZN7rocprim17ROCPRIM_400000_NS6detail40segmented_radix_sort_single_block_helperIblLj256ELj17ELb0EE4sortIPKbPbPKlPlEEbT_T0_T1_T2_jjjjRNS3_12storage_typeE.numbered_sgpr)
	.set _ZN7rocprim17ROCPRIM_400000_NS6detail17trampoline_kernelINS0_14default_configENS1_36segmented_radix_sort_config_selectorIblEEZNS1_25segmented_radix_sort_implIS3_Lb0EPKbPbPKlPlN2at6native12_GLOBAL__N_18offset_tEEE10hipError_tPvRmT1_PNSt15iterator_traitsISK_E10value_typeET2_T3_PNSL_ISQ_E10value_typeET4_jRbjT5_SW_jjP12ihipStream_tbEUlT_E2_NS1_11comp_targetILNS1_3genE0ELNS1_11target_archE4294967295ELNS1_3gpuE0ELNS1_3repE0EEENS1_30default_config_static_selectorELNS0_4arch9wavefront6targetE0EEEvSK_.num_named_barrier, max(0, .L_ZN7rocprim17ROCPRIM_400000_NS6detail26segmented_warp_sort_helperINS1_20WarpSortHelperConfigILj32ELj4ELj256EEEblLi256ELb0EvE4sortIPKbPbPKlPlEEvT_T0_T1_T2_jjjjRNS5_12storage_typeE.num_named_barrier, .L_ZN7rocprim17ROCPRIM_400000_NS6detail40segmented_radix_sort_single_block_helperIblLj256ELj17ELb0EE4sortIPKbPbPKlPlEEbT_T0_T1_T2_jjjjRNS3_12storage_typeE.num_named_barrier)
	.set _ZN7rocprim17ROCPRIM_400000_NS6detail17trampoline_kernelINS0_14default_configENS1_36segmented_radix_sort_config_selectorIblEEZNS1_25segmented_radix_sort_implIS3_Lb0EPKbPbPKlPlN2at6native12_GLOBAL__N_18offset_tEEE10hipError_tPvRmT1_PNSt15iterator_traitsISK_E10value_typeET2_T3_PNSL_ISQ_E10value_typeET4_jRbjT5_SW_jjP12ihipStream_tbEUlT_E2_NS1_11comp_targetILNS1_3genE0ELNS1_11target_archE4294967295ELNS1_3gpuE0ELNS1_3repE0EEENS1_30default_config_static_selectorELNS0_4arch9wavefront6targetE0EEEvSK_.private_seg_size, 0+max(.L_ZN7rocprim17ROCPRIM_400000_NS6detail26segmented_warp_sort_helperINS1_20WarpSortHelperConfigILj32ELj4ELj256EEEblLi256ELb0EvE4sortIPKbPbPKlPlEEvT_T0_T1_T2_jjjjRNS5_12storage_typeE.private_seg_size, .L_ZN7rocprim17ROCPRIM_400000_NS6detail40segmented_radix_sort_single_block_helperIblLj256ELj17ELb0EE4sortIPKbPbPKlPlEEbT_T0_T1_T2_jjjjRNS3_12storage_typeE.private_seg_size)
	.set _ZN7rocprim17ROCPRIM_400000_NS6detail17trampoline_kernelINS0_14default_configENS1_36segmented_radix_sort_config_selectorIblEEZNS1_25segmented_radix_sort_implIS3_Lb0EPKbPbPKlPlN2at6native12_GLOBAL__N_18offset_tEEE10hipError_tPvRmT1_PNSt15iterator_traitsISK_E10value_typeET2_T3_PNSL_ISQ_E10value_typeET4_jRbjT5_SW_jjP12ihipStream_tbEUlT_E2_NS1_11comp_targetILNS1_3genE0ELNS1_11target_archE4294967295ELNS1_3gpuE0ELNS1_3repE0EEENS1_30default_config_static_selectorELNS0_4arch9wavefront6targetE0EEEvSK_.uses_vcc, or(1, .L_ZN7rocprim17ROCPRIM_400000_NS6detail26segmented_warp_sort_helperINS1_20WarpSortHelperConfigILj32ELj4ELj256EEEblLi256ELb0EvE4sortIPKbPbPKlPlEEvT_T0_T1_T2_jjjjRNS5_12storage_typeE.uses_vcc, .L_ZN7rocprim17ROCPRIM_400000_NS6detail40segmented_radix_sort_single_block_helperIblLj256ELj17ELb0EE4sortIPKbPbPKlPlEEbT_T0_T1_T2_jjjjRNS3_12storage_typeE.uses_vcc)
	.set _ZN7rocprim17ROCPRIM_400000_NS6detail17trampoline_kernelINS0_14default_configENS1_36segmented_radix_sort_config_selectorIblEEZNS1_25segmented_radix_sort_implIS3_Lb0EPKbPbPKlPlN2at6native12_GLOBAL__N_18offset_tEEE10hipError_tPvRmT1_PNSt15iterator_traitsISK_E10value_typeET2_T3_PNSL_ISQ_E10value_typeET4_jRbjT5_SW_jjP12ihipStream_tbEUlT_E2_NS1_11comp_targetILNS1_3genE0ELNS1_11target_archE4294967295ELNS1_3gpuE0ELNS1_3repE0EEENS1_30default_config_static_selectorELNS0_4arch9wavefront6targetE0EEEvSK_.uses_flat_scratch, or(0, .L_ZN7rocprim17ROCPRIM_400000_NS6detail26segmented_warp_sort_helperINS1_20WarpSortHelperConfigILj32ELj4ELj256EEEblLi256ELb0EvE4sortIPKbPbPKlPlEEvT_T0_T1_T2_jjjjRNS5_12storage_typeE.uses_flat_scratch, .L_ZN7rocprim17ROCPRIM_400000_NS6detail40segmented_radix_sort_single_block_helperIblLj256ELj17ELb0EE4sortIPKbPbPKlPlEEbT_T0_T1_T2_jjjjRNS3_12storage_typeE.uses_flat_scratch)
	.set _ZN7rocprim17ROCPRIM_400000_NS6detail17trampoline_kernelINS0_14default_configENS1_36segmented_radix_sort_config_selectorIblEEZNS1_25segmented_radix_sort_implIS3_Lb0EPKbPbPKlPlN2at6native12_GLOBAL__N_18offset_tEEE10hipError_tPvRmT1_PNSt15iterator_traitsISK_E10value_typeET2_T3_PNSL_ISQ_E10value_typeET4_jRbjT5_SW_jjP12ihipStream_tbEUlT_E2_NS1_11comp_targetILNS1_3genE0ELNS1_11target_archE4294967295ELNS1_3gpuE0ELNS1_3repE0EEENS1_30default_config_static_selectorELNS0_4arch9wavefront6targetE0EEEvSK_.has_dyn_sized_stack, or(0, .L_ZN7rocprim17ROCPRIM_400000_NS6detail26segmented_warp_sort_helperINS1_20WarpSortHelperConfigILj32ELj4ELj256EEEblLi256ELb0EvE4sortIPKbPbPKlPlEEvT_T0_T1_T2_jjjjRNS5_12storage_typeE.has_dyn_sized_stack, .L_ZN7rocprim17ROCPRIM_400000_NS6detail40segmented_radix_sort_single_block_helperIblLj256ELj17ELb0EE4sortIPKbPbPKlPlEEbT_T0_T1_T2_jjjjRNS3_12storage_typeE.has_dyn_sized_stack)
	.set _ZN7rocprim17ROCPRIM_400000_NS6detail17trampoline_kernelINS0_14default_configENS1_36segmented_radix_sort_config_selectorIblEEZNS1_25segmented_radix_sort_implIS3_Lb0EPKbPbPKlPlN2at6native12_GLOBAL__N_18offset_tEEE10hipError_tPvRmT1_PNSt15iterator_traitsISK_E10value_typeET2_T3_PNSL_ISQ_E10value_typeET4_jRbjT5_SW_jjP12ihipStream_tbEUlT_E2_NS1_11comp_targetILNS1_3genE0ELNS1_11target_archE4294967295ELNS1_3gpuE0ELNS1_3repE0EEENS1_30default_config_static_selectorELNS0_4arch9wavefront6targetE0EEEvSK_.has_recursion, or(0, .L_ZN7rocprim17ROCPRIM_400000_NS6detail26segmented_warp_sort_helperINS1_20WarpSortHelperConfigILj32ELj4ELj256EEEblLi256ELb0EvE4sortIPKbPbPKlPlEEvT_T0_T1_T2_jjjjRNS5_12storage_typeE.has_recursion, .L_ZN7rocprim17ROCPRIM_400000_NS6detail40segmented_radix_sort_single_block_helperIblLj256ELj17ELb0EE4sortIPKbPbPKlPlEEbT_T0_T1_T2_jjjjRNS3_12storage_typeE.has_recursion)
	.set _ZN7rocprim17ROCPRIM_400000_NS6detail17trampoline_kernelINS0_14default_configENS1_36segmented_radix_sort_config_selectorIblEEZNS1_25segmented_radix_sort_implIS3_Lb0EPKbPbPKlPlN2at6native12_GLOBAL__N_18offset_tEEE10hipError_tPvRmT1_PNSt15iterator_traitsISK_E10value_typeET2_T3_PNSL_ISQ_E10value_typeET4_jRbjT5_SW_jjP12ihipStream_tbEUlT_E2_NS1_11comp_targetILNS1_3genE0ELNS1_11target_archE4294967295ELNS1_3gpuE0ELNS1_3repE0EEENS1_30default_config_static_selectorELNS0_4arch9wavefront6targetE0EEEvSK_.has_indirect_call, or(0, .L_ZN7rocprim17ROCPRIM_400000_NS6detail26segmented_warp_sort_helperINS1_20WarpSortHelperConfigILj32ELj4ELj256EEEblLi256ELb0EvE4sortIPKbPbPKlPlEEvT_T0_T1_T2_jjjjRNS5_12storage_typeE.has_indirect_call, .L_ZN7rocprim17ROCPRIM_400000_NS6detail40segmented_radix_sort_single_block_helperIblLj256ELj17ELb0EE4sortIPKbPbPKlPlEEbT_T0_T1_T2_jjjjRNS3_12storage_typeE.has_indirect_call)
	.section	.AMDGPU.csdata,"",@progbits
; Kernel info:
; codeLenInByte = 55420
; TotalNumSgprs: 63
; NumVgprs: 319
; ScratchSize: 12
; MemoryBound: 0
; FloatMode: 240
; IeeeMode: 1
; LDSByteSize: 35344 bytes/workgroup (compile time only)
; SGPRBlocks: 0
; VGPRBlocks: 19
; NumSGPRsForWavesPerEU: 63
; NumVGPRsForWavesPerEU: 319
; NamedBarCnt: 0
; Occupancy: 3
; WaveLimiterHint : 1
; COMPUTE_PGM_RSRC2:SCRATCH_EN: 1
; COMPUTE_PGM_RSRC2:USER_SGPR: 4
; COMPUTE_PGM_RSRC2:TRAP_HANDLER: 0
; COMPUTE_PGM_RSRC2:TGID_X_EN: 1
; COMPUTE_PGM_RSRC2:TGID_Y_EN: 1
; COMPUTE_PGM_RSRC2:TGID_Z_EN: 0
; COMPUTE_PGM_RSRC2:TIDIG_COMP_CNT: 2
	.section	.text._ZN7rocprim17ROCPRIM_400000_NS6detail17trampoline_kernelINS0_14default_configENS1_36segmented_radix_sort_config_selectorIblEEZNS1_25segmented_radix_sort_implIS3_Lb0EPKbPbPKlPlN2at6native12_GLOBAL__N_18offset_tEEE10hipError_tPvRmT1_PNSt15iterator_traitsISK_E10value_typeET2_T3_PNSL_ISQ_E10value_typeET4_jRbjT5_SW_jjP12ihipStream_tbEUlT_E2_NS1_11comp_targetILNS1_3genE5ELNS1_11target_archE942ELNS1_3gpuE9ELNS1_3repE0EEENS1_30default_config_static_selectorELNS0_4arch9wavefront6targetE0EEEvSK_,"axG",@progbits,_ZN7rocprim17ROCPRIM_400000_NS6detail17trampoline_kernelINS0_14default_configENS1_36segmented_radix_sort_config_selectorIblEEZNS1_25segmented_radix_sort_implIS3_Lb0EPKbPbPKlPlN2at6native12_GLOBAL__N_18offset_tEEE10hipError_tPvRmT1_PNSt15iterator_traitsISK_E10value_typeET2_T3_PNSL_ISQ_E10value_typeET4_jRbjT5_SW_jjP12ihipStream_tbEUlT_E2_NS1_11comp_targetILNS1_3genE5ELNS1_11target_archE942ELNS1_3gpuE9ELNS1_3repE0EEENS1_30default_config_static_selectorELNS0_4arch9wavefront6targetE0EEEvSK_,comdat
	.globl	_ZN7rocprim17ROCPRIM_400000_NS6detail17trampoline_kernelINS0_14default_configENS1_36segmented_radix_sort_config_selectorIblEEZNS1_25segmented_radix_sort_implIS3_Lb0EPKbPbPKlPlN2at6native12_GLOBAL__N_18offset_tEEE10hipError_tPvRmT1_PNSt15iterator_traitsISK_E10value_typeET2_T3_PNSL_ISQ_E10value_typeET4_jRbjT5_SW_jjP12ihipStream_tbEUlT_E2_NS1_11comp_targetILNS1_3genE5ELNS1_11target_archE942ELNS1_3gpuE9ELNS1_3repE0EEENS1_30default_config_static_selectorELNS0_4arch9wavefront6targetE0EEEvSK_ ; -- Begin function _ZN7rocprim17ROCPRIM_400000_NS6detail17trampoline_kernelINS0_14default_configENS1_36segmented_radix_sort_config_selectorIblEEZNS1_25segmented_radix_sort_implIS3_Lb0EPKbPbPKlPlN2at6native12_GLOBAL__N_18offset_tEEE10hipError_tPvRmT1_PNSt15iterator_traitsISK_E10value_typeET2_T3_PNSL_ISQ_E10value_typeET4_jRbjT5_SW_jjP12ihipStream_tbEUlT_E2_NS1_11comp_targetILNS1_3genE5ELNS1_11target_archE942ELNS1_3gpuE9ELNS1_3repE0EEENS1_30default_config_static_selectorELNS0_4arch9wavefront6targetE0EEEvSK_
	.p2align	8
	.type	_ZN7rocprim17ROCPRIM_400000_NS6detail17trampoline_kernelINS0_14default_configENS1_36segmented_radix_sort_config_selectorIblEEZNS1_25segmented_radix_sort_implIS3_Lb0EPKbPbPKlPlN2at6native12_GLOBAL__N_18offset_tEEE10hipError_tPvRmT1_PNSt15iterator_traitsISK_E10value_typeET2_T3_PNSL_ISQ_E10value_typeET4_jRbjT5_SW_jjP12ihipStream_tbEUlT_E2_NS1_11comp_targetILNS1_3genE5ELNS1_11target_archE942ELNS1_3gpuE9ELNS1_3repE0EEENS1_30default_config_static_selectorELNS0_4arch9wavefront6targetE0EEEvSK_,@function
_ZN7rocprim17ROCPRIM_400000_NS6detail17trampoline_kernelINS0_14default_configENS1_36segmented_radix_sort_config_selectorIblEEZNS1_25segmented_radix_sort_implIS3_Lb0EPKbPbPKlPlN2at6native12_GLOBAL__N_18offset_tEEE10hipError_tPvRmT1_PNSt15iterator_traitsISK_E10value_typeET2_T3_PNSL_ISQ_E10value_typeET4_jRbjT5_SW_jjP12ihipStream_tbEUlT_E2_NS1_11comp_targetILNS1_3genE5ELNS1_11target_archE942ELNS1_3gpuE9ELNS1_3repE0EEENS1_30default_config_static_selectorELNS0_4arch9wavefront6targetE0EEEvSK_: ; @_ZN7rocprim17ROCPRIM_400000_NS6detail17trampoline_kernelINS0_14default_configENS1_36segmented_radix_sort_config_selectorIblEEZNS1_25segmented_radix_sort_implIS3_Lb0EPKbPbPKlPlN2at6native12_GLOBAL__N_18offset_tEEE10hipError_tPvRmT1_PNSt15iterator_traitsISK_E10value_typeET2_T3_PNSL_ISQ_E10value_typeET4_jRbjT5_SW_jjP12ihipStream_tbEUlT_E2_NS1_11comp_targetILNS1_3genE5ELNS1_11target_archE942ELNS1_3gpuE9ELNS1_3repE0EEENS1_30default_config_static_selectorELNS0_4arch9wavefront6targetE0EEEvSK_
; %bb.0:
	.section	.rodata,"a",@progbits
	.p2align	6, 0x0
	.amdhsa_kernel _ZN7rocprim17ROCPRIM_400000_NS6detail17trampoline_kernelINS0_14default_configENS1_36segmented_radix_sort_config_selectorIblEEZNS1_25segmented_radix_sort_implIS3_Lb0EPKbPbPKlPlN2at6native12_GLOBAL__N_18offset_tEEE10hipError_tPvRmT1_PNSt15iterator_traitsISK_E10value_typeET2_T3_PNSL_ISQ_E10value_typeET4_jRbjT5_SW_jjP12ihipStream_tbEUlT_E2_NS1_11comp_targetILNS1_3genE5ELNS1_11target_archE942ELNS1_3gpuE9ELNS1_3repE0EEENS1_30default_config_static_selectorELNS0_4arch9wavefront6targetE0EEEvSK_
		.amdhsa_group_segment_fixed_size 0
		.amdhsa_private_segment_fixed_size 0
		.amdhsa_kernarg_size 80
		.amdhsa_user_sgpr_count 2
		.amdhsa_user_sgpr_dispatch_ptr 0
		.amdhsa_user_sgpr_queue_ptr 0
		.amdhsa_user_sgpr_kernarg_segment_ptr 1
		.amdhsa_user_sgpr_dispatch_id 0
		.amdhsa_user_sgpr_kernarg_preload_length 0
		.amdhsa_user_sgpr_kernarg_preload_offset 0
		.amdhsa_user_sgpr_private_segment_size 0
		.amdhsa_wavefront_size32 1
		.amdhsa_uses_dynamic_stack 0
		.amdhsa_enable_private_segment 0
		.amdhsa_system_sgpr_workgroup_id_x 1
		.amdhsa_system_sgpr_workgroup_id_y 0
		.amdhsa_system_sgpr_workgroup_id_z 0
		.amdhsa_system_sgpr_workgroup_info 0
		.amdhsa_system_vgpr_workitem_id 0
		.amdhsa_next_free_vgpr 1
		.amdhsa_next_free_sgpr 1
		.amdhsa_named_barrier_count 0
		.amdhsa_reserve_vcc 0
		.amdhsa_float_round_mode_32 0
		.amdhsa_float_round_mode_16_64 0
		.amdhsa_float_denorm_mode_32 3
		.amdhsa_float_denorm_mode_16_64 3
		.amdhsa_fp16_overflow 0
		.amdhsa_memory_ordered 1
		.amdhsa_forward_progress 1
		.amdhsa_inst_pref_size 0
		.amdhsa_round_robin_scheduling 0
		.amdhsa_exception_fp_ieee_invalid_op 0
		.amdhsa_exception_fp_denorm_src 0
		.amdhsa_exception_fp_ieee_div_zero 0
		.amdhsa_exception_fp_ieee_overflow 0
		.amdhsa_exception_fp_ieee_underflow 0
		.amdhsa_exception_fp_ieee_inexact 0
		.amdhsa_exception_int_div_zero 0
	.end_amdhsa_kernel
	.section	.text._ZN7rocprim17ROCPRIM_400000_NS6detail17trampoline_kernelINS0_14default_configENS1_36segmented_radix_sort_config_selectorIblEEZNS1_25segmented_radix_sort_implIS3_Lb0EPKbPbPKlPlN2at6native12_GLOBAL__N_18offset_tEEE10hipError_tPvRmT1_PNSt15iterator_traitsISK_E10value_typeET2_T3_PNSL_ISQ_E10value_typeET4_jRbjT5_SW_jjP12ihipStream_tbEUlT_E2_NS1_11comp_targetILNS1_3genE5ELNS1_11target_archE942ELNS1_3gpuE9ELNS1_3repE0EEENS1_30default_config_static_selectorELNS0_4arch9wavefront6targetE0EEEvSK_,"axG",@progbits,_ZN7rocprim17ROCPRIM_400000_NS6detail17trampoline_kernelINS0_14default_configENS1_36segmented_radix_sort_config_selectorIblEEZNS1_25segmented_radix_sort_implIS3_Lb0EPKbPbPKlPlN2at6native12_GLOBAL__N_18offset_tEEE10hipError_tPvRmT1_PNSt15iterator_traitsISK_E10value_typeET2_T3_PNSL_ISQ_E10value_typeET4_jRbjT5_SW_jjP12ihipStream_tbEUlT_E2_NS1_11comp_targetILNS1_3genE5ELNS1_11target_archE942ELNS1_3gpuE9ELNS1_3repE0EEENS1_30default_config_static_selectorELNS0_4arch9wavefront6targetE0EEEvSK_,comdat
.Lfunc_end1656:
	.size	_ZN7rocprim17ROCPRIM_400000_NS6detail17trampoline_kernelINS0_14default_configENS1_36segmented_radix_sort_config_selectorIblEEZNS1_25segmented_radix_sort_implIS3_Lb0EPKbPbPKlPlN2at6native12_GLOBAL__N_18offset_tEEE10hipError_tPvRmT1_PNSt15iterator_traitsISK_E10value_typeET2_T3_PNSL_ISQ_E10value_typeET4_jRbjT5_SW_jjP12ihipStream_tbEUlT_E2_NS1_11comp_targetILNS1_3genE5ELNS1_11target_archE942ELNS1_3gpuE9ELNS1_3repE0EEENS1_30default_config_static_selectorELNS0_4arch9wavefront6targetE0EEEvSK_, .Lfunc_end1656-_ZN7rocprim17ROCPRIM_400000_NS6detail17trampoline_kernelINS0_14default_configENS1_36segmented_radix_sort_config_selectorIblEEZNS1_25segmented_radix_sort_implIS3_Lb0EPKbPbPKlPlN2at6native12_GLOBAL__N_18offset_tEEE10hipError_tPvRmT1_PNSt15iterator_traitsISK_E10value_typeET2_T3_PNSL_ISQ_E10value_typeET4_jRbjT5_SW_jjP12ihipStream_tbEUlT_E2_NS1_11comp_targetILNS1_3genE5ELNS1_11target_archE942ELNS1_3gpuE9ELNS1_3repE0EEENS1_30default_config_static_selectorELNS0_4arch9wavefront6targetE0EEEvSK_
                                        ; -- End function
	.set _ZN7rocprim17ROCPRIM_400000_NS6detail17trampoline_kernelINS0_14default_configENS1_36segmented_radix_sort_config_selectorIblEEZNS1_25segmented_radix_sort_implIS3_Lb0EPKbPbPKlPlN2at6native12_GLOBAL__N_18offset_tEEE10hipError_tPvRmT1_PNSt15iterator_traitsISK_E10value_typeET2_T3_PNSL_ISQ_E10value_typeET4_jRbjT5_SW_jjP12ihipStream_tbEUlT_E2_NS1_11comp_targetILNS1_3genE5ELNS1_11target_archE942ELNS1_3gpuE9ELNS1_3repE0EEENS1_30default_config_static_selectorELNS0_4arch9wavefront6targetE0EEEvSK_.num_vgpr, 0
	.set _ZN7rocprim17ROCPRIM_400000_NS6detail17trampoline_kernelINS0_14default_configENS1_36segmented_radix_sort_config_selectorIblEEZNS1_25segmented_radix_sort_implIS3_Lb0EPKbPbPKlPlN2at6native12_GLOBAL__N_18offset_tEEE10hipError_tPvRmT1_PNSt15iterator_traitsISK_E10value_typeET2_T3_PNSL_ISQ_E10value_typeET4_jRbjT5_SW_jjP12ihipStream_tbEUlT_E2_NS1_11comp_targetILNS1_3genE5ELNS1_11target_archE942ELNS1_3gpuE9ELNS1_3repE0EEENS1_30default_config_static_selectorELNS0_4arch9wavefront6targetE0EEEvSK_.num_agpr, 0
	.set _ZN7rocprim17ROCPRIM_400000_NS6detail17trampoline_kernelINS0_14default_configENS1_36segmented_radix_sort_config_selectorIblEEZNS1_25segmented_radix_sort_implIS3_Lb0EPKbPbPKlPlN2at6native12_GLOBAL__N_18offset_tEEE10hipError_tPvRmT1_PNSt15iterator_traitsISK_E10value_typeET2_T3_PNSL_ISQ_E10value_typeET4_jRbjT5_SW_jjP12ihipStream_tbEUlT_E2_NS1_11comp_targetILNS1_3genE5ELNS1_11target_archE942ELNS1_3gpuE9ELNS1_3repE0EEENS1_30default_config_static_selectorELNS0_4arch9wavefront6targetE0EEEvSK_.numbered_sgpr, 0
	.set _ZN7rocprim17ROCPRIM_400000_NS6detail17trampoline_kernelINS0_14default_configENS1_36segmented_radix_sort_config_selectorIblEEZNS1_25segmented_radix_sort_implIS3_Lb0EPKbPbPKlPlN2at6native12_GLOBAL__N_18offset_tEEE10hipError_tPvRmT1_PNSt15iterator_traitsISK_E10value_typeET2_T3_PNSL_ISQ_E10value_typeET4_jRbjT5_SW_jjP12ihipStream_tbEUlT_E2_NS1_11comp_targetILNS1_3genE5ELNS1_11target_archE942ELNS1_3gpuE9ELNS1_3repE0EEENS1_30default_config_static_selectorELNS0_4arch9wavefront6targetE0EEEvSK_.num_named_barrier, 0
	.set _ZN7rocprim17ROCPRIM_400000_NS6detail17trampoline_kernelINS0_14default_configENS1_36segmented_radix_sort_config_selectorIblEEZNS1_25segmented_radix_sort_implIS3_Lb0EPKbPbPKlPlN2at6native12_GLOBAL__N_18offset_tEEE10hipError_tPvRmT1_PNSt15iterator_traitsISK_E10value_typeET2_T3_PNSL_ISQ_E10value_typeET4_jRbjT5_SW_jjP12ihipStream_tbEUlT_E2_NS1_11comp_targetILNS1_3genE5ELNS1_11target_archE942ELNS1_3gpuE9ELNS1_3repE0EEENS1_30default_config_static_selectorELNS0_4arch9wavefront6targetE0EEEvSK_.private_seg_size, 0
	.set _ZN7rocprim17ROCPRIM_400000_NS6detail17trampoline_kernelINS0_14default_configENS1_36segmented_radix_sort_config_selectorIblEEZNS1_25segmented_radix_sort_implIS3_Lb0EPKbPbPKlPlN2at6native12_GLOBAL__N_18offset_tEEE10hipError_tPvRmT1_PNSt15iterator_traitsISK_E10value_typeET2_T3_PNSL_ISQ_E10value_typeET4_jRbjT5_SW_jjP12ihipStream_tbEUlT_E2_NS1_11comp_targetILNS1_3genE5ELNS1_11target_archE942ELNS1_3gpuE9ELNS1_3repE0EEENS1_30default_config_static_selectorELNS0_4arch9wavefront6targetE0EEEvSK_.uses_vcc, 0
	.set _ZN7rocprim17ROCPRIM_400000_NS6detail17trampoline_kernelINS0_14default_configENS1_36segmented_radix_sort_config_selectorIblEEZNS1_25segmented_radix_sort_implIS3_Lb0EPKbPbPKlPlN2at6native12_GLOBAL__N_18offset_tEEE10hipError_tPvRmT1_PNSt15iterator_traitsISK_E10value_typeET2_T3_PNSL_ISQ_E10value_typeET4_jRbjT5_SW_jjP12ihipStream_tbEUlT_E2_NS1_11comp_targetILNS1_3genE5ELNS1_11target_archE942ELNS1_3gpuE9ELNS1_3repE0EEENS1_30default_config_static_selectorELNS0_4arch9wavefront6targetE0EEEvSK_.uses_flat_scratch, 0
	.set _ZN7rocprim17ROCPRIM_400000_NS6detail17trampoline_kernelINS0_14default_configENS1_36segmented_radix_sort_config_selectorIblEEZNS1_25segmented_radix_sort_implIS3_Lb0EPKbPbPKlPlN2at6native12_GLOBAL__N_18offset_tEEE10hipError_tPvRmT1_PNSt15iterator_traitsISK_E10value_typeET2_T3_PNSL_ISQ_E10value_typeET4_jRbjT5_SW_jjP12ihipStream_tbEUlT_E2_NS1_11comp_targetILNS1_3genE5ELNS1_11target_archE942ELNS1_3gpuE9ELNS1_3repE0EEENS1_30default_config_static_selectorELNS0_4arch9wavefront6targetE0EEEvSK_.has_dyn_sized_stack, 0
	.set _ZN7rocprim17ROCPRIM_400000_NS6detail17trampoline_kernelINS0_14default_configENS1_36segmented_radix_sort_config_selectorIblEEZNS1_25segmented_radix_sort_implIS3_Lb0EPKbPbPKlPlN2at6native12_GLOBAL__N_18offset_tEEE10hipError_tPvRmT1_PNSt15iterator_traitsISK_E10value_typeET2_T3_PNSL_ISQ_E10value_typeET4_jRbjT5_SW_jjP12ihipStream_tbEUlT_E2_NS1_11comp_targetILNS1_3genE5ELNS1_11target_archE942ELNS1_3gpuE9ELNS1_3repE0EEENS1_30default_config_static_selectorELNS0_4arch9wavefront6targetE0EEEvSK_.has_recursion, 0
	.set _ZN7rocprim17ROCPRIM_400000_NS6detail17trampoline_kernelINS0_14default_configENS1_36segmented_radix_sort_config_selectorIblEEZNS1_25segmented_radix_sort_implIS3_Lb0EPKbPbPKlPlN2at6native12_GLOBAL__N_18offset_tEEE10hipError_tPvRmT1_PNSt15iterator_traitsISK_E10value_typeET2_T3_PNSL_ISQ_E10value_typeET4_jRbjT5_SW_jjP12ihipStream_tbEUlT_E2_NS1_11comp_targetILNS1_3genE5ELNS1_11target_archE942ELNS1_3gpuE9ELNS1_3repE0EEENS1_30default_config_static_selectorELNS0_4arch9wavefront6targetE0EEEvSK_.has_indirect_call, 0
	.section	.AMDGPU.csdata,"",@progbits
; Kernel info:
; codeLenInByte = 0
; TotalNumSgprs: 0
; NumVgprs: 0
; ScratchSize: 0
; MemoryBound: 0
; FloatMode: 240
; IeeeMode: 1
; LDSByteSize: 0 bytes/workgroup (compile time only)
; SGPRBlocks: 0
; VGPRBlocks: 0
; NumSGPRsForWavesPerEU: 1
; NumVGPRsForWavesPerEU: 1
; NamedBarCnt: 0
; Occupancy: 16
; WaveLimiterHint : 0
; COMPUTE_PGM_RSRC2:SCRATCH_EN: 0
; COMPUTE_PGM_RSRC2:USER_SGPR: 2
; COMPUTE_PGM_RSRC2:TRAP_HANDLER: 0
; COMPUTE_PGM_RSRC2:TGID_X_EN: 1
; COMPUTE_PGM_RSRC2:TGID_Y_EN: 0
; COMPUTE_PGM_RSRC2:TGID_Z_EN: 0
; COMPUTE_PGM_RSRC2:TIDIG_COMP_CNT: 0
	.section	.text._ZN7rocprim17ROCPRIM_400000_NS6detail17trampoline_kernelINS0_14default_configENS1_36segmented_radix_sort_config_selectorIblEEZNS1_25segmented_radix_sort_implIS3_Lb0EPKbPbPKlPlN2at6native12_GLOBAL__N_18offset_tEEE10hipError_tPvRmT1_PNSt15iterator_traitsISK_E10value_typeET2_T3_PNSL_ISQ_E10value_typeET4_jRbjT5_SW_jjP12ihipStream_tbEUlT_E2_NS1_11comp_targetILNS1_3genE4ELNS1_11target_archE910ELNS1_3gpuE8ELNS1_3repE0EEENS1_30default_config_static_selectorELNS0_4arch9wavefront6targetE0EEEvSK_,"axG",@progbits,_ZN7rocprim17ROCPRIM_400000_NS6detail17trampoline_kernelINS0_14default_configENS1_36segmented_radix_sort_config_selectorIblEEZNS1_25segmented_radix_sort_implIS3_Lb0EPKbPbPKlPlN2at6native12_GLOBAL__N_18offset_tEEE10hipError_tPvRmT1_PNSt15iterator_traitsISK_E10value_typeET2_T3_PNSL_ISQ_E10value_typeET4_jRbjT5_SW_jjP12ihipStream_tbEUlT_E2_NS1_11comp_targetILNS1_3genE4ELNS1_11target_archE910ELNS1_3gpuE8ELNS1_3repE0EEENS1_30default_config_static_selectorELNS0_4arch9wavefront6targetE0EEEvSK_,comdat
	.globl	_ZN7rocprim17ROCPRIM_400000_NS6detail17trampoline_kernelINS0_14default_configENS1_36segmented_radix_sort_config_selectorIblEEZNS1_25segmented_radix_sort_implIS3_Lb0EPKbPbPKlPlN2at6native12_GLOBAL__N_18offset_tEEE10hipError_tPvRmT1_PNSt15iterator_traitsISK_E10value_typeET2_T3_PNSL_ISQ_E10value_typeET4_jRbjT5_SW_jjP12ihipStream_tbEUlT_E2_NS1_11comp_targetILNS1_3genE4ELNS1_11target_archE910ELNS1_3gpuE8ELNS1_3repE0EEENS1_30default_config_static_selectorELNS0_4arch9wavefront6targetE0EEEvSK_ ; -- Begin function _ZN7rocprim17ROCPRIM_400000_NS6detail17trampoline_kernelINS0_14default_configENS1_36segmented_radix_sort_config_selectorIblEEZNS1_25segmented_radix_sort_implIS3_Lb0EPKbPbPKlPlN2at6native12_GLOBAL__N_18offset_tEEE10hipError_tPvRmT1_PNSt15iterator_traitsISK_E10value_typeET2_T3_PNSL_ISQ_E10value_typeET4_jRbjT5_SW_jjP12ihipStream_tbEUlT_E2_NS1_11comp_targetILNS1_3genE4ELNS1_11target_archE910ELNS1_3gpuE8ELNS1_3repE0EEENS1_30default_config_static_selectorELNS0_4arch9wavefront6targetE0EEEvSK_
	.p2align	8
	.type	_ZN7rocprim17ROCPRIM_400000_NS6detail17trampoline_kernelINS0_14default_configENS1_36segmented_radix_sort_config_selectorIblEEZNS1_25segmented_radix_sort_implIS3_Lb0EPKbPbPKlPlN2at6native12_GLOBAL__N_18offset_tEEE10hipError_tPvRmT1_PNSt15iterator_traitsISK_E10value_typeET2_T3_PNSL_ISQ_E10value_typeET4_jRbjT5_SW_jjP12ihipStream_tbEUlT_E2_NS1_11comp_targetILNS1_3genE4ELNS1_11target_archE910ELNS1_3gpuE8ELNS1_3repE0EEENS1_30default_config_static_selectorELNS0_4arch9wavefront6targetE0EEEvSK_,@function
_ZN7rocprim17ROCPRIM_400000_NS6detail17trampoline_kernelINS0_14default_configENS1_36segmented_radix_sort_config_selectorIblEEZNS1_25segmented_radix_sort_implIS3_Lb0EPKbPbPKlPlN2at6native12_GLOBAL__N_18offset_tEEE10hipError_tPvRmT1_PNSt15iterator_traitsISK_E10value_typeET2_T3_PNSL_ISQ_E10value_typeET4_jRbjT5_SW_jjP12ihipStream_tbEUlT_E2_NS1_11comp_targetILNS1_3genE4ELNS1_11target_archE910ELNS1_3gpuE8ELNS1_3repE0EEENS1_30default_config_static_selectorELNS0_4arch9wavefront6targetE0EEEvSK_: ; @_ZN7rocprim17ROCPRIM_400000_NS6detail17trampoline_kernelINS0_14default_configENS1_36segmented_radix_sort_config_selectorIblEEZNS1_25segmented_radix_sort_implIS3_Lb0EPKbPbPKlPlN2at6native12_GLOBAL__N_18offset_tEEE10hipError_tPvRmT1_PNSt15iterator_traitsISK_E10value_typeET2_T3_PNSL_ISQ_E10value_typeET4_jRbjT5_SW_jjP12ihipStream_tbEUlT_E2_NS1_11comp_targetILNS1_3genE4ELNS1_11target_archE910ELNS1_3gpuE8ELNS1_3repE0EEENS1_30default_config_static_selectorELNS0_4arch9wavefront6targetE0EEEvSK_
; %bb.0:
	.section	.rodata,"a",@progbits
	.p2align	6, 0x0
	.amdhsa_kernel _ZN7rocprim17ROCPRIM_400000_NS6detail17trampoline_kernelINS0_14default_configENS1_36segmented_radix_sort_config_selectorIblEEZNS1_25segmented_radix_sort_implIS3_Lb0EPKbPbPKlPlN2at6native12_GLOBAL__N_18offset_tEEE10hipError_tPvRmT1_PNSt15iterator_traitsISK_E10value_typeET2_T3_PNSL_ISQ_E10value_typeET4_jRbjT5_SW_jjP12ihipStream_tbEUlT_E2_NS1_11comp_targetILNS1_3genE4ELNS1_11target_archE910ELNS1_3gpuE8ELNS1_3repE0EEENS1_30default_config_static_selectorELNS0_4arch9wavefront6targetE0EEEvSK_
		.amdhsa_group_segment_fixed_size 0
		.amdhsa_private_segment_fixed_size 0
		.amdhsa_kernarg_size 80
		.amdhsa_user_sgpr_count 2
		.amdhsa_user_sgpr_dispatch_ptr 0
		.amdhsa_user_sgpr_queue_ptr 0
		.amdhsa_user_sgpr_kernarg_segment_ptr 1
		.amdhsa_user_sgpr_dispatch_id 0
		.amdhsa_user_sgpr_kernarg_preload_length 0
		.amdhsa_user_sgpr_kernarg_preload_offset 0
		.amdhsa_user_sgpr_private_segment_size 0
		.amdhsa_wavefront_size32 1
		.amdhsa_uses_dynamic_stack 0
		.amdhsa_enable_private_segment 0
		.amdhsa_system_sgpr_workgroup_id_x 1
		.amdhsa_system_sgpr_workgroup_id_y 0
		.amdhsa_system_sgpr_workgroup_id_z 0
		.amdhsa_system_sgpr_workgroup_info 0
		.amdhsa_system_vgpr_workitem_id 0
		.amdhsa_next_free_vgpr 1
		.amdhsa_next_free_sgpr 1
		.amdhsa_named_barrier_count 0
		.amdhsa_reserve_vcc 0
		.amdhsa_float_round_mode_32 0
		.amdhsa_float_round_mode_16_64 0
		.amdhsa_float_denorm_mode_32 3
		.amdhsa_float_denorm_mode_16_64 3
		.amdhsa_fp16_overflow 0
		.amdhsa_memory_ordered 1
		.amdhsa_forward_progress 1
		.amdhsa_inst_pref_size 0
		.amdhsa_round_robin_scheduling 0
		.amdhsa_exception_fp_ieee_invalid_op 0
		.amdhsa_exception_fp_denorm_src 0
		.amdhsa_exception_fp_ieee_div_zero 0
		.amdhsa_exception_fp_ieee_overflow 0
		.amdhsa_exception_fp_ieee_underflow 0
		.amdhsa_exception_fp_ieee_inexact 0
		.amdhsa_exception_int_div_zero 0
	.end_amdhsa_kernel
	.section	.text._ZN7rocprim17ROCPRIM_400000_NS6detail17trampoline_kernelINS0_14default_configENS1_36segmented_radix_sort_config_selectorIblEEZNS1_25segmented_radix_sort_implIS3_Lb0EPKbPbPKlPlN2at6native12_GLOBAL__N_18offset_tEEE10hipError_tPvRmT1_PNSt15iterator_traitsISK_E10value_typeET2_T3_PNSL_ISQ_E10value_typeET4_jRbjT5_SW_jjP12ihipStream_tbEUlT_E2_NS1_11comp_targetILNS1_3genE4ELNS1_11target_archE910ELNS1_3gpuE8ELNS1_3repE0EEENS1_30default_config_static_selectorELNS0_4arch9wavefront6targetE0EEEvSK_,"axG",@progbits,_ZN7rocprim17ROCPRIM_400000_NS6detail17trampoline_kernelINS0_14default_configENS1_36segmented_radix_sort_config_selectorIblEEZNS1_25segmented_radix_sort_implIS3_Lb0EPKbPbPKlPlN2at6native12_GLOBAL__N_18offset_tEEE10hipError_tPvRmT1_PNSt15iterator_traitsISK_E10value_typeET2_T3_PNSL_ISQ_E10value_typeET4_jRbjT5_SW_jjP12ihipStream_tbEUlT_E2_NS1_11comp_targetILNS1_3genE4ELNS1_11target_archE910ELNS1_3gpuE8ELNS1_3repE0EEENS1_30default_config_static_selectorELNS0_4arch9wavefront6targetE0EEEvSK_,comdat
.Lfunc_end1657:
	.size	_ZN7rocprim17ROCPRIM_400000_NS6detail17trampoline_kernelINS0_14default_configENS1_36segmented_radix_sort_config_selectorIblEEZNS1_25segmented_radix_sort_implIS3_Lb0EPKbPbPKlPlN2at6native12_GLOBAL__N_18offset_tEEE10hipError_tPvRmT1_PNSt15iterator_traitsISK_E10value_typeET2_T3_PNSL_ISQ_E10value_typeET4_jRbjT5_SW_jjP12ihipStream_tbEUlT_E2_NS1_11comp_targetILNS1_3genE4ELNS1_11target_archE910ELNS1_3gpuE8ELNS1_3repE0EEENS1_30default_config_static_selectorELNS0_4arch9wavefront6targetE0EEEvSK_, .Lfunc_end1657-_ZN7rocprim17ROCPRIM_400000_NS6detail17trampoline_kernelINS0_14default_configENS1_36segmented_radix_sort_config_selectorIblEEZNS1_25segmented_radix_sort_implIS3_Lb0EPKbPbPKlPlN2at6native12_GLOBAL__N_18offset_tEEE10hipError_tPvRmT1_PNSt15iterator_traitsISK_E10value_typeET2_T3_PNSL_ISQ_E10value_typeET4_jRbjT5_SW_jjP12ihipStream_tbEUlT_E2_NS1_11comp_targetILNS1_3genE4ELNS1_11target_archE910ELNS1_3gpuE8ELNS1_3repE0EEENS1_30default_config_static_selectorELNS0_4arch9wavefront6targetE0EEEvSK_
                                        ; -- End function
	.set _ZN7rocprim17ROCPRIM_400000_NS6detail17trampoline_kernelINS0_14default_configENS1_36segmented_radix_sort_config_selectorIblEEZNS1_25segmented_radix_sort_implIS3_Lb0EPKbPbPKlPlN2at6native12_GLOBAL__N_18offset_tEEE10hipError_tPvRmT1_PNSt15iterator_traitsISK_E10value_typeET2_T3_PNSL_ISQ_E10value_typeET4_jRbjT5_SW_jjP12ihipStream_tbEUlT_E2_NS1_11comp_targetILNS1_3genE4ELNS1_11target_archE910ELNS1_3gpuE8ELNS1_3repE0EEENS1_30default_config_static_selectorELNS0_4arch9wavefront6targetE0EEEvSK_.num_vgpr, 0
	.set _ZN7rocprim17ROCPRIM_400000_NS6detail17trampoline_kernelINS0_14default_configENS1_36segmented_radix_sort_config_selectorIblEEZNS1_25segmented_radix_sort_implIS3_Lb0EPKbPbPKlPlN2at6native12_GLOBAL__N_18offset_tEEE10hipError_tPvRmT1_PNSt15iterator_traitsISK_E10value_typeET2_T3_PNSL_ISQ_E10value_typeET4_jRbjT5_SW_jjP12ihipStream_tbEUlT_E2_NS1_11comp_targetILNS1_3genE4ELNS1_11target_archE910ELNS1_3gpuE8ELNS1_3repE0EEENS1_30default_config_static_selectorELNS0_4arch9wavefront6targetE0EEEvSK_.num_agpr, 0
	.set _ZN7rocprim17ROCPRIM_400000_NS6detail17trampoline_kernelINS0_14default_configENS1_36segmented_radix_sort_config_selectorIblEEZNS1_25segmented_radix_sort_implIS3_Lb0EPKbPbPKlPlN2at6native12_GLOBAL__N_18offset_tEEE10hipError_tPvRmT1_PNSt15iterator_traitsISK_E10value_typeET2_T3_PNSL_ISQ_E10value_typeET4_jRbjT5_SW_jjP12ihipStream_tbEUlT_E2_NS1_11comp_targetILNS1_3genE4ELNS1_11target_archE910ELNS1_3gpuE8ELNS1_3repE0EEENS1_30default_config_static_selectorELNS0_4arch9wavefront6targetE0EEEvSK_.numbered_sgpr, 0
	.set _ZN7rocprim17ROCPRIM_400000_NS6detail17trampoline_kernelINS0_14default_configENS1_36segmented_radix_sort_config_selectorIblEEZNS1_25segmented_radix_sort_implIS3_Lb0EPKbPbPKlPlN2at6native12_GLOBAL__N_18offset_tEEE10hipError_tPvRmT1_PNSt15iterator_traitsISK_E10value_typeET2_T3_PNSL_ISQ_E10value_typeET4_jRbjT5_SW_jjP12ihipStream_tbEUlT_E2_NS1_11comp_targetILNS1_3genE4ELNS1_11target_archE910ELNS1_3gpuE8ELNS1_3repE0EEENS1_30default_config_static_selectorELNS0_4arch9wavefront6targetE0EEEvSK_.num_named_barrier, 0
	.set _ZN7rocprim17ROCPRIM_400000_NS6detail17trampoline_kernelINS0_14default_configENS1_36segmented_radix_sort_config_selectorIblEEZNS1_25segmented_radix_sort_implIS3_Lb0EPKbPbPKlPlN2at6native12_GLOBAL__N_18offset_tEEE10hipError_tPvRmT1_PNSt15iterator_traitsISK_E10value_typeET2_T3_PNSL_ISQ_E10value_typeET4_jRbjT5_SW_jjP12ihipStream_tbEUlT_E2_NS1_11comp_targetILNS1_3genE4ELNS1_11target_archE910ELNS1_3gpuE8ELNS1_3repE0EEENS1_30default_config_static_selectorELNS0_4arch9wavefront6targetE0EEEvSK_.private_seg_size, 0
	.set _ZN7rocprim17ROCPRIM_400000_NS6detail17trampoline_kernelINS0_14default_configENS1_36segmented_radix_sort_config_selectorIblEEZNS1_25segmented_radix_sort_implIS3_Lb0EPKbPbPKlPlN2at6native12_GLOBAL__N_18offset_tEEE10hipError_tPvRmT1_PNSt15iterator_traitsISK_E10value_typeET2_T3_PNSL_ISQ_E10value_typeET4_jRbjT5_SW_jjP12ihipStream_tbEUlT_E2_NS1_11comp_targetILNS1_3genE4ELNS1_11target_archE910ELNS1_3gpuE8ELNS1_3repE0EEENS1_30default_config_static_selectorELNS0_4arch9wavefront6targetE0EEEvSK_.uses_vcc, 0
	.set _ZN7rocprim17ROCPRIM_400000_NS6detail17trampoline_kernelINS0_14default_configENS1_36segmented_radix_sort_config_selectorIblEEZNS1_25segmented_radix_sort_implIS3_Lb0EPKbPbPKlPlN2at6native12_GLOBAL__N_18offset_tEEE10hipError_tPvRmT1_PNSt15iterator_traitsISK_E10value_typeET2_T3_PNSL_ISQ_E10value_typeET4_jRbjT5_SW_jjP12ihipStream_tbEUlT_E2_NS1_11comp_targetILNS1_3genE4ELNS1_11target_archE910ELNS1_3gpuE8ELNS1_3repE0EEENS1_30default_config_static_selectorELNS0_4arch9wavefront6targetE0EEEvSK_.uses_flat_scratch, 0
	.set _ZN7rocprim17ROCPRIM_400000_NS6detail17trampoline_kernelINS0_14default_configENS1_36segmented_radix_sort_config_selectorIblEEZNS1_25segmented_radix_sort_implIS3_Lb0EPKbPbPKlPlN2at6native12_GLOBAL__N_18offset_tEEE10hipError_tPvRmT1_PNSt15iterator_traitsISK_E10value_typeET2_T3_PNSL_ISQ_E10value_typeET4_jRbjT5_SW_jjP12ihipStream_tbEUlT_E2_NS1_11comp_targetILNS1_3genE4ELNS1_11target_archE910ELNS1_3gpuE8ELNS1_3repE0EEENS1_30default_config_static_selectorELNS0_4arch9wavefront6targetE0EEEvSK_.has_dyn_sized_stack, 0
	.set _ZN7rocprim17ROCPRIM_400000_NS6detail17trampoline_kernelINS0_14default_configENS1_36segmented_radix_sort_config_selectorIblEEZNS1_25segmented_radix_sort_implIS3_Lb0EPKbPbPKlPlN2at6native12_GLOBAL__N_18offset_tEEE10hipError_tPvRmT1_PNSt15iterator_traitsISK_E10value_typeET2_T3_PNSL_ISQ_E10value_typeET4_jRbjT5_SW_jjP12ihipStream_tbEUlT_E2_NS1_11comp_targetILNS1_3genE4ELNS1_11target_archE910ELNS1_3gpuE8ELNS1_3repE0EEENS1_30default_config_static_selectorELNS0_4arch9wavefront6targetE0EEEvSK_.has_recursion, 0
	.set _ZN7rocprim17ROCPRIM_400000_NS6detail17trampoline_kernelINS0_14default_configENS1_36segmented_radix_sort_config_selectorIblEEZNS1_25segmented_radix_sort_implIS3_Lb0EPKbPbPKlPlN2at6native12_GLOBAL__N_18offset_tEEE10hipError_tPvRmT1_PNSt15iterator_traitsISK_E10value_typeET2_T3_PNSL_ISQ_E10value_typeET4_jRbjT5_SW_jjP12ihipStream_tbEUlT_E2_NS1_11comp_targetILNS1_3genE4ELNS1_11target_archE910ELNS1_3gpuE8ELNS1_3repE0EEENS1_30default_config_static_selectorELNS0_4arch9wavefront6targetE0EEEvSK_.has_indirect_call, 0
	.section	.AMDGPU.csdata,"",@progbits
; Kernel info:
; codeLenInByte = 0
; TotalNumSgprs: 0
; NumVgprs: 0
; ScratchSize: 0
; MemoryBound: 0
; FloatMode: 240
; IeeeMode: 1
; LDSByteSize: 0 bytes/workgroup (compile time only)
; SGPRBlocks: 0
; VGPRBlocks: 0
; NumSGPRsForWavesPerEU: 1
; NumVGPRsForWavesPerEU: 1
; NamedBarCnt: 0
; Occupancy: 16
; WaveLimiterHint : 0
; COMPUTE_PGM_RSRC2:SCRATCH_EN: 0
; COMPUTE_PGM_RSRC2:USER_SGPR: 2
; COMPUTE_PGM_RSRC2:TRAP_HANDLER: 0
; COMPUTE_PGM_RSRC2:TGID_X_EN: 1
; COMPUTE_PGM_RSRC2:TGID_Y_EN: 0
; COMPUTE_PGM_RSRC2:TGID_Z_EN: 0
; COMPUTE_PGM_RSRC2:TIDIG_COMP_CNT: 0
	.section	.text._ZN7rocprim17ROCPRIM_400000_NS6detail17trampoline_kernelINS0_14default_configENS1_36segmented_radix_sort_config_selectorIblEEZNS1_25segmented_radix_sort_implIS3_Lb0EPKbPbPKlPlN2at6native12_GLOBAL__N_18offset_tEEE10hipError_tPvRmT1_PNSt15iterator_traitsISK_E10value_typeET2_T3_PNSL_ISQ_E10value_typeET4_jRbjT5_SW_jjP12ihipStream_tbEUlT_E2_NS1_11comp_targetILNS1_3genE3ELNS1_11target_archE908ELNS1_3gpuE7ELNS1_3repE0EEENS1_30default_config_static_selectorELNS0_4arch9wavefront6targetE0EEEvSK_,"axG",@progbits,_ZN7rocprim17ROCPRIM_400000_NS6detail17trampoline_kernelINS0_14default_configENS1_36segmented_radix_sort_config_selectorIblEEZNS1_25segmented_radix_sort_implIS3_Lb0EPKbPbPKlPlN2at6native12_GLOBAL__N_18offset_tEEE10hipError_tPvRmT1_PNSt15iterator_traitsISK_E10value_typeET2_T3_PNSL_ISQ_E10value_typeET4_jRbjT5_SW_jjP12ihipStream_tbEUlT_E2_NS1_11comp_targetILNS1_3genE3ELNS1_11target_archE908ELNS1_3gpuE7ELNS1_3repE0EEENS1_30default_config_static_selectorELNS0_4arch9wavefront6targetE0EEEvSK_,comdat
	.globl	_ZN7rocprim17ROCPRIM_400000_NS6detail17trampoline_kernelINS0_14default_configENS1_36segmented_radix_sort_config_selectorIblEEZNS1_25segmented_radix_sort_implIS3_Lb0EPKbPbPKlPlN2at6native12_GLOBAL__N_18offset_tEEE10hipError_tPvRmT1_PNSt15iterator_traitsISK_E10value_typeET2_T3_PNSL_ISQ_E10value_typeET4_jRbjT5_SW_jjP12ihipStream_tbEUlT_E2_NS1_11comp_targetILNS1_3genE3ELNS1_11target_archE908ELNS1_3gpuE7ELNS1_3repE0EEENS1_30default_config_static_selectorELNS0_4arch9wavefront6targetE0EEEvSK_ ; -- Begin function _ZN7rocprim17ROCPRIM_400000_NS6detail17trampoline_kernelINS0_14default_configENS1_36segmented_radix_sort_config_selectorIblEEZNS1_25segmented_radix_sort_implIS3_Lb0EPKbPbPKlPlN2at6native12_GLOBAL__N_18offset_tEEE10hipError_tPvRmT1_PNSt15iterator_traitsISK_E10value_typeET2_T3_PNSL_ISQ_E10value_typeET4_jRbjT5_SW_jjP12ihipStream_tbEUlT_E2_NS1_11comp_targetILNS1_3genE3ELNS1_11target_archE908ELNS1_3gpuE7ELNS1_3repE0EEENS1_30default_config_static_selectorELNS0_4arch9wavefront6targetE0EEEvSK_
	.p2align	8
	.type	_ZN7rocprim17ROCPRIM_400000_NS6detail17trampoline_kernelINS0_14default_configENS1_36segmented_radix_sort_config_selectorIblEEZNS1_25segmented_radix_sort_implIS3_Lb0EPKbPbPKlPlN2at6native12_GLOBAL__N_18offset_tEEE10hipError_tPvRmT1_PNSt15iterator_traitsISK_E10value_typeET2_T3_PNSL_ISQ_E10value_typeET4_jRbjT5_SW_jjP12ihipStream_tbEUlT_E2_NS1_11comp_targetILNS1_3genE3ELNS1_11target_archE908ELNS1_3gpuE7ELNS1_3repE0EEENS1_30default_config_static_selectorELNS0_4arch9wavefront6targetE0EEEvSK_,@function
_ZN7rocprim17ROCPRIM_400000_NS6detail17trampoline_kernelINS0_14default_configENS1_36segmented_radix_sort_config_selectorIblEEZNS1_25segmented_radix_sort_implIS3_Lb0EPKbPbPKlPlN2at6native12_GLOBAL__N_18offset_tEEE10hipError_tPvRmT1_PNSt15iterator_traitsISK_E10value_typeET2_T3_PNSL_ISQ_E10value_typeET4_jRbjT5_SW_jjP12ihipStream_tbEUlT_E2_NS1_11comp_targetILNS1_3genE3ELNS1_11target_archE908ELNS1_3gpuE7ELNS1_3repE0EEENS1_30default_config_static_selectorELNS0_4arch9wavefront6targetE0EEEvSK_: ; @_ZN7rocprim17ROCPRIM_400000_NS6detail17trampoline_kernelINS0_14default_configENS1_36segmented_radix_sort_config_selectorIblEEZNS1_25segmented_radix_sort_implIS3_Lb0EPKbPbPKlPlN2at6native12_GLOBAL__N_18offset_tEEE10hipError_tPvRmT1_PNSt15iterator_traitsISK_E10value_typeET2_T3_PNSL_ISQ_E10value_typeET4_jRbjT5_SW_jjP12ihipStream_tbEUlT_E2_NS1_11comp_targetILNS1_3genE3ELNS1_11target_archE908ELNS1_3gpuE7ELNS1_3repE0EEENS1_30default_config_static_selectorELNS0_4arch9wavefront6targetE0EEEvSK_
; %bb.0:
	.section	.rodata,"a",@progbits
	.p2align	6, 0x0
	.amdhsa_kernel _ZN7rocprim17ROCPRIM_400000_NS6detail17trampoline_kernelINS0_14default_configENS1_36segmented_radix_sort_config_selectorIblEEZNS1_25segmented_radix_sort_implIS3_Lb0EPKbPbPKlPlN2at6native12_GLOBAL__N_18offset_tEEE10hipError_tPvRmT1_PNSt15iterator_traitsISK_E10value_typeET2_T3_PNSL_ISQ_E10value_typeET4_jRbjT5_SW_jjP12ihipStream_tbEUlT_E2_NS1_11comp_targetILNS1_3genE3ELNS1_11target_archE908ELNS1_3gpuE7ELNS1_3repE0EEENS1_30default_config_static_selectorELNS0_4arch9wavefront6targetE0EEEvSK_
		.amdhsa_group_segment_fixed_size 0
		.amdhsa_private_segment_fixed_size 0
		.amdhsa_kernarg_size 80
		.amdhsa_user_sgpr_count 2
		.amdhsa_user_sgpr_dispatch_ptr 0
		.amdhsa_user_sgpr_queue_ptr 0
		.amdhsa_user_sgpr_kernarg_segment_ptr 1
		.amdhsa_user_sgpr_dispatch_id 0
		.amdhsa_user_sgpr_kernarg_preload_length 0
		.amdhsa_user_sgpr_kernarg_preload_offset 0
		.amdhsa_user_sgpr_private_segment_size 0
		.amdhsa_wavefront_size32 1
		.amdhsa_uses_dynamic_stack 0
		.amdhsa_enable_private_segment 0
		.amdhsa_system_sgpr_workgroup_id_x 1
		.amdhsa_system_sgpr_workgroup_id_y 0
		.amdhsa_system_sgpr_workgroup_id_z 0
		.amdhsa_system_sgpr_workgroup_info 0
		.amdhsa_system_vgpr_workitem_id 0
		.amdhsa_next_free_vgpr 1
		.amdhsa_next_free_sgpr 1
		.amdhsa_named_barrier_count 0
		.amdhsa_reserve_vcc 0
		.amdhsa_float_round_mode_32 0
		.amdhsa_float_round_mode_16_64 0
		.amdhsa_float_denorm_mode_32 3
		.amdhsa_float_denorm_mode_16_64 3
		.amdhsa_fp16_overflow 0
		.amdhsa_memory_ordered 1
		.amdhsa_forward_progress 1
		.amdhsa_inst_pref_size 0
		.amdhsa_round_robin_scheduling 0
		.amdhsa_exception_fp_ieee_invalid_op 0
		.amdhsa_exception_fp_denorm_src 0
		.amdhsa_exception_fp_ieee_div_zero 0
		.amdhsa_exception_fp_ieee_overflow 0
		.amdhsa_exception_fp_ieee_underflow 0
		.amdhsa_exception_fp_ieee_inexact 0
		.amdhsa_exception_int_div_zero 0
	.end_amdhsa_kernel
	.section	.text._ZN7rocprim17ROCPRIM_400000_NS6detail17trampoline_kernelINS0_14default_configENS1_36segmented_radix_sort_config_selectorIblEEZNS1_25segmented_radix_sort_implIS3_Lb0EPKbPbPKlPlN2at6native12_GLOBAL__N_18offset_tEEE10hipError_tPvRmT1_PNSt15iterator_traitsISK_E10value_typeET2_T3_PNSL_ISQ_E10value_typeET4_jRbjT5_SW_jjP12ihipStream_tbEUlT_E2_NS1_11comp_targetILNS1_3genE3ELNS1_11target_archE908ELNS1_3gpuE7ELNS1_3repE0EEENS1_30default_config_static_selectorELNS0_4arch9wavefront6targetE0EEEvSK_,"axG",@progbits,_ZN7rocprim17ROCPRIM_400000_NS6detail17trampoline_kernelINS0_14default_configENS1_36segmented_radix_sort_config_selectorIblEEZNS1_25segmented_radix_sort_implIS3_Lb0EPKbPbPKlPlN2at6native12_GLOBAL__N_18offset_tEEE10hipError_tPvRmT1_PNSt15iterator_traitsISK_E10value_typeET2_T3_PNSL_ISQ_E10value_typeET4_jRbjT5_SW_jjP12ihipStream_tbEUlT_E2_NS1_11comp_targetILNS1_3genE3ELNS1_11target_archE908ELNS1_3gpuE7ELNS1_3repE0EEENS1_30default_config_static_selectorELNS0_4arch9wavefront6targetE0EEEvSK_,comdat
.Lfunc_end1658:
	.size	_ZN7rocprim17ROCPRIM_400000_NS6detail17trampoline_kernelINS0_14default_configENS1_36segmented_radix_sort_config_selectorIblEEZNS1_25segmented_radix_sort_implIS3_Lb0EPKbPbPKlPlN2at6native12_GLOBAL__N_18offset_tEEE10hipError_tPvRmT1_PNSt15iterator_traitsISK_E10value_typeET2_T3_PNSL_ISQ_E10value_typeET4_jRbjT5_SW_jjP12ihipStream_tbEUlT_E2_NS1_11comp_targetILNS1_3genE3ELNS1_11target_archE908ELNS1_3gpuE7ELNS1_3repE0EEENS1_30default_config_static_selectorELNS0_4arch9wavefront6targetE0EEEvSK_, .Lfunc_end1658-_ZN7rocprim17ROCPRIM_400000_NS6detail17trampoline_kernelINS0_14default_configENS1_36segmented_radix_sort_config_selectorIblEEZNS1_25segmented_radix_sort_implIS3_Lb0EPKbPbPKlPlN2at6native12_GLOBAL__N_18offset_tEEE10hipError_tPvRmT1_PNSt15iterator_traitsISK_E10value_typeET2_T3_PNSL_ISQ_E10value_typeET4_jRbjT5_SW_jjP12ihipStream_tbEUlT_E2_NS1_11comp_targetILNS1_3genE3ELNS1_11target_archE908ELNS1_3gpuE7ELNS1_3repE0EEENS1_30default_config_static_selectorELNS0_4arch9wavefront6targetE0EEEvSK_
                                        ; -- End function
	.set _ZN7rocprim17ROCPRIM_400000_NS6detail17trampoline_kernelINS0_14default_configENS1_36segmented_radix_sort_config_selectorIblEEZNS1_25segmented_radix_sort_implIS3_Lb0EPKbPbPKlPlN2at6native12_GLOBAL__N_18offset_tEEE10hipError_tPvRmT1_PNSt15iterator_traitsISK_E10value_typeET2_T3_PNSL_ISQ_E10value_typeET4_jRbjT5_SW_jjP12ihipStream_tbEUlT_E2_NS1_11comp_targetILNS1_3genE3ELNS1_11target_archE908ELNS1_3gpuE7ELNS1_3repE0EEENS1_30default_config_static_selectorELNS0_4arch9wavefront6targetE0EEEvSK_.num_vgpr, 0
	.set _ZN7rocprim17ROCPRIM_400000_NS6detail17trampoline_kernelINS0_14default_configENS1_36segmented_radix_sort_config_selectorIblEEZNS1_25segmented_radix_sort_implIS3_Lb0EPKbPbPKlPlN2at6native12_GLOBAL__N_18offset_tEEE10hipError_tPvRmT1_PNSt15iterator_traitsISK_E10value_typeET2_T3_PNSL_ISQ_E10value_typeET4_jRbjT5_SW_jjP12ihipStream_tbEUlT_E2_NS1_11comp_targetILNS1_3genE3ELNS1_11target_archE908ELNS1_3gpuE7ELNS1_3repE0EEENS1_30default_config_static_selectorELNS0_4arch9wavefront6targetE0EEEvSK_.num_agpr, 0
	.set _ZN7rocprim17ROCPRIM_400000_NS6detail17trampoline_kernelINS0_14default_configENS1_36segmented_radix_sort_config_selectorIblEEZNS1_25segmented_radix_sort_implIS3_Lb0EPKbPbPKlPlN2at6native12_GLOBAL__N_18offset_tEEE10hipError_tPvRmT1_PNSt15iterator_traitsISK_E10value_typeET2_T3_PNSL_ISQ_E10value_typeET4_jRbjT5_SW_jjP12ihipStream_tbEUlT_E2_NS1_11comp_targetILNS1_3genE3ELNS1_11target_archE908ELNS1_3gpuE7ELNS1_3repE0EEENS1_30default_config_static_selectorELNS0_4arch9wavefront6targetE0EEEvSK_.numbered_sgpr, 0
	.set _ZN7rocprim17ROCPRIM_400000_NS6detail17trampoline_kernelINS0_14default_configENS1_36segmented_radix_sort_config_selectorIblEEZNS1_25segmented_radix_sort_implIS3_Lb0EPKbPbPKlPlN2at6native12_GLOBAL__N_18offset_tEEE10hipError_tPvRmT1_PNSt15iterator_traitsISK_E10value_typeET2_T3_PNSL_ISQ_E10value_typeET4_jRbjT5_SW_jjP12ihipStream_tbEUlT_E2_NS1_11comp_targetILNS1_3genE3ELNS1_11target_archE908ELNS1_3gpuE7ELNS1_3repE0EEENS1_30default_config_static_selectorELNS0_4arch9wavefront6targetE0EEEvSK_.num_named_barrier, 0
	.set _ZN7rocprim17ROCPRIM_400000_NS6detail17trampoline_kernelINS0_14default_configENS1_36segmented_radix_sort_config_selectorIblEEZNS1_25segmented_radix_sort_implIS3_Lb0EPKbPbPKlPlN2at6native12_GLOBAL__N_18offset_tEEE10hipError_tPvRmT1_PNSt15iterator_traitsISK_E10value_typeET2_T3_PNSL_ISQ_E10value_typeET4_jRbjT5_SW_jjP12ihipStream_tbEUlT_E2_NS1_11comp_targetILNS1_3genE3ELNS1_11target_archE908ELNS1_3gpuE7ELNS1_3repE0EEENS1_30default_config_static_selectorELNS0_4arch9wavefront6targetE0EEEvSK_.private_seg_size, 0
	.set _ZN7rocprim17ROCPRIM_400000_NS6detail17trampoline_kernelINS0_14default_configENS1_36segmented_radix_sort_config_selectorIblEEZNS1_25segmented_radix_sort_implIS3_Lb0EPKbPbPKlPlN2at6native12_GLOBAL__N_18offset_tEEE10hipError_tPvRmT1_PNSt15iterator_traitsISK_E10value_typeET2_T3_PNSL_ISQ_E10value_typeET4_jRbjT5_SW_jjP12ihipStream_tbEUlT_E2_NS1_11comp_targetILNS1_3genE3ELNS1_11target_archE908ELNS1_3gpuE7ELNS1_3repE0EEENS1_30default_config_static_selectorELNS0_4arch9wavefront6targetE0EEEvSK_.uses_vcc, 0
	.set _ZN7rocprim17ROCPRIM_400000_NS6detail17trampoline_kernelINS0_14default_configENS1_36segmented_radix_sort_config_selectorIblEEZNS1_25segmented_radix_sort_implIS3_Lb0EPKbPbPKlPlN2at6native12_GLOBAL__N_18offset_tEEE10hipError_tPvRmT1_PNSt15iterator_traitsISK_E10value_typeET2_T3_PNSL_ISQ_E10value_typeET4_jRbjT5_SW_jjP12ihipStream_tbEUlT_E2_NS1_11comp_targetILNS1_3genE3ELNS1_11target_archE908ELNS1_3gpuE7ELNS1_3repE0EEENS1_30default_config_static_selectorELNS0_4arch9wavefront6targetE0EEEvSK_.uses_flat_scratch, 0
	.set _ZN7rocprim17ROCPRIM_400000_NS6detail17trampoline_kernelINS0_14default_configENS1_36segmented_radix_sort_config_selectorIblEEZNS1_25segmented_radix_sort_implIS3_Lb0EPKbPbPKlPlN2at6native12_GLOBAL__N_18offset_tEEE10hipError_tPvRmT1_PNSt15iterator_traitsISK_E10value_typeET2_T3_PNSL_ISQ_E10value_typeET4_jRbjT5_SW_jjP12ihipStream_tbEUlT_E2_NS1_11comp_targetILNS1_3genE3ELNS1_11target_archE908ELNS1_3gpuE7ELNS1_3repE0EEENS1_30default_config_static_selectorELNS0_4arch9wavefront6targetE0EEEvSK_.has_dyn_sized_stack, 0
	.set _ZN7rocprim17ROCPRIM_400000_NS6detail17trampoline_kernelINS0_14default_configENS1_36segmented_radix_sort_config_selectorIblEEZNS1_25segmented_radix_sort_implIS3_Lb0EPKbPbPKlPlN2at6native12_GLOBAL__N_18offset_tEEE10hipError_tPvRmT1_PNSt15iterator_traitsISK_E10value_typeET2_T3_PNSL_ISQ_E10value_typeET4_jRbjT5_SW_jjP12ihipStream_tbEUlT_E2_NS1_11comp_targetILNS1_3genE3ELNS1_11target_archE908ELNS1_3gpuE7ELNS1_3repE0EEENS1_30default_config_static_selectorELNS0_4arch9wavefront6targetE0EEEvSK_.has_recursion, 0
	.set _ZN7rocprim17ROCPRIM_400000_NS6detail17trampoline_kernelINS0_14default_configENS1_36segmented_radix_sort_config_selectorIblEEZNS1_25segmented_radix_sort_implIS3_Lb0EPKbPbPKlPlN2at6native12_GLOBAL__N_18offset_tEEE10hipError_tPvRmT1_PNSt15iterator_traitsISK_E10value_typeET2_T3_PNSL_ISQ_E10value_typeET4_jRbjT5_SW_jjP12ihipStream_tbEUlT_E2_NS1_11comp_targetILNS1_3genE3ELNS1_11target_archE908ELNS1_3gpuE7ELNS1_3repE0EEENS1_30default_config_static_selectorELNS0_4arch9wavefront6targetE0EEEvSK_.has_indirect_call, 0
	.section	.AMDGPU.csdata,"",@progbits
; Kernel info:
; codeLenInByte = 0
; TotalNumSgprs: 0
; NumVgprs: 0
; ScratchSize: 0
; MemoryBound: 0
; FloatMode: 240
; IeeeMode: 1
; LDSByteSize: 0 bytes/workgroup (compile time only)
; SGPRBlocks: 0
; VGPRBlocks: 0
; NumSGPRsForWavesPerEU: 1
; NumVGPRsForWavesPerEU: 1
; NamedBarCnt: 0
; Occupancy: 16
; WaveLimiterHint : 0
; COMPUTE_PGM_RSRC2:SCRATCH_EN: 0
; COMPUTE_PGM_RSRC2:USER_SGPR: 2
; COMPUTE_PGM_RSRC2:TRAP_HANDLER: 0
; COMPUTE_PGM_RSRC2:TGID_X_EN: 1
; COMPUTE_PGM_RSRC2:TGID_Y_EN: 0
; COMPUTE_PGM_RSRC2:TGID_Z_EN: 0
; COMPUTE_PGM_RSRC2:TIDIG_COMP_CNT: 0
	.section	.text._ZN7rocprim17ROCPRIM_400000_NS6detail17trampoline_kernelINS0_14default_configENS1_36segmented_radix_sort_config_selectorIblEEZNS1_25segmented_radix_sort_implIS3_Lb0EPKbPbPKlPlN2at6native12_GLOBAL__N_18offset_tEEE10hipError_tPvRmT1_PNSt15iterator_traitsISK_E10value_typeET2_T3_PNSL_ISQ_E10value_typeET4_jRbjT5_SW_jjP12ihipStream_tbEUlT_E2_NS1_11comp_targetILNS1_3genE2ELNS1_11target_archE906ELNS1_3gpuE6ELNS1_3repE0EEENS1_30default_config_static_selectorELNS0_4arch9wavefront6targetE0EEEvSK_,"axG",@progbits,_ZN7rocprim17ROCPRIM_400000_NS6detail17trampoline_kernelINS0_14default_configENS1_36segmented_radix_sort_config_selectorIblEEZNS1_25segmented_radix_sort_implIS3_Lb0EPKbPbPKlPlN2at6native12_GLOBAL__N_18offset_tEEE10hipError_tPvRmT1_PNSt15iterator_traitsISK_E10value_typeET2_T3_PNSL_ISQ_E10value_typeET4_jRbjT5_SW_jjP12ihipStream_tbEUlT_E2_NS1_11comp_targetILNS1_3genE2ELNS1_11target_archE906ELNS1_3gpuE6ELNS1_3repE0EEENS1_30default_config_static_selectorELNS0_4arch9wavefront6targetE0EEEvSK_,comdat
	.globl	_ZN7rocprim17ROCPRIM_400000_NS6detail17trampoline_kernelINS0_14default_configENS1_36segmented_radix_sort_config_selectorIblEEZNS1_25segmented_radix_sort_implIS3_Lb0EPKbPbPKlPlN2at6native12_GLOBAL__N_18offset_tEEE10hipError_tPvRmT1_PNSt15iterator_traitsISK_E10value_typeET2_T3_PNSL_ISQ_E10value_typeET4_jRbjT5_SW_jjP12ihipStream_tbEUlT_E2_NS1_11comp_targetILNS1_3genE2ELNS1_11target_archE906ELNS1_3gpuE6ELNS1_3repE0EEENS1_30default_config_static_selectorELNS0_4arch9wavefront6targetE0EEEvSK_ ; -- Begin function _ZN7rocprim17ROCPRIM_400000_NS6detail17trampoline_kernelINS0_14default_configENS1_36segmented_radix_sort_config_selectorIblEEZNS1_25segmented_radix_sort_implIS3_Lb0EPKbPbPKlPlN2at6native12_GLOBAL__N_18offset_tEEE10hipError_tPvRmT1_PNSt15iterator_traitsISK_E10value_typeET2_T3_PNSL_ISQ_E10value_typeET4_jRbjT5_SW_jjP12ihipStream_tbEUlT_E2_NS1_11comp_targetILNS1_3genE2ELNS1_11target_archE906ELNS1_3gpuE6ELNS1_3repE0EEENS1_30default_config_static_selectorELNS0_4arch9wavefront6targetE0EEEvSK_
	.p2align	8
	.type	_ZN7rocprim17ROCPRIM_400000_NS6detail17trampoline_kernelINS0_14default_configENS1_36segmented_radix_sort_config_selectorIblEEZNS1_25segmented_radix_sort_implIS3_Lb0EPKbPbPKlPlN2at6native12_GLOBAL__N_18offset_tEEE10hipError_tPvRmT1_PNSt15iterator_traitsISK_E10value_typeET2_T3_PNSL_ISQ_E10value_typeET4_jRbjT5_SW_jjP12ihipStream_tbEUlT_E2_NS1_11comp_targetILNS1_3genE2ELNS1_11target_archE906ELNS1_3gpuE6ELNS1_3repE0EEENS1_30default_config_static_selectorELNS0_4arch9wavefront6targetE0EEEvSK_,@function
_ZN7rocprim17ROCPRIM_400000_NS6detail17trampoline_kernelINS0_14default_configENS1_36segmented_radix_sort_config_selectorIblEEZNS1_25segmented_radix_sort_implIS3_Lb0EPKbPbPKlPlN2at6native12_GLOBAL__N_18offset_tEEE10hipError_tPvRmT1_PNSt15iterator_traitsISK_E10value_typeET2_T3_PNSL_ISQ_E10value_typeET4_jRbjT5_SW_jjP12ihipStream_tbEUlT_E2_NS1_11comp_targetILNS1_3genE2ELNS1_11target_archE906ELNS1_3gpuE6ELNS1_3repE0EEENS1_30default_config_static_selectorELNS0_4arch9wavefront6targetE0EEEvSK_: ; @_ZN7rocprim17ROCPRIM_400000_NS6detail17trampoline_kernelINS0_14default_configENS1_36segmented_radix_sort_config_selectorIblEEZNS1_25segmented_radix_sort_implIS3_Lb0EPKbPbPKlPlN2at6native12_GLOBAL__N_18offset_tEEE10hipError_tPvRmT1_PNSt15iterator_traitsISK_E10value_typeET2_T3_PNSL_ISQ_E10value_typeET4_jRbjT5_SW_jjP12ihipStream_tbEUlT_E2_NS1_11comp_targetILNS1_3genE2ELNS1_11target_archE906ELNS1_3gpuE6ELNS1_3repE0EEENS1_30default_config_static_selectorELNS0_4arch9wavefront6targetE0EEEvSK_
; %bb.0:
	.section	.rodata,"a",@progbits
	.p2align	6, 0x0
	.amdhsa_kernel _ZN7rocprim17ROCPRIM_400000_NS6detail17trampoline_kernelINS0_14default_configENS1_36segmented_radix_sort_config_selectorIblEEZNS1_25segmented_radix_sort_implIS3_Lb0EPKbPbPKlPlN2at6native12_GLOBAL__N_18offset_tEEE10hipError_tPvRmT1_PNSt15iterator_traitsISK_E10value_typeET2_T3_PNSL_ISQ_E10value_typeET4_jRbjT5_SW_jjP12ihipStream_tbEUlT_E2_NS1_11comp_targetILNS1_3genE2ELNS1_11target_archE906ELNS1_3gpuE6ELNS1_3repE0EEENS1_30default_config_static_selectorELNS0_4arch9wavefront6targetE0EEEvSK_
		.amdhsa_group_segment_fixed_size 0
		.amdhsa_private_segment_fixed_size 0
		.amdhsa_kernarg_size 80
		.amdhsa_user_sgpr_count 2
		.amdhsa_user_sgpr_dispatch_ptr 0
		.amdhsa_user_sgpr_queue_ptr 0
		.amdhsa_user_sgpr_kernarg_segment_ptr 1
		.amdhsa_user_sgpr_dispatch_id 0
		.amdhsa_user_sgpr_kernarg_preload_length 0
		.amdhsa_user_sgpr_kernarg_preload_offset 0
		.amdhsa_user_sgpr_private_segment_size 0
		.amdhsa_wavefront_size32 1
		.amdhsa_uses_dynamic_stack 0
		.amdhsa_enable_private_segment 0
		.amdhsa_system_sgpr_workgroup_id_x 1
		.amdhsa_system_sgpr_workgroup_id_y 0
		.amdhsa_system_sgpr_workgroup_id_z 0
		.amdhsa_system_sgpr_workgroup_info 0
		.amdhsa_system_vgpr_workitem_id 0
		.amdhsa_next_free_vgpr 1
		.amdhsa_next_free_sgpr 1
		.amdhsa_named_barrier_count 0
		.amdhsa_reserve_vcc 0
		.amdhsa_float_round_mode_32 0
		.amdhsa_float_round_mode_16_64 0
		.amdhsa_float_denorm_mode_32 3
		.amdhsa_float_denorm_mode_16_64 3
		.amdhsa_fp16_overflow 0
		.amdhsa_memory_ordered 1
		.amdhsa_forward_progress 1
		.amdhsa_inst_pref_size 0
		.amdhsa_round_robin_scheduling 0
		.amdhsa_exception_fp_ieee_invalid_op 0
		.amdhsa_exception_fp_denorm_src 0
		.amdhsa_exception_fp_ieee_div_zero 0
		.amdhsa_exception_fp_ieee_overflow 0
		.amdhsa_exception_fp_ieee_underflow 0
		.amdhsa_exception_fp_ieee_inexact 0
		.amdhsa_exception_int_div_zero 0
	.end_amdhsa_kernel
	.section	.text._ZN7rocprim17ROCPRIM_400000_NS6detail17trampoline_kernelINS0_14default_configENS1_36segmented_radix_sort_config_selectorIblEEZNS1_25segmented_radix_sort_implIS3_Lb0EPKbPbPKlPlN2at6native12_GLOBAL__N_18offset_tEEE10hipError_tPvRmT1_PNSt15iterator_traitsISK_E10value_typeET2_T3_PNSL_ISQ_E10value_typeET4_jRbjT5_SW_jjP12ihipStream_tbEUlT_E2_NS1_11comp_targetILNS1_3genE2ELNS1_11target_archE906ELNS1_3gpuE6ELNS1_3repE0EEENS1_30default_config_static_selectorELNS0_4arch9wavefront6targetE0EEEvSK_,"axG",@progbits,_ZN7rocprim17ROCPRIM_400000_NS6detail17trampoline_kernelINS0_14default_configENS1_36segmented_radix_sort_config_selectorIblEEZNS1_25segmented_radix_sort_implIS3_Lb0EPKbPbPKlPlN2at6native12_GLOBAL__N_18offset_tEEE10hipError_tPvRmT1_PNSt15iterator_traitsISK_E10value_typeET2_T3_PNSL_ISQ_E10value_typeET4_jRbjT5_SW_jjP12ihipStream_tbEUlT_E2_NS1_11comp_targetILNS1_3genE2ELNS1_11target_archE906ELNS1_3gpuE6ELNS1_3repE0EEENS1_30default_config_static_selectorELNS0_4arch9wavefront6targetE0EEEvSK_,comdat
.Lfunc_end1659:
	.size	_ZN7rocprim17ROCPRIM_400000_NS6detail17trampoline_kernelINS0_14default_configENS1_36segmented_radix_sort_config_selectorIblEEZNS1_25segmented_radix_sort_implIS3_Lb0EPKbPbPKlPlN2at6native12_GLOBAL__N_18offset_tEEE10hipError_tPvRmT1_PNSt15iterator_traitsISK_E10value_typeET2_T3_PNSL_ISQ_E10value_typeET4_jRbjT5_SW_jjP12ihipStream_tbEUlT_E2_NS1_11comp_targetILNS1_3genE2ELNS1_11target_archE906ELNS1_3gpuE6ELNS1_3repE0EEENS1_30default_config_static_selectorELNS0_4arch9wavefront6targetE0EEEvSK_, .Lfunc_end1659-_ZN7rocprim17ROCPRIM_400000_NS6detail17trampoline_kernelINS0_14default_configENS1_36segmented_radix_sort_config_selectorIblEEZNS1_25segmented_radix_sort_implIS3_Lb0EPKbPbPKlPlN2at6native12_GLOBAL__N_18offset_tEEE10hipError_tPvRmT1_PNSt15iterator_traitsISK_E10value_typeET2_T3_PNSL_ISQ_E10value_typeET4_jRbjT5_SW_jjP12ihipStream_tbEUlT_E2_NS1_11comp_targetILNS1_3genE2ELNS1_11target_archE906ELNS1_3gpuE6ELNS1_3repE0EEENS1_30default_config_static_selectorELNS0_4arch9wavefront6targetE0EEEvSK_
                                        ; -- End function
	.set _ZN7rocprim17ROCPRIM_400000_NS6detail17trampoline_kernelINS0_14default_configENS1_36segmented_radix_sort_config_selectorIblEEZNS1_25segmented_radix_sort_implIS3_Lb0EPKbPbPKlPlN2at6native12_GLOBAL__N_18offset_tEEE10hipError_tPvRmT1_PNSt15iterator_traitsISK_E10value_typeET2_T3_PNSL_ISQ_E10value_typeET4_jRbjT5_SW_jjP12ihipStream_tbEUlT_E2_NS1_11comp_targetILNS1_3genE2ELNS1_11target_archE906ELNS1_3gpuE6ELNS1_3repE0EEENS1_30default_config_static_selectorELNS0_4arch9wavefront6targetE0EEEvSK_.num_vgpr, 0
	.set _ZN7rocprim17ROCPRIM_400000_NS6detail17trampoline_kernelINS0_14default_configENS1_36segmented_radix_sort_config_selectorIblEEZNS1_25segmented_radix_sort_implIS3_Lb0EPKbPbPKlPlN2at6native12_GLOBAL__N_18offset_tEEE10hipError_tPvRmT1_PNSt15iterator_traitsISK_E10value_typeET2_T3_PNSL_ISQ_E10value_typeET4_jRbjT5_SW_jjP12ihipStream_tbEUlT_E2_NS1_11comp_targetILNS1_3genE2ELNS1_11target_archE906ELNS1_3gpuE6ELNS1_3repE0EEENS1_30default_config_static_selectorELNS0_4arch9wavefront6targetE0EEEvSK_.num_agpr, 0
	.set _ZN7rocprim17ROCPRIM_400000_NS6detail17trampoline_kernelINS0_14default_configENS1_36segmented_radix_sort_config_selectorIblEEZNS1_25segmented_radix_sort_implIS3_Lb0EPKbPbPKlPlN2at6native12_GLOBAL__N_18offset_tEEE10hipError_tPvRmT1_PNSt15iterator_traitsISK_E10value_typeET2_T3_PNSL_ISQ_E10value_typeET4_jRbjT5_SW_jjP12ihipStream_tbEUlT_E2_NS1_11comp_targetILNS1_3genE2ELNS1_11target_archE906ELNS1_3gpuE6ELNS1_3repE0EEENS1_30default_config_static_selectorELNS0_4arch9wavefront6targetE0EEEvSK_.numbered_sgpr, 0
	.set _ZN7rocprim17ROCPRIM_400000_NS6detail17trampoline_kernelINS0_14default_configENS1_36segmented_radix_sort_config_selectorIblEEZNS1_25segmented_radix_sort_implIS3_Lb0EPKbPbPKlPlN2at6native12_GLOBAL__N_18offset_tEEE10hipError_tPvRmT1_PNSt15iterator_traitsISK_E10value_typeET2_T3_PNSL_ISQ_E10value_typeET4_jRbjT5_SW_jjP12ihipStream_tbEUlT_E2_NS1_11comp_targetILNS1_3genE2ELNS1_11target_archE906ELNS1_3gpuE6ELNS1_3repE0EEENS1_30default_config_static_selectorELNS0_4arch9wavefront6targetE0EEEvSK_.num_named_barrier, 0
	.set _ZN7rocprim17ROCPRIM_400000_NS6detail17trampoline_kernelINS0_14default_configENS1_36segmented_radix_sort_config_selectorIblEEZNS1_25segmented_radix_sort_implIS3_Lb0EPKbPbPKlPlN2at6native12_GLOBAL__N_18offset_tEEE10hipError_tPvRmT1_PNSt15iterator_traitsISK_E10value_typeET2_T3_PNSL_ISQ_E10value_typeET4_jRbjT5_SW_jjP12ihipStream_tbEUlT_E2_NS1_11comp_targetILNS1_3genE2ELNS1_11target_archE906ELNS1_3gpuE6ELNS1_3repE0EEENS1_30default_config_static_selectorELNS0_4arch9wavefront6targetE0EEEvSK_.private_seg_size, 0
	.set _ZN7rocprim17ROCPRIM_400000_NS6detail17trampoline_kernelINS0_14default_configENS1_36segmented_radix_sort_config_selectorIblEEZNS1_25segmented_radix_sort_implIS3_Lb0EPKbPbPKlPlN2at6native12_GLOBAL__N_18offset_tEEE10hipError_tPvRmT1_PNSt15iterator_traitsISK_E10value_typeET2_T3_PNSL_ISQ_E10value_typeET4_jRbjT5_SW_jjP12ihipStream_tbEUlT_E2_NS1_11comp_targetILNS1_3genE2ELNS1_11target_archE906ELNS1_3gpuE6ELNS1_3repE0EEENS1_30default_config_static_selectorELNS0_4arch9wavefront6targetE0EEEvSK_.uses_vcc, 0
	.set _ZN7rocprim17ROCPRIM_400000_NS6detail17trampoline_kernelINS0_14default_configENS1_36segmented_radix_sort_config_selectorIblEEZNS1_25segmented_radix_sort_implIS3_Lb0EPKbPbPKlPlN2at6native12_GLOBAL__N_18offset_tEEE10hipError_tPvRmT1_PNSt15iterator_traitsISK_E10value_typeET2_T3_PNSL_ISQ_E10value_typeET4_jRbjT5_SW_jjP12ihipStream_tbEUlT_E2_NS1_11comp_targetILNS1_3genE2ELNS1_11target_archE906ELNS1_3gpuE6ELNS1_3repE0EEENS1_30default_config_static_selectorELNS0_4arch9wavefront6targetE0EEEvSK_.uses_flat_scratch, 0
	.set _ZN7rocprim17ROCPRIM_400000_NS6detail17trampoline_kernelINS0_14default_configENS1_36segmented_radix_sort_config_selectorIblEEZNS1_25segmented_radix_sort_implIS3_Lb0EPKbPbPKlPlN2at6native12_GLOBAL__N_18offset_tEEE10hipError_tPvRmT1_PNSt15iterator_traitsISK_E10value_typeET2_T3_PNSL_ISQ_E10value_typeET4_jRbjT5_SW_jjP12ihipStream_tbEUlT_E2_NS1_11comp_targetILNS1_3genE2ELNS1_11target_archE906ELNS1_3gpuE6ELNS1_3repE0EEENS1_30default_config_static_selectorELNS0_4arch9wavefront6targetE0EEEvSK_.has_dyn_sized_stack, 0
	.set _ZN7rocprim17ROCPRIM_400000_NS6detail17trampoline_kernelINS0_14default_configENS1_36segmented_radix_sort_config_selectorIblEEZNS1_25segmented_radix_sort_implIS3_Lb0EPKbPbPKlPlN2at6native12_GLOBAL__N_18offset_tEEE10hipError_tPvRmT1_PNSt15iterator_traitsISK_E10value_typeET2_T3_PNSL_ISQ_E10value_typeET4_jRbjT5_SW_jjP12ihipStream_tbEUlT_E2_NS1_11comp_targetILNS1_3genE2ELNS1_11target_archE906ELNS1_3gpuE6ELNS1_3repE0EEENS1_30default_config_static_selectorELNS0_4arch9wavefront6targetE0EEEvSK_.has_recursion, 0
	.set _ZN7rocprim17ROCPRIM_400000_NS6detail17trampoline_kernelINS0_14default_configENS1_36segmented_radix_sort_config_selectorIblEEZNS1_25segmented_radix_sort_implIS3_Lb0EPKbPbPKlPlN2at6native12_GLOBAL__N_18offset_tEEE10hipError_tPvRmT1_PNSt15iterator_traitsISK_E10value_typeET2_T3_PNSL_ISQ_E10value_typeET4_jRbjT5_SW_jjP12ihipStream_tbEUlT_E2_NS1_11comp_targetILNS1_3genE2ELNS1_11target_archE906ELNS1_3gpuE6ELNS1_3repE0EEENS1_30default_config_static_selectorELNS0_4arch9wavefront6targetE0EEEvSK_.has_indirect_call, 0
	.section	.AMDGPU.csdata,"",@progbits
; Kernel info:
; codeLenInByte = 0
; TotalNumSgprs: 0
; NumVgprs: 0
; ScratchSize: 0
; MemoryBound: 0
; FloatMode: 240
; IeeeMode: 1
; LDSByteSize: 0 bytes/workgroup (compile time only)
; SGPRBlocks: 0
; VGPRBlocks: 0
; NumSGPRsForWavesPerEU: 1
; NumVGPRsForWavesPerEU: 1
; NamedBarCnt: 0
; Occupancy: 16
; WaveLimiterHint : 0
; COMPUTE_PGM_RSRC2:SCRATCH_EN: 0
; COMPUTE_PGM_RSRC2:USER_SGPR: 2
; COMPUTE_PGM_RSRC2:TRAP_HANDLER: 0
; COMPUTE_PGM_RSRC2:TGID_X_EN: 1
; COMPUTE_PGM_RSRC2:TGID_Y_EN: 0
; COMPUTE_PGM_RSRC2:TGID_Z_EN: 0
; COMPUTE_PGM_RSRC2:TIDIG_COMP_CNT: 0
	.section	.text._ZN7rocprim17ROCPRIM_400000_NS6detail17trampoline_kernelINS0_14default_configENS1_36segmented_radix_sort_config_selectorIblEEZNS1_25segmented_radix_sort_implIS3_Lb0EPKbPbPKlPlN2at6native12_GLOBAL__N_18offset_tEEE10hipError_tPvRmT1_PNSt15iterator_traitsISK_E10value_typeET2_T3_PNSL_ISQ_E10value_typeET4_jRbjT5_SW_jjP12ihipStream_tbEUlT_E2_NS1_11comp_targetILNS1_3genE10ELNS1_11target_archE1201ELNS1_3gpuE5ELNS1_3repE0EEENS1_30default_config_static_selectorELNS0_4arch9wavefront6targetE0EEEvSK_,"axG",@progbits,_ZN7rocprim17ROCPRIM_400000_NS6detail17trampoline_kernelINS0_14default_configENS1_36segmented_radix_sort_config_selectorIblEEZNS1_25segmented_radix_sort_implIS3_Lb0EPKbPbPKlPlN2at6native12_GLOBAL__N_18offset_tEEE10hipError_tPvRmT1_PNSt15iterator_traitsISK_E10value_typeET2_T3_PNSL_ISQ_E10value_typeET4_jRbjT5_SW_jjP12ihipStream_tbEUlT_E2_NS1_11comp_targetILNS1_3genE10ELNS1_11target_archE1201ELNS1_3gpuE5ELNS1_3repE0EEENS1_30default_config_static_selectorELNS0_4arch9wavefront6targetE0EEEvSK_,comdat
	.globl	_ZN7rocprim17ROCPRIM_400000_NS6detail17trampoline_kernelINS0_14default_configENS1_36segmented_radix_sort_config_selectorIblEEZNS1_25segmented_radix_sort_implIS3_Lb0EPKbPbPKlPlN2at6native12_GLOBAL__N_18offset_tEEE10hipError_tPvRmT1_PNSt15iterator_traitsISK_E10value_typeET2_T3_PNSL_ISQ_E10value_typeET4_jRbjT5_SW_jjP12ihipStream_tbEUlT_E2_NS1_11comp_targetILNS1_3genE10ELNS1_11target_archE1201ELNS1_3gpuE5ELNS1_3repE0EEENS1_30default_config_static_selectorELNS0_4arch9wavefront6targetE0EEEvSK_ ; -- Begin function _ZN7rocprim17ROCPRIM_400000_NS6detail17trampoline_kernelINS0_14default_configENS1_36segmented_radix_sort_config_selectorIblEEZNS1_25segmented_radix_sort_implIS3_Lb0EPKbPbPKlPlN2at6native12_GLOBAL__N_18offset_tEEE10hipError_tPvRmT1_PNSt15iterator_traitsISK_E10value_typeET2_T3_PNSL_ISQ_E10value_typeET4_jRbjT5_SW_jjP12ihipStream_tbEUlT_E2_NS1_11comp_targetILNS1_3genE10ELNS1_11target_archE1201ELNS1_3gpuE5ELNS1_3repE0EEENS1_30default_config_static_selectorELNS0_4arch9wavefront6targetE0EEEvSK_
	.p2align	8
	.type	_ZN7rocprim17ROCPRIM_400000_NS6detail17trampoline_kernelINS0_14default_configENS1_36segmented_radix_sort_config_selectorIblEEZNS1_25segmented_radix_sort_implIS3_Lb0EPKbPbPKlPlN2at6native12_GLOBAL__N_18offset_tEEE10hipError_tPvRmT1_PNSt15iterator_traitsISK_E10value_typeET2_T3_PNSL_ISQ_E10value_typeET4_jRbjT5_SW_jjP12ihipStream_tbEUlT_E2_NS1_11comp_targetILNS1_3genE10ELNS1_11target_archE1201ELNS1_3gpuE5ELNS1_3repE0EEENS1_30default_config_static_selectorELNS0_4arch9wavefront6targetE0EEEvSK_,@function
_ZN7rocprim17ROCPRIM_400000_NS6detail17trampoline_kernelINS0_14default_configENS1_36segmented_radix_sort_config_selectorIblEEZNS1_25segmented_radix_sort_implIS3_Lb0EPKbPbPKlPlN2at6native12_GLOBAL__N_18offset_tEEE10hipError_tPvRmT1_PNSt15iterator_traitsISK_E10value_typeET2_T3_PNSL_ISQ_E10value_typeET4_jRbjT5_SW_jjP12ihipStream_tbEUlT_E2_NS1_11comp_targetILNS1_3genE10ELNS1_11target_archE1201ELNS1_3gpuE5ELNS1_3repE0EEENS1_30default_config_static_selectorELNS0_4arch9wavefront6targetE0EEEvSK_: ; @_ZN7rocprim17ROCPRIM_400000_NS6detail17trampoline_kernelINS0_14default_configENS1_36segmented_radix_sort_config_selectorIblEEZNS1_25segmented_radix_sort_implIS3_Lb0EPKbPbPKlPlN2at6native12_GLOBAL__N_18offset_tEEE10hipError_tPvRmT1_PNSt15iterator_traitsISK_E10value_typeET2_T3_PNSL_ISQ_E10value_typeET4_jRbjT5_SW_jjP12ihipStream_tbEUlT_E2_NS1_11comp_targetILNS1_3genE10ELNS1_11target_archE1201ELNS1_3gpuE5ELNS1_3repE0EEENS1_30default_config_static_selectorELNS0_4arch9wavefront6targetE0EEEvSK_
; %bb.0:
	.section	.rodata,"a",@progbits
	.p2align	6, 0x0
	.amdhsa_kernel _ZN7rocprim17ROCPRIM_400000_NS6detail17trampoline_kernelINS0_14default_configENS1_36segmented_radix_sort_config_selectorIblEEZNS1_25segmented_radix_sort_implIS3_Lb0EPKbPbPKlPlN2at6native12_GLOBAL__N_18offset_tEEE10hipError_tPvRmT1_PNSt15iterator_traitsISK_E10value_typeET2_T3_PNSL_ISQ_E10value_typeET4_jRbjT5_SW_jjP12ihipStream_tbEUlT_E2_NS1_11comp_targetILNS1_3genE10ELNS1_11target_archE1201ELNS1_3gpuE5ELNS1_3repE0EEENS1_30default_config_static_selectorELNS0_4arch9wavefront6targetE0EEEvSK_
		.amdhsa_group_segment_fixed_size 0
		.amdhsa_private_segment_fixed_size 0
		.amdhsa_kernarg_size 80
		.amdhsa_user_sgpr_count 2
		.amdhsa_user_sgpr_dispatch_ptr 0
		.amdhsa_user_sgpr_queue_ptr 0
		.amdhsa_user_sgpr_kernarg_segment_ptr 1
		.amdhsa_user_sgpr_dispatch_id 0
		.amdhsa_user_sgpr_kernarg_preload_length 0
		.amdhsa_user_sgpr_kernarg_preload_offset 0
		.amdhsa_user_sgpr_private_segment_size 0
		.amdhsa_wavefront_size32 1
		.amdhsa_uses_dynamic_stack 0
		.amdhsa_enable_private_segment 0
		.amdhsa_system_sgpr_workgroup_id_x 1
		.amdhsa_system_sgpr_workgroup_id_y 0
		.amdhsa_system_sgpr_workgroup_id_z 0
		.amdhsa_system_sgpr_workgroup_info 0
		.amdhsa_system_vgpr_workitem_id 0
		.amdhsa_next_free_vgpr 1
		.amdhsa_next_free_sgpr 1
		.amdhsa_named_barrier_count 0
		.amdhsa_reserve_vcc 0
		.amdhsa_float_round_mode_32 0
		.amdhsa_float_round_mode_16_64 0
		.amdhsa_float_denorm_mode_32 3
		.amdhsa_float_denorm_mode_16_64 3
		.amdhsa_fp16_overflow 0
		.amdhsa_memory_ordered 1
		.amdhsa_forward_progress 1
		.amdhsa_inst_pref_size 0
		.amdhsa_round_robin_scheduling 0
		.amdhsa_exception_fp_ieee_invalid_op 0
		.amdhsa_exception_fp_denorm_src 0
		.amdhsa_exception_fp_ieee_div_zero 0
		.amdhsa_exception_fp_ieee_overflow 0
		.amdhsa_exception_fp_ieee_underflow 0
		.amdhsa_exception_fp_ieee_inexact 0
		.amdhsa_exception_int_div_zero 0
	.end_amdhsa_kernel
	.section	.text._ZN7rocprim17ROCPRIM_400000_NS6detail17trampoline_kernelINS0_14default_configENS1_36segmented_radix_sort_config_selectorIblEEZNS1_25segmented_radix_sort_implIS3_Lb0EPKbPbPKlPlN2at6native12_GLOBAL__N_18offset_tEEE10hipError_tPvRmT1_PNSt15iterator_traitsISK_E10value_typeET2_T3_PNSL_ISQ_E10value_typeET4_jRbjT5_SW_jjP12ihipStream_tbEUlT_E2_NS1_11comp_targetILNS1_3genE10ELNS1_11target_archE1201ELNS1_3gpuE5ELNS1_3repE0EEENS1_30default_config_static_selectorELNS0_4arch9wavefront6targetE0EEEvSK_,"axG",@progbits,_ZN7rocprim17ROCPRIM_400000_NS6detail17trampoline_kernelINS0_14default_configENS1_36segmented_radix_sort_config_selectorIblEEZNS1_25segmented_radix_sort_implIS3_Lb0EPKbPbPKlPlN2at6native12_GLOBAL__N_18offset_tEEE10hipError_tPvRmT1_PNSt15iterator_traitsISK_E10value_typeET2_T3_PNSL_ISQ_E10value_typeET4_jRbjT5_SW_jjP12ihipStream_tbEUlT_E2_NS1_11comp_targetILNS1_3genE10ELNS1_11target_archE1201ELNS1_3gpuE5ELNS1_3repE0EEENS1_30default_config_static_selectorELNS0_4arch9wavefront6targetE0EEEvSK_,comdat
.Lfunc_end1660:
	.size	_ZN7rocprim17ROCPRIM_400000_NS6detail17trampoline_kernelINS0_14default_configENS1_36segmented_radix_sort_config_selectorIblEEZNS1_25segmented_radix_sort_implIS3_Lb0EPKbPbPKlPlN2at6native12_GLOBAL__N_18offset_tEEE10hipError_tPvRmT1_PNSt15iterator_traitsISK_E10value_typeET2_T3_PNSL_ISQ_E10value_typeET4_jRbjT5_SW_jjP12ihipStream_tbEUlT_E2_NS1_11comp_targetILNS1_3genE10ELNS1_11target_archE1201ELNS1_3gpuE5ELNS1_3repE0EEENS1_30default_config_static_selectorELNS0_4arch9wavefront6targetE0EEEvSK_, .Lfunc_end1660-_ZN7rocprim17ROCPRIM_400000_NS6detail17trampoline_kernelINS0_14default_configENS1_36segmented_radix_sort_config_selectorIblEEZNS1_25segmented_radix_sort_implIS3_Lb0EPKbPbPKlPlN2at6native12_GLOBAL__N_18offset_tEEE10hipError_tPvRmT1_PNSt15iterator_traitsISK_E10value_typeET2_T3_PNSL_ISQ_E10value_typeET4_jRbjT5_SW_jjP12ihipStream_tbEUlT_E2_NS1_11comp_targetILNS1_3genE10ELNS1_11target_archE1201ELNS1_3gpuE5ELNS1_3repE0EEENS1_30default_config_static_selectorELNS0_4arch9wavefront6targetE0EEEvSK_
                                        ; -- End function
	.set _ZN7rocprim17ROCPRIM_400000_NS6detail17trampoline_kernelINS0_14default_configENS1_36segmented_radix_sort_config_selectorIblEEZNS1_25segmented_radix_sort_implIS3_Lb0EPKbPbPKlPlN2at6native12_GLOBAL__N_18offset_tEEE10hipError_tPvRmT1_PNSt15iterator_traitsISK_E10value_typeET2_T3_PNSL_ISQ_E10value_typeET4_jRbjT5_SW_jjP12ihipStream_tbEUlT_E2_NS1_11comp_targetILNS1_3genE10ELNS1_11target_archE1201ELNS1_3gpuE5ELNS1_3repE0EEENS1_30default_config_static_selectorELNS0_4arch9wavefront6targetE0EEEvSK_.num_vgpr, 0
	.set _ZN7rocprim17ROCPRIM_400000_NS6detail17trampoline_kernelINS0_14default_configENS1_36segmented_radix_sort_config_selectorIblEEZNS1_25segmented_radix_sort_implIS3_Lb0EPKbPbPKlPlN2at6native12_GLOBAL__N_18offset_tEEE10hipError_tPvRmT1_PNSt15iterator_traitsISK_E10value_typeET2_T3_PNSL_ISQ_E10value_typeET4_jRbjT5_SW_jjP12ihipStream_tbEUlT_E2_NS1_11comp_targetILNS1_3genE10ELNS1_11target_archE1201ELNS1_3gpuE5ELNS1_3repE0EEENS1_30default_config_static_selectorELNS0_4arch9wavefront6targetE0EEEvSK_.num_agpr, 0
	.set _ZN7rocprim17ROCPRIM_400000_NS6detail17trampoline_kernelINS0_14default_configENS1_36segmented_radix_sort_config_selectorIblEEZNS1_25segmented_radix_sort_implIS3_Lb0EPKbPbPKlPlN2at6native12_GLOBAL__N_18offset_tEEE10hipError_tPvRmT1_PNSt15iterator_traitsISK_E10value_typeET2_T3_PNSL_ISQ_E10value_typeET4_jRbjT5_SW_jjP12ihipStream_tbEUlT_E2_NS1_11comp_targetILNS1_3genE10ELNS1_11target_archE1201ELNS1_3gpuE5ELNS1_3repE0EEENS1_30default_config_static_selectorELNS0_4arch9wavefront6targetE0EEEvSK_.numbered_sgpr, 0
	.set _ZN7rocprim17ROCPRIM_400000_NS6detail17trampoline_kernelINS0_14default_configENS1_36segmented_radix_sort_config_selectorIblEEZNS1_25segmented_radix_sort_implIS3_Lb0EPKbPbPKlPlN2at6native12_GLOBAL__N_18offset_tEEE10hipError_tPvRmT1_PNSt15iterator_traitsISK_E10value_typeET2_T3_PNSL_ISQ_E10value_typeET4_jRbjT5_SW_jjP12ihipStream_tbEUlT_E2_NS1_11comp_targetILNS1_3genE10ELNS1_11target_archE1201ELNS1_3gpuE5ELNS1_3repE0EEENS1_30default_config_static_selectorELNS0_4arch9wavefront6targetE0EEEvSK_.num_named_barrier, 0
	.set _ZN7rocprim17ROCPRIM_400000_NS6detail17trampoline_kernelINS0_14default_configENS1_36segmented_radix_sort_config_selectorIblEEZNS1_25segmented_radix_sort_implIS3_Lb0EPKbPbPKlPlN2at6native12_GLOBAL__N_18offset_tEEE10hipError_tPvRmT1_PNSt15iterator_traitsISK_E10value_typeET2_T3_PNSL_ISQ_E10value_typeET4_jRbjT5_SW_jjP12ihipStream_tbEUlT_E2_NS1_11comp_targetILNS1_3genE10ELNS1_11target_archE1201ELNS1_3gpuE5ELNS1_3repE0EEENS1_30default_config_static_selectorELNS0_4arch9wavefront6targetE0EEEvSK_.private_seg_size, 0
	.set _ZN7rocprim17ROCPRIM_400000_NS6detail17trampoline_kernelINS0_14default_configENS1_36segmented_radix_sort_config_selectorIblEEZNS1_25segmented_radix_sort_implIS3_Lb0EPKbPbPKlPlN2at6native12_GLOBAL__N_18offset_tEEE10hipError_tPvRmT1_PNSt15iterator_traitsISK_E10value_typeET2_T3_PNSL_ISQ_E10value_typeET4_jRbjT5_SW_jjP12ihipStream_tbEUlT_E2_NS1_11comp_targetILNS1_3genE10ELNS1_11target_archE1201ELNS1_3gpuE5ELNS1_3repE0EEENS1_30default_config_static_selectorELNS0_4arch9wavefront6targetE0EEEvSK_.uses_vcc, 0
	.set _ZN7rocprim17ROCPRIM_400000_NS6detail17trampoline_kernelINS0_14default_configENS1_36segmented_radix_sort_config_selectorIblEEZNS1_25segmented_radix_sort_implIS3_Lb0EPKbPbPKlPlN2at6native12_GLOBAL__N_18offset_tEEE10hipError_tPvRmT1_PNSt15iterator_traitsISK_E10value_typeET2_T3_PNSL_ISQ_E10value_typeET4_jRbjT5_SW_jjP12ihipStream_tbEUlT_E2_NS1_11comp_targetILNS1_3genE10ELNS1_11target_archE1201ELNS1_3gpuE5ELNS1_3repE0EEENS1_30default_config_static_selectorELNS0_4arch9wavefront6targetE0EEEvSK_.uses_flat_scratch, 0
	.set _ZN7rocprim17ROCPRIM_400000_NS6detail17trampoline_kernelINS0_14default_configENS1_36segmented_radix_sort_config_selectorIblEEZNS1_25segmented_radix_sort_implIS3_Lb0EPKbPbPKlPlN2at6native12_GLOBAL__N_18offset_tEEE10hipError_tPvRmT1_PNSt15iterator_traitsISK_E10value_typeET2_T3_PNSL_ISQ_E10value_typeET4_jRbjT5_SW_jjP12ihipStream_tbEUlT_E2_NS1_11comp_targetILNS1_3genE10ELNS1_11target_archE1201ELNS1_3gpuE5ELNS1_3repE0EEENS1_30default_config_static_selectorELNS0_4arch9wavefront6targetE0EEEvSK_.has_dyn_sized_stack, 0
	.set _ZN7rocprim17ROCPRIM_400000_NS6detail17trampoline_kernelINS0_14default_configENS1_36segmented_radix_sort_config_selectorIblEEZNS1_25segmented_radix_sort_implIS3_Lb0EPKbPbPKlPlN2at6native12_GLOBAL__N_18offset_tEEE10hipError_tPvRmT1_PNSt15iterator_traitsISK_E10value_typeET2_T3_PNSL_ISQ_E10value_typeET4_jRbjT5_SW_jjP12ihipStream_tbEUlT_E2_NS1_11comp_targetILNS1_3genE10ELNS1_11target_archE1201ELNS1_3gpuE5ELNS1_3repE0EEENS1_30default_config_static_selectorELNS0_4arch9wavefront6targetE0EEEvSK_.has_recursion, 0
	.set _ZN7rocprim17ROCPRIM_400000_NS6detail17trampoline_kernelINS0_14default_configENS1_36segmented_radix_sort_config_selectorIblEEZNS1_25segmented_radix_sort_implIS3_Lb0EPKbPbPKlPlN2at6native12_GLOBAL__N_18offset_tEEE10hipError_tPvRmT1_PNSt15iterator_traitsISK_E10value_typeET2_T3_PNSL_ISQ_E10value_typeET4_jRbjT5_SW_jjP12ihipStream_tbEUlT_E2_NS1_11comp_targetILNS1_3genE10ELNS1_11target_archE1201ELNS1_3gpuE5ELNS1_3repE0EEENS1_30default_config_static_selectorELNS0_4arch9wavefront6targetE0EEEvSK_.has_indirect_call, 0
	.section	.AMDGPU.csdata,"",@progbits
; Kernel info:
; codeLenInByte = 0
; TotalNumSgprs: 0
; NumVgprs: 0
; ScratchSize: 0
; MemoryBound: 0
; FloatMode: 240
; IeeeMode: 1
; LDSByteSize: 0 bytes/workgroup (compile time only)
; SGPRBlocks: 0
; VGPRBlocks: 0
; NumSGPRsForWavesPerEU: 1
; NumVGPRsForWavesPerEU: 1
; NamedBarCnt: 0
; Occupancy: 16
; WaveLimiterHint : 0
; COMPUTE_PGM_RSRC2:SCRATCH_EN: 0
; COMPUTE_PGM_RSRC2:USER_SGPR: 2
; COMPUTE_PGM_RSRC2:TRAP_HANDLER: 0
; COMPUTE_PGM_RSRC2:TGID_X_EN: 1
; COMPUTE_PGM_RSRC2:TGID_Y_EN: 0
; COMPUTE_PGM_RSRC2:TGID_Z_EN: 0
; COMPUTE_PGM_RSRC2:TIDIG_COMP_CNT: 0
	.section	.text._ZN7rocprim17ROCPRIM_400000_NS6detail17trampoline_kernelINS0_14default_configENS1_36segmented_radix_sort_config_selectorIblEEZNS1_25segmented_radix_sort_implIS3_Lb0EPKbPbPKlPlN2at6native12_GLOBAL__N_18offset_tEEE10hipError_tPvRmT1_PNSt15iterator_traitsISK_E10value_typeET2_T3_PNSL_ISQ_E10value_typeET4_jRbjT5_SW_jjP12ihipStream_tbEUlT_E2_NS1_11comp_targetILNS1_3genE10ELNS1_11target_archE1200ELNS1_3gpuE4ELNS1_3repE0EEENS1_30default_config_static_selectorELNS0_4arch9wavefront6targetE0EEEvSK_,"axG",@progbits,_ZN7rocprim17ROCPRIM_400000_NS6detail17trampoline_kernelINS0_14default_configENS1_36segmented_radix_sort_config_selectorIblEEZNS1_25segmented_radix_sort_implIS3_Lb0EPKbPbPKlPlN2at6native12_GLOBAL__N_18offset_tEEE10hipError_tPvRmT1_PNSt15iterator_traitsISK_E10value_typeET2_T3_PNSL_ISQ_E10value_typeET4_jRbjT5_SW_jjP12ihipStream_tbEUlT_E2_NS1_11comp_targetILNS1_3genE10ELNS1_11target_archE1200ELNS1_3gpuE4ELNS1_3repE0EEENS1_30default_config_static_selectorELNS0_4arch9wavefront6targetE0EEEvSK_,comdat
	.globl	_ZN7rocprim17ROCPRIM_400000_NS6detail17trampoline_kernelINS0_14default_configENS1_36segmented_radix_sort_config_selectorIblEEZNS1_25segmented_radix_sort_implIS3_Lb0EPKbPbPKlPlN2at6native12_GLOBAL__N_18offset_tEEE10hipError_tPvRmT1_PNSt15iterator_traitsISK_E10value_typeET2_T3_PNSL_ISQ_E10value_typeET4_jRbjT5_SW_jjP12ihipStream_tbEUlT_E2_NS1_11comp_targetILNS1_3genE10ELNS1_11target_archE1200ELNS1_3gpuE4ELNS1_3repE0EEENS1_30default_config_static_selectorELNS0_4arch9wavefront6targetE0EEEvSK_ ; -- Begin function _ZN7rocprim17ROCPRIM_400000_NS6detail17trampoline_kernelINS0_14default_configENS1_36segmented_radix_sort_config_selectorIblEEZNS1_25segmented_radix_sort_implIS3_Lb0EPKbPbPKlPlN2at6native12_GLOBAL__N_18offset_tEEE10hipError_tPvRmT1_PNSt15iterator_traitsISK_E10value_typeET2_T3_PNSL_ISQ_E10value_typeET4_jRbjT5_SW_jjP12ihipStream_tbEUlT_E2_NS1_11comp_targetILNS1_3genE10ELNS1_11target_archE1200ELNS1_3gpuE4ELNS1_3repE0EEENS1_30default_config_static_selectorELNS0_4arch9wavefront6targetE0EEEvSK_
	.p2align	8
	.type	_ZN7rocprim17ROCPRIM_400000_NS6detail17trampoline_kernelINS0_14default_configENS1_36segmented_radix_sort_config_selectorIblEEZNS1_25segmented_radix_sort_implIS3_Lb0EPKbPbPKlPlN2at6native12_GLOBAL__N_18offset_tEEE10hipError_tPvRmT1_PNSt15iterator_traitsISK_E10value_typeET2_T3_PNSL_ISQ_E10value_typeET4_jRbjT5_SW_jjP12ihipStream_tbEUlT_E2_NS1_11comp_targetILNS1_3genE10ELNS1_11target_archE1200ELNS1_3gpuE4ELNS1_3repE0EEENS1_30default_config_static_selectorELNS0_4arch9wavefront6targetE0EEEvSK_,@function
_ZN7rocprim17ROCPRIM_400000_NS6detail17trampoline_kernelINS0_14default_configENS1_36segmented_radix_sort_config_selectorIblEEZNS1_25segmented_radix_sort_implIS3_Lb0EPKbPbPKlPlN2at6native12_GLOBAL__N_18offset_tEEE10hipError_tPvRmT1_PNSt15iterator_traitsISK_E10value_typeET2_T3_PNSL_ISQ_E10value_typeET4_jRbjT5_SW_jjP12ihipStream_tbEUlT_E2_NS1_11comp_targetILNS1_3genE10ELNS1_11target_archE1200ELNS1_3gpuE4ELNS1_3repE0EEENS1_30default_config_static_selectorELNS0_4arch9wavefront6targetE0EEEvSK_: ; @_ZN7rocprim17ROCPRIM_400000_NS6detail17trampoline_kernelINS0_14default_configENS1_36segmented_radix_sort_config_selectorIblEEZNS1_25segmented_radix_sort_implIS3_Lb0EPKbPbPKlPlN2at6native12_GLOBAL__N_18offset_tEEE10hipError_tPvRmT1_PNSt15iterator_traitsISK_E10value_typeET2_T3_PNSL_ISQ_E10value_typeET4_jRbjT5_SW_jjP12ihipStream_tbEUlT_E2_NS1_11comp_targetILNS1_3genE10ELNS1_11target_archE1200ELNS1_3gpuE4ELNS1_3repE0EEENS1_30default_config_static_selectorELNS0_4arch9wavefront6targetE0EEEvSK_
; %bb.0:
	.section	.rodata,"a",@progbits
	.p2align	6, 0x0
	.amdhsa_kernel _ZN7rocprim17ROCPRIM_400000_NS6detail17trampoline_kernelINS0_14default_configENS1_36segmented_radix_sort_config_selectorIblEEZNS1_25segmented_radix_sort_implIS3_Lb0EPKbPbPKlPlN2at6native12_GLOBAL__N_18offset_tEEE10hipError_tPvRmT1_PNSt15iterator_traitsISK_E10value_typeET2_T3_PNSL_ISQ_E10value_typeET4_jRbjT5_SW_jjP12ihipStream_tbEUlT_E2_NS1_11comp_targetILNS1_3genE10ELNS1_11target_archE1200ELNS1_3gpuE4ELNS1_3repE0EEENS1_30default_config_static_selectorELNS0_4arch9wavefront6targetE0EEEvSK_
		.amdhsa_group_segment_fixed_size 0
		.amdhsa_private_segment_fixed_size 0
		.amdhsa_kernarg_size 80
		.amdhsa_user_sgpr_count 2
		.amdhsa_user_sgpr_dispatch_ptr 0
		.amdhsa_user_sgpr_queue_ptr 0
		.amdhsa_user_sgpr_kernarg_segment_ptr 1
		.amdhsa_user_sgpr_dispatch_id 0
		.amdhsa_user_sgpr_kernarg_preload_length 0
		.amdhsa_user_sgpr_kernarg_preload_offset 0
		.amdhsa_user_sgpr_private_segment_size 0
		.amdhsa_wavefront_size32 1
		.amdhsa_uses_dynamic_stack 0
		.amdhsa_enable_private_segment 0
		.amdhsa_system_sgpr_workgroup_id_x 1
		.amdhsa_system_sgpr_workgroup_id_y 0
		.amdhsa_system_sgpr_workgroup_id_z 0
		.amdhsa_system_sgpr_workgroup_info 0
		.amdhsa_system_vgpr_workitem_id 0
		.amdhsa_next_free_vgpr 1
		.amdhsa_next_free_sgpr 1
		.amdhsa_named_barrier_count 0
		.amdhsa_reserve_vcc 0
		.amdhsa_float_round_mode_32 0
		.amdhsa_float_round_mode_16_64 0
		.amdhsa_float_denorm_mode_32 3
		.amdhsa_float_denorm_mode_16_64 3
		.amdhsa_fp16_overflow 0
		.amdhsa_memory_ordered 1
		.amdhsa_forward_progress 1
		.amdhsa_inst_pref_size 0
		.amdhsa_round_robin_scheduling 0
		.amdhsa_exception_fp_ieee_invalid_op 0
		.amdhsa_exception_fp_denorm_src 0
		.amdhsa_exception_fp_ieee_div_zero 0
		.amdhsa_exception_fp_ieee_overflow 0
		.amdhsa_exception_fp_ieee_underflow 0
		.amdhsa_exception_fp_ieee_inexact 0
		.amdhsa_exception_int_div_zero 0
	.end_amdhsa_kernel
	.section	.text._ZN7rocprim17ROCPRIM_400000_NS6detail17trampoline_kernelINS0_14default_configENS1_36segmented_radix_sort_config_selectorIblEEZNS1_25segmented_radix_sort_implIS3_Lb0EPKbPbPKlPlN2at6native12_GLOBAL__N_18offset_tEEE10hipError_tPvRmT1_PNSt15iterator_traitsISK_E10value_typeET2_T3_PNSL_ISQ_E10value_typeET4_jRbjT5_SW_jjP12ihipStream_tbEUlT_E2_NS1_11comp_targetILNS1_3genE10ELNS1_11target_archE1200ELNS1_3gpuE4ELNS1_3repE0EEENS1_30default_config_static_selectorELNS0_4arch9wavefront6targetE0EEEvSK_,"axG",@progbits,_ZN7rocprim17ROCPRIM_400000_NS6detail17trampoline_kernelINS0_14default_configENS1_36segmented_radix_sort_config_selectorIblEEZNS1_25segmented_radix_sort_implIS3_Lb0EPKbPbPKlPlN2at6native12_GLOBAL__N_18offset_tEEE10hipError_tPvRmT1_PNSt15iterator_traitsISK_E10value_typeET2_T3_PNSL_ISQ_E10value_typeET4_jRbjT5_SW_jjP12ihipStream_tbEUlT_E2_NS1_11comp_targetILNS1_3genE10ELNS1_11target_archE1200ELNS1_3gpuE4ELNS1_3repE0EEENS1_30default_config_static_selectorELNS0_4arch9wavefront6targetE0EEEvSK_,comdat
.Lfunc_end1661:
	.size	_ZN7rocprim17ROCPRIM_400000_NS6detail17trampoline_kernelINS0_14default_configENS1_36segmented_radix_sort_config_selectorIblEEZNS1_25segmented_radix_sort_implIS3_Lb0EPKbPbPKlPlN2at6native12_GLOBAL__N_18offset_tEEE10hipError_tPvRmT1_PNSt15iterator_traitsISK_E10value_typeET2_T3_PNSL_ISQ_E10value_typeET4_jRbjT5_SW_jjP12ihipStream_tbEUlT_E2_NS1_11comp_targetILNS1_3genE10ELNS1_11target_archE1200ELNS1_3gpuE4ELNS1_3repE0EEENS1_30default_config_static_selectorELNS0_4arch9wavefront6targetE0EEEvSK_, .Lfunc_end1661-_ZN7rocprim17ROCPRIM_400000_NS6detail17trampoline_kernelINS0_14default_configENS1_36segmented_radix_sort_config_selectorIblEEZNS1_25segmented_radix_sort_implIS3_Lb0EPKbPbPKlPlN2at6native12_GLOBAL__N_18offset_tEEE10hipError_tPvRmT1_PNSt15iterator_traitsISK_E10value_typeET2_T3_PNSL_ISQ_E10value_typeET4_jRbjT5_SW_jjP12ihipStream_tbEUlT_E2_NS1_11comp_targetILNS1_3genE10ELNS1_11target_archE1200ELNS1_3gpuE4ELNS1_3repE0EEENS1_30default_config_static_selectorELNS0_4arch9wavefront6targetE0EEEvSK_
                                        ; -- End function
	.set _ZN7rocprim17ROCPRIM_400000_NS6detail17trampoline_kernelINS0_14default_configENS1_36segmented_radix_sort_config_selectorIblEEZNS1_25segmented_radix_sort_implIS3_Lb0EPKbPbPKlPlN2at6native12_GLOBAL__N_18offset_tEEE10hipError_tPvRmT1_PNSt15iterator_traitsISK_E10value_typeET2_T3_PNSL_ISQ_E10value_typeET4_jRbjT5_SW_jjP12ihipStream_tbEUlT_E2_NS1_11comp_targetILNS1_3genE10ELNS1_11target_archE1200ELNS1_3gpuE4ELNS1_3repE0EEENS1_30default_config_static_selectorELNS0_4arch9wavefront6targetE0EEEvSK_.num_vgpr, 0
	.set _ZN7rocprim17ROCPRIM_400000_NS6detail17trampoline_kernelINS0_14default_configENS1_36segmented_radix_sort_config_selectorIblEEZNS1_25segmented_radix_sort_implIS3_Lb0EPKbPbPKlPlN2at6native12_GLOBAL__N_18offset_tEEE10hipError_tPvRmT1_PNSt15iterator_traitsISK_E10value_typeET2_T3_PNSL_ISQ_E10value_typeET4_jRbjT5_SW_jjP12ihipStream_tbEUlT_E2_NS1_11comp_targetILNS1_3genE10ELNS1_11target_archE1200ELNS1_3gpuE4ELNS1_3repE0EEENS1_30default_config_static_selectorELNS0_4arch9wavefront6targetE0EEEvSK_.num_agpr, 0
	.set _ZN7rocprim17ROCPRIM_400000_NS6detail17trampoline_kernelINS0_14default_configENS1_36segmented_radix_sort_config_selectorIblEEZNS1_25segmented_radix_sort_implIS3_Lb0EPKbPbPKlPlN2at6native12_GLOBAL__N_18offset_tEEE10hipError_tPvRmT1_PNSt15iterator_traitsISK_E10value_typeET2_T3_PNSL_ISQ_E10value_typeET4_jRbjT5_SW_jjP12ihipStream_tbEUlT_E2_NS1_11comp_targetILNS1_3genE10ELNS1_11target_archE1200ELNS1_3gpuE4ELNS1_3repE0EEENS1_30default_config_static_selectorELNS0_4arch9wavefront6targetE0EEEvSK_.numbered_sgpr, 0
	.set _ZN7rocprim17ROCPRIM_400000_NS6detail17trampoline_kernelINS0_14default_configENS1_36segmented_radix_sort_config_selectorIblEEZNS1_25segmented_radix_sort_implIS3_Lb0EPKbPbPKlPlN2at6native12_GLOBAL__N_18offset_tEEE10hipError_tPvRmT1_PNSt15iterator_traitsISK_E10value_typeET2_T3_PNSL_ISQ_E10value_typeET4_jRbjT5_SW_jjP12ihipStream_tbEUlT_E2_NS1_11comp_targetILNS1_3genE10ELNS1_11target_archE1200ELNS1_3gpuE4ELNS1_3repE0EEENS1_30default_config_static_selectorELNS0_4arch9wavefront6targetE0EEEvSK_.num_named_barrier, 0
	.set _ZN7rocprim17ROCPRIM_400000_NS6detail17trampoline_kernelINS0_14default_configENS1_36segmented_radix_sort_config_selectorIblEEZNS1_25segmented_radix_sort_implIS3_Lb0EPKbPbPKlPlN2at6native12_GLOBAL__N_18offset_tEEE10hipError_tPvRmT1_PNSt15iterator_traitsISK_E10value_typeET2_T3_PNSL_ISQ_E10value_typeET4_jRbjT5_SW_jjP12ihipStream_tbEUlT_E2_NS1_11comp_targetILNS1_3genE10ELNS1_11target_archE1200ELNS1_3gpuE4ELNS1_3repE0EEENS1_30default_config_static_selectorELNS0_4arch9wavefront6targetE0EEEvSK_.private_seg_size, 0
	.set _ZN7rocprim17ROCPRIM_400000_NS6detail17trampoline_kernelINS0_14default_configENS1_36segmented_radix_sort_config_selectorIblEEZNS1_25segmented_radix_sort_implIS3_Lb0EPKbPbPKlPlN2at6native12_GLOBAL__N_18offset_tEEE10hipError_tPvRmT1_PNSt15iterator_traitsISK_E10value_typeET2_T3_PNSL_ISQ_E10value_typeET4_jRbjT5_SW_jjP12ihipStream_tbEUlT_E2_NS1_11comp_targetILNS1_3genE10ELNS1_11target_archE1200ELNS1_3gpuE4ELNS1_3repE0EEENS1_30default_config_static_selectorELNS0_4arch9wavefront6targetE0EEEvSK_.uses_vcc, 0
	.set _ZN7rocprim17ROCPRIM_400000_NS6detail17trampoline_kernelINS0_14default_configENS1_36segmented_radix_sort_config_selectorIblEEZNS1_25segmented_radix_sort_implIS3_Lb0EPKbPbPKlPlN2at6native12_GLOBAL__N_18offset_tEEE10hipError_tPvRmT1_PNSt15iterator_traitsISK_E10value_typeET2_T3_PNSL_ISQ_E10value_typeET4_jRbjT5_SW_jjP12ihipStream_tbEUlT_E2_NS1_11comp_targetILNS1_3genE10ELNS1_11target_archE1200ELNS1_3gpuE4ELNS1_3repE0EEENS1_30default_config_static_selectorELNS0_4arch9wavefront6targetE0EEEvSK_.uses_flat_scratch, 0
	.set _ZN7rocprim17ROCPRIM_400000_NS6detail17trampoline_kernelINS0_14default_configENS1_36segmented_radix_sort_config_selectorIblEEZNS1_25segmented_radix_sort_implIS3_Lb0EPKbPbPKlPlN2at6native12_GLOBAL__N_18offset_tEEE10hipError_tPvRmT1_PNSt15iterator_traitsISK_E10value_typeET2_T3_PNSL_ISQ_E10value_typeET4_jRbjT5_SW_jjP12ihipStream_tbEUlT_E2_NS1_11comp_targetILNS1_3genE10ELNS1_11target_archE1200ELNS1_3gpuE4ELNS1_3repE0EEENS1_30default_config_static_selectorELNS0_4arch9wavefront6targetE0EEEvSK_.has_dyn_sized_stack, 0
	.set _ZN7rocprim17ROCPRIM_400000_NS6detail17trampoline_kernelINS0_14default_configENS1_36segmented_radix_sort_config_selectorIblEEZNS1_25segmented_radix_sort_implIS3_Lb0EPKbPbPKlPlN2at6native12_GLOBAL__N_18offset_tEEE10hipError_tPvRmT1_PNSt15iterator_traitsISK_E10value_typeET2_T3_PNSL_ISQ_E10value_typeET4_jRbjT5_SW_jjP12ihipStream_tbEUlT_E2_NS1_11comp_targetILNS1_3genE10ELNS1_11target_archE1200ELNS1_3gpuE4ELNS1_3repE0EEENS1_30default_config_static_selectorELNS0_4arch9wavefront6targetE0EEEvSK_.has_recursion, 0
	.set _ZN7rocprim17ROCPRIM_400000_NS6detail17trampoline_kernelINS0_14default_configENS1_36segmented_radix_sort_config_selectorIblEEZNS1_25segmented_radix_sort_implIS3_Lb0EPKbPbPKlPlN2at6native12_GLOBAL__N_18offset_tEEE10hipError_tPvRmT1_PNSt15iterator_traitsISK_E10value_typeET2_T3_PNSL_ISQ_E10value_typeET4_jRbjT5_SW_jjP12ihipStream_tbEUlT_E2_NS1_11comp_targetILNS1_3genE10ELNS1_11target_archE1200ELNS1_3gpuE4ELNS1_3repE0EEENS1_30default_config_static_selectorELNS0_4arch9wavefront6targetE0EEEvSK_.has_indirect_call, 0
	.section	.AMDGPU.csdata,"",@progbits
; Kernel info:
; codeLenInByte = 0
; TotalNumSgprs: 0
; NumVgprs: 0
; ScratchSize: 0
; MemoryBound: 0
; FloatMode: 240
; IeeeMode: 1
; LDSByteSize: 0 bytes/workgroup (compile time only)
; SGPRBlocks: 0
; VGPRBlocks: 0
; NumSGPRsForWavesPerEU: 1
; NumVGPRsForWavesPerEU: 1
; NamedBarCnt: 0
; Occupancy: 16
; WaveLimiterHint : 0
; COMPUTE_PGM_RSRC2:SCRATCH_EN: 0
; COMPUTE_PGM_RSRC2:USER_SGPR: 2
; COMPUTE_PGM_RSRC2:TRAP_HANDLER: 0
; COMPUTE_PGM_RSRC2:TGID_X_EN: 1
; COMPUTE_PGM_RSRC2:TGID_Y_EN: 0
; COMPUTE_PGM_RSRC2:TGID_Z_EN: 0
; COMPUTE_PGM_RSRC2:TIDIG_COMP_CNT: 0
	.section	.text._ZN7rocprim17ROCPRIM_400000_NS6detail17trampoline_kernelINS0_14default_configENS1_36segmented_radix_sort_config_selectorIblEEZNS1_25segmented_radix_sort_implIS3_Lb0EPKbPbPKlPlN2at6native12_GLOBAL__N_18offset_tEEE10hipError_tPvRmT1_PNSt15iterator_traitsISK_E10value_typeET2_T3_PNSL_ISQ_E10value_typeET4_jRbjT5_SW_jjP12ihipStream_tbEUlT_E2_NS1_11comp_targetILNS1_3genE9ELNS1_11target_archE1100ELNS1_3gpuE3ELNS1_3repE0EEENS1_30default_config_static_selectorELNS0_4arch9wavefront6targetE0EEEvSK_,"axG",@progbits,_ZN7rocprim17ROCPRIM_400000_NS6detail17trampoline_kernelINS0_14default_configENS1_36segmented_radix_sort_config_selectorIblEEZNS1_25segmented_radix_sort_implIS3_Lb0EPKbPbPKlPlN2at6native12_GLOBAL__N_18offset_tEEE10hipError_tPvRmT1_PNSt15iterator_traitsISK_E10value_typeET2_T3_PNSL_ISQ_E10value_typeET4_jRbjT5_SW_jjP12ihipStream_tbEUlT_E2_NS1_11comp_targetILNS1_3genE9ELNS1_11target_archE1100ELNS1_3gpuE3ELNS1_3repE0EEENS1_30default_config_static_selectorELNS0_4arch9wavefront6targetE0EEEvSK_,comdat
	.globl	_ZN7rocprim17ROCPRIM_400000_NS6detail17trampoline_kernelINS0_14default_configENS1_36segmented_radix_sort_config_selectorIblEEZNS1_25segmented_radix_sort_implIS3_Lb0EPKbPbPKlPlN2at6native12_GLOBAL__N_18offset_tEEE10hipError_tPvRmT1_PNSt15iterator_traitsISK_E10value_typeET2_T3_PNSL_ISQ_E10value_typeET4_jRbjT5_SW_jjP12ihipStream_tbEUlT_E2_NS1_11comp_targetILNS1_3genE9ELNS1_11target_archE1100ELNS1_3gpuE3ELNS1_3repE0EEENS1_30default_config_static_selectorELNS0_4arch9wavefront6targetE0EEEvSK_ ; -- Begin function _ZN7rocprim17ROCPRIM_400000_NS6detail17trampoline_kernelINS0_14default_configENS1_36segmented_radix_sort_config_selectorIblEEZNS1_25segmented_radix_sort_implIS3_Lb0EPKbPbPKlPlN2at6native12_GLOBAL__N_18offset_tEEE10hipError_tPvRmT1_PNSt15iterator_traitsISK_E10value_typeET2_T3_PNSL_ISQ_E10value_typeET4_jRbjT5_SW_jjP12ihipStream_tbEUlT_E2_NS1_11comp_targetILNS1_3genE9ELNS1_11target_archE1100ELNS1_3gpuE3ELNS1_3repE0EEENS1_30default_config_static_selectorELNS0_4arch9wavefront6targetE0EEEvSK_
	.p2align	8
	.type	_ZN7rocprim17ROCPRIM_400000_NS6detail17trampoline_kernelINS0_14default_configENS1_36segmented_radix_sort_config_selectorIblEEZNS1_25segmented_radix_sort_implIS3_Lb0EPKbPbPKlPlN2at6native12_GLOBAL__N_18offset_tEEE10hipError_tPvRmT1_PNSt15iterator_traitsISK_E10value_typeET2_T3_PNSL_ISQ_E10value_typeET4_jRbjT5_SW_jjP12ihipStream_tbEUlT_E2_NS1_11comp_targetILNS1_3genE9ELNS1_11target_archE1100ELNS1_3gpuE3ELNS1_3repE0EEENS1_30default_config_static_selectorELNS0_4arch9wavefront6targetE0EEEvSK_,@function
_ZN7rocprim17ROCPRIM_400000_NS6detail17trampoline_kernelINS0_14default_configENS1_36segmented_radix_sort_config_selectorIblEEZNS1_25segmented_radix_sort_implIS3_Lb0EPKbPbPKlPlN2at6native12_GLOBAL__N_18offset_tEEE10hipError_tPvRmT1_PNSt15iterator_traitsISK_E10value_typeET2_T3_PNSL_ISQ_E10value_typeET4_jRbjT5_SW_jjP12ihipStream_tbEUlT_E2_NS1_11comp_targetILNS1_3genE9ELNS1_11target_archE1100ELNS1_3gpuE3ELNS1_3repE0EEENS1_30default_config_static_selectorELNS0_4arch9wavefront6targetE0EEEvSK_: ; @_ZN7rocprim17ROCPRIM_400000_NS6detail17trampoline_kernelINS0_14default_configENS1_36segmented_radix_sort_config_selectorIblEEZNS1_25segmented_radix_sort_implIS3_Lb0EPKbPbPKlPlN2at6native12_GLOBAL__N_18offset_tEEE10hipError_tPvRmT1_PNSt15iterator_traitsISK_E10value_typeET2_T3_PNSL_ISQ_E10value_typeET4_jRbjT5_SW_jjP12ihipStream_tbEUlT_E2_NS1_11comp_targetILNS1_3genE9ELNS1_11target_archE1100ELNS1_3gpuE3ELNS1_3repE0EEENS1_30default_config_static_selectorELNS0_4arch9wavefront6targetE0EEEvSK_
; %bb.0:
	.section	.rodata,"a",@progbits
	.p2align	6, 0x0
	.amdhsa_kernel _ZN7rocprim17ROCPRIM_400000_NS6detail17trampoline_kernelINS0_14default_configENS1_36segmented_radix_sort_config_selectorIblEEZNS1_25segmented_radix_sort_implIS3_Lb0EPKbPbPKlPlN2at6native12_GLOBAL__N_18offset_tEEE10hipError_tPvRmT1_PNSt15iterator_traitsISK_E10value_typeET2_T3_PNSL_ISQ_E10value_typeET4_jRbjT5_SW_jjP12ihipStream_tbEUlT_E2_NS1_11comp_targetILNS1_3genE9ELNS1_11target_archE1100ELNS1_3gpuE3ELNS1_3repE0EEENS1_30default_config_static_selectorELNS0_4arch9wavefront6targetE0EEEvSK_
		.amdhsa_group_segment_fixed_size 0
		.amdhsa_private_segment_fixed_size 0
		.amdhsa_kernarg_size 80
		.amdhsa_user_sgpr_count 2
		.amdhsa_user_sgpr_dispatch_ptr 0
		.amdhsa_user_sgpr_queue_ptr 0
		.amdhsa_user_sgpr_kernarg_segment_ptr 1
		.amdhsa_user_sgpr_dispatch_id 0
		.amdhsa_user_sgpr_kernarg_preload_length 0
		.amdhsa_user_sgpr_kernarg_preload_offset 0
		.amdhsa_user_sgpr_private_segment_size 0
		.amdhsa_wavefront_size32 1
		.amdhsa_uses_dynamic_stack 0
		.amdhsa_enable_private_segment 0
		.amdhsa_system_sgpr_workgroup_id_x 1
		.amdhsa_system_sgpr_workgroup_id_y 0
		.amdhsa_system_sgpr_workgroup_id_z 0
		.amdhsa_system_sgpr_workgroup_info 0
		.amdhsa_system_vgpr_workitem_id 0
		.amdhsa_next_free_vgpr 1
		.amdhsa_next_free_sgpr 1
		.amdhsa_named_barrier_count 0
		.amdhsa_reserve_vcc 0
		.amdhsa_float_round_mode_32 0
		.amdhsa_float_round_mode_16_64 0
		.amdhsa_float_denorm_mode_32 3
		.amdhsa_float_denorm_mode_16_64 3
		.amdhsa_fp16_overflow 0
		.amdhsa_memory_ordered 1
		.amdhsa_forward_progress 1
		.amdhsa_inst_pref_size 0
		.amdhsa_round_robin_scheduling 0
		.amdhsa_exception_fp_ieee_invalid_op 0
		.amdhsa_exception_fp_denorm_src 0
		.amdhsa_exception_fp_ieee_div_zero 0
		.amdhsa_exception_fp_ieee_overflow 0
		.amdhsa_exception_fp_ieee_underflow 0
		.amdhsa_exception_fp_ieee_inexact 0
		.amdhsa_exception_int_div_zero 0
	.end_amdhsa_kernel
	.section	.text._ZN7rocprim17ROCPRIM_400000_NS6detail17trampoline_kernelINS0_14default_configENS1_36segmented_radix_sort_config_selectorIblEEZNS1_25segmented_radix_sort_implIS3_Lb0EPKbPbPKlPlN2at6native12_GLOBAL__N_18offset_tEEE10hipError_tPvRmT1_PNSt15iterator_traitsISK_E10value_typeET2_T3_PNSL_ISQ_E10value_typeET4_jRbjT5_SW_jjP12ihipStream_tbEUlT_E2_NS1_11comp_targetILNS1_3genE9ELNS1_11target_archE1100ELNS1_3gpuE3ELNS1_3repE0EEENS1_30default_config_static_selectorELNS0_4arch9wavefront6targetE0EEEvSK_,"axG",@progbits,_ZN7rocprim17ROCPRIM_400000_NS6detail17trampoline_kernelINS0_14default_configENS1_36segmented_radix_sort_config_selectorIblEEZNS1_25segmented_radix_sort_implIS3_Lb0EPKbPbPKlPlN2at6native12_GLOBAL__N_18offset_tEEE10hipError_tPvRmT1_PNSt15iterator_traitsISK_E10value_typeET2_T3_PNSL_ISQ_E10value_typeET4_jRbjT5_SW_jjP12ihipStream_tbEUlT_E2_NS1_11comp_targetILNS1_3genE9ELNS1_11target_archE1100ELNS1_3gpuE3ELNS1_3repE0EEENS1_30default_config_static_selectorELNS0_4arch9wavefront6targetE0EEEvSK_,comdat
.Lfunc_end1662:
	.size	_ZN7rocprim17ROCPRIM_400000_NS6detail17trampoline_kernelINS0_14default_configENS1_36segmented_radix_sort_config_selectorIblEEZNS1_25segmented_radix_sort_implIS3_Lb0EPKbPbPKlPlN2at6native12_GLOBAL__N_18offset_tEEE10hipError_tPvRmT1_PNSt15iterator_traitsISK_E10value_typeET2_T3_PNSL_ISQ_E10value_typeET4_jRbjT5_SW_jjP12ihipStream_tbEUlT_E2_NS1_11comp_targetILNS1_3genE9ELNS1_11target_archE1100ELNS1_3gpuE3ELNS1_3repE0EEENS1_30default_config_static_selectorELNS0_4arch9wavefront6targetE0EEEvSK_, .Lfunc_end1662-_ZN7rocprim17ROCPRIM_400000_NS6detail17trampoline_kernelINS0_14default_configENS1_36segmented_radix_sort_config_selectorIblEEZNS1_25segmented_radix_sort_implIS3_Lb0EPKbPbPKlPlN2at6native12_GLOBAL__N_18offset_tEEE10hipError_tPvRmT1_PNSt15iterator_traitsISK_E10value_typeET2_T3_PNSL_ISQ_E10value_typeET4_jRbjT5_SW_jjP12ihipStream_tbEUlT_E2_NS1_11comp_targetILNS1_3genE9ELNS1_11target_archE1100ELNS1_3gpuE3ELNS1_3repE0EEENS1_30default_config_static_selectorELNS0_4arch9wavefront6targetE0EEEvSK_
                                        ; -- End function
	.set _ZN7rocprim17ROCPRIM_400000_NS6detail17trampoline_kernelINS0_14default_configENS1_36segmented_radix_sort_config_selectorIblEEZNS1_25segmented_radix_sort_implIS3_Lb0EPKbPbPKlPlN2at6native12_GLOBAL__N_18offset_tEEE10hipError_tPvRmT1_PNSt15iterator_traitsISK_E10value_typeET2_T3_PNSL_ISQ_E10value_typeET4_jRbjT5_SW_jjP12ihipStream_tbEUlT_E2_NS1_11comp_targetILNS1_3genE9ELNS1_11target_archE1100ELNS1_3gpuE3ELNS1_3repE0EEENS1_30default_config_static_selectorELNS0_4arch9wavefront6targetE0EEEvSK_.num_vgpr, 0
	.set _ZN7rocprim17ROCPRIM_400000_NS6detail17trampoline_kernelINS0_14default_configENS1_36segmented_radix_sort_config_selectorIblEEZNS1_25segmented_radix_sort_implIS3_Lb0EPKbPbPKlPlN2at6native12_GLOBAL__N_18offset_tEEE10hipError_tPvRmT1_PNSt15iterator_traitsISK_E10value_typeET2_T3_PNSL_ISQ_E10value_typeET4_jRbjT5_SW_jjP12ihipStream_tbEUlT_E2_NS1_11comp_targetILNS1_3genE9ELNS1_11target_archE1100ELNS1_3gpuE3ELNS1_3repE0EEENS1_30default_config_static_selectorELNS0_4arch9wavefront6targetE0EEEvSK_.num_agpr, 0
	.set _ZN7rocprim17ROCPRIM_400000_NS6detail17trampoline_kernelINS0_14default_configENS1_36segmented_radix_sort_config_selectorIblEEZNS1_25segmented_radix_sort_implIS3_Lb0EPKbPbPKlPlN2at6native12_GLOBAL__N_18offset_tEEE10hipError_tPvRmT1_PNSt15iterator_traitsISK_E10value_typeET2_T3_PNSL_ISQ_E10value_typeET4_jRbjT5_SW_jjP12ihipStream_tbEUlT_E2_NS1_11comp_targetILNS1_3genE9ELNS1_11target_archE1100ELNS1_3gpuE3ELNS1_3repE0EEENS1_30default_config_static_selectorELNS0_4arch9wavefront6targetE0EEEvSK_.numbered_sgpr, 0
	.set _ZN7rocprim17ROCPRIM_400000_NS6detail17trampoline_kernelINS0_14default_configENS1_36segmented_radix_sort_config_selectorIblEEZNS1_25segmented_radix_sort_implIS3_Lb0EPKbPbPKlPlN2at6native12_GLOBAL__N_18offset_tEEE10hipError_tPvRmT1_PNSt15iterator_traitsISK_E10value_typeET2_T3_PNSL_ISQ_E10value_typeET4_jRbjT5_SW_jjP12ihipStream_tbEUlT_E2_NS1_11comp_targetILNS1_3genE9ELNS1_11target_archE1100ELNS1_3gpuE3ELNS1_3repE0EEENS1_30default_config_static_selectorELNS0_4arch9wavefront6targetE0EEEvSK_.num_named_barrier, 0
	.set _ZN7rocprim17ROCPRIM_400000_NS6detail17trampoline_kernelINS0_14default_configENS1_36segmented_radix_sort_config_selectorIblEEZNS1_25segmented_radix_sort_implIS3_Lb0EPKbPbPKlPlN2at6native12_GLOBAL__N_18offset_tEEE10hipError_tPvRmT1_PNSt15iterator_traitsISK_E10value_typeET2_T3_PNSL_ISQ_E10value_typeET4_jRbjT5_SW_jjP12ihipStream_tbEUlT_E2_NS1_11comp_targetILNS1_3genE9ELNS1_11target_archE1100ELNS1_3gpuE3ELNS1_3repE0EEENS1_30default_config_static_selectorELNS0_4arch9wavefront6targetE0EEEvSK_.private_seg_size, 0
	.set _ZN7rocprim17ROCPRIM_400000_NS6detail17trampoline_kernelINS0_14default_configENS1_36segmented_radix_sort_config_selectorIblEEZNS1_25segmented_radix_sort_implIS3_Lb0EPKbPbPKlPlN2at6native12_GLOBAL__N_18offset_tEEE10hipError_tPvRmT1_PNSt15iterator_traitsISK_E10value_typeET2_T3_PNSL_ISQ_E10value_typeET4_jRbjT5_SW_jjP12ihipStream_tbEUlT_E2_NS1_11comp_targetILNS1_3genE9ELNS1_11target_archE1100ELNS1_3gpuE3ELNS1_3repE0EEENS1_30default_config_static_selectorELNS0_4arch9wavefront6targetE0EEEvSK_.uses_vcc, 0
	.set _ZN7rocprim17ROCPRIM_400000_NS6detail17trampoline_kernelINS0_14default_configENS1_36segmented_radix_sort_config_selectorIblEEZNS1_25segmented_radix_sort_implIS3_Lb0EPKbPbPKlPlN2at6native12_GLOBAL__N_18offset_tEEE10hipError_tPvRmT1_PNSt15iterator_traitsISK_E10value_typeET2_T3_PNSL_ISQ_E10value_typeET4_jRbjT5_SW_jjP12ihipStream_tbEUlT_E2_NS1_11comp_targetILNS1_3genE9ELNS1_11target_archE1100ELNS1_3gpuE3ELNS1_3repE0EEENS1_30default_config_static_selectorELNS0_4arch9wavefront6targetE0EEEvSK_.uses_flat_scratch, 0
	.set _ZN7rocprim17ROCPRIM_400000_NS6detail17trampoline_kernelINS0_14default_configENS1_36segmented_radix_sort_config_selectorIblEEZNS1_25segmented_radix_sort_implIS3_Lb0EPKbPbPKlPlN2at6native12_GLOBAL__N_18offset_tEEE10hipError_tPvRmT1_PNSt15iterator_traitsISK_E10value_typeET2_T3_PNSL_ISQ_E10value_typeET4_jRbjT5_SW_jjP12ihipStream_tbEUlT_E2_NS1_11comp_targetILNS1_3genE9ELNS1_11target_archE1100ELNS1_3gpuE3ELNS1_3repE0EEENS1_30default_config_static_selectorELNS0_4arch9wavefront6targetE0EEEvSK_.has_dyn_sized_stack, 0
	.set _ZN7rocprim17ROCPRIM_400000_NS6detail17trampoline_kernelINS0_14default_configENS1_36segmented_radix_sort_config_selectorIblEEZNS1_25segmented_radix_sort_implIS3_Lb0EPKbPbPKlPlN2at6native12_GLOBAL__N_18offset_tEEE10hipError_tPvRmT1_PNSt15iterator_traitsISK_E10value_typeET2_T3_PNSL_ISQ_E10value_typeET4_jRbjT5_SW_jjP12ihipStream_tbEUlT_E2_NS1_11comp_targetILNS1_3genE9ELNS1_11target_archE1100ELNS1_3gpuE3ELNS1_3repE0EEENS1_30default_config_static_selectorELNS0_4arch9wavefront6targetE0EEEvSK_.has_recursion, 0
	.set _ZN7rocprim17ROCPRIM_400000_NS6detail17trampoline_kernelINS0_14default_configENS1_36segmented_radix_sort_config_selectorIblEEZNS1_25segmented_radix_sort_implIS3_Lb0EPKbPbPKlPlN2at6native12_GLOBAL__N_18offset_tEEE10hipError_tPvRmT1_PNSt15iterator_traitsISK_E10value_typeET2_T3_PNSL_ISQ_E10value_typeET4_jRbjT5_SW_jjP12ihipStream_tbEUlT_E2_NS1_11comp_targetILNS1_3genE9ELNS1_11target_archE1100ELNS1_3gpuE3ELNS1_3repE0EEENS1_30default_config_static_selectorELNS0_4arch9wavefront6targetE0EEEvSK_.has_indirect_call, 0
	.section	.AMDGPU.csdata,"",@progbits
; Kernel info:
; codeLenInByte = 0
; TotalNumSgprs: 0
; NumVgprs: 0
; ScratchSize: 0
; MemoryBound: 0
; FloatMode: 240
; IeeeMode: 1
; LDSByteSize: 0 bytes/workgroup (compile time only)
; SGPRBlocks: 0
; VGPRBlocks: 0
; NumSGPRsForWavesPerEU: 1
; NumVGPRsForWavesPerEU: 1
; NamedBarCnt: 0
; Occupancy: 16
; WaveLimiterHint : 0
; COMPUTE_PGM_RSRC2:SCRATCH_EN: 0
; COMPUTE_PGM_RSRC2:USER_SGPR: 2
; COMPUTE_PGM_RSRC2:TRAP_HANDLER: 0
; COMPUTE_PGM_RSRC2:TGID_X_EN: 1
; COMPUTE_PGM_RSRC2:TGID_Y_EN: 0
; COMPUTE_PGM_RSRC2:TGID_Z_EN: 0
; COMPUTE_PGM_RSRC2:TIDIG_COMP_CNT: 0
	.section	.text._ZN7rocprim17ROCPRIM_400000_NS6detail17trampoline_kernelINS0_14default_configENS1_36segmented_radix_sort_config_selectorIblEEZNS1_25segmented_radix_sort_implIS3_Lb0EPKbPbPKlPlN2at6native12_GLOBAL__N_18offset_tEEE10hipError_tPvRmT1_PNSt15iterator_traitsISK_E10value_typeET2_T3_PNSL_ISQ_E10value_typeET4_jRbjT5_SW_jjP12ihipStream_tbEUlT_E2_NS1_11comp_targetILNS1_3genE8ELNS1_11target_archE1030ELNS1_3gpuE2ELNS1_3repE0EEENS1_30default_config_static_selectorELNS0_4arch9wavefront6targetE0EEEvSK_,"axG",@progbits,_ZN7rocprim17ROCPRIM_400000_NS6detail17trampoline_kernelINS0_14default_configENS1_36segmented_radix_sort_config_selectorIblEEZNS1_25segmented_radix_sort_implIS3_Lb0EPKbPbPKlPlN2at6native12_GLOBAL__N_18offset_tEEE10hipError_tPvRmT1_PNSt15iterator_traitsISK_E10value_typeET2_T3_PNSL_ISQ_E10value_typeET4_jRbjT5_SW_jjP12ihipStream_tbEUlT_E2_NS1_11comp_targetILNS1_3genE8ELNS1_11target_archE1030ELNS1_3gpuE2ELNS1_3repE0EEENS1_30default_config_static_selectorELNS0_4arch9wavefront6targetE0EEEvSK_,comdat
	.globl	_ZN7rocprim17ROCPRIM_400000_NS6detail17trampoline_kernelINS0_14default_configENS1_36segmented_radix_sort_config_selectorIblEEZNS1_25segmented_radix_sort_implIS3_Lb0EPKbPbPKlPlN2at6native12_GLOBAL__N_18offset_tEEE10hipError_tPvRmT1_PNSt15iterator_traitsISK_E10value_typeET2_T3_PNSL_ISQ_E10value_typeET4_jRbjT5_SW_jjP12ihipStream_tbEUlT_E2_NS1_11comp_targetILNS1_3genE8ELNS1_11target_archE1030ELNS1_3gpuE2ELNS1_3repE0EEENS1_30default_config_static_selectorELNS0_4arch9wavefront6targetE0EEEvSK_ ; -- Begin function _ZN7rocprim17ROCPRIM_400000_NS6detail17trampoline_kernelINS0_14default_configENS1_36segmented_radix_sort_config_selectorIblEEZNS1_25segmented_radix_sort_implIS3_Lb0EPKbPbPKlPlN2at6native12_GLOBAL__N_18offset_tEEE10hipError_tPvRmT1_PNSt15iterator_traitsISK_E10value_typeET2_T3_PNSL_ISQ_E10value_typeET4_jRbjT5_SW_jjP12ihipStream_tbEUlT_E2_NS1_11comp_targetILNS1_3genE8ELNS1_11target_archE1030ELNS1_3gpuE2ELNS1_3repE0EEENS1_30default_config_static_selectorELNS0_4arch9wavefront6targetE0EEEvSK_
	.p2align	8
	.type	_ZN7rocprim17ROCPRIM_400000_NS6detail17trampoline_kernelINS0_14default_configENS1_36segmented_radix_sort_config_selectorIblEEZNS1_25segmented_radix_sort_implIS3_Lb0EPKbPbPKlPlN2at6native12_GLOBAL__N_18offset_tEEE10hipError_tPvRmT1_PNSt15iterator_traitsISK_E10value_typeET2_T3_PNSL_ISQ_E10value_typeET4_jRbjT5_SW_jjP12ihipStream_tbEUlT_E2_NS1_11comp_targetILNS1_3genE8ELNS1_11target_archE1030ELNS1_3gpuE2ELNS1_3repE0EEENS1_30default_config_static_selectorELNS0_4arch9wavefront6targetE0EEEvSK_,@function
_ZN7rocprim17ROCPRIM_400000_NS6detail17trampoline_kernelINS0_14default_configENS1_36segmented_radix_sort_config_selectorIblEEZNS1_25segmented_radix_sort_implIS3_Lb0EPKbPbPKlPlN2at6native12_GLOBAL__N_18offset_tEEE10hipError_tPvRmT1_PNSt15iterator_traitsISK_E10value_typeET2_T3_PNSL_ISQ_E10value_typeET4_jRbjT5_SW_jjP12ihipStream_tbEUlT_E2_NS1_11comp_targetILNS1_3genE8ELNS1_11target_archE1030ELNS1_3gpuE2ELNS1_3repE0EEENS1_30default_config_static_selectorELNS0_4arch9wavefront6targetE0EEEvSK_: ; @_ZN7rocprim17ROCPRIM_400000_NS6detail17trampoline_kernelINS0_14default_configENS1_36segmented_radix_sort_config_selectorIblEEZNS1_25segmented_radix_sort_implIS3_Lb0EPKbPbPKlPlN2at6native12_GLOBAL__N_18offset_tEEE10hipError_tPvRmT1_PNSt15iterator_traitsISK_E10value_typeET2_T3_PNSL_ISQ_E10value_typeET4_jRbjT5_SW_jjP12ihipStream_tbEUlT_E2_NS1_11comp_targetILNS1_3genE8ELNS1_11target_archE1030ELNS1_3gpuE2ELNS1_3repE0EEENS1_30default_config_static_selectorELNS0_4arch9wavefront6targetE0EEEvSK_
; %bb.0:
	.section	.rodata,"a",@progbits
	.p2align	6, 0x0
	.amdhsa_kernel _ZN7rocprim17ROCPRIM_400000_NS6detail17trampoline_kernelINS0_14default_configENS1_36segmented_radix_sort_config_selectorIblEEZNS1_25segmented_radix_sort_implIS3_Lb0EPKbPbPKlPlN2at6native12_GLOBAL__N_18offset_tEEE10hipError_tPvRmT1_PNSt15iterator_traitsISK_E10value_typeET2_T3_PNSL_ISQ_E10value_typeET4_jRbjT5_SW_jjP12ihipStream_tbEUlT_E2_NS1_11comp_targetILNS1_3genE8ELNS1_11target_archE1030ELNS1_3gpuE2ELNS1_3repE0EEENS1_30default_config_static_selectorELNS0_4arch9wavefront6targetE0EEEvSK_
		.amdhsa_group_segment_fixed_size 0
		.amdhsa_private_segment_fixed_size 0
		.amdhsa_kernarg_size 80
		.amdhsa_user_sgpr_count 2
		.amdhsa_user_sgpr_dispatch_ptr 0
		.amdhsa_user_sgpr_queue_ptr 0
		.amdhsa_user_sgpr_kernarg_segment_ptr 1
		.amdhsa_user_sgpr_dispatch_id 0
		.amdhsa_user_sgpr_kernarg_preload_length 0
		.amdhsa_user_sgpr_kernarg_preload_offset 0
		.amdhsa_user_sgpr_private_segment_size 0
		.amdhsa_wavefront_size32 1
		.amdhsa_uses_dynamic_stack 0
		.amdhsa_enable_private_segment 0
		.amdhsa_system_sgpr_workgroup_id_x 1
		.amdhsa_system_sgpr_workgroup_id_y 0
		.amdhsa_system_sgpr_workgroup_id_z 0
		.amdhsa_system_sgpr_workgroup_info 0
		.amdhsa_system_vgpr_workitem_id 0
		.amdhsa_next_free_vgpr 1
		.amdhsa_next_free_sgpr 1
		.amdhsa_named_barrier_count 0
		.amdhsa_reserve_vcc 0
		.amdhsa_float_round_mode_32 0
		.amdhsa_float_round_mode_16_64 0
		.amdhsa_float_denorm_mode_32 3
		.amdhsa_float_denorm_mode_16_64 3
		.amdhsa_fp16_overflow 0
		.amdhsa_memory_ordered 1
		.amdhsa_forward_progress 1
		.amdhsa_inst_pref_size 0
		.amdhsa_round_robin_scheduling 0
		.amdhsa_exception_fp_ieee_invalid_op 0
		.amdhsa_exception_fp_denorm_src 0
		.amdhsa_exception_fp_ieee_div_zero 0
		.amdhsa_exception_fp_ieee_overflow 0
		.amdhsa_exception_fp_ieee_underflow 0
		.amdhsa_exception_fp_ieee_inexact 0
		.amdhsa_exception_int_div_zero 0
	.end_amdhsa_kernel
	.section	.text._ZN7rocprim17ROCPRIM_400000_NS6detail17trampoline_kernelINS0_14default_configENS1_36segmented_radix_sort_config_selectorIblEEZNS1_25segmented_radix_sort_implIS3_Lb0EPKbPbPKlPlN2at6native12_GLOBAL__N_18offset_tEEE10hipError_tPvRmT1_PNSt15iterator_traitsISK_E10value_typeET2_T3_PNSL_ISQ_E10value_typeET4_jRbjT5_SW_jjP12ihipStream_tbEUlT_E2_NS1_11comp_targetILNS1_3genE8ELNS1_11target_archE1030ELNS1_3gpuE2ELNS1_3repE0EEENS1_30default_config_static_selectorELNS0_4arch9wavefront6targetE0EEEvSK_,"axG",@progbits,_ZN7rocprim17ROCPRIM_400000_NS6detail17trampoline_kernelINS0_14default_configENS1_36segmented_radix_sort_config_selectorIblEEZNS1_25segmented_radix_sort_implIS3_Lb0EPKbPbPKlPlN2at6native12_GLOBAL__N_18offset_tEEE10hipError_tPvRmT1_PNSt15iterator_traitsISK_E10value_typeET2_T3_PNSL_ISQ_E10value_typeET4_jRbjT5_SW_jjP12ihipStream_tbEUlT_E2_NS1_11comp_targetILNS1_3genE8ELNS1_11target_archE1030ELNS1_3gpuE2ELNS1_3repE0EEENS1_30default_config_static_selectorELNS0_4arch9wavefront6targetE0EEEvSK_,comdat
.Lfunc_end1663:
	.size	_ZN7rocprim17ROCPRIM_400000_NS6detail17trampoline_kernelINS0_14default_configENS1_36segmented_radix_sort_config_selectorIblEEZNS1_25segmented_radix_sort_implIS3_Lb0EPKbPbPKlPlN2at6native12_GLOBAL__N_18offset_tEEE10hipError_tPvRmT1_PNSt15iterator_traitsISK_E10value_typeET2_T3_PNSL_ISQ_E10value_typeET4_jRbjT5_SW_jjP12ihipStream_tbEUlT_E2_NS1_11comp_targetILNS1_3genE8ELNS1_11target_archE1030ELNS1_3gpuE2ELNS1_3repE0EEENS1_30default_config_static_selectorELNS0_4arch9wavefront6targetE0EEEvSK_, .Lfunc_end1663-_ZN7rocprim17ROCPRIM_400000_NS6detail17trampoline_kernelINS0_14default_configENS1_36segmented_radix_sort_config_selectorIblEEZNS1_25segmented_radix_sort_implIS3_Lb0EPKbPbPKlPlN2at6native12_GLOBAL__N_18offset_tEEE10hipError_tPvRmT1_PNSt15iterator_traitsISK_E10value_typeET2_T3_PNSL_ISQ_E10value_typeET4_jRbjT5_SW_jjP12ihipStream_tbEUlT_E2_NS1_11comp_targetILNS1_3genE8ELNS1_11target_archE1030ELNS1_3gpuE2ELNS1_3repE0EEENS1_30default_config_static_selectorELNS0_4arch9wavefront6targetE0EEEvSK_
                                        ; -- End function
	.set _ZN7rocprim17ROCPRIM_400000_NS6detail17trampoline_kernelINS0_14default_configENS1_36segmented_radix_sort_config_selectorIblEEZNS1_25segmented_radix_sort_implIS3_Lb0EPKbPbPKlPlN2at6native12_GLOBAL__N_18offset_tEEE10hipError_tPvRmT1_PNSt15iterator_traitsISK_E10value_typeET2_T3_PNSL_ISQ_E10value_typeET4_jRbjT5_SW_jjP12ihipStream_tbEUlT_E2_NS1_11comp_targetILNS1_3genE8ELNS1_11target_archE1030ELNS1_3gpuE2ELNS1_3repE0EEENS1_30default_config_static_selectorELNS0_4arch9wavefront6targetE0EEEvSK_.num_vgpr, 0
	.set _ZN7rocprim17ROCPRIM_400000_NS6detail17trampoline_kernelINS0_14default_configENS1_36segmented_radix_sort_config_selectorIblEEZNS1_25segmented_radix_sort_implIS3_Lb0EPKbPbPKlPlN2at6native12_GLOBAL__N_18offset_tEEE10hipError_tPvRmT1_PNSt15iterator_traitsISK_E10value_typeET2_T3_PNSL_ISQ_E10value_typeET4_jRbjT5_SW_jjP12ihipStream_tbEUlT_E2_NS1_11comp_targetILNS1_3genE8ELNS1_11target_archE1030ELNS1_3gpuE2ELNS1_3repE0EEENS1_30default_config_static_selectorELNS0_4arch9wavefront6targetE0EEEvSK_.num_agpr, 0
	.set _ZN7rocprim17ROCPRIM_400000_NS6detail17trampoline_kernelINS0_14default_configENS1_36segmented_radix_sort_config_selectorIblEEZNS1_25segmented_radix_sort_implIS3_Lb0EPKbPbPKlPlN2at6native12_GLOBAL__N_18offset_tEEE10hipError_tPvRmT1_PNSt15iterator_traitsISK_E10value_typeET2_T3_PNSL_ISQ_E10value_typeET4_jRbjT5_SW_jjP12ihipStream_tbEUlT_E2_NS1_11comp_targetILNS1_3genE8ELNS1_11target_archE1030ELNS1_3gpuE2ELNS1_3repE0EEENS1_30default_config_static_selectorELNS0_4arch9wavefront6targetE0EEEvSK_.numbered_sgpr, 0
	.set _ZN7rocprim17ROCPRIM_400000_NS6detail17trampoline_kernelINS0_14default_configENS1_36segmented_radix_sort_config_selectorIblEEZNS1_25segmented_radix_sort_implIS3_Lb0EPKbPbPKlPlN2at6native12_GLOBAL__N_18offset_tEEE10hipError_tPvRmT1_PNSt15iterator_traitsISK_E10value_typeET2_T3_PNSL_ISQ_E10value_typeET4_jRbjT5_SW_jjP12ihipStream_tbEUlT_E2_NS1_11comp_targetILNS1_3genE8ELNS1_11target_archE1030ELNS1_3gpuE2ELNS1_3repE0EEENS1_30default_config_static_selectorELNS0_4arch9wavefront6targetE0EEEvSK_.num_named_barrier, 0
	.set _ZN7rocprim17ROCPRIM_400000_NS6detail17trampoline_kernelINS0_14default_configENS1_36segmented_radix_sort_config_selectorIblEEZNS1_25segmented_radix_sort_implIS3_Lb0EPKbPbPKlPlN2at6native12_GLOBAL__N_18offset_tEEE10hipError_tPvRmT1_PNSt15iterator_traitsISK_E10value_typeET2_T3_PNSL_ISQ_E10value_typeET4_jRbjT5_SW_jjP12ihipStream_tbEUlT_E2_NS1_11comp_targetILNS1_3genE8ELNS1_11target_archE1030ELNS1_3gpuE2ELNS1_3repE0EEENS1_30default_config_static_selectorELNS0_4arch9wavefront6targetE0EEEvSK_.private_seg_size, 0
	.set _ZN7rocprim17ROCPRIM_400000_NS6detail17trampoline_kernelINS0_14default_configENS1_36segmented_radix_sort_config_selectorIblEEZNS1_25segmented_radix_sort_implIS3_Lb0EPKbPbPKlPlN2at6native12_GLOBAL__N_18offset_tEEE10hipError_tPvRmT1_PNSt15iterator_traitsISK_E10value_typeET2_T3_PNSL_ISQ_E10value_typeET4_jRbjT5_SW_jjP12ihipStream_tbEUlT_E2_NS1_11comp_targetILNS1_3genE8ELNS1_11target_archE1030ELNS1_3gpuE2ELNS1_3repE0EEENS1_30default_config_static_selectorELNS0_4arch9wavefront6targetE0EEEvSK_.uses_vcc, 0
	.set _ZN7rocprim17ROCPRIM_400000_NS6detail17trampoline_kernelINS0_14default_configENS1_36segmented_radix_sort_config_selectorIblEEZNS1_25segmented_radix_sort_implIS3_Lb0EPKbPbPKlPlN2at6native12_GLOBAL__N_18offset_tEEE10hipError_tPvRmT1_PNSt15iterator_traitsISK_E10value_typeET2_T3_PNSL_ISQ_E10value_typeET4_jRbjT5_SW_jjP12ihipStream_tbEUlT_E2_NS1_11comp_targetILNS1_3genE8ELNS1_11target_archE1030ELNS1_3gpuE2ELNS1_3repE0EEENS1_30default_config_static_selectorELNS0_4arch9wavefront6targetE0EEEvSK_.uses_flat_scratch, 0
	.set _ZN7rocprim17ROCPRIM_400000_NS6detail17trampoline_kernelINS0_14default_configENS1_36segmented_radix_sort_config_selectorIblEEZNS1_25segmented_radix_sort_implIS3_Lb0EPKbPbPKlPlN2at6native12_GLOBAL__N_18offset_tEEE10hipError_tPvRmT1_PNSt15iterator_traitsISK_E10value_typeET2_T3_PNSL_ISQ_E10value_typeET4_jRbjT5_SW_jjP12ihipStream_tbEUlT_E2_NS1_11comp_targetILNS1_3genE8ELNS1_11target_archE1030ELNS1_3gpuE2ELNS1_3repE0EEENS1_30default_config_static_selectorELNS0_4arch9wavefront6targetE0EEEvSK_.has_dyn_sized_stack, 0
	.set _ZN7rocprim17ROCPRIM_400000_NS6detail17trampoline_kernelINS0_14default_configENS1_36segmented_radix_sort_config_selectorIblEEZNS1_25segmented_radix_sort_implIS3_Lb0EPKbPbPKlPlN2at6native12_GLOBAL__N_18offset_tEEE10hipError_tPvRmT1_PNSt15iterator_traitsISK_E10value_typeET2_T3_PNSL_ISQ_E10value_typeET4_jRbjT5_SW_jjP12ihipStream_tbEUlT_E2_NS1_11comp_targetILNS1_3genE8ELNS1_11target_archE1030ELNS1_3gpuE2ELNS1_3repE0EEENS1_30default_config_static_selectorELNS0_4arch9wavefront6targetE0EEEvSK_.has_recursion, 0
	.set _ZN7rocprim17ROCPRIM_400000_NS6detail17trampoline_kernelINS0_14default_configENS1_36segmented_radix_sort_config_selectorIblEEZNS1_25segmented_radix_sort_implIS3_Lb0EPKbPbPKlPlN2at6native12_GLOBAL__N_18offset_tEEE10hipError_tPvRmT1_PNSt15iterator_traitsISK_E10value_typeET2_T3_PNSL_ISQ_E10value_typeET4_jRbjT5_SW_jjP12ihipStream_tbEUlT_E2_NS1_11comp_targetILNS1_3genE8ELNS1_11target_archE1030ELNS1_3gpuE2ELNS1_3repE0EEENS1_30default_config_static_selectorELNS0_4arch9wavefront6targetE0EEEvSK_.has_indirect_call, 0
	.section	.AMDGPU.csdata,"",@progbits
; Kernel info:
; codeLenInByte = 0
; TotalNumSgprs: 0
; NumVgprs: 0
; ScratchSize: 0
; MemoryBound: 0
; FloatMode: 240
; IeeeMode: 1
; LDSByteSize: 0 bytes/workgroup (compile time only)
; SGPRBlocks: 0
; VGPRBlocks: 0
; NumSGPRsForWavesPerEU: 1
; NumVGPRsForWavesPerEU: 1
; NamedBarCnt: 0
; Occupancy: 16
; WaveLimiterHint : 0
; COMPUTE_PGM_RSRC2:SCRATCH_EN: 0
; COMPUTE_PGM_RSRC2:USER_SGPR: 2
; COMPUTE_PGM_RSRC2:TRAP_HANDLER: 0
; COMPUTE_PGM_RSRC2:TGID_X_EN: 1
; COMPUTE_PGM_RSRC2:TGID_Y_EN: 0
; COMPUTE_PGM_RSRC2:TGID_Z_EN: 0
; COMPUTE_PGM_RSRC2:TIDIG_COMP_CNT: 0
	.section	.text._ZN2at6native12_GLOBAL__N_123sort_postprocess_kernelIN3c104HalfEEEvPKT_PS5_PlPK15HIP_vector_typeIiLj2EEii,"axG",@progbits,_ZN2at6native12_GLOBAL__N_123sort_postprocess_kernelIN3c104HalfEEEvPKT_PS5_PlPK15HIP_vector_typeIiLj2EEii,comdat
	.globl	_ZN2at6native12_GLOBAL__N_123sort_postprocess_kernelIN3c104HalfEEEvPKT_PS5_PlPK15HIP_vector_typeIiLj2EEii ; -- Begin function _ZN2at6native12_GLOBAL__N_123sort_postprocess_kernelIN3c104HalfEEEvPKT_PS5_PlPK15HIP_vector_typeIiLj2EEii
	.p2align	8
	.type	_ZN2at6native12_GLOBAL__N_123sort_postprocess_kernelIN3c104HalfEEEvPKT_PS5_PlPK15HIP_vector_typeIiLj2EEii,@function
_ZN2at6native12_GLOBAL__N_123sort_postprocess_kernelIN3c104HalfEEEvPKT_PS5_PlPK15HIP_vector_typeIiLj2EEii: ; @_ZN2at6native12_GLOBAL__N_123sort_postprocess_kernelIN3c104HalfEEEvPKT_PS5_PlPK15HIP_vector_typeIiLj2EEii
; %bb.0:
	s_clause 0x1
	s_load_b32 s2, s[0:1], 0x34
	s_load_b64 s[4:5], s[0:1], 0x20
	s_bfe_u32 s7, ttmp6, 0x4000c
	s_and_b32 s6, ttmp6, 15
	s_add_co_i32 s7, s7, 1
	s_getreg_b32 s8, hwreg(HW_REG_IB_STS2, 6, 4)
	s_mul_i32 s7, ttmp9, s7
	s_mov_b32 s3, 0
	s_add_co_i32 s6, s6, s7
	s_cmp_eq_u32 s8, 0
	v_mov_b32_e32 v1, 0
	s_mov_b32 s19, s3
	s_cselect_b32 s18, ttmp9, s6
	s_mov_b32 s17, s3
	s_wait_kmcnt 0x0
	s_and_b32 s16, s2, 0xffff
	s_mul_i32 s14, s5, s4
	s_mul_u64 s[12:13], s[16:17], s[18:19]
	s_ashr_i32 s15, s14, 31
	v_add_nc_u64_e32 v[2:3], s[12:13], v[0:1]
	s_mov_b32 s2, exec_lo
	s_delay_alu instid0(VALU_DEP_1)
	v_cmpx_gt_i64_e64 s[14:15], v[2:3]
	s_cbranch_execz .LBB1664_3
; %bb.1:
	s_abs_i32 s17, s5
	s_add_nc_u64 s[20:21], s[0:1], 40
	s_cvt_f32_u32 s2, s17
	s_sub_co_i32 s19, 0, s17
	s_mul_i32 s18, s18, s16
	s_delay_alu instid0(SALU_CYCLE_1)
	v_rcp_iflag_f32_e32 v2, s2
	s_load_b32 s2, s[20:21], 0x0
	s_load_b256 s[4:11], s[0:1], 0x0
	s_wait_xcnt 0x0
	s_mov_b32 s1, s3
	v_nop
	s_delay_alu instid0(TRANS32_DEP_1) | instskip(SKIP_2) | instid1(SALU_CYCLE_3)
	v_readfirstlane_b32 s0, v2
	v_mov_b64_e32 v[2:3], v[0:1]
	s_mul_f32 s0, s0, 0x4f7ffffe
	s_cvt_u32_f32 s0, s0
	s_wait_kmcnt 0x0
	s_mul_i32 s2, s2, s16
	s_delay_alu instid0(SALU_CYCLE_1) | instskip(SKIP_2) | instid1(SALU_CYCLE_1)
	s_mul_i32 s19, s19, s0
	s_mov_b32 s16, s3
	s_mul_hi_u32 s19, s0, s19
	s_add_co_i32 s0, s0, s19
.LBB1664_2:                             ; =>This Inner Loop Header: Depth=1
	v_add_nc_u32_e32 v6, s18, v2
	v_add_nc_u64_e32 v[2:3], s[2:3], v[2:3]
	s_delay_alu instid0(VALU_DEP_2) | instskip(NEXT) | instid1(VALU_DEP_1)
	v_sub_nc_u32_e32 v0, 0, v6
	v_max_i32_e32 v0, v6, v0
	s_delay_alu instid0(VALU_DEP_1) | instskip(NEXT) | instid1(VALU_DEP_1)
	v_mul_u64_e32 v[4:5], s[0:1], v[0:1]
	v_mul_lo_u32 v4, v5, s17
	s_delay_alu instid0(VALU_DEP_1) | instskip(NEXT) | instid1(VALU_DEP_1)
	v_dual_sub_nc_u32 v0, v0, v4 :: v_dual_ashrrev_i32 v7, 31, v6
	v_subrev_nc_u32_e32 v4, s17, v0
	v_cmp_le_u32_e32 vcc_lo, s17, v0
	s_delay_alu instid0(VALU_DEP_2) | instskip(NEXT) | instid1(VALU_DEP_1)
	v_cndmask_b32_e32 v0, v0, v4, vcc_lo
	v_subrev_nc_u32_e32 v4, s17, v0
	v_cmp_le_u32_e32 vcc_lo, s17, v0
	s_delay_alu instid0(VALU_DEP_2) | instskip(NEXT) | instid1(VALU_DEP_1)
	v_dual_cndmask_b32 v0, v0, v4, vcc_lo :: v_dual_add_nc_u32 v4, v6, v7
	v_xor_b32_e32 v0, v0, v7
	s_delay_alu instid0(VALU_DEP_1) | instskip(NEXT) | instid1(VALU_DEP_1)
	v_sub_nc_u32_e32 v4, v4, v0
	v_dual_sub_nc_u32 v6, v0, v7 :: v_dual_ashrrev_i32 v5, 31, v4
	s_delay_alu instid0(VALU_DEP_1) | instskip(NEXT) | instid1(VALU_DEP_2)
	v_ashrrev_i32_e32 v7, 31, v6
	v_lshlrev_b64_e32 v[8:9], 3, v[4:5]
	s_delay_alu instid0(VALU_DEP_2) | instskip(SKIP_1) | instid1(VALU_DEP_3)
	v_lshlrev_b64_e32 v[10:11], 3, v[6:7]
	v_lshlrev_b64_e32 v[4:5], 1, v[4:5]
	v_add_nc_u64_e32 v[12:13], s[10:11], v[8:9]
	v_add_nc_u64_e32 v[8:9], s[8:9], v[8:9]
	s_delay_alu instid0(VALU_DEP_3) | instskip(SKIP_1) | instid1(VALU_DEP_4)
	v_add_nc_u64_e32 v[14:15], s[4:5], v[4:5]
	v_add_nc_u64_e32 v[4:5], s[6:7], v[4:5]
	;; [unrolled: 1-line block ×3, first 2 shown]
	s_delay_alu instid0(VALU_DEP_4) | instskip(NEXT) | instid1(VALU_DEP_3)
	v_add_nc_u64_e32 v[8:9], v[8:9], v[10:11]
	v_lshl_add_u64 v[4:5], v[6:7], 1, v[4:5]
	global_load_b32 v12, v[12:13], off offset:4
	s_wait_loadcnt 0x0
	s_wait_xcnt 0x0
	v_ashrrev_i32_e32 v13, 31, v12
	s_delay_alu instid0(VALU_DEP_1)
	v_lshl_add_u64 v[14:15], v[12:13], 1, v[14:15]
	global_load_u16 v0, v[14:15], off
	s_wait_xcnt 0x0
	v_add_nc_u64_e32 v[14:15], s[12:13], v[2:3]
	global_store_b64 v[8:9], v[12:13], off
	s_wait_loadcnt 0x0
	global_store_b16 v[4:5], v0, off
	v_cmp_le_i64_e32 vcc_lo, s[14:15], v[14:15]
	s_or_b32 s16, vcc_lo, s16
	s_wait_xcnt 0x0
	s_and_not1_b32 exec_lo, exec_lo, s16
	s_cbranch_execnz .LBB1664_2
.LBB1664_3:
	s_endpgm
	.section	.rodata,"a",@progbits
	.p2align	6, 0x0
	.amdhsa_kernel _ZN2at6native12_GLOBAL__N_123sort_postprocess_kernelIN3c104HalfEEEvPKT_PS5_PlPK15HIP_vector_typeIiLj2EEii
		.amdhsa_group_segment_fixed_size 0
		.amdhsa_private_segment_fixed_size 0
		.amdhsa_kernarg_size 296
		.amdhsa_user_sgpr_count 2
		.amdhsa_user_sgpr_dispatch_ptr 0
		.amdhsa_user_sgpr_queue_ptr 0
		.amdhsa_user_sgpr_kernarg_segment_ptr 1
		.amdhsa_user_sgpr_dispatch_id 0
		.amdhsa_user_sgpr_kernarg_preload_length 0
		.amdhsa_user_sgpr_kernarg_preload_offset 0
		.amdhsa_user_sgpr_private_segment_size 0
		.amdhsa_wavefront_size32 1
		.amdhsa_uses_dynamic_stack 0
		.amdhsa_enable_private_segment 0
		.amdhsa_system_sgpr_workgroup_id_x 1
		.amdhsa_system_sgpr_workgroup_id_y 0
		.amdhsa_system_sgpr_workgroup_id_z 0
		.amdhsa_system_sgpr_workgroup_info 0
		.amdhsa_system_vgpr_workitem_id 0
		.amdhsa_next_free_vgpr 16
		.amdhsa_next_free_sgpr 22
		.amdhsa_named_barrier_count 0
		.amdhsa_reserve_vcc 1
		.amdhsa_float_round_mode_32 0
		.amdhsa_float_round_mode_16_64 0
		.amdhsa_float_denorm_mode_32 3
		.amdhsa_float_denorm_mode_16_64 3
		.amdhsa_fp16_overflow 0
		.amdhsa_memory_ordered 1
		.amdhsa_forward_progress 1
		.amdhsa_inst_pref_size 5
		.amdhsa_round_robin_scheduling 0
		.amdhsa_exception_fp_ieee_invalid_op 0
		.amdhsa_exception_fp_denorm_src 0
		.amdhsa_exception_fp_ieee_div_zero 0
		.amdhsa_exception_fp_ieee_overflow 0
		.amdhsa_exception_fp_ieee_underflow 0
		.amdhsa_exception_fp_ieee_inexact 0
		.amdhsa_exception_int_div_zero 0
	.end_amdhsa_kernel
	.section	.text._ZN2at6native12_GLOBAL__N_123sort_postprocess_kernelIN3c104HalfEEEvPKT_PS5_PlPK15HIP_vector_typeIiLj2EEii,"axG",@progbits,_ZN2at6native12_GLOBAL__N_123sort_postprocess_kernelIN3c104HalfEEEvPKT_PS5_PlPK15HIP_vector_typeIiLj2EEii,comdat
.Lfunc_end1664:
	.size	_ZN2at6native12_GLOBAL__N_123sort_postprocess_kernelIN3c104HalfEEEvPKT_PS5_PlPK15HIP_vector_typeIiLj2EEii, .Lfunc_end1664-_ZN2at6native12_GLOBAL__N_123sort_postprocess_kernelIN3c104HalfEEEvPKT_PS5_PlPK15HIP_vector_typeIiLj2EEii
                                        ; -- End function
	.set _ZN2at6native12_GLOBAL__N_123sort_postprocess_kernelIN3c104HalfEEEvPKT_PS5_PlPK15HIP_vector_typeIiLj2EEii.num_vgpr, 16
	.set _ZN2at6native12_GLOBAL__N_123sort_postprocess_kernelIN3c104HalfEEEvPKT_PS5_PlPK15HIP_vector_typeIiLj2EEii.num_agpr, 0
	.set _ZN2at6native12_GLOBAL__N_123sort_postprocess_kernelIN3c104HalfEEEvPKT_PS5_PlPK15HIP_vector_typeIiLj2EEii.numbered_sgpr, 22
	.set _ZN2at6native12_GLOBAL__N_123sort_postprocess_kernelIN3c104HalfEEEvPKT_PS5_PlPK15HIP_vector_typeIiLj2EEii.num_named_barrier, 0
	.set _ZN2at6native12_GLOBAL__N_123sort_postprocess_kernelIN3c104HalfEEEvPKT_PS5_PlPK15HIP_vector_typeIiLj2EEii.private_seg_size, 0
	.set _ZN2at6native12_GLOBAL__N_123sort_postprocess_kernelIN3c104HalfEEEvPKT_PS5_PlPK15HIP_vector_typeIiLj2EEii.uses_vcc, 1
	.set _ZN2at6native12_GLOBAL__N_123sort_postprocess_kernelIN3c104HalfEEEvPKT_PS5_PlPK15HIP_vector_typeIiLj2EEii.uses_flat_scratch, 0
	.set _ZN2at6native12_GLOBAL__N_123sort_postprocess_kernelIN3c104HalfEEEvPKT_PS5_PlPK15HIP_vector_typeIiLj2EEii.has_dyn_sized_stack, 0
	.set _ZN2at6native12_GLOBAL__N_123sort_postprocess_kernelIN3c104HalfEEEvPKT_PS5_PlPK15HIP_vector_typeIiLj2EEii.has_recursion, 0
	.set _ZN2at6native12_GLOBAL__N_123sort_postprocess_kernelIN3c104HalfEEEvPKT_PS5_PlPK15HIP_vector_typeIiLj2EEii.has_indirect_call, 0
	.section	.AMDGPU.csdata,"",@progbits
; Kernel info:
; codeLenInByte = 516
; TotalNumSgprs: 24
; NumVgprs: 16
; ScratchSize: 0
; MemoryBound: 0
; FloatMode: 240
; IeeeMode: 1
; LDSByteSize: 0 bytes/workgroup (compile time only)
; SGPRBlocks: 0
; VGPRBlocks: 0
; NumSGPRsForWavesPerEU: 24
; NumVGPRsForWavesPerEU: 16
; NamedBarCnt: 0
; Occupancy: 16
; WaveLimiterHint : 1
; COMPUTE_PGM_RSRC2:SCRATCH_EN: 0
; COMPUTE_PGM_RSRC2:USER_SGPR: 2
; COMPUTE_PGM_RSRC2:TRAP_HANDLER: 0
; COMPUTE_PGM_RSRC2:TGID_X_EN: 1
; COMPUTE_PGM_RSRC2:TGID_Y_EN: 0
; COMPUTE_PGM_RSRC2:TGID_Z_EN: 0
; COMPUTE_PGM_RSRC2:TIDIG_COMP_CNT: 0
	.section	.text._ZN7rocprim17ROCPRIM_400000_NS6detail17trampoline_kernelINS0_13select_configILj256ELj13ELNS0_17block_load_methodE3ELS4_3ELS4_3ELNS0_20block_scan_algorithmE0ELj4294967295EEENS1_25partition_config_selectorILNS1_17partition_subalgoE4EjNS0_10empty_typeEbEEZZNS1_14partition_implILS8_4ELb0ES6_15HIP_vector_typeIjLj2EENS0_17counting_iteratorIjlEEPS9_SG_NS0_5tupleIJPjSI_NS0_16reverse_iteratorISI_EEEEENSH_IJSG_SG_SG_EEES9_SI_JZNS1_25segmented_radix_sort_implINS0_14default_configELb1EPK6__halfPSP_PKlPlN2at6native12_GLOBAL__N_18offset_tEEE10hipError_tPvRmT1_PNSt15iterator_traitsIS13_E10value_typeET2_T3_PNS14_IS19_E10value_typeET4_jRbjT5_S1F_jjP12ihipStream_tbEUljE_ZNSN_ISO_Lb1ESR_SS_SU_SV_SZ_EES10_S11_S12_S13_S17_S18_S19_S1C_S1D_jS1E_jS1F_S1F_jjS1H_bEUljE0_EEES10_S11_S12_S19_S1D_S1F_T6_T7_T9_mT8_S1H_bDpT10_ENKUlT_T0_E_clISt17integral_constantIbLb0EES1V_EEDaS1Q_S1R_EUlS1Q_E_NS1_11comp_targetILNS1_3genE0ELNS1_11target_archE4294967295ELNS1_3gpuE0ELNS1_3repE0EEENS1_30default_config_static_selectorELNS0_4arch9wavefront6targetE0EEEvS13_,"axG",@progbits,_ZN7rocprim17ROCPRIM_400000_NS6detail17trampoline_kernelINS0_13select_configILj256ELj13ELNS0_17block_load_methodE3ELS4_3ELS4_3ELNS0_20block_scan_algorithmE0ELj4294967295EEENS1_25partition_config_selectorILNS1_17partition_subalgoE4EjNS0_10empty_typeEbEEZZNS1_14partition_implILS8_4ELb0ES6_15HIP_vector_typeIjLj2EENS0_17counting_iteratorIjlEEPS9_SG_NS0_5tupleIJPjSI_NS0_16reverse_iteratorISI_EEEEENSH_IJSG_SG_SG_EEES9_SI_JZNS1_25segmented_radix_sort_implINS0_14default_configELb1EPK6__halfPSP_PKlPlN2at6native12_GLOBAL__N_18offset_tEEE10hipError_tPvRmT1_PNSt15iterator_traitsIS13_E10value_typeET2_T3_PNS14_IS19_E10value_typeET4_jRbjT5_S1F_jjP12ihipStream_tbEUljE_ZNSN_ISO_Lb1ESR_SS_SU_SV_SZ_EES10_S11_S12_S13_S17_S18_S19_S1C_S1D_jS1E_jS1F_S1F_jjS1H_bEUljE0_EEES10_S11_S12_S19_S1D_S1F_T6_T7_T9_mT8_S1H_bDpT10_ENKUlT_T0_E_clISt17integral_constantIbLb0EES1V_EEDaS1Q_S1R_EUlS1Q_E_NS1_11comp_targetILNS1_3genE0ELNS1_11target_archE4294967295ELNS1_3gpuE0ELNS1_3repE0EEENS1_30default_config_static_selectorELNS0_4arch9wavefront6targetE0EEEvS13_,comdat
	.globl	_ZN7rocprim17ROCPRIM_400000_NS6detail17trampoline_kernelINS0_13select_configILj256ELj13ELNS0_17block_load_methodE3ELS4_3ELS4_3ELNS0_20block_scan_algorithmE0ELj4294967295EEENS1_25partition_config_selectorILNS1_17partition_subalgoE4EjNS0_10empty_typeEbEEZZNS1_14partition_implILS8_4ELb0ES6_15HIP_vector_typeIjLj2EENS0_17counting_iteratorIjlEEPS9_SG_NS0_5tupleIJPjSI_NS0_16reverse_iteratorISI_EEEEENSH_IJSG_SG_SG_EEES9_SI_JZNS1_25segmented_radix_sort_implINS0_14default_configELb1EPK6__halfPSP_PKlPlN2at6native12_GLOBAL__N_18offset_tEEE10hipError_tPvRmT1_PNSt15iterator_traitsIS13_E10value_typeET2_T3_PNS14_IS19_E10value_typeET4_jRbjT5_S1F_jjP12ihipStream_tbEUljE_ZNSN_ISO_Lb1ESR_SS_SU_SV_SZ_EES10_S11_S12_S13_S17_S18_S19_S1C_S1D_jS1E_jS1F_S1F_jjS1H_bEUljE0_EEES10_S11_S12_S19_S1D_S1F_T6_T7_T9_mT8_S1H_bDpT10_ENKUlT_T0_E_clISt17integral_constantIbLb0EES1V_EEDaS1Q_S1R_EUlS1Q_E_NS1_11comp_targetILNS1_3genE0ELNS1_11target_archE4294967295ELNS1_3gpuE0ELNS1_3repE0EEENS1_30default_config_static_selectorELNS0_4arch9wavefront6targetE0EEEvS13_ ; -- Begin function _ZN7rocprim17ROCPRIM_400000_NS6detail17trampoline_kernelINS0_13select_configILj256ELj13ELNS0_17block_load_methodE3ELS4_3ELS4_3ELNS0_20block_scan_algorithmE0ELj4294967295EEENS1_25partition_config_selectorILNS1_17partition_subalgoE4EjNS0_10empty_typeEbEEZZNS1_14partition_implILS8_4ELb0ES6_15HIP_vector_typeIjLj2EENS0_17counting_iteratorIjlEEPS9_SG_NS0_5tupleIJPjSI_NS0_16reverse_iteratorISI_EEEEENSH_IJSG_SG_SG_EEES9_SI_JZNS1_25segmented_radix_sort_implINS0_14default_configELb1EPK6__halfPSP_PKlPlN2at6native12_GLOBAL__N_18offset_tEEE10hipError_tPvRmT1_PNSt15iterator_traitsIS13_E10value_typeET2_T3_PNS14_IS19_E10value_typeET4_jRbjT5_S1F_jjP12ihipStream_tbEUljE_ZNSN_ISO_Lb1ESR_SS_SU_SV_SZ_EES10_S11_S12_S13_S17_S18_S19_S1C_S1D_jS1E_jS1F_S1F_jjS1H_bEUljE0_EEES10_S11_S12_S19_S1D_S1F_T6_T7_T9_mT8_S1H_bDpT10_ENKUlT_T0_E_clISt17integral_constantIbLb0EES1V_EEDaS1Q_S1R_EUlS1Q_E_NS1_11comp_targetILNS1_3genE0ELNS1_11target_archE4294967295ELNS1_3gpuE0ELNS1_3repE0EEENS1_30default_config_static_selectorELNS0_4arch9wavefront6targetE0EEEvS13_
	.p2align	8
	.type	_ZN7rocprim17ROCPRIM_400000_NS6detail17trampoline_kernelINS0_13select_configILj256ELj13ELNS0_17block_load_methodE3ELS4_3ELS4_3ELNS0_20block_scan_algorithmE0ELj4294967295EEENS1_25partition_config_selectorILNS1_17partition_subalgoE4EjNS0_10empty_typeEbEEZZNS1_14partition_implILS8_4ELb0ES6_15HIP_vector_typeIjLj2EENS0_17counting_iteratorIjlEEPS9_SG_NS0_5tupleIJPjSI_NS0_16reverse_iteratorISI_EEEEENSH_IJSG_SG_SG_EEES9_SI_JZNS1_25segmented_radix_sort_implINS0_14default_configELb1EPK6__halfPSP_PKlPlN2at6native12_GLOBAL__N_18offset_tEEE10hipError_tPvRmT1_PNSt15iterator_traitsIS13_E10value_typeET2_T3_PNS14_IS19_E10value_typeET4_jRbjT5_S1F_jjP12ihipStream_tbEUljE_ZNSN_ISO_Lb1ESR_SS_SU_SV_SZ_EES10_S11_S12_S13_S17_S18_S19_S1C_S1D_jS1E_jS1F_S1F_jjS1H_bEUljE0_EEES10_S11_S12_S19_S1D_S1F_T6_T7_T9_mT8_S1H_bDpT10_ENKUlT_T0_E_clISt17integral_constantIbLb0EES1V_EEDaS1Q_S1R_EUlS1Q_E_NS1_11comp_targetILNS1_3genE0ELNS1_11target_archE4294967295ELNS1_3gpuE0ELNS1_3repE0EEENS1_30default_config_static_selectorELNS0_4arch9wavefront6targetE0EEEvS13_,@function
_ZN7rocprim17ROCPRIM_400000_NS6detail17trampoline_kernelINS0_13select_configILj256ELj13ELNS0_17block_load_methodE3ELS4_3ELS4_3ELNS0_20block_scan_algorithmE0ELj4294967295EEENS1_25partition_config_selectorILNS1_17partition_subalgoE4EjNS0_10empty_typeEbEEZZNS1_14partition_implILS8_4ELb0ES6_15HIP_vector_typeIjLj2EENS0_17counting_iteratorIjlEEPS9_SG_NS0_5tupleIJPjSI_NS0_16reverse_iteratorISI_EEEEENSH_IJSG_SG_SG_EEES9_SI_JZNS1_25segmented_radix_sort_implINS0_14default_configELb1EPK6__halfPSP_PKlPlN2at6native12_GLOBAL__N_18offset_tEEE10hipError_tPvRmT1_PNSt15iterator_traitsIS13_E10value_typeET2_T3_PNS14_IS19_E10value_typeET4_jRbjT5_S1F_jjP12ihipStream_tbEUljE_ZNSN_ISO_Lb1ESR_SS_SU_SV_SZ_EES10_S11_S12_S13_S17_S18_S19_S1C_S1D_jS1E_jS1F_S1F_jjS1H_bEUljE0_EEES10_S11_S12_S19_S1D_S1F_T6_T7_T9_mT8_S1H_bDpT10_ENKUlT_T0_E_clISt17integral_constantIbLb0EES1V_EEDaS1Q_S1R_EUlS1Q_E_NS1_11comp_targetILNS1_3genE0ELNS1_11target_archE4294967295ELNS1_3gpuE0ELNS1_3repE0EEENS1_30default_config_static_selectorELNS0_4arch9wavefront6targetE0EEEvS13_: ; @_ZN7rocprim17ROCPRIM_400000_NS6detail17trampoline_kernelINS0_13select_configILj256ELj13ELNS0_17block_load_methodE3ELS4_3ELS4_3ELNS0_20block_scan_algorithmE0ELj4294967295EEENS1_25partition_config_selectorILNS1_17partition_subalgoE4EjNS0_10empty_typeEbEEZZNS1_14partition_implILS8_4ELb0ES6_15HIP_vector_typeIjLj2EENS0_17counting_iteratorIjlEEPS9_SG_NS0_5tupleIJPjSI_NS0_16reverse_iteratorISI_EEEEENSH_IJSG_SG_SG_EEES9_SI_JZNS1_25segmented_radix_sort_implINS0_14default_configELb1EPK6__halfPSP_PKlPlN2at6native12_GLOBAL__N_18offset_tEEE10hipError_tPvRmT1_PNSt15iterator_traitsIS13_E10value_typeET2_T3_PNS14_IS19_E10value_typeET4_jRbjT5_S1F_jjP12ihipStream_tbEUljE_ZNSN_ISO_Lb1ESR_SS_SU_SV_SZ_EES10_S11_S12_S13_S17_S18_S19_S1C_S1D_jS1E_jS1F_S1F_jjS1H_bEUljE0_EEES10_S11_S12_S19_S1D_S1F_T6_T7_T9_mT8_S1H_bDpT10_ENKUlT_T0_E_clISt17integral_constantIbLb0EES1V_EEDaS1Q_S1R_EUlS1Q_E_NS1_11comp_targetILNS1_3genE0ELNS1_11target_archE4294967295ELNS1_3gpuE0ELNS1_3repE0EEENS1_30default_config_static_selectorELNS0_4arch9wavefront6targetE0EEEvS13_
; %bb.0:
	s_clause 0x4
	s_load_b128 s[24:27], s[0:1], 0x58
	s_load_b32 s4, s[0:1], 0x80
	s_load_b64 s[34:35], s[0:1], 0x10
	s_load_b64 s[2:3], s[0:1], 0x68
	s_load_b32 s8, s[0:1], 0x8
	s_bfe_u32 s5, ttmp6, 0x4000c
	s_and_b32 s6, ttmp6, 15
	s_add_co_i32 s5, s5, 1
	s_getreg_b32 s7, hwreg(HW_REG_IB_STS2, 6, 4)
	s_mul_i32 s5, ttmp9, s5
	s_load_b64 s[42:43], s[0:1], 0xa8
	s_add_co_i32 s6, s6, s5
	s_cmp_eq_u32 s7, 0
	s_load_b256 s[16:23], s[0:1], 0x88
	s_cselect_b32 s33, ttmp9, s6
	s_mov_b32 s5, 0
	s_mul_i32 s40, s33, 0xd00
	s_wait_kmcnt 0x0
	s_add_co_i32 s9, s4, -1
	s_mulk_i32 s4, 0xd00
	s_load_b128 s[28:31], s[26:27], 0x0
	s_cmp_eq_u32 s33, s9
	s_add_nc_u64 s[6:7], s[34:35], s[4:5]
	s_cselect_b32 s15, -1, 0
	s_cmp_lg_u32 s33, s9
	v_cmp_gt_u64_e64 s3, s[2:3], s[6:7]
	s_cselect_b32 s5, -1, 0
	s_add_co_i32 s6, s8, s40
	s_delay_alu instid0(SALU_CYCLE_1) | instskip(NEXT) | instid1(SALU_CYCLE_1)
	s_add_co_i32 s6, s6, s34
	v_add_nc_u32_e32 v1, s6, v0
	s_or_b32 s3, s5, s3
	s_mov_b32 s5, -1
	s_and_b32 vcc_lo, exec_lo, s3
	s_delay_alu instid0(VALU_DEP_1)
	v_add_nc_u32_e32 v2, 0x100, v1
	v_add_nc_u32_e32 v3, 0x200, v1
	;; [unrolled: 1-line block ×12, first 2 shown]
	s_cbranch_vccz .LBB1665_2
; %bb.1:
	v_lshlrev_b32_e32 v14, 2, v0
	s_mov_b32 s5, 0
	ds_store_2addr_stride64_b32 v14, v1, v2 offset1:4
	ds_store_2addr_stride64_b32 v14, v3, v4 offset0:8 offset1:12
	ds_store_2addr_stride64_b32 v14, v5, v6 offset0:16 offset1:20
	;; [unrolled: 1-line block ×5, first 2 shown]
	ds_store_b32 v14, v13 offset:12288
	s_wait_dscnt 0x0
	s_barrier_signal -1
	s_barrier_wait -1
.LBB1665_2:
	s_and_not1_b32 vcc_lo, exec_lo, s5
	s_add_co_i32 s4, s4, s34
	s_cbranch_vccnz .LBB1665_4
; %bb.3:
	v_lshlrev_b32_e32 v14, 2, v0
	ds_store_2addr_stride64_b32 v14, v1, v2 offset1:4
	ds_store_2addr_stride64_b32 v14, v3, v4 offset0:8 offset1:12
	ds_store_2addr_stride64_b32 v14, v5, v6 offset0:16 offset1:20
	;; [unrolled: 1-line block ×5, first 2 shown]
	ds_store_b32 v14, v13 offset:12288
	s_wait_dscnt 0x0
	s_barrier_signal -1
	s_barrier_wait -1
.LBB1665_4:
	v_mul_u32_u24_e32 v30, 13, v0
	s_load_b128 s[36:39], s[0:1], 0x28
	s_wait_xcnt 0x0
	s_load_b64 s[26:27], s[0:1], 0x38
	v_cndmask_b32_e64 v29, 0, 1, s3
	s_sub_co_i32 s41, s2, s4
	v_lshlrev_b32_e32 v1, 2, v30
	s_and_not1_b32 vcc_lo, exec_lo, s3
	ds_load_b32 v28, v1 offset:48
	ds_load_2addr_b32 v[10:11], v1 offset0:10 offset1:11
	ds_load_2addr_b32 v[12:13], v1 offset0:8 offset1:9
	;; [unrolled: 1-line block ×4, first 2 shown]
	ds_load_2addr_b32 v[20:21], v1 offset1:1
	ds_load_2addr_b32 v[18:19], v1 offset0:2 offset1:3
	s_wait_dscnt 0x0
	s_barrier_signal -1
	s_barrier_wait -1
	s_cbranch_vccnz .LBB1665_32
; %bb.5:
	v_dual_add_nc_u32 v1, s17, v20 :: v_dual_add_nc_u32 v2, s19, v20
	s_mov_b32 s45, 0
	s_mov_b32 s44, 0
	s_mov_b32 s3, exec_lo
	s_delay_alu instid0(VALU_DEP_1) | instskip(SKIP_1) | instid1(VALU_DEP_1)
	v_mul_lo_u32 v1, v1, s16
	v_mul_lo_u32 v2, v2, s18
	v_sub_nc_u32_e32 v1, v1, v2
	s_delay_alu instid0(VALU_DEP_1)
	v_cmp_lt_u32_e32 vcc_lo, s20, v1
	v_cmpx_ge_u32_e64 s20, v1
	s_cbranch_execz .LBB1665_7
; %bb.6:
	v_dual_add_nc_u32 v1, s22, v20 :: v_dual_add_nc_u32 v2, s42, v20
	s_delay_alu instid0(VALU_DEP_1) | instskip(NEXT) | instid1(VALU_DEP_2)
	v_mul_lo_u32 v1, v1, s21
	v_mul_lo_u32 v2, v2, s23
	s_delay_alu instid0(VALU_DEP_1) | instskip(NEXT) | instid1(VALU_DEP_1)
	v_sub_nc_u32_e32 v1, v1, v2
	v_cmp_lt_u32_e64 s2, s43, v1
	s_and_b32 s44, s2, exec_lo
.LBB1665_7:
	s_or_b32 exec_lo, exec_lo, s3
	v_dual_add_nc_u32 v1, s17, v21 :: v_dual_add_nc_u32 v2, s19, v21
	s_mov_b32 s4, exec_lo
	s_delay_alu instid0(VALU_DEP_1) | instskip(NEXT) | instid1(VALU_DEP_2)
	v_mul_lo_u32 v1, v1, s16
	v_mul_lo_u32 v2, v2, s18
	s_delay_alu instid0(VALU_DEP_1) | instskip(NEXT) | instid1(VALU_DEP_1)
	v_sub_nc_u32_e32 v1, v1, v2
	v_cmp_lt_u32_e64 s2, s20, v1
	v_cmpx_ge_u32_e64 s20, v1
	s_cbranch_execz .LBB1665_9
; %bb.8:
	v_dual_add_nc_u32 v1, s22, v21 :: v_dual_add_nc_u32 v2, s42, v21
	s_delay_alu instid0(VALU_DEP_1) | instskip(NEXT) | instid1(VALU_DEP_2)
	v_mul_lo_u32 v1, v1, s21
	v_mul_lo_u32 v2, v2, s23
	s_delay_alu instid0(VALU_DEP_1) | instskip(NEXT) | instid1(VALU_DEP_1)
	v_sub_nc_u32_e32 v1, v1, v2
	v_cmp_lt_u32_e64 s3, s43, v1
	s_and_b32 s45, s3, exec_lo
.LBB1665_9:
	s_or_b32 exec_lo, exec_lo, s4
	v_dual_add_nc_u32 v1, s17, v18 :: v_dual_add_nc_u32 v2, s19, v18
	s_mov_b32 s47, 0
	s_mov_b32 s46, 0
	s_mov_b32 s5, exec_lo
	s_delay_alu instid0(VALU_DEP_1) | instskip(SKIP_1) | instid1(VALU_DEP_1)
	v_mul_lo_u32 v1, v1, s16
	v_mul_lo_u32 v2, v2, s18
	v_sub_nc_u32_e32 v1, v1, v2
	s_delay_alu instid0(VALU_DEP_1)
	v_cmp_lt_u32_e64 s3, s20, v1
	v_cmpx_ge_u32_e64 s20, v1
	s_cbranch_execz .LBB1665_11
; %bb.10:
	v_dual_add_nc_u32 v1, s22, v18 :: v_dual_add_nc_u32 v2, s42, v18
	s_delay_alu instid0(VALU_DEP_1) | instskip(NEXT) | instid1(VALU_DEP_2)
	v_mul_lo_u32 v1, v1, s21
	v_mul_lo_u32 v2, v2, s23
	s_delay_alu instid0(VALU_DEP_1) | instskip(NEXT) | instid1(VALU_DEP_1)
	v_sub_nc_u32_e32 v1, v1, v2
	v_cmp_lt_u32_e64 s4, s43, v1
	s_and_b32 s46, s4, exec_lo
.LBB1665_11:
	s_or_b32 exec_lo, exec_lo, s5
	v_dual_add_nc_u32 v1, s17, v19 :: v_dual_add_nc_u32 v2, s19, v19
	s_mov_b32 s6, exec_lo
	s_delay_alu instid0(VALU_DEP_1) | instskip(NEXT) | instid1(VALU_DEP_2)
	v_mul_lo_u32 v1, v1, s16
	v_mul_lo_u32 v2, v2, s18
	s_delay_alu instid0(VALU_DEP_1) | instskip(NEXT) | instid1(VALU_DEP_1)
	v_sub_nc_u32_e32 v1, v1, v2
	v_cmp_lt_u32_e64 s4, s20, v1
	v_cmpx_ge_u32_e64 s20, v1
	s_cbranch_execz .LBB1665_13
; %bb.12:
	v_dual_add_nc_u32 v1, s22, v19 :: v_dual_add_nc_u32 v2, s42, v19
	s_delay_alu instid0(VALU_DEP_1) | instskip(NEXT) | instid1(VALU_DEP_2)
	v_mul_lo_u32 v1, v1, s21
	v_mul_lo_u32 v2, v2, s23
	s_delay_alu instid0(VALU_DEP_1) | instskip(NEXT) | instid1(VALU_DEP_1)
	v_sub_nc_u32_e32 v1, v1, v2
	v_cmp_lt_u32_e64 s5, s43, v1
	s_and_b32 s47, s5, exec_lo
.LBB1665_13:
	s_or_b32 exec_lo, exec_lo, s6
	v_dual_add_nc_u32 v1, s17, v16 :: v_dual_add_nc_u32 v2, s19, v16
	s_mov_b32 s49, 0
	s_mov_b32 s48, 0
	s_mov_b32 s7, exec_lo
	s_delay_alu instid0(VALU_DEP_1) | instskip(SKIP_1) | instid1(VALU_DEP_1)
	v_mul_lo_u32 v1, v1, s16
	v_mul_lo_u32 v2, v2, s18
	v_sub_nc_u32_e32 v1, v1, v2
	s_delay_alu instid0(VALU_DEP_1)
	v_cmp_lt_u32_e64 s5, s20, v1
	;; [unrolled: 44-line block ×6, first 2 shown]
	v_cmpx_ge_u32_e64 s20, v1
	s_cbranch_execz .LBB1665_31
; %bb.30:
	v_dual_add_nc_u32 v1, s22, v28 :: v_dual_add_nc_u32 v2, s42, v28
	s_delay_alu instid0(VALU_DEP_1) | instskip(NEXT) | instid1(VALU_DEP_2)
	v_mul_lo_u32 v1, v1, s21
	v_mul_lo_u32 v2, v2, s23
	s_delay_alu instid0(VALU_DEP_1) | instskip(NEXT) | instid1(VALU_DEP_1)
	v_sub_nc_u32_e32 v1, v1, v2
	v_cmp_lt_u32_e64 s14, s43, v1
	s_and_b32 s57, s14, exec_lo
.LBB1665_31:
	s_or_b32 exec_lo, exec_lo, s58
	v_cndmask_b32_e64 v2, 0, 1, s2
	v_cndmask_b32_e64 v4, 0, 1, s4
	v_cndmask_b32_e64 v1, 0, 1, vcc_lo
	v_cndmask_b32_e64 v3, 0, 1, s3
	v_cndmask_b32_e64 v6, 0, 1, s6
	v_lshlrev_b16 v2, 8, v2
	v_lshlrev_b16 v4, 8, v4
	v_cndmask_b32_e64 v8, 0, 1, s8
	v_cndmask_b32_e64 v22, 0, 1, s10
	;; [unrolled: 1-line block ×3, first 2 shown]
	v_or_b32_e32 v1, v1, v2
	v_or_b32_e32 v2, v3, v4
	v_cndmask_b32_e64 v4, 0, 1, s46
	v_cndmask_b32_e64 v5, 0, 1, s5
	;; [unrolled: 1-line block ×4, first 2 shown]
	v_lshlrev_b32_e32 v2, 16, v2
	v_and_b32_e32 v1, 0xffff, v1
	v_cndmask_b32_e64 v33, 0, 1, s50
	v_cndmask_b32_e64 v36, 0, 1, s48
	;; [unrolled: 1-line block ×4, first 2 shown]
	v_or_b32_e32 v31, v1, v2
	v_lshlrev_b16 v1, 8, v6
	v_lshlrev_b16 v2, 8, v8
	;; [unrolled: 1-line block ×5, first 2 shown]
	v_cndmask_b32_e64 v7, 0, 1, s7
	v_cndmask_b32_e64 v24, 0, 1, s56
	;; [unrolled: 1-line block ×6, first 2 shown]
	v_lshlrev_b16 v22, 8, v39
	v_or_b32_e32 v4, v37, v4
	v_or_b32_e32 v1, v5, v1
	;; [unrolled: 1-line block ×4, first 2 shown]
	v_lshlrev_b16 v8, 8, v36
	v_lshlrev_b16 v9, 8, v33
	v_cndmask_b32_e64 v26, 0, 1, s54
	v_cndmask_b32_e64 v32, 0, 1, s51
	v_lshlrev_b16 v23, 8, v24
	v_or_b32_e32 v3, v3, v8
	v_or_b32_e32 v8, v35, v9
	;; [unrolled: 1-line block ×4, first 2 shown]
	v_lshlrev_b16 v22, 8, v27
	v_and_b32_e32 v5, 0xffff, v5
	v_lshlrev_b32_e32 v4, 16, v4
	v_and_b32_e32 v1, 0xffff, v1
	v_and_b32_e32 v7, 0xffff, v7
	v_or_b32_e32 v9, v32, v22
	v_or_b32_e32 v22, v26, v23
	v_and_b32_e32 v3, 0xffff, v3
	v_dual_lshlrev_b32 v8, 16, v8 :: v_dual_lshlrev_b32 v2, 16, v2
	s_delay_alu instid0(VALU_DEP_4) | instskip(NEXT) | instid1(VALU_DEP_4)
	v_and_b32_e32 v9, 0xffff, v9
	v_lshlrev_b32_e32 v22, 16, v22
	v_lshlrev_b32_e32 v6, 16, v6
	v_cndmask_b32_e64 v34, 0, 1, s55
	v_cndmask_b32_e64 v38, 0, 1, s57
	v_or_b32_e32 v33, v1, v2
	v_or_b32_e32 v37, v7, v4
	v_or_b32_e32 v36, v5, v6
	v_or_b32_e32 v32, v3, v8
	v_or_b32_e32 v35, v9, v22
	s_load_b64 s[4:5], s[0:1], 0x78
	s_and_b32 vcc_lo, exec_lo, s52
	s_add_co_i32 s6, s41, 0xd00
	s_cbranch_vccnz .LBB1665_33
	s_branch .LBB1665_110
.LBB1665_32:
                                        ; implicit-def: $vgpr38
                                        ; implicit-def: $vgpr34
                                        ; implicit-def: $vgpr35
                                        ; implicit-def: $vgpr32
                                        ; implicit-def: $vgpr37
                                        ; implicit-def: $vgpr36
                                        ; implicit-def: $vgpr33
                                        ; implicit-def: $vgpr31
	s_load_b64 s[4:5], s[0:1], 0x78
	s_add_co_i32 s6, s41, 0xd00
	s_cbranch_execz .LBB1665_110
.LBB1665_33:
	v_dual_mov_b32 v2, 0 :: v_dual_mov_b32 v1, 0
	s_wait_xcnt 0x0
	s_mov_b32 s1, exec_lo
	v_cmpx_gt_u32_e64 s6, v30
	s_cbranch_execz .LBB1665_37
; %bb.34:
	v_dual_add_nc_u32 v1, s17, v20 :: v_dual_add_nc_u32 v2, s19, v20
	s_mov_b32 s3, 0
	s_mov_b32 s2, exec_lo
	s_delay_alu instid0(VALU_DEP_1) | instskip(NEXT) | instid1(VALU_DEP_2)
	v_mul_lo_u32 v1, v1, s16
	v_mul_lo_u32 v2, v2, s18
	s_delay_alu instid0(VALU_DEP_1) | instskip(NEXT) | instid1(VALU_DEP_1)
	v_sub_nc_u32_e32 v1, v1, v2
	v_cmp_lt_u32_e32 vcc_lo, s20, v1
	v_cmpx_ge_u32_e64 s20, v1
	s_cbranch_execz .LBB1665_36
; %bb.35:
	v_dual_add_nc_u32 v1, s22, v20 :: v_dual_add_nc_u32 v2, s42, v20
	s_delay_alu instid0(VALU_DEP_1) | instskip(NEXT) | instid1(VALU_DEP_2)
	v_mul_lo_u32 v1, v1, s21
	v_mul_lo_u32 v2, v2, s23
	s_delay_alu instid0(VALU_DEP_1) | instskip(NEXT) | instid1(VALU_DEP_1)
	v_sub_nc_u32_e32 v1, v1, v2
	v_cmp_lt_u32_e64 s0, s43, v1
	s_and_b32 s3, s0, exec_lo
.LBB1665_36:
	s_or_b32 exec_lo, exec_lo, s2
	v_cndmask_b32_e64 v2, 0, 1, s3
	v_cndmask_b32_e64 v1, 0, 1, vcc_lo
.LBB1665_37:
	s_or_b32 exec_lo, exec_lo, s1
	s_delay_alu instid0(VALU_DEP_2) | instskip(SKIP_2) | instid1(VALU_DEP_3)
	v_lshlrev_b16 v2, 8, v2
	v_add_nc_u32_e32 v3, 1, v30
	v_lshlrev_b16 v9, 8, 0
                                        ; implicit-def: $vgpr5
                                        ; implicit-def: $vgpr7
                                        ; implicit-def: $vgpr4
                                        ; implicit-def: $vgpr8
	v_and_b32_e32 v6, 0xffff, v2
	s_delay_alu instid0(VALU_DEP_3) | instskip(NEXT) | instid1(VALU_DEP_2)
	v_cmp_le_u32_e32 vcc_lo, s6, v3
                                        ; implicit-def: $vgpr3
                                        ; implicit-def: $vgpr2
	v_lshrrev_b32_e32 v22, 8, v6
	s_and_saveexec_b32 s0, vcc_lo
	s_delay_alu instid0(SALU_CYCLE_1)
	s_xor_b32 s0, exec_lo, s0
	s_cbranch_execz .LBB1665_39
; %bb.38:
	s_delay_alu instid0(VALU_DEP_1) | instskip(SKIP_3) | instid1(VALU_DEP_4)
	v_lshlrev_b16 v2, 8, v22
	v_bitop3_b16 v3, 0, v9, 0xff bitop3:0xec
	v_and_b32_e32 v8, 0xff, v1
                                        ; implicit-def: $vgpr1
                                        ; implicit-def: $vgpr9
                                        ; implicit-def: $vgpr22
	v_mov_b32_e32 v5, 0
	v_bitop3_b16 v6, v6, v2, 0xff bitop3:0xec
	v_mov_b32_e32 v2, 0
	v_and_b32_e32 v4, 0xffff, v3
	v_and_b32_e32 v3, 0xffff, v3
	s_delay_alu instid0(VALU_DEP_4)
	v_and_b32_e32 v7, 0xffff, v6
                                        ; implicit-def: $vgpr6
.LBB1665_39:
	s_and_not1_saveexec_b32 s1, s0
	s_cbranch_execz .LBB1665_43
; %bb.40:
	v_dual_add_nc_u32 v2, s17, v21 :: v_dual_add_nc_u32 v3, s19, v21
	s_mov_b32 s2, 0
	s_mov_b32 s3, exec_lo
	s_delay_alu instid0(VALU_DEP_1) | instskip(NEXT) | instid1(VALU_DEP_2)
	v_mul_lo_u32 v2, v2, s16
	v_mul_lo_u32 v3, v3, s18
	s_delay_alu instid0(VALU_DEP_1) | instskip(NEXT) | instid1(VALU_DEP_1)
	v_sub_nc_u32_e32 v2, v2, v3
	v_cmp_lt_u32_e32 vcc_lo, s20, v2
	v_cmpx_ge_u32_e64 s20, v2
	s_cbranch_execz .LBB1665_42
; %bb.41:
	v_dual_add_nc_u32 v2, s22, v21 :: v_dual_add_nc_u32 v3, s42, v21
	s_delay_alu instid0(VALU_DEP_1) | instskip(NEXT) | instid1(VALU_DEP_2)
	v_mul_lo_u32 v2, v2, s21
	v_mul_lo_u32 v3, v3, s23
	s_delay_alu instid0(VALU_DEP_1) | instskip(NEXT) | instid1(VALU_DEP_1)
	v_sub_nc_u32_e32 v2, v2, v3
	v_cmp_lt_u32_e64 s0, s43, v2
	s_and_b32 s2, s0, exec_lo
.LBB1665_42:
	s_or_b32 exec_lo, exec_lo, s3
	v_cndmask_b32_e64 v2, 0, 1, vcc_lo
	v_lshlrev_b16 v3, 8, v22
	v_cndmask_b32_e64 v7, 0, 1, s2
	v_mov_b32_e32 v5, 0
	s_delay_alu instid0(VALU_DEP_4) | instskip(NEXT) | instid1(VALU_DEP_4)
	v_lshlrev_b16 v2, 8, v2
	v_bitop3_b16 v3, v6, v3, 0xff bitop3:0xec
	v_bitop3_b16 v6, 0, v9, 0xff bitop3:0xec
	s_delay_alu instid0(VALU_DEP_3) | instskip(NEXT) | instid1(VALU_DEP_3)
	v_bitop3_b16 v1, v1, v2, 0xff bitop3:0xec
	v_and_b32_e32 v3, 0xffff, v3
	v_mov_b32_e32 v2, 0
	s_delay_alu instid0(VALU_DEP_4) | instskip(NEXT) | instid1(VALU_DEP_4)
	v_and_b32_e32 v4, 0xffff, v6
	v_and_b32_e32 v8, 0xffff, v1
	s_delay_alu instid0(VALU_DEP_4)
	v_lshl_or_b32 v7, v7, 16, v3
	v_and_b32_e32 v3, 0xffff, v6
.LBB1665_43:
	s_or_b32 exec_lo, exec_lo, s1
	s_delay_alu instid0(VALU_DEP_3) | instskip(NEXT) | instid1(VALU_DEP_1)
	v_dual_add_nc_u32 v1, 2, v30 :: v_dual_lshrrev_b32 v9, 8, v8
                                        ; implicit-def: $vgpr6
	v_cmp_le_u32_e32 vcc_lo, s6, v1
                                        ; implicit-def: $vgpr1
	s_and_saveexec_b32 s0, vcc_lo
	s_delay_alu instid0(SALU_CYCLE_1)
	s_xor_b32 s0, exec_lo, s0
	s_cbranch_execz .LBB1665_45
; %bb.44:
	v_lshlrev_b16 v1, 8, v9
	v_and_b32_e32 v9, 0xff0000, v7
	v_perm_b32 v4, v4, v4, 0x3060504
	s_delay_alu instid0(VALU_DEP_3) | instskip(NEXT) | instid1(VALU_DEP_1)
	v_bitop3_b16 v1, v8, v1, 0xff bitop3:0xec
	v_and_b32_e32 v1, 0xffff, v1
	s_delay_alu instid0(VALU_DEP_1)
	v_and_or_b32 v6, 0xff000000, v8, v1
	v_perm_b32 v1, v7, v9, 0x3020504
                                        ; implicit-def: $vgpr9
                                        ; implicit-def: $vgpr8
                                        ; implicit-def: $vgpr7
.LBB1665_45:
	s_and_not1_saveexec_b32 s1, s0
	s_cbranch_execz .LBB1665_49
; %bb.46:
	v_dual_add_nc_u32 v1, s17, v18 :: v_dual_add_nc_u32 v6, s19, v18
	s_mov_b32 s2, 0
	s_mov_b32 s3, exec_lo
	s_delay_alu instid0(VALU_DEP_1) | instskip(NEXT) | instid1(VALU_DEP_2)
	v_mul_lo_u32 v1, v1, s16
	v_mul_lo_u32 v6, v6, s18
	s_delay_alu instid0(VALU_DEP_1) | instskip(NEXT) | instid1(VALU_DEP_1)
	v_sub_nc_u32_e32 v1, v1, v6
	v_cmp_lt_u32_e32 vcc_lo, s20, v1
	v_cmpx_ge_u32_e64 s20, v1
	s_cbranch_execz .LBB1665_48
; %bb.47:
	v_dual_add_nc_u32 v1, s22, v18 :: v_dual_add_nc_u32 v6, s42, v18
	s_delay_alu instid0(VALU_DEP_1) | instskip(NEXT) | instid1(VALU_DEP_2)
	v_mul_lo_u32 v1, v1, s21
	v_mul_lo_u32 v6, v6, s23
	s_delay_alu instid0(VALU_DEP_1) | instskip(NEXT) | instid1(VALU_DEP_1)
	v_sub_nc_u32_e32 v1, v1, v6
	v_cmp_lt_u32_e64 s0, s43, v1
	s_and_b32 s2, s0, exec_lo
.LBB1665_48:
	s_or_b32 exec_lo, exec_lo, s3
	v_dual_lshrrev_b32 v1, 24, v8 :: v_dual_lshrrev_b32 v23, 8, v7
	v_cndmask_b32_e64 v6, 0, 1, s2
	v_cndmask_b32_e64 v22, 0, 1, vcc_lo
	v_lshlrev_b16 v9, 8, v9
	s_delay_alu instid0(VALU_DEP_4)
	v_lshlrev_b16 v1, 8, v1
	v_lshrrev_b32_e32 v24, 16, v7
	v_lshlrev_b16 v6, 8, v6
	v_lshlrev_b16 v23, 8, v23
	v_bitop3_b16 v8, v8, v9, 0xff bitop3:0xec
	v_or_b32_e32 v1, v22, v1
	s_delay_alu instid0(VALU_DEP_4) | instskip(NEXT) | instid1(VALU_DEP_4)
	v_bitop3_b16 v6, v24, v6, 0xff bitop3:0xec
	v_bitop3_b16 v7, v7, v23, 0xff bitop3:0xec
	s_delay_alu instid0(VALU_DEP_4) | instskip(NEXT) | instid1(VALU_DEP_3)
	v_and_b32_e32 v8, 0xffff, v8
	v_dual_lshlrev_b32 v1, 16, v1 :: v_dual_lshlrev_b32 v9, 16, v6
	s_delay_alu instid0(VALU_DEP_3) | instskip(NEXT) | instid1(VALU_DEP_2)
	v_and_b32_e32 v7, 0xffff, v7
	v_or_b32_e32 v6, v8, v1
	s_delay_alu instid0(VALU_DEP_2)
	v_or_b32_e32 v1, v7, v9
.LBB1665_49:
	s_or_b32 exec_lo, exec_lo, s1
	v_dual_add_nc_u32 v8, 3, v30 :: v_dual_lshrrev_b32 v9, 24, v5
	v_lshrrev_b32_e32 v7, 16, v5
                                        ; implicit-def: $vgpr31
	s_delay_alu instid0(VALU_DEP_2) | instskip(SKIP_2) | instid1(SALU_CYCLE_1)
	v_cmp_le_u32_e32 vcc_lo, s6, v8
	v_lshrrev_b32_e32 v8, 8, v5
                                        ; implicit-def: $vgpr5
	s_and_saveexec_b32 s0, vcc_lo
	s_xor_b32 s0, exec_lo, s0
	s_cbranch_execz .LBB1665_51
; %bb.50:
	v_lshlrev_b16 v5, 8, v9
	v_lshlrev_b16 v8, 8, v8
	v_perm_b32 v4, v4, v4, 0x3060504
	v_perm_b32 v3, v3, v3, 0x3060504
                                        ; implicit-def: $vgpr9
	s_delay_alu instid0(VALU_DEP_4) | instskip(SKIP_2) | instid1(VALU_DEP_3)
	v_bitop3_b16 v5, v7, v5, 0xff bitop3:0xec
	v_and_b32_e32 v7, 0xff0000, v6
	v_and_b32_e32 v8, 0xffff, v8
	v_lshlrev_b32_e32 v5, 16, v5
	s_delay_alu instid0(VALU_DEP_3) | instskip(NEXT) | instid1(VALU_DEP_2)
	v_perm_b32 v31, v6, v7, 0x3020504
                                        ; implicit-def: $vgpr6
                                        ; implicit-def: $vgpr7
	v_or_b32_e32 v5, v8, v5
                                        ; implicit-def: $vgpr8
.LBB1665_51:
	s_and_not1_saveexec_b32 s1, s0
	s_cbranch_execz .LBB1665_55
; %bb.52:
	v_dual_add_nc_u32 v5, s17, v19 :: v_dual_add_nc_u32 v22, s19, v19
	s_mov_b32 s2, 0
	s_mov_b32 s3, exec_lo
	s_delay_alu instid0(VALU_DEP_1) | instskip(NEXT) | instid1(VALU_DEP_2)
	v_mul_lo_u32 v5, v5, s16
	v_mul_lo_u32 v22, v22, s18
	s_delay_alu instid0(VALU_DEP_1) | instskip(NEXT) | instid1(VALU_DEP_1)
	v_sub_nc_u32_e32 v5, v5, v22
	v_cmp_lt_u32_e32 vcc_lo, s20, v5
	v_cmpx_ge_u32_e64 s20, v5
	s_cbranch_execz .LBB1665_54
; %bb.53:
	v_dual_add_nc_u32 v5, s22, v19 :: v_dual_add_nc_u32 v22, s42, v19
	s_delay_alu instid0(VALU_DEP_1) | instskip(NEXT) | instid1(VALU_DEP_2)
	v_mul_lo_u32 v5, v5, s21
	v_mul_lo_u32 v22, v22, s23
	s_delay_alu instid0(VALU_DEP_1) | instskip(NEXT) | instid1(VALU_DEP_1)
	v_sub_nc_u32_e32 v5, v5, v22
	v_cmp_lt_u32_e64 s0, s43, v5
	s_and_b32 s2, s0, exec_lo
.LBB1665_54:
	s_or_b32 exec_lo, exec_lo, s3
	v_cndmask_b32_e64 v5, 0, 1, vcc_lo
	v_dual_lshrrev_b32 v22, 8, v6 :: v_dual_lshrrev_b32 v24, 16, v6
	v_cndmask_b32_e64 v23, 0, 1, s2
	v_lshlrev_b16 v9, 8, v9
	s_delay_alu instid0(VALU_DEP_4) | instskip(NEXT) | instid1(VALU_DEP_4)
	v_lshlrev_b16 v5, 8, v5
	v_lshlrev_b16 v22, 8, v22
	;; [unrolled: 1-line block ×3, first 2 shown]
	s_delay_alu instid0(VALU_DEP_4) | instskip(NEXT) | instid1(VALU_DEP_4)
	v_bitop3_b16 v7, v7, v9, 0xff bitop3:0xec
	v_bitop3_b16 v5, v24, v5, 0xff bitop3:0xec
	s_delay_alu instid0(VALU_DEP_4) | instskip(NEXT) | instid1(VALU_DEP_3)
	v_bitop3_b16 v6, v6, v22, 0xff bitop3:0xec
	v_dual_lshlrev_b32 v7, 16, v7 :: v_dual_bitop2_b32 v8, v23, v8 bitop3:0x54
	s_delay_alu instid0(VALU_DEP_3) | instskip(NEXT) | instid1(VALU_DEP_3)
	v_lshlrev_b32_e32 v5, 16, v5
	v_and_b32_e32 v6, 0xffff, v6
	s_delay_alu instid0(VALU_DEP_3) | instskip(NEXT) | instid1(VALU_DEP_2)
	v_and_b32_e32 v8, 0xffff, v8
	v_or_b32_e32 v31, v6, v5
	s_delay_alu instid0(VALU_DEP_2)
	v_or_b32_e32 v5, v8, v7
.LBB1665_55:
	s_or_b32 exec_lo, exec_lo, s1
	v_dual_add_nc_u32 v6, 4, v30 :: v_dual_lshrrev_b32 v22, 8, v4
	v_dual_lshrrev_b32 v7, 16, v4 :: v_dual_lshrrev_b32 v23, 24, v4
	s_delay_alu instid0(VALU_DEP_3) | instskip(NEXT) | instid1(VALU_DEP_3)
	v_dual_lshrrev_b32 v9, 24, v5 :: v_dual_lshrrev_b32 v8, 16, v5
	v_cmp_le_u32_e32 vcc_lo, s6, v6
                                        ; implicit-def: $vgpr4
                                        ; implicit-def: $vgpr6
	s_and_saveexec_b32 s0, vcc_lo
	s_delay_alu instid0(SALU_CYCLE_1)
	s_xor_b32 s0, exec_lo, s0
	s_cbranch_execz .LBB1665_57
; %bb.56:
	v_lshlrev_b16 v4, 8, v23
	v_lshlrev_b16 v6, 8, v22
	;; [unrolled: 1-line block ×3, first 2 shown]
	v_perm_b32 v3, v3, v3, 0x3060504
                                        ; implicit-def: $vgpr22
                                        ; implicit-def: $vgpr23
	s_delay_alu instid0(VALU_DEP_4) | instskip(NEXT) | instid1(VALU_DEP_4)
	v_bitop3_b16 v4, v7, v4, 0xff bitop3:0xec
	v_and_b32_e32 v6, 0xffff, v6
	s_delay_alu instid0(VALU_DEP_4) | instskip(NEXT) | instid1(VALU_DEP_3)
	v_bitop3_b16 v7, v8, v9, 0xff bitop3:0xec
                                        ; implicit-def: $vgpr9
	v_lshlrev_b32_e32 v8, 16, v4
	s_delay_alu instid0(VALU_DEP_2) | instskip(NEXT) | instid1(VALU_DEP_2)
	v_perm_b32 v4, v7, v5, 0x5040c00
                                        ; implicit-def: $vgpr5
                                        ; implicit-def: $vgpr7
	v_or_b32_e32 v6, v6, v8
                                        ; implicit-def: $vgpr8
.LBB1665_57:
	s_and_not1_saveexec_b32 s1, s0
	s_cbranch_execz .LBB1665_61
; %bb.58:
	v_dual_add_nc_u32 v4, s17, v16 :: v_dual_add_nc_u32 v6, s19, v16
	s_mov_b32 s2, 0
	s_mov_b32 s3, exec_lo
	s_delay_alu instid0(VALU_DEP_1) | instskip(NEXT) | instid1(VALU_DEP_2)
	v_mul_lo_u32 v4, v4, s16
	v_mul_lo_u32 v6, v6, s18
	s_delay_alu instid0(VALU_DEP_1) | instskip(NEXT) | instid1(VALU_DEP_1)
	v_sub_nc_u32_e32 v4, v4, v6
	v_cmp_lt_u32_e32 vcc_lo, s20, v4
	v_cmpx_ge_u32_e64 s20, v4
	s_cbranch_execz .LBB1665_60
; %bb.59:
	v_dual_add_nc_u32 v4, s22, v16 :: v_dual_add_nc_u32 v6, s42, v16
	s_delay_alu instid0(VALU_DEP_1) | instskip(NEXT) | instid1(VALU_DEP_2)
	v_mul_lo_u32 v4, v4, s21
	v_mul_lo_u32 v6, v6, s23
	s_delay_alu instid0(VALU_DEP_1) | instskip(NEXT) | instid1(VALU_DEP_1)
	v_sub_nc_u32_e32 v4, v4, v6
	v_cmp_lt_u32_e64 s0, s43, v4
	s_and_b32 s2, s0, exec_lo
.LBB1665_60:
	s_or_b32 exec_lo, exec_lo, s3
	v_cndmask_b32_e64 v4, 0, 1, s2
	v_cndmask_b32_e64 v6, 0, 1, vcc_lo
	v_lshlrev_b16 v23, 8, v23
	v_lshlrev_b16 v22, 8, v22
	;; [unrolled: 1-line block ×4, first 2 shown]
	s_delay_alu instid0(VALU_DEP_4) | instskip(NEXT) | instid1(VALU_DEP_4)
	v_bitop3_b16 v7, v7, v23, 0xff bitop3:0xec
	v_or_b32_e32 v6, v6, v22
	s_delay_alu instid0(VALU_DEP_4) | instskip(NEXT) | instid1(VALU_DEP_4)
	v_bitop3_b16 v8, v8, v9, 0xff bitop3:0xec
	v_bitop3_b16 v4, v5, v4, 0xff bitop3:0xec
	s_delay_alu instid0(VALU_DEP_4) | instskip(NEXT) | instid1(VALU_DEP_4)
	v_lshlrev_b32_e32 v5, 16, v7
	v_and_b32_e32 v6, 0xffff, v6
	s_delay_alu instid0(VALU_DEP_4) | instskip(NEXT) | instid1(VALU_DEP_4)
	v_lshlrev_b32_e32 v7, 16, v8
	v_and_b32_e32 v4, 0xffff, v4
	s_delay_alu instid0(VALU_DEP_3) | instskip(NEXT) | instid1(VALU_DEP_2)
	v_or_b32_e32 v6, v6, v5
	v_or_b32_e32 v4, v4, v7
.LBB1665_61:
	s_or_b32 exec_lo, exec_lo, s1
	s_delay_alu instid0(VALU_DEP_1) | instskip(NEXT) | instid1(VALU_DEP_2)
	v_dual_add_nc_u32 v5, 5, v30 :: v_dual_lshrrev_b32 v22, 8, v4
	v_dual_lshrrev_b32 v8, 16, v6 :: v_dual_lshrrev_b32 v9, 24, v6
                                        ; implicit-def: $vgpr7
	s_delay_alu instid0(VALU_DEP_2) | instskip(SKIP_1) | instid1(SALU_CYCLE_1)
	v_cmp_le_u32_e32 vcc_lo, s6, v5
                                        ; implicit-def: $vgpr5
	s_and_saveexec_b32 s0, vcc_lo
	s_xor_b32 s0, exec_lo, s0
	s_cbranch_execz .LBB1665_63
; %bb.62:
	v_lshlrev_b16 v5, 8, v22
	v_lshlrev_b16 v7, 8, v9
	v_perm_b32 v3, v3, v3, 0x3060504
                                        ; implicit-def: $vgpr9
                                        ; implicit-def: $vgpr22
	s_delay_alu instid0(VALU_DEP_3) | instskip(NEXT) | instid1(VALU_DEP_3)
	v_bitop3_b16 v5, v4, v5, 0xff bitop3:0xec
	v_bitop3_b16 v7, v8, v7, 0xff bitop3:0xec
                                        ; implicit-def: $vgpr8
	s_delay_alu instid0(VALU_DEP_2) | instskip(NEXT) | instid1(VALU_DEP_2)
	v_and_b32_e32 v5, 0xffff, v5
	v_perm_b32 v7, v7, v6, 0x5040c00
                                        ; implicit-def: $vgpr6
	s_delay_alu instid0(VALU_DEP_2)
	v_and_or_b32 v5, 0xff000000, v4, v5
                                        ; implicit-def: $vgpr4
.LBB1665_63:
	s_and_not1_saveexec_b32 s1, s0
	s_cbranch_execz .LBB1665_67
; %bb.64:
	v_dual_add_nc_u32 v5, s17, v17 :: v_dual_add_nc_u32 v7, s19, v17
	s_mov_b32 s2, 0
	s_mov_b32 s3, exec_lo
	s_delay_alu instid0(VALU_DEP_1) | instskip(NEXT) | instid1(VALU_DEP_2)
	v_mul_lo_u32 v5, v5, s16
	v_mul_lo_u32 v7, v7, s18
	s_delay_alu instid0(VALU_DEP_1) | instskip(NEXT) | instid1(VALU_DEP_1)
	v_sub_nc_u32_e32 v5, v5, v7
	v_cmp_lt_u32_e32 vcc_lo, s20, v5
	v_cmpx_ge_u32_e64 s20, v5
	s_cbranch_execz .LBB1665_66
; %bb.65:
	v_dual_add_nc_u32 v5, s22, v17 :: v_dual_add_nc_u32 v7, s42, v17
	s_delay_alu instid0(VALU_DEP_1) | instskip(NEXT) | instid1(VALU_DEP_2)
	v_mul_lo_u32 v5, v5, s21
	v_mul_lo_u32 v7, v7, s23
	s_delay_alu instid0(VALU_DEP_1) | instskip(NEXT) | instid1(VALU_DEP_1)
	v_sub_nc_u32_e32 v5, v5, v7
	v_cmp_lt_u32_e64 s0, s43, v5
	s_and_b32 s2, s0, exec_lo
.LBB1665_66:
	s_or_b32 exec_lo, exec_lo, s3
	v_cndmask_b32_e64 v5, 0, 1, vcc_lo
	v_lshrrev_b32_e32 v7, 24, v4
	v_cndmask_b32_e64 v23, 0, 1, s2
	v_lshlrev_b16 v9, 8, v9
	v_lshlrev_b16 v22, 8, v22
	;; [unrolled: 1-line block ×4, first 2 shown]
	s_delay_alu instid0(VALU_DEP_4) | instskip(NEXT) | instid1(VALU_DEP_4)
	v_bitop3_b16 v8, v8, v9, 0xff bitop3:0xec
	v_bitop3_b16 v4, v4, v22, 0xff bitop3:0xec
	s_delay_alu instid0(VALU_DEP_4) | instskip(NEXT) | instid1(VALU_DEP_3)
	v_bitop3_b16 v5, v6, v5, 0xff bitop3:0xec
	v_dual_lshlrev_b32 v7, 16, v8 :: v_dual_bitop2_b32 v6, v23, v7 bitop3:0x54
	s_delay_alu instid0(VALU_DEP_3) | instskip(NEXT) | instid1(VALU_DEP_3)
	v_and_b32_e32 v4, 0xffff, v4
	v_and_b32_e32 v5, 0xffff, v5
	s_delay_alu instid0(VALU_DEP_1) | instskip(NEXT) | instid1(VALU_DEP_1)
	v_dual_lshlrev_b32 v6, 16, v6 :: v_dual_bitop2_b32 v7, v5, v7 bitop3:0x54
	v_or_b32_e32 v5, v4, v6
.LBB1665_67:
	s_or_b32 exec_lo, exec_lo, s1
	s_delay_alu instid0(VALU_DEP_2) | instskip(NEXT) | instid1(VALU_DEP_1)
	v_dual_add_nc_u32 v4, 6, v30 :: v_dual_lshrrev_b32 v6, 8, v7
                                        ; implicit-def: $vgpr32
	v_cmp_le_u32_e32 vcc_lo, s6, v4
                                        ; implicit-def: $vgpr4
	s_and_saveexec_b32 s0, vcc_lo
	s_delay_alu instid0(SALU_CYCLE_1)
	s_xor_b32 s0, exec_lo, s0
	s_cbranch_execz .LBB1665_69
; %bb.68:
	v_lshlrev_b16 v4, 8, v6
	v_and_b32_e32 v6, 0xff0000, v5
	v_perm_b32 v3, v3, v3, 0x3060504
	s_delay_alu instid0(VALU_DEP_3) | instskip(NEXT) | instid1(VALU_DEP_3)
	v_bitop3_b16 v4, v7, v4, 0xff bitop3:0xec
	v_perm_b32 v32, v5, v6, 0x3020504
                                        ; implicit-def: $vgpr6
                                        ; implicit-def: $vgpr5
	s_delay_alu instid0(VALU_DEP_2) | instskip(NEXT) | instid1(VALU_DEP_1)
	v_and_b32_e32 v4, 0xffff, v4
	v_and_or_b32 v4, 0xff000000, v7, v4
                                        ; implicit-def: $vgpr7
.LBB1665_69:
	s_and_not1_saveexec_b32 s1, s0
	s_cbranch_execz .LBB1665_73
; %bb.70:
	v_dual_add_nc_u32 v4, s17, v14 :: v_dual_add_nc_u32 v8, s19, v14
	s_mov_b32 s2, 0
	s_mov_b32 s3, exec_lo
	s_delay_alu instid0(VALU_DEP_1) | instskip(NEXT) | instid1(VALU_DEP_2)
	v_mul_lo_u32 v4, v4, s16
	v_mul_lo_u32 v8, v8, s18
	s_delay_alu instid0(VALU_DEP_1) | instskip(NEXT) | instid1(VALU_DEP_1)
	v_sub_nc_u32_e32 v4, v4, v8
	v_cmp_lt_u32_e32 vcc_lo, s20, v4
	v_cmpx_ge_u32_e64 s20, v4
	s_cbranch_execz .LBB1665_72
; %bb.71:
	v_dual_add_nc_u32 v4, s22, v14 :: v_dual_add_nc_u32 v8, s42, v14
	s_delay_alu instid0(VALU_DEP_1) | instskip(NEXT) | instid1(VALU_DEP_2)
	v_mul_lo_u32 v4, v4, s21
	v_mul_lo_u32 v8, v8, s23
	s_delay_alu instid0(VALU_DEP_1) | instskip(NEXT) | instid1(VALU_DEP_1)
	v_sub_nc_u32_e32 v4, v4, v8
	v_cmp_lt_u32_e64 s0, s43, v4
	s_and_b32 s2, s0, exec_lo
.LBB1665_72:
	s_or_b32 exec_lo, exec_lo, s3
	v_dual_lshrrev_b32 v4, 24, v7 :: v_dual_lshrrev_b32 v22, 8, v5
	v_cndmask_b32_e64 v8, 0, 1, s2
	v_cndmask_b32_e64 v9, 0, 1, vcc_lo
	v_lshlrev_b16 v6, 8, v6
	s_delay_alu instid0(VALU_DEP_4)
	v_lshlrev_b16 v4, 8, v4
	v_lshrrev_b32_e32 v23, 16, v5
	v_lshlrev_b16 v8, 8, v8
	v_lshlrev_b16 v22, 8, v22
	v_bitop3_b16 v6, v7, v6, 0xff bitop3:0xec
	v_or_b32_e32 v4, v9, v4
	s_delay_alu instid0(VALU_DEP_4) | instskip(NEXT) | instid1(VALU_DEP_4)
	v_bitop3_b16 v7, v23, v8, 0xff bitop3:0xec
	v_bitop3_b16 v5, v5, v22, 0xff bitop3:0xec
	s_delay_alu instid0(VALU_DEP_4) | instskip(NEXT) | instid1(VALU_DEP_3)
	v_and_b32_e32 v6, 0xffff, v6
	v_dual_lshlrev_b32 v4, 16, v4 :: v_dual_lshlrev_b32 v7, 16, v7
	s_delay_alu instid0(VALU_DEP_3) | instskip(NEXT) | instid1(VALU_DEP_2)
	v_and_b32_e32 v5, 0xffff, v5
	v_or_b32_e32 v4, v6, v4
	s_delay_alu instid0(VALU_DEP_2)
	v_or_b32_e32 v32, v5, v7
.LBB1665_73:
	s_or_b32 exec_lo, exec_lo, s1
	v_dual_add_nc_u32 v7, 7, v30 :: v_dual_lshrrev_b32 v5, 8, v3
	v_lshrrev_b32_e32 v6, 16, v3
                                        ; implicit-def: $vgpr33
	s_delay_alu instid0(VALU_DEP_2) | instskip(SKIP_2) | instid1(SALU_CYCLE_1)
	v_cmp_le_u32_e32 vcc_lo, s6, v7
	v_lshrrev_b32_e32 v7, 24, v3
                                        ; implicit-def: $vgpr3
	s_and_saveexec_b32 s0, vcc_lo
	s_xor_b32 s0, exec_lo, s0
	s_cbranch_execz .LBB1665_75
; %bb.74:
	s_delay_alu instid0(VALU_DEP_1) | instskip(SKIP_1) | instid1(VALU_DEP_2)
	v_lshlrev_b16 v3, 8, v7
	v_lshlrev_b16 v5, 8, v5
                                        ; implicit-def: $vgpr7
	v_bitop3_b16 v3, v6, v3, 0xff bitop3:0xec
	v_and_b32_e32 v6, 0xff0000, v4
	s_delay_alu instid0(VALU_DEP_3) | instskip(NEXT) | instid1(VALU_DEP_3)
	v_and_b32_e32 v5, 0xffff, v5
	v_lshlrev_b32_e32 v3, 16, v3
	s_delay_alu instid0(VALU_DEP_3) | instskip(NEXT) | instid1(VALU_DEP_2)
	v_perm_b32 v33, v4, v6, 0x3020504
                                        ; implicit-def: $vgpr4
                                        ; implicit-def: $vgpr6
	v_or_b32_e32 v3, v5, v3
                                        ; implicit-def: $vgpr5
.LBB1665_75:
	s_and_not1_saveexec_b32 s1, s0
	s_cbranch_execz .LBB1665_79
; %bb.76:
	v_dual_add_nc_u32 v3, s17, v15 :: v_dual_add_nc_u32 v8, s19, v15
	s_mov_b32 s2, 0
	s_mov_b32 s3, exec_lo
	s_delay_alu instid0(VALU_DEP_1) | instskip(NEXT) | instid1(VALU_DEP_2)
	v_mul_lo_u32 v3, v3, s16
	v_mul_lo_u32 v8, v8, s18
	s_delay_alu instid0(VALU_DEP_1) | instskip(NEXT) | instid1(VALU_DEP_1)
	v_sub_nc_u32_e32 v3, v3, v8
	v_cmp_lt_u32_e32 vcc_lo, s20, v3
	v_cmpx_ge_u32_e64 s20, v3
	s_cbranch_execz .LBB1665_78
; %bb.77:
	v_dual_add_nc_u32 v3, s22, v15 :: v_dual_add_nc_u32 v8, s42, v15
	s_delay_alu instid0(VALU_DEP_1) | instskip(NEXT) | instid1(VALU_DEP_2)
	v_mul_lo_u32 v3, v3, s21
	v_mul_lo_u32 v8, v8, s23
	s_delay_alu instid0(VALU_DEP_1) | instskip(NEXT) | instid1(VALU_DEP_1)
	v_sub_nc_u32_e32 v3, v3, v8
	v_cmp_lt_u32_e64 s0, s43, v3
	s_and_b32 s2, s0, exec_lo
.LBB1665_78:
	s_or_b32 exec_lo, exec_lo, s3
	v_cndmask_b32_e64 v3, 0, 1, vcc_lo
	v_dual_lshrrev_b32 v8, 8, v4 :: v_dual_lshrrev_b32 v22, 16, v4
	v_cndmask_b32_e64 v9, 0, 1, s2
	v_lshlrev_b16 v7, 8, v7
	s_delay_alu instid0(VALU_DEP_4) | instskip(NEXT) | instid1(VALU_DEP_4)
	v_lshlrev_b16 v3, 8, v3
	v_lshlrev_b16 v8, 8, v8
	;; [unrolled: 1-line block ×3, first 2 shown]
	s_delay_alu instid0(VALU_DEP_4) | instskip(NEXT) | instid1(VALU_DEP_4)
	v_bitop3_b16 v6, v6, v7, 0xff bitop3:0xec
	v_bitop3_b16 v3, v22, v3, 0xff bitop3:0xec
	s_delay_alu instid0(VALU_DEP_4) | instskip(NEXT) | instid1(VALU_DEP_3)
	v_bitop3_b16 v4, v4, v8, 0xff bitop3:0xec
	v_dual_lshlrev_b32 v6, 16, v6 :: v_dual_bitop2_b32 v5, v9, v5 bitop3:0x54
	s_delay_alu instid0(VALU_DEP_3) | instskip(NEXT) | instid1(VALU_DEP_3)
	v_lshlrev_b32_e32 v3, 16, v3
	v_and_b32_e32 v4, 0xffff, v4
	s_delay_alu instid0(VALU_DEP_3) | instskip(NEXT) | instid1(VALU_DEP_2)
	v_and_b32_e32 v5, 0xffff, v5
	v_or_b32_e32 v33, v4, v3
	s_delay_alu instid0(VALU_DEP_2)
	v_or_b32_e32 v3, v5, v6
.LBB1665_79:
	s_or_b32 exec_lo, exec_lo, s1
	s_delay_alu instid0(VALU_DEP_1) | instskip(SKIP_2) | instid1(VALU_DEP_3)
	v_dual_add_nc_u32 v4, 8, v30 :: v_dual_lshrrev_b32 v5, 16, v3
	v_dual_lshrrev_b32 v6, 24, v3 :: v_dual_lshrrev_b32 v9, 24, v2
	v_dual_lshrrev_b32 v7, 16, v2 :: v_dual_lshrrev_b32 v8, 8, v2
	v_cmp_le_u32_e32 vcc_lo, s6, v4
                                        ; implicit-def: $vgpr2
                                        ; implicit-def: $vgpr4
	s_and_saveexec_b32 s0, vcc_lo
	s_delay_alu instid0(SALU_CYCLE_1)
	s_xor_b32 s0, exec_lo, s0
	s_cbranch_execz .LBB1665_81
; %bb.80:
	v_lshlrev_b16 v2, 8, v9
	v_lshlrev_b16 v4, 8, v8
	;; [unrolled: 1-line block ×3, first 2 shown]
	v_perm_b32 v1, v1, v1, 0x3060504
                                        ; implicit-def: $vgpr9
                                        ; implicit-def: $vgpr8
	s_delay_alu instid0(VALU_DEP_4) | instskip(NEXT) | instid1(VALU_DEP_4)
	v_bitop3_b16 v2, v7, v2, 0xff bitop3:0xec
	v_and_b32_e32 v4, 0xffff, v4
	s_delay_alu instid0(VALU_DEP_4) | instskip(NEXT) | instid1(VALU_DEP_3)
	v_bitop3_b16 v5, v5, v6, 0xff bitop3:0xec
                                        ; implicit-def: $vgpr6
                                        ; implicit-def: $vgpr7
	v_lshlrev_b32_e32 v2, 16, v2
	s_delay_alu instid0(VALU_DEP_1) | instskip(NEXT) | instid1(VALU_DEP_3)
	v_or_b32_e32 v4, v4, v2
	v_perm_b32 v2, v5, v3, 0x5040c00
                                        ; implicit-def: $vgpr3
                                        ; implicit-def: $vgpr5
.LBB1665_81:
	s_and_not1_saveexec_b32 s1, s0
	s_cbranch_execz .LBB1665_85
; %bb.82:
	v_dual_add_nc_u32 v2, s17, v12 :: v_dual_add_nc_u32 v4, s19, v12
	s_mov_b32 s2, 0
	s_mov_b32 s3, exec_lo
	s_delay_alu instid0(VALU_DEP_1) | instskip(NEXT) | instid1(VALU_DEP_2)
	v_mul_lo_u32 v2, v2, s16
	v_mul_lo_u32 v4, v4, s18
	s_delay_alu instid0(VALU_DEP_1) | instskip(NEXT) | instid1(VALU_DEP_1)
	v_sub_nc_u32_e32 v2, v2, v4
	v_cmp_lt_u32_e32 vcc_lo, s20, v2
	v_cmpx_ge_u32_e64 s20, v2
	s_cbranch_execz .LBB1665_84
; %bb.83:
	v_dual_add_nc_u32 v2, s22, v12 :: v_dual_add_nc_u32 v4, s42, v12
	s_delay_alu instid0(VALU_DEP_1) | instskip(NEXT) | instid1(VALU_DEP_2)
	v_mul_lo_u32 v2, v2, s21
	v_mul_lo_u32 v4, v4, s23
	s_delay_alu instid0(VALU_DEP_1) | instskip(NEXT) | instid1(VALU_DEP_1)
	v_sub_nc_u32_e32 v2, v2, v4
	v_cmp_lt_u32_e64 s0, s43, v2
	s_and_b32 s2, s0, exec_lo
.LBB1665_84:
	s_or_b32 exec_lo, exec_lo, s3
	v_cndmask_b32_e64 v2, 0, 1, s2
	v_cndmask_b32_e64 v4, 0, 1, vcc_lo
	v_lshlrev_b16 v9, 8, v9
	v_lshlrev_b16 v8, 8, v8
	;; [unrolled: 1-line block ×4, first 2 shown]
	s_delay_alu instid0(VALU_DEP_4) | instskip(NEXT) | instid1(VALU_DEP_4)
	v_bitop3_b16 v7, v7, v9, 0xff bitop3:0xec
	v_or_b32_e32 v4, v4, v8
	s_delay_alu instid0(VALU_DEP_4) | instskip(NEXT) | instid1(VALU_DEP_4)
	v_bitop3_b16 v5, v5, v6, 0xff bitop3:0xec
	v_bitop3_b16 v2, v3, v2, 0xff bitop3:0xec
	s_delay_alu instid0(VALU_DEP_4) | instskip(NEXT) | instid1(VALU_DEP_4)
	v_lshlrev_b32_e32 v3, 16, v7
	v_and_b32_e32 v4, 0xffff, v4
	s_delay_alu instid0(VALU_DEP_4) | instskip(NEXT) | instid1(VALU_DEP_4)
	v_lshlrev_b32_e32 v5, 16, v5
	v_and_b32_e32 v2, 0xffff, v2
	s_delay_alu instid0(VALU_DEP_3) | instskip(NEXT) | instid1(VALU_DEP_2)
	v_or_b32_e32 v4, v4, v3
	v_or_b32_e32 v2, v2, v5
.LBB1665_85:
	s_or_b32 exec_lo, exec_lo, s1
	s_delay_alu instid0(VALU_DEP_2) | instskip(NEXT) | instid1(VALU_DEP_2)
	v_dual_add_nc_u32 v3, 9, v30 :: v_dual_lshrrev_b32 v8, 24, v4
	v_dual_lshrrev_b32 v7, 8, v2 :: v_dual_lshrrev_b32 v6, 16, v4
                                        ; implicit-def: $vgpr5
	s_delay_alu instid0(VALU_DEP_2) | instskip(SKIP_1) | instid1(SALU_CYCLE_1)
	v_cmp_le_u32_e32 vcc_lo, s6, v3
                                        ; implicit-def: $vgpr3
	s_and_saveexec_b32 s0, vcc_lo
	s_xor_b32 s0, exec_lo, s0
	s_cbranch_execz .LBB1665_87
; %bb.86:
	v_lshlrev_b16 v3, 8, v7
	v_lshlrev_b16 v5, 8, v8
	v_perm_b32 v1, v1, v1, 0x3060504
                                        ; implicit-def: $vgpr7
                                        ; implicit-def: $vgpr8
	s_delay_alu instid0(VALU_DEP_3) | instskip(NEXT) | instid1(VALU_DEP_3)
	v_bitop3_b16 v3, v2, v3, 0xff bitop3:0xec
	v_bitop3_b16 v5, v6, v5, 0xff bitop3:0xec
                                        ; implicit-def: $vgpr6
	s_delay_alu instid0(VALU_DEP_2) | instskip(NEXT) | instid1(VALU_DEP_2)
	v_and_b32_e32 v3, 0xffff, v3
	v_perm_b32 v5, v5, v4, 0x5040c00
                                        ; implicit-def: $vgpr4
	s_delay_alu instid0(VALU_DEP_2)
	v_and_or_b32 v3, 0xff000000, v2, v3
                                        ; implicit-def: $vgpr2
.LBB1665_87:
	s_and_not1_saveexec_b32 s1, s0
	s_cbranch_execz .LBB1665_91
; %bb.88:
	v_dual_add_nc_u32 v3, s17, v13 :: v_dual_add_nc_u32 v5, s19, v13
	s_mov_b32 s2, 0
	s_mov_b32 s3, exec_lo
	s_delay_alu instid0(VALU_DEP_1) | instskip(NEXT) | instid1(VALU_DEP_2)
	v_mul_lo_u32 v3, v3, s16
	v_mul_lo_u32 v5, v5, s18
	s_delay_alu instid0(VALU_DEP_1) | instskip(NEXT) | instid1(VALU_DEP_1)
	v_sub_nc_u32_e32 v3, v3, v5
	v_cmp_lt_u32_e32 vcc_lo, s20, v3
	v_cmpx_ge_u32_e64 s20, v3
	s_cbranch_execz .LBB1665_90
; %bb.89:
	v_dual_add_nc_u32 v3, s22, v13 :: v_dual_add_nc_u32 v5, s42, v13
	s_delay_alu instid0(VALU_DEP_1) | instskip(NEXT) | instid1(VALU_DEP_2)
	v_mul_lo_u32 v3, v3, s21
	v_mul_lo_u32 v5, v5, s23
	s_delay_alu instid0(VALU_DEP_1) | instskip(NEXT) | instid1(VALU_DEP_1)
	v_sub_nc_u32_e32 v3, v3, v5
	v_cmp_lt_u32_e64 s0, s43, v3
	s_and_b32 s2, s0, exec_lo
.LBB1665_90:
	s_or_b32 exec_lo, exec_lo, s3
	v_cndmask_b32_e64 v3, 0, 1, vcc_lo
	v_lshrrev_b32_e32 v5, 24, v2
	v_cndmask_b32_e64 v9, 0, 1, s2
	v_lshlrev_b16 v8, 8, v8
	v_lshlrev_b16 v7, 8, v7
	v_lshlrev_b16 v3, 8, v3
	v_lshlrev_b16 v5, 8, v5
	s_delay_alu instid0(VALU_DEP_4) | instskip(NEXT) | instid1(VALU_DEP_4)
	v_bitop3_b16 v6, v6, v8, 0xff bitop3:0xec
	v_bitop3_b16 v2, v2, v7, 0xff bitop3:0xec
	s_delay_alu instid0(VALU_DEP_4) | instskip(NEXT) | instid1(VALU_DEP_3)
	v_bitop3_b16 v3, v4, v3, 0xff bitop3:0xec
	v_dual_lshlrev_b32 v5, 16, v6 :: v_dual_bitop2_b32 v4, v9, v5 bitop3:0x54
	s_delay_alu instid0(VALU_DEP_3) | instskip(NEXT) | instid1(VALU_DEP_3)
	v_and_b32_e32 v2, 0xffff, v2
	v_and_b32_e32 v3, 0xffff, v3
	s_delay_alu instid0(VALU_DEP_1) | instskip(NEXT) | instid1(VALU_DEP_1)
	v_dual_lshlrev_b32 v4, 16, v4 :: v_dual_bitop2_b32 v5, v3, v5 bitop3:0x54
	v_or_b32_e32 v3, v2, v4
.LBB1665_91:
	s_or_b32 exec_lo, exec_lo, s1
	s_delay_alu instid0(VALU_DEP_2) | instskip(NEXT) | instid1(VALU_DEP_1)
	v_dual_add_nc_u32 v2, 10, v30 :: v_dual_lshrrev_b32 v4, 8, v5
                                        ; implicit-def: $vgpr35
	v_cmp_le_u32_e32 vcc_lo, s6, v2
                                        ; implicit-def: $vgpr2
	s_and_saveexec_b32 s0, vcc_lo
	s_delay_alu instid0(SALU_CYCLE_1)
	s_xor_b32 s0, exec_lo, s0
	s_cbranch_execz .LBB1665_93
; %bb.92:
	v_lshlrev_b16 v2, 8, v4
	v_and_b32_e32 v4, 0xff0000, v3
	v_perm_b32 v1, v1, v1, 0x3060504
	s_delay_alu instid0(VALU_DEP_3) | instskip(NEXT) | instid1(VALU_DEP_3)
	v_bitop3_b16 v2, v5, v2, 0xff bitop3:0xec
	v_perm_b32 v35, v3, v4, 0x3020504
                                        ; implicit-def: $vgpr4
                                        ; implicit-def: $vgpr3
	s_delay_alu instid0(VALU_DEP_2) | instskip(NEXT) | instid1(VALU_DEP_1)
	v_and_b32_e32 v2, 0xffff, v2
	v_and_or_b32 v2, 0xff000000, v5, v2
                                        ; implicit-def: $vgpr5
.LBB1665_93:
	s_and_not1_saveexec_b32 s1, s0
	s_cbranch_execz .LBB1665_97
; %bb.94:
	v_dual_add_nc_u32 v2, s17, v10 :: v_dual_add_nc_u32 v6, s19, v10
	s_mov_b32 s2, 0
	s_mov_b32 s3, exec_lo
	s_delay_alu instid0(VALU_DEP_1) | instskip(NEXT) | instid1(VALU_DEP_2)
	v_mul_lo_u32 v2, v2, s16
	v_mul_lo_u32 v6, v6, s18
	s_delay_alu instid0(VALU_DEP_1) | instskip(NEXT) | instid1(VALU_DEP_1)
	v_sub_nc_u32_e32 v2, v2, v6
	v_cmp_lt_u32_e32 vcc_lo, s20, v2
	v_cmpx_ge_u32_e64 s20, v2
	s_cbranch_execz .LBB1665_96
; %bb.95:
	v_dual_add_nc_u32 v2, s22, v10 :: v_dual_add_nc_u32 v6, s42, v10
	s_delay_alu instid0(VALU_DEP_1) | instskip(NEXT) | instid1(VALU_DEP_2)
	v_mul_lo_u32 v2, v2, s21
	v_mul_lo_u32 v6, v6, s23
	s_delay_alu instid0(VALU_DEP_1) | instskip(NEXT) | instid1(VALU_DEP_1)
	v_sub_nc_u32_e32 v2, v2, v6
	v_cmp_lt_u32_e64 s0, s43, v2
	s_and_b32 s2, s0, exec_lo
.LBB1665_96:
	s_or_b32 exec_lo, exec_lo, s3
	v_dual_lshrrev_b32 v2, 24, v5 :: v_dual_lshrrev_b32 v8, 8, v3
	v_cndmask_b32_e64 v6, 0, 1, s2
	v_cndmask_b32_e64 v7, 0, 1, vcc_lo
	v_lshlrev_b16 v4, 8, v4
	s_delay_alu instid0(VALU_DEP_4)
	v_lshlrev_b16 v2, 8, v2
	v_lshrrev_b32_e32 v9, 16, v3
	v_lshlrev_b16 v6, 8, v6
	v_lshlrev_b16 v8, 8, v8
	v_bitop3_b16 v4, v5, v4, 0xff bitop3:0xec
	v_or_b32_e32 v2, v7, v2
	s_delay_alu instid0(VALU_DEP_4) | instskip(NEXT) | instid1(VALU_DEP_4)
	v_bitop3_b16 v5, v9, v6, 0xff bitop3:0xec
	v_bitop3_b16 v3, v3, v8, 0xff bitop3:0xec
	s_delay_alu instid0(VALU_DEP_4) | instskip(NEXT) | instid1(VALU_DEP_3)
	v_and_b32_e32 v4, 0xffff, v4
	v_dual_lshlrev_b32 v2, 16, v2 :: v_dual_lshlrev_b32 v5, 16, v5
	s_delay_alu instid0(VALU_DEP_3) | instskip(NEXT) | instid1(VALU_DEP_2)
	v_and_b32_e32 v3, 0xffff, v3
	v_or_b32_e32 v2, v4, v2
	s_delay_alu instid0(VALU_DEP_2)
	v_or_b32_e32 v35, v3, v5
.LBB1665_97:
	s_or_b32 exec_lo, exec_lo, s1
	v_dual_mov_b32 v34, 0 :: v_dual_add_nc_u32 v3, 11, v30
	s_mov_b32 s0, exec_lo
                                        ; implicit-def: $vgpr36
	s_delay_alu instid0(VALU_DEP_1)
	v_cmpx_le_u32_e64 s6, v3
	s_xor_b32 s0, exec_lo, s0
; %bb.98:
	v_and_b32_e32 v3, 0xff0000, v2
	v_perm_b32 v1, v1, v1, 0x3060504
	s_delay_alu instid0(VALU_DEP_2)
	v_perm_b32 v36, v2, v3, 0x3020504
                                        ; implicit-def: $vgpr2
; %bb.99:
	s_and_not1_saveexec_b32 s1, s0
	s_cbranch_execz .LBB1665_103
; %bb.100:
	v_dual_add_nc_u32 v3, s17, v11 :: v_dual_add_nc_u32 v4, s19, v11
	s_mov_b32 s2, 0
	s_mov_b32 s3, exec_lo
	s_delay_alu instid0(VALU_DEP_1) | instskip(NEXT) | instid1(VALU_DEP_2)
	v_mul_lo_u32 v3, v3, s16
	v_mul_lo_u32 v4, v4, s18
	s_delay_alu instid0(VALU_DEP_1) | instskip(NEXT) | instid1(VALU_DEP_1)
	v_sub_nc_u32_e32 v3, v3, v4
	v_cmp_lt_u32_e32 vcc_lo, s20, v3
	v_cmpx_ge_u32_e64 s20, v3
	s_cbranch_execz .LBB1665_102
; %bb.101:
	v_dual_add_nc_u32 v3, s22, v11 :: v_dual_add_nc_u32 v4, s42, v11
	s_delay_alu instid0(VALU_DEP_1) | instskip(NEXT) | instid1(VALU_DEP_2)
	v_mul_lo_u32 v3, v3, s21
	v_mul_lo_u32 v4, v4, s23
	s_delay_alu instid0(VALU_DEP_1) | instskip(NEXT) | instid1(VALU_DEP_1)
	v_sub_nc_u32_e32 v3, v3, v4
	v_cmp_lt_u32_e64 s0, s43, v3
	s_and_b32 s2, s0, exec_lo
.LBB1665_102:
	s_or_b32 exec_lo, exec_lo, s3
	v_cndmask_b32_e64 v3, 0, 1, vcc_lo
	v_dual_lshrrev_b32 v4, 8, v2 :: v_dual_lshrrev_b32 v5, 16, v2
	v_cndmask_b32_e64 v34, 0, 1, s2
	s_delay_alu instid0(VALU_DEP_3) | instskip(NEXT) | instid1(VALU_DEP_3)
	v_lshlrev_b16 v3, 8, v3
	v_lshlrev_b16 v4, 8, v4
	s_delay_alu instid0(VALU_DEP_2) | instskip(NEXT) | instid1(VALU_DEP_2)
	v_bitop3_b16 v3, v5, v3, 0xff bitop3:0xec
	v_bitop3_b16 v2, v2, v4, 0xff bitop3:0xec
	s_delay_alu instid0(VALU_DEP_2) | instskip(NEXT) | instid1(VALU_DEP_2)
	v_lshlrev_b32_e32 v3, 16, v3
	v_and_b32_e32 v2, 0xffff, v2
	s_delay_alu instid0(VALU_DEP_1)
	v_or_b32_e32 v36, v2, v3
.LBB1665_103:
	s_or_b32 exec_lo, exec_lo, s1
	v_dual_add_nc_u32 v4, 12, v30 :: v_dual_lshrrev_b32 v2, 8, v1
	v_dual_lshrrev_b32 v3, 16, v1 :: v_dual_lshrrev_b32 v1, 24, v1
	s_mov_b32 s0, exec_lo
                                        ; implicit-def: $vgpr37
	s_delay_alu instid0(VALU_DEP_2)
	v_cmpx_le_u32_e64 s6, v4
	s_xor_b32 s0, exec_lo, s0
; %bb.104:
	s_delay_alu instid0(VALU_DEP_2) | instskip(SKIP_1) | instid1(VALU_DEP_2)
	v_lshlrev_b16 v1, 8, v1
	v_lshlrev_b16 v2, 8, v2
	v_bitop3_b16 v1, v3, v1, 0xff bitop3:0xec
	s_delay_alu instid0(VALU_DEP_2) | instskip(NEXT) | instid1(VALU_DEP_2)
	v_and_b32_e32 v2, 0xffff, v2
                                        ; implicit-def: $vgpr3
	v_lshlrev_b32_e32 v1, 16, v1
	s_delay_alu instid0(VALU_DEP_1)
	v_or_b32_e32 v37, v2, v1
                                        ; implicit-def: $vgpr1
                                        ; implicit-def: $vgpr2
; %bb.105:
	s_or_saveexec_b32 s1, s0
	v_mov_b32_e32 v38, 0
	s_xor_b32 exec_lo, exec_lo, s1
	s_cbranch_execz .LBB1665_109
; %bb.106:
	v_dual_add_nc_u32 v4, s19, v28 :: v_dual_add_nc_u32 v5, s17, v28
	s_mov_b32 s2, 0
	s_mov_b32 s3, exec_lo
	s_delay_alu instid0(VALU_DEP_1) | instskip(NEXT) | instid1(VALU_DEP_2)
	v_mul_lo_u32 v4, v4, s18
	v_mul_lo_u32 v5, v5, s16
	s_delay_alu instid0(VALU_DEP_1) | instskip(NEXT) | instid1(VALU_DEP_1)
	v_sub_nc_u32_e32 v4, v5, v4
	v_cmp_lt_u32_e32 vcc_lo, s20, v4
	v_cmpx_ge_u32_e64 s20, v4
	s_cbranch_execz .LBB1665_108
; %bb.107:
	v_dual_add_nc_u32 v4, s42, v28 :: v_dual_add_nc_u32 v5, s22, v28
	s_delay_alu instid0(VALU_DEP_1) | instskip(NEXT) | instid1(VALU_DEP_2)
	v_mul_lo_u32 v4, v4, s23
	v_mul_lo_u32 v5, v5, s21
	s_delay_alu instid0(VALU_DEP_1) | instskip(NEXT) | instid1(VALU_DEP_1)
	v_sub_nc_u32_e32 v4, v5, v4
	v_cmp_lt_u32_e64 s0, s43, v4
	s_and_b32 s2, s0, exec_lo
.LBB1665_108:
	s_or_b32 exec_lo, exec_lo, s3
	v_cndmask_b32_e64 v4, 0, 1, vcc_lo
	v_lshlrev_b16 v1, 8, v1
	v_lshlrev_b16 v2, 8, v2
	v_cndmask_b32_e64 v38, 0, 1, s2
	s_delay_alu instid0(VALU_DEP_3) | instskip(NEXT) | instid1(VALU_DEP_1)
	v_bitop3_b16 v1, v3, v1, 0xff bitop3:0xec
	v_dual_lshlrev_b32 v1, 16, v1 :: v_dual_bitop2_b32 v2, v4, v2 bitop3:0x54
	s_delay_alu instid0(VALU_DEP_1) | instskip(NEXT) | instid1(VALU_DEP_1)
	v_and_b32_e32 v2, 0xffff, v2
	v_or_b32_e32 v37, v2, v1
.LBB1665_109:
	s_or_b32 exec_lo, exec_lo, s1
.LBB1665_110:
	v_and_b32_e32 v61, 0xff, v31
	s_delay_alu instid0(VALU_DEP_2)
	v_bfe_u32 v62, v37, 8, 8
	v_bfe_u32 v59, v31, 8, 8
	;; [unrolled: 1-line block ×4, first 2 shown]
	v_dual_lshrrev_b32 v44, 24, v37 :: v_dual_lshrrev_b32 v43, 24, v31
	v_and_b32_e32 v57, 0xff, v32
	v_and_b32_e32 v55, 0xff, v33
	v_bfe_u32 v56, v32, 8, 8
	v_add3_u32 v1, v59, v61, v58
	v_add3_u32 v2, v60, v62, v44
	v_bfe_u32 v53, v33, 8, 8
	v_bfe_u32 v54, v32, 16, 8
	v_bfe_u32 v51, v33, 16, 8
	v_dual_lshrrev_b32 v42, 24, v32 :: v_dual_lshrrev_b32 v41, 24, v33
	v_add3_u32 v1, v1, v43, v55
	v_add3_u32 v2, v2, v57, v56
	v_and_b32_e32 v52, 0xff, v35
	v_and_b32_e32 v48, 0xff, v36
	v_bfe_u32 v50, v35, 8, 8
	v_add3_u32 v1, v1, v53, v51
	v_add3_u32 v2, v2, v54, v42
	v_bfe_u32 v47, v36, 8, 8
	v_bfe_u32 v49, v35, 16, 8
	;; [unrolled: 1-line block ×3, first 2 shown]
	v_dual_lshrrev_b32 v40, 24, v35 :: v_dual_lshrrev_b32 v39, 24, v36
	v_add3_u32 v1, v1, v41, v48
	v_add3_u32 v2, v2, v52, v50
	v_mbcnt_lo_u32_b32 v63, -1, 0
	v_and_b32_e32 v45, 0xff, v34
	v_and_b32_e32 v3, 0xff, v37
	;; [unrolled: 1-line block ×3, first 2 shown]
	v_add3_u32 v1, v1, v47, v46
	v_add3_u32 v2, v2, v49, v40
	v_dual_lshrrev_b32 v64, 5, v0 :: v_dual_bitop2_b32 v65, 15, v63 bitop3:0x40
	v_and_b32_e32 v67, 16, v63
	s_delay_alu instid0(VALU_DEP_4) | instskip(NEXT) | instid1(VALU_DEP_4)
	v_add3_u32 v68, v1, v39, v3
	v_add3_u32 v69, v2, v45, v4
	s_wait_xcnt 0x0
	v_cmp_eq_u32_e64 s1, 0, v65
	v_cmp_lt_u32_e64 s0, 1, v65
	v_cmp_lt_u32_e64 s2, 3, v65
	v_or_b32_e32 v66, 31, v0
	s_cmp_lg_u32 s33, 0
	s_mov_b32 s3, -1
	v_cmp_lt_u32_e32 vcc_lo, 7, v65
	s_cbranch_scc0 .LBB1665_131
; %bb.111:
	v_mov_b32_dpp v1, v69 row_shr:1 row_mask:0xf bank_mask:0xf
	v_mov_b32_dpp v2, v68 row_shr:1 row_mask:0xf bank_mask:0xf
	s_mov_b32 s3, exec_lo
	s_delay_alu instid0(VALU_DEP_1) | instskip(NEXT) | instid1(VALU_DEP_1)
	v_dual_add_nc_u32 v1, v1, v69 :: v_dual_add_nc_u32 v2, v2, v68
	v_dual_cndmask_b32 v1, v1, v69, s1 :: v_dual_cndmask_b32 v2, v2, v68, s1
	s_delay_alu instid0(VALU_DEP_1) | instskip(NEXT) | instid1(VALU_DEP_2)
	v_mov_b32_dpp v3, v1 row_shr:2 row_mask:0xf bank_mask:0xf
	v_mov_b32_dpp v4, v2 row_shr:2 row_mask:0xf bank_mask:0xf
	s_delay_alu instid0(VALU_DEP_1) | instskip(NEXT) | instid1(VALU_DEP_1)
	v_dual_add_nc_u32 v3, v1, v3 :: v_dual_add_nc_u32 v4, v2, v4
	v_dual_cndmask_b32 v1, v1, v3, s0 :: v_dual_cndmask_b32 v2, v2, v4, s0
	s_delay_alu instid0(VALU_DEP_1) | instskip(NEXT) | instid1(VALU_DEP_2)
	v_mov_b32_dpp v3, v1 row_shr:4 row_mask:0xf bank_mask:0xf
	v_mov_b32_dpp v4, v2 row_shr:4 row_mask:0xf bank_mask:0xf
	;; [unrolled: 6-line block ×3, first 2 shown]
	s_delay_alu instid0(VALU_DEP_1) | instskip(NEXT) | instid1(VALU_DEP_1)
	v_dual_add_nc_u32 v3, v1, v3 :: v_dual_add_nc_u32 v4, v2, v4
	v_dual_cndmask_b32 v1, v1, v3 :: v_dual_cndmask_b32 v2, v2, v4
	v_cmp_eq_u32_e32 vcc_lo, 0, v67
	ds_swizzle_b32 v3, v1 offset:swizzle(BROADCAST,32,15)
	ds_swizzle_b32 v4, v2 offset:swizzle(BROADCAST,32,15)
	s_wait_dscnt 0x0
	v_dual_add_nc_u32 v3, v1, v3 :: v_dual_add_nc_u32 v4, v2, v4
	v_cmpx_eq_u32_e64 v0, v66
; %bb.112:
	s_delay_alu instid0(VALU_DEP_2) | instskip(NEXT) | instid1(VALU_DEP_3)
	v_dual_lshlrev_b32 v5, 3, v64 :: v_dual_cndmask_b32 v7, v3, v1, vcc_lo
	v_cndmask_b32_e32 v6, v4, v2, vcc_lo
	ds_store_b64 v5, v[6:7]
; %bb.113:
	s_or_b32 exec_lo, exec_lo, s3
	s_delay_alu instid0(SALU_CYCLE_1)
	s_mov_b32 s3, exec_lo
	s_wait_dscnt 0x0
	s_barrier_signal -1
	s_barrier_wait -1
	v_cmpx_gt_u32_e32 8, v0
	s_cbranch_execz .LBB1665_115
; %bb.114:
	v_dual_lshlrev_b32 v5, 3, v0 :: v_dual_bitop2_b32 v22, 7, v63 bitop3:0x40
	ds_load_b64 v[6:7], v5
	v_cmp_eq_u32_e64 s2, 0, v22
	s_wait_dscnt 0x0
	v_mov_b32_dpp v8, v6 row_shr:1 row_mask:0xf bank_mask:0xf
	v_mov_b32_dpp v9, v7 row_shr:1 row_mask:0xf bank_mask:0xf
	s_delay_alu instid0(VALU_DEP_1) | instskip(NEXT) | instid1(VALU_DEP_1)
	v_dual_add_nc_u32 v8, v8, v6 :: v_dual_add_nc_u32 v9, v9, v7
	v_dual_cndmask_b32 v6, v8, v6, s2 :: v_dual_cndmask_b32 v7, v9, v7, s2
	v_cmp_lt_u32_e64 s2, 1, v22
	s_delay_alu instid0(VALU_DEP_2) | instskip(NEXT) | instid1(VALU_DEP_3)
	v_mov_b32_dpp v8, v6 row_shr:2 row_mask:0xf bank_mask:0xf
	v_mov_b32_dpp v9, v7 row_shr:2 row_mask:0xf bank_mask:0xf
	s_delay_alu instid0(VALU_DEP_1) | instskip(NEXT) | instid1(VALU_DEP_1)
	v_dual_add_nc_u32 v8, v6, v8 :: v_dual_add_nc_u32 v9, v7, v9
	v_dual_cndmask_b32 v6, v6, v8, s2 :: v_dual_cndmask_b32 v7, v7, v9, s2
	v_cmp_lt_u32_e64 s2, 3, v22
	s_delay_alu instid0(VALU_DEP_2) | instskip(NEXT) | instid1(VALU_DEP_3)
	v_mov_b32_dpp v8, v6 row_shr:4 row_mask:0xf bank_mask:0xf
	v_mov_b32_dpp v9, v7 row_shr:4 row_mask:0xf bank_mask:0xf
	s_delay_alu instid0(VALU_DEP_1) | instskip(NEXT) | instid1(VALU_DEP_1)
	v_dual_cndmask_b32 v8, 0, v8, s2 :: v_dual_cndmask_b32 v9, 0, v9, s2
	v_dual_add_nc_u32 v6, v8, v6 :: v_dual_add_nc_u32 v7, v9, v7
	ds_store_b64 v5, v[6:7]
.LBB1665_115:
	s_or_b32 exec_lo, exec_lo, s3
	v_dual_cndmask_b32 v1, v3, v1 :: v_dual_cndmask_b32 v2, v4, v2
	s_mov_b32 s3, exec_lo
	v_cmp_gt_u32_e32 vcc_lo, 32, v0
	s_wait_dscnt 0x0
	s_barrier_signal -1
	s_barrier_wait -1
                                        ; implicit-def: $vgpr22
	v_cmpx_lt_u32_e32 31, v0
	s_cbranch_execz .LBB1665_117
; %bb.116:
	v_lshl_add_u32 v3, v64, 3, -8
	ds_load_b64 v[22:23], v3
	s_wait_dscnt 0x0
	v_dual_add_nc_u32 v1, v23, v1 :: v_dual_add_nc_u32 v2, v22, v2
.LBB1665_117:
	s_or_b32 exec_lo, exec_lo, s3
	v_sub_co_u32 v3, s2, v63, 1
	s_delay_alu instid0(VALU_DEP_1) | instskip(NEXT) | instid1(VALU_DEP_1)
	v_cmp_gt_i32_e64 s3, 0, v3
	v_cndmask_b32_e64 v3, v3, v63, s3
	s_delay_alu instid0(VALU_DEP_1)
	v_lshlrev_b32_e32 v3, 2, v3
	ds_bpermute_b32 v70, v3, v2
	ds_bpermute_b32 v1, v3, v1
	s_and_saveexec_b32 s3, vcc_lo
	s_cbranch_execz .LBB1665_136
; %bb.118:
	v_mov_b32_e32 v5, 0
	ds_load_b64 v[2:3], v5 offset:56
	s_and_saveexec_b32 s7, s2
	s_cbranch_execz .LBB1665_120
; %bb.119:
	s_add_co_i32 s8, s33, 32
	s_mov_b32 s9, 0
	v_mov_b32_e32 v4, 1
	s_lshl_b64 s[8:9], s[8:9], 4
	s_wait_kmcnt 0x0
	s_add_nc_u64 s[8:9], s[4:5], s[8:9]
	s_delay_alu instid0(SALU_CYCLE_1)
	v_mov_b64_e32 v[6:7], s[8:9]
	s_wait_dscnt 0x0
	;;#ASMSTART
	global_store_b128 v[6:7], v[2:5] off scope:SCOPE_DEV	
s_wait_storecnt 0x0
	;;#ASMEND
.LBB1665_120:
	s_or_b32 exec_lo, exec_lo, s7
	v_xad_u32 v24, v63, -1, s33
	s_mov_b32 s8, 0
	s_mov_b32 s7, exec_lo
	s_delay_alu instid0(VALU_DEP_1) | instskip(SKIP_1) | instid1(VALU_DEP_1)
	v_add_nc_u32_e32 v4, 32, v24
	s_wait_kmcnt 0x0
	v_lshl_add_u64 v[4:5], v[4:5], 4, s[4:5]
	;;#ASMSTART
	global_load_b128 v[6:9], v[4:5] off scope:SCOPE_DEV	
s_wait_loadcnt 0x0
	;;#ASMEND
	v_and_b32_e32 v9, 0xff, v8
	s_delay_alu instid0(VALU_DEP_1)
	v_cmpx_eq_u16_e32 0, v9
	s_cbranch_execz .LBB1665_123
.LBB1665_121:                           ; =>This Inner Loop Header: Depth=1
	;;#ASMSTART
	global_load_b128 v[6:9], v[4:5] off scope:SCOPE_DEV	
s_wait_loadcnt 0x0
	;;#ASMEND
	v_and_b32_e32 v9, 0xff, v8
	s_delay_alu instid0(VALU_DEP_1) | instskip(SKIP_1) | instid1(SALU_CYCLE_1)
	v_cmp_ne_u16_e32 vcc_lo, 0, v9
	s_or_b32 s8, vcc_lo, s8
	s_and_not1_b32 exec_lo, exec_lo, s8
	s_cbranch_execnz .LBB1665_121
; %bb.122:
	s_or_b32 exec_lo, exec_lo, s8
.LBB1665_123:
	s_delay_alu instid0(SALU_CYCLE_1)
	s_or_b32 exec_lo, exec_lo, s7
	v_cmp_ne_u32_e32 vcc_lo, 31, v63
	v_lshlrev_b32_e64 v72, v63, -1
	v_lshl_or_b32 v79, v63, 2, 64
	v_dual_add_nc_u32 v76, 4, v63 :: v_dual_add_nc_u32 v80, 16, v63
	v_add_co_ci_u32_e64 v4, null, 0, v63, vcc_lo
	s_delay_alu instid0(VALU_DEP_1)
	v_lshlrev_b32_e32 v71, 2, v4
	v_and_b32_e32 v4, 0xff, v8
	ds_bpermute_b32 v5, v71, v7
	v_cmp_eq_u16_e32 vcc_lo, 2, v4
	s_wait_dscnt 0x0
	v_add_nc_u32_e32 v5, v5, v7
	ds_bpermute_b32 v4, v71, v6
	v_and_b32_e32 v9, vcc_lo, v72
	v_cmp_gt_u32_e32 vcc_lo, 30, v63
	v_cndmask_b32_e64 v25, 0, 2, vcc_lo
	s_delay_alu instid0(VALU_DEP_1) | instskip(SKIP_3) | instid1(VALU_DEP_1)
	v_add_lshl_u32 v73, v25, v63, 2
	s_wait_dscnt 0x0
	v_add_nc_u32_e32 v4, v4, v6
	v_or_b32_e32 v9, 0x80000000, v9
	v_ctz_i32_b32_e32 v9, v9
	s_delay_alu instid0(VALU_DEP_1) | instskip(NEXT) | instid1(VALU_DEP_4)
	v_cmp_lt_u32_e32 vcc_lo, v63, v9
	v_dual_cndmask_b32 v5, v7, v5 :: v_dual_cndmask_b32 v4, v6, v4
	v_cmp_gt_u32_e32 vcc_lo, 28, v63
	ds_bpermute_b32 v6, v73, v5
	ds_bpermute_b32 v7, v73, v4
	v_add_nc_u32_e32 v74, 2, v63
	v_cndmask_b32_e64 v25, 0, 4, vcc_lo
	s_delay_alu instid0(VALU_DEP_1) | instskip(SKIP_4) | instid1(VALU_DEP_2)
	v_add_lshl_u32 v75, v25, v63, 2
	s_wait_dscnt 0x1
	v_add_nc_u32_e32 v6, v5, v6
	v_cmp_gt_u32_e32 vcc_lo, v74, v9
	s_wait_dscnt 0x0
	v_dual_add_nc_u32 v7, v4, v7 :: v_dual_cndmask_b32 v5, v6, v5, vcc_lo
	s_delay_alu instid0(VALU_DEP_1)
	v_cndmask_b32_e32 v4, v7, v4, vcc_lo
	v_cmp_gt_u32_e32 vcc_lo, 24, v63
	ds_bpermute_b32 v6, v75, v5
	ds_bpermute_b32 v7, v75, v4
	v_cndmask_b32_e64 v25, 0, 8, vcc_lo
	v_cmp_gt_u32_e32 vcc_lo, v76, v9
	s_delay_alu instid0(VALU_DEP_2) | instskip(SKIP_3) | instid1(VALU_DEP_1)
	v_add_lshl_u32 v77, v25, v63, 2
	s_wait_dscnt 0x1
	v_dual_mov_b32 v25, 0 :: v_dual_add_nc_u32 v6, v5, v6
	s_wait_dscnt 0x0
	v_dual_add_nc_u32 v7, v4, v7 :: v_dual_cndmask_b32 v5, v6, v5, vcc_lo
	s_delay_alu instid0(VALU_DEP_1) | instskip(SKIP_4) | instid1(VALU_DEP_1)
	v_cndmask_b32_e32 v4, v7, v4, vcc_lo
	ds_bpermute_b32 v6, v77, v5
	ds_bpermute_b32 v7, v77, v4
	s_wait_dscnt 0x1
	v_dual_add_nc_u32 v78, 8, v63 :: v_dual_add_nc_u32 v6, v5, v6
	v_cmp_gt_u32_e32 vcc_lo, v78, v9
	s_wait_dscnt 0x0
	s_delay_alu instid0(VALU_DEP_2) | instskip(NEXT) | instid1(VALU_DEP_1)
	v_dual_add_nc_u32 v7, v4, v7 :: v_dual_cndmask_b32 v5, v6, v5, vcc_lo
	v_cndmask_b32_e32 v4, v7, v4, vcc_lo
	v_cmp_le_u32_e32 vcc_lo, v80, v9
	ds_bpermute_b32 v7, v79, v5
	ds_bpermute_b32 v6, v79, v4
	s_wait_dscnt 0x0
	v_dual_cndmask_b32 v7, 0, v7 :: v_dual_cndmask_b32 v6, 0, v6
	s_delay_alu instid0(VALU_DEP_1)
	v_dual_add_nc_u32 v7, v7, v5 :: v_dual_add_nc_u32 v6, v6, v4
	s_branch .LBB1665_127
.LBB1665_124:                           ;   in Loop: Header=BB1665_127 Depth=1
	s_or_b32 exec_lo, exec_lo, s8
.LBB1665_125:                           ;   in Loop: Header=BB1665_127 Depth=1
	s_delay_alu instid0(SALU_CYCLE_1)
	s_or_b32 exec_lo, exec_lo, s7
	ds_bpermute_b32 v9, v71, v6
	ds_bpermute_b32 v26, v71, v7
	v_and_b32_e32 v27, 0xff, v8
	v_subrev_nc_u32_e32 v24, 32, v24
	s_mov_b32 s7, 0
	s_delay_alu instid0(VALU_DEP_2) | instskip(SKIP_1) | instid1(VALU_DEP_1)
	v_cmp_eq_u16_e32 vcc_lo, 2, v27
	v_and_or_b32 v27, vcc_lo, v72, 0x80000000
	v_ctz_i32_b32_e32 v27, v27
	s_wait_dscnt 0x0
	v_dual_add_nc_u32 v9, v9, v6 :: v_dual_add_nc_u32 v26, v26, v7
	s_delay_alu instid0(VALU_DEP_2) | instskip(NEXT) | instid1(VALU_DEP_2)
	v_cmp_lt_u32_e32 vcc_lo, v63, v27
	v_dual_cndmask_b32 v7, v7, v26 :: v_dual_cndmask_b32 v6, v6, v9
	v_cmp_gt_u32_e32 vcc_lo, v74, v27
	ds_bpermute_b32 v26, v73, v7
	ds_bpermute_b32 v9, v73, v6
	s_wait_dscnt 0x0
	v_dual_add_nc_u32 v26, v7, v26 :: v_dual_add_nc_u32 v9, v6, v9
	s_delay_alu instid0(VALU_DEP_1)
	v_dual_cndmask_b32 v7, v26, v7 :: v_dual_cndmask_b32 v6, v9, v6
	v_cmp_gt_u32_e32 vcc_lo, v76, v27
	ds_bpermute_b32 v26, v75, v7
	ds_bpermute_b32 v9, v75, v6
	s_wait_dscnt 0x0
	v_dual_add_nc_u32 v26, v7, v26 :: v_dual_add_nc_u32 v9, v6, v9
	s_delay_alu instid0(VALU_DEP_1)
	v_dual_cndmask_b32 v7, v26, v7 :: v_dual_cndmask_b32 v6, v9, v6
	v_cmp_gt_u32_e32 vcc_lo, v78, v27
	ds_bpermute_b32 v26, v77, v7
	ds_bpermute_b32 v9, v77, v6
	s_wait_dscnt 0x0
	v_dual_add_nc_u32 v26, v7, v26 :: v_dual_add_nc_u32 v9, v6, v9
	s_delay_alu instid0(VALU_DEP_1)
	v_dual_cndmask_b32 v7, v26, v7 :: v_dual_cndmask_b32 v6, v9, v6
	v_cmp_le_u32_e32 vcc_lo, v80, v27
	ds_bpermute_b32 v26, v79, v7
	ds_bpermute_b32 v9, v79, v6
	s_wait_dscnt 0x0
	v_dual_cndmask_b32 v26, 0, v26 :: v_dual_cndmask_b32 v9, 0, v9
	s_delay_alu instid0(VALU_DEP_1) | instskip(NEXT) | instid1(VALU_DEP_2)
	v_add3_u32 v7, v7, v5, v26
	v_add3_u32 v6, v6, v4, v9
.LBB1665_126:                           ;   in Loop: Header=BB1665_127 Depth=1
	s_and_b32 vcc_lo, exec_lo, s7
	s_cbranch_vccnz .LBB1665_132
.LBB1665_127:                           ; =>This Loop Header: Depth=1
                                        ;     Child Loop BB1665_130 Depth 2
	v_and_b32_e32 v4, 0xff, v8
	s_mov_b32 s7, -1
                                        ; implicit-def: $vgpr8
	s_delay_alu instid0(VALU_DEP_1)
	v_cmp_ne_u16_e32 vcc_lo, 2, v4
	v_mov_b64_e32 v[4:5], v[6:7]
                                        ; implicit-def: $vgpr6_vgpr7
	s_cmp_lg_u32 vcc_lo, exec_lo
	s_cbranch_scc1 .LBB1665_126
; %bb.128:                              ;   in Loop: Header=BB1665_127 Depth=1
	v_lshl_add_u64 v[26:27], v[24:25], 4, s[4:5]
	;;#ASMSTART
	global_load_b128 v[6:9], v[26:27] off scope:SCOPE_DEV	
s_wait_loadcnt 0x0
	;;#ASMEND
	v_and_b32_e32 v9, 0xff, v8
	s_mov_b32 s7, exec_lo
	s_delay_alu instid0(VALU_DEP_1)
	v_cmpx_eq_u16_e32 0, v9
	s_cbranch_execz .LBB1665_125
; %bb.129:                              ;   in Loop: Header=BB1665_127 Depth=1
	s_mov_b32 s8, 0
.LBB1665_130:                           ;   Parent Loop BB1665_127 Depth=1
                                        ; =>  This Inner Loop Header: Depth=2
	;;#ASMSTART
	global_load_b128 v[6:9], v[26:27] off scope:SCOPE_DEV	
s_wait_loadcnt 0x0
	;;#ASMEND
	v_and_b32_e32 v9, 0xff, v8
	s_delay_alu instid0(VALU_DEP_1) | instskip(SKIP_1) | instid1(SALU_CYCLE_1)
	v_cmp_ne_u16_e32 vcc_lo, 0, v9
	s_or_b32 s8, vcc_lo, s8
	s_and_not1_b32 exec_lo, exec_lo, s8
	s_cbranch_execnz .LBB1665_130
	s_branch .LBB1665_124
.LBB1665_131:
                                        ; implicit-def: $vgpr1
                                        ; implicit-def: $vgpr4
                                        ; implicit-def: $vgpr6
                                        ; implicit-def: $vgpr8
                                        ; implicit-def: $vgpr22
	s_and_b32 vcc_lo, exec_lo, s3
	s_cbranch_vccnz .LBB1665_137
	s_branch .LBB1665_146
.LBB1665_132:
	s_and_saveexec_b32 s7, s2
	s_cbranch_execz .LBB1665_134
; %bb.133:
	s_add_co_i32 s8, s33, 32
	s_mov_b32 s9, 0
	v_dual_mov_b32 v8, 2 :: v_dual_mov_b32 v9, 0
	s_lshl_b64 s[8:9], s[8:9], 4
	v_dual_add_nc_u32 v7, v5, v3 :: v_dual_add_nc_u32 v6, v4, v2
	s_add_nc_u64 s[8:9], s[4:5], s[8:9]
	s_delay_alu instid0(SALU_CYCLE_1)
	v_mov_b64_e32 v[24:25], s[8:9]
	;;#ASMSTART
	global_store_b128 v[24:25], v[6:9] off scope:SCOPE_DEV	
s_wait_storecnt 0x0
	;;#ASMEND
	ds_store_b128 v9, v[2:5] offset:13312
.LBB1665_134:
	s_or_b32 exec_lo, exec_lo, s7
	v_cmp_eq_u32_e32 vcc_lo, 0, v0
	s_and_b32 exec_lo, exec_lo, vcc_lo
; %bb.135:
	v_mov_b32_e32 v2, 0
	ds_store_b64 v2, v[4:5] offset:56
.LBB1665_136:
	s_or_b32 exec_lo, exec_lo, s3
	s_wait_dscnt 0x0
	v_dual_mov_b32 v2, 0 :: v_dual_cndmask_b32 v1, v1, v23, s2
	s_barrier_signal -1
	s_barrier_wait -1
	ds_load_b64 v[8:9], v2 offset:56
	s_wait_dscnt 0x0
	s_barrier_signal -1
	s_barrier_wait -1
	ds_load_b128 v[2:5], v2 offset:13312
	v_cndmask_b32_e64 v6, v70, v22, s2
	v_cmp_eq_u32_e32 vcc_lo, 0, v0
	s_delay_alu instid0(VALU_DEP_2) | instskip(SKIP_2) | instid1(VALU_DEP_2)
	v_dual_add_nc_u32 v1, v9, v1 :: v_dual_add_nc_u32 v7, v8, v6
	s_wait_dscnt 0x0
	v_mov_b32_e32 v6, v5
	v_dual_cndmask_b32 v1, v1, v9 :: v_dual_cndmask_b32 v22, v7, v8
	v_mov_b32_e32 v8, v3
	s_branch .LBB1665_146
.LBB1665_137:
	v_mov_b32_dpp v1, v68 row_shr:1 row_mask:0xf bank_mask:0xf
	v_mov_b32_dpp v2, v69 row_shr:1 row_mask:0xf bank_mask:0xf
	v_cmp_lt_u32_e32 vcc_lo, 3, v65
	s_delay_alu instid0(VALU_DEP_2) | instskip(NEXT) | instid1(VALU_DEP_1)
	v_dual_add_nc_u32 v1, v1, v68 :: v_dual_add_nc_u32 v2, v2, v69
	v_dual_cndmask_b32 v1, v1, v68, s1 :: v_dual_cndmask_b32 v2, v2, v69, s1
	s_mov_b32 s1, exec_lo
	s_delay_alu instid0(VALU_DEP_1) | instskip(NEXT) | instid1(VALU_DEP_2)
	v_mov_b32_dpp v3, v1 row_shr:2 row_mask:0xf bank_mask:0xf
	v_mov_b32_dpp v4, v2 row_shr:2 row_mask:0xf bank_mask:0xf
	s_delay_alu instid0(VALU_DEP_1) | instskip(NEXT) | instid1(VALU_DEP_1)
	v_dual_add_nc_u32 v3, v1, v3 :: v_dual_add_nc_u32 v4, v2, v4
	v_dual_cndmask_b32 v1, v1, v3, s0 :: v_dual_cndmask_b32 v2, v2, v4, s0
	s_delay_alu instid0(VALU_DEP_1) | instskip(NEXT) | instid1(VALU_DEP_2)
	v_mov_b32_dpp v3, v1 row_shr:4 row_mask:0xf bank_mask:0xf
	v_mov_b32_dpp v4, v2 row_shr:4 row_mask:0xf bank_mask:0xf
	s_delay_alu instid0(VALU_DEP_1) | instskip(NEXT) | instid1(VALU_DEP_1)
	v_dual_add_nc_u32 v3, v1, v3 :: v_dual_add_nc_u32 v4, v2, v4
	v_dual_cndmask_b32 v3, v1, v3 :: v_dual_cndmask_b32 v2, v2, v4
	v_cmp_lt_u32_e32 vcc_lo, 7, v65
	s_delay_alu instid0(VALU_DEP_2) | instskip(NEXT) | instid1(VALU_DEP_3)
	v_mov_b32_dpp v1, v3 row_shr:8 row_mask:0xf bank_mask:0xf
	v_mov_b32_dpp v4, v2 row_shr:8 row_mask:0xf bank_mask:0xf
	s_delay_alu instid0(VALU_DEP_1) | instskip(NEXT) | instid1(VALU_DEP_1)
	v_dual_add_nc_u32 v5, v3, v1 :: v_dual_add_nc_u32 v1, v2, v4
	v_cndmask_b32_e32 v1, v2, v1, vcc_lo
	s_delay_alu instid0(VALU_DEP_2)
	v_cndmask_b32_e32 v2, v3, v5, vcc_lo
	v_cmp_eq_u32_e32 vcc_lo, 0, v67
	ds_swizzle_b32 v4, v2 offset:swizzle(BROADCAST,32,15)
	s_wait_dscnt 0x0
	v_add_nc_u32_e32 v4, v2, v4
	ds_swizzle_b32 v3, v1 offset:swizzle(BROADCAST,32,15)
	s_wait_dscnt 0x0
	v_add_nc_u32_e32 v3, v1, v3
	v_cmpx_eq_u32_e64 v0, v66
; %bb.138:
	s_delay_alu instid0(VALU_DEP_2)
	v_dual_cndmask_b32 v6, v4, v2 :: v_dual_cndmask_b32 v7, v3, v1
	v_lshlrev_b32_e32 v5, 3, v64
	ds_store_b64 v5, v[6:7]
; %bb.139:
	s_or_b32 exec_lo, exec_lo, s1
	s_delay_alu instid0(SALU_CYCLE_1)
	s_mov_b32 s1, exec_lo
	s_wait_dscnt 0x0
	s_barrier_signal -1
	s_barrier_wait -1
	v_cmpx_gt_u32_e32 8, v0
	s_cbranch_execz .LBB1665_141
; %bb.140:
	v_dual_lshlrev_b32 v5, 3, v0 :: v_dual_bitop2_b32 v22, 7, v63 bitop3:0x40
	ds_load_b64 v[6:7], v5
	v_cmp_eq_u32_e64 s0, 0, v22
	s_wait_dscnt 0x0
	v_mov_b32_dpp v8, v6 row_shr:1 row_mask:0xf bank_mask:0xf
	v_mov_b32_dpp v9, v7 row_shr:1 row_mask:0xf bank_mask:0xf
	s_delay_alu instid0(VALU_DEP_1) | instskip(NEXT) | instid1(VALU_DEP_1)
	v_dual_add_nc_u32 v8, v8, v6 :: v_dual_add_nc_u32 v9, v9, v7
	v_dual_cndmask_b32 v6, v8, v6, s0 :: v_dual_cndmask_b32 v7, v9, v7, s0
	v_cmp_lt_u32_e64 s0, 1, v22
	s_delay_alu instid0(VALU_DEP_2) | instskip(NEXT) | instid1(VALU_DEP_3)
	v_mov_b32_dpp v8, v6 row_shr:2 row_mask:0xf bank_mask:0xf
	v_mov_b32_dpp v9, v7 row_shr:2 row_mask:0xf bank_mask:0xf
	s_delay_alu instid0(VALU_DEP_1) | instskip(NEXT) | instid1(VALU_DEP_1)
	v_dual_add_nc_u32 v8, v6, v8 :: v_dual_add_nc_u32 v9, v7, v9
	v_dual_cndmask_b32 v6, v6, v8, s0 :: v_dual_cndmask_b32 v7, v7, v9, s0
	v_cmp_lt_u32_e64 s0, 3, v22
	s_delay_alu instid0(VALU_DEP_2) | instskip(NEXT) | instid1(VALU_DEP_3)
	v_mov_b32_dpp v8, v6 row_shr:4 row_mask:0xf bank_mask:0xf
	v_mov_b32_dpp v9, v7 row_shr:4 row_mask:0xf bank_mask:0xf
	s_delay_alu instid0(VALU_DEP_1) | instskip(NEXT) | instid1(VALU_DEP_1)
	v_dual_cndmask_b32 v8, 0, v8, s0 :: v_dual_cndmask_b32 v9, 0, v9, s0
	v_dual_add_nc_u32 v6, v8, v6 :: v_dual_add_nc_u32 v7, v9, v7
	ds_store_b64 v5, v[6:7]
.LBB1665_141:
	s_or_b32 exec_lo, exec_lo, s1
	v_dual_mov_b32 v5, 0 :: v_dual_mov_b32 v6, 0
	v_mov_b32_e32 v7, 0
	s_mov_b32 s1, exec_lo
	s_wait_dscnt 0x0
	s_barrier_signal -1
	s_barrier_wait -1
	v_cmpx_lt_u32_e32 31, v0
; %bb.142:
	v_lshl_add_u32 v6, v64, 3, -8
	ds_load_b64 v[6:7], v6
; %bb.143:
	s_or_b32 exec_lo, exec_lo, s1
	v_sub_co_u32 v8, s0, v63, 1
	v_dual_cndmask_b32 v2, v4, v2 :: v_dual_cndmask_b32 v1, v3, v1
	v_cmp_eq_u32_e32 vcc_lo, 0, v0
	s_delay_alu instid0(VALU_DEP_3) | instskip(SKIP_1) | instid1(VALU_DEP_1)
	v_cmp_gt_i32_e64 s1, 0, v8
	s_wait_dscnt 0x0
	v_dual_add_nc_u32 v2, v6, v2 :: v_dual_cndmask_b32 v4, v8, v63, s1
	s_delay_alu instid0(VALU_DEP_1)
	v_dual_lshlrev_b32 v3, 2, v4 :: v_dual_add_nc_u32 v4, v7, v1
	ds_bpermute_b32 v1, v3, v2
	ds_bpermute_b32 v8, v3, v4
	ds_load_b64 v[2:3], v5 offset:56
	s_and_saveexec_b32 s1, vcc_lo
	s_cbranch_execz .LBB1665_145
; %bb.144:
	s_wait_kmcnt 0x0
	s_add_nc_u64 s[2:3], s[4:5], 0x200
	v_dual_mov_b32 v4, 2 :: v_dual_mov_b32 v5, 0
	v_mov_b64_e32 v[22:23], s[2:3]
	s_wait_dscnt 0x0
	;;#ASMSTART
	global_store_b128 v[22:23], v[2:5] off scope:SCOPE_DEV	
s_wait_storecnt 0x0
	;;#ASMEND
.LBB1665_145:
	s_or_b32 exec_lo, exec_lo, s1
	s_wait_dscnt 0x1
	v_dual_cndmask_b32 v5, v8, v7, s0 :: v_dual_cndmask_b32 v7, v1, v6, s0
	v_dual_mov_b32 v6, 0 :: v_dual_mov_b32 v4, 0
	s_wait_dscnt 0x0
	v_mov_b32_e32 v8, v3
	s_delay_alu instid0(VALU_DEP_3)
	v_cndmask_b32_e64 v1, v5, 0, vcc_lo
	v_cndmask_b32_e64 v22, v7, 0, vcc_lo
	s_barrier_signal -1
	s_barrier_wait -1
.LBB1665_146:
	s_delay_alu instid0(VALU_DEP_1) | instskip(SKIP_1) | instid1(VALU_DEP_2)
	v_dual_add_nc_u32 v62, v1, v62 :: v_dual_add_nc_u32 v70, v22, v61
	v_dual_mov_b32 v5, 0 :: v_dual_lshrrev_b32 v68, 16, v37
	v_dual_lshrrev_b32 v3, 8, v37 :: v_dual_add_nc_u32 v71, v62, v60
	s_delay_alu instid0(VALU_DEP_3) | instskip(SKIP_1) | instid1(VALU_DEP_3)
	v_dual_add_nc_u32 v59, v70, v59 :: v_dual_lshlrev_b32 v60, 1, v2
	v_dual_sub_nc_u32 v72, v22, v4 :: v_dual_sub_nc_u32 v1, v1, v6
	v_dual_add_nc_u32 v73, v71, v44 :: v_dual_bitop2_b32 v74, 1, v31 bitop3:0x40
	s_delay_alu instid0(VALU_DEP_3) | instskip(NEXT) | instid1(VALU_DEP_3)
	v_dual_add_nc_u32 v58, v59, v58 :: v_dual_bitop2_b32 v75, 1, v3 bitop3:0x40
	v_dual_add_nc_u32 v1, v1, v2 :: v_dual_sub_nc_u32 v70, v70, v4
	s_delay_alu instid0(VALU_DEP_2)
	v_dual_add_nc_u32 v57, v73, v57 :: v_dual_add_nc_u32 v76, v58, v43
	v_mov_b32_e32 v61, v5
	s_wait_kmcnt 0x0
	v_add_nc_u64_e32 v[22:23], s[28:29], v[4:5]
	v_dual_mov_b32 v3, v5 :: v_dual_mov_b32 v7, v5
	v_dual_add_nc_u32 v55, v76, v55 :: v_dual_add_nc_u32 v56, v57, v56
	v_cmp_eq_u32_e32 vcc_lo, 1, v75
	v_dual_lshrrev_b32 v69, 8, v31 :: v_dual_lshrrev_b32 v67, 16, v31
	s_delay_alu instid0(VALU_DEP_3) | instskip(NEXT) | instid1(VALU_DEP_4)
	v_dual_add_nc_u32 v53, v55, v53 :: v_dual_mov_b32 v9, v5
	v_add_nc_u32_e32 v54, v56, v54
	v_add3_u32 v5, v60, v8, v30
	s_delay_alu instid0(VALU_DEP_3) | instskip(NEXT) | instid1(VALU_DEP_3)
	v_dual_sub_nc_u32 v62, v62, v6 :: v_dual_add_nc_u32 v51, v53, v51
	v_dual_add_nc_u32 v78, v72, v1 :: v_dual_add_nc_u32 v77, v54, v42
	s_delay_alu instid0(VALU_DEP_2) | instskip(NEXT) | instid1(VALU_DEP_2)
	v_dual_sub_nc_u32 v59, v59, v4 :: v_dual_add_nc_u32 v62, v62, v2
	v_dual_add_nc_u32 v79, v51, v41 :: v_dual_sub_nc_u32 v78, v5, v78
	s_delay_alu instid0(VALU_DEP_3) | instskip(SKIP_1) | instid1(VALU_DEP_3)
	v_add_nc_u32_e32 v52, v77, v52
	v_dual_sub_nc_u32 v73, v73, v6 :: v_dual_sub_nc_u32 v58, v58, v4
	v_add_nc_u32_e32 v48, v79, v48
	s_delay_alu instid0(VALU_DEP_4) | instskip(SKIP_2) | instid1(VALU_DEP_4)
	v_dual_sub_nc_u32 v71, v71, v6 :: v_dual_cndmask_b32 v1, v78, v1, vcc_lo
	v_cmp_eq_u32_e32 vcc_lo, 1, v74
	v_add_nc_u32_e32 v50, v52, v50
	v_dual_add_nc_u32 v80, v62, v70 :: v_dual_add_nc_u32 v47, v48, v47
	v_dual_lshrrev_b32 v66, 8, v32 :: v_dual_lshrrev_b32 v65, 16, v32
	v_dual_cndmask_b32 v1, v1, v72, vcc_lo :: v_dual_add_nc_u32 v71, v71, v2
	s_delay_alu instid0(VALU_DEP_3) | instskip(NEXT) | instid1(VALU_DEP_4)
	v_dual_add_nc_u32 v49, v50, v49 :: v_dual_add_nc_u32 v46, v47, v46
	v_sub_nc_u32_e32 v74, v5, v80
	s_delay_alu instid0(VALU_DEP_3) | instskip(NEXT) | instid1(VALU_DEP_3)
	v_dual_add_nc_u32 v75, v71, v59 :: v_dual_bitop2_b32 v68, 1, v68 bitop3:0x40
	v_dual_add_nc_u32 v72, v49, v40 :: v_dual_bitop2_b32 v69, 1, v69 bitop3:0x40
	s_delay_alu instid0(VALU_DEP_3) | instskip(NEXT) | instid1(VALU_DEP_3)
	v_add_nc_u32_e32 v74, 1, v74
	v_cmp_eq_u32_e32 vcc_lo, 1, v68
	s_delay_alu instid0(VALU_DEP_3) | instskip(SKIP_1) | instid1(VALU_DEP_4)
	v_dual_sub_nc_u32 v75, v5, v75 :: v_dual_add_nc_u32 v45, v72, v45
	v_dual_add_nc_u32 v68, v73, v2 :: v_dual_bitop2_b32 v44, 1, v44 bitop3:0x40
	v_cndmask_b32_e32 v62, v74, v62, vcc_lo
	v_cmp_eq_u32_e32 vcc_lo, 1, v69
	s_delay_alu instid0(VALU_DEP_3)
	v_dual_add_nc_u32 v73, 2, v75 :: v_dual_add_nc_u32 v69, v58, v68
	v_dual_lshlrev_b32 v1, 2, v1 :: v_dual_bitop2_b32 v67, 1, v67 bitop3:0x40
	v_add_nc_u32_e32 v78, v46, v39
	v_cndmask_b32_e32 v62, v62, v70, vcc_lo
	v_cmp_eq_u32_e32 vcc_lo, 1, v44
	v_dual_sub_nc_u32 v57, v57, v6 :: v_dual_bitop2_b32 v43, 1, v43 bitop3:0x40
	ds_store_b32 v1, v20
	v_dual_lshlrev_b32 v20, 2, v62 :: v_dual_cndmask_b32 v44, v73, v71, vcc_lo
	v_cmp_eq_u32_e32 vcc_lo, 1, v67
	v_sub_nc_u32_e32 v1, v5, v69
	v_dual_lshrrev_b32 v63, 16, v33 :: v_dual_lshrrev_b32 v64, 8, v33
	ds_store_b32 v20, v21
	v_dual_cndmask_b32 v44, v44, v59, vcc_lo :: v_dual_bitop2_b32 v32, 1, v32 bitop3:0x40
	v_dual_add_nc_u32 v1, 3, v1 :: v_dual_add_nc_u32 v57, v57, v2
	v_dual_sub_nc_u32 v54, v54, v6 :: v_dual_lshrrev_b32 v25, 16, v35
	v_lshrrev_b32_e32 v27, 8, v35
	s_delay_alu instid0(VALU_DEP_4)
	v_cmp_eq_u32_e32 vcc_lo, 1, v32
	v_sub_nc_u32_e32 v56, v56, v6
	v_sub_nc_u32_e32 v32, v76, v4
	v_dual_lshrrev_b32 v26, 8, v36 :: v_dual_lshrrev_b32 v24, 16, v36
	v_cndmask_b32_e32 v1, v1, v68, vcc_lo
	v_cmp_eq_u32_e32 vcc_lo, 1, v43
	v_dual_sub_nc_u32 v55, v55, v4 :: v_dual_add_nc_u32 v56, v56, v2
	v_dual_add_nc_u32 v43, v32, v57 :: v_dual_lshlrev_b32 v21, 2, v44
	s_delay_alu instid0(VALU_DEP_4) | instskip(NEXT) | instid1(VALU_DEP_2)
	v_dual_cndmask_b32 v1, v1, v58, vcc_lo :: v_dual_bitop2_b32 v58, 1, v65 bitop3:0x40
	v_dual_add_nc_u32 v20, v55, v56 :: v_dual_sub_nc_u32 v43, v5, v43
	s_delay_alu instid0(VALU_DEP_2) | instskip(NEXT) | instid1(VALU_DEP_2)
	v_dual_lshlrev_b32 v1, 2, v1 :: v_dual_bitop2_b32 v44, 1, v66 bitop3:0x40
	v_dual_sub_nc_u32 v20, v5, v20 :: v_dual_bitop2_b32 v33, 1, v33 bitop3:0x40
	s_delay_alu instid0(VALU_DEP_3) | instskip(NEXT) | instid1(VALU_DEP_3)
	v_add_nc_u32_e32 v43, 4, v43
	v_cmp_eq_u32_e32 vcc_lo, 1, v44
	v_dual_sub_nc_u32 v53, v53, v4 :: v_dual_add_nc_u32 v54, v54, v2
	s_delay_alu instid0(VALU_DEP_4)
	v_add_nc_u32_e32 v20, 5, v20
	ds_store_b32 v21, v18
	v_cndmask_b32_e32 v43, v43, v57, vcc_lo
	v_cmp_eq_u32_e32 vcc_lo, 1, v58
	v_and_b32_e32 v44, 1, v64
	ds_store_b32 v1, v19
	v_and_b32_e32 v21, 1, v63
	v_sub_nc_u64_e32 v[30:31], s[30:31], v[2:3]
	v_dual_cndmask_b32 v20, v20, v56, vcc_lo :: v_dual_add_nc_u32 v56, v53, v54
	v_cmp_eq_u32_e32 vcc_lo, 1, v33
	v_sub_nc_u32_e32 v33, v52, v6
	s_mov_b32 s41, 0
	s_delay_alu instid0(VALU_DEP_3)
	v_dual_sub_nc_u32 v18, v5, v56 :: v_dual_bitop2_b32 v27, 1, v27 bitop3:0x40
	v_cndmask_b32_e32 v32, v43, v32, vcc_lo
	v_cmp_eq_u32_e32 vcc_lo, 1, v44
	v_add_nc_u64_e32 v[30:31], v[30:31], v[6:7]
	s_add_nc_u64 s[0:1], s[34:35], s[40:41]
	v_dual_add_nc_u32 v18, 6, v18 :: v_dual_cndmask_b32 v20, v20, v55, vcc_lo
	v_dual_lshlrev_b32 v1, 2, v32 :: v_dual_sub_nc_u32 v32, v77, v6
	s_delay_alu instid0(VALU_DEP_2)
	v_dual_lshlrev_b32 v19, 2, v20 :: v_dual_bitop2_b32 v20, 1, v42 bitop3:0x40
	v_sub_nc_u32_e32 v42, v79, v4
	ds_store_b32 v1, v16
	ds_store_b32 v19, v17
	v_cmp_eq_u32_e32 vcc_lo, 1, v20
	v_dual_sub_nc_u32 v20, v51, v4 :: v_dual_add_nc_u32 v32, v32, v2
	v_dual_add_nc_u32 v33, v33, v2 :: v_dual_bitop2_b32 v19, 1, v35 bitop3:0x40
	v_cndmask_b32_e32 v18, v18, v54, vcc_lo
	v_cmp_eq_u32_e32 vcc_lo, 1, v21
	s_delay_alu instid0(VALU_DEP_4) | instskip(NEXT) | instid1(VALU_DEP_3)
	v_add_nc_u32_e32 v21, v20, v32
	v_dual_cndmask_b32 v18, v18, v53 :: v_dual_sub_nc_u32 v35, v48, v4
	v_add_nc_u32_e32 v1, v42, v33
	s_delay_alu instid0(VALU_DEP_3) | instskip(SKIP_1) | instid1(VALU_DEP_4)
	v_dual_sub_nc_u32 v17, v5, v21 :: v_dual_sub_nc_u32 v21, v50, v6
	v_cmp_eq_u32_e32 vcc_lo, 1, v19
	v_dual_lshlrev_b32 v16, 2, v18 :: v_dual_bitop2_b32 v18, 1, v41 bitop3:0x40
	s_delay_alu instid0(VALU_DEP_4) | instskip(NEXT) | instid1(VALU_DEP_4)
	v_sub_nc_u32_e32 v1, v5, v1
	v_dual_add_nc_u32 v17, 7, v17 :: v_dual_add_nc_u32 v21, v21, v2
	ds_store_b32 v16, v14
	v_dual_add_nc_u32 v1, 8, v1 :: v_dual_cndmask_b32 v17, v17, v32, vcc_lo
	v_cmp_eq_u32_e32 vcc_lo, 1, v27
	v_dual_add_nc_u32 v27, v35, v21 :: v_dual_bitop2_b32 v19, 1, v36 bitop3:0x40
	s_delay_alu instid0(VALU_DEP_3) | instskip(SKIP_1) | instid1(VALU_DEP_3)
	v_cndmask_b32_e32 v1, v1, v33, vcc_lo
	v_cmp_eq_u32_e32 vcc_lo, 1, v18
	v_dual_sub_nc_u32 v14, v5, v27 :: v_dual_bitop2_b32 v18, 1, v25 bitop3:0x40
	v_cndmask_b32_e32 v17, v17, v20, vcc_lo
	v_cmp_eq_u32_e32 vcc_lo, 1, v19
	v_dual_sub_nc_u32 v19, v47, v4 :: v_dual_cndmask_b32 v1, v1, v42, vcc_lo
	s_delay_alu instid0(VALU_DEP_4) | instskip(NEXT) | instid1(VALU_DEP_2)
	v_cmp_eq_u32_e32 vcc_lo, 1, v18
	v_lshlrev_b32_e32 v1, 2, v1
	v_dual_lshlrev_b32 v16, 2, v17 :: v_dual_sub_nc_u32 v17, v49, v6
	ds_store_b32 v16, v15
	v_add_nc_u32_e32 v17, v17, v2
	v_add_nc_u32_e32 v14, 9, v14
	ds_store_b32 v1, v12
	v_dual_sub_nc_u32 v16, v45, v6 :: v_dual_add_nc_u32 v15, v19, v17
	v_dual_cndmask_b32 v14, v14, v21, vcc_lo :: v_dual_bitop2_b32 v20, 1, v26 bitop3:0x40
	v_sub_nc_u32_e32 v12, v72, v6
	s_delay_alu instid0(VALU_DEP_3) | instskip(NEXT) | instid1(VALU_DEP_3)
	v_add_nc_u32_e32 v16, v16, v2
	v_cmp_eq_u32_e32 vcc_lo, 1, v20
	v_sub_nc_u32_e32 v20, v78, v4
	v_cndmask_b32_e32 v1, v14, v35, vcc_lo
	v_dual_sub_nc_u32 v14, v5, v15 :: v_dual_bitop2_b32 v15, 1, v40 bitop3:0x40
	v_dual_sub_nc_u32 v18, v46, v4 :: v_dual_add_nc_u32 v12, v12, v2
	s_delay_alu instid0(VALU_DEP_2) | instskip(NEXT) | instid1(VALU_DEP_3)
	v_dual_add_nc_u32 v14, 10, v14 :: v_dual_bitop2_b32 v4, 1, v24 bitop3:0x40
	v_cmp_eq_u32_e32 vcc_lo, 1, v15
	v_add_nc_u32_e32 v15, v20, v16
	s_delay_alu instid0(VALU_DEP_4) | instskip(NEXT) | instid1(VALU_DEP_4)
	v_dual_add_nc_u32 v21, v18, v12 :: v_dual_lshlrev_b32 v1, 2, v1
	v_cndmask_b32_e32 v14, v14, v17, vcc_lo
	v_cmp_eq_u32_e32 vcc_lo, 1, v4
	s_delay_alu instid0(VALU_DEP_3) | instskip(SKIP_4) | instid1(VALU_DEP_3)
	v_dual_sub_nc_u32 v17, v5, v21 :: v_dual_sub_nc_u32 v4, v5, v15
	ds_store_b32 v1, v13
	v_dual_cndmask_b32 v14, v14, v19, vcc_lo :: v_dual_bitop2_b32 v19, 1, v34 bitop3:0x40
	v_dual_add_nc_u32 v17, 11, v17 :: v_dual_bitop2_b32 v15, 1, v39 bitop3:0x40
	v_dual_add_nc_u32 v24, 12, v4 :: v_dual_bitop2_b32 v21, 1, v38 bitop3:0x40
	v_cmp_eq_u32_e32 vcc_lo, 1, v19
	v_add_nc_u64_e32 v[4:5], v[8:9], v[60:61]
	s_delay_alu instid0(VALU_DEP_4) | instskip(SKIP_2) | instid1(VALU_DEP_4)
	v_dual_lshlrev_b32 v14, 2, v14 :: v_dual_cndmask_b32 v12, v17, v12, vcc_lo
	v_and_b32_e32 v17, 1, v37
	v_cmp_eq_u32_e32 vcc_lo, 1, v21
	v_add_nc_u64_e32 v[4:5], v[4:5], v[30:31]
	ds_store_b32 v14, v10
	v_cndmask_b32_e32 v16, v24, v16, vcc_lo
	v_cmp_eq_u32_e32 vcc_lo, 1, v15
	v_add_nc_u64_e32 v[4:5], v[4:5], v[22:23]
	v_cndmask_b32_e32 v12, v12, v18, vcc_lo
	v_cmp_eq_u32_e32 vcc_lo, 1, v17
	v_cndmask_b32_e32 v15, v16, v20, vcc_lo
	v_cmp_ne_u32_e32 vcc_lo, 1, v29
	s_delay_alu instid0(VALU_DEP_2)
	v_dual_lshlrev_b32 v10, 2, v15 :: v_dual_lshlrev_b32 v1, 2, v12
	v_lshlrev_b64_e32 v[12:13], 2, v[30:31]
	v_lshlrev_b64_e32 v[14:15], 2, v[22:23]
	s_and_b32 vcc_lo, exec_lo, vcc_lo
	ds_store_b32 v1, v11
	ds_store_b32 v10, v28
	v_sub_nc_u64_e32 v[10:11], s[0:1], v[4:5]
	v_add_nc_u64_e32 v[4:5], s[38:39], v[12:13]
	v_add_nc_u64_e32 v[12:13], s[36:37], v[14:15]
	v_add_nc_u32_e32 v14, v2, v8
	s_mov_b32 s0, -1
	s_wait_dscnt 0x0
	s_barrier_signal -1
	s_barrier_wait -1
	s_cbranch_vccz .LBB1665_150
; %bb.147:
	s_and_b32 vcc_lo, exec_lo, s0
	s_cbranch_vccnz .LBB1665_255
.LBB1665_148:
	v_cmp_eq_u32_e32 vcc_lo, 0, v0
	s_and_b32 s0, vcc_lo, s15
	s_delay_alu instid0(SALU_CYCLE_1)
	s_and_saveexec_b32 s1, s0
	s_cbranch_execnz .LBB1665_373
.LBB1665_149:
	s_sendmsg sendmsg(MSG_DEALLOC_VGPRS)
	s_endpgm
.LBB1665_150:
	s_mov_b32 s0, exec_lo
	v_cmpx_ge_u32_e64 v0, v2
	s_xor_b32 s0, exec_lo, s0
	s_cbranch_execz .LBB1665_156
; %bb.151:
	v_mov_b32_e32 v1, 0
	s_mov_b32 s1, exec_lo
	v_cmpx_ge_u32_e64 v0, v14
	s_xor_b32 s1, exec_lo, s1
	s_cbranch_execz .LBB1665_153
; %bb.152:
	v_lshlrev_b32_e32 v15, 2, v0
	v_add_nc_u64_e32 v[16:17], v[10:11], v[0:1]
	ds_load_b32 v1, v15
	v_lshlrev_b64_e32 v[16:17], 2, v[16:17]
	s_delay_alu instid0(VALU_DEP_1)
	v_sub_nc_u64_e32 v[16:17], s[26:27], v[16:17]
	s_wait_dscnt 0x0
	global_store_b32 v[16:17], v1, off offset:-4
.LBB1665_153:
	s_wait_xcnt 0x0
	s_and_not1_saveexec_b32 s1, s1
	s_cbranch_execz .LBB1665_155
; %bb.154:
	v_lshlrev_b32_e32 v1, 2, v0
	v_readfirstlane_b32 s2, v4
	v_readfirstlane_b32 s3, v5
	ds_load_b32 v1, v1
	s_wait_dscnt 0x0
	global_store_b32 v0, v1, s[2:3] scale_offset
.LBB1665_155:
	s_wait_xcnt 0x0
	s_or_b32 exec_lo, exec_lo, s1
.LBB1665_156:
	s_and_not1_saveexec_b32 s0, s0
	s_cbranch_execz .LBB1665_158
; %bb.157:
	v_lshlrev_b32_e32 v1, 2, v0
	v_readfirstlane_b32 s2, v12
	v_readfirstlane_b32 s3, v13
	ds_load_b32 v1, v1
	s_wait_dscnt 0x0
	global_store_b32 v0, v1, s[2:3] scale_offset
.LBB1665_158:
	s_wait_xcnt 0x0
	s_or_b32 exec_lo, exec_lo, s0
	v_or_b32_e32 v1, 0x100, v0
	s_mov_b32 s0, exec_lo
	s_delay_alu instid0(VALU_DEP_1)
	v_cmpx_ge_u32_e64 v1, v2
	s_xor_b32 s0, exec_lo, s0
	s_cbranch_execz .LBB1665_164
; %bb.159:
	s_mov_b32 s1, exec_lo
	v_cmpx_ge_u32_e64 v1, v14
	s_xor_b32 s1, exec_lo, s1
	s_cbranch_execz .LBB1665_161
; %bb.160:
	v_dual_mov_b32 v1, 0 :: v_dual_lshlrev_b32 v15, 2, v0
	s_delay_alu instid0(VALU_DEP_1) | instskip(SKIP_2) | instid1(VALU_DEP_1)
	v_add_nc_u64_e32 v[16:17], v[10:11], v[0:1]
	ds_load_b32 v1, v15 offset:1024
	v_lshlrev_b64_e32 v[16:17], 2, v[16:17]
	v_sub_nc_u64_e32 v[16:17], s[26:27], v[16:17]
	s_wait_dscnt 0x0
	global_store_b32 v[16:17], v1, off offset:-1028
.LBB1665_161:
	s_wait_xcnt 0x0
	s_and_not1_saveexec_b32 s1, s1
	s_cbranch_execz .LBB1665_163
; %bb.162:
	v_lshlrev_b32_e32 v1, 2, v0
	v_readfirstlane_b32 s2, v4
	v_readfirstlane_b32 s3, v5
	ds_load_b32 v1, v1 offset:1024
	s_wait_dscnt 0x0
	global_store_b32 v0, v1, s[2:3] offset:1024 scale_offset
.LBB1665_163:
	s_wait_xcnt 0x0
	s_or_b32 exec_lo, exec_lo, s1
.LBB1665_164:
	s_and_not1_saveexec_b32 s0, s0
	s_cbranch_execz .LBB1665_166
; %bb.165:
	v_lshlrev_b32_e32 v1, 2, v0
	v_readfirstlane_b32 s2, v12
	v_readfirstlane_b32 s3, v13
	ds_load_b32 v1, v1 offset:1024
	s_wait_dscnt 0x0
	global_store_b32 v0, v1, s[2:3] offset:1024 scale_offset
.LBB1665_166:
	s_wait_xcnt 0x0
	s_or_b32 exec_lo, exec_lo, s0
	v_or_b32_e32 v1, 0x200, v0
	s_mov_b32 s0, exec_lo
	s_delay_alu instid0(VALU_DEP_1)
	v_cmpx_ge_u32_e64 v1, v2
	s_xor_b32 s0, exec_lo, s0
	s_cbranch_execz .LBB1665_172
; %bb.167:
	s_mov_b32 s1, exec_lo
	v_cmpx_ge_u32_e64 v1, v14
	s_xor_b32 s1, exec_lo, s1
	s_cbranch_execz .LBB1665_169
; %bb.168:
	v_dual_mov_b32 v1, 0 :: v_dual_lshlrev_b32 v15, 2, v0
	s_delay_alu instid0(VALU_DEP_1) | instskip(SKIP_2) | instid1(VALU_DEP_1)
	v_add_nc_u64_e32 v[16:17], v[10:11], v[0:1]
	ds_load_b32 v1, v15 offset:2048
	v_lshlrev_b64_e32 v[16:17], 2, v[16:17]
	v_sub_nc_u64_e32 v[16:17], s[26:27], v[16:17]
	s_wait_dscnt 0x0
	global_store_b32 v[16:17], v1, off offset:-2052
.LBB1665_169:
	s_wait_xcnt 0x0
	s_and_not1_saveexec_b32 s1, s1
	s_cbranch_execz .LBB1665_171
; %bb.170:
	v_lshlrev_b32_e32 v1, 2, v0
	v_readfirstlane_b32 s2, v4
	v_readfirstlane_b32 s3, v5
	ds_load_b32 v1, v1 offset:2048
	s_wait_dscnt 0x0
	global_store_b32 v0, v1, s[2:3] offset:2048 scale_offset
.LBB1665_171:
	s_wait_xcnt 0x0
	s_or_b32 exec_lo, exec_lo, s1
.LBB1665_172:
	s_and_not1_saveexec_b32 s0, s0
	s_cbranch_execz .LBB1665_174
; %bb.173:
	v_lshlrev_b32_e32 v1, 2, v0
	v_readfirstlane_b32 s2, v12
	v_readfirstlane_b32 s3, v13
	ds_load_b32 v1, v1 offset:2048
	s_wait_dscnt 0x0
	global_store_b32 v0, v1, s[2:3] offset:2048 scale_offset
.LBB1665_174:
	;; [unrolled: 47-line block ×12, first 2 shown]
	s_wait_xcnt 0x0
	s_or_b32 exec_lo, exec_lo, s0
	s_branch .LBB1665_148
.LBB1665_255:
	s_mov_b32 s0, exec_lo
	v_cmpx_gt_u32_e64 s6, v0
	s_cbranch_execz .LBB1665_264
; %bb.256:
	s_mov_b32 s1, exec_lo
	v_cmpx_ge_u32_e64 v0, v2
	s_xor_b32 s1, exec_lo, s1
	s_cbranch_execz .LBB1665_262
; %bb.257:
	v_mov_b32_e32 v1, 0
	s_mov_b32 s2, exec_lo
	v_cmpx_ge_u32_e64 v0, v14
	s_xor_b32 s2, exec_lo, s2
	s_cbranch_execz .LBB1665_259
; %bb.258:
	v_lshlrev_b32_e32 v15, 2, v0
	v_add_nc_u64_e32 v[16:17], v[10:11], v[0:1]
	ds_load_b32 v1, v15
	v_lshlrev_b64_e32 v[16:17], 2, v[16:17]
	s_delay_alu instid0(VALU_DEP_1)
	v_sub_nc_u64_e32 v[16:17], s[26:27], v[16:17]
	s_wait_dscnt 0x0
	global_store_b32 v[16:17], v1, off offset:-4
.LBB1665_259:
	s_wait_xcnt 0x0
	s_and_not1_saveexec_b32 s2, s2
	s_cbranch_execz .LBB1665_261
; %bb.260:
	v_lshlrev_b32_e32 v1, 2, v0
	v_readfirstlane_b32 s4, v4
	v_readfirstlane_b32 s5, v5
	ds_load_b32 v1, v1
	s_wait_dscnt 0x0
	global_store_b32 v0, v1, s[4:5] scale_offset
.LBB1665_261:
	s_wait_xcnt 0x0
	s_or_b32 exec_lo, exec_lo, s2
.LBB1665_262:
	s_and_not1_saveexec_b32 s1, s1
	s_cbranch_execz .LBB1665_264
; %bb.263:
	v_lshlrev_b32_e32 v1, 2, v0
	v_readfirstlane_b32 s2, v12
	v_readfirstlane_b32 s3, v13
	ds_load_b32 v1, v1
	s_wait_dscnt 0x0
	global_store_b32 v0, v1, s[2:3] scale_offset
.LBB1665_264:
	s_wait_xcnt 0x0
	s_or_b32 exec_lo, exec_lo, s0
	v_or_b32_e32 v1, 0x100, v0
	s_mov_b32 s0, exec_lo
	s_delay_alu instid0(VALU_DEP_1)
	v_cmpx_gt_u32_e64 s6, v1
	s_cbranch_execz .LBB1665_273
; %bb.265:
	s_mov_b32 s1, exec_lo
	v_cmpx_ge_u32_e64 v1, v2
	s_xor_b32 s1, exec_lo, s1
	s_cbranch_execz .LBB1665_271
; %bb.266:
	s_mov_b32 s2, exec_lo
	v_cmpx_ge_u32_e64 v1, v14
	s_xor_b32 s2, exec_lo, s2
	s_cbranch_execz .LBB1665_268
; %bb.267:
	v_dual_mov_b32 v1, 0 :: v_dual_lshlrev_b32 v15, 2, v0
	s_delay_alu instid0(VALU_DEP_1) | instskip(SKIP_2) | instid1(VALU_DEP_1)
	v_add_nc_u64_e32 v[16:17], v[10:11], v[0:1]
	ds_load_b32 v1, v15 offset:1024
	v_lshlrev_b64_e32 v[16:17], 2, v[16:17]
	v_sub_nc_u64_e32 v[16:17], s[26:27], v[16:17]
	s_wait_dscnt 0x0
	global_store_b32 v[16:17], v1, off offset:-1028
.LBB1665_268:
	s_wait_xcnt 0x0
	s_and_not1_saveexec_b32 s2, s2
	s_cbranch_execz .LBB1665_270
; %bb.269:
	v_lshlrev_b32_e32 v1, 2, v0
	v_readfirstlane_b32 s4, v4
	v_readfirstlane_b32 s5, v5
	ds_load_b32 v1, v1 offset:1024
	s_wait_dscnt 0x0
	global_store_b32 v0, v1, s[4:5] offset:1024 scale_offset
.LBB1665_270:
	s_wait_xcnt 0x0
	s_or_b32 exec_lo, exec_lo, s2
.LBB1665_271:
	s_and_not1_saveexec_b32 s1, s1
	s_cbranch_execz .LBB1665_273
; %bb.272:
	v_lshlrev_b32_e32 v1, 2, v0
	v_readfirstlane_b32 s2, v12
	v_readfirstlane_b32 s3, v13
	ds_load_b32 v1, v1 offset:1024
	s_wait_dscnt 0x0
	global_store_b32 v0, v1, s[2:3] offset:1024 scale_offset
.LBB1665_273:
	s_wait_xcnt 0x0
	s_or_b32 exec_lo, exec_lo, s0
	v_or_b32_e32 v1, 0x200, v0
	s_mov_b32 s0, exec_lo
	s_delay_alu instid0(VALU_DEP_1)
	v_cmpx_gt_u32_e64 s6, v1
	s_cbranch_execz .LBB1665_282
; %bb.274:
	s_mov_b32 s1, exec_lo
	v_cmpx_ge_u32_e64 v1, v2
	s_xor_b32 s1, exec_lo, s1
	s_cbranch_execz .LBB1665_280
; %bb.275:
	s_mov_b32 s2, exec_lo
	v_cmpx_ge_u32_e64 v1, v14
	s_xor_b32 s2, exec_lo, s2
	s_cbranch_execz .LBB1665_277
; %bb.276:
	v_dual_mov_b32 v1, 0 :: v_dual_lshlrev_b32 v15, 2, v0
	s_delay_alu instid0(VALU_DEP_1) | instskip(SKIP_2) | instid1(VALU_DEP_1)
	v_add_nc_u64_e32 v[16:17], v[10:11], v[0:1]
	ds_load_b32 v1, v15 offset:2048
	v_lshlrev_b64_e32 v[16:17], 2, v[16:17]
	v_sub_nc_u64_e32 v[16:17], s[26:27], v[16:17]
	s_wait_dscnt 0x0
	global_store_b32 v[16:17], v1, off offset:-2052
.LBB1665_277:
	s_wait_xcnt 0x0
	s_and_not1_saveexec_b32 s2, s2
	s_cbranch_execz .LBB1665_279
; %bb.278:
	v_lshlrev_b32_e32 v1, 2, v0
	v_readfirstlane_b32 s4, v4
	v_readfirstlane_b32 s5, v5
	ds_load_b32 v1, v1 offset:2048
	s_wait_dscnt 0x0
	global_store_b32 v0, v1, s[4:5] offset:2048 scale_offset
.LBB1665_279:
	s_wait_xcnt 0x0
	s_or_b32 exec_lo, exec_lo, s2
.LBB1665_280:
	s_and_not1_saveexec_b32 s1, s1
	s_cbranch_execz .LBB1665_282
; %bb.281:
	v_lshlrev_b32_e32 v1, 2, v0
	v_readfirstlane_b32 s2, v12
	v_readfirstlane_b32 s3, v13
	ds_load_b32 v1, v1 offset:2048
	s_wait_dscnt 0x0
	global_store_b32 v0, v1, s[2:3] offset:2048 scale_offset
.LBB1665_282:
	;; [unrolled: 51-line block ×11, first 2 shown]
	s_wait_xcnt 0x0
	s_or_b32 exec_lo, exec_lo, s0
	v_or_b32_e32 v1, 0xc00, v0
	s_mov_b32 s0, exec_lo
	s_delay_alu instid0(VALU_DEP_1)
	v_cmpx_gt_u32_e64 s6, v1
	s_cbranch_execz .LBB1665_372
; %bb.364:
	s_mov_b32 s1, exec_lo
	v_cmpx_ge_u32_e64 v1, v2
	s_xor_b32 s1, exec_lo, s1
	s_cbranch_execz .LBB1665_370
; %bb.365:
	s_mov_b32 s2, exec_lo
	v_cmpx_ge_u32_e64 v1, v14
	s_xor_b32 s2, exec_lo, s2
	s_cbranch_execz .LBB1665_367
; %bb.366:
	v_dual_mov_b32 v1, 0 :: v_dual_lshlrev_b32 v12, 2, v0
	s_delay_alu instid0(VALU_DEP_1) | instskip(SKIP_2) | instid1(VALU_DEP_1)
	v_add_nc_u64_e32 v[4:5], v[10:11], v[0:1]
	ds_load_b32 v1, v12 offset:12288
	v_lshlrev_b64_e32 v[4:5], 2, v[4:5]
	v_sub_nc_u64_e32 v[4:5], s[26:27], v[4:5]
	s_wait_dscnt 0x0
	global_store_b32 v[4:5], v1, off offset:-12292
                                        ; implicit-def: $vgpr4_vgpr5
.LBB1665_367:
	s_wait_xcnt 0x0
	s_and_not1_saveexec_b32 s2, s2
	s_cbranch_execz .LBB1665_369
; %bb.368:
	v_lshlrev_b32_e32 v1, 2, v0
	v_readfirstlane_b32 s4, v4
	v_readfirstlane_b32 s5, v5
	ds_load_b32 v1, v1 offset:12288
	s_wait_dscnt 0x0
	global_store_b32 v0, v1, s[4:5] offset:12288 scale_offset
.LBB1665_369:
	s_wait_xcnt 0x0
	s_or_b32 exec_lo, exec_lo, s2
                                        ; implicit-def: $vgpr12_vgpr13
.LBB1665_370:
	s_and_not1_saveexec_b32 s1, s1
	s_cbranch_execz .LBB1665_372
; %bb.371:
	v_lshlrev_b32_e32 v1, 2, v0
	v_readfirstlane_b32 s2, v12
	v_readfirstlane_b32 s3, v13
	ds_load_b32 v1, v1 offset:12288
	s_wait_dscnt 0x0
	global_store_b32 v0, v1, s[2:3] offset:12288 scale_offset
.LBB1665_372:
	s_wait_xcnt 0x0
	s_or_b32 exec_lo, exec_lo, s0
	v_cmp_eq_u32_e32 vcc_lo, 0, v0
	s_and_b32 s0, vcc_lo, s15
	s_delay_alu instid0(SALU_CYCLE_1)
	s_and_saveexec_b32 s1, s0
	s_cbranch_execz .LBB1665_149
.LBB1665_373:
	v_add_nc_u64_e32 v[0:1], s[30:31], v[8:9]
	v_add_nc_u64_e32 v[2:3], v[22:23], v[2:3]
	s_delay_alu instid0(VALU_DEP_2)
	v_add_nc_u64_e32 v[4:5], v[0:1], v[6:7]
	v_mov_b32_e32 v0, 0
	global_store_b128 v0, v[2:5], s[24:25]
	s_sendmsg sendmsg(MSG_DEALLOC_VGPRS)
	s_endpgm
	.section	.rodata,"a",@progbits
	.p2align	6, 0x0
	.amdhsa_kernel _ZN7rocprim17ROCPRIM_400000_NS6detail17trampoline_kernelINS0_13select_configILj256ELj13ELNS0_17block_load_methodE3ELS4_3ELS4_3ELNS0_20block_scan_algorithmE0ELj4294967295EEENS1_25partition_config_selectorILNS1_17partition_subalgoE4EjNS0_10empty_typeEbEEZZNS1_14partition_implILS8_4ELb0ES6_15HIP_vector_typeIjLj2EENS0_17counting_iteratorIjlEEPS9_SG_NS0_5tupleIJPjSI_NS0_16reverse_iteratorISI_EEEEENSH_IJSG_SG_SG_EEES9_SI_JZNS1_25segmented_radix_sort_implINS0_14default_configELb1EPK6__halfPSP_PKlPlN2at6native12_GLOBAL__N_18offset_tEEE10hipError_tPvRmT1_PNSt15iterator_traitsIS13_E10value_typeET2_T3_PNS14_IS19_E10value_typeET4_jRbjT5_S1F_jjP12ihipStream_tbEUljE_ZNSN_ISO_Lb1ESR_SS_SU_SV_SZ_EES10_S11_S12_S13_S17_S18_S19_S1C_S1D_jS1E_jS1F_S1F_jjS1H_bEUljE0_EEES10_S11_S12_S19_S1D_S1F_T6_T7_T9_mT8_S1H_bDpT10_ENKUlT_T0_E_clISt17integral_constantIbLb0EES1V_EEDaS1Q_S1R_EUlS1Q_E_NS1_11comp_targetILNS1_3genE0ELNS1_11target_archE4294967295ELNS1_3gpuE0ELNS1_3repE0EEENS1_30default_config_static_selectorELNS0_4arch9wavefront6targetE0EEEvS13_
		.amdhsa_group_segment_fixed_size 13328
		.amdhsa_private_segment_fixed_size 0
		.amdhsa_kernarg_size 176
		.amdhsa_user_sgpr_count 2
		.amdhsa_user_sgpr_dispatch_ptr 0
		.amdhsa_user_sgpr_queue_ptr 0
		.amdhsa_user_sgpr_kernarg_segment_ptr 1
		.amdhsa_user_sgpr_dispatch_id 0
		.amdhsa_user_sgpr_kernarg_preload_length 0
		.amdhsa_user_sgpr_kernarg_preload_offset 0
		.amdhsa_user_sgpr_private_segment_size 0
		.amdhsa_wavefront_size32 1
		.amdhsa_uses_dynamic_stack 0
		.amdhsa_enable_private_segment 0
		.amdhsa_system_sgpr_workgroup_id_x 1
		.amdhsa_system_sgpr_workgroup_id_y 0
		.amdhsa_system_sgpr_workgroup_id_z 0
		.amdhsa_system_sgpr_workgroup_info 0
		.amdhsa_system_vgpr_workitem_id 0
		.amdhsa_next_free_vgpr 81
		.amdhsa_next_free_sgpr 59
		.amdhsa_named_barrier_count 0
		.amdhsa_reserve_vcc 1
		.amdhsa_float_round_mode_32 0
		.amdhsa_float_round_mode_16_64 0
		.amdhsa_float_denorm_mode_32 3
		.amdhsa_float_denorm_mode_16_64 3
		.amdhsa_fp16_overflow 0
		.amdhsa_memory_ordered 1
		.amdhsa_forward_progress 1
		.amdhsa_inst_pref_size 139
		.amdhsa_round_robin_scheduling 0
		.amdhsa_exception_fp_ieee_invalid_op 0
		.amdhsa_exception_fp_denorm_src 0
		.amdhsa_exception_fp_ieee_div_zero 0
		.amdhsa_exception_fp_ieee_overflow 0
		.amdhsa_exception_fp_ieee_underflow 0
		.amdhsa_exception_fp_ieee_inexact 0
		.amdhsa_exception_int_div_zero 0
	.end_amdhsa_kernel
	.section	.text._ZN7rocprim17ROCPRIM_400000_NS6detail17trampoline_kernelINS0_13select_configILj256ELj13ELNS0_17block_load_methodE3ELS4_3ELS4_3ELNS0_20block_scan_algorithmE0ELj4294967295EEENS1_25partition_config_selectorILNS1_17partition_subalgoE4EjNS0_10empty_typeEbEEZZNS1_14partition_implILS8_4ELb0ES6_15HIP_vector_typeIjLj2EENS0_17counting_iteratorIjlEEPS9_SG_NS0_5tupleIJPjSI_NS0_16reverse_iteratorISI_EEEEENSH_IJSG_SG_SG_EEES9_SI_JZNS1_25segmented_radix_sort_implINS0_14default_configELb1EPK6__halfPSP_PKlPlN2at6native12_GLOBAL__N_18offset_tEEE10hipError_tPvRmT1_PNSt15iterator_traitsIS13_E10value_typeET2_T3_PNS14_IS19_E10value_typeET4_jRbjT5_S1F_jjP12ihipStream_tbEUljE_ZNSN_ISO_Lb1ESR_SS_SU_SV_SZ_EES10_S11_S12_S13_S17_S18_S19_S1C_S1D_jS1E_jS1F_S1F_jjS1H_bEUljE0_EEES10_S11_S12_S19_S1D_S1F_T6_T7_T9_mT8_S1H_bDpT10_ENKUlT_T0_E_clISt17integral_constantIbLb0EES1V_EEDaS1Q_S1R_EUlS1Q_E_NS1_11comp_targetILNS1_3genE0ELNS1_11target_archE4294967295ELNS1_3gpuE0ELNS1_3repE0EEENS1_30default_config_static_selectorELNS0_4arch9wavefront6targetE0EEEvS13_,"axG",@progbits,_ZN7rocprim17ROCPRIM_400000_NS6detail17trampoline_kernelINS0_13select_configILj256ELj13ELNS0_17block_load_methodE3ELS4_3ELS4_3ELNS0_20block_scan_algorithmE0ELj4294967295EEENS1_25partition_config_selectorILNS1_17partition_subalgoE4EjNS0_10empty_typeEbEEZZNS1_14partition_implILS8_4ELb0ES6_15HIP_vector_typeIjLj2EENS0_17counting_iteratorIjlEEPS9_SG_NS0_5tupleIJPjSI_NS0_16reverse_iteratorISI_EEEEENSH_IJSG_SG_SG_EEES9_SI_JZNS1_25segmented_radix_sort_implINS0_14default_configELb1EPK6__halfPSP_PKlPlN2at6native12_GLOBAL__N_18offset_tEEE10hipError_tPvRmT1_PNSt15iterator_traitsIS13_E10value_typeET2_T3_PNS14_IS19_E10value_typeET4_jRbjT5_S1F_jjP12ihipStream_tbEUljE_ZNSN_ISO_Lb1ESR_SS_SU_SV_SZ_EES10_S11_S12_S13_S17_S18_S19_S1C_S1D_jS1E_jS1F_S1F_jjS1H_bEUljE0_EEES10_S11_S12_S19_S1D_S1F_T6_T7_T9_mT8_S1H_bDpT10_ENKUlT_T0_E_clISt17integral_constantIbLb0EES1V_EEDaS1Q_S1R_EUlS1Q_E_NS1_11comp_targetILNS1_3genE0ELNS1_11target_archE4294967295ELNS1_3gpuE0ELNS1_3repE0EEENS1_30default_config_static_selectorELNS0_4arch9wavefront6targetE0EEEvS13_,comdat
.Lfunc_end1665:
	.size	_ZN7rocprim17ROCPRIM_400000_NS6detail17trampoline_kernelINS0_13select_configILj256ELj13ELNS0_17block_load_methodE3ELS4_3ELS4_3ELNS0_20block_scan_algorithmE0ELj4294967295EEENS1_25partition_config_selectorILNS1_17partition_subalgoE4EjNS0_10empty_typeEbEEZZNS1_14partition_implILS8_4ELb0ES6_15HIP_vector_typeIjLj2EENS0_17counting_iteratorIjlEEPS9_SG_NS0_5tupleIJPjSI_NS0_16reverse_iteratorISI_EEEEENSH_IJSG_SG_SG_EEES9_SI_JZNS1_25segmented_radix_sort_implINS0_14default_configELb1EPK6__halfPSP_PKlPlN2at6native12_GLOBAL__N_18offset_tEEE10hipError_tPvRmT1_PNSt15iterator_traitsIS13_E10value_typeET2_T3_PNS14_IS19_E10value_typeET4_jRbjT5_S1F_jjP12ihipStream_tbEUljE_ZNSN_ISO_Lb1ESR_SS_SU_SV_SZ_EES10_S11_S12_S13_S17_S18_S19_S1C_S1D_jS1E_jS1F_S1F_jjS1H_bEUljE0_EEES10_S11_S12_S19_S1D_S1F_T6_T7_T9_mT8_S1H_bDpT10_ENKUlT_T0_E_clISt17integral_constantIbLb0EES1V_EEDaS1Q_S1R_EUlS1Q_E_NS1_11comp_targetILNS1_3genE0ELNS1_11target_archE4294967295ELNS1_3gpuE0ELNS1_3repE0EEENS1_30default_config_static_selectorELNS0_4arch9wavefront6targetE0EEEvS13_, .Lfunc_end1665-_ZN7rocprim17ROCPRIM_400000_NS6detail17trampoline_kernelINS0_13select_configILj256ELj13ELNS0_17block_load_methodE3ELS4_3ELS4_3ELNS0_20block_scan_algorithmE0ELj4294967295EEENS1_25partition_config_selectorILNS1_17partition_subalgoE4EjNS0_10empty_typeEbEEZZNS1_14partition_implILS8_4ELb0ES6_15HIP_vector_typeIjLj2EENS0_17counting_iteratorIjlEEPS9_SG_NS0_5tupleIJPjSI_NS0_16reverse_iteratorISI_EEEEENSH_IJSG_SG_SG_EEES9_SI_JZNS1_25segmented_radix_sort_implINS0_14default_configELb1EPK6__halfPSP_PKlPlN2at6native12_GLOBAL__N_18offset_tEEE10hipError_tPvRmT1_PNSt15iterator_traitsIS13_E10value_typeET2_T3_PNS14_IS19_E10value_typeET4_jRbjT5_S1F_jjP12ihipStream_tbEUljE_ZNSN_ISO_Lb1ESR_SS_SU_SV_SZ_EES10_S11_S12_S13_S17_S18_S19_S1C_S1D_jS1E_jS1F_S1F_jjS1H_bEUljE0_EEES10_S11_S12_S19_S1D_S1F_T6_T7_T9_mT8_S1H_bDpT10_ENKUlT_T0_E_clISt17integral_constantIbLb0EES1V_EEDaS1Q_S1R_EUlS1Q_E_NS1_11comp_targetILNS1_3genE0ELNS1_11target_archE4294967295ELNS1_3gpuE0ELNS1_3repE0EEENS1_30default_config_static_selectorELNS0_4arch9wavefront6targetE0EEEvS13_
                                        ; -- End function
	.set _ZN7rocprim17ROCPRIM_400000_NS6detail17trampoline_kernelINS0_13select_configILj256ELj13ELNS0_17block_load_methodE3ELS4_3ELS4_3ELNS0_20block_scan_algorithmE0ELj4294967295EEENS1_25partition_config_selectorILNS1_17partition_subalgoE4EjNS0_10empty_typeEbEEZZNS1_14partition_implILS8_4ELb0ES6_15HIP_vector_typeIjLj2EENS0_17counting_iteratorIjlEEPS9_SG_NS0_5tupleIJPjSI_NS0_16reverse_iteratorISI_EEEEENSH_IJSG_SG_SG_EEES9_SI_JZNS1_25segmented_radix_sort_implINS0_14default_configELb1EPK6__halfPSP_PKlPlN2at6native12_GLOBAL__N_18offset_tEEE10hipError_tPvRmT1_PNSt15iterator_traitsIS13_E10value_typeET2_T3_PNS14_IS19_E10value_typeET4_jRbjT5_S1F_jjP12ihipStream_tbEUljE_ZNSN_ISO_Lb1ESR_SS_SU_SV_SZ_EES10_S11_S12_S13_S17_S18_S19_S1C_S1D_jS1E_jS1F_S1F_jjS1H_bEUljE0_EEES10_S11_S12_S19_S1D_S1F_T6_T7_T9_mT8_S1H_bDpT10_ENKUlT_T0_E_clISt17integral_constantIbLb0EES1V_EEDaS1Q_S1R_EUlS1Q_E_NS1_11comp_targetILNS1_3genE0ELNS1_11target_archE4294967295ELNS1_3gpuE0ELNS1_3repE0EEENS1_30default_config_static_selectorELNS0_4arch9wavefront6targetE0EEEvS13_.num_vgpr, 81
	.set _ZN7rocprim17ROCPRIM_400000_NS6detail17trampoline_kernelINS0_13select_configILj256ELj13ELNS0_17block_load_methodE3ELS4_3ELS4_3ELNS0_20block_scan_algorithmE0ELj4294967295EEENS1_25partition_config_selectorILNS1_17partition_subalgoE4EjNS0_10empty_typeEbEEZZNS1_14partition_implILS8_4ELb0ES6_15HIP_vector_typeIjLj2EENS0_17counting_iteratorIjlEEPS9_SG_NS0_5tupleIJPjSI_NS0_16reverse_iteratorISI_EEEEENSH_IJSG_SG_SG_EEES9_SI_JZNS1_25segmented_radix_sort_implINS0_14default_configELb1EPK6__halfPSP_PKlPlN2at6native12_GLOBAL__N_18offset_tEEE10hipError_tPvRmT1_PNSt15iterator_traitsIS13_E10value_typeET2_T3_PNS14_IS19_E10value_typeET4_jRbjT5_S1F_jjP12ihipStream_tbEUljE_ZNSN_ISO_Lb1ESR_SS_SU_SV_SZ_EES10_S11_S12_S13_S17_S18_S19_S1C_S1D_jS1E_jS1F_S1F_jjS1H_bEUljE0_EEES10_S11_S12_S19_S1D_S1F_T6_T7_T9_mT8_S1H_bDpT10_ENKUlT_T0_E_clISt17integral_constantIbLb0EES1V_EEDaS1Q_S1R_EUlS1Q_E_NS1_11comp_targetILNS1_3genE0ELNS1_11target_archE4294967295ELNS1_3gpuE0ELNS1_3repE0EEENS1_30default_config_static_selectorELNS0_4arch9wavefront6targetE0EEEvS13_.num_agpr, 0
	.set _ZN7rocprim17ROCPRIM_400000_NS6detail17trampoline_kernelINS0_13select_configILj256ELj13ELNS0_17block_load_methodE3ELS4_3ELS4_3ELNS0_20block_scan_algorithmE0ELj4294967295EEENS1_25partition_config_selectorILNS1_17partition_subalgoE4EjNS0_10empty_typeEbEEZZNS1_14partition_implILS8_4ELb0ES6_15HIP_vector_typeIjLj2EENS0_17counting_iteratorIjlEEPS9_SG_NS0_5tupleIJPjSI_NS0_16reverse_iteratorISI_EEEEENSH_IJSG_SG_SG_EEES9_SI_JZNS1_25segmented_radix_sort_implINS0_14default_configELb1EPK6__halfPSP_PKlPlN2at6native12_GLOBAL__N_18offset_tEEE10hipError_tPvRmT1_PNSt15iterator_traitsIS13_E10value_typeET2_T3_PNS14_IS19_E10value_typeET4_jRbjT5_S1F_jjP12ihipStream_tbEUljE_ZNSN_ISO_Lb1ESR_SS_SU_SV_SZ_EES10_S11_S12_S13_S17_S18_S19_S1C_S1D_jS1E_jS1F_S1F_jjS1H_bEUljE0_EEES10_S11_S12_S19_S1D_S1F_T6_T7_T9_mT8_S1H_bDpT10_ENKUlT_T0_E_clISt17integral_constantIbLb0EES1V_EEDaS1Q_S1R_EUlS1Q_E_NS1_11comp_targetILNS1_3genE0ELNS1_11target_archE4294967295ELNS1_3gpuE0ELNS1_3repE0EEENS1_30default_config_static_selectorELNS0_4arch9wavefront6targetE0EEEvS13_.numbered_sgpr, 59
	.set _ZN7rocprim17ROCPRIM_400000_NS6detail17trampoline_kernelINS0_13select_configILj256ELj13ELNS0_17block_load_methodE3ELS4_3ELS4_3ELNS0_20block_scan_algorithmE0ELj4294967295EEENS1_25partition_config_selectorILNS1_17partition_subalgoE4EjNS0_10empty_typeEbEEZZNS1_14partition_implILS8_4ELb0ES6_15HIP_vector_typeIjLj2EENS0_17counting_iteratorIjlEEPS9_SG_NS0_5tupleIJPjSI_NS0_16reverse_iteratorISI_EEEEENSH_IJSG_SG_SG_EEES9_SI_JZNS1_25segmented_radix_sort_implINS0_14default_configELb1EPK6__halfPSP_PKlPlN2at6native12_GLOBAL__N_18offset_tEEE10hipError_tPvRmT1_PNSt15iterator_traitsIS13_E10value_typeET2_T3_PNS14_IS19_E10value_typeET4_jRbjT5_S1F_jjP12ihipStream_tbEUljE_ZNSN_ISO_Lb1ESR_SS_SU_SV_SZ_EES10_S11_S12_S13_S17_S18_S19_S1C_S1D_jS1E_jS1F_S1F_jjS1H_bEUljE0_EEES10_S11_S12_S19_S1D_S1F_T6_T7_T9_mT8_S1H_bDpT10_ENKUlT_T0_E_clISt17integral_constantIbLb0EES1V_EEDaS1Q_S1R_EUlS1Q_E_NS1_11comp_targetILNS1_3genE0ELNS1_11target_archE4294967295ELNS1_3gpuE0ELNS1_3repE0EEENS1_30default_config_static_selectorELNS0_4arch9wavefront6targetE0EEEvS13_.num_named_barrier, 0
	.set _ZN7rocprim17ROCPRIM_400000_NS6detail17trampoline_kernelINS0_13select_configILj256ELj13ELNS0_17block_load_methodE3ELS4_3ELS4_3ELNS0_20block_scan_algorithmE0ELj4294967295EEENS1_25partition_config_selectorILNS1_17partition_subalgoE4EjNS0_10empty_typeEbEEZZNS1_14partition_implILS8_4ELb0ES6_15HIP_vector_typeIjLj2EENS0_17counting_iteratorIjlEEPS9_SG_NS0_5tupleIJPjSI_NS0_16reverse_iteratorISI_EEEEENSH_IJSG_SG_SG_EEES9_SI_JZNS1_25segmented_radix_sort_implINS0_14default_configELb1EPK6__halfPSP_PKlPlN2at6native12_GLOBAL__N_18offset_tEEE10hipError_tPvRmT1_PNSt15iterator_traitsIS13_E10value_typeET2_T3_PNS14_IS19_E10value_typeET4_jRbjT5_S1F_jjP12ihipStream_tbEUljE_ZNSN_ISO_Lb1ESR_SS_SU_SV_SZ_EES10_S11_S12_S13_S17_S18_S19_S1C_S1D_jS1E_jS1F_S1F_jjS1H_bEUljE0_EEES10_S11_S12_S19_S1D_S1F_T6_T7_T9_mT8_S1H_bDpT10_ENKUlT_T0_E_clISt17integral_constantIbLb0EES1V_EEDaS1Q_S1R_EUlS1Q_E_NS1_11comp_targetILNS1_3genE0ELNS1_11target_archE4294967295ELNS1_3gpuE0ELNS1_3repE0EEENS1_30default_config_static_selectorELNS0_4arch9wavefront6targetE0EEEvS13_.private_seg_size, 0
	.set _ZN7rocprim17ROCPRIM_400000_NS6detail17trampoline_kernelINS0_13select_configILj256ELj13ELNS0_17block_load_methodE3ELS4_3ELS4_3ELNS0_20block_scan_algorithmE0ELj4294967295EEENS1_25partition_config_selectorILNS1_17partition_subalgoE4EjNS0_10empty_typeEbEEZZNS1_14partition_implILS8_4ELb0ES6_15HIP_vector_typeIjLj2EENS0_17counting_iteratorIjlEEPS9_SG_NS0_5tupleIJPjSI_NS0_16reverse_iteratorISI_EEEEENSH_IJSG_SG_SG_EEES9_SI_JZNS1_25segmented_radix_sort_implINS0_14default_configELb1EPK6__halfPSP_PKlPlN2at6native12_GLOBAL__N_18offset_tEEE10hipError_tPvRmT1_PNSt15iterator_traitsIS13_E10value_typeET2_T3_PNS14_IS19_E10value_typeET4_jRbjT5_S1F_jjP12ihipStream_tbEUljE_ZNSN_ISO_Lb1ESR_SS_SU_SV_SZ_EES10_S11_S12_S13_S17_S18_S19_S1C_S1D_jS1E_jS1F_S1F_jjS1H_bEUljE0_EEES10_S11_S12_S19_S1D_S1F_T6_T7_T9_mT8_S1H_bDpT10_ENKUlT_T0_E_clISt17integral_constantIbLb0EES1V_EEDaS1Q_S1R_EUlS1Q_E_NS1_11comp_targetILNS1_3genE0ELNS1_11target_archE4294967295ELNS1_3gpuE0ELNS1_3repE0EEENS1_30default_config_static_selectorELNS0_4arch9wavefront6targetE0EEEvS13_.uses_vcc, 1
	.set _ZN7rocprim17ROCPRIM_400000_NS6detail17trampoline_kernelINS0_13select_configILj256ELj13ELNS0_17block_load_methodE3ELS4_3ELS4_3ELNS0_20block_scan_algorithmE0ELj4294967295EEENS1_25partition_config_selectorILNS1_17partition_subalgoE4EjNS0_10empty_typeEbEEZZNS1_14partition_implILS8_4ELb0ES6_15HIP_vector_typeIjLj2EENS0_17counting_iteratorIjlEEPS9_SG_NS0_5tupleIJPjSI_NS0_16reverse_iteratorISI_EEEEENSH_IJSG_SG_SG_EEES9_SI_JZNS1_25segmented_radix_sort_implINS0_14default_configELb1EPK6__halfPSP_PKlPlN2at6native12_GLOBAL__N_18offset_tEEE10hipError_tPvRmT1_PNSt15iterator_traitsIS13_E10value_typeET2_T3_PNS14_IS19_E10value_typeET4_jRbjT5_S1F_jjP12ihipStream_tbEUljE_ZNSN_ISO_Lb1ESR_SS_SU_SV_SZ_EES10_S11_S12_S13_S17_S18_S19_S1C_S1D_jS1E_jS1F_S1F_jjS1H_bEUljE0_EEES10_S11_S12_S19_S1D_S1F_T6_T7_T9_mT8_S1H_bDpT10_ENKUlT_T0_E_clISt17integral_constantIbLb0EES1V_EEDaS1Q_S1R_EUlS1Q_E_NS1_11comp_targetILNS1_3genE0ELNS1_11target_archE4294967295ELNS1_3gpuE0ELNS1_3repE0EEENS1_30default_config_static_selectorELNS0_4arch9wavefront6targetE0EEEvS13_.uses_flat_scratch, 0
	.set _ZN7rocprim17ROCPRIM_400000_NS6detail17trampoline_kernelINS0_13select_configILj256ELj13ELNS0_17block_load_methodE3ELS4_3ELS4_3ELNS0_20block_scan_algorithmE0ELj4294967295EEENS1_25partition_config_selectorILNS1_17partition_subalgoE4EjNS0_10empty_typeEbEEZZNS1_14partition_implILS8_4ELb0ES6_15HIP_vector_typeIjLj2EENS0_17counting_iteratorIjlEEPS9_SG_NS0_5tupleIJPjSI_NS0_16reverse_iteratorISI_EEEEENSH_IJSG_SG_SG_EEES9_SI_JZNS1_25segmented_radix_sort_implINS0_14default_configELb1EPK6__halfPSP_PKlPlN2at6native12_GLOBAL__N_18offset_tEEE10hipError_tPvRmT1_PNSt15iterator_traitsIS13_E10value_typeET2_T3_PNS14_IS19_E10value_typeET4_jRbjT5_S1F_jjP12ihipStream_tbEUljE_ZNSN_ISO_Lb1ESR_SS_SU_SV_SZ_EES10_S11_S12_S13_S17_S18_S19_S1C_S1D_jS1E_jS1F_S1F_jjS1H_bEUljE0_EEES10_S11_S12_S19_S1D_S1F_T6_T7_T9_mT8_S1H_bDpT10_ENKUlT_T0_E_clISt17integral_constantIbLb0EES1V_EEDaS1Q_S1R_EUlS1Q_E_NS1_11comp_targetILNS1_3genE0ELNS1_11target_archE4294967295ELNS1_3gpuE0ELNS1_3repE0EEENS1_30default_config_static_selectorELNS0_4arch9wavefront6targetE0EEEvS13_.has_dyn_sized_stack, 0
	.set _ZN7rocprim17ROCPRIM_400000_NS6detail17trampoline_kernelINS0_13select_configILj256ELj13ELNS0_17block_load_methodE3ELS4_3ELS4_3ELNS0_20block_scan_algorithmE0ELj4294967295EEENS1_25partition_config_selectorILNS1_17partition_subalgoE4EjNS0_10empty_typeEbEEZZNS1_14partition_implILS8_4ELb0ES6_15HIP_vector_typeIjLj2EENS0_17counting_iteratorIjlEEPS9_SG_NS0_5tupleIJPjSI_NS0_16reverse_iteratorISI_EEEEENSH_IJSG_SG_SG_EEES9_SI_JZNS1_25segmented_radix_sort_implINS0_14default_configELb1EPK6__halfPSP_PKlPlN2at6native12_GLOBAL__N_18offset_tEEE10hipError_tPvRmT1_PNSt15iterator_traitsIS13_E10value_typeET2_T3_PNS14_IS19_E10value_typeET4_jRbjT5_S1F_jjP12ihipStream_tbEUljE_ZNSN_ISO_Lb1ESR_SS_SU_SV_SZ_EES10_S11_S12_S13_S17_S18_S19_S1C_S1D_jS1E_jS1F_S1F_jjS1H_bEUljE0_EEES10_S11_S12_S19_S1D_S1F_T6_T7_T9_mT8_S1H_bDpT10_ENKUlT_T0_E_clISt17integral_constantIbLb0EES1V_EEDaS1Q_S1R_EUlS1Q_E_NS1_11comp_targetILNS1_3genE0ELNS1_11target_archE4294967295ELNS1_3gpuE0ELNS1_3repE0EEENS1_30default_config_static_selectorELNS0_4arch9wavefront6targetE0EEEvS13_.has_recursion, 0
	.set _ZN7rocprim17ROCPRIM_400000_NS6detail17trampoline_kernelINS0_13select_configILj256ELj13ELNS0_17block_load_methodE3ELS4_3ELS4_3ELNS0_20block_scan_algorithmE0ELj4294967295EEENS1_25partition_config_selectorILNS1_17partition_subalgoE4EjNS0_10empty_typeEbEEZZNS1_14partition_implILS8_4ELb0ES6_15HIP_vector_typeIjLj2EENS0_17counting_iteratorIjlEEPS9_SG_NS0_5tupleIJPjSI_NS0_16reverse_iteratorISI_EEEEENSH_IJSG_SG_SG_EEES9_SI_JZNS1_25segmented_radix_sort_implINS0_14default_configELb1EPK6__halfPSP_PKlPlN2at6native12_GLOBAL__N_18offset_tEEE10hipError_tPvRmT1_PNSt15iterator_traitsIS13_E10value_typeET2_T3_PNS14_IS19_E10value_typeET4_jRbjT5_S1F_jjP12ihipStream_tbEUljE_ZNSN_ISO_Lb1ESR_SS_SU_SV_SZ_EES10_S11_S12_S13_S17_S18_S19_S1C_S1D_jS1E_jS1F_S1F_jjS1H_bEUljE0_EEES10_S11_S12_S19_S1D_S1F_T6_T7_T9_mT8_S1H_bDpT10_ENKUlT_T0_E_clISt17integral_constantIbLb0EES1V_EEDaS1Q_S1R_EUlS1Q_E_NS1_11comp_targetILNS1_3genE0ELNS1_11target_archE4294967295ELNS1_3gpuE0ELNS1_3repE0EEENS1_30default_config_static_selectorELNS0_4arch9wavefront6targetE0EEEvS13_.has_indirect_call, 0
	.section	.AMDGPU.csdata,"",@progbits
; Kernel info:
; codeLenInByte = 17784
; TotalNumSgprs: 61
; NumVgprs: 81
; ScratchSize: 0
; MemoryBound: 0
; FloatMode: 240
; IeeeMode: 1
; LDSByteSize: 13328 bytes/workgroup (compile time only)
; SGPRBlocks: 0
; VGPRBlocks: 5
; NumSGPRsForWavesPerEU: 61
; NumVGPRsForWavesPerEU: 81
; NamedBarCnt: 0
; Occupancy: 10
; WaveLimiterHint : 1
; COMPUTE_PGM_RSRC2:SCRATCH_EN: 0
; COMPUTE_PGM_RSRC2:USER_SGPR: 2
; COMPUTE_PGM_RSRC2:TRAP_HANDLER: 0
; COMPUTE_PGM_RSRC2:TGID_X_EN: 1
; COMPUTE_PGM_RSRC2:TGID_Y_EN: 0
; COMPUTE_PGM_RSRC2:TGID_Z_EN: 0
; COMPUTE_PGM_RSRC2:TIDIG_COMP_CNT: 0
	.section	.text._ZN7rocprim17ROCPRIM_400000_NS6detail17trampoline_kernelINS0_13select_configILj256ELj13ELNS0_17block_load_methodE3ELS4_3ELS4_3ELNS0_20block_scan_algorithmE0ELj4294967295EEENS1_25partition_config_selectorILNS1_17partition_subalgoE4EjNS0_10empty_typeEbEEZZNS1_14partition_implILS8_4ELb0ES6_15HIP_vector_typeIjLj2EENS0_17counting_iteratorIjlEEPS9_SG_NS0_5tupleIJPjSI_NS0_16reverse_iteratorISI_EEEEENSH_IJSG_SG_SG_EEES9_SI_JZNS1_25segmented_radix_sort_implINS0_14default_configELb1EPK6__halfPSP_PKlPlN2at6native12_GLOBAL__N_18offset_tEEE10hipError_tPvRmT1_PNSt15iterator_traitsIS13_E10value_typeET2_T3_PNS14_IS19_E10value_typeET4_jRbjT5_S1F_jjP12ihipStream_tbEUljE_ZNSN_ISO_Lb1ESR_SS_SU_SV_SZ_EES10_S11_S12_S13_S17_S18_S19_S1C_S1D_jS1E_jS1F_S1F_jjS1H_bEUljE0_EEES10_S11_S12_S19_S1D_S1F_T6_T7_T9_mT8_S1H_bDpT10_ENKUlT_T0_E_clISt17integral_constantIbLb0EES1V_EEDaS1Q_S1R_EUlS1Q_E_NS1_11comp_targetILNS1_3genE5ELNS1_11target_archE942ELNS1_3gpuE9ELNS1_3repE0EEENS1_30default_config_static_selectorELNS0_4arch9wavefront6targetE0EEEvS13_,"axG",@progbits,_ZN7rocprim17ROCPRIM_400000_NS6detail17trampoline_kernelINS0_13select_configILj256ELj13ELNS0_17block_load_methodE3ELS4_3ELS4_3ELNS0_20block_scan_algorithmE0ELj4294967295EEENS1_25partition_config_selectorILNS1_17partition_subalgoE4EjNS0_10empty_typeEbEEZZNS1_14partition_implILS8_4ELb0ES6_15HIP_vector_typeIjLj2EENS0_17counting_iteratorIjlEEPS9_SG_NS0_5tupleIJPjSI_NS0_16reverse_iteratorISI_EEEEENSH_IJSG_SG_SG_EEES9_SI_JZNS1_25segmented_radix_sort_implINS0_14default_configELb1EPK6__halfPSP_PKlPlN2at6native12_GLOBAL__N_18offset_tEEE10hipError_tPvRmT1_PNSt15iterator_traitsIS13_E10value_typeET2_T3_PNS14_IS19_E10value_typeET4_jRbjT5_S1F_jjP12ihipStream_tbEUljE_ZNSN_ISO_Lb1ESR_SS_SU_SV_SZ_EES10_S11_S12_S13_S17_S18_S19_S1C_S1D_jS1E_jS1F_S1F_jjS1H_bEUljE0_EEES10_S11_S12_S19_S1D_S1F_T6_T7_T9_mT8_S1H_bDpT10_ENKUlT_T0_E_clISt17integral_constantIbLb0EES1V_EEDaS1Q_S1R_EUlS1Q_E_NS1_11comp_targetILNS1_3genE5ELNS1_11target_archE942ELNS1_3gpuE9ELNS1_3repE0EEENS1_30default_config_static_selectorELNS0_4arch9wavefront6targetE0EEEvS13_,comdat
	.globl	_ZN7rocprim17ROCPRIM_400000_NS6detail17trampoline_kernelINS0_13select_configILj256ELj13ELNS0_17block_load_methodE3ELS4_3ELS4_3ELNS0_20block_scan_algorithmE0ELj4294967295EEENS1_25partition_config_selectorILNS1_17partition_subalgoE4EjNS0_10empty_typeEbEEZZNS1_14partition_implILS8_4ELb0ES6_15HIP_vector_typeIjLj2EENS0_17counting_iteratorIjlEEPS9_SG_NS0_5tupleIJPjSI_NS0_16reverse_iteratorISI_EEEEENSH_IJSG_SG_SG_EEES9_SI_JZNS1_25segmented_radix_sort_implINS0_14default_configELb1EPK6__halfPSP_PKlPlN2at6native12_GLOBAL__N_18offset_tEEE10hipError_tPvRmT1_PNSt15iterator_traitsIS13_E10value_typeET2_T3_PNS14_IS19_E10value_typeET4_jRbjT5_S1F_jjP12ihipStream_tbEUljE_ZNSN_ISO_Lb1ESR_SS_SU_SV_SZ_EES10_S11_S12_S13_S17_S18_S19_S1C_S1D_jS1E_jS1F_S1F_jjS1H_bEUljE0_EEES10_S11_S12_S19_S1D_S1F_T6_T7_T9_mT8_S1H_bDpT10_ENKUlT_T0_E_clISt17integral_constantIbLb0EES1V_EEDaS1Q_S1R_EUlS1Q_E_NS1_11comp_targetILNS1_3genE5ELNS1_11target_archE942ELNS1_3gpuE9ELNS1_3repE0EEENS1_30default_config_static_selectorELNS0_4arch9wavefront6targetE0EEEvS13_ ; -- Begin function _ZN7rocprim17ROCPRIM_400000_NS6detail17trampoline_kernelINS0_13select_configILj256ELj13ELNS0_17block_load_methodE3ELS4_3ELS4_3ELNS0_20block_scan_algorithmE0ELj4294967295EEENS1_25partition_config_selectorILNS1_17partition_subalgoE4EjNS0_10empty_typeEbEEZZNS1_14partition_implILS8_4ELb0ES6_15HIP_vector_typeIjLj2EENS0_17counting_iteratorIjlEEPS9_SG_NS0_5tupleIJPjSI_NS0_16reverse_iteratorISI_EEEEENSH_IJSG_SG_SG_EEES9_SI_JZNS1_25segmented_radix_sort_implINS0_14default_configELb1EPK6__halfPSP_PKlPlN2at6native12_GLOBAL__N_18offset_tEEE10hipError_tPvRmT1_PNSt15iterator_traitsIS13_E10value_typeET2_T3_PNS14_IS19_E10value_typeET4_jRbjT5_S1F_jjP12ihipStream_tbEUljE_ZNSN_ISO_Lb1ESR_SS_SU_SV_SZ_EES10_S11_S12_S13_S17_S18_S19_S1C_S1D_jS1E_jS1F_S1F_jjS1H_bEUljE0_EEES10_S11_S12_S19_S1D_S1F_T6_T7_T9_mT8_S1H_bDpT10_ENKUlT_T0_E_clISt17integral_constantIbLb0EES1V_EEDaS1Q_S1R_EUlS1Q_E_NS1_11comp_targetILNS1_3genE5ELNS1_11target_archE942ELNS1_3gpuE9ELNS1_3repE0EEENS1_30default_config_static_selectorELNS0_4arch9wavefront6targetE0EEEvS13_
	.p2align	8
	.type	_ZN7rocprim17ROCPRIM_400000_NS6detail17trampoline_kernelINS0_13select_configILj256ELj13ELNS0_17block_load_methodE3ELS4_3ELS4_3ELNS0_20block_scan_algorithmE0ELj4294967295EEENS1_25partition_config_selectorILNS1_17partition_subalgoE4EjNS0_10empty_typeEbEEZZNS1_14partition_implILS8_4ELb0ES6_15HIP_vector_typeIjLj2EENS0_17counting_iteratorIjlEEPS9_SG_NS0_5tupleIJPjSI_NS0_16reverse_iteratorISI_EEEEENSH_IJSG_SG_SG_EEES9_SI_JZNS1_25segmented_radix_sort_implINS0_14default_configELb1EPK6__halfPSP_PKlPlN2at6native12_GLOBAL__N_18offset_tEEE10hipError_tPvRmT1_PNSt15iterator_traitsIS13_E10value_typeET2_T3_PNS14_IS19_E10value_typeET4_jRbjT5_S1F_jjP12ihipStream_tbEUljE_ZNSN_ISO_Lb1ESR_SS_SU_SV_SZ_EES10_S11_S12_S13_S17_S18_S19_S1C_S1D_jS1E_jS1F_S1F_jjS1H_bEUljE0_EEES10_S11_S12_S19_S1D_S1F_T6_T7_T9_mT8_S1H_bDpT10_ENKUlT_T0_E_clISt17integral_constantIbLb0EES1V_EEDaS1Q_S1R_EUlS1Q_E_NS1_11comp_targetILNS1_3genE5ELNS1_11target_archE942ELNS1_3gpuE9ELNS1_3repE0EEENS1_30default_config_static_selectorELNS0_4arch9wavefront6targetE0EEEvS13_,@function
_ZN7rocprim17ROCPRIM_400000_NS6detail17trampoline_kernelINS0_13select_configILj256ELj13ELNS0_17block_load_methodE3ELS4_3ELS4_3ELNS0_20block_scan_algorithmE0ELj4294967295EEENS1_25partition_config_selectorILNS1_17partition_subalgoE4EjNS0_10empty_typeEbEEZZNS1_14partition_implILS8_4ELb0ES6_15HIP_vector_typeIjLj2EENS0_17counting_iteratorIjlEEPS9_SG_NS0_5tupleIJPjSI_NS0_16reverse_iteratorISI_EEEEENSH_IJSG_SG_SG_EEES9_SI_JZNS1_25segmented_radix_sort_implINS0_14default_configELb1EPK6__halfPSP_PKlPlN2at6native12_GLOBAL__N_18offset_tEEE10hipError_tPvRmT1_PNSt15iterator_traitsIS13_E10value_typeET2_T3_PNS14_IS19_E10value_typeET4_jRbjT5_S1F_jjP12ihipStream_tbEUljE_ZNSN_ISO_Lb1ESR_SS_SU_SV_SZ_EES10_S11_S12_S13_S17_S18_S19_S1C_S1D_jS1E_jS1F_S1F_jjS1H_bEUljE0_EEES10_S11_S12_S19_S1D_S1F_T6_T7_T9_mT8_S1H_bDpT10_ENKUlT_T0_E_clISt17integral_constantIbLb0EES1V_EEDaS1Q_S1R_EUlS1Q_E_NS1_11comp_targetILNS1_3genE5ELNS1_11target_archE942ELNS1_3gpuE9ELNS1_3repE0EEENS1_30default_config_static_selectorELNS0_4arch9wavefront6targetE0EEEvS13_: ; @_ZN7rocprim17ROCPRIM_400000_NS6detail17trampoline_kernelINS0_13select_configILj256ELj13ELNS0_17block_load_methodE3ELS4_3ELS4_3ELNS0_20block_scan_algorithmE0ELj4294967295EEENS1_25partition_config_selectorILNS1_17partition_subalgoE4EjNS0_10empty_typeEbEEZZNS1_14partition_implILS8_4ELb0ES6_15HIP_vector_typeIjLj2EENS0_17counting_iteratorIjlEEPS9_SG_NS0_5tupleIJPjSI_NS0_16reverse_iteratorISI_EEEEENSH_IJSG_SG_SG_EEES9_SI_JZNS1_25segmented_radix_sort_implINS0_14default_configELb1EPK6__halfPSP_PKlPlN2at6native12_GLOBAL__N_18offset_tEEE10hipError_tPvRmT1_PNSt15iterator_traitsIS13_E10value_typeET2_T3_PNS14_IS19_E10value_typeET4_jRbjT5_S1F_jjP12ihipStream_tbEUljE_ZNSN_ISO_Lb1ESR_SS_SU_SV_SZ_EES10_S11_S12_S13_S17_S18_S19_S1C_S1D_jS1E_jS1F_S1F_jjS1H_bEUljE0_EEES10_S11_S12_S19_S1D_S1F_T6_T7_T9_mT8_S1H_bDpT10_ENKUlT_T0_E_clISt17integral_constantIbLb0EES1V_EEDaS1Q_S1R_EUlS1Q_E_NS1_11comp_targetILNS1_3genE5ELNS1_11target_archE942ELNS1_3gpuE9ELNS1_3repE0EEENS1_30default_config_static_selectorELNS0_4arch9wavefront6targetE0EEEvS13_
; %bb.0:
	.section	.rodata,"a",@progbits
	.p2align	6, 0x0
	.amdhsa_kernel _ZN7rocprim17ROCPRIM_400000_NS6detail17trampoline_kernelINS0_13select_configILj256ELj13ELNS0_17block_load_methodE3ELS4_3ELS4_3ELNS0_20block_scan_algorithmE0ELj4294967295EEENS1_25partition_config_selectorILNS1_17partition_subalgoE4EjNS0_10empty_typeEbEEZZNS1_14partition_implILS8_4ELb0ES6_15HIP_vector_typeIjLj2EENS0_17counting_iteratorIjlEEPS9_SG_NS0_5tupleIJPjSI_NS0_16reverse_iteratorISI_EEEEENSH_IJSG_SG_SG_EEES9_SI_JZNS1_25segmented_radix_sort_implINS0_14default_configELb1EPK6__halfPSP_PKlPlN2at6native12_GLOBAL__N_18offset_tEEE10hipError_tPvRmT1_PNSt15iterator_traitsIS13_E10value_typeET2_T3_PNS14_IS19_E10value_typeET4_jRbjT5_S1F_jjP12ihipStream_tbEUljE_ZNSN_ISO_Lb1ESR_SS_SU_SV_SZ_EES10_S11_S12_S13_S17_S18_S19_S1C_S1D_jS1E_jS1F_S1F_jjS1H_bEUljE0_EEES10_S11_S12_S19_S1D_S1F_T6_T7_T9_mT8_S1H_bDpT10_ENKUlT_T0_E_clISt17integral_constantIbLb0EES1V_EEDaS1Q_S1R_EUlS1Q_E_NS1_11comp_targetILNS1_3genE5ELNS1_11target_archE942ELNS1_3gpuE9ELNS1_3repE0EEENS1_30default_config_static_selectorELNS0_4arch9wavefront6targetE0EEEvS13_
		.amdhsa_group_segment_fixed_size 0
		.amdhsa_private_segment_fixed_size 0
		.amdhsa_kernarg_size 176
		.amdhsa_user_sgpr_count 2
		.amdhsa_user_sgpr_dispatch_ptr 0
		.amdhsa_user_sgpr_queue_ptr 0
		.amdhsa_user_sgpr_kernarg_segment_ptr 1
		.amdhsa_user_sgpr_dispatch_id 0
		.amdhsa_user_sgpr_kernarg_preload_length 0
		.amdhsa_user_sgpr_kernarg_preload_offset 0
		.amdhsa_user_sgpr_private_segment_size 0
		.amdhsa_wavefront_size32 1
		.amdhsa_uses_dynamic_stack 0
		.amdhsa_enable_private_segment 0
		.amdhsa_system_sgpr_workgroup_id_x 1
		.amdhsa_system_sgpr_workgroup_id_y 0
		.amdhsa_system_sgpr_workgroup_id_z 0
		.amdhsa_system_sgpr_workgroup_info 0
		.amdhsa_system_vgpr_workitem_id 0
		.amdhsa_next_free_vgpr 1
		.amdhsa_next_free_sgpr 1
		.amdhsa_named_barrier_count 0
		.amdhsa_reserve_vcc 0
		.amdhsa_float_round_mode_32 0
		.amdhsa_float_round_mode_16_64 0
		.amdhsa_float_denorm_mode_32 3
		.amdhsa_float_denorm_mode_16_64 3
		.amdhsa_fp16_overflow 0
		.amdhsa_memory_ordered 1
		.amdhsa_forward_progress 1
		.amdhsa_inst_pref_size 0
		.amdhsa_round_robin_scheduling 0
		.amdhsa_exception_fp_ieee_invalid_op 0
		.amdhsa_exception_fp_denorm_src 0
		.amdhsa_exception_fp_ieee_div_zero 0
		.amdhsa_exception_fp_ieee_overflow 0
		.amdhsa_exception_fp_ieee_underflow 0
		.amdhsa_exception_fp_ieee_inexact 0
		.amdhsa_exception_int_div_zero 0
	.end_amdhsa_kernel
	.section	.text._ZN7rocprim17ROCPRIM_400000_NS6detail17trampoline_kernelINS0_13select_configILj256ELj13ELNS0_17block_load_methodE3ELS4_3ELS4_3ELNS0_20block_scan_algorithmE0ELj4294967295EEENS1_25partition_config_selectorILNS1_17partition_subalgoE4EjNS0_10empty_typeEbEEZZNS1_14partition_implILS8_4ELb0ES6_15HIP_vector_typeIjLj2EENS0_17counting_iteratorIjlEEPS9_SG_NS0_5tupleIJPjSI_NS0_16reverse_iteratorISI_EEEEENSH_IJSG_SG_SG_EEES9_SI_JZNS1_25segmented_radix_sort_implINS0_14default_configELb1EPK6__halfPSP_PKlPlN2at6native12_GLOBAL__N_18offset_tEEE10hipError_tPvRmT1_PNSt15iterator_traitsIS13_E10value_typeET2_T3_PNS14_IS19_E10value_typeET4_jRbjT5_S1F_jjP12ihipStream_tbEUljE_ZNSN_ISO_Lb1ESR_SS_SU_SV_SZ_EES10_S11_S12_S13_S17_S18_S19_S1C_S1D_jS1E_jS1F_S1F_jjS1H_bEUljE0_EEES10_S11_S12_S19_S1D_S1F_T6_T7_T9_mT8_S1H_bDpT10_ENKUlT_T0_E_clISt17integral_constantIbLb0EES1V_EEDaS1Q_S1R_EUlS1Q_E_NS1_11comp_targetILNS1_3genE5ELNS1_11target_archE942ELNS1_3gpuE9ELNS1_3repE0EEENS1_30default_config_static_selectorELNS0_4arch9wavefront6targetE0EEEvS13_,"axG",@progbits,_ZN7rocprim17ROCPRIM_400000_NS6detail17trampoline_kernelINS0_13select_configILj256ELj13ELNS0_17block_load_methodE3ELS4_3ELS4_3ELNS0_20block_scan_algorithmE0ELj4294967295EEENS1_25partition_config_selectorILNS1_17partition_subalgoE4EjNS0_10empty_typeEbEEZZNS1_14partition_implILS8_4ELb0ES6_15HIP_vector_typeIjLj2EENS0_17counting_iteratorIjlEEPS9_SG_NS0_5tupleIJPjSI_NS0_16reverse_iteratorISI_EEEEENSH_IJSG_SG_SG_EEES9_SI_JZNS1_25segmented_radix_sort_implINS0_14default_configELb1EPK6__halfPSP_PKlPlN2at6native12_GLOBAL__N_18offset_tEEE10hipError_tPvRmT1_PNSt15iterator_traitsIS13_E10value_typeET2_T3_PNS14_IS19_E10value_typeET4_jRbjT5_S1F_jjP12ihipStream_tbEUljE_ZNSN_ISO_Lb1ESR_SS_SU_SV_SZ_EES10_S11_S12_S13_S17_S18_S19_S1C_S1D_jS1E_jS1F_S1F_jjS1H_bEUljE0_EEES10_S11_S12_S19_S1D_S1F_T6_T7_T9_mT8_S1H_bDpT10_ENKUlT_T0_E_clISt17integral_constantIbLb0EES1V_EEDaS1Q_S1R_EUlS1Q_E_NS1_11comp_targetILNS1_3genE5ELNS1_11target_archE942ELNS1_3gpuE9ELNS1_3repE0EEENS1_30default_config_static_selectorELNS0_4arch9wavefront6targetE0EEEvS13_,comdat
.Lfunc_end1666:
	.size	_ZN7rocprim17ROCPRIM_400000_NS6detail17trampoline_kernelINS0_13select_configILj256ELj13ELNS0_17block_load_methodE3ELS4_3ELS4_3ELNS0_20block_scan_algorithmE0ELj4294967295EEENS1_25partition_config_selectorILNS1_17partition_subalgoE4EjNS0_10empty_typeEbEEZZNS1_14partition_implILS8_4ELb0ES6_15HIP_vector_typeIjLj2EENS0_17counting_iteratorIjlEEPS9_SG_NS0_5tupleIJPjSI_NS0_16reverse_iteratorISI_EEEEENSH_IJSG_SG_SG_EEES9_SI_JZNS1_25segmented_radix_sort_implINS0_14default_configELb1EPK6__halfPSP_PKlPlN2at6native12_GLOBAL__N_18offset_tEEE10hipError_tPvRmT1_PNSt15iterator_traitsIS13_E10value_typeET2_T3_PNS14_IS19_E10value_typeET4_jRbjT5_S1F_jjP12ihipStream_tbEUljE_ZNSN_ISO_Lb1ESR_SS_SU_SV_SZ_EES10_S11_S12_S13_S17_S18_S19_S1C_S1D_jS1E_jS1F_S1F_jjS1H_bEUljE0_EEES10_S11_S12_S19_S1D_S1F_T6_T7_T9_mT8_S1H_bDpT10_ENKUlT_T0_E_clISt17integral_constantIbLb0EES1V_EEDaS1Q_S1R_EUlS1Q_E_NS1_11comp_targetILNS1_3genE5ELNS1_11target_archE942ELNS1_3gpuE9ELNS1_3repE0EEENS1_30default_config_static_selectorELNS0_4arch9wavefront6targetE0EEEvS13_, .Lfunc_end1666-_ZN7rocprim17ROCPRIM_400000_NS6detail17trampoline_kernelINS0_13select_configILj256ELj13ELNS0_17block_load_methodE3ELS4_3ELS4_3ELNS0_20block_scan_algorithmE0ELj4294967295EEENS1_25partition_config_selectorILNS1_17partition_subalgoE4EjNS0_10empty_typeEbEEZZNS1_14partition_implILS8_4ELb0ES6_15HIP_vector_typeIjLj2EENS0_17counting_iteratorIjlEEPS9_SG_NS0_5tupleIJPjSI_NS0_16reverse_iteratorISI_EEEEENSH_IJSG_SG_SG_EEES9_SI_JZNS1_25segmented_radix_sort_implINS0_14default_configELb1EPK6__halfPSP_PKlPlN2at6native12_GLOBAL__N_18offset_tEEE10hipError_tPvRmT1_PNSt15iterator_traitsIS13_E10value_typeET2_T3_PNS14_IS19_E10value_typeET4_jRbjT5_S1F_jjP12ihipStream_tbEUljE_ZNSN_ISO_Lb1ESR_SS_SU_SV_SZ_EES10_S11_S12_S13_S17_S18_S19_S1C_S1D_jS1E_jS1F_S1F_jjS1H_bEUljE0_EEES10_S11_S12_S19_S1D_S1F_T6_T7_T9_mT8_S1H_bDpT10_ENKUlT_T0_E_clISt17integral_constantIbLb0EES1V_EEDaS1Q_S1R_EUlS1Q_E_NS1_11comp_targetILNS1_3genE5ELNS1_11target_archE942ELNS1_3gpuE9ELNS1_3repE0EEENS1_30default_config_static_selectorELNS0_4arch9wavefront6targetE0EEEvS13_
                                        ; -- End function
	.set _ZN7rocprim17ROCPRIM_400000_NS6detail17trampoline_kernelINS0_13select_configILj256ELj13ELNS0_17block_load_methodE3ELS4_3ELS4_3ELNS0_20block_scan_algorithmE0ELj4294967295EEENS1_25partition_config_selectorILNS1_17partition_subalgoE4EjNS0_10empty_typeEbEEZZNS1_14partition_implILS8_4ELb0ES6_15HIP_vector_typeIjLj2EENS0_17counting_iteratorIjlEEPS9_SG_NS0_5tupleIJPjSI_NS0_16reverse_iteratorISI_EEEEENSH_IJSG_SG_SG_EEES9_SI_JZNS1_25segmented_radix_sort_implINS0_14default_configELb1EPK6__halfPSP_PKlPlN2at6native12_GLOBAL__N_18offset_tEEE10hipError_tPvRmT1_PNSt15iterator_traitsIS13_E10value_typeET2_T3_PNS14_IS19_E10value_typeET4_jRbjT5_S1F_jjP12ihipStream_tbEUljE_ZNSN_ISO_Lb1ESR_SS_SU_SV_SZ_EES10_S11_S12_S13_S17_S18_S19_S1C_S1D_jS1E_jS1F_S1F_jjS1H_bEUljE0_EEES10_S11_S12_S19_S1D_S1F_T6_T7_T9_mT8_S1H_bDpT10_ENKUlT_T0_E_clISt17integral_constantIbLb0EES1V_EEDaS1Q_S1R_EUlS1Q_E_NS1_11comp_targetILNS1_3genE5ELNS1_11target_archE942ELNS1_3gpuE9ELNS1_3repE0EEENS1_30default_config_static_selectorELNS0_4arch9wavefront6targetE0EEEvS13_.num_vgpr, 0
	.set _ZN7rocprim17ROCPRIM_400000_NS6detail17trampoline_kernelINS0_13select_configILj256ELj13ELNS0_17block_load_methodE3ELS4_3ELS4_3ELNS0_20block_scan_algorithmE0ELj4294967295EEENS1_25partition_config_selectorILNS1_17partition_subalgoE4EjNS0_10empty_typeEbEEZZNS1_14partition_implILS8_4ELb0ES6_15HIP_vector_typeIjLj2EENS0_17counting_iteratorIjlEEPS9_SG_NS0_5tupleIJPjSI_NS0_16reverse_iteratorISI_EEEEENSH_IJSG_SG_SG_EEES9_SI_JZNS1_25segmented_radix_sort_implINS0_14default_configELb1EPK6__halfPSP_PKlPlN2at6native12_GLOBAL__N_18offset_tEEE10hipError_tPvRmT1_PNSt15iterator_traitsIS13_E10value_typeET2_T3_PNS14_IS19_E10value_typeET4_jRbjT5_S1F_jjP12ihipStream_tbEUljE_ZNSN_ISO_Lb1ESR_SS_SU_SV_SZ_EES10_S11_S12_S13_S17_S18_S19_S1C_S1D_jS1E_jS1F_S1F_jjS1H_bEUljE0_EEES10_S11_S12_S19_S1D_S1F_T6_T7_T9_mT8_S1H_bDpT10_ENKUlT_T0_E_clISt17integral_constantIbLb0EES1V_EEDaS1Q_S1R_EUlS1Q_E_NS1_11comp_targetILNS1_3genE5ELNS1_11target_archE942ELNS1_3gpuE9ELNS1_3repE0EEENS1_30default_config_static_selectorELNS0_4arch9wavefront6targetE0EEEvS13_.num_agpr, 0
	.set _ZN7rocprim17ROCPRIM_400000_NS6detail17trampoline_kernelINS0_13select_configILj256ELj13ELNS0_17block_load_methodE3ELS4_3ELS4_3ELNS0_20block_scan_algorithmE0ELj4294967295EEENS1_25partition_config_selectorILNS1_17partition_subalgoE4EjNS0_10empty_typeEbEEZZNS1_14partition_implILS8_4ELb0ES6_15HIP_vector_typeIjLj2EENS0_17counting_iteratorIjlEEPS9_SG_NS0_5tupleIJPjSI_NS0_16reverse_iteratorISI_EEEEENSH_IJSG_SG_SG_EEES9_SI_JZNS1_25segmented_radix_sort_implINS0_14default_configELb1EPK6__halfPSP_PKlPlN2at6native12_GLOBAL__N_18offset_tEEE10hipError_tPvRmT1_PNSt15iterator_traitsIS13_E10value_typeET2_T3_PNS14_IS19_E10value_typeET4_jRbjT5_S1F_jjP12ihipStream_tbEUljE_ZNSN_ISO_Lb1ESR_SS_SU_SV_SZ_EES10_S11_S12_S13_S17_S18_S19_S1C_S1D_jS1E_jS1F_S1F_jjS1H_bEUljE0_EEES10_S11_S12_S19_S1D_S1F_T6_T7_T9_mT8_S1H_bDpT10_ENKUlT_T0_E_clISt17integral_constantIbLb0EES1V_EEDaS1Q_S1R_EUlS1Q_E_NS1_11comp_targetILNS1_3genE5ELNS1_11target_archE942ELNS1_3gpuE9ELNS1_3repE0EEENS1_30default_config_static_selectorELNS0_4arch9wavefront6targetE0EEEvS13_.numbered_sgpr, 0
	.set _ZN7rocprim17ROCPRIM_400000_NS6detail17trampoline_kernelINS0_13select_configILj256ELj13ELNS0_17block_load_methodE3ELS4_3ELS4_3ELNS0_20block_scan_algorithmE0ELj4294967295EEENS1_25partition_config_selectorILNS1_17partition_subalgoE4EjNS0_10empty_typeEbEEZZNS1_14partition_implILS8_4ELb0ES6_15HIP_vector_typeIjLj2EENS0_17counting_iteratorIjlEEPS9_SG_NS0_5tupleIJPjSI_NS0_16reverse_iteratorISI_EEEEENSH_IJSG_SG_SG_EEES9_SI_JZNS1_25segmented_radix_sort_implINS0_14default_configELb1EPK6__halfPSP_PKlPlN2at6native12_GLOBAL__N_18offset_tEEE10hipError_tPvRmT1_PNSt15iterator_traitsIS13_E10value_typeET2_T3_PNS14_IS19_E10value_typeET4_jRbjT5_S1F_jjP12ihipStream_tbEUljE_ZNSN_ISO_Lb1ESR_SS_SU_SV_SZ_EES10_S11_S12_S13_S17_S18_S19_S1C_S1D_jS1E_jS1F_S1F_jjS1H_bEUljE0_EEES10_S11_S12_S19_S1D_S1F_T6_T7_T9_mT8_S1H_bDpT10_ENKUlT_T0_E_clISt17integral_constantIbLb0EES1V_EEDaS1Q_S1R_EUlS1Q_E_NS1_11comp_targetILNS1_3genE5ELNS1_11target_archE942ELNS1_3gpuE9ELNS1_3repE0EEENS1_30default_config_static_selectorELNS0_4arch9wavefront6targetE0EEEvS13_.num_named_barrier, 0
	.set _ZN7rocprim17ROCPRIM_400000_NS6detail17trampoline_kernelINS0_13select_configILj256ELj13ELNS0_17block_load_methodE3ELS4_3ELS4_3ELNS0_20block_scan_algorithmE0ELj4294967295EEENS1_25partition_config_selectorILNS1_17partition_subalgoE4EjNS0_10empty_typeEbEEZZNS1_14partition_implILS8_4ELb0ES6_15HIP_vector_typeIjLj2EENS0_17counting_iteratorIjlEEPS9_SG_NS0_5tupleIJPjSI_NS0_16reverse_iteratorISI_EEEEENSH_IJSG_SG_SG_EEES9_SI_JZNS1_25segmented_radix_sort_implINS0_14default_configELb1EPK6__halfPSP_PKlPlN2at6native12_GLOBAL__N_18offset_tEEE10hipError_tPvRmT1_PNSt15iterator_traitsIS13_E10value_typeET2_T3_PNS14_IS19_E10value_typeET4_jRbjT5_S1F_jjP12ihipStream_tbEUljE_ZNSN_ISO_Lb1ESR_SS_SU_SV_SZ_EES10_S11_S12_S13_S17_S18_S19_S1C_S1D_jS1E_jS1F_S1F_jjS1H_bEUljE0_EEES10_S11_S12_S19_S1D_S1F_T6_T7_T9_mT8_S1H_bDpT10_ENKUlT_T0_E_clISt17integral_constantIbLb0EES1V_EEDaS1Q_S1R_EUlS1Q_E_NS1_11comp_targetILNS1_3genE5ELNS1_11target_archE942ELNS1_3gpuE9ELNS1_3repE0EEENS1_30default_config_static_selectorELNS0_4arch9wavefront6targetE0EEEvS13_.private_seg_size, 0
	.set _ZN7rocprim17ROCPRIM_400000_NS6detail17trampoline_kernelINS0_13select_configILj256ELj13ELNS0_17block_load_methodE3ELS4_3ELS4_3ELNS0_20block_scan_algorithmE0ELj4294967295EEENS1_25partition_config_selectorILNS1_17partition_subalgoE4EjNS0_10empty_typeEbEEZZNS1_14partition_implILS8_4ELb0ES6_15HIP_vector_typeIjLj2EENS0_17counting_iteratorIjlEEPS9_SG_NS0_5tupleIJPjSI_NS0_16reverse_iteratorISI_EEEEENSH_IJSG_SG_SG_EEES9_SI_JZNS1_25segmented_radix_sort_implINS0_14default_configELb1EPK6__halfPSP_PKlPlN2at6native12_GLOBAL__N_18offset_tEEE10hipError_tPvRmT1_PNSt15iterator_traitsIS13_E10value_typeET2_T3_PNS14_IS19_E10value_typeET4_jRbjT5_S1F_jjP12ihipStream_tbEUljE_ZNSN_ISO_Lb1ESR_SS_SU_SV_SZ_EES10_S11_S12_S13_S17_S18_S19_S1C_S1D_jS1E_jS1F_S1F_jjS1H_bEUljE0_EEES10_S11_S12_S19_S1D_S1F_T6_T7_T9_mT8_S1H_bDpT10_ENKUlT_T0_E_clISt17integral_constantIbLb0EES1V_EEDaS1Q_S1R_EUlS1Q_E_NS1_11comp_targetILNS1_3genE5ELNS1_11target_archE942ELNS1_3gpuE9ELNS1_3repE0EEENS1_30default_config_static_selectorELNS0_4arch9wavefront6targetE0EEEvS13_.uses_vcc, 0
	.set _ZN7rocprim17ROCPRIM_400000_NS6detail17trampoline_kernelINS0_13select_configILj256ELj13ELNS0_17block_load_methodE3ELS4_3ELS4_3ELNS0_20block_scan_algorithmE0ELj4294967295EEENS1_25partition_config_selectorILNS1_17partition_subalgoE4EjNS0_10empty_typeEbEEZZNS1_14partition_implILS8_4ELb0ES6_15HIP_vector_typeIjLj2EENS0_17counting_iteratorIjlEEPS9_SG_NS0_5tupleIJPjSI_NS0_16reverse_iteratorISI_EEEEENSH_IJSG_SG_SG_EEES9_SI_JZNS1_25segmented_radix_sort_implINS0_14default_configELb1EPK6__halfPSP_PKlPlN2at6native12_GLOBAL__N_18offset_tEEE10hipError_tPvRmT1_PNSt15iterator_traitsIS13_E10value_typeET2_T3_PNS14_IS19_E10value_typeET4_jRbjT5_S1F_jjP12ihipStream_tbEUljE_ZNSN_ISO_Lb1ESR_SS_SU_SV_SZ_EES10_S11_S12_S13_S17_S18_S19_S1C_S1D_jS1E_jS1F_S1F_jjS1H_bEUljE0_EEES10_S11_S12_S19_S1D_S1F_T6_T7_T9_mT8_S1H_bDpT10_ENKUlT_T0_E_clISt17integral_constantIbLb0EES1V_EEDaS1Q_S1R_EUlS1Q_E_NS1_11comp_targetILNS1_3genE5ELNS1_11target_archE942ELNS1_3gpuE9ELNS1_3repE0EEENS1_30default_config_static_selectorELNS0_4arch9wavefront6targetE0EEEvS13_.uses_flat_scratch, 0
	.set _ZN7rocprim17ROCPRIM_400000_NS6detail17trampoline_kernelINS0_13select_configILj256ELj13ELNS0_17block_load_methodE3ELS4_3ELS4_3ELNS0_20block_scan_algorithmE0ELj4294967295EEENS1_25partition_config_selectorILNS1_17partition_subalgoE4EjNS0_10empty_typeEbEEZZNS1_14partition_implILS8_4ELb0ES6_15HIP_vector_typeIjLj2EENS0_17counting_iteratorIjlEEPS9_SG_NS0_5tupleIJPjSI_NS0_16reverse_iteratorISI_EEEEENSH_IJSG_SG_SG_EEES9_SI_JZNS1_25segmented_radix_sort_implINS0_14default_configELb1EPK6__halfPSP_PKlPlN2at6native12_GLOBAL__N_18offset_tEEE10hipError_tPvRmT1_PNSt15iterator_traitsIS13_E10value_typeET2_T3_PNS14_IS19_E10value_typeET4_jRbjT5_S1F_jjP12ihipStream_tbEUljE_ZNSN_ISO_Lb1ESR_SS_SU_SV_SZ_EES10_S11_S12_S13_S17_S18_S19_S1C_S1D_jS1E_jS1F_S1F_jjS1H_bEUljE0_EEES10_S11_S12_S19_S1D_S1F_T6_T7_T9_mT8_S1H_bDpT10_ENKUlT_T0_E_clISt17integral_constantIbLb0EES1V_EEDaS1Q_S1R_EUlS1Q_E_NS1_11comp_targetILNS1_3genE5ELNS1_11target_archE942ELNS1_3gpuE9ELNS1_3repE0EEENS1_30default_config_static_selectorELNS0_4arch9wavefront6targetE0EEEvS13_.has_dyn_sized_stack, 0
	.set _ZN7rocprim17ROCPRIM_400000_NS6detail17trampoline_kernelINS0_13select_configILj256ELj13ELNS0_17block_load_methodE3ELS4_3ELS4_3ELNS0_20block_scan_algorithmE0ELj4294967295EEENS1_25partition_config_selectorILNS1_17partition_subalgoE4EjNS0_10empty_typeEbEEZZNS1_14partition_implILS8_4ELb0ES6_15HIP_vector_typeIjLj2EENS0_17counting_iteratorIjlEEPS9_SG_NS0_5tupleIJPjSI_NS0_16reverse_iteratorISI_EEEEENSH_IJSG_SG_SG_EEES9_SI_JZNS1_25segmented_radix_sort_implINS0_14default_configELb1EPK6__halfPSP_PKlPlN2at6native12_GLOBAL__N_18offset_tEEE10hipError_tPvRmT1_PNSt15iterator_traitsIS13_E10value_typeET2_T3_PNS14_IS19_E10value_typeET4_jRbjT5_S1F_jjP12ihipStream_tbEUljE_ZNSN_ISO_Lb1ESR_SS_SU_SV_SZ_EES10_S11_S12_S13_S17_S18_S19_S1C_S1D_jS1E_jS1F_S1F_jjS1H_bEUljE0_EEES10_S11_S12_S19_S1D_S1F_T6_T7_T9_mT8_S1H_bDpT10_ENKUlT_T0_E_clISt17integral_constantIbLb0EES1V_EEDaS1Q_S1R_EUlS1Q_E_NS1_11comp_targetILNS1_3genE5ELNS1_11target_archE942ELNS1_3gpuE9ELNS1_3repE0EEENS1_30default_config_static_selectorELNS0_4arch9wavefront6targetE0EEEvS13_.has_recursion, 0
	.set _ZN7rocprim17ROCPRIM_400000_NS6detail17trampoline_kernelINS0_13select_configILj256ELj13ELNS0_17block_load_methodE3ELS4_3ELS4_3ELNS0_20block_scan_algorithmE0ELj4294967295EEENS1_25partition_config_selectorILNS1_17partition_subalgoE4EjNS0_10empty_typeEbEEZZNS1_14partition_implILS8_4ELb0ES6_15HIP_vector_typeIjLj2EENS0_17counting_iteratorIjlEEPS9_SG_NS0_5tupleIJPjSI_NS0_16reverse_iteratorISI_EEEEENSH_IJSG_SG_SG_EEES9_SI_JZNS1_25segmented_radix_sort_implINS0_14default_configELb1EPK6__halfPSP_PKlPlN2at6native12_GLOBAL__N_18offset_tEEE10hipError_tPvRmT1_PNSt15iterator_traitsIS13_E10value_typeET2_T3_PNS14_IS19_E10value_typeET4_jRbjT5_S1F_jjP12ihipStream_tbEUljE_ZNSN_ISO_Lb1ESR_SS_SU_SV_SZ_EES10_S11_S12_S13_S17_S18_S19_S1C_S1D_jS1E_jS1F_S1F_jjS1H_bEUljE0_EEES10_S11_S12_S19_S1D_S1F_T6_T7_T9_mT8_S1H_bDpT10_ENKUlT_T0_E_clISt17integral_constantIbLb0EES1V_EEDaS1Q_S1R_EUlS1Q_E_NS1_11comp_targetILNS1_3genE5ELNS1_11target_archE942ELNS1_3gpuE9ELNS1_3repE0EEENS1_30default_config_static_selectorELNS0_4arch9wavefront6targetE0EEEvS13_.has_indirect_call, 0
	.section	.AMDGPU.csdata,"",@progbits
; Kernel info:
; codeLenInByte = 0
; TotalNumSgprs: 0
; NumVgprs: 0
; ScratchSize: 0
; MemoryBound: 0
; FloatMode: 240
; IeeeMode: 1
; LDSByteSize: 0 bytes/workgroup (compile time only)
; SGPRBlocks: 0
; VGPRBlocks: 0
; NumSGPRsForWavesPerEU: 1
; NumVGPRsForWavesPerEU: 1
; NamedBarCnt: 0
; Occupancy: 16
; WaveLimiterHint : 0
; COMPUTE_PGM_RSRC2:SCRATCH_EN: 0
; COMPUTE_PGM_RSRC2:USER_SGPR: 2
; COMPUTE_PGM_RSRC2:TRAP_HANDLER: 0
; COMPUTE_PGM_RSRC2:TGID_X_EN: 1
; COMPUTE_PGM_RSRC2:TGID_Y_EN: 0
; COMPUTE_PGM_RSRC2:TGID_Z_EN: 0
; COMPUTE_PGM_RSRC2:TIDIG_COMP_CNT: 0
	.section	.text._ZN7rocprim17ROCPRIM_400000_NS6detail17trampoline_kernelINS0_13select_configILj256ELj13ELNS0_17block_load_methodE3ELS4_3ELS4_3ELNS0_20block_scan_algorithmE0ELj4294967295EEENS1_25partition_config_selectorILNS1_17partition_subalgoE4EjNS0_10empty_typeEbEEZZNS1_14partition_implILS8_4ELb0ES6_15HIP_vector_typeIjLj2EENS0_17counting_iteratorIjlEEPS9_SG_NS0_5tupleIJPjSI_NS0_16reverse_iteratorISI_EEEEENSH_IJSG_SG_SG_EEES9_SI_JZNS1_25segmented_radix_sort_implINS0_14default_configELb1EPK6__halfPSP_PKlPlN2at6native12_GLOBAL__N_18offset_tEEE10hipError_tPvRmT1_PNSt15iterator_traitsIS13_E10value_typeET2_T3_PNS14_IS19_E10value_typeET4_jRbjT5_S1F_jjP12ihipStream_tbEUljE_ZNSN_ISO_Lb1ESR_SS_SU_SV_SZ_EES10_S11_S12_S13_S17_S18_S19_S1C_S1D_jS1E_jS1F_S1F_jjS1H_bEUljE0_EEES10_S11_S12_S19_S1D_S1F_T6_T7_T9_mT8_S1H_bDpT10_ENKUlT_T0_E_clISt17integral_constantIbLb0EES1V_EEDaS1Q_S1R_EUlS1Q_E_NS1_11comp_targetILNS1_3genE4ELNS1_11target_archE910ELNS1_3gpuE8ELNS1_3repE0EEENS1_30default_config_static_selectorELNS0_4arch9wavefront6targetE0EEEvS13_,"axG",@progbits,_ZN7rocprim17ROCPRIM_400000_NS6detail17trampoline_kernelINS0_13select_configILj256ELj13ELNS0_17block_load_methodE3ELS4_3ELS4_3ELNS0_20block_scan_algorithmE0ELj4294967295EEENS1_25partition_config_selectorILNS1_17partition_subalgoE4EjNS0_10empty_typeEbEEZZNS1_14partition_implILS8_4ELb0ES6_15HIP_vector_typeIjLj2EENS0_17counting_iteratorIjlEEPS9_SG_NS0_5tupleIJPjSI_NS0_16reverse_iteratorISI_EEEEENSH_IJSG_SG_SG_EEES9_SI_JZNS1_25segmented_radix_sort_implINS0_14default_configELb1EPK6__halfPSP_PKlPlN2at6native12_GLOBAL__N_18offset_tEEE10hipError_tPvRmT1_PNSt15iterator_traitsIS13_E10value_typeET2_T3_PNS14_IS19_E10value_typeET4_jRbjT5_S1F_jjP12ihipStream_tbEUljE_ZNSN_ISO_Lb1ESR_SS_SU_SV_SZ_EES10_S11_S12_S13_S17_S18_S19_S1C_S1D_jS1E_jS1F_S1F_jjS1H_bEUljE0_EEES10_S11_S12_S19_S1D_S1F_T6_T7_T9_mT8_S1H_bDpT10_ENKUlT_T0_E_clISt17integral_constantIbLb0EES1V_EEDaS1Q_S1R_EUlS1Q_E_NS1_11comp_targetILNS1_3genE4ELNS1_11target_archE910ELNS1_3gpuE8ELNS1_3repE0EEENS1_30default_config_static_selectorELNS0_4arch9wavefront6targetE0EEEvS13_,comdat
	.globl	_ZN7rocprim17ROCPRIM_400000_NS6detail17trampoline_kernelINS0_13select_configILj256ELj13ELNS0_17block_load_methodE3ELS4_3ELS4_3ELNS0_20block_scan_algorithmE0ELj4294967295EEENS1_25partition_config_selectorILNS1_17partition_subalgoE4EjNS0_10empty_typeEbEEZZNS1_14partition_implILS8_4ELb0ES6_15HIP_vector_typeIjLj2EENS0_17counting_iteratorIjlEEPS9_SG_NS0_5tupleIJPjSI_NS0_16reverse_iteratorISI_EEEEENSH_IJSG_SG_SG_EEES9_SI_JZNS1_25segmented_radix_sort_implINS0_14default_configELb1EPK6__halfPSP_PKlPlN2at6native12_GLOBAL__N_18offset_tEEE10hipError_tPvRmT1_PNSt15iterator_traitsIS13_E10value_typeET2_T3_PNS14_IS19_E10value_typeET4_jRbjT5_S1F_jjP12ihipStream_tbEUljE_ZNSN_ISO_Lb1ESR_SS_SU_SV_SZ_EES10_S11_S12_S13_S17_S18_S19_S1C_S1D_jS1E_jS1F_S1F_jjS1H_bEUljE0_EEES10_S11_S12_S19_S1D_S1F_T6_T7_T9_mT8_S1H_bDpT10_ENKUlT_T0_E_clISt17integral_constantIbLb0EES1V_EEDaS1Q_S1R_EUlS1Q_E_NS1_11comp_targetILNS1_3genE4ELNS1_11target_archE910ELNS1_3gpuE8ELNS1_3repE0EEENS1_30default_config_static_selectorELNS0_4arch9wavefront6targetE0EEEvS13_ ; -- Begin function _ZN7rocprim17ROCPRIM_400000_NS6detail17trampoline_kernelINS0_13select_configILj256ELj13ELNS0_17block_load_methodE3ELS4_3ELS4_3ELNS0_20block_scan_algorithmE0ELj4294967295EEENS1_25partition_config_selectorILNS1_17partition_subalgoE4EjNS0_10empty_typeEbEEZZNS1_14partition_implILS8_4ELb0ES6_15HIP_vector_typeIjLj2EENS0_17counting_iteratorIjlEEPS9_SG_NS0_5tupleIJPjSI_NS0_16reverse_iteratorISI_EEEEENSH_IJSG_SG_SG_EEES9_SI_JZNS1_25segmented_radix_sort_implINS0_14default_configELb1EPK6__halfPSP_PKlPlN2at6native12_GLOBAL__N_18offset_tEEE10hipError_tPvRmT1_PNSt15iterator_traitsIS13_E10value_typeET2_T3_PNS14_IS19_E10value_typeET4_jRbjT5_S1F_jjP12ihipStream_tbEUljE_ZNSN_ISO_Lb1ESR_SS_SU_SV_SZ_EES10_S11_S12_S13_S17_S18_S19_S1C_S1D_jS1E_jS1F_S1F_jjS1H_bEUljE0_EEES10_S11_S12_S19_S1D_S1F_T6_T7_T9_mT8_S1H_bDpT10_ENKUlT_T0_E_clISt17integral_constantIbLb0EES1V_EEDaS1Q_S1R_EUlS1Q_E_NS1_11comp_targetILNS1_3genE4ELNS1_11target_archE910ELNS1_3gpuE8ELNS1_3repE0EEENS1_30default_config_static_selectorELNS0_4arch9wavefront6targetE0EEEvS13_
	.p2align	8
	.type	_ZN7rocprim17ROCPRIM_400000_NS6detail17trampoline_kernelINS0_13select_configILj256ELj13ELNS0_17block_load_methodE3ELS4_3ELS4_3ELNS0_20block_scan_algorithmE0ELj4294967295EEENS1_25partition_config_selectorILNS1_17partition_subalgoE4EjNS0_10empty_typeEbEEZZNS1_14partition_implILS8_4ELb0ES6_15HIP_vector_typeIjLj2EENS0_17counting_iteratorIjlEEPS9_SG_NS0_5tupleIJPjSI_NS0_16reverse_iteratorISI_EEEEENSH_IJSG_SG_SG_EEES9_SI_JZNS1_25segmented_radix_sort_implINS0_14default_configELb1EPK6__halfPSP_PKlPlN2at6native12_GLOBAL__N_18offset_tEEE10hipError_tPvRmT1_PNSt15iterator_traitsIS13_E10value_typeET2_T3_PNS14_IS19_E10value_typeET4_jRbjT5_S1F_jjP12ihipStream_tbEUljE_ZNSN_ISO_Lb1ESR_SS_SU_SV_SZ_EES10_S11_S12_S13_S17_S18_S19_S1C_S1D_jS1E_jS1F_S1F_jjS1H_bEUljE0_EEES10_S11_S12_S19_S1D_S1F_T6_T7_T9_mT8_S1H_bDpT10_ENKUlT_T0_E_clISt17integral_constantIbLb0EES1V_EEDaS1Q_S1R_EUlS1Q_E_NS1_11comp_targetILNS1_3genE4ELNS1_11target_archE910ELNS1_3gpuE8ELNS1_3repE0EEENS1_30default_config_static_selectorELNS0_4arch9wavefront6targetE0EEEvS13_,@function
_ZN7rocprim17ROCPRIM_400000_NS6detail17trampoline_kernelINS0_13select_configILj256ELj13ELNS0_17block_load_methodE3ELS4_3ELS4_3ELNS0_20block_scan_algorithmE0ELj4294967295EEENS1_25partition_config_selectorILNS1_17partition_subalgoE4EjNS0_10empty_typeEbEEZZNS1_14partition_implILS8_4ELb0ES6_15HIP_vector_typeIjLj2EENS0_17counting_iteratorIjlEEPS9_SG_NS0_5tupleIJPjSI_NS0_16reverse_iteratorISI_EEEEENSH_IJSG_SG_SG_EEES9_SI_JZNS1_25segmented_radix_sort_implINS0_14default_configELb1EPK6__halfPSP_PKlPlN2at6native12_GLOBAL__N_18offset_tEEE10hipError_tPvRmT1_PNSt15iterator_traitsIS13_E10value_typeET2_T3_PNS14_IS19_E10value_typeET4_jRbjT5_S1F_jjP12ihipStream_tbEUljE_ZNSN_ISO_Lb1ESR_SS_SU_SV_SZ_EES10_S11_S12_S13_S17_S18_S19_S1C_S1D_jS1E_jS1F_S1F_jjS1H_bEUljE0_EEES10_S11_S12_S19_S1D_S1F_T6_T7_T9_mT8_S1H_bDpT10_ENKUlT_T0_E_clISt17integral_constantIbLb0EES1V_EEDaS1Q_S1R_EUlS1Q_E_NS1_11comp_targetILNS1_3genE4ELNS1_11target_archE910ELNS1_3gpuE8ELNS1_3repE0EEENS1_30default_config_static_selectorELNS0_4arch9wavefront6targetE0EEEvS13_: ; @_ZN7rocprim17ROCPRIM_400000_NS6detail17trampoline_kernelINS0_13select_configILj256ELj13ELNS0_17block_load_methodE3ELS4_3ELS4_3ELNS0_20block_scan_algorithmE0ELj4294967295EEENS1_25partition_config_selectorILNS1_17partition_subalgoE4EjNS0_10empty_typeEbEEZZNS1_14partition_implILS8_4ELb0ES6_15HIP_vector_typeIjLj2EENS0_17counting_iteratorIjlEEPS9_SG_NS0_5tupleIJPjSI_NS0_16reverse_iteratorISI_EEEEENSH_IJSG_SG_SG_EEES9_SI_JZNS1_25segmented_radix_sort_implINS0_14default_configELb1EPK6__halfPSP_PKlPlN2at6native12_GLOBAL__N_18offset_tEEE10hipError_tPvRmT1_PNSt15iterator_traitsIS13_E10value_typeET2_T3_PNS14_IS19_E10value_typeET4_jRbjT5_S1F_jjP12ihipStream_tbEUljE_ZNSN_ISO_Lb1ESR_SS_SU_SV_SZ_EES10_S11_S12_S13_S17_S18_S19_S1C_S1D_jS1E_jS1F_S1F_jjS1H_bEUljE0_EEES10_S11_S12_S19_S1D_S1F_T6_T7_T9_mT8_S1H_bDpT10_ENKUlT_T0_E_clISt17integral_constantIbLb0EES1V_EEDaS1Q_S1R_EUlS1Q_E_NS1_11comp_targetILNS1_3genE4ELNS1_11target_archE910ELNS1_3gpuE8ELNS1_3repE0EEENS1_30default_config_static_selectorELNS0_4arch9wavefront6targetE0EEEvS13_
; %bb.0:
	.section	.rodata,"a",@progbits
	.p2align	6, 0x0
	.amdhsa_kernel _ZN7rocprim17ROCPRIM_400000_NS6detail17trampoline_kernelINS0_13select_configILj256ELj13ELNS0_17block_load_methodE3ELS4_3ELS4_3ELNS0_20block_scan_algorithmE0ELj4294967295EEENS1_25partition_config_selectorILNS1_17partition_subalgoE4EjNS0_10empty_typeEbEEZZNS1_14partition_implILS8_4ELb0ES6_15HIP_vector_typeIjLj2EENS0_17counting_iteratorIjlEEPS9_SG_NS0_5tupleIJPjSI_NS0_16reverse_iteratorISI_EEEEENSH_IJSG_SG_SG_EEES9_SI_JZNS1_25segmented_radix_sort_implINS0_14default_configELb1EPK6__halfPSP_PKlPlN2at6native12_GLOBAL__N_18offset_tEEE10hipError_tPvRmT1_PNSt15iterator_traitsIS13_E10value_typeET2_T3_PNS14_IS19_E10value_typeET4_jRbjT5_S1F_jjP12ihipStream_tbEUljE_ZNSN_ISO_Lb1ESR_SS_SU_SV_SZ_EES10_S11_S12_S13_S17_S18_S19_S1C_S1D_jS1E_jS1F_S1F_jjS1H_bEUljE0_EEES10_S11_S12_S19_S1D_S1F_T6_T7_T9_mT8_S1H_bDpT10_ENKUlT_T0_E_clISt17integral_constantIbLb0EES1V_EEDaS1Q_S1R_EUlS1Q_E_NS1_11comp_targetILNS1_3genE4ELNS1_11target_archE910ELNS1_3gpuE8ELNS1_3repE0EEENS1_30default_config_static_selectorELNS0_4arch9wavefront6targetE0EEEvS13_
		.amdhsa_group_segment_fixed_size 0
		.amdhsa_private_segment_fixed_size 0
		.amdhsa_kernarg_size 176
		.amdhsa_user_sgpr_count 2
		.amdhsa_user_sgpr_dispatch_ptr 0
		.amdhsa_user_sgpr_queue_ptr 0
		.amdhsa_user_sgpr_kernarg_segment_ptr 1
		.amdhsa_user_sgpr_dispatch_id 0
		.amdhsa_user_sgpr_kernarg_preload_length 0
		.amdhsa_user_sgpr_kernarg_preload_offset 0
		.amdhsa_user_sgpr_private_segment_size 0
		.amdhsa_wavefront_size32 1
		.amdhsa_uses_dynamic_stack 0
		.amdhsa_enable_private_segment 0
		.amdhsa_system_sgpr_workgroup_id_x 1
		.amdhsa_system_sgpr_workgroup_id_y 0
		.amdhsa_system_sgpr_workgroup_id_z 0
		.amdhsa_system_sgpr_workgroup_info 0
		.amdhsa_system_vgpr_workitem_id 0
		.amdhsa_next_free_vgpr 1
		.amdhsa_next_free_sgpr 1
		.amdhsa_named_barrier_count 0
		.amdhsa_reserve_vcc 0
		.amdhsa_float_round_mode_32 0
		.amdhsa_float_round_mode_16_64 0
		.amdhsa_float_denorm_mode_32 3
		.amdhsa_float_denorm_mode_16_64 3
		.amdhsa_fp16_overflow 0
		.amdhsa_memory_ordered 1
		.amdhsa_forward_progress 1
		.amdhsa_inst_pref_size 0
		.amdhsa_round_robin_scheduling 0
		.amdhsa_exception_fp_ieee_invalid_op 0
		.amdhsa_exception_fp_denorm_src 0
		.amdhsa_exception_fp_ieee_div_zero 0
		.amdhsa_exception_fp_ieee_overflow 0
		.amdhsa_exception_fp_ieee_underflow 0
		.amdhsa_exception_fp_ieee_inexact 0
		.amdhsa_exception_int_div_zero 0
	.end_amdhsa_kernel
	.section	.text._ZN7rocprim17ROCPRIM_400000_NS6detail17trampoline_kernelINS0_13select_configILj256ELj13ELNS0_17block_load_methodE3ELS4_3ELS4_3ELNS0_20block_scan_algorithmE0ELj4294967295EEENS1_25partition_config_selectorILNS1_17partition_subalgoE4EjNS0_10empty_typeEbEEZZNS1_14partition_implILS8_4ELb0ES6_15HIP_vector_typeIjLj2EENS0_17counting_iteratorIjlEEPS9_SG_NS0_5tupleIJPjSI_NS0_16reverse_iteratorISI_EEEEENSH_IJSG_SG_SG_EEES9_SI_JZNS1_25segmented_radix_sort_implINS0_14default_configELb1EPK6__halfPSP_PKlPlN2at6native12_GLOBAL__N_18offset_tEEE10hipError_tPvRmT1_PNSt15iterator_traitsIS13_E10value_typeET2_T3_PNS14_IS19_E10value_typeET4_jRbjT5_S1F_jjP12ihipStream_tbEUljE_ZNSN_ISO_Lb1ESR_SS_SU_SV_SZ_EES10_S11_S12_S13_S17_S18_S19_S1C_S1D_jS1E_jS1F_S1F_jjS1H_bEUljE0_EEES10_S11_S12_S19_S1D_S1F_T6_T7_T9_mT8_S1H_bDpT10_ENKUlT_T0_E_clISt17integral_constantIbLb0EES1V_EEDaS1Q_S1R_EUlS1Q_E_NS1_11comp_targetILNS1_3genE4ELNS1_11target_archE910ELNS1_3gpuE8ELNS1_3repE0EEENS1_30default_config_static_selectorELNS0_4arch9wavefront6targetE0EEEvS13_,"axG",@progbits,_ZN7rocprim17ROCPRIM_400000_NS6detail17trampoline_kernelINS0_13select_configILj256ELj13ELNS0_17block_load_methodE3ELS4_3ELS4_3ELNS0_20block_scan_algorithmE0ELj4294967295EEENS1_25partition_config_selectorILNS1_17partition_subalgoE4EjNS0_10empty_typeEbEEZZNS1_14partition_implILS8_4ELb0ES6_15HIP_vector_typeIjLj2EENS0_17counting_iteratorIjlEEPS9_SG_NS0_5tupleIJPjSI_NS0_16reverse_iteratorISI_EEEEENSH_IJSG_SG_SG_EEES9_SI_JZNS1_25segmented_radix_sort_implINS0_14default_configELb1EPK6__halfPSP_PKlPlN2at6native12_GLOBAL__N_18offset_tEEE10hipError_tPvRmT1_PNSt15iterator_traitsIS13_E10value_typeET2_T3_PNS14_IS19_E10value_typeET4_jRbjT5_S1F_jjP12ihipStream_tbEUljE_ZNSN_ISO_Lb1ESR_SS_SU_SV_SZ_EES10_S11_S12_S13_S17_S18_S19_S1C_S1D_jS1E_jS1F_S1F_jjS1H_bEUljE0_EEES10_S11_S12_S19_S1D_S1F_T6_T7_T9_mT8_S1H_bDpT10_ENKUlT_T0_E_clISt17integral_constantIbLb0EES1V_EEDaS1Q_S1R_EUlS1Q_E_NS1_11comp_targetILNS1_3genE4ELNS1_11target_archE910ELNS1_3gpuE8ELNS1_3repE0EEENS1_30default_config_static_selectorELNS0_4arch9wavefront6targetE0EEEvS13_,comdat
.Lfunc_end1667:
	.size	_ZN7rocprim17ROCPRIM_400000_NS6detail17trampoline_kernelINS0_13select_configILj256ELj13ELNS0_17block_load_methodE3ELS4_3ELS4_3ELNS0_20block_scan_algorithmE0ELj4294967295EEENS1_25partition_config_selectorILNS1_17partition_subalgoE4EjNS0_10empty_typeEbEEZZNS1_14partition_implILS8_4ELb0ES6_15HIP_vector_typeIjLj2EENS0_17counting_iteratorIjlEEPS9_SG_NS0_5tupleIJPjSI_NS0_16reverse_iteratorISI_EEEEENSH_IJSG_SG_SG_EEES9_SI_JZNS1_25segmented_radix_sort_implINS0_14default_configELb1EPK6__halfPSP_PKlPlN2at6native12_GLOBAL__N_18offset_tEEE10hipError_tPvRmT1_PNSt15iterator_traitsIS13_E10value_typeET2_T3_PNS14_IS19_E10value_typeET4_jRbjT5_S1F_jjP12ihipStream_tbEUljE_ZNSN_ISO_Lb1ESR_SS_SU_SV_SZ_EES10_S11_S12_S13_S17_S18_S19_S1C_S1D_jS1E_jS1F_S1F_jjS1H_bEUljE0_EEES10_S11_S12_S19_S1D_S1F_T6_T7_T9_mT8_S1H_bDpT10_ENKUlT_T0_E_clISt17integral_constantIbLb0EES1V_EEDaS1Q_S1R_EUlS1Q_E_NS1_11comp_targetILNS1_3genE4ELNS1_11target_archE910ELNS1_3gpuE8ELNS1_3repE0EEENS1_30default_config_static_selectorELNS0_4arch9wavefront6targetE0EEEvS13_, .Lfunc_end1667-_ZN7rocprim17ROCPRIM_400000_NS6detail17trampoline_kernelINS0_13select_configILj256ELj13ELNS0_17block_load_methodE3ELS4_3ELS4_3ELNS0_20block_scan_algorithmE0ELj4294967295EEENS1_25partition_config_selectorILNS1_17partition_subalgoE4EjNS0_10empty_typeEbEEZZNS1_14partition_implILS8_4ELb0ES6_15HIP_vector_typeIjLj2EENS0_17counting_iteratorIjlEEPS9_SG_NS0_5tupleIJPjSI_NS0_16reverse_iteratorISI_EEEEENSH_IJSG_SG_SG_EEES9_SI_JZNS1_25segmented_radix_sort_implINS0_14default_configELb1EPK6__halfPSP_PKlPlN2at6native12_GLOBAL__N_18offset_tEEE10hipError_tPvRmT1_PNSt15iterator_traitsIS13_E10value_typeET2_T3_PNS14_IS19_E10value_typeET4_jRbjT5_S1F_jjP12ihipStream_tbEUljE_ZNSN_ISO_Lb1ESR_SS_SU_SV_SZ_EES10_S11_S12_S13_S17_S18_S19_S1C_S1D_jS1E_jS1F_S1F_jjS1H_bEUljE0_EEES10_S11_S12_S19_S1D_S1F_T6_T7_T9_mT8_S1H_bDpT10_ENKUlT_T0_E_clISt17integral_constantIbLb0EES1V_EEDaS1Q_S1R_EUlS1Q_E_NS1_11comp_targetILNS1_3genE4ELNS1_11target_archE910ELNS1_3gpuE8ELNS1_3repE0EEENS1_30default_config_static_selectorELNS0_4arch9wavefront6targetE0EEEvS13_
                                        ; -- End function
	.set _ZN7rocprim17ROCPRIM_400000_NS6detail17trampoline_kernelINS0_13select_configILj256ELj13ELNS0_17block_load_methodE3ELS4_3ELS4_3ELNS0_20block_scan_algorithmE0ELj4294967295EEENS1_25partition_config_selectorILNS1_17partition_subalgoE4EjNS0_10empty_typeEbEEZZNS1_14partition_implILS8_4ELb0ES6_15HIP_vector_typeIjLj2EENS0_17counting_iteratorIjlEEPS9_SG_NS0_5tupleIJPjSI_NS0_16reverse_iteratorISI_EEEEENSH_IJSG_SG_SG_EEES9_SI_JZNS1_25segmented_radix_sort_implINS0_14default_configELb1EPK6__halfPSP_PKlPlN2at6native12_GLOBAL__N_18offset_tEEE10hipError_tPvRmT1_PNSt15iterator_traitsIS13_E10value_typeET2_T3_PNS14_IS19_E10value_typeET4_jRbjT5_S1F_jjP12ihipStream_tbEUljE_ZNSN_ISO_Lb1ESR_SS_SU_SV_SZ_EES10_S11_S12_S13_S17_S18_S19_S1C_S1D_jS1E_jS1F_S1F_jjS1H_bEUljE0_EEES10_S11_S12_S19_S1D_S1F_T6_T7_T9_mT8_S1H_bDpT10_ENKUlT_T0_E_clISt17integral_constantIbLb0EES1V_EEDaS1Q_S1R_EUlS1Q_E_NS1_11comp_targetILNS1_3genE4ELNS1_11target_archE910ELNS1_3gpuE8ELNS1_3repE0EEENS1_30default_config_static_selectorELNS0_4arch9wavefront6targetE0EEEvS13_.num_vgpr, 0
	.set _ZN7rocprim17ROCPRIM_400000_NS6detail17trampoline_kernelINS0_13select_configILj256ELj13ELNS0_17block_load_methodE3ELS4_3ELS4_3ELNS0_20block_scan_algorithmE0ELj4294967295EEENS1_25partition_config_selectorILNS1_17partition_subalgoE4EjNS0_10empty_typeEbEEZZNS1_14partition_implILS8_4ELb0ES6_15HIP_vector_typeIjLj2EENS0_17counting_iteratorIjlEEPS9_SG_NS0_5tupleIJPjSI_NS0_16reverse_iteratorISI_EEEEENSH_IJSG_SG_SG_EEES9_SI_JZNS1_25segmented_radix_sort_implINS0_14default_configELb1EPK6__halfPSP_PKlPlN2at6native12_GLOBAL__N_18offset_tEEE10hipError_tPvRmT1_PNSt15iterator_traitsIS13_E10value_typeET2_T3_PNS14_IS19_E10value_typeET4_jRbjT5_S1F_jjP12ihipStream_tbEUljE_ZNSN_ISO_Lb1ESR_SS_SU_SV_SZ_EES10_S11_S12_S13_S17_S18_S19_S1C_S1D_jS1E_jS1F_S1F_jjS1H_bEUljE0_EEES10_S11_S12_S19_S1D_S1F_T6_T7_T9_mT8_S1H_bDpT10_ENKUlT_T0_E_clISt17integral_constantIbLb0EES1V_EEDaS1Q_S1R_EUlS1Q_E_NS1_11comp_targetILNS1_3genE4ELNS1_11target_archE910ELNS1_3gpuE8ELNS1_3repE0EEENS1_30default_config_static_selectorELNS0_4arch9wavefront6targetE0EEEvS13_.num_agpr, 0
	.set _ZN7rocprim17ROCPRIM_400000_NS6detail17trampoline_kernelINS0_13select_configILj256ELj13ELNS0_17block_load_methodE3ELS4_3ELS4_3ELNS0_20block_scan_algorithmE0ELj4294967295EEENS1_25partition_config_selectorILNS1_17partition_subalgoE4EjNS0_10empty_typeEbEEZZNS1_14partition_implILS8_4ELb0ES6_15HIP_vector_typeIjLj2EENS0_17counting_iteratorIjlEEPS9_SG_NS0_5tupleIJPjSI_NS0_16reverse_iteratorISI_EEEEENSH_IJSG_SG_SG_EEES9_SI_JZNS1_25segmented_radix_sort_implINS0_14default_configELb1EPK6__halfPSP_PKlPlN2at6native12_GLOBAL__N_18offset_tEEE10hipError_tPvRmT1_PNSt15iterator_traitsIS13_E10value_typeET2_T3_PNS14_IS19_E10value_typeET4_jRbjT5_S1F_jjP12ihipStream_tbEUljE_ZNSN_ISO_Lb1ESR_SS_SU_SV_SZ_EES10_S11_S12_S13_S17_S18_S19_S1C_S1D_jS1E_jS1F_S1F_jjS1H_bEUljE0_EEES10_S11_S12_S19_S1D_S1F_T6_T7_T9_mT8_S1H_bDpT10_ENKUlT_T0_E_clISt17integral_constantIbLb0EES1V_EEDaS1Q_S1R_EUlS1Q_E_NS1_11comp_targetILNS1_3genE4ELNS1_11target_archE910ELNS1_3gpuE8ELNS1_3repE0EEENS1_30default_config_static_selectorELNS0_4arch9wavefront6targetE0EEEvS13_.numbered_sgpr, 0
	.set _ZN7rocprim17ROCPRIM_400000_NS6detail17trampoline_kernelINS0_13select_configILj256ELj13ELNS0_17block_load_methodE3ELS4_3ELS4_3ELNS0_20block_scan_algorithmE0ELj4294967295EEENS1_25partition_config_selectorILNS1_17partition_subalgoE4EjNS0_10empty_typeEbEEZZNS1_14partition_implILS8_4ELb0ES6_15HIP_vector_typeIjLj2EENS0_17counting_iteratorIjlEEPS9_SG_NS0_5tupleIJPjSI_NS0_16reverse_iteratorISI_EEEEENSH_IJSG_SG_SG_EEES9_SI_JZNS1_25segmented_radix_sort_implINS0_14default_configELb1EPK6__halfPSP_PKlPlN2at6native12_GLOBAL__N_18offset_tEEE10hipError_tPvRmT1_PNSt15iterator_traitsIS13_E10value_typeET2_T3_PNS14_IS19_E10value_typeET4_jRbjT5_S1F_jjP12ihipStream_tbEUljE_ZNSN_ISO_Lb1ESR_SS_SU_SV_SZ_EES10_S11_S12_S13_S17_S18_S19_S1C_S1D_jS1E_jS1F_S1F_jjS1H_bEUljE0_EEES10_S11_S12_S19_S1D_S1F_T6_T7_T9_mT8_S1H_bDpT10_ENKUlT_T0_E_clISt17integral_constantIbLb0EES1V_EEDaS1Q_S1R_EUlS1Q_E_NS1_11comp_targetILNS1_3genE4ELNS1_11target_archE910ELNS1_3gpuE8ELNS1_3repE0EEENS1_30default_config_static_selectorELNS0_4arch9wavefront6targetE0EEEvS13_.num_named_barrier, 0
	.set _ZN7rocprim17ROCPRIM_400000_NS6detail17trampoline_kernelINS0_13select_configILj256ELj13ELNS0_17block_load_methodE3ELS4_3ELS4_3ELNS0_20block_scan_algorithmE0ELj4294967295EEENS1_25partition_config_selectorILNS1_17partition_subalgoE4EjNS0_10empty_typeEbEEZZNS1_14partition_implILS8_4ELb0ES6_15HIP_vector_typeIjLj2EENS0_17counting_iteratorIjlEEPS9_SG_NS0_5tupleIJPjSI_NS0_16reverse_iteratorISI_EEEEENSH_IJSG_SG_SG_EEES9_SI_JZNS1_25segmented_radix_sort_implINS0_14default_configELb1EPK6__halfPSP_PKlPlN2at6native12_GLOBAL__N_18offset_tEEE10hipError_tPvRmT1_PNSt15iterator_traitsIS13_E10value_typeET2_T3_PNS14_IS19_E10value_typeET4_jRbjT5_S1F_jjP12ihipStream_tbEUljE_ZNSN_ISO_Lb1ESR_SS_SU_SV_SZ_EES10_S11_S12_S13_S17_S18_S19_S1C_S1D_jS1E_jS1F_S1F_jjS1H_bEUljE0_EEES10_S11_S12_S19_S1D_S1F_T6_T7_T9_mT8_S1H_bDpT10_ENKUlT_T0_E_clISt17integral_constantIbLb0EES1V_EEDaS1Q_S1R_EUlS1Q_E_NS1_11comp_targetILNS1_3genE4ELNS1_11target_archE910ELNS1_3gpuE8ELNS1_3repE0EEENS1_30default_config_static_selectorELNS0_4arch9wavefront6targetE0EEEvS13_.private_seg_size, 0
	.set _ZN7rocprim17ROCPRIM_400000_NS6detail17trampoline_kernelINS0_13select_configILj256ELj13ELNS0_17block_load_methodE3ELS4_3ELS4_3ELNS0_20block_scan_algorithmE0ELj4294967295EEENS1_25partition_config_selectorILNS1_17partition_subalgoE4EjNS0_10empty_typeEbEEZZNS1_14partition_implILS8_4ELb0ES6_15HIP_vector_typeIjLj2EENS0_17counting_iteratorIjlEEPS9_SG_NS0_5tupleIJPjSI_NS0_16reverse_iteratorISI_EEEEENSH_IJSG_SG_SG_EEES9_SI_JZNS1_25segmented_radix_sort_implINS0_14default_configELb1EPK6__halfPSP_PKlPlN2at6native12_GLOBAL__N_18offset_tEEE10hipError_tPvRmT1_PNSt15iterator_traitsIS13_E10value_typeET2_T3_PNS14_IS19_E10value_typeET4_jRbjT5_S1F_jjP12ihipStream_tbEUljE_ZNSN_ISO_Lb1ESR_SS_SU_SV_SZ_EES10_S11_S12_S13_S17_S18_S19_S1C_S1D_jS1E_jS1F_S1F_jjS1H_bEUljE0_EEES10_S11_S12_S19_S1D_S1F_T6_T7_T9_mT8_S1H_bDpT10_ENKUlT_T0_E_clISt17integral_constantIbLb0EES1V_EEDaS1Q_S1R_EUlS1Q_E_NS1_11comp_targetILNS1_3genE4ELNS1_11target_archE910ELNS1_3gpuE8ELNS1_3repE0EEENS1_30default_config_static_selectorELNS0_4arch9wavefront6targetE0EEEvS13_.uses_vcc, 0
	.set _ZN7rocprim17ROCPRIM_400000_NS6detail17trampoline_kernelINS0_13select_configILj256ELj13ELNS0_17block_load_methodE3ELS4_3ELS4_3ELNS0_20block_scan_algorithmE0ELj4294967295EEENS1_25partition_config_selectorILNS1_17partition_subalgoE4EjNS0_10empty_typeEbEEZZNS1_14partition_implILS8_4ELb0ES6_15HIP_vector_typeIjLj2EENS0_17counting_iteratorIjlEEPS9_SG_NS0_5tupleIJPjSI_NS0_16reverse_iteratorISI_EEEEENSH_IJSG_SG_SG_EEES9_SI_JZNS1_25segmented_radix_sort_implINS0_14default_configELb1EPK6__halfPSP_PKlPlN2at6native12_GLOBAL__N_18offset_tEEE10hipError_tPvRmT1_PNSt15iterator_traitsIS13_E10value_typeET2_T3_PNS14_IS19_E10value_typeET4_jRbjT5_S1F_jjP12ihipStream_tbEUljE_ZNSN_ISO_Lb1ESR_SS_SU_SV_SZ_EES10_S11_S12_S13_S17_S18_S19_S1C_S1D_jS1E_jS1F_S1F_jjS1H_bEUljE0_EEES10_S11_S12_S19_S1D_S1F_T6_T7_T9_mT8_S1H_bDpT10_ENKUlT_T0_E_clISt17integral_constantIbLb0EES1V_EEDaS1Q_S1R_EUlS1Q_E_NS1_11comp_targetILNS1_3genE4ELNS1_11target_archE910ELNS1_3gpuE8ELNS1_3repE0EEENS1_30default_config_static_selectorELNS0_4arch9wavefront6targetE0EEEvS13_.uses_flat_scratch, 0
	.set _ZN7rocprim17ROCPRIM_400000_NS6detail17trampoline_kernelINS0_13select_configILj256ELj13ELNS0_17block_load_methodE3ELS4_3ELS4_3ELNS0_20block_scan_algorithmE0ELj4294967295EEENS1_25partition_config_selectorILNS1_17partition_subalgoE4EjNS0_10empty_typeEbEEZZNS1_14partition_implILS8_4ELb0ES6_15HIP_vector_typeIjLj2EENS0_17counting_iteratorIjlEEPS9_SG_NS0_5tupleIJPjSI_NS0_16reverse_iteratorISI_EEEEENSH_IJSG_SG_SG_EEES9_SI_JZNS1_25segmented_radix_sort_implINS0_14default_configELb1EPK6__halfPSP_PKlPlN2at6native12_GLOBAL__N_18offset_tEEE10hipError_tPvRmT1_PNSt15iterator_traitsIS13_E10value_typeET2_T3_PNS14_IS19_E10value_typeET4_jRbjT5_S1F_jjP12ihipStream_tbEUljE_ZNSN_ISO_Lb1ESR_SS_SU_SV_SZ_EES10_S11_S12_S13_S17_S18_S19_S1C_S1D_jS1E_jS1F_S1F_jjS1H_bEUljE0_EEES10_S11_S12_S19_S1D_S1F_T6_T7_T9_mT8_S1H_bDpT10_ENKUlT_T0_E_clISt17integral_constantIbLb0EES1V_EEDaS1Q_S1R_EUlS1Q_E_NS1_11comp_targetILNS1_3genE4ELNS1_11target_archE910ELNS1_3gpuE8ELNS1_3repE0EEENS1_30default_config_static_selectorELNS0_4arch9wavefront6targetE0EEEvS13_.has_dyn_sized_stack, 0
	.set _ZN7rocprim17ROCPRIM_400000_NS6detail17trampoline_kernelINS0_13select_configILj256ELj13ELNS0_17block_load_methodE3ELS4_3ELS4_3ELNS0_20block_scan_algorithmE0ELj4294967295EEENS1_25partition_config_selectorILNS1_17partition_subalgoE4EjNS0_10empty_typeEbEEZZNS1_14partition_implILS8_4ELb0ES6_15HIP_vector_typeIjLj2EENS0_17counting_iteratorIjlEEPS9_SG_NS0_5tupleIJPjSI_NS0_16reverse_iteratorISI_EEEEENSH_IJSG_SG_SG_EEES9_SI_JZNS1_25segmented_radix_sort_implINS0_14default_configELb1EPK6__halfPSP_PKlPlN2at6native12_GLOBAL__N_18offset_tEEE10hipError_tPvRmT1_PNSt15iterator_traitsIS13_E10value_typeET2_T3_PNS14_IS19_E10value_typeET4_jRbjT5_S1F_jjP12ihipStream_tbEUljE_ZNSN_ISO_Lb1ESR_SS_SU_SV_SZ_EES10_S11_S12_S13_S17_S18_S19_S1C_S1D_jS1E_jS1F_S1F_jjS1H_bEUljE0_EEES10_S11_S12_S19_S1D_S1F_T6_T7_T9_mT8_S1H_bDpT10_ENKUlT_T0_E_clISt17integral_constantIbLb0EES1V_EEDaS1Q_S1R_EUlS1Q_E_NS1_11comp_targetILNS1_3genE4ELNS1_11target_archE910ELNS1_3gpuE8ELNS1_3repE0EEENS1_30default_config_static_selectorELNS0_4arch9wavefront6targetE0EEEvS13_.has_recursion, 0
	.set _ZN7rocprim17ROCPRIM_400000_NS6detail17trampoline_kernelINS0_13select_configILj256ELj13ELNS0_17block_load_methodE3ELS4_3ELS4_3ELNS0_20block_scan_algorithmE0ELj4294967295EEENS1_25partition_config_selectorILNS1_17partition_subalgoE4EjNS0_10empty_typeEbEEZZNS1_14partition_implILS8_4ELb0ES6_15HIP_vector_typeIjLj2EENS0_17counting_iteratorIjlEEPS9_SG_NS0_5tupleIJPjSI_NS0_16reverse_iteratorISI_EEEEENSH_IJSG_SG_SG_EEES9_SI_JZNS1_25segmented_radix_sort_implINS0_14default_configELb1EPK6__halfPSP_PKlPlN2at6native12_GLOBAL__N_18offset_tEEE10hipError_tPvRmT1_PNSt15iterator_traitsIS13_E10value_typeET2_T3_PNS14_IS19_E10value_typeET4_jRbjT5_S1F_jjP12ihipStream_tbEUljE_ZNSN_ISO_Lb1ESR_SS_SU_SV_SZ_EES10_S11_S12_S13_S17_S18_S19_S1C_S1D_jS1E_jS1F_S1F_jjS1H_bEUljE0_EEES10_S11_S12_S19_S1D_S1F_T6_T7_T9_mT8_S1H_bDpT10_ENKUlT_T0_E_clISt17integral_constantIbLb0EES1V_EEDaS1Q_S1R_EUlS1Q_E_NS1_11comp_targetILNS1_3genE4ELNS1_11target_archE910ELNS1_3gpuE8ELNS1_3repE0EEENS1_30default_config_static_selectorELNS0_4arch9wavefront6targetE0EEEvS13_.has_indirect_call, 0
	.section	.AMDGPU.csdata,"",@progbits
; Kernel info:
; codeLenInByte = 0
; TotalNumSgprs: 0
; NumVgprs: 0
; ScratchSize: 0
; MemoryBound: 0
; FloatMode: 240
; IeeeMode: 1
; LDSByteSize: 0 bytes/workgroup (compile time only)
; SGPRBlocks: 0
; VGPRBlocks: 0
; NumSGPRsForWavesPerEU: 1
; NumVGPRsForWavesPerEU: 1
; NamedBarCnt: 0
; Occupancy: 16
; WaveLimiterHint : 0
; COMPUTE_PGM_RSRC2:SCRATCH_EN: 0
; COMPUTE_PGM_RSRC2:USER_SGPR: 2
; COMPUTE_PGM_RSRC2:TRAP_HANDLER: 0
; COMPUTE_PGM_RSRC2:TGID_X_EN: 1
; COMPUTE_PGM_RSRC2:TGID_Y_EN: 0
; COMPUTE_PGM_RSRC2:TGID_Z_EN: 0
; COMPUTE_PGM_RSRC2:TIDIG_COMP_CNT: 0
	.section	.text._ZN7rocprim17ROCPRIM_400000_NS6detail17trampoline_kernelINS0_13select_configILj256ELj13ELNS0_17block_load_methodE3ELS4_3ELS4_3ELNS0_20block_scan_algorithmE0ELj4294967295EEENS1_25partition_config_selectorILNS1_17partition_subalgoE4EjNS0_10empty_typeEbEEZZNS1_14partition_implILS8_4ELb0ES6_15HIP_vector_typeIjLj2EENS0_17counting_iteratorIjlEEPS9_SG_NS0_5tupleIJPjSI_NS0_16reverse_iteratorISI_EEEEENSH_IJSG_SG_SG_EEES9_SI_JZNS1_25segmented_radix_sort_implINS0_14default_configELb1EPK6__halfPSP_PKlPlN2at6native12_GLOBAL__N_18offset_tEEE10hipError_tPvRmT1_PNSt15iterator_traitsIS13_E10value_typeET2_T3_PNS14_IS19_E10value_typeET4_jRbjT5_S1F_jjP12ihipStream_tbEUljE_ZNSN_ISO_Lb1ESR_SS_SU_SV_SZ_EES10_S11_S12_S13_S17_S18_S19_S1C_S1D_jS1E_jS1F_S1F_jjS1H_bEUljE0_EEES10_S11_S12_S19_S1D_S1F_T6_T7_T9_mT8_S1H_bDpT10_ENKUlT_T0_E_clISt17integral_constantIbLb0EES1V_EEDaS1Q_S1R_EUlS1Q_E_NS1_11comp_targetILNS1_3genE3ELNS1_11target_archE908ELNS1_3gpuE7ELNS1_3repE0EEENS1_30default_config_static_selectorELNS0_4arch9wavefront6targetE0EEEvS13_,"axG",@progbits,_ZN7rocprim17ROCPRIM_400000_NS6detail17trampoline_kernelINS0_13select_configILj256ELj13ELNS0_17block_load_methodE3ELS4_3ELS4_3ELNS0_20block_scan_algorithmE0ELj4294967295EEENS1_25partition_config_selectorILNS1_17partition_subalgoE4EjNS0_10empty_typeEbEEZZNS1_14partition_implILS8_4ELb0ES6_15HIP_vector_typeIjLj2EENS0_17counting_iteratorIjlEEPS9_SG_NS0_5tupleIJPjSI_NS0_16reverse_iteratorISI_EEEEENSH_IJSG_SG_SG_EEES9_SI_JZNS1_25segmented_radix_sort_implINS0_14default_configELb1EPK6__halfPSP_PKlPlN2at6native12_GLOBAL__N_18offset_tEEE10hipError_tPvRmT1_PNSt15iterator_traitsIS13_E10value_typeET2_T3_PNS14_IS19_E10value_typeET4_jRbjT5_S1F_jjP12ihipStream_tbEUljE_ZNSN_ISO_Lb1ESR_SS_SU_SV_SZ_EES10_S11_S12_S13_S17_S18_S19_S1C_S1D_jS1E_jS1F_S1F_jjS1H_bEUljE0_EEES10_S11_S12_S19_S1D_S1F_T6_T7_T9_mT8_S1H_bDpT10_ENKUlT_T0_E_clISt17integral_constantIbLb0EES1V_EEDaS1Q_S1R_EUlS1Q_E_NS1_11comp_targetILNS1_3genE3ELNS1_11target_archE908ELNS1_3gpuE7ELNS1_3repE0EEENS1_30default_config_static_selectorELNS0_4arch9wavefront6targetE0EEEvS13_,comdat
	.globl	_ZN7rocprim17ROCPRIM_400000_NS6detail17trampoline_kernelINS0_13select_configILj256ELj13ELNS0_17block_load_methodE3ELS4_3ELS4_3ELNS0_20block_scan_algorithmE0ELj4294967295EEENS1_25partition_config_selectorILNS1_17partition_subalgoE4EjNS0_10empty_typeEbEEZZNS1_14partition_implILS8_4ELb0ES6_15HIP_vector_typeIjLj2EENS0_17counting_iteratorIjlEEPS9_SG_NS0_5tupleIJPjSI_NS0_16reverse_iteratorISI_EEEEENSH_IJSG_SG_SG_EEES9_SI_JZNS1_25segmented_radix_sort_implINS0_14default_configELb1EPK6__halfPSP_PKlPlN2at6native12_GLOBAL__N_18offset_tEEE10hipError_tPvRmT1_PNSt15iterator_traitsIS13_E10value_typeET2_T3_PNS14_IS19_E10value_typeET4_jRbjT5_S1F_jjP12ihipStream_tbEUljE_ZNSN_ISO_Lb1ESR_SS_SU_SV_SZ_EES10_S11_S12_S13_S17_S18_S19_S1C_S1D_jS1E_jS1F_S1F_jjS1H_bEUljE0_EEES10_S11_S12_S19_S1D_S1F_T6_T7_T9_mT8_S1H_bDpT10_ENKUlT_T0_E_clISt17integral_constantIbLb0EES1V_EEDaS1Q_S1R_EUlS1Q_E_NS1_11comp_targetILNS1_3genE3ELNS1_11target_archE908ELNS1_3gpuE7ELNS1_3repE0EEENS1_30default_config_static_selectorELNS0_4arch9wavefront6targetE0EEEvS13_ ; -- Begin function _ZN7rocprim17ROCPRIM_400000_NS6detail17trampoline_kernelINS0_13select_configILj256ELj13ELNS0_17block_load_methodE3ELS4_3ELS4_3ELNS0_20block_scan_algorithmE0ELj4294967295EEENS1_25partition_config_selectorILNS1_17partition_subalgoE4EjNS0_10empty_typeEbEEZZNS1_14partition_implILS8_4ELb0ES6_15HIP_vector_typeIjLj2EENS0_17counting_iteratorIjlEEPS9_SG_NS0_5tupleIJPjSI_NS0_16reverse_iteratorISI_EEEEENSH_IJSG_SG_SG_EEES9_SI_JZNS1_25segmented_radix_sort_implINS0_14default_configELb1EPK6__halfPSP_PKlPlN2at6native12_GLOBAL__N_18offset_tEEE10hipError_tPvRmT1_PNSt15iterator_traitsIS13_E10value_typeET2_T3_PNS14_IS19_E10value_typeET4_jRbjT5_S1F_jjP12ihipStream_tbEUljE_ZNSN_ISO_Lb1ESR_SS_SU_SV_SZ_EES10_S11_S12_S13_S17_S18_S19_S1C_S1D_jS1E_jS1F_S1F_jjS1H_bEUljE0_EEES10_S11_S12_S19_S1D_S1F_T6_T7_T9_mT8_S1H_bDpT10_ENKUlT_T0_E_clISt17integral_constantIbLb0EES1V_EEDaS1Q_S1R_EUlS1Q_E_NS1_11comp_targetILNS1_3genE3ELNS1_11target_archE908ELNS1_3gpuE7ELNS1_3repE0EEENS1_30default_config_static_selectorELNS0_4arch9wavefront6targetE0EEEvS13_
	.p2align	8
	.type	_ZN7rocprim17ROCPRIM_400000_NS6detail17trampoline_kernelINS0_13select_configILj256ELj13ELNS0_17block_load_methodE3ELS4_3ELS4_3ELNS0_20block_scan_algorithmE0ELj4294967295EEENS1_25partition_config_selectorILNS1_17partition_subalgoE4EjNS0_10empty_typeEbEEZZNS1_14partition_implILS8_4ELb0ES6_15HIP_vector_typeIjLj2EENS0_17counting_iteratorIjlEEPS9_SG_NS0_5tupleIJPjSI_NS0_16reverse_iteratorISI_EEEEENSH_IJSG_SG_SG_EEES9_SI_JZNS1_25segmented_radix_sort_implINS0_14default_configELb1EPK6__halfPSP_PKlPlN2at6native12_GLOBAL__N_18offset_tEEE10hipError_tPvRmT1_PNSt15iterator_traitsIS13_E10value_typeET2_T3_PNS14_IS19_E10value_typeET4_jRbjT5_S1F_jjP12ihipStream_tbEUljE_ZNSN_ISO_Lb1ESR_SS_SU_SV_SZ_EES10_S11_S12_S13_S17_S18_S19_S1C_S1D_jS1E_jS1F_S1F_jjS1H_bEUljE0_EEES10_S11_S12_S19_S1D_S1F_T6_T7_T9_mT8_S1H_bDpT10_ENKUlT_T0_E_clISt17integral_constantIbLb0EES1V_EEDaS1Q_S1R_EUlS1Q_E_NS1_11comp_targetILNS1_3genE3ELNS1_11target_archE908ELNS1_3gpuE7ELNS1_3repE0EEENS1_30default_config_static_selectorELNS0_4arch9wavefront6targetE0EEEvS13_,@function
_ZN7rocprim17ROCPRIM_400000_NS6detail17trampoline_kernelINS0_13select_configILj256ELj13ELNS0_17block_load_methodE3ELS4_3ELS4_3ELNS0_20block_scan_algorithmE0ELj4294967295EEENS1_25partition_config_selectorILNS1_17partition_subalgoE4EjNS0_10empty_typeEbEEZZNS1_14partition_implILS8_4ELb0ES6_15HIP_vector_typeIjLj2EENS0_17counting_iteratorIjlEEPS9_SG_NS0_5tupleIJPjSI_NS0_16reverse_iteratorISI_EEEEENSH_IJSG_SG_SG_EEES9_SI_JZNS1_25segmented_radix_sort_implINS0_14default_configELb1EPK6__halfPSP_PKlPlN2at6native12_GLOBAL__N_18offset_tEEE10hipError_tPvRmT1_PNSt15iterator_traitsIS13_E10value_typeET2_T3_PNS14_IS19_E10value_typeET4_jRbjT5_S1F_jjP12ihipStream_tbEUljE_ZNSN_ISO_Lb1ESR_SS_SU_SV_SZ_EES10_S11_S12_S13_S17_S18_S19_S1C_S1D_jS1E_jS1F_S1F_jjS1H_bEUljE0_EEES10_S11_S12_S19_S1D_S1F_T6_T7_T9_mT8_S1H_bDpT10_ENKUlT_T0_E_clISt17integral_constantIbLb0EES1V_EEDaS1Q_S1R_EUlS1Q_E_NS1_11comp_targetILNS1_3genE3ELNS1_11target_archE908ELNS1_3gpuE7ELNS1_3repE0EEENS1_30default_config_static_selectorELNS0_4arch9wavefront6targetE0EEEvS13_: ; @_ZN7rocprim17ROCPRIM_400000_NS6detail17trampoline_kernelINS0_13select_configILj256ELj13ELNS0_17block_load_methodE3ELS4_3ELS4_3ELNS0_20block_scan_algorithmE0ELj4294967295EEENS1_25partition_config_selectorILNS1_17partition_subalgoE4EjNS0_10empty_typeEbEEZZNS1_14partition_implILS8_4ELb0ES6_15HIP_vector_typeIjLj2EENS0_17counting_iteratorIjlEEPS9_SG_NS0_5tupleIJPjSI_NS0_16reverse_iteratorISI_EEEEENSH_IJSG_SG_SG_EEES9_SI_JZNS1_25segmented_radix_sort_implINS0_14default_configELb1EPK6__halfPSP_PKlPlN2at6native12_GLOBAL__N_18offset_tEEE10hipError_tPvRmT1_PNSt15iterator_traitsIS13_E10value_typeET2_T3_PNS14_IS19_E10value_typeET4_jRbjT5_S1F_jjP12ihipStream_tbEUljE_ZNSN_ISO_Lb1ESR_SS_SU_SV_SZ_EES10_S11_S12_S13_S17_S18_S19_S1C_S1D_jS1E_jS1F_S1F_jjS1H_bEUljE0_EEES10_S11_S12_S19_S1D_S1F_T6_T7_T9_mT8_S1H_bDpT10_ENKUlT_T0_E_clISt17integral_constantIbLb0EES1V_EEDaS1Q_S1R_EUlS1Q_E_NS1_11comp_targetILNS1_3genE3ELNS1_11target_archE908ELNS1_3gpuE7ELNS1_3repE0EEENS1_30default_config_static_selectorELNS0_4arch9wavefront6targetE0EEEvS13_
; %bb.0:
	.section	.rodata,"a",@progbits
	.p2align	6, 0x0
	.amdhsa_kernel _ZN7rocprim17ROCPRIM_400000_NS6detail17trampoline_kernelINS0_13select_configILj256ELj13ELNS0_17block_load_methodE3ELS4_3ELS4_3ELNS0_20block_scan_algorithmE0ELj4294967295EEENS1_25partition_config_selectorILNS1_17partition_subalgoE4EjNS0_10empty_typeEbEEZZNS1_14partition_implILS8_4ELb0ES6_15HIP_vector_typeIjLj2EENS0_17counting_iteratorIjlEEPS9_SG_NS0_5tupleIJPjSI_NS0_16reverse_iteratorISI_EEEEENSH_IJSG_SG_SG_EEES9_SI_JZNS1_25segmented_radix_sort_implINS0_14default_configELb1EPK6__halfPSP_PKlPlN2at6native12_GLOBAL__N_18offset_tEEE10hipError_tPvRmT1_PNSt15iterator_traitsIS13_E10value_typeET2_T3_PNS14_IS19_E10value_typeET4_jRbjT5_S1F_jjP12ihipStream_tbEUljE_ZNSN_ISO_Lb1ESR_SS_SU_SV_SZ_EES10_S11_S12_S13_S17_S18_S19_S1C_S1D_jS1E_jS1F_S1F_jjS1H_bEUljE0_EEES10_S11_S12_S19_S1D_S1F_T6_T7_T9_mT8_S1H_bDpT10_ENKUlT_T0_E_clISt17integral_constantIbLb0EES1V_EEDaS1Q_S1R_EUlS1Q_E_NS1_11comp_targetILNS1_3genE3ELNS1_11target_archE908ELNS1_3gpuE7ELNS1_3repE0EEENS1_30default_config_static_selectorELNS0_4arch9wavefront6targetE0EEEvS13_
		.amdhsa_group_segment_fixed_size 0
		.amdhsa_private_segment_fixed_size 0
		.amdhsa_kernarg_size 176
		.amdhsa_user_sgpr_count 2
		.amdhsa_user_sgpr_dispatch_ptr 0
		.amdhsa_user_sgpr_queue_ptr 0
		.amdhsa_user_sgpr_kernarg_segment_ptr 1
		.amdhsa_user_sgpr_dispatch_id 0
		.amdhsa_user_sgpr_kernarg_preload_length 0
		.amdhsa_user_sgpr_kernarg_preload_offset 0
		.amdhsa_user_sgpr_private_segment_size 0
		.amdhsa_wavefront_size32 1
		.amdhsa_uses_dynamic_stack 0
		.amdhsa_enable_private_segment 0
		.amdhsa_system_sgpr_workgroup_id_x 1
		.amdhsa_system_sgpr_workgroup_id_y 0
		.amdhsa_system_sgpr_workgroup_id_z 0
		.amdhsa_system_sgpr_workgroup_info 0
		.amdhsa_system_vgpr_workitem_id 0
		.amdhsa_next_free_vgpr 1
		.amdhsa_next_free_sgpr 1
		.amdhsa_named_barrier_count 0
		.amdhsa_reserve_vcc 0
		.amdhsa_float_round_mode_32 0
		.amdhsa_float_round_mode_16_64 0
		.amdhsa_float_denorm_mode_32 3
		.amdhsa_float_denorm_mode_16_64 3
		.amdhsa_fp16_overflow 0
		.amdhsa_memory_ordered 1
		.amdhsa_forward_progress 1
		.amdhsa_inst_pref_size 0
		.amdhsa_round_robin_scheduling 0
		.amdhsa_exception_fp_ieee_invalid_op 0
		.amdhsa_exception_fp_denorm_src 0
		.amdhsa_exception_fp_ieee_div_zero 0
		.amdhsa_exception_fp_ieee_overflow 0
		.amdhsa_exception_fp_ieee_underflow 0
		.amdhsa_exception_fp_ieee_inexact 0
		.amdhsa_exception_int_div_zero 0
	.end_amdhsa_kernel
	.section	.text._ZN7rocprim17ROCPRIM_400000_NS6detail17trampoline_kernelINS0_13select_configILj256ELj13ELNS0_17block_load_methodE3ELS4_3ELS4_3ELNS0_20block_scan_algorithmE0ELj4294967295EEENS1_25partition_config_selectorILNS1_17partition_subalgoE4EjNS0_10empty_typeEbEEZZNS1_14partition_implILS8_4ELb0ES6_15HIP_vector_typeIjLj2EENS0_17counting_iteratorIjlEEPS9_SG_NS0_5tupleIJPjSI_NS0_16reverse_iteratorISI_EEEEENSH_IJSG_SG_SG_EEES9_SI_JZNS1_25segmented_radix_sort_implINS0_14default_configELb1EPK6__halfPSP_PKlPlN2at6native12_GLOBAL__N_18offset_tEEE10hipError_tPvRmT1_PNSt15iterator_traitsIS13_E10value_typeET2_T3_PNS14_IS19_E10value_typeET4_jRbjT5_S1F_jjP12ihipStream_tbEUljE_ZNSN_ISO_Lb1ESR_SS_SU_SV_SZ_EES10_S11_S12_S13_S17_S18_S19_S1C_S1D_jS1E_jS1F_S1F_jjS1H_bEUljE0_EEES10_S11_S12_S19_S1D_S1F_T6_T7_T9_mT8_S1H_bDpT10_ENKUlT_T0_E_clISt17integral_constantIbLb0EES1V_EEDaS1Q_S1R_EUlS1Q_E_NS1_11comp_targetILNS1_3genE3ELNS1_11target_archE908ELNS1_3gpuE7ELNS1_3repE0EEENS1_30default_config_static_selectorELNS0_4arch9wavefront6targetE0EEEvS13_,"axG",@progbits,_ZN7rocprim17ROCPRIM_400000_NS6detail17trampoline_kernelINS0_13select_configILj256ELj13ELNS0_17block_load_methodE3ELS4_3ELS4_3ELNS0_20block_scan_algorithmE0ELj4294967295EEENS1_25partition_config_selectorILNS1_17partition_subalgoE4EjNS0_10empty_typeEbEEZZNS1_14partition_implILS8_4ELb0ES6_15HIP_vector_typeIjLj2EENS0_17counting_iteratorIjlEEPS9_SG_NS0_5tupleIJPjSI_NS0_16reverse_iteratorISI_EEEEENSH_IJSG_SG_SG_EEES9_SI_JZNS1_25segmented_radix_sort_implINS0_14default_configELb1EPK6__halfPSP_PKlPlN2at6native12_GLOBAL__N_18offset_tEEE10hipError_tPvRmT1_PNSt15iterator_traitsIS13_E10value_typeET2_T3_PNS14_IS19_E10value_typeET4_jRbjT5_S1F_jjP12ihipStream_tbEUljE_ZNSN_ISO_Lb1ESR_SS_SU_SV_SZ_EES10_S11_S12_S13_S17_S18_S19_S1C_S1D_jS1E_jS1F_S1F_jjS1H_bEUljE0_EEES10_S11_S12_S19_S1D_S1F_T6_T7_T9_mT8_S1H_bDpT10_ENKUlT_T0_E_clISt17integral_constantIbLb0EES1V_EEDaS1Q_S1R_EUlS1Q_E_NS1_11comp_targetILNS1_3genE3ELNS1_11target_archE908ELNS1_3gpuE7ELNS1_3repE0EEENS1_30default_config_static_selectorELNS0_4arch9wavefront6targetE0EEEvS13_,comdat
.Lfunc_end1668:
	.size	_ZN7rocprim17ROCPRIM_400000_NS6detail17trampoline_kernelINS0_13select_configILj256ELj13ELNS0_17block_load_methodE3ELS4_3ELS4_3ELNS0_20block_scan_algorithmE0ELj4294967295EEENS1_25partition_config_selectorILNS1_17partition_subalgoE4EjNS0_10empty_typeEbEEZZNS1_14partition_implILS8_4ELb0ES6_15HIP_vector_typeIjLj2EENS0_17counting_iteratorIjlEEPS9_SG_NS0_5tupleIJPjSI_NS0_16reverse_iteratorISI_EEEEENSH_IJSG_SG_SG_EEES9_SI_JZNS1_25segmented_radix_sort_implINS0_14default_configELb1EPK6__halfPSP_PKlPlN2at6native12_GLOBAL__N_18offset_tEEE10hipError_tPvRmT1_PNSt15iterator_traitsIS13_E10value_typeET2_T3_PNS14_IS19_E10value_typeET4_jRbjT5_S1F_jjP12ihipStream_tbEUljE_ZNSN_ISO_Lb1ESR_SS_SU_SV_SZ_EES10_S11_S12_S13_S17_S18_S19_S1C_S1D_jS1E_jS1F_S1F_jjS1H_bEUljE0_EEES10_S11_S12_S19_S1D_S1F_T6_T7_T9_mT8_S1H_bDpT10_ENKUlT_T0_E_clISt17integral_constantIbLb0EES1V_EEDaS1Q_S1R_EUlS1Q_E_NS1_11comp_targetILNS1_3genE3ELNS1_11target_archE908ELNS1_3gpuE7ELNS1_3repE0EEENS1_30default_config_static_selectorELNS0_4arch9wavefront6targetE0EEEvS13_, .Lfunc_end1668-_ZN7rocprim17ROCPRIM_400000_NS6detail17trampoline_kernelINS0_13select_configILj256ELj13ELNS0_17block_load_methodE3ELS4_3ELS4_3ELNS0_20block_scan_algorithmE0ELj4294967295EEENS1_25partition_config_selectorILNS1_17partition_subalgoE4EjNS0_10empty_typeEbEEZZNS1_14partition_implILS8_4ELb0ES6_15HIP_vector_typeIjLj2EENS0_17counting_iteratorIjlEEPS9_SG_NS0_5tupleIJPjSI_NS0_16reverse_iteratorISI_EEEEENSH_IJSG_SG_SG_EEES9_SI_JZNS1_25segmented_radix_sort_implINS0_14default_configELb1EPK6__halfPSP_PKlPlN2at6native12_GLOBAL__N_18offset_tEEE10hipError_tPvRmT1_PNSt15iterator_traitsIS13_E10value_typeET2_T3_PNS14_IS19_E10value_typeET4_jRbjT5_S1F_jjP12ihipStream_tbEUljE_ZNSN_ISO_Lb1ESR_SS_SU_SV_SZ_EES10_S11_S12_S13_S17_S18_S19_S1C_S1D_jS1E_jS1F_S1F_jjS1H_bEUljE0_EEES10_S11_S12_S19_S1D_S1F_T6_T7_T9_mT8_S1H_bDpT10_ENKUlT_T0_E_clISt17integral_constantIbLb0EES1V_EEDaS1Q_S1R_EUlS1Q_E_NS1_11comp_targetILNS1_3genE3ELNS1_11target_archE908ELNS1_3gpuE7ELNS1_3repE0EEENS1_30default_config_static_selectorELNS0_4arch9wavefront6targetE0EEEvS13_
                                        ; -- End function
	.set _ZN7rocprim17ROCPRIM_400000_NS6detail17trampoline_kernelINS0_13select_configILj256ELj13ELNS0_17block_load_methodE3ELS4_3ELS4_3ELNS0_20block_scan_algorithmE0ELj4294967295EEENS1_25partition_config_selectorILNS1_17partition_subalgoE4EjNS0_10empty_typeEbEEZZNS1_14partition_implILS8_4ELb0ES6_15HIP_vector_typeIjLj2EENS0_17counting_iteratorIjlEEPS9_SG_NS0_5tupleIJPjSI_NS0_16reverse_iteratorISI_EEEEENSH_IJSG_SG_SG_EEES9_SI_JZNS1_25segmented_radix_sort_implINS0_14default_configELb1EPK6__halfPSP_PKlPlN2at6native12_GLOBAL__N_18offset_tEEE10hipError_tPvRmT1_PNSt15iterator_traitsIS13_E10value_typeET2_T3_PNS14_IS19_E10value_typeET4_jRbjT5_S1F_jjP12ihipStream_tbEUljE_ZNSN_ISO_Lb1ESR_SS_SU_SV_SZ_EES10_S11_S12_S13_S17_S18_S19_S1C_S1D_jS1E_jS1F_S1F_jjS1H_bEUljE0_EEES10_S11_S12_S19_S1D_S1F_T6_T7_T9_mT8_S1H_bDpT10_ENKUlT_T0_E_clISt17integral_constantIbLb0EES1V_EEDaS1Q_S1R_EUlS1Q_E_NS1_11comp_targetILNS1_3genE3ELNS1_11target_archE908ELNS1_3gpuE7ELNS1_3repE0EEENS1_30default_config_static_selectorELNS0_4arch9wavefront6targetE0EEEvS13_.num_vgpr, 0
	.set _ZN7rocprim17ROCPRIM_400000_NS6detail17trampoline_kernelINS0_13select_configILj256ELj13ELNS0_17block_load_methodE3ELS4_3ELS4_3ELNS0_20block_scan_algorithmE0ELj4294967295EEENS1_25partition_config_selectorILNS1_17partition_subalgoE4EjNS0_10empty_typeEbEEZZNS1_14partition_implILS8_4ELb0ES6_15HIP_vector_typeIjLj2EENS0_17counting_iteratorIjlEEPS9_SG_NS0_5tupleIJPjSI_NS0_16reverse_iteratorISI_EEEEENSH_IJSG_SG_SG_EEES9_SI_JZNS1_25segmented_radix_sort_implINS0_14default_configELb1EPK6__halfPSP_PKlPlN2at6native12_GLOBAL__N_18offset_tEEE10hipError_tPvRmT1_PNSt15iterator_traitsIS13_E10value_typeET2_T3_PNS14_IS19_E10value_typeET4_jRbjT5_S1F_jjP12ihipStream_tbEUljE_ZNSN_ISO_Lb1ESR_SS_SU_SV_SZ_EES10_S11_S12_S13_S17_S18_S19_S1C_S1D_jS1E_jS1F_S1F_jjS1H_bEUljE0_EEES10_S11_S12_S19_S1D_S1F_T6_T7_T9_mT8_S1H_bDpT10_ENKUlT_T0_E_clISt17integral_constantIbLb0EES1V_EEDaS1Q_S1R_EUlS1Q_E_NS1_11comp_targetILNS1_3genE3ELNS1_11target_archE908ELNS1_3gpuE7ELNS1_3repE0EEENS1_30default_config_static_selectorELNS0_4arch9wavefront6targetE0EEEvS13_.num_agpr, 0
	.set _ZN7rocprim17ROCPRIM_400000_NS6detail17trampoline_kernelINS0_13select_configILj256ELj13ELNS0_17block_load_methodE3ELS4_3ELS4_3ELNS0_20block_scan_algorithmE0ELj4294967295EEENS1_25partition_config_selectorILNS1_17partition_subalgoE4EjNS0_10empty_typeEbEEZZNS1_14partition_implILS8_4ELb0ES6_15HIP_vector_typeIjLj2EENS0_17counting_iteratorIjlEEPS9_SG_NS0_5tupleIJPjSI_NS0_16reverse_iteratorISI_EEEEENSH_IJSG_SG_SG_EEES9_SI_JZNS1_25segmented_radix_sort_implINS0_14default_configELb1EPK6__halfPSP_PKlPlN2at6native12_GLOBAL__N_18offset_tEEE10hipError_tPvRmT1_PNSt15iterator_traitsIS13_E10value_typeET2_T3_PNS14_IS19_E10value_typeET4_jRbjT5_S1F_jjP12ihipStream_tbEUljE_ZNSN_ISO_Lb1ESR_SS_SU_SV_SZ_EES10_S11_S12_S13_S17_S18_S19_S1C_S1D_jS1E_jS1F_S1F_jjS1H_bEUljE0_EEES10_S11_S12_S19_S1D_S1F_T6_T7_T9_mT8_S1H_bDpT10_ENKUlT_T0_E_clISt17integral_constantIbLb0EES1V_EEDaS1Q_S1R_EUlS1Q_E_NS1_11comp_targetILNS1_3genE3ELNS1_11target_archE908ELNS1_3gpuE7ELNS1_3repE0EEENS1_30default_config_static_selectorELNS0_4arch9wavefront6targetE0EEEvS13_.numbered_sgpr, 0
	.set _ZN7rocprim17ROCPRIM_400000_NS6detail17trampoline_kernelINS0_13select_configILj256ELj13ELNS0_17block_load_methodE3ELS4_3ELS4_3ELNS0_20block_scan_algorithmE0ELj4294967295EEENS1_25partition_config_selectorILNS1_17partition_subalgoE4EjNS0_10empty_typeEbEEZZNS1_14partition_implILS8_4ELb0ES6_15HIP_vector_typeIjLj2EENS0_17counting_iteratorIjlEEPS9_SG_NS0_5tupleIJPjSI_NS0_16reverse_iteratorISI_EEEEENSH_IJSG_SG_SG_EEES9_SI_JZNS1_25segmented_radix_sort_implINS0_14default_configELb1EPK6__halfPSP_PKlPlN2at6native12_GLOBAL__N_18offset_tEEE10hipError_tPvRmT1_PNSt15iterator_traitsIS13_E10value_typeET2_T3_PNS14_IS19_E10value_typeET4_jRbjT5_S1F_jjP12ihipStream_tbEUljE_ZNSN_ISO_Lb1ESR_SS_SU_SV_SZ_EES10_S11_S12_S13_S17_S18_S19_S1C_S1D_jS1E_jS1F_S1F_jjS1H_bEUljE0_EEES10_S11_S12_S19_S1D_S1F_T6_T7_T9_mT8_S1H_bDpT10_ENKUlT_T0_E_clISt17integral_constantIbLb0EES1V_EEDaS1Q_S1R_EUlS1Q_E_NS1_11comp_targetILNS1_3genE3ELNS1_11target_archE908ELNS1_3gpuE7ELNS1_3repE0EEENS1_30default_config_static_selectorELNS0_4arch9wavefront6targetE0EEEvS13_.num_named_barrier, 0
	.set _ZN7rocprim17ROCPRIM_400000_NS6detail17trampoline_kernelINS0_13select_configILj256ELj13ELNS0_17block_load_methodE3ELS4_3ELS4_3ELNS0_20block_scan_algorithmE0ELj4294967295EEENS1_25partition_config_selectorILNS1_17partition_subalgoE4EjNS0_10empty_typeEbEEZZNS1_14partition_implILS8_4ELb0ES6_15HIP_vector_typeIjLj2EENS0_17counting_iteratorIjlEEPS9_SG_NS0_5tupleIJPjSI_NS0_16reverse_iteratorISI_EEEEENSH_IJSG_SG_SG_EEES9_SI_JZNS1_25segmented_radix_sort_implINS0_14default_configELb1EPK6__halfPSP_PKlPlN2at6native12_GLOBAL__N_18offset_tEEE10hipError_tPvRmT1_PNSt15iterator_traitsIS13_E10value_typeET2_T3_PNS14_IS19_E10value_typeET4_jRbjT5_S1F_jjP12ihipStream_tbEUljE_ZNSN_ISO_Lb1ESR_SS_SU_SV_SZ_EES10_S11_S12_S13_S17_S18_S19_S1C_S1D_jS1E_jS1F_S1F_jjS1H_bEUljE0_EEES10_S11_S12_S19_S1D_S1F_T6_T7_T9_mT8_S1H_bDpT10_ENKUlT_T0_E_clISt17integral_constantIbLb0EES1V_EEDaS1Q_S1R_EUlS1Q_E_NS1_11comp_targetILNS1_3genE3ELNS1_11target_archE908ELNS1_3gpuE7ELNS1_3repE0EEENS1_30default_config_static_selectorELNS0_4arch9wavefront6targetE0EEEvS13_.private_seg_size, 0
	.set _ZN7rocprim17ROCPRIM_400000_NS6detail17trampoline_kernelINS0_13select_configILj256ELj13ELNS0_17block_load_methodE3ELS4_3ELS4_3ELNS0_20block_scan_algorithmE0ELj4294967295EEENS1_25partition_config_selectorILNS1_17partition_subalgoE4EjNS0_10empty_typeEbEEZZNS1_14partition_implILS8_4ELb0ES6_15HIP_vector_typeIjLj2EENS0_17counting_iteratorIjlEEPS9_SG_NS0_5tupleIJPjSI_NS0_16reverse_iteratorISI_EEEEENSH_IJSG_SG_SG_EEES9_SI_JZNS1_25segmented_radix_sort_implINS0_14default_configELb1EPK6__halfPSP_PKlPlN2at6native12_GLOBAL__N_18offset_tEEE10hipError_tPvRmT1_PNSt15iterator_traitsIS13_E10value_typeET2_T3_PNS14_IS19_E10value_typeET4_jRbjT5_S1F_jjP12ihipStream_tbEUljE_ZNSN_ISO_Lb1ESR_SS_SU_SV_SZ_EES10_S11_S12_S13_S17_S18_S19_S1C_S1D_jS1E_jS1F_S1F_jjS1H_bEUljE0_EEES10_S11_S12_S19_S1D_S1F_T6_T7_T9_mT8_S1H_bDpT10_ENKUlT_T0_E_clISt17integral_constantIbLb0EES1V_EEDaS1Q_S1R_EUlS1Q_E_NS1_11comp_targetILNS1_3genE3ELNS1_11target_archE908ELNS1_3gpuE7ELNS1_3repE0EEENS1_30default_config_static_selectorELNS0_4arch9wavefront6targetE0EEEvS13_.uses_vcc, 0
	.set _ZN7rocprim17ROCPRIM_400000_NS6detail17trampoline_kernelINS0_13select_configILj256ELj13ELNS0_17block_load_methodE3ELS4_3ELS4_3ELNS0_20block_scan_algorithmE0ELj4294967295EEENS1_25partition_config_selectorILNS1_17partition_subalgoE4EjNS0_10empty_typeEbEEZZNS1_14partition_implILS8_4ELb0ES6_15HIP_vector_typeIjLj2EENS0_17counting_iteratorIjlEEPS9_SG_NS0_5tupleIJPjSI_NS0_16reverse_iteratorISI_EEEEENSH_IJSG_SG_SG_EEES9_SI_JZNS1_25segmented_radix_sort_implINS0_14default_configELb1EPK6__halfPSP_PKlPlN2at6native12_GLOBAL__N_18offset_tEEE10hipError_tPvRmT1_PNSt15iterator_traitsIS13_E10value_typeET2_T3_PNS14_IS19_E10value_typeET4_jRbjT5_S1F_jjP12ihipStream_tbEUljE_ZNSN_ISO_Lb1ESR_SS_SU_SV_SZ_EES10_S11_S12_S13_S17_S18_S19_S1C_S1D_jS1E_jS1F_S1F_jjS1H_bEUljE0_EEES10_S11_S12_S19_S1D_S1F_T6_T7_T9_mT8_S1H_bDpT10_ENKUlT_T0_E_clISt17integral_constantIbLb0EES1V_EEDaS1Q_S1R_EUlS1Q_E_NS1_11comp_targetILNS1_3genE3ELNS1_11target_archE908ELNS1_3gpuE7ELNS1_3repE0EEENS1_30default_config_static_selectorELNS0_4arch9wavefront6targetE0EEEvS13_.uses_flat_scratch, 0
	.set _ZN7rocprim17ROCPRIM_400000_NS6detail17trampoline_kernelINS0_13select_configILj256ELj13ELNS0_17block_load_methodE3ELS4_3ELS4_3ELNS0_20block_scan_algorithmE0ELj4294967295EEENS1_25partition_config_selectorILNS1_17partition_subalgoE4EjNS0_10empty_typeEbEEZZNS1_14partition_implILS8_4ELb0ES6_15HIP_vector_typeIjLj2EENS0_17counting_iteratorIjlEEPS9_SG_NS0_5tupleIJPjSI_NS0_16reverse_iteratorISI_EEEEENSH_IJSG_SG_SG_EEES9_SI_JZNS1_25segmented_radix_sort_implINS0_14default_configELb1EPK6__halfPSP_PKlPlN2at6native12_GLOBAL__N_18offset_tEEE10hipError_tPvRmT1_PNSt15iterator_traitsIS13_E10value_typeET2_T3_PNS14_IS19_E10value_typeET4_jRbjT5_S1F_jjP12ihipStream_tbEUljE_ZNSN_ISO_Lb1ESR_SS_SU_SV_SZ_EES10_S11_S12_S13_S17_S18_S19_S1C_S1D_jS1E_jS1F_S1F_jjS1H_bEUljE0_EEES10_S11_S12_S19_S1D_S1F_T6_T7_T9_mT8_S1H_bDpT10_ENKUlT_T0_E_clISt17integral_constantIbLb0EES1V_EEDaS1Q_S1R_EUlS1Q_E_NS1_11comp_targetILNS1_3genE3ELNS1_11target_archE908ELNS1_3gpuE7ELNS1_3repE0EEENS1_30default_config_static_selectorELNS0_4arch9wavefront6targetE0EEEvS13_.has_dyn_sized_stack, 0
	.set _ZN7rocprim17ROCPRIM_400000_NS6detail17trampoline_kernelINS0_13select_configILj256ELj13ELNS0_17block_load_methodE3ELS4_3ELS4_3ELNS0_20block_scan_algorithmE0ELj4294967295EEENS1_25partition_config_selectorILNS1_17partition_subalgoE4EjNS0_10empty_typeEbEEZZNS1_14partition_implILS8_4ELb0ES6_15HIP_vector_typeIjLj2EENS0_17counting_iteratorIjlEEPS9_SG_NS0_5tupleIJPjSI_NS0_16reverse_iteratorISI_EEEEENSH_IJSG_SG_SG_EEES9_SI_JZNS1_25segmented_radix_sort_implINS0_14default_configELb1EPK6__halfPSP_PKlPlN2at6native12_GLOBAL__N_18offset_tEEE10hipError_tPvRmT1_PNSt15iterator_traitsIS13_E10value_typeET2_T3_PNS14_IS19_E10value_typeET4_jRbjT5_S1F_jjP12ihipStream_tbEUljE_ZNSN_ISO_Lb1ESR_SS_SU_SV_SZ_EES10_S11_S12_S13_S17_S18_S19_S1C_S1D_jS1E_jS1F_S1F_jjS1H_bEUljE0_EEES10_S11_S12_S19_S1D_S1F_T6_T7_T9_mT8_S1H_bDpT10_ENKUlT_T0_E_clISt17integral_constantIbLb0EES1V_EEDaS1Q_S1R_EUlS1Q_E_NS1_11comp_targetILNS1_3genE3ELNS1_11target_archE908ELNS1_3gpuE7ELNS1_3repE0EEENS1_30default_config_static_selectorELNS0_4arch9wavefront6targetE0EEEvS13_.has_recursion, 0
	.set _ZN7rocprim17ROCPRIM_400000_NS6detail17trampoline_kernelINS0_13select_configILj256ELj13ELNS0_17block_load_methodE3ELS4_3ELS4_3ELNS0_20block_scan_algorithmE0ELj4294967295EEENS1_25partition_config_selectorILNS1_17partition_subalgoE4EjNS0_10empty_typeEbEEZZNS1_14partition_implILS8_4ELb0ES6_15HIP_vector_typeIjLj2EENS0_17counting_iteratorIjlEEPS9_SG_NS0_5tupleIJPjSI_NS0_16reverse_iteratorISI_EEEEENSH_IJSG_SG_SG_EEES9_SI_JZNS1_25segmented_radix_sort_implINS0_14default_configELb1EPK6__halfPSP_PKlPlN2at6native12_GLOBAL__N_18offset_tEEE10hipError_tPvRmT1_PNSt15iterator_traitsIS13_E10value_typeET2_T3_PNS14_IS19_E10value_typeET4_jRbjT5_S1F_jjP12ihipStream_tbEUljE_ZNSN_ISO_Lb1ESR_SS_SU_SV_SZ_EES10_S11_S12_S13_S17_S18_S19_S1C_S1D_jS1E_jS1F_S1F_jjS1H_bEUljE0_EEES10_S11_S12_S19_S1D_S1F_T6_T7_T9_mT8_S1H_bDpT10_ENKUlT_T0_E_clISt17integral_constantIbLb0EES1V_EEDaS1Q_S1R_EUlS1Q_E_NS1_11comp_targetILNS1_3genE3ELNS1_11target_archE908ELNS1_3gpuE7ELNS1_3repE0EEENS1_30default_config_static_selectorELNS0_4arch9wavefront6targetE0EEEvS13_.has_indirect_call, 0
	.section	.AMDGPU.csdata,"",@progbits
; Kernel info:
; codeLenInByte = 0
; TotalNumSgprs: 0
; NumVgprs: 0
; ScratchSize: 0
; MemoryBound: 0
; FloatMode: 240
; IeeeMode: 1
; LDSByteSize: 0 bytes/workgroup (compile time only)
; SGPRBlocks: 0
; VGPRBlocks: 0
; NumSGPRsForWavesPerEU: 1
; NumVGPRsForWavesPerEU: 1
; NamedBarCnt: 0
; Occupancy: 16
; WaveLimiterHint : 0
; COMPUTE_PGM_RSRC2:SCRATCH_EN: 0
; COMPUTE_PGM_RSRC2:USER_SGPR: 2
; COMPUTE_PGM_RSRC2:TRAP_HANDLER: 0
; COMPUTE_PGM_RSRC2:TGID_X_EN: 1
; COMPUTE_PGM_RSRC2:TGID_Y_EN: 0
; COMPUTE_PGM_RSRC2:TGID_Z_EN: 0
; COMPUTE_PGM_RSRC2:TIDIG_COMP_CNT: 0
	.section	.text._ZN7rocprim17ROCPRIM_400000_NS6detail17trampoline_kernelINS0_13select_configILj256ELj13ELNS0_17block_load_methodE3ELS4_3ELS4_3ELNS0_20block_scan_algorithmE0ELj4294967295EEENS1_25partition_config_selectorILNS1_17partition_subalgoE4EjNS0_10empty_typeEbEEZZNS1_14partition_implILS8_4ELb0ES6_15HIP_vector_typeIjLj2EENS0_17counting_iteratorIjlEEPS9_SG_NS0_5tupleIJPjSI_NS0_16reverse_iteratorISI_EEEEENSH_IJSG_SG_SG_EEES9_SI_JZNS1_25segmented_radix_sort_implINS0_14default_configELb1EPK6__halfPSP_PKlPlN2at6native12_GLOBAL__N_18offset_tEEE10hipError_tPvRmT1_PNSt15iterator_traitsIS13_E10value_typeET2_T3_PNS14_IS19_E10value_typeET4_jRbjT5_S1F_jjP12ihipStream_tbEUljE_ZNSN_ISO_Lb1ESR_SS_SU_SV_SZ_EES10_S11_S12_S13_S17_S18_S19_S1C_S1D_jS1E_jS1F_S1F_jjS1H_bEUljE0_EEES10_S11_S12_S19_S1D_S1F_T6_T7_T9_mT8_S1H_bDpT10_ENKUlT_T0_E_clISt17integral_constantIbLb0EES1V_EEDaS1Q_S1R_EUlS1Q_E_NS1_11comp_targetILNS1_3genE2ELNS1_11target_archE906ELNS1_3gpuE6ELNS1_3repE0EEENS1_30default_config_static_selectorELNS0_4arch9wavefront6targetE0EEEvS13_,"axG",@progbits,_ZN7rocprim17ROCPRIM_400000_NS6detail17trampoline_kernelINS0_13select_configILj256ELj13ELNS0_17block_load_methodE3ELS4_3ELS4_3ELNS0_20block_scan_algorithmE0ELj4294967295EEENS1_25partition_config_selectorILNS1_17partition_subalgoE4EjNS0_10empty_typeEbEEZZNS1_14partition_implILS8_4ELb0ES6_15HIP_vector_typeIjLj2EENS0_17counting_iteratorIjlEEPS9_SG_NS0_5tupleIJPjSI_NS0_16reverse_iteratorISI_EEEEENSH_IJSG_SG_SG_EEES9_SI_JZNS1_25segmented_radix_sort_implINS0_14default_configELb1EPK6__halfPSP_PKlPlN2at6native12_GLOBAL__N_18offset_tEEE10hipError_tPvRmT1_PNSt15iterator_traitsIS13_E10value_typeET2_T3_PNS14_IS19_E10value_typeET4_jRbjT5_S1F_jjP12ihipStream_tbEUljE_ZNSN_ISO_Lb1ESR_SS_SU_SV_SZ_EES10_S11_S12_S13_S17_S18_S19_S1C_S1D_jS1E_jS1F_S1F_jjS1H_bEUljE0_EEES10_S11_S12_S19_S1D_S1F_T6_T7_T9_mT8_S1H_bDpT10_ENKUlT_T0_E_clISt17integral_constantIbLb0EES1V_EEDaS1Q_S1R_EUlS1Q_E_NS1_11comp_targetILNS1_3genE2ELNS1_11target_archE906ELNS1_3gpuE6ELNS1_3repE0EEENS1_30default_config_static_selectorELNS0_4arch9wavefront6targetE0EEEvS13_,comdat
	.globl	_ZN7rocprim17ROCPRIM_400000_NS6detail17trampoline_kernelINS0_13select_configILj256ELj13ELNS0_17block_load_methodE3ELS4_3ELS4_3ELNS0_20block_scan_algorithmE0ELj4294967295EEENS1_25partition_config_selectorILNS1_17partition_subalgoE4EjNS0_10empty_typeEbEEZZNS1_14partition_implILS8_4ELb0ES6_15HIP_vector_typeIjLj2EENS0_17counting_iteratorIjlEEPS9_SG_NS0_5tupleIJPjSI_NS0_16reverse_iteratorISI_EEEEENSH_IJSG_SG_SG_EEES9_SI_JZNS1_25segmented_radix_sort_implINS0_14default_configELb1EPK6__halfPSP_PKlPlN2at6native12_GLOBAL__N_18offset_tEEE10hipError_tPvRmT1_PNSt15iterator_traitsIS13_E10value_typeET2_T3_PNS14_IS19_E10value_typeET4_jRbjT5_S1F_jjP12ihipStream_tbEUljE_ZNSN_ISO_Lb1ESR_SS_SU_SV_SZ_EES10_S11_S12_S13_S17_S18_S19_S1C_S1D_jS1E_jS1F_S1F_jjS1H_bEUljE0_EEES10_S11_S12_S19_S1D_S1F_T6_T7_T9_mT8_S1H_bDpT10_ENKUlT_T0_E_clISt17integral_constantIbLb0EES1V_EEDaS1Q_S1R_EUlS1Q_E_NS1_11comp_targetILNS1_3genE2ELNS1_11target_archE906ELNS1_3gpuE6ELNS1_3repE0EEENS1_30default_config_static_selectorELNS0_4arch9wavefront6targetE0EEEvS13_ ; -- Begin function _ZN7rocprim17ROCPRIM_400000_NS6detail17trampoline_kernelINS0_13select_configILj256ELj13ELNS0_17block_load_methodE3ELS4_3ELS4_3ELNS0_20block_scan_algorithmE0ELj4294967295EEENS1_25partition_config_selectorILNS1_17partition_subalgoE4EjNS0_10empty_typeEbEEZZNS1_14partition_implILS8_4ELb0ES6_15HIP_vector_typeIjLj2EENS0_17counting_iteratorIjlEEPS9_SG_NS0_5tupleIJPjSI_NS0_16reverse_iteratorISI_EEEEENSH_IJSG_SG_SG_EEES9_SI_JZNS1_25segmented_radix_sort_implINS0_14default_configELb1EPK6__halfPSP_PKlPlN2at6native12_GLOBAL__N_18offset_tEEE10hipError_tPvRmT1_PNSt15iterator_traitsIS13_E10value_typeET2_T3_PNS14_IS19_E10value_typeET4_jRbjT5_S1F_jjP12ihipStream_tbEUljE_ZNSN_ISO_Lb1ESR_SS_SU_SV_SZ_EES10_S11_S12_S13_S17_S18_S19_S1C_S1D_jS1E_jS1F_S1F_jjS1H_bEUljE0_EEES10_S11_S12_S19_S1D_S1F_T6_T7_T9_mT8_S1H_bDpT10_ENKUlT_T0_E_clISt17integral_constantIbLb0EES1V_EEDaS1Q_S1R_EUlS1Q_E_NS1_11comp_targetILNS1_3genE2ELNS1_11target_archE906ELNS1_3gpuE6ELNS1_3repE0EEENS1_30default_config_static_selectorELNS0_4arch9wavefront6targetE0EEEvS13_
	.p2align	8
	.type	_ZN7rocprim17ROCPRIM_400000_NS6detail17trampoline_kernelINS0_13select_configILj256ELj13ELNS0_17block_load_methodE3ELS4_3ELS4_3ELNS0_20block_scan_algorithmE0ELj4294967295EEENS1_25partition_config_selectorILNS1_17partition_subalgoE4EjNS0_10empty_typeEbEEZZNS1_14partition_implILS8_4ELb0ES6_15HIP_vector_typeIjLj2EENS0_17counting_iteratorIjlEEPS9_SG_NS0_5tupleIJPjSI_NS0_16reverse_iteratorISI_EEEEENSH_IJSG_SG_SG_EEES9_SI_JZNS1_25segmented_radix_sort_implINS0_14default_configELb1EPK6__halfPSP_PKlPlN2at6native12_GLOBAL__N_18offset_tEEE10hipError_tPvRmT1_PNSt15iterator_traitsIS13_E10value_typeET2_T3_PNS14_IS19_E10value_typeET4_jRbjT5_S1F_jjP12ihipStream_tbEUljE_ZNSN_ISO_Lb1ESR_SS_SU_SV_SZ_EES10_S11_S12_S13_S17_S18_S19_S1C_S1D_jS1E_jS1F_S1F_jjS1H_bEUljE0_EEES10_S11_S12_S19_S1D_S1F_T6_T7_T9_mT8_S1H_bDpT10_ENKUlT_T0_E_clISt17integral_constantIbLb0EES1V_EEDaS1Q_S1R_EUlS1Q_E_NS1_11comp_targetILNS1_3genE2ELNS1_11target_archE906ELNS1_3gpuE6ELNS1_3repE0EEENS1_30default_config_static_selectorELNS0_4arch9wavefront6targetE0EEEvS13_,@function
_ZN7rocprim17ROCPRIM_400000_NS6detail17trampoline_kernelINS0_13select_configILj256ELj13ELNS0_17block_load_methodE3ELS4_3ELS4_3ELNS0_20block_scan_algorithmE0ELj4294967295EEENS1_25partition_config_selectorILNS1_17partition_subalgoE4EjNS0_10empty_typeEbEEZZNS1_14partition_implILS8_4ELb0ES6_15HIP_vector_typeIjLj2EENS0_17counting_iteratorIjlEEPS9_SG_NS0_5tupleIJPjSI_NS0_16reverse_iteratorISI_EEEEENSH_IJSG_SG_SG_EEES9_SI_JZNS1_25segmented_radix_sort_implINS0_14default_configELb1EPK6__halfPSP_PKlPlN2at6native12_GLOBAL__N_18offset_tEEE10hipError_tPvRmT1_PNSt15iterator_traitsIS13_E10value_typeET2_T3_PNS14_IS19_E10value_typeET4_jRbjT5_S1F_jjP12ihipStream_tbEUljE_ZNSN_ISO_Lb1ESR_SS_SU_SV_SZ_EES10_S11_S12_S13_S17_S18_S19_S1C_S1D_jS1E_jS1F_S1F_jjS1H_bEUljE0_EEES10_S11_S12_S19_S1D_S1F_T6_T7_T9_mT8_S1H_bDpT10_ENKUlT_T0_E_clISt17integral_constantIbLb0EES1V_EEDaS1Q_S1R_EUlS1Q_E_NS1_11comp_targetILNS1_3genE2ELNS1_11target_archE906ELNS1_3gpuE6ELNS1_3repE0EEENS1_30default_config_static_selectorELNS0_4arch9wavefront6targetE0EEEvS13_: ; @_ZN7rocprim17ROCPRIM_400000_NS6detail17trampoline_kernelINS0_13select_configILj256ELj13ELNS0_17block_load_methodE3ELS4_3ELS4_3ELNS0_20block_scan_algorithmE0ELj4294967295EEENS1_25partition_config_selectorILNS1_17partition_subalgoE4EjNS0_10empty_typeEbEEZZNS1_14partition_implILS8_4ELb0ES6_15HIP_vector_typeIjLj2EENS0_17counting_iteratorIjlEEPS9_SG_NS0_5tupleIJPjSI_NS0_16reverse_iteratorISI_EEEEENSH_IJSG_SG_SG_EEES9_SI_JZNS1_25segmented_radix_sort_implINS0_14default_configELb1EPK6__halfPSP_PKlPlN2at6native12_GLOBAL__N_18offset_tEEE10hipError_tPvRmT1_PNSt15iterator_traitsIS13_E10value_typeET2_T3_PNS14_IS19_E10value_typeET4_jRbjT5_S1F_jjP12ihipStream_tbEUljE_ZNSN_ISO_Lb1ESR_SS_SU_SV_SZ_EES10_S11_S12_S13_S17_S18_S19_S1C_S1D_jS1E_jS1F_S1F_jjS1H_bEUljE0_EEES10_S11_S12_S19_S1D_S1F_T6_T7_T9_mT8_S1H_bDpT10_ENKUlT_T0_E_clISt17integral_constantIbLb0EES1V_EEDaS1Q_S1R_EUlS1Q_E_NS1_11comp_targetILNS1_3genE2ELNS1_11target_archE906ELNS1_3gpuE6ELNS1_3repE0EEENS1_30default_config_static_selectorELNS0_4arch9wavefront6targetE0EEEvS13_
; %bb.0:
	.section	.rodata,"a",@progbits
	.p2align	6, 0x0
	.amdhsa_kernel _ZN7rocprim17ROCPRIM_400000_NS6detail17trampoline_kernelINS0_13select_configILj256ELj13ELNS0_17block_load_methodE3ELS4_3ELS4_3ELNS0_20block_scan_algorithmE0ELj4294967295EEENS1_25partition_config_selectorILNS1_17partition_subalgoE4EjNS0_10empty_typeEbEEZZNS1_14partition_implILS8_4ELb0ES6_15HIP_vector_typeIjLj2EENS0_17counting_iteratorIjlEEPS9_SG_NS0_5tupleIJPjSI_NS0_16reverse_iteratorISI_EEEEENSH_IJSG_SG_SG_EEES9_SI_JZNS1_25segmented_radix_sort_implINS0_14default_configELb1EPK6__halfPSP_PKlPlN2at6native12_GLOBAL__N_18offset_tEEE10hipError_tPvRmT1_PNSt15iterator_traitsIS13_E10value_typeET2_T3_PNS14_IS19_E10value_typeET4_jRbjT5_S1F_jjP12ihipStream_tbEUljE_ZNSN_ISO_Lb1ESR_SS_SU_SV_SZ_EES10_S11_S12_S13_S17_S18_S19_S1C_S1D_jS1E_jS1F_S1F_jjS1H_bEUljE0_EEES10_S11_S12_S19_S1D_S1F_T6_T7_T9_mT8_S1H_bDpT10_ENKUlT_T0_E_clISt17integral_constantIbLb0EES1V_EEDaS1Q_S1R_EUlS1Q_E_NS1_11comp_targetILNS1_3genE2ELNS1_11target_archE906ELNS1_3gpuE6ELNS1_3repE0EEENS1_30default_config_static_selectorELNS0_4arch9wavefront6targetE0EEEvS13_
		.amdhsa_group_segment_fixed_size 0
		.amdhsa_private_segment_fixed_size 0
		.amdhsa_kernarg_size 176
		.amdhsa_user_sgpr_count 2
		.amdhsa_user_sgpr_dispatch_ptr 0
		.amdhsa_user_sgpr_queue_ptr 0
		.amdhsa_user_sgpr_kernarg_segment_ptr 1
		.amdhsa_user_sgpr_dispatch_id 0
		.amdhsa_user_sgpr_kernarg_preload_length 0
		.amdhsa_user_sgpr_kernarg_preload_offset 0
		.amdhsa_user_sgpr_private_segment_size 0
		.amdhsa_wavefront_size32 1
		.amdhsa_uses_dynamic_stack 0
		.amdhsa_enable_private_segment 0
		.amdhsa_system_sgpr_workgroup_id_x 1
		.amdhsa_system_sgpr_workgroup_id_y 0
		.amdhsa_system_sgpr_workgroup_id_z 0
		.amdhsa_system_sgpr_workgroup_info 0
		.amdhsa_system_vgpr_workitem_id 0
		.amdhsa_next_free_vgpr 1
		.amdhsa_next_free_sgpr 1
		.amdhsa_named_barrier_count 0
		.amdhsa_reserve_vcc 0
		.amdhsa_float_round_mode_32 0
		.amdhsa_float_round_mode_16_64 0
		.amdhsa_float_denorm_mode_32 3
		.amdhsa_float_denorm_mode_16_64 3
		.amdhsa_fp16_overflow 0
		.amdhsa_memory_ordered 1
		.amdhsa_forward_progress 1
		.amdhsa_inst_pref_size 0
		.amdhsa_round_robin_scheduling 0
		.amdhsa_exception_fp_ieee_invalid_op 0
		.amdhsa_exception_fp_denorm_src 0
		.amdhsa_exception_fp_ieee_div_zero 0
		.amdhsa_exception_fp_ieee_overflow 0
		.amdhsa_exception_fp_ieee_underflow 0
		.amdhsa_exception_fp_ieee_inexact 0
		.amdhsa_exception_int_div_zero 0
	.end_amdhsa_kernel
	.section	.text._ZN7rocprim17ROCPRIM_400000_NS6detail17trampoline_kernelINS0_13select_configILj256ELj13ELNS0_17block_load_methodE3ELS4_3ELS4_3ELNS0_20block_scan_algorithmE0ELj4294967295EEENS1_25partition_config_selectorILNS1_17partition_subalgoE4EjNS0_10empty_typeEbEEZZNS1_14partition_implILS8_4ELb0ES6_15HIP_vector_typeIjLj2EENS0_17counting_iteratorIjlEEPS9_SG_NS0_5tupleIJPjSI_NS0_16reverse_iteratorISI_EEEEENSH_IJSG_SG_SG_EEES9_SI_JZNS1_25segmented_radix_sort_implINS0_14default_configELb1EPK6__halfPSP_PKlPlN2at6native12_GLOBAL__N_18offset_tEEE10hipError_tPvRmT1_PNSt15iterator_traitsIS13_E10value_typeET2_T3_PNS14_IS19_E10value_typeET4_jRbjT5_S1F_jjP12ihipStream_tbEUljE_ZNSN_ISO_Lb1ESR_SS_SU_SV_SZ_EES10_S11_S12_S13_S17_S18_S19_S1C_S1D_jS1E_jS1F_S1F_jjS1H_bEUljE0_EEES10_S11_S12_S19_S1D_S1F_T6_T7_T9_mT8_S1H_bDpT10_ENKUlT_T0_E_clISt17integral_constantIbLb0EES1V_EEDaS1Q_S1R_EUlS1Q_E_NS1_11comp_targetILNS1_3genE2ELNS1_11target_archE906ELNS1_3gpuE6ELNS1_3repE0EEENS1_30default_config_static_selectorELNS0_4arch9wavefront6targetE0EEEvS13_,"axG",@progbits,_ZN7rocprim17ROCPRIM_400000_NS6detail17trampoline_kernelINS0_13select_configILj256ELj13ELNS0_17block_load_methodE3ELS4_3ELS4_3ELNS0_20block_scan_algorithmE0ELj4294967295EEENS1_25partition_config_selectorILNS1_17partition_subalgoE4EjNS0_10empty_typeEbEEZZNS1_14partition_implILS8_4ELb0ES6_15HIP_vector_typeIjLj2EENS0_17counting_iteratorIjlEEPS9_SG_NS0_5tupleIJPjSI_NS0_16reverse_iteratorISI_EEEEENSH_IJSG_SG_SG_EEES9_SI_JZNS1_25segmented_radix_sort_implINS0_14default_configELb1EPK6__halfPSP_PKlPlN2at6native12_GLOBAL__N_18offset_tEEE10hipError_tPvRmT1_PNSt15iterator_traitsIS13_E10value_typeET2_T3_PNS14_IS19_E10value_typeET4_jRbjT5_S1F_jjP12ihipStream_tbEUljE_ZNSN_ISO_Lb1ESR_SS_SU_SV_SZ_EES10_S11_S12_S13_S17_S18_S19_S1C_S1D_jS1E_jS1F_S1F_jjS1H_bEUljE0_EEES10_S11_S12_S19_S1D_S1F_T6_T7_T9_mT8_S1H_bDpT10_ENKUlT_T0_E_clISt17integral_constantIbLb0EES1V_EEDaS1Q_S1R_EUlS1Q_E_NS1_11comp_targetILNS1_3genE2ELNS1_11target_archE906ELNS1_3gpuE6ELNS1_3repE0EEENS1_30default_config_static_selectorELNS0_4arch9wavefront6targetE0EEEvS13_,comdat
.Lfunc_end1669:
	.size	_ZN7rocprim17ROCPRIM_400000_NS6detail17trampoline_kernelINS0_13select_configILj256ELj13ELNS0_17block_load_methodE3ELS4_3ELS4_3ELNS0_20block_scan_algorithmE0ELj4294967295EEENS1_25partition_config_selectorILNS1_17partition_subalgoE4EjNS0_10empty_typeEbEEZZNS1_14partition_implILS8_4ELb0ES6_15HIP_vector_typeIjLj2EENS0_17counting_iteratorIjlEEPS9_SG_NS0_5tupleIJPjSI_NS0_16reverse_iteratorISI_EEEEENSH_IJSG_SG_SG_EEES9_SI_JZNS1_25segmented_radix_sort_implINS0_14default_configELb1EPK6__halfPSP_PKlPlN2at6native12_GLOBAL__N_18offset_tEEE10hipError_tPvRmT1_PNSt15iterator_traitsIS13_E10value_typeET2_T3_PNS14_IS19_E10value_typeET4_jRbjT5_S1F_jjP12ihipStream_tbEUljE_ZNSN_ISO_Lb1ESR_SS_SU_SV_SZ_EES10_S11_S12_S13_S17_S18_S19_S1C_S1D_jS1E_jS1F_S1F_jjS1H_bEUljE0_EEES10_S11_S12_S19_S1D_S1F_T6_T7_T9_mT8_S1H_bDpT10_ENKUlT_T0_E_clISt17integral_constantIbLb0EES1V_EEDaS1Q_S1R_EUlS1Q_E_NS1_11comp_targetILNS1_3genE2ELNS1_11target_archE906ELNS1_3gpuE6ELNS1_3repE0EEENS1_30default_config_static_selectorELNS0_4arch9wavefront6targetE0EEEvS13_, .Lfunc_end1669-_ZN7rocprim17ROCPRIM_400000_NS6detail17trampoline_kernelINS0_13select_configILj256ELj13ELNS0_17block_load_methodE3ELS4_3ELS4_3ELNS0_20block_scan_algorithmE0ELj4294967295EEENS1_25partition_config_selectorILNS1_17partition_subalgoE4EjNS0_10empty_typeEbEEZZNS1_14partition_implILS8_4ELb0ES6_15HIP_vector_typeIjLj2EENS0_17counting_iteratorIjlEEPS9_SG_NS0_5tupleIJPjSI_NS0_16reverse_iteratorISI_EEEEENSH_IJSG_SG_SG_EEES9_SI_JZNS1_25segmented_radix_sort_implINS0_14default_configELb1EPK6__halfPSP_PKlPlN2at6native12_GLOBAL__N_18offset_tEEE10hipError_tPvRmT1_PNSt15iterator_traitsIS13_E10value_typeET2_T3_PNS14_IS19_E10value_typeET4_jRbjT5_S1F_jjP12ihipStream_tbEUljE_ZNSN_ISO_Lb1ESR_SS_SU_SV_SZ_EES10_S11_S12_S13_S17_S18_S19_S1C_S1D_jS1E_jS1F_S1F_jjS1H_bEUljE0_EEES10_S11_S12_S19_S1D_S1F_T6_T7_T9_mT8_S1H_bDpT10_ENKUlT_T0_E_clISt17integral_constantIbLb0EES1V_EEDaS1Q_S1R_EUlS1Q_E_NS1_11comp_targetILNS1_3genE2ELNS1_11target_archE906ELNS1_3gpuE6ELNS1_3repE0EEENS1_30default_config_static_selectorELNS0_4arch9wavefront6targetE0EEEvS13_
                                        ; -- End function
	.set _ZN7rocprim17ROCPRIM_400000_NS6detail17trampoline_kernelINS0_13select_configILj256ELj13ELNS0_17block_load_methodE3ELS4_3ELS4_3ELNS0_20block_scan_algorithmE0ELj4294967295EEENS1_25partition_config_selectorILNS1_17partition_subalgoE4EjNS0_10empty_typeEbEEZZNS1_14partition_implILS8_4ELb0ES6_15HIP_vector_typeIjLj2EENS0_17counting_iteratorIjlEEPS9_SG_NS0_5tupleIJPjSI_NS0_16reverse_iteratorISI_EEEEENSH_IJSG_SG_SG_EEES9_SI_JZNS1_25segmented_radix_sort_implINS0_14default_configELb1EPK6__halfPSP_PKlPlN2at6native12_GLOBAL__N_18offset_tEEE10hipError_tPvRmT1_PNSt15iterator_traitsIS13_E10value_typeET2_T3_PNS14_IS19_E10value_typeET4_jRbjT5_S1F_jjP12ihipStream_tbEUljE_ZNSN_ISO_Lb1ESR_SS_SU_SV_SZ_EES10_S11_S12_S13_S17_S18_S19_S1C_S1D_jS1E_jS1F_S1F_jjS1H_bEUljE0_EEES10_S11_S12_S19_S1D_S1F_T6_T7_T9_mT8_S1H_bDpT10_ENKUlT_T0_E_clISt17integral_constantIbLb0EES1V_EEDaS1Q_S1R_EUlS1Q_E_NS1_11comp_targetILNS1_3genE2ELNS1_11target_archE906ELNS1_3gpuE6ELNS1_3repE0EEENS1_30default_config_static_selectorELNS0_4arch9wavefront6targetE0EEEvS13_.num_vgpr, 0
	.set _ZN7rocprim17ROCPRIM_400000_NS6detail17trampoline_kernelINS0_13select_configILj256ELj13ELNS0_17block_load_methodE3ELS4_3ELS4_3ELNS0_20block_scan_algorithmE0ELj4294967295EEENS1_25partition_config_selectorILNS1_17partition_subalgoE4EjNS0_10empty_typeEbEEZZNS1_14partition_implILS8_4ELb0ES6_15HIP_vector_typeIjLj2EENS0_17counting_iteratorIjlEEPS9_SG_NS0_5tupleIJPjSI_NS0_16reverse_iteratorISI_EEEEENSH_IJSG_SG_SG_EEES9_SI_JZNS1_25segmented_radix_sort_implINS0_14default_configELb1EPK6__halfPSP_PKlPlN2at6native12_GLOBAL__N_18offset_tEEE10hipError_tPvRmT1_PNSt15iterator_traitsIS13_E10value_typeET2_T3_PNS14_IS19_E10value_typeET4_jRbjT5_S1F_jjP12ihipStream_tbEUljE_ZNSN_ISO_Lb1ESR_SS_SU_SV_SZ_EES10_S11_S12_S13_S17_S18_S19_S1C_S1D_jS1E_jS1F_S1F_jjS1H_bEUljE0_EEES10_S11_S12_S19_S1D_S1F_T6_T7_T9_mT8_S1H_bDpT10_ENKUlT_T0_E_clISt17integral_constantIbLb0EES1V_EEDaS1Q_S1R_EUlS1Q_E_NS1_11comp_targetILNS1_3genE2ELNS1_11target_archE906ELNS1_3gpuE6ELNS1_3repE0EEENS1_30default_config_static_selectorELNS0_4arch9wavefront6targetE0EEEvS13_.num_agpr, 0
	.set _ZN7rocprim17ROCPRIM_400000_NS6detail17trampoline_kernelINS0_13select_configILj256ELj13ELNS0_17block_load_methodE3ELS4_3ELS4_3ELNS0_20block_scan_algorithmE0ELj4294967295EEENS1_25partition_config_selectorILNS1_17partition_subalgoE4EjNS0_10empty_typeEbEEZZNS1_14partition_implILS8_4ELb0ES6_15HIP_vector_typeIjLj2EENS0_17counting_iteratorIjlEEPS9_SG_NS0_5tupleIJPjSI_NS0_16reverse_iteratorISI_EEEEENSH_IJSG_SG_SG_EEES9_SI_JZNS1_25segmented_radix_sort_implINS0_14default_configELb1EPK6__halfPSP_PKlPlN2at6native12_GLOBAL__N_18offset_tEEE10hipError_tPvRmT1_PNSt15iterator_traitsIS13_E10value_typeET2_T3_PNS14_IS19_E10value_typeET4_jRbjT5_S1F_jjP12ihipStream_tbEUljE_ZNSN_ISO_Lb1ESR_SS_SU_SV_SZ_EES10_S11_S12_S13_S17_S18_S19_S1C_S1D_jS1E_jS1F_S1F_jjS1H_bEUljE0_EEES10_S11_S12_S19_S1D_S1F_T6_T7_T9_mT8_S1H_bDpT10_ENKUlT_T0_E_clISt17integral_constantIbLb0EES1V_EEDaS1Q_S1R_EUlS1Q_E_NS1_11comp_targetILNS1_3genE2ELNS1_11target_archE906ELNS1_3gpuE6ELNS1_3repE0EEENS1_30default_config_static_selectorELNS0_4arch9wavefront6targetE0EEEvS13_.numbered_sgpr, 0
	.set _ZN7rocprim17ROCPRIM_400000_NS6detail17trampoline_kernelINS0_13select_configILj256ELj13ELNS0_17block_load_methodE3ELS4_3ELS4_3ELNS0_20block_scan_algorithmE0ELj4294967295EEENS1_25partition_config_selectorILNS1_17partition_subalgoE4EjNS0_10empty_typeEbEEZZNS1_14partition_implILS8_4ELb0ES6_15HIP_vector_typeIjLj2EENS0_17counting_iteratorIjlEEPS9_SG_NS0_5tupleIJPjSI_NS0_16reverse_iteratorISI_EEEEENSH_IJSG_SG_SG_EEES9_SI_JZNS1_25segmented_radix_sort_implINS0_14default_configELb1EPK6__halfPSP_PKlPlN2at6native12_GLOBAL__N_18offset_tEEE10hipError_tPvRmT1_PNSt15iterator_traitsIS13_E10value_typeET2_T3_PNS14_IS19_E10value_typeET4_jRbjT5_S1F_jjP12ihipStream_tbEUljE_ZNSN_ISO_Lb1ESR_SS_SU_SV_SZ_EES10_S11_S12_S13_S17_S18_S19_S1C_S1D_jS1E_jS1F_S1F_jjS1H_bEUljE0_EEES10_S11_S12_S19_S1D_S1F_T6_T7_T9_mT8_S1H_bDpT10_ENKUlT_T0_E_clISt17integral_constantIbLb0EES1V_EEDaS1Q_S1R_EUlS1Q_E_NS1_11comp_targetILNS1_3genE2ELNS1_11target_archE906ELNS1_3gpuE6ELNS1_3repE0EEENS1_30default_config_static_selectorELNS0_4arch9wavefront6targetE0EEEvS13_.num_named_barrier, 0
	.set _ZN7rocprim17ROCPRIM_400000_NS6detail17trampoline_kernelINS0_13select_configILj256ELj13ELNS0_17block_load_methodE3ELS4_3ELS4_3ELNS0_20block_scan_algorithmE0ELj4294967295EEENS1_25partition_config_selectorILNS1_17partition_subalgoE4EjNS0_10empty_typeEbEEZZNS1_14partition_implILS8_4ELb0ES6_15HIP_vector_typeIjLj2EENS0_17counting_iteratorIjlEEPS9_SG_NS0_5tupleIJPjSI_NS0_16reverse_iteratorISI_EEEEENSH_IJSG_SG_SG_EEES9_SI_JZNS1_25segmented_radix_sort_implINS0_14default_configELb1EPK6__halfPSP_PKlPlN2at6native12_GLOBAL__N_18offset_tEEE10hipError_tPvRmT1_PNSt15iterator_traitsIS13_E10value_typeET2_T3_PNS14_IS19_E10value_typeET4_jRbjT5_S1F_jjP12ihipStream_tbEUljE_ZNSN_ISO_Lb1ESR_SS_SU_SV_SZ_EES10_S11_S12_S13_S17_S18_S19_S1C_S1D_jS1E_jS1F_S1F_jjS1H_bEUljE0_EEES10_S11_S12_S19_S1D_S1F_T6_T7_T9_mT8_S1H_bDpT10_ENKUlT_T0_E_clISt17integral_constantIbLb0EES1V_EEDaS1Q_S1R_EUlS1Q_E_NS1_11comp_targetILNS1_3genE2ELNS1_11target_archE906ELNS1_3gpuE6ELNS1_3repE0EEENS1_30default_config_static_selectorELNS0_4arch9wavefront6targetE0EEEvS13_.private_seg_size, 0
	.set _ZN7rocprim17ROCPRIM_400000_NS6detail17trampoline_kernelINS0_13select_configILj256ELj13ELNS0_17block_load_methodE3ELS4_3ELS4_3ELNS0_20block_scan_algorithmE0ELj4294967295EEENS1_25partition_config_selectorILNS1_17partition_subalgoE4EjNS0_10empty_typeEbEEZZNS1_14partition_implILS8_4ELb0ES6_15HIP_vector_typeIjLj2EENS0_17counting_iteratorIjlEEPS9_SG_NS0_5tupleIJPjSI_NS0_16reverse_iteratorISI_EEEEENSH_IJSG_SG_SG_EEES9_SI_JZNS1_25segmented_radix_sort_implINS0_14default_configELb1EPK6__halfPSP_PKlPlN2at6native12_GLOBAL__N_18offset_tEEE10hipError_tPvRmT1_PNSt15iterator_traitsIS13_E10value_typeET2_T3_PNS14_IS19_E10value_typeET4_jRbjT5_S1F_jjP12ihipStream_tbEUljE_ZNSN_ISO_Lb1ESR_SS_SU_SV_SZ_EES10_S11_S12_S13_S17_S18_S19_S1C_S1D_jS1E_jS1F_S1F_jjS1H_bEUljE0_EEES10_S11_S12_S19_S1D_S1F_T6_T7_T9_mT8_S1H_bDpT10_ENKUlT_T0_E_clISt17integral_constantIbLb0EES1V_EEDaS1Q_S1R_EUlS1Q_E_NS1_11comp_targetILNS1_3genE2ELNS1_11target_archE906ELNS1_3gpuE6ELNS1_3repE0EEENS1_30default_config_static_selectorELNS0_4arch9wavefront6targetE0EEEvS13_.uses_vcc, 0
	.set _ZN7rocprim17ROCPRIM_400000_NS6detail17trampoline_kernelINS0_13select_configILj256ELj13ELNS0_17block_load_methodE3ELS4_3ELS4_3ELNS0_20block_scan_algorithmE0ELj4294967295EEENS1_25partition_config_selectorILNS1_17partition_subalgoE4EjNS0_10empty_typeEbEEZZNS1_14partition_implILS8_4ELb0ES6_15HIP_vector_typeIjLj2EENS0_17counting_iteratorIjlEEPS9_SG_NS0_5tupleIJPjSI_NS0_16reverse_iteratorISI_EEEEENSH_IJSG_SG_SG_EEES9_SI_JZNS1_25segmented_radix_sort_implINS0_14default_configELb1EPK6__halfPSP_PKlPlN2at6native12_GLOBAL__N_18offset_tEEE10hipError_tPvRmT1_PNSt15iterator_traitsIS13_E10value_typeET2_T3_PNS14_IS19_E10value_typeET4_jRbjT5_S1F_jjP12ihipStream_tbEUljE_ZNSN_ISO_Lb1ESR_SS_SU_SV_SZ_EES10_S11_S12_S13_S17_S18_S19_S1C_S1D_jS1E_jS1F_S1F_jjS1H_bEUljE0_EEES10_S11_S12_S19_S1D_S1F_T6_T7_T9_mT8_S1H_bDpT10_ENKUlT_T0_E_clISt17integral_constantIbLb0EES1V_EEDaS1Q_S1R_EUlS1Q_E_NS1_11comp_targetILNS1_3genE2ELNS1_11target_archE906ELNS1_3gpuE6ELNS1_3repE0EEENS1_30default_config_static_selectorELNS0_4arch9wavefront6targetE0EEEvS13_.uses_flat_scratch, 0
	.set _ZN7rocprim17ROCPRIM_400000_NS6detail17trampoline_kernelINS0_13select_configILj256ELj13ELNS0_17block_load_methodE3ELS4_3ELS4_3ELNS0_20block_scan_algorithmE0ELj4294967295EEENS1_25partition_config_selectorILNS1_17partition_subalgoE4EjNS0_10empty_typeEbEEZZNS1_14partition_implILS8_4ELb0ES6_15HIP_vector_typeIjLj2EENS0_17counting_iteratorIjlEEPS9_SG_NS0_5tupleIJPjSI_NS0_16reverse_iteratorISI_EEEEENSH_IJSG_SG_SG_EEES9_SI_JZNS1_25segmented_radix_sort_implINS0_14default_configELb1EPK6__halfPSP_PKlPlN2at6native12_GLOBAL__N_18offset_tEEE10hipError_tPvRmT1_PNSt15iterator_traitsIS13_E10value_typeET2_T3_PNS14_IS19_E10value_typeET4_jRbjT5_S1F_jjP12ihipStream_tbEUljE_ZNSN_ISO_Lb1ESR_SS_SU_SV_SZ_EES10_S11_S12_S13_S17_S18_S19_S1C_S1D_jS1E_jS1F_S1F_jjS1H_bEUljE0_EEES10_S11_S12_S19_S1D_S1F_T6_T7_T9_mT8_S1H_bDpT10_ENKUlT_T0_E_clISt17integral_constantIbLb0EES1V_EEDaS1Q_S1R_EUlS1Q_E_NS1_11comp_targetILNS1_3genE2ELNS1_11target_archE906ELNS1_3gpuE6ELNS1_3repE0EEENS1_30default_config_static_selectorELNS0_4arch9wavefront6targetE0EEEvS13_.has_dyn_sized_stack, 0
	.set _ZN7rocprim17ROCPRIM_400000_NS6detail17trampoline_kernelINS0_13select_configILj256ELj13ELNS0_17block_load_methodE3ELS4_3ELS4_3ELNS0_20block_scan_algorithmE0ELj4294967295EEENS1_25partition_config_selectorILNS1_17partition_subalgoE4EjNS0_10empty_typeEbEEZZNS1_14partition_implILS8_4ELb0ES6_15HIP_vector_typeIjLj2EENS0_17counting_iteratorIjlEEPS9_SG_NS0_5tupleIJPjSI_NS0_16reverse_iteratorISI_EEEEENSH_IJSG_SG_SG_EEES9_SI_JZNS1_25segmented_radix_sort_implINS0_14default_configELb1EPK6__halfPSP_PKlPlN2at6native12_GLOBAL__N_18offset_tEEE10hipError_tPvRmT1_PNSt15iterator_traitsIS13_E10value_typeET2_T3_PNS14_IS19_E10value_typeET4_jRbjT5_S1F_jjP12ihipStream_tbEUljE_ZNSN_ISO_Lb1ESR_SS_SU_SV_SZ_EES10_S11_S12_S13_S17_S18_S19_S1C_S1D_jS1E_jS1F_S1F_jjS1H_bEUljE0_EEES10_S11_S12_S19_S1D_S1F_T6_T7_T9_mT8_S1H_bDpT10_ENKUlT_T0_E_clISt17integral_constantIbLb0EES1V_EEDaS1Q_S1R_EUlS1Q_E_NS1_11comp_targetILNS1_3genE2ELNS1_11target_archE906ELNS1_3gpuE6ELNS1_3repE0EEENS1_30default_config_static_selectorELNS0_4arch9wavefront6targetE0EEEvS13_.has_recursion, 0
	.set _ZN7rocprim17ROCPRIM_400000_NS6detail17trampoline_kernelINS0_13select_configILj256ELj13ELNS0_17block_load_methodE3ELS4_3ELS4_3ELNS0_20block_scan_algorithmE0ELj4294967295EEENS1_25partition_config_selectorILNS1_17partition_subalgoE4EjNS0_10empty_typeEbEEZZNS1_14partition_implILS8_4ELb0ES6_15HIP_vector_typeIjLj2EENS0_17counting_iteratorIjlEEPS9_SG_NS0_5tupleIJPjSI_NS0_16reverse_iteratorISI_EEEEENSH_IJSG_SG_SG_EEES9_SI_JZNS1_25segmented_radix_sort_implINS0_14default_configELb1EPK6__halfPSP_PKlPlN2at6native12_GLOBAL__N_18offset_tEEE10hipError_tPvRmT1_PNSt15iterator_traitsIS13_E10value_typeET2_T3_PNS14_IS19_E10value_typeET4_jRbjT5_S1F_jjP12ihipStream_tbEUljE_ZNSN_ISO_Lb1ESR_SS_SU_SV_SZ_EES10_S11_S12_S13_S17_S18_S19_S1C_S1D_jS1E_jS1F_S1F_jjS1H_bEUljE0_EEES10_S11_S12_S19_S1D_S1F_T6_T7_T9_mT8_S1H_bDpT10_ENKUlT_T0_E_clISt17integral_constantIbLb0EES1V_EEDaS1Q_S1R_EUlS1Q_E_NS1_11comp_targetILNS1_3genE2ELNS1_11target_archE906ELNS1_3gpuE6ELNS1_3repE0EEENS1_30default_config_static_selectorELNS0_4arch9wavefront6targetE0EEEvS13_.has_indirect_call, 0
	.section	.AMDGPU.csdata,"",@progbits
; Kernel info:
; codeLenInByte = 0
; TotalNumSgprs: 0
; NumVgprs: 0
; ScratchSize: 0
; MemoryBound: 0
; FloatMode: 240
; IeeeMode: 1
; LDSByteSize: 0 bytes/workgroup (compile time only)
; SGPRBlocks: 0
; VGPRBlocks: 0
; NumSGPRsForWavesPerEU: 1
; NumVGPRsForWavesPerEU: 1
; NamedBarCnt: 0
; Occupancy: 16
; WaveLimiterHint : 0
; COMPUTE_PGM_RSRC2:SCRATCH_EN: 0
; COMPUTE_PGM_RSRC2:USER_SGPR: 2
; COMPUTE_PGM_RSRC2:TRAP_HANDLER: 0
; COMPUTE_PGM_RSRC2:TGID_X_EN: 1
; COMPUTE_PGM_RSRC2:TGID_Y_EN: 0
; COMPUTE_PGM_RSRC2:TGID_Z_EN: 0
; COMPUTE_PGM_RSRC2:TIDIG_COMP_CNT: 0
	.section	.text._ZN7rocprim17ROCPRIM_400000_NS6detail17trampoline_kernelINS0_13select_configILj256ELj13ELNS0_17block_load_methodE3ELS4_3ELS4_3ELNS0_20block_scan_algorithmE0ELj4294967295EEENS1_25partition_config_selectorILNS1_17partition_subalgoE4EjNS0_10empty_typeEbEEZZNS1_14partition_implILS8_4ELb0ES6_15HIP_vector_typeIjLj2EENS0_17counting_iteratorIjlEEPS9_SG_NS0_5tupleIJPjSI_NS0_16reverse_iteratorISI_EEEEENSH_IJSG_SG_SG_EEES9_SI_JZNS1_25segmented_radix_sort_implINS0_14default_configELb1EPK6__halfPSP_PKlPlN2at6native12_GLOBAL__N_18offset_tEEE10hipError_tPvRmT1_PNSt15iterator_traitsIS13_E10value_typeET2_T3_PNS14_IS19_E10value_typeET4_jRbjT5_S1F_jjP12ihipStream_tbEUljE_ZNSN_ISO_Lb1ESR_SS_SU_SV_SZ_EES10_S11_S12_S13_S17_S18_S19_S1C_S1D_jS1E_jS1F_S1F_jjS1H_bEUljE0_EEES10_S11_S12_S19_S1D_S1F_T6_T7_T9_mT8_S1H_bDpT10_ENKUlT_T0_E_clISt17integral_constantIbLb0EES1V_EEDaS1Q_S1R_EUlS1Q_E_NS1_11comp_targetILNS1_3genE10ELNS1_11target_archE1200ELNS1_3gpuE4ELNS1_3repE0EEENS1_30default_config_static_selectorELNS0_4arch9wavefront6targetE0EEEvS13_,"axG",@progbits,_ZN7rocprim17ROCPRIM_400000_NS6detail17trampoline_kernelINS0_13select_configILj256ELj13ELNS0_17block_load_methodE3ELS4_3ELS4_3ELNS0_20block_scan_algorithmE0ELj4294967295EEENS1_25partition_config_selectorILNS1_17partition_subalgoE4EjNS0_10empty_typeEbEEZZNS1_14partition_implILS8_4ELb0ES6_15HIP_vector_typeIjLj2EENS0_17counting_iteratorIjlEEPS9_SG_NS0_5tupleIJPjSI_NS0_16reverse_iteratorISI_EEEEENSH_IJSG_SG_SG_EEES9_SI_JZNS1_25segmented_radix_sort_implINS0_14default_configELb1EPK6__halfPSP_PKlPlN2at6native12_GLOBAL__N_18offset_tEEE10hipError_tPvRmT1_PNSt15iterator_traitsIS13_E10value_typeET2_T3_PNS14_IS19_E10value_typeET4_jRbjT5_S1F_jjP12ihipStream_tbEUljE_ZNSN_ISO_Lb1ESR_SS_SU_SV_SZ_EES10_S11_S12_S13_S17_S18_S19_S1C_S1D_jS1E_jS1F_S1F_jjS1H_bEUljE0_EEES10_S11_S12_S19_S1D_S1F_T6_T7_T9_mT8_S1H_bDpT10_ENKUlT_T0_E_clISt17integral_constantIbLb0EES1V_EEDaS1Q_S1R_EUlS1Q_E_NS1_11comp_targetILNS1_3genE10ELNS1_11target_archE1200ELNS1_3gpuE4ELNS1_3repE0EEENS1_30default_config_static_selectorELNS0_4arch9wavefront6targetE0EEEvS13_,comdat
	.globl	_ZN7rocprim17ROCPRIM_400000_NS6detail17trampoline_kernelINS0_13select_configILj256ELj13ELNS0_17block_load_methodE3ELS4_3ELS4_3ELNS0_20block_scan_algorithmE0ELj4294967295EEENS1_25partition_config_selectorILNS1_17partition_subalgoE4EjNS0_10empty_typeEbEEZZNS1_14partition_implILS8_4ELb0ES6_15HIP_vector_typeIjLj2EENS0_17counting_iteratorIjlEEPS9_SG_NS0_5tupleIJPjSI_NS0_16reverse_iteratorISI_EEEEENSH_IJSG_SG_SG_EEES9_SI_JZNS1_25segmented_radix_sort_implINS0_14default_configELb1EPK6__halfPSP_PKlPlN2at6native12_GLOBAL__N_18offset_tEEE10hipError_tPvRmT1_PNSt15iterator_traitsIS13_E10value_typeET2_T3_PNS14_IS19_E10value_typeET4_jRbjT5_S1F_jjP12ihipStream_tbEUljE_ZNSN_ISO_Lb1ESR_SS_SU_SV_SZ_EES10_S11_S12_S13_S17_S18_S19_S1C_S1D_jS1E_jS1F_S1F_jjS1H_bEUljE0_EEES10_S11_S12_S19_S1D_S1F_T6_T7_T9_mT8_S1H_bDpT10_ENKUlT_T0_E_clISt17integral_constantIbLb0EES1V_EEDaS1Q_S1R_EUlS1Q_E_NS1_11comp_targetILNS1_3genE10ELNS1_11target_archE1200ELNS1_3gpuE4ELNS1_3repE0EEENS1_30default_config_static_selectorELNS0_4arch9wavefront6targetE0EEEvS13_ ; -- Begin function _ZN7rocprim17ROCPRIM_400000_NS6detail17trampoline_kernelINS0_13select_configILj256ELj13ELNS0_17block_load_methodE3ELS4_3ELS4_3ELNS0_20block_scan_algorithmE0ELj4294967295EEENS1_25partition_config_selectorILNS1_17partition_subalgoE4EjNS0_10empty_typeEbEEZZNS1_14partition_implILS8_4ELb0ES6_15HIP_vector_typeIjLj2EENS0_17counting_iteratorIjlEEPS9_SG_NS0_5tupleIJPjSI_NS0_16reverse_iteratorISI_EEEEENSH_IJSG_SG_SG_EEES9_SI_JZNS1_25segmented_radix_sort_implINS0_14default_configELb1EPK6__halfPSP_PKlPlN2at6native12_GLOBAL__N_18offset_tEEE10hipError_tPvRmT1_PNSt15iterator_traitsIS13_E10value_typeET2_T3_PNS14_IS19_E10value_typeET4_jRbjT5_S1F_jjP12ihipStream_tbEUljE_ZNSN_ISO_Lb1ESR_SS_SU_SV_SZ_EES10_S11_S12_S13_S17_S18_S19_S1C_S1D_jS1E_jS1F_S1F_jjS1H_bEUljE0_EEES10_S11_S12_S19_S1D_S1F_T6_T7_T9_mT8_S1H_bDpT10_ENKUlT_T0_E_clISt17integral_constantIbLb0EES1V_EEDaS1Q_S1R_EUlS1Q_E_NS1_11comp_targetILNS1_3genE10ELNS1_11target_archE1200ELNS1_3gpuE4ELNS1_3repE0EEENS1_30default_config_static_selectorELNS0_4arch9wavefront6targetE0EEEvS13_
	.p2align	8
	.type	_ZN7rocprim17ROCPRIM_400000_NS6detail17trampoline_kernelINS0_13select_configILj256ELj13ELNS0_17block_load_methodE3ELS4_3ELS4_3ELNS0_20block_scan_algorithmE0ELj4294967295EEENS1_25partition_config_selectorILNS1_17partition_subalgoE4EjNS0_10empty_typeEbEEZZNS1_14partition_implILS8_4ELb0ES6_15HIP_vector_typeIjLj2EENS0_17counting_iteratorIjlEEPS9_SG_NS0_5tupleIJPjSI_NS0_16reverse_iteratorISI_EEEEENSH_IJSG_SG_SG_EEES9_SI_JZNS1_25segmented_radix_sort_implINS0_14default_configELb1EPK6__halfPSP_PKlPlN2at6native12_GLOBAL__N_18offset_tEEE10hipError_tPvRmT1_PNSt15iterator_traitsIS13_E10value_typeET2_T3_PNS14_IS19_E10value_typeET4_jRbjT5_S1F_jjP12ihipStream_tbEUljE_ZNSN_ISO_Lb1ESR_SS_SU_SV_SZ_EES10_S11_S12_S13_S17_S18_S19_S1C_S1D_jS1E_jS1F_S1F_jjS1H_bEUljE0_EEES10_S11_S12_S19_S1D_S1F_T6_T7_T9_mT8_S1H_bDpT10_ENKUlT_T0_E_clISt17integral_constantIbLb0EES1V_EEDaS1Q_S1R_EUlS1Q_E_NS1_11comp_targetILNS1_3genE10ELNS1_11target_archE1200ELNS1_3gpuE4ELNS1_3repE0EEENS1_30default_config_static_selectorELNS0_4arch9wavefront6targetE0EEEvS13_,@function
_ZN7rocprim17ROCPRIM_400000_NS6detail17trampoline_kernelINS0_13select_configILj256ELj13ELNS0_17block_load_methodE3ELS4_3ELS4_3ELNS0_20block_scan_algorithmE0ELj4294967295EEENS1_25partition_config_selectorILNS1_17partition_subalgoE4EjNS0_10empty_typeEbEEZZNS1_14partition_implILS8_4ELb0ES6_15HIP_vector_typeIjLj2EENS0_17counting_iteratorIjlEEPS9_SG_NS0_5tupleIJPjSI_NS0_16reverse_iteratorISI_EEEEENSH_IJSG_SG_SG_EEES9_SI_JZNS1_25segmented_radix_sort_implINS0_14default_configELb1EPK6__halfPSP_PKlPlN2at6native12_GLOBAL__N_18offset_tEEE10hipError_tPvRmT1_PNSt15iterator_traitsIS13_E10value_typeET2_T3_PNS14_IS19_E10value_typeET4_jRbjT5_S1F_jjP12ihipStream_tbEUljE_ZNSN_ISO_Lb1ESR_SS_SU_SV_SZ_EES10_S11_S12_S13_S17_S18_S19_S1C_S1D_jS1E_jS1F_S1F_jjS1H_bEUljE0_EEES10_S11_S12_S19_S1D_S1F_T6_T7_T9_mT8_S1H_bDpT10_ENKUlT_T0_E_clISt17integral_constantIbLb0EES1V_EEDaS1Q_S1R_EUlS1Q_E_NS1_11comp_targetILNS1_3genE10ELNS1_11target_archE1200ELNS1_3gpuE4ELNS1_3repE0EEENS1_30default_config_static_selectorELNS0_4arch9wavefront6targetE0EEEvS13_: ; @_ZN7rocprim17ROCPRIM_400000_NS6detail17trampoline_kernelINS0_13select_configILj256ELj13ELNS0_17block_load_methodE3ELS4_3ELS4_3ELNS0_20block_scan_algorithmE0ELj4294967295EEENS1_25partition_config_selectorILNS1_17partition_subalgoE4EjNS0_10empty_typeEbEEZZNS1_14partition_implILS8_4ELb0ES6_15HIP_vector_typeIjLj2EENS0_17counting_iteratorIjlEEPS9_SG_NS0_5tupleIJPjSI_NS0_16reverse_iteratorISI_EEEEENSH_IJSG_SG_SG_EEES9_SI_JZNS1_25segmented_radix_sort_implINS0_14default_configELb1EPK6__halfPSP_PKlPlN2at6native12_GLOBAL__N_18offset_tEEE10hipError_tPvRmT1_PNSt15iterator_traitsIS13_E10value_typeET2_T3_PNS14_IS19_E10value_typeET4_jRbjT5_S1F_jjP12ihipStream_tbEUljE_ZNSN_ISO_Lb1ESR_SS_SU_SV_SZ_EES10_S11_S12_S13_S17_S18_S19_S1C_S1D_jS1E_jS1F_S1F_jjS1H_bEUljE0_EEES10_S11_S12_S19_S1D_S1F_T6_T7_T9_mT8_S1H_bDpT10_ENKUlT_T0_E_clISt17integral_constantIbLb0EES1V_EEDaS1Q_S1R_EUlS1Q_E_NS1_11comp_targetILNS1_3genE10ELNS1_11target_archE1200ELNS1_3gpuE4ELNS1_3repE0EEENS1_30default_config_static_selectorELNS0_4arch9wavefront6targetE0EEEvS13_
; %bb.0:
	.section	.rodata,"a",@progbits
	.p2align	6, 0x0
	.amdhsa_kernel _ZN7rocprim17ROCPRIM_400000_NS6detail17trampoline_kernelINS0_13select_configILj256ELj13ELNS0_17block_load_methodE3ELS4_3ELS4_3ELNS0_20block_scan_algorithmE0ELj4294967295EEENS1_25partition_config_selectorILNS1_17partition_subalgoE4EjNS0_10empty_typeEbEEZZNS1_14partition_implILS8_4ELb0ES6_15HIP_vector_typeIjLj2EENS0_17counting_iteratorIjlEEPS9_SG_NS0_5tupleIJPjSI_NS0_16reverse_iteratorISI_EEEEENSH_IJSG_SG_SG_EEES9_SI_JZNS1_25segmented_radix_sort_implINS0_14default_configELb1EPK6__halfPSP_PKlPlN2at6native12_GLOBAL__N_18offset_tEEE10hipError_tPvRmT1_PNSt15iterator_traitsIS13_E10value_typeET2_T3_PNS14_IS19_E10value_typeET4_jRbjT5_S1F_jjP12ihipStream_tbEUljE_ZNSN_ISO_Lb1ESR_SS_SU_SV_SZ_EES10_S11_S12_S13_S17_S18_S19_S1C_S1D_jS1E_jS1F_S1F_jjS1H_bEUljE0_EEES10_S11_S12_S19_S1D_S1F_T6_T7_T9_mT8_S1H_bDpT10_ENKUlT_T0_E_clISt17integral_constantIbLb0EES1V_EEDaS1Q_S1R_EUlS1Q_E_NS1_11comp_targetILNS1_3genE10ELNS1_11target_archE1200ELNS1_3gpuE4ELNS1_3repE0EEENS1_30default_config_static_selectorELNS0_4arch9wavefront6targetE0EEEvS13_
		.amdhsa_group_segment_fixed_size 0
		.amdhsa_private_segment_fixed_size 0
		.amdhsa_kernarg_size 176
		.amdhsa_user_sgpr_count 2
		.amdhsa_user_sgpr_dispatch_ptr 0
		.amdhsa_user_sgpr_queue_ptr 0
		.amdhsa_user_sgpr_kernarg_segment_ptr 1
		.amdhsa_user_sgpr_dispatch_id 0
		.amdhsa_user_sgpr_kernarg_preload_length 0
		.amdhsa_user_sgpr_kernarg_preload_offset 0
		.amdhsa_user_sgpr_private_segment_size 0
		.amdhsa_wavefront_size32 1
		.amdhsa_uses_dynamic_stack 0
		.amdhsa_enable_private_segment 0
		.amdhsa_system_sgpr_workgroup_id_x 1
		.amdhsa_system_sgpr_workgroup_id_y 0
		.amdhsa_system_sgpr_workgroup_id_z 0
		.amdhsa_system_sgpr_workgroup_info 0
		.amdhsa_system_vgpr_workitem_id 0
		.amdhsa_next_free_vgpr 1
		.amdhsa_next_free_sgpr 1
		.amdhsa_named_barrier_count 0
		.amdhsa_reserve_vcc 0
		.amdhsa_float_round_mode_32 0
		.amdhsa_float_round_mode_16_64 0
		.amdhsa_float_denorm_mode_32 3
		.amdhsa_float_denorm_mode_16_64 3
		.amdhsa_fp16_overflow 0
		.amdhsa_memory_ordered 1
		.amdhsa_forward_progress 1
		.amdhsa_inst_pref_size 0
		.amdhsa_round_robin_scheduling 0
		.amdhsa_exception_fp_ieee_invalid_op 0
		.amdhsa_exception_fp_denorm_src 0
		.amdhsa_exception_fp_ieee_div_zero 0
		.amdhsa_exception_fp_ieee_overflow 0
		.amdhsa_exception_fp_ieee_underflow 0
		.amdhsa_exception_fp_ieee_inexact 0
		.amdhsa_exception_int_div_zero 0
	.end_amdhsa_kernel
	.section	.text._ZN7rocprim17ROCPRIM_400000_NS6detail17trampoline_kernelINS0_13select_configILj256ELj13ELNS0_17block_load_methodE3ELS4_3ELS4_3ELNS0_20block_scan_algorithmE0ELj4294967295EEENS1_25partition_config_selectorILNS1_17partition_subalgoE4EjNS0_10empty_typeEbEEZZNS1_14partition_implILS8_4ELb0ES6_15HIP_vector_typeIjLj2EENS0_17counting_iteratorIjlEEPS9_SG_NS0_5tupleIJPjSI_NS0_16reverse_iteratorISI_EEEEENSH_IJSG_SG_SG_EEES9_SI_JZNS1_25segmented_radix_sort_implINS0_14default_configELb1EPK6__halfPSP_PKlPlN2at6native12_GLOBAL__N_18offset_tEEE10hipError_tPvRmT1_PNSt15iterator_traitsIS13_E10value_typeET2_T3_PNS14_IS19_E10value_typeET4_jRbjT5_S1F_jjP12ihipStream_tbEUljE_ZNSN_ISO_Lb1ESR_SS_SU_SV_SZ_EES10_S11_S12_S13_S17_S18_S19_S1C_S1D_jS1E_jS1F_S1F_jjS1H_bEUljE0_EEES10_S11_S12_S19_S1D_S1F_T6_T7_T9_mT8_S1H_bDpT10_ENKUlT_T0_E_clISt17integral_constantIbLb0EES1V_EEDaS1Q_S1R_EUlS1Q_E_NS1_11comp_targetILNS1_3genE10ELNS1_11target_archE1200ELNS1_3gpuE4ELNS1_3repE0EEENS1_30default_config_static_selectorELNS0_4arch9wavefront6targetE0EEEvS13_,"axG",@progbits,_ZN7rocprim17ROCPRIM_400000_NS6detail17trampoline_kernelINS0_13select_configILj256ELj13ELNS0_17block_load_methodE3ELS4_3ELS4_3ELNS0_20block_scan_algorithmE0ELj4294967295EEENS1_25partition_config_selectorILNS1_17partition_subalgoE4EjNS0_10empty_typeEbEEZZNS1_14partition_implILS8_4ELb0ES6_15HIP_vector_typeIjLj2EENS0_17counting_iteratorIjlEEPS9_SG_NS0_5tupleIJPjSI_NS0_16reverse_iteratorISI_EEEEENSH_IJSG_SG_SG_EEES9_SI_JZNS1_25segmented_radix_sort_implINS0_14default_configELb1EPK6__halfPSP_PKlPlN2at6native12_GLOBAL__N_18offset_tEEE10hipError_tPvRmT1_PNSt15iterator_traitsIS13_E10value_typeET2_T3_PNS14_IS19_E10value_typeET4_jRbjT5_S1F_jjP12ihipStream_tbEUljE_ZNSN_ISO_Lb1ESR_SS_SU_SV_SZ_EES10_S11_S12_S13_S17_S18_S19_S1C_S1D_jS1E_jS1F_S1F_jjS1H_bEUljE0_EEES10_S11_S12_S19_S1D_S1F_T6_T7_T9_mT8_S1H_bDpT10_ENKUlT_T0_E_clISt17integral_constantIbLb0EES1V_EEDaS1Q_S1R_EUlS1Q_E_NS1_11comp_targetILNS1_3genE10ELNS1_11target_archE1200ELNS1_3gpuE4ELNS1_3repE0EEENS1_30default_config_static_selectorELNS0_4arch9wavefront6targetE0EEEvS13_,comdat
.Lfunc_end1670:
	.size	_ZN7rocprim17ROCPRIM_400000_NS6detail17trampoline_kernelINS0_13select_configILj256ELj13ELNS0_17block_load_methodE3ELS4_3ELS4_3ELNS0_20block_scan_algorithmE0ELj4294967295EEENS1_25partition_config_selectorILNS1_17partition_subalgoE4EjNS0_10empty_typeEbEEZZNS1_14partition_implILS8_4ELb0ES6_15HIP_vector_typeIjLj2EENS0_17counting_iteratorIjlEEPS9_SG_NS0_5tupleIJPjSI_NS0_16reverse_iteratorISI_EEEEENSH_IJSG_SG_SG_EEES9_SI_JZNS1_25segmented_radix_sort_implINS0_14default_configELb1EPK6__halfPSP_PKlPlN2at6native12_GLOBAL__N_18offset_tEEE10hipError_tPvRmT1_PNSt15iterator_traitsIS13_E10value_typeET2_T3_PNS14_IS19_E10value_typeET4_jRbjT5_S1F_jjP12ihipStream_tbEUljE_ZNSN_ISO_Lb1ESR_SS_SU_SV_SZ_EES10_S11_S12_S13_S17_S18_S19_S1C_S1D_jS1E_jS1F_S1F_jjS1H_bEUljE0_EEES10_S11_S12_S19_S1D_S1F_T6_T7_T9_mT8_S1H_bDpT10_ENKUlT_T0_E_clISt17integral_constantIbLb0EES1V_EEDaS1Q_S1R_EUlS1Q_E_NS1_11comp_targetILNS1_3genE10ELNS1_11target_archE1200ELNS1_3gpuE4ELNS1_3repE0EEENS1_30default_config_static_selectorELNS0_4arch9wavefront6targetE0EEEvS13_, .Lfunc_end1670-_ZN7rocprim17ROCPRIM_400000_NS6detail17trampoline_kernelINS0_13select_configILj256ELj13ELNS0_17block_load_methodE3ELS4_3ELS4_3ELNS0_20block_scan_algorithmE0ELj4294967295EEENS1_25partition_config_selectorILNS1_17partition_subalgoE4EjNS0_10empty_typeEbEEZZNS1_14partition_implILS8_4ELb0ES6_15HIP_vector_typeIjLj2EENS0_17counting_iteratorIjlEEPS9_SG_NS0_5tupleIJPjSI_NS0_16reverse_iteratorISI_EEEEENSH_IJSG_SG_SG_EEES9_SI_JZNS1_25segmented_radix_sort_implINS0_14default_configELb1EPK6__halfPSP_PKlPlN2at6native12_GLOBAL__N_18offset_tEEE10hipError_tPvRmT1_PNSt15iterator_traitsIS13_E10value_typeET2_T3_PNS14_IS19_E10value_typeET4_jRbjT5_S1F_jjP12ihipStream_tbEUljE_ZNSN_ISO_Lb1ESR_SS_SU_SV_SZ_EES10_S11_S12_S13_S17_S18_S19_S1C_S1D_jS1E_jS1F_S1F_jjS1H_bEUljE0_EEES10_S11_S12_S19_S1D_S1F_T6_T7_T9_mT8_S1H_bDpT10_ENKUlT_T0_E_clISt17integral_constantIbLb0EES1V_EEDaS1Q_S1R_EUlS1Q_E_NS1_11comp_targetILNS1_3genE10ELNS1_11target_archE1200ELNS1_3gpuE4ELNS1_3repE0EEENS1_30default_config_static_selectorELNS0_4arch9wavefront6targetE0EEEvS13_
                                        ; -- End function
	.set _ZN7rocprim17ROCPRIM_400000_NS6detail17trampoline_kernelINS0_13select_configILj256ELj13ELNS0_17block_load_methodE3ELS4_3ELS4_3ELNS0_20block_scan_algorithmE0ELj4294967295EEENS1_25partition_config_selectorILNS1_17partition_subalgoE4EjNS0_10empty_typeEbEEZZNS1_14partition_implILS8_4ELb0ES6_15HIP_vector_typeIjLj2EENS0_17counting_iteratorIjlEEPS9_SG_NS0_5tupleIJPjSI_NS0_16reverse_iteratorISI_EEEEENSH_IJSG_SG_SG_EEES9_SI_JZNS1_25segmented_radix_sort_implINS0_14default_configELb1EPK6__halfPSP_PKlPlN2at6native12_GLOBAL__N_18offset_tEEE10hipError_tPvRmT1_PNSt15iterator_traitsIS13_E10value_typeET2_T3_PNS14_IS19_E10value_typeET4_jRbjT5_S1F_jjP12ihipStream_tbEUljE_ZNSN_ISO_Lb1ESR_SS_SU_SV_SZ_EES10_S11_S12_S13_S17_S18_S19_S1C_S1D_jS1E_jS1F_S1F_jjS1H_bEUljE0_EEES10_S11_S12_S19_S1D_S1F_T6_T7_T9_mT8_S1H_bDpT10_ENKUlT_T0_E_clISt17integral_constantIbLb0EES1V_EEDaS1Q_S1R_EUlS1Q_E_NS1_11comp_targetILNS1_3genE10ELNS1_11target_archE1200ELNS1_3gpuE4ELNS1_3repE0EEENS1_30default_config_static_selectorELNS0_4arch9wavefront6targetE0EEEvS13_.num_vgpr, 0
	.set _ZN7rocprim17ROCPRIM_400000_NS6detail17trampoline_kernelINS0_13select_configILj256ELj13ELNS0_17block_load_methodE3ELS4_3ELS4_3ELNS0_20block_scan_algorithmE0ELj4294967295EEENS1_25partition_config_selectorILNS1_17partition_subalgoE4EjNS0_10empty_typeEbEEZZNS1_14partition_implILS8_4ELb0ES6_15HIP_vector_typeIjLj2EENS0_17counting_iteratorIjlEEPS9_SG_NS0_5tupleIJPjSI_NS0_16reverse_iteratorISI_EEEEENSH_IJSG_SG_SG_EEES9_SI_JZNS1_25segmented_radix_sort_implINS0_14default_configELb1EPK6__halfPSP_PKlPlN2at6native12_GLOBAL__N_18offset_tEEE10hipError_tPvRmT1_PNSt15iterator_traitsIS13_E10value_typeET2_T3_PNS14_IS19_E10value_typeET4_jRbjT5_S1F_jjP12ihipStream_tbEUljE_ZNSN_ISO_Lb1ESR_SS_SU_SV_SZ_EES10_S11_S12_S13_S17_S18_S19_S1C_S1D_jS1E_jS1F_S1F_jjS1H_bEUljE0_EEES10_S11_S12_S19_S1D_S1F_T6_T7_T9_mT8_S1H_bDpT10_ENKUlT_T0_E_clISt17integral_constantIbLb0EES1V_EEDaS1Q_S1R_EUlS1Q_E_NS1_11comp_targetILNS1_3genE10ELNS1_11target_archE1200ELNS1_3gpuE4ELNS1_3repE0EEENS1_30default_config_static_selectorELNS0_4arch9wavefront6targetE0EEEvS13_.num_agpr, 0
	.set _ZN7rocprim17ROCPRIM_400000_NS6detail17trampoline_kernelINS0_13select_configILj256ELj13ELNS0_17block_load_methodE3ELS4_3ELS4_3ELNS0_20block_scan_algorithmE0ELj4294967295EEENS1_25partition_config_selectorILNS1_17partition_subalgoE4EjNS0_10empty_typeEbEEZZNS1_14partition_implILS8_4ELb0ES6_15HIP_vector_typeIjLj2EENS0_17counting_iteratorIjlEEPS9_SG_NS0_5tupleIJPjSI_NS0_16reverse_iteratorISI_EEEEENSH_IJSG_SG_SG_EEES9_SI_JZNS1_25segmented_radix_sort_implINS0_14default_configELb1EPK6__halfPSP_PKlPlN2at6native12_GLOBAL__N_18offset_tEEE10hipError_tPvRmT1_PNSt15iterator_traitsIS13_E10value_typeET2_T3_PNS14_IS19_E10value_typeET4_jRbjT5_S1F_jjP12ihipStream_tbEUljE_ZNSN_ISO_Lb1ESR_SS_SU_SV_SZ_EES10_S11_S12_S13_S17_S18_S19_S1C_S1D_jS1E_jS1F_S1F_jjS1H_bEUljE0_EEES10_S11_S12_S19_S1D_S1F_T6_T7_T9_mT8_S1H_bDpT10_ENKUlT_T0_E_clISt17integral_constantIbLb0EES1V_EEDaS1Q_S1R_EUlS1Q_E_NS1_11comp_targetILNS1_3genE10ELNS1_11target_archE1200ELNS1_3gpuE4ELNS1_3repE0EEENS1_30default_config_static_selectorELNS0_4arch9wavefront6targetE0EEEvS13_.numbered_sgpr, 0
	.set _ZN7rocprim17ROCPRIM_400000_NS6detail17trampoline_kernelINS0_13select_configILj256ELj13ELNS0_17block_load_methodE3ELS4_3ELS4_3ELNS0_20block_scan_algorithmE0ELj4294967295EEENS1_25partition_config_selectorILNS1_17partition_subalgoE4EjNS0_10empty_typeEbEEZZNS1_14partition_implILS8_4ELb0ES6_15HIP_vector_typeIjLj2EENS0_17counting_iteratorIjlEEPS9_SG_NS0_5tupleIJPjSI_NS0_16reverse_iteratorISI_EEEEENSH_IJSG_SG_SG_EEES9_SI_JZNS1_25segmented_radix_sort_implINS0_14default_configELb1EPK6__halfPSP_PKlPlN2at6native12_GLOBAL__N_18offset_tEEE10hipError_tPvRmT1_PNSt15iterator_traitsIS13_E10value_typeET2_T3_PNS14_IS19_E10value_typeET4_jRbjT5_S1F_jjP12ihipStream_tbEUljE_ZNSN_ISO_Lb1ESR_SS_SU_SV_SZ_EES10_S11_S12_S13_S17_S18_S19_S1C_S1D_jS1E_jS1F_S1F_jjS1H_bEUljE0_EEES10_S11_S12_S19_S1D_S1F_T6_T7_T9_mT8_S1H_bDpT10_ENKUlT_T0_E_clISt17integral_constantIbLb0EES1V_EEDaS1Q_S1R_EUlS1Q_E_NS1_11comp_targetILNS1_3genE10ELNS1_11target_archE1200ELNS1_3gpuE4ELNS1_3repE0EEENS1_30default_config_static_selectorELNS0_4arch9wavefront6targetE0EEEvS13_.num_named_barrier, 0
	.set _ZN7rocprim17ROCPRIM_400000_NS6detail17trampoline_kernelINS0_13select_configILj256ELj13ELNS0_17block_load_methodE3ELS4_3ELS4_3ELNS0_20block_scan_algorithmE0ELj4294967295EEENS1_25partition_config_selectorILNS1_17partition_subalgoE4EjNS0_10empty_typeEbEEZZNS1_14partition_implILS8_4ELb0ES6_15HIP_vector_typeIjLj2EENS0_17counting_iteratorIjlEEPS9_SG_NS0_5tupleIJPjSI_NS0_16reverse_iteratorISI_EEEEENSH_IJSG_SG_SG_EEES9_SI_JZNS1_25segmented_radix_sort_implINS0_14default_configELb1EPK6__halfPSP_PKlPlN2at6native12_GLOBAL__N_18offset_tEEE10hipError_tPvRmT1_PNSt15iterator_traitsIS13_E10value_typeET2_T3_PNS14_IS19_E10value_typeET4_jRbjT5_S1F_jjP12ihipStream_tbEUljE_ZNSN_ISO_Lb1ESR_SS_SU_SV_SZ_EES10_S11_S12_S13_S17_S18_S19_S1C_S1D_jS1E_jS1F_S1F_jjS1H_bEUljE0_EEES10_S11_S12_S19_S1D_S1F_T6_T7_T9_mT8_S1H_bDpT10_ENKUlT_T0_E_clISt17integral_constantIbLb0EES1V_EEDaS1Q_S1R_EUlS1Q_E_NS1_11comp_targetILNS1_3genE10ELNS1_11target_archE1200ELNS1_3gpuE4ELNS1_3repE0EEENS1_30default_config_static_selectorELNS0_4arch9wavefront6targetE0EEEvS13_.private_seg_size, 0
	.set _ZN7rocprim17ROCPRIM_400000_NS6detail17trampoline_kernelINS0_13select_configILj256ELj13ELNS0_17block_load_methodE3ELS4_3ELS4_3ELNS0_20block_scan_algorithmE0ELj4294967295EEENS1_25partition_config_selectorILNS1_17partition_subalgoE4EjNS0_10empty_typeEbEEZZNS1_14partition_implILS8_4ELb0ES6_15HIP_vector_typeIjLj2EENS0_17counting_iteratorIjlEEPS9_SG_NS0_5tupleIJPjSI_NS0_16reverse_iteratorISI_EEEEENSH_IJSG_SG_SG_EEES9_SI_JZNS1_25segmented_radix_sort_implINS0_14default_configELb1EPK6__halfPSP_PKlPlN2at6native12_GLOBAL__N_18offset_tEEE10hipError_tPvRmT1_PNSt15iterator_traitsIS13_E10value_typeET2_T3_PNS14_IS19_E10value_typeET4_jRbjT5_S1F_jjP12ihipStream_tbEUljE_ZNSN_ISO_Lb1ESR_SS_SU_SV_SZ_EES10_S11_S12_S13_S17_S18_S19_S1C_S1D_jS1E_jS1F_S1F_jjS1H_bEUljE0_EEES10_S11_S12_S19_S1D_S1F_T6_T7_T9_mT8_S1H_bDpT10_ENKUlT_T0_E_clISt17integral_constantIbLb0EES1V_EEDaS1Q_S1R_EUlS1Q_E_NS1_11comp_targetILNS1_3genE10ELNS1_11target_archE1200ELNS1_3gpuE4ELNS1_3repE0EEENS1_30default_config_static_selectorELNS0_4arch9wavefront6targetE0EEEvS13_.uses_vcc, 0
	.set _ZN7rocprim17ROCPRIM_400000_NS6detail17trampoline_kernelINS0_13select_configILj256ELj13ELNS0_17block_load_methodE3ELS4_3ELS4_3ELNS0_20block_scan_algorithmE0ELj4294967295EEENS1_25partition_config_selectorILNS1_17partition_subalgoE4EjNS0_10empty_typeEbEEZZNS1_14partition_implILS8_4ELb0ES6_15HIP_vector_typeIjLj2EENS0_17counting_iteratorIjlEEPS9_SG_NS0_5tupleIJPjSI_NS0_16reverse_iteratorISI_EEEEENSH_IJSG_SG_SG_EEES9_SI_JZNS1_25segmented_radix_sort_implINS0_14default_configELb1EPK6__halfPSP_PKlPlN2at6native12_GLOBAL__N_18offset_tEEE10hipError_tPvRmT1_PNSt15iterator_traitsIS13_E10value_typeET2_T3_PNS14_IS19_E10value_typeET4_jRbjT5_S1F_jjP12ihipStream_tbEUljE_ZNSN_ISO_Lb1ESR_SS_SU_SV_SZ_EES10_S11_S12_S13_S17_S18_S19_S1C_S1D_jS1E_jS1F_S1F_jjS1H_bEUljE0_EEES10_S11_S12_S19_S1D_S1F_T6_T7_T9_mT8_S1H_bDpT10_ENKUlT_T0_E_clISt17integral_constantIbLb0EES1V_EEDaS1Q_S1R_EUlS1Q_E_NS1_11comp_targetILNS1_3genE10ELNS1_11target_archE1200ELNS1_3gpuE4ELNS1_3repE0EEENS1_30default_config_static_selectorELNS0_4arch9wavefront6targetE0EEEvS13_.uses_flat_scratch, 0
	.set _ZN7rocprim17ROCPRIM_400000_NS6detail17trampoline_kernelINS0_13select_configILj256ELj13ELNS0_17block_load_methodE3ELS4_3ELS4_3ELNS0_20block_scan_algorithmE0ELj4294967295EEENS1_25partition_config_selectorILNS1_17partition_subalgoE4EjNS0_10empty_typeEbEEZZNS1_14partition_implILS8_4ELb0ES6_15HIP_vector_typeIjLj2EENS0_17counting_iteratorIjlEEPS9_SG_NS0_5tupleIJPjSI_NS0_16reverse_iteratorISI_EEEEENSH_IJSG_SG_SG_EEES9_SI_JZNS1_25segmented_radix_sort_implINS0_14default_configELb1EPK6__halfPSP_PKlPlN2at6native12_GLOBAL__N_18offset_tEEE10hipError_tPvRmT1_PNSt15iterator_traitsIS13_E10value_typeET2_T3_PNS14_IS19_E10value_typeET4_jRbjT5_S1F_jjP12ihipStream_tbEUljE_ZNSN_ISO_Lb1ESR_SS_SU_SV_SZ_EES10_S11_S12_S13_S17_S18_S19_S1C_S1D_jS1E_jS1F_S1F_jjS1H_bEUljE0_EEES10_S11_S12_S19_S1D_S1F_T6_T7_T9_mT8_S1H_bDpT10_ENKUlT_T0_E_clISt17integral_constantIbLb0EES1V_EEDaS1Q_S1R_EUlS1Q_E_NS1_11comp_targetILNS1_3genE10ELNS1_11target_archE1200ELNS1_3gpuE4ELNS1_3repE0EEENS1_30default_config_static_selectorELNS0_4arch9wavefront6targetE0EEEvS13_.has_dyn_sized_stack, 0
	.set _ZN7rocprim17ROCPRIM_400000_NS6detail17trampoline_kernelINS0_13select_configILj256ELj13ELNS0_17block_load_methodE3ELS4_3ELS4_3ELNS0_20block_scan_algorithmE0ELj4294967295EEENS1_25partition_config_selectorILNS1_17partition_subalgoE4EjNS0_10empty_typeEbEEZZNS1_14partition_implILS8_4ELb0ES6_15HIP_vector_typeIjLj2EENS0_17counting_iteratorIjlEEPS9_SG_NS0_5tupleIJPjSI_NS0_16reverse_iteratorISI_EEEEENSH_IJSG_SG_SG_EEES9_SI_JZNS1_25segmented_radix_sort_implINS0_14default_configELb1EPK6__halfPSP_PKlPlN2at6native12_GLOBAL__N_18offset_tEEE10hipError_tPvRmT1_PNSt15iterator_traitsIS13_E10value_typeET2_T3_PNS14_IS19_E10value_typeET4_jRbjT5_S1F_jjP12ihipStream_tbEUljE_ZNSN_ISO_Lb1ESR_SS_SU_SV_SZ_EES10_S11_S12_S13_S17_S18_S19_S1C_S1D_jS1E_jS1F_S1F_jjS1H_bEUljE0_EEES10_S11_S12_S19_S1D_S1F_T6_T7_T9_mT8_S1H_bDpT10_ENKUlT_T0_E_clISt17integral_constantIbLb0EES1V_EEDaS1Q_S1R_EUlS1Q_E_NS1_11comp_targetILNS1_3genE10ELNS1_11target_archE1200ELNS1_3gpuE4ELNS1_3repE0EEENS1_30default_config_static_selectorELNS0_4arch9wavefront6targetE0EEEvS13_.has_recursion, 0
	.set _ZN7rocprim17ROCPRIM_400000_NS6detail17trampoline_kernelINS0_13select_configILj256ELj13ELNS0_17block_load_methodE3ELS4_3ELS4_3ELNS0_20block_scan_algorithmE0ELj4294967295EEENS1_25partition_config_selectorILNS1_17partition_subalgoE4EjNS0_10empty_typeEbEEZZNS1_14partition_implILS8_4ELb0ES6_15HIP_vector_typeIjLj2EENS0_17counting_iteratorIjlEEPS9_SG_NS0_5tupleIJPjSI_NS0_16reverse_iteratorISI_EEEEENSH_IJSG_SG_SG_EEES9_SI_JZNS1_25segmented_radix_sort_implINS0_14default_configELb1EPK6__halfPSP_PKlPlN2at6native12_GLOBAL__N_18offset_tEEE10hipError_tPvRmT1_PNSt15iterator_traitsIS13_E10value_typeET2_T3_PNS14_IS19_E10value_typeET4_jRbjT5_S1F_jjP12ihipStream_tbEUljE_ZNSN_ISO_Lb1ESR_SS_SU_SV_SZ_EES10_S11_S12_S13_S17_S18_S19_S1C_S1D_jS1E_jS1F_S1F_jjS1H_bEUljE0_EEES10_S11_S12_S19_S1D_S1F_T6_T7_T9_mT8_S1H_bDpT10_ENKUlT_T0_E_clISt17integral_constantIbLb0EES1V_EEDaS1Q_S1R_EUlS1Q_E_NS1_11comp_targetILNS1_3genE10ELNS1_11target_archE1200ELNS1_3gpuE4ELNS1_3repE0EEENS1_30default_config_static_selectorELNS0_4arch9wavefront6targetE0EEEvS13_.has_indirect_call, 0
	.section	.AMDGPU.csdata,"",@progbits
; Kernel info:
; codeLenInByte = 0
; TotalNumSgprs: 0
; NumVgprs: 0
; ScratchSize: 0
; MemoryBound: 0
; FloatMode: 240
; IeeeMode: 1
; LDSByteSize: 0 bytes/workgroup (compile time only)
; SGPRBlocks: 0
; VGPRBlocks: 0
; NumSGPRsForWavesPerEU: 1
; NumVGPRsForWavesPerEU: 1
; NamedBarCnt: 0
; Occupancy: 16
; WaveLimiterHint : 0
; COMPUTE_PGM_RSRC2:SCRATCH_EN: 0
; COMPUTE_PGM_RSRC2:USER_SGPR: 2
; COMPUTE_PGM_RSRC2:TRAP_HANDLER: 0
; COMPUTE_PGM_RSRC2:TGID_X_EN: 1
; COMPUTE_PGM_RSRC2:TGID_Y_EN: 0
; COMPUTE_PGM_RSRC2:TGID_Z_EN: 0
; COMPUTE_PGM_RSRC2:TIDIG_COMP_CNT: 0
	.section	.text._ZN7rocprim17ROCPRIM_400000_NS6detail17trampoline_kernelINS0_13select_configILj256ELj13ELNS0_17block_load_methodE3ELS4_3ELS4_3ELNS0_20block_scan_algorithmE0ELj4294967295EEENS1_25partition_config_selectorILNS1_17partition_subalgoE4EjNS0_10empty_typeEbEEZZNS1_14partition_implILS8_4ELb0ES6_15HIP_vector_typeIjLj2EENS0_17counting_iteratorIjlEEPS9_SG_NS0_5tupleIJPjSI_NS0_16reverse_iteratorISI_EEEEENSH_IJSG_SG_SG_EEES9_SI_JZNS1_25segmented_radix_sort_implINS0_14default_configELb1EPK6__halfPSP_PKlPlN2at6native12_GLOBAL__N_18offset_tEEE10hipError_tPvRmT1_PNSt15iterator_traitsIS13_E10value_typeET2_T3_PNS14_IS19_E10value_typeET4_jRbjT5_S1F_jjP12ihipStream_tbEUljE_ZNSN_ISO_Lb1ESR_SS_SU_SV_SZ_EES10_S11_S12_S13_S17_S18_S19_S1C_S1D_jS1E_jS1F_S1F_jjS1H_bEUljE0_EEES10_S11_S12_S19_S1D_S1F_T6_T7_T9_mT8_S1H_bDpT10_ENKUlT_T0_E_clISt17integral_constantIbLb0EES1V_EEDaS1Q_S1R_EUlS1Q_E_NS1_11comp_targetILNS1_3genE9ELNS1_11target_archE1100ELNS1_3gpuE3ELNS1_3repE0EEENS1_30default_config_static_selectorELNS0_4arch9wavefront6targetE0EEEvS13_,"axG",@progbits,_ZN7rocprim17ROCPRIM_400000_NS6detail17trampoline_kernelINS0_13select_configILj256ELj13ELNS0_17block_load_methodE3ELS4_3ELS4_3ELNS0_20block_scan_algorithmE0ELj4294967295EEENS1_25partition_config_selectorILNS1_17partition_subalgoE4EjNS0_10empty_typeEbEEZZNS1_14partition_implILS8_4ELb0ES6_15HIP_vector_typeIjLj2EENS0_17counting_iteratorIjlEEPS9_SG_NS0_5tupleIJPjSI_NS0_16reverse_iteratorISI_EEEEENSH_IJSG_SG_SG_EEES9_SI_JZNS1_25segmented_radix_sort_implINS0_14default_configELb1EPK6__halfPSP_PKlPlN2at6native12_GLOBAL__N_18offset_tEEE10hipError_tPvRmT1_PNSt15iterator_traitsIS13_E10value_typeET2_T3_PNS14_IS19_E10value_typeET4_jRbjT5_S1F_jjP12ihipStream_tbEUljE_ZNSN_ISO_Lb1ESR_SS_SU_SV_SZ_EES10_S11_S12_S13_S17_S18_S19_S1C_S1D_jS1E_jS1F_S1F_jjS1H_bEUljE0_EEES10_S11_S12_S19_S1D_S1F_T6_T7_T9_mT8_S1H_bDpT10_ENKUlT_T0_E_clISt17integral_constantIbLb0EES1V_EEDaS1Q_S1R_EUlS1Q_E_NS1_11comp_targetILNS1_3genE9ELNS1_11target_archE1100ELNS1_3gpuE3ELNS1_3repE0EEENS1_30default_config_static_selectorELNS0_4arch9wavefront6targetE0EEEvS13_,comdat
	.globl	_ZN7rocprim17ROCPRIM_400000_NS6detail17trampoline_kernelINS0_13select_configILj256ELj13ELNS0_17block_load_methodE3ELS4_3ELS4_3ELNS0_20block_scan_algorithmE0ELj4294967295EEENS1_25partition_config_selectorILNS1_17partition_subalgoE4EjNS0_10empty_typeEbEEZZNS1_14partition_implILS8_4ELb0ES6_15HIP_vector_typeIjLj2EENS0_17counting_iteratorIjlEEPS9_SG_NS0_5tupleIJPjSI_NS0_16reverse_iteratorISI_EEEEENSH_IJSG_SG_SG_EEES9_SI_JZNS1_25segmented_radix_sort_implINS0_14default_configELb1EPK6__halfPSP_PKlPlN2at6native12_GLOBAL__N_18offset_tEEE10hipError_tPvRmT1_PNSt15iterator_traitsIS13_E10value_typeET2_T3_PNS14_IS19_E10value_typeET4_jRbjT5_S1F_jjP12ihipStream_tbEUljE_ZNSN_ISO_Lb1ESR_SS_SU_SV_SZ_EES10_S11_S12_S13_S17_S18_S19_S1C_S1D_jS1E_jS1F_S1F_jjS1H_bEUljE0_EEES10_S11_S12_S19_S1D_S1F_T6_T7_T9_mT8_S1H_bDpT10_ENKUlT_T0_E_clISt17integral_constantIbLb0EES1V_EEDaS1Q_S1R_EUlS1Q_E_NS1_11comp_targetILNS1_3genE9ELNS1_11target_archE1100ELNS1_3gpuE3ELNS1_3repE0EEENS1_30default_config_static_selectorELNS0_4arch9wavefront6targetE0EEEvS13_ ; -- Begin function _ZN7rocprim17ROCPRIM_400000_NS6detail17trampoline_kernelINS0_13select_configILj256ELj13ELNS0_17block_load_methodE3ELS4_3ELS4_3ELNS0_20block_scan_algorithmE0ELj4294967295EEENS1_25partition_config_selectorILNS1_17partition_subalgoE4EjNS0_10empty_typeEbEEZZNS1_14partition_implILS8_4ELb0ES6_15HIP_vector_typeIjLj2EENS0_17counting_iteratorIjlEEPS9_SG_NS0_5tupleIJPjSI_NS0_16reverse_iteratorISI_EEEEENSH_IJSG_SG_SG_EEES9_SI_JZNS1_25segmented_radix_sort_implINS0_14default_configELb1EPK6__halfPSP_PKlPlN2at6native12_GLOBAL__N_18offset_tEEE10hipError_tPvRmT1_PNSt15iterator_traitsIS13_E10value_typeET2_T3_PNS14_IS19_E10value_typeET4_jRbjT5_S1F_jjP12ihipStream_tbEUljE_ZNSN_ISO_Lb1ESR_SS_SU_SV_SZ_EES10_S11_S12_S13_S17_S18_S19_S1C_S1D_jS1E_jS1F_S1F_jjS1H_bEUljE0_EEES10_S11_S12_S19_S1D_S1F_T6_T7_T9_mT8_S1H_bDpT10_ENKUlT_T0_E_clISt17integral_constantIbLb0EES1V_EEDaS1Q_S1R_EUlS1Q_E_NS1_11comp_targetILNS1_3genE9ELNS1_11target_archE1100ELNS1_3gpuE3ELNS1_3repE0EEENS1_30default_config_static_selectorELNS0_4arch9wavefront6targetE0EEEvS13_
	.p2align	8
	.type	_ZN7rocprim17ROCPRIM_400000_NS6detail17trampoline_kernelINS0_13select_configILj256ELj13ELNS0_17block_load_methodE3ELS4_3ELS4_3ELNS0_20block_scan_algorithmE0ELj4294967295EEENS1_25partition_config_selectorILNS1_17partition_subalgoE4EjNS0_10empty_typeEbEEZZNS1_14partition_implILS8_4ELb0ES6_15HIP_vector_typeIjLj2EENS0_17counting_iteratorIjlEEPS9_SG_NS0_5tupleIJPjSI_NS0_16reverse_iteratorISI_EEEEENSH_IJSG_SG_SG_EEES9_SI_JZNS1_25segmented_radix_sort_implINS0_14default_configELb1EPK6__halfPSP_PKlPlN2at6native12_GLOBAL__N_18offset_tEEE10hipError_tPvRmT1_PNSt15iterator_traitsIS13_E10value_typeET2_T3_PNS14_IS19_E10value_typeET4_jRbjT5_S1F_jjP12ihipStream_tbEUljE_ZNSN_ISO_Lb1ESR_SS_SU_SV_SZ_EES10_S11_S12_S13_S17_S18_S19_S1C_S1D_jS1E_jS1F_S1F_jjS1H_bEUljE0_EEES10_S11_S12_S19_S1D_S1F_T6_T7_T9_mT8_S1H_bDpT10_ENKUlT_T0_E_clISt17integral_constantIbLb0EES1V_EEDaS1Q_S1R_EUlS1Q_E_NS1_11comp_targetILNS1_3genE9ELNS1_11target_archE1100ELNS1_3gpuE3ELNS1_3repE0EEENS1_30default_config_static_selectorELNS0_4arch9wavefront6targetE0EEEvS13_,@function
_ZN7rocprim17ROCPRIM_400000_NS6detail17trampoline_kernelINS0_13select_configILj256ELj13ELNS0_17block_load_methodE3ELS4_3ELS4_3ELNS0_20block_scan_algorithmE0ELj4294967295EEENS1_25partition_config_selectorILNS1_17partition_subalgoE4EjNS0_10empty_typeEbEEZZNS1_14partition_implILS8_4ELb0ES6_15HIP_vector_typeIjLj2EENS0_17counting_iteratorIjlEEPS9_SG_NS0_5tupleIJPjSI_NS0_16reverse_iteratorISI_EEEEENSH_IJSG_SG_SG_EEES9_SI_JZNS1_25segmented_radix_sort_implINS0_14default_configELb1EPK6__halfPSP_PKlPlN2at6native12_GLOBAL__N_18offset_tEEE10hipError_tPvRmT1_PNSt15iterator_traitsIS13_E10value_typeET2_T3_PNS14_IS19_E10value_typeET4_jRbjT5_S1F_jjP12ihipStream_tbEUljE_ZNSN_ISO_Lb1ESR_SS_SU_SV_SZ_EES10_S11_S12_S13_S17_S18_S19_S1C_S1D_jS1E_jS1F_S1F_jjS1H_bEUljE0_EEES10_S11_S12_S19_S1D_S1F_T6_T7_T9_mT8_S1H_bDpT10_ENKUlT_T0_E_clISt17integral_constantIbLb0EES1V_EEDaS1Q_S1R_EUlS1Q_E_NS1_11comp_targetILNS1_3genE9ELNS1_11target_archE1100ELNS1_3gpuE3ELNS1_3repE0EEENS1_30default_config_static_selectorELNS0_4arch9wavefront6targetE0EEEvS13_: ; @_ZN7rocprim17ROCPRIM_400000_NS6detail17trampoline_kernelINS0_13select_configILj256ELj13ELNS0_17block_load_methodE3ELS4_3ELS4_3ELNS0_20block_scan_algorithmE0ELj4294967295EEENS1_25partition_config_selectorILNS1_17partition_subalgoE4EjNS0_10empty_typeEbEEZZNS1_14partition_implILS8_4ELb0ES6_15HIP_vector_typeIjLj2EENS0_17counting_iteratorIjlEEPS9_SG_NS0_5tupleIJPjSI_NS0_16reverse_iteratorISI_EEEEENSH_IJSG_SG_SG_EEES9_SI_JZNS1_25segmented_radix_sort_implINS0_14default_configELb1EPK6__halfPSP_PKlPlN2at6native12_GLOBAL__N_18offset_tEEE10hipError_tPvRmT1_PNSt15iterator_traitsIS13_E10value_typeET2_T3_PNS14_IS19_E10value_typeET4_jRbjT5_S1F_jjP12ihipStream_tbEUljE_ZNSN_ISO_Lb1ESR_SS_SU_SV_SZ_EES10_S11_S12_S13_S17_S18_S19_S1C_S1D_jS1E_jS1F_S1F_jjS1H_bEUljE0_EEES10_S11_S12_S19_S1D_S1F_T6_T7_T9_mT8_S1H_bDpT10_ENKUlT_T0_E_clISt17integral_constantIbLb0EES1V_EEDaS1Q_S1R_EUlS1Q_E_NS1_11comp_targetILNS1_3genE9ELNS1_11target_archE1100ELNS1_3gpuE3ELNS1_3repE0EEENS1_30default_config_static_selectorELNS0_4arch9wavefront6targetE0EEEvS13_
; %bb.0:
	.section	.rodata,"a",@progbits
	.p2align	6, 0x0
	.amdhsa_kernel _ZN7rocprim17ROCPRIM_400000_NS6detail17trampoline_kernelINS0_13select_configILj256ELj13ELNS0_17block_load_methodE3ELS4_3ELS4_3ELNS0_20block_scan_algorithmE0ELj4294967295EEENS1_25partition_config_selectorILNS1_17partition_subalgoE4EjNS0_10empty_typeEbEEZZNS1_14partition_implILS8_4ELb0ES6_15HIP_vector_typeIjLj2EENS0_17counting_iteratorIjlEEPS9_SG_NS0_5tupleIJPjSI_NS0_16reverse_iteratorISI_EEEEENSH_IJSG_SG_SG_EEES9_SI_JZNS1_25segmented_radix_sort_implINS0_14default_configELb1EPK6__halfPSP_PKlPlN2at6native12_GLOBAL__N_18offset_tEEE10hipError_tPvRmT1_PNSt15iterator_traitsIS13_E10value_typeET2_T3_PNS14_IS19_E10value_typeET4_jRbjT5_S1F_jjP12ihipStream_tbEUljE_ZNSN_ISO_Lb1ESR_SS_SU_SV_SZ_EES10_S11_S12_S13_S17_S18_S19_S1C_S1D_jS1E_jS1F_S1F_jjS1H_bEUljE0_EEES10_S11_S12_S19_S1D_S1F_T6_T7_T9_mT8_S1H_bDpT10_ENKUlT_T0_E_clISt17integral_constantIbLb0EES1V_EEDaS1Q_S1R_EUlS1Q_E_NS1_11comp_targetILNS1_3genE9ELNS1_11target_archE1100ELNS1_3gpuE3ELNS1_3repE0EEENS1_30default_config_static_selectorELNS0_4arch9wavefront6targetE0EEEvS13_
		.amdhsa_group_segment_fixed_size 0
		.amdhsa_private_segment_fixed_size 0
		.amdhsa_kernarg_size 176
		.amdhsa_user_sgpr_count 2
		.amdhsa_user_sgpr_dispatch_ptr 0
		.amdhsa_user_sgpr_queue_ptr 0
		.amdhsa_user_sgpr_kernarg_segment_ptr 1
		.amdhsa_user_sgpr_dispatch_id 0
		.amdhsa_user_sgpr_kernarg_preload_length 0
		.amdhsa_user_sgpr_kernarg_preload_offset 0
		.amdhsa_user_sgpr_private_segment_size 0
		.amdhsa_wavefront_size32 1
		.amdhsa_uses_dynamic_stack 0
		.amdhsa_enable_private_segment 0
		.amdhsa_system_sgpr_workgroup_id_x 1
		.amdhsa_system_sgpr_workgroup_id_y 0
		.amdhsa_system_sgpr_workgroup_id_z 0
		.amdhsa_system_sgpr_workgroup_info 0
		.amdhsa_system_vgpr_workitem_id 0
		.amdhsa_next_free_vgpr 1
		.amdhsa_next_free_sgpr 1
		.amdhsa_named_barrier_count 0
		.amdhsa_reserve_vcc 0
		.amdhsa_float_round_mode_32 0
		.amdhsa_float_round_mode_16_64 0
		.amdhsa_float_denorm_mode_32 3
		.amdhsa_float_denorm_mode_16_64 3
		.amdhsa_fp16_overflow 0
		.amdhsa_memory_ordered 1
		.amdhsa_forward_progress 1
		.amdhsa_inst_pref_size 0
		.amdhsa_round_robin_scheduling 0
		.amdhsa_exception_fp_ieee_invalid_op 0
		.amdhsa_exception_fp_denorm_src 0
		.amdhsa_exception_fp_ieee_div_zero 0
		.amdhsa_exception_fp_ieee_overflow 0
		.amdhsa_exception_fp_ieee_underflow 0
		.amdhsa_exception_fp_ieee_inexact 0
		.amdhsa_exception_int_div_zero 0
	.end_amdhsa_kernel
	.section	.text._ZN7rocprim17ROCPRIM_400000_NS6detail17trampoline_kernelINS0_13select_configILj256ELj13ELNS0_17block_load_methodE3ELS4_3ELS4_3ELNS0_20block_scan_algorithmE0ELj4294967295EEENS1_25partition_config_selectorILNS1_17partition_subalgoE4EjNS0_10empty_typeEbEEZZNS1_14partition_implILS8_4ELb0ES6_15HIP_vector_typeIjLj2EENS0_17counting_iteratorIjlEEPS9_SG_NS0_5tupleIJPjSI_NS0_16reverse_iteratorISI_EEEEENSH_IJSG_SG_SG_EEES9_SI_JZNS1_25segmented_radix_sort_implINS0_14default_configELb1EPK6__halfPSP_PKlPlN2at6native12_GLOBAL__N_18offset_tEEE10hipError_tPvRmT1_PNSt15iterator_traitsIS13_E10value_typeET2_T3_PNS14_IS19_E10value_typeET4_jRbjT5_S1F_jjP12ihipStream_tbEUljE_ZNSN_ISO_Lb1ESR_SS_SU_SV_SZ_EES10_S11_S12_S13_S17_S18_S19_S1C_S1D_jS1E_jS1F_S1F_jjS1H_bEUljE0_EEES10_S11_S12_S19_S1D_S1F_T6_T7_T9_mT8_S1H_bDpT10_ENKUlT_T0_E_clISt17integral_constantIbLb0EES1V_EEDaS1Q_S1R_EUlS1Q_E_NS1_11comp_targetILNS1_3genE9ELNS1_11target_archE1100ELNS1_3gpuE3ELNS1_3repE0EEENS1_30default_config_static_selectorELNS0_4arch9wavefront6targetE0EEEvS13_,"axG",@progbits,_ZN7rocprim17ROCPRIM_400000_NS6detail17trampoline_kernelINS0_13select_configILj256ELj13ELNS0_17block_load_methodE3ELS4_3ELS4_3ELNS0_20block_scan_algorithmE0ELj4294967295EEENS1_25partition_config_selectorILNS1_17partition_subalgoE4EjNS0_10empty_typeEbEEZZNS1_14partition_implILS8_4ELb0ES6_15HIP_vector_typeIjLj2EENS0_17counting_iteratorIjlEEPS9_SG_NS0_5tupleIJPjSI_NS0_16reverse_iteratorISI_EEEEENSH_IJSG_SG_SG_EEES9_SI_JZNS1_25segmented_radix_sort_implINS0_14default_configELb1EPK6__halfPSP_PKlPlN2at6native12_GLOBAL__N_18offset_tEEE10hipError_tPvRmT1_PNSt15iterator_traitsIS13_E10value_typeET2_T3_PNS14_IS19_E10value_typeET4_jRbjT5_S1F_jjP12ihipStream_tbEUljE_ZNSN_ISO_Lb1ESR_SS_SU_SV_SZ_EES10_S11_S12_S13_S17_S18_S19_S1C_S1D_jS1E_jS1F_S1F_jjS1H_bEUljE0_EEES10_S11_S12_S19_S1D_S1F_T6_T7_T9_mT8_S1H_bDpT10_ENKUlT_T0_E_clISt17integral_constantIbLb0EES1V_EEDaS1Q_S1R_EUlS1Q_E_NS1_11comp_targetILNS1_3genE9ELNS1_11target_archE1100ELNS1_3gpuE3ELNS1_3repE0EEENS1_30default_config_static_selectorELNS0_4arch9wavefront6targetE0EEEvS13_,comdat
.Lfunc_end1671:
	.size	_ZN7rocprim17ROCPRIM_400000_NS6detail17trampoline_kernelINS0_13select_configILj256ELj13ELNS0_17block_load_methodE3ELS4_3ELS4_3ELNS0_20block_scan_algorithmE0ELj4294967295EEENS1_25partition_config_selectorILNS1_17partition_subalgoE4EjNS0_10empty_typeEbEEZZNS1_14partition_implILS8_4ELb0ES6_15HIP_vector_typeIjLj2EENS0_17counting_iteratorIjlEEPS9_SG_NS0_5tupleIJPjSI_NS0_16reverse_iteratorISI_EEEEENSH_IJSG_SG_SG_EEES9_SI_JZNS1_25segmented_radix_sort_implINS0_14default_configELb1EPK6__halfPSP_PKlPlN2at6native12_GLOBAL__N_18offset_tEEE10hipError_tPvRmT1_PNSt15iterator_traitsIS13_E10value_typeET2_T3_PNS14_IS19_E10value_typeET4_jRbjT5_S1F_jjP12ihipStream_tbEUljE_ZNSN_ISO_Lb1ESR_SS_SU_SV_SZ_EES10_S11_S12_S13_S17_S18_S19_S1C_S1D_jS1E_jS1F_S1F_jjS1H_bEUljE0_EEES10_S11_S12_S19_S1D_S1F_T6_T7_T9_mT8_S1H_bDpT10_ENKUlT_T0_E_clISt17integral_constantIbLb0EES1V_EEDaS1Q_S1R_EUlS1Q_E_NS1_11comp_targetILNS1_3genE9ELNS1_11target_archE1100ELNS1_3gpuE3ELNS1_3repE0EEENS1_30default_config_static_selectorELNS0_4arch9wavefront6targetE0EEEvS13_, .Lfunc_end1671-_ZN7rocprim17ROCPRIM_400000_NS6detail17trampoline_kernelINS0_13select_configILj256ELj13ELNS0_17block_load_methodE3ELS4_3ELS4_3ELNS0_20block_scan_algorithmE0ELj4294967295EEENS1_25partition_config_selectorILNS1_17partition_subalgoE4EjNS0_10empty_typeEbEEZZNS1_14partition_implILS8_4ELb0ES6_15HIP_vector_typeIjLj2EENS0_17counting_iteratorIjlEEPS9_SG_NS0_5tupleIJPjSI_NS0_16reverse_iteratorISI_EEEEENSH_IJSG_SG_SG_EEES9_SI_JZNS1_25segmented_radix_sort_implINS0_14default_configELb1EPK6__halfPSP_PKlPlN2at6native12_GLOBAL__N_18offset_tEEE10hipError_tPvRmT1_PNSt15iterator_traitsIS13_E10value_typeET2_T3_PNS14_IS19_E10value_typeET4_jRbjT5_S1F_jjP12ihipStream_tbEUljE_ZNSN_ISO_Lb1ESR_SS_SU_SV_SZ_EES10_S11_S12_S13_S17_S18_S19_S1C_S1D_jS1E_jS1F_S1F_jjS1H_bEUljE0_EEES10_S11_S12_S19_S1D_S1F_T6_T7_T9_mT8_S1H_bDpT10_ENKUlT_T0_E_clISt17integral_constantIbLb0EES1V_EEDaS1Q_S1R_EUlS1Q_E_NS1_11comp_targetILNS1_3genE9ELNS1_11target_archE1100ELNS1_3gpuE3ELNS1_3repE0EEENS1_30default_config_static_selectorELNS0_4arch9wavefront6targetE0EEEvS13_
                                        ; -- End function
	.set _ZN7rocprim17ROCPRIM_400000_NS6detail17trampoline_kernelINS0_13select_configILj256ELj13ELNS0_17block_load_methodE3ELS4_3ELS4_3ELNS0_20block_scan_algorithmE0ELj4294967295EEENS1_25partition_config_selectorILNS1_17partition_subalgoE4EjNS0_10empty_typeEbEEZZNS1_14partition_implILS8_4ELb0ES6_15HIP_vector_typeIjLj2EENS0_17counting_iteratorIjlEEPS9_SG_NS0_5tupleIJPjSI_NS0_16reverse_iteratorISI_EEEEENSH_IJSG_SG_SG_EEES9_SI_JZNS1_25segmented_radix_sort_implINS0_14default_configELb1EPK6__halfPSP_PKlPlN2at6native12_GLOBAL__N_18offset_tEEE10hipError_tPvRmT1_PNSt15iterator_traitsIS13_E10value_typeET2_T3_PNS14_IS19_E10value_typeET4_jRbjT5_S1F_jjP12ihipStream_tbEUljE_ZNSN_ISO_Lb1ESR_SS_SU_SV_SZ_EES10_S11_S12_S13_S17_S18_S19_S1C_S1D_jS1E_jS1F_S1F_jjS1H_bEUljE0_EEES10_S11_S12_S19_S1D_S1F_T6_T7_T9_mT8_S1H_bDpT10_ENKUlT_T0_E_clISt17integral_constantIbLb0EES1V_EEDaS1Q_S1R_EUlS1Q_E_NS1_11comp_targetILNS1_3genE9ELNS1_11target_archE1100ELNS1_3gpuE3ELNS1_3repE0EEENS1_30default_config_static_selectorELNS0_4arch9wavefront6targetE0EEEvS13_.num_vgpr, 0
	.set _ZN7rocprim17ROCPRIM_400000_NS6detail17trampoline_kernelINS0_13select_configILj256ELj13ELNS0_17block_load_methodE3ELS4_3ELS4_3ELNS0_20block_scan_algorithmE0ELj4294967295EEENS1_25partition_config_selectorILNS1_17partition_subalgoE4EjNS0_10empty_typeEbEEZZNS1_14partition_implILS8_4ELb0ES6_15HIP_vector_typeIjLj2EENS0_17counting_iteratorIjlEEPS9_SG_NS0_5tupleIJPjSI_NS0_16reverse_iteratorISI_EEEEENSH_IJSG_SG_SG_EEES9_SI_JZNS1_25segmented_radix_sort_implINS0_14default_configELb1EPK6__halfPSP_PKlPlN2at6native12_GLOBAL__N_18offset_tEEE10hipError_tPvRmT1_PNSt15iterator_traitsIS13_E10value_typeET2_T3_PNS14_IS19_E10value_typeET4_jRbjT5_S1F_jjP12ihipStream_tbEUljE_ZNSN_ISO_Lb1ESR_SS_SU_SV_SZ_EES10_S11_S12_S13_S17_S18_S19_S1C_S1D_jS1E_jS1F_S1F_jjS1H_bEUljE0_EEES10_S11_S12_S19_S1D_S1F_T6_T7_T9_mT8_S1H_bDpT10_ENKUlT_T0_E_clISt17integral_constantIbLb0EES1V_EEDaS1Q_S1R_EUlS1Q_E_NS1_11comp_targetILNS1_3genE9ELNS1_11target_archE1100ELNS1_3gpuE3ELNS1_3repE0EEENS1_30default_config_static_selectorELNS0_4arch9wavefront6targetE0EEEvS13_.num_agpr, 0
	.set _ZN7rocprim17ROCPRIM_400000_NS6detail17trampoline_kernelINS0_13select_configILj256ELj13ELNS0_17block_load_methodE3ELS4_3ELS4_3ELNS0_20block_scan_algorithmE0ELj4294967295EEENS1_25partition_config_selectorILNS1_17partition_subalgoE4EjNS0_10empty_typeEbEEZZNS1_14partition_implILS8_4ELb0ES6_15HIP_vector_typeIjLj2EENS0_17counting_iteratorIjlEEPS9_SG_NS0_5tupleIJPjSI_NS0_16reverse_iteratorISI_EEEEENSH_IJSG_SG_SG_EEES9_SI_JZNS1_25segmented_radix_sort_implINS0_14default_configELb1EPK6__halfPSP_PKlPlN2at6native12_GLOBAL__N_18offset_tEEE10hipError_tPvRmT1_PNSt15iterator_traitsIS13_E10value_typeET2_T3_PNS14_IS19_E10value_typeET4_jRbjT5_S1F_jjP12ihipStream_tbEUljE_ZNSN_ISO_Lb1ESR_SS_SU_SV_SZ_EES10_S11_S12_S13_S17_S18_S19_S1C_S1D_jS1E_jS1F_S1F_jjS1H_bEUljE0_EEES10_S11_S12_S19_S1D_S1F_T6_T7_T9_mT8_S1H_bDpT10_ENKUlT_T0_E_clISt17integral_constantIbLb0EES1V_EEDaS1Q_S1R_EUlS1Q_E_NS1_11comp_targetILNS1_3genE9ELNS1_11target_archE1100ELNS1_3gpuE3ELNS1_3repE0EEENS1_30default_config_static_selectorELNS0_4arch9wavefront6targetE0EEEvS13_.numbered_sgpr, 0
	.set _ZN7rocprim17ROCPRIM_400000_NS6detail17trampoline_kernelINS0_13select_configILj256ELj13ELNS0_17block_load_methodE3ELS4_3ELS4_3ELNS0_20block_scan_algorithmE0ELj4294967295EEENS1_25partition_config_selectorILNS1_17partition_subalgoE4EjNS0_10empty_typeEbEEZZNS1_14partition_implILS8_4ELb0ES6_15HIP_vector_typeIjLj2EENS0_17counting_iteratorIjlEEPS9_SG_NS0_5tupleIJPjSI_NS0_16reverse_iteratorISI_EEEEENSH_IJSG_SG_SG_EEES9_SI_JZNS1_25segmented_radix_sort_implINS0_14default_configELb1EPK6__halfPSP_PKlPlN2at6native12_GLOBAL__N_18offset_tEEE10hipError_tPvRmT1_PNSt15iterator_traitsIS13_E10value_typeET2_T3_PNS14_IS19_E10value_typeET4_jRbjT5_S1F_jjP12ihipStream_tbEUljE_ZNSN_ISO_Lb1ESR_SS_SU_SV_SZ_EES10_S11_S12_S13_S17_S18_S19_S1C_S1D_jS1E_jS1F_S1F_jjS1H_bEUljE0_EEES10_S11_S12_S19_S1D_S1F_T6_T7_T9_mT8_S1H_bDpT10_ENKUlT_T0_E_clISt17integral_constantIbLb0EES1V_EEDaS1Q_S1R_EUlS1Q_E_NS1_11comp_targetILNS1_3genE9ELNS1_11target_archE1100ELNS1_3gpuE3ELNS1_3repE0EEENS1_30default_config_static_selectorELNS0_4arch9wavefront6targetE0EEEvS13_.num_named_barrier, 0
	.set _ZN7rocprim17ROCPRIM_400000_NS6detail17trampoline_kernelINS0_13select_configILj256ELj13ELNS0_17block_load_methodE3ELS4_3ELS4_3ELNS0_20block_scan_algorithmE0ELj4294967295EEENS1_25partition_config_selectorILNS1_17partition_subalgoE4EjNS0_10empty_typeEbEEZZNS1_14partition_implILS8_4ELb0ES6_15HIP_vector_typeIjLj2EENS0_17counting_iteratorIjlEEPS9_SG_NS0_5tupleIJPjSI_NS0_16reverse_iteratorISI_EEEEENSH_IJSG_SG_SG_EEES9_SI_JZNS1_25segmented_radix_sort_implINS0_14default_configELb1EPK6__halfPSP_PKlPlN2at6native12_GLOBAL__N_18offset_tEEE10hipError_tPvRmT1_PNSt15iterator_traitsIS13_E10value_typeET2_T3_PNS14_IS19_E10value_typeET4_jRbjT5_S1F_jjP12ihipStream_tbEUljE_ZNSN_ISO_Lb1ESR_SS_SU_SV_SZ_EES10_S11_S12_S13_S17_S18_S19_S1C_S1D_jS1E_jS1F_S1F_jjS1H_bEUljE0_EEES10_S11_S12_S19_S1D_S1F_T6_T7_T9_mT8_S1H_bDpT10_ENKUlT_T0_E_clISt17integral_constantIbLb0EES1V_EEDaS1Q_S1R_EUlS1Q_E_NS1_11comp_targetILNS1_3genE9ELNS1_11target_archE1100ELNS1_3gpuE3ELNS1_3repE0EEENS1_30default_config_static_selectorELNS0_4arch9wavefront6targetE0EEEvS13_.private_seg_size, 0
	.set _ZN7rocprim17ROCPRIM_400000_NS6detail17trampoline_kernelINS0_13select_configILj256ELj13ELNS0_17block_load_methodE3ELS4_3ELS4_3ELNS0_20block_scan_algorithmE0ELj4294967295EEENS1_25partition_config_selectorILNS1_17partition_subalgoE4EjNS0_10empty_typeEbEEZZNS1_14partition_implILS8_4ELb0ES6_15HIP_vector_typeIjLj2EENS0_17counting_iteratorIjlEEPS9_SG_NS0_5tupleIJPjSI_NS0_16reverse_iteratorISI_EEEEENSH_IJSG_SG_SG_EEES9_SI_JZNS1_25segmented_radix_sort_implINS0_14default_configELb1EPK6__halfPSP_PKlPlN2at6native12_GLOBAL__N_18offset_tEEE10hipError_tPvRmT1_PNSt15iterator_traitsIS13_E10value_typeET2_T3_PNS14_IS19_E10value_typeET4_jRbjT5_S1F_jjP12ihipStream_tbEUljE_ZNSN_ISO_Lb1ESR_SS_SU_SV_SZ_EES10_S11_S12_S13_S17_S18_S19_S1C_S1D_jS1E_jS1F_S1F_jjS1H_bEUljE0_EEES10_S11_S12_S19_S1D_S1F_T6_T7_T9_mT8_S1H_bDpT10_ENKUlT_T0_E_clISt17integral_constantIbLb0EES1V_EEDaS1Q_S1R_EUlS1Q_E_NS1_11comp_targetILNS1_3genE9ELNS1_11target_archE1100ELNS1_3gpuE3ELNS1_3repE0EEENS1_30default_config_static_selectorELNS0_4arch9wavefront6targetE0EEEvS13_.uses_vcc, 0
	.set _ZN7rocprim17ROCPRIM_400000_NS6detail17trampoline_kernelINS0_13select_configILj256ELj13ELNS0_17block_load_methodE3ELS4_3ELS4_3ELNS0_20block_scan_algorithmE0ELj4294967295EEENS1_25partition_config_selectorILNS1_17partition_subalgoE4EjNS0_10empty_typeEbEEZZNS1_14partition_implILS8_4ELb0ES6_15HIP_vector_typeIjLj2EENS0_17counting_iteratorIjlEEPS9_SG_NS0_5tupleIJPjSI_NS0_16reverse_iteratorISI_EEEEENSH_IJSG_SG_SG_EEES9_SI_JZNS1_25segmented_radix_sort_implINS0_14default_configELb1EPK6__halfPSP_PKlPlN2at6native12_GLOBAL__N_18offset_tEEE10hipError_tPvRmT1_PNSt15iterator_traitsIS13_E10value_typeET2_T3_PNS14_IS19_E10value_typeET4_jRbjT5_S1F_jjP12ihipStream_tbEUljE_ZNSN_ISO_Lb1ESR_SS_SU_SV_SZ_EES10_S11_S12_S13_S17_S18_S19_S1C_S1D_jS1E_jS1F_S1F_jjS1H_bEUljE0_EEES10_S11_S12_S19_S1D_S1F_T6_T7_T9_mT8_S1H_bDpT10_ENKUlT_T0_E_clISt17integral_constantIbLb0EES1V_EEDaS1Q_S1R_EUlS1Q_E_NS1_11comp_targetILNS1_3genE9ELNS1_11target_archE1100ELNS1_3gpuE3ELNS1_3repE0EEENS1_30default_config_static_selectorELNS0_4arch9wavefront6targetE0EEEvS13_.uses_flat_scratch, 0
	.set _ZN7rocprim17ROCPRIM_400000_NS6detail17trampoline_kernelINS0_13select_configILj256ELj13ELNS0_17block_load_methodE3ELS4_3ELS4_3ELNS0_20block_scan_algorithmE0ELj4294967295EEENS1_25partition_config_selectorILNS1_17partition_subalgoE4EjNS0_10empty_typeEbEEZZNS1_14partition_implILS8_4ELb0ES6_15HIP_vector_typeIjLj2EENS0_17counting_iteratorIjlEEPS9_SG_NS0_5tupleIJPjSI_NS0_16reverse_iteratorISI_EEEEENSH_IJSG_SG_SG_EEES9_SI_JZNS1_25segmented_radix_sort_implINS0_14default_configELb1EPK6__halfPSP_PKlPlN2at6native12_GLOBAL__N_18offset_tEEE10hipError_tPvRmT1_PNSt15iterator_traitsIS13_E10value_typeET2_T3_PNS14_IS19_E10value_typeET4_jRbjT5_S1F_jjP12ihipStream_tbEUljE_ZNSN_ISO_Lb1ESR_SS_SU_SV_SZ_EES10_S11_S12_S13_S17_S18_S19_S1C_S1D_jS1E_jS1F_S1F_jjS1H_bEUljE0_EEES10_S11_S12_S19_S1D_S1F_T6_T7_T9_mT8_S1H_bDpT10_ENKUlT_T0_E_clISt17integral_constantIbLb0EES1V_EEDaS1Q_S1R_EUlS1Q_E_NS1_11comp_targetILNS1_3genE9ELNS1_11target_archE1100ELNS1_3gpuE3ELNS1_3repE0EEENS1_30default_config_static_selectorELNS0_4arch9wavefront6targetE0EEEvS13_.has_dyn_sized_stack, 0
	.set _ZN7rocprim17ROCPRIM_400000_NS6detail17trampoline_kernelINS0_13select_configILj256ELj13ELNS0_17block_load_methodE3ELS4_3ELS4_3ELNS0_20block_scan_algorithmE0ELj4294967295EEENS1_25partition_config_selectorILNS1_17partition_subalgoE4EjNS0_10empty_typeEbEEZZNS1_14partition_implILS8_4ELb0ES6_15HIP_vector_typeIjLj2EENS0_17counting_iteratorIjlEEPS9_SG_NS0_5tupleIJPjSI_NS0_16reverse_iteratorISI_EEEEENSH_IJSG_SG_SG_EEES9_SI_JZNS1_25segmented_radix_sort_implINS0_14default_configELb1EPK6__halfPSP_PKlPlN2at6native12_GLOBAL__N_18offset_tEEE10hipError_tPvRmT1_PNSt15iterator_traitsIS13_E10value_typeET2_T3_PNS14_IS19_E10value_typeET4_jRbjT5_S1F_jjP12ihipStream_tbEUljE_ZNSN_ISO_Lb1ESR_SS_SU_SV_SZ_EES10_S11_S12_S13_S17_S18_S19_S1C_S1D_jS1E_jS1F_S1F_jjS1H_bEUljE0_EEES10_S11_S12_S19_S1D_S1F_T6_T7_T9_mT8_S1H_bDpT10_ENKUlT_T0_E_clISt17integral_constantIbLb0EES1V_EEDaS1Q_S1R_EUlS1Q_E_NS1_11comp_targetILNS1_3genE9ELNS1_11target_archE1100ELNS1_3gpuE3ELNS1_3repE0EEENS1_30default_config_static_selectorELNS0_4arch9wavefront6targetE0EEEvS13_.has_recursion, 0
	.set _ZN7rocprim17ROCPRIM_400000_NS6detail17trampoline_kernelINS0_13select_configILj256ELj13ELNS0_17block_load_methodE3ELS4_3ELS4_3ELNS0_20block_scan_algorithmE0ELj4294967295EEENS1_25partition_config_selectorILNS1_17partition_subalgoE4EjNS0_10empty_typeEbEEZZNS1_14partition_implILS8_4ELb0ES6_15HIP_vector_typeIjLj2EENS0_17counting_iteratorIjlEEPS9_SG_NS0_5tupleIJPjSI_NS0_16reverse_iteratorISI_EEEEENSH_IJSG_SG_SG_EEES9_SI_JZNS1_25segmented_radix_sort_implINS0_14default_configELb1EPK6__halfPSP_PKlPlN2at6native12_GLOBAL__N_18offset_tEEE10hipError_tPvRmT1_PNSt15iterator_traitsIS13_E10value_typeET2_T3_PNS14_IS19_E10value_typeET4_jRbjT5_S1F_jjP12ihipStream_tbEUljE_ZNSN_ISO_Lb1ESR_SS_SU_SV_SZ_EES10_S11_S12_S13_S17_S18_S19_S1C_S1D_jS1E_jS1F_S1F_jjS1H_bEUljE0_EEES10_S11_S12_S19_S1D_S1F_T6_T7_T9_mT8_S1H_bDpT10_ENKUlT_T0_E_clISt17integral_constantIbLb0EES1V_EEDaS1Q_S1R_EUlS1Q_E_NS1_11comp_targetILNS1_3genE9ELNS1_11target_archE1100ELNS1_3gpuE3ELNS1_3repE0EEENS1_30default_config_static_selectorELNS0_4arch9wavefront6targetE0EEEvS13_.has_indirect_call, 0
	.section	.AMDGPU.csdata,"",@progbits
; Kernel info:
; codeLenInByte = 0
; TotalNumSgprs: 0
; NumVgprs: 0
; ScratchSize: 0
; MemoryBound: 0
; FloatMode: 240
; IeeeMode: 1
; LDSByteSize: 0 bytes/workgroup (compile time only)
; SGPRBlocks: 0
; VGPRBlocks: 0
; NumSGPRsForWavesPerEU: 1
; NumVGPRsForWavesPerEU: 1
; NamedBarCnt: 0
; Occupancy: 16
; WaveLimiterHint : 0
; COMPUTE_PGM_RSRC2:SCRATCH_EN: 0
; COMPUTE_PGM_RSRC2:USER_SGPR: 2
; COMPUTE_PGM_RSRC2:TRAP_HANDLER: 0
; COMPUTE_PGM_RSRC2:TGID_X_EN: 1
; COMPUTE_PGM_RSRC2:TGID_Y_EN: 0
; COMPUTE_PGM_RSRC2:TGID_Z_EN: 0
; COMPUTE_PGM_RSRC2:TIDIG_COMP_CNT: 0
	.section	.text._ZN7rocprim17ROCPRIM_400000_NS6detail17trampoline_kernelINS0_13select_configILj256ELj13ELNS0_17block_load_methodE3ELS4_3ELS4_3ELNS0_20block_scan_algorithmE0ELj4294967295EEENS1_25partition_config_selectorILNS1_17partition_subalgoE4EjNS0_10empty_typeEbEEZZNS1_14partition_implILS8_4ELb0ES6_15HIP_vector_typeIjLj2EENS0_17counting_iteratorIjlEEPS9_SG_NS0_5tupleIJPjSI_NS0_16reverse_iteratorISI_EEEEENSH_IJSG_SG_SG_EEES9_SI_JZNS1_25segmented_radix_sort_implINS0_14default_configELb1EPK6__halfPSP_PKlPlN2at6native12_GLOBAL__N_18offset_tEEE10hipError_tPvRmT1_PNSt15iterator_traitsIS13_E10value_typeET2_T3_PNS14_IS19_E10value_typeET4_jRbjT5_S1F_jjP12ihipStream_tbEUljE_ZNSN_ISO_Lb1ESR_SS_SU_SV_SZ_EES10_S11_S12_S13_S17_S18_S19_S1C_S1D_jS1E_jS1F_S1F_jjS1H_bEUljE0_EEES10_S11_S12_S19_S1D_S1F_T6_T7_T9_mT8_S1H_bDpT10_ENKUlT_T0_E_clISt17integral_constantIbLb0EES1V_EEDaS1Q_S1R_EUlS1Q_E_NS1_11comp_targetILNS1_3genE8ELNS1_11target_archE1030ELNS1_3gpuE2ELNS1_3repE0EEENS1_30default_config_static_selectorELNS0_4arch9wavefront6targetE0EEEvS13_,"axG",@progbits,_ZN7rocprim17ROCPRIM_400000_NS6detail17trampoline_kernelINS0_13select_configILj256ELj13ELNS0_17block_load_methodE3ELS4_3ELS4_3ELNS0_20block_scan_algorithmE0ELj4294967295EEENS1_25partition_config_selectorILNS1_17partition_subalgoE4EjNS0_10empty_typeEbEEZZNS1_14partition_implILS8_4ELb0ES6_15HIP_vector_typeIjLj2EENS0_17counting_iteratorIjlEEPS9_SG_NS0_5tupleIJPjSI_NS0_16reverse_iteratorISI_EEEEENSH_IJSG_SG_SG_EEES9_SI_JZNS1_25segmented_radix_sort_implINS0_14default_configELb1EPK6__halfPSP_PKlPlN2at6native12_GLOBAL__N_18offset_tEEE10hipError_tPvRmT1_PNSt15iterator_traitsIS13_E10value_typeET2_T3_PNS14_IS19_E10value_typeET4_jRbjT5_S1F_jjP12ihipStream_tbEUljE_ZNSN_ISO_Lb1ESR_SS_SU_SV_SZ_EES10_S11_S12_S13_S17_S18_S19_S1C_S1D_jS1E_jS1F_S1F_jjS1H_bEUljE0_EEES10_S11_S12_S19_S1D_S1F_T6_T7_T9_mT8_S1H_bDpT10_ENKUlT_T0_E_clISt17integral_constantIbLb0EES1V_EEDaS1Q_S1R_EUlS1Q_E_NS1_11comp_targetILNS1_3genE8ELNS1_11target_archE1030ELNS1_3gpuE2ELNS1_3repE0EEENS1_30default_config_static_selectorELNS0_4arch9wavefront6targetE0EEEvS13_,comdat
	.globl	_ZN7rocprim17ROCPRIM_400000_NS6detail17trampoline_kernelINS0_13select_configILj256ELj13ELNS0_17block_load_methodE3ELS4_3ELS4_3ELNS0_20block_scan_algorithmE0ELj4294967295EEENS1_25partition_config_selectorILNS1_17partition_subalgoE4EjNS0_10empty_typeEbEEZZNS1_14partition_implILS8_4ELb0ES6_15HIP_vector_typeIjLj2EENS0_17counting_iteratorIjlEEPS9_SG_NS0_5tupleIJPjSI_NS0_16reverse_iteratorISI_EEEEENSH_IJSG_SG_SG_EEES9_SI_JZNS1_25segmented_radix_sort_implINS0_14default_configELb1EPK6__halfPSP_PKlPlN2at6native12_GLOBAL__N_18offset_tEEE10hipError_tPvRmT1_PNSt15iterator_traitsIS13_E10value_typeET2_T3_PNS14_IS19_E10value_typeET4_jRbjT5_S1F_jjP12ihipStream_tbEUljE_ZNSN_ISO_Lb1ESR_SS_SU_SV_SZ_EES10_S11_S12_S13_S17_S18_S19_S1C_S1D_jS1E_jS1F_S1F_jjS1H_bEUljE0_EEES10_S11_S12_S19_S1D_S1F_T6_T7_T9_mT8_S1H_bDpT10_ENKUlT_T0_E_clISt17integral_constantIbLb0EES1V_EEDaS1Q_S1R_EUlS1Q_E_NS1_11comp_targetILNS1_3genE8ELNS1_11target_archE1030ELNS1_3gpuE2ELNS1_3repE0EEENS1_30default_config_static_selectorELNS0_4arch9wavefront6targetE0EEEvS13_ ; -- Begin function _ZN7rocprim17ROCPRIM_400000_NS6detail17trampoline_kernelINS0_13select_configILj256ELj13ELNS0_17block_load_methodE3ELS4_3ELS4_3ELNS0_20block_scan_algorithmE0ELj4294967295EEENS1_25partition_config_selectorILNS1_17partition_subalgoE4EjNS0_10empty_typeEbEEZZNS1_14partition_implILS8_4ELb0ES6_15HIP_vector_typeIjLj2EENS0_17counting_iteratorIjlEEPS9_SG_NS0_5tupleIJPjSI_NS0_16reverse_iteratorISI_EEEEENSH_IJSG_SG_SG_EEES9_SI_JZNS1_25segmented_radix_sort_implINS0_14default_configELb1EPK6__halfPSP_PKlPlN2at6native12_GLOBAL__N_18offset_tEEE10hipError_tPvRmT1_PNSt15iterator_traitsIS13_E10value_typeET2_T3_PNS14_IS19_E10value_typeET4_jRbjT5_S1F_jjP12ihipStream_tbEUljE_ZNSN_ISO_Lb1ESR_SS_SU_SV_SZ_EES10_S11_S12_S13_S17_S18_S19_S1C_S1D_jS1E_jS1F_S1F_jjS1H_bEUljE0_EEES10_S11_S12_S19_S1D_S1F_T6_T7_T9_mT8_S1H_bDpT10_ENKUlT_T0_E_clISt17integral_constantIbLb0EES1V_EEDaS1Q_S1R_EUlS1Q_E_NS1_11comp_targetILNS1_3genE8ELNS1_11target_archE1030ELNS1_3gpuE2ELNS1_3repE0EEENS1_30default_config_static_selectorELNS0_4arch9wavefront6targetE0EEEvS13_
	.p2align	8
	.type	_ZN7rocprim17ROCPRIM_400000_NS6detail17trampoline_kernelINS0_13select_configILj256ELj13ELNS0_17block_load_methodE3ELS4_3ELS4_3ELNS0_20block_scan_algorithmE0ELj4294967295EEENS1_25partition_config_selectorILNS1_17partition_subalgoE4EjNS0_10empty_typeEbEEZZNS1_14partition_implILS8_4ELb0ES6_15HIP_vector_typeIjLj2EENS0_17counting_iteratorIjlEEPS9_SG_NS0_5tupleIJPjSI_NS0_16reverse_iteratorISI_EEEEENSH_IJSG_SG_SG_EEES9_SI_JZNS1_25segmented_radix_sort_implINS0_14default_configELb1EPK6__halfPSP_PKlPlN2at6native12_GLOBAL__N_18offset_tEEE10hipError_tPvRmT1_PNSt15iterator_traitsIS13_E10value_typeET2_T3_PNS14_IS19_E10value_typeET4_jRbjT5_S1F_jjP12ihipStream_tbEUljE_ZNSN_ISO_Lb1ESR_SS_SU_SV_SZ_EES10_S11_S12_S13_S17_S18_S19_S1C_S1D_jS1E_jS1F_S1F_jjS1H_bEUljE0_EEES10_S11_S12_S19_S1D_S1F_T6_T7_T9_mT8_S1H_bDpT10_ENKUlT_T0_E_clISt17integral_constantIbLb0EES1V_EEDaS1Q_S1R_EUlS1Q_E_NS1_11comp_targetILNS1_3genE8ELNS1_11target_archE1030ELNS1_3gpuE2ELNS1_3repE0EEENS1_30default_config_static_selectorELNS0_4arch9wavefront6targetE0EEEvS13_,@function
_ZN7rocprim17ROCPRIM_400000_NS6detail17trampoline_kernelINS0_13select_configILj256ELj13ELNS0_17block_load_methodE3ELS4_3ELS4_3ELNS0_20block_scan_algorithmE0ELj4294967295EEENS1_25partition_config_selectorILNS1_17partition_subalgoE4EjNS0_10empty_typeEbEEZZNS1_14partition_implILS8_4ELb0ES6_15HIP_vector_typeIjLj2EENS0_17counting_iteratorIjlEEPS9_SG_NS0_5tupleIJPjSI_NS0_16reverse_iteratorISI_EEEEENSH_IJSG_SG_SG_EEES9_SI_JZNS1_25segmented_radix_sort_implINS0_14default_configELb1EPK6__halfPSP_PKlPlN2at6native12_GLOBAL__N_18offset_tEEE10hipError_tPvRmT1_PNSt15iterator_traitsIS13_E10value_typeET2_T3_PNS14_IS19_E10value_typeET4_jRbjT5_S1F_jjP12ihipStream_tbEUljE_ZNSN_ISO_Lb1ESR_SS_SU_SV_SZ_EES10_S11_S12_S13_S17_S18_S19_S1C_S1D_jS1E_jS1F_S1F_jjS1H_bEUljE0_EEES10_S11_S12_S19_S1D_S1F_T6_T7_T9_mT8_S1H_bDpT10_ENKUlT_T0_E_clISt17integral_constantIbLb0EES1V_EEDaS1Q_S1R_EUlS1Q_E_NS1_11comp_targetILNS1_3genE8ELNS1_11target_archE1030ELNS1_3gpuE2ELNS1_3repE0EEENS1_30default_config_static_selectorELNS0_4arch9wavefront6targetE0EEEvS13_: ; @_ZN7rocprim17ROCPRIM_400000_NS6detail17trampoline_kernelINS0_13select_configILj256ELj13ELNS0_17block_load_methodE3ELS4_3ELS4_3ELNS0_20block_scan_algorithmE0ELj4294967295EEENS1_25partition_config_selectorILNS1_17partition_subalgoE4EjNS0_10empty_typeEbEEZZNS1_14partition_implILS8_4ELb0ES6_15HIP_vector_typeIjLj2EENS0_17counting_iteratorIjlEEPS9_SG_NS0_5tupleIJPjSI_NS0_16reverse_iteratorISI_EEEEENSH_IJSG_SG_SG_EEES9_SI_JZNS1_25segmented_radix_sort_implINS0_14default_configELb1EPK6__halfPSP_PKlPlN2at6native12_GLOBAL__N_18offset_tEEE10hipError_tPvRmT1_PNSt15iterator_traitsIS13_E10value_typeET2_T3_PNS14_IS19_E10value_typeET4_jRbjT5_S1F_jjP12ihipStream_tbEUljE_ZNSN_ISO_Lb1ESR_SS_SU_SV_SZ_EES10_S11_S12_S13_S17_S18_S19_S1C_S1D_jS1E_jS1F_S1F_jjS1H_bEUljE0_EEES10_S11_S12_S19_S1D_S1F_T6_T7_T9_mT8_S1H_bDpT10_ENKUlT_T0_E_clISt17integral_constantIbLb0EES1V_EEDaS1Q_S1R_EUlS1Q_E_NS1_11comp_targetILNS1_3genE8ELNS1_11target_archE1030ELNS1_3gpuE2ELNS1_3repE0EEENS1_30default_config_static_selectorELNS0_4arch9wavefront6targetE0EEEvS13_
; %bb.0:
	.section	.rodata,"a",@progbits
	.p2align	6, 0x0
	.amdhsa_kernel _ZN7rocprim17ROCPRIM_400000_NS6detail17trampoline_kernelINS0_13select_configILj256ELj13ELNS0_17block_load_methodE3ELS4_3ELS4_3ELNS0_20block_scan_algorithmE0ELj4294967295EEENS1_25partition_config_selectorILNS1_17partition_subalgoE4EjNS0_10empty_typeEbEEZZNS1_14partition_implILS8_4ELb0ES6_15HIP_vector_typeIjLj2EENS0_17counting_iteratorIjlEEPS9_SG_NS0_5tupleIJPjSI_NS0_16reverse_iteratorISI_EEEEENSH_IJSG_SG_SG_EEES9_SI_JZNS1_25segmented_radix_sort_implINS0_14default_configELb1EPK6__halfPSP_PKlPlN2at6native12_GLOBAL__N_18offset_tEEE10hipError_tPvRmT1_PNSt15iterator_traitsIS13_E10value_typeET2_T3_PNS14_IS19_E10value_typeET4_jRbjT5_S1F_jjP12ihipStream_tbEUljE_ZNSN_ISO_Lb1ESR_SS_SU_SV_SZ_EES10_S11_S12_S13_S17_S18_S19_S1C_S1D_jS1E_jS1F_S1F_jjS1H_bEUljE0_EEES10_S11_S12_S19_S1D_S1F_T6_T7_T9_mT8_S1H_bDpT10_ENKUlT_T0_E_clISt17integral_constantIbLb0EES1V_EEDaS1Q_S1R_EUlS1Q_E_NS1_11comp_targetILNS1_3genE8ELNS1_11target_archE1030ELNS1_3gpuE2ELNS1_3repE0EEENS1_30default_config_static_selectorELNS0_4arch9wavefront6targetE0EEEvS13_
		.amdhsa_group_segment_fixed_size 0
		.amdhsa_private_segment_fixed_size 0
		.amdhsa_kernarg_size 176
		.amdhsa_user_sgpr_count 2
		.amdhsa_user_sgpr_dispatch_ptr 0
		.amdhsa_user_sgpr_queue_ptr 0
		.amdhsa_user_sgpr_kernarg_segment_ptr 1
		.amdhsa_user_sgpr_dispatch_id 0
		.amdhsa_user_sgpr_kernarg_preload_length 0
		.amdhsa_user_sgpr_kernarg_preload_offset 0
		.amdhsa_user_sgpr_private_segment_size 0
		.amdhsa_wavefront_size32 1
		.amdhsa_uses_dynamic_stack 0
		.amdhsa_enable_private_segment 0
		.amdhsa_system_sgpr_workgroup_id_x 1
		.amdhsa_system_sgpr_workgroup_id_y 0
		.amdhsa_system_sgpr_workgroup_id_z 0
		.amdhsa_system_sgpr_workgroup_info 0
		.amdhsa_system_vgpr_workitem_id 0
		.amdhsa_next_free_vgpr 1
		.amdhsa_next_free_sgpr 1
		.amdhsa_named_barrier_count 0
		.amdhsa_reserve_vcc 0
		.amdhsa_float_round_mode_32 0
		.amdhsa_float_round_mode_16_64 0
		.amdhsa_float_denorm_mode_32 3
		.amdhsa_float_denorm_mode_16_64 3
		.amdhsa_fp16_overflow 0
		.amdhsa_memory_ordered 1
		.amdhsa_forward_progress 1
		.amdhsa_inst_pref_size 0
		.amdhsa_round_robin_scheduling 0
		.amdhsa_exception_fp_ieee_invalid_op 0
		.amdhsa_exception_fp_denorm_src 0
		.amdhsa_exception_fp_ieee_div_zero 0
		.amdhsa_exception_fp_ieee_overflow 0
		.amdhsa_exception_fp_ieee_underflow 0
		.amdhsa_exception_fp_ieee_inexact 0
		.amdhsa_exception_int_div_zero 0
	.end_amdhsa_kernel
	.section	.text._ZN7rocprim17ROCPRIM_400000_NS6detail17trampoline_kernelINS0_13select_configILj256ELj13ELNS0_17block_load_methodE3ELS4_3ELS4_3ELNS0_20block_scan_algorithmE0ELj4294967295EEENS1_25partition_config_selectorILNS1_17partition_subalgoE4EjNS0_10empty_typeEbEEZZNS1_14partition_implILS8_4ELb0ES6_15HIP_vector_typeIjLj2EENS0_17counting_iteratorIjlEEPS9_SG_NS0_5tupleIJPjSI_NS0_16reverse_iteratorISI_EEEEENSH_IJSG_SG_SG_EEES9_SI_JZNS1_25segmented_radix_sort_implINS0_14default_configELb1EPK6__halfPSP_PKlPlN2at6native12_GLOBAL__N_18offset_tEEE10hipError_tPvRmT1_PNSt15iterator_traitsIS13_E10value_typeET2_T3_PNS14_IS19_E10value_typeET4_jRbjT5_S1F_jjP12ihipStream_tbEUljE_ZNSN_ISO_Lb1ESR_SS_SU_SV_SZ_EES10_S11_S12_S13_S17_S18_S19_S1C_S1D_jS1E_jS1F_S1F_jjS1H_bEUljE0_EEES10_S11_S12_S19_S1D_S1F_T6_T7_T9_mT8_S1H_bDpT10_ENKUlT_T0_E_clISt17integral_constantIbLb0EES1V_EEDaS1Q_S1R_EUlS1Q_E_NS1_11comp_targetILNS1_3genE8ELNS1_11target_archE1030ELNS1_3gpuE2ELNS1_3repE0EEENS1_30default_config_static_selectorELNS0_4arch9wavefront6targetE0EEEvS13_,"axG",@progbits,_ZN7rocprim17ROCPRIM_400000_NS6detail17trampoline_kernelINS0_13select_configILj256ELj13ELNS0_17block_load_methodE3ELS4_3ELS4_3ELNS0_20block_scan_algorithmE0ELj4294967295EEENS1_25partition_config_selectorILNS1_17partition_subalgoE4EjNS0_10empty_typeEbEEZZNS1_14partition_implILS8_4ELb0ES6_15HIP_vector_typeIjLj2EENS0_17counting_iteratorIjlEEPS9_SG_NS0_5tupleIJPjSI_NS0_16reverse_iteratorISI_EEEEENSH_IJSG_SG_SG_EEES9_SI_JZNS1_25segmented_radix_sort_implINS0_14default_configELb1EPK6__halfPSP_PKlPlN2at6native12_GLOBAL__N_18offset_tEEE10hipError_tPvRmT1_PNSt15iterator_traitsIS13_E10value_typeET2_T3_PNS14_IS19_E10value_typeET4_jRbjT5_S1F_jjP12ihipStream_tbEUljE_ZNSN_ISO_Lb1ESR_SS_SU_SV_SZ_EES10_S11_S12_S13_S17_S18_S19_S1C_S1D_jS1E_jS1F_S1F_jjS1H_bEUljE0_EEES10_S11_S12_S19_S1D_S1F_T6_T7_T9_mT8_S1H_bDpT10_ENKUlT_T0_E_clISt17integral_constantIbLb0EES1V_EEDaS1Q_S1R_EUlS1Q_E_NS1_11comp_targetILNS1_3genE8ELNS1_11target_archE1030ELNS1_3gpuE2ELNS1_3repE0EEENS1_30default_config_static_selectorELNS0_4arch9wavefront6targetE0EEEvS13_,comdat
.Lfunc_end1672:
	.size	_ZN7rocprim17ROCPRIM_400000_NS6detail17trampoline_kernelINS0_13select_configILj256ELj13ELNS0_17block_load_methodE3ELS4_3ELS4_3ELNS0_20block_scan_algorithmE0ELj4294967295EEENS1_25partition_config_selectorILNS1_17partition_subalgoE4EjNS0_10empty_typeEbEEZZNS1_14partition_implILS8_4ELb0ES6_15HIP_vector_typeIjLj2EENS0_17counting_iteratorIjlEEPS9_SG_NS0_5tupleIJPjSI_NS0_16reverse_iteratorISI_EEEEENSH_IJSG_SG_SG_EEES9_SI_JZNS1_25segmented_radix_sort_implINS0_14default_configELb1EPK6__halfPSP_PKlPlN2at6native12_GLOBAL__N_18offset_tEEE10hipError_tPvRmT1_PNSt15iterator_traitsIS13_E10value_typeET2_T3_PNS14_IS19_E10value_typeET4_jRbjT5_S1F_jjP12ihipStream_tbEUljE_ZNSN_ISO_Lb1ESR_SS_SU_SV_SZ_EES10_S11_S12_S13_S17_S18_S19_S1C_S1D_jS1E_jS1F_S1F_jjS1H_bEUljE0_EEES10_S11_S12_S19_S1D_S1F_T6_T7_T9_mT8_S1H_bDpT10_ENKUlT_T0_E_clISt17integral_constantIbLb0EES1V_EEDaS1Q_S1R_EUlS1Q_E_NS1_11comp_targetILNS1_3genE8ELNS1_11target_archE1030ELNS1_3gpuE2ELNS1_3repE0EEENS1_30default_config_static_selectorELNS0_4arch9wavefront6targetE0EEEvS13_, .Lfunc_end1672-_ZN7rocprim17ROCPRIM_400000_NS6detail17trampoline_kernelINS0_13select_configILj256ELj13ELNS0_17block_load_methodE3ELS4_3ELS4_3ELNS0_20block_scan_algorithmE0ELj4294967295EEENS1_25partition_config_selectorILNS1_17partition_subalgoE4EjNS0_10empty_typeEbEEZZNS1_14partition_implILS8_4ELb0ES6_15HIP_vector_typeIjLj2EENS0_17counting_iteratorIjlEEPS9_SG_NS0_5tupleIJPjSI_NS0_16reverse_iteratorISI_EEEEENSH_IJSG_SG_SG_EEES9_SI_JZNS1_25segmented_radix_sort_implINS0_14default_configELb1EPK6__halfPSP_PKlPlN2at6native12_GLOBAL__N_18offset_tEEE10hipError_tPvRmT1_PNSt15iterator_traitsIS13_E10value_typeET2_T3_PNS14_IS19_E10value_typeET4_jRbjT5_S1F_jjP12ihipStream_tbEUljE_ZNSN_ISO_Lb1ESR_SS_SU_SV_SZ_EES10_S11_S12_S13_S17_S18_S19_S1C_S1D_jS1E_jS1F_S1F_jjS1H_bEUljE0_EEES10_S11_S12_S19_S1D_S1F_T6_T7_T9_mT8_S1H_bDpT10_ENKUlT_T0_E_clISt17integral_constantIbLb0EES1V_EEDaS1Q_S1R_EUlS1Q_E_NS1_11comp_targetILNS1_3genE8ELNS1_11target_archE1030ELNS1_3gpuE2ELNS1_3repE0EEENS1_30default_config_static_selectorELNS0_4arch9wavefront6targetE0EEEvS13_
                                        ; -- End function
	.set _ZN7rocprim17ROCPRIM_400000_NS6detail17trampoline_kernelINS0_13select_configILj256ELj13ELNS0_17block_load_methodE3ELS4_3ELS4_3ELNS0_20block_scan_algorithmE0ELj4294967295EEENS1_25partition_config_selectorILNS1_17partition_subalgoE4EjNS0_10empty_typeEbEEZZNS1_14partition_implILS8_4ELb0ES6_15HIP_vector_typeIjLj2EENS0_17counting_iteratorIjlEEPS9_SG_NS0_5tupleIJPjSI_NS0_16reverse_iteratorISI_EEEEENSH_IJSG_SG_SG_EEES9_SI_JZNS1_25segmented_radix_sort_implINS0_14default_configELb1EPK6__halfPSP_PKlPlN2at6native12_GLOBAL__N_18offset_tEEE10hipError_tPvRmT1_PNSt15iterator_traitsIS13_E10value_typeET2_T3_PNS14_IS19_E10value_typeET4_jRbjT5_S1F_jjP12ihipStream_tbEUljE_ZNSN_ISO_Lb1ESR_SS_SU_SV_SZ_EES10_S11_S12_S13_S17_S18_S19_S1C_S1D_jS1E_jS1F_S1F_jjS1H_bEUljE0_EEES10_S11_S12_S19_S1D_S1F_T6_T7_T9_mT8_S1H_bDpT10_ENKUlT_T0_E_clISt17integral_constantIbLb0EES1V_EEDaS1Q_S1R_EUlS1Q_E_NS1_11comp_targetILNS1_3genE8ELNS1_11target_archE1030ELNS1_3gpuE2ELNS1_3repE0EEENS1_30default_config_static_selectorELNS0_4arch9wavefront6targetE0EEEvS13_.num_vgpr, 0
	.set _ZN7rocprim17ROCPRIM_400000_NS6detail17trampoline_kernelINS0_13select_configILj256ELj13ELNS0_17block_load_methodE3ELS4_3ELS4_3ELNS0_20block_scan_algorithmE0ELj4294967295EEENS1_25partition_config_selectorILNS1_17partition_subalgoE4EjNS0_10empty_typeEbEEZZNS1_14partition_implILS8_4ELb0ES6_15HIP_vector_typeIjLj2EENS0_17counting_iteratorIjlEEPS9_SG_NS0_5tupleIJPjSI_NS0_16reverse_iteratorISI_EEEEENSH_IJSG_SG_SG_EEES9_SI_JZNS1_25segmented_radix_sort_implINS0_14default_configELb1EPK6__halfPSP_PKlPlN2at6native12_GLOBAL__N_18offset_tEEE10hipError_tPvRmT1_PNSt15iterator_traitsIS13_E10value_typeET2_T3_PNS14_IS19_E10value_typeET4_jRbjT5_S1F_jjP12ihipStream_tbEUljE_ZNSN_ISO_Lb1ESR_SS_SU_SV_SZ_EES10_S11_S12_S13_S17_S18_S19_S1C_S1D_jS1E_jS1F_S1F_jjS1H_bEUljE0_EEES10_S11_S12_S19_S1D_S1F_T6_T7_T9_mT8_S1H_bDpT10_ENKUlT_T0_E_clISt17integral_constantIbLb0EES1V_EEDaS1Q_S1R_EUlS1Q_E_NS1_11comp_targetILNS1_3genE8ELNS1_11target_archE1030ELNS1_3gpuE2ELNS1_3repE0EEENS1_30default_config_static_selectorELNS0_4arch9wavefront6targetE0EEEvS13_.num_agpr, 0
	.set _ZN7rocprim17ROCPRIM_400000_NS6detail17trampoline_kernelINS0_13select_configILj256ELj13ELNS0_17block_load_methodE3ELS4_3ELS4_3ELNS0_20block_scan_algorithmE0ELj4294967295EEENS1_25partition_config_selectorILNS1_17partition_subalgoE4EjNS0_10empty_typeEbEEZZNS1_14partition_implILS8_4ELb0ES6_15HIP_vector_typeIjLj2EENS0_17counting_iteratorIjlEEPS9_SG_NS0_5tupleIJPjSI_NS0_16reverse_iteratorISI_EEEEENSH_IJSG_SG_SG_EEES9_SI_JZNS1_25segmented_radix_sort_implINS0_14default_configELb1EPK6__halfPSP_PKlPlN2at6native12_GLOBAL__N_18offset_tEEE10hipError_tPvRmT1_PNSt15iterator_traitsIS13_E10value_typeET2_T3_PNS14_IS19_E10value_typeET4_jRbjT5_S1F_jjP12ihipStream_tbEUljE_ZNSN_ISO_Lb1ESR_SS_SU_SV_SZ_EES10_S11_S12_S13_S17_S18_S19_S1C_S1D_jS1E_jS1F_S1F_jjS1H_bEUljE0_EEES10_S11_S12_S19_S1D_S1F_T6_T7_T9_mT8_S1H_bDpT10_ENKUlT_T0_E_clISt17integral_constantIbLb0EES1V_EEDaS1Q_S1R_EUlS1Q_E_NS1_11comp_targetILNS1_3genE8ELNS1_11target_archE1030ELNS1_3gpuE2ELNS1_3repE0EEENS1_30default_config_static_selectorELNS0_4arch9wavefront6targetE0EEEvS13_.numbered_sgpr, 0
	.set _ZN7rocprim17ROCPRIM_400000_NS6detail17trampoline_kernelINS0_13select_configILj256ELj13ELNS0_17block_load_methodE3ELS4_3ELS4_3ELNS0_20block_scan_algorithmE0ELj4294967295EEENS1_25partition_config_selectorILNS1_17partition_subalgoE4EjNS0_10empty_typeEbEEZZNS1_14partition_implILS8_4ELb0ES6_15HIP_vector_typeIjLj2EENS0_17counting_iteratorIjlEEPS9_SG_NS0_5tupleIJPjSI_NS0_16reverse_iteratorISI_EEEEENSH_IJSG_SG_SG_EEES9_SI_JZNS1_25segmented_radix_sort_implINS0_14default_configELb1EPK6__halfPSP_PKlPlN2at6native12_GLOBAL__N_18offset_tEEE10hipError_tPvRmT1_PNSt15iterator_traitsIS13_E10value_typeET2_T3_PNS14_IS19_E10value_typeET4_jRbjT5_S1F_jjP12ihipStream_tbEUljE_ZNSN_ISO_Lb1ESR_SS_SU_SV_SZ_EES10_S11_S12_S13_S17_S18_S19_S1C_S1D_jS1E_jS1F_S1F_jjS1H_bEUljE0_EEES10_S11_S12_S19_S1D_S1F_T6_T7_T9_mT8_S1H_bDpT10_ENKUlT_T0_E_clISt17integral_constantIbLb0EES1V_EEDaS1Q_S1R_EUlS1Q_E_NS1_11comp_targetILNS1_3genE8ELNS1_11target_archE1030ELNS1_3gpuE2ELNS1_3repE0EEENS1_30default_config_static_selectorELNS0_4arch9wavefront6targetE0EEEvS13_.num_named_barrier, 0
	.set _ZN7rocprim17ROCPRIM_400000_NS6detail17trampoline_kernelINS0_13select_configILj256ELj13ELNS0_17block_load_methodE3ELS4_3ELS4_3ELNS0_20block_scan_algorithmE0ELj4294967295EEENS1_25partition_config_selectorILNS1_17partition_subalgoE4EjNS0_10empty_typeEbEEZZNS1_14partition_implILS8_4ELb0ES6_15HIP_vector_typeIjLj2EENS0_17counting_iteratorIjlEEPS9_SG_NS0_5tupleIJPjSI_NS0_16reverse_iteratorISI_EEEEENSH_IJSG_SG_SG_EEES9_SI_JZNS1_25segmented_radix_sort_implINS0_14default_configELb1EPK6__halfPSP_PKlPlN2at6native12_GLOBAL__N_18offset_tEEE10hipError_tPvRmT1_PNSt15iterator_traitsIS13_E10value_typeET2_T3_PNS14_IS19_E10value_typeET4_jRbjT5_S1F_jjP12ihipStream_tbEUljE_ZNSN_ISO_Lb1ESR_SS_SU_SV_SZ_EES10_S11_S12_S13_S17_S18_S19_S1C_S1D_jS1E_jS1F_S1F_jjS1H_bEUljE0_EEES10_S11_S12_S19_S1D_S1F_T6_T7_T9_mT8_S1H_bDpT10_ENKUlT_T0_E_clISt17integral_constantIbLb0EES1V_EEDaS1Q_S1R_EUlS1Q_E_NS1_11comp_targetILNS1_3genE8ELNS1_11target_archE1030ELNS1_3gpuE2ELNS1_3repE0EEENS1_30default_config_static_selectorELNS0_4arch9wavefront6targetE0EEEvS13_.private_seg_size, 0
	.set _ZN7rocprim17ROCPRIM_400000_NS6detail17trampoline_kernelINS0_13select_configILj256ELj13ELNS0_17block_load_methodE3ELS4_3ELS4_3ELNS0_20block_scan_algorithmE0ELj4294967295EEENS1_25partition_config_selectorILNS1_17partition_subalgoE4EjNS0_10empty_typeEbEEZZNS1_14partition_implILS8_4ELb0ES6_15HIP_vector_typeIjLj2EENS0_17counting_iteratorIjlEEPS9_SG_NS0_5tupleIJPjSI_NS0_16reverse_iteratorISI_EEEEENSH_IJSG_SG_SG_EEES9_SI_JZNS1_25segmented_radix_sort_implINS0_14default_configELb1EPK6__halfPSP_PKlPlN2at6native12_GLOBAL__N_18offset_tEEE10hipError_tPvRmT1_PNSt15iterator_traitsIS13_E10value_typeET2_T3_PNS14_IS19_E10value_typeET4_jRbjT5_S1F_jjP12ihipStream_tbEUljE_ZNSN_ISO_Lb1ESR_SS_SU_SV_SZ_EES10_S11_S12_S13_S17_S18_S19_S1C_S1D_jS1E_jS1F_S1F_jjS1H_bEUljE0_EEES10_S11_S12_S19_S1D_S1F_T6_T7_T9_mT8_S1H_bDpT10_ENKUlT_T0_E_clISt17integral_constantIbLb0EES1V_EEDaS1Q_S1R_EUlS1Q_E_NS1_11comp_targetILNS1_3genE8ELNS1_11target_archE1030ELNS1_3gpuE2ELNS1_3repE0EEENS1_30default_config_static_selectorELNS0_4arch9wavefront6targetE0EEEvS13_.uses_vcc, 0
	.set _ZN7rocprim17ROCPRIM_400000_NS6detail17trampoline_kernelINS0_13select_configILj256ELj13ELNS0_17block_load_methodE3ELS4_3ELS4_3ELNS0_20block_scan_algorithmE0ELj4294967295EEENS1_25partition_config_selectorILNS1_17partition_subalgoE4EjNS0_10empty_typeEbEEZZNS1_14partition_implILS8_4ELb0ES6_15HIP_vector_typeIjLj2EENS0_17counting_iteratorIjlEEPS9_SG_NS0_5tupleIJPjSI_NS0_16reverse_iteratorISI_EEEEENSH_IJSG_SG_SG_EEES9_SI_JZNS1_25segmented_radix_sort_implINS0_14default_configELb1EPK6__halfPSP_PKlPlN2at6native12_GLOBAL__N_18offset_tEEE10hipError_tPvRmT1_PNSt15iterator_traitsIS13_E10value_typeET2_T3_PNS14_IS19_E10value_typeET4_jRbjT5_S1F_jjP12ihipStream_tbEUljE_ZNSN_ISO_Lb1ESR_SS_SU_SV_SZ_EES10_S11_S12_S13_S17_S18_S19_S1C_S1D_jS1E_jS1F_S1F_jjS1H_bEUljE0_EEES10_S11_S12_S19_S1D_S1F_T6_T7_T9_mT8_S1H_bDpT10_ENKUlT_T0_E_clISt17integral_constantIbLb0EES1V_EEDaS1Q_S1R_EUlS1Q_E_NS1_11comp_targetILNS1_3genE8ELNS1_11target_archE1030ELNS1_3gpuE2ELNS1_3repE0EEENS1_30default_config_static_selectorELNS0_4arch9wavefront6targetE0EEEvS13_.uses_flat_scratch, 0
	.set _ZN7rocprim17ROCPRIM_400000_NS6detail17trampoline_kernelINS0_13select_configILj256ELj13ELNS0_17block_load_methodE3ELS4_3ELS4_3ELNS0_20block_scan_algorithmE0ELj4294967295EEENS1_25partition_config_selectorILNS1_17partition_subalgoE4EjNS0_10empty_typeEbEEZZNS1_14partition_implILS8_4ELb0ES6_15HIP_vector_typeIjLj2EENS0_17counting_iteratorIjlEEPS9_SG_NS0_5tupleIJPjSI_NS0_16reverse_iteratorISI_EEEEENSH_IJSG_SG_SG_EEES9_SI_JZNS1_25segmented_radix_sort_implINS0_14default_configELb1EPK6__halfPSP_PKlPlN2at6native12_GLOBAL__N_18offset_tEEE10hipError_tPvRmT1_PNSt15iterator_traitsIS13_E10value_typeET2_T3_PNS14_IS19_E10value_typeET4_jRbjT5_S1F_jjP12ihipStream_tbEUljE_ZNSN_ISO_Lb1ESR_SS_SU_SV_SZ_EES10_S11_S12_S13_S17_S18_S19_S1C_S1D_jS1E_jS1F_S1F_jjS1H_bEUljE0_EEES10_S11_S12_S19_S1D_S1F_T6_T7_T9_mT8_S1H_bDpT10_ENKUlT_T0_E_clISt17integral_constantIbLb0EES1V_EEDaS1Q_S1R_EUlS1Q_E_NS1_11comp_targetILNS1_3genE8ELNS1_11target_archE1030ELNS1_3gpuE2ELNS1_3repE0EEENS1_30default_config_static_selectorELNS0_4arch9wavefront6targetE0EEEvS13_.has_dyn_sized_stack, 0
	.set _ZN7rocprim17ROCPRIM_400000_NS6detail17trampoline_kernelINS0_13select_configILj256ELj13ELNS0_17block_load_methodE3ELS4_3ELS4_3ELNS0_20block_scan_algorithmE0ELj4294967295EEENS1_25partition_config_selectorILNS1_17partition_subalgoE4EjNS0_10empty_typeEbEEZZNS1_14partition_implILS8_4ELb0ES6_15HIP_vector_typeIjLj2EENS0_17counting_iteratorIjlEEPS9_SG_NS0_5tupleIJPjSI_NS0_16reverse_iteratorISI_EEEEENSH_IJSG_SG_SG_EEES9_SI_JZNS1_25segmented_radix_sort_implINS0_14default_configELb1EPK6__halfPSP_PKlPlN2at6native12_GLOBAL__N_18offset_tEEE10hipError_tPvRmT1_PNSt15iterator_traitsIS13_E10value_typeET2_T3_PNS14_IS19_E10value_typeET4_jRbjT5_S1F_jjP12ihipStream_tbEUljE_ZNSN_ISO_Lb1ESR_SS_SU_SV_SZ_EES10_S11_S12_S13_S17_S18_S19_S1C_S1D_jS1E_jS1F_S1F_jjS1H_bEUljE0_EEES10_S11_S12_S19_S1D_S1F_T6_T7_T9_mT8_S1H_bDpT10_ENKUlT_T0_E_clISt17integral_constantIbLb0EES1V_EEDaS1Q_S1R_EUlS1Q_E_NS1_11comp_targetILNS1_3genE8ELNS1_11target_archE1030ELNS1_3gpuE2ELNS1_3repE0EEENS1_30default_config_static_selectorELNS0_4arch9wavefront6targetE0EEEvS13_.has_recursion, 0
	.set _ZN7rocprim17ROCPRIM_400000_NS6detail17trampoline_kernelINS0_13select_configILj256ELj13ELNS0_17block_load_methodE3ELS4_3ELS4_3ELNS0_20block_scan_algorithmE0ELj4294967295EEENS1_25partition_config_selectorILNS1_17partition_subalgoE4EjNS0_10empty_typeEbEEZZNS1_14partition_implILS8_4ELb0ES6_15HIP_vector_typeIjLj2EENS0_17counting_iteratorIjlEEPS9_SG_NS0_5tupleIJPjSI_NS0_16reverse_iteratorISI_EEEEENSH_IJSG_SG_SG_EEES9_SI_JZNS1_25segmented_radix_sort_implINS0_14default_configELb1EPK6__halfPSP_PKlPlN2at6native12_GLOBAL__N_18offset_tEEE10hipError_tPvRmT1_PNSt15iterator_traitsIS13_E10value_typeET2_T3_PNS14_IS19_E10value_typeET4_jRbjT5_S1F_jjP12ihipStream_tbEUljE_ZNSN_ISO_Lb1ESR_SS_SU_SV_SZ_EES10_S11_S12_S13_S17_S18_S19_S1C_S1D_jS1E_jS1F_S1F_jjS1H_bEUljE0_EEES10_S11_S12_S19_S1D_S1F_T6_T7_T9_mT8_S1H_bDpT10_ENKUlT_T0_E_clISt17integral_constantIbLb0EES1V_EEDaS1Q_S1R_EUlS1Q_E_NS1_11comp_targetILNS1_3genE8ELNS1_11target_archE1030ELNS1_3gpuE2ELNS1_3repE0EEENS1_30default_config_static_selectorELNS0_4arch9wavefront6targetE0EEEvS13_.has_indirect_call, 0
	.section	.AMDGPU.csdata,"",@progbits
; Kernel info:
; codeLenInByte = 0
; TotalNumSgprs: 0
; NumVgprs: 0
; ScratchSize: 0
; MemoryBound: 0
; FloatMode: 240
; IeeeMode: 1
; LDSByteSize: 0 bytes/workgroup (compile time only)
; SGPRBlocks: 0
; VGPRBlocks: 0
; NumSGPRsForWavesPerEU: 1
; NumVGPRsForWavesPerEU: 1
; NamedBarCnt: 0
; Occupancy: 16
; WaveLimiterHint : 0
; COMPUTE_PGM_RSRC2:SCRATCH_EN: 0
; COMPUTE_PGM_RSRC2:USER_SGPR: 2
; COMPUTE_PGM_RSRC2:TRAP_HANDLER: 0
; COMPUTE_PGM_RSRC2:TGID_X_EN: 1
; COMPUTE_PGM_RSRC2:TGID_Y_EN: 0
; COMPUTE_PGM_RSRC2:TGID_Z_EN: 0
; COMPUTE_PGM_RSRC2:TIDIG_COMP_CNT: 0
	.section	.text._ZN7rocprim17ROCPRIM_400000_NS6detail17trampoline_kernelINS0_13select_configILj256ELj13ELNS0_17block_load_methodE3ELS4_3ELS4_3ELNS0_20block_scan_algorithmE0ELj4294967295EEENS1_25partition_config_selectorILNS1_17partition_subalgoE4EjNS0_10empty_typeEbEEZZNS1_14partition_implILS8_4ELb0ES6_15HIP_vector_typeIjLj2EENS0_17counting_iteratorIjlEEPS9_SG_NS0_5tupleIJPjSI_NS0_16reverse_iteratorISI_EEEEENSH_IJSG_SG_SG_EEES9_SI_JZNS1_25segmented_radix_sort_implINS0_14default_configELb1EPK6__halfPSP_PKlPlN2at6native12_GLOBAL__N_18offset_tEEE10hipError_tPvRmT1_PNSt15iterator_traitsIS13_E10value_typeET2_T3_PNS14_IS19_E10value_typeET4_jRbjT5_S1F_jjP12ihipStream_tbEUljE_ZNSN_ISO_Lb1ESR_SS_SU_SV_SZ_EES10_S11_S12_S13_S17_S18_S19_S1C_S1D_jS1E_jS1F_S1F_jjS1H_bEUljE0_EEES10_S11_S12_S19_S1D_S1F_T6_T7_T9_mT8_S1H_bDpT10_ENKUlT_T0_E_clISt17integral_constantIbLb1EES1V_EEDaS1Q_S1R_EUlS1Q_E_NS1_11comp_targetILNS1_3genE0ELNS1_11target_archE4294967295ELNS1_3gpuE0ELNS1_3repE0EEENS1_30default_config_static_selectorELNS0_4arch9wavefront6targetE0EEEvS13_,"axG",@progbits,_ZN7rocprim17ROCPRIM_400000_NS6detail17trampoline_kernelINS0_13select_configILj256ELj13ELNS0_17block_load_methodE3ELS4_3ELS4_3ELNS0_20block_scan_algorithmE0ELj4294967295EEENS1_25partition_config_selectorILNS1_17partition_subalgoE4EjNS0_10empty_typeEbEEZZNS1_14partition_implILS8_4ELb0ES6_15HIP_vector_typeIjLj2EENS0_17counting_iteratorIjlEEPS9_SG_NS0_5tupleIJPjSI_NS0_16reverse_iteratorISI_EEEEENSH_IJSG_SG_SG_EEES9_SI_JZNS1_25segmented_radix_sort_implINS0_14default_configELb1EPK6__halfPSP_PKlPlN2at6native12_GLOBAL__N_18offset_tEEE10hipError_tPvRmT1_PNSt15iterator_traitsIS13_E10value_typeET2_T3_PNS14_IS19_E10value_typeET4_jRbjT5_S1F_jjP12ihipStream_tbEUljE_ZNSN_ISO_Lb1ESR_SS_SU_SV_SZ_EES10_S11_S12_S13_S17_S18_S19_S1C_S1D_jS1E_jS1F_S1F_jjS1H_bEUljE0_EEES10_S11_S12_S19_S1D_S1F_T6_T7_T9_mT8_S1H_bDpT10_ENKUlT_T0_E_clISt17integral_constantIbLb1EES1V_EEDaS1Q_S1R_EUlS1Q_E_NS1_11comp_targetILNS1_3genE0ELNS1_11target_archE4294967295ELNS1_3gpuE0ELNS1_3repE0EEENS1_30default_config_static_selectorELNS0_4arch9wavefront6targetE0EEEvS13_,comdat
	.globl	_ZN7rocprim17ROCPRIM_400000_NS6detail17trampoline_kernelINS0_13select_configILj256ELj13ELNS0_17block_load_methodE3ELS4_3ELS4_3ELNS0_20block_scan_algorithmE0ELj4294967295EEENS1_25partition_config_selectorILNS1_17partition_subalgoE4EjNS0_10empty_typeEbEEZZNS1_14partition_implILS8_4ELb0ES6_15HIP_vector_typeIjLj2EENS0_17counting_iteratorIjlEEPS9_SG_NS0_5tupleIJPjSI_NS0_16reverse_iteratorISI_EEEEENSH_IJSG_SG_SG_EEES9_SI_JZNS1_25segmented_radix_sort_implINS0_14default_configELb1EPK6__halfPSP_PKlPlN2at6native12_GLOBAL__N_18offset_tEEE10hipError_tPvRmT1_PNSt15iterator_traitsIS13_E10value_typeET2_T3_PNS14_IS19_E10value_typeET4_jRbjT5_S1F_jjP12ihipStream_tbEUljE_ZNSN_ISO_Lb1ESR_SS_SU_SV_SZ_EES10_S11_S12_S13_S17_S18_S19_S1C_S1D_jS1E_jS1F_S1F_jjS1H_bEUljE0_EEES10_S11_S12_S19_S1D_S1F_T6_T7_T9_mT8_S1H_bDpT10_ENKUlT_T0_E_clISt17integral_constantIbLb1EES1V_EEDaS1Q_S1R_EUlS1Q_E_NS1_11comp_targetILNS1_3genE0ELNS1_11target_archE4294967295ELNS1_3gpuE0ELNS1_3repE0EEENS1_30default_config_static_selectorELNS0_4arch9wavefront6targetE0EEEvS13_ ; -- Begin function _ZN7rocprim17ROCPRIM_400000_NS6detail17trampoline_kernelINS0_13select_configILj256ELj13ELNS0_17block_load_methodE3ELS4_3ELS4_3ELNS0_20block_scan_algorithmE0ELj4294967295EEENS1_25partition_config_selectorILNS1_17partition_subalgoE4EjNS0_10empty_typeEbEEZZNS1_14partition_implILS8_4ELb0ES6_15HIP_vector_typeIjLj2EENS0_17counting_iteratorIjlEEPS9_SG_NS0_5tupleIJPjSI_NS0_16reverse_iteratorISI_EEEEENSH_IJSG_SG_SG_EEES9_SI_JZNS1_25segmented_radix_sort_implINS0_14default_configELb1EPK6__halfPSP_PKlPlN2at6native12_GLOBAL__N_18offset_tEEE10hipError_tPvRmT1_PNSt15iterator_traitsIS13_E10value_typeET2_T3_PNS14_IS19_E10value_typeET4_jRbjT5_S1F_jjP12ihipStream_tbEUljE_ZNSN_ISO_Lb1ESR_SS_SU_SV_SZ_EES10_S11_S12_S13_S17_S18_S19_S1C_S1D_jS1E_jS1F_S1F_jjS1H_bEUljE0_EEES10_S11_S12_S19_S1D_S1F_T6_T7_T9_mT8_S1H_bDpT10_ENKUlT_T0_E_clISt17integral_constantIbLb1EES1V_EEDaS1Q_S1R_EUlS1Q_E_NS1_11comp_targetILNS1_3genE0ELNS1_11target_archE4294967295ELNS1_3gpuE0ELNS1_3repE0EEENS1_30default_config_static_selectorELNS0_4arch9wavefront6targetE0EEEvS13_
	.p2align	8
	.type	_ZN7rocprim17ROCPRIM_400000_NS6detail17trampoline_kernelINS0_13select_configILj256ELj13ELNS0_17block_load_methodE3ELS4_3ELS4_3ELNS0_20block_scan_algorithmE0ELj4294967295EEENS1_25partition_config_selectorILNS1_17partition_subalgoE4EjNS0_10empty_typeEbEEZZNS1_14partition_implILS8_4ELb0ES6_15HIP_vector_typeIjLj2EENS0_17counting_iteratorIjlEEPS9_SG_NS0_5tupleIJPjSI_NS0_16reverse_iteratorISI_EEEEENSH_IJSG_SG_SG_EEES9_SI_JZNS1_25segmented_radix_sort_implINS0_14default_configELb1EPK6__halfPSP_PKlPlN2at6native12_GLOBAL__N_18offset_tEEE10hipError_tPvRmT1_PNSt15iterator_traitsIS13_E10value_typeET2_T3_PNS14_IS19_E10value_typeET4_jRbjT5_S1F_jjP12ihipStream_tbEUljE_ZNSN_ISO_Lb1ESR_SS_SU_SV_SZ_EES10_S11_S12_S13_S17_S18_S19_S1C_S1D_jS1E_jS1F_S1F_jjS1H_bEUljE0_EEES10_S11_S12_S19_S1D_S1F_T6_T7_T9_mT8_S1H_bDpT10_ENKUlT_T0_E_clISt17integral_constantIbLb1EES1V_EEDaS1Q_S1R_EUlS1Q_E_NS1_11comp_targetILNS1_3genE0ELNS1_11target_archE4294967295ELNS1_3gpuE0ELNS1_3repE0EEENS1_30default_config_static_selectorELNS0_4arch9wavefront6targetE0EEEvS13_,@function
_ZN7rocprim17ROCPRIM_400000_NS6detail17trampoline_kernelINS0_13select_configILj256ELj13ELNS0_17block_load_methodE3ELS4_3ELS4_3ELNS0_20block_scan_algorithmE0ELj4294967295EEENS1_25partition_config_selectorILNS1_17partition_subalgoE4EjNS0_10empty_typeEbEEZZNS1_14partition_implILS8_4ELb0ES6_15HIP_vector_typeIjLj2EENS0_17counting_iteratorIjlEEPS9_SG_NS0_5tupleIJPjSI_NS0_16reverse_iteratorISI_EEEEENSH_IJSG_SG_SG_EEES9_SI_JZNS1_25segmented_radix_sort_implINS0_14default_configELb1EPK6__halfPSP_PKlPlN2at6native12_GLOBAL__N_18offset_tEEE10hipError_tPvRmT1_PNSt15iterator_traitsIS13_E10value_typeET2_T3_PNS14_IS19_E10value_typeET4_jRbjT5_S1F_jjP12ihipStream_tbEUljE_ZNSN_ISO_Lb1ESR_SS_SU_SV_SZ_EES10_S11_S12_S13_S17_S18_S19_S1C_S1D_jS1E_jS1F_S1F_jjS1H_bEUljE0_EEES10_S11_S12_S19_S1D_S1F_T6_T7_T9_mT8_S1H_bDpT10_ENKUlT_T0_E_clISt17integral_constantIbLb1EES1V_EEDaS1Q_S1R_EUlS1Q_E_NS1_11comp_targetILNS1_3genE0ELNS1_11target_archE4294967295ELNS1_3gpuE0ELNS1_3repE0EEENS1_30default_config_static_selectorELNS0_4arch9wavefront6targetE0EEEvS13_: ; @_ZN7rocprim17ROCPRIM_400000_NS6detail17trampoline_kernelINS0_13select_configILj256ELj13ELNS0_17block_load_methodE3ELS4_3ELS4_3ELNS0_20block_scan_algorithmE0ELj4294967295EEENS1_25partition_config_selectorILNS1_17partition_subalgoE4EjNS0_10empty_typeEbEEZZNS1_14partition_implILS8_4ELb0ES6_15HIP_vector_typeIjLj2EENS0_17counting_iteratorIjlEEPS9_SG_NS0_5tupleIJPjSI_NS0_16reverse_iteratorISI_EEEEENSH_IJSG_SG_SG_EEES9_SI_JZNS1_25segmented_radix_sort_implINS0_14default_configELb1EPK6__halfPSP_PKlPlN2at6native12_GLOBAL__N_18offset_tEEE10hipError_tPvRmT1_PNSt15iterator_traitsIS13_E10value_typeET2_T3_PNS14_IS19_E10value_typeET4_jRbjT5_S1F_jjP12ihipStream_tbEUljE_ZNSN_ISO_Lb1ESR_SS_SU_SV_SZ_EES10_S11_S12_S13_S17_S18_S19_S1C_S1D_jS1E_jS1F_S1F_jjS1H_bEUljE0_EEES10_S11_S12_S19_S1D_S1F_T6_T7_T9_mT8_S1H_bDpT10_ENKUlT_T0_E_clISt17integral_constantIbLb1EES1V_EEDaS1Q_S1R_EUlS1Q_E_NS1_11comp_targetILNS1_3genE0ELNS1_11target_archE4294967295ELNS1_3gpuE0ELNS1_3repE0EEENS1_30default_config_static_selectorELNS0_4arch9wavefront6targetE0EEEvS13_
; %bb.0:
	s_endpgm
	.section	.rodata,"a",@progbits
	.p2align	6, 0x0
	.amdhsa_kernel _ZN7rocprim17ROCPRIM_400000_NS6detail17trampoline_kernelINS0_13select_configILj256ELj13ELNS0_17block_load_methodE3ELS4_3ELS4_3ELNS0_20block_scan_algorithmE0ELj4294967295EEENS1_25partition_config_selectorILNS1_17partition_subalgoE4EjNS0_10empty_typeEbEEZZNS1_14partition_implILS8_4ELb0ES6_15HIP_vector_typeIjLj2EENS0_17counting_iteratorIjlEEPS9_SG_NS0_5tupleIJPjSI_NS0_16reverse_iteratorISI_EEEEENSH_IJSG_SG_SG_EEES9_SI_JZNS1_25segmented_radix_sort_implINS0_14default_configELb1EPK6__halfPSP_PKlPlN2at6native12_GLOBAL__N_18offset_tEEE10hipError_tPvRmT1_PNSt15iterator_traitsIS13_E10value_typeET2_T3_PNS14_IS19_E10value_typeET4_jRbjT5_S1F_jjP12ihipStream_tbEUljE_ZNSN_ISO_Lb1ESR_SS_SU_SV_SZ_EES10_S11_S12_S13_S17_S18_S19_S1C_S1D_jS1E_jS1F_S1F_jjS1H_bEUljE0_EEES10_S11_S12_S19_S1D_S1F_T6_T7_T9_mT8_S1H_bDpT10_ENKUlT_T0_E_clISt17integral_constantIbLb1EES1V_EEDaS1Q_S1R_EUlS1Q_E_NS1_11comp_targetILNS1_3genE0ELNS1_11target_archE4294967295ELNS1_3gpuE0ELNS1_3repE0EEENS1_30default_config_static_selectorELNS0_4arch9wavefront6targetE0EEEvS13_
		.amdhsa_group_segment_fixed_size 0
		.amdhsa_private_segment_fixed_size 0
		.amdhsa_kernarg_size 184
		.amdhsa_user_sgpr_count 2
		.amdhsa_user_sgpr_dispatch_ptr 0
		.amdhsa_user_sgpr_queue_ptr 0
		.amdhsa_user_sgpr_kernarg_segment_ptr 1
		.amdhsa_user_sgpr_dispatch_id 0
		.amdhsa_user_sgpr_kernarg_preload_length 0
		.amdhsa_user_sgpr_kernarg_preload_offset 0
		.amdhsa_user_sgpr_private_segment_size 0
		.amdhsa_wavefront_size32 1
		.amdhsa_uses_dynamic_stack 0
		.amdhsa_enable_private_segment 0
		.amdhsa_system_sgpr_workgroup_id_x 1
		.amdhsa_system_sgpr_workgroup_id_y 0
		.amdhsa_system_sgpr_workgroup_id_z 0
		.amdhsa_system_sgpr_workgroup_info 0
		.amdhsa_system_vgpr_workitem_id 0
		.amdhsa_next_free_vgpr 1
		.amdhsa_next_free_sgpr 1
		.amdhsa_named_barrier_count 0
		.amdhsa_reserve_vcc 0
		.amdhsa_float_round_mode_32 0
		.amdhsa_float_round_mode_16_64 0
		.amdhsa_float_denorm_mode_32 3
		.amdhsa_float_denorm_mode_16_64 3
		.amdhsa_fp16_overflow 0
		.amdhsa_memory_ordered 1
		.amdhsa_forward_progress 1
		.amdhsa_inst_pref_size 1
		.amdhsa_round_robin_scheduling 0
		.amdhsa_exception_fp_ieee_invalid_op 0
		.amdhsa_exception_fp_denorm_src 0
		.amdhsa_exception_fp_ieee_div_zero 0
		.amdhsa_exception_fp_ieee_overflow 0
		.amdhsa_exception_fp_ieee_underflow 0
		.amdhsa_exception_fp_ieee_inexact 0
		.amdhsa_exception_int_div_zero 0
	.end_amdhsa_kernel
	.section	.text._ZN7rocprim17ROCPRIM_400000_NS6detail17trampoline_kernelINS0_13select_configILj256ELj13ELNS0_17block_load_methodE3ELS4_3ELS4_3ELNS0_20block_scan_algorithmE0ELj4294967295EEENS1_25partition_config_selectorILNS1_17partition_subalgoE4EjNS0_10empty_typeEbEEZZNS1_14partition_implILS8_4ELb0ES6_15HIP_vector_typeIjLj2EENS0_17counting_iteratorIjlEEPS9_SG_NS0_5tupleIJPjSI_NS0_16reverse_iteratorISI_EEEEENSH_IJSG_SG_SG_EEES9_SI_JZNS1_25segmented_radix_sort_implINS0_14default_configELb1EPK6__halfPSP_PKlPlN2at6native12_GLOBAL__N_18offset_tEEE10hipError_tPvRmT1_PNSt15iterator_traitsIS13_E10value_typeET2_T3_PNS14_IS19_E10value_typeET4_jRbjT5_S1F_jjP12ihipStream_tbEUljE_ZNSN_ISO_Lb1ESR_SS_SU_SV_SZ_EES10_S11_S12_S13_S17_S18_S19_S1C_S1D_jS1E_jS1F_S1F_jjS1H_bEUljE0_EEES10_S11_S12_S19_S1D_S1F_T6_T7_T9_mT8_S1H_bDpT10_ENKUlT_T0_E_clISt17integral_constantIbLb1EES1V_EEDaS1Q_S1R_EUlS1Q_E_NS1_11comp_targetILNS1_3genE0ELNS1_11target_archE4294967295ELNS1_3gpuE0ELNS1_3repE0EEENS1_30default_config_static_selectorELNS0_4arch9wavefront6targetE0EEEvS13_,"axG",@progbits,_ZN7rocprim17ROCPRIM_400000_NS6detail17trampoline_kernelINS0_13select_configILj256ELj13ELNS0_17block_load_methodE3ELS4_3ELS4_3ELNS0_20block_scan_algorithmE0ELj4294967295EEENS1_25partition_config_selectorILNS1_17partition_subalgoE4EjNS0_10empty_typeEbEEZZNS1_14partition_implILS8_4ELb0ES6_15HIP_vector_typeIjLj2EENS0_17counting_iteratorIjlEEPS9_SG_NS0_5tupleIJPjSI_NS0_16reverse_iteratorISI_EEEEENSH_IJSG_SG_SG_EEES9_SI_JZNS1_25segmented_radix_sort_implINS0_14default_configELb1EPK6__halfPSP_PKlPlN2at6native12_GLOBAL__N_18offset_tEEE10hipError_tPvRmT1_PNSt15iterator_traitsIS13_E10value_typeET2_T3_PNS14_IS19_E10value_typeET4_jRbjT5_S1F_jjP12ihipStream_tbEUljE_ZNSN_ISO_Lb1ESR_SS_SU_SV_SZ_EES10_S11_S12_S13_S17_S18_S19_S1C_S1D_jS1E_jS1F_S1F_jjS1H_bEUljE0_EEES10_S11_S12_S19_S1D_S1F_T6_T7_T9_mT8_S1H_bDpT10_ENKUlT_T0_E_clISt17integral_constantIbLb1EES1V_EEDaS1Q_S1R_EUlS1Q_E_NS1_11comp_targetILNS1_3genE0ELNS1_11target_archE4294967295ELNS1_3gpuE0ELNS1_3repE0EEENS1_30default_config_static_selectorELNS0_4arch9wavefront6targetE0EEEvS13_,comdat
.Lfunc_end1673:
	.size	_ZN7rocprim17ROCPRIM_400000_NS6detail17trampoline_kernelINS0_13select_configILj256ELj13ELNS0_17block_load_methodE3ELS4_3ELS4_3ELNS0_20block_scan_algorithmE0ELj4294967295EEENS1_25partition_config_selectorILNS1_17partition_subalgoE4EjNS0_10empty_typeEbEEZZNS1_14partition_implILS8_4ELb0ES6_15HIP_vector_typeIjLj2EENS0_17counting_iteratorIjlEEPS9_SG_NS0_5tupleIJPjSI_NS0_16reverse_iteratorISI_EEEEENSH_IJSG_SG_SG_EEES9_SI_JZNS1_25segmented_radix_sort_implINS0_14default_configELb1EPK6__halfPSP_PKlPlN2at6native12_GLOBAL__N_18offset_tEEE10hipError_tPvRmT1_PNSt15iterator_traitsIS13_E10value_typeET2_T3_PNS14_IS19_E10value_typeET4_jRbjT5_S1F_jjP12ihipStream_tbEUljE_ZNSN_ISO_Lb1ESR_SS_SU_SV_SZ_EES10_S11_S12_S13_S17_S18_S19_S1C_S1D_jS1E_jS1F_S1F_jjS1H_bEUljE0_EEES10_S11_S12_S19_S1D_S1F_T6_T7_T9_mT8_S1H_bDpT10_ENKUlT_T0_E_clISt17integral_constantIbLb1EES1V_EEDaS1Q_S1R_EUlS1Q_E_NS1_11comp_targetILNS1_3genE0ELNS1_11target_archE4294967295ELNS1_3gpuE0ELNS1_3repE0EEENS1_30default_config_static_selectorELNS0_4arch9wavefront6targetE0EEEvS13_, .Lfunc_end1673-_ZN7rocprim17ROCPRIM_400000_NS6detail17trampoline_kernelINS0_13select_configILj256ELj13ELNS0_17block_load_methodE3ELS4_3ELS4_3ELNS0_20block_scan_algorithmE0ELj4294967295EEENS1_25partition_config_selectorILNS1_17partition_subalgoE4EjNS0_10empty_typeEbEEZZNS1_14partition_implILS8_4ELb0ES6_15HIP_vector_typeIjLj2EENS0_17counting_iteratorIjlEEPS9_SG_NS0_5tupleIJPjSI_NS0_16reverse_iteratorISI_EEEEENSH_IJSG_SG_SG_EEES9_SI_JZNS1_25segmented_radix_sort_implINS0_14default_configELb1EPK6__halfPSP_PKlPlN2at6native12_GLOBAL__N_18offset_tEEE10hipError_tPvRmT1_PNSt15iterator_traitsIS13_E10value_typeET2_T3_PNS14_IS19_E10value_typeET4_jRbjT5_S1F_jjP12ihipStream_tbEUljE_ZNSN_ISO_Lb1ESR_SS_SU_SV_SZ_EES10_S11_S12_S13_S17_S18_S19_S1C_S1D_jS1E_jS1F_S1F_jjS1H_bEUljE0_EEES10_S11_S12_S19_S1D_S1F_T6_T7_T9_mT8_S1H_bDpT10_ENKUlT_T0_E_clISt17integral_constantIbLb1EES1V_EEDaS1Q_S1R_EUlS1Q_E_NS1_11comp_targetILNS1_3genE0ELNS1_11target_archE4294967295ELNS1_3gpuE0ELNS1_3repE0EEENS1_30default_config_static_selectorELNS0_4arch9wavefront6targetE0EEEvS13_
                                        ; -- End function
	.set _ZN7rocprim17ROCPRIM_400000_NS6detail17trampoline_kernelINS0_13select_configILj256ELj13ELNS0_17block_load_methodE3ELS4_3ELS4_3ELNS0_20block_scan_algorithmE0ELj4294967295EEENS1_25partition_config_selectorILNS1_17partition_subalgoE4EjNS0_10empty_typeEbEEZZNS1_14partition_implILS8_4ELb0ES6_15HIP_vector_typeIjLj2EENS0_17counting_iteratorIjlEEPS9_SG_NS0_5tupleIJPjSI_NS0_16reverse_iteratorISI_EEEEENSH_IJSG_SG_SG_EEES9_SI_JZNS1_25segmented_radix_sort_implINS0_14default_configELb1EPK6__halfPSP_PKlPlN2at6native12_GLOBAL__N_18offset_tEEE10hipError_tPvRmT1_PNSt15iterator_traitsIS13_E10value_typeET2_T3_PNS14_IS19_E10value_typeET4_jRbjT5_S1F_jjP12ihipStream_tbEUljE_ZNSN_ISO_Lb1ESR_SS_SU_SV_SZ_EES10_S11_S12_S13_S17_S18_S19_S1C_S1D_jS1E_jS1F_S1F_jjS1H_bEUljE0_EEES10_S11_S12_S19_S1D_S1F_T6_T7_T9_mT8_S1H_bDpT10_ENKUlT_T0_E_clISt17integral_constantIbLb1EES1V_EEDaS1Q_S1R_EUlS1Q_E_NS1_11comp_targetILNS1_3genE0ELNS1_11target_archE4294967295ELNS1_3gpuE0ELNS1_3repE0EEENS1_30default_config_static_selectorELNS0_4arch9wavefront6targetE0EEEvS13_.num_vgpr, 0
	.set _ZN7rocprim17ROCPRIM_400000_NS6detail17trampoline_kernelINS0_13select_configILj256ELj13ELNS0_17block_load_methodE3ELS4_3ELS4_3ELNS0_20block_scan_algorithmE0ELj4294967295EEENS1_25partition_config_selectorILNS1_17partition_subalgoE4EjNS0_10empty_typeEbEEZZNS1_14partition_implILS8_4ELb0ES6_15HIP_vector_typeIjLj2EENS0_17counting_iteratorIjlEEPS9_SG_NS0_5tupleIJPjSI_NS0_16reverse_iteratorISI_EEEEENSH_IJSG_SG_SG_EEES9_SI_JZNS1_25segmented_radix_sort_implINS0_14default_configELb1EPK6__halfPSP_PKlPlN2at6native12_GLOBAL__N_18offset_tEEE10hipError_tPvRmT1_PNSt15iterator_traitsIS13_E10value_typeET2_T3_PNS14_IS19_E10value_typeET4_jRbjT5_S1F_jjP12ihipStream_tbEUljE_ZNSN_ISO_Lb1ESR_SS_SU_SV_SZ_EES10_S11_S12_S13_S17_S18_S19_S1C_S1D_jS1E_jS1F_S1F_jjS1H_bEUljE0_EEES10_S11_S12_S19_S1D_S1F_T6_T7_T9_mT8_S1H_bDpT10_ENKUlT_T0_E_clISt17integral_constantIbLb1EES1V_EEDaS1Q_S1R_EUlS1Q_E_NS1_11comp_targetILNS1_3genE0ELNS1_11target_archE4294967295ELNS1_3gpuE0ELNS1_3repE0EEENS1_30default_config_static_selectorELNS0_4arch9wavefront6targetE0EEEvS13_.num_agpr, 0
	.set _ZN7rocprim17ROCPRIM_400000_NS6detail17trampoline_kernelINS0_13select_configILj256ELj13ELNS0_17block_load_methodE3ELS4_3ELS4_3ELNS0_20block_scan_algorithmE0ELj4294967295EEENS1_25partition_config_selectorILNS1_17partition_subalgoE4EjNS0_10empty_typeEbEEZZNS1_14partition_implILS8_4ELb0ES6_15HIP_vector_typeIjLj2EENS0_17counting_iteratorIjlEEPS9_SG_NS0_5tupleIJPjSI_NS0_16reverse_iteratorISI_EEEEENSH_IJSG_SG_SG_EEES9_SI_JZNS1_25segmented_radix_sort_implINS0_14default_configELb1EPK6__halfPSP_PKlPlN2at6native12_GLOBAL__N_18offset_tEEE10hipError_tPvRmT1_PNSt15iterator_traitsIS13_E10value_typeET2_T3_PNS14_IS19_E10value_typeET4_jRbjT5_S1F_jjP12ihipStream_tbEUljE_ZNSN_ISO_Lb1ESR_SS_SU_SV_SZ_EES10_S11_S12_S13_S17_S18_S19_S1C_S1D_jS1E_jS1F_S1F_jjS1H_bEUljE0_EEES10_S11_S12_S19_S1D_S1F_T6_T7_T9_mT8_S1H_bDpT10_ENKUlT_T0_E_clISt17integral_constantIbLb1EES1V_EEDaS1Q_S1R_EUlS1Q_E_NS1_11comp_targetILNS1_3genE0ELNS1_11target_archE4294967295ELNS1_3gpuE0ELNS1_3repE0EEENS1_30default_config_static_selectorELNS0_4arch9wavefront6targetE0EEEvS13_.numbered_sgpr, 0
	.set _ZN7rocprim17ROCPRIM_400000_NS6detail17trampoline_kernelINS0_13select_configILj256ELj13ELNS0_17block_load_methodE3ELS4_3ELS4_3ELNS0_20block_scan_algorithmE0ELj4294967295EEENS1_25partition_config_selectorILNS1_17partition_subalgoE4EjNS0_10empty_typeEbEEZZNS1_14partition_implILS8_4ELb0ES6_15HIP_vector_typeIjLj2EENS0_17counting_iteratorIjlEEPS9_SG_NS0_5tupleIJPjSI_NS0_16reverse_iteratorISI_EEEEENSH_IJSG_SG_SG_EEES9_SI_JZNS1_25segmented_radix_sort_implINS0_14default_configELb1EPK6__halfPSP_PKlPlN2at6native12_GLOBAL__N_18offset_tEEE10hipError_tPvRmT1_PNSt15iterator_traitsIS13_E10value_typeET2_T3_PNS14_IS19_E10value_typeET4_jRbjT5_S1F_jjP12ihipStream_tbEUljE_ZNSN_ISO_Lb1ESR_SS_SU_SV_SZ_EES10_S11_S12_S13_S17_S18_S19_S1C_S1D_jS1E_jS1F_S1F_jjS1H_bEUljE0_EEES10_S11_S12_S19_S1D_S1F_T6_T7_T9_mT8_S1H_bDpT10_ENKUlT_T0_E_clISt17integral_constantIbLb1EES1V_EEDaS1Q_S1R_EUlS1Q_E_NS1_11comp_targetILNS1_3genE0ELNS1_11target_archE4294967295ELNS1_3gpuE0ELNS1_3repE0EEENS1_30default_config_static_selectorELNS0_4arch9wavefront6targetE0EEEvS13_.num_named_barrier, 0
	.set _ZN7rocprim17ROCPRIM_400000_NS6detail17trampoline_kernelINS0_13select_configILj256ELj13ELNS0_17block_load_methodE3ELS4_3ELS4_3ELNS0_20block_scan_algorithmE0ELj4294967295EEENS1_25partition_config_selectorILNS1_17partition_subalgoE4EjNS0_10empty_typeEbEEZZNS1_14partition_implILS8_4ELb0ES6_15HIP_vector_typeIjLj2EENS0_17counting_iteratorIjlEEPS9_SG_NS0_5tupleIJPjSI_NS0_16reverse_iteratorISI_EEEEENSH_IJSG_SG_SG_EEES9_SI_JZNS1_25segmented_radix_sort_implINS0_14default_configELb1EPK6__halfPSP_PKlPlN2at6native12_GLOBAL__N_18offset_tEEE10hipError_tPvRmT1_PNSt15iterator_traitsIS13_E10value_typeET2_T3_PNS14_IS19_E10value_typeET4_jRbjT5_S1F_jjP12ihipStream_tbEUljE_ZNSN_ISO_Lb1ESR_SS_SU_SV_SZ_EES10_S11_S12_S13_S17_S18_S19_S1C_S1D_jS1E_jS1F_S1F_jjS1H_bEUljE0_EEES10_S11_S12_S19_S1D_S1F_T6_T7_T9_mT8_S1H_bDpT10_ENKUlT_T0_E_clISt17integral_constantIbLb1EES1V_EEDaS1Q_S1R_EUlS1Q_E_NS1_11comp_targetILNS1_3genE0ELNS1_11target_archE4294967295ELNS1_3gpuE0ELNS1_3repE0EEENS1_30default_config_static_selectorELNS0_4arch9wavefront6targetE0EEEvS13_.private_seg_size, 0
	.set _ZN7rocprim17ROCPRIM_400000_NS6detail17trampoline_kernelINS0_13select_configILj256ELj13ELNS0_17block_load_methodE3ELS4_3ELS4_3ELNS0_20block_scan_algorithmE0ELj4294967295EEENS1_25partition_config_selectorILNS1_17partition_subalgoE4EjNS0_10empty_typeEbEEZZNS1_14partition_implILS8_4ELb0ES6_15HIP_vector_typeIjLj2EENS0_17counting_iteratorIjlEEPS9_SG_NS0_5tupleIJPjSI_NS0_16reverse_iteratorISI_EEEEENSH_IJSG_SG_SG_EEES9_SI_JZNS1_25segmented_radix_sort_implINS0_14default_configELb1EPK6__halfPSP_PKlPlN2at6native12_GLOBAL__N_18offset_tEEE10hipError_tPvRmT1_PNSt15iterator_traitsIS13_E10value_typeET2_T3_PNS14_IS19_E10value_typeET4_jRbjT5_S1F_jjP12ihipStream_tbEUljE_ZNSN_ISO_Lb1ESR_SS_SU_SV_SZ_EES10_S11_S12_S13_S17_S18_S19_S1C_S1D_jS1E_jS1F_S1F_jjS1H_bEUljE0_EEES10_S11_S12_S19_S1D_S1F_T6_T7_T9_mT8_S1H_bDpT10_ENKUlT_T0_E_clISt17integral_constantIbLb1EES1V_EEDaS1Q_S1R_EUlS1Q_E_NS1_11comp_targetILNS1_3genE0ELNS1_11target_archE4294967295ELNS1_3gpuE0ELNS1_3repE0EEENS1_30default_config_static_selectorELNS0_4arch9wavefront6targetE0EEEvS13_.uses_vcc, 0
	.set _ZN7rocprim17ROCPRIM_400000_NS6detail17trampoline_kernelINS0_13select_configILj256ELj13ELNS0_17block_load_methodE3ELS4_3ELS4_3ELNS0_20block_scan_algorithmE0ELj4294967295EEENS1_25partition_config_selectorILNS1_17partition_subalgoE4EjNS0_10empty_typeEbEEZZNS1_14partition_implILS8_4ELb0ES6_15HIP_vector_typeIjLj2EENS0_17counting_iteratorIjlEEPS9_SG_NS0_5tupleIJPjSI_NS0_16reverse_iteratorISI_EEEEENSH_IJSG_SG_SG_EEES9_SI_JZNS1_25segmented_radix_sort_implINS0_14default_configELb1EPK6__halfPSP_PKlPlN2at6native12_GLOBAL__N_18offset_tEEE10hipError_tPvRmT1_PNSt15iterator_traitsIS13_E10value_typeET2_T3_PNS14_IS19_E10value_typeET4_jRbjT5_S1F_jjP12ihipStream_tbEUljE_ZNSN_ISO_Lb1ESR_SS_SU_SV_SZ_EES10_S11_S12_S13_S17_S18_S19_S1C_S1D_jS1E_jS1F_S1F_jjS1H_bEUljE0_EEES10_S11_S12_S19_S1D_S1F_T6_T7_T9_mT8_S1H_bDpT10_ENKUlT_T0_E_clISt17integral_constantIbLb1EES1V_EEDaS1Q_S1R_EUlS1Q_E_NS1_11comp_targetILNS1_3genE0ELNS1_11target_archE4294967295ELNS1_3gpuE0ELNS1_3repE0EEENS1_30default_config_static_selectorELNS0_4arch9wavefront6targetE0EEEvS13_.uses_flat_scratch, 0
	.set _ZN7rocprim17ROCPRIM_400000_NS6detail17trampoline_kernelINS0_13select_configILj256ELj13ELNS0_17block_load_methodE3ELS4_3ELS4_3ELNS0_20block_scan_algorithmE0ELj4294967295EEENS1_25partition_config_selectorILNS1_17partition_subalgoE4EjNS0_10empty_typeEbEEZZNS1_14partition_implILS8_4ELb0ES6_15HIP_vector_typeIjLj2EENS0_17counting_iteratorIjlEEPS9_SG_NS0_5tupleIJPjSI_NS0_16reverse_iteratorISI_EEEEENSH_IJSG_SG_SG_EEES9_SI_JZNS1_25segmented_radix_sort_implINS0_14default_configELb1EPK6__halfPSP_PKlPlN2at6native12_GLOBAL__N_18offset_tEEE10hipError_tPvRmT1_PNSt15iterator_traitsIS13_E10value_typeET2_T3_PNS14_IS19_E10value_typeET4_jRbjT5_S1F_jjP12ihipStream_tbEUljE_ZNSN_ISO_Lb1ESR_SS_SU_SV_SZ_EES10_S11_S12_S13_S17_S18_S19_S1C_S1D_jS1E_jS1F_S1F_jjS1H_bEUljE0_EEES10_S11_S12_S19_S1D_S1F_T6_T7_T9_mT8_S1H_bDpT10_ENKUlT_T0_E_clISt17integral_constantIbLb1EES1V_EEDaS1Q_S1R_EUlS1Q_E_NS1_11comp_targetILNS1_3genE0ELNS1_11target_archE4294967295ELNS1_3gpuE0ELNS1_3repE0EEENS1_30default_config_static_selectorELNS0_4arch9wavefront6targetE0EEEvS13_.has_dyn_sized_stack, 0
	.set _ZN7rocprim17ROCPRIM_400000_NS6detail17trampoline_kernelINS0_13select_configILj256ELj13ELNS0_17block_load_methodE3ELS4_3ELS4_3ELNS0_20block_scan_algorithmE0ELj4294967295EEENS1_25partition_config_selectorILNS1_17partition_subalgoE4EjNS0_10empty_typeEbEEZZNS1_14partition_implILS8_4ELb0ES6_15HIP_vector_typeIjLj2EENS0_17counting_iteratorIjlEEPS9_SG_NS0_5tupleIJPjSI_NS0_16reverse_iteratorISI_EEEEENSH_IJSG_SG_SG_EEES9_SI_JZNS1_25segmented_radix_sort_implINS0_14default_configELb1EPK6__halfPSP_PKlPlN2at6native12_GLOBAL__N_18offset_tEEE10hipError_tPvRmT1_PNSt15iterator_traitsIS13_E10value_typeET2_T3_PNS14_IS19_E10value_typeET4_jRbjT5_S1F_jjP12ihipStream_tbEUljE_ZNSN_ISO_Lb1ESR_SS_SU_SV_SZ_EES10_S11_S12_S13_S17_S18_S19_S1C_S1D_jS1E_jS1F_S1F_jjS1H_bEUljE0_EEES10_S11_S12_S19_S1D_S1F_T6_T7_T9_mT8_S1H_bDpT10_ENKUlT_T0_E_clISt17integral_constantIbLb1EES1V_EEDaS1Q_S1R_EUlS1Q_E_NS1_11comp_targetILNS1_3genE0ELNS1_11target_archE4294967295ELNS1_3gpuE0ELNS1_3repE0EEENS1_30default_config_static_selectorELNS0_4arch9wavefront6targetE0EEEvS13_.has_recursion, 0
	.set _ZN7rocprim17ROCPRIM_400000_NS6detail17trampoline_kernelINS0_13select_configILj256ELj13ELNS0_17block_load_methodE3ELS4_3ELS4_3ELNS0_20block_scan_algorithmE0ELj4294967295EEENS1_25partition_config_selectorILNS1_17partition_subalgoE4EjNS0_10empty_typeEbEEZZNS1_14partition_implILS8_4ELb0ES6_15HIP_vector_typeIjLj2EENS0_17counting_iteratorIjlEEPS9_SG_NS0_5tupleIJPjSI_NS0_16reverse_iteratorISI_EEEEENSH_IJSG_SG_SG_EEES9_SI_JZNS1_25segmented_radix_sort_implINS0_14default_configELb1EPK6__halfPSP_PKlPlN2at6native12_GLOBAL__N_18offset_tEEE10hipError_tPvRmT1_PNSt15iterator_traitsIS13_E10value_typeET2_T3_PNS14_IS19_E10value_typeET4_jRbjT5_S1F_jjP12ihipStream_tbEUljE_ZNSN_ISO_Lb1ESR_SS_SU_SV_SZ_EES10_S11_S12_S13_S17_S18_S19_S1C_S1D_jS1E_jS1F_S1F_jjS1H_bEUljE0_EEES10_S11_S12_S19_S1D_S1F_T6_T7_T9_mT8_S1H_bDpT10_ENKUlT_T0_E_clISt17integral_constantIbLb1EES1V_EEDaS1Q_S1R_EUlS1Q_E_NS1_11comp_targetILNS1_3genE0ELNS1_11target_archE4294967295ELNS1_3gpuE0ELNS1_3repE0EEENS1_30default_config_static_selectorELNS0_4arch9wavefront6targetE0EEEvS13_.has_indirect_call, 0
	.section	.AMDGPU.csdata,"",@progbits
; Kernel info:
; codeLenInByte = 4
; TotalNumSgprs: 0
; NumVgprs: 0
; ScratchSize: 0
; MemoryBound: 0
; FloatMode: 240
; IeeeMode: 1
; LDSByteSize: 0 bytes/workgroup (compile time only)
; SGPRBlocks: 0
; VGPRBlocks: 0
; NumSGPRsForWavesPerEU: 1
; NumVGPRsForWavesPerEU: 1
; NamedBarCnt: 0
; Occupancy: 16
; WaveLimiterHint : 0
; COMPUTE_PGM_RSRC2:SCRATCH_EN: 0
; COMPUTE_PGM_RSRC2:USER_SGPR: 2
; COMPUTE_PGM_RSRC2:TRAP_HANDLER: 0
; COMPUTE_PGM_RSRC2:TGID_X_EN: 1
; COMPUTE_PGM_RSRC2:TGID_Y_EN: 0
; COMPUTE_PGM_RSRC2:TGID_Z_EN: 0
; COMPUTE_PGM_RSRC2:TIDIG_COMP_CNT: 0
	.section	.text._ZN7rocprim17ROCPRIM_400000_NS6detail17trampoline_kernelINS0_13select_configILj256ELj13ELNS0_17block_load_methodE3ELS4_3ELS4_3ELNS0_20block_scan_algorithmE0ELj4294967295EEENS1_25partition_config_selectorILNS1_17partition_subalgoE4EjNS0_10empty_typeEbEEZZNS1_14partition_implILS8_4ELb0ES6_15HIP_vector_typeIjLj2EENS0_17counting_iteratorIjlEEPS9_SG_NS0_5tupleIJPjSI_NS0_16reverse_iteratorISI_EEEEENSH_IJSG_SG_SG_EEES9_SI_JZNS1_25segmented_radix_sort_implINS0_14default_configELb1EPK6__halfPSP_PKlPlN2at6native12_GLOBAL__N_18offset_tEEE10hipError_tPvRmT1_PNSt15iterator_traitsIS13_E10value_typeET2_T3_PNS14_IS19_E10value_typeET4_jRbjT5_S1F_jjP12ihipStream_tbEUljE_ZNSN_ISO_Lb1ESR_SS_SU_SV_SZ_EES10_S11_S12_S13_S17_S18_S19_S1C_S1D_jS1E_jS1F_S1F_jjS1H_bEUljE0_EEES10_S11_S12_S19_S1D_S1F_T6_T7_T9_mT8_S1H_bDpT10_ENKUlT_T0_E_clISt17integral_constantIbLb1EES1V_EEDaS1Q_S1R_EUlS1Q_E_NS1_11comp_targetILNS1_3genE5ELNS1_11target_archE942ELNS1_3gpuE9ELNS1_3repE0EEENS1_30default_config_static_selectorELNS0_4arch9wavefront6targetE0EEEvS13_,"axG",@progbits,_ZN7rocprim17ROCPRIM_400000_NS6detail17trampoline_kernelINS0_13select_configILj256ELj13ELNS0_17block_load_methodE3ELS4_3ELS4_3ELNS0_20block_scan_algorithmE0ELj4294967295EEENS1_25partition_config_selectorILNS1_17partition_subalgoE4EjNS0_10empty_typeEbEEZZNS1_14partition_implILS8_4ELb0ES6_15HIP_vector_typeIjLj2EENS0_17counting_iteratorIjlEEPS9_SG_NS0_5tupleIJPjSI_NS0_16reverse_iteratorISI_EEEEENSH_IJSG_SG_SG_EEES9_SI_JZNS1_25segmented_radix_sort_implINS0_14default_configELb1EPK6__halfPSP_PKlPlN2at6native12_GLOBAL__N_18offset_tEEE10hipError_tPvRmT1_PNSt15iterator_traitsIS13_E10value_typeET2_T3_PNS14_IS19_E10value_typeET4_jRbjT5_S1F_jjP12ihipStream_tbEUljE_ZNSN_ISO_Lb1ESR_SS_SU_SV_SZ_EES10_S11_S12_S13_S17_S18_S19_S1C_S1D_jS1E_jS1F_S1F_jjS1H_bEUljE0_EEES10_S11_S12_S19_S1D_S1F_T6_T7_T9_mT8_S1H_bDpT10_ENKUlT_T0_E_clISt17integral_constantIbLb1EES1V_EEDaS1Q_S1R_EUlS1Q_E_NS1_11comp_targetILNS1_3genE5ELNS1_11target_archE942ELNS1_3gpuE9ELNS1_3repE0EEENS1_30default_config_static_selectorELNS0_4arch9wavefront6targetE0EEEvS13_,comdat
	.globl	_ZN7rocprim17ROCPRIM_400000_NS6detail17trampoline_kernelINS0_13select_configILj256ELj13ELNS0_17block_load_methodE3ELS4_3ELS4_3ELNS0_20block_scan_algorithmE0ELj4294967295EEENS1_25partition_config_selectorILNS1_17partition_subalgoE4EjNS0_10empty_typeEbEEZZNS1_14partition_implILS8_4ELb0ES6_15HIP_vector_typeIjLj2EENS0_17counting_iteratorIjlEEPS9_SG_NS0_5tupleIJPjSI_NS0_16reverse_iteratorISI_EEEEENSH_IJSG_SG_SG_EEES9_SI_JZNS1_25segmented_radix_sort_implINS0_14default_configELb1EPK6__halfPSP_PKlPlN2at6native12_GLOBAL__N_18offset_tEEE10hipError_tPvRmT1_PNSt15iterator_traitsIS13_E10value_typeET2_T3_PNS14_IS19_E10value_typeET4_jRbjT5_S1F_jjP12ihipStream_tbEUljE_ZNSN_ISO_Lb1ESR_SS_SU_SV_SZ_EES10_S11_S12_S13_S17_S18_S19_S1C_S1D_jS1E_jS1F_S1F_jjS1H_bEUljE0_EEES10_S11_S12_S19_S1D_S1F_T6_T7_T9_mT8_S1H_bDpT10_ENKUlT_T0_E_clISt17integral_constantIbLb1EES1V_EEDaS1Q_S1R_EUlS1Q_E_NS1_11comp_targetILNS1_3genE5ELNS1_11target_archE942ELNS1_3gpuE9ELNS1_3repE0EEENS1_30default_config_static_selectorELNS0_4arch9wavefront6targetE0EEEvS13_ ; -- Begin function _ZN7rocprim17ROCPRIM_400000_NS6detail17trampoline_kernelINS0_13select_configILj256ELj13ELNS0_17block_load_methodE3ELS4_3ELS4_3ELNS0_20block_scan_algorithmE0ELj4294967295EEENS1_25partition_config_selectorILNS1_17partition_subalgoE4EjNS0_10empty_typeEbEEZZNS1_14partition_implILS8_4ELb0ES6_15HIP_vector_typeIjLj2EENS0_17counting_iteratorIjlEEPS9_SG_NS0_5tupleIJPjSI_NS0_16reverse_iteratorISI_EEEEENSH_IJSG_SG_SG_EEES9_SI_JZNS1_25segmented_radix_sort_implINS0_14default_configELb1EPK6__halfPSP_PKlPlN2at6native12_GLOBAL__N_18offset_tEEE10hipError_tPvRmT1_PNSt15iterator_traitsIS13_E10value_typeET2_T3_PNS14_IS19_E10value_typeET4_jRbjT5_S1F_jjP12ihipStream_tbEUljE_ZNSN_ISO_Lb1ESR_SS_SU_SV_SZ_EES10_S11_S12_S13_S17_S18_S19_S1C_S1D_jS1E_jS1F_S1F_jjS1H_bEUljE0_EEES10_S11_S12_S19_S1D_S1F_T6_T7_T9_mT8_S1H_bDpT10_ENKUlT_T0_E_clISt17integral_constantIbLb1EES1V_EEDaS1Q_S1R_EUlS1Q_E_NS1_11comp_targetILNS1_3genE5ELNS1_11target_archE942ELNS1_3gpuE9ELNS1_3repE0EEENS1_30default_config_static_selectorELNS0_4arch9wavefront6targetE0EEEvS13_
	.p2align	8
	.type	_ZN7rocprim17ROCPRIM_400000_NS6detail17trampoline_kernelINS0_13select_configILj256ELj13ELNS0_17block_load_methodE3ELS4_3ELS4_3ELNS0_20block_scan_algorithmE0ELj4294967295EEENS1_25partition_config_selectorILNS1_17partition_subalgoE4EjNS0_10empty_typeEbEEZZNS1_14partition_implILS8_4ELb0ES6_15HIP_vector_typeIjLj2EENS0_17counting_iteratorIjlEEPS9_SG_NS0_5tupleIJPjSI_NS0_16reverse_iteratorISI_EEEEENSH_IJSG_SG_SG_EEES9_SI_JZNS1_25segmented_radix_sort_implINS0_14default_configELb1EPK6__halfPSP_PKlPlN2at6native12_GLOBAL__N_18offset_tEEE10hipError_tPvRmT1_PNSt15iterator_traitsIS13_E10value_typeET2_T3_PNS14_IS19_E10value_typeET4_jRbjT5_S1F_jjP12ihipStream_tbEUljE_ZNSN_ISO_Lb1ESR_SS_SU_SV_SZ_EES10_S11_S12_S13_S17_S18_S19_S1C_S1D_jS1E_jS1F_S1F_jjS1H_bEUljE0_EEES10_S11_S12_S19_S1D_S1F_T6_T7_T9_mT8_S1H_bDpT10_ENKUlT_T0_E_clISt17integral_constantIbLb1EES1V_EEDaS1Q_S1R_EUlS1Q_E_NS1_11comp_targetILNS1_3genE5ELNS1_11target_archE942ELNS1_3gpuE9ELNS1_3repE0EEENS1_30default_config_static_selectorELNS0_4arch9wavefront6targetE0EEEvS13_,@function
_ZN7rocprim17ROCPRIM_400000_NS6detail17trampoline_kernelINS0_13select_configILj256ELj13ELNS0_17block_load_methodE3ELS4_3ELS4_3ELNS0_20block_scan_algorithmE0ELj4294967295EEENS1_25partition_config_selectorILNS1_17partition_subalgoE4EjNS0_10empty_typeEbEEZZNS1_14partition_implILS8_4ELb0ES6_15HIP_vector_typeIjLj2EENS0_17counting_iteratorIjlEEPS9_SG_NS0_5tupleIJPjSI_NS0_16reverse_iteratorISI_EEEEENSH_IJSG_SG_SG_EEES9_SI_JZNS1_25segmented_radix_sort_implINS0_14default_configELb1EPK6__halfPSP_PKlPlN2at6native12_GLOBAL__N_18offset_tEEE10hipError_tPvRmT1_PNSt15iterator_traitsIS13_E10value_typeET2_T3_PNS14_IS19_E10value_typeET4_jRbjT5_S1F_jjP12ihipStream_tbEUljE_ZNSN_ISO_Lb1ESR_SS_SU_SV_SZ_EES10_S11_S12_S13_S17_S18_S19_S1C_S1D_jS1E_jS1F_S1F_jjS1H_bEUljE0_EEES10_S11_S12_S19_S1D_S1F_T6_T7_T9_mT8_S1H_bDpT10_ENKUlT_T0_E_clISt17integral_constantIbLb1EES1V_EEDaS1Q_S1R_EUlS1Q_E_NS1_11comp_targetILNS1_3genE5ELNS1_11target_archE942ELNS1_3gpuE9ELNS1_3repE0EEENS1_30default_config_static_selectorELNS0_4arch9wavefront6targetE0EEEvS13_: ; @_ZN7rocprim17ROCPRIM_400000_NS6detail17trampoline_kernelINS0_13select_configILj256ELj13ELNS0_17block_load_methodE3ELS4_3ELS4_3ELNS0_20block_scan_algorithmE0ELj4294967295EEENS1_25partition_config_selectorILNS1_17partition_subalgoE4EjNS0_10empty_typeEbEEZZNS1_14partition_implILS8_4ELb0ES6_15HIP_vector_typeIjLj2EENS0_17counting_iteratorIjlEEPS9_SG_NS0_5tupleIJPjSI_NS0_16reverse_iteratorISI_EEEEENSH_IJSG_SG_SG_EEES9_SI_JZNS1_25segmented_radix_sort_implINS0_14default_configELb1EPK6__halfPSP_PKlPlN2at6native12_GLOBAL__N_18offset_tEEE10hipError_tPvRmT1_PNSt15iterator_traitsIS13_E10value_typeET2_T3_PNS14_IS19_E10value_typeET4_jRbjT5_S1F_jjP12ihipStream_tbEUljE_ZNSN_ISO_Lb1ESR_SS_SU_SV_SZ_EES10_S11_S12_S13_S17_S18_S19_S1C_S1D_jS1E_jS1F_S1F_jjS1H_bEUljE0_EEES10_S11_S12_S19_S1D_S1F_T6_T7_T9_mT8_S1H_bDpT10_ENKUlT_T0_E_clISt17integral_constantIbLb1EES1V_EEDaS1Q_S1R_EUlS1Q_E_NS1_11comp_targetILNS1_3genE5ELNS1_11target_archE942ELNS1_3gpuE9ELNS1_3repE0EEENS1_30default_config_static_selectorELNS0_4arch9wavefront6targetE0EEEvS13_
; %bb.0:
	.section	.rodata,"a",@progbits
	.p2align	6, 0x0
	.amdhsa_kernel _ZN7rocprim17ROCPRIM_400000_NS6detail17trampoline_kernelINS0_13select_configILj256ELj13ELNS0_17block_load_methodE3ELS4_3ELS4_3ELNS0_20block_scan_algorithmE0ELj4294967295EEENS1_25partition_config_selectorILNS1_17partition_subalgoE4EjNS0_10empty_typeEbEEZZNS1_14partition_implILS8_4ELb0ES6_15HIP_vector_typeIjLj2EENS0_17counting_iteratorIjlEEPS9_SG_NS0_5tupleIJPjSI_NS0_16reverse_iteratorISI_EEEEENSH_IJSG_SG_SG_EEES9_SI_JZNS1_25segmented_radix_sort_implINS0_14default_configELb1EPK6__halfPSP_PKlPlN2at6native12_GLOBAL__N_18offset_tEEE10hipError_tPvRmT1_PNSt15iterator_traitsIS13_E10value_typeET2_T3_PNS14_IS19_E10value_typeET4_jRbjT5_S1F_jjP12ihipStream_tbEUljE_ZNSN_ISO_Lb1ESR_SS_SU_SV_SZ_EES10_S11_S12_S13_S17_S18_S19_S1C_S1D_jS1E_jS1F_S1F_jjS1H_bEUljE0_EEES10_S11_S12_S19_S1D_S1F_T6_T7_T9_mT8_S1H_bDpT10_ENKUlT_T0_E_clISt17integral_constantIbLb1EES1V_EEDaS1Q_S1R_EUlS1Q_E_NS1_11comp_targetILNS1_3genE5ELNS1_11target_archE942ELNS1_3gpuE9ELNS1_3repE0EEENS1_30default_config_static_selectorELNS0_4arch9wavefront6targetE0EEEvS13_
		.amdhsa_group_segment_fixed_size 0
		.amdhsa_private_segment_fixed_size 0
		.amdhsa_kernarg_size 184
		.amdhsa_user_sgpr_count 2
		.amdhsa_user_sgpr_dispatch_ptr 0
		.amdhsa_user_sgpr_queue_ptr 0
		.amdhsa_user_sgpr_kernarg_segment_ptr 1
		.amdhsa_user_sgpr_dispatch_id 0
		.amdhsa_user_sgpr_kernarg_preload_length 0
		.amdhsa_user_sgpr_kernarg_preload_offset 0
		.amdhsa_user_sgpr_private_segment_size 0
		.amdhsa_wavefront_size32 1
		.amdhsa_uses_dynamic_stack 0
		.amdhsa_enable_private_segment 0
		.amdhsa_system_sgpr_workgroup_id_x 1
		.amdhsa_system_sgpr_workgroup_id_y 0
		.amdhsa_system_sgpr_workgroup_id_z 0
		.amdhsa_system_sgpr_workgroup_info 0
		.amdhsa_system_vgpr_workitem_id 0
		.amdhsa_next_free_vgpr 1
		.amdhsa_next_free_sgpr 1
		.amdhsa_named_barrier_count 0
		.amdhsa_reserve_vcc 0
		.amdhsa_float_round_mode_32 0
		.amdhsa_float_round_mode_16_64 0
		.amdhsa_float_denorm_mode_32 3
		.amdhsa_float_denorm_mode_16_64 3
		.amdhsa_fp16_overflow 0
		.amdhsa_memory_ordered 1
		.amdhsa_forward_progress 1
		.amdhsa_inst_pref_size 0
		.amdhsa_round_robin_scheduling 0
		.amdhsa_exception_fp_ieee_invalid_op 0
		.amdhsa_exception_fp_denorm_src 0
		.amdhsa_exception_fp_ieee_div_zero 0
		.amdhsa_exception_fp_ieee_overflow 0
		.amdhsa_exception_fp_ieee_underflow 0
		.amdhsa_exception_fp_ieee_inexact 0
		.amdhsa_exception_int_div_zero 0
	.end_amdhsa_kernel
	.section	.text._ZN7rocprim17ROCPRIM_400000_NS6detail17trampoline_kernelINS0_13select_configILj256ELj13ELNS0_17block_load_methodE3ELS4_3ELS4_3ELNS0_20block_scan_algorithmE0ELj4294967295EEENS1_25partition_config_selectorILNS1_17partition_subalgoE4EjNS0_10empty_typeEbEEZZNS1_14partition_implILS8_4ELb0ES6_15HIP_vector_typeIjLj2EENS0_17counting_iteratorIjlEEPS9_SG_NS0_5tupleIJPjSI_NS0_16reverse_iteratorISI_EEEEENSH_IJSG_SG_SG_EEES9_SI_JZNS1_25segmented_radix_sort_implINS0_14default_configELb1EPK6__halfPSP_PKlPlN2at6native12_GLOBAL__N_18offset_tEEE10hipError_tPvRmT1_PNSt15iterator_traitsIS13_E10value_typeET2_T3_PNS14_IS19_E10value_typeET4_jRbjT5_S1F_jjP12ihipStream_tbEUljE_ZNSN_ISO_Lb1ESR_SS_SU_SV_SZ_EES10_S11_S12_S13_S17_S18_S19_S1C_S1D_jS1E_jS1F_S1F_jjS1H_bEUljE0_EEES10_S11_S12_S19_S1D_S1F_T6_T7_T9_mT8_S1H_bDpT10_ENKUlT_T0_E_clISt17integral_constantIbLb1EES1V_EEDaS1Q_S1R_EUlS1Q_E_NS1_11comp_targetILNS1_3genE5ELNS1_11target_archE942ELNS1_3gpuE9ELNS1_3repE0EEENS1_30default_config_static_selectorELNS0_4arch9wavefront6targetE0EEEvS13_,"axG",@progbits,_ZN7rocprim17ROCPRIM_400000_NS6detail17trampoline_kernelINS0_13select_configILj256ELj13ELNS0_17block_load_methodE3ELS4_3ELS4_3ELNS0_20block_scan_algorithmE0ELj4294967295EEENS1_25partition_config_selectorILNS1_17partition_subalgoE4EjNS0_10empty_typeEbEEZZNS1_14partition_implILS8_4ELb0ES6_15HIP_vector_typeIjLj2EENS0_17counting_iteratorIjlEEPS9_SG_NS0_5tupleIJPjSI_NS0_16reverse_iteratorISI_EEEEENSH_IJSG_SG_SG_EEES9_SI_JZNS1_25segmented_radix_sort_implINS0_14default_configELb1EPK6__halfPSP_PKlPlN2at6native12_GLOBAL__N_18offset_tEEE10hipError_tPvRmT1_PNSt15iterator_traitsIS13_E10value_typeET2_T3_PNS14_IS19_E10value_typeET4_jRbjT5_S1F_jjP12ihipStream_tbEUljE_ZNSN_ISO_Lb1ESR_SS_SU_SV_SZ_EES10_S11_S12_S13_S17_S18_S19_S1C_S1D_jS1E_jS1F_S1F_jjS1H_bEUljE0_EEES10_S11_S12_S19_S1D_S1F_T6_T7_T9_mT8_S1H_bDpT10_ENKUlT_T0_E_clISt17integral_constantIbLb1EES1V_EEDaS1Q_S1R_EUlS1Q_E_NS1_11comp_targetILNS1_3genE5ELNS1_11target_archE942ELNS1_3gpuE9ELNS1_3repE0EEENS1_30default_config_static_selectorELNS0_4arch9wavefront6targetE0EEEvS13_,comdat
.Lfunc_end1674:
	.size	_ZN7rocprim17ROCPRIM_400000_NS6detail17trampoline_kernelINS0_13select_configILj256ELj13ELNS0_17block_load_methodE3ELS4_3ELS4_3ELNS0_20block_scan_algorithmE0ELj4294967295EEENS1_25partition_config_selectorILNS1_17partition_subalgoE4EjNS0_10empty_typeEbEEZZNS1_14partition_implILS8_4ELb0ES6_15HIP_vector_typeIjLj2EENS0_17counting_iteratorIjlEEPS9_SG_NS0_5tupleIJPjSI_NS0_16reverse_iteratorISI_EEEEENSH_IJSG_SG_SG_EEES9_SI_JZNS1_25segmented_radix_sort_implINS0_14default_configELb1EPK6__halfPSP_PKlPlN2at6native12_GLOBAL__N_18offset_tEEE10hipError_tPvRmT1_PNSt15iterator_traitsIS13_E10value_typeET2_T3_PNS14_IS19_E10value_typeET4_jRbjT5_S1F_jjP12ihipStream_tbEUljE_ZNSN_ISO_Lb1ESR_SS_SU_SV_SZ_EES10_S11_S12_S13_S17_S18_S19_S1C_S1D_jS1E_jS1F_S1F_jjS1H_bEUljE0_EEES10_S11_S12_S19_S1D_S1F_T6_T7_T9_mT8_S1H_bDpT10_ENKUlT_T0_E_clISt17integral_constantIbLb1EES1V_EEDaS1Q_S1R_EUlS1Q_E_NS1_11comp_targetILNS1_3genE5ELNS1_11target_archE942ELNS1_3gpuE9ELNS1_3repE0EEENS1_30default_config_static_selectorELNS0_4arch9wavefront6targetE0EEEvS13_, .Lfunc_end1674-_ZN7rocprim17ROCPRIM_400000_NS6detail17trampoline_kernelINS0_13select_configILj256ELj13ELNS0_17block_load_methodE3ELS4_3ELS4_3ELNS0_20block_scan_algorithmE0ELj4294967295EEENS1_25partition_config_selectorILNS1_17partition_subalgoE4EjNS0_10empty_typeEbEEZZNS1_14partition_implILS8_4ELb0ES6_15HIP_vector_typeIjLj2EENS0_17counting_iteratorIjlEEPS9_SG_NS0_5tupleIJPjSI_NS0_16reverse_iteratorISI_EEEEENSH_IJSG_SG_SG_EEES9_SI_JZNS1_25segmented_radix_sort_implINS0_14default_configELb1EPK6__halfPSP_PKlPlN2at6native12_GLOBAL__N_18offset_tEEE10hipError_tPvRmT1_PNSt15iterator_traitsIS13_E10value_typeET2_T3_PNS14_IS19_E10value_typeET4_jRbjT5_S1F_jjP12ihipStream_tbEUljE_ZNSN_ISO_Lb1ESR_SS_SU_SV_SZ_EES10_S11_S12_S13_S17_S18_S19_S1C_S1D_jS1E_jS1F_S1F_jjS1H_bEUljE0_EEES10_S11_S12_S19_S1D_S1F_T6_T7_T9_mT8_S1H_bDpT10_ENKUlT_T0_E_clISt17integral_constantIbLb1EES1V_EEDaS1Q_S1R_EUlS1Q_E_NS1_11comp_targetILNS1_3genE5ELNS1_11target_archE942ELNS1_3gpuE9ELNS1_3repE0EEENS1_30default_config_static_selectorELNS0_4arch9wavefront6targetE0EEEvS13_
                                        ; -- End function
	.set _ZN7rocprim17ROCPRIM_400000_NS6detail17trampoline_kernelINS0_13select_configILj256ELj13ELNS0_17block_load_methodE3ELS4_3ELS4_3ELNS0_20block_scan_algorithmE0ELj4294967295EEENS1_25partition_config_selectorILNS1_17partition_subalgoE4EjNS0_10empty_typeEbEEZZNS1_14partition_implILS8_4ELb0ES6_15HIP_vector_typeIjLj2EENS0_17counting_iteratorIjlEEPS9_SG_NS0_5tupleIJPjSI_NS0_16reverse_iteratorISI_EEEEENSH_IJSG_SG_SG_EEES9_SI_JZNS1_25segmented_radix_sort_implINS0_14default_configELb1EPK6__halfPSP_PKlPlN2at6native12_GLOBAL__N_18offset_tEEE10hipError_tPvRmT1_PNSt15iterator_traitsIS13_E10value_typeET2_T3_PNS14_IS19_E10value_typeET4_jRbjT5_S1F_jjP12ihipStream_tbEUljE_ZNSN_ISO_Lb1ESR_SS_SU_SV_SZ_EES10_S11_S12_S13_S17_S18_S19_S1C_S1D_jS1E_jS1F_S1F_jjS1H_bEUljE0_EEES10_S11_S12_S19_S1D_S1F_T6_T7_T9_mT8_S1H_bDpT10_ENKUlT_T0_E_clISt17integral_constantIbLb1EES1V_EEDaS1Q_S1R_EUlS1Q_E_NS1_11comp_targetILNS1_3genE5ELNS1_11target_archE942ELNS1_3gpuE9ELNS1_3repE0EEENS1_30default_config_static_selectorELNS0_4arch9wavefront6targetE0EEEvS13_.num_vgpr, 0
	.set _ZN7rocprim17ROCPRIM_400000_NS6detail17trampoline_kernelINS0_13select_configILj256ELj13ELNS0_17block_load_methodE3ELS4_3ELS4_3ELNS0_20block_scan_algorithmE0ELj4294967295EEENS1_25partition_config_selectorILNS1_17partition_subalgoE4EjNS0_10empty_typeEbEEZZNS1_14partition_implILS8_4ELb0ES6_15HIP_vector_typeIjLj2EENS0_17counting_iteratorIjlEEPS9_SG_NS0_5tupleIJPjSI_NS0_16reverse_iteratorISI_EEEEENSH_IJSG_SG_SG_EEES9_SI_JZNS1_25segmented_radix_sort_implINS0_14default_configELb1EPK6__halfPSP_PKlPlN2at6native12_GLOBAL__N_18offset_tEEE10hipError_tPvRmT1_PNSt15iterator_traitsIS13_E10value_typeET2_T3_PNS14_IS19_E10value_typeET4_jRbjT5_S1F_jjP12ihipStream_tbEUljE_ZNSN_ISO_Lb1ESR_SS_SU_SV_SZ_EES10_S11_S12_S13_S17_S18_S19_S1C_S1D_jS1E_jS1F_S1F_jjS1H_bEUljE0_EEES10_S11_S12_S19_S1D_S1F_T6_T7_T9_mT8_S1H_bDpT10_ENKUlT_T0_E_clISt17integral_constantIbLb1EES1V_EEDaS1Q_S1R_EUlS1Q_E_NS1_11comp_targetILNS1_3genE5ELNS1_11target_archE942ELNS1_3gpuE9ELNS1_3repE0EEENS1_30default_config_static_selectorELNS0_4arch9wavefront6targetE0EEEvS13_.num_agpr, 0
	.set _ZN7rocprim17ROCPRIM_400000_NS6detail17trampoline_kernelINS0_13select_configILj256ELj13ELNS0_17block_load_methodE3ELS4_3ELS4_3ELNS0_20block_scan_algorithmE0ELj4294967295EEENS1_25partition_config_selectorILNS1_17partition_subalgoE4EjNS0_10empty_typeEbEEZZNS1_14partition_implILS8_4ELb0ES6_15HIP_vector_typeIjLj2EENS0_17counting_iteratorIjlEEPS9_SG_NS0_5tupleIJPjSI_NS0_16reverse_iteratorISI_EEEEENSH_IJSG_SG_SG_EEES9_SI_JZNS1_25segmented_radix_sort_implINS0_14default_configELb1EPK6__halfPSP_PKlPlN2at6native12_GLOBAL__N_18offset_tEEE10hipError_tPvRmT1_PNSt15iterator_traitsIS13_E10value_typeET2_T3_PNS14_IS19_E10value_typeET4_jRbjT5_S1F_jjP12ihipStream_tbEUljE_ZNSN_ISO_Lb1ESR_SS_SU_SV_SZ_EES10_S11_S12_S13_S17_S18_S19_S1C_S1D_jS1E_jS1F_S1F_jjS1H_bEUljE0_EEES10_S11_S12_S19_S1D_S1F_T6_T7_T9_mT8_S1H_bDpT10_ENKUlT_T0_E_clISt17integral_constantIbLb1EES1V_EEDaS1Q_S1R_EUlS1Q_E_NS1_11comp_targetILNS1_3genE5ELNS1_11target_archE942ELNS1_3gpuE9ELNS1_3repE0EEENS1_30default_config_static_selectorELNS0_4arch9wavefront6targetE0EEEvS13_.numbered_sgpr, 0
	.set _ZN7rocprim17ROCPRIM_400000_NS6detail17trampoline_kernelINS0_13select_configILj256ELj13ELNS0_17block_load_methodE3ELS4_3ELS4_3ELNS0_20block_scan_algorithmE0ELj4294967295EEENS1_25partition_config_selectorILNS1_17partition_subalgoE4EjNS0_10empty_typeEbEEZZNS1_14partition_implILS8_4ELb0ES6_15HIP_vector_typeIjLj2EENS0_17counting_iteratorIjlEEPS9_SG_NS0_5tupleIJPjSI_NS0_16reverse_iteratorISI_EEEEENSH_IJSG_SG_SG_EEES9_SI_JZNS1_25segmented_radix_sort_implINS0_14default_configELb1EPK6__halfPSP_PKlPlN2at6native12_GLOBAL__N_18offset_tEEE10hipError_tPvRmT1_PNSt15iterator_traitsIS13_E10value_typeET2_T3_PNS14_IS19_E10value_typeET4_jRbjT5_S1F_jjP12ihipStream_tbEUljE_ZNSN_ISO_Lb1ESR_SS_SU_SV_SZ_EES10_S11_S12_S13_S17_S18_S19_S1C_S1D_jS1E_jS1F_S1F_jjS1H_bEUljE0_EEES10_S11_S12_S19_S1D_S1F_T6_T7_T9_mT8_S1H_bDpT10_ENKUlT_T0_E_clISt17integral_constantIbLb1EES1V_EEDaS1Q_S1R_EUlS1Q_E_NS1_11comp_targetILNS1_3genE5ELNS1_11target_archE942ELNS1_3gpuE9ELNS1_3repE0EEENS1_30default_config_static_selectorELNS0_4arch9wavefront6targetE0EEEvS13_.num_named_barrier, 0
	.set _ZN7rocprim17ROCPRIM_400000_NS6detail17trampoline_kernelINS0_13select_configILj256ELj13ELNS0_17block_load_methodE3ELS4_3ELS4_3ELNS0_20block_scan_algorithmE0ELj4294967295EEENS1_25partition_config_selectorILNS1_17partition_subalgoE4EjNS0_10empty_typeEbEEZZNS1_14partition_implILS8_4ELb0ES6_15HIP_vector_typeIjLj2EENS0_17counting_iteratorIjlEEPS9_SG_NS0_5tupleIJPjSI_NS0_16reverse_iteratorISI_EEEEENSH_IJSG_SG_SG_EEES9_SI_JZNS1_25segmented_radix_sort_implINS0_14default_configELb1EPK6__halfPSP_PKlPlN2at6native12_GLOBAL__N_18offset_tEEE10hipError_tPvRmT1_PNSt15iterator_traitsIS13_E10value_typeET2_T3_PNS14_IS19_E10value_typeET4_jRbjT5_S1F_jjP12ihipStream_tbEUljE_ZNSN_ISO_Lb1ESR_SS_SU_SV_SZ_EES10_S11_S12_S13_S17_S18_S19_S1C_S1D_jS1E_jS1F_S1F_jjS1H_bEUljE0_EEES10_S11_S12_S19_S1D_S1F_T6_T7_T9_mT8_S1H_bDpT10_ENKUlT_T0_E_clISt17integral_constantIbLb1EES1V_EEDaS1Q_S1R_EUlS1Q_E_NS1_11comp_targetILNS1_3genE5ELNS1_11target_archE942ELNS1_3gpuE9ELNS1_3repE0EEENS1_30default_config_static_selectorELNS0_4arch9wavefront6targetE0EEEvS13_.private_seg_size, 0
	.set _ZN7rocprim17ROCPRIM_400000_NS6detail17trampoline_kernelINS0_13select_configILj256ELj13ELNS0_17block_load_methodE3ELS4_3ELS4_3ELNS0_20block_scan_algorithmE0ELj4294967295EEENS1_25partition_config_selectorILNS1_17partition_subalgoE4EjNS0_10empty_typeEbEEZZNS1_14partition_implILS8_4ELb0ES6_15HIP_vector_typeIjLj2EENS0_17counting_iteratorIjlEEPS9_SG_NS0_5tupleIJPjSI_NS0_16reverse_iteratorISI_EEEEENSH_IJSG_SG_SG_EEES9_SI_JZNS1_25segmented_radix_sort_implINS0_14default_configELb1EPK6__halfPSP_PKlPlN2at6native12_GLOBAL__N_18offset_tEEE10hipError_tPvRmT1_PNSt15iterator_traitsIS13_E10value_typeET2_T3_PNS14_IS19_E10value_typeET4_jRbjT5_S1F_jjP12ihipStream_tbEUljE_ZNSN_ISO_Lb1ESR_SS_SU_SV_SZ_EES10_S11_S12_S13_S17_S18_S19_S1C_S1D_jS1E_jS1F_S1F_jjS1H_bEUljE0_EEES10_S11_S12_S19_S1D_S1F_T6_T7_T9_mT8_S1H_bDpT10_ENKUlT_T0_E_clISt17integral_constantIbLb1EES1V_EEDaS1Q_S1R_EUlS1Q_E_NS1_11comp_targetILNS1_3genE5ELNS1_11target_archE942ELNS1_3gpuE9ELNS1_3repE0EEENS1_30default_config_static_selectorELNS0_4arch9wavefront6targetE0EEEvS13_.uses_vcc, 0
	.set _ZN7rocprim17ROCPRIM_400000_NS6detail17trampoline_kernelINS0_13select_configILj256ELj13ELNS0_17block_load_methodE3ELS4_3ELS4_3ELNS0_20block_scan_algorithmE0ELj4294967295EEENS1_25partition_config_selectorILNS1_17partition_subalgoE4EjNS0_10empty_typeEbEEZZNS1_14partition_implILS8_4ELb0ES6_15HIP_vector_typeIjLj2EENS0_17counting_iteratorIjlEEPS9_SG_NS0_5tupleIJPjSI_NS0_16reverse_iteratorISI_EEEEENSH_IJSG_SG_SG_EEES9_SI_JZNS1_25segmented_radix_sort_implINS0_14default_configELb1EPK6__halfPSP_PKlPlN2at6native12_GLOBAL__N_18offset_tEEE10hipError_tPvRmT1_PNSt15iterator_traitsIS13_E10value_typeET2_T3_PNS14_IS19_E10value_typeET4_jRbjT5_S1F_jjP12ihipStream_tbEUljE_ZNSN_ISO_Lb1ESR_SS_SU_SV_SZ_EES10_S11_S12_S13_S17_S18_S19_S1C_S1D_jS1E_jS1F_S1F_jjS1H_bEUljE0_EEES10_S11_S12_S19_S1D_S1F_T6_T7_T9_mT8_S1H_bDpT10_ENKUlT_T0_E_clISt17integral_constantIbLb1EES1V_EEDaS1Q_S1R_EUlS1Q_E_NS1_11comp_targetILNS1_3genE5ELNS1_11target_archE942ELNS1_3gpuE9ELNS1_3repE0EEENS1_30default_config_static_selectorELNS0_4arch9wavefront6targetE0EEEvS13_.uses_flat_scratch, 0
	.set _ZN7rocprim17ROCPRIM_400000_NS6detail17trampoline_kernelINS0_13select_configILj256ELj13ELNS0_17block_load_methodE3ELS4_3ELS4_3ELNS0_20block_scan_algorithmE0ELj4294967295EEENS1_25partition_config_selectorILNS1_17partition_subalgoE4EjNS0_10empty_typeEbEEZZNS1_14partition_implILS8_4ELb0ES6_15HIP_vector_typeIjLj2EENS0_17counting_iteratorIjlEEPS9_SG_NS0_5tupleIJPjSI_NS0_16reverse_iteratorISI_EEEEENSH_IJSG_SG_SG_EEES9_SI_JZNS1_25segmented_radix_sort_implINS0_14default_configELb1EPK6__halfPSP_PKlPlN2at6native12_GLOBAL__N_18offset_tEEE10hipError_tPvRmT1_PNSt15iterator_traitsIS13_E10value_typeET2_T3_PNS14_IS19_E10value_typeET4_jRbjT5_S1F_jjP12ihipStream_tbEUljE_ZNSN_ISO_Lb1ESR_SS_SU_SV_SZ_EES10_S11_S12_S13_S17_S18_S19_S1C_S1D_jS1E_jS1F_S1F_jjS1H_bEUljE0_EEES10_S11_S12_S19_S1D_S1F_T6_T7_T9_mT8_S1H_bDpT10_ENKUlT_T0_E_clISt17integral_constantIbLb1EES1V_EEDaS1Q_S1R_EUlS1Q_E_NS1_11comp_targetILNS1_3genE5ELNS1_11target_archE942ELNS1_3gpuE9ELNS1_3repE0EEENS1_30default_config_static_selectorELNS0_4arch9wavefront6targetE0EEEvS13_.has_dyn_sized_stack, 0
	.set _ZN7rocprim17ROCPRIM_400000_NS6detail17trampoline_kernelINS0_13select_configILj256ELj13ELNS0_17block_load_methodE3ELS4_3ELS4_3ELNS0_20block_scan_algorithmE0ELj4294967295EEENS1_25partition_config_selectorILNS1_17partition_subalgoE4EjNS0_10empty_typeEbEEZZNS1_14partition_implILS8_4ELb0ES6_15HIP_vector_typeIjLj2EENS0_17counting_iteratorIjlEEPS9_SG_NS0_5tupleIJPjSI_NS0_16reverse_iteratorISI_EEEEENSH_IJSG_SG_SG_EEES9_SI_JZNS1_25segmented_radix_sort_implINS0_14default_configELb1EPK6__halfPSP_PKlPlN2at6native12_GLOBAL__N_18offset_tEEE10hipError_tPvRmT1_PNSt15iterator_traitsIS13_E10value_typeET2_T3_PNS14_IS19_E10value_typeET4_jRbjT5_S1F_jjP12ihipStream_tbEUljE_ZNSN_ISO_Lb1ESR_SS_SU_SV_SZ_EES10_S11_S12_S13_S17_S18_S19_S1C_S1D_jS1E_jS1F_S1F_jjS1H_bEUljE0_EEES10_S11_S12_S19_S1D_S1F_T6_T7_T9_mT8_S1H_bDpT10_ENKUlT_T0_E_clISt17integral_constantIbLb1EES1V_EEDaS1Q_S1R_EUlS1Q_E_NS1_11comp_targetILNS1_3genE5ELNS1_11target_archE942ELNS1_3gpuE9ELNS1_3repE0EEENS1_30default_config_static_selectorELNS0_4arch9wavefront6targetE0EEEvS13_.has_recursion, 0
	.set _ZN7rocprim17ROCPRIM_400000_NS6detail17trampoline_kernelINS0_13select_configILj256ELj13ELNS0_17block_load_methodE3ELS4_3ELS4_3ELNS0_20block_scan_algorithmE0ELj4294967295EEENS1_25partition_config_selectorILNS1_17partition_subalgoE4EjNS0_10empty_typeEbEEZZNS1_14partition_implILS8_4ELb0ES6_15HIP_vector_typeIjLj2EENS0_17counting_iteratorIjlEEPS9_SG_NS0_5tupleIJPjSI_NS0_16reverse_iteratorISI_EEEEENSH_IJSG_SG_SG_EEES9_SI_JZNS1_25segmented_radix_sort_implINS0_14default_configELb1EPK6__halfPSP_PKlPlN2at6native12_GLOBAL__N_18offset_tEEE10hipError_tPvRmT1_PNSt15iterator_traitsIS13_E10value_typeET2_T3_PNS14_IS19_E10value_typeET4_jRbjT5_S1F_jjP12ihipStream_tbEUljE_ZNSN_ISO_Lb1ESR_SS_SU_SV_SZ_EES10_S11_S12_S13_S17_S18_S19_S1C_S1D_jS1E_jS1F_S1F_jjS1H_bEUljE0_EEES10_S11_S12_S19_S1D_S1F_T6_T7_T9_mT8_S1H_bDpT10_ENKUlT_T0_E_clISt17integral_constantIbLb1EES1V_EEDaS1Q_S1R_EUlS1Q_E_NS1_11comp_targetILNS1_3genE5ELNS1_11target_archE942ELNS1_3gpuE9ELNS1_3repE0EEENS1_30default_config_static_selectorELNS0_4arch9wavefront6targetE0EEEvS13_.has_indirect_call, 0
	.section	.AMDGPU.csdata,"",@progbits
; Kernel info:
; codeLenInByte = 0
; TotalNumSgprs: 0
; NumVgprs: 0
; ScratchSize: 0
; MemoryBound: 0
; FloatMode: 240
; IeeeMode: 1
; LDSByteSize: 0 bytes/workgroup (compile time only)
; SGPRBlocks: 0
; VGPRBlocks: 0
; NumSGPRsForWavesPerEU: 1
; NumVGPRsForWavesPerEU: 1
; NamedBarCnt: 0
; Occupancy: 16
; WaveLimiterHint : 0
; COMPUTE_PGM_RSRC2:SCRATCH_EN: 0
; COMPUTE_PGM_RSRC2:USER_SGPR: 2
; COMPUTE_PGM_RSRC2:TRAP_HANDLER: 0
; COMPUTE_PGM_RSRC2:TGID_X_EN: 1
; COMPUTE_PGM_RSRC2:TGID_Y_EN: 0
; COMPUTE_PGM_RSRC2:TGID_Z_EN: 0
; COMPUTE_PGM_RSRC2:TIDIG_COMP_CNT: 0
	.section	.text._ZN7rocprim17ROCPRIM_400000_NS6detail17trampoline_kernelINS0_13select_configILj256ELj13ELNS0_17block_load_methodE3ELS4_3ELS4_3ELNS0_20block_scan_algorithmE0ELj4294967295EEENS1_25partition_config_selectorILNS1_17partition_subalgoE4EjNS0_10empty_typeEbEEZZNS1_14partition_implILS8_4ELb0ES6_15HIP_vector_typeIjLj2EENS0_17counting_iteratorIjlEEPS9_SG_NS0_5tupleIJPjSI_NS0_16reverse_iteratorISI_EEEEENSH_IJSG_SG_SG_EEES9_SI_JZNS1_25segmented_radix_sort_implINS0_14default_configELb1EPK6__halfPSP_PKlPlN2at6native12_GLOBAL__N_18offset_tEEE10hipError_tPvRmT1_PNSt15iterator_traitsIS13_E10value_typeET2_T3_PNS14_IS19_E10value_typeET4_jRbjT5_S1F_jjP12ihipStream_tbEUljE_ZNSN_ISO_Lb1ESR_SS_SU_SV_SZ_EES10_S11_S12_S13_S17_S18_S19_S1C_S1D_jS1E_jS1F_S1F_jjS1H_bEUljE0_EEES10_S11_S12_S19_S1D_S1F_T6_T7_T9_mT8_S1H_bDpT10_ENKUlT_T0_E_clISt17integral_constantIbLb1EES1V_EEDaS1Q_S1R_EUlS1Q_E_NS1_11comp_targetILNS1_3genE4ELNS1_11target_archE910ELNS1_3gpuE8ELNS1_3repE0EEENS1_30default_config_static_selectorELNS0_4arch9wavefront6targetE0EEEvS13_,"axG",@progbits,_ZN7rocprim17ROCPRIM_400000_NS6detail17trampoline_kernelINS0_13select_configILj256ELj13ELNS0_17block_load_methodE3ELS4_3ELS4_3ELNS0_20block_scan_algorithmE0ELj4294967295EEENS1_25partition_config_selectorILNS1_17partition_subalgoE4EjNS0_10empty_typeEbEEZZNS1_14partition_implILS8_4ELb0ES6_15HIP_vector_typeIjLj2EENS0_17counting_iteratorIjlEEPS9_SG_NS0_5tupleIJPjSI_NS0_16reverse_iteratorISI_EEEEENSH_IJSG_SG_SG_EEES9_SI_JZNS1_25segmented_radix_sort_implINS0_14default_configELb1EPK6__halfPSP_PKlPlN2at6native12_GLOBAL__N_18offset_tEEE10hipError_tPvRmT1_PNSt15iterator_traitsIS13_E10value_typeET2_T3_PNS14_IS19_E10value_typeET4_jRbjT5_S1F_jjP12ihipStream_tbEUljE_ZNSN_ISO_Lb1ESR_SS_SU_SV_SZ_EES10_S11_S12_S13_S17_S18_S19_S1C_S1D_jS1E_jS1F_S1F_jjS1H_bEUljE0_EEES10_S11_S12_S19_S1D_S1F_T6_T7_T9_mT8_S1H_bDpT10_ENKUlT_T0_E_clISt17integral_constantIbLb1EES1V_EEDaS1Q_S1R_EUlS1Q_E_NS1_11comp_targetILNS1_3genE4ELNS1_11target_archE910ELNS1_3gpuE8ELNS1_3repE0EEENS1_30default_config_static_selectorELNS0_4arch9wavefront6targetE0EEEvS13_,comdat
	.globl	_ZN7rocprim17ROCPRIM_400000_NS6detail17trampoline_kernelINS0_13select_configILj256ELj13ELNS0_17block_load_methodE3ELS4_3ELS4_3ELNS0_20block_scan_algorithmE0ELj4294967295EEENS1_25partition_config_selectorILNS1_17partition_subalgoE4EjNS0_10empty_typeEbEEZZNS1_14partition_implILS8_4ELb0ES6_15HIP_vector_typeIjLj2EENS0_17counting_iteratorIjlEEPS9_SG_NS0_5tupleIJPjSI_NS0_16reverse_iteratorISI_EEEEENSH_IJSG_SG_SG_EEES9_SI_JZNS1_25segmented_radix_sort_implINS0_14default_configELb1EPK6__halfPSP_PKlPlN2at6native12_GLOBAL__N_18offset_tEEE10hipError_tPvRmT1_PNSt15iterator_traitsIS13_E10value_typeET2_T3_PNS14_IS19_E10value_typeET4_jRbjT5_S1F_jjP12ihipStream_tbEUljE_ZNSN_ISO_Lb1ESR_SS_SU_SV_SZ_EES10_S11_S12_S13_S17_S18_S19_S1C_S1D_jS1E_jS1F_S1F_jjS1H_bEUljE0_EEES10_S11_S12_S19_S1D_S1F_T6_T7_T9_mT8_S1H_bDpT10_ENKUlT_T0_E_clISt17integral_constantIbLb1EES1V_EEDaS1Q_S1R_EUlS1Q_E_NS1_11comp_targetILNS1_3genE4ELNS1_11target_archE910ELNS1_3gpuE8ELNS1_3repE0EEENS1_30default_config_static_selectorELNS0_4arch9wavefront6targetE0EEEvS13_ ; -- Begin function _ZN7rocprim17ROCPRIM_400000_NS6detail17trampoline_kernelINS0_13select_configILj256ELj13ELNS0_17block_load_methodE3ELS4_3ELS4_3ELNS0_20block_scan_algorithmE0ELj4294967295EEENS1_25partition_config_selectorILNS1_17partition_subalgoE4EjNS0_10empty_typeEbEEZZNS1_14partition_implILS8_4ELb0ES6_15HIP_vector_typeIjLj2EENS0_17counting_iteratorIjlEEPS9_SG_NS0_5tupleIJPjSI_NS0_16reverse_iteratorISI_EEEEENSH_IJSG_SG_SG_EEES9_SI_JZNS1_25segmented_radix_sort_implINS0_14default_configELb1EPK6__halfPSP_PKlPlN2at6native12_GLOBAL__N_18offset_tEEE10hipError_tPvRmT1_PNSt15iterator_traitsIS13_E10value_typeET2_T3_PNS14_IS19_E10value_typeET4_jRbjT5_S1F_jjP12ihipStream_tbEUljE_ZNSN_ISO_Lb1ESR_SS_SU_SV_SZ_EES10_S11_S12_S13_S17_S18_S19_S1C_S1D_jS1E_jS1F_S1F_jjS1H_bEUljE0_EEES10_S11_S12_S19_S1D_S1F_T6_T7_T9_mT8_S1H_bDpT10_ENKUlT_T0_E_clISt17integral_constantIbLb1EES1V_EEDaS1Q_S1R_EUlS1Q_E_NS1_11comp_targetILNS1_3genE4ELNS1_11target_archE910ELNS1_3gpuE8ELNS1_3repE0EEENS1_30default_config_static_selectorELNS0_4arch9wavefront6targetE0EEEvS13_
	.p2align	8
	.type	_ZN7rocprim17ROCPRIM_400000_NS6detail17trampoline_kernelINS0_13select_configILj256ELj13ELNS0_17block_load_methodE3ELS4_3ELS4_3ELNS0_20block_scan_algorithmE0ELj4294967295EEENS1_25partition_config_selectorILNS1_17partition_subalgoE4EjNS0_10empty_typeEbEEZZNS1_14partition_implILS8_4ELb0ES6_15HIP_vector_typeIjLj2EENS0_17counting_iteratorIjlEEPS9_SG_NS0_5tupleIJPjSI_NS0_16reverse_iteratorISI_EEEEENSH_IJSG_SG_SG_EEES9_SI_JZNS1_25segmented_radix_sort_implINS0_14default_configELb1EPK6__halfPSP_PKlPlN2at6native12_GLOBAL__N_18offset_tEEE10hipError_tPvRmT1_PNSt15iterator_traitsIS13_E10value_typeET2_T3_PNS14_IS19_E10value_typeET4_jRbjT5_S1F_jjP12ihipStream_tbEUljE_ZNSN_ISO_Lb1ESR_SS_SU_SV_SZ_EES10_S11_S12_S13_S17_S18_S19_S1C_S1D_jS1E_jS1F_S1F_jjS1H_bEUljE0_EEES10_S11_S12_S19_S1D_S1F_T6_T7_T9_mT8_S1H_bDpT10_ENKUlT_T0_E_clISt17integral_constantIbLb1EES1V_EEDaS1Q_S1R_EUlS1Q_E_NS1_11comp_targetILNS1_3genE4ELNS1_11target_archE910ELNS1_3gpuE8ELNS1_3repE0EEENS1_30default_config_static_selectorELNS0_4arch9wavefront6targetE0EEEvS13_,@function
_ZN7rocprim17ROCPRIM_400000_NS6detail17trampoline_kernelINS0_13select_configILj256ELj13ELNS0_17block_load_methodE3ELS4_3ELS4_3ELNS0_20block_scan_algorithmE0ELj4294967295EEENS1_25partition_config_selectorILNS1_17partition_subalgoE4EjNS0_10empty_typeEbEEZZNS1_14partition_implILS8_4ELb0ES6_15HIP_vector_typeIjLj2EENS0_17counting_iteratorIjlEEPS9_SG_NS0_5tupleIJPjSI_NS0_16reverse_iteratorISI_EEEEENSH_IJSG_SG_SG_EEES9_SI_JZNS1_25segmented_radix_sort_implINS0_14default_configELb1EPK6__halfPSP_PKlPlN2at6native12_GLOBAL__N_18offset_tEEE10hipError_tPvRmT1_PNSt15iterator_traitsIS13_E10value_typeET2_T3_PNS14_IS19_E10value_typeET4_jRbjT5_S1F_jjP12ihipStream_tbEUljE_ZNSN_ISO_Lb1ESR_SS_SU_SV_SZ_EES10_S11_S12_S13_S17_S18_S19_S1C_S1D_jS1E_jS1F_S1F_jjS1H_bEUljE0_EEES10_S11_S12_S19_S1D_S1F_T6_T7_T9_mT8_S1H_bDpT10_ENKUlT_T0_E_clISt17integral_constantIbLb1EES1V_EEDaS1Q_S1R_EUlS1Q_E_NS1_11comp_targetILNS1_3genE4ELNS1_11target_archE910ELNS1_3gpuE8ELNS1_3repE0EEENS1_30default_config_static_selectorELNS0_4arch9wavefront6targetE0EEEvS13_: ; @_ZN7rocprim17ROCPRIM_400000_NS6detail17trampoline_kernelINS0_13select_configILj256ELj13ELNS0_17block_load_methodE3ELS4_3ELS4_3ELNS0_20block_scan_algorithmE0ELj4294967295EEENS1_25partition_config_selectorILNS1_17partition_subalgoE4EjNS0_10empty_typeEbEEZZNS1_14partition_implILS8_4ELb0ES6_15HIP_vector_typeIjLj2EENS0_17counting_iteratorIjlEEPS9_SG_NS0_5tupleIJPjSI_NS0_16reverse_iteratorISI_EEEEENSH_IJSG_SG_SG_EEES9_SI_JZNS1_25segmented_radix_sort_implINS0_14default_configELb1EPK6__halfPSP_PKlPlN2at6native12_GLOBAL__N_18offset_tEEE10hipError_tPvRmT1_PNSt15iterator_traitsIS13_E10value_typeET2_T3_PNS14_IS19_E10value_typeET4_jRbjT5_S1F_jjP12ihipStream_tbEUljE_ZNSN_ISO_Lb1ESR_SS_SU_SV_SZ_EES10_S11_S12_S13_S17_S18_S19_S1C_S1D_jS1E_jS1F_S1F_jjS1H_bEUljE0_EEES10_S11_S12_S19_S1D_S1F_T6_T7_T9_mT8_S1H_bDpT10_ENKUlT_T0_E_clISt17integral_constantIbLb1EES1V_EEDaS1Q_S1R_EUlS1Q_E_NS1_11comp_targetILNS1_3genE4ELNS1_11target_archE910ELNS1_3gpuE8ELNS1_3repE0EEENS1_30default_config_static_selectorELNS0_4arch9wavefront6targetE0EEEvS13_
; %bb.0:
	.section	.rodata,"a",@progbits
	.p2align	6, 0x0
	.amdhsa_kernel _ZN7rocprim17ROCPRIM_400000_NS6detail17trampoline_kernelINS0_13select_configILj256ELj13ELNS0_17block_load_methodE3ELS4_3ELS4_3ELNS0_20block_scan_algorithmE0ELj4294967295EEENS1_25partition_config_selectorILNS1_17partition_subalgoE4EjNS0_10empty_typeEbEEZZNS1_14partition_implILS8_4ELb0ES6_15HIP_vector_typeIjLj2EENS0_17counting_iteratorIjlEEPS9_SG_NS0_5tupleIJPjSI_NS0_16reverse_iteratorISI_EEEEENSH_IJSG_SG_SG_EEES9_SI_JZNS1_25segmented_radix_sort_implINS0_14default_configELb1EPK6__halfPSP_PKlPlN2at6native12_GLOBAL__N_18offset_tEEE10hipError_tPvRmT1_PNSt15iterator_traitsIS13_E10value_typeET2_T3_PNS14_IS19_E10value_typeET4_jRbjT5_S1F_jjP12ihipStream_tbEUljE_ZNSN_ISO_Lb1ESR_SS_SU_SV_SZ_EES10_S11_S12_S13_S17_S18_S19_S1C_S1D_jS1E_jS1F_S1F_jjS1H_bEUljE0_EEES10_S11_S12_S19_S1D_S1F_T6_T7_T9_mT8_S1H_bDpT10_ENKUlT_T0_E_clISt17integral_constantIbLb1EES1V_EEDaS1Q_S1R_EUlS1Q_E_NS1_11comp_targetILNS1_3genE4ELNS1_11target_archE910ELNS1_3gpuE8ELNS1_3repE0EEENS1_30default_config_static_selectorELNS0_4arch9wavefront6targetE0EEEvS13_
		.amdhsa_group_segment_fixed_size 0
		.amdhsa_private_segment_fixed_size 0
		.amdhsa_kernarg_size 184
		.amdhsa_user_sgpr_count 2
		.amdhsa_user_sgpr_dispatch_ptr 0
		.amdhsa_user_sgpr_queue_ptr 0
		.amdhsa_user_sgpr_kernarg_segment_ptr 1
		.amdhsa_user_sgpr_dispatch_id 0
		.amdhsa_user_sgpr_kernarg_preload_length 0
		.amdhsa_user_sgpr_kernarg_preload_offset 0
		.amdhsa_user_sgpr_private_segment_size 0
		.amdhsa_wavefront_size32 1
		.amdhsa_uses_dynamic_stack 0
		.amdhsa_enable_private_segment 0
		.amdhsa_system_sgpr_workgroup_id_x 1
		.amdhsa_system_sgpr_workgroup_id_y 0
		.amdhsa_system_sgpr_workgroup_id_z 0
		.amdhsa_system_sgpr_workgroup_info 0
		.amdhsa_system_vgpr_workitem_id 0
		.amdhsa_next_free_vgpr 1
		.amdhsa_next_free_sgpr 1
		.amdhsa_named_barrier_count 0
		.amdhsa_reserve_vcc 0
		.amdhsa_float_round_mode_32 0
		.amdhsa_float_round_mode_16_64 0
		.amdhsa_float_denorm_mode_32 3
		.amdhsa_float_denorm_mode_16_64 3
		.amdhsa_fp16_overflow 0
		.amdhsa_memory_ordered 1
		.amdhsa_forward_progress 1
		.amdhsa_inst_pref_size 0
		.amdhsa_round_robin_scheduling 0
		.amdhsa_exception_fp_ieee_invalid_op 0
		.amdhsa_exception_fp_denorm_src 0
		.amdhsa_exception_fp_ieee_div_zero 0
		.amdhsa_exception_fp_ieee_overflow 0
		.amdhsa_exception_fp_ieee_underflow 0
		.amdhsa_exception_fp_ieee_inexact 0
		.amdhsa_exception_int_div_zero 0
	.end_amdhsa_kernel
	.section	.text._ZN7rocprim17ROCPRIM_400000_NS6detail17trampoline_kernelINS0_13select_configILj256ELj13ELNS0_17block_load_methodE3ELS4_3ELS4_3ELNS0_20block_scan_algorithmE0ELj4294967295EEENS1_25partition_config_selectorILNS1_17partition_subalgoE4EjNS0_10empty_typeEbEEZZNS1_14partition_implILS8_4ELb0ES6_15HIP_vector_typeIjLj2EENS0_17counting_iteratorIjlEEPS9_SG_NS0_5tupleIJPjSI_NS0_16reverse_iteratorISI_EEEEENSH_IJSG_SG_SG_EEES9_SI_JZNS1_25segmented_radix_sort_implINS0_14default_configELb1EPK6__halfPSP_PKlPlN2at6native12_GLOBAL__N_18offset_tEEE10hipError_tPvRmT1_PNSt15iterator_traitsIS13_E10value_typeET2_T3_PNS14_IS19_E10value_typeET4_jRbjT5_S1F_jjP12ihipStream_tbEUljE_ZNSN_ISO_Lb1ESR_SS_SU_SV_SZ_EES10_S11_S12_S13_S17_S18_S19_S1C_S1D_jS1E_jS1F_S1F_jjS1H_bEUljE0_EEES10_S11_S12_S19_S1D_S1F_T6_T7_T9_mT8_S1H_bDpT10_ENKUlT_T0_E_clISt17integral_constantIbLb1EES1V_EEDaS1Q_S1R_EUlS1Q_E_NS1_11comp_targetILNS1_3genE4ELNS1_11target_archE910ELNS1_3gpuE8ELNS1_3repE0EEENS1_30default_config_static_selectorELNS0_4arch9wavefront6targetE0EEEvS13_,"axG",@progbits,_ZN7rocprim17ROCPRIM_400000_NS6detail17trampoline_kernelINS0_13select_configILj256ELj13ELNS0_17block_load_methodE3ELS4_3ELS4_3ELNS0_20block_scan_algorithmE0ELj4294967295EEENS1_25partition_config_selectorILNS1_17partition_subalgoE4EjNS0_10empty_typeEbEEZZNS1_14partition_implILS8_4ELb0ES6_15HIP_vector_typeIjLj2EENS0_17counting_iteratorIjlEEPS9_SG_NS0_5tupleIJPjSI_NS0_16reverse_iteratorISI_EEEEENSH_IJSG_SG_SG_EEES9_SI_JZNS1_25segmented_radix_sort_implINS0_14default_configELb1EPK6__halfPSP_PKlPlN2at6native12_GLOBAL__N_18offset_tEEE10hipError_tPvRmT1_PNSt15iterator_traitsIS13_E10value_typeET2_T3_PNS14_IS19_E10value_typeET4_jRbjT5_S1F_jjP12ihipStream_tbEUljE_ZNSN_ISO_Lb1ESR_SS_SU_SV_SZ_EES10_S11_S12_S13_S17_S18_S19_S1C_S1D_jS1E_jS1F_S1F_jjS1H_bEUljE0_EEES10_S11_S12_S19_S1D_S1F_T6_T7_T9_mT8_S1H_bDpT10_ENKUlT_T0_E_clISt17integral_constantIbLb1EES1V_EEDaS1Q_S1R_EUlS1Q_E_NS1_11comp_targetILNS1_3genE4ELNS1_11target_archE910ELNS1_3gpuE8ELNS1_3repE0EEENS1_30default_config_static_selectorELNS0_4arch9wavefront6targetE0EEEvS13_,comdat
.Lfunc_end1675:
	.size	_ZN7rocprim17ROCPRIM_400000_NS6detail17trampoline_kernelINS0_13select_configILj256ELj13ELNS0_17block_load_methodE3ELS4_3ELS4_3ELNS0_20block_scan_algorithmE0ELj4294967295EEENS1_25partition_config_selectorILNS1_17partition_subalgoE4EjNS0_10empty_typeEbEEZZNS1_14partition_implILS8_4ELb0ES6_15HIP_vector_typeIjLj2EENS0_17counting_iteratorIjlEEPS9_SG_NS0_5tupleIJPjSI_NS0_16reverse_iteratorISI_EEEEENSH_IJSG_SG_SG_EEES9_SI_JZNS1_25segmented_radix_sort_implINS0_14default_configELb1EPK6__halfPSP_PKlPlN2at6native12_GLOBAL__N_18offset_tEEE10hipError_tPvRmT1_PNSt15iterator_traitsIS13_E10value_typeET2_T3_PNS14_IS19_E10value_typeET4_jRbjT5_S1F_jjP12ihipStream_tbEUljE_ZNSN_ISO_Lb1ESR_SS_SU_SV_SZ_EES10_S11_S12_S13_S17_S18_S19_S1C_S1D_jS1E_jS1F_S1F_jjS1H_bEUljE0_EEES10_S11_S12_S19_S1D_S1F_T6_T7_T9_mT8_S1H_bDpT10_ENKUlT_T0_E_clISt17integral_constantIbLb1EES1V_EEDaS1Q_S1R_EUlS1Q_E_NS1_11comp_targetILNS1_3genE4ELNS1_11target_archE910ELNS1_3gpuE8ELNS1_3repE0EEENS1_30default_config_static_selectorELNS0_4arch9wavefront6targetE0EEEvS13_, .Lfunc_end1675-_ZN7rocprim17ROCPRIM_400000_NS6detail17trampoline_kernelINS0_13select_configILj256ELj13ELNS0_17block_load_methodE3ELS4_3ELS4_3ELNS0_20block_scan_algorithmE0ELj4294967295EEENS1_25partition_config_selectorILNS1_17partition_subalgoE4EjNS0_10empty_typeEbEEZZNS1_14partition_implILS8_4ELb0ES6_15HIP_vector_typeIjLj2EENS0_17counting_iteratorIjlEEPS9_SG_NS0_5tupleIJPjSI_NS0_16reverse_iteratorISI_EEEEENSH_IJSG_SG_SG_EEES9_SI_JZNS1_25segmented_radix_sort_implINS0_14default_configELb1EPK6__halfPSP_PKlPlN2at6native12_GLOBAL__N_18offset_tEEE10hipError_tPvRmT1_PNSt15iterator_traitsIS13_E10value_typeET2_T3_PNS14_IS19_E10value_typeET4_jRbjT5_S1F_jjP12ihipStream_tbEUljE_ZNSN_ISO_Lb1ESR_SS_SU_SV_SZ_EES10_S11_S12_S13_S17_S18_S19_S1C_S1D_jS1E_jS1F_S1F_jjS1H_bEUljE0_EEES10_S11_S12_S19_S1D_S1F_T6_T7_T9_mT8_S1H_bDpT10_ENKUlT_T0_E_clISt17integral_constantIbLb1EES1V_EEDaS1Q_S1R_EUlS1Q_E_NS1_11comp_targetILNS1_3genE4ELNS1_11target_archE910ELNS1_3gpuE8ELNS1_3repE0EEENS1_30default_config_static_selectorELNS0_4arch9wavefront6targetE0EEEvS13_
                                        ; -- End function
	.set _ZN7rocprim17ROCPRIM_400000_NS6detail17trampoline_kernelINS0_13select_configILj256ELj13ELNS0_17block_load_methodE3ELS4_3ELS4_3ELNS0_20block_scan_algorithmE0ELj4294967295EEENS1_25partition_config_selectorILNS1_17partition_subalgoE4EjNS0_10empty_typeEbEEZZNS1_14partition_implILS8_4ELb0ES6_15HIP_vector_typeIjLj2EENS0_17counting_iteratorIjlEEPS9_SG_NS0_5tupleIJPjSI_NS0_16reverse_iteratorISI_EEEEENSH_IJSG_SG_SG_EEES9_SI_JZNS1_25segmented_radix_sort_implINS0_14default_configELb1EPK6__halfPSP_PKlPlN2at6native12_GLOBAL__N_18offset_tEEE10hipError_tPvRmT1_PNSt15iterator_traitsIS13_E10value_typeET2_T3_PNS14_IS19_E10value_typeET4_jRbjT5_S1F_jjP12ihipStream_tbEUljE_ZNSN_ISO_Lb1ESR_SS_SU_SV_SZ_EES10_S11_S12_S13_S17_S18_S19_S1C_S1D_jS1E_jS1F_S1F_jjS1H_bEUljE0_EEES10_S11_S12_S19_S1D_S1F_T6_T7_T9_mT8_S1H_bDpT10_ENKUlT_T0_E_clISt17integral_constantIbLb1EES1V_EEDaS1Q_S1R_EUlS1Q_E_NS1_11comp_targetILNS1_3genE4ELNS1_11target_archE910ELNS1_3gpuE8ELNS1_3repE0EEENS1_30default_config_static_selectorELNS0_4arch9wavefront6targetE0EEEvS13_.num_vgpr, 0
	.set _ZN7rocprim17ROCPRIM_400000_NS6detail17trampoline_kernelINS0_13select_configILj256ELj13ELNS0_17block_load_methodE3ELS4_3ELS4_3ELNS0_20block_scan_algorithmE0ELj4294967295EEENS1_25partition_config_selectorILNS1_17partition_subalgoE4EjNS0_10empty_typeEbEEZZNS1_14partition_implILS8_4ELb0ES6_15HIP_vector_typeIjLj2EENS0_17counting_iteratorIjlEEPS9_SG_NS0_5tupleIJPjSI_NS0_16reverse_iteratorISI_EEEEENSH_IJSG_SG_SG_EEES9_SI_JZNS1_25segmented_radix_sort_implINS0_14default_configELb1EPK6__halfPSP_PKlPlN2at6native12_GLOBAL__N_18offset_tEEE10hipError_tPvRmT1_PNSt15iterator_traitsIS13_E10value_typeET2_T3_PNS14_IS19_E10value_typeET4_jRbjT5_S1F_jjP12ihipStream_tbEUljE_ZNSN_ISO_Lb1ESR_SS_SU_SV_SZ_EES10_S11_S12_S13_S17_S18_S19_S1C_S1D_jS1E_jS1F_S1F_jjS1H_bEUljE0_EEES10_S11_S12_S19_S1D_S1F_T6_T7_T9_mT8_S1H_bDpT10_ENKUlT_T0_E_clISt17integral_constantIbLb1EES1V_EEDaS1Q_S1R_EUlS1Q_E_NS1_11comp_targetILNS1_3genE4ELNS1_11target_archE910ELNS1_3gpuE8ELNS1_3repE0EEENS1_30default_config_static_selectorELNS0_4arch9wavefront6targetE0EEEvS13_.num_agpr, 0
	.set _ZN7rocprim17ROCPRIM_400000_NS6detail17trampoline_kernelINS0_13select_configILj256ELj13ELNS0_17block_load_methodE3ELS4_3ELS4_3ELNS0_20block_scan_algorithmE0ELj4294967295EEENS1_25partition_config_selectorILNS1_17partition_subalgoE4EjNS0_10empty_typeEbEEZZNS1_14partition_implILS8_4ELb0ES6_15HIP_vector_typeIjLj2EENS0_17counting_iteratorIjlEEPS9_SG_NS0_5tupleIJPjSI_NS0_16reverse_iteratorISI_EEEEENSH_IJSG_SG_SG_EEES9_SI_JZNS1_25segmented_radix_sort_implINS0_14default_configELb1EPK6__halfPSP_PKlPlN2at6native12_GLOBAL__N_18offset_tEEE10hipError_tPvRmT1_PNSt15iterator_traitsIS13_E10value_typeET2_T3_PNS14_IS19_E10value_typeET4_jRbjT5_S1F_jjP12ihipStream_tbEUljE_ZNSN_ISO_Lb1ESR_SS_SU_SV_SZ_EES10_S11_S12_S13_S17_S18_S19_S1C_S1D_jS1E_jS1F_S1F_jjS1H_bEUljE0_EEES10_S11_S12_S19_S1D_S1F_T6_T7_T9_mT8_S1H_bDpT10_ENKUlT_T0_E_clISt17integral_constantIbLb1EES1V_EEDaS1Q_S1R_EUlS1Q_E_NS1_11comp_targetILNS1_3genE4ELNS1_11target_archE910ELNS1_3gpuE8ELNS1_3repE0EEENS1_30default_config_static_selectorELNS0_4arch9wavefront6targetE0EEEvS13_.numbered_sgpr, 0
	.set _ZN7rocprim17ROCPRIM_400000_NS6detail17trampoline_kernelINS0_13select_configILj256ELj13ELNS0_17block_load_methodE3ELS4_3ELS4_3ELNS0_20block_scan_algorithmE0ELj4294967295EEENS1_25partition_config_selectorILNS1_17partition_subalgoE4EjNS0_10empty_typeEbEEZZNS1_14partition_implILS8_4ELb0ES6_15HIP_vector_typeIjLj2EENS0_17counting_iteratorIjlEEPS9_SG_NS0_5tupleIJPjSI_NS0_16reverse_iteratorISI_EEEEENSH_IJSG_SG_SG_EEES9_SI_JZNS1_25segmented_radix_sort_implINS0_14default_configELb1EPK6__halfPSP_PKlPlN2at6native12_GLOBAL__N_18offset_tEEE10hipError_tPvRmT1_PNSt15iterator_traitsIS13_E10value_typeET2_T3_PNS14_IS19_E10value_typeET4_jRbjT5_S1F_jjP12ihipStream_tbEUljE_ZNSN_ISO_Lb1ESR_SS_SU_SV_SZ_EES10_S11_S12_S13_S17_S18_S19_S1C_S1D_jS1E_jS1F_S1F_jjS1H_bEUljE0_EEES10_S11_S12_S19_S1D_S1F_T6_T7_T9_mT8_S1H_bDpT10_ENKUlT_T0_E_clISt17integral_constantIbLb1EES1V_EEDaS1Q_S1R_EUlS1Q_E_NS1_11comp_targetILNS1_3genE4ELNS1_11target_archE910ELNS1_3gpuE8ELNS1_3repE0EEENS1_30default_config_static_selectorELNS0_4arch9wavefront6targetE0EEEvS13_.num_named_barrier, 0
	.set _ZN7rocprim17ROCPRIM_400000_NS6detail17trampoline_kernelINS0_13select_configILj256ELj13ELNS0_17block_load_methodE3ELS4_3ELS4_3ELNS0_20block_scan_algorithmE0ELj4294967295EEENS1_25partition_config_selectorILNS1_17partition_subalgoE4EjNS0_10empty_typeEbEEZZNS1_14partition_implILS8_4ELb0ES6_15HIP_vector_typeIjLj2EENS0_17counting_iteratorIjlEEPS9_SG_NS0_5tupleIJPjSI_NS0_16reverse_iteratorISI_EEEEENSH_IJSG_SG_SG_EEES9_SI_JZNS1_25segmented_radix_sort_implINS0_14default_configELb1EPK6__halfPSP_PKlPlN2at6native12_GLOBAL__N_18offset_tEEE10hipError_tPvRmT1_PNSt15iterator_traitsIS13_E10value_typeET2_T3_PNS14_IS19_E10value_typeET4_jRbjT5_S1F_jjP12ihipStream_tbEUljE_ZNSN_ISO_Lb1ESR_SS_SU_SV_SZ_EES10_S11_S12_S13_S17_S18_S19_S1C_S1D_jS1E_jS1F_S1F_jjS1H_bEUljE0_EEES10_S11_S12_S19_S1D_S1F_T6_T7_T9_mT8_S1H_bDpT10_ENKUlT_T0_E_clISt17integral_constantIbLb1EES1V_EEDaS1Q_S1R_EUlS1Q_E_NS1_11comp_targetILNS1_3genE4ELNS1_11target_archE910ELNS1_3gpuE8ELNS1_3repE0EEENS1_30default_config_static_selectorELNS0_4arch9wavefront6targetE0EEEvS13_.private_seg_size, 0
	.set _ZN7rocprim17ROCPRIM_400000_NS6detail17trampoline_kernelINS0_13select_configILj256ELj13ELNS0_17block_load_methodE3ELS4_3ELS4_3ELNS0_20block_scan_algorithmE0ELj4294967295EEENS1_25partition_config_selectorILNS1_17partition_subalgoE4EjNS0_10empty_typeEbEEZZNS1_14partition_implILS8_4ELb0ES6_15HIP_vector_typeIjLj2EENS0_17counting_iteratorIjlEEPS9_SG_NS0_5tupleIJPjSI_NS0_16reverse_iteratorISI_EEEEENSH_IJSG_SG_SG_EEES9_SI_JZNS1_25segmented_radix_sort_implINS0_14default_configELb1EPK6__halfPSP_PKlPlN2at6native12_GLOBAL__N_18offset_tEEE10hipError_tPvRmT1_PNSt15iterator_traitsIS13_E10value_typeET2_T3_PNS14_IS19_E10value_typeET4_jRbjT5_S1F_jjP12ihipStream_tbEUljE_ZNSN_ISO_Lb1ESR_SS_SU_SV_SZ_EES10_S11_S12_S13_S17_S18_S19_S1C_S1D_jS1E_jS1F_S1F_jjS1H_bEUljE0_EEES10_S11_S12_S19_S1D_S1F_T6_T7_T9_mT8_S1H_bDpT10_ENKUlT_T0_E_clISt17integral_constantIbLb1EES1V_EEDaS1Q_S1R_EUlS1Q_E_NS1_11comp_targetILNS1_3genE4ELNS1_11target_archE910ELNS1_3gpuE8ELNS1_3repE0EEENS1_30default_config_static_selectorELNS0_4arch9wavefront6targetE0EEEvS13_.uses_vcc, 0
	.set _ZN7rocprim17ROCPRIM_400000_NS6detail17trampoline_kernelINS0_13select_configILj256ELj13ELNS0_17block_load_methodE3ELS4_3ELS4_3ELNS0_20block_scan_algorithmE0ELj4294967295EEENS1_25partition_config_selectorILNS1_17partition_subalgoE4EjNS0_10empty_typeEbEEZZNS1_14partition_implILS8_4ELb0ES6_15HIP_vector_typeIjLj2EENS0_17counting_iteratorIjlEEPS9_SG_NS0_5tupleIJPjSI_NS0_16reverse_iteratorISI_EEEEENSH_IJSG_SG_SG_EEES9_SI_JZNS1_25segmented_radix_sort_implINS0_14default_configELb1EPK6__halfPSP_PKlPlN2at6native12_GLOBAL__N_18offset_tEEE10hipError_tPvRmT1_PNSt15iterator_traitsIS13_E10value_typeET2_T3_PNS14_IS19_E10value_typeET4_jRbjT5_S1F_jjP12ihipStream_tbEUljE_ZNSN_ISO_Lb1ESR_SS_SU_SV_SZ_EES10_S11_S12_S13_S17_S18_S19_S1C_S1D_jS1E_jS1F_S1F_jjS1H_bEUljE0_EEES10_S11_S12_S19_S1D_S1F_T6_T7_T9_mT8_S1H_bDpT10_ENKUlT_T0_E_clISt17integral_constantIbLb1EES1V_EEDaS1Q_S1R_EUlS1Q_E_NS1_11comp_targetILNS1_3genE4ELNS1_11target_archE910ELNS1_3gpuE8ELNS1_3repE0EEENS1_30default_config_static_selectorELNS0_4arch9wavefront6targetE0EEEvS13_.uses_flat_scratch, 0
	.set _ZN7rocprim17ROCPRIM_400000_NS6detail17trampoline_kernelINS0_13select_configILj256ELj13ELNS0_17block_load_methodE3ELS4_3ELS4_3ELNS0_20block_scan_algorithmE0ELj4294967295EEENS1_25partition_config_selectorILNS1_17partition_subalgoE4EjNS0_10empty_typeEbEEZZNS1_14partition_implILS8_4ELb0ES6_15HIP_vector_typeIjLj2EENS0_17counting_iteratorIjlEEPS9_SG_NS0_5tupleIJPjSI_NS0_16reverse_iteratorISI_EEEEENSH_IJSG_SG_SG_EEES9_SI_JZNS1_25segmented_radix_sort_implINS0_14default_configELb1EPK6__halfPSP_PKlPlN2at6native12_GLOBAL__N_18offset_tEEE10hipError_tPvRmT1_PNSt15iterator_traitsIS13_E10value_typeET2_T3_PNS14_IS19_E10value_typeET4_jRbjT5_S1F_jjP12ihipStream_tbEUljE_ZNSN_ISO_Lb1ESR_SS_SU_SV_SZ_EES10_S11_S12_S13_S17_S18_S19_S1C_S1D_jS1E_jS1F_S1F_jjS1H_bEUljE0_EEES10_S11_S12_S19_S1D_S1F_T6_T7_T9_mT8_S1H_bDpT10_ENKUlT_T0_E_clISt17integral_constantIbLb1EES1V_EEDaS1Q_S1R_EUlS1Q_E_NS1_11comp_targetILNS1_3genE4ELNS1_11target_archE910ELNS1_3gpuE8ELNS1_3repE0EEENS1_30default_config_static_selectorELNS0_4arch9wavefront6targetE0EEEvS13_.has_dyn_sized_stack, 0
	.set _ZN7rocprim17ROCPRIM_400000_NS6detail17trampoline_kernelINS0_13select_configILj256ELj13ELNS0_17block_load_methodE3ELS4_3ELS4_3ELNS0_20block_scan_algorithmE0ELj4294967295EEENS1_25partition_config_selectorILNS1_17partition_subalgoE4EjNS0_10empty_typeEbEEZZNS1_14partition_implILS8_4ELb0ES6_15HIP_vector_typeIjLj2EENS0_17counting_iteratorIjlEEPS9_SG_NS0_5tupleIJPjSI_NS0_16reverse_iteratorISI_EEEEENSH_IJSG_SG_SG_EEES9_SI_JZNS1_25segmented_radix_sort_implINS0_14default_configELb1EPK6__halfPSP_PKlPlN2at6native12_GLOBAL__N_18offset_tEEE10hipError_tPvRmT1_PNSt15iterator_traitsIS13_E10value_typeET2_T3_PNS14_IS19_E10value_typeET4_jRbjT5_S1F_jjP12ihipStream_tbEUljE_ZNSN_ISO_Lb1ESR_SS_SU_SV_SZ_EES10_S11_S12_S13_S17_S18_S19_S1C_S1D_jS1E_jS1F_S1F_jjS1H_bEUljE0_EEES10_S11_S12_S19_S1D_S1F_T6_T7_T9_mT8_S1H_bDpT10_ENKUlT_T0_E_clISt17integral_constantIbLb1EES1V_EEDaS1Q_S1R_EUlS1Q_E_NS1_11comp_targetILNS1_3genE4ELNS1_11target_archE910ELNS1_3gpuE8ELNS1_3repE0EEENS1_30default_config_static_selectorELNS0_4arch9wavefront6targetE0EEEvS13_.has_recursion, 0
	.set _ZN7rocprim17ROCPRIM_400000_NS6detail17trampoline_kernelINS0_13select_configILj256ELj13ELNS0_17block_load_methodE3ELS4_3ELS4_3ELNS0_20block_scan_algorithmE0ELj4294967295EEENS1_25partition_config_selectorILNS1_17partition_subalgoE4EjNS0_10empty_typeEbEEZZNS1_14partition_implILS8_4ELb0ES6_15HIP_vector_typeIjLj2EENS0_17counting_iteratorIjlEEPS9_SG_NS0_5tupleIJPjSI_NS0_16reverse_iteratorISI_EEEEENSH_IJSG_SG_SG_EEES9_SI_JZNS1_25segmented_radix_sort_implINS0_14default_configELb1EPK6__halfPSP_PKlPlN2at6native12_GLOBAL__N_18offset_tEEE10hipError_tPvRmT1_PNSt15iterator_traitsIS13_E10value_typeET2_T3_PNS14_IS19_E10value_typeET4_jRbjT5_S1F_jjP12ihipStream_tbEUljE_ZNSN_ISO_Lb1ESR_SS_SU_SV_SZ_EES10_S11_S12_S13_S17_S18_S19_S1C_S1D_jS1E_jS1F_S1F_jjS1H_bEUljE0_EEES10_S11_S12_S19_S1D_S1F_T6_T7_T9_mT8_S1H_bDpT10_ENKUlT_T0_E_clISt17integral_constantIbLb1EES1V_EEDaS1Q_S1R_EUlS1Q_E_NS1_11comp_targetILNS1_3genE4ELNS1_11target_archE910ELNS1_3gpuE8ELNS1_3repE0EEENS1_30default_config_static_selectorELNS0_4arch9wavefront6targetE0EEEvS13_.has_indirect_call, 0
	.section	.AMDGPU.csdata,"",@progbits
; Kernel info:
; codeLenInByte = 0
; TotalNumSgprs: 0
; NumVgprs: 0
; ScratchSize: 0
; MemoryBound: 0
; FloatMode: 240
; IeeeMode: 1
; LDSByteSize: 0 bytes/workgroup (compile time only)
; SGPRBlocks: 0
; VGPRBlocks: 0
; NumSGPRsForWavesPerEU: 1
; NumVGPRsForWavesPerEU: 1
; NamedBarCnt: 0
; Occupancy: 16
; WaveLimiterHint : 0
; COMPUTE_PGM_RSRC2:SCRATCH_EN: 0
; COMPUTE_PGM_RSRC2:USER_SGPR: 2
; COMPUTE_PGM_RSRC2:TRAP_HANDLER: 0
; COMPUTE_PGM_RSRC2:TGID_X_EN: 1
; COMPUTE_PGM_RSRC2:TGID_Y_EN: 0
; COMPUTE_PGM_RSRC2:TGID_Z_EN: 0
; COMPUTE_PGM_RSRC2:TIDIG_COMP_CNT: 0
	.section	.text._ZN7rocprim17ROCPRIM_400000_NS6detail17trampoline_kernelINS0_13select_configILj256ELj13ELNS0_17block_load_methodE3ELS4_3ELS4_3ELNS0_20block_scan_algorithmE0ELj4294967295EEENS1_25partition_config_selectorILNS1_17partition_subalgoE4EjNS0_10empty_typeEbEEZZNS1_14partition_implILS8_4ELb0ES6_15HIP_vector_typeIjLj2EENS0_17counting_iteratorIjlEEPS9_SG_NS0_5tupleIJPjSI_NS0_16reverse_iteratorISI_EEEEENSH_IJSG_SG_SG_EEES9_SI_JZNS1_25segmented_radix_sort_implINS0_14default_configELb1EPK6__halfPSP_PKlPlN2at6native12_GLOBAL__N_18offset_tEEE10hipError_tPvRmT1_PNSt15iterator_traitsIS13_E10value_typeET2_T3_PNS14_IS19_E10value_typeET4_jRbjT5_S1F_jjP12ihipStream_tbEUljE_ZNSN_ISO_Lb1ESR_SS_SU_SV_SZ_EES10_S11_S12_S13_S17_S18_S19_S1C_S1D_jS1E_jS1F_S1F_jjS1H_bEUljE0_EEES10_S11_S12_S19_S1D_S1F_T6_T7_T9_mT8_S1H_bDpT10_ENKUlT_T0_E_clISt17integral_constantIbLb1EES1V_EEDaS1Q_S1R_EUlS1Q_E_NS1_11comp_targetILNS1_3genE3ELNS1_11target_archE908ELNS1_3gpuE7ELNS1_3repE0EEENS1_30default_config_static_selectorELNS0_4arch9wavefront6targetE0EEEvS13_,"axG",@progbits,_ZN7rocprim17ROCPRIM_400000_NS6detail17trampoline_kernelINS0_13select_configILj256ELj13ELNS0_17block_load_methodE3ELS4_3ELS4_3ELNS0_20block_scan_algorithmE0ELj4294967295EEENS1_25partition_config_selectorILNS1_17partition_subalgoE4EjNS0_10empty_typeEbEEZZNS1_14partition_implILS8_4ELb0ES6_15HIP_vector_typeIjLj2EENS0_17counting_iteratorIjlEEPS9_SG_NS0_5tupleIJPjSI_NS0_16reverse_iteratorISI_EEEEENSH_IJSG_SG_SG_EEES9_SI_JZNS1_25segmented_radix_sort_implINS0_14default_configELb1EPK6__halfPSP_PKlPlN2at6native12_GLOBAL__N_18offset_tEEE10hipError_tPvRmT1_PNSt15iterator_traitsIS13_E10value_typeET2_T3_PNS14_IS19_E10value_typeET4_jRbjT5_S1F_jjP12ihipStream_tbEUljE_ZNSN_ISO_Lb1ESR_SS_SU_SV_SZ_EES10_S11_S12_S13_S17_S18_S19_S1C_S1D_jS1E_jS1F_S1F_jjS1H_bEUljE0_EEES10_S11_S12_S19_S1D_S1F_T6_T7_T9_mT8_S1H_bDpT10_ENKUlT_T0_E_clISt17integral_constantIbLb1EES1V_EEDaS1Q_S1R_EUlS1Q_E_NS1_11comp_targetILNS1_3genE3ELNS1_11target_archE908ELNS1_3gpuE7ELNS1_3repE0EEENS1_30default_config_static_selectorELNS0_4arch9wavefront6targetE0EEEvS13_,comdat
	.globl	_ZN7rocprim17ROCPRIM_400000_NS6detail17trampoline_kernelINS0_13select_configILj256ELj13ELNS0_17block_load_methodE3ELS4_3ELS4_3ELNS0_20block_scan_algorithmE0ELj4294967295EEENS1_25partition_config_selectorILNS1_17partition_subalgoE4EjNS0_10empty_typeEbEEZZNS1_14partition_implILS8_4ELb0ES6_15HIP_vector_typeIjLj2EENS0_17counting_iteratorIjlEEPS9_SG_NS0_5tupleIJPjSI_NS0_16reverse_iteratorISI_EEEEENSH_IJSG_SG_SG_EEES9_SI_JZNS1_25segmented_radix_sort_implINS0_14default_configELb1EPK6__halfPSP_PKlPlN2at6native12_GLOBAL__N_18offset_tEEE10hipError_tPvRmT1_PNSt15iterator_traitsIS13_E10value_typeET2_T3_PNS14_IS19_E10value_typeET4_jRbjT5_S1F_jjP12ihipStream_tbEUljE_ZNSN_ISO_Lb1ESR_SS_SU_SV_SZ_EES10_S11_S12_S13_S17_S18_S19_S1C_S1D_jS1E_jS1F_S1F_jjS1H_bEUljE0_EEES10_S11_S12_S19_S1D_S1F_T6_T7_T9_mT8_S1H_bDpT10_ENKUlT_T0_E_clISt17integral_constantIbLb1EES1V_EEDaS1Q_S1R_EUlS1Q_E_NS1_11comp_targetILNS1_3genE3ELNS1_11target_archE908ELNS1_3gpuE7ELNS1_3repE0EEENS1_30default_config_static_selectorELNS0_4arch9wavefront6targetE0EEEvS13_ ; -- Begin function _ZN7rocprim17ROCPRIM_400000_NS6detail17trampoline_kernelINS0_13select_configILj256ELj13ELNS0_17block_load_methodE3ELS4_3ELS4_3ELNS0_20block_scan_algorithmE0ELj4294967295EEENS1_25partition_config_selectorILNS1_17partition_subalgoE4EjNS0_10empty_typeEbEEZZNS1_14partition_implILS8_4ELb0ES6_15HIP_vector_typeIjLj2EENS0_17counting_iteratorIjlEEPS9_SG_NS0_5tupleIJPjSI_NS0_16reverse_iteratorISI_EEEEENSH_IJSG_SG_SG_EEES9_SI_JZNS1_25segmented_radix_sort_implINS0_14default_configELb1EPK6__halfPSP_PKlPlN2at6native12_GLOBAL__N_18offset_tEEE10hipError_tPvRmT1_PNSt15iterator_traitsIS13_E10value_typeET2_T3_PNS14_IS19_E10value_typeET4_jRbjT5_S1F_jjP12ihipStream_tbEUljE_ZNSN_ISO_Lb1ESR_SS_SU_SV_SZ_EES10_S11_S12_S13_S17_S18_S19_S1C_S1D_jS1E_jS1F_S1F_jjS1H_bEUljE0_EEES10_S11_S12_S19_S1D_S1F_T6_T7_T9_mT8_S1H_bDpT10_ENKUlT_T0_E_clISt17integral_constantIbLb1EES1V_EEDaS1Q_S1R_EUlS1Q_E_NS1_11comp_targetILNS1_3genE3ELNS1_11target_archE908ELNS1_3gpuE7ELNS1_3repE0EEENS1_30default_config_static_selectorELNS0_4arch9wavefront6targetE0EEEvS13_
	.p2align	8
	.type	_ZN7rocprim17ROCPRIM_400000_NS6detail17trampoline_kernelINS0_13select_configILj256ELj13ELNS0_17block_load_methodE3ELS4_3ELS4_3ELNS0_20block_scan_algorithmE0ELj4294967295EEENS1_25partition_config_selectorILNS1_17partition_subalgoE4EjNS0_10empty_typeEbEEZZNS1_14partition_implILS8_4ELb0ES6_15HIP_vector_typeIjLj2EENS0_17counting_iteratorIjlEEPS9_SG_NS0_5tupleIJPjSI_NS0_16reverse_iteratorISI_EEEEENSH_IJSG_SG_SG_EEES9_SI_JZNS1_25segmented_radix_sort_implINS0_14default_configELb1EPK6__halfPSP_PKlPlN2at6native12_GLOBAL__N_18offset_tEEE10hipError_tPvRmT1_PNSt15iterator_traitsIS13_E10value_typeET2_T3_PNS14_IS19_E10value_typeET4_jRbjT5_S1F_jjP12ihipStream_tbEUljE_ZNSN_ISO_Lb1ESR_SS_SU_SV_SZ_EES10_S11_S12_S13_S17_S18_S19_S1C_S1D_jS1E_jS1F_S1F_jjS1H_bEUljE0_EEES10_S11_S12_S19_S1D_S1F_T6_T7_T9_mT8_S1H_bDpT10_ENKUlT_T0_E_clISt17integral_constantIbLb1EES1V_EEDaS1Q_S1R_EUlS1Q_E_NS1_11comp_targetILNS1_3genE3ELNS1_11target_archE908ELNS1_3gpuE7ELNS1_3repE0EEENS1_30default_config_static_selectorELNS0_4arch9wavefront6targetE0EEEvS13_,@function
_ZN7rocprim17ROCPRIM_400000_NS6detail17trampoline_kernelINS0_13select_configILj256ELj13ELNS0_17block_load_methodE3ELS4_3ELS4_3ELNS0_20block_scan_algorithmE0ELj4294967295EEENS1_25partition_config_selectorILNS1_17partition_subalgoE4EjNS0_10empty_typeEbEEZZNS1_14partition_implILS8_4ELb0ES6_15HIP_vector_typeIjLj2EENS0_17counting_iteratorIjlEEPS9_SG_NS0_5tupleIJPjSI_NS0_16reverse_iteratorISI_EEEEENSH_IJSG_SG_SG_EEES9_SI_JZNS1_25segmented_radix_sort_implINS0_14default_configELb1EPK6__halfPSP_PKlPlN2at6native12_GLOBAL__N_18offset_tEEE10hipError_tPvRmT1_PNSt15iterator_traitsIS13_E10value_typeET2_T3_PNS14_IS19_E10value_typeET4_jRbjT5_S1F_jjP12ihipStream_tbEUljE_ZNSN_ISO_Lb1ESR_SS_SU_SV_SZ_EES10_S11_S12_S13_S17_S18_S19_S1C_S1D_jS1E_jS1F_S1F_jjS1H_bEUljE0_EEES10_S11_S12_S19_S1D_S1F_T6_T7_T9_mT8_S1H_bDpT10_ENKUlT_T0_E_clISt17integral_constantIbLb1EES1V_EEDaS1Q_S1R_EUlS1Q_E_NS1_11comp_targetILNS1_3genE3ELNS1_11target_archE908ELNS1_3gpuE7ELNS1_3repE0EEENS1_30default_config_static_selectorELNS0_4arch9wavefront6targetE0EEEvS13_: ; @_ZN7rocprim17ROCPRIM_400000_NS6detail17trampoline_kernelINS0_13select_configILj256ELj13ELNS0_17block_load_methodE3ELS4_3ELS4_3ELNS0_20block_scan_algorithmE0ELj4294967295EEENS1_25partition_config_selectorILNS1_17partition_subalgoE4EjNS0_10empty_typeEbEEZZNS1_14partition_implILS8_4ELb0ES6_15HIP_vector_typeIjLj2EENS0_17counting_iteratorIjlEEPS9_SG_NS0_5tupleIJPjSI_NS0_16reverse_iteratorISI_EEEEENSH_IJSG_SG_SG_EEES9_SI_JZNS1_25segmented_radix_sort_implINS0_14default_configELb1EPK6__halfPSP_PKlPlN2at6native12_GLOBAL__N_18offset_tEEE10hipError_tPvRmT1_PNSt15iterator_traitsIS13_E10value_typeET2_T3_PNS14_IS19_E10value_typeET4_jRbjT5_S1F_jjP12ihipStream_tbEUljE_ZNSN_ISO_Lb1ESR_SS_SU_SV_SZ_EES10_S11_S12_S13_S17_S18_S19_S1C_S1D_jS1E_jS1F_S1F_jjS1H_bEUljE0_EEES10_S11_S12_S19_S1D_S1F_T6_T7_T9_mT8_S1H_bDpT10_ENKUlT_T0_E_clISt17integral_constantIbLb1EES1V_EEDaS1Q_S1R_EUlS1Q_E_NS1_11comp_targetILNS1_3genE3ELNS1_11target_archE908ELNS1_3gpuE7ELNS1_3repE0EEENS1_30default_config_static_selectorELNS0_4arch9wavefront6targetE0EEEvS13_
; %bb.0:
	.section	.rodata,"a",@progbits
	.p2align	6, 0x0
	.amdhsa_kernel _ZN7rocprim17ROCPRIM_400000_NS6detail17trampoline_kernelINS0_13select_configILj256ELj13ELNS0_17block_load_methodE3ELS4_3ELS4_3ELNS0_20block_scan_algorithmE0ELj4294967295EEENS1_25partition_config_selectorILNS1_17partition_subalgoE4EjNS0_10empty_typeEbEEZZNS1_14partition_implILS8_4ELb0ES6_15HIP_vector_typeIjLj2EENS0_17counting_iteratorIjlEEPS9_SG_NS0_5tupleIJPjSI_NS0_16reverse_iteratorISI_EEEEENSH_IJSG_SG_SG_EEES9_SI_JZNS1_25segmented_radix_sort_implINS0_14default_configELb1EPK6__halfPSP_PKlPlN2at6native12_GLOBAL__N_18offset_tEEE10hipError_tPvRmT1_PNSt15iterator_traitsIS13_E10value_typeET2_T3_PNS14_IS19_E10value_typeET4_jRbjT5_S1F_jjP12ihipStream_tbEUljE_ZNSN_ISO_Lb1ESR_SS_SU_SV_SZ_EES10_S11_S12_S13_S17_S18_S19_S1C_S1D_jS1E_jS1F_S1F_jjS1H_bEUljE0_EEES10_S11_S12_S19_S1D_S1F_T6_T7_T9_mT8_S1H_bDpT10_ENKUlT_T0_E_clISt17integral_constantIbLb1EES1V_EEDaS1Q_S1R_EUlS1Q_E_NS1_11comp_targetILNS1_3genE3ELNS1_11target_archE908ELNS1_3gpuE7ELNS1_3repE0EEENS1_30default_config_static_selectorELNS0_4arch9wavefront6targetE0EEEvS13_
		.amdhsa_group_segment_fixed_size 0
		.amdhsa_private_segment_fixed_size 0
		.amdhsa_kernarg_size 184
		.amdhsa_user_sgpr_count 2
		.amdhsa_user_sgpr_dispatch_ptr 0
		.amdhsa_user_sgpr_queue_ptr 0
		.amdhsa_user_sgpr_kernarg_segment_ptr 1
		.amdhsa_user_sgpr_dispatch_id 0
		.amdhsa_user_sgpr_kernarg_preload_length 0
		.amdhsa_user_sgpr_kernarg_preload_offset 0
		.amdhsa_user_sgpr_private_segment_size 0
		.amdhsa_wavefront_size32 1
		.amdhsa_uses_dynamic_stack 0
		.amdhsa_enable_private_segment 0
		.amdhsa_system_sgpr_workgroup_id_x 1
		.amdhsa_system_sgpr_workgroup_id_y 0
		.amdhsa_system_sgpr_workgroup_id_z 0
		.amdhsa_system_sgpr_workgroup_info 0
		.amdhsa_system_vgpr_workitem_id 0
		.amdhsa_next_free_vgpr 1
		.amdhsa_next_free_sgpr 1
		.amdhsa_named_barrier_count 0
		.amdhsa_reserve_vcc 0
		.amdhsa_float_round_mode_32 0
		.amdhsa_float_round_mode_16_64 0
		.amdhsa_float_denorm_mode_32 3
		.amdhsa_float_denorm_mode_16_64 3
		.amdhsa_fp16_overflow 0
		.amdhsa_memory_ordered 1
		.amdhsa_forward_progress 1
		.amdhsa_inst_pref_size 0
		.amdhsa_round_robin_scheduling 0
		.amdhsa_exception_fp_ieee_invalid_op 0
		.amdhsa_exception_fp_denorm_src 0
		.amdhsa_exception_fp_ieee_div_zero 0
		.amdhsa_exception_fp_ieee_overflow 0
		.amdhsa_exception_fp_ieee_underflow 0
		.amdhsa_exception_fp_ieee_inexact 0
		.amdhsa_exception_int_div_zero 0
	.end_amdhsa_kernel
	.section	.text._ZN7rocprim17ROCPRIM_400000_NS6detail17trampoline_kernelINS0_13select_configILj256ELj13ELNS0_17block_load_methodE3ELS4_3ELS4_3ELNS0_20block_scan_algorithmE0ELj4294967295EEENS1_25partition_config_selectorILNS1_17partition_subalgoE4EjNS0_10empty_typeEbEEZZNS1_14partition_implILS8_4ELb0ES6_15HIP_vector_typeIjLj2EENS0_17counting_iteratorIjlEEPS9_SG_NS0_5tupleIJPjSI_NS0_16reverse_iteratorISI_EEEEENSH_IJSG_SG_SG_EEES9_SI_JZNS1_25segmented_radix_sort_implINS0_14default_configELb1EPK6__halfPSP_PKlPlN2at6native12_GLOBAL__N_18offset_tEEE10hipError_tPvRmT1_PNSt15iterator_traitsIS13_E10value_typeET2_T3_PNS14_IS19_E10value_typeET4_jRbjT5_S1F_jjP12ihipStream_tbEUljE_ZNSN_ISO_Lb1ESR_SS_SU_SV_SZ_EES10_S11_S12_S13_S17_S18_S19_S1C_S1D_jS1E_jS1F_S1F_jjS1H_bEUljE0_EEES10_S11_S12_S19_S1D_S1F_T6_T7_T9_mT8_S1H_bDpT10_ENKUlT_T0_E_clISt17integral_constantIbLb1EES1V_EEDaS1Q_S1R_EUlS1Q_E_NS1_11comp_targetILNS1_3genE3ELNS1_11target_archE908ELNS1_3gpuE7ELNS1_3repE0EEENS1_30default_config_static_selectorELNS0_4arch9wavefront6targetE0EEEvS13_,"axG",@progbits,_ZN7rocprim17ROCPRIM_400000_NS6detail17trampoline_kernelINS0_13select_configILj256ELj13ELNS0_17block_load_methodE3ELS4_3ELS4_3ELNS0_20block_scan_algorithmE0ELj4294967295EEENS1_25partition_config_selectorILNS1_17partition_subalgoE4EjNS0_10empty_typeEbEEZZNS1_14partition_implILS8_4ELb0ES6_15HIP_vector_typeIjLj2EENS0_17counting_iteratorIjlEEPS9_SG_NS0_5tupleIJPjSI_NS0_16reverse_iteratorISI_EEEEENSH_IJSG_SG_SG_EEES9_SI_JZNS1_25segmented_radix_sort_implINS0_14default_configELb1EPK6__halfPSP_PKlPlN2at6native12_GLOBAL__N_18offset_tEEE10hipError_tPvRmT1_PNSt15iterator_traitsIS13_E10value_typeET2_T3_PNS14_IS19_E10value_typeET4_jRbjT5_S1F_jjP12ihipStream_tbEUljE_ZNSN_ISO_Lb1ESR_SS_SU_SV_SZ_EES10_S11_S12_S13_S17_S18_S19_S1C_S1D_jS1E_jS1F_S1F_jjS1H_bEUljE0_EEES10_S11_S12_S19_S1D_S1F_T6_T7_T9_mT8_S1H_bDpT10_ENKUlT_T0_E_clISt17integral_constantIbLb1EES1V_EEDaS1Q_S1R_EUlS1Q_E_NS1_11comp_targetILNS1_3genE3ELNS1_11target_archE908ELNS1_3gpuE7ELNS1_3repE0EEENS1_30default_config_static_selectorELNS0_4arch9wavefront6targetE0EEEvS13_,comdat
.Lfunc_end1676:
	.size	_ZN7rocprim17ROCPRIM_400000_NS6detail17trampoline_kernelINS0_13select_configILj256ELj13ELNS0_17block_load_methodE3ELS4_3ELS4_3ELNS0_20block_scan_algorithmE0ELj4294967295EEENS1_25partition_config_selectorILNS1_17partition_subalgoE4EjNS0_10empty_typeEbEEZZNS1_14partition_implILS8_4ELb0ES6_15HIP_vector_typeIjLj2EENS0_17counting_iteratorIjlEEPS9_SG_NS0_5tupleIJPjSI_NS0_16reverse_iteratorISI_EEEEENSH_IJSG_SG_SG_EEES9_SI_JZNS1_25segmented_radix_sort_implINS0_14default_configELb1EPK6__halfPSP_PKlPlN2at6native12_GLOBAL__N_18offset_tEEE10hipError_tPvRmT1_PNSt15iterator_traitsIS13_E10value_typeET2_T3_PNS14_IS19_E10value_typeET4_jRbjT5_S1F_jjP12ihipStream_tbEUljE_ZNSN_ISO_Lb1ESR_SS_SU_SV_SZ_EES10_S11_S12_S13_S17_S18_S19_S1C_S1D_jS1E_jS1F_S1F_jjS1H_bEUljE0_EEES10_S11_S12_S19_S1D_S1F_T6_T7_T9_mT8_S1H_bDpT10_ENKUlT_T0_E_clISt17integral_constantIbLb1EES1V_EEDaS1Q_S1R_EUlS1Q_E_NS1_11comp_targetILNS1_3genE3ELNS1_11target_archE908ELNS1_3gpuE7ELNS1_3repE0EEENS1_30default_config_static_selectorELNS0_4arch9wavefront6targetE0EEEvS13_, .Lfunc_end1676-_ZN7rocprim17ROCPRIM_400000_NS6detail17trampoline_kernelINS0_13select_configILj256ELj13ELNS0_17block_load_methodE3ELS4_3ELS4_3ELNS0_20block_scan_algorithmE0ELj4294967295EEENS1_25partition_config_selectorILNS1_17partition_subalgoE4EjNS0_10empty_typeEbEEZZNS1_14partition_implILS8_4ELb0ES6_15HIP_vector_typeIjLj2EENS0_17counting_iteratorIjlEEPS9_SG_NS0_5tupleIJPjSI_NS0_16reverse_iteratorISI_EEEEENSH_IJSG_SG_SG_EEES9_SI_JZNS1_25segmented_radix_sort_implINS0_14default_configELb1EPK6__halfPSP_PKlPlN2at6native12_GLOBAL__N_18offset_tEEE10hipError_tPvRmT1_PNSt15iterator_traitsIS13_E10value_typeET2_T3_PNS14_IS19_E10value_typeET4_jRbjT5_S1F_jjP12ihipStream_tbEUljE_ZNSN_ISO_Lb1ESR_SS_SU_SV_SZ_EES10_S11_S12_S13_S17_S18_S19_S1C_S1D_jS1E_jS1F_S1F_jjS1H_bEUljE0_EEES10_S11_S12_S19_S1D_S1F_T6_T7_T9_mT8_S1H_bDpT10_ENKUlT_T0_E_clISt17integral_constantIbLb1EES1V_EEDaS1Q_S1R_EUlS1Q_E_NS1_11comp_targetILNS1_3genE3ELNS1_11target_archE908ELNS1_3gpuE7ELNS1_3repE0EEENS1_30default_config_static_selectorELNS0_4arch9wavefront6targetE0EEEvS13_
                                        ; -- End function
	.set _ZN7rocprim17ROCPRIM_400000_NS6detail17trampoline_kernelINS0_13select_configILj256ELj13ELNS0_17block_load_methodE3ELS4_3ELS4_3ELNS0_20block_scan_algorithmE0ELj4294967295EEENS1_25partition_config_selectorILNS1_17partition_subalgoE4EjNS0_10empty_typeEbEEZZNS1_14partition_implILS8_4ELb0ES6_15HIP_vector_typeIjLj2EENS0_17counting_iteratorIjlEEPS9_SG_NS0_5tupleIJPjSI_NS0_16reverse_iteratorISI_EEEEENSH_IJSG_SG_SG_EEES9_SI_JZNS1_25segmented_radix_sort_implINS0_14default_configELb1EPK6__halfPSP_PKlPlN2at6native12_GLOBAL__N_18offset_tEEE10hipError_tPvRmT1_PNSt15iterator_traitsIS13_E10value_typeET2_T3_PNS14_IS19_E10value_typeET4_jRbjT5_S1F_jjP12ihipStream_tbEUljE_ZNSN_ISO_Lb1ESR_SS_SU_SV_SZ_EES10_S11_S12_S13_S17_S18_S19_S1C_S1D_jS1E_jS1F_S1F_jjS1H_bEUljE0_EEES10_S11_S12_S19_S1D_S1F_T6_T7_T9_mT8_S1H_bDpT10_ENKUlT_T0_E_clISt17integral_constantIbLb1EES1V_EEDaS1Q_S1R_EUlS1Q_E_NS1_11comp_targetILNS1_3genE3ELNS1_11target_archE908ELNS1_3gpuE7ELNS1_3repE0EEENS1_30default_config_static_selectorELNS0_4arch9wavefront6targetE0EEEvS13_.num_vgpr, 0
	.set _ZN7rocprim17ROCPRIM_400000_NS6detail17trampoline_kernelINS0_13select_configILj256ELj13ELNS0_17block_load_methodE3ELS4_3ELS4_3ELNS0_20block_scan_algorithmE0ELj4294967295EEENS1_25partition_config_selectorILNS1_17partition_subalgoE4EjNS0_10empty_typeEbEEZZNS1_14partition_implILS8_4ELb0ES6_15HIP_vector_typeIjLj2EENS0_17counting_iteratorIjlEEPS9_SG_NS0_5tupleIJPjSI_NS0_16reverse_iteratorISI_EEEEENSH_IJSG_SG_SG_EEES9_SI_JZNS1_25segmented_radix_sort_implINS0_14default_configELb1EPK6__halfPSP_PKlPlN2at6native12_GLOBAL__N_18offset_tEEE10hipError_tPvRmT1_PNSt15iterator_traitsIS13_E10value_typeET2_T3_PNS14_IS19_E10value_typeET4_jRbjT5_S1F_jjP12ihipStream_tbEUljE_ZNSN_ISO_Lb1ESR_SS_SU_SV_SZ_EES10_S11_S12_S13_S17_S18_S19_S1C_S1D_jS1E_jS1F_S1F_jjS1H_bEUljE0_EEES10_S11_S12_S19_S1D_S1F_T6_T7_T9_mT8_S1H_bDpT10_ENKUlT_T0_E_clISt17integral_constantIbLb1EES1V_EEDaS1Q_S1R_EUlS1Q_E_NS1_11comp_targetILNS1_3genE3ELNS1_11target_archE908ELNS1_3gpuE7ELNS1_3repE0EEENS1_30default_config_static_selectorELNS0_4arch9wavefront6targetE0EEEvS13_.num_agpr, 0
	.set _ZN7rocprim17ROCPRIM_400000_NS6detail17trampoline_kernelINS0_13select_configILj256ELj13ELNS0_17block_load_methodE3ELS4_3ELS4_3ELNS0_20block_scan_algorithmE0ELj4294967295EEENS1_25partition_config_selectorILNS1_17partition_subalgoE4EjNS0_10empty_typeEbEEZZNS1_14partition_implILS8_4ELb0ES6_15HIP_vector_typeIjLj2EENS0_17counting_iteratorIjlEEPS9_SG_NS0_5tupleIJPjSI_NS0_16reverse_iteratorISI_EEEEENSH_IJSG_SG_SG_EEES9_SI_JZNS1_25segmented_radix_sort_implINS0_14default_configELb1EPK6__halfPSP_PKlPlN2at6native12_GLOBAL__N_18offset_tEEE10hipError_tPvRmT1_PNSt15iterator_traitsIS13_E10value_typeET2_T3_PNS14_IS19_E10value_typeET4_jRbjT5_S1F_jjP12ihipStream_tbEUljE_ZNSN_ISO_Lb1ESR_SS_SU_SV_SZ_EES10_S11_S12_S13_S17_S18_S19_S1C_S1D_jS1E_jS1F_S1F_jjS1H_bEUljE0_EEES10_S11_S12_S19_S1D_S1F_T6_T7_T9_mT8_S1H_bDpT10_ENKUlT_T0_E_clISt17integral_constantIbLb1EES1V_EEDaS1Q_S1R_EUlS1Q_E_NS1_11comp_targetILNS1_3genE3ELNS1_11target_archE908ELNS1_3gpuE7ELNS1_3repE0EEENS1_30default_config_static_selectorELNS0_4arch9wavefront6targetE0EEEvS13_.numbered_sgpr, 0
	.set _ZN7rocprim17ROCPRIM_400000_NS6detail17trampoline_kernelINS0_13select_configILj256ELj13ELNS0_17block_load_methodE3ELS4_3ELS4_3ELNS0_20block_scan_algorithmE0ELj4294967295EEENS1_25partition_config_selectorILNS1_17partition_subalgoE4EjNS0_10empty_typeEbEEZZNS1_14partition_implILS8_4ELb0ES6_15HIP_vector_typeIjLj2EENS0_17counting_iteratorIjlEEPS9_SG_NS0_5tupleIJPjSI_NS0_16reverse_iteratorISI_EEEEENSH_IJSG_SG_SG_EEES9_SI_JZNS1_25segmented_radix_sort_implINS0_14default_configELb1EPK6__halfPSP_PKlPlN2at6native12_GLOBAL__N_18offset_tEEE10hipError_tPvRmT1_PNSt15iterator_traitsIS13_E10value_typeET2_T3_PNS14_IS19_E10value_typeET4_jRbjT5_S1F_jjP12ihipStream_tbEUljE_ZNSN_ISO_Lb1ESR_SS_SU_SV_SZ_EES10_S11_S12_S13_S17_S18_S19_S1C_S1D_jS1E_jS1F_S1F_jjS1H_bEUljE0_EEES10_S11_S12_S19_S1D_S1F_T6_T7_T9_mT8_S1H_bDpT10_ENKUlT_T0_E_clISt17integral_constantIbLb1EES1V_EEDaS1Q_S1R_EUlS1Q_E_NS1_11comp_targetILNS1_3genE3ELNS1_11target_archE908ELNS1_3gpuE7ELNS1_3repE0EEENS1_30default_config_static_selectorELNS0_4arch9wavefront6targetE0EEEvS13_.num_named_barrier, 0
	.set _ZN7rocprim17ROCPRIM_400000_NS6detail17trampoline_kernelINS0_13select_configILj256ELj13ELNS0_17block_load_methodE3ELS4_3ELS4_3ELNS0_20block_scan_algorithmE0ELj4294967295EEENS1_25partition_config_selectorILNS1_17partition_subalgoE4EjNS0_10empty_typeEbEEZZNS1_14partition_implILS8_4ELb0ES6_15HIP_vector_typeIjLj2EENS0_17counting_iteratorIjlEEPS9_SG_NS0_5tupleIJPjSI_NS0_16reverse_iteratorISI_EEEEENSH_IJSG_SG_SG_EEES9_SI_JZNS1_25segmented_radix_sort_implINS0_14default_configELb1EPK6__halfPSP_PKlPlN2at6native12_GLOBAL__N_18offset_tEEE10hipError_tPvRmT1_PNSt15iterator_traitsIS13_E10value_typeET2_T3_PNS14_IS19_E10value_typeET4_jRbjT5_S1F_jjP12ihipStream_tbEUljE_ZNSN_ISO_Lb1ESR_SS_SU_SV_SZ_EES10_S11_S12_S13_S17_S18_S19_S1C_S1D_jS1E_jS1F_S1F_jjS1H_bEUljE0_EEES10_S11_S12_S19_S1D_S1F_T6_T7_T9_mT8_S1H_bDpT10_ENKUlT_T0_E_clISt17integral_constantIbLb1EES1V_EEDaS1Q_S1R_EUlS1Q_E_NS1_11comp_targetILNS1_3genE3ELNS1_11target_archE908ELNS1_3gpuE7ELNS1_3repE0EEENS1_30default_config_static_selectorELNS0_4arch9wavefront6targetE0EEEvS13_.private_seg_size, 0
	.set _ZN7rocprim17ROCPRIM_400000_NS6detail17trampoline_kernelINS0_13select_configILj256ELj13ELNS0_17block_load_methodE3ELS4_3ELS4_3ELNS0_20block_scan_algorithmE0ELj4294967295EEENS1_25partition_config_selectorILNS1_17partition_subalgoE4EjNS0_10empty_typeEbEEZZNS1_14partition_implILS8_4ELb0ES6_15HIP_vector_typeIjLj2EENS0_17counting_iteratorIjlEEPS9_SG_NS0_5tupleIJPjSI_NS0_16reverse_iteratorISI_EEEEENSH_IJSG_SG_SG_EEES9_SI_JZNS1_25segmented_radix_sort_implINS0_14default_configELb1EPK6__halfPSP_PKlPlN2at6native12_GLOBAL__N_18offset_tEEE10hipError_tPvRmT1_PNSt15iterator_traitsIS13_E10value_typeET2_T3_PNS14_IS19_E10value_typeET4_jRbjT5_S1F_jjP12ihipStream_tbEUljE_ZNSN_ISO_Lb1ESR_SS_SU_SV_SZ_EES10_S11_S12_S13_S17_S18_S19_S1C_S1D_jS1E_jS1F_S1F_jjS1H_bEUljE0_EEES10_S11_S12_S19_S1D_S1F_T6_T7_T9_mT8_S1H_bDpT10_ENKUlT_T0_E_clISt17integral_constantIbLb1EES1V_EEDaS1Q_S1R_EUlS1Q_E_NS1_11comp_targetILNS1_3genE3ELNS1_11target_archE908ELNS1_3gpuE7ELNS1_3repE0EEENS1_30default_config_static_selectorELNS0_4arch9wavefront6targetE0EEEvS13_.uses_vcc, 0
	.set _ZN7rocprim17ROCPRIM_400000_NS6detail17trampoline_kernelINS0_13select_configILj256ELj13ELNS0_17block_load_methodE3ELS4_3ELS4_3ELNS0_20block_scan_algorithmE0ELj4294967295EEENS1_25partition_config_selectorILNS1_17partition_subalgoE4EjNS0_10empty_typeEbEEZZNS1_14partition_implILS8_4ELb0ES6_15HIP_vector_typeIjLj2EENS0_17counting_iteratorIjlEEPS9_SG_NS0_5tupleIJPjSI_NS0_16reverse_iteratorISI_EEEEENSH_IJSG_SG_SG_EEES9_SI_JZNS1_25segmented_radix_sort_implINS0_14default_configELb1EPK6__halfPSP_PKlPlN2at6native12_GLOBAL__N_18offset_tEEE10hipError_tPvRmT1_PNSt15iterator_traitsIS13_E10value_typeET2_T3_PNS14_IS19_E10value_typeET4_jRbjT5_S1F_jjP12ihipStream_tbEUljE_ZNSN_ISO_Lb1ESR_SS_SU_SV_SZ_EES10_S11_S12_S13_S17_S18_S19_S1C_S1D_jS1E_jS1F_S1F_jjS1H_bEUljE0_EEES10_S11_S12_S19_S1D_S1F_T6_T7_T9_mT8_S1H_bDpT10_ENKUlT_T0_E_clISt17integral_constantIbLb1EES1V_EEDaS1Q_S1R_EUlS1Q_E_NS1_11comp_targetILNS1_3genE3ELNS1_11target_archE908ELNS1_3gpuE7ELNS1_3repE0EEENS1_30default_config_static_selectorELNS0_4arch9wavefront6targetE0EEEvS13_.uses_flat_scratch, 0
	.set _ZN7rocprim17ROCPRIM_400000_NS6detail17trampoline_kernelINS0_13select_configILj256ELj13ELNS0_17block_load_methodE3ELS4_3ELS4_3ELNS0_20block_scan_algorithmE0ELj4294967295EEENS1_25partition_config_selectorILNS1_17partition_subalgoE4EjNS0_10empty_typeEbEEZZNS1_14partition_implILS8_4ELb0ES6_15HIP_vector_typeIjLj2EENS0_17counting_iteratorIjlEEPS9_SG_NS0_5tupleIJPjSI_NS0_16reverse_iteratorISI_EEEEENSH_IJSG_SG_SG_EEES9_SI_JZNS1_25segmented_radix_sort_implINS0_14default_configELb1EPK6__halfPSP_PKlPlN2at6native12_GLOBAL__N_18offset_tEEE10hipError_tPvRmT1_PNSt15iterator_traitsIS13_E10value_typeET2_T3_PNS14_IS19_E10value_typeET4_jRbjT5_S1F_jjP12ihipStream_tbEUljE_ZNSN_ISO_Lb1ESR_SS_SU_SV_SZ_EES10_S11_S12_S13_S17_S18_S19_S1C_S1D_jS1E_jS1F_S1F_jjS1H_bEUljE0_EEES10_S11_S12_S19_S1D_S1F_T6_T7_T9_mT8_S1H_bDpT10_ENKUlT_T0_E_clISt17integral_constantIbLb1EES1V_EEDaS1Q_S1R_EUlS1Q_E_NS1_11comp_targetILNS1_3genE3ELNS1_11target_archE908ELNS1_3gpuE7ELNS1_3repE0EEENS1_30default_config_static_selectorELNS0_4arch9wavefront6targetE0EEEvS13_.has_dyn_sized_stack, 0
	.set _ZN7rocprim17ROCPRIM_400000_NS6detail17trampoline_kernelINS0_13select_configILj256ELj13ELNS0_17block_load_methodE3ELS4_3ELS4_3ELNS0_20block_scan_algorithmE0ELj4294967295EEENS1_25partition_config_selectorILNS1_17partition_subalgoE4EjNS0_10empty_typeEbEEZZNS1_14partition_implILS8_4ELb0ES6_15HIP_vector_typeIjLj2EENS0_17counting_iteratorIjlEEPS9_SG_NS0_5tupleIJPjSI_NS0_16reverse_iteratorISI_EEEEENSH_IJSG_SG_SG_EEES9_SI_JZNS1_25segmented_radix_sort_implINS0_14default_configELb1EPK6__halfPSP_PKlPlN2at6native12_GLOBAL__N_18offset_tEEE10hipError_tPvRmT1_PNSt15iterator_traitsIS13_E10value_typeET2_T3_PNS14_IS19_E10value_typeET4_jRbjT5_S1F_jjP12ihipStream_tbEUljE_ZNSN_ISO_Lb1ESR_SS_SU_SV_SZ_EES10_S11_S12_S13_S17_S18_S19_S1C_S1D_jS1E_jS1F_S1F_jjS1H_bEUljE0_EEES10_S11_S12_S19_S1D_S1F_T6_T7_T9_mT8_S1H_bDpT10_ENKUlT_T0_E_clISt17integral_constantIbLb1EES1V_EEDaS1Q_S1R_EUlS1Q_E_NS1_11comp_targetILNS1_3genE3ELNS1_11target_archE908ELNS1_3gpuE7ELNS1_3repE0EEENS1_30default_config_static_selectorELNS0_4arch9wavefront6targetE0EEEvS13_.has_recursion, 0
	.set _ZN7rocprim17ROCPRIM_400000_NS6detail17trampoline_kernelINS0_13select_configILj256ELj13ELNS0_17block_load_methodE3ELS4_3ELS4_3ELNS0_20block_scan_algorithmE0ELj4294967295EEENS1_25partition_config_selectorILNS1_17partition_subalgoE4EjNS0_10empty_typeEbEEZZNS1_14partition_implILS8_4ELb0ES6_15HIP_vector_typeIjLj2EENS0_17counting_iteratorIjlEEPS9_SG_NS0_5tupleIJPjSI_NS0_16reverse_iteratorISI_EEEEENSH_IJSG_SG_SG_EEES9_SI_JZNS1_25segmented_radix_sort_implINS0_14default_configELb1EPK6__halfPSP_PKlPlN2at6native12_GLOBAL__N_18offset_tEEE10hipError_tPvRmT1_PNSt15iterator_traitsIS13_E10value_typeET2_T3_PNS14_IS19_E10value_typeET4_jRbjT5_S1F_jjP12ihipStream_tbEUljE_ZNSN_ISO_Lb1ESR_SS_SU_SV_SZ_EES10_S11_S12_S13_S17_S18_S19_S1C_S1D_jS1E_jS1F_S1F_jjS1H_bEUljE0_EEES10_S11_S12_S19_S1D_S1F_T6_T7_T9_mT8_S1H_bDpT10_ENKUlT_T0_E_clISt17integral_constantIbLb1EES1V_EEDaS1Q_S1R_EUlS1Q_E_NS1_11comp_targetILNS1_3genE3ELNS1_11target_archE908ELNS1_3gpuE7ELNS1_3repE0EEENS1_30default_config_static_selectorELNS0_4arch9wavefront6targetE0EEEvS13_.has_indirect_call, 0
	.section	.AMDGPU.csdata,"",@progbits
; Kernel info:
; codeLenInByte = 0
; TotalNumSgprs: 0
; NumVgprs: 0
; ScratchSize: 0
; MemoryBound: 0
; FloatMode: 240
; IeeeMode: 1
; LDSByteSize: 0 bytes/workgroup (compile time only)
; SGPRBlocks: 0
; VGPRBlocks: 0
; NumSGPRsForWavesPerEU: 1
; NumVGPRsForWavesPerEU: 1
; NamedBarCnt: 0
; Occupancy: 16
; WaveLimiterHint : 0
; COMPUTE_PGM_RSRC2:SCRATCH_EN: 0
; COMPUTE_PGM_RSRC2:USER_SGPR: 2
; COMPUTE_PGM_RSRC2:TRAP_HANDLER: 0
; COMPUTE_PGM_RSRC2:TGID_X_EN: 1
; COMPUTE_PGM_RSRC2:TGID_Y_EN: 0
; COMPUTE_PGM_RSRC2:TGID_Z_EN: 0
; COMPUTE_PGM_RSRC2:TIDIG_COMP_CNT: 0
	.section	.text._ZN7rocprim17ROCPRIM_400000_NS6detail17trampoline_kernelINS0_13select_configILj256ELj13ELNS0_17block_load_methodE3ELS4_3ELS4_3ELNS0_20block_scan_algorithmE0ELj4294967295EEENS1_25partition_config_selectorILNS1_17partition_subalgoE4EjNS0_10empty_typeEbEEZZNS1_14partition_implILS8_4ELb0ES6_15HIP_vector_typeIjLj2EENS0_17counting_iteratorIjlEEPS9_SG_NS0_5tupleIJPjSI_NS0_16reverse_iteratorISI_EEEEENSH_IJSG_SG_SG_EEES9_SI_JZNS1_25segmented_radix_sort_implINS0_14default_configELb1EPK6__halfPSP_PKlPlN2at6native12_GLOBAL__N_18offset_tEEE10hipError_tPvRmT1_PNSt15iterator_traitsIS13_E10value_typeET2_T3_PNS14_IS19_E10value_typeET4_jRbjT5_S1F_jjP12ihipStream_tbEUljE_ZNSN_ISO_Lb1ESR_SS_SU_SV_SZ_EES10_S11_S12_S13_S17_S18_S19_S1C_S1D_jS1E_jS1F_S1F_jjS1H_bEUljE0_EEES10_S11_S12_S19_S1D_S1F_T6_T7_T9_mT8_S1H_bDpT10_ENKUlT_T0_E_clISt17integral_constantIbLb1EES1V_EEDaS1Q_S1R_EUlS1Q_E_NS1_11comp_targetILNS1_3genE2ELNS1_11target_archE906ELNS1_3gpuE6ELNS1_3repE0EEENS1_30default_config_static_selectorELNS0_4arch9wavefront6targetE0EEEvS13_,"axG",@progbits,_ZN7rocprim17ROCPRIM_400000_NS6detail17trampoline_kernelINS0_13select_configILj256ELj13ELNS0_17block_load_methodE3ELS4_3ELS4_3ELNS0_20block_scan_algorithmE0ELj4294967295EEENS1_25partition_config_selectorILNS1_17partition_subalgoE4EjNS0_10empty_typeEbEEZZNS1_14partition_implILS8_4ELb0ES6_15HIP_vector_typeIjLj2EENS0_17counting_iteratorIjlEEPS9_SG_NS0_5tupleIJPjSI_NS0_16reverse_iteratorISI_EEEEENSH_IJSG_SG_SG_EEES9_SI_JZNS1_25segmented_radix_sort_implINS0_14default_configELb1EPK6__halfPSP_PKlPlN2at6native12_GLOBAL__N_18offset_tEEE10hipError_tPvRmT1_PNSt15iterator_traitsIS13_E10value_typeET2_T3_PNS14_IS19_E10value_typeET4_jRbjT5_S1F_jjP12ihipStream_tbEUljE_ZNSN_ISO_Lb1ESR_SS_SU_SV_SZ_EES10_S11_S12_S13_S17_S18_S19_S1C_S1D_jS1E_jS1F_S1F_jjS1H_bEUljE0_EEES10_S11_S12_S19_S1D_S1F_T6_T7_T9_mT8_S1H_bDpT10_ENKUlT_T0_E_clISt17integral_constantIbLb1EES1V_EEDaS1Q_S1R_EUlS1Q_E_NS1_11comp_targetILNS1_3genE2ELNS1_11target_archE906ELNS1_3gpuE6ELNS1_3repE0EEENS1_30default_config_static_selectorELNS0_4arch9wavefront6targetE0EEEvS13_,comdat
	.globl	_ZN7rocprim17ROCPRIM_400000_NS6detail17trampoline_kernelINS0_13select_configILj256ELj13ELNS0_17block_load_methodE3ELS4_3ELS4_3ELNS0_20block_scan_algorithmE0ELj4294967295EEENS1_25partition_config_selectorILNS1_17partition_subalgoE4EjNS0_10empty_typeEbEEZZNS1_14partition_implILS8_4ELb0ES6_15HIP_vector_typeIjLj2EENS0_17counting_iteratorIjlEEPS9_SG_NS0_5tupleIJPjSI_NS0_16reverse_iteratorISI_EEEEENSH_IJSG_SG_SG_EEES9_SI_JZNS1_25segmented_radix_sort_implINS0_14default_configELb1EPK6__halfPSP_PKlPlN2at6native12_GLOBAL__N_18offset_tEEE10hipError_tPvRmT1_PNSt15iterator_traitsIS13_E10value_typeET2_T3_PNS14_IS19_E10value_typeET4_jRbjT5_S1F_jjP12ihipStream_tbEUljE_ZNSN_ISO_Lb1ESR_SS_SU_SV_SZ_EES10_S11_S12_S13_S17_S18_S19_S1C_S1D_jS1E_jS1F_S1F_jjS1H_bEUljE0_EEES10_S11_S12_S19_S1D_S1F_T6_T7_T9_mT8_S1H_bDpT10_ENKUlT_T0_E_clISt17integral_constantIbLb1EES1V_EEDaS1Q_S1R_EUlS1Q_E_NS1_11comp_targetILNS1_3genE2ELNS1_11target_archE906ELNS1_3gpuE6ELNS1_3repE0EEENS1_30default_config_static_selectorELNS0_4arch9wavefront6targetE0EEEvS13_ ; -- Begin function _ZN7rocprim17ROCPRIM_400000_NS6detail17trampoline_kernelINS0_13select_configILj256ELj13ELNS0_17block_load_methodE3ELS4_3ELS4_3ELNS0_20block_scan_algorithmE0ELj4294967295EEENS1_25partition_config_selectorILNS1_17partition_subalgoE4EjNS0_10empty_typeEbEEZZNS1_14partition_implILS8_4ELb0ES6_15HIP_vector_typeIjLj2EENS0_17counting_iteratorIjlEEPS9_SG_NS0_5tupleIJPjSI_NS0_16reverse_iteratorISI_EEEEENSH_IJSG_SG_SG_EEES9_SI_JZNS1_25segmented_radix_sort_implINS0_14default_configELb1EPK6__halfPSP_PKlPlN2at6native12_GLOBAL__N_18offset_tEEE10hipError_tPvRmT1_PNSt15iterator_traitsIS13_E10value_typeET2_T3_PNS14_IS19_E10value_typeET4_jRbjT5_S1F_jjP12ihipStream_tbEUljE_ZNSN_ISO_Lb1ESR_SS_SU_SV_SZ_EES10_S11_S12_S13_S17_S18_S19_S1C_S1D_jS1E_jS1F_S1F_jjS1H_bEUljE0_EEES10_S11_S12_S19_S1D_S1F_T6_T7_T9_mT8_S1H_bDpT10_ENKUlT_T0_E_clISt17integral_constantIbLb1EES1V_EEDaS1Q_S1R_EUlS1Q_E_NS1_11comp_targetILNS1_3genE2ELNS1_11target_archE906ELNS1_3gpuE6ELNS1_3repE0EEENS1_30default_config_static_selectorELNS0_4arch9wavefront6targetE0EEEvS13_
	.p2align	8
	.type	_ZN7rocprim17ROCPRIM_400000_NS6detail17trampoline_kernelINS0_13select_configILj256ELj13ELNS0_17block_load_methodE3ELS4_3ELS4_3ELNS0_20block_scan_algorithmE0ELj4294967295EEENS1_25partition_config_selectorILNS1_17partition_subalgoE4EjNS0_10empty_typeEbEEZZNS1_14partition_implILS8_4ELb0ES6_15HIP_vector_typeIjLj2EENS0_17counting_iteratorIjlEEPS9_SG_NS0_5tupleIJPjSI_NS0_16reverse_iteratorISI_EEEEENSH_IJSG_SG_SG_EEES9_SI_JZNS1_25segmented_radix_sort_implINS0_14default_configELb1EPK6__halfPSP_PKlPlN2at6native12_GLOBAL__N_18offset_tEEE10hipError_tPvRmT1_PNSt15iterator_traitsIS13_E10value_typeET2_T3_PNS14_IS19_E10value_typeET4_jRbjT5_S1F_jjP12ihipStream_tbEUljE_ZNSN_ISO_Lb1ESR_SS_SU_SV_SZ_EES10_S11_S12_S13_S17_S18_S19_S1C_S1D_jS1E_jS1F_S1F_jjS1H_bEUljE0_EEES10_S11_S12_S19_S1D_S1F_T6_T7_T9_mT8_S1H_bDpT10_ENKUlT_T0_E_clISt17integral_constantIbLb1EES1V_EEDaS1Q_S1R_EUlS1Q_E_NS1_11comp_targetILNS1_3genE2ELNS1_11target_archE906ELNS1_3gpuE6ELNS1_3repE0EEENS1_30default_config_static_selectorELNS0_4arch9wavefront6targetE0EEEvS13_,@function
_ZN7rocprim17ROCPRIM_400000_NS6detail17trampoline_kernelINS0_13select_configILj256ELj13ELNS0_17block_load_methodE3ELS4_3ELS4_3ELNS0_20block_scan_algorithmE0ELj4294967295EEENS1_25partition_config_selectorILNS1_17partition_subalgoE4EjNS0_10empty_typeEbEEZZNS1_14partition_implILS8_4ELb0ES6_15HIP_vector_typeIjLj2EENS0_17counting_iteratorIjlEEPS9_SG_NS0_5tupleIJPjSI_NS0_16reverse_iteratorISI_EEEEENSH_IJSG_SG_SG_EEES9_SI_JZNS1_25segmented_radix_sort_implINS0_14default_configELb1EPK6__halfPSP_PKlPlN2at6native12_GLOBAL__N_18offset_tEEE10hipError_tPvRmT1_PNSt15iterator_traitsIS13_E10value_typeET2_T3_PNS14_IS19_E10value_typeET4_jRbjT5_S1F_jjP12ihipStream_tbEUljE_ZNSN_ISO_Lb1ESR_SS_SU_SV_SZ_EES10_S11_S12_S13_S17_S18_S19_S1C_S1D_jS1E_jS1F_S1F_jjS1H_bEUljE0_EEES10_S11_S12_S19_S1D_S1F_T6_T7_T9_mT8_S1H_bDpT10_ENKUlT_T0_E_clISt17integral_constantIbLb1EES1V_EEDaS1Q_S1R_EUlS1Q_E_NS1_11comp_targetILNS1_3genE2ELNS1_11target_archE906ELNS1_3gpuE6ELNS1_3repE0EEENS1_30default_config_static_selectorELNS0_4arch9wavefront6targetE0EEEvS13_: ; @_ZN7rocprim17ROCPRIM_400000_NS6detail17trampoline_kernelINS0_13select_configILj256ELj13ELNS0_17block_load_methodE3ELS4_3ELS4_3ELNS0_20block_scan_algorithmE0ELj4294967295EEENS1_25partition_config_selectorILNS1_17partition_subalgoE4EjNS0_10empty_typeEbEEZZNS1_14partition_implILS8_4ELb0ES6_15HIP_vector_typeIjLj2EENS0_17counting_iteratorIjlEEPS9_SG_NS0_5tupleIJPjSI_NS0_16reverse_iteratorISI_EEEEENSH_IJSG_SG_SG_EEES9_SI_JZNS1_25segmented_radix_sort_implINS0_14default_configELb1EPK6__halfPSP_PKlPlN2at6native12_GLOBAL__N_18offset_tEEE10hipError_tPvRmT1_PNSt15iterator_traitsIS13_E10value_typeET2_T3_PNS14_IS19_E10value_typeET4_jRbjT5_S1F_jjP12ihipStream_tbEUljE_ZNSN_ISO_Lb1ESR_SS_SU_SV_SZ_EES10_S11_S12_S13_S17_S18_S19_S1C_S1D_jS1E_jS1F_S1F_jjS1H_bEUljE0_EEES10_S11_S12_S19_S1D_S1F_T6_T7_T9_mT8_S1H_bDpT10_ENKUlT_T0_E_clISt17integral_constantIbLb1EES1V_EEDaS1Q_S1R_EUlS1Q_E_NS1_11comp_targetILNS1_3genE2ELNS1_11target_archE906ELNS1_3gpuE6ELNS1_3repE0EEENS1_30default_config_static_selectorELNS0_4arch9wavefront6targetE0EEEvS13_
; %bb.0:
	.section	.rodata,"a",@progbits
	.p2align	6, 0x0
	.amdhsa_kernel _ZN7rocprim17ROCPRIM_400000_NS6detail17trampoline_kernelINS0_13select_configILj256ELj13ELNS0_17block_load_methodE3ELS4_3ELS4_3ELNS0_20block_scan_algorithmE0ELj4294967295EEENS1_25partition_config_selectorILNS1_17partition_subalgoE4EjNS0_10empty_typeEbEEZZNS1_14partition_implILS8_4ELb0ES6_15HIP_vector_typeIjLj2EENS0_17counting_iteratorIjlEEPS9_SG_NS0_5tupleIJPjSI_NS0_16reverse_iteratorISI_EEEEENSH_IJSG_SG_SG_EEES9_SI_JZNS1_25segmented_radix_sort_implINS0_14default_configELb1EPK6__halfPSP_PKlPlN2at6native12_GLOBAL__N_18offset_tEEE10hipError_tPvRmT1_PNSt15iterator_traitsIS13_E10value_typeET2_T3_PNS14_IS19_E10value_typeET4_jRbjT5_S1F_jjP12ihipStream_tbEUljE_ZNSN_ISO_Lb1ESR_SS_SU_SV_SZ_EES10_S11_S12_S13_S17_S18_S19_S1C_S1D_jS1E_jS1F_S1F_jjS1H_bEUljE0_EEES10_S11_S12_S19_S1D_S1F_T6_T7_T9_mT8_S1H_bDpT10_ENKUlT_T0_E_clISt17integral_constantIbLb1EES1V_EEDaS1Q_S1R_EUlS1Q_E_NS1_11comp_targetILNS1_3genE2ELNS1_11target_archE906ELNS1_3gpuE6ELNS1_3repE0EEENS1_30default_config_static_selectorELNS0_4arch9wavefront6targetE0EEEvS13_
		.amdhsa_group_segment_fixed_size 0
		.amdhsa_private_segment_fixed_size 0
		.amdhsa_kernarg_size 184
		.amdhsa_user_sgpr_count 2
		.amdhsa_user_sgpr_dispatch_ptr 0
		.amdhsa_user_sgpr_queue_ptr 0
		.amdhsa_user_sgpr_kernarg_segment_ptr 1
		.amdhsa_user_sgpr_dispatch_id 0
		.amdhsa_user_sgpr_kernarg_preload_length 0
		.amdhsa_user_sgpr_kernarg_preload_offset 0
		.amdhsa_user_sgpr_private_segment_size 0
		.amdhsa_wavefront_size32 1
		.amdhsa_uses_dynamic_stack 0
		.amdhsa_enable_private_segment 0
		.amdhsa_system_sgpr_workgroup_id_x 1
		.amdhsa_system_sgpr_workgroup_id_y 0
		.amdhsa_system_sgpr_workgroup_id_z 0
		.amdhsa_system_sgpr_workgroup_info 0
		.amdhsa_system_vgpr_workitem_id 0
		.amdhsa_next_free_vgpr 1
		.amdhsa_next_free_sgpr 1
		.amdhsa_named_barrier_count 0
		.amdhsa_reserve_vcc 0
		.amdhsa_float_round_mode_32 0
		.amdhsa_float_round_mode_16_64 0
		.amdhsa_float_denorm_mode_32 3
		.amdhsa_float_denorm_mode_16_64 3
		.amdhsa_fp16_overflow 0
		.amdhsa_memory_ordered 1
		.amdhsa_forward_progress 1
		.amdhsa_inst_pref_size 0
		.amdhsa_round_robin_scheduling 0
		.amdhsa_exception_fp_ieee_invalid_op 0
		.amdhsa_exception_fp_denorm_src 0
		.amdhsa_exception_fp_ieee_div_zero 0
		.amdhsa_exception_fp_ieee_overflow 0
		.amdhsa_exception_fp_ieee_underflow 0
		.amdhsa_exception_fp_ieee_inexact 0
		.amdhsa_exception_int_div_zero 0
	.end_amdhsa_kernel
	.section	.text._ZN7rocprim17ROCPRIM_400000_NS6detail17trampoline_kernelINS0_13select_configILj256ELj13ELNS0_17block_load_methodE3ELS4_3ELS4_3ELNS0_20block_scan_algorithmE0ELj4294967295EEENS1_25partition_config_selectorILNS1_17partition_subalgoE4EjNS0_10empty_typeEbEEZZNS1_14partition_implILS8_4ELb0ES6_15HIP_vector_typeIjLj2EENS0_17counting_iteratorIjlEEPS9_SG_NS0_5tupleIJPjSI_NS0_16reverse_iteratorISI_EEEEENSH_IJSG_SG_SG_EEES9_SI_JZNS1_25segmented_radix_sort_implINS0_14default_configELb1EPK6__halfPSP_PKlPlN2at6native12_GLOBAL__N_18offset_tEEE10hipError_tPvRmT1_PNSt15iterator_traitsIS13_E10value_typeET2_T3_PNS14_IS19_E10value_typeET4_jRbjT5_S1F_jjP12ihipStream_tbEUljE_ZNSN_ISO_Lb1ESR_SS_SU_SV_SZ_EES10_S11_S12_S13_S17_S18_S19_S1C_S1D_jS1E_jS1F_S1F_jjS1H_bEUljE0_EEES10_S11_S12_S19_S1D_S1F_T6_T7_T9_mT8_S1H_bDpT10_ENKUlT_T0_E_clISt17integral_constantIbLb1EES1V_EEDaS1Q_S1R_EUlS1Q_E_NS1_11comp_targetILNS1_3genE2ELNS1_11target_archE906ELNS1_3gpuE6ELNS1_3repE0EEENS1_30default_config_static_selectorELNS0_4arch9wavefront6targetE0EEEvS13_,"axG",@progbits,_ZN7rocprim17ROCPRIM_400000_NS6detail17trampoline_kernelINS0_13select_configILj256ELj13ELNS0_17block_load_methodE3ELS4_3ELS4_3ELNS0_20block_scan_algorithmE0ELj4294967295EEENS1_25partition_config_selectorILNS1_17partition_subalgoE4EjNS0_10empty_typeEbEEZZNS1_14partition_implILS8_4ELb0ES6_15HIP_vector_typeIjLj2EENS0_17counting_iteratorIjlEEPS9_SG_NS0_5tupleIJPjSI_NS0_16reverse_iteratorISI_EEEEENSH_IJSG_SG_SG_EEES9_SI_JZNS1_25segmented_radix_sort_implINS0_14default_configELb1EPK6__halfPSP_PKlPlN2at6native12_GLOBAL__N_18offset_tEEE10hipError_tPvRmT1_PNSt15iterator_traitsIS13_E10value_typeET2_T3_PNS14_IS19_E10value_typeET4_jRbjT5_S1F_jjP12ihipStream_tbEUljE_ZNSN_ISO_Lb1ESR_SS_SU_SV_SZ_EES10_S11_S12_S13_S17_S18_S19_S1C_S1D_jS1E_jS1F_S1F_jjS1H_bEUljE0_EEES10_S11_S12_S19_S1D_S1F_T6_T7_T9_mT8_S1H_bDpT10_ENKUlT_T0_E_clISt17integral_constantIbLb1EES1V_EEDaS1Q_S1R_EUlS1Q_E_NS1_11comp_targetILNS1_3genE2ELNS1_11target_archE906ELNS1_3gpuE6ELNS1_3repE0EEENS1_30default_config_static_selectorELNS0_4arch9wavefront6targetE0EEEvS13_,comdat
.Lfunc_end1677:
	.size	_ZN7rocprim17ROCPRIM_400000_NS6detail17trampoline_kernelINS0_13select_configILj256ELj13ELNS0_17block_load_methodE3ELS4_3ELS4_3ELNS0_20block_scan_algorithmE0ELj4294967295EEENS1_25partition_config_selectorILNS1_17partition_subalgoE4EjNS0_10empty_typeEbEEZZNS1_14partition_implILS8_4ELb0ES6_15HIP_vector_typeIjLj2EENS0_17counting_iteratorIjlEEPS9_SG_NS0_5tupleIJPjSI_NS0_16reverse_iteratorISI_EEEEENSH_IJSG_SG_SG_EEES9_SI_JZNS1_25segmented_radix_sort_implINS0_14default_configELb1EPK6__halfPSP_PKlPlN2at6native12_GLOBAL__N_18offset_tEEE10hipError_tPvRmT1_PNSt15iterator_traitsIS13_E10value_typeET2_T3_PNS14_IS19_E10value_typeET4_jRbjT5_S1F_jjP12ihipStream_tbEUljE_ZNSN_ISO_Lb1ESR_SS_SU_SV_SZ_EES10_S11_S12_S13_S17_S18_S19_S1C_S1D_jS1E_jS1F_S1F_jjS1H_bEUljE0_EEES10_S11_S12_S19_S1D_S1F_T6_T7_T9_mT8_S1H_bDpT10_ENKUlT_T0_E_clISt17integral_constantIbLb1EES1V_EEDaS1Q_S1R_EUlS1Q_E_NS1_11comp_targetILNS1_3genE2ELNS1_11target_archE906ELNS1_3gpuE6ELNS1_3repE0EEENS1_30default_config_static_selectorELNS0_4arch9wavefront6targetE0EEEvS13_, .Lfunc_end1677-_ZN7rocprim17ROCPRIM_400000_NS6detail17trampoline_kernelINS0_13select_configILj256ELj13ELNS0_17block_load_methodE3ELS4_3ELS4_3ELNS0_20block_scan_algorithmE0ELj4294967295EEENS1_25partition_config_selectorILNS1_17partition_subalgoE4EjNS0_10empty_typeEbEEZZNS1_14partition_implILS8_4ELb0ES6_15HIP_vector_typeIjLj2EENS0_17counting_iteratorIjlEEPS9_SG_NS0_5tupleIJPjSI_NS0_16reverse_iteratorISI_EEEEENSH_IJSG_SG_SG_EEES9_SI_JZNS1_25segmented_radix_sort_implINS0_14default_configELb1EPK6__halfPSP_PKlPlN2at6native12_GLOBAL__N_18offset_tEEE10hipError_tPvRmT1_PNSt15iterator_traitsIS13_E10value_typeET2_T3_PNS14_IS19_E10value_typeET4_jRbjT5_S1F_jjP12ihipStream_tbEUljE_ZNSN_ISO_Lb1ESR_SS_SU_SV_SZ_EES10_S11_S12_S13_S17_S18_S19_S1C_S1D_jS1E_jS1F_S1F_jjS1H_bEUljE0_EEES10_S11_S12_S19_S1D_S1F_T6_T7_T9_mT8_S1H_bDpT10_ENKUlT_T0_E_clISt17integral_constantIbLb1EES1V_EEDaS1Q_S1R_EUlS1Q_E_NS1_11comp_targetILNS1_3genE2ELNS1_11target_archE906ELNS1_3gpuE6ELNS1_3repE0EEENS1_30default_config_static_selectorELNS0_4arch9wavefront6targetE0EEEvS13_
                                        ; -- End function
	.set _ZN7rocprim17ROCPRIM_400000_NS6detail17trampoline_kernelINS0_13select_configILj256ELj13ELNS0_17block_load_methodE3ELS4_3ELS4_3ELNS0_20block_scan_algorithmE0ELj4294967295EEENS1_25partition_config_selectorILNS1_17partition_subalgoE4EjNS0_10empty_typeEbEEZZNS1_14partition_implILS8_4ELb0ES6_15HIP_vector_typeIjLj2EENS0_17counting_iteratorIjlEEPS9_SG_NS0_5tupleIJPjSI_NS0_16reverse_iteratorISI_EEEEENSH_IJSG_SG_SG_EEES9_SI_JZNS1_25segmented_radix_sort_implINS0_14default_configELb1EPK6__halfPSP_PKlPlN2at6native12_GLOBAL__N_18offset_tEEE10hipError_tPvRmT1_PNSt15iterator_traitsIS13_E10value_typeET2_T3_PNS14_IS19_E10value_typeET4_jRbjT5_S1F_jjP12ihipStream_tbEUljE_ZNSN_ISO_Lb1ESR_SS_SU_SV_SZ_EES10_S11_S12_S13_S17_S18_S19_S1C_S1D_jS1E_jS1F_S1F_jjS1H_bEUljE0_EEES10_S11_S12_S19_S1D_S1F_T6_T7_T9_mT8_S1H_bDpT10_ENKUlT_T0_E_clISt17integral_constantIbLb1EES1V_EEDaS1Q_S1R_EUlS1Q_E_NS1_11comp_targetILNS1_3genE2ELNS1_11target_archE906ELNS1_3gpuE6ELNS1_3repE0EEENS1_30default_config_static_selectorELNS0_4arch9wavefront6targetE0EEEvS13_.num_vgpr, 0
	.set _ZN7rocprim17ROCPRIM_400000_NS6detail17trampoline_kernelINS0_13select_configILj256ELj13ELNS0_17block_load_methodE3ELS4_3ELS4_3ELNS0_20block_scan_algorithmE0ELj4294967295EEENS1_25partition_config_selectorILNS1_17partition_subalgoE4EjNS0_10empty_typeEbEEZZNS1_14partition_implILS8_4ELb0ES6_15HIP_vector_typeIjLj2EENS0_17counting_iteratorIjlEEPS9_SG_NS0_5tupleIJPjSI_NS0_16reverse_iteratorISI_EEEEENSH_IJSG_SG_SG_EEES9_SI_JZNS1_25segmented_radix_sort_implINS0_14default_configELb1EPK6__halfPSP_PKlPlN2at6native12_GLOBAL__N_18offset_tEEE10hipError_tPvRmT1_PNSt15iterator_traitsIS13_E10value_typeET2_T3_PNS14_IS19_E10value_typeET4_jRbjT5_S1F_jjP12ihipStream_tbEUljE_ZNSN_ISO_Lb1ESR_SS_SU_SV_SZ_EES10_S11_S12_S13_S17_S18_S19_S1C_S1D_jS1E_jS1F_S1F_jjS1H_bEUljE0_EEES10_S11_S12_S19_S1D_S1F_T6_T7_T9_mT8_S1H_bDpT10_ENKUlT_T0_E_clISt17integral_constantIbLb1EES1V_EEDaS1Q_S1R_EUlS1Q_E_NS1_11comp_targetILNS1_3genE2ELNS1_11target_archE906ELNS1_3gpuE6ELNS1_3repE0EEENS1_30default_config_static_selectorELNS0_4arch9wavefront6targetE0EEEvS13_.num_agpr, 0
	.set _ZN7rocprim17ROCPRIM_400000_NS6detail17trampoline_kernelINS0_13select_configILj256ELj13ELNS0_17block_load_methodE3ELS4_3ELS4_3ELNS0_20block_scan_algorithmE0ELj4294967295EEENS1_25partition_config_selectorILNS1_17partition_subalgoE4EjNS0_10empty_typeEbEEZZNS1_14partition_implILS8_4ELb0ES6_15HIP_vector_typeIjLj2EENS0_17counting_iteratorIjlEEPS9_SG_NS0_5tupleIJPjSI_NS0_16reverse_iteratorISI_EEEEENSH_IJSG_SG_SG_EEES9_SI_JZNS1_25segmented_radix_sort_implINS0_14default_configELb1EPK6__halfPSP_PKlPlN2at6native12_GLOBAL__N_18offset_tEEE10hipError_tPvRmT1_PNSt15iterator_traitsIS13_E10value_typeET2_T3_PNS14_IS19_E10value_typeET4_jRbjT5_S1F_jjP12ihipStream_tbEUljE_ZNSN_ISO_Lb1ESR_SS_SU_SV_SZ_EES10_S11_S12_S13_S17_S18_S19_S1C_S1D_jS1E_jS1F_S1F_jjS1H_bEUljE0_EEES10_S11_S12_S19_S1D_S1F_T6_T7_T9_mT8_S1H_bDpT10_ENKUlT_T0_E_clISt17integral_constantIbLb1EES1V_EEDaS1Q_S1R_EUlS1Q_E_NS1_11comp_targetILNS1_3genE2ELNS1_11target_archE906ELNS1_3gpuE6ELNS1_3repE0EEENS1_30default_config_static_selectorELNS0_4arch9wavefront6targetE0EEEvS13_.numbered_sgpr, 0
	.set _ZN7rocprim17ROCPRIM_400000_NS6detail17trampoline_kernelINS0_13select_configILj256ELj13ELNS0_17block_load_methodE3ELS4_3ELS4_3ELNS0_20block_scan_algorithmE0ELj4294967295EEENS1_25partition_config_selectorILNS1_17partition_subalgoE4EjNS0_10empty_typeEbEEZZNS1_14partition_implILS8_4ELb0ES6_15HIP_vector_typeIjLj2EENS0_17counting_iteratorIjlEEPS9_SG_NS0_5tupleIJPjSI_NS0_16reverse_iteratorISI_EEEEENSH_IJSG_SG_SG_EEES9_SI_JZNS1_25segmented_radix_sort_implINS0_14default_configELb1EPK6__halfPSP_PKlPlN2at6native12_GLOBAL__N_18offset_tEEE10hipError_tPvRmT1_PNSt15iterator_traitsIS13_E10value_typeET2_T3_PNS14_IS19_E10value_typeET4_jRbjT5_S1F_jjP12ihipStream_tbEUljE_ZNSN_ISO_Lb1ESR_SS_SU_SV_SZ_EES10_S11_S12_S13_S17_S18_S19_S1C_S1D_jS1E_jS1F_S1F_jjS1H_bEUljE0_EEES10_S11_S12_S19_S1D_S1F_T6_T7_T9_mT8_S1H_bDpT10_ENKUlT_T0_E_clISt17integral_constantIbLb1EES1V_EEDaS1Q_S1R_EUlS1Q_E_NS1_11comp_targetILNS1_3genE2ELNS1_11target_archE906ELNS1_3gpuE6ELNS1_3repE0EEENS1_30default_config_static_selectorELNS0_4arch9wavefront6targetE0EEEvS13_.num_named_barrier, 0
	.set _ZN7rocprim17ROCPRIM_400000_NS6detail17trampoline_kernelINS0_13select_configILj256ELj13ELNS0_17block_load_methodE3ELS4_3ELS4_3ELNS0_20block_scan_algorithmE0ELj4294967295EEENS1_25partition_config_selectorILNS1_17partition_subalgoE4EjNS0_10empty_typeEbEEZZNS1_14partition_implILS8_4ELb0ES6_15HIP_vector_typeIjLj2EENS0_17counting_iteratorIjlEEPS9_SG_NS0_5tupleIJPjSI_NS0_16reverse_iteratorISI_EEEEENSH_IJSG_SG_SG_EEES9_SI_JZNS1_25segmented_radix_sort_implINS0_14default_configELb1EPK6__halfPSP_PKlPlN2at6native12_GLOBAL__N_18offset_tEEE10hipError_tPvRmT1_PNSt15iterator_traitsIS13_E10value_typeET2_T3_PNS14_IS19_E10value_typeET4_jRbjT5_S1F_jjP12ihipStream_tbEUljE_ZNSN_ISO_Lb1ESR_SS_SU_SV_SZ_EES10_S11_S12_S13_S17_S18_S19_S1C_S1D_jS1E_jS1F_S1F_jjS1H_bEUljE0_EEES10_S11_S12_S19_S1D_S1F_T6_T7_T9_mT8_S1H_bDpT10_ENKUlT_T0_E_clISt17integral_constantIbLb1EES1V_EEDaS1Q_S1R_EUlS1Q_E_NS1_11comp_targetILNS1_3genE2ELNS1_11target_archE906ELNS1_3gpuE6ELNS1_3repE0EEENS1_30default_config_static_selectorELNS0_4arch9wavefront6targetE0EEEvS13_.private_seg_size, 0
	.set _ZN7rocprim17ROCPRIM_400000_NS6detail17trampoline_kernelINS0_13select_configILj256ELj13ELNS0_17block_load_methodE3ELS4_3ELS4_3ELNS0_20block_scan_algorithmE0ELj4294967295EEENS1_25partition_config_selectorILNS1_17partition_subalgoE4EjNS0_10empty_typeEbEEZZNS1_14partition_implILS8_4ELb0ES6_15HIP_vector_typeIjLj2EENS0_17counting_iteratorIjlEEPS9_SG_NS0_5tupleIJPjSI_NS0_16reverse_iteratorISI_EEEEENSH_IJSG_SG_SG_EEES9_SI_JZNS1_25segmented_radix_sort_implINS0_14default_configELb1EPK6__halfPSP_PKlPlN2at6native12_GLOBAL__N_18offset_tEEE10hipError_tPvRmT1_PNSt15iterator_traitsIS13_E10value_typeET2_T3_PNS14_IS19_E10value_typeET4_jRbjT5_S1F_jjP12ihipStream_tbEUljE_ZNSN_ISO_Lb1ESR_SS_SU_SV_SZ_EES10_S11_S12_S13_S17_S18_S19_S1C_S1D_jS1E_jS1F_S1F_jjS1H_bEUljE0_EEES10_S11_S12_S19_S1D_S1F_T6_T7_T9_mT8_S1H_bDpT10_ENKUlT_T0_E_clISt17integral_constantIbLb1EES1V_EEDaS1Q_S1R_EUlS1Q_E_NS1_11comp_targetILNS1_3genE2ELNS1_11target_archE906ELNS1_3gpuE6ELNS1_3repE0EEENS1_30default_config_static_selectorELNS0_4arch9wavefront6targetE0EEEvS13_.uses_vcc, 0
	.set _ZN7rocprim17ROCPRIM_400000_NS6detail17trampoline_kernelINS0_13select_configILj256ELj13ELNS0_17block_load_methodE3ELS4_3ELS4_3ELNS0_20block_scan_algorithmE0ELj4294967295EEENS1_25partition_config_selectorILNS1_17partition_subalgoE4EjNS0_10empty_typeEbEEZZNS1_14partition_implILS8_4ELb0ES6_15HIP_vector_typeIjLj2EENS0_17counting_iteratorIjlEEPS9_SG_NS0_5tupleIJPjSI_NS0_16reverse_iteratorISI_EEEEENSH_IJSG_SG_SG_EEES9_SI_JZNS1_25segmented_radix_sort_implINS0_14default_configELb1EPK6__halfPSP_PKlPlN2at6native12_GLOBAL__N_18offset_tEEE10hipError_tPvRmT1_PNSt15iterator_traitsIS13_E10value_typeET2_T3_PNS14_IS19_E10value_typeET4_jRbjT5_S1F_jjP12ihipStream_tbEUljE_ZNSN_ISO_Lb1ESR_SS_SU_SV_SZ_EES10_S11_S12_S13_S17_S18_S19_S1C_S1D_jS1E_jS1F_S1F_jjS1H_bEUljE0_EEES10_S11_S12_S19_S1D_S1F_T6_T7_T9_mT8_S1H_bDpT10_ENKUlT_T0_E_clISt17integral_constantIbLb1EES1V_EEDaS1Q_S1R_EUlS1Q_E_NS1_11comp_targetILNS1_3genE2ELNS1_11target_archE906ELNS1_3gpuE6ELNS1_3repE0EEENS1_30default_config_static_selectorELNS0_4arch9wavefront6targetE0EEEvS13_.uses_flat_scratch, 0
	.set _ZN7rocprim17ROCPRIM_400000_NS6detail17trampoline_kernelINS0_13select_configILj256ELj13ELNS0_17block_load_methodE3ELS4_3ELS4_3ELNS0_20block_scan_algorithmE0ELj4294967295EEENS1_25partition_config_selectorILNS1_17partition_subalgoE4EjNS0_10empty_typeEbEEZZNS1_14partition_implILS8_4ELb0ES6_15HIP_vector_typeIjLj2EENS0_17counting_iteratorIjlEEPS9_SG_NS0_5tupleIJPjSI_NS0_16reverse_iteratorISI_EEEEENSH_IJSG_SG_SG_EEES9_SI_JZNS1_25segmented_radix_sort_implINS0_14default_configELb1EPK6__halfPSP_PKlPlN2at6native12_GLOBAL__N_18offset_tEEE10hipError_tPvRmT1_PNSt15iterator_traitsIS13_E10value_typeET2_T3_PNS14_IS19_E10value_typeET4_jRbjT5_S1F_jjP12ihipStream_tbEUljE_ZNSN_ISO_Lb1ESR_SS_SU_SV_SZ_EES10_S11_S12_S13_S17_S18_S19_S1C_S1D_jS1E_jS1F_S1F_jjS1H_bEUljE0_EEES10_S11_S12_S19_S1D_S1F_T6_T7_T9_mT8_S1H_bDpT10_ENKUlT_T0_E_clISt17integral_constantIbLb1EES1V_EEDaS1Q_S1R_EUlS1Q_E_NS1_11comp_targetILNS1_3genE2ELNS1_11target_archE906ELNS1_3gpuE6ELNS1_3repE0EEENS1_30default_config_static_selectorELNS0_4arch9wavefront6targetE0EEEvS13_.has_dyn_sized_stack, 0
	.set _ZN7rocprim17ROCPRIM_400000_NS6detail17trampoline_kernelINS0_13select_configILj256ELj13ELNS0_17block_load_methodE3ELS4_3ELS4_3ELNS0_20block_scan_algorithmE0ELj4294967295EEENS1_25partition_config_selectorILNS1_17partition_subalgoE4EjNS0_10empty_typeEbEEZZNS1_14partition_implILS8_4ELb0ES6_15HIP_vector_typeIjLj2EENS0_17counting_iteratorIjlEEPS9_SG_NS0_5tupleIJPjSI_NS0_16reverse_iteratorISI_EEEEENSH_IJSG_SG_SG_EEES9_SI_JZNS1_25segmented_radix_sort_implINS0_14default_configELb1EPK6__halfPSP_PKlPlN2at6native12_GLOBAL__N_18offset_tEEE10hipError_tPvRmT1_PNSt15iterator_traitsIS13_E10value_typeET2_T3_PNS14_IS19_E10value_typeET4_jRbjT5_S1F_jjP12ihipStream_tbEUljE_ZNSN_ISO_Lb1ESR_SS_SU_SV_SZ_EES10_S11_S12_S13_S17_S18_S19_S1C_S1D_jS1E_jS1F_S1F_jjS1H_bEUljE0_EEES10_S11_S12_S19_S1D_S1F_T6_T7_T9_mT8_S1H_bDpT10_ENKUlT_T0_E_clISt17integral_constantIbLb1EES1V_EEDaS1Q_S1R_EUlS1Q_E_NS1_11comp_targetILNS1_3genE2ELNS1_11target_archE906ELNS1_3gpuE6ELNS1_3repE0EEENS1_30default_config_static_selectorELNS0_4arch9wavefront6targetE0EEEvS13_.has_recursion, 0
	.set _ZN7rocprim17ROCPRIM_400000_NS6detail17trampoline_kernelINS0_13select_configILj256ELj13ELNS0_17block_load_methodE3ELS4_3ELS4_3ELNS0_20block_scan_algorithmE0ELj4294967295EEENS1_25partition_config_selectorILNS1_17partition_subalgoE4EjNS0_10empty_typeEbEEZZNS1_14partition_implILS8_4ELb0ES6_15HIP_vector_typeIjLj2EENS0_17counting_iteratorIjlEEPS9_SG_NS0_5tupleIJPjSI_NS0_16reverse_iteratorISI_EEEEENSH_IJSG_SG_SG_EEES9_SI_JZNS1_25segmented_radix_sort_implINS0_14default_configELb1EPK6__halfPSP_PKlPlN2at6native12_GLOBAL__N_18offset_tEEE10hipError_tPvRmT1_PNSt15iterator_traitsIS13_E10value_typeET2_T3_PNS14_IS19_E10value_typeET4_jRbjT5_S1F_jjP12ihipStream_tbEUljE_ZNSN_ISO_Lb1ESR_SS_SU_SV_SZ_EES10_S11_S12_S13_S17_S18_S19_S1C_S1D_jS1E_jS1F_S1F_jjS1H_bEUljE0_EEES10_S11_S12_S19_S1D_S1F_T6_T7_T9_mT8_S1H_bDpT10_ENKUlT_T0_E_clISt17integral_constantIbLb1EES1V_EEDaS1Q_S1R_EUlS1Q_E_NS1_11comp_targetILNS1_3genE2ELNS1_11target_archE906ELNS1_3gpuE6ELNS1_3repE0EEENS1_30default_config_static_selectorELNS0_4arch9wavefront6targetE0EEEvS13_.has_indirect_call, 0
	.section	.AMDGPU.csdata,"",@progbits
; Kernel info:
; codeLenInByte = 0
; TotalNumSgprs: 0
; NumVgprs: 0
; ScratchSize: 0
; MemoryBound: 0
; FloatMode: 240
; IeeeMode: 1
; LDSByteSize: 0 bytes/workgroup (compile time only)
; SGPRBlocks: 0
; VGPRBlocks: 0
; NumSGPRsForWavesPerEU: 1
; NumVGPRsForWavesPerEU: 1
; NamedBarCnt: 0
; Occupancy: 16
; WaveLimiterHint : 0
; COMPUTE_PGM_RSRC2:SCRATCH_EN: 0
; COMPUTE_PGM_RSRC2:USER_SGPR: 2
; COMPUTE_PGM_RSRC2:TRAP_HANDLER: 0
; COMPUTE_PGM_RSRC2:TGID_X_EN: 1
; COMPUTE_PGM_RSRC2:TGID_Y_EN: 0
; COMPUTE_PGM_RSRC2:TGID_Z_EN: 0
; COMPUTE_PGM_RSRC2:TIDIG_COMP_CNT: 0
	.section	.text._ZN7rocprim17ROCPRIM_400000_NS6detail17trampoline_kernelINS0_13select_configILj256ELj13ELNS0_17block_load_methodE3ELS4_3ELS4_3ELNS0_20block_scan_algorithmE0ELj4294967295EEENS1_25partition_config_selectorILNS1_17partition_subalgoE4EjNS0_10empty_typeEbEEZZNS1_14partition_implILS8_4ELb0ES6_15HIP_vector_typeIjLj2EENS0_17counting_iteratorIjlEEPS9_SG_NS0_5tupleIJPjSI_NS0_16reverse_iteratorISI_EEEEENSH_IJSG_SG_SG_EEES9_SI_JZNS1_25segmented_radix_sort_implINS0_14default_configELb1EPK6__halfPSP_PKlPlN2at6native12_GLOBAL__N_18offset_tEEE10hipError_tPvRmT1_PNSt15iterator_traitsIS13_E10value_typeET2_T3_PNS14_IS19_E10value_typeET4_jRbjT5_S1F_jjP12ihipStream_tbEUljE_ZNSN_ISO_Lb1ESR_SS_SU_SV_SZ_EES10_S11_S12_S13_S17_S18_S19_S1C_S1D_jS1E_jS1F_S1F_jjS1H_bEUljE0_EEES10_S11_S12_S19_S1D_S1F_T6_T7_T9_mT8_S1H_bDpT10_ENKUlT_T0_E_clISt17integral_constantIbLb1EES1V_EEDaS1Q_S1R_EUlS1Q_E_NS1_11comp_targetILNS1_3genE10ELNS1_11target_archE1200ELNS1_3gpuE4ELNS1_3repE0EEENS1_30default_config_static_selectorELNS0_4arch9wavefront6targetE0EEEvS13_,"axG",@progbits,_ZN7rocprim17ROCPRIM_400000_NS6detail17trampoline_kernelINS0_13select_configILj256ELj13ELNS0_17block_load_methodE3ELS4_3ELS4_3ELNS0_20block_scan_algorithmE0ELj4294967295EEENS1_25partition_config_selectorILNS1_17partition_subalgoE4EjNS0_10empty_typeEbEEZZNS1_14partition_implILS8_4ELb0ES6_15HIP_vector_typeIjLj2EENS0_17counting_iteratorIjlEEPS9_SG_NS0_5tupleIJPjSI_NS0_16reverse_iteratorISI_EEEEENSH_IJSG_SG_SG_EEES9_SI_JZNS1_25segmented_radix_sort_implINS0_14default_configELb1EPK6__halfPSP_PKlPlN2at6native12_GLOBAL__N_18offset_tEEE10hipError_tPvRmT1_PNSt15iterator_traitsIS13_E10value_typeET2_T3_PNS14_IS19_E10value_typeET4_jRbjT5_S1F_jjP12ihipStream_tbEUljE_ZNSN_ISO_Lb1ESR_SS_SU_SV_SZ_EES10_S11_S12_S13_S17_S18_S19_S1C_S1D_jS1E_jS1F_S1F_jjS1H_bEUljE0_EEES10_S11_S12_S19_S1D_S1F_T6_T7_T9_mT8_S1H_bDpT10_ENKUlT_T0_E_clISt17integral_constantIbLb1EES1V_EEDaS1Q_S1R_EUlS1Q_E_NS1_11comp_targetILNS1_3genE10ELNS1_11target_archE1200ELNS1_3gpuE4ELNS1_3repE0EEENS1_30default_config_static_selectorELNS0_4arch9wavefront6targetE0EEEvS13_,comdat
	.globl	_ZN7rocprim17ROCPRIM_400000_NS6detail17trampoline_kernelINS0_13select_configILj256ELj13ELNS0_17block_load_methodE3ELS4_3ELS4_3ELNS0_20block_scan_algorithmE0ELj4294967295EEENS1_25partition_config_selectorILNS1_17partition_subalgoE4EjNS0_10empty_typeEbEEZZNS1_14partition_implILS8_4ELb0ES6_15HIP_vector_typeIjLj2EENS0_17counting_iteratorIjlEEPS9_SG_NS0_5tupleIJPjSI_NS0_16reverse_iteratorISI_EEEEENSH_IJSG_SG_SG_EEES9_SI_JZNS1_25segmented_radix_sort_implINS0_14default_configELb1EPK6__halfPSP_PKlPlN2at6native12_GLOBAL__N_18offset_tEEE10hipError_tPvRmT1_PNSt15iterator_traitsIS13_E10value_typeET2_T3_PNS14_IS19_E10value_typeET4_jRbjT5_S1F_jjP12ihipStream_tbEUljE_ZNSN_ISO_Lb1ESR_SS_SU_SV_SZ_EES10_S11_S12_S13_S17_S18_S19_S1C_S1D_jS1E_jS1F_S1F_jjS1H_bEUljE0_EEES10_S11_S12_S19_S1D_S1F_T6_T7_T9_mT8_S1H_bDpT10_ENKUlT_T0_E_clISt17integral_constantIbLb1EES1V_EEDaS1Q_S1R_EUlS1Q_E_NS1_11comp_targetILNS1_3genE10ELNS1_11target_archE1200ELNS1_3gpuE4ELNS1_3repE0EEENS1_30default_config_static_selectorELNS0_4arch9wavefront6targetE0EEEvS13_ ; -- Begin function _ZN7rocprim17ROCPRIM_400000_NS6detail17trampoline_kernelINS0_13select_configILj256ELj13ELNS0_17block_load_methodE3ELS4_3ELS4_3ELNS0_20block_scan_algorithmE0ELj4294967295EEENS1_25partition_config_selectorILNS1_17partition_subalgoE4EjNS0_10empty_typeEbEEZZNS1_14partition_implILS8_4ELb0ES6_15HIP_vector_typeIjLj2EENS0_17counting_iteratorIjlEEPS9_SG_NS0_5tupleIJPjSI_NS0_16reverse_iteratorISI_EEEEENSH_IJSG_SG_SG_EEES9_SI_JZNS1_25segmented_radix_sort_implINS0_14default_configELb1EPK6__halfPSP_PKlPlN2at6native12_GLOBAL__N_18offset_tEEE10hipError_tPvRmT1_PNSt15iterator_traitsIS13_E10value_typeET2_T3_PNS14_IS19_E10value_typeET4_jRbjT5_S1F_jjP12ihipStream_tbEUljE_ZNSN_ISO_Lb1ESR_SS_SU_SV_SZ_EES10_S11_S12_S13_S17_S18_S19_S1C_S1D_jS1E_jS1F_S1F_jjS1H_bEUljE0_EEES10_S11_S12_S19_S1D_S1F_T6_T7_T9_mT8_S1H_bDpT10_ENKUlT_T0_E_clISt17integral_constantIbLb1EES1V_EEDaS1Q_S1R_EUlS1Q_E_NS1_11comp_targetILNS1_3genE10ELNS1_11target_archE1200ELNS1_3gpuE4ELNS1_3repE0EEENS1_30default_config_static_selectorELNS0_4arch9wavefront6targetE0EEEvS13_
	.p2align	8
	.type	_ZN7rocprim17ROCPRIM_400000_NS6detail17trampoline_kernelINS0_13select_configILj256ELj13ELNS0_17block_load_methodE3ELS4_3ELS4_3ELNS0_20block_scan_algorithmE0ELj4294967295EEENS1_25partition_config_selectorILNS1_17partition_subalgoE4EjNS0_10empty_typeEbEEZZNS1_14partition_implILS8_4ELb0ES6_15HIP_vector_typeIjLj2EENS0_17counting_iteratorIjlEEPS9_SG_NS0_5tupleIJPjSI_NS0_16reverse_iteratorISI_EEEEENSH_IJSG_SG_SG_EEES9_SI_JZNS1_25segmented_radix_sort_implINS0_14default_configELb1EPK6__halfPSP_PKlPlN2at6native12_GLOBAL__N_18offset_tEEE10hipError_tPvRmT1_PNSt15iterator_traitsIS13_E10value_typeET2_T3_PNS14_IS19_E10value_typeET4_jRbjT5_S1F_jjP12ihipStream_tbEUljE_ZNSN_ISO_Lb1ESR_SS_SU_SV_SZ_EES10_S11_S12_S13_S17_S18_S19_S1C_S1D_jS1E_jS1F_S1F_jjS1H_bEUljE0_EEES10_S11_S12_S19_S1D_S1F_T6_T7_T9_mT8_S1H_bDpT10_ENKUlT_T0_E_clISt17integral_constantIbLb1EES1V_EEDaS1Q_S1R_EUlS1Q_E_NS1_11comp_targetILNS1_3genE10ELNS1_11target_archE1200ELNS1_3gpuE4ELNS1_3repE0EEENS1_30default_config_static_selectorELNS0_4arch9wavefront6targetE0EEEvS13_,@function
_ZN7rocprim17ROCPRIM_400000_NS6detail17trampoline_kernelINS0_13select_configILj256ELj13ELNS0_17block_load_methodE3ELS4_3ELS4_3ELNS0_20block_scan_algorithmE0ELj4294967295EEENS1_25partition_config_selectorILNS1_17partition_subalgoE4EjNS0_10empty_typeEbEEZZNS1_14partition_implILS8_4ELb0ES6_15HIP_vector_typeIjLj2EENS0_17counting_iteratorIjlEEPS9_SG_NS0_5tupleIJPjSI_NS0_16reverse_iteratorISI_EEEEENSH_IJSG_SG_SG_EEES9_SI_JZNS1_25segmented_radix_sort_implINS0_14default_configELb1EPK6__halfPSP_PKlPlN2at6native12_GLOBAL__N_18offset_tEEE10hipError_tPvRmT1_PNSt15iterator_traitsIS13_E10value_typeET2_T3_PNS14_IS19_E10value_typeET4_jRbjT5_S1F_jjP12ihipStream_tbEUljE_ZNSN_ISO_Lb1ESR_SS_SU_SV_SZ_EES10_S11_S12_S13_S17_S18_S19_S1C_S1D_jS1E_jS1F_S1F_jjS1H_bEUljE0_EEES10_S11_S12_S19_S1D_S1F_T6_T7_T9_mT8_S1H_bDpT10_ENKUlT_T0_E_clISt17integral_constantIbLb1EES1V_EEDaS1Q_S1R_EUlS1Q_E_NS1_11comp_targetILNS1_3genE10ELNS1_11target_archE1200ELNS1_3gpuE4ELNS1_3repE0EEENS1_30default_config_static_selectorELNS0_4arch9wavefront6targetE0EEEvS13_: ; @_ZN7rocprim17ROCPRIM_400000_NS6detail17trampoline_kernelINS0_13select_configILj256ELj13ELNS0_17block_load_methodE3ELS4_3ELS4_3ELNS0_20block_scan_algorithmE0ELj4294967295EEENS1_25partition_config_selectorILNS1_17partition_subalgoE4EjNS0_10empty_typeEbEEZZNS1_14partition_implILS8_4ELb0ES6_15HIP_vector_typeIjLj2EENS0_17counting_iteratorIjlEEPS9_SG_NS0_5tupleIJPjSI_NS0_16reverse_iteratorISI_EEEEENSH_IJSG_SG_SG_EEES9_SI_JZNS1_25segmented_radix_sort_implINS0_14default_configELb1EPK6__halfPSP_PKlPlN2at6native12_GLOBAL__N_18offset_tEEE10hipError_tPvRmT1_PNSt15iterator_traitsIS13_E10value_typeET2_T3_PNS14_IS19_E10value_typeET4_jRbjT5_S1F_jjP12ihipStream_tbEUljE_ZNSN_ISO_Lb1ESR_SS_SU_SV_SZ_EES10_S11_S12_S13_S17_S18_S19_S1C_S1D_jS1E_jS1F_S1F_jjS1H_bEUljE0_EEES10_S11_S12_S19_S1D_S1F_T6_T7_T9_mT8_S1H_bDpT10_ENKUlT_T0_E_clISt17integral_constantIbLb1EES1V_EEDaS1Q_S1R_EUlS1Q_E_NS1_11comp_targetILNS1_3genE10ELNS1_11target_archE1200ELNS1_3gpuE4ELNS1_3repE0EEENS1_30default_config_static_selectorELNS0_4arch9wavefront6targetE0EEEvS13_
; %bb.0:
	.section	.rodata,"a",@progbits
	.p2align	6, 0x0
	.amdhsa_kernel _ZN7rocprim17ROCPRIM_400000_NS6detail17trampoline_kernelINS0_13select_configILj256ELj13ELNS0_17block_load_methodE3ELS4_3ELS4_3ELNS0_20block_scan_algorithmE0ELj4294967295EEENS1_25partition_config_selectorILNS1_17partition_subalgoE4EjNS0_10empty_typeEbEEZZNS1_14partition_implILS8_4ELb0ES6_15HIP_vector_typeIjLj2EENS0_17counting_iteratorIjlEEPS9_SG_NS0_5tupleIJPjSI_NS0_16reverse_iteratorISI_EEEEENSH_IJSG_SG_SG_EEES9_SI_JZNS1_25segmented_radix_sort_implINS0_14default_configELb1EPK6__halfPSP_PKlPlN2at6native12_GLOBAL__N_18offset_tEEE10hipError_tPvRmT1_PNSt15iterator_traitsIS13_E10value_typeET2_T3_PNS14_IS19_E10value_typeET4_jRbjT5_S1F_jjP12ihipStream_tbEUljE_ZNSN_ISO_Lb1ESR_SS_SU_SV_SZ_EES10_S11_S12_S13_S17_S18_S19_S1C_S1D_jS1E_jS1F_S1F_jjS1H_bEUljE0_EEES10_S11_S12_S19_S1D_S1F_T6_T7_T9_mT8_S1H_bDpT10_ENKUlT_T0_E_clISt17integral_constantIbLb1EES1V_EEDaS1Q_S1R_EUlS1Q_E_NS1_11comp_targetILNS1_3genE10ELNS1_11target_archE1200ELNS1_3gpuE4ELNS1_3repE0EEENS1_30default_config_static_selectorELNS0_4arch9wavefront6targetE0EEEvS13_
		.amdhsa_group_segment_fixed_size 0
		.amdhsa_private_segment_fixed_size 0
		.amdhsa_kernarg_size 184
		.amdhsa_user_sgpr_count 2
		.amdhsa_user_sgpr_dispatch_ptr 0
		.amdhsa_user_sgpr_queue_ptr 0
		.amdhsa_user_sgpr_kernarg_segment_ptr 1
		.amdhsa_user_sgpr_dispatch_id 0
		.amdhsa_user_sgpr_kernarg_preload_length 0
		.amdhsa_user_sgpr_kernarg_preload_offset 0
		.amdhsa_user_sgpr_private_segment_size 0
		.amdhsa_wavefront_size32 1
		.amdhsa_uses_dynamic_stack 0
		.amdhsa_enable_private_segment 0
		.amdhsa_system_sgpr_workgroup_id_x 1
		.amdhsa_system_sgpr_workgroup_id_y 0
		.amdhsa_system_sgpr_workgroup_id_z 0
		.amdhsa_system_sgpr_workgroup_info 0
		.amdhsa_system_vgpr_workitem_id 0
		.amdhsa_next_free_vgpr 1
		.amdhsa_next_free_sgpr 1
		.amdhsa_named_barrier_count 0
		.amdhsa_reserve_vcc 0
		.amdhsa_float_round_mode_32 0
		.amdhsa_float_round_mode_16_64 0
		.amdhsa_float_denorm_mode_32 3
		.amdhsa_float_denorm_mode_16_64 3
		.amdhsa_fp16_overflow 0
		.amdhsa_memory_ordered 1
		.amdhsa_forward_progress 1
		.amdhsa_inst_pref_size 0
		.amdhsa_round_robin_scheduling 0
		.amdhsa_exception_fp_ieee_invalid_op 0
		.amdhsa_exception_fp_denorm_src 0
		.amdhsa_exception_fp_ieee_div_zero 0
		.amdhsa_exception_fp_ieee_overflow 0
		.amdhsa_exception_fp_ieee_underflow 0
		.amdhsa_exception_fp_ieee_inexact 0
		.amdhsa_exception_int_div_zero 0
	.end_amdhsa_kernel
	.section	.text._ZN7rocprim17ROCPRIM_400000_NS6detail17trampoline_kernelINS0_13select_configILj256ELj13ELNS0_17block_load_methodE3ELS4_3ELS4_3ELNS0_20block_scan_algorithmE0ELj4294967295EEENS1_25partition_config_selectorILNS1_17partition_subalgoE4EjNS0_10empty_typeEbEEZZNS1_14partition_implILS8_4ELb0ES6_15HIP_vector_typeIjLj2EENS0_17counting_iteratorIjlEEPS9_SG_NS0_5tupleIJPjSI_NS0_16reverse_iteratorISI_EEEEENSH_IJSG_SG_SG_EEES9_SI_JZNS1_25segmented_radix_sort_implINS0_14default_configELb1EPK6__halfPSP_PKlPlN2at6native12_GLOBAL__N_18offset_tEEE10hipError_tPvRmT1_PNSt15iterator_traitsIS13_E10value_typeET2_T3_PNS14_IS19_E10value_typeET4_jRbjT5_S1F_jjP12ihipStream_tbEUljE_ZNSN_ISO_Lb1ESR_SS_SU_SV_SZ_EES10_S11_S12_S13_S17_S18_S19_S1C_S1D_jS1E_jS1F_S1F_jjS1H_bEUljE0_EEES10_S11_S12_S19_S1D_S1F_T6_T7_T9_mT8_S1H_bDpT10_ENKUlT_T0_E_clISt17integral_constantIbLb1EES1V_EEDaS1Q_S1R_EUlS1Q_E_NS1_11comp_targetILNS1_3genE10ELNS1_11target_archE1200ELNS1_3gpuE4ELNS1_3repE0EEENS1_30default_config_static_selectorELNS0_4arch9wavefront6targetE0EEEvS13_,"axG",@progbits,_ZN7rocprim17ROCPRIM_400000_NS6detail17trampoline_kernelINS0_13select_configILj256ELj13ELNS0_17block_load_methodE3ELS4_3ELS4_3ELNS0_20block_scan_algorithmE0ELj4294967295EEENS1_25partition_config_selectorILNS1_17partition_subalgoE4EjNS0_10empty_typeEbEEZZNS1_14partition_implILS8_4ELb0ES6_15HIP_vector_typeIjLj2EENS0_17counting_iteratorIjlEEPS9_SG_NS0_5tupleIJPjSI_NS0_16reverse_iteratorISI_EEEEENSH_IJSG_SG_SG_EEES9_SI_JZNS1_25segmented_radix_sort_implINS0_14default_configELb1EPK6__halfPSP_PKlPlN2at6native12_GLOBAL__N_18offset_tEEE10hipError_tPvRmT1_PNSt15iterator_traitsIS13_E10value_typeET2_T3_PNS14_IS19_E10value_typeET4_jRbjT5_S1F_jjP12ihipStream_tbEUljE_ZNSN_ISO_Lb1ESR_SS_SU_SV_SZ_EES10_S11_S12_S13_S17_S18_S19_S1C_S1D_jS1E_jS1F_S1F_jjS1H_bEUljE0_EEES10_S11_S12_S19_S1D_S1F_T6_T7_T9_mT8_S1H_bDpT10_ENKUlT_T0_E_clISt17integral_constantIbLb1EES1V_EEDaS1Q_S1R_EUlS1Q_E_NS1_11comp_targetILNS1_3genE10ELNS1_11target_archE1200ELNS1_3gpuE4ELNS1_3repE0EEENS1_30default_config_static_selectorELNS0_4arch9wavefront6targetE0EEEvS13_,comdat
.Lfunc_end1678:
	.size	_ZN7rocprim17ROCPRIM_400000_NS6detail17trampoline_kernelINS0_13select_configILj256ELj13ELNS0_17block_load_methodE3ELS4_3ELS4_3ELNS0_20block_scan_algorithmE0ELj4294967295EEENS1_25partition_config_selectorILNS1_17partition_subalgoE4EjNS0_10empty_typeEbEEZZNS1_14partition_implILS8_4ELb0ES6_15HIP_vector_typeIjLj2EENS0_17counting_iteratorIjlEEPS9_SG_NS0_5tupleIJPjSI_NS0_16reverse_iteratorISI_EEEEENSH_IJSG_SG_SG_EEES9_SI_JZNS1_25segmented_radix_sort_implINS0_14default_configELb1EPK6__halfPSP_PKlPlN2at6native12_GLOBAL__N_18offset_tEEE10hipError_tPvRmT1_PNSt15iterator_traitsIS13_E10value_typeET2_T3_PNS14_IS19_E10value_typeET4_jRbjT5_S1F_jjP12ihipStream_tbEUljE_ZNSN_ISO_Lb1ESR_SS_SU_SV_SZ_EES10_S11_S12_S13_S17_S18_S19_S1C_S1D_jS1E_jS1F_S1F_jjS1H_bEUljE0_EEES10_S11_S12_S19_S1D_S1F_T6_T7_T9_mT8_S1H_bDpT10_ENKUlT_T0_E_clISt17integral_constantIbLb1EES1V_EEDaS1Q_S1R_EUlS1Q_E_NS1_11comp_targetILNS1_3genE10ELNS1_11target_archE1200ELNS1_3gpuE4ELNS1_3repE0EEENS1_30default_config_static_selectorELNS0_4arch9wavefront6targetE0EEEvS13_, .Lfunc_end1678-_ZN7rocprim17ROCPRIM_400000_NS6detail17trampoline_kernelINS0_13select_configILj256ELj13ELNS0_17block_load_methodE3ELS4_3ELS4_3ELNS0_20block_scan_algorithmE0ELj4294967295EEENS1_25partition_config_selectorILNS1_17partition_subalgoE4EjNS0_10empty_typeEbEEZZNS1_14partition_implILS8_4ELb0ES6_15HIP_vector_typeIjLj2EENS0_17counting_iteratorIjlEEPS9_SG_NS0_5tupleIJPjSI_NS0_16reverse_iteratorISI_EEEEENSH_IJSG_SG_SG_EEES9_SI_JZNS1_25segmented_radix_sort_implINS0_14default_configELb1EPK6__halfPSP_PKlPlN2at6native12_GLOBAL__N_18offset_tEEE10hipError_tPvRmT1_PNSt15iterator_traitsIS13_E10value_typeET2_T3_PNS14_IS19_E10value_typeET4_jRbjT5_S1F_jjP12ihipStream_tbEUljE_ZNSN_ISO_Lb1ESR_SS_SU_SV_SZ_EES10_S11_S12_S13_S17_S18_S19_S1C_S1D_jS1E_jS1F_S1F_jjS1H_bEUljE0_EEES10_S11_S12_S19_S1D_S1F_T6_T7_T9_mT8_S1H_bDpT10_ENKUlT_T0_E_clISt17integral_constantIbLb1EES1V_EEDaS1Q_S1R_EUlS1Q_E_NS1_11comp_targetILNS1_3genE10ELNS1_11target_archE1200ELNS1_3gpuE4ELNS1_3repE0EEENS1_30default_config_static_selectorELNS0_4arch9wavefront6targetE0EEEvS13_
                                        ; -- End function
	.set _ZN7rocprim17ROCPRIM_400000_NS6detail17trampoline_kernelINS0_13select_configILj256ELj13ELNS0_17block_load_methodE3ELS4_3ELS4_3ELNS0_20block_scan_algorithmE0ELj4294967295EEENS1_25partition_config_selectorILNS1_17partition_subalgoE4EjNS0_10empty_typeEbEEZZNS1_14partition_implILS8_4ELb0ES6_15HIP_vector_typeIjLj2EENS0_17counting_iteratorIjlEEPS9_SG_NS0_5tupleIJPjSI_NS0_16reverse_iteratorISI_EEEEENSH_IJSG_SG_SG_EEES9_SI_JZNS1_25segmented_radix_sort_implINS0_14default_configELb1EPK6__halfPSP_PKlPlN2at6native12_GLOBAL__N_18offset_tEEE10hipError_tPvRmT1_PNSt15iterator_traitsIS13_E10value_typeET2_T3_PNS14_IS19_E10value_typeET4_jRbjT5_S1F_jjP12ihipStream_tbEUljE_ZNSN_ISO_Lb1ESR_SS_SU_SV_SZ_EES10_S11_S12_S13_S17_S18_S19_S1C_S1D_jS1E_jS1F_S1F_jjS1H_bEUljE0_EEES10_S11_S12_S19_S1D_S1F_T6_T7_T9_mT8_S1H_bDpT10_ENKUlT_T0_E_clISt17integral_constantIbLb1EES1V_EEDaS1Q_S1R_EUlS1Q_E_NS1_11comp_targetILNS1_3genE10ELNS1_11target_archE1200ELNS1_3gpuE4ELNS1_3repE0EEENS1_30default_config_static_selectorELNS0_4arch9wavefront6targetE0EEEvS13_.num_vgpr, 0
	.set _ZN7rocprim17ROCPRIM_400000_NS6detail17trampoline_kernelINS0_13select_configILj256ELj13ELNS0_17block_load_methodE3ELS4_3ELS4_3ELNS0_20block_scan_algorithmE0ELj4294967295EEENS1_25partition_config_selectorILNS1_17partition_subalgoE4EjNS0_10empty_typeEbEEZZNS1_14partition_implILS8_4ELb0ES6_15HIP_vector_typeIjLj2EENS0_17counting_iteratorIjlEEPS9_SG_NS0_5tupleIJPjSI_NS0_16reverse_iteratorISI_EEEEENSH_IJSG_SG_SG_EEES9_SI_JZNS1_25segmented_radix_sort_implINS0_14default_configELb1EPK6__halfPSP_PKlPlN2at6native12_GLOBAL__N_18offset_tEEE10hipError_tPvRmT1_PNSt15iterator_traitsIS13_E10value_typeET2_T3_PNS14_IS19_E10value_typeET4_jRbjT5_S1F_jjP12ihipStream_tbEUljE_ZNSN_ISO_Lb1ESR_SS_SU_SV_SZ_EES10_S11_S12_S13_S17_S18_S19_S1C_S1D_jS1E_jS1F_S1F_jjS1H_bEUljE0_EEES10_S11_S12_S19_S1D_S1F_T6_T7_T9_mT8_S1H_bDpT10_ENKUlT_T0_E_clISt17integral_constantIbLb1EES1V_EEDaS1Q_S1R_EUlS1Q_E_NS1_11comp_targetILNS1_3genE10ELNS1_11target_archE1200ELNS1_3gpuE4ELNS1_3repE0EEENS1_30default_config_static_selectorELNS0_4arch9wavefront6targetE0EEEvS13_.num_agpr, 0
	.set _ZN7rocprim17ROCPRIM_400000_NS6detail17trampoline_kernelINS0_13select_configILj256ELj13ELNS0_17block_load_methodE3ELS4_3ELS4_3ELNS0_20block_scan_algorithmE0ELj4294967295EEENS1_25partition_config_selectorILNS1_17partition_subalgoE4EjNS0_10empty_typeEbEEZZNS1_14partition_implILS8_4ELb0ES6_15HIP_vector_typeIjLj2EENS0_17counting_iteratorIjlEEPS9_SG_NS0_5tupleIJPjSI_NS0_16reverse_iteratorISI_EEEEENSH_IJSG_SG_SG_EEES9_SI_JZNS1_25segmented_radix_sort_implINS0_14default_configELb1EPK6__halfPSP_PKlPlN2at6native12_GLOBAL__N_18offset_tEEE10hipError_tPvRmT1_PNSt15iterator_traitsIS13_E10value_typeET2_T3_PNS14_IS19_E10value_typeET4_jRbjT5_S1F_jjP12ihipStream_tbEUljE_ZNSN_ISO_Lb1ESR_SS_SU_SV_SZ_EES10_S11_S12_S13_S17_S18_S19_S1C_S1D_jS1E_jS1F_S1F_jjS1H_bEUljE0_EEES10_S11_S12_S19_S1D_S1F_T6_T7_T9_mT8_S1H_bDpT10_ENKUlT_T0_E_clISt17integral_constantIbLb1EES1V_EEDaS1Q_S1R_EUlS1Q_E_NS1_11comp_targetILNS1_3genE10ELNS1_11target_archE1200ELNS1_3gpuE4ELNS1_3repE0EEENS1_30default_config_static_selectorELNS0_4arch9wavefront6targetE0EEEvS13_.numbered_sgpr, 0
	.set _ZN7rocprim17ROCPRIM_400000_NS6detail17trampoline_kernelINS0_13select_configILj256ELj13ELNS0_17block_load_methodE3ELS4_3ELS4_3ELNS0_20block_scan_algorithmE0ELj4294967295EEENS1_25partition_config_selectorILNS1_17partition_subalgoE4EjNS0_10empty_typeEbEEZZNS1_14partition_implILS8_4ELb0ES6_15HIP_vector_typeIjLj2EENS0_17counting_iteratorIjlEEPS9_SG_NS0_5tupleIJPjSI_NS0_16reverse_iteratorISI_EEEEENSH_IJSG_SG_SG_EEES9_SI_JZNS1_25segmented_radix_sort_implINS0_14default_configELb1EPK6__halfPSP_PKlPlN2at6native12_GLOBAL__N_18offset_tEEE10hipError_tPvRmT1_PNSt15iterator_traitsIS13_E10value_typeET2_T3_PNS14_IS19_E10value_typeET4_jRbjT5_S1F_jjP12ihipStream_tbEUljE_ZNSN_ISO_Lb1ESR_SS_SU_SV_SZ_EES10_S11_S12_S13_S17_S18_S19_S1C_S1D_jS1E_jS1F_S1F_jjS1H_bEUljE0_EEES10_S11_S12_S19_S1D_S1F_T6_T7_T9_mT8_S1H_bDpT10_ENKUlT_T0_E_clISt17integral_constantIbLb1EES1V_EEDaS1Q_S1R_EUlS1Q_E_NS1_11comp_targetILNS1_3genE10ELNS1_11target_archE1200ELNS1_3gpuE4ELNS1_3repE0EEENS1_30default_config_static_selectorELNS0_4arch9wavefront6targetE0EEEvS13_.num_named_barrier, 0
	.set _ZN7rocprim17ROCPRIM_400000_NS6detail17trampoline_kernelINS0_13select_configILj256ELj13ELNS0_17block_load_methodE3ELS4_3ELS4_3ELNS0_20block_scan_algorithmE0ELj4294967295EEENS1_25partition_config_selectorILNS1_17partition_subalgoE4EjNS0_10empty_typeEbEEZZNS1_14partition_implILS8_4ELb0ES6_15HIP_vector_typeIjLj2EENS0_17counting_iteratorIjlEEPS9_SG_NS0_5tupleIJPjSI_NS0_16reverse_iteratorISI_EEEEENSH_IJSG_SG_SG_EEES9_SI_JZNS1_25segmented_radix_sort_implINS0_14default_configELb1EPK6__halfPSP_PKlPlN2at6native12_GLOBAL__N_18offset_tEEE10hipError_tPvRmT1_PNSt15iterator_traitsIS13_E10value_typeET2_T3_PNS14_IS19_E10value_typeET4_jRbjT5_S1F_jjP12ihipStream_tbEUljE_ZNSN_ISO_Lb1ESR_SS_SU_SV_SZ_EES10_S11_S12_S13_S17_S18_S19_S1C_S1D_jS1E_jS1F_S1F_jjS1H_bEUljE0_EEES10_S11_S12_S19_S1D_S1F_T6_T7_T9_mT8_S1H_bDpT10_ENKUlT_T0_E_clISt17integral_constantIbLb1EES1V_EEDaS1Q_S1R_EUlS1Q_E_NS1_11comp_targetILNS1_3genE10ELNS1_11target_archE1200ELNS1_3gpuE4ELNS1_3repE0EEENS1_30default_config_static_selectorELNS0_4arch9wavefront6targetE0EEEvS13_.private_seg_size, 0
	.set _ZN7rocprim17ROCPRIM_400000_NS6detail17trampoline_kernelINS0_13select_configILj256ELj13ELNS0_17block_load_methodE3ELS4_3ELS4_3ELNS0_20block_scan_algorithmE0ELj4294967295EEENS1_25partition_config_selectorILNS1_17partition_subalgoE4EjNS0_10empty_typeEbEEZZNS1_14partition_implILS8_4ELb0ES6_15HIP_vector_typeIjLj2EENS0_17counting_iteratorIjlEEPS9_SG_NS0_5tupleIJPjSI_NS0_16reverse_iteratorISI_EEEEENSH_IJSG_SG_SG_EEES9_SI_JZNS1_25segmented_radix_sort_implINS0_14default_configELb1EPK6__halfPSP_PKlPlN2at6native12_GLOBAL__N_18offset_tEEE10hipError_tPvRmT1_PNSt15iterator_traitsIS13_E10value_typeET2_T3_PNS14_IS19_E10value_typeET4_jRbjT5_S1F_jjP12ihipStream_tbEUljE_ZNSN_ISO_Lb1ESR_SS_SU_SV_SZ_EES10_S11_S12_S13_S17_S18_S19_S1C_S1D_jS1E_jS1F_S1F_jjS1H_bEUljE0_EEES10_S11_S12_S19_S1D_S1F_T6_T7_T9_mT8_S1H_bDpT10_ENKUlT_T0_E_clISt17integral_constantIbLb1EES1V_EEDaS1Q_S1R_EUlS1Q_E_NS1_11comp_targetILNS1_3genE10ELNS1_11target_archE1200ELNS1_3gpuE4ELNS1_3repE0EEENS1_30default_config_static_selectorELNS0_4arch9wavefront6targetE0EEEvS13_.uses_vcc, 0
	.set _ZN7rocprim17ROCPRIM_400000_NS6detail17trampoline_kernelINS0_13select_configILj256ELj13ELNS0_17block_load_methodE3ELS4_3ELS4_3ELNS0_20block_scan_algorithmE0ELj4294967295EEENS1_25partition_config_selectorILNS1_17partition_subalgoE4EjNS0_10empty_typeEbEEZZNS1_14partition_implILS8_4ELb0ES6_15HIP_vector_typeIjLj2EENS0_17counting_iteratorIjlEEPS9_SG_NS0_5tupleIJPjSI_NS0_16reverse_iteratorISI_EEEEENSH_IJSG_SG_SG_EEES9_SI_JZNS1_25segmented_radix_sort_implINS0_14default_configELb1EPK6__halfPSP_PKlPlN2at6native12_GLOBAL__N_18offset_tEEE10hipError_tPvRmT1_PNSt15iterator_traitsIS13_E10value_typeET2_T3_PNS14_IS19_E10value_typeET4_jRbjT5_S1F_jjP12ihipStream_tbEUljE_ZNSN_ISO_Lb1ESR_SS_SU_SV_SZ_EES10_S11_S12_S13_S17_S18_S19_S1C_S1D_jS1E_jS1F_S1F_jjS1H_bEUljE0_EEES10_S11_S12_S19_S1D_S1F_T6_T7_T9_mT8_S1H_bDpT10_ENKUlT_T0_E_clISt17integral_constantIbLb1EES1V_EEDaS1Q_S1R_EUlS1Q_E_NS1_11comp_targetILNS1_3genE10ELNS1_11target_archE1200ELNS1_3gpuE4ELNS1_3repE0EEENS1_30default_config_static_selectorELNS0_4arch9wavefront6targetE0EEEvS13_.uses_flat_scratch, 0
	.set _ZN7rocprim17ROCPRIM_400000_NS6detail17trampoline_kernelINS0_13select_configILj256ELj13ELNS0_17block_load_methodE3ELS4_3ELS4_3ELNS0_20block_scan_algorithmE0ELj4294967295EEENS1_25partition_config_selectorILNS1_17partition_subalgoE4EjNS0_10empty_typeEbEEZZNS1_14partition_implILS8_4ELb0ES6_15HIP_vector_typeIjLj2EENS0_17counting_iteratorIjlEEPS9_SG_NS0_5tupleIJPjSI_NS0_16reverse_iteratorISI_EEEEENSH_IJSG_SG_SG_EEES9_SI_JZNS1_25segmented_radix_sort_implINS0_14default_configELb1EPK6__halfPSP_PKlPlN2at6native12_GLOBAL__N_18offset_tEEE10hipError_tPvRmT1_PNSt15iterator_traitsIS13_E10value_typeET2_T3_PNS14_IS19_E10value_typeET4_jRbjT5_S1F_jjP12ihipStream_tbEUljE_ZNSN_ISO_Lb1ESR_SS_SU_SV_SZ_EES10_S11_S12_S13_S17_S18_S19_S1C_S1D_jS1E_jS1F_S1F_jjS1H_bEUljE0_EEES10_S11_S12_S19_S1D_S1F_T6_T7_T9_mT8_S1H_bDpT10_ENKUlT_T0_E_clISt17integral_constantIbLb1EES1V_EEDaS1Q_S1R_EUlS1Q_E_NS1_11comp_targetILNS1_3genE10ELNS1_11target_archE1200ELNS1_3gpuE4ELNS1_3repE0EEENS1_30default_config_static_selectorELNS0_4arch9wavefront6targetE0EEEvS13_.has_dyn_sized_stack, 0
	.set _ZN7rocprim17ROCPRIM_400000_NS6detail17trampoline_kernelINS0_13select_configILj256ELj13ELNS0_17block_load_methodE3ELS4_3ELS4_3ELNS0_20block_scan_algorithmE0ELj4294967295EEENS1_25partition_config_selectorILNS1_17partition_subalgoE4EjNS0_10empty_typeEbEEZZNS1_14partition_implILS8_4ELb0ES6_15HIP_vector_typeIjLj2EENS0_17counting_iteratorIjlEEPS9_SG_NS0_5tupleIJPjSI_NS0_16reverse_iteratorISI_EEEEENSH_IJSG_SG_SG_EEES9_SI_JZNS1_25segmented_radix_sort_implINS0_14default_configELb1EPK6__halfPSP_PKlPlN2at6native12_GLOBAL__N_18offset_tEEE10hipError_tPvRmT1_PNSt15iterator_traitsIS13_E10value_typeET2_T3_PNS14_IS19_E10value_typeET4_jRbjT5_S1F_jjP12ihipStream_tbEUljE_ZNSN_ISO_Lb1ESR_SS_SU_SV_SZ_EES10_S11_S12_S13_S17_S18_S19_S1C_S1D_jS1E_jS1F_S1F_jjS1H_bEUljE0_EEES10_S11_S12_S19_S1D_S1F_T6_T7_T9_mT8_S1H_bDpT10_ENKUlT_T0_E_clISt17integral_constantIbLb1EES1V_EEDaS1Q_S1R_EUlS1Q_E_NS1_11comp_targetILNS1_3genE10ELNS1_11target_archE1200ELNS1_3gpuE4ELNS1_3repE0EEENS1_30default_config_static_selectorELNS0_4arch9wavefront6targetE0EEEvS13_.has_recursion, 0
	.set _ZN7rocprim17ROCPRIM_400000_NS6detail17trampoline_kernelINS0_13select_configILj256ELj13ELNS0_17block_load_methodE3ELS4_3ELS4_3ELNS0_20block_scan_algorithmE0ELj4294967295EEENS1_25partition_config_selectorILNS1_17partition_subalgoE4EjNS0_10empty_typeEbEEZZNS1_14partition_implILS8_4ELb0ES6_15HIP_vector_typeIjLj2EENS0_17counting_iteratorIjlEEPS9_SG_NS0_5tupleIJPjSI_NS0_16reverse_iteratorISI_EEEEENSH_IJSG_SG_SG_EEES9_SI_JZNS1_25segmented_radix_sort_implINS0_14default_configELb1EPK6__halfPSP_PKlPlN2at6native12_GLOBAL__N_18offset_tEEE10hipError_tPvRmT1_PNSt15iterator_traitsIS13_E10value_typeET2_T3_PNS14_IS19_E10value_typeET4_jRbjT5_S1F_jjP12ihipStream_tbEUljE_ZNSN_ISO_Lb1ESR_SS_SU_SV_SZ_EES10_S11_S12_S13_S17_S18_S19_S1C_S1D_jS1E_jS1F_S1F_jjS1H_bEUljE0_EEES10_S11_S12_S19_S1D_S1F_T6_T7_T9_mT8_S1H_bDpT10_ENKUlT_T0_E_clISt17integral_constantIbLb1EES1V_EEDaS1Q_S1R_EUlS1Q_E_NS1_11comp_targetILNS1_3genE10ELNS1_11target_archE1200ELNS1_3gpuE4ELNS1_3repE0EEENS1_30default_config_static_selectorELNS0_4arch9wavefront6targetE0EEEvS13_.has_indirect_call, 0
	.section	.AMDGPU.csdata,"",@progbits
; Kernel info:
; codeLenInByte = 0
; TotalNumSgprs: 0
; NumVgprs: 0
; ScratchSize: 0
; MemoryBound: 0
; FloatMode: 240
; IeeeMode: 1
; LDSByteSize: 0 bytes/workgroup (compile time only)
; SGPRBlocks: 0
; VGPRBlocks: 0
; NumSGPRsForWavesPerEU: 1
; NumVGPRsForWavesPerEU: 1
; NamedBarCnt: 0
; Occupancy: 16
; WaveLimiterHint : 0
; COMPUTE_PGM_RSRC2:SCRATCH_EN: 0
; COMPUTE_PGM_RSRC2:USER_SGPR: 2
; COMPUTE_PGM_RSRC2:TRAP_HANDLER: 0
; COMPUTE_PGM_RSRC2:TGID_X_EN: 1
; COMPUTE_PGM_RSRC2:TGID_Y_EN: 0
; COMPUTE_PGM_RSRC2:TGID_Z_EN: 0
; COMPUTE_PGM_RSRC2:TIDIG_COMP_CNT: 0
	.section	.text._ZN7rocprim17ROCPRIM_400000_NS6detail17trampoline_kernelINS0_13select_configILj256ELj13ELNS0_17block_load_methodE3ELS4_3ELS4_3ELNS0_20block_scan_algorithmE0ELj4294967295EEENS1_25partition_config_selectorILNS1_17partition_subalgoE4EjNS0_10empty_typeEbEEZZNS1_14partition_implILS8_4ELb0ES6_15HIP_vector_typeIjLj2EENS0_17counting_iteratorIjlEEPS9_SG_NS0_5tupleIJPjSI_NS0_16reverse_iteratorISI_EEEEENSH_IJSG_SG_SG_EEES9_SI_JZNS1_25segmented_radix_sort_implINS0_14default_configELb1EPK6__halfPSP_PKlPlN2at6native12_GLOBAL__N_18offset_tEEE10hipError_tPvRmT1_PNSt15iterator_traitsIS13_E10value_typeET2_T3_PNS14_IS19_E10value_typeET4_jRbjT5_S1F_jjP12ihipStream_tbEUljE_ZNSN_ISO_Lb1ESR_SS_SU_SV_SZ_EES10_S11_S12_S13_S17_S18_S19_S1C_S1D_jS1E_jS1F_S1F_jjS1H_bEUljE0_EEES10_S11_S12_S19_S1D_S1F_T6_T7_T9_mT8_S1H_bDpT10_ENKUlT_T0_E_clISt17integral_constantIbLb1EES1V_EEDaS1Q_S1R_EUlS1Q_E_NS1_11comp_targetILNS1_3genE9ELNS1_11target_archE1100ELNS1_3gpuE3ELNS1_3repE0EEENS1_30default_config_static_selectorELNS0_4arch9wavefront6targetE0EEEvS13_,"axG",@progbits,_ZN7rocprim17ROCPRIM_400000_NS6detail17trampoline_kernelINS0_13select_configILj256ELj13ELNS0_17block_load_methodE3ELS4_3ELS4_3ELNS0_20block_scan_algorithmE0ELj4294967295EEENS1_25partition_config_selectorILNS1_17partition_subalgoE4EjNS0_10empty_typeEbEEZZNS1_14partition_implILS8_4ELb0ES6_15HIP_vector_typeIjLj2EENS0_17counting_iteratorIjlEEPS9_SG_NS0_5tupleIJPjSI_NS0_16reverse_iteratorISI_EEEEENSH_IJSG_SG_SG_EEES9_SI_JZNS1_25segmented_radix_sort_implINS0_14default_configELb1EPK6__halfPSP_PKlPlN2at6native12_GLOBAL__N_18offset_tEEE10hipError_tPvRmT1_PNSt15iterator_traitsIS13_E10value_typeET2_T3_PNS14_IS19_E10value_typeET4_jRbjT5_S1F_jjP12ihipStream_tbEUljE_ZNSN_ISO_Lb1ESR_SS_SU_SV_SZ_EES10_S11_S12_S13_S17_S18_S19_S1C_S1D_jS1E_jS1F_S1F_jjS1H_bEUljE0_EEES10_S11_S12_S19_S1D_S1F_T6_T7_T9_mT8_S1H_bDpT10_ENKUlT_T0_E_clISt17integral_constantIbLb1EES1V_EEDaS1Q_S1R_EUlS1Q_E_NS1_11comp_targetILNS1_3genE9ELNS1_11target_archE1100ELNS1_3gpuE3ELNS1_3repE0EEENS1_30default_config_static_selectorELNS0_4arch9wavefront6targetE0EEEvS13_,comdat
	.globl	_ZN7rocprim17ROCPRIM_400000_NS6detail17trampoline_kernelINS0_13select_configILj256ELj13ELNS0_17block_load_methodE3ELS4_3ELS4_3ELNS0_20block_scan_algorithmE0ELj4294967295EEENS1_25partition_config_selectorILNS1_17partition_subalgoE4EjNS0_10empty_typeEbEEZZNS1_14partition_implILS8_4ELb0ES6_15HIP_vector_typeIjLj2EENS0_17counting_iteratorIjlEEPS9_SG_NS0_5tupleIJPjSI_NS0_16reverse_iteratorISI_EEEEENSH_IJSG_SG_SG_EEES9_SI_JZNS1_25segmented_radix_sort_implINS0_14default_configELb1EPK6__halfPSP_PKlPlN2at6native12_GLOBAL__N_18offset_tEEE10hipError_tPvRmT1_PNSt15iterator_traitsIS13_E10value_typeET2_T3_PNS14_IS19_E10value_typeET4_jRbjT5_S1F_jjP12ihipStream_tbEUljE_ZNSN_ISO_Lb1ESR_SS_SU_SV_SZ_EES10_S11_S12_S13_S17_S18_S19_S1C_S1D_jS1E_jS1F_S1F_jjS1H_bEUljE0_EEES10_S11_S12_S19_S1D_S1F_T6_T7_T9_mT8_S1H_bDpT10_ENKUlT_T0_E_clISt17integral_constantIbLb1EES1V_EEDaS1Q_S1R_EUlS1Q_E_NS1_11comp_targetILNS1_3genE9ELNS1_11target_archE1100ELNS1_3gpuE3ELNS1_3repE0EEENS1_30default_config_static_selectorELNS0_4arch9wavefront6targetE0EEEvS13_ ; -- Begin function _ZN7rocprim17ROCPRIM_400000_NS6detail17trampoline_kernelINS0_13select_configILj256ELj13ELNS0_17block_load_methodE3ELS4_3ELS4_3ELNS0_20block_scan_algorithmE0ELj4294967295EEENS1_25partition_config_selectorILNS1_17partition_subalgoE4EjNS0_10empty_typeEbEEZZNS1_14partition_implILS8_4ELb0ES6_15HIP_vector_typeIjLj2EENS0_17counting_iteratorIjlEEPS9_SG_NS0_5tupleIJPjSI_NS0_16reverse_iteratorISI_EEEEENSH_IJSG_SG_SG_EEES9_SI_JZNS1_25segmented_radix_sort_implINS0_14default_configELb1EPK6__halfPSP_PKlPlN2at6native12_GLOBAL__N_18offset_tEEE10hipError_tPvRmT1_PNSt15iterator_traitsIS13_E10value_typeET2_T3_PNS14_IS19_E10value_typeET4_jRbjT5_S1F_jjP12ihipStream_tbEUljE_ZNSN_ISO_Lb1ESR_SS_SU_SV_SZ_EES10_S11_S12_S13_S17_S18_S19_S1C_S1D_jS1E_jS1F_S1F_jjS1H_bEUljE0_EEES10_S11_S12_S19_S1D_S1F_T6_T7_T9_mT8_S1H_bDpT10_ENKUlT_T0_E_clISt17integral_constantIbLb1EES1V_EEDaS1Q_S1R_EUlS1Q_E_NS1_11comp_targetILNS1_3genE9ELNS1_11target_archE1100ELNS1_3gpuE3ELNS1_3repE0EEENS1_30default_config_static_selectorELNS0_4arch9wavefront6targetE0EEEvS13_
	.p2align	8
	.type	_ZN7rocprim17ROCPRIM_400000_NS6detail17trampoline_kernelINS0_13select_configILj256ELj13ELNS0_17block_load_methodE3ELS4_3ELS4_3ELNS0_20block_scan_algorithmE0ELj4294967295EEENS1_25partition_config_selectorILNS1_17partition_subalgoE4EjNS0_10empty_typeEbEEZZNS1_14partition_implILS8_4ELb0ES6_15HIP_vector_typeIjLj2EENS0_17counting_iteratorIjlEEPS9_SG_NS0_5tupleIJPjSI_NS0_16reverse_iteratorISI_EEEEENSH_IJSG_SG_SG_EEES9_SI_JZNS1_25segmented_radix_sort_implINS0_14default_configELb1EPK6__halfPSP_PKlPlN2at6native12_GLOBAL__N_18offset_tEEE10hipError_tPvRmT1_PNSt15iterator_traitsIS13_E10value_typeET2_T3_PNS14_IS19_E10value_typeET4_jRbjT5_S1F_jjP12ihipStream_tbEUljE_ZNSN_ISO_Lb1ESR_SS_SU_SV_SZ_EES10_S11_S12_S13_S17_S18_S19_S1C_S1D_jS1E_jS1F_S1F_jjS1H_bEUljE0_EEES10_S11_S12_S19_S1D_S1F_T6_T7_T9_mT8_S1H_bDpT10_ENKUlT_T0_E_clISt17integral_constantIbLb1EES1V_EEDaS1Q_S1R_EUlS1Q_E_NS1_11comp_targetILNS1_3genE9ELNS1_11target_archE1100ELNS1_3gpuE3ELNS1_3repE0EEENS1_30default_config_static_selectorELNS0_4arch9wavefront6targetE0EEEvS13_,@function
_ZN7rocprim17ROCPRIM_400000_NS6detail17trampoline_kernelINS0_13select_configILj256ELj13ELNS0_17block_load_methodE3ELS4_3ELS4_3ELNS0_20block_scan_algorithmE0ELj4294967295EEENS1_25partition_config_selectorILNS1_17partition_subalgoE4EjNS0_10empty_typeEbEEZZNS1_14partition_implILS8_4ELb0ES6_15HIP_vector_typeIjLj2EENS0_17counting_iteratorIjlEEPS9_SG_NS0_5tupleIJPjSI_NS0_16reverse_iteratorISI_EEEEENSH_IJSG_SG_SG_EEES9_SI_JZNS1_25segmented_radix_sort_implINS0_14default_configELb1EPK6__halfPSP_PKlPlN2at6native12_GLOBAL__N_18offset_tEEE10hipError_tPvRmT1_PNSt15iterator_traitsIS13_E10value_typeET2_T3_PNS14_IS19_E10value_typeET4_jRbjT5_S1F_jjP12ihipStream_tbEUljE_ZNSN_ISO_Lb1ESR_SS_SU_SV_SZ_EES10_S11_S12_S13_S17_S18_S19_S1C_S1D_jS1E_jS1F_S1F_jjS1H_bEUljE0_EEES10_S11_S12_S19_S1D_S1F_T6_T7_T9_mT8_S1H_bDpT10_ENKUlT_T0_E_clISt17integral_constantIbLb1EES1V_EEDaS1Q_S1R_EUlS1Q_E_NS1_11comp_targetILNS1_3genE9ELNS1_11target_archE1100ELNS1_3gpuE3ELNS1_3repE0EEENS1_30default_config_static_selectorELNS0_4arch9wavefront6targetE0EEEvS13_: ; @_ZN7rocprim17ROCPRIM_400000_NS6detail17trampoline_kernelINS0_13select_configILj256ELj13ELNS0_17block_load_methodE3ELS4_3ELS4_3ELNS0_20block_scan_algorithmE0ELj4294967295EEENS1_25partition_config_selectorILNS1_17partition_subalgoE4EjNS0_10empty_typeEbEEZZNS1_14partition_implILS8_4ELb0ES6_15HIP_vector_typeIjLj2EENS0_17counting_iteratorIjlEEPS9_SG_NS0_5tupleIJPjSI_NS0_16reverse_iteratorISI_EEEEENSH_IJSG_SG_SG_EEES9_SI_JZNS1_25segmented_radix_sort_implINS0_14default_configELb1EPK6__halfPSP_PKlPlN2at6native12_GLOBAL__N_18offset_tEEE10hipError_tPvRmT1_PNSt15iterator_traitsIS13_E10value_typeET2_T3_PNS14_IS19_E10value_typeET4_jRbjT5_S1F_jjP12ihipStream_tbEUljE_ZNSN_ISO_Lb1ESR_SS_SU_SV_SZ_EES10_S11_S12_S13_S17_S18_S19_S1C_S1D_jS1E_jS1F_S1F_jjS1H_bEUljE0_EEES10_S11_S12_S19_S1D_S1F_T6_T7_T9_mT8_S1H_bDpT10_ENKUlT_T0_E_clISt17integral_constantIbLb1EES1V_EEDaS1Q_S1R_EUlS1Q_E_NS1_11comp_targetILNS1_3genE9ELNS1_11target_archE1100ELNS1_3gpuE3ELNS1_3repE0EEENS1_30default_config_static_selectorELNS0_4arch9wavefront6targetE0EEEvS13_
; %bb.0:
	.section	.rodata,"a",@progbits
	.p2align	6, 0x0
	.amdhsa_kernel _ZN7rocprim17ROCPRIM_400000_NS6detail17trampoline_kernelINS0_13select_configILj256ELj13ELNS0_17block_load_methodE3ELS4_3ELS4_3ELNS0_20block_scan_algorithmE0ELj4294967295EEENS1_25partition_config_selectorILNS1_17partition_subalgoE4EjNS0_10empty_typeEbEEZZNS1_14partition_implILS8_4ELb0ES6_15HIP_vector_typeIjLj2EENS0_17counting_iteratorIjlEEPS9_SG_NS0_5tupleIJPjSI_NS0_16reverse_iteratorISI_EEEEENSH_IJSG_SG_SG_EEES9_SI_JZNS1_25segmented_radix_sort_implINS0_14default_configELb1EPK6__halfPSP_PKlPlN2at6native12_GLOBAL__N_18offset_tEEE10hipError_tPvRmT1_PNSt15iterator_traitsIS13_E10value_typeET2_T3_PNS14_IS19_E10value_typeET4_jRbjT5_S1F_jjP12ihipStream_tbEUljE_ZNSN_ISO_Lb1ESR_SS_SU_SV_SZ_EES10_S11_S12_S13_S17_S18_S19_S1C_S1D_jS1E_jS1F_S1F_jjS1H_bEUljE0_EEES10_S11_S12_S19_S1D_S1F_T6_T7_T9_mT8_S1H_bDpT10_ENKUlT_T0_E_clISt17integral_constantIbLb1EES1V_EEDaS1Q_S1R_EUlS1Q_E_NS1_11comp_targetILNS1_3genE9ELNS1_11target_archE1100ELNS1_3gpuE3ELNS1_3repE0EEENS1_30default_config_static_selectorELNS0_4arch9wavefront6targetE0EEEvS13_
		.amdhsa_group_segment_fixed_size 0
		.amdhsa_private_segment_fixed_size 0
		.amdhsa_kernarg_size 184
		.amdhsa_user_sgpr_count 2
		.amdhsa_user_sgpr_dispatch_ptr 0
		.amdhsa_user_sgpr_queue_ptr 0
		.amdhsa_user_sgpr_kernarg_segment_ptr 1
		.amdhsa_user_sgpr_dispatch_id 0
		.amdhsa_user_sgpr_kernarg_preload_length 0
		.amdhsa_user_sgpr_kernarg_preload_offset 0
		.amdhsa_user_sgpr_private_segment_size 0
		.amdhsa_wavefront_size32 1
		.amdhsa_uses_dynamic_stack 0
		.amdhsa_enable_private_segment 0
		.amdhsa_system_sgpr_workgroup_id_x 1
		.amdhsa_system_sgpr_workgroup_id_y 0
		.amdhsa_system_sgpr_workgroup_id_z 0
		.amdhsa_system_sgpr_workgroup_info 0
		.amdhsa_system_vgpr_workitem_id 0
		.amdhsa_next_free_vgpr 1
		.amdhsa_next_free_sgpr 1
		.amdhsa_named_barrier_count 0
		.amdhsa_reserve_vcc 0
		.amdhsa_float_round_mode_32 0
		.amdhsa_float_round_mode_16_64 0
		.amdhsa_float_denorm_mode_32 3
		.amdhsa_float_denorm_mode_16_64 3
		.amdhsa_fp16_overflow 0
		.amdhsa_memory_ordered 1
		.amdhsa_forward_progress 1
		.amdhsa_inst_pref_size 0
		.amdhsa_round_robin_scheduling 0
		.amdhsa_exception_fp_ieee_invalid_op 0
		.amdhsa_exception_fp_denorm_src 0
		.amdhsa_exception_fp_ieee_div_zero 0
		.amdhsa_exception_fp_ieee_overflow 0
		.amdhsa_exception_fp_ieee_underflow 0
		.amdhsa_exception_fp_ieee_inexact 0
		.amdhsa_exception_int_div_zero 0
	.end_amdhsa_kernel
	.section	.text._ZN7rocprim17ROCPRIM_400000_NS6detail17trampoline_kernelINS0_13select_configILj256ELj13ELNS0_17block_load_methodE3ELS4_3ELS4_3ELNS0_20block_scan_algorithmE0ELj4294967295EEENS1_25partition_config_selectorILNS1_17partition_subalgoE4EjNS0_10empty_typeEbEEZZNS1_14partition_implILS8_4ELb0ES6_15HIP_vector_typeIjLj2EENS0_17counting_iteratorIjlEEPS9_SG_NS0_5tupleIJPjSI_NS0_16reverse_iteratorISI_EEEEENSH_IJSG_SG_SG_EEES9_SI_JZNS1_25segmented_radix_sort_implINS0_14default_configELb1EPK6__halfPSP_PKlPlN2at6native12_GLOBAL__N_18offset_tEEE10hipError_tPvRmT1_PNSt15iterator_traitsIS13_E10value_typeET2_T3_PNS14_IS19_E10value_typeET4_jRbjT5_S1F_jjP12ihipStream_tbEUljE_ZNSN_ISO_Lb1ESR_SS_SU_SV_SZ_EES10_S11_S12_S13_S17_S18_S19_S1C_S1D_jS1E_jS1F_S1F_jjS1H_bEUljE0_EEES10_S11_S12_S19_S1D_S1F_T6_T7_T9_mT8_S1H_bDpT10_ENKUlT_T0_E_clISt17integral_constantIbLb1EES1V_EEDaS1Q_S1R_EUlS1Q_E_NS1_11comp_targetILNS1_3genE9ELNS1_11target_archE1100ELNS1_3gpuE3ELNS1_3repE0EEENS1_30default_config_static_selectorELNS0_4arch9wavefront6targetE0EEEvS13_,"axG",@progbits,_ZN7rocprim17ROCPRIM_400000_NS6detail17trampoline_kernelINS0_13select_configILj256ELj13ELNS0_17block_load_methodE3ELS4_3ELS4_3ELNS0_20block_scan_algorithmE0ELj4294967295EEENS1_25partition_config_selectorILNS1_17partition_subalgoE4EjNS0_10empty_typeEbEEZZNS1_14partition_implILS8_4ELb0ES6_15HIP_vector_typeIjLj2EENS0_17counting_iteratorIjlEEPS9_SG_NS0_5tupleIJPjSI_NS0_16reverse_iteratorISI_EEEEENSH_IJSG_SG_SG_EEES9_SI_JZNS1_25segmented_radix_sort_implINS0_14default_configELb1EPK6__halfPSP_PKlPlN2at6native12_GLOBAL__N_18offset_tEEE10hipError_tPvRmT1_PNSt15iterator_traitsIS13_E10value_typeET2_T3_PNS14_IS19_E10value_typeET4_jRbjT5_S1F_jjP12ihipStream_tbEUljE_ZNSN_ISO_Lb1ESR_SS_SU_SV_SZ_EES10_S11_S12_S13_S17_S18_S19_S1C_S1D_jS1E_jS1F_S1F_jjS1H_bEUljE0_EEES10_S11_S12_S19_S1D_S1F_T6_T7_T9_mT8_S1H_bDpT10_ENKUlT_T0_E_clISt17integral_constantIbLb1EES1V_EEDaS1Q_S1R_EUlS1Q_E_NS1_11comp_targetILNS1_3genE9ELNS1_11target_archE1100ELNS1_3gpuE3ELNS1_3repE0EEENS1_30default_config_static_selectorELNS0_4arch9wavefront6targetE0EEEvS13_,comdat
.Lfunc_end1679:
	.size	_ZN7rocprim17ROCPRIM_400000_NS6detail17trampoline_kernelINS0_13select_configILj256ELj13ELNS0_17block_load_methodE3ELS4_3ELS4_3ELNS0_20block_scan_algorithmE0ELj4294967295EEENS1_25partition_config_selectorILNS1_17partition_subalgoE4EjNS0_10empty_typeEbEEZZNS1_14partition_implILS8_4ELb0ES6_15HIP_vector_typeIjLj2EENS0_17counting_iteratorIjlEEPS9_SG_NS0_5tupleIJPjSI_NS0_16reverse_iteratorISI_EEEEENSH_IJSG_SG_SG_EEES9_SI_JZNS1_25segmented_radix_sort_implINS0_14default_configELb1EPK6__halfPSP_PKlPlN2at6native12_GLOBAL__N_18offset_tEEE10hipError_tPvRmT1_PNSt15iterator_traitsIS13_E10value_typeET2_T3_PNS14_IS19_E10value_typeET4_jRbjT5_S1F_jjP12ihipStream_tbEUljE_ZNSN_ISO_Lb1ESR_SS_SU_SV_SZ_EES10_S11_S12_S13_S17_S18_S19_S1C_S1D_jS1E_jS1F_S1F_jjS1H_bEUljE0_EEES10_S11_S12_S19_S1D_S1F_T6_T7_T9_mT8_S1H_bDpT10_ENKUlT_T0_E_clISt17integral_constantIbLb1EES1V_EEDaS1Q_S1R_EUlS1Q_E_NS1_11comp_targetILNS1_3genE9ELNS1_11target_archE1100ELNS1_3gpuE3ELNS1_3repE0EEENS1_30default_config_static_selectorELNS0_4arch9wavefront6targetE0EEEvS13_, .Lfunc_end1679-_ZN7rocprim17ROCPRIM_400000_NS6detail17trampoline_kernelINS0_13select_configILj256ELj13ELNS0_17block_load_methodE3ELS4_3ELS4_3ELNS0_20block_scan_algorithmE0ELj4294967295EEENS1_25partition_config_selectorILNS1_17partition_subalgoE4EjNS0_10empty_typeEbEEZZNS1_14partition_implILS8_4ELb0ES6_15HIP_vector_typeIjLj2EENS0_17counting_iteratorIjlEEPS9_SG_NS0_5tupleIJPjSI_NS0_16reverse_iteratorISI_EEEEENSH_IJSG_SG_SG_EEES9_SI_JZNS1_25segmented_radix_sort_implINS0_14default_configELb1EPK6__halfPSP_PKlPlN2at6native12_GLOBAL__N_18offset_tEEE10hipError_tPvRmT1_PNSt15iterator_traitsIS13_E10value_typeET2_T3_PNS14_IS19_E10value_typeET4_jRbjT5_S1F_jjP12ihipStream_tbEUljE_ZNSN_ISO_Lb1ESR_SS_SU_SV_SZ_EES10_S11_S12_S13_S17_S18_S19_S1C_S1D_jS1E_jS1F_S1F_jjS1H_bEUljE0_EEES10_S11_S12_S19_S1D_S1F_T6_T7_T9_mT8_S1H_bDpT10_ENKUlT_T0_E_clISt17integral_constantIbLb1EES1V_EEDaS1Q_S1R_EUlS1Q_E_NS1_11comp_targetILNS1_3genE9ELNS1_11target_archE1100ELNS1_3gpuE3ELNS1_3repE0EEENS1_30default_config_static_selectorELNS0_4arch9wavefront6targetE0EEEvS13_
                                        ; -- End function
	.set _ZN7rocprim17ROCPRIM_400000_NS6detail17trampoline_kernelINS0_13select_configILj256ELj13ELNS0_17block_load_methodE3ELS4_3ELS4_3ELNS0_20block_scan_algorithmE0ELj4294967295EEENS1_25partition_config_selectorILNS1_17partition_subalgoE4EjNS0_10empty_typeEbEEZZNS1_14partition_implILS8_4ELb0ES6_15HIP_vector_typeIjLj2EENS0_17counting_iteratorIjlEEPS9_SG_NS0_5tupleIJPjSI_NS0_16reverse_iteratorISI_EEEEENSH_IJSG_SG_SG_EEES9_SI_JZNS1_25segmented_radix_sort_implINS0_14default_configELb1EPK6__halfPSP_PKlPlN2at6native12_GLOBAL__N_18offset_tEEE10hipError_tPvRmT1_PNSt15iterator_traitsIS13_E10value_typeET2_T3_PNS14_IS19_E10value_typeET4_jRbjT5_S1F_jjP12ihipStream_tbEUljE_ZNSN_ISO_Lb1ESR_SS_SU_SV_SZ_EES10_S11_S12_S13_S17_S18_S19_S1C_S1D_jS1E_jS1F_S1F_jjS1H_bEUljE0_EEES10_S11_S12_S19_S1D_S1F_T6_T7_T9_mT8_S1H_bDpT10_ENKUlT_T0_E_clISt17integral_constantIbLb1EES1V_EEDaS1Q_S1R_EUlS1Q_E_NS1_11comp_targetILNS1_3genE9ELNS1_11target_archE1100ELNS1_3gpuE3ELNS1_3repE0EEENS1_30default_config_static_selectorELNS0_4arch9wavefront6targetE0EEEvS13_.num_vgpr, 0
	.set _ZN7rocprim17ROCPRIM_400000_NS6detail17trampoline_kernelINS0_13select_configILj256ELj13ELNS0_17block_load_methodE3ELS4_3ELS4_3ELNS0_20block_scan_algorithmE0ELj4294967295EEENS1_25partition_config_selectorILNS1_17partition_subalgoE4EjNS0_10empty_typeEbEEZZNS1_14partition_implILS8_4ELb0ES6_15HIP_vector_typeIjLj2EENS0_17counting_iteratorIjlEEPS9_SG_NS0_5tupleIJPjSI_NS0_16reverse_iteratorISI_EEEEENSH_IJSG_SG_SG_EEES9_SI_JZNS1_25segmented_radix_sort_implINS0_14default_configELb1EPK6__halfPSP_PKlPlN2at6native12_GLOBAL__N_18offset_tEEE10hipError_tPvRmT1_PNSt15iterator_traitsIS13_E10value_typeET2_T3_PNS14_IS19_E10value_typeET4_jRbjT5_S1F_jjP12ihipStream_tbEUljE_ZNSN_ISO_Lb1ESR_SS_SU_SV_SZ_EES10_S11_S12_S13_S17_S18_S19_S1C_S1D_jS1E_jS1F_S1F_jjS1H_bEUljE0_EEES10_S11_S12_S19_S1D_S1F_T6_T7_T9_mT8_S1H_bDpT10_ENKUlT_T0_E_clISt17integral_constantIbLb1EES1V_EEDaS1Q_S1R_EUlS1Q_E_NS1_11comp_targetILNS1_3genE9ELNS1_11target_archE1100ELNS1_3gpuE3ELNS1_3repE0EEENS1_30default_config_static_selectorELNS0_4arch9wavefront6targetE0EEEvS13_.num_agpr, 0
	.set _ZN7rocprim17ROCPRIM_400000_NS6detail17trampoline_kernelINS0_13select_configILj256ELj13ELNS0_17block_load_methodE3ELS4_3ELS4_3ELNS0_20block_scan_algorithmE0ELj4294967295EEENS1_25partition_config_selectorILNS1_17partition_subalgoE4EjNS0_10empty_typeEbEEZZNS1_14partition_implILS8_4ELb0ES6_15HIP_vector_typeIjLj2EENS0_17counting_iteratorIjlEEPS9_SG_NS0_5tupleIJPjSI_NS0_16reverse_iteratorISI_EEEEENSH_IJSG_SG_SG_EEES9_SI_JZNS1_25segmented_radix_sort_implINS0_14default_configELb1EPK6__halfPSP_PKlPlN2at6native12_GLOBAL__N_18offset_tEEE10hipError_tPvRmT1_PNSt15iterator_traitsIS13_E10value_typeET2_T3_PNS14_IS19_E10value_typeET4_jRbjT5_S1F_jjP12ihipStream_tbEUljE_ZNSN_ISO_Lb1ESR_SS_SU_SV_SZ_EES10_S11_S12_S13_S17_S18_S19_S1C_S1D_jS1E_jS1F_S1F_jjS1H_bEUljE0_EEES10_S11_S12_S19_S1D_S1F_T6_T7_T9_mT8_S1H_bDpT10_ENKUlT_T0_E_clISt17integral_constantIbLb1EES1V_EEDaS1Q_S1R_EUlS1Q_E_NS1_11comp_targetILNS1_3genE9ELNS1_11target_archE1100ELNS1_3gpuE3ELNS1_3repE0EEENS1_30default_config_static_selectorELNS0_4arch9wavefront6targetE0EEEvS13_.numbered_sgpr, 0
	.set _ZN7rocprim17ROCPRIM_400000_NS6detail17trampoline_kernelINS0_13select_configILj256ELj13ELNS0_17block_load_methodE3ELS4_3ELS4_3ELNS0_20block_scan_algorithmE0ELj4294967295EEENS1_25partition_config_selectorILNS1_17partition_subalgoE4EjNS0_10empty_typeEbEEZZNS1_14partition_implILS8_4ELb0ES6_15HIP_vector_typeIjLj2EENS0_17counting_iteratorIjlEEPS9_SG_NS0_5tupleIJPjSI_NS0_16reverse_iteratorISI_EEEEENSH_IJSG_SG_SG_EEES9_SI_JZNS1_25segmented_radix_sort_implINS0_14default_configELb1EPK6__halfPSP_PKlPlN2at6native12_GLOBAL__N_18offset_tEEE10hipError_tPvRmT1_PNSt15iterator_traitsIS13_E10value_typeET2_T3_PNS14_IS19_E10value_typeET4_jRbjT5_S1F_jjP12ihipStream_tbEUljE_ZNSN_ISO_Lb1ESR_SS_SU_SV_SZ_EES10_S11_S12_S13_S17_S18_S19_S1C_S1D_jS1E_jS1F_S1F_jjS1H_bEUljE0_EEES10_S11_S12_S19_S1D_S1F_T6_T7_T9_mT8_S1H_bDpT10_ENKUlT_T0_E_clISt17integral_constantIbLb1EES1V_EEDaS1Q_S1R_EUlS1Q_E_NS1_11comp_targetILNS1_3genE9ELNS1_11target_archE1100ELNS1_3gpuE3ELNS1_3repE0EEENS1_30default_config_static_selectorELNS0_4arch9wavefront6targetE0EEEvS13_.num_named_barrier, 0
	.set _ZN7rocprim17ROCPRIM_400000_NS6detail17trampoline_kernelINS0_13select_configILj256ELj13ELNS0_17block_load_methodE3ELS4_3ELS4_3ELNS0_20block_scan_algorithmE0ELj4294967295EEENS1_25partition_config_selectorILNS1_17partition_subalgoE4EjNS0_10empty_typeEbEEZZNS1_14partition_implILS8_4ELb0ES6_15HIP_vector_typeIjLj2EENS0_17counting_iteratorIjlEEPS9_SG_NS0_5tupleIJPjSI_NS0_16reverse_iteratorISI_EEEEENSH_IJSG_SG_SG_EEES9_SI_JZNS1_25segmented_radix_sort_implINS0_14default_configELb1EPK6__halfPSP_PKlPlN2at6native12_GLOBAL__N_18offset_tEEE10hipError_tPvRmT1_PNSt15iterator_traitsIS13_E10value_typeET2_T3_PNS14_IS19_E10value_typeET4_jRbjT5_S1F_jjP12ihipStream_tbEUljE_ZNSN_ISO_Lb1ESR_SS_SU_SV_SZ_EES10_S11_S12_S13_S17_S18_S19_S1C_S1D_jS1E_jS1F_S1F_jjS1H_bEUljE0_EEES10_S11_S12_S19_S1D_S1F_T6_T7_T9_mT8_S1H_bDpT10_ENKUlT_T0_E_clISt17integral_constantIbLb1EES1V_EEDaS1Q_S1R_EUlS1Q_E_NS1_11comp_targetILNS1_3genE9ELNS1_11target_archE1100ELNS1_3gpuE3ELNS1_3repE0EEENS1_30default_config_static_selectorELNS0_4arch9wavefront6targetE0EEEvS13_.private_seg_size, 0
	.set _ZN7rocprim17ROCPRIM_400000_NS6detail17trampoline_kernelINS0_13select_configILj256ELj13ELNS0_17block_load_methodE3ELS4_3ELS4_3ELNS0_20block_scan_algorithmE0ELj4294967295EEENS1_25partition_config_selectorILNS1_17partition_subalgoE4EjNS0_10empty_typeEbEEZZNS1_14partition_implILS8_4ELb0ES6_15HIP_vector_typeIjLj2EENS0_17counting_iteratorIjlEEPS9_SG_NS0_5tupleIJPjSI_NS0_16reverse_iteratorISI_EEEEENSH_IJSG_SG_SG_EEES9_SI_JZNS1_25segmented_radix_sort_implINS0_14default_configELb1EPK6__halfPSP_PKlPlN2at6native12_GLOBAL__N_18offset_tEEE10hipError_tPvRmT1_PNSt15iterator_traitsIS13_E10value_typeET2_T3_PNS14_IS19_E10value_typeET4_jRbjT5_S1F_jjP12ihipStream_tbEUljE_ZNSN_ISO_Lb1ESR_SS_SU_SV_SZ_EES10_S11_S12_S13_S17_S18_S19_S1C_S1D_jS1E_jS1F_S1F_jjS1H_bEUljE0_EEES10_S11_S12_S19_S1D_S1F_T6_T7_T9_mT8_S1H_bDpT10_ENKUlT_T0_E_clISt17integral_constantIbLb1EES1V_EEDaS1Q_S1R_EUlS1Q_E_NS1_11comp_targetILNS1_3genE9ELNS1_11target_archE1100ELNS1_3gpuE3ELNS1_3repE0EEENS1_30default_config_static_selectorELNS0_4arch9wavefront6targetE0EEEvS13_.uses_vcc, 0
	.set _ZN7rocprim17ROCPRIM_400000_NS6detail17trampoline_kernelINS0_13select_configILj256ELj13ELNS0_17block_load_methodE3ELS4_3ELS4_3ELNS0_20block_scan_algorithmE0ELj4294967295EEENS1_25partition_config_selectorILNS1_17partition_subalgoE4EjNS0_10empty_typeEbEEZZNS1_14partition_implILS8_4ELb0ES6_15HIP_vector_typeIjLj2EENS0_17counting_iteratorIjlEEPS9_SG_NS0_5tupleIJPjSI_NS0_16reverse_iteratorISI_EEEEENSH_IJSG_SG_SG_EEES9_SI_JZNS1_25segmented_radix_sort_implINS0_14default_configELb1EPK6__halfPSP_PKlPlN2at6native12_GLOBAL__N_18offset_tEEE10hipError_tPvRmT1_PNSt15iterator_traitsIS13_E10value_typeET2_T3_PNS14_IS19_E10value_typeET4_jRbjT5_S1F_jjP12ihipStream_tbEUljE_ZNSN_ISO_Lb1ESR_SS_SU_SV_SZ_EES10_S11_S12_S13_S17_S18_S19_S1C_S1D_jS1E_jS1F_S1F_jjS1H_bEUljE0_EEES10_S11_S12_S19_S1D_S1F_T6_T7_T9_mT8_S1H_bDpT10_ENKUlT_T0_E_clISt17integral_constantIbLb1EES1V_EEDaS1Q_S1R_EUlS1Q_E_NS1_11comp_targetILNS1_3genE9ELNS1_11target_archE1100ELNS1_3gpuE3ELNS1_3repE0EEENS1_30default_config_static_selectorELNS0_4arch9wavefront6targetE0EEEvS13_.uses_flat_scratch, 0
	.set _ZN7rocprim17ROCPRIM_400000_NS6detail17trampoline_kernelINS0_13select_configILj256ELj13ELNS0_17block_load_methodE3ELS4_3ELS4_3ELNS0_20block_scan_algorithmE0ELj4294967295EEENS1_25partition_config_selectorILNS1_17partition_subalgoE4EjNS0_10empty_typeEbEEZZNS1_14partition_implILS8_4ELb0ES6_15HIP_vector_typeIjLj2EENS0_17counting_iteratorIjlEEPS9_SG_NS0_5tupleIJPjSI_NS0_16reverse_iteratorISI_EEEEENSH_IJSG_SG_SG_EEES9_SI_JZNS1_25segmented_radix_sort_implINS0_14default_configELb1EPK6__halfPSP_PKlPlN2at6native12_GLOBAL__N_18offset_tEEE10hipError_tPvRmT1_PNSt15iterator_traitsIS13_E10value_typeET2_T3_PNS14_IS19_E10value_typeET4_jRbjT5_S1F_jjP12ihipStream_tbEUljE_ZNSN_ISO_Lb1ESR_SS_SU_SV_SZ_EES10_S11_S12_S13_S17_S18_S19_S1C_S1D_jS1E_jS1F_S1F_jjS1H_bEUljE0_EEES10_S11_S12_S19_S1D_S1F_T6_T7_T9_mT8_S1H_bDpT10_ENKUlT_T0_E_clISt17integral_constantIbLb1EES1V_EEDaS1Q_S1R_EUlS1Q_E_NS1_11comp_targetILNS1_3genE9ELNS1_11target_archE1100ELNS1_3gpuE3ELNS1_3repE0EEENS1_30default_config_static_selectorELNS0_4arch9wavefront6targetE0EEEvS13_.has_dyn_sized_stack, 0
	.set _ZN7rocprim17ROCPRIM_400000_NS6detail17trampoline_kernelINS0_13select_configILj256ELj13ELNS0_17block_load_methodE3ELS4_3ELS4_3ELNS0_20block_scan_algorithmE0ELj4294967295EEENS1_25partition_config_selectorILNS1_17partition_subalgoE4EjNS0_10empty_typeEbEEZZNS1_14partition_implILS8_4ELb0ES6_15HIP_vector_typeIjLj2EENS0_17counting_iteratorIjlEEPS9_SG_NS0_5tupleIJPjSI_NS0_16reverse_iteratorISI_EEEEENSH_IJSG_SG_SG_EEES9_SI_JZNS1_25segmented_radix_sort_implINS0_14default_configELb1EPK6__halfPSP_PKlPlN2at6native12_GLOBAL__N_18offset_tEEE10hipError_tPvRmT1_PNSt15iterator_traitsIS13_E10value_typeET2_T3_PNS14_IS19_E10value_typeET4_jRbjT5_S1F_jjP12ihipStream_tbEUljE_ZNSN_ISO_Lb1ESR_SS_SU_SV_SZ_EES10_S11_S12_S13_S17_S18_S19_S1C_S1D_jS1E_jS1F_S1F_jjS1H_bEUljE0_EEES10_S11_S12_S19_S1D_S1F_T6_T7_T9_mT8_S1H_bDpT10_ENKUlT_T0_E_clISt17integral_constantIbLb1EES1V_EEDaS1Q_S1R_EUlS1Q_E_NS1_11comp_targetILNS1_3genE9ELNS1_11target_archE1100ELNS1_3gpuE3ELNS1_3repE0EEENS1_30default_config_static_selectorELNS0_4arch9wavefront6targetE0EEEvS13_.has_recursion, 0
	.set _ZN7rocprim17ROCPRIM_400000_NS6detail17trampoline_kernelINS0_13select_configILj256ELj13ELNS0_17block_load_methodE3ELS4_3ELS4_3ELNS0_20block_scan_algorithmE0ELj4294967295EEENS1_25partition_config_selectorILNS1_17partition_subalgoE4EjNS0_10empty_typeEbEEZZNS1_14partition_implILS8_4ELb0ES6_15HIP_vector_typeIjLj2EENS0_17counting_iteratorIjlEEPS9_SG_NS0_5tupleIJPjSI_NS0_16reverse_iteratorISI_EEEEENSH_IJSG_SG_SG_EEES9_SI_JZNS1_25segmented_radix_sort_implINS0_14default_configELb1EPK6__halfPSP_PKlPlN2at6native12_GLOBAL__N_18offset_tEEE10hipError_tPvRmT1_PNSt15iterator_traitsIS13_E10value_typeET2_T3_PNS14_IS19_E10value_typeET4_jRbjT5_S1F_jjP12ihipStream_tbEUljE_ZNSN_ISO_Lb1ESR_SS_SU_SV_SZ_EES10_S11_S12_S13_S17_S18_S19_S1C_S1D_jS1E_jS1F_S1F_jjS1H_bEUljE0_EEES10_S11_S12_S19_S1D_S1F_T6_T7_T9_mT8_S1H_bDpT10_ENKUlT_T0_E_clISt17integral_constantIbLb1EES1V_EEDaS1Q_S1R_EUlS1Q_E_NS1_11comp_targetILNS1_3genE9ELNS1_11target_archE1100ELNS1_3gpuE3ELNS1_3repE0EEENS1_30default_config_static_selectorELNS0_4arch9wavefront6targetE0EEEvS13_.has_indirect_call, 0
	.section	.AMDGPU.csdata,"",@progbits
; Kernel info:
; codeLenInByte = 0
; TotalNumSgprs: 0
; NumVgprs: 0
; ScratchSize: 0
; MemoryBound: 0
; FloatMode: 240
; IeeeMode: 1
; LDSByteSize: 0 bytes/workgroup (compile time only)
; SGPRBlocks: 0
; VGPRBlocks: 0
; NumSGPRsForWavesPerEU: 1
; NumVGPRsForWavesPerEU: 1
; NamedBarCnt: 0
; Occupancy: 16
; WaveLimiterHint : 0
; COMPUTE_PGM_RSRC2:SCRATCH_EN: 0
; COMPUTE_PGM_RSRC2:USER_SGPR: 2
; COMPUTE_PGM_RSRC2:TRAP_HANDLER: 0
; COMPUTE_PGM_RSRC2:TGID_X_EN: 1
; COMPUTE_PGM_RSRC2:TGID_Y_EN: 0
; COMPUTE_PGM_RSRC2:TGID_Z_EN: 0
; COMPUTE_PGM_RSRC2:TIDIG_COMP_CNT: 0
	.section	.text._ZN7rocprim17ROCPRIM_400000_NS6detail17trampoline_kernelINS0_13select_configILj256ELj13ELNS0_17block_load_methodE3ELS4_3ELS4_3ELNS0_20block_scan_algorithmE0ELj4294967295EEENS1_25partition_config_selectorILNS1_17partition_subalgoE4EjNS0_10empty_typeEbEEZZNS1_14partition_implILS8_4ELb0ES6_15HIP_vector_typeIjLj2EENS0_17counting_iteratorIjlEEPS9_SG_NS0_5tupleIJPjSI_NS0_16reverse_iteratorISI_EEEEENSH_IJSG_SG_SG_EEES9_SI_JZNS1_25segmented_radix_sort_implINS0_14default_configELb1EPK6__halfPSP_PKlPlN2at6native12_GLOBAL__N_18offset_tEEE10hipError_tPvRmT1_PNSt15iterator_traitsIS13_E10value_typeET2_T3_PNS14_IS19_E10value_typeET4_jRbjT5_S1F_jjP12ihipStream_tbEUljE_ZNSN_ISO_Lb1ESR_SS_SU_SV_SZ_EES10_S11_S12_S13_S17_S18_S19_S1C_S1D_jS1E_jS1F_S1F_jjS1H_bEUljE0_EEES10_S11_S12_S19_S1D_S1F_T6_T7_T9_mT8_S1H_bDpT10_ENKUlT_T0_E_clISt17integral_constantIbLb1EES1V_EEDaS1Q_S1R_EUlS1Q_E_NS1_11comp_targetILNS1_3genE8ELNS1_11target_archE1030ELNS1_3gpuE2ELNS1_3repE0EEENS1_30default_config_static_selectorELNS0_4arch9wavefront6targetE0EEEvS13_,"axG",@progbits,_ZN7rocprim17ROCPRIM_400000_NS6detail17trampoline_kernelINS0_13select_configILj256ELj13ELNS0_17block_load_methodE3ELS4_3ELS4_3ELNS0_20block_scan_algorithmE0ELj4294967295EEENS1_25partition_config_selectorILNS1_17partition_subalgoE4EjNS0_10empty_typeEbEEZZNS1_14partition_implILS8_4ELb0ES6_15HIP_vector_typeIjLj2EENS0_17counting_iteratorIjlEEPS9_SG_NS0_5tupleIJPjSI_NS0_16reverse_iteratorISI_EEEEENSH_IJSG_SG_SG_EEES9_SI_JZNS1_25segmented_radix_sort_implINS0_14default_configELb1EPK6__halfPSP_PKlPlN2at6native12_GLOBAL__N_18offset_tEEE10hipError_tPvRmT1_PNSt15iterator_traitsIS13_E10value_typeET2_T3_PNS14_IS19_E10value_typeET4_jRbjT5_S1F_jjP12ihipStream_tbEUljE_ZNSN_ISO_Lb1ESR_SS_SU_SV_SZ_EES10_S11_S12_S13_S17_S18_S19_S1C_S1D_jS1E_jS1F_S1F_jjS1H_bEUljE0_EEES10_S11_S12_S19_S1D_S1F_T6_T7_T9_mT8_S1H_bDpT10_ENKUlT_T0_E_clISt17integral_constantIbLb1EES1V_EEDaS1Q_S1R_EUlS1Q_E_NS1_11comp_targetILNS1_3genE8ELNS1_11target_archE1030ELNS1_3gpuE2ELNS1_3repE0EEENS1_30default_config_static_selectorELNS0_4arch9wavefront6targetE0EEEvS13_,comdat
	.globl	_ZN7rocprim17ROCPRIM_400000_NS6detail17trampoline_kernelINS0_13select_configILj256ELj13ELNS0_17block_load_methodE3ELS4_3ELS4_3ELNS0_20block_scan_algorithmE0ELj4294967295EEENS1_25partition_config_selectorILNS1_17partition_subalgoE4EjNS0_10empty_typeEbEEZZNS1_14partition_implILS8_4ELb0ES6_15HIP_vector_typeIjLj2EENS0_17counting_iteratorIjlEEPS9_SG_NS0_5tupleIJPjSI_NS0_16reverse_iteratorISI_EEEEENSH_IJSG_SG_SG_EEES9_SI_JZNS1_25segmented_radix_sort_implINS0_14default_configELb1EPK6__halfPSP_PKlPlN2at6native12_GLOBAL__N_18offset_tEEE10hipError_tPvRmT1_PNSt15iterator_traitsIS13_E10value_typeET2_T3_PNS14_IS19_E10value_typeET4_jRbjT5_S1F_jjP12ihipStream_tbEUljE_ZNSN_ISO_Lb1ESR_SS_SU_SV_SZ_EES10_S11_S12_S13_S17_S18_S19_S1C_S1D_jS1E_jS1F_S1F_jjS1H_bEUljE0_EEES10_S11_S12_S19_S1D_S1F_T6_T7_T9_mT8_S1H_bDpT10_ENKUlT_T0_E_clISt17integral_constantIbLb1EES1V_EEDaS1Q_S1R_EUlS1Q_E_NS1_11comp_targetILNS1_3genE8ELNS1_11target_archE1030ELNS1_3gpuE2ELNS1_3repE0EEENS1_30default_config_static_selectorELNS0_4arch9wavefront6targetE0EEEvS13_ ; -- Begin function _ZN7rocprim17ROCPRIM_400000_NS6detail17trampoline_kernelINS0_13select_configILj256ELj13ELNS0_17block_load_methodE3ELS4_3ELS4_3ELNS0_20block_scan_algorithmE0ELj4294967295EEENS1_25partition_config_selectorILNS1_17partition_subalgoE4EjNS0_10empty_typeEbEEZZNS1_14partition_implILS8_4ELb0ES6_15HIP_vector_typeIjLj2EENS0_17counting_iteratorIjlEEPS9_SG_NS0_5tupleIJPjSI_NS0_16reverse_iteratorISI_EEEEENSH_IJSG_SG_SG_EEES9_SI_JZNS1_25segmented_radix_sort_implINS0_14default_configELb1EPK6__halfPSP_PKlPlN2at6native12_GLOBAL__N_18offset_tEEE10hipError_tPvRmT1_PNSt15iterator_traitsIS13_E10value_typeET2_T3_PNS14_IS19_E10value_typeET4_jRbjT5_S1F_jjP12ihipStream_tbEUljE_ZNSN_ISO_Lb1ESR_SS_SU_SV_SZ_EES10_S11_S12_S13_S17_S18_S19_S1C_S1D_jS1E_jS1F_S1F_jjS1H_bEUljE0_EEES10_S11_S12_S19_S1D_S1F_T6_T7_T9_mT8_S1H_bDpT10_ENKUlT_T0_E_clISt17integral_constantIbLb1EES1V_EEDaS1Q_S1R_EUlS1Q_E_NS1_11comp_targetILNS1_3genE8ELNS1_11target_archE1030ELNS1_3gpuE2ELNS1_3repE0EEENS1_30default_config_static_selectorELNS0_4arch9wavefront6targetE0EEEvS13_
	.p2align	8
	.type	_ZN7rocprim17ROCPRIM_400000_NS6detail17trampoline_kernelINS0_13select_configILj256ELj13ELNS0_17block_load_methodE3ELS4_3ELS4_3ELNS0_20block_scan_algorithmE0ELj4294967295EEENS1_25partition_config_selectorILNS1_17partition_subalgoE4EjNS0_10empty_typeEbEEZZNS1_14partition_implILS8_4ELb0ES6_15HIP_vector_typeIjLj2EENS0_17counting_iteratorIjlEEPS9_SG_NS0_5tupleIJPjSI_NS0_16reverse_iteratorISI_EEEEENSH_IJSG_SG_SG_EEES9_SI_JZNS1_25segmented_radix_sort_implINS0_14default_configELb1EPK6__halfPSP_PKlPlN2at6native12_GLOBAL__N_18offset_tEEE10hipError_tPvRmT1_PNSt15iterator_traitsIS13_E10value_typeET2_T3_PNS14_IS19_E10value_typeET4_jRbjT5_S1F_jjP12ihipStream_tbEUljE_ZNSN_ISO_Lb1ESR_SS_SU_SV_SZ_EES10_S11_S12_S13_S17_S18_S19_S1C_S1D_jS1E_jS1F_S1F_jjS1H_bEUljE0_EEES10_S11_S12_S19_S1D_S1F_T6_T7_T9_mT8_S1H_bDpT10_ENKUlT_T0_E_clISt17integral_constantIbLb1EES1V_EEDaS1Q_S1R_EUlS1Q_E_NS1_11comp_targetILNS1_3genE8ELNS1_11target_archE1030ELNS1_3gpuE2ELNS1_3repE0EEENS1_30default_config_static_selectorELNS0_4arch9wavefront6targetE0EEEvS13_,@function
_ZN7rocprim17ROCPRIM_400000_NS6detail17trampoline_kernelINS0_13select_configILj256ELj13ELNS0_17block_load_methodE3ELS4_3ELS4_3ELNS0_20block_scan_algorithmE0ELj4294967295EEENS1_25partition_config_selectorILNS1_17partition_subalgoE4EjNS0_10empty_typeEbEEZZNS1_14partition_implILS8_4ELb0ES6_15HIP_vector_typeIjLj2EENS0_17counting_iteratorIjlEEPS9_SG_NS0_5tupleIJPjSI_NS0_16reverse_iteratorISI_EEEEENSH_IJSG_SG_SG_EEES9_SI_JZNS1_25segmented_radix_sort_implINS0_14default_configELb1EPK6__halfPSP_PKlPlN2at6native12_GLOBAL__N_18offset_tEEE10hipError_tPvRmT1_PNSt15iterator_traitsIS13_E10value_typeET2_T3_PNS14_IS19_E10value_typeET4_jRbjT5_S1F_jjP12ihipStream_tbEUljE_ZNSN_ISO_Lb1ESR_SS_SU_SV_SZ_EES10_S11_S12_S13_S17_S18_S19_S1C_S1D_jS1E_jS1F_S1F_jjS1H_bEUljE0_EEES10_S11_S12_S19_S1D_S1F_T6_T7_T9_mT8_S1H_bDpT10_ENKUlT_T0_E_clISt17integral_constantIbLb1EES1V_EEDaS1Q_S1R_EUlS1Q_E_NS1_11comp_targetILNS1_3genE8ELNS1_11target_archE1030ELNS1_3gpuE2ELNS1_3repE0EEENS1_30default_config_static_selectorELNS0_4arch9wavefront6targetE0EEEvS13_: ; @_ZN7rocprim17ROCPRIM_400000_NS6detail17trampoline_kernelINS0_13select_configILj256ELj13ELNS0_17block_load_methodE3ELS4_3ELS4_3ELNS0_20block_scan_algorithmE0ELj4294967295EEENS1_25partition_config_selectorILNS1_17partition_subalgoE4EjNS0_10empty_typeEbEEZZNS1_14partition_implILS8_4ELb0ES6_15HIP_vector_typeIjLj2EENS0_17counting_iteratorIjlEEPS9_SG_NS0_5tupleIJPjSI_NS0_16reverse_iteratorISI_EEEEENSH_IJSG_SG_SG_EEES9_SI_JZNS1_25segmented_radix_sort_implINS0_14default_configELb1EPK6__halfPSP_PKlPlN2at6native12_GLOBAL__N_18offset_tEEE10hipError_tPvRmT1_PNSt15iterator_traitsIS13_E10value_typeET2_T3_PNS14_IS19_E10value_typeET4_jRbjT5_S1F_jjP12ihipStream_tbEUljE_ZNSN_ISO_Lb1ESR_SS_SU_SV_SZ_EES10_S11_S12_S13_S17_S18_S19_S1C_S1D_jS1E_jS1F_S1F_jjS1H_bEUljE0_EEES10_S11_S12_S19_S1D_S1F_T6_T7_T9_mT8_S1H_bDpT10_ENKUlT_T0_E_clISt17integral_constantIbLb1EES1V_EEDaS1Q_S1R_EUlS1Q_E_NS1_11comp_targetILNS1_3genE8ELNS1_11target_archE1030ELNS1_3gpuE2ELNS1_3repE0EEENS1_30default_config_static_selectorELNS0_4arch9wavefront6targetE0EEEvS13_
; %bb.0:
	.section	.rodata,"a",@progbits
	.p2align	6, 0x0
	.amdhsa_kernel _ZN7rocprim17ROCPRIM_400000_NS6detail17trampoline_kernelINS0_13select_configILj256ELj13ELNS0_17block_load_methodE3ELS4_3ELS4_3ELNS0_20block_scan_algorithmE0ELj4294967295EEENS1_25partition_config_selectorILNS1_17partition_subalgoE4EjNS0_10empty_typeEbEEZZNS1_14partition_implILS8_4ELb0ES6_15HIP_vector_typeIjLj2EENS0_17counting_iteratorIjlEEPS9_SG_NS0_5tupleIJPjSI_NS0_16reverse_iteratorISI_EEEEENSH_IJSG_SG_SG_EEES9_SI_JZNS1_25segmented_radix_sort_implINS0_14default_configELb1EPK6__halfPSP_PKlPlN2at6native12_GLOBAL__N_18offset_tEEE10hipError_tPvRmT1_PNSt15iterator_traitsIS13_E10value_typeET2_T3_PNS14_IS19_E10value_typeET4_jRbjT5_S1F_jjP12ihipStream_tbEUljE_ZNSN_ISO_Lb1ESR_SS_SU_SV_SZ_EES10_S11_S12_S13_S17_S18_S19_S1C_S1D_jS1E_jS1F_S1F_jjS1H_bEUljE0_EEES10_S11_S12_S19_S1D_S1F_T6_T7_T9_mT8_S1H_bDpT10_ENKUlT_T0_E_clISt17integral_constantIbLb1EES1V_EEDaS1Q_S1R_EUlS1Q_E_NS1_11comp_targetILNS1_3genE8ELNS1_11target_archE1030ELNS1_3gpuE2ELNS1_3repE0EEENS1_30default_config_static_selectorELNS0_4arch9wavefront6targetE0EEEvS13_
		.amdhsa_group_segment_fixed_size 0
		.amdhsa_private_segment_fixed_size 0
		.amdhsa_kernarg_size 184
		.amdhsa_user_sgpr_count 2
		.amdhsa_user_sgpr_dispatch_ptr 0
		.amdhsa_user_sgpr_queue_ptr 0
		.amdhsa_user_sgpr_kernarg_segment_ptr 1
		.amdhsa_user_sgpr_dispatch_id 0
		.amdhsa_user_sgpr_kernarg_preload_length 0
		.amdhsa_user_sgpr_kernarg_preload_offset 0
		.amdhsa_user_sgpr_private_segment_size 0
		.amdhsa_wavefront_size32 1
		.amdhsa_uses_dynamic_stack 0
		.amdhsa_enable_private_segment 0
		.amdhsa_system_sgpr_workgroup_id_x 1
		.amdhsa_system_sgpr_workgroup_id_y 0
		.amdhsa_system_sgpr_workgroup_id_z 0
		.amdhsa_system_sgpr_workgroup_info 0
		.amdhsa_system_vgpr_workitem_id 0
		.amdhsa_next_free_vgpr 1
		.amdhsa_next_free_sgpr 1
		.amdhsa_named_barrier_count 0
		.amdhsa_reserve_vcc 0
		.amdhsa_float_round_mode_32 0
		.amdhsa_float_round_mode_16_64 0
		.amdhsa_float_denorm_mode_32 3
		.amdhsa_float_denorm_mode_16_64 3
		.amdhsa_fp16_overflow 0
		.amdhsa_memory_ordered 1
		.amdhsa_forward_progress 1
		.amdhsa_inst_pref_size 0
		.amdhsa_round_robin_scheduling 0
		.amdhsa_exception_fp_ieee_invalid_op 0
		.amdhsa_exception_fp_denorm_src 0
		.amdhsa_exception_fp_ieee_div_zero 0
		.amdhsa_exception_fp_ieee_overflow 0
		.amdhsa_exception_fp_ieee_underflow 0
		.amdhsa_exception_fp_ieee_inexact 0
		.amdhsa_exception_int_div_zero 0
	.end_amdhsa_kernel
	.section	.text._ZN7rocprim17ROCPRIM_400000_NS6detail17trampoline_kernelINS0_13select_configILj256ELj13ELNS0_17block_load_methodE3ELS4_3ELS4_3ELNS0_20block_scan_algorithmE0ELj4294967295EEENS1_25partition_config_selectorILNS1_17partition_subalgoE4EjNS0_10empty_typeEbEEZZNS1_14partition_implILS8_4ELb0ES6_15HIP_vector_typeIjLj2EENS0_17counting_iteratorIjlEEPS9_SG_NS0_5tupleIJPjSI_NS0_16reverse_iteratorISI_EEEEENSH_IJSG_SG_SG_EEES9_SI_JZNS1_25segmented_radix_sort_implINS0_14default_configELb1EPK6__halfPSP_PKlPlN2at6native12_GLOBAL__N_18offset_tEEE10hipError_tPvRmT1_PNSt15iterator_traitsIS13_E10value_typeET2_T3_PNS14_IS19_E10value_typeET4_jRbjT5_S1F_jjP12ihipStream_tbEUljE_ZNSN_ISO_Lb1ESR_SS_SU_SV_SZ_EES10_S11_S12_S13_S17_S18_S19_S1C_S1D_jS1E_jS1F_S1F_jjS1H_bEUljE0_EEES10_S11_S12_S19_S1D_S1F_T6_T7_T9_mT8_S1H_bDpT10_ENKUlT_T0_E_clISt17integral_constantIbLb1EES1V_EEDaS1Q_S1R_EUlS1Q_E_NS1_11comp_targetILNS1_3genE8ELNS1_11target_archE1030ELNS1_3gpuE2ELNS1_3repE0EEENS1_30default_config_static_selectorELNS0_4arch9wavefront6targetE0EEEvS13_,"axG",@progbits,_ZN7rocprim17ROCPRIM_400000_NS6detail17trampoline_kernelINS0_13select_configILj256ELj13ELNS0_17block_load_methodE3ELS4_3ELS4_3ELNS0_20block_scan_algorithmE0ELj4294967295EEENS1_25partition_config_selectorILNS1_17partition_subalgoE4EjNS0_10empty_typeEbEEZZNS1_14partition_implILS8_4ELb0ES6_15HIP_vector_typeIjLj2EENS0_17counting_iteratorIjlEEPS9_SG_NS0_5tupleIJPjSI_NS0_16reverse_iteratorISI_EEEEENSH_IJSG_SG_SG_EEES9_SI_JZNS1_25segmented_radix_sort_implINS0_14default_configELb1EPK6__halfPSP_PKlPlN2at6native12_GLOBAL__N_18offset_tEEE10hipError_tPvRmT1_PNSt15iterator_traitsIS13_E10value_typeET2_T3_PNS14_IS19_E10value_typeET4_jRbjT5_S1F_jjP12ihipStream_tbEUljE_ZNSN_ISO_Lb1ESR_SS_SU_SV_SZ_EES10_S11_S12_S13_S17_S18_S19_S1C_S1D_jS1E_jS1F_S1F_jjS1H_bEUljE0_EEES10_S11_S12_S19_S1D_S1F_T6_T7_T9_mT8_S1H_bDpT10_ENKUlT_T0_E_clISt17integral_constantIbLb1EES1V_EEDaS1Q_S1R_EUlS1Q_E_NS1_11comp_targetILNS1_3genE8ELNS1_11target_archE1030ELNS1_3gpuE2ELNS1_3repE0EEENS1_30default_config_static_selectorELNS0_4arch9wavefront6targetE0EEEvS13_,comdat
.Lfunc_end1680:
	.size	_ZN7rocprim17ROCPRIM_400000_NS6detail17trampoline_kernelINS0_13select_configILj256ELj13ELNS0_17block_load_methodE3ELS4_3ELS4_3ELNS0_20block_scan_algorithmE0ELj4294967295EEENS1_25partition_config_selectorILNS1_17partition_subalgoE4EjNS0_10empty_typeEbEEZZNS1_14partition_implILS8_4ELb0ES6_15HIP_vector_typeIjLj2EENS0_17counting_iteratorIjlEEPS9_SG_NS0_5tupleIJPjSI_NS0_16reverse_iteratorISI_EEEEENSH_IJSG_SG_SG_EEES9_SI_JZNS1_25segmented_radix_sort_implINS0_14default_configELb1EPK6__halfPSP_PKlPlN2at6native12_GLOBAL__N_18offset_tEEE10hipError_tPvRmT1_PNSt15iterator_traitsIS13_E10value_typeET2_T3_PNS14_IS19_E10value_typeET4_jRbjT5_S1F_jjP12ihipStream_tbEUljE_ZNSN_ISO_Lb1ESR_SS_SU_SV_SZ_EES10_S11_S12_S13_S17_S18_S19_S1C_S1D_jS1E_jS1F_S1F_jjS1H_bEUljE0_EEES10_S11_S12_S19_S1D_S1F_T6_T7_T9_mT8_S1H_bDpT10_ENKUlT_T0_E_clISt17integral_constantIbLb1EES1V_EEDaS1Q_S1R_EUlS1Q_E_NS1_11comp_targetILNS1_3genE8ELNS1_11target_archE1030ELNS1_3gpuE2ELNS1_3repE0EEENS1_30default_config_static_selectorELNS0_4arch9wavefront6targetE0EEEvS13_, .Lfunc_end1680-_ZN7rocprim17ROCPRIM_400000_NS6detail17trampoline_kernelINS0_13select_configILj256ELj13ELNS0_17block_load_methodE3ELS4_3ELS4_3ELNS0_20block_scan_algorithmE0ELj4294967295EEENS1_25partition_config_selectorILNS1_17partition_subalgoE4EjNS0_10empty_typeEbEEZZNS1_14partition_implILS8_4ELb0ES6_15HIP_vector_typeIjLj2EENS0_17counting_iteratorIjlEEPS9_SG_NS0_5tupleIJPjSI_NS0_16reverse_iteratorISI_EEEEENSH_IJSG_SG_SG_EEES9_SI_JZNS1_25segmented_radix_sort_implINS0_14default_configELb1EPK6__halfPSP_PKlPlN2at6native12_GLOBAL__N_18offset_tEEE10hipError_tPvRmT1_PNSt15iterator_traitsIS13_E10value_typeET2_T3_PNS14_IS19_E10value_typeET4_jRbjT5_S1F_jjP12ihipStream_tbEUljE_ZNSN_ISO_Lb1ESR_SS_SU_SV_SZ_EES10_S11_S12_S13_S17_S18_S19_S1C_S1D_jS1E_jS1F_S1F_jjS1H_bEUljE0_EEES10_S11_S12_S19_S1D_S1F_T6_T7_T9_mT8_S1H_bDpT10_ENKUlT_T0_E_clISt17integral_constantIbLb1EES1V_EEDaS1Q_S1R_EUlS1Q_E_NS1_11comp_targetILNS1_3genE8ELNS1_11target_archE1030ELNS1_3gpuE2ELNS1_3repE0EEENS1_30default_config_static_selectorELNS0_4arch9wavefront6targetE0EEEvS13_
                                        ; -- End function
	.set _ZN7rocprim17ROCPRIM_400000_NS6detail17trampoline_kernelINS0_13select_configILj256ELj13ELNS0_17block_load_methodE3ELS4_3ELS4_3ELNS0_20block_scan_algorithmE0ELj4294967295EEENS1_25partition_config_selectorILNS1_17partition_subalgoE4EjNS0_10empty_typeEbEEZZNS1_14partition_implILS8_4ELb0ES6_15HIP_vector_typeIjLj2EENS0_17counting_iteratorIjlEEPS9_SG_NS0_5tupleIJPjSI_NS0_16reverse_iteratorISI_EEEEENSH_IJSG_SG_SG_EEES9_SI_JZNS1_25segmented_radix_sort_implINS0_14default_configELb1EPK6__halfPSP_PKlPlN2at6native12_GLOBAL__N_18offset_tEEE10hipError_tPvRmT1_PNSt15iterator_traitsIS13_E10value_typeET2_T3_PNS14_IS19_E10value_typeET4_jRbjT5_S1F_jjP12ihipStream_tbEUljE_ZNSN_ISO_Lb1ESR_SS_SU_SV_SZ_EES10_S11_S12_S13_S17_S18_S19_S1C_S1D_jS1E_jS1F_S1F_jjS1H_bEUljE0_EEES10_S11_S12_S19_S1D_S1F_T6_T7_T9_mT8_S1H_bDpT10_ENKUlT_T0_E_clISt17integral_constantIbLb1EES1V_EEDaS1Q_S1R_EUlS1Q_E_NS1_11comp_targetILNS1_3genE8ELNS1_11target_archE1030ELNS1_3gpuE2ELNS1_3repE0EEENS1_30default_config_static_selectorELNS0_4arch9wavefront6targetE0EEEvS13_.num_vgpr, 0
	.set _ZN7rocprim17ROCPRIM_400000_NS6detail17trampoline_kernelINS0_13select_configILj256ELj13ELNS0_17block_load_methodE3ELS4_3ELS4_3ELNS0_20block_scan_algorithmE0ELj4294967295EEENS1_25partition_config_selectorILNS1_17partition_subalgoE4EjNS0_10empty_typeEbEEZZNS1_14partition_implILS8_4ELb0ES6_15HIP_vector_typeIjLj2EENS0_17counting_iteratorIjlEEPS9_SG_NS0_5tupleIJPjSI_NS0_16reverse_iteratorISI_EEEEENSH_IJSG_SG_SG_EEES9_SI_JZNS1_25segmented_radix_sort_implINS0_14default_configELb1EPK6__halfPSP_PKlPlN2at6native12_GLOBAL__N_18offset_tEEE10hipError_tPvRmT1_PNSt15iterator_traitsIS13_E10value_typeET2_T3_PNS14_IS19_E10value_typeET4_jRbjT5_S1F_jjP12ihipStream_tbEUljE_ZNSN_ISO_Lb1ESR_SS_SU_SV_SZ_EES10_S11_S12_S13_S17_S18_S19_S1C_S1D_jS1E_jS1F_S1F_jjS1H_bEUljE0_EEES10_S11_S12_S19_S1D_S1F_T6_T7_T9_mT8_S1H_bDpT10_ENKUlT_T0_E_clISt17integral_constantIbLb1EES1V_EEDaS1Q_S1R_EUlS1Q_E_NS1_11comp_targetILNS1_3genE8ELNS1_11target_archE1030ELNS1_3gpuE2ELNS1_3repE0EEENS1_30default_config_static_selectorELNS0_4arch9wavefront6targetE0EEEvS13_.num_agpr, 0
	.set _ZN7rocprim17ROCPRIM_400000_NS6detail17trampoline_kernelINS0_13select_configILj256ELj13ELNS0_17block_load_methodE3ELS4_3ELS4_3ELNS0_20block_scan_algorithmE0ELj4294967295EEENS1_25partition_config_selectorILNS1_17partition_subalgoE4EjNS0_10empty_typeEbEEZZNS1_14partition_implILS8_4ELb0ES6_15HIP_vector_typeIjLj2EENS0_17counting_iteratorIjlEEPS9_SG_NS0_5tupleIJPjSI_NS0_16reverse_iteratorISI_EEEEENSH_IJSG_SG_SG_EEES9_SI_JZNS1_25segmented_radix_sort_implINS0_14default_configELb1EPK6__halfPSP_PKlPlN2at6native12_GLOBAL__N_18offset_tEEE10hipError_tPvRmT1_PNSt15iterator_traitsIS13_E10value_typeET2_T3_PNS14_IS19_E10value_typeET4_jRbjT5_S1F_jjP12ihipStream_tbEUljE_ZNSN_ISO_Lb1ESR_SS_SU_SV_SZ_EES10_S11_S12_S13_S17_S18_S19_S1C_S1D_jS1E_jS1F_S1F_jjS1H_bEUljE0_EEES10_S11_S12_S19_S1D_S1F_T6_T7_T9_mT8_S1H_bDpT10_ENKUlT_T0_E_clISt17integral_constantIbLb1EES1V_EEDaS1Q_S1R_EUlS1Q_E_NS1_11comp_targetILNS1_3genE8ELNS1_11target_archE1030ELNS1_3gpuE2ELNS1_3repE0EEENS1_30default_config_static_selectorELNS0_4arch9wavefront6targetE0EEEvS13_.numbered_sgpr, 0
	.set _ZN7rocprim17ROCPRIM_400000_NS6detail17trampoline_kernelINS0_13select_configILj256ELj13ELNS0_17block_load_methodE3ELS4_3ELS4_3ELNS0_20block_scan_algorithmE0ELj4294967295EEENS1_25partition_config_selectorILNS1_17partition_subalgoE4EjNS0_10empty_typeEbEEZZNS1_14partition_implILS8_4ELb0ES6_15HIP_vector_typeIjLj2EENS0_17counting_iteratorIjlEEPS9_SG_NS0_5tupleIJPjSI_NS0_16reverse_iteratorISI_EEEEENSH_IJSG_SG_SG_EEES9_SI_JZNS1_25segmented_radix_sort_implINS0_14default_configELb1EPK6__halfPSP_PKlPlN2at6native12_GLOBAL__N_18offset_tEEE10hipError_tPvRmT1_PNSt15iterator_traitsIS13_E10value_typeET2_T3_PNS14_IS19_E10value_typeET4_jRbjT5_S1F_jjP12ihipStream_tbEUljE_ZNSN_ISO_Lb1ESR_SS_SU_SV_SZ_EES10_S11_S12_S13_S17_S18_S19_S1C_S1D_jS1E_jS1F_S1F_jjS1H_bEUljE0_EEES10_S11_S12_S19_S1D_S1F_T6_T7_T9_mT8_S1H_bDpT10_ENKUlT_T0_E_clISt17integral_constantIbLb1EES1V_EEDaS1Q_S1R_EUlS1Q_E_NS1_11comp_targetILNS1_3genE8ELNS1_11target_archE1030ELNS1_3gpuE2ELNS1_3repE0EEENS1_30default_config_static_selectorELNS0_4arch9wavefront6targetE0EEEvS13_.num_named_barrier, 0
	.set _ZN7rocprim17ROCPRIM_400000_NS6detail17trampoline_kernelINS0_13select_configILj256ELj13ELNS0_17block_load_methodE3ELS4_3ELS4_3ELNS0_20block_scan_algorithmE0ELj4294967295EEENS1_25partition_config_selectorILNS1_17partition_subalgoE4EjNS0_10empty_typeEbEEZZNS1_14partition_implILS8_4ELb0ES6_15HIP_vector_typeIjLj2EENS0_17counting_iteratorIjlEEPS9_SG_NS0_5tupleIJPjSI_NS0_16reverse_iteratorISI_EEEEENSH_IJSG_SG_SG_EEES9_SI_JZNS1_25segmented_radix_sort_implINS0_14default_configELb1EPK6__halfPSP_PKlPlN2at6native12_GLOBAL__N_18offset_tEEE10hipError_tPvRmT1_PNSt15iterator_traitsIS13_E10value_typeET2_T3_PNS14_IS19_E10value_typeET4_jRbjT5_S1F_jjP12ihipStream_tbEUljE_ZNSN_ISO_Lb1ESR_SS_SU_SV_SZ_EES10_S11_S12_S13_S17_S18_S19_S1C_S1D_jS1E_jS1F_S1F_jjS1H_bEUljE0_EEES10_S11_S12_S19_S1D_S1F_T6_T7_T9_mT8_S1H_bDpT10_ENKUlT_T0_E_clISt17integral_constantIbLb1EES1V_EEDaS1Q_S1R_EUlS1Q_E_NS1_11comp_targetILNS1_3genE8ELNS1_11target_archE1030ELNS1_3gpuE2ELNS1_3repE0EEENS1_30default_config_static_selectorELNS0_4arch9wavefront6targetE0EEEvS13_.private_seg_size, 0
	.set _ZN7rocprim17ROCPRIM_400000_NS6detail17trampoline_kernelINS0_13select_configILj256ELj13ELNS0_17block_load_methodE3ELS4_3ELS4_3ELNS0_20block_scan_algorithmE0ELj4294967295EEENS1_25partition_config_selectorILNS1_17partition_subalgoE4EjNS0_10empty_typeEbEEZZNS1_14partition_implILS8_4ELb0ES6_15HIP_vector_typeIjLj2EENS0_17counting_iteratorIjlEEPS9_SG_NS0_5tupleIJPjSI_NS0_16reverse_iteratorISI_EEEEENSH_IJSG_SG_SG_EEES9_SI_JZNS1_25segmented_radix_sort_implINS0_14default_configELb1EPK6__halfPSP_PKlPlN2at6native12_GLOBAL__N_18offset_tEEE10hipError_tPvRmT1_PNSt15iterator_traitsIS13_E10value_typeET2_T3_PNS14_IS19_E10value_typeET4_jRbjT5_S1F_jjP12ihipStream_tbEUljE_ZNSN_ISO_Lb1ESR_SS_SU_SV_SZ_EES10_S11_S12_S13_S17_S18_S19_S1C_S1D_jS1E_jS1F_S1F_jjS1H_bEUljE0_EEES10_S11_S12_S19_S1D_S1F_T6_T7_T9_mT8_S1H_bDpT10_ENKUlT_T0_E_clISt17integral_constantIbLb1EES1V_EEDaS1Q_S1R_EUlS1Q_E_NS1_11comp_targetILNS1_3genE8ELNS1_11target_archE1030ELNS1_3gpuE2ELNS1_3repE0EEENS1_30default_config_static_selectorELNS0_4arch9wavefront6targetE0EEEvS13_.uses_vcc, 0
	.set _ZN7rocprim17ROCPRIM_400000_NS6detail17trampoline_kernelINS0_13select_configILj256ELj13ELNS0_17block_load_methodE3ELS4_3ELS4_3ELNS0_20block_scan_algorithmE0ELj4294967295EEENS1_25partition_config_selectorILNS1_17partition_subalgoE4EjNS0_10empty_typeEbEEZZNS1_14partition_implILS8_4ELb0ES6_15HIP_vector_typeIjLj2EENS0_17counting_iteratorIjlEEPS9_SG_NS0_5tupleIJPjSI_NS0_16reverse_iteratorISI_EEEEENSH_IJSG_SG_SG_EEES9_SI_JZNS1_25segmented_radix_sort_implINS0_14default_configELb1EPK6__halfPSP_PKlPlN2at6native12_GLOBAL__N_18offset_tEEE10hipError_tPvRmT1_PNSt15iterator_traitsIS13_E10value_typeET2_T3_PNS14_IS19_E10value_typeET4_jRbjT5_S1F_jjP12ihipStream_tbEUljE_ZNSN_ISO_Lb1ESR_SS_SU_SV_SZ_EES10_S11_S12_S13_S17_S18_S19_S1C_S1D_jS1E_jS1F_S1F_jjS1H_bEUljE0_EEES10_S11_S12_S19_S1D_S1F_T6_T7_T9_mT8_S1H_bDpT10_ENKUlT_T0_E_clISt17integral_constantIbLb1EES1V_EEDaS1Q_S1R_EUlS1Q_E_NS1_11comp_targetILNS1_3genE8ELNS1_11target_archE1030ELNS1_3gpuE2ELNS1_3repE0EEENS1_30default_config_static_selectorELNS0_4arch9wavefront6targetE0EEEvS13_.uses_flat_scratch, 0
	.set _ZN7rocprim17ROCPRIM_400000_NS6detail17trampoline_kernelINS0_13select_configILj256ELj13ELNS0_17block_load_methodE3ELS4_3ELS4_3ELNS0_20block_scan_algorithmE0ELj4294967295EEENS1_25partition_config_selectorILNS1_17partition_subalgoE4EjNS0_10empty_typeEbEEZZNS1_14partition_implILS8_4ELb0ES6_15HIP_vector_typeIjLj2EENS0_17counting_iteratorIjlEEPS9_SG_NS0_5tupleIJPjSI_NS0_16reverse_iteratorISI_EEEEENSH_IJSG_SG_SG_EEES9_SI_JZNS1_25segmented_radix_sort_implINS0_14default_configELb1EPK6__halfPSP_PKlPlN2at6native12_GLOBAL__N_18offset_tEEE10hipError_tPvRmT1_PNSt15iterator_traitsIS13_E10value_typeET2_T3_PNS14_IS19_E10value_typeET4_jRbjT5_S1F_jjP12ihipStream_tbEUljE_ZNSN_ISO_Lb1ESR_SS_SU_SV_SZ_EES10_S11_S12_S13_S17_S18_S19_S1C_S1D_jS1E_jS1F_S1F_jjS1H_bEUljE0_EEES10_S11_S12_S19_S1D_S1F_T6_T7_T9_mT8_S1H_bDpT10_ENKUlT_T0_E_clISt17integral_constantIbLb1EES1V_EEDaS1Q_S1R_EUlS1Q_E_NS1_11comp_targetILNS1_3genE8ELNS1_11target_archE1030ELNS1_3gpuE2ELNS1_3repE0EEENS1_30default_config_static_selectorELNS0_4arch9wavefront6targetE0EEEvS13_.has_dyn_sized_stack, 0
	.set _ZN7rocprim17ROCPRIM_400000_NS6detail17trampoline_kernelINS0_13select_configILj256ELj13ELNS0_17block_load_methodE3ELS4_3ELS4_3ELNS0_20block_scan_algorithmE0ELj4294967295EEENS1_25partition_config_selectorILNS1_17partition_subalgoE4EjNS0_10empty_typeEbEEZZNS1_14partition_implILS8_4ELb0ES6_15HIP_vector_typeIjLj2EENS0_17counting_iteratorIjlEEPS9_SG_NS0_5tupleIJPjSI_NS0_16reverse_iteratorISI_EEEEENSH_IJSG_SG_SG_EEES9_SI_JZNS1_25segmented_radix_sort_implINS0_14default_configELb1EPK6__halfPSP_PKlPlN2at6native12_GLOBAL__N_18offset_tEEE10hipError_tPvRmT1_PNSt15iterator_traitsIS13_E10value_typeET2_T3_PNS14_IS19_E10value_typeET4_jRbjT5_S1F_jjP12ihipStream_tbEUljE_ZNSN_ISO_Lb1ESR_SS_SU_SV_SZ_EES10_S11_S12_S13_S17_S18_S19_S1C_S1D_jS1E_jS1F_S1F_jjS1H_bEUljE0_EEES10_S11_S12_S19_S1D_S1F_T6_T7_T9_mT8_S1H_bDpT10_ENKUlT_T0_E_clISt17integral_constantIbLb1EES1V_EEDaS1Q_S1R_EUlS1Q_E_NS1_11comp_targetILNS1_3genE8ELNS1_11target_archE1030ELNS1_3gpuE2ELNS1_3repE0EEENS1_30default_config_static_selectorELNS0_4arch9wavefront6targetE0EEEvS13_.has_recursion, 0
	.set _ZN7rocprim17ROCPRIM_400000_NS6detail17trampoline_kernelINS0_13select_configILj256ELj13ELNS0_17block_load_methodE3ELS4_3ELS4_3ELNS0_20block_scan_algorithmE0ELj4294967295EEENS1_25partition_config_selectorILNS1_17partition_subalgoE4EjNS0_10empty_typeEbEEZZNS1_14partition_implILS8_4ELb0ES6_15HIP_vector_typeIjLj2EENS0_17counting_iteratorIjlEEPS9_SG_NS0_5tupleIJPjSI_NS0_16reverse_iteratorISI_EEEEENSH_IJSG_SG_SG_EEES9_SI_JZNS1_25segmented_radix_sort_implINS0_14default_configELb1EPK6__halfPSP_PKlPlN2at6native12_GLOBAL__N_18offset_tEEE10hipError_tPvRmT1_PNSt15iterator_traitsIS13_E10value_typeET2_T3_PNS14_IS19_E10value_typeET4_jRbjT5_S1F_jjP12ihipStream_tbEUljE_ZNSN_ISO_Lb1ESR_SS_SU_SV_SZ_EES10_S11_S12_S13_S17_S18_S19_S1C_S1D_jS1E_jS1F_S1F_jjS1H_bEUljE0_EEES10_S11_S12_S19_S1D_S1F_T6_T7_T9_mT8_S1H_bDpT10_ENKUlT_T0_E_clISt17integral_constantIbLb1EES1V_EEDaS1Q_S1R_EUlS1Q_E_NS1_11comp_targetILNS1_3genE8ELNS1_11target_archE1030ELNS1_3gpuE2ELNS1_3repE0EEENS1_30default_config_static_selectorELNS0_4arch9wavefront6targetE0EEEvS13_.has_indirect_call, 0
	.section	.AMDGPU.csdata,"",@progbits
; Kernel info:
; codeLenInByte = 0
; TotalNumSgprs: 0
; NumVgprs: 0
; ScratchSize: 0
; MemoryBound: 0
; FloatMode: 240
; IeeeMode: 1
; LDSByteSize: 0 bytes/workgroup (compile time only)
; SGPRBlocks: 0
; VGPRBlocks: 0
; NumSGPRsForWavesPerEU: 1
; NumVGPRsForWavesPerEU: 1
; NamedBarCnt: 0
; Occupancy: 16
; WaveLimiterHint : 0
; COMPUTE_PGM_RSRC2:SCRATCH_EN: 0
; COMPUTE_PGM_RSRC2:USER_SGPR: 2
; COMPUTE_PGM_RSRC2:TRAP_HANDLER: 0
; COMPUTE_PGM_RSRC2:TGID_X_EN: 1
; COMPUTE_PGM_RSRC2:TGID_Y_EN: 0
; COMPUTE_PGM_RSRC2:TGID_Z_EN: 0
; COMPUTE_PGM_RSRC2:TIDIG_COMP_CNT: 0
	.section	.text._ZN7rocprim17ROCPRIM_400000_NS6detail17trampoline_kernelINS0_13select_configILj256ELj13ELNS0_17block_load_methodE3ELS4_3ELS4_3ELNS0_20block_scan_algorithmE0ELj4294967295EEENS1_25partition_config_selectorILNS1_17partition_subalgoE4EjNS0_10empty_typeEbEEZZNS1_14partition_implILS8_4ELb0ES6_15HIP_vector_typeIjLj2EENS0_17counting_iteratorIjlEEPS9_SG_NS0_5tupleIJPjSI_NS0_16reverse_iteratorISI_EEEEENSH_IJSG_SG_SG_EEES9_SI_JZNS1_25segmented_radix_sort_implINS0_14default_configELb1EPK6__halfPSP_PKlPlN2at6native12_GLOBAL__N_18offset_tEEE10hipError_tPvRmT1_PNSt15iterator_traitsIS13_E10value_typeET2_T3_PNS14_IS19_E10value_typeET4_jRbjT5_S1F_jjP12ihipStream_tbEUljE_ZNSN_ISO_Lb1ESR_SS_SU_SV_SZ_EES10_S11_S12_S13_S17_S18_S19_S1C_S1D_jS1E_jS1F_S1F_jjS1H_bEUljE0_EEES10_S11_S12_S19_S1D_S1F_T6_T7_T9_mT8_S1H_bDpT10_ENKUlT_T0_E_clISt17integral_constantIbLb1EES1U_IbLb0EEEEDaS1Q_S1R_EUlS1Q_E_NS1_11comp_targetILNS1_3genE0ELNS1_11target_archE4294967295ELNS1_3gpuE0ELNS1_3repE0EEENS1_30default_config_static_selectorELNS0_4arch9wavefront6targetE0EEEvS13_,"axG",@progbits,_ZN7rocprim17ROCPRIM_400000_NS6detail17trampoline_kernelINS0_13select_configILj256ELj13ELNS0_17block_load_methodE3ELS4_3ELS4_3ELNS0_20block_scan_algorithmE0ELj4294967295EEENS1_25partition_config_selectorILNS1_17partition_subalgoE4EjNS0_10empty_typeEbEEZZNS1_14partition_implILS8_4ELb0ES6_15HIP_vector_typeIjLj2EENS0_17counting_iteratorIjlEEPS9_SG_NS0_5tupleIJPjSI_NS0_16reverse_iteratorISI_EEEEENSH_IJSG_SG_SG_EEES9_SI_JZNS1_25segmented_radix_sort_implINS0_14default_configELb1EPK6__halfPSP_PKlPlN2at6native12_GLOBAL__N_18offset_tEEE10hipError_tPvRmT1_PNSt15iterator_traitsIS13_E10value_typeET2_T3_PNS14_IS19_E10value_typeET4_jRbjT5_S1F_jjP12ihipStream_tbEUljE_ZNSN_ISO_Lb1ESR_SS_SU_SV_SZ_EES10_S11_S12_S13_S17_S18_S19_S1C_S1D_jS1E_jS1F_S1F_jjS1H_bEUljE0_EEES10_S11_S12_S19_S1D_S1F_T6_T7_T9_mT8_S1H_bDpT10_ENKUlT_T0_E_clISt17integral_constantIbLb1EES1U_IbLb0EEEEDaS1Q_S1R_EUlS1Q_E_NS1_11comp_targetILNS1_3genE0ELNS1_11target_archE4294967295ELNS1_3gpuE0ELNS1_3repE0EEENS1_30default_config_static_selectorELNS0_4arch9wavefront6targetE0EEEvS13_,comdat
	.globl	_ZN7rocprim17ROCPRIM_400000_NS6detail17trampoline_kernelINS0_13select_configILj256ELj13ELNS0_17block_load_methodE3ELS4_3ELS4_3ELNS0_20block_scan_algorithmE0ELj4294967295EEENS1_25partition_config_selectorILNS1_17partition_subalgoE4EjNS0_10empty_typeEbEEZZNS1_14partition_implILS8_4ELb0ES6_15HIP_vector_typeIjLj2EENS0_17counting_iteratorIjlEEPS9_SG_NS0_5tupleIJPjSI_NS0_16reverse_iteratorISI_EEEEENSH_IJSG_SG_SG_EEES9_SI_JZNS1_25segmented_radix_sort_implINS0_14default_configELb1EPK6__halfPSP_PKlPlN2at6native12_GLOBAL__N_18offset_tEEE10hipError_tPvRmT1_PNSt15iterator_traitsIS13_E10value_typeET2_T3_PNS14_IS19_E10value_typeET4_jRbjT5_S1F_jjP12ihipStream_tbEUljE_ZNSN_ISO_Lb1ESR_SS_SU_SV_SZ_EES10_S11_S12_S13_S17_S18_S19_S1C_S1D_jS1E_jS1F_S1F_jjS1H_bEUljE0_EEES10_S11_S12_S19_S1D_S1F_T6_T7_T9_mT8_S1H_bDpT10_ENKUlT_T0_E_clISt17integral_constantIbLb1EES1U_IbLb0EEEEDaS1Q_S1R_EUlS1Q_E_NS1_11comp_targetILNS1_3genE0ELNS1_11target_archE4294967295ELNS1_3gpuE0ELNS1_3repE0EEENS1_30default_config_static_selectorELNS0_4arch9wavefront6targetE0EEEvS13_ ; -- Begin function _ZN7rocprim17ROCPRIM_400000_NS6detail17trampoline_kernelINS0_13select_configILj256ELj13ELNS0_17block_load_methodE3ELS4_3ELS4_3ELNS0_20block_scan_algorithmE0ELj4294967295EEENS1_25partition_config_selectorILNS1_17partition_subalgoE4EjNS0_10empty_typeEbEEZZNS1_14partition_implILS8_4ELb0ES6_15HIP_vector_typeIjLj2EENS0_17counting_iteratorIjlEEPS9_SG_NS0_5tupleIJPjSI_NS0_16reverse_iteratorISI_EEEEENSH_IJSG_SG_SG_EEES9_SI_JZNS1_25segmented_radix_sort_implINS0_14default_configELb1EPK6__halfPSP_PKlPlN2at6native12_GLOBAL__N_18offset_tEEE10hipError_tPvRmT1_PNSt15iterator_traitsIS13_E10value_typeET2_T3_PNS14_IS19_E10value_typeET4_jRbjT5_S1F_jjP12ihipStream_tbEUljE_ZNSN_ISO_Lb1ESR_SS_SU_SV_SZ_EES10_S11_S12_S13_S17_S18_S19_S1C_S1D_jS1E_jS1F_S1F_jjS1H_bEUljE0_EEES10_S11_S12_S19_S1D_S1F_T6_T7_T9_mT8_S1H_bDpT10_ENKUlT_T0_E_clISt17integral_constantIbLb1EES1U_IbLb0EEEEDaS1Q_S1R_EUlS1Q_E_NS1_11comp_targetILNS1_3genE0ELNS1_11target_archE4294967295ELNS1_3gpuE0ELNS1_3repE0EEENS1_30default_config_static_selectorELNS0_4arch9wavefront6targetE0EEEvS13_
	.p2align	8
	.type	_ZN7rocprim17ROCPRIM_400000_NS6detail17trampoline_kernelINS0_13select_configILj256ELj13ELNS0_17block_load_methodE3ELS4_3ELS4_3ELNS0_20block_scan_algorithmE0ELj4294967295EEENS1_25partition_config_selectorILNS1_17partition_subalgoE4EjNS0_10empty_typeEbEEZZNS1_14partition_implILS8_4ELb0ES6_15HIP_vector_typeIjLj2EENS0_17counting_iteratorIjlEEPS9_SG_NS0_5tupleIJPjSI_NS0_16reverse_iteratorISI_EEEEENSH_IJSG_SG_SG_EEES9_SI_JZNS1_25segmented_radix_sort_implINS0_14default_configELb1EPK6__halfPSP_PKlPlN2at6native12_GLOBAL__N_18offset_tEEE10hipError_tPvRmT1_PNSt15iterator_traitsIS13_E10value_typeET2_T3_PNS14_IS19_E10value_typeET4_jRbjT5_S1F_jjP12ihipStream_tbEUljE_ZNSN_ISO_Lb1ESR_SS_SU_SV_SZ_EES10_S11_S12_S13_S17_S18_S19_S1C_S1D_jS1E_jS1F_S1F_jjS1H_bEUljE0_EEES10_S11_S12_S19_S1D_S1F_T6_T7_T9_mT8_S1H_bDpT10_ENKUlT_T0_E_clISt17integral_constantIbLb1EES1U_IbLb0EEEEDaS1Q_S1R_EUlS1Q_E_NS1_11comp_targetILNS1_3genE0ELNS1_11target_archE4294967295ELNS1_3gpuE0ELNS1_3repE0EEENS1_30default_config_static_selectorELNS0_4arch9wavefront6targetE0EEEvS13_,@function
_ZN7rocprim17ROCPRIM_400000_NS6detail17trampoline_kernelINS0_13select_configILj256ELj13ELNS0_17block_load_methodE3ELS4_3ELS4_3ELNS0_20block_scan_algorithmE0ELj4294967295EEENS1_25partition_config_selectorILNS1_17partition_subalgoE4EjNS0_10empty_typeEbEEZZNS1_14partition_implILS8_4ELb0ES6_15HIP_vector_typeIjLj2EENS0_17counting_iteratorIjlEEPS9_SG_NS0_5tupleIJPjSI_NS0_16reverse_iteratorISI_EEEEENSH_IJSG_SG_SG_EEES9_SI_JZNS1_25segmented_radix_sort_implINS0_14default_configELb1EPK6__halfPSP_PKlPlN2at6native12_GLOBAL__N_18offset_tEEE10hipError_tPvRmT1_PNSt15iterator_traitsIS13_E10value_typeET2_T3_PNS14_IS19_E10value_typeET4_jRbjT5_S1F_jjP12ihipStream_tbEUljE_ZNSN_ISO_Lb1ESR_SS_SU_SV_SZ_EES10_S11_S12_S13_S17_S18_S19_S1C_S1D_jS1E_jS1F_S1F_jjS1H_bEUljE0_EEES10_S11_S12_S19_S1D_S1F_T6_T7_T9_mT8_S1H_bDpT10_ENKUlT_T0_E_clISt17integral_constantIbLb1EES1U_IbLb0EEEEDaS1Q_S1R_EUlS1Q_E_NS1_11comp_targetILNS1_3genE0ELNS1_11target_archE4294967295ELNS1_3gpuE0ELNS1_3repE0EEENS1_30default_config_static_selectorELNS0_4arch9wavefront6targetE0EEEvS13_: ; @_ZN7rocprim17ROCPRIM_400000_NS6detail17trampoline_kernelINS0_13select_configILj256ELj13ELNS0_17block_load_methodE3ELS4_3ELS4_3ELNS0_20block_scan_algorithmE0ELj4294967295EEENS1_25partition_config_selectorILNS1_17partition_subalgoE4EjNS0_10empty_typeEbEEZZNS1_14partition_implILS8_4ELb0ES6_15HIP_vector_typeIjLj2EENS0_17counting_iteratorIjlEEPS9_SG_NS0_5tupleIJPjSI_NS0_16reverse_iteratorISI_EEEEENSH_IJSG_SG_SG_EEES9_SI_JZNS1_25segmented_radix_sort_implINS0_14default_configELb1EPK6__halfPSP_PKlPlN2at6native12_GLOBAL__N_18offset_tEEE10hipError_tPvRmT1_PNSt15iterator_traitsIS13_E10value_typeET2_T3_PNS14_IS19_E10value_typeET4_jRbjT5_S1F_jjP12ihipStream_tbEUljE_ZNSN_ISO_Lb1ESR_SS_SU_SV_SZ_EES10_S11_S12_S13_S17_S18_S19_S1C_S1D_jS1E_jS1F_S1F_jjS1H_bEUljE0_EEES10_S11_S12_S19_S1D_S1F_T6_T7_T9_mT8_S1H_bDpT10_ENKUlT_T0_E_clISt17integral_constantIbLb1EES1U_IbLb0EEEEDaS1Q_S1R_EUlS1Q_E_NS1_11comp_targetILNS1_3genE0ELNS1_11target_archE4294967295ELNS1_3gpuE0ELNS1_3repE0EEENS1_30default_config_static_selectorELNS0_4arch9wavefront6targetE0EEEvS13_
; %bb.0:
	s_endpgm
	.section	.rodata,"a",@progbits
	.p2align	6, 0x0
	.amdhsa_kernel _ZN7rocprim17ROCPRIM_400000_NS6detail17trampoline_kernelINS0_13select_configILj256ELj13ELNS0_17block_load_methodE3ELS4_3ELS4_3ELNS0_20block_scan_algorithmE0ELj4294967295EEENS1_25partition_config_selectorILNS1_17partition_subalgoE4EjNS0_10empty_typeEbEEZZNS1_14partition_implILS8_4ELb0ES6_15HIP_vector_typeIjLj2EENS0_17counting_iteratorIjlEEPS9_SG_NS0_5tupleIJPjSI_NS0_16reverse_iteratorISI_EEEEENSH_IJSG_SG_SG_EEES9_SI_JZNS1_25segmented_radix_sort_implINS0_14default_configELb1EPK6__halfPSP_PKlPlN2at6native12_GLOBAL__N_18offset_tEEE10hipError_tPvRmT1_PNSt15iterator_traitsIS13_E10value_typeET2_T3_PNS14_IS19_E10value_typeET4_jRbjT5_S1F_jjP12ihipStream_tbEUljE_ZNSN_ISO_Lb1ESR_SS_SU_SV_SZ_EES10_S11_S12_S13_S17_S18_S19_S1C_S1D_jS1E_jS1F_S1F_jjS1H_bEUljE0_EEES10_S11_S12_S19_S1D_S1F_T6_T7_T9_mT8_S1H_bDpT10_ENKUlT_T0_E_clISt17integral_constantIbLb1EES1U_IbLb0EEEEDaS1Q_S1R_EUlS1Q_E_NS1_11comp_targetILNS1_3genE0ELNS1_11target_archE4294967295ELNS1_3gpuE0ELNS1_3repE0EEENS1_30default_config_static_selectorELNS0_4arch9wavefront6targetE0EEEvS13_
		.amdhsa_group_segment_fixed_size 0
		.amdhsa_private_segment_fixed_size 0
		.amdhsa_kernarg_size 176
		.amdhsa_user_sgpr_count 2
		.amdhsa_user_sgpr_dispatch_ptr 0
		.amdhsa_user_sgpr_queue_ptr 0
		.amdhsa_user_sgpr_kernarg_segment_ptr 1
		.amdhsa_user_sgpr_dispatch_id 0
		.amdhsa_user_sgpr_kernarg_preload_length 0
		.amdhsa_user_sgpr_kernarg_preload_offset 0
		.amdhsa_user_sgpr_private_segment_size 0
		.amdhsa_wavefront_size32 1
		.amdhsa_uses_dynamic_stack 0
		.amdhsa_enable_private_segment 0
		.amdhsa_system_sgpr_workgroup_id_x 1
		.amdhsa_system_sgpr_workgroup_id_y 0
		.amdhsa_system_sgpr_workgroup_id_z 0
		.amdhsa_system_sgpr_workgroup_info 0
		.amdhsa_system_vgpr_workitem_id 0
		.amdhsa_next_free_vgpr 1
		.amdhsa_next_free_sgpr 1
		.amdhsa_named_barrier_count 0
		.amdhsa_reserve_vcc 0
		.amdhsa_float_round_mode_32 0
		.amdhsa_float_round_mode_16_64 0
		.amdhsa_float_denorm_mode_32 3
		.amdhsa_float_denorm_mode_16_64 3
		.amdhsa_fp16_overflow 0
		.amdhsa_memory_ordered 1
		.amdhsa_forward_progress 1
		.amdhsa_inst_pref_size 1
		.amdhsa_round_robin_scheduling 0
		.amdhsa_exception_fp_ieee_invalid_op 0
		.amdhsa_exception_fp_denorm_src 0
		.amdhsa_exception_fp_ieee_div_zero 0
		.amdhsa_exception_fp_ieee_overflow 0
		.amdhsa_exception_fp_ieee_underflow 0
		.amdhsa_exception_fp_ieee_inexact 0
		.amdhsa_exception_int_div_zero 0
	.end_amdhsa_kernel
	.section	.text._ZN7rocprim17ROCPRIM_400000_NS6detail17trampoline_kernelINS0_13select_configILj256ELj13ELNS0_17block_load_methodE3ELS4_3ELS4_3ELNS0_20block_scan_algorithmE0ELj4294967295EEENS1_25partition_config_selectorILNS1_17partition_subalgoE4EjNS0_10empty_typeEbEEZZNS1_14partition_implILS8_4ELb0ES6_15HIP_vector_typeIjLj2EENS0_17counting_iteratorIjlEEPS9_SG_NS0_5tupleIJPjSI_NS0_16reverse_iteratorISI_EEEEENSH_IJSG_SG_SG_EEES9_SI_JZNS1_25segmented_radix_sort_implINS0_14default_configELb1EPK6__halfPSP_PKlPlN2at6native12_GLOBAL__N_18offset_tEEE10hipError_tPvRmT1_PNSt15iterator_traitsIS13_E10value_typeET2_T3_PNS14_IS19_E10value_typeET4_jRbjT5_S1F_jjP12ihipStream_tbEUljE_ZNSN_ISO_Lb1ESR_SS_SU_SV_SZ_EES10_S11_S12_S13_S17_S18_S19_S1C_S1D_jS1E_jS1F_S1F_jjS1H_bEUljE0_EEES10_S11_S12_S19_S1D_S1F_T6_T7_T9_mT8_S1H_bDpT10_ENKUlT_T0_E_clISt17integral_constantIbLb1EES1U_IbLb0EEEEDaS1Q_S1R_EUlS1Q_E_NS1_11comp_targetILNS1_3genE0ELNS1_11target_archE4294967295ELNS1_3gpuE0ELNS1_3repE0EEENS1_30default_config_static_selectorELNS0_4arch9wavefront6targetE0EEEvS13_,"axG",@progbits,_ZN7rocprim17ROCPRIM_400000_NS6detail17trampoline_kernelINS0_13select_configILj256ELj13ELNS0_17block_load_methodE3ELS4_3ELS4_3ELNS0_20block_scan_algorithmE0ELj4294967295EEENS1_25partition_config_selectorILNS1_17partition_subalgoE4EjNS0_10empty_typeEbEEZZNS1_14partition_implILS8_4ELb0ES6_15HIP_vector_typeIjLj2EENS0_17counting_iteratorIjlEEPS9_SG_NS0_5tupleIJPjSI_NS0_16reverse_iteratorISI_EEEEENSH_IJSG_SG_SG_EEES9_SI_JZNS1_25segmented_radix_sort_implINS0_14default_configELb1EPK6__halfPSP_PKlPlN2at6native12_GLOBAL__N_18offset_tEEE10hipError_tPvRmT1_PNSt15iterator_traitsIS13_E10value_typeET2_T3_PNS14_IS19_E10value_typeET4_jRbjT5_S1F_jjP12ihipStream_tbEUljE_ZNSN_ISO_Lb1ESR_SS_SU_SV_SZ_EES10_S11_S12_S13_S17_S18_S19_S1C_S1D_jS1E_jS1F_S1F_jjS1H_bEUljE0_EEES10_S11_S12_S19_S1D_S1F_T6_T7_T9_mT8_S1H_bDpT10_ENKUlT_T0_E_clISt17integral_constantIbLb1EES1U_IbLb0EEEEDaS1Q_S1R_EUlS1Q_E_NS1_11comp_targetILNS1_3genE0ELNS1_11target_archE4294967295ELNS1_3gpuE0ELNS1_3repE0EEENS1_30default_config_static_selectorELNS0_4arch9wavefront6targetE0EEEvS13_,comdat
.Lfunc_end1681:
	.size	_ZN7rocprim17ROCPRIM_400000_NS6detail17trampoline_kernelINS0_13select_configILj256ELj13ELNS0_17block_load_methodE3ELS4_3ELS4_3ELNS0_20block_scan_algorithmE0ELj4294967295EEENS1_25partition_config_selectorILNS1_17partition_subalgoE4EjNS0_10empty_typeEbEEZZNS1_14partition_implILS8_4ELb0ES6_15HIP_vector_typeIjLj2EENS0_17counting_iteratorIjlEEPS9_SG_NS0_5tupleIJPjSI_NS0_16reverse_iteratorISI_EEEEENSH_IJSG_SG_SG_EEES9_SI_JZNS1_25segmented_radix_sort_implINS0_14default_configELb1EPK6__halfPSP_PKlPlN2at6native12_GLOBAL__N_18offset_tEEE10hipError_tPvRmT1_PNSt15iterator_traitsIS13_E10value_typeET2_T3_PNS14_IS19_E10value_typeET4_jRbjT5_S1F_jjP12ihipStream_tbEUljE_ZNSN_ISO_Lb1ESR_SS_SU_SV_SZ_EES10_S11_S12_S13_S17_S18_S19_S1C_S1D_jS1E_jS1F_S1F_jjS1H_bEUljE0_EEES10_S11_S12_S19_S1D_S1F_T6_T7_T9_mT8_S1H_bDpT10_ENKUlT_T0_E_clISt17integral_constantIbLb1EES1U_IbLb0EEEEDaS1Q_S1R_EUlS1Q_E_NS1_11comp_targetILNS1_3genE0ELNS1_11target_archE4294967295ELNS1_3gpuE0ELNS1_3repE0EEENS1_30default_config_static_selectorELNS0_4arch9wavefront6targetE0EEEvS13_, .Lfunc_end1681-_ZN7rocprim17ROCPRIM_400000_NS6detail17trampoline_kernelINS0_13select_configILj256ELj13ELNS0_17block_load_methodE3ELS4_3ELS4_3ELNS0_20block_scan_algorithmE0ELj4294967295EEENS1_25partition_config_selectorILNS1_17partition_subalgoE4EjNS0_10empty_typeEbEEZZNS1_14partition_implILS8_4ELb0ES6_15HIP_vector_typeIjLj2EENS0_17counting_iteratorIjlEEPS9_SG_NS0_5tupleIJPjSI_NS0_16reverse_iteratorISI_EEEEENSH_IJSG_SG_SG_EEES9_SI_JZNS1_25segmented_radix_sort_implINS0_14default_configELb1EPK6__halfPSP_PKlPlN2at6native12_GLOBAL__N_18offset_tEEE10hipError_tPvRmT1_PNSt15iterator_traitsIS13_E10value_typeET2_T3_PNS14_IS19_E10value_typeET4_jRbjT5_S1F_jjP12ihipStream_tbEUljE_ZNSN_ISO_Lb1ESR_SS_SU_SV_SZ_EES10_S11_S12_S13_S17_S18_S19_S1C_S1D_jS1E_jS1F_S1F_jjS1H_bEUljE0_EEES10_S11_S12_S19_S1D_S1F_T6_T7_T9_mT8_S1H_bDpT10_ENKUlT_T0_E_clISt17integral_constantIbLb1EES1U_IbLb0EEEEDaS1Q_S1R_EUlS1Q_E_NS1_11comp_targetILNS1_3genE0ELNS1_11target_archE4294967295ELNS1_3gpuE0ELNS1_3repE0EEENS1_30default_config_static_selectorELNS0_4arch9wavefront6targetE0EEEvS13_
                                        ; -- End function
	.set _ZN7rocprim17ROCPRIM_400000_NS6detail17trampoline_kernelINS0_13select_configILj256ELj13ELNS0_17block_load_methodE3ELS4_3ELS4_3ELNS0_20block_scan_algorithmE0ELj4294967295EEENS1_25partition_config_selectorILNS1_17partition_subalgoE4EjNS0_10empty_typeEbEEZZNS1_14partition_implILS8_4ELb0ES6_15HIP_vector_typeIjLj2EENS0_17counting_iteratorIjlEEPS9_SG_NS0_5tupleIJPjSI_NS0_16reverse_iteratorISI_EEEEENSH_IJSG_SG_SG_EEES9_SI_JZNS1_25segmented_radix_sort_implINS0_14default_configELb1EPK6__halfPSP_PKlPlN2at6native12_GLOBAL__N_18offset_tEEE10hipError_tPvRmT1_PNSt15iterator_traitsIS13_E10value_typeET2_T3_PNS14_IS19_E10value_typeET4_jRbjT5_S1F_jjP12ihipStream_tbEUljE_ZNSN_ISO_Lb1ESR_SS_SU_SV_SZ_EES10_S11_S12_S13_S17_S18_S19_S1C_S1D_jS1E_jS1F_S1F_jjS1H_bEUljE0_EEES10_S11_S12_S19_S1D_S1F_T6_T7_T9_mT8_S1H_bDpT10_ENKUlT_T0_E_clISt17integral_constantIbLb1EES1U_IbLb0EEEEDaS1Q_S1R_EUlS1Q_E_NS1_11comp_targetILNS1_3genE0ELNS1_11target_archE4294967295ELNS1_3gpuE0ELNS1_3repE0EEENS1_30default_config_static_selectorELNS0_4arch9wavefront6targetE0EEEvS13_.num_vgpr, 0
	.set _ZN7rocprim17ROCPRIM_400000_NS6detail17trampoline_kernelINS0_13select_configILj256ELj13ELNS0_17block_load_methodE3ELS4_3ELS4_3ELNS0_20block_scan_algorithmE0ELj4294967295EEENS1_25partition_config_selectorILNS1_17partition_subalgoE4EjNS0_10empty_typeEbEEZZNS1_14partition_implILS8_4ELb0ES6_15HIP_vector_typeIjLj2EENS0_17counting_iteratorIjlEEPS9_SG_NS0_5tupleIJPjSI_NS0_16reverse_iteratorISI_EEEEENSH_IJSG_SG_SG_EEES9_SI_JZNS1_25segmented_radix_sort_implINS0_14default_configELb1EPK6__halfPSP_PKlPlN2at6native12_GLOBAL__N_18offset_tEEE10hipError_tPvRmT1_PNSt15iterator_traitsIS13_E10value_typeET2_T3_PNS14_IS19_E10value_typeET4_jRbjT5_S1F_jjP12ihipStream_tbEUljE_ZNSN_ISO_Lb1ESR_SS_SU_SV_SZ_EES10_S11_S12_S13_S17_S18_S19_S1C_S1D_jS1E_jS1F_S1F_jjS1H_bEUljE0_EEES10_S11_S12_S19_S1D_S1F_T6_T7_T9_mT8_S1H_bDpT10_ENKUlT_T0_E_clISt17integral_constantIbLb1EES1U_IbLb0EEEEDaS1Q_S1R_EUlS1Q_E_NS1_11comp_targetILNS1_3genE0ELNS1_11target_archE4294967295ELNS1_3gpuE0ELNS1_3repE0EEENS1_30default_config_static_selectorELNS0_4arch9wavefront6targetE0EEEvS13_.num_agpr, 0
	.set _ZN7rocprim17ROCPRIM_400000_NS6detail17trampoline_kernelINS0_13select_configILj256ELj13ELNS0_17block_load_methodE3ELS4_3ELS4_3ELNS0_20block_scan_algorithmE0ELj4294967295EEENS1_25partition_config_selectorILNS1_17partition_subalgoE4EjNS0_10empty_typeEbEEZZNS1_14partition_implILS8_4ELb0ES6_15HIP_vector_typeIjLj2EENS0_17counting_iteratorIjlEEPS9_SG_NS0_5tupleIJPjSI_NS0_16reverse_iteratorISI_EEEEENSH_IJSG_SG_SG_EEES9_SI_JZNS1_25segmented_radix_sort_implINS0_14default_configELb1EPK6__halfPSP_PKlPlN2at6native12_GLOBAL__N_18offset_tEEE10hipError_tPvRmT1_PNSt15iterator_traitsIS13_E10value_typeET2_T3_PNS14_IS19_E10value_typeET4_jRbjT5_S1F_jjP12ihipStream_tbEUljE_ZNSN_ISO_Lb1ESR_SS_SU_SV_SZ_EES10_S11_S12_S13_S17_S18_S19_S1C_S1D_jS1E_jS1F_S1F_jjS1H_bEUljE0_EEES10_S11_S12_S19_S1D_S1F_T6_T7_T9_mT8_S1H_bDpT10_ENKUlT_T0_E_clISt17integral_constantIbLb1EES1U_IbLb0EEEEDaS1Q_S1R_EUlS1Q_E_NS1_11comp_targetILNS1_3genE0ELNS1_11target_archE4294967295ELNS1_3gpuE0ELNS1_3repE0EEENS1_30default_config_static_selectorELNS0_4arch9wavefront6targetE0EEEvS13_.numbered_sgpr, 0
	.set _ZN7rocprim17ROCPRIM_400000_NS6detail17trampoline_kernelINS0_13select_configILj256ELj13ELNS0_17block_load_methodE3ELS4_3ELS4_3ELNS0_20block_scan_algorithmE0ELj4294967295EEENS1_25partition_config_selectorILNS1_17partition_subalgoE4EjNS0_10empty_typeEbEEZZNS1_14partition_implILS8_4ELb0ES6_15HIP_vector_typeIjLj2EENS0_17counting_iteratorIjlEEPS9_SG_NS0_5tupleIJPjSI_NS0_16reverse_iteratorISI_EEEEENSH_IJSG_SG_SG_EEES9_SI_JZNS1_25segmented_radix_sort_implINS0_14default_configELb1EPK6__halfPSP_PKlPlN2at6native12_GLOBAL__N_18offset_tEEE10hipError_tPvRmT1_PNSt15iterator_traitsIS13_E10value_typeET2_T3_PNS14_IS19_E10value_typeET4_jRbjT5_S1F_jjP12ihipStream_tbEUljE_ZNSN_ISO_Lb1ESR_SS_SU_SV_SZ_EES10_S11_S12_S13_S17_S18_S19_S1C_S1D_jS1E_jS1F_S1F_jjS1H_bEUljE0_EEES10_S11_S12_S19_S1D_S1F_T6_T7_T9_mT8_S1H_bDpT10_ENKUlT_T0_E_clISt17integral_constantIbLb1EES1U_IbLb0EEEEDaS1Q_S1R_EUlS1Q_E_NS1_11comp_targetILNS1_3genE0ELNS1_11target_archE4294967295ELNS1_3gpuE0ELNS1_3repE0EEENS1_30default_config_static_selectorELNS0_4arch9wavefront6targetE0EEEvS13_.num_named_barrier, 0
	.set _ZN7rocprim17ROCPRIM_400000_NS6detail17trampoline_kernelINS0_13select_configILj256ELj13ELNS0_17block_load_methodE3ELS4_3ELS4_3ELNS0_20block_scan_algorithmE0ELj4294967295EEENS1_25partition_config_selectorILNS1_17partition_subalgoE4EjNS0_10empty_typeEbEEZZNS1_14partition_implILS8_4ELb0ES6_15HIP_vector_typeIjLj2EENS0_17counting_iteratorIjlEEPS9_SG_NS0_5tupleIJPjSI_NS0_16reverse_iteratorISI_EEEEENSH_IJSG_SG_SG_EEES9_SI_JZNS1_25segmented_radix_sort_implINS0_14default_configELb1EPK6__halfPSP_PKlPlN2at6native12_GLOBAL__N_18offset_tEEE10hipError_tPvRmT1_PNSt15iterator_traitsIS13_E10value_typeET2_T3_PNS14_IS19_E10value_typeET4_jRbjT5_S1F_jjP12ihipStream_tbEUljE_ZNSN_ISO_Lb1ESR_SS_SU_SV_SZ_EES10_S11_S12_S13_S17_S18_S19_S1C_S1D_jS1E_jS1F_S1F_jjS1H_bEUljE0_EEES10_S11_S12_S19_S1D_S1F_T6_T7_T9_mT8_S1H_bDpT10_ENKUlT_T0_E_clISt17integral_constantIbLb1EES1U_IbLb0EEEEDaS1Q_S1R_EUlS1Q_E_NS1_11comp_targetILNS1_3genE0ELNS1_11target_archE4294967295ELNS1_3gpuE0ELNS1_3repE0EEENS1_30default_config_static_selectorELNS0_4arch9wavefront6targetE0EEEvS13_.private_seg_size, 0
	.set _ZN7rocprim17ROCPRIM_400000_NS6detail17trampoline_kernelINS0_13select_configILj256ELj13ELNS0_17block_load_methodE3ELS4_3ELS4_3ELNS0_20block_scan_algorithmE0ELj4294967295EEENS1_25partition_config_selectorILNS1_17partition_subalgoE4EjNS0_10empty_typeEbEEZZNS1_14partition_implILS8_4ELb0ES6_15HIP_vector_typeIjLj2EENS0_17counting_iteratorIjlEEPS9_SG_NS0_5tupleIJPjSI_NS0_16reverse_iteratorISI_EEEEENSH_IJSG_SG_SG_EEES9_SI_JZNS1_25segmented_radix_sort_implINS0_14default_configELb1EPK6__halfPSP_PKlPlN2at6native12_GLOBAL__N_18offset_tEEE10hipError_tPvRmT1_PNSt15iterator_traitsIS13_E10value_typeET2_T3_PNS14_IS19_E10value_typeET4_jRbjT5_S1F_jjP12ihipStream_tbEUljE_ZNSN_ISO_Lb1ESR_SS_SU_SV_SZ_EES10_S11_S12_S13_S17_S18_S19_S1C_S1D_jS1E_jS1F_S1F_jjS1H_bEUljE0_EEES10_S11_S12_S19_S1D_S1F_T6_T7_T9_mT8_S1H_bDpT10_ENKUlT_T0_E_clISt17integral_constantIbLb1EES1U_IbLb0EEEEDaS1Q_S1R_EUlS1Q_E_NS1_11comp_targetILNS1_3genE0ELNS1_11target_archE4294967295ELNS1_3gpuE0ELNS1_3repE0EEENS1_30default_config_static_selectorELNS0_4arch9wavefront6targetE0EEEvS13_.uses_vcc, 0
	.set _ZN7rocprim17ROCPRIM_400000_NS6detail17trampoline_kernelINS0_13select_configILj256ELj13ELNS0_17block_load_methodE3ELS4_3ELS4_3ELNS0_20block_scan_algorithmE0ELj4294967295EEENS1_25partition_config_selectorILNS1_17partition_subalgoE4EjNS0_10empty_typeEbEEZZNS1_14partition_implILS8_4ELb0ES6_15HIP_vector_typeIjLj2EENS0_17counting_iteratorIjlEEPS9_SG_NS0_5tupleIJPjSI_NS0_16reverse_iteratorISI_EEEEENSH_IJSG_SG_SG_EEES9_SI_JZNS1_25segmented_radix_sort_implINS0_14default_configELb1EPK6__halfPSP_PKlPlN2at6native12_GLOBAL__N_18offset_tEEE10hipError_tPvRmT1_PNSt15iterator_traitsIS13_E10value_typeET2_T3_PNS14_IS19_E10value_typeET4_jRbjT5_S1F_jjP12ihipStream_tbEUljE_ZNSN_ISO_Lb1ESR_SS_SU_SV_SZ_EES10_S11_S12_S13_S17_S18_S19_S1C_S1D_jS1E_jS1F_S1F_jjS1H_bEUljE0_EEES10_S11_S12_S19_S1D_S1F_T6_T7_T9_mT8_S1H_bDpT10_ENKUlT_T0_E_clISt17integral_constantIbLb1EES1U_IbLb0EEEEDaS1Q_S1R_EUlS1Q_E_NS1_11comp_targetILNS1_3genE0ELNS1_11target_archE4294967295ELNS1_3gpuE0ELNS1_3repE0EEENS1_30default_config_static_selectorELNS0_4arch9wavefront6targetE0EEEvS13_.uses_flat_scratch, 0
	.set _ZN7rocprim17ROCPRIM_400000_NS6detail17trampoline_kernelINS0_13select_configILj256ELj13ELNS0_17block_load_methodE3ELS4_3ELS4_3ELNS0_20block_scan_algorithmE0ELj4294967295EEENS1_25partition_config_selectorILNS1_17partition_subalgoE4EjNS0_10empty_typeEbEEZZNS1_14partition_implILS8_4ELb0ES6_15HIP_vector_typeIjLj2EENS0_17counting_iteratorIjlEEPS9_SG_NS0_5tupleIJPjSI_NS0_16reverse_iteratorISI_EEEEENSH_IJSG_SG_SG_EEES9_SI_JZNS1_25segmented_radix_sort_implINS0_14default_configELb1EPK6__halfPSP_PKlPlN2at6native12_GLOBAL__N_18offset_tEEE10hipError_tPvRmT1_PNSt15iterator_traitsIS13_E10value_typeET2_T3_PNS14_IS19_E10value_typeET4_jRbjT5_S1F_jjP12ihipStream_tbEUljE_ZNSN_ISO_Lb1ESR_SS_SU_SV_SZ_EES10_S11_S12_S13_S17_S18_S19_S1C_S1D_jS1E_jS1F_S1F_jjS1H_bEUljE0_EEES10_S11_S12_S19_S1D_S1F_T6_T7_T9_mT8_S1H_bDpT10_ENKUlT_T0_E_clISt17integral_constantIbLb1EES1U_IbLb0EEEEDaS1Q_S1R_EUlS1Q_E_NS1_11comp_targetILNS1_3genE0ELNS1_11target_archE4294967295ELNS1_3gpuE0ELNS1_3repE0EEENS1_30default_config_static_selectorELNS0_4arch9wavefront6targetE0EEEvS13_.has_dyn_sized_stack, 0
	.set _ZN7rocprim17ROCPRIM_400000_NS6detail17trampoline_kernelINS0_13select_configILj256ELj13ELNS0_17block_load_methodE3ELS4_3ELS4_3ELNS0_20block_scan_algorithmE0ELj4294967295EEENS1_25partition_config_selectorILNS1_17partition_subalgoE4EjNS0_10empty_typeEbEEZZNS1_14partition_implILS8_4ELb0ES6_15HIP_vector_typeIjLj2EENS0_17counting_iteratorIjlEEPS9_SG_NS0_5tupleIJPjSI_NS0_16reverse_iteratorISI_EEEEENSH_IJSG_SG_SG_EEES9_SI_JZNS1_25segmented_radix_sort_implINS0_14default_configELb1EPK6__halfPSP_PKlPlN2at6native12_GLOBAL__N_18offset_tEEE10hipError_tPvRmT1_PNSt15iterator_traitsIS13_E10value_typeET2_T3_PNS14_IS19_E10value_typeET4_jRbjT5_S1F_jjP12ihipStream_tbEUljE_ZNSN_ISO_Lb1ESR_SS_SU_SV_SZ_EES10_S11_S12_S13_S17_S18_S19_S1C_S1D_jS1E_jS1F_S1F_jjS1H_bEUljE0_EEES10_S11_S12_S19_S1D_S1F_T6_T7_T9_mT8_S1H_bDpT10_ENKUlT_T0_E_clISt17integral_constantIbLb1EES1U_IbLb0EEEEDaS1Q_S1R_EUlS1Q_E_NS1_11comp_targetILNS1_3genE0ELNS1_11target_archE4294967295ELNS1_3gpuE0ELNS1_3repE0EEENS1_30default_config_static_selectorELNS0_4arch9wavefront6targetE0EEEvS13_.has_recursion, 0
	.set _ZN7rocprim17ROCPRIM_400000_NS6detail17trampoline_kernelINS0_13select_configILj256ELj13ELNS0_17block_load_methodE3ELS4_3ELS4_3ELNS0_20block_scan_algorithmE0ELj4294967295EEENS1_25partition_config_selectorILNS1_17partition_subalgoE4EjNS0_10empty_typeEbEEZZNS1_14partition_implILS8_4ELb0ES6_15HIP_vector_typeIjLj2EENS0_17counting_iteratorIjlEEPS9_SG_NS0_5tupleIJPjSI_NS0_16reverse_iteratorISI_EEEEENSH_IJSG_SG_SG_EEES9_SI_JZNS1_25segmented_radix_sort_implINS0_14default_configELb1EPK6__halfPSP_PKlPlN2at6native12_GLOBAL__N_18offset_tEEE10hipError_tPvRmT1_PNSt15iterator_traitsIS13_E10value_typeET2_T3_PNS14_IS19_E10value_typeET4_jRbjT5_S1F_jjP12ihipStream_tbEUljE_ZNSN_ISO_Lb1ESR_SS_SU_SV_SZ_EES10_S11_S12_S13_S17_S18_S19_S1C_S1D_jS1E_jS1F_S1F_jjS1H_bEUljE0_EEES10_S11_S12_S19_S1D_S1F_T6_T7_T9_mT8_S1H_bDpT10_ENKUlT_T0_E_clISt17integral_constantIbLb1EES1U_IbLb0EEEEDaS1Q_S1R_EUlS1Q_E_NS1_11comp_targetILNS1_3genE0ELNS1_11target_archE4294967295ELNS1_3gpuE0ELNS1_3repE0EEENS1_30default_config_static_selectorELNS0_4arch9wavefront6targetE0EEEvS13_.has_indirect_call, 0
	.section	.AMDGPU.csdata,"",@progbits
; Kernel info:
; codeLenInByte = 4
; TotalNumSgprs: 0
; NumVgprs: 0
; ScratchSize: 0
; MemoryBound: 0
; FloatMode: 240
; IeeeMode: 1
; LDSByteSize: 0 bytes/workgroup (compile time only)
; SGPRBlocks: 0
; VGPRBlocks: 0
; NumSGPRsForWavesPerEU: 1
; NumVGPRsForWavesPerEU: 1
; NamedBarCnt: 0
; Occupancy: 16
; WaveLimiterHint : 0
; COMPUTE_PGM_RSRC2:SCRATCH_EN: 0
; COMPUTE_PGM_RSRC2:USER_SGPR: 2
; COMPUTE_PGM_RSRC2:TRAP_HANDLER: 0
; COMPUTE_PGM_RSRC2:TGID_X_EN: 1
; COMPUTE_PGM_RSRC2:TGID_Y_EN: 0
; COMPUTE_PGM_RSRC2:TGID_Z_EN: 0
; COMPUTE_PGM_RSRC2:TIDIG_COMP_CNT: 0
	.section	.text._ZN7rocprim17ROCPRIM_400000_NS6detail17trampoline_kernelINS0_13select_configILj256ELj13ELNS0_17block_load_methodE3ELS4_3ELS4_3ELNS0_20block_scan_algorithmE0ELj4294967295EEENS1_25partition_config_selectorILNS1_17partition_subalgoE4EjNS0_10empty_typeEbEEZZNS1_14partition_implILS8_4ELb0ES6_15HIP_vector_typeIjLj2EENS0_17counting_iteratorIjlEEPS9_SG_NS0_5tupleIJPjSI_NS0_16reverse_iteratorISI_EEEEENSH_IJSG_SG_SG_EEES9_SI_JZNS1_25segmented_radix_sort_implINS0_14default_configELb1EPK6__halfPSP_PKlPlN2at6native12_GLOBAL__N_18offset_tEEE10hipError_tPvRmT1_PNSt15iterator_traitsIS13_E10value_typeET2_T3_PNS14_IS19_E10value_typeET4_jRbjT5_S1F_jjP12ihipStream_tbEUljE_ZNSN_ISO_Lb1ESR_SS_SU_SV_SZ_EES10_S11_S12_S13_S17_S18_S19_S1C_S1D_jS1E_jS1F_S1F_jjS1H_bEUljE0_EEES10_S11_S12_S19_S1D_S1F_T6_T7_T9_mT8_S1H_bDpT10_ENKUlT_T0_E_clISt17integral_constantIbLb1EES1U_IbLb0EEEEDaS1Q_S1R_EUlS1Q_E_NS1_11comp_targetILNS1_3genE5ELNS1_11target_archE942ELNS1_3gpuE9ELNS1_3repE0EEENS1_30default_config_static_selectorELNS0_4arch9wavefront6targetE0EEEvS13_,"axG",@progbits,_ZN7rocprim17ROCPRIM_400000_NS6detail17trampoline_kernelINS0_13select_configILj256ELj13ELNS0_17block_load_methodE3ELS4_3ELS4_3ELNS0_20block_scan_algorithmE0ELj4294967295EEENS1_25partition_config_selectorILNS1_17partition_subalgoE4EjNS0_10empty_typeEbEEZZNS1_14partition_implILS8_4ELb0ES6_15HIP_vector_typeIjLj2EENS0_17counting_iteratorIjlEEPS9_SG_NS0_5tupleIJPjSI_NS0_16reverse_iteratorISI_EEEEENSH_IJSG_SG_SG_EEES9_SI_JZNS1_25segmented_radix_sort_implINS0_14default_configELb1EPK6__halfPSP_PKlPlN2at6native12_GLOBAL__N_18offset_tEEE10hipError_tPvRmT1_PNSt15iterator_traitsIS13_E10value_typeET2_T3_PNS14_IS19_E10value_typeET4_jRbjT5_S1F_jjP12ihipStream_tbEUljE_ZNSN_ISO_Lb1ESR_SS_SU_SV_SZ_EES10_S11_S12_S13_S17_S18_S19_S1C_S1D_jS1E_jS1F_S1F_jjS1H_bEUljE0_EEES10_S11_S12_S19_S1D_S1F_T6_T7_T9_mT8_S1H_bDpT10_ENKUlT_T0_E_clISt17integral_constantIbLb1EES1U_IbLb0EEEEDaS1Q_S1R_EUlS1Q_E_NS1_11comp_targetILNS1_3genE5ELNS1_11target_archE942ELNS1_3gpuE9ELNS1_3repE0EEENS1_30default_config_static_selectorELNS0_4arch9wavefront6targetE0EEEvS13_,comdat
	.globl	_ZN7rocprim17ROCPRIM_400000_NS6detail17trampoline_kernelINS0_13select_configILj256ELj13ELNS0_17block_load_methodE3ELS4_3ELS4_3ELNS0_20block_scan_algorithmE0ELj4294967295EEENS1_25partition_config_selectorILNS1_17partition_subalgoE4EjNS0_10empty_typeEbEEZZNS1_14partition_implILS8_4ELb0ES6_15HIP_vector_typeIjLj2EENS0_17counting_iteratorIjlEEPS9_SG_NS0_5tupleIJPjSI_NS0_16reverse_iteratorISI_EEEEENSH_IJSG_SG_SG_EEES9_SI_JZNS1_25segmented_radix_sort_implINS0_14default_configELb1EPK6__halfPSP_PKlPlN2at6native12_GLOBAL__N_18offset_tEEE10hipError_tPvRmT1_PNSt15iterator_traitsIS13_E10value_typeET2_T3_PNS14_IS19_E10value_typeET4_jRbjT5_S1F_jjP12ihipStream_tbEUljE_ZNSN_ISO_Lb1ESR_SS_SU_SV_SZ_EES10_S11_S12_S13_S17_S18_S19_S1C_S1D_jS1E_jS1F_S1F_jjS1H_bEUljE0_EEES10_S11_S12_S19_S1D_S1F_T6_T7_T9_mT8_S1H_bDpT10_ENKUlT_T0_E_clISt17integral_constantIbLb1EES1U_IbLb0EEEEDaS1Q_S1R_EUlS1Q_E_NS1_11comp_targetILNS1_3genE5ELNS1_11target_archE942ELNS1_3gpuE9ELNS1_3repE0EEENS1_30default_config_static_selectorELNS0_4arch9wavefront6targetE0EEEvS13_ ; -- Begin function _ZN7rocprim17ROCPRIM_400000_NS6detail17trampoline_kernelINS0_13select_configILj256ELj13ELNS0_17block_load_methodE3ELS4_3ELS4_3ELNS0_20block_scan_algorithmE0ELj4294967295EEENS1_25partition_config_selectorILNS1_17partition_subalgoE4EjNS0_10empty_typeEbEEZZNS1_14partition_implILS8_4ELb0ES6_15HIP_vector_typeIjLj2EENS0_17counting_iteratorIjlEEPS9_SG_NS0_5tupleIJPjSI_NS0_16reverse_iteratorISI_EEEEENSH_IJSG_SG_SG_EEES9_SI_JZNS1_25segmented_radix_sort_implINS0_14default_configELb1EPK6__halfPSP_PKlPlN2at6native12_GLOBAL__N_18offset_tEEE10hipError_tPvRmT1_PNSt15iterator_traitsIS13_E10value_typeET2_T3_PNS14_IS19_E10value_typeET4_jRbjT5_S1F_jjP12ihipStream_tbEUljE_ZNSN_ISO_Lb1ESR_SS_SU_SV_SZ_EES10_S11_S12_S13_S17_S18_S19_S1C_S1D_jS1E_jS1F_S1F_jjS1H_bEUljE0_EEES10_S11_S12_S19_S1D_S1F_T6_T7_T9_mT8_S1H_bDpT10_ENKUlT_T0_E_clISt17integral_constantIbLb1EES1U_IbLb0EEEEDaS1Q_S1R_EUlS1Q_E_NS1_11comp_targetILNS1_3genE5ELNS1_11target_archE942ELNS1_3gpuE9ELNS1_3repE0EEENS1_30default_config_static_selectorELNS0_4arch9wavefront6targetE0EEEvS13_
	.p2align	8
	.type	_ZN7rocprim17ROCPRIM_400000_NS6detail17trampoline_kernelINS0_13select_configILj256ELj13ELNS0_17block_load_methodE3ELS4_3ELS4_3ELNS0_20block_scan_algorithmE0ELj4294967295EEENS1_25partition_config_selectorILNS1_17partition_subalgoE4EjNS0_10empty_typeEbEEZZNS1_14partition_implILS8_4ELb0ES6_15HIP_vector_typeIjLj2EENS0_17counting_iteratorIjlEEPS9_SG_NS0_5tupleIJPjSI_NS0_16reverse_iteratorISI_EEEEENSH_IJSG_SG_SG_EEES9_SI_JZNS1_25segmented_radix_sort_implINS0_14default_configELb1EPK6__halfPSP_PKlPlN2at6native12_GLOBAL__N_18offset_tEEE10hipError_tPvRmT1_PNSt15iterator_traitsIS13_E10value_typeET2_T3_PNS14_IS19_E10value_typeET4_jRbjT5_S1F_jjP12ihipStream_tbEUljE_ZNSN_ISO_Lb1ESR_SS_SU_SV_SZ_EES10_S11_S12_S13_S17_S18_S19_S1C_S1D_jS1E_jS1F_S1F_jjS1H_bEUljE0_EEES10_S11_S12_S19_S1D_S1F_T6_T7_T9_mT8_S1H_bDpT10_ENKUlT_T0_E_clISt17integral_constantIbLb1EES1U_IbLb0EEEEDaS1Q_S1R_EUlS1Q_E_NS1_11comp_targetILNS1_3genE5ELNS1_11target_archE942ELNS1_3gpuE9ELNS1_3repE0EEENS1_30default_config_static_selectorELNS0_4arch9wavefront6targetE0EEEvS13_,@function
_ZN7rocprim17ROCPRIM_400000_NS6detail17trampoline_kernelINS0_13select_configILj256ELj13ELNS0_17block_load_methodE3ELS4_3ELS4_3ELNS0_20block_scan_algorithmE0ELj4294967295EEENS1_25partition_config_selectorILNS1_17partition_subalgoE4EjNS0_10empty_typeEbEEZZNS1_14partition_implILS8_4ELb0ES6_15HIP_vector_typeIjLj2EENS0_17counting_iteratorIjlEEPS9_SG_NS0_5tupleIJPjSI_NS0_16reverse_iteratorISI_EEEEENSH_IJSG_SG_SG_EEES9_SI_JZNS1_25segmented_radix_sort_implINS0_14default_configELb1EPK6__halfPSP_PKlPlN2at6native12_GLOBAL__N_18offset_tEEE10hipError_tPvRmT1_PNSt15iterator_traitsIS13_E10value_typeET2_T3_PNS14_IS19_E10value_typeET4_jRbjT5_S1F_jjP12ihipStream_tbEUljE_ZNSN_ISO_Lb1ESR_SS_SU_SV_SZ_EES10_S11_S12_S13_S17_S18_S19_S1C_S1D_jS1E_jS1F_S1F_jjS1H_bEUljE0_EEES10_S11_S12_S19_S1D_S1F_T6_T7_T9_mT8_S1H_bDpT10_ENKUlT_T0_E_clISt17integral_constantIbLb1EES1U_IbLb0EEEEDaS1Q_S1R_EUlS1Q_E_NS1_11comp_targetILNS1_3genE5ELNS1_11target_archE942ELNS1_3gpuE9ELNS1_3repE0EEENS1_30default_config_static_selectorELNS0_4arch9wavefront6targetE0EEEvS13_: ; @_ZN7rocprim17ROCPRIM_400000_NS6detail17trampoline_kernelINS0_13select_configILj256ELj13ELNS0_17block_load_methodE3ELS4_3ELS4_3ELNS0_20block_scan_algorithmE0ELj4294967295EEENS1_25partition_config_selectorILNS1_17partition_subalgoE4EjNS0_10empty_typeEbEEZZNS1_14partition_implILS8_4ELb0ES6_15HIP_vector_typeIjLj2EENS0_17counting_iteratorIjlEEPS9_SG_NS0_5tupleIJPjSI_NS0_16reverse_iteratorISI_EEEEENSH_IJSG_SG_SG_EEES9_SI_JZNS1_25segmented_radix_sort_implINS0_14default_configELb1EPK6__halfPSP_PKlPlN2at6native12_GLOBAL__N_18offset_tEEE10hipError_tPvRmT1_PNSt15iterator_traitsIS13_E10value_typeET2_T3_PNS14_IS19_E10value_typeET4_jRbjT5_S1F_jjP12ihipStream_tbEUljE_ZNSN_ISO_Lb1ESR_SS_SU_SV_SZ_EES10_S11_S12_S13_S17_S18_S19_S1C_S1D_jS1E_jS1F_S1F_jjS1H_bEUljE0_EEES10_S11_S12_S19_S1D_S1F_T6_T7_T9_mT8_S1H_bDpT10_ENKUlT_T0_E_clISt17integral_constantIbLb1EES1U_IbLb0EEEEDaS1Q_S1R_EUlS1Q_E_NS1_11comp_targetILNS1_3genE5ELNS1_11target_archE942ELNS1_3gpuE9ELNS1_3repE0EEENS1_30default_config_static_selectorELNS0_4arch9wavefront6targetE0EEEvS13_
; %bb.0:
	.section	.rodata,"a",@progbits
	.p2align	6, 0x0
	.amdhsa_kernel _ZN7rocprim17ROCPRIM_400000_NS6detail17trampoline_kernelINS0_13select_configILj256ELj13ELNS0_17block_load_methodE3ELS4_3ELS4_3ELNS0_20block_scan_algorithmE0ELj4294967295EEENS1_25partition_config_selectorILNS1_17partition_subalgoE4EjNS0_10empty_typeEbEEZZNS1_14partition_implILS8_4ELb0ES6_15HIP_vector_typeIjLj2EENS0_17counting_iteratorIjlEEPS9_SG_NS0_5tupleIJPjSI_NS0_16reverse_iteratorISI_EEEEENSH_IJSG_SG_SG_EEES9_SI_JZNS1_25segmented_radix_sort_implINS0_14default_configELb1EPK6__halfPSP_PKlPlN2at6native12_GLOBAL__N_18offset_tEEE10hipError_tPvRmT1_PNSt15iterator_traitsIS13_E10value_typeET2_T3_PNS14_IS19_E10value_typeET4_jRbjT5_S1F_jjP12ihipStream_tbEUljE_ZNSN_ISO_Lb1ESR_SS_SU_SV_SZ_EES10_S11_S12_S13_S17_S18_S19_S1C_S1D_jS1E_jS1F_S1F_jjS1H_bEUljE0_EEES10_S11_S12_S19_S1D_S1F_T6_T7_T9_mT8_S1H_bDpT10_ENKUlT_T0_E_clISt17integral_constantIbLb1EES1U_IbLb0EEEEDaS1Q_S1R_EUlS1Q_E_NS1_11comp_targetILNS1_3genE5ELNS1_11target_archE942ELNS1_3gpuE9ELNS1_3repE0EEENS1_30default_config_static_selectorELNS0_4arch9wavefront6targetE0EEEvS13_
		.amdhsa_group_segment_fixed_size 0
		.amdhsa_private_segment_fixed_size 0
		.amdhsa_kernarg_size 176
		.amdhsa_user_sgpr_count 2
		.amdhsa_user_sgpr_dispatch_ptr 0
		.amdhsa_user_sgpr_queue_ptr 0
		.amdhsa_user_sgpr_kernarg_segment_ptr 1
		.amdhsa_user_sgpr_dispatch_id 0
		.amdhsa_user_sgpr_kernarg_preload_length 0
		.amdhsa_user_sgpr_kernarg_preload_offset 0
		.amdhsa_user_sgpr_private_segment_size 0
		.amdhsa_wavefront_size32 1
		.amdhsa_uses_dynamic_stack 0
		.amdhsa_enable_private_segment 0
		.amdhsa_system_sgpr_workgroup_id_x 1
		.amdhsa_system_sgpr_workgroup_id_y 0
		.amdhsa_system_sgpr_workgroup_id_z 0
		.amdhsa_system_sgpr_workgroup_info 0
		.amdhsa_system_vgpr_workitem_id 0
		.amdhsa_next_free_vgpr 1
		.amdhsa_next_free_sgpr 1
		.amdhsa_named_barrier_count 0
		.amdhsa_reserve_vcc 0
		.amdhsa_float_round_mode_32 0
		.amdhsa_float_round_mode_16_64 0
		.amdhsa_float_denorm_mode_32 3
		.amdhsa_float_denorm_mode_16_64 3
		.amdhsa_fp16_overflow 0
		.amdhsa_memory_ordered 1
		.amdhsa_forward_progress 1
		.amdhsa_inst_pref_size 0
		.amdhsa_round_robin_scheduling 0
		.amdhsa_exception_fp_ieee_invalid_op 0
		.amdhsa_exception_fp_denorm_src 0
		.amdhsa_exception_fp_ieee_div_zero 0
		.amdhsa_exception_fp_ieee_overflow 0
		.amdhsa_exception_fp_ieee_underflow 0
		.amdhsa_exception_fp_ieee_inexact 0
		.amdhsa_exception_int_div_zero 0
	.end_amdhsa_kernel
	.section	.text._ZN7rocprim17ROCPRIM_400000_NS6detail17trampoline_kernelINS0_13select_configILj256ELj13ELNS0_17block_load_methodE3ELS4_3ELS4_3ELNS0_20block_scan_algorithmE0ELj4294967295EEENS1_25partition_config_selectorILNS1_17partition_subalgoE4EjNS0_10empty_typeEbEEZZNS1_14partition_implILS8_4ELb0ES6_15HIP_vector_typeIjLj2EENS0_17counting_iteratorIjlEEPS9_SG_NS0_5tupleIJPjSI_NS0_16reverse_iteratorISI_EEEEENSH_IJSG_SG_SG_EEES9_SI_JZNS1_25segmented_radix_sort_implINS0_14default_configELb1EPK6__halfPSP_PKlPlN2at6native12_GLOBAL__N_18offset_tEEE10hipError_tPvRmT1_PNSt15iterator_traitsIS13_E10value_typeET2_T3_PNS14_IS19_E10value_typeET4_jRbjT5_S1F_jjP12ihipStream_tbEUljE_ZNSN_ISO_Lb1ESR_SS_SU_SV_SZ_EES10_S11_S12_S13_S17_S18_S19_S1C_S1D_jS1E_jS1F_S1F_jjS1H_bEUljE0_EEES10_S11_S12_S19_S1D_S1F_T6_T7_T9_mT8_S1H_bDpT10_ENKUlT_T0_E_clISt17integral_constantIbLb1EES1U_IbLb0EEEEDaS1Q_S1R_EUlS1Q_E_NS1_11comp_targetILNS1_3genE5ELNS1_11target_archE942ELNS1_3gpuE9ELNS1_3repE0EEENS1_30default_config_static_selectorELNS0_4arch9wavefront6targetE0EEEvS13_,"axG",@progbits,_ZN7rocprim17ROCPRIM_400000_NS6detail17trampoline_kernelINS0_13select_configILj256ELj13ELNS0_17block_load_methodE3ELS4_3ELS4_3ELNS0_20block_scan_algorithmE0ELj4294967295EEENS1_25partition_config_selectorILNS1_17partition_subalgoE4EjNS0_10empty_typeEbEEZZNS1_14partition_implILS8_4ELb0ES6_15HIP_vector_typeIjLj2EENS0_17counting_iteratorIjlEEPS9_SG_NS0_5tupleIJPjSI_NS0_16reverse_iteratorISI_EEEEENSH_IJSG_SG_SG_EEES9_SI_JZNS1_25segmented_radix_sort_implINS0_14default_configELb1EPK6__halfPSP_PKlPlN2at6native12_GLOBAL__N_18offset_tEEE10hipError_tPvRmT1_PNSt15iterator_traitsIS13_E10value_typeET2_T3_PNS14_IS19_E10value_typeET4_jRbjT5_S1F_jjP12ihipStream_tbEUljE_ZNSN_ISO_Lb1ESR_SS_SU_SV_SZ_EES10_S11_S12_S13_S17_S18_S19_S1C_S1D_jS1E_jS1F_S1F_jjS1H_bEUljE0_EEES10_S11_S12_S19_S1D_S1F_T6_T7_T9_mT8_S1H_bDpT10_ENKUlT_T0_E_clISt17integral_constantIbLb1EES1U_IbLb0EEEEDaS1Q_S1R_EUlS1Q_E_NS1_11comp_targetILNS1_3genE5ELNS1_11target_archE942ELNS1_3gpuE9ELNS1_3repE0EEENS1_30default_config_static_selectorELNS0_4arch9wavefront6targetE0EEEvS13_,comdat
.Lfunc_end1682:
	.size	_ZN7rocprim17ROCPRIM_400000_NS6detail17trampoline_kernelINS0_13select_configILj256ELj13ELNS0_17block_load_methodE3ELS4_3ELS4_3ELNS0_20block_scan_algorithmE0ELj4294967295EEENS1_25partition_config_selectorILNS1_17partition_subalgoE4EjNS0_10empty_typeEbEEZZNS1_14partition_implILS8_4ELb0ES6_15HIP_vector_typeIjLj2EENS0_17counting_iteratorIjlEEPS9_SG_NS0_5tupleIJPjSI_NS0_16reverse_iteratorISI_EEEEENSH_IJSG_SG_SG_EEES9_SI_JZNS1_25segmented_radix_sort_implINS0_14default_configELb1EPK6__halfPSP_PKlPlN2at6native12_GLOBAL__N_18offset_tEEE10hipError_tPvRmT1_PNSt15iterator_traitsIS13_E10value_typeET2_T3_PNS14_IS19_E10value_typeET4_jRbjT5_S1F_jjP12ihipStream_tbEUljE_ZNSN_ISO_Lb1ESR_SS_SU_SV_SZ_EES10_S11_S12_S13_S17_S18_S19_S1C_S1D_jS1E_jS1F_S1F_jjS1H_bEUljE0_EEES10_S11_S12_S19_S1D_S1F_T6_T7_T9_mT8_S1H_bDpT10_ENKUlT_T0_E_clISt17integral_constantIbLb1EES1U_IbLb0EEEEDaS1Q_S1R_EUlS1Q_E_NS1_11comp_targetILNS1_3genE5ELNS1_11target_archE942ELNS1_3gpuE9ELNS1_3repE0EEENS1_30default_config_static_selectorELNS0_4arch9wavefront6targetE0EEEvS13_, .Lfunc_end1682-_ZN7rocprim17ROCPRIM_400000_NS6detail17trampoline_kernelINS0_13select_configILj256ELj13ELNS0_17block_load_methodE3ELS4_3ELS4_3ELNS0_20block_scan_algorithmE0ELj4294967295EEENS1_25partition_config_selectorILNS1_17partition_subalgoE4EjNS0_10empty_typeEbEEZZNS1_14partition_implILS8_4ELb0ES6_15HIP_vector_typeIjLj2EENS0_17counting_iteratorIjlEEPS9_SG_NS0_5tupleIJPjSI_NS0_16reverse_iteratorISI_EEEEENSH_IJSG_SG_SG_EEES9_SI_JZNS1_25segmented_radix_sort_implINS0_14default_configELb1EPK6__halfPSP_PKlPlN2at6native12_GLOBAL__N_18offset_tEEE10hipError_tPvRmT1_PNSt15iterator_traitsIS13_E10value_typeET2_T3_PNS14_IS19_E10value_typeET4_jRbjT5_S1F_jjP12ihipStream_tbEUljE_ZNSN_ISO_Lb1ESR_SS_SU_SV_SZ_EES10_S11_S12_S13_S17_S18_S19_S1C_S1D_jS1E_jS1F_S1F_jjS1H_bEUljE0_EEES10_S11_S12_S19_S1D_S1F_T6_T7_T9_mT8_S1H_bDpT10_ENKUlT_T0_E_clISt17integral_constantIbLb1EES1U_IbLb0EEEEDaS1Q_S1R_EUlS1Q_E_NS1_11comp_targetILNS1_3genE5ELNS1_11target_archE942ELNS1_3gpuE9ELNS1_3repE0EEENS1_30default_config_static_selectorELNS0_4arch9wavefront6targetE0EEEvS13_
                                        ; -- End function
	.set _ZN7rocprim17ROCPRIM_400000_NS6detail17trampoline_kernelINS0_13select_configILj256ELj13ELNS0_17block_load_methodE3ELS4_3ELS4_3ELNS0_20block_scan_algorithmE0ELj4294967295EEENS1_25partition_config_selectorILNS1_17partition_subalgoE4EjNS0_10empty_typeEbEEZZNS1_14partition_implILS8_4ELb0ES6_15HIP_vector_typeIjLj2EENS0_17counting_iteratorIjlEEPS9_SG_NS0_5tupleIJPjSI_NS0_16reverse_iteratorISI_EEEEENSH_IJSG_SG_SG_EEES9_SI_JZNS1_25segmented_radix_sort_implINS0_14default_configELb1EPK6__halfPSP_PKlPlN2at6native12_GLOBAL__N_18offset_tEEE10hipError_tPvRmT1_PNSt15iterator_traitsIS13_E10value_typeET2_T3_PNS14_IS19_E10value_typeET4_jRbjT5_S1F_jjP12ihipStream_tbEUljE_ZNSN_ISO_Lb1ESR_SS_SU_SV_SZ_EES10_S11_S12_S13_S17_S18_S19_S1C_S1D_jS1E_jS1F_S1F_jjS1H_bEUljE0_EEES10_S11_S12_S19_S1D_S1F_T6_T7_T9_mT8_S1H_bDpT10_ENKUlT_T0_E_clISt17integral_constantIbLb1EES1U_IbLb0EEEEDaS1Q_S1R_EUlS1Q_E_NS1_11comp_targetILNS1_3genE5ELNS1_11target_archE942ELNS1_3gpuE9ELNS1_3repE0EEENS1_30default_config_static_selectorELNS0_4arch9wavefront6targetE0EEEvS13_.num_vgpr, 0
	.set _ZN7rocprim17ROCPRIM_400000_NS6detail17trampoline_kernelINS0_13select_configILj256ELj13ELNS0_17block_load_methodE3ELS4_3ELS4_3ELNS0_20block_scan_algorithmE0ELj4294967295EEENS1_25partition_config_selectorILNS1_17partition_subalgoE4EjNS0_10empty_typeEbEEZZNS1_14partition_implILS8_4ELb0ES6_15HIP_vector_typeIjLj2EENS0_17counting_iteratorIjlEEPS9_SG_NS0_5tupleIJPjSI_NS0_16reverse_iteratorISI_EEEEENSH_IJSG_SG_SG_EEES9_SI_JZNS1_25segmented_radix_sort_implINS0_14default_configELb1EPK6__halfPSP_PKlPlN2at6native12_GLOBAL__N_18offset_tEEE10hipError_tPvRmT1_PNSt15iterator_traitsIS13_E10value_typeET2_T3_PNS14_IS19_E10value_typeET4_jRbjT5_S1F_jjP12ihipStream_tbEUljE_ZNSN_ISO_Lb1ESR_SS_SU_SV_SZ_EES10_S11_S12_S13_S17_S18_S19_S1C_S1D_jS1E_jS1F_S1F_jjS1H_bEUljE0_EEES10_S11_S12_S19_S1D_S1F_T6_T7_T9_mT8_S1H_bDpT10_ENKUlT_T0_E_clISt17integral_constantIbLb1EES1U_IbLb0EEEEDaS1Q_S1R_EUlS1Q_E_NS1_11comp_targetILNS1_3genE5ELNS1_11target_archE942ELNS1_3gpuE9ELNS1_3repE0EEENS1_30default_config_static_selectorELNS0_4arch9wavefront6targetE0EEEvS13_.num_agpr, 0
	.set _ZN7rocprim17ROCPRIM_400000_NS6detail17trampoline_kernelINS0_13select_configILj256ELj13ELNS0_17block_load_methodE3ELS4_3ELS4_3ELNS0_20block_scan_algorithmE0ELj4294967295EEENS1_25partition_config_selectorILNS1_17partition_subalgoE4EjNS0_10empty_typeEbEEZZNS1_14partition_implILS8_4ELb0ES6_15HIP_vector_typeIjLj2EENS0_17counting_iteratorIjlEEPS9_SG_NS0_5tupleIJPjSI_NS0_16reverse_iteratorISI_EEEEENSH_IJSG_SG_SG_EEES9_SI_JZNS1_25segmented_radix_sort_implINS0_14default_configELb1EPK6__halfPSP_PKlPlN2at6native12_GLOBAL__N_18offset_tEEE10hipError_tPvRmT1_PNSt15iterator_traitsIS13_E10value_typeET2_T3_PNS14_IS19_E10value_typeET4_jRbjT5_S1F_jjP12ihipStream_tbEUljE_ZNSN_ISO_Lb1ESR_SS_SU_SV_SZ_EES10_S11_S12_S13_S17_S18_S19_S1C_S1D_jS1E_jS1F_S1F_jjS1H_bEUljE0_EEES10_S11_S12_S19_S1D_S1F_T6_T7_T9_mT8_S1H_bDpT10_ENKUlT_T0_E_clISt17integral_constantIbLb1EES1U_IbLb0EEEEDaS1Q_S1R_EUlS1Q_E_NS1_11comp_targetILNS1_3genE5ELNS1_11target_archE942ELNS1_3gpuE9ELNS1_3repE0EEENS1_30default_config_static_selectorELNS0_4arch9wavefront6targetE0EEEvS13_.numbered_sgpr, 0
	.set _ZN7rocprim17ROCPRIM_400000_NS6detail17trampoline_kernelINS0_13select_configILj256ELj13ELNS0_17block_load_methodE3ELS4_3ELS4_3ELNS0_20block_scan_algorithmE0ELj4294967295EEENS1_25partition_config_selectorILNS1_17partition_subalgoE4EjNS0_10empty_typeEbEEZZNS1_14partition_implILS8_4ELb0ES6_15HIP_vector_typeIjLj2EENS0_17counting_iteratorIjlEEPS9_SG_NS0_5tupleIJPjSI_NS0_16reverse_iteratorISI_EEEEENSH_IJSG_SG_SG_EEES9_SI_JZNS1_25segmented_radix_sort_implINS0_14default_configELb1EPK6__halfPSP_PKlPlN2at6native12_GLOBAL__N_18offset_tEEE10hipError_tPvRmT1_PNSt15iterator_traitsIS13_E10value_typeET2_T3_PNS14_IS19_E10value_typeET4_jRbjT5_S1F_jjP12ihipStream_tbEUljE_ZNSN_ISO_Lb1ESR_SS_SU_SV_SZ_EES10_S11_S12_S13_S17_S18_S19_S1C_S1D_jS1E_jS1F_S1F_jjS1H_bEUljE0_EEES10_S11_S12_S19_S1D_S1F_T6_T7_T9_mT8_S1H_bDpT10_ENKUlT_T0_E_clISt17integral_constantIbLb1EES1U_IbLb0EEEEDaS1Q_S1R_EUlS1Q_E_NS1_11comp_targetILNS1_3genE5ELNS1_11target_archE942ELNS1_3gpuE9ELNS1_3repE0EEENS1_30default_config_static_selectorELNS0_4arch9wavefront6targetE0EEEvS13_.num_named_barrier, 0
	.set _ZN7rocprim17ROCPRIM_400000_NS6detail17trampoline_kernelINS0_13select_configILj256ELj13ELNS0_17block_load_methodE3ELS4_3ELS4_3ELNS0_20block_scan_algorithmE0ELj4294967295EEENS1_25partition_config_selectorILNS1_17partition_subalgoE4EjNS0_10empty_typeEbEEZZNS1_14partition_implILS8_4ELb0ES6_15HIP_vector_typeIjLj2EENS0_17counting_iteratorIjlEEPS9_SG_NS0_5tupleIJPjSI_NS0_16reverse_iteratorISI_EEEEENSH_IJSG_SG_SG_EEES9_SI_JZNS1_25segmented_radix_sort_implINS0_14default_configELb1EPK6__halfPSP_PKlPlN2at6native12_GLOBAL__N_18offset_tEEE10hipError_tPvRmT1_PNSt15iterator_traitsIS13_E10value_typeET2_T3_PNS14_IS19_E10value_typeET4_jRbjT5_S1F_jjP12ihipStream_tbEUljE_ZNSN_ISO_Lb1ESR_SS_SU_SV_SZ_EES10_S11_S12_S13_S17_S18_S19_S1C_S1D_jS1E_jS1F_S1F_jjS1H_bEUljE0_EEES10_S11_S12_S19_S1D_S1F_T6_T7_T9_mT8_S1H_bDpT10_ENKUlT_T0_E_clISt17integral_constantIbLb1EES1U_IbLb0EEEEDaS1Q_S1R_EUlS1Q_E_NS1_11comp_targetILNS1_3genE5ELNS1_11target_archE942ELNS1_3gpuE9ELNS1_3repE0EEENS1_30default_config_static_selectorELNS0_4arch9wavefront6targetE0EEEvS13_.private_seg_size, 0
	.set _ZN7rocprim17ROCPRIM_400000_NS6detail17trampoline_kernelINS0_13select_configILj256ELj13ELNS0_17block_load_methodE3ELS4_3ELS4_3ELNS0_20block_scan_algorithmE0ELj4294967295EEENS1_25partition_config_selectorILNS1_17partition_subalgoE4EjNS0_10empty_typeEbEEZZNS1_14partition_implILS8_4ELb0ES6_15HIP_vector_typeIjLj2EENS0_17counting_iteratorIjlEEPS9_SG_NS0_5tupleIJPjSI_NS0_16reverse_iteratorISI_EEEEENSH_IJSG_SG_SG_EEES9_SI_JZNS1_25segmented_radix_sort_implINS0_14default_configELb1EPK6__halfPSP_PKlPlN2at6native12_GLOBAL__N_18offset_tEEE10hipError_tPvRmT1_PNSt15iterator_traitsIS13_E10value_typeET2_T3_PNS14_IS19_E10value_typeET4_jRbjT5_S1F_jjP12ihipStream_tbEUljE_ZNSN_ISO_Lb1ESR_SS_SU_SV_SZ_EES10_S11_S12_S13_S17_S18_S19_S1C_S1D_jS1E_jS1F_S1F_jjS1H_bEUljE0_EEES10_S11_S12_S19_S1D_S1F_T6_T7_T9_mT8_S1H_bDpT10_ENKUlT_T0_E_clISt17integral_constantIbLb1EES1U_IbLb0EEEEDaS1Q_S1R_EUlS1Q_E_NS1_11comp_targetILNS1_3genE5ELNS1_11target_archE942ELNS1_3gpuE9ELNS1_3repE0EEENS1_30default_config_static_selectorELNS0_4arch9wavefront6targetE0EEEvS13_.uses_vcc, 0
	.set _ZN7rocprim17ROCPRIM_400000_NS6detail17trampoline_kernelINS0_13select_configILj256ELj13ELNS0_17block_load_methodE3ELS4_3ELS4_3ELNS0_20block_scan_algorithmE0ELj4294967295EEENS1_25partition_config_selectorILNS1_17partition_subalgoE4EjNS0_10empty_typeEbEEZZNS1_14partition_implILS8_4ELb0ES6_15HIP_vector_typeIjLj2EENS0_17counting_iteratorIjlEEPS9_SG_NS0_5tupleIJPjSI_NS0_16reverse_iteratorISI_EEEEENSH_IJSG_SG_SG_EEES9_SI_JZNS1_25segmented_radix_sort_implINS0_14default_configELb1EPK6__halfPSP_PKlPlN2at6native12_GLOBAL__N_18offset_tEEE10hipError_tPvRmT1_PNSt15iterator_traitsIS13_E10value_typeET2_T3_PNS14_IS19_E10value_typeET4_jRbjT5_S1F_jjP12ihipStream_tbEUljE_ZNSN_ISO_Lb1ESR_SS_SU_SV_SZ_EES10_S11_S12_S13_S17_S18_S19_S1C_S1D_jS1E_jS1F_S1F_jjS1H_bEUljE0_EEES10_S11_S12_S19_S1D_S1F_T6_T7_T9_mT8_S1H_bDpT10_ENKUlT_T0_E_clISt17integral_constantIbLb1EES1U_IbLb0EEEEDaS1Q_S1R_EUlS1Q_E_NS1_11comp_targetILNS1_3genE5ELNS1_11target_archE942ELNS1_3gpuE9ELNS1_3repE0EEENS1_30default_config_static_selectorELNS0_4arch9wavefront6targetE0EEEvS13_.uses_flat_scratch, 0
	.set _ZN7rocprim17ROCPRIM_400000_NS6detail17trampoline_kernelINS0_13select_configILj256ELj13ELNS0_17block_load_methodE3ELS4_3ELS4_3ELNS0_20block_scan_algorithmE0ELj4294967295EEENS1_25partition_config_selectorILNS1_17partition_subalgoE4EjNS0_10empty_typeEbEEZZNS1_14partition_implILS8_4ELb0ES6_15HIP_vector_typeIjLj2EENS0_17counting_iteratorIjlEEPS9_SG_NS0_5tupleIJPjSI_NS0_16reverse_iteratorISI_EEEEENSH_IJSG_SG_SG_EEES9_SI_JZNS1_25segmented_radix_sort_implINS0_14default_configELb1EPK6__halfPSP_PKlPlN2at6native12_GLOBAL__N_18offset_tEEE10hipError_tPvRmT1_PNSt15iterator_traitsIS13_E10value_typeET2_T3_PNS14_IS19_E10value_typeET4_jRbjT5_S1F_jjP12ihipStream_tbEUljE_ZNSN_ISO_Lb1ESR_SS_SU_SV_SZ_EES10_S11_S12_S13_S17_S18_S19_S1C_S1D_jS1E_jS1F_S1F_jjS1H_bEUljE0_EEES10_S11_S12_S19_S1D_S1F_T6_T7_T9_mT8_S1H_bDpT10_ENKUlT_T0_E_clISt17integral_constantIbLb1EES1U_IbLb0EEEEDaS1Q_S1R_EUlS1Q_E_NS1_11comp_targetILNS1_3genE5ELNS1_11target_archE942ELNS1_3gpuE9ELNS1_3repE0EEENS1_30default_config_static_selectorELNS0_4arch9wavefront6targetE0EEEvS13_.has_dyn_sized_stack, 0
	.set _ZN7rocprim17ROCPRIM_400000_NS6detail17trampoline_kernelINS0_13select_configILj256ELj13ELNS0_17block_load_methodE3ELS4_3ELS4_3ELNS0_20block_scan_algorithmE0ELj4294967295EEENS1_25partition_config_selectorILNS1_17partition_subalgoE4EjNS0_10empty_typeEbEEZZNS1_14partition_implILS8_4ELb0ES6_15HIP_vector_typeIjLj2EENS0_17counting_iteratorIjlEEPS9_SG_NS0_5tupleIJPjSI_NS0_16reverse_iteratorISI_EEEEENSH_IJSG_SG_SG_EEES9_SI_JZNS1_25segmented_radix_sort_implINS0_14default_configELb1EPK6__halfPSP_PKlPlN2at6native12_GLOBAL__N_18offset_tEEE10hipError_tPvRmT1_PNSt15iterator_traitsIS13_E10value_typeET2_T3_PNS14_IS19_E10value_typeET4_jRbjT5_S1F_jjP12ihipStream_tbEUljE_ZNSN_ISO_Lb1ESR_SS_SU_SV_SZ_EES10_S11_S12_S13_S17_S18_S19_S1C_S1D_jS1E_jS1F_S1F_jjS1H_bEUljE0_EEES10_S11_S12_S19_S1D_S1F_T6_T7_T9_mT8_S1H_bDpT10_ENKUlT_T0_E_clISt17integral_constantIbLb1EES1U_IbLb0EEEEDaS1Q_S1R_EUlS1Q_E_NS1_11comp_targetILNS1_3genE5ELNS1_11target_archE942ELNS1_3gpuE9ELNS1_3repE0EEENS1_30default_config_static_selectorELNS0_4arch9wavefront6targetE0EEEvS13_.has_recursion, 0
	.set _ZN7rocprim17ROCPRIM_400000_NS6detail17trampoline_kernelINS0_13select_configILj256ELj13ELNS0_17block_load_methodE3ELS4_3ELS4_3ELNS0_20block_scan_algorithmE0ELj4294967295EEENS1_25partition_config_selectorILNS1_17partition_subalgoE4EjNS0_10empty_typeEbEEZZNS1_14partition_implILS8_4ELb0ES6_15HIP_vector_typeIjLj2EENS0_17counting_iteratorIjlEEPS9_SG_NS0_5tupleIJPjSI_NS0_16reverse_iteratorISI_EEEEENSH_IJSG_SG_SG_EEES9_SI_JZNS1_25segmented_radix_sort_implINS0_14default_configELb1EPK6__halfPSP_PKlPlN2at6native12_GLOBAL__N_18offset_tEEE10hipError_tPvRmT1_PNSt15iterator_traitsIS13_E10value_typeET2_T3_PNS14_IS19_E10value_typeET4_jRbjT5_S1F_jjP12ihipStream_tbEUljE_ZNSN_ISO_Lb1ESR_SS_SU_SV_SZ_EES10_S11_S12_S13_S17_S18_S19_S1C_S1D_jS1E_jS1F_S1F_jjS1H_bEUljE0_EEES10_S11_S12_S19_S1D_S1F_T6_T7_T9_mT8_S1H_bDpT10_ENKUlT_T0_E_clISt17integral_constantIbLb1EES1U_IbLb0EEEEDaS1Q_S1R_EUlS1Q_E_NS1_11comp_targetILNS1_3genE5ELNS1_11target_archE942ELNS1_3gpuE9ELNS1_3repE0EEENS1_30default_config_static_selectorELNS0_4arch9wavefront6targetE0EEEvS13_.has_indirect_call, 0
	.section	.AMDGPU.csdata,"",@progbits
; Kernel info:
; codeLenInByte = 0
; TotalNumSgprs: 0
; NumVgprs: 0
; ScratchSize: 0
; MemoryBound: 0
; FloatMode: 240
; IeeeMode: 1
; LDSByteSize: 0 bytes/workgroup (compile time only)
; SGPRBlocks: 0
; VGPRBlocks: 0
; NumSGPRsForWavesPerEU: 1
; NumVGPRsForWavesPerEU: 1
; NamedBarCnt: 0
; Occupancy: 16
; WaveLimiterHint : 0
; COMPUTE_PGM_RSRC2:SCRATCH_EN: 0
; COMPUTE_PGM_RSRC2:USER_SGPR: 2
; COMPUTE_PGM_RSRC2:TRAP_HANDLER: 0
; COMPUTE_PGM_RSRC2:TGID_X_EN: 1
; COMPUTE_PGM_RSRC2:TGID_Y_EN: 0
; COMPUTE_PGM_RSRC2:TGID_Z_EN: 0
; COMPUTE_PGM_RSRC2:TIDIG_COMP_CNT: 0
	.section	.text._ZN7rocprim17ROCPRIM_400000_NS6detail17trampoline_kernelINS0_13select_configILj256ELj13ELNS0_17block_load_methodE3ELS4_3ELS4_3ELNS0_20block_scan_algorithmE0ELj4294967295EEENS1_25partition_config_selectorILNS1_17partition_subalgoE4EjNS0_10empty_typeEbEEZZNS1_14partition_implILS8_4ELb0ES6_15HIP_vector_typeIjLj2EENS0_17counting_iteratorIjlEEPS9_SG_NS0_5tupleIJPjSI_NS0_16reverse_iteratorISI_EEEEENSH_IJSG_SG_SG_EEES9_SI_JZNS1_25segmented_radix_sort_implINS0_14default_configELb1EPK6__halfPSP_PKlPlN2at6native12_GLOBAL__N_18offset_tEEE10hipError_tPvRmT1_PNSt15iterator_traitsIS13_E10value_typeET2_T3_PNS14_IS19_E10value_typeET4_jRbjT5_S1F_jjP12ihipStream_tbEUljE_ZNSN_ISO_Lb1ESR_SS_SU_SV_SZ_EES10_S11_S12_S13_S17_S18_S19_S1C_S1D_jS1E_jS1F_S1F_jjS1H_bEUljE0_EEES10_S11_S12_S19_S1D_S1F_T6_T7_T9_mT8_S1H_bDpT10_ENKUlT_T0_E_clISt17integral_constantIbLb1EES1U_IbLb0EEEEDaS1Q_S1R_EUlS1Q_E_NS1_11comp_targetILNS1_3genE4ELNS1_11target_archE910ELNS1_3gpuE8ELNS1_3repE0EEENS1_30default_config_static_selectorELNS0_4arch9wavefront6targetE0EEEvS13_,"axG",@progbits,_ZN7rocprim17ROCPRIM_400000_NS6detail17trampoline_kernelINS0_13select_configILj256ELj13ELNS0_17block_load_methodE3ELS4_3ELS4_3ELNS0_20block_scan_algorithmE0ELj4294967295EEENS1_25partition_config_selectorILNS1_17partition_subalgoE4EjNS0_10empty_typeEbEEZZNS1_14partition_implILS8_4ELb0ES6_15HIP_vector_typeIjLj2EENS0_17counting_iteratorIjlEEPS9_SG_NS0_5tupleIJPjSI_NS0_16reverse_iteratorISI_EEEEENSH_IJSG_SG_SG_EEES9_SI_JZNS1_25segmented_radix_sort_implINS0_14default_configELb1EPK6__halfPSP_PKlPlN2at6native12_GLOBAL__N_18offset_tEEE10hipError_tPvRmT1_PNSt15iterator_traitsIS13_E10value_typeET2_T3_PNS14_IS19_E10value_typeET4_jRbjT5_S1F_jjP12ihipStream_tbEUljE_ZNSN_ISO_Lb1ESR_SS_SU_SV_SZ_EES10_S11_S12_S13_S17_S18_S19_S1C_S1D_jS1E_jS1F_S1F_jjS1H_bEUljE0_EEES10_S11_S12_S19_S1D_S1F_T6_T7_T9_mT8_S1H_bDpT10_ENKUlT_T0_E_clISt17integral_constantIbLb1EES1U_IbLb0EEEEDaS1Q_S1R_EUlS1Q_E_NS1_11comp_targetILNS1_3genE4ELNS1_11target_archE910ELNS1_3gpuE8ELNS1_3repE0EEENS1_30default_config_static_selectorELNS0_4arch9wavefront6targetE0EEEvS13_,comdat
	.globl	_ZN7rocprim17ROCPRIM_400000_NS6detail17trampoline_kernelINS0_13select_configILj256ELj13ELNS0_17block_load_methodE3ELS4_3ELS4_3ELNS0_20block_scan_algorithmE0ELj4294967295EEENS1_25partition_config_selectorILNS1_17partition_subalgoE4EjNS0_10empty_typeEbEEZZNS1_14partition_implILS8_4ELb0ES6_15HIP_vector_typeIjLj2EENS0_17counting_iteratorIjlEEPS9_SG_NS0_5tupleIJPjSI_NS0_16reverse_iteratorISI_EEEEENSH_IJSG_SG_SG_EEES9_SI_JZNS1_25segmented_radix_sort_implINS0_14default_configELb1EPK6__halfPSP_PKlPlN2at6native12_GLOBAL__N_18offset_tEEE10hipError_tPvRmT1_PNSt15iterator_traitsIS13_E10value_typeET2_T3_PNS14_IS19_E10value_typeET4_jRbjT5_S1F_jjP12ihipStream_tbEUljE_ZNSN_ISO_Lb1ESR_SS_SU_SV_SZ_EES10_S11_S12_S13_S17_S18_S19_S1C_S1D_jS1E_jS1F_S1F_jjS1H_bEUljE0_EEES10_S11_S12_S19_S1D_S1F_T6_T7_T9_mT8_S1H_bDpT10_ENKUlT_T0_E_clISt17integral_constantIbLb1EES1U_IbLb0EEEEDaS1Q_S1R_EUlS1Q_E_NS1_11comp_targetILNS1_3genE4ELNS1_11target_archE910ELNS1_3gpuE8ELNS1_3repE0EEENS1_30default_config_static_selectorELNS0_4arch9wavefront6targetE0EEEvS13_ ; -- Begin function _ZN7rocprim17ROCPRIM_400000_NS6detail17trampoline_kernelINS0_13select_configILj256ELj13ELNS0_17block_load_methodE3ELS4_3ELS4_3ELNS0_20block_scan_algorithmE0ELj4294967295EEENS1_25partition_config_selectorILNS1_17partition_subalgoE4EjNS0_10empty_typeEbEEZZNS1_14partition_implILS8_4ELb0ES6_15HIP_vector_typeIjLj2EENS0_17counting_iteratorIjlEEPS9_SG_NS0_5tupleIJPjSI_NS0_16reverse_iteratorISI_EEEEENSH_IJSG_SG_SG_EEES9_SI_JZNS1_25segmented_radix_sort_implINS0_14default_configELb1EPK6__halfPSP_PKlPlN2at6native12_GLOBAL__N_18offset_tEEE10hipError_tPvRmT1_PNSt15iterator_traitsIS13_E10value_typeET2_T3_PNS14_IS19_E10value_typeET4_jRbjT5_S1F_jjP12ihipStream_tbEUljE_ZNSN_ISO_Lb1ESR_SS_SU_SV_SZ_EES10_S11_S12_S13_S17_S18_S19_S1C_S1D_jS1E_jS1F_S1F_jjS1H_bEUljE0_EEES10_S11_S12_S19_S1D_S1F_T6_T7_T9_mT8_S1H_bDpT10_ENKUlT_T0_E_clISt17integral_constantIbLb1EES1U_IbLb0EEEEDaS1Q_S1R_EUlS1Q_E_NS1_11comp_targetILNS1_3genE4ELNS1_11target_archE910ELNS1_3gpuE8ELNS1_3repE0EEENS1_30default_config_static_selectorELNS0_4arch9wavefront6targetE0EEEvS13_
	.p2align	8
	.type	_ZN7rocprim17ROCPRIM_400000_NS6detail17trampoline_kernelINS0_13select_configILj256ELj13ELNS0_17block_load_methodE3ELS4_3ELS4_3ELNS0_20block_scan_algorithmE0ELj4294967295EEENS1_25partition_config_selectorILNS1_17partition_subalgoE4EjNS0_10empty_typeEbEEZZNS1_14partition_implILS8_4ELb0ES6_15HIP_vector_typeIjLj2EENS0_17counting_iteratorIjlEEPS9_SG_NS0_5tupleIJPjSI_NS0_16reverse_iteratorISI_EEEEENSH_IJSG_SG_SG_EEES9_SI_JZNS1_25segmented_radix_sort_implINS0_14default_configELb1EPK6__halfPSP_PKlPlN2at6native12_GLOBAL__N_18offset_tEEE10hipError_tPvRmT1_PNSt15iterator_traitsIS13_E10value_typeET2_T3_PNS14_IS19_E10value_typeET4_jRbjT5_S1F_jjP12ihipStream_tbEUljE_ZNSN_ISO_Lb1ESR_SS_SU_SV_SZ_EES10_S11_S12_S13_S17_S18_S19_S1C_S1D_jS1E_jS1F_S1F_jjS1H_bEUljE0_EEES10_S11_S12_S19_S1D_S1F_T6_T7_T9_mT8_S1H_bDpT10_ENKUlT_T0_E_clISt17integral_constantIbLb1EES1U_IbLb0EEEEDaS1Q_S1R_EUlS1Q_E_NS1_11comp_targetILNS1_3genE4ELNS1_11target_archE910ELNS1_3gpuE8ELNS1_3repE0EEENS1_30default_config_static_selectorELNS0_4arch9wavefront6targetE0EEEvS13_,@function
_ZN7rocprim17ROCPRIM_400000_NS6detail17trampoline_kernelINS0_13select_configILj256ELj13ELNS0_17block_load_methodE3ELS4_3ELS4_3ELNS0_20block_scan_algorithmE0ELj4294967295EEENS1_25partition_config_selectorILNS1_17partition_subalgoE4EjNS0_10empty_typeEbEEZZNS1_14partition_implILS8_4ELb0ES6_15HIP_vector_typeIjLj2EENS0_17counting_iteratorIjlEEPS9_SG_NS0_5tupleIJPjSI_NS0_16reverse_iteratorISI_EEEEENSH_IJSG_SG_SG_EEES9_SI_JZNS1_25segmented_radix_sort_implINS0_14default_configELb1EPK6__halfPSP_PKlPlN2at6native12_GLOBAL__N_18offset_tEEE10hipError_tPvRmT1_PNSt15iterator_traitsIS13_E10value_typeET2_T3_PNS14_IS19_E10value_typeET4_jRbjT5_S1F_jjP12ihipStream_tbEUljE_ZNSN_ISO_Lb1ESR_SS_SU_SV_SZ_EES10_S11_S12_S13_S17_S18_S19_S1C_S1D_jS1E_jS1F_S1F_jjS1H_bEUljE0_EEES10_S11_S12_S19_S1D_S1F_T6_T7_T9_mT8_S1H_bDpT10_ENKUlT_T0_E_clISt17integral_constantIbLb1EES1U_IbLb0EEEEDaS1Q_S1R_EUlS1Q_E_NS1_11comp_targetILNS1_3genE4ELNS1_11target_archE910ELNS1_3gpuE8ELNS1_3repE0EEENS1_30default_config_static_selectorELNS0_4arch9wavefront6targetE0EEEvS13_: ; @_ZN7rocprim17ROCPRIM_400000_NS6detail17trampoline_kernelINS0_13select_configILj256ELj13ELNS0_17block_load_methodE3ELS4_3ELS4_3ELNS0_20block_scan_algorithmE0ELj4294967295EEENS1_25partition_config_selectorILNS1_17partition_subalgoE4EjNS0_10empty_typeEbEEZZNS1_14partition_implILS8_4ELb0ES6_15HIP_vector_typeIjLj2EENS0_17counting_iteratorIjlEEPS9_SG_NS0_5tupleIJPjSI_NS0_16reverse_iteratorISI_EEEEENSH_IJSG_SG_SG_EEES9_SI_JZNS1_25segmented_radix_sort_implINS0_14default_configELb1EPK6__halfPSP_PKlPlN2at6native12_GLOBAL__N_18offset_tEEE10hipError_tPvRmT1_PNSt15iterator_traitsIS13_E10value_typeET2_T3_PNS14_IS19_E10value_typeET4_jRbjT5_S1F_jjP12ihipStream_tbEUljE_ZNSN_ISO_Lb1ESR_SS_SU_SV_SZ_EES10_S11_S12_S13_S17_S18_S19_S1C_S1D_jS1E_jS1F_S1F_jjS1H_bEUljE0_EEES10_S11_S12_S19_S1D_S1F_T6_T7_T9_mT8_S1H_bDpT10_ENKUlT_T0_E_clISt17integral_constantIbLb1EES1U_IbLb0EEEEDaS1Q_S1R_EUlS1Q_E_NS1_11comp_targetILNS1_3genE4ELNS1_11target_archE910ELNS1_3gpuE8ELNS1_3repE0EEENS1_30default_config_static_selectorELNS0_4arch9wavefront6targetE0EEEvS13_
; %bb.0:
	.section	.rodata,"a",@progbits
	.p2align	6, 0x0
	.amdhsa_kernel _ZN7rocprim17ROCPRIM_400000_NS6detail17trampoline_kernelINS0_13select_configILj256ELj13ELNS0_17block_load_methodE3ELS4_3ELS4_3ELNS0_20block_scan_algorithmE0ELj4294967295EEENS1_25partition_config_selectorILNS1_17partition_subalgoE4EjNS0_10empty_typeEbEEZZNS1_14partition_implILS8_4ELb0ES6_15HIP_vector_typeIjLj2EENS0_17counting_iteratorIjlEEPS9_SG_NS0_5tupleIJPjSI_NS0_16reverse_iteratorISI_EEEEENSH_IJSG_SG_SG_EEES9_SI_JZNS1_25segmented_radix_sort_implINS0_14default_configELb1EPK6__halfPSP_PKlPlN2at6native12_GLOBAL__N_18offset_tEEE10hipError_tPvRmT1_PNSt15iterator_traitsIS13_E10value_typeET2_T3_PNS14_IS19_E10value_typeET4_jRbjT5_S1F_jjP12ihipStream_tbEUljE_ZNSN_ISO_Lb1ESR_SS_SU_SV_SZ_EES10_S11_S12_S13_S17_S18_S19_S1C_S1D_jS1E_jS1F_S1F_jjS1H_bEUljE0_EEES10_S11_S12_S19_S1D_S1F_T6_T7_T9_mT8_S1H_bDpT10_ENKUlT_T0_E_clISt17integral_constantIbLb1EES1U_IbLb0EEEEDaS1Q_S1R_EUlS1Q_E_NS1_11comp_targetILNS1_3genE4ELNS1_11target_archE910ELNS1_3gpuE8ELNS1_3repE0EEENS1_30default_config_static_selectorELNS0_4arch9wavefront6targetE0EEEvS13_
		.amdhsa_group_segment_fixed_size 0
		.amdhsa_private_segment_fixed_size 0
		.amdhsa_kernarg_size 176
		.amdhsa_user_sgpr_count 2
		.amdhsa_user_sgpr_dispatch_ptr 0
		.amdhsa_user_sgpr_queue_ptr 0
		.amdhsa_user_sgpr_kernarg_segment_ptr 1
		.amdhsa_user_sgpr_dispatch_id 0
		.amdhsa_user_sgpr_kernarg_preload_length 0
		.amdhsa_user_sgpr_kernarg_preload_offset 0
		.amdhsa_user_sgpr_private_segment_size 0
		.amdhsa_wavefront_size32 1
		.amdhsa_uses_dynamic_stack 0
		.amdhsa_enable_private_segment 0
		.amdhsa_system_sgpr_workgroup_id_x 1
		.amdhsa_system_sgpr_workgroup_id_y 0
		.amdhsa_system_sgpr_workgroup_id_z 0
		.amdhsa_system_sgpr_workgroup_info 0
		.amdhsa_system_vgpr_workitem_id 0
		.amdhsa_next_free_vgpr 1
		.amdhsa_next_free_sgpr 1
		.amdhsa_named_barrier_count 0
		.amdhsa_reserve_vcc 0
		.amdhsa_float_round_mode_32 0
		.amdhsa_float_round_mode_16_64 0
		.amdhsa_float_denorm_mode_32 3
		.amdhsa_float_denorm_mode_16_64 3
		.amdhsa_fp16_overflow 0
		.amdhsa_memory_ordered 1
		.amdhsa_forward_progress 1
		.amdhsa_inst_pref_size 0
		.amdhsa_round_robin_scheduling 0
		.amdhsa_exception_fp_ieee_invalid_op 0
		.amdhsa_exception_fp_denorm_src 0
		.amdhsa_exception_fp_ieee_div_zero 0
		.amdhsa_exception_fp_ieee_overflow 0
		.amdhsa_exception_fp_ieee_underflow 0
		.amdhsa_exception_fp_ieee_inexact 0
		.amdhsa_exception_int_div_zero 0
	.end_amdhsa_kernel
	.section	.text._ZN7rocprim17ROCPRIM_400000_NS6detail17trampoline_kernelINS0_13select_configILj256ELj13ELNS0_17block_load_methodE3ELS4_3ELS4_3ELNS0_20block_scan_algorithmE0ELj4294967295EEENS1_25partition_config_selectorILNS1_17partition_subalgoE4EjNS0_10empty_typeEbEEZZNS1_14partition_implILS8_4ELb0ES6_15HIP_vector_typeIjLj2EENS0_17counting_iteratorIjlEEPS9_SG_NS0_5tupleIJPjSI_NS0_16reverse_iteratorISI_EEEEENSH_IJSG_SG_SG_EEES9_SI_JZNS1_25segmented_radix_sort_implINS0_14default_configELb1EPK6__halfPSP_PKlPlN2at6native12_GLOBAL__N_18offset_tEEE10hipError_tPvRmT1_PNSt15iterator_traitsIS13_E10value_typeET2_T3_PNS14_IS19_E10value_typeET4_jRbjT5_S1F_jjP12ihipStream_tbEUljE_ZNSN_ISO_Lb1ESR_SS_SU_SV_SZ_EES10_S11_S12_S13_S17_S18_S19_S1C_S1D_jS1E_jS1F_S1F_jjS1H_bEUljE0_EEES10_S11_S12_S19_S1D_S1F_T6_T7_T9_mT8_S1H_bDpT10_ENKUlT_T0_E_clISt17integral_constantIbLb1EES1U_IbLb0EEEEDaS1Q_S1R_EUlS1Q_E_NS1_11comp_targetILNS1_3genE4ELNS1_11target_archE910ELNS1_3gpuE8ELNS1_3repE0EEENS1_30default_config_static_selectorELNS0_4arch9wavefront6targetE0EEEvS13_,"axG",@progbits,_ZN7rocprim17ROCPRIM_400000_NS6detail17trampoline_kernelINS0_13select_configILj256ELj13ELNS0_17block_load_methodE3ELS4_3ELS4_3ELNS0_20block_scan_algorithmE0ELj4294967295EEENS1_25partition_config_selectorILNS1_17partition_subalgoE4EjNS0_10empty_typeEbEEZZNS1_14partition_implILS8_4ELb0ES6_15HIP_vector_typeIjLj2EENS0_17counting_iteratorIjlEEPS9_SG_NS0_5tupleIJPjSI_NS0_16reverse_iteratorISI_EEEEENSH_IJSG_SG_SG_EEES9_SI_JZNS1_25segmented_radix_sort_implINS0_14default_configELb1EPK6__halfPSP_PKlPlN2at6native12_GLOBAL__N_18offset_tEEE10hipError_tPvRmT1_PNSt15iterator_traitsIS13_E10value_typeET2_T3_PNS14_IS19_E10value_typeET4_jRbjT5_S1F_jjP12ihipStream_tbEUljE_ZNSN_ISO_Lb1ESR_SS_SU_SV_SZ_EES10_S11_S12_S13_S17_S18_S19_S1C_S1D_jS1E_jS1F_S1F_jjS1H_bEUljE0_EEES10_S11_S12_S19_S1D_S1F_T6_T7_T9_mT8_S1H_bDpT10_ENKUlT_T0_E_clISt17integral_constantIbLb1EES1U_IbLb0EEEEDaS1Q_S1R_EUlS1Q_E_NS1_11comp_targetILNS1_3genE4ELNS1_11target_archE910ELNS1_3gpuE8ELNS1_3repE0EEENS1_30default_config_static_selectorELNS0_4arch9wavefront6targetE0EEEvS13_,comdat
.Lfunc_end1683:
	.size	_ZN7rocprim17ROCPRIM_400000_NS6detail17trampoline_kernelINS0_13select_configILj256ELj13ELNS0_17block_load_methodE3ELS4_3ELS4_3ELNS0_20block_scan_algorithmE0ELj4294967295EEENS1_25partition_config_selectorILNS1_17partition_subalgoE4EjNS0_10empty_typeEbEEZZNS1_14partition_implILS8_4ELb0ES6_15HIP_vector_typeIjLj2EENS0_17counting_iteratorIjlEEPS9_SG_NS0_5tupleIJPjSI_NS0_16reverse_iteratorISI_EEEEENSH_IJSG_SG_SG_EEES9_SI_JZNS1_25segmented_radix_sort_implINS0_14default_configELb1EPK6__halfPSP_PKlPlN2at6native12_GLOBAL__N_18offset_tEEE10hipError_tPvRmT1_PNSt15iterator_traitsIS13_E10value_typeET2_T3_PNS14_IS19_E10value_typeET4_jRbjT5_S1F_jjP12ihipStream_tbEUljE_ZNSN_ISO_Lb1ESR_SS_SU_SV_SZ_EES10_S11_S12_S13_S17_S18_S19_S1C_S1D_jS1E_jS1F_S1F_jjS1H_bEUljE0_EEES10_S11_S12_S19_S1D_S1F_T6_T7_T9_mT8_S1H_bDpT10_ENKUlT_T0_E_clISt17integral_constantIbLb1EES1U_IbLb0EEEEDaS1Q_S1R_EUlS1Q_E_NS1_11comp_targetILNS1_3genE4ELNS1_11target_archE910ELNS1_3gpuE8ELNS1_3repE0EEENS1_30default_config_static_selectorELNS0_4arch9wavefront6targetE0EEEvS13_, .Lfunc_end1683-_ZN7rocprim17ROCPRIM_400000_NS6detail17trampoline_kernelINS0_13select_configILj256ELj13ELNS0_17block_load_methodE3ELS4_3ELS4_3ELNS0_20block_scan_algorithmE0ELj4294967295EEENS1_25partition_config_selectorILNS1_17partition_subalgoE4EjNS0_10empty_typeEbEEZZNS1_14partition_implILS8_4ELb0ES6_15HIP_vector_typeIjLj2EENS0_17counting_iteratorIjlEEPS9_SG_NS0_5tupleIJPjSI_NS0_16reverse_iteratorISI_EEEEENSH_IJSG_SG_SG_EEES9_SI_JZNS1_25segmented_radix_sort_implINS0_14default_configELb1EPK6__halfPSP_PKlPlN2at6native12_GLOBAL__N_18offset_tEEE10hipError_tPvRmT1_PNSt15iterator_traitsIS13_E10value_typeET2_T3_PNS14_IS19_E10value_typeET4_jRbjT5_S1F_jjP12ihipStream_tbEUljE_ZNSN_ISO_Lb1ESR_SS_SU_SV_SZ_EES10_S11_S12_S13_S17_S18_S19_S1C_S1D_jS1E_jS1F_S1F_jjS1H_bEUljE0_EEES10_S11_S12_S19_S1D_S1F_T6_T7_T9_mT8_S1H_bDpT10_ENKUlT_T0_E_clISt17integral_constantIbLb1EES1U_IbLb0EEEEDaS1Q_S1R_EUlS1Q_E_NS1_11comp_targetILNS1_3genE4ELNS1_11target_archE910ELNS1_3gpuE8ELNS1_3repE0EEENS1_30default_config_static_selectorELNS0_4arch9wavefront6targetE0EEEvS13_
                                        ; -- End function
	.set _ZN7rocprim17ROCPRIM_400000_NS6detail17trampoline_kernelINS0_13select_configILj256ELj13ELNS0_17block_load_methodE3ELS4_3ELS4_3ELNS0_20block_scan_algorithmE0ELj4294967295EEENS1_25partition_config_selectorILNS1_17partition_subalgoE4EjNS0_10empty_typeEbEEZZNS1_14partition_implILS8_4ELb0ES6_15HIP_vector_typeIjLj2EENS0_17counting_iteratorIjlEEPS9_SG_NS0_5tupleIJPjSI_NS0_16reverse_iteratorISI_EEEEENSH_IJSG_SG_SG_EEES9_SI_JZNS1_25segmented_radix_sort_implINS0_14default_configELb1EPK6__halfPSP_PKlPlN2at6native12_GLOBAL__N_18offset_tEEE10hipError_tPvRmT1_PNSt15iterator_traitsIS13_E10value_typeET2_T3_PNS14_IS19_E10value_typeET4_jRbjT5_S1F_jjP12ihipStream_tbEUljE_ZNSN_ISO_Lb1ESR_SS_SU_SV_SZ_EES10_S11_S12_S13_S17_S18_S19_S1C_S1D_jS1E_jS1F_S1F_jjS1H_bEUljE0_EEES10_S11_S12_S19_S1D_S1F_T6_T7_T9_mT8_S1H_bDpT10_ENKUlT_T0_E_clISt17integral_constantIbLb1EES1U_IbLb0EEEEDaS1Q_S1R_EUlS1Q_E_NS1_11comp_targetILNS1_3genE4ELNS1_11target_archE910ELNS1_3gpuE8ELNS1_3repE0EEENS1_30default_config_static_selectorELNS0_4arch9wavefront6targetE0EEEvS13_.num_vgpr, 0
	.set _ZN7rocprim17ROCPRIM_400000_NS6detail17trampoline_kernelINS0_13select_configILj256ELj13ELNS0_17block_load_methodE3ELS4_3ELS4_3ELNS0_20block_scan_algorithmE0ELj4294967295EEENS1_25partition_config_selectorILNS1_17partition_subalgoE4EjNS0_10empty_typeEbEEZZNS1_14partition_implILS8_4ELb0ES6_15HIP_vector_typeIjLj2EENS0_17counting_iteratorIjlEEPS9_SG_NS0_5tupleIJPjSI_NS0_16reverse_iteratorISI_EEEEENSH_IJSG_SG_SG_EEES9_SI_JZNS1_25segmented_radix_sort_implINS0_14default_configELb1EPK6__halfPSP_PKlPlN2at6native12_GLOBAL__N_18offset_tEEE10hipError_tPvRmT1_PNSt15iterator_traitsIS13_E10value_typeET2_T3_PNS14_IS19_E10value_typeET4_jRbjT5_S1F_jjP12ihipStream_tbEUljE_ZNSN_ISO_Lb1ESR_SS_SU_SV_SZ_EES10_S11_S12_S13_S17_S18_S19_S1C_S1D_jS1E_jS1F_S1F_jjS1H_bEUljE0_EEES10_S11_S12_S19_S1D_S1F_T6_T7_T9_mT8_S1H_bDpT10_ENKUlT_T0_E_clISt17integral_constantIbLb1EES1U_IbLb0EEEEDaS1Q_S1R_EUlS1Q_E_NS1_11comp_targetILNS1_3genE4ELNS1_11target_archE910ELNS1_3gpuE8ELNS1_3repE0EEENS1_30default_config_static_selectorELNS0_4arch9wavefront6targetE0EEEvS13_.num_agpr, 0
	.set _ZN7rocprim17ROCPRIM_400000_NS6detail17trampoline_kernelINS0_13select_configILj256ELj13ELNS0_17block_load_methodE3ELS4_3ELS4_3ELNS0_20block_scan_algorithmE0ELj4294967295EEENS1_25partition_config_selectorILNS1_17partition_subalgoE4EjNS0_10empty_typeEbEEZZNS1_14partition_implILS8_4ELb0ES6_15HIP_vector_typeIjLj2EENS0_17counting_iteratorIjlEEPS9_SG_NS0_5tupleIJPjSI_NS0_16reverse_iteratorISI_EEEEENSH_IJSG_SG_SG_EEES9_SI_JZNS1_25segmented_radix_sort_implINS0_14default_configELb1EPK6__halfPSP_PKlPlN2at6native12_GLOBAL__N_18offset_tEEE10hipError_tPvRmT1_PNSt15iterator_traitsIS13_E10value_typeET2_T3_PNS14_IS19_E10value_typeET4_jRbjT5_S1F_jjP12ihipStream_tbEUljE_ZNSN_ISO_Lb1ESR_SS_SU_SV_SZ_EES10_S11_S12_S13_S17_S18_S19_S1C_S1D_jS1E_jS1F_S1F_jjS1H_bEUljE0_EEES10_S11_S12_S19_S1D_S1F_T6_T7_T9_mT8_S1H_bDpT10_ENKUlT_T0_E_clISt17integral_constantIbLb1EES1U_IbLb0EEEEDaS1Q_S1R_EUlS1Q_E_NS1_11comp_targetILNS1_3genE4ELNS1_11target_archE910ELNS1_3gpuE8ELNS1_3repE0EEENS1_30default_config_static_selectorELNS0_4arch9wavefront6targetE0EEEvS13_.numbered_sgpr, 0
	.set _ZN7rocprim17ROCPRIM_400000_NS6detail17trampoline_kernelINS0_13select_configILj256ELj13ELNS0_17block_load_methodE3ELS4_3ELS4_3ELNS0_20block_scan_algorithmE0ELj4294967295EEENS1_25partition_config_selectorILNS1_17partition_subalgoE4EjNS0_10empty_typeEbEEZZNS1_14partition_implILS8_4ELb0ES6_15HIP_vector_typeIjLj2EENS0_17counting_iteratorIjlEEPS9_SG_NS0_5tupleIJPjSI_NS0_16reverse_iteratorISI_EEEEENSH_IJSG_SG_SG_EEES9_SI_JZNS1_25segmented_radix_sort_implINS0_14default_configELb1EPK6__halfPSP_PKlPlN2at6native12_GLOBAL__N_18offset_tEEE10hipError_tPvRmT1_PNSt15iterator_traitsIS13_E10value_typeET2_T3_PNS14_IS19_E10value_typeET4_jRbjT5_S1F_jjP12ihipStream_tbEUljE_ZNSN_ISO_Lb1ESR_SS_SU_SV_SZ_EES10_S11_S12_S13_S17_S18_S19_S1C_S1D_jS1E_jS1F_S1F_jjS1H_bEUljE0_EEES10_S11_S12_S19_S1D_S1F_T6_T7_T9_mT8_S1H_bDpT10_ENKUlT_T0_E_clISt17integral_constantIbLb1EES1U_IbLb0EEEEDaS1Q_S1R_EUlS1Q_E_NS1_11comp_targetILNS1_3genE4ELNS1_11target_archE910ELNS1_3gpuE8ELNS1_3repE0EEENS1_30default_config_static_selectorELNS0_4arch9wavefront6targetE0EEEvS13_.num_named_barrier, 0
	.set _ZN7rocprim17ROCPRIM_400000_NS6detail17trampoline_kernelINS0_13select_configILj256ELj13ELNS0_17block_load_methodE3ELS4_3ELS4_3ELNS0_20block_scan_algorithmE0ELj4294967295EEENS1_25partition_config_selectorILNS1_17partition_subalgoE4EjNS0_10empty_typeEbEEZZNS1_14partition_implILS8_4ELb0ES6_15HIP_vector_typeIjLj2EENS0_17counting_iteratorIjlEEPS9_SG_NS0_5tupleIJPjSI_NS0_16reverse_iteratorISI_EEEEENSH_IJSG_SG_SG_EEES9_SI_JZNS1_25segmented_radix_sort_implINS0_14default_configELb1EPK6__halfPSP_PKlPlN2at6native12_GLOBAL__N_18offset_tEEE10hipError_tPvRmT1_PNSt15iterator_traitsIS13_E10value_typeET2_T3_PNS14_IS19_E10value_typeET4_jRbjT5_S1F_jjP12ihipStream_tbEUljE_ZNSN_ISO_Lb1ESR_SS_SU_SV_SZ_EES10_S11_S12_S13_S17_S18_S19_S1C_S1D_jS1E_jS1F_S1F_jjS1H_bEUljE0_EEES10_S11_S12_S19_S1D_S1F_T6_T7_T9_mT8_S1H_bDpT10_ENKUlT_T0_E_clISt17integral_constantIbLb1EES1U_IbLb0EEEEDaS1Q_S1R_EUlS1Q_E_NS1_11comp_targetILNS1_3genE4ELNS1_11target_archE910ELNS1_3gpuE8ELNS1_3repE0EEENS1_30default_config_static_selectorELNS0_4arch9wavefront6targetE0EEEvS13_.private_seg_size, 0
	.set _ZN7rocprim17ROCPRIM_400000_NS6detail17trampoline_kernelINS0_13select_configILj256ELj13ELNS0_17block_load_methodE3ELS4_3ELS4_3ELNS0_20block_scan_algorithmE0ELj4294967295EEENS1_25partition_config_selectorILNS1_17partition_subalgoE4EjNS0_10empty_typeEbEEZZNS1_14partition_implILS8_4ELb0ES6_15HIP_vector_typeIjLj2EENS0_17counting_iteratorIjlEEPS9_SG_NS0_5tupleIJPjSI_NS0_16reverse_iteratorISI_EEEEENSH_IJSG_SG_SG_EEES9_SI_JZNS1_25segmented_radix_sort_implINS0_14default_configELb1EPK6__halfPSP_PKlPlN2at6native12_GLOBAL__N_18offset_tEEE10hipError_tPvRmT1_PNSt15iterator_traitsIS13_E10value_typeET2_T3_PNS14_IS19_E10value_typeET4_jRbjT5_S1F_jjP12ihipStream_tbEUljE_ZNSN_ISO_Lb1ESR_SS_SU_SV_SZ_EES10_S11_S12_S13_S17_S18_S19_S1C_S1D_jS1E_jS1F_S1F_jjS1H_bEUljE0_EEES10_S11_S12_S19_S1D_S1F_T6_T7_T9_mT8_S1H_bDpT10_ENKUlT_T0_E_clISt17integral_constantIbLb1EES1U_IbLb0EEEEDaS1Q_S1R_EUlS1Q_E_NS1_11comp_targetILNS1_3genE4ELNS1_11target_archE910ELNS1_3gpuE8ELNS1_3repE0EEENS1_30default_config_static_selectorELNS0_4arch9wavefront6targetE0EEEvS13_.uses_vcc, 0
	.set _ZN7rocprim17ROCPRIM_400000_NS6detail17trampoline_kernelINS0_13select_configILj256ELj13ELNS0_17block_load_methodE3ELS4_3ELS4_3ELNS0_20block_scan_algorithmE0ELj4294967295EEENS1_25partition_config_selectorILNS1_17partition_subalgoE4EjNS0_10empty_typeEbEEZZNS1_14partition_implILS8_4ELb0ES6_15HIP_vector_typeIjLj2EENS0_17counting_iteratorIjlEEPS9_SG_NS0_5tupleIJPjSI_NS0_16reverse_iteratorISI_EEEEENSH_IJSG_SG_SG_EEES9_SI_JZNS1_25segmented_radix_sort_implINS0_14default_configELb1EPK6__halfPSP_PKlPlN2at6native12_GLOBAL__N_18offset_tEEE10hipError_tPvRmT1_PNSt15iterator_traitsIS13_E10value_typeET2_T3_PNS14_IS19_E10value_typeET4_jRbjT5_S1F_jjP12ihipStream_tbEUljE_ZNSN_ISO_Lb1ESR_SS_SU_SV_SZ_EES10_S11_S12_S13_S17_S18_S19_S1C_S1D_jS1E_jS1F_S1F_jjS1H_bEUljE0_EEES10_S11_S12_S19_S1D_S1F_T6_T7_T9_mT8_S1H_bDpT10_ENKUlT_T0_E_clISt17integral_constantIbLb1EES1U_IbLb0EEEEDaS1Q_S1R_EUlS1Q_E_NS1_11comp_targetILNS1_3genE4ELNS1_11target_archE910ELNS1_3gpuE8ELNS1_3repE0EEENS1_30default_config_static_selectorELNS0_4arch9wavefront6targetE0EEEvS13_.uses_flat_scratch, 0
	.set _ZN7rocprim17ROCPRIM_400000_NS6detail17trampoline_kernelINS0_13select_configILj256ELj13ELNS0_17block_load_methodE3ELS4_3ELS4_3ELNS0_20block_scan_algorithmE0ELj4294967295EEENS1_25partition_config_selectorILNS1_17partition_subalgoE4EjNS0_10empty_typeEbEEZZNS1_14partition_implILS8_4ELb0ES6_15HIP_vector_typeIjLj2EENS0_17counting_iteratorIjlEEPS9_SG_NS0_5tupleIJPjSI_NS0_16reverse_iteratorISI_EEEEENSH_IJSG_SG_SG_EEES9_SI_JZNS1_25segmented_radix_sort_implINS0_14default_configELb1EPK6__halfPSP_PKlPlN2at6native12_GLOBAL__N_18offset_tEEE10hipError_tPvRmT1_PNSt15iterator_traitsIS13_E10value_typeET2_T3_PNS14_IS19_E10value_typeET4_jRbjT5_S1F_jjP12ihipStream_tbEUljE_ZNSN_ISO_Lb1ESR_SS_SU_SV_SZ_EES10_S11_S12_S13_S17_S18_S19_S1C_S1D_jS1E_jS1F_S1F_jjS1H_bEUljE0_EEES10_S11_S12_S19_S1D_S1F_T6_T7_T9_mT8_S1H_bDpT10_ENKUlT_T0_E_clISt17integral_constantIbLb1EES1U_IbLb0EEEEDaS1Q_S1R_EUlS1Q_E_NS1_11comp_targetILNS1_3genE4ELNS1_11target_archE910ELNS1_3gpuE8ELNS1_3repE0EEENS1_30default_config_static_selectorELNS0_4arch9wavefront6targetE0EEEvS13_.has_dyn_sized_stack, 0
	.set _ZN7rocprim17ROCPRIM_400000_NS6detail17trampoline_kernelINS0_13select_configILj256ELj13ELNS0_17block_load_methodE3ELS4_3ELS4_3ELNS0_20block_scan_algorithmE0ELj4294967295EEENS1_25partition_config_selectorILNS1_17partition_subalgoE4EjNS0_10empty_typeEbEEZZNS1_14partition_implILS8_4ELb0ES6_15HIP_vector_typeIjLj2EENS0_17counting_iteratorIjlEEPS9_SG_NS0_5tupleIJPjSI_NS0_16reverse_iteratorISI_EEEEENSH_IJSG_SG_SG_EEES9_SI_JZNS1_25segmented_radix_sort_implINS0_14default_configELb1EPK6__halfPSP_PKlPlN2at6native12_GLOBAL__N_18offset_tEEE10hipError_tPvRmT1_PNSt15iterator_traitsIS13_E10value_typeET2_T3_PNS14_IS19_E10value_typeET4_jRbjT5_S1F_jjP12ihipStream_tbEUljE_ZNSN_ISO_Lb1ESR_SS_SU_SV_SZ_EES10_S11_S12_S13_S17_S18_S19_S1C_S1D_jS1E_jS1F_S1F_jjS1H_bEUljE0_EEES10_S11_S12_S19_S1D_S1F_T6_T7_T9_mT8_S1H_bDpT10_ENKUlT_T0_E_clISt17integral_constantIbLb1EES1U_IbLb0EEEEDaS1Q_S1R_EUlS1Q_E_NS1_11comp_targetILNS1_3genE4ELNS1_11target_archE910ELNS1_3gpuE8ELNS1_3repE0EEENS1_30default_config_static_selectorELNS0_4arch9wavefront6targetE0EEEvS13_.has_recursion, 0
	.set _ZN7rocprim17ROCPRIM_400000_NS6detail17trampoline_kernelINS0_13select_configILj256ELj13ELNS0_17block_load_methodE3ELS4_3ELS4_3ELNS0_20block_scan_algorithmE0ELj4294967295EEENS1_25partition_config_selectorILNS1_17partition_subalgoE4EjNS0_10empty_typeEbEEZZNS1_14partition_implILS8_4ELb0ES6_15HIP_vector_typeIjLj2EENS0_17counting_iteratorIjlEEPS9_SG_NS0_5tupleIJPjSI_NS0_16reverse_iteratorISI_EEEEENSH_IJSG_SG_SG_EEES9_SI_JZNS1_25segmented_radix_sort_implINS0_14default_configELb1EPK6__halfPSP_PKlPlN2at6native12_GLOBAL__N_18offset_tEEE10hipError_tPvRmT1_PNSt15iterator_traitsIS13_E10value_typeET2_T3_PNS14_IS19_E10value_typeET4_jRbjT5_S1F_jjP12ihipStream_tbEUljE_ZNSN_ISO_Lb1ESR_SS_SU_SV_SZ_EES10_S11_S12_S13_S17_S18_S19_S1C_S1D_jS1E_jS1F_S1F_jjS1H_bEUljE0_EEES10_S11_S12_S19_S1D_S1F_T6_T7_T9_mT8_S1H_bDpT10_ENKUlT_T0_E_clISt17integral_constantIbLb1EES1U_IbLb0EEEEDaS1Q_S1R_EUlS1Q_E_NS1_11comp_targetILNS1_3genE4ELNS1_11target_archE910ELNS1_3gpuE8ELNS1_3repE0EEENS1_30default_config_static_selectorELNS0_4arch9wavefront6targetE0EEEvS13_.has_indirect_call, 0
	.section	.AMDGPU.csdata,"",@progbits
; Kernel info:
; codeLenInByte = 0
; TotalNumSgprs: 0
; NumVgprs: 0
; ScratchSize: 0
; MemoryBound: 0
; FloatMode: 240
; IeeeMode: 1
; LDSByteSize: 0 bytes/workgroup (compile time only)
; SGPRBlocks: 0
; VGPRBlocks: 0
; NumSGPRsForWavesPerEU: 1
; NumVGPRsForWavesPerEU: 1
; NamedBarCnt: 0
; Occupancy: 16
; WaveLimiterHint : 0
; COMPUTE_PGM_RSRC2:SCRATCH_EN: 0
; COMPUTE_PGM_RSRC2:USER_SGPR: 2
; COMPUTE_PGM_RSRC2:TRAP_HANDLER: 0
; COMPUTE_PGM_RSRC2:TGID_X_EN: 1
; COMPUTE_PGM_RSRC2:TGID_Y_EN: 0
; COMPUTE_PGM_RSRC2:TGID_Z_EN: 0
; COMPUTE_PGM_RSRC2:TIDIG_COMP_CNT: 0
	.section	.text._ZN7rocprim17ROCPRIM_400000_NS6detail17trampoline_kernelINS0_13select_configILj256ELj13ELNS0_17block_load_methodE3ELS4_3ELS4_3ELNS0_20block_scan_algorithmE0ELj4294967295EEENS1_25partition_config_selectorILNS1_17partition_subalgoE4EjNS0_10empty_typeEbEEZZNS1_14partition_implILS8_4ELb0ES6_15HIP_vector_typeIjLj2EENS0_17counting_iteratorIjlEEPS9_SG_NS0_5tupleIJPjSI_NS0_16reverse_iteratorISI_EEEEENSH_IJSG_SG_SG_EEES9_SI_JZNS1_25segmented_radix_sort_implINS0_14default_configELb1EPK6__halfPSP_PKlPlN2at6native12_GLOBAL__N_18offset_tEEE10hipError_tPvRmT1_PNSt15iterator_traitsIS13_E10value_typeET2_T3_PNS14_IS19_E10value_typeET4_jRbjT5_S1F_jjP12ihipStream_tbEUljE_ZNSN_ISO_Lb1ESR_SS_SU_SV_SZ_EES10_S11_S12_S13_S17_S18_S19_S1C_S1D_jS1E_jS1F_S1F_jjS1H_bEUljE0_EEES10_S11_S12_S19_S1D_S1F_T6_T7_T9_mT8_S1H_bDpT10_ENKUlT_T0_E_clISt17integral_constantIbLb1EES1U_IbLb0EEEEDaS1Q_S1R_EUlS1Q_E_NS1_11comp_targetILNS1_3genE3ELNS1_11target_archE908ELNS1_3gpuE7ELNS1_3repE0EEENS1_30default_config_static_selectorELNS0_4arch9wavefront6targetE0EEEvS13_,"axG",@progbits,_ZN7rocprim17ROCPRIM_400000_NS6detail17trampoline_kernelINS0_13select_configILj256ELj13ELNS0_17block_load_methodE3ELS4_3ELS4_3ELNS0_20block_scan_algorithmE0ELj4294967295EEENS1_25partition_config_selectorILNS1_17partition_subalgoE4EjNS0_10empty_typeEbEEZZNS1_14partition_implILS8_4ELb0ES6_15HIP_vector_typeIjLj2EENS0_17counting_iteratorIjlEEPS9_SG_NS0_5tupleIJPjSI_NS0_16reverse_iteratorISI_EEEEENSH_IJSG_SG_SG_EEES9_SI_JZNS1_25segmented_radix_sort_implINS0_14default_configELb1EPK6__halfPSP_PKlPlN2at6native12_GLOBAL__N_18offset_tEEE10hipError_tPvRmT1_PNSt15iterator_traitsIS13_E10value_typeET2_T3_PNS14_IS19_E10value_typeET4_jRbjT5_S1F_jjP12ihipStream_tbEUljE_ZNSN_ISO_Lb1ESR_SS_SU_SV_SZ_EES10_S11_S12_S13_S17_S18_S19_S1C_S1D_jS1E_jS1F_S1F_jjS1H_bEUljE0_EEES10_S11_S12_S19_S1D_S1F_T6_T7_T9_mT8_S1H_bDpT10_ENKUlT_T0_E_clISt17integral_constantIbLb1EES1U_IbLb0EEEEDaS1Q_S1R_EUlS1Q_E_NS1_11comp_targetILNS1_3genE3ELNS1_11target_archE908ELNS1_3gpuE7ELNS1_3repE0EEENS1_30default_config_static_selectorELNS0_4arch9wavefront6targetE0EEEvS13_,comdat
	.globl	_ZN7rocprim17ROCPRIM_400000_NS6detail17trampoline_kernelINS0_13select_configILj256ELj13ELNS0_17block_load_methodE3ELS4_3ELS4_3ELNS0_20block_scan_algorithmE0ELj4294967295EEENS1_25partition_config_selectorILNS1_17partition_subalgoE4EjNS0_10empty_typeEbEEZZNS1_14partition_implILS8_4ELb0ES6_15HIP_vector_typeIjLj2EENS0_17counting_iteratorIjlEEPS9_SG_NS0_5tupleIJPjSI_NS0_16reverse_iteratorISI_EEEEENSH_IJSG_SG_SG_EEES9_SI_JZNS1_25segmented_radix_sort_implINS0_14default_configELb1EPK6__halfPSP_PKlPlN2at6native12_GLOBAL__N_18offset_tEEE10hipError_tPvRmT1_PNSt15iterator_traitsIS13_E10value_typeET2_T3_PNS14_IS19_E10value_typeET4_jRbjT5_S1F_jjP12ihipStream_tbEUljE_ZNSN_ISO_Lb1ESR_SS_SU_SV_SZ_EES10_S11_S12_S13_S17_S18_S19_S1C_S1D_jS1E_jS1F_S1F_jjS1H_bEUljE0_EEES10_S11_S12_S19_S1D_S1F_T6_T7_T9_mT8_S1H_bDpT10_ENKUlT_T0_E_clISt17integral_constantIbLb1EES1U_IbLb0EEEEDaS1Q_S1R_EUlS1Q_E_NS1_11comp_targetILNS1_3genE3ELNS1_11target_archE908ELNS1_3gpuE7ELNS1_3repE0EEENS1_30default_config_static_selectorELNS0_4arch9wavefront6targetE0EEEvS13_ ; -- Begin function _ZN7rocprim17ROCPRIM_400000_NS6detail17trampoline_kernelINS0_13select_configILj256ELj13ELNS0_17block_load_methodE3ELS4_3ELS4_3ELNS0_20block_scan_algorithmE0ELj4294967295EEENS1_25partition_config_selectorILNS1_17partition_subalgoE4EjNS0_10empty_typeEbEEZZNS1_14partition_implILS8_4ELb0ES6_15HIP_vector_typeIjLj2EENS0_17counting_iteratorIjlEEPS9_SG_NS0_5tupleIJPjSI_NS0_16reverse_iteratorISI_EEEEENSH_IJSG_SG_SG_EEES9_SI_JZNS1_25segmented_radix_sort_implINS0_14default_configELb1EPK6__halfPSP_PKlPlN2at6native12_GLOBAL__N_18offset_tEEE10hipError_tPvRmT1_PNSt15iterator_traitsIS13_E10value_typeET2_T3_PNS14_IS19_E10value_typeET4_jRbjT5_S1F_jjP12ihipStream_tbEUljE_ZNSN_ISO_Lb1ESR_SS_SU_SV_SZ_EES10_S11_S12_S13_S17_S18_S19_S1C_S1D_jS1E_jS1F_S1F_jjS1H_bEUljE0_EEES10_S11_S12_S19_S1D_S1F_T6_T7_T9_mT8_S1H_bDpT10_ENKUlT_T0_E_clISt17integral_constantIbLb1EES1U_IbLb0EEEEDaS1Q_S1R_EUlS1Q_E_NS1_11comp_targetILNS1_3genE3ELNS1_11target_archE908ELNS1_3gpuE7ELNS1_3repE0EEENS1_30default_config_static_selectorELNS0_4arch9wavefront6targetE0EEEvS13_
	.p2align	8
	.type	_ZN7rocprim17ROCPRIM_400000_NS6detail17trampoline_kernelINS0_13select_configILj256ELj13ELNS0_17block_load_methodE3ELS4_3ELS4_3ELNS0_20block_scan_algorithmE0ELj4294967295EEENS1_25partition_config_selectorILNS1_17partition_subalgoE4EjNS0_10empty_typeEbEEZZNS1_14partition_implILS8_4ELb0ES6_15HIP_vector_typeIjLj2EENS0_17counting_iteratorIjlEEPS9_SG_NS0_5tupleIJPjSI_NS0_16reverse_iteratorISI_EEEEENSH_IJSG_SG_SG_EEES9_SI_JZNS1_25segmented_radix_sort_implINS0_14default_configELb1EPK6__halfPSP_PKlPlN2at6native12_GLOBAL__N_18offset_tEEE10hipError_tPvRmT1_PNSt15iterator_traitsIS13_E10value_typeET2_T3_PNS14_IS19_E10value_typeET4_jRbjT5_S1F_jjP12ihipStream_tbEUljE_ZNSN_ISO_Lb1ESR_SS_SU_SV_SZ_EES10_S11_S12_S13_S17_S18_S19_S1C_S1D_jS1E_jS1F_S1F_jjS1H_bEUljE0_EEES10_S11_S12_S19_S1D_S1F_T6_T7_T9_mT8_S1H_bDpT10_ENKUlT_T0_E_clISt17integral_constantIbLb1EES1U_IbLb0EEEEDaS1Q_S1R_EUlS1Q_E_NS1_11comp_targetILNS1_3genE3ELNS1_11target_archE908ELNS1_3gpuE7ELNS1_3repE0EEENS1_30default_config_static_selectorELNS0_4arch9wavefront6targetE0EEEvS13_,@function
_ZN7rocprim17ROCPRIM_400000_NS6detail17trampoline_kernelINS0_13select_configILj256ELj13ELNS0_17block_load_methodE3ELS4_3ELS4_3ELNS0_20block_scan_algorithmE0ELj4294967295EEENS1_25partition_config_selectorILNS1_17partition_subalgoE4EjNS0_10empty_typeEbEEZZNS1_14partition_implILS8_4ELb0ES6_15HIP_vector_typeIjLj2EENS0_17counting_iteratorIjlEEPS9_SG_NS0_5tupleIJPjSI_NS0_16reverse_iteratorISI_EEEEENSH_IJSG_SG_SG_EEES9_SI_JZNS1_25segmented_radix_sort_implINS0_14default_configELb1EPK6__halfPSP_PKlPlN2at6native12_GLOBAL__N_18offset_tEEE10hipError_tPvRmT1_PNSt15iterator_traitsIS13_E10value_typeET2_T3_PNS14_IS19_E10value_typeET4_jRbjT5_S1F_jjP12ihipStream_tbEUljE_ZNSN_ISO_Lb1ESR_SS_SU_SV_SZ_EES10_S11_S12_S13_S17_S18_S19_S1C_S1D_jS1E_jS1F_S1F_jjS1H_bEUljE0_EEES10_S11_S12_S19_S1D_S1F_T6_T7_T9_mT8_S1H_bDpT10_ENKUlT_T0_E_clISt17integral_constantIbLb1EES1U_IbLb0EEEEDaS1Q_S1R_EUlS1Q_E_NS1_11comp_targetILNS1_3genE3ELNS1_11target_archE908ELNS1_3gpuE7ELNS1_3repE0EEENS1_30default_config_static_selectorELNS0_4arch9wavefront6targetE0EEEvS13_: ; @_ZN7rocprim17ROCPRIM_400000_NS6detail17trampoline_kernelINS0_13select_configILj256ELj13ELNS0_17block_load_methodE3ELS4_3ELS4_3ELNS0_20block_scan_algorithmE0ELj4294967295EEENS1_25partition_config_selectorILNS1_17partition_subalgoE4EjNS0_10empty_typeEbEEZZNS1_14partition_implILS8_4ELb0ES6_15HIP_vector_typeIjLj2EENS0_17counting_iteratorIjlEEPS9_SG_NS0_5tupleIJPjSI_NS0_16reverse_iteratorISI_EEEEENSH_IJSG_SG_SG_EEES9_SI_JZNS1_25segmented_radix_sort_implINS0_14default_configELb1EPK6__halfPSP_PKlPlN2at6native12_GLOBAL__N_18offset_tEEE10hipError_tPvRmT1_PNSt15iterator_traitsIS13_E10value_typeET2_T3_PNS14_IS19_E10value_typeET4_jRbjT5_S1F_jjP12ihipStream_tbEUljE_ZNSN_ISO_Lb1ESR_SS_SU_SV_SZ_EES10_S11_S12_S13_S17_S18_S19_S1C_S1D_jS1E_jS1F_S1F_jjS1H_bEUljE0_EEES10_S11_S12_S19_S1D_S1F_T6_T7_T9_mT8_S1H_bDpT10_ENKUlT_T0_E_clISt17integral_constantIbLb1EES1U_IbLb0EEEEDaS1Q_S1R_EUlS1Q_E_NS1_11comp_targetILNS1_3genE3ELNS1_11target_archE908ELNS1_3gpuE7ELNS1_3repE0EEENS1_30default_config_static_selectorELNS0_4arch9wavefront6targetE0EEEvS13_
; %bb.0:
	.section	.rodata,"a",@progbits
	.p2align	6, 0x0
	.amdhsa_kernel _ZN7rocprim17ROCPRIM_400000_NS6detail17trampoline_kernelINS0_13select_configILj256ELj13ELNS0_17block_load_methodE3ELS4_3ELS4_3ELNS0_20block_scan_algorithmE0ELj4294967295EEENS1_25partition_config_selectorILNS1_17partition_subalgoE4EjNS0_10empty_typeEbEEZZNS1_14partition_implILS8_4ELb0ES6_15HIP_vector_typeIjLj2EENS0_17counting_iteratorIjlEEPS9_SG_NS0_5tupleIJPjSI_NS0_16reverse_iteratorISI_EEEEENSH_IJSG_SG_SG_EEES9_SI_JZNS1_25segmented_radix_sort_implINS0_14default_configELb1EPK6__halfPSP_PKlPlN2at6native12_GLOBAL__N_18offset_tEEE10hipError_tPvRmT1_PNSt15iterator_traitsIS13_E10value_typeET2_T3_PNS14_IS19_E10value_typeET4_jRbjT5_S1F_jjP12ihipStream_tbEUljE_ZNSN_ISO_Lb1ESR_SS_SU_SV_SZ_EES10_S11_S12_S13_S17_S18_S19_S1C_S1D_jS1E_jS1F_S1F_jjS1H_bEUljE0_EEES10_S11_S12_S19_S1D_S1F_T6_T7_T9_mT8_S1H_bDpT10_ENKUlT_T0_E_clISt17integral_constantIbLb1EES1U_IbLb0EEEEDaS1Q_S1R_EUlS1Q_E_NS1_11comp_targetILNS1_3genE3ELNS1_11target_archE908ELNS1_3gpuE7ELNS1_3repE0EEENS1_30default_config_static_selectorELNS0_4arch9wavefront6targetE0EEEvS13_
		.amdhsa_group_segment_fixed_size 0
		.amdhsa_private_segment_fixed_size 0
		.amdhsa_kernarg_size 176
		.amdhsa_user_sgpr_count 2
		.amdhsa_user_sgpr_dispatch_ptr 0
		.amdhsa_user_sgpr_queue_ptr 0
		.amdhsa_user_sgpr_kernarg_segment_ptr 1
		.amdhsa_user_sgpr_dispatch_id 0
		.amdhsa_user_sgpr_kernarg_preload_length 0
		.amdhsa_user_sgpr_kernarg_preload_offset 0
		.amdhsa_user_sgpr_private_segment_size 0
		.amdhsa_wavefront_size32 1
		.amdhsa_uses_dynamic_stack 0
		.amdhsa_enable_private_segment 0
		.amdhsa_system_sgpr_workgroup_id_x 1
		.amdhsa_system_sgpr_workgroup_id_y 0
		.amdhsa_system_sgpr_workgroup_id_z 0
		.amdhsa_system_sgpr_workgroup_info 0
		.amdhsa_system_vgpr_workitem_id 0
		.amdhsa_next_free_vgpr 1
		.amdhsa_next_free_sgpr 1
		.amdhsa_named_barrier_count 0
		.amdhsa_reserve_vcc 0
		.amdhsa_float_round_mode_32 0
		.amdhsa_float_round_mode_16_64 0
		.amdhsa_float_denorm_mode_32 3
		.amdhsa_float_denorm_mode_16_64 3
		.amdhsa_fp16_overflow 0
		.amdhsa_memory_ordered 1
		.amdhsa_forward_progress 1
		.amdhsa_inst_pref_size 0
		.amdhsa_round_robin_scheduling 0
		.amdhsa_exception_fp_ieee_invalid_op 0
		.amdhsa_exception_fp_denorm_src 0
		.amdhsa_exception_fp_ieee_div_zero 0
		.amdhsa_exception_fp_ieee_overflow 0
		.amdhsa_exception_fp_ieee_underflow 0
		.amdhsa_exception_fp_ieee_inexact 0
		.amdhsa_exception_int_div_zero 0
	.end_amdhsa_kernel
	.section	.text._ZN7rocprim17ROCPRIM_400000_NS6detail17trampoline_kernelINS0_13select_configILj256ELj13ELNS0_17block_load_methodE3ELS4_3ELS4_3ELNS0_20block_scan_algorithmE0ELj4294967295EEENS1_25partition_config_selectorILNS1_17partition_subalgoE4EjNS0_10empty_typeEbEEZZNS1_14partition_implILS8_4ELb0ES6_15HIP_vector_typeIjLj2EENS0_17counting_iteratorIjlEEPS9_SG_NS0_5tupleIJPjSI_NS0_16reverse_iteratorISI_EEEEENSH_IJSG_SG_SG_EEES9_SI_JZNS1_25segmented_radix_sort_implINS0_14default_configELb1EPK6__halfPSP_PKlPlN2at6native12_GLOBAL__N_18offset_tEEE10hipError_tPvRmT1_PNSt15iterator_traitsIS13_E10value_typeET2_T3_PNS14_IS19_E10value_typeET4_jRbjT5_S1F_jjP12ihipStream_tbEUljE_ZNSN_ISO_Lb1ESR_SS_SU_SV_SZ_EES10_S11_S12_S13_S17_S18_S19_S1C_S1D_jS1E_jS1F_S1F_jjS1H_bEUljE0_EEES10_S11_S12_S19_S1D_S1F_T6_T7_T9_mT8_S1H_bDpT10_ENKUlT_T0_E_clISt17integral_constantIbLb1EES1U_IbLb0EEEEDaS1Q_S1R_EUlS1Q_E_NS1_11comp_targetILNS1_3genE3ELNS1_11target_archE908ELNS1_3gpuE7ELNS1_3repE0EEENS1_30default_config_static_selectorELNS0_4arch9wavefront6targetE0EEEvS13_,"axG",@progbits,_ZN7rocprim17ROCPRIM_400000_NS6detail17trampoline_kernelINS0_13select_configILj256ELj13ELNS0_17block_load_methodE3ELS4_3ELS4_3ELNS0_20block_scan_algorithmE0ELj4294967295EEENS1_25partition_config_selectorILNS1_17partition_subalgoE4EjNS0_10empty_typeEbEEZZNS1_14partition_implILS8_4ELb0ES6_15HIP_vector_typeIjLj2EENS0_17counting_iteratorIjlEEPS9_SG_NS0_5tupleIJPjSI_NS0_16reverse_iteratorISI_EEEEENSH_IJSG_SG_SG_EEES9_SI_JZNS1_25segmented_radix_sort_implINS0_14default_configELb1EPK6__halfPSP_PKlPlN2at6native12_GLOBAL__N_18offset_tEEE10hipError_tPvRmT1_PNSt15iterator_traitsIS13_E10value_typeET2_T3_PNS14_IS19_E10value_typeET4_jRbjT5_S1F_jjP12ihipStream_tbEUljE_ZNSN_ISO_Lb1ESR_SS_SU_SV_SZ_EES10_S11_S12_S13_S17_S18_S19_S1C_S1D_jS1E_jS1F_S1F_jjS1H_bEUljE0_EEES10_S11_S12_S19_S1D_S1F_T6_T7_T9_mT8_S1H_bDpT10_ENKUlT_T0_E_clISt17integral_constantIbLb1EES1U_IbLb0EEEEDaS1Q_S1R_EUlS1Q_E_NS1_11comp_targetILNS1_3genE3ELNS1_11target_archE908ELNS1_3gpuE7ELNS1_3repE0EEENS1_30default_config_static_selectorELNS0_4arch9wavefront6targetE0EEEvS13_,comdat
.Lfunc_end1684:
	.size	_ZN7rocprim17ROCPRIM_400000_NS6detail17trampoline_kernelINS0_13select_configILj256ELj13ELNS0_17block_load_methodE3ELS4_3ELS4_3ELNS0_20block_scan_algorithmE0ELj4294967295EEENS1_25partition_config_selectorILNS1_17partition_subalgoE4EjNS0_10empty_typeEbEEZZNS1_14partition_implILS8_4ELb0ES6_15HIP_vector_typeIjLj2EENS0_17counting_iteratorIjlEEPS9_SG_NS0_5tupleIJPjSI_NS0_16reverse_iteratorISI_EEEEENSH_IJSG_SG_SG_EEES9_SI_JZNS1_25segmented_radix_sort_implINS0_14default_configELb1EPK6__halfPSP_PKlPlN2at6native12_GLOBAL__N_18offset_tEEE10hipError_tPvRmT1_PNSt15iterator_traitsIS13_E10value_typeET2_T3_PNS14_IS19_E10value_typeET4_jRbjT5_S1F_jjP12ihipStream_tbEUljE_ZNSN_ISO_Lb1ESR_SS_SU_SV_SZ_EES10_S11_S12_S13_S17_S18_S19_S1C_S1D_jS1E_jS1F_S1F_jjS1H_bEUljE0_EEES10_S11_S12_S19_S1D_S1F_T6_T7_T9_mT8_S1H_bDpT10_ENKUlT_T0_E_clISt17integral_constantIbLb1EES1U_IbLb0EEEEDaS1Q_S1R_EUlS1Q_E_NS1_11comp_targetILNS1_3genE3ELNS1_11target_archE908ELNS1_3gpuE7ELNS1_3repE0EEENS1_30default_config_static_selectorELNS0_4arch9wavefront6targetE0EEEvS13_, .Lfunc_end1684-_ZN7rocprim17ROCPRIM_400000_NS6detail17trampoline_kernelINS0_13select_configILj256ELj13ELNS0_17block_load_methodE3ELS4_3ELS4_3ELNS0_20block_scan_algorithmE0ELj4294967295EEENS1_25partition_config_selectorILNS1_17partition_subalgoE4EjNS0_10empty_typeEbEEZZNS1_14partition_implILS8_4ELb0ES6_15HIP_vector_typeIjLj2EENS0_17counting_iteratorIjlEEPS9_SG_NS0_5tupleIJPjSI_NS0_16reverse_iteratorISI_EEEEENSH_IJSG_SG_SG_EEES9_SI_JZNS1_25segmented_radix_sort_implINS0_14default_configELb1EPK6__halfPSP_PKlPlN2at6native12_GLOBAL__N_18offset_tEEE10hipError_tPvRmT1_PNSt15iterator_traitsIS13_E10value_typeET2_T3_PNS14_IS19_E10value_typeET4_jRbjT5_S1F_jjP12ihipStream_tbEUljE_ZNSN_ISO_Lb1ESR_SS_SU_SV_SZ_EES10_S11_S12_S13_S17_S18_S19_S1C_S1D_jS1E_jS1F_S1F_jjS1H_bEUljE0_EEES10_S11_S12_S19_S1D_S1F_T6_T7_T9_mT8_S1H_bDpT10_ENKUlT_T0_E_clISt17integral_constantIbLb1EES1U_IbLb0EEEEDaS1Q_S1R_EUlS1Q_E_NS1_11comp_targetILNS1_3genE3ELNS1_11target_archE908ELNS1_3gpuE7ELNS1_3repE0EEENS1_30default_config_static_selectorELNS0_4arch9wavefront6targetE0EEEvS13_
                                        ; -- End function
	.set _ZN7rocprim17ROCPRIM_400000_NS6detail17trampoline_kernelINS0_13select_configILj256ELj13ELNS0_17block_load_methodE3ELS4_3ELS4_3ELNS0_20block_scan_algorithmE0ELj4294967295EEENS1_25partition_config_selectorILNS1_17partition_subalgoE4EjNS0_10empty_typeEbEEZZNS1_14partition_implILS8_4ELb0ES6_15HIP_vector_typeIjLj2EENS0_17counting_iteratorIjlEEPS9_SG_NS0_5tupleIJPjSI_NS0_16reverse_iteratorISI_EEEEENSH_IJSG_SG_SG_EEES9_SI_JZNS1_25segmented_radix_sort_implINS0_14default_configELb1EPK6__halfPSP_PKlPlN2at6native12_GLOBAL__N_18offset_tEEE10hipError_tPvRmT1_PNSt15iterator_traitsIS13_E10value_typeET2_T3_PNS14_IS19_E10value_typeET4_jRbjT5_S1F_jjP12ihipStream_tbEUljE_ZNSN_ISO_Lb1ESR_SS_SU_SV_SZ_EES10_S11_S12_S13_S17_S18_S19_S1C_S1D_jS1E_jS1F_S1F_jjS1H_bEUljE0_EEES10_S11_S12_S19_S1D_S1F_T6_T7_T9_mT8_S1H_bDpT10_ENKUlT_T0_E_clISt17integral_constantIbLb1EES1U_IbLb0EEEEDaS1Q_S1R_EUlS1Q_E_NS1_11comp_targetILNS1_3genE3ELNS1_11target_archE908ELNS1_3gpuE7ELNS1_3repE0EEENS1_30default_config_static_selectorELNS0_4arch9wavefront6targetE0EEEvS13_.num_vgpr, 0
	.set _ZN7rocprim17ROCPRIM_400000_NS6detail17trampoline_kernelINS0_13select_configILj256ELj13ELNS0_17block_load_methodE3ELS4_3ELS4_3ELNS0_20block_scan_algorithmE0ELj4294967295EEENS1_25partition_config_selectorILNS1_17partition_subalgoE4EjNS0_10empty_typeEbEEZZNS1_14partition_implILS8_4ELb0ES6_15HIP_vector_typeIjLj2EENS0_17counting_iteratorIjlEEPS9_SG_NS0_5tupleIJPjSI_NS0_16reverse_iteratorISI_EEEEENSH_IJSG_SG_SG_EEES9_SI_JZNS1_25segmented_radix_sort_implINS0_14default_configELb1EPK6__halfPSP_PKlPlN2at6native12_GLOBAL__N_18offset_tEEE10hipError_tPvRmT1_PNSt15iterator_traitsIS13_E10value_typeET2_T3_PNS14_IS19_E10value_typeET4_jRbjT5_S1F_jjP12ihipStream_tbEUljE_ZNSN_ISO_Lb1ESR_SS_SU_SV_SZ_EES10_S11_S12_S13_S17_S18_S19_S1C_S1D_jS1E_jS1F_S1F_jjS1H_bEUljE0_EEES10_S11_S12_S19_S1D_S1F_T6_T7_T9_mT8_S1H_bDpT10_ENKUlT_T0_E_clISt17integral_constantIbLb1EES1U_IbLb0EEEEDaS1Q_S1R_EUlS1Q_E_NS1_11comp_targetILNS1_3genE3ELNS1_11target_archE908ELNS1_3gpuE7ELNS1_3repE0EEENS1_30default_config_static_selectorELNS0_4arch9wavefront6targetE0EEEvS13_.num_agpr, 0
	.set _ZN7rocprim17ROCPRIM_400000_NS6detail17trampoline_kernelINS0_13select_configILj256ELj13ELNS0_17block_load_methodE3ELS4_3ELS4_3ELNS0_20block_scan_algorithmE0ELj4294967295EEENS1_25partition_config_selectorILNS1_17partition_subalgoE4EjNS0_10empty_typeEbEEZZNS1_14partition_implILS8_4ELb0ES6_15HIP_vector_typeIjLj2EENS0_17counting_iteratorIjlEEPS9_SG_NS0_5tupleIJPjSI_NS0_16reverse_iteratorISI_EEEEENSH_IJSG_SG_SG_EEES9_SI_JZNS1_25segmented_radix_sort_implINS0_14default_configELb1EPK6__halfPSP_PKlPlN2at6native12_GLOBAL__N_18offset_tEEE10hipError_tPvRmT1_PNSt15iterator_traitsIS13_E10value_typeET2_T3_PNS14_IS19_E10value_typeET4_jRbjT5_S1F_jjP12ihipStream_tbEUljE_ZNSN_ISO_Lb1ESR_SS_SU_SV_SZ_EES10_S11_S12_S13_S17_S18_S19_S1C_S1D_jS1E_jS1F_S1F_jjS1H_bEUljE0_EEES10_S11_S12_S19_S1D_S1F_T6_T7_T9_mT8_S1H_bDpT10_ENKUlT_T0_E_clISt17integral_constantIbLb1EES1U_IbLb0EEEEDaS1Q_S1R_EUlS1Q_E_NS1_11comp_targetILNS1_3genE3ELNS1_11target_archE908ELNS1_3gpuE7ELNS1_3repE0EEENS1_30default_config_static_selectorELNS0_4arch9wavefront6targetE0EEEvS13_.numbered_sgpr, 0
	.set _ZN7rocprim17ROCPRIM_400000_NS6detail17trampoline_kernelINS0_13select_configILj256ELj13ELNS0_17block_load_methodE3ELS4_3ELS4_3ELNS0_20block_scan_algorithmE0ELj4294967295EEENS1_25partition_config_selectorILNS1_17partition_subalgoE4EjNS0_10empty_typeEbEEZZNS1_14partition_implILS8_4ELb0ES6_15HIP_vector_typeIjLj2EENS0_17counting_iteratorIjlEEPS9_SG_NS0_5tupleIJPjSI_NS0_16reverse_iteratorISI_EEEEENSH_IJSG_SG_SG_EEES9_SI_JZNS1_25segmented_radix_sort_implINS0_14default_configELb1EPK6__halfPSP_PKlPlN2at6native12_GLOBAL__N_18offset_tEEE10hipError_tPvRmT1_PNSt15iterator_traitsIS13_E10value_typeET2_T3_PNS14_IS19_E10value_typeET4_jRbjT5_S1F_jjP12ihipStream_tbEUljE_ZNSN_ISO_Lb1ESR_SS_SU_SV_SZ_EES10_S11_S12_S13_S17_S18_S19_S1C_S1D_jS1E_jS1F_S1F_jjS1H_bEUljE0_EEES10_S11_S12_S19_S1D_S1F_T6_T7_T9_mT8_S1H_bDpT10_ENKUlT_T0_E_clISt17integral_constantIbLb1EES1U_IbLb0EEEEDaS1Q_S1R_EUlS1Q_E_NS1_11comp_targetILNS1_3genE3ELNS1_11target_archE908ELNS1_3gpuE7ELNS1_3repE0EEENS1_30default_config_static_selectorELNS0_4arch9wavefront6targetE0EEEvS13_.num_named_barrier, 0
	.set _ZN7rocprim17ROCPRIM_400000_NS6detail17trampoline_kernelINS0_13select_configILj256ELj13ELNS0_17block_load_methodE3ELS4_3ELS4_3ELNS0_20block_scan_algorithmE0ELj4294967295EEENS1_25partition_config_selectorILNS1_17partition_subalgoE4EjNS0_10empty_typeEbEEZZNS1_14partition_implILS8_4ELb0ES6_15HIP_vector_typeIjLj2EENS0_17counting_iteratorIjlEEPS9_SG_NS0_5tupleIJPjSI_NS0_16reverse_iteratorISI_EEEEENSH_IJSG_SG_SG_EEES9_SI_JZNS1_25segmented_radix_sort_implINS0_14default_configELb1EPK6__halfPSP_PKlPlN2at6native12_GLOBAL__N_18offset_tEEE10hipError_tPvRmT1_PNSt15iterator_traitsIS13_E10value_typeET2_T3_PNS14_IS19_E10value_typeET4_jRbjT5_S1F_jjP12ihipStream_tbEUljE_ZNSN_ISO_Lb1ESR_SS_SU_SV_SZ_EES10_S11_S12_S13_S17_S18_S19_S1C_S1D_jS1E_jS1F_S1F_jjS1H_bEUljE0_EEES10_S11_S12_S19_S1D_S1F_T6_T7_T9_mT8_S1H_bDpT10_ENKUlT_T0_E_clISt17integral_constantIbLb1EES1U_IbLb0EEEEDaS1Q_S1R_EUlS1Q_E_NS1_11comp_targetILNS1_3genE3ELNS1_11target_archE908ELNS1_3gpuE7ELNS1_3repE0EEENS1_30default_config_static_selectorELNS0_4arch9wavefront6targetE0EEEvS13_.private_seg_size, 0
	.set _ZN7rocprim17ROCPRIM_400000_NS6detail17trampoline_kernelINS0_13select_configILj256ELj13ELNS0_17block_load_methodE3ELS4_3ELS4_3ELNS0_20block_scan_algorithmE0ELj4294967295EEENS1_25partition_config_selectorILNS1_17partition_subalgoE4EjNS0_10empty_typeEbEEZZNS1_14partition_implILS8_4ELb0ES6_15HIP_vector_typeIjLj2EENS0_17counting_iteratorIjlEEPS9_SG_NS0_5tupleIJPjSI_NS0_16reverse_iteratorISI_EEEEENSH_IJSG_SG_SG_EEES9_SI_JZNS1_25segmented_radix_sort_implINS0_14default_configELb1EPK6__halfPSP_PKlPlN2at6native12_GLOBAL__N_18offset_tEEE10hipError_tPvRmT1_PNSt15iterator_traitsIS13_E10value_typeET2_T3_PNS14_IS19_E10value_typeET4_jRbjT5_S1F_jjP12ihipStream_tbEUljE_ZNSN_ISO_Lb1ESR_SS_SU_SV_SZ_EES10_S11_S12_S13_S17_S18_S19_S1C_S1D_jS1E_jS1F_S1F_jjS1H_bEUljE0_EEES10_S11_S12_S19_S1D_S1F_T6_T7_T9_mT8_S1H_bDpT10_ENKUlT_T0_E_clISt17integral_constantIbLb1EES1U_IbLb0EEEEDaS1Q_S1R_EUlS1Q_E_NS1_11comp_targetILNS1_3genE3ELNS1_11target_archE908ELNS1_3gpuE7ELNS1_3repE0EEENS1_30default_config_static_selectorELNS0_4arch9wavefront6targetE0EEEvS13_.uses_vcc, 0
	.set _ZN7rocprim17ROCPRIM_400000_NS6detail17trampoline_kernelINS0_13select_configILj256ELj13ELNS0_17block_load_methodE3ELS4_3ELS4_3ELNS0_20block_scan_algorithmE0ELj4294967295EEENS1_25partition_config_selectorILNS1_17partition_subalgoE4EjNS0_10empty_typeEbEEZZNS1_14partition_implILS8_4ELb0ES6_15HIP_vector_typeIjLj2EENS0_17counting_iteratorIjlEEPS9_SG_NS0_5tupleIJPjSI_NS0_16reverse_iteratorISI_EEEEENSH_IJSG_SG_SG_EEES9_SI_JZNS1_25segmented_radix_sort_implINS0_14default_configELb1EPK6__halfPSP_PKlPlN2at6native12_GLOBAL__N_18offset_tEEE10hipError_tPvRmT1_PNSt15iterator_traitsIS13_E10value_typeET2_T3_PNS14_IS19_E10value_typeET4_jRbjT5_S1F_jjP12ihipStream_tbEUljE_ZNSN_ISO_Lb1ESR_SS_SU_SV_SZ_EES10_S11_S12_S13_S17_S18_S19_S1C_S1D_jS1E_jS1F_S1F_jjS1H_bEUljE0_EEES10_S11_S12_S19_S1D_S1F_T6_T7_T9_mT8_S1H_bDpT10_ENKUlT_T0_E_clISt17integral_constantIbLb1EES1U_IbLb0EEEEDaS1Q_S1R_EUlS1Q_E_NS1_11comp_targetILNS1_3genE3ELNS1_11target_archE908ELNS1_3gpuE7ELNS1_3repE0EEENS1_30default_config_static_selectorELNS0_4arch9wavefront6targetE0EEEvS13_.uses_flat_scratch, 0
	.set _ZN7rocprim17ROCPRIM_400000_NS6detail17trampoline_kernelINS0_13select_configILj256ELj13ELNS0_17block_load_methodE3ELS4_3ELS4_3ELNS0_20block_scan_algorithmE0ELj4294967295EEENS1_25partition_config_selectorILNS1_17partition_subalgoE4EjNS0_10empty_typeEbEEZZNS1_14partition_implILS8_4ELb0ES6_15HIP_vector_typeIjLj2EENS0_17counting_iteratorIjlEEPS9_SG_NS0_5tupleIJPjSI_NS0_16reverse_iteratorISI_EEEEENSH_IJSG_SG_SG_EEES9_SI_JZNS1_25segmented_radix_sort_implINS0_14default_configELb1EPK6__halfPSP_PKlPlN2at6native12_GLOBAL__N_18offset_tEEE10hipError_tPvRmT1_PNSt15iterator_traitsIS13_E10value_typeET2_T3_PNS14_IS19_E10value_typeET4_jRbjT5_S1F_jjP12ihipStream_tbEUljE_ZNSN_ISO_Lb1ESR_SS_SU_SV_SZ_EES10_S11_S12_S13_S17_S18_S19_S1C_S1D_jS1E_jS1F_S1F_jjS1H_bEUljE0_EEES10_S11_S12_S19_S1D_S1F_T6_T7_T9_mT8_S1H_bDpT10_ENKUlT_T0_E_clISt17integral_constantIbLb1EES1U_IbLb0EEEEDaS1Q_S1R_EUlS1Q_E_NS1_11comp_targetILNS1_3genE3ELNS1_11target_archE908ELNS1_3gpuE7ELNS1_3repE0EEENS1_30default_config_static_selectorELNS0_4arch9wavefront6targetE0EEEvS13_.has_dyn_sized_stack, 0
	.set _ZN7rocprim17ROCPRIM_400000_NS6detail17trampoline_kernelINS0_13select_configILj256ELj13ELNS0_17block_load_methodE3ELS4_3ELS4_3ELNS0_20block_scan_algorithmE0ELj4294967295EEENS1_25partition_config_selectorILNS1_17partition_subalgoE4EjNS0_10empty_typeEbEEZZNS1_14partition_implILS8_4ELb0ES6_15HIP_vector_typeIjLj2EENS0_17counting_iteratorIjlEEPS9_SG_NS0_5tupleIJPjSI_NS0_16reverse_iteratorISI_EEEEENSH_IJSG_SG_SG_EEES9_SI_JZNS1_25segmented_radix_sort_implINS0_14default_configELb1EPK6__halfPSP_PKlPlN2at6native12_GLOBAL__N_18offset_tEEE10hipError_tPvRmT1_PNSt15iterator_traitsIS13_E10value_typeET2_T3_PNS14_IS19_E10value_typeET4_jRbjT5_S1F_jjP12ihipStream_tbEUljE_ZNSN_ISO_Lb1ESR_SS_SU_SV_SZ_EES10_S11_S12_S13_S17_S18_S19_S1C_S1D_jS1E_jS1F_S1F_jjS1H_bEUljE0_EEES10_S11_S12_S19_S1D_S1F_T6_T7_T9_mT8_S1H_bDpT10_ENKUlT_T0_E_clISt17integral_constantIbLb1EES1U_IbLb0EEEEDaS1Q_S1R_EUlS1Q_E_NS1_11comp_targetILNS1_3genE3ELNS1_11target_archE908ELNS1_3gpuE7ELNS1_3repE0EEENS1_30default_config_static_selectorELNS0_4arch9wavefront6targetE0EEEvS13_.has_recursion, 0
	.set _ZN7rocprim17ROCPRIM_400000_NS6detail17trampoline_kernelINS0_13select_configILj256ELj13ELNS0_17block_load_methodE3ELS4_3ELS4_3ELNS0_20block_scan_algorithmE0ELj4294967295EEENS1_25partition_config_selectorILNS1_17partition_subalgoE4EjNS0_10empty_typeEbEEZZNS1_14partition_implILS8_4ELb0ES6_15HIP_vector_typeIjLj2EENS0_17counting_iteratorIjlEEPS9_SG_NS0_5tupleIJPjSI_NS0_16reverse_iteratorISI_EEEEENSH_IJSG_SG_SG_EEES9_SI_JZNS1_25segmented_radix_sort_implINS0_14default_configELb1EPK6__halfPSP_PKlPlN2at6native12_GLOBAL__N_18offset_tEEE10hipError_tPvRmT1_PNSt15iterator_traitsIS13_E10value_typeET2_T3_PNS14_IS19_E10value_typeET4_jRbjT5_S1F_jjP12ihipStream_tbEUljE_ZNSN_ISO_Lb1ESR_SS_SU_SV_SZ_EES10_S11_S12_S13_S17_S18_S19_S1C_S1D_jS1E_jS1F_S1F_jjS1H_bEUljE0_EEES10_S11_S12_S19_S1D_S1F_T6_T7_T9_mT8_S1H_bDpT10_ENKUlT_T0_E_clISt17integral_constantIbLb1EES1U_IbLb0EEEEDaS1Q_S1R_EUlS1Q_E_NS1_11comp_targetILNS1_3genE3ELNS1_11target_archE908ELNS1_3gpuE7ELNS1_3repE0EEENS1_30default_config_static_selectorELNS0_4arch9wavefront6targetE0EEEvS13_.has_indirect_call, 0
	.section	.AMDGPU.csdata,"",@progbits
; Kernel info:
; codeLenInByte = 0
; TotalNumSgprs: 0
; NumVgprs: 0
; ScratchSize: 0
; MemoryBound: 0
; FloatMode: 240
; IeeeMode: 1
; LDSByteSize: 0 bytes/workgroup (compile time only)
; SGPRBlocks: 0
; VGPRBlocks: 0
; NumSGPRsForWavesPerEU: 1
; NumVGPRsForWavesPerEU: 1
; NamedBarCnt: 0
; Occupancy: 16
; WaveLimiterHint : 0
; COMPUTE_PGM_RSRC2:SCRATCH_EN: 0
; COMPUTE_PGM_RSRC2:USER_SGPR: 2
; COMPUTE_PGM_RSRC2:TRAP_HANDLER: 0
; COMPUTE_PGM_RSRC2:TGID_X_EN: 1
; COMPUTE_PGM_RSRC2:TGID_Y_EN: 0
; COMPUTE_PGM_RSRC2:TGID_Z_EN: 0
; COMPUTE_PGM_RSRC2:TIDIG_COMP_CNT: 0
	.section	.text._ZN7rocprim17ROCPRIM_400000_NS6detail17trampoline_kernelINS0_13select_configILj256ELj13ELNS0_17block_load_methodE3ELS4_3ELS4_3ELNS0_20block_scan_algorithmE0ELj4294967295EEENS1_25partition_config_selectorILNS1_17partition_subalgoE4EjNS0_10empty_typeEbEEZZNS1_14partition_implILS8_4ELb0ES6_15HIP_vector_typeIjLj2EENS0_17counting_iteratorIjlEEPS9_SG_NS0_5tupleIJPjSI_NS0_16reverse_iteratorISI_EEEEENSH_IJSG_SG_SG_EEES9_SI_JZNS1_25segmented_radix_sort_implINS0_14default_configELb1EPK6__halfPSP_PKlPlN2at6native12_GLOBAL__N_18offset_tEEE10hipError_tPvRmT1_PNSt15iterator_traitsIS13_E10value_typeET2_T3_PNS14_IS19_E10value_typeET4_jRbjT5_S1F_jjP12ihipStream_tbEUljE_ZNSN_ISO_Lb1ESR_SS_SU_SV_SZ_EES10_S11_S12_S13_S17_S18_S19_S1C_S1D_jS1E_jS1F_S1F_jjS1H_bEUljE0_EEES10_S11_S12_S19_S1D_S1F_T6_T7_T9_mT8_S1H_bDpT10_ENKUlT_T0_E_clISt17integral_constantIbLb1EES1U_IbLb0EEEEDaS1Q_S1R_EUlS1Q_E_NS1_11comp_targetILNS1_3genE2ELNS1_11target_archE906ELNS1_3gpuE6ELNS1_3repE0EEENS1_30default_config_static_selectorELNS0_4arch9wavefront6targetE0EEEvS13_,"axG",@progbits,_ZN7rocprim17ROCPRIM_400000_NS6detail17trampoline_kernelINS0_13select_configILj256ELj13ELNS0_17block_load_methodE3ELS4_3ELS4_3ELNS0_20block_scan_algorithmE0ELj4294967295EEENS1_25partition_config_selectorILNS1_17partition_subalgoE4EjNS0_10empty_typeEbEEZZNS1_14partition_implILS8_4ELb0ES6_15HIP_vector_typeIjLj2EENS0_17counting_iteratorIjlEEPS9_SG_NS0_5tupleIJPjSI_NS0_16reverse_iteratorISI_EEEEENSH_IJSG_SG_SG_EEES9_SI_JZNS1_25segmented_radix_sort_implINS0_14default_configELb1EPK6__halfPSP_PKlPlN2at6native12_GLOBAL__N_18offset_tEEE10hipError_tPvRmT1_PNSt15iterator_traitsIS13_E10value_typeET2_T3_PNS14_IS19_E10value_typeET4_jRbjT5_S1F_jjP12ihipStream_tbEUljE_ZNSN_ISO_Lb1ESR_SS_SU_SV_SZ_EES10_S11_S12_S13_S17_S18_S19_S1C_S1D_jS1E_jS1F_S1F_jjS1H_bEUljE0_EEES10_S11_S12_S19_S1D_S1F_T6_T7_T9_mT8_S1H_bDpT10_ENKUlT_T0_E_clISt17integral_constantIbLb1EES1U_IbLb0EEEEDaS1Q_S1R_EUlS1Q_E_NS1_11comp_targetILNS1_3genE2ELNS1_11target_archE906ELNS1_3gpuE6ELNS1_3repE0EEENS1_30default_config_static_selectorELNS0_4arch9wavefront6targetE0EEEvS13_,comdat
	.globl	_ZN7rocprim17ROCPRIM_400000_NS6detail17trampoline_kernelINS0_13select_configILj256ELj13ELNS0_17block_load_methodE3ELS4_3ELS4_3ELNS0_20block_scan_algorithmE0ELj4294967295EEENS1_25partition_config_selectorILNS1_17partition_subalgoE4EjNS0_10empty_typeEbEEZZNS1_14partition_implILS8_4ELb0ES6_15HIP_vector_typeIjLj2EENS0_17counting_iteratorIjlEEPS9_SG_NS0_5tupleIJPjSI_NS0_16reverse_iteratorISI_EEEEENSH_IJSG_SG_SG_EEES9_SI_JZNS1_25segmented_radix_sort_implINS0_14default_configELb1EPK6__halfPSP_PKlPlN2at6native12_GLOBAL__N_18offset_tEEE10hipError_tPvRmT1_PNSt15iterator_traitsIS13_E10value_typeET2_T3_PNS14_IS19_E10value_typeET4_jRbjT5_S1F_jjP12ihipStream_tbEUljE_ZNSN_ISO_Lb1ESR_SS_SU_SV_SZ_EES10_S11_S12_S13_S17_S18_S19_S1C_S1D_jS1E_jS1F_S1F_jjS1H_bEUljE0_EEES10_S11_S12_S19_S1D_S1F_T6_T7_T9_mT8_S1H_bDpT10_ENKUlT_T0_E_clISt17integral_constantIbLb1EES1U_IbLb0EEEEDaS1Q_S1R_EUlS1Q_E_NS1_11comp_targetILNS1_3genE2ELNS1_11target_archE906ELNS1_3gpuE6ELNS1_3repE0EEENS1_30default_config_static_selectorELNS0_4arch9wavefront6targetE0EEEvS13_ ; -- Begin function _ZN7rocprim17ROCPRIM_400000_NS6detail17trampoline_kernelINS0_13select_configILj256ELj13ELNS0_17block_load_methodE3ELS4_3ELS4_3ELNS0_20block_scan_algorithmE0ELj4294967295EEENS1_25partition_config_selectorILNS1_17partition_subalgoE4EjNS0_10empty_typeEbEEZZNS1_14partition_implILS8_4ELb0ES6_15HIP_vector_typeIjLj2EENS0_17counting_iteratorIjlEEPS9_SG_NS0_5tupleIJPjSI_NS0_16reverse_iteratorISI_EEEEENSH_IJSG_SG_SG_EEES9_SI_JZNS1_25segmented_radix_sort_implINS0_14default_configELb1EPK6__halfPSP_PKlPlN2at6native12_GLOBAL__N_18offset_tEEE10hipError_tPvRmT1_PNSt15iterator_traitsIS13_E10value_typeET2_T3_PNS14_IS19_E10value_typeET4_jRbjT5_S1F_jjP12ihipStream_tbEUljE_ZNSN_ISO_Lb1ESR_SS_SU_SV_SZ_EES10_S11_S12_S13_S17_S18_S19_S1C_S1D_jS1E_jS1F_S1F_jjS1H_bEUljE0_EEES10_S11_S12_S19_S1D_S1F_T6_T7_T9_mT8_S1H_bDpT10_ENKUlT_T0_E_clISt17integral_constantIbLb1EES1U_IbLb0EEEEDaS1Q_S1R_EUlS1Q_E_NS1_11comp_targetILNS1_3genE2ELNS1_11target_archE906ELNS1_3gpuE6ELNS1_3repE0EEENS1_30default_config_static_selectorELNS0_4arch9wavefront6targetE0EEEvS13_
	.p2align	8
	.type	_ZN7rocprim17ROCPRIM_400000_NS6detail17trampoline_kernelINS0_13select_configILj256ELj13ELNS0_17block_load_methodE3ELS4_3ELS4_3ELNS0_20block_scan_algorithmE0ELj4294967295EEENS1_25partition_config_selectorILNS1_17partition_subalgoE4EjNS0_10empty_typeEbEEZZNS1_14partition_implILS8_4ELb0ES6_15HIP_vector_typeIjLj2EENS0_17counting_iteratorIjlEEPS9_SG_NS0_5tupleIJPjSI_NS0_16reverse_iteratorISI_EEEEENSH_IJSG_SG_SG_EEES9_SI_JZNS1_25segmented_radix_sort_implINS0_14default_configELb1EPK6__halfPSP_PKlPlN2at6native12_GLOBAL__N_18offset_tEEE10hipError_tPvRmT1_PNSt15iterator_traitsIS13_E10value_typeET2_T3_PNS14_IS19_E10value_typeET4_jRbjT5_S1F_jjP12ihipStream_tbEUljE_ZNSN_ISO_Lb1ESR_SS_SU_SV_SZ_EES10_S11_S12_S13_S17_S18_S19_S1C_S1D_jS1E_jS1F_S1F_jjS1H_bEUljE0_EEES10_S11_S12_S19_S1D_S1F_T6_T7_T9_mT8_S1H_bDpT10_ENKUlT_T0_E_clISt17integral_constantIbLb1EES1U_IbLb0EEEEDaS1Q_S1R_EUlS1Q_E_NS1_11comp_targetILNS1_3genE2ELNS1_11target_archE906ELNS1_3gpuE6ELNS1_3repE0EEENS1_30default_config_static_selectorELNS0_4arch9wavefront6targetE0EEEvS13_,@function
_ZN7rocprim17ROCPRIM_400000_NS6detail17trampoline_kernelINS0_13select_configILj256ELj13ELNS0_17block_load_methodE3ELS4_3ELS4_3ELNS0_20block_scan_algorithmE0ELj4294967295EEENS1_25partition_config_selectorILNS1_17partition_subalgoE4EjNS0_10empty_typeEbEEZZNS1_14partition_implILS8_4ELb0ES6_15HIP_vector_typeIjLj2EENS0_17counting_iteratorIjlEEPS9_SG_NS0_5tupleIJPjSI_NS0_16reverse_iteratorISI_EEEEENSH_IJSG_SG_SG_EEES9_SI_JZNS1_25segmented_radix_sort_implINS0_14default_configELb1EPK6__halfPSP_PKlPlN2at6native12_GLOBAL__N_18offset_tEEE10hipError_tPvRmT1_PNSt15iterator_traitsIS13_E10value_typeET2_T3_PNS14_IS19_E10value_typeET4_jRbjT5_S1F_jjP12ihipStream_tbEUljE_ZNSN_ISO_Lb1ESR_SS_SU_SV_SZ_EES10_S11_S12_S13_S17_S18_S19_S1C_S1D_jS1E_jS1F_S1F_jjS1H_bEUljE0_EEES10_S11_S12_S19_S1D_S1F_T6_T7_T9_mT8_S1H_bDpT10_ENKUlT_T0_E_clISt17integral_constantIbLb1EES1U_IbLb0EEEEDaS1Q_S1R_EUlS1Q_E_NS1_11comp_targetILNS1_3genE2ELNS1_11target_archE906ELNS1_3gpuE6ELNS1_3repE0EEENS1_30default_config_static_selectorELNS0_4arch9wavefront6targetE0EEEvS13_: ; @_ZN7rocprim17ROCPRIM_400000_NS6detail17trampoline_kernelINS0_13select_configILj256ELj13ELNS0_17block_load_methodE3ELS4_3ELS4_3ELNS0_20block_scan_algorithmE0ELj4294967295EEENS1_25partition_config_selectorILNS1_17partition_subalgoE4EjNS0_10empty_typeEbEEZZNS1_14partition_implILS8_4ELb0ES6_15HIP_vector_typeIjLj2EENS0_17counting_iteratorIjlEEPS9_SG_NS0_5tupleIJPjSI_NS0_16reverse_iteratorISI_EEEEENSH_IJSG_SG_SG_EEES9_SI_JZNS1_25segmented_radix_sort_implINS0_14default_configELb1EPK6__halfPSP_PKlPlN2at6native12_GLOBAL__N_18offset_tEEE10hipError_tPvRmT1_PNSt15iterator_traitsIS13_E10value_typeET2_T3_PNS14_IS19_E10value_typeET4_jRbjT5_S1F_jjP12ihipStream_tbEUljE_ZNSN_ISO_Lb1ESR_SS_SU_SV_SZ_EES10_S11_S12_S13_S17_S18_S19_S1C_S1D_jS1E_jS1F_S1F_jjS1H_bEUljE0_EEES10_S11_S12_S19_S1D_S1F_T6_T7_T9_mT8_S1H_bDpT10_ENKUlT_T0_E_clISt17integral_constantIbLb1EES1U_IbLb0EEEEDaS1Q_S1R_EUlS1Q_E_NS1_11comp_targetILNS1_3genE2ELNS1_11target_archE906ELNS1_3gpuE6ELNS1_3repE0EEENS1_30default_config_static_selectorELNS0_4arch9wavefront6targetE0EEEvS13_
; %bb.0:
	.section	.rodata,"a",@progbits
	.p2align	6, 0x0
	.amdhsa_kernel _ZN7rocprim17ROCPRIM_400000_NS6detail17trampoline_kernelINS0_13select_configILj256ELj13ELNS0_17block_load_methodE3ELS4_3ELS4_3ELNS0_20block_scan_algorithmE0ELj4294967295EEENS1_25partition_config_selectorILNS1_17partition_subalgoE4EjNS0_10empty_typeEbEEZZNS1_14partition_implILS8_4ELb0ES6_15HIP_vector_typeIjLj2EENS0_17counting_iteratorIjlEEPS9_SG_NS0_5tupleIJPjSI_NS0_16reverse_iteratorISI_EEEEENSH_IJSG_SG_SG_EEES9_SI_JZNS1_25segmented_radix_sort_implINS0_14default_configELb1EPK6__halfPSP_PKlPlN2at6native12_GLOBAL__N_18offset_tEEE10hipError_tPvRmT1_PNSt15iterator_traitsIS13_E10value_typeET2_T3_PNS14_IS19_E10value_typeET4_jRbjT5_S1F_jjP12ihipStream_tbEUljE_ZNSN_ISO_Lb1ESR_SS_SU_SV_SZ_EES10_S11_S12_S13_S17_S18_S19_S1C_S1D_jS1E_jS1F_S1F_jjS1H_bEUljE0_EEES10_S11_S12_S19_S1D_S1F_T6_T7_T9_mT8_S1H_bDpT10_ENKUlT_T0_E_clISt17integral_constantIbLb1EES1U_IbLb0EEEEDaS1Q_S1R_EUlS1Q_E_NS1_11comp_targetILNS1_3genE2ELNS1_11target_archE906ELNS1_3gpuE6ELNS1_3repE0EEENS1_30default_config_static_selectorELNS0_4arch9wavefront6targetE0EEEvS13_
		.amdhsa_group_segment_fixed_size 0
		.amdhsa_private_segment_fixed_size 0
		.amdhsa_kernarg_size 176
		.amdhsa_user_sgpr_count 2
		.amdhsa_user_sgpr_dispatch_ptr 0
		.amdhsa_user_sgpr_queue_ptr 0
		.amdhsa_user_sgpr_kernarg_segment_ptr 1
		.amdhsa_user_sgpr_dispatch_id 0
		.amdhsa_user_sgpr_kernarg_preload_length 0
		.amdhsa_user_sgpr_kernarg_preload_offset 0
		.amdhsa_user_sgpr_private_segment_size 0
		.amdhsa_wavefront_size32 1
		.amdhsa_uses_dynamic_stack 0
		.amdhsa_enable_private_segment 0
		.amdhsa_system_sgpr_workgroup_id_x 1
		.amdhsa_system_sgpr_workgroup_id_y 0
		.amdhsa_system_sgpr_workgroup_id_z 0
		.amdhsa_system_sgpr_workgroup_info 0
		.amdhsa_system_vgpr_workitem_id 0
		.amdhsa_next_free_vgpr 1
		.amdhsa_next_free_sgpr 1
		.amdhsa_named_barrier_count 0
		.amdhsa_reserve_vcc 0
		.amdhsa_float_round_mode_32 0
		.amdhsa_float_round_mode_16_64 0
		.amdhsa_float_denorm_mode_32 3
		.amdhsa_float_denorm_mode_16_64 3
		.amdhsa_fp16_overflow 0
		.amdhsa_memory_ordered 1
		.amdhsa_forward_progress 1
		.amdhsa_inst_pref_size 0
		.amdhsa_round_robin_scheduling 0
		.amdhsa_exception_fp_ieee_invalid_op 0
		.amdhsa_exception_fp_denorm_src 0
		.amdhsa_exception_fp_ieee_div_zero 0
		.amdhsa_exception_fp_ieee_overflow 0
		.amdhsa_exception_fp_ieee_underflow 0
		.amdhsa_exception_fp_ieee_inexact 0
		.amdhsa_exception_int_div_zero 0
	.end_amdhsa_kernel
	.section	.text._ZN7rocprim17ROCPRIM_400000_NS6detail17trampoline_kernelINS0_13select_configILj256ELj13ELNS0_17block_load_methodE3ELS4_3ELS4_3ELNS0_20block_scan_algorithmE0ELj4294967295EEENS1_25partition_config_selectorILNS1_17partition_subalgoE4EjNS0_10empty_typeEbEEZZNS1_14partition_implILS8_4ELb0ES6_15HIP_vector_typeIjLj2EENS0_17counting_iteratorIjlEEPS9_SG_NS0_5tupleIJPjSI_NS0_16reverse_iteratorISI_EEEEENSH_IJSG_SG_SG_EEES9_SI_JZNS1_25segmented_radix_sort_implINS0_14default_configELb1EPK6__halfPSP_PKlPlN2at6native12_GLOBAL__N_18offset_tEEE10hipError_tPvRmT1_PNSt15iterator_traitsIS13_E10value_typeET2_T3_PNS14_IS19_E10value_typeET4_jRbjT5_S1F_jjP12ihipStream_tbEUljE_ZNSN_ISO_Lb1ESR_SS_SU_SV_SZ_EES10_S11_S12_S13_S17_S18_S19_S1C_S1D_jS1E_jS1F_S1F_jjS1H_bEUljE0_EEES10_S11_S12_S19_S1D_S1F_T6_T7_T9_mT8_S1H_bDpT10_ENKUlT_T0_E_clISt17integral_constantIbLb1EES1U_IbLb0EEEEDaS1Q_S1R_EUlS1Q_E_NS1_11comp_targetILNS1_3genE2ELNS1_11target_archE906ELNS1_3gpuE6ELNS1_3repE0EEENS1_30default_config_static_selectorELNS0_4arch9wavefront6targetE0EEEvS13_,"axG",@progbits,_ZN7rocprim17ROCPRIM_400000_NS6detail17trampoline_kernelINS0_13select_configILj256ELj13ELNS0_17block_load_methodE3ELS4_3ELS4_3ELNS0_20block_scan_algorithmE0ELj4294967295EEENS1_25partition_config_selectorILNS1_17partition_subalgoE4EjNS0_10empty_typeEbEEZZNS1_14partition_implILS8_4ELb0ES6_15HIP_vector_typeIjLj2EENS0_17counting_iteratorIjlEEPS9_SG_NS0_5tupleIJPjSI_NS0_16reverse_iteratorISI_EEEEENSH_IJSG_SG_SG_EEES9_SI_JZNS1_25segmented_radix_sort_implINS0_14default_configELb1EPK6__halfPSP_PKlPlN2at6native12_GLOBAL__N_18offset_tEEE10hipError_tPvRmT1_PNSt15iterator_traitsIS13_E10value_typeET2_T3_PNS14_IS19_E10value_typeET4_jRbjT5_S1F_jjP12ihipStream_tbEUljE_ZNSN_ISO_Lb1ESR_SS_SU_SV_SZ_EES10_S11_S12_S13_S17_S18_S19_S1C_S1D_jS1E_jS1F_S1F_jjS1H_bEUljE0_EEES10_S11_S12_S19_S1D_S1F_T6_T7_T9_mT8_S1H_bDpT10_ENKUlT_T0_E_clISt17integral_constantIbLb1EES1U_IbLb0EEEEDaS1Q_S1R_EUlS1Q_E_NS1_11comp_targetILNS1_3genE2ELNS1_11target_archE906ELNS1_3gpuE6ELNS1_3repE0EEENS1_30default_config_static_selectorELNS0_4arch9wavefront6targetE0EEEvS13_,comdat
.Lfunc_end1685:
	.size	_ZN7rocprim17ROCPRIM_400000_NS6detail17trampoline_kernelINS0_13select_configILj256ELj13ELNS0_17block_load_methodE3ELS4_3ELS4_3ELNS0_20block_scan_algorithmE0ELj4294967295EEENS1_25partition_config_selectorILNS1_17partition_subalgoE4EjNS0_10empty_typeEbEEZZNS1_14partition_implILS8_4ELb0ES6_15HIP_vector_typeIjLj2EENS0_17counting_iteratorIjlEEPS9_SG_NS0_5tupleIJPjSI_NS0_16reverse_iteratorISI_EEEEENSH_IJSG_SG_SG_EEES9_SI_JZNS1_25segmented_radix_sort_implINS0_14default_configELb1EPK6__halfPSP_PKlPlN2at6native12_GLOBAL__N_18offset_tEEE10hipError_tPvRmT1_PNSt15iterator_traitsIS13_E10value_typeET2_T3_PNS14_IS19_E10value_typeET4_jRbjT5_S1F_jjP12ihipStream_tbEUljE_ZNSN_ISO_Lb1ESR_SS_SU_SV_SZ_EES10_S11_S12_S13_S17_S18_S19_S1C_S1D_jS1E_jS1F_S1F_jjS1H_bEUljE0_EEES10_S11_S12_S19_S1D_S1F_T6_T7_T9_mT8_S1H_bDpT10_ENKUlT_T0_E_clISt17integral_constantIbLb1EES1U_IbLb0EEEEDaS1Q_S1R_EUlS1Q_E_NS1_11comp_targetILNS1_3genE2ELNS1_11target_archE906ELNS1_3gpuE6ELNS1_3repE0EEENS1_30default_config_static_selectorELNS0_4arch9wavefront6targetE0EEEvS13_, .Lfunc_end1685-_ZN7rocprim17ROCPRIM_400000_NS6detail17trampoline_kernelINS0_13select_configILj256ELj13ELNS0_17block_load_methodE3ELS4_3ELS4_3ELNS0_20block_scan_algorithmE0ELj4294967295EEENS1_25partition_config_selectorILNS1_17partition_subalgoE4EjNS0_10empty_typeEbEEZZNS1_14partition_implILS8_4ELb0ES6_15HIP_vector_typeIjLj2EENS0_17counting_iteratorIjlEEPS9_SG_NS0_5tupleIJPjSI_NS0_16reverse_iteratorISI_EEEEENSH_IJSG_SG_SG_EEES9_SI_JZNS1_25segmented_radix_sort_implINS0_14default_configELb1EPK6__halfPSP_PKlPlN2at6native12_GLOBAL__N_18offset_tEEE10hipError_tPvRmT1_PNSt15iterator_traitsIS13_E10value_typeET2_T3_PNS14_IS19_E10value_typeET4_jRbjT5_S1F_jjP12ihipStream_tbEUljE_ZNSN_ISO_Lb1ESR_SS_SU_SV_SZ_EES10_S11_S12_S13_S17_S18_S19_S1C_S1D_jS1E_jS1F_S1F_jjS1H_bEUljE0_EEES10_S11_S12_S19_S1D_S1F_T6_T7_T9_mT8_S1H_bDpT10_ENKUlT_T0_E_clISt17integral_constantIbLb1EES1U_IbLb0EEEEDaS1Q_S1R_EUlS1Q_E_NS1_11comp_targetILNS1_3genE2ELNS1_11target_archE906ELNS1_3gpuE6ELNS1_3repE0EEENS1_30default_config_static_selectorELNS0_4arch9wavefront6targetE0EEEvS13_
                                        ; -- End function
	.set _ZN7rocprim17ROCPRIM_400000_NS6detail17trampoline_kernelINS0_13select_configILj256ELj13ELNS0_17block_load_methodE3ELS4_3ELS4_3ELNS0_20block_scan_algorithmE0ELj4294967295EEENS1_25partition_config_selectorILNS1_17partition_subalgoE4EjNS0_10empty_typeEbEEZZNS1_14partition_implILS8_4ELb0ES6_15HIP_vector_typeIjLj2EENS0_17counting_iteratorIjlEEPS9_SG_NS0_5tupleIJPjSI_NS0_16reverse_iteratorISI_EEEEENSH_IJSG_SG_SG_EEES9_SI_JZNS1_25segmented_radix_sort_implINS0_14default_configELb1EPK6__halfPSP_PKlPlN2at6native12_GLOBAL__N_18offset_tEEE10hipError_tPvRmT1_PNSt15iterator_traitsIS13_E10value_typeET2_T3_PNS14_IS19_E10value_typeET4_jRbjT5_S1F_jjP12ihipStream_tbEUljE_ZNSN_ISO_Lb1ESR_SS_SU_SV_SZ_EES10_S11_S12_S13_S17_S18_S19_S1C_S1D_jS1E_jS1F_S1F_jjS1H_bEUljE0_EEES10_S11_S12_S19_S1D_S1F_T6_T7_T9_mT8_S1H_bDpT10_ENKUlT_T0_E_clISt17integral_constantIbLb1EES1U_IbLb0EEEEDaS1Q_S1R_EUlS1Q_E_NS1_11comp_targetILNS1_3genE2ELNS1_11target_archE906ELNS1_3gpuE6ELNS1_3repE0EEENS1_30default_config_static_selectorELNS0_4arch9wavefront6targetE0EEEvS13_.num_vgpr, 0
	.set _ZN7rocprim17ROCPRIM_400000_NS6detail17trampoline_kernelINS0_13select_configILj256ELj13ELNS0_17block_load_methodE3ELS4_3ELS4_3ELNS0_20block_scan_algorithmE0ELj4294967295EEENS1_25partition_config_selectorILNS1_17partition_subalgoE4EjNS0_10empty_typeEbEEZZNS1_14partition_implILS8_4ELb0ES6_15HIP_vector_typeIjLj2EENS0_17counting_iteratorIjlEEPS9_SG_NS0_5tupleIJPjSI_NS0_16reverse_iteratorISI_EEEEENSH_IJSG_SG_SG_EEES9_SI_JZNS1_25segmented_radix_sort_implINS0_14default_configELb1EPK6__halfPSP_PKlPlN2at6native12_GLOBAL__N_18offset_tEEE10hipError_tPvRmT1_PNSt15iterator_traitsIS13_E10value_typeET2_T3_PNS14_IS19_E10value_typeET4_jRbjT5_S1F_jjP12ihipStream_tbEUljE_ZNSN_ISO_Lb1ESR_SS_SU_SV_SZ_EES10_S11_S12_S13_S17_S18_S19_S1C_S1D_jS1E_jS1F_S1F_jjS1H_bEUljE0_EEES10_S11_S12_S19_S1D_S1F_T6_T7_T9_mT8_S1H_bDpT10_ENKUlT_T0_E_clISt17integral_constantIbLb1EES1U_IbLb0EEEEDaS1Q_S1R_EUlS1Q_E_NS1_11comp_targetILNS1_3genE2ELNS1_11target_archE906ELNS1_3gpuE6ELNS1_3repE0EEENS1_30default_config_static_selectorELNS0_4arch9wavefront6targetE0EEEvS13_.num_agpr, 0
	.set _ZN7rocprim17ROCPRIM_400000_NS6detail17trampoline_kernelINS0_13select_configILj256ELj13ELNS0_17block_load_methodE3ELS4_3ELS4_3ELNS0_20block_scan_algorithmE0ELj4294967295EEENS1_25partition_config_selectorILNS1_17partition_subalgoE4EjNS0_10empty_typeEbEEZZNS1_14partition_implILS8_4ELb0ES6_15HIP_vector_typeIjLj2EENS0_17counting_iteratorIjlEEPS9_SG_NS0_5tupleIJPjSI_NS0_16reverse_iteratorISI_EEEEENSH_IJSG_SG_SG_EEES9_SI_JZNS1_25segmented_radix_sort_implINS0_14default_configELb1EPK6__halfPSP_PKlPlN2at6native12_GLOBAL__N_18offset_tEEE10hipError_tPvRmT1_PNSt15iterator_traitsIS13_E10value_typeET2_T3_PNS14_IS19_E10value_typeET4_jRbjT5_S1F_jjP12ihipStream_tbEUljE_ZNSN_ISO_Lb1ESR_SS_SU_SV_SZ_EES10_S11_S12_S13_S17_S18_S19_S1C_S1D_jS1E_jS1F_S1F_jjS1H_bEUljE0_EEES10_S11_S12_S19_S1D_S1F_T6_T7_T9_mT8_S1H_bDpT10_ENKUlT_T0_E_clISt17integral_constantIbLb1EES1U_IbLb0EEEEDaS1Q_S1R_EUlS1Q_E_NS1_11comp_targetILNS1_3genE2ELNS1_11target_archE906ELNS1_3gpuE6ELNS1_3repE0EEENS1_30default_config_static_selectorELNS0_4arch9wavefront6targetE0EEEvS13_.numbered_sgpr, 0
	.set _ZN7rocprim17ROCPRIM_400000_NS6detail17trampoline_kernelINS0_13select_configILj256ELj13ELNS0_17block_load_methodE3ELS4_3ELS4_3ELNS0_20block_scan_algorithmE0ELj4294967295EEENS1_25partition_config_selectorILNS1_17partition_subalgoE4EjNS0_10empty_typeEbEEZZNS1_14partition_implILS8_4ELb0ES6_15HIP_vector_typeIjLj2EENS0_17counting_iteratorIjlEEPS9_SG_NS0_5tupleIJPjSI_NS0_16reverse_iteratorISI_EEEEENSH_IJSG_SG_SG_EEES9_SI_JZNS1_25segmented_radix_sort_implINS0_14default_configELb1EPK6__halfPSP_PKlPlN2at6native12_GLOBAL__N_18offset_tEEE10hipError_tPvRmT1_PNSt15iterator_traitsIS13_E10value_typeET2_T3_PNS14_IS19_E10value_typeET4_jRbjT5_S1F_jjP12ihipStream_tbEUljE_ZNSN_ISO_Lb1ESR_SS_SU_SV_SZ_EES10_S11_S12_S13_S17_S18_S19_S1C_S1D_jS1E_jS1F_S1F_jjS1H_bEUljE0_EEES10_S11_S12_S19_S1D_S1F_T6_T7_T9_mT8_S1H_bDpT10_ENKUlT_T0_E_clISt17integral_constantIbLb1EES1U_IbLb0EEEEDaS1Q_S1R_EUlS1Q_E_NS1_11comp_targetILNS1_3genE2ELNS1_11target_archE906ELNS1_3gpuE6ELNS1_3repE0EEENS1_30default_config_static_selectorELNS0_4arch9wavefront6targetE0EEEvS13_.num_named_barrier, 0
	.set _ZN7rocprim17ROCPRIM_400000_NS6detail17trampoline_kernelINS0_13select_configILj256ELj13ELNS0_17block_load_methodE3ELS4_3ELS4_3ELNS0_20block_scan_algorithmE0ELj4294967295EEENS1_25partition_config_selectorILNS1_17partition_subalgoE4EjNS0_10empty_typeEbEEZZNS1_14partition_implILS8_4ELb0ES6_15HIP_vector_typeIjLj2EENS0_17counting_iteratorIjlEEPS9_SG_NS0_5tupleIJPjSI_NS0_16reverse_iteratorISI_EEEEENSH_IJSG_SG_SG_EEES9_SI_JZNS1_25segmented_radix_sort_implINS0_14default_configELb1EPK6__halfPSP_PKlPlN2at6native12_GLOBAL__N_18offset_tEEE10hipError_tPvRmT1_PNSt15iterator_traitsIS13_E10value_typeET2_T3_PNS14_IS19_E10value_typeET4_jRbjT5_S1F_jjP12ihipStream_tbEUljE_ZNSN_ISO_Lb1ESR_SS_SU_SV_SZ_EES10_S11_S12_S13_S17_S18_S19_S1C_S1D_jS1E_jS1F_S1F_jjS1H_bEUljE0_EEES10_S11_S12_S19_S1D_S1F_T6_T7_T9_mT8_S1H_bDpT10_ENKUlT_T0_E_clISt17integral_constantIbLb1EES1U_IbLb0EEEEDaS1Q_S1R_EUlS1Q_E_NS1_11comp_targetILNS1_3genE2ELNS1_11target_archE906ELNS1_3gpuE6ELNS1_3repE0EEENS1_30default_config_static_selectorELNS0_4arch9wavefront6targetE0EEEvS13_.private_seg_size, 0
	.set _ZN7rocprim17ROCPRIM_400000_NS6detail17trampoline_kernelINS0_13select_configILj256ELj13ELNS0_17block_load_methodE3ELS4_3ELS4_3ELNS0_20block_scan_algorithmE0ELj4294967295EEENS1_25partition_config_selectorILNS1_17partition_subalgoE4EjNS0_10empty_typeEbEEZZNS1_14partition_implILS8_4ELb0ES6_15HIP_vector_typeIjLj2EENS0_17counting_iteratorIjlEEPS9_SG_NS0_5tupleIJPjSI_NS0_16reverse_iteratorISI_EEEEENSH_IJSG_SG_SG_EEES9_SI_JZNS1_25segmented_radix_sort_implINS0_14default_configELb1EPK6__halfPSP_PKlPlN2at6native12_GLOBAL__N_18offset_tEEE10hipError_tPvRmT1_PNSt15iterator_traitsIS13_E10value_typeET2_T3_PNS14_IS19_E10value_typeET4_jRbjT5_S1F_jjP12ihipStream_tbEUljE_ZNSN_ISO_Lb1ESR_SS_SU_SV_SZ_EES10_S11_S12_S13_S17_S18_S19_S1C_S1D_jS1E_jS1F_S1F_jjS1H_bEUljE0_EEES10_S11_S12_S19_S1D_S1F_T6_T7_T9_mT8_S1H_bDpT10_ENKUlT_T0_E_clISt17integral_constantIbLb1EES1U_IbLb0EEEEDaS1Q_S1R_EUlS1Q_E_NS1_11comp_targetILNS1_3genE2ELNS1_11target_archE906ELNS1_3gpuE6ELNS1_3repE0EEENS1_30default_config_static_selectorELNS0_4arch9wavefront6targetE0EEEvS13_.uses_vcc, 0
	.set _ZN7rocprim17ROCPRIM_400000_NS6detail17trampoline_kernelINS0_13select_configILj256ELj13ELNS0_17block_load_methodE3ELS4_3ELS4_3ELNS0_20block_scan_algorithmE0ELj4294967295EEENS1_25partition_config_selectorILNS1_17partition_subalgoE4EjNS0_10empty_typeEbEEZZNS1_14partition_implILS8_4ELb0ES6_15HIP_vector_typeIjLj2EENS0_17counting_iteratorIjlEEPS9_SG_NS0_5tupleIJPjSI_NS0_16reverse_iteratorISI_EEEEENSH_IJSG_SG_SG_EEES9_SI_JZNS1_25segmented_radix_sort_implINS0_14default_configELb1EPK6__halfPSP_PKlPlN2at6native12_GLOBAL__N_18offset_tEEE10hipError_tPvRmT1_PNSt15iterator_traitsIS13_E10value_typeET2_T3_PNS14_IS19_E10value_typeET4_jRbjT5_S1F_jjP12ihipStream_tbEUljE_ZNSN_ISO_Lb1ESR_SS_SU_SV_SZ_EES10_S11_S12_S13_S17_S18_S19_S1C_S1D_jS1E_jS1F_S1F_jjS1H_bEUljE0_EEES10_S11_S12_S19_S1D_S1F_T6_T7_T9_mT8_S1H_bDpT10_ENKUlT_T0_E_clISt17integral_constantIbLb1EES1U_IbLb0EEEEDaS1Q_S1R_EUlS1Q_E_NS1_11comp_targetILNS1_3genE2ELNS1_11target_archE906ELNS1_3gpuE6ELNS1_3repE0EEENS1_30default_config_static_selectorELNS0_4arch9wavefront6targetE0EEEvS13_.uses_flat_scratch, 0
	.set _ZN7rocprim17ROCPRIM_400000_NS6detail17trampoline_kernelINS0_13select_configILj256ELj13ELNS0_17block_load_methodE3ELS4_3ELS4_3ELNS0_20block_scan_algorithmE0ELj4294967295EEENS1_25partition_config_selectorILNS1_17partition_subalgoE4EjNS0_10empty_typeEbEEZZNS1_14partition_implILS8_4ELb0ES6_15HIP_vector_typeIjLj2EENS0_17counting_iteratorIjlEEPS9_SG_NS0_5tupleIJPjSI_NS0_16reverse_iteratorISI_EEEEENSH_IJSG_SG_SG_EEES9_SI_JZNS1_25segmented_radix_sort_implINS0_14default_configELb1EPK6__halfPSP_PKlPlN2at6native12_GLOBAL__N_18offset_tEEE10hipError_tPvRmT1_PNSt15iterator_traitsIS13_E10value_typeET2_T3_PNS14_IS19_E10value_typeET4_jRbjT5_S1F_jjP12ihipStream_tbEUljE_ZNSN_ISO_Lb1ESR_SS_SU_SV_SZ_EES10_S11_S12_S13_S17_S18_S19_S1C_S1D_jS1E_jS1F_S1F_jjS1H_bEUljE0_EEES10_S11_S12_S19_S1D_S1F_T6_T7_T9_mT8_S1H_bDpT10_ENKUlT_T0_E_clISt17integral_constantIbLb1EES1U_IbLb0EEEEDaS1Q_S1R_EUlS1Q_E_NS1_11comp_targetILNS1_3genE2ELNS1_11target_archE906ELNS1_3gpuE6ELNS1_3repE0EEENS1_30default_config_static_selectorELNS0_4arch9wavefront6targetE0EEEvS13_.has_dyn_sized_stack, 0
	.set _ZN7rocprim17ROCPRIM_400000_NS6detail17trampoline_kernelINS0_13select_configILj256ELj13ELNS0_17block_load_methodE3ELS4_3ELS4_3ELNS0_20block_scan_algorithmE0ELj4294967295EEENS1_25partition_config_selectorILNS1_17partition_subalgoE4EjNS0_10empty_typeEbEEZZNS1_14partition_implILS8_4ELb0ES6_15HIP_vector_typeIjLj2EENS0_17counting_iteratorIjlEEPS9_SG_NS0_5tupleIJPjSI_NS0_16reverse_iteratorISI_EEEEENSH_IJSG_SG_SG_EEES9_SI_JZNS1_25segmented_radix_sort_implINS0_14default_configELb1EPK6__halfPSP_PKlPlN2at6native12_GLOBAL__N_18offset_tEEE10hipError_tPvRmT1_PNSt15iterator_traitsIS13_E10value_typeET2_T3_PNS14_IS19_E10value_typeET4_jRbjT5_S1F_jjP12ihipStream_tbEUljE_ZNSN_ISO_Lb1ESR_SS_SU_SV_SZ_EES10_S11_S12_S13_S17_S18_S19_S1C_S1D_jS1E_jS1F_S1F_jjS1H_bEUljE0_EEES10_S11_S12_S19_S1D_S1F_T6_T7_T9_mT8_S1H_bDpT10_ENKUlT_T0_E_clISt17integral_constantIbLb1EES1U_IbLb0EEEEDaS1Q_S1R_EUlS1Q_E_NS1_11comp_targetILNS1_3genE2ELNS1_11target_archE906ELNS1_3gpuE6ELNS1_3repE0EEENS1_30default_config_static_selectorELNS0_4arch9wavefront6targetE0EEEvS13_.has_recursion, 0
	.set _ZN7rocprim17ROCPRIM_400000_NS6detail17trampoline_kernelINS0_13select_configILj256ELj13ELNS0_17block_load_methodE3ELS4_3ELS4_3ELNS0_20block_scan_algorithmE0ELj4294967295EEENS1_25partition_config_selectorILNS1_17partition_subalgoE4EjNS0_10empty_typeEbEEZZNS1_14partition_implILS8_4ELb0ES6_15HIP_vector_typeIjLj2EENS0_17counting_iteratorIjlEEPS9_SG_NS0_5tupleIJPjSI_NS0_16reverse_iteratorISI_EEEEENSH_IJSG_SG_SG_EEES9_SI_JZNS1_25segmented_radix_sort_implINS0_14default_configELb1EPK6__halfPSP_PKlPlN2at6native12_GLOBAL__N_18offset_tEEE10hipError_tPvRmT1_PNSt15iterator_traitsIS13_E10value_typeET2_T3_PNS14_IS19_E10value_typeET4_jRbjT5_S1F_jjP12ihipStream_tbEUljE_ZNSN_ISO_Lb1ESR_SS_SU_SV_SZ_EES10_S11_S12_S13_S17_S18_S19_S1C_S1D_jS1E_jS1F_S1F_jjS1H_bEUljE0_EEES10_S11_S12_S19_S1D_S1F_T6_T7_T9_mT8_S1H_bDpT10_ENKUlT_T0_E_clISt17integral_constantIbLb1EES1U_IbLb0EEEEDaS1Q_S1R_EUlS1Q_E_NS1_11comp_targetILNS1_3genE2ELNS1_11target_archE906ELNS1_3gpuE6ELNS1_3repE0EEENS1_30default_config_static_selectorELNS0_4arch9wavefront6targetE0EEEvS13_.has_indirect_call, 0
	.section	.AMDGPU.csdata,"",@progbits
; Kernel info:
; codeLenInByte = 0
; TotalNumSgprs: 0
; NumVgprs: 0
; ScratchSize: 0
; MemoryBound: 0
; FloatMode: 240
; IeeeMode: 1
; LDSByteSize: 0 bytes/workgroup (compile time only)
; SGPRBlocks: 0
; VGPRBlocks: 0
; NumSGPRsForWavesPerEU: 1
; NumVGPRsForWavesPerEU: 1
; NamedBarCnt: 0
; Occupancy: 16
; WaveLimiterHint : 0
; COMPUTE_PGM_RSRC2:SCRATCH_EN: 0
; COMPUTE_PGM_RSRC2:USER_SGPR: 2
; COMPUTE_PGM_RSRC2:TRAP_HANDLER: 0
; COMPUTE_PGM_RSRC2:TGID_X_EN: 1
; COMPUTE_PGM_RSRC2:TGID_Y_EN: 0
; COMPUTE_PGM_RSRC2:TGID_Z_EN: 0
; COMPUTE_PGM_RSRC2:TIDIG_COMP_CNT: 0
	.section	.text._ZN7rocprim17ROCPRIM_400000_NS6detail17trampoline_kernelINS0_13select_configILj256ELj13ELNS0_17block_load_methodE3ELS4_3ELS4_3ELNS0_20block_scan_algorithmE0ELj4294967295EEENS1_25partition_config_selectorILNS1_17partition_subalgoE4EjNS0_10empty_typeEbEEZZNS1_14partition_implILS8_4ELb0ES6_15HIP_vector_typeIjLj2EENS0_17counting_iteratorIjlEEPS9_SG_NS0_5tupleIJPjSI_NS0_16reverse_iteratorISI_EEEEENSH_IJSG_SG_SG_EEES9_SI_JZNS1_25segmented_radix_sort_implINS0_14default_configELb1EPK6__halfPSP_PKlPlN2at6native12_GLOBAL__N_18offset_tEEE10hipError_tPvRmT1_PNSt15iterator_traitsIS13_E10value_typeET2_T3_PNS14_IS19_E10value_typeET4_jRbjT5_S1F_jjP12ihipStream_tbEUljE_ZNSN_ISO_Lb1ESR_SS_SU_SV_SZ_EES10_S11_S12_S13_S17_S18_S19_S1C_S1D_jS1E_jS1F_S1F_jjS1H_bEUljE0_EEES10_S11_S12_S19_S1D_S1F_T6_T7_T9_mT8_S1H_bDpT10_ENKUlT_T0_E_clISt17integral_constantIbLb1EES1U_IbLb0EEEEDaS1Q_S1R_EUlS1Q_E_NS1_11comp_targetILNS1_3genE10ELNS1_11target_archE1200ELNS1_3gpuE4ELNS1_3repE0EEENS1_30default_config_static_selectorELNS0_4arch9wavefront6targetE0EEEvS13_,"axG",@progbits,_ZN7rocprim17ROCPRIM_400000_NS6detail17trampoline_kernelINS0_13select_configILj256ELj13ELNS0_17block_load_methodE3ELS4_3ELS4_3ELNS0_20block_scan_algorithmE0ELj4294967295EEENS1_25partition_config_selectorILNS1_17partition_subalgoE4EjNS0_10empty_typeEbEEZZNS1_14partition_implILS8_4ELb0ES6_15HIP_vector_typeIjLj2EENS0_17counting_iteratorIjlEEPS9_SG_NS0_5tupleIJPjSI_NS0_16reverse_iteratorISI_EEEEENSH_IJSG_SG_SG_EEES9_SI_JZNS1_25segmented_radix_sort_implINS0_14default_configELb1EPK6__halfPSP_PKlPlN2at6native12_GLOBAL__N_18offset_tEEE10hipError_tPvRmT1_PNSt15iterator_traitsIS13_E10value_typeET2_T3_PNS14_IS19_E10value_typeET4_jRbjT5_S1F_jjP12ihipStream_tbEUljE_ZNSN_ISO_Lb1ESR_SS_SU_SV_SZ_EES10_S11_S12_S13_S17_S18_S19_S1C_S1D_jS1E_jS1F_S1F_jjS1H_bEUljE0_EEES10_S11_S12_S19_S1D_S1F_T6_T7_T9_mT8_S1H_bDpT10_ENKUlT_T0_E_clISt17integral_constantIbLb1EES1U_IbLb0EEEEDaS1Q_S1R_EUlS1Q_E_NS1_11comp_targetILNS1_3genE10ELNS1_11target_archE1200ELNS1_3gpuE4ELNS1_3repE0EEENS1_30default_config_static_selectorELNS0_4arch9wavefront6targetE0EEEvS13_,comdat
	.globl	_ZN7rocprim17ROCPRIM_400000_NS6detail17trampoline_kernelINS0_13select_configILj256ELj13ELNS0_17block_load_methodE3ELS4_3ELS4_3ELNS0_20block_scan_algorithmE0ELj4294967295EEENS1_25partition_config_selectorILNS1_17partition_subalgoE4EjNS0_10empty_typeEbEEZZNS1_14partition_implILS8_4ELb0ES6_15HIP_vector_typeIjLj2EENS0_17counting_iteratorIjlEEPS9_SG_NS0_5tupleIJPjSI_NS0_16reverse_iteratorISI_EEEEENSH_IJSG_SG_SG_EEES9_SI_JZNS1_25segmented_radix_sort_implINS0_14default_configELb1EPK6__halfPSP_PKlPlN2at6native12_GLOBAL__N_18offset_tEEE10hipError_tPvRmT1_PNSt15iterator_traitsIS13_E10value_typeET2_T3_PNS14_IS19_E10value_typeET4_jRbjT5_S1F_jjP12ihipStream_tbEUljE_ZNSN_ISO_Lb1ESR_SS_SU_SV_SZ_EES10_S11_S12_S13_S17_S18_S19_S1C_S1D_jS1E_jS1F_S1F_jjS1H_bEUljE0_EEES10_S11_S12_S19_S1D_S1F_T6_T7_T9_mT8_S1H_bDpT10_ENKUlT_T0_E_clISt17integral_constantIbLb1EES1U_IbLb0EEEEDaS1Q_S1R_EUlS1Q_E_NS1_11comp_targetILNS1_3genE10ELNS1_11target_archE1200ELNS1_3gpuE4ELNS1_3repE0EEENS1_30default_config_static_selectorELNS0_4arch9wavefront6targetE0EEEvS13_ ; -- Begin function _ZN7rocprim17ROCPRIM_400000_NS6detail17trampoline_kernelINS0_13select_configILj256ELj13ELNS0_17block_load_methodE3ELS4_3ELS4_3ELNS0_20block_scan_algorithmE0ELj4294967295EEENS1_25partition_config_selectorILNS1_17partition_subalgoE4EjNS0_10empty_typeEbEEZZNS1_14partition_implILS8_4ELb0ES6_15HIP_vector_typeIjLj2EENS0_17counting_iteratorIjlEEPS9_SG_NS0_5tupleIJPjSI_NS0_16reverse_iteratorISI_EEEEENSH_IJSG_SG_SG_EEES9_SI_JZNS1_25segmented_radix_sort_implINS0_14default_configELb1EPK6__halfPSP_PKlPlN2at6native12_GLOBAL__N_18offset_tEEE10hipError_tPvRmT1_PNSt15iterator_traitsIS13_E10value_typeET2_T3_PNS14_IS19_E10value_typeET4_jRbjT5_S1F_jjP12ihipStream_tbEUljE_ZNSN_ISO_Lb1ESR_SS_SU_SV_SZ_EES10_S11_S12_S13_S17_S18_S19_S1C_S1D_jS1E_jS1F_S1F_jjS1H_bEUljE0_EEES10_S11_S12_S19_S1D_S1F_T6_T7_T9_mT8_S1H_bDpT10_ENKUlT_T0_E_clISt17integral_constantIbLb1EES1U_IbLb0EEEEDaS1Q_S1R_EUlS1Q_E_NS1_11comp_targetILNS1_3genE10ELNS1_11target_archE1200ELNS1_3gpuE4ELNS1_3repE0EEENS1_30default_config_static_selectorELNS0_4arch9wavefront6targetE0EEEvS13_
	.p2align	8
	.type	_ZN7rocprim17ROCPRIM_400000_NS6detail17trampoline_kernelINS0_13select_configILj256ELj13ELNS0_17block_load_methodE3ELS4_3ELS4_3ELNS0_20block_scan_algorithmE0ELj4294967295EEENS1_25partition_config_selectorILNS1_17partition_subalgoE4EjNS0_10empty_typeEbEEZZNS1_14partition_implILS8_4ELb0ES6_15HIP_vector_typeIjLj2EENS0_17counting_iteratorIjlEEPS9_SG_NS0_5tupleIJPjSI_NS0_16reverse_iteratorISI_EEEEENSH_IJSG_SG_SG_EEES9_SI_JZNS1_25segmented_radix_sort_implINS0_14default_configELb1EPK6__halfPSP_PKlPlN2at6native12_GLOBAL__N_18offset_tEEE10hipError_tPvRmT1_PNSt15iterator_traitsIS13_E10value_typeET2_T3_PNS14_IS19_E10value_typeET4_jRbjT5_S1F_jjP12ihipStream_tbEUljE_ZNSN_ISO_Lb1ESR_SS_SU_SV_SZ_EES10_S11_S12_S13_S17_S18_S19_S1C_S1D_jS1E_jS1F_S1F_jjS1H_bEUljE0_EEES10_S11_S12_S19_S1D_S1F_T6_T7_T9_mT8_S1H_bDpT10_ENKUlT_T0_E_clISt17integral_constantIbLb1EES1U_IbLb0EEEEDaS1Q_S1R_EUlS1Q_E_NS1_11comp_targetILNS1_3genE10ELNS1_11target_archE1200ELNS1_3gpuE4ELNS1_3repE0EEENS1_30default_config_static_selectorELNS0_4arch9wavefront6targetE0EEEvS13_,@function
_ZN7rocprim17ROCPRIM_400000_NS6detail17trampoline_kernelINS0_13select_configILj256ELj13ELNS0_17block_load_methodE3ELS4_3ELS4_3ELNS0_20block_scan_algorithmE0ELj4294967295EEENS1_25partition_config_selectorILNS1_17partition_subalgoE4EjNS0_10empty_typeEbEEZZNS1_14partition_implILS8_4ELb0ES6_15HIP_vector_typeIjLj2EENS0_17counting_iteratorIjlEEPS9_SG_NS0_5tupleIJPjSI_NS0_16reverse_iteratorISI_EEEEENSH_IJSG_SG_SG_EEES9_SI_JZNS1_25segmented_radix_sort_implINS0_14default_configELb1EPK6__halfPSP_PKlPlN2at6native12_GLOBAL__N_18offset_tEEE10hipError_tPvRmT1_PNSt15iterator_traitsIS13_E10value_typeET2_T3_PNS14_IS19_E10value_typeET4_jRbjT5_S1F_jjP12ihipStream_tbEUljE_ZNSN_ISO_Lb1ESR_SS_SU_SV_SZ_EES10_S11_S12_S13_S17_S18_S19_S1C_S1D_jS1E_jS1F_S1F_jjS1H_bEUljE0_EEES10_S11_S12_S19_S1D_S1F_T6_T7_T9_mT8_S1H_bDpT10_ENKUlT_T0_E_clISt17integral_constantIbLb1EES1U_IbLb0EEEEDaS1Q_S1R_EUlS1Q_E_NS1_11comp_targetILNS1_3genE10ELNS1_11target_archE1200ELNS1_3gpuE4ELNS1_3repE0EEENS1_30default_config_static_selectorELNS0_4arch9wavefront6targetE0EEEvS13_: ; @_ZN7rocprim17ROCPRIM_400000_NS6detail17trampoline_kernelINS0_13select_configILj256ELj13ELNS0_17block_load_methodE3ELS4_3ELS4_3ELNS0_20block_scan_algorithmE0ELj4294967295EEENS1_25partition_config_selectorILNS1_17partition_subalgoE4EjNS0_10empty_typeEbEEZZNS1_14partition_implILS8_4ELb0ES6_15HIP_vector_typeIjLj2EENS0_17counting_iteratorIjlEEPS9_SG_NS0_5tupleIJPjSI_NS0_16reverse_iteratorISI_EEEEENSH_IJSG_SG_SG_EEES9_SI_JZNS1_25segmented_radix_sort_implINS0_14default_configELb1EPK6__halfPSP_PKlPlN2at6native12_GLOBAL__N_18offset_tEEE10hipError_tPvRmT1_PNSt15iterator_traitsIS13_E10value_typeET2_T3_PNS14_IS19_E10value_typeET4_jRbjT5_S1F_jjP12ihipStream_tbEUljE_ZNSN_ISO_Lb1ESR_SS_SU_SV_SZ_EES10_S11_S12_S13_S17_S18_S19_S1C_S1D_jS1E_jS1F_S1F_jjS1H_bEUljE0_EEES10_S11_S12_S19_S1D_S1F_T6_T7_T9_mT8_S1H_bDpT10_ENKUlT_T0_E_clISt17integral_constantIbLb1EES1U_IbLb0EEEEDaS1Q_S1R_EUlS1Q_E_NS1_11comp_targetILNS1_3genE10ELNS1_11target_archE1200ELNS1_3gpuE4ELNS1_3repE0EEENS1_30default_config_static_selectorELNS0_4arch9wavefront6targetE0EEEvS13_
; %bb.0:
	.section	.rodata,"a",@progbits
	.p2align	6, 0x0
	.amdhsa_kernel _ZN7rocprim17ROCPRIM_400000_NS6detail17trampoline_kernelINS0_13select_configILj256ELj13ELNS0_17block_load_methodE3ELS4_3ELS4_3ELNS0_20block_scan_algorithmE0ELj4294967295EEENS1_25partition_config_selectorILNS1_17partition_subalgoE4EjNS0_10empty_typeEbEEZZNS1_14partition_implILS8_4ELb0ES6_15HIP_vector_typeIjLj2EENS0_17counting_iteratorIjlEEPS9_SG_NS0_5tupleIJPjSI_NS0_16reverse_iteratorISI_EEEEENSH_IJSG_SG_SG_EEES9_SI_JZNS1_25segmented_radix_sort_implINS0_14default_configELb1EPK6__halfPSP_PKlPlN2at6native12_GLOBAL__N_18offset_tEEE10hipError_tPvRmT1_PNSt15iterator_traitsIS13_E10value_typeET2_T3_PNS14_IS19_E10value_typeET4_jRbjT5_S1F_jjP12ihipStream_tbEUljE_ZNSN_ISO_Lb1ESR_SS_SU_SV_SZ_EES10_S11_S12_S13_S17_S18_S19_S1C_S1D_jS1E_jS1F_S1F_jjS1H_bEUljE0_EEES10_S11_S12_S19_S1D_S1F_T6_T7_T9_mT8_S1H_bDpT10_ENKUlT_T0_E_clISt17integral_constantIbLb1EES1U_IbLb0EEEEDaS1Q_S1R_EUlS1Q_E_NS1_11comp_targetILNS1_3genE10ELNS1_11target_archE1200ELNS1_3gpuE4ELNS1_3repE0EEENS1_30default_config_static_selectorELNS0_4arch9wavefront6targetE0EEEvS13_
		.amdhsa_group_segment_fixed_size 0
		.amdhsa_private_segment_fixed_size 0
		.amdhsa_kernarg_size 176
		.amdhsa_user_sgpr_count 2
		.amdhsa_user_sgpr_dispatch_ptr 0
		.amdhsa_user_sgpr_queue_ptr 0
		.amdhsa_user_sgpr_kernarg_segment_ptr 1
		.amdhsa_user_sgpr_dispatch_id 0
		.amdhsa_user_sgpr_kernarg_preload_length 0
		.amdhsa_user_sgpr_kernarg_preload_offset 0
		.amdhsa_user_sgpr_private_segment_size 0
		.amdhsa_wavefront_size32 1
		.amdhsa_uses_dynamic_stack 0
		.amdhsa_enable_private_segment 0
		.amdhsa_system_sgpr_workgroup_id_x 1
		.amdhsa_system_sgpr_workgroup_id_y 0
		.amdhsa_system_sgpr_workgroup_id_z 0
		.amdhsa_system_sgpr_workgroup_info 0
		.amdhsa_system_vgpr_workitem_id 0
		.amdhsa_next_free_vgpr 1
		.amdhsa_next_free_sgpr 1
		.amdhsa_named_barrier_count 0
		.amdhsa_reserve_vcc 0
		.amdhsa_float_round_mode_32 0
		.amdhsa_float_round_mode_16_64 0
		.amdhsa_float_denorm_mode_32 3
		.amdhsa_float_denorm_mode_16_64 3
		.amdhsa_fp16_overflow 0
		.amdhsa_memory_ordered 1
		.amdhsa_forward_progress 1
		.amdhsa_inst_pref_size 0
		.amdhsa_round_robin_scheduling 0
		.amdhsa_exception_fp_ieee_invalid_op 0
		.amdhsa_exception_fp_denorm_src 0
		.amdhsa_exception_fp_ieee_div_zero 0
		.amdhsa_exception_fp_ieee_overflow 0
		.amdhsa_exception_fp_ieee_underflow 0
		.amdhsa_exception_fp_ieee_inexact 0
		.amdhsa_exception_int_div_zero 0
	.end_amdhsa_kernel
	.section	.text._ZN7rocprim17ROCPRIM_400000_NS6detail17trampoline_kernelINS0_13select_configILj256ELj13ELNS0_17block_load_methodE3ELS4_3ELS4_3ELNS0_20block_scan_algorithmE0ELj4294967295EEENS1_25partition_config_selectorILNS1_17partition_subalgoE4EjNS0_10empty_typeEbEEZZNS1_14partition_implILS8_4ELb0ES6_15HIP_vector_typeIjLj2EENS0_17counting_iteratorIjlEEPS9_SG_NS0_5tupleIJPjSI_NS0_16reverse_iteratorISI_EEEEENSH_IJSG_SG_SG_EEES9_SI_JZNS1_25segmented_radix_sort_implINS0_14default_configELb1EPK6__halfPSP_PKlPlN2at6native12_GLOBAL__N_18offset_tEEE10hipError_tPvRmT1_PNSt15iterator_traitsIS13_E10value_typeET2_T3_PNS14_IS19_E10value_typeET4_jRbjT5_S1F_jjP12ihipStream_tbEUljE_ZNSN_ISO_Lb1ESR_SS_SU_SV_SZ_EES10_S11_S12_S13_S17_S18_S19_S1C_S1D_jS1E_jS1F_S1F_jjS1H_bEUljE0_EEES10_S11_S12_S19_S1D_S1F_T6_T7_T9_mT8_S1H_bDpT10_ENKUlT_T0_E_clISt17integral_constantIbLb1EES1U_IbLb0EEEEDaS1Q_S1R_EUlS1Q_E_NS1_11comp_targetILNS1_3genE10ELNS1_11target_archE1200ELNS1_3gpuE4ELNS1_3repE0EEENS1_30default_config_static_selectorELNS0_4arch9wavefront6targetE0EEEvS13_,"axG",@progbits,_ZN7rocprim17ROCPRIM_400000_NS6detail17trampoline_kernelINS0_13select_configILj256ELj13ELNS0_17block_load_methodE3ELS4_3ELS4_3ELNS0_20block_scan_algorithmE0ELj4294967295EEENS1_25partition_config_selectorILNS1_17partition_subalgoE4EjNS0_10empty_typeEbEEZZNS1_14partition_implILS8_4ELb0ES6_15HIP_vector_typeIjLj2EENS0_17counting_iteratorIjlEEPS9_SG_NS0_5tupleIJPjSI_NS0_16reverse_iteratorISI_EEEEENSH_IJSG_SG_SG_EEES9_SI_JZNS1_25segmented_radix_sort_implINS0_14default_configELb1EPK6__halfPSP_PKlPlN2at6native12_GLOBAL__N_18offset_tEEE10hipError_tPvRmT1_PNSt15iterator_traitsIS13_E10value_typeET2_T3_PNS14_IS19_E10value_typeET4_jRbjT5_S1F_jjP12ihipStream_tbEUljE_ZNSN_ISO_Lb1ESR_SS_SU_SV_SZ_EES10_S11_S12_S13_S17_S18_S19_S1C_S1D_jS1E_jS1F_S1F_jjS1H_bEUljE0_EEES10_S11_S12_S19_S1D_S1F_T6_T7_T9_mT8_S1H_bDpT10_ENKUlT_T0_E_clISt17integral_constantIbLb1EES1U_IbLb0EEEEDaS1Q_S1R_EUlS1Q_E_NS1_11comp_targetILNS1_3genE10ELNS1_11target_archE1200ELNS1_3gpuE4ELNS1_3repE0EEENS1_30default_config_static_selectorELNS0_4arch9wavefront6targetE0EEEvS13_,comdat
.Lfunc_end1686:
	.size	_ZN7rocprim17ROCPRIM_400000_NS6detail17trampoline_kernelINS0_13select_configILj256ELj13ELNS0_17block_load_methodE3ELS4_3ELS4_3ELNS0_20block_scan_algorithmE0ELj4294967295EEENS1_25partition_config_selectorILNS1_17partition_subalgoE4EjNS0_10empty_typeEbEEZZNS1_14partition_implILS8_4ELb0ES6_15HIP_vector_typeIjLj2EENS0_17counting_iteratorIjlEEPS9_SG_NS0_5tupleIJPjSI_NS0_16reverse_iteratorISI_EEEEENSH_IJSG_SG_SG_EEES9_SI_JZNS1_25segmented_radix_sort_implINS0_14default_configELb1EPK6__halfPSP_PKlPlN2at6native12_GLOBAL__N_18offset_tEEE10hipError_tPvRmT1_PNSt15iterator_traitsIS13_E10value_typeET2_T3_PNS14_IS19_E10value_typeET4_jRbjT5_S1F_jjP12ihipStream_tbEUljE_ZNSN_ISO_Lb1ESR_SS_SU_SV_SZ_EES10_S11_S12_S13_S17_S18_S19_S1C_S1D_jS1E_jS1F_S1F_jjS1H_bEUljE0_EEES10_S11_S12_S19_S1D_S1F_T6_T7_T9_mT8_S1H_bDpT10_ENKUlT_T0_E_clISt17integral_constantIbLb1EES1U_IbLb0EEEEDaS1Q_S1R_EUlS1Q_E_NS1_11comp_targetILNS1_3genE10ELNS1_11target_archE1200ELNS1_3gpuE4ELNS1_3repE0EEENS1_30default_config_static_selectorELNS0_4arch9wavefront6targetE0EEEvS13_, .Lfunc_end1686-_ZN7rocprim17ROCPRIM_400000_NS6detail17trampoline_kernelINS0_13select_configILj256ELj13ELNS0_17block_load_methodE3ELS4_3ELS4_3ELNS0_20block_scan_algorithmE0ELj4294967295EEENS1_25partition_config_selectorILNS1_17partition_subalgoE4EjNS0_10empty_typeEbEEZZNS1_14partition_implILS8_4ELb0ES6_15HIP_vector_typeIjLj2EENS0_17counting_iteratorIjlEEPS9_SG_NS0_5tupleIJPjSI_NS0_16reverse_iteratorISI_EEEEENSH_IJSG_SG_SG_EEES9_SI_JZNS1_25segmented_radix_sort_implINS0_14default_configELb1EPK6__halfPSP_PKlPlN2at6native12_GLOBAL__N_18offset_tEEE10hipError_tPvRmT1_PNSt15iterator_traitsIS13_E10value_typeET2_T3_PNS14_IS19_E10value_typeET4_jRbjT5_S1F_jjP12ihipStream_tbEUljE_ZNSN_ISO_Lb1ESR_SS_SU_SV_SZ_EES10_S11_S12_S13_S17_S18_S19_S1C_S1D_jS1E_jS1F_S1F_jjS1H_bEUljE0_EEES10_S11_S12_S19_S1D_S1F_T6_T7_T9_mT8_S1H_bDpT10_ENKUlT_T0_E_clISt17integral_constantIbLb1EES1U_IbLb0EEEEDaS1Q_S1R_EUlS1Q_E_NS1_11comp_targetILNS1_3genE10ELNS1_11target_archE1200ELNS1_3gpuE4ELNS1_3repE0EEENS1_30default_config_static_selectorELNS0_4arch9wavefront6targetE0EEEvS13_
                                        ; -- End function
	.set _ZN7rocprim17ROCPRIM_400000_NS6detail17trampoline_kernelINS0_13select_configILj256ELj13ELNS0_17block_load_methodE3ELS4_3ELS4_3ELNS0_20block_scan_algorithmE0ELj4294967295EEENS1_25partition_config_selectorILNS1_17partition_subalgoE4EjNS0_10empty_typeEbEEZZNS1_14partition_implILS8_4ELb0ES6_15HIP_vector_typeIjLj2EENS0_17counting_iteratorIjlEEPS9_SG_NS0_5tupleIJPjSI_NS0_16reverse_iteratorISI_EEEEENSH_IJSG_SG_SG_EEES9_SI_JZNS1_25segmented_radix_sort_implINS0_14default_configELb1EPK6__halfPSP_PKlPlN2at6native12_GLOBAL__N_18offset_tEEE10hipError_tPvRmT1_PNSt15iterator_traitsIS13_E10value_typeET2_T3_PNS14_IS19_E10value_typeET4_jRbjT5_S1F_jjP12ihipStream_tbEUljE_ZNSN_ISO_Lb1ESR_SS_SU_SV_SZ_EES10_S11_S12_S13_S17_S18_S19_S1C_S1D_jS1E_jS1F_S1F_jjS1H_bEUljE0_EEES10_S11_S12_S19_S1D_S1F_T6_T7_T9_mT8_S1H_bDpT10_ENKUlT_T0_E_clISt17integral_constantIbLb1EES1U_IbLb0EEEEDaS1Q_S1R_EUlS1Q_E_NS1_11comp_targetILNS1_3genE10ELNS1_11target_archE1200ELNS1_3gpuE4ELNS1_3repE0EEENS1_30default_config_static_selectorELNS0_4arch9wavefront6targetE0EEEvS13_.num_vgpr, 0
	.set _ZN7rocprim17ROCPRIM_400000_NS6detail17trampoline_kernelINS0_13select_configILj256ELj13ELNS0_17block_load_methodE3ELS4_3ELS4_3ELNS0_20block_scan_algorithmE0ELj4294967295EEENS1_25partition_config_selectorILNS1_17partition_subalgoE4EjNS0_10empty_typeEbEEZZNS1_14partition_implILS8_4ELb0ES6_15HIP_vector_typeIjLj2EENS0_17counting_iteratorIjlEEPS9_SG_NS0_5tupleIJPjSI_NS0_16reverse_iteratorISI_EEEEENSH_IJSG_SG_SG_EEES9_SI_JZNS1_25segmented_radix_sort_implINS0_14default_configELb1EPK6__halfPSP_PKlPlN2at6native12_GLOBAL__N_18offset_tEEE10hipError_tPvRmT1_PNSt15iterator_traitsIS13_E10value_typeET2_T3_PNS14_IS19_E10value_typeET4_jRbjT5_S1F_jjP12ihipStream_tbEUljE_ZNSN_ISO_Lb1ESR_SS_SU_SV_SZ_EES10_S11_S12_S13_S17_S18_S19_S1C_S1D_jS1E_jS1F_S1F_jjS1H_bEUljE0_EEES10_S11_S12_S19_S1D_S1F_T6_T7_T9_mT8_S1H_bDpT10_ENKUlT_T0_E_clISt17integral_constantIbLb1EES1U_IbLb0EEEEDaS1Q_S1R_EUlS1Q_E_NS1_11comp_targetILNS1_3genE10ELNS1_11target_archE1200ELNS1_3gpuE4ELNS1_3repE0EEENS1_30default_config_static_selectorELNS0_4arch9wavefront6targetE0EEEvS13_.num_agpr, 0
	.set _ZN7rocprim17ROCPRIM_400000_NS6detail17trampoline_kernelINS0_13select_configILj256ELj13ELNS0_17block_load_methodE3ELS4_3ELS4_3ELNS0_20block_scan_algorithmE0ELj4294967295EEENS1_25partition_config_selectorILNS1_17partition_subalgoE4EjNS0_10empty_typeEbEEZZNS1_14partition_implILS8_4ELb0ES6_15HIP_vector_typeIjLj2EENS0_17counting_iteratorIjlEEPS9_SG_NS0_5tupleIJPjSI_NS0_16reverse_iteratorISI_EEEEENSH_IJSG_SG_SG_EEES9_SI_JZNS1_25segmented_radix_sort_implINS0_14default_configELb1EPK6__halfPSP_PKlPlN2at6native12_GLOBAL__N_18offset_tEEE10hipError_tPvRmT1_PNSt15iterator_traitsIS13_E10value_typeET2_T3_PNS14_IS19_E10value_typeET4_jRbjT5_S1F_jjP12ihipStream_tbEUljE_ZNSN_ISO_Lb1ESR_SS_SU_SV_SZ_EES10_S11_S12_S13_S17_S18_S19_S1C_S1D_jS1E_jS1F_S1F_jjS1H_bEUljE0_EEES10_S11_S12_S19_S1D_S1F_T6_T7_T9_mT8_S1H_bDpT10_ENKUlT_T0_E_clISt17integral_constantIbLb1EES1U_IbLb0EEEEDaS1Q_S1R_EUlS1Q_E_NS1_11comp_targetILNS1_3genE10ELNS1_11target_archE1200ELNS1_3gpuE4ELNS1_3repE0EEENS1_30default_config_static_selectorELNS0_4arch9wavefront6targetE0EEEvS13_.numbered_sgpr, 0
	.set _ZN7rocprim17ROCPRIM_400000_NS6detail17trampoline_kernelINS0_13select_configILj256ELj13ELNS0_17block_load_methodE3ELS4_3ELS4_3ELNS0_20block_scan_algorithmE0ELj4294967295EEENS1_25partition_config_selectorILNS1_17partition_subalgoE4EjNS0_10empty_typeEbEEZZNS1_14partition_implILS8_4ELb0ES6_15HIP_vector_typeIjLj2EENS0_17counting_iteratorIjlEEPS9_SG_NS0_5tupleIJPjSI_NS0_16reverse_iteratorISI_EEEEENSH_IJSG_SG_SG_EEES9_SI_JZNS1_25segmented_radix_sort_implINS0_14default_configELb1EPK6__halfPSP_PKlPlN2at6native12_GLOBAL__N_18offset_tEEE10hipError_tPvRmT1_PNSt15iterator_traitsIS13_E10value_typeET2_T3_PNS14_IS19_E10value_typeET4_jRbjT5_S1F_jjP12ihipStream_tbEUljE_ZNSN_ISO_Lb1ESR_SS_SU_SV_SZ_EES10_S11_S12_S13_S17_S18_S19_S1C_S1D_jS1E_jS1F_S1F_jjS1H_bEUljE0_EEES10_S11_S12_S19_S1D_S1F_T6_T7_T9_mT8_S1H_bDpT10_ENKUlT_T0_E_clISt17integral_constantIbLb1EES1U_IbLb0EEEEDaS1Q_S1R_EUlS1Q_E_NS1_11comp_targetILNS1_3genE10ELNS1_11target_archE1200ELNS1_3gpuE4ELNS1_3repE0EEENS1_30default_config_static_selectorELNS0_4arch9wavefront6targetE0EEEvS13_.num_named_barrier, 0
	.set _ZN7rocprim17ROCPRIM_400000_NS6detail17trampoline_kernelINS0_13select_configILj256ELj13ELNS0_17block_load_methodE3ELS4_3ELS4_3ELNS0_20block_scan_algorithmE0ELj4294967295EEENS1_25partition_config_selectorILNS1_17partition_subalgoE4EjNS0_10empty_typeEbEEZZNS1_14partition_implILS8_4ELb0ES6_15HIP_vector_typeIjLj2EENS0_17counting_iteratorIjlEEPS9_SG_NS0_5tupleIJPjSI_NS0_16reverse_iteratorISI_EEEEENSH_IJSG_SG_SG_EEES9_SI_JZNS1_25segmented_radix_sort_implINS0_14default_configELb1EPK6__halfPSP_PKlPlN2at6native12_GLOBAL__N_18offset_tEEE10hipError_tPvRmT1_PNSt15iterator_traitsIS13_E10value_typeET2_T3_PNS14_IS19_E10value_typeET4_jRbjT5_S1F_jjP12ihipStream_tbEUljE_ZNSN_ISO_Lb1ESR_SS_SU_SV_SZ_EES10_S11_S12_S13_S17_S18_S19_S1C_S1D_jS1E_jS1F_S1F_jjS1H_bEUljE0_EEES10_S11_S12_S19_S1D_S1F_T6_T7_T9_mT8_S1H_bDpT10_ENKUlT_T0_E_clISt17integral_constantIbLb1EES1U_IbLb0EEEEDaS1Q_S1R_EUlS1Q_E_NS1_11comp_targetILNS1_3genE10ELNS1_11target_archE1200ELNS1_3gpuE4ELNS1_3repE0EEENS1_30default_config_static_selectorELNS0_4arch9wavefront6targetE0EEEvS13_.private_seg_size, 0
	.set _ZN7rocprim17ROCPRIM_400000_NS6detail17trampoline_kernelINS0_13select_configILj256ELj13ELNS0_17block_load_methodE3ELS4_3ELS4_3ELNS0_20block_scan_algorithmE0ELj4294967295EEENS1_25partition_config_selectorILNS1_17partition_subalgoE4EjNS0_10empty_typeEbEEZZNS1_14partition_implILS8_4ELb0ES6_15HIP_vector_typeIjLj2EENS0_17counting_iteratorIjlEEPS9_SG_NS0_5tupleIJPjSI_NS0_16reverse_iteratorISI_EEEEENSH_IJSG_SG_SG_EEES9_SI_JZNS1_25segmented_radix_sort_implINS0_14default_configELb1EPK6__halfPSP_PKlPlN2at6native12_GLOBAL__N_18offset_tEEE10hipError_tPvRmT1_PNSt15iterator_traitsIS13_E10value_typeET2_T3_PNS14_IS19_E10value_typeET4_jRbjT5_S1F_jjP12ihipStream_tbEUljE_ZNSN_ISO_Lb1ESR_SS_SU_SV_SZ_EES10_S11_S12_S13_S17_S18_S19_S1C_S1D_jS1E_jS1F_S1F_jjS1H_bEUljE0_EEES10_S11_S12_S19_S1D_S1F_T6_T7_T9_mT8_S1H_bDpT10_ENKUlT_T0_E_clISt17integral_constantIbLb1EES1U_IbLb0EEEEDaS1Q_S1R_EUlS1Q_E_NS1_11comp_targetILNS1_3genE10ELNS1_11target_archE1200ELNS1_3gpuE4ELNS1_3repE0EEENS1_30default_config_static_selectorELNS0_4arch9wavefront6targetE0EEEvS13_.uses_vcc, 0
	.set _ZN7rocprim17ROCPRIM_400000_NS6detail17trampoline_kernelINS0_13select_configILj256ELj13ELNS0_17block_load_methodE3ELS4_3ELS4_3ELNS0_20block_scan_algorithmE0ELj4294967295EEENS1_25partition_config_selectorILNS1_17partition_subalgoE4EjNS0_10empty_typeEbEEZZNS1_14partition_implILS8_4ELb0ES6_15HIP_vector_typeIjLj2EENS0_17counting_iteratorIjlEEPS9_SG_NS0_5tupleIJPjSI_NS0_16reverse_iteratorISI_EEEEENSH_IJSG_SG_SG_EEES9_SI_JZNS1_25segmented_radix_sort_implINS0_14default_configELb1EPK6__halfPSP_PKlPlN2at6native12_GLOBAL__N_18offset_tEEE10hipError_tPvRmT1_PNSt15iterator_traitsIS13_E10value_typeET2_T3_PNS14_IS19_E10value_typeET4_jRbjT5_S1F_jjP12ihipStream_tbEUljE_ZNSN_ISO_Lb1ESR_SS_SU_SV_SZ_EES10_S11_S12_S13_S17_S18_S19_S1C_S1D_jS1E_jS1F_S1F_jjS1H_bEUljE0_EEES10_S11_S12_S19_S1D_S1F_T6_T7_T9_mT8_S1H_bDpT10_ENKUlT_T0_E_clISt17integral_constantIbLb1EES1U_IbLb0EEEEDaS1Q_S1R_EUlS1Q_E_NS1_11comp_targetILNS1_3genE10ELNS1_11target_archE1200ELNS1_3gpuE4ELNS1_3repE0EEENS1_30default_config_static_selectorELNS0_4arch9wavefront6targetE0EEEvS13_.uses_flat_scratch, 0
	.set _ZN7rocprim17ROCPRIM_400000_NS6detail17trampoline_kernelINS0_13select_configILj256ELj13ELNS0_17block_load_methodE3ELS4_3ELS4_3ELNS0_20block_scan_algorithmE0ELj4294967295EEENS1_25partition_config_selectorILNS1_17partition_subalgoE4EjNS0_10empty_typeEbEEZZNS1_14partition_implILS8_4ELb0ES6_15HIP_vector_typeIjLj2EENS0_17counting_iteratorIjlEEPS9_SG_NS0_5tupleIJPjSI_NS0_16reverse_iteratorISI_EEEEENSH_IJSG_SG_SG_EEES9_SI_JZNS1_25segmented_radix_sort_implINS0_14default_configELb1EPK6__halfPSP_PKlPlN2at6native12_GLOBAL__N_18offset_tEEE10hipError_tPvRmT1_PNSt15iterator_traitsIS13_E10value_typeET2_T3_PNS14_IS19_E10value_typeET4_jRbjT5_S1F_jjP12ihipStream_tbEUljE_ZNSN_ISO_Lb1ESR_SS_SU_SV_SZ_EES10_S11_S12_S13_S17_S18_S19_S1C_S1D_jS1E_jS1F_S1F_jjS1H_bEUljE0_EEES10_S11_S12_S19_S1D_S1F_T6_T7_T9_mT8_S1H_bDpT10_ENKUlT_T0_E_clISt17integral_constantIbLb1EES1U_IbLb0EEEEDaS1Q_S1R_EUlS1Q_E_NS1_11comp_targetILNS1_3genE10ELNS1_11target_archE1200ELNS1_3gpuE4ELNS1_3repE0EEENS1_30default_config_static_selectorELNS0_4arch9wavefront6targetE0EEEvS13_.has_dyn_sized_stack, 0
	.set _ZN7rocprim17ROCPRIM_400000_NS6detail17trampoline_kernelINS0_13select_configILj256ELj13ELNS0_17block_load_methodE3ELS4_3ELS4_3ELNS0_20block_scan_algorithmE0ELj4294967295EEENS1_25partition_config_selectorILNS1_17partition_subalgoE4EjNS0_10empty_typeEbEEZZNS1_14partition_implILS8_4ELb0ES6_15HIP_vector_typeIjLj2EENS0_17counting_iteratorIjlEEPS9_SG_NS0_5tupleIJPjSI_NS0_16reverse_iteratorISI_EEEEENSH_IJSG_SG_SG_EEES9_SI_JZNS1_25segmented_radix_sort_implINS0_14default_configELb1EPK6__halfPSP_PKlPlN2at6native12_GLOBAL__N_18offset_tEEE10hipError_tPvRmT1_PNSt15iterator_traitsIS13_E10value_typeET2_T3_PNS14_IS19_E10value_typeET4_jRbjT5_S1F_jjP12ihipStream_tbEUljE_ZNSN_ISO_Lb1ESR_SS_SU_SV_SZ_EES10_S11_S12_S13_S17_S18_S19_S1C_S1D_jS1E_jS1F_S1F_jjS1H_bEUljE0_EEES10_S11_S12_S19_S1D_S1F_T6_T7_T9_mT8_S1H_bDpT10_ENKUlT_T0_E_clISt17integral_constantIbLb1EES1U_IbLb0EEEEDaS1Q_S1R_EUlS1Q_E_NS1_11comp_targetILNS1_3genE10ELNS1_11target_archE1200ELNS1_3gpuE4ELNS1_3repE0EEENS1_30default_config_static_selectorELNS0_4arch9wavefront6targetE0EEEvS13_.has_recursion, 0
	.set _ZN7rocprim17ROCPRIM_400000_NS6detail17trampoline_kernelINS0_13select_configILj256ELj13ELNS0_17block_load_methodE3ELS4_3ELS4_3ELNS0_20block_scan_algorithmE0ELj4294967295EEENS1_25partition_config_selectorILNS1_17partition_subalgoE4EjNS0_10empty_typeEbEEZZNS1_14partition_implILS8_4ELb0ES6_15HIP_vector_typeIjLj2EENS0_17counting_iteratorIjlEEPS9_SG_NS0_5tupleIJPjSI_NS0_16reverse_iteratorISI_EEEEENSH_IJSG_SG_SG_EEES9_SI_JZNS1_25segmented_radix_sort_implINS0_14default_configELb1EPK6__halfPSP_PKlPlN2at6native12_GLOBAL__N_18offset_tEEE10hipError_tPvRmT1_PNSt15iterator_traitsIS13_E10value_typeET2_T3_PNS14_IS19_E10value_typeET4_jRbjT5_S1F_jjP12ihipStream_tbEUljE_ZNSN_ISO_Lb1ESR_SS_SU_SV_SZ_EES10_S11_S12_S13_S17_S18_S19_S1C_S1D_jS1E_jS1F_S1F_jjS1H_bEUljE0_EEES10_S11_S12_S19_S1D_S1F_T6_T7_T9_mT8_S1H_bDpT10_ENKUlT_T0_E_clISt17integral_constantIbLb1EES1U_IbLb0EEEEDaS1Q_S1R_EUlS1Q_E_NS1_11comp_targetILNS1_3genE10ELNS1_11target_archE1200ELNS1_3gpuE4ELNS1_3repE0EEENS1_30default_config_static_selectorELNS0_4arch9wavefront6targetE0EEEvS13_.has_indirect_call, 0
	.section	.AMDGPU.csdata,"",@progbits
; Kernel info:
; codeLenInByte = 0
; TotalNumSgprs: 0
; NumVgprs: 0
; ScratchSize: 0
; MemoryBound: 0
; FloatMode: 240
; IeeeMode: 1
; LDSByteSize: 0 bytes/workgroup (compile time only)
; SGPRBlocks: 0
; VGPRBlocks: 0
; NumSGPRsForWavesPerEU: 1
; NumVGPRsForWavesPerEU: 1
; NamedBarCnt: 0
; Occupancy: 16
; WaveLimiterHint : 0
; COMPUTE_PGM_RSRC2:SCRATCH_EN: 0
; COMPUTE_PGM_RSRC2:USER_SGPR: 2
; COMPUTE_PGM_RSRC2:TRAP_HANDLER: 0
; COMPUTE_PGM_RSRC2:TGID_X_EN: 1
; COMPUTE_PGM_RSRC2:TGID_Y_EN: 0
; COMPUTE_PGM_RSRC2:TGID_Z_EN: 0
; COMPUTE_PGM_RSRC2:TIDIG_COMP_CNT: 0
	.section	.text._ZN7rocprim17ROCPRIM_400000_NS6detail17trampoline_kernelINS0_13select_configILj256ELj13ELNS0_17block_load_methodE3ELS4_3ELS4_3ELNS0_20block_scan_algorithmE0ELj4294967295EEENS1_25partition_config_selectorILNS1_17partition_subalgoE4EjNS0_10empty_typeEbEEZZNS1_14partition_implILS8_4ELb0ES6_15HIP_vector_typeIjLj2EENS0_17counting_iteratorIjlEEPS9_SG_NS0_5tupleIJPjSI_NS0_16reverse_iteratorISI_EEEEENSH_IJSG_SG_SG_EEES9_SI_JZNS1_25segmented_radix_sort_implINS0_14default_configELb1EPK6__halfPSP_PKlPlN2at6native12_GLOBAL__N_18offset_tEEE10hipError_tPvRmT1_PNSt15iterator_traitsIS13_E10value_typeET2_T3_PNS14_IS19_E10value_typeET4_jRbjT5_S1F_jjP12ihipStream_tbEUljE_ZNSN_ISO_Lb1ESR_SS_SU_SV_SZ_EES10_S11_S12_S13_S17_S18_S19_S1C_S1D_jS1E_jS1F_S1F_jjS1H_bEUljE0_EEES10_S11_S12_S19_S1D_S1F_T6_T7_T9_mT8_S1H_bDpT10_ENKUlT_T0_E_clISt17integral_constantIbLb1EES1U_IbLb0EEEEDaS1Q_S1R_EUlS1Q_E_NS1_11comp_targetILNS1_3genE9ELNS1_11target_archE1100ELNS1_3gpuE3ELNS1_3repE0EEENS1_30default_config_static_selectorELNS0_4arch9wavefront6targetE0EEEvS13_,"axG",@progbits,_ZN7rocprim17ROCPRIM_400000_NS6detail17trampoline_kernelINS0_13select_configILj256ELj13ELNS0_17block_load_methodE3ELS4_3ELS4_3ELNS0_20block_scan_algorithmE0ELj4294967295EEENS1_25partition_config_selectorILNS1_17partition_subalgoE4EjNS0_10empty_typeEbEEZZNS1_14partition_implILS8_4ELb0ES6_15HIP_vector_typeIjLj2EENS0_17counting_iteratorIjlEEPS9_SG_NS0_5tupleIJPjSI_NS0_16reverse_iteratorISI_EEEEENSH_IJSG_SG_SG_EEES9_SI_JZNS1_25segmented_radix_sort_implINS0_14default_configELb1EPK6__halfPSP_PKlPlN2at6native12_GLOBAL__N_18offset_tEEE10hipError_tPvRmT1_PNSt15iterator_traitsIS13_E10value_typeET2_T3_PNS14_IS19_E10value_typeET4_jRbjT5_S1F_jjP12ihipStream_tbEUljE_ZNSN_ISO_Lb1ESR_SS_SU_SV_SZ_EES10_S11_S12_S13_S17_S18_S19_S1C_S1D_jS1E_jS1F_S1F_jjS1H_bEUljE0_EEES10_S11_S12_S19_S1D_S1F_T6_T7_T9_mT8_S1H_bDpT10_ENKUlT_T0_E_clISt17integral_constantIbLb1EES1U_IbLb0EEEEDaS1Q_S1R_EUlS1Q_E_NS1_11comp_targetILNS1_3genE9ELNS1_11target_archE1100ELNS1_3gpuE3ELNS1_3repE0EEENS1_30default_config_static_selectorELNS0_4arch9wavefront6targetE0EEEvS13_,comdat
	.globl	_ZN7rocprim17ROCPRIM_400000_NS6detail17trampoline_kernelINS0_13select_configILj256ELj13ELNS0_17block_load_methodE3ELS4_3ELS4_3ELNS0_20block_scan_algorithmE0ELj4294967295EEENS1_25partition_config_selectorILNS1_17partition_subalgoE4EjNS0_10empty_typeEbEEZZNS1_14partition_implILS8_4ELb0ES6_15HIP_vector_typeIjLj2EENS0_17counting_iteratorIjlEEPS9_SG_NS0_5tupleIJPjSI_NS0_16reverse_iteratorISI_EEEEENSH_IJSG_SG_SG_EEES9_SI_JZNS1_25segmented_radix_sort_implINS0_14default_configELb1EPK6__halfPSP_PKlPlN2at6native12_GLOBAL__N_18offset_tEEE10hipError_tPvRmT1_PNSt15iterator_traitsIS13_E10value_typeET2_T3_PNS14_IS19_E10value_typeET4_jRbjT5_S1F_jjP12ihipStream_tbEUljE_ZNSN_ISO_Lb1ESR_SS_SU_SV_SZ_EES10_S11_S12_S13_S17_S18_S19_S1C_S1D_jS1E_jS1F_S1F_jjS1H_bEUljE0_EEES10_S11_S12_S19_S1D_S1F_T6_T7_T9_mT8_S1H_bDpT10_ENKUlT_T0_E_clISt17integral_constantIbLb1EES1U_IbLb0EEEEDaS1Q_S1R_EUlS1Q_E_NS1_11comp_targetILNS1_3genE9ELNS1_11target_archE1100ELNS1_3gpuE3ELNS1_3repE0EEENS1_30default_config_static_selectorELNS0_4arch9wavefront6targetE0EEEvS13_ ; -- Begin function _ZN7rocprim17ROCPRIM_400000_NS6detail17trampoline_kernelINS0_13select_configILj256ELj13ELNS0_17block_load_methodE3ELS4_3ELS4_3ELNS0_20block_scan_algorithmE0ELj4294967295EEENS1_25partition_config_selectorILNS1_17partition_subalgoE4EjNS0_10empty_typeEbEEZZNS1_14partition_implILS8_4ELb0ES6_15HIP_vector_typeIjLj2EENS0_17counting_iteratorIjlEEPS9_SG_NS0_5tupleIJPjSI_NS0_16reverse_iteratorISI_EEEEENSH_IJSG_SG_SG_EEES9_SI_JZNS1_25segmented_radix_sort_implINS0_14default_configELb1EPK6__halfPSP_PKlPlN2at6native12_GLOBAL__N_18offset_tEEE10hipError_tPvRmT1_PNSt15iterator_traitsIS13_E10value_typeET2_T3_PNS14_IS19_E10value_typeET4_jRbjT5_S1F_jjP12ihipStream_tbEUljE_ZNSN_ISO_Lb1ESR_SS_SU_SV_SZ_EES10_S11_S12_S13_S17_S18_S19_S1C_S1D_jS1E_jS1F_S1F_jjS1H_bEUljE0_EEES10_S11_S12_S19_S1D_S1F_T6_T7_T9_mT8_S1H_bDpT10_ENKUlT_T0_E_clISt17integral_constantIbLb1EES1U_IbLb0EEEEDaS1Q_S1R_EUlS1Q_E_NS1_11comp_targetILNS1_3genE9ELNS1_11target_archE1100ELNS1_3gpuE3ELNS1_3repE0EEENS1_30default_config_static_selectorELNS0_4arch9wavefront6targetE0EEEvS13_
	.p2align	8
	.type	_ZN7rocprim17ROCPRIM_400000_NS6detail17trampoline_kernelINS0_13select_configILj256ELj13ELNS0_17block_load_methodE3ELS4_3ELS4_3ELNS0_20block_scan_algorithmE0ELj4294967295EEENS1_25partition_config_selectorILNS1_17partition_subalgoE4EjNS0_10empty_typeEbEEZZNS1_14partition_implILS8_4ELb0ES6_15HIP_vector_typeIjLj2EENS0_17counting_iteratorIjlEEPS9_SG_NS0_5tupleIJPjSI_NS0_16reverse_iteratorISI_EEEEENSH_IJSG_SG_SG_EEES9_SI_JZNS1_25segmented_radix_sort_implINS0_14default_configELb1EPK6__halfPSP_PKlPlN2at6native12_GLOBAL__N_18offset_tEEE10hipError_tPvRmT1_PNSt15iterator_traitsIS13_E10value_typeET2_T3_PNS14_IS19_E10value_typeET4_jRbjT5_S1F_jjP12ihipStream_tbEUljE_ZNSN_ISO_Lb1ESR_SS_SU_SV_SZ_EES10_S11_S12_S13_S17_S18_S19_S1C_S1D_jS1E_jS1F_S1F_jjS1H_bEUljE0_EEES10_S11_S12_S19_S1D_S1F_T6_T7_T9_mT8_S1H_bDpT10_ENKUlT_T0_E_clISt17integral_constantIbLb1EES1U_IbLb0EEEEDaS1Q_S1R_EUlS1Q_E_NS1_11comp_targetILNS1_3genE9ELNS1_11target_archE1100ELNS1_3gpuE3ELNS1_3repE0EEENS1_30default_config_static_selectorELNS0_4arch9wavefront6targetE0EEEvS13_,@function
_ZN7rocprim17ROCPRIM_400000_NS6detail17trampoline_kernelINS0_13select_configILj256ELj13ELNS0_17block_load_methodE3ELS4_3ELS4_3ELNS0_20block_scan_algorithmE0ELj4294967295EEENS1_25partition_config_selectorILNS1_17partition_subalgoE4EjNS0_10empty_typeEbEEZZNS1_14partition_implILS8_4ELb0ES6_15HIP_vector_typeIjLj2EENS0_17counting_iteratorIjlEEPS9_SG_NS0_5tupleIJPjSI_NS0_16reverse_iteratorISI_EEEEENSH_IJSG_SG_SG_EEES9_SI_JZNS1_25segmented_radix_sort_implINS0_14default_configELb1EPK6__halfPSP_PKlPlN2at6native12_GLOBAL__N_18offset_tEEE10hipError_tPvRmT1_PNSt15iterator_traitsIS13_E10value_typeET2_T3_PNS14_IS19_E10value_typeET4_jRbjT5_S1F_jjP12ihipStream_tbEUljE_ZNSN_ISO_Lb1ESR_SS_SU_SV_SZ_EES10_S11_S12_S13_S17_S18_S19_S1C_S1D_jS1E_jS1F_S1F_jjS1H_bEUljE0_EEES10_S11_S12_S19_S1D_S1F_T6_T7_T9_mT8_S1H_bDpT10_ENKUlT_T0_E_clISt17integral_constantIbLb1EES1U_IbLb0EEEEDaS1Q_S1R_EUlS1Q_E_NS1_11comp_targetILNS1_3genE9ELNS1_11target_archE1100ELNS1_3gpuE3ELNS1_3repE0EEENS1_30default_config_static_selectorELNS0_4arch9wavefront6targetE0EEEvS13_: ; @_ZN7rocprim17ROCPRIM_400000_NS6detail17trampoline_kernelINS0_13select_configILj256ELj13ELNS0_17block_load_methodE3ELS4_3ELS4_3ELNS0_20block_scan_algorithmE0ELj4294967295EEENS1_25partition_config_selectorILNS1_17partition_subalgoE4EjNS0_10empty_typeEbEEZZNS1_14partition_implILS8_4ELb0ES6_15HIP_vector_typeIjLj2EENS0_17counting_iteratorIjlEEPS9_SG_NS0_5tupleIJPjSI_NS0_16reverse_iteratorISI_EEEEENSH_IJSG_SG_SG_EEES9_SI_JZNS1_25segmented_radix_sort_implINS0_14default_configELb1EPK6__halfPSP_PKlPlN2at6native12_GLOBAL__N_18offset_tEEE10hipError_tPvRmT1_PNSt15iterator_traitsIS13_E10value_typeET2_T3_PNS14_IS19_E10value_typeET4_jRbjT5_S1F_jjP12ihipStream_tbEUljE_ZNSN_ISO_Lb1ESR_SS_SU_SV_SZ_EES10_S11_S12_S13_S17_S18_S19_S1C_S1D_jS1E_jS1F_S1F_jjS1H_bEUljE0_EEES10_S11_S12_S19_S1D_S1F_T6_T7_T9_mT8_S1H_bDpT10_ENKUlT_T0_E_clISt17integral_constantIbLb1EES1U_IbLb0EEEEDaS1Q_S1R_EUlS1Q_E_NS1_11comp_targetILNS1_3genE9ELNS1_11target_archE1100ELNS1_3gpuE3ELNS1_3repE0EEENS1_30default_config_static_selectorELNS0_4arch9wavefront6targetE0EEEvS13_
; %bb.0:
	.section	.rodata,"a",@progbits
	.p2align	6, 0x0
	.amdhsa_kernel _ZN7rocprim17ROCPRIM_400000_NS6detail17trampoline_kernelINS0_13select_configILj256ELj13ELNS0_17block_load_methodE3ELS4_3ELS4_3ELNS0_20block_scan_algorithmE0ELj4294967295EEENS1_25partition_config_selectorILNS1_17partition_subalgoE4EjNS0_10empty_typeEbEEZZNS1_14partition_implILS8_4ELb0ES6_15HIP_vector_typeIjLj2EENS0_17counting_iteratorIjlEEPS9_SG_NS0_5tupleIJPjSI_NS0_16reverse_iteratorISI_EEEEENSH_IJSG_SG_SG_EEES9_SI_JZNS1_25segmented_radix_sort_implINS0_14default_configELb1EPK6__halfPSP_PKlPlN2at6native12_GLOBAL__N_18offset_tEEE10hipError_tPvRmT1_PNSt15iterator_traitsIS13_E10value_typeET2_T3_PNS14_IS19_E10value_typeET4_jRbjT5_S1F_jjP12ihipStream_tbEUljE_ZNSN_ISO_Lb1ESR_SS_SU_SV_SZ_EES10_S11_S12_S13_S17_S18_S19_S1C_S1D_jS1E_jS1F_S1F_jjS1H_bEUljE0_EEES10_S11_S12_S19_S1D_S1F_T6_T7_T9_mT8_S1H_bDpT10_ENKUlT_T0_E_clISt17integral_constantIbLb1EES1U_IbLb0EEEEDaS1Q_S1R_EUlS1Q_E_NS1_11comp_targetILNS1_3genE9ELNS1_11target_archE1100ELNS1_3gpuE3ELNS1_3repE0EEENS1_30default_config_static_selectorELNS0_4arch9wavefront6targetE0EEEvS13_
		.amdhsa_group_segment_fixed_size 0
		.amdhsa_private_segment_fixed_size 0
		.amdhsa_kernarg_size 176
		.amdhsa_user_sgpr_count 2
		.amdhsa_user_sgpr_dispatch_ptr 0
		.amdhsa_user_sgpr_queue_ptr 0
		.amdhsa_user_sgpr_kernarg_segment_ptr 1
		.amdhsa_user_sgpr_dispatch_id 0
		.amdhsa_user_sgpr_kernarg_preload_length 0
		.amdhsa_user_sgpr_kernarg_preload_offset 0
		.amdhsa_user_sgpr_private_segment_size 0
		.amdhsa_wavefront_size32 1
		.amdhsa_uses_dynamic_stack 0
		.amdhsa_enable_private_segment 0
		.amdhsa_system_sgpr_workgroup_id_x 1
		.amdhsa_system_sgpr_workgroup_id_y 0
		.amdhsa_system_sgpr_workgroup_id_z 0
		.amdhsa_system_sgpr_workgroup_info 0
		.amdhsa_system_vgpr_workitem_id 0
		.amdhsa_next_free_vgpr 1
		.amdhsa_next_free_sgpr 1
		.amdhsa_named_barrier_count 0
		.amdhsa_reserve_vcc 0
		.amdhsa_float_round_mode_32 0
		.amdhsa_float_round_mode_16_64 0
		.amdhsa_float_denorm_mode_32 3
		.amdhsa_float_denorm_mode_16_64 3
		.amdhsa_fp16_overflow 0
		.amdhsa_memory_ordered 1
		.amdhsa_forward_progress 1
		.amdhsa_inst_pref_size 0
		.amdhsa_round_robin_scheduling 0
		.amdhsa_exception_fp_ieee_invalid_op 0
		.amdhsa_exception_fp_denorm_src 0
		.amdhsa_exception_fp_ieee_div_zero 0
		.amdhsa_exception_fp_ieee_overflow 0
		.amdhsa_exception_fp_ieee_underflow 0
		.amdhsa_exception_fp_ieee_inexact 0
		.amdhsa_exception_int_div_zero 0
	.end_amdhsa_kernel
	.section	.text._ZN7rocprim17ROCPRIM_400000_NS6detail17trampoline_kernelINS0_13select_configILj256ELj13ELNS0_17block_load_methodE3ELS4_3ELS4_3ELNS0_20block_scan_algorithmE0ELj4294967295EEENS1_25partition_config_selectorILNS1_17partition_subalgoE4EjNS0_10empty_typeEbEEZZNS1_14partition_implILS8_4ELb0ES6_15HIP_vector_typeIjLj2EENS0_17counting_iteratorIjlEEPS9_SG_NS0_5tupleIJPjSI_NS0_16reverse_iteratorISI_EEEEENSH_IJSG_SG_SG_EEES9_SI_JZNS1_25segmented_radix_sort_implINS0_14default_configELb1EPK6__halfPSP_PKlPlN2at6native12_GLOBAL__N_18offset_tEEE10hipError_tPvRmT1_PNSt15iterator_traitsIS13_E10value_typeET2_T3_PNS14_IS19_E10value_typeET4_jRbjT5_S1F_jjP12ihipStream_tbEUljE_ZNSN_ISO_Lb1ESR_SS_SU_SV_SZ_EES10_S11_S12_S13_S17_S18_S19_S1C_S1D_jS1E_jS1F_S1F_jjS1H_bEUljE0_EEES10_S11_S12_S19_S1D_S1F_T6_T7_T9_mT8_S1H_bDpT10_ENKUlT_T0_E_clISt17integral_constantIbLb1EES1U_IbLb0EEEEDaS1Q_S1R_EUlS1Q_E_NS1_11comp_targetILNS1_3genE9ELNS1_11target_archE1100ELNS1_3gpuE3ELNS1_3repE0EEENS1_30default_config_static_selectorELNS0_4arch9wavefront6targetE0EEEvS13_,"axG",@progbits,_ZN7rocprim17ROCPRIM_400000_NS6detail17trampoline_kernelINS0_13select_configILj256ELj13ELNS0_17block_load_methodE3ELS4_3ELS4_3ELNS0_20block_scan_algorithmE0ELj4294967295EEENS1_25partition_config_selectorILNS1_17partition_subalgoE4EjNS0_10empty_typeEbEEZZNS1_14partition_implILS8_4ELb0ES6_15HIP_vector_typeIjLj2EENS0_17counting_iteratorIjlEEPS9_SG_NS0_5tupleIJPjSI_NS0_16reverse_iteratorISI_EEEEENSH_IJSG_SG_SG_EEES9_SI_JZNS1_25segmented_radix_sort_implINS0_14default_configELb1EPK6__halfPSP_PKlPlN2at6native12_GLOBAL__N_18offset_tEEE10hipError_tPvRmT1_PNSt15iterator_traitsIS13_E10value_typeET2_T3_PNS14_IS19_E10value_typeET4_jRbjT5_S1F_jjP12ihipStream_tbEUljE_ZNSN_ISO_Lb1ESR_SS_SU_SV_SZ_EES10_S11_S12_S13_S17_S18_S19_S1C_S1D_jS1E_jS1F_S1F_jjS1H_bEUljE0_EEES10_S11_S12_S19_S1D_S1F_T6_T7_T9_mT8_S1H_bDpT10_ENKUlT_T0_E_clISt17integral_constantIbLb1EES1U_IbLb0EEEEDaS1Q_S1R_EUlS1Q_E_NS1_11comp_targetILNS1_3genE9ELNS1_11target_archE1100ELNS1_3gpuE3ELNS1_3repE0EEENS1_30default_config_static_selectorELNS0_4arch9wavefront6targetE0EEEvS13_,comdat
.Lfunc_end1687:
	.size	_ZN7rocprim17ROCPRIM_400000_NS6detail17trampoline_kernelINS0_13select_configILj256ELj13ELNS0_17block_load_methodE3ELS4_3ELS4_3ELNS0_20block_scan_algorithmE0ELj4294967295EEENS1_25partition_config_selectorILNS1_17partition_subalgoE4EjNS0_10empty_typeEbEEZZNS1_14partition_implILS8_4ELb0ES6_15HIP_vector_typeIjLj2EENS0_17counting_iteratorIjlEEPS9_SG_NS0_5tupleIJPjSI_NS0_16reverse_iteratorISI_EEEEENSH_IJSG_SG_SG_EEES9_SI_JZNS1_25segmented_radix_sort_implINS0_14default_configELb1EPK6__halfPSP_PKlPlN2at6native12_GLOBAL__N_18offset_tEEE10hipError_tPvRmT1_PNSt15iterator_traitsIS13_E10value_typeET2_T3_PNS14_IS19_E10value_typeET4_jRbjT5_S1F_jjP12ihipStream_tbEUljE_ZNSN_ISO_Lb1ESR_SS_SU_SV_SZ_EES10_S11_S12_S13_S17_S18_S19_S1C_S1D_jS1E_jS1F_S1F_jjS1H_bEUljE0_EEES10_S11_S12_S19_S1D_S1F_T6_T7_T9_mT8_S1H_bDpT10_ENKUlT_T0_E_clISt17integral_constantIbLb1EES1U_IbLb0EEEEDaS1Q_S1R_EUlS1Q_E_NS1_11comp_targetILNS1_3genE9ELNS1_11target_archE1100ELNS1_3gpuE3ELNS1_3repE0EEENS1_30default_config_static_selectorELNS0_4arch9wavefront6targetE0EEEvS13_, .Lfunc_end1687-_ZN7rocprim17ROCPRIM_400000_NS6detail17trampoline_kernelINS0_13select_configILj256ELj13ELNS0_17block_load_methodE3ELS4_3ELS4_3ELNS0_20block_scan_algorithmE0ELj4294967295EEENS1_25partition_config_selectorILNS1_17partition_subalgoE4EjNS0_10empty_typeEbEEZZNS1_14partition_implILS8_4ELb0ES6_15HIP_vector_typeIjLj2EENS0_17counting_iteratorIjlEEPS9_SG_NS0_5tupleIJPjSI_NS0_16reverse_iteratorISI_EEEEENSH_IJSG_SG_SG_EEES9_SI_JZNS1_25segmented_radix_sort_implINS0_14default_configELb1EPK6__halfPSP_PKlPlN2at6native12_GLOBAL__N_18offset_tEEE10hipError_tPvRmT1_PNSt15iterator_traitsIS13_E10value_typeET2_T3_PNS14_IS19_E10value_typeET4_jRbjT5_S1F_jjP12ihipStream_tbEUljE_ZNSN_ISO_Lb1ESR_SS_SU_SV_SZ_EES10_S11_S12_S13_S17_S18_S19_S1C_S1D_jS1E_jS1F_S1F_jjS1H_bEUljE0_EEES10_S11_S12_S19_S1D_S1F_T6_T7_T9_mT8_S1H_bDpT10_ENKUlT_T0_E_clISt17integral_constantIbLb1EES1U_IbLb0EEEEDaS1Q_S1R_EUlS1Q_E_NS1_11comp_targetILNS1_3genE9ELNS1_11target_archE1100ELNS1_3gpuE3ELNS1_3repE0EEENS1_30default_config_static_selectorELNS0_4arch9wavefront6targetE0EEEvS13_
                                        ; -- End function
	.set _ZN7rocprim17ROCPRIM_400000_NS6detail17trampoline_kernelINS0_13select_configILj256ELj13ELNS0_17block_load_methodE3ELS4_3ELS4_3ELNS0_20block_scan_algorithmE0ELj4294967295EEENS1_25partition_config_selectorILNS1_17partition_subalgoE4EjNS0_10empty_typeEbEEZZNS1_14partition_implILS8_4ELb0ES6_15HIP_vector_typeIjLj2EENS0_17counting_iteratorIjlEEPS9_SG_NS0_5tupleIJPjSI_NS0_16reverse_iteratorISI_EEEEENSH_IJSG_SG_SG_EEES9_SI_JZNS1_25segmented_radix_sort_implINS0_14default_configELb1EPK6__halfPSP_PKlPlN2at6native12_GLOBAL__N_18offset_tEEE10hipError_tPvRmT1_PNSt15iterator_traitsIS13_E10value_typeET2_T3_PNS14_IS19_E10value_typeET4_jRbjT5_S1F_jjP12ihipStream_tbEUljE_ZNSN_ISO_Lb1ESR_SS_SU_SV_SZ_EES10_S11_S12_S13_S17_S18_S19_S1C_S1D_jS1E_jS1F_S1F_jjS1H_bEUljE0_EEES10_S11_S12_S19_S1D_S1F_T6_T7_T9_mT8_S1H_bDpT10_ENKUlT_T0_E_clISt17integral_constantIbLb1EES1U_IbLb0EEEEDaS1Q_S1R_EUlS1Q_E_NS1_11comp_targetILNS1_3genE9ELNS1_11target_archE1100ELNS1_3gpuE3ELNS1_3repE0EEENS1_30default_config_static_selectorELNS0_4arch9wavefront6targetE0EEEvS13_.num_vgpr, 0
	.set _ZN7rocprim17ROCPRIM_400000_NS6detail17trampoline_kernelINS0_13select_configILj256ELj13ELNS0_17block_load_methodE3ELS4_3ELS4_3ELNS0_20block_scan_algorithmE0ELj4294967295EEENS1_25partition_config_selectorILNS1_17partition_subalgoE4EjNS0_10empty_typeEbEEZZNS1_14partition_implILS8_4ELb0ES6_15HIP_vector_typeIjLj2EENS0_17counting_iteratorIjlEEPS9_SG_NS0_5tupleIJPjSI_NS0_16reverse_iteratorISI_EEEEENSH_IJSG_SG_SG_EEES9_SI_JZNS1_25segmented_radix_sort_implINS0_14default_configELb1EPK6__halfPSP_PKlPlN2at6native12_GLOBAL__N_18offset_tEEE10hipError_tPvRmT1_PNSt15iterator_traitsIS13_E10value_typeET2_T3_PNS14_IS19_E10value_typeET4_jRbjT5_S1F_jjP12ihipStream_tbEUljE_ZNSN_ISO_Lb1ESR_SS_SU_SV_SZ_EES10_S11_S12_S13_S17_S18_S19_S1C_S1D_jS1E_jS1F_S1F_jjS1H_bEUljE0_EEES10_S11_S12_S19_S1D_S1F_T6_T7_T9_mT8_S1H_bDpT10_ENKUlT_T0_E_clISt17integral_constantIbLb1EES1U_IbLb0EEEEDaS1Q_S1R_EUlS1Q_E_NS1_11comp_targetILNS1_3genE9ELNS1_11target_archE1100ELNS1_3gpuE3ELNS1_3repE0EEENS1_30default_config_static_selectorELNS0_4arch9wavefront6targetE0EEEvS13_.num_agpr, 0
	.set _ZN7rocprim17ROCPRIM_400000_NS6detail17trampoline_kernelINS0_13select_configILj256ELj13ELNS0_17block_load_methodE3ELS4_3ELS4_3ELNS0_20block_scan_algorithmE0ELj4294967295EEENS1_25partition_config_selectorILNS1_17partition_subalgoE4EjNS0_10empty_typeEbEEZZNS1_14partition_implILS8_4ELb0ES6_15HIP_vector_typeIjLj2EENS0_17counting_iteratorIjlEEPS9_SG_NS0_5tupleIJPjSI_NS0_16reverse_iteratorISI_EEEEENSH_IJSG_SG_SG_EEES9_SI_JZNS1_25segmented_radix_sort_implINS0_14default_configELb1EPK6__halfPSP_PKlPlN2at6native12_GLOBAL__N_18offset_tEEE10hipError_tPvRmT1_PNSt15iterator_traitsIS13_E10value_typeET2_T3_PNS14_IS19_E10value_typeET4_jRbjT5_S1F_jjP12ihipStream_tbEUljE_ZNSN_ISO_Lb1ESR_SS_SU_SV_SZ_EES10_S11_S12_S13_S17_S18_S19_S1C_S1D_jS1E_jS1F_S1F_jjS1H_bEUljE0_EEES10_S11_S12_S19_S1D_S1F_T6_T7_T9_mT8_S1H_bDpT10_ENKUlT_T0_E_clISt17integral_constantIbLb1EES1U_IbLb0EEEEDaS1Q_S1R_EUlS1Q_E_NS1_11comp_targetILNS1_3genE9ELNS1_11target_archE1100ELNS1_3gpuE3ELNS1_3repE0EEENS1_30default_config_static_selectorELNS0_4arch9wavefront6targetE0EEEvS13_.numbered_sgpr, 0
	.set _ZN7rocprim17ROCPRIM_400000_NS6detail17trampoline_kernelINS0_13select_configILj256ELj13ELNS0_17block_load_methodE3ELS4_3ELS4_3ELNS0_20block_scan_algorithmE0ELj4294967295EEENS1_25partition_config_selectorILNS1_17partition_subalgoE4EjNS0_10empty_typeEbEEZZNS1_14partition_implILS8_4ELb0ES6_15HIP_vector_typeIjLj2EENS0_17counting_iteratorIjlEEPS9_SG_NS0_5tupleIJPjSI_NS0_16reverse_iteratorISI_EEEEENSH_IJSG_SG_SG_EEES9_SI_JZNS1_25segmented_radix_sort_implINS0_14default_configELb1EPK6__halfPSP_PKlPlN2at6native12_GLOBAL__N_18offset_tEEE10hipError_tPvRmT1_PNSt15iterator_traitsIS13_E10value_typeET2_T3_PNS14_IS19_E10value_typeET4_jRbjT5_S1F_jjP12ihipStream_tbEUljE_ZNSN_ISO_Lb1ESR_SS_SU_SV_SZ_EES10_S11_S12_S13_S17_S18_S19_S1C_S1D_jS1E_jS1F_S1F_jjS1H_bEUljE0_EEES10_S11_S12_S19_S1D_S1F_T6_T7_T9_mT8_S1H_bDpT10_ENKUlT_T0_E_clISt17integral_constantIbLb1EES1U_IbLb0EEEEDaS1Q_S1R_EUlS1Q_E_NS1_11comp_targetILNS1_3genE9ELNS1_11target_archE1100ELNS1_3gpuE3ELNS1_3repE0EEENS1_30default_config_static_selectorELNS0_4arch9wavefront6targetE0EEEvS13_.num_named_barrier, 0
	.set _ZN7rocprim17ROCPRIM_400000_NS6detail17trampoline_kernelINS0_13select_configILj256ELj13ELNS0_17block_load_methodE3ELS4_3ELS4_3ELNS0_20block_scan_algorithmE0ELj4294967295EEENS1_25partition_config_selectorILNS1_17partition_subalgoE4EjNS0_10empty_typeEbEEZZNS1_14partition_implILS8_4ELb0ES6_15HIP_vector_typeIjLj2EENS0_17counting_iteratorIjlEEPS9_SG_NS0_5tupleIJPjSI_NS0_16reverse_iteratorISI_EEEEENSH_IJSG_SG_SG_EEES9_SI_JZNS1_25segmented_radix_sort_implINS0_14default_configELb1EPK6__halfPSP_PKlPlN2at6native12_GLOBAL__N_18offset_tEEE10hipError_tPvRmT1_PNSt15iterator_traitsIS13_E10value_typeET2_T3_PNS14_IS19_E10value_typeET4_jRbjT5_S1F_jjP12ihipStream_tbEUljE_ZNSN_ISO_Lb1ESR_SS_SU_SV_SZ_EES10_S11_S12_S13_S17_S18_S19_S1C_S1D_jS1E_jS1F_S1F_jjS1H_bEUljE0_EEES10_S11_S12_S19_S1D_S1F_T6_T7_T9_mT8_S1H_bDpT10_ENKUlT_T0_E_clISt17integral_constantIbLb1EES1U_IbLb0EEEEDaS1Q_S1R_EUlS1Q_E_NS1_11comp_targetILNS1_3genE9ELNS1_11target_archE1100ELNS1_3gpuE3ELNS1_3repE0EEENS1_30default_config_static_selectorELNS0_4arch9wavefront6targetE0EEEvS13_.private_seg_size, 0
	.set _ZN7rocprim17ROCPRIM_400000_NS6detail17trampoline_kernelINS0_13select_configILj256ELj13ELNS0_17block_load_methodE3ELS4_3ELS4_3ELNS0_20block_scan_algorithmE0ELj4294967295EEENS1_25partition_config_selectorILNS1_17partition_subalgoE4EjNS0_10empty_typeEbEEZZNS1_14partition_implILS8_4ELb0ES6_15HIP_vector_typeIjLj2EENS0_17counting_iteratorIjlEEPS9_SG_NS0_5tupleIJPjSI_NS0_16reverse_iteratorISI_EEEEENSH_IJSG_SG_SG_EEES9_SI_JZNS1_25segmented_radix_sort_implINS0_14default_configELb1EPK6__halfPSP_PKlPlN2at6native12_GLOBAL__N_18offset_tEEE10hipError_tPvRmT1_PNSt15iterator_traitsIS13_E10value_typeET2_T3_PNS14_IS19_E10value_typeET4_jRbjT5_S1F_jjP12ihipStream_tbEUljE_ZNSN_ISO_Lb1ESR_SS_SU_SV_SZ_EES10_S11_S12_S13_S17_S18_S19_S1C_S1D_jS1E_jS1F_S1F_jjS1H_bEUljE0_EEES10_S11_S12_S19_S1D_S1F_T6_T7_T9_mT8_S1H_bDpT10_ENKUlT_T0_E_clISt17integral_constantIbLb1EES1U_IbLb0EEEEDaS1Q_S1R_EUlS1Q_E_NS1_11comp_targetILNS1_3genE9ELNS1_11target_archE1100ELNS1_3gpuE3ELNS1_3repE0EEENS1_30default_config_static_selectorELNS0_4arch9wavefront6targetE0EEEvS13_.uses_vcc, 0
	.set _ZN7rocprim17ROCPRIM_400000_NS6detail17trampoline_kernelINS0_13select_configILj256ELj13ELNS0_17block_load_methodE3ELS4_3ELS4_3ELNS0_20block_scan_algorithmE0ELj4294967295EEENS1_25partition_config_selectorILNS1_17partition_subalgoE4EjNS0_10empty_typeEbEEZZNS1_14partition_implILS8_4ELb0ES6_15HIP_vector_typeIjLj2EENS0_17counting_iteratorIjlEEPS9_SG_NS0_5tupleIJPjSI_NS0_16reverse_iteratorISI_EEEEENSH_IJSG_SG_SG_EEES9_SI_JZNS1_25segmented_radix_sort_implINS0_14default_configELb1EPK6__halfPSP_PKlPlN2at6native12_GLOBAL__N_18offset_tEEE10hipError_tPvRmT1_PNSt15iterator_traitsIS13_E10value_typeET2_T3_PNS14_IS19_E10value_typeET4_jRbjT5_S1F_jjP12ihipStream_tbEUljE_ZNSN_ISO_Lb1ESR_SS_SU_SV_SZ_EES10_S11_S12_S13_S17_S18_S19_S1C_S1D_jS1E_jS1F_S1F_jjS1H_bEUljE0_EEES10_S11_S12_S19_S1D_S1F_T6_T7_T9_mT8_S1H_bDpT10_ENKUlT_T0_E_clISt17integral_constantIbLb1EES1U_IbLb0EEEEDaS1Q_S1R_EUlS1Q_E_NS1_11comp_targetILNS1_3genE9ELNS1_11target_archE1100ELNS1_3gpuE3ELNS1_3repE0EEENS1_30default_config_static_selectorELNS0_4arch9wavefront6targetE0EEEvS13_.uses_flat_scratch, 0
	.set _ZN7rocprim17ROCPRIM_400000_NS6detail17trampoline_kernelINS0_13select_configILj256ELj13ELNS0_17block_load_methodE3ELS4_3ELS4_3ELNS0_20block_scan_algorithmE0ELj4294967295EEENS1_25partition_config_selectorILNS1_17partition_subalgoE4EjNS0_10empty_typeEbEEZZNS1_14partition_implILS8_4ELb0ES6_15HIP_vector_typeIjLj2EENS0_17counting_iteratorIjlEEPS9_SG_NS0_5tupleIJPjSI_NS0_16reverse_iteratorISI_EEEEENSH_IJSG_SG_SG_EEES9_SI_JZNS1_25segmented_radix_sort_implINS0_14default_configELb1EPK6__halfPSP_PKlPlN2at6native12_GLOBAL__N_18offset_tEEE10hipError_tPvRmT1_PNSt15iterator_traitsIS13_E10value_typeET2_T3_PNS14_IS19_E10value_typeET4_jRbjT5_S1F_jjP12ihipStream_tbEUljE_ZNSN_ISO_Lb1ESR_SS_SU_SV_SZ_EES10_S11_S12_S13_S17_S18_S19_S1C_S1D_jS1E_jS1F_S1F_jjS1H_bEUljE0_EEES10_S11_S12_S19_S1D_S1F_T6_T7_T9_mT8_S1H_bDpT10_ENKUlT_T0_E_clISt17integral_constantIbLb1EES1U_IbLb0EEEEDaS1Q_S1R_EUlS1Q_E_NS1_11comp_targetILNS1_3genE9ELNS1_11target_archE1100ELNS1_3gpuE3ELNS1_3repE0EEENS1_30default_config_static_selectorELNS0_4arch9wavefront6targetE0EEEvS13_.has_dyn_sized_stack, 0
	.set _ZN7rocprim17ROCPRIM_400000_NS6detail17trampoline_kernelINS0_13select_configILj256ELj13ELNS0_17block_load_methodE3ELS4_3ELS4_3ELNS0_20block_scan_algorithmE0ELj4294967295EEENS1_25partition_config_selectorILNS1_17partition_subalgoE4EjNS0_10empty_typeEbEEZZNS1_14partition_implILS8_4ELb0ES6_15HIP_vector_typeIjLj2EENS0_17counting_iteratorIjlEEPS9_SG_NS0_5tupleIJPjSI_NS0_16reverse_iteratorISI_EEEEENSH_IJSG_SG_SG_EEES9_SI_JZNS1_25segmented_radix_sort_implINS0_14default_configELb1EPK6__halfPSP_PKlPlN2at6native12_GLOBAL__N_18offset_tEEE10hipError_tPvRmT1_PNSt15iterator_traitsIS13_E10value_typeET2_T3_PNS14_IS19_E10value_typeET4_jRbjT5_S1F_jjP12ihipStream_tbEUljE_ZNSN_ISO_Lb1ESR_SS_SU_SV_SZ_EES10_S11_S12_S13_S17_S18_S19_S1C_S1D_jS1E_jS1F_S1F_jjS1H_bEUljE0_EEES10_S11_S12_S19_S1D_S1F_T6_T7_T9_mT8_S1H_bDpT10_ENKUlT_T0_E_clISt17integral_constantIbLb1EES1U_IbLb0EEEEDaS1Q_S1R_EUlS1Q_E_NS1_11comp_targetILNS1_3genE9ELNS1_11target_archE1100ELNS1_3gpuE3ELNS1_3repE0EEENS1_30default_config_static_selectorELNS0_4arch9wavefront6targetE0EEEvS13_.has_recursion, 0
	.set _ZN7rocprim17ROCPRIM_400000_NS6detail17trampoline_kernelINS0_13select_configILj256ELj13ELNS0_17block_load_methodE3ELS4_3ELS4_3ELNS0_20block_scan_algorithmE0ELj4294967295EEENS1_25partition_config_selectorILNS1_17partition_subalgoE4EjNS0_10empty_typeEbEEZZNS1_14partition_implILS8_4ELb0ES6_15HIP_vector_typeIjLj2EENS0_17counting_iteratorIjlEEPS9_SG_NS0_5tupleIJPjSI_NS0_16reverse_iteratorISI_EEEEENSH_IJSG_SG_SG_EEES9_SI_JZNS1_25segmented_radix_sort_implINS0_14default_configELb1EPK6__halfPSP_PKlPlN2at6native12_GLOBAL__N_18offset_tEEE10hipError_tPvRmT1_PNSt15iterator_traitsIS13_E10value_typeET2_T3_PNS14_IS19_E10value_typeET4_jRbjT5_S1F_jjP12ihipStream_tbEUljE_ZNSN_ISO_Lb1ESR_SS_SU_SV_SZ_EES10_S11_S12_S13_S17_S18_S19_S1C_S1D_jS1E_jS1F_S1F_jjS1H_bEUljE0_EEES10_S11_S12_S19_S1D_S1F_T6_T7_T9_mT8_S1H_bDpT10_ENKUlT_T0_E_clISt17integral_constantIbLb1EES1U_IbLb0EEEEDaS1Q_S1R_EUlS1Q_E_NS1_11comp_targetILNS1_3genE9ELNS1_11target_archE1100ELNS1_3gpuE3ELNS1_3repE0EEENS1_30default_config_static_selectorELNS0_4arch9wavefront6targetE0EEEvS13_.has_indirect_call, 0
	.section	.AMDGPU.csdata,"",@progbits
; Kernel info:
; codeLenInByte = 0
; TotalNumSgprs: 0
; NumVgprs: 0
; ScratchSize: 0
; MemoryBound: 0
; FloatMode: 240
; IeeeMode: 1
; LDSByteSize: 0 bytes/workgroup (compile time only)
; SGPRBlocks: 0
; VGPRBlocks: 0
; NumSGPRsForWavesPerEU: 1
; NumVGPRsForWavesPerEU: 1
; NamedBarCnt: 0
; Occupancy: 16
; WaveLimiterHint : 0
; COMPUTE_PGM_RSRC2:SCRATCH_EN: 0
; COMPUTE_PGM_RSRC2:USER_SGPR: 2
; COMPUTE_PGM_RSRC2:TRAP_HANDLER: 0
; COMPUTE_PGM_RSRC2:TGID_X_EN: 1
; COMPUTE_PGM_RSRC2:TGID_Y_EN: 0
; COMPUTE_PGM_RSRC2:TGID_Z_EN: 0
; COMPUTE_PGM_RSRC2:TIDIG_COMP_CNT: 0
	.section	.text._ZN7rocprim17ROCPRIM_400000_NS6detail17trampoline_kernelINS0_13select_configILj256ELj13ELNS0_17block_load_methodE3ELS4_3ELS4_3ELNS0_20block_scan_algorithmE0ELj4294967295EEENS1_25partition_config_selectorILNS1_17partition_subalgoE4EjNS0_10empty_typeEbEEZZNS1_14partition_implILS8_4ELb0ES6_15HIP_vector_typeIjLj2EENS0_17counting_iteratorIjlEEPS9_SG_NS0_5tupleIJPjSI_NS0_16reverse_iteratorISI_EEEEENSH_IJSG_SG_SG_EEES9_SI_JZNS1_25segmented_radix_sort_implINS0_14default_configELb1EPK6__halfPSP_PKlPlN2at6native12_GLOBAL__N_18offset_tEEE10hipError_tPvRmT1_PNSt15iterator_traitsIS13_E10value_typeET2_T3_PNS14_IS19_E10value_typeET4_jRbjT5_S1F_jjP12ihipStream_tbEUljE_ZNSN_ISO_Lb1ESR_SS_SU_SV_SZ_EES10_S11_S12_S13_S17_S18_S19_S1C_S1D_jS1E_jS1F_S1F_jjS1H_bEUljE0_EEES10_S11_S12_S19_S1D_S1F_T6_T7_T9_mT8_S1H_bDpT10_ENKUlT_T0_E_clISt17integral_constantIbLb1EES1U_IbLb0EEEEDaS1Q_S1R_EUlS1Q_E_NS1_11comp_targetILNS1_3genE8ELNS1_11target_archE1030ELNS1_3gpuE2ELNS1_3repE0EEENS1_30default_config_static_selectorELNS0_4arch9wavefront6targetE0EEEvS13_,"axG",@progbits,_ZN7rocprim17ROCPRIM_400000_NS6detail17trampoline_kernelINS0_13select_configILj256ELj13ELNS0_17block_load_methodE3ELS4_3ELS4_3ELNS0_20block_scan_algorithmE0ELj4294967295EEENS1_25partition_config_selectorILNS1_17partition_subalgoE4EjNS0_10empty_typeEbEEZZNS1_14partition_implILS8_4ELb0ES6_15HIP_vector_typeIjLj2EENS0_17counting_iteratorIjlEEPS9_SG_NS0_5tupleIJPjSI_NS0_16reverse_iteratorISI_EEEEENSH_IJSG_SG_SG_EEES9_SI_JZNS1_25segmented_radix_sort_implINS0_14default_configELb1EPK6__halfPSP_PKlPlN2at6native12_GLOBAL__N_18offset_tEEE10hipError_tPvRmT1_PNSt15iterator_traitsIS13_E10value_typeET2_T3_PNS14_IS19_E10value_typeET4_jRbjT5_S1F_jjP12ihipStream_tbEUljE_ZNSN_ISO_Lb1ESR_SS_SU_SV_SZ_EES10_S11_S12_S13_S17_S18_S19_S1C_S1D_jS1E_jS1F_S1F_jjS1H_bEUljE0_EEES10_S11_S12_S19_S1D_S1F_T6_T7_T9_mT8_S1H_bDpT10_ENKUlT_T0_E_clISt17integral_constantIbLb1EES1U_IbLb0EEEEDaS1Q_S1R_EUlS1Q_E_NS1_11comp_targetILNS1_3genE8ELNS1_11target_archE1030ELNS1_3gpuE2ELNS1_3repE0EEENS1_30default_config_static_selectorELNS0_4arch9wavefront6targetE0EEEvS13_,comdat
	.globl	_ZN7rocprim17ROCPRIM_400000_NS6detail17trampoline_kernelINS0_13select_configILj256ELj13ELNS0_17block_load_methodE3ELS4_3ELS4_3ELNS0_20block_scan_algorithmE0ELj4294967295EEENS1_25partition_config_selectorILNS1_17partition_subalgoE4EjNS0_10empty_typeEbEEZZNS1_14partition_implILS8_4ELb0ES6_15HIP_vector_typeIjLj2EENS0_17counting_iteratorIjlEEPS9_SG_NS0_5tupleIJPjSI_NS0_16reverse_iteratorISI_EEEEENSH_IJSG_SG_SG_EEES9_SI_JZNS1_25segmented_radix_sort_implINS0_14default_configELb1EPK6__halfPSP_PKlPlN2at6native12_GLOBAL__N_18offset_tEEE10hipError_tPvRmT1_PNSt15iterator_traitsIS13_E10value_typeET2_T3_PNS14_IS19_E10value_typeET4_jRbjT5_S1F_jjP12ihipStream_tbEUljE_ZNSN_ISO_Lb1ESR_SS_SU_SV_SZ_EES10_S11_S12_S13_S17_S18_S19_S1C_S1D_jS1E_jS1F_S1F_jjS1H_bEUljE0_EEES10_S11_S12_S19_S1D_S1F_T6_T7_T9_mT8_S1H_bDpT10_ENKUlT_T0_E_clISt17integral_constantIbLb1EES1U_IbLb0EEEEDaS1Q_S1R_EUlS1Q_E_NS1_11comp_targetILNS1_3genE8ELNS1_11target_archE1030ELNS1_3gpuE2ELNS1_3repE0EEENS1_30default_config_static_selectorELNS0_4arch9wavefront6targetE0EEEvS13_ ; -- Begin function _ZN7rocprim17ROCPRIM_400000_NS6detail17trampoline_kernelINS0_13select_configILj256ELj13ELNS0_17block_load_methodE3ELS4_3ELS4_3ELNS0_20block_scan_algorithmE0ELj4294967295EEENS1_25partition_config_selectorILNS1_17partition_subalgoE4EjNS0_10empty_typeEbEEZZNS1_14partition_implILS8_4ELb0ES6_15HIP_vector_typeIjLj2EENS0_17counting_iteratorIjlEEPS9_SG_NS0_5tupleIJPjSI_NS0_16reverse_iteratorISI_EEEEENSH_IJSG_SG_SG_EEES9_SI_JZNS1_25segmented_radix_sort_implINS0_14default_configELb1EPK6__halfPSP_PKlPlN2at6native12_GLOBAL__N_18offset_tEEE10hipError_tPvRmT1_PNSt15iterator_traitsIS13_E10value_typeET2_T3_PNS14_IS19_E10value_typeET4_jRbjT5_S1F_jjP12ihipStream_tbEUljE_ZNSN_ISO_Lb1ESR_SS_SU_SV_SZ_EES10_S11_S12_S13_S17_S18_S19_S1C_S1D_jS1E_jS1F_S1F_jjS1H_bEUljE0_EEES10_S11_S12_S19_S1D_S1F_T6_T7_T9_mT8_S1H_bDpT10_ENKUlT_T0_E_clISt17integral_constantIbLb1EES1U_IbLb0EEEEDaS1Q_S1R_EUlS1Q_E_NS1_11comp_targetILNS1_3genE8ELNS1_11target_archE1030ELNS1_3gpuE2ELNS1_3repE0EEENS1_30default_config_static_selectorELNS0_4arch9wavefront6targetE0EEEvS13_
	.p2align	8
	.type	_ZN7rocprim17ROCPRIM_400000_NS6detail17trampoline_kernelINS0_13select_configILj256ELj13ELNS0_17block_load_methodE3ELS4_3ELS4_3ELNS0_20block_scan_algorithmE0ELj4294967295EEENS1_25partition_config_selectorILNS1_17partition_subalgoE4EjNS0_10empty_typeEbEEZZNS1_14partition_implILS8_4ELb0ES6_15HIP_vector_typeIjLj2EENS0_17counting_iteratorIjlEEPS9_SG_NS0_5tupleIJPjSI_NS0_16reverse_iteratorISI_EEEEENSH_IJSG_SG_SG_EEES9_SI_JZNS1_25segmented_radix_sort_implINS0_14default_configELb1EPK6__halfPSP_PKlPlN2at6native12_GLOBAL__N_18offset_tEEE10hipError_tPvRmT1_PNSt15iterator_traitsIS13_E10value_typeET2_T3_PNS14_IS19_E10value_typeET4_jRbjT5_S1F_jjP12ihipStream_tbEUljE_ZNSN_ISO_Lb1ESR_SS_SU_SV_SZ_EES10_S11_S12_S13_S17_S18_S19_S1C_S1D_jS1E_jS1F_S1F_jjS1H_bEUljE0_EEES10_S11_S12_S19_S1D_S1F_T6_T7_T9_mT8_S1H_bDpT10_ENKUlT_T0_E_clISt17integral_constantIbLb1EES1U_IbLb0EEEEDaS1Q_S1R_EUlS1Q_E_NS1_11comp_targetILNS1_3genE8ELNS1_11target_archE1030ELNS1_3gpuE2ELNS1_3repE0EEENS1_30default_config_static_selectorELNS0_4arch9wavefront6targetE0EEEvS13_,@function
_ZN7rocprim17ROCPRIM_400000_NS6detail17trampoline_kernelINS0_13select_configILj256ELj13ELNS0_17block_load_methodE3ELS4_3ELS4_3ELNS0_20block_scan_algorithmE0ELj4294967295EEENS1_25partition_config_selectorILNS1_17partition_subalgoE4EjNS0_10empty_typeEbEEZZNS1_14partition_implILS8_4ELb0ES6_15HIP_vector_typeIjLj2EENS0_17counting_iteratorIjlEEPS9_SG_NS0_5tupleIJPjSI_NS0_16reverse_iteratorISI_EEEEENSH_IJSG_SG_SG_EEES9_SI_JZNS1_25segmented_radix_sort_implINS0_14default_configELb1EPK6__halfPSP_PKlPlN2at6native12_GLOBAL__N_18offset_tEEE10hipError_tPvRmT1_PNSt15iterator_traitsIS13_E10value_typeET2_T3_PNS14_IS19_E10value_typeET4_jRbjT5_S1F_jjP12ihipStream_tbEUljE_ZNSN_ISO_Lb1ESR_SS_SU_SV_SZ_EES10_S11_S12_S13_S17_S18_S19_S1C_S1D_jS1E_jS1F_S1F_jjS1H_bEUljE0_EEES10_S11_S12_S19_S1D_S1F_T6_T7_T9_mT8_S1H_bDpT10_ENKUlT_T0_E_clISt17integral_constantIbLb1EES1U_IbLb0EEEEDaS1Q_S1R_EUlS1Q_E_NS1_11comp_targetILNS1_3genE8ELNS1_11target_archE1030ELNS1_3gpuE2ELNS1_3repE0EEENS1_30default_config_static_selectorELNS0_4arch9wavefront6targetE0EEEvS13_: ; @_ZN7rocprim17ROCPRIM_400000_NS6detail17trampoline_kernelINS0_13select_configILj256ELj13ELNS0_17block_load_methodE3ELS4_3ELS4_3ELNS0_20block_scan_algorithmE0ELj4294967295EEENS1_25partition_config_selectorILNS1_17partition_subalgoE4EjNS0_10empty_typeEbEEZZNS1_14partition_implILS8_4ELb0ES6_15HIP_vector_typeIjLj2EENS0_17counting_iteratorIjlEEPS9_SG_NS0_5tupleIJPjSI_NS0_16reverse_iteratorISI_EEEEENSH_IJSG_SG_SG_EEES9_SI_JZNS1_25segmented_radix_sort_implINS0_14default_configELb1EPK6__halfPSP_PKlPlN2at6native12_GLOBAL__N_18offset_tEEE10hipError_tPvRmT1_PNSt15iterator_traitsIS13_E10value_typeET2_T3_PNS14_IS19_E10value_typeET4_jRbjT5_S1F_jjP12ihipStream_tbEUljE_ZNSN_ISO_Lb1ESR_SS_SU_SV_SZ_EES10_S11_S12_S13_S17_S18_S19_S1C_S1D_jS1E_jS1F_S1F_jjS1H_bEUljE0_EEES10_S11_S12_S19_S1D_S1F_T6_T7_T9_mT8_S1H_bDpT10_ENKUlT_T0_E_clISt17integral_constantIbLb1EES1U_IbLb0EEEEDaS1Q_S1R_EUlS1Q_E_NS1_11comp_targetILNS1_3genE8ELNS1_11target_archE1030ELNS1_3gpuE2ELNS1_3repE0EEENS1_30default_config_static_selectorELNS0_4arch9wavefront6targetE0EEEvS13_
; %bb.0:
	.section	.rodata,"a",@progbits
	.p2align	6, 0x0
	.amdhsa_kernel _ZN7rocprim17ROCPRIM_400000_NS6detail17trampoline_kernelINS0_13select_configILj256ELj13ELNS0_17block_load_methodE3ELS4_3ELS4_3ELNS0_20block_scan_algorithmE0ELj4294967295EEENS1_25partition_config_selectorILNS1_17partition_subalgoE4EjNS0_10empty_typeEbEEZZNS1_14partition_implILS8_4ELb0ES6_15HIP_vector_typeIjLj2EENS0_17counting_iteratorIjlEEPS9_SG_NS0_5tupleIJPjSI_NS0_16reverse_iteratorISI_EEEEENSH_IJSG_SG_SG_EEES9_SI_JZNS1_25segmented_radix_sort_implINS0_14default_configELb1EPK6__halfPSP_PKlPlN2at6native12_GLOBAL__N_18offset_tEEE10hipError_tPvRmT1_PNSt15iterator_traitsIS13_E10value_typeET2_T3_PNS14_IS19_E10value_typeET4_jRbjT5_S1F_jjP12ihipStream_tbEUljE_ZNSN_ISO_Lb1ESR_SS_SU_SV_SZ_EES10_S11_S12_S13_S17_S18_S19_S1C_S1D_jS1E_jS1F_S1F_jjS1H_bEUljE0_EEES10_S11_S12_S19_S1D_S1F_T6_T7_T9_mT8_S1H_bDpT10_ENKUlT_T0_E_clISt17integral_constantIbLb1EES1U_IbLb0EEEEDaS1Q_S1R_EUlS1Q_E_NS1_11comp_targetILNS1_3genE8ELNS1_11target_archE1030ELNS1_3gpuE2ELNS1_3repE0EEENS1_30default_config_static_selectorELNS0_4arch9wavefront6targetE0EEEvS13_
		.amdhsa_group_segment_fixed_size 0
		.amdhsa_private_segment_fixed_size 0
		.amdhsa_kernarg_size 176
		.amdhsa_user_sgpr_count 2
		.amdhsa_user_sgpr_dispatch_ptr 0
		.amdhsa_user_sgpr_queue_ptr 0
		.amdhsa_user_sgpr_kernarg_segment_ptr 1
		.amdhsa_user_sgpr_dispatch_id 0
		.amdhsa_user_sgpr_kernarg_preload_length 0
		.amdhsa_user_sgpr_kernarg_preload_offset 0
		.amdhsa_user_sgpr_private_segment_size 0
		.amdhsa_wavefront_size32 1
		.amdhsa_uses_dynamic_stack 0
		.amdhsa_enable_private_segment 0
		.amdhsa_system_sgpr_workgroup_id_x 1
		.amdhsa_system_sgpr_workgroup_id_y 0
		.amdhsa_system_sgpr_workgroup_id_z 0
		.amdhsa_system_sgpr_workgroup_info 0
		.amdhsa_system_vgpr_workitem_id 0
		.amdhsa_next_free_vgpr 1
		.amdhsa_next_free_sgpr 1
		.amdhsa_named_barrier_count 0
		.amdhsa_reserve_vcc 0
		.amdhsa_float_round_mode_32 0
		.amdhsa_float_round_mode_16_64 0
		.amdhsa_float_denorm_mode_32 3
		.amdhsa_float_denorm_mode_16_64 3
		.amdhsa_fp16_overflow 0
		.amdhsa_memory_ordered 1
		.amdhsa_forward_progress 1
		.amdhsa_inst_pref_size 0
		.amdhsa_round_robin_scheduling 0
		.amdhsa_exception_fp_ieee_invalid_op 0
		.amdhsa_exception_fp_denorm_src 0
		.amdhsa_exception_fp_ieee_div_zero 0
		.amdhsa_exception_fp_ieee_overflow 0
		.amdhsa_exception_fp_ieee_underflow 0
		.amdhsa_exception_fp_ieee_inexact 0
		.amdhsa_exception_int_div_zero 0
	.end_amdhsa_kernel
	.section	.text._ZN7rocprim17ROCPRIM_400000_NS6detail17trampoline_kernelINS0_13select_configILj256ELj13ELNS0_17block_load_methodE3ELS4_3ELS4_3ELNS0_20block_scan_algorithmE0ELj4294967295EEENS1_25partition_config_selectorILNS1_17partition_subalgoE4EjNS0_10empty_typeEbEEZZNS1_14partition_implILS8_4ELb0ES6_15HIP_vector_typeIjLj2EENS0_17counting_iteratorIjlEEPS9_SG_NS0_5tupleIJPjSI_NS0_16reverse_iteratorISI_EEEEENSH_IJSG_SG_SG_EEES9_SI_JZNS1_25segmented_radix_sort_implINS0_14default_configELb1EPK6__halfPSP_PKlPlN2at6native12_GLOBAL__N_18offset_tEEE10hipError_tPvRmT1_PNSt15iterator_traitsIS13_E10value_typeET2_T3_PNS14_IS19_E10value_typeET4_jRbjT5_S1F_jjP12ihipStream_tbEUljE_ZNSN_ISO_Lb1ESR_SS_SU_SV_SZ_EES10_S11_S12_S13_S17_S18_S19_S1C_S1D_jS1E_jS1F_S1F_jjS1H_bEUljE0_EEES10_S11_S12_S19_S1D_S1F_T6_T7_T9_mT8_S1H_bDpT10_ENKUlT_T0_E_clISt17integral_constantIbLb1EES1U_IbLb0EEEEDaS1Q_S1R_EUlS1Q_E_NS1_11comp_targetILNS1_3genE8ELNS1_11target_archE1030ELNS1_3gpuE2ELNS1_3repE0EEENS1_30default_config_static_selectorELNS0_4arch9wavefront6targetE0EEEvS13_,"axG",@progbits,_ZN7rocprim17ROCPRIM_400000_NS6detail17trampoline_kernelINS0_13select_configILj256ELj13ELNS0_17block_load_methodE3ELS4_3ELS4_3ELNS0_20block_scan_algorithmE0ELj4294967295EEENS1_25partition_config_selectorILNS1_17partition_subalgoE4EjNS0_10empty_typeEbEEZZNS1_14partition_implILS8_4ELb0ES6_15HIP_vector_typeIjLj2EENS0_17counting_iteratorIjlEEPS9_SG_NS0_5tupleIJPjSI_NS0_16reverse_iteratorISI_EEEEENSH_IJSG_SG_SG_EEES9_SI_JZNS1_25segmented_radix_sort_implINS0_14default_configELb1EPK6__halfPSP_PKlPlN2at6native12_GLOBAL__N_18offset_tEEE10hipError_tPvRmT1_PNSt15iterator_traitsIS13_E10value_typeET2_T3_PNS14_IS19_E10value_typeET4_jRbjT5_S1F_jjP12ihipStream_tbEUljE_ZNSN_ISO_Lb1ESR_SS_SU_SV_SZ_EES10_S11_S12_S13_S17_S18_S19_S1C_S1D_jS1E_jS1F_S1F_jjS1H_bEUljE0_EEES10_S11_S12_S19_S1D_S1F_T6_T7_T9_mT8_S1H_bDpT10_ENKUlT_T0_E_clISt17integral_constantIbLb1EES1U_IbLb0EEEEDaS1Q_S1R_EUlS1Q_E_NS1_11comp_targetILNS1_3genE8ELNS1_11target_archE1030ELNS1_3gpuE2ELNS1_3repE0EEENS1_30default_config_static_selectorELNS0_4arch9wavefront6targetE0EEEvS13_,comdat
.Lfunc_end1688:
	.size	_ZN7rocprim17ROCPRIM_400000_NS6detail17trampoline_kernelINS0_13select_configILj256ELj13ELNS0_17block_load_methodE3ELS4_3ELS4_3ELNS0_20block_scan_algorithmE0ELj4294967295EEENS1_25partition_config_selectorILNS1_17partition_subalgoE4EjNS0_10empty_typeEbEEZZNS1_14partition_implILS8_4ELb0ES6_15HIP_vector_typeIjLj2EENS0_17counting_iteratorIjlEEPS9_SG_NS0_5tupleIJPjSI_NS0_16reverse_iteratorISI_EEEEENSH_IJSG_SG_SG_EEES9_SI_JZNS1_25segmented_radix_sort_implINS0_14default_configELb1EPK6__halfPSP_PKlPlN2at6native12_GLOBAL__N_18offset_tEEE10hipError_tPvRmT1_PNSt15iterator_traitsIS13_E10value_typeET2_T3_PNS14_IS19_E10value_typeET4_jRbjT5_S1F_jjP12ihipStream_tbEUljE_ZNSN_ISO_Lb1ESR_SS_SU_SV_SZ_EES10_S11_S12_S13_S17_S18_S19_S1C_S1D_jS1E_jS1F_S1F_jjS1H_bEUljE0_EEES10_S11_S12_S19_S1D_S1F_T6_T7_T9_mT8_S1H_bDpT10_ENKUlT_T0_E_clISt17integral_constantIbLb1EES1U_IbLb0EEEEDaS1Q_S1R_EUlS1Q_E_NS1_11comp_targetILNS1_3genE8ELNS1_11target_archE1030ELNS1_3gpuE2ELNS1_3repE0EEENS1_30default_config_static_selectorELNS0_4arch9wavefront6targetE0EEEvS13_, .Lfunc_end1688-_ZN7rocprim17ROCPRIM_400000_NS6detail17trampoline_kernelINS0_13select_configILj256ELj13ELNS0_17block_load_methodE3ELS4_3ELS4_3ELNS0_20block_scan_algorithmE0ELj4294967295EEENS1_25partition_config_selectorILNS1_17partition_subalgoE4EjNS0_10empty_typeEbEEZZNS1_14partition_implILS8_4ELb0ES6_15HIP_vector_typeIjLj2EENS0_17counting_iteratorIjlEEPS9_SG_NS0_5tupleIJPjSI_NS0_16reverse_iteratorISI_EEEEENSH_IJSG_SG_SG_EEES9_SI_JZNS1_25segmented_radix_sort_implINS0_14default_configELb1EPK6__halfPSP_PKlPlN2at6native12_GLOBAL__N_18offset_tEEE10hipError_tPvRmT1_PNSt15iterator_traitsIS13_E10value_typeET2_T3_PNS14_IS19_E10value_typeET4_jRbjT5_S1F_jjP12ihipStream_tbEUljE_ZNSN_ISO_Lb1ESR_SS_SU_SV_SZ_EES10_S11_S12_S13_S17_S18_S19_S1C_S1D_jS1E_jS1F_S1F_jjS1H_bEUljE0_EEES10_S11_S12_S19_S1D_S1F_T6_T7_T9_mT8_S1H_bDpT10_ENKUlT_T0_E_clISt17integral_constantIbLb1EES1U_IbLb0EEEEDaS1Q_S1R_EUlS1Q_E_NS1_11comp_targetILNS1_3genE8ELNS1_11target_archE1030ELNS1_3gpuE2ELNS1_3repE0EEENS1_30default_config_static_selectorELNS0_4arch9wavefront6targetE0EEEvS13_
                                        ; -- End function
	.set _ZN7rocprim17ROCPRIM_400000_NS6detail17trampoline_kernelINS0_13select_configILj256ELj13ELNS0_17block_load_methodE3ELS4_3ELS4_3ELNS0_20block_scan_algorithmE0ELj4294967295EEENS1_25partition_config_selectorILNS1_17partition_subalgoE4EjNS0_10empty_typeEbEEZZNS1_14partition_implILS8_4ELb0ES6_15HIP_vector_typeIjLj2EENS0_17counting_iteratorIjlEEPS9_SG_NS0_5tupleIJPjSI_NS0_16reverse_iteratorISI_EEEEENSH_IJSG_SG_SG_EEES9_SI_JZNS1_25segmented_radix_sort_implINS0_14default_configELb1EPK6__halfPSP_PKlPlN2at6native12_GLOBAL__N_18offset_tEEE10hipError_tPvRmT1_PNSt15iterator_traitsIS13_E10value_typeET2_T3_PNS14_IS19_E10value_typeET4_jRbjT5_S1F_jjP12ihipStream_tbEUljE_ZNSN_ISO_Lb1ESR_SS_SU_SV_SZ_EES10_S11_S12_S13_S17_S18_S19_S1C_S1D_jS1E_jS1F_S1F_jjS1H_bEUljE0_EEES10_S11_S12_S19_S1D_S1F_T6_T7_T9_mT8_S1H_bDpT10_ENKUlT_T0_E_clISt17integral_constantIbLb1EES1U_IbLb0EEEEDaS1Q_S1R_EUlS1Q_E_NS1_11comp_targetILNS1_3genE8ELNS1_11target_archE1030ELNS1_3gpuE2ELNS1_3repE0EEENS1_30default_config_static_selectorELNS0_4arch9wavefront6targetE0EEEvS13_.num_vgpr, 0
	.set _ZN7rocprim17ROCPRIM_400000_NS6detail17trampoline_kernelINS0_13select_configILj256ELj13ELNS0_17block_load_methodE3ELS4_3ELS4_3ELNS0_20block_scan_algorithmE0ELj4294967295EEENS1_25partition_config_selectorILNS1_17partition_subalgoE4EjNS0_10empty_typeEbEEZZNS1_14partition_implILS8_4ELb0ES6_15HIP_vector_typeIjLj2EENS0_17counting_iteratorIjlEEPS9_SG_NS0_5tupleIJPjSI_NS0_16reverse_iteratorISI_EEEEENSH_IJSG_SG_SG_EEES9_SI_JZNS1_25segmented_radix_sort_implINS0_14default_configELb1EPK6__halfPSP_PKlPlN2at6native12_GLOBAL__N_18offset_tEEE10hipError_tPvRmT1_PNSt15iterator_traitsIS13_E10value_typeET2_T3_PNS14_IS19_E10value_typeET4_jRbjT5_S1F_jjP12ihipStream_tbEUljE_ZNSN_ISO_Lb1ESR_SS_SU_SV_SZ_EES10_S11_S12_S13_S17_S18_S19_S1C_S1D_jS1E_jS1F_S1F_jjS1H_bEUljE0_EEES10_S11_S12_S19_S1D_S1F_T6_T7_T9_mT8_S1H_bDpT10_ENKUlT_T0_E_clISt17integral_constantIbLb1EES1U_IbLb0EEEEDaS1Q_S1R_EUlS1Q_E_NS1_11comp_targetILNS1_3genE8ELNS1_11target_archE1030ELNS1_3gpuE2ELNS1_3repE0EEENS1_30default_config_static_selectorELNS0_4arch9wavefront6targetE0EEEvS13_.num_agpr, 0
	.set _ZN7rocprim17ROCPRIM_400000_NS6detail17trampoline_kernelINS0_13select_configILj256ELj13ELNS0_17block_load_methodE3ELS4_3ELS4_3ELNS0_20block_scan_algorithmE0ELj4294967295EEENS1_25partition_config_selectorILNS1_17partition_subalgoE4EjNS0_10empty_typeEbEEZZNS1_14partition_implILS8_4ELb0ES6_15HIP_vector_typeIjLj2EENS0_17counting_iteratorIjlEEPS9_SG_NS0_5tupleIJPjSI_NS0_16reverse_iteratorISI_EEEEENSH_IJSG_SG_SG_EEES9_SI_JZNS1_25segmented_radix_sort_implINS0_14default_configELb1EPK6__halfPSP_PKlPlN2at6native12_GLOBAL__N_18offset_tEEE10hipError_tPvRmT1_PNSt15iterator_traitsIS13_E10value_typeET2_T3_PNS14_IS19_E10value_typeET4_jRbjT5_S1F_jjP12ihipStream_tbEUljE_ZNSN_ISO_Lb1ESR_SS_SU_SV_SZ_EES10_S11_S12_S13_S17_S18_S19_S1C_S1D_jS1E_jS1F_S1F_jjS1H_bEUljE0_EEES10_S11_S12_S19_S1D_S1F_T6_T7_T9_mT8_S1H_bDpT10_ENKUlT_T0_E_clISt17integral_constantIbLb1EES1U_IbLb0EEEEDaS1Q_S1R_EUlS1Q_E_NS1_11comp_targetILNS1_3genE8ELNS1_11target_archE1030ELNS1_3gpuE2ELNS1_3repE0EEENS1_30default_config_static_selectorELNS0_4arch9wavefront6targetE0EEEvS13_.numbered_sgpr, 0
	.set _ZN7rocprim17ROCPRIM_400000_NS6detail17trampoline_kernelINS0_13select_configILj256ELj13ELNS0_17block_load_methodE3ELS4_3ELS4_3ELNS0_20block_scan_algorithmE0ELj4294967295EEENS1_25partition_config_selectorILNS1_17partition_subalgoE4EjNS0_10empty_typeEbEEZZNS1_14partition_implILS8_4ELb0ES6_15HIP_vector_typeIjLj2EENS0_17counting_iteratorIjlEEPS9_SG_NS0_5tupleIJPjSI_NS0_16reverse_iteratorISI_EEEEENSH_IJSG_SG_SG_EEES9_SI_JZNS1_25segmented_radix_sort_implINS0_14default_configELb1EPK6__halfPSP_PKlPlN2at6native12_GLOBAL__N_18offset_tEEE10hipError_tPvRmT1_PNSt15iterator_traitsIS13_E10value_typeET2_T3_PNS14_IS19_E10value_typeET4_jRbjT5_S1F_jjP12ihipStream_tbEUljE_ZNSN_ISO_Lb1ESR_SS_SU_SV_SZ_EES10_S11_S12_S13_S17_S18_S19_S1C_S1D_jS1E_jS1F_S1F_jjS1H_bEUljE0_EEES10_S11_S12_S19_S1D_S1F_T6_T7_T9_mT8_S1H_bDpT10_ENKUlT_T0_E_clISt17integral_constantIbLb1EES1U_IbLb0EEEEDaS1Q_S1R_EUlS1Q_E_NS1_11comp_targetILNS1_3genE8ELNS1_11target_archE1030ELNS1_3gpuE2ELNS1_3repE0EEENS1_30default_config_static_selectorELNS0_4arch9wavefront6targetE0EEEvS13_.num_named_barrier, 0
	.set _ZN7rocprim17ROCPRIM_400000_NS6detail17trampoline_kernelINS0_13select_configILj256ELj13ELNS0_17block_load_methodE3ELS4_3ELS4_3ELNS0_20block_scan_algorithmE0ELj4294967295EEENS1_25partition_config_selectorILNS1_17partition_subalgoE4EjNS0_10empty_typeEbEEZZNS1_14partition_implILS8_4ELb0ES6_15HIP_vector_typeIjLj2EENS0_17counting_iteratorIjlEEPS9_SG_NS0_5tupleIJPjSI_NS0_16reverse_iteratorISI_EEEEENSH_IJSG_SG_SG_EEES9_SI_JZNS1_25segmented_radix_sort_implINS0_14default_configELb1EPK6__halfPSP_PKlPlN2at6native12_GLOBAL__N_18offset_tEEE10hipError_tPvRmT1_PNSt15iterator_traitsIS13_E10value_typeET2_T3_PNS14_IS19_E10value_typeET4_jRbjT5_S1F_jjP12ihipStream_tbEUljE_ZNSN_ISO_Lb1ESR_SS_SU_SV_SZ_EES10_S11_S12_S13_S17_S18_S19_S1C_S1D_jS1E_jS1F_S1F_jjS1H_bEUljE0_EEES10_S11_S12_S19_S1D_S1F_T6_T7_T9_mT8_S1H_bDpT10_ENKUlT_T0_E_clISt17integral_constantIbLb1EES1U_IbLb0EEEEDaS1Q_S1R_EUlS1Q_E_NS1_11comp_targetILNS1_3genE8ELNS1_11target_archE1030ELNS1_3gpuE2ELNS1_3repE0EEENS1_30default_config_static_selectorELNS0_4arch9wavefront6targetE0EEEvS13_.private_seg_size, 0
	.set _ZN7rocprim17ROCPRIM_400000_NS6detail17trampoline_kernelINS0_13select_configILj256ELj13ELNS0_17block_load_methodE3ELS4_3ELS4_3ELNS0_20block_scan_algorithmE0ELj4294967295EEENS1_25partition_config_selectorILNS1_17partition_subalgoE4EjNS0_10empty_typeEbEEZZNS1_14partition_implILS8_4ELb0ES6_15HIP_vector_typeIjLj2EENS0_17counting_iteratorIjlEEPS9_SG_NS0_5tupleIJPjSI_NS0_16reverse_iteratorISI_EEEEENSH_IJSG_SG_SG_EEES9_SI_JZNS1_25segmented_radix_sort_implINS0_14default_configELb1EPK6__halfPSP_PKlPlN2at6native12_GLOBAL__N_18offset_tEEE10hipError_tPvRmT1_PNSt15iterator_traitsIS13_E10value_typeET2_T3_PNS14_IS19_E10value_typeET4_jRbjT5_S1F_jjP12ihipStream_tbEUljE_ZNSN_ISO_Lb1ESR_SS_SU_SV_SZ_EES10_S11_S12_S13_S17_S18_S19_S1C_S1D_jS1E_jS1F_S1F_jjS1H_bEUljE0_EEES10_S11_S12_S19_S1D_S1F_T6_T7_T9_mT8_S1H_bDpT10_ENKUlT_T0_E_clISt17integral_constantIbLb1EES1U_IbLb0EEEEDaS1Q_S1R_EUlS1Q_E_NS1_11comp_targetILNS1_3genE8ELNS1_11target_archE1030ELNS1_3gpuE2ELNS1_3repE0EEENS1_30default_config_static_selectorELNS0_4arch9wavefront6targetE0EEEvS13_.uses_vcc, 0
	.set _ZN7rocprim17ROCPRIM_400000_NS6detail17trampoline_kernelINS0_13select_configILj256ELj13ELNS0_17block_load_methodE3ELS4_3ELS4_3ELNS0_20block_scan_algorithmE0ELj4294967295EEENS1_25partition_config_selectorILNS1_17partition_subalgoE4EjNS0_10empty_typeEbEEZZNS1_14partition_implILS8_4ELb0ES6_15HIP_vector_typeIjLj2EENS0_17counting_iteratorIjlEEPS9_SG_NS0_5tupleIJPjSI_NS0_16reverse_iteratorISI_EEEEENSH_IJSG_SG_SG_EEES9_SI_JZNS1_25segmented_radix_sort_implINS0_14default_configELb1EPK6__halfPSP_PKlPlN2at6native12_GLOBAL__N_18offset_tEEE10hipError_tPvRmT1_PNSt15iterator_traitsIS13_E10value_typeET2_T3_PNS14_IS19_E10value_typeET4_jRbjT5_S1F_jjP12ihipStream_tbEUljE_ZNSN_ISO_Lb1ESR_SS_SU_SV_SZ_EES10_S11_S12_S13_S17_S18_S19_S1C_S1D_jS1E_jS1F_S1F_jjS1H_bEUljE0_EEES10_S11_S12_S19_S1D_S1F_T6_T7_T9_mT8_S1H_bDpT10_ENKUlT_T0_E_clISt17integral_constantIbLb1EES1U_IbLb0EEEEDaS1Q_S1R_EUlS1Q_E_NS1_11comp_targetILNS1_3genE8ELNS1_11target_archE1030ELNS1_3gpuE2ELNS1_3repE0EEENS1_30default_config_static_selectorELNS0_4arch9wavefront6targetE0EEEvS13_.uses_flat_scratch, 0
	.set _ZN7rocprim17ROCPRIM_400000_NS6detail17trampoline_kernelINS0_13select_configILj256ELj13ELNS0_17block_load_methodE3ELS4_3ELS4_3ELNS0_20block_scan_algorithmE0ELj4294967295EEENS1_25partition_config_selectorILNS1_17partition_subalgoE4EjNS0_10empty_typeEbEEZZNS1_14partition_implILS8_4ELb0ES6_15HIP_vector_typeIjLj2EENS0_17counting_iteratorIjlEEPS9_SG_NS0_5tupleIJPjSI_NS0_16reverse_iteratorISI_EEEEENSH_IJSG_SG_SG_EEES9_SI_JZNS1_25segmented_radix_sort_implINS0_14default_configELb1EPK6__halfPSP_PKlPlN2at6native12_GLOBAL__N_18offset_tEEE10hipError_tPvRmT1_PNSt15iterator_traitsIS13_E10value_typeET2_T3_PNS14_IS19_E10value_typeET4_jRbjT5_S1F_jjP12ihipStream_tbEUljE_ZNSN_ISO_Lb1ESR_SS_SU_SV_SZ_EES10_S11_S12_S13_S17_S18_S19_S1C_S1D_jS1E_jS1F_S1F_jjS1H_bEUljE0_EEES10_S11_S12_S19_S1D_S1F_T6_T7_T9_mT8_S1H_bDpT10_ENKUlT_T0_E_clISt17integral_constantIbLb1EES1U_IbLb0EEEEDaS1Q_S1R_EUlS1Q_E_NS1_11comp_targetILNS1_3genE8ELNS1_11target_archE1030ELNS1_3gpuE2ELNS1_3repE0EEENS1_30default_config_static_selectorELNS0_4arch9wavefront6targetE0EEEvS13_.has_dyn_sized_stack, 0
	.set _ZN7rocprim17ROCPRIM_400000_NS6detail17trampoline_kernelINS0_13select_configILj256ELj13ELNS0_17block_load_methodE3ELS4_3ELS4_3ELNS0_20block_scan_algorithmE0ELj4294967295EEENS1_25partition_config_selectorILNS1_17partition_subalgoE4EjNS0_10empty_typeEbEEZZNS1_14partition_implILS8_4ELb0ES6_15HIP_vector_typeIjLj2EENS0_17counting_iteratorIjlEEPS9_SG_NS0_5tupleIJPjSI_NS0_16reverse_iteratorISI_EEEEENSH_IJSG_SG_SG_EEES9_SI_JZNS1_25segmented_radix_sort_implINS0_14default_configELb1EPK6__halfPSP_PKlPlN2at6native12_GLOBAL__N_18offset_tEEE10hipError_tPvRmT1_PNSt15iterator_traitsIS13_E10value_typeET2_T3_PNS14_IS19_E10value_typeET4_jRbjT5_S1F_jjP12ihipStream_tbEUljE_ZNSN_ISO_Lb1ESR_SS_SU_SV_SZ_EES10_S11_S12_S13_S17_S18_S19_S1C_S1D_jS1E_jS1F_S1F_jjS1H_bEUljE0_EEES10_S11_S12_S19_S1D_S1F_T6_T7_T9_mT8_S1H_bDpT10_ENKUlT_T0_E_clISt17integral_constantIbLb1EES1U_IbLb0EEEEDaS1Q_S1R_EUlS1Q_E_NS1_11comp_targetILNS1_3genE8ELNS1_11target_archE1030ELNS1_3gpuE2ELNS1_3repE0EEENS1_30default_config_static_selectorELNS0_4arch9wavefront6targetE0EEEvS13_.has_recursion, 0
	.set _ZN7rocprim17ROCPRIM_400000_NS6detail17trampoline_kernelINS0_13select_configILj256ELj13ELNS0_17block_load_methodE3ELS4_3ELS4_3ELNS0_20block_scan_algorithmE0ELj4294967295EEENS1_25partition_config_selectorILNS1_17partition_subalgoE4EjNS0_10empty_typeEbEEZZNS1_14partition_implILS8_4ELb0ES6_15HIP_vector_typeIjLj2EENS0_17counting_iteratorIjlEEPS9_SG_NS0_5tupleIJPjSI_NS0_16reverse_iteratorISI_EEEEENSH_IJSG_SG_SG_EEES9_SI_JZNS1_25segmented_radix_sort_implINS0_14default_configELb1EPK6__halfPSP_PKlPlN2at6native12_GLOBAL__N_18offset_tEEE10hipError_tPvRmT1_PNSt15iterator_traitsIS13_E10value_typeET2_T3_PNS14_IS19_E10value_typeET4_jRbjT5_S1F_jjP12ihipStream_tbEUljE_ZNSN_ISO_Lb1ESR_SS_SU_SV_SZ_EES10_S11_S12_S13_S17_S18_S19_S1C_S1D_jS1E_jS1F_S1F_jjS1H_bEUljE0_EEES10_S11_S12_S19_S1D_S1F_T6_T7_T9_mT8_S1H_bDpT10_ENKUlT_T0_E_clISt17integral_constantIbLb1EES1U_IbLb0EEEEDaS1Q_S1R_EUlS1Q_E_NS1_11comp_targetILNS1_3genE8ELNS1_11target_archE1030ELNS1_3gpuE2ELNS1_3repE0EEENS1_30default_config_static_selectorELNS0_4arch9wavefront6targetE0EEEvS13_.has_indirect_call, 0
	.section	.AMDGPU.csdata,"",@progbits
; Kernel info:
; codeLenInByte = 0
; TotalNumSgprs: 0
; NumVgprs: 0
; ScratchSize: 0
; MemoryBound: 0
; FloatMode: 240
; IeeeMode: 1
; LDSByteSize: 0 bytes/workgroup (compile time only)
; SGPRBlocks: 0
; VGPRBlocks: 0
; NumSGPRsForWavesPerEU: 1
; NumVGPRsForWavesPerEU: 1
; NamedBarCnt: 0
; Occupancy: 16
; WaveLimiterHint : 0
; COMPUTE_PGM_RSRC2:SCRATCH_EN: 0
; COMPUTE_PGM_RSRC2:USER_SGPR: 2
; COMPUTE_PGM_RSRC2:TRAP_HANDLER: 0
; COMPUTE_PGM_RSRC2:TGID_X_EN: 1
; COMPUTE_PGM_RSRC2:TGID_Y_EN: 0
; COMPUTE_PGM_RSRC2:TGID_Z_EN: 0
; COMPUTE_PGM_RSRC2:TIDIG_COMP_CNT: 0
	.section	.text._ZN7rocprim17ROCPRIM_400000_NS6detail17trampoline_kernelINS0_13select_configILj256ELj13ELNS0_17block_load_methodE3ELS4_3ELS4_3ELNS0_20block_scan_algorithmE0ELj4294967295EEENS1_25partition_config_selectorILNS1_17partition_subalgoE4EjNS0_10empty_typeEbEEZZNS1_14partition_implILS8_4ELb0ES6_15HIP_vector_typeIjLj2EENS0_17counting_iteratorIjlEEPS9_SG_NS0_5tupleIJPjSI_NS0_16reverse_iteratorISI_EEEEENSH_IJSG_SG_SG_EEES9_SI_JZNS1_25segmented_radix_sort_implINS0_14default_configELb1EPK6__halfPSP_PKlPlN2at6native12_GLOBAL__N_18offset_tEEE10hipError_tPvRmT1_PNSt15iterator_traitsIS13_E10value_typeET2_T3_PNS14_IS19_E10value_typeET4_jRbjT5_S1F_jjP12ihipStream_tbEUljE_ZNSN_ISO_Lb1ESR_SS_SU_SV_SZ_EES10_S11_S12_S13_S17_S18_S19_S1C_S1D_jS1E_jS1F_S1F_jjS1H_bEUljE0_EEES10_S11_S12_S19_S1D_S1F_T6_T7_T9_mT8_S1H_bDpT10_ENKUlT_T0_E_clISt17integral_constantIbLb0EES1U_IbLb1EEEEDaS1Q_S1R_EUlS1Q_E_NS1_11comp_targetILNS1_3genE0ELNS1_11target_archE4294967295ELNS1_3gpuE0ELNS1_3repE0EEENS1_30default_config_static_selectorELNS0_4arch9wavefront6targetE0EEEvS13_,"axG",@progbits,_ZN7rocprim17ROCPRIM_400000_NS6detail17trampoline_kernelINS0_13select_configILj256ELj13ELNS0_17block_load_methodE3ELS4_3ELS4_3ELNS0_20block_scan_algorithmE0ELj4294967295EEENS1_25partition_config_selectorILNS1_17partition_subalgoE4EjNS0_10empty_typeEbEEZZNS1_14partition_implILS8_4ELb0ES6_15HIP_vector_typeIjLj2EENS0_17counting_iteratorIjlEEPS9_SG_NS0_5tupleIJPjSI_NS0_16reverse_iteratorISI_EEEEENSH_IJSG_SG_SG_EEES9_SI_JZNS1_25segmented_radix_sort_implINS0_14default_configELb1EPK6__halfPSP_PKlPlN2at6native12_GLOBAL__N_18offset_tEEE10hipError_tPvRmT1_PNSt15iterator_traitsIS13_E10value_typeET2_T3_PNS14_IS19_E10value_typeET4_jRbjT5_S1F_jjP12ihipStream_tbEUljE_ZNSN_ISO_Lb1ESR_SS_SU_SV_SZ_EES10_S11_S12_S13_S17_S18_S19_S1C_S1D_jS1E_jS1F_S1F_jjS1H_bEUljE0_EEES10_S11_S12_S19_S1D_S1F_T6_T7_T9_mT8_S1H_bDpT10_ENKUlT_T0_E_clISt17integral_constantIbLb0EES1U_IbLb1EEEEDaS1Q_S1R_EUlS1Q_E_NS1_11comp_targetILNS1_3genE0ELNS1_11target_archE4294967295ELNS1_3gpuE0ELNS1_3repE0EEENS1_30default_config_static_selectorELNS0_4arch9wavefront6targetE0EEEvS13_,comdat
	.globl	_ZN7rocprim17ROCPRIM_400000_NS6detail17trampoline_kernelINS0_13select_configILj256ELj13ELNS0_17block_load_methodE3ELS4_3ELS4_3ELNS0_20block_scan_algorithmE0ELj4294967295EEENS1_25partition_config_selectorILNS1_17partition_subalgoE4EjNS0_10empty_typeEbEEZZNS1_14partition_implILS8_4ELb0ES6_15HIP_vector_typeIjLj2EENS0_17counting_iteratorIjlEEPS9_SG_NS0_5tupleIJPjSI_NS0_16reverse_iteratorISI_EEEEENSH_IJSG_SG_SG_EEES9_SI_JZNS1_25segmented_radix_sort_implINS0_14default_configELb1EPK6__halfPSP_PKlPlN2at6native12_GLOBAL__N_18offset_tEEE10hipError_tPvRmT1_PNSt15iterator_traitsIS13_E10value_typeET2_T3_PNS14_IS19_E10value_typeET4_jRbjT5_S1F_jjP12ihipStream_tbEUljE_ZNSN_ISO_Lb1ESR_SS_SU_SV_SZ_EES10_S11_S12_S13_S17_S18_S19_S1C_S1D_jS1E_jS1F_S1F_jjS1H_bEUljE0_EEES10_S11_S12_S19_S1D_S1F_T6_T7_T9_mT8_S1H_bDpT10_ENKUlT_T0_E_clISt17integral_constantIbLb0EES1U_IbLb1EEEEDaS1Q_S1R_EUlS1Q_E_NS1_11comp_targetILNS1_3genE0ELNS1_11target_archE4294967295ELNS1_3gpuE0ELNS1_3repE0EEENS1_30default_config_static_selectorELNS0_4arch9wavefront6targetE0EEEvS13_ ; -- Begin function _ZN7rocprim17ROCPRIM_400000_NS6detail17trampoline_kernelINS0_13select_configILj256ELj13ELNS0_17block_load_methodE3ELS4_3ELS4_3ELNS0_20block_scan_algorithmE0ELj4294967295EEENS1_25partition_config_selectorILNS1_17partition_subalgoE4EjNS0_10empty_typeEbEEZZNS1_14partition_implILS8_4ELb0ES6_15HIP_vector_typeIjLj2EENS0_17counting_iteratorIjlEEPS9_SG_NS0_5tupleIJPjSI_NS0_16reverse_iteratorISI_EEEEENSH_IJSG_SG_SG_EEES9_SI_JZNS1_25segmented_radix_sort_implINS0_14default_configELb1EPK6__halfPSP_PKlPlN2at6native12_GLOBAL__N_18offset_tEEE10hipError_tPvRmT1_PNSt15iterator_traitsIS13_E10value_typeET2_T3_PNS14_IS19_E10value_typeET4_jRbjT5_S1F_jjP12ihipStream_tbEUljE_ZNSN_ISO_Lb1ESR_SS_SU_SV_SZ_EES10_S11_S12_S13_S17_S18_S19_S1C_S1D_jS1E_jS1F_S1F_jjS1H_bEUljE0_EEES10_S11_S12_S19_S1D_S1F_T6_T7_T9_mT8_S1H_bDpT10_ENKUlT_T0_E_clISt17integral_constantIbLb0EES1U_IbLb1EEEEDaS1Q_S1R_EUlS1Q_E_NS1_11comp_targetILNS1_3genE0ELNS1_11target_archE4294967295ELNS1_3gpuE0ELNS1_3repE0EEENS1_30default_config_static_selectorELNS0_4arch9wavefront6targetE0EEEvS13_
	.p2align	8
	.type	_ZN7rocprim17ROCPRIM_400000_NS6detail17trampoline_kernelINS0_13select_configILj256ELj13ELNS0_17block_load_methodE3ELS4_3ELS4_3ELNS0_20block_scan_algorithmE0ELj4294967295EEENS1_25partition_config_selectorILNS1_17partition_subalgoE4EjNS0_10empty_typeEbEEZZNS1_14partition_implILS8_4ELb0ES6_15HIP_vector_typeIjLj2EENS0_17counting_iteratorIjlEEPS9_SG_NS0_5tupleIJPjSI_NS0_16reverse_iteratorISI_EEEEENSH_IJSG_SG_SG_EEES9_SI_JZNS1_25segmented_radix_sort_implINS0_14default_configELb1EPK6__halfPSP_PKlPlN2at6native12_GLOBAL__N_18offset_tEEE10hipError_tPvRmT1_PNSt15iterator_traitsIS13_E10value_typeET2_T3_PNS14_IS19_E10value_typeET4_jRbjT5_S1F_jjP12ihipStream_tbEUljE_ZNSN_ISO_Lb1ESR_SS_SU_SV_SZ_EES10_S11_S12_S13_S17_S18_S19_S1C_S1D_jS1E_jS1F_S1F_jjS1H_bEUljE0_EEES10_S11_S12_S19_S1D_S1F_T6_T7_T9_mT8_S1H_bDpT10_ENKUlT_T0_E_clISt17integral_constantIbLb0EES1U_IbLb1EEEEDaS1Q_S1R_EUlS1Q_E_NS1_11comp_targetILNS1_3genE0ELNS1_11target_archE4294967295ELNS1_3gpuE0ELNS1_3repE0EEENS1_30default_config_static_selectorELNS0_4arch9wavefront6targetE0EEEvS13_,@function
_ZN7rocprim17ROCPRIM_400000_NS6detail17trampoline_kernelINS0_13select_configILj256ELj13ELNS0_17block_load_methodE3ELS4_3ELS4_3ELNS0_20block_scan_algorithmE0ELj4294967295EEENS1_25partition_config_selectorILNS1_17partition_subalgoE4EjNS0_10empty_typeEbEEZZNS1_14partition_implILS8_4ELb0ES6_15HIP_vector_typeIjLj2EENS0_17counting_iteratorIjlEEPS9_SG_NS0_5tupleIJPjSI_NS0_16reverse_iteratorISI_EEEEENSH_IJSG_SG_SG_EEES9_SI_JZNS1_25segmented_radix_sort_implINS0_14default_configELb1EPK6__halfPSP_PKlPlN2at6native12_GLOBAL__N_18offset_tEEE10hipError_tPvRmT1_PNSt15iterator_traitsIS13_E10value_typeET2_T3_PNS14_IS19_E10value_typeET4_jRbjT5_S1F_jjP12ihipStream_tbEUljE_ZNSN_ISO_Lb1ESR_SS_SU_SV_SZ_EES10_S11_S12_S13_S17_S18_S19_S1C_S1D_jS1E_jS1F_S1F_jjS1H_bEUljE0_EEES10_S11_S12_S19_S1D_S1F_T6_T7_T9_mT8_S1H_bDpT10_ENKUlT_T0_E_clISt17integral_constantIbLb0EES1U_IbLb1EEEEDaS1Q_S1R_EUlS1Q_E_NS1_11comp_targetILNS1_3genE0ELNS1_11target_archE4294967295ELNS1_3gpuE0ELNS1_3repE0EEENS1_30default_config_static_selectorELNS0_4arch9wavefront6targetE0EEEvS13_: ; @_ZN7rocprim17ROCPRIM_400000_NS6detail17trampoline_kernelINS0_13select_configILj256ELj13ELNS0_17block_load_methodE3ELS4_3ELS4_3ELNS0_20block_scan_algorithmE0ELj4294967295EEENS1_25partition_config_selectorILNS1_17partition_subalgoE4EjNS0_10empty_typeEbEEZZNS1_14partition_implILS8_4ELb0ES6_15HIP_vector_typeIjLj2EENS0_17counting_iteratorIjlEEPS9_SG_NS0_5tupleIJPjSI_NS0_16reverse_iteratorISI_EEEEENSH_IJSG_SG_SG_EEES9_SI_JZNS1_25segmented_radix_sort_implINS0_14default_configELb1EPK6__halfPSP_PKlPlN2at6native12_GLOBAL__N_18offset_tEEE10hipError_tPvRmT1_PNSt15iterator_traitsIS13_E10value_typeET2_T3_PNS14_IS19_E10value_typeET4_jRbjT5_S1F_jjP12ihipStream_tbEUljE_ZNSN_ISO_Lb1ESR_SS_SU_SV_SZ_EES10_S11_S12_S13_S17_S18_S19_S1C_S1D_jS1E_jS1F_S1F_jjS1H_bEUljE0_EEES10_S11_S12_S19_S1D_S1F_T6_T7_T9_mT8_S1H_bDpT10_ENKUlT_T0_E_clISt17integral_constantIbLb0EES1U_IbLb1EEEEDaS1Q_S1R_EUlS1Q_E_NS1_11comp_targetILNS1_3genE0ELNS1_11target_archE4294967295ELNS1_3gpuE0ELNS1_3repE0EEENS1_30default_config_static_selectorELNS0_4arch9wavefront6targetE0EEEvS13_
; %bb.0:
	s_clause 0x7
	s_load_b64 s[34:35], s[0:1], 0x10
	s_load_b128 s[28:31], s[0:1], 0x28
	s_load_b64 s[14:15], s[0:1], 0x38
	s_load_b128 s[24:27], s[0:1], 0x58
	s_load_b64 s[4:5], s[0:1], 0x68
	s_load_b64 s[36:37], s[0:1], 0x78
	;; [unrolled: 1-line block ×3, first 2 shown]
	s_load_b256 s[16:23], s[0:1], 0x90
	v_cmp_eq_u32_e64 s2, 0, v0
	s_and_saveexec_b32 s3, s2
	s_cbranch_execz .LBB1689_4
; %bb.1:
	s_mov_b32 s7, exec_lo
	s_mov_b32 s6, exec_lo
	v_mbcnt_lo_u32_b32 v1, s7, 0
                                        ; implicit-def: $vgpr2
	s_delay_alu instid0(VALU_DEP_1)
	v_cmpx_eq_u32_e32 0, v1
	s_cbranch_execz .LBB1689_3
; %bb.2:
	s_load_b64 s[8:9], s[0:1], 0x88
	s_bcnt1_i32_b32 s7, s7
	s_delay_alu instid0(SALU_CYCLE_1)
	v_dual_mov_b32 v2, 0 :: v_dual_mov_b32 v3, s7
	s_wait_xcnt 0x0
	s_wait_kmcnt 0x0
	global_atomic_add_u32 v2, v2, v3, s[8:9] th:TH_ATOMIC_RETURN scope:SCOPE_DEV
.LBB1689_3:
	s_wait_xcnt 0x0
	s_or_b32 exec_lo, exec_lo, s6
	s_wait_loadcnt 0x0
	v_readfirstlane_b32 s6, v2
	s_delay_alu instid0(VALU_DEP_1)
	v_dual_mov_b32 v2, 0 :: v_dual_add_nc_u32 v1, s6, v1
	ds_store_b32 v2, v1
.LBB1689_4:
	s_or_b32 exec_lo, exec_lo, s3
	v_mov_b32_e32 v1, 0
	s_clause 0x1
	s_load_b32 s3, s[0:1], 0x8
	s_load_b32 s6, s[0:1], 0x80
	s_wait_dscnt 0x0
	s_barrier_signal -1
	s_barrier_wait -1
	ds_load_b32 v6, v1
	s_wait_dscnt 0x0
	s_barrier_signal -1
	s_barrier_wait -1
	s_wait_kmcnt 0x0
	global_load_b128 v[2:5], v1, s[26:27]
	s_mov_b32 s1, 0
	s_add_co_i32 s3, s3, s34
	s_mul_i32 s0, s6, 0xd00
	s_add_co_i32 s6, s6, -1
	s_add_nc_u64 s[8:9], s[34:35], s[0:1]
	s_delay_alu instid0(SALU_CYCLE_1)
	v_cmp_gt_u64_e64 s1, s[4:5], s[8:9]
	v_mul_lo_u32 v14, 0xd00, v6
	s_wait_xcnt 0x0
	v_readfirstlane_b32 s27, v6
	v_cmp_ne_u32_e32 vcc_lo, s6, v6
	s_cmp_eq_u32 s27, s6
	s_cselect_b32 s26, -1, 0
	s_or_b32 s1, s1, vcc_lo
	v_add3_u32 v1, v14, s3, v0
	s_and_b32 vcc_lo, exec_lo, s1
	s_mov_b32 s3, -1
	s_delay_alu instid0(VALU_DEP_1)
	v_add_nc_u32_e32 v6, 0x100, v1
	v_add_nc_u32_e32 v7, 0x200, v1
	;; [unrolled: 1-line block ×12, first 2 shown]
	s_cbranch_vccz .LBB1689_6
; %bb.5:
	v_lshlrev_b32_e32 v19, 2, v0
	s_mov_b32 s3, 0
	ds_store_2addr_stride64_b32 v19, v1, v6 offset1:4
	ds_store_2addr_stride64_b32 v19, v7, v8 offset0:8 offset1:12
	ds_store_2addr_stride64_b32 v19, v9, v10 offset0:16 offset1:20
	;; [unrolled: 1-line block ×5, first 2 shown]
	ds_store_b32 v19, v18 offset:12288
	s_wait_loadcnt_dscnt 0x0
	s_barrier_signal -1
	s_barrier_wait -1
.LBB1689_6:
	s_and_not1_b32 vcc_lo, exec_lo, s3
	s_add_co_i32 s0, s0, s34
	s_cbranch_vccnz .LBB1689_8
; %bb.7:
	v_lshlrev_b32_e32 v19, 2, v0
	ds_store_2addr_stride64_b32 v19, v1, v6 offset1:4
	ds_store_2addr_stride64_b32 v19, v7, v8 offset0:8 offset1:12
	ds_store_2addr_stride64_b32 v19, v9, v10 offset0:16 offset1:20
	ds_store_2addr_stride64_b32 v19, v11, v12 offset0:24 offset1:28
	ds_store_2addr_stride64_b32 v19, v13, v15 offset0:32 offset1:36
	ds_store_2addr_stride64_b32 v19, v16, v17 offset0:40 offset1:44
	ds_store_b32 v19, v18 offset:12288
	s_wait_loadcnt_dscnt 0x0
	s_barrier_signal -1
	s_barrier_wait -1
.LBB1689_8:
	v_mul_u32_u24_e32 v15, 13, v0
	s_wait_loadcnt 0x0
	v_cndmask_b32_e64 v35, 0, 1, s1
	s_sub_co_i32 s33, s4, s0
	s_and_not1_b32 vcc_lo, exec_lo, s1
	v_lshlrev_b32_e32 v1, 2, v15
	ds_load_b32 v34, v1 offset:48
	ds_load_2addr_b32 v[16:17], v1 offset0:10 offset1:11
	ds_load_2addr_b32 v[18:19], v1 offset0:8 offset1:9
	;; [unrolled: 1-line block ×4, first 2 shown]
	ds_load_2addr_b32 v[26:27], v1 offset1:1
	ds_load_2addr_b32 v[24:25], v1 offset0:2 offset1:3
	s_wait_dscnt 0x0
	s_barrier_signal -1
	s_barrier_wait -1
	s_cbranch_vccnz .LBB1689_36
; %bb.9:
	v_dual_add_nc_u32 v1, s17, v26 :: v_dual_add_nc_u32 v6, s19, v26
	s_mov_b32 s41, 0
	s_mov_b32 s40, 0
	s_mov_b32 s1, exec_lo
	s_delay_alu instid0(VALU_DEP_1) | instskip(SKIP_1) | instid1(VALU_DEP_1)
	v_mul_lo_u32 v1, v1, s16
	v_mul_lo_u32 v6, v6, s18
	v_sub_nc_u32_e32 v1, v1, v6
	s_delay_alu instid0(VALU_DEP_1)
	v_cmp_lt_u32_e32 vcc_lo, s20, v1
	v_cmpx_ge_u32_e64 s20, v1
	s_cbranch_execz .LBB1689_11
; %bb.10:
	v_dual_add_nc_u32 v1, s22, v26 :: v_dual_add_nc_u32 v6, s38, v26
	s_delay_alu instid0(VALU_DEP_1) | instskip(NEXT) | instid1(VALU_DEP_2)
	v_mul_lo_u32 v1, v1, s21
	v_mul_lo_u32 v6, v6, s23
	s_delay_alu instid0(VALU_DEP_1) | instskip(NEXT) | instid1(VALU_DEP_1)
	v_sub_nc_u32_e32 v1, v1, v6
	v_cmp_lt_u32_e64 s0, s39, v1
	s_and_b32 s40, s0, exec_lo
.LBB1689_11:
	s_or_b32 exec_lo, exec_lo, s1
	v_dual_add_nc_u32 v1, s17, v27 :: v_dual_add_nc_u32 v6, s19, v27
	s_mov_b32 s3, exec_lo
	s_delay_alu instid0(VALU_DEP_1) | instskip(NEXT) | instid1(VALU_DEP_2)
	v_mul_lo_u32 v1, v1, s16
	v_mul_lo_u32 v6, v6, s18
	s_delay_alu instid0(VALU_DEP_1) | instskip(NEXT) | instid1(VALU_DEP_1)
	v_sub_nc_u32_e32 v1, v1, v6
	v_cmp_lt_u32_e64 s0, s20, v1
	v_cmpx_ge_u32_e64 s20, v1
	s_cbranch_execz .LBB1689_13
; %bb.12:
	v_dual_add_nc_u32 v1, s22, v27 :: v_dual_add_nc_u32 v6, s38, v27
	s_delay_alu instid0(VALU_DEP_1) | instskip(NEXT) | instid1(VALU_DEP_2)
	v_mul_lo_u32 v1, v1, s21
	v_mul_lo_u32 v6, v6, s23
	s_delay_alu instid0(VALU_DEP_1) | instskip(NEXT) | instid1(VALU_DEP_1)
	v_sub_nc_u32_e32 v1, v1, v6
	v_cmp_lt_u32_e64 s1, s39, v1
	s_and_b32 s41, s1, exec_lo
.LBB1689_13:
	s_or_b32 exec_lo, exec_lo, s3
	v_dual_add_nc_u32 v1, s17, v24 :: v_dual_add_nc_u32 v6, s19, v24
	s_mov_b32 s43, 0
	s_mov_b32 s42, 0
	s_mov_b32 s4, exec_lo
	s_delay_alu instid0(VALU_DEP_1) | instskip(SKIP_1) | instid1(VALU_DEP_1)
	v_mul_lo_u32 v1, v1, s16
	v_mul_lo_u32 v6, v6, s18
	v_sub_nc_u32_e32 v1, v1, v6
	s_delay_alu instid0(VALU_DEP_1)
	v_cmp_lt_u32_e64 s1, s20, v1
	v_cmpx_ge_u32_e64 s20, v1
	s_cbranch_execz .LBB1689_15
; %bb.14:
	v_dual_add_nc_u32 v1, s22, v24 :: v_dual_add_nc_u32 v6, s38, v24
	s_delay_alu instid0(VALU_DEP_1) | instskip(NEXT) | instid1(VALU_DEP_2)
	v_mul_lo_u32 v1, v1, s21
	v_mul_lo_u32 v6, v6, s23
	s_delay_alu instid0(VALU_DEP_1) | instskip(NEXT) | instid1(VALU_DEP_1)
	v_sub_nc_u32_e32 v1, v1, v6
	v_cmp_lt_u32_e64 s3, s39, v1
	s_and_b32 s42, s3, exec_lo
.LBB1689_15:
	s_or_b32 exec_lo, exec_lo, s4
	v_dual_add_nc_u32 v1, s17, v25 :: v_dual_add_nc_u32 v6, s19, v25
	s_mov_b32 s5, exec_lo
	s_delay_alu instid0(VALU_DEP_1) | instskip(NEXT) | instid1(VALU_DEP_2)
	v_mul_lo_u32 v1, v1, s16
	v_mul_lo_u32 v6, v6, s18
	s_delay_alu instid0(VALU_DEP_1) | instskip(NEXT) | instid1(VALU_DEP_1)
	v_sub_nc_u32_e32 v1, v1, v6
	v_cmp_lt_u32_e64 s3, s20, v1
	v_cmpx_ge_u32_e64 s20, v1
	s_cbranch_execz .LBB1689_17
; %bb.16:
	v_dual_add_nc_u32 v1, s22, v25 :: v_dual_add_nc_u32 v6, s38, v25
	s_delay_alu instid0(VALU_DEP_1) | instskip(NEXT) | instid1(VALU_DEP_2)
	v_mul_lo_u32 v1, v1, s21
	v_mul_lo_u32 v6, v6, s23
	s_delay_alu instid0(VALU_DEP_1) | instskip(NEXT) | instid1(VALU_DEP_1)
	v_sub_nc_u32_e32 v1, v1, v6
	v_cmp_lt_u32_e64 s4, s39, v1
	s_and_b32 s43, s4, exec_lo
.LBB1689_17:
	s_or_b32 exec_lo, exec_lo, s5
	v_dual_add_nc_u32 v1, s17, v22 :: v_dual_add_nc_u32 v6, s19, v22
	s_mov_b32 s45, 0
	s_mov_b32 s44, 0
	s_mov_b32 s6, exec_lo
	s_delay_alu instid0(VALU_DEP_1) | instskip(SKIP_1) | instid1(VALU_DEP_1)
	v_mul_lo_u32 v1, v1, s16
	v_mul_lo_u32 v6, v6, s18
	v_sub_nc_u32_e32 v1, v1, v6
	s_delay_alu instid0(VALU_DEP_1)
	v_cmp_lt_u32_e64 s4, s20, v1
	v_cmpx_ge_u32_e64 s20, v1
	s_cbranch_execz .LBB1689_19
; %bb.18:
	v_dual_add_nc_u32 v1, s22, v22 :: v_dual_add_nc_u32 v6, s38, v22
	s_delay_alu instid0(VALU_DEP_1) | instskip(NEXT) | instid1(VALU_DEP_2)
	v_mul_lo_u32 v1, v1, s21
	v_mul_lo_u32 v6, v6, s23
	s_delay_alu instid0(VALU_DEP_1) | instskip(NEXT) | instid1(VALU_DEP_1)
	v_sub_nc_u32_e32 v1, v1, v6
	v_cmp_lt_u32_e64 s5, s39, v1
	s_and_b32 s44, s5, exec_lo
.LBB1689_19:
	s_or_b32 exec_lo, exec_lo, s6
	v_dual_add_nc_u32 v1, s17, v23 :: v_dual_add_nc_u32 v6, s19, v23
	s_mov_b32 s7, exec_lo
	s_delay_alu instid0(VALU_DEP_1) | instskip(NEXT) | instid1(VALU_DEP_2)
	v_mul_lo_u32 v1, v1, s16
	v_mul_lo_u32 v6, v6, s18
	s_delay_alu instid0(VALU_DEP_1) | instskip(NEXT) | instid1(VALU_DEP_1)
	v_sub_nc_u32_e32 v1, v1, v6
	v_cmp_lt_u32_e64 s5, s20, v1
	v_cmpx_ge_u32_e64 s20, v1
	s_cbranch_execz .LBB1689_21
; %bb.20:
	v_dual_add_nc_u32 v1, s22, v23 :: v_dual_add_nc_u32 v6, s38, v23
	s_delay_alu instid0(VALU_DEP_1) | instskip(NEXT) | instid1(VALU_DEP_2)
	v_mul_lo_u32 v1, v1, s21
	v_mul_lo_u32 v6, v6, s23
	s_delay_alu instid0(VALU_DEP_1) | instskip(NEXT) | instid1(VALU_DEP_1)
	v_sub_nc_u32_e32 v1, v1, v6
	v_cmp_lt_u32_e64 s6, s39, v1
	s_and_b32 s45, s6, exec_lo
.LBB1689_21:
	s_or_b32 exec_lo, exec_lo, s7
	v_dual_add_nc_u32 v1, s17, v20 :: v_dual_add_nc_u32 v6, s19, v20
	s_mov_b32 s47, 0
	s_mov_b32 s46, 0
	s_mov_b32 s8, exec_lo
	s_delay_alu instid0(VALU_DEP_1) | instskip(SKIP_1) | instid1(VALU_DEP_1)
	v_mul_lo_u32 v1, v1, s16
	v_mul_lo_u32 v6, v6, s18
	v_sub_nc_u32_e32 v1, v1, v6
	s_delay_alu instid0(VALU_DEP_1)
	v_cmp_lt_u32_e64 s6, s20, v1
	v_cmpx_ge_u32_e64 s20, v1
	s_cbranch_execz .LBB1689_23
; %bb.22:
	v_dual_add_nc_u32 v1, s22, v20 :: v_dual_add_nc_u32 v6, s38, v20
	s_delay_alu instid0(VALU_DEP_1) | instskip(NEXT) | instid1(VALU_DEP_2)
	v_mul_lo_u32 v1, v1, s21
	v_mul_lo_u32 v6, v6, s23
	s_delay_alu instid0(VALU_DEP_1) | instskip(NEXT) | instid1(VALU_DEP_1)
	v_sub_nc_u32_e32 v1, v1, v6
	v_cmp_lt_u32_e64 s7, s39, v1
	s_and_b32 s46, s7, exec_lo
.LBB1689_23:
	s_or_b32 exec_lo, exec_lo, s8
	v_dual_add_nc_u32 v1, s17, v21 :: v_dual_add_nc_u32 v6, s19, v21
	s_mov_b32 s9, exec_lo
	s_delay_alu instid0(VALU_DEP_1) | instskip(NEXT) | instid1(VALU_DEP_2)
	v_mul_lo_u32 v1, v1, s16
	v_mul_lo_u32 v6, v6, s18
	s_delay_alu instid0(VALU_DEP_1) | instskip(NEXT) | instid1(VALU_DEP_1)
	v_sub_nc_u32_e32 v1, v1, v6
	v_cmp_lt_u32_e64 s7, s20, v1
	v_cmpx_ge_u32_e64 s20, v1
	s_cbranch_execz .LBB1689_25
; %bb.24:
	v_dual_add_nc_u32 v1, s22, v21 :: v_dual_add_nc_u32 v6, s38, v21
	s_delay_alu instid0(VALU_DEP_1) | instskip(NEXT) | instid1(VALU_DEP_2)
	v_mul_lo_u32 v1, v1, s21
	v_mul_lo_u32 v6, v6, s23
	s_delay_alu instid0(VALU_DEP_1) | instskip(NEXT) | instid1(VALU_DEP_1)
	v_sub_nc_u32_e32 v1, v1, v6
	v_cmp_lt_u32_e64 s8, s39, v1
	s_and_b32 s47, s8, exec_lo
.LBB1689_25:
	s_or_b32 exec_lo, exec_lo, s9
	v_dual_add_nc_u32 v1, s17, v18 :: v_dual_add_nc_u32 v6, s19, v18
	s_mov_b32 s50, 0
	s_mov_b32 s49, 0
	s_mov_b32 s10, exec_lo
	s_delay_alu instid0(VALU_DEP_1) | instskip(SKIP_1) | instid1(VALU_DEP_1)
	v_mul_lo_u32 v1, v1, s16
	v_mul_lo_u32 v6, v6, s18
	v_sub_nc_u32_e32 v1, v1, v6
	s_delay_alu instid0(VALU_DEP_1)
	v_cmp_lt_u32_e64 s8, s20, v1
	v_cmpx_ge_u32_e64 s20, v1
	s_cbranch_execz .LBB1689_27
; %bb.26:
	v_dual_add_nc_u32 v1, s22, v18 :: v_dual_add_nc_u32 v6, s38, v18
	s_delay_alu instid0(VALU_DEP_1) | instskip(NEXT) | instid1(VALU_DEP_2)
	v_mul_lo_u32 v1, v1, s21
	v_mul_lo_u32 v6, v6, s23
	s_delay_alu instid0(VALU_DEP_1) | instskip(NEXT) | instid1(VALU_DEP_1)
	v_sub_nc_u32_e32 v1, v1, v6
	v_cmp_lt_u32_e64 s9, s39, v1
	s_and_b32 s49, s9, exec_lo
.LBB1689_27:
	s_or_b32 exec_lo, exec_lo, s10
	v_dual_add_nc_u32 v1, s17, v19 :: v_dual_add_nc_u32 v6, s19, v19
	s_mov_b32 s11, exec_lo
	s_delay_alu instid0(VALU_DEP_1) | instskip(NEXT) | instid1(VALU_DEP_2)
	v_mul_lo_u32 v1, v1, s16
	v_mul_lo_u32 v6, v6, s18
	s_delay_alu instid0(VALU_DEP_1) | instskip(NEXT) | instid1(VALU_DEP_1)
	v_sub_nc_u32_e32 v1, v1, v6
	v_cmp_lt_u32_e64 s9, s20, v1
	v_cmpx_ge_u32_e64 s20, v1
	s_cbranch_execz .LBB1689_29
; %bb.28:
	v_dual_add_nc_u32 v1, s22, v19 :: v_dual_add_nc_u32 v6, s38, v19
	s_delay_alu instid0(VALU_DEP_1) | instskip(NEXT) | instid1(VALU_DEP_2)
	v_mul_lo_u32 v1, v1, s21
	v_mul_lo_u32 v6, v6, s23
	s_delay_alu instid0(VALU_DEP_1) | instskip(NEXT) | instid1(VALU_DEP_1)
	v_sub_nc_u32_e32 v1, v1, v6
	v_cmp_lt_u32_e64 s10, s39, v1
	s_and_b32 s50, s10, exec_lo
.LBB1689_29:
	s_or_b32 exec_lo, exec_lo, s11
	v_dual_add_nc_u32 v1, s17, v16 :: v_dual_add_nc_u32 v6, s19, v16
	s_mov_b32 s51, 0
	s_mov_b32 s52, 0
	s_mov_b32 s12, exec_lo
	s_delay_alu instid0(VALU_DEP_1) | instskip(SKIP_1) | instid1(VALU_DEP_1)
	v_mul_lo_u32 v1, v1, s16
	v_mul_lo_u32 v6, v6, s18
	v_sub_nc_u32_e32 v1, v1, v6
	s_delay_alu instid0(VALU_DEP_1)
	v_cmp_lt_u32_e64 s10, s20, v1
	v_cmpx_ge_u32_e64 s20, v1
	s_cbranch_execz .LBB1689_31
; %bb.30:
	v_dual_add_nc_u32 v1, s22, v16 :: v_dual_add_nc_u32 v6, s38, v16
	s_delay_alu instid0(VALU_DEP_1) | instskip(NEXT) | instid1(VALU_DEP_2)
	v_mul_lo_u32 v1, v1, s21
	v_mul_lo_u32 v6, v6, s23
	s_delay_alu instid0(VALU_DEP_1) | instskip(NEXT) | instid1(VALU_DEP_1)
	v_sub_nc_u32_e32 v1, v1, v6
	v_cmp_lt_u32_e64 s11, s39, v1
	s_and_b32 s52, s11, exec_lo
.LBB1689_31:
	s_or_b32 exec_lo, exec_lo, s12
	v_dual_add_nc_u32 v1, s17, v17 :: v_dual_add_nc_u32 v6, s19, v17
	s_mov_b32 s13, exec_lo
	s_delay_alu instid0(VALU_DEP_1) | instskip(NEXT) | instid1(VALU_DEP_2)
	v_mul_lo_u32 v1, v1, s16
	v_mul_lo_u32 v6, v6, s18
	s_delay_alu instid0(VALU_DEP_1) | instskip(NEXT) | instid1(VALU_DEP_1)
	v_sub_nc_u32_e32 v1, v1, v6
	v_cmp_lt_u32_e64 s12, s20, v1
	v_cmpx_ge_u32_e64 s20, v1
	s_cbranch_execz .LBB1689_33
; %bb.32:
	v_dual_add_nc_u32 v1, s22, v17 :: v_dual_add_nc_u32 v6, s38, v17
	s_delay_alu instid0(VALU_DEP_1) | instskip(NEXT) | instid1(VALU_DEP_2)
	v_mul_lo_u32 v1, v1, s21
	v_mul_lo_u32 v6, v6, s23
	s_delay_alu instid0(VALU_DEP_1) | instskip(NEXT) | instid1(VALU_DEP_1)
	v_sub_nc_u32_e32 v1, v1, v6
	v_cmp_lt_u32_e64 s11, s39, v1
	s_and_b32 s51, s11, exec_lo
.LBB1689_33:
	s_or_b32 exec_lo, exec_lo, s13
	v_dual_add_nc_u32 v1, s17, v34 :: v_dual_add_nc_u32 v6, s19, v34
	s_mov_b32 s48, 0
	s_mov_b32 s53, 0
	s_mov_b32 s54, exec_lo
	s_delay_alu instid0(VALU_DEP_1) | instskip(SKIP_1) | instid1(VALU_DEP_1)
	v_mul_lo_u32 v1, v1, s16
	v_mul_lo_u32 v6, v6, s18
	v_sub_nc_u32_e32 v1, v1, v6
	s_delay_alu instid0(VALU_DEP_1)
	v_cmp_lt_u32_e64 s11, s20, v1
	v_cmpx_ge_u32_e64 s20, v1
	s_cbranch_execz .LBB1689_35
; %bb.34:
	v_dual_add_nc_u32 v1, s22, v34 :: v_dual_add_nc_u32 v6, s38, v34
	s_delay_alu instid0(VALU_DEP_1) | instskip(NEXT) | instid1(VALU_DEP_2)
	v_mul_lo_u32 v1, v1, s21
	v_mul_lo_u32 v6, v6, s23
	s_delay_alu instid0(VALU_DEP_1) | instskip(NEXT) | instid1(VALU_DEP_1)
	v_sub_nc_u32_e32 v1, v1, v6
	v_cmp_lt_u32_e64 s13, s39, v1
	s_and_b32 s53, s13, exec_lo
.LBB1689_35:
	s_or_b32 exec_lo, exec_lo, s54
	v_cndmask_b32_e64 v6, 0, 1, s0
	v_cndmask_b32_e64 v8, 0, 1, s3
	v_cndmask_b32_e64 v1, 0, 1, vcc_lo
	v_cndmask_b32_e64 v7, 0, 1, s1
	v_cndmask_b32_e64 v10, 0, 1, s5
	v_lshlrev_b16 v6, 8, v6
	v_lshlrev_b16 v8, 8, v8
	v_cndmask_b32_e64 v12, 0, 1, s7
	v_cndmask_b32_e64 v28, 0, 1, s9
	v_cndmask_b32_e64 v31, 0, 1, s12
	v_or_b32_e32 v1, v1, v6
	v_or_b32_e32 v6, v7, v8
	v_cndmask_b32_e64 v8, 0, 1, s42
	v_cndmask_b32_e64 v9, 0, 1, s4
	;; [unrolled: 1-line block ×4, first 2 shown]
	v_lshlrev_b32_e32 v6, 16, v6
	v_and_b32_e32 v1, 0xffff, v1
	v_cndmask_b32_e64 v38, 0, 1, s46
	v_cndmask_b32_e64 v41, 0, 1, s44
	;; [unrolled: 1-line block ×4, first 2 shown]
	v_or_b32_e32 v36, v1, v6
	v_lshlrev_b16 v1, 8, v10
	v_lshlrev_b16 v6, 8, v12
	;; [unrolled: 1-line block ×5, first 2 shown]
	v_cndmask_b32_e64 v11, 0, 1, s6
	v_cndmask_b32_e64 v30, 0, 1, s52
	;; [unrolled: 1-line block ×6, first 2 shown]
	v_lshlrev_b16 v28, 8, v44
	v_or_b32_e32 v8, v42, v8
	v_or_b32_e32 v1, v9, v1
	;; [unrolled: 1-line block ×4, first 2 shown]
	v_lshlrev_b16 v12, 8, v41
	v_lshlrev_b16 v13, 8, v38
	v_cndmask_b32_e64 v32, 0, 1, s50
	v_cndmask_b32_e64 v37, 0, 1, s47
	v_lshlrev_b16 v29, 8, v30
	v_or_b32_e32 v7, v7, v12
	v_or_b32_e32 v12, v40, v13
	;; [unrolled: 1-line block ×4, first 2 shown]
	v_lshlrev_b16 v28, 8, v33
	v_dual_lshlrev_b32 v10, 16, v10 :: v_dual_lshlrev_b32 v8, 16, v8
	v_and_b32_e32 v1, 0xffff, v1
	s_delay_alu instid0(VALU_DEP_4) | instskip(NEXT) | instid1(VALU_DEP_4)
	v_and_b32_e32 v11, 0xffff, v11
	v_or_b32_e32 v13, v37, v28
	v_or_b32_e32 v28, v32, v29
	v_and_b32_e32 v7, 0xffff, v7
	v_dual_lshlrev_b32 v12, 16, v12 :: v_dual_lshlrev_b32 v6, 16, v6
	s_delay_alu instid0(VALU_DEP_4) | instskip(NEXT) | instid1(VALU_DEP_4)
	v_and_b32_e32 v13, 0xffff, v13
	v_lshlrev_b32_e32 v28, 16, v28
	v_and_b32_e32 v9, 0xffff, v9
	v_cndmask_b32_e64 v39, 0, 1, s51
	v_cndmask_b32_e64 v43, 0, 1, s53
	v_or_b32_e32 v38, v1, v6
	v_or_b32_e32 v42, v11, v8
	;; [unrolled: 1-line block ×5, first 2 shown]
	s_and_b32 vcc_lo, exec_lo, s48
	s_add_co_i32 s5, s33, 0xd00
	s_cbranch_vccnz .LBB1689_37
	s_branch .LBB1689_114
.LBB1689_36:
                                        ; implicit-def: $vgpr43
                                        ; implicit-def: $vgpr39
                                        ; implicit-def: $vgpr40
                                        ; implicit-def: $vgpr37
                                        ; implicit-def: $vgpr42
                                        ; implicit-def: $vgpr41
                                        ; implicit-def: $vgpr38
                                        ; implicit-def: $vgpr36
	s_add_co_i32 s5, s33, 0xd00
	s_cbranch_execz .LBB1689_114
.LBB1689_37:
	v_dual_mov_b32 v6, 0 :: v_dual_mov_b32 v1, 0
	s_mov_b32 s1, exec_lo
	v_cmpx_gt_u32_e64 s5, v15
	s_cbranch_execz .LBB1689_41
; %bb.38:
	v_dual_add_nc_u32 v1, s17, v26 :: v_dual_add_nc_u32 v6, s19, v26
	s_mov_b32 s4, 0
	s_mov_b32 s3, exec_lo
	s_delay_alu instid0(VALU_DEP_1) | instskip(NEXT) | instid1(VALU_DEP_2)
	v_mul_lo_u32 v1, v1, s16
	v_mul_lo_u32 v6, v6, s18
	s_delay_alu instid0(VALU_DEP_1) | instskip(NEXT) | instid1(VALU_DEP_1)
	v_sub_nc_u32_e32 v1, v1, v6
	v_cmp_lt_u32_e32 vcc_lo, s20, v1
	v_cmpx_ge_u32_e64 s20, v1
	s_cbranch_execz .LBB1689_40
; %bb.39:
	v_dual_add_nc_u32 v1, s22, v26 :: v_dual_add_nc_u32 v6, s38, v26
	s_delay_alu instid0(VALU_DEP_1) | instskip(NEXT) | instid1(VALU_DEP_2)
	v_mul_lo_u32 v1, v1, s21
	v_mul_lo_u32 v6, v6, s23
	s_delay_alu instid0(VALU_DEP_1) | instskip(NEXT) | instid1(VALU_DEP_1)
	v_sub_nc_u32_e32 v1, v1, v6
	v_cmp_lt_u32_e64 s0, s39, v1
	s_and_b32 s4, s0, exec_lo
.LBB1689_40:
	s_or_b32 exec_lo, exec_lo, s3
	v_cndmask_b32_e64 v6, 0, 1, s4
	v_cndmask_b32_e64 v1, 0, 1, vcc_lo
.LBB1689_41:
	s_or_b32 exec_lo, exec_lo, s1
	s_delay_alu instid0(VALU_DEP_2) | instskip(SKIP_1) | instid1(VALU_DEP_2)
	v_lshlrev_b16 v6, 8, v6
	v_lshlrev_b16 v13, 8, 0
                                        ; implicit-def: $vgpr9
                                        ; implicit-def: $vgpr11
                                        ; implicit-def: $vgpr8
                                        ; implicit-def: $vgpr12
	v_and_b32_e32 v10, 0xffff, v6
	v_add_nc_u32_e32 v7, 1, v15
                                        ; implicit-def: $vgpr6
	s_delay_alu instid0(VALU_DEP_2) | instskip(NEXT) | instid1(VALU_DEP_2)
	v_lshrrev_b32_e32 v28, 8, v10
	v_cmp_le_u32_e32 vcc_lo, s5, v7
                                        ; implicit-def: $vgpr7
	s_and_saveexec_b32 s0, vcc_lo
	s_delay_alu instid0(SALU_CYCLE_1)
	s_xor_b32 s0, exec_lo, s0
	s_cbranch_execz .LBB1689_43
; %bb.42:
	v_lshlrev_b16 v6, 8, v28
	v_bitop3_b16 v7, 0, v13, 0xff bitop3:0xec
	v_and_b32_e32 v12, 0xff, v1
                                        ; implicit-def: $vgpr1
                                        ; implicit-def: $vgpr13
                                        ; implicit-def: $vgpr28
	v_mov_b32_e32 v9, 0
	s_delay_alu instid0(VALU_DEP_4) | instskip(SKIP_3) | instid1(VALU_DEP_4)
	v_bitop3_b16 v10, v10, v6, 0xff bitop3:0xec
	v_mov_b32_e32 v6, 0
	v_and_b32_e32 v8, 0xffff, v7
	v_and_b32_e32 v7, 0xffff, v7
	;; [unrolled: 1-line block ×3, first 2 shown]
                                        ; implicit-def: $vgpr10
.LBB1689_43:
	s_and_not1_saveexec_b32 s1, s0
	s_cbranch_execz .LBB1689_47
; %bb.44:
	v_dual_add_nc_u32 v6, s17, v27 :: v_dual_add_nc_u32 v7, s19, v27
	s_mov_b32 s3, 0
	s_mov_b32 s4, exec_lo
	s_delay_alu instid0(VALU_DEP_1) | instskip(NEXT) | instid1(VALU_DEP_2)
	v_mul_lo_u32 v6, v6, s16
	v_mul_lo_u32 v7, v7, s18
	s_delay_alu instid0(VALU_DEP_1) | instskip(NEXT) | instid1(VALU_DEP_1)
	v_sub_nc_u32_e32 v6, v6, v7
	v_cmp_lt_u32_e32 vcc_lo, s20, v6
	v_cmpx_ge_u32_e64 s20, v6
	s_cbranch_execz .LBB1689_46
; %bb.45:
	v_dual_add_nc_u32 v6, s22, v27 :: v_dual_add_nc_u32 v7, s38, v27
	s_delay_alu instid0(VALU_DEP_1) | instskip(NEXT) | instid1(VALU_DEP_2)
	v_mul_lo_u32 v6, v6, s21
	v_mul_lo_u32 v7, v7, s23
	s_delay_alu instid0(VALU_DEP_1) | instskip(NEXT) | instid1(VALU_DEP_1)
	v_sub_nc_u32_e32 v6, v6, v7
	v_cmp_lt_u32_e64 s0, s39, v6
	s_and_b32 s3, s0, exec_lo
.LBB1689_46:
	s_or_b32 exec_lo, exec_lo, s4
	v_cndmask_b32_e64 v6, 0, 1, vcc_lo
	v_lshlrev_b16 v7, 8, v28
	v_cndmask_b32_e64 v11, 0, 1, s3
	v_mov_b32_e32 v9, 0
	s_delay_alu instid0(VALU_DEP_4) | instskip(NEXT) | instid1(VALU_DEP_4)
	v_lshlrev_b16 v6, 8, v6
	v_bitop3_b16 v7, v10, v7, 0xff bitop3:0xec
	v_bitop3_b16 v10, 0, v13, 0xff bitop3:0xec
	s_delay_alu instid0(VALU_DEP_3) | instskip(NEXT) | instid1(VALU_DEP_3)
	v_bitop3_b16 v1, v1, v6, 0xff bitop3:0xec
	v_and_b32_e32 v7, 0xffff, v7
	v_mov_b32_e32 v6, 0
	s_delay_alu instid0(VALU_DEP_4) | instskip(NEXT) | instid1(VALU_DEP_4)
	v_and_b32_e32 v8, 0xffff, v10
	v_and_b32_e32 v12, 0xffff, v1
	s_delay_alu instid0(VALU_DEP_4)
	v_lshl_or_b32 v11, v11, 16, v7
	v_and_b32_e32 v7, 0xffff, v10
.LBB1689_47:
	s_or_b32 exec_lo, exec_lo, s1
	s_delay_alu instid0(VALU_DEP_3) | instskip(NEXT) | instid1(VALU_DEP_1)
	v_dual_add_nc_u32 v1, 2, v15 :: v_dual_lshrrev_b32 v13, 8, v12
                                        ; implicit-def: $vgpr10
	v_cmp_le_u32_e32 vcc_lo, s5, v1
                                        ; implicit-def: $vgpr1
	s_and_saveexec_b32 s0, vcc_lo
	s_delay_alu instid0(SALU_CYCLE_1)
	s_xor_b32 s0, exec_lo, s0
	s_cbranch_execz .LBB1689_49
; %bb.48:
	v_lshlrev_b16 v1, 8, v13
	v_and_b32_e32 v13, 0xff0000, v11
	v_perm_b32 v8, v8, v8, 0x3060504
	s_delay_alu instid0(VALU_DEP_3) | instskip(NEXT) | instid1(VALU_DEP_1)
	v_bitop3_b16 v1, v12, v1, 0xff bitop3:0xec
	v_and_b32_e32 v1, 0xffff, v1
	s_delay_alu instid0(VALU_DEP_1)
	v_and_or_b32 v10, 0xff000000, v12, v1
	v_perm_b32 v1, v11, v13, 0x3020504
                                        ; implicit-def: $vgpr13
                                        ; implicit-def: $vgpr12
                                        ; implicit-def: $vgpr11
.LBB1689_49:
	s_and_not1_saveexec_b32 s1, s0
	s_cbranch_execz .LBB1689_53
; %bb.50:
	v_dual_add_nc_u32 v1, s17, v24 :: v_dual_add_nc_u32 v10, s19, v24
	s_mov_b32 s3, 0
	s_mov_b32 s4, exec_lo
	s_delay_alu instid0(VALU_DEP_1) | instskip(NEXT) | instid1(VALU_DEP_2)
	v_mul_lo_u32 v1, v1, s16
	v_mul_lo_u32 v10, v10, s18
	s_delay_alu instid0(VALU_DEP_1) | instskip(NEXT) | instid1(VALU_DEP_1)
	v_sub_nc_u32_e32 v1, v1, v10
	v_cmp_lt_u32_e32 vcc_lo, s20, v1
	v_cmpx_ge_u32_e64 s20, v1
	s_cbranch_execz .LBB1689_52
; %bb.51:
	v_dual_add_nc_u32 v1, s22, v24 :: v_dual_add_nc_u32 v10, s38, v24
	s_delay_alu instid0(VALU_DEP_1) | instskip(NEXT) | instid1(VALU_DEP_2)
	v_mul_lo_u32 v1, v1, s21
	v_mul_lo_u32 v10, v10, s23
	s_delay_alu instid0(VALU_DEP_1) | instskip(NEXT) | instid1(VALU_DEP_1)
	v_sub_nc_u32_e32 v1, v1, v10
	v_cmp_lt_u32_e64 s0, s39, v1
	s_and_b32 s3, s0, exec_lo
.LBB1689_52:
	s_or_b32 exec_lo, exec_lo, s4
	v_dual_lshrrev_b32 v1, 24, v12 :: v_dual_lshrrev_b32 v29, 8, v11
	v_cndmask_b32_e64 v10, 0, 1, s3
	v_cndmask_b32_e64 v28, 0, 1, vcc_lo
	v_lshlrev_b16 v13, 8, v13
	s_delay_alu instid0(VALU_DEP_4)
	v_lshlrev_b16 v1, 8, v1
	v_lshrrev_b32_e32 v30, 16, v11
	v_lshlrev_b16 v10, 8, v10
	v_lshlrev_b16 v29, 8, v29
	v_bitop3_b16 v12, v12, v13, 0xff bitop3:0xec
	v_or_b32_e32 v1, v28, v1
	s_delay_alu instid0(VALU_DEP_4) | instskip(NEXT) | instid1(VALU_DEP_4)
	v_bitop3_b16 v10, v30, v10, 0xff bitop3:0xec
	v_bitop3_b16 v11, v11, v29, 0xff bitop3:0xec
	s_delay_alu instid0(VALU_DEP_4) | instskip(NEXT) | instid1(VALU_DEP_3)
	v_and_b32_e32 v12, 0xffff, v12
	v_dual_lshlrev_b32 v1, 16, v1 :: v_dual_lshlrev_b32 v13, 16, v10
	s_delay_alu instid0(VALU_DEP_3) | instskip(NEXT) | instid1(VALU_DEP_2)
	v_and_b32_e32 v11, 0xffff, v11
	v_or_b32_e32 v10, v12, v1
	s_delay_alu instid0(VALU_DEP_2)
	v_or_b32_e32 v1, v11, v13
.LBB1689_53:
	s_or_b32 exec_lo, exec_lo, s1
	v_dual_add_nc_u32 v12, 3, v15 :: v_dual_lshrrev_b32 v13, 24, v9
	v_lshrrev_b32_e32 v11, 16, v9
                                        ; implicit-def: $vgpr36
	s_delay_alu instid0(VALU_DEP_2) | instskip(SKIP_2) | instid1(SALU_CYCLE_1)
	v_cmp_le_u32_e32 vcc_lo, s5, v12
	v_lshrrev_b32_e32 v12, 8, v9
                                        ; implicit-def: $vgpr9
	s_and_saveexec_b32 s0, vcc_lo
	s_xor_b32 s0, exec_lo, s0
	s_cbranch_execz .LBB1689_55
; %bb.54:
	v_lshlrev_b16 v9, 8, v13
	v_lshlrev_b16 v12, 8, v12
	v_perm_b32 v8, v8, v8, 0x3060504
	v_perm_b32 v7, v7, v7, 0x3060504
                                        ; implicit-def: $vgpr13
	s_delay_alu instid0(VALU_DEP_4) | instskip(SKIP_2) | instid1(VALU_DEP_3)
	v_bitop3_b16 v9, v11, v9, 0xff bitop3:0xec
	v_and_b32_e32 v11, 0xff0000, v10
	v_and_b32_e32 v12, 0xffff, v12
	v_lshlrev_b32_e32 v9, 16, v9
	s_delay_alu instid0(VALU_DEP_3) | instskip(NEXT) | instid1(VALU_DEP_2)
	v_perm_b32 v36, v10, v11, 0x3020504
                                        ; implicit-def: $vgpr10
                                        ; implicit-def: $vgpr11
	v_or_b32_e32 v9, v12, v9
                                        ; implicit-def: $vgpr12
.LBB1689_55:
	s_and_not1_saveexec_b32 s1, s0
	s_cbranch_execz .LBB1689_59
; %bb.56:
	v_dual_add_nc_u32 v9, s17, v25 :: v_dual_add_nc_u32 v28, s19, v25
	s_mov_b32 s3, 0
	s_mov_b32 s4, exec_lo
	s_delay_alu instid0(VALU_DEP_1) | instskip(NEXT) | instid1(VALU_DEP_2)
	v_mul_lo_u32 v9, v9, s16
	v_mul_lo_u32 v28, v28, s18
	s_delay_alu instid0(VALU_DEP_1) | instskip(NEXT) | instid1(VALU_DEP_1)
	v_sub_nc_u32_e32 v9, v9, v28
	v_cmp_lt_u32_e32 vcc_lo, s20, v9
	v_cmpx_ge_u32_e64 s20, v9
	s_cbranch_execz .LBB1689_58
; %bb.57:
	v_dual_add_nc_u32 v9, s22, v25 :: v_dual_add_nc_u32 v28, s38, v25
	s_delay_alu instid0(VALU_DEP_1) | instskip(NEXT) | instid1(VALU_DEP_2)
	v_mul_lo_u32 v9, v9, s21
	v_mul_lo_u32 v28, v28, s23
	s_delay_alu instid0(VALU_DEP_1) | instskip(NEXT) | instid1(VALU_DEP_1)
	v_sub_nc_u32_e32 v9, v9, v28
	v_cmp_lt_u32_e64 s0, s39, v9
	s_and_b32 s3, s0, exec_lo
.LBB1689_58:
	s_or_b32 exec_lo, exec_lo, s4
	v_cndmask_b32_e64 v9, 0, 1, vcc_lo
	v_dual_lshrrev_b32 v28, 8, v10 :: v_dual_lshrrev_b32 v30, 16, v10
	v_cndmask_b32_e64 v29, 0, 1, s3
	v_lshlrev_b16 v13, 8, v13
	s_delay_alu instid0(VALU_DEP_4) | instskip(NEXT) | instid1(VALU_DEP_4)
	v_lshlrev_b16 v9, 8, v9
	v_lshlrev_b16 v28, 8, v28
	;; [unrolled: 1-line block ×3, first 2 shown]
	s_delay_alu instid0(VALU_DEP_4) | instskip(NEXT) | instid1(VALU_DEP_4)
	v_bitop3_b16 v11, v11, v13, 0xff bitop3:0xec
	v_bitop3_b16 v9, v30, v9, 0xff bitop3:0xec
	s_delay_alu instid0(VALU_DEP_4) | instskip(NEXT) | instid1(VALU_DEP_3)
	v_bitop3_b16 v10, v10, v28, 0xff bitop3:0xec
	v_dual_lshlrev_b32 v11, 16, v11 :: v_dual_bitop2_b32 v12, v29, v12 bitop3:0x54
	s_delay_alu instid0(VALU_DEP_3) | instskip(NEXT) | instid1(VALU_DEP_3)
	v_lshlrev_b32_e32 v9, 16, v9
	v_and_b32_e32 v10, 0xffff, v10
	s_delay_alu instid0(VALU_DEP_3) | instskip(NEXT) | instid1(VALU_DEP_2)
	v_and_b32_e32 v12, 0xffff, v12
	v_or_b32_e32 v36, v10, v9
	s_delay_alu instid0(VALU_DEP_2)
	v_or_b32_e32 v9, v12, v11
.LBB1689_59:
	s_or_b32 exec_lo, exec_lo, s1
	v_dual_add_nc_u32 v10, 4, v15 :: v_dual_lshrrev_b32 v28, 8, v8
	v_dual_lshrrev_b32 v11, 16, v8 :: v_dual_lshrrev_b32 v29, 24, v8
	s_delay_alu instid0(VALU_DEP_3) | instskip(NEXT) | instid1(VALU_DEP_3)
	v_dual_lshrrev_b32 v13, 24, v9 :: v_dual_lshrrev_b32 v12, 16, v9
	v_cmp_le_u32_e32 vcc_lo, s5, v10
                                        ; implicit-def: $vgpr8
                                        ; implicit-def: $vgpr10
	s_and_saveexec_b32 s0, vcc_lo
	s_delay_alu instid0(SALU_CYCLE_1)
	s_xor_b32 s0, exec_lo, s0
	s_cbranch_execz .LBB1689_61
; %bb.60:
	v_lshlrev_b16 v8, 8, v29
	v_lshlrev_b16 v10, 8, v28
	;; [unrolled: 1-line block ×3, first 2 shown]
	v_perm_b32 v7, v7, v7, 0x3060504
                                        ; implicit-def: $vgpr28
                                        ; implicit-def: $vgpr29
	s_delay_alu instid0(VALU_DEP_4) | instskip(NEXT) | instid1(VALU_DEP_4)
	v_bitop3_b16 v8, v11, v8, 0xff bitop3:0xec
	v_and_b32_e32 v10, 0xffff, v10
	s_delay_alu instid0(VALU_DEP_4) | instskip(NEXT) | instid1(VALU_DEP_3)
	v_bitop3_b16 v11, v12, v13, 0xff bitop3:0xec
                                        ; implicit-def: $vgpr13
	v_lshlrev_b32_e32 v12, 16, v8
	s_delay_alu instid0(VALU_DEP_2) | instskip(NEXT) | instid1(VALU_DEP_2)
	v_perm_b32 v8, v11, v9, 0x5040c00
                                        ; implicit-def: $vgpr9
                                        ; implicit-def: $vgpr11
	v_or_b32_e32 v10, v10, v12
                                        ; implicit-def: $vgpr12
.LBB1689_61:
	s_and_not1_saveexec_b32 s1, s0
	s_cbranch_execz .LBB1689_65
; %bb.62:
	v_dual_add_nc_u32 v8, s17, v22 :: v_dual_add_nc_u32 v10, s19, v22
	s_mov_b32 s3, 0
	s_mov_b32 s4, exec_lo
	s_delay_alu instid0(VALU_DEP_1) | instskip(NEXT) | instid1(VALU_DEP_2)
	v_mul_lo_u32 v8, v8, s16
	v_mul_lo_u32 v10, v10, s18
	s_delay_alu instid0(VALU_DEP_1) | instskip(NEXT) | instid1(VALU_DEP_1)
	v_sub_nc_u32_e32 v8, v8, v10
	v_cmp_lt_u32_e32 vcc_lo, s20, v8
	v_cmpx_ge_u32_e64 s20, v8
	s_cbranch_execz .LBB1689_64
; %bb.63:
	v_dual_add_nc_u32 v8, s22, v22 :: v_dual_add_nc_u32 v10, s38, v22
	s_delay_alu instid0(VALU_DEP_1) | instskip(NEXT) | instid1(VALU_DEP_2)
	v_mul_lo_u32 v8, v8, s21
	v_mul_lo_u32 v10, v10, s23
	s_delay_alu instid0(VALU_DEP_1) | instskip(NEXT) | instid1(VALU_DEP_1)
	v_sub_nc_u32_e32 v8, v8, v10
	v_cmp_lt_u32_e64 s0, s39, v8
	s_and_b32 s3, s0, exec_lo
.LBB1689_64:
	s_or_b32 exec_lo, exec_lo, s4
	v_cndmask_b32_e64 v8, 0, 1, s3
	v_cndmask_b32_e64 v10, 0, 1, vcc_lo
	v_lshlrev_b16 v29, 8, v29
	v_lshlrev_b16 v28, 8, v28
	;; [unrolled: 1-line block ×4, first 2 shown]
	s_delay_alu instid0(VALU_DEP_4) | instskip(NEXT) | instid1(VALU_DEP_4)
	v_bitop3_b16 v11, v11, v29, 0xff bitop3:0xec
	v_or_b32_e32 v10, v10, v28
	s_delay_alu instid0(VALU_DEP_4) | instskip(NEXT) | instid1(VALU_DEP_4)
	v_bitop3_b16 v12, v12, v13, 0xff bitop3:0xec
	v_bitop3_b16 v8, v9, v8, 0xff bitop3:0xec
	s_delay_alu instid0(VALU_DEP_4) | instskip(NEXT) | instid1(VALU_DEP_4)
	v_lshlrev_b32_e32 v9, 16, v11
	v_and_b32_e32 v10, 0xffff, v10
	s_delay_alu instid0(VALU_DEP_4) | instskip(NEXT) | instid1(VALU_DEP_4)
	v_lshlrev_b32_e32 v11, 16, v12
	v_and_b32_e32 v8, 0xffff, v8
	s_delay_alu instid0(VALU_DEP_3) | instskip(NEXT) | instid1(VALU_DEP_2)
	v_or_b32_e32 v10, v10, v9
	v_or_b32_e32 v8, v8, v11
.LBB1689_65:
	s_or_b32 exec_lo, exec_lo, s1
	s_delay_alu instid0(VALU_DEP_1) | instskip(NEXT) | instid1(VALU_DEP_2)
	v_dual_add_nc_u32 v9, 5, v15 :: v_dual_lshrrev_b32 v12, 16, v10
	v_dual_lshrrev_b32 v13, 24, v10 :: v_dual_lshrrev_b32 v28, 8, v8
                                        ; implicit-def: $vgpr11
	s_delay_alu instid0(VALU_DEP_2) | instskip(SKIP_1) | instid1(SALU_CYCLE_1)
	v_cmp_le_u32_e32 vcc_lo, s5, v9
                                        ; implicit-def: $vgpr9
	s_and_saveexec_b32 s0, vcc_lo
	s_xor_b32 s0, exec_lo, s0
	s_cbranch_execz .LBB1689_67
; %bb.66:
	v_lshlrev_b16 v9, 8, v28
	v_lshlrev_b16 v11, 8, v13
	v_perm_b32 v7, v7, v7, 0x3060504
                                        ; implicit-def: $vgpr13
                                        ; implicit-def: $vgpr28
	s_delay_alu instid0(VALU_DEP_3) | instskip(NEXT) | instid1(VALU_DEP_3)
	v_bitop3_b16 v9, v8, v9, 0xff bitop3:0xec
	v_bitop3_b16 v11, v12, v11, 0xff bitop3:0xec
                                        ; implicit-def: $vgpr12
	s_delay_alu instid0(VALU_DEP_2) | instskip(NEXT) | instid1(VALU_DEP_2)
	v_and_b32_e32 v9, 0xffff, v9
	v_perm_b32 v11, v11, v10, 0x5040c00
                                        ; implicit-def: $vgpr10
	s_delay_alu instid0(VALU_DEP_2)
	v_and_or_b32 v9, 0xff000000, v8, v9
                                        ; implicit-def: $vgpr8
.LBB1689_67:
	s_and_not1_saveexec_b32 s1, s0
	s_cbranch_execz .LBB1689_71
; %bb.68:
	v_dual_add_nc_u32 v9, s17, v23 :: v_dual_add_nc_u32 v11, s19, v23
	s_mov_b32 s3, 0
	s_mov_b32 s4, exec_lo
	s_delay_alu instid0(VALU_DEP_1) | instskip(NEXT) | instid1(VALU_DEP_2)
	v_mul_lo_u32 v9, v9, s16
	v_mul_lo_u32 v11, v11, s18
	s_delay_alu instid0(VALU_DEP_1) | instskip(NEXT) | instid1(VALU_DEP_1)
	v_sub_nc_u32_e32 v9, v9, v11
	v_cmp_lt_u32_e32 vcc_lo, s20, v9
	v_cmpx_ge_u32_e64 s20, v9
	s_cbranch_execz .LBB1689_70
; %bb.69:
	v_dual_add_nc_u32 v9, s22, v23 :: v_dual_add_nc_u32 v11, s38, v23
	s_delay_alu instid0(VALU_DEP_1) | instskip(NEXT) | instid1(VALU_DEP_2)
	v_mul_lo_u32 v9, v9, s21
	v_mul_lo_u32 v11, v11, s23
	s_delay_alu instid0(VALU_DEP_1) | instskip(NEXT) | instid1(VALU_DEP_1)
	v_sub_nc_u32_e32 v9, v9, v11
	v_cmp_lt_u32_e64 s0, s39, v9
	s_and_b32 s3, s0, exec_lo
.LBB1689_70:
	s_or_b32 exec_lo, exec_lo, s4
	v_cndmask_b32_e64 v9, 0, 1, vcc_lo
	v_lshrrev_b32_e32 v11, 24, v8
	v_cndmask_b32_e64 v29, 0, 1, s3
	v_lshlrev_b16 v13, 8, v13
	v_lshlrev_b16 v28, 8, v28
	v_lshlrev_b16 v9, 8, v9
	v_lshlrev_b16 v11, 8, v11
	s_delay_alu instid0(VALU_DEP_4) | instskip(NEXT) | instid1(VALU_DEP_4)
	v_bitop3_b16 v12, v12, v13, 0xff bitop3:0xec
	v_bitop3_b16 v8, v8, v28, 0xff bitop3:0xec
	s_delay_alu instid0(VALU_DEP_4) | instskip(NEXT) | instid1(VALU_DEP_3)
	v_bitop3_b16 v9, v10, v9, 0xff bitop3:0xec
	v_dual_lshlrev_b32 v11, 16, v12 :: v_dual_bitop2_b32 v10, v29, v11 bitop3:0x54
	s_delay_alu instid0(VALU_DEP_3) | instskip(NEXT) | instid1(VALU_DEP_3)
	v_and_b32_e32 v8, 0xffff, v8
	v_and_b32_e32 v9, 0xffff, v9
	s_delay_alu instid0(VALU_DEP_1) | instskip(NEXT) | instid1(VALU_DEP_1)
	v_dual_lshlrev_b32 v10, 16, v10 :: v_dual_bitop2_b32 v11, v9, v11 bitop3:0x54
	v_or_b32_e32 v9, v8, v10
.LBB1689_71:
	s_or_b32 exec_lo, exec_lo, s1
	v_add_nc_u32_e32 v8, 6, v15
	s_delay_alu instid0(VALU_DEP_3) | instskip(NEXT) | instid1(VALU_DEP_2)
	v_lshrrev_b32_e32 v10, 8, v11
                                        ; implicit-def: $vgpr37
	v_cmp_le_u32_e32 vcc_lo, s5, v8
                                        ; implicit-def: $vgpr8
	s_and_saveexec_b32 s0, vcc_lo
	s_delay_alu instid0(SALU_CYCLE_1)
	s_xor_b32 s0, exec_lo, s0
	s_cbranch_execz .LBB1689_73
; %bb.72:
	v_lshlrev_b16 v8, 8, v10
	v_and_b32_e32 v10, 0xff0000, v9
	v_perm_b32 v7, v7, v7, 0x3060504
	s_delay_alu instid0(VALU_DEP_3) | instskip(NEXT) | instid1(VALU_DEP_3)
	v_bitop3_b16 v8, v11, v8, 0xff bitop3:0xec
	v_perm_b32 v37, v9, v10, 0x3020504
                                        ; implicit-def: $vgpr10
                                        ; implicit-def: $vgpr9
	s_delay_alu instid0(VALU_DEP_2) | instskip(NEXT) | instid1(VALU_DEP_1)
	v_and_b32_e32 v8, 0xffff, v8
	v_and_or_b32 v8, 0xff000000, v11, v8
                                        ; implicit-def: $vgpr11
.LBB1689_73:
	s_and_not1_saveexec_b32 s1, s0
	s_cbranch_execz .LBB1689_77
; %bb.74:
	v_dual_add_nc_u32 v8, s17, v20 :: v_dual_add_nc_u32 v12, s19, v20
	s_mov_b32 s3, 0
	s_mov_b32 s4, exec_lo
	s_delay_alu instid0(VALU_DEP_1) | instskip(NEXT) | instid1(VALU_DEP_2)
	v_mul_lo_u32 v8, v8, s16
	v_mul_lo_u32 v12, v12, s18
	s_delay_alu instid0(VALU_DEP_1) | instskip(NEXT) | instid1(VALU_DEP_1)
	v_sub_nc_u32_e32 v8, v8, v12
	v_cmp_lt_u32_e32 vcc_lo, s20, v8
	v_cmpx_ge_u32_e64 s20, v8
	s_cbranch_execz .LBB1689_76
; %bb.75:
	v_dual_add_nc_u32 v8, s22, v20 :: v_dual_add_nc_u32 v12, s38, v20
	s_delay_alu instid0(VALU_DEP_1) | instskip(NEXT) | instid1(VALU_DEP_2)
	v_mul_lo_u32 v8, v8, s21
	v_mul_lo_u32 v12, v12, s23
	s_delay_alu instid0(VALU_DEP_1) | instskip(NEXT) | instid1(VALU_DEP_1)
	v_sub_nc_u32_e32 v8, v8, v12
	v_cmp_lt_u32_e64 s0, s39, v8
	s_and_b32 s3, s0, exec_lo
.LBB1689_76:
	s_or_b32 exec_lo, exec_lo, s4
	v_dual_lshrrev_b32 v8, 24, v11 :: v_dual_lshrrev_b32 v28, 8, v9
	v_cndmask_b32_e64 v12, 0, 1, s3
	v_cndmask_b32_e64 v13, 0, 1, vcc_lo
	v_lshlrev_b16 v10, 8, v10
	s_delay_alu instid0(VALU_DEP_4)
	v_lshlrev_b16 v8, 8, v8
	v_lshrrev_b32_e32 v29, 16, v9
	v_lshlrev_b16 v12, 8, v12
	v_lshlrev_b16 v28, 8, v28
	v_bitop3_b16 v10, v11, v10, 0xff bitop3:0xec
	v_or_b32_e32 v8, v13, v8
	s_delay_alu instid0(VALU_DEP_4) | instskip(NEXT) | instid1(VALU_DEP_4)
	v_bitop3_b16 v11, v29, v12, 0xff bitop3:0xec
	v_bitop3_b16 v9, v9, v28, 0xff bitop3:0xec
	s_delay_alu instid0(VALU_DEP_4) | instskip(NEXT) | instid1(VALU_DEP_3)
	v_and_b32_e32 v10, 0xffff, v10
	v_dual_lshlrev_b32 v8, 16, v8 :: v_dual_lshlrev_b32 v11, 16, v11
	s_delay_alu instid0(VALU_DEP_3) | instskip(NEXT) | instid1(VALU_DEP_2)
	v_and_b32_e32 v9, 0xffff, v9
	v_or_b32_e32 v8, v10, v8
	s_delay_alu instid0(VALU_DEP_2)
	v_or_b32_e32 v37, v9, v11
.LBB1689_77:
	s_or_b32 exec_lo, exec_lo, s1
	v_add_nc_u32_e32 v11, 7, v15
	v_dual_lshrrev_b32 v9, 8, v7 :: v_dual_lshrrev_b32 v10, 16, v7
                                        ; implicit-def: $vgpr38
	s_delay_alu instid0(VALU_DEP_2) | instskip(SKIP_2) | instid1(SALU_CYCLE_1)
	v_cmp_le_u32_e32 vcc_lo, s5, v11
	v_lshrrev_b32_e32 v11, 24, v7
                                        ; implicit-def: $vgpr7
	s_and_saveexec_b32 s0, vcc_lo
	s_xor_b32 s0, exec_lo, s0
	s_cbranch_execz .LBB1689_79
; %bb.78:
	s_delay_alu instid0(VALU_DEP_1) | instskip(SKIP_1) | instid1(VALU_DEP_2)
	v_lshlrev_b16 v7, 8, v11
	v_lshlrev_b16 v9, 8, v9
                                        ; implicit-def: $vgpr11
	v_bitop3_b16 v7, v10, v7, 0xff bitop3:0xec
	v_and_b32_e32 v10, 0xff0000, v8
	s_delay_alu instid0(VALU_DEP_3) | instskip(NEXT) | instid1(VALU_DEP_3)
	v_and_b32_e32 v9, 0xffff, v9
	v_lshlrev_b32_e32 v7, 16, v7
	s_delay_alu instid0(VALU_DEP_3) | instskip(NEXT) | instid1(VALU_DEP_2)
	v_perm_b32 v38, v8, v10, 0x3020504
                                        ; implicit-def: $vgpr8
                                        ; implicit-def: $vgpr10
	v_or_b32_e32 v7, v9, v7
                                        ; implicit-def: $vgpr9
.LBB1689_79:
	s_and_not1_saveexec_b32 s1, s0
	s_cbranch_execz .LBB1689_83
; %bb.80:
	v_dual_add_nc_u32 v7, s17, v21 :: v_dual_add_nc_u32 v12, s19, v21
	s_mov_b32 s3, 0
	s_mov_b32 s4, exec_lo
	s_delay_alu instid0(VALU_DEP_1) | instskip(NEXT) | instid1(VALU_DEP_2)
	v_mul_lo_u32 v7, v7, s16
	v_mul_lo_u32 v12, v12, s18
	s_delay_alu instid0(VALU_DEP_1) | instskip(NEXT) | instid1(VALU_DEP_1)
	v_sub_nc_u32_e32 v7, v7, v12
	v_cmp_lt_u32_e32 vcc_lo, s20, v7
	v_cmpx_ge_u32_e64 s20, v7
	s_cbranch_execz .LBB1689_82
; %bb.81:
	v_dual_add_nc_u32 v7, s22, v21 :: v_dual_add_nc_u32 v12, s38, v21
	s_delay_alu instid0(VALU_DEP_1) | instskip(NEXT) | instid1(VALU_DEP_2)
	v_mul_lo_u32 v7, v7, s21
	v_mul_lo_u32 v12, v12, s23
	s_delay_alu instid0(VALU_DEP_1) | instskip(NEXT) | instid1(VALU_DEP_1)
	v_sub_nc_u32_e32 v7, v7, v12
	v_cmp_lt_u32_e64 s0, s39, v7
	s_and_b32 s3, s0, exec_lo
.LBB1689_82:
	s_or_b32 exec_lo, exec_lo, s4
	v_cndmask_b32_e64 v7, 0, 1, vcc_lo
	v_dual_lshrrev_b32 v12, 8, v8 :: v_dual_lshrrev_b32 v28, 16, v8
	v_cndmask_b32_e64 v13, 0, 1, s3
	v_lshlrev_b16 v11, 8, v11
	s_delay_alu instid0(VALU_DEP_4) | instskip(NEXT) | instid1(VALU_DEP_4)
	v_lshlrev_b16 v7, 8, v7
	v_lshlrev_b16 v12, 8, v12
	;; [unrolled: 1-line block ×3, first 2 shown]
	s_delay_alu instid0(VALU_DEP_4) | instskip(NEXT) | instid1(VALU_DEP_4)
	v_bitop3_b16 v10, v10, v11, 0xff bitop3:0xec
	v_bitop3_b16 v7, v28, v7, 0xff bitop3:0xec
	s_delay_alu instid0(VALU_DEP_4) | instskip(NEXT) | instid1(VALU_DEP_3)
	v_bitop3_b16 v8, v8, v12, 0xff bitop3:0xec
	v_dual_lshlrev_b32 v10, 16, v10 :: v_dual_bitop2_b32 v9, v13, v9 bitop3:0x54
	s_delay_alu instid0(VALU_DEP_3) | instskip(NEXT) | instid1(VALU_DEP_3)
	v_lshlrev_b32_e32 v7, 16, v7
	v_and_b32_e32 v8, 0xffff, v8
	s_delay_alu instid0(VALU_DEP_3) | instskip(NEXT) | instid1(VALU_DEP_2)
	v_and_b32_e32 v9, 0xffff, v9
	v_or_b32_e32 v38, v8, v7
	s_delay_alu instid0(VALU_DEP_2)
	v_or_b32_e32 v7, v9, v10
.LBB1689_83:
	s_or_b32 exec_lo, exec_lo, s1
	v_dual_add_nc_u32 v8, 8, v15 :: v_dual_lshrrev_b32 v13, 24, v6
	s_delay_alu instid0(VALU_DEP_2) | instskip(SKIP_1) | instid1(VALU_DEP_3)
	v_dual_lshrrev_b32 v9, 16, v7 :: v_dual_lshrrev_b32 v10, 24, v7
	v_dual_lshrrev_b32 v11, 16, v6 :: v_dual_lshrrev_b32 v12, 8, v6
	v_cmp_le_u32_e32 vcc_lo, s5, v8
                                        ; implicit-def: $vgpr6
                                        ; implicit-def: $vgpr8
	s_and_saveexec_b32 s0, vcc_lo
	s_delay_alu instid0(SALU_CYCLE_1)
	s_xor_b32 s0, exec_lo, s0
	s_cbranch_execz .LBB1689_85
; %bb.84:
	v_lshlrev_b16 v6, 8, v13
	v_lshlrev_b16 v8, 8, v12
	;; [unrolled: 1-line block ×3, first 2 shown]
	v_perm_b32 v1, v1, v1, 0x3060504
                                        ; implicit-def: $vgpr13
                                        ; implicit-def: $vgpr12
	s_delay_alu instid0(VALU_DEP_4) | instskip(NEXT) | instid1(VALU_DEP_4)
	v_bitop3_b16 v6, v11, v6, 0xff bitop3:0xec
	v_and_b32_e32 v8, 0xffff, v8
	s_delay_alu instid0(VALU_DEP_4) | instskip(NEXT) | instid1(VALU_DEP_3)
	v_bitop3_b16 v9, v9, v10, 0xff bitop3:0xec
                                        ; implicit-def: $vgpr10
                                        ; implicit-def: $vgpr11
	v_lshlrev_b32_e32 v6, 16, v6
	s_delay_alu instid0(VALU_DEP_1) | instskip(NEXT) | instid1(VALU_DEP_3)
	v_or_b32_e32 v8, v8, v6
	v_perm_b32 v6, v9, v7, 0x5040c00
                                        ; implicit-def: $vgpr7
                                        ; implicit-def: $vgpr9
.LBB1689_85:
	s_and_not1_saveexec_b32 s1, s0
	s_cbranch_execz .LBB1689_89
; %bb.86:
	v_dual_add_nc_u32 v6, s17, v18 :: v_dual_add_nc_u32 v8, s19, v18
	s_mov_b32 s3, 0
	s_mov_b32 s4, exec_lo
	s_delay_alu instid0(VALU_DEP_1) | instskip(NEXT) | instid1(VALU_DEP_2)
	v_mul_lo_u32 v6, v6, s16
	v_mul_lo_u32 v8, v8, s18
	s_delay_alu instid0(VALU_DEP_1) | instskip(NEXT) | instid1(VALU_DEP_1)
	v_sub_nc_u32_e32 v6, v6, v8
	v_cmp_lt_u32_e32 vcc_lo, s20, v6
	v_cmpx_ge_u32_e64 s20, v6
	s_cbranch_execz .LBB1689_88
; %bb.87:
	v_dual_add_nc_u32 v6, s22, v18 :: v_dual_add_nc_u32 v8, s38, v18
	s_delay_alu instid0(VALU_DEP_1) | instskip(NEXT) | instid1(VALU_DEP_2)
	v_mul_lo_u32 v6, v6, s21
	v_mul_lo_u32 v8, v8, s23
	s_delay_alu instid0(VALU_DEP_1) | instskip(NEXT) | instid1(VALU_DEP_1)
	v_sub_nc_u32_e32 v6, v6, v8
	v_cmp_lt_u32_e64 s0, s39, v6
	s_and_b32 s3, s0, exec_lo
.LBB1689_88:
	s_or_b32 exec_lo, exec_lo, s4
	v_cndmask_b32_e64 v6, 0, 1, s3
	v_cndmask_b32_e64 v8, 0, 1, vcc_lo
	v_lshlrev_b16 v13, 8, v13
	v_lshlrev_b16 v12, 8, v12
	v_lshlrev_b16 v10, 8, v10
	v_lshlrev_b16 v6, 8, v6
	s_delay_alu instid0(VALU_DEP_4) | instskip(NEXT) | instid1(VALU_DEP_4)
	v_bitop3_b16 v11, v11, v13, 0xff bitop3:0xec
	v_or_b32_e32 v8, v8, v12
	s_delay_alu instid0(VALU_DEP_4) | instskip(NEXT) | instid1(VALU_DEP_4)
	v_bitop3_b16 v9, v9, v10, 0xff bitop3:0xec
	v_bitop3_b16 v6, v7, v6, 0xff bitop3:0xec
	s_delay_alu instid0(VALU_DEP_4) | instskip(NEXT) | instid1(VALU_DEP_4)
	v_lshlrev_b32_e32 v7, 16, v11
	v_and_b32_e32 v8, 0xffff, v8
	s_delay_alu instid0(VALU_DEP_4) | instskip(NEXT) | instid1(VALU_DEP_4)
	v_lshlrev_b32_e32 v9, 16, v9
	v_and_b32_e32 v6, 0xffff, v6
	s_delay_alu instid0(VALU_DEP_3) | instskip(NEXT) | instid1(VALU_DEP_2)
	v_or_b32_e32 v8, v8, v7
	v_or_b32_e32 v6, v6, v9
.LBB1689_89:
	s_or_b32 exec_lo, exec_lo, s1
	s_delay_alu instid0(VALU_DEP_1) | instskip(NEXT) | instid1(VALU_DEP_3)
	v_dual_add_nc_u32 v7, 9, v15 :: v_dual_lshrrev_b32 v11, 8, v6
	v_dual_lshrrev_b32 v12, 24, v8 :: v_dual_lshrrev_b32 v10, 16, v8
                                        ; implicit-def: $vgpr9
	s_delay_alu instid0(VALU_DEP_2) | instskip(SKIP_1) | instid1(SALU_CYCLE_1)
	v_cmp_le_u32_e32 vcc_lo, s5, v7
                                        ; implicit-def: $vgpr7
	s_and_saveexec_b32 s0, vcc_lo
	s_xor_b32 s0, exec_lo, s0
	s_cbranch_execz .LBB1689_91
; %bb.90:
	v_lshlrev_b16 v7, 8, v11
	v_lshlrev_b16 v9, 8, v12
	v_perm_b32 v1, v1, v1, 0x3060504
                                        ; implicit-def: $vgpr11
                                        ; implicit-def: $vgpr12
	s_delay_alu instid0(VALU_DEP_3) | instskip(NEXT) | instid1(VALU_DEP_3)
	v_bitop3_b16 v7, v6, v7, 0xff bitop3:0xec
	v_bitop3_b16 v9, v10, v9, 0xff bitop3:0xec
                                        ; implicit-def: $vgpr10
	s_delay_alu instid0(VALU_DEP_2) | instskip(NEXT) | instid1(VALU_DEP_2)
	v_and_b32_e32 v7, 0xffff, v7
	v_perm_b32 v9, v9, v8, 0x5040c00
                                        ; implicit-def: $vgpr8
	s_delay_alu instid0(VALU_DEP_2)
	v_and_or_b32 v7, 0xff000000, v6, v7
                                        ; implicit-def: $vgpr6
.LBB1689_91:
	s_and_not1_saveexec_b32 s1, s0
	s_cbranch_execz .LBB1689_95
; %bb.92:
	v_dual_add_nc_u32 v7, s17, v19 :: v_dual_add_nc_u32 v9, s19, v19
	s_mov_b32 s3, 0
	s_mov_b32 s4, exec_lo
	s_delay_alu instid0(VALU_DEP_1) | instskip(NEXT) | instid1(VALU_DEP_2)
	v_mul_lo_u32 v7, v7, s16
	v_mul_lo_u32 v9, v9, s18
	s_delay_alu instid0(VALU_DEP_1) | instskip(NEXT) | instid1(VALU_DEP_1)
	v_sub_nc_u32_e32 v7, v7, v9
	v_cmp_lt_u32_e32 vcc_lo, s20, v7
	v_cmpx_ge_u32_e64 s20, v7
	s_cbranch_execz .LBB1689_94
; %bb.93:
	v_dual_add_nc_u32 v7, s22, v19 :: v_dual_add_nc_u32 v9, s38, v19
	s_delay_alu instid0(VALU_DEP_1) | instskip(NEXT) | instid1(VALU_DEP_2)
	v_mul_lo_u32 v7, v7, s21
	v_mul_lo_u32 v9, v9, s23
	s_delay_alu instid0(VALU_DEP_1) | instskip(NEXT) | instid1(VALU_DEP_1)
	v_sub_nc_u32_e32 v7, v7, v9
	v_cmp_lt_u32_e64 s0, s39, v7
	s_and_b32 s3, s0, exec_lo
.LBB1689_94:
	s_or_b32 exec_lo, exec_lo, s4
	v_cndmask_b32_e64 v7, 0, 1, vcc_lo
	v_lshrrev_b32_e32 v9, 24, v6
	v_cndmask_b32_e64 v13, 0, 1, s3
	v_lshlrev_b16 v12, 8, v12
	v_lshlrev_b16 v11, 8, v11
	;; [unrolled: 1-line block ×4, first 2 shown]
	s_delay_alu instid0(VALU_DEP_4) | instskip(NEXT) | instid1(VALU_DEP_4)
	v_bitop3_b16 v10, v10, v12, 0xff bitop3:0xec
	v_bitop3_b16 v6, v6, v11, 0xff bitop3:0xec
	s_delay_alu instid0(VALU_DEP_4) | instskip(NEXT) | instid1(VALU_DEP_3)
	v_bitop3_b16 v7, v8, v7, 0xff bitop3:0xec
	v_dual_lshlrev_b32 v9, 16, v10 :: v_dual_bitop2_b32 v8, v13, v9 bitop3:0x54
	s_delay_alu instid0(VALU_DEP_3) | instskip(NEXT) | instid1(VALU_DEP_3)
	v_and_b32_e32 v6, 0xffff, v6
	v_and_b32_e32 v7, 0xffff, v7
	s_delay_alu instid0(VALU_DEP_1) | instskip(NEXT) | instid1(VALU_DEP_1)
	v_dual_lshlrev_b32 v8, 16, v8 :: v_dual_bitop2_b32 v9, v7, v9 bitop3:0x54
	v_or_b32_e32 v7, v6, v8
.LBB1689_95:
	s_or_b32 exec_lo, exec_lo, s1
	s_delay_alu instid0(VALU_DEP_2) | instskip(NEXT) | instid1(VALU_DEP_1)
	v_dual_add_nc_u32 v6, 10, v15 :: v_dual_lshrrev_b32 v8, 8, v9
                                        ; implicit-def: $vgpr40
	v_cmp_le_u32_e32 vcc_lo, s5, v6
                                        ; implicit-def: $vgpr6
	s_and_saveexec_b32 s0, vcc_lo
	s_delay_alu instid0(SALU_CYCLE_1)
	s_xor_b32 s0, exec_lo, s0
	s_cbranch_execz .LBB1689_97
; %bb.96:
	v_lshlrev_b16 v6, 8, v8
	v_and_b32_e32 v8, 0xff0000, v7
	v_perm_b32 v1, v1, v1, 0x3060504
	s_delay_alu instid0(VALU_DEP_3) | instskip(NEXT) | instid1(VALU_DEP_3)
	v_bitop3_b16 v6, v9, v6, 0xff bitop3:0xec
	v_perm_b32 v40, v7, v8, 0x3020504
                                        ; implicit-def: $vgpr8
                                        ; implicit-def: $vgpr7
	s_delay_alu instid0(VALU_DEP_2) | instskip(NEXT) | instid1(VALU_DEP_1)
	v_and_b32_e32 v6, 0xffff, v6
	v_and_or_b32 v6, 0xff000000, v9, v6
                                        ; implicit-def: $vgpr9
.LBB1689_97:
	s_and_not1_saveexec_b32 s1, s0
	s_cbranch_execz .LBB1689_101
; %bb.98:
	v_dual_add_nc_u32 v6, s17, v16 :: v_dual_add_nc_u32 v10, s19, v16
	s_mov_b32 s3, 0
	s_mov_b32 s4, exec_lo
	s_delay_alu instid0(VALU_DEP_1) | instskip(NEXT) | instid1(VALU_DEP_2)
	v_mul_lo_u32 v6, v6, s16
	v_mul_lo_u32 v10, v10, s18
	s_delay_alu instid0(VALU_DEP_1) | instskip(NEXT) | instid1(VALU_DEP_1)
	v_sub_nc_u32_e32 v6, v6, v10
	v_cmp_lt_u32_e32 vcc_lo, s20, v6
	v_cmpx_ge_u32_e64 s20, v6
	s_cbranch_execz .LBB1689_100
; %bb.99:
	v_dual_add_nc_u32 v6, s22, v16 :: v_dual_add_nc_u32 v10, s38, v16
	s_delay_alu instid0(VALU_DEP_1) | instskip(NEXT) | instid1(VALU_DEP_2)
	v_mul_lo_u32 v6, v6, s21
	v_mul_lo_u32 v10, v10, s23
	s_delay_alu instid0(VALU_DEP_1) | instskip(NEXT) | instid1(VALU_DEP_1)
	v_sub_nc_u32_e32 v6, v6, v10
	v_cmp_lt_u32_e64 s0, s39, v6
	s_and_b32 s3, s0, exec_lo
.LBB1689_100:
	s_or_b32 exec_lo, exec_lo, s4
	v_dual_lshrrev_b32 v6, 24, v9 :: v_dual_lshrrev_b32 v12, 8, v7
	v_cndmask_b32_e64 v10, 0, 1, s3
	v_cndmask_b32_e64 v11, 0, 1, vcc_lo
	v_lshlrev_b16 v8, 8, v8
	s_delay_alu instid0(VALU_DEP_4)
	v_lshlrev_b16 v6, 8, v6
	v_lshrrev_b32_e32 v13, 16, v7
	v_lshlrev_b16 v10, 8, v10
	v_lshlrev_b16 v12, 8, v12
	v_bitop3_b16 v8, v9, v8, 0xff bitop3:0xec
	v_or_b32_e32 v6, v11, v6
	s_delay_alu instid0(VALU_DEP_4) | instskip(NEXT) | instid1(VALU_DEP_4)
	v_bitop3_b16 v9, v13, v10, 0xff bitop3:0xec
	v_bitop3_b16 v7, v7, v12, 0xff bitop3:0xec
	s_delay_alu instid0(VALU_DEP_4) | instskip(NEXT) | instid1(VALU_DEP_3)
	v_and_b32_e32 v8, 0xffff, v8
	v_dual_lshlrev_b32 v6, 16, v6 :: v_dual_lshlrev_b32 v9, 16, v9
	s_delay_alu instid0(VALU_DEP_3) | instskip(NEXT) | instid1(VALU_DEP_2)
	v_and_b32_e32 v7, 0xffff, v7
	v_or_b32_e32 v6, v8, v6
	s_delay_alu instid0(VALU_DEP_2)
	v_or_b32_e32 v40, v7, v9
.LBB1689_101:
	s_or_b32 exec_lo, exec_lo, s1
	v_dual_add_nc_u32 v7, 11, v15 :: v_dual_mov_b32 v39, 0
	s_mov_b32 s0, exec_lo
                                        ; implicit-def: $vgpr41
	s_delay_alu instid0(VALU_DEP_1)
	v_cmpx_le_u32_e64 s5, v7
	s_xor_b32 s0, exec_lo, s0
; %bb.102:
	v_and_b32_e32 v7, 0xff0000, v6
	v_perm_b32 v1, v1, v1, 0x3060504
	s_delay_alu instid0(VALU_DEP_2)
	v_perm_b32 v41, v6, v7, 0x3020504
                                        ; implicit-def: $vgpr6
; %bb.103:
	s_and_not1_saveexec_b32 s1, s0
	s_cbranch_execz .LBB1689_107
; %bb.104:
	v_dual_add_nc_u32 v7, s17, v17 :: v_dual_add_nc_u32 v8, s19, v17
	s_mov_b32 s3, 0
	s_mov_b32 s4, exec_lo
	s_delay_alu instid0(VALU_DEP_1) | instskip(NEXT) | instid1(VALU_DEP_2)
	v_mul_lo_u32 v7, v7, s16
	v_mul_lo_u32 v8, v8, s18
	s_delay_alu instid0(VALU_DEP_1) | instskip(NEXT) | instid1(VALU_DEP_1)
	v_sub_nc_u32_e32 v7, v7, v8
	v_cmp_lt_u32_e32 vcc_lo, s20, v7
	v_cmpx_ge_u32_e64 s20, v7
	s_cbranch_execz .LBB1689_106
; %bb.105:
	v_dual_add_nc_u32 v7, s22, v17 :: v_dual_add_nc_u32 v8, s38, v17
	s_delay_alu instid0(VALU_DEP_1) | instskip(NEXT) | instid1(VALU_DEP_2)
	v_mul_lo_u32 v7, v7, s21
	v_mul_lo_u32 v8, v8, s23
	s_delay_alu instid0(VALU_DEP_1) | instskip(NEXT) | instid1(VALU_DEP_1)
	v_sub_nc_u32_e32 v7, v7, v8
	v_cmp_lt_u32_e64 s0, s39, v7
	s_and_b32 s3, s0, exec_lo
.LBB1689_106:
	s_or_b32 exec_lo, exec_lo, s4
	v_cndmask_b32_e64 v7, 0, 1, vcc_lo
	v_dual_lshrrev_b32 v8, 8, v6 :: v_dual_lshrrev_b32 v9, 16, v6
	v_cndmask_b32_e64 v39, 0, 1, s3
	s_delay_alu instid0(VALU_DEP_3) | instskip(NEXT) | instid1(VALU_DEP_3)
	v_lshlrev_b16 v7, 8, v7
	v_lshlrev_b16 v8, 8, v8
	s_delay_alu instid0(VALU_DEP_2) | instskip(NEXT) | instid1(VALU_DEP_2)
	v_bitop3_b16 v7, v9, v7, 0xff bitop3:0xec
	v_bitop3_b16 v6, v6, v8, 0xff bitop3:0xec
	s_delay_alu instid0(VALU_DEP_2) | instskip(NEXT) | instid1(VALU_DEP_2)
	v_lshlrev_b32_e32 v7, 16, v7
	v_and_b32_e32 v6, 0xffff, v6
	s_delay_alu instid0(VALU_DEP_1)
	v_or_b32_e32 v41, v6, v7
.LBB1689_107:
	s_or_b32 exec_lo, exec_lo, s1
	v_dual_add_nc_u32 v8, 12, v15 :: v_dual_lshrrev_b32 v6, 8, v1
	v_dual_lshrrev_b32 v7, 16, v1 :: v_dual_lshrrev_b32 v1, 24, v1
	s_mov_b32 s0, exec_lo
                                        ; implicit-def: $vgpr42
	s_delay_alu instid0(VALU_DEP_2)
	v_cmpx_le_u32_e64 s5, v8
	s_xor_b32 s0, exec_lo, s0
; %bb.108:
	s_delay_alu instid0(VALU_DEP_2) | instskip(SKIP_1) | instid1(VALU_DEP_2)
	v_lshlrev_b16 v1, 8, v1
	v_lshlrev_b16 v6, 8, v6
	v_bitop3_b16 v1, v7, v1, 0xff bitop3:0xec
	s_delay_alu instid0(VALU_DEP_2) | instskip(NEXT) | instid1(VALU_DEP_2)
	v_and_b32_e32 v6, 0xffff, v6
                                        ; implicit-def: $vgpr7
	v_lshlrev_b32_e32 v1, 16, v1
	s_delay_alu instid0(VALU_DEP_1)
	v_or_b32_e32 v42, v6, v1
                                        ; implicit-def: $vgpr1
                                        ; implicit-def: $vgpr6
; %bb.109:
	s_or_saveexec_b32 s1, s0
	v_mov_b32_e32 v43, 0
	s_xor_b32 exec_lo, exec_lo, s1
	s_cbranch_execz .LBB1689_113
; %bb.110:
	v_dual_add_nc_u32 v8, s19, v34 :: v_dual_add_nc_u32 v9, s17, v34
	s_mov_b32 s3, 0
	s_mov_b32 s4, exec_lo
	s_delay_alu instid0(VALU_DEP_1) | instskip(NEXT) | instid1(VALU_DEP_2)
	v_mul_lo_u32 v8, v8, s18
	v_mul_lo_u32 v9, v9, s16
	s_delay_alu instid0(VALU_DEP_1) | instskip(NEXT) | instid1(VALU_DEP_1)
	v_sub_nc_u32_e32 v8, v9, v8
	v_cmp_lt_u32_e32 vcc_lo, s20, v8
	v_cmpx_ge_u32_e64 s20, v8
	s_cbranch_execz .LBB1689_112
; %bb.111:
	v_dual_add_nc_u32 v8, s38, v34 :: v_dual_add_nc_u32 v9, s22, v34
	s_delay_alu instid0(VALU_DEP_1) | instskip(NEXT) | instid1(VALU_DEP_2)
	v_mul_lo_u32 v8, v8, s23
	v_mul_lo_u32 v9, v9, s21
	s_delay_alu instid0(VALU_DEP_1) | instskip(NEXT) | instid1(VALU_DEP_1)
	v_sub_nc_u32_e32 v8, v9, v8
	v_cmp_lt_u32_e64 s0, s39, v8
	s_and_b32 s3, s0, exec_lo
.LBB1689_112:
	s_or_b32 exec_lo, exec_lo, s4
	v_cndmask_b32_e64 v8, 0, 1, vcc_lo
	v_lshlrev_b16 v1, 8, v1
	v_lshlrev_b16 v6, 8, v6
	v_cndmask_b32_e64 v43, 0, 1, s3
	s_delay_alu instid0(VALU_DEP_3) | instskip(NEXT) | instid1(VALU_DEP_1)
	v_bitop3_b16 v1, v7, v1, 0xff bitop3:0xec
	v_dual_lshlrev_b32 v1, 16, v1 :: v_dual_bitop2_b32 v6, v8, v6 bitop3:0x54
	s_delay_alu instid0(VALU_DEP_1) | instskip(NEXT) | instid1(VALU_DEP_1)
	v_and_b32_e32 v6, 0xffff, v6
	v_or_b32_e32 v42, v6, v1
.LBB1689_113:
	s_or_b32 exec_lo, exec_lo, s1
.LBB1689_114:
	v_and_b32_e32 v66, 0xff, v36
	s_delay_alu instid0(VALU_DEP_2)
	v_bfe_u32 v67, v42, 8, 8
	v_bfe_u32 v64, v36, 8, 8
	;; [unrolled: 1-line block ×4, first 2 shown]
	v_dual_lshrrev_b32 v49, 24, v42 :: v_dual_lshrrev_b32 v48, 24, v36
	v_and_b32_e32 v62, 0xff, v37
	v_and_b32_e32 v60, 0xff, v38
	v_bfe_u32 v61, v37, 8, 8
	v_add3_u32 v1, v64, v66, v63
	v_add3_u32 v6, v65, v67, v49
	v_bfe_u32 v58, v38, 8, 8
	v_bfe_u32 v59, v37, 16, 8
	;; [unrolled: 1-line block ×3, first 2 shown]
	v_dual_lshrrev_b32 v47, 24, v37 :: v_dual_lshrrev_b32 v46, 24, v38
	v_add3_u32 v1, v1, v48, v60
	v_add3_u32 v6, v6, v62, v61
	v_and_b32_e32 v57, 0xff, v40
	v_and_b32_e32 v53, 0xff, v41
	v_bfe_u32 v55, v40, 8, 8
	v_add3_u32 v1, v1, v58, v56
	v_add3_u32 v6, v6, v59, v47
	v_bfe_u32 v52, v41, 8, 8
	v_bfe_u32 v54, v40, 16, 8
	;; [unrolled: 1-line block ×3, first 2 shown]
	v_dual_lshrrev_b32 v45, 24, v40 :: v_dual_lshrrev_b32 v44, 24, v41
	v_add3_u32 v1, v1, v46, v53
	v_add3_u32 v6, v6, v57, v55
	v_mbcnt_lo_u32_b32 v68, -1, 0
	v_and_b32_e32 v50, 0xff, v39
	v_and_b32_e32 v7, 0xff, v42
	;; [unrolled: 1-line block ×3, first 2 shown]
	v_add3_u32 v1, v1, v52, v51
	v_add3_u32 v6, v6, v54, v45
	v_and_b32_e32 v70, 15, v68
	v_and_b32_e32 v72, 16, v68
	v_dual_lshrrev_b32 v69, 5, v0 :: v_dual_bitop2_b32 v71, 31, v0 bitop3:0x54
	v_add3_u32 v73, v1, v44, v7
	v_add3_u32 v74, v6, v50, v8
	v_cmp_eq_u32_e64 s1, 0, v70
	v_cmp_lt_u32_e64 s0, 1, v70
	v_cmp_lt_u32_e64 s3, 3, v70
	s_cmp_lg_u32 s27, 0
	s_mov_b32 s4, -1
	v_cmp_lt_u32_e32 vcc_lo, 7, v70
	s_cbranch_scc0 .LBB1689_135
; %bb.115:
	v_mov_b32_dpp v1, v74 row_shr:1 row_mask:0xf bank_mask:0xf
	v_mov_b32_dpp v6, v73 row_shr:1 row_mask:0xf bank_mask:0xf
	s_mov_b32 s4, exec_lo
	s_delay_alu instid0(VALU_DEP_1) | instskip(NEXT) | instid1(VALU_DEP_1)
	v_dual_add_nc_u32 v1, v1, v74 :: v_dual_add_nc_u32 v6, v6, v73
	v_dual_cndmask_b32 v1, v1, v74, s1 :: v_dual_cndmask_b32 v6, v6, v73, s1
	s_delay_alu instid0(VALU_DEP_1) | instskip(NEXT) | instid1(VALU_DEP_2)
	v_mov_b32_dpp v7, v1 row_shr:2 row_mask:0xf bank_mask:0xf
	v_mov_b32_dpp v8, v6 row_shr:2 row_mask:0xf bank_mask:0xf
	s_delay_alu instid0(VALU_DEP_1) | instskip(NEXT) | instid1(VALU_DEP_1)
	v_dual_add_nc_u32 v7, v1, v7 :: v_dual_add_nc_u32 v8, v6, v8
	v_dual_cndmask_b32 v1, v1, v7, s0 :: v_dual_cndmask_b32 v6, v6, v8, s0
	s_delay_alu instid0(VALU_DEP_1) | instskip(NEXT) | instid1(VALU_DEP_2)
	v_mov_b32_dpp v7, v1 row_shr:4 row_mask:0xf bank_mask:0xf
	v_mov_b32_dpp v8, v6 row_shr:4 row_mask:0xf bank_mask:0xf
	;; [unrolled: 6-line block ×3, first 2 shown]
	s_delay_alu instid0(VALU_DEP_1) | instskip(NEXT) | instid1(VALU_DEP_1)
	v_dual_add_nc_u32 v7, v1, v7 :: v_dual_add_nc_u32 v8, v6, v8
	v_dual_cndmask_b32 v1, v1, v7 :: v_dual_cndmask_b32 v6, v6, v8
	v_cmp_eq_u32_e32 vcc_lo, 0, v72
	ds_swizzle_b32 v7, v1 offset:swizzle(BROADCAST,32,15)
	ds_swizzle_b32 v8, v6 offset:swizzle(BROADCAST,32,15)
	s_wait_dscnt 0x0
	v_dual_add_nc_u32 v7, v1, v7 :: v_dual_add_nc_u32 v8, v6, v8
	v_cmpx_eq_u32_e64 v0, v71
; %bb.116:
	s_delay_alu instid0(VALU_DEP_2) | instskip(NEXT) | instid1(VALU_DEP_3)
	v_dual_cndmask_b32 v10, v8, v6 :: v_dual_lshlrev_b32 v9, 3, v69
	v_cndmask_b32_e32 v11, v7, v1, vcc_lo
	ds_store_b64 v9, v[10:11]
; %bb.117:
	s_or_b32 exec_lo, exec_lo, s4
	s_delay_alu instid0(SALU_CYCLE_1)
	s_mov_b32 s4, exec_lo
	s_wait_dscnt 0x0
	s_barrier_signal -1
	s_barrier_wait -1
	v_cmpx_gt_u32_e32 8, v0
	s_cbranch_execz .LBB1689_119
; %bb.118:
	v_lshlrev_b32_e32 v9, 3, v0
	ds_load_b64 v[10:11], v9
	s_wait_dscnt 0x0
	v_mov_b32_dpp v12, v10 row_shr:1 row_mask:0xf bank_mask:0xf
	v_mov_b32_dpp v13, v11 row_shr:1 row_mask:0xf bank_mask:0xf
	s_delay_alu instid0(VALU_DEP_2) | instskip(NEXT) | instid1(VALU_DEP_2)
	v_dual_add_nc_u32 v12, v12, v10 :: v_dual_bitop2_b32 v28, 7, v68 bitop3:0x40
	v_add_nc_u32_e32 v13, v13, v11
	s_delay_alu instid0(VALU_DEP_2) | instskip(NEXT) | instid1(VALU_DEP_1)
	v_cmp_eq_u32_e64 s3, 0, v28
	v_dual_cndmask_b32 v11, v13, v11, s3 :: v_dual_cndmask_b32 v10, v12, v10, s3
	v_cmp_lt_u32_e64 s3, 1, v28
	s_delay_alu instid0(VALU_DEP_2) | instskip(NEXT) | instid1(VALU_DEP_3)
	v_mov_b32_dpp v13, v11 row_shr:2 row_mask:0xf bank_mask:0xf
	v_mov_b32_dpp v12, v10 row_shr:2 row_mask:0xf bank_mask:0xf
	s_delay_alu instid0(VALU_DEP_1) | instskip(NEXT) | instid1(VALU_DEP_1)
	v_dual_add_nc_u32 v13, v11, v13 :: v_dual_add_nc_u32 v12, v10, v12
	v_dual_cndmask_b32 v11, v11, v13, s3 :: v_dual_cndmask_b32 v10, v10, v12, s3
	v_cmp_lt_u32_e64 s3, 3, v28
	s_delay_alu instid0(VALU_DEP_2) | instskip(NEXT) | instid1(VALU_DEP_3)
	v_mov_b32_dpp v13, v11 row_shr:4 row_mask:0xf bank_mask:0xf
	v_mov_b32_dpp v12, v10 row_shr:4 row_mask:0xf bank_mask:0xf
	s_delay_alu instid0(VALU_DEP_1) | instskip(NEXT) | instid1(VALU_DEP_1)
	v_dual_cndmask_b32 v13, 0, v13, s3 :: v_dual_cndmask_b32 v12, 0, v12, s3
	v_dual_add_nc_u32 v11, v13, v11 :: v_dual_add_nc_u32 v10, v12, v10
	ds_store_b64 v9, v[10:11]
.LBB1689_119:
	s_or_b32 exec_lo, exec_lo, s4
	v_dual_cndmask_b32 v1, v7, v1 :: v_dual_cndmask_b32 v6, v8, v6
	s_mov_b32 s4, exec_lo
	v_cmp_gt_u32_e32 vcc_lo, 32, v0
	s_wait_dscnt 0x0
	s_barrier_signal -1
	s_barrier_wait -1
                                        ; implicit-def: $vgpr28
	v_cmpx_lt_u32_e32 31, v0
	s_cbranch_execz .LBB1689_121
; %bb.120:
	v_lshl_add_u32 v7, v69, 3, -8
	ds_load_b64 v[28:29], v7
	s_wait_dscnt 0x0
	v_dual_add_nc_u32 v1, v29, v1 :: v_dual_add_nc_u32 v6, v28, v6
.LBB1689_121:
	s_or_b32 exec_lo, exec_lo, s4
	v_sub_co_u32 v7, s3, v68, 1
	s_delay_alu instid0(VALU_DEP_1) | instskip(NEXT) | instid1(VALU_DEP_1)
	v_cmp_gt_i32_e64 s4, 0, v7
	v_cndmask_b32_e64 v7, v7, v68, s4
	s_delay_alu instid0(VALU_DEP_1)
	v_lshlrev_b32_e32 v7, 2, v7
	ds_bpermute_b32 v75, v7, v6
	ds_bpermute_b32 v1, v7, v1
	s_and_saveexec_b32 s4, vcc_lo
	s_cbranch_execz .LBB1689_140
; %bb.122:
	v_mov_b32_e32 v9, 0
	ds_load_b64 v[6:7], v9 offset:56
	s_and_saveexec_b32 s6, s3
	s_cbranch_execz .LBB1689_124
; %bb.123:
	s_add_co_i32 s8, s27, 32
	s_mov_b32 s9, 0
	v_mov_b32_e32 v8, 1
	s_lshl_b64 s[8:9], s[8:9], 4
	s_delay_alu instid0(SALU_CYCLE_1) | instskip(NEXT) | instid1(SALU_CYCLE_1)
	s_add_nc_u64 s[8:9], s[36:37], s[8:9]
	v_mov_b64_e32 v[10:11], s[8:9]
	s_wait_dscnt 0x0
	;;#ASMSTART
	global_store_b128 v[10:11], v[6:9] off scope:SCOPE_DEV	
s_wait_storecnt 0x0
	;;#ASMEND
.LBB1689_124:
	s_or_b32 exec_lo, exec_lo, s6
	v_xad_u32 v30, v68, -1, s27
	s_mov_b32 s7, 0
	s_mov_b32 s6, exec_lo
	s_delay_alu instid0(VALU_DEP_1) | instskip(NEXT) | instid1(VALU_DEP_1)
	v_add_nc_u32_e32 v8, 32, v30
	v_lshl_add_u64 v[8:9], v[8:9], 4, s[36:37]
	;;#ASMSTART
	global_load_b128 v[10:13], v[8:9] off scope:SCOPE_DEV	
s_wait_loadcnt 0x0
	;;#ASMEND
	v_and_b32_e32 v13, 0xff, v12
	s_delay_alu instid0(VALU_DEP_1)
	v_cmpx_eq_u16_e32 0, v13
	s_cbranch_execz .LBB1689_127
.LBB1689_125:                           ; =>This Inner Loop Header: Depth=1
	;;#ASMSTART
	global_load_b128 v[10:13], v[8:9] off scope:SCOPE_DEV	
s_wait_loadcnt 0x0
	;;#ASMEND
	v_and_b32_e32 v13, 0xff, v12
	s_delay_alu instid0(VALU_DEP_1) | instskip(SKIP_1) | instid1(SALU_CYCLE_1)
	v_cmp_ne_u16_e32 vcc_lo, 0, v13
	s_or_b32 s7, vcc_lo, s7
	s_and_not1_b32 exec_lo, exec_lo, s7
	s_cbranch_execnz .LBB1689_125
; %bb.126:
	s_or_b32 exec_lo, exec_lo, s7
.LBB1689_127:
	s_delay_alu instid0(SALU_CYCLE_1) | instskip(SKIP_4) | instid1(VALU_DEP_1)
	s_or_b32 exec_lo, exec_lo, s6
	v_cmp_ne_u32_e32 vcc_lo, 31, v68
	v_lshlrev_b32_e64 v77, v68, -1
	v_lshl_or_b32 v84, v68, 2, 64
	v_add_co_ci_u32_e64 v8, null, 0, v68, vcc_lo
	v_lshlrev_b32_e32 v76, 2, v8
	v_and_b32_e32 v8, 0xff, v12
	s_delay_alu instid0(VALU_DEP_1)
	v_cmp_eq_u16_e32 vcc_lo, 2, v8
	v_and_b32_e32 v13, vcc_lo, v77
	ds_bpermute_b32 v9, v76, v11
	ds_bpermute_b32 v8, v76, v10
	v_cmp_gt_u32_e32 vcc_lo, 30, v68
	v_or_b32_e32 v13, 0x80000000, v13
	v_cndmask_b32_e64 v31, 0, 2, vcc_lo
	s_delay_alu instid0(VALU_DEP_2) | instskip(NEXT) | instid1(VALU_DEP_2)
	v_ctz_i32_b32_e32 v13, v13
	v_add_lshl_u32 v78, v31, v68, 2
	s_delay_alu instid0(VALU_DEP_2) | instskip(SKIP_2) | instid1(VALU_DEP_1)
	v_cmp_lt_u32_e32 vcc_lo, v68, v13
	s_wait_dscnt 0x0
	v_dual_add_nc_u32 v9, v9, v11 :: v_dual_add_nc_u32 v8, v8, v10
	v_dual_cndmask_b32 v9, v11, v9 :: v_dual_cndmask_b32 v8, v10, v8
	v_cmp_gt_u32_e32 vcc_lo, 28, v68
	ds_bpermute_b32 v10, v78, v9
	ds_bpermute_b32 v11, v78, v8
	v_add_nc_u32_e32 v79, 2, v68
	v_cndmask_b32_e64 v31, 0, 4, vcc_lo
	s_delay_alu instid0(VALU_DEP_1) | instskip(SKIP_4) | instid1(VALU_DEP_2)
	v_add_lshl_u32 v80, v31, v68, 2
	s_wait_dscnt 0x1
	v_add_nc_u32_e32 v10, v9, v10
	v_cmp_gt_u32_e32 vcc_lo, v79, v13
	s_wait_dscnt 0x0
	v_dual_add_nc_u32 v11, v8, v11 :: v_dual_cndmask_b32 v9, v10, v9, vcc_lo
	ds_bpermute_b32 v10, v80, v9
	v_cndmask_b32_e32 v8, v11, v8, vcc_lo
	v_cmp_gt_u32_e32 vcc_lo, 24, v68
	v_cndmask_b32_e64 v31, 0, 8, vcc_lo
	s_delay_alu instid0(VALU_DEP_1)
	v_add_lshl_u32 v82, v31, v68, 2
	s_wait_dscnt 0x0
	v_dual_mov_b32 v31, 0 :: v_dual_add_nc_u32 v10, v9, v10
	ds_bpermute_b32 v11, v80, v8
	s_wait_dscnt 0x0
	v_dual_add_nc_u32 v81, 4, v68 :: v_dual_add_nc_u32 v11, v8, v11
	s_delay_alu instid0(VALU_DEP_1) | instskip(NEXT) | instid1(VALU_DEP_2)
	v_cmp_gt_u32_e32 vcc_lo, v81, v13
	v_dual_cndmask_b32 v9, v10, v9 :: v_dual_cndmask_b32 v8, v11, v8
	ds_bpermute_b32 v10, v82, v9
	ds_bpermute_b32 v11, v82, v8
	s_wait_dscnt 0x1
	v_dual_add_nc_u32 v83, 8, v68 :: v_dual_add_nc_u32 v10, v9, v10
	s_delay_alu instid0(VALU_DEP_1) | instskip(SKIP_1) | instid1(VALU_DEP_2)
	v_cmp_gt_u32_e32 vcc_lo, v83, v13
	s_wait_dscnt 0x0
	v_dual_add_nc_u32 v11, v8, v11 :: v_dual_cndmask_b32 v9, v10, v9, vcc_lo
	s_delay_alu instid0(VALU_DEP_1) | instskip(SKIP_3) | instid1(VALU_DEP_1)
	v_cndmask_b32_e32 v8, v11, v8, vcc_lo
	ds_bpermute_b32 v11, v84, v9
	ds_bpermute_b32 v10, v84, v8
	v_add_nc_u32_e32 v85, 16, v68
	v_cmp_le_u32_e32 vcc_lo, v85, v13
	s_wait_dscnt 0x0
	v_dual_cndmask_b32 v11, 0, v11 :: v_dual_cndmask_b32 v10, 0, v10
	s_delay_alu instid0(VALU_DEP_1)
	v_dual_add_nc_u32 v11, v11, v9 :: v_dual_add_nc_u32 v10, v10, v8
	s_branch .LBB1689_131
.LBB1689_128:                           ;   in Loop: Header=BB1689_131 Depth=1
	s_or_b32 exec_lo, exec_lo, s7
.LBB1689_129:                           ;   in Loop: Header=BB1689_131 Depth=1
	s_delay_alu instid0(SALU_CYCLE_1)
	s_or_b32 exec_lo, exec_lo, s6
	ds_bpermute_b32 v13, v76, v10
	ds_bpermute_b32 v32, v76, v11
	v_and_b32_e32 v33, 0xff, v12
	v_subrev_nc_u32_e32 v30, 32, v30
	s_mov_b32 s6, 0
	s_delay_alu instid0(VALU_DEP_2) | instskip(SKIP_1) | instid1(VALU_DEP_1)
	v_cmp_eq_u16_e32 vcc_lo, 2, v33
	v_and_or_b32 v33, vcc_lo, v77, 0x80000000
	v_ctz_i32_b32_e32 v33, v33
	s_wait_dscnt 0x0
	v_dual_add_nc_u32 v13, v13, v10 :: v_dual_add_nc_u32 v32, v32, v11
	s_delay_alu instid0(VALU_DEP_2) | instskip(NEXT) | instid1(VALU_DEP_2)
	v_cmp_lt_u32_e32 vcc_lo, v68, v33
	v_dual_cndmask_b32 v11, v11, v32 :: v_dual_cndmask_b32 v10, v10, v13
	v_cmp_gt_u32_e32 vcc_lo, v79, v33
	ds_bpermute_b32 v32, v78, v11
	ds_bpermute_b32 v13, v78, v10
	s_wait_dscnt 0x0
	v_dual_add_nc_u32 v32, v11, v32 :: v_dual_add_nc_u32 v13, v10, v13
	s_delay_alu instid0(VALU_DEP_1)
	v_dual_cndmask_b32 v11, v32, v11 :: v_dual_cndmask_b32 v10, v13, v10
	v_cmp_gt_u32_e32 vcc_lo, v81, v33
	ds_bpermute_b32 v32, v80, v11
	ds_bpermute_b32 v13, v80, v10
	s_wait_dscnt 0x0
	v_dual_add_nc_u32 v32, v11, v32 :: v_dual_add_nc_u32 v13, v10, v13
	s_delay_alu instid0(VALU_DEP_1)
	;; [unrolled: 7-line block ×3, first 2 shown]
	v_dual_cndmask_b32 v11, v32, v11 :: v_dual_cndmask_b32 v10, v13, v10
	v_cmp_le_u32_e32 vcc_lo, v85, v33
	ds_bpermute_b32 v32, v84, v11
	ds_bpermute_b32 v13, v84, v10
	s_wait_dscnt 0x0
	v_dual_cndmask_b32 v32, 0, v32 :: v_dual_cndmask_b32 v13, 0, v13
	s_delay_alu instid0(VALU_DEP_1) | instskip(NEXT) | instid1(VALU_DEP_2)
	v_add3_u32 v11, v11, v9, v32
	v_add3_u32 v10, v10, v8, v13
.LBB1689_130:                           ;   in Loop: Header=BB1689_131 Depth=1
	s_and_b32 vcc_lo, exec_lo, s6
	s_cbranch_vccnz .LBB1689_136
.LBB1689_131:                           ; =>This Loop Header: Depth=1
                                        ;     Child Loop BB1689_134 Depth 2
	v_and_b32_e32 v8, 0xff, v12
	s_mov_b32 s6, -1
                                        ; implicit-def: $vgpr12
	s_delay_alu instid0(VALU_DEP_1)
	v_cmp_ne_u16_e32 vcc_lo, 2, v8
	v_mov_b64_e32 v[8:9], v[10:11]
                                        ; implicit-def: $vgpr10_vgpr11
	s_cmp_lg_u32 vcc_lo, exec_lo
	s_cbranch_scc1 .LBB1689_130
; %bb.132:                              ;   in Loop: Header=BB1689_131 Depth=1
	v_lshl_add_u64 v[32:33], v[30:31], 4, s[36:37]
	;;#ASMSTART
	global_load_b128 v[10:13], v[32:33] off scope:SCOPE_DEV	
s_wait_loadcnt 0x0
	;;#ASMEND
	v_and_b32_e32 v13, 0xff, v12
	s_mov_b32 s6, exec_lo
	s_delay_alu instid0(VALU_DEP_1)
	v_cmpx_eq_u16_e32 0, v13
	s_cbranch_execz .LBB1689_129
; %bb.133:                              ;   in Loop: Header=BB1689_131 Depth=1
	s_mov_b32 s7, 0
.LBB1689_134:                           ;   Parent Loop BB1689_131 Depth=1
                                        ; =>  This Inner Loop Header: Depth=2
	;;#ASMSTART
	global_load_b128 v[10:13], v[32:33] off scope:SCOPE_DEV	
s_wait_loadcnt 0x0
	;;#ASMEND
	v_and_b32_e32 v13, 0xff, v12
	s_delay_alu instid0(VALU_DEP_1) | instskip(SKIP_1) | instid1(SALU_CYCLE_1)
	v_cmp_ne_u16_e32 vcc_lo, 0, v13
	s_or_b32 s7, vcc_lo, s7
	s_and_not1_b32 exec_lo, exec_lo, s7
	s_cbranch_execnz .LBB1689_134
	s_branch .LBB1689_128
.LBB1689_135:
                                        ; implicit-def: $vgpr1
                                        ; implicit-def: $vgpr8
                                        ; implicit-def: $vgpr10
                                        ; implicit-def: $vgpr12
                                        ; implicit-def: $vgpr28
	s_and_b32 vcc_lo, exec_lo, s4
	s_cbranch_vccnz .LBB1689_141
	s_branch .LBB1689_150
.LBB1689_136:
	s_and_saveexec_b32 s6, s3
	s_cbranch_execz .LBB1689_138
; %bb.137:
	s_add_co_i32 s8, s27, 32
	s_mov_b32 s9, 0
	v_dual_mov_b32 v12, 2 :: v_dual_mov_b32 v13, 0
	s_lshl_b64 s[8:9], s[8:9], 4
	v_dual_add_nc_u32 v11, v9, v7 :: v_dual_add_nc_u32 v10, v8, v6
	s_add_nc_u64 s[8:9], s[36:37], s[8:9]
	s_delay_alu instid0(SALU_CYCLE_1)
	v_mov_b64_e32 v[30:31], s[8:9]
	;;#ASMSTART
	global_store_b128 v[30:31], v[10:13] off scope:SCOPE_DEV	
s_wait_storecnt 0x0
	;;#ASMEND
	ds_store_b128 v13, v[6:9] offset:13312
.LBB1689_138:
	s_or_b32 exec_lo, exec_lo, s6
	s_delay_alu instid0(SALU_CYCLE_1)
	s_and_b32 exec_lo, exec_lo, s2
; %bb.139:
	v_mov_b32_e32 v6, 0
	ds_store_b64 v6, v[8:9] offset:56
.LBB1689_140:
	s_or_b32 exec_lo, exec_lo, s4
	s_wait_dscnt 0x0
	v_dual_mov_b32 v6, 0 :: v_dual_cndmask_b32 v1, v1, v29, s3
	s_barrier_signal -1
	s_barrier_wait -1
	ds_load_b64 v[12:13], v6 offset:56
	s_wait_dscnt 0x0
	s_barrier_signal -1
	s_barrier_wait -1
	ds_load_b128 v[6:9], v6 offset:13312
	v_cndmask_b32_e64 v10, v75, v28, s3
	s_delay_alu instid0(VALU_DEP_1) | instskip(SKIP_2) | instid1(VALU_DEP_2)
	v_dual_add_nc_u32 v1, v13, v1 :: v_dual_add_nc_u32 v11, v12, v10
	s_wait_dscnt 0x0
	v_mov_b32_e32 v10, v9
	v_dual_cndmask_b32 v1, v1, v13, s2 :: v_dual_cndmask_b32 v28, v11, v12, s2
	v_mov_b32_e32 v12, v7
	s_branch .LBB1689_150
.LBB1689_141:
	v_mov_b32_dpp v1, v73 row_shr:1 row_mask:0xf bank_mask:0xf
	v_mov_b32_dpp v6, v74 row_shr:1 row_mask:0xf bank_mask:0xf
	v_cmp_lt_u32_e32 vcc_lo, 3, v70
	s_delay_alu instid0(VALU_DEP_2) | instskip(NEXT) | instid1(VALU_DEP_1)
	v_dual_add_nc_u32 v1, v1, v73 :: v_dual_add_nc_u32 v6, v6, v74
	v_dual_cndmask_b32 v1, v1, v73, s1 :: v_dual_cndmask_b32 v6, v6, v74, s1
	s_mov_b32 s1, exec_lo
	s_delay_alu instid0(VALU_DEP_1) | instskip(NEXT) | instid1(VALU_DEP_2)
	v_mov_b32_dpp v7, v1 row_shr:2 row_mask:0xf bank_mask:0xf
	v_mov_b32_dpp v8, v6 row_shr:2 row_mask:0xf bank_mask:0xf
	s_delay_alu instid0(VALU_DEP_1) | instskip(NEXT) | instid1(VALU_DEP_1)
	v_dual_add_nc_u32 v7, v1, v7 :: v_dual_add_nc_u32 v8, v6, v8
	v_dual_cndmask_b32 v1, v1, v7, s0 :: v_dual_cndmask_b32 v6, v6, v8, s0
	s_delay_alu instid0(VALU_DEP_1) | instskip(NEXT) | instid1(VALU_DEP_2)
	v_mov_b32_dpp v7, v1 row_shr:4 row_mask:0xf bank_mask:0xf
	v_mov_b32_dpp v8, v6 row_shr:4 row_mask:0xf bank_mask:0xf
	s_delay_alu instid0(VALU_DEP_1) | instskip(NEXT) | instid1(VALU_DEP_1)
	v_dual_add_nc_u32 v7, v1, v7 :: v_dual_add_nc_u32 v8, v6, v8
	v_dual_cndmask_b32 v7, v1, v7 :: v_dual_cndmask_b32 v6, v6, v8
	v_cmp_lt_u32_e32 vcc_lo, 7, v70
	s_delay_alu instid0(VALU_DEP_2) | instskip(NEXT) | instid1(VALU_DEP_3)
	v_mov_b32_dpp v1, v7 row_shr:8 row_mask:0xf bank_mask:0xf
	v_mov_b32_dpp v8, v6 row_shr:8 row_mask:0xf bank_mask:0xf
	s_delay_alu instid0(VALU_DEP_1) | instskip(NEXT) | instid1(VALU_DEP_1)
	v_dual_add_nc_u32 v9, v7, v1 :: v_dual_add_nc_u32 v1, v6, v8
	v_cndmask_b32_e32 v1, v6, v1, vcc_lo
	s_delay_alu instid0(VALU_DEP_2)
	v_cndmask_b32_e32 v6, v7, v9, vcc_lo
	v_cmp_eq_u32_e32 vcc_lo, 0, v72
	ds_swizzle_b32 v8, v6 offset:swizzle(BROADCAST,32,15)
	s_wait_dscnt 0x0
	v_add_nc_u32_e32 v8, v6, v8
	ds_swizzle_b32 v7, v1 offset:swizzle(BROADCAST,32,15)
	s_wait_dscnt 0x0
	v_add_nc_u32_e32 v7, v1, v7
	v_cmpx_eq_u32_e64 v0, v71
; %bb.142:
	s_delay_alu instid0(VALU_DEP_2)
	v_dual_cndmask_b32 v10, v8, v6 :: v_dual_cndmask_b32 v11, v7, v1
	v_lshlrev_b32_e32 v9, 3, v69
	ds_store_b64 v9, v[10:11]
; %bb.143:
	s_or_b32 exec_lo, exec_lo, s1
	s_delay_alu instid0(SALU_CYCLE_1)
	s_mov_b32 s1, exec_lo
	s_wait_dscnt 0x0
	s_barrier_signal -1
	s_barrier_wait -1
	v_cmpx_gt_u32_e32 8, v0
	s_cbranch_execz .LBB1689_145
; %bb.144:
	v_lshlrev_b32_e32 v9, 3, v0
	ds_load_b64 v[10:11], v9
	s_wait_dscnt 0x0
	v_mov_b32_dpp v12, v10 row_shr:1 row_mask:0xf bank_mask:0xf
	v_mov_b32_dpp v13, v11 row_shr:1 row_mask:0xf bank_mask:0xf
	s_delay_alu instid0(VALU_DEP_2) | instskip(NEXT) | instid1(VALU_DEP_2)
	v_dual_add_nc_u32 v12, v12, v10 :: v_dual_bitop2_b32 v28, 7, v68 bitop3:0x40
	v_add_nc_u32_e32 v13, v13, v11
	s_delay_alu instid0(VALU_DEP_2) | instskip(NEXT) | instid1(VALU_DEP_1)
	v_cmp_eq_u32_e64 s0, 0, v28
	v_dual_cndmask_b32 v11, v13, v11, s0 :: v_dual_cndmask_b32 v10, v12, v10, s0
	v_cmp_lt_u32_e64 s0, 1, v28
	s_delay_alu instid0(VALU_DEP_2) | instskip(NEXT) | instid1(VALU_DEP_3)
	v_mov_b32_dpp v13, v11 row_shr:2 row_mask:0xf bank_mask:0xf
	v_mov_b32_dpp v12, v10 row_shr:2 row_mask:0xf bank_mask:0xf
	s_delay_alu instid0(VALU_DEP_1) | instskip(NEXT) | instid1(VALU_DEP_1)
	v_dual_add_nc_u32 v13, v11, v13 :: v_dual_add_nc_u32 v12, v10, v12
	v_dual_cndmask_b32 v11, v11, v13, s0 :: v_dual_cndmask_b32 v10, v10, v12, s0
	v_cmp_lt_u32_e64 s0, 3, v28
	s_delay_alu instid0(VALU_DEP_2) | instskip(NEXT) | instid1(VALU_DEP_3)
	v_mov_b32_dpp v13, v11 row_shr:4 row_mask:0xf bank_mask:0xf
	v_mov_b32_dpp v12, v10 row_shr:4 row_mask:0xf bank_mask:0xf
	s_delay_alu instid0(VALU_DEP_1) | instskip(NEXT) | instid1(VALU_DEP_1)
	v_dual_cndmask_b32 v13, 0, v13, s0 :: v_dual_cndmask_b32 v12, 0, v12, s0
	v_dual_add_nc_u32 v11, v13, v11 :: v_dual_add_nc_u32 v10, v12, v10
	ds_store_b64 v9, v[10:11]
.LBB1689_145:
	s_or_b32 exec_lo, exec_lo, s1
	v_dual_mov_b32 v9, 0 :: v_dual_mov_b32 v10, 0
	v_mov_b32_e32 v11, 0
	s_mov_b32 s1, exec_lo
	s_wait_dscnt 0x0
	s_barrier_signal -1
	s_barrier_wait -1
	v_cmpx_lt_u32_e32 31, v0
; %bb.146:
	v_lshl_add_u32 v10, v69, 3, -8
	ds_load_b64 v[10:11], v10
; %bb.147:
	s_or_b32 exec_lo, exec_lo, s1
	v_sub_co_u32 v12, s0, v68, 1
	v_dual_cndmask_b32 v6, v8, v6 :: v_dual_cndmask_b32 v1, v7, v1
	s_delay_alu instid0(VALU_DEP_2) | instskip(SKIP_1) | instid1(VALU_DEP_1)
	v_cmp_gt_i32_e64 s1, 0, v12
	s_wait_dscnt 0x0
	v_dual_add_nc_u32 v6, v10, v6 :: v_dual_cndmask_b32 v8, v12, v68, s1
	s_delay_alu instid0(VALU_DEP_1)
	v_dual_lshlrev_b32 v7, 2, v8 :: v_dual_add_nc_u32 v8, v11, v1
	ds_bpermute_b32 v1, v7, v6
	ds_bpermute_b32 v12, v7, v8
	ds_load_b64 v[6:7], v9 offset:56
	s_and_saveexec_b32 s1, s2
	s_cbranch_execz .LBB1689_149
; %bb.148:
	s_add_nc_u64 s[6:7], s[36:37], 0x200
	v_dual_mov_b32 v8, 2 :: v_dual_mov_b32 v9, 0
	v_mov_b64_e32 v[28:29], s[6:7]
	s_wait_dscnt 0x0
	;;#ASMSTART
	global_store_b128 v[28:29], v[6:9] off scope:SCOPE_DEV	
s_wait_storecnt 0x0
	;;#ASMEND
.LBB1689_149:
	s_or_b32 exec_lo, exec_lo, s1
	s_wait_dscnt 0x1
	v_dual_cndmask_b32 v9, v12, v11, s0 :: v_dual_cndmask_b32 v11, v1, v10, s0
	v_dual_mov_b32 v10, 0 :: v_dual_mov_b32 v8, 0
	s_wait_dscnt 0x0
	v_mov_b32_e32 v12, v7
	s_delay_alu instid0(VALU_DEP_3)
	v_cndmask_b32_e64 v1, v9, 0, s2
	v_cndmask_b32_e64 v28, v11, 0, s2
	s_barrier_signal -1
	s_barrier_wait -1
.LBB1689_150:
	s_delay_alu instid0(VALU_DEP_1) | instskip(SKIP_2) | instid1(VALU_DEP_3)
	v_dual_add_nc_u32 v74, v1, v67 :: v_dual_add_nc_u32 v75, v28, v66
	v_dual_lshrrev_b32 v72, 16, v42 :: v_dual_lshrrev_b32 v7, 8, v42
	v_dual_lshrrev_b32 v73, 8, v36 :: v_dual_lshrrev_b32 v71, 16, v36
	v_dual_add_nc_u32 v65, v74, v65 :: v_dual_add_nc_u32 v64, v75, v64
	v_dual_mov_b32 v9, 0 :: v_dual_lshlrev_b32 v66, 1, v6
	s_delay_alu instid0(VALU_DEP_2) | instskip(NEXT) | instid1(VALU_DEP_3)
	v_dual_add_nc_u32 v76, v65, v49 :: v_dual_bitop2_b32 v36, 1, v36 bitop3:0x40
	v_add_nc_u32_e32 v63, v64, v63
	v_dual_sub_nc_u32 v28, v28, v8 :: v_dual_sub_nc_u32 v1, v1, v10
	s_delay_alu instid0(VALU_DEP_3) | instskip(NEXT) | instid1(VALU_DEP_3)
	v_dual_add_nc_u32 v62, v76, v62 :: v_dual_bitop2_b32 v77, 1, v7 bitop3:0x40
	v_dual_mov_b32 v7, v9 :: v_dual_add_nc_u32 v78, v63, v48
	v_mov_b32_e32 v11, v9
	s_delay_alu instid0(VALU_DEP_3) | instskip(SKIP_1) | instid1(VALU_DEP_4)
	v_dual_add_nc_u32 v1, v1, v6 :: v_dual_add_nc_u32 v61, v62, v61
	v_add3_u32 v15, v66, v12, v15
	v_add_nc_u32_e32 v60, v78, v60
	s_delay_alu instid0(VALU_DEP_3) | instskip(NEXT) | instid1(VALU_DEP_4)
	v_dual_sub_nc_u32 v74, v74, v10 :: v_dual_add_nc_u32 v81, v28, v1
	v_dual_add_nc_u32 v79, v61, v59 :: v_dual_sub_nc_u32 v75, v75, v8
	s_delay_alu instid0(VALU_DEP_3) | instskip(SKIP_1) | instid1(VALU_DEP_4)
	v_add_nc_u32_e32 v80, v60, v58
	v_cmp_eq_u32_e32 vcc_lo, 1, v77
	v_dual_add_nc_u32 v74, v74, v6 :: v_dual_sub_nc_u32 v64, v64, v8
	s_delay_alu instid0(VALU_DEP_3) | instskip(SKIP_2) | instid1(VALU_DEP_3)
	v_dual_add_nc_u32 v82, v79, v47 :: v_dual_add_nc_u32 v56, v80, v56
	v_dual_sub_nc_u32 v81, v15, v81 :: v_dual_sub_nc_u32 v65, v65, v10
	v_sub_nc_u64_e32 v[58:59], v[4:5], v[6:7]
	v_dual_add_nc_u32 v57, v82, v57 :: v_dual_add_nc_u32 v83, v56, v46
	s_delay_alu instid0(VALU_DEP_3) | instskip(SKIP_1) | instid1(VALU_DEP_3)
	v_dual_cndmask_b32 v1, v81, v1, vcc_lo :: v_dual_add_nc_u32 v81, v74, v75
	v_cmp_eq_u32_e32 vcc_lo, 1, v36
	v_dual_add_nc_u32 v55, v57, v55 :: v_dual_add_nc_u32 v77, v83, v53
	v_and_b32_e32 v72, 1, v72
	v_dual_sub_nc_u32 v63, v63, v8 :: v_dual_bitop2_b32 v49, 1, v49 bitop3:0x40
	s_delay_alu instid0(VALU_DEP_3) | instskip(NEXT) | instid1(VALU_DEP_4)
	v_dual_cndmask_b32 v1, v1, v28 :: v_dual_add_nc_u32 v28, v55, v54
	v_add_nc_u32_e32 v36, v77, v52
	v_add_nc_u32_e32 v54, v65, v6
	v_add_nc_u64_e32 v[52:53], v[58:59], v[10:11]
	s_delay_alu instid0(VALU_DEP_4)
	v_lshlrev_b32_e32 v1, 2, v1
	v_add_nc_u32_e32 v58, v28, v45
	v_dual_add_nc_u32 v51, v36, v51 :: v_dual_sub_nc_u32 v59, v15, v81
	v_add_nc_u32_e32 v65, v54, v64
	ds_store_b32 v1, v26
	v_dual_add_nc_u32 v1, v58, v50 :: v_dual_add_nc_u32 v26, v51, v44
	v_dual_sub_nc_u32 v73, v76, v10 :: v_dual_bitop2_b32 v50, 1, v73 bitop3:0x40
	v_dual_sub_nc_u32 v65, v15, v65 :: v_dual_add_nc_u32 v59, 1, v59
	v_cmp_eq_u32_e32 vcc_lo, 1, v72
	s_delay_alu instid0(VALU_DEP_3) | instskip(NEXT) | instid1(VALU_DEP_3)
	v_dual_add_nc_u32 v73, v73, v6 :: v_dual_bitop2_b32 v71, 1, v71 bitop3:0x40
	v_add_nc_u32_e32 v65, 2, v65
	v_dual_lshrrev_b32 v70, 8, v37 :: v_dual_lshrrev_b32 v69, 16, v37
	v_cndmask_b32_e32 v59, v59, v74, vcc_lo
	v_cmp_eq_u32_e32 vcc_lo, 1, v49
	v_dual_add_nc_u32 v72, v63, v73 :: v_dual_lshrrev_b32 v33, 16, v38
	v_dual_lshrrev_b32 v68, 8, v38 :: v_dual_lshrrev_b32 v31, 16, v40
	v_dual_cndmask_b32 v49, v65, v54 :: v_dual_lshrrev_b32 v32, 8, v40
	v_cmp_eq_u32_e32 vcc_lo, 1, v50
	s_delay_alu instid0(VALU_DEP_4)
	v_dual_sub_nc_u32 v54, v15, v72 :: v_dual_lshrrev_b32 v30, 8, v41
	v_dual_lshrrev_b32 v29, 16, v41 :: v_dual_sub_nc_u32 v1, v1, v10
	v_cndmask_b32_e32 v50, v59, v75, vcc_lo
	v_cmp_eq_u32_e32 vcc_lo, 1, v71
	v_dual_sub_nc_u32 v59, v62, v10 :: v_dual_bitop2_b32 v37, 1, v37 bitop3:0x40
	v_dual_add_nc_u32 v54, 3, v54 :: v_dual_bitop2_b32 v48, 1, v48 bitop3:0x40
	v_cndmask_b32_e32 v49, v49, v64, vcc_lo
	v_dual_sub_nc_u32 v62, v78, v8 :: v_dual_lshlrev_b32 v50, 2, v50
	s_delay_alu instid0(VALU_DEP_4) | instskip(SKIP_1) | instid1(VALU_DEP_4)
	v_add_nc_u32_e32 v59, v59, v6
	v_cmp_eq_u32_e32 vcc_lo, 1, v37
	v_lshlrev_b32_e32 v49, 2, v49
	v_add_nc_u64_e32 v[2:3], v[2:3], v[8:9]
	ds_store_b32 v50, v27
	v_dual_sub_nc_u32 v27, v61, v10 :: v_dual_cndmask_b32 v37, v54, v73, vcc_lo
	v_add_nc_u32_e32 v54, v62, v59
	v_cmp_eq_u32_e32 vcc_lo, 1, v48
	ds_store_b32 v49, v24
	v_dual_sub_nc_u32 v48, v60, v8 :: v_dual_sub_nc_u32 v50, v79, v10
	v_dual_cndmask_b32 v37, v37, v63 :: v_dual_sub_nc_u32 v24, v15, v54
	v_dual_add_nc_u32 v27, v27, v6 :: v_dual_mov_b32 v67, v9
	s_delay_alu instid0(VALU_DEP_2) | instskip(NEXT) | instid1(VALU_DEP_3)
	v_dual_mov_b32 v13, v9 :: v_dual_add_nc_u32 v24, 4, v24
	v_dual_lshlrev_b32 v37, 2, v37 :: v_dual_bitop2_b32 v49, 1, v70 bitop3:0x40
	s_delay_alu instid0(VALU_DEP_3)
	v_add_nc_u32_e32 v54, v48, v27
	s_mov_b32 s0, -1
	v_and_b32_e32 v40, 1, v40
	ds_store_b32 v37, v25
	v_cmp_eq_u32_e32 vcc_lo, 1, v49
	v_dual_sub_nc_u32 v49, v80, v8 :: v_dual_bitop2_b32 v38, 1, v38 bitop3:0x40
	v_dual_add_nc_u32 v50, v50, v6 :: v_dual_bitop2_b32 v37, 1, v69 bitop3:0x40
	v_cndmask_b32_e32 v24, v24, v59, vcc_lo
	s_delay_alu instid0(VALU_DEP_3) | instskip(SKIP_1) | instid1(VALU_DEP_3)
	v_cmp_eq_u32_e32 vcc_lo, 1, v38
	v_and_b32_e32 v32, 1, v32
	v_dual_cndmask_b32 v24, v24, v62, vcc_lo :: v_dual_bitop2_b32 v31, 1, v31 bitop3:0x40
	v_sub_nc_u32_e32 v54, v15, v54
	v_cmp_eq_u32_e32 vcc_lo, 1, v37
	s_delay_alu instid0(VALU_DEP_3) | instskip(NEXT) | instid1(VALU_DEP_3)
	v_dual_sub_nc_u32 v37, v57, v10 :: v_dual_lshlrev_b32 v24, 2, v24
	v_add_nc_u32_e32 v38, 5, v54
	v_dual_add_nc_u32 v25, v49, v50 :: v_dual_bitop2_b32 v54, 1, v68 bitop3:0x40
	ds_store_b32 v24, v22
	v_dual_cndmask_b32 v27, v38, v27, vcc_lo :: v_dual_sub_nc_u32 v25, v15, v25
	v_and_b32_e32 v22, 1, v47
	v_cmp_eq_u32_e32 vcc_lo, 1, v54
	v_dual_sub_nc_u32 v38, v55, v10 :: v_dual_sub_nc_u32 v47, v77, v8
	s_delay_alu instid0(VALU_DEP_4) | instskip(SKIP_3) | instid1(VALU_DEP_3)
	v_dual_cndmask_b32 v25, v27, v48 :: v_dual_add_nc_u32 v24, 6, v25
	v_sub_nc_u32_e32 v27, v82, v10
	v_cmp_eq_u32_e32 vcc_lo, 1, v22
	v_and_b32_e32 v33, 1, v33
	v_dual_lshlrev_b32 v25, 2, v25 :: v_dual_add_nc_u32 v27, v27, v6
	v_cndmask_b32_e32 v22, v24, v50, vcc_lo
	v_sub_nc_u32_e32 v24, v56, v8
	s_delay_alu instid0(VALU_DEP_4)
	v_cmp_eq_u32_e32 vcc_lo, 1, v33
	ds_store_b32 v25, v23
	v_dual_sub_nc_u32 v23, v83, v8 :: v_dual_add_nc_u32 v25, v37, v6
	v_dual_cndmask_b32 v22, v22, v49 :: v_dual_add_nc_u32 v33, v24, v27
	v_and_b32_e32 v37, 1, v46
	v_cmp_eq_u32_e32 vcc_lo, 1, v40
	s_delay_alu instid0(VALU_DEP_4) | instskip(NEXT) | instid1(VALU_DEP_4)
	v_add_nc_u32_e32 v46, v23, v25
	v_dual_sub_nc_u32 v33, v15, v33 :: v_dual_lshlrev_b32 v22, 2, v22
	s_delay_alu instid0(VALU_DEP_1)
	v_dual_sub_nc_u32 v46, v15, v46 :: v_dual_add_nc_u32 v33, 7, v33
	v_add_nc_u32_e32 v38, v38, v6
	ds_store_b32 v22, v20
	v_dual_cndmask_b32 v27, v33, v27, vcc_lo :: v_dual_bitop2_b32 v22, 1, v45 bitop3:0x40
	v_cmp_eq_u32_e32 vcc_lo, 1, v37
	v_add_nc_u32_e32 v33, v47, v38
	s_delay_alu instid0(VALU_DEP_3) | instskip(SKIP_2) | instid1(VALU_DEP_3)
	v_dual_add_nc_u32 v40, 8, v46 :: v_dual_cndmask_b32 v24, v27, v24, vcc_lo
	v_and_b32_e32 v27, 1, v41
	v_cmp_eq_u32_e32 vcc_lo, 1, v32
	v_dual_sub_nc_u32 v33, v15, v33 :: v_dual_lshlrev_b32 v24, 2, v24
	s_delay_alu instid0(VALU_DEP_4) | instskip(NEXT) | instid1(VALU_DEP_4)
	v_cndmask_b32_e32 v25, v40, v25, vcc_lo
	v_cmp_eq_u32_e32 vcc_lo, 1, v27
	s_delay_alu instid0(VALU_DEP_3) | instskip(NEXT) | instid1(VALU_DEP_3)
	v_dual_add_nc_u32 v32, 9, v33 :: v_dual_bitop2_b32 v27, 1, v30 bitop3:0x40
	v_dual_cndmask_b32 v23, v25, v23 :: v_dual_sub_nc_u32 v30, v36, v8
	v_sub_nc_u32_e32 v25, v28, v10
	v_cmp_eq_u32_e32 vcc_lo, 1, v31
	s_delay_alu instid0(VALU_DEP_2)
	v_dual_lshlrev_b32 v23, 2, v23 :: v_dual_add_nc_u32 v25, v25, v6
	v_cndmask_b32_e32 v28, v32, v38, vcc_lo
	v_cmp_eq_u32_e32 vcc_lo, 1, v27
	ds_store_b32 v24, v21
	ds_store_b32 v23, v18
	v_sub_nc_u32_e32 v21, v58, v10
	v_dual_add_nc_u32 v20, v30, v25 :: v_dual_sub_nc_u32 v23, v51, v8
	v_dual_cndmask_b32 v27, v28, v47 :: v_dual_sub_nc_u32 v8, v26, v8
	s_delay_alu instid0(VALU_DEP_2) | instskip(NEXT) | instid1(VALU_DEP_2)
	v_dual_add_nc_u32 v1, v1, v6 :: v_dual_sub_nc_u32 v20, v15, v20
	v_dual_add_nc_u32 v21, v21, v6 :: v_dual_lshlrev_b32 v18, 2, v27
	v_cmp_eq_u32_e32 vcc_lo, 1, v22
	s_delay_alu instid0(VALU_DEP_3) | instskip(SKIP_3) | instid1(VALU_DEP_1)
	v_dual_add_nc_u32 v22, v8, v1 :: v_dual_add_nc_u32 v20, 10, v20
	ds_store_b32 v18, v19
	v_cndmask_b32_e32 v20, v20, v25, vcc_lo
	v_add_nc_u32_e32 v26, v23, v21
	v_dual_sub_nc_u32 v18, v15, v26 :: v_dual_bitop2_b32 v24, 1, v29 bitop3:0x40
	s_delay_alu instid0(VALU_DEP_1) | instskip(SKIP_1) | instid1(VALU_DEP_3)
	v_cmp_eq_u32_e32 vcc_lo, 1, v24
	v_dual_sub_nc_u32 v15, v15, v22 :: v_dual_bitop2_b32 v24, 1, v39 bitop3:0x40
	v_dual_add_nc_u32 v25, 11, v18 :: v_dual_bitop2_b32 v22, 1, v44 bitop3:0x40
	v_cndmask_b32_e32 v20, v20, v30, vcc_lo
	s_delay_alu instid0(VALU_DEP_3) | instskip(SKIP_4) | instid1(VALU_DEP_4)
	v_cmp_eq_u32_e32 vcc_lo, 1, v24
	v_and_b32_e32 v26, 1, v43
	v_dual_add_nc_u32 v15, 12, v15 :: v_dual_bitop2_b32 v24, 1, v42 bitop3:0x40
	v_add_nc_u64_e32 v[18:19], v[12:13], v[66:67]
	v_cndmask_b32_e32 v21, v25, v21, vcc_lo
	v_cmp_eq_u32_e32 vcc_lo, 1, v26
	s_delay_alu instid0(VALU_DEP_4)
	v_dual_cndmask_b32 v1, v15, v1 :: v_dual_lshlrev_b32 v20, 2, v20
	v_cmp_eq_u32_e32 vcc_lo, 1, v22
	v_add_nc_u64_e32 v[18:19], v[18:19], v[52:53]
	v_mov_b32_e32 v15, v9
	ds_store_b32 v20, v16
	v_cndmask_b32_e32 v21, v21, v23, vcc_lo
	v_cmp_eq_u32_e32 vcc_lo, 1, v24
	s_delay_alu instid0(VALU_DEP_2)
	v_dual_cndmask_b32 v1, v1, v8 :: v_dual_lshlrev_b32 v22, 2, v21
	v_add_nc_u64_e32 v[8:9], s[34:35], v[14:15]
	v_add_nc_u64_e32 v[14:15], v[18:19], v[2:3]
	v_lshlrev_b64_e32 v[18:19], 2, v[52:53]
	v_lshlrev_b64_e32 v[20:21], 2, v[2:3]
	v_lshlrev_b32_e32 v1, 2, v1
	v_cmp_ne_u32_e32 vcc_lo, 1, v35
	v_sub_nc_u64_e32 v[14:15], v[8:9], v[14:15]
	v_add_nc_u64_e32 v[8:9], s[30:31], v[18:19]
	v_add_nc_u32_e32 v18, v6, v12
	ds_store_b32 v22, v17
	ds_store_b32 v1, v34
	v_add_nc_u64_e32 v[16:17], s[28:29], v[20:21]
	s_wait_dscnt 0x0
	s_barrier_signal -1
	s_barrier_wait -1
	s_cbranch_vccz .LBB1689_154
; %bb.151:
	s_and_b32 vcc_lo, exec_lo, s0
	s_cbranch_vccnz .LBB1689_259
.LBB1689_152:
	s_and_b32 s0, s2, s26
	s_delay_alu instid0(SALU_CYCLE_1)
	s_and_saveexec_b32 s1, s0
	s_cbranch_execnz .LBB1689_377
.LBB1689_153:
	s_sendmsg sendmsg(MSG_DEALLOC_VGPRS)
	s_endpgm
.LBB1689_154:
	s_mov_b32 s0, exec_lo
	v_cmpx_ge_u32_e64 v0, v6
	s_xor_b32 s0, exec_lo, s0
	s_cbranch_execz .LBB1689_160
; %bb.155:
	v_mov_b32_e32 v1, 0
	s_mov_b32 s1, exec_lo
	v_cmpx_ge_u32_e64 v0, v18
	s_xor_b32 s1, exec_lo, s1
	s_cbranch_execz .LBB1689_157
; %bb.156:
	v_lshlrev_b32_e32 v19, 2, v0
	v_add_nc_u64_e32 v[20:21], v[14:15], v[0:1]
	ds_load_b32 v1, v19
	v_lshlrev_b64_e32 v[20:21], 2, v[20:21]
	s_delay_alu instid0(VALU_DEP_1)
	v_sub_nc_u64_e32 v[20:21], s[14:15], v[20:21]
	s_wait_dscnt 0x0
	global_store_b32 v[20:21], v1, off offset:-4
.LBB1689_157:
	s_wait_xcnt 0x0
	s_and_not1_saveexec_b32 s1, s1
	s_cbranch_execz .LBB1689_159
; %bb.158:
	v_lshlrev_b32_e32 v1, 2, v0
	v_readfirstlane_b32 s6, v8
	v_readfirstlane_b32 s7, v9
	ds_load_b32 v1, v1
	s_wait_dscnt 0x0
	global_store_b32 v0, v1, s[6:7] scale_offset
.LBB1689_159:
	s_wait_xcnt 0x0
	s_or_b32 exec_lo, exec_lo, s1
.LBB1689_160:
	s_and_not1_saveexec_b32 s0, s0
	s_cbranch_execz .LBB1689_162
; %bb.161:
	v_lshlrev_b32_e32 v1, 2, v0
	v_readfirstlane_b32 s6, v16
	v_readfirstlane_b32 s7, v17
	ds_load_b32 v1, v1
	s_wait_dscnt 0x0
	global_store_b32 v0, v1, s[6:7] scale_offset
.LBB1689_162:
	s_wait_xcnt 0x0
	s_or_b32 exec_lo, exec_lo, s0
	v_or_b32_e32 v1, 0x100, v0
	s_mov_b32 s0, exec_lo
	s_delay_alu instid0(VALU_DEP_1)
	v_cmpx_ge_u32_e64 v1, v6
	s_xor_b32 s0, exec_lo, s0
	s_cbranch_execz .LBB1689_168
; %bb.163:
	s_mov_b32 s1, exec_lo
	v_cmpx_ge_u32_e64 v1, v18
	s_xor_b32 s1, exec_lo, s1
	s_cbranch_execz .LBB1689_165
; %bb.164:
	v_dual_mov_b32 v1, 0 :: v_dual_lshlrev_b32 v19, 2, v0
	s_delay_alu instid0(VALU_DEP_1) | instskip(SKIP_2) | instid1(VALU_DEP_1)
	v_add_nc_u64_e32 v[20:21], v[14:15], v[0:1]
	ds_load_b32 v1, v19 offset:1024
	v_lshlrev_b64_e32 v[20:21], 2, v[20:21]
	v_sub_nc_u64_e32 v[20:21], s[14:15], v[20:21]
	s_wait_dscnt 0x0
	global_store_b32 v[20:21], v1, off offset:-1028
.LBB1689_165:
	s_wait_xcnt 0x0
	s_and_not1_saveexec_b32 s1, s1
	s_cbranch_execz .LBB1689_167
; %bb.166:
	v_lshlrev_b32_e32 v1, 2, v0
	v_readfirstlane_b32 s6, v8
	v_readfirstlane_b32 s7, v9
	ds_load_b32 v1, v1 offset:1024
	s_wait_dscnt 0x0
	global_store_b32 v0, v1, s[6:7] offset:1024 scale_offset
.LBB1689_167:
	s_wait_xcnt 0x0
	s_or_b32 exec_lo, exec_lo, s1
.LBB1689_168:
	s_and_not1_saveexec_b32 s0, s0
	s_cbranch_execz .LBB1689_170
; %bb.169:
	v_lshlrev_b32_e32 v1, 2, v0
	v_readfirstlane_b32 s6, v16
	v_readfirstlane_b32 s7, v17
	ds_load_b32 v1, v1 offset:1024
	s_wait_dscnt 0x0
	global_store_b32 v0, v1, s[6:7] offset:1024 scale_offset
.LBB1689_170:
	s_wait_xcnt 0x0
	s_or_b32 exec_lo, exec_lo, s0
	v_or_b32_e32 v1, 0x200, v0
	s_mov_b32 s0, exec_lo
	s_delay_alu instid0(VALU_DEP_1)
	v_cmpx_ge_u32_e64 v1, v6
	s_xor_b32 s0, exec_lo, s0
	s_cbranch_execz .LBB1689_176
; %bb.171:
	s_mov_b32 s1, exec_lo
	v_cmpx_ge_u32_e64 v1, v18
	s_xor_b32 s1, exec_lo, s1
	s_cbranch_execz .LBB1689_173
; %bb.172:
	v_dual_mov_b32 v1, 0 :: v_dual_lshlrev_b32 v19, 2, v0
	s_delay_alu instid0(VALU_DEP_1) | instskip(SKIP_2) | instid1(VALU_DEP_1)
	v_add_nc_u64_e32 v[20:21], v[14:15], v[0:1]
	ds_load_b32 v1, v19 offset:2048
	v_lshlrev_b64_e32 v[20:21], 2, v[20:21]
	v_sub_nc_u64_e32 v[20:21], s[14:15], v[20:21]
	s_wait_dscnt 0x0
	global_store_b32 v[20:21], v1, off offset:-2052
.LBB1689_173:
	s_wait_xcnt 0x0
	s_and_not1_saveexec_b32 s1, s1
	s_cbranch_execz .LBB1689_175
; %bb.174:
	v_lshlrev_b32_e32 v1, 2, v0
	v_readfirstlane_b32 s6, v8
	v_readfirstlane_b32 s7, v9
	ds_load_b32 v1, v1 offset:2048
	s_wait_dscnt 0x0
	global_store_b32 v0, v1, s[6:7] offset:2048 scale_offset
.LBB1689_175:
	s_wait_xcnt 0x0
	s_or_b32 exec_lo, exec_lo, s1
.LBB1689_176:
	s_and_not1_saveexec_b32 s0, s0
	s_cbranch_execz .LBB1689_178
; %bb.177:
	v_lshlrev_b32_e32 v1, 2, v0
	v_readfirstlane_b32 s6, v16
	v_readfirstlane_b32 s7, v17
	ds_load_b32 v1, v1 offset:2048
	s_wait_dscnt 0x0
	global_store_b32 v0, v1, s[6:7] offset:2048 scale_offset
.LBB1689_178:
	;; [unrolled: 47-line block ×12, first 2 shown]
	s_wait_xcnt 0x0
	s_or_b32 exec_lo, exec_lo, s0
	s_branch .LBB1689_152
.LBB1689_259:
	s_mov_b32 s0, exec_lo
	v_cmpx_gt_u32_e64 s5, v0
	s_cbranch_execz .LBB1689_268
; %bb.260:
	s_mov_b32 s1, exec_lo
	v_cmpx_ge_u32_e64 v0, v6
	s_xor_b32 s1, exec_lo, s1
	s_cbranch_execz .LBB1689_266
; %bb.261:
	v_mov_b32_e32 v1, 0
	s_mov_b32 s3, exec_lo
	v_cmpx_ge_u32_e64 v0, v18
	s_xor_b32 s3, exec_lo, s3
	s_cbranch_execz .LBB1689_263
; %bb.262:
	v_lshlrev_b32_e32 v19, 2, v0
	v_add_nc_u64_e32 v[20:21], v[14:15], v[0:1]
	ds_load_b32 v1, v19
	v_lshlrev_b64_e32 v[20:21], 2, v[20:21]
	s_delay_alu instid0(VALU_DEP_1)
	v_sub_nc_u64_e32 v[20:21], s[14:15], v[20:21]
	s_wait_dscnt 0x0
	global_store_b32 v[20:21], v1, off offset:-4
.LBB1689_263:
	s_wait_xcnt 0x0
	s_and_not1_saveexec_b32 s3, s3
	s_cbranch_execz .LBB1689_265
; %bb.264:
	v_lshlrev_b32_e32 v1, 2, v0
	v_readfirstlane_b32 s6, v8
	v_readfirstlane_b32 s7, v9
	ds_load_b32 v1, v1
	s_wait_dscnt 0x0
	global_store_b32 v0, v1, s[6:7] scale_offset
.LBB1689_265:
	s_wait_xcnt 0x0
	s_or_b32 exec_lo, exec_lo, s3
.LBB1689_266:
	s_and_not1_saveexec_b32 s1, s1
	s_cbranch_execz .LBB1689_268
; %bb.267:
	v_lshlrev_b32_e32 v1, 2, v0
	v_readfirstlane_b32 s6, v16
	v_readfirstlane_b32 s7, v17
	ds_load_b32 v1, v1
	s_wait_dscnt 0x0
	global_store_b32 v0, v1, s[6:7] scale_offset
.LBB1689_268:
	s_wait_xcnt 0x0
	s_or_b32 exec_lo, exec_lo, s0
	v_or_b32_e32 v1, 0x100, v0
	s_mov_b32 s0, exec_lo
	s_delay_alu instid0(VALU_DEP_1)
	v_cmpx_gt_u32_e64 s5, v1
	s_cbranch_execz .LBB1689_277
; %bb.269:
	s_mov_b32 s1, exec_lo
	v_cmpx_ge_u32_e64 v1, v6
	s_xor_b32 s1, exec_lo, s1
	s_cbranch_execz .LBB1689_275
; %bb.270:
	s_mov_b32 s3, exec_lo
	v_cmpx_ge_u32_e64 v1, v18
	s_xor_b32 s3, exec_lo, s3
	s_cbranch_execz .LBB1689_272
; %bb.271:
	v_dual_mov_b32 v1, 0 :: v_dual_lshlrev_b32 v19, 2, v0
	s_delay_alu instid0(VALU_DEP_1) | instskip(SKIP_2) | instid1(VALU_DEP_1)
	v_add_nc_u64_e32 v[20:21], v[14:15], v[0:1]
	ds_load_b32 v1, v19 offset:1024
	v_lshlrev_b64_e32 v[20:21], 2, v[20:21]
	v_sub_nc_u64_e32 v[20:21], s[14:15], v[20:21]
	s_wait_dscnt 0x0
	global_store_b32 v[20:21], v1, off offset:-1028
.LBB1689_272:
	s_wait_xcnt 0x0
	s_and_not1_saveexec_b32 s3, s3
	s_cbranch_execz .LBB1689_274
; %bb.273:
	v_lshlrev_b32_e32 v1, 2, v0
	v_readfirstlane_b32 s6, v8
	v_readfirstlane_b32 s7, v9
	ds_load_b32 v1, v1 offset:1024
	s_wait_dscnt 0x0
	global_store_b32 v0, v1, s[6:7] offset:1024 scale_offset
.LBB1689_274:
	s_wait_xcnt 0x0
	s_or_b32 exec_lo, exec_lo, s3
.LBB1689_275:
	s_and_not1_saveexec_b32 s1, s1
	s_cbranch_execz .LBB1689_277
; %bb.276:
	v_lshlrev_b32_e32 v1, 2, v0
	v_readfirstlane_b32 s6, v16
	v_readfirstlane_b32 s7, v17
	ds_load_b32 v1, v1 offset:1024
	s_wait_dscnt 0x0
	global_store_b32 v0, v1, s[6:7] offset:1024 scale_offset
.LBB1689_277:
	s_wait_xcnt 0x0
	s_or_b32 exec_lo, exec_lo, s0
	v_or_b32_e32 v1, 0x200, v0
	s_mov_b32 s0, exec_lo
	s_delay_alu instid0(VALU_DEP_1)
	v_cmpx_gt_u32_e64 s5, v1
	s_cbranch_execz .LBB1689_286
; %bb.278:
	s_mov_b32 s1, exec_lo
	v_cmpx_ge_u32_e64 v1, v6
	s_xor_b32 s1, exec_lo, s1
	s_cbranch_execz .LBB1689_284
; %bb.279:
	s_mov_b32 s3, exec_lo
	v_cmpx_ge_u32_e64 v1, v18
	s_xor_b32 s3, exec_lo, s3
	s_cbranch_execz .LBB1689_281
; %bb.280:
	v_dual_mov_b32 v1, 0 :: v_dual_lshlrev_b32 v19, 2, v0
	s_delay_alu instid0(VALU_DEP_1) | instskip(SKIP_2) | instid1(VALU_DEP_1)
	v_add_nc_u64_e32 v[20:21], v[14:15], v[0:1]
	ds_load_b32 v1, v19 offset:2048
	v_lshlrev_b64_e32 v[20:21], 2, v[20:21]
	v_sub_nc_u64_e32 v[20:21], s[14:15], v[20:21]
	s_wait_dscnt 0x0
	global_store_b32 v[20:21], v1, off offset:-2052
.LBB1689_281:
	s_wait_xcnt 0x0
	s_and_not1_saveexec_b32 s3, s3
	s_cbranch_execz .LBB1689_283
; %bb.282:
	v_lshlrev_b32_e32 v1, 2, v0
	v_readfirstlane_b32 s6, v8
	v_readfirstlane_b32 s7, v9
	ds_load_b32 v1, v1 offset:2048
	s_wait_dscnt 0x0
	global_store_b32 v0, v1, s[6:7] offset:2048 scale_offset
.LBB1689_283:
	s_wait_xcnt 0x0
	s_or_b32 exec_lo, exec_lo, s3
.LBB1689_284:
	s_and_not1_saveexec_b32 s1, s1
	s_cbranch_execz .LBB1689_286
; %bb.285:
	v_lshlrev_b32_e32 v1, 2, v0
	v_readfirstlane_b32 s6, v16
	v_readfirstlane_b32 s7, v17
	ds_load_b32 v1, v1 offset:2048
	s_wait_dscnt 0x0
	global_store_b32 v0, v1, s[6:7] offset:2048 scale_offset
.LBB1689_286:
	;; [unrolled: 51-line block ×11, first 2 shown]
	s_wait_xcnt 0x0
	s_or_b32 exec_lo, exec_lo, s0
	v_or_b32_e32 v1, 0xc00, v0
	s_mov_b32 s0, exec_lo
	s_delay_alu instid0(VALU_DEP_1)
	v_cmpx_gt_u32_e64 s5, v1
	s_cbranch_execz .LBB1689_376
; %bb.368:
	s_mov_b32 s1, exec_lo
	v_cmpx_ge_u32_e64 v1, v6
	s_xor_b32 s1, exec_lo, s1
	s_cbranch_execz .LBB1689_374
; %bb.369:
	s_mov_b32 s3, exec_lo
	v_cmpx_ge_u32_e64 v1, v18
	s_xor_b32 s3, exec_lo, s3
	s_cbranch_execz .LBB1689_371
; %bb.370:
	v_dual_mov_b32 v1, 0 :: v_dual_lshlrev_b32 v8, 2, v0
	s_delay_alu instid0(VALU_DEP_1) | instskip(SKIP_2) | instid1(VALU_DEP_1)
	v_add_nc_u64_e32 v[0:1], v[14:15], v[0:1]
	ds_load_b32 v8, v8 offset:12288
	v_lshlrev_b64_e32 v[0:1], 2, v[0:1]
	v_sub_nc_u64_e32 v[0:1], s[14:15], v[0:1]
	s_wait_dscnt 0x0
	global_store_b32 v[0:1], v8, off offset:-12292
                                        ; implicit-def: $vgpr0
                                        ; implicit-def: $vgpr8_vgpr9
.LBB1689_371:
	s_wait_xcnt 0x0
	s_and_not1_saveexec_b32 s3, s3
	s_cbranch_execz .LBB1689_373
; %bb.372:
	v_lshlrev_b32_e32 v1, 2, v0
	v_readfirstlane_b32 s4, v8
	v_readfirstlane_b32 s5, v9
	ds_load_b32 v1, v1 offset:12288
	s_wait_dscnt 0x0
	global_store_b32 v0, v1, s[4:5] offset:12288 scale_offset
.LBB1689_373:
	s_wait_xcnt 0x0
	s_or_b32 exec_lo, exec_lo, s3
                                        ; implicit-def: $vgpr0
                                        ; implicit-def: $vgpr16_vgpr17
.LBB1689_374:
	s_and_not1_saveexec_b32 s1, s1
	s_cbranch_execz .LBB1689_376
; %bb.375:
	v_lshlrev_b32_e32 v1, 2, v0
	v_readfirstlane_b32 s4, v16
	v_readfirstlane_b32 s5, v17
	ds_load_b32 v1, v1 offset:12288
	s_wait_dscnt 0x0
	global_store_b32 v0, v1, s[4:5] offset:12288 scale_offset
.LBB1689_376:
	s_wait_xcnt 0x0
	s_or_b32 exec_lo, exec_lo, s0
	s_and_b32 s0, s2, s26
	s_delay_alu instid0(SALU_CYCLE_1)
	s_and_saveexec_b32 s1, s0
	s_cbranch_execz .LBB1689_153
.LBB1689_377:
	v_add_nc_u64_e32 v[0:1], v[4:5], v[12:13]
	v_add_nc_u64_e32 v[2:3], v[2:3], v[6:7]
	s_delay_alu instid0(VALU_DEP_2)
	v_add_nc_u64_e32 v[4:5], v[0:1], v[10:11]
	v_mov_b32_e32 v0, 0
	global_store_b128 v0, v[2:5], s[24:25]
	s_sendmsg sendmsg(MSG_DEALLOC_VGPRS)
	s_endpgm
	.section	.rodata,"a",@progbits
	.p2align	6, 0x0
	.amdhsa_kernel _ZN7rocprim17ROCPRIM_400000_NS6detail17trampoline_kernelINS0_13select_configILj256ELj13ELNS0_17block_load_methodE3ELS4_3ELS4_3ELNS0_20block_scan_algorithmE0ELj4294967295EEENS1_25partition_config_selectorILNS1_17partition_subalgoE4EjNS0_10empty_typeEbEEZZNS1_14partition_implILS8_4ELb0ES6_15HIP_vector_typeIjLj2EENS0_17counting_iteratorIjlEEPS9_SG_NS0_5tupleIJPjSI_NS0_16reverse_iteratorISI_EEEEENSH_IJSG_SG_SG_EEES9_SI_JZNS1_25segmented_radix_sort_implINS0_14default_configELb1EPK6__halfPSP_PKlPlN2at6native12_GLOBAL__N_18offset_tEEE10hipError_tPvRmT1_PNSt15iterator_traitsIS13_E10value_typeET2_T3_PNS14_IS19_E10value_typeET4_jRbjT5_S1F_jjP12ihipStream_tbEUljE_ZNSN_ISO_Lb1ESR_SS_SU_SV_SZ_EES10_S11_S12_S13_S17_S18_S19_S1C_S1D_jS1E_jS1F_S1F_jjS1H_bEUljE0_EEES10_S11_S12_S19_S1D_S1F_T6_T7_T9_mT8_S1H_bDpT10_ENKUlT_T0_E_clISt17integral_constantIbLb0EES1U_IbLb1EEEEDaS1Q_S1R_EUlS1Q_E_NS1_11comp_targetILNS1_3genE0ELNS1_11target_archE4294967295ELNS1_3gpuE0ELNS1_3repE0EEENS1_30default_config_static_selectorELNS0_4arch9wavefront6targetE0EEEvS13_
		.amdhsa_group_segment_fixed_size 13328
		.amdhsa_private_segment_fixed_size 0
		.amdhsa_kernarg_size 184
		.amdhsa_user_sgpr_count 2
		.amdhsa_user_sgpr_dispatch_ptr 0
		.amdhsa_user_sgpr_queue_ptr 0
		.amdhsa_user_sgpr_kernarg_segment_ptr 1
		.amdhsa_user_sgpr_dispatch_id 0
		.amdhsa_user_sgpr_kernarg_preload_length 0
		.amdhsa_user_sgpr_kernarg_preload_offset 0
		.amdhsa_user_sgpr_private_segment_size 0
		.amdhsa_wavefront_size32 1
		.amdhsa_uses_dynamic_stack 0
		.amdhsa_enable_private_segment 0
		.amdhsa_system_sgpr_workgroup_id_x 1
		.amdhsa_system_sgpr_workgroup_id_y 0
		.amdhsa_system_sgpr_workgroup_id_z 0
		.amdhsa_system_sgpr_workgroup_info 0
		.amdhsa_system_vgpr_workitem_id 0
		.amdhsa_next_free_vgpr 86
		.amdhsa_next_free_sgpr 55
		.amdhsa_named_barrier_count 0
		.amdhsa_reserve_vcc 1
		.amdhsa_float_round_mode_32 0
		.amdhsa_float_round_mode_16_64 0
		.amdhsa_float_denorm_mode_32 3
		.amdhsa_float_denorm_mode_16_64 3
		.amdhsa_fp16_overflow 0
		.amdhsa_memory_ordered 1
		.amdhsa_forward_progress 1
		.amdhsa_inst_pref_size 140
		.amdhsa_round_robin_scheduling 0
		.amdhsa_exception_fp_ieee_invalid_op 0
		.amdhsa_exception_fp_denorm_src 0
		.amdhsa_exception_fp_ieee_div_zero 0
		.amdhsa_exception_fp_ieee_overflow 0
		.amdhsa_exception_fp_ieee_underflow 0
		.amdhsa_exception_fp_ieee_inexact 0
		.amdhsa_exception_int_div_zero 0
	.end_amdhsa_kernel
	.section	.text._ZN7rocprim17ROCPRIM_400000_NS6detail17trampoline_kernelINS0_13select_configILj256ELj13ELNS0_17block_load_methodE3ELS4_3ELS4_3ELNS0_20block_scan_algorithmE0ELj4294967295EEENS1_25partition_config_selectorILNS1_17partition_subalgoE4EjNS0_10empty_typeEbEEZZNS1_14partition_implILS8_4ELb0ES6_15HIP_vector_typeIjLj2EENS0_17counting_iteratorIjlEEPS9_SG_NS0_5tupleIJPjSI_NS0_16reverse_iteratorISI_EEEEENSH_IJSG_SG_SG_EEES9_SI_JZNS1_25segmented_radix_sort_implINS0_14default_configELb1EPK6__halfPSP_PKlPlN2at6native12_GLOBAL__N_18offset_tEEE10hipError_tPvRmT1_PNSt15iterator_traitsIS13_E10value_typeET2_T3_PNS14_IS19_E10value_typeET4_jRbjT5_S1F_jjP12ihipStream_tbEUljE_ZNSN_ISO_Lb1ESR_SS_SU_SV_SZ_EES10_S11_S12_S13_S17_S18_S19_S1C_S1D_jS1E_jS1F_S1F_jjS1H_bEUljE0_EEES10_S11_S12_S19_S1D_S1F_T6_T7_T9_mT8_S1H_bDpT10_ENKUlT_T0_E_clISt17integral_constantIbLb0EES1U_IbLb1EEEEDaS1Q_S1R_EUlS1Q_E_NS1_11comp_targetILNS1_3genE0ELNS1_11target_archE4294967295ELNS1_3gpuE0ELNS1_3repE0EEENS1_30default_config_static_selectorELNS0_4arch9wavefront6targetE0EEEvS13_,"axG",@progbits,_ZN7rocprim17ROCPRIM_400000_NS6detail17trampoline_kernelINS0_13select_configILj256ELj13ELNS0_17block_load_methodE3ELS4_3ELS4_3ELNS0_20block_scan_algorithmE0ELj4294967295EEENS1_25partition_config_selectorILNS1_17partition_subalgoE4EjNS0_10empty_typeEbEEZZNS1_14partition_implILS8_4ELb0ES6_15HIP_vector_typeIjLj2EENS0_17counting_iteratorIjlEEPS9_SG_NS0_5tupleIJPjSI_NS0_16reverse_iteratorISI_EEEEENSH_IJSG_SG_SG_EEES9_SI_JZNS1_25segmented_radix_sort_implINS0_14default_configELb1EPK6__halfPSP_PKlPlN2at6native12_GLOBAL__N_18offset_tEEE10hipError_tPvRmT1_PNSt15iterator_traitsIS13_E10value_typeET2_T3_PNS14_IS19_E10value_typeET4_jRbjT5_S1F_jjP12ihipStream_tbEUljE_ZNSN_ISO_Lb1ESR_SS_SU_SV_SZ_EES10_S11_S12_S13_S17_S18_S19_S1C_S1D_jS1E_jS1F_S1F_jjS1H_bEUljE0_EEES10_S11_S12_S19_S1D_S1F_T6_T7_T9_mT8_S1H_bDpT10_ENKUlT_T0_E_clISt17integral_constantIbLb0EES1U_IbLb1EEEEDaS1Q_S1R_EUlS1Q_E_NS1_11comp_targetILNS1_3genE0ELNS1_11target_archE4294967295ELNS1_3gpuE0ELNS1_3repE0EEENS1_30default_config_static_selectorELNS0_4arch9wavefront6targetE0EEEvS13_,comdat
.Lfunc_end1689:
	.size	_ZN7rocprim17ROCPRIM_400000_NS6detail17trampoline_kernelINS0_13select_configILj256ELj13ELNS0_17block_load_methodE3ELS4_3ELS4_3ELNS0_20block_scan_algorithmE0ELj4294967295EEENS1_25partition_config_selectorILNS1_17partition_subalgoE4EjNS0_10empty_typeEbEEZZNS1_14partition_implILS8_4ELb0ES6_15HIP_vector_typeIjLj2EENS0_17counting_iteratorIjlEEPS9_SG_NS0_5tupleIJPjSI_NS0_16reverse_iteratorISI_EEEEENSH_IJSG_SG_SG_EEES9_SI_JZNS1_25segmented_radix_sort_implINS0_14default_configELb1EPK6__halfPSP_PKlPlN2at6native12_GLOBAL__N_18offset_tEEE10hipError_tPvRmT1_PNSt15iterator_traitsIS13_E10value_typeET2_T3_PNS14_IS19_E10value_typeET4_jRbjT5_S1F_jjP12ihipStream_tbEUljE_ZNSN_ISO_Lb1ESR_SS_SU_SV_SZ_EES10_S11_S12_S13_S17_S18_S19_S1C_S1D_jS1E_jS1F_S1F_jjS1H_bEUljE0_EEES10_S11_S12_S19_S1D_S1F_T6_T7_T9_mT8_S1H_bDpT10_ENKUlT_T0_E_clISt17integral_constantIbLb0EES1U_IbLb1EEEEDaS1Q_S1R_EUlS1Q_E_NS1_11comp_targetILNS1_3genE0ELNS1_11target_archE4294967295ELNS1_3gpuE0ELNS1_3repE0EEENS1_30default_config_static_selectorELNS0_4arch9wavefront6targetE0EEEvS13_, .Lfunc_end1689-_ZN7rocprim17ROCPRIM_400000_NS6detail17trampoline_kernelINS0_13select_configILj256ELj13ELNS0_17block_load_methodE3ELS4_3ELS4_3ELNS0_20block_scan_algorithmE0ELj4294967295EEENS1_25partition_config_selectorILNS1_17partition_subalgoE4EjNS0_10empty_typeEbEEZZNS1_14partition_implILS8_4ELb0ES6_15HIP_vector_typeIjLj2EENS0_17counting_iteratorIjlEEPS9_SG_NS0_5tupleIJPjSI_NS0_16reverse_iteratorISI_EEEEENSH_IJSG_SG_SG_EEES9_SI_JZNS1_25segmented_radix_sort_implINS0_14default_configELb1EPK6__halfPSP_PKlPlN2at6native12_GLOBAL__N_18offset_tEEE10hipError_tPvRmT1_PNSt15iterator_traitsIS13_E10value_typeET2_T3_PNS14_IS19_E10value_typeET4_jRbjT5_S1F_jjP12ihipStream_tbEUljE_ZNSN_ISO_Lb1ESR_SS_SU_SV_SZ_EES10_S11_S12_S13_S17_S18_S19_S1C_S1D_jS1E_jS1F_S1F_jjS1H_bEUljE0_EEES10_S11_S12_S19_S1D_S1F_T6_T7_T9_mT8_S1H_bDpT10_ENKUlT_T0_E_clISt17integral_constantIbLb0EES1U_IbLb1EEEEDaS1Q_S1R_EUlS1Q_E_NS1_11comp_targetILNS1_3genE0ELNS1_11target_archE4294967295ELNS1_3gpuE0ELNS1_3repE0EEENS1_30default_config_static_selectorELNS0_4arch9wavefront6targetE0EEEvS13_
                                        ; -- End function
	.set _ZN7rocprim17ROCPRIM_400000_NS6detail17trampoline_kernelINS0_13select_configILj256ELj13ELNS0_17block_load_methodE3ELS4_3ELS4_3ELNS0_20block_scan_algorithmE0ELj4294967295EEENS1_25partition_config_selectorILNS1_17partition_subalgoE4EjNS0_10empty_typeEbEEZZNS1_14partition_implILS8_4ELb0ES6_15HIP_vector_typeIjLj2EENS0_17counting_iteratorIjlEEPS9_SG_NS0_5tupleIJPjSI_NS0_16reverse_iteratorISI_EEEEENSH_IJSG_SG_SG_EEES9_SI_JZNS1_25segmented_radix_sort_implINS0_14default_configELb1EPK6__halfPSP_PKlPlN2at6native12_GLOBAL__N_18offset_tEEE10hipError_tPvRmT1_PNSt15iterator_traitsIS13_E10value_typeET2_T3_PNS14_IS19_E10value_typeET4_jRbjT5_S1F_jjP12ihipStream_tbEUljE_ZNSN_ISO_Lb1ESR_SS_SU_SV_SZ_EES10_S11_S12_S13_S17_S18_S19_S1C_S1D_jS1E_jS1F_S1F_jjS1H_bEUljE0_EEES10_S11_S12_S19_S1D_S1F_T6_T7_T9_mT8_S1H_bDpT10_ENKUlT_T0_E_clISt17integral_constantIbLb0EES1U_IbLb1EEEEDaS1Q_S1R_EUlS1Q_E_NS1_11comp_targetILNS1_3genE0ELNS1_11target_archE4294967295ELNS1_3gpuE0ELNS1_3repE0EEENS1_30default_config_static_selectorELNS0_4arch9wavefront6targetE0EEEvS13_.num_vgpr, 86
	.set _ZN7rocprim17ROCPRIM_400000_NS6detail17trampoline_kernelINS0_13select_configILj256ELj13ELNS0_17block_load_methodE3ELS4_3ELS4_3ELNS0_20block_scan_algorithmE0ELj4294967295EEENS1_25partition_config_selectorILNS1_17partition_subalgoE4EjNS0_10empty_typeEbEEZZNS1_14partition_implILS8_4ELb0ES6_15HIP_vector_typeIjLj2EENS0_17counting_iteratorIjlEEPS9_SG_NS0_5tupleIJPjSI_NS0_16reverse_iteratorISI_EEEEENSH_IJSG_SG_SG_EEES9_SI_JZNS1_25segmented_radix_sort_implINS0_14default_configELb1EPK6__halfPSP_PKlPlN2at6native12_GLOBAL__N_18offset_tEEE10hipError_tPvRmT1_PNSt15iterator_traitsIS13_E10value_typeET2_T3_PNS14_IS19_E10value_typeET4_jRbjT5_S1F_jjP12ihipStream_tbEUljE_ZNSN_ISO_Lb1ESR_SS_SU_SV_SZ_EES10_S11_S12_S13_S17_S18_S19_S1C_S1D_jS1E_jS1F_S1F_jjS1H_bEUljE0_EEES10_S11_S12_S19_S1D_S1F_T6_T7_T9_mT8_S1H_bDpT10_ENKUlT_T0_E_clISt17integral_constantIbLb0EES1U_IbLb1EEEEDaS1Q_S1R_EUlS1Q_E_NS1_11comp_targetILNS1_3genE0ELNS1_11target_archE4294967295ELNS1_3gpuE0ELNS1_3repE0EEENS1_30default_config_static_selectorELNS0_4arch9wavefront6targetE0EEEvS13_.num_agpr, 0
	.set _ZN7rocprim17ROCPRIM_400000_NS6detail17trampoline_kernelINS0_13select_configILj256ELj13ELNS0_17block_load_methodE3ELS4_3ELS4_3ELNS0_20block_scan_algorithmE0ELj4294967295EEENS1_25partition_config_selectorILNS1_17partition_subalgoE4EjNS0_10empty_typeEbEEZZNS1_14partition_implILS8_4ELb0ES6_15HIP_vector_typeIjLj2EENS0_17counting_iteratorIjlEEPS9_SG_NS0_5tupleIJPjSI_NS0_16reverse_iteratorISI_EEEEENSH_IJSG_SG_SG_EEES9_SI_JZNS1_25segmented_radix_sort_implINS0_14default_configELb1EPK6__halfPSP_PKlPlN2at6native12_GLOBAL__N_18offset_tEEE10hipError_tPvRmT1_PNSt15iterator_traitsIS13_E10value_typeET2_T3_PNS14_IS19_E10value_typeET4_jRbjT5_S1F_jjP12ihipStream_tbEUljE_ZNSN_ISO_Lb1ESR_SS_SU_SV_SZ_EES10_S11_S12_S13_S17_S18_S19_S1C_S1D_jS1E_jS1F_S1F_jjS1H_bEUljE0_EEES10_S11_S12_S19_S1D_S1F_T6_T7_T9_mT8_S1H_bDpT10_ENKUlT_T0_E_clISt17integral_constantIbLb0EES1U_IbLb1EEEEDaS1Q_S1R_EUlS1Q_E_NS1_11comp_targetILNS1_3genE0ELNS1_11target_archE4294967295ELNS1_3gpuE0ELNS1_3repE0EEENS1_30default_config_static_selectorELNS0_4arch9wavefront6targetE0EEEvS13_.numbered_sgpr, 55
	.set _ZN7rocprim17ROCPRIM_400000_NS6detail17trampoline_kernelINS0_13select_configILj256ELj13ELNS0_17block_load_methodE3ELS4_3ELS4_3ELNS0_20block_scan_algorithmE0ELj4294967295EEENS1_25partition_config_selectorILNS1_17partition_subalgoE4EjNS0_10empty_typeEbEEZZNS1_14partition_implILS8_4ELb0ES6_15HIP_vector_typeIjLj2EENS0_17counting_iteratorIjlEEPS9_SG_NS0_5tupleIJPjSI_NS0_16reverse_iteratorISI_EEEEENSH_IJSG_SG_SG_EEES9_SI_JZNS1_25segmented_radix_sort_implINS0_14default_configELb1EPK6__halfPSP_PKlPlN2at6native12_GLOBAL__N_18offset_tEEE10hipError_tPvRmT1_PNSt15iterator_traitsIS13_E10value_typeET2_T3_PNS14_IS19_E10value_typeET4_jRbjT5_S1F_jjP12ihipStream_tbEUljE_ZNSN_ISO_Lb1ESR_SS_SU_SV_SZ_EES10_S11_S12_S13_S17_S18_S19_S1C_S1D_jS1E_jS1F_S1F_jjS1H_bEUljE0_EEES10_S11_S12_S19_S1D_S1F_T6_T7_T9_mT8_S1H_bDpT10_ENKUlT_T0_E_clISt17integral_constantIbLb0EES1U_IbLb1EEEEDaS1Q_S1R_EUlS1Q_E_NS1_11comp_targetILNS1_3genE0ELNS1_11target_archE4294967295ELNS1_3gpuE0ELNS1_3repE0EEENS1_30default_config_static_selectorELNS0_4arch9wavefront6targetE0EEEvS13_.num_named_barrier, 0
	.set _ZN7rocprim17ROCPRIM_400000_NS6detail17trampoline_kernelINS0_13select_configILj256ELj13ELNS0_17block_load_methodE3ELS4_3ELS4_3ELNS0_20block_scan_algorithmE0ELj4294967295EEENS1_25partition_config_selectorILNS1_17partition_subalgoE4EjNS0_10empty_typeEbEEZZNS1_14partition_implILS8_4ELb0ES6_15HIP_vector_typeIjLj2EENS0_17counting_iteratorIjlEEPS9_SG_NS0_5tupleIJPjSI_NS0_16reverse_iteratorISI_EEEEENSH_IJSG_SG_SG_EEES9_SI_JZNS1_25segmented_radix_sort_implINS0_14default_configELb1EPK6__halfPSP_PKlPlN2at6native12_GLOBAL__N_18offset_tEEE10hipError_tPvRmT1_PNSt15iterator_traitsIS13_E10value_typeET2_T3_PNS14_IS19_E10value_typeET4_jRbjT5_S1F_jjP12ihipStream_tbEUljE_ZNSN_ISO_Lb1ESR_SS_SU_SV_SZ_EES10_S11_S12_S13_S17_S18_S19_S1C_S1D_jS1E_jS1F_S1F_jjS1H_bEUljE0_EEES10_S11_S12_S19_S1D_S1F_T6_T7_T9_mT8_S1H_bDpT10_ENKUlT_T0_E_clISt17integral_constantIbLb0EES1U_IbLb1EEEEDaS1Q_S1R_EUlS1Q_E_NS1_11comp_targetILNS1_3genE0ELNS1_11target_archE4294967295ELNS1_3gpuE0ELNS1_3repE0EEENS1_30default_config_static_selectorELNS0_4arch9wavefront6targetE0EEEvS13_.private_seg_size, 0
	.set _ZN7rocprim17ROCPRIM_400000_NS6detail17trampoline_kernelINS0_13select_configILj256ELj13ELNS0_17block_load_methodE3ELS4_3ELS4_3ELNS0_20block_scan_algorithmE0ELj4294967295EEENS1_25partition_config_selectorILNS1_17partition_subalgoE4EjNS0_10empty_typeEbEEZZNS1_14partition_implILS8_4ELb0ES6_15HIP_vector_typeIjLj2EENS0_17counting_iteratorIjlEEPS9_SG_NS0_5tupleIJPjSI_NS0_16reverse_iteratorISI_EEEEENSH_IJSG_SG_SG_EEES9_SI_JZNS1_25segmented_radix_sort_implINS0_14default_configELb1EPK6__halfPSP_PKlPlN2at6native12_GLOBAL__N_18offset_tEEE10hipError_tPvRmT1_PNSt15iterator_traitsIS13_E10value_typeET2_T3_PNS14_IS19_E10value_typeET4_jRbjT5_S1F_jjP12ihipStream_tbEUljE_ZNSN_ISO_Lb1ESR_SS_SU_SV_SZ_EES10_S11_S12_S13_S17_S18_S19_S1C_S1D_jS1E_jS1F_S1F_jjS1H_bEUljE0_EEES10_S11_S12_S19_S1D_S1F_T6_T7_T9_mT8_S1H_bDpT10_ENKUlT_T0_E_clISt17integral_constantIbLb0EES1U_IbLb1EEEEDaS1Q_S1R_EUlS1Q_E_NS1_11comp_targetILNS1_3genE0ELNS1_11target_archE4294967295ELNS1_3gpuE0ELNS1_3repE0EEENS1_30default_config_static_selectorELNS0_4arch9wavefront6targetE0EEEvS13_.uses_vcc, 1
	.set _ZN7rocprim17ROCPRIM_400000_NS6detail17trampoline_kernelINS0_13select_configILj256ELj13ELNS0_17block_load_methodE3ELS4_3ELS4_3ELNS0_20block_scan_algorithmE0ELj4294967295EEENS1_25partition_config_selectorILNS1_17partition_subalgoE4EjNS0_10empty_typeEbEEZZNS1_14partition_implILS8_4ELb0ES6_15HIP_vector_typeIjLj2EENS0_17counting_iteratorIjlEEPS9_SG_NS0_5tupleIJPjSI_NS0_16reverse_iteratorISI_EEEEENSH_IJSG_SG_SG_EEES9_SI_JZNS1_25segmented_radix_sort_implINS0_14default_configELb1EPK6__halfPSP_PKlPlN2at6native12_GLOBAL__N_18offset_tEEE10hipError_tPvRmT1_PNSt15iterator_traitsIS13_E10value_typeET2_T3_PNS14_IS19_E10value_typeET4_jRbjT5_S1F_jjP12ihipStream_tbEUljE_ZNSN_ISO_Lb1ESR_SS_SU_SV_SZ_EES10_S11_S12_S13_S17_S18_S19_S1C_S1D_jS1E_jS1F_S1F_jjS1H_bEUljE0_EEES10_S11_S12_S19_S1D_S1F_T6_T7_T9_mT8_S1H_bDpT10_ENKUlT_T0_E_clISt17integral_constantIbLb0EES1U_IbLb1EEEEDaS1Q_S1R_EUlS1Q_E_NS1_11comp_targetILNS1_3genE0ELNS1_11target_archE4294967295ELNS1_3gpuE0ELNS1_3repE0EEENS1_30default_config_static_selectorELNS0_4arch9wavefront6targetE0EEEvS13_.uses_flat_scratch, 0
	.set _ZN7rocprim17ROCPRIM_400000_NS6detail17trampoline_kernelINS0_13select_configILj256ELj13ELNS0_17block_load_methodE3ELS4_3ELS4_3ELNS0_20block_scan_algorithmE0ELj4294967295EEENS1_25partition_config_selectorILNS1_17partition_subalgoE4EjNS0_10empty_typeEbEEZZNS1_14partition_implILS8_4ELb0ES6_15HIP_vector_typeIjLj2EENS0_17counting_iteratorIjlEEPS9_SG_NS0_5tupleIJPjSI_NS0_16reverse_iteratorISI_EEEEENSH_IJSG_SG_SG_EEES9_SI_JZNS1_25segmented_radix_sort_implINS0_14default_configELb1EPK6__halfPSP_PKlPlN2at6native12_GLOBAL__N_18offset_tEEE10hipError_tPvRmT1_PNSt15iterator_traitsIS13_E10value_typeET2_T3_PNS14_IS19_E10value_typeET4_jRbjT5_S1F_jjP12ihipStream_tbEUljE_ZNSN_ISO_Lb1ESR_SS_SU_SV_SZ_EES10_S11_S12_S13_S17_S18_S19_S1C_S1D_jS1E_jS1F_S1F_jjS1H_bEUljE0_EEES10_S11_S12_S19_S1D_S1F_T6_T7_T9_mT8_S1H_bDpT10_ENKUlT_T0_E_clISt17integral_constantIbLb0EES1U_IbLb1EEEEDaS1Q_S1R_EUlS1Q_E_NS1_11comp_targetILNS1_3genE0ELNS1_11target_archE4294967295ELNS1_3gpuE0ELNS1_3repE0EEENS1_30default_config_static_selectorELNS0_4arch9wavefront6targetE0EEEvS13_.has_dyn_sized_stack, 0
	.set _ZN7rocprim17ROCPRIM_400000_NS6detail17trampoline_kernelINS0_13select_configILj256ELj13ELNS0_17block_load_methodE3ELS4_3ELS4_3ELNS0_20block_scan_algorithmE0ELj4294967295EEENS1_25partition_config_selectorILNS1_17partition_subalgoE4EjNS0_10empty_typeEbEEZZNS1_14partition_implILS8_4ELb0ES6_15HIP_vector_typeIjLj2EENS0_17counting_iteratorIjlEEPS9_SG_NS0_5tupleIJPjSI_NS0_16reverse_iteratorISI_EEEEENSH_IJSG_SG_SG_EEES9_SI_JZNS1_25segmented_radix_sort_implINS0_14default_configELb1EPK6__halfPSP_PKlPlN2at6native12_GLOBAL__N_18offset_tEEE10hipError_tPvRmT1_PNSt15iterator_traitsIS13_E10value_typeET2_T3_PNS14_IS19_E10value_typeET4_jRbjT5_S1F_jjP12ihipStream_tbEUljE_ZNSN_ISO_Lb1ESR_SS_SU_SV_SZ_EES10_S11_S12_S13_S17_S18_S19_S1C_S1D_jS1E_jS1F_S1F_jjS1H_bEUljE0_EEES10_S11_S12_S19_S1D_S1F_T6_T7_T9_mT8_S1H_bDpT10_ENKUlT_T0_E_clISt17integral_constantIbLb0EES1U_IbLb1EEEEDaS1Q_S1R_EUlS1Q_E_NS1_11comp_targetILNS1_3genE0ELNS1_11target_archE4294967295ELNS1_3gpuE0ELNS1_3repE0EEENS1_30default_config_static_selectorELNS0_4arch9wavefront6targetE0EEEvS13_.has_recursion, 0
	.set _ZN7rocprim17ROCPRIM_400000_NS6detail17trampoline_kernelINS0_13select_configILj256ELj13ELNS0_17block_load_methodE3ELS4_3ELS4_3ELNS0_20block_scan_algorithmE0ELj4294967295EEENS1_25partition_config_selectorILNS1_17partition_subalgoE4EjNS0_10empty_typeEbEEZZNS1_14partition_implILS8_4ELb0ES6_15HIP_vector_typeIjLj2EENS0_17counting_iteratorIjlEEPS9_SG_NS0_5tupleIJPjSI_NS0_16reverse_iteratorISI_EEEEENSH_IJSG_SG_SG_EEES9_SI_JZNS1_25segmented_radix_sort_implINS0_14default_configELb1EPK6__halfPSP_PKlPlN2at6native12_GLOBAL__N_18offset_tEEE10hipError_tPvRmT1_PNSt15iterator_traitsIS13_E10value_typeET2_T3_PNS14_IS19_E10value_typeET4_jRbjT5_S1F_jjP12ihipStream_tbEUljE_ZNSN_ISO_Lb1ESR_SS_SU_SV_SZ_EES10_S11_S12_S13_S17_S18_S19_S1C_S1D_jS1E_jS1F_S1F_jjS1H_bEUljE0_EEES10_S11_S12_S19_S1D_S1F_T6_T7_T9_mT8_S1H_bDpT10_ENKUlT_T0_E_clISt17integral_constantIbLb0EES1U_IbLb1EEEEDaS1Q_S1R_EUlS1Q_E_NS1_11comp_targetILNS1_3genE0ELNS1_11target_archE4294967295ELNS1_3gpuE0ELNS1_3repE0EEENS1_30default_config_static_selectorELNS0_4arch9wavefront6targetE0EEEvS13_.has_indirect_call, 0
	.section	.AMDGPU.csdata,"",@progbits
; Kernel info:
; codeLenInByte = 17828
; TotalNumSgprs: 57
; NumVgprs: 86
; ScratchSize: 0
; MemoryBound: 0
; FloatMode: 240
; IeeeMode: 1
; LDSByteSize: 13328 bytes/workgroup (compile time only)
; SGPRBlocks: 0
; VGPRBlocks: 5
; NumSGPRsForWavesPerEU: 57
; NumVGPRsForWavesPerEU: 86
; NamedBarCnt: 0
; Occupancy: 10
; WaveLimiterHint : 1
; COMPUTE_PGM_RSRC2:SCRATCH_EN: 0
; COMPUTE_PGM_RSRC2:USER_SGPR: 2
; COMPUTE_PGM_RSRC2:TRAP_HANDLER: 0
; COMPUTE_PGM_RSRC2:TGID_X_EN: 1
; COMPUTE_PGM_RSRC2:TGID_Y_EN: 0
; COMPUTE_PGM_RSRC2:TGID_Z_EN: 0
; COMPUTE_PGM_RSRC2:TIDIG_COMP_CNT: 0
	.section	.text._ZN7rocprim17ROCPRIM_400000_NS6detail17trampoline_kernelINS0_13select_configILj256ELj13ELNS0_17block_load_methodE3ELS4_3ELS4_3ELNS0_20block_scan_algorithmE0ELj4294967295EEENS1_25partition_config_selectorILNS1_17partition_subalgoE4EjNS0_10empty_typeEbEEZZNS1_14partition_implILS8_4ELb0ES6_15HIP_vector_typeIjLj2EENS0_17counting_iteratorIjlEEPS9_SG_NS0_5tupleIJPjSI_NS0_16reverse_iteratorISI_EEEEENSH_IJSG_SG_SG_EEES9_SI_JZNS1_25segmented_radix_sort_implINS0_14default_configELb1EPK6__halfPSP_PKlPlN2at6native12_GLOBAL__N_18offset_tEEE10hipError_tPvRmT1_PNSt15iterator_traitsIS13_E10value_typeET2_T3_PNS14_IS19_E10value_typeET4_jRbjT5_S1F_jjP12ihipStream_tbEUljE_ZNSN_ISO_Lb1ESR_SS_SU_SV_SZ_EES10_S11_S12_S13_S17_S18_S19_S1C_S1D_jS1E_jS1F_S1F_jjS1H_bEUljE0_EEES10_S11_S12_S19_S1D_S1F_T6_T7_T9_mT8_S1H_bDpT10_ENKUlT_T0_E_clISt17integral_constantIbLb0EES1U_IbLb1EEEEDaS1Q_S1R_EUlS1Q_E_NS1_11comp_targetILNS1_3genE5ELNS1_11target_archE942ELNS1_3gpuE9ELNS1_3repE0EEENS1_30default_config_static_selectorELNS0_4arch9wavefront6targetE0EEEvS13_,"axG",@progbits,_ZN7rocprim17ROCPRIM_400000_NS6detail17trampoline_kernelINS0_13select_configILj256ELj13ELNS0_17block_load_methodE3ELS4_3ELS4_3ELNS0_20block_scan_algorithmE0ELj4294967295EEENS1_25partition_config_selectorILNS1_17partition_subalgoE4EjNS0_10empty_typeEbEEZZNS1_14partition_implILS8_4ELb0ES6_15HIP_vector_typeIjLj2EENS0_17counting_iteratorIjlEEPS9_SG_NS0_5tupleIJPjSI_NS0_16reverse_iteratorISI_EEEEENSH_IJSG_SG_SG_EEES9_SI_JZNS1_25segmented_radix_sort_implINS0_14default_configELb1EPK6__halfPSP_PKlPlN2at6native12_GLOBAL__N_18offset_tEEE10hipError_tPvRmT1_PNSt15iterator_traitsIS13_E10value_typeET2_T3_PNS14_IS19_E10value_typeET4_jRbjT5_S1F_jjP12ihipStream_tbEUljE_ZNSN_ISO_Lb1ESR_SS_SU_SV_SZ_EES10_S11_S12_S13_S17_S18_S19_S1C_S1D_jS1E_jS1F_S1F_jjS1H_bEUljE0_EEES10_S11_S12_S19_S1D_S1F_T6_T7_T9_mT8_S1H_bDpT10_ENKUlT_T0_E_clISt17integral_constantIbLb0EES1U_IbLb1EEEEDaS1Q_S1R_EUlS1Q_E_NS1_11comp_targetILNS1_3genE5ELNS1_11target_archE942ELNS1_3gpuE9ELNS1_3repE0EEENS1_30default_config_static_selectorELNS0_4arch9wavefront6targetE0EEEvS13_,comdat
	.globl	_ZN7rocprim17ROCPRIM_400000_NS6detail17trampoline_kernelINS0_13select_configILj256ELj13ELNS0_17block_load_methodE3ELS4_3ELS4_3ELNS0_20block_scan_algorithmE0ELj4294967295EEENS1_25partition_config_selectorILNS1_17partition_subalgoE4EjNS0_10empty_typeEbEEZZNS1_14partition_implILS8_4ELb0ES6_15HIP_vector_typeIjLj2EENS0_17counting_iteratorIjlEEPS9_SG_NS0_5tupleIJPjSI_NS0_16reverse_iteratorISI_EEEEENSH_IJSG_SG_SG_EEES9_SI_JZNS1_25segmented_radix_sort_implINS0_14default_configELb1EPK6__halfPSP_PKlPlN2at6native12_GLOBAL__N_18offset_tEEE10hipError_tPvRmT1_PNSt15iterator_traitsIS13_E10value_typeET2_T3_PNS14_IS19_E10value_typeET4_jRbjT5_S1F_jjP12ihipStream_tbEUljE_ZNSN_ISO_Lb1ESR_SS_SU_SV_SZ_EES10_S11_S12_S13_S17_S18_S19_S1C_S1D_jS1E_jS1F_S1F_jjS1H_bEUljE0_EEES10_S11_S12_S19_S1D_S1F_T6_T7_T9_mT8_S1H_bDpT10_ENKUlT_T0_E_clISt17integral_constantIbLb0EES1U_IbLb1EEEEDaS1Q_S1R_EUlS1Q_E_NS1_11comp_targetILNS1_3genE5ELNS1_11target_archE942ELNS1_3gpuE9ELNS1_3repE0EEENS1_30default_config_static_selectorELNS0_4arch9wavefront6targetE0EEEvS13_ ; -- Begin function _ZN7rocprim17ROCPRIM_400000_NS6detail17trampoline_kernelINS0_13select_configILj256ELj13ELNS0_17block_load_methodE3ELS4_3ELS4_3ELNS0_20block_scan_algorithmE0ELj4294967295EEENS1_25partition_config_selectorILNS1_17partition_subalgoE4EjNS0_10empty_typeEbEEZZNS1_14partition_implILS8_4ELb0ES6_15HIP_vector_typeIjLj2EENS0_17counting_iteratorIjlEEPS9_SG_NS0_5tupleIJPjSI_NS0_16reverse_iteratorISI_EEEEENSH_IJSG_SG_SG_EEES9_SI_JZNS1_25segmented_radix_sort_implINS0_14default_configELb1EPK6__halfPSP_PKlPlN2at6native12_GLOBAL__N_18offset_tEEE10hipError_tPvRmT1_PNSt15iterator_traitsIS13_E10value_typeET2_T3_PNS14_IS19_E10value_typeET4_jRbjT5_S1F_jjP12ihipStream_tbEUljE_ZNSN_ISO_Lb1ESR_SS_SU_SV_SZ_EES10_S11_S12_S13_S17_S18_S19_S1C_S1D_jS1E_jS1F_S1F_jjS1H_bEUljE0_EEES10_S11_S12_S19_S1D_S1F_T6_T7_T9_mT8_S1H_bDpT10_ENKUlT_T0_E_clISt17integral_constantIbLb0EES1U_IbLb1EEEEDaS1Q_S1R_EUlS1Q_E_NS1_11comp_targetILNS1_3genE5ELNS1_11target_archE942ELNS1_3gpuE9ELNS1_3repE0EEENS1_30default_config_static_selectorELNS0_4arch9wavefront6targetE0EEEvS13_
	.p2align	8
	.type	_ZN7rocprim17ROCPRIM_400000_NS6detail17trampoline_kernelINS0_13select_configILj256ELj13ELNS0_17block_load_methodE3ELS4_3ELS4_3ELNS0_20block_scan_algorithmE0ELj4294967295EEENS1_25partition_config_selectorILNS1_17partition_subalgoE4EjNS0_10empty_typeEbEEZZNS1_14partition_implILS8_4ELb0ES6_15HIP_vector_typeIjLj2EENS0_17counting_iteratorIjlEEPS9_SG_NS0_5tupleIJPjSI_NS0_16reverse_iteratorISI_EEEEENSH_IJSG_SG_SG_EEES9_SI_JZNS1_25segmented_radix_sort_implINS0_14default_configELb1EPK6__halfPSP_PKlPlN2at6native12_GLOBAL__N_18offset_tEEE10hipError_tPvRmT1_PNSt15iterator_traitsIS13_E10value_typeET2_T3_PNS14_IS19_E10value_typeET4_jRbjT5_S1F_jjP12ihipStream_tbEUljE_ZNSN_ISO_Lb1ESR_SS_SU_SV_SZ_EES10_S11_S12_S13_S17_S18_S19_S1C_S1D_jS1E_jS1F_S1F_jjS1H_bEUljE0_EEES10_S11_S12_S19_S1D_S1F_T6_T7_T9_mT8_S1H_bDpT10_ENKUlT_T0_E_clISt17integral_constantIbLb0EES1U_IbLb1EEEEDaS1Q_S1R_EUlS1Q_E_NS1_11comp_targetILNS1_3genE5ELNS1_11target_archE942ELNS1_3gpuE9ELNS1_3repE0EEENS1_30default_config_static_selectorELNS0_4arch9wavefront6targetE0EEEvS13_,@function
_ZN7rocprim17ROCPRIM_400000_NS6detail17trampoline_kernelINS0_13select_configILj256ELj13ELNS0_17block_load_methodE3ELS4_3ELS4_3ELNS0_20block_scan_algorithmE0ELj4294967295EEENS1_25partition_config_selectorILNS1_17partition_subalgoE4EjNS0_10empty_typeEbEEZZNS1_14partition_implILS8_4ELb0ES6_15HIP_vector_typeIjLj2EENS0_17counting_iteratorIjlEEPS9_SG_NS0_5tupleIJPjSI_NS0_16reverse_iteratorISI_EEEEENSH_IJSG_SG_SG_EEES9_SI_JZNS1_25segmented_radix_sort_implINS0_14default_configELb1EPK6__halfPSP_PKlPlN2at6native12_GLOBAL__N_18offset_tEEE10hipError_tPvRmT1_PNSt15iterator_traitsIS13_E10value_typeET2_T3_PNS14_IS19_E10value_typeET4_jRbjT5_S1F_jjP12ihipStream_tbEUljE_ZNSN_ISO_Lb1ESR_SS_SU_SV_SZ_EES10_S11_S12_S13_S17_S18_S19_S1C_S1D_jS1E_jS1F_S1F_jjS1H_bEUljE0_EEES10_S11_S12_S19_S1D_S1F_T6_T7_T9_mT8_S1H_bDpT10_ENKUlT_T0_E_clISt17integral_constantIbLb0EES1U_IbLb1EEEEDaS1Q_S1R_EUlS1Q_E_NS1_11comp_targetILNS1_3genE5ELNS1_11target_archE942ELNS1_3gpuE9ELNS1_3repE0EEENS1_30default_config_static_selectorELNS0_4arch9wavefront6targetE0EEEvS13_: ; @_ZN7rocprim17ROCPRIM_400000_NS6detail17trampoline_kernelINS0_13select_configILj256ELj13ELNS0_17block_load_methodE3ELS4_3ELS4_3ELNS0_20block_scan_algorithmE0ELj4294967295EEENS1_25partition_config_selectorILNS1_17partition_subalgoE4EjNS0_10empty_typeEbEEZZNS1_14partition_implILS8_4ELb0ES6_15HIP_vector_typeIjLj2EENS0_17counting_iteratorIjlEEPS9_SG_NS0_5tupleIJPjSI_NS0_16reverse_iteratorISI_EEEEENSH_IJSG_SG_SG_EEES9_SI_JZNS1_25segmented_radix_sort_implINS0_14default_configELb1EPK6__halfPSP_PKlPlN2at6native12_GLOBAL__N_18offset_tEEE10hipError_tPvRmT1_PNSt15iterator_traitsIS13_E10value_typeET2_T3_PNS14_IS19_E10value_typeET4_jRbjT5_S1F_jjP12ihipStream_tbEUljE_ZNSN_ISO_Lb1ESR_SS_SU_SV_SZ_EES10_S11_S12_S13_S17_S18_S19_S1C_S1D_jS1E_jS1F_S1F_jjS1H_bEUljE0_EEES10_S11_S12_S19_S1D_S1F_T6_T7_T9_mT8_S1H_bDpT10_ENKUlT_T0_E_clISt17integral_constantIbLb0EES1U_IbLb1EEEEDaS1Q_S1R_EUlS1Q_E_NS1_11comp_targetILNS1_3genE5ELNS1_11target_archE942ELNS1_3gpuE9ELNS1_3repE0EEENS1_30default_config_static_selectorELNS0_4arch9wavefront6targetE0EEEvS13_
; %bb.0:
	.section	.rodata,"a",@progbits
	.p2align	6, 0x0
	.amdhsa_kernel _ZN7rocprim17ROCPRIM_400000_NS6detail17trampoline_kernelINS0_13select_configILj256ELj13ELNS0_17block_load_methodE3ELS4_3ELS4_3ELNS0_20block_scan_algorithmE0ELj4294967295EEENS1_25partition_config_selectorILNS1_17partition_subalgoE4EjNS0_10empty_typeEbEEZZNS1_14partition_implILS8_4ELb0ES6_15HIP_vector_typeIjLj2EENS0_17counting_iteratorIjlEEPS9_SG_NS0_5tupleIJPjSI_NS0_16reverse_iteratorISI_EEEEENSH_IJSG_SG_SG_EEES9_SI_JZNS1_25segmented_radix_sort_implINS0_14default_configELb1EPK6__halfPSP_PKlPlN2at6native12_GLOBAL__N_18offset_tEEE10hipError_tPvRmT1_PNSt15iterator_traitsIS13_E10value_typeET2_T3_PNS14_IS19_E10value_typeET4_jRbjT5_S1F_jjP12ihipStream_tbEUljE_ZNSN_ISO_Lb1ESR_SS_SU_SV_SZ_EES10_S11_S12_S13_S17_S18_S19_S1C_S1D_jS1E_jS1F_S1F_jjS1H_bEUljE0_EEES10_S11_S12_S19_S1D_S1F_T6_T7_T9_mT8_S1H_bDpT10_ENKUlT_T0_E_clISt17integral_constantIbLb0EES1U_IbLb1EEEEDaS1Q_S1R_EUlS1Q_E_NS1_11comp_targetILNS1_3genE5ELNS1_11target_archE942ELNS1_3gpuE9ELNS1_3repE0EEENS1_30default_config_static_selectorELNS0_4arch9wavefront6targetE0EEEvS13_
		.amdhsa_group_segment_fixed_size 0
		.amdhsa_private_segment_fixed_size 0
		.amdhsa_kernarg_size 184
		.amdhsa_user_sgpr_count 2
		.amdhsa_user_sgpr_dispatch_ptr 0
		.amdhsa_user_sgpr_queue_ptr 0
		.amdhsa_user_sgpr_kernarg_segment_ptr 1
		.amdhsa_user_sgpr_dispatch_id 0
		.amdhsa_user_sgpr_kernarg_preload_length 0
		.amdhsa_user_sgpr_kernarg_preload_offset 0
		.amdhsa_user_sgpr_private_segment_size 0
		.amdhsa_wavefront_size32 1
		.amdhsa_uses_dynamic_stack 0
		.amdhsa_enable_private_segment 0
		.amdhsa_system_sgpr_workgroup_id_x 1
		.amdhsa_system_sgpr_workgroup_id_y 0
		.amdhsa_system_sgpr_workgroup_id_z 0
		.amdhsa_system_sgpr_workgroup_info 0
		.amdhsa_system_vgpr_workitem_id 0
		.amdhsa_next_free_vgpr 1
		.amdhsa_next_free_sgpr 1
		.amdhsa_named_barrier_count 0
		.amdhsa_reserve_vcc 0
		.amdhsa_float_round_mode_32 0
		.amdhsa_float_round_mode_16_64 0
		.amdhsa_float_denorm_mode_32 3
		.amdhsa_float_denorm_mode_16_64 3
		.amdhsa_fp16_overflow 0
		.amdhsa_memory_ordered 1
		.amdhsa_forward_progress 1
		.amdhsa_inst_pref_size 0
		.amdhsa_round_robin_scheduling 0
		.amdhsa_exception_fp_ieee_invalid_op 0
		.amdhsa_exception_fp_denorm_src 0
		.amdhsa_exception_fp_ieee_div_zero 0
		.amdhsa_exception_fp_ieee_overflow 0
		.amdhsa_exception_fp_ieee_underflow 0
		.amdhsa_exception_fp_ieee_inexact 0
		.amdhsa_exception_int_div_zero 0
	.end_amdhsa_kernel
	.section	.text._ZN7rocprim17ROCPRIM_400000_NS6detail17trampoline_kernelINS0_13select_configILj256ELj13ELNS0_17block_load_methodE3ELS4_3ELS4_3ELNS0_20block_scan_algorithmE0ELj4294967295EEENS1_25partition_config_selectorILNS1_17partition_subalgoE4EjNS0_10empty_typeEbEEZZNS1_14partition_implILS8_4ELb0ES6_15HIP_vector_typeIjLj2EENS0_17counting_iteratorIjlEEPS9_SG_NS0_5tupleIJPjSI_NS0_16reverse_iteratorISI_EEEEENSH_IJSG_SG_SG_EEES9_SI_JZNS1_25segmented_radix_sort_implINS0_14default_configELb1EPK6__halfPSP_PKlPlN2at6native12_GLOBAL__N_18offset_tEEE10hipError_tPvRmT1_PNSt15iterator_traitsIS13_E10value_typeET2_T3_PNS14_IS19_E10value_typeET4_jRbjT5_S1F_jjP12ihipStream_tbEUljE_ZNSN_ISO_Lb1ESR_SS_SU_SV_SZ_EES10_S11_S12_S13_S17_S18_S19_S1C_S1D_jS1E_jS1F_S1F_jjS1H_bEUljE0_EEES10_S11_S12_S19_S1D_S1F_T6_T7_T9_mT8_S1H_bDpT10_ENKUlT_T0_E_clISt17integral_constantIbLb0EES1U_IbLb1EEEEDaS1Q_S1R_EUlS1Q_E_NS1_11comp_targetILNS1_3genE5ELNS1_11target_archE942ELNS1_3gpuE9ELNS1_3repE0EEENS1_30default_config_static_selectorELNS0_4arch9wavefront6targetE0EEEvS13_,"axG",@progbits,_ZN7rocprim17ROCPRIM_400000_NS6detail17trampoline_kernelINS0_13select_configILj256ELj13ELNS0_17block_load_methodE3ELS4_3ELS4_3ELNS0_20block_scan_algorithmE0ELj4294967295EEENS1_25partition_config_selectorILNS1_17partition_subalgoE4EjNS0_10empty_typeEbEEZZNS1_14partition_implILS8_4ELb0ES6_15HIP_vector_typeIjLj2EENS0_17counting_iteratorIjlEEPS9_SG_NS0_5tupleIJPjSI_NS0_16reverse_iteratorISI_EEEEENSH_IJSG_SG_SG_EEES9_SI_JZNS1_25segmented_radix_sort_implINS0_14default_configELb1EPK6__halfPSP_PKlPlN2at6native12_GLOBAL__N_18offset_tEEE10hipError_tPvRmT1_PNSt15iterator_traitsIS13_E10value_typeET2_T3_PNS14_IS19_E10value_typeET4_jRbjT5_S1F_jjP12ihipStream_tbEUljE_ZNSN_ISO_Lb1ESR_SS_SU_SV_SZ_EES10_S11_S12_S13_S17_S18_S19_S1C_S1D_jS1E_jS1F_S1F_jjS1H_bEUljE0_EEES10_S11_S12_S19_S1D_S1F_T6_T7_T9_mT8_S1H_bDpT10_ENKUlT_T0_E_clISt17integral_constantIbLb0EES1U_IbLb1EEEEDaS1Q_S1R_EUlS1Q_E_NS1_11comp_targetILNS1_3genE5ELNS1_11target_archE942ELNS1_3gpuE9ELNS1_3repE0EEENS1_30default_config_static_selectorELNS0_4arch9wavefront6targetE0EEEvS13_,comdat
.Lfunc_end1690:
	.size	_ZN7rocprim17ROCPRIM_400000_NS6detail17trampoline_kernelINS0_13select_configILj256ELj13ELNS0_17block_load_methodE3ELS4_3ELS4_3ELNS0_20block_scan_algorithmE0ELj4294967295EEENS1_25partition_config_selectorILNS1_17partition_subalgoE4EjNS0_10empty_typeEbEEZZNS1_14partition_implILS8_4ELb0ES6_15HIP_vector_typeIjLj2EENS0_17counting_iteratorIjlEEPS9_SG_NS0_5tupleIJPjSI_NS0_16reverse_iteratorISI_EEEEENSH_IJSG_SG_SG_EEES9_SI_JZNS1_25segmented_radix_sort_implINS0_14default_configELb1EPK6__halfPSP_PKlPlN2at6native12_GLOBAL__N_18offset_tEEE10hipError_tPvRmT1_PNSt15iterator_traitsIS13_E10value_typeET2_T3_PNS14_IS19_E10value_typeET4_jRbjT5_S1F_jjP12ihipStream_tbEUljE_ZNSN_ISO_Lb1ESR_SS_SU_SV_SZ_EES10_S11_S12_S13_S17_S18_S19_S1C_S1D_jS1E_jS1F_S1F_jjS1H_bEUljE0_EEES10_S11_S12_S19_S1D_S1F_T6_T7_T9_mT8_S1H_bDpT10_ENKUlT_T0_E_clISt17integral_constantIbLb0EES1U_IbLb1EEEEDaS1Q_S1R_EUlS1Q_E_NS1_11comp_targetILNS1_3genE5ELNS1_11target_archE942ELNS1_3gpuE9ELNS1_3repE0EEENS1_30default_config_static_selectorELNS0_4arch9wavefront6targetE0EEEvS13_, .Lfunc_end1690-_ZN7rocprim17ROCPRIM_400000_NS6detail17trampoline_kernelINS0_13select_configILj256ELj13ELNS0_17block_load_methodE3ELS4_3ELS4_3ELNS0_20block_scan_algorithmE0ELj4294967295EEENS1_25partition_config_selectorILNS1_17partition_subalgoE4EjNS0_10empty_typeEbEEZZNS1_14partition_implILS8_4ELb0ES6_15HIP_vector_typeIjLj2EENS0_17counting_iteratorIjlEEPS9_SG_NS0_5tupleIJPjSI_NS0_16reverse_iteratorISI_EEEEENSH_IJSG_SG_SG_EEES9_SI_JZNS1_25segmented_radix_sort_implINS0_14default_configELb1EPK6__halfPSP_PKlPlN2at6native12_GLOBAL__N_18offset_tEEE10hipError_tPvRmT1_PNSt15iterator_traitsIS13_E10value_typeET2_T3_PNS14_IS19_E10value_typeET4_jRbjT5_S1F_jjP12ihipStream_tbEUljE_ZNSN_ISO_Lb1ESR_SS_SU_SV_SZ_EES10_S11_S12_S13_S17_S18_S19_S1C_S1D_jS1E_jS1F_S1F_jjS1H_bEUljE0_EEES10_S11_S12_S19_S1D_S1F_T6_T7_T9_mT8_S1H_bDpT10_ENKUlT_T0_E_clISt17integral_constantIbLb0EES1U_IbLb1EEEEDaS1Q_S1R_EUlS1Q_E_NS1_11comp_targetILNS1_3genE5ELNS1_11target_archE942ELNS1_3gpuE9ELNS1_3repE0EEENS1_30default_config_static_selectorELNS0_4arch9wavefront6targetE0EEEvS13_
                                        ; -- End function
	.set _ZN7rocprim17ROCPRIM_400000_NS6detail17trampoline_kernelINS0_13select_configILj256ELj13ELNS0_17block_load_methodE3ELS4_3ELS4_3ELNS0_20block_scan_algorithmE0ELj4294967295EEENS1_25partition_config_selectorILNS1_17partition_subalgoE4EjNS0_10empty_typeEbEEZZNS1_14partition_implILS8_4ELb0ES6_15HIP_vector_typeIjLj2EENS0_17counting_iteratorIjlEEPS9_SG_NS0_5tupleIJPjSI_NS0_16reverse_iteratorISI_EEEEENSH_IJSG_SG_SG_EEES9_SI_JZNS1_25segmented_radix_sort_implINS0_14default_configELb1EPK6__halfPSP_PKlPlN2at6native12_GLOBAL__N_18offset_tEEE10hipError_tPvRmT1_PNSt15iterator_traitsIS13_E10value_typeET2_T3_PNS14_IS19_E10value_typeET4_jRbjT5_S1F_jjP12ihipStream_tbEUljE_ZNSN_ISO_Lb1ESR_SS_SU_SV_SZ_EES10_S11_S12_S13_S17_S18_S19_S1C_S1D_jS1E_jS1F_S1F_jjS1H_bEUljE0_EEES10_S11_S12_S19_S1D_S1F_T6_T7_T9_mT8_S1H_bDpT10_ENKUlT_T0_E_clISt17integral_constantIbLb0EES1U_IbLb1EEEEDaS1Q_S1R_EUlS1Q_E_NS1_11comp_targetILNS1_3genE5ELNS1_11target_archE942ELNS1_3gpuE9ELNS1_3repE0EEENS1_30default_config_static_selectorELNS0_4arch9wavefront6targetE0EEEvS13_.num_vgpr, 0
	.set _ZN7rocprim17ROCPRIM_400000_NS6detail17trampoline_kernelINS0_13select_configILj256ELj13ELNS0_17block_load_methodE3ELS4_3ELS4_3ELNS0_20block_scan_algorithmE0ELj4294967295EEENS1_25partition_config_selectorILNS1_17partition_subalgoE4EjNS0_10empty_typeEbEEZZNS1_14partition_implILS8_4ELb0ES6_15HIP_vector_typeIjLj2EENS0_17counting_iteratorIjlEEPS9_SG_NS0_5tupleIJPjSI_NS0_16reverse_iteratorISI_EEEEENSH_IJSG_SG_SG_EEES9_SI_JZNS1_25segmented_radix_sort_implINS0_14default_configELb1EPK6__halfPSP_PKlPlN2at6native12_GLOBAL__N_18offset_tEEE10hipError_tPvRmT1_PNSt15iterator_traitsIS13_E10value_typeET2_T3_PNS14_IS19_E10value_typeET4_jRbjT5_S1F_jjP12ihipStream_tbEUljE_ZNSN_ISO_Lb1ESR_SS_SU_SV_SZ_EES10_S11_S12_S13_S17_S18_S19_S1C_S1D_jS1E_jS1F_S1F_jjS1H_bEUljE0_EEES10_S11_S12_S19_S1D_S1F_T6_T7_T9_mT8_S1H_bDpT10_ENKUlT_T0_E_clISt17integral_constantIbLb0EES1U_IbLb1EEEEDaS1Q_S1R_EUlS1Q_E_NS1_11comp_targetILNS1_3genE5ELNS1_11target_archE942ELNS1_3gpuE9ELNS1_3repE0EEENS1_30default_config_static_selectorELNS0_4arch9wavefront6targetE0EEEvS13_.num_agpr, 0
	.set _ZN7rocprim17ROCPRIM_400000_NS6detail17trampoline_kernelINS0_13select_configILj256ELj13ELNS0_17block_load_methodE3ELS4_3ELS4_3ELNS0_20block_scan_algorithmE0ELj4294967295EEENS1_25partition_config_selectorILNS1_17partition_subalgoE4EjNS0_10empty_typeEbEEZZNS1_14partition_implILS8_4ELb0ES6_15HIP_vector_typeIjLj2EENS0_17counting_iteratorIjlEEPS9_SG_NS0_5tupleIJPjSI_NS0_16reverse_iteratorISI_EEEEENSH_IJSG_SG_SG_EEES9_SI_JZNS1_25segmented_radix_sort_implINS0_14default_configELb1EPK6__halfPSP_PKlPlN2at6native12_GLOBAL__N_18offset_tEEE10hipError_tPvRmT1_PNSt15iterator_traitsIS13_E10value_typeET2_T3_PNS14_IS19_E10value_typeET4_jRbjT5_S1F_jjP12ihipStream_tbEUljE_ZNSN_ISO_Lb1ESR_SS_SU_SV_SZ_EES10_S11_S12_S13_S17_S18_S19_S1C_S1D_jS1E_jS1F_S1F_jjS1H_bEUljE0_EEES10_S11_S12_S19_S1D_S1F_T6_T7_T9_mT8_S1H_bDpT10_ENKUlT_T0_E_clISt17integral_constantIbLb0EES1U_IbLb1EEEEDaS1Q_S1R_EUlS1Q_E_NS1_11comp_targetILNS1_3genE5ELNS1_11target_archE942ELNS1_3gpuE9ELNS1_3repE0EEENS1_30default_config_static_selectorELNS0_4arch9wavefront6targetE0EEEvS13_.numbered_sgpr, 0
	.set _ZN7rocprim17ROCPRIM_400000_NS6detail17trampoline_kernelINS0_13select_configILj256ELj13ELNS0_17block_load_methodE3ELS4_3ELS4_3ELNS0_20block_scan_algorithmE0ELj4294967295EEENS1_25partition_config_selectorILNS1_17partition_subalgoE4EjNS0_10empty_typeEbEEZZNS1_14partition_implILS8_4ELb0ES6_15HIP_vector_typeIjLj2EENS0_17counting_iteratorIjlEEPS9_SG_NS0_5tupleIJPjSI_NS0_16reverse_iteratorISI_EEEEENSH_IJSG_SG_SG_EEES9_SI_JZNS1_25segmented_radix_sort_implINS0_14default_configELb1EPK6__halfPSP_PKlPlN2at6native12_GLOBAL__N_18offset_tEEE10hipError_tPvRmT1_PNSt15iterator_traitsIS13_E10value_typeET2_T3_PNS14_IS19_E10value_typeET4_jRbjT5_S1F_jjP12ihipStream_tbEUljE_ZNSN_ISO_Lb1ESR_SS_SU_SV_SZ_EES10_S11_S12_S13_S17_S18_S19_S1C_S1D_jS1E_jS1F_S1F_jjS1H_bEUljE0_EEES10_S11_S12_S19_S1D_S1F_T6_T7_T9_mT8_S1H_bDpT10_ENKUlT_T0_E_clISt17integral_constantIbLb0EES1U_IbLb1EEEEDaS1Q_S1R_EUlS1Q_E_NS1_11comp_targetILNS1_3genE5ELNS1_11target_archE942ELNS1_3gpuE9ELNS1_3repE0EEENS1_30default_config_static_selectorELNS0_4arch9wavefront6targetE0EEEvS13_.num_named_barrier, 0
	.set _ZN7rocprim17ROCPRIM_400000_NS6detail17trampoline_kernelINS0_13select_configILj256ELj13ELNS0_17block_load_methodE3ELS4_3ELS4_3ELNS0_20block_scan_algorithmE0ELj4294967295EEENS1_25partition_config_selectorILNS1_17partition_subalgoE4EjNS0_10empty_typeEbEEZZNS1_14partition_implILS8_4ELb0ES6_15HIP_vector_typeIjLj2EENS0_17counting_iteratorIjlEEPS9_SG_NS0_5tupleIJPjSI_NS0_16reverse_iteratorISI_EEEEENSH_IJSG_SG_SG_EEES9_SI_JZNS1_25segmented_radix_sort_implINS0_14default_configELb1EPK6__halfPSP_PKlPlN2at6native12_GLOBAL__N_18offset_tEEE10hipError_tPvRmT1_PNSt15iterator_traitsIS13_E10value_typeET2_T3_PNS14_IS19_E10value_typeET4_jRbjT5_S1F_jjP12ihipStream_tbEUljE_ZNSN_ISO_Lb1ESR_SS_SU_SV_SZ_EES10_S11_S12_S13_S17_S18_S19_S1C_S1D_jS1E_jS1F_S1F_jjS1H_bEUljE0_EEES10_S11_S12_S19_S1D_S1F_T6_T7_T9_mT8_S1H_bDpT10_ENKUlT_T0_E_clISt17integral_constantIbLb0EES1U_IbLb1EEEEDaS1Q_S1R_EUlS1Q_E_NS1_11comp_targetILNS1_3genE5ELNS1_11target_archE942ELNS1_3gpuE9ELNS1_3repE0EEENS1_30default_config_static_selectorELNS0_4arch9wavefront6targetE0EEEvS13_.private_seg_size, 0
	.set _ZN7rocprim17ROCPRIM_400000_NS6detail17trampoline_kernelINS0_13select_configILj256ELj13ELNS0_17block_load_methodE3ELS4_3ELS4_3ELNS0_20block_scan_algorithmE0ELj4294967295EEENS1_25partition_config_selectorILNS1_17partition_subalgoE4EjNS0_10empty_typeEbEEZZNS1_14partition_implILS8_4ELb0ES6_15HIP_vector_typeIjLj2EENS0_17counting_iteratorIjlEEPS9_SG_NS0_5tupleIJPjSI_NS0_16reverse_iteratorISI_EEEEENSH_IJSG_SG_SG_EEES9_SI_JZNS1_25segmented_radix_sort_implINS0_14default_configELb1EPK6__halfPSP_PKlPlN2at6native12_GLOBAL__N_18offset_tEEE10hipError_tPvRmT1_PNSt15iterator_traitsIS13_E10value_typeET2_T3_PNS14_IS19_E10value_typeET4_jRbjT5_S1F_jjP12ihipStream_tbEUljE_ZNSN_ISO_Lb1ESR_SS_SU_SV_SZ_EES10_S11_S12_S13_S17_S18_S19_S1C_S1D_jS1E_jS1F_S1F_jjS1H_bEUljE0_EEES10_S11_S12_S19_S1D_S1F_T6_T7_T9_mT8_S1H_bDpT10_ENKUlT_T0_E_clISt17integral_constantIbLb0EES1U_IbLb1EEEEDaS1Q_S1R_EUlS1Q_E_NS1_11comp_targetILNS1_3genE5ELNS1_11target_archE942ELNS1_3gpuE9ELNS1_3repE0EEENS1_30default_config_static_selectorELNS0_4arch9wavefront6targetE0EEEvS13_.uses_vcc, 0
	.set _ZN7rocprim17ROCPRIM_400000_NS6detail17trampoline_kernelINS0_13select_configILj256ELj13ELNS0_17block_load_methodE3ELS4_3ELS4_3ELNS0_20block_scan_algorithmE0ELj4294967295EEENS1_25partition_config_selectorILNS1_17partition_subalgoE4EjNS0_10empty_typeEbEEZZNS1_14partition_implILS8_4ELb0ES6_15HIP_vector_typeIjLj2EENS0_17counting_iteratorIjlEEPS9_SG_NS0_5tupleIJPjSI_NS0_16reverse_iteratorISI_EEEEENSH_IJSG_SG_SG_EEES9_SI_JZNS1_25segmented_radix_sort_implINS0_14default_configELb1EPK6__halfPSP_PKlPlN2at6native12_GLOBAL__N_18offset_tEEE10hipError_tPvRmT1_PNSt15iterator_traitsIS13_E10value_typeET2_T3_PNS14_IS19_E10value_typeET4_jRbjT5_S1F_jjP12ihipStream_tbEUljE_ZNSN_ISO_Lb1ESR_SS_SU_SV_SZ_EES10_S11_S12_S13_S17_S18_S19_S1C_S1D_jS1E_jS1F_S1F_jjS1H_bEUljE0_EEES10_S11_S12_S19_S1D_S1F_T6_T7_T9_mT8_S1H_bDpT10_ENKUlT_T0_E_clISt17integral_constantIbLb0EES1U_IbLb1EEEEDaS1Q_S1R_EUlS1Q_E_NS1_11comp_targetILNS1_3genE5ELNS1_11target_archE942ELNS1_3gpuE9ELNS1_3repE0EEENS1_30default_config_static_selectorELNS0_4arch9wavefront6targetE0EEEvS13_.uses_flat_scratch, 0
	.set _ZN7rocprim17ROCPRIM_400000_NS6detail17trampoline_kernelINS0_13select_configILj256ELj13ELNS0_17block_load_methodE3ELS4_3ELS4_3ELNS0_20block_scan_algorithmE0ELj4294967295EEENS1_25partition_config_selectorILNS1_17partition_subalgoE4EjNS0_10empty_typeEbEEZZNS1_14partition_implILS8_4ELb0ES6_15HIP_vector_typeIjLj2EENS0_17counting_iteratorIjlEEPS9_SG_NS0_5tupleIJPjSI_NS0_16reverse_iteratorISI_EEEEENSH_IJSG_SG_SG_EEES9_SI_JZNS1_25segmented_radix_sort_implINS0_14default_configELb1EPK6__halfPSP_PKlPlN2at6native12_GLOBAL__N_18offset_tEEE10hipError_tPvRmT1_PNSt15iterator_traitsIS13_E10value_typeET2_T3_PNS14_IS19_E10value_typeET4_jRbjT5_S1F_jjP12ihipStream_tbEUljE_ZNSN_ISO_Lb1ESR_SS_SU_SV_SZ_EES10_S11_S12_S13_S17_S18_S19_S1C_S1D_jS1E_jS1F_S1F_jjS1H_bEUljE0_EEES10_S11_S12_S19_S1D_S1F_T6_T7_T9_mT8_S1H_bDpT10_ENKUlT_T0_E_clISt17integral_constantIbLb0EES1U_IbLb1EEEEDaS1Q_S1R_EUlS1Q_E_NS1_11comp_targetILNS1_3genE5ELNS1_11target_archE942ELNS1_3gpuE9ELNS1_3repE0EEENS1_30default_config_static_selectorELNS0_4arch9wavefront6targetE0EEEvS13_.has_dyn_sized_stack, 0
	.set _ZN7rocprim17ROCPRIM_400000_NS6detail17trampoline_kernelINS0_13select_configILj256ELj13ELNS0_17block_load_methodE3ELS4_3ELS4_3ELNS0_20block_scan_algorithmE0ELj4294967295EEENS1_25partition_config_selectorILNS1_17partition_subalgoE4EjNS0_10empty_typeEbEEZZNS1_14partition_implILS8_4ELb0ES6_15HIP_vector_typeIjLj2EENS0_17counting_iteratorIjlEEPS9_SG_NS0_5tupleIJPjSI_NS0_16reverse_iteratorISI_EEEEENSH_IJSG_SG_SG_EEES9_SI_JZNS1_25segmented_radix_sort_implINS0_14default_configELb1EPK6__halfPSP_PKlPlN2at6native12_GLOBAL__N_18offset_tEEE10hipError_tPvRmT1_PNSt15iterator_traitsIS13_E10value_typeET2_T3_PNS14_IS19_E10value_typeET4_jRbjT5_S1F_jjP12ihipStream_tbEUljE_ZNSN_ISO_Lb1ESR_SS_SU_SV_SZ_EES10_S11_S12_S13_S17_S18_S19_S1C_S1D_jS1E_jS1F_S1F_jjS1H_bEUljE0_EEES10_S11_S12_S19_S1D_S1F_T6_T7_T9_mT8_S1H_bDpT10_ENKUlT_T0_E_clISt17integral_constantIbLb0EES1U_IbLb1EEEEDaS1Q_S1R_EUlS1Q_E_NS1_11comp_targetILNS1_3genE5ELNS1_11target_archE942ELNS1_3gpuE9ELNS1_3repE0EEENS1_30default_config_static_selectorELNS0_4arch9wavefront6targetE0EEEvS13_.has_recursion, 0
	.set _ZN7rocprim17ROCPRIM_400000_NS6detail17trampoline_kernelINS0_13select_configILj256ELj13ELNS0_17block_load_methodE3ELS4_3ELS4_3ELNS0_20block_scan_algorithmE0ELj4294967295EEENS1_25partition_config_selectorILNS1_17partition_subalgoE4EjNS0_10empty_typeEbEEZZNS1_14partition_implILS8_4ELb0ES6_15HIP_vector_typeIjLj2EENS0_17counting_iteratorIjlEEPS9_SG_NS0_5tupleIJPjSI_NS0_16reverse_iteratorISI_EEEEENSH_IJSG_SG_SG_EEES9_SI_JZNS1_25segmented_radix_sort_implINS0_14default_configELb1EPK6__halfPSP_PKlPlN2at6native12_GLOBAL__N_18offset_tEEE10hipError_tPvRmT1_PNSt15iterator_traitsIS13_E10value_typeET2_T3_PNS14_IS19_E10value_typeET4_jRbjT5_S1F_jjP12ihipStream_tbEUljE_ZNSN_ISO_Lb1ESR_SS_SU_SV_SZ_EES10_S11_S12_S13_S17_S18_S19_S1C_S1D_jS1E_jS1F_S1F_jjS1H_bEUljE0_EEES10_S11_S12_S19_S1D_S1F_T6_T7_T9_mT8_S1H_bDpT10_ENKUlT_T0_E_clISt17integral_constantIbLb0EES1U_IbLb1EEEEDaS1Q_S1R_EUlS1Q_E_NS1_11comp_targetILNS1_3genE5ELNS1_11target_archE942ELNS1_3gpuE9ELNS1_3repE0EEENS1_30default_config_static_selectorELNS0_4arch9wavefront6targetE0EEEvS13_.has_indirect_call, 0
	.section	.AMDGPU.csdata,"",@progbits
; Kernel info:
; codeLenInByte = 0
; TotalNumSgprs: 0
; NumVgprs: 0
; ScratchSize: 0
; MemoryBound: 0
; FloatMode: 240
; IeeeMode: 1
; LDSByteSize: 0 bytes/workgroup (compile time only)
; SGPRBlocks: 0
; VGPRBlocks: 0
; NumSGPRsForWavesPerEU: 1
; NumVGPRsForWavesPerEU: 1
; NamedBarCnt: 0
; Occupancy: 16
; WaveLimiterHint : 0
; COMPUTE_PGM_RSRC2:SCRATCH_EN: 0
; COMPUTE_PGM_RSRC2:USER_SGPR: 2
; COMPUTE_PGM_RSRC2:TRAP_HANDLER: 0
; COMPUTE_PGM_RSRC2:TGID_X_EN: 1
; COMPUTE_PGM_RSRC2:TGID_Y_EN: 0
; COMPUTE_PGM_RSRC2:TGID_Z_EN: 0
; COMPUTE_PGM_RSRC2:TIDIG_COMP_CNT: 0
	.section	.text._ZN7rocprim17ROCPRIM_400000_NS6detail17trampoline_kernelINS0_13select_configILj256ELj13ELNS0_17block_load_methodE3ELS4_3ELS4_3ELNS0_20block_scan_algorithmE0ELj4294967295EEENS1_25partition_config_selectorILNS1_17partition_subalgoE4EjNS0_10empty_typeEbEEZZNS1_14partition_implILS8_4ELb0ES6_15HIP_vector_typeIjLj2EENS0_17counting_iteratorIjlEEPS9_SG_NS0_5tupleIJPjSI_NS0_16reverse_iteratorISI_EEEEENSH_IJSG_SG_SG_EEES9_SI_JZNS1_25segmented_radix_sort_implINS0_14default_configELb1EPK6__halfPSP_PKlPlN2at6native12_GLOBAL__N_18offset_tEEE10hipError_tPvRmT1_PNSt15iterator_traitsIS13_E10value_typeET2_T3_PNS14_IS19_E10value_typeET4_jRbjT5_S1F_jjP12ihipStream_tbEUljE_ZNSN_ISO_Lb1ESR_SS_SU_SV_SZ_EES10_S11_S12_S13_S17_S18_S19_S1C_S1D_jS1E_jS1F_S1F_jjS1H_bEUljE0_EEES10_S11_S12_S19_S1D_S1F_T6_T7_T9_mT8_S1H_bDpT10_ENKUlT_T0_E_clISt17integral_constantIbLb0EES1U_IbLb1EEEEDaS1Q_S1R_EUlS1Q_E_NS1_11comp_targetILNS1_3genE4ELNS1_11target_archE910ELNS1_3gpuE8ELNS1_3repE0EEENS1_30default_config_static_selectorELNS0_4arch9wavefront6targetE0EEEvS13_,"axG",@progbits,_ZN7rocprim17ROCPRIM_400000_NS6detail17trampoline_kernelINS0_13select_configILj256ELj13ELNS0_17block_load_methodE3ELS4_3ELS4_3ELNS0_20block_scan_algorithmE0ELj4294967295EEENS1_25partition_config_selectorILNS1_17partition_subalgoE4EjNS0_10empty_typeEbEEZZNS1_14partition_implILS8_4ELb0ES6_15HIP_vector_typeIjLj2EENS0_17counting_iteratorIjlEEPS9_SG_NS0_5tupleIJPjSI_NS0_16reverse_iteratorISI_EEEEENSH_IJSG_SG_SG_EEES9_SI_JZNS1_25segmented_radix_sort_implINS0_14default_configELb1EPK6__halfPSP_PKlPlN2at6native12_GLOBAL__N_18offset_tEEE10hipError_tPvRmT1_PNSt15iterator_traitsIS13_E10value_typeET2_T3_PNS14_IS19_E10value_typeET4_jRbjT5_S1F_jjP12ihipStream_tbEUljE_ZNSN_ISO_Lb1ESR_SS_SU_SV_SZ_EES10_S11_S12_S13_S17_S18_S19_S1C_S1D_jS1E_jS1F_S1F_jjS1H_bEUljE0_EEES10_S11_S12_S19_S1D_S1F_T6_T7_T9_mT8_S1H_bDpT10_ENKUlT_T0_E_clISt17integral_constantIbLb0EES1U_IbLb1EEEEDaS1Q_S1R_EUlS1Q_E_NS1_11comp_targetILNS1_3genE4ELNS1_11target_archE910ELNS1_3gpuE8ELNS1_3repE0EEENS1_30default_config_static_selectorELNS0_4arch9wavefront6targetE0EEEvS13_,comdat
	.globl	_ZN7rocprim17ROCPRIM_400000_NS6detail17trampoline_kernelINS0_13select_configILj256ELj13ELNS0_17block_load_methodE3ELS4_3ELS4_3ELNS0_20block_scan_algorithmE0ELj4294967295EEENS1_25partition_config_selectorILNS1_17partition_subalgoE4EjNS0_10empty_typeEbEEZZNS1_14partition_implILS8_4ELb0ES6_15HIP_vector_typeIjLj2EENS0_17counting_iteratorIjlEEPS9_SG_NS0_5tupleIJPjSI_NS0_16reverse_iteratorISI_EEEEENSH_IJSG_SG_SG_EEES9_SI_JZNS1_25segmented_radix_sort_implINS0_14default_configELb1EPK6__halfPSP_PKlPlN2at6native12_GLOBAL__N_18offset_tEEE10hipError_tPvRmT1_PNSt15iterator_traitsIS13_E10value_typeET2_T3_PNS14_IS19_E10value_typeET4_jRbjT5_S1F_jjP12ihipStream_tbEUljE_ZNSN_ISO_Lb1ESR_SS_SU_SV_SZ_EES10_S11_S12_S13_S17_S18_S19_S1C_S1D_jS1E_jS1F_S1F_jjS1H_bEUljE0_EEES10_S11_S12_S19_S1D_S1F_T6_T7_T9_mT8_S1H_bDpT10_ENKUlT_T0_E_clISt17integral_constantIbLb0EES1U_IbLb1EEEEDaS1Q_S1R_EUlS1Q_E_NS1_11comp_targetILNS1_3genE4ELNS1_11target_archE910ELNS1_3gpuE8ELNS1_3repE0EEENS1_30default_config_static_selectorELNS0_4arch9wavefront6targetE0EEEvS13_ ; -- Begin function _ZN7rocprim17ROCPRIM_400000_NS6detail17trampoline_kernelINS0_13select_configILj256ELj13ELNS0_17block_load_methodE3ELS4_3ELS4_3ELNS0_20block_scan_algorithmE0ELj4294967295EEENS1_25partition_config_selectorILNS1_17partition_subalgoE4EjNS0_10empty_typeEbEEZZNS1_14partition_implILS8_4ELb0ES6_15HIP_vector_typeIjLj2EENS0_17counting_iteratorIjlEEPS9_SG_NS0_5tupleIJPjSI_NS0_16reverse_iteratorISI_EEEEENSH_IJSG_SG_SG_EEES9_SI_JZNS1_25segmented_radix_sort_implINS0_14default_configELb1EPK6__halfPSP_PKlPlN2at6native12_GLOBAL__N_18offset_tEEE10hipError_tPvRmT1_PNSt15iterator_traitsIS13_E10value_typeET2_T3_PNS14_IS19_E10value_typeET4_jRbjT5_S1F_jjP12ihipStream_tbEUljE_ZNSN_ISO_Lb1ESR_SS_SU_SV_SZ_EES10_S11_S12_S13_S17_S18_S19_S1C_S1D_jS1E_jS1F_S1F_jjS1H_bEUljE0_EEES10_S11_S12_S19_S1D_S1F_T6_T7_T9_mT8_S1H_bDpT10_ENKUlT_T0_E_clISt17integral_constantIbLb0EES1U_IbLb1EEEEDaS1Q_S1R_EUlS1Q_E_NS1_11comp_targetILNS1_3genE4ELNS1_11target_archE910ELNS1_3gpuE8ELNS1_3repE0EEENS1_30default_config_static_selectorELNS0_4arch9wavefront6targetE0EEEvS13_
	.p2align	8
	.type	_ZN7rocprim17ROCPRIM_400000_NS6detail17trampoline_kernelINS0_13select_configILj256ELj13ELNS0_17block_load_methodE3ELS4_3ELS4_3ELNS0_20block_scan_algorithmE0ELj4294967295EEENS1_25partition_config_selectorILNS1_17partition_subalgoE4EjNS0_10empty_typeEbEEZZNS1_14partition_implILS8_4ELb0ES6_15HIP_vector_typeIjLj2EENS0_17counting_iteratorIjlEEPS9_SG_NS0_5tupleIJPjSI_NS0_16reverse_iteratorISI_EEEEENSH_IJSG_SG_SG_EEES9_SI_JZNS1_25segmented_radix_sort_implINS0_14default_configELb1EPK6__halfPSP_PKlPlN2at6native12_GLOBAL__N_18offset_tEEE10hipError_tPvRmT1_PNSt15iterator_traitsIS13_E10value_typeET2_T3_PNS14_IS19_E10value_typeET4_jRbjT5_S1F_jjP12ihipStream_tbEUljE_ZNSN_ISO_Lb1ESR_SS_SU_SV_SZ_EES10_S11_S12_S13_S17_S18_S19_S1C_S1D_jS1E_jS1F_S1F_jjS1H_bEUljE0_EEES10_S11_S12_S19_S1D_S1F_T6_T7_T9_mT8_S1H_bDpT10_ENKUlT_T0_E_clISt17integral_constantIbLb0EES1U_IbLb1EEEEDaS1Q_S1R_EUlS1Q_E_NS1_11comp_targetILNS1_3genE4ELNS1_11target_archE910ELNS1_3gpuE8ELNS1_3repE0EEENS1_30default_config_static_selectorELNS0_4arch9wavefront6targetE0EEEvS13_,@function
_ZN7rocprim17ROCPRIM_400000_NS6detail17trampoline_kernelINS0_13select_configILj256ELj13ELNS0_17block_load_methodE3ELS4_3ELS4_3ELNS0_20block_scan_algorithmE0ELj4294967295EEENS1_25partition_config_selectorILNS1_17partition_subalgoE4EjNS0_10empty_typeEbEEZZNS1_14partition_implILS8_4ELb0ES6_15HIP_vector_typeIjLj2EENS0_17counting_iteratorIjlEEPS9_SG_NS0_5tupleIJPjSI_NS0_16reverse_iteratorISI_EEEEENSH_IJSG_SG_SG_EEES9_SI_JZNS1_25segmented_radix_sort_implINS0_14default_configELb1EPK6__halfPSP_PKlPlN2at6native12_GLOBAL__N_18offset_tEEE10hipError_tPvRmT1_PNSt15iterator_traitsIS13_E10value_typeET2_T3_PNS14_IS19_E10value_typeET4_jRbjT5_S1F_jjP12ihipStream_tbEUljE_ZNSN_ISO_Lb1ESR_SS_SU_SV_SZ_EES10_S11_S12_S13_S17_S18_S19_S1C_S1D_jS1E_jS1F_S1F_jjS1H_bEUljE0_EEES10_S11_S12_S19_S1D_S1F_T6_T7_T9_mT8_S1H_bDpT10_ENKUlT_T0_E_clISt17integral_constantIbLb0EES1U_IbLb1EEEEDaS1Q_S1R_EUlS1Q_E_NS1_11comp_targetILNS1_3genE4ELNS1_11target_archE910ELNS1_3gpuE8ELNS1_3repE0EEENS1_30default_config_static_selectorELNS0_4arch9wavefront6targetE0EEEvS13_: ; @_ZN7rocprim17ROCPRIM_400000_NS6detail17trampoline_kernelINS0_13select_configILj256ELj13ELNS0_17block_load_methodE3ELS4_3ELS4_3ELNS0_20block_scan_algorithmE0ELj4294967295EEENS1_25partition_config_selectorILNS1_17partition_subalgoE4EjNS0_10empty_typeEbEEZZNS1_14partition_implILS8_4ELb0ES6_15HIP_vector_typeIjLj2EENS0_17counting_iteratorIjlEEPS9_SG_NS0_5tupleIJPjSI_NS0_16reverse_iteratorISI_EEEEENSH_IJSG_SG_SG_EEES9_SI_JZNS1_25segmented_radix_sort_implINS0_14default_configELb1EPK6__halfPSP_PKlPlN2at6native12_GLOBAL__N_18offset_tEEE10hipError_tPvRmT1_PNSt15iterator_traitsIS13_E10value_typeET2_T3_PNS14_IS19_E10value_typeET4_jRbjT5_S1F_jjP12ihipStream_tbEUljE_ZNSN_ISO_Lb1ESR_SS_SU_SV_SZ_EES10_S11_S12_S13_S17_S18_S19_S1C_S1D_jS1E_jS1F_S1F_jjS1H_bEUljE0_EEES10_S11_S12_S19_S1D_S1F_T6_T7_T9_mT8_S1H_bDpT10_ENKUlT_T0_E_clISt17integral_constantIbLb0EES1U_IbLb1EEEEDaS1Q_S1R_EUlS1Q_E_NS1_11comp_targetILNS1_3genE4ELNS1_11target_archE910ELNS1_3gpuE8ELNS1_3repE0EEENS1_30default_config_static_selectorELNS0_4arch9wavefront6targetE0EEEvS13_
; %bb.0:
	.section	.rodata,"a",@progbits
	.p2align	6, 0x0
	.amdhsa_kernel _ZN7rocprim17ROCPRIM_400000_NS6detail17trampoline_kernelINS0_13select_configILj256ELj13ELNS0_17block_load_methodE3ELS4_3ELS4_3ELNS0_20block_scan_algorithmE0ELj4294967295EEENS1_25partition_config_selectorILNS1_17partition_subalgoE4EjNS0_10empty_typeEbEEZZNS1_14partition_implILS8_4ELb0ES6_15HIP_vector_typeIjLj2EENS0_17counting_iteratorIjlEEPS9_SG_NS0_5tupleIJPjSI_NS0_16reverse_iteratorISI_EEEEENSH_IJSG_SG_SG_EEES9_SI_JZNS1_25segmented_radix_sort_implINS0_14default_configELb1EPK6__halfPSP_PKlPlN2at6native12_GLOBAL__N_18offset_tEEE10hipError_tPvRmT1_PNSt15iterator_traitsIS13_E10value_typeET2_T3_PNS14_IS19_E10value_typeET4_jRbjT5_S1F_jjP12ihipStream_tbEUljE_ZNSN_ISO_Lb1ESR_SS_SU_SV_SZ_EES10_S11_S12_S13_S17_S18_S19_S1C_S1D_jS1E_jS1F_S1F_jjS1H_bEUljE0_EEES10_S11_S12_S19_S1D_S1F_T6_T7_T9_mT8_S1H_bDpT10_ENKUlT_T0_E_clISt17integral_constantIbLb0EES1U_IbLb1EEEEDaS1Q_S1R_EUlS1Q_E_NS1_11comp_targetILNS1_3genE4ELNS1_11target_archE910ELNS1_3gpuE8ELNS1_3repE0EEENS1_30default_config_static_selectorELNS0_4arch9wavefront6targetE0EEEvS13_
		.amdhsa_group_segment_fixed_size 0
		.amdhsa_private_segment_fixed_size 0
		.amdhsa_kernarg_size 184
		.amdhsa_user_sgpr_count 2
		.amdhsa_user_sgpr_dispatch_ptr 0
		.amdhsa_user_sgpr_queue_ptr 0
		.amdhsa_user_sgpr_kernarg_segment_ptr 1
		.amdhsa_user_sgpr_dispatch_id 0
		.amdhsa_user_sgpr_kernarg_preload_length 0
		.amdhsa_user_sgpr_kernarg_preload_offset 0
		.amdhsa_user_sgpr_private_segment_size 0
		.amdhsa_wavefront_size32 1
		.amdhsa_uses_dynamic_stack 0
		.amdhsa_enable_private_segment 0
		.amdhsa_system_sgpr_workgroup_id_x 1
		.amdhsa_system_sgpr_workgroup_id_y 0
		.amdhsa_system_sgpr_workgroup_id_z 0
		.amdhsa_system_sgpr_workgroup_info 0
		.amdhsa_system_vgpr_workitem_id 0
		.amdhsa_next_free_vgpr 1
		.amdhsa_next_free_sgpr 1
		.amdhsa_named_barrier_count 0
		.amdhsa_reserve_vcc 0
		.amdhsa_float_round_mode_32 0
		.amdhsa_float_round_mode_16_64 0
		.amdhsa_float_denorm_mode_32 3
		.amdhsa_float_denorm_mode_16_64 3
		.amdhsa_fp16_overflow 0
		.amdhsa_memory_ordered 1
		.amdhsa_forward_progress 1
		.amdhsa_inst_pref_size 0
		.amdhsa_round_robin_scheduling 0
		.amdhsa_exception_fp_ieee_invalid_op 0
		.amdhsa_exception_fp_denorm_src 0
		.amdhsa_exception_fp_ieee_div_zero 0
		.amdhsa_exception_fp_ieee_overflow 0
		.amdhsa_exception_fp_ieee_underflow 0
		.amdhsa_exception_fp_ieee_inexact 0
		.amdhsa_exception_int_div_zero 0
	.end_amdhsa_kernel
	.section	.text._ZN7rocprim17ROCPRIM_400000_NS6detail17trampoline_kernelINS0_13select_configILj256ELj13ELNS0_17block_load_methodE3ELS4_3ELS4_3ELNS0_20block_scan_algorithmE0ELj4294967295EEENS1_25partition_config_selectorILNS1_17partition_subalgoE4EjNS0_10empty_typeEbEEZZNS1_14partition_implILS8_4ELb0ES6_15HIP_vector_typeIjLj2EENS0_17counting_iteratorIjlEEPS9_SG_NS0_5tupleIJPjSI_NS0_16reverse_iteratorISI_EEEEENSH_IJSG_SG_SG_EEES9_SI_JZNS1_25segmented_radix_sort_implINS0_14default_configELb1EPK6__halfPSP_PKlPlN2at6native12_GLOBAL__N_18offset_tEEE10hipError_tPvRmT1_PNSt15iterator_traitsIS13_E10value_typeET2_T3_PNS14_IS19_E10value_typeET4_jRbjT5_S1F_jjP12ihipStream_tbEUljE_ZNSN_ISO_Lb1ESR_SS_SU_SV_SZ_EES10_S11_S12_S13_S17_S18_S19_S1C_S1D_jS1E_jS1F_S1F_jjS1H_bEUljE0_EEES10_S11_S12_S19_S1D_S1F_T6_T7_T9_mT8_S1H_bDpT10_ENKUlT_T0_E_clISt17integral_constantIbLb0EES1U_IbLb1EEEEDaS1Q_S1R_EUlS1Q_E_NS1_11comp_targetILNS1_3genE4ELNS1_11target_archE910ELNS1_3gpuE8ELNS1_3repE0EEENS1_30default_config_static_selectorELNS0_4arch9wavefront6targetE0EEEvS13_,"axG",@progbits,_ZN7rocprim17ROCPRIM_400000_NS6detail17trampoline_kernelINS0_13select_configILj256ELj13ELNS0_17block_load_methodE3ELS4_3ELS4_3ELNS0_20block_scan_algorithmE0ELj4294967295EEENS1_25partition_config_selectorILNS1_17partition_subalgoE4EjNS0_10empty_typeEbEEZZNS1_14partition_implILS8_4ELb0ES6_15HIP_vector_typeIjLj2EENS0_17counting_iteratorIjlEEPS9_SG_NS0_5tupleIJPjSI_NS0_16reverse_iteratorISI_EEEEENSH_IJSG_SG_SG_EEES9_SI_JZNS1_25segmented_radix_sort_implINS0_14default_configELb1EPK6__halfPSP_PKlPlN2at6native12_GLOBAL__N_18offset_tEEE10hipError_tPvRmT1_PNSt15iterator_traitsIS13_E10value_typeET2_T3_PNS14_IS19_E10value_typeET4_jRbjT5_S1F_jjP12ihipStream_tbEUljE_ZNSN_ISO_Lb1ESR_SS_SU_SV_SZ_EES10_S11_S12_S13_S17_S18_S19_S1C_S1D_jS1E_jS1F_S1F_jjS1H_bEUljE0_EEES10_S11_S12_S19_S1D_S1F_T6_T7_T9_mT8_S1H_bDpT10_ENKUlT_T0_E_clISt17integral_constantIbLb0EES1U_IbLb1EEEEDaS1Q_S1R_EUlS1Q_E_NS1_11comp_targetILNS1_3genE4ELNS1_11target_archE910ELNS1_3gpuE8ELNS1_3repE0EEENS1_30default_config_static_selectorELNS0_4arch9wavefront6targetE0EEEvS13_,comdat
.Lfunc_end1691:
	.size	_ZN7rocprim17ROCPRIM_400000_NS6detail17trampoline_kernelINS0_13select_configILj256ELj13ELNS0_17block_load_methodE3ELS4_3ELS4_3ELNS0_20block_scan_algorithmE0ELj4294967295EEENS1_25partition_config_selectorILNS1_17partition_subalgoE4EjNS0_10empty_typeEbEEZZNS1_14partition_implILS8_4ELb0ES6_15HIP_vector_typeIjLj2EENS0_17counting_iteratorIjlEEPS9_SG_NS0_5tupleIJPjSI_NS0_16reverse_iteratorISI_EEEEENSH_IJSG_SG_SG_EEES9_SI_JZNS1_25segmented_radix_sort_implINS0_14default_configELb1EPK6__halfPSP_PKlPlN2at6native12_GLOBAL__N_18offset_tEEE10hipError_tPvRmT1_PNSt15iterator_traitsIS13_E10value_typeET2_T3_PNS14_IS19_E10value_typeET4_jRbjT5_S1F_jjP12ihipStream_tbEUljE_ZNSN_ISO_Lb1ESR_SS_SU_SV_SZ_EES10_S11_S12_S13_S17_S18_S19_S1C_S1D_jS1E_jS1F_S1F_jjS1H_bEUljE0_EEES10_S11_S12_S19_S1D_S1F_T6_T7_T9_mT8_S1H_bDpT10_ENKUlT_T0_E_clISt17integral_constantIbLb0EES1U_IbLb1EEEEDaS1Q_S1R_EUlS1Q_E_NS1_11comp_targetILNS1_3genE4ELNS1_11target_archE910ELNS1_3gpuE8ELNS1_3repE0EEENS1_30default_config_static_selectorELNS0_4arch9wavefront6targetE0EEEvS13_, .Lfunc_end1691-_ZN7rocprim17ROCPRIM_400000_NS6detail17trampoline_kernelINS0_13select_configILj256ELj13ELNS0_17block_load_methodE3ELS4_3ELS4_3ELNS0_20block_scan_algorithmE0ELj4294967295EEENS1_25partition_config_selectorILNS1_17partition_subalgoE4EjNS0_10empty_typeEbEEZZNS1_14partition_implILS8_4ELb0ES6_15HIP_vector_typeIjLj2EENS0_17counting_iteratorIjlEEPS9_SG_NS0_5tupleIJPjSI_NS0_16reverse_iteratorISI_EEEEENSH_IJSG_SG_SG_EEES9_SI_JZNS1_25segmented_radix_sort_implINS0_14default_configELb1EPK6__halfPSP_PKlPlN2at6native12_GLOBAL__N_18offset_tEEE10hipError_tPvRmT1_PNSt15iterator_traitsIS13_E10value_typeET2_T3_PNS14_IS19_E10value_typeET4_jRbjT5_S1F_jjP12ihipStream_tbEUljE_ZNSN_ISO_Lb1ESR_SS_SU_SV_SZ_EES10_S11_S12_S13_S17_S18_S19_S1C_S1D_jS1E_jS1F_S1F_jjS1H_bEUljE0_EEES10_S11_S12_S19_S1D_S1F_T6_T7_T9_mT8_S1H_bDpT10_ENKUlT_T0_E_clISt17integral_constantIbLb0EES1U_IbLb1EEEEDaS1Q_S1R_EUlS1Q_E_NS1_11comp_targetILNS1_3genE4ELNS1_11target_archE910ELNS1_3gpuE8ELNS1_3repE0EEENS1_30default_config_static_selectorELNS0_4arch9wavefront6targetE0EEEvS13_
                                        ; -- End function
	.set _ZN7rocprim17ROCPRIM_400000_NS6detail17trampoline_kernelINS0_13select_configILj256ELj13ELNS0_17block_load_methodE3ELS4_3ELS4_3ELNS0_20block_scan_algorithmE0ELj4294967295EEENS1_25partition_config_selectorILNS1_17partition_subalgoE4EjNS0_10empty_typeEbEEZZNS1_14partition_implILS8_4ELb0ES6_15HIP_vector_typeIjLj2EENS0_17counting_iteratorIjlEEPS9_SG_NS0_5tupleIJPjSI_NS0_16reverse_iteratorISI_EEEEENSH_IJSG_SG_SG_EEES9_SI_JZNS1_25segmented_radix_sort_implINS0_14default_configELb1EPK6__halfPSP_PKlPlN2at6native12_GLOBAL__N_18offset_tEEE10hipError_tPvRmT1_PNSt15iterator_traitsIS13_E10value_typeET2_T3_PNS14_IS19_E10value_typeET4_jRbjT5_S1F_jjP12ihipStream_tbEUljE_ZNSN_ISO_Lb1ESR_SS_SU_SV_SZ_EES10_S11_S12_S13_S17_S18_S19_S1C_S1D_jS1E_jS1F_S1F_jjS1H_bEUljE0_EEES10_S11_S12_S19_S1D_S1F_T6_T7_T9_mT8_S1H_bDpT10_ENKUlT_T0_E_clISt17integral_constantIbLb0EES1U_IbLb1EEEEDaS1Q_S1R_EUlS1Q_E_NS1_11comp_targetILNS1_3genE4ELNS1_11target_archE910ELNS1_3gpuE8ELNS1_3repE0EEENS1_30default_config_static_selectorELNS0_4arch9wavefront6targetE0EEEvS13_.num_vgpr, 0
	.set _ZN7rocprim17ROCPRIM_400000_NS6detail17trampoline_kernelINS0_13select_configILj256ELj13ELNS0_17block_load_methodE3ELS4_3ELS4_3ELNS0_20block_scan_algorithmE0ELj4294967295EEENS1_25partition_config_selectorILNS1_17partition_subalgoE4EjNS0_10empty_typeEbEEZZNS1_14partition_implILS8_4ELb0ES6_15HIP_vector_typeIjLj2EENS0_17counting_iteratorIjlEEPS9_SG_NS0_5tupleIJPjSI_NS0_16reverse_iteratorISI_EEEEENSH_IJSG_SG_SG_EEES9_SI_JZNS1_25segmented_radix_sort_implINS0_14default_configELb1EPK6__halfPSP_PKlPlN2at6native12_GLOBAL__N_18offset_tEEE10hipError_tPvRmT1_PNSt15iterator_traitsIS13_E10value_typeET2_T3_PNS14_IS19_E10value_typeET4_jRbjT5_S1F_jjP12ihipStream_tbEUljE_ZNSN_ISO_Lb1ESR_SS_SU_SV_SZ_EES10_S11_S12_S13_S17_S18_S19_S1C_S1D_jS1E_jS1F_S1F_jjS1H_bEUljE0_EEES10_S11_S12_S19_S1D_S1F_T6_T7_T9_mT8_S1H_bDpT10_ENKUlT_T0_E_clISt17integral_constantIbLb0EES1U_IbLb1EEEEDaS1Q_S1R_EUlS1Q_E_NS1_11comp_targetILNS1_3genE4ELNS1_11target_archE910ELNS1_3gpuE8ELNS1_3repE0EEENS1_30default_config_static_selectorELNS0_4arch9wavefront6targetE0EEEvS13_.num_agpr, 0
	.set _ZN7rocprim17ROCPRIM_400000_NS6detail17trampoline_kernelINS0_13select_configILj256ELj13ELNS0_17block_load_methodE3ELS4_3ELS4_3ELNS0_20block_scan_algorithmE0ELj4294967295EEENS1_25partition_config_selectorILNS1_17partition_subalgoE4EjNS0_10empty_typeEbEEZZNS1_14partition_implILS8_4ELb0ES6_15HIP_vector_typeIjLj2EENS0_17counting_iteratorIjlEEPS9_SG_NS0_5tupleIJPjSI_NS0_16reverse_iteratorISI_EEEEENSH_IJSG_SG_SG_EEES9_SI_JZNS1_25segmented_radix_sort_implINS0_14default_configELb1EPK6__halfPSP_PKlPlN2at6native12_GLOBAL__N_18offset_tEEE10hipError_tPvRmT1_PNSt15iterator_traitsIS13_E10value_typeET2_T3_PNS14_IS19_E10value_typeET4_jRbjT5_S1F_jjP12ihipStream_tbEUljE_ZNSN_ISO_Lb1ESR_SS_SU_SV_SZ_EES10_S11_S12_S13_S17_S18_S19_S1C_S1D_jS1E_jS1F_S1F_jjS1H_bEUljE0_EEES10_S11_S12_S19_S1D_S1F_T6_T7_T9_mT8_S1H_bDpT10_ENKUlT_T0_E_clISt17integral_constantIbLb0EES1U_IbLb1EEEEDaS1Q_S1R_EUlS1Q_E_NS1_11comp_targetILNS1_3genE4ELNS1_11target_archE910ELNS1_3gpuE8ELNS1_3repE0EEENS1_30default_config_static_selectorELNS0_4arch9wavefront6targetE0EEEvS13_.numbered_sgpr, 0
	.set _ZN7rocprim17ROCPRIM_400000_NS6detail17trampoline_kernelINS0_13select_configILj256ELj13ELNS0_17block_load_methodE3ELS4_3ELS4_3ELNS0_20block_scan_algorithmE0ELj4294967295EEENS1_25partition_config_selectorILNS1_17partition_subalgoE4EjNS0_10empty_typeEbEEZZNS1_14partition_implILS8_4ELb0ES6_15HIP_vector_typeIjLj2EENS0_17counting_iteratorIjlEEPS9_SG_NS0_5tupleIJPjSI_NS0_16reverse_iteratorISI_EEEEENSH_IJSG_SG_SG_EEES9_SI_JZNS1_25segmented_radix_sort_implINS0_14default_configELb1EPK6__halfPSP_PKlPlN2at6native12_GLOBAL__N_18offset_tEEE10hipError_tPvRmT1_PNSt15iterator_traitsIS13_E10value_typeET2_T3_PNS14_IS19_E10value_typeET4_jRbjT5_S1F_jjP12ihipStream_tbEUljE_ZNSN_ISO_Lb1ESR_SS_SU_SV_SZ_EES10_S11_S12_S13_S17_S18_S19_S1C_S1D_jS1E_jS1F_S1F_jjS1H_bEUljE0_EEES10_S11_S12_S19_S1D_S1F_T6_T7_T9_mT8_S1H_bDpT10_ENKUlT_T0_E_clISt17integral_constantIbLb0EES1U_IbLb1EEEEDaS1Q_S1R_EUlS1Q_E_NS1_11comp_targetILNS1_3genE4ELNS1_11target_archE910ELNS1_3gpuE8ELNS1_3repE0EEENS1_30default_config_static_selectorELNS0_4arch9wavefront6targetE0EEEvS13_.num_named_barrier, 0
	.set _ZN7rocprim17ROCPRIM_400000_NS6detail17trampoline_kernelINS0_13select_configILj256ELj13ELNS0_17block_load_methodE3ELS4_3ELS4_3ELNS0_20block_scan_algorithmE0ELj4294967295EEENS1_25partition_config_selectorILNS1_17partition_subalgoE4EjNS0_10empty_typeEbEEZZNS1_14partition_implILS8_4ELb0ES6_15HIP_vector_typeIjLj2EENS0_17counting_iteratorIjlEEPS9_SG_NS0_5tupleIJPjSI_NS0_16reverse_iteratorISI_EEEEENSH_IJSG_SG_SG_EEES9_SI_JZNS1_25segmented_radix_sort_implINS0_14default_configELb1EPK6__halfPSP_PKlPlN2at6native12_GLOBAL__N_18offset_tEEE10hipError_tPvRmT1_PNSt15iterator_traitsIS13_E10value_typeET2_T3_PNS14_IS19_E10value_typeET4_jRbjT5_S1F_jjP12ihipStream_tbEUljE_ZNSN_ISO_Lb1ESR_SS_SU_SV_SZ_EES10_S11_S12_S13_S17_S18_S19_S1C_S1D_jS1E_jS1F_S1F_jjS1H_bEUljE0_EEES10_S11_S12_S19_S1D_S1F_T6_T7_T9_mT8_S1H_bDpT10_ENKUlT_T0_E_clISt17integral_constantIbLb0EES1U_IbLb1EEEEDaS1Q_S1R_EUlS1Q_E_NS1_11comp_targetILNS1_3genE4ELNS1_11target_archE910ELNS1_3gpuE8ELNS1_3repE0EEENS1_30default_config_static_selectorELNS0_4arch9wavefront6targetE0EEEvS13_.private_seg_size, 0
	.set _ZN7rocprim17ROCPRIM_400000_NS6detail17trampoline_kernelINS0_13select_configILj256ELj13ELNS0_17block_load_methodE3ELS4_3ELS4_3ELNS0_20block_scan_algorithmE0ELj4294967295EEENS1_25partition_config_selectorILNS1_17partition_subalgoE4EjNS0_10empty_typeEbEEZZNS1_14partition_implILS8_4ELb0ES6_15HIP_vector_typeIjLj2EENS0_17counting_iteratorIjlEEPS9_SG_NS0_5tupleIJPjSI_NS0_16reverse_iteratorISI_EEEEENSH_IJSG_SG_SG_EEES9_SI_JZNS1_25segmented_radix_sort_implINS0_14default_configELb1EPK6__halfPSP_PKlPlN2at6native12_GLOBAL__N_18offset_tEEE10hipError_tPvRmT1_PNSt15iterator_traitsIS13_E10value_typeET2_T3_PNS14_IS19_E10value_typeET4_jRbjT5_S1F_jjP12ihipStream_tbEUljE_ZNSN_ISO_Lb1ESR_SS_SU_SV_SZ_EES10_S11_S12_S13_S17_S18_S19_S1C_S1D_jS1E_jS1F_S1F_jjS1H_bEUljE0_EEES10_S11_S12_S19_S1D_S1F_T6_T7_T9_mT8_S1H_bDpT10_ENKUlT_T0_E_clISt17integral_constantIbLb0EES1U_IbLb1EEEEDaS1Q_S1R_EUlS1Q_E_NS1_11comp_targetILNS1_3genE4ELNS1_11target_archE910ELNS1_3gpuE8ELNS1_3repE0EEENS1_30default_config_static_selectorELNS0_4arch9wavefront6targetE0EEEvS13_.uses_vcc, 0
	.set _ZN7rocprim17ROCPRIM_400000_NS6detail17trampoline_kernelINS0_13select_configILj256ELj13ELNS0_17block_load_methodE3ELS4_3ELS4_3ELNS0_20block_scan_algorithmE0ELj4294967295EEENS1_25partition_config_selectorILNS1_17partition_subalgoE4EjNS0_10empty_typeEbEEZZNS1_14partition_implILS8_4ELb0ES6_15HIP_vector_typeIjLj2EENS0_17counting_iteratorIjlEEPS9_SG_NS0_5tupleIJPjSI_NS0_16reverse_iteratorISI_EEEEENSH_IJSG_SG_SG_EEES9_SI_JZNS1_25segmented_radix_sort_implINS0_14default_configELb1EPK6__halfPSP_PKlPlN2at6native12_GLOBAL__N_18offset_tEEE10hipError_tPvRmT1_PNSt15iterator_traitsIS13_E10value_typeET2_T3_PNS14_IS19_E10value_typeET4_jRbjT5_S1F_jjP12ihipStream_tbEUljE_ZNSN_ISO_Lb1ESR_SS_SU_SV_SZ_EES10_S11_S12_S13_S17_S18_S19_S1C_S1D_jS1E_jS1F_S1F_jjS1H_bEUljE0_EEES10_S11_S12_S19_S1D_S1F_T6_T7_T9_mT8_S1H_bDpT10_ENKUlT_T0_E_clISt17integral_constantIbLb0EES1U_IbLb1EEEEDaS1Q_S1R_EUlS1Q_E_NS1_11comp_targetILNS1_3genE4ELNS1_11target_archE910ELNS1_3gpuE8ELNS1_3repE0EEENS1_30default_config_static_selectorELNS0_4arch9wavefront6targetE0EEEvS13_.uses_flat_scratch, 0
	.set _ZN7rocprim17ROCPRIM_400000_NS6detail17trampoline_kernelINS0_13select_configILj256ELj13ELNS0_17block_load_methodE3ELS4_3ELS4_3ELNS0_20block_scan_algorithmE0ELj4294967295EEENS1_25partition_config_selectorILNS1_17partition_subalgoE4EjNS0_10empty_typeEbEEZZNS1_14partition_implILS8_4ELb0ES6_15HIP_vector_typeIjLj2EENS0_17counting_iteratorIjlEEPS9_SG_NS0_5tupleIJPjSI_NS0_16reverse_iteratorISI_EEEEENSH_IJSG_SG_SG_EEES9_SI_JZNS1_25segmented_radix_sort_implINS0_14default_configELb1EPK6__halfPSP_PKlPlN2at6native12_GLOBAL__N_18offset_tEEE10hipError_tPvRmT1_PNSt15iterator_traitsIS13_E10value_typeET2_T3_PNS14_IS19_E10value_typeET4_jRbjT5_S1F_jjP12ihipStream_tbEUljE_ZNSN_ISO_Lb1ESR_SS_SU_SV_SZ_EES10_S11_S12_S13_S17_S18_S19_S1C_S1D_jS1E_jS1F_S1F_jjS1H_bEUljE0_EEES10_S11_S12_S19_S1D_S1F_T6_T7_T9_mT8_S1H_bDpT10_ENKUlT_T0_E_clISt17integral_constantIbLb0EES1U_IbLb1EEEEDaS1Q_S1R_EUlS1Q_E_NS1_11comp_targetILNS1_3genE4ELNS1_11target_archE910ELNS1_3gpuE8ELNS1_3repE0EEENS1_30default_config_static_selectorELNS0_4arch9wavefront6targetE0EEEvS13_.has_dyn_sized_stack, 0
	.set _ZN7rocprim17ROCPRIM_400000_NS6detail17trampoline_kernelINS0_13select_configILj256ELj13ELNS0_17block_load_methodE3ELS4_3ELS4_3ELNS0_20block_scan_algorithmE0ELj4294967295EEENS1_25partition_config_selectorILNS1_17partition_subalgoE4EjNS0_10empty_typeEbEEZZNS1_14partition_implILS8_4ELb0ES6_15HIP_vector_typeIjLj2EENS0_17counting_iteratorIjlEEPS9_SG_NS0_5tupleIJPjSI_NS0_16reverse_iteratorISI_EEEEENSH_IJSG_SG_SG_EEES9_SI_JZNS1_25segmented_radix_sort_implINS0_14default_configELb1EPK6__halfPSP_PKlPlN2at6native12_GLOBAL__N_18offset_tEEE10hipError_tPvRmT1_PNSt15iterator_traitsIS13_E10value_typeET2_T3_PNS14_IS19_E10value_typeET4_jRbjT5_S1F_jjP12ihipStream_tbEUljE_ZNSN_ISO_Lb1ESR_SS_SU_SV_SZ_EES10_S11_S12_S13_S17_S18_S19_S1C_S1D_jS1E_jS1F_S1F_jjS1H_bEUljE0_EEES10_S11_S12_S19_S1D_S1F_T6_T7_T9_mT8_S1H_bDpT10_ENKUlT_T0_E_clISt17integral_constantIbLb0EES1U_IbLb1EEEEDaS1Q_S1R_EUlS1Q_E_NS1_11comp_targetILNS1_3genE4ELNS1_11target_archE910ELNS1_3gpuE8ELNS1_3repE0EEENS1_30default_config_static_selectorELNS0_4arch9wavefront6targetE0EEEvS13_.has_recursion, 0
	.set _ZN7rocprim17ROCPRIM_400000_NS6detail17trampoline_kernelINS0_13select_configILj256ELj13ELNS0_17block_load_methodE3ELS4_3ELS4_3ELNS0_20block_scan_algorithmE0ELj4294967295EEENS1_25partition_config_selectorILNS1_17partition_subalgoE4EjNS0_10empty_typeEbEEZZNS1_14partition_implILS8_4ELb0ES6_15HIP_vector_typeIjLj2EENS0_17counting_iteratorIjlEEPS9_SG_NS0_5tupleIJPjSI_NS0_16reverse_iteratorISI_EEEEENSH_IJSG_SG_SG_EEES9_SI_JZNS1_25segmented_radix_sort_implINS0_14default_configELb1EPK6__halfPSP_PKlPlN2at6native12_GLOBAL__N_18offset_tEEE10hipError_tPvRmT1_PNSt15iterator_traitsIS13_E10value_typeET2_T3_PNS14_IS19_E10value_typeET4_jRbjT5_S1F_jjP12ihipStream_tbEUljE_ZNSN_ISO_Lb1ESR_SS_SU_SV_SZ_EES10_S11_S12_S13_S17_S18_S19_S1C_S1D_jS1E_jS1F_S1F_jjS1H_bEUljE0_EEES10_S11_S12_S19_S1D_S1F_T6_T7_T9_mT8_S1H_bDpT10_ENKUlT_T0_E_clISt17integral_constantIbLb0EES1U_IbLb1EEEEDaS1Q_S1R_EUlS1Q_E_NS1_11comp_targetILNS1_3genE4ELNS1_11target_archE910ELNS1_3gpuE8ELNS1_3repE0EEENS1_30default_config_static_selectorELNS0_4arch9wavefront6targetE0EEEvS13_.has_indirect_call, 0
	.section	.AMDGPU.csdata,"",@progbits
; Kernel info:
; codeLenInByte = 0
; TotalNumSgprs: 0
; NumVgprs: 0
; ScratchSize: 0
; MemoryBound: 0
; FloatMode: 240
; IeeeMode: 1
; LDSByteSize: 0 bytes/workgroup (compile time only)
; SGPRBlocks: 0
; VGPRBlocks: 0
; NumSGPRsForWavesPerEU: 1
; NumVGPRsForWavesPerEU: 1
; NamedBarCnt: 0
; Occupancy: 16
; WaveLimiterHint : 0
; COMPUTE_PGM_RSRC2:SCRATCH_EN: 0
; COMPUTE_PGM_RSRC2:USER_SGPR: 2
; COMPUTE_PGM_RSRC2:TRAP_HANDLER: 0
; COMPUTE_PGM_RSRC2:TGID_X_EN: 1
; COMPUTE_PGM_RSRC2:TGID_Y_EN: 0
; COMPUTE_PGM_RSRC2:TGID_Z_EN: 0
; COMPUTE_PGM_RSRC2:TIDIG_COMP_CNT: 0
	.section	.text._ZN7rocprim17ROCPRIM_400000_NS6detail17trampoline_kernelINS0_13select_configILj256ELj13ELNS0_17block_load_methodE3ELS4_3ELS4_3ELNS0_20block_scan_algorithmE0ELj4294967295EEENS1_25partition_config_selectorILNS1_17partition_subalgoE4EjNS0_10empty_typeEbEEZZNS1_14partition_implILS8_4ELb0ES6_15HIP_vector_typeIjLj2EENS0_17counting_iteratorIjlEEPS9_SG_NS0_5tupleIJPjSI_NS0_16reverse_iteratorISI_EEEEENSH_IJSG_SG_SG_EEES9_SI_JZNS1_25segmented_radix_sort_implINS0_14default_configELb1EPK6__halfPSP_PKlPlN2at6native12_GLOBAL__N_18offset_tEEE10hipError_tPvRmT1_PNSt15iterator_traitsIS13_E10value_typeET2_T3_PNS14_IS19_E10value_typeET4_jRbjT5_S1F_jjP12ihipStream_tbEUljE_ZNSN_ISO_Lb1ESR_SS_SU_SV_SZ_EES10_S11_S12_S13_S17_S18_S19_S1C_S1D_jS1E_jS1F_S1F_jjS1H_bEUljE0_EEES10_S11_S12_S19_S1D_S1F_T6_T7_T9_mT8_S1H_bDpT10_ENKUlT_T0_E_clISt17integral_constantIbLb0EES1U_IbLb1EEEEDaS1Q_S1R_EUlS1Q_E_NS1_11comp_targetILNS1_3genE3ELNS1_11target_archE908ELNS1_3gpuE7ELNS1_3repE0EEENS1_30default_config_static_selectorELNS0_4arch9wavefront6targetE0EEEvS13_,"axG",@progbits,_ZN7rocprim17ROCPRIM_400000_NS6detail17trampoline_kernelINS0_13select_configILj256ELj13ELNS0_17block_load_methodE3ELS4_3ELS4_3ELNS0_20block_scan_algorithmE0ELj4294967295EEENS1_25partition_config_selectorILNS1_17partition_subalgoE4EjNS0_10empty_typeEbEEZZNS1_14partition_implILS8_4ELb0ES6_15HIP_vector_typeIjLj2EENS0_17counting_iteratorIjlEEPS9_SG_NS0_5tupleIJPjSI_NS0_16reverse_iteratorISI_EEEEENSH_IJSG_SG_SG_EEES9_SI_JZNS1_25segmented_radix_sort_implINS0_14default_configELb1EPK6__halfPSP_PKlPlN2at6native12_GLOBAL__N_18offset_tEEE10hipError_tPvRmT1_PNSt15iterator_traitsIS13_E10value_typeET2_T3_PNS14_IS19_E10value_typeET4_jRbjT5_S1F_jjP12ihipStream_tbEUljE_ZNSN_ISO_Lb1ESR_SS_SU_SV_SZ_EES10_S11_S12_S13_S17_S18_S19_S1C_S1D_jS1E_jS1F_S1F_jjS1H_bEUljE0_EEES10_S11_S12_S19_S1D_S1F_T6_T7_T9_mT8_S1H_bDpT10_ENKUlT_T0_E_clISt17integral_constantIbLb0EES1U_IbLb1EEEEDaS1Q_S1R_EUlS1Q_E_NS1_11comp_targetILNS1_3genE3ELNS1_11target_archE908ELNS1_3gpuE7ELNS1_3repE0EEENS1_30default_config_static_selectorELNS0_4arch9wavefront6targetE0EEEvS13_,comdat
	.globl	_ZN7rocprim17ROCPRIM_400000_NS6detail17trampoline_kernelINS0_13select_configILj256ELj13ELNS0_17block_load_methodE3ELS4_3ELS4_3ELNS0_20block_scan_algorithmE0ELj4294967295EEENS1_25partition_config_selectorILNS1_17partition_subalgoE4EjNS0_10empty_typeEbEEZZNS1_14partition_implILS8_4ELb0ES6_15HIP_vector_typeIjLj2EENS0_17counting_iteratorIjlEEPS9_SG_NS0_5tupleIJPjSI_NS0_16reverse_iteratorISI_EEEEENSH_IJSG_SG_SG_EEES9_SI_JZNS1_25segmented_radix_sort_implINS0_14default_configELb1EPK6__halfPSP_PKlPlN2at6native12_GLOBAL__N_18offset_tEEE10hipError_tPvRmT1_PNSt15iterator_traitsIS13_E10value_typeET2_T3_PNS14_IS19_E10value_typeET4_jRbjT5_S1F_jjP12ihipStream_tbEUljE_ZNSN_ISO_Lb1ESR_SS_SU_SV_SZ_EES10_S11_S12_S13_S17_S18_S19_S1C_S1D_jS1E_jS1F_S1F_jjS1H_bEUljE0_EEES10_S11_S12_S19_S1D_S1F_T6_T7_T9_mT8_S1H_bDpT10_ENKUlT_T0_E_clISt17integral_constantIbLb0EES1U_IbLb1EEEEDaS1Q_S1R_EUlS1Q_E_NS1_11comp_targetILNS1_3genE3ELNS1_11target_archE908ELNS1_3gpuE7ELNS1_3repE0EEENS1_30default_config_static_selectorELNS0_4arch9wavefront6targetE0EEEvS13_ ; -- Begin function _ZN7rocprim17ROCPRIM_400000_NS6detail17trampoline_kernelINS0_13select_configILj256ELj13ELNS0_17block_load_methodE3ELS4_3ELS4_3ELNS0_20block_scan_algorithmE0ELj4294967295EEENS1_25partition_config_selectorILNS1_17partition_subalgoE4EjNS0_10empty_typeEbEEZZNS1_14partition_implILS8_4ELb0ES6_15HIP_vector_typeIjLj2EENS0_17counting_iteratorIjlEEPS9_SG_NS0_5tupleIJPjSI_NS0_16reverse_iteratorISI_EEEEENSH_IJSG_SG_SG_EEES9_SI_JZNS1_25segmented_radix_sort_implINS0_14default_configELb1EPK6__halfPSP_PKlPlN2at6native12_GLOBAL__N_18offset_tEEE10hipError_tPvRmT1_PNSt15iterator_traitsIS13_E10value_typeET2_T3_PNS14_IS19_E10value_typeET4_jRbjT5_S1F_jjP12ihipStream_tbEUljE_ZNSN_ISO_Lb1ESR_SS_SU_SV_SZ_EES10_S11_S12_S13_S17_S18_S19_S1C_S1D_jS1E_jS1F_S1F_jjS1H_bEUljE0_EEES10_S11_S12_S19_S1D_S1F_T6_T7_T9_mT8_S1H_bDpT10_ENKUlT_T0_E_clISt17integral_constantIbLb0EES1U_IbLb1EEEEDaS1Q_S1R_EUlS1Q_E_NS1_11comp_targetILNS1_3genE3ELNS1_11target_archE908ELNS1_3gpuE7ELNS1_3repE0EEENS1_30default_config_static_selectorELNS0_4arch9wavefront6targetE0EEEvS13_
	.p2align	8
	.type	_ZN7rocprim17ROCPRIM_400000_NS6detail17trampoline_kernelINS0_13select_configILj256ELj13ELNS0_17block_load_methodE3ELS4_3ELS4_3ELNS0_20block_scan_algorithmE0ELj4294967295EEENS1_25partition_config_selectorILNS1_17partition_subalgoE4EjNS0_10empty_typeEbEEZZNS1_14partition_implILS8_4ELb0ES6_15HIP_vector_typeIjLj2EENS0_17counting_iteratorIjlEEPS9_SG_NS0_5tupleIJPjSI_NS0_16reverse_iteratorISI_EEEEENSH_IJSG_SG_SG_EEES9_SI_JZNS1_25segmented_radix_sort_implINS0_14default_configELb1EPK6__halfPSP_PKlPlN2at6native12_GLOBAL__N_18offset_tEEE10hipError_tPvRmT1_PNSt15iterator_traitsIS13_E10value_typeET2_T3_PNS14_IS19_E10value_typeET4_jRbjT5_S1F_jjP12ihipStream_tbEUljE_ZNSN_ISO_Lb1ESR_SS_SU_SV_SZ_EES10_S11_S12_S13_S17_S18_S19_S1C_S1D_jS1E_jS1F_S1F_jjS1H_bEUljE0_EEES10_S11_S12_S19_S1D_S1F_T6_T7_T9_mT8_S1H_bDpT10_ENKUlT_T0_E_clISt17integral_constantIbLb0EES1U_IbLb1EEEEDaS1Q_S1R_EUlS1Q_E_NS1_11comp_targetILNS1_3genE3ELNS1_11target_archE908ELNS1_3gpuE7ELNS1_3repE0EEENS1_30default_config_static_selectorELNS0_4arch9wavefront6targetE0EEEvS13_,@function
_ZN7rocprim17ROCPRIM_400000_NS6detail17trampoline_kernelINS0_13select_configILj256ELj13ELNS0_17block_load_methodE3ELS4_3ELS4_3ELNS0_20block_scan_algorithmE0ELj4294967295EEENS1_25partition_config_selectorILNS1_17partition_subalgoE4EjNS0_10empty_typeEbEEZZNS1_14partition_implILS8_4ELb0ES6_15HIP_vector_typeIjLj2EENS0_17counting_iteratorIjlEEPS9_SG_NS0_5tupleIJPjSI_NS0_16reverse_iteratorISI_EEEEENSH_IJSG_SG_SG_EEES9_SI_JZNS1_25segmented_radix_sort_implINS0_14default_configELb1EPK6__halfPSP_PKlPlN2at6native12_GLOBAL__N_18offset_tEEE10hipError_tPvRmT1_PNSt15iterator_traitsIS13_E10value_typeET2_T3_PNS14_IS19_E10value_typeET4_jRbjT5_S1F_jjP12ihipStream_tbEUljE_ZNSN_ISO_Lb1ESR_SS_SU_SV_SZ_EES10_S11_S12_S13_S17_S18_S19_S1C_S1D_jS1E_jS1F_S1F_jjS1H_bEUljE0_EEES10_S11_S12_S19_S1D_S1F_T6_T7_T9_mT8_S1H_bDpT10_ENKUlT_T0_E_clISt17integral_constantIbLb0EES1U_IbLb1EEEEDaS1Q_S1R_EUlS1Q_E_NS1_11comp_targetILNS1_3genE3ELNS1_11target_archE908ELNS1_3gpuE7ELNS1_3repE0EEENS1_30default_config_static_selectorELNS0_4arch9wavefront6targetE0EEEvS13_: ; @_ZN7rocprim17ROCPRIM_400000_NS6detail17trampoline_kernelINS0_13select_configILj256ELj13ELNS0_17block_load_methodE3ELS4_3ELS4_3ELNS0_20block_scan_algorithmE0ELj4294967295EEENS1_25partition_config_selectorILNS1_17partition_subalgoE4EjNS0_10empty_typeEbEEZZNS1_14partition_implILS8_4ELb0ES6_15HIP_vector_typeIjLj2EENS0_17counting_iteratorIjlEEPS9_SG_NS0_5tupleIJPjSI_NS0_16reverse_iteratorISI_EEEEENSH_IJSG_SG_SG_EEES9_SI_JZNS1_25segmented_radix_sort_implINS0_14default_configELb1EPK6__halfPSP_PKlPlN2at6native12_GLOBAL__N_18offset_tEEE10hipError_tPvRmT1_PNSt15iterator_traitsIS13_E10value_typeET2_T3_PNS14_IS19_E10value_typeET4_jRbjT5_S1F_jjP12ihipStream_tbEUljE_ZNSN_ISO_Lb1ESR_SS_SU_SV_SZ_EES10_S11_S12_S13_S17_S18_S19_S1C_S1D_jS1E_jS1F_S1F_jjS1H_bEUljE0_EEES10_S11_S12_S19_S1D_S1F_T6_T7_T9_mT8_S1H_bDpT10_ENKUlT_T0_E_clISt17integral_constantIbLb0EES1U_IbLb1EEEEDaS1Q_S1R_EUlS1Q_E_NS1_11comp_targetILNS1_3genE3ELNS1_11target_archE908ELNS1_3gpuE7ELNS1_3repE0EEENS1_30default_config_static_selectorELNS0_4arch9wavefront6targetE0EEEvS13_
; %bb.0:
	.section	.rodata,"a",@progbits
	.p2align	6, 0x0
	.amdhsa_kernel _ZN7rocprim17ROCPRIM_400000_NS6detail17trampoline_kernelINS0_13select_configILj256ELj13ELNS0_17block_load_methodE3ELS4_3ELS4_3ELNS0_20block_scan_algorithmE0ELj4294967295EEENS1_25partition_config_selectorILNS1_17partition_subalgoE4EjNS0_10empty_typeEbEEZZNS1_14partition_implILS8_4ELb0ES6_15HIP_vector_typeIjLj2EENS0_17counting_iteratorIjlEEPS9_SG_NS0_5tupleIJPjSI_NS0_16reverse_iteratorISI_EEEEENSH_IJSG_SG_SG_EEES9_SI_JZNS1_25segmented_radix_sort_implINS0_14default_configELb1EPK6__halfPSP_PKlPlN2at6native12_GLOBAL__N_18offset_tEEE10hipError_tPvRmT1_PNSt15iterator_traitsIS13_E10value_typeET2_T3_PNS14_IS19_E10value_typeET4_jRbjT5_S1F_jjP12ihipStream_tbEUljE_ZNSN_ISO_Lb1ESR_SS_SU_SV_SZ_EES10_S11_S12_S13_S17_S18_S19_S1C_S1D_jS1E_jS1F_S1F_jjS1H_bEUljE0_EEES10_S11_S12_S19_S1D_S1F_T6_T7_T9_mT8_S1H_bDpT10_ENKUlT_T0_E_clISt17integral_constantIbLb0EES1U_IbLb1EEEEDaS1Q_S1R_EUlS1Q_E_NS1_11comp_targetILNS1_3genE3ELNS1_11target_archE908ELNS1_3gpuE7ELNS1_3repE0EEENS1_30default_config_static_selectorELNS0_4arch9wavefront6targetE0EEEvS13_
		.amdhsa_group_segment_fixed_size 0
		.amdhsa_private_segment_fixed_size 0
		.amdhsa_kernarg_size 184
		.amdhsa_user_sgpr_count 2
		.amdhsa_user_sgpr_dispatch_ptr 0
		.amdhsa_user_sgpr_queue_ptr 0
		.amdhsa_user_sgpr_kernarg_segment_ptr 1
		.amdhsa_user_sgpr_dispatch_id 0
		.amdhsa_user_sgpr_kernarg_preload_length 0
		.amdhsa_user_sgpr_kernarg_preload_offset 0
		.amdhsa_user_sgpr_private_segment_size 0
		.amdhsa_wavefront_size32 1
		.amdhsa_uses_dynamic_stack 0
		.amdhsa_enable_private_segment 0
		.amdhsa_system_sgpr_workgroup_id_x 1
		.amdhsa_system_sgpr_workgroup_id_y 0
		.amdhsa_system_sgpr_workgroup_id_z 0
		.amdhsa_system_sgpr_workgroup_info 0
		.amdhsa_system_vgpr_workitem_id 0
		.amdhsa_next_free_vgpr 1
		.amdhsa_next_free_sgpr 1
		.amdhsa_named_barrier_count 0
		.amdhsa_reserve_vcc 0
		.amdhsa_float_round_mode_32 0
		.amdhsa_float_round_mode_16_64 0
		.amdhsa_float_denorm_mode_32 3
		.amdhsa_float_denorm_mode_16_64 3
		.amdhsa_fp16_overflow 0
		.amdhsa_memory_ordered 1
		.amdhsa_forward_progress 1
		.amdhsa_inst_pref_size 0
		.amdhsa_round_robin_scheduling 0
		.amdhsa_exception_fp_ieee_invalid_op 0
		.amdhsa_exception_fp_denorm_src 0
		.amdhsa_exception_fp_ieee_div_zero 0
		.amdhsa_exception_fp_ieee_overflow 0
		.amdhsa_exception_fp_ieee_underflow 0
		.amdhsa_exception_fp_ieee_inexact 0
		.amdhsa_exception_int_div_zero 0
	.end_amdhsa_kernel
	.section	.text._ZN7rocprim17ROCPRIM_400000_NS6detail17trampoline_kernelINS0_13select_configILj256ELj13ELNS0_17block_load_methodE3ELS4_3ELS4_3ELNS0_20block_scan_algorithmE0ELj4294967295EEENS1_25partition_config_selectorILNS1_17partition_subalgoE4EjNS0_10empty_typeEbEEZZNS1_14partition_implILS8_4ELb0ES6_15HIP_vector_typeIjLj2EENS0_17counting_iteratorIjlEEPS9_SG_NS0_5tupleIJPjSI_NS0_16reverse_iteratorISI_EEEEENSH_IJSG_SG_SG_EEES9_SI_JZNS1_25segmented_radix_sort_implINS0_14default_configELb1EPK6__halfPSP_PKlPlN2at6native12_GLOBAL__N_18offset_tEEE10hipError_tPvRmT1_PNSt15iterator_traitsIS13_E10value_typeET2_T3_PNS14_IS19_E10value_typeET4_jRbjT5_S1F_jjP12ihipStream_tbEUljE_ZNSN_ISO_Lb1ESR_SS_SU_SV_SZ_EES10_S11_S12_S13_S17_S18_S19_S1C_S1D_jS1E_jS1F_S1F_jjS1H_bEUljE0_EEES10_S11_S12_S19_S1D_S1F_T6_T7_T9_mT8_S1H_bDpT10_ENKUlT_T0_E_clISt17integral_constantIbLb0EES1U_IbLb1EEEEDaS1Q_S1R_EUlS1Q_E_NS1_11comp_targetILNS1_3genE3ELNS1_11target_archE908ELNS1_3gpuE7ELNS1_3repE0EEENS1_30default_config_static_selectorELNS0_4arch9wavefront6targetE0EEEvS13_,"axG",@progbits,_ZN7rocprim17ROCPRIM_400000_NS6detail17trampoline_kernelINS0_13select_configILj256ELj13ELNS0_17block_load_methodE3ELS4_3ELS4_3ELNS0_20block_scan_algorithmE0ELj4294967295EEENS1_25partition_config_selectorILNS1_17partition_subalgoE4EjNS0_10empty_typeEbEEZZNS1_14partition_implILS8_4ELb0ES6_15HIP_vector_typeIjLj2EENS0_17counting_iteratorIjlEEPS9_SG_NS0_5tupleIJPjSI_NS0_16reverse_iteratorISI_EEEEENSH_IJSG_SG_SG_EEES9_SI_JZNS1_25segmented_radix_sort_implINS0_14default_configELb1EPK6__halfPSP_PKlPlN2at6native12_GLOBAL__N_18offset_tEEE10hipError_tPvRmT1_PNSt15iterator_traitsIS13_E10value_typeET2_T3_PNS14_IS19_E10value_typeET4_jRbjT5_S1F_jjP12ihipStream_tbEUljE_ZNSN_ISO_Lb1ESR_SS_SU_SV_SZ_EES10_S11_S12_S13_S17_S18_S19_S1C_S1D_jS1E_jS1F_S1F_jjS1H_bEUljE0_EEES10_S11_S12_S19_S1D_S1F_T6_T7_T9_mT8_S1H_bDpT10_ENKUlT_T0_E_clISt17integral_constantIbLb0EES1U_IbLb1EEEEDaS1Q_S1R_EUlS1Q_E_NS1_11comp_targetILNS1_3genE3ELNS1_11target_archE908ELNS1_3gpuE7ELNS1_3repE0EEENS1_30default_config_static_selectorELNS0_4arch9wavefront6targetE0EEEvS13_,comdat
.Lfunc_end1692:
	.size	_ZN7rocprim17ROCPRIM_400000_NS6detail17trampoline_kernelINS0_13select_configILj256ELj13ELNS0_17block_load_methodE3ELS4_3ELS4_3ELNS0_20block_scan_algorithmE0ELj4294967295EEENS1_25partition_config_selectorILNS1_17partition_subalgoE4EjNS0_10empty_typeEbEEZZNS1_14partition_implILS8_4ELb0ES6_15HIP_vector_typeIjLj2EENS0_17counting_iteratorIjlEEPS9_SG_NS0_5tupleIJPjSI_NS0_16reverse_iteratorISI_EEEEENSH_IJSG_SG_SG_EEES9_SI_JZNS1_25segmented_radix_sort_implINS0_14default_configELb1EPK6__halfPSP_PKlPlN2at6native12_GLOBAL__N_18offset_tEEE10hipError_tPvRmT1_PNSt15iterator_traitsIS13_E10value_typeET2_T3_PNS14_IS19_E10value_typeET4_jRbjT5_S1F_jjP12ihipStream_tbEUljE_ZNSN_ISO_Lb1ESR_SS_SU_SV_SZ_EES10_S11_S12_S13_S17_S18_S19_S1C_S1D_jS1E_jS1F_S1F_jjS1H_bEUljE0_EEES10_S11_S12_S19_S1D_S1F_T6_T7_T9_mT8_S1H_bDpT10_ENKUlT_T0_E_clISt17integral_constantIbLb0EES1U_IbLb1EEEEDaS1Q_S1R_EUlS1Q_E_NS1_11comp_targetILNS1_3genE3ELNS1_11target_archE908ELNS1_3gpuE7ELNS1_3repE0EEENS1_30default_config_static_selectorELNS0_4arch9wavefront6targetE0EEEvS13_, .Lfunc_end1692-_ZN7rocprim17ROCPRIM_400000_NS6detail17trampoline_kernelINS0_13select_configILj256ELj13ELNS0_17block_load_methodE3ELS4_3ELS4_3ELNS0_20block_scan_algorithmE0ELj4294967295EEENS1_25partition_config_selectorILNS1_17partition_subalgoE4EjNS0_10empty_typeEbEEZZNS1_14partition_implILS8_4ELb0ES6_15HIP_vector_typeIjLj2EENS0_17counting_iteratorIjlEEPS9_SG_NS0_5tupleIJPjSI_NS0_16reverse_iteratorISI_EEEEENSH_IJSG_SG_SG_EEES9_SI_JZNS1_25segmented_radix_sort_implINS0_14default_configELb1EPK6__halfPSP_PKlPlN2at6native12_GLOBAL__N_18offset_tEEE10hipError_tPvRmT1_PNSt15iterator_traitsIS13_E10value_typeET2_T3_PNS14_IS19_E10value_typeET4_jRbjT5_S1F_jjP12ihipStream_tbEUljE_ZNSN_ISO_Lb1ESR_SS_SU_SV_SZ_EES10_S11_S12_S13_S17_S18_S19_S1C_S1D_jS1E_jS1F_S1F_jjS1H_bEUljE0_EEES10_S11_S12_S19_S1D_S1F_T6_T7_T9_mT8_S1H_bDpT10_ENKUlT_T0_E_clISt17integral_constantIbLb0EES1U_IbLb1EEEEDaS1Q_S1R_EUlS1Q_E_NS1_11comp_targetILNS1_3genE3ELNS1_11target_archE908ELNS1_3gpuE7ELNS1_3repE0EEENS1_30default_config_static_selectorELNS0_4arch9wavefront6targetE0EEEvS13_
                                        ; -- End function
	.set _ZN7rocprim17ROCPRIM_400000_NS6detail17trampoline_kernelINS0_13select_configILj256ELj13ELNS0_17block_load_methodE3ELS4_3ELS4_3ELNS0_20block_scan_algorithmE0ELj4294967295EEENS1_25partition_config_selectorILNS1_17partition_subalgoE4EjNS0_10empty_typeEbEEZZNS1_14partition_implILS8_4ELb0ES6_15HIP_vector_typeIjLj2EENS0_17counting_iteratorIjlEEPS9_SG_NS0_5tupleIJPjSI_NS0_16reverse_iteratorISI_EEEEENSH_IJSG_SG_SG_EEES9_SI_JZNS1_25segmented_radix_sort_implINS0_14default_configELb1EPK6__halfPSP_PKlPlN2at6native12_GLOBAL__N_18offset_tEEE10hipError_tPvRmT1_PNSt15iterator_traitsIS13_E10value_typeET2_T3_PNS14_IS19_E10value_typeET4_jRbjT5_S1F_jjP12ihipStream_tbEUljE_ZNSN_ISO_Lb1ESR_SS_SU_SV_SZ_EES10_S11_S12_S13_S17_S18_S19_S1C_S1D_jS1E_jS1F_S1F_jjS1H_bEUljE0_EEES10_S11_S12_S19_S1D_S1F_T6_T7_T9_mT8_S1H_bDpT10_ENKUlT_T0_E_clISt17integral_constantIbLb0EES1U_IbLb1EEEEDaS1Q_S1R_EUlS1Q_E_NS1_11comp_targetILNS1_3genE3ELNS1_11target_archE908ELNS1_3gpuE7ELNS1_3repE0EEENS1_30default_config_static_selectorELNS0_4arch9wavefront6targetE0EEEvS13_.num_vgpr, 0
	.set _ZN7rocprim17ROCPRIM_400000_NS6detail17trampoline_kernelINS0_13select_configILj256ELj13ELNS0_17block_load_methodE3ELS4_3ELS4_3ELNS0_20block_scan_algorithmE0ELj4294967295EEENS1_25partition_config_selectorILNS1_17partition_subalgoE4EjNS0_10empty_typeEbEEZZNS1_14partition_implILS8_4ELb0ES6_15HIP_vector_typeIjLj2EENS0_17counting_iteratorIjlEEPS9_SG_NS0_5tupleIJPjSI_NS0_16reverse_iteratorISI_EEEEENSH_IJSG_SG_SG_EEES9_SI_JZNS1_25segmented_radix_sort_implINS0_14default_configELb1EPK6__halfPSP_PKlPlN2at6native12_GLOBAL__N_18offset_tEEE10hipError_tPvRmT1_PNSt15iterator_traitsIS13_E10value_typeET2_T3_PNS14_IS19_E10value_typeET4_jRbjT5_S1F_jjP12ihipStream_tbEUljE_ZNSN_ISO_Lb1ESR_SS_SU_SV_SZ_EES10_S11_S12_S13_S17_S18_S19_S1C_S1D_jS1E_jS1F_S1F_jjS1H_bEUljE0_EEES10_S11_S12_S19_S1D_S1F_T6_T7_T9_mT8_S1H_bDpT10_ENKUlT_T0_E_clISt17integral_constantIbLb0EES1U_IbLb1EEEEDaS1Q_S1R_EUlS1Q_E_NS1_11comp_targetILNS1_3genE3ELNS1_11target_archE908ELNS1_3gpuE7ELNS1_3repE0EEENS1_30default_config_static_selectorELNS0_4arch9wavefront6targetE0EEEvS13_.num_agpr, 0
	.set _ZN7rocprim17ROCPRIM_400000_NS6detail17trampoline_kernelINS0_13select_configILj256ELj13ELNS0_17block_load_methodE3ELS4_3ELS4_3ELNS0_20block_scan_algorithmE0ELj4294967295EEENS1_25partition_config_selectorILNS1_17partition_subalgoE4EjNS0_10empty_typeEbEEZZNS1_14partition_implILS8_4ELb0ES6_15HIP_vector_typeIjLj2EENS0_17counting_iteratorIjlEEPS9_SG_NS0_5tupleIJPjSI_NS0_16reverse_iteratorISI_EEEEENSH_IJSG_SG_SG_EEES9_SI_JZNS1_25segmented_radix_sort_implINS0_14default_configELb1EPK6__halfPSP_PKlPlN2at6native12_GLOBAL__N_18offset_tEEE10hipError_tPvRmT1_PNSt15iterator_traitsIS13_E10value_typeET2_T3_PNS14_IS19_E10value_typeET4_jRbjT5_S1F_jjP12ihipStream_tbEUljE_ZNSN_ISO_Lb1ESR_SS_SU_SV_SZ_EES10_S11_S12_S13_S17_S18_S19_S1C_S1D_jS1E_jS1F_S1F_jjS1H_bEUljE0_EEES10_S11_S12_S19_S1D_S1F_T6_T7_T9_mT8_S1H_bDpT10_ENKUlT_T0_E_clISt17integral_constantIbLb0EES1U_IbLb1EEEEDaS1Q_S1R_EUlS1Q_E_NS1_11comp_targetILNS1_3genE3ELNS1_11target_archE908ELNS1_3gpuE7ELNS1_3repE0EEENS1_30default_config_static_selectorELNS0_4arch9wavefront6targetE0EEEvS13_.numbered_sgpr, 0
	.set _ZN7rocprim17ROCPRIM_400000_NS6detail17trampoline_kernelINS0_13select_configILj256ELj13ELNS0_17block_load_methodE3ELS4_3ELS4_3ELNS0_20block_scan_algorithmE0ELj4294967295EEENS1_25partition_config_selectorILNS1_17partition_subalgoE4EjNS0_10empty_typeEbEEZZNS1_14partition_implILS8_4ELb0ES6_15HIP_vector_typeIjLj2EENS0_17counting_iteratorIjlEEPS9_SG_NS0_5tupleIJPjSI_NS0_16reverse_iteratorISI_EEEEENSH_IJSG_SG_SG_EEES9_SI_JZNS1_25segmented_radix_sort_implINS0_14default_configELb1EPK6__halfPSP_PKlPlN2at6native12_GLOBAL__N_18offset_tEEE10hipError_tPvRmT1_PNSt15iterator_traitsIS13_E10value_typeET2_T3_PNS14_IS19_E10value_typeET4_jRbjT5_S1F_jjP12ihipStream_tbEUljE_ZNSN_ISO_Lb1ESR_SS_SU_SV_SZ_EES10_S11_S12_S13_S17_S18_S19_S1C_S1D_jS1E_jS1F_S1F_jjS1H_bEUljE0_EEES10_S11_S12_S19_S1D_S1F_T6_T7_T9_mT8_S1H_bDpT10_ENKUlT_T0_E_clISt17integral_constantIbLb0EES1U_IbLb1EEEEDaS1Q_S1R_EUlS1Q_E_NS1_11comp_targetILNS1_3genE3ELNS1_11target_archE908ELNS1_3gpuE7ELNS1_3repE0EEENS1_30default_config_static_selectorELNS0_4arch9wavefront6targetE0EEEvS13_.num_named_barrier, 0
	.set _ZN7rocprim17ROCPRIM_400000_NS6detail17trampoline_kernelINS0_13select_configILj256ELj13ELNS0_17block_load_methodE3ELS4_3ELS4_3ELNS0_20block_scan_algorithmE0ELj4294967295EEENS1_25partition_config_selectorILNS1_17partition_subalgoE4EjNS0_10empty_typeEbEEZZNS1_14partition_implILS8_4ELb0ES6_15HIP_vector_typeIjLj2EENS0_17counting_iteratorIjlEEPS9_SG_NS0_5tupleIJPjSI_NS0_16reverse_iteratorISI_EEEEENSH_IJSG_SG_SG_EEES9_SI_JZNS1_25segmented_radix_sort_implINS0_14default_configELb1EPK6__halfPSP_PKlPlN2at6native12_GLOBAL__N_18offset_tEEE10hipError_tPvRmT1_PNSt15iterator_traitsIS13_E10value_typeET2_T3_PNS14_IS19_E10value_typeET4_jRbjT5_S1F_jjP12ihipStream_tbEUljE_ZNSN_ISO_Lb1ESR_SS_SU_SV_SZ_EES10_S11_S12_S13_S17_S18_S19_S1C_S1D_jS1E_jS1F_S1F_jjS1H_bEUljE0_EEES10_S11_S12_S19_S1D_S1F_T6_T7_T9_mT8_S1H_bDpT10_ENKUlT_T0_E_clISt17integral_constantIbLb0EES1U_IbLb1EEEEDaS1Q_S1R_EUlS1Q_E_NS1_11comp_targetILNS1_3genE3ELNS1_11target_archE908ELNS1_3gpuE7ELNS1_3repE0EEENS1_30default_config_static_selectorELNS0_4arch9wavefront6targetE0EEEvS13_.private_seg_size, 0
	.set _ZN7rocprim17ROCPRIM_400000_NS6detail17trampoline_kernelINS0_13select_configILj256ELj13ELNS0_17block_load_methodE3ELS4_3ELS4_3ELNS0_20block_scan_algorithmE0ELj4294967295EEENS1_25partition_config_selectorILNS1_17partition_subalgoE4EjNS0_10empty_typeEbEEZZNS1_14partition_implILS8_4ELb0ES6_15HIP_vector_typeIjLj2EENS0_17counting_iteratorIjlEEPS9_SG_NS0_5tupleIJPjSI_NS0_16reverse_iteratorISI_EEEEENSH_IJSG_SG_SG_EEES9_SI_JZNS1_25segmented_radix_sort_implINS0_14default_configELb1EPK6__halfPSP_PKlPlN2at6native12_GLOBAL__N_18offset_tEEE10hipError_tPvRmT1_PNSt15iterator_traitsIS13_E10value_typeET2_T3_PNS14_IS19_E10value_typeET4_jRbjT5_S1F_jjP12ihipStream_tbEUljE_ZNSN_ISO_Lb1ESR_SS_SU_SV_SZ_EES10_S11_S12_S13_S17_S18_S19_S1C_S1D_jS1E_jS1F_S1F_jjS1H_bEUljE0_EEES10_S11_S12_S19_S1D_S1F_T6_T7_T9_mT8_S1H_bDpT10_ENKUlT_T0_E_clISt17integral_constantIbLb0EES1U_IbLb1EEEEDaS1Q_S1R_EUlS1Q_E_NS1_11comp_targetILNS1_3genE3ELNS1_11target_archE908ELNS1_3gpuE7ELNS1_3repE0EEENS1_30default_config_static_selectorELNS0_4arch9wavefront6targetE0EEEvS13_.uses_vcc, 0
	.set _ZN7rocprim17ROCPRIM_400000_NS6detail17trampoline_kernelINS0_13select_configILj256ELj13ELNS0_17block_load_methodE3ELS4_3ELS4_3ELNS0_20block_scan_algorithmE0ELj4294967295EEENS1_25partition_config_selectorILNS1_17partition_subalgoE4EjNS0_10empty_typeEbEEZZNS1_14partition_implILS8_4ELb0ES6_15HIP_vector_typeIjLj2EENS0_17counting_iteratorIjlEEPS9_SG_NS0_5tupleIJPjSI_NS0_16reverse_iteratorISI_EEEEENSH_IJSG_SG_SG_EEES9_SI_JZNS1_25segmented_radix_sort_implINS0_14default_configELb1EPK6__halfPSP_PKlPlN2at6native12_GLOBAL__N_18offset_tEEE10hipError_tPvRmT1_PNSt15iterator_traitsIS13_E10value_typeET2_T3_PNS14_IS19_E10value_typeET4_jRbjT5_S1F_jjP12ihipStream_tbEUljE_ZNSN_ISO_Lb1ESR_SS_SU_SV_SZ_EES10_S11_S12_S13_S17_S18_S19_S1C_S1D_jS1E_jS1F_S1F_jjS1H_bEUljE0_EEES10_S11_S12_S19_S1D_S1F_T6_T7_T9_mT8_S1H_bDpT10_ENKUlT_T0_E_clISt17integral_constantIbLb0EES1U_IbLb1EEEEDaS1Q_S1R_EUlS1Q_E_NS1_11comp_targetILNS1_3genE3ELNS1_11target_archE908ELNS1_3gpuE7ELNS1_3repE0EEENS1_30default_config_static_selectorELNS0_4arch9wavefront6targetE0EEEvS13_.uses_flat_scratch, 0
	.set _ZN7rocprim17ROCPRIM_400000_NS6detail17trampoline_kernelINS0_13select_configILj256ELj13ELNS0_17block_load_methodE3ELS4_3ELS4_3ELNS0_20block_scan_algorithmE0ELj4294967295EEENS1_25partition_config_selectorILNS1_17partition_subalgoE4EjNS0_10empty_typeEbEEZZNS1_14partition_implILS8_4ELb0ES6_15HIP_vector_typeIjLj2EENS0_17counting_iteratorIjlEEPS9_SG_NS0_5tupleIJPjSI_NS0_16reverse_iteratorISI_EEEEENSH_IJSG_SG_SG_EEES9_SI_JZNS1_25segmented_radix_sort_implINS0_14default_configELb1EPK6__halfPSP_PKlPlN2at6native12_GLOBAL__N_18offset_tEEE10hipError_tPvRmT1_PNSt15iterator_traitsIS13_E10value_typeET2_T3_PNS14_IS19_E10value_typeET4_jRbjT5_S1F_jjP12ihipStream_tbEUljE_ZNSN_ISO_Lb1ESR_SS_SU_SV_SZ_EES10_S11_S12_S13_S17_S18_S19_S1C_S1D_jS1E_jS1F_S1F_jjS1H_bEUljE0_EEES10_S11_S12_S19_S1D_S1F_T6_T7_T9_mT8_S1H_bDpT10_ENKUlT_T0_E_clISt17integral_constantIbLb0EES1U_IbLb1EEEEDaS1Q_S1R_EUlS1Q_E_NS1_11comp_targetILNS1_3genE3ELNS1_11target_archE908ELNS1_3gpuE7ELNS1_3repE0EEENS1_30default_config_static_selectorELNS0_4arch9wavefront6targetE0EEEvS13_.has_dyn_sized_stack, 0
	.set _ZN7rocprim17ROCPRIM_400000_NS6detail17trampoline_kernelINS0_13select_configILj256ELj13ELNS0_17block_load_methodE3ELS4_3ELS4_3ELNS0_20block_scan_algorithmE0ELj4294967295EEENS1_25partition_config_selectorILNS1_17partition_subalgoE4EjNS0_10empty_typeEbEEZZNS1_14partition_implILS8_4ELb0ES6_15HIP_vector_typeIjLj2EENS0_17counting_iteratorIjlEEPS9_SG_NS0_5tupleIJPjSI_NS0_16reverse_iteratorISI_EEEEENSH_IJSG_SG_SG_EEES9_SI_JZNS1_25segmented_radix_sort_implINS0_14default_configELb1EPK6__halfPSP_PKlPlN2at6native12_GLOBAL__N_18offset_tEEE10hipError_tPvRmT1_PNSt15iterator_traitsIS13_E10value_typeET2_T3_PNS14_IS19_E10value_typeET4_jRbjT5_S1F_jjP12ihipStream_tbEUljE_ZNSN_ISO_Lb1ESR_SS_SU_SV_SZ_EES10_S11_S12_S13_S17_S18_S19_S1C_S1D_jS1E_jS1F_S1F_jjS1H_bEUljE0_EEES10_S11_S12_S19_S1D_S1F_T6_T7_T9_mT8_S1H_bDpT10_ENKUlT_T0_E_clISt17integral_constantIbLb0EES1U_IbLb1EEEEDaS1Q_S1R_EUlS1Q_E_NS1_11comp_targetILNS1_3genE3ELNS1_11target_archE908ELNS1_3gpuE7ELNS1_3repE0EEENS1_30default_config_static_selectorELNS0_4arch9wavefront6targetE0EEEvS13_.has_recursion, 0
	.set _ZN7rocprim17ROCPRIM_400000_NS6detail17trampoline_kernelINS0_13select_configILj256ELj13ELNS0_17block_load_methodE3ELS4_3ELS4_3ELNS0_20block_scan_algorithmE0ELj4294967295EEENS1_25partition_config_selectorILNS1_17partition_subalgoE4EjNS0_10empty_typeEbEEZZNS1_14partition_implILS8_4ELb0ES6_15HIP_vector_typeIjLj2EENS0_17counting_iteratorIjlEEPS9_SG_NS0_5tupleIJPjSI_NS0_16reverse_iteratorISI_EEEEENSH_IJSG_SG_SG_EEES9_SI_JZNS1_25segmented_radix_sort_implINS0_14default_configELb1EPK6__halfPSP_PKlPlN2at6native12_GLOBAL__N_18offset_tEEE10hipError_tPvRmT1_PNSt15iterator_traitsIS13_E10value_typeET2_T3_PNS14_IS19_E10value_typeET4_jRbjT5_S1F_jjP12ihipStream_tbEUljE_ZNSN_ISO_Lb1ESR_SS_SU_SV_SZ_EES10_S11_S12_S13_S17_S18_S19_S1C_S1D_jS1E_jS1F_S1F_jjS1H_bEUljE0_EEES10_S11_S12_S19_S1D_S1F_T6_T7_T9_mT8_S1H_bDpT10_ENKUlT_T0_E_clISt17integral_constantIbLb0EES1U_IbLb1EEEEDaS1Q_S1R_EUlS1Q_E_NS1_11comp_targetILNS1_3genE3ELNS1_11target_archE908ELNS1_3gpuE7ELNS1_3repE0EEENS1_30default_config_static_selectorELNS0_4arch9wavefront6targetE0EEEvS13_.has_indirect_call, 0
	.section	.AMDGPU.csdata,"",@progbits
; Kernel info:
; codeLenInByte = 0
; TotalNumSgprs: 0
; NumVgprs: 0
; ScratchSize: 0
; MemoryBound: 0
; FloatMode: 240
; IeeeMode: 1
; LDSByteSize: 0 bytes/workgroup (compile time only)
; SGPRBlocks: 0
; VGPRBlocks: 0
; NumSGPRsForWavesPerEU: 1
; NumVGPRsForWavesPerEU: 1
; NamedBarCnt: 0
; Occupancy: 16
; WaveLimiterHint : 0
; COMPUTE_PGM_RSRC2:SCRATCH_EN: 0
; COMPUTE_PGM_RSRC2:USER_SGPR: 2
; COMPUTE_PGM_RSRC2:TRAP_HANDLER: 0
; COMPUTE_PGM_RSRC2:TGID_X_EN: 1
; COMPUTE_PGM_RSRC2:TGID_Y_EN: 0
; COMPUTE_PGM_RSRC2:TGID_Z_EN: 0
; COMPUTE_PGM_RSRC2:TIDIG_COMP_CNT: 0
	.section	.text._ZN7rocprim17ROCPRIM_400000_NS6detail17trampoline_kernelINS0_13select_configILj256ELj13ELNS0_17block_load_methodE3ELS4_3ELS4_3ELNS0_20block_scan_algorithmE0ELj4294967295EEENS1_25partition_config_selectorILNS1_17partition_subalgoE4EjNS0_10empty_typeEbEEZZNS1_14partition_implILS8_4ELb0ES6_15HIP_vector_typeIjLj2EENS0_17counting_iteratorIjlEEPS9_SG_NS0_5tupleIJPjSI_NS0_16reverse_iteratorISI_EEEEENSH_IJSG_SG_SG_EEES9_SI_JZNS1_25segmented_radix_sort_implINS0_14default_configELb1EPK6__halfPSP_PKlPlN2at6native12_GLOBAL__N_18offset_tEEE10hipError_tPvRmT1_PNSt15iterator_traitsIS13_E10value_typeET2_T3_PNS14_IS19_E10value_typeET4_jRbjT5_S1F_jjP12ihipStream_tbEUljE_ZNSN_ISO_Lb1ESR_SS_SU_SV_SZ_EES10_S11_S12_S13_S17_S18_S19_S1C_S1D_jS1E_jS1F_S1F_jjS1H_bEUljE0_EEES10_S11_S12_S19_S1D_S1F_T6_T7_T9_mT8_S1H_bDpT10_ENKUlT_T0_E_clISt17integral_constantIbLb0EES1U_IbLb1EEEEDaS1Q_S1R_EUlS1Q_E_NS1_11comp_targetILNS1_3genE2ELNS1_11target_archE906ELNS1_3gpuE6ELNS1_3repE0EEENS1_30default_config_static_selectorELNS0_4arch9wavefront6targetE0EEEvS13_,"axG",@progbits,_ZN7rocprim17ROCPRIM_400000_NS6detail17trampoline_kernelINS0_13select_configILj256ELj13ELNS0_17block_load_methodE3ELS4_3ELS4_3ELNS0_20block_scan_algorithmE0ELj4294967295EEENS1_25partition_config_selectorILNS1_17partition_subalgoE4EjNS0_10empty_typeEbEEZZNS1_14partition_implILS8_4ELb0ES6_15HIP_vector_typeIjLj2EENS0_17counting_iteratorIjlEEPS9_SG_NS0_5tupleIJPjSI_NS0_16reverse_iteratorISI_EEEEENSH_IJSG_SG_SG_EEES9_SI_JZNS1_25segmented_radix_sort_implINS0_14default_configELb1EPK6__halfPSP_PKlPlN2at6native12_GLOBAL__N_18offset_tEEE10hipError_tPvRmT1_PNSt15iterator_traitsIS13_E10value_typeET2_T3_PNS14_IS19_E10value_typeET4_jRbjT5_S1F_jjP12ihipStream_tbEUljE_ZNSN_ISO_Lb1ESR_SS_SU_SV_SZ_EES10_S11_S12_S13_S17_S18_S19_S1C_S1D_jS1E_jS1F_S1F_jjS1H_bEUljE0_EEES10_S11_S12_S19_S1D_S1F_T6_T7_T9_mT8_S1H_bDpT10_ENKUlT_T0_E_clISt17integral_constantIbLb0EES1U_IbLb1EEEEDaS1Q_S1R_EUlS1Q_E_NS1_11comp_targetILNS1_3genE2ELNS1_11target_archE906ELNS1_3gpuE6ELNS1_3repE0EEENS1_30default_config_static_selectorELNS0_4arch9wavefront6targetE0EEEvS13_,comdat
	.globl	_ZN7rocprim17ROCPRIM_400000_NS6detail17trampoline_kernelINS0_13select_configILj256ELj13ELNS0_17block_load_methodE3ELS4_3ELS4_3ELNS0_20block_scan_algorithmE0ELj4294967295EEENS1_25partition_config_selectorILNS1_17partition_subalgoE4EjNS0_10empty_typeEbEEZZNS1_14partition_implILS8_4ELb0ES6_15HIP_vector_typeIjLj2EENS0_17counting_iteratorIjlEEPS9_SG_NS0_5tupleIJPjSI_NS0_16reverse_iteratorISI_EEEEENSH_IJSG_SG_SG_EEES9_SI_JZNS1_25segmented_radix_sort_implINS0_14default_configELb1EPK6__halfPSP_PKlPlN2at6native12_GLOBAL__N_18offset_tEEE10hipError_tPvRmT1_PNSt15iterator_traitsIS13_E10value_typeET2_T3_PNS14_IS19_E10value_typeET4_jRbjT5_S1F_jjP12ihipStream_tbEUljE_ZNSN_ISO_Lb1ESR_SS_SU_SV_SZ_EES10_S11_S12_S13_S17_S18_S19_S1C_S1D_jS1E_jS1F_S1F_jjS1H_bEUljE0_EEES10_S11_S12_S19_S1D_S1F_T6_T7_T9_mT8_S1H_bDpT10_ENKUlT_T0_E_clISt17integral_constantIbLb0EES1U_IbLb1EEEEDaS1Q_S1R_EUlS1Q_E_NS1_11comp_targetILNS1_3genE2ELNS1_11target_archE906ELNS1_3gpuE6ELNS1_3repE0EEENS1_30default_config_static_selectorELNS0_4arch9wavefront6targetE0EEEvS13_ ; -- Begin function _ZN7rocprim17ROCPRIM_400000_NS6detail17trampoline_kernelINS0_13select_configILj256ELj13ELNS0_17block_load_methodE3ELS4_3ELS4_3ELNS0_20block_scan_algorithmE0ELj4294967295EEENS1_25partition_config_selectorILNS1_17partition_subalgoE4EjNS0_10empty_typeEbEEZZNS1_14partition_implILS8_4ELb0ES6_15HIP_vector_typeIjLj2EENS0_17counting_iteratorIjlEEPS9_SG_NS0_5tupleIJPjSI_NS0_16reverse_iteratorISI_EEEEENSH_IJSG_SG_SG_EEES9_SI_JZNS1_25segmented_radix_sort_implINS0_14default_configELb1EPK6__halfPSP_PKlPlN2at6native12_GLOBAL__N_18offset_tEEE10hipError_tPvRmT1_PNSt15iterator_traitsIS13_E10value_typeET2_T3_PNS14_IS19_E10value_typeET4_jRbjT5_S1F_jjP12ihipStream_tbEUljE_ZNSN_ISO_Lb1ESR_SS_SU_SV_SZ_EES10_S11_S12_S13_S17_S18_S19_S1C_S1D_jS1E_jS1F_S1F_jjS1H_bEUljE0_EEES10_S11_S12_S19_S1D_S1F_T6_T7_T9_mT8_S1H_bDpT10_ENKUlT_T0_E_clISt17integral_constantIbLb0EES1U_IbLb1EEEEDaS1Q_S1R_EUlS1Q_E_NS1_11comp_targetILNS1_3genE2ELNS1_11target_archE906ELNS1_3gpuE6ELNS1_3repE0EEENS1_30default_config_static_selectorELNS0_4arch9wavefront6targetE0EEEvS13_
	.p2align	8
	.type	_ZN7rocprim17ROCPRIM_400000_NS6detail17trampoline_kernelINS0_13select_configILj256ELj13ELNS0_17block_load_methodE3ELS4_3ELS4_3ELNS0_20block_scan_algorithmE0ELj4294967295EEENS1_25partition_config_selectorILNS1_17partition_subalgoE4EjNS0_10empty_typeEbEEZZNS1_14partition_implILS8_4ELb0ES6_15HIP_vector_typeIjLj2EENS0_17counting_iteratorIjlEEPS9_SG_NS0_5tupleIJPjSI_NS0_16reverse_iteratorISI_EEEEENSH_IJSG_SG_SG_EEES9_SI_JZNS1_25segmented_radix_sort_implINS0_14default_configELb1EPK6__halfPSP_PKlPlN2at6native12_GLOBAL__N_18offset_tEEE10hipError_tPvRmT1_PNSt15iterator_traitsIS13_E10value_typeET2_T3_PNS14_IS19_E10value_typeET4_jRbjT5_S1F_jjP12ihipStream_tbEUljE_ZNSN_ISO_Lb1ESR_SS_SU_SV_SZ_EES10_S11_S12_S13_S17_S18_S19_S1C_S1D_jS1E_jS1F_S1F_jjS1H_bEUljE0_EEES10_S11_S12_S19_S1D_S1F_T6_T7_T9_mT8_S1H_bDpT10_ENKUlT_T0_E_clISt17integral_constantIbLb0EES1U_IbLb1EEEEDaS1Q_S1R_EUlS1Q_E_NS1_11comp_targetILNS1_3genE2ELNS1_11target_archE906ELNS1_3gpuE6ELNS1_3repE0EEENS1_30default_config_static_selectorELNS0_4arch9wavefront6targetE0EEEvS13_,@function
_ZN7rocprim17ROCPRIM_400000_NS6detail17trampoline_kernelINS0_13select_configILj256ELj13ELNS0_17block_load_methodE3ELS4_3ELS4_3ELNS0_20block_scan_algorithmE0ELj4294967295EEENS1_25partition_config_selectorILNS1_17partition_subalgoE4EjNS0_10empty_typeEbEEZZNS1_14partition_implILS8_4ELb0ES6_15HIP_vector_typeIjLj2EENS0_17counting_iteratorIjlEEPS9_SG_NS0_5tupleIJPjSI_NS0_16reverse_iteratorISI_EEEEENSH_IJSG_SG_SG_EEES9_SI_JZNS1_25segmented_radix_sort_implINS0_14default_configELb1EPK6__halfPSP_PKlPlN2at6native12_GLOBAL__N_18offset_tEEE10hipError_tPvRmT1_PNSt15iterator_traitsIS13_E10value_typeET2_T3_PNS14_IS19_E10value_typeET4_jRbjT5_S1F_jjP12ihipStream_tbEUljE_ZNSN_ISO_Lb1ESR_SS_SU_SV_SZ_EES10_S11_S12_S13_S17_S18_S19_S1C_S1D_jS1E_jS1F_S1F_jjS1H_bEUljE0_EEES10_S11_S12_S19_S1D_S1F_T6_T7_T9_mT8_S1H_bDpT10_ENKUlT_T0_E_clISt17integral_constantIbLb0EES1U_IbLb1EEEEDaS1Q_S1R_EUlS1Q_E_NS1_11comp_targetILNS1_3genE2ELNS1_11target_archE906ELNS1_3gpuE6ELNS1_3repE0EEENS1_30default_config_static_selectorELNS0_4arch9wavefront6targetE0EEEvS13_: ; @_ZN7rocprim17ROCPRIM_400000_NS6detail17trampoline_kernelINS0_13select_configILj256ELj13ELNS0_17block_load_methodE3ELS4_3ELS4_3ELNS0_20block_scan_algorithmE0ELj4294967295EEENS1_25partition_config_selectorILNS1_17partition_subalgoE4EjNS0_10empty_typeEbEEZZNS1_14partition_implILS8_4ELb0ES6_15HIP_vector_typeIjLj2EENS0_17counting_iteratorIjlEEPS9_SG_NS0_5tupleIJPjSI_NS0_16reverse_iteratorISI_EEEEENSH_IJSG_SG_SG_EEES9_SI_JZNS1_25segmented_radix_sort_implINS0_14default_configELb1EPK6__halfPSP_PKlPlN2at6native12_GLOBAL__N_18offset_tEEE10hipError_tPvRmT1_PNSt15iterator_traitsIS13_E10value_typeET2_T3_PNS14_IS19_E10value_typeET4_jRbjT5_S1F_jjP12ihipStream_tbEUljE_ZNSN_ISO_Lb1ESR_SS_SU_SV_SZ_EES10_S11_S12_S13_S17_S18_S19_S1C_S1D_jS1E_jS1F_S1F_jjS1H_bEUljE0_EEES10_S11_S12_S19_S1D_S1F_T6_T7_T9_mT8_S1H_bDpT10_ENKUlT_T0_E_clISt17integral_constantIbLb0EES1U_IbLb1EEEEDaS1Q_S1R_EUlS1Q_E_NS1_11comp_targetILNS1_3genE2ELNS1_11target_archE906ELNS1_3gpuE6ELNS1_3repE0EEENS1_30default_config_static_selectorELNS0_4arch9wavefront6targetE0EEEvS13_
; %bb.0:
	.section	.rodata,"a",@progbits
	.p2align	6, 0x0
	.amdhsa_kernel _ZN7rocprim17ROCPRIM_400000_NS6detail17trampoline_kernelINS0_13select_configILj256ELj13ELNS0_17block_load_methodE3ELS4_3ELS4_3ELNS0_20block_scan_algorithmE0ELj4294967295EEENS1_25partition_config_selectorILNS1_17partition_subalgoE4EjNS0_10empty_typeEbEEZZNS1_14partition_implILS8_4ELb0ES6_15HIP_vector_typeIjLj2EENS0_17counting_iteratorIjlEEPS9_SG_NS0_5tupleIJPjSI_NS0_16reverse_iteratorISI_EEEEENSH_IJSG_SG_SG_EEES9_SI_JZNS1_25segmented_radix_sort_implINS0_14default_configELb1EPK6__halfPSP_PKlPlN2at6native12_GLOBAL__N_18offset_tEEE10hipError_tPvRmT1_PNSt15iterator_traitsIS13_E10value_typeET2_T3_PNS14_IS19_E10value_typeET4_jRbjT5_S1F_jjP12ihipStream_tbEUljE_ZNSN_ISO_Lb1ESR_SS_SU_SV_SZ_EES10_S11_S12_S13_S17_S18_S19_S1C_S1D_jS1E_jS1F_S1F_jjS1H_bEUljE0_EEES10_S11_S12_S19_S1D_S1F_T6_T7_T9_mT8_S1H_bDpT10_ENKUlT_T0_E_clISt17integral_constantIbLb0EES1U_IbLb1EEEEDaS1Q_S1R_EUlS1Q_E_NS1_11comp_targetILNS1_3genE2ELNS1_11target_archE906ELNS1_3gpuE6ELNS1_3repE0EEENS1_30default_config_static_selectorELNS0_4arch9wavefront6targetE0EEEvS13_
		.amdhsa_group_segment_fixed_size 0
		.amdhsa_private_segment_fixed_size 0
		.amdhsa_kernarg_size 184
		.amdhsa_user_sgpr_count 2
		.amdhsa_user_sgpr_dispatch_ptr 0
		.amdhsa_user_sgpr_queue_ptr 0
		.amdhsa_user_sgpr_kernarg_segment_ptr 1
		.amdhsa_user_sgpr_dispatch_id 0
		.amdhsa_user_sgpr_kernarg_preload_length 0
		.amdhsa_user_sgpr_kernarg_preload_offset 0
		.amdhsa_user_sgpr_private_segment_size 0
		.amdhsa_wavefront_size32 1
		.amdhsa_uses_dynamic_stack 0
		.amdhsa_enable_private_segment 0
		.amdhsa_system_sgpr_workgroup_id_x 1
		.amdhsa_system_sgpr_workgroup_id_y 0
		.amdhsa_system_sgpr_workgroup_id_z 0
		.amdhsa_system_sgpr_workgroup_info 0
		.amdhsa_system_vgpr_workitem_id 0
		.amdhsa_next_free_vgpr 1
		.amdhsa_next_free_sgpr 1
		.amdhsa_named_barrier_count 0
		.amdhsa_reserve_vcc 0
		.amdhsa_float_round_mode_32 0
		.amdhsa_float_round_mode_16_64 0
		.amdhsa_float_denorm_mode_32 3
		.amdhsa_float_denorm_mode_16_64 3
		.amdhsa_fp16_overflow 0
		.amdhsa_memory_ordered 1
		.amdhsa_forward_progress 1
		.amdhsa_inst_pref_size 0
		.amdhsa_round_robin_scheduling 0
		.amdhsa_exception_fp_ieee_invalid_op 0
		.amdhsa_exception_fp_denorm_src 0
		.amdhsa_exception_fp_ieee_div_zero 0
		.amdhsa_exception_fp_ieee_overflow 0
		.amdhsa_exception_fp_ieee_underflow 0
		.amdhsa_exception_fp_ieee_inexact 0
		.amdhsa_exception_int_div_zero 0
	.end_amdhsa_kernel
	.section	.text._ZN7rocprim17ROCPRIM_400000_NS6detail17trampoline_kernelINS0_13select_configILj256ELj13ELNS0_17block_load_methodE3ELS4_3ELS4_3ELNS0_20block_scan_algorithmE0ELj4294967295EEENS1_25partition_config_selectorILNS1_17partition_subalgoE4EjNS0_10empty_typeEbEEZZNS1_14partition_implILS8_4ELb0ES6_15HIP_vector_typeIjLj2EENS0_17counting_iteratorIjlEEPS9_SG_NS0_5tupleIJPjSI_NS0_16reverse_iteratorISI_EEEEENSH_IJSG_SG_SG_EEES9_SI_JZNS1_25segmented_radix_sort_implINS0_14default_configELb1EPK6__halfPSP_PKlPlN2at6native12_GLOBAL__N_18offset_tEEE10hipError_tPvRmT1_PNSt15iterator_traitsIS13_E10value_typeET2_T3_PNS14_IS19_E10value_typeET4_jRbjT5_S1F_jjP12ihipStream_tbEUljE_ZNSN_ISO_Lb1ESR_SS_SU_SV_SZ_EES10_S11_S12_S13_S17_S18_S19_S1C_S1D_jS1E_jS1F_S1F_jjS1H_bEUljE0_EEES10_S11_S12_S19_S1D_S1F_T6_T7_T9_mT8_S1H_bDpT10_ENKUlT_T0_E_clISt17integral_constantIbLb0EES1U_IbLb1EEEEDaS1Q_S1R_EUlS1Q_E_NS1_11comp_targetILNS1_3genE2ELNS1_11target_archE906ELNS1_3gpuE6ELNS1_3repE0EEENS1_30default_config_static_selectorELNS0_4arch9wavefront6targetE0EEEvS13_,"axG",@progbits,_ZN7rocprim17ROCPRIM_400000_NS6detail17trampoline_kernelINS0_13select_configILj256ELj13ELNS0_17block_load_methodE3ELS4_3ELS4_3ELNS0_20block_scan_algorithmE0ELj4294967295EEENS1_25partition_config_selectorILNS1_17partition_subalgoE4EjNS0_10empty_typeEbEEZZNS1_14partition_implILS8_4ELb0ES6_15HIP_vector_typeIjLj2EENS0_17counting_iteratorIjlEEPS9_SG_NS0_5tupleIJPjSI_NS0_16reverse_iteratorISI_EEEEENSH_IJSG_SG_SG_EEES9_SI_JZNS1_25segmented_radix_sort_implINS0_14default_configELb1EPK6__halfPSP_PKlPlN2at6native12_GLOBAL__N_18offset_tEEE10hipError_tPvRmT1_PNSt15iterator_traitsIS13_E10value_typeET2_T3_PNS14_IS19_E10value_typeET4_jRbjT5_S1F_jjP12ihipStream_tbEUljE_ZNSN_ISO_Lb1ESR_SS_SU_SV_SZ_EES10_S11_S12_S13_S17_S18_S19_S1C_S1D_jS1E_jS1F_S1F_jjS1H_bEUljE0_EEES10_S11_S12_S19_S1D_S1F_T6_T7_T9_mT8_S1H_bDpT10_ENKUlT_T0_E_clISt17integral_constantIbLb0EES1U_IbLb1EEEEDaS1Q_S1R_EUlS1Q_E_NS1_11comp_targetILNS1_3genE2ELNS1_11target_archE906ELNS1_3gpuE6ELNS1_3repE0EEENS1_30default_config_static_selectorELNS0_4arch9wavefront6targetE0EEEvS13_,comdat
.Lfunc_end1693:
	.size	_ZN7rocprim17ROCPRIM_400000_NS6detail17trampoline_kernelINS0_13select_configILj256ELj13ELNS0_17block_load_methodE3ELS4_3ELS4_3ELNS0_20block_scan_algorithmE0ELj4294967295EEENS1_25partition_config_selectorILNS1_17partition_subalgoE4EjNS0_10empty_typeEbEEZZNS1_14partition_implILS8_4ELb0ES6_15HIP_vector_typeIjLj2EENS0_17counting_iteratorIjlEEPS9_SG_NS0_5tupleIJPjSI_NS0_16reverse_iteratorISI_EEEEENSH_IJSG_SG_SG_EEES9_SI_JZNS1_25segmented_radix_sort_implINS0_14default_configELb1EPK6__halfPSP_PKlPlN2at6native12_GLOBAL__N_18offset_tEEE10hipError_tPvRmT1_PNSt15iterator_traitsIS13_E10value_typeET2_T3_PNS14_IS19_E10value_typeET4_jRbjT5_S1F_jjP12ihipStream_tbEUljE_ZNSN_ISO_Lb1ESR_SS_SU_SV_SZ_EES10_S11_S12_S13_S17_S18_S19_S1C_S1D_jS1E_jS1F_S1F_jjS1H_bEUljE0_EEES10_S11_S12_S19_S1D_S1F_T6_T7_T9_mT8_S1H_bDpT10_ENKUlT_T0_E_clISt17integral_constantIbLb0EES1U_IbLb1EEEEDaS1Q_S1R_EUlS1Q_E_NS1_11comp_targetILNS1_3genE2ELNS1_11target_archE906ELNS1_3gpuE6ELNS1_3repE0EEENS1_30default_config_static_selectorELNS0_4arch9wavefront6targetE0EEEvS13_, .Lfunc_end1693-_ZN7rocprim17ROCPRIM_400000_NS6detail17trampoline_kernelINS0_13select_configILj256ELj13ELNS0_17block_load_methodE3ELS4_3ELS4_3ELNS0_20block_scan_algorithmE0ELj4294967295EEENS1_25partition_config_selectorILNS1_17partition_subalgoE4EjNS0_10empty_typeEbEEZZNS1_14partition_implILS8_4ELb0ES6_15HIP_vector_typeIjLj2EENS0_17counting_iteratorIjlEEPS9_SG_NS0_5tupleIJPjSI_NS0_16reverse_iteratorISI_EEEEENSH_IJSG_SG_SG_EEES9_SI_JZNS1_25segmented_radix_sort_implINS0_14default_configELb1EPK6__halfPSP_PKlPlN2at6native12_GLOBAL__N_18offset_tEEE10hipError_tPvRmT1_PNSt15iterator_traitsIS13_E10value_typeET2_T3_PNS14_IS19_E10value_typeET4_jRbjT5_S1F_jjP12ihipStream_tbEUljE_ZNSN_ISO_Lb1ESR_SS_SU_SV_SZ_EES10_S11_S12_S13_S17_S18_S19_S1C_S1D_jS1E_jS1F_S1F_jjS1H_bEUljE0_EEES10_S11_S12_S19_S1D_S1F_T6_T7_T9_mT8_S1H_bDpT10_ENKUlT_T0_E_clISt17integral_constantIbLb0EES1U_IbLb1EEEEDaS1Q_S1R_EUlS1Q_E_NS1_11comp_targetILNS1_3genE2ELNS1_11target_archE906ELNS1_3gpuE6ELNS1_3repE0EEENS1_30default_config_static_selectorELNS0_4arch9wavefront6targetE0EEEvS13_
                                        ; -- End function
	.set _ZN7rocprim17ROCPRIM_400000_NS6detail17trampoline_kernelINS0_13select_configILj256ELj13ELNS0_17block_load_methodE3ELS4_3ELS4_3ELNS0_20block_scan_algorithmE0ELj4294967295EEENS1_25partition_config_selectorILNS1_17partition_subalgoE4EjNS0_10empty_typeEbEEZZNS1_14partition_implILS8_4ELb0ES6_15HIP_vector_typeIjLj2EENS0_17counting_iteratorIjlEEPS9_SG_NS0_5tupleIJPjSI_NS0_16reverse_iteratorISI_EEEEENSH_IJSG_SG_SG_EEES9_SI_JZNS1_25segmented_radix_sort_implINS0_14default_configELb1EPK6__halfPSP_PKlPlN2at6native12_GLOBAL__N_18offset_tEEE10hipError_tPvRmT1_PNSt15iterator_traitsIS13_E10value_typeET2_T3_PNS14_IS19_E10value_typeET4_jRbjT5_S1F_jjP12ihipStream_tbEUljE_ZNSN_ISO_Lb1ESR_SS_SU_SV_SZ_EES10_S11_S12_S13_S17_S18_S19_S1C_S1D_jS1E_jS1F_S1F_jjS1H_bEUljE0_EEES10_S11_S12_S19_S1D_S1F_T6_T7_T9_mT8_S1H_bDpT10_ENKUlT_T0_E_clISt17integral_constantIbLb0EES1U_IbLb1EEEEDaS1Q_S1R_EUlS1Q_E_NS1_11comp_targetILNS1_3genE2ELNS1_11target_archE906ELNS1_3gpuE6ELNS1_3repE0EEENS1_30default_config_static_selectorELNS0_4arch9wavefront6targetE0EEEvS13_.num_vgpr, 0
	.set _ZN7rocprim17ROCPRIM_400000_NS6detail17trampoline_kernelINS0_13select_configILj256ELj13ELNS0_17block_load_methodE3ELS4_3ELS4_3ELNS0_20block_scan_algorithmE0ELj4294967295EEENS1_25partition_config_selectorILNS1_17partition_subalgoE4EjNS0_10empty_typeEbEEZZNS1_14partition_implILS8_4ELb0ES6_15HIP_vector_typeIjLj2EENS0_17counting_iteratorIjlEEPS9_SG_NS0_5tupleIJPjSI_NS0_16reverse_iteratorISI_EEEEENSH_IJSG_SG_SG_EEES9_SI_JZNS1_25segmented_radix_sort_implINS0_14default_configELb1EPK6__halfPSP_PKlPlN2at6native12_GLOBAL__N_18offset_tEEE10hipError_tPvRmT1_PNSt15iterator_traitsIS13_E10value_typeET2_T3_PNS14_IS19_E10value_typeET4_jRbjT5_S1F_jjP12ihipStream_tbEUljE_ZNSN_ISO_Lb1ESR_SS_SU_SV_SZ_EES10_S11_S12_S13_S17_S18_S19_S1C_S1D_jS1E_jS1F_S1F_jjS1H_bEUljE0_EEES10_S11_S12_S19_S1D_S1F_T6_T7_T9_mT8_S1H_bDpT10_ENKUlT_T0_E_clISt17integral_constantIbLb0EES1U_IbLb1EEEEDaS1Q_S1R_EUlS1Q_E_NS1_11comp_targetILNS1_3genE2ELNS1_11target_archE906ELNS1_3gpuE6ELNS1_3repE0EEENS1_30default_config_static_selectorELNS0_4arch9wavefront6targetE0EEEvS13_.num_agpr, 0
	.set _ZN7rocprim17ROCPRIM_400000_NS6detail17trampoline_kernelINS0_13select_configILj256ELj13ELNS0_17block_load_methodE3ELS4_3ELS4_3ELNS0_20block_scan_algorithmE0ELj4294967295EEENS1_25partition_config_selectorILNS1_17partition_subalgoE4EjNS0_10empty_typeEbEEZZNS1_14partition_implILS8_4ELb0ES6_15HIP_vector_typeIjLj2EENS0_17counting_iteratorIjlEEPS9_SG_NS0_5tupleIJPjSI_NS0_16reverse_iteratorISI_EEEEENSH_IJSG_SG_SG_EEES9_SI_JZNS1_25segmented_radix_sort_implINS0_14default_configELb1EPK6__halfPSP_PKlPlN2at6native12_GLOBAL__N_18offset_tEEE10hipError_tPvRmT1_PNSt15iterator_traitsIS13_E10value_typeET2_T3_PNS14_IS19_E10value_typeET4_jRbjT5_S1F_jjP12ihipStream_tbEUljE_ZNSN_ISO_Lb1ESR_SS_SU_SV_SZ_EES10_S11_S12_S13_S17_S18_S19_S1C_S1D_jS1E_jS1F_S1F_jjS1H_bEUljE0_EEES10_S11_S12_S19_S1D_S1F_T6_T7_T9_mT8_S1H_bDpT10_ENKUlT_T0_E_clISt17integral_constantIbLb0EES1U_IbLb1EEEEDaS1Q_S1R_EUlS1Q_E_NS1_11comp_targetILNS1_3genE2ELNS1_11target_archE906ELNS1_3gpuE6ELNS1_3repE0EEENS1_30default_config_static_selectorELNS0_4arch9wavefront6targetE0EEEvS13_.numbered_sgpr, 0
	.set _ZN7rocprim17ROCPRIM_400000_NS6detail17trampoline_kernelINS0_13select_configILj256ELj13ELNS0_17block_load_methodE3ELS4_3ELS4_3ELNS0_20block_scan_algorithmE0ELj4294967295EEENS1_25partition_config_selectorILNS1_17partition_subalgoE4EjNS0_10empty_typeEbEEZZNS1_14partition_implILS8_4ELb0ES6_15HIP_vector_typeIjLj2EENS0_17counting_iteratorIjlEEPS9_SG_NS0_5tupleIJPjSI_NS0_16reverse_iteratorISI_EEEEENSH_IJSG_SG_SG_EEES9_SI_JZNS1_25segmented_radix_sort_implINS0_14default_configELb1EPK6__halfPSP_PKlPlN2at6native12_GLOBAL__N_18offset_tEEE10hipError_tPvRmT1_PNSt15iterator_traitsIS13_E10value_typeET2_T3_PNS14_IS19_E10value_typeET4_jRbjT5_S1F_jjP12ihipStream_tbEUljE_ZNSN_ISO_Lb1ESR_SS_SU_SV_SZ_EES10_S11_S12_S13_S17_S18_S19_S1C_S1D_jS1E_jS1F_S1F_jjS1H_bEUljE0_EEES10_S11_S12_S19_S1D_S1F_T6_T7_T9_mT8_S1H_bDpT10_ENKUlT_T0_E_clISt17integral_constantIbLb0EES1U_IbLb1EEEEDaS1Q_S1R_EUlS1Q_E_NS1_11comp_targetILNS1_3genE2ELNS1_11target_archE906ELNS1_3gpuE6ELNS1_3repE0EEENS1_30default_config_static_selectorELNS0_4arch9wavefront6targetE0EEEvS13_.num_named_barrier, 0
	.set _ZN7rocprim17ROCPRIM_400000_NS6detail17trampoline_kernelINS0_13select_configILj256ELj13ELNS0_17block_load_methodE3ELS4_3ELS4_3ELNS0_20block_scan_algorithmE0ELj4294967295EEENS1_25partition_config_selectorILNS1_17partition_subalgoE4EjNS0_10empty_typeEbEEZZNS1_14partition_implILS8_4ELb0ES6_15HIP_vector_typeIjLj2EENS0_17counting_iteratorIjlEEPS9_SG_NS0_5tupleIJPjSI_NS0_16reverse_iteratorISI_EEEEENSH_IJSG_SG_SG_EEES9_SI_JZNS1_25segmented_radix_sort_implINS0_14default_configELb1EPK6__halfPSP_PKlPlN2at6native12_GLOBAL__N_18offset_tEEE10hipError_tPvRmT1_PNSt15iterator_traitsIS13_E10value_typeET2_T3_PNS14_IS19_E10value_typeET4_jRbjT5_S1F_jjP12ihipStream_tbEUljE_ZNSN_ISO_Lb1ESR_SS_SU_SV_SZ_EES10_S11_S12_S13_S17_S18_S19_S1C_S1D_jS1E_jS1F_S1F_jjS1H_bEUljE0_EEES10_S11_S12_S19_S1D_S1F_T6_T7_T9_mT8_S1H_bDpT10_ENKUlT_T0_E_clISt17integral_constantIbLb0EES1U_IbLb1EEEEDaS1Q_S1R_EUlS1Q_E_NS1_11comp_targetILNS1_3genE2ELNS1_11target_archE906ELNS1_3gpuE6ELNS1_3repE0EEENS1_30default_config_static_selectorELNS0_4arch9wavefront6targetE0EEEvS13_.private_seg_size, 0
	.set _ZN7rocprim17ROCPRIM_400000_NS6detail17trampoline_kernelINS0_13select_configILj256ELj13ELNS0_17block_load_methodE3ELS4_3ELS4_3ELNS0_20block_scan_algorithmE0ELj4294967295EEENS1_25partition_config_selectorILNS1_17partition_subalgoE4EjNS0_10empty_typeEbEEZZNS1_14partition_implILS8_4ELb0ES6_15HIP_vector_typeIjLj2EENS0_17counting_iteratorIjlEEPS9_SG_NS0_5tupleIJPjSI_NS0_16reverse_iteratorISI_EEEEENSH_IJSG_SG_SG_EEES9_SI_JZNS1_25segmented_radix_sort_implINS0_14default_configELb1EPK6__halfPSP_PKlPlN2at6native12_GLOBAL__N_18offset_tEEE10hipError_tPvRmT1_PNSt15iterator_traitsIS13_E10value_typeET2_T3_PNS14_IS19_E10value_typeET4_jRbjT5_S1F_jjP12ihipStream_tbEUljE_ZNSN_ISO_Lb1ESR_SS_SU_SV_SZ_EES10_S11_S12_S13_S17_S18_S19_S1C_S1D_jS1E_jS1F_S1F_jjS1H_bEUljE0_EEES10_S11_S12_S19_S1D_S1F_T6_T7_T9_mT8_S1H_bDpT10_ENKUlT_T0_E_clISt17integral_constantIbLb0EES1U_IbLb1EEEEDaS1Q_S1R_EUlS1Q_E_NS1_11comp_targetILNS1_3genE2ELNS1_11target_archE906ELNS1_3gpuE6ELNS1_3repE0EEENS1_30default_config_static_selectorELNS0_4arch9wavefront6targetE0EEEvS13_.uses_vcc, 0
	.set _ZN7rocprim17ROCPRIM_400000_NS6detail17trampoline_kernelINS0_13select_configILj256ELj13ELNS0_17block_load_methodE3ELS4_3ELS4_3ELNS0_20block_scan_algorithmE0ELj4294967295EEENS1_25partition_config_selectorILNS1_17partition_subalgoE4EjNS0_10empty_typeEbEEZZNS1_14partition_implILS8_4ELb0ES6_15HIP_vector_typeIjLj2EENS0_17counting_iteratorIjlEEPS9_SG_NS0_5tupleIJPjSI_NS0_16reverse_iteratorISI_EEEEENSH_IJSG_SG_SG_EEES9_SI_JZNS1_25segmented_radix_sort_implINS0_14default_configELb1EPK6__halfPSP_PKlPlN2at6native12_GLOBAL__N_18offset_tEEE10hipError_tPvRmT1_PNSt15iterator_traitsIS13_E10value_typeET2_T3_PNS14_IS19_E10value_typeET4_jRbjT5_S1F_jjP12ihipStream_tbEUljE_ZNSN_ISO_Lb1ESR_SS_SU_SV_SZ_EES10_S11_S12_S13_S17_S18_S19_S1C_S1D_jS1E_jS1F_S1F_jjS1H_bEUljE0_EEES10_S11_S12_S19_S1D_S1F_T6_T7_T9_mT8_S1H_bDpT10_ENKUlT_T0_E_clISt17integral_constantIbLb0EES1U_IbLb1EEEEDaS1Q_S1R_EUlS1Q_E_NS1_11comp_targetILNS1_3genE2ELNS1_11target_archE906ELNS1_3gpuE6ELNS1_3repE0EEENS1_30default_config_static_selectorELNS0_4arch9wavefront6targetE0EEEvS13_.uses_flat_scratch, 0
	.set _ZN7rocprim17ROCPRIM_400000_NS6detail17trampoline_kernelINS0_13select_configILj256ELj13ELNS0_17block_load_methodE3ELS4_3ELS4_3ELNS0_20block_scan_algorithmE0ELj4294967295EEENS1_25partition_config_selectorILNS1_17partition_subalgoE4EjNS0_10empty_typeEbEEZZNS1_14partition_implILS8_4ELb0ES6_15HIP_vector_typeIjLj2EENS0_17counting_iteratorIjlEEPS9_SG_NS0_5tupleIJPjSI_NS0_16reverse_iteratorISI_EEEEENSH_IJSG_SG_SG_EEES9_SI_JZNS1_25segmented_radix_sort_implINS0_14default_configELb1EPK6__halfPSP_PKlPlN2at6native12_GLOBAL__N_18offset_tEEE10hipError_tPvRmT1_PNSt15iterator_traitsIS13_E10value_typeET2_T3_PNS14_IS19_E10value_typeET4_jRbjT5_S1F_jjP12ihipStream_tbEUljE_ZNSN_ISO_Lb1ESR_SS_SU_SV_SZ_EES10_S11_S12_S13_S17_S18_S19_S1C_S1D_jS1E_jS1F_S1F_jjS1H_bEUljE0_EEES10_S11_S12_S19_S1D_S1F_T6_T7_T9_mT8_S1H_bDpT10_ENKUlT_T0_E_clISt17integral_constantIbLb0EES1U_IbLb1EEEEDaS1Q_S1R_EUlS1Q_E_NS1_11comp_targetILNS1_3genE2ELNS1_11target_archE906ELNS1_3gpuE6ELNS1_3repE0EEENS1_30default_config_static_selectorELNS0_4arch9wavefront6targetE0EEEvS13_.has_dyn_sized_stack, 0
	.set _ZN7rocprim17ROCPRIM_400000_NS6detail17trampoline_kernelINS0_13select_configILj256ELj13ELNS0_17block_load_methodE3ELS4_3ELS4_3ELNS0_20block_scan_algorithmE0ELj4294967295EEENS1_25partition_config_selectorILNS1_17partition_subalgoE4EjNS0_10empty_typeEbEEZZNS1_14partition_implILS8_4ELb0ES6_15HIP_vector_typeIjLj2EENS0_17counting_iteratorIjlEEPS9_SG_NS0_5tupleIJPjSI_NS0_16reverse_iteratorISI_EEEEENSH_IJSG_SG_SG_EEES9_SI_JZNS1_25segmented_radix_sort_implINS0_14default_configELb1EPK6__halfPSP_PKlPlN2at6native12_GLOBAL__N_18offset_tEEE10hipError_tPvRmT1_PNSt15iterator_traitsIS13_E10value_typeET2_T3_PNS14_IS19_E10value_typeET4_jRbjT5_S1F_jjP12ihipStream_tbEUljE_ZNSN_ISO_Lb1ESR_SS_SU_SV_SZ_EES10_S11_S12_S13_S17_S18_S19_S1C_S1D_jS1E_jS1F_S1F_jjS1H_bEUljE0_EEES10_S11_S12_S19_S1D_S1F_T6_T7_T9_mT8_S1H_bDpT10_ENKUlT_T0_E_clISt17integral_constantIbLb0EES1U_IbLb1EEEEDaS1Q_S1R_EUlS1Q_E_NS1_11comp_targetILNS1_3genE2ELNS1_11target_archE906ELNS1_3gpuE6ELNS1_3repE0EEENS1_30default_config_static_selectorELNS0_4arch9wavefront6targetE0EEEvS13_.has_recursion, 0
	.set _ZN7rocprim17ROCPRIM_400000_NS6detail17trampoline_kernelINS0_13select_configILj256ELj13ELNS0_17block_load_methodE3ELS4_3ELS4_3ELNS0_20block_scan_algorithmE0ELj4294967295EEENS1_25partition_config_selectorILNS1_17partition_subalgoE4EjNS0_10empty_typeEbEEZZNS1_14partition_implILS8_4ELb0ES6_15HIP_vector_typeIjLj2EENS0_17counting_iteratorIjlEEPS9_SG_NS0_5tupleIJPjSI_NS0_16reverse_iteratorISI_EEEEENSH_IJSG_SG_SG_EEES9_SI_JZNS1_25segmented_radix_sort_implINS0_14default_configELb1EPK6__halfPSP_PKlPlN2at6native12_GLOBAL__N_18offset_tEEE10hipError_tPvRmT1_PNSt15iterator_traitsIS13_E10value_typeET2_T3_PNS14_IS19_E10value_typeET4_jRbjT5_S1F_jjP12ihipStream_tbEUljE_ZNSN_ISO_Lb1ESR_SS_SU_SV_SZ_EES10_S11_S12_S13_S17_S18_S19_S1C_S1D_jS1E_jS1F_S1F_jjS1H_bEUljE0_EEES10_S11_S12_S19_S1D_S1F_T6_T7_T9_mT8_S1H_bDpT10_ENKUlT_T0_E_clISt17integral_constantIbLb0EES1U_IbLb1EEEEDaS1Q_S1R_EUlS1Q_E_NS1_11comp_targetILNS1_3genE2ELNS1_11target_archE906ELNS1_3gpuE6ELNS1_3repE0EEENS1_30default_config_static_selectorELNS0_4arch9wavefront6targetE0EEEvS13_.has_indirect_call, 0
	.section	.AMDGPU.csdata,"",@progbits
; Kernel info:
; codeLenInByte = 0
; TotalNumSgprs: 0
; NumVgprs: 0
; ScratchSize: 0
; MemoryBound: 0
; FloatMode: 240
; IeeeMode: 1
; LDSByteSize: 0 bytes/workgroup (compile time only)
; SGPRBlocks: 0
; VGPRBlocks: 0
; NumSGPRsForWavesPerEU: 1
; NumVGPRsForWavesPerEU: 1
; NamedBarCnt: 0
; Occupancy: 16
; WaveLimiterHint : 0
; COMPUTE_PGM_RSRC2:SCRATCH_EN: 0
; COMPUTE_PGM_RSRC2:USER_SGPR: 2
; COMPUTE_PGM_RSRC2:TRAP_HANDLER: 0
; COMPUTE_PGM_RSRC2:TGID_X_EN: 1
; COMPUTE_PGM_RSRC2:TGID_Y_EN: 0
; COMPUTE_PGM_RSRC2:TGID_Z_EN: 0
; COMPUTE_PGM_RSRC2:TIDIG_COMP_CNT: 0
	.section	.text._ZN7rocprim17ROCPRIM_400000_NS6detail17trampoline_kernelINS0_13select_configILj256ELj13ELNS0_17block_load_methodE3ELS4_3ELS4_3ELNS0_20block_scan_algorithmE0ELj4294967295EEENS1_25partition_config_selectorILNS1_17partition_subalgoE4EjNS0_10empty_typeEbEEZZNS1_14partition_implILS8_4ELb0ES6_15HIP_vector_typeIjLj2EENS0_17counting_iteratorIjlEEPS9_SG_NS0_5tupleIJPjSI_NS0_16reverse_iteratorISI_EEEEENSH_IJSG_SG_SG_EEES9_SI_JZNS1_25segmented_radix_sort_implINS0_14default_configELb1EPK6__halfPSP_PKlPlN2at6native12_GLOBAL__N_18offset_tEEE10hipError_tPvRmT1_PNSt15iterator_traitsIS13_E10value_typeET2_T3_PNS14_IS19_E10value_typeET4_jRbjT5_S1F_jjP12ihipStream_tbEUljE_ZNSN_ISO_Lb1ESR_SS_SU_SV_SZ_EES10_S11_S12_S13_S17_S18_S19_S1C_S1D_jS1E_jS1F_S1F_jjS1H_bEUljE0_EEES10_S11_S12_S19_S1D_S1F_T6_T7_T9_mT8_S1H_bDpT10_ENKUlT_T0_E_clISt17integral_constantIbLb0EES1U_IbLb1EEEEDaS1Q_S1R_EUlS1Q_E_NS1_11comp_targetILNS1_3genE10ELNS1_11target_archE1200ELNS1_3gpuE4ELNS1_3repE0EEENS1_30default_config_static_selectorELNS0_4arch9wavefront6targetE0EEEvS13_,"axG",@progbits,_ZN7rocprim17ROCPRIM_400000_NS6detail17trampoline_kernelINS0_13select_configILj256ELj13ELNS0_17block_load_methodE3ELS4_3ELS4_3ELNS0_20block_scan_algorithmE0ELj4294967295EEENS1_25partition_config_selectorILNS1_17partition_subalgoE4EjNS0_10empty_typeEbEEZZNS1_14partition_implILS8_4ELb0ES6_15HIP_vector_typeIjLj2EENS0_17counting_iteratorIjlEEPS9_SG_NS0_5tupleIJPjSI_NS0_16reverse_iteratorISI_EEEEENSH_IJSG_SG_SG_EEES9_SI_JZNS1_25segmented_radix_sort_implINS0_14default_configELb1EPK6__halfPSP_PKlPlN2at6native12_GLOBAL__N_18offset_tEEE10hipError_tPvRmT1_PNSt15iterator_traitsIS13_E10value_typeET2_T3_PNS14_IS19_E10value_typeET4_jRbjT5_S1F_jjP12ihipStream_tbEUljE_ZNSN_ISO_Lb1ESR_SS_SU_SV_SZ_EES10_S11_S12_S13_S17_S18_S19_S1C_S1D_jS1E_jS1F_S1F_jjS1H_bEUljE0_EEES10_S11_S12_S19_S1D_S1F_T6_T7_T9_mT8_S1H_bDpT10_ENKUlT_T0_E_clISt17integral_constantIbLb0EES1U_IbLb1EEEEDaS1Q_S1R_EUlS1Q_E_NS1_11comp_targetILNS1_3genE10ELNS1_11target_archE1200ELNS1_3gpuE4ELNS1_3repE0EEENS1_30default_config_static_selectorELNS0_4arch9wavefront6targetE0EEEvS13_,comdat
	.globl	_ZN7rocprim17ROCPRIM_400000_NS6detail17trampoline_kernelINS0_13select_configILj256ELj13ELNS0_17block_load_methodE3ELS4_3ELS4_3ELNS0_20block_scan_algorithmE0ELj4294967295EEENS1_25partition_config_selectorILNS1_17partition_subalgoE4EjNS0_10empty_typeEbEEZZNS1_14partition_implILS8_4ELb0ES6_15HIP_vector_typeIjLj2EENS0_17counting_iteratorIjlEEPS9_SG_NS0_5tupleIJPjSI_NS0_16reverse_iteratorISI_EEEEENSH_IJSG_SG_SG_EEES9_SI_JZNS1_25segmented_radix_sort_implINS0_14default_configELb1EPK6__halfPSP_PKlPlN2at6native12_GLOBAL__N_18offset_tEEE10hipError_tPvRmT1_PNSt15iterator_traitsIS13_E10value_typeET2_T3_PNS14_IS19_E10value_typeET4_jRbjT5_S1F_jjP12ihipStream_tbEUljE_ZNSN_ISO_Lb1ESR_SS_SU_SV_SZ_EES10_S11_S12_S13_S17_S18_S19_S1C_S1D_jS1E_jS1F_S1F_jjS1H_bEUljE0_EEES10_S11_S12_S19_S1D_S1F_T6_T7_T9_mT8_S1H_bDpT10_ENKUlT_T0_E_clISt17integral_constantIbLb0EES1U_IbLb1EEEEDaS1Q_S1R_EUlS1Q_E_NS1_11comp_targetILNS1_3genE10ELNS1_11target_archE1200ELNS1_3gpuE4ELNS1_3repE0EEENS1_30default_config_static_selectorELNS0_4arch9wavefront6targetE0EEEvS13_ ; -- Begin function _ZN7rocprim17ROCPRIM_400000_NS6detail17trampoline_kernelINS0_13select_configILj256ELj13ELNS0_17block_load_methodE3ELS4_3ELS4_3ELNS0_20block_scan_algorithmE0ELj4294967295EEENS1_25partition_config_selectorILNS1_17partition_subalgoE4EjNS0_10empty_typeEbEEZZNS1_14partition_implILS8_4ELb0ES6_15HIP_vector_typeIjLj2EENS0_17counting_iteratorIjlEEPS9_SG_NS0_5tupleIJPjSI_NS0_16reverse_iteratorISI_EEEEENSH_IJSG_SG_SG_EEES9_SI_JZNS1_25segmented_radix_sort_implINS0_14default_configELb1EPK6__halfPSP_PKlPlN2at6native12_GLOBAL__N_18offset_tEEE10hipError_tPvRmT1_PNSt15iterator_traitsIS13_E10value_typeET2_T3_PNS14_IS19_E10value_typeET4_jRbjT5_S1F_jjP12ihipStream_tbEUljE_ZNSN_ISO_Lb1ESR_SS_SU_SV_SZ_EES10_S11_S12_S13_S17_S18_S19_S1C_S1D_jS1E_jS1F_S1F_jjS1H_bEUljE0_EEES10_S11_S12_S19_S1D_S1F_T6_T7_T9_mT8_S1H_bDpT10_ENKUlT_T0_E_clISt17integral_constantIbLb0EES1U_IbLb1EEEEDaS1Q_S1R_EUlS1Q_E_NS1_11comp_targetILNS1_3genE10ELNS1_11target_archE1200ELNS1_3gpuE4ELNS1_3repE0EEENS1_30default_config_static_selectorELNS0_4arch9wavefront6targetE0EEEvS13_
	.p2align	8
	.type	_ZN7rocprim17ROCPRIM_400000_NS6detail17trampoline_kernelINS0_13select_configILj256ELj13ELNS0_17block_load_methodE3ELS4_3ELS4_3ELNS0_20block_scan_algorithmE0ELj4294967295EEENS1_25partition_config_selectorILNS1_17partition_subalgoE4EjNS0_10empty_typeEbEEZZNS1_14partition_implILS8_4ELb0ES6_15HIP_vector_typeIjLj2EENS0_17counting_iteratorIjlEEPS9_SG_NS0_5tupleIJPjSI_NS0_16reverse_iteratorISI_EEEEENSH_IJSG_SG_SG_EEES9_SI_JZNS1_25segmented_radix_sort_implINS0_14default_configELb1EPK6__halfPSP_PKlPlN2at6native12_GLOBAL__N_18offset_tEEE10hipError_tPvRmT1_PNSt15iterator_traitsIS13_E10value_typeET2_T3_PNS14_IS19_E10value_typeET4_jRbjT5_S1F_jjP12ihipStream_tbEUljE_ZNSN_ISO_Lb1ESR_SS_SU_SV_SZ_EES10_S11_S12_S13_S17_S18_S19_S1C_S1D_jS1E_jS1F_S1F_jjS1H_bEUljE0_EEES10_S11_S12_S19_S1D_S1F_T6_T7_T9_mT8_S1H_bDpT10_ENKUlT_T0_E_clISt17integral_constantIbLb0EES1U_IbLb1EEEEDaS1Q_S1R_EUlS1Q_E_NS1_11comp_targetILNS1_3genE10ELNS1_11target_archE1200ELNS1_3gpuE4ELNS1_3repE0EEENS1_30default_config_static_selectorELNS0_4arch9wavefront6targetE0EEEvS13_,@function
_ZN7rocprim17ROCPRIM_400000_NS6detail17trampoline_kernelINS0_13select_configILj256ELj13ELNS0_17block_load_methodE3ELS4_3ELS4_3ELNS0_20block_scan_algorithmE0ELj4294967295EEENS1_25partition_config_selectorILNS1_17partition_subalgoE4EjNS0_10empty_typeEbEEZZNS1_14partition_implILS8_4ELb0ES6_15HIP_vector_typeIjLj2EENS0_17counting_iteratorIjlEEPS9_SG_NS0_5tupleIJPjSI_NS0_16reverse_iteratorISI_EEEEENSH_IJSG_SG_SG_EEES9_SI_JZNS1_25segmented_radix_sort_implINS0_14default_configELb1EPK6__halfPSP_PKlPlN2at6native12_GLOBAL__N_18offset_tEEE10hipError_tPvRmT1_PNSt15iterator_traitsIS13_E10value_typeET2_T3_PNS14_IS19_E10value_typeET4_jRbjT5_S1F_jjP12ihipStream_tbEUljE_ZNSN_ISO_Lb1ESR_SS_SU_SV_SZ_EES10_S11_S12_S13_S17_S18_S19_S1C_S1D_jS1E_jS1F_S1F_jjS1H_bEUljE0_EEES10_S11_S12_S19_S1D_S1F_T6_T7_T9_mT8_S1H_bDpT10_ENKUlT_T0_E_clISt17integral_constantIbLb0EES1U_IbLb1EEEEDaS1Q_S1R_EUlS1Q_E_NS1_11comp_targetILNS1_3genE10ELNS1_11target_archE1200ELNS1_3gpuE4ELNS1_3repE0EEENS1_30default_config_static_selectorELNS0_4arch9wavefront6targetE0EEEvS13_: ; @_ZN7rocprim17ROCPRIM_400000_NS6detail17trampoline_kernelINS0_13select_configILj256ELj13ELNS0_17block_load_methodE3ELS4_3ELS4_3ELNS0_20block_scan_algorithmE0ELj4294967295EEENS1_25partition_config_selectorILNS1_17partition_subalgoE4EjNS0_10empty_typeEbEEZZNS1_14partition_implILS8_4ELb0ES6_15HIP_vector_typeIjLj2EENS0_17counting_iteratorIjlEEPS9_SG_NS0_5tupleIJPjSI_NS0_16reverse_iteratorISI_EEEEENSH_IJSG_SG_SG_EEES9_SI_JZNS1_25segmented_radix_sort_implINS0_14default_configELb1EPK6__halfPSP_PKlPlN2at6native12_GLOBAL__N_18offset_tEEE10hipError_tPvRmT1_PNSt15iterator_traitsIS13_E10value_typeET2_T3_PNS14_IS19_E10value_typeET4_jRbjT5_S1F_jjP12ihipStream_tbEUljE_ZNSN_ISO_Lb1ESR_SS_SU_SV_SZ_EES10_S11_S12_S13_S17_S18_S19_S1C_S1D_jS1E_jS1F_S1F_jjS1H_bEUljE0_EEES10_S11_S12_S19_S1D_S1F_T6_T7_T9_mT8_S1H_bDpT10_ENKUlT_T0_E_clISt17integral_constantIbLb0EES1U_IbLb1EEEEDaS1Q_S1R_EUlS1Q_E_NS1_11comp_targetILNS1_3genE10ELNS1_11target_archE1200ELNS1_3gpuE4ELNS1_3repE0EEENS1_30default_config_static_selectorELNS0_4arch9wavefront6targetE0EEEvS13_
; %bb.0:
	.section	.rodata,"a",@progbits
	.p2align	6, 0x0
	.amdhsa_kernel _ZN7rocprim17ROCPRIM_400000_NS6detail17trampoline_kernelINS0_13select_configILj256ELj13ELNS0_17block_load_methodE3ELS4_3ELS4_3ELNS0_20block_scan_algorithmE0ELj4294967295EEENS1_25partition_config_selectorILNS1_17partition_subalgoE4EjNS0_10empty_typeEbEEZZNS1_14partition_implILS8_4ELb0ES6_15HIP_vector_typeIjLj2EENS0_17counting_iteratorIjlEEPS9_SG_NS0_5tupleIJPjSI_NS0_16reverse_iteratorISI_EEEEENSH_IJSG_SG_SG_EEES9_SI_JZNS1_25segmented_radix_sort_implINS0_14default_configELb1EPK6__halfPSP_PKlPlN2at6native12_GLOBAL__N_18offset_tEEE10hipError_tPvRmT1_PNSt15iterator_traitsIS13_E10value_typeET2_T3_PNS14_IS19_E10value_typeET4_jRbjT5_S1F_jjP12ihipStream_tbEUljE_ZNSN_ISO_Lb1ESR_SS_SU_SV_SZ_EES10_S11_S12_S13_S17_S18_S19_S1C_S1D_jS1E_jS1F_S1F_jjS1H_bEUljE0_EEES10_S11_S12_S19_S1D_S1F_T6_T7_T9_mT8_S1H_bDpT10_ENKUlT_T0_E_clISt17integral_constantIbLb0EES1U_IbLb1EEEEDaS1Q_S1R_EUlS1Q_E_NS1_11comp_targetILNS1_3genE10ELNS1_11target_archE1200ELNS1_3gpuE4ELNS1_3repE0EEENS1_30default_config_static_selectorELNS0_4arch9wavefront6targetE0EEEvS13_
		.amdhsa_group_segment_fixed_size 0
		.amdhsa_private_segment_fixed_size 0
		.amdhsa_kernarg_size 184
		.amdhsa_user_sgpr_count 2
		.amdhsa_user_sgpr_dispatch_ptr 0
		.amdhsa_user_sgpr_queue_ptr 0
		.amdhsa_user_sgpr_kernarg_segment_ptr 1
		.amdhsa_user_sgpr_dispatch_id 0
		.amdhsa_user_sgpr_kernarg_preload_length 0
		.amdhsa_user_sgpr_kernarg_preload_offset 0
		.amdhsa_user_sgpr_private_segment_size 0
		.amdhsa_wavefront_size32 1
		.amdhsa_uses_dynamic_stack 0
		.amdhsa_enable_private_segment 0
		.amdhsa_system_sgpr_workgroup_id_x 1
		.amdhsa_system_sgpr_workgroup_id_y 0
		.amdhsa_system_sgpr_workgroup_id_z 0
		.amdhsa_system_sgpr_workgroup_info 0
		.amdhsa_system_vgpr_workitem_id 0
		.amdhsa_next_free_vgpr 1
		.amdhsa_next_free_sgpr 1
		.amdhsa_named_barrier_count 0
		.amdhsa_reserve_vcc 0
		.amdhsa_float_round_mode_32 0
		.amdhsa_float_round_mode_16_64 0
		.amdhsa_float_denorm_mode_32 3
		.amdhsa_float_denorm_mode_16_64 3
		.amdhsa_fp16_overflow 0
		.amdhsa_memory_ordered 1
		.amdhsa_forward_progress 1
		.amdhsa_inst_pref_size 0
		.amdhsa_round_robin_scheduling 0
		.amdhsa_exception_fp_ieee_invalid_op 0
		.amdhsa_exception_fp_denorm_src 0
		.amdhsa_exception_fp_ieee_div_zero 0
		.amdhsa_exception_fp_ieee_overflow 0
		.amdhsa_exception_fp_ieee_underflow 0
		.amdhsa_exception_fp_ieee_inexact 0
		.amdhsa_exception_int_div_zero 0
	.end_amdhsa_kernel
	.section	.text._ZN7rocprim17ROCPRIM_400000_NS6detail17trampoline_kernelINS0_13select_configILj256ELj13ELNS0_17block_load_methodE3ELS4_3ELS4_3ELNS0_20block_scan_algorithmE0ELj4294967295EEENS1_25partition_config_selectorILNS1_17partition_subalgoE4EjNS0_10empty_typeEbEEZZNS1_14partition_implILS8_4ELb0ES6_15HIP_vector_typeIjLj2EENS0_17counting_iteratorIjlEEPS9_SG_NS0_5tupleIJPjSI_NS0_16reverse_iteratorISI_EEEEENSH_IJSG_SG_SG_EEES9_SI_JZNS1_25segmented_radix_sort_implINS0_14default_configELb1EPK6__halfPSP_PKlPlN2at6native12_GLOBAL__N_18offset_tEEE10hipError_tPvRmT1_PNSt15iterator_traitsIS13_E10value_typeET2_T3_PNS14_IS19_E10value_typeET4_jRbjT5_S1F_jjP12ihipStream_tbEUljE_ZNSN_ISO_Lb1ESR_SS_SU_SV_SZ_EES10_S11_S12_S13_S17_S18_S19_S1C_S1D_jS1E_jS1F_S1F_jjS1H_bEUljE0_EEES10_S11_S12_S19_S1D_S1F_T6_T7_T9_mT8_S1H_bDpT10_ENKUlT_T0_E_clISt17integral_constantIbLb0EES1U_IbLb1EEEEDaS1Q_S1R_EUlS1Q_E_NS1_11comp_targetILNS1_3genE10ELNS1_11target_archE1200ELNS1_3gpuE4ELNS1_3repE0EEENS1_30default_config_static_selectorELNS0_4arch9wavefront6targetE0EEEvS13_,"axG",@progbits,_ZN7rocprim17ROCPRIM_400000_NS6detail17trampoline_kernelINS0_13select_configILj256ELj13ELNS0_17block_load_methodE3ELS4_3ELS4_3ELNS0_20block_scan_algorithmE0ELj4294967295EEENS1_25partition_config_selectorILNS1_17partition_subalgoE4EjNS0_10empty_typeEbEEZZNS1_14partition_implILS8_4ELb0ES6_15HIP_vector_typeIjLj2EENS0_17counting_iteratorIjlEEPS9_SG_NS0_5tupleIJPjSI_NS0_16reverse_iteratorISI_EEEEENSH_IJSG_SG_SG_EEES9_SI_JZNS1_25segmented_radix_sort_implINS0_14default_configELb1EPK6__halfPSP_PKlPlN2at6native12_GLOBAL__N_18offset_tEEE10hipError_tPvRmT1_PNSt15iterator_traitsIS13_E10value_typeET2_T3_PNS14_IS19_E10value_typeET4_jRbjT5_S1F_jjP12ihipStream_tbEUljE_ZNSN_ISO_Lb1ESR_SS_SU_SV_SZ_EES10_S11_S12_S13_S17_S18_S19_S1C_S1D_jS1E_jS1F_S1F_jjS1H_bEUljE0_EEES10_S11_S12_S19_S1D_S1F_T6_T7_T9_mT8_S1H_bDpT10_ENKUlT_T0_E_clISt17integral_constantIbLb0EES1U_IbLb1EEEEDaS1Q_S1R_EUlS1Q_E_NS1_11comp_targetILNS1_3genE10ELNS1_11target_archE1200ELNS1_3gpuE4ELNS1_3repE0EEENS1_30default_config_static_selectorELNS0_4arch9wavefront6targetE0EEEvS13_,comdat
.Lfunc_end1694:
	.size	_ZN7rocprim17ROCPRIM_400000_NS6detail17trampoline_kernelINS0_13select_configILj256ELj13ELNS0_17block_load_methodE3ELS4_3ELS4_3ELNS0_20block_scan_algorithmE0ELj4294967295EEENS1_25partition_config_selectorILNS1_17partition_subalgoE4EjNS0_10empty_typeEbEEZZNS1_14partition_implILS8_4ELb0ES6_15HIP_vector_typeIjLj2EENS0_17counting_iteratorIjlEEPS9_SG_NS0_5tupleIJPjSI_NS0_16reverse_iteratorISI_EEEEENSH_IJSG_SG_SG_EEES9_SI_JZNS1_25segmented_radix_sort_implINS0_14default_configELb1EPK6__halfPSP_PKlPlN2at6native12_GLOBAL__N_18offset_tEEE10hipError_tPvRmT1_PNSt15iterator_traitsIS13_E10value_typeET2_T3_PNS14_IS19_E10value_typeET4_jRbjT5_S1F_jjP12ihipStream_tbEUljE_ZNSN_ISO_Lb1ESR_SS_SU_SV_SZ_EES10_S11_S12_S13_S17_S18_S19_S1C_S1D_jS1E_jS1F_S1F_jjS1H_bEUljE0_EEES10_S11_S12_S19_S1D_S1F_T6_T7_T9_mT8_S1H_bDpT10_ENKUlT_T0_E_clISt17integral_constantIbLb0EES1U_IbLb1EEEEDaS1Q_S1R_EUlS1Q_E_NS1_11comp_targetILNS1_3genE10ELNS1_11target_archE1200ELNS1_3gpuE4ELNS1_3repE0EEENS1_30default_config_static_selectorELNS0_4arch9wavefront6targetE0EEEvS13_, .Lfunc_end1694-_ZN7rocprim17ROCPRIM_400000_NS6detail17trampoline_kernelINS0_13select_configILj256ELj13ELNS0_17block_load_methodE3ELS4_3ELS4_3ELNS0_20block_scan_algorithmE0ELj4294967295EEENS1_25partition_config_selectorILNS1_17partition_subalgoE4EjNS0_10empty_typeEbEEZZNS1_14partition_implILS8_4ELb0ES6_15HIP_vector_typeIjLj2EENS0_17counting_iteratorIjlEEPS9_SG_NS0_5tupleIJPjSI_NS0_16reverse_iteratorISI_EEEEENSH_IJSG_SG_SG_EEES9_SI_JZNS1_25segmented_radix_sort_implINS0_14default_configELb1EPK6__halfPSP_PKlPlN2at6native12_GLOBAL__N_18offset_tEEE10hipError_tPvRmT1_PNSt15iterator_traitsIS13_E10value_typeET2_T3_PNS14_IS19_E10value_typeET4_jRbjT5_S1F_jjP12ihipStream_tbEUljE_ZNSN_ISO_Lb1ESR_SS_SU_SV_SZ_EES10_S11_S12_S13_S17_S18_S19_S1C_S1D_jS1E_jS1F_S1F_jjS1H_bEUljE0_EEES10_S11_S12_S19_S1D_S1F_T6_T7_T9_mT8_S1H_bDpT10_ENKUlT_T0_E_clISt17integral_constantIbLb0EES1U_IbLb1EEEEDaS1Q_S1R_EUlS1Q_E_NS1_11comp_targetILNS1_3genE10ELNS1_11target_archE1200ELNS1_3gpuE4ELNS1_3repE0EEENS1_30default_config_static_selectorELNS0_4arch9wavefront6targetE0EEEvS13_
                                        ; -- End function
	.set _ZN7rocprim17ROCPRIM_400000_NS6detail17trampoline_kernelINS0_13select_configILj256ELj13ELNS0_17block_load_methodE3ELS4_3ELS4_3ELNS0_20block_scan_algorithmE0ELj4294967295EEENS1_25partition_config_selectorILNS1_17partition_subalgoE4EjNS0_10empty_typeEbEEZZNS1_14partition_implILS8_4ELb0ES6_15HIP_vector_typeIjLj2EENS0_17counting_iteratorIjlEEPS9_SG_NS0_5tupleIJPjSI_NS0_16reverse_iteratorISI_EEEEENSH_IJSG_SG_SG_EEES9_SI_JZNS1_25segmented_radix_sort_implINS0_14default_configELb1EPK6__halfPSP_PKlPlN2at6native12_GLOBAL__N_18offset_tEEE10hipError_tPvRmT1_PNSt15iterator_traitsIS13_E10value_typeET2_T3_PNS14_IS19_E10value_typeET4_jRbjT5_S1F_jjP12ihipStream_tbEUljE_ZNSN_ISO_Lb1ESR_SS_SU_SV_SZ_EES10_S11_S12_S13_S17_S18_S19_S1C_S1D_jS1E_jS1F_S1F_jjS1H_bEUljE0_EEES10_S11_S12_S19_S1D_S1F_T6_T7_T9_mT8_S1H_bDpT10_ENKUlT_T0_E_clISt17integral_constantIbLb0EES1U_IbLb1EEEEDaS1Q_S1R_EUlS1Q_E_NS1_11comp_targetILNS1_3genE10ELNS1_11target_archE1200ELNS1_3gpuE4ELNS1_3repE0EEENS1_30default_config_static_selectorELNS0_4arch9wavefront6targetE0EEEvS13_.num_vgpr, 0
	.set _ZN7rocprim17ROCPRIM_400000_NS6detail17trampoline_kernelINS0_13select_configILj256ELj13ELNS0_17block_load_methodE3ELS4_3ELS4_3ELNS0_20block_scan_algorithmE0ELj4294967295EEENS1_25partition_config_selectorILNS1_17partition_subalgoE4EjNS0_10empty_typeEbEEZZNS1_14partition_implILS8_4ELb0ES6_15HIP_vector_typeIjLj2EENS0_17counting_iteratorIjlEEPS9_SG_NS0_5tupleIJPjSI_NS0_16reverse_iteratorISI_EEEEENSH_IJSG_SG_SG_EEES9_SI_JZNS1_25segmented_radix_sort_implINS0_14default_configELb1EPK6__halfPSP_PKlPlN2at6native12_GLOBAL__N_18offset_tEEE10hipError_tPvRmT1_PNSt15iterator_traitsIS13_E10value_typeET2_T3_PNS14_IS19_E10value_typeET4_jRbjT5_S1F_jjP12ihipStream_tbEUljE_ZNSN_ISO_Lb1ESR_SS_SU_SV_SZ_EES10_S11_S12_S13_S17_S18_S19_S1C_S1D_jS1E_jS1F_S1F_jjS1H_bEUljE0_EEES10_S11_S12_S19_S1D_S1F_T6_T7_T9_mT8_S1H_bDpT10_ENKUlT_T0_E_clISt17integral_constantIbLb0EES1U_IbLb1EEEEDaS1Q_S1R_EUlS1Q_E_NS1_11comp_targetILNS1_3genE10ELNS1_11target_archE1200ELNS1_3gpuE4ELNS1_3repE0EEENS1_30default_config_static_selectorELNS0_4arch9wavefront6targetE0EEEvS13_.num_agpr, 0
	.set _ZN7rocprim17ROCPRIM_400000_NS6detail17trampoline_kernelINS0_13select_configILj256ELj13ELNS0_17block_load_methodE3ELS4_3ELS4_3ELNS0_20block_scan_algorithmE0ELj4294967295EEENS1_25partition_config_selectorILNS1_17partition_subalgoE4EjNS0_10empty_typeEbEEZZNS1_14partition_implILS8_4ELb0ES6_15HIP_vector_typeIjLj2EENS0_17counting_iteratorIjlEEPS9_SG_NS0_5tupleIJPjSI_NS0_16reverse_iteratorISI_EEEEENSH_IJSG_SG_SG_EEES9_SI_JZNS1_25segmented_radix_sort_implINS0_14default_configELb1EPK6__halfPSP_PKlPlN2at6native12_GLOBAL__N_18offset_tEEE10hipError_tPvRmT1_PNSt15iterator_traitsIS13_E10value_typeET2_T3_PNS14_IS19_E10value_typeET4_jRbjT5_S1F_jjP12ihipStream_tbEUljE_ZNSN_ISO_Lb1ESR_SS_SU_SV_SZ_EES10_S11_S12_S13_S17_S18_S19_S1C_S1D_jS1E_jS1F_S1F_jjS1H_bEUljE0_EEES10_S11_S12_S19_S1D_S1F_T6_T7_T9_mT8_S1H_bDpT10_ENKUlT_T0_E_clISt17integral_constantIbLb0EES1U_IbLb1EEEEDaS1Q_S1R_EUlS1Q_E_NS1_11comp_targetILNS1_3genE10ELNS1_11target_archE1200ELNS1_3gpuE4ELNS1_3repE0EEENS1_30default_config_static_selectorELNS0_4arch9wavefront6targetE0EEEvS13_.numbered_sgpr, 0
	.set _ZN7rocprim17ROCPRIM_400000_NS6detail17trampoline_kernelINS0_13select_configILj256ELj13ELNS0_17block_load_methodE3ELS4_3ELS4_3ELNS0_20block_scan_algorithmE0ELj4294967295EEENS1_25partition_config_selectorILNS1_17partition_subalgoE4EjNS0_10empty_typeEbEEZZNS1_14partition_implILS8_4ELb0ES6_15HIP_vector_typeIjLj2EENS0_17counting_iteratorIjlEEPS9_SG_NS0_5tupleIJPjSI_NS0_16reverse_iteratorISI_EEEEENSH_IJSG_SG_SG_EEES9_SI_JZNS1_25segmented_radix_sort_implINS0_14default_configELb1EPK6__halfPSP_PKlPlN2at6native12_GLOBAL__N_18offset_tEEE10hipError_tPvRmT1_PNSt15iterator_traitsIS13_E10value_typeET2_T3_PNS14_IS19_E10value_typeET4_jRbjT5_S1F_jjP12ihipStream_tbEUljE_ZNSN_ISO_Lb1ESR_SS_SU_SV_SZ_EES10_S11_S12_S13_S17_S18_S19_S1C_S1D_jS1E_jS1F_S1F_jjS1H_bEUljE0_EEES10_S11_S12_S19_S1D_S1F_T6_T7_T9_mT8_S1H_bDpT10_ENKUlT_T0_E_clISt17integral_constantIbLb0EES1U_IbLb1EEEEDaS1Q_S1R_EUlS1Q_E_NS1_11comp_targetILNS1_3genE10ELNS1_11target_archE1200ELNS1_3gpuE4ELNS1_3repE0EEENS1_30default_config_static_selectorELNS0_4arch9wavefront6targetE0EEEvS13_.num_named_barrier, 0
	.set _ZN7rocprim17ROCPRIM_400000_NS6detail17trampoline_kernelINS0_13select_configILj256ELj13ELNS0_17block_load_methodE3ELS4_3ELS4_3ELNS0_20block_scan_algorithmE0ELj4294967295EEENS1_25partition_config_selectorILNS1_17partition_subalgoE4EjNS0_10empty_typeEbEEZZNS1_14partition_implILS8_4ELb0ES6_15HIP_vector_typeIjLj2EENS0_17counting_iteratorIjlEEPS9_SG_NS0_5tupleIJPjSI_NS0_16reverse_iteratorISI_EEEEENSH_IJSG_SG_SG_EEES9_SI_JZNS1_25segmented_radix_sort_implINS0_14default_configELb1EPK6__halfPSP_PKlPlN2at6native12_GLOBAL__N_18offset_tEEE10hipError_tPvRmT1_PNSt15iterator_traitsIS13_E10value_typeET2_T3_PNS14_IS19_E10value_typeET4_jRbjT5_S1F_jjP12ihipStream_tbEUljE_ZNSN_ISO_Lb1ESR_SS_SU_SV_SZ_EES10_S11_S12_S13_S17_S18_S19_S1C_S1D_jS1E_jS1F_S1F_jjS1H_bEUljE0_EEES10_S11_S12_S19_S1D_S1F_T6_T7_T9_mT8_S1H_bDpT10_ENKUlT_T0_E_clISt17integral_constantIbLb0EES1U_IbLb1EEEEDaS1Q_S1R_EUlS1Q_E_NS1_11comp_targetILNS1_3genE10ELNS1_11target_archE1200ELNS1_3gpuE4ELNS1_3repE0EEENS1_30default_config_static_selectorELNS0_4arch9wavefront6targetE0EEEvS13_.private_seg_size, 0
	.set _ZN7rocprim17ROCPRIM_400000_NS6detail17trampoline_kernelINS0_13select_configILj256ELj13ELNS0_17block_load_methodE3ELS4_3ELS4_3ELNS0_20block_scan_algorithmE0ELj4294967295EEENS1_25partition_config_selectorILNS1_17partition_subalgoE4EjNS0_10empty_typeEbEEZZNS1_14partition_implILS8_4ELb0ES6_15HIP_vector_typeIjLj2EENS0_17counting_iteratorIjlEEPS9_SG_NS0_5tupleIJPjSI_NS0_16reverse_iteratorISI_EEEEENSH_IJSG_SG_SG_EEES9_SI_JZNS1_25segmented_radix_sort_implINS0_14default_configELb1EPK6__halfPSP_PKlPlN2at6native12_GLOBAL__N_18offset_tEEE10hipError_tPvRmT1_PNSt15iterator_traitsIS13_E10value_typeET2_T3_PNS14_IS19_E10value_typeET4_jRbjT5_S1F_jjP12ihipStream_tbEUljE_ZNSN_ISO_Lb1ESR_SS_SU_SV_SZ_EES10_S11_S12_S13_S17_S18_S19_S1C_S1D_jS1E_jS1F_S1F_jjS1H_bEUljE0_EEES10_S11_S12_S19_S1D_S1F_T6_T7_T9_mT8_S1H_bDpT10_ENKUlT_T0_E_clISt17integral_constantIbLb0EES1U_IbLb1EEEEDaS1Q_S1R_EUlS1Q_E_NS1_11comp_targetILNS1_3genE10ELNS1_11target_archE1200ELNS1_3gpuE4ELNS1_3repE0EEENS1_30default_config_static_selectorELNS0_4arch9wavefront6targetE0EEEvS13_.uses_vcc, 0
	.set _ZN7rocprim17ROCPRIM_400000_NS6detail17trampoline_kernelINS0_13select_configILj256ELj13ELNS0_17block_load_methodE3ELS4_3ELS4_3ELNS0_20block_scan_algorithmE0ELj4294967295EEENS1_25partition_config_selectorILNS1_17partition_subalgoE4EjNS0_10empty_typeEbEEZZNS1_14partition_implILS8_4ELb0ES6_15HIP_vector_typeIjLj2EENS0_17counting_iteratorIjlEEPS9_SG_NS0_5tupleIJPjSI_NS0_16reverse_iteratorISI_EEEEENSH_IJSG_SG_SG_EEES9_SI_JZNS1_25segmented_radix_sort_implINS0_14default_configELb1EPK6__halfPSP_PKlPlN2at6native12_GLOBAL__N_18offset_tEEE10hipError_tPvRmT1_PNSt15iterator_traitsIS13_E10value_typeET2_T3_PNS14_IS19_E10value_typeET4_jRbjT5_S1F_jjP12ihipStream_tbEUljE_ZNSN_ISO_Lb1ESR_SS_SU_SV_SZ_EES10_S11_S12_S13_S17_S18_S19_S1C_S1D_jS1E_jS1F_S1F_jjS1H_bEUljE0_EEES10_S11_S12_S19_S1D_S1F_T6_T7_T9_mT8_S1H_bDpT10_ENKUlT_T0_E_clISt17integral_constantIbLb0EES1U_IbLb1EEEEDaS1Q_S1R_EUlS1Q_E_NS1_11comp_targetILNS1_3genE10ELNS1_11target_archE1200ELNS1_3gpuE4ELNS1_3repE0EEENS1_30default_config_static_selectorELNS0_4arch9wavefront6targetE0EEEvS13_.uses_flat_scratch, 0
	.set _ZN7rocprim17ROCPRIM_400000_NS6detail17trampoline_kernelINS0_13select_configILj256ELj13ELNS0_17block_load_methodE3ELS4_3ELS4_3ELNS0_20block_scan_algorithmE0ELj4294967295EEENS1_25partition_config_selectorILNS1_17partition_subalgoE4EjNS0_10empty_typeEbEEZZNS1_14partition_implILS8_4ELb0ES6_15HIP_vector_typeIjLj2EENS0_17counting_iteratorIjlEEPS9_SG_NS0_5tupleIJPjSI_NS0_16reverse_iteratorISI_EEEEENSH_IJSG_SG_SG_EEES9_SI_JZNS1_25segmented_radix_sort_implINS0_14default_configELb1EPK6__halfPSP_PKlPlN2at6native12_GLOBAL__N_18offset_tEEE10hipError_tPvRmT1_PNSt15iterator_traitsIS13_E10value_typeET2_T3_PNS14_IS19_E10value_typeET4_jRbjT5_S1F_jjP12ihipStream_tbEUljE_ZNSN_ISO_Lb1ESR_SS_SU_SV_SZ_EES10_S11_S12_S13_S17_S18_S19_S1C_S1D_jS1E_jS1F_S1F_jjS1H_bEUljE0_EEES10_S11_S12_S19_S1D_S1F_T6_T7_T9_mT8_S1H_bDpT10_ENKUlT_T0_E_clISt17integral_constantIbLb0EES1U_IbLb1EEEEDaS1Q_S1R_EUlS1Q_E_NS1_11comp_targetILNS1_3genE10ELNS1_11target_archE1200ELNS1_3gpuE4ELNS1_3repE0EEENS1_30default_config_static_selectorELNS0_4arch9wavefront6targetE0EEEvS13_.has_dyn_sized_stack, 0
	.set _ZN7rocprim17ROCPRIM_400000_NS6detail17trampoline_kernelINS0_13select_configILj256ELj13ELNS0_17block_load_methodE3ELS4_3ELS4_3ELNS0_20block_scan_algorithmE0ELj4294967295EEENS1_25partition_config_selectorILNS1_17partition_subalgoE4EjNS0_10empty_typeEbEEZZNS1_14partition_implILS8_4ELb0ES6_15HIP_vector_typeIjLj2EENS0_17counting_iteratorIjlEEPS9_SG_NS0_5tupleIJPjSI_NS0_16reverse_iteratorISI_EEEEENSH_IJSG_SG_SG_EEES9_SI_JZNS1_25segmented_radix_sort_implINS0_14default_configELb1EPK6__halfPSP_PKlPlN2at6native12_GLOBAL__N_18offset_tEEE10hipError_tPvRmT1_PNSt15iterator_traitsIS13_E10value_typeET2_T3_PNS14_IS19_E10value_typeET4_jRbjT5_S1F_jjP12ihipStream_tbEUljE_ZNSN_ISO_Lb1ESR_SS_SU_SV_SZ_EES10_S11_S12_S13_S17_S18_S19_S1C_S1D_jS1E_jS1F_S1F_jjS1H_bEUljE0_EEES10_S11_S12_S19_S1D_S1F_T6_T7_T9_mT8_S1H_bDpT10_ENKUlT_T0_E_clISt17integral_constantIbLb0EES1U_IbLb1EEEEDaS1Q_S1R_EUlS1Q_E_NS1_11comp_targetILNS1_3genE10ELNS1_11target_archE1200ELNS1_3gpuE4ELNS1_3repE0EEENS1_30default_config_static_selectorELNS0_4arch9wavefront6targetE0EEEvS13_.has_recursion, 0
	.set _ZN7rocprim17ROCPRIM_400000_NS6detail17trampoline_kernelINS0_13select_configILj256ELj13ELNS0_17block_load_methodE3ELS4_3ELS4_3ELNS0_20block_scan_algorithmE0ELj4294967295EEENS1_25partition_config_selectorILNS1_17partition_subalgoE4EjNS0_10empty_typeEbEEZZNS1_14partition_implILS8_4ELb0ES6_15HIP_vector_typeIjLj2EENS0_17counting_iteratorIjlEEPS9_SG_NS0_5tupleIJPjSI_NS0_16reverse_iteratorISI_EEEEENSH_IJSG_SG_SG_EEES9_SI_JZNS1_25segmented_radix_sort_implINS0_14default_configELb1EPK6__halfPSP_PKlPlN2at6native12_GLOBAL__N_18offset_tEEE10hipError_tPvRmT1_PNSt15iterator_traitsIS13_E10value_typeET2_T3_PNS14_IS19_E10value_typeET4_jRbjT5_S1F_jjP12ihipStream_tbEUljE_ZNSN_ISO_Lb1ESR_SS_SU_SV_SZ_EES10_S11_S12_S13_S17_S18_S19_S1C_S1D_jS1E_jS1F_S1F_jjS1H_bEUljE0_EEES10_S11_S12_S19_S1D_S1F_T6_T7_T9_mT8_S1H_bDpT10_ENKUlT_T0_E_clISt17integral_constantIbLb0EES1U_IbLb1EEEEDaS1Q_S1R_EUlS1Q_E_NS1_11comp_targetILNS1_3genE10ELNS1_11target_archE1200ELNS1_3gpuE4ELNS1_3repE0EEENS1_30default_config_static_selectorELNS0_4arch9wavefront6targetE0EEEvS13_.has_indirect_call, 0
	.section	.AMDGPU.csdata,"",@progbits
; Kernel info:
; codeLenInByte = 0
; TotalNumSgprs: 0
; NumVgprs: 0
; ScratchSize: 0
; MemoryBound: 0
; FloatMode: 240
; IeeeMode: 1
; LDSByteSize: 0 bytes/workgroup (compile time only)
; SGPRBlocks: 0
; VGPRBlocks: 0
; NumSGPRsForWavesPerEU: 1
; NumVGPRsForWavesPerEU: 1
; NamedBarCnt: 0
; Occupancy: 16
; WaveLimiterHint : 0
; COMPUTE_PGM_RSRC2:SCRATCH_EN: 0
; COMPUTE_PGM_RSRC2:USER_SGPR: 2
; COMPUTE_PGM_RSRC2:TRAP_HANDLER: 0
; COMPUTE_PGM_RSRC2:TGID_X_EN: 1
; COMPUTE_PGM_RSRC2:TGID_Y_EN: 0
; COMPUTE_PGM_RSRC2:TGID_Z_EN: 0
; COMPUTE_PGM_RSRC2:TIDIG_COMP_CNT: 0
	.section	.text._ZN7rocprim17ROCPRIM_400000_NS6detail17trampoline_kernelINS0_13select_configILj256ELj13ELNS0_17block_load_methodE3ELS4_3ELS4_3ELNS0_20block_scan_algorithmE0ELj4294967295EEENS1_25partition_config_selectorILNS1_17partition_subalgoE4EjNS0_10empty_typeEbEEZZNS1_14partition_implILS8_4ELb0ES6_15HIP_vector_typeIjLj2EENS0_17counting_iteratorIjlEEPS9_SG_NS0_5tupleIJPjSI_NS0_16reverse_iteratorISI_EEEEENSH_IJSG_SG_SG_EEES9_SI_JZNS1_25segmented_radix_sort_implINS0_14default_configELb1EPK6__halfPSP_PKlPlN2at6native12_GLOBAL__N_18offset_tEEE10hipError_tPvRmT1_PNSt15iterator_traitsIS13_E10value_typeET2_T3_PNS14_IS19_E10value_typeET4_jRbjT5_S1F_jjP12ihipStream_tbEUljE_ZNSN_ISO_Lb1ESR_SS_SU_SV_SZ_EES10_S11_S12_S13_S17_S18_S19_S1C_S1D_jS1E_jS1F_S1F_jjS1H_bEUljE0_EEES10_S11_S12_S19_S1D_S1F_T6_T7_T9_mT8_S1H_bDpT10_ENKUlT_T0_E_clISt17integral_constantIbLb0EES1U_IbLb1EEEEDaS1Q_S1R_EUlS1Q_E_NS1_11comp_targetILNS1_3genE9ELNS1_11target_archE1100ELNS1_3gpuE3ELNS1_3repE0EEENS1_30default_config_static_selectorELNS0_4arch9wavefront6targetE0EEEvS13_,"axG",@progbits,_ZN7rocprim17ROCPRIM_400000_NS6detail17trampoline_kernelINS0_13select_configILj256ELj13ELNS0_17block_load_methodE3ELS4_3ELS4_3ELNS0_20block_scan_algorithmE0ELj4294967295EEENS1_25partition_config_selectorILNS1_17partition_subalgoE4EjNS0_10empty_typeEbEEZZNS1_14partition_implILS8_4ELb0ES6_15HIP_vector_typeIjLj2EENS0_17counting_iteratorIjlEEPS9_SG_NS0_5tupleIJPjSI_NS0_16reverse_iteratorISI_EEEEENSH_IJSG_SG_SG_EEES9_SI_JZNS1_25segmented_radix_sort_implINS0_14default_configELb1EPK6__halfPSP_PKlPlN2at6native12_GLOBAL__N_18offset_tEEE10hipError_tPvRmT1_PNSt15iterator_traitsIS13_E10value_typeET2_T3_PNS14_IS19_E10value_typeET4_jRbjT5_S1F_jjP12ihipStream_tbEUljE_ZNSN_ISO_Lb1ESR_SS_SU_SV_SZ_EES10_S11_S12_S13_S17_S18_S19_S1C_S1D_jS1E_jS1F_S1F_jjS1H_bEUljE0_EEES10_S11_S12_S19_S1D_S1F_T6_T7_T9_mT8_S1H_bDpT10_ENKUlT_T0_E_clISt17integral_constantIbLb0EES1U_IbLb1EEEEDaS1Q_S1R_EUlS1Q_E_NS1_11comp_targetILNS1_3genE9ELNS1_11target_archE1100ELNS1_3gpuE3ELNS1_3repE0EEENS1_30default_config_static_selectorELNS0_4arch9wavefront6targetE0EEEvS13_,comdat
	.globl	_ZN7rocprim17ROCPRIM_400000_NS6detail17trampoline_kernelINS0_13select_configILj256ELj13ELNS0_17block_load_methodE3ELS4_3ELS4_3ELNS0_20block_scan_algorithmE0ELj4294967295EEENS1_25partition_config_selectorILNS1_17partition_subalgoE4EjNS0_10empty_typeEbEEZZNS1_14partition_implILS8_4ELb0ES6_15HIP_vector_typeIjLj2EENS0_17counting_iteratorIjlEEPS9_SG_NS0_5tupleIJPjSI_NS0_16reverse_iteratorISI_EEEEENSH_IJSG_SG_SG_EEES9_SI_JZNS1_25segmented_radix_sort_implINS0_14default_configELb1EPK6__halfPSP_PKlPlN2at6native12_GLOBAL__N_18offset_tEEE10hipError_tPvRmT1_PNSt15iterator_traitsIS13_E10value_typeET2_T3_PNS14_IS19_E10value_typeET4_jRbjT5_S1F_jjP12ihipStream_tbEUljE_ZNSN_ISO_Lb1ESR_SS_SU_SV_SZ_EES10_S11_S12_S13_S17_S18_S19_S1C_S1D_jS1E_jS1F_S1F_jjS1H_bEUljE0_EEES10_S11_S12_S19_S1D_S1F_T6_T7_T9_mT8_S1H_bDpT10_ENKUlT_T0_E_clISt17integral_constantIbLb0EES1U_IbLb1EEEEDaS1Q_S1R_EUlS1Q_E_NS1_11comp_targetILNS1_3genE9ELNS1_11target_archE1100ELNS1_3gpuE3ELNS1_3repE0EEENS1_30default_config_static_selectorELNS0_4arch9wavefront6targetE0EEEvS13_ ; -- Begin function _ZN7rocprim17ROCPRIM_400000_NS6detail17trampoline_kernelINS0_13select_configILj256ELj13ELNS0_17block_load_methodE3ELS4_3ELS4_3ELNS0_20block_scan_algorithmE0ELj4294967295EEENS1_25partition_config_selectorILNS1_17partition_subalgoE4EjNS0_10empty_typeEbEEZZNS1_14partition_implILS8_4ELb0ES6_15HIP_vector_typeIjLj2EENS0_17counting_iteratorIjlEEPS9_SG_NS0_5tupleIJPjSI_NS0_16reverse_iteratorISI_EEEEENSH_IJSG_SG_SG_EEES9_SI_JZNS1_25segmented_radix_sort_implINS0_14default_configELb1EPK6__halfPSP_PKlPlN2at6native12_GLOBAL__N_18offset_tEEE10hipError_tPvRmT1_PNSt15iterator_traitsIS13_E10value_typeET2_T3_PNS14_IS19_E10value_typeET4_jRbjT5_S1F_jjP12ihipStream_tbEUljE_ZNSN_ISO_Lb1ESR_SS_SU_SV_SZ_EES10_S11_S12_S13_S17_S18_S19_S1C_S1D_jS1E_jS1F_S1F_jjS1H_bEUljE0_EEES10_S11_S12_S19_S1D_S1F_T6_T7_T9_mT8_S1H_bDpT10_ENKUlT_T0_E_clISt17integral_constantIbLb0EES1U_IbLb1EEEEDaS1Q_S1R_EUlS1Q_E_NS1_11comp_targetILNS1_3genE9ELNS1_11target_archE1100ELNS1_3gpuE3ELNS1_3repE0EEENS1_30default_config_static_selectorELNS0_4arch9wavefront6targetE0EEEvS13_
	.p2align	8
	.type	_ZN7rocprim17ROCPRIM_400000_NS6detail17trampoline_kernelINS0_13select_configILj256ELj13ELNS0_17block_load_methodE3ELS4_3ELS4_3ELNS0_20block_scan_algorithmE0ELj4294967295EEENS1_25partition_config_selectorILNS1_17partition_subalgoE4EjNS0_10empty_typeEbEEZZNS1_14partition_implILS8_4ELb0ES6_15HIP_vector_typeIjLj2EENS0_17counting_iteratorIjlEEPS9_SG_NS0_5tupleIJPjSI_NS0_16reverse_iteratorISI_EEEEENSH_IJSG_SG_SG_EEES9_SI_JZNS1_25segmented_radix_sort_implINS0_14default_configELb1EPK6__halfPSP_PKlPlN2at6native12_GLOBAL__N_18offset_tEEE10hipError_tPvRmT1_PNSt15iterator_traitsIS13_E10value_typeET2_T3_PNS14_IS19_E10value_typeET4_jRbjT5_S1F_jjP12ihipStream_tbEUljE_ZNSN_ISO_Lb1ESR_SS_SU_SV_SZ_EES10_S11_S12_S13_S17_S18_S19_S1C_S1D_jS1E_jS1F_S1F_jjS1H_bEUljE0_EEES10_S11_S12_S19_S1D_S1F_T6_T7_T9_mT8_S1H_bDpT10_ENKUlT_T0_E_clISt17integral_constantIbLb0EES1U_IbLb1EEEEDaS1Q_S1R_EUlS1Q_E_NS1_11comp_targetILNS1_3genE9ELNS1_11target_archE1100ELNS1_3gpuE3ELNS1_3repE0EEENS1_30default_config_static_selectorELNS0_4arch9wavefront6targetE0EEEvS13_,@function
_ZN7rocprim17ROCPRIM_400000_NS6detail17trampoline_kernelINS0_13select_configILj256ELj13ELNS0_17block_load_methodE3ELS4_3ELS4_3ELNS0_20block_scan_algorithmE0ELj4294967295EEENS1_25partition_config_selectorILNS1_17partition_subalgoE4EjNS0_10empty_typeEbEEZZNS1_14partition_implILS8_4ELb0ES6_15HIP_vector_typeIjLj2EENS0_17counting_iteratorIjlEEPS9_SG_NS0_5tupleIJPjSI_NS0_16reverse_iteratorISI_EEEEENSH_IJSG_SG_SG_EEES9_SI_JZNS1_25segmented_radix_sort_implINS0_14default_configELb1EPK6__halfPSP_PKlPlN2at6native12_GLOBAL__N_18offset_tEEE10hipError_tPvRmT1_PNSt15iterator_traitsIS13_E10value_typeET2_T3_PNS14_IS19_E10value_typeET4_jRbjT5_S1F_jjP12ihipStream_tbEUljE_ZNSN_ISO_Lb1ESR_SS_SU_SV_SZ_EES10_S11_S12_S13_S17_S18_S19_S1C_S1D_jS1E_jS1F_S1F_jjS1H_bEUljE0_EEES10_S11_S12_S19_S1D_S1F_T6_T7_T9_mT8_S1H_bDpT10_ENKUlT_T0_E_clISt17integral_constantIbLb0EES1U_IbLb1EEEEDaS1Q_S1R_EUlS1Q_E_NS1_11comp_targetILNS1_3genE9ELNS1_11target_archE1100ELNS1_3gpuE3ELNS1_3repE0EEENS1_30default_config_static_selectorELNS0_4arch9wavefront6targetE0EEEvS13_: ; @_ZN7rocprim17ROCPRIM_400000_NS6detail17trampoline_kernelINS0_13select_configILj256ELj13ELNS0_17block_load_methodE3ELS4_3ELS4_3ELNS0_20block_scan_algorithmE0ELj4294967295EEENS1_25partition_config_selectorILNS1_17partition_subalgoE4EjNS0_10empty_typeEbEEZZNS1_14partition_implILS8_4ELb0ES6_15HIP_vector_typeIjLj2EENS0_17counting_iteratorIjlEEPS9_SG_NS0_5tupleIJPjSI_NS0_16reverse_iteratorISI_EEEEENSH_IJSG_SG_SG_EEES9_SI_JZNS1_25segmented_radix_sort_implINS0_14default_configELb1EPK6__halfPSP_PKlPlN2at6native12_GLOBAL__N_18offset_tEEE10hipError_tPvRmT1_PNSt15iterator_traitsIS13_E10value_typeET2_T3_PNS14_IS19_E10value_typeET4_jRbjT5_S1F_jjP12ihipStream_tbEUljE_ZNSN_ISO_Lb1ESR_SS_SU_SV_SZ_EES10_S11_S12_S13_S17_S18_S19_S1C_S1D_jS1E_jS1F_S1F_jjS1H_bEUljE0_EEES10_S11_S12_S19_S1D_S1F_T6_T7_T9_mT8_S1H_bDpT10_ENKUlT_T0_E_clISt17integral_constantIbLb0EES1U_IbLb1EEEEDaS1Q_S1R_EUlS1Q_E_NS1_11comp_targetILNS1_3genE9ELNS1_11target_archE1100ELNS1_3gpuE3ELNS1_3repE0EEENS1_30default_config_static_selectorELNS0_4arch9wavefront6targetE0EEEvS13_
; %bb.0:
	.section	.rodata,"a",@progbits
	.p2align	6, 0x0
	.amdhsa_kernel _ZN7rocprim17ROCPRIM_400000_NS6detail17trampoline_kernelINS0_13select_configILj256ELj13ELNS0_17block_load_methodE3ELS4_3ELS4_3ELNS0_20block_scan_algorithmE0ELj4294967295EEENS1_25partition_config_selectorILNS1_17partition_subalgoE4EjNS0_10empty_typeEbEEZZNS1_14partition_implILS8_4ELb0ES6_15HIP_vector_typeIjLj2EENS0_17counting_iteratorIjlEEPS9_SG_NS0_5tupleIJPjSI_NS0_16reverse_iteratorISI_EEEEENSH_IJSG_SG_SG_EEES9_SI_JZNS1_25segmented_radix_sort_implINS0_14default_configELb1EPK6__halfPSP_PKlPlN2at6native12_GLOBAL__N_18offset_tEEE10hipError_tPvRmT1_PNSt15iterator_traitsIS13_E10value_typeET2_T3_PNS14_IS19_E10value_typeET4_jRbjT5_S1F_jjP12ihipStream_tbEUljE_ZNSN_ISO_Lb1ESR_SS_SU_SV_SZ_EES10_S11_S12_S13_S17_S18_S19_S1C_S1D_jS1E_jS1F_S1F_jjS1H_bEUljE0_EEES10_S11_S12_S19_S1D_S1F_T6_T7_T9_mT8_S1H_bDpT10_ENKUlT_T0_E_clISt17integral_constantIbLb0EES1U_IbLb1EEEEDaS1Q_S1R_EUlS1Q_E_NS1_11comp_targetILNS1_3genE9ELNS1_11target_archE1100ELNS1_3gpuE3ELNS1_3repE0EEENS1_30default_config_static_selectorELNS0_4arch9wavefront6targetE0EEEvS13_
		.amdhsa_group_segment_fixed_size 0
		.amdhsa_private_segment_fixed_size 0
		.amdhsa_kernarg_size 184
		.amdhsa_user_sgpr_count 2
		.amdhsa_user_sgpr_dispatch_ptr 0
		.amdhsa_user_sgpr_queue_ptr 0
		.amdhsa_user_sgpr_kernarg_segment_ptr 1
		.amdhsa_user_sgpr_dispatch_id 0
		.amdhsa_user_sgpr_kernarg_preload_length 0
		.amdhsa_user_sgpr_kernarg_preload_offset 0
		.amdhsa_user_sgpr_private_segment_size 0
		.amdhsa_wavefront_size32 1
		.amdhsa_uses_dynamic_stack 0
		.amdhsa_enable_private_segment 0
		.amdhsa_system_sgpr_workgroup_id_x 1
		.amdhsa_system_sgpr_workgroup_id_y 0
		.amdhsa_system_sgpr_workgroup_id_z 0
		.amdhsa_system_sgpr_workgroup_info 0
		.amdhsa_system_vgpr_workitem_id 0
		.amdhsa_next_free_vgpr 1
		.amdhsa_next_free_sgpr 1
		.amdhsa_named_barrier_count 0
		.amdhsa_reserve_vcc 0
		.amdhsa_float_round_mode_32 0
		.amdhsa_float_round_mode_16_64 0
		.amdhsa_float_denorm_mode_32 3
		.amdhsa_float_denorm_mode_16_64 3
		.amdhsa_fp16_overflow 0
		.amdhsa_memory_ordered 1
		.amdhsa_forward_progress 1
		.amdhsa_inst_pref_size 0
		.amdhsa_round_robin_scheduling 0
		.amdhsa_exception_fp_ieee_invalid_op 0
		.amdhsa_exception_fp_denorm_src 0
		.amdhsa_exception_fp_ieee_div_zero 0
		.amdhsa_exception_fp_ieee_overflow 0
		.amdhsa_exception_fp_ieee_underflow 0
		.amdhsa_exception_fp_ieee_inexact 0
		.amdhsa_exception_int_div_zero 0
	.end_amdhsa_kernel
	.section	.text._ZN7rocprim17ROCPRIM_400000_NS6detail17trampoline_kernelINS0_13select_configILj256ELj13ELNS0_17block_load_methodE3ELS4_3ELS4_3ELNS0_20block_scan_algorithmE0ELj4294967295EEENS1_25partition_config_selectorILNS1_17partition_subalgoE4EjNS0_10empty_typeEbEEZZNS1_14partition_implILS8_4ELb0ES6_15HIP_vector_typeIjLj2EENS0_17counting_iteratorIjlEEPS9_SG_NS0_5tupleIJPjSI_NS0_16reverse_iteratorISI_EEEEENSH_IJSG_SG_SG_EEES9_SI_JZNS1_25segmented_radix_sort_implINS0_14default_configELb1EPK6__halfPSP_PKlPlN2at6native12_GLOBAL__N_18offset_tEEE10hipError_tPvRmT1_PNSt15iterator_traitsIS13_E10value_typeET2_T3_PNS14_IS19_E10value_typeET4_jRbjT5_S1F_jjP12ihipStream_tbEUljE_ZNSN_ISO_Lb1ESR_SS_SU_SV_SZ_EES10_S11_S12_S13_S17_S18_S19_S1C_S1D_jS1E_jS1F_S1F_jjS1H_bEUljE0_EEES10_S11_S12_S19_S1D_S1F_T6_T7_T9_mT8_S1H_bDpT10_ENKUlT_T0_E_clISt17integral_constantIbLb0EES1U_IbLb1EEEEDaS1Q_S1R_EUlS1Q_E_NS1_11comp_targetILNS1_3genE9ELNS1_11target_archE1100ELNS1_3gpuE3ELNS1_3repE0EEENS1_30default_config_static_selectorELNS0_4arch9wavefront6targetE0EEEvS13_,"axG",@progbits,_ZN7rocprim17ROCPRIM_400000_NS6detail17trampoline_kernelINS0_13select_configILj256ELj13ELNS0_17block_load_methodE3ELS4_3ELS4_3ELNS0_20block_scan_algorithmE0ELj4294967295EEENS1_25partition_config_selectorILNS1_17partition_subalgoE4EjNS0_10empty_typeEbEEZZNS1_14partition_implILS8_4ELb0ES6_15HIP_vector_typeIjLj2EENS0_17counting_iteratorIjlEEPS9_SG_NS0_5tupleIJPjSI_NS0_16reverse_iteratorISI_EEEEENSH_IJSG_SG_SG_EEES9_SI_JZNS1_25segmented_radix_sort_implINS0_14default_configELb1EPK6__halfPSP_PKlPlN2at6native12_GLOBAL__N_18offset_tEEE10hipError_tPvRmT1_PNSt15iterator_traitsIS13_E10value_typeET2_T3_PNS14_IS19_E10value_typeET4_jRbjT5_S1F_jjP12ihipStream_tbEUljE_ZNSN_ISO_Lb1ESR_SS_SU_SV_SZ_EES10_S11_S12_S13_S17_S18_S19_S1C_S1D_jS1E_jS1F_S1F_jjS1H_bEUljE0_EEES10_S11_S12_S19_S1D_S1F_T6_T7_T9_mT8_S1H_bDpT10_ENKUlT_T0_E_clISt17integral_constantIbLb0EES1U_IbLb1EEEEDaS1Q_S1R_EUlS1Q_E_NS1_11comp_targetILNS1_3genE9ELNS1_11target_archE1100ELNS1_3gpuE3ELNS1_3repE0EEENS1_30default_config_static_selectorELNS0_4arch9wavefront6targetE0EEEvS13_,comdat
.Lfunc_end1695:
	.size	_ZN7rocprim17ROCPRIM_400000_NS6detail17trampoline_kernelINS0_13select_configILj256ELj13ELNS0_17block_load_methodE3ELS4_3ELS4_3ELNS0_20block_scan_algorithmE0ELj4294967295EEENS1_25partition_config_selectorILNS1_17partition_subalgoE4EjNS0_10empty_typeEbEEZZNS1_14partition_implILS8_4ELb0ES6_15HIP_vector_typeIjLj2EENS0_17counting_iteratorIjlEEPS9_SG_NS0_5tupleIJPjSI_NS0_16reverse_iteratorISI_EEEEENSH_IJSG_SG_SG_EEES9_SI_JZNS1_25segmented_radix_sort_implINS0_14default_configELb1EPK6__halfPSP_PKlPlN2at6native12_GLOBAL__N_18offset_tEEE10hipError_tPvRmT1_PNSt15iterator_traitsIS13_E10value_typeET2_T3_PNS14_IS19_E10value_typeET4_jRbjT5_S1F_jjP12ihipStream_tbEUljE_ZNSN_ISO_Lb1ESR_SS_SU_SV_SZ_EES10_S11_S12_S13_S17_S18_S19_S1C_S1D_jS1E_jS1F_S1F_jjS1H_bEUljE0_EEES10_S11_S12_S19_S1D_S1F_T6_T7_T9_mT8_S1H_bDpT10_ENKUlT_T0_E_clISt17integral_constantIbLb0EES1U_IbLb1EEEEDaS1Q_S1R_EUlS1Q_E_NS1_11comp_targetILNS1_3genE9ELNS1_11target_archE1100ELNS1_3gpuE3ELNS1_3repE0EEENS1_30default_config_static_selectorELNS0_4arch9wavefront6targetE0EEEvS13_, .Lfunc_end1695-_ZN7rocprim17ROCPRIM_400000_NS6detail17trampoline_kernelINS0_13select_configILj256ELj13ELNS0_17block_load_methodE3ELS4_3ELS4_3ELNS0_20block_scan_algorithmE0ELj4294967295EEENS1_25partition_config_selectorILNS1_17partition_subalgoE4EjNS0_10empty_typeEbEEZZNS1_14partition_implILS8_4ELb0ES6_15HIP_vector_typeIjLj2EENS0_17counting_iteratorIjlEEPS9_SG_NS0_5tupleIJPjSI_NS0_16reverse_iteratorISI_EEEEENSH_IJSG_SG_SG_EEES9_SI_JZNS1_25segmented_radix_sort_implINS0_14default_configELb1EPK6__halfPSP_PKlPlN2at6native12_GLOBAL__N_18offset_tEEE10hipError_tPvRmT1_PNSt15iterator_traitsIS13_E10value_typeET2_T3_PNS14_IS19_E10value_typeET4_jRbjT5_S1F_jjP12ihipStream_tbEUljE_ZNSN_ISO_Lb1ESR_SS_SU_SV_SZ_EES10_S11_S12_S13_S17_S18_S19_S1C_S1D_jS1E_jS1F_S1F_jjS1H_bEUljE0_EEES10_S11_S12_S19_S1D_S1F_T6_T7_T9_mT8_S1H_bDpT10_ENKUlT_T0_E_clISt17integral_constantIbLb0EES1U_IbLb1EEEEDaS1Q_S1R_EUlS1Q_E_NS1_11comp_targetILNS1_3genE9ELNS1_11target_archE1100ELNS1_3gpuE3ELNS1_3repE0EEENS1_30default_config_static_selectorELNS0_4arch9wavefront6targetE0EEEvS13_
                                        ; -- End function
	.set _ZN7rocprim17ROCPRIM_400000_NS6detail17trampoline_kernelINS0_13select_configILj256ELj13ELNS0_17block_load_methodE3ELS4_3ELS4_3ELNS0_20block_scan_algorithmE0ELj4294967295EEENS1_25partition_config_selectorILNS1_17partition_subalgoE4EjNS0_10empty_typeEbEEZZNS1_14partition_implILS8_4ELb0ES6_15HIP_vector_typeIjLj2EENS0_17counting_iteratorIjlEEPS9_SG_NS0_5tupleIJPjSI_NS0_16reverse_iteratorISI_EEEEENSH_IJSG_SG_SG_EEES9_SI_JZNS1_25segmented_radix_sort_implINS0_14default_configELb1EPK6__halfPSP_PKlPlN2at6native12_GLOBAL__N_18offset_tEEE10hipError_tPvRmT1_PNSt15iterator_traitsIS13_E10value_typeET2_T3_PNS14_IS19_E10value_typeET4_jRbjT5_S1F_jjP12ihipStream_tbEUljE_ZNSN_ISO_Lb1ESR_SS_SU_SV_SZ_EES10_S11_S12_S13_S17_S18_S19_S1C_S1D_jS1E_jS1F_S1F_jjS1H_bEUljE0_EEES10_S11_S12_S19_S1D_S1F_T6_T7_T9_mT8_S1H_bDpT10_ENKUlT_T0_E_clISt17integral_constantIbLb0EES1U_IbLb1EEEEDaS1Q_S1R_EUlS1Q_E_NS1_11comp_targetILNS1_3genE9ELNS1_11target_archE1100ELNS1_3gpuE3ELNS1_3repE0EEENS1_30default_config_static_selectorELNS0_4arch9wavefront6targetE0EEEvS13_.num_vgpr, 0
	.set _ZN7rocprim17ROCPRIM_400000_NS6detail17trampoline_kernelINS0_13select_configILj256ELj13ELNS0_17block_load_methodE3ELS4_3ELS4_3ELNS0_20block_scan_algorithmE0ELj4294967295EEENS1_25partition_config_selectorILNS1_17partition_subalgoE4EjNS0_10empty_typeEbEEZZNS1_14partition_implILS8_4ELb0ES6_15HIP_vector_typeIjLj2EENS0_17counting_iteratorIjlEEPS9_SG_NS0_5tupleIJPjSI_NS0_16reverse_iteratorISI_EEEEENSH_IJSG_SG_SG_EEES9_SI_JZNS1_25segmented_radix_sort_implINS0_14default_configELb1EPK6__halfPSP_PKlPlN2at6native12_GLOBAL__N_18offset_tEEE10hipError_tPvRmT1_PNSt15iterator_traitsIS13_E10value_typeET2_T3_PNS14_IS19_E10value_typeET4_jRbjT5_S1F_jjP12ihipStream_tbEUljE_ZNSN_ISO_Lb1ESR_SS_SU_SV_SZ_EES10_S11_S12_S13_S17_S18_S19_S1C_S1D_jS1E_jS1F_S1F_jjS1H_bEUljE0_EEES10_S11_S12_S19_S1D_S1F_T6_T7_T9_mT8_S1H_bDpT10_ENKUlT_T0_E_clISt17integral_constantIbLb0EES1U_IbLb1EEEEDaS1Q_S1R_EUlS1Q_E_NS1_11comp_targetILNS1_3genE9ELNS1_11target_archE1100ELNS1_3gpuE3ELNS1_3repE0EEENS1_30default_config_static_selectorELNS0_4arch9wavefront6targetE0EEEvS13_.num_agpr, 0
	.set _ZN7rocprim17ROCPRIM_400000_NS6detail17trampoline_kernelINS0_13select_configILj256ELj13ELNS0_17block_load_methodE3ELS4_3ELS4_3ELNS0_20block_scan_algorithmE0ELj4294967295EEENS1_25partition_config_selectorILNS1_17partition_subalgoE4EjNS0_10empty_typeEbEEZZNS1_14partition_implILS8_4ELb0ES6_15HIP_vector_typeIjLj2EENS0_17counting_iteratorIjlEEPS9_SG_NS0_5tupleIJPjSI_NS0_16reverse_iteratorISI_EEEEENSH_IJSG_SG_SG_EEES9_SI_JZNS1_25segmented_radix_sort_implINS0_14default_configELb1EPK6__halfPSP_PKlPlN2at6native12_GLOBAL__N_18offset_tEEE10hipError_tPvRmT1_PNSt15iterator_traitsIS13_E10value_typeET2_T3_PNS14_IS19_E10value_typeET4_jRbjT5_S1F_jjP12ihipStream_tbEUljE_ZNSN_ISO_Lb1ESR_SS_SU_SV_SZ_EES10_S11_S12_S13_S17_S18_S19_S1C_S1D_jS1E_jS1F_S1F_jjS1H_bEUljE0_EEES10_S11_S12_S19_S1D_S1F_T6_T7_T9_mT8_S1H_bDpT10_ENKUlT_T0_E_clISt17integral_constantIbLb0EES1U_IbLb1EEEEDaS1Q_S1R_EUlS1Q_E_NS1_11comp_targetILNS1_3genE9ELNS1_11target_archE1100ELNS1_3gpuE3ELNS1_3repE0EEENS1_30default_config_static_selectorELNS0_4arch9wavefront6targetE0EEEvS13_.numbered_sgpr, 0
	.set _ZN7rocprim17ROCPRIM_400000_NS6detail17trampoline_kernelINS0_13select_configILj256ELj13ELNS0_17block_load_methodE3ELS4_3ELS4_3ELNS0_20block_scan_algorithmE0ELj4294967295EEENS1_25partition_config_selectorILNS1_17partition_subalgoE4EjNS0_10empty_typeEbEEZZNS1_14partition_implILS8_4ELb0ES6_15HIP_vector_typeIjLj2EENS0_17counting_iteratorIjlEEPS9_SG_NS0_5tupleIJPjSI_NS0_16reverse_iteratorISI_EEEEENSH_IJSG_SG_SG_EEES9_SI_JZNS1_25segmented_radix_sort_implINS0_14default_configELb1EPK6__halfPSP_PKlPlN2at6native12_GLOBAL__N_18offset_tEEE10hipError_tPvRmT1_PNSt15iterator_traitsIS13_E10value_typeET2_T3_PNS14_IS19_E10value_typeET4_jRbjT5_S1F_jjP12ihipStream_tbEUljE_ZNSN_ISO_Lb1ESR_SS_SU_SV_SZ_EES10_S11_S12_S13_S17_S18_S19_S1C_S1D_jS1E_jS1F_S1F_jjS1H_bEUljE0_EEES10_S11_S12_S19_S1D_S1F_T6_T7_T9_mT8_S1H_bDpT10_ENKUlT_T0_E_clISt17integral_constantIbLb0EES1U_IbLb1EEEEDaS1Q_S1R_EUlS1Q_E_NS1_11comp_targetILNS1_3genE9ELNS1_11target_archE1100ELNS1_3gpuE3ELNS1_3repE0EEENS1_30default_config_static_selectorELNS0_4arch9wavefront6targetE0EEEvS13_.num_named_barrier, 0
	.set _ZN7rocprim17ROCPRIM_400000_NS6detail17trampoline_kernelINS0_13select_configILj256ELj13ELNS0_17block_load_methodE3ELS4_3ELS4_3ELNS0_20block_scan_algorithmE0ELj4294967295EEENS1_25partition_config_selectorILNS1_17partition_subalgoE4EjNS0_10empty_typeEbEEZZNS1_14partition_implILS8_4ELb0ES6_15HIP_vector_typeIjLj2EENS0_17counting_iteratorIjlEEPS9_SG_NS0_5tupleIJPjSI_NS0_16reverse_iteratorISI_EEEEENSH_IJSG_SG_SG_EEES9_SI_JZNS1_25segmented_radix_sort_implINS0_14default_configELb1EPK6__halfPSP_PKlPlN2at6native12_GLOBAL__N_18offset_tEEE10hipError_tPvRmT1_PNSt15iterator_traitsIS13_E10value_typeET2_T3_PNS14_IS19_E10value_typeET4_jRbjT5_S1F_jjP12ihipStream_tbEUljE_ZNSN_ISO_Lb1ESR_SS_SU_SV_SZ_EES10_S11_S12_S13_S17_S18_S19_S1C_S1D_jS1E_jS1F_S1F_jjS1H_bEUljE0_EEES10_S11_S12_S19_S1D_S1F_T6_T7_T9_mT8_S1H_bDpT10_ENKUlT_T0_E_clISt17integral_constantIbLb0EES1U_IbLb1EEEEDaS1Q_S1R_EUlS1Q_E_NS1_11comp_targetILNS1_3genE9ELNS1_11target_archE1100ELNS1_3gpuE3ELNS1_3repE0EEENS1_30default_config_static_selectorELNS0_4arch9wavefront6targetE0EEEvS13_.private_seg_size, 0
	.set _ZN7rocprim17ROCPRIM_400000_NS6detail17trampoline_kernelINS0_13select_configILj256ELj13ELNS0_17block_load_methodE3ELS4_3ELS4_3ELNS0_20block_scan_algorithmE0ELj4294967295EEENS1_25partition_config_selectorILNS1_17partition_subalgoE4EjNS0_10empty_typeEbEEZZNS1_14partition_implILS8_4ELb0ES6_15HIP_vector_typeIjLj2EENS0_17counting_iteratorIjlEEPS9_SG_NS0_5tupleIJPjSI_NS0_16reverse_iteratorISI_EEEEENSH_IJSG_SG_SG_EEES9_SI_JZNS1_25segmented_radix_sort_implINS0_14default_configELb1EPK6__halfPSP_PKlPlN2at6native12_GLOBAL__N_18offset_tEEE10hipError_tPvRmT1_PNSt15iterator_traitsIS13_E10value_typeET2_T3_PNS14_IS19_E10value_typeET4_jRbjT5_S1F_jjP12ihipStream_tbEUljE_ZNSN_ISO_Lb1ESR_SS_SU_SV_SZ_EES10_S11_S12_S13_S17_S18_S19_S1C_S1D_jS1E_jS1F_S1F_jjS1H_bEUljE0_EEES10_S11_S12_S19_S1D_S1F_T6_T7_T9_mT8_S1H_bDpT10_ENKUlT_T0_E_clISt17integral_constantIbLb0EES1U_IbLb1EEEEDaS1Q_S1R_EUlS1Q_E_NS1_11comp_targetILNS1_3genE9ELNS1_11target_archE1100ELNS1_3gpuE3ELNS1_3repE0EEENS1_30default_config_static_selectorELNS0_4arch9wavefront6targetE0EEEvS13_.uses_vcc, 0
	.set _ZN7rocprim17ROCPRIM_400000_NS6detail17trampoline_kernelINS0_13select_configILj256ELj13ELNS0_17block_load_methodE3ELS4_3ELS4_3ELNS0_20block_scan_algorithmE0ELj4294967295EEENS1_25partition_config_selectorILNS1_17partition_subalgoE4EjNS0_10empty_typeEbEEZZNS1_14partition_implILS8_4ELb0ES6_15HIP_vector_typeIjLj2EENS0_17counting_iteratorIjlEEPS9_SG_NS0_5tupleIJPjSI_NS0_16reverse_iteratorISI_EEEEENSH_IJSG_SG_SG_EEES9_SI_JZNS1_25segmented_radix_sort_implINS0_14default_configELb1EPK6__halfPSP_PKlPlN2at6native12_GLOBAL__N_18offset_tEEE10hipError_tPvRmT1_PNSt15iterator_traitsIS13_E10value_typeET2_T3_PNS14_IS19_E10value_typeET4_jRbjT5_S1F_jjP12ihipStream_tbEUljE_ZNSN_ISO_Lb1ESR_SS_SU_SV_SZ_EES10_S11_S12_S13_S17_S18_S19_S1C_S1D_jS1E_jS1F_S1F_jjS1H_bEUljE0_EEES10_S11_S12_S19_S1D_S1F_T6_T7_T9_mT8_S1H_bDpT10_ENKUlT_T0_E_clISt17integral_constantIbLb0EES1U_IbLb1EEEEDaS1Q_S1R_EUlS1Q_E_NS1_11comp_targetILNS1_3genE9ELNS1_11target_archE1100ELNS1_3gpuE3ELNS1_3repE0EEENS1_30default_config_static_selectorELNS0_4arch9wavefront6targetE0EEEvS13_.uses_flat_scratch, 0
	.set _ZN7rocprim17ROCPRIM_400000_NS6detail17trampoline_kernelINS0_13select_configILj256ELj13ELNS0_17block_load_methodE3ELS4_3ELS4_3ELNS0_20block_scan_algorithmE0ELj4294967295EEENS1_25partition_config_selectorILNS1_17partition_subalgoE4EjNS0_10empty_typeEbEEZZNS1_14partition_implILS8_4ELb0ES6_15HIP_vector_typeIjLj2EENS0_17counting_iteratorIjlEEPS9_SG_NS0_5tupleIJPjSI_NS0_16reverse_iteratorISI_EEEEENSH_IJSG_SG_SG_EEES9_SI_JZNS1_25segmented_radix_sort_implINS0_14default_configELb1EPK6__halfPSP_PKlPlN2at6native12_GLOBAL__N_18offset_tEEE10hipError_tPvRmT1_PNSt15iterator_traitsIS13_E10value_typeET2_T3_PNS14_IS19_E10value_typeET4_jRbjT5_S1F_jjP12ihipStream_tbEUljE_ZNSN_ISO_Lb1ESR_SS_SU_SV_SZ_EES10_S11_S12_S13_S17_S18_S19_S1C_S1D_jS1E_jS1F_S1F_jjS1H_bEUljE0_EEES10_S11_S12_S19_S1D_S1F_T6_T7_T9_mT8_S1H_bDpT10_ENKUlT_T0_E_clISt17integral_constantIbLb0EES1U_IbLb1EEEEDaS1Q_S1R_EUlS1Q_E_NS1_11comp_targetILNS1_3genE9ELNS1_11target_archE1100ELNS1_3gpuE3ELNS1_3repE0EEENS1_30default_config_static_selectorELNS0_4arch9wavefront6targetE0EEEvS13_.has_dyn_sized_stack, 0
	.set _ZN7rocprim17ROCPRIM_400000_NS6detail17trampoline_kernelINS0_13select_configILj256ELj13ELNS0_17block_load_methodE3ELS4_3ELS4_3ELNS0_20block_scan_algorithmE0ELj4294967295EEENS1_25partition_config_selectorILNS1_17partition_subalgoE4EjNS0_10empty_typeEbEEZZNS1_14partition_implILS8_4ELb0ES6_15HIP_vector_typeIjLj2EENS0_17counting_iteratorIjlEEPS9_SG_NS0_5tupleIJPjSI_NS0_16reverse_iteratorISI_EEEEENSH_IJSG_SG_SG_EEES9_SI_JZNS1_25segmented_radix_sort_implINS0_14default_configELb1EPK6__halfPSP_PKlPlN2at6native12_GLOBAL__N_18offset_tEEE10hipError_tPvRmT1_PNSt15iterator_traitsIS13_E10value_typeET2_T3_PNS14_IS19_E10value_typeET4_jRbjT5_S1F_jjP12ihipStream_tbEUljE_ZNSN_ISO_Lb1ESR_SS_SU_SV_SZ_EES10_S11_S12_S13_S17_S18_S19_S1C_S1D_jS1E_jS1F_S1F_jjS1H_bEUljE0_EEES10_S11_S12_S19_S1D_S1F_T6_T7_T9_mT8_S1H_bDpT10_ENKUlT_T0_E_clISt17integral_constantIbLb0EES1U_IbLb1EEEEDaS1Q_S1R_EUlS1Q_E_NS1_11comp_targetILNS1_3genE9ELNS1_11target_archE1100ELNS1_3gpuE3ELNS1_3repE0EEENS1_30default_config_static_selectorELNS0_4arch9wavefront6targetE0EEEvS13_.has_recursion, 0
	.set _ZN7rocprim17ROCPRIM_400000_NS6detail17trampoline_kernelINS0_13select_configILj256ELj13ELNS0_17block_load_methodE3ELS4_3ELS4_3ELNS0_20block_scan_algorithmE0ELj4294967295EEENS1_25partition_config_selectorILNS1_17partition_subalgoE4EjNS0_10empty_typeEbEEZZNS1_14partition_implILS8_4ELb0ES6_15HIP_vector_typeIjLj2EENS0_17counting_iteratorIjlEEPS9_SG_NS0_5tupleIJPjSI_NS0_16reverse_iteratorISI_EEEEENSH_IJSG_SG_SG_EEES9_SI_JZNS1_25segmented_radix_sort_implINS0_14default_configELb1EPK6__halfPSP_PKlPlN2at6native12_GLOBAL__N_18offset_tEEE10hipError_tPvRmT1_PNSt15iterator_traitsIS13_E10value_typeET2_T3_PNS14_IS19_E10value_typeET4_jRbjT5_S1F_jjP12ihipStream_tbEUljE_ZNSN_ISO_Lb1ESR_SS_SU_SV_SZ_EES10_S11_S12_S13_S17_S18_S19_S1C_S1D_jS1E_jS1F_S1F_jjS1H_bEUljE0_EEES10_S11_S12_S19_S1D_S1F_T6_T7_T9_mT8_S1H_bDpT10_ENKUlT_T0_E_clISt17integral_constantIbLb0EES1U_IbLb1EEEEDaS1Q_S1R_EUlS1Q_E_NS1_11comp_targetILNS1_3genE9ELNS1_11target_archE1100ELNS1_3gpuE3ELNS1_3repE0EEENS1_30default_config_static_selectorELNS0_4arch9wavefront6targetE0EEEvS13_.has_indirect_call, 0
	.section	.AMDGPU.csdata,"",@progbits
; Kernel info:
; codeLenInByte = 0
; TotalNumSgprs: 0
; NumVgprs: 0
; ScratchSize: 0
; MemoryBound: 0
; FloatMode: 240
; IeeeMode: 1
; LDSByteSize: 0 bytes/workgroup (compile time only)
; SGPRBlocks: 0
; VGPRBlocks: 0
; NumSGPRsForWavesPerEU: 1
; NumVGPRsForWavesPerEU: 1
; NamedBarCnt: 0
; Occupancy: 16
; WaveLimiterHint : 0
; COMPUTE_PGM_RSRC2:SCRATCH_EN: 0
; COMPUTE_PGM_RSRC2:USER_SGPR: 2
; COMPUTE_PGM_RSRC2:TRAP_HANDLER: 0
; COMPUTE_PGM_RSRC2:TGID_X_EN: 1
; COMPUTE_PGM_RSRC2:TGID_Y_EN: 0
; COMPUTE_PGM_RSRC2:TGID_Z_EN: 0
; COMPUTE_PGM_RSRC2:TIDIG_COMP_CNT: 0
	.section	.text._ZN7rocprim17ROCPRIM_400000_NS6detail17trampoline_kernelINS0_13select_configILj256ELj13ELNS0_17block_load_methodE3ELS4_3ELS4_3ELNS0_20block_scan_algorithmE0ELj4294967295EEENS1_25partition_config_selectorILNS1_17partition_subalgoE4EjNS0_10empty_typeEbEEZZNS1_14partition_implILS8_4ELb0ES6_15HIP_vector_typeIjLj2EENS0_17counting_iteratorIjlEEPS9_SG_NS0_5tupleIJPjSI_NS0_16reverse_iteratorISI_EEEEENSH_IJSG_SG_SG_EEES9_SI_JZNS1_25segmented_radix_sort_implINS0_14default_configELb1EPK6__halfPSP_PKlPlN2at6native12_GLOBAL__N_18offset_tEEE10hipError_tPvRmT1_PNSt15iterator_traitsIS13_E10value_typeET2_T3_PNS14_IS19_E10value_typeET4_jRbjT5_S1F_jjP12ihipStream_tbEUljE_ZNSN_ISO_Lb1ESR_SS_SU_SV_SZ_EES10_S11_S12_S13_S17_S18_S19_S1C_S1D_jS1E_jS1F_S1F_jjS1H_bEUljE0_EEES10_S11_S12_S19_S1D_S1F_T6_T7_T9_mT8_S1H_bDpT10_ENKUlT_T0_E_clISt17integral_constantIbLb0EES1U_IbLb1EEEEDaS1Q_S1R_EUlS1Q_E_NS1_11comp_targetILNS1_3genE8ELNS1_11target_archE1030ELNS1_3gpuE2ELNS1_3repE0EEENS1_30default_config_static_selectorELNS0_4arch9wavefront6targetE0EEEvS13_,"axG",@progbits,_ZN7rocprim17ROCPRIM_400000_NS6detail17trampoline_kernelINS0_13select_configILj256ELj13ELNS0_17block_load_methodE3ELS4_3ELS4_3ELNS0_20block_scan_algorithmE0ELj4294967295EEENS1_25partition_config_selectorILNS1_17partition_subalgoE4EjNS0_10empty_typeEbEEZZNS1_14partition_implILS8_4ELb0ES6_15HIP_vector_typeIjLj2EENS0_17counting_iteratorIjlEEPS9_SG_NS0_5tupleIJPjSI_NS0_16reverse_iteratorISI_EEEEENSH_IJSG_SG_SG_EEES9_SI_JZNS1_25segmented_radix_sort_implINS0_14default_configELb1EPK6__halfPSP_PKlPlN2at6native12_GLOBAL__N_18offset_tEEE10hipError_tPvRmT1_PNSt15iterator_traitsIS13_E10value_typeET2_T3_PNS14_IS19_E10value_typeET4_jRbjT5_S1F_jjP12ihipStream_tbEUljE_ZNSN_ISO_Lb1ESR_SS_SU_SV_SZ_EES10_S11_S12_S13_S17_S18_S19_S1C_S1D_jS1E_jS1F_S1F_jjS1H_bEUljE0_EEES10_S11_S12_S19_S1D_S1F_T6_T7_T9_mT8_S1H_bDpT10_ENKUlT_T0_E_clISt17integral_constantIbLb0EES1U_IbLb1EEEEDaS1Q_S1R_EUlS1Q_E_NS1_11comp_targetILNS1_3genE8ELNS1_11target_archE1030ELNS1_3gpuE2ELNS1_3repE0EEENS1_30default_config_static_selectorELNS0_4arch9wavefront6targetE0EEEvS13_,comdat
	.globl	_ZN7rocprim17ROCPRIM_400000_NS6detail17trampoline_kernelINS0_13select_configILj256ELj13ELNS0_17block_load_methodE3ELS4_3ELS4_3ELNS0_20block_scan_algorithmE0ELj4294967295EEENS1_25partition_config_selectorILNS1_17partition_subalgoE4EjNS0_10empty_typeEbEEZZNS1_14partition_implILS8_4ELb0ES6_15HIP_vector_typeIjLj2EENS0_17counting_iteratorIjlEEPS9_SG_NS0_5tupleIJPjSI_NS0_16reverse_iteratorISI_EEEEENSH_IJSG_SG_SG_EEES9_SI_JZNS1_25segmented_radix_sort_implINS0_14default_configELb1EPK6__halfPSP_PKlPlN2at6native12_GLOBAL__N_18offset_tEEE10hipError_tPvRmT1_PNSt15iterator_traitsIS13_E10value_typeET2_T3_PNS14_IS19_E10value_typeET4_jRbjT5_S1F_jjP12ihipStream_tbEUljE_ZNSN_ISO_Lb1ESR_SS_SU_SV_SZ_EES10_S11_S12_S13_S17_S18_S19_S1C_S1D_jS1E_jS1F_S1F_jjS1H_bEUljE0_EEES10_S11_S12_S19_S1D_S1F_T6_T7_T9_mT8_S1H_bDpT10_ENKUlT_T0_E_clISt17integral_constantIbLb0EES1U_IbLb1EEEEDaS1Q_S1R_EUlS1Q_E_NS1_11comp_targetILNS1_3genE8ELNS1_11target_archE1030ELNS1_3gpuE2ELNS1_3repE0EEENS1_30default_config_static_selectorELNS0_4arch9wavefront6targetE0EEEvS13_ ; -- Begin function _ZN7rocprim17ROCPRIM_400000_NS6detail17trampoline_kernelINS0_13select_configILj256ELj13ELNS0_17block_load_methodE3ELS4_3ELS4_3ELNS0_20block_scan_algorithmE0ELj4294967295EEENS1_25partition_config_selectorILNS1_17partition_subalgoE4EjNS0_10empty_typeEbEEZZNS1_14partition_implILS8_4ELb0ES6_15HIP_vector_typeIjLj2EENS0_17counting_iteratorIjlEEPS9_SG_NS0_5tupleIJPjSI_NS0_16reverse_iteratorISI_EEEEENSH_IJSG_SG_SG_EEES9_SI_JZNS1_25segmented_radix_sort_implINS0_14default_configELb1EPK6__halfPSP_PKlPlN2at6native12_GLOBAL__N_18offset_tEEE10hipError_tPvRmT1_PNSt15iterator_traitsIS13_E10value_typeET2_T3_PNS14_IS19_E10value_typeET4_jRbjT5_S1F_jjP12ihipStream_tbEUljE_ZNSN_ISO_Lb1ESR_SS_SU_SV_SZ_EES10_S11_S12_S13_S17_S18_S19_S1C_S1D_jS1E_jS1F_S1F_jjS1H_bEUljE0_EEES10_S11_S12_S19_S1D_S1F_T6_T7_T9_mT8_S1H_bDpT10_ENKUlT_T0_E_clISt17integral_constantIbLb0EES1U_IbLb1EEEEDaS1Q_S1R_EUlS1Q_E_NS1_11comp_targetILNS1_3genE8ELNS1_11target_archE1030ELNS1_3gpuE2ELNS1_3repE0EEENS1_30default_config_static_selectorELNS0_4arch9wavefront6targetE0EEEvS13_
	.p2align	8
	.type	_ZN7rocprim17ROCPRIM_400000_NS6detail17trampoline_kernelINS0_13select_configILj256ELj13ELNS0_17block_load_methodE3ELS4_3ELS4_3ELNS0_20block_scan_algorithmE0ELj4294967295EEENS1_25partition_config_selectorILNS1_17partition_subalgoE4EjNS0_10empty_typeEbEEZZNS1_14partition_implILS8_4ELb0ES6_15HIP_vector_typeIjLj2EENS0_17counting_iteratorIjlEEPS9_SG_NS0_5tupleIJPjSI_NS0_16reverse_iteratorISI_EEEEENSH_IJSG_SG_SG_EEES9_SI_JZNS1_25segmented_radix_sort_implINS0_14default_configELb1EPK6__halfPSP_PKlPlN2at6native12_GLOBAL__N_18offset_tEEE10hipError_tPvRmT1_PNSt15iterator_traitsIS13_E10value_typeET2_T3_PNS14_IS19_E10value_typeET4_jRbjT5_S1F_jjP12ihipStream_tbEUljE_ZNSN_ISO_Lb1ESR_SS_SU_SV_SZ_EES10_S11_S12_S13_S17_S18_S19_S1C_S1D_jS1E_jS1F_S1F_jjS1H_bEUljE0_EEES10_S11_S12_S19_S1D_S1F_T6_T7_T9_mT8_S1H_bDpT10_ENKUlT_T0_E_clISt17integral_constantIbLb0EES1U_IbLb1EEEEDaS1Q_S1R_EUlS1Q_E_NS1_11comp_targetILNS1_3genE8ELNS1_11target_archE1030ELNS1_3gpuE2ELNS1_3repE0EEENS1_30default_config_static_selectorELNS0_4arch9wavefront6targetE0EEEvS13_,@function
_ZN7rocprim17ROCPRIM_400000_NS6detail17trampoline_kernelINS0_13select_configILj256ELj13ELNS0_17block_load_methodE3ELS4_3ELS4_3ELNS0_20block_scan_algorithmE0ELj4294967295EEENS1_25partition_config_selectorILNS1_17partition_subalgoE4EjNS0_10empty_typeEbEEZZNS1_14partition_implILS8_4ELb0ES6_15HIP_vector_typeIjLj2EENS0_17counting_iteratorIjlEEPS9_SG_NS0_5tupleIJPjSI_NS0_16reverse_iteratorISI_EEEEENSH_IJSG_SG_SG_EEES9_SI_JZNS1_25segmented_radix_sort_implINS0_14default_configELb1EPK6__halfPSP_PKlPlN2at6native12_GLOBAL__N_18offset_tEEE10hipError_tPvRmT1_PNSt15iterator_traitsIS13_E10value_typeET2_T3_PNS14_IS19_E10value_typeET4_jRbjT5_S1F_jjP12ihipStream_tbEUljE_ZNSN_ISO_Lb1ESR_SS_SU_SV_SZ_EES10_S11_S12_S13_S17_S18_S19_S1C_S1D_jS1E_jS1F_S1F_jjS1H_bEUljE0_EEES10_S11_S12_S19_S1D_S1F_T6_T7_T9_mT8_S1H_bDpT10_ENKUlT_T0_E_clISt17integral_constantIbLb0EES1U_IbLb1EEEEDaS1Q_S1R_EUlS1Q_E_NS1_11comp_targetILNS1_3genE8ELNS1_11target_archE1030ELNS1_3gpuE2ELNS1_3repE0EEENS1_30default_config_static_selectorELNS0_4arch9wavefront6targetE0EEEvS13_: ; @_ZN7rocprim17ROCPRIM_400000_NS6detail17trampoline_kernelINS0_13select_configILj256ELj13ELNS0_17block_load_methodE3ELS4_3ELS4_3ELNS0_20block_scan_algorithmE0ELj4294967295EEENS1_25partition_config_selectorILNS1_17partition_subalgoE4EjNS0_10empty_typeEbEEZZNS1_14partition_implILS8_4ELb0ES6_15HIP_vector_typeIjLj2EENS0_17counting_iteratorIjlEEPS9_SG_NS0_5tupleIJPjSI_NS0_16reverse_iteratorISI_EEEEENSH_IJSG_SG_SG_EEES9_SI_JZNS1_25segmented_radix_sort_implINS0_14default_configELb1EPK6__halfPSP_PKlPlN2at6native12_GLOBAL__N_18offset_tEEE10hipError_tPvRmT1_PNSt15iterator_traitsIS13_E10value_typeET2_T3_PNS14_IS19_E10value_typeET4_jRbjT5_S1F_jjP12ihipStream_tbEUljE_ZNSN_ISO_Lb1ESR_SS_SU_SV_SZ_EES10_S11_S12_S13_S17_S18_S19_S1C_S1D_jS1E_jS1F_S1F_jjS1H_bEUljE0_EEES10_S11_S12_S19_S1D_S1F_T6_T7_T9_mT8_S1H_bDpT10_ENKUlT_T0_E_clISt17integral_constantIbLb0EES1U_IbLb1EEEEDaS1Q_S1R_EUlS1Q_E_NS1_11comp_targetILNS1_3genE8ELNS1_11target_archE1030ELNS1_3gpuE2ELNS1_3repE0EEENS1_30default_config_static_selectorELNS0_4arch9wavefront6targetE0EEEvS13_
; %bb.0:
	.section	.rodata,"a",@progbits
	.p2align	6, 0x0
	.amdhsa_kernel _ZN7rocprim17ROCPRIM_400000_NS6detail17trampoline_kernelINS0_13select_configILj256ELj13ELNS0_17block_load_methodE3ELS4_3ELS4_3ELNS0_20block_scan_algorithmE0ELj4294967295EEENS1_25partition_config_selectorILNS1_17partition_subalgoE4EjNS0_10empty_typeEbEEZZNS1_14partition_implILS8_4ELb0ES6_15HIP_vector_typeIjLj2EENS0_17counting_iteratorIjlEEPS9_SG_NS0_5tupleIJPjSI_NS0_16reverse_iteratorISI_EEEEENSH_IJSG_SG_SG_EEES9_SI_JZNS1_25segmented_radix_sort_implINS0_14default_configELb1EPK6__halfPSP_PKlPlN2at6native12_GLOBAL__N_18offset_tEEE10hipError_tPvRmT1_PNSt15iterator_traitsIS13_E10value_typeET2_T3_PNS14_IS19_E10value_typeET4_jRbjT5_S1F_jjP12ihipStream_tbEUljE_ZNSN_ISO_Lb1ESR_SS_SU_SV_SZ_EES10_S11_S12_S13_S17_S18_S19_S1C_S1D_jS1E_jS1F_S1F_jjS1H_bEUljE0_EEES10_S11_S12_S19_S1D_S1F_T6_T7_T9_mT8_S1H_bDpT10_ENKUlT_T0_E_clISt17integral_constantIbLb0EES1U_IbLb1EEEEDaS1Q_S1R_EUlS1Q_E_NS1_11comp_targetILNS1_3genE8ELNS1_11target_archE1030ELNS1_3gpuE2ELNS1_3repE0EEENS1_30default_config_static_selectorELNS0_4arch9wavefront6targetE0EEEvS13_
		.amdhsa_group_segment_fixed_size 0
		.amdhsa_private_segment_fixed_size 0
		.amdhsa_kernarg_size 184
		.amdhsa_user_sgpr_count 2
		.amdhsa_user_sgpr_dispatch_ptr 0
		.amdhsa_user_sgpr_queue_ptr 0
		.amdhsa_user_sgpr_kernarg_segment_ptr 1
		.amdhsa_user_sgpr_dispatch_id 0
		.amdhsa_user_sgpr_kernarg_preload_length 0
		.amdhsa_user_sgpr_kernarg_preload_offset 0
		.amdhsa_user_sgpr_private_segment_size 0
		.amdhsa_wavefront_size32 1
		.amdhsa_uses_dynamic_stack 0
		.amdhsa_enable_private_segment 0
		.amdhsa_system_sgpr_workgroup_id_x 1
		.amdhsa_system_sgpr_workgroup_id_y 0
		.amdhsa_system_sgpr_workgroup_id_z 0
		.amdhsa_system_sgpr_workgroup_info 0
		.amdhsa_system_vgpr_workitem_id 0
		.amdhsa_next_free_vgpr 1
		.amdhsa_next_free_sgpr 1
		.amdhsa_named_barrier_count 0
		.amdhsa_reserve_vcc 0
		.amdhsa_float_round_mode_32 0
		.amdhsa_float_round_mode_16_64 0
		.amdhsa_float_denorm_mode_32 3
		.amdhsa_float_denorm_mode_16_64 3
		.amdhsa_fp16_overflow 0
		.amdhsa_memory_ordered 1
		.amdhsa_forward_progress 1
		.amdhsa_inst_pref_size 0
		.amdhsa_round_robin_scheduling 0
		.amdhsa_exception_fp_ieee_invalid_op 0
		.amdhsa_exception_fp_denorm_src 0
		.amdhsa_exception_fp_ieee_div_zero 0
		.amdhsa_exception_fp_ieee_overflow 0
		.amdhsa_exception_fp_ieee_underflow 0
		.amdhsa_exception_fp_ieee_inexact 0
		.amdhsa_exception_int_div_zero 0
	.end_amdhsa_kernel
	.section	.text._ZN7rocprim17ROCPRIM_400000_NS6detail17trampoline_kernelINS0_13select_configILj256ELj13ELNS0_17block_load_methodE3ELS4_3ELS4_3ELNS0_20block_scan_algorithmE0ELj4294967295EEENS1_25partition_config_selectorILNS1_17partition_subalgoE4EjNS0_10empty_typeEbEEZZNS1_14partition_implILS8_4ELb0ES6_15HIP_vector_typeIjLj2EENS0_17counting_iteratorIjlEEPS9_SG_NS0_5tupleIJPjSI_NS0_16reverse_iteratorISI_EEEEENSH_IJSG_SG_SG_EEES9_SI_JZNS1_25segmented_radix_sort_implINS0_14default_configELb1EPK6__halfPSP_PKlPlN2at6native12_GLOBAL__N_18offset_tEEE10hipError_tPvRmT1_PNSt15iterator_traitsIS13_E10value_typeET2_T3_PNS14_IS19_E10value_typeET4_jRbjT5_S1F_jjP12ihipStream_tbEUljE_ZNSN_ISO_Lb1ESR_SS_SU_SV_SZ_EES10_S11_S12_S13_S17_S18_S19_S1C_S1D_jS1E_jS1F_S1F_jjS1H_bEUljE0_EEES10_S11_S12_S19_S1D_S1F_T6_T7_T9_mT8_S1H_bDpT10_ENKUlT_T0_E_clISt17integral_constantIbLb0EES1U_IbLb1EEEEDaS1Q_S1R_EUlS1Q_E_NS1_11comp_targetILNS1_3genE8ELNS1_11target_archE1030ELNS1_3gpuE2ELNS1_3repE0EEENS1_30default_config_static_selectorELNS0_4arch9wavefront6targetE0EEEvS13_,"axG",@progbits,_ZN7rocprim17ROCPRIM_400000_NS6detail17trampoline_kernelINS0_13select_configILj256ELj13ELNS0_17block_load_methodE3ELS4_3ELS4_3ELNS0_20block_scan_algorithmE0ELj4294967295EEENS1_25partition_config_selectorILNS1_17partition_subalgoE4EjNS0_10empty_typeEbEEZZNS1_14partition_implILS8_4ELb0ES6_15HIP_vector_typeIjLj2EENS0_17counting_iteratorIjlEEPS9_SG_NS0_5tupleIJPjSI_NS0_16reverse_iteratorISI_EEEEENSH_IJSG_SG_SG_EEES9_SI_JZNS1_25segmented_radix_sort_implINS0_14default_configELb1EPK6__halfPSP_PKlPlN2at6native12_GLOBAL__N_18offset_tEEE10hipError_tPvRmT1_PNSt15iterator_traitsIS13_E10value_typeET2_T3_PNS14_IS19_E10value_typeET4_jRbjT5_S1F_jjP12ihipStream_tbEUljE_ZNSN_ISO_Lb1ESR_SS_SU_SV_SZ_EES10_S11_S12_S13_S17_S18_S19_S1C_S1D_jS1E_jS1F_S1F_jjS1H_bEUljE0_EEES10_S11_S12_S19_S1D_S1F_T6_T7_T9_mT8_S1H_bDpT10_ENKUlT_T0_E_clISt17integral_constantIbLb0EES1U_IbLb1EEEEDaS1Q_S1R_EUlS1Q_E_NS1_11comp_targetILNS1_3genE8ELNS1_11target_archE1030ELNS1_3gpuE2ELNS1_3repE0EEENS1_30default_config_static_selectorELNS0_4arch9wavefront6targetE0EEEvS13_,comdat
.Lfunc_end1696:
	.size	_ZN7rocprim17ROCPRIM_400000_NS6detail17trampoline_kernelINS0_13select_configILj256ELj13ELNS0_17block_load_methodE3ELS4_3ELS4_3ELNS0_20block_scan_algorithmE0ELj4294967295EEENS1_25partition_config_selectorILNS1_17partition_subalgoE4EjNS0_10empty_typeEbEEZZNS1_14partition_implILS8_4ELb0ES6_15HIP_vector_typeIjLj2EENS0_17counting_iteratorIjlEEPS9_SG_NS0_5tupleIJPjSI_NS0_16reverse_iteratorISI_EEEEENSH_IJSG_SG_SG_EEES9_SI_JZNS1_25segmented_radix_sort_implINS0_14default_configELb1EPK6__halfPSP_PKlPlN2at6native12_GLOBAL__N_18offset_tEEE10hipError_tPvRmT1_PNSt15iterator_traitsIS13_E10value_typeET2_T3_PNS14_IS19_E10value_typeET4_jRbjT5_S1F_jjP12ihipStream_tbEUljE_ZNSN_ISO_Lb1ESR_SS_SU_SV_SZ_EES10_S11_S12_S13_S17_S18_S19_S1C_S1D_jS1E_jS1F_S1F_jjS1H_bEUljE0_EEES10_S11_S12_S19_S1D_S1F_T6_T7_T9_mT8_S1H_bDpT10_ENKUlT_T0_E_clISt17integral_constantIbLb0EES1U_IbLb1EEEEDaS1Q_S1R_EUlS1Q_E_NS1_11comp_targetILNS1_3genE8ELNS1_11target_archE1030ELNS1_3gpuE2ELNS1_3repE0EEENS1_30default_config_static_selectorELNS0_4arch9wavefront6targetE0EEEvS13_, .Lfunc_end1696-_ZN7rocprim17ROCPRIM_400000_NS6detail17trampoline_kernelINS0_13select_configILj256ELj13ELNS0_17block_load_methodE3ELS4_3ELS4_3ELNS0_20block_scan_algorithmE0ELj4294967295EEENS1_25partition_config_selectorILNS1_17partition_subalgoE4EjNS0_10empty_typeEbEEZZNS1_14partition_implILS8_4ELb0ES6_15HIP_vector_typeIjLj2EENS0_17counting_iteratorIjlEEPS9_SG_NS0_5tupleIJPjSI_NS0_16reverse_iteratorISI_EEEEENSH_IJSG_SG_SG_EEES9_SI_JZNS1_25segmented_radix_sort_implINS0_14default_configELb1EPK6__halfPSP_PKlPlN2at6native12_GLOBAL__N_18offset_tEEE10hipError_tPvRmT1_PNSt15iterator_traitsIS13_E10value_typeET2_T3_PNS14_IS19_E10value_typeET4_jRbjT5_S1F_jjP12ihipStream_tbEUljE_ZNSN_ISO_Lb1ESR_SS_SU_SV_SZ_EES10_S11_S12_S13_S17_S18_S19_S1C_S1D_jS1E_jS1F_S1F_jjS1H_bEUljE0_EEES10_S11_S12_S19_S1D_S1F_T6_T7_T9_mT8_S1H_bDpT10_ENKUlT_T0_E_clISt17integral_constantIbLb0EES1U_IbLb1EEEEDaS1Q_S1R_EUlS1Q_E_NS1_11comp_targetILNS1_3genE8ELNS1_11target_archE1030ELNS1_3gpuE2ELNS1_3repE0EEENS1_30default_config_static_selectorELNS0_4arch9wavefront6targetE0EEEvS13_
                                        ; -- End function
	.set _ZN7rocprim17ROCPRIM_400000_NS6detail17trampoline_kernelINS0_13select_configILj256ELj13ELNS0_17block_load_methodE3ELS4_3ELS4_3ELNS0_20block_scan_algorithmE0ELj4294967295EEENS1_25partition_config_selectorILNS1_17partition_subalgoE4EjNS0_10empty_typeEbEEZZNS1_14partition_implILS8_4ELb0ES6_15HIP_vector_typeIjLj2EENS0_17counting_iteratorIjlEEPS9_SG_NS0_5tupleIJPjSI_NS0_16reverse_iteratorISI_EEEEENSH_IJSG_SG_SG_EEES9_SI_JZNS1_25segmented_radix_sort_implINS0_14default_configELb1EPK6__halfPSP_PKlPlN2at6native12_GLOBAL__N_18offset_tEEE10hipError_tPvRmT1_PNSt15iterator_traitsIS13_E10value_typeET2_T3_PNS14_IS19_E10value_typeET4_jRbjT5_S1F_jjP12ihipStream_tbEUljE_ZNSN_ISO_Lb1ESR_SS_SU_SV_SZ_EES10_S11_S12_S13_S17_S18_S19_S1C_S1D_jS1E_jS1F_S1F_jjS1H_bEUljE0_EEES10_S11_S12_S19_S1D_S1F_T6_T7_T9_mT8_S1H_bDpT10_ENKUlT_T0_E_clISt17integral_constantIbLb0EES1U_IbLb1EEEEDaS1Q_S1R_EUlS1Q_E_NS1_11comp_targetILNS1_3genE8ELNS1_11target_archE1030ELNS1_3gpuE2ELNS1_3repE0EEENS1_30default_config_static_selectorELNS0_4arch9wavefront6targetE0EEEvS13_.num_vgpr, 0
	.set _ZN7rocprim17ROCPRIM_400000_NS6detail17trampoline_kernelINS0_13select_configILj256ELj13ELNS0_17block_load_methodE3ELS4_3ELS4_3ELNS0_20block_scan_algorithmE0ELj4294967295EEENS1_25partition_config_selectorILNS1_17partition_subalgoE4EjNS0_10empty_typeEbEEZZNS1_14partition_implILS8_4ELb0ES6_15HIP_vector_typeIjLj2EENS0_17counting_iteratorIjlEEPS9_SG_NS0_5tupleIJPjSI_NS0_16reverse_iteratorISI_EEEEENSH_IJSG_SG_SG_EEES9_SI_JZNS1_25segmented_radix_sort_implINS0_14default_configELb1EPK6__halfPSP_PKlPlN2at6native12_GLOBAL__N_18offset_tEEE10hipError_tPvRmT1_PNSt15iterator_traitsIS13_E10value_typeET2_T3_PNS14_IS19_E10value_typeET4_jRbjT5_S1F_jjP12ihipStream_tbEUljE_ZNSN_ISO_Lb1ESR_SS_SU_SV_SZ_EES10_S11_S12_S13_S17_S18_S19_S1C_S1D_jS1E_jS1F_S1F_jjS1H_bEUljE0_EEES10_S11_S12_S19_S1D_S1F_T6_T7_T9_mT8_S1H_bDpT10_ENKUlT_T0_E_clISt17integral_constantIbLb0EES1U_IbLb1EEEEDaS1Q_S1R_EUlS1Q_E_NS1_11comp_targetILNS1_3genE8ELNS1_11target_archE1030ELNS1_3gpuE2ELNS1_3repE0EEENS1_30default_config_static_selectorELNS0_4arch9wavefront6targetE0EEEvS13_.num_agpr, 0
	.set _ZN7rocprim17ROCPRIM_400000_NS6detail17trampoline_kernelINS0_13select_configILj256ELj13ELNS0_17block_load_methodE3ELS4_3ELS4_3ELNS0_20block_scan_algorithmE0ELj4294967295EEENS1_25partition_config_selectorILNS1_17partition_subalgoE4EjNS0_10empty_typeEbEEZZNS1_14partition_implILS8_4ELb0ES6_15HIP_vector_typeIjLj2EENS0_17counting_iteratorIjlEEPS9_SG_NS0_5tupleIJPjSI_NS0_16reverse_iteratorISI_EEEEENSH_IJSG_SG_SG_EEES9_SI_JZNS1_25segmented_radix_sort_implINS0_14default_configELb1EPK6__halfPSP_PKlPlN2at6native12_GLOBAL__N_18offset_tEEE10hipError_tPvRmT1_PNSt15iterator_traitsIS13_E10value_typeET2_T3_PNS14_IS19_E10value_typeET4_jRbjT5_S1F_jjP12ihipStream_tbEUljE_ZNSN_ISO_Lb1ESR_SS_SU_SV_SZ_EES10_S11_S12_S13_S17_S18_S19_S1C_S1D_jS1E_jS1F_S1F_jjS1H_bEUljE0_EEES10_S11_S12_S19_S1D_S1F_T6_T7_T9_mT8_S1H_bDpT10_ENKUlT_T0_E_clISt17integral_constantIbLb0EES1U_IbLb1EEEEDaS1Q_S1R_EUlS1Q_E_NS1_11comp_targetILNS1_3genE8ELNS1_11target_archE1030ELNS1_3gpuE2ELNS1_3repE0EEENS1_30default_config_static_selectorELNS0_4arch9wavefront6targetE0EEEvS13_.numbered_sgpr, 0
	.set _ZN7rocprim17ROCPRIM_400000_NS6detail17trampoline_kernelINS0_13select_configILj256ELj13ELNS0_17block_load_methodE3ELS4_3ELS4_3ELNS0_20block_scan_algorithmE0ELj4294967295EEENS1_25partition_config_selectorILNS1_17partition_subalgoE4EjNS0_10empty_typeEbEEZZNS1_14partition_implILS8_4ELb0ES6_15HIP_vector_typeIjLj2EENS0_17counting_iteratorIjlEEPS9_SG_NS0_5tupleIJPjSI_NS0_16reverse_iteratorISI_EEEEENSH_IJSG_SG_SG_EEES9_SI_JZNS1_25segmented_radix_sort_implINS0_14default_configELb1EPK6__halfPSP_PKlPlN2at6native12_GLOBAL__N_18offset_tEEE10hipError_tPvRmT1_PNSt15iterator_traitsIS13_E10value_typeET2_T3_PNS14_IS19_E10value_typeET4_jRbjT5_S1F_jjP12ihipStream_tbEUljE_ZNSN_ISO_Lb1ESR_SS_SU_SV_SZ_EES10_S11_S12_S13_S17_S18_S19_S1C_S1D_jS1E_jS1F_S1F_jjS1H_bEUljE0_EEES10_S11_S12_S19_S1D_S1F_T6_T7_T9_mT8_S1H_bDpT10_ENKUlT_T0_E_clISt17integral_constantIbLb0EES1U_IbLb1EEEEDaS1Q_S1R_EUlS1Q_E_NS1_11comp_targetILNS1_3genE8ELNS1_11target_archE1030ELNS1_3gpuE2ELNS1_3repE0EEENS1_30default_config_static_selectorELNS0_4arch9wavefront6targetE0EEEvS13_.num_named_barrier, 0
	.set _ZN7rocprim17ROCPRIM_400000_NS6detail17trampoline_kernelINS0_13select_configILj256ELj13ELNS0_17block_load_methodE3ELS4_3ELS4_3ELNS0_20block_scan_algorithmE0ELj4294967295EEENS1_25partition_config_selectorILNS1_17partition_subalgoE4EjNS0_10empty_typeEbEEZZNS1_14partition_implILS8_4ELb0ES6_15HIP_vector_typeIjLj2EENS0_17counting_iteratorIjlEEPS9_SG_NS0_5tupleIJPjSI_NS0_16reverse_iteratorISI_EEEEENSH_IJSG_SG_SG_EEES9_SI_JZNS1_25segmented_radix_sort_implINS0_14default_configELb1EPK6__halfPSP_PKlPlN2at6native12_GLOBAL__N_18offset_tEEE10hipError_tPvRmT1_PNSt15iterator_traitsIS13_E10value_typeET2_T3_PNS14_IS19_E10value_typeET4_jRbjT5_S1F_jjP12ihipStream_tbEUljE_ZNSN_ISO_Lb1ESR_SS_SU_SV_SZ_EES10_S11_S12_S13_S17_S18_S19_S1C_S1D_jS1E_jS1F_S1F_jjS1H_bEUljE0_EEES10_S11_S12_S19_S1D_S1F_T6_T7_T9_mT8_S1H_bDpT10_ENKUlT_T0_E_clISt17integral_constantIbLb0EES1U_IbLb1EEEEDaS1Q_S1R_EUlS1Q_E_NS1_11comp_targetILNS1_3genE8ELNS1_11target_archE1030ELNS1_3gpuE2ELNS1_3repE0EEENS1_30default_config_static_selectorELNS0_4arch9wavefront6targetE0EEEvS13_.private_seg_size, 0
	.set _ZN7rocprim17ROCPRIM_400000_NS6detail17trampoline_kernelINS0_13select_configILj256ELj13ELNS0_17block_load_methodE3ELS4_3ELS4_3ELNS0_20block_scan_algorithmE0ELj4294967295EEENS1_25partition_config_selectorILNS1_17partition_subalgoE4EjNS0_10empty_typeEbEEZZNS1_14partition_implILS8_4ELb0ES6_15HIP_vector_typeIjLj2EENS0_17counting_iteratorIjlEEPS9_SG_NS0_5tupleIJPjSI_NS0_16reverse_iteratorISI_EEEEENSH_IJSG_SG_SG_EEES9_SI_JZNS1_25segmented_radix_sort_implINS0_14default_configELb1EPK6__halfPSP_PKlPlN2at6native12_GLOBAL__N_18offset_tEEE10hipError_tPvRmT1_PNSt15iterator_traitsIS13_E10value_typeET2_T3_PNS14_IS19_E10value_typeET4_jRbjT5_S1F_jjP12ihipStream_tbEUljE_ZNSN_ISO_Lb1ESR_SS_SU_SV_SZ_EES10_S11_S12_S13_S17_S18_S19_S1C_S1D_jS1E_jS1F_S1F_jjS1H_bEUljE0_EEES10_S11_S12_S19_S1D_S1F_T6_T7_T9_mT8_S1H_bDpT10_ENKUlT_T0_E_clISt17integral_constantIbLb0EES1U_IbLb1EEEEDaS1Q_S1R_EUlS1Q_E_NS1_11comp_targetILNS1_3genE8ELNS1_11target_archE1030ELNS1_3gpuE2ELNS1_3repE0EEENS1_30default_config_static_selectorELNS0_4arch9wavefront6targetE0EEEvS13_.uses_vcc, 0
	.set _ZN7rocprim17ROCPRIM_400000_NS6detail17trampoline_kernelINS0_13select_configILj256ELj13ELNS0_17block_load_methodE3ELS4_3ELS4_3ELNS0_20block_scan_algorithmE0ELj4294967295EEENS1_25partition_config_selectorILNS1_17partition_subalgoE4EjNS0_10empty_typeEbEEZZNS1_14partition_implILS8_4ELb0ES6_15HIP_vector_typeIjLj2EENS0_17counting_iteratorIjlEEPS9_SG_NS0_5tupleIJPjSI_NS0_16reverse_iteratorISI_EEEEENSH_IJSG_SG_SG_EEES9_SI_JZNS1_25segmented_radix_sort_implINS0_14default_configELb1EPK6__halfPSP_PKlPlN2at6native12_GLOBAL__N_18offset_tEEE10hipError_tPvRmT1_PNSt15iterator_traitsIS13_E10value_typeET2_T3_PNS14_IS19_E10value_typeET4_jRbjT5_S1F_jjP12ihipStream_tbEUljE_ZNSN_ISO_Lb1ESR_SS_SU_SV_SZ_EES10_S11_S12_S13_S17_S18_S19_S1C_S1D_jS1E_jS1F_S1F_jjS1H_bEUljE0_EEES10_S11_S12_S19_S1D_S1F_T6_T7_T9_mT8_S1H_bDpT10_ENKUlT_T0_E_clISt17integral_constantIbLb0EES1U_IbLb1EEEEDaS1Q_S1R_EUlS1Q_E_NS1_11comp_targetILNS1_3genE8ELNS1_11target_archE1030ELNS1_3gpuE2ELNS1_3repE0EEENS1_30default_config_static_selectorELNS0_4arch9wavefront6targetE0EEEvS13_.uses_flat_scratch, 0
	.set _ZN7rocprim17ROCPRIM_400000_NS6detail17trampoline_kernelINS0_13select_configILj256ELj13ELNS0_17block_load_methodE3ELS4_3ELS4_3ELNS0_20block_scan_algorithmE0ELj4294967295EEENS1_25partition_config_selectorILNS1_17partition_subalgoE4EjNS0_10empty_typeEbEEZZNS1_14partition_implILS8_4ELb0ES6_15HIP_vector_typeIjLj2EENS0_17counting_iteratorIjlEEPS9_SG_NS0_5tupleIJPjSI_NS0_16reverse_iteratorISI_EEEEENSH_IJSG_SG_SG_EEES9_SI_JZNS1_25segmented_radix_sort_implINS0_14default_configELb1EPK6__halfPSP_PKlPlN2at6native12_GLOBAL__N_18offset_tEEE10hipError_tPvRmT1_PNSt15iterator_traitsIS13_E10value_typeET2_T3_PNS14_IS19_E10value_typeET4_jRbjT5_S1F_jjP12ihipStream_tbEUljE_ZNSN_ISO_Lb1ESR_SS_SU_SV_SZ_EES10_S11_S12_S13_S17_S18_S19_S1C_S1D_jS1E_jS1F_S1F_jjS1H_bEUljE0_EEES10_S11_S12_S19_S1D_S1F_T6_T7_T9_mT8_S1H_bDpT10_ENKUlT_T0_E_clISt17integral_constantIbLb0EES1U_IbLb1EEEEDaS1Q_S1R_EUlS1Q_E_NS1_11comp_targetILNS1_3genE8ELNS1_11target_archE1030ELNS1_3gpuE2ELNS1_3repE0EEENS1_30default_config_static_selectorELNS0_4arch9wavefront6targetE0EEEvS13_.has_dyn_sized_stack, 0
	.set _ZN7rocprim17ROCPRIM_400000_NS6detail17trampoline_kernelINS0_13select_configILj256ELj13ELNS0_17block_load_methodE3ELS4_3ELS4_3ELNS0_20block_scan_algorithmE0ELj4294967295EEENS1_25partition_config_selectorILNS1_17partition_subalgoE4EjNS0_10empty_typeEbEEZZNS1_14partition_implILS8_4ELb0ES6_15HIP_vector_typeIjLj2EENS0_17counting_iteratorIjlEEPS9_SG_NS0_5tupleIJPjSI_NS0_16reverse_iteratorISI_EEEEENSH_IJSG_SG_SG_EEES9_SI_JZNS1_25segmented_radix_sort_implINS0_14default_configELb1EPK6__halfPSP_PKlPlN2at6native12_GLOBAL__N_18offset_tEEE10hipError_tPvRmT1_PNSt15iterator_traitsIS13_E10value_typeET2_T3_PNS14_IS19_E10value_typeET4_jRbjT5_S1F_jjP12ihipStream_tbEUljE_ZNSN_ISO_Lb1ESR_SS_SU_SV_SZ_EES10_S11_S12_S13_S17_S18_S19_S1C_S1D_jS1E_jS1F_S1F_jjS1H_bEUljE0_EEES10_S11_S12_S19_S1D_S1F_T6_T7_T9_mT8_S1H_bDpT10_ENKUlT_T0_E_clISt17integral_constantIbLb0EES1U_IbLb1EEEEDaS1Q_S1R_EUlS1Q_E_NS1_11comp_targetILNS1_3genE8ELNS1_11target_archE1030ELNS1_3gpuE2ELNS1_3repE0EEENS1_30default_config_static_selectorELNS0_4arch9wavefront6targetE0EEEvS13_.has_recursion, 0
	.set _ZN7rocprim17ROCPRIM_400000_NS6detail17trampoline_kernelINS0_13select_configILj256ELj13ELNS0_17block_load_methodE3ELS4_3ELS4_3ELNS0_20block_scan_algorithmE0ELj4294967295EEENS1_25partition_config_selectorILNS1_17partition_subalgoE4EjNS0_10empty_typeEbEEZZNS1_14partition_implILS8_4ELb0ES6_15HIP_vector_typeIjLj2EENS0_17counting_iteratorIjlEEPS9_SG_NS0_5tupleIJPjSI_NS0_16reverse_iteratorISI_EEEEENSH_IJSG_SG_SG_EEES9_SI_JZNS1_25segmented_radix_sort_implINS0_14default_configELb1EPK6__halfPSP_PKlPlN2at6native12_GLOBAL__N_18offset_tEEE10hipError_tPvRmT1_PNSt15iterator_traitsIS13_E10value_typeET2_T3_PNS14_IS19_E10value_typeET4_jRbjT5_S1F_jjP12ihipStream_tbEUljE_ZNSN_ISO_Lb1ESR_SS_SU_SV_SZ_EES10_S11_S12_S13_S17_S18_S19_S1C_S1D_jS1E_jS1F_S1F_jjS1H_bEUljE0_EEES10_S11_S12_S19_S1D_S1F_T6_T7_T9_mT8_S1H_bDpT10_ENKUlT_T0_E_clISt17integral_constantIbLb0EES1U_IbLb1EEEEDaS1Q_S1R_EUlS1Q_E_NS1_11comp_targetILNS1_3genE8ELNS1_11target_archE1030ELNS1_3gpuE2ELNS1_3repE0EEENS1_30default_config_static_selectorELNS0_4arch9wavefront6targetE0EEEvS13_.has_indirect_call, 0
	.section	.AMDGPU.csdata,"",@progbits
; Kernel info:
; codeLenInByte = 0
; TotalNumSgprs: 0
; NumVgprs: 0
; ScratchSize: 0
; MemoryBound: 0
; FloatMode: 240
; IeeeMode: 1
; LDSByteSize: 0 bytes/workgroup (compile time only)
; SGPRBlocks: 0
; VGPRBlocks: 0
; NumSGPRsForWavesPerEU: 1
; NumVGPRsForWavesPerEU: 1
; NamedBarCnt: 0
; Occupancy: 16
; WaveLimiterHint : 0
; COMPUTE_PGM_RSRC2:SCRATCH_EN: 0
; COMPUTE_PGM_RSRC2:USER_SGPR: 2
; COMPUTE_PGM_RSRC2:TRAP_HANDLER: 0
; COMPUTE_PGM_RSRC2:TGID_X_EN: 1
; COMPUTE_PGM_RSRC2:TGID_Y_EN: 0
; COMPUTE_PGM_RSRC2:TGID_Z_EN: 0
; COMPUTE_PGM_RSRC2:TIDIG_COMP_CNT: 0
	.section	.text._ZN7rocprim17ROCPRIM_400000_NS6detail17trampoline_kernelINS0_13select_configILj256ELj13ELNS0_17block_load_methodE3ELS4_3ELS4_3ELNS0_20block_scan_algorithmE0ELj4294967295EEENS1_25partition_config_selectorILNS1_17partition_subalgoE3EjNS0_10empty_typeEbEEZZNS1_14partition_implILS8_3ELb0ES6_jNS0_17counting_iteratorIjlEEPS9_SE_NS0_5tupleIJPjSE_EEENSF_IJSE_SE_EEES9_SG_JZNS1_25segmented_radix_sort_implINS0_14default_configELb1EPK6__halfPSL_PKlPlN2at6native12_GLOBAL__N_18offset_tEEE10hipError_tPvRmT1_PNSt15iterator_traitsISZ_E10value_typeET2_T3_PNS10_IS15_E10value_typeET4_jRbjT5_S1B_jjP12ihipStream_tbEUljE_EEESW_SX_SY_S15_S19_S1B_T6_T7_T9_mT8_S1D_bDpT10_ENKUlT_T0_E_clISt17integral_constantIbLb0EES1Q_EEDaS1L_S1M_EUlS1L_E_NS1_11comp_targetILNS1_3genE0ELNS1_11target_archE4294967295ELNS1_3gpuE0ELNS1_3repE0EEENS1_30default_config_static_selectorELNS0_4arch9wavefront6targetE0EEEvSZ_,"axG",@progbits,_ZN7rocprim17ROCPRIM_400000_NS6detail17trampoline_kernelINS0_13select_configILj256ELj13ELNS0_17block_load_methodE3ELS4_3ELS4_3ELNS0_20block_scan_algorithmE0ELj4294967295EEENS1_25partition_config_selectorILNS1_17partition_subalgoE3EjNS0_10empty_typeEbEEZZNS1_14partition_implILS8_3ELb0ES6_jNS0_17counting_iteratorIjlEEPS9_SE_NS0_5tupleIJPjSE_EEENSF_IJSE_SE_EEES9_SG_JZNS1_25segmented_radix_sort_implINS0_14default_configELb1EPK6__halfPSL_PKlPlN2at6native12_GLOBAL__N_18offset_tEEE10hipError_tPvRmT1_PNSt15iterator_traitsISZ_E10value_typeET2_T3_PNS10_IS15_E10value_typeET4_jRbjT5_S1B_jjP12ihipStream_tbEUljE_EEESW_SX_SY_S15_S19_S1B_T6_T7_T9_mT8_S1D_bDpT10_ENKUlT_T0_E_clISt17integral_constantIbLb0EES1Q_EEDaS1L_S1M_EUlS1L_E_NS1_11comp_targetILNS1_3genE0ELNS1_11target_archE4294967295ELNS1_3gpuE0ELNS1_3repE0EEENS1_30default_config_static_selectorELNS0_4arch9wavefront6targetE0EEEvSZ_,comdat
	.globl	_ZN7rocprim17ROCPRIM_400000_NS6detail17trampoline_kernelINS0_13select_configILj256ELj13ELNS0_17block_load_methodE3ELS4_3ELS4_3ELNS0_20block_scan_algorithmE0ELj4294967295EEENS1_25partition_config_selectorILNS1_17partition_subalgoE3EjNS0_10empty_typeEbEEZZNS1_14partition_implILS8_3ELb0ES6_jNS0_17counting_iteratorIjlEEPS9_SE_NS0_5tupleIJPjSE_EEENSF_IJSE_SE_EEES9_SG_JZNS1_25segmented_radix_sort_implINS0_14default_configELb1EPK6__halfPSL_PKlPlN2at6native12_GLOBAL__N_18offset_tEEE10hipError_tPvRmT1_PNSt15iterator_traitsISZ_E10value_typeET2_T3_PNS10_IS15_E10value_typeET4_jRbjT5_S1B_jjP12ihipStream_tbEUljE_EEESW_SX_SY_S15_S19_S1B_T6_T7_T9_mT8_S1D_bDpT10_ENKUlT_T0_E_clISt17integral_constantIbLb0EES1Q_EEDaS1L_S1M_EUlS1L_E_NS1_11comp_targetILNS1_3genE0ELNS1_11target_archE4294967295ELNS1_3gpuE0ELNS1_3repE0EEENS1_30default_config_static_selectorELNS0_4arch9wavefront6targetE0EEEvSZ_ ; -- Begin function _ZN7rocprim17ROCPRIM_400000_NS6detail17trampoline_kernelINS0_13select_configILj256ELj13ELNS0_17block_load_methodE3ELS4_3ELS4_3ELNS0_20block_scan_algorithmE0ELj4294967295EEENS1_25partition_config_selectorILNS1_17partition_subalgoE3EjNS0_10empty_typeEbEEZZNS1_14partition_implILS8_3ELb0ES6_jNS0_17counting_iteratorIjlEEPS9_SE_NS0_5tupleIJPjSE_EEENSF_IJSE_SE_EEES9_SG_JZNS1_25segmented_radix_sort_implINS0_14default_configELb1EPK6__halfPSL_PKlPlN2at6native12_GLOBAL__N_18offset_tEEE10hipError_tPvRmT1_PNSt15iterator_traitsISZ_E10value_typeET2_T3_PNS10_IS15_E10value_typeET4_jRbjT5_S1B_jjP12ihipStream_tbEUljE_EEESW_SX_SY_S15_S19_S1B_T6_T7_T9_mT8_S1D_bDpT10_ENKUlT_T0_E_clISt17integral_constantIbLb0EES1Q_EEDaS1L_S1M_EUlS1L_E_NS1_11comp_targetILNS1_3genE0ELNS1_11target_archE4294967295ELNS1_3gpuE0ELNS1_3repE0EEENS1_30default_config_static_selectorELNS0_4arch9wavefront6targetE0EEEvSZ_
	.p2align	8
	.type	_ZN7rocprim17ROCPRIM_400000_NS6detail17trampoline_kernelINS0_13select_configILj256ELj13ELNS0_17block_load_methodE3ELS4_3ELS4_3ELNS0_20block_scan_algorithmE0ELj4294967295EEENS1_25partition_config_selectorILNS1_17partition_subalgoE3EjNS0_10empty_typeEbEEZZNS1_14partition_implILS8_3ELb0ES6_jNS0_17counting_iteratorIjlEEPS9_SE_NS0_5tupleIJPjSE_EEENSF_IJSE_SE_EEES9_SG_JZNS1_25segmented_radix_sort_implINS0_14default_configELb1EPK6__halfPSL_PKlPlN2at6native12_GLOBAL__N_18offset_tEEE10hipError_tPvRmT1_PNSt15iterator_traitsISZ_E10value_typeET2_T3_PNS10_IS15_E10value_typeET4_jRbjT5_S1B_jjP12ihipStream_tbEUljE_EEESW_SX_SY_S15_S19_S1B_T6_T7_T9_mT8_S1D_bDpT10_ENKUlT_T0_E_clISt17integral_constantIbLb0EES1Q_EEDaS1L_S1M_EUlS1L_E_NS1_11comp_targetILNS1_3genE0ELNS1_11target_archE4294967295ELNS1_3gpuE0ELNS1_3repE0EEENS1_30default_config_static_selectorELNS0_4arch9wavefront6targetE0EEEvSZ_,@function
_ZN7rocprim17ROCPRIM_400000_NS6detail17trampoline_kernelINS0_13select_configILj256ELj13ELNS0_17block_load_methodE3ELS4_3ELS4_3ELNS0_20block_scan_algorithmE0ELj4294967295EEENS1_25partition_config_selectorILNS1_17partition_subalgoE3EjNS0_10empty_typeEbEEZZNS1_14partition_implILS8_3ELb0ES6_jNS0_17counting_iteratorIjlEEPS9_SE_NS0_5tupleIJPjSE_EEENSF_IJSE_SE_EEES9_SG_JZNS1_25segmented_radix_sort_implINS0_14default_configELb1EPK6__halfPSL_PKlPlN2at6native12_GLOBAL__N_18offset_tEEE10hipError_tPvRmT1_PNSt15iterator_traitsISZ_E10value_typeET2_T3_PNS10_IS15_E10value_typeET4_jRbjT5_S1B_jjP12ihipStream_tbEUljE_EEESW_SX_SY_S15_S19_S1B_T6_T7_T9_mT8_S1D_bDpT10_ENKUlT_T0_E_clISt17integral_constantIbLb0EES1Q_EEDaS1L_S1M_EUlS1L_E_NS1_11comp_targetILNS1_3genE0ELNS1_11target_archE4294967295ELNS1_3gpuE0ELNS1_3repE0EEENS1_30default_config_static_selectorELNS0_4arch9wavefront6targetE0EEEvSZ_: ; @_ZN7rocprim17ROCPRIM_400000_NS6detail17trampoline_kernelINS0_13select_configILj256ELj13ELNS0_17block_load_methodE3ELS4_3ELS4_3ELNS0_20block_scan_algorithmE0ELj4294967295EEENS1_25partition_config_selectorILNS1_17partition_subalgoE3EjNS0_10empty_typeEbEEZZNS1_14partition_implILS8_3ELb0ES6_jNS0_17counting_iteratorIjlEEPS9_SE_NS0_5tupleIJPjSE_EEENSF_IJSE_SE_EEES9_SG_JZNS1_25segmented_radix_sort_implINS0_14default_configELb1EPK6__halfPSL_PKlPlN2at6native12_GLOBAL__N_18offset_tEEE10hipError_tPvRmT1_PNSt15iterator_traitsISZ_E10value_typeET2_T3_PNS10_IS15_E10value_typeET4_jRbjT5_S1B_jjP12ihipStream_tbEUljE_EEESW_SX_SY_S15_S19_S1B_T6_T7_T9_mT8_S1D_bDpT10_ENKUlT_T0_E_clISt17integral_constantIbLb0EES1Q_EEDaS1L_S1M_EUlS1L_E_NS1_11comp_targetILNS1_3genE0ELNS1_11target_archE4294967295ELNS1_3gpuE0ELNS1_3repE0EEENS1_30default_config_static_selectorELNS0_4arch9wavefront6targetE0EEEvSZ_
; %bb.0:
	s_clause 0x4
	s_load_b128 s[8:11], s[0:1], 0x48
	s_load_b32 s2, s[0:1], 0x70
	s_load_b64 s[12:13], s[0:1], 0x10
	s_load_b64 s[14:15], s[0:1], 0x58
	s_load_b32 s20, s[0:1], 0x8
	s_bfe_u32 s3, ttmp6, 0x4000c
	s_and_b32 s4, ttmp6, 15
	s_add_co_i32 s3, s3, 1
	s_getreg_b32 s5, hwreg(HW_REG_IB_STS2, 6, 4)
	s_mul_i32 s3, ttmp9, s3
	s_mov_b32 s17, 0
	s_add_co_i32 s16, s4, s3
	s_cmp_eq_u32 s5, 0
	s_clause 0x1
	s_load_b32 s3, s[0:1], 0x88
	s_load_b128 s[4:7], s[0:1], 0x78
	s_cselect_b32 s24, ttmp9, s16
	v_lshlrev_b32_e32 v19, 2, v0
	s_wait_kmcnt 0x0
	s_load_b64 s[18:19], s[10:11], 0x0
	s_mul_i32 s16, s2, 0xd00
	s_add_co_i32 s2, s2, -1
	s_add_co_i32 s21, s16, s12
	s_wait_xcnt 0x0
	s_add_nc_u64 s[10:11], s[12:13], s[16:17]
	s_sub_co_i32 s23, s14, s21
	v_cmp_gt_u64_e64 s11, s[14:15], s[10:11]
	s_addk_co_i32 s23, 0xd00
	s_cmp_eq_u32 s24, s2
	s_mul_i32 s10, s24, 0xd00
	s_cselect_b32 s22, -1, 0
	s_cmp_lg_u32 s24, s2
	s_mov_b32 s17, -1
	s_cselect_b32 s2, -1, 0
	s_add_co_i32 s16, s20, s10
	s_or_b32 s11, s2, s11
	s_add_co_i32 s16, s16, s12
	s_and_b32 vcc_lo, exec_lo, s11
	v_add_nc_u32_e32 v1, s16, v0
	s_cbranch_vccz .LBB1697_2
; %bb.1:
	s_delay_alu instid0(VALU_DEP_1)
	v_add_nc_u32_e32 v2, 0x100, v1
	v_add_nc_u32_e32 v3, 0x200, v1
	;; [unrolled: 1-line block ×12, first 2 shown]
	ds_store_2addr_stride64_b32 v19, v1, v2 offset1:4
	ds_store_2addr_stride64_b32 v19, v3, v4 offset0:8 offset1:12
	ds_store_2addr_stride64_b32 v19, v5, v6 offset0:16 offset1:20
	;; [unrolled: 1-line block ×5, first 2 shown]
	ds_store_b32 v19, v13 offset:12288
	s_wait_dscnt 0x0
	s_barrier_signal -1
	s_mov_b32 s17, 0
	s_barrier_wait -1
.LBB1697_2:
	v_cmp_gt_u32_e64 s2, s23, v0
	v_or_b32_e32 v40, 0x100, v0
	v_or_b32_e32 v38, 0x200, v0
	;; [unrolled: 1-line block ×12, first 2 shown]
	s_and_not1_b32 vcc_lo, exec_lo, s17
	s_cbranch_vccnz .LBB1697_4
; %bb.3:
	v_dual_add_nc_u32 v2, s16, v40 :: v_dual_cndmask_b32 v1, 0, v1, s2
	v_cmp_gt_u32_e32 vcc_lo, s23, v40
	v_dual_add_nc_u32 v3, s16, v38 :: v_dual_add_nc_u32 v4, s16, v36
	v_dual_add_nc_u32 v7, s16, v30 :: v_dual_add_nc_u32 v8, s16, v28
	s_delay_alu instid0(VALU_DEP_4)
	v_cndmask_b32_e32 v2, 0, v2, vcc_lo
	v_cmp_gt_u32_e32 vcc_lo, s23, v38
	v_dual_add_nc_u32 v11, s16, v22 :: v_dual_add_nc_u32 v12, s16, v20
	v_cndmask_b32_e32 v3, 0, v3, vcc_lo
	v_cmp_gt_u32_e32 vcc_lo, s23, v36
	v_dual_cndmask_b32 v4, 0, v4 :: v_dual_add_nc_u32 v5, s16, v34
	v_cmp_gt_u32_e32 vcc_lo, s23, v34
	s_delay_alu instid0(VALU_DEP_2) | instskip(SKIP_1) | instid1(VALU_DEP_2)
	v_dual_cndmask_b32 v5, 0, v5 :: v_dual_add_nc_u32 v6, s16, v32
	v_cmp_gt_u32_e32 vcc_lo, s23, v32
	v_cndmask_b32_e32 v6, 0, v6, vcc_lo
	v_cmp_gt_u32_e32 vcc_lo, s23, v30
	v_cndmask_b32_e32 v7, 0, v7, vcc_lo
	v_cmp_gt_u32_e32 vcc_lo, s23, v28
	v_dual_cndmask_b32 v8, 0, v8 :: v_dual_add_nc_u32 v9, s16, v26
	v_cmp_gt_u32_e32 vcc_lo, s23, v26
	s_delay_alu instid0(VALU_DEP_2) | instskip(SKIP_1) | instid1(VALU_DEP_2)
	v_dual_cndmask_b32 v9, 0, v9 :: v_dual_add_nc_u32 v10, s16, v24
	v_cmp_gt_u32_e32 vcc_lo, s23, v24
	v_cndmask_b32_e32 v10, 0, v10, vcc_lo
	v_cmp_gt_u32_e32 vcc_lo, s23, v22
	v_cndmask_b32_e32 v11, 0, v11, vcc_lo
	v_cmp_gt_u32_e32 vcc_lo, s23, v20
	v_dual_cndmask_b32 v12, 0, v12 :: v_dual_add_nc_u32 v13, s16, v18
	v_cmp_gt_u32_e32 vcc_lo, s23, v18
	s_delay_alu instid0(VALU_DEP_2)
	v_cndmask_b32_e32 v13, 0, v13, vcc_lo
	ds_store_2addr_stride64_b32 v19, v1, v2 offset1:4
	ds_store_2addr_stride64_b32 v19, v3, v4 offset0:8 offset1:12
	ds_store_2addr_stride64_b32 v19, v5, v6 offset0:16 offset1:20
	;; [unrolled: 1-line block ×5, first 2 shown]
	ds_store_b32 v19, v13 offset:12288
	s_wait_dscnt 0x0
	s_barrier_signal -1
	s_barrier_wait -1
.LBB1697_4:
	v_mul_u32_u24_e32 v23, 13, v0
	v_cndmask_b32_e64 v21, 0, 1, s11
	s_and_not1_b32 vcc_lo, exec_lo, s11
	s_delay_alu instid0(VALU_DEP_2)
	v_lshlrev_b32_e32 v2, 2, v23
	ds_load_2addr_b32 v[50:51], v2 offset0:2 offset1:3
	ds_load_2addr_b32 v[46:47], v2 offset0:6 offset1:7
	;; [unrolled: 1-line block ×3, first 2 shown]
	ds_load_2addr_b32 v[52:53], v2 offset1:1
	ds_load_2addr_b32 v[42:43], v2 offset0:10 offset1:11
	ds_load_b32 v1, v2 offset:48
	ds_load_2addr_b32 v[44:45], v2 offset0:8 offset1:9
	s_wait_dscnt 0x0
	s_barrier_signal -1
	s_barrier_wait -1
	s_cbranch_vccnz .LBB1697_6
; %bb.5:
	v_dual_add_nc_u32 v2, s5, v51 :: v_dual_add_nc_u32 v3, s5, v53
	v_dual_add_nc_u32 v4, s5, v52 :: v_dual_add_nc_u32 v5, s5, v50
	;; [unrolled: 1-line block ×4, first 2 shown]
	s_delay_alu instid0(VALU_DEP_3) | instskip(NEXT) | instid1(VALU_DEP_4)
	v_mul_lo_u32 v5, v5, s4
	v_mul_lo_u32 v4, v4, s4
	;; [unrolled: 1-line block ×8, first 2 shown]
	v_dual_add_nc_u32 v10, s5, v48 :: v_dual_add_nc_u32 v11, s7, v48
	v_dual_add_nc_u32 v14, s7, v43 :: v_dual_add_nc_u32 v15, s5, v42
	;; [unrolled: 1-line block ×3, first 2 shown]
	s_delay_alu instid0(VALU_DEP_3)
	v_mul_lo_u32 v10, v10, s4
	v_dual_sub_nc_u32 v2, v2, v6 :: v_dual_sub_nc_u32 v3, v3, v7
	v_dual_sub_nc_u32 v4, v4, v8 :: v_dual_sub_nc_u32 v5, v5, v9
	v_dual_add_nc_u32 v6, s5, v49 :: v_dual_add_nc_u32 v7, s7, v49
	v_dual_add_nc_u32 v8, s5, v47 :: v_dual_add_nc_u32 v9, s7, v47
	v_mul_lo_u32 v11, v11, s6
	s_delay_alu instid0(VALU_DEP_3) | instskip(NEXT) | instid1(VALU_DEP_4)
	v_mul_lo_u32 v6, v6, s4
	v_mul_lo_u32 v7, v7, s6
	s_delay_alu instid0(VALU_DEP_4)
	v_mul_lo_u32 v8, v8, s4
	v_mul_lo_u32 v9, v9, s6
	v_cmp_lt_u32_e32 vcc_lo, s3, v2
	v_dual_add_nc_u32 v12, s5, v46 :: v_dual_add_nc_u32 v13, s5, v44
	v_mul_lo_u32 v14, v14, s6
	v_mul_lo_u32 v16, v16, s6
	v_cndmask_b32_e64 v2, 0, 1, vcc_lo
	v_cmp_lt_u32_e32 vcc_lo, s3, v3
	v_mul_lo_u32 v13, v13, s4
	v_dual_sub_nc_u32 v6, v6, v7 :: v_dual_add_nc_u32 v7, s7, v46
	v_dual_sub_nc_u32 v8, v8, v9 :: v_dual_sub_nc_u32 v9, v10, v11
	v_dual_add_nc_u32 v11, s5, v45 :: v_dual_add_nc_u32 v10, s5, v43
	v_cndmask_b32_e64 v3, 0, 1, vcc_lo
	s_delay_alu instid0(VALU_DEP_4)
	v_cmp_lt_u32_e32 vcc_lo, s3, v6
	v_mul_lo_u32 v12, v12, s4
	v_mul_lo_u32 v7, v7, s6
	;; [unrolled: 1-line block ×4, first 2 shown]
	v_cndmask_b32_e64 v6, 0, 1, vcc_lo
	v_cmp_lt_u32_e32 vcc_lo, s3, v8
	v_lshlrev_b16 v3, 8, v3
	v_add_nc_u32_e32 v25, s7, v42
	v_mul_lo_u32 v17, v17, s6
	v_lshlrev_b16 v6, 8, v6
	v_cndmask_b32_e64 v8, 0, 1, vcc_lo
	v_cmp_lt_u32_e32 vcc_lo, s3, v4
	v_dual_sub_nc_u32 v7, v12, v7 :: v_dual_sub_nc_u32 v10, v10, v14
	v_mul_lo_u32 v12, v15, s4
	v_mul_lo_u32 v15, v25, s6
	v_dual_add_nc_u32 v25, s7, v1 :: v_dual_lshrrev_b32 v3, 8, v3
	v_sub_nc_u32_e32 v11, v11, v16
	v_cndmask_b32_e64 v4, 0, 1, vcc_lo
	v_cmp_lt_u32_e32 vcc_lo, s3, v10
	v_dual_lshrrev_b32 v6, 8, v6 :: v_dual_add_nc_u32 v14, s5, v1
	v_mul_lo_u32 v16, v25, s6
	v_lshlrev_b16 v2, 8, v2
	v_cndmask_b32_e64 v10, 0, 1, vcc_lo
	v_cmp_lt_u32_e32 vcc_lo, s3, v11
	v_mul_lo_u32 v14, v14, s4
	v_dual_sub_nc_u32 v13, v13, v17 :: v_dual_sub_nc_u32 v12, v12, v15
	v_lshlrev_b16 v3, 8, v3
	v_cndmask_b32_e64 v11, 0, 1, vcc_lo
	v_cmp_lt_u32_e32 vcc_lo, s3, v5
	v_lshrrev_b32_e32 v2, 8, v2
	v_lshlrev_b16 v8, 8, v8
	v_or_b32_e32 v3, v4, v3
	v_lshlrev_b16 v4, 8, v10
	v_cndmask_b32_e64 v5, 0, 1, vcc_lo
	v_cmp_lt_u32_e32 vcc_lo, s3, v9
	v_lshlrev_b16 v10, 8, v11
	v_sub_nc_u32_e32 v11, v14, v16
	v_lshlrev_b16 v2, 8, v2
	v_lshrrev_b32_e32 v4, 8, v4
	v_cndmask_b32_e64 v9, 0, 1, vcc_lo
	v_cmp_lt_u32_e32 vcc_lo, s3, v7
	v_lshrrev_b32_e32 v10, 8, v10
	v_lshlrev_b16 v6, 8, v6
	v_or_b32_e32 v2, v5, v2
	v_lshlrev_b16 v4, 8, v4
	v_cndmask_b32_e64 v7, 0, 1, vcc_lo
	v_cmp_lt_u32_e32 vcc_lo, s3, v13
	v_lshlrev_b16 v10, 8, v10
	v_or_b32_e32 v5, v9, v6
	v_and_b32_e32 v3, 0xffff, v3
	v_dual_lshlrev_b32 v2, 16, v2 :: v_dual_bitop2_b32 v6, v7, v8 bitop3:0x54
	v_cndmask_b32_e64 v13, 0, 1, vcc_lo
	v_cmp_lt_u32_e32 vcc_lo, s3, v12
	s_delay_alu instid0(VALU_DEP_3) | instskip(SKIP_4) | instid1(VALU_DEP_4)
	v_lshlrev_b32_e32 v6, 16, v6
	v_and_b32_e32 v5, 0xffff, v5
	v_or_b32_e32 v35, v3, v2
	v_cndmask_b32_e64 v12, 0, 1, vcc_lo
	v_cmp_lt_u32_e32 vcc_lo, s3, v11
	v_or_b32_e32 v31, v5, v6
	s_delay_alu instid0(VALU_DEP_3) | instskip(SKIP_2) | instid1(VALU_DEP_3)
	v_or_b32_e32 v4, v12, v4
	v_or_b32_e32 v7, v13, v10
	v_cndmask_b32_e64 v25, 0, 1, vcc_lo
	v_lshlrev_b32_e32 v4, 16, v4
	s_delay_alu instid0(VALU_DEP_3) | instskip(NEXT) | instid1(VALU_DEP_1)
	v_and_b32_e32 v7, 0xffff, v7
	v_or_b32_e32 v27, v7, v4
	s_load_b64 s[20:21], s[0:1], 0x68
	s_cbranch_execz .LBB1697_7
	s_branch .LBB1697_34
.LBB1697_6:
                                        ; implicit-def: $vgpr25
                                        ; implicit-def: $vgpr27
                                        ; implicit-def: $vgpr31
                                        ; implicit-def: $vgpr35
	s_load_b64 s[20:21], s[0:1], 0x68
.LBB1697_7:
	v_dual_mov_b32 v3, 0 :: v_dual_mov_b32 v2, 0
	s_mov_b32 s2, exec_lo
	v_cmpx_gt_u32_e64 s23, v23
	s_cbranch_execz .LBB1697_9
; %bb.8:
	v_dual_add_nc_u32 v2, s5, v52 :: v_dual_add_nc_u32 v4, s7, v52
	s_delay_alu instid0(VALU_DEP_1) | instskip(NEXT) | instid1(VALU_DEP_2)
	v_mul_lo_u32 v2, v2, s4
	v_mul_lo_u32 v4, v4, s6
	s_delay_alu instid0(VALU_DEP_1) | instskip(NEXT) | instid1(VALU_DEP_1)
	v_sub_nc_u32_e32 v2, v2, v4
	v_cmp_lt_u32_e32 vcc_lo, s3, v2
	v_cndmask_b32_e64 v2, 0, 1, vcc_lo
.LBB1697_9:
	s_or_b32 exec_lo, exec_lo, s2
	v_add_nc_u32_e32 v4, 1, v23
	s_mov_b32 s2, exec_lo
	s_delay_alu instid0(VALU_DEP_1)
	v_cmpx_gt_u32_e64 s23, v4
	s_cbranch_execz .LBB1697_11
; %bb.10:
	v_dual_add_nc_u32 v3, s5, v53 :: v_dual_add_nc_u32 v4, s7, v53
	s_delay_alu instid0(VALU_DEP_1) | instskip(NEXT) | instid1(VALU_DEP_2)
	v_mul_lo_u32 v3, v3, s4
	v_mul_lo_u32 v4, v4, s6
	s_delay_alu instid0(VALU_DEP_1) | instskip(NEXT) | instid1(VALU_DEP_1)
	v_sub_nc_u32_e32 v3, v3, v4
	v_cmp_lt_u32_e32 vcc_lo, s3, v3
	v_cndmask_b32_e64 v3, 0, 1, vcc_lo
.LBB1697_11:
	s_or_b32 exec_lo, exec_lo, s2
	v_dual_mov_b32 v5, 0 :: v_dual_add_nc_u32 v4, 2, v23
	s_delay_alu instid0(VALU_DEP_1)
	v_cmp_gt_u32_e32 vcc_lo, s23, v4
	v_mov_b32_e32 v4, 0
	s_and_saveexec_b32 s2, vcc_lo
	s_cbranch_execz .LBB1697_13
; %bb.12:
	v_dual_add_nc_u32 v4, s5, v50 :: v_dual_add_nc_u32 v6, s7, v50
	s_delay_alu instid0(VALU_DEP_1) | instskip(NEXT) | instid1(VALU_DEP_2)
	v_mul_lo_u32 v4, v4, s4
	v_mul_lo_u32 v6, v6, s6
	s_delay_alu instid0(VALU_DEP_1) | instskip(NEXT) | instid1(VALU_DEP_1)
	v_sub_nc_u32_e32 v4, v4, v6
	v_cmp_lt_u32_e32 vcc_lo, s3, v4
	v_cndmask_b32_e64 v4, 0, 1, vcc_lo
.LBB1697_13:
	s_or_b32 exec_lo, exec_lo, s2
	v_add_nc_u32_e32 v6, 3, v23
	s_mov_b32 s2, exec_lo
	s_delay_alu instid0(VALU_DEP_1)
	v_cmpx_gt_u32_e64 s23, v6
	s_cbranch_execz .LBB1697_15
; %bb.14:
	v_dual_add_nc_u32 v5, s5, v51 :: v_dual_add_nc_u32 v6, s7, v51
	s_delay_alu instid0(VALU_DEP_1) | instskip(NEXT) | instid1(VALU_DEP_2)
	v_mul_lo_u32 v5, v5, s4
	v_mul_lo_u32 v6, v6, s6
	s_delay_alu instid0(VALU_DEP_1) | instskip(NEXT) | instid1(VALU_DEP_1)
	v_sub_nc_u32_e32 v5, v5, v6
	v_cmp_lt_u32_e32 vcc_lo, s3, v5
	v_cndmask_b32_e64 v5, 0, 1, vcc_lo
.LBB1697_15:
	s_or_b32 exec_lo, exec_lo, s2
	v_dual_mov_b32 v7, 0 :: v_dual_add_nc_u32 v6, 4, v23
	s_delay_alu instid0(VALU_DEP_1)
	v_cmp_gt_u32_e32 vcc_lo, s23, v6
	v_mov_b32_e32 v6, 0
	s_and_saveexec_b32 s2, vcc_lo
	s_cbranch_execz .LBB1697_17
; %bb.16:
	v_dual_add_nc_u32 v6, s5, v48 :: v_dual_add_nc_u32 v8, s7, v48
	s_delay_alu instid0(VALU_DEP_1) | instskip(NEXT) | instid1(VALU_DEP_2)
	v_mul_lo_u32 v6, v6, s4
	v_mul_lo_u32 v8, v8, s6
	s_delay_alu instid0(VALU_DEP_1) | instskip(NEXT) | instid1(VALU_DEP_1)
	v_sub_nc_u32_e32 v6, v6, v8
	v_cmp_lt_u32_e32 vcc_lo, s3, v6
	v_cndmask_b32_e64 v6, 0, 1, vcc_lo
.LBB1697_17:
	s_or_b32 exec_lo, exec_lo, s2
	v_add_nc_u32_e32 v8, 5, v23
	s_mov_b32 s2, exec_lo
	s_delay_alu instid0(VALU_DEP_1)
	v_cmpx_gt_u32_e64 s23, v8
	s_cbranch_execz .LBB1697_19
; %bb.18:
	v_dual_add_nc_u32 v7, s5, v49 :: v_dual_add_nc_u32 v8, s7, v49
	s_delay_alu instid0(VALU_DEP_1) | instskip(NEXT) | instid1(VALU_DEP_2)
	v_mul_lo_u32 v7, v7, s4
	v_mul_lo_u32 v8, v8, s6
	s_delay_alu instid0(VALU_DEP_1) | instskip(NEXT) | instid1(VALU_DEP_1)
	v_sub_nc_u32_e32 v7, v7, v8
	v_cmp_lt_u32_e32 vcc_lo, s3, v7
	v_cndmask_b32_e64 v7, 0, 1, vcc_lo
.LBB1697_19:
	s_or_b32 exec_lo, exec_lo, s2
	v_dual_mov_b32 v9, 0 :: v_dual_add_nc_u32 v8, 6, v23
	s_delay_alu instid0(VALU_DEP_1)
	v_cmp_gt_u32_e32 vcc_lo, s23, v8
	v_mov_b32_e32 v8, 0
	s_and_saveexec_b32 s2, vcc_lo
	s_cbranch_execz .LBB1697_21
; %bb.20:
	v_dual_add_nc_u32 v8, s5, v46 :: v_dual_add_nc_u32 v10, s7, v46
	s_delay_alu instid0(VALU_DEP_1) | instskip(NEXT) | instid1(VALU_DEP_2)
	v_mul_lo_u32 v8, v8, s4
	v_mul_lo_u32 v10, v10, s6
	s_delay_alu instid0(VALU_DEP_1) | instskip(NEXT) | instid1(VALU_DEP_1)
	v_sub_nc_u32_e32 v8, v8, v10
	v_cmp_lt_u32_e32 vcc_lo, s3, v8
	v_cndmask_b32_e64 v8, 0, 1, vcc_lo
.LBB1697_21:
	s_or_b32 exec_lo, exec_lo, s2
	v_add_nc_u32_e32 v10, 7, v23
	s_mov_b32 s2, exec_lo
	s_delay_alu instid0(VALU_DEP_1)
	v_cmpx_gt_u32_e64 s23, v10
	s_cbranch_execz .LBB1697_23
; %bb.22:
	v_dual_add_nc_u32 v9, s5, v47 :: v_dual_add_nc_u32 v10, s7, v47
	s_delay_alu instid0(VALU_DEP_1) | instskip(NEXT) | instid1(VALU_DEP_2)
	v_mul_lo_u32 v9, v9, s4
	v_mul_lo_u32 v10, v10, s6
	s_delay_alu instid0(VALU_DEP_1) | instskip(NEXT) | instid1(VALU_DEP_1)
	v_sub_nc_u32_e32 v9, v9, v10
	v_cmp_lt_u32_e32 vcc_lo, s3, v9
	v_cndmask_b32_e64 v9, 0, 1, vcc_lo
.LBB1697_23:
	s_or_b32 exec_lo, exec_lo, s2
	v_dual_mov_b32 v11, 0 :: v_dual_add_nc_u32 v10, 8, v23
	s_delay_alu instid0(VALU_DEP_1)
	v_cmp_gt_u32_e32 vcc_lo, s23, v10
	v_mov_b32_e32 v10, 0
	s_and_saveexec_b32 s2, vcc_lo
	s_cbranch_execz .LBB1697_25
; %bb.24:
	v_dual_add_nc_u32 v10, s5, v44 :: v_dual_add_nc_u32 v12, s7, v44
	s_delay_alu instid0(VALU_DEP_1) | instskip(NEXT) | instid1(VALU_DEP_2)
	v_mul_lo_u32 v10, v10, s4
	v_mul_lo_u32 v12, v12, s6
	s_delay_alu instid0(VALU_DEP_1) | instskip(NEXT) | instid1(VALU_DEP_1)
	v_sub_nc_u32_e32 v10, v10, v12
	v_cmp_lt_u32_e32 vcc_lo, s3, v10
	v_cndmask_b32_e64 v10, 0, 1, vcc_lo
.LBB1697_25:
	s_or_b32 exec_lo, exec_lo, s2
	v_add_nc_u32_e32 v12, 9, v23
	s_mov_b32 s2, exec_lo
	s_delay_alu instid0(VALU_DEP_1)
	v_cmpx_gt_u32_e64 s23, v12
	s_cbranch_execz .LBB1697_27
; %bb.26:
	v_dual_add_nc_u32 v11, s5, v45 :: v_dual_add_nc_u32 v12, s7, v45
	s_delay_alu instid0(VALU_DEP_1) | instskip(NEXT) | instid1(VALU_DEP_2)
	v_mul_lo_u32 v11, v11, s4
	v_mul_lo_u32 v12, v12, s6
	s_delay_alu instid0(VALU_DEP_1) | instskip(NEXT) | instid1(VALU_DEP_1)
	v_sub_nc_u32_e32 v11, v11, v12
	v_cmp_lt_u32_e32 vcc_lo, s3, v11
	v_cndmask_b32_e64 v11, 0, 1, vcc_lo
.LBB1697_27:
	s_or_b32 exec_lo, exec_lo, s2
	v_dual_mov_b32 v13, 0 :: v_dual_add_nc_u32 v12, 10, v23
	s_delay_alu instid0(VALU_DEP_1)
	v_cmp_gt_u32_e32 vcc_lo, s23, v12
	v_mov_b32_e32 v12, 0
	s_and_saveexec_b32 s2, vcc_lo
	s_cbranch_execz .LBB1697_29
; %bb.28:
	v_dual_add_nc_u32 v12, s5, v42 :: v_dual_add_nc_u32 v14, s7, v42
	s_delay_alu instid0(VALU_DEP_1) | instskip(NEXT) | instid1(VALU_DEP_2)
	v_mul_lo_u32 v12, v12, s4
	v_mul_lo_u32 v14, v14, s6
	s_delay_alu instid0(VALU_DEP_1) | instskip(NEXT) | instid1(VALU_DEP_1)
	v_sub_nc_u32_e32 v12, v12, v14
	v_cmp_lt_u32_e32 vcc_lo, s3, v12
	v_cndmask_b32_e64 v12, 0, 1, vcc_lo
.LBB1697_29:
	s_or_b32 exec_lo, exec_lo, s2
	v_add_nc_u32_e32 v14, 11, v23
	s_mov_b32 s2, exec_lo
	s_delay_alu instid0(VALU_DEP_1)
	v_cmpx_gt_u32_e64 s23, v14
	s_cbranch_execz .LBB1697_31
; %bb.30:
	v_dual_add_nc_u32 v13, s5, v43 :: v_dual_add_nc_u32 v14, s7, v43
	s_delay_alu instid0(VALU_DEP_1) | instskip(NEXT) | instid1(VALU_DEP_2)
	v_mul_lo_u32 v13, v13, s4
	v_mul_lo_u32 v14, v14, s6
	s_delay_alu instid0(VALU_DEP_1) | instskip(NEXT) | instid1(VALU_DEP_1)
	v_sub_nc_u32_e32 v13, v13, v14
	v_cmp_lt_u32_e32 vcc_lo, s3, v13
	v_cndmask_b32_e64 v13, 0, 1, vcc_lo
.LBB1697_31:
	s_or_b32 exec_lo, exec_lo, s2
	v_dual_mov_b32 v25, 0 :: v_dual_add_nc_u32 v14, 12, v23
	s_mov_b32 s2, exec_lo
	s_delay_alu instid0(VALU_DEP_1)
	v_cmpx_gt_u32_e64 s23, v14
	s_cbranch_execz .LBB1697_33
; %bb.32:
	v_dual_add_nc_u32 v14, s7, v1 :: v_dual_add_nc_u32 v15, s5, v1
	s_delay_alu instid0(VALU_DEP_1) | instskip(NEXT) | instid1(VALU_DEP_2)
	v_mul_lo_u32 v14, v14, s6
	v_mul_lo_u32 v15, v15, s4
	s_delay_alu instid0(VALU_DEP_1) | instskip(NEXT) | instid1(VALU_DEP_1)
	v_sub_nc_u32_e32 v14, v15, v14
	v_cmp_lt_u32_e32 vcc_lo, s3, v14
	v_cndmask_b32_e64 v25, 0, 1, vcc_lo
.LBB1697_33:
	s_or_b32 exec_lo, exec_lo, s2
	v_lshlrev_b16 v5, 8, v5
	v_lshlrev_b16 v7, 8, v7
	v_lshlrev_b16 v9, 8, v9
	v_lshlrev_b16 v3, 8, v3
	v_lshlrev_b16 v11, 8, v11
	v_or_b32_e32 v4, v4, v5
	v_or_b32_e32 v5, v6, v7
	;; [unrolled: 1-line block ×3, first 2 shown]
	s_delay_alu instid0(VALU_DEP_4) | instskip(NEXT) | instid1(VALU_DEP_3)
	v_or_b32_e32 v7, v10, v11
	v_and_b32_e32 v5, 0xffff, v5
	s_delay_alu instid0(VALU_DEP_3) | instskip(SKIP_3) | instid1(VALU_DEP_4)
	v_dual_lshlrev_b32 v6, 16, v6 :: v_dual_bitop2_b32 v2, v2, v3 bitop3:0x54
	v_lshlrev_b32_e32 v4, 16, v4
	v_lshlrev_b16 v3, 8, v13
	v_and_b32_e32 v7, 0xffff, v7
	v_or_b32_e32 v31, v5, v6
	v_and_b32_e32 v2, 0xffff, v2
	s_delay_alu instid0(VALU_DEP_4) | instskip(NEXT) | instid1(VALU_DEP_1)
	v_or_b32_e32 v3, v12, v3
	v_dual_lshlrev_b32 v3, 16, v3 :: v_dual_bitop2_b32 v35, v2, v4 bitop3:0x54
	s_delay_alu instid0(VALU_DEP_1)
	v_or_b32_e32 v27, v7, v3
.LBB1697_34:
	s_delay_alu instid0(VALU_DEP_2)
	v_bfe_u32 v39, v35, 16, 8
	v_bfe_u32 v41, v35, 8, 8
	v_and_b32_e32 v55, 0xff, v35
	v_and_b32_e32 v56, 0xff, v31
	v_mbcnt_lo_u32_b32 v62, -1, 0
	v_lshrrev_b32_e32 v37, 24, v35
	v_bfe_u32 v57, v31, 16, 8
	v_add3_u32 v2, v41, v55, v39
	v_bfe_u32 v58, v31, 8, 8
	v_and_b32_e32 v4, 15, v62
	s_load_b64 s[16:17], s[0:1], 0x28
	v_dual_lshrrev_b32 v33, 24, v31 :: v_dual_lshrrev_b32 v63, 5, v0
	v_add3_u32 v2, v2, v37, v56
	v_and_b32_e32 v59, 0xff, v27
	v_bfe_u32 v60, v27, 16, 8
	v_bfe_u32 v61, v27, 8, 8
	v_dual_lshrrev_b32 v29, 24, v27 :: v_dual_bitop2_b32 v5, 31, v0 bitop3:0x54
	v_add3_u32 v2, v2, v58, v57
	v_and_b32_e32 v3, 0xff, v25
	v_and_b32_e32 v6, 16, v62
	v_cmp_eq_u32_e64 s5, 0, v4
	v_cmp_lt_u32_e64 s4, 1, v4
	v_add3_u32 v2, v2, v33, v59
	v_cmp_lt_u32_e64 s3, 3, v4
	v_cmp_lt_u32_e64 s2, 7, v4
	s_wait_xcnt 0x0
	v_cmp_eq_u32_e64 s1, 0, v6
	v_cmp_eq_u32_e64 s0, v0, v5
	v_add3_u32 v2, v2, v61, v60
	s_cmp_lg_u32 s24, 0
	s_mov_b32 s6, -1
	s_delay_alu instid0(VALU_DEP_1)
	v_add3_u32 v64, v2, v29, v3
	s_cbranch_scc0 .LBB1697_56
; %bb.35:
	s_delay_alu instid0(VALU_DEP_1) | instskip(NEXT) | instid1(VALU_DEP_1)
	v_mov_b32_dpp v2, v64 row_shr:1 row_mask:0xf bank_mask:0xf
	v_cndmask_b32_e64 v2, v2, 0, s5
	s_delay_alu instid0(VALU_DEP_1) | instskip(NEXT) | instid1(VALU_DEP_1)
	v_add_nc_u32_e32 v2, v2, v64
	v_mov_b32_dpp v3, v2 row_shr:2 row_mask:0xf bank_mask:0xf
	s_delay_alu instid0(VALU_DEP_1) | instskip(NEXT) | instid1(VALU_DEP_1)
	v_cndmask_b32_e64 v3, 0, v3, s4
	v_add_nc_u32_e32 v2, v2, v3
	s_delay_alu instid0(VALU_DEP_1) | instskip(NEXT) | instid1(VALU_DEP_1)
	v_mov_b32_dpp v3, v2 row_shr:4 row_mask:0xf bank_mask:0xf
	v_cndmask_b32_e64 v3, 0, v3, s3
	s_delay_alu instid0(VALU_DEP_1) | instskip(NEXT) | instid1(VALU_DEP_1)
	v_add_nc_u32_e32 v2, v2, v3
	v_mov_b32_dpp v3, v2 row_shr:8 row_mask:0xf bank_mask:0xf
	s_delay_alu instid0(VALU_DEP_1) | instskip(NEXT) | instid1(VALU_DEP_1)
	v_cndmask_b32_e64 v3, 0, v3, s2
	v_add_nc_u32_e32 v2, v2, v3
	ds_swizzle_b32 v3, v2 offset:swizzle(BROADCAST,32,15)
	s_wait_dscnt 0x0
	v_cndmask_b32_e64 v3, v3, 0, s1
	s_delay_alu instid0(VALU_DEP_1)
	v_add_nc_u32_e32 v2, v2, v3
	s_and_saveexec_b32 s6, s0
; %bb.36:
	v_lshlrev_b32_e32 v3, 2, v63
	ds_store_b32 v3, v2
; %bb.37:
	s_or_b32 exec_lo, exec_lo, s6
	s_delay_alu instid0(SALU_CYCLE_1)
	s_mov_b32 s6, exec_lo
	s_wait_dscnt 0x0
	s_barrier_signal -1
	s_barrier_wait -1
	v_cmpx_gt_u32_e32 8, v0
	s_cbranch_execz .LBB1697_39
; %bb.38:
	ds_load_b32 v3, v19
	s_wait_dscnt 0x0
	v_mov_b32_dpp v5, v3 row_shr:1 row_mask:0xf bank_mask:0xf
	v_and_b32_e32 v4, 7, v62
	s_delay_alu instid0(VALU_DEP_1) | instskip(NEXT) | instid1(VALU_DEP_3)
	v_cmp_ne_u32_e32 vcc_lo, 0, v4
	v_cndmask_b32_e32 v5, 0, v5, vcc_lo
	v_cmp_lt_u32_e32 vcc_lo, 1, v4
	s_delay_alu instid0(VALU_DEP_2) | instskip(NEXT) | instid1(VALU_DEP_1)
	v_add_nc_u32_e32 v3, v5, v3
	v_mov_b32_dpp v5, v3 row_shr:2 row_mask:0xf bank_mask:0xf
	s_delay_alu instid0(VALU_DEP_1) | instskip(SKIP_1) | instid1(VALU_DEP_2)
	v_cndmask_b32_e32 v5, 0, v5, vcc_lo
	v_cmp_lt_u32_e32 vcc_lo, 3, v4
	v_add_nc_u32_e32 v3, v3, v5
	s_delay_alu instid0(VALU_DEP_1) | instskip(NEXT) | instid1(VALU_DEP_1)
	v_mov_b32_dpp v5, v3 row_shr:4 row_mask:0xf bank_mask:0xf
	v_cndmask_b32_e32 v4, 0, v5, vcc_lo
	s_delay_alu instid0(VALU_DEP_1)
	v_add_nc_u32_e32 v3, v3, v4
	ds_store_b32 v19, v3
.LBB1697_39:
	s_or_b32 exec_lo, exec_lo, s6
	s_delay_alu instid0(SALU_CYCLE_1)
	s_mov_b32 s7, exec_lo
	v_cmp_gt_u32_e32 vcc_lo, 32, v0
	s_wait_dscnt 0x0
	s_barrier_signal -1
	s_barrier_wait -1
                                        ; implicit-def: $vgpr10
	v_cmpx_lt_u32_e32 31, v0
	s_cbranch_execz .LBB1697_41
; %bb.40:
	v_lshl_add_u32 v3, v63, 2, -4
	ds_load_b32 v10, v3
	s_wait_dscnt 0x0
	v_add_nc_u32_e32 v2, v10, v2
.LBB1697_41:
	s_or_b32 exec_lo, exec_lo, s7
	v_sub_co_u32 v3, s6, v62, 1
	s_delay_alu instid0(VALU_DEP_1) | instskip(NEXT) | instid1(VALU_DEP_1)
	v_cmp_gt_i32_e64 s7, 0, v3
	v_cndmask_b32_e64 v3, v3, v62, s7
	s_delay_alu instid0(VALU_DEP_1)
	v_lshlrev_b32_e32 v3, 2, v3
	ds_bpermute_b32 v11, v3, v2
	s_and_saveexec_b32 s7, vcc_lo
	s_cbranch_execz .LBB1697_61
; %bb.42:
	v_mov_b32_e32 v9, 0
	ds_load_b32 v2, v9 offset:28
	s_and_saveexec_b32 s11, s6
	s_cbranch_execz .LBB1697_44
; %bb.43:
	s_add_co_i32 s25, s24, 32
	s_delay_alu instid0(SALU_CYCLE_1)
	v_dual_mov_b32 v3, 1 :: v_dual_mov_b32 v4, s25
	s_wait_dscnt 0x0
	s_wait_kmcnt 0x0
	global_store_b64 v4, v[2:3], s[20:21] scale_offset scope:SCOPE_DEV
.LBB1697_44:
	s_wait_xcnt 0x0
	s_or_b32 exec_lo, exec_lo, s11
	v_xad_u32 v4, v62, -1, s24
	s_mov_b32 s25, 0
	s_mov_b32 s11, exec_lo
	s_delay_alu instid0(VALU_DEP_1)
	v_add_nc_u32_e32 v8, 32, v4
	s_wait_kmcnt 0x0
	global_load_b64 v[6:7], v8, s[20:21] scale_offset scope:SCOPE_DEV
	s_wait_loadcnt 0x0
	v_and_b32_e32 v3, 0xff, v7
	s_wait_xcnt 0x0
	s_delay_alu instid0(VALU_DEP_1)
	v_cmpx_eq_u16_e32 0, v3
	s_cbranch_execz .LBB1697_48
; %bb.45:
	v_lshl_add_u64 v[8:9], v[8:9], 3, s[20:21]
.LBB1697_46:                            ; =>This Inner Loop Header: Depth=1
	global_load_b64 v[6:7], v[8:9], off scope:SCOPE_DEV
	s_wait_loadcnt 0x0
	v_and_b32_e32 v3, 0xff, v7
	s_delay_alu instid0(VALU_DEP_1)
	v_cmp_ne_u16_e32 vcc_lo, 0, v3
	s_or_b32 s25, vcc_lo, s25
	s_wait_xcnt 0x0
	s_and_not1_b32 exec_lo, exec_lo, s25
	s_cbranch_execnz .LBB1697_46
; %bb.47:
	s_or_b32 exec_lo, exec_lo, s25
.LBB1697_48:
	s_delay_alu instid0(SALU_CYCLE_1)
	s_or_b32 exec_lo, exec_lo, s11
	v_cmp_ne_u32_e32 vcc_lo, 31, v62
	v_lshlrev_b32_e64 v13, v62, -1
	v_dual_add_nc_u32 v15, 2, v62 :: v_dual_add_nc_u32 v17, 4, v62
	v_dual_add_nc_u32 v65, 8, v62 :: v_dual_add_nc_u32 v67, 16, v62
	v_add_co_ci_u32_e64 v3, null, 0, v62, vcc_lo
	v_lshl_or_b32 v66, v62, 2, 64
	s_delay_alu instid0(VALU_DEP_2)
	v_lshlrev_b32_e32 v12, 2, v3
	v_and_b32_e32 v3, 0xff, v7
	ds_bpermute_b32 v5, v12, v6
	v_cmp_eq_u16_e32 vcc_lo, 2, v3
	v_and_or_b32 v3, vcc_lo, v13, 0x80000000
	v_cmp_gt_u32_e32 vcc_lo, 30, v62
	s_delay_alu instid0(VALU_DEP_2) | instskip(SKIP_1) | instid1(VALU_DEP_2)
	v_ctz_i32_b32_e32 v3, v3
	v_cndmask_b32_e64 v8, 0, 2, vcc_lo
	v_cmp_lt_u32_e32 vcc_lo, v62, v3
	s_delay_alu instid0(VALU_DEP_2)
	v_add_lshl_u32 v14, v8, v62, 2
	s_wait_dscnt 0x0
	v_cndmask_b32_e32 v5, 0, v5, vcc_lo
	v_cmp_gt_u32_e32 vcc_lo, 28, v62
	v_cndmask_b32_e64 v8, 0, 4, vcc_lo
	v_cmp_le_u32_e32 vcc_lo, v15, v3
	s_delay_alu instid0(VALU_DEP_4) | instskip(NEXT) | instid1(VALU_DEP_3)
	v_add_nc_u32_e32 v5, v5, v6
	v_add_lshl_u32 v16, v8, v62, 2
	ds_bpermute_b32 v6, v14, v5
	s_wait_dscnt 0x0
	v_cndmask_b32_e32 v6, 0, v6, vcc_lo
	v_cmp_gt_u32_e32 vcc_lo, 24, v62
	v_cndmask_b32_e64 v8, 0, 8, vcc_lo
	v_cmp_le_u32_e32 vcc_lo, v17, v3
	s_delay_alu instid0(VALU_DEP_4) | instskip(NEXT) | instid1(VALU_DEP_3)
	v_add_nc_u32_e32 v5, v5, v6
	v_add_lshl_u32 v54, v8, v62, 2
	ds_bpermute_b32 v6, v16, v5
	s_wait_dscnt 0x0
	v_cndmask_b32_e32 v6, 0, v6, vcc_lo
	v_cmp_le_u32_e32 vcc_lo, v65, v3
	s_delay_alu instid0(VALU_DEP_2) | instskip(SKIP_4) | instid1(VALU_DEP_2)
	v_add_nc_u32_e32 v5, v5, v6
	ds_bpermute_b32 v6, v54, v5
	s_wait_dscnt 0x0
	v_cndmask_b32_e32 v6, 0, v6, vcc_lo
	v_cmp_le_u32_e32 vcc_lo, v67, v3
	v_add_nc_u32_e32 v5, v5, v6
	ds_bpermute_b32 v6, v66, v5
	s_wait_dscnt 0x0
	v_cndmask_b32_e32 v3, 0, v6, vcc_lo
	s_delay_alu instid0(VALU_DEP_1)
	v_dual_mov_b32 v5, 0 :: v_dual_add_nc_u32 v6, v5, v3
	s_branch .LBB1697_52
.LBB1697_49:                            ;   in Loop: Header=BB1697_52 Depth=1
	s_or_b32 exec_lo, exec_lo, s25
.LBB1697_50:                            ;   in Loop: Header=BB1697_52 Depth=1
	s_delay_alu instid0(SALU_CYCLE_1)
	s_or_b32 exec_lo, exec_lo, s11
	v_and_b32_e32 v8, 0xff, v7
	ds_bpermute_b32 v9, v12, v6
	v_subrev_nc_u32_e32 v4, 32, v4
	s_mov_b32 s11, 0
	v_cmp_eq_u16_e32 vcc_lo, 2, v8
	v_and_or_b32 v8, vcc_lo, v13, 0x80000000
	s_delay_alu instid0(VALU_DEP_1) | instskip(NEXT) | instid1(VALU_DEP_1)
	v_ctz_i32_b32_e32 v8, v8
	v_cmp_lt_u32_e32 vcc_lo, v62, v8
	s_wait_dscnt 0x0
	v_cndmask_b32_e32 v9, 0, v9, vcc_lo
	v_cmp_le_u32_e32 vcc_lo, v15, v8
	s_delay_alu instid0(VALU_DEP_2) | instskip(SKIP_4) | instid1(VALU_DEP_2)
	v_add_nc_u32_e32 v6, v9, v6
	ds_bpermute_b32 v9, v14, v6
	s_wait_dscnt 0x0
	v_cndmask_b32_e32 v9, 0, v9, vcc_lo
	v_cmp_le_u32_e32 vcc_lo, v17, v8
	v_add_nc_u32_e32 v6, v6, v9
	ds_bpermute_b32 v9, v16, v6
	s_wait_dscnt 0x0
	v_cndmask_b32_e32 v9, 0, v9, vcc_lo
	v_cmp_le_u32_e32 vcc_lo, v65, v8
	s_delay_alu instid0(VALU_DEP_2) | instskip(SKIP_4) | instid1(VALU_DEP_2)
	v_add_nc_u32_e32 v6, v6, v9
	ds_bpermute_b32 v9, v54, v6
	s_wait_dscnt 0x0
	v_cndmask_b32_e32 v9, 0, v9, vcc_lo
	v_cmp_le_u32_e32 vcc_lo, v67, v8
	v_add_nc_u32_e32 v6, v6, v9
	ds_bpermute_b32 v9, v66, v6
	s_wait_dscnt 0x0
	v_cndmask_b32_e32 v8, 0, v9, vcc_lo
	s_delay_alu instid0(VALU_DEP_1)
	v_add3_u32 v6, v8, v3, v6
.LBB1697_51:                            ;   in Loop: Header=BB1697_52 Depth=1
	s_and_b32 vcc_lo, exec_lo, s11
	s_cbranch_vccnz .LBB1697_57
.LBB1697_52:                            ; =>This Loop Header: Depth=1
                                        ;     Child Loop BB1697_55 Depth 2
	v_and_b32_e32 v3, 0xff, v7
	s_mov_b32 s11, -1
                                        ; implicit-def: $vgpr7
	s_delay_alu instid0(VALU_DEP_1)
	v_cmp_ne_u16_e32 vcc_lo, 2, v3
	v_mov_b32_e32 v3, v6
                                        ; implicit-def: $vgpr6
	s_cmp_lg_u32 vcc_lo, exec_lo
	s_cbranch_scc1 .LBB1697_51
; %bb.53:                               ;   in Loop: Header=BB1697_52 Depth=1
	global_load_b64 v[6:7], v4, s[20:21] scale_offset scope:SCOPE_DEV
	s_mov_b32 s11, exec_lo
	s_wait_loadcnt 0x0
	v_and_b32_e32 v8, 0xff, v7
	s_wait_xcnt 0x0
	s_delay_alu instid0(VALU_DEP_1)
	v_cmpx_eq_u16_e32 0, v8
	s_cbranch_execz .LBB1697_50
; %bb.54:                               ;   in Loop: Header=BB1697_52 Depth=1
	v_lshl_add_u64 v[8:9], v[4:5], 3, s[20:21]
	s_mov_b32 s25, 0
.LBB1697_55:                            ;   Parent Loop BB1697_52 Depth=1
                                        ; =>  This Inner Loop Header: Depth=2
	global_load_b64 v[6:7], v[8:9], off scope:SCOPE_DEV
	s_wait_loadcnt 0x0
	v_and_b32_e32 v68, 0xff, v7
	s_delay_alu instid0(VALU_DEP_1)
	v_cmp_ne_u16_e32 vcc_lo, 0, v68
	s_or_b32 s25, vcc_lo, s25
	s_wait_xcnt 0x0
	s_and_not1_b32 exec_lo, exec_lo, s25
	s_cbranch_execnz .LBB1697_55
	s_branch .LBB1697_49
.LBB1697_56:
                                        ; implicit-def: $vgpr2_vgpr3_vgpr4_vgpr5_vgpr6_vgpr7_vgpr8_vgpr9_vgpr10_vgpr11_vgpr12_vgpr13_vgpr14_vgpr15_vgpr16_vgpr17
                                        ; implicit-def: $vgpr54
                                        ; implicit-def: $vgpr16
	s_and_b32 vcc_lo, exec_lo, s6
	s_cbranch_vccnz .LBB1697_62
	s_branch .LBB1697_71
.LBB1697_57:
	s_and_saveexec_b32 s11, s6
	s_cbranch_execz .LBB1697_59
; %bb.58:
	s_add_co_i32 s24, s24, 32
	v_dual_mov_b32 v5, 2 :: v_dual_add_nc_u32 v4, v3, v2
	v_dual_mov_b32 v6, s24 :: v_dual_mov_b32 v7, 0
	global_store_b64 v6, v[4:5], s[20:21] scale_offset scope:SCOPE_DEV
	ds_store_b64 v7, v[2:3] offset:13312
.LBB1697_59:
	s_wait_xcnt 0x0
	s_or_b32 exec_lo, exec_lo, s11
	v_cmp_eq_u32_e32 vcc_lo, 0, v0
	s_and_b32 exec_lo, exec_lo, vcc_lo
; %bb.60:
	v_mov_b32_e32 v2, 0
	ds_store_b32 v2, v3 offset:28
.LBB1697_61:
	s_or_b32 exec_lo, exec_lo, s7
	s_wait_dscnt 0x0
	v_dual_mov_b32 v12, 0 :: v_dual_cndmask_b32 v3, v11, v10, s6
	s_wait_storecnt 0x0
	s_barrier_signal -1
	s_barrier_wait -1
	ds_load_b32 v2, v12 offset:28
	v_cmp_ne_u32_e32 vcc_lo, 0, v0
	s_wait_dscnt 0x0
	s_barrier_signal -1
	s_barrier_wait -1
	v_cndmask_b32_e32 v3, 0, v3, vcc_lo
	ds_load_b64 v[16:17], v12 offset:13312
	v_add_nc_u32_e32 v2, v2, v3
	s_wait_dscnt 0x0
	s_delay_alu instid0(VALU_DEP_1) | instskip(NEXT) | instid1(VALU_DEP_1)
	v_dual_mov_b32 v54, v17 :: v_dual_add_nc_u32 v3, v2, v55
	v_add_nc_u32_e32 v4, v3, v41
	s_delay_alu instid0(VALU_DEP_1) | instskip(NEXT) | instid1(VALU_DEP_1)
	v_add_nc_u32_e32 v5, v4, v39
	v_add_nc_u32_e32 v6, v5, v37
	s_delay_alu instid0(VALU_DEP_1) | instskip(NEXT) | instid1(VALU_DEP_1)
	v_add_nc_u32_e32 v7, v6, v56
	;; [unrolled: 3-line block ×5, first 2 shown]
	v_add_nc_u32_e32 v14, v13, v29
	s_branch .LBB1697_71
.LBB1697_62:
	v_mov_b32_dpp v2, v64 row_shr:1 row_mask:0xf bank_mask:0xf
	s_delay_alu instid0(VALU_DEP_1) | instskip(NEXT) | instid1(VALU_DEP_1)
	v_cndmask_b32_e64 v2, v2, 0, s5
	v_add_nc_u32_e32 v2, v2, v64
	s_delay_alu instid0(VALU_DEP_1) | instskip(NEXT) | instid1(VALU_DEP_1)
	v_mov_b32_dpp v3, v2 row_shr:2 row_mask:0xf bank_mask:0xf
	v_cndmask_b32_e64 v3, 0, v3, s4
	s_delay_alu instid0(VALU_DEP_1) | instskip(NEXT) | instid1(VALU_DEP_1)
	v_add_nc_u32_e32 v2, v2, v3
	v_mov_b32_dpp v3, v2 row_shr:4 row_mask:0xf bank_mask:0xf
	s_delay_alu instid0(VALU_DEP_1) | instskip(NEXT) | instid1(VALU_DEP_1)
	v_cndmask_b32_e64 v3, 0, v3, s3
	v_add_nc_u32_e32 v2, v2, v3
	s_delay_alu instid0(VALU_DEP_1) | instskip(NEXT) | instid1(VALU_DEP_1)
	v_mov_b32_dpp v3, v2 row_shr:8 row_mask:0xf bank_mask:0xf
	v_cndmask_b32_e64 v3, 0, v3, s2
	s_delay_alu instid0(VALU_DEP_1) | instskip(SKIP_3) | instid1(VALU_DEP_1)
	v_add_nc_u32_e32 v2, v2, v3
	ds_swizzle_b32 v3, v2 offset:swizzle(BROADCAST,32,15)
	s_wait_dscnt 0x0
	v_cndmask_b32_e64 v3, v3, 0, s1
	v_add_nc_u32_e32 v2, v2, v3
	s_and_saveexec_b32 s1, s0
; %bb.63:
	v_lshlrev_b32_e32 v3, 2, v63
	ds_store_b32 v3, v2
; %bb.64:
	s_or_b32 exec_lo, exec_lo, s1
	s_delay_alu instid0(SALU_CYCLE_1)
	s_mov_b32 s0, exec_lo
	s_wait_dscnt 0x0
	s_barrier_signal -1
	s_barrier_wait -1
	v_cmpx_gt_u32_e32 8, v0
	s_cbranch_execz .LBB1697_66
; %bb.65:
	ds_load_b32 v3, v19
	s_wait_dscnt 0x0
	v_mov_b32_dpp v5, v3 row_shr:1 row_mask:0xf bank_mask:0xf
	v_and_b32_e32 v4, 7, v62
	s_delay_alu instid0(VALU_DEP_1) | instskip(NEXT) | instid1(VALU_DEP_3)
	v_cmp_ne_u32_e32 vcc_lo, 0, v4
	v_cndmask_b32_e32 v5, 0, v5, vcc_lo
	v_cmp_lt_u32_e32 vcc_lo, 1, v4
	s_delay_alu instid0(VALU_DEP_2) | instskip(NEXT) | instid1(VALU_DEP_1)
	v_add_nc_u32_e32 v3, v5, v3
	v_mov_b32_dpp v5, v3 row_shr:2 row_mask:0xf bank_mask:0xf
	s_delay_alu instid0(VALU_DEP_1) | instskip(SKIP_1) | instid1(VALU_DEP_2)
	v_cndmask_b32_e32 v5, 0, v5, vcc_lo
	v_cmp_lt_u32_e32 vcc_lo, 3, v4
	v_add_nc_u32_e32 v3, v3, v5
	s_delay_alu instid0(VALU_DEP_1) | instskip(NEXT) | instid1(VALU_DEP_1)
	v_mov_b32_dpp v5, v3 row_shr:4 row_mask:0xf bank_mask:0xf
	v_cndmask_b32_e32 v4, 0, v5, vcc_lo
	s_delay_alu instid0(VALU_DEP_1)
	v_add_nc_u32_e32 v3, v3, v4
	ds_store_b32 v19, v3
.LBB1697_66:
	s_or_b32 exec_lo, exec_lo, s0
	v_dual_mov_b32 v4, 0 :: v_dual_mov_b32 v3, 0
	s_mov_b32 s0, exec_lo
	s_wait_dscnt 0x0
	s_barrier_signal -1
	s_barrier_wait -1
	v_cmpx_lt_u32_e32 31, v0
; %bb.67:
	v_lshl_add_u32 v3, v63, 2, -4
	ds_load_b32 v3, v3
; %bb.68:
	s_or_b32 exec_lo, exec_lo, s0
	v_sub_co_u32 v5, vcc_lo, v62, 1
	ds_load_b32 v16, v4 offset:28
	v_cmp_gt_i32_e64 s0, 0, v5
	s_delay_alu instid0(VALU_DEP_1) | instskip(SKIP_3) | instid1(VALU_DEP_3)
	v_cndmask_b32_e64 v5, v5, v62, s0
	s_wait_dscnt 0x1
	v_add_nc_u32_e32 v2, v3, v2
	v_cmp_eq_u32_e64 s0, 0, v0
	v_lshlrev_b32_e32 v5, 2, v5
	ds_bpermute_b32 v2, v5, v2
	s_and_saveexec_b32 s1, s0
	s_cbranch_execz .LBB1697_70
; %bb.69:
	v_dual_mov_b32 v4, 0 :: v_dual_mov_b32 v17, 2
	s_wait_dscnt 0x1
	s_wait_kmcnt 0x0
	global_store_b64 v4, v[16:17], s[20:21] offset:256 scope:SCOPE_DEV
.LBB1697_70:
	s_wait_xcnt 0x0
	s_or_b32 exec_lo, exec_lo, s1
	s_wait_dscnt 0x0
	v_cndmask_b32_e32 v2, v2, v3, vcc_lo
	s_wait_storecnt 0x0
	s_barrier_signal -1
	s_barrier_wait -1
	s_delay_alu instid0(VALU_DEP_1) | instskip(NEXT) | instid1(VALU_DEP_1)
	v_cndmask_b32_e64 v2, v2, 0, s0
	v_dual_mov_b32 v54, 0 :: v_dual_add_nc_u32 v3, v2, v55
	s_delay_alu instid0(VALU_DEP_1) | instskip(NEXT) | instid1(VALU_DEP_1)
	v_add_nc_u32_e32 v4, v3, v41
	v_add_nc_u32_e32 v5, v4, v39
	s_delay_alu instid0(VALU_DEP_1) | instskip(NEXT) | instid1(VALU_DEP_1)
	v_add_nc_u32_e32 v6, v5, v37
	v_add_nc_u32_e32 v7, v6, v56
	;; [unrolled: 3-line block ×5, first 2 shown]
	s_delay_alu instid0(VALU_DEP_1)
	v_add_nc_u32_e32 v14, v13, v29
.LBB1697_71:
	v_dual_lshrrev_b32 v55, 16, v35 :: v_dual_lshrrev_b32 v56, 8, v35
	v_dual_add_nc_u32 v23, v16, v23 :: v_dual_sub_nc_u32 v3, v3, v54
	v_dual_sub_nc_u32 v2, v2, v54 :: v_dual_bitop2_b32 v35, 1, v35 bitop3:0x40
	s_delay_alu instid0(VALU_DEP_3) | instskip(NEXT) | instid1(VALU_DEP_4)
	v_dual_sub_nc_u32 v4, v4, v54 :: v_dual_bitop2_b32 v56, 1, v56 bitop3:0x40
	v_and_b32_e32 v55, 1, v55
	s_delay_alu instid0(VALU_DEP_3) | instskip(NEXT) | instid1(VALU_DEP_4)
	v_dual_sub_nc_u32 v57, v23, v3 :: v_dual_sub_nc_u32 v58, v23, v2
	v_cmp_eq_u32_e32 vcc_lo, 1, v35
	s_delay_alu instid0(VALU_DEP_4) | instskip(NEXT) | instid1(VALU_DEP_3)
	v_dual_sub_nc_u32 v5, v5, v54 :: v_dual_sub_nc_u32 v59, v23, v4
	v_dual_add_nc_u32 v57, 1, v57 :: v_dual_sub_nc_u32 v6, v6, v54
	s_delay_alu instid0(VALU_DEP_4) | instskip(SKIP_1) | instid1(VALU_DEP_4)
	v_cndmask_b32_e32 v2, v58, v2, vcc_lo
	v_cmp_eq_u32_e32 vcc_lo, 1, v56
	v_dual_sub_nc_u32 v35, v23, v5 :: v_dual_add_nc_u32 v56, 2, v59
	v_dual_lshrrev_b32 v41, 8, v31 :: v_dual_lshrrev_b32 v39, 16, v31
	v_dual_cndmask_b32 v3, v57, v3, vcc_lo :: v_dual_bitop2_b32 v37, 1, v37 bitop3:0x40
	v_lshlrev_b32_e32 v2, 2, v2
	v_cmp_eq_u32_e32 vcc_lo, 1, v55
	v_add_nc_u32_e32 v35, 3, v35
	s_delay_alu instid0(VALU_DEP_4)
	v_lshlrev_b32_e32 v3, 2, v3
	v_dual_lshrrev_b32 v15, 16, v27 :: v_dual_lshrrev_b32 v17, 8, v27
	v_cndmask_b32_e32 v4, v56, v4, vcc_lo
	v_cmp_eq_u32_e32 vcc_lo, 1, v37
	ds_store_b32 v2, v52
	ds_store_b32 v3, v53
	v_dual_lshlrev_b32 v3, 2, v4 :: v_dual_cndmask_b32 v5, v35, v5, vcc_lo
	s_delay_alu instid0(VALU_DEP_1) | instskip(SKIP_1) | instid1(VALU_DEP_2)
	v_dual_sub_nc_u32 v2, v23, v6 :: v_dual_lshlrev_b32 v4, 2, v5
	v_dual_sub_nc_u32 v5, v7, v54 :: v_dual_bitop2_b32 v7, 1, v31 bitop3:0x40
	v_add_nc_u32_e32 v2, 4, v2
	ds_store_b32 v3, v50
	ds_store_b32 v4, v51
	v_sub_nc_u32_e32 v3, v23, v5
	v_cmp_eq_u32_e32 vcc_lo, 1, v7
	s_delay_alu instid0(VALU_DEP_2) | instskip(SKIP_1) | instid1(VALU_DEP_2)
	v_dual_sub_nc_u32 v4, v8, v54 :: v_dual_add_nc_u32 v3, 5, v3
	v_dual_cndmask_b32 v2, v2, v6, vcc_lo :: v_dual_bitop2_b32 v6, 1, v41 bitop3:0x40
	v_dual_sub_nc_u32 v7, v9, v54 :: v_dual_sub_nc_u32 v8, v23, v4
	s_delay_alu instid0(VALU_DEP_2) | instskip(NEXT) | instid1(VALU_DEP_2)
	v_cmp_eq_u32_e32 vcc_lo, 1, v6
	v_dual_lshlrev_b32 v2, 2, v2 :: v_dual_add_nc_u32 v8, 6, v8
	v_cndmask_b32_e32 v3, v3, v5, vcc_lo
	s_delay_alu instid0(VALU_DEP_4)
	v_sub_nc_u32_e32 v5, v23, v7
	v_and_b32_e32 v6, 1, v39
	ds_store_b32 v2, v48
	v_dual_lshlrev_b32 v3, 2, v3 :: v_dual_add_nc_u32 v5, 7, v5
	v_cmp_eq_u32_e32 vcc_lo, 1, v6
	v_dual_sub_nc_u32 v6, v11, v54 :: v_dual_bitop2_b32 v2, 1, v33 bitop3:0x40
	ds_store_b32 v3, v49
	v_cndmask_b32_e32 v4, v8, v4, vcc_lo
	v_cmp_eq_u32_e32 vcc_lo, 1, v2
	s_delay_alu instid0(VALU_DEP_2)
	v_dual_lshlrev_b32 v4, 2, v4 :: v_dual_cndmask_b32 v2, v5, v7, vcc_lo
	v_dual_sub_nc_u32 v5, v10, v54 :: v_dual_bitop2_b32 v7, 1, v17 bitop3:0x40
	v_sub_nc_u32_e32 v3, v23, v6
	ds_store_b32 v4, v46
	v_dual_sub_nc_u32 v4, v23, v5 :: v_dual_lshlrev_b32 v2, 2, v2
	v_add_nc_u32_e32 v3, 9, v3
	v_cmp_eq_u32_e32 vcc_lo, 1, v7
	s_delay_alu instid0(VALU_DEP_3) | instskip(SKIP_3) | instid1(VALU_DEP_2)
	v_dual_sub_nc_u32 v7, v12, v54 :: v_dual_add_nc_u32 v4, 8, v4
	ds_store_b32 v2, v47
	v_dual_cndmask_b32 v3, v3, v6, vcc_lo :: v_dual_bitop2_b32 v2, 1, v27 bitop3:0x40
	v_dual_sub_nc_u32 v6, v13, v54 :: v_dual_sub_nc_u32 v8, v14, v54
	v_cmp_eq_u32_e32 vcc_lo, 1, v2
	v_dual_cndmask_b32 v2, v4, v5 :: v_dual_sub_nc_u32 v5, v23, v7
	s_delay_alu instid0(VALU_DEP_3) | instskip(SKIP_1) | instid1(VALU_DEP_3)
	v_dual_sub_nc_u32 v4, v23, v6 :: v_dual_sub_nc_u32 v9, v23, v8
	v_and_b32_e32 v10, 1, v15
	v_dual_lshlrev_b32 v2, 2, v2 :: v_dual_bitop2_b32 v12, 1, v25 bitop3:0x40
	s_delay_alu instid0(VALU_DEP_3) | instskip(NEXT) | instid1(VALU_DEP_1)
	v_dual_add_nc_u32 v4, 11, v4 :: v_dual_bitop2_b32 v11, 1, v29 bitop3:0x40
	v_cmp_eq_u32_e32 vcc_lo, 1, v11
	s_delay_alu instid0(VALU_DEP_2) | instskip(SKIP_3) | instid1(VALU_DEP_1)
	v_cndmask_b32_e32 v4, v4, v6, vcc_lo
	v_cmp_eq_u32_e32 vcc_lo, 1, v10
	v_add_nc_u32_e32 v9, 12, v9
	v_add_nc_u32_e32 v5, 10, v5
	v_cndmask_b32_e32 v5, v5, v7, vcc_lo
	v_cmp_eq_u32_e32 vcc_lo, 1, v12
	s_delay_alu instid0(VALU_DEP_2) | instskip(SKIP_3) | instid1(VALU_DEP_3)
	v_dual_lshlrev_b32 v3, 2, v3 :: v_dual_lshlrev_b32 v5, 2, v5
	v_cndmask_b32_e32 v6, v9, v8, vcc_lo
	v_lshlrev_b32_e32 v4, 2, v4
	v_cmp_ne_u32_e32 vcc_lo, 1, v21
	v_lshlrev_b32_e32 v6, 2, v6
	ds_store_b32 v2, v44
	ds_store_b32 v3, v45
	;; [unrolled: 1-line block ×5, first 2 shown]
	s_wait_dscnt 0x0
	s_barrier_signal -1
	s_barrier_wait -1
	ds_load_2addr_stride64_b32 v[14:15], v19 offset1:4
	ds_load_2addr_stride64_b32 v[12:13], v19 offset0:8 offset1:12
	ds_load_2addr_stride64_b32 v[10:11], v19 offset0:16 offset1:20
	;; [unrolled: 1-line block ×5, first 2 shown]
	ds_load_b32 v46, v19 offset:12288
	v_mov_b32_e32 v1, 0
	s_and_b32 vcc_lo, exec_lo, vcc_lo
	s_delay_alu instid0(VALU_DEP_1) | instskip(SKIP_3) | instid1(VALU_DEP_3)
	v_dual_mov_b32 v29, v1 :: v_dual_mov_b32 v55, v1
	v_dual_mov_b32 v41, v1 :: v_dual_mov_b32 v39, v1
	;; [unrolled: 1-line block ×3, first 2 shown]
	s_wait_kmcnt 0x0
	v_add_nc_u64_e32 v[2:3], s[18:19], v[54:55]
	v_dual_mov_b32 v33, v1 :: v_dual_mov_b32 v31, v1
	v_dual_mov_b32 v27, v1 :: v_dual_mov_b32 v25, v1
	;; [unrolled: 1-line block ×3, first 2 shown]
	v_mov_b32_e32 v19, v1
	s_cbranch_vccnz .LBB1697_125
; %bb.72:
	v_mov_b32_e32 v17, v1
	s_mov_b32 s11, 0
	v_sub_nc_u64_e64 v[42:43], v[2:3], s[12:13]
	s_sub_nc_u64 s[0:1], s[14:15], s[10:11]
	s_delay_alu instid0(VALU_DEP_2) | instid1(SALU_CYCLE_1)
	v_add_nc_u64_e32 v[44:45], s[0:1], v[16:17]
	s_mov_b32 s0, exec_lo
	s_delay_alu instid0(VALU_DEP_1)
	v_add_nc_u64_e32 v[42:43], v[44:45], v[42:43]
                                        ; implicit-def: $vgpr44_vgpr45
	v_cmpx_ge_u32_e64 v0, v16
	s_xor_b32 s0, exec_lo, s0
; %bb.73:
	v_not_b32_e32 v44, v0
	s_delay_alu instid0(VALU_DEP_1) | instskip(NEXT) | instid1(VALU_DEP_1)
	v_ashrrev_i32_e32 v45, 31, v44
	v_add_nc_u64_e32 v[44:45], v[42:43], v[44:45]
; %bb.74:
	s_and_not1_saveexec_b32 s0, s0
; %bb.75:
	v_add_nc_u64_e32 v[44:45], v[2:3], v[0:1]
; %bb.76:
	s_or_b32 exec_lo, exec_lo, s0
	s_delay_alu instid0(VALU_DEP_1)
	v_lshl_add_u64 v[44:45], v[44:45], 2, s[16:17]
	s_mov_b32 s0, exec_lo
	s_wait_dscnt 0x6
	global_store_b32 v[44:45], v14, off
                                        ; implicit-def: $vgpr44_vgpr45
	s_wait_xcnt 0x0
	v_cmpx_ge_u32_e64 v40, v16
	s_xor_b32 s0, exec_lo, s0
; %bb.77:
	v_xor_b32_e32 v44, 0xfffffeff, v0
	s_delay_alu instid0(VALU_DEP_1) | instskip(NEXT) | instid1(VALU_DEP_1)
	v_ashrrev_i32_e32 v45, 31, v44
	v_add_nc_u64_e32 v[44:45], v[42:43], v[44:45]
; %bb.78:
	s_and_not1_saveexec_b32 s0, s0
; %bb.79:
	v_add_nc_u64_e32 v[44:45], v[2:3], v[40:41]
; %bb.80:
	s_or_b32 exec_lo, exec_lo, s0
	s_delay_alu instid0(VALU_DEP_1)
	v_lshl_add_u64 v[44:45], v[44:45], 2, s[16:17]
	s_mov_b32 s0, exec_lo
	global_store_b32 v[44:45], v15, off
                                        ; implicit-def: $vgpr44_vgpr45
	s_wait_xcnt 0x0
	v_cmpx_ge_u32_e64 v38, v16
	s_xor_b32 s0, exec_lo, s0
; %bb.81:
	v_xor_b32_e32 v44, 0xfffffdff, v0
	s_delay_alu instid0(VALU_DEP_1) | instskip(NEXT) | instid1(VALU_DEP_1)
	v_ashrrev_i32_e32 v45, 31, v44
	v_add_nc_u64_e32 v[44:45], v[42:43], v[44:45]
; %bb.82:
	s_and_not1_saveexec_b32 s0, s0
; %bb.83:
	v_add_nc_u64_e32 v[44:45], v[2:3], v[38:39]
; %bb.84:
	s_or_b32 exec_lo, exec_lo, s0
	s_delay_alu instid0(VALU_DEP_1)
	v_lshl_add_u64 v[44:45], v[44:45], 2, s[16:17]
	s_mov_b32 s0, exec_lo
	s_wait_dscnt 0x5
	global_store_b32 v[44:45], v12, off
                                        ; implicit-def: $vgpr44_vgpr45
	s_wait_xcnt 0x0
	v_cmpx_ge_u32_e64 v36, v16
	s_xor_b32 s0, exec_lo, s0
; %bb.85:
	v_xor_b32_e32 v44, 0xfffffcff, v0
	s_delay_alu instid0(VALU_DEP_1) | instskip(NEXT) | instid1(VALU_DEP_1)
	v_ashrrev_i32_e32 v45, 31, v44
	v_add_nc_u64_e32 v[44:45], v[42:43], v[44:45]
; %bb.86:
	s_and_not1_saveexec_b32 s0, s0
; %bb.87:
	v_add_nc_u64_e32 v[44:45], v[2:3], v[36:37]
; %bb.88:
	s_or_b32 exec_lo, exec_lo, s0
	s_delay_alu instid0(VALU_DEP_1)
	v_lshl_add_u64 v[44:45], v[44:45], 2, s[16:17]
	s_mov_b32 s0, exec_lo
	global_store_b32 v[44:45], v13, off
                                        ; implicit-def: $vgpr44_vgpr45
	s_wait_xcnt 0x0
	v_cmpx_ge_u32_e64 v34, v16
	s_xor_b32 s0, exec_lo, s0
; %bb.89:
	v_xor_b32_e32 v44, 0xfffffbff, v0
	;; [unrolled: 39-line block ×6, first 2 shown]
	s_delay_alu instid0(VALU_DEP_1) | instskip(NEXT) | instid1(VALU_DEP_1)
	v_ashrrev_i32_e32 v45, 31, v44
	v_add_nc_u64_e32 v[44:45], v[42:43], v[44:45]
; %bb.122:
	s_and_not1_saveexec_b32 s0, s0
; %bb.123:
	v_add_nc_u64_e32 v[44:45], v[2:3], v[18:19]
; %bb.124:
	s_or_b32 exec_lo, exec_lo, s0
	s_mov_b32 s0, -1
	s_branch .LBB1697_205
.LBB1697_125:
	s_mov_b32 s0, 0
                                        ; implicit-def: $vgpr44_vgpr45
	s_cbranch_execz .LBB1697_205
; %bb.126:
	s_mov_b32 s11, 0
	v_mov_b32_e32 v17, 0
	s_add_nc_u64 s[2:3], s[12:13], s[10:11]
	s_mov_b32 s1, exec_lo
	s_sub_nc_u64 s[2:3], s[14:15], s[2:3]
	s_delay_alu instid0(VALU_DEP_1) | instid1(SALU_CYCLE_1)
	v_add_nc_u64_e32 v[42:43], s[2:3], v[16:17]
	s_delay_alu instid0(VALU_DEP_1)
	v_add_nc_u64_e32 v[42:43], v[42:43], v[2:3]
	v_cmpx_gt_u32_e64 s23, v0
	s_cbranch_execz .LBB1697_162
; %bb.127:
	s_mov_b32 s2, exec_lo
                                        ; implicit-def: $vgpr44_vgpr45
	v_cmpx_ge_u32_e64 v0, v16
	s_xor_b32 s2, exec_lo, s2
; %bb.128:
	v_not_b32_e32 v44, v0
	s_delay_alu instid0(VALU_DEP_1) | instskip(NEXT) | instid1(VALU_DEP_1)
	v_ashrrev_i32_e32 v45, 31, v44
	v_add_nc_u64_e32 v[44:45], v[42:43], v[44:45]
; %bb.129:
	s_and_not1_saveexec_b32 s2, s2
; %bb.130:
	v_add_nc_u64_e32 v[44:45], v[2:3], v[0:1]
; %bb.131:
	s_or_b32 exec_lo, exec_lo, s2
	s_delay_alu instid0(VALU_DEP_1) | instskip(SKIP_4) | instid1(SALU_CYCLE_1)
	v_lshl_add_u64 v[44:45], v[44:45], 2, s[16:17]
	s_wait_dscnt 0x6
	global_store_b32 v[44:45], v14, off
	s_wait_xcnt 0x0
	s_or_b32 exec_lo, exec_lo, s1
	s_mov_b32 s1, exec_lo
	v_cmpx_gt_u32_e64 s23, v40
	s_cbranch_execnz .LBB1697_163
.LBB1697_132:
	s_or_b32 exec_lo, exec_lo, s1
	s_delay_alu instid0(SALU_CYCLE_1)
	s_mov_b32 s1, exec_lo
	v_cmpx_gt_u32_e64 s23, v38
	s_cbranch_execz .LBB1697_168
.LBB1697_133:
	s_mov_b32 s2, exec_lo
                                        ; implicit-def: $vgpr14_vgpr15
	v_cmpx_ge_u32_e64 v38, v16
	s_xor_b32 s2, exec_lo, s2
	s_cbranch_execz .LBB1697_135
; %bb.134:
	s_wait_dscnt 0x6
	v_xor_b32_e32 v14, 0xfffffdff, v0
                                        ; implicit-def: $vgpr38_vgpr39
	s_delay_alu instid0(VALU_DEP_1) | instskip(NEXT) | instid1(VALU_DEP_1)
	v_ashrrev_i32_e32 v15, 31, v14
	v_add_nc_u64_e32 v[14:15], v[42:43], v[14:15]
.LBB1697_135:
	s_and_not1_saveexec_b32 s2, s2
	s_cbranch_execz .LBB1697_137
; %bb.136:
	s_wait_dscnt 0x6
	v_add_nc_u64_e32 v[14:15], v[2:3], v[38:39]
.LBB1697_137:
	s_or_b32 exec_lo, exec_lo, s2
	s_wait_dscnt 0x6
	s_delay_alu instid0(VALU_DEP_1) | instskip(SKIP_4) | instid1(SALU_CYCLE_1)
	v_lshl_add_u64 v[14:15], v[14:15], 2, s[16:17]
	s_wait_dscnt 0x5
	global_store_b32 v[14:15], v12, off
	s_wait_xcnt 0x0
	s_or_b32 exec_lo, exec_lo, s1
	s_mov_b32 s1, exec_lo
	v_cmpx_gt_u32_e64 s23, v36
	s_cbranch_execnz .LBB1697_169
.LBB1697_138:
	s_or_b32 exec_lo, exec_lo, s1
	s_delay_alu instid0(SALU_CYCLE_1)
	s_mov_b32 s1, exec_lo
	v_cmpx_gt_u32_e64 s23, v34
	s_cbranch_execz .LBB1697_174
.LBB1697_139:
	s_mov_b32 s2, exec_lo
                                        ; implicit-def: $vgpr12_vgpr13
	v_cmpx_ge_u32_e64 v34, v16
	s_xor_b32 s2, exec_lo, s2
	s_cbranch_execz .LBB1697_141
; %bb.140:
	s_wait_dscnt 0x5
	v_xor_b32_e32 v12, 0xfffffbff, v0
                                        ; implicit-def: $vgpr34_vgpr35
	s_delay_alu instid0(VALU_DEP_1) | instskip(NEXT) | instid1(VALU_DEP_1)
	v_ashrrev_i32_e32 v13, 31, v12
	v_add_nc_u64_e32 v[12:13], v[42:43], v[12:13]
.LBB1697_141:
	s_and_not1_saveexec_b32 s2, s2
	s_cbranch_execz .LBB1697_143
; %bb.142:
	s_wait_dscnt 0x5
	v_add_nc_u64_e32 v[12:13], v[2:3], v[34:35]
.LBB1697_143:
	s_or_b32 exec_lo, exec_lo, s2
	s_wait_dscnt 0x5
	s_delay_alu instid0(VALU_DEP_1) | instskip(SKIP_4) | instid1(SALU_CYCLE_1)
	v_lshl_add_u64 v[12:13], v[12:13], 2, s[16:17]
	s_wait_dscnt 0x4
	global_store_b32 v[12:13], v10, off
	s_wait_xcnt 0x0
	s_or_b32 exec_lo, exec_lo, s1
	s_mov_b32 s1, exec_lo
	v_cmpx_gt_u32_e64 s23, v32
	s_cbranch_execnz .LBB1697_175
.LBB1697_144:
	s_or_b32 exec_lo, exec_lo, s1
	s_delay_alu instid0(SALU_CYCLE_1)
	s_mov_b32 s1, exec_lo
	v_cmpx_gt_u32_e64 s23, v30
	s_cbranch_execz .LBB1697_180
.LBB1697_145:
	s_mov_b32 s2, exec_lo
                                        ; implicit-def: $vgpr10_vgpr11
	v_cmpx_ge_u32_e64 v30, v16
	s_xor_b32 s2, exec_lo, s2
	s_cbranch_execz .LBB1697_147
; %bb.146:
	s_wait_dscnt 0x4
	v_xor_b32_e32 v10, 0xfffff9ff, v0
                                        ; implicit-def: $vgpr30_vgpr31
	s_delay_alu instid0(VALU_DEP_1) | instskip(NEXT) | instid1(VALU_DEP_1)
	v_ashrrev_i32_e32 v11, 31, v10
	v_add_nc_u64_e32 v[10:11], v[42:43], v[10:11]
.LBB1697_147:
	s_and_not1_saveexec_b32 s2, s2
	s_cbranch_execz .LBB1697_149
; %bb.148:
	s_wait_dscnt 0x4
	v_add_nc_u64_e32 v[10:11], v[2:3], v[30:31]
.LBB1697_149:
	s_or_b32 exec_lo, exec_lo, s2
	s_wait_dscnt 0x4
	s_delay_alu instid0(VALU_DEP_1) | instskip(SKIP_4) | instid1(SALU_CYCLE_1)
	v_lshl_add_u64 v[10:11], v[10:11], 2, s[16:17]
	s_wait_dscnt 0x3
	global_store_b32 v[10:11], v8, off
	s_wait_xcnt 0x0
	s_or_b32 exec_lo, exec_lo, s1
	s_mov_b32 s1, exec_lo
	v_cmpx_gt_u32_e64 s23, v28
	s_cbranch_execnz .LBB1697_181
.LBB1697_150:
	s_or_b32 exec_lo, exec_lo, s1
	s_delay_alu instid0(SALU_CYCLE_1)
	s_mov_b32 s1, exec_lo
	v_cmpx_gt_u32_e64 s23, v26
	s_cbranch_execz .LBB1697_186
.LBB1697_151:
	s_mov_b32 s2, exec_lo
                                        ; implicit-def: $vgpr8_vgpr9
	v_cmpx_ge_u32_e64 v26, v16
	s_xor_b32 s2, exec_lo, s2
	s_cbranch_execz .LBB1697_153
; %bb.152:
	s_wait_dscnt 0x3
	v_xor_b32_e32 v8, 0xfffff7ff, v0
                                        ; implicit-def: $vgpr26_vgpr27
	s_delay_alu instid0(VALU_DEP_1) | instskip(NEXT) | instid1(VALU_DEP_1)
	v_ashrrev_i32_e32 v9, 31, v8
	v_add_nc_u64_e32 v[8:9], v[42:43], v[8:9]
.LBB1697_153:
	s_and_not1_saveexec_b32 s2, s2
	s_cbranch_execz .LBB1697_155
; %bb.154:
	s_wait_dscnt 0x3
	v_add_nc_u64_e32 v[8:9], v[2:3], v[26:27]
.LBB1697_155:
	s_or_b32 exec_lo, exec_lo, s2
	s_wait_dscnt 0x3
	s_delay_alu instid0(VALU_DEP_1) | instskip(SKIP_4) | instid1(SALU_CYCLE_1)
	v_lshl_add_u64 v[8:9], v[8:9], 2, s[16:17]
	s_wait_dscnt 0x2
	global_store_b32 v[8:9], v6, off
	s_wait_xcnt 0x0
	s_or_b32 exec_lo, exec_lo, s1
	s_mov_b32 s1, exec_lo
	v_cmpx_gt_u32_e64 s23, v24
	s_cbranch_execnz .LBB1697_187
.LBB1697_156:
	s_or_b32 exec_lo, exec_lo, s1
	s_delay_alu instid0(SALU_CYCLE_1)
	s_mov_b32 s1, exec_lo
	v_cmpx_gt_u32_e64 s23, v22
	s_cbranch_execz .LBB1697_192
.LBB1697_157:
	s_mov_b32 s2, exec_lo
                                        ; implicit-def: $vgpr6_vgpr7
	v_cmpx_ge_u32_e64 v22, v16
	s_xor_b32 s2, exec_lo, s2
	s_cbranch_execz .LBB1697_159
; %bb.158:
	s_wait_dscnt 0x2
	v_xor_b32_e32 v6, 0xfffff5ff, v0
                                        ; implicit-def: $vgpr22_vgpr23
	s_delay_alu instid0(VALU_DEP_1) | instskip(NEXT) | instid1(VALU_DEP_1)
	v_ashrrev_i32_e32 v7, 31, v6
	v_add_nc_u64_e32 v[6:7], v[42:43], v[6:7]
.LBB1697_159:
	s_and_not1_saveexec_b32 s2, s2
	s_cbranch_execz .LBB1697_161
; %bb.160:
	s_wait_dscnt 0x2
	v_add_nc_u64_e32 v[6:7], v[2:3], v[22:23]
.LBB1697_161:
	s_or_b32 exec_lo, exec_lo, s2
	s_wait_dscnt 0x2
	s_delay_alu instid0(VALU_DEP_1) | instskip(SKIP_4) | instid1(SALU_CYCLE_1)
	v_lshl_add_u64 v[6:7], v[6:7], 2, s[16:17]
	s_wait_dscnt 0x1
	global_store_b32 v[6:7], v4, off
	s_wait_xcnt 0x0
	s_or_b32 exec_lo, exec_lo, s1
	s_mov_b32 s1, exec_lo
	v_cmpx_gt_u32_e64 s23, v20
	s_cbranch_execz .LBB1697_198
	s_branch .LBB1697_193
.LBB1697_162:
	s_or_b32 exec_lo, exec_lo, s1
	s_delay_alu instid0(SALU_CYCLE_1)
	s_mov_b32 s1, exec_lo
	v_cmpx_gt_u32_e64 s23, v40
	s_cbranch_execz .LBB1697_132
.LBB1697_163:
	s_mov_b32 s2, exec_lo
                                        ; implicit-def: $vgpr44_vgpr45
	v_cmpx_ge_u32_e64 v40, v16
	s_xor_b32 s2, exec_lo, s2
; %bb.164:
	v_xor_b32_e32 v40, 0xfffffeff, v0
	s_delay_alu instid0(VALU_DEP_1) | instskip(NEXT) | instid1(VALU_DEP_1)
	v_ashrrev_i32_e32 v41, 31, v40
	v_add_nc_u64_e32 v[44:45], v[42:43], v[40:41]
                                        ; implicit-def: $vgpr40_vgpr41
; %bb.165:
	s_and_not1_saveexec_b32 s2, s2
; %bb.166:
	v_add_nc_u64_e32 v[44:45], v[2:3], v[40:41]
; %bb.167:
	s_or_b32 exec_lo, exec_lo, s2
	s_delay_alu instid0(VALU_DEP_1) | instskip(SKIP_4) | instid1(SALU_CYCLE_1)
	v_lshl_add_u64 v[40:41], v[44:45], 2, s[16:17]
	s_wait_dscnt 0x6
	global_store_b32 v[40:41], v15, off
	s_wait_xcnt 0x0
	s_or_b32 exec_lo, exec_lo, s1
	s_mov_b32 s1, exec_lo
	v_cmpx_gt_u32_e64 s23, v38
	s_cbranch_execnz .LBB1697_133
.LBB1697_168:
	s_or_b32 exec_lo, exec_lo, s1
	s_delay_alu instid0(SALU_CYCLE_1)
	s_mov_b32 s1, exec_lo
	v_cmpx_gt_u32_e64 s23, v36
	s_cbranch_execz .LBB1697_138
.LBB1697_169:
	s_mov_b32 s2, exec_lo
                                        ; implicit-def: $vgpr14_vgpr15
	v_cmpx_ge_u32_e64 v36, v16
	s_xor_b32 s2, exec_lo, s2
	s_cbranch_execz .LBB1697_171
; %bb.170:
	s_wait_dscnt 0x6
	v_xor_b32_e32 v14, 0xfffffcff, v0
                                        ; implicit-def: $vgpr36_vgpr37
	s_delay_alu instid0(VALU_DEP_1) | instskip(NEXT) | instid1(VALU_DEP_1)
	v_ashrrev_i32_e32 v15, 31, v14
	v_add_nc_u64_e32 v[14:15], v[42:43], v[14:15]
.LBB1697_171:
	s_and_not1_saveexec_b32 s2, s2
	s_cbranch_execz .LBB1697_173
; %bb.172:
	s_wait_dscnt 0x6
	v_add_nc_u64_e32 v[14:15], v[2:3], v[36:37]
.LBB1697_173:
	s_or_b32 exec_lo, exec_lo, s2
	s_wait_dscnt 0x6
	s_delay_alu instid0(VALU_DEP_1) | instskip(SKIP_4) | instid1(SALU_CYCLE_1)
	v_lshl_add_u64 v[14:15], v[14:15], 2, s[16:17]
	s_wait_dscnt 0x5
	global_store_b32 v[14:15], v13, off
	s_wait_xcnt 0x0
	s_or_b32 exec_lo, exec_lo, s1
	s_mov_b32 s1, exec_lo
	v_cmpx_gt_u32_e64 s23, v34
	s_cbranch_execnz .LBB1697_139
.LBB1697_174:
	s_or_b32 exec_lo, exec_lo, s1
	s_delay_alu instid0(SALU_CYCLE_1)
	s_mov_b32 s1, exec_lo
	v_cmpx_gt_u32_e64 s23, v32
	s_cbranch_execz .LBB1697_144
.LBB1697_175:
	s_mov_b32 s2, exec_lo
                                        ; implicit-def: $vgpr12_vgpr13
	v_cmpx_ge_u32_e64 v32, v16
	s_xor_b32 s2, exec_lo, s2
	s_cbranch_execz .LBB1697_177
; %bb.176:
	s_wait_dscnt 0x5
	v_xor_b32_e32 v12, 0xfffffaff, v0
                                        ; implicit-def: $vgpr32_vgpr33
	s_delay_alu instid0(VALU_DEP_1) | instskip(NEXT) | instid1(VALU_DEP_1)
	v_ashrrev_i32_e32 v13, 31, v12
	v_add_nc_u64_e32 v[12:13], v[42:43], v[12:13]
.LBB1697_177:
	s_and_not1_saveexec_b32 s2, s2
	s_cbranch_execz .LBB1697_179
; %bb.178:
	s_wait_dscnt 0x5
	v_add_nc_u64_e32 v[12:13], v[2:3], v[32:33]
.LBB1697_179:
	s_or_b32 exec_lo, exec_lo, s2
	s_wait_dscnt 0x5
	s_delay_alu instid0(VALU_DEP_1) | instskip(SKIP_4) | instid1(SALU_CYCLE_1)
	v_lshl_add_u64 v[12:13], v[12:13], 2, s[16:17]
	s_wait_dscnt 0x4
	global_store_b32 v[12:13], v11, off
	s_wait_xcnt 0x0
	s_or_b32 exec_lo, exec_lo, s1
	s_mov_b32 s1, exec_lo
	v_cmpx_gt_u32_e64 s23, v30
	s_cbranch_execnz .LBB1697_145
.LBB1697_180:
	s_or_b32 exec_lo, exec_lo, s1
	s_delay_alu instid0(SALU_CYCLE_1)
	s_mov_b32 s1, exec_lo
	v_cmpx_gt_u32_e64 s23, v28
	s_cbranch_execz .LBB1697_150
.LBB1697_181:
	s_mov_b32 s2, exec_lo
                                        ; implicit-def: $vgpr10_vgpr11
	v_cmpx_ge_u32_e64 v28, v16
	s_xor_b32 s2, exec_lo, s2
	s_cbranch_execz .LBB1697_183
; %bb.182:
	s_wait_dscnt 0x4
	v_xor_b32_e32 v10, 0xfffff8ff, v0
                                        ; implicit-def: $vgpr28_vgpr29
	s_delay_alu instid0(VALU_DEP_1) | instskip(NEXT) | instid1(VALU_DEP_1)
	v_ashrrev_i32_e32 v11, 31, v10
	v_add_nc_u64_e32 v[10:11], v[42:43], v[10:11]
.LBB1697_183:
	s_and_not1_saveexec_b32 s2, s2
	s_cbranch_execz .LBB1697_185
; %bb.184:
	s_wait_dscnt 0x4
	v_add_nc_u64_e32 v[10:11], v[2:3], v[28:29]
.LBB1697_185:
	s_or_b32 exec_lo, exec_lo, s2
	s_wait_dscnt 0x4
	s_delay_alu instid0(VALU_DEP_1) | instskip(SKIP_4) | instid1(SALU_CYCLE_1)
	v_lshl_add_u64 v[10:11], v[10:11], 2, s[16:17]
	s_wait_dscnt 0x3
	global_store_b32 v[10:11], v9, off
	s_wait_xcnt 0x0
	s_or_b32 exec_lo, exec_lo, s1
	s_mov_b32 s1, exec_lo
	v_cmpx_gt_u32_e64 s23, v26
	s_cbranch_execnz .LBB1697_151
.LBB1697_186:
	s_or_b32 exec_lo, exec_lo, s1
	s_delay_alu instid0(SALU_CYCLE_1)
	s_mov_b32 s1, exec_lo
	v_cmpx_gt_u32_e64 s23, v24
	s_cbranch_execz .LBB1697_156
.LBB1697_187:
	s_mov_b32 s2, exec_lo
                                        ; implicit-def: $vgpr8_vgpr9
	v_cmpx_ge_u32_e64 v24, v16
	s_xor_b32 s2, exec_lo, s2
	s_cbranch_execz .LBB1697_189
; %bb.188:
	s_wait_dscnt 0x3
	v_xor_b32_e32 v8, 0xfffff6ff, v0
                                        ; implicit-def: $vgpr24_vgpr25
	s_delay_alu instid0(VALU_DEP_1) | instskip(NEXT) | instid1(VALU_DEP_1)
	v_ashrrev_i32_e32 v9, 31, v8
	v_add_nc_u64_e32 v[8:9], v[42:43], v[8:9]
.LBB1697_189:
	s_and_not1_saveexec_b32 s2, s2
	s_cbranch_execz .LBB1697_191
; %bb.190:
	s_wait_dscnt 0x3
	v_add_nc_u64_e32 v[8:9], v[2:3], v[24:25]
.LBB1697_191:
	s_or_b32 exec_lo, exec_lo, s2
	s_wait_dscnt 0x3
	s_delay_alu instid0(VALU_DEP_1) | instskip(SKIP_4) | instid1(SALU_CYCLE_1)
	v_lshl_add_u64 v[8:9], v[8:9], 2, s[16:17]
	s_wait_dscnt 0x2
	global_store_b32 v[8:9], v7, off
	s_wait_xcnt 0x0
	s_or_b32 exec_lo, exec_lo, s1
	s_mov_b32 s1, exec_lo
	v_cmpx_gt_u32_e64 s23, v22
	s_cbranch_execnz .LBB1697_157
.LBB1697_192:
	s_or_b32 exec_lo, exec_lo, s1
	s_delay_alu instid0(SALU_CYCLE_1)
	s_mov_b32 s1, exec_lo
	v_cmpx_gt_u32_e64 s23, v20
	s_cbranch_execz .LBB1697_198
.LBB1697_193:
	s_mov_b32 s2, exec_lo
                                        ; implicit-def: $vgpr6_vgpr7
	v_cmpx_ge_u32_e64 v20, v16
	s_xor_b32 s2, exec_lo, s2
	s_cbranch_execz .LBB1697_195
; %bb.194:
	s_wait_dscnt 0x2
	v_xor_b32_e32 v6, 0xfffff4ff, v0
                                        ; implicit-def: $vgpr20_vgpr21
	s_delay_alu instid0(VALU_DEP_1) | instskip(NEXT) | instid1(VALU_DEP_1)
	v_ashrrev_i32_e32 v7, 31, v6
	v_add_nc_u64_e32 v[6:7], v[42:43], v[6:7]
.LBB1697_195:
	s_and_not1_saveexec_b32 s2, s2
	s_cbranch_execz .LBB1697_197
; %bb.196:
	s_wait_dscnt 0x2
	v_add_nc_u64_e32 v[6:7], v[2:3], v[20:21]
.LBB1697_197:
	s_or_b32 exec_lo, exec_lo, s2
	s_wait_dscnt 0x2
	s_delay_alu instid0(VALU_DEP_1)
	v_lshl_add_u64 v[6:7], v[6:7], 2, s[16:17]
	s_wait_dscnt 0x1
	global_store_b32 v[6:7], v5, off
.LBB1697_198:
	s_wait_xcnt 0x0
	s_or_b32 exec_lo, exec_lo, s1
	s_delay_alu instid0(SALU_CYCLE_1)
	s_mov_b32 s1, exec_lo
                                        ; implicit-def: $vgpr44_vgpr45
	v_cmpx_gt_u32_e64 s23, v18
	s_cbranch_execz .LBB1697_204
; %bb.199:
	s_mov_b32 s2, exec_lo
                                        ; implicit-def: $vgpr44_vgpr45
	v_cmpx_ge_u32_e64 v18, v16
	s_xor_b32 s2, exec_lo, s2
	s_cbranch_execz .LBB1697_201
; %bb.200:
	s_wait_dscnt 0x1
	v_xor_b32_e32 v4, 0xfffff3ff, v0
                                        ; implicit-def: $vgpr18_vgpr19
	s_delay_alu instid0(VALU_DEP_1) | instskip(NEXT) | instid1(VALU_DEP_1)
	v_ashrrev_i32_e32 v5, 31, v4
	v_add_nc_u64_e32 v[44:45], v[42:43], v[4:5]
.LBB1697_201:
	s_and_not1_saveexec_b32 s2, s2
; %bb.202:
	v_add_nc_u64_e32 v[44:45], v[2:3], v[18:19]
; %bb.203:
	s_or_b32 exec_lo, exec_lo, s2
	s_delay_alu instid0(SALU_CYCLE_1)
	s_or_b32 s0, s0, exec_lo
.LBB1697_204:
	s_or_b32 exec_lo, exec_lo, s1
.LBB1697_205:
	s_and_saveexec_b32 s1, s0
	s_cbranch_execz .LBB1697_207
; %bb.206:
	s_wait_dscnt 0x1
	v_lshl_add_u64 v[4:5], v[44:45], 2, s[16:17]
	s_wait_dscnt 0x0
	global_store_b32 v[4:5], v46, off
.LBB1697_207:
	s_wait_xcnt 0x0
	s_or_b32 exec_lo, exec_lo, s1
	v_cmp_eq_u32_e32 vcc_lo, 0, v0
	s_and_b32 s0, vcc_lo, s22
	s_delay_alu instid0(SALU_CYCLE_1)
	s_and_saveexec_b32 s1, s0
	s_cbranch_execz .LBB1697_209
; %bb.208:
	v_mov_b32_e32 v17, 0
	s_delay_alu instid0(VALU_DEP_1)
	v_add_nc_u64_e32 v[0:1], v[2:3], v[16:17]
	global_store_b64 v17, v[0:1], s[8:9]
.LBB1697_209:
	s_sendmsg sendmsg(MSG_DEALLOC_VGPRS)
	s_endpgm
	.section	.rodata,"a",@progbits
	.p2align	6, 0x0
	.amdhsa_kernel _ZN7rocprim17ROCPRIM_400000_NS6detail17trampoline_kernelINS0_13select_configILj256ELj13ELNS0_17block_load_methodE3ELS4_3ELS4_3ELNS0_20block_scan_algorithmE0ELj4294967295EEENS1_25partition_config_selectorILNS1_17partition_subalgoE3EjNS0_10empty_typeEbEEZZNS1_14partition_implILS8_3ELb0ES6_jNS0_17counting_iteratorIjlEEPS9_SE_NS0_5tupleIJPjSE_EEENSF_IJSE_SE_EEES9_SG_JZNS1_25segmented_radix_sort_implINS0_14default_configELb1EPK6__halfPSL_PKlPlN2at6native12_GLOBAL__N_18offset_tEEE10hipError_tPvRmT1_PNSt15iterator_traitsISZ_E10value_typeET2_T3_PNS10_IS15_E10value_typeET4_jRbjT5_S1B_jjP12ihipStream_tbEUljE_EEESW_SX_SY_S15_S19_S1B_T6_T7_T9_mT8_S1D_bDpT10_ENKUlT_T0_E_clISt17integral_constantIbLb0EES1Q_EEDaS1L_S1M_EUlS1L_E_NS1_11comp_targetILNS1_3genE0ELNS1_11target_archE4294967295ELNS1_3gpuE0ELNS1_3repE0EEENS1_30default_config_static_selectorELNS0_4arch9wavefront6targetE0EEEvSZ_
		.amdhsa_group_segment_fixed_size 13320
		.amdhsa_private_segment_fixed_size 0
		.amdhsa_kernarg_size 144
		.amdhsa_user_sgpr_count 2
		.amdhsa_user_sgpr_dispatch_ptr 0
		.amdhsa_user_sgpr_queue_ptr 0
		.amdhsa_user_sgpr_kernarg_segment_ptr 1
		.amdhsa_user_sgpr_dispatch_id 0
		.amdhsa_user_sgpr_kernarg_preload_length 0
		.amdhsa_user_sgpr_kernarg_preload_offset 0
		.amdhsa_user_sgpr_private_segment_size 0
		.amdhsa_wavefront_size32 1
		.amdhsa_uses_dynamic_stack 0
		.amdhsa_enable_private_segment 0
		.amdhsa_system_sgpr_workgroup_id_x 1
		.amdhsa_system_sgpr_workgroup_id_y 0
		.amdhsa_system_sgpr_workgroup_id_z 0
		.amdhsa_system_sgpr_workgroup_info 0
		.amdhsa_system_vgpr_workitem_id 0
		.amdhsa_next_free_vgpr 69
		.amdhsa_next_free_sgpr 26
		.amdhsa_named_barrier_count 0
		.amdhsa_reserve_vcc 1
		.amdhsa_float_round_mode_32 0
		.amdhsa_float_round_mode_16_64 0
		.amdhsa_float_denorm_mode_32 3
		.amdhsa_float_denorm_mode_16_64 3
		.amdhsa_fp16_overflow 0
		.amdhsa_memory_ordered 1
		.amdhsa_forward_progress 1
		.amdhsa_inst_pref_size 70
		.amdhsa_round_robin_scheduling 0
		.amdhsa_exception_fp_ieee_invalid_op 0
		.amdhsa_exception_fp_denorm_src 0
		.amdhsa_exception_fp_ieee_div_zero 0
		.amdhsa_exception_fp_ieee_overflow 0
		.amdhsa_exception_fp_ieee_underflow 0
		.amdhsa_exception_fp_ieee_inexact 0
		.amdhsa_exception_int_div_zero 0
	.end_amdhsa_kernel
	.section	.text._ZN7rocprim17ROCPRIM_400000_NS6detail17trampoline_kernelINS0_13select_configILj256ELj13ELNS0_17block_load_methodE3ELS4_3ELS4_3ELNS0_20block_scan_algorithmE0ELj4294967295EEENS1_25partition_config_selectorILNS1_17partition_subalgoE3EjNS0_10empty_typeEbEEZZNS1_14partition_implILS8_3ELb0ES6_jNS0_17counting_iteratorIjlEEPS9_SE_NS0_5tupleIJPjSE_EEENSF_IJSE_SE_EEES9_SG_JZNS1_25segmented_radix_sort_implINS0_14default_configELb1EPK6__halfPSL_PKlPlN2at6native12_GLOBAL__N_18offset_tEEE10hipError_tPvRmT1_PNSt15iterator_traitsISZ_E10value_typeET2_T3_PNS10_IS15_E10value_typeET4_jRbjT5_S1B_jjP12ihipStream_tbEUljE_EEESW_SX_SY_S15_S19_S1B_T6_T7_T9_mT8_S1D_bDpT10_ENKUlT_T0_E_clISt17integral_constantIbLb0EES1Q_EEDaS1L_S1M_EUlS1L_E_NS1_11comp_targetILNS1_3genE0ELNS1_11target_archE4294967295ELNS1_3gpuE0ELNS1_3repE0EEENS1_30default_config_static_selectorELNS0_4arch9wavefront6targetE0EEEvSZ_,"axG",@progbits,_ZN7rocprim17ROCPRIM_400000_NS6detail17trampoline_kernelINS0_13select_configILj256ELj13ELNS0_17block_load_methodE3ELS4_3ELS4_3ELNS0_20block_scan_algorithmE0ELj4294967295EEENS1_25partition_config_selectorILNS1_17partition_subalgoE3EjNS0_10empty_typeEbEEZZNS1_14partition_implILS8_3ELb0ES6_jNS0_17counting_iteratorIjlEEPS9_SE_NS0_5tupleIJPjSE_EEENSF_IJSE_SE_EEES9_SG_JZNS1_25segmented_radix_sort_implINS0_14default_configELb1EPK6__halfPSL_PKlPlN2at6native12_GLOBAL__N_18offset_tEEE10hipError_tPvRmT1_PNSt15iterator_traitsISZ_E10value_typeET2_T3_PNS10_IS15_E10value_typeET4_jRbjT5_S1B_jjP12ihipStream_tbEUljE_EEESW_SX_SY_S15_S19_S1B_T6_T7_T9_mT8_S1D_bDpT10_ENKUlT_T0_E_clISt17integral_constantIbLb0EES1Q_EEDaS1L_S1M_EUlS1L_E_NS1_11comp_targetILNS1_3genE0ELNS1_11target_archE4294967295ELNS1_3gpuE0ELNS1_3repE0EEENS1_30default_config_static_selectorELNS0_4arch9wavefront6targetE0EEEvSZ_,comdat
.Lfunc_end1697:
	.size	_ZN7rocprim17ROCPRIM_400000_NS6detail17trampoline_kernelINS0_13select_configILj256ELj13ELNS0_17block_load_methodE3ELS4_3ELS4_3ELNS0_20block_scan_algorithmE0ELj4294967295EEENS1_25partition_config_selectorILNS1_17partition_subalgoE3EjNS0_10empty_typeEbEEZZNS1_14partition_implILS8_3ELb0ES6_jNS0_17counting_iteratorIjlEEPS9_SE_NS0_5tupleIJPjSE_EEENSF_IJSE_SE_EEES9_SG_JZNS1_25segmented_radix_sort_implINS0_14default_configELb1EPK6__halfPSL_PKlPlN2at6native12_GLOBAL__N_18offset_tEEE10hipError_tPvRmT1_PNSt15iterator_traitsISZ_E10value_typeET2_T3_PNS10_IS15_E10value_typeET4_jRbjT5_S1B_jjP12ihipStream_tbEUljE_EEESW_SX_SY_S15_S19_S1B_T6_T7_T9_mT8_S1D_bDpT10_ENKUlT_T0_E_clISt17integral_constantIbLb0EES1Q_EEDaS1L_S1M_EUlS1L_E_NS1_11comp_targetILNS1_3genE0ELNS1_11target_archE4294967295ELNS1_3gpuE0ELNS1_3repE0EEENS1_30default_config_static_selectorELNS0_4arch9wavefront6targetE0EEEvSZ_, .Lfunc_end1697-_ZN7rocprim17ROCPRIM_400000_NS6detail17trampoline_kernelINS0_13select_configILj256ELj13ELNS0_17block_load_methodE3ELS4_3ELS4_3ELNS0_20block_scan_algorithmE0ELj4294967295EEENS1_25partition_config_selectorILNS1_17partition_subalgoE3EjNS0_10empty_typeEbEEZZNS1_14partition_implILS8_3ELb0ES6_jNS0_17counting_iteratorIjlEEPS9_SE_NS0_5tupleIJPjSE_EEENSF_IJSE_SE_EEES9_SG_JZNS1_25segmented_radix_sort_implINS0_14default_configELb1EPK6__halfPSL_PKlPlN2at6native12_GLOBAL__N_18offset_tEEE10hipError_tPvRmT1_PNSt15iterator_traitsISZ_E10value_typeET2_T3_PNS10_IS15_E10value_typeET4_jRbjT5_S1B_jjP12ihipStream_tbEUljE_EEESW_SX_SY_S15_S19_S1B_T6_T7_T9_mT8_S1D_bDpT10_ENKUlT_T0_E_clISt17integral_constantIbLb0EES1Q_EEDaS1L_S1M_EUlS1L_E_NS1_11comp_targetILNS1_3genE0ELNS1_11target_archE4294967295ELNS1_3gpuE0ELNS1_3repE0EEENS1_30default_config_static_selectorELNS0_4arch9wavefront6targetE0EEEvSZ_
                                        ; -- End function
	.set _ZN7rocprim17ROCPRIM_400000_NS6detail17trampoline_kernelINS0_13select_configILj256ELj13ELNS0_17block_load_methodE3ELS4_3ELS4_3ELNS0_20block_scan_algorithmE0ELj4294967295EEENS1_25partition_config_selectorILNS1_17partition_subalgoE3EjNS0_10empty_typeEbEEZZNS1_14partition_implILS8_3ELb0ES6_jNS0_17counting_iteratorIjlEEPS9_SE_NS0_5tupleIJPjSE_EEENSF_IJSE_SE_EEES9_SG_JZNS1_25segmented_radix_sort_implINS0_14default_configELb1EPK6__halfPSL_PKlPlN2at6native12_GLOBAL__N_18offset_tEEE10hipError_tPvRmT1_PNSt15iterator_traitsISZ_E10value_typeET2_T3_PNS10_IS15_E10value_typeET4_jRbjT5_S1B_jjP12ihipStream_tbEUljE_EEESW_SX_SY_S15_S19_S1B_T6_T7_T9_mT8_S1D_bDpT10_ENKUlT_T0_E_clISt17integral_constantIbLb0EES1Q_EEDaS1L_S1M_EUlS1L_E_NS1_11comp_targetILNS1_3genE0ELNS1_11target_archE4294967295ELNS1_3gpuE0ELNS1_3repE0EEENS1_30default_config_static_selectorELNS0_4arch9wavefront6targetE0EEEvSZ_.num_vgpr, 69
	.set _ZN7rocprim17ROCPRIM_400000_NS6detail17trampoline_kernelINS0_13select_configILj256ELj13ELNS0_17block_load_methodE3ELS4_3ELS4_3ELNS0_20block_scan_algorithmE0ELj4294967295EEENS1_25partition_config_selectorILNS1_17partition_subalgoE3EjNS0_10empty_typeEbEEZZNS1_14partition_implILS8_3ELb0ES6_jNS0_17counting_iteratorIjlEEPS9_SE_NS0_5tupleIJPjSE_EEENSF_IJSE_SE_EEES9_SG_JZNS1_25segmented_radix_sort_implINS0_14default_configELb1EPK6__halfPSL_PKlPlN2at6native12_GLOBAL__N_18offset_tEEE10hipError_tPvRmT1_PNSt15iterator_traitsISZ_E10value_typeET2_T3_PNS10_IS15_E10value_typeET4_jRbjT5_S1B_jjP12ihipStream_tbEUljE_EEESW_SX_SY_S15_S19_S1B_T6_T7_T9_mT8_S1D_bDpT10_ENKUlT_T0_E_clISt17integral_constantIbLb0EES1Q_EEDaS1L_S1M_EUlS1L_E_NS1_11comp_targetILNS1_3genE0ELNS1_11target_archE4294967295ELNS1_3gpuE0ELNS1_3repE0EEENS1_30default_config_static_selectorELNS0_4arch9wavefront6targetE0EEEvSZ_.num_agpr, 0
	.set _ZN7rocprim17ROCPRIM_400000_NS6detail17trampoline_kernelINS0_13select_configILj256ELj13ELNS0_17block_load_methodE3ELS4_3ELS4_3ELNS0_20block_scan_algorithmE0ELj4294967295EEENS1_25partition_config_selectorILNS1_17partition_subalgoE3EjNS0_10empty_typeEbEEZZNS1_14partition_implILS8_3ELb0ES6_jNS0_17counting_iteratorIjlEEPS9_SE_NS0_5tupleIJPjSE_EEENSF_IJSE_SE_EEES9_SG_JZNS1_25segmented_radix_sort_implINS0_14default_configELb1EPK6__halfPSL_PKlPlN2at6native12_GLOBAL__N_18offset_tEEE10hipError_tPvRmT1_PNSt15iterator_traitsISZ_E10value_typeET2_T3_PNS10_IS15_E10value_typeET4_jRbjT5_S1B_jjP12ihipStream_tbEUljE_EEESW_SX_SY_S15_S19_S1B_T6_T7_T9_mT8_S1D_bDpT10_ENKUlT_T0_E_clISt17integral_constantIbLb0EES1Q_EEDaS1L_S1M_EUlS1L_E_NS1_11comp_targetILNS1_3genE0ELNS1_11target_archE4294967295ELNS1_3gpuE0ELNS1_3repE0EEENS1_30default_config_static_selectorELNS0_4arch9wavefront6targetE0EEEvSZ_.numbered_sgpr, 26
	.set _ZN7rocprim17ROCPRIM_400000_NS6detail17trampoline_kernelINS0_13select_configILj256ELj13ELNS0_17block_load_methodE3ELS4_3ELS4_3ELNS0_20block_scan_algorithmE0ELj4294967295EEENS1_25partition_config_selectorILNS1_17partition_subalgoE3EjNS0_10empty_typeEbEEZZNS1_14partition_implILS8_3ELb0ES6_jNS0_17counting_iteratorIjlEEPS9_SE_NS0_5tupleIJPjSE_EEENSF_IJSE_SE_EEES9_SG_JZNS1_25segmented_radix_sort_implINS0_14default_configELb1EPK6__halfPSL_PKlPlN2at6native12_GLOBAL__N_18offset_tEEE10hipError_tPvRmT1_PNSt15iterator_traitsISZ_E10value_typeET2_T3_PNS10_IS15_E10value_typeET4_jRbjT5_S1B_jjP12ihipStream_tbEUljE_EEESW_SX_SY_S15_S19_S1B_T6_T7_T9_mT8_S1D_bDpT10_ENKUlT_T0_E_clISt17integral_constantIbLb0EES1Q_EEDaS1L_S1M_EUlS1L_E_NS1_11comp_targetILNS1_3genE0ELNS1_11target_archE4294967295ELNS1_3gpuE0ELNS1_3repE0EEENS1_30default_config_static_selectorELNS0_4arch9wavefront6targetE0EEEvSZ_.num_named_barrier, 0
	.set _ZN7rocprim17ROCPRIM_400000_NS6detail17trampoline_kernelINS0_13select_configILj256ELj13ELNS0_17block_load_methodE3ELS4_3ELS4_3ELNS0_20block_scan_algorithmE0ELj4294967295EEENS1_25partition_config_selectorILNS1_17partition_subalgoE3EjNS0_10empty_typeEbEEZZNS1_14partition_implILS8_3ELb0ES6_jNS0_17counting_iteratorIjlEEPS9_SE_NS0_5tupleIJPjSE_EEENSF_IJSE_SE_EEES9_SG_JZNS1_25segmented_radix_sort_implINS0_14default_configELb1EPK6__halfPSL_PKlPlN2at6native12_GLOBAL__N_18offset_tEEE10hipError_tPvRmT1_PNSt15iterator_traitsISZ_E10value_typeET2_T3_PNS10_IS15_E10value_typeET4_jRbjT5_S1B_jjP12ihipStream_tbEUljE_EEESW_SX_SY_S15_S19_S1B_T6_T7_T9_mT8_S1D_bDpT10_ENKUlT_T0_E_clISt17integral_constantIbLb0EES1Q_EEDaS1L_S1M_EUlS1L_E_NS1_11comp_targetILNS1_3genE0ELNS1_11target_archE4294967295ELNS1_3gpuE0ELNS1_3repE0EEENS1_30default_config_static_selectorELNS0_4arch9wavefront6targetE0EEEvSZ_.private_seg_size, 0
	.set _ZN7rocprim17ROCPRIM_400000_NS6detail17trampoline_kernelINS0_13select_configILj256ELj13ELNS0_17block_load_methodE3ELS4_3ELS4_3ELNS0_20block_scan_algorithmE0ELj4294967295EEENS1_25partition_config_selectorILNS1_17partition_subalgoE3EjNS0_10empty_typeEbEEZZNS1_14partition_implILS8_3ELb0ES6_jNS0_17counting_iteratorIjlEEPS9_SE_NS0_5tupleIJPjSE_EEENSF_IJSE_SE_EEES9_SG_JZNS1_25segmented_radix_sort_implINS0_14default_configELb1EPK6__halfPSL_PKlPlN2at6native12_GLOBAL__N_18offset_tEEE10hipError_tPvRmT1_PNSt15iterator_traitsISZ_E10value_typeET2_T3_PNS10_IS15_E10value_typeET4_jRbjT5_S1B_jjP12ihipStream_tbEUljE_EEESW_SX_SY_S15_S19_S1B_T6_T7_T9_mT8_S1D_bDpT10_ENKUlT_T0_E_clISt17integral_constantIbLb0EES1Q_EEDaS1L_S1M_EUlS1L_E_NS1_11comp_targetILNS1_3genE0ELNS1_11target_archE4294967295ELNS1_3gpuE0ELNS1_3repE0EEENS1_30default_config_static_selectorELNS0_4arch9wavefront6targetE0EEEvSZ_.uses_vcc, 1
	.set _ZN7rocprim17ROCPRIM_400000_NS6detail17trampoline_kernelINS0_13select_configILj256ELj13ELNS0_17block_load_methodE3ELS4_3ELS4_3ELNS0_20block_scan_algorithmE0ELj4294967295EEENS1_25partition_config_selectorILNS1_17partition_subalgoE3EjNS0_10empty_typeEbEEZZNS1_14partition_implILS8_3ELb0ES6_jNS0_17counting_iteratorIjlEEPS9_SE_NS0_5tupleIJPjSE_EEENSF_IJSE_SE_EEES9_SG_JZNS1_25segmented_radix_sort_implINS0_14default_configELb1EPK6__halfPSL_PKlPlN2at6native12_GLOBAL__N_18offset_tEEE10hipError_tPvRmT1_PNSt15iterator_traitsISZ_E10value_typeET2_T3_PNS10_IS15_E10value_typeET4_jRbjT5_S1B_jjP12ihipStream_tbEUljE_EEESW_SX_SY_S15_S19_S1B_T6_T7_T9_mT8_S1D_bDpT10_ENKUlT_T0_E_clISt17integral_constantIbLb0EES1Q_EEDaS1L_S1M_EUlS1L_E_NS1_11comp_targetILNS1_3genE0ELNS1_11target_archE4294967295ELNS1_3gpuE0ELNS1_3repE0EEENS1_30default_config_static_selectorELNS0_4arch9wavefront6targetE0EEEvSZ_.uses_flat_scratch, 0
	.set _ZN7rocprim17ROCPRIM_400000_NS6detail17trampoline_kernelINS0_13select_configILj256ELj13ELNS0_17block_load_methodE3ELS4_3ELS4_3ELNS0_20block_scan_algorithmE0ELj4294967295EEENS1_25partition_config_selectorILNS1_17partition_subalgoE3EjNS0_10empty_typeEbEEZZNS1_14partition_implILS8_3ELb0ES6_jNS0_17counting_iteratorIjlEEPS9_SE_NS0_5tupleIJPjSE_EEENSF_IJSE_SE_EEES9_SG_JZNS1_25segmented_radix_sort_implINS0_14default_configELb1EPK6__halfPSL_PKlPlN2at6native12_GLOBAL__N_18offset_tEEE10hipError_tPvRmT1_PNSt15iterator_traitsISZ_E10value_typeET2_T3_PNS10_IS15_E10value_typeET4_jRbjT5_S1B_jjP12ihipStream_tbEUljE_EEESW_SX_SY_S15_S19_S1B_T6_T7_T9_mT8_S1D_bDpT10_ENKUlT_T0_E_clISt17integral_constantIbLb0EES1Q_EEDaS1L_S1M_EUlS1L_E_NS1_11comp_targetILNS1_3genE0ELNS1_11target_archE4294967295ELNS1_3gpuE0ELNS1_3repE0EEENS1_30default_config_static_selectorELNS0_4arch9wavefront6targetE0EEEvSZ_.has_dyn_sized_stack, 0
	.set _ZN7rocprim17ROCPRIM_400000_NS6detail17trampoline_kernelINS0_13select_configILj256ELj13ELNS0_17block_load_methodE3ELS4_3ELS4_3ELNS0_20block_scan_algorithmE0ELj4294967295EEENS1_25partition_config_selectorILNS1_17partition_subalgoE3EjNS0_10empty_typeEbEEZZNS1_14partition_implILS8_3ELb0ES6_jNS0_17counting_iteratorIjlEEPS9_SE_NS0_5tupleIJPjSE_EEENSF_IJSE_SE_EEES9_SG_JZNS1_25segmented_radix_sort_implINS0_14default_configELb1EPK6__halfPSL_PKlPlN2at6native12_GLOBAL__N_18offset_tEEE10hipError_tPvRmT1_PNSt15iterator_traitsISZ_E10value_typeET2_T3_PNS10_IS15_E10value_typeET4_jRbjT5_S1B_jjP12ihipStream_tbEUljE_EEESW_SX_SY_S15_S19_S1B_T6_T7_T9_mT8_S1D_bDpT10_ENKUlT_T0_E_clISt17integral_constantIbLb0EES1Q_EEDaS1L_S1M_EUlS1L_E_NS1_11comp_targetILNS1_3genE0ELNS1_11target_archE4294967295ELNS1_3gpuE0ELNS1_3repE0EEENS1_30default_config_static_selectorELNS0_4arch9wavefront6targetE0EEEvSZ_.has_recursion, 0
	.set _ZN7rocprim17ROCPRIM_400000_NS6detail17trampoline_kernelINS0_13select_configILj256ELj13ELNS0_17block_load_methodE3ELS4_3ELS4_3ELNS0_20block_scan_algorithmE0ELj4294967295EEENS1_25partition_config_selectorILNS1_17partition_subalgoE3EjNS0_10empty_typeEbEEZZNS1_14partition_implILS8_3ELb0ES6_jNS0_17counting_iteratorIjlEEPS9_SE_NS0_5tupleIJPjSE_EEENSF_IJSE_SE_EEES9_SG_JZNS1_25segmented_radix_sort_implINS0_14default_configELb1EPK6__halfPSL_PKlPlN2at6native12_GLOBAL__N_18offset_tEEE10hipError_tPvRmT1_PNSt15iterator_traitsISZ_E10value_typeET2_T3_PNS10_IS15_E10value_typeET4_jRbjT5_S1B_jjP12ihipStream_tbEUljE_EEESW_SX_SY_S15_S19_S1B_T6_T7_T9_mT8_S1D_bDpT10_ENKUlT_T0_E_clISt17integral_constantIbLb0EES1Q_EEDaS1L_S1M_EUlS1L_E_NS1_11comp_targetILNS1_3genE0ELNS1_11target_archE4294967295ELNS1_3gpuE0ELNS1_3repE0EEENS1_30default_config_static_selectorELNS0_4arch9wavefront6targetE0EEEvSZ_.has_indirect_call, 0
	.section	.AMDGPU.csdata,"",@progbits
; Kernel info:
; codeLenInByte = 8920
; TotalNumSgprs: 28
; NumVgprs: 69
; ScratchSize: 0
; MemoryBound: 0
; FloatMode: 240
; IeeeMode: 1
; LDSByteSize: 13320 bytes/workgroup (compile time only)
; SGPRBlocks: 0
; VGPRBlocks: 4
; NumSGPRsForWavesPerEU: 28
; NumVGPRsForWavesPerEU: 69
; NamedBarCnt: 0
; Occupancy: 12
; WaveLimiterHint : 0
; COMPUTE_PGM_RSRC2:SCRATCH_EN: 0
; COMPUTE_PGM_RSRC2:USER_SGPR: 2
; COMPUTE_PGM_RSRC2:TRAP_HANDLER: 0
; COMPUTE_PGM_RSRC2:TGID_X_EN: 1
; COMPUTE_PGM_RSRC2:TGID_Y_EN: 0
; COMPUTE_PGM_RSRC2:TGID_Z_EN: 0
; COMPUTE_PGM_RSRC2:TIDIG_COMP_CNT: 0
	.section	.text._ZN7rocprim17ROCPRIM_400000_NS6detail17trampoline_kernelINS0_13select_configILj256ELj13ELNS0_17block_load_methodE3ELS4_3ELS4_3ELNS0_20block_scan_algorithmE0ELj4294967295EEENS1_25partition_config_selectorILNS1_17partition_subalgoE3EjNS0_10empty_typeEbEEZZNS1_14partition_implILS8_3ELb0ES6_jNS0_17counting_iteratorIjlEEPS9_SE_NS0_5tupleIJPjSE_EEENSF_IJSE_SE_EEES9_SG_JZNS1_25segmented_radix_sort_implINS0_14default_configELb1EPK6__halfPSL_PKlPlN2at6native12_GLOBAL__N_18offset_tEEE10hipError_tPvRmT1_PNSt15iterator_traitsISZ_E10value_typeET2_T3_PNS10_IS15_E10value_typeET4_jRbjT5_S1B_jjP12ihipStream_tbEUljE_EEESW_SX_SY_S15_S19_S1B_T6_T7_T9_mT8_S1D_bDpT10_ENKUlT_T0_E_clISt17integral_constantIbLb0EES1Q_EEDaS1L_S1M_EUlS1L_E_NS1_11comp_targetILNS1_3genE5ELNS1_11target_archE942ELNS1_3gpuE9ELNS1_3repE0EEENS1_30default_config_static_selectorELNS0_4arch9wavefront6targetE0EEEvSZ_,"axG",@progbits,_ZN7rocprim17ROCPRIM_400000_NS6detail17trampoline_kernelINS0_13select_configILj256ELj13ELNS0_17block_load_methodE3ELS4_3ELS4_3ELNS0_20block_scan_algorithmE0ELj4294967295EEENS1_25partition_config_selectorILNS1_17partition_subalgoE3EjNS0_10empty_typeEbEEZZNS1_14partition_implILS8_3ELb0ES6_jNS0_17counting_iteratorIjlEEPS9_SE_NS0_5tupleIJPjSE_EEENSF_IJSE_SE_EEES9_SG_JZNS1_25segmented_radix_sort_implINS0_14default_configELb1EPK6__halfPSL_PKlPlN2at6native12_GLOBAL__N_18offset_tEEE10hipError_tPvRmT1_PNSt15iterator_traitsISZ_E10value_typeET2_T3_PNS10_IS15_E10value_typeET4_jRbjT5_S1B_jjP12ihipStream_tbEUljE_EEESW_SX_SY_S15_S19_S1B_T6_T7_T9_mT8_S1D_bDpT10_ENKUlT_T0_E_clISt17integral_constantIbLb0EES1Q_EEDaS1L_S1M_EUlS1L_E_NS1_11comp_targetILNS1_3genE5ELNS1_11target_archE942ELNS1_3gpuE9ELNS1_3repE0EEENS1_30default_config_static_selectorELNS0_4arch9wavefront6targetE0EEEvSZ_,comdat
	.globl	_ZN7rocprim17ROCPRIM_400000_NS6detail17trampoline_kernelINS0_13select_configILj256ELj13ELNS0_17block_load_methodE3ELS4_3ELS4_3ELNS0_20block_scan_algorithmE0ELj4294967295EEENS1_25partition_config_selectorILNS1_17partition_subalgoE3EjNS0_10empty_typeEbEEZZNS1_14partition_implILS8_3ELb0ES6_jNS0_17counting_iteratorIjlEEPS9_SE_NS0_5tupleIJPjSE_EEENSF_IJSE_SE_EEES9_SG_JZNS1_25segmented_radix_sort_implINS0_14default_configELb1EPK6__halfPSL_PKlPlN2at6native12_GLOBAL__N_18offset_tEEE10hipError_tPvRmT1_PNSt15iterator_traitsISZ_E10value_typeET2_T3_PNS10_IS15_E10value_typeET4_jRbjT5_S1B_jjP12ihipStream_tbEUljE_EEESW_SX_SY_S15_S19_S1B_T6_T7_T9_mT8_S1D_bDpT10_ENKUlT_T0_E_clISt17integral_constantIbLb0EES1Q_EEDaS1L_S1M_EUlS1L_E_NS1_11comp_targetILNS1_3genE5ELNS1_11target_archE942ELNS1_3gpuE9ELNS1_3repE0EEENS1_30default_config_static_selectorELNS0_4arch9wavefront6targetE0EEEvSZ_ ; -- Begin function _ZN7rocprim17ROCPRIM_400000_NS6detail17trampoline_kernelINS0_13select_configILj256ELj13ELNS0_17block_load_methodE3ELS4_3ELS4_3ELNS0_20block_scan_algorithmE0ELj4294967295EEENS1_25partition_config_selectorILNS1_17partition_subalgoE3EjNS0_10empty_typeEbEEZZNS1_14partition_implILS8_3ELb0ES6_jNS0_17counting_iteratorIjlEEPS9_SE_NS0_5tupleIJPjSE_EEENSF_IJSE_SE_EEES9_SG_JZNS1_25segmented_radix_sort_implINS0_14default_configELb1EPK6__halfPSL_PKlPlN2at6native12_GLOBAL__N_18offset_tEEE10hipError_tPvRmT1_PNSt15iterator_traitsISZ_E10value_typeET2_T3_PNS10_IS15_E10value_typeET4_jRbjT5_S1B_jjP12ihipStream_tbEUljE_EEESW_SX_SY_S15_S19_S1B_T6_T7_T9_mT8_S1D_bDpT10_ENKUlT_T0_E_clISt17integral_constantIbLb0EES1Q_EEDaS1L_S1M_EUlS1L_E_NS1_11comp_targetILNS1_3genE5ELNS1_11target_archE942ELNS1_3gpuE9ELNS1_3repE0EEENS1_30default_config_static_selectorELNS0_4arch9wavefront6targetE0EEEvSZ_
	.p2align	8
	.type	_ZN7rocprim17ROCPRIM_400000_NS6detail17trampoline_kernelINS0_13select_configILj256ELj13ELNS0_17block_load_methodE3ELS4_3ELS4_3ELNS0_20block_scan_algorithmE0ELj4294967295EEENS1_25partition_config_selectorILNS1_17partition_subalgoE3EjNS0_10empty_typeEbEEZZNS1_14partition_implILS8_3ELb0ES6_jNS0_17counting_iteratorIjlEEPS9_SE_NS0_5tupleIJPjSE_EEENSF_IJSE_SE_EEES9_SG_JZNS1_25segmented_radix_sort_implINS0_14default_configELb1EPK6__halfPSL_PKlPlN2at6native12_GLOBAL__N_18offset_tEEE10hipError_tPvRmT1_PNSt15iterator_traitsISZ_E10value_typeET2_T3_PNS10_IS15_E10value_typeET4_jRbjT5_S1B_jjP12ihipStream_tbEUljE_EEESW_SX_SY_S15_S19_S1B_T6_T7_T9_mT8_S1D_bDpT10_ENKUlT_T0_E_clISt17integral_constantIbLb0EES1Q_EEDaS1L_S1M_EUlS1L_E_NS1_11comp_targetILNS1_3genE5ELNS1_11target_archE942ELNS1_3gpuE9ELNS1_3repE0EEENS1_30default_config_static_selectorELNS0_4arch9wavefront6targetE0EEEvSZ_,@function
_ZN7rocprim17ROCPRIM_400000_NS6detail17trampoline_kernelINS0_13select_configILj256ELj13ELNS0_17block_load_methodE3ELS4_3ELS4_3ELNS0_20block_scan_algorithmE0ELj4294967295EEENS1_25partition_config_selectorILNS1_17partition_subalgoE3EjNS0_10empty_typeEbEEZZNS1_14partition_implILS8_3ELb0ES6_jNS0_17counting_iteratorIjlEEPS9_SE_NS0_5tupleIJPjSE_EEENSF_IJSE_SE_EEES9_SG_JZNS1_25segmented_radix_sort_implINS0_14default_configELb1EPK6__halfPSL_PKlPlN2at6native12_GLOBAL__N_18offset_tEEE10hipError_tPvRmT1_PNSt15iterator_traitsISZ_E10value_typeET2_T3_PNS10_IS15_E10value_typeET4_jRbjT5_S1B_jjP12ihipStream_tbEUljE_EEESW_SX_SY_S15_S19_S1B_T6_T7_T9_mT8_S1D_bDpT10_ENKUlT_T0_E_clISt17integral_constantIbLb0EES1Q_EEDaS1L_S1M_EUlS1L_E_NS1_11comp_targetILNS1_3genE5ELNS1_11target_archE942ELNS1_3gpuE9ELNS1_3repE0EEENS1_30default_config_static_selectorELNS0_4arch9wavefront6targetE0EEEvSZ_: ; @_ZN7rocprim17ROCPRIM_400000_NS6detail17trampoline_kernelINS0_13select_configILj256ELj13ELNS0_17block_load_methodE3ELS4_3ELS4_3ELNS0_20block_scan_algorithmE0ELj4294967295EEENS1_25partition_config_selectorILNS1_17partition_subalgoE3EjNS0_10empty_typeEbEEZZNS1_14partition_implILS8_3ELb0ES6_jNS0_17counting_iteratorIjlEEPS9_SE_NS0_5tupleIJPjSE_EEENSF_IJSE_SE_EEES9_SG_JZNS1_25segmented_radix_sort_implINS0_14default_configELb1EPK6__halfPSL_PKlPlN2at6native12_GLOBAL__N_18offset_tEEE10hipError_tPvRmT1_PNSt15iterator_traitsISZ_E10value_typeET2_T3_PNS10_IS15_E10value_typeET4_jRbjT5_S1B_jjP12ihipStream_tbEUljE_EEESW_SX_SY_S15_S19_S1B_T6_T7_T9_mT8_S1D_bDpT10_ENKUlT_T0_E_clISt17integral_constantIbLb0EES1Q_EEDaS1L_S1M_EUlS1L_E_NS1_11comp_targetILNS1_3genE5ELNS1_11target_archE942ELNS1_3gpuE9ELNS1_3repE0EEENS1_30default_config_static_selectorELNS0_4arch9wavefront6targetE0EEEvSZ_
; %bb.0:
	.section	.rodata,"a",@progbits
	.p2align	6, 0x0
	.amdhsa_kernel _ZN7rocprim17ROCPRIM_400000_NS6detail17trampoline_kernelINS0_13select_configILj256ELj13ELNS0_17block_load_methodE3ELS4_3ELS4_3ELNS0_20block_scan_algorithmE0ELj4294967295EEENS1_25partition_config_selectorILNS1_17partition_subalgoE3EjNS0_10empty_typeEbEEZZNS1_14partition_implILS8_3ELb0ES6_jNS0_17counting_iteratorIjlEEPS9_SE_NS0_5tupleIJPjSE_EEENSF_IJSE_SE_EEES9_SG_JZNS1_25segmented_radix_sort_implINS0_14default_configELb1EPK6__halfPSL_PKlPlN2at6native12_GLOBAL__N_18offset_tEEE10hipError_tPvRmT1_PNSt15iterator_traitsISZ_E10value_typeET2_T3_PNS10_IS15_E10value_typeET4_jRbjT5_S1B_jjP12ihipStream_tbEUljE_EEESW_SX_SY_S15_S19_S1B_T6_T7_T9_mT8_S1D_bDpT10_ENKUlT_T0_E_clISt17integral_constantIbLb0EES1Q_EEDaS1L_S1M_EUlS1L_E_NS1_11comp_targetILNS1_3genE5ELNS1_11target_archE942ELNS1_3gpuE9ELNS1_3repE0EEENS1_30default_config_static_selectorELNS0_4arch9wavefront6targetE0EEEvSZ_
		.amdhsa_group_segment_fixed_size 0
		.amdhsa_private_segment_fixed_size 0
		.amdhsa_kernarg_size 144
		.amdhsa_user_sgpr_count 2
		.amdhsa_user_sgpr_dispatch_ptr 0
		.amdhsa_user_sgpr_queue_ptr 0
		.amdhsa_user_sgpr_kernarg_segment_ptr 1
		.amdhsa_user_sgpr_dispatch_id 0
		.amdhsa_user_sgpr_kernarg_preload_length 0
		.amdhsa_user_sgpr_kernarg_preload_offset 0
		.amdhsa_user_sgpr_private_segment_size 0
		.amdhsa_wavefront_size32 1
		.amdhsa_uses_dynamic_stack 0
		.amdhsa_enable_private_segment 0
		.amdhsa_system_sgpr_workgroup_id_x 1
		.amdhsa_system_sgpr_workgroup_id_y 0
		.amdhsa_system_sgpr_workgroup_id_z 0
		.amdhsa_system_sgpr_workgroup_info 0
		.amdhsa_system_vgpr_workitem_id 0
		.amdhsa_next_free_vgpr 1
		.amdhsa_next_free_sgpr 1
		.amdhsa_named_barrier_count 0
		.amdhsa_reserve_vcc 0
		.amdhsa_float_round_mode_32 0
		.amdhsa_float_round_mode_16_64 0
		.amdhsa_float_denorm_mode_32 3
		.amdhsa_float_denorm_mode_16_64 3
		.amdhsa_fp16_overflow 0
		.amdhsa_memory_ordered 1
		.amdhsa_forward_progress 1
		.amdhsa_inst_pref_size 0
		.amdhsa_round_robin_scheduling 0
		.amdhsa_exception_fp_ieee_invalid_op 0
		.amdhsa_exception_fp_denorm_src 0
		.amdhsa_exception_fp_ieee_div_zero 0
		.amdhsa_exception_fp_ieee_overflow 0
		.amdhsa_exception_fp_ieee_underflow 0
		.amdhsa_exception_fp_ieee_inexact 0
		.amdhsa_exception_int_div_zero 0
	.end_amdhsa_kernel
	.section	.text._ZN7rocprim17ROCPRIM_400000_NS6detail17trampoline_kernelINS0_13select_configILj256ELj13ELNS0_17block_load_methodE3ELS4_3ELS4_3ELNS0_20block_scan_algorithmE0ELj4294967295EEENS1_25partition_config_selectorILNS1_17partition_subalgoE3EjNS0_10empty_typeEbEEZZNS1_14partition_implILS8_3ELb0ES6_jNS0_17counting_iteratorIjlEEPS9_SE_NS0_5tupleIJPjSE_EEENSF_IJSE_SE_EEES9_SG_JZNS1_25segmented_radix_sort_implINS0_14default_configELb1EPK6__halfPSL_PKlPlN2at6native12_GLOBAL__N_18offset_tEEE10hipError_tPvRmT1_PNSt15iterator_traitsISZ_E10value_typeET2_T3_PNS10_IS15_E10value_typeET4_jRbjT5_S1B_jjP12ihipStream_tbEUljE_EEESW_SX_SY_S15_S19_S1B_T6_T7_T9_mT8_S1D_bDpT10_ENKUlT_T0_E_clISt17integral_constantIbLb0EES1Q_EEDaS1L_S1M_EUlS1L_E_NS1_11comp_targetILNS1_3genE5ELNS1_11target_archE942ELNS1_3gpuE9ELNS1_3repE0EEENS1_30default_config_static_selectorELNS0_4arch9wavefront6targetE0EEEvSZ_,"axG",@progbits,_ZN7rocprim17ROCPRIM_400000_NS6detail17trampoline_kernelINS0_13select_configILj256ELj13ELNS0_17block_load_methodE3ELS4_3ELS4_3ELNS0_20block_scan_algorithmE0ELj4294967295EEENS1_25partition_config_selectorILNS1_17partition_subalgoE3EjNS0_10empty_typeEbEEZZNS1_14partition_implILS8_3ELb0ES6_jNS0_17counting_iteratorIjlEEPS9_SE_NS0_5tupleIJPjSE_EEENSF_IJSE_SE_EEES9_SG_JZNS1_25segmented_radix_sort_implINS0_14default_configELb1EPK6__halfPSL_PKlPlN2at6native12_GLOBAL__N_18offset_tEEE10hipError_tPvRmT1_PNSt15iterator_traitsISZ_E10value_typeET2_T3_PNS10_IS15_E10value_typeET4_jRbjT5_S1B_jjP12ihipStream_tbEUljE_EEESW_SX_SY_S15_S19_S1B_T6_T7_T9_mT8_S1D_bDpT10_ENKUlT_T0_E_clISt17integral_constantIbLb0EES1Q_EEDaS1L_S1M_EUlS1L_E_NS1_11comp_targetILNS1_3genE5ELNS1_11target_archE942ELNS1_3gpuE9ELNS1_3repE0EEENS1_30default_config_static_selectorELNS0_4arch9wavefront6targetE0EEEvSZ_,comdat
.Lfunc_end1698:
	.size	_ZN7rocprim17ROCPRIM_400000_NS6detail17trampoline_kernelINS0_13select_configILj256ELj13ELNS0_17block_load_methodE3ELS4_3ELS4_3ELNS0_20block_scan_algorithmE0ELj4294967295EEENS1_25partition_config_selectorILNS1_17partition_subalgoE3EjNS0_10empty_typeEbEEZZNS1_14partition_implILS8_3ELb0ES6_jNS0_17counting_iteratorIjlEEPS9_SE_NS0_5tupleIJPjSE_EEENSF_IJSE_SE_EEES9_SG_JZNS1_25segmented_radix_sort_implINS0_14default_configELb1EPK6__halfPSL_PKlPlN2at6native12_GLOBAL__N_18offset_tEEE10hipError_tPvRmT1_PNSt15iterator_traitsISZ_E10value_typeET2_T3_PNS10_IS15_E10value_typeET4_jRbjT5_S1B_jjP12ihipStream_tbEUljE_EEESW_SX_SY_S15_S19_S1B_T6_T7_T9_mT8_S1D_bDpT10_ENKUlT_T0_E_clISt17integral_constantIbLb0EES1Q_EEDaS1L_S1M_EUlS1L_E_NS1_11comp_targetILNS1_3genE5ELNS1_11target_archE942ELNS1_3gpuE9ELNS1_3repE0EEENS1_30default_config_static_selectorELNS0_4arch9wavefront6targetE0EEEvSZ_, .Lfunc_end1698-_ZN7rocprim17ROCPRIM_400000_NS6detail17trampoline_kernelINS0_13select_configILj256ELj13ELNS0_17block_load_methodE3ELS4_3ELS4_3ELNS0_20block_scan_algorithmE0ELj4294967295EEENS1_25partition_config_selectorILNS1_17partition_subalgoE3EjNS0_10empty_typeEbEEZZNS1_14partition_implILS8_3ELb0ES6_jNS0_17counting_iteratorIjlEEPS9_SE_NS0_5tupleIJPjSE_EEENSF_IJSE_SE_EEES9_SG_JZNS1_25segmented_radix_sort_implINS0_14default_configELb1EPK6__halfPSL_PKlPlN2at6native12_GLOBAL__N_18offset_tEEE10hipError_tPvRmT1_PNSt15iterator_traitsISZ_E10value_typeET2_T3_PNS10_IS15_E10value_typeET4_jRbjT5_S1B_jjP12ihipStream_tbEUljE_EEESW_SX_SY_S15_S19_S1B_T6_T7_T9_mT8_S1D_bDpT10_ENKUlT_T0_E_clISt17integral_constantIbLb0EES1Q_EEDaS1L_S1M_EUlS1L_E_NS1_11comp_targetILNS1_3genE5ELNS1_11target_archE942ELNS1_3gpuE9ELNS1_3repE0EEENS1_30default_config_static_selectorELNS0_4arch9wavefront6targetE0EEEvSZ_
                                        ; -- End function
	.set _ZN7rocprim17ROCPRIM_400000_NS6detail17trampoline_kernelINS0_13select_configILj256ELj13ELNS0_17block_load_methodE3ELS4_3ELS4_3ELNS0_20block_scan_algorithmE0ELj4294967295EEENS1_25partition_config_selectorILNS1_17partition_subalgoE3EjNS0_10empty_typeEbEEZZNS1_14partition_implILS8_3ELb0ES6_jNS0_17counting_iteratorIjlEEPS9_SE_NS0_5tupleIJPjSE_EEENSF_IJSE_SE_EEES9_SG_JZNS1_25segmented_radix_sort_implINS0_14default_configELb1EPK6__halfPSL_PKlPlN2at6native12_GLOBAL__N_18offset_tEEE10hipError_tPvRmT1_PNSt15iterator_traitsISZ_E10value_typeET2_T3_PNS10_IS15_E10value_typeET4_jRbjT5_S1B_jjP12ihipStream_tbEUljE_EEESW_SX_SY_S15_S19_S1B_T6_T7_T9_mT8_S1D_bDpT10_ENKUlT_T0_E_clISt17integral_constantIbLb0EES1Q_EEDaS1L_S1M_EUlS1L_E_NS1_11comp_targetILNS1_3genE5ELNS1_11target_archE942ELNS1_3gpuE9ELNS1_3repE0EEENS1_30default_config_static_selectorELNS0_4arch9wavefront6targetE0EEEvSZ_.num_vgpr, 0
	.set _ZN7rocprim17ROCPRIM_400000_NS6detail17trampoline_kernelINS0_13select_configILj256ELj13ELNS0_17block_load_methodE3ELS4_3ELS4_3ELNS0_20block_scan_algorithmE0ELj4294967295EEENS1_25partition_config_selectorILNS1_17partition_subalgoE3EjNS0_10empty_typeEbEEZZNS1_14partition_implILS8_3ELb0ES6_jNS0_17counting_iteratorIjlEEPS9_SE_NS0_5tupleIJPjSE_EEENSF_IJSE_SE_EEES9_SG_JZNS1_25segmented_radix_sort_implINS0_14default_configELb1EPK6__halfPSL_PKlPlN2at6native12_GLOBAL__N_18offset_tEEE10hipError_tPvRmT1_PNSt15iterator_traitsISZ_E10value_typeET2_T3_PNS10_IS15_E10value_typeET4_jRbjT5_S1B_jjP12ihipStream_tbEUljE_EEESW_SX_SY_S15_S19_S1B_T6_T7_T9_mT8_S1D_bDpT10_ENKUlT_T0_E_clISt17integral_constantIbLb0EES1Q_EEDaS1L_S1M_EUlS1L_E_NS1_11comp_targetILNS1_3genE5ELNS1_11target_archE942ELNS1_3gpuE9ELNS1_3repE0EEENS1_30default_config_static_selectorELNS0_4arch9wavefront6targetE0EEEvSZ_.num_agpr, 0
	.set _ZN7rocprim17ROCPRIM_400000_NS6detail17trampoline_kernelINS0_13select_configILj256ELj13ELNS0_17block_load_methodE3ELS4_3ELS4_3ELNS0_20block_scan_algorithmE0ELj4294967295EEENS1_25partition_config_selectorILNS1_17partition_subalgoE3EjNS0_10empty_typeEbEEZZNS1_14partition_implILS8_3ELb0ES6_jNS0_17counting_iteratorIjlEEPS9_SE_NS0_5tupleIJPjSE_EEENSF_IJSE_SE_EEES9_SG_JZNS1_25segmented_radix_sort_implINS0_14default_configELb1EPK6__halfPSL_PKlPlN2at6native12_GLOBAL__N_18offset_tEEE10hipError_tPvRmT1_PNSt15iterator_traitsISZ_E10value_typeET2_T3_PNS10_IS15_E10value_typeET4_jRbjT5_S1B_jjP12ihipStream_tbEUljE_EEESW_SX_SY_S15_S19_S1B_T6_T7_T9_mT8_S1D_bDpT10_ENKUlT_T0_E_clISt17integral_constantIbLb0EES1Q_EEDaS1L_S1M_EUlS1L_E_NS1_11comp_targetILNS1_3genE5ELNS1_11target_archE942ELNS1_3gpuE9ELNS1_3repE0EEENS1_30default_config_static_selectorELNS0_4arch9wavefront6targetE0EEEvSZ_.numbered_sgpr, 0
	.set _ZN7rocprim17ROCPRIM_400000_NS6detail17trampoline_kernelINS0_13select_configILj256ELj13ELNS0_17block_load_methodE3ELS4_3ELS4_3ELNS0_20block_scan_algorithmE0ELj4294967295EEENS1_25partition_config_selectorILNS1_17partition_subalgoE3EjNS0_10empty_typeEbEEZZNS1_14partition_implILS8_3ELb0ES6_jNS0_17counting_iteratorIjlEEPS9_SE_NS0_5tupleIJPjSE_EEENSF_IJSE_SE_EEES9_SG_JZNS1_25segmented_radix_sort_implINS0_14default_configELb1EPK6__halfPSL_PKlPlN2at6native12_GLOBAL__N_18offset_tEEE10hipError_tPvRmT1_PNSt15iterator_traitsISZ_E10value_typeET2_T3_PNS10_IS15_E10value_typeET4_jRbjT5_S1B_jjP12ihipStream_tbEUljE_EEESW_SX_SY_S15_S19_S1B_T6_T7_T9_mT8_S1D_bDpT10_ENKUlT_T0_E_clISt17integral_constantIbLb0EES1Q_EEDaS1L_S1M_EUlS1L_E_NS1_11comp_targetILNS1_3genE5ELNS1_11target_archE942ELNS1_3gpuE9ELNS1_3repE0EEENS1_30default_config_static_selectorELNS0_4arch9wavefront6targetE0EEEvSZ_.num_named_barrier, 0
	.set _ZN7rocprim17ROCPRIM_400000_NS6detail17trampoline_kernelINS0_13select_configILj256ELj13ELNS0_17block_load_methodE3ELS4_3ELS4_3ELNS0_20block_scan_algorithmE0ELj4294967295EEENS1_25partition_config_selectorILNS1_17partition_subalgoE3EjNS0_10empty_typeEbEEZZNS1_14partition_implILS8_3ELb0ES6_jNS0_17counting_iteratorIjlEEPS9_SE_NS0_5tupleIJPjSE_EEENSF_IJSE_SE_EEES9_SG_JZNS1_25segmented_radix_sort_implINS0_14default_configELb1EPK6__halfPSL_PKlPlN2at6native12_GLOBAL__N_18offset_tEEE10hipError_tPvRmT1_PNSt15iterator_traitsISZ_E10value_typeET2_T3_PNS10_IS15_E10value_typeET4_jRbjT5_S1B_jjP12ihipStream_tbEUljE_EEESW_SX_SY_S15_S19_S1B_T6_T7_T9_mT8_S1D_bDpT10_ENKUlT_T0_E_clISt17integral_constantIbLb0EES1Q_EEDaS1L_S1M_EUlS1L_E_NS1_11comp_targetILNS1_3genE5ELNS1_11target_archE942ELNS1_3gpuE9ELNS1_3repE0EEENS1_30default_config_static_selectorELNS0_4arch9wavefront6targetE0EEEvSZ_.private_seg_size, 0
	.set _ZN7rocprim17ROCPRIM_400000_NS6detail17trampoline_kernelINS0_13select_configILj256ELj13ELNS0_17block_load_methodE3ELS4_3ELS4_3ELNS0_20block_scan_algorithmE0ELj4294967295EEENS1_25partition_config_selectorILNS1_17partition_subalgoE3EjNS0_10empty_typeEbEEZZNS1_14partition_implILS8_3ELb0ES6_jNS0_17counting_iteratorIjlEEPS9_SE_NS0_5tupleIJPjSE_EEENSF_IJSE_SE_EEES9_SG_JZNS1_25segmented_radix_sort_implINS0_14default_configELb1EPK6__halfPSL_PKlPlN2at6native12_GLOBAL__N_18offset_tEEE10hipError_tPvRmT1_PNSt15iterator_traitsISZ_E10value_typeET2_T3_PNS10_IS15_E10value_typeET4_jRbjT5_S1B_jjP12ihipStream_tbEUljE_EEESW_SX_SY_S15_S19_S1B_T6_T7_T9_mT8_S1D_bDpT10_ENKUlT_T0_E_clISt17integral_constantIbLb0EES1Q_EEDaS1L_S1M_EUlS1L_E_NS1_11comp_targetILNS1_3genE5ELNS1_11target_archE942ELNS1_3gpuE9ELNS1_3repE0EEENS1_30default_config_static_selectorELNS0_4arch9wavefront6targetE0EEEvSZ_.uses_vcc, 0
	.set _ZN7rocprim17ROCPRIM_400000_NS6detail17trampoline_kernelINS0_13select_configILj256ELj13ELNS0_17block_load_methodE3ELS4_3ELS4_3ELNS0_20block_scan_algorithmE0ELj4294967295EEENS1_25partition_config_selectorILNS1_17partition_subalgoE3EjNS0_10empty_typeEbEEZZNS1_14partition_implILS8_3ELb0ES6_jNS0_17counting_iteratorIjlEEPS9_SE_NS0_5tupleIJPjSE_EEENSF_IJSE_SE_EEES9_SG_JZNS1_25segmented_radix_sort_implINS0_14default_configELb1EPK6__halfPSL_PKlPlN2at6native12_GLOBAL__N_18offset_tEEE10hipError_tPvRmT1_PNSt15iterator_traitsISZ_E10value_typeET2_T3_PNS10_IS15_E10value_typeET4_jRbjT5_S1B_jjP12ihipStream_tbEUljE_EEESW_SX_SY_S15_S19_S1B_T6_T7_T9_mT8_S1D_bDpT10_ENKUlT_T0_E_clISt17integral_constantIbLb0EES1Q_EEDaS1L_S1M_EUlS1L_E_NS1_11comp_targetILNS1_3genE5ELNS1_11target_archE942ELNS1_3gpuE9ELNS1_3repE0EEENS1_30default_config_static_selectorELNS0_4arch9wavefront6targetE0EEEvSZ_.uses_flat_scratch, 0
	.set _ZN7rocprim17ROCPRIM_400000_NS6detail17trampoline_kernelINS0_13select_configILj256ELj13ELNS0_17block_load_methodE3ELS4_3ELS4_3ELNS0_20block_scan_algorithmE0ELj4294967295EEENS1_25partition_config_selectorILNS1_17partition_subalgoE3EjNS0_10empty_typeEbEEZZNS1_14partition_implILS8_3ELb0ES6_jNS0_17counting_iteratorIjlEEPS9_SE_NS0_5tupleIJPjSE_EEENSF_IJSE_SE_EEES9_SG_JZNS1_25segmented_radix_sort_implINS0_14default_configELb1EPK6__halfPSL_PKlPlN2at6native12_GLOBAL__N_18offset_tEEE10hipError_tPvRmT1_PNSt15iterator_traitsISZ_E10value_typeET2_T3_PNS10_IS15_E10value_typeET4_jRbjT5_S1B_jjP12ihipStream_tbEUljE_EEESW_SX_SY_S15_S19_S1B_T6_T7_T9_mT8_S1D_bDpT10_ENKUlT_T0_E_clISt17integral_constantIbLb0EES1Q_EEDaS1L_S1M_EUlS1L_E_NS1_11comp_targetILNS1_3genE5ELNS1_11target_archE942ELNS1_3gpuE9ELNS1_3repE0EEENS1_30default_config_static_selectorELNS0_4arch9wavefront6targetE0EEEvSZ_.has_dyn_sized_stack, 0
	.set _ZN7rocprim17ROCPRIM_400000_NS6detail17trampoline_kernelINS0_13select_configILj256ELj13ELNS0_17block_load_methodE3ELS4_3ELS4_3ELNS0_20block_scan_algorithmE0ELj4294967295EEENS1_25partition_config_selectorILNS1_17partition_subalgoE3EjNS0_10empty_typeEbEEZZNS1_14partition_implILS8_3ELb0ES6_jNS0_17counting_iteratorIjlEEPS9_SE_NS0_5tupleIJPjSE_EEENSF_IJSE_SE_EEES9_SG_JZNS1_25segmented_radix_sort_implINS0_14default_configELb1EPK6__halfPSL_PKlPlN2at6native12_GLOBAL__N_18offset_tEEE10hipError_tPvRmT1_PNSt15iterator_traitsISZ_E10value_typeET2_T3_PNS10_IS15_E10value_typeET4_jRbjT5_S1B_jjP12ihipStream_tbEUljE_EEESW_SX_SY_S15_S19_S1B_T6_T7_T9_mT8_S1D_bDpT10_ENKUlT_T0_E_clISt17integral_constantIbLb0EES1Q_EEDaS1L_S1M_EUlS1L_E_NS1_11comp_targetILNS1_3genE5ELNS1_11target_archE942ELNS1_3gpuE9ELNS1_3repE0EEENS1_30default_config_static_selectorELNS0_4arch9wavefront6targetE0EEEvSZ_.has_recursion, 0
	.set _ZN7rocprim17ROCPRIM_400000_NS6detail17trampoline_kernelINS0_13select_configILj256ELj13ELNS0_17block_load_methodE3ELS4_3ELS4_3ELNS0_20block_scan_algorithmE0ELj4294967295EEENS1_25partition_config_selectorILNS1_17partition_subalgoE3EjNS0_10empty_typeEbEEZZNS1_14partition_implILS8_3ELb0ES6_jNS0_17counting_iteratorIjlEEPS9_SE_NS0_5tupleIJPjSE_EEENSF_IJSE_SE_EEES9_SG_JZNS1_25segmented_radix_sort_implINS0_14default_configELb1EPK6__halfPSL_PKlPlN2at6native12_GLOBAL__N_18offset_tEEE10hipError_tPvRmT1_PNSt15iterator_traitsISZ_E10value_typeET2_T3_PNS10_IS15_E10value_typeET4_jRbjT5_S1B_jjP12ihipStream_tbEUljE_EEESW_SX_SY_S15_S19_S1B_T6_T7_T9_mT8_S1D_bDpT10_ENKUlT_T0_E_clISt17integral_constantIbLb0EES1Q_EEDaS1L_S1M_EUlS1L_E_NS1_11comp_targetILNS1_3genE5ELNS1_11target_archE942ELNS1_3gpuE9ELNS1_3repE0EEENS1_30default_config_static_selectorELNS0_4arch9wavefront6targetE0EEEvSZ_.has_indirect_call, 0
	.section	.AMDGPU.csdata,"",@progbits
; Kernel info:
; codeLenInByte = 0
; TotalNumSgprs: 0
; NumVgprs: 0
; ScratchSize: 0
; MemoryBound: 0
; FloatMode: 240
; IeeeMode: 1
; LDSByteSize: 0 bytes/workgroup (compile time only)
; SGPRBlocks: 0
; VGPRBlocks: 0
; NumSGPRsForWavesPerEU: 1
; NumVGPRsForWavesPerEU: 1
; NamedBarCnt: 0
; Occupancy: 16
; WaveLimiterHint : 0
; COMPUTE_PGM_RSRC2:SCRATCH_EN: 0
; COMPUTE_PGM_RSRC2:USER_SGPR: 2
; COMPUTE_PGM_RSRC2:TRAP_HANDLER: 0
; COMPUTE_PGM_RSRC2:TGID_X_EN: 1
; COMPUTE_PGM_RSRC2:TGID_Y_EN: 0
; COMPUTE_PGM_RSRC2:TGID_Z_EN: 0
; COMPUTE_PGM_RSRC2:TIDIG_COMP_CNT: 0
	.section	.text._ZN7rocprim17ROCPRIM_400000_NS6detail17trampoline_kernelINS0_13select_configILj256ELj13ELNS0_17block_load_methodE3ELS4_3ELS4_3ELNS0_20block_scan_algorithmE0ELj4294967295EEENS1_25partition_config_selectorILNS1_17partition_subalgoE3EjNS0_10empty_typeEbEEZZNS1_14partition_implILS8_3ELb0ES6_jNS0_17counting_iteratorIjlEEPS9_SE_NS0_5tupleIJPjSE_EEENSF_IJSE_SE_EEES9_SG_JZNS1_25segmented_radix_sort_implINS0_14default_configELb1EPK6__halfPSL_PKlPlN2at6native12_GLOBAL__N_18offset_tEEE10hipError_tPvRmT1_PNSt15iterator_traitsISZ_E10value_typeET2_T3_PNS10_IS15_E10value_typeET4_jRbjT5_S1B_jjP12ihipStream_tbEUljE_EEESW_SX_SY_S15_S19_S1B_T6_T7_T9_mT8_S1D_bDpT10_ENKUlT_T0_E_clISt17integral_constantIbLb0EES1Q_EEDaS1L_S1M_EUlS1L_E_NS1_11comp_targetILNS1_3genE4ELNS1_11target_archE910ELNS1_3gpuE8ELNS1_3repE0EEENS1_30default_config_static_selectorELNS0_4arch9wavefront6targetE0EEEvSZ_,"axG",@progbits,_ZN7rocprim17ROCPRIM_400000_NS6detail17trampoline_kernelINS0_13select_configILj256ELj13ELNS0_17block_load_methodE3ELS4_3ELS4_3ELNS0_20block_scan_algorithmE0ELj4294967295EEENS1_25partition_config_selectorILNS1_17partition_subalgoE3EjNS0_10empty_typeEbEEZZNS1_14partition_implILS8_3ELb0ES6_jNS0_17counting_iteratorIjlEEPS9_SE_NS0_5tupleIJPjSE_EEENSF_IJSE_SE_EEES9_SG_JZNS1_25segmented_radix_sort_implINS0_14default_configELb1EPK6__halfPSL_PKlPlN2at6native12_GLOBAL__N_18offset_tEEE10hipError_tPvRmT1_PNSt15iterator_traitsISZ_E10value_typeET2_T3_PNS10_IS15_E10value_typeET4_jRbjT5_S1B_jjP12ihipStream_tbEUljE_EEESW_SX_SY_S15_S19_S1B_T6_T7_T9_mT8_S1D_bDpT10_ENKUlT_T0_E_clISt17integral_constantIbLb0EES1Q_EEDaS1L_S1M_EUlS1L_E_NS1_11comp_targetILNS1_3genE4ELNS1_11target_archE910ELNS1_3gpuE8ELNS1_3repE0EEENS1_30default_config_static_selectorELNS0_4arch9wavefront6targetE0EEEvSZ_,comdat
	.globl	_ZN7rocprim17ROCPRIM_400000_NS6detail17trampoline_kernelINS0_13select_configILj256ELj13ELNS0_17block_load_methodE3ELS4_3ELS4_3ELNS0_20block_scan_algorithmE0ELj4294967295EEENS1_25partition_config_selectorILNS1_17partition_subalgoE3EjNS0_10empty_typeEbEEZZNS1_14partition_implILS8_3ELb0ES6_jNS0_17counting_iteratorIjlEEPS9_SE_NS0_5tupleIJPjSE_EEENSF_IJSE_SE_EEES9_SG_JZNS1_25segmented_radix_sort_implINS0_14default_configELb1EPK6__halfPSL_PKlPlN2at6native12_GLOBAL__N_18offset_tEEE10hipError_tPvRmT1_PNSt15iterator_traitsISZ_E10value_typeET2_T3_PNS10_IS15_E10value_typeET4_jRbjT5_S1B_jjP12ihipStream_tbEUljE_EEESW_SX_SY_S15_S19_S1B_T6_T7_T9_mT8_S1D_bDpT10_ENKUlT_T0_E_clISt17integral_constantIbLb0EES1Q_EEDaS1L_S1M_EUlS1L_E_NS1_11comp_targetILNS1_3genE4ELNS1_11target_archE910ELNS1_3gpuE8ELNS1_3repE0EEENS1_30default_config_static_selectorELNS0_4arch9wavefront6targetE0EEEvSZ_ ; -- Begin function _ZN7rocprim17ROCPRIM_400000_NS6detail17trampoline_kernelINS0_13select_configILj256ELj13ELNS0_17block_load_methodE3ELS4_3ELS4_3ELNS0_20block_scan_algorithmE0ELj4294967295EEENS1_25partition_config_selectorILNS1_17partition_subalgoE3EjNS0_10empty_typeEbEEZZNS1_14partition_implILS8_3ELb0ES6_jNS0_17counting_iteratorIjlEEPS9_SE_NS0_5tupleIJPjSE_EEENSF_IJSE_SE_EEES9_SG_JZNS1_25segmented_radix_sort_implINS0_14default_configELb1EPK6__halfPSL_PKlPlN2at6native12_GLOBAL__N_18offset_tEEE10hipError_tPvRmT1_PNSt15iterator_traitsISZ_E10value_typeET2_T3_PNS10_IS15_E10value_typeET4_jRbjT5_S1B_jjP12ihipStream_tbEUljE_EEESW_SX_SY_S15_S19_S1B_T6_T7_T9_mT8_S1D_bDpT10_ENKUlT_T0_E_clISt17integral_constantIbLb0EES1Q_EEDaS1L_S1M_EUlS1L_E_NS1_11comp_targetILNS1_3genE4ELNS1_11target_archE910ELNS1_3gpuE8ELNS1_3repE0EEENS1_30default_config_static_selectorELNS0_4arch9wavefront6targetE0EEEvSZ_
	.p2align	8
	.type	_ZN7rocprim17ROCPRIM_400000_NS6detail17trampoline_kernelINS0_13select_configILj256ELj13ELNS0_17block_load_methodE3ELS4_3ELS4_3ELNS0_20block_scan_algorithmE0ELj4294967295EEENS1_25partition_config_selectorILNS1_17partition_subalgoE3EjNS0_10empty_typeEbEEZZNS1_14partition_implILS8_3ELb0ES6_jNS0_17counting_iteratorIjlEEPS9_SE_NS0_5tupleIJPjSE_EEENSF_IJSE_SE_EEES9_SG_JZNS1_25segmented_radix_sort_implINS0_14default_configELb1EPK6__halfPSL_PKlPlN2at6native12_GLOBAL__N_18offset_tEEE10hipError_tPvRmT1_PNSt15iterator_traitsISZ_E10value_typeET2_T3_PNS10_IS15_E10value_typeET4_jRbjT5_S1B_jjP12ihipStream_tbEUljE_EEESW_SX_SY_S15_S19_S1B_T6_T7_T9_mT8_S1D_bDpT10_ENKUlT_T0_E_clISt17integral_constantIbLb0EES1Q_EEDaS1L_S1M_EUlS1L_E_NS1_11comp_targetILNS1_3genE4ELNS1_11target_archE910ELNS1_3gpuE8ELNS1_3repE0EEENS1_30default_config_static_selectorELNS0_4arch9wavefront6targetE0EEEvSZ_,@function
_ZN7rocprim17ROCPRIM_400000_NS6detail17trampoline_kernelINS0_13select_configILj256ELj13ELNS0_17block_load_methodE3ELS4_3ELS4_3ELNS0_20block_scan_algorithmE0ELj4294967295EEENS1_25partition_config_selectorILNS1_17partition_subalgoE3EjNS0_10empty_typeEbEEZZNS1_14partition_implILS8_3ELb0ES6_jNS0_17counting_iteratorIjlEEPS9_SE_NS0_5tupleIJPjSE_EEENSF_IJSE_SE_EEES9_SG_JZNS1_25segmented_radix_sort_implINS0_14default_configELb1EPK6__halfPSL_PKlPlN2at6native12_GLOBAL__N_18offset_tEEE10hipError_tPvRmT1_PNSt15iterator_traitsISZ_E10value_typeET2_T3_PNS10_IS15_E10value_typeET4_jRbjT5_S1B_jjP12ihipStream_tbEUljE_EEESW_SX_SY_S15_S19_S1B_T6_T7_T9_mT8_S1D_bDpT10_ENKUlT_T0_E_clISt17integral_constantIbLb0EES1Q_EEDaS1L_S1M_EUlS1L_E_NS1_11comp_targetILNS1_3genE4ELNS1_11target_archE910ELNS1_3gpuE8ELNS1_3repE0EEENS1_30default_config_static_selectorELNS0_4arch9wavefront6targetE0EEEvSZ_: ; @_ZN7rocprim17ROCPRIM_400000_NS6detail17trampoline_kernelINS0_13select_configILj256ELj13ELNS0_17block_load_methodE3ELS4_3ELS4_3ELNS0_20block_scan_algorithmE0ELj4294967295EEENS1_25partition_config_selectorILNS1_17partition_subalgoE3EjNS0_10empty_typeEbEEZZNS1_14partition_implILS8_3ELb0ES6_jNS0_17counting_iteratorIjlEEPS9_SE_NS0_5tupleIJPjSE_EEENSF_IJSE_SE_EEES9_SG_JZNS1_25segmented_radix_sort_implINS0_14default_configELb1EPK6__halfPSL_PKlPlN2at6native12_GLOBAL__N_18offset_tEEE10hipError_tPvRmT1_PNSt15iterator_traitsISZ_E10value_typeET2_T3_PNS10_IS15_E10value_typeET4_jRbjT5_S1B_jjP12ihipStream_tbEUljE_EEESW_SX_SY_S15_S19_S1B_T6_T7_T9_mT8_S1D_bDpT10_ENKUlT_T0_E_clISt17integral_constantIbLb0EES1Q_EEDaS1L_S1M_EUlS1L_E_NS1_11comp_targetILNS1_3genE4ELNS1_11target_archE910ELNS1_3gpuE8ELNS1_3repE0EEENS1_30default_config_static_selectorELNS0_4arch9wavefront6targetE0EEEvSZ_
; %bb.0:
	.section	.rodata,"a",@progbits
	.p2align	6, 0x0
	.amdhsa_kernel _ZN7rocprim17ROCPRIM_400000_NS6detail17trampoline_kernelINS0_13select_configILj256ELj13ELNS0_17block_load_methodE3ELS4_3ELS4_3ELNS0_20block_scan_algorithmE0ELj4294967295EEENS1_25partition_config_selectorILNS1_17partition_subalgoE3EjNS0_10empty_typeEbEEZZNS1_14partition_implILS8_3ELb0ES6_jNS0_17counting_iteratorIjlEEPS9_SE_NS0_5tupleIJPjSE_EEENSF_IJSE_SE_EEES9_SG_JZNS1_25segmented_radix_sort_implINS0_14default_configELb1EPK6__halfPSL_PKlPlN2at6native12_GLOBAL__N_18offset_tEEE10hipError_tPvRmT1_PNSt15iterator_traitsISZ_E10value_typeET2_T3_PNS10_IS15_E10value_typeET4_jRbjT5_S1B_jjP12ihipStream_tbEUljE_EEESW_SX_SY_S15_S19_S1B_T6_T7_T9_mT8_S1D_bDpT10_ENKUlT_T0_E_clISt17integral_constantIbLb0EES1Q_EEDaS1L_S1M_EUlS1L_E_NS1_11comp_targetILNS1_3genE4ELNS1_11target_archE910ELNS1_3gpuE8ELNS1_3repE0EEENS1_30default_config_static_selectorELNS0_4arch9wavefront6targetE0EEEvSZ_
		.amdhsa_group_segment_fixed_size 0
		.amdhsa_private_segment_fixed_size 0
		.amdhsa_kernarg_size 144
		.amdhsa_user_sgpr_count 2
		.amdhsa_user_sgpr_dispatch_ptr 0
		.amdhsa_user_sgpr_queue_ptr 0
		.amdhsa_user_sgpr_kernarg_segment_ptr 1
		.amdhsa_user_sgpr_dispatch_id 0
		.amdhsa_user_sgpr_kernarg_preload_length 0
		.amdhsa_user_sgpr_kernarg_preload_offset 0
		.amdhsa_user_sgpr_private_segment_size 0
		.amdhsa_wavefront_size32 1
		.amdhsa_uses_dynamic_stack 0
		.amdhsa_enable_private_segment 0
		.amdhsa_system_sgpr_workgroup_id_x 1
		.amdhsa_system_sgpr_workgroup_id_y 0
		.amdhsa_system_sgpr_workgroup_id_z 0
		.amdhsa_system_sgpr_workgroup_info 0
		.amdhsa_system_vgpr_workitem_id 0
		.amdhsa_next_free_vgpr 1
		.amdhsa_next_free_sgpr 1
		.amdhsa_named_barrier_count 0
		.amdhsa_reserve_vcc 0
		.amdhsa_float_round_mode_32 0
		.amdhsa_float_round_mode_16_64 0
		.amdhsa_float_denorm_mode_32 3
		.amdhsa_float_denorm_mode_16_64 3
		.amdhsa_fp16_overflow 0
		.amdhsa_memory_ordered 1
		.amdhsa_forward_progress 1
		.amdhsa_inst_pref_size 0
		.amdhsa_round_robin_scheduling 0
		.amdhsa_exception_fp_ieee_invalid_op 0
		.amdhsa_exception_fp_denorm_src 0
		.amdhsa_exception_fp_ieee_div_zero 0
		.amdhsa_exception_fp_ieee_overflow 0
		.amdhsa_exception_fp_ieee_underflow 0
		.amdhsa_exception_fp_ieee_inexact 0
		.amdhsa_exception_int_div_zero 0
	.end_amdhsa_kernel
	.section	.text._ZN7rocprim17ROCPRIM_400000_NS6detail17trampoline_kernelINS0_13select_configILj256ELj13ELNS0_17block_load_methodE3ELS4_3ELS4_3ELNS0_20block_scan_algorithmE0ELj4294967295EEENS1_25partition_config_selectorILNS1_17partition_subalgoE3EjNS0_10empty_typeEbEEZZNS1_14partition_implILS8_3ELb0ES6_jNS0_17counting_iteratorIjlEEPS9_SE_NS0_5tupleIJPjSE_EEENSF_IJSE_SE_EEES9_SG_JZNS1_25segmented_radix_sort_implINS0_14default_configELb1EPK6__halfPSL_PKlPlN2at6native12_GLOBAL__N_18offset_tEEE10hipError_tPvRmT1_PNSt15iterator_traitsISZ_E10value_typeET2_T3_PNS10_IS15_E10value_typeET4_jRbjT5_S1B_jjP12ihipStream_tbEUljE_EEESW_SX_SY_S15_S19_S1B_T6_T7_T9_mT8_S1D_bDpT10_ENKUlT_T0_E_clISt17integral_constantIbLb0EES1Q_EEDaS1L_S1M_EUlS1L_E_NS1_11comp_targetILNS1_3genE4ELNS1_11target_archE910ELNS1_3gpuE8ELNS1_3repE0EEENS1_30default_config_static_selectorELNS0_4arch9wavefront6targetE0EEEvSZ_,"axG",@progbits,_ZN7rocprim17ROCPRIM_400000_NS6detail17trampoline_kernelINS0_13select_configILj256ELj13ELNS0_17block_load_methodE3ELS4_3ELS4_3ELNS0_20block_scan_algorithmE0ELj4294967295EEENS1_25partition_config_selectorILNS1_17partition_subalgoE3EjNS0_10empty_typeEbEEZZNS1_14partition_implILS8_3ELb0ES6_jNS0_17counting_iteratorIjlEEPS9_SE_NS0_5tupleIJPjSE_EEENSF_IJSE_SE_EEES9_SG_JZNS1_25segmented_radix_sort_implINS0_14default_configELb1EPK6__halfPSL_PKlPlN2at6native12_GLOBAL__N_18offset_tEEE10hipError_tPvRmT1_PNSt15iterator_traitsISZ_E10value_typeET2_T3_PNS10_IS15_E10value_typeET4_jRbjT5_S1B_jjP12ihipStream_tbEUljE_EEESW_SX_SY_S15_S19_S1B_T6_T7_T9_mT8_S1D_bDpT10_ENKUlT_T0_E_clISt17integral_constantIbLb0EES1Q_EEDaS1L_S1M_EUlS1L_E_NS1_11comp_targetILNS1_3genE4ELNS1_11target_archE910ELNS1_3gpuE8ELNS1_3repE0EEENS1_30default_config_static_selectorELNS0_4arch9wavefront6targetE0EEEvSZ_,comdat
.Lfunc_end1699:
	.size	_ZN7rocprim17ROCPRIM_400000_NS6detail17trampoline_kernelINS0_13select_configILj256ELj13ELNS0_17block_load_methodE3ELS4_3ELS4_3ELNS0_20block_scan_algorithmE0ELj4294967295EEENS1_25partition_config_selectorILNS1_17partition_subalgoE3EjNS0_10empty_typeEbEEZZNS1_14partition_implILS8_3ELb0ES6_jNS0_17counting_iteratorIjlEEPS9_SE_NS0_5tupleIJPjSE_EEENSF_IJSE_SE_EEES9_SG_JZNS1_25segmented_radix_sort_implINS0_14default_configELb1EPK6__halfPSL_PKlPlN2at6native12_GLOBAL__N_18offset_tEEE10hipError_tPvRmT1_PNSt15iterator_traitsISZ_E10value_typeET2_T3_PNS10_IS15_E10value_typeET4_jRbjT5_S1B_jjP12ihipStream_tbEUljE_EEESW_SX_SY_S15_S19_S1B_T6_T7_T9_mT8_S1D_bDpT10_ENKUlT_T0_E_clISt17integral_constantIbLb0EES1Q_EEDaS1L_S1M_EUlS1L_E_NS1_11comp_targetILNS1_3genE4ELNS1_11target_archE910ELNS1_3gpuE8ELNS1_3repE0EEENS1_30default_config_static_selectorELNS0_4arch9wavefront6targetE0EEEvSZ_, .Lfunc_end1699-_ZN7rocprim17ROCPRIM_400000_NS6detail17trampoline_kernelINS0_13select_configILj256ELj13ELNS0_17block_load_methodE3ELS4_3ELS4_3ELNS0_20block_scan_algorithmE0ELj4294967295EEENS1_25partition_config_selectorILNS1_17partition_subalgoE3EjNS0_10empty_typeEbEEZZNS1_14partition_implILS8_3ELb0ES6_jNS0_17counting_iteratorIjlEEPS9_SE_NS0_5tupleIJPjSE_EEENSF_IJSE_SE_EEES9_SG_JZNS1_25segmented_radix_sort_implINS0_14default_configELb1EPK6__halfPSL_PKlPlN2at6native12_GLOBAL__N_18offset_tEEE10hipError_tPvRmT1_PNSt15iterator_traitsISZ_E10value_typeET2_T3_PNS10_IS15_E10value_typeET4_jRbjT5_S1B_jjP12ihipStream_tbEUljE_EEESW_SX_SY_S15_S19_S1B_T6_T7_T9_mT8_S1D_bDpT10_ENKUlT_T0_E_clISt17integral_constantIbLb0EES1Q_EEDaS1L_S1M_EUlS1L_E_NS1_11comp_targetILNS1_3genE4ELNS1_11target_archE910ELNS1_3gpuE8ELNS1_3repE0EEENS1_30default_config_static_selectorELNS0_4arch9wavefront6targetE0EEEvSZ_
                                        ; -- End function
	.set _ZN7rocprim17ROCPRIM_400000_NS6detail17trampoline_kernelINS0_13select_configILj256ELj13ELNS0_17block_load_methodE3ELS4_3ELS4_3ELNS0_20block_scan_algorithmE0ELj4294967295EEENS1_25partition_config_selectorILNS1_17partition_subalgoE3EjNS0_10empty_typeEbEEZZNS1_14partition_implILS8_3ELb0ES6_jNS0_17counting_iteratorIjlEEPS9_SE_NS0_5tupleIJPjSE_EEENSF_IJSE_SE_EEES9_SG_JZNS1_25segmented_radix_sort_implINS0_14default_configELb1EPK6__halfPSL_PKlPlN2at6native12_GLOBAL__N_18offset_tEEE10hipError_tPvRmT1_PNSt15iterator_traitsISZ_E10value_typeET2_T3_PNS10_IS15_E10value_typeET4_jRbjT5_S1B_jjP12ihipStream_tbEUljE_EEESW_SX_SY_S15_S19_S1B_T6_T7_T9_mT8_S1D_bDpT10_ENKUlT_T0_E_clISt17integral_constantIbLb0EES1Q_EEDaS1L_S1M_EUlS1L_E_NS1_11comp_targetILNS1_3genE4ELNS1_11target_archE910ELNS1_3gpuE8ELNS1_3repE0EEENS1_30default_config_static_selectorELNS0_4arch9wavefront6targetE0EEEvSZ_.num_vgpr, 0
	.set _ZN7rocprim17ROCPRIM_400000_NS6detail17trampoline_kernelINS0_13select_configILj256ELj13ELNS0_17block_load_methodE3ELS4_3ELS4_3ELNS0_20block_scan_algorithmE0ELj4294967295EEENS1_25partition_config_selectorILNS1_17partition_subalgoE3EjNS0_10empty_typeEbEEZZNS1_14partition_implILS8_3ELb0ES6_jNS0_17counting_iteratorIjlEEPS9_SE_NS0_5tupleIJPjSE_EEENSF_IJSE_SE_EEES9_SG_JZNS1_25segmented_radix_sort_implINS0_14default_configELb1EPK6__halfPSL_PKlPlN2at6native12_GLOBAL__N_18offset_tEEE10hipError_tPvRmT1_PNSt15iterator_traitsISZ_E10value_typeET2_T3_PNS10_IS15_E10value_typeET4_jRbjT5_S1B_jjP12ihipStream_tbEUljE_EEESW_SX_SY_S15_S19_S1B_T6_T7_T9_mT8_S1D_bDpT10_ENKUlT_T0_E_clISt17integral_constantIbLb0EES1Q_EEDaS1L_S1M_EUlS1L_E_NS1_11comp_targetILNS1_3genE4ELNS1_11target_archE910ELNS1_3gpuE8ELNS1_3repE0EEENS1_30default_config_static_selectorELNS0_4arch9wavefront6targetE0EEEvSZ_.num_agpr, 0
	.set _ZN7rocprim17ROCPRIM_400000_NS6detail17trampoline_kernelINS0_13select_configILj256ELj13ELNS0_17block_load_methodE3ELS4_3ELS4_3ELNS0_20block_scan_algorithmE0ELj4294967295EEENS1_25partition_config_selectorILNS1_17partition_subalgoE3EjNS0_10empty_typeEbEEZZNS1_14partition_implILS8_3ELb0ES6_jNS0_17counting_iteratorIjlEEPS9_SE_NS0_5tupleIJPjSE_EEENSF_IJSE_SE_EEES9_SG_JZNS1_25segmented_radix_sort_implINS0_14default_configELb1EPK6__halfPSL_PKlPlN2at6native12_GLOBAL__N_18offset_tEEE10hipError_tPvRmT1_PNSt15iterator_traitsISZ_E10value_typeET2_T3_PNS10_IS15_E10value_typeET4_jRbjT5_S1B_jjP12ihipStream_tbEUljE_EEESW_SX_SY_S15_S19_S1B_T6_T7_T9_mT8_S1D_bDpT10_ENKUlT_T0_E_clISt17integral_constantIbLb0EES1Q_EEDaS1L_S1M_EUlS1L_E_NS1_11comp_targetILNS1_3genE4ELNS1_11target_archE910ELNS1_3gpuE8ELNS1_3repE0EEENS1_30default_config_static_selectorELNS0_4arch9wavefront6targetE0EEEvSZ_.numbered_sgpr, 0
	.set _ZN7rocprim17ROCPRIM_400000_NS6detail17trampoline_kernelINS0_13select_configILj256ELj13ELNS0_17block_load_methodE3ELS4_3ELS4_3ELNS0_20block_scan_algorithmE0ELj4294967295EEENS1_25partition_config_selectorILNS1_17partition_subalgoE3EjNS0_10empty_typeEbEEZZNS1_14partition_implILS8_3ELb0ES6_jNS0_17counting_iteratorIjlEEPS9_SE_NS0_5tupleIJPjSE_EEENSF_IJSE_SE_EEES9_SG_JZNS1_25segmented_radix_sort_implINS0_14default_configELb1EPK6__halfPSL_PKlPlN2at6native12_GLOBAL__N_18offset_tEEE10hipError_tPvRmT1_PNSt15iterator_traitsISZ_E10value_typeET2_T3_PNS10_IS15_E10value_typeET4_jRbjT5_S1B_jjP12ihipStream_tbEUljE_EEESW_SX_SY_S15_S19_S1B_T6_T7_T9_mT8_S1D_bDpT10_ENKUlT_T0_E_clISt17integral_constantIbLb0EES1Q_EEDaS1L_S1M_EUlS1L_E_NS1_11comp_targetILNS1_3genE4ELNS1_11target_archE910ELNS1_3gpuE8ELNS1_3repE0EEENS1_30default_config_static_selectorELNS0_4arch9wavefront6targetE0EEEvSZ_.num_named_barrier, 0
	.set _ZN7rocprim17ROCPRIM_400000_NS6detail17trampoline_kernelINS0_13select_configILj256ELj13ELNS0_17block_load_methodE3ELS4_3ELS4_3ELNS0_20block_scan_algorithmE0ELj4294967295EEENS1_25partition_config_selectorILNS1_17partition_subalgoE3EjNS0_10empty_typeEbEEZZNS1_14partition_implILS8_3ELb0ES6_jNS0_17counting_iteratorIjlEEPS9_SE_NS0_5tupleIJPjSE_EEENSF_IJSE_SE_EEES9_SG_JZNS1_25segmented_radix_sort_implINS0_14default_configELb1EPK6__halfPSL_PKlPlN2at6native12_GLOBAL__N_18offset_tEEE10hipError_tPvRmT1_PNSt15iterator_traitsISZ_E10value_typeET2_T3_PNS10_IS15_E10value_typeET4_jRbjT5_S1B_jjP12ihipStream_tbEUljE_EEESW_SX_SY_S15_S19_S1B_T6_T7_T9_mT8_S1D_bDpT10_ENKUlT_T0_E_clISt17integral_constantIbLb0EES1Q_EEDaS1L_S1M_EUlS1L_E_NS1_11comp_targetILNS1_3genE4ELNS1_11target_archE910ELNS1_3gpuE8ELNS1_3repE0EEENS1_30default_config_static_selectorELNS0_4arch9wavefront6targetE0EEEvSZ_.private_seg_size, 0
	.set _ZN7rocprim17ROCPRIM_400000_NS6detail17trampoline_kernelINS0_13select_configILj256ELj13ELNS0_17block_load_methodE3ELS4_3ELS4_3ELNS0_20block_scan_algorithmE0ELj4294967295EEENS1_25partition_config_selectorILNS1_17partition_subalgoE3EjNS0_10empty_typeEbEEZZNS1_14partition_implILS8_3ELb0ES6_jNS0_17counting_iteratorIjlEEPS9_SE_NS0_5tupleIJPjSE_EEENSF_IJSE_SE_EEES9_SG_JZNS1_25segmented_radix_sort_implINS0_14default_configELb1EPK6__halfPSL_PKlPlN2at6native12_GLOBAL__N_18offset_tEEE10hipError_tPvRmT1_PNSt15iterator_traitsISZ_E10value_typeET2_T3_PNS10_IS15_E10value_typeET4_jRbjT5_S1B_jjP12ihipStream_tbEUljE_EEESW_SX_SY_S15_S19_S1B_T6_T7_T9_mT8_S1D_bDpT10_ENKUlT_T0_E_clISt17integral_constantIbLb0EES1Q_EEDaS1L_S1M_EUlS1L_E_NS1_11comp_targetILNS1_3genE4ELNS1_11target_archE910ELNS1_3gpuE8ELNS1_3repE0EEENS1_30default_config_static_selectorELNS0_4arch9wavefront6targetE0EEEvSZ_.uses_vcc, 0
	.set _ZN7rocprim17ROCPRIM_400000_NS6detail17trampoline_kernelINS0_13select_configILj256ELj13ELNS0_17block_load_methodE3ELS4_3ELS4_3ELNS0_20block_scan_algorithmE0ELj4294967295EEENS1_25partition_config_selectorILNS1_17partition_subalgoE3EjNS0_10empty_typeEbEEZZNS1_14partition_implILS8_3ELb0ES6_jNS0_17counting_iteratorIjlEEPS9_SE_NS0_5tupleIJPjSE_EEENSF_IJSE_SE_EEES9_SG_JZNS1_25segmented_radix_sort_implINS0_14default_configELb1EPK6__halfPSL_PKlPlN2at6native12_GLOBAL__N_18offset_tEEE10hipError_tPvRmT1_PNSt15iterator_traitsISZ_E10value_typeET2_T3_PNS10_IS15_E10value_typeET4_jRbjT5_S1B_jjP12ihipStream_tbEUljE_EEESW_SX_SY_S15_S19_S1B_T6_T7_T9_mT8_S1D_bDpT10_ENKUlT_T0_E_clISt17integral_constantIbLb0EES1Q_EEDaS1L_S1M_EUlS1L_E_NS1_11comp_targetILNS1_3genE4ELNS1_11target_archE910ELNS1_3gpuE8ELNS1_3repE0EEENS1_30default_config_static_selectorELNS0_4arch9wavefront6targetE0EEEvSZ_.uses_flat_scratch, 0
	.set _ZN7rocprim17ROCPRIM_400000_NS6detail17trampoline_kernelINS0_13select_configILj256ELj13ELNS0_17block_load_methodE3ELS4_3ELS4_3ELNS0_20block_scan_algorithmE0ELj4294967295EEENS1_25partition_config_selectorILNS1_17partition_subalgoE3EjNS0_10empty_typeEbEEZZNS1_14partition_implILS8_3ELb0ES6_jNS0_17counting_iteratorIjlEEPS9_SE_NS0_5tupleIJPjSE_EEENSF_IJSE_SE_EEES9_SG_JZNS1_25segmented_radix_sort_implINS0_14default_configELb1EPK6__halfPSL_PKlPlN2at6native12_GLOBAL__N_18offset_tEEE10hipError_tPvRmT1_PNSt15iterator_traitsISZ_E10value_typeET2_T3_PNS10_IS15_E10value_typeET4_jRbjT5_S1B_jjP12ihipStream_tbEUljE_EEESW_SX_SY_S15_S19_S1B_T6_T7_T9_mT8_S1D_bDpT10_ENKUlT_T0_E_clISt17integral_constantIbLb0EES1Q_EEDaS1L_S1M_EUlS1L_E_NS1_11comp_targetILNS1_3genE4ELNS1_11target_archE910ELNS1_3gpuE8ELNS1_3repE0EEENS1_30default_config_static_selectorELNS0_4arch9wavefront6targetE0EEEvSZ_.has_dyn_sized_stack, 0
	.set _ZN7rocprim17ROCPRIM_400000_NS6detail17trampoline_kernelINS0_13select_configILj256ELj13ELNS0_17block_load_methodE3ELS4_3ELS4_3ELNS0_20block_scan_algorithmE0ELj4294967295EEENS1_25partition_config_selectorILNS1_17partition_subalgoE3EjNS0_10empty_typeEbEEZZNS1_14partition_implILS8_3ELb0ES6_jNS0_17counting_iteratorIjlEEPS9_SE_NS0_5tupleIJPjSE_EEENSF_IJSE_SE_EEES9_SG_JZNS1_25segmented_radix_sort_implINS0_14default_configELb1EPK6__halfPSL_PKlPlN2at6native12_GLOBAL__N_18offset_tEEE10hipError_tPvRmT1_PNSt15iterator_traitsISZ_E10value_typeET2_T3_PNS10_IS15_E10value_typeET4_jRbjT5_S1B_jjP12ihipStream_tbEUljE_EEESW_SX_SY_S15_S19_S1B_T6_T7_T9_mT8_S1D_bDpT10_ENKUlT_T0_E_clISt17integral_constantIbLb0EES1Q_EEDaS1L_S1M_EUlS1L_E_NS1_11comp_targetILNS1_3genE4ELNS1_11target_archE910ELNS1_3gpuE8ELNS1_3repE0EEENS1_30default_config_static_selectorELNS0_4arch9wavefront6targetE0EEEvSZ_.has_recursion, 0
	.set _ZN7rocprim17ROCPRIM_400000_NS6detail17trampoline_kernelINS0_13select_configILj256ELj13ELNS0_17block_load_methodE3ELS4_3ELS4_3ELNS0_20block_scan_algorithmE0ELj4294967295EEENS1_25partition_config_selectorILNS1_17partition_subalgoE3EjNS0_10empty_typeEbEEZZNS1_14partition_implILS8_3ELb0ES6_jNS0_17counting_iteratorIjlEEPS9_SE_NS0_5tupleIJPjSE_EEENSF_IJSE_SE_EEES9_SG_JZNS1_25segmented_radix_sort_implINS0_14default_configELb1EPK6__halfPSL_PKlPlN2at6native12_GLOBAL__N_18offset_tEEE10hipError_tPvRmT1_PNSt15iterator_traitsISZ_E10value_typeET2_T3_PNS10_IS15_E10value_typeET4_jRbjT5_S1B_jjP12ihipStream_tbEUljE_EEESW_SX_SY_S15_S19_S1B_T6_T7_T9_mT8_S1D_bDpT10_ENKUlT_T0_E_clISt17integral_constantIbLb0EES1Q_EEDaS1L_S1M_EUlS1L_E_NS1_11comp_targetILNS1_3genE4ELNS1_11target_archE910ELNS1_3gpuE8ELNS1_3repE0EEENS1_30default_config_static_selectorELNS0_4arch9wavefront6targetE0EEEvSZ_.has_indirect_call, 0
	.section	.AMDGPU.csdata,"",@progbits
; Kernel info:
; codeLenInByte = 0
; TotalNumSgprs: 0
; NumVgprs: 0
; ScratchSize: 0
; MemoryBound: 0
; FloatMode: 240
; IeeeMode: 1
; LDSByteSize: 0 bytes/workgroup (compile time only)
; SGPRBlocks: 0
; VGPRBlocks: 0
; NumSGPRsForWavesPerEU: 1
; NumVGPRsForWavesPerEU: 1
; NamedBarCnt: 0
; Occupancy: 16
; WaveLimiterHint : 0
; COMPUTE_PGM_RSRC2:SCRATCH_EN: 0
; COMPUTE_PGM_RSRC2:USER_SGPR: 2
; COMPUTE_PGM_RSRC2:TRAP_HANDLER: 0
; COMPUTE_PGM_RSRC2:TGID_X_EN: 1
; COMPUTE_PGM_RSRC2:TGID_Y_EN: 0
; COMPUTE_PGM_RSRC2:TGID_Z_EN: 0
; COMPUTE_PGM_RSRC2:TIDIG_COMP_CNT: 0
	.section	.text._ZN7rocprim17ROCPRIM_400000_NS6detail17trampoline_kernelINS0_13select_configILj256ELj13ELNS0_17block_load_methodE3ELS4_3ELS4_3ELNS0_20block_scan_algorithmE0ELj4294967295EEENS1_25partition_config_selectorILNS1_17partition_subalgoE3EjNS0_10empty_typeEbEEZZNS1_14partition_implILS8_3ELb0ES6_jNS0_17counting_iteratorIjlEEPS9_SE_NS0_5tupleIJPjSE_EEENSF_IJSE_SE_EEES9_SG_JZNS1_25segmented_radix_sort_implINS0_14default_configELb1EPK6__halfPSL_PKlPlN2at6native12_GLOBAL__N_18offset_tEEE10hipError_tPvRmT1_PNSt15iterator_traitsISZ_E10value_typeET2_T3_PNS10_IS15_E10value_typeET4_jRbjT5_S1B_jjP12ihipStream_tbEUljE_EEESW_SX_SY_S15_S19_S1B_T6_T7_T9_mT8_S1D_bDpT10_ENKUlT_T0_E_clISt17integral_constantIbLb0EES1Q_EEDaS1L_S1M_EUlS1L_E_NS1_11comp_targetILNS1_3genE3ELNS1_11target_archE908ELNS1_3gpuE7ELNS1_3repE0EEENS1_30default_config_static_selectorELNS0_4arch9wavefront6targetE0EEEvSZ_,"axG",@progbits,_ZN7rocprim17ROCPRIM_400000_NS6detail17trampoline_kernelINS0_13select_configILj256ELj13ELNS0_17block_load_methodE3ELS4_3ELS4_3ELNS0_20block_scan_algorithmE0ELj4294967295EEENS1_25partition_config_selectorILNS1_17partition_subalgoE3EjNS0_10empty_typeEbEEZZNS1_14partition_implILS8_3ELb0ES6_jNS0_17counting_iteratorIjlEEPS9_SE_NS0_5tupleIJPjSE_EEENSF_IJSE_SE_EEES9_SG_JZNS1_25segmented_radix_sort_implINS0_14default_configELb1EPK6__halfPSL_PKlPlN2at6native12_GLOBAL__N_18offset_tEEE10hipError_tPvRmT1_PNSt15iterator_traitsISZ_E10value_typeET2_T3_PNS10_IS15_E10value_typeET4_jRbjT5_S1B_jjP12ihipStream_tbEUljE_EEESW_SX_SY_S15_S19_S1B_T6_T7_T9_mT8_S1D_bDpT10_ENKUlT_T0_E_clISt17integral_constantIbLb0EES1Q_EEDaS1L_S1M_EUlS1L_E_NS1_11comp_targetILNS1_3genE3ELNS1_11target_archE908ELNS1_3gpuE7ELNS1_3repE0EEENS1_30default_config_static_selectorELNS0_4arch9wavefront6targetE0EEEvSZ_,comdat
	.globl	_ZN7rocprim17ROCPRIM_400000_NS6detail17trampoline_kernelINS0_13select_configILj256ELj13ELNS0_17block_load_methodE3ELS4_3ELS4_3ELNS0_20block_scan_algorithmE0ELj4294967295EEENS1_25partition_config_selectorILNS1_17partition_subalgoE3EjNS0_10empty_typeEbEEZZNS1_14partition_implILS8_3ELb0ES6_jNS0_17counting_iteratorIjlEEPS9_SE_NS0_5tupleIJPjSE_EEENSF_IJSE_SE_EEES9_SG_JZNS1_25segmented_radix_sort_implINS0_14default_configELb1EPK6__halfPSL_PKlPlN2at6native12_GLOBAL__N_18offset_tEEE10hipError_tPvRmT1_PNSt15iterator_traitsISZ_E10value_typeET2_T3_PNS10_IS15_E10value_typeET4_jRbjT5_S1B_jjP12ihipStream_tbEUljE_EEESW_SX_SY_S15_S19_S1B_T6_T7_T9_mT8_S1D_bDpT10_ENKUlT_T0_E_clISt17integral_constantIbLb0EES1Q_EEDaS1L_S1M_EUlS1L_E_NS1_11comp_targetILNS1_3genE3ELNS1_11target_archE908ELNS1_3gpuE7ELNS1_3repE0EEENS1_30default_config_static_selectorELNS0_4arch9wavefront6targetE0EEEvSZ_ ; -- Begin function _ZN7rocprim17ROCPRIM_400000_NS6detail17trampoline_kernelINS0_13select_configILj256ELj13ELNS0_17block_load_methodE3ELS4_3ELS4_3ELNS0_20block_scan_algorithmE0ELj4294967295EEENS1_25partition_config_selectorILNS1_17partition_subalgoE3EjNS0_10empty_typeEbEEZZNS1_14partition_implILS8_3ELb0ES6_jNS0_17counting_iteratorIjlEEPS9_SE_NS0_5tupleIJPjSE_EEENSF_IJSE_SE_EEES9_SG_JZNS1_25segmented_radix_sort_implINS0_14default_configELb1EPK6__halfPSL_PKlPlN2at6native12_GLOBAL__N_18offset_tEEE10hipError_tPvRmT1_PNSt15iterator_traitsISZ_E10value_typeET2_T3_PNS10_IS15_E10value_typeET4_jRbjT5_S1B_jjP12ihipStream_tbEUljE_EEESW_SX_SY_S15_S19_S1B_T6_T7_T9_mT8_S1D_bDpT10_ENKUlT_T0_E_clISt17integral_constantIbLb0EES1Q_EEDaS1L_S1M_EUlS1L_E_NS1_11comp_targetILNS1_3genE3ELNS1_11target_archE908ELNS1_3gpuE7ELNS1_3repE0EEENS1_30default_config_static_selectorELNS0_4arch9wavefront6targetE0EEEvSZ_
	.p2align	8
	.type	_ZN7rocprim17ROCPRIM_400000_NS6detail17trampoline_kernelINS0_13select_configILj256ELj13ELNS0_17block_load_methodE3ELS4_3ELS4_3ELNS0_20block_scan_algorithmE0ELj4294967295EEENS1_25partition_config_selectorILNS1_17partition_subalgoE3EjNS0_10empty_typeEbEEZZNS1_14partition_implILS8_3ELb0ES6_jNS0_17counting_iteratorIjlEEPS9_SE_NS0_5tupleIJPjSE_EEENSF_IJSE_SE_EEES9_SG_JZNS1_25segmented_radix_sort_implINS0_14default_configELb1EPK6__halfPSL_PKlPlN2at6native12_GLOBAL__N_18offset_tEEE10hipError_tPvRmT1_PNSt15iterator_traitsISZ_E10value_typeET2_T3_PNS10_IS15_E10value_typeET4_jRbjT5_S1B_jjP12ihipStream_tbEUljE_EEESW_SX_SY_S15_S19_S1B_T6_T7_T9_mT8_S1D_bDpT10_ENKUlT_T0_E_clISt17integral_constantIbLb0EES1Q_EEDaS1L_S1M_EUlS1L_E_NS1_11comp_targetILNS1_3genE3ELNS1_11target_archE908ELNS1_3gpuE7ELNS1_3repE0EEENS1_30default_config_static_selectorELNS0_4arch9wavefront6targetE0EEEvSZ_,@function
_ZN7rocprim17ROCPRIM_400000_NS6detail17trampoline_kernelINS0_13select_configILj256ELj13ELNS0_17block_load_methodE3ELS4_3ELS4_3ELNS0_20block_scan_algorithmE0ELj4294967295EEENS1_25partition_config_selectorILNS1_17partition_subalgoE3EjNS0_10empty_typeEbEEZZNS1_14partition_implILS8_3ELb0ES6_jNS0_17counting_iteratorIjlEEPS9_SE_NS0_5tupleIJPjSE_EEENSF_IJSE_SE_EEES9_SG_JZNS1_25segmented_radix_sort_implINS0_14default_configELb1EPK6__halfPSL_PKlPlN2at6native12_GLOBAL__N_18offset_tEEE10hipError_tPvRmT1_PNSt15iterator_traitsISZ_E10value_typeET2_T3_PNS10_IS15_E10value_typeET4_jRbjT5_S1B_jjP12ihipStream_tbEUljE_EEESW_SX_SY_S15_S19_S1B_T6_T7_T9_mT8_S1D_bDpT10_ENKUlT_T0_E_clISt17integral_constantIbLb0EES1Q_EEDaS1L_S1M_EUlS1L_E_NS1_11comp_targetILNS1_3genE3ELNS1_11target_archE908ELNS1_3gpuE7ELNS1_3repE0EEENS1_30default_config_static_selectorELNS0_4arch9wavefront6targetE0EEEvSZ_: ; @_ZN7rocprim17ROCPRIM_400000_NS6detail17trampoline_kernelINS0_13select_configILj256ELj13ELNS0_17block_load_methodE3ELS4_3ELS4_3ELNS0_20block_scan_algorithmE0ELj4294967295EEENS1_25partition_config_selectorILNS1_17partition_subalgoE3EjNS0_10empty_typeEbEEZZNS1_14partition_implILS8_3ELb0ES6_jNS0_17counting_iteratorIjlEEPS9_SE_NS0_5tupleIJPjSE_EEENSF_IJSE_SE_EEES9_SG_JZNS1_25segmented_radix_sort_implINS0_14default_configELb1EPK6__halfPSL_PKlPlN2at6native12_GLOBAL__N_18offset_tEEE10hipError_tPvRmT1_PNSt15iterator_traitsISZ_E10value_typeET2_T3_PNS10_IS15_E10value_typeET4_jRbjT5_S1B_jjP12ihipStream_tbEUljE_EEESW_SX_SY_S15_S19_S1B_T6_T7_T9_mT8_S1D_bDpT10_ENKUlT_T0_E_clISt17integral_constantIbLb0EES1Q_EEDaS1L_S1M_EUlS1L_E_NS1_11comp_targetILNS1_3genE3ELNS1_11target_archE908ELNS1_3gpuE7ELNS1_3repE0EEENS1_30default_config_static_selectorELNS0_4arch9wavefront6targetE0EEEvSZ_
; %bb.0:
	.section	.rodata,"a",@progbits
	.p2align	6, 0x0
	.amdhsa_kernel _ZN7rocprim17ROCPRIM_400000_NS6detail17trampoline_kernelINS0_13select_configILj256ELj13ELNS0_17block_load_methodE3ELS4_3ELS4_3ELNS0_20block_scan_algorithmE0ELj4294967295EEENS1_25partition_config_selectorILNS1_17partition_subalgoE3EjNS0_10empty_typeEbEEZZNS1_14partition_implILS8_3ELb0ES6_jNS0_17counting_iteratorIjlEEPS9_SE_NS0_5tupleIJPjSE_EEENSF_IJSE_SE_EEES9_SG_JZNS1_25segmented_radix_sort_implINS0_14default_configELb1EPK6__halfPSL_PKlPlN2at6native12_GLOBAL__N_18offset_tEEE10hipError_tPvRmT1_PNSt15iterator_traitsISZ_E10value_typeET2_T3_PNS10_IS15_E10value_typeET4_jRbjT5_S1B_jjP12ihipStream_tbEUljE_EEESW_SX_SY_S15_S19_S1B_T6_T7_T9_mT8_S1D_bDpT10_ENKUlT_T0_E_clISt17integral_constantIbLb0EES1Q_EEDaS1L_S1M_EUlS1L_E_NS1_11comp_targetILNS1_3genE3ELNS1_11target_archE908ELNS1_3gpuE7ELNS1_3repE0EEENS1_30default_config_static_selectorELNS0_4arch9wavefront6targetE0EEEvSZ_
		.amdhsa_group_segment_fixed_size 0
		.amdhsa_private_segment_fixed_size 0
		.amdhsa_kernarg_size 144
		.amdhsa_user_sgpr_count 2
		.amdhsa_user_sgpr_dispatch_ptr 0
		.amdhsa_user_sgpr_queue_ptr 0
		.amdhsa_user_sgpr_kernarg_segment_ptr 1
		.amdhsa_user_sgpr_dispatch_id 0
		.amdhsa_user_sgpr_kernarg_preload_length 0
		.amdhsa_user_sgpr_kernarg_preload_offset 0
		.amdhsa_user_sgpr_private_segment_size 0
		.amdhsa_wavefront_size32 1
		.amdhsa_uses_dynamic_stack 0
		.amdhsa_enable_private_segment 0
		.amdhsa_system_sgpr_workgroup_id_x 1
		.amdhsa_system_sgpr_workgroup_id_y 0
		.amdhsa_system_sgpr_workgroup_id_z 0
		.amdhsa_system_sgpr_workgroup_info 0
		.amdhsa_system_vgpr_workitem_id 0
		.amdhsa_next_free_vgpr 1
		.amdhsa_next_free_sgpr 1
		.amdhsa_named_barrier_count 0
		.amdhsa_reserve_vcc 0
		.amdhsa_float_round_mode_32 0
		.amdhsa_float_round_mode_16_64 0
		.amdhsa_float_denorm_mode_32 3
		.amdhsa_float_denorm_mode_16_64 3
		.amdhsa_fp16_overflow 0
		.amdhsa_memory_ordered 1
		.amdhsa_forward_progress 1
		.amdhsa_inst_pref_size 0
		.amdhsa_round_robin_scheduling 0
		.amdhsa_exception_fp_ieee_invalid_op 0
		.amdhsa_exception_fp_denorm_src 0
		.amdhsa_exception_fp_ieee_div_zero 0
		.amdhsa_exception_fp_ieee_overflow 0
		.amdhsa_exception_fp_ieee_underflow 0
		.amdhsa_exception_fp_ieee_inexact 0
		.amdhsa_exception_int_div_zero 0
	.end_amdhsa_kernel
	.section	.text._ZN7rocprim17ROCPRIM_400000_NS6detail17trampoline_kernelINS0_13select_configILj256ELj13ELNS0_17block_load_methodE3ELS4_3ELS4_3ELNS0_20block_scan_algorithmE0ELj4294967295EEENS1_25partition_config_selectorILNS1_17partition_subalgoE3EjNS0_10empty_typeEbEEZZNS1_14partition_implILS8_3ELb0ES6_jNS0_17counting_iteratorIjlEEPS9_SE_NS0_5tupleIJPjSE_EEENSF_IJSE_SE_EEES9_SG_JZNS1_25segmented_radix_sort_implINS0_14default_configELb1EPK6__halfPSL_PKlPlN2at6native12_GLOBAL__N_18offset_tEEE10hipError_tPvRmT1_PNSt15iterator_traitsISZ_E10value_typeET2_T3_PNS10_IS15_E10value_typeET4_jRbjT5_S1B_jjP12ihipStream_tbEUljE_EEESW_SX_SY_S15_S19_S1B_T6_T7_T9_mT8_S1D_bDpT10_ENKUlT_T0_E_clISt17integral_constantIbLb0EES1Q_EEDaS1L_S1M_EUlS1L_E_NS1_11comp_targetILNS1_3genE3ELNS1_11target_archE908ELNS1_3gpuE7ELNS1_3repE0EEENS1_30default_config_static_selectorELNS0_4arch9wavefront6targetE0EEEvSZ_,"axG",@progbits,_ZN7rocprim17ROCPRIM_400000_NS6detail17trampoline_kernelINS0_13select_configILj256ELj13ELNS0_17block_load_methodE3ELS4_3ELS4_3ELNS0_20block_scan_algorithmE0ELj4294967295EEENS1_25partition_config_selectorILNS1_17partition_subalgoE3EjNS0_10empty_typeEbEEZZNS1_14partition_implILS8_3ELb0ES6_jNS0_17counting_iteratorIjlEEPS9_SE_NS0_5tupleIJPjSE_EEENSF_IJSE_SE_EEES9_SG_JZNS1_25segmented_radix_sort_implINS0_14default_configELb1EPK6__halfPSL_PKlPlN2at6native12_GLOBAL__N_18offset_tEEE10hipError_tPvRmT1_PNSt15iterator_traitsISZ_E10value_typeET2_T3_PNS10_IS15_E10value_typeET4_jRbjT5_S1B_jjP12ihipStream_tbEUljE_EEESW_SX_SY_S15_S19_S1B_T6_T7_T9_mT8_S1D_bDpT10_ENKUlT_T0_E_clISt17integral_constantIbLb0EES1Q_EEDaS1L_S1M_EUlS1L_E_NS1_11comp_targetILNS1_3genE3ELNS1_11target_archE908ELNS1_3gpuE7ELNS1_3repE0EEENS1_30default_config_static_selectorELNS0_4arch9wavefront6targetE0EEEvSZ_,comdat
.Lfunc_end1700:
	.size	_ZN7rocprim17ROCPRIM_400000_NS6detail17trampoline_kernelINS0_13select_configILj256ELj13ELNS0_17block_load_methodE3ELS4_3ELS4_3ELNS0_20block_scan_algorithmE0ELj4294967295EEENS1_25partition_config_selectorILNS1_17partition_subalgoE3EjNS0_10empty_typeEbEEZZNS1_14partition_implILS8_3ELb0ES6_jNS0_17counting_iteratorIjlEEPS9_SE_NS0_5tupleIJPjSE_EEENSF_IJSE_SE_EEES9_SG_JZNS1_25segmented_radix_sort_implINS0_14default_configELb1EPK6__halfPSL_PKlPlN2at6native12_GLOBAL__N_18offset_tEEE10hipError_tPvRmT1_PNSt15iterator_traitsISZ_E10value_typeET2_T3_PNS10_IS15_E10value_typeET4_jRbjT5_S1B_jjP12ihipStream_tbEUljE_EEESW_SX_SY_S15_S19_S1B_T6_T7_T9_mT8_S1D_bDpT10_ENKUlT_T0_E_clISt17integral_constantIbLb0EES1Q_EEDaS1L_S1M_EUlS1L_E_NS1_11comp_targetILNS1_3genE3ELNS1_11target_archE908ELNS1_3gpuE7ELNS1_3repE0EEENS1_30default_config_static_selectorELNS0_4arch9wavefront6targetE0EEEvSZ_, .Lfunc_end1700-_ZN7rocprim17ROCPRIM_400000_NS6detail17trampoline_kernelINS0_13select_configILj256ELj13ELNS0_17block_load_methodE3ELS4_3ELS4_3ELNS0_20block_scan_algorithmE0ELj4294967295EEENS1_25partition_config_selectorILNS1_17partition_subalgoE3EjNS0_10empty_typeEbEEZZNS1_14partition_implILS8_3ELb0ES6_jNS0_17counting_iteratorIjlEEPS9_SE_NS0_5tupleIJPjSE_EEENSF_IJSE_SE_EEES9_SG_JZNS1_25segmented_radix_sort_implINS0_14default_configELb1EPK6__halfPSL_PKlPlN2at6native12_GLOBAL__N_18offset_tEEE10hipError_tPvRmT1_PNSt15iterator_traitsISZ_E10value_typeET2_T3_PNS10_IS15_E10value_typeET4_jRbjT5_S1B_jjP12ihipStream_tbEUljE_EEESW_SX_SY_S15_S19_S1B_T6_T7_T9_mT8_S1D_bDpT10_ENKUlT_T0_E_clISt17integral_constantIbLb0EES1Q_EEDaS1L_S1M_EUlS1L_E_NS1_11comp_targetILNS1_3genE3ELNS1_11target_archE908ELNS1_3gpuE7ELNS1_3repE0EEENS1_30default_config_static_selectorELNS0_4arch9wavefront6targetE0EEEvSZ_
                                        ; -- End function
	.set _ZN7rocprim17ROCPRIM_400000_NS6detail17trampoline_kernelINS0_13select_configILj256ELj13ELNS0_17block_load_methodE3ELS4_3ELS4_3ELNS0_20block_scan_algorithmE0ELj4294967295EEENS1_25partition_config_selectorILNS1_17partition_subalgoE3EjNS0_10empty_typeEbEEZZNS1_14partition_implILS8_3ELb0ES6_jNS0_17counting_iteratorIjlEEPS9_SE_NS0_5tupleIJPjSE_EEENSF_IJSE_SE_EEES9_SG_JZNS1_25segmented_radix_sort_implINS0_14default_configELb1EPK6__halfPSL_PKlPlN2at6native12_GLOBAL__N_18offset_tEEE10hipError_tPvRmT1_PNSt15iterator_traitsISZ_E10value_typeET2_T3_PNS10_IS15_E10value_typeET4_jRbjT5_S1B_jjP12ihipStream_tbEUljE_EEESW_SX_SY_S15_S19_S1B_T6_T7_T9_mT8_S1D_bDpT10_ENKUlT_T0_E_clISt17integral_constantIbLb0EES1Q_EEDaS1L_S1M_EUlS1L_E_NS1_11comp_targetILNS1_3genE3ELNS1_11target_archE908ELNS1_3gpuE7ELNS1_3repE0EEENS1_30default_config_static_selectorELNS0_4arch9wavefront6targetE0EEEvSZ_.num_vgpr, 0
	.set _ZN7rocprim17ROCPRIM_400000_NS6detail17trampoline_kernelINS0_13select_configILj256ELj13ELNS0_17block_load_methodE3ELS4_3ELS4_3ELNS0_20block_scan_algorithmE0ELj4294967295EEENS1_25partition_config_selectorILNS1_17partition_subalgoE3EjNS0_10empty_typeEbEEZZNS1_14partition_implILS8_3ELb0ES6_jNS0_17counting_iteratorIjlEEPS9_SE_NS0_5tupleIJPjSE_EEENSF_IJSE_SE_EEES9_SG_JZNS1_25segmented_radix_sort_implINS0_14default_configELb1EPK6__halfPSL_PKlPlN2at6native12_GLOBAL__N_18offset_tEEE10hipError_tPvRmT1_PNSt15iterator_traitsISZ_E10value_typeET2_T3_PNS10_IS15_E10value_typeET4_jRbjT5_S1B_jjP12ihipStream_tbEUljE_EEESW_SX_SY_S15_S19_S1B_T6_T7_T9_mT8_S1D_bDpT10_ENKUlT_T0_E_clISt17integral_constantIbLb0EES1Q_EEDaS1L_S1M_EUlS1L_E_NS1_11comp_targetILNS1_3genE3ELNS1_11target_archE908ELNS1_3gpuE7ELNS1_3repE0EEENS1_30default_config_static_selectorELNS0_4arch9wavefront6targetE0EEEvSZ_.num_agpr, 0
	.set _ZN7rocprim17ROCPRIM_400000_NS6detail17trampoline_kernelINS0_13select_configILj256ELj13ELNS0_17block_load_methodE3ELS4_3ELS4_3ELNS0_20block_scan_algorithmE0ELj4294967295EEENS1_25partition_config_selectorILNS1_17partition_subalgoE3EjNS0_10empty_typeEbEEZZNS1_14partition_implILS8_3ELb0ES6_jNS0_17counting_iteratorIjlEEPS9_SE_NS0_5tupleIJPjSE_EEENSF_IJSE_SE_EEES9_SG_JZNS1_25segmented_radix_sort_implINS0_14default_configELb1EPK6__halfPSL_PKlPlN2at6native12_GLOBAL__N_18offset_tEEE10hipError_tPvRmT1_PNSt15iterator_traitsISZ_E10value_typeET2_T3_PNS10_IS15_E10value_typeET4_jRbjT5_S1B_jjP12ihipStream_tbEUljE_EEESW_SX_SY_S15_S19_S1B_T6_T7_T9_mT8_S1D_bDpT10_ENKUlT_T0_E_clISt17integral_constantIbLb0EES1Q_EEDaS1L_S1M_EUlS1L_E_NS1_11comp_targetILNS1_3genE3ELNS1_11target_archE908ELNS1_3gpuE7ELNS1_3repE0EEENS1_30default_config_static_selectorELNS0_4arch9wavefront6targetE0EEEvSZ_.numbered_sgpr, 0
	.set _ZN7rocprim17ROCPRIM_400000_NS6detail17trampoline_kernelINS0_13select_configILj256ELj13ELNS0_17block_load_methodE3ELS4_3ELS4_3ELNS0_20block_scan_algorithmE0ELj4294967295EEENS1_25partition_config_selectorILNS1_17partition_subalgoE3EjNS0_10empty_typeEbEEZZNS1_14partition_implILS8_3ELb0ES6_jNS0_17counting_iteratorIjlEEPS9_SE_NS0_5tupleIJPjSE_EEENSF_IJSE_SE_EEES9_SG_JZNS1_25segmented_radix_sort_implINS0_14default_configELb1EPK6__halfPSL_PKlPlN2at6native12_GLOBAL__N_18offset_tEEE10hipError_tPvRmT1_PNSt15iterator_traitsISZ_E10value_typeET2_T3_PNS10_IS15_E10value_typeET4_jRbjT5_S1B_jjP12ihipStream_tbEUljE_EEESW_SX_SY_S15_S19_S1B_T6_T7_T9_mT8_S1D_bDpT10_ENKUlT_T0_E_clISt17integral_constantIbLb0EES1Q_EEDaS1L_S1M_EUlS1L_E_NS1_11comp_targetILNS1_3genE3ELNS1_11target_archE908ELNS1_3gpuE7ELNS1_3repE0EEENS1_30default_config_static_selectorELNS0_4arch9wavefront6targetE0EEEvSZ_.num_named_barrier, 0
	.set _ZN7rocprim17ROCPRIM_400000_NS6detail17trampoline_kernelINS0_13select_configILj256ELj13ELNS0_17block_load_methodE3ELS4_3ELS4_3ELNS0_20block_scan_algorithmE0ELj4294967295EEENS1_25partition_config_selectorILNS1_17partition_subalgoE3EjNS0_10empty_typeEbEEZZNS1_14partition_implILS8_3ELb0ES6_jNS0_17counting_iteratorIjlEEPS9_SE_NS0_5tupleIJPjSE_EEENSF_IJSE_SE_EEES9_SG_JZNS1_25segmented_radix_sort_implINS0_14default_configELb1EPK6__halfPSL_PKlPlN2at6native12_GLOBAL__N_18offset_tEEE10hipError_tPvRmT1_PNSt15iterator_traitsISZ_E10value_typeET2_T3_PNS10_IS15_E10value_typeET4_jRbjT5_S1B_jjP12ihipStream_tbEUljE_EEESW_SX_SY_S15_S19_S1B_T6_T7_T9_mT8_S1D_bDpT10_ENKUlT_T0_E_clISt17integral_constantIbLb0EES1Q_EEDaS1L_S1M_EUlS1L_E_NS1_11comp_targetILNS1_3genE3ELNS1_11target_archE908ELNS1_3gpuE7ELNS1_3repE0EEENS1_30default_config_static_selectorELNS0_4arch9wavefront6targetE0EEEvSZ_.private_seg_size, 0
	.set _ZN7rocprim17ROCPRIM_400000_NS6detail17trampoline_kernelINS0_13select_configILj256ELj13ELNS0_17block_load_methodE3ELS4_3ELS4_3ELNS0_20block_scan_algorithmE0ELj4294967295EEENS1_25partition_config_selectorILNS1_17partition_subalgoE3EjNS0_10empty_typeEbEEZZNS1_14partition_implILS8_3ELb0ES6_jNS0_17counting_iteratorIjlEEPS9_SE_NS0_5tupleIJPjSE_EEENSF_IJSE_SE_EEES9_SG_JZNS1_25segmented_radix_sort_implINS0_14default_configELb1EPK6__halfPSL_PKlPlN2at6native12_GLOBAL__N_18offset_tEEE10hipError_tPvRmT1_PNSt15iterator_traitsISZ_E10value_typeET2_T3_PNS10_IS15_E10value_typeET4_jRbjT5_S1B_jjP12ihipStream_tbEUljE_EEESW_SX_SY_S15_S19_S1B_T6_T7_T9_mT8_S1D_bDpT10_ENKUlT_T0_E_clISt17integral_constantIbLb0EES1Q_EEDaS1L_S1M_EUlS1L_E_NS1_11comp_targetILNS1_3genE3ELNS1_11target_archE908ELNS1_3gpuE7ELNS1_3repE0EEENS1_30default_config_static_selectorELNS0_4arch9wavefront6targetE0EEEvSZ_.uses_vcc, 0
	.set _ZN7rocprim17ROCPRIM_400000_NS6detail17trampoline_kernelINS0_13select_configILj256ELj13ELNS0_17block_load_methodE3ELS4_3ELS4_3ELNS0_20block_scan_algorithmE0ELj4294967295EEENS1_25partition_config_selectorILNS1_17partition_subalgoE3EjNS0_10empty_typeEbEEZZNS1_14partition_implILS8_3ELb0ES6_jNS0_17counting_iteratorIjlEEPS9_SE_NS0_5tupleIJPjSE_EEENSF_IJSE_SE_EEES9_SG_JZNS1_25segmented_radix_sort_implINS0_14default_configELb1EPK6__halfPSL_PKlPlN2at6native12_GLOBAL__N_18offset_tEEE10hipError_tPvRmT1_PNSt15iterator_traitsISZ_E10value_typeET2_T3_PNS10_IS15_E10value_typeET4_jRbjT5_S1B_jjP12ihipStream_tbEUljE_EEESW_SX_SY_S15_S19_S1B_T6_T7_T9_mT8_S1D_bDpT10_ENKUlT_T0_E_clISt17integral_constantIbLb0EES1Q_EEDaS1L_S1M_EUlS1L_E_NS1_11comp_targetILNS1_3genE3ELNS1_11target_archE908ELNS1_3gpuE7ELNS1_3repE0EEENS1_30default_config_static_selectorELNS0_4arch9wavefront6targetE0EEEvSZ_.uses_flat_scratch, 0
	.set _ZN7rocprim17ROCPRIM_400000_NS6detail17trampoline_kernelINS0_13select_configILj256ELj13ELNS0_17block_load_methodE3ELS4_3ELS4_3ELNS0_20block_scan_algorithmE0ELj4294967295EEENS1_25partition_config_selectorILNS1_17partition_subalgoE3EjNS0_10empty_typeEbEEZZNS1_14partition_implILS8_3ELb0ES6_jNS0_17counting_iteratorIjlEEPS9_SE_NS0_5tupleIJPjSE_EEENSF_IJSE_SE_EEES9_SG_JZNS1_25segmented_radix_sort_implINS0_14default_configELb1EPK6__halfPSL_PKlPlN2at6native12_GLOBAL__N_18offset_tEEE10hipError_tPvRmT1_PNSt15iterator_traitsISZ_E10value_typeET2_T3_PNS10_IS15_E10value_typeET4_jRbjT5_S1B_jjP12ihipStream_tbEUljE_EEESW_SX_SY_S15_S19_S1B_T6_T7_T9_mT8_S1D_bDpT10_ENKUlT_T0_E_clISt17integral_constantIbLb0EES1Q_EEDaS1L_S1M_EUlS1L_E_NS1_11comp_targetILNS1_3genE3ELNS1_11target_archE908ELNS1_3gpuE7ELNS1_3repE0EEENS1_30default_config_static_selectorELNS0_4arch9wavefront6targetE0EEEvSZ_.has_dyn_sized_stack, 0
	.set _ZN7rocprim17ROCPRIM_400000_NS6detail17trampoline_kernelINS0_13select_configILj256ELj13ELNS0_17block_load_methodE3ELS4_3ELS4_3ELNS0_20block_scan_algorithmE0ELj4294967295EEENS1_25partition_config_selectorILNS1_17partition_subalgoE3EjNS0_10empty_typeEbEEZZNS1_14partition_implILS8_3ELb0ES6_jNS0_17counting_iteratorIjlEEPS9_SE_NS0_5tupleIJPjSE_EEENSF_IJSE_SE_EEES9_SG_JZNS1_25segmented_radix_sort_implINS0_14default_configELb1EPK6__halfPSL_PKlPlN2at6native12_GLOBAL__N_18offset_tEEE10hipError_tPvRmT1_PNSt15iterator_traitsISZ_E10value_typeET2_T3_PNS10_IS15_E10value_typeET4_jRbjT5_S1B_jjP12ihipStream_tbEUljE_EEESW_SX_SY_S15_S19_S1B_T6_T7_T9_mT8_S1D_bDpT10_ENKUlT_T0_E_clISt17integral_constantIbLb0EES1Q_EEDaS1L_S1M_EUlS1L_E_NS1_11comp_targetILNS1_3genE3ELNS1_11target_archE908ELNS1_3gpuE7ELNS1_3repE0EEENS1_30default_config_static_selectorELNS0_4arch9wavefront6targetE0EEEvSZ_.has_recursion, 0
	.set _ZN7rocprim17ROCPRIM_400000_NS6detail17trampoline_kernelINS0_13select_configILj256ELj13ELNS0_17block_load_methodE3ELS4_3ELS4_3ELNS0_20block_scan_algorithmE0ELj4294967295EEENS1_25partition_config_selectorILNS1_17partition_subalgoE3EjNS0_10empty_typeEbEEZZNS1_14partition_implILS8_3ELb0ES6_jNS0_17counting_iteratorIjlEEPS9_SE_NS0_5tupleIJPjSE_EEENSF_IJSE_SE_EEES9_SG_JZNS1_25segmented_radix_sort_implINS0_14default_configELb1EPK6__halfPSL_PKlPlN2at6native12_GLOBAL__N_18offset_tEEE10hipError_tPvRmT1_PNSt15iterator_traitsISZ_E10value_typeET2_T3_PNS10_IS15_E10value_typeET4_jRbjT5_S1B_jjP12ihipStream_tbEUljE_EEESW_SX_SY_S15_S19_S1B_T6_T7_T9_mT8_S1D_bDpT10_ENKUlT_T0_E_clISt17integral_constantIbLb0EES1Q_EEDaS1L_S1M_EUlS1L_E_NS1_11comp_targetILNS1_3genE3ELNS1_11target_archE908ELNS1_3gpuE7ELNS1_3repE0EEENS1_30default_config_static_selectorELNS0_4arch9wavefront6targetE0EEEvSZ_.has_indirect_call, 0
	.section	.AMDGPU.csdata,"",@progbits
; Kernel info:
; codeLenInByte = 0
; TotalNumSgprs: 0
; NumVgprs: 0
; ScratchSize: 0
; MemoryBound: 0
; FloatMode: 240
; IeeeMode: 1
; LDSByteSize: 0 bytes/workgroup (compile time only)
; SGPRBlocks: 0
; VGPRBlocks: 0
; NumSGPRsForWavesPerEU: 1
; NumVGPRsForWavesPerEU: 1
; NamedBarCnt: 0
; Occupancy: 16
; WaveLimiterHint : 0
; COMPUTE_PGM_RSRC2:SCRATCH_EN: 0
; COMPUTE_PGM_RSRC2:USER_SGPR: 2
; COMPUTE_PGM_RSRC2:TRAP_HANDLER: 0
; COMPUTE_PGM_RSRC2:TGID_X_EN: 1
; COMPUTE_PGM_RSRC2:TGID_Y_EN: 0
; COMPUTE_PGM_RSRC2:TGID_Z_EN: 0
; COMPUTE_PGM_RSRC2:TIDIG_COMP_CNT: 0
	.section	.text._ZN7rocprim17ROCPRIM_400000_NS6detail17trampoline_kernelINS0_13select_configILj256ELj13ELNS0_17block_load_methodE3ELS4_3ELS4_3ELNS0_20block_scan_algorithmE0ELj4294967295EEENS1_25partition_config_selectorILNS1_17partition_subalgoE3EjNS0_10empty_typeEbEEZZNS1_14partition_implILS8_3ELb0ES6_jNS0_17counting_iteratorIjlEEPS9_SE_NS0_5tupleIJPjSE_EEENSF_IJSE_SE_EEES9_SG_JZNS1_25segmented_radix_sort_implINS0_14default_configELb1EPK6__halfPSL_PKlPlN2at6native12_GLOBAL__N_18offset_tEEE10hipError_tPvRmT1_PNSt15iterator_traitsISZ_E10value_typeET2_T3_PNS10_IS15_E10value_typeET4_jRbjT5_S1B_jjP12ihipStream_tbEUljE_EEESW_SX_SY_S15_S19_S1B_T6_T7_T9_mT8_S1D_bDpT10_ENKUlT_T0_E_clISt17integral_constantIbLb0EES1Q_EEDaS1L_S1M_EUlS1L_E_NS1_11comp_targetILNS1_3genE2ELNS1_11target_archE906ELNS1_3gpuE6ELNS1_3repE0EEENS1_30default_config_static_selectorELNS0_4arch9wavefront6targetE0EEEvSZ_,"axG",@progbits,_ZN7rocprim17ROCPRIM_400000_NS6detail17trampoline_kernelINS0_13select_configILj256ELj13ELNS0_17block_load_methodE3ELS4_3ELS4_3ELNS0_20block_scan_algorithmE0ELj4294967295EEENS1_25partition_config_selectorILNS1_17partition_subalgoE3EjNS0_10empty_typeEbEEZZNS1_14partition_implILS8_3ELb0ES6_jNS0_17counting_iteratorIjlEEPS9_SE_NS0_5tupleIJPjSE_EEENSF_IJSE_SE_EEES9_SG_JZNS1_25segmented_radix_sort_implINS0_14default_configELb1EPK6__halfPSL_PKlPlN2at6native12_GLOBAL__N_18offset_tEEE10hipError_tPvRmT1_PNSt15iterator_traitsISZ_E10value_typeET2_T3_PNS10_IS15_E10value_typeET4_jRbjT5_S1B_jjP12ihipStream_tbEUljE_EEESW_SX_SY_S15_S19_S1B_T6_T7_T9_mT8_S1D_bDpT10_ENKUlT_T0_E_clISt17integral_constantIbLb0EES1Q_EEDaS1L_S1M_EUlS1L_E_NS1_11comp_targetILNS1_3genE2ELNS1_11target_archE906ELNS1_3gpuE6ELNS1_3repE0EEENS1_30default_config_static_selectorELNS0_4arch9wavefront6targetE0EEEvSZ_,comdat
	.globl	_ZN7rocprim17ROCPRIM_400000_NS6detail17trampoline_kernelINS0_13select_configILj256ELj13ELNS0_17block_load_methodE3ELS4_3ELS4_3ELNS0_20block_scan_algorithmE0ELj4294967295EEENS1_25partition_config_selectorILNS1_17partition_subalgoE3EjNS0_10empty_typeEbEEZZNS1_14partition_implILS8_3ELb0ES6_jNS0_17counting_iteratorIjlEEPS9_SE_NS0_5tupleIJPjSE_EEENSF_IJSE_SE_EEES9_SG_JZNS1_25segmented_radix_sort_implINS0_14default_configELb1EPK6__halfPSL_PKlPlN2at6native12_GLOBAL__N_18offset_tEEE10hipError_tPvRmT1_PNSt15iterator_traitsISZ_E10value_typeET2_T3_PNS10_IS15_E10value_typeET4_jRbjT5_S1B_jjP12ihipStream_tbEUljE_EEESW_SX_SY_S15_S19_S1B_T6_T7_T9_mT8_S1D_bDpT10_ENKUlT_T0_E_clISt17integral_constantIbLb0EES1Q_EEDaS1L_S1M_EUlS1L_E_NS1_11comp_targetILNS1_3genE2ELNS1_11target_archE906ELNS1_3gpuE6ELNS1_3repE0EEENS1_30default_config_static_selectorELNS0_4arch9wavefront6targetE0EEEvSZ_ ; -- Begin function _ZN7rocprim17ROCPRIM_400000_NS6detail17trampoline_kernelINS0_13select_configILj256ELj13ELNS0_17block_load_methodE3ELS4_3ELS4_3ELNS0_20block_scan_algorithmE0ELj4294967295EEENS1_25partition_config_selectorILNS1_17partition_subalgoE3EjNS0_10empty_typeEbEEZZNS1_14partition_implILS8_3ELb0ES6_jNS0_17counting_iteratorIjlEEPS9_SE_NS0_5tupleIJPjSE_EEENSF_IJSE_SE_EEES9_SG_JZNS1_25segmented_radix_sort_implINS0_14default_configELb1EPK6__halfPSL_PKlPlN2at6native12_GLOBAL__N_18offset_tEEE10hipError_tPvRmT1_PNSt15iterator_traitsISZ_E10value_typeET2_T3_PNS10_IS15_E10value_typeET4_jRbjT5_S1B_jjP12ihipStream_tbEUljE_EEESW_SX_SY_S15_S19_S1B_T6_T7_T9_mT8_S1D_bDpT10_ENKUlT_T0_E_clISt17integral_constantIbLb0EES1Q_EEDaS1L_S1M_EUlS1L_E_NS1_11comp_targetILNS1_3genE2ELNS1_11target_archE906ELNS1_3gpuE6ELNS1_3repE0EEENS1_30default_config_static_selectorELNS0_4arch9wavefront6targetE0EEEvSZ_
	.p2align	8
	.type	_ZN7rocprim17ROCPRIM_400000_NS6detail17trampoline_kernelINS0_13select_configILj256ELj13ELNS0_17block_load_methodE3ELS4_3ELS4_3ELNS0_20block_scan_algorithmE0ELj4294967295EEENS1_25partition_config_selectorILNS1_17partition_subalgoE3EjNS0_10empty_typeEbEEZZNS1_14partition_implILS8_3ELb0ES6_jNS0_17counting_iteratorIjlEEPS9_SE_NS0_5tupleIJPjSE_EEENSF_IJSE_SE_EEES9_SG_JZNS1_25segmented_radix_sort_implINS0_14default_configELb1EPK6__halfPSL_PKlPlN2at6native12_GLOBAL__N_18offset_tEEE10hipError_tPvRmT1_PNSt15iterator_traitsISZ_E10value_typeET2_T3_PNS10_IS15_E10value_typeET4_jRbjT5_S1B_jjP12ihipStream_tbEUljE_EEESW_SX_SY_S15_S19_S1B_T6_T7_T9_mT8_S1D_bDpT10_ENKUlT_T0_E_clISt17integral_constantIbLb0EES1Q_EEDaS1L_S1M_EUlS1L_E_NS1_11comp_targetILNS1_3genE2ELNS1_11target_archE906ELNS1_3gpuE6ELNS1_3repE0EEENS1_30default_config_static_selectorELNS0_4arch9wavefront6targetE0EEEvSZ_,@function
_ZN7rocprim17ROCPRIM_400000_NS6detail17trampoline_kernelINS0_13select_configILj256ELj13ELNS0_17block_load_methodE3ELS4_3ELS4_3ELNS0_20block_scan_algorithmE0ELj4294967295EEENS1_25partition_config_selectorILNS1_17partition_subalgoE3EjNS0_10empty_typeEbEEZZNS1_14partition_implILS8_3ELb0ES6_jNS0_17counting_iteratorIjlEEPS9_SE_NS0_5tupleIJPjSE_EEENSF_IJSE_SE_EEES9_SG_JZNS1_25segmented_radix_sort_implINS0_14default_configELb1EPK6__halfPSL_PKlPlN2at6native12_GLOBAL__N_18offset_tEEE10hipError_tPvRmT1_PNSt15iterator_traitsISZ_E10value_typeET2_T3_PNS10_IS15_E10value_typeET4_jRbjT5_S1B_jjP12ihipStream_tbEUljE_EEESW_SX_SY_S15_S19_S1B_T6_T7_T9_mT8_S1D_bDpT10_ENKUlT_T0_E_clISt17integral_constantIbLb0EES1Q_EEDaS1L_S1M_EUlS1L_E_NS1_11comp_targetILNS1_3genE2ELNS1_11target_archE906ELNS1_3gpuE6ELNS1_3repE0EEENS1_30default_config_static_selectorELNS0_4arch9wavefront6targetE0EEEvSZ_: ; @_ZN7rocprim17ROCPRIM_400000_NS6detail17trampoline_kernelINS0_13select_configILj256ELj13ELNS0_17block_load_methodE3ELS4_3ELS4_3ELNS0_20block_scan_algorithmE0ELj4294967295EEENS1_25partition_config_selectorILNS1_17partition_subalgoE3EjNS0_10empty_typeEbEEZZNS1_14partition_implILS8_3ELb0ES6_jNS0_17counting_iteratorIjlEEPS9_SE_NS0_5tupleIJPjSE_EEENSF_IJSE_SE_EEES9_SG_JZNS1_25segmented_radix_sort_implINS0_14default_configELb1EPK6__halfPSL_PKlPlN2at6native12_GLOBAL__N_18offset_tEEE10hipError_tPvRmT1_PNSt15iterator_traitsISZ_E10value_typeET2_T3_PNS10_IS15_E10value_typeET4_jRbjT5_S1B_jjP12ihipStream_tbEUljE_EEESW_SX_SY_S15_S19_S1B_T6_T7_T9_mT8_S1D_bDpT10_ENKUlT_T0_E_clISt17integral_constantIbLb0EES1Q_EEDaS1L_S1M_EUlS1L_E_NS1_11comp_targetILNS1_3genE2ELNS1_11target_archE906ELNS1_3gpuE6ELNS1_3repE0EEENS1_30default_config_static_selectorELNS0_4arch9wavefront6targetE0EEEvSZ_
; %bb.0:
	.section	.rodata,"a",@progbits
	.p2align	6, 0x0
	.amdhsa_kernel _ZN7rocprim17ROCPRIM_400000_NS6detail17trampoline_kernelINS0_13select_configILj256ELj13ELNS0_17block_load_methodE3ELS4_3ELS4_3ELNS0_20block_scan_algorithmE0ELj4294967295EEENS1_25partition_config_selectorILNS1_17partition_subalgoE3EjNS0_10empty_typeEbEEZZNS1_14partition_implILS8_3ELb0ES6_jNS0_17counting_iteratorIjlEEPS9_SE_NS0_5tupleIJPjSE_EEENSF_IJSE_SE_EEES9_SG_JZNS1_25segmented_radix_sort_implINS0_14default_configELb1EPK6__halfPSL_PKlPlN2at6native12_GLOBAL__N_18offset_tEEE10hipError_tPvRmT1_PNSt15iterator_traitsISZ_E10value_typeET2_T3_PNS10_IS15_E10value_typeET4_jRbjT5_S1B_jjP12ihipStream_tbEUljE_EEESW_SX_SY_S15_S19_S1B_T6_T7_T9_mT8_S1D_bDpT10_ENKUlT_T0_E_clISt17integral_constantIbLb0EES1Q_EEDaS1L_S1M_EUlS1L_E_NS1_11comp_targetILNS1_3genE2ELNS1_11target_archE906ELNS1_3gpuE6ELNS1_3repE0EEENS1_30default_config_static_selectorELNS0_4arch9wavefront6targetE0EEEvSZ_
		.amdhsa_group_segment_fixed_size 0
		.amdhsa_private_segment_fixed_size 0
		.amdhsa_kernarg_size 144
		.amdhsa_user_sgpr_count 2
		.amdhsa_user_sgpr_dispatch_ptr 0
		.amdhsa_user_sgpr_queue_ptr 0
		.amdhsa_user_sgpr_kernarg_segment_ptr 1
		.amdhsa_user_sgpr_dispatch_id 0
		.amdhsa_user_sgpr_kernarg_preload_length 0
		.amdhsa_user_sgpr_kernarg_preload_offset 0
		.amdhsa_user_sgpr_private_segment_size 0
		.amdhsa_wavefront_size32 1
		.amdhsa_uses_dynamic_stack 0
		.amdhsa_enable_private_segment 0
		.amdhsa_system_sgpr_workgroup_id_x 1
		.amdhsa_system_sgpr_workgroup_id_y 0
		.amdhsa_system_sgpr_workgroup_id_z 0
		.amdhsa_system_sgpr_workgroup_info 0
		.amdhsa_system_vgpr_workitem_id 0
		.amdhsa_next_free_vgpr 1
		.amdhsa_next_free_sgpr 1
		.amdhsa_named_barrier_count 0
		.amdhsa_reserve_vcc 0
		.amdhsa_float_round_mode_32 0
		.amdhsa_float_round_mode_16_64 0
		.amdhsa_float_denorm_mode_32 3
		.amdhsa_float_denorm_mode_16_64 3
		.amdhsa_fp16_overflow 0
		.amdhsa_memory_ordered 1
		.amdhsa_forward_progress 1
		.amdhsa_inst_pref_size 0
		.amdhsa_round_robin_scheduling 0
		.amdhsa_exception_fp_ieee_invalid_op 0
		.amdhsa_exception_fp_denorm_src 0
		.amdhsa_exception_fp_ieee_div_zero 0
		.amdhsa_exception_fp_ieee_overflow 0
		.amdhsa_exception_fp_ieee_underflow 0
		.amdhsa_exception_fp_ieee_inexact 0
		.amdhsa_exception_int_div_zero 0
	.end_amdhsa_kernel
	.section	.text._ZN7rocprim17ROCPRIM_400000_NS6detail17trampoline_kernelINS0_13select_configILj256ELj13ELNS0_17block_load_methodE3ELS4_3ELS4_3ELNS0_20block_scan_algorithmE0ELj4294967295EEENS1_25partition_config_selectorILNS1_17partition_subalgoE3EjNS0_10empty_typeEbEEZZNS1_14partition_implILS8_3ELb0ES6_jNS0_17counting_iteratorIjlEEPS9_SE_NS0_5tupleIJPjSE_EEENSF_IJSE_SE_EEES9_SG_JZNS1_25segmented_radix_sort_implINS0_14default_configELb1EPK6__halfPSL_PKlPlN2at6native12_GLOBAL__N_18offset_tEEE10hipError_tPvRmT1_PNSt15iterator_traitsISZ_E10value_typeET2_T3_PNS10_IS15_E10value_typeET4_jRbjT5_S1B_jjP12ihipStream_tbEUljE_EEESW_SX_SY_S15_S19_S1B_T6_T7_T9_mT8_S1D_bDpT10_ENKUlT_T0_E_clISt17integral_constantIbLb0EES1Q_EEDaS1L_S1M_EUlS1L_E_NS1_11comp_targetILNS1_3genE2ELNS1_11target_archE906ELNS1_3gpuE6ELNS1_3repE0EEENS1_30default_config_static_selectorELNS0_4arch9wavefront6targetE0EEEvSZ_,"axG",@progbits,_ZN7rocprim17ROCPRIM_400000_NS6detail17trampoline_kernelINS0_13select_configILj256ELj13ELNS0_17block_load_methodE3ELS4_3ELS4_3ELNS0_20block_scan_algorithmE0ELj4294967295EEENS1_25partition_config_selectorILNS1_17partition_subalgoE3EjNS0_10empty_typeEbEEZZNS1_14partition_implILS8_3ELb0ES6_jNS0_17counting_iteratorIjlEEPS9_SE_NS0_5tupleIJPjSE_EEENSF_IJSE_SE_EEES9_SG_JZNS1_25segmented_radix_sort_implINS0_14default_configELb1EPK6__halfPSL_PKlPlN2at6native12_GLOBAL__N_18offset_tEEE10hipError_tPvRmT1_PNSt15iterator_traitsISZ_E10value_typeET2_T3_PNS10_IS15_E10value_typeET4_jRbjT5_S1B_jjP12ihipStream_tbEUljE_EEESW_SX_SY_S15_S19_S1B_T6_T7_T9_mT8_S1D_bDpT10_ENKUlT_T0_E_clISt17integral_constantIbLb0EES1Q_EEDaS1L_S1M_EUlS1L_E_NS1_11comp_targetILNS1_3genE2ELNS1_11target_archE906ELNS1_3gpuE6ELNS1_3repE0EEENS1_30default_config_static_selectorELNS0_4arch9wavefront6targetE0EEEvSZ_,comdat
.Lfunc_end1701:
	.size	_ZN7rocprim17ROCPRIM_400000_NS6detail17trampoline_kernelINS0_13select_configILj256ELj13ELNS0_17block_load_methodE3ELS4_3ELS4_3ELNS0_20block_scan_algorithmE0ELj4294967295EEENS1_25partition_config_selectorILNS1_17partition_subalgoE3EjNS0_10empty_typeEbEEZZNS1_14partition_implILS8_3ELb0ES6_jNS0_17counting_iteratorIjlEEPS9_SE_NS0_5tupleIJPjSE_EEENSF_IJSE_SE_EEES9_SG_JZNS1_25segmented_radix_sort_implINS0_14default_configELb1EPK6__halfPSL_PKlPlN2at6native12_GLOBAL__N_18offset_tEEE10hipError_tPvRmT1_PNSt15iterator_traitsISZ_E10value_typeET2_T3_PNS10_IS15_E10value_typeET4_jRbjT5_S1B_jjP12ihipStream_tbEUljE_EEESW_SX_SY_S15_S19_S1B_T6_T7_T9_mT8_S1D_bDpT10_ENKUlT_T0_E_clISt17integral_constantIbLb0EES1Q_EEDaS1L_S1M_EUlS1L_E_NS1_11comp_targetILNS1_3genE2ELNS1_11target_archE906ELNS1_3gpuE6ELNS1_3repE0EEENS1_30default_config_static_selectorELNS0_4arch9wavefront6targetE0EEEvSZ_, .Lfunc_end1701-_ZN7rocprim17ROCPRIM_400000_NS6detail17trampoline_kernelINS0_13select_configILj256ELj13ELNS0_17block_load_methodE3ELS4_3ELS4_3ELNS0_20block_scan_algorithmE0ELj4294967295EEENS1_25partition_config_selectorILNS1_17partition_subalgoE3EjNS0_10empty_typeEbEEZZNS1_14partition_implILS8_3ELb0ES6_jNS0_17counting_iteratorIjlEEPS9_SE_NS0_5tupleIJPjSE_EEENSF_IJSE_SE_EEES9_SG_JZNS1_25segmented_radix_sort_implINS0_14default_configELb1EPK6__halfPSL_PKlPlN2at6native12_GLOBAL__N_18offset_tEEE10hipError_tPvRmT1_PNSt15iterator_traitsISZ_E10value_typeET2_T3_PNS10_IS15_E10value_typeET4_jRbjT5_S1B_jjP12ihipStream_tbEUljE_EEESW_SX_SY_S15_S19_S1B_T6_T7_T9_mT8_S1D_bDpT10_ENKUlT_T0_E_clISt17integral_constantIbLb0EES1Q_EEDaS1L_S1M_EUlS1L_E_NS1_11comp_targetILNS1_3genE2ELNS1_11target_archE906ELNS1_3gpuE6ELNS1_3repE0EEENS1_30default_config_static_selectorELNS0_4arch9wavefront6targetE0EEEvSZ_
                                        ; -- End function
	.set _ZN7rocprim17ROCPRIM_400000_NS6detail17trampoline_kernelINS0_13select_configILj256ELj13ELNS0_17block_load_methodE3ELS4_3ELS4_3ELNS0_20block_scan_algorithmE0ELj4294967295EEENS1_25partition_config_selectorILNS1_17partition_subalgoE3EjNS0_10empty_typeEbEEZZNS1_14partition_implILS8_3ELb0ES6_jNS0_17counting_iteratorIjlEEPS9_SE_NS0_5tupleIJPjSE_EEENSF_IJSE_SE_EEES9_SG_JZNS1_25segmented_radix_sort_implINS0_14default_configELb1EPK6__halfPSL_PKlPlN2at6native12_GLOBAL__N_18offset_tEEE10hipError_tPvRmT1_PNSt15iterator_traitsISZ_E10value_typeET2_T3_PNS10_IS15_E10value_typeET4_jRbjT5_S1B_jjP12ihipStream_tbEUljE_EEESW_SX_SY_S15_S19_S1B_T6_T7_T9_mT8_S1D_bDpT10_ENKUlT_T0_E_clISt17integral_constantIbLb0EES1Q_EEDaS1L_S1M_EUlS1L_E_NS1_11comp_targetILNS1_3genE2ELNS1_11target_archE906ELNS1_3gpuE6ELNS1_3repE0EEENS1_30default_config_static_selectorELNS0_4arch9wavefront6targetE0EEEvSZ_.num_vgpr, 0
	.set _ZN7rocprim17ROCPRIM_400000_NS6detail17trampoline_kernelINS0_13select_configILj256ELj13ELNS0_17block_load_methodE3ELS4_3ELS4_3ELNS0_20block_scan_algorithmE0ELj4294967295EEENS1_25partition_config_selectorILNS1_17partition_subalgoE3EjNS0_10empty_typeEbEEZZNS1_14partition_implILS8_3ELb0ES6_jNS0_17counting_iteratorIjlEEPS9_SE_NS0_5tupleIJPjSE_EEENSF_IJSE_SE_EEES9_SG_JZNS1_25segmented_radix_sort_implINS0_14default_configELb1EPK6__halfPSL_PKlPlN2at6native12_GLOBAL__N_18offset_tEEE10hipError_tPvRmT1_PNSt15iterator_traitsISZ_E10value_typeET2_T3_PNS10_IS15_E10value_typeET4_jRbjT5_S1B_jjP12ihipStream_tbEUljE_EEESW_SX_SY_S15_S19_S1B_T6_T7_T9_mT8_S1D_bDpT10_ENKUlT_T0_E_clISt17integral_constantIbLb0EES1Q_EEDaS1L_S1M_EUlS1L_E_NS1_11comp_targetILNS1_3genE2ELNS1_11target_archE906ELNS1_3gpuE6ELNS1_3repE0EEENS1_30default_config_static_selectorELNS0_4arch9wavefront6targetE0EEEvSZ_.num_agpr, 0
	.set _ZN7rocprim17ROCPRIM_400000_NS6detail17trampoline_kernelINS0_13select_configILj256ELj13ELNS0_17block_load_methodE3ELS4_3ELS4_3ELNS0_20block_scan_algorithmE0ELj4294967295EEENS1_25partition_config_selectorILNS1_17partition_subalgoE3EjNS0_10empty_typeEbEEZZNS1_14partition_implILS8_3ELb0ES6_jNS0_17counting_iteratorIjlEEPS9_SE_NS0_5tupleIJPjSE_EEENSF_IJSE_SE_EEES9_SG_JZNS1_25segmented_radix_sort_implINS0_14default_configELb1EPK6__halfPSL_PKlPlN2at6native12_GLOBAL__N_18offset_tEEE10hipError_tPvRmT1_PNSt15iterator_traitsISZ_E10value_typeET2_T3_PNS10_IS15_E10value_typeET4_jRbjT5_S1B_jjP12ihipStream_tbEUljE_EEESW_SX_SY_S15_S19_S1B_T6_T7_T9_mT8_S1D_bDpT10_ENKUlT_T0_E_clISt17integral_constantIbLb0EES1Q_EEDaS1L_S1M_EUlS1L_E_NS1_11comp_targetILNS1_3genE2ELNS1_11target_archE906ELNS1_3gpuE6ELNS1_3repE0EEENS1_30default_config_static_selectorELNS0_4arch9wavefront6targetE0EEEvSZ_.numbered_sgpr, 0
	.set _ZN7rocprim17ROCPRIM_400000_NS6detail17trampoline_kernelINS0_13select_configILj256ELj13ELNS0_17block_load_methodE3ELS4_3ELS4_3ELNS0_20block_scan_algorithmE0ELj4294967295EEENS1_25partition_config_selectorILNS1_17partition_subalgoE3EjNS0_10empty_typeEbEEZZNS1_14partition_implILS8_3ELb0ES6_jNS0_17counting_iteratorIjlEEPS9_SE_NS0_5tupleIJPjSE_EEENSF_IJSE_SE_EEES9_SG_JZNS1_25segmented_radix_sort_implINS0_14default_configELb1EPK6__halfPSL_PKlPlN2at6native12_GLOBAL__N_18offset_tEEE10hipError_tPvRmT1_PNSt15iterator_traitsISZ_E10value_typeET2_T3_PNS10_IS15_E10value_typeET4_jRbjT5_S1B_jjP12ihipStream_tbEUljE_EEESW_SX_SY_S15_S19_S1B_T6_T7_T9_mT8_S1D_bDpT10_ENKUlT_T0_E_clISt17integral_constantIbLb0EES1Q_EEDaS1L_S1M_EUlS1L_E_NS1_11comp_targetILNS1_3genE2ELNS1_11target_archE906ELNS1_3gpuE6ELNS1_3repE0EEENS1_30default_config_static_selectorELNS0_4arch9wavefront6targetE0EEEvSZ_.num_named_barrier, 0
	.set _ZN7rocprim17ROCPRIM_400000_NS6detail17trampoline_kernelINS0_13select_configILj256ELj13ELNS0_17block_load_methodE3ELS4_3ELS4_3ELNS0_20block_scan_algorithmE0ELj4294967295EEENS1_25partition_config_selectorILNS1_17partition_subalgoE3EjNS0_10empty_typeEbEEZZNS1_14partition_implILS8_3ELb0ES6_jNS0_17counting_iteratorIjlEEPS9_SE_NS0_5tupleIJPjSE_EEENSF_IJSE_SE_EEES9_SG_JZNS1_25segmented_radix_sort_implINS0_14default_configELb1EPK6__halfPSL_PKlPlN2at6native12_GLOBAL__N_18offset_tEEE10hipError_tPvRmT1_PNSt15iterator_traitsISZ_E10value_typeET2_T3_PNS10_IS15_E10value_typeET4_jRbjT5_S1B_jjP12ihipStream_tbEUljE_EEESW_SX_SY_S15_S19_S1B_T6_T7_T9_mT8_S1D_bDpT10_ENKUlT_T0_E_clISt17integral_constantIbLb0EES1Q_EEDaS1L_S1M_EUlS1L_E_NS1_11comp_targetILNS1_3genE2ELNS1_11target_archE906ELNS1_3gpuE6ELNS1_3repE0EEENS1_30default_config_static_selectorELNS0_4arch9wavefront6targetE0EEEvSZ_.private_seg_size, 0
	.set _ZN7rocprim17ROCPRIM_400000_NS6detail17trampoline_kernelINS0_13select_configILj256ELj13ELNS0_17block_load_methodE3ELS4_3ELS4_3ELNS0_20block_scan_algorithmE0ELj4294967295EEENS1_25partition_config_selectorILNS1_17partition_subalgoE3EjNS0_10empty_typeEbEEZZNS1_14partition_implILS8_3ELb0ES6_jNS0_17counting_iteratorIjlEEPS9_SE_NS0_5tupleIJPjSE_EEENSF_IJSE_SE_EEES9_SG_JZNS1_25segmented_radix_sort_implINS0_14default_configELb1EPK6__halfPSL_PKlPlN2at6native12_GLOBAL__N_18offset_tEEE10hipError_tPvRmT1_PNSt15iterator_traitsISZ_E10value_typeET2_T3_PNS10_IS15_E10value_typeET4_jRbjT5_S1B_jjP12ihipStream_tbEUljE_EEESW_SX_SY_S15_S19_S1B_T6_T7_T9_mT8_S1D_bDpT10_ENKUlT_T0_E_clISt17integral_constantIbLb0EES1Q_EEDaS1L_S1M_EUlS1L_E_NS1_11comp_targetILNS1_3genE2ELNS1_11target_archE906ELNS1_3gpuE6ELNS1_3repE0EEENS1_30default_config_static_selectorELNS0_4arch9wavefront6targetE0EEEvSZ_.uses_vcc, 0
	.set _ZN7rocprim17ROCPRIM_400000_NS6detail17trampoline_kernelINS0_13select_configILj256ELj13ELNS0_17block_load_methodE3ELS4_3ELS4_3ELNS0_20block_scan_algorithmE0ELj4294967295EEENS1_25partition_config_selectorILNS1_17partition_subalgoE3EjNS0_10empty_typeEbEEZZNS1_14partition_implILS8_3ELb0ES6_jNS0_17counting_iteratorIjlEEPS9_SE_NS0_5tupleIJPjSE_EEENSF_IJSE_SE_EEES9_SG_JZNS1_25segmented_radix_sort_implINS0_14default_configELb1EPK6__halfPSL_PKlPlN2at6native12_GLOBAL__N_18offset_tEEE10hipError_tPvRmT1_PNSt15iterator_traitsISZ_E10value_typeET2_T3_PNS10_IS15_E10value_typeET4_jRbjT5_S1B_jjP12ihipStream_tbEUljE_EEESW_SX_SY_S15_S19_S1B_T6_T7_T9_mT8_S1D_bDpT10_ENKUlT_T0_E_clISt17integral_constantIbLb0EES1Q_EEDaS1L_S1M_EUlS1L_E_NS1_11comp_targetILNS1_3genE2ELNS1_11target_archE906ELNS1_3gpuE6ELNS1_3repE0EEENS1_30default_config_static_selectorELNS0_4arch9wavefront6targetE0EEEvSZ_.uses_flat_scratch, 0
	.set _ZN7rocprim17ROCPRIM_400000_NS6detail17trampoline_kernelINS0_13select_configILj256ELj13ELNS0_17block_load_methodE3ELS4_3ELS4_3ELNS0_20block_scan_algorithmE0ELj4294967295EEENS1_25partition_config_selectorILNS1_17partition_subalgoE3EjNS0_10empty_typeEbEEZZNS1_14partition_implILS8_3ELb0ES6_jNS0_17counting_iteratorIjlEEPS9_SE_NS0_5tupleIJPjSE_EEENSF_IJSE_SE_EEES9_SG_JZNS1_25segmented_radix_sort_implINS0_14default_configELb1EPK6__halfPSL_PKlPlN2at6native12_GLOBAL__N_18offset_tEEE10hipError_tPvRmT1_PNSt15iterator_traitsISZ_E10value_typeET2_T3_PNS10_IS15_E10value_typeET4_jRbjT5_S1B_jjP12ihipStream_tbEUljE_EEESW_SX_SY_S15_S19_S1B_T6_T7_T9_mT8_S1D_bDpT10_ENKUlT_T0_E_clISt17integral_constantIbLb0EES1Q_EEDaS1L_S1M_EUlS1L_E_NS1_11comp_targetILNS1_3genE2ELNS1_11target_archE906ELNS1_3gpuE6ELNS1_3repE0EEENS1_30default_config_static_selectorELNS0_4arch9wavefront6targetE0EEEvSZ_.has_dyn_sized_stack, 0
	.set _ZN7rocprim17ROCPRIM_400000_NS6detail17trampoline_kernelINS0_13select_configILj256ELj13ELNS0_17block_load_methodE3ELS4_3ELS4_3ELNS0_20block_scan_algorithmE0ELj4294967295EEENS1_25partition_config_selectorILNS1_17partition_subalgoE3EjNS0_10empty_typeEbEEZZNS1_14partition_implILS8_3ELb0ES6_jNS0_17counting_iteratorIjlEEPS9_SE_NS0_5tupleIJPjSE_EEENSF_IJSE_SE_EEES9_SG_JZNS1_25segmented_radix_sort_implINS0_14default_configELb1EPK6__halfPSL_PKlPlN2at6native12_GLOBAL__N_18offset_tEEE10hipError_tPvRmT1_PNSt15iterator_traitsISZ_E10value_typeET2_T3_PNS10_IS15_E10value_typeET4_jRbjT5_S1B_jjP12ihipStream_tbEUljE_EEESW_SX_SY_S15_S19_S1B_T6_T7_T9_mT8_S1D_bDpT10_ENKUlT_T0_E_clISt17integral_constantIbLb0EES1Q_EEDaS1L_S1M_EUlS1L_E_NS1_11comp_targetILNS1_3genE2ELNS1_11target_archE906ELNS1_3gpuE6ELNS1_3repE0EEENS1_30default_config_static_selectorELNS0_4arch9wavefront6targetE0EEEvSZ_.has_recursion, 0
	.set _ZN7rocprim17ROCPRIM_400000_NS6detail17trampoline_kernelINS0_13select_configILj256ELj13ELNS0_17block_load_methodE3ELS4_3ELS4_3ELNS0_20block_scan_algorithmE0ELj4294967295EEENS1_25partition_config_selectorILNS1_17partition_subalgoE3EjNS0_10empty_typeEbEEZZNS1_14partition_implILS8_3ELb0ES6_jNS0_17counting_iteratorIjlEEPS9_SE_NS0_5tupleIJPjSE_EEENSF_IJSE_SE_EEES9_SG_JZNS1_25segmented_radix_sort_implINS0_14default_configELb1EPK6__halfPSL_PKlPlN2at6native12_GLOBAL__N_18offset_tEEE10hipError_tPvRmT1_PNSt15iterator_traitsISZ_E10value_typeET2_T3_PNS10_IS15_E10value_typeET4_jRbjT5_S1B_jjP12ihipStream_tbEUljE_EEESW_SX_SY_S15_S19_S1B_T6_T7_T9_mT8_S1D_bDpT10_ENKUlT_T0_E_clISt17integral_constantIbLb0EES1Q_EEDaS1L_S1M_EUlS1L_E_NS1_11comp_targetILNS1_3genE2ELNS1_11target_archE906ELNS1_3gpuE6ELNS1_3repE0EEENS1_30default_config_static_selectorELNS0_4arch9wavefront6targetE0EEEvSZ_.has_indirect_call, 0
	.section	.AMDGPU.csdata,"",@progbits
; Kernel info:
; codeLenInByte = 0
; TotalNumSgprs: 0
; NumVgprs: 0
; ScratchSize: 0
; MemoryBound: 0
; FloatMode: 240
; IeeeMode: 1
; LDSByteSize: 0 bytes/workgroup (compile time only)
; SGPRBlocks: 0
; VGPRBlocks: 0
; NumSGPRsForWavesPerEU: 1
; NumVGPRsForWavesPerEU: 1
; NamedBarCnt: 0
; Occupancy: 16
; WaveLimiterHint : 0
; COMPUTE_PGM_RSRC2:SCRATCH_EN: 0
; COMPUTE_PGM_RSRC2:USER_SGPR: 2
; COMPUTE_PGM_RSRC2:TRAP_HANDLER: 0
; COMPUTE_PGM_RSRC2:TGID_X_EN: 1
; COMPUTE_PGM_RSRC2:TGID_Y_EN: 0
; COMPUTE_PGM_RSRC2:TGID_Z_EN: 0
; COMPUTE_PGM_RSRC2:TIDIG_COMP_CNT: 0
	.section	.text._ZN7rocprim17ROCPRIM_400000_NS6detail17trampoline_kernelINS0_13select_configILj256ELj13ELNS0_17block_load_methodE3ELS4_3ELS4_3ELNS0_20block_scan_algorithmE0ELj4294967295EEENS1_25partition_config_selectorILNS1_17partition_subalgoE3EjNS0_10empty_typeEbEEZZNS1_14partition_implILS8_3ELb0ES6_jNS0_17counting_iteratorIjlEEPS9_SE_NS0_5tupleIJPjSE_EEENSF_IJSE_SE_EEES9_SG_JZNS1_25segmented_radix_sort_implINS0_14default_configELb1EPK6__halfPSL_PKlPlN2at6native12_GLOBAL__N_18offset_tEEE10hipError_tPvRmT1_PNSt15iterator_traitsISZ_E10value_typeET2_T3_PNS10_IS15_E10value_typeET4_jRbjT5_S1B_jjP12ihipStream_tbEUljE_EEESW_SX_SY_S15_S19_S1B_T6_T7_T9_mT8_S1D_bDpT10_ENKUlT_T0_E_clISt17integral_constantIbLb0EES1Q_EEDaS1L_S1M_EUlS1L_E_NS1_11comp_targetILNS1_3genE10ELNS1_11target_archE1200ELNS1_3gpuE4ELNS1_3repE0EEENS1_30default_config_static_selectorELNS0_4arch9wavefront6targetE0EEEvSZ_,"axG",@progbits,_ZN7rocprim17ROCPRIM_400000_NS6detail17trampoline_kernelINS0_13select_configILj256ELj13ELNS0_17block_load_methodE3ELS4_3ELS4_3ELNS0_20block_scan_algorithmE0ELj4294967295EEENS1_25partition_config_selectorILNS1_17partition_subalgoE3EjNS0_10empty_typeEbEEZZNS1_14partition_implILS8_3ELb0ES6_jNS0_17counting_iteratorIjlEEPS9_SE_NS0_5tupleIJPjSE_EEENSF_IJSE_SE_EEES9_SG_JZNS1_25segmented_radix_sort_implINS0_14default_configELb1EPK6__halfPSL_PKlPlN2at6native12_GLOBAL__N_18offset_tEEE10hipError_tPvRmT1_PNSt15iterator_traitsISZ_E10value_typeET2_T3_PNS10_IS15_E10value_typeET4_jRbjT5_S1B_jjP12ihipStream_tbEUljE_EEESW_SX_SY_S15_S19_S1B_T6_T7_T9_mT8_S1D_bDpT10_ENKUlT_T0_E_clISt17integral_constantIbLb0EES1Q_EEDaS1L_S1M_EUlS1L_E_NS1_11comp_targetILNS1_3genE10ELNS1_11target_archE1200ELNS1_3gpuE4ELNS1_3repE0EEENS1_30default_config_static_selectorELNS0_4arch9wavefront6targetE0EEEvSZ_,comdat
	.globl	_ZN7rocprim17ROCPRIM_400000_NS6detail17trampoline_kernelINS0_13select_configILj256ELj13ELNS0_17block_load_methodE3ELS4_3ELS4_3ELNS0_20block_scan_algorithmE0ELj4294967295EEENS1_25partition_config_selectorILNS1_17partition_subalgoE3EjNS0_10empty_typeEbEEZZNS1_14partition_implILS8_3ELb0ES6_jNS0_17counting_iteratorIjlEEPS9_SE_NS0_5tupleIJPjSE_EEENSF_IJSE_SE_EEES9_SG_JZNS1_25segmented_radix_sort_implINS0_14default_configELb1EPK6__halfPSL_PKlPlN2at6native12_GLOBAL__N_18offset_tEEE10hipError_tPvRmT1_PNSt15iterator_traitsISZ_E10value_typeET2_T3_PNS10_IS15_E10value_typeET4_jRbjT5_S1B_jjP12ihipStream_tbEUljE_EEESW_SX_SY_S15_S19_S1B_T6_T7_T9_mT8_S1D_bDpT10_ENKUlT_T0_E_clISt17integral_constantIbLb0EES1Q_EEDaS1L_S1M_EUlS1L_E_NS1_11comp_targetILNS1_3genE10ELNS1_11target_archE1200ELNS1_3gpuE4ELNS1_3repE0EEENS1_30default_config_static_selectorELNS0_4arch9wavefront6targetE0EEEvSZ_ ; -- Begin function _ZN7rocprim17ROCPRIM_400000_NS6detail17trampoline_kernelINS0_13select_configILj256ELj13ELNS0_17block_load_methodE3ELS4_3ELS4_3ELNS0_20block_scan_algorithmE0ELj4294967295EEENS1_25partition_config_selectorILNS1_17partition_subalgoE3EjNS0_10empty_typeEbEEZZNS1_14partition_implILS8_3ELb0ES6_jNS0_17counting_iteratorIjlEEPS9_SE_NS0_5tupleIJPjSE_EEENSF_IJSE_SE_EEES9_SG_JZNS1_25segmented_radix_sort_implINS0_14default_configELb1EPK6__halfPSL_PKlPlN2at6native12_GLOBAL__N_18offset_tEEE10hipError_tPvRmT1_PNSt15iterator_traitsISZ_E10value_typeET2_T3_PNS10_IS15_E10value_typeET4_jRbjT5_S1B_jjP12ihipStream_tbEUljE_EEESW_SX_SY_S15_S19_S1B_T6_T7_T9_mT8_S1D_bDpT10_ENKUlT_T0_E_clISt17integral_constantIbLb0EES1Q_EEDaS1L_S1M_EUlS1L_E_NS1_11comp_targetILNS1_3genE10ELNS1_11target_archE1200ELNS1_3gpuE4ELNS1_3repE0EEENS1_30default_config_static_selectorELNS0_4arch9wavefront6targetE0EEEvSZ_
	.p2align	8
	.type	_ZN7rocprim17ROCPRIM_400000_NS6detail17trampoline_kernelINS0_13select_configILj256ELj13ELNS0_17block_load_methodE3ELS4_3ELS4_3ELNS0_20block_scan_algorithmE0ELj4294967295EEENS1_25partition_config_selectorILNS1_17partition_subalgoE3EjNS0_10empty_typeEbEEZZNS1_14partition_implILS8_3ELb0ES6_jNS0_17counting_iteratorIjlEEPS9_SE_NS0_5tupleIJPjSE_EEENSF_IJSE_SE_EEES9_SG_JZNS1_25segmented_radix_sort_implINS0_14default_configELb1EPK6__halfPSL_PKlPlN2at6native12_GLOBAL__N_18offset_tEEE10hipError_tPvRmT1_PNSt15iterator_traitsISZ_E10value_typeET2_T3_PNS10_IS15_E10value_typeET4_jRbjT5_S1B_jjP12ihipStream_tbEUljE_EEESW_SX_SY_S15_S19_S1B_T6_T7_T9_mT8_S1D_bDpT10_ENKUlT_T0_E_clISt17integral_constantIbLb0EES1Q_EEDaS1L_S1M_EUlS1L_E_NS1_11comp_targetILNS1_3genE10ELNS1_11target_archE1200ELNS1_3gpuE4ELNS1_3repE0EEENS1_30default_config_static_selectorELNS0_4arch9wavefront6targetE0EEEvSZ_,@function
_ZN7rocprim17ROCPRIM_400000_NS6detail17trampoline_kernelINS0_13select_configILj256ELj13ELNS0_17block_load_methodE3ELS4_3ELS4_3ELNS0_20block_scan_algorithmE0ELj4294967295EEENS1_25partition_config_selectorILNS1_17partition_subalgoE3EjNS0_10empty_typeEbEEZZNS1_14partition_implILS8_3ELb0ES6_jNS0_17counting_iteratorIjlEEPS9_SE_NS0_5tupleIJPjSE_EEENSF_IJSE_SE_EEES9_SG_JZNS1_25segmented_radix_sort_implINS0_14default_configELb1EPK6__halfPSL_PKlPlN2at6native12_GLOBAL__N_18offset_tEEE10hipError_tPvRmT1_PNSt15iterator_traitsISZ_E10value_typeET2_T3_PNS10_IS15_E10value_typeET4_jRbjT5_S1B_jjP12ihipStream_tbEUljE_EEESW_SX_SY_S15_S19_S1B_T6_T7_T9_mT8_S1D_bDpT10_ENKUlT_T0_E_clISt17integral_constantIbLb0EES1Q_EEDaS1L_S1M_EUlS1L_E_NS1_11comp_targetILNS1_3genE10ELNS1_11target_archE1200ELNS1_3gpuE4ELNS1_3repE0EEENS1_30default_config_static_selectorELNS0_4arch9wavefront6targetE0EEEvSZ_: ; @_ZN7rocprim17ROCPRIM_400000_NS6detail17trampoline_kernelINS0_13select_configILj256ELj13ELNS0_17block_load_methodE3ELS4_3ELS4_3ELNS0_20block_scan_algorithmE0ELj4294967295EEENS1_25partition_config_selectorILNS1_17partition_subalgoE3EjNS0_10empty_typeEbEEZZNS1_14partition_implILS8_3ELb0ES6_jNS0_17counting_iteratorIjlEEPS9_SE_NS0_5tupleIJPjSE_EEENSF_IJSE_SE_EEES9_SG_JZNS1_25segmented_radix_sort_implINS0_14default_configELb1EPK6__halfPSL_PKlPlN2at6native12_GLOBAL__N_18offset_tEEE10hipError_tPvRmT1_PNSt15iterator_traitsISZ_E10value_typeET2_T3_PNS10_IS15_E10value_typeET4_jRbjT5_S1B_jjP12ihipStream_tbEUljE_EEESW_SX_SY_S15_S19_S1B_T6_T7_T9_mT8_S1D_bDpT10_ENKUlT_T0_E_clISt17integral_constantIbLb0EES1Q_EEDaS1L_S1M_EUlS1L_E_NS1_11comp_targetILNS1_3genE10ELNS1_11target_archE1200ELNS1_3gpuE4ELNS1_3repE0EEENS1_30default_config_static_selectorELNS0_4arch9wavefront6targetE0EEEvSZ_
; %bb.0:
	.section	.rodata,"a",@progbits
	.p2align	6, 0x0
	.amdhsa_kernel _ZN7rocprim17ROCPRIM_400000_NS6detail17trampoline_kernelINS0_13select_configILj256ELj13ELNS0_17block_load_methodE3ELS4_3ELS4_3ELNS0_20block_scan_algorithmE0ELj4294967295EEENS1_25partition_config_selectorILNS1_17partition_subalgoE3EjNS0_10empty_typeEbEEZZNS1_14partition_implILS8_3ELb0ES6_jNS0_17counting_iteratorIjlEEPS9_SE_NS0_5tupleIJPjSE_EEENSF_IJSE_SE_EEES9_SG_JZNS1_25segmented_radix_sort_implINS0_14default_configELb1EPK6__halfPSL_PKlPlN2at6native12_GLOBAL__N_18offset_tEEE10hipError_tPvRmT1_PNSt15iterator_traitsISZ_E10value_typeET2_T3_PNS10_IS15_E10value_typeET4_jRbjT5_S1B_jjP12ihipStream_tbEUljE_EEESW_SX_SY_S15_S19_S1B_T6_T7_T9_mT8_S1D_bDpT10_ENKUlT_T0_E_clISt17integral_constantIbLb0EES1Q_EEDaS1L_S1M_EUlS1L_E_NS1_11comp_targetILNS1_3genE10ELNS1_11target_archE1200ELNS1_3gpuE4ELNS1_3repE0EEENS1_30default_config_static_selectorELNS0_4arch9wavefront6targetE0EEEvSZ_
		.amdhsa_group_segment_fixed_size 0
		.amdhsa_private_segment_fixed_size 0
		.amdhsa_kernarg_size 144
		.amdhsa_user_sgpr_count 2
		.amdhsa_user_sgpr_dispatch_ptr 0
		.amdhsa_user_sgpr_queue_ptr 0
		.amdhsa_user_sgpr_kernarg_segment_ptr 1
		.amdhsa_user_sgpr_dispatch_id 0
		.amdhsa_user_sgpr_kernarg_preload_length 0
		.amdhsa_user_sgpr_kernarg_preload_offset 0
		.amdhsa_user_sgpr_private_segment_size 0
		.amdhsa_wavefront_size32 1
		.amdhsa_uses_dynamic_stack 0
		.amdhsa_enable_private_segment 0
		.amdhsa_system_sgpr_workgroup_id_x 1
		.amdhsa_system_sgpr_workgroup_id_y 0
		.amdhsa_system_sgpr_workgroup_id_z 0
		.amdhsa_system_sgpr_workgroup_info 0
		.amdhsa_system_vgpr_workitem_id 0
		.amdhsa_next_free_vgpr 1
		.amdhsa_next_free_sgpr 1
		.amdhsa_named_barrier_count 0
		.amdhsa_reserve_vcc 0
		.amdhsa_float_round_mode_32 0
		.amdhsa_float_round_mode_16_64 0
		.amdhsa_float_denorm_mode_32 3
		.amdhsa_float_denorm_mode_16_64 3
		.amdhsa_fp16_overflow 0
		.amdhsa_memory_ordered 1
		.amdhsa_forward_progress 1
		.amdhsa_inst_pref_size 0
		.amdhsa_round_robin_scheduling 0
		.amdhsa_exception_fp_ieee_invalid_op 0
		.amdhsa_exception_fp_denorm_src 0
		.amdhsa_exception_fp_ieee_div_zero 0
		.amdhsa_exception_fp_ieee_overflow 0
		.amdhsa_exception_fp_ieee_underflow 0
		.amdhsa_exception_fp_ieee_inexact 0
		.amdhsa_exception_int_div_zero 0
	.end_amdhsa_kernel
	.section	.text._ZN7rocprim17ROCPRIM_400000_NS6detail17trampoline_kernelINS0_13select_configILj256ELj13ELNS0_17block_load_methodE3ELS4_3ELS4_3ELNS0_20block_scan_algorithmE0ELj4294967295EEENS1_25partition_config_selectorILNS1_17partition_subalgoE3EjNS0_10empty_typeEbEEZZNS1_14partition_implILS8_3ELb0ES6_jNS0_17counting_iteratorIjlEEPS9_SE_NS0_5tupleIJPjSE_EEENSF_IJSE_SE_EEES9_SG_JZNS1_25segmented_radix_sort_implINS0_14default_configELb1EPK6__halfPSL_PKlPlN2at6native12_GLOBAL__N_18offset_tEEE10hipError_tPvRmT1_PNSt15iterator_traitsISZ_E10value_typeET2_T3_PNS10_IS15_E10value_typeET4_jRbjT5_S1B_jjP12ihipStream_tbEUljE_EEESW_SX_SY_S15_S19_S1B_T6_T7_T9_mT8_S1D_bDpT10_ENKUlT_T0_E_clISt17integral_constantIbLb0EES1Q_EEDaS1L_S1M_EUlS1L_E_NS1_11comp_targetILNS1_3genE10ELNS1_11target_archE1200ELNS1_3gpuE4ELNS1_3repE0EEENS1_30default_config_static_selectorELNS0_4arch9wavefront6targetE0EEEvSZ_,"axG",@progbits,_ZN7rocprim17ROCPRIM_400000_NS6detail17trampoline_kernelINS0_13select_configILj256ELj13ELNS0_17block_load_methodE3ELS4_3ELS4_3ELNS0_20block_scan_algorithmE0ELj4294967295EEENS1_25partition_config_selectorILNS1_17partition_subalgoE3EjNS0_10empty_typeEbEEZZNS1_14partition_implILS8_3ELb0ES6_jNS0_17counting_iteratorIjlEEPS9_SE_NS0_5tupleIJPjSE_EEENSF_IJSE_SE_EEES9_SG_JZNS1_25segmented_radix_sort_implINS0_14default_configELb1EPK6__halfPSL_PKlPlN2at6native12_GLOBAL__N_18offset_tEEE10hipError_tPvRmT1_PNSt15iterator_traitsISZ_E10value_typeET2_T3_PNS10_IS15_E10value_typeET4_jRbjT5_S1B_jjP12ihipStream_tbEUljE_EEESW_SX_SY_S15_S19_S1B_T6_T7_T9_mT8_S1D_bDpT10_ENKUlT_T0_E_clISt17integral_constantIbLb0EES1Q_EEDaS1L_S1M_EUlS1L_E_NS1_11comp_targetILNS1_3genE10ELNS1_11target_archE1200ELNS1_3gpuE4ELNS1_3repE0EEENS1_30default_config_static_selectorELNS0_4arch9wavefront6targetE0EEEvSZ_,comdat
.Lfunc_end1702:
	.size	_ZN7rocprim17ROCPRIM_400000_NS6detail17trampoline_kernelINS0_13select_configILj256ELj13ELNS0_17block_load_methodE3ELS4_3ELS4_3ELNS0_20block_scan_algorithmE0ELj4294967295EEENS1_25partition_config_selectorILNS1_17partition_subalgoE3EjNS0_10empty_typeEbEEZZNS1_14partition_implILS8_3ELb0ES6_jNS0_17counting_iteratorIjlEEPS9_SE_NS0_5tupleIJPjSE_EEENSF_IJSE_SE_EEES9_SG_JZNS1_25segmented_radix_sort_implINS0_14default_configELb1EPK6__halfPSL_PKlPlN2at6native12_GLOBAL__N_18offset_tEEE10hipError_tPvRmT1_PNSt15iterator_traitsISZ_E10value_typeET2_T3_PNS10_IS15_E10value_typeET4_jRbjT5_S1B_jjP12ihipStream_tbEUljE_EEESW_SX_SY_S15_S19_S1B_T6_T7_T9_mT8_S1D_bDpT10_ENKUlT_T0_E_clISt17integral_constantIbLb0EES1Q_EEDaS1L_S1M_EUlS1L_E_NS1_11comp_targetILNS1_3genE10ELNS1_11target_archE1200ELNS1_3gpuE4ELNS1_3repE0EEENS1_30default_config_static_selectorELNS0_4arch9wavefront6targetE0EEEvSZ_, .Lfunc_end1702-_ZN7rocprim17ROCPRIM_400000_NS6detail17trampoline_kernelINS0_13select_configILj256ELj13ELNS0_17block_load_methodE3ELS4_3ELS4_3ELNS0_20block_scan_algorithmE0ELj4294967295EEENS1_25partition_config_selectorILNS1_17partition_subalgoE3EjNS0_10empty_typeEbEEZZNS1_14partition_implILS8_3ELb0ES6_jNS0_17counting_iteratorIjlEEPS9_SE_NS0_5tupleIJPjSE_EEENSF_IJSE_SE_EEES9_SG_JZNS1_25segmented_radix_sort_implINS0_14default_configELb1EPK6__halfPSL_PKlPlN2at6native12_GLOBAL__N_18offset_tEEE10hipError_tPvRmT1_PNSt15iterator_traitsISZ_E10value_typeET2_T3_PNS10_IS15_E10value_typeET4_jRbjT5_S1B_jjP12ihipStream_tbEUljE_EEESW_SX_SY_S15_S19_S1B_T6_T7_T9_mT8_S1D_bDpT10_ENKUlT_T0_E_clISt17integral_constantIbLb0EES1Q_EEDaS1L_S1M_EUlS1L_E_NS1_11comp_targetILNS1_3genE10ELNS1_11target_archE1200ELNS1_3gpuE4ELNS1_3repE0EEENS1_30default_config_static_selectorELNS0_4arch9wavefront6targetE0EEEvSZ_
                                        ; -- End function
	.set _ZN7rocprim17ROCPRIM_400000_NS6detail17trampoline_kernelINS0_13select_configILj256ELj13ELNS0_17block_load_methodE3ELS4_3ELS4_3ELNS0_20block_scan_algorithmE0ELj4294967295EEENS1_25partition_config_selectorILNS1_17partition_subalgoE3EjNS0_10empty_typeEbEEZZNS1_14partition_implILS8_3ELb0ES6_jNS0_17counting_iteratorIjlEEPS9_SE_NS0_5tupleIJPjSE_EEENSF_IJSE_SE_EEES9_SG_JZNS1_25segmented_radix_sort_implINS0_14default_configELb1EPK6__halfPSL_PKlPlN2at6native12_GLOBAL__N_18offset_tEEE10hipError_tPvRmT1_PNSt15iterator_traitsISZ_E10value_typeET2_T3_PNS10_IS15_E10value_typeET4_jRbjT5_S1B_jjP12ihipStream_tbEUljE_EEESW_SX_SY_S15_S19_S1B_T6_T7_T9_mT8_S1D_bDpT10_ENKUlT_T0_E_clISt17integral_constantIbLb0EES1Q_EEDaS1L_S1M_EUlS1L_E_NS1_11comp_targetILNS1_3genE10ELNS1_11target_archE1200ELNS1_3gpuE4ELNS1_3repE0EEENS1_30default_config_static_selectorELNS0_4arch9wavefront6targetE0EEEvSZ_.num_vgpr, 0
	.set _ZN7rocprim17ROCPRIM_400000_NS6detail17trampoline_kernelINS0_13select_configILj256ELj13ELNS0_17block_load_methodE3ELS4_3ELS4_3ELNS0_20block_scan_algorithmE0ELj4294967295EEENS1_25partition_config_selectorILNS1_17partition_subalgoE3EjNS0_10empty_typeEbEEZZNS1_14partition_implILS8_3ELb0ES6_jNS0_17counting_iteratorIjlEEPS9_SE_NS0_5tupleIJPjSE_EEENSF_IJSE_SE_EEES9_SG_JZNS1_25segmented_radix_sort_implINS0_14default_configELb1EPK6__halfPSL_PKlPlN2at6native12_GLOBAL__N_18offset_tEEE10hipError_tPvRmT1_PNSt15iterator_traitsISZ_E10value_typeET2_T3_PNS10_IS15_E10value_typeET4_jRbjT5_S1B_jjP12ihipStream_tbEUljE_EEESW_SX_SY_S15_S19_S1B_T6_T7_T9_mT8_S1D_bDpT10_ENKUlT_T0_E_clISt17integral_constantIbLb0EES1Q_EEDaS1L_S1M_EUlS1L_E_NS1_11comp_targetILNS1_3genE10ELNS1_11target_archE1200ELNS1_3gpuE4ELNS1_3repE0EEENS1_30default_config_static_selectorELNS0_4arch9wavefront6targetE0EEEvSZ_.num_agpr, 0
	.set _ZN7rocprim17ROCPRIM_400000_NS6detail17trampoline_kernelINS0_13select_configILj256ELj13ELNS0_17block_load_methodE3ELS4_3ELS4_3ELNS0_20block_scan_algorithmE0ELj4294967295EEENS1_25partition_config_selectorILNS1_17partition_subalgoE3EjNS0_10empty_typeEbEEZZNS1_14partition_implILS8_3ELb0ES6_jNS0_17counting_iteratorIjlEEPS9_SE_NS0_5tupleIJPjSE_EEENSF_IJSE_SE_EEES9_SG_JZNS1_25segmented_radix_sort_implINS0_14default_configELb1EPK6__halfPSL_PKlPlN2at6native12_GLOBAL__N_18offset_tEEE10hipError_tPvRmT1_PNSt15iterator_traitsISZ_E10value_typeET2_T3_PNS10_IS15_E10value_typeET4_jRbjT5_S1B_jjP12ihipStream_tbEUljE_EEESW_SX_SY_S15_S19_S1B_T6_T7_T9_mT8_S1D_bDpT10_ENKUlT_T0_E_clISt17integral_constantIbLb0EES1Q_EEDaS1L_S1M_EUlS1L_E_NS1_11comp_targetILNS1_3genE10ELNS1_11target_archE1200ELNS1_3gpuE4ELNS1_3repE0EEENS1_30default_config_static_selectorELNS0_4arch9wavefront6targetE0EEEvSZ_.numbered_sgpr, 0
	.set _ZN7rocprim17ROCPRIM_400000_NS6detail17trampoline_kernelINS0_13select_configILj256ELj13ELNS0_17block_load_methodE3ELS4_3ELS4_3ELNS0_20block_scan_algorithmE0ELj4294967295EEENS1_25partition_config_selectorILNS1_17partition_subalgoE3EjNS0_10empty_typeEbEEZZNS1_14partition_implILS8_3ELb0ES6_jNS0_17counting_iteratorIjlEEPS9_SE_NS0_5tupleIJPjSE_EEENSF_IJSE_SE_EEES9_SG_JZNS1_25segmented_radix_sort_implINS0_14default_configELb1EPK6__halfPSL_PKlPlN2at6native12_GLOBAL__N_18offset_tEEE10hipError_tPvRmT1_PNSt15iterator_traitsISZ_E10value_typeET2_T3_PNS10_IS15_E10value_typeET4_jRbjT5_S1B_jjP12ihipStream_tbEUljE_EEESW_SX_SY_S15_S19_S1B_T6_T7_T9_mT8_S1D_bDpT10_ENKUlT_T0_E_clISt17integral_constantIbLb0EES1Q_EEDaS1L_S1M_EUlS1L_E_NS1_11comp_targetILNS1_3genE10ELNS1_11target_archE1200ELNS1_3gpuE4ELNS1_3repE0EEENS1_30default_config_static_selectorELNS0_4arch9wavefront6targetE0EEEvSZ_.num_named_barrier, 0
	.set _ZN7rocprim17ROCPRIM_400000_NS6detail17trampoline_kernelINS0_13select_configILj256ELj13ELNS0_17block_load_methodE3ELS4_3ELS4_3ELNS0_20block_scan_algorithmE0ELj4294967295EEENS1_25partition_config_selectorILNS1_17partition_subalgoE3EjNS0_10empty_typeEbEEZZNS1_14partition_implILS8_3ELb0ES6_jNS0_17counting_iteratorIjlEEPS9_SE_NS0_5tupleIJPjSE_EEENSF_IJSE_SE_EEES9_SG_JZNS1_25segmented_radix_sort_implINS0_14default_configELb1EPK6__halfPSL_PKlPlN2at6native12_GLOBAL__N_18offset_tEEE10hipError_tPvRmT1_PNSt15iterator_traitsISZ_E10value_typeET2_T3_PNS10_IS15_E10value_typeET4_jRbjT5_S1B_jjP12ihipStream_tbEUljE_EEESW_SX_SY_S15_S19_S1B_T6_T7_T9_mT8_S1D_bDpT10_ENKUlT_T0_E_clISt17integral_constantIbLb0EES1Q_EEDaS1L_S1M_EUlS1L_E_NS1_11comp_targetILNS1_3genE10ELNS1_11target_archE1200ELNS1_3gpuE4ELNS1_3repE0EEENS1_30default_config_static_selectorELNS0_4arch9wavefront6targetE0EEEvSZ_.private_seg_size, 0
	.set _ZN7rocprim17ROCPRIM_400000_NS6detail17trampoline_kernelINS0_13select_configILj256ELj13ELNS0_17block_load_methodE3ELS4_3ELS4_3ELNS0_20block_scan_algorithmE0ELj4294967295EEENS1_25partition_config_selectorILNS1_17partition_subalgoE3EjNS0_10empty_typeEbEEZZNS1_14partition_implILS8_3ELb0ES6_jNS0_17counting_iteratorIjlEEPS9_SE_NS0_5tupleIJPjSE_EEENSF_IJSE_SE_EEES9_SG_JZNS1_25segmented_radix_sort_implINS0_14default_configELb1EPK6__halfPSL_PKlPlN2at6native12_GLOBAL__N_18offset_tEEE10hipError_tPvRmT1_PNSt15iterator_traitsISZ_E10value_typeET2_T3_PNS10_IS15_E10value_typeET4_jRbjT5_S1B_jjP12ihipStream_tbEUljE_EEESW_SX_SY_S15_S19_S1B_T6_T7_T9_mT8_S1D_bDpT10_ENKUlT_T0_E_clISt17integral_constantIbLb0EES1Q_EEDaS1L_S1M_EUlS1L_E_NS1_11comp_targetILNS1_3genE10ELNS1_11target_archE1200ELNS1_3gpuE4ELNS1_3repE0EEENS1_30default_config_static_selectorELNS0_4arch9wavefront6targetE0EEEvSZ_.uses_vcc, 0
	.set _ZN7rocprim17ROCPRIM_400000_NS6detail17trampoline_kernelINS0_13select_configILj256ELj13ELNS0_17block_load_methodE3ELS4_3ELS4_3ELNS0_20block_scan_algorithmE0ELj4294967295EEENS1_25partition_config_selectorILNS1_17partition_subalgoE3EjNS0_10empty_typeEbEEZZNS1_14partition_implILS8_3ELb0ES6_jNS0_17counting_iteratorIjlEEPS9_SE_NS0_5tupleIJPjSE_EEENSF_IJSE_SE_EEES9_SG_JZNS1_25segmented_radix_sort_implINS0_14default_configELb1EPK6__halfPSL_PKlPlN2at6native12_GLOBAL__N_18offset_tEEE10hipError_tPvRmT1_PNSt15iterator_traitsISZ_E10value_typeET2_T3_PNS10_IS15_E10value_typeET4_jRbjT5_S1B_jjP12ihipStream_tbEUljE_EEESW_SX_SY_S15_S19_S1B_T6_T7_T9_mT8_S1D_bDpT10_ENKUlT_T0_E_clISt17integral_constantIbLb0EES1Q_EEDaS1L_S1M_EUlS1L_E_NS1_11comp_targetILNS1_3genE10ELNS1_11target_archE1200ELNS1_3gpuE4ELNS1_3repE0EEENS1_30default_config_static_selectorELNS0_4arch9wavefront6targetE0EEEvSZ_.uses_flat_scratch, 0
	.set _ZN7rocprim17ROCPRIM_400000_NS6detail17trampoline_kernelINS0_13select_configILj256ELj13ELNS0_17block_load_methodE3ELS4_3ELS4_3ELNS0_20block_scan_algorithmE0ELj4294967295EEENS1_25partition_config_selectorILNS1_17partition_subalgoE3EjNS0_10empty_typeEbEEZZNS1_14partition_implILS8_3ELb0ES6_jNS0_17counting_iteratorIjlEEPS9_SE_NS0_5tupleIJPjSE_EEENSF_IJSE_SE_EEES9_SG_JZNS1_25segmented_radix_sort_implINS0_14default_configELb1EPK6__halfPSL_PKlPlN2at6native12_GLOBAL__N_18offset_tEEE10hipError_tPvRmT1_PNSt15iterator_traitsISZ_E10value_typeET2_T3_PNS10_IS15_E10value_typeET4_jRbjT5_S1B_jjP12ihipStream_tbEUljE_EEESW_SX_SY_S15_S19_S1B_T6_T7_T9_mT8_S1D_bDpT10_ENKUlT_T0_E_clISt17integral_constantIbLb0EES1Q_EEDaS1L_S1M_EUlS1L_E_NS1_11comp_targetILNS1_3genE10ELNS1_11target_archE1200ELNS1_3gpuE4ELNS1_3repE0EEENS1_30default_config_static_selectorELNS0_4arch9wavefront6targetE0EEEvSZ_.has_dyn_sized_stack, 0
	.set _ZN7rocprim17ROCPRIM_400000_NS6detail17trampoline_kernelINS0_13select_configILj256ELj13ELNS0_17block_load_methodE3ELS4_3ELS4_3ELNS0_20block_scan_algorithmE0ELj4294967295EEENS1_25partition_config_selectorILNS1_17partition_subalgoE3EjNS0_10empty_typeEbEEZZNS1_14partition_implILS8_3ELb0ES6_jNS0_17counting_iteratorIjlEEPS9_SE_NS0_5tupleIJPjSE_EEENSF_IJSE_SE_EEES9_SG_JZNS1_25segmented_radix_sort_implINS0_14default_configELb1EPK6__halfPSL_PKlPlN2at6native12_GLOBAL__N_18offset_tEEE10hipError_tPvRmT1_PNSt15iterator_traitsISZ_E10value_typeET2_T3_PNS10_IS15_E10value_typeET4_jRbjT5_S1B_jjP12ihipStream_tbEUljE_EEESW_SX_SY_S15_S19_S1B_T6_T7_T9_mT8_S1D_bDpT10_ENKUlT_T0_E_clISt17integral_constantIbLb0EES1Q_EEDaS1L_S1M_EUlS1L_E_NS1_11comp_targetILNS1_3genE10ELNS1_11target_archE1200ELNS1_3gpuE4ELNS1_3repE0EEENS1_30default_config_static_selectorELNS0_4arch9wavefront6targetE0EEEvSZ_.has_recursion, 0
	.set _ZN7rocprim17ROCPRIM_400000_NS6detail17trampoline_kernelINS0_13select_configILj256ELj13ELNS0_17block_load_methodE3ELS4_3ELS4_3ELNS0_20block_scan_algorithmE0ELj4294967295EEENS1_25partition_config_selectorILNS1_17partition_subalgoE3EjNS0_10empty_typeEbEEZZNS1_14partition_implILS8_3ELb0ES6_jNS0_17counting_iteratorIjlEEPS9_SE_NS0_5tupleIJPjSE_EEENSF_IJSE_SE_EEES9_SG_JZNS1_25segmented_radix_sort_implINS0_14default_configELb1EPK6__halfPSL_PKlPlN2at6native12_GLOBAL__N_18offset_tEEE10hipError_tPvRmT1_PNSt15iterator_traitsISZ_E10value_typeET2_T3_PNS10_IS15_E10value_typeET4_jRbjT5_S1B_jjP12ihipStream_tbEUljE_EEESW_SX_SY_S15_S19_S1B_T6_T7_T9_mT8_S1D_bDpT10_ENKUlT_T0_E_clISt17integral_constantIbLb0EES1Q_EEDaS1L_S1M_EUlS1L_E_NS1_11comp_targetILNS1_3genE10ELNS1_11target_archE1200ELNS1_3gpuE4ELNS1_3repE0EEENS1_30default_config_static_selectorELNS0_4arch9wavefront6targetE0EEEvSZ_.has_indirect_call, 0
	.section	.AMDGPU.csdata,"",@progbits
; Kernel info:
; codeLenInByte = 0
; TotalNumSgprs: 0
; NumVgprs: 0
; ScratchSize: 0
; MemoryBound: 0
; FloatMode: 240
; IeeeMode: 1
; LDSByteSize: 0 bytes/workgroup (compile time only)
; SGPRBlocks: 0
; VGPRBlocks: 0
; NumSGPRsForWavesPerEU: 1
; NumVGPRsForWavesPerEU: 1
; NamedBarCnt: 0
; Occupancy: 16
; WaveLimiterHint : 0
; COMPUTE_PGM_RSRC2:SCRATCH_EN: 0
; COMPUTE_PGM_RSRC2:USER_SGPR: 2
; COMPUTE_PGM_RSRC2:TRAP_HANDLER: 0
; COMPUTE_PGM_RSRC2:TGID_X_EN: 1
; COMPUTE_PGM_RSRC2:TGID_Y_EN: 0
; COMPUTE_PGM_RSRC2:TGID_Z_EN: 0
; COMPUTE_PGM_RSRC2:TIDIG_COMP_CNT: 0
	.section	.text._ZN7rocprim17ROCPRIM_400000_NS6detail17trampoline_kernelINS0_13select_configILj256ELj13ELNS0_17block_load_methodE3ELS4_3ELS4_3ELNS0_20block_scan_algorithmE0ELj4294967295EEENS1_25partition_config_selectorILNS1_17partition_subalgoE3EjNS0_10empty_typeEbEEZZNS1_14partition_implILS8_3ELb0ES6_jNS0_17counting_iteratorIjlEEPS9_SE_NS0_5tupleIJPjSE_EEENSF_IJSE_SE_EEES9_SG_JZNS1_25segmented_radix_sort_implINS0_14default_configELb1EPK6__halfPSL_PKlPlN2at6native12_GLOBAL__N_18offset_tEEE10hipError_tPvRmT1_PNSt15iterator_traitsISZ_E10value_typeET2_T3_PNS10_IS15_E10value_typeET4_jRbjT5_S1B_jjP12ihipStream_tbEUljE_EEESW_SX_SY_S15_S19_S1B_T6_T7_T9_mT8_S1D_bDpT10_ENKUlT_T0_E_clISt17integral_constantIbLb0EES1Q_EEDaS1L_S1M_EUlS1L_E_NS1_11comp_targetILNS1_3genE9ELNS1_11target_archE1100ELNS1_3gpuE3ELNS1_3repE0EEENS1_30default_config_static_selectorELNS0_4arch9wavefront6targetE0EEEvSZ_,"axG",@progbits,_ZN7rocprim17ROCPRIM_400000_NS6detail17trampoline_kernelINS0_13select_configILj256ELj13ELNS0_17block_load_methodE3ELS4_3ELS4_3ELNS0_20block_scan_algorithmE0ELj4294967295EEENS1_25partition_config_selectorILNS1_17partition_subalgoE3EjNS0_10empty_typeEbEEZZNS1_14partition_implILS8_3ELb0ES6_jNS0_17counting_iteratorIjlEEPS9_SE_NS0_5tupleIJPjSE_EEENSF_IJSE_SE_EEES9_SG_JZNS1_25segmented_radix_sort_implINS0_14default_configELb1EPK6__halfPSL_PKlPlN2at6native12_GLOBAL__N_18offset_tEEE10hipError_tPvRmT1_PNSt15iterator_traitsISZ_E10value_typeET2_T3_PNS10_IS15_E10value_typeET4_jRbjT5_S1B_jjP12ihipStream_tbEUljE_EEESW_SX_SY_S15_S19_S1B_T6_T7_T9_mT8_S1D_bDpT10_ENKUlT_T0_E_clISt17integral_constantIbLb0EES1Q_EEDaS1L_S1M_EUlS1L_E_NS1_11comp_targetILNS1_3genE9ELNS1_11target_archE1100ELNS1_3gpuE3ELNS1_3repE0EEENS1_30default_config_static_selectorELNS0_4arch9wavefront6targetE0EEEvSZ_,comdat
	.globl	_ZN7rocprim17ROCPRIM_400000_NS6detail17trampoline_kernelINS0_13select_configILj256ELj13ELNS0_17block_load_methodE3ELS4_3ELS4_3ELNS0_20block_scan_algorithmE0ELj4294967295EEENS1_25partition_config_selectorILNS1_17partition_subalgoE3EjNS0_10empty_typeEbEEZZNS1_14partition_implILS8_3ELb0ES6_jNS0_17counting_iteratorIjlEEPS9_SE_NS0_5tupleIJPjSE_EEENSF_IJSE_SE_EEES9_SG_JZNS1_25segmented_radix_sort_implINS0_14default_configELb1EPK6__halfPSL_PKlPlN2at6native12_GLOBAL__N_18offset_tEEE10hipError_tPvRmT1_PNSt15iterator_traitsISZ_E10value_typeET2_T3_PNS10_IS15_E10value_typeET4_jRbjT5_S1B_jjP12ihipStream_tbEUljE_EEESW_SX_SY_S15_S19_S1B_T6_T7_T9_mT8_S1D_bDpT10_ENKUlT_T0_E_clISt17integral_constantIbLb0EES1Q_EEDaS1L_S1M_EUlS1L_E_NS1_11comp_targetILNS1_3genE9ELNS1_11target_archE1100ELNS1_3gpuE3ELNS1_3repE0EEENS1_30default_config_static_selectorELNS0_4arch9wavefront6targetE0EEEvSZ_ ; -- Begin function _ZN7rocprim17ROCPRIM_400000_NS6detail17trampoline_kernelINS0_13select_configILj256ELj13ELNS0_17block_load_methodE3ELS4_3ELS4_3ELNS0_20block_scan_algorithmE0ELj4294967295EEENS1_25partition_config_selectorILNS1_17partition_subalgoE3EjNS0_10empty_typeEbEEZZNS1_14partition_implILS8_3ELb0ES6_jNS0_17counting_iteratorIjlEEPS9_SE_NS0_5tupleIJPjSE_EEENSF_IJSE_SE_EEES9_SG_JZNS1_25segmented_radix_sort_implINS0_14default_configELb1EPK6__halfPSL_PKlPlN2at6native12_GLOBAL__N_18offset_tEEE10hipError_tPvRmT1_PNSt15iterator_traitsISZ_E10value_typeET2_T3_PNS10_IS15_E10value_typeET4_jRbjT5_S1B_jjP12ihipStream_tbEUljE_EEESW_SX_SY_S15_S19_S1B_T6_T7_T9_mT8_S1D_bDpT10_ENKUlT_T0_E_clISt17integral_constantIbLb0EES1Q_EEDaS1L_S1M_EUlS1L_E_NS1_11comp_targetILNS1_3genE9ELNS1_11target_archE1100ELNS1_3gpuE3ELNS1_3repE0EEENS1_30default_config_static_selectorELNS0_4arch9wavefront6targetE0EEEvSZ_
	.p2align	8
	.type	_ZN7rocprim17ROCPRIM_400000_NS6detail17trampoline_kernelINS0_13select_configILj256ELj13ELNS0_17block_load_methodE3ELS4_3ELS4_3ELNS0_20block_scan_algorithmE0ELj4294967295EEENS1_25partition_config_selectorILNS1_17partition_subalgoE3EjNS0_10empty_typeEbEEZZNS1_14partition_implILS8_3ELb0ES6_jNS0_17counting_iteratorIjlEEPS9_SE_NS0_5tupleIJPjSE_EEENSF_IJSE_SE_EEES9_SG_JZNS1_25segmented_radix_sort_implINS0_14default_configELb1EPK6__halfPSL_PKlPlN2at6native12_GLOBAL__N_18offset_tEEE10hipError_tPvRmT1_PNSt15iterator_traitsISZ_E10value_typeET2_T3_PNS10_IS15_E10value_typeET4_jRbjT5_S1B_jjP12ihipStream_tbEUljE_EEESW_SX_SY_S15_S19_S1B_T6_T7_T9_mT8_S1D_bDpT10_ENKUlT_T0_E_clISt17integral_constantIbLb0EES1Q_EEDaS1L_S1M_EUlS1L_E_NS1_11comp_targetILNS1_3genE9ELNS1_11target_archE1100ELNS1_3gpuE3ELNS1_3repE0EEENS1_30default_config_static_selectorELNS0_4arch9wavefront6targetE0EEEvSZ_,@function
_ZN7rocprim17ROCPRIM_400000_NS6detail17trampoline_kernelINS0_13select_configILj256ELj13ELNS0_17block_load_methodE3ELS4_3ELS4_3ELNS0_20block_scan_algorithmE0ELj4294967295EEENS1_25partition_config_selectorILNS1_17partition_subalgoE3EjNS0_10empty_typeEbEEZZNS1_14partition_implILS8_3ELb0ES6_jNS0_17counting_iteratorIjlEEPS9_SE_NS0_5tupleIJPjSE_EEENSF_IJSE_SE_EEES9_SG_JZNS1_25segmented_radix_sort_implINS0_14default_configELb1EPK6__halfPSL_PKlPlN2at6native12_GLOBAL__N_18offset_tEEE10hipError_tPvRmT1_PNSt15iterator_traitsISZ_E10value_typeET2_T3_PNS10_IS15_E10value_typeET4_jRbjT5_S1B_jjP12ihipStream_tbEUljE_EEESW_SX_SY_S15_S19_S1B_T6_T7_T9_mT8_S1D_bDpT10_ENKUlT_T0_E_clISt17integral_constantIbLb0EES1Q_EEDaS1L_S1M_EUlS1L_E_NS1_11comp_targetILNS1_3genE9ELNS1_11target_archE1100ELNS1_3gpuE3ELNS1_3repE0EEENS1_30default_config_static_selectorELNS0_4arch9wavefront6targetE0EEEvSZ_: ; @_ZN7rocprim17ROCPRIM_400000_NS6detail17trampoline_kernelINS0_13select_configILj256ELj13ELNS0_17block_load_methodE3ELS4_3ELS4_3ELNS0_20block_scan_algorithmE0ELj4294967295EEENS1_25partition_config_selectorILNS1_17partition_subalgoE3EjNS0_10empty_typeEbEEZZNS1_14partition_implILS8_3ELb0ES6_jNS0_17counting_iteratorIjlEEPS9_SE_NS0_5tupleIJPjSE_EEENSF_IJSE_SE_EEES9_SG_JZNS1_25segmented_radix_sort_implINS0_14default_configELb1EPK6__halfPSL_PKlPlN2at6native12_GLOBAL__N_18offset_tEEE10hipError_tPvRmT1_PNSt15iterator_traitsISZ_E10value_typeET2_T3_PNS10_IS15_E10value_typeET4_jRbjT5_S1B_jjP12ihipStream_tbEUljE_EEESW_SX_SY_S15_S19_S1B_T6_T7_T9_mT8_S1D_bDpT10_ENKUlT_T0_E_clISt17integral_constantIbLb0EES1Q_EEDaS1L_S1M_EUlS1L_E_NS1_11comp_targetILNS1_3genE9ELNS1_11target_archE1100ELNS1_3gpuE3ELNS1_3repE0EEENS1_30default_config_static_selectorELNS0_4arch9wavefront6targetE0EEEvSZ_
; %bb.0:
	.section	.rodata,"a",@progbits
	.p2align	6, 0x0
	.amdhsa_kernel _ZN7rocprim17ROCPRIM_400000_NS6detail17trampoline_kernelINS0_13select_configILj256ELj13ELNS0_17block_load_methodE3ELS4_3ELS4_3ELNS0_20block_scan_algorithmE0ELj4294967295EEENS1_25partition_config_selectorILNS1_17partition_subalgoE3EjNS0_10empty_typeEbEEZZNS1_14partition_implILS8_3ELb0ES6_jNS0_17counting_iteratorIjlEEPS9_SE_NS0_5tupleIJPjSE_EEENSF_IJSE_SE_EEES9_SG_JZNS1_25segmented_radix_sort_implINS0_14default_configELb1EPK6__halfPSL_PKlPlN2at6native12_GLOBAL__N_18offset_tEEE10hipError_tPvRmT1_PNSt15iterator_traitsISZ_E10value_typeET2_T3_PNS10_IS15_E10value_typeET4_jRbjT5_S1B_jjP12ihipStream_tbEUljE_EEESW_SX_SY_S15_S19_S1B_T6_T7_T9_mT8_S1D_bDpT10_ENKUlT_T0_E_clISt17integral_constantIbLb0EES1Q_EEDaS1L_S1M_EUlS1L_E_NS1_11comp_targetILNS1_3genE9ELNS1_11target_archE1100ELNS1_3gpuE3ELNS1_3repE0EEENS1_30default_config_static_selectorELNS0_4arch9wavefront6targetE0EEEvSZ_
		.amdhsa_group_segment_fixed_size 0
		.amdhsa_private_segment_fixed_size 0
		.amdhsa_kernarg_size 144
		.amdhsa_user_sgpr_count 2
		.amdhsa_user_sgpr_dispatch_ptr 0
		.amdhsa_user_sgpr_queue_ptr 0
		.amdhsa_user_sgpr_kernarg_segment_ptr 1
		.amdhsa_user_sgpr_dispatch_id 0
		.amdhsa_user_sgpr_kernarg_preload_length 0
		.amdhsa_user_sgpr_kernarg_preload_offset 0
		.amdhsa_user_sgpr_private_segment_size 0
		.amdhsa_wavefront_size32 1
		.amdhsa_uses_dynamic_stack 0
		.amdhsa_enable_private_segment 0
		.amdhsa_system_sgpr_workgroup_id_x 1
		.amdhsa_system_sgpr_workgroup_id_y 0
		.amdhsa_system_sgpr_workgroup_id_z 0
		.amdhsa_system_sgpr_workgroup_info 0
		.amdhsa_system_vgpr_workitem_id 0
		.amdhsa_next_free_vgpr 1
		.amdhsa_next_free_sgpr 1
		.amdhsa_named_barrier_count 0
		.amdhsa_reserve_vcc 0
		.amdhsa_float_round_mode_32 0
		.amdhsa_float_round_mode_16_64 0
		.amdhsa_float_denorm_mode_32 3
		.amdhsa_float_denorm_mode_16_64 3
		.amdhsa_fp16_overflow 0
		.amdhsa_memory_ordered 1
		.amdhsa_forward_progress 1
		.amdhsa_inst_pref_size 0
		.amdhsa_round_robin_scheduling 0
		.amdhsa_exception_fp_ieee_invalid_op 0
		.amdhsa_exception_fp_denorm_src 0
		.amdhsa_exception_fp_ieee_div_zero 0
		.amdhsa_exception_fp_ieee_overflow 0
		.amdhsa_exception_fp_ieee_underflow 0
		.amdhsa_exception_fp_ieee_inexact 0
		.amdhsa_exception_int_div_zero 0
	.end_amdhsa_kernel
	.section	.text._ZN7rocprim17ROCPRIM_400000_NS6detail17trampoline_kernelINS0_13select_configILj256ELj13ELNS0_17block_load_methodE3ELS4_3ELS4_3ELNS0_20block_scan_algorithmE0ELj4294967295EEENS1_25partition_config_selectorILNS1_17partition_subalgoE3EjNS0_10empty_typeEbEEZZNS1_14partition_implILS8_3ELb0ES6_jNS0_17counting_iteratorIjlEEPS9_SE_NS0_5tupleIJPjSE_EEENSF_IJSE_SE_EEES9_SG_JZNS1_25segmented_radix_sort_implINS0_14default_configELb1EPK6__halfPSL_PKlPlN2at6native12_GLOBAL__N_18offset_tEEE10hipError_tPvRmT1_PNSt15iterator_traitsISZ_E10value_typeET2_T3_PNS10_IS15_E10value_typeET4_jRbjT5_S1B_jjP12ihipStream_tbEUljE_EEESW_SX_SY_S15_S19_S1B_T6_T7_T9_mT8_S1D_bDpT10_ENKUlT_T0_E_clISt17integral_constantIbLb0EES1Q_EEDaS1L_S1M_EUlS1L_E_NS1_11comp_targetILNS1_3genE9ELNS1_11target_archE1100ELNS1_3gpuE3ELNS1_3repE0EEENS1_30default_config_static_selectorELNS0_4arch9wavefront6targetE0EEEvSZ_,"axG",@progbits,_ZN7rocprim17ROCPRIM_400000_NS6detail17trampoline_kernelINS0_13select_configILj256ELj13ELNS0_17block_load_methodE3ELS4_3ELS4_3ELNS0_20block_scan_algorithmE0ELj4294967295EEENS1_25partition_config_selectorILNS1_17partition_subalgoE3EjNS0_10empty_typeEbEEZZNS1_14partition_implILS8_3ELb0ES6_jNS0_17counting_iteratorIjlEEPS9_SE_NS0_5tupleIJPjSE_EEENSF_IJSE_SE_EEES9_SG_JZNS1_25segmented_radix_sort_implINS0_14default_configELb1EPK6__halfPSL_PKlPlN2at6native12_GLOBAL__N_18offset_tEEE10hipError_tPvRmT1_PNSt15iterator_traitsISZ_E10value_typeET2_T3_PNS10_IS15_E10value_typeET4_jRbjT5_S1B_jjP12ihipStream_tbEUljE_EEESW_SX_SY_S15_S19_S1B_T6_T7_T9_mT8_S1D_bDpT10_ENKUlT_T0_E_clISt17integral_constantIbLb0EES1Q_EEDaS1L_S1M_EUlS1L_E_NS1_11comp_targetILNS1_3genE9ELNS1_11target_archE1100ELNS1_3gpuE3ELNS1_3repE0EEENS1_30default_config_static_selectorELNS0_4arch9wavefront6targetE0EEEvSZ_,comdat
.Lfunc_end1703:
	.size	_ZN7rocprim17ROCPRIM_400000_NS6detail17trampoline_kernelINS0_13select_configILj256ELj13ELNS0_17block_load_methodE3ELS4_3ELS4_3ELNS0_20block_scan_algorithmE0ELj4294967295EEENS1_25partition_config_selectorILNS1_17partition_subalgoE3EjNS0_10empty_typeEbEEZZNS1_14partition_implILS8_3ELb0ES6_jNS0_17counting_iteratorIjlEEPS9_SE_NS0_5tupleIJPjSE_EEENSF_IJSE_SE_EEES9_SG_JZNS1_25segmented_radix_sort_implINS0_14default_configELb1EPK6__halfPSL_PKlPlN2at6native12_GLOBAL__N_18offset_tEEE10hipError_tPvRmT1_PNSt15iterator_traitsISZ_E10value_typeET2_T3_PNS10_IS15_E10value_typeET4_jRbjT5_S1B_jjP12ihipStream_tbEUljE_EEESW_SX_SY_S15_S19_S1B_T6_T7_T9_mT8_S1D_bDpT10_ENKUlT_T0_E_clISt17integral_constantIbLb0EES1Q_EEDaS1L_S1M_EUlS1L_E_NS1_11comp_targetILNS1_3genE9ELNS1_11target_archE1100ELNS1_3gpuE3ELNS1_3repE0EEENS1_30default_config_static_selectorELNS0_4arch9wavefront6targetE0EEEvSZ_, .Lfunc_end1703-_ZN7rocprim17ROCPRIM_400000_NS6detail17trampoline_kernelINS0_13select_configILj256ELj13ELNS0_17block_load_methodE3ELS4_3ELS4_3ELNS0_20block_scan_algorithmE0ELj4294967295EEENS1_25partition_config_selectorILNS1_17partition_subalgoE3EjNS0_10empty_typeEbEEZZNS1_14partition_implILS8_3ELb0ES6_jNS0_17counting_iteratorIjlEEPS9_SE_NS0_5tupleIJPjSE_EEENSF_IJSE_SE_EEES9_SG_JZNS1_25segmented_radix_sort_implINS0_14default_configELb1EPK6__halfPSL_PKlPlN2at6native12_GLOBAL__N_18offset_tEEE10hipError_tPvRmT1_PNSt15iterator_traitsISZ_E10value_typeET2_T3_PNS10_IS15_E10value_typeET4_jRbjT5_S1B_jjP12ihipStream_tbEUljE_EEESW_SX_SY_S15_S19_S1B_T6_T7_T9_mT8_S1D_bDpT10_ENKUlT_T0_E_clISt17integral_constantIbLb0EES1Q_EEDaS1L_S1M_EUlS1L_E_NS1_11comp_targetILNS1_3genE9ELNS1_11target_archE1100ELNS1_3gpuE3ELNS1_3repE0EEENS1_30default_config_static_selectorELNS0_4arch9wavefront6targetE0EEEvSZ_
                                        ; -- End function
	.set _ZN7rocprim17ROCPRIM_400000_NS6detail17trampoline_kernelINS0_13select_configILj256ELj13ELNS0_17block_load_methodE3ELS4_3ELS4_3ELNS0_20block_scan_algorithmE0ELj4294967295EEENS1_25partition_config_selectorILNS1_17partition_subalgoE3EjNS0_10empty_typeEbEEZZNS1_14partition_implILS8_3ELb0ES6_jNS0_17counting_iteratorIjlEEPS9_SE_NS0_5tupleIJPjSE_EEENSF_IJSE_SE_EEES9_SG_JZNS1_25segmented_radix_sort_implINS0_14default_configELb1EPK6__halfPSL_PKlPlN2at6native12_GLOBAL__N_18offset_tEEE10hipError_tPvRmT1_PNSt15iterator_traitsISZ_E10value_typeET2_T3_PNS10_IS15_E10value_typeET4_jRbjT5_S1B_jjP12ihipStream_tbEUljE_EEESW_SX_SY_S15_S19_S1B_T6_T7_T9_mT8_S1D_bDpT10_ENKUlT_T0_E_clISt17integral_constantIbLb0EES1Q_EEDaS1L_S1M_EUlS1L_E_NS1_11comp_targetILNS1_3genE9ELNS1_11target_archE1100ELNS1_3gpuE3ELNS1_3repE0EEENS1_30default_config_static_selectorELNS0_4arch9wavefront6targetE0EEEvSZ_.num_vgpr, 0
	.set _ZN7rocprim17ROCPRIM_400000_NS6detail17trampoline_kernelINS0_13select_configILj256ELj13ELNS0_17block_load_methodE3ELS4_3ELS4_3ELNS0_20block_scan_algorithmE0ELj4294967295EEENS1_25partition_config_selectorILNS1_17partition_subalgoE3EjNS0_10empty_typeEbEEZZNS1_14partition_implILS8_3ELb0ES6_jNS0_17counting_iteratorIjlEEPS9_SE_NS0_5tupleIJPjSE_EEENSF_IJSE_SE_EEES9_SG_JZNS1_25segmented_radix_sort_implINS0_14default_configELb1EPK6__halfPSL_PKlPlN2at6native12_GLOBAL__N_18offset_tEEE10hipError_tPvRmT1_PNSt15iterator_traitsISZ_E10value_typeET2_T3_PNS10_IS15_E10value_typeET4_jRbjT5_S1B_jjP12ihipStream_tbEUljE_EEESW_SX_SY_S15_S19_S1B_T6_T7_T9_mT8_S1D_bDpT10_ENKUlT_T0_E_clISt17integral_constantIbLb0EES1Q_EEDaS1L_S1M_EUlS1L_E_NS1_11comp_targetILNS1_3genE9ELNS1_11target_archE1100ELNS1_3gpuE3ELNS1_3repE0EEENS1_30default_config_static_selectorELNS0_4arch9wavefront6targetE0EEEvSZ_.num_agpr, 0
	.set _ZN7rocprim17ROCPRIM_400000_NS6detail17trampoline_kernelINS0_13select_configILj256ELj13ELNS0_17block_load_methodE3ELS4_3ELS4_3ELNS0_20block_scan_algorithmE0ELj4294967295EEENS1_25partition_config_selectorILNS1_17partition_subalgoE3EjNS0_10empty_typeEbEEZZNS1_14partition_implILS8_3ELb0ES6_jNS0_17counting_iteratorIjlEEPS9_SE_NS0_5tupleIJPjSE_EEENSF_IJSE_SE_EEES9_SG_JZNS1_25segmented_radix_sort_implINS0_14default_configELb1EPK6__halfPSL_PKlPlN2at6native12_GLOBAL__N_18offset_tEEE10hipError_tPvRmT1_PNSt15iterator_traitsISZ_E10value_typeET2_T3_PNS10_IS15_E10value_typeET4_jRbjT5_S1B_jjP12ihipStream_tbEUljE_EEESW_SX_SY_S15_S19_S1B_T6_T7_T9_mT8_S1D_bDpT10_ENKUlT_T0_E_clISt17integral_constantIbLb0EES1Q_EEDaS1L_S1M_EUlS1L_E_NS1_11comp_targetILNS1_3genE9ELNS1_11target_archE1100ELNS1_3gpuE3ELNS1_3repE0EEENS1_30default_config_static_selectorELNS0_4arch9wavefront6targetE0EEEvSZ_.numbered_sgpr, 0
	.set _ZN7rocprim17ROCPRIM_400000_NS6detail17trampoline_kernelINS0_13select_configILj256ELj13ELNS0_17block_load_methodE3ELS4_3ELS4_3ELNS0_20block_scan_algorithmE0ELj4294967295EEENS1_25partition_config_selectorILNS1_17partition_subalgoE3EjNS0_10empty_typeEbEEZZNS1_14partition_implILS8_3ELb0ES6_jNS0_17counting_iteratorIjlEEPS9_SE_NS0_5tupleIJPjSE_EEENSF_IJSE_SE_EEES9_SG_JZNS1_25segmented_radix_sort_implINS0_14default_configELb1EPK6__halfPSL_PKlPlN2at6native12_GLOBAL__N_18offset_tEEE10hipError_tPvRmT1_PNSt15iterator_traitsISZ_E10value_typeET2_T3_PNS10_IS15_E10value_typeET4_jRbjT5_S1B_jjP12ihipStream_tbEUljE_EEESW_SX_SY_S15_S19_S1B_T6_T7_T9_mT8_S1D_bDpT10_ENKUlT_T0_E_clISt17integral_constantIbLb0EES1Q_EEDaS1L_S1M_EUlS1L_E_NS1_11comp_targetILNS1_3genE9ELNS1_11target_archE1100ELNS1_3gpuE3ELNS1_3repE0EEENS1_30default_config_static_selectorELNS0_4arch9wavefront6targetE0EEEvSZ_.num_named_barrier, 0
	.set _ZN7rocprim17ROCPRIM_400000_NS6detail17trampoline_kernelINS0_13select_configILj256ELj13ELNS0_17block_load_methodE3ELS4_3ELS4_3ELNS0_20block_scan_algorithmE0ELj4294967295EEENS1_25partition_config_selectorILNS1_17partition_subalgoE3EjNS0_10empty_typeEbEEZZNS1_14partition_implILS8_3ELb0ES6_jNS0_17counting_iteratorIjlEEPS9_SE_NS0_5tupleIJPjSE_EEENSF_IJSE_SE_EEES9_SG_JZNS1_25segmented_radix_sort_implINS0_14default_configELb1EPK6__halfPSL_PKlPlN2at6native12_GLOBAL__N_18offset_tEEE10hipError_tPvRmT1_PNSt15iterator_traitsISZ_E10value_typeET2_T3_PNS10_IS15_E10value_typeET4_jRbjT5_S1B_jjP12ihipStream_tbEUljE_EEESW_SX_SY_S15_S19_S1B_T6_T7_T9_mT8_S1D_bDpT10_ENKUlT_T0_E_clISt17integral_constantIbLb0EES1Q_EEDaS1L_S1M_EUlS1L_E_NS1_11comp_targetILNS1_3genE9ELNS1_11target_archE1100ELNS1_3gpuE3ELNS1_3repE0EEENS1_30default_config_static_selectorELNS0_4arch9wavefront6targetE0EEEvSZ_.private_seg_size, 0
	.set _ZN7rocprim17ROCPRIM_400000_NS6detail17trampoline_kernelINS0_13select_configILj256ELj13ELNS0_17block_load_methodE3ELS4_3ELS4_3ELNS0_20block_scan_algorithmE0ELj4294967295EEENS1_25partition_config_selectorILNS1_17partition_subalgoE3EjNS0_10empty_typeEbEEZZNS1_14partition_implILS8_3ELb0ES6_jNS0_17counting_iteratorIjlEEPS9_SE_NS0_5tupleIJPjSE_EEENSF_IJSE_SE_EEES9_SG_JZNS1_25segmented_radix_sort_implINS0_14default_configELb1EPK6__halfPSL_PKlPlN2at6native12_GLOBAL__N_18offset_tEEE10hipError_tPvRmT1_PNSt15iterator_traitsISZ_E10value_typeET2_T3_PNS10_IS15_E10value_typeET4_jRbjT5_S1B_jjP12ihipStream_tbEUljE_EEESW_SX_SY_S15_S19_S1B_T6_T7_T9_mT8_S1D_bDpT10_ENKUlT_T0_E_clISt17integral_constantIbLb0EES1Q_EEDaS1L_S1M_EUlS1L_E_NS1_11comp_targetILNS1_3genE9ELNS1_11target_archE1100ELNS1_3gpuE3ELNS1_3repE0EEENS1_30default_config_static_selectorELNS0_4arch9wavefront6targetE0EEEvSZ_.uses_vcc, 0
	.set _ZN7rocprim17ROCPRIM_400000_NS6detail17trampoline_kernelINS0_13select_configILj256ELj13ELNS0_17block_load_methodE3ELS4_3ELS4_3ELNS0_20block_scan_algorithmE0ELj4294967295EEENS1_25partition_config_selectorILNS1_17partition_subalgoE3EjNS0_10empty_typeEbEEZZNS1_14partition_implILS8_3ELb0ES6_jNS0_17counting_iteratorIjlEEPS9_SE_NS0_5tupleIJPjSE_EEENSF_IJSE_SE_EEES9_SG_JZNS1_25segmented_radix_sort_implINS0_14default_configELb1EPK6__halfPSL_PKlPlN2at6native12_GLOBAL__N_18offset_tEEE10hipError_tPvRmT1_PNSt15iterator_traitsISZ_E10value_typeET2_T3_PNS10_IS15_E10value_typeET4_jRbjT5_S1B_jjP12ihipStream_tbEUljE_EEESW_SX_SY_S15_S19_S1B_T6_T7_T9_mT8_S1D_bDpT10_ENKUlT_T0_E_clISt17integral_constantIbLb0EES1Q_EEDaS1L_S1M_EUlS1L_E_NS1_11comp_targetILNS1_3genE9ELNS1_11target_archE1100ELNS1_3gpuE3ELNS1_3repE0EEENS1_30default_config_static_selectorELNS0_4arch9wavefront6targetE0EEEvSZ_.uses_flat_scratch, 0
	.set _ZN7rocprim17ROCPRIM_400000_NS6detail17trampoline_kernelINS0_13select_configILj256ELj13ELNS0_17block_load_methodE3ELS4_3ELS4_3ELNS0_20block_scan_algorithmE0ELj4294967295EEENS1_25partition_config_selectorILNS1_17partition_subalgoE3EjNS0_10empty_typeEbEEZZNS1_14partition_implILS8_3ELb0ES6_jNS0_17counting_iteratorIjlEEPS9_SE_NS0_5tupleIJPjSE_EEENSF_IJSE_SE_EEES9_SG_JZNS1_25segmented_radix_sort_implINS0_14default_configELb1EPK6__halfPSL_PKlPlN2at6native12_GLOBAL__N_18offset_tEEE10hipError_tPvRmT1_PNSt15iterator_traitsISZ_E10value_typeET2_T3_PNS10_IS15_E10value_typeET4_jRbjT5_S1B_jjP12ihipStream_tbEUljE_EEESW_SX_SY_S15_S19_S1B_T6_T7_T9_mT8_S1D_bDpT10_ENKUlT_T0_E_clISt17integral_constantIbLb0EES1Q_EEDaS1L_S1M_EUlS1L_E_NS1_11comp_targetILNS1_3genE9ELNS1_11target_archE1100ELNS1_3gpuE3ELNS1_3repE0EEENS1_30default_config_static_selectorELNS0_4arch9wavefront6targetE0EEEvSZ_.has_dyn_sized_stack, 0
	.set _ZN7rocprim17ROCPRIM_400000_NS6detail17trampoline_kernelINS0_13select_configILj256ELj13ELNS0_17block_load_methodE3ELS4_3ELS4_3ELNS0_20block_scan_algorithmE0ELj4294967295EEENS1_25partition_config_selectorILNS1_17partition_subalgoE3EjNS0_10empty_typeEbEEZZNS1_14partition_implILS8_3ELb0ES6_jNS0_17counting_iteratorIjlEEPS9_SE_NS0_5tupleIJPjSE_EEENSF_IJSE_SE_EEES9_SG_JZNS1_25segmented_radix_sort_implINS0_14default_configELb1EPK6__halfPSL_PKlPlN2at6native12_GLOBAL__N_18offset_tEEE10hipError_tPvRmT1_PNSt15iterator_traitsISZ_E10value_typeET2_T3_PNS10_IS15_E10value_typeET4_jRbjT5_S1B_jjP12ihipStream_tbEUljE_EEESW_SX_SY_S15_S19_S1B_T6_T7_T9_mT8_S1D_bDpT10_ENKUlT_T0_E_clISt17integral_constantIbLb0EES1Q_EEDaS1L_S1M_EUlS1L_E_NS1_11comp_targetILNS1_3genE9ELNS1_11target_archE1100ELNS1_3gpuE3ELNS1_3repE0EEENS1_30default_config_static_selectorELNS0_4arch9wavefront6targetE0EEEvSZ_.has_recursion, 0
	.set _ZN7rocprim17ROCPRIM_400000_NS6detail17trampoline_kernelINS0_13select_configILj256ELj13ELNS0_17block_load_methodE3ELS4_3ELS4_3ELNS0_20block_scan_algorithmE0ELj4294967295EEENS1_25partition_config_selectorILNS1_17partition_subalgoE3EjNS0_10empty_typeEbEEZZNS1_14partition_implILS8_3ELb0ES6_jNS0_17counting_iteratorIjlEEPS9_SE_NS0_5tupleIJPjSE_EEENSF_IJSE_SE_EEES9_SG_JZNS1_25segmented_radix_sort_implINS0_14default_configELb1EPK6__halfPSL_PKlPlN2at6native12_GLOBAL__N_18offset_tEEE10hipError_tPvRmT1_PNSt15iterator_traitsISZ_E10value_typeET2_T3_PNS10_IS15_E10value_typeET4_jRbjT5_S1B_jjP12ihipStream_tbEUljE_EEESW_SX_SY_S15_S19_S1B_T6_T7_T9_mT8_S1D_bDpT10_ENKUlT_T0_E_clISt17integral_constantIbLb0EES1Q_EEDaS1L_S1M_EUlS1L_E_NS1_11comp_targetILNS1_3genE9ELNS1_11target_archE1100ELNS1_3gpuE3ELNS1_3repE0EEENS1_30default_config_static_selectorELNS0_4arch9wavefront6targetE0EEEvSZ_.has_indirect_call, 0
	.section	.AMDGPU.csdata,"",@progbits
; Kernel info:
; codeLenInByte = 0
; TotalNumSgprs: 0
; NumVgprs: 0
; ScratchSize: 0
; MemoryBound: 0
; FloatMode: 240
; IeeeMode: 1
; LDSByteSize: 0 bytes/workgroup (compile time only)
; SGPRBlocks: 0
; VGPRBlocks: 0
; NumSGPRsForWavesPerEU: 1
; NumVGPRsForWavesPerEU: 1
; NamedBarCnt: 0
; Occupancy: 16
; WaveLimiterHint : 0
; COMPUTE_PGM_RSRC2:SCRATCH_EN: 0
; COMPUTE_PGM_RSRC2:USER_SGPR: 2
; COMPUTE_PGM_RSRC2:TRAP_HANDLER: 0
; COMPUTE_PGM_RSRC2:TGID_X_EN: 1
; COMPUTE_PGM_RSRC2:TGID_Y_EN: 0
; COMPUTE_PGM_RSRC2:TGID_Z_EN: 0
; COMPUTE_PGM_RSRC2:TIDIG_COMP_CNT: 0
	.section	.text._ZN7rocprim17ROCPRIM_400000_NS6detail17trampoline_kernelINS0_13select_configILj256ELj13ELNS0_17block_load_methodE3ELS4_3ELS4_3ELNS0_20block_scan_algorithmE0ELj4294967295EEENS1_25partition_config_selectorILNS1_17partition_subalgoE3EjNS0_10empty_typeEbEEZZNS1_14partition_implILS8_3ELb0ES6_jNS0_17counting_iteratorIjlEEPS9_SE_NS0_5tupleIJPjSE_EEENSF_IJSE_SE_EEES9_SG_JZNS1_25segmented_radix_sort_implINS0_14default_configELb1EPK6__halfPSL_PKlPlN2at6native12_GLOBAL__N_18offset_tEEE10hipError_tPvRmT1_PNSt15iterator_traitsISZ_E10value_typeET2_T3_PNS10_IS15_E10value_typeET4_jRbjT5_S1B_jjP12ihipStream_tbEUljE_EEESW_SX_SY_S15_S19_S1B_T6_T7_T9_mT8_S1D_bDpT10_ENKUlT_T0_E_clISt17integral_constantIbLb0EES1Q_EEDaS1L_S1M_EUlS1L_E_NS1_11comp_targetILNS1_3genE8ELNS1_11target_archE1030ELNS1_3gpuE2ELNS1_3repE0EEENS1_30default_config_static_selectorELNS0_4arch9wavefront6targetE0EEEvSZ_,"axG",@progbits,_ZN7rocprim17ROCPRIM_400000_NS6detail17trampoline_kernelINS0_13select_configILj256ELj13ELNS0_17block_load_methodE3ELS4_3ELS4_3ELNS0_20block_scan_algorithmE0ELj4294967295EEENS1_25partition_config_selectorILNS1_17partition_subalgoE3EjNS0_10empty_typeEbEEZZNS1_14partition_implILS8_3ELb0ES6_jNS0_17counting_iteratorIjlEEPS9_SE_NS0_5tupleIJPjSE_EEENSF_IJSE_SE_EEES9_SG_JZNS1_25segmented_radix_sort_implINS0_14default_configELb1EPK6__halfPSL_PKlPlN2at6native12_GLOBAL__N_18offset_tEEE10hipError_tPvRmT1_PNSt15iterator_traitsISZ_E10value_typeET2_T3_PNS10_IS15_E10value_typeET4_jRbjT5_S1B_jjP12ihipStream_tbEUljE_EEESW_SX_SY_S15_S19_S1B_T6_T7_T9_mT8_S1D_bDpT10_ENKUlT_T0_E_clISt17integral_constantIbLb0EES1Q_EEDaS1L_S1M_EUlS1L_E_NS1_11comp_targetILNS1_3genE8ELNS1_11target_archE1030ELNS1_3gpuE2ELNS1_3repE0EEENS1_30default_config_static_selectorELNS0_4arch9wavefront6targetE0EEEvSZ_,comdat
	.globl	_ZN7rocprim17ROCPRIM_400000_NS6detail17trampoline_kernelINS0_13select_configILj256ELj13ELNS0_17block_load_methodE3ELS4_3ELS4_3ELNS0_20block_scan_algorithmE0ELj4294967295EEENS1_25partition_config_selectorILNS1_17partition_subalgoE3EjNS0_10empty_typeEbEEZZNS1_14partition_implILS8_3ELb0ES6_jNS0_17counting_iteratorIjlEEPS9_SE_NS0_5tupleIJPjSE_EEENSF_IJSE_SE_EEES9_SG_JZNS1_25segmented_radix_sort_implINS0_14default_configELb1EPK6__halfPSL_PKlPlN2at6native12_GLOBAL__N_18offset_tEEE10hipError_tPvRmT1_PNSt15iterator_traitsISZ_E10value_typeET2_T3_PNS10_IS15_E10value_typeET4_jRbjT5_S1B_jjP12ihipStream_tbEUljE_EEESW_SX_SY_S15_S19_S1B_T6_T7_T9_mT8_S1D_bDpT10_ENKUlT_T0_E_clISt17integral_constantIbLb0EES1Q_EEDaS1L_S1M_EUlS1L_E_NS1_11comp_targetILNS1_3genE8ELNS1_11target_archE1030ELNS1_3gpuE2ELNS1_3repE0EEENS1_30default_config_static_selectorELNS0_4arch9wavefront6targetE0EEEvSZ_ ; -- Begin function _ZN7rocprim17ROCPRIM_400000_NS6detail17trampoline_kernelINS0_13select_configILj256ELj13ELNS0_17block_load_methodE3ELS4_3ELS4_3ELNS0_20block_scan_algorithmE0ELj4294967295EEENS1_25partition_config_selectorILNS1_17partition_subalgoE3EjNS0_10empty_typeEbEEZZNS1_14partition_implILS8_3ELb0ES6_jNS0_17counting_iteratorIjlEEPS9_SE_NS0_5tupleIJPjSE_EEENSF_IJSE_SE_EEES9_SG_JZNS1_25segmented_radix_sort_implINS0_14default_configELb1EPK6__halfPSL_PKlPlN2at6native12_GLOBAL__N_18offset_tEEE10hipError_tPvRmT1_PNSt15iterator_traitsISZ_E10value_typeET2_T3_PNS10_IS15_E10value_typeET4_jRbjT5_S1B_jjP12ihipStream_tbEUljE_EEESW_SX_SY_S15_S19_S1B_T6_T7_T9_mT8_S1D_bDpT10_ENKUlT_T0_E_clISt17integral_constantIbLb0EES1Q_EEDaS1L_S1M_EUlS1L_E_NS1_11comp_targetILNS1_3genE8ELNS1_11target_archE1030ELNS1_3gpuE2ELNS1_3repE0EEENS1_30default_config_static_selectorELNS0_4arch9wavefront6targetE0EEEvSZ_
	.p2align	8
	.type	_ZN7rocprim17ROCPRIM_400000_NS6detail17trampoline_kernelINS0_13select_configILj256ELj13ELNS0_17block_load_methodE3ELS4_3ELS4_3ELNS0_20block_scan_algorithmE0ELj4294967295EEENS1_25partition_config_selectorILNS1_17partition_subalgoE3EjNS0_10empty_typeEbEEZZNS1_14partition_implILS8_3ELb0ES6_jNS0_17counting_iteratorIjlEEPS9_SE_NS0_5tupleIJPjSE_EEENSF_IJSE_SE_EEES9_SG_JZNS1_25segmented_radix_sort_implINS0_14default_configELb1EPK6__halfPSL_PKlPlN2at6native12_GLOBAL__N_18offset_tEEE10hipError_tPvRmT1_PNSt15iterator_traitsISZ_E10value_typeET2_T3_PNS10_IS15_E10value_typeET4_jRbjT5_S1B_jjP12ihipStream_tbEUljE_EEESW_SX_SY_S15_S19_S1B_T6_T7_T9_mT8_S1D_bDpT10_ENKUlT_T0_E_clISt17integral_constantIbLb0EES1Q_EEDaS1L_S1M_EUlS1L_E_NS1_11comp_targetILNS1_3genE8ELNS1_11target_archE1030ELNS1_3gpuE2ELNS1_3repE0EEENS1_30default_config_static_selectorELNS0_4arch9wavefront6targetE0EEEvSZ_,@function
_ZN7rocprim17ROCPRIM_400000_NS6detail17trampoline_kernelINS0_13select_configILj256ELj13ELNS0_17block_load_methodE3ELS4_3ELS4_3ELNS0_20block_scan_algorithmE0ELj4294967295EEENS1_25partition_config_selectorILNS1_17partition_subalgoE3EjNS0_10empty_typeEbEEZZNS1_14partition_implILS8_3ELb0ES6_jNS0_17counting_iteratorIjlEEPS9_SE_NS0_5tupleIJPjSE_EEENSF_IJSE_SE_EEES9_SG_JZNS1_25segmented_radix_sort_implINS0_14default_configELb1EPK6__halfPSL_PKlPlN2at6native12_GLOBAL__N_18offset_tEEE10hipError_tPvRmT1_PNSt15iterator_traitsISZ_E10value_typeET2_T3_PNS10_IS15_E10value_typeET4_jRbjT5_S1B_jjP12ihipStream_tbEUljE_EEESW_SX_SY_S15_S19_S1B_T6_T7_T9_mT8_S1D_bDpT10_ENKUlT_T0_E_clISt17integral_constantIbLb0EES1Q_EEDaS1L_S1M_EUlS1L_E_NS1_11comp_targetILNS1_3genE8ELNS1_11target_archE1030ELNS1_3gpuE2ELNS1_3repE0EEENS1_30default_config_static_selectorELNS0_4arch9wavefront6targetE0EEEvSZ_: ; @_ZN7rocprim17ROCPRIM_400000_NS6detail17trampoline_kernelINS0_13select_configILj256ELj13ELNS0_17block_load_methodE3ELS4_3ELS4_3ELNS0_20block_scan_algorithmE0ELj4294967295EEENS1_25partition_config_selectorILNS1_17partition_subalgoE3EjNS0_10empty_typeEbEEZZNS1_14partition_implILS8_3ELb0ES6_jNS0_17counting_iteratorIjlEEPS9_SE_NS0_5tupleIJPjSE_EEENSF_IJSE_SE_EEES9_SG_JZNS1_25segmented_radix_sort_implINS0_14default_configELb1EPK6__halfPSL_PKlPlN2at6native12_GLOBAL__N_18offset_tEEE10hipError_tPvRmT1_PNSt15iterator_traitsISZ_E10value_typeET2_T3_PNS10_IS15_E10value_typeET4_jRbjT5_S1B_jjP12ihipStream_tbEUljE_EEESW_SX_SY_S15_S19_S1B_T6_T7_T9_mT8_S1D_bDpT10_ENKUlT_T0_E_clISt17integral_constantIbLb0EES1Q_EEDaS1L_S1M_EUlS1L_E_NS1_11comp_targetILNS1_3genE8ELNS1_11target_archE1030ELNS1_3gpuE2ELNS1_3repE0EEENS1_30default_config_static_selectorELNS0_4arch9wavefront6targetE0EEEvSZ_
; %bb.0:
	.section	.rodata,"a",@progbits
	.p2align	6, 0x0
	.amdhsa_kernel _ZN7rocprim17ROCPRIM_400000_NS6detail17trampoline_kernelINS0_13select_configILj256ELj13ELNS0_17block_load_methodE3ELS4_3ELS4_3ELNS0_20block_scan_algorithmE0ELj4294967295EEENS1_25partition_config_selectorILNS1_17partition_subalgoE3EjNS0_10empty_typeEbEEZZNS1_14partition_implILS8_3ELb0ES6_jNS0_17counting_iteratorIjlEEPS9_SE_NS0_5tupleIJPjSE_EEENSF_IJSE_SE_EEES9_SG_JZNS1_25segmented_radix_sort_implINS0_14default_configELb1EPK6__halfPSL_PKlPlN2at6native12_GLOBAL__N_18offset_tEEE10hipError_tPvRmT1_PNSt15iterator_traitsISZ_E10value_typeET2_T3_PNS10_IS15_E10value_typeET4_jRbjT5_S1B_jjP12ihipStream_tbEUljE_EEESW_SX_SY_S15_S19_S1B_T6_T7_T9_mT8_S1D_bDpT10_ENKUlT_T0_E_clISt17integral_constantIbLb0EES1Q_EEDaS1L_S1M_EUlS1L_E_NS1_11comp_targetILNS1_3genE8ELNS1_11target_archE1030ELNS1_3gpuE2ELNS1_3repE0EEENS1_30default_config_static_selectorELNS0_4arch9wavefront6targetE0EEEvSZ_
		.amdhsa_group_segment_fixed_size 0
		.amdhsa_private_segment_fixed_size 0
		.amdhsa_kernarg_size 144
		.amdhsa_user_sgpr_count 2
		.amdhsa_user_sgpr_dispatch_ptr 0
		.amdhsa_user_sgpr_queue_ptr 0
		.amdhsa_user_sgpr_kernarg_segment_ptr 1
		.amdhsa_user_sgpr_dispatch_id 0
		.amdhsa_user_sgpr_kernarg_preload_length 0
		.amdhsa_user_sgpr_kernarg_preload_offset 0
		.amdhsa_user_sgpr_private_segment_size 0
		.amdhsa_wavefront_size32 1
		.amdhsa_uses_dynamic_stack 0
		.amdhsa_enable_private_segment 0
		.amdhsa_system_sgpr_workgroup_id_x 1
		.amdhsa_system_sgpr_workgroup_id_y 0
		.amdhsa_system_sgpr_workgroup_id_z 0
		.amdhsa_system_sgpr_workgroup_info 0
		.amdhsa_system_vgpr_workitem_id 0
		.amdhsa_next_free_vgpr 1
		.amdhsa_next_free_sgpr 1
		.amdhsa_named_barrier_count 0
		.amdhsa_reserve_vcc 0
		.amdhsa_float_round_mode_32 0
		.amdhsa_float_round_mode_16_64 0
		.amdhsa_float_denorm_mode_32 3
		.amdhsa_float_denorm_mode_16_64 3
		.amdhsa_fp16_overflow 0
		.amdhsa_memory_ordered 1
		.amdhsa_forward_progress 1
		.amdhsa_inst_pref_size 0
		.amdhsa_round_robin_scheduling 0
		.amdhsa_exception_fp_ieee_invalid_op 0
		.amdhsa_exception_fp_denorm_src 0
		.amdhsa_exception_fp_ieee_div_zero 0
		.amdhsa_exception_fp_ieee_overflow 0
		.amdhsa_exception_fp_ieee_underflow 0
		.amdhsa_exception_fp_ieee_inexact 0
		.amdhsa_exception_int_div_zero 0
	.end_amdhsa_kernel
	.section	.text._ZN7rocprim17ROCPRIM_400000_NS6detail17trampoline_kernelINS0_13select_configILj256ELj13ELNS0_17block_load_methodE3ELS4_3ELS4_3ELNS0_20block_scan_algorithmE0ELj4294967295EEENS1_25partition_config_selectorILNS1_17partition_subalgoE3EjNS0_10empty_typeEbEEZZNS1_14partition_implILS8_3ELb0ES6_jNS0_17counting_iteratorIjlEEPS9_SE_NS0_5tupleIJPjSE_EEENSF_IJSE_SE_EEES9_SG_JZNS1_25segmented_radix_sort_implINS0_14default_configELb1EPK6__halfPSL_PKlPlN2at6native12_GLOBAL__N_18offset_tEEE10hipError_tPvRmT1_PNSt15iterator_traitsISZ_E10value_typeET2_T3_PNS10_IS15_E10value_typeET4_jRbjT5_S1B_jjP12ihipStream_tbEUljE_EEESW_SX_SY_S15_S19_S1B_T6_T7_T9_mT8_S1D_bDpT10_ENKUlT_T0_E_clISt17integral_constantIbLb0EES1Q_EEDaS1L_S1M_EUlS1L_E_NS1_11comp_targetILNS1_3genE8ELNS1_11target_archE1030ELNS1_3gpuE2ELNS1_3repE0EEENS1_30default_config_static_selectorELNS0_4arch9wavefront6targetE0EEEvSZ_,"axG",@progbits,_ZN7rocprim17ROCPRIM_400000_NS6detail17trampoline_kernelINS0_13select_configILj256ELj13ELNS0_17block_load_methodE3ELS4_3ELS4_3ELNS0_20block_scan_algorithmE0ELj4294967295EEENS1_25partition_config_selectorILNS1_17partition_subalgoE3EjNS0_10empty_typeEbEEZZNS1_14partition_implILS8_3ELb0ES6_jNS0_17counting_iteratorIjlEEPS9_SE_NS0_5tupleIJPjSE_EEENSF_IJSE_SE_EEES9_SG_JZNS1_25segmented_radix_sort_implINS0_14default_configELb1EPK6__halfPSL_PKlPlN2at6native12_GLOBAL__N_18offset_tEEE10hipError_tPvRmT1_PNSt15iterator_traitsISZ_E10value_typeET2_T3_PNS10_IS15_E10value_typeET4_jRbjT5_S1B_jjP12ihipStream_tbEUljE_EEESW_SX_SY_S15_S19_S1B_T6_T7_T9_mT8_S1D_bDpT10_ENKUlT_T0_E_clISt17integral_constantIbLb0EES1Q_EEDaS1L_S1M_EUlS1L_E_NS1_11comp_targetILNS1_3genE8ELNS1_11target_archE1030ELNS1_3gpuE2ELNS1_3repE0EEENS1_30default_config_static_selectorELNS0_4arch9wavefront6targetE0EEEvSZ_,comdat
.Lfunc_end1704:
	.size	_ZN7rocprim17ROCPRIM_400000_NS6detail17trampoline_kernelINS0_13select_configILj256ELj13ELNS0_17block_load_methodE3ELS4_3ELS4_3ELNS0_20block_scan_algorithmE0ELj4294967295EEENS1_25partition_config_selectorILNS1_17partition_subalgoE3EjNS0_10empty_typeEbEEZZNS1_14partition_implILS8_3ELb0ES6_jNS0_17counting_iteratorIjlEEPS9_SE_NS0_5tupleIJPjSE_EEENSF_IJSE_SE_EEES9_SG_JZNS1_25segmented_radix_sort_implINS0_14default_configELb1EPK6__halfPSL_PKlPlN2at6native12_GLOBAL__N_18offset_tEEE10hipError_tPvRmT1_PNSt15iterator_traitsISZ_E10value_typeET2_T3_PNS10_IS15_E10value_typeET4_jRbjT5_S1B_jjP12ihipStream_tbEUljE_EEESW_SX_SY_S15_S19_S1B_T6_T7_T9_mT8_S1D_bDpT10_ENKUlT_T0_E_clISt17integral_constantIbLb0EES1Q_EEDaS1L_S1M_EUlS1L_E_NS1_11comp_targetILNS1_3genE8ELNS1_11target_archE1030ELNS1_3gpuE2ELNS1_3repE0EEENS1_30default_config_static_selectorELNS0_4arch9wavefront6targetE0EEEvSZ_, .Lfunc_end1704-_ZN7rocprim17ROCPRIM_400000_NS6detail17trampoline_kernelINS0_13select_configILj256ELj13ELNS0_17block_load_methodE3ELS4_3ELS4_3ELNS0_20block_scan_algorithmE0ELj4294967295EEENS1_25partition_config_selectorILNS1_17partition_subalgoE3EjNS0_10empty_typeEbEEZZNS1_14partition_implILS8_3ELb0ES6_jNS0_17counting_iteratorIjlEEPS9_SE_NS0_5tupleIJPjSE_EEENSF_IJSE_SE_EEES9_SG_JZNS1_25segmented_radix_sort_implINS0_14default_configELb1EPK6__halfPSL_PKlPlN2at6native12_GLOBAL__N_18offset_tEEE10hipError_tPvRmT1_PNSt15iterator_traitsISZ_E10value_typeET2_T3_PNS10_IS15_E10value_typeET4_jRbjT5_S1B_jjP12ihipStream_tbEUljE_EEESW_SX_SY_S15_S19_S1B_T6_T7_T9_mT8_S1D_bDpT10_ENKUlT_T0_E_clISt17integral_constantIbLb0EES1Q_EEDaS1L_S1M_EUlS1L_E_NS1_11comp_targetILNS1_3genE8ELNS1_11target_archE1030ELNS1_3gpuE2ELNS1_3repE0EEENS1_30default_config_static_selectorELNS0_4arch9wavefront6targetE0EEEvSZ_
                                        ; -- End function
	.set _ZN7rocprim17ROCPRIM_400000_NS6detail17trampoline_kernelINS0_13select_configILj256ELj13ELNS0_17block_load_methodE3ELS4_3ELS4_3ELNS0_20block_scan_algorithmE0ELj4294967295EEENS1_25partition_config_selectorILNS1_17partition_subalgoE3EjNS0_10empty_typeEbEEZZNS1_14partition_implILS8_3ELb0ES6_jNS0_17counting_iteratorIjlEEPS9_SE_NS0_5tupleIJPjSE_EEENSF_IJSE_SE_EEES9_SG_JZNS1_25segmented_radix_sort_implINS0_14default_configELb1EPK6__halfPSL_PKlPlN2at6native12_GLOBAL__N_18offset_tEEE10hipError_tPvRmT1_PNSt15iterator_traitsISZ_E10value_typeET2_T3_PNS10_IS15_E10value_typeET4_jRbjT5_S1B_jjP12ihipStream_tbEUljE_EEESW_SX_SY_S15_S19_S1B_T6_T7_T9_mT8_S1D_bDpT10_ENKUlT_T0_E_clISt17integral_constantIbLb0EES1Q_EEDaS1L_S1M_EUlS1L_E_NS1_11comp_targetILNS1_3genE8ELNS1_11target_archE1030ELNS1_3gpuE2ELNS1_3repE0EEENS1_30default_config_static_selectorELNS0_4arch9wavefront6targetE0EEEvSZ_.num_vgpr, 0
	.set _ZN7rocprim17ROCPRIM_400000_NS6detail17trampoline_kernelINS0_13select_configILj256ELj13ELNS0_17block_load_methodE3ELS4_3ELS4_3ELNS0_20block_scan_algorithmE0ELj4294967295EEENS1_25partition_config_selectorILNS1_17partition_subalgoE3EjNS0_10empty_typeEbEEZZNS1_14partition_implILS8_3ELb0ES6_jNS0_17counting_iteratorIjlEEPS9_SE_NS0_5tupleIJPjSE_EEENSF_IJSE_SE_EEES9_SG_JZNS1_25segmented_radix_sort_implINS0_14default_configELb1EPK6__halfPSL_PKlPlN2at6native12_GLOBAL__N_18offset_tEEE10hipError_tPvRmT1_PNSt15iterator_traitsISZ_E10value_typeET2_T3_PNS10_IS15_E10value_typeET4_jRbjT5_S1B_jjP12ihipStream_tbEUljE_EEESW_SX_SY_S15_S19_S1B_T6_T7_T9_mT8_S1D_bDpT10_ENKUlT_T0_E_clISt17integral_constantIbLb0EES1Q_EEDaS1L_S1M_EUlS1L_E_NS1_11comp_targetILNS1_3genE8ELNS1_11target_archE1030ELNS1_3gpuE2ELNS1_3repE0EEENS1_30default_config_static_selectorELNS0_4arch9wavefront6targetE0EEEvSZ_.num_agpr, 0
	.set _ZN7rocprim17ROCPRIM_400000_NS6detail17trampoline_kernelINS0_13select_configILj256ELj13ELNS0_17block_load_methodE3ELS4_3ELS4_3ELNS0_20block_scan_algorithmE0ELj4294967295EEENS1_25partition_config_selectorILNS1_17partition_subalgoE3EjNS0_10empty_typeEbEEZZNS1_14partition_implILS8_3ELb0ES6_jNS0_17counting_iteratorIjlEEPS9_SE_NS0_5tupleIJPjSE_EEENSF_IJSE_SE_EEES9_SG_JZNS1_25segmented_radix_sort_implINS0_14default_configELb1EPK6__halfPSL_PKlPlN2at6native12_GLOBAL__N_18offset_tEEE10hipError_tPvRmT1_PNSt15iterator_traitsISZ_E10value_typeET2_T3_PNS10_IS15_E10value_typeET4_jRbjT5_S1B_jjP12ihipStream_tbEUljE_EEESW_SX_SY_S15_S19_S1B_T6_T7_T9_mT8_S1D_bDpT10_ENKUlT_T0_E_clISt17integral_constantIbLb0EES1Q_EEDaS1L_S1M_EUlS1L_E_NS1_11comp_targetILNS1_3genE8ELNS1_11target_archE1030ELNS1_3gpuE2ELNS1_3repE0EEENS1_30default_config_static_selectorELNS0_4arch9wavefront6targetE0EEEvSZ_.numbered_sgpr, 0
	.set _ZN7rocprim17ROCPRIM_400000_NS6detail17trampoline_kernelINS0_13select_configILj256ELj13ELNS0_17block_load_methodE3ELS4_3ELS4_3ELNS0_20block_scan_algorithmE0ELj4294967295EEENS1_25partition_config_selectorILNS1_17partition_subalgoE3EjNS0_10empty_typeEbEEZZNS1_14partition_implILS8_3ELb0ES6_jNS0_17counting_iteratorIjlEEPS9_SE_NS0_5tupleIJPjSE_EEENSF_IJSE_SE_EEES9_SG_JZNS1_25segmented_radix_sort_implINS0_14default_configELb1EPK6__halfPSL_PKlPlN2at6native12_GLOBAL__N_18offset_tEEE10hipError_tPvRmT1_PNSt15iterator_traitsISZ_E10value_typeET2_T3_PNS10_IS15_E10value_typeET4_jRbjT5_S1B_jjP12ihipStream_tbEUljE_EEESW_SX_SY_S15_S19_S1B_T6_T7_T9_mT8_S1D_bDpT10_ENKUlT_T0_E_clISt17integral_constantIbLb0EES1Q_EEDaS1L_S1M_EUlS1L_E_NS1_11comp_targetILNS1_3genE8ELNS1_11target_archE1030ELNS1_3gpuE2ELNS1_3repE0EEENS1_30default_config_static_selectorELNS0_4arch9wavefront6targetE0EEEvSZ_.num_named_barrier, 0
	.set _ZN7rocprim17ROCPRIM_400000_NS6detail17trampoline_kernelINS0_13select_configILj256ELj13ELNS0_17block_load_methodE3ELS4_3ELS4_3ELNS0_20block_scan_algorithmE0ELj4294967295EEENS1_25partition_config_selectorILNS1_17partition_subalgoE3EjNS0_10empty_typeEbEEZZNS1_14partition_implILS8_3ELb0ES6_jNS0_17counting_iteratorIjlEEPS9_SE_NS0_5tupleIJPjSE_EEENSF_IJSE_SE_EEES9_SG_JZNS1_25segmented_radix_sort_implINS0_14default_configELb1EPK6__halfPSL_PKlPlN2at6native12_GLOBAL__N_18offset_tEEE10hipError_tPvRmT1_PNSt15iterator_traitsISZ_E10value_typeET2_T3_PNS10_IS15_E10value_typeET4_jRbjT5_S1B_jjP12ihipStream_tbEUljE_EEESW_SX_SY_S15_S19_S1B_T6_T7_T9_mT8_S1D_bDpT10_ENKUlT_T0_E_clISt17integral_constantIbLb0EES1Q_EEDaS1L_S1M_EUlS1L_E_NS1_11comp_targetILNS1_3genE8ELNS1_11target_archE1030ELNS1_3gpuE2ELNS1_3repE0EEENS1_30default_config_static_selectorELNS0_4arch9wavefront6targetE0EEEvSZ_.private_seg_size, 0
	.set _ZN7rocprim17ROCPRIM_400000_NS6detail17trampoline_kernelINS0_13select_configILj256ELj13ELNS0_17block_load_methodE3ELS4_3ELS4_3ELNS0_20block_scan_algorithmE0ELj4294967295EEENS1_25partition_config_selectorILNS1_17partition_subalgoE3EjNS0_10empty_typeEbEEZZNS1_14partition_implILS8_3ELb0ES6_jNS0_17counting_iteratorIjlEEPS9_SE_NS0_5tupleIJPjSE_EEENSF_IJSE_SE_EEES9_SG_JZNS1_25segmented_radix_sort_implINS0_14default_configELb1EPK6__halfPSL_PKlPlN2at6native12_GLOBAL__N_18offset_tEEE10hipError_tPvRmT1_PNSt15iterator_traitsISZ_E10value_typeET2_T3_PNS10_IS15_E10value_typeET4_jRbjT5_S1B_jjP12ihipStream_tbEUljE_EEESW_SX_SY_S15_S19_S1B_T6_T7_T9_mT8_S1D_bDpT10_ENKUlT_T0_E_clISt17integral_constantIbLb0EES1Q_EEDaS1L_S1M_EUlS1L_E_NS1_11comp_targetILNS1_3genE8ELNS1_11target_archE1030ELNS1_3gpuE2ELNS1_3repE0EEENS1_30default_config_static_selectorELNS0_4arch9wavefront6targetE0EEEvSZ_.uses_vcc, 0
	.set _ZN7rocprim17ROCPRIM_400000_NS6detail17trampoline_kernelINS0_13select_configILj256ELj13ELNS0_17block_load_methodE3ELS4_3ELS4_3ELNS0_20block_scan_algorithmE0ELj4294967295EEENS1_25partition_config_selectorILNS1_17partition_subalgoE3EjNS0_10empty_typeEbEEZZNS1_14partition_implILS8_3ELb0ES6_jNS0_17counting_iteratorIjlEEPS9_SE_NS0_5tupleIJPjSE_EEENSF_IJSE_SE_EEES9_SG_JZNS1_25segmented_radix_sort_implINS0_14default_configELb1EPK6__halfPSL_PKlPlN2at6native12_GLOBAL__N_18offset_tEEE10hipError_tPvRmT1_PNSt15iterator_traitsISZ_E10value_typeET2_T3_PNS10_IS15_E10value_typeET4_jRbjT5_S1B_jjP12ihipStream_tbEUljE_EEESW_SX_SY_S15_S19_S1B_T6_T7_T9_mT8_S1D_bDpT10_ENKUlT_T0_E_clISt17integral_constantIbLb0EES1Q_EEDaS1L_S1M_EUlS1L_E_NS1_11comp_targetILNS1_3genE8ELNS1_11target_archE1030ELNS1_3gpuE2ELNS1_3repE0EEENS1_30default_config_static_selectorELNS0_4arch9wavefront6targetE0EEEvSZ_.uses_flat_scratch, 0
	.set _ZN7rocprim17ROCPRIM_400000_NS6detail17trampoline_kernelINS0_13select_configILj256ELj13ELNS0_17block_load_methodE3ELS4_3ELS4_3ELNS0_20block_scan_algorithmE0ELj4294967295EEENS1_25partition_config_selectorILNS1_17partition_subalgoE3EjNS0_10empty_typeEbEEZZNS1_14partition_implILS8_3ELb0ES6_jNS0_17counting_iteratorIjlEEPS9_SE_NS0_5tupleIJPjSE_EEENSF_IJSE_SE_EEES9_SG_JZNS1_25segmented_radix_sort_implINS0_14default_configELb1EPK6__halfPSL_PKlPlN2at6native12_GLOBAL__N_18offset_tEEE10hipError_tPvRmT1_PNSt15iterator_traitsISZ_E10value_typeET2_T3_PNS10_IS15_E10value_typeET4_jRbjT5_S1B_jjP12ihipStream_tbEUljE_EEESW_SX_SY_S15_S19_S1B_T6_T7_T9_mT8_S1D_bDpT10_ENKUlT_T0_E_clISt17integral_constantIbLb0EES1Q_EEDaS1L_S1M_EUlS1L_E_NS1_11comp_targetILNS1_3genE8ELNS1_11target_archE1030ELNS1_3gpuE2ELNS1_3repE0EEENS1_30default_config_static_selectorELNS0_4arch9wavefront6targetE0EEEvSZ_.has_dyn_sized_stack, 0
	.set _ZN7rocprim17ROCPRIM_400000_NS6detail17trampoline_kernelINS0_13select_configILj256ELj13ELNS0_17block_load_methodE3ELS4_3ELS4_3ELNS0_20block_scan_algorithmE0ELj4294967295EEENS1_25partition_config_selectorILNS1_17partition_subalgoE3EjNS0_10empty_typeEbEEZZNS1_14partition_implILS8_3ELb0ES6_jNS0_17counting_iteratorIjlEEPS9_SE_NS0_5tupleIJPjSE_EEENSF_IJSE_SE_EEES9_SG_JZNS1_25segmented_radix_sort_implINS0_14default_configELb1EPK6__halfPSL_PKlPlN2at6native12_GLOBAL__N_18offset_tEEE10hipError_tPvRmT1_PNSt15iterator_traitsISZ_E10value_typeET2_T3_PNS10_IS15_E10value_typeET4_jRbjT5_S1B_jjP12ihipStream_tbEUljE_EEESW_SX_SY_S15_S19_S1B_T6_T7_T9_mT8_S1D_bDpT10_ENKUlT_T0_E_clISt17integral_constantIbLb0EES1Q_EEDaS1L_S1M_EUlS1L_E_NS1_11comp_targetILNS1_3genE8ELNS1_11target_archE1030ELNS1_3gpuE2ELNS1_3repE0EEENS1_30default_config_static_selectorELNS0_4arch9wavefront6targetE0EEEvSZ_.has_recursion, 0
	.set _ZN7rocprim17ROCPRIM_400000_NS6detail17trampoline_kernelINS0_13select_configILj256ELj13ELNS0_17block_load_methodE3ELS4_3ELS4_3ELNS0_20block_scan_algorithmE0ELj4294967295EEENS1_25partition_config_selectorILNS1_17partition_subalgoE3EjNS0_10empty_typeEbEEZZNS1_14partition_implILS8_3ELb0ES6_jNS0_17counting_iteratorIjlEEPS9_SE_NS0_5tupleIJPjSE_EEENSF_IJSE_SE_EEES9_SG_JZNS1_25segmented_radix_sort_implINS0_14default_configELb1EPK6__halfPSL_PKlPlN2at6native12_GLOBAL__N_18offset_tEEE10hipError_tPvRmT1_PNSt15iterator_traitsISZ_E10value_typeET2_T3_PNS10_IS15_E10value_typeET4_jRbjT5_S1B_jjP12ihipStream_tbEUljE_EEESW_SX_SY_S15_S19_S1B_T6_T7_T9_mT8_S1D_bDpT10_ENKUlT_T0_E_clISt17integral_constantIbLb0EES1Q_EEDaS1L_S1M_EUlS1L_E_NS1_11comp_targetILNS1_3genE8ELNS1_11target_archE1030ELNS1_3gpuE2ELNS1_3repE0EEENS1_30default_config_static_selectorELNS0_4arch9wavefront6targetE0EEEvSZ_.has_indirect_call, 0
	.section	.AMDGPU.csdata,"",@progbits
; Kernel info:
; codeLenInByte = 0
; TotalNumSgprs: 0
; NumVgprs: 0
; ScratchSize: 0
; MemoryBound: 0
; FloatMode: 240
; IeeeMode: 1
; LDSByteSize: 0 bytes/workgroup (compile time only)
; SGPRBlocks: 0
; VGPRBlocks: 0
; NumSGPRsForWavesPerEU: 1
; NumVGPRsForWavesPerEU: 1
; NamedBarCnt: 0
; Occupancy: 16
; WaveLimiterHint : 0
; COMPUTE_PGM_RSRC2:SCRATCH_EN: 0
; COMPUTE_PGM_RSRC2:USER_SGPR: 2
; COMPUTE_PGM_RSRC2:TRAP_HANDLER: 0
; COMPUTE_PGM_RSRC2:TGID_X_EN: 1
; COMPUTE_PGM_RSRC2:TGID_Y_EN: 0
; COMPUTE_PGM_RSRC2:TGID_Z_EN: 0
; COMPUTE_PGM_RSRC2:TIDIG_COMP_CNT: 0
	.section	.text._ZN7rocprim17ROCPRIM_400000_NS6detail17trampoline_kernelINS0_13select_configILj256ELj13ELNS0_17block_load_methodE3ELS4_3ELS4_3ELNS0_20block_scan_algorithmE0ELj4294967295EEENS1_25partition_config_selectorILNS1_17partition_subalgoE3EjNS0_10empty_typeEbEEZZNS1_14partition_implILS8_3ELb0ES6_jNS0_17counting_iteratorIjlEEPS9_SE_NS0_5tupleIJPjSE_EEENSF_IJSE_SE_EEES9_SG_JZNS1_25segmented_radix_sort_implINS0_14default_configELb1EPK6__halfPSL_PKlPlN2at6native12_GLOBAL__N_18offset_tEEE10hipError_tPvRmT1_PNSt15iterator_traitsISZ_E10value_typeET2_T3_PNS10_IS15_E10value_typeET4_jRbjT5_S1B_jjP12ihipStream_tbEUljE_EEESW_SX_SY_S15_S19_S1B_T6_T7_T9_mT8_S1D_bDpT10_ENKUlT_T0_E_clISt17integral_constantIbLb1EES1Q_EEDaS1L_S1M_EUlS1L_E_NS1_11comp_targetILNS1_3genE0ELNS1_11target_archE4294967295ELNS1_3gpuE0ELNS1_3repE0EEENS1_30default_config_static_selectorELNS0_4arch9wavefront6targetE0EEEvSZ_,"axG",@progbits,_ZN7rocprim17ROCPRIM_400000_NS6detail17trampoline_kernelINS0_13select_configILj256ELj13ELNS0_17block_load_methodE3ELS4_3ELS4_3ELNS0_20block_scan_algorithmE0ELj4294967295EEENS1_25partition_config_selectorILNS1_17partition_subalgoE3EjNS0_10empty_typeEbEEZZNS1_14partition_implILS8_3ELb0ES6_jNS0_17counting_iteratorIjlEEPS9_SE_NS0_5tupleIJPjSE_EEENSF_IJSE_SE_EEES9_SG_JZNS1_25segmented_radix_sort_implINS0_14default_configELb1EPK6__halfPSL_PKlPlN2at6native12_GLOBAL__N_18offset_tEEE10hipError_tPvRmT1_PNSt15iterator_traitsISZ_E10value_typeET2_T3_PNS10_IS15_E10value_typeET4_jRbjT5_S1B_jjP12ihipStream_tbEUljE_EEESW_SX_SY_S15_S19_S1B_T6_T7_T9_mT8_S1D_bDpT10_ENKUlT_T0_E_clISt17integral_constantIbLb1EES1Q_EEDaS1L_S1M_EUlS1L_E_NS1_11comp_targetILNS1_3genE0ELNS1_11target_archE4294967295ELNS1_3gpuE0ELNS1_3repE0EEENS1_30default_config_static_selectorELNS0_4arch9wavefront6targetE0EEEvSZ_,comdat
	.globl	_ZN7rocprim17ROCPRIM_400000_NS6detail17trampoline_kernelINS0_13select_configILj256ELj13ELNS0_17block_load_methodE3ELS4_3ELS4_3ELNS0_20block_scan_algorithmE0ELj4294967295EEENS1_25partition_config_selectorILNS1_17partition_subalgoE3EjNS0_10empty_typeEbEEZZNS1_14partition_implILS8_3ELb0ES6_jNS0_17counting_iteratorIjlEEPS9_SE_NS0_5tupleIJPjSE_EEENSF_IJSE_SE_EEES9_SG_JZNS1_25segmented_radix_sort_implINS0_14default_configELb1EPK6__halfPSL_PKlPlN2at6native12_GLOBAL__N_18offset_tEEE10hipError_tPvRmT1_PNSt15iterator_traitsISZ_E10value_typeET2_T3_PNS10_IS15_E10value_typeET4_jRbjT5_S1B_jjP12ihipStream_tbEUljE_EEESW_SX_SY_S15_S19_S1B_T6_T7_T9_mT8_S1D_bDpT10_ENKUlT_T0_E_clISt17integral_constantIbLb1EES1Q_EEDaS1L_S1M_EUlS1L_E_NS1_11comp_targetILNS1_3genE0ELNS1_11target_archE4294967295ELNS1_3gpuE0ELNS1_3repE0EEENS1_30default_config_static_selectorELNS0_4arch9wavefront6targetE0EEEvSZ_ ; -- Begin function _ZN7rocprim17ROCPRIM_400000_NS6detail17trampoline_kernelINS0_13select_configILj256ELj13ELNS0_17block_load_methodE3ELS4_3ELS4_3ELNS0_20block_scan_algorithmE0ELj4294967295EEENS1_25partition_config_selectorILNS1_17partition_subalgoE3EjNS0_10empty_typeEbEEZZNS1_14partition_implILS8_3ELb0ES6_jNS0_17counting_iteratorIjlEEPS9_SE_NS0_5tupleIJPjSE_EEENSF_IJSE_SE_EEES9_SG_JZNS1_25segmented_radix_sort_implINS0_14default_configELb1EPK6__halfPSL_PKlPlN2at6native12_GLOBAL__N_18offset_tEEE10hipError_tPvRmT1_PNSt15iterator_traitsISZ_E10value_typeET2_T3_PNS10_IS15_E10value_typeET4_jRbjT5_S1B_jjP12ihipStream_tbEUljE_EEESW_SX_SY_S15_S19_S1B_T6_T7_T9_mT8_S1D_bDpT10_ENKUlT_T0_E_clISt17integral_constantIbLb1EES1Q_EEDaS1L_S1M_EUlS1L_E_NS1_11comp_targetILNS1_3genE0ELNS1_11target_archE4294967295ELNS1_3gpuE0ELNS1_3repE0EEENS1_30default_config_static_selectorELNS0_4arch9wavefront6targetE0EEEvSZ_
	.p2align	8
	.type	_ZN7rocprim17ROCPRIM_400000_NS6detail17trampoline_kernelINS0_13select_configILj256ELj13ELNS0_17block_load_methodE3ELS4_3ELS4_3ELNS0_20block_scan_algorithmE0ELj4294967295EEENS1_25partition_config_selectorILNS1_17partition_subalgoE3EjNS0_10empty_typeEbEEZZNS1_14partition_implILS8_3ELb0ES6_jNS0_17counting_iteratorIjlEEPS9_SE_NS0_5tupleIJPjSE_EEENSF_IJSE_SE_EEES9_SG_JZNS1_25segmented_radix_sort_implINS0_14default_configELb1EPK6__halfPSL_PKlPlN2at6native12_GLOBAL__N_18offset_tEEE10hipError_tPvRmT1_PNSt15iterator_traitsISZ_E10value_typeET2_T3_PNS10_IS15_E10value_typeET4_jRbjT5_S1B_jjP12ihipStream_tbEUljE_EEESW_SX_SY_S15_S19_S1B_T6_T7_T9_mT8_S1D_bDpT10_ENKUlT_T0_E_clISt17integral_constantIbLb1EES1Q_EEDaS1L_S1M_EUlS1L_E_NS1_11comp_targetILNS1_3genE0ELNS1_11target_archE4294967295ELNS1_3gpuE0ELNS1_3repE0EEENS1_30default_config_static_selectorELNS0_4arch9wavefront6targetE0EEEvSZ_,@function
_ZN7rocprim17ROCPRIM_400000_NS6detail17trampoline_kernelINS0_13select_configILj256ELj13ELNS0_17block_load_methodE3ELS4_3ELS4_3ELNS0_20block_scan_algorithmE0ELj4294967295EEENS1_25partition_config_selectorILNS1_17partition_subalgoE3EjNS0_10empty_typeEbEEZZNS1_14partition_implILS8_3ELb0ES6_jNS0_17counting_iteratorIjlEEPS9_SE_NS0_5tupleIJPjSE_EEENSF_IJSE_SE_EEES9_SG_JZNS1_25segmented_radix_sort_implINS0_14default_configELb1EPK6__halfPSL_PKlPlN2at6native12_GLOBAL__N_18offset_tEEE10hipError_tPvRmT1_PNSt15iterator_traitsISZ_E10value_typeET2_T3_PNS10_IS15_E10value_typeET4_jRbjT5_S1B_jjP12ihipStream_tbEUljE_EEESW_SX_SY_S15_S19_S1B_T6_T7_T9_mT8_S1D_bDpT10_ENKUlT_T0_E_clISt17integral_constantIbLb1EES1Q_EEDaS1L_S1M_EUlS1L_E_NS1_11comp_targetILNS1_3genE0ELNS1_11target_archE4294967295ELNS1_3gpuE0ELNS1_3repE0EEENS1_30default_config_static_selectorELNS0_4arch9wavefront6targetE0EEEvSZ_: ; @_ZN7rocprim17ROCPRIM_400000_NS6detail17trampoline_kernelINS0_13select_configILj256ELj13ELNS0_17block_load_methodE3ELS4_3ELS4_3ELNS0_20block_scan_algorithmE0ELj4294967295EEENS1_25partition_config_selectorILNS1_17partition_subalgoE3EjNS0_10empty_typeEbEEZZNS1_14partition_implILS8_3ELb0ES6_jNS0_17counting_iteratorIjlEEPS9_SE_NS0_5tupleIJPjSE_EEENSF_IJSE_SE_EEES9_SG_JZNS1_25segmented_radix_sort_implINS0_14default_configELb1EPK6__halfPSL_PKlPlN2at6native12_GLOBAL__N_18offset_tEEE10hipError_tPvRmT1_PNSt15iterator_traitsISZ_E10value_typeET2_T3_PNS10_IS15_E10value_typeET4_jRbjT5_S1B_jjP12ihipStream_tbEUljE_EEESW_SX_SY_S15_S19_S1B_T6_T7_T9_mT8_S1D_bDpT10_ENKUlT_T0_E_clISt17integral_constantIbLb1EES1Q_EEDaS1L_S1M_EUlS1L_E_NS1_11comp_targetILNS1_3genE0ELNS1_11target_archE4294967295ELNS1_3gpuE0ELNS1_3repE0EEENS1_30default_config_static_selectorELNS0_4arch9wavefront6targetE0EEEvSZ_
; %bb.0:
	s_endpgm
	.section	.rodata,"a",@progbits
	.p2align	6, 0x0
	.amdhsa_kernel _ZN7rocprim17ROCPRIM_400000_NS6detail17trampoline_kernelINS0_13select_configILj256ELj13ELNS0_17block_load_methodE3ELS4_3ELS4_3ELNS0_20block_scan_algorithmE0ELj4294967295EEENS1_25partition_config_selectorILNS1_17partition_subalgoE3EjNS0_10empty_typeEbEEZZNS1_14partition_implILS8_3ELb0ES6_jNS0_17counting_iteratorIjlEEPS9_SE_NS0_5tupleIJPjSE_EEENSF_IJSE_SE_EEES9_SG_JZNS1_25segmented_radix_sort_implINS0_14default_configELb1EPK6__halfPSL_PKlPlN2at6native12_GLOBAL__N_18offset_tEEE10hipError_tPvRmT1_PNSt15iterator_traitsISZ_E10value_typeET2_T3_PNS10_IS15_E10value_typeET4_jRbjT5_S1B_jjP12ihipStream_tbEUljE_EEESW_SX_SY_S15_S19_S1B_T6_T7_T9_mT8_S1D_bDpT10_ENKUlT_T0_E_clISt17integral_constantIbLb1EES1Q_EEDaS1L_S1M_EUlS1L_E_NS1_11comp_targetILNS1_3genE0ELNS1_11target_archE4294967295ELNS1_3gpuE0ELNS1_3repE0EEENS1_30default_config_static_selectorELNS0_4arch9wavefront6targetE0EEEvSZ_
		.amdhsa_group_segment_fixed_size 0
		.amdhsa_private_segment_fixed_size 0
		.amdhsa_kernarg_size 152
		.amdhsa_user_sgpr_count 2
		.amdhsa_user_sgpr_dispatch_ptr 0
		.amdhsa_user_sgpr_queue_ptr 0
		.amdhsa_user_sgpr_kernarg_segment_ptr 1
		.amdhsa_user_sgpr_dispatch_id 0
		.amdhsa_user_sgpr_kernarg_preload_length 0
		.amdhsa_user_sgpr_kernarg_preload_offset 0
		.amdhsa_user_sgpr_private_segment_size 0
		.amdhsa_wavefront_size32 1
		.amdhsa_uses_dynamic_stack 0
		.amdhsa_enable_private_segment 0
		.amdhsa_system_sgpr_workgroup_id_x 1
		.amdhsa_system_sgpr_workgroup_id_y 0
		.amdhsa_system_sgpr_workgroup_id_z 0
		.amdhsa_system_sgpr_workgroup_info 0
		.amdhsa_system_vgpr_workitem_id 0
		.amdhsa_next_free_vgpr 1
		.amdhsa_next_free_sgpr 1
		.amdhsa_named_barrier_count 0
		.amdhsa_reserve_vcc 0
		.amdhsa_float_round_mode_32 0
		.amdhsa_float_round_mode_16_64 0
		.amdhsa_float_denorm_mode_32 3
		.amdhsa_float_denorm_mode_16_64 3
		.amdhsa_fp16_overflow 0
		.amdhsa_memory_ordered 1
		.amdhsa_forward_progress 1
		.amdhsa_inst_pref_size 1
		.amdhsa_round_robin_scheduling 0
		.amdhsa_exception_fp_ieee_invalid_op 0
		.amdhsa_exception_fp_denorm_src 0
		.amdhsa_exception_fp_ieee_div_zero 0
		.amdhsa_exception_fp_ieee_overflow 0
		.amdhsa_exception_fp_ieee_underflow 0
		.amdhsa_exception_fp_ieee_inexact 0
		.amdhsa_exception_int_div_zero 0
	.end_amdhsa_kernel
	.section	.text._ZN7rocprim17ROCPRIM_400000_NS6detail17trampoline_kernelINS0_13select_configILj256ELj13ELNS0_17block_load_methodE3ELS4_3ELS4_3ELNS0_20block_scan_algorithmE0ELj4294967295EEENS1_25partition_config_selectorILNS1_17partition_subalgoE3EjNS0_10empty_typeEbEEZZNS1_14partition_implILS8_3ELb0ES6_jNS0_17counting_iteratorIjlEEPS9_SE_NS0_5tupleIJPjSE_EEENSF_IJSE_SE_EEES9_SG_JZNS1_25segmented_radix_sort_implINS0_14default_configELb1EPK6__halfPSL_PKlPlN2at6native12_GLOBAL__N_18offset_tEEE10hipError_tPvRmT1_PNSt15iterator_traitsISZ_E10value_typeET2_T3_PNS10_IS15_E10value_typeET4_jRbjT5_S1B_jjP12ihipStream_tbEUljE_EEESW_SX_SY_S15_S19_S1B_T6_T7_T9_mT8_S1D_bDpT10_ENKUlT_T0_E_clISt17integral_constantIbLb1EES1Q_EEDaS1L_S1M_EUlS1L_E_NS1_11comp_targetILNS1_3genE0ELNS1_11target_archE4294967295ELNS1_3gpuE0ELNS1_3repE0EEENS1_30default_config_static_selectorELNS0_4arch9wavefront6targetE0EEEvSZ_,"axG",@progbits,_ZN7rocprim17ROCPRIM_400000_NS6detail17trampoline_kernelINS0_13select_configILj256ELj13ELNS0_17block_load_methodE3ELS4_3ELS4_3ELNS0_20block_scan_algorithmE0ELj4294967295EEENS1_25partition_config_selectorILNS1_17partition_subalgoE3EjNS0_10empty_typeEbEEZZNS1_14partition_implILS8_3ELb0ES6_jNS0_17counting_iteratorIjlEEPS9_SE_NS0_5tupleIJPjSE_EEENSF_IJSE_SE_EEES9_SG_JZNS1_25segmented_radix_sort_implINS0_14default_configELb1EPK6__halfPSL_PKlPlN2at6native12_GLOBAL__N_18offset_tEEE10hipError_tPvRmT1_PNSt15iterator_traitsISZ_E10value_typeET2_T3_PNS10_IS15_E10value_typeET4_jRbjT5_S1B_jjP12ihipStream_tbEUljE_EEESW_SX_SY_S15_S19_S1B_T6_T7_T9_mT8_S1D_bDpT10_ENKUlT_T0_E_clISt17integral_constantIbLb1EES1Q_EEDaS1L_S1M_EUlS1L_E_NS1_11comp_targetILNS1_3genE0ELNS1_11target_archE4294967295ELNS1_3gpuE0ELNS1_3repE0EEENS1_30default_config_static_selectorELNS0_4arch9wavefront6targetE0EEEvSZ_,comdat
.Lfunc_end1705:
	.size	_ZN7rocprim17ROCPRIM_400000_NS6detail17trampoline_kernelINS0_13select_configILj256ELj13ELNS0_17block_load_methodE3ELS4_3ELS4_3ELNS0_20block_scan_algorithmE0ELj4294967295EEENS1_25partition_config_selectorILNS1_17partition_subalgoE3EjNS0_10empty_typeEbEEZZNS1_14partition_implILS8_3ELb0ES6_jNS0_17counting_iteratorIjlEEPS9_SE_NS0_5tupleIJPjSE_EEENSF_IJSE_SE_EEES9_SG_JZNS1_25segmented_radix_sort_implINS0_14default_configELb1EPK6__halfPSL_PKlPlN2at6native12_GLOBAL__N_18offset_tEEE10hipError_tPvRmT1_PNSt15iterator_traitsISZ_E10value_typeET2_T3_PNS10_IS15_E10value_typeET4_jRbjT5_S1B_jjP12ihipStream_tbEUljE_EEESW_SX_SY_S15_S19_S1B_T6_T7_T9_mT8_S1D_bDpT10_ENKUlT_T0_E_clISt17integral_constantIbLb1EES1Q_EEDaS1L_S1M_EUlS1L_E_NS1_11comp_targetILNS1_3genE0ELNS1_11target_archE4294967295ELNS1_3gpuE0ELNS1_3repE0EEENS1_30default_config_static_selectorELNS0_4arch9wavefront6targetE0EEEvSZ_, .Lfunc_end1705-_ZN7rocprim17ROCPRIM_400000_NS6detail17trampoline_kernelINS0_13select_configILj256ELj13ELNS0_17block_load_methodE3ELS4_3ELS4_3ELNS0_20block_scan_algorithmE0ELj4294967295EEENS1_25partition_config_selectorILNS1_17partition_subalgoE3EjNS0_10empty_typeEbEEZZNS1_14partition_implILS8_3ELb0ES6_jNS0_17counting_iteratorIjlEEPS9_SE_NS0_5tupleIJPjSE_EEENSF_IJSE_SE_EEES9_SG_JZNS1_25segmented_radix_sort_implINS0_14default_configELb1EPK6__halfPSL_PKlPlN2at6native12_GLOBAL__N_18offset_tEEE10hipError_tPvRmT1_PNSt15iterator_traitsISZ_E10value_typeET2_T3_PNS10_IS15_E10value_typeET4_jRbjT5_S1B_jjP12ihipStream_tbEUljE_EEESW_SX_SY_S15_S19_S1B_T6_T7_T9_mT8_S1D_bDpT10_ENKUlT_T0_E_clISt17integral_constantIbLb1EES1Q_EEDaS1L_S1M_EUlS1L_E_NS1_11comp_targetILNS1_3genE0ELNS1_11target_archE4294967295ELNS1_3gpuE0ELNS1_3repE0EEENS1_30default_config_static_selectorELNS0_4arch9wavefront6targetE0EEEvSZ_
                                        ; -- End function
	.set _ZN7rocprim17ROCPRIM_400000_NS6detail17trampoline_kernelINS0_13select_configILj256ELj13ELNS0_17block_load_methodE3ELS4_3ELS4_3ELNS0_20block_scan_algorithmE0ELj4294967295EEENS1_25partition_config_selectorILNS1_17partition_subalgoE3EjNS0_10empty_typeEbEEZZNS1_14partition_implILS8_3ELb0ES6_jNS0_17counting_iteratorIjlEEPS9_SE_NS0_5tupleIJPjSE_EEENSF_IJSE_SE_EEES9_SG_JZNS1_25segmented_radix_sort_implINS0_14default_configELb1EPK6__halfPSL_PKlPlN2at6native12_GLOBAL__N_18offset_tEEE10hipError_tPvRmT1_PNSt15iterator_traitsISZ_E10value_typeET2_T3_PNS10_IS15_E10value_typeET4_jRbjT5_S1B_jjP12ihipStream_tbEUljE_EEESW_SX_SY_S15_S19_S1B_T6_T7_T9_mT8_S1D_bDpT10_ENKUlT_T0_E_clISt17integral_constantIbLb1EES1Q_EEDaS1L_S1M_EUlS1L_E_NS1_11comp_targetILNS1_3genE0ELNS1_11target_archE4294967295ELNS1_3gpuE0ELNS1_3repE0EEENS1_30default_config_static_selectorELNS0_4arch9wavefront6targetE0EEEvSZ_.num_vgpr, 0
	.set _ZN7rocprim17ROCPRIM_400000_NS6detail17trampoline_kernelINS0_13select_configILj256ELj13ELNS0_17block_load_methodE3ELS4_3ELS4_3ELNS0_20block_scan_algorithmE0ELj4294967295EEENS1_25partition_config_selectorILNS1_17partition_subalgoE3EjNS0_10empty_typeEbEEZZNS1_14partition_implILS8_3ELb0ES6_jNS0_17counting_iteratorIjlEEPS9_SE_NS0_5tupleIJPjSE_EEENSF_IJSE_SE_EEES9_SG_JZNS1_25segmented_radix_sort_implINS0_14default_configELb1EPK6__halfPSL_PKlPlN2at6native12_GLOBAL__N_18offset_tEEE10hipError_tPvRmT1_PNSt15iterator_traitsISZ_E10value_typeET2_T3_PNS10_IS15_E10value_typeET4_jRbjT5_S1B_jjP12ihipStream_tbEUljE_EEESW_SX_SY_S15_S19_S1B_T6_T7_T9_mT8_S1D_bDpT10_ENKUlT_T0_E_clISt17integral_constantIbLb1EES1Q_EEDaS1L_S1M_EUlS1L_E_NS1_11comp_targetILNS1_3genE0ELNS1_11target_archE4294967295ELNS1_3gpuE0ELNS1_3repE0EEENS1_30default_config_static_selectorELNS0_4arch9wavefront6targetE0EEEvSZ_.num_agpr, 0
	.set _ZN7rocprim17ROCPRIM_400000_NS6detail17trampoline_kernelINS0_13select_configILj256ELj13ELNS0_17block_load_methodE3ELS4_3ELS4_3ELNS0_20block_scan_algorithmE0ELj4294967295EEENS1_25partition_config_selectorILNS1_17partition_subalgoE3EjNS0_10empty_typeEbEEZZNS1_14partition_implILS8_3ELb0ES6_jNS0_17counting_iteratorIjlEEPS9_SE_NS0_5tupleIJPjSE_EEENSF_IJSE_SE_EEES9_SG_JZNS1_25segmented_radix_sort_implINS0_14default_configELb1EPK6__halfPSL_PKlPlN2at6native12_GLOBAL__N_18offset_tEEE10hipError_tPvRmT1_PNSt15iterator_traitsISZ_E10value_typeET2_T3_PNS10_IS15_E10value_typeET4_jRbjT5_S1B_jjP12ihipStream_tbEUljE_EEESW_SX_SY_S15_S19_S1B_T6_T7_T9_mT8_S1D_bDpT10_ENKUlT_T0_E_clISt17integral_constantIbLb1EES1Q_EEDaS1L_S1M_EUlS1L_E_NS1_11comp_targetILNS1_3genE0ELNS1_11target_archE4294967295ELNS1_3gpuE0ELNS1_3repE0EEENS1_30default_config_static_selectorELNS0_4arch9wavefront6targetE0EEEvSZ_.numbered_sgpr, 0
	.set _ZN7rocprim17ROCPRIM_400000_NS6detail17trampoline_kernelINS0_13select_configILj256ELj13ELNS0_17block_load_methodE3ELS4_3ELS4_3ELNS0_20block_scan_algorithmE0ELj4294967295EEENS1_25partition_config_selectorILNS1_17partition_subalgoE3EjNS0_10empty_typeEbEEZZNS1_14partition_implILS8_3ELb0ES6_jNS0_17counting_iteratorIjlEEPS9_SE_NS0_5tupleIJPjSE_EEENSF_IJSE_SE_EEES9_SG_JZNS1_25segmented_radix_sort_implINS0_14default_configELb1EPK6__halfPSL_PKlPlN2at6native12_GLOBAL__N_18offset_tEEE10hipError_tPvRmT1_PNSt15iterator_traitsISZ_E10value_typeET2_T3_PNS10_IS15_E10value_typeET4_jRbjT5_S1B_jjP12ihipStream_tbEUljE_EEESW_SX_SY_S15_S19_S1B_T6_T7_T9_mT8_S1D_bDpT10_ENKUlT_T0_E_clISt17integral_constantIbLb1EES1Q_EEDaS1L_S1M_EUlS1L_E_NS1_11comp_targetILNS1_3genE0ELNS1_11target_archE4294967295ELNS1_3gpuE0ELNS1_3repE0EEENS1_30default_config_static_selectorELNS0_4arch9wavefront6targetE0EEEvSZ_.num_named_barrier, 0
	.set _ZN7rocprim17ROCPRIM_400000_NS6detail17trampoline_kernelINS0_13select_configILj256ELj13ELNS0_17block_load_methodE3ELS4_3ELS4_3ELNS0_20block_scan_algorithmE0ELj4294967295EEENS1_25partition_config_selectorILNS1_17partition_subalgoE3EjNS0_10empty_typeEbEEZZNS1_14partition_implILS8_3ELb0ES6_jNS0_17counting_iteratorIjlEEPS9_SE_NS0_5tupleIJPjSE_EEENSF_IJSE_SE_EEES9_SG_JZNS1_25segmented_radix_sort_implINS0_14default_configELb1EPK6__halfPSL_PKlPlN2at6native12_GLOBAL__N_18offset_tEEE10hipError_tPvRmT1_PNSt15iterator_traitsISZ_E10value_typeET2_T3_PNS10_IS15_E10value_typeET4_jRbjT5_S1B_jjP12ihipStream_tbEUljE_EEESW_SX_SY_S15_S19_S1B_T6_T7_T9_mT8_S1D_bDpT10_ENKUlT_T0_E_clISt17integral_constantIbLb1EES1Q_EEDaS1L_S1M_EUlS1L_E_NS1_11comp_targetILNS1_3genE0ELNS1_11target_archE4294967295ELNS1_3gpuE0ELNS1_3repE0EEENS1_30default_config_static_selectorELNS0_4arch9wavefront6targetE0EEEvSZ_.private_seg_size, 0
	.set _ZN7rocprim17ROCPRIM_400000_NS6detail17trampoline_kernelINS0_13select_configILj256ELj13ELNS0_17block_load_methodE3ELS4_3ELS4_3ELNS0_20block_scan_algorithmE0ELj4294967295EEENS1_25partition_config_selectorILNS1_17partition_subalgoE3EjNS0_10empty_typeEbEEZZNS1_14partition_implILS8_3ELb0ES6_jNS0_17counting_iteratorIjlEEPS9_SE_NS0_5tupleIJPjSE_EEENSF_IJSE_SE_EEES9_SG_JZNS1_25segmented_radix_sort_implINS0_14default_configELb1EPK6__halfPSL_PKlPlN2at6native12_GLOBAL__N_18offset_tEEE10hipError_tPvRmT1_PNSt15iterator_traitsISZ_E10value_typeET2_T3_PNS10_IS15_E10value_typeET4_jRbjT5_S1B_jjP12ihipStream_tbEUljE_EEESW_SX_SY_S15_S19_S1B_T6_T7_T9_mT8_S1D_bDpT10_ENKUlT_T0_E_clISt17integral_constantIbLb1EES1Q_EEDaS1L_S1M_EUlS1L_E_NS1_11comp_targetILNS1_3genE0ELNS1_11target_archE4294967295ELNS1_3gpuE0ELNS1_3repE0EEENS1_30default_config_static_selectorELNS0_4arch9wavefront6targetE0EEEvSZ_.uses_vcc, 0
	.set _ZN7rocprim17ROCPRIM_400000_NS6detail17trampoline_kernelINS0_13select_configILj256ELj13ELNS0_17block_load_methodE3ELS4_3ELS4_3ELNS0_20block_scan_algorithmE0ELj4294967295EEENS1_25partition_config_selectorILNS1_17partition_subalgoE3EjNS0_10empty_typeEbEEZZNS1_14partition_implILS8_3ELb0ES6_jNS0_17counting_iteratorIjlEEPS9_SE_NS0_5tupleIJPjSE_EEENSF_IJSE_SE_EEES9_SG_JZNS1_25segmented_radix_sort_implINS0_14default_configELb1EPK6__halfPSL_PKlPlN2at6native12_GLOBAL__N_18offset_tEEE10hipError_tPvRmT1_PNSt15iterator_traitsISZ_E10value_typeET2_T3_PNS10_IS15_E10value_typeET4_jRbjT5_S1B_jjP12ihipStream_tbEUljE_EEESW_SX_SY_S15_S19_S1B_T6_T7_T9_mT8_S1D_bDpT10_ENKUlT_T0_E_clISt17integral_constantIbLb1EES1Q_EEDaS1L_S1M_EUlS1L_E_NS1_11comp_targetILNS1_3genE0ELNS1_11target_archE4294967295ELNS1_3gpuE0ELNS1_3repE0EEENS1_30default_config_static_selectorELNS0_4arch9wavefront6targetE0EEEvSZ_.uses_flat_scratch, 0
	.set _ZN7rocprim17ROCPRIM_400000_NS6detail17trampoline_kernelINS0_13select_configILj256ELj13ELNS0_17block_load_methodE3ELS4_3ELS4_3ELNS0_20block_scan_algorithmE0ELj4294967295EEENS1_25partition_config_selectorILNS1_17partition_subalgoE3EjNS0_10empty_typeEbEEZZNS1_14partition_implILS8_3ELb0ES6_jNS0_17counting_iteratorIjlEEPS9_SE_NS0_5tupleIJPjSE_EEENSF_IJSE_SE_EEES9_SG_JZNS1_25segmented_radix_sort_implINS0_14default_configELb1EPK6__halfPSL_PKlPlN2at6native12_GLOBAL__N_18offset_tEEE10hipError_tPvRmT1_PNSt15iterator_traitsISZ_E10value_typeET2_T3_PNS10_IS15_E10value_typeET4_jRbjT5_S1B_jjP12ihipStream_tbEUljE_EEESW_SX_SY_S15_S19_S1B_T6_T7_T9_mT8_S1D_bDpT10_ENKUlT_T0_E_clISt17integral_constantIbLb1EES1Q_EEDaS1L_S1M_EUlS1L_E_NS1_11comp_targetILNS1_3genE0ELNS1_11target_archE4294967295ELNS1_3gpuE0ELNS1_3repE0EEENS1_30default_config_static_selectorELNS0_4arch9wavefront6targetE0EEEvSZ_.has_dyn_sized_stack, 0
	.set _ZN7rocprim17ROCPRIM_400000_NS6detail17trampoline_kernelINS0_13select_configILj256ELj13ELNS0_17block_load_methodE3ELS4_3ELS4_3ELNS0_20block_scan_algorithmE0ELj4294967295EEENS1_25partition_config_selectorILNS1_17partition_subalgoE3EjNS0_10empty_typeEbEEZZNS1_14partition_implILS8_3ELb0ES6_jNS0_17counting_iteratorIjlEEPS9_SE_NS0_5tupleIJPjSE_EEENSF_IJSE_SE_EEES9_SG_JZNS1_25segmented_radix_sort_implINS0_14default_configELb1EPK6__halfPSL_PKlPlN2at6native12_GLOBAL__N_18offset_tEEE10hipError_tPvRmT1_PNSt15iterator_traitsISZ_E10value_typeET2_T3_PNS10_IS15_E10value_typeET4_jRbjT5_S1B_jjP12ihipStream_tbEUljE_EEESW_SX_SY_S15_S19_S1B_T6_T7_T9_mT8_S1D_bDpT10_ENKUlT_T0_E_clISt17integral_constantIbLb1EES1Q_EEDaS1L_S1M_EUlS1L_E_NS1_11comp_targetILNS1_3genE0ELNS1_11target_archE4294967295ELNS1_3gpuE0ELNS1_3repE0EEENS1_30default_config_static_selectorELNS0_4arch9wavefront6targetE0EEEvSZ_.has_recursion, 0
	.set _ZN7rocprim17ROCPRIM_400000_NS6detail17trampoline_kernelINS0_13select_configILj256ELj13ELNS0_17block_load_methodE3ELS4_3ELS4_3ELNS0_20block_scan_algorithmE0ELj4294967295EEENS1_25partition_config_selectorILNS1_17partition_subalgoE3EjNS0_10empty_typeEbEEZZNS1_14partition_implILS8_3ELb0ES6_jNS0_17counting_iteratorIjlEEPS9_SE_NS0_5tupleIJPjSE_EEENSF_IJSE_SE_EEES9_SG_JZNS1_25segmented_radix_sort_implINS0_14default_configELb1EPK6__halfPSL_PKlPlN2at6native12_GLOBAL__N_18offset_tEEE10hipError_tPvRmT1_PNSt15iterator_traitsISZ_E10value_typeET2_T3_PNS10_IS15_E10value_typeET4_jRbjT5_S1B_jjP12ihipStream_tbEUljE_EEESW_SX_SY_S15_S19_S1B_T6_T7_T9_mT8_S1D_bDpT10_ENKUlT_T0_E_clISt17integral_constantIbLb1EES1Q_EEDaS1L_S1M_EUlS1L_E_NS1_11comp_targetILNS1_3genE0ELNS1_11target_archE4294967295ELNS1_3gpuE0ELNS1_3repE0EEENS1_30default_config_static_selectorELNS0_4arch9wavefront6targetE0EEEvSZ_.has_indirect_call, 0
	.section	.AMDGPU.csdata,"",@progbits
; Kernel info:
; codeLenInByte = 4
; TotalNumSgprs: 0
; NumVgprs: 0
; ScratchSize: 0
; MemoryBound: 0
; FloatMode: 240
; IeeeMode: 1
; LDSByteSize: 0 bytes/workgroup (compile time only)
; SGPRBlocks: 0
; VGPRBlocks: 0
; NumSGPRsForWavesPerEU: 1
; NumVGPRsForWavesPerEU: 1
; NamedBarCnt: 0
; Occupancy: 16
; WaveLimiterHint : 0
; COMPUTE_PGM_RSRC2:SCRATCH_EN: 0
; COMPUTE_PGM_RSRC2:USER_SGPR: 2
; COMPUTE_PGM_RSRC2:TRAP_HANDLER: 0
; COMPUTE_PGM_RSRC2:TGID_X_EN: 1
; COMPUTE_PGM_RSRC2:TGID_Y_EN: 0
; COMPUTE_PGM_RSRC2:TGID_Z_EN: 0
; COMPUTE_PGM_RSRC2:TIDIG_COMP_CNT: 0
	.section	.text._ZN7rocprim17ROCPRIM_400000_NS6detail17trampoline_kernelINS0_13select_configILj256ELj13ELNS0_17block_load_methodE3ELS4_3ELS4_3ELNS0_20block_scan_algorithmE0ELj4294967295EEENS1_25partition_config_selectorILNS1_17partition_subalgoE3EjNS0_10empty_typeEbEEZZNS1_14partition_implILS8_3ELb0ES6_jNS0_17counting_iteratorIjlEEPS9_SE_NS0_5tupleIJPjSE_EEENSF_IJSE_SE_EEES9_SG_JZNS1_25segmented_radix_sort_implINS0_14default_configELb1EPK6__halfPSL_PKlPlN2at6native12_GLOBAL__N_18offset_tEEE10hipError_tPvRmT1_PNSt15iterator_traitsISZ_E10value_typeET2_T3_PNS10_IS15_E10value_typeET4_jRbjT5_S1B_jjP12ihipStream_tbEUljE_EEESW_SX_SY_S15_S19_S1B_T6_T7_T9_mT8_S1D_bDpT10_ENKUlT_T0_E_clISt17integral_constantIbLb1EES1Q_EEDaS1L_S1M_EUlS1L_E_NS1_11comp_targetILNS1_3genE5ELNS1_11target_archE942ELNS1_3gpuE9ELNS1_3repE0EEENS1_30default_config_static_selectorELNS0_4arch9wavefront6targetE0EEEvSZ_,"axG",@progbits,_ZN7rocprim17ROCPRIM_400000_NS6detail17trampoline_kernelINS0_13select_configILj256ELj13ELNS0_17block_load_methodE3ELS4_3ELS4_3ELNS0_20block_scan_algorithmE0ELj4294967295EEENS1_25partition_config_selectorILNS1_17partition_subalgoE3EjNS0_10empty_typeEbEEZZNS1_14partition_implILS8_3ELb0ES6_jNS0_17counting_iteratorIjlEEPS9_SE_NS0_5tupleIJPjSE_EEENSF_IJSE_SE_EEES9_SG_JZNS1_25segmented_radix_sort_implINS0_14default_configELb1EPK6__halfPSL_PKlPlN2at6native12_GLOBAL__N_18offset_tEEE10hipError_tPvRmT1_PNSt15iterator_traitsISZ_E10value_typeET2_T3_PNS10_IS15_E10value_typeET4_jRbjT5_S1B_jjP12ihipStream_tbEUljE_EEESW_SX_SY_S15_S19_S1B_T6_T7_T9_mT8_S1D_bDpT10_ENKUlT_T0_E_clISt17integral_constantIbLb1EES1Q_EEDaS1L_S1M_EUlS1L_E_NS1_11comp_targetILNS1_3genE5ELNS1_11target_archE942ELNS1_3gpuE9ELNS1_3repE0EEENS1_30default_config_static_selectorELNS0_4arch9wavefront6targetE0EEEvSZ_,comdat
	.globl	_ZN7rocprim17ROCPRIM_400000_NS6detail17trampoline_kernelINS0_13select_configILj256ELj13ELNS0_17block_load_methodE3ELS4_3ELS4_3ELNS0_20block_scan_algorithmE0ELj4294967295EEENS1_25partition_config_selectorILNS1_17partition_subalgoE3EjNS0_10empty_typeEbEEZZNS1_14partition_implILS8_3ELb0ES6_jNS0_17counting_iteratorIjlEEPS9_SE_NS0_5tupleIJPjSE_EEENSF_IJSE_SE_EEES9_SG_JZNS1_25segmented_radix_sort_implINS0_14default_configELb1EPK6__halfPSL_PKlPlN2at6native12_GLOBAL__N_18offset_tEEE10hipError_tPvRmT1_PNSt15iterator_traitsISZ_E10value_typeET2_T3_PNS10_IS15_E10value_typeET4_jRbjT5_S1B_jjP12ihipStream_tbEUljE_EEESW_SX_SY_S15_S19_S1B_T6_T7_T9_mT8_S1D_bDpT10_ENKUlT_T0_E_clISt17integral_constantIbLb1EES1Q_EEDaS1L_S1M_EUlS1L_E_NS1_11comp_targetILNS1_3genE5ELNS1_11target_archE942ELNS1_3gpuE9ELNS1_3repE0EEENS1_30default_config_static_selectorELNS0_4arch9wavefront6targetE0EEEvSZ_ ; -- Begin function _ZN7rocprim17ROCPRIM_400000_NS6detail17trampoline_kernelINS0_13select_configILj256ELj13ELNS0_17block_load_methodE3ELS4_3ELS4_3ELNS0_20block_scan_algorithmE0ELj4294967295EEENS1_25partition_config_selectorILNS1_17partition_subalgoE3EjNS0_10empty_typeEbEEZZNS1_14partition_implILS8_3ELb0ES6_jNS0_17counting_iteratorIjlEEPS9_SE_NS0_5tupleIJPjSE_EEENSF_IJSE_SE_EEES9_SG_JZNS1_25segmented_radix_sort_implINS0_14default_configELb1EPK6__halfPSL_PKlPlN2at6native12_GLOBAL__N_18offset_tEEE10hipError_tPvRmT1_PNSt15iterator_traitsISZ_E10value_typeET2_T3_PNS10_IS15_E10value_typeET4_jRbjT5_S1B_jjP12ihipStream_tbEUljE_EEESW_SX_SY_S15_S19_S1B_T6_T7_T9_mT8_S1D_bDpT10_ENKUlT_T0_E_clISt17integral_constantIbLb1EES1Q_EEDaS1L_S1M_EUlS1L_E_NS1_11comp_targetILNS1_3genE5ELNS1_11target_archE942ELNS1_3gpuE9ELNS1_3repE0EEENS1_30default_config_static_selectorELNS0_4arch9wavefront6targetE0EEEvSZ_
	.p2align	8
	.type	_ZN7rocprim17ROCPRIM_400000_NS6detail17trampoline_kernelINS0_13select_configILj256ELj13ELNS0_17block_load_methodE3ELS4_3ELS4_3ELNS0_20block_scan_algorithmE0ELj4294967295EEENS1_25partition_config_selectorILNS1_17partition_subalgoE3EjNS0_10empty_typeEbEEZZNS1_14partition_implILS8_3ELb0ES6_jNS0_17counting_iteratorIjlEEPS9_SE_NS0_5tupleIJPjSE_EEENSF_IJSE_SE_EEES9_SG_JZNS1_25segmented_radix_sort_implINS0_14default_configELb1EPK6__halfPSL_PKlPlN2at6native12_GLOBAL__N_18offset_tEEE10hipError_tPvRmT1_PNSt15iterator_traitsISZ_E10value_typeET2_T3_PNS10_IS15_E10value_typeET4_jRbjT5_S1B_jjP12ihipStream_tbEUljE_EEESW_SX_SY_S15_S19_S1B_T6_T7_T9_mT8_S1D_bDpT10_ENKUlT_T0_E_clISt17integral_constantIbLb1EES1Q_EEDaS1L_S1M_EUlS1L_E_NS1_11comp_targetILNS1_3genE5ELNS1_11target_archE942ELNS1_3gpuE9ELNS1_3repE0EEENS1_30default_config_static_selectorELNS0_4arch9wavefront6targetE0EEEvSZ_,@function
_ZN7rocprim17ROCPRIM_400000_NS6detail17trampoline_kernelINS0_13select_configILj256ELj13ELNS0_17block_load_methodE3ELS4_3ELS4_3ELNS0_20block_scan_algorithmE0ELj4294967295EEENS1_25partition_config_selectorILNS1_17partition_subalgoE3EjNS0_10empty_typeEbEEZZNS1_14partition_implILS8_3ELb0ES6_jNS0_17counting_iteratorIjlEEPS9_SE_NS0_5tupleIJPjSE_EEENSF_IJSE_SE_EEES9_SG_JZNS1_25segmented_radix_sort_implINS0_14default_configELb1EPK6__halfPSL_PKlPlN2at6native12_GLOBAL__N_18offset_tEEE10hipError_tPvRmT1_PNSt15iterator_traitsISZ_E10value_typeET2_T3_PNS10_IS15_E10value_typeET4_jRbjT5_S1B_jjP12ihipStream_tbEUljE_EEESW_SX_SY_S15_S19_S1B_T6_T7_T9_mT8_S1D_bDpT10_ENKUlT_T0_E_clISt17integral_constantIbLb1EES1Q_EEDaS1L_S1M_EUlS1L_E_NS1_11comp_targetILNS1_3genE5ELNS1_11target_archE942ELNS1_3gpuE9ELNS1_3repE0EEENS1_30default_config_static_selectorELNS0_4arch9wavefront6targetE0EEEvSZ_: ; @_ZN7rocprim17ROCPRIM_400000_NS6detail17trampoline_kernelINS0_13select_configILj256ELj13ELNS0_17block_load_methodE3ELS4_3ELS4_3ELNS0_20block_scan_algorithmE0ELj4294967295EEENS1_25partition_config_selectorILNS1_17partition_subalgoE3EjNS0_10empty_typeEbEEZZNS1_14partition_implILS8_3ELb0ES6_jNS0_17counting_iteratorIjlEEPS9_SE_NS0_5tupleIJPjSE_EEENSF_IJSE_SE_EEES9_SG_JZNS1_25segmented_radix_sort_implINS0_14default_configELb1EPK6__halfPSL_PKlPlN2at6native12_GLOBAL__N_18offset_tEEE10hipError_tPvRmT1_PNSt15iterator_traitsISZ_E10value_typeET2_T3_PNS10_IS15_E10value_typeET4_jRbjT5_S1B_jjP12ihipStream_tbEUljE_EEESW_SX_SY_S15_S19_S1B_T6_T7_T9_mT8_S1D_bDpT10_ENKUlT_T0_E_clISt17integral_constantIbLb1EES1Q_EEDaS1L_S1M_EUlS1L_E_NS1_11comp_targetILNS1_3genE5ELNS1_11target_archE942ELNS1_3gpuE9ELNS1_3repE0EEENS1_30default_config_static_selectorELNS0_4arch9wavefront6targetE0EEEvSZ_
; %bb.0:
	.section	.rodata,"a",@progbits
	.p2align	6, 0x0
	.amdhsa_kernel _ZN7rocprim17ROCPRIM_400000_NS6detail17trampoline_kernelINS0_13select_configILj256ELj13ELNS0_17block_load_methodE3ELS4_3ELS4_3ELNS0_20block_scan_algorithmE0ELj4294967295EEENS1_25partition_config_selectorILNS1_17partition_subalgoE3EjNS0_10empty_typeEbEEZZNS1_14partition_implILS8_3ELb0ES6_jNS0_17counting_iteratorIjlEEPS9_SE_NS0_5tupleIJPjSE_EEENSF_IJSE_SE_EEES9_SG_JZNS1_25segmented_radix_sort_implINS0_14default_configELb1EPK6__halfPSL_PKlPlN2at6native12_GLOBAL__N_18offset_tEEE10hipError_tPvRmT1_PNSt15iterator_traitsISZ_E10value_typeET2_T3_PNS10_IS15_E10value_typeET4_jRbjT5_S1B_jjP12ihipStream_tbEUljE_EEESW_SX_SY_S15_S19_S1B_T6_T7_T9_mT8_S1D_bDpT10_ENKUlT_T0_E_clISt17integral_constantIbLb1EES1Q_EEDaS1L_S1M_EUlS1L_E_NS1_11comp_targetILNS1_3genE5ELNS1_11target_archE942ELNS1_3gpuE9ELNS1_3repE0EEENS1_30default_config_static_selectorELNS0_4arch9wavefront6targetE0EEEvSZ_
		.amdhsa_group_segment_fixed_size 0
		.amdhsa_private_segment_fixed_size 0
		.amdhsa_kernarg_size 152
		.amdhsa_user_sgpr_count 2
		.amdhsa_user_sgpr_dispatch_ptr 0
		.amdhsa_user_sgpr_queue_ptr 0
		.amdhsa_user_sgpr_kernarg_segment_ptr 1
		.amdhsa_user_sgpr_dispatch_id 0
		.amdhsa_user_sgpr_kernarg_preload_length 0
		.amdhsa_user_sgpr_kernarg_preload_offset 0
		.amdhsa_user_sgpr_private_segment_size 0
		.amdhsa_wavefront_size32 1
		.amdhsa_uses_dynamic_stack 0
		.amdhsa_enable_private_segment 0
		.amdhsa_system_sgpr_workgroup_id_x 1
		.amdhsa_system_sgpr_workgroup_id_y 0
		.amdhsa_system_sgpr_workgroup_id_z 0
		.amdhsa_system_sgpr_workgroup_info 0
		.amdhsa_system_vgpr_workitem_id 0
		.amdhsa_next_free_vgpr 1
		.amdhsa_next_free_sgpr 1
		.amdhsa_named_barrier_count 0
		.amdhsa_reserve_vcc 0
		.amdhsa_float_round_mode_32 0
		.amdhsa_float_round_mode_16_64 0
		.amdhsa_float_denorm_mode_32 3
		.amdhsa_float_denorm_mode_16_64 3
		.amdhsa_fp16_overflow 0
		.amdhsa_memory_ordered 1
		.amdhsa_forward_progress 1
		.amdhsa_inst_pref_size 0
		.amdhsa_round_robin_scheduling 0
		.amdhsa_exception_fp_ieee_invalid_op 0
		.amdhsa_exception_fp_denorm_src 0
		.amdhsa_exception_fp_ieee_div_zero 0
		.amdhsa_exception_fp_ieee_overflow 0
		.amdhsa_exception_fp_ieee_underflow 0
		.amdhsa_exception_fp_ieee_inexact 0
		.amdhsa_exception_int_div_zero 0
	.end_amdhsa_kernel
	.section	.text._ZN7rocprim17ROCPRIM_400000_NS6detail17trampoline_kernelINS0_13select_configILj256ELj13ELNS0_17block_load_methodE3ELS4_3ELS4_3ELNS0_20block_scan_algorithmE0ELj4294967295EEENS1_25partition_config_selectorILNS1_17partition_subalgoE3EjNS0_10empty_typeEbEEZZNS1_14partition_implILS8_3ELb0ES6_jNS0_17counting_iteratorIjlEEPS9_SE_NS0_5tupleIJPjSE_EEENSF_IJSE_SE_EEES9_SG_JZNS1_25segmented_radix_sort_implINS0_14default_configELb1EPK6__halfPSL_PKlPlN2at6native12_GLOBAL__N_18offset_tEEE10hipError_tPvRmT1_PNSt15iterator_traitsISZ_E10value_typeET2_T3_PNS10_IS15_E10value_typeET4_jRbjT5_S1B_jjP12ihipStream_tbEUljE_EEESW_SX_SY_S15_S19_S1B_T6_T7_T9_mT8_S1D_bDpT10_ENKUlT_T0_E_clISt17integral_constantIbLb1EES1Q_EEDaS1L_S1M_EUlS1L_E_NS1_11comp_targetILNS1_3genE5ELNS1_11target_archE942ELNS1_3gpuE9ELNS1_3repE0EEENS1_30default_config_static_selectorELNS0_4arch9wavefront6targetE0EEEvSZ_,"axG",@progbits,_ZN7rocprim17ROCPRIM_400000_NS6detail17trampoline_kernelINS0_13select_configILj256ELj13ELNS0_17block_load_methodE3ELS4_3ELS4_3ELNS0_20block_scan_algorithmE0ELj4294967295EEENS1_25partition_config_selectorILNS1_17partition_subalgoE3EjNS0_10empty_typeEbEEZZNS1_14partition_implILS8_3ELb0ES6_jNS0_17counting_iteratorIjlEEPS9_SE_NS0_5tupleIJPjSE_EEENSF_IJSE_SE_EEES9_SG_JZNS1_25segmented_radix_sort_implINS0_14default_configELb1EPK6__halfPSL_PKlPlN2at6native12_GLOBAL__N_18offset_tEEE10hipError_tPvRmT1_PNSt15iterator_traitsISZ_E10value_typeET2_T3_PNS10_IS15_E10value_typeET4_jRbjT5_S1B_jjP12ihipStream_tbEUljE_EEESW_SX_SY_S15_S19_S1B_T6_T7_T9_mT8_S1D_bDpT10_ENKUlT_T0_E_clISt17integral_constantIbLb1EES1Q_EEDaS1L_S1M_EUlS1L_E_NS1_11comp_targetILNS1_3genE5ELNS1_11target_archE942ELNS1_3gpuE9ELNS1_3repE0EEENS1_30default_config_static_selectorELNS0_4arch9wavefront6targetE0EEEvSZ_,comdat
.Lfunc_end1706:
	.size	_ZN7rocprim17ROCPRIM_400000_NS6detail17trampoline_kernelINS0_13select_configILj256ELj13ELNS0_17block_load_methodE3ELS4_3ELS4_3ELNS0_20block_scan_algorithmE0ELj4294967295EEENS1_25partition_config_selectorILNS1_17partition_subalgoE3EjNS0_10empty_typeEbEEZZNS1_14partition_implILS8_3ELb0ES6_jNS0_17counting_iteratorIjlEEPS9_SE_NS0_5tupleIJPjSE_EEENSF_IJSE_SE_EEES9_SG_JZNS1_25segmented_radix_sort_implINS0_14default_configELb1EPK6__halfPSL_PKlPlN2at6native12_GLOBAL__N_18offset_tEEE10hipError_tPvRmT1_PNSt15iterator_traitsISZ_E10value_typeET2_T3_PNS10_IS15_E10value_typeET4_jRbjT5_S1B_jjP12ihipStream_tbEUljE_EEESW_SX_SY_S15_S19_S1B_T6_T7_T9_mT8_S1D_bDpT10_ENKUlT_T0_E_clISt17integral_constantIbLb1EES1Q_EEDaS1L_S1M_EUlS1L_E_NS1_11comp_targetILNS1_3genE5ELNS1_11target_archE942ELNS1_3gpuE9ELNS1_3repE0EEENS1_30default_config_static_selectorELNS0_4arch9wavefront6targetE0EEEvSZ_, .Lfunc_end1706-_ZN7rocprim17ROCPRIM_400000_NS6detail17trampoline_kernelINS0_13select_configILj256ELj13ELNS0_17block_load_methodE3ELS4_3ELS4_3ELNS0_20block_scan_algorithmE0ELj4294967295EEENS1_25partition_config_selectorILNS1_17partition_subalgoE3EjNS0_10empty_typeEbEEZZNS1_14partition_implILS8_3ELb0ES6_jNS0_17counting_iteratorIjlEEPS9_SE_NS0_5tupleIJPjSE_EEENSF_IJSE_SE_EEES9_SG_JZNS1_25segmented_radix_sort_implINS0_14default_configELb1EPK6__halfPSL_PKlPlN2at6native12_GLOBAL__N_18offset_tEEE10hipError_tPvRmT1_PNSt15iterator_traitsISZ_E10value_typeET2_T3_PNS10_IS15_E10value_typeET4_jRbjT5_S1B_jjP12ihipStream_tbEUljE_EEESW_SX_SY_S15_S19_S1B_T6_T7_T9_mT8_S1D_bDpT10_ENKUlT_T0_E_clISt17integral_constantIbLb1EES1Q_EEDaS1L_S1M_EUlS1L_E_NS1_11comp_targetILNS1_3genE5ELNS1_11target_archE942ELNS1_3gpuE9ELNS1_3repE0EEENS1_30default_config_static_selectorELNS0_4arch9wavefront6targetE0EEEvSZ_
                                        ; -- End function
	.set _ZN7rocprim17ROCPRIM_400000_NS6detail17trampoline_kernelINS0_13select_configILj256ELj13ELNS0_17block_load_methodE3ELS4_3ELS4_3ELNS0_20block_scan_algorithmE0ELj4294967295EEENS1_25partition_config_selectorILNS1_17partition_subalgoE3EjNS0_10empty_typeEbEEZZNS1_14partition_implILS8_3ELb0ES6_jNS0_17counting_iteratorIjlEEPS9_SE_NS0_5tupleIJPjSE_EEENSF_IJSE_SE_EEES9_SG_JZNS1_25segmented_radix_sort_implINS0_14default_configELb1EPK6__halfPSL_PKlPlN2at6native12_GLOBAL__N_18offset_tEEE10hipError_tPvRmT1_PNSt15iterator_traitsISZ_E10value_typeET2_T3_PNS10_IS15_E10value_typeET4_jRbjT5_S1B_jjP12ihipStream_tbEUljE_EEESW_SX_SY_S15_S19_S1B_T6_T7_T9_mT8_S1D_bDpT10_ENKUlT_T0_E_clISt17integral_constantIbLb1EES1Q_EEDaS1L_S1M_EUlS1L_E_NS1_11comp_targetILNS1_3genE5ELNS1_11target_archE942ELNS1_3gpuE9ELNS1_3repE0EEENS1_30default_config_static_selectorELNS0_4arch9wavefront6targetE0EEEvSZ_.num_vgpr, 0
	.set _ZN7rocprim17ROCPRIM_400000_NS6detail17trampoline_kernelINS0_13select_configILj256ELj13ELNS0_17block_load_methodE3ELS4_3ELS4_3ELNS0_20block_scan_algorithmE0ELj4294967295EEENS1_25partition_config_selectorILNS1_17partition_subalgoE3EjNS0_10empty_typeEbEEZZNS1_14partition_implILS8_3ELb0ES6_jNS0_17counting_iteratorIjlEEPS9_SE_NS0_5tupleIJPjSE_EEENSF_IJSE_SE_EEES9_SG_JZNS1_25segmented_radix_sort_implINS0_14default_configELb1EPK6__halfPSL_PKlPlN2at6native12_GLOBAL__N_18offset_tEEE10hipError_tPvRmT1_PNSt15iterator_traitsISZ_E10value_typeET2_T3_PNS10_IS15_E10value_typeET4_jRbjT5_S1B_jjP12ihipStream_tbEUljE_EEESW_SX_SY_S15_S19_S1B_T6_T7_T9_mT8_S1D_bDpT10_ENKUlT_T0_E_clISt17integral_constantIbLb1EES1Q_EEDaS1L_S1M_EUlS1L_E_NS1_11comp_targetILNS1_3genE5ELNS1_11target_archE942ELNS1_3gpuE9ELNS1_3repE0EEENS1_30default_config_static_selectorELNS0_4arch9wavefront6targetE0EEEvSZ_.num_agpr, 0
	.set _ZN7rocprim17ROCPRIM_400000_NS6detail17trampoline_kernelINS0_13select_configILj256ELj13ELNS0_17block_load_methodE3ELS4_3ELS4_3ELNS0_20block_scan_algorithmE0ELj4294967295EEENS1_25partition_config_selectorILNS1_17partition_subalgoE3EjNS0_10empty_typeEbEEZZNS1_14partition_implILS8_3ELb0ES6_jNS0_17counting_iteratorIjlEEPS9_SE_NS0_5tupleIJPjSE_EEENSF_IJSE_SE_EEES9_SG_JZNS1_25segmented_radix_sort_implINS0_14default_configELb1EPK6__halfPSL_PKlPlN2at6native12_GLOBAL__N_18offset_tEEE10hipError_tPvRmT1_PNSt15iterator_traitsISZ_E10value_typeET2_T3_PNS10_IS15_E10value_typeET4_jRbjT5_S1B_jjP12ihipStream_tbEUljE_EEESW_SX_SY_S15_S19_S1B_T6_T7_T9_mT8_S1D_bDpT10_ENKUlT_T0_E_clISt17integral_constantIbLb1EES1Q_EEDaS1L_S1M_EUlS1L_E_NS1_11comp_targetILNS1_3genE5ELNS1_11target_archE942ELNS1_3gpuE9ELNS1_3repE0EEENS1_30default_config_static_selectorELNS0_4arch9wavefront6targetE0EEEvSZ_.numbered_sgpr, 0
	.set _ZN7rocprim17ROCPRIM_400000_NS6detail17trampoline_kernelINS0_13select_configILj256ELj13ELNS0_17block_load_methodE3ELS4_3ELS4_3ELNS0_20block_scan_algorithmE0ELj4294967295EEENS1_25partition_config_selectorILNS1_17partition_subalgoE3EjNS0_10empty_typeEbEEZZNS1_14partition_implILS8_3ELb0ES6_jNS0_17counting_iteratorIjlEEPS9_SE_NS0_5tupleIJPjSE_EEENSF_IJSE_SE_EEES9_SG_JZNS1_25segmented_radix_sort_implINS0_14default_configELb1EPK6__halfPSL_PKlPlN2at6native12_GLOBAL__N_18offset_tEEE10hipError_tPvRmT1_PNSt15iterator_traitsISZ_E10value_typeET2_T3_PNS10_IS15_E10value_typeET4_jRbjT5_S1B_jjP12ihipStream_tbEUljE_EEESW_SX_SY_S15_S19_S1B_T6_T7_T9_mT8_S1D_bDpT10_ENKUlT_T0_E_clISt17integral_constantIbLb1EES1Q_EEDaS1L_S1M_EUlS1L_E_NS1_11comp_targetILNS1_3genE5ELNS1_11target_archE942ELNS1_3gpuE9ELNS1_3repE0EEENS1_30default_config_static_selectorELNS0_4arch9wavefront6targetE0EEEvSZ_.num_named_barrier, 0
	.set _ZN7rocprim17ROCPRIM_400000_NS6detail17trampoline_kernelINS0_13select_configILj256ELj13ELNS0_17block_load_methodE3ELS4_3ELS4_3ELNS0_20block_scan_algorithmE0ELj4294967295EEENS1_25partition_config_selectorILNS1_17partition_subalgoE3EjNS0_10empty_typeEbEEZZNS1_14partition_implILS8_3ELb0ES6_jNS0_17counting_iteratorIjlEEPS9_SE_NS0_5tupleIJPjSE_EEENSF_IJSE_SE_EEES9_SG_JZNS1_25segmented_radix_sort_implINS0_14default_configELb1EPK6__halfPSL_PKlPlN2at6native12_GLOBAL__N_18offset_tEEE10hipError_tPvRmT1_PNSt15iterator_traitsISZ_E10value_typeET2_T3_PNS10_IS15_E10value_typeET4_jRbjT5_S1B_jjP12ihipStream_tbEUljE_EEESW_SX_SY_S15_S19_S1B_T6_T7_T9_mT8_S1D_bDpT10_ENKUlT_T0_E_clISt17integral_constantIbLb1EES1Q_EEDaS1L_S1M_EUlS1L_E_NS1_11comp_targetILNS1_3genE5ELNS1_11target_archE942ELNS1_3gpuE9ELNS1_3repE0EEENS1_30default_config_static_selectorELNS0_4arch9wavefront6targetE0EEEvSZ_.private_seg_size, 0
	.set _ZN7rocprim17ROCPRIM_400000_NS6detail17trampoline_kernelINS0_13select_configILj256ELj13ELNS0_17block_load_methodE3ELS4_3ELS4_3ELNS0_20block_scan_algorithmE0ELj4294967295EEENS1_25partition_config_selectorILNS1_17partition_subalgoE3EjNS0_10empty_typeEbEEZZNS1_14partition_implILS8_3ELb0ES6_jNS0_17counting_iteratorIjlEEPS9_SE_NS0_5tupleIJPjSE_EEENSF_IJSE_SE_EEES9_SG_JZNS1_25segmented_radix_sort_implINS0_14default_configELb1EPK6__halfPSL_PKlPlN2at6native12_GLOBAL__N_18offset_tEEE10hipError_tPvRmT1_PNSt15iterator_traitsISZ_E10value_typeET2_T3_PNS10_IS15_E10value_typeET4_jRbjT5_S1B_jjP12ihipStream_tbEUljE_EEESW_SX_SY_S15_S19_S1B_T6_T7_T9_mT8_S1D_bDpT10_ENKUlT_T0_E_clISt17integral_constantIbLb1EES1Q_EEDaS1L_S1M_EUlS1L_E_NS1_11comp_targetILNS1_3genE5ELNS1_11target_archE942ELNS1_3gpuE9ELNS1_3repE0EEENS1_30default_config_static_selectorELNS0_4arch9wavefront6targetE0EEEvSZ_.uses_vcc, 0
	.set _ZN7rocprim17ROCPRIM_400000_NS6detail17trampoline_kernelINS0_13select_configILj256ELj13ELNS0_17block_load_methodE3ELS4_3ELS4_3ELNS0_20block_scan_algorithmE0ELj4294967295EEENS1_25partition_config_selectorILNS1_17partition_subalgoE3EjNS0_10empty_typeEbEEZZNS1_14partition_implILS8_3ELb0ES6_jNS0_17counting_iteratorIjlEEPS9_SE_NS0_5tupleIJPjSE_EEENSF_IJSE_SE_EEES9_SG_JZNS1_25segmented_radix_sort_implINS0_14default_configELb1EPK6__halfPSL_PKlPlN2at6native12_GLOBAL__N_18offset_tEEE10hipError_tPvRmT1_PNSt15iterator_traitsISZ_E10value_typeET2_T3_PNS10_IS15_E10value_typeET4_jRbjT5_S1B_jjP12ihipStream_tbEUljE_EEESW_SX_SY_S15_S19_S1B_T6_T7_T9_mT8_S1D_bDpT10_ENKUlT_T0_E_clISt17integral_constantIbLb1EES1Q_EEDaS1L_S1M_EUlS1L_E_NS1_11comp_targetILNS1_3genE5ELNS1_11target_archE942ELNS1_3gpuE9ELNS1_3repE0EEENS1_30default_config_static_selectorELNS0_4arch9wavefront6targetE0EEEvSZ_.uses_flat_scratch, 0
	.set _ZN7rocprim17ROCPRIM_400000_NS6detail17trampoline_kernelINS0_13select_configILj256ELj13ELNS0_17block_load_methodE3ELS4_3ELS4_3ELNS0_20block_scan_algorithmE0ELj4294967295EEENS1_25partition_config_selectorILNS1_17partition_subalgoE3EjNS0_10empty_typeEbEEZZNS1_14partition_implILS8_3ELb0ES6_jNS0_17counting_iteratorIjlEEPS9_SE_NS0_5tupleIJPjSE_EEENSF_IJSE_SE_EEES9_SG_JZNS1_25segmented_radix_sort_implINS0_14default_configELb1EPK6__halfPSL_PKlPlN2at6native12_GLOBAL__N_18offset_tEEE10hipError_tPvRmT1_PNSt15iterator_traitsISZ_E10value_typeET2_T3_PNS10_IS15_E10value_typeET4_jRbjT5_S1B_jjP12ihipStream_tbEUljE_EEESW_SX_SY_S15_S19_S1B_T6_T7_T9_mT8_S1D_bDpT10_ENKUlT_T0_E_clISt17integral_constantIbLb1EES1Q_EEDaS1L_S1M_EUlS1L_E_NS1_11comp_targetILNS1_3genE5ELNS1_11target_archE942ELNS1_3gpuE9ELNS1_3repE0EEENS1_30default_config_static_selectorELNS0_4arch9wavefront6targetE0EEEvSZ_.has_dyn_sized_stack, 0
	.set _ZN7rocprim17ROCPRIM_400000_NS6detail17trampoline_kernelINS0_13select_configILj256ELj13ELNS0_17block_load_methodE3ELS4_3ELS4_3ELNS0_20block_scan_algorithmE0ELj4294967295EEENS1_25partition_config_selectorILNS1_17partition_subalgoE3EjNS0_10empty_typeEbEEZZNS1_14partition_implILS8_3ELb0ES6_jNS0_17counting_iteratorIjlEEPS9_SE_NS0_5tupleIJPjSE_EEENSF_IJSE_SE_EEES9_SG_JZNS1_25segmented_radix_sort_implINS0_14default_configELb1EPK6__halfPSL_PKlPlN2at6native12_GLOBAL__N_18offset_tEEE10hipError_tPvRmT1_PNSt15iterator_traitsISZ_E10value_typeET2_T3_PNS10_IS15_E10value_typeET4_jRbjT5_S1B_jjP12ihipStream_tbEUljE_EEESW_SX_SY_S15_S19_S1B_T6_T7_T9_mT8_S1D_bDpT10_ENKUlT_T0_E_clISt17integral_constantIbLb1EES1Q_EEDaS1L_S1M_EUlS1L_E_NS1_11comp_targetILNS1_3genE5ELNS1_11target_archE942ELNS1_3gpuE9ELNS1_3repE0EEENS1_30default_config_static_selectorELNS0_4arch9wavefront6targetE0EEEvSZ_.has_recursion, 0
	.set _ZN7rocprim17ROCPRIM_400000_NS6detail17trampoline_kernelINS0_13select_configILj256ELj13ELNS0_17block_load_methodE3ELS4_3ELS4_3ELNS0_20block_scan_algorithmE0ELj4294967295EEENS1_25partition_config_selectorILNS1_17partition_subalgoE3EjNS0_10empty_typeEbEEZZNS1_14partition_implILS8_3ELb0ES6_jNS0_17counting_iteratorIjlEEPS9_SE_NS0_5tupleIJPjSE_EEENSF_IJSE_SE_EEES9_SG_JZNS1_25segmented_radix_sort_implINS0_14default_configELb1EPK6__halfPSL_PKlPlN2at6native12_GLOBAL__N_18offset_tEEE10hipError_tPvRmT1_PNSt15iterator_traitsISZ_E10value_typeET2_T3_PNS10_IS15_E10value_typeET4_jRbjT5_S1B_jjP12ihipStream_tbEUljE_EEESW_SX_SY_S15_S19_S1B_T6_T7_T9_mT8_S1D_bDpT10_ENKUlT_T0_E_clISt17integral_constantIbLb1EES1Q_EEDaS1L_S1M_EUlS1L_E_NS1_11comp_targetILNS1_3genE5ELNS1_11target_archE942ELNS1_3gpuE9ELNS1_3repE0EEENS1_30default_config_static_selectorELNS0_4arch9wavefront6targetE0EEEvSZ_.has_indirect_call, 0
	.section	.AMDGPU.csdata,"",@progbits
; Kernel info:
; codeLenInByte = 0
; TotalNumSgprs: 0
; NumVgprs: 0
; ScratchSize: 0
; MemoryBound: 0
; FloatMode: 240
; IeeeMode: 1
; LDSByteSize: 0 bytes/workgroup (compile time only)
; SGPRBlocks: 0
; VGPRBlocks: 0
; NumSGPRsForWavesPerEU: 1
; NumVGPRsForWavesPerEU: 1
; NamedBarCnt: 0
; Occupancy: 16
; WaveLimiterHint : 0
; COMPUTE_PGM_RSRC2:SCRATCH_EN: 0
; COMPUTE_PGM_RSRC2:USER_SGPR: 2
; COMPUTE_PGM_RSRC2:TRAP_HANDLER: 0
; COMPUTE_PGM_RSRC2:TGID_X_EN: 1
; COMPUTE_PGM_RSRC2:TGID_Y_EN: 0
; COMPUTE_PGM_RSRC2:TGID_Z_EN: 0
; COMPUTE_PGM_RSRC2:TIDIG_COMP_CNT: 0
	.section	.text._ZN7rocprim17ROCPRIM_400000_NS6detail17trampoline_kernelINS0_13select_configILj256ELj13ELNS0_17block_load_methodE3ELS4_3ELS4_3ELNS0_20block_scan_algorithmE0ELj4294967295EEENS1_25partition_config_selectorILNS1_17partition_subalgoE3EjNS0_10empty_typeEbEEZZNS1_14partition_implILS8_3ELb0ES6_jNS0_17counting_iteratorIjlEEPS9_SE_NS0_5tupleIJPjSE_EEENSF_IJSE_SE_EEES9_SG_JZNS1_25segmented_radix_sort_implINS0_14default_configELb1EPK6__halfPSL_PKlPlN2at6native12_GLOBAL__N_18offset_tEEE10hipError_tPvRmT1_PNSt15iterator_traitsISZ_E10value_typeET2_T3_PNS10_IS15_E10value_typeET4_jRbjT5_S1B_jjP12ihipStream_tbEUljE_EEESW_SX_SY_S15_S19_S1B_T6_T7_T9_mT8_S1D_bDpT10_ENKUlT_T0_E_clISt17integral_constantIbLb1EES1Q_EEDaS1L_S1M_EUlS1L_E_NS1_11comp_targetILNS1_3genE4ELNS1_11target_archE910ELNS1_3gpuE8ELNS1_3repE0EEENS1_30default_config_static_selectorELNS0_4arch9wavefront6targetE0EEEvSZ_,"axG",@progbits,_ZN7rocprim17ROCPRIM_400000_NS6detail17trampoline_kernelINS0_13select_configILj256ELj13ELNS0_17block_load_methodE3ELS4_3ELS4_3ELNS0_20block_scan_algorithmE0ELj4294967295EEENS1_25partition_config_selectorILNS1_17partition_subalgoE3EjNS0_10empty_typeEbEEZZNS1_14partition_implILS8_3ELb0ES6_jNS0_17counting_iteratorIjlEEPS9_SE_NS0_5tupleIJPjSE_EEENSF_IJSE_SE_EEES9_SG_JZNS1_25segmented_radix_sort_implINS0_14default_configELb1EPK6__halfPSL_PKlPlN2at6native12_GLOBAL__N_18offset_tEEE10hipError_tPvRmT1_PNSt15iterator_traitsISZ_E10value_typeET2_T3_PNS10_IS15_E10value_typeET4_jRbjT5_S1B_jjP12ihipStream_tbEUljE_EEESW_SX_SY_S15_S19_S1B_T6_T7_T9_mT8_S1D_bDpT10_ENKUlT_T0_E_clISt17integral_constantIbLb1EES1Q_EEDaS1L_S1M_EUlS1L_E_NS1_11comp_targetILNS1_3genE4ELNS1_11target_archE910ELNS1_3gpuE8ELNS1_3repE0EEENS1_30default_config_static_selectorELNS0_4arch9wavefront6targetE0EEEvSZ_,comdat
	.globl	_ZN7rocprim17ROCPRIM_400000_NS6detail17trampoline_kernelINS0_13select_configILj256ELj13ELNS0_17block_load_methodE3ELS4_3ELS4_3ELNS0_20block_scan_algorithmE0ELj4294967295EEENS1_25partition_config_selectorILNS1_17partition_subalgoE3EjNS0_10empty_typeEbEEZZNS1_14partition_implILS8_3ELb0ES6_jNS0_17counting_iteratorIjlEEPS9_SE_NS0_5tupleIJPjSE_EEENSF_IJSE_SE_EEES9_SG_JZNS1_25segmented_radix_sort_implINS0_14default_configELb1EPK6__halfPSL_PKlPlN2at6native12_GLOBAL__N_18offset_tEEE10hipError_tPvRmT1_PNSt15iterator_traitsISZ_E10value_typeET2_T3_PNS10_IS15_E10value_typeET4_jRbjT5_S1B_jjP12ihipStream_tbEUljE_EEESW_SX_SY_S15_S19_S1B_T6_T7_T9_mT8_S1D_bDpT10_ENKUlT_T0_E_clISt17integral_constantIbLb1EES1Q_EEDaS1L_S1M_EUlS1L_E_NS1_11comp_targetILNS1_3genE4ELNS1_11target_archE910ELNS1_3gpuE8ELNS1_3repE0EEENS1_30default_config_static_selectorELNS0_4arch9wavefront6targetE0EEEvSZ_ ; -- Begin function _ZN7rocprim17ROCPRIM_400000_NS6detail17trampoline_kernelINS0_13select_configILj256ELj13ELNS0_17block_load_methodE3ELS4_3ELS4_3ELNS0_20block_scan_algorithmE0ELj4294967295EEENS1_25partition_config_selectorILNS1_17partition_subalgoE3EjNS0_10empty_typeEbEEZZNS1_14partition_implILS8_3ELb0ES6_jNS0_17counting_iteratorIjlEEPS9_SE_NS0_5tupleIJPjSE_EEENSF_IJSE_SE_EEES9_SG_JZNS1_25segmented_radix_sort_implINS0_14default_configELb1EPK6__halfPSL_PKlPlN2at6native12_GLOBAL__N_18offset_tEEE10hipError_tPvRmT1_PNSt15iterator_traitsISZ_E10value_typeET2_T3_PNS10_IS15_E10value_typeET4_jRbjT5_S1B_jjP12ihipStream_tbEUljE_EEESW_SX_SY_S15_S19_S1B_T6_T7_T9_mT8_S1D_bDpT10_ENKUlT_T0_E_clISt17integral_constantIbLb1EES1Q_EEDaS1L_S1M_EUlS1L_E_NS1_11comp_targetILNS1_3genE4ELNS1_11target_archE910ELNS1_3gpuE8ELNS1_3repE0EEENS1_30default_config_static_selectorELNS0_4arch9wavefront6targetE0EEEvSZ_
	.p2align	8
	.type	_ZN7rocprim17ROCPRIM_400000_NS6detail17trampoline_kernelINS0_13select_configILj256ELj13ELNS0_17block_load_methodE3ELS4_3ELS4_3ELNS0_20block_scan_algorithmE0ELj4294967295EEENS1_25partition_config_selectorILNS1_17partition_subalgoE3EjNS0_10empty_typeEbEEZZNS1_14partition_implILS8_3ELb0ES6_jNS0_17counting_iteratorIjlEEPS9_SE_NS0_5tupleIJPjSE_EEENSF_IJSE_SE_EEES9_SG_JZNS1_25segmented_radix_sort_implINS0_14default_configELb1EPK6__halfPSL_PKlPlN2at6native12_GLOBAL__N_18offset_tEEE10hipError_tPvRmT1_PNSt15iterator_traitsISZ_E10value_typeET2_T3_PNS10_IS15_E10value_typeET4_jRbjT5_S1B_jjP12ihipStream_tbEUljE_EEESW_SX_SY_S15_S19_S1B_T6_T7_T9_mT8_S1D_bDpT10_ENKUlT_T0_E_clISt17integral_constantIbLb1EES1Q_EEDaS1L_S1M_EUlS1L_E_NS1_11comp_targetILNS1_3genE4ELNS1_11target_archE910ELNS1_3gpuE8ELNS1_3repE0EEENS1_30default_config_static_selectorELNS0_4arch9wavefront6targetE0EEEvSZ_,@function
_ZN7rocprim17ROCPRIM_400000_NS6detail17trampoline_kernelINS0_13select_configILj256ELj13ELNS0_17block_load_methodE3ELS4_3ELS4_3ELNS0_20block_scan_algorithmE0ELj4294967295EEENS1_25partition_config_selectorILNS1_17partition_subalgoE3EjNS0_10empty_typeEbEEZZNS1_14partition_implILS8_3ELb0ES6_jNS0_17counting_iteratorIjlEEPS9_SE_NS0_5tupleIJPjSE_EEENSF_IJSE_SE_EEES9_SG_JZNS1_25segmented_radix_sort_implINS0_14default_configELb1EPK6__halfPSL_PKlPlN2at6native12_GLOBAL__N_18offset_tEEE10hipError_tPvRmT1_PNSt15iterator_traitsISZ_E10value_typeET2_T3_PNS10_IS15_E10value_typeET4_jRbjT5_S1B_jjP12ihipStream_tbEUljE_EEESW_SX_SY_S15_S19_S1B_T6_T7_T9_mT8_S1D_bDpT10_ENKUlT_T0_E_clISt17integral_constantIbLb1EES1Q_EEDaS1L_S1M_EUlS1L_E_NS1_11comp_targetILNS1_3genE4ELNS1_11target_archE910ELNS1_3gpuE8ELNS1_3repE0EEENS1_30default_config_static_selectorELNS0_4arch9wavefront6targetE0EEEvSZ_: ; @_ZN7rocprim17ROCPRIM_400000_NS6detail17trampoline_kernelINS0_13select_configILj256ELj13ELNS0_17block_load_methodE3ELS4_3ELS4_3ELNS0_20block_scan_algorithmE0ELj4294967295EEENS1_25partition_config_selectorILNS1_17partition_subalgoE3EjNS0_10empty_typeEbEEZZNS1_14partition_implILS8_3ELb0ES6_jNS0_17counting_iteratorIjlEEPS9_SE_NS0_5tupleIJPjSE_EEENSF_IJSE_SE_EEES9_SG_JZNS1_25segmented_radix_sort_implINS0_14default_configELb1EPK6__halfPSL_PKlPlN2at6native12_GLOBAL__N_18offset_tEEE10hipError_tPvRmT1_PNSt15iterator_traitsISZ_E10value_typeET2_T3_PNS10_IS15_E10value_typeET4_jRbjT5_S1B_jjP12ihipStream_tbEUljE_EEESW_SX_SY_S15_S19_S1B_T6_T7_T9_mT8_S1D_bDpT10_ENKUlT_T0_E_clISt17integral_constantIbLb1EES1Q_EEDaS1L_S1M_EUlS1L_E_NS1_11comp_targetILNS1_3genE4ELNS1_11target_archE910ELNS1_3gpuE8ELNS1_3repE0EEENS1_30default_config_static_selectorELNS0_4arch9wavefront6targetE0EEEvSZ_
; %bb.0:
	.section	.rodata,"a",@progbits
	.p2align	6, 0x0
	.amdhsa_kernel _ZN7rocprim17ROCPRIM_400000_NS6detail17trampoline_kernelINS0_13select_configILj256ELj13ELNS0_17block_load_methodE3ELS4_3ELS4_3ELNS0_20block_scan_algorithmE0ELj4294967295EEENS1_25partition_config_selectorILNS1_17partition_subalgoE3EjNS0_10empty_typeEbEEZZNS1_14partition_implILS8_3ELb0ES6_jNS0_17counting_iteratorIjlEEPS9_SE_NS0_5tupleIJPjSE_EEENSF_IJSE_SE_EEES9_SG_JZNS1_25segmented_radix_sort_implINS0_14default_configELb1EPK6__halfPSL_PKlPlN2at6native12_GLOBAL__N_18offset_tEEE10hipError_tPvRmT1_PNSt15iterator_traitsISZ_E10value_typeET2_T3_PNS10_IS15_E10value_typeET4_jRbjT5_S1B_jjP12ihipStream_tbEUljE_EEESW_SX_SY_S15_S19_S1B_T6_T7_T9_mT8_S1D_bDpT10_ENKUlT_T0_E_clISt17integral_constantIbLb1EES1Q_EEDaS1L_S1M_EUlS1L_E_NS1_11comp_targetILNS1_3genE4ELNS1_11target_archE910ELNS1_3gpuE8ELNS1_3repE0EEENS1_30default_config_static_selectorELNS0_4arch9wavefront6targetE0EEEvSZ_
		.amdhsa_group_segment_fixed_size 0
		.amdhsa_private_segment_fixed_size 0
		.amdhsa_kernarg_size 152
		.amdhsa_user_sgpr_count 2
		.amdhsa_user_sgpr_dispatch_ptr 0
		.amdhsa_user_sgpr_queue_ptr 0
		.amdhsa_user_sgpr_kernarg_segment_ptr 1
		.amdhsa_user_sgpr_dispatch_id 0
		.amdhsa_user_sgpr_kernarg_preload_length 0
		.amdhsa_user_sgpr_kernarg_preload_offset 0
		.amdhsa_user_sgpr_private_segment_size 0
		.amdhsa_wavefront_size32 1
		.amdhsa_uses_dynamic_stack 0
		.amdhsa_enable_private_segment 0
		.amdhsa_system_sgpr_workgroup_id_x 1
		.amdhsa_system_sgpr_workgroup_id_y 0
		.amdhsa_system_sgpr_workgroup_id_z 0
		.amdhsa_system_sgpr_workgroup_info 0
		.amdhsa_system_vgpr_workitem_id 0
		.amdhsa_next_free_vgpr 1
		.amdhsa_next_free_sgpr 1
		.amdhsa_named_barrier_count 0
		.amdhsa_reserve_vcc 0
		.amdhsa_float_round_mode_32 0
		.amdhsa_float_round_mode_16_64 0
		.amdhsa_float_denorm_mode_32 3
		.amdhsa_float_denorm_mode_16_64 3
		.amdhsa_fp16_overflow 0
		.amdhsa_memory_ordered 1
		.amdhsa_forward_progress 1
		.amdhsa_inst_pref_size 0
		.amdhsa_round_robin_scheduling 0
		.amdhsa_exception_fp_ieee_invalid_op 0
		.amdhsa_exception_fp_denorm_src 0
		.amdhsa_exception_fp_ieee_div_zero 0
		.amdhsa_exception_fp_ieee_overflow 0
		.amdhsa_exception_fp_ieee_underflow 0
		.amdhsa_exception_fp_ieee_inexact 0
		.amdhsa_exception_int_div_zero 0
	.end_amdhsa_kernel
	.section	.text._ZN7rocprim17ROCPRIM_400000_NS6detail17trampoline_kernelINS0_13select_configILj256ELj13ELNS0_17block_load_methodE3ELS4_3ELS4_3ELNS0_20block_scan_algorithmE0ELj4294967295EEENS1_25partition_config_selectorILNS1_17partition_subalgoE3EjNS0_10empty_typeEbEEZZNS1_14partition_implILS8_3ELb0ES6_jNS0_17counting_iteratorIjlEEPS9_SE_NS0_5tupleIJPjSE_EEENSF_IJSE_SE_EEES9_SG_JZNS1_25segmented_radix_sort_implINS0_14default_configELb1EPK6__halfPSL_PKlPlN2at6native12_GLOBAL__N_18offset_tEEE10hipError_tPvRmT1_PNSt15iterator_traitsISZ_E10value_typeET2_T3_PNS10_IS15_E10value_typeET4_jRbjT5_S1B_jjP12ihipStream_tbEUljE_EEESW_SX_SY_S15_S19_S1B_T6_T7_T9_mT8_S1D_bDpT10_ENKUlT_T0_E_clISt17integral_constantIbLb1EES1Q_EEDaS1L_S1M_EUlS1L_E_NS1_11comp_targetILNS1_3genE4ELNS1_11target_archE910ELNS1_3gpuE8ELNS1_3repE0EEENS1_30default_config_static_selectorELNS0_4arch9wavefront6targetE0EEEvSZ_,"axG",@progbits,_ZN7rocprim17ROCPRIM_400000_NS6detail17trampoline_kernelINS0_13select_configILj256ELj13ELNS0_17block_load_methodE3ELS4_3ELS4_3ELNS0_20block_scan_algorithmE0ELj4294967295EEENS1_25partition_config_selectorILNS1_17partition_subalgoE3EjNS0_10empty_typeEbEEZZNS1_14partition_implILS8_3ELb0ES6_jNS0_17counting_iteratorIjlEEPS9_SE_NS0_5tupleIJPjSE_EEENSF_IJSE_SE_EEES9_SG_JZNS1_25segmented_radix_sort_implINS0_14default_configELb1EPK6__halfPSL_PKlPlN2at6native12_GLOBAL__N_18offset_tEEE10hipError_tPvRmT1_PNSt15iterator_traitsISZ_E10value_typeET2_T3_PNS10_IS15_E10value_typeET4_jRbjT5_S1B_jjP12ihipStream_tbEUljE_EEESW_SX_SY_S15_S19_S1B_T6_T7_T9_mT8_S1D_bDpT10_ENKUlT_T0_E_clISt17integral_constantIbLb1EES1Q_EEDaS1L_S1M_EUlS1L_E_NS1_11comp_targetILNS1_3genE4ELNS1_11target_archE910ELNS1_3gpuE8ELNS1_3repE0EEENS1_30default_config_static_selectorELNS0_4arch9wavefront6targetE0EEEvSZ_,comdat
.Lfunc_end1707:
	.size	_ZN7rocprim17ROCPRIM_400000_NS6detail17trampoline_kernelINS0_13select_configILj256ELj13ELNS0_17block_load_methodE3ELS4_3ELS4_3ELNS0_20block_scan_algorithmE0ELj4294967295EEENS1_25partition_config_selectorILNS1_17partition_subalgoE3EjNS0_10empty_typeEbEEZZNS1_14partition_implILS8_3ELb0ES6_jNS0_17counting_iteratorIjlEEPS9_SE_NS0_5tupleIJPjSE_EEENSF_IJSE_SE_EEES9_SG_JZNS1_25segmented_radix_sort_implINS0_14default_configELb1EPK6__halfPSL_PKlPlN2at6native12_GLOBAL__N_18offset_tEEE10hipError_tPvRmT1_PNSt15iterator_traitsISZ_E10value_typeET2_T3_PNS10_IS15_E10value_typeET4_jRbjT5_S1B_jjP12ihipStream_tbEUljE_EEESW_SX_SY_S15_S19_S1B_T6_T7_T9_mT8_S1D_bDpT10_ENKUlT_T0_E_clISt17integral_constantIbLb1EES1Q_EEDaS1L_S1M_EUlS1L_E_NS1_11comp_targetILNS1_3genE4ELNS1_11target_archE910ELNS1_3gpuE8ELNS1_3repE0EEENS1_30default_config_static_selectorELNS0_4arch9wavefront6targetE0EEEvSZ_, .Lfunc_end1707-_ZN7rocprim17ROCPRIM_400000_NS6detail17trampoline_kernelINS0_13select_configILj256ELj13ELNS0_17block_load_methodE3ELS4_3ELS4_3ELNS0_20block_scan_algorithmE0ELj4294967295EEENS1_25partition_config_selectorILNS1_17partition_subalgoE3EjNS0_10empty_typeEbEEZZNS1_14partition_implILS8_3ELb0ES6_jNS0_17counting_iteratorIjlEEPS9_SE_NS0_5tupleIJPjSE_EEENSF_IJSE_SE_EEES9_SG_JZNS1_25segmented_radix_sort_implINS0_14default_configELb1EPK6__halfPSL_PKlPlN2at6native12_GLOBAL__N_18offset_tEEE10hipError_tPvRmT1_PNSt15iterator_traitsISZ_E10value_typeET2_T3_PNS10_IS15_E10value_typeET4_jRbjT5_S1B_jjP12ihipStream_tbEUljE_EEESW_SX_SY_S15_S19_S1B_T6_T7_T9_mT8_S1D_bDpT10_ENKUlT_T0_E_clISt17integral_constantIbLb1EES1Q_EEDaS1L_S1M_EUlS1L_E_NS1_11comp_targetILNS1_3genE4ELNS1_11target_archE910ELNS1_3gpuE8ELNS1_3repE0EEENS1_30default_config_static_selectorELNS0_4arch9wavefront6targetE0EEEvSZ_
                                        ; -- End function
	.set _ZN7rocprim17ROCPRIM_400000_NS6detail17trampoline_kernelINS0_13select_configILj256ELj13ELNS0_17block_load_methodE3ELS4_3ELS4_3ELNS0_20block_scan_algorithmE0ELj4294967295EEENS1_25partition_config_selectorILNS1_17partition_subalgoE3EjNS0_10empty_typeEbEEZZNS1_14partition_implILS8_3ELb0ES6_jNS0_17counting_iteratorIjlEEPS9_SE_NS0_5tupleIJPjSE_EEENSF_IJSE_SE_EEES9_SG_JZNS1_25segmented_radix_sort_implINS0_14default_configELb1EPK6__halfPSL_PKlPlN2at6native12_GLOBAL__N_18offset_tEEE10hipError_tPvRmT1_PNSt15iterator_traitsISZ_E10value_typeET2_T3_PNS10_IS15_E10value_typeET4_jRbjT5_S1B_jjP12ihipStream_tbEUljE_EEESW_SX_SY_S15_S19_S1B_T6_T7_T9_mT8_S1D_bDpT10_ENKUlT_T0_E_clISt17integral_constantIbLb1EES1Q_EEDaS1L_S1M_EUlS1L_E_NS1_11comp_targetILNS1_3genE4ELNS1_11target_archE910ELNS1_3gpuE8ELNS1_3repE0EEENS1_30default_config_static_selectorELNS0_4arch9wavefront6targetE0EEEvSZ_.num_vgpr, 0
	.set _ZN7rocprim17ROCPRIM_400000_NS6detail17trampoline_kernelINS0_13select_configILj256ELj13ELNS0_17block_load_methodE3ELS4_3ELS4_3ELNS0_20block_scan_algorithmE0ELj4294967295EEENS1_25partition_config_selectorILNS1_17partition_subalgoE3EjNS0_10empty_typeEbEEZZNS1_14partition_implILS8_3ELb0ES6_jNS0_17counting_iteratorIjlEEPS9_SE_NS0_5tupleIJPjSE_EEENSF_IJSE_SE_EEES9_SG_JZNS1_25segmented_radix_sort_implINS0_14default_configELb1EPK6__halfPSL_PKlPlN2at6native12_GLOBAL__N_18offset_tEEE10hipError_tPvRmT1_PNSt15iterator_traitsISZ_E10value_typeET2_T3_PNS10_IS15_E10value_typeET4_jRbjT5_S1B_jjP12ihipStream_tbEUljE_EEESW_SX_SY_S15_S19_S1B_T6_T7_T9_mT8_S1D_bDpT10_ENKUlT_T0_E_clISt17integral_constantIbLb1EES1Q_EEDaS1L_S1M_EUlS1L_E_NS1_11comp_targetILNS1_3genE4ELNS1_11target_archE910ELNS1_3gpuE8ELNS1_3repE0EEENS1_30default_config_static_selectorELNS0_4arch9wavefront6targetE0EEEvSZ_.num_agpr, 0
	.set _ZN7rocprim17ROCPRIM_400000_NS6detail17trampoline_kernelINS0_13select_configILj256ELj13ELNS0_17block_load_methodE3ELS4_3ELS4_3ELNS0_20block_scan_algorithmE0ELj4294967295EEENS1_25partition_config_selectorILNS1_17partition_subalgoE3EjNS0_10empty_typeEbEEZZNS1_14partition_implILS8_3ELb0ES6_jNS0_17counting_iteratorIjlEEPS9_SE_NS0_5tupleIJPjSE_EEENSF_IJSE_SE_EEES9_SG_JZNS1_25segmented_radix_sort_implINS0_14default_configELb1EPK6__halfPSL_PKlPlN2at6native12_GLOBAL__N_18offset_tEEE10hipError_tPvRmT1_PNSt15iterator_traitsISZ_E10value_typeET2_T3_PNS10_IS15_E10value_typeET4_jRbjT5_S1B_jjP12ihipStream_tbEUljE_EEESW_SX_SY_S15_S19_S1B_T6_T7_T9_mT8_S1D_bDpT10_ENKUlT_T0_E_clISt17integral_constantIbLb1EES1Q_EEDaS1L_S1M_EUlS1L_E_NS1_11comp_targetILNS1_3genE4ELNS1_11target_archE910ELNS1_3gpuE8ELNS1_3repE0EEENS1_30default_config_static_selectorELNS0_4arch9wavefront6targetE0EEEvSZ_.numbered_sgpr, 0
	.set _ZN7rocprim17ROCPRIM_400000_NS6detail17trampoline_kernelINS0_13select_configILj256ELj13ELNS0_17block_load_methodE3ELS4_3ELS4_3ELNS0_20block_scan_algorithmE0ELj4294967295EEENS1_25partition_config_selectorILNS1_17partition_subalgoE3EjNS0_10empty_typeEbEEZZNS1_14partition_implILS8_3ELb0ES6_jNS0_17counting_iteratorIjlEEPS9_SE_NS0_5tupleIJPjSE_EEENSF_IJSE_SE_EEES9_SG_JZNS1_25segmented_radix_sort_implINS0_14default_configELb1EPK6__halfPSL_PKlPlN2at6native12_GLOBAL__N_18offset_tEEE10hipError_tPvRmT1_PNSt15iterator_traitsISZ_E10value_typeET2_T3_PNS10_IS15_E10value_typeET4_jRbjT5_S1B_jjP12ihipStream_tbEUljE_EEESW_SX_SY_S15_S19_S1B_T6_T7_T9_mT8_S1D_bDpT10_ENKUlT_T0_E_clISt17integral_constantIbLb1EES1Q_EEDaS1L_S1M_EUlS1L_E_NS1_11comp_targetILNS1_3genE4ELNS1_11target_archE910ELNS1_3gpuE8ELNS1_3repE0EEENS1_30default_config_static_selectorELNS0_4arch9wavefront6targetE0EEEvSZ_.num_named_barrier, 0
	.set _ZN7rocprim17ROCPRIM_400000_NS6detail17trampoline_kernelINS0_13select_configILj256ELj13ELNS0_17block_load_methodE3ELS4_3ELS4_3ELNS0_20block_scan_algorithmE0ELj4294967295EEENS1_25partition_config_selectorILNS1_17partition_subalgoE3EjNS0_10empty_typeEbEEZZNS1_14partition_implILS8_3ELb0ES6_jNS0_17counting_iteratorIjlEEPS9_SE_NS0_5tupleIJPjSE_EEENSF_IJSE_SE_EEES9_SG_JZNS1_25segmented_radix_sort_implINS0_14default_configELb1EPK6__halfPSL_PKlPlN2at6native12_GLOBAL__N_18offset_tEEE10hipError_tPvRmT1_PNSt15iterator_traitsISZ_E10value_typeET2_T3_PNS10_IS15_E10value_typeET4_jRbjT5_S1B_jjP12ihipStream_tbEUljE_EEESW_SX_SY_S15_S19_S1B_T6_T7_T9_mT8_S1D_bDpT10_ENKUlT_T0_E_clISt17integral_constantIbLb1EES1Q_EEDaS1L_S1M_EUlS1L_E_NS1_11comp_targetILNS1_3genE4ELNS1_11target_archE910ELNS1_3gpuE8ELNS1_3repE0EEENS1_30default_config_static_selectorELNS0_4arch9wavefront6targetE0EEEvSZ_.private_seg_size, 0
	.set _ZN7rocprim17ROCPRIM_400000_NS6detail17trampoline_kernelINS0_13select_configILj256ELj13ELNS0_17block_load_methodE3ELS4_3ELS4_3ELNS0_20block_scan_algorithmE0ELj4294967295EEENS1_25partition_config_selectorILNS1_17partition_subalgoE3EjNS0_10empty_typeEbEEZZNS1_14partition_implILS8_3ELb0ES6_jNS0_17counting_iteratorIjlEEPS9_SE_NS0_5tupleIJPjSE_EEENSF_IJSE_SE_EEES9_SG_JZNS1_25segmented_radix_sort_implINS0_14default_configELb1EPK6__halfPSL_PKlPlN2at6native12_GLOBAL__N_18offset_tEEE10hipError_tPvRmT1_PNSt15iterator_traitsISZ_E10value_typeET2_T3_PNS10_IS15_E10value_typeET4_jRbjT5_S1B_jjP12ihipStream_tbEUljE_EEESW_SX_SY_S15_S19_S1B_T6_T7_T9_mT8_S1D_bDpT10_ENKUlT_T0_E_clISt17integral_constantIbLb1EES1Q_EEDaS1L_S1M_EUlS1L_E_NS1_11comp_targetILNS1_3genE4ELNS1_11target_archE910ELNS1_3gpuE8ELNS1_3repE0EEENS1_30default_config_static_selectorELNS0_4arch9wavefront6targetE0EEEvSZ_.uses_vcc, 0
	.set _ZN7rocprim17ROCPRIM_400000_NS6detail17trampoline_kernelINS0_13select_configILj256ELj13ELNS0_17block_load_methodE3ELS4_3ELS4_3ELNS0_20block_scan_algorithmE0ELj4294967295EEENS1_25partition_config_selectorILNS1_17partition_subalgoE3EjNS0_10empty_typeEbEEZZNS1_14partition_implILS8_3ELb0ES6_jNS0_17counting_iteratorIjlEEPS9_SE_NS0_5tupleIJPjSE_EEENSF_IJSE_SE_EEES9_SG_JZNS1_25segmented_radix_sort_implINS0_14default_configELb1EPK6__halfPSL_PKlPlN2at6native12_GLOBAL__N_18offset_tEEE10hipError_tPvRmT1_PNSt15iterator_traitsISZ_E10value_typeET2_T3_PNS10_IS15_E10value_typeET4_jRbjT5_S1B_jjP12ihipStream_tbEUljE_EEESW_SX_SY_S15_S19_S1B_T6_T7_T9_mT8_S1D_bDpT10_ENKUlT_T0_E_clISt17integral_constantIbLb1EES1Q_EEDaS1L_S1M_EUlS1L_E_NS1_11comp_targetILNS1_3genE4ELNS1_11target_archE910ELNS1_3gpuE8ELNS1_3repE0EEENS1_30default_config_static_selectorELNS0_4arch9wavefront6targetE0EEEvSZ_.uses_flat_scratch, 0
	.set _ZN7rocprim17ROCPRIM_400000_NS6detail17trampoline_kernelINS0_13select_configILj256ELj13ELNS0_17block_load_methodE3ELS4_3ELS4_3ELNS0_20block_scan_algorithmE0ELj4294967295EEENS1_25partition_config_selectorILNS1_17partition_subalgoE3EjNS0_10empty_typeEbEEZZNS1_14partition_implILS8_3ELb0ES6_jNS0_17counting_iteratorIjlEEPS9_SE_NS0_5tupleIJPjSE_EEENSF_IJSE_SE_EEES9_SG_JZNS1_25segmented_radix_sort_implINS0_14default_configELb1EPK6__halfPSL_PKlPlN2at6native12_GLOBAL__N_18offset_tEEE10hipError_tPvRmT1_PNSt15iterator_traitsISZ_E10value_typeET2_T3_PNS10_IS15_E10value_typeET4_jRbjT5_S1B_jjP12ihipStream_tbEUljE_EEESW_SX_SY_S15_S19_S1B_T6_T7_T9_mT8_S1D_bDpT10_ENKUlT_T0_E_clISt17integral_constantIbLb1EES1Q_EEDaS1L_S1M_EUlS1L_E_NS1_11comp_targetILNS1_3genE4ELNS1_11target_archE910ELNS1_3gpuE8ELNS1_3repE0EEENS1_30default_config_static_selectorELNS0_4arch9wavefront6targetE0EEEvSZ_.has_dyn_sized_stack, 0
	.set _ZN7rocprim17ROCPRIM_400000_NS6detail17trampoline_kernelINS0_13select_configILj256ELj13ELNS0_17block_load_methodE3ELS4_3ELS4_3ELNS0_20block_scan_algorithmE0ELj4294967295EEENS1_25partition_config_selectorILNS1_17partition_subalgoE3EjNS0_10empty_typeEbEEZZNS1_14partition_implILS8_3ELb0ES6_jNS0_17counting_iteratorIjlEEPS9_SE_NS0_5tupleIJPjSE_EEENSF_IJSE_SE_EEES9_SG_JZNS1_25segmented_radix_sort_implINS0_14default_configELb1EPK6__halfPSL_PKlPlN2at6native12_GLOBAL__N_18offset_tEEE10hipError_tPvRmT1_PNSt15iterator_traitsISZ_E10value_typeET2_T3_PNS10_IS15_E10value_typeET4_jRbjT5_S1B_jjP12ihipStream_tbEUljE_EEESW_SX_SY_S15_S19_S1B_T6_T7_T9_mT8_S1D_bDpT10_ENKUlT_T0_E_clISt17integral_constantIbLb1EES1Q_EEDaS1L_S1M_EUlS1L_E_NS1_11comp_targetILNS1_3genE4ELNS1_11target_archE910ELNS1_3gpuE8ELNS1_3repE0EEENS1_30default_config_static_selectorELNS0_4arch9wavefront6targetE0EEEvSZ_.has_recursion, 0
	.set _ZN7rocprim17ROCPRIM_400000_NS6detail17trampoline_kernelINS0_13select_configILj256ELj13ELNS0_17block_load_methodE3ELS4_3ELS4_3ELNS0_20block_scan_algorithmE0ELj4294967295EEENS1_25partition_config_selectorILNS1_17partition_subalgoE3EjNS0_10empty_typeEbEEZZNS1_14partition_implILS8_3ELb0ES6_jNS0_17counting_iteratorIjlEEPS9_SE_NS0_5tupleIJPjSE_EEENSF_IJSE_SE_EEES9_SG_JZNS1_25segmented_radix_sort_implINS0_14default_configELb1EPK6__halfPSL_PKlPlN2at6native12_GLOBAL__N_18offset_tEEE10hipError_tPvRmT1_PNSt15iterator_traitsISZ_E10value_typeET2_T3_PNS10_IS15_E10value_typeET4_jRbjT5_S1B_jjP12ihipStream_tbEUljE_EEESW_SX_SY_S15_S19_S1B_T6_T7_T9_mT8_S1D_bDpT10_ENKUlT_T0_E_clISt17integral_constantIbLb1EES1Q_EEDaS1L_S1M_EUlS1L_E_NS1_11comp_targetILNS1_3genE4ELNS1_11target_archE910ELNS1_3gpuE8ELNS1_3repE0EEENS1_30default_config_static_selectorELNS0_4arch9wavefront6targetE0EEEvSZ_.has_indirect_call, 0
	.section	.AMDGPU.csdata,"",@progbits
; Kernel info:
; codeLenInByte = 0
; TotalNumSgprs: 0
; NumVgprs: 0
; ScratchSize: 0
; MemoryBound: 0
; FloatMode: 240
; IeeeMode: 1
; LDSByteSize: 0 bytes/workgroup (compile time only)
; SGPRBlocks: 0
; VGPRBlocks: 0
; NumSGPRsForWavesPerEU: 1
; NumVGPRsForWavesPerEU: 1
; NamedBarCnt: 0
; Occupancy: 16
; WaveLimiterHint : 0
; COMPUTE_PGM_RSRC2:SCRATCH_EN: 0
; COMPUTE_PGM_RSRC2:USER_SGPR: 2
; COMPUTE_PGM_RSRC2:TRAP_HANDLER: 0
; COMPUTE_PGM_RSRC2:TGID_X_EN: 1
; COMPUTE_PGM_RSRC2:TGID_Y_EN: 0
; COMPUTE_PGM_RSRC2:TGID_Z_EN: 0
; COMPUTE_PGM_RSRC2:TIDIG_COMP_CNT: 0
	.section	.text._ZN7rocprim17ROCPRIM_400000_NS6detail17trampoline_kernelINS0_13select_configILj256ELj13ELNS0_17block_load_methodE3ELS4_3ELS4_3ELNS0_20block_scan_algorithmE0ELj4294967295EEENS1_25partition_config_selectorILNS1_17partition_subalgoE3EjNS0_10empty_typeEbEEZZNS1_14partition_implILS8_3ELb0ES6_jNS0_17counting_iteratorIjlEEPS9_SE_NS0_5tupleIJPjSE_EEENSF_IJSE_SE_EEES9_SG_JZNS1_25segmented_radix_sort_implINS0_14default_configELb1EPK6__halfPSL_PKlPlN2at6native12_GLOBAL__N_18offset_tEEE10hipError_tPvRmT1_PNSt15iterator_traitsISZ_E10value_typeET2_T3_PNS10_IS15_E10value_typeET4_jRbjT5_S1B_jjP12ihipStream_tbEUljE_EEESW_SX_SY_S15_S19_S1B_T6_T7_T9_mT8_S1D_bDpT10_ENKUlT_T0_E_clISt17integral_constantIbLb1EES1Q_EEDaS1L_S1M_EUlS1L_E_NS1_11comp_targetILNS1_3genE3ELNS1_11target_archE908ELNS1_3gpuE7ELNS1_3repE0EEENS1_30default_config_static_selectorELNS0_4arch9wavefront6targetE0EEEvSZ_,"axG",@progbits,_ZN7rocprim17ROCPRIM_400000_NS6detail17trampoline_kernelINS0_13select_configILj256ELj13ELNS0_17block_load_methodE3ELS4_3ELS4_3ELNS0_20block_scan_algorithmE0ELj4294967295EEENS1_25partition_config_selectorILNS1_17partition_subalgoE3EjNS0_10empty_typeEbEEZZNS1_14partition_implILS8_3ELb0ES6_jNS0_17counting_iteratorIjlEEPS9_SE_NS0_5tupleIJPjSE_EEENSF_IJSE_SE_EEES9_SG_JZNS1_25segmented_radix_sort_implINS0_14default_configELb1EPK6__halfPSL_PKlPlN2at6native12_GLOBAL__N_18offset_tEEE10hipError_tPvRmT1_PNSt15iterator_traitsISZ_E10value_typeET2_T3_PNS10_IS15_E10value_typeET4_jRbjT5_S1B_jjP12ihipStream_tbEUljE_EEESW_SX_SY_S15_S19_S1B_T6_T7_T9_mT8_S1D_bDpT10_ENKUlT_T0_E_clISt17integral_constantIbLb1EES1Q_EEDaS1L_S1M_EUlS1L_E_NS1_11comp_targetILNS1_3genE3ELNS1_11target_archE908ELNS1_3gpuE7ELNS1_3repE0EEENS1_30default_config_static_selectorELNS0_4arch9wavefront6targetE0EEEvSZ_,comdat
	.globl	_ZN7rocprim17ROCPRIM_400000_NS6detail17trampoline_kernelINS0_13select_configILj256ELj13ELNS0_17block_load_methodE3ELS4_3ELS4_3ELNS0_20block_scan_algorithmE0ELj4294967295EEENS1_25partition_config_selectorILNS1_17partition_subalgoE3EjNS0_10empty_typeEbEEZZNS1_14partition_implILS8_3ELb0ES6_jNS0_17counting_iteratorIjlEEPS9_SE_NS0_5tupleIJPjSE_EEENSF_IJSE_SE_EEES9_SG_JZNS1_25segmented_radix_sort_implINS0_14default_configELb1EPK6__halfPSL_PKlPlN2at6native12_GLOBAL__N_18offset_tEEE10hipError_tPvRmT1_PNSt15iterator_traitsISZ_E10value_typeET2_T3_PNS10_IS15_E10value_typeET4_jRbjT5_S1B_jjP12ihipStream_tbEUljE_EEESW_SX_SY_S15_S19_S1B_T6_T7_T9_mT8_S1D_bDpT10_ENKUlT_T0_E_clISt17integral_constantIbLb1EES1Q_EEDaS1L_S1M_EUlS1L_E_NS1_11comp_targetILNS1_3genE3ELNS1_11target_archE908ELNS1_3gpuE7ELNS1_3repE0EEENS1_30default_config_static_selectorELNS0_4arch9wavefront6targetE0EEEvSZ_ ; -- Begin function _ZN7rocprim17ROCPRIM_400000_NS6detail17trampoline_kernelINS0_13select_configILj256ELj13ELNS0_17block_load_methodE3ELS4_3ELS4_3ELNS0_20block_scan_algorithmE0ELj4294967295EEENS1_25partition_config_selectorILNS1_17partition_subalgoE3EjNS0_10empty_typeEbEEZZNS1_14partition_implILS8_3ELb0ES6_jNS0_17counting_iteratorIjlEEPS9_SE_NS0_5tupleIJPjSE_EEENSF_IJSE_SE_EEES9_SG_JZNS1_25segmented_radix_sort_implINS0_14default_configELb1EPK6__halfPSL_PKlPlN2at6native12_GLOBAL__N_18offset_tEEE10hipError_tPvRmT1_PNSt15iterator_traitsISZ_E10value_typeET2_T3_PNS10_IS15_E10value_typeET4_jRbjT5_S1B_jjP12ihipStream_tbEUljE_EEESW_SX_SY_S15_S19_S1B_T6_T7_T9_mT8_S1D_bDpT10_ENKUlT_T0_E_clISt17integral_constantIbLb1EES1Q_EEDaS1L_S1M_EUlS1L_E_NS1_11comp_targetILNS1_3genE3ELNS1_11target_archE908ELNS1_3gpuE7ELNS1_3repE0EEENS1_30default_config_static_selectorELNS0_4arch9wavefront6targetE0EEEvSZ_
	.p2align	8
	.type	_ZN7rocprim17ROCPRIM_400000_NS6detail17trampoline_kernelINS0_13select_configILj256ELj13ELNS0_17block_load_methodE3ELS4_3ELS4_3ELNS0_20block_scan_algorithmE0ELj4294967295EEENS1_25partition_config_selectorILNS1_17partition_subalgoE3EjNS0_10empty_typeEbEEZZNS1_14partition_implILS8_3ELb0ES6_jNS0_17counting_iteratorIjlEEPS9_SE_NS0_5tupleIJPjSE_EEENSF_IJSE_SE_EEES9_SG_JZNS1_25segmented_radix_sort_implINS0_14default_configELb1EPK6__halfPSL_PKlPlN2at6native12_GLOBAL__N_18offset_tEEE10hipError_tPvRmT1_PNSt15iterator_traitsISZ_E10value_typeET2_T3_PNS10_IS15_E10value_typeET4_jRbjT5_S1B_jjP12ihipStream_tbEUljE_EEESW_SX_SY_S15_S19_S1B_T6_T7_T9_mT8_S1D_bDpT10_ENKUlT_T0_E_clISt17integral_constantIbLb1EES1Q_EEDaS1L_S1M_EUlS1L_E_NS1_11comp_targetILNS1_3genE3ELNS1_11target_archE908ELNS1_3gpuE7ELNS1_3repE0EEENS1_30default_config_static_selectorELNS0_4arch9wavefront6targetE0EEEvSZ_,@function
_ZN7rocprim17ROCPRIM_400000_NS6detail17trampoline_kernelINS0_13select_configILj256ELj13ELNS0_17block_load_methodE3ELS4_3ELS4_3ELNS0_20block_scan_algorithmE0ELj4294967295EEENS1_25partition_config_selectorILNS1_17partition_subalgoE3EjNS0_10empty_typeEbEEZZNS1_14partition_implILS8_3ELb0ES6_jNS0_17counting_iteratorIjlEEPS9_SE_NS0_5tupleIJPjSE_EEENSF_IJSE_SE_EEES9_SG_JZNS1_25segmented_radix_sort_implINS0_14default_configELb1EPK6__halfPSL_PKlPlN2at6native12_GLOBAL__N_18offset_tEEE10hipError_tPvRmT1_PNSt15iterator_traitsISZ_E10value_typeET2_T3_PNS10_IS15_E10value_typeET4_jRbjT5_S1B_jjP12ihipStream_tbEUljE_EEESW_SX_SY_S15_S19_S1B_T6_T7_T9_mT8_S1D_bDpT10_ENKUlT_T0_E_clISt17integral_constantIbLb1EES1Q_EEDaS1L_S1M_EUlS1L_E_NS1_11comp_targetILNS1_3genE3ELNS1_11target_archE908ELNS1_3gpuE7ELNS1_3repE0EEENS1_30default_config_static_selectorELNS0_4arch9wavefront6targetE0EEEvSZ_: ; @_ZN7rocprim17ROCPRIM_400000_NS6detail17trampoline_kernelINS0_13select_configILj256ELj13ELNS0_17block_load_methodE3ELS4_3ELS4_3ELNS0_20block_scan_algorithmE0ELj4294967295EEENS1_25partition_config_selectorILNS1_17partition_subalgoE3EjNS0_10empty_typeEbEEZZNS1_14partition_implILS8_3ELb0ES6_jNS0_17counting_iteratorIjlEEPS9_SE_NS0_5tupleIJPjSE_EEENSF_IJSE_SE_EEES9_SG_JZNS1_25segmented_radix_sort_implINS0_14default_configELb1EPK6__halfPSL_PKlPlN2at6native12_GLOBAL__N_18offset_tEEE10hipError_tPvRmT1_PNSt15iterator_traitsISZ_E10value_typeET2_T3_PNS10_IS15_E10value_typeET4_jRbjT5_S1B_jjP12ihipStream_tbEUljE_EEESW_SX_SY_S15_S19_S1B_T6_T7_T9_mT8_S1D_bDpT10_ENKUlT_T0_E_clISt17integral_constantIbLb1EES1Q_EEDaS1L_S1M_EUlS1L_E_NS1_11comp_targetILNS1_3genE3ELNS1_11target_archE908ELNS1_3gpuE7ELNS1_3repE0EEENS1_30default_config_static_selectorELNS0_4arch9wavefront6targetE0EEEvSZ_
; %bb.0:
	.section	.rodata,"a",@progbits
	.p2align	6, 0x0
	.amdhsa_kernel _ZN7rocprim17ROCPRIM_400000_NS6detail17trampoline_kernelINS0_13select_configILj256ELj13ELNS0_17block_load_methodE3ELS4_3ELS4_3ELNS0_20block_scan_algorithmE0ELj4294967295EEENS1_25partition_config_selectorILNS1_17partition_subalgoE3EjNS0_10empty_typeEbEEZZNS1_14partition_implILS8_3ELb0ES6_jNS0_17counting_iteratorIjlEEPS9_SE_NS0_5tupleIJPjSE_EEENSF_IJSE_SE_EEES9_SG_JZNS1_25segmented_radix_sort_implINS0_14default_configELb1EPK6__halfPSL_PKlPlN2at6native12_GLOBAL__N_18offset_tEEE10hipError_tPvRmT1_PNSt15iterator_traitsISZ_E10value_typeET2_T3_PNS10_IS15_E10value_typeET4_jRbjT5_S1B_jjP12ihipStream_tbEUljE_EEESW_SX_SY_S15_S19_S1B_T6_T7_T9_mT8_S1D_bDpT10_ENKUlT_T0_E_clISt17integral_constantIbLb1EES1Q_EEDaS1L_S1M_EUlS1L_E_NS1_11comp_targetILNS1_3genE3ELNS1_11target_archE908ELNS1_3gpuE7ELNS1_3repE0EEENS1_30default_config_static_selectorELNS0_4arch9wavefront6targetE0EEEvSZ_
		.amdhsa_group_segment_fixed_size 0
		.amdhsa_private_segment_fixed_size 0
		.amdhsa_kernarg_size 152
		.amdhsa_user_sgpr_count 2
		.amdhsa_user_sgpr_dispatch_ptr 0
		.amdhsa_user_sgpr_queue_ptr 0
		.amdhsa_user_sgpr_kernarg_segment_ptr 1
		.amdhsa_user_sgpr_dispatch_id 0
		.amdhsa_user_sgpr_kernarg_preload_length 0
		.amdhsa_user_sgpr_kernarg_preload_offset 0
		.amdhsa_user_sgpr_private_segment_size 0
		.amdhsa_wavefront_size32 1
		.amdhsa_uses_dynamic_stack 0
		.amdhsa_enable_private_segment 0
		.amdhsa_system_sgpr_workgroup_id_x 1
		.amdhsa_system_sgpr_workgroup_id_y 0
		.amdhsa_system_sgpr_workgroup_id_z 0
		.amdhsa_system_sgpr_workgroup_info 0
		.amdhsa_system_vgpr_workitem_id 0
		.amdhsa_next_free_vgpr 1
		.amdhsa_next_free_sgpr 1
		.amdhsa_named_barrier_count 0
		.amdhsa_reserve_vcc 0
		.amdhsa_float_round_mode_32 0
		.amdhsa_float_round_mode_16_64 0
		.amdhsa_float_denorm_mode_32 3
		.amdhsa_float_denorm_mode_16_64 3
		.amdhsa_fp16_overflow 0
		.amdhsa_memory_ordered 1
		.amdhsa_forward_progress 1
		.amdhsa_inst_pref_size 0
		.amdhsa_round_robin_scheduling 0
		.amdhsa_exception_fp_ieee_invalid_op 0
		.amdhsa_exception_fp_denorm_src 0
		.amdhsa_exception_fp_ieee_div_zero 0
		.amdhsa_exception_fp_ieee_overflow 0
		.amdhsa_exception_fp_ieee_underflow 0
		.amdhsa_exception_fp_ieee_inexact 0
		.amdhsa_exception_int_div_zero 0
	.end_amdhsa_kernel
	.section	.text._ZN7rocprim17ROCPRIM_400000_NS6detail17trampoline_kernelINS0_13select_configILj256ELj13ELNS0_17block_load_methodE3ELS4_3ELS4_3ELNS0_20block_scan_algorithmE0ELj4294967295EEENS1_25partition_config_selectorILNS1_17partition_subalgoE3EjNS0_10empty_typeEbEEZZNS1_14partition_implILS8_3ELb0ES6_jNS0_17counting_iteratorIjlEEPS9_SE_NS0_5tupleIJPjSE_EEENSF_IJSE_SE_EEES9_SG_JZNS1_25segmented_radix_sort_implINS0_14default_configELb1EPK6__halfPSL_PKlPlN2at6native12_GLOBAL__N_18offset_tEEE10hipError_tPvRmT1_PNSt15iterator_traitsISZ_E10value_typeET2_T3_PNS10_IS15_E10value_typeET4_jRbjT5_S1B_jjP12ihipStream_tbEUljE_EEESW_SX_SY_S15_S19_S1B_T6_T7_T9_mT8_S1D_bDpT10_ENKUlT_T0_E_clISt17integral_constantIbLb1EES1Q_EEDaS1L_S1M_EUlS1L_E_NS1_11comp_targetILNS1_3genE3ELNS1_11target_archE908ELNS1_3gpuE7ELNS1_3repE0EEENS1_30default_config_static_selectorELNS0_4arch9wavefront6targetE0EEEvSZ_,"axG",@progbits,_ZN7rocprim17ROCPRIM_400000_NS6detail17trampoline_kernelINS0_13select_configILj256ELj13ELNS0_17block_load_methodE3ELS4_3ELS4_3ELNS0_20block_scan_algorithmE0ELj4294967295EEENS1_25partition_config_selectorILNS1_17partition_subalgoE3EjNS0_10empty_typeEbEEZZNS1_14partition_implILS8_3ELb0ES6_jNS0_17counting_iteratorIjlEEPS9_SE_NS0_5tupleIJPjSE_EEENSF_IJSE_SE_EEES9_SG_JZNS1_25segmented_radix_sort_implINS0_14default_configELb1EPK6__halfPSL_PKlPlN2at6native12_GLOBAL__N_18offset_tEEE10hipError_tPvRmT1_PNSt15iterator_traitsISZ_E10value_typeET2_T3_PNS10_IS15_E10value_typeET4_jRbjT5_S1B_jjP12ihipStream_tbEUljE_EEESW_SX_SY_S15_S19_S1B_T6_T7_T9_mT8_S1D_bDpT10_ENKUlT_T0_E_clISt17integral_constantIbLb1EES1Q_EEDaS1L_S1M_EUlS1L_E_NS1_11comp_targetILNS1_3genE3ELNS1_11target_archE908ELNS1_3gpuE7ELNS1_3repE0EEENS1_30default_config_static_selectorELNS0_4arch9wavefront6targetE0EEEvSZ_,comdat
.Lfunc_end1708:
	.size	_ZN7rocprim17ROCPRIM_400000_NS6detail17trampoline_kernelINS0_13select_configILj256ELj13ELNS0_17block_load_methodE3ELS4_3ELS4_3ELNS0_20block_scan_algorithmE0ELj4294967295EEENS1_25partition_config_selectorILNS1_17partition_subalgoE3EjNS0_10empty_typeEbEEZZNS1_14partition_implILS8_3ELb0ES6_jNS0_17counting_iteratorIjlEEPS9_SE_NS0_5tupleIJPjSE_EEENSF_IJSE_SE_EEES9_SG_JZNS1_25segmented_radix_sort_implINS0_14default_configELb1EPK6__halfPSL_PKlPlN2at6native12_GLOBAL__N_18offset_tEEE10hipError_tPvRmT1_PNSt15iterator_traitsISZ_E10value_typeET2_T3_PNS10_IS15_E10value_typeET4_jRbjT5_S1B_jjP12ihipStream_tbEUljE_EEESW_SX_SY_S15_S19_S1B_T6_T7_T9_mT8_S1D_bDpT10_ENKUlT_T0_E_clISt17integral_constantIbLb1EES1Q_EEDaS1L_S1M_EUlS1L_E_NS1_11comp_targetILNS1_3genE3ELNS1_11target_archE908ELNS1_3gpuE7ELNS1_3repE0EEENS1_30default_config_static_selectorELNS0_4arch9wavefront6targetE0EEEvSZ_, .Lfunc_end1708-_ZN7rocprim17ROCPRIM_400000_NS6detail17trampoline_kernelINS0_13select_configILj256ELj13ELNS0_17block_load_methodE3ELS4_3ELS4_3ELNS0_20block_scan_algorithmE0ELj4294967295EEENS1_25partition_config_selectorILNS1_17partition_subalgoE3EjNS0_10empty_typeEbEEZZNS1_14partition_implILS8_3ELb0ES6_jNS0_17counting_iteratorIjlEEPS9_SE_NS0_5tupleIJPjSE_EEENSF_IJSE_SE_EEES9_SG_JZNS1_25segmented_radix_sort_implINS0_14default_configELb1EPK6__halfPSL_PKlPlN2at6native12_GLOBAL__N_18offset_tEEE10hipError_tPvRmT1_PNSt15iterator_traitsISZ_E10value_typeET2_T3_PNS10_IS15_E10value_typeET4_jRbjT5_S1B_jjP12ihipStream_tbEUljE_EEESW_SX_SY_S15_S19_S1B_T6_T7_T9_mT8_S1D_bDpT10_ENKUlT_T0_E_clISt17integral_constantIbLb1EES1Q_EEDaS1L_S1M_EUlS1L_E_NS1_11comp_targetILNS1_3genE3ELNS1_11target_archE908ELNS1_3gpuE7ELNS1_3repE0EEENS1_30default_config_static_selectorELNS0_4arch9wavefront6targetE0EEEvSZ_
                                        ; -- End function
	.set _ZN7rocprim17ROCPRIM_400000_NS6detail17trampoline_kernelINS0_13select_configILj256ELj13ELNS0_17block_load_methodE3ELS4_3ELS4_3ELNS0_20block_scan_algorithmE0ELj4294967295EEENS1_25partition_config_selectorILNS1_17partition_subalgoE3EjNS0_10empty_typeEbEEZZNS1_14partition_implILS8_3ELb0ES6_jNS0_17counting_iteratorIjlEEPS9_SE_NS0_5tupleIJPjSE_EEENSF_IJSE_SE_EEES9_SG_JZNS1_25segmented_radix_sort_implINS0_14default_configELb1EPK6__halfPSL_PKlPlN2at6native12_GLOBAL__N_18offset_tEEE10hipError_tPvRmT1_PNSt15iterator_traitsISZ_E10value_typeET2_T3_PNS10_IS15_E10value_typeET4_jRbjT5_S1B_jjP12ihipStream_tbEUljE_EEESW_SX_SY_S15_S19_S1B_T6_T7_T9_mT8_S1D_bDpT10_ENKUlT_T0_E_clISt17integral_constantIbLb1EES1Q_EEDaS1L_S1M_EUlS1L_E_NS1_11comp_targetILNS1_3genE3ELNS1_11target_archE908ELNS1_3gpuE7ELNS1_3repE0EEENS1_30default_config_static_selectorELNS0_4arch9wavefront6targetE0EEEvSZ_.num_vgpr, 0
	.set _ZN7rocprim17ROCPRIM_400000_NS6detail17trampoline_kernelINS0_13select_configILj256ELj13ELNS0_17block_load_methodE3ELS4_3ELS4_3ELNS0_20block_scan_algorithmE0ELj4294967295EEENS1_25partition_config_selectorILNS1_17partition_subalgoE3EjNS0_10empty_typeEbEEZZNS1_14partition_implILS8_3ELb0ES6_jNS0_17counting_iteratorIjlEEPS9_SE_NS0_5tupleIJPjSE_EEENSF_IJSE_SE_EEES9_SG_JZNS1_25segmented_radix_sort_implINS0_14default_configELb1EPK6__halfPSL_PKlPlN2at6native12_GLOBAL__N_18offset_tEEE10hipError_tPvRmT1_PNSt15iterator_traitsISZ_E10value_typeET2_T3_PNS10_IS15_E10value_typeET4_jRbjT5_S1B_jjP12ihipStream_tbEUljE_EEESW_SX_SY_S15_S19_S1B_T6_T7_T9_mT8_S1D_bDpT10_ENKUlT_T0_E_clISt17integral_constantIbLb1EES1Q_EEDaS1L_S1M_EUlS1L_E_NS1_11comp_targetILNS1_3genE3ELNS1_11target_archE908ELNS1_3gpuE7ELNS1_3repE0EEENS1_30default_config_static_selectorELNS0_4arch9wavefront6targetE0EEEvSZ_.num_agpr, 0
	.set _ZN7rocprim17ROCPRIM_400000_NS6detail17trampoline_kernelINS0_13select_configILj256ELj13ELNS0_17block_load_methodE3ELS4_3ELS4_3ELNS0_20block_scan_algorithmE0ELj4294967295EEENS1_25partition_config_selectorILNS1_17partition_subalgoE3EjNS0_10empty_typeEbEEZZNS1_14partition_implILS8_3ELb0ES6_jNS0_17counting_iteratorIjlEEPS9_SE_NS0_5tupleIJPjSE_EEENSF_IJSE_SE_EEES9_SG_JZNS1_25segmented_radix_sort_implINS0_14default_configELb1EPK6__halfPSL_PKlPlN2at6native12_GLOBAL__N_18offset_tEEE10hipError_tPvRmT1_PNSt15iterator_traitsISZ_E10value_typeET2_T3_PNS10_IS15_E10value_typeET4_jRbjT5_S1B_jjP12ihipStream_tbEUljE_EEESW_SX_SY_S15_S19_S1B_T6_T7_T9_mT8_S1D_bDpT10_ENKUlT_T0_E_clISt17integral_constantIbLb1EES1Q_EEDaS1L_S1M_EUlS1L_E_NS1_11comp_targetILNS1_3genE3ELNS1_11target_archE908ELNS1_3gpuE7ELNS1_3repE0EEENS1_30default_config_static_selectorELNS0_4arch9wavefront6targetE0EEEvSZ_.numbered_sgpr, 0
	.set _ZN7rocprim17ROCPRIM_400000_NS6detail17trampoline_kernelINS0_13select_configILj256ELj13ELNS0_17block_load_methodE3ELS4_3ELS4_3ELNS0_20block_scan_algorithmE0ELj4294967295EEENS1_25partition_config_selectorILNS1_17partition_subalgoE3EjNS0_10empty_typeEbEEZZNS1_14partition_implILS8_3ELb0ES6_jNS0_17counting_iteratorIjlEEPS9_SE_NS0_5tupleIJPjSE_EEENSF_IJSE_SE_EEES9_SG_JZNS1_25segmented_radix_sort_implINS0_14default_configELb1EPK6__halfPSL_PKlPlN2at6native12_GLOBAL__N_18offset_tEEE10hipError_tPvRmT1_PNSt15iterator_traitsISZ_E10value_typeET2_T3_PNS10_IS15_E10value_typeET4_jRbjT5_S1B_jjP12ihipStream_tbEUljE_EEESW_SX_SY_S15_S19_S1B_T6_T7_T9_mT8_S1D_bDpT10_ENKUlT_T0_E_clISt17integral_constantIbLb1EES1Q_EEDaS1L_S1M_EUlS1L_E_NS1_11comp_targetILNS1_3genE3ELNS1_11target_archE908ELNS1_3gpuE7ELNS1_3repE0EEENS1_30default_config_static_selectorELNS0_4arch9wavefront6targetE0EEEvSZ_.num_named_barrier, 0
	.set _ZN7rocprim17ROCPRIM_400000_NS6detail17trampoline_kernelINS0_13select_configILj256ELj13ELNS0_17block_load_methodE3ELS4_3ELS4_3ELNS0_20block_scan_algorithmE0ELj4294967295EEENS1_25partition_config_selectorILNS1_17partition_subalgoE3EjNS0_10empty_typeEbEEZZNS1_14partition_implILS8_3ELb0ES6_jNS0_17counting_iteratorIjlEEPS9_SE_NS0_5tupleIJPjSE_EEENSF_IJSE_SE_EEES9_SG_JZNS1_25segmented_radix_sort_implINS0_14default_configELb1EPK6__halfPSL_PKlPlN2at6native12_GLOBAL__N_18offset_tEEE10hipError_tPvRmT1_PNSt15iterator_traitsISZ_E10value_typeET2_T3_PNS10_IS15_E10value_typeET4_jRbjT5_S1B_jjP12ihipStream_tbEUljE_EEESW_SX_SY_S15_S19_S1B_T6_T7_T9_mT8_S1D_bDpT10_ENKUlT_T0_E_clISt17integral_constantIbLb1EES1Q_EEDaS1L_S1M_EUlS1L_E_NS1_11comp_targetILNS1_3genE3ELNS1_11target_archE908ELNS1_3gpuE7ELNS1_3repE0EEENS1_30default_config_static_selectorELNS0_4arch9wavefront6targetE0EEEvSZ_.private_seg_size, 0
	.set _ZN7rocprim17ROCPRIM_400000_NS6detail17trampoline_kernelINS0_13select_configILj256ELj13ELNS0_17block_load_methodE3ELS4_3ELS4_3ELNS0_20block_scan_algorithmE0ELj4294967295EEENS1_25partition_config_selectorILNS1_17partition_subalgoE3EjNS0_10empty_typeEbEEZZNS1_14partition_implILS8_3ELb0ES6_jNS0_17counting_iteratorIjlEEPS9_SE_NS0_5tupleIJPjSE_EEENSF_IJSE_SE_EEES9_SG_JZNS1_25segmented_radix_sort_implINS0_14default_configELb1EPK6__halfPSL_PKlPlN2at6native12_GLOBAL__N_18offset_tEEE10hipError_tPvRmT1_PNSt15iterator_traitsISZ_E10value_typeET2_T3_PNS10_IS15_E10value_typeET4_jRbjT5_S1B_jjP12ihipStream_tbEUljE_EEESW_SX_SY_S15_S19_S1B_T6_T7_T9_mT8_S1D_bDpT10_ENKUlT_T0_E_clISt17integral_constantIbLb1EES1Q_EEDaS1L_S1M_EUlS1L_E_NS1_11comp_targetILNS1_3genE3ELNS1_11target_archE908ELNS1_3gpuE7ELNS1_3repE0EEENS1_30default_config_static_selectorELNS0_4arch9wavefront6targetE0EEEvSZ_.uses_vcc, 0
	.set _ZN7rocprim17ROCPRIM_400000_NS6detail17trampoline_kernelINS0_13select_configILj256ELj13ELNS0_17block_load_methodE3ELS4_3ELS4_3ELNS0_20block_scan_algorithmE0ELj4294967295EEENS1_25partition_config_selectorILNS1_17partition_subalgoE3EjNS0_10empty_typeEbEEZZNS1_14partition_implILS8_3ELb0ES6_jNS0_17counting_iteratorIjlEEPS9_SE_NS0_5tupleIJPjSE_EEENSF_IJSE_SE_EEES9_SG_JZNS1_25segmented_radix_sort_implINS0_14default_configELb1EPK6__halfPSL_PKlPlN2at6native12_GLOBAL__N_18offset_tEEE10hipError_tPvRmT1_PNSt15iterator_traitsISZ_E10value_typeET2_T3_PNS10_IS15_E10value_typeET4_jRbjT5_S1B_jjP12ihipStream_tbEUljE_EEESW_SX_SY_S15_S19_S1B_T6_T7_T9_mT8_S1D_bDpT10_ENKUlT_T0_E_clISt17integral_constantIbLb1EES1Q_EEDaS1L_S1M_EUlS1L_E_NS1_11comp_targetILNS1_3genE3ELNS1_11target_archE908ELNS1_3gpuE7ELNS1_3repE0EEENS1_30default_config_static_selectorELNS0_4arch9wavefront6targetE0EEEvSZ_.uses_flat_scratch, 0
	.set _ZN7rocprim17ROCPRIM_400000_NS6detail17trampoline_kernelINS0_13select_configILj256ELj13ELNS0_17block_load_methodE3ELS4_3ELS4_3ELNS0_20block_scan_algorithmE0ELj4294967295EEENS1_25partition_config_selectorILNS1_17partition_subalgoE3EjNS0_10empty_typeEbEEZZNS1_14partition_implILS8_3ELb0ES6_jNS0_17counting_iteratorIjlEEPS9_SE_NS0_5tupleIJPjSE_EEENSF_IJSE_SE_EEES9_SG_JZNS1_25segmented_radix_sort_implINS0_14default_configELb1EPK6__halfPSL_PKlPlN2at6native12_GLOBAL__N_18offset_tEEE10hipError_tPvRmT1_PNSt15iterator_traitsISZ_E10value_typeET2_T3_PNS10_IS15_E10value_typeET4_jRbjT5_S1B_jjP12ihipStream_tbEUljE_EEESW_SX_SY_S15_S19_S1B_T6_T7_T9_mT8_S1D_bDpT10_ENKUlT_T0_E_clISt17integral_constantIbLb1EES1Q_EEDaS1L_S1M_EUlS1L_E_NS1_11comp_targetILNS1_3genE3ELNS1_11target_archE908ELNS1_3gpuE7ELNS1_3repE0EEENS1_30default_config_static_selectorELNS0_4arch9wavefront6targetE0EEEvSZ_.has_dyn_sized_stack, 0
	.set _ZN7rocprim17ROCPRIM_400000_NS6detail17trampoline_kernelINS0_13select_configILj256ELj13ELNS0_17block_load_methodE3ELS4_3ELS4_3ELNS0_20block_scan_algorithmE0ELj4294967295EEENS1_25partition_config_selectorILNS1_17partition_subalgoE3EjNS0_10empty_typeEbEEZZNS1_14partition_implILS8_3ELb0ES6_jNS0_17counting_iteratorIjlEEPS9_SE_NS0_5tupleIJPjSE_EEENSF_IJSE_SE_EEES9_SG_JZNS1_25segmented_radix_sort_implINS0_14default_configELb1EPK6__halfPSL_PKlPlN2at6native12_GLOBAL__N_18offset_tEEE10hipError_tPvRmT1_PNSt15iterator_traitsISZ_E10value_typeET2_T3_PNS10_IS15_E10value_typeET4_jRbjT5_S1B_jjP12ihipStream_tbEUljE_EEESW_SX_SY_S15_S19_S1B_T6_T7_T9_mT8_S1D_bDpT10_ENKUlT_T0_E_clISt17integral_constantIbLb1EES1Q_EEDaS1L_S1M_EUlS1L_E_NS1_11comp_targetILNS1_3genE3ELNS1_11target_archE908ELNS1_3gpuE7ELNS1_3repE0EEENS1_30default_config_static_selectorELNS0_4arch9wavefront6targetE0EEEvSZ_.has_recursion, 0
	.set _ZN7rocprim17ROCPRIM_400000_NS6detail17trampoline_kernelINS0_13select_configILj256ELj13ELNS0_17block_load_methodE3ELS4_3ELS4_3ELNS0_20block_scan_algorithmE0ELj4294967295EEENS1_25partition_config_selectorILNS1_17partition_subalgoE3EjNS0_10empty_typeEbEEZZNS1_14partition_implILS8_3ELb0ES6_jNS0_17counting_iteratorIjlEEPS9_SE_NS0_5tupleIJPjSE_EEENSF_IJSE_SE_EEES9_SG_JZNS1_25segmented_radix_sort_implINS0_14default_configELb1EPK6__halfPSL_PKlPlN2at6native12_GLOBAL__N_18offset_tEEE10hipError_tPvRmT1_PNSt15iterator_traitsISZ_E10value_typeET2_T3_PNS10_IS15_E10value_typeET4_jRbjT5_S1B_jjP12ihipStream_tbEUljE_EEESW_SX_SY_S15_S19_S1B_T6_T7_T9_mT8_S1D_bDpT10_ENKUlT_T0_E_clISt17integral_constantIbLb1EES1Q_EEDaS1L_S1M_EUlS1L_E_NS1_11comp_targetILNS1_3genE3ELNS1_11target_archE908ELNS1_3gpuE7ELNS1_3repE0EEENS1_30default_config_static_selectorELNS0_4arch9wavefront6targetE0EEEvSZ_.has_indirect_call, 0
	.section	.AMDGPU.csdata,"",@progbits
; Kernel info:
; codeLenInByte = 0
; TotalNumSgprs: 0
; NumVgprs: 0
; ScratchSize: 0
; MemoryBound: 0
; FloatMode: 240
; IeeeMode: 1
; LDSByteSize: 0 bytes/workgroup (compile time only)
; SGPRBlocks: 0
; VGPRBlocks: 0
; NumSGPRsForWavesPerEU: 1
; NumVGPRsForWavesPerEU: 1
; NamedBarCnt: 0
; Occupancy: 16
; WaveLimiterHint : 0
; COMPUTE_PGM_RSRC2:SCRATCH_EN: 0
; COMPUTE_PGM_RSRC2:USER_SGPR: 2
; COMPUTE_PGM_RSRC2:TRAP_HANDLER: 0
; COMPUTE_PGM_RSRC2:TGID_X_EN: 1
; COMPUTE_PGM_RSRC2:TGID_Y_EN: 0
; COMPUTE_PGM_RSRC2:TGID_Z_EN: 0
; COMPUTE_PGM_RSRC2:TIDIG_COMP_CNT: 0
	.section	.text._ZN7rocprim17ROCPRIM_400000_NS6detail17trampoline_kernelINS0_13select_configILj256ELj13ELNS0_17block_load_methodE3ELS4_3ELS4_3ELNS0_20block_scan_algorithmE0ELj4294967295EEENS1_25partition_config_selectorILNS1_17partition_subalgoE3EjNS0_10empty_typeEbEEZZNS1_14partition_implILS8_3ELb0ES6_jNS0_17counting_iteratorIjlEEPS9_SE_NS0_5tupleIJPjSE_EEENSF_IJSE_SE_EEES9_SG_JZNS1_25segmented_radix_sort_implINS0_14default_configELb1EPK6__halfPSL_PKlPlN2at6native12_GLOBAL__N_18offset_tEEE10hipError_tPvRmT1_PNSt15iterator_traitsISZ_E10value_typeET2_T3_PNS10_IS15_E10value_typeET4_jRbjT5_S1B_jjP12ihipStream_tbEUljE_EEESW_SX_SY_S15_S19_S1B_T6_T7_T9_mT8_S1D_bDpT10_ENKUlT_T0_E_clISt17integral_constantIbLb1EES1Q_EEDaS1L_S1M_EUlS1L_E_NS1_11comp_targetILNS1_3genE2ELNS1_11target_archE906ELNS1_3gpuE6ELNS1_3repE0EEENS1_30default_config_static_selectorELNS0_4arch9wavefront6targetE0EEEvSZ_,"axG",@progbits,_ZN7rocprim17ROCPRIM_400000_NS6detail17trampoline_kernelINS0_13select_configILj256ELj13ELNS0_17block_load_methodE3ELS4_3ELS4_3ELNS0_20block_scan_algorithmE0ELj4294967295EEENS1_25partition_config_selectorILNS1_17partition_subalgoE3EjNS0_10empty_typeEbEEZZNS1_14partition_implILS8_3ELb0ES6_jNS0_17counting_iteratorIjlEEPS9_SE_NS0_5tupleIJPjSE_EEENSF_IJSE_SE_EEES9_SG_JZNS1_25segmented_radix_sort_implINS0_14default_configELb1EPK6__halfPSL_PKlPlN2at6native12_GLOBAL__N_18offset_tEEE10hipError_tPvRmT1_PNSt15iterator_traitsISZ_E10value_typeET2_T3_PNS10_IS15_E10value_typeET4_jRbjT5_S1B_jjP12ihipStream_tbEUljE_EEESW_SX_SY_S15_S19_S1B_T6_T7_T9_mT8_S1D_bDpT10_ENKUlT_T0_E_clISt17integral_constantIbLb1EES1Q_EEDaS1L_S1M_EUlS1L_E_NS1_11comp_targetILNS1_3genE2ELNS1_11target_archE906ELNS1_3gpuE6ELNS1_3repE0EEENS1_30default_config_static_selectorELNS0_4arch9wavefront6targetE0EEEvSZ_,comdat
	.globl	_ZN7rocprim17ROCPRIM_400000_NS6detail17trampoline_kernelINS0_13select_configILj256ELj13ELNS0_17block_load_methodE3ELS4_3ELS4_3ELNS0_20block_scan_algorithmE0ELj4294967295EEENS1_25partition_config_selectorILNS1_17partition_subalgoE3EjNS0_10empty_typeEbEEZZNS1_14partition_implILS8_3ELb0ES6_jNS0_17counting_iteratorIjlEEPS9_SE_NS0_5tupleIJPjSE_EEENSF_IJSE_SE_EEES9_SG_JZNS1_25segmented_radix_sort_implINS0_14default_configELb1EPK6__halfPSL_PKlPlN2at6native12_GLOBAL__N_18offset_tEEE10hipError_tPvRmT1_PNSt15iterator_traitsISZ_E10value_typeET2_T3_PNS10_IS15_E10value_typeET4_jRbjT5_S1B_jjP12ihipStream_tbEUljE_EEESW_SX_SY_S15_S19_S1B_T6_T7_T9_mT8_S1D_bDpT10_ENKUlT_T0_E_clISt17integral_constantIbLb1EES1Q_EEDaS1L_S1M_EUlS1L_E_NS1_11comp_targetILNS1_3genE2ELNS1_11target_archE906ELNS1_3gpuE6ELNS1_3repE0EEENS1_30default_config_static_selectorELNS0_4arch9wavefront6targetE0EEEvSZ_ ; -- Begin function _ZN7rocprim17ROCPRIM_400000_NS6detail17trampoline_kernelINS0_13select_configILj256ELj13ELNS0_17block_load_methodE3ELS4_3ELS4_3ELNS0_20block_scan_algorithmE0ELj4294967295EEENS1_25partition_config_selectorILNS1_17partition_subalgoE3EjNS0_10empty_typeEbEEZZNS1_14partition_implILS8_3ELb0ES6_jNS0_17counting_iteratorIjlEEPS9_SE_NS0_5tupleIJPjSE_EEENSF_IJSE_SE_EEES9_SG_JZNS1_25segmented_radix_sort_implINS0_14default_configELb1EPK6__halfPSL_PKlPlN2at6native12_GLOBAL__N_18offset_tEEE10hipError_tPvRmT1_PNSt15iterator_traitsISZ_E10value_typeET2_T3_PNS10_IS15_E10value_typeET4_jRbjT5_S1B_jjP12ihipStream_tbEUljE_EEESW_SX_SY_S15_S19_S1B_T6_T7_T9_mT8_S1D_bDpT10_ENKUlT_T0_E_clISt17integral_constantIbLb1EES1Q_EEDaS1L_S1M_EUlS1L_E_NS1_11comp_targetILNS1_3genE2ELNS1_11target_archE906ELNS1_3gpuE6ELNS1_3repE0EEENS1_30default_config_static_selectorELNS0_4arch9wavefront6targetE0EEEvSZ_
	.p2align	8
	.type	_ZN7rocprim17ROCPRIM_400000_NS6detail17trampoline_kernelINS0_13select_configILj256ELj13ELNS0_17block_load_methodE3ELS4_3ELS4_3ELNS0_20block_scan_algorithmE0ELj4294967295EEENS1_25partition_config_selectorILNS1_17partition_subalgoE3EjNS0_10empty_typeEbEEZZNS1_14partition_implILS8_3ELb0ES6_jNS0_17counting_iteratorIjlEEPS9_SE_NS0_5tupleIJPjSE_EEENSF_IJSE_SE_EEES9_SG_JZNS1_25segmented_radix_sort_implINS0_14default_configELb1EPK6__halfPSL_PKlPlN2at6native12_GLOBAL__N_18offset_tEEE10hipError_tPvRmT1_PNSt15iterator_traitsISZ_E10value_typeET2_T3_PNS10_IS15_E10value_typeET4_jRbjT5_S1B_jjP12ihipStream_tbEUljE_EEESW_SX_SY_S15_S19_S1B_T6_T7_T9_mT8_S1D_bDpT10_ENKUlT_T0_E_clISt17integral_constantIbLb1EES1Q_EEDaS1L_S1M_EUlS1L_E_NS1_11comp_targetILNS1_3genE2ELNS1_11target_archE906ELNS1_3gpuE6ELNS1_3repE0EEENS1_30default_config_static_selectorELNS0_4arch9wavefront6targetE0EEEvSZ_,@function
_ZN7rocprim17ROCPRIM_400000_NS6detail17trampoline_kernelINS0_13select_configILj256ELj13ELNS0_17block_load_methodE3ELS4_3ELS4_3ELNS0_20block_scan_algorithmE0ELj4294967295EEENS1_25partition_config_selectorILNS1_17partition_subalgoE3EjNS0_10empty_typeEbEEZZNS1_14partition_implILS8_3ELb0ES6_jNS0_17counting_iteratorIjlEEPS9_SE_NS0_5tupleIJPjSE_EEENSF_IJSE_SE_EEES9_SG_JZNS1_25segmented_radix_sort_implINS0_14default_configELb1EPK6__halfPSL_PKlPlN2at6native12_GLOBAL__N_18offset_tEEE10hipError_tPvRmT1_PNSt15iterator_traitsISZ_E10value_typeET2_T3_PNS10_IS15_E10value_typeET4_jRbjT5_S1B_jjP12ihipStream_tbEUljE_EEESW_SX_SY_S15_S19_S1B_T6_T7_T9_mT8_S1D_bDpT10_ENKUlT_T0_E_clISt17integral_constantIbLb1EES1Q_EEDaS1L_S1M_EUlS1L_E_NS1_11comp_targetILNS1_3genE2ELNS1_11target_archE906ELNS1_3gpuE6ELNS1_3repE0EEENS1_30default_config_static_selectorELNS0_4arch9wavefront6targetE0EEEvSZ_: ; @_ZN7rocprim17ROCPRIM_400000_NS6detail17trampoline_kernelINS0_13select_configILj256ELj13ELNS0_17block_load_methodE3ELS4_3ELS4_3ELNS0_20block_scan_algorithmE0ELj4294967295EEENS1_25partition_config_selectorILNS1_17partition_subalgoE3EjNS0_10empty_typeEbEEZZNS1_14partition_implILS8_3ELb0ES6_jNS0_17counting_iteratorIjlEEPS9_SE_NS0_5tupleIJPjSE_EEENSF_IJSE_SE_EEES9_SG_JZNS1_25segmented_radix_sort_implINS0_14default_configELb1EPK6__halfPSL_PKlPlN2at6native12_GLOBAL__N_18offset_tEEE10hipError_tPvRmT1_PNSt15iterator_traitsISZ_E10value_typeET2_T3_PNS10_IS15_E10value_typeET4_jRbjT5_S1B_jjP12ihipStream_tbEUljE_EEESW_SX_SY_S15_S19_S1B_T6_T7_T9_mT8_S1D_bDpT10_ENKUlT_T0_E_clISt17integral_constantIbLb1EES1Q_EEDaS1L_S1M_EUlS1L_E_NS1_11comp_targetILNS1_3genE2ELNS1_11target_archE906ELNS1_3gpuE6ELNS1_3repE0EEENS1_30default_config_static_selectorELNS0_4arch9wavefront6targetE0EEEvSZ_
; %bb.0:
	.section	.rodata,"a",@progbits
	.p2align	6, 0x0
	.amdhsa_kernel _ZN7rocprim17ROCPRIM_400000_NS6detail17trampoline_kernelINS0_13select_configILj256ELj13ELNS0_17block_load_methodE3ELS4_3ELS4_3ELNS0_20block_scan_algorithmE0ELj4294967295EEENS1_25partition_config_selectorILNS1_17partition_subalgoE3EjNS0_10empty_typeEbEEZZNS1_14partition_implILS8_3ELb0ES6_jNS0_17counting_iteratorIjlEEPS9_SE_NS0_5tupleIJPjSE_EEENSF_IJSE_SE_EEES9_SG_JZNS1_25segmented_radix_sort_implINS0_14default_configELb1EPK6__halfPSL_PKlPlN2at6native12_GLOBAL__N_18offset_tEEE10hipError_tPvRmT1_PNSt15iterator_traitsISZ_E10value_typeET2_T3_PNS10_IS15_E10value_typeET4_jRbjT5_S1B_jjP12ihipStream_tbEUljE_EEESW_SX_SY_S15_S19_S1B_T6_T7_T9_mT8_S1D_bDpT10_ENKUlT_T0_E_clISt17integral_constantIbLb1EES1Q_EEDaS1L_S1M_EUlS1L_E_NS1_11comp_targetILNS1_3genE2ELNS1_11target_archE906ELNS1_3gpuE6ELNS1_3repE0EEENS1_30default_config_static_selectorELNS0_4arch9wavefront6targetE0EEEvSZ_
		.amdhsa_group_segment_fixed_size 0
		.amdhsa_private_segment_fixed_size 0
		.amdhsa_kernarg_size 152
		.amdhsa_user_sgpr_count 2
		.amdhsa_user_sgpr_dispatch_ptr 0
		.amdhsa_user_sgpr_queue_ptr 0
		.amdhsa_user_sgpr_kernarg_segment_ptr 1
		.amdhsa_user_sgpr_dispatch_id 0
		.amdhsa_user_sgpr_kernarg_preload_length 0
		.amdhsa_user_sgpr_kernarg_preload_offset 0
		.amdhsa_user_sgpr_private_segment_size 0
		.amdhsa_wavefront_size32 1
		.amdhsa_uses_dynamic_stack 0
		.amdhsa_enable_private_segment 0
		.amdhsa_system_sgpr_workgroup_id_x 1
		.amdhsa_system_sgpr_workgroup_id_y 0
		.amdhsa_system_sgpr_workgroup_id_z 0
		.amdhsa_system_sgpr_workgroup_info 0
		.amdhsa_system_vgpr_workitem_id 0
		.amdhsa_next_free_vgpr 1
		.amdhsa_next_free_sgpr 1
		.amdhsa_named_barrier_count 0
		.amdhsa_reserve_vcc 0
		.amdhsa_float_round_mode_32 0
		.amdhsa_float_round_mode_16_64 0
		.amdhsa_float_denorm_mode_32 3
		.amdhsa_float_denorm_mode_16_64 3
		.amdhsa_fp16_overflow 0
		.amdhsa_memory_ordered 1
		.amdhsa_forward_progress 1
		.amdhsa_inst_pref_size 0
		.amdhsa_round_robin_scheduling 0
		.amdhsa_exception_fp_ieee_invalid_op 0
		.amdhsa_exception_fp_denorm_src 0
		.amdhsa_exception_fp_ieee_div_zero 0
		.amdhsa_exception_fp_ieee_overflow 0
		.amdhsa_exception_fp_ieee_underflow 0
		.amdhsa_exception_fp_ieee_inexact 0
		.amdhsa_exception_int_div_zero 0
	.end_amdhsa_kernel
	.section	.text._ZN7rocprim17ROCPRIM_400000_NS6detail17trampoline_kernelINS0_13select_configILj256ELj13ELNS0_17block_load_methodE3ELS4_3ELS4_3ELNS0_20block_scan_algorithmE0ELj4294967295EEENS1_25partition_config_selectorILNS1_17partition_subalgoE3EjNS0_10empty_typeEbEEZZNS1_14partition_implILS8_3ELb0ES6_jNS0_17counting_iteratorIjlEEPS9_SE_NS0_5tupleIJPjSE_EEENSF_IJSE_SE_EEES9_SG_JZNS1_25segmented_radix_sort_implINS0_14default_configELb1EPK6__halfPSL_PKlPlN2at6native12_GLOBAL__N_18offset_tEEE10hipError_tPvRmT1_PNSt15iterator_traitsISZ_E10value_typeET2_T3_PNS10_IS15_E10value_typeET4_jRbjT5_S1B_jjP12ihipStream_tbEUljE_EEESW_SX_SY_S15_S19_S1B_T6_T7_T9_mT8_S1D_bDpT10_ENKUlT_T0_E_clISt17integral_constantIbLb1EES1Q_EEDaS1L_S1M_EUlS1L_E_NS1_11comp_targetILNS1_3genE2ELNS1_11target_archE906ELNS1_3gpuE6ELNS1_3repE0EEENS1_30default_config_static_selectorELNS0_4arch9wavefront6targetE0EEEvSZ_,"axG",@progbits,_ZN7rocprim17ROCPRIM_400000_NS6detail17trampoline_kernelINS0_13select_configILj256ELj13ELNS0_17block_load_methodE3ELS4_3ELS4_3ELNS0_20block_scan_algorithmE0ELj4294967295EEENS1_25partition_config_selectorILNS1_17partition_subalgoE3EjNS0_10empty_typeEbEEZZNS1_14partition_implILS8_3ELb0ES6_jNS0_17counting_iteratorIjlEEPS9_SE_NS0_5tupleIJPjSE_EEENSF_IJSE_SE_EEES9_SG_JZNS1_25segmented_radix_sort_implINS0_14default_configELb1EPK6__halfPSL_PKlPlN2at6native12_GLOBAL__N_18offset_tEEE10hipError_tPvRmT1_PNSt15iterator_traitsISZ_E10value_typeET2_T3_PNS10_IS15_E10value_typeET4_jRbjT5_S1B_jjP12ihipStream_tbEUljE_EEESW_SX_SY_S15_S19_S1B_T6_T7_T9_mT8_S1D_bDpT10_ENKUlT_T0_E_clISt17integral_constantIbLb1EES1Q_EEDaS1L_S1M_EUlS1L_E_NS1_11comp_targetILNS1_3genE2ELNS1_11target_archE906ELNS1_3gpuE6ELNS1_3repE0EEENS1_30default_config_static_selectorELNS0_4arch9wavefront6targetE0EEEvSZ_,comdat
.Lfunc_end1709:
	.size	_ZN7rocprim17ROCPRIM_400000_NS6detail17trampoline_kernelINS0_13select_configILj256ELj13ELNS0_17block_load_methodE3ELS4_3ELS4_3ELNS0_20block_scan_algorithmE0ELj4294967295EEENS1_25partition_config_selectorILNS1_17partition_subalgoE3EjNS0_10empty_typeEbEEZZNS1_14partition_implILS8_3ELb0ES6_jNS0_17counting_iteratorIjlEEPS9_SE_NS0_5tupleIJPjSE_EEENSF_IJSE_SE_EEES9_SG_JZNS1_25segmented_radix_sort_implINS0_14default_configELb1EPK6__halfPSL_PKlPlN2at6native12_GLOBAL__N_18offset_tEEE10hipError_tPvRmT1_PNSt15iterator_traitsISZ_E10value_typeET2_T3_PNS10_IS15_E10value_typeET4_jRbjT5_S1B_jjP12ihipStream_tbEUljE_EEESW_SX_SY_S15_S19_S1B_T6_T7_T9_mT8_S1D_bDpT10_ENKUlT_T0_E_clISt17integral_constantIbLb1EES1Q_EEDaS1L_S1M_EUlS1L_E_NS1_11comp_targetILNS1_3genE2ELNS1_11target_archE906ELNS1_3gpuE6ELNS1_3repE0EEENS1_30default_config_static_selectorELNS0_4arch9wavefront6targetE0EEEvSZ_, .Lfunc_end1709-_ZN7rocprim17ROCPRIM_400000_NS6detail17trampoline_kernelINS0_13select_configILj256ELj13ELNS0_17block_load_methodE3ELS4_3ELS4_3ELNS0_20block_scan_algorithmE0ELj4294967295EEENS1_25partition_config_selectorILNS1_17partition_subalgoE3EjNS0_10empty_typeEbEEZZNS1_14partition_implILS8_3ELb0ES6_jNS0_17counting_iteratorIjlEEPS9_SE_NS0_5tupleIJPjSE_EEENSF_IJSE_SE_EEES9_SG_JZNS1_25segmented_radix_sort_implINS0_14default_configELb1EPK6__halfPSL_PKlPlN2at6native12_GLOBAL__N_18offset_tEEE10hipError_tPvRmT1_PNSt15iterator_traitsISZ_E10value_typeET2_T3_PNS10_IS15_E10value_typeET4_jRbjT5_S1B_jjP12ihipStream_tbEUljE_EEESW_SX_SY_S15_S19_S1B_T6_T7_T9_mT8_S1D_bDpT10_ENKUlT_T0_E_clISt17integral_constantIbLb1EES1Q_EEDaS1L_S1M_EUlS1L_E_NS1_11comp_targetILNS1_3genE2ELNS1_11target_archE906ELNS1_3gpuE6ELNS1_3repE0EEENS1_30default_config_static_selectorELNS0_4arch9wavefront6targetE0EEEvSZ_
                                        ; -- End function
	.set _ZN7rocprim17ROCPRIM_400000_NS6detail17trampoline_kernelINS0_13select_configILj256ELj13ELNS0_17block_load_methodE3ELS4_3ELS4_3ELNS0_20block_scan_algorithmE0ELj4294967295EEENS1_25partition_config_selectorILNS1_17partition_subalgoE3EjNS0_10empty_typeEbEEZZNS1_14partition_implILS8_3ELb0ES6_jNS0_17counting_iteratorIjlEEPS9_SE_NS0_5tupleIJPjSE_EEENSF_IJSE_SE_EEES9_SG_JZNS1_25segmented_radix_sort_implINS0_14default_configELb1EPK6__halfPSL_PKlPlN2at6native12_GLOBAL__N_18offset_tEEE10hipError_tPvRmT1_PNSt15iterator_traitsISZ_E10value_typeET2_T3_PNS10_IS15_E10value_typeET4_jRbjT5_S1B_jjP12ihipStream_tbEUljE_EEESW_SX_SY_S15_S19_S1B_T6_T7_T9_mT8_S1D_bDpT10_ENKUlT_T0_E_clISt17integral_constantIbLb1EES1Q_EEDaS1L_S1M_EUlS1L_E_NS1_11comp_targetILNS1_3genE2ELNS1_11target_archE906ELNS1_3gpuE6ELNS1_3repE0EEENS1_30default_config_static_selectorELNS0_4arch9wavefront6targetE0EEEvSZ_.num_vgpr, 0
	.set _ZN7rocprim17ROCPRIM_400000_NS6detail17trampoline_kernelINS0_13select_configILj256ELj13ELNS0_17block_load_methodE3ELS4_3ELS4_3ELNS0_20block_scan_algorithmE0ELj4294967295EEENS1_25partition_config_selectorILNS1_17partition_subalgoE3EjNS0_10empty_typeEbEEZZNS1_14partition_implILS8_3ELb0ES6_jNS0_17counting_iteratorIjlEEPS9_SE_NS0_5tupleIJPjSE_EEENSF_IJSE_SE_EEES9_SG_JZNS1_25segmented_radix_sort_implINS0_14default_configELb1EPK6__halfPSL_PKlPlN2at6native12_GLOBAL__N_18offset_tEEE10hipError_tPvRmT1_PNSt15iterator_traitsISZ_E10value_typeET2_T3_PNS10_IS15_E10value_typeET4_jRbjT5_S1B_jjP12ihipStream_tbEUljE_EEESW_SX_SY_S15_S19_S1B_T6_T7_T9_mT8_S1D_bDpT10_ENKUlT_T0_E_clISt17integral_constantIbLb1EES1Q_EEDaS1L_S1M_EUlS1L_E_NS1_11comp_targetILNS1_3genE2ELNS1_11target_archE906ELNS1_3gpuE6ELNS1_3repE0EEENS1_30default_config_static_selectorELNS0_4arch9wavefront6targetE0EEEvSZ_.num_agpr, 0
	.set _ZN7rocprim17ROCPRIM_400000_NS6detail17trampoline_kernelINS0_13select_configILj256ELj13ELNS0_17block_load_methodE3ELS4_3ELS4_3ELNS0_20block_scan_algorithmE0ELj4294967295EEENS1_25partition_config_selectorILNS1_17partition_subalgoE3EjNS0_10empty_typeEbEEZZNS1_14partition_implILS8_3ELb0ES6_jNS0_17counting_iteratorIjlEEPS9_SE_NS0_5tupleIJPjSE_EEENSF_IJSE_SE_EEES9_SG_JZNS1_25segmented_radix_sort_implINS0_14default_configELb1EPK6__halfPSL_PKlPlN2at6native12_GLOBAL__N_18offset_tEEE10hipError_tPvRmT1_PNSt15iterator_traitsISZ_E10value_typeET2_T3_PNS10_IS15_E10value_typeET4_jRbjT5_S1B_jjP12ihipStream_tbEUljE_EEESW_SX_SY_S15_S19_S1B_T6_T7_T9_mT8_S1D_bDpT10_ENKUlT_T0_E_clISt17integral_constantIbLb1EES1Q_EEDaS1L_S1M_EUlS1L_E_NS1_11comp_targetILNS1_3genE2ELNS1_11target_archE906ELNS1_3gpuE6ELNS1_3repE0EEENS1_30default_config_static_selectorELNS0_4arch9wavefront6targetE0EEEvSZ_.numbered_sgpr, 0
	.set _ZN7rocprim17ROCPRIM_400000_NS6detail17trampoline_kernelINS0_13select_configILj256ELj13ELNS0_17block_load_methodE3ELS4_3ELS4_3ELNS0_20block_scan_algorithmE0ELj4294967295EEENS1_25partition_config_selectorILNS1_17partition_subalgoE3EjNS0_10empty_typeEbEEZZNS1_14partition_implILS8_3ELb0ES6_jNS0_17counting_iteratorIjlEEPS9_SE_NS0_5tupleIJPjSE_EEENSF_IJSE_SE_EEES9_SG_JZNS1_25segmented_radix_sort_implINS0_14default_configELb1EPK6__halfPSL_PKlPlN2at6native12_GLOBAL__N_18offset_tEEE10hipError_tPvRmT1_PNSt15iterator_traitsISZ_E10value_typeET2_T3_PNS10_IS15_E10value_typeET4_jRbjT5_S1B_jjP12ihipStream_tbEUljE_EEESW_SX_SY_S15_S19_S1B_T6_T7_T9_mT8_S1D_bDpT10_ENKUlT_T0_E_clISt17integral_constantIbLb1EES1Q_EEDaS1L_S1M_EUlS1L_E_NS1_11comp_targetILNS1_3genE2ELNS1_11target_archE906ELNS1_3gpuE6ELNS1_3repE0EEENS1_30default_config_static_selectorELNS0_4arch9wavefront6targetE0EEEvSZ_.num_named_barrier, 0
	.set _ZN7rocprim17ROCPRIM_400000_NS6detail17trampoline_kernelINS0_13select_configILj256ELj13ELNS0_17block_load_methodE3ELS4_3ELS4_3ELNS0_20block_scan_algorithmE0ELj4294967295EEENS1_25partition_config_selectorILNS1_17partition_subalgoE3EjNS0_10empty_typeEbEEZZNS1_14partition_implILS8_3ELb0ES6_jNS0_17counting_iteratorIjlEEPS9_SE_NS0_5tupleIJPjSE_EEENSF_IJSE_SE_EEES9_SG_JZNS1_25segmented_radix_sort_implINS0_14default_configELb1EPK6__halfPSL_PKlPlN2at6native12_GLOBAL__N_18offset_tEEE10hipError_tPvRmT1_PNSt15iterator_traitsISZ_E10value_typeET2_T3_PNS10_IS15_E10value_typeET4_jRbjT5_S1B_jjP12ihipStream_tbEUljE_EEESW_SX_SY_S15_S19_S1B_T6_T7_T9_mT8_S1D_bDpT10_ENKUlT_T0_E_clISt17integral_constantIbLb1EES1Q_EEDaS1L_S1M_EUlS1L_E_NS1_11comp_targetILNS1_3genE2ELNS1_11target_archE906ELNS1_3gpuE6ELNS1_3repE0EEENS1_30default_config_static_selectorELNS0_4arch9wavefront6targetE0EEEvSZ_.private_seg_size, 0
	.set _ZN7rocprim17ROCPRIM_400000_NS6detail17trampoline_kernelINS0_13select_configILj256ELj13ELNS0_17block_load_methodE3ELS4_3ELS4_3ELNS0_20block_scan_algorithmE0ELj4294967295EEENS1_25partition_config_selectorILNS1_17partition_subalgoE3EjNS0_10empty_typeEbEEZZNS1_14partition_implILS8_3ELb0ES6_jNS0_17counting_iteratorIjlEEPS9_SE_NS0_5tupleIJPjSE_EEENSF_IJSE_SE_EEES9_SG_JZNS1_25segmented_radix_sort_implINS0_14default_configELb1EPK6__halfPSL_PKlPlN2at6native12_GLOBAL__N_18offset_tEEE10hipError_tPvRmT1_PNSt15iterator_traitsISZ_E10value_typeET2_T3_PNS10_IS15_E10value_typeET4_jRbjT5_S1B_jjP12ihipStream_tbEUljE_EEESW_SX_SY_S15_S19_S1B_T6_T7_T9_mT8_S1D_bDpT10_ENKUlT_T0_E_clISt17integral_constantIbLb1EES1Q_EEDaS1L_S1M_EUlS1L_E_NS1_11comp_targetILNS1_3genE2ELNS1_11target_archE906ELNS1_3gpuE6ELNS1_3repE0EEENS1_30default_config_static_selectorELNS0_4arch9wavefront6targetE0EEEvSZ_.uses_vcc, 0
	.set _ZN7rocprim17ROCPRIM_400000_NS6detail17trampoline_kernelINS0_13select_configILj256ELj13ELNS0_17block_load_methodE3ELS4_3ELS4_3ELNS0_20block_scan_algorithmE0ELj4294967295EEENS1_25partition_config_selectorILNS1_17partition_subalgoE3EjNS0_10empty_typeEbEEZZNS1_14partition_implILS8_3ELb0ES6_jNS0_17counting_iteratorIjlEEPS9_SE_NS0_5tupleIJPjSE_EEENSF_IJSE_SE_EEES9_SG_JZNS1_25segmented_radix_sort_implINS0_14default_configELb1EPK6__halfPSL_PKlPlN2at6native12_GLOBAL__N_18offset_tEEE10hipError_tPvRmT1_PNSt15iterator_traitsISZ_E10value_typeET2_T3_PNS10_IS15_E10value_typeET4_jRbjT5_S1B_jjP12ihipStream_tbEUljE_EEESW_SX_SY_S15_S19_S1B_T6_T7_T9_mT8_S1D_bDpT10_ENKUlT_T0_E_clISt17integral_constantIbLb1EES1Q_EEDaS1L_S1M_EUlS1L_E_NS1_11comp_targetILNS1_3genE2ELNS1_11target_archE906ELNS1_3gpuE6ELNS1_3repE0EEENS1_30default_config_static_selectorELNS0_4arch9wavefront6targetE0EEEvSZ_.uses_flat_scratch, 0
	.set _ZN7rocprim17ROCPRIM_400000_NS6detail17trampoline_kernelINS0_13select_configILj256ELj13ELNS0_17block_load_methodE3ELS4_3ELS4_3ELNS0_20block_scan_algorithmE0ELj4294967295EEENS1_25partition_config_selectorILNS1_17partition_subalgoE3EjNS0_10empty_typeEbEEZZNS1_14partition_implILS8_3ELb0ES6_jNS0_17counting_iteratorIjlEEPS9_SE_NS0_5tupleIJPjSE_EEENSF_IJSE_SE_EEES9_SG_JZNS1_25segmented_radix_sort_implINS0_14default_configELb1EPK6__halfPSL_PKlPlN2at6native12_GLOBAL__N_18offset_tEEE10hipError_tPvRmT1_PNSt15iterator_traitsISZ_E10value_typeET2_T3_PNS10_IS15_E10value_typeET4_jRbjT5_S1B_jjP12ihipStream_tbEUljE_EEESW_SX_SY_S15_S19_S1B_T6_T7_T9_mT8_S1D_bDpT10_ENKUlT_T0_E_clISt17integral_constantIbLb1EES1Q_EEDaS1L_S1M_EUlS1L_E_NS1_11comp_targetILNS1_3genE2ELNS1_11target_archE906ELNS1_3gpuE6ELNS1_3repE0EEENS1_30default_config_static_selectorELNS0_4arch9wavefront6targetE0EEEvSZ_.has_dyn_sized_stack, 0
	.set _ZN7rocprim17ROCPRIM_400000_NS6detail17trampoline_kernelINS0_13select_configILj256ELj13ELNS0_17block_load_methodE3ELS4_3ELS4_3ELNS0_20block_scan_algorithmE0ELj4294967295EEENS1_25partition_config_selectorILNS1_17partition_subalgoE3EjNS0_10empty_typeEbEEZZNS1_14partition_implILS8_3ELb0ES6_jNS0_17counting_iteratorIjlEEPS9_SE_NS0_5tupleIJPjSE_EEENSF_IJSE_SE_EEES9_SG_JZNS1_25segmented_radix_sort_implINS0_14default_configELb1EPK6__halfPSL_PKlPlN2at6native12_GLOBAL__N_18offset_tEEE10hipError_tPvRmT1_PNSt15iterator_traitsISZ_E10value_typeET2_T3_PNS10_IS15_E10value_typeET4_jRbjT5_S1B_jjP12ihipStream_tbEUljE_EEESW_SX_SY_S15_S19_S1B_T6_T7_T9_mT8_S1D_bDpT10_ENKUlT_T0_E_clISt17integral_constantIbLb1EES1Q_EEDaS1L_S1M_EUlS1L_E_NS1_11comp_targetILNS1_3genE2ELNS1_11target_archE906ELNS1_3gpuE6ELNS1_3repE0EEENS1_30default_config_static_selectorELNS0_4arch9wavefront6targetE0EEEvSZ_.has_recursion, 0
	.set _ZN7rocprim17ROCPRIM_400000_NS6detail17trampoline_kernelINS0_13select_configILj256ELj13ELNS0_17block_load_methodE3ELS4_3ELS4_3ELNS0_20block_scan_algorithmE0ELj4294967295EEENS1_25partition_config_selectorILNS1_17partition_subalgoE3EjNS0_10empty_typeEbEEZZNS1_14partition_implILS8_3ELb0ES6_jNS0_17counting_iteratorIjlEEPS9_SE_NS0_5tupleIJPjSE_EEENSF_IJSE_SE_EEES9_SG_JZNS1_25segmented_radix_sort_implINS0_14default_configELb1EPK6__halfPSL_PKlPlN2at6native12_GLOBAL__N_18offset_tEEE10hipError_tPvRmT1_PNSt15iterator_traitsISZ_E10value_typeET2_T3_PNS10_IS15_E10value_typeET4_jRbjT5_S1B_jjP12ihipStream_tbEUljE_EEESW_SX_SY_S15_S19_S1B_T6_T7_T9_mT8_S1D_bDpT10_ENKUlT_T0_E_clISt17integral_constantIbLb1EES1Q_EEDaS1L_S1M_EUlS1L_E_NS1_11comp_targetILNS1_3genE2ELNS1_11target_archE906ELNS1_3gpuE6ELNS1_3repE0EEENS1_30default_config_static_selectorELNS0_4arch9wavefront6targetE0EEEvSZ_.has_indirect_call, 0
	.section	.AMDGPU.csdata,"",@progbits
; Kernel info:
; codeLenInByte = 0
; TotalNumSgprs: 0
; NumVgprs: 0
; ScratchSize: 0
; MemoryBound: 0
; FloatMode: 240
; IeeeMode: 1
; LDSByteSize: 0 bytes/workgroup (compile time only)
; SGPRBlocks: 0
; VGPRBlocks: 0
; NumSGPRsForWavesPerEU: 1
; NumVGPRsForWavesPerEU: 1
; NamedBarCnt: 0
; Occupancy: 16
; WaveLimiterHint : 0
; COMPUTE_PGM_RSRC2:SCRATCH_EN: 0
; COMPUTE_PGM_RSRC2:USER_SGPR: 2
; COMPUTE_PGM_RSRC2:TRAP_HANDLER: 0
; COMPUTE_PGM_RSRC2:TGID_X_EN: 1
; COMPUTE_PGM_RSRC2:TGID_Y_EN: 0
; COMPUTE_PGM_RSRC2:TGID_Z_EN: 0
; COMPUTE_PGM_RSRC2:TIDIG_COMP_CNT: 0
	.section	.text._ZN7rocprim17ROCPRIM_400000_NS6detail17trampoline_kernelINS0_13select_configILj256ELj13ELNS0_17block_load_methodE3ELS4_3ELS4_3ELNS0_20block_scan_algorithmE0ELj4294967295EEENS1_25partition_config_selectorILNS1_17partition_subalgoE3EjNS0_10empty_typeEbEEZZNS1_14partition_implILS8_3ELb0ES6_jNS0_17counting_iteratorIjlEEPS9_SE_NS0_5tupleIJPjSE_EEENSF_IJSE_SE_EEES9_SG_JZNS1_25segmented_radix_sort_implINS0_14default_configELb1EPK6__halfPSL_PKlPlN2at6native12_GLOBAL__N_18offset_tEEE10hipError_tPvRmT1_PNSt15iterator_traitsISZ_E10value_typeET2_T3_PNS10_IS15_E10value_typeET4_jRbjT5_S1B_jjP12ihipStream_tbEUljE_EEESW_SX_SY_S15_S19_S1B_T6_T7_T9_mT8_S1D_bDpT10_ENKUlT_T0_E_clISt17integral_constantIbLb1EES1Q_EEDaS1L_S1M_EUlS1L_E_NS1_11comp_targetILNS1_3genE10ELNS1_11target_archE1200ELNS1_3gpuE4ELNS1_3repE0EEENS1_30default_config_static_selectorELNS0_4arch9wavefront6targetE0EEEvSZ_,"axG",@progbits,_ZN7rocprim17ROCPRIM_400000_NS6detail17trampoline_kernelINS0_13select_configILj256ELj13ELNS0_17block_load_methodE3ELS4_3ELS4_3ELNS0_20block_scan_algorithmE0ELj4294967295EEENS1_25partition_config_selectorILNS1_17partition_subalgoE3EjNS0_10empty_typeEbEEZZNS1_14partition_implILS8_3ELb0ES6_jNS0_17counting_iteratorIjlEEPS9_SE_NS0_5tupleIJPjSE_EEENSF_IJSE_SE_EEES9_SG_JZNS1_25segmented_radix_sort_implINS0_14default_configELb1EPK6__halfPSL_PKlPlN2at6native12_GLOBAL__N_18offset_tEEE10hipError_tPvRmT1_PNSt15iterator_traitsISZ_E10value_typeET2_T3_PNS10_IS15_E10value_typeET4_jRbjT5_S1B_jjP12ihipStream_tbEUljE_EEESW_SX_SY_S15_S19_S1B_T6_T7_T9_mT8_S1D_bDpT10_ENKUlT_T0_E_clISt17integral_constantIbLb1EES1Q_EEDaS1L_S1M_EUlS1L_E_NS1_11comp_targetILNS1_3genE10ELNS1_11target_archE1200ELNS1_3gpuE4ELNS1_3repE0EEENS1_30default_config_static_selectorELNS0_4arch9wavefront6targetE0EEEvSZ_,comdat
	.globl	_ZN7rocprim17ROCPRIM_400000_NS6detail17trampoline_kernelINS0_13select_configILj256ELj13ELNS0_17block_load_methodE3ELS4_3ELS4_3ELNS0_20block_scan_algorithmE0ELj4294967295EEENS1_25partition_config_selectorILNS1_17partition_subalgoE3EjNS0_10empty_typeEbEEZZNS1_14partition_implILS8_3ELb0ES6_jNS0_17counting_iteratorIjlEEPS9_SE_NS0_5tupleIJPjSE_EEENSF_IJSE_SE_EEES9_SG_JZNS1_25segmented_radix_sort_implINS0_14default_configELb1EPK6__halfPSL_PKlPlN2at6native12_GLOBAL__N_18offset_tEEE10hipError_tPvRmT1_PNSt15iterator_traitsISZ_E10value_typeET2_T3_PNS10_IS15_E10value_typeET4_jRbjT5_S1B_jjP12ihipStream_tbEUljE_EEESW_SX_SY_S15_S19_S1B_T6_T7_T9_mT8_S1D_bDpT10_ENKUlT_T0_E_clISt17integral_constantIbLb1EES1Q_EEDaS1L_S1M_EUlS1L_E_NS1_11comp_targetILNS1_3genE10ELNS1_11target_archE1200ELNS1_3gpuE4ELNS1_3repE0EEENS1_30default_config_static_selectorELNS0_4arch9wavefront6targetE0EEEvSZ_ ; -- Begin function _ZN7rocprim17ROCPRIM_400000_NS6detail17trampoline_kernelINS0_13select_configILj256ELj13ELNS0_17block_load_methodE3ELS4_3ELS4_3ELNS0_20block_scan_algorithmE0ELj4294967295EEENS1_25partition_config_selectorILNS1_17partition_subalgoE3EjNS0_10empty_typeEbEEZZNS1_14partition_implILS8_3ELb0ES6_jNS0_17counting_iteratorIjlEEPS9_SE_NS0_5tupleIJPjSE_EEENSF_IJSE_SE_EEES9_SG_JZNS1_25segmented_radix_sort_implINS0_14default_configELb1EPK6__halfPSL_PKlPlN2at6native12_GLOBAL__N_18offset_tEEE10hipError_tPvRmT1_PNSt15iterator_traitsISZ_E10value_typeET2_T3_PNS10_IS15_E10value_typeET4_jRbjT5_S1B_jjP12ihipStream_tbEUljE_EEESW_SX_SY_S15_S19_S1B_T6_T7_T9_mT8_S1D_bDpT10_ENKUlT_T0_E_clISt17integral_constantIbLb1EES1Q_EEDaS1L_S1M_EUlS1L_E_NS1_11comp_targetILNS1_3genE10ELNS1_11target_archE1200ELNS1_3gpuE4ELNS1_3repE0EEENS1_30default_config_static_selectorELNS0_4arch9wavefront6targetE0EEEvSZ_
	.p2align	8
	.type	_ZN7rocprim17ROCPRIM_400000_NS6detail17trampoline_kernelINS0_13select_configILj256ELj13ELNS0_17block_load_methodE3ELS4_3ELS4_3ELNS0_20block_scan_algorithmE0ELj4294967295EEENS1_25partition_config_selectorILNS1_17partition_subalgoE3EjNS0_10empty_typeEbEEZZNS1_14partition_implILS8_3ELb0ES6_jNS0_17counting_iteratorIjlEEPS9_SE_NS0_5tupleIJPjSE_EEENSF_IJSE_SE_EEES9_SG_JZNS1_25segmented_radix_sort_implINS0_14default_configELb1EPK6__halfPSL_PKlPlN2at6native12_GLOBAL__N_18offset_tEEE10hipError_tPvRmT1_PNSt15iterator_traitsISZ_E10value_typeET2_T3_PNS10_IS15_E10value_typeET4_jRbjT5_S1B_jjP12ihipStream_tbEUljE_EEESW_SX_SY_S15_S19_S1B_T6_T7_T9_mT8_S1D_bDpT10_ENKUlT_T0_E_clISt17integral_constantIbLb1EES1Q_EEDaS1L_S1M_EUlS1L_E_NS1_11comp_targetILNS1_3genE10ELNS1_11target_archE1200ELNS1_3gpuE4ELNS1_3repE0EEENS1_30default_config_static_selectorELNS0_4arch9wavefront6targetE0EEEvSZ_,@function
_ZN7rocprim17ROCPRIM_400000_NS6detail17trampoline_kernelINS0_13select_configILj256ELj13ELNS0_17block_load_methodE3ELS4_3ELS4_3ELNS0_20block_scan_algorithmE0ELj4294967295EEENS1_25partition_config_selectorILNS1_17partition_subalgoE3EjNS0_10empty_typeEbEEZZNS1_14partition_implILS8_3ELb0ES6_jNS0_17counting_iteratorIjlEEPS9_SE_NS0_5tupleIJPjSE_EEENSF_IJSE_SE_EEES9_SG_JZNS1_25segmented_radix_sort_implINS0_14default_configELb1EPK6__halfPSL_PKlPlN2at6native12_GLOBAL__N_18offset_tEEE10hipError_tPvRmT1_PNSt15iterator_traitsISZ_E10value_typeET2_T3_PNS10_IS15_E10value_typeET4_jRbjT5_S1B_jjP12ihipStream_tbEUljE_EEESW_SX_SY_S15_S19_S1B_T6_T7_T9_mT8_S1D_bDpT10_ENKUlT_T0_E_clISt17integral_constantIbLb1EES1Q_EEDaS1L_S1M_EUlS1L_E_NS1_11comp_targetILNS1_3genE10ELNS1_11target_archE1200ELNS1_3gpuE4ELNS1_3repE0EEENS1_30default_config_static_selectorELNS0_4arch9wavefront6targetE0EEEvSZ_: ; @_ZN7rocprim17ROCPRIM_400000_NS6detail17trampoline_kernelINS0_13select_configILj256ELj13ELNS0_17block_load_methodE3ELS4_3ELS4_3ELNS0_20block_scan_algorithmE0ELj4294967295EEENS1_25partition_config_selectorILNS1_17partition_subalgoE3EjNS0_10empty_typeEbEEZZNS1_14partition_implILS8_3ELb0ES6_jNS0_17counting_iteratorIjlEEPS9_SE_NS0_5tupleIJPjSE_EEENSF_IJSE_SE_EEES9_SG_JZNS1_25segmented_radix_sort_implINS0_14default_configELb1EPK6__halfPSL_PKlPlN2at6native12_GLOBAL__N_18offset_tEEE10hipError_tPvRmT1_PNSt15iterator_traitsISZ_E10value_typeET2_T3_PNS10_IS15_E10value_typeET4_jRbjT5_S1B_jjP12ihipStream_tbEUljE_EEESW_SX_SY_S15_S19_S1B_T6_T7_T9_mT8_S1D_bDpT10_ENKUlT_T0_E_clISt17integral_constantIbLb1EES1Q_EEDaS1L_S1M_EUlS1L_E_NS1_11comp_targetILNS1_3genE10ELNS1_11target_archE1200ELNS1_3gpuE4ELNS1_3repE0EEENS1_30default_config_static_selectorELNS0_4arch9wavefront6targetE0EEEvSZ_
; %bb.0:
	.section	.rodata,"a",@progbits
	.p2align	6, 0x0
	.amdhsa_kernel _ZN7rocprim17ROCPRIM_400000_NS6detail17trampoline_kernelINS0_13select_configILj256ELj13ELNS0_17block_load_methodE3ELS4_3ELS4_3ELNS0_20block_scan_algorithmE0ELj4294967295EEENS1_25partition_config_selectorILNS1_17partition_subalgoE3EjNS0_10empty_typeEbEEZZNS1_14partition_implILS8_3ELb0ES6_jNS0_17counting_iteratorIjlEEPS9_SE_NS0_5tupleIJPjSE_EEENSF_IJSE_SE_EEES9_SG_JZNS1_25segmented_radix_sort_implINS0_14default_configELb1EPK6__halfPSL_PKlPlN2at6native12_GLOBAL__N_18offset_tEEE10hipError_tPvRmT1_PNSt15iterator_traitsISZ_E10value_typeET2_T3_PNS10_IS15_E10value_typeET4_jRbjT5_S1B_jjP12ihipStream_tbEUljE_EEESW_SX_SY_S15_S19_S1B_T6_T7_T9_mT8_S1D_bDpT10_ENKUlT_T0_E_clISt17integral_constantIbLb1EES1Q_EEDaS1L_S1M_EUlS1L_E_NS1_11comp_targetILNS1_3genE10ELNS1_11target_archE1200ELNS1_3gpuE4ELNS1_3repE0EEENS1_30default_config_static_selectorELNS0_4arch9wavefront6targetE0EEEvSZ_
		.amdhsa_group_segment_fixed_size 0
		.amdhsa_private_segment_fixed_size 0
		.amdhsa_kernarg_size 152
		.amdhsa_user_sgpr_count 2
		.amdhsa_user_sgpr_dispatch_ptr 0
		.amdhsa_user_sgpr_queue_ptr 0
		.amdhsa_user_sgpr_kernarg_segment_ptr 1
		.amdhsa_user_sgpr_dispatch_id 0
		.amdhsa_user_sgpr_kernarg_preload_length 0
		.amdhsa_user_sgpr_kernarg_preload_offset 0
		.amdhsa_user_sgpr_private_segment_size 0
		.amdhsa_wavefront_size32 1
		.amdhsa_uses_dynamic_stack 0
		.amdhsa_enable_private_segment 0
		.amdhsa_system_sgpr_workgroup_id_x 1
		.amdhsa_system_sgpr_workgroup_id_y 0
		.amdhsa_system_sgpr_workgroup_id_z 0
		.amdhsa_system_sgpr_workgroup_info 0
		.amdhsa_system_vgpr_workitem_id 0
		.amdhsa_next_free_vgpr 1
		.amdhsa_next_free_sgpr 1
		.amdhsa_named_barrier_count 0
		.amdhsa_reserve_vcc 0
		.amdhsa_float_round_mode_32 0
		.amdhsa_float_round_mode_16_64 0
		.amdhsa_float_denorm_mode_32 3
		.amdhsa_float_denorm_mode_16_64 3
		.amdhsa_fp16_overflow 0
		.amdhsa_memory_ordered 1
		.amdhsa_forward_progress 1
		.amdhsa_inst_pref_size 0
		.amdhsa_round_robin_scheduling 0
		.amdhsa_exception_fp_ieee_invalid_op 0
		.amdhsa_exception_fp_denorm_src 0
		.amdhsa_exception_fp_ieee_div_zero 0
		.amdhsa_exception_fp_ieee_overflow 0
		.amdhsa_exception_fp_ieee_underflow 0
		.amdhsa_exception_fp_ieee_inexact 0
		.amdhsa_exception_int_div_zero 0
	.end_amdhsa_kernel
	.section	.text._ZN7rocprim17ROCPRIM_400000_NS6detail17trampoline_kernelINS0_13select_configILj256ELj13ELNS0_17block_load_methodE3ELS4_3ELS4_3ELNS0_20block_scan_algorithmE0ELj4294967295EEENS1_25partition_config_selectorILNS1_17partition_subalgoE3EjNS0_10empty_typeEbEEZZNS1_14partition_implILS8_3ELb0ES6_jNS0_17counting_iteratorIjlEEPS9_SE_NS0_5tupleIJPjSE_EEENSF_IJSE_SE_EEES9_SG_JZNS1_25segmented_radix_sort_implINS0_14default_configELb1EPK6__halfPSL_PKlPlN2at6native12_GLOBAL__N_18offset_tEEE10hipError_tPvRmT1_PNSt15iterator_traitsISZ_E10value_typeET2_T3_PNS10_IS15_E10value_typeET4_jRbjT5_S1B_jjP12ihipStream_tbEUljE_EEESW_SX_SY_S15_S19_S1B_T6_T7_T9_mT8_S1D_bDpT10_ENKUlT_T0_E_clISt17integral_constantIbLb1EES1Q_EEDaS1L_S1M_EUlS1L_E_NS1_11comp_targetILNS1_3genE10ELNS1_11target_archE1200ELNS1_3gpuE4ELNS1_3repE0EEENS1_30default_config_static_selectorELNS0_4arch9wavefront6targetE0EEEvSZ_,"axG",@progbits,_ZN7rocprim17ROCPRIM_400000_NS6detail17trampoline_kernelINS0_13select_configILj256ELj13ELNS0_17block_load_methodE3ELS4_3ELS4_3ELNS0_20block_scan_algorithmE0ELj4294967295EEENS1_25partition_config_selectorILNS1_17partition_subalgoE3EjNS0_10empty_typeEbEEZZNS1_14partition_implILS8_3ELb0ES6_jNS0_17counting_iteratorIjlEEPS9_SE_NS0_5tupleIJPjSE_EEENSF_IJSE_SE_EEES9_SG_JZNS1_25segmented_radix_sort_implINS0_14default_configELb1EPK6__halfPSL_PKlPlN2at6native12_GLOBAL__N_18offset_tEEE10hipError_tPvRmT1_PNSt15iterator_traitsISZ_E10value_typeET2_T3_PNS10_IS15_E10value_typeET4_jRbjT5_S1B_jjP12ihipStream_tbEUljE_EEESW_SX_SY_S15_S19_S1B_T6_T7_T9_mT8_S1D_bDpT10_ENKUlT_T0_E_clISt17integral_constantIbLb1EES1Q_EEDaS1L_S1M_EUlS1L_E_NS1_11comp_targetILNS1_3genE10ELNS1_11target_archE1200ELNS1_3gpuE4ELNS1_3repE0EEENS1_30default_config_static_selectorELNS0_4arch9wavefront6targetE0EEEvSZ_,comdat
.Lfunc_end1710:
	.size	_ZN7rocprim17ROCPRIM_400000_NS6detail17trampoline_kernelINS0_13select_configILj256ELj13ELNS0_17block_load_methodE3ELS4_3ELS4_3ELNS0_20block_scan_algorithmE0ELj4294967295EEENS1_25partition_config_selectorILNS1_17partition_subalgoE3EjNS0_10empty_typeEbEEZZNS1_14partition_implILS8_3ELb0ES6_jNS0_17counting_iteratorIjlEEPS9_SE_NS0_5tupleIJPjSE_EEENSF_IJSE_SE_EEES9_SG_JZNS1_25segmented_radix_sort_implINS0_14default_configELb1EPK6__halfPSL_PKlPlN2at6native12_GLOBAL__N_18offset_tEEE10hipError_tPvRmT1_PNSt15iterator_traitsISZ_E10value_typeET2_T3_PNS10_IS15_E10value_typeET4_jRbjT5_S1B_jjP12ihipStream_tbEUljE_EEESW_SX_SY_S15_S19_S1B_T6_T7_T9_mT8_S1D_bDpT10_ENKUlT_T0_E_clISt17integral_constantIbLb1EES1Q_EEDaS1L_S1M_EUlS1L_E_NS1_11comp_targetILNS1_3genE10ELNS1_11target_archE1200ELNS1_3gpuE4ELNS1_3repE0EEENS1_30default_config_static_selectorELNS0_4arch9wavefront6targetE0EEEvSZ_, .Lfunc_end1710-_ZN7rocprim17ROCPRIM_400000_NS6detail17trampoline_kernelINS0_13select_configILj256ELj13ELNS0_17block_load_methodE3ELS4_3ELS4_3ELNS0_20block_scan_algorithmE0ELj4294967295EEENS1_25partition_config_selectorILNS1_17partition_subalgoE3EjNS0_10empty_typeEbEEZZNS1_14partition_implILS8_3ELb0ES6_jNS0_17counting_iteratorIjlEEPS9_SE_NS0_5tupleIJPjSE_EEENSF_IJSE_SE_EEES9_SG_JZNS1_25segmented_radix_sort_implINS0_14default_configELb1EPK6__halfPSL_PKlPlN2at6native12_GLOBAL__N_18offset_tEEE10hipError_tPvRmT1_PNSt15iterator_traitsISZ_E10value_typeET2_T3_PNS10_IS15_E10value_typeET4_jRbjT5_S1B_jjP12ihipStream_tbEUljE_EEESW_SX_SY_S15_S19_S1B_T6_T7_T9_mT8_S1D_bDpT10_ENKUlT_T0_E_clISt17integral_constantIbLb1EES1Q_EEDaS1L_S1M_EUlS1L_E_NS1_11comp_targetILNS1_3genE10ELNS1_11target_archE1200ELNS1_3gpuE4ELNS1_3repE0EEENS1_30default_config_static_selectorELNS0_4arch9wavefront6targetE0EEEvSZ_
                                        ; -- End function
	.set _ZN7rocprim17ROCPRIM_400000_NS6detail17trampoline_kernelINS0_13select_configILj256ELj13ELNS0_17block_load_methodE3ELS4_3ELS4_3ELNS0_20block_scan_algorithmE0ELj4294967295EEENS1_25partition_config_selectorILNS1_17partition_subalgoE3EjNS0_10empty_typeEbEEZZNS1_14partition_implILS8_3ELb0ES6_jNS0_17counting_iteratorIjlEEPS9_SE_NS0_5tupleIJPjSE_EEENSF_IJSE_SE_EEES9_SG_JZNS1_25segmented_radix_sort_implINS0_14default_configELb1EPK6__halfPSL_PKlPlN2at6native12_GLOBAL__N_18offset_tEEE10hipError_tPvRmT1_PNSt15iterator_traitsISZ_E10value_typeET2_T3_PNS10_IS15_E10value_typeET4_jRbjT5_S1B_jjP12ihipStream_tbEUljE_EEESW_SX_SY_S15_S19_S1B_T6_T7_T9_mT8_S1D_bDpT10_ENKUlT_T0_E_clISt17integral_constantIbLb1EES1Q_EEDaS1L_S1M_EUlS1L_E_NS1_11comp_targetILNS1_3genE10ELNS1_11target_archE1200ELNS1_3gpuE4ELNS1_3repE0EEENS1_30default_config_static_selectorELNS0_4arch9wavefront6targetE0EEEvSZ_.num_vgpr, 0
	.set _ZN7rocprim17ROCPRIM_400000_NS6detail17trampoline_kernelINS0_13select_configILj256ELj13ELNS0_17block_load_methodE3ELS4_3ELS4_3ELNS0_20block_scan_algorithmE0ELj4294967295EEENS1_25partition_config_selectorILNS1_17partition_subalgoE3EjNS0_10empty_typeEbEEZZNS1_14partition_implILS8_3ELb0ES6_jNS0_17counting_iteratorIjlEEPS9_SE_NS0_5tupleIJPjSE_EEENSF_IJSE_SE_EEES9_SG_JZNS1_25segmented_radix_sort_implINS0_14default_configELb1EPK6__halfPSL_PKlPlN2at6native12_GLOBAL__N_18offset_tEEE10hipError_tPvRmT1_PNSt15iterator_traitsISZ_E10value_typeET2_T3_PNS10_IS15_E10value_typeET4_jRbjT5_S1B_jjP12ihipStream_tbEUljE_EEESW_SX_SY_S15_S19_S1B_T6_T7_T9_mT8_S1D_bDpT10_ENKUlT_T0_E_clISt17integral_constantIbLb1EES1Q_EEDaS1L_S1M_EUlS1L_E_NS1_11comp_targetILNS1_3genE10ELNS1_11target_archE1200ELNS1_3gpuE4ELNS1_3repE0EEENS1_30default_config_static_selectorELNS0_4arch9wavefront6targetE0EEEvSZ_.num_agpr, 0
	.set _ZN7rocprim17ROCPRIM_400000_NS6detail17trampoline_kernelINS0_13select_configILj256ELj13ELNS0_17block_load_methodE3ELS4_3ELS4_3ELNS0_20block_scan_algorithmE0ELj4294967295EEENS1_25partition_config_selectorILNS1_17partition_subalgoE3EjNS0_10empty_typeEbEEZZNS1_14partition_implILS8_3ELb0ES6_jNS0_17counting_iteratorIjlEEPS9_SE_NS0_5tupleIJPjSE_EEENSF_IJSE_SE_EEES9_SG_JZNS1_25segmented_radix_sort_implINS0_14default_configELb1EPK6__halfPSL_PKlPlN2at6native12_GLOBAL__N_18offset_tEEE10hipError_tPvRmT1_PNSt15iterator_traitsISZ_E10value_typeET2_T3_PNS10_IS15_E10value_typeET4_jRbjT5_S1B_jjP12ihipStream_tbEUljE_EEESW_SX_SY_S15_S19_S1B_T6_T7_T9_mT8_S1D_bDpT10_ENKUlT_T0_E_clISt17integral_constantIbLb1EES1Q_EEDaS1L_S1M_EUlS1L_E_NS1_11comp_targetILNS1_3genE10ELNS1_11target_archE1200ELNS1_3gpuE4ELNS1_3repE0EEENS1_30default_config_static_selectorELNS0_4arch9wavefront6targetE0EEEvSZ_.numbered_sgpr, 0
	.set _ZN7rocprim17ROCPRIM_400000_NS6detail17trampoline_kernelINS0_13select_configILj256ELj13ELNS0_17block_load_methodE3ELS4_3ELS4_3ELNS0_20block_scan_algorithmE0ELj4294967295EEENS1_25partition_config_selectorILNS1_17partition_subalgoE3EjNS0_10empty_typeEbEEZZNS1_14partition_implILS8_3ELb0ES6_jNS0_17counting_iteratorIjlEEPS9_SE_NS0_5tupleIJPjSE_EEENSF_IJSE_SE_EEES9_SG_JZNS1_25segmented_radix_sort_implINS0_14default_configELb1EPK6__halfPSL_PKlPlN2at6native12_GLOBAL__N_18offset_tEEE10hipError_tPvRmT1_PNSt15iterator_traitsISZ_E10value_typeET2_T3_PNS10_IS15_E10value_typeET4_jRbjT5_S1B_jjP12ihipStream_tbEUljE_EEESW_SX_SY_S15_S19_S1B_T6_T7_T9_mT8_S1D_bDpT10_ENKUlT_T0_E_clISt17integral_constantIbLb1EES1Q_EEDaS1L_S1M_EUlS1L_E_NS1_11comp_targetILNS1_3genE10ELNS1_11target_archE1200ELNS1_3gpuE4ELNS1_3repE0EEENS1_30default_config_static_selectorELNS0_4arch9wavefront6targetE0EEEvSZ_.num_named_barrier, 0
	.set _ZN7rocprim17ROCPRIM_400000_NS6detail17trampoline_kernelINS0_13select_configILj256ELj13ELNS0_17block_load_methodE3ELS4_3ELS4_3ELNS0_20block_scan_algorithmE0ELj4294967295EEENS1_25partition_config_selectorILNS1_17partition_subalgoE3EjNS0_10empty_typeEbEEZZNS1_14partition_implILS8_3ELb0ES6_jNS0_17counting_iteratorIjlEEPS9_SE_NS0_5tupleIJPjSE_EEENSF_IJSE_SE_EEES9_SG_JZNS1_25segmented_radix_sort_implINS0_14default_configELb1EPK6__halfPSL_PKlPlN2at6native12_GLOBAL__N_18offset_tEEE10hipError_tPvRmT1_PNSt15iterator_traitsISZ_E10value_typeET2_T3_PNS10_IS15_E10value_typeET4_jRbjT5_S1B_jjP12ihipStream_tbEUljE_EEESW_SX_SY_S15_S19_S1B_T6_T7_T9_mT8_S1D_bDpT10_ENKUlT_T0_E_clISt17integral_constantIbLb1EES1Q_EEDaS1L_S1M_EUlS1L_E_NS1_11comp_targetILNS1_3genE10ELNS1_11target_archE1200ELNS1_3gpuE4ELNS1_3repE0EEENS1_30default_config_static_selectorELNS0_4arch9wavefront6targetE0EEEvSZ_.private_seg_size, 0
	.set _ZN7rocprim17ROCPRIM_400000_NS6detail17trampoline_kernelINS0_13select_configILj256ELj13ELNS0_17block_load_methodE3ELS4_3ELS4_3ELNS0_20block_scan_algorithmE0ELj4294967295EEENS1_25partition_config_selectorILNS1_17partition_subalgoE3EjNS0_10empty_typeEbEEZZNS1_14partition_implILS8_3ELb0ES6_jNS0_17counting_iteratorIjlEEPS9_SE_NS0_5tupleIJPjSE_EEENSF_IJSE_SE_EEES9_SG_JZNS1_25segmented_radix_sort_implINS0_14default_configELb1EPK6__halfPSL_PKlPlN2at6native12_GLOBAL__N_18offset_tEEE10hipError_tPvRmT1_PNSt15iterator_traitsISZ_E10value_typeET2_T3_PNS10_IS15_E10value_typeET4_jRbjT5_S1B_jjP12ihipStream_tbEUljE_EEESW_SX_SY_S15_S19_S1B_T6_T7_T9_mT8_S1D_bDpT10_ENKUlT_T0_E_clISt17integral_constantIbLb1EES1Q_EEDaS1L_S1M_EUlS1L_E_NS1_11comp_targetILNS1_3genE10ELNS1_11target_archE1200ELNS1_3gpuE4ELNS1_3repE0EEENS1_30default_config_static_selectorELNS0_4arch9wavefront6targetE0EEEvSZ_.uses_vcc, 0
	.set _ZN7rocprim17ROCPRIM_400000_NS6detail17trampoline_kernelINS0_13select_configILj256ELj13ELNS0_17block_load_methodE3ELS4_3ELS4_3ELNS0_20block_scan_algorithmE0ELj4294967295EEENS1_25partition_config_selectorILNS1_17partition_subalgoE3EjNS0_10empty_typeEbEEZZNS1_14partition_implILS8_3ELb0ES6_jNS0_17counting_iteratorIjlEEPS9_SE_NS0_5tupleIJPjSE_EEENSF_IJSE_SE_EEES9_SG_JZNS1_25segmented_radix_sort_implINS0_14default_configELb1EPK6__halfPSL_PKlPlN2at6native12_GLOBAL__N_18offset_tEEE10hipError_tPvRmT1_PNSt15iterator_traitsISZ_E10value_typeET2_T3_PNS10_IS15_E10value_typeET4_jRbjT5_S1B_jjP12ihipStream_tbEUljE_EEESW_SX_SY_S15_S19_S1B_T6_T7_T9_mT8_S1D_bDpT10_ENKUlT_T0_E_clISt17integral_constantIbLb1EES1Q_EEDaS1L_S1M_EUlS1L_E_NS1_11comp_targetILNS1_3genE10ELNS1_11target_archE1200ELNS1_3gpuE4ELNS1_3repE0EEENS1_30default_config_static_selectorELNS0_4arch9wavefront6targetE0EEEvSZ_.uses_flat_scratch, 0
	.set _ZN7rocprim17ROCPRIM_400000_NS6detail17trampoline_kernelINS0_13select_configILj256ELj13ELNS0_17block_load_methodE3ELS4_3ELS4_3ELNS0_20block_scan_algorithmE0ELj4294967295EEENS1_25partition_config_selectorILNS1_17partition_subalgoE3EjNS0_10empty_typeEbEEZZNS1_14partition_implILS8_3ELb0ES6_jNS0_17counting_iteratorIjlEEPS9_SE_NS0_5tupleIJPjSE_EEENSF_IJSE_SE_EEES9_SG_JZNS1_25segmented_radix_sort_implINS0_14default_configELb1EPK6__halfPSL_PKlPlN2at6native12_GLOBAL__N_18offset_tEEE10hipError_tPvRmT1_PNSt15iterator_traitsISZ_E10value_typeET2_T3_PNS10_IS15_E10value_typeET4_jRbjT5_S1B_jjP12ihipStream_tbEUljE_EEESW_SX_SY_S15_S19_S1B_T6_T7_T9_mT8_S1D_bDpT10_ENKUlT_T0_E_clISt17integral_constantIbLb1EES1Q_EEDaS1L_S1M_EUlS1L_E_NS1_11comp_targetILNS1_3genE10ELNS1_11target_archE1200ELNS1_3gpuE4ELNS1_3repE0EEENS1_30default_config_static_selectorELNS0_4arch9wavefront6targetE0EEEvSZ_.has_dyn_sized_stack, 0
	.set _ZN7rocprim17ROCPRIM_400000_NS6detail17trampoline_kernelINS0_13select_configILj256ELj13ELNS0_17block_load_methodE3ELS4_3ELS4_3ELNS0_20block_scan_algorithmE0ELj4294967295EEENS1_25partition_config_selectorILNS1_17partition_subalgoE3EjNS0_10empty_typeEbEEZZNS1_14partition_implILS8_3ELb0ES6_jNS0_17counting_iteratorIjlEEPS9_SE_NS0_5tupleIJPjSE_EEENSF_IJSE_SE_EEES9_SG_JZNS1_25segmented_radix_sort_implINS0_14default_configELb1EPK6__halfPSL_PKlPlN2at6native12_GLOBAL__N_18offset_tEEE10hipError_tPvRmT1_PNSt15iterator_traitsISZ_E10value_typeET2_T3_PNS10_IS15_E10value_typeET4_jRbjT5_S1B_jjP12ihipStream_tbEUljE_EEESW_SX_SY_S15_S19_S1B_T6_T7_T9_mT8_S1D_bDpT10_ENKUlT_T0_E_clISt17integral_constantIbLb1EES1Q_EEDaS1L_S1M_EUlS1L_E_NS1_11comp_targetILNS1_3genE10ELNS1_11target_archE1200ELNS1_3gpuE4ELNS1_3repE0EEENS1_30default_config_static_selectorELNS0_4arch9wavefront6targetE0EEEvSZ_.has_recursion, 0
	.set _ZN7rocprim17ROCPRIM_400000_NS6detail17trampoline_kernelINS0_13select_configILj256ELj13ELNS0_17block_load_methodE3ELS4_3ELS4_3ELNS0_20block_scan_algorithmE0ELj4294967295EEENS1_25partition_config_selectorILNS1_17partition_subalgoE3EjNS0_10empty_typeEbEEZZNS1_14partition_implILS8_3ELb0ES6_jNS0_17counting_iteratorIjlEEPS9_SE_NS0_5tupleIJPjSE_EEENSF_IJSE_SE_EEES9_SG_JZNS1_25segmented_radix_sort_implINS0_14default_configELb1EPK6__halfPSL_PKlPlN2at6native12_GLOBAL__N_18offset_tEEE10hipError_tPvRmT1_PNSt15iterator_traitsISZ_E10value_typeET2_T3_PNS10_IS15_E10value_typeET4_jRbjT5_S1B_jjP12ihipStream_tbEUljE_EEESW_SX_SY_S15_S19_S1B_T6_T7_T9_mT8_S1D_bDpT10_ENKUlT_T0_E_clISt17integral_constantIbLb1EES1Q_EEDaS1L_S1M_EUlS1L_E_NS1_11comp_targetILNS1_3genE10ELNS1_11target_archE1200ELNS1_3gpuE4ELNS1_3repE0EEENS1_30default_config_static_selectorELNS0_4arch9wavefront6targetE0EEEvSZ_.has_indirect_call, 0
	.section	.AMDGPU.csdata,"",@progbits
; Kernel info:
; codeLenInByte = 0
; TotalNumSgprs: 0
; NumVgprs: 0
; ScratchSize: 0
; MemoryBound: 0
; FloatMode: 240
; IeeeMode: 1
; LDSByteSize: 0 bytes/workgroup (compile time only)
; SGPRBlocks: 0
; VGPRBlocks: 0
; NumSGPRsForWavesPerEU: 1
; NumVGPRsForWavesPerEU: 1
; NamedBarCnt: 0
; Occupancy: 16
; WaveLimiterHint : 0
; COMPUTE_PGM_RSRC2:SCRATCH_EN: 0
; COMPUTE_PGM_RSRC2:USER_SGPR: 2
; COMPUTE_PGM_RSRC2:TRAP_HANDLER: 0
; COMPUTE_PGM_RSRC2:TGID_X_EN: 1
; COMPUTE_PGM_RSRC2:TGID_Y_EN: 0
; COMPUTE_PGM_RSRC2:TGID_Z_EN: 0
; COMPUTE_PGM_RSRC2:TIDIG_COMP_CNT: 0
	.section	.text._ZN7rocprim17ROCPRIM_400000_NS6detail17trampoline_kernelINS0_13select_configILj256ELj13ELNS0_17block_load_methodE3ELS4_3ELS4_3ELNS0_20block_scan_algorithmE0ELj4294967295EEENS1_25partition_config_selectorILNS1_17partition_subalgoE3EjNS0_10empty_typeEbEEZZNS1_14partition_implILS8_3ELb0ES6_jNS0_17counting_iteratorIjlEEPS9_SE_NS0_5tupleIJPjSE_EEENSF_IJSE_SE_EEES9_SG_JZNS1_25segmented_radix_sort_implINS0_14default_configELb1EPK6__halfPSL_PKlPlN2at6native12_GLOBAL__N_18offset_tEEE10hipError_tPvRmT1_PNSt15iterator_traitsISZ_E10value_typeET2_T3_PNS10_IS15_E10value_typeET4_jRbjT5_S1B_jjP12ihipStream_tbEUljE_EEESW_SX_SY_S15_S19_S1B_T6_T7_T9_mT8_S1D_bDpT10_ENKUlT_T0_E_clISt17integral_constantIbLb1EES1Q_EEDaS1L_S1M_EUlS1L_E_NS1_11comp_targetILNS1_3genE9ELNS1_11target_archE1100ELNS1_3gpuE3ELNS1_3repE0EEENS1_30default_config_static_selectorELNS0_4arch9wavefront6targetE0EEEvSZ_,"axG",@progbits,_ZN7rocprim17ROCPRIM_400000_NS6detail17trampoline_kernelINS0_13select_configILj256ELj13ELNS0_17block_load_methodE3ELS4_3ELS4_3ELNS0_20block_scan_algorithmE0ELj4294967295EEENS1_25partition_config_selectorILNS1_17partition_subalgoE3EjNS0_10empty_typeEbEEZZNS1_14partition_implILS8_3ELb0ES6_jNS0_17counting_iteratorIjlEEPS9_SE_NS0_5tupleIJPjSE_EEENSF_IJSE_SE_EEES9_SG_JZNS1_25segmented_radix_sort_implINS0_14default_configELb1EPK6__halfPSL_PKlPlN2at6native12_GLOBAL__N_18offset_tEEE10hipError_tPvRmT1_PNSt15iterator_traitsISZ_E10value_typeET2_T3_PNS10_IS15_E10value_typeET4_jRbjT5_S1B_jjP12ihipStream_tbEUljE_EEESW_SX_SY_S15_S19_S1B_T6_T7_T9_mT8_S1D_bDpT10_ENKUlT_T0_E_clISt17integral_constantIbLb1EES1Q_EEDaS1L_S1M_EUlS1L_E_NS1_11comp_targetILNS1_3genE9ELNS1_11target_archE1100ELNS1_3gpuE3ELNS1_3repE0EEENS1_30default_config_static_selectorELNS0_4arch9wavefront6targetE0EEEvSZ_,comdat
	.globl	_ZN7rocprim17ROCPRIM_400000_NS6detail17trampoline_kernelINS0_13select_configILj256ELj13ELNS0_17block_load_methodE3ELS4_3ELS4_3ELNS0_20block_scan_algorithmE0ELj4294967295EEENS1_25partition_config_selectorILNS1_17partition_subalgoE3EjNS0_10empty_typeEbEEZZNS1_14partition_implILS8_3ELb0ES6_jNS0_17counting_iteratorIjlEEPS9_SE_NS0_5tupleIJPjSE_EEENSF_IJSE_SE_EEES9_SG_JZNS1_25segmented_radix_sort_implINS0_14default_configELb1EPK6__halfPSL_PKlPlN2at6native12_GLOBAL__N_18offset_tEEE10hipError_tPvRmT1_PNSt15iterator_traitsISZ_E10value_typeET2_T3_PNS10_IS15_E10value_typeET4_jRbjT5_S1B_jjP12ihipStream_tbEUljE_EEESW_SX_SY_S15_S19_S1B_T6_T7_T9_mT8_S1D_bDpT10_ENKUlT_T0_E_clISt17integral_constantIbLb1EES1Q_EEDaS1L_S1M_EUlS1L_E_NS1_11comp_targetILNS1_3genE9ELNS1_11target_archE1100ELNS1_3gpuE3ELNS1_3repE0EEENS1_30default_config_static_selectorELNS0_4arch9wavefront6targetE0EEEvSZ_ ; -- Begin function _ZN7rocprim17ROCPRIM_400000_NS6detail17trampoline_kernelINS0_13select_configILj256ELj13ELNS0_17block_load_methodE3ELS4_3ELS4_3ELNS0_20block_scan_algorithmE0ELj4294967295EEENS1_25partition_config_selectorILNS1_17partition_subalgoE3EjNS0_10empty_typeEbEEZZNS1_14partition_implILS8_3ELb0ES6_jNS0_17counting_iteratorIjlEEPS9_SE_NS0_5tupleIJPjSE_EEENSF_IJSE_SE_EEES9_SG_JZNS1_25segmented_radix_sort_implINS0_14default_configELb1EPK6__halfPSL_PKlPlN2at6native12_GLOBAL__N_18offset_tEEE10hipError_tPvRmT1_PNSt15iterator_traitsISZ_E10value_typeET2_T3_PNS10_IS15_E10value_typeET4_jRbjT5_S1B_jjP12ihipStream_tbEUljE_EEESW_SX_SY_S15_S19_S1B_T6_T7_T9_mT8_S1D_bDpT10_ENKUlT_T0_E_clISt17integral_constantIbLb1EES1Q_EEDaS1L_S1M_EUlS1L_E_NS1_11comp_targetILNS1_3genE9ELNS1_11target_archE1100ELNS1_3gpuE3ELNS1_3repE0EEENS1_30default_config_static_selectorELNS0_4arch9wavefront6targetE0EEEvSZ_
	.p2align	8
	.type	_ZN7rocprim17ROCPRIM_400000_NS6detail17trampoline_kernelINS0_13select_configILj256ELj13ELNS0_17block_load_methodE3ELS4_3ELS4_3ELNS0_20block_scan_algorithmE0ELj4294967295EEENS1_25partition_config_selectorILNS1_17partition_subalgoE3EjNS0_10empty_typeEbEEZZNS1_14partition_implILS8_3ELb0ES6_jNS0_17counting_iteratorIjlEEPS9_SE_NS0_5tupleIJPjSE_EEENSF_IJSE_SE_EEES9_SG_JZNS1_25segmented_radix_sort_implINS0_14default_configELb1EPK6__halfPSL_PKlPlN2at6native12_GLOBAL__N_18offset_tEEE10hipError_tPvRmT1_PNSt15iterator_traitsISZ_E10value_typeET2_T3_PNS10_IS15_E10value_typeET4_jRbjT5_S1B_jjP12ihipStream_tbEUljE_EEESW_SX_SY_S15_S19_S1B_T6_T7_T9_mT8_S1D_bDpT10_ENKUlT_T0_E_clISt17integral_constantIbLb1EES1Q_EEDaS1L_S1M_EUlS1L_E_NS1_11comp_targetILNS1_3genE9ELNS1_11target_archE1100ELNS1_3gpuE3ELNS1_3repE0EEENS1_30default_config_static_selectorELNS0_4arch9wavefront6targetE0EEEvSZ_,@function
_ZN7rocprim17ROCPRIM_400000_NS6detail17trampoline_kernelINS0_13select_configILj256ELj13ELNS0_17block_load_methodE3ELS4_3ELS4_3ELNS0_20block_scan_algorithmE0ELj4294967295EEENS1_25partition_config_selectorILNS1_17partition_subalgoE3EjNS0_10empty_typeEbEEZZNS1_14partition_implILS8_3ELb0ES6_jNS0_17counting_iteratorIjlEEPS9_SE_NS0_5tupleIJPjSE_EEENSF_IJSE_SE_EEES9_SG_JZNS1_25segmented_radix_sort_implINS0_14default_configELb1EPK6__halfPSL_PKlPlN2at6native12_GLOBAL__N_18offset_tEEE10hipError_tPvRmT1_PNSt15iterator_traitsISZ_E10value_typeET2_T3_PNS10_IS15_E10value_typeET4_jRbjT5_S1B_jjP12ihipStream_tbEUljE_EEESW_SX_SY_S15_S19_S1B_T6_T7_T9_mT8_S1D_bDpT10_ENKUlT_T0_E_clISt17integral_constantIbLb1EES1Q_EEDaS1L_S1M_EUlS1L_E_NS1_11comp_targetILNS1_3genE9ELNS1_11target_archE1100ELNS1_3gpuE3ELNS1_3repE0EEENS1_30default_config_static_selectorELNS0_4arch9wavefront6targetE0EEEvSZ_: ; @_ZN7rocprim17ROCPRIM_400000_NS6detail17trampoline_kernelINS0_13select_configILj256ELj13ELNS0_17block_load_methodE3ELS4_3ELS4_3ELNS0_20block_scan_algorithmE0ELj4294967295EEENS1_25partition_config_selectorILNS1_17partition_subalgoE3EjNS0_10empty_typeEbEEZZNS1_14partition_implILS8_3ELb0ES6_jNS0_17counting_iteratorIjlEEPS9_SE_NS0_5tupleIJPjSE_EEENSF_IJSE_SE_EEES9_SG_JZNS1_25segmented_radix_sort_implINS0_14default_configELb1EPK6__halfPSL_PKlPlN2at6native12_GLOBAL__N_18offset_tEEE10hipError_tPvRmT1_PNSt15iterator_traitsISZ_E10value_typeET2_T3_PNS10_IS15_E10value_typeET4_jRbjT5_S1B_jjP12ihipStream_tbEUljE_EEESW_SX_SY_S15_S19_S1B_T6_T7_T9_mT8_S1D_bDpT10_ENKUlT_T0_E_clISt17integral_constantIbLb1EES1Q_EEDaS1L_S1M_EUlS1L_E_NS1_11comp_targetILNS1_3genE9ELNS1_11target_archE1100ELNS1_3gpuE3ELNS1_3repE0EEENS1_30default_config_static_selectorELNS0_4arch9wavefront6targetE0EEEvSZ_
; %bb.0:
	.section	.rodata,"a",@progbits
	.p2align	6, 0x0
	.amdhsa_kernel _ZN7rocprim17ROCPRIM_400000_NS6detail17trampoline_kernelINS0_13select_configILj256ELj13ELNS0_17block_load_methodE3ELS4_3ELS4_3ELNS0_20block_scan_algorithmE0ELj4294967295EEENS1_25partition_config_selectorILNS1_17partition_subalgoE3EjNS0_10empty_typeEbEEZZNS1_14partition_implILS8_3ELb0ES6_jNS0_17counting_iteratorIjlEEPS9_SE_NS0_5tupleIJPjSE_EEENSF_IJSE_SE_EEES9_SG_JZNS1_25segmented_radix_sort_implINS0_14default_configELb1EPK6__halfPSL_PKlPlN2at6native12_GLOBAL__N_18offset_tEEE10hipError_tPvRmT1_PNSt15iterator_traitsISZ_E10value_typeET2_T3_PNS10_IS15_E10value_typeET4_jRbjT5_S1B_jjP12ihipStream_tbEUljE_EEESW_SX_SY_S15_S19_S1B_T6_T7_T9_mT8_S1D_bDpT10_ENKUlT_T0_E_clISt17integral_constantIbLb1EES1Q_EEDaS1L_S1M_EUlS1L_E_NS1_11comp_targetILNS1_3genE9ELNS1_11target_archE1100ELNS1_3gpuE3ELNS1_3repE0EEENS1_30default_config_static_selectorELNS0_4arch9wavefront6targetE0EEEvSZ_
		.amdhsa_group_segment_fixed_size 0
		.amdhsa_private_segment_fixed_size 0
		.amdhsa_kernarg_size 152
		.amdhsa_user_sgpr_count 2
		.amdhsa_user_sgpr_dispatch_ptr 0
		.amdhsa_user_sgpr_queue_ptr 0
		.amdhsa_user_sgpr_kernarg_segment_ptr 1
		.amdhsa_user_sgpr_dispatch_id 0
		.amdhsa_user_sgpr_kernarg_preload_length 0
		.amdhsa_user_sgpr_kernarg_preload_offset 0
		.amdhsa_user_sgpr_private_segment_size 0
		.amdhsa_wavefront_size32 1
		.amdhsa_uses_dynamic_stack 0
		.amdhsa_enable_private_segment 0
		.amdhsa_system_sgpr_workgroup_id_x 1
		.amdhsa_system_sgpr_workgroup_id_y 0
		.amdhsa_system_sgpr_workgroup_id_z 0
		.amdhsa_system_sgpr_workgroup_info 0
		.amdhsa_system_vgpr_workitem_id 0
		.amdhsa_next_free_vgpr 1
		.amdhsa_next_free_sgpr 1
		.amdhsa_named_barrier_count 0
		.amdhsa_reserve_vcc 0
		.amdhsa_float_round_mode_32 0
		.amdhsa_float_round_mode_16_64 0
		.amdhsa_float_denorm_mode_32 3
		.amdhsa_float_denorm_mode_16_64 3
		.amdhsa_fp16_overflow 0
		.amdhsa_memory_ordered 1
		.amdhsa_forward_progress 1
		.amdhsa_inst_pref_size 0
		.amdhsa_round_robin_scheduling 0
		.amdhsa_exception_fp_ieee_invalid_op 0
		.amdhsa_exception_fp_denorm_src 0
		.amdhsa_exception_fp_ieee_div_zero 0
		.amdhsa_exception_fp_ieee_overflow 0
		.amdhsa_exception_fp_ieee_underflow 0
		.amdhsa_exception_fp_ieee_inexact 0
		.amdhsa_exception_int_div_zero 0
	.end_amdhsa_kernel
	.section	.text._ZN7rocprim17ROCPRIM_400000_NS6detail17trampoline_kernelINS0_13select_configILj256ELj13ELNS0_17block_load_methodE3ELS4_3ELS4_3ELNS0_20block_scan_algorithmE0ELj4294967295EEENS1_25partition_config_selectorILNS1_17partition_subalgoE3EjNS0_10empty_typeEbEEZZNS1_14partition_implILS8_3ELb0ES6_jNS0_17counting_iteratorIjlEEPS9_SE_NS0_5tupleIJPjSE_EEENSF_IJSE_SE_EEES9_SG_JZNS1_25segmented_radix_sort_implINS0_14default_configELb1EPK6__halfPSL_PKlPlN2at6native12_GLOBAL__N_18offset_tEEE10hipError_tPvRmT1_PNSt15iterator_traitsISZ_E10value_typeET2_T3_PNS10_IS15_E10value_typeET4_jRbjT5_S1B_jjP12ihipStream_tbEUljE_EEESW_SX_SY_S15_S19_S1B_T6_T7_T9_mT8_S1D_bDpT10_ENKUlT_T0_E_clISt17integral_constantIbLb1EES1Q_EEDaS1L_S1M_EUlS1L_E_NS1_11comp_targetILNS1_3genE9ELNS1_11target_archE1100ELNS1_3gpuE3ELNS1_3repE0EEENS1_30default_config_static_selectorELNS0_4arch9wavefront6targetE0EEEvSZ_,"axG",@progbits,_ZN7rocprim17ROCPRIM_400000_NS6detail17trampoline_kernelINS0_13select_configILj256ELj13ELNS0_17block_load_methodE3ELS4_3ELS4_3ELNS0_20block_scan_algorithmE0ELj4294967295EEENS1_25partition_config_selectorILNS1_17partition_subalgoE3EjNS0_10empty_typeEbEEZZNS1_14partition_implILS8_3ELb0ES6_jNS0_17counting_iteratorIjlEEPS9_SE_NS0_5tupleIJPjSE_EEENSF_IJSE_SE_EEES9_SG_JZNS1_25segmented_radix_sort_implINS0_14default_configELb1EPK6__halfPSL_PKlPlN2at6native12_GLOBAL__N_18offset_tEEE10hipError_tPvRmT1_PNSt15iterator_traitsISZ_E10value_typeET2_T3_PNS10_IS15_E10value_typeET4_jRbjT5_S1B_jjP12ihipStream_tbEUljE_EEESW_SX_SY_S15_S19_S1B_T6_T7_T9_mT8_S1D_bDpT10_ENKUlT_T0_E_clISt17integral_constantIbLb1EES1Q_EEDaS1L_S1M_EUlS1L_E_NS1_11comp_targetILNS1_3genE9ELNS1_11target_archE1100ELNS1_3gpuE3ELNS1_3repE0EEENS1_30default_config_static_selectorELNS0_4arch9wavefront6targetE0EEEvSZ_,comdat
.Lfunc_end1711:
	.size	_ZN7rocprim17ROCPRIM_400000_NS6detail17trampoline_kernelINS0_13select_configILj256ELj13ELNS0_17block_load_methodE3ELS4_3ELS4_3ELNS0_20block_scan_algorithmE0ELj4294967295EEENS1_25partition_config_selectorILNS1_17partition_subalgoE3EjNS0_10empty_typeEbEEZZNS1_14partition_implILS8_3ELb0ES6_jNS0_17counting_iteratorIjlEEPS9_SE_NS0_5tupleIJPjSE_EEENSF_IJSE_SE_EEES9_SG_JZNS1_25segmented_radix_sort_implINS0_14default_configELb1EPK6__halfPSL_PKlPlN2at6native12_GLOBAL__N_18offset_tEEE10hipError_tPvRmT1_PNSt15iterator_traitsISZ_E10value_typeET2_T3_PNS10_IS15_E10value_typeET4_jRbjT5_S1B_jjP12ihipStream_tbEUljE_EEESW_SX_SY_S15_S19_S1B_T6_T7_T9_mT8_S1D_bDpT10_ENKUlT_T0_E_clISt17integral_constantIbLb1EES1Q_EEDaS1L_S1M_EUlS1L_E_NS1_11comp_targetILNS1_3genE9ELNS1_11target_archE1100ELNS1_3gpuE3ELNS1_3repE0EEENS1_30default_config_static_selectorELNS0_4arch9wavefront6targetE0EEEvSZ_, .Lfunc_end1711-_ZN7rocprim17ROCPRIM_400000_NS6detail17trampoline_kernelINS0_13select_configILj256ELj13ELNS0_17block_load_methodE3ELS4_3ELS4_3ELNS0_20block_scan_algorithmE0ELj4294967295EEENS1_25partition_config_selectorILNS1_17partition_subalgoE3EjNS0_10empty_typeEbEEZZNS1_14partition_implILS8_3ELb0ES6_jNS0_17counting_iteratorIjlEEPS9_SE_NS0_5tupleIJPjSE_EEENSF_IJSE_SE_EEES9_SG_JZNS1_25segmented_radix_sort_implINS0_14default_configELb1EPK6__halfPSL_PKlPlN2at6native12_GLOBAL__N_18offset_tEEE10hipError_tPvRmT1_PNSt15iterator_traitsISZ_E10value_typeET2_T3_PNS10_IS15_E10value_typeET4_jRbjT5_S1B_jjP12ihipStream_tbEUljE_EEESW_SX_SY_S15_S19_S1B_T6_T7_T9_mT8_S1D_bDpT10_ENKUlT_T0_E_clISt17integral_constantIbLb1EES1Q_EEDaS1L_S1M_EUlS1L_E_NS1_11comp_targetILNS1_3genE9ELNS1_11target_archE1100ELNS1_3gpuE3ELNS1_3repE0EEENS1_30default_config_static_selectorELNS0_4arch9wavefront6targetE0EEEvSZ_
                                        ; -- End function
	.set _ZN7rocprim17ROCPRIM_400000_NS6detail17trampoline_kernelINS0_13select_configILj256ELj13ELNS0_17block_load_methodE3ELS4_3ELS4_3ELNS0_20block_scan_algorithmE0ELj4294967295EEENS1_25partition_config_selectorILNS1_17partition_subalgoE3EjNS0_10empty_typeEbEEZZNS1_14partition_implILS8_3ELb0ES6_jNS0_17counting_iteratorIjlEEPS9_SE_NS0_5tupleIJPjSE_EEENSF_IJSE_SE_EEES9_SG_JZNS1_25segmented_radix_sort_implINS0_14default_configELb1EPK6__halfPSL_PKlPlN2at6native12_GLOBAL__N_18offset_tEEE10hipError_tPvRmT1_PNSt15iterator_traitsISZ_E10value_typeET2_T3_PNS10_IS15_E10value_typeET4_jRbjT5_S1B_jjP12ihipStream_tbEUljE_EEESW_SX_SY_S15_S19_S1B_T6_T7_T9_mT8_S1D_bDpT10_ENKUlT_T0_E_clISt17integral_constantIbLb1EES1Q_EEDaS1L_S1M_EUlS1L_E_NS1_11comp_targetILNS1_3genE9ELNS1_11target_archE1100ELNS1_3gpuE3ELNS1_3repE0EEENS1_30default_config_static_selectorELNS0_4arch9wavefront6targetE0EEEvSZ_.num_vgpr, 0
	.set _ZN7rocprim17ROCPRIM_400000_NS6detail17trampoline_kernelINS0_13select_configILj256ELj13ELNS0_17block_load_methodE3ELS4_3ELS4_3ELNS0_20block_scan_algorithmE0ELj4294967295EEENS1_25partition_config_selectorILNS1_17partition_subalgoE3EjNS0_10empty_typeEbEEZZNS1_14partition_implILS8_3ELb0ES6_jNS0_17counting_iteratorIjlEEPS9_SE_NS0_5tupleIJPjSE_EEENSF_IJSE_SE_EEES9_SG_JZNS1_25segmented_radix_sort_implINS0_14default_configELb1EPK6__halfPSL_PKlPlN2at6native12_GLOBAL__N_18offset_tEEE10hipError_tPvRmT1_PNSt15iterator_traitsISZ_E10value_typeET2_T3_PNS10_IS15_E10value_typeET4_jRbjT5_S1B_jjP12ihipStream_tbEUljE_EEESW_SX_SY_S15_S19_S1B_T6_T7_T9_mT8_S1D_bDpT10_ENKUlT_T0_E_clISt17integral_constantIbLb1EES1Q_EEDaS1L_S1M_EUlS1L_E_NS1_11comp_targetILNS1_3genE9ELNS1_11target_archE1100ELNS1_3gpuE3ELNS1_3repE0EEENS1_30default_config_static_selectorELNS0_4arch9wavefront6targetE0EEEvSZ_.num_agpr, 0
	.set _ZN7rocprim17ROCPRIM_400000_NS6detail17trampoline_kernelINS0_13select_configILj256ELj13ELNS0_17block_load_methodE3ELS4_3ELS4_3ELNS0_20block_scan_algorithmE0ELj4294967295EEENS1_25partition_config_selectorILNS1_17partition_subalgoE3EjNS0_10empty_typeEbEEZZNS1_14partition_implILS8_3ELb0ES6_jNS0_17counting_iteratorIjlEEPS9_SE_NS0_5tupleIJPjSE_EEENSF_IJSE_SE_EEES9_SG_JZNS1_25segmented_radix_sort_implINS0_14default_configELb1EPK6__halfPSL_PKlPlN2at6native12_GLOBAL__N_18offset_tEEE10hipError_tPvRmT1_PNSt15iterator_traitsISZ_E10value_typeET2_T3_PNS10_IS15_E10value_typeET4_jRbjT5_S1B_jjP12ihipStream_tbEUljE_EEESW_SX_SY_S15_S19_S1B_T6_T7_T9_mT8_S1D_bDpT10_ENKUlT_T0_E_clISt17integral_constantIbLb1EES1Q_EEDaS1L_S1M_EUlS1L_E_NS1_11comp_targetILNS1_3genE9ELNS1_11target_archE1100ELNS1_3gpuE3ELNS1_3repE0EEENS1_30default_config_static_selectorELNS0_4arch9wavefront6targetE0EEEvSZ_.numbered_sgpr, 0
	.set _ZN7rocprim17ROCPRIM_400000_NS6detail17trampoline_kernelINS0_13select_configILj256ELj13ELNS0_17block_load_methodE3ELS4_3ELS4_3ELNS0_20block_scan_algorithmE0ELj4294967295EEENS1_25partition_config_selectorILNS1_17partition_subalgoE3EjNS0_10empty_typeEbEEZZNS1_14partition_implILS8_3ELb0ES6_jNS0_17counting_iteratorIjlEEPS9_SE_NS0_5tupleIJPjSE_EEENSF_IJSE_SE_EEES9_SG_JZNS1_25segmented_radix_sort_implINS0_14default_configELb1EPK6__halfPSL_PKlPlN2at6native12_GLOBAL__N_18offset_tEEE10hipError_tPvRmT1_PNSt15iterator_traitsISZ_E10value_typeET2_T3_PNS10_IS15_E10value_typeET4_jRbjT5_S1B_jjP12ihipStream_tbEUljE_EEESW_SX_SY_S15_S19_S1B_T6_T7_T9_mT8_S1D_bDpT10_ENKUlT_T0_E_clISt17integral_constantIbLb1EES1Q_EEDaS1L_S1M_EUlS1L_E_NS1_11comp_targetILNS1_3genE9ELNS1_11target_archE1100ELNS1_3gpuE3ELNS1_3repE0EEENS1_30default_config_static_selectorELNS0_4arch9wavefront6targetE0EEEvSZ_.num_named_barrier, 0
	.set _ZN7rocprim17ROCPRIM_400000_NS6detail17trampoline_kernelINS0_13select_configILj256ELj13ELNS0_17block_load_methodE3ELS4_3ELS4_3ELNS0_20block_scan_algorithmE0ELj4294967295EEENS1_25partition_config_selectorILNS1_17partition_subalgoE3EjNS0_10empty_typeEbEEZZNS1_14partition_implILS8_3ELb0ES6_jNS0_17counting_iteratorIjlEEPS9_SE_NS0_5tupleIJPjSE_EEENSF_IJSE_SE_EEES9_SG_JZNS1_25segmented_radix_sort_implINS0_14default_configELb1EPK6__halfPSL_PKlPlN2at6native12_GLOBAL__N_18offset_tEEE10hipError_tPvRmT1_PNSt15iterator_traitsISZ_E10value_typeET2_T3_PNS10_IS15_E10value_typeET4_jRbjT5_S1B_jjP12ihipStream_tbEUljE_EEESW_SX_SY_S15_S19_S1B_T6_T7_T9_mT8_S1D_bDpT10_ENKUlT_T0_E_clISt17integral_constantIbLb1EES1Q_EEDaS1L_S1M_EUlS1L_E_NS1_11comp_targetILNS1_3genE9ELNS1_11target_archE1100ELNS1_3gpuE3ELNS1_3repE0EEENS1_30default_config_static_selectorELNS0_4arch9wavefront6targetE0EEEvSZ_.private_seg_size, 0
	.set _ZN7rocprim17ROCPRIM_400000_NS6detail17trampoline_kernelINS0_13select_configILj256ELj13ELNS0_17block_load_methodE3ELS4_3ELS4_3ELNS0_20block_scan_algorithmE0ELj4294967295EEENS1_25partition_config_selectorILNS1_17partition_subalgoE3EjNS0_10empty_typeEbEEZZNS1_14partition_implILS8_3ELb0ES6_jNS0_17counting_iteratorIjlEEPS9_SE_NS0_5tupleIJPjSE_EEENSF_IJSE_SE_EEES9_SG_JZNS1_25segmented_radix_sort_implINS0_14default_configELb1EPK6__halfPSL_PKlPlN2at6native12_GLOBAL__N_18offset_tEEE10hipError_tPvRmT1_PNSt15iterator_traitsISZ_E10value_typeET2_T3_PNS10_IS15_E10value_typeET4_jRbjT5_S1B_jjP12ihipStream_tbEUljE_EEESW_SX_SY_S15_S19_S1B_T6_T7_T9_mT8_S1D_bDpT10_ENKUlT_T0_E_clISt17integral_constantIbLb1EES1Q_EEDaS1L_S1M_EUlS1L_E_NS1_11comp_targetILNS1_3genE9ELNS1_11target_archE1100ELNS1_3gpuE3ELNS1_3repE0EEENS1_30default_config_static_selectorELNS0_4arch9wavefront6targetE0EEEvSZ_.uses_vcc, 0
	.set _ZN7rocprim17ROCPRIM_400000_NS6detail17trampoline_kernelINS0_13select_configILj256ELj13ELNS0_17block_load_methodE3ELS4_3ELS4_3ELNS0_20block_scan_algorithmE0ELj4294967295EEENS1_25partition_config_selectorILNS1_17partition_subalgoE3EjNS0_10empty_typeEbEEZZNS1_14partition_implILS8_3ELb0ES6_jNS0_17counting_iteratorIjlEEPS9_SE_NS0_5tupleIJPjSE_EEENSF_IJSE_SE_EEES9_SG_JZNS1_25segmented_radix_sort_implINS0_14default_configELb1EPK6__halfPSL_PKlPlN2at6native12_GLOBAL__N_18offset_tEEE10hipError_tPvRmT1_PNSt15iterator_traitsISZ_E10value_typeET2_T3_PNS10_IS15_E10value_typeET4_jRbjT5_S1B_jjP12ihipStream_tbEUljE_EEESW_SX_SY_S15_S19_S1B_T6_T7_T9_mT8_S1D_bDpT10_ENKUlT_T0_E_clISt17integral_constantIbLb1EES1Q_EEDaS1L_S1M_EUlS1L_E_NS1_11comp_targetILNS1_3genE9ELNS1_11target_archE1100ELNS1_3gpuE3ELNS1_3repE0EEENS1_30default_config_static_selectorELNS0_4arch9wavefront6targetE0EEEvSZ_.uses_flat_scratch, 0
	.set _ZN7rocprim17ROCPRIM_400000_NS6detail17trampoline_kernelINS0_13select_configILj256ELj13ELNS0_17block_load_methodE3ELS4_3ELS4_3ELNS0_20block_scan_algorithmE0ELj4294967295EEENS1_25partition_config_selectorILNS1_17partition_subalgoE3EjNS0_10empty_typeEbEEZZNS1_14partition_implILS8_3ELb0ES6_jNS0_17counting_iteratorIjlEEPS9_SE_NS0_5tupleIJPjSE_EEENSF_IJSE_SE_EEES9_SG_JZNS1_25segmented_radix_sort_implINS0_14default_configELb1EPK6__halfPSL_PKlPlN2at6native12_GLOBAL__N_18offset_tEEE10hipError_tPvRmT1_PNSt15iterator_traitsISZ_E10value_typeET2_T3_PNS10_IS15_E10value_typeET4_jRbjT5_S1B_jjP12ihipStream_tbEUljE_EEESW_SX_SY_S15_S19_S1B_T6_T7_T9_mT8_S1D_bDpT10_ENKUlT_T0_E_clISt17integral_constantIbLb1EES1Q_EEDaS1L_S1M_EUlS1L_E_NS1_11comp_targetILNS1_3genE9ELNS1_11target_archE1100ELNS1_3gpuE3ELNS1_3repE0EEENS1_30default_config_static_selectorELNS0_4arch9wavefront6targetE0EEEvSZ_.has_dyn_sized_stack, 0
	.set _ZN7rocprim17ROCPRIM_400000_NS6detail17trampoline_kernelINS0_13select_configILj256ELj13ELNS0_17block_load_methodE3ELS4_3ELS4_3ELNS0_20block_scan_algorithmE0ELj4294967295EEENS1_25partition_config_selectorILNS1_17partition_subalgoE3EjNS0_10empty_typeEbEEZZNS1_14partition_implILS8_3ELb0ES6_jNS0_17counting_iteratorIjlEEPS9_SE_NS0_5tupleIJPjSE_EEENSF_IJSE_SE_EEES9_SG_JZNS1_25segmented_radix_sort_implINS0_14default_configELb1EPK6__halfPSL_PKlPlN2at6native12_GLOBAL__N_18offset_tEEE10hipError_tPvRmT1_PNSt15iterator_traitsISZ_E10value_typeET2_T3_PNS10_IS15_E10value_typeET4_jRbjT5_S1B_jjP12ihipStream_tbEUljE_EEESW_SX_SY_S15_S19_S1B_T6_T7_T9_mT8_S1D_bDpT10_ENKUlT_T0_E_clISt17integral_constantIbLb1EES1Q_EEDaS1L_S1M_EUlS1L_E_NS1_11comp_targetILNS1_3genE9ELNS1_11target_archE1100ELNS1_3gpuE3ELNS1_3repE0EEENS1_30default_config_static_selectorELNS0_4arch9wavefront6targetE0EEEvSZ_.has_recursion, 0
	.set _ZN7rocprim17ROCPRIM_400000_NS6detail17trampoline_kernelINS0_13select_configILj256ELj13ELNS0_17block_load_methodE3ELS4_3ELS4_3ELNS0_20block_scan_algorithmE0ELj4294967295EEENS1_25partition_config_selectorILNS1_17partition_subalgoE3EjNS0_10empty_typeEbEEZZNS1_14partition_implILS8_3ELb0ES6_jNS0_17counting_iteratorIjlEEPS9_SE_NS0_5tupleIJPjSE_EEENSF_IJSE_SE_EEES9_SG_JZNS1_25segmented_radix_sort_implINS0_14default_configELb1EPK6__halfPSL_PKlPlN2at6native12_GLOBAL__N_18offset_tEEE10hipError_tPvRmT1_PNSt15iterator_traitsISZ_E10value_typeET2_T3_PNS10_IS15_E10value_typeET4_jRbjT5_S1B_jjP12ihipStream_tbEUljE_EEESW_SX_SY_S15_S19_S1B_T6_T7_T9_mT8_S1D_bDpT10_ENKUlT_T0_E_clISt17integral_constantIbLb1EES1Q_EEDaS1L_S1M_EUlS1L_E_NS1_11comp_targetILNS1_3genE9ELNS1_11target_archE1100ELNS1_3gpuE3ELNS1_3repE0EEENS1_30default_config_static_selectorELNS0_4arch9wavefront6targetE0EEEvSZ_.has_indirect_call, 0
	.section	.AMDGPU.csdata,"",@progbits
; Kernel info:
; codeLenInByte = 0
; TotalNumSgprs: 0
; NumVgprs: 0
; ScratchSize: 0
; MemoryBound: 0
; FloatMode: 240
; IeeeMode: 1
; LDSByteSize: 0 bytes/workgroup (compile time only)
; SGPRBlocks: 0
; VGPRBlocks: 0
; NumSGPRsForWavesPerEU: 1
; NumVGPRsForWavesPerEU: 1
; NamedBarCnt: 0
; Occupancy: 16
; WaveLimiterHint : 0
; COMPUTE_PGM_RSRC2:SCRATCH_EN: 0
; COMPUTE_PGM_RSRC2:USER_SGPR: 2
; COMPUTE_PGM_RSRC2:TRAP_HANDLER: 0
; COMPUTE_PGM_RSRC2:TGID_X_EN: 1
; COMPUTE_PGM_RSRC2:TGID_Y_EN: 0
; COMPUTE_PGM_RSRC2:TGID_Z_EN: 0
; COMPUTE_PGM_RSRC2:TIDIG_COMP_CNT: 0
	.section	.text._ZN7rocprim17ROCPRIM_400000_NS6detail17trampoline_kernelINS0_13select_configILj256ELj13ELNS0_17block_load_methodE3ELS4_3ELS4_3ELNS0_20block_scan_algorithmE0ELj4294967295EEENS1_25partition_config_selectorILNS1_17partition_subalgoE3EjNS0_10empty_typeEbEEZZNS1_14partition_implILS8_3ELb0ES6_jNS0_17counting_iteratorIjlEEPS9_SE_NS0_5tupleIJPjSE_EEENSF_IJSE_SE_EEES9_SG_JZNS1_25segmented_radix_sort_implINS0_14default_configELb1EPK6__halfPSL_PKlPlN2at6native12_GLOBAL__N_18offset_tEEE10hipError_tPvRmT1_PNSt15iterator_traitsISZ_E10value_typeET2_T3_PNS10_IS15_E10value_typeET4_jRbjT5_S1B_jjP12ihipStream_tbEUljE_EEESW_SX_SY_S15_S19_S1B_T6_T7_T9_mT8_S1D_bDpT10_ENKUlT_T0_E_clISt17integral_constantIbLb1EES1Q_EEDaS1L_S1M_EUlS1L_E_NS1_11comp_targetILNS1_3genE8ELNS1_11target_archE1030ELNS1_3gpuE2ELNS1_3repE0EEENS1_30default_config_static_selectorELNS0_4arch9wavefront6targetE0EEEvSZ_,"axG",@progbits,_ZN7rocprim17ROCPRIM_400000_NS6detail17trampoline_kernelINS0_13select_configILj256ELj13ELNS0_17block_load_methodE3ELS4_3ELS4_3ELNS0_20block_scan_algorithmE0ELj4294967295EEENS1_25partition_config_selectorILNS1_17partition_subalgoE3EjNS0_10empty_typeEbEEZZNS1_14partition_implILS8_3ELb0ES6_jNS0_17counting_iteratorIjlEEPS9_SE_NS0_5tupleIJPjSE_EEENSF_IJSE_SE_EEES9_SG_JZNS1_25segmented_radix_sort_implINS0_14default_configELb1EPK6__halfPSL_PKlPlN2at6native12_GLOBAL__N_18offset_tEEE10hipError_tPvRmT1_PNSt15iterator_traitsISZ_E10value_typeET2_T3_PNS10_IS15_E10value_typeET4_jRbjT5_S1B_jjP12ihipStream_tbEUljE_EEESW_SX_SY_S15_S19_S1B_T6_T7_T9_mT8_S1D_bDpT10_ENKUlT_T0_E_clISt17integral_constantIbLb1EES1Q_EEDaS1L_S1M_EUlS1L_E_NS1_11comp_targetILNS1_3genE8ELNS1_11target_archE1030ELNS1_3gpuE2ELNS1_3repE0EEENS1_30default_config_static_selectorELNS0_4arch9wavefront6targetE0EEEvSZ_,comdat
	.globl	_ZN7rocprim17ROCPRIM_400000_NS6detail17trampoline_kernelINS0_13select_configILj256ELj13ELNS0_17block_load_methodE3ELS4_3ELS4_3ELNS0_20block_scan_algorithmE0ELj4294967295EEENS1_25partition_config_selectorILNS1_17partition_subalgoE3EjNS0_10empty_typeEbEEZZNS1_14partition_implILS8_3ELb0ES6_jNS0_17counting_iteratorIjlEEPS9_SE_NS0_5tupleIJPjSE_EEENSF_IJSE_SE_EEES9_SG_JZNS1_25segmented_radix_sort_implINS0_14default_configELb1EPK6__halfPSL_PKlPlN2at6native12_GLOBAL__N_18offset_tEEE10hipError_tPvRmT1_PNSt15iterator_traitsISZ_E10value_typeET2_T3_PNS10_IS15_E10value_typeET4_jRbjT5_S1B_jjP12ihipStream_tbEUljE_EEESW_SX_SY_S15_S19_S1B_T6_T7_T9_mT8_S1D_bDpT10_ENKUlT_T0_E_clISt17integral_constantIbLb1EES1Q_EEDaS1L_S1M_EUlS1L_E_NS1_11comp_targetILNS1_3genE8ELNS1_11target_archE1030ELNS1_3gpuE2ELNS1_3repE0EEENS1_30default_config_static_selectorELNS0_4arch9wavefront6targetE0EEEvSZ_ ; -- Begin function _ZN7rocprim17ROCPRIM_400000_NS6detail17trampoline_kernelINS0_13select_configILj256ELj13ELNS0_17block_load_methodE3ELS4_3ELS4_3ELNS0_20block_scan_algorithmE0ELj4294967295EEENS1_25partition_config_selectorILNS1_17partition_subalgoE3EjNS0_10empty_typeEbEEZZNS1_14partition_implILS8_3ELb0ES6_jNS0_17counting_iteratorIjlEEPS9_SE_NS0_5tupleIJPjSE_EEENSF_IJSE_SE_EEES9_SG_JZNS1_25segmented_radix_sort_implINS0_14default_configELb1EPK6__halfPSL_PKlPlN2at6native12_GLOBAL__N_18offset_tEEE10hipError_tPvRmT1_PNSt15iterator_traitsISZ_E10value_typeET2_T3_PNS10_IS15_E10value_typeET4_jRbjT5_S1B_jjP12ihipStream_tbEUljE_EEESW_SX_SY_S15_S19_S1B_T6_T7_T9_mT8_S1D_bDpT10_ENKUlT_T0_E_clISt17integral_constantIbLb1EES1Q_EEDaS1L_S1M_EUlS1L_E_NS1_11comp_targetILNS1_3genE8ELNS1_11target_archE1030ELNS1_3gpuE2ELNS1_3repE0EEENS1_30default_config_static_selectorELNS0_4arch9wavefront6targetE0EEEvSZ_
	.p2align	8
	.type	_ZN7rocprim17ROCPRIM_400000_NS6detail17trampoline_kernelINS0_13select_configILj256ELj13ELNS0_17block_load_methodE3ELS4_3ELS4_3ELNS0_20block_scan_algorithmE0ELj4294967295EEENS1_25partition_config_selectorILNS1_17partition_subalgoE3EjNS0_10empty_typeEbEEZZNS1_14partition_implILS8_3ELb0ES6_jNS0_17counting_iteratorIjlEEPS9_SE_NS0_5tupleIJPjSE_EEENSF_IJSE_SE_EEES9_SG_JZNS1_25segmented_radix_sort_implINS0_14default_configELb1EPK6__halfPSL_PKlPlN2at6native12_GLOBAL__N_18offset_tEEE10hipError_tPvRmT1_PNSt15iterator_traitsISZ_E10value_typeET2_T3_PNS10_IS15_E10value_typeET4_jRbjT5_S1B_jjP12ihipStream_tbEUljE_EEESW_SX_SY_S15_S19_S1B_T6_T7_T9_mT8_S1D_bDpT10_ENKUlT_T0_E_clISt17integral_constantIbLb1EES1Q_EEDaS1L_S1M_EUlS1L_E_NS1_11comp_targetILNS1_3genE8ELNS1_11target_archE1030ELNS1_3gpuE2ELNS1_3repE0EEENS1_30default_config_static_selectorELNS0_4arch9wavefront6targetE0EEEvSZ_,@function
_ZN7rocprim17ROCPRIM_400000_NS6detail17trampoline_kernelINS0_13select_configILj256ELj13ELNS0_17block_load_methodE3ELS4_3ELS4_3ELNS0_20block_scan_algorithmE0ELj4294967295EEENS1_25partition_config_selectorILNS1_17partition_subalgoE3EjNS0_10empty_typeEbEEZZNS1_14partition_implILS8_3ELb0ES6_jNS0_17counting_iteratorIjlEEPS9_SE_NS0_5tupleIJPjSE_EEENSF_IJSE_SE_EEES9_SG_JZNS1_25segmented_radix_sort_implINS0_14default_configELb1EPK6__halfPSL_PKlPlN2at6native12_GLOBAL__N_18offset_tEEE10hipError_tPvRmT1_PNSt15iterator_traitsISZ_E10value_typeET2_T3_PNS10_IS15_E10value_typeET4_jRbjT5_S1B_jjP12ihipStream_tbEUljE_EEESW_SX_SY_S15_S19_S1B_T6_T7_T9_mT8_S1D_bDpT10_ENKUlT_T0_E_clISt17integral_constantIbLb1EES1Q_EEDaS1L_S1M_EUlS1L_E_NS1_11comp_targetILNS1_3genE8ELNS1_11target_archE1030ELNS1_3gpuE2ELNS1_3repE0EEENS1_30default_config_static_selectorELNS0_4arch9wavefront6targetE0EEEvSZ_: ; @_ZN7rocprim17ROCPRIM_400000_NS6detail17trampoline_kernelINS0_13select_configILj256ELj13ELNS0_17block_load_methodE3ELS4_3ELS4_3ELNS0_20block_scan_algorithmE0ELj4294967295EEENS1_25partition_config_selectorILNS1_17partition_subalgoE3EjNS0_10empty_typeEbEEZZNS1_14partition_implILS8_3ELb0ES6_jNS0_17counting_iteratorIjlEEPS9_SE_NS0_5tupleIJPjSE_EEENSF_IJSE_SE_EEES9_SG_JZNS1_25segmented_radix_sort_implINS0_14default_configELb1EPK6__halfPSL_PKlPlN2at6native12_GLOBAL__N_18offset_tEEE10hipError_tPvRmT1_PNSt15iterator_traitsISZ_E10value_typeET2_T3_PNS10_IS15_E10value_typeET4_jRbjT5_S1B_jjP12ihipStream_tbEUljE_EEESW_SX_SY_S15_S19_S1B_T6_T7_T9_mT8_S1D_bDpT10_ENKUlT_T0_E_clISt17integral_constantIbLb1EES1Q_EEDaS1L_S1M_EUlS1L_E_NS1_11comp_targetILNS1_3genE8ELNS1_11target_archE1030ELNS1_3gpuE2ELNS1_3repE0EEENS1_30default_config_static_selectorELNS0_4arch9wavefront6targetE0EEEvSZ_
; %bb.0:
	.section	.rodata,"a",@progbits
	.p2align	6, 0x0
	.amdhsa_kernel _ZN7rocprim17ROCPRIM_400000_NS6detail17trampoline_kernelINS0_13select_configILj256ELj13ELNS0_17block_load_methodE3ELS4_3ELS4_3ELNS0_20block_scan_algorithmE0ELj4294967295EEENS1_25partition_config_selectorILNS1_17partition_subalgoE3EjNS0_10empty_typeEbEEZZNS1_14partition_implILS8_3ELb0ES6_jNS0_17counting_iteratorIjlEEPS9_SE_NS0_5tupleIJPjSE_EEENSF_IJSE_SE_EEES9_SG_JZNS1_25segmented_radix_sort_implINS0_14default_configELb1EPK6__halfPSL_PKlPlN2at6native12_GLOBAL__N_18offset_tEEE10hipError_tPvRmT1_PNSt15iterator_traitsISZ_E10value_typeET2_T3_PNS10_IS15_E10value_typeET4_jRbjT5_S1B_jjP12ihipStream_tbEUljE_EEESW_SX_SY_S15_S19_S1B_T6_T7_T9_mT8_S1D_bDpT10_ENKUlT_T0_E_clISt17integral_constantIbLb1EES1Q_EEDaS1L_S1M_EUlS1L_E_NS1_11comp_targetILNS1_3genE8ELNS1_11target_archE1030ELNS1_3gpuE2ELNS1_3repE0EEENS1_30default_config_static_selectorELNS0_4arch9wavefront6targetE0EEEvSZ_
		.amdhsa_group_segment_fixed_size 0
		.amdhsa_private_segment_fixed_size 0
		.amdhsa_kernarg_size 152
		.amdhsa_user_sgpr_count 2
		.amdhsa_user_sgpr_dispatch_ptr 0
		.amdhsa_user_sgpr_queue_ptr 0
		.amdhsa_user_sgpr_kernarg_segment_ptr 1
		.amdhsa_user_sgpr_dispatch_id 0
		.amdhsa_user_sgpr_kernarg_preload_length 0
		.amdhsa_user_sgpr_kernarg_preload_offset 0
		.amdhsa_user_sgpr_private_segment_size 0
		.amdhsa_wavefront_size32 1
		.amdhsa_uses_dynamic_stack 0
		.amdhsa_enable_private_segment 0
		.amdhsa_system_sgpr_workgroup_id_x 1
		.amdhsa_system_sgpr_workgroup_id_y 0
		.amdhsa_system_sgpr_workgroup_id_z 0
		.amdhsa_system_sgpr_workgroup_info 0
		.amdhsa_system_vgpr_workitem_id 0
		.amdhsa_next_free_vgpr 1
		.amdhsa_next_free_sgpr 1
		.amdhsa_named_barrier_count 0
		.amdhsa_reserve_vcc 0
		.amdhsa_float_round_mode_32 0
		.amdhsa_float_round_mode_16_64 0
		.amdhsa_float_denorm_mode_32 3
		.amdhsa_float_denorm_mode_16_64 3
		.amdhsa_fp16_overflow 0
		.amdhsa_memory_ordered 1
		.amdhsa_forward_progress 1
		.amdhsa_inst_pref_size 0
		.amdhsa_round_robin_scheduling 0
		.amdhsa_exception_fp_ieee_invalid_op 0
		.amdhsa_exception_fp_denorm_src 0
		.amdhsa_exception_fp_ieee_div_zero 0
		.amdhsa_exception_fp_ieee_overflow 0
		.amdhsa_exception_fp_ieee_underflow 0
		.amdhsa_exception_fp_ieee_inexact 0
		.amdhsa_exception_int_div_zero 0
	.end_amdhsa_kernel
	.section	.text._ZN7rocprim17ROCPRIM_400000_NS6detail17trampoline_kernelINS0_13select_configILj256ELj13ELNS0_17block_load_methodE3ELS4_3ELS4_3ELNS0_20block_scan_algorithmE0ELj4294967295EEENS1_25partition_config_selectorILNS1_17partition_subalgoE3EjNS0_10empty_typeEbEEZZNS1_14partition_implILS8_3ELb0ES6_jNS0_17counting_iteratorIjlEEPS9_SE_NS0_5tupleIJPjSE_EEENSF_IJSE_SE_EEES9_SG_JZNS1_25segmented_radix_sort_implINS0_14default_configELb1EPK6__halfPSL_PKlPlN2at6native12_GLOBAL__N_18offset_tEEE10hipError_tPvRmT1_PNSt15iterator_traitsISZ_E10value_typeET2_T3_PNS10_IS15_E10value_typeET4_jRbjT5_S1B_jjP12ihipStream_tbEUljE_EEESW_SX_SY_S15_S19_S1B_T6_T7_T9_mT8_S1D_bDpT10_ENKUlT_T0_E_clISt17integral_constantIbLb1EES1Q_EEDaS1L_S1M_EUlS1L_E_NS1_11comp_targetILNS1_3genE8ELNS1_11target_archE1030ELNS1_3gpuE2ELNS1_3repE0EEENS1_30default_config_static_selectorELNS0_4arch9wavefront6targetE0EEEvSZ_,"axG",@progbits,_ZN7rocprim17ROCPRIM_400000_NS6detail17trampoline_kernelINS0_13select_configILj256ELj13ELNS0_17block_load_methodE3ELS4_3ELS4_3ELNS0_20block_scan_algorithmE0ELj4294967295EEENS1_25partition_config_selectorILNS1_17partition_subalgoE3EjNS0_10empty_typeEbEEZZNS1_14partition_implILS8_3ELb0ES6_jNS0_17counting_iteratorIjlEEPS9_SE_NS0_5tupleIJPjSE_EEENSF_IJSE_SE_EEES9_SG_JZNS1_25segmented_radix_sort_implINS0_14default_configELb1EPK6__halfPSL_PKlPlN2at6native12_GLOBAL__N_18offset_tEEE10hipError_tPvRmT1_PNSt15iterator_traitsISZ_E10value_typeET2_T3_PNS10_IS15_E10value_typeET4_jRbjT5_S1B_jjP12ihipStream_tbEUljE_EEESW_SX_SY_S15_S19_S1B_T6_T7_T9_mT8_S1D_bDpT10_ENKUlT_T0_E_clISt17integral_constantIbLb1EES1Q_EEDaS1L_S1M_EUlS1L_E_NS1_11comp_targetILNS1_3genE8ELNS1_11target_archE1030ELNS1_3gpuE2ELNS1_3repE0EEENS1_30default_config_static_selectorELNS0_4arch9wavefront6targetE0EEEvSZ_,comdat
.Lfunc_end1712:
	.size	_ZN7rocprim17ROCPRIM_400000_NS6detail17trampoline_kernelINS0_13select_configILj256ELj13ELNS0_17block_load_methodE3ELS4_3ELS4_3ELNS0_20block_scan_algorithmE0ELj4294967295EEENS1_25partition_config_selectorILNS1_17partition_subalgoE3EjNS0_10empty_typeEbEEZZNS1_14partition_implILS8_3ELb0ES6_jNS0_17counting_iteratorIjlEEPS9_SE_NS0_5tupleIJPjSE_EEENSF_IJSE_SE_EEES9_SG_JZNS1_25segmented_radix_sort_implINS0_14default_configELb1EPK6__halfPSL_PKlPlN2at6native12_GLOBAL__N_18offset_tEEE10hipError_tPvRmT1_PNSt15iterator_traitsISZ_E10value_typeET2_T3_PNS10_IS15_E10value_typeET4_jRbjT5_S1B_jjP12ihipStream_tbEUljE_EEESW_SX_SY_S15_S19_S1B_T6_T7_T9_mT8_S1D_bDpT10_ENKUlT_T0_E_clISt17integral_constantIbLb1EES1Q_EEDaS1L_S1M_EUlS1L_E_NS1_11comp_targetILNS1_3genE8ELNS1_11target_archE1030ELNS1_3gpuE2ELNS1_3repE0EEENS1_30default_config_static_selectorELNS0_4arch9wavefront6targetE0EEEvSZ_, .Lfunc_end1712-_ZN7rocprim17ROCPRIM_400000_NS6detail17trampoline_kernelINS0_13select_configILj256ELj13ELNS0_17block_load_methodE3ELS4_3ELS4_3ELNS0_20block_scan_algorithmE0ELj4294967295EEENS1_25partition_config_selectorILNS1_17partition_subalgoE3EjNS0_10empty_typeEbEEZZNS1_14partition_implILS8_3ELb0ES6_jNS0_17counting_iteratorIjlEEPS9_SE_NS0_5tupleIJPjSE_EEENSF_IJSE_SE_EEES9_SG_JZNS1_25segmented_radix_sort_implINS0_14default_configELb1EPK6__halfPSL_PKlPlN2at6native12_GLOBAL__N_18offset_tEEE10hipError_tPvRmT1_PNSt15iterator_traitsISZ_E10value_typeET2_T3_PNS10_IS15_E10value_typeET4_jRbjT5_S1B_jjP12ihipStream_tbEUljE_EEESW_SX_SY_S15_S19_S1B_T6_T7_T9_mT8_S1D_bDpT10_ENKUlT_T0_E_clISt17integral_constantIbLb1EES1Q_EEDaS1L_S1M_EUlS1L_E_NS1_11comp_targetILNS1_3genE8ELNS1_11target_archE1030ELNS1_3gpuE2ELNS1_3repE0EEENS1_30default_config_static_selectorELNS0_4arch9wavefront6targetE0EEEvSZ_
                                        ; -- End function
	.set _ZN7rocprim17ROCPRIM_400000_NS6detail17trampoline_kernelINS0_13select_configILj256ELj13ELNS0_17block_load_methodE3ELS4_3ELS4_3ELNS0_20block_scan_algorithmE0ELj4294967295EEENS1_25partition_config_selectorILNS1_17partition_subalgoE3EjNS0_10empty_typeEbEEZZNS1_14partition_implILS8_3ELb0ES6_jNS0_17counting_iteratorIjlEEPS9_SE_NS0_5tupleIJPjSE_EEENSF_IJSE_SE_EEES9_SG_JZNS1_25segmented_radix_sort_implINS0_14default_configELb1EPK6__halfPSL_PKlPlN2at6native12_GLOBAL__N_18offset_tEEE10hipError_tPvRmT1_PNSt15iterator_traitsISZ_E10value_typeET2_T3_PNS10_IS15_E10value_typeET4_jRbjT5_S1B_jjP12ihipStream_tbEUljE_EEESW_SX_SY_S15_S19_S1B_T6_T7_T9_mT8_S1D_bDpT10_ENKUlT_T0_E_clISt17integral_constantIbLb1EES1Q_EEDaS1L_S1M_EUlS1L_E_NS1_11comp_targetILNS1_3genE8ELNS1_11target_archE1030ELNS1_3gpuE2ELNS1_3repE0EEENS1_30default_config_static_selectorELNS0_4arch9wavefront6targetE0EEEvSZ_.num_vgpr, 0
	.set _ZN7rocprim17ROCPRIM_400000_NS6detail17trampoline_kernelINS0_13select_configILj256ELj13ELNS0_17block_load_methodE3ELS4_3ELS4_3ELNS0_20block_scan_algorithmE0ELj4294967295EEENS1_25partition_config_selectorILNS1_17partition_subalgoE3EjNS0_10empty_typeEbEEZZNS1_14partition_implILS8_3ELb0ES6_jNS0_17counting_iteratorIjlEEPS9_SE_NS0_5tupleIJPjSE_EEENSF_IJSE_SE_EEES9_SG_JZNS1_25segmented_radix_sort_implINS0_14default_configELb1EPK6__halfPSL_PKlPlN2at6native12_GLOBAL__N_18offset_tEEE10hipError_tPvRmT1_PNSt15iterator_traitsISZ_E10value_typeET2_T3_PNS10_IS15_E10value_typeET4_jRbjT5_S1B_jjP12ihipStream_tbEUljE_EEESW_SX_SY_S15_S19_S1B_T6_T7_T9_mT8_S1D_bDpT10_ENKUlT_T0_E_clISt17integral_constantIbLb1EES1Q_EEDaS1L_S1M_EUlS1L_E_NS1_11comp_targetILNS1_3genE8ELNS1_11target_archE1030ELNS1_3gpuE2ELNS1_3repE0EEENS1_30default_config_static_selectorELNS0_4arch9wavefront6targetE0EEEvSZ_.num_agpr, 0
	.set _ZN7rocprim17ROCPRIM_400000_NS6detail17trampoline_kernelINS0_13select_configILj256ELj13ELNS0_17block_load_methodE3ELS4_3ELS4_3ELNS0_20block_scan_algorithmE0ELj4294967295EEENS1_25partition_config_selectorILNS1_17partition_subalgoE3EjNS0_10empty_typeEbEEZZNS1_14partition_implILS8_3ELb0ES6_jNS0_17counting_iteratorIjlEEPS9_SE_NS0_5tupleIJPjSE_EEENSF_IJSE_SE_EEES9_SG_JZNS1_25segmented_radix_sort_implINS0_14default_configELb1EPK6__halfPSL_PKlPlN2at6native12_GLOBAL__N_18offset_tEEE10hipError_tPvRmT1_PNSt15iterator_traitsISZ_E10value_typeET2_T3_PNS10_IS15_E10value_typeET4_jRbjT5_S1B_jjP12ihipStream_tbEUljE_EEESW_SX_SY_S15_S19_S1B_T6_T7_T9_mT8_S1D_bDpT10_ENKUlT_T0_E_clISt17integral_constantIbLb1EES1Q_EEDaS1L_S1M_EUlS1L_E_NS1_11comp_targetILNS1_3genE8ELNS1_11target_archE1030ELNS1_3gpuE2ELNS1_3repE0EEENS1_30default_config_static_selectorELNS0_4arch9wavefront6targetE0EEEvSZ_.numbered_sgpr, 0
	.set _ZN7rocprim17ROCPRIM_400000_NS6detail17trampoline_kernelINS0_13select_configILj256ELj13ELNS0_17block_load_methodE3ELS4_3ELS4_3ELNS0_20block_scan_algorithmE0ELj4294967295EEENS1_25partition_config_selectorILNS1_17partition_subalgoE3EjNS0_10empty_typeEbEEZZNS1_14partition_implILS8_3ELb0ES6_jNS0_17counting_iteratorIjlEEPS9_SE_NS0_5tupleIJPjSE_EEENSF_IJSE_SE_EEES9_SG_JZNS1_25segmented_radix_sort_implINS0_14default_configELb1EPK6__halfPSL_PKlPlN2at6native12_GLOBAL__N_18offset_tEEE10hipError_tPvRmT1_PNSt15iterator_traitsISZ_E10value_typeET2_T3_PNS10_IS15_E10value_typeET4_jRbjT5_S1B_jjP12ihipStream_tbEUljE_EEESW_SX_SY_S15_S19_S1B_T6_T7_T9_mT8_S1D_bDpT10_ENKUlT_T0_E_clISt17integral_constantIbLb1EES1Q_EEDaS1L_S1M_EUlS1L_E_NS1_11comp_targetILNS1_3genE8ELNS1_11target_archE1030ELNS1_3gpuE2ELNS1_3repE0EEENS1_30default_config_static_selectorELNS0_4arch9wavefront6targetE0EEEvSZ_.num_named_barrier, 0
	.set _ZN7rocprim17ROCPRIM_400000_NS6detail17trampoline_kernelINS0_13select_configILj256ELj13ELNS0_17block_load_methodE3ELS4_3ELS4_3ELNS0_20block_scan_algorithmE0ELj4294967295EEENS1_25partition_config_selectorILNS1_17partition_subalgoE3EjNS0_10empty_typeEbEEZZNS1_14partition_implILS8_3ELb0ES6_jNS0_17counting_iteratorIjlEEPS9_SE_NS0_5tupleIJPjSE_EEENSF_IJSE_SE_EEES9_SG_JZNS1_25segmented_radix_sort_implINS0_14default_configELb1EPK6__halfPSL_PKlPlN2at6native12_GLOBAL__N_18offset_tEEE10hipError_tPvRmT1_PNSt15iterator_traitsISZ_E10value_typeET2_T3_PNS10_IS15_E10value_typeET4_jRbjT5_S1B_jjP12ihipStream_tbEUljE_EEESW_SX_SY_S15_S19_S1B_T6_T7_T9_mT8_S1D_bDpT10_ENKUlT_T0_E_clISt17integral_constantIbLb1EES1Q_EEDaS1L_S1M_EUlS1L_E_NS1_11comp_targetILNS1_3genE8ELNS1_11target_archE1030ELNS1_3gpuE2ELNS1_3repE0EEENS1_30default_config_static_selectorELNS0_4arch9wavefront6targetE0EEEvSZ_.private_seg_size, 0
	.set _ZN7rocprim17ROCPRIM_400000_NS6detail17trampoline_kernelINS0_13select_configILj256ELj13ELNS0_17block_load_methodE3ELS4_3ELS4_3ELNS0_20block_scan_algorithmE0ELj4294967295EEENS1_25partition_config_selectorILNS1_17partition_subalgoE3EjNS0_10empty_typeEbEEZZNS1_14partition_implILS8_3ELb0ES6_jNS0_17counting_iteratorIjlEEPS9_SE_NS0_5tupleIJPjSE_EEENSF_IJSE_SE_EEES9_SG_JZNS1_25segmented_radix_sort_implINS0_14default_configELb1EPK6__halfPSL_PKlPlN2at6native12_GLOBAL__N_18offset_tEEE10hipError_tPvRmT1_PNSt15iterator_traitsISZ_E10value_typeET2_T3_PNS10_IS15_E10value_typeET4_jRbjT5_S1B_jjP12ihipStream_tbEUljE_EEESW_SX_SY_S15_S19_S1B_T6_T7_T9_mT8_S1D_bDpT10_ENKUlT_T0_E_clISt17integral_constantIbLb1EES1Q_EEDaS1L_S1M_EUlS1L_E_NS1_11comp_targetILNS1_3genE8ELNS1_11target_archE1030ELNS1_3gpuE2ELNS1_3repE0EEENS1_30default_config_static_selectorELNS0_4arch9wavefront6targetE0EEEvSZ_.uses_vcc, 0
	.set _ZN7rocprim17ROCPRIM_400000_NS6detail17trampoline_kernelINS0_13select_configILj256ELj13ELNS0_17block_load_methodE3ELS4_3ELS4_3ELNS0_20block_scan_algorithmE0ELj4294967295EEENS1_25partition_config_selectorILNS1_17partition_subalgoE3EjNS0_10empty_typeEbEEZZNS1_14partition_implILS8_3ELb0ES6_jNS0_17counting_iteratorIjlEEPS9_SE_NS0_5tupleIJPjSE_EEENSF_IJSE_SE_EEES9_SG_JZNS1_25segmented_radix_sort_implINS0_14default_configELb1EPK6__halfPSL_PKlPlN2at6native12_GLOBAL__N_18offset_tEEE10hipError_tPvRmT1_PNSt15iterator_traitsISZ_E10value_typeET2_T3_PNS10_IS15_E10value_typeET4_jRbjT5_S1B_jjP12ihipStream_tbEUljE_EEESW_SX_SY_S15_S19_S1B_T6_T7_T9_mT8_S1D_bDpT10_ENKUlT_T0_E_clISt17integral_constantIbLb1EES1Q_EEDaS1L_S1M_EUlS1L_E_NS1_11comp_targetILNS1_3genE8ELNS1_11target_archE1030ELNS1_3gpuE2ELNS1_3repE0EEENS1_30default_config_static_selectorELNS0_4arch9wavefront6targetE0EEEvSZ_.uses_flat_scratch, 0
	.set _ZN7rocprim17ROCPRIM_400000_NS6detail17trampoline_kernelINS0_13select_configILj256ELj13ELNS0_17block_load_methodE3ELS4_3ELS4_3ELNS0_20block_scan_algorithmE0ELj4294967295EEENS1_25partition_config_selectorILNS1_17partition_subalgoE3EjNS0_10empty_typeEbEEZZNS1_14partition_implILS8_3ELb0ES6_jNS0_17counting_iteratorIjlEEPS9_SE_NS0_5tupleIJPjSE_EEENSF_IJSE_SE_EEES9_SG_JZNS1_25segmented_radix_sort_implINS0_14default_configELb1EPK6__halfPSL_PKlPlN2at6native12_GLOBAL__N_18offset_tEEE10hipError_tPvRmT1_PNSt15iterator_traitsISZ_E10value_typeET2_T3_PNS10_IS15_E10value_typeET4_jRbjT5_S1B_jjP12ihipStream_tbEUljE_EEESW_SX_SY_S15_S19_S1B_T6_T7_T9_mT8_S1D_bDpT10_ENKUlT_T0_E_clISt17integral_constantIbLb1EES1Q_EEDaS1L_S1M_EUlS1L_E_NS1_11comp_targetILNS1_3genE8ELNS1_11target_archE1030ELNS1_3gpuE2ELNS1_3repE0EEENS1_30default_config_static_selectorELNS0_4arch9wavefront6targetE0EEEvSZ_.has_dyn_sized_stack, 0
	.set _ZN7rocprim17ROCPRIM_400000_NS6detail17trampoline_kernelINS0_13select_configILj256ELj13ELNS0_17block_load_methodE3ELS4_3ELS4_3ELNS0_20block_scan_algorithmE0ELj4294967295EEENS1_25partition_config_selectorILNS1_17partition_subalgoE3EjNS0_10empty_typeEbEEZZNS1_14partition_implILS8_3ELb0ES6_jNS0_17counting_iteratorIjlEEPS9_SE_NS0_5tupleIJPjSE_EEENSF_IJSE_SE_EEES9_SG_JZNS1_25segmented_radix_sort_implINS0_14default_configELb1EPK6__halfPSL_PKlPlN2at6native12_GLOBAL__N_18offset_tEEE10hipError_tPvRmT1_PNSt15iterator_traitsISZ_E10value_typeET2_T3_PNS10_IS15_E10value_typeET4_jRbjT5_S1B_jjP12ihipStream_tbEUljE_EEESW_SX_SY_S15_S19_S1B_T6_T7_T9_mT8_S1D_bDpT10_ENKUlT_T0_E_clISt17integral_constantIbLb1EES1Q_EEDaS1L_S1M_EUlS1L_E_NS1_11comp_targetILNS1_3genE8ELNS1_11target_archE1030ELNS1_3gpuE2ELNS1_3repE0EEENS1_30default_config_static_selectorELNS0_4arch9wavefront6targetE0EEEvSZ_.has_recursion, 0
	.set _ZN7rocprim17ROCPRIM_400000_NS6detail17trampoline_kernelINS0_13select_configILj256ELj13ELNS0_17block_load_methodE3ELS4_3ELS4_3ELNS0_20block_scan_algorithmE0ELj4294967295EEENS1_25partition_config_selectorILNS1_17partition_subalgoE3EjNS0_10empty_typeEbEEZZNS1_14partition_implILS8_3ELb0ES6_jNS0_17counting_iteratorIjlEEPS9_SE_NS0_5tupleIJPjSE_EEENSF_IJSE_SE_EEES9_SG_JZNS1_25segmented_radix_sort_implINS0_14default_configELb1EPK6__halfPSL_PKlPlN2at6native12_GLOBAL__N_18offset_tEEE10hipError_tPvRmT1_PNSt15iterator_traitsISZ_E10value_typeET2_T3_PNS10_IS15_E10value_typeET4_jRbjT5_S1B_jjP12ihipStream_tbEUljE_EEESW_SX_SY_S15_S19_S1B_T6_T7_T9_mT8_S1D_bDpT10_ENKUlT_T0_E_clISt17integral_constantIbLb1EES1Q_EEDaS1L_S1M_EUlS1L_E_NS1_11comp_targetILNS1_3genE8ELNS1_11target_archE1030ELNS1_3gpuE2ELNS1_3repE0EEENS1_30default_config_static_selectorELNS0_4arch9wavefront6targetE0EEEvSZ_.has_indirect_call, 0
	.section	.AMDGPU.csdata,"",@progbits
; Kernel info:
; codeLenInByte = 0
; TotalNumSgprs: 0
; NumVgprs: 0
; ScratchSize: 0
; MemoryBound: 0
; FloatMode: 240
; IeeeMode: 1
; LDSByteSize: 0 bytes/workgroup (compile time only)
; SGPRBlocks: 0
; VGPRBlocks: 0
; NumSGPRsForWavesPerEU: 1
; NumVGPRsForWavesPerEU: 1
; NamedBarCnt: 0
; Occupancy: 16
; WaveLimiterHint : 0
; COMPUTE_PGM_RSRC2:SCRATCH_EN: 0
; COMPUTE_PGM_RSRC2:USER_SGPR: 2
; COMPUTE_PGM_RSRC2:TRAP_HANDLER: 0
; COMPUTE_PGM_RSRC2:TGID_X_EN: 1
; COMPUTE_PGM_RSRC2:TGID_Y_EN: 0
; COMPUTE_PGM_RSRC2:TGID_Z_EN: 0
; COMPUTE_PGM_RSRC2:TIDIG_COMP_CNT: 0
	.section	.text._ZN7rocprim17ROCPRIM_400000_NS6detail17trampoline_kernelINS0_13select_configILj256ELj13ELNS0_17block_load_methodE3ELS4_3ELS4_3ELNS0_20block_scan_algorithmE0ELj4294967295EEENS1_25partition_config_selectorILNS1_17partition_subalgoE3EjNS0_10empty_typeEbEEZZNS1_14partition_implILS8_3ELb0ES6_jNS0_17counting_iteratorIjlEEPS9_SE_NS0_5tupleIJPjSE_EEENSF_IJSE_SE_EEES9_SG_JZNS1_25segmented_radix_sort_implINS0_14default_configELb1EPK6__halfPSL_PKlPlN2at6native12_GLOBAL__N_18offset_tEEE10hipError_tPvRmT1_PNSt15iterator_traitsISZ_E10value_typeET2_T3_PNS10_IS15_E10value_typeET4_jRbjT5_S1B_jjP12ihipStream_tbEUljE_EEESW_SX_SY_S15_S19_S1B_T6_T7_T9_mT8_S1D_bDpT10_ENKUlT_T0_E_clISt17integral_constantIbLb1EES1P_IbLb0EEEEDaS1L_S1M_EUlS1L_E_NS1_11comp_targetILNS1_3genE0ELNS1_11target_archE4294967295ELNS1_3gpuE0ELNS1_3repE0EEENS1_30default_config_static_selectorELNS0_4arch9wavefront6targetE0EEEvSZ_,"axG",@progbits,_ZN7rocprim17ROCPRIM_400000_NS6detail17trampoline_kernelINS0_13select_configILj256ELj13ELNS0_17block_load_methodE3ELS4_3ELS4_3ELNS0_20block_scan_algorithmE0ELj4294967295EEENS1_25partition_config_selectorILNS1_17partition_subalgoE3EjNS0_10empty_typeEbEEZZNS1_14partition_implILS8_3ELb0ES6_jNS0_17counting_iteratorIjlEEPS9_SE_NS0_5tupleIJPjSE_EEENSF_IJSE_SE_EEES9_SG_JZNS1_25segmented_radix_sort_implINS0_14default_configELb1EPK6__halfPSL_PKlPlN2at6native12_GLOBAL__N_18offset_tEEE10hipError_tPvRmT1_PNSt15iterator_traitsISZ_E10value_typeET2_T3_PNS10_IS15_E10value_typeET4_jRbjT5_S1B_jjP12ihipStream_tbEUljE_EEESW_SX_SY_S15_S19_S1B_T6_T7_T9_mT8_S1D_bDpT10_ENKUlT_T0_E_clISt17integral_constantIbLb1EES1P_IbLb0EEEEDaS1L_S1M_EUlS1L_E_NS1_11comp_targetILNS1_3genE0ELNS1_11target_archE4294967295ELNS1_3gpuE0ELNS1_3repE0EEENS1_30default_config_static_selectorELNS0_4arch9wavefront6targetE0EEEvSZ_,comdat
	.globl	_ZN7rocprim17ROCPRIM_400000_NS6detail17trampoline_kernelINS0_13select_configILj256ELj13ELNS0_17block_load_methodE3ELS4_3ELS4_3ELNS0_20block_scan_algorithmE0ELj4294967295EEENS1_25partition_config_selectorILNS1_17partition_subalgoE3EjNS0_10empty_typeEbEEZZNS1_14partition_implILS8_3ELb0ES6_jNS0_17counting_iteratorIjlEEPS9_SE_NS0_5tupleIJPjSE_EEENSF_IJSE_SE_EEES9_SG_JZNS1_25segmented_radix_sort_implINS0_14default_configELb1EPK6__halfPSL_PKlPlN2at6native12_GLOBAL__N_18offset_tEEE10hipError_tPvRmT1_PNSt15iterator_traitsISZ_E10value_typeET2_T3_PNS10_IS15_E10value_typeET4_jRbjT5_S1B_jjP12ihipStream_tbEUljE_EEESW_SX_SY_S15_S19_S1B_T6_T7_T9_mT8_S1D_bDpT10_ENKUlT_T0_E_clISt17integral_constantIbLb1EES1P_IbLb0EEEEDaS1L_S1M_EUlS1L_E_NS1_11comp_targetILNS1_3genE0ELNS1_11target_archE4294967295ELNS1_3gpuE0ELNS1_3repE0EEENS1_30default_config_static_selectorELNS0_4arch9wavefront6targetE0EEEvSZ_ ; -- Begin function _ZN7rocprim17ROCPRIM_400000_NS6detail17trampoline_kernelINS0_13select_configILj256ELj13ELNS0_17block_load_methodE3ELS4_3ELS4_3ELNS0_20block_scan_algorithmE0ELj4294967295EEENS1_25partition_config_selectorILNS1_17partition_subalgoE3EjNS0_10empty_typeEbEEZZNS1_14partition_implILS8_3ELb0ES6_jNS0_17counting_iteratorIjlEEPS9_SE_NS0_5tupleIJPjSE_EEENSF_IJSE_SE_EEES9_SG_JZNS1_25segmented_radix_sort_implINS0_14default_configELb1EPK6__halfPSL_PKlPlN2at6native12_GLOBAL__N_18offset_tEEE10hipError_tPvRmT1_PNSt15iterator_traitsISZ_E10value_typeET2_T3_PNS10_IS15_E10value_typeET4_jRbjT5_S1B_jjP12ihipStream_tbEUljE_EEESW_SX_SY_S15_S19_S1B_T6_T7_T9_mT8_S1D_bDpT10_ENKUlT_T0_E_clISt17integral_constantIbLb1EES1P_IbLb0EEEEDaS1L_S1M_EUlS1L_E_NS1_11comp_targetILNS1_3genE0ELNS1_11target_archE4294967295ELNS1_3gpuE0ELNS1_3repE0EEENS1_30default_config_static_selectorELNS0_4arch9wavefront6targetE0EEEvSZ_
	.p2align	8
	.type	_ZN7rocprim17ROCPRIM_400000_NS6detail17trampoline_kernelINS0_13select_configILj256ELj13ELNS0_17block_load_methodE3ELS4_3ELS4_3ELNS0_20block_scan_algorithmE0ELj4294967295EEENS1_25partition_config_selectorILNS1_17partition_subalgoE3EjNS0_10empty_typeEbEEZZNS1_14partition_implILS8_3ELb0ES6_jNS0_17counting_iteratorIjlEEPS9_SE_NS0_5tupleIJPjSE_EEENSF_IJSE_SE_EEES9_SG_JZNS1_25segmented_radix_sort_implINS0_14default_configELb1EPK6__halfPSL_PKlPlN2at6native12_GLOBAL__N_18offset_tEEE10hipError_tPvRmT1_PNSt15iterator_traitsISZ_E10value_typeET2_T3_PNS10_IS15_E10value_typeET4_jRbjT5_S1B_jjP12ihipStream_tbEUljE_EEESW_SX_SY_S15_S19_S1B_T6_T7_T9_mT8_S1D_bDpT10_ENKUlT_T0_E_clISt17integral_constantIbLb1EES1P_IbLb0EEEEDaS1L_S1M_EUlS1L_E_NS1_11comp_targetILNS1_3genE0ELNS1_11target_archE4294967295ELNS1_3gpuE0ELNS1_3repE0EEENS1_30default_config_static_selectorELNS0_4arch9wavefront6targetE0EEEvSZ_,@function
_ZN7rocprim17ROCPRIM_400000_NS6detail17trampoline_kernelINS0_13select_configILj256ELj13ELNS0_17block_load_methodE3ELS4_3ELS4_3ELNS0_20block_scan_algorithmE0ELj4294967295EEENS1_25partition_config_selectorILNS1_17partition_subalgoE3EjNS0_10empty_typeEbEEZZNS1_14partition_implILS8_3ELb0ES6_jNS0_17counting_iteratorIjlEEPS9_SE_NS0_5tupleIJPjSE_EEENSF_IJSE_SE_EEES9_SG_JZNS1_25segmented_radix_sort_implINS0_14default_configELb1EPK6__halfPSL_PKlPlN2at6native12_GLOBAL__N_18offset_tEEE10hipError_tPvRmT1_PNSt15iterator_traitsISZ_E10value_typeET2_T3_PNS10_IS15_E10value_typeET4_jRbjT5_S1B_jjP12ihipStream_tbEUljE_EEESW_SX_SY_S15_S19_S1B_T6_T7_T9_mT8_S1D_bDpT10_ENKUlT_T0_E_clISt17integral_constantIbLb1EES1P_IbLb0EEEEDaS1L_S1M_EUlS1L_E_NS1_11comp_targetILNS1_3genE0ELNS1_11target_archE4294967295ELNS1_3gpuE0ELNS1_3repE0EEENS1_30default_config_static_selectorELNS0_4arch9wavefront6targetE0EEEvSZ_: ; @_ZN7rocprim17ROCPRIM_400000_NS6detail17trampoline_kernelINS0_13select_configILj256ELj13ELNS0_17block_load_methodE3ELS4_3ELS4_3ELNS0_20block_scan_algorithmE0ELj4294967295EEENS1_25partition_config_selectorILNS1_17partition_subalgoE3EjNS0_10empty_typeEbEEZZNS1_14partition_implILS8_3ELb0ES6_jNS0_17counting_iteratorIjlEEPS9_SE_NS0_5tupleIJPjSE_EEENSF_IJSE_SE_EEES9_SG_JZNS1_25segmented_radix_sort_implINS0_14default_configELb1EPK6__halfPSL_PKlPlN2at6native12_GLOBAL__N_18offset_tEEE10hipError_tPvRmT1_PNSt15iterator_traitsISZ_E10value_typeET2_T3_PNS10_IS15_E10value_typeET4_jRbjT5_S1B_jjP12ihipStream_tbEUljE_EEESW_SX_SY_S15_S19_S1B_T6_T7_T9_mT8_S1D_bDpT10_ENKUlT_T0_E_clISt17integral_constantIbLb1EES1P_IbLb0EEEEDaS1L_S1M_EUlS1L_E_NS1_11comp_targetILNS1_3genE0ELNS1_11target_archE4294967295ELNS1_3gpuE0ELNS1_3repE0EEENS1_30default_config_static_selectorELNS0_4arch9wavefront6targetE0EEEvSZ_
; %bb.0:
	s_endpgm
	.section	.rodata,"a",@progbits
	.p2align	6, 0x0
	.amdhsa_kernel _ZN7rocprim17ROCPRIM_400000_NS6detail17trampoline_kernelINS0_13select_configILj256ELj13ELNS0_17block_load_methodE3ELS4_3ELS4_3ELNS0_20block_scan_algorithmE0ELj4294967295EEENS1_25partition_config_selectorILNS1_17partition_subalgoE3EjNS0_10empty_typeEbEEZZNS1_14partition_implILS8_3ELb0ES6_jNS0_17counting_iteratorIjlEEPS9_SE_NS0_5tupleIJPjSE_EEENSF_IJSE_SE_EEES9_SG_JZNS1_25segmented_radix_sort_implINS0_14default_configELb1EPK6__halfPSL_PKlPlN2at6native12_GLOBAL__N_18offset_tEEE10hipError_tPvRmT1_PNSt15iterator_traitsISZ_E10value_typeET2_T3_PNS10_IS15_E10value_typeET4_jRbjT5_S1B_jjP12ihipStream_tbEUljE_EEESW_SX_SY_S15_S19_S1B_T6_T7_T9_mT8_S1D_bDpT10_ENKUlT_T0_E_clISt17integral_constantIbLb1EES1P_IbLb0EEEEDaS1L_S1M_EUlS1L_E_NS1_11comp_targetILNS1_3genE0ELNS1_11target_archE4294967295ELNS1_3gpuE0ELNS1_3repE0EEENS1_30default_config_static_selectorELNS0_4arch9wavefront6targetE0EEEvSZ_
		.amdhsa_group_segment_fixed_size 0
		.amdhsa_private_segment_fixed_size 0
		.amdhsa_kernarg_size 144
		.amdhsa_user_sgpr_count 2
		.amdhsa_user_sgpr_dispatch_ptr 0
		.amdhsa_user_sgpr_queue_ptr 0
		.amdhsa_user_sgpr_kernarg_segment_ptr 1
		.amdhsa_user_sgpr_dispatch_id 0
		.amdhsa_user_sgpr_kernarg_preload_length 0
		.amdhsa_user_sgpr_kernarg_preload_offset 0
		.amdhsa_user_sgpr_private_segment_size 0
		.amdhsa_wavefront_size32 1
		.amdhsa_uses_dynamic_stack 0
		.amdhsa_enable_private_segment 0
		.amdhsa_system_sgpr_workgroup_id_x 1
		.amdhsa_system_sgpr_workgroup_id_y 0
		.amdhsa_system_sgpr_workgroup_id_z 0
		.amdhsa_system_sgpr_workgroup_info 0
		.amdhsa_system_vgpr_workitem_id 0
		.amdhsa_next_free_vgpr 1
		.amdhsa_next_free_sgpr 1
		.amdhsa_named_barrier_count 0
		.amdhsa_reserve_vcc 0
		.amdhsa_float_round_mode_32 0
		.amdhsa_float_round_mode_16_64 0
		.amdhsa_float_denorm_mode_32 3
		.amdhsa_float_denorm_mode_16_64 3
		.amdhsa_fp16_overflow 0
		.amdhsa_memory_ordered 1
		.amdhsa_forward_progress 1
		.amdhsa_inst_pref_size 1
		.amdhsa_round_robin_scheduling 0
		.amdhsa_exception_fp_ieee_invalid_op 0
		.amdhsa_exception_fp_denorm_src 0
		.amdhsa_exception_fp_ieee_div_zero 0
		.amdhsa_exception_fp_ieee_overflow 0
		.amdhsa_exception_fp_ieee_underflow 0
		.amdhsa_exception_fp_ieee_inexact 0
		.amdhsa_exception_int_div_zero 0
	.end_amdhsa_kernel
	.section	.text._ZN7rocprim17ROCPRIM_400000_NS6detail17trampoline_kernelINS0_13select_configILj256ELj13ELNS0_17block_load_methodE3ELS4_3ELS4_3ELNS0_20block_scan_algorithmE0ELj4294967295EEENS1_25partition_config_selectorILNS1_17partition_subalgoE3EjNS0_10empty_typeEbEEZZNS1_14partition_implILS8_3ELb0ES6_jNS0_17counting_iteratorIjlEEPS9_SE_NS0_5tupleIJPjSE_EEENSF_IJSE_SE_EEES9_SG_JZNS1_25segmented_radix_sort_implINS0_14default_configELb1EPK6__halfPSL_PKlPlN2at6native12_GLOBAL__N_18offset_tEEE10hipError_tPvRmT1_PNSt15iterator_traitsISZ_E10value_typeET2_T3_PNS10_IS15_E10value_typeET4_jRbjT5_S1B_jjP12ihipStream_tbEUljE_EEESW_SX_SY_S15_S19_S1B_T6_T7_T9_mT8_S1D_bDpT10_ENKUlT_T0_E_clISt17integral_constantIbLb1EES1P_IbLb0EEEEDaS1L_S1M_EUlS1L_E_NS1_11comp_targetILNS1_3genE0ELNS1_11target_archE4294967295ELNS1_3gpuE0ELNS1_3repE0EEENS1_30default_config_static_selectorELNS0_4arch9wavefront6targetE0EEEvSZ_,"axG",@progbits,_ZN7rocprim17ROCPRIM_400000_NS6detail17trampoline_kernelINS0_13select_configILj256ELj13ELNS0_17block_load_methodE3ELS4_3ELS4_3ELNS0_20block_scan_algorithmE0ELj4294967295EEENS1_25partition_config_selectorILNS1_17partition_subalgoE3EjNS0_10empty_typeEbEEZZNS1_14partition_implILS8_3ELb0ES6_jNS0_17counting_iteratorIjlEEPS9_SE_NS0_5tupleIJPjSE_EEENSF_IJSE_SE_EEES9_SG_JZNS1_25segmented_radix_sort_implINS0_14default_configELb1EPK6__halfPSL_PKlPlN2at6native12_GLOBAL__N_18offset_tEEE10hipError_tPvRmT1_PNSt15iterator_traitsISZ_E10value_typeET2_T3_PNS10_IS15_E10value_typeET4_jRbjT5_S1B_jjP12ihipStream_tbEUljE_EEESW_SX_SY_S15_S19_S1B_T6_T7_T9_mT8_S1D_bDpT10_ENKUlT_T0_E_clISt17integral_constantIbLb1EES1P_IbLb0EEEEDaS1L_S1M_EUlS1L_E_NS1_11comp_targetILNS1_3genE0ELNS1_11target_archE4294967295ELNS1_3gpuE0ELNS1_3repE0EEENS1_30default_config_static_selectorELNS0_4arch9wavefront6targetE0EEEvSZ_,comdat
.Lfunc_end1713:
	.size	_ZN7rocprim17ROCPRIM_400000_NS6detail17trampoline_kernelINS0_13select_configILj256ELj13ELNS0_17block_load_methodE3ELS4_3ELS4_3ELNS0_20block_scan_algorithmE0ELj4294967295EEENS1_25partition_config_selectorILNS1_17partition_subalgoE3EjNS0_10empty_typeEbEEZZNS1_14partition_implILS8_3ELb0ES6_jNS0_17counting_iteratorIjlEEPS9_SE_NS0_5tupleIJPjSE_EEENSF_IJSE_SE_EEES9_SG_JZNS1_25segmented_radix_sort_implINS0_14default_configELb1EPK6__halfPSL_PKlPlN2at6native12_GLOBAL__N_18offset_tEEE10hipError_tPvRmT1_PNSt15iterator_traitsISZ_E10value_typeET2_T3_PNS10_IS15_E10value_typeET4_jRbjT5_S1B_jjP12ihipStream_tbEUljE_EEESW_SX_SY_S15_S19_S1B_T6_T7_T9_mT8_S1D_bDpT10_ENKUlT_T0_E_clISt17integral_constantIbLb1EES1P_IbLb0EEEEDaS1L_S1M_EUlS1L_E_NS1_11comp_targetILNS1_3genE0ELNS1_11target_archE4294967295ELNS1_3gpuE0ELNS1_3repE0EEENS1_30default_config_static_selectorELNS0_4arch9wavefront6targetE0EEEvSZ_, .Lfunc_end1713-_ZN7rocprim17ROCPRIM_400000_NS6detail17trampoline_kernelINS0_13select_configILj256ELj13ELNS0_17block_load_methodE3ELS4_3ELS4_3ELNS0_20block_scan_algorithmE0ELj4294967295EEENS1_25partition_config_selectorILNS1_17partition_subalgoE3EjNS0_10empty_typeEbEEZZNS1_14partition_implILS8_3ELb0ES6_jNS0_17counting_iteratorIjlEEPS9_SE_NS0_5tupleIJPjSE_EEENSF_IJSE_SE_EEES9_SG_JZNS1_25segmented_radix_sort_implINS0_14default_configELb1EPK6__halfPSL_PKlPlN2at6native12_GLOBAL__N_18offset_tEEE10hipError_tPvRmT1_PNSt15iterator_traitsISZ_E10value_typeET2_T3_PNS10_IS15_E10value_typeET4_jRbjT5_S1B_jjP12ihipStream_tbEUljE_EEESW_SX_SY_S15_S19_S1B_T6_T7_T9_mT8_S1D_bDpT10_ENKUlT_T0_E_clISt17integral_constantIbLb1EES1P_IbLb0EEEEDaS1L_S1M_EUlS1L_E_NS1_11comp_targetILNS1_3genE0ELNS1_11target_archE4294967295ELNS1_3gpuE0ELNS1_3repE0EEENS1_30default_config_static_selectorELNS0_4arch9wavefront6targetE0EEEvSZ_
                                        ; -- End function
	.set _ZN7rocprim17ROCPRIM_400000_NS6detail17trampoline_kernelINS0_13select_configILj256ELj13ELNS0_17block_load_methodE3ELS4_3ELS4_3ELNS0_20block_scan_algorithmE0ELj4294967295EEENS1_25partition_config_selectorILNS1_17partition_subalgoE3EjNS0_10empty_typeEbEEZZNS1_14partition_implILS8_3ELb0ES6_jNS0_17counting_iteratorIjlEEPS9_SE_NS0_5tupleIJPjSE_EEENSF_IJSE_SE_EEES9_SG_JZNS1_25segmented_radix_sort_implINS0_14default_configELb1EPK6__halfPSL_PKlPlN2at6native12_GLOBAL__N_18offset_tEEE10hipError_tPvRmT1_PNSt15iterator_traitsISZ_E10value_typeET2_T3_PNS10_IS15_E10value_typeET4_jRbjT5_S1B_jjP12ihipStream_tbEUljE_EEESW_SX_SY_S15_S19_S1B_T6_T7_T9_mT8_S1D_bDpT10_ENKUlT_T0_E_clISt17integral_constantIbLb1EES1P_IbLb0EEEEDaS1L_S1M_EUlS1L_E_NS1_11comp_targetILNS1_3genE0ELNS1_11target_archE4294967295ELNS1_3gpuE0ELNS1_3repE0EEENS1_30default_config_static_selectorELNS0_4arch9wavefront6targetE0EEEvSZ_.num_vgpr, 0
	.set _ZN7rocprim17ROCPRIM_400000_NS6detail17trampoline_kernelINS0_13select_configILj256ELj13ELNS0_17block_load_methodE3ELS4_3ELS4_3ELNS0_20block_scan_algorithmE0ELj4294967295EEENS1_25partition_config_selectorILNS1_17partition_subalgoE3EjNS0_10empty_typeEbEEZZNS1_14partition_implILS8_3ELb0ES6_jNS0_17counting_iteratorIjlEEPS9_SE_NS0_5tupleIJPjSE_EEENSF_IJSE_SE_EEES9_SG_JZNS1_25segmented_radix_sort_implINS0_14default_configELb1EPK6__halfPSL_PKlPlN2at6native12_GLOBAL__N_18offset_tEEE10hipError_tPvRmT1_PNSt15iterator_traitsISZ_E10value_typeET2_T3_PNS10_IS15_E10value_typeET4_jRbjT5_S1B_jjP12ihipStream_tbEUljE_EEESW_SX_SY_S15_S19_S1B_T6_T7_T9_mT8_S1D_bDpT10_ENKUlT_T0_E_clISt17integral_constantIbLb1EES1P_IbLb0EEEEDaS1L_S1M_EUlS1L_E_NS1_11comp_targetILNS1_3genE0ELNS1_11target_archE4294967295ELNS1_3gpuE0ELNS1_3repE0EEENS1_30default_config_static_selectorELNS0_4arch9wavefront6targetE0EEEvSZ_.num_agpr, 0
	.set _ZN7rocprim17ROCPRIM_400000_NS6detail17trampoline_kernelINS0_13select_configILj256ELj13ELNS0_17block_load_methodE3ELS4_3ELS4_3ELNS0_20block_scan_algorithmE0ELj4294967295EEENS1_25partition_config_selectorILNS1_17partition_subalgoE3EjNS0_10empty_typeEbEEZZNS1_14partition_implILS8_3ELb0ES6_jNS0_17counting_iteratorIjlEEPS9_SE_NS0_5tupleIJPjSE_EEENSF_IJSE_SE_EEES9_SG_JZNS1_25segmented_radix_sort_implINS0_14default_configELb1EPK6__halfPSL_PKlPlN2at6native12_GLOBAL__N_18offset_tEEE10hipError_tPvRmT1_PNSt15iterator_traitsISZ_E10value_typeET2_T3_PNS10_IS15_E10value_typeET4_jRbjT5_S1B_jjP12ihipStream_tbEUljE_EEESW_SX_SY_S15_S19_S1B_T6_T7_T9_mT8_S1D_bDpT10_ENKUlT_T0_E_clISt17integral_constantIbLb1EES1P_IbLb0EEEEDaS1L_S1M_EUlS1L_E_NS1_11comp_targetILNS1_3genE0ELNS1_11target_archE4294967295ELNS1_3gpuE0ELNS1_3repE0EEENS1_30default_config_static_selectorELNS0_4arch9wavefront6targetE0EEEvSZ_.numbered_sgpr, 0
	.set _ZN7rocprim17ROCPRIM_400000_NS6detail17trampoline_kernelINS0_13select_configILj256ELj13ELNS0_17block_load_methodE3ELS4_3ELS4_3ELNS0_20block_scan_algorithmE0ELj4294967295EEENS1_25partition_config_selectorILNS1_17partition_subalgoE3EjNS0_10empty_typeEbEEZZNS1_14partition_implILS8_3ELb0ES6_jNS0_17counting_iteratorIjlEEPS9_SE_NS0_5tupleIJPjSE_EEENSF_IJSE_SE_EEES9_SG_JZNS1_25segmented_radix_sort_implINS0_14default_configELb1EPK6__halfPSL_PKlPlN2at6native12_GLOBAL__N_18offset_tEEE10hipError_tPvRmT1_PNSt15iterator_traitsISZ_E10value_typeET2_T3_PNS10_IS15_E10value_typeET4_jRbjT5_S1B_jjP12ihipStream_tbEUljE_EEESW_SX_SY_S15_S19_S1B_T6_T7_T9_mT8_S1D_bDpT10_ENKUlT_T0_E_clISt17integral_constantIbLb1EES1P_IbLb0EEEEDaS1L_S1M_EUlS1L_E_NS1_11comp_targetILNS1_3genE0ELNS1_11target_archE4294967295ELNS1_3gpuE0ELNS1_3repE0EEENS1_30default_config_static_selectorELNS0_4arch9wavefront6targetE0EEEvSZ_.num_named_barrier, 0
	.set _ZN7rocprim17ROCPRIM_400000_NS6detail17trampoline_kernelINS0_13select_configILj256ELj13ELNS0_17block_load_methodE3ELS4_3ELS4_3ELNS0_20block_scan_algorithmE0ELj4294967295EEENS1_25partition_config_selectorILNS1_17partition_subalgoE3EjNS0_10empty_typeEbEEZZNS1_14partition_implILS8_3ELb0ES6_jNS0_17counting_iteratorIjlEEPS9_SE_NS0_5tupleIJPjSE_EEENSF_IJSE_SE_EEES9_SG_JZNS1_25segmented_radix_sort_implINS0_14default_configELb1EPK6__halfPSL_PKlPlN2at6native12_GLOBAL__N_18offset_tEEE10hipError_tPvRmT1_PNSt15iterator_traitsISZ_E10value_typeET2_T3_PNS10_IS15_E10value_typeET4_jRbjT5_S1B_jjP12ihipStream_tbEUljE_EEESW_SX_SY_S15_S19_S1B_T6_T7_T9_mT8_S1D_bDpT10_ENKUlT_T0_E_clISt17integral_constantIbLb1EES1P_IbLb0EEEEDaS1L_S1M_EUlS1L_E_NS1_11comp_targetILNS1_3genE0ELNS1_11target_archE4294967295ELNS1_3gpuE0ELNS1_3repE0EEENS1_30default_config_static_selectorELNS0_4arch9wavefront6targetE0EEEvSZ_.private_seg_size, 0
	.set _ZN7rocprim17ROCPRIM_400000_NS6detail17trampoline_kernelINS0_13select_configILj256ELj13ELNS0_17block_load_methodE3ELS4_3ELS4_3ELNS0_20block_scan_algorithmE0ELj4294967295EEENS1_25partition_config_selectorILNS1_17partition_subalgoE3EjNS0_10empty_typeEbEEZZNS1_14partition_implILS8_3ELb0ES6_jNS0_17counting_iteratorIjlEEPS9_SE_NS0_5tupleIJPjSE_EEENSF_IJSE_SE_EEES9_SG_JZNS1_25segmented_radix_sort_implINS0_14default_configELb1EPK6__halfPSL_PKlPlN2at6native12_GLOBAL__N_18offset_tEEE10hipError_tPvRmT1_PNSt15iterator_traitsISZ_E10value_typeET2_T3_PNS10_IS15_E10value_typeET4_jRbjT5_S1B_jjP12ihipStream_tbEUljE_EEESW_SX_SY_S15_S19_S1B_T6_T7_T9_mT8_S1D_bDpT10_ENKUlT_T0_E_clISt17integral_constantIbLb1EES1P_IbLb0EEEEDaS1L_S1M_EUlS1L_E_NS1_11comp_targetILNS1_3genE0ELNS1_11target_archE4294967295ELNS1_3gpuE0ELNS1_3repE0EEENS1_30default_config_static_selectorELNS0_4arch9wavefront6targetE0EEEvSZ_.uses_vcc, 0
	.set _ZN7rocprim17ROCPRIM_400000_NS6detail17trampoline_kernelINS0_13select_configILj256ELj13ELNS0_17block_load_methodE3ELS4_3ELS4_3ELNS0_20block_scan_algorithmE0ELj4294967295EEENS1_25partition_config_selectorILNS1_17partition_subalgoE3EjNS0_10empty_typeEbEEZZNS1_14partition_implILS8_3ELb0ES6_jNS0_17counting_iteratorIjlEEPS9_SE_NS0_5tupleIJPjSE_EEENSF_IJSE_SE_EEES9_SG_JZNS1_25segmented_radix_sort_implINS0_14default_configELb1EPK6__halfPSL_PKlPlN2at6native12_GLOBAL__N_18offset_tEEE10hipError_tPvRmT1_PNSt15iterator_traitsISZ_E10value_typeET2_T3_PNS10_IS15_E10value_typeET4_jRbjT5_S1B_jjP12ihipStream_tbEUljE_EEESW_SX_SY_S15_S19_S1B_T6_T7_T9_mT8_S1D_bDpT10_ENKUlT_T0_E_clISt17integral_constantIbLb1EES1P_IbLb0EEEEDaS1L_S1M_EUlS1L_E_NS1_11comp_targetILNS1_3genE0ELNS1_11target_archE4294967295ELNS1_3gpuE0ELNS1_3repE0EEENS1_30default_config_static_selectorELNS0_4arch9wavefront6targetE0EEEvSZ_.uses_flat_scratch, 0
	.set _ZN7rocprim17ROCPRIM_400000_NS6detail17trampoline_kernelINS0_13select_configILj256ELj13ELNS0_17block_load_methodE3ELS4_3ELS4_3ELNS0_20block_scan_algorithmE0ELj4294967295EEENS1_25partition_config_selectorILNS1_17partition_subalgoE3EjNS0_10empty_typeEbEEZZNS1_14partition_implILS8_3ELb0ES6_jNS0_17counting_iteratorIjlEEPS9_SE_NS0_5tupleIJPjSE_EEENSF_IJSE_SE_EEES9_SG_JZNS1_25segmented_radix_sort_implINS0_14default_configELb1EPK6__halfPSL_PKlPlN2at6native12_GLOBAL__N_18offset_tEEE10hipError_tPvRmT1_PNSt15iterator_traitsISZ_E10value_typeET2_T3_PNS10_IS15_E10value_typeET4_jRbjT5_S1B_jjP12ihipStream_tbEUljE_EEESW_SX_SY_S15_S19_S1B_T6_T7_T9_mT8_S1D_bDpT10_ENKUlT_T0_E_clISt17integral_constantIbLb1EES1P_IbLb0EEEEDaS1L_S1M_EUlS1L_E_NS1_11comp_targetILNS1_3genE0ELNS1_11target_archE4294967295ELNS1_3gpuE0ELNS1_3repE0EEENS1_30default_config_static_selectorELNS0_4arch9wavefront6targetE0EEEvSZ_.has_dyn_sized_stack, 0
	.set _ZN7rocprim17ROCPRIM_400000_NS6detail17trampoline_kernelINS0_13select_configILj256ELj13ELNS0_17block_load_methodE3ELS4_3ELS4_3ELNS0_20block_scan_algorithmE0ELj4294967295EEENS1_25partition_config_selectorILNS1_17partition_subalgoE3EjNS0_10empty_typeEbEEZZNS1_14partition_implILS8_3ELb0ES6_jNS0_17counting_iteratorIjlEEPS9_SE_NS0_5tupleIJPjSE_EEENSF_IJSE_SE_EEES9_SG_JZNS1_25segmented_radix_sort_implINS0_14default_configELb1EPK6__halfPSL_PKlPlN2at6native12_GLOBAL__N_18offset_tEEE10hipError_tPvRmT1_PNSt15iterator_traitsISZ_E10value_typeET2_T3_PNS10_IS15_E10value_typeET4_jRbjT5_S1B_jjP12ihipStream_tbEUljE_EEESW_SX_SY_S15_S19_S1B_T6_T7_T9_mT8_S1D_bDpT10_ENKUlT_T0_E_clISt17integral_constantIbLb1EES1P_IbLb0EEEEDaS1L_S1M_EUlS1L_E_NS1_11comp_targetILNS1_3genE0ELNS1_11target_archE4294967295ELNS1_3gpuE0ELNS1_3repE0EEENS1_30default_config_static_selectorELNS0_4arch9wavefront6targetE0EEEvSZ_.has_recursion, 0
	.set _ZN7rocprim17ROCPRIM_400000_NS6detail17trampoline_kernelINS0_13select_configILj256ELj13ELNS0_17block_load_methodE3ELS4_3ELS4_3ELNS0_20block_scan_algorithmE0ELj4294967295EEENS1_25partition_config_selectorILNS1_17partition_subalgoE3EjNS0_10empty_typeEbEEZZNS1_14partition_implILS8_3ELb0ES6_jNS0_17counting_iteratorIjlEEPS9_SE_NS0_5tupleIJPjSE_EEENSF_IJSE_SE_EEES9_SG_JZNS1_25segmented_radix_sort_implINS0_14default_configELb1EPK6__halfPSL_PKlPlN2at6native12_GLOBAL__N_18offset_tEEE10hipError_tPvRmT1_PNSt15iterator_traitsISZ_E10value_typeET2_T3_PNS10_IS15_E10value_typeET4_jRbjT5_S1B_jjP12ihipStream_tbEUljE_EEESW_SX_SY_S15_S19_S1B_T6_T7_T9_mT8_S1D_bDpT10_ENKUlT_T0_E_clISt17integral_constantIbLb1EES1P_IbLb0EEEEDaS1L_S1M_EUlS1L_E_NS1_11comp_targetILNS1_3genE0ELNS1_11target_archE4294967295ELNS1_3gpuE0ELNS1_3repE0EEENS1_30default_config_static_selectorELNS0_4arch9wavefront6targetE0EEEvSZ_.has_indirect_call, 0
	.section	.AMDGPU.csdata,"",@progbits
; Kernel info:
; codeLenInByte = 4
; TotalNumSgprs: 0
; NumVgprs: 0
; ScratchSize: 0
; MemoryBound: 0
; FloatMode: 240
; IeeeMode: 1
; LDSByteSize: 0 bytes/workgroup (compile time only)
; SGPRBlocks: 0
; VGPRBlocks: 0
; NumSGPRsForWavesPerEU: 1
; NumVGPRsForWavesPerEU: 1
; NamedBarCnt: 0
; Occupancy: 16
; WaveLimiterHint : 0
; COMPUTE_PGM_RSRC2:SCRATCH_EN: 0
; COMPUTE_PGM_RSRC2:USER_SGPR: 2
; COMPUTE_PGM_RSRC2:TRAP_HANDLER: 0
; COMPUTE_PGM_RSRC2:TGID_X_EN: 1
; COMPUTE_PGM_RSRC2:TGID_Y_EN: 0
; COMPUTE_PGM_RSRC2:TGID_Z_EN: 0
; COMPUTE_PGM_RSRC2:TIDIG_COMP_CNT: 0
	.section	.text._ZN7rocprim17ROCPRIM_400000_NS6detail17trampoline_kernelINS0_13select_configILj256ELj13ELNS0_17block_load_methodE3ELS4_3ELS4_3ELNS0_20block_scan_algorithmE0ELj4294967295EEENS1_25partition_config_selectorILNS1_17partition_subalgoE3EjNS0_10empty_typeEbEEZZNS1_14partition_implILS8_3ELb0ES6_jNS0_17counting_iteratorIjlEEPS9_SE_NS0_5tupleIJPjSE_EEENSF_IJSE_SE_EEES9_SG_JZNS1_25segmented_radix_sort_implINS0_14default_configELb1EPK6__halfPSL_PKlPlN2at6native12_GLOBAL__N_18offset_tEEE10hipError_tPvRmT1_PNSt15iterator_traitsISZ_E10value_typeET2_T3_PNS10_IS15_E10value_typeET4_jRbjT5_S1B_jjP12ihipStream_tbEUljE_EEESW_SX_SY_S15_S19_S1B_T6_T7_T9_mT8_S1D_bDpT10_ENKUlT_T0_E_clISt17integral_constantIbLb1EES1P_IbLb0EEEEDaS1L_S1M_EUlS1L_E_NS1_11comp_targetILNS1_3genE5ELNS1_11target_archE942ELNS1_3gpuE9ELNS1_3repE0EEENS1_30default_config_static_selectorELNS0_4arch9wavefront6targetE0EEEvSZ_,"axG",@progbits,_ZN7rocprim17ROCPRIM_400000_NS6detail17trampoline_kernelINS0_13select_configILj256ELj13ELNS0_17block_load_methodE3ELS4_3ELS4_3ELNS0_20block_scan_algorithmE0ELj4294967295EEENS1_25partition_config_selectorILNS1_17partition_subalgoE3EjNS0_10empty_typeEbEEZZNS1_14partition_implILS8_3ELb0ES6_jNS0_17counting_iteratorIjlEEPS9_SE_NS0_5tupleIJPjSE_EEENSF_IJSE_SE_EEES9_SG_JZNS1_25segmented_radix_sort_implINS0_14default_configELb1EPK6__halfPSL_PKlPlN2at6native12_GLOBAL__N_18offset_tEEE10hipError_tPvRmT1_PNSt15iterator_traitsISZ_E10value_typeET2_T3_PNS10_IS15_E10value_typeET4_jRbjT5_S1B_jjP12ihipStream_tbEUljE_EEESW_SX_SY_S15_S19_S1B_T6_T7_T9_mT8_S1D_bDpT10_ENKUlT_T0_E_clISt17integral_constantIbLb1EES1P_IbLb0EEEEDaS1L_S1M_EUlS1L_E_NS1_11comp_targetILNS1_3genE5ELNS1_11target_archE942ELNS1_3gpuE9ELNS1_3repE0EEENS1_30default_config_static_selectorELNS0_4arch9wavefront6targetE0EEEvSZ_,comdat
	.globl	_ZN7rocprim17ROCPRIM_400000_NS6detail17trampoline_kernelINS0_13select_configILj256ELj13ELNS0_17block_load_methodE3ELS4_3ELS4_3ELNS0_20block_scan_algorithmE0ELj4294967295EEENS1_25partition_config_selectorILNS1_17partition_subalgoE3EjNS0_10empty_typeEbEEZZNS1_14partition_implILS8_3ELb0ES6_jNS0_17counting_iteratorIjlEEPS9_SE_NS0_5tupleIJPjSE_EEENSF_IJSE_SE_EEES9_SG_JZNS1_25segmented_radix_sort_implINS0_14default_configELb1EPK6__halfPSL_PKlPlN2at6native12_GLOBAL__N_18offset_tEEE10hipError_tPvRmT1_PNSt15iterator_traitsISZ_E10value_typeET2_T3_PNS10_IS15_E10value_typeET4_jRbjT5_S1B_jjP12ihipStream_tbEUljE_EEESW_SX_SY_S15_S19_S1B_T6_T7_T9_mT8_S1D_bDpT10_ENKUlT_T0_E_clISt17integral_constantIbLb1EES1P_IbLb0EEEEDaS1L_S1M_EUlS1L_E_NS1_11comp_targetILNS1_3genE5ELNS1_11target_archE942ELNS1_3gpuE9ELNS1_3repE0EEENS1_30default_config_static_selectorELNS0_4arch9wavefront6targetE0EEEvSZ_ ; -- Begin function _ZN7rocprim17ROCPRIM_400000_NS6detail17trampoline_kernelINS0_13select_configILj256ELj13ELNS0_17block_load_methodE3ELS4_3ELS4_3ELNS0_20block_scan_algorithmE0ELj4294967295EEENS1_25partition_config_selectorILNS1_17partition_subalgoE3EjNS0_10empty_typeEbEEZZNS1_14partition_implILS8_3ELb0ES6_jNS0_17counting_iteratorIjlEEPS9_SE_NS0_5tupleIJPjSE_EEENSF_IJSE_SE_EEES9_SG_JZNS1_25segmented_radix_sort_implINS0_14default_configELb1EPK6__halfPSL_PKlPlN2at6native12_GLOBAL__N_18offset_tEEE10hipError_tPvRmT1_PNSt15iterator_traitsISZ_E10value_typeET2_T3_PNS10_IS15_E10value_typeET4_jRbjT5_S1B_jjP12ihipStream_tbEUljE_EEESW_SX_SY_S15_S19_S1B_T6_T7_T9_mT8_S1D_bDpT10_ENKUlT_T0_E_clISt17integral_constantIbLb1EES1P_IbLb0EEEEDaS1L_S1M_EUlS1L_E_NS1_11comp_targetILNS1_3genE5ELNS1_11target_archE942ELNS1_3gpuE9ELNS1_3repE0EEENS1_30default_config_static_selectorELNS0_4arch9wavefront6targetE0EEEvSZ_
	.p2align	8
	.type	_ZN7rocprim17ROCPRIM_400000_NS6detail17trampoline_kernelINS0_13select_configILj256ELj13ELNS0_17block_load_methodE3ELS4_3ELS4_3ELNS0_20block_scan_algorithmE0ELj4294967295EEENS1_25partition_config_selectorILNS1_17partition_subalgoE3EjNS0_10empty_typeEbEEZZNS1_14partition_implILS8_3ELb0ES6_jNS0_17counting_iteratorIjlEEPS9_SE_NS0_5tupleIJPjSE_EEENSF_IJSE_SE_EEES9_SG_JZNS1_25segmented_radix_sort_implINS0_14default_configELb1EPK6__halfPSL_PKlPlN2at6native12_GLOBAL__N_18offset_tEEE10hipError_tPvRmT1_PNSt15iterator_traitsISZ_E10value_typeET2_T3_PNS10_IS15_E10value_typeET4_jRbjT5_S1B_jjP12ihipStream_tbEUljE_EEESW_SX_SY_S15_S19_S1B_T6_T7_T9_mT8_S1D_bDpT10_ENKUlT_T0_E_clISt17integral_constantIbLb1EES1P_IbLb0EEEEDaS1L_S1M_EUlS1L_E_NS1_11comp_targetILNS1_3genE5ELNS1_11target_archE942ELNS1_3gpuE9ELNS1_3repE0EEENS1_30default_config_static_selectorELNS0_4arch9wavefront6targetE0EEEvSZ_,@function
_ZN7rocprim17ROCPRIM_400000_NS6detail17trampoline_kernelINS0_13select_configILj256ELj13ELNS0_17block_load_methodE3ELS4_3ELS4_3ELNS0_20block_scan_algorithmE0ELj4294967295EEENS1_25partition_config_selectorILNS1_17partition_subalgoE3EjNS0_10empty_typeEbEEZZNS1_14partition_implILS8_3ELb0ES6_jNS0_17counting_iteratorIjlEEPS9_SE_NS0_5tupleIJPjSE_EEENSF_IJSE_SE_EEES9_SG_JZNS1_25segmented_radix_sort_implINS0_14default_configELb1EPK6__halfPSL_PKlPlN2at6native12_GLOBAL__N_18offset_tEEE10hipError_tPvRmT1_PNSt15iterator_traitsISZ_E10value_typeET2_T3_PNS10_IS15_E10value_typeET4_jRbjT5_S1B_jjP12ihipStream_tbEUljE_EEESW_SX_SY_S15_S19_S1B_T6_T7_T9_mT8_S1D_bDpT10_ENKUlT_T0_E_clISt17integral_constantIbLb1EES1P_IbLb0EEEEDaS1L_S1M_EUlS1L_E_NS1_11comp_targetILNS1_3genE5ELNS1_11target_archE942ELNS1_3gpuE9ELNS1_3repE0EEENS1_30default_config_static_selectorELNS0_4arch9wavefront6targetE0EEEvSZ_: ; @_ZN7rocprim17ROCPRIM_400000_NS6detail17trampoline_kernelINS0_13select_configILj256ELj13ELNS0_17block_load_methodE3ELS4_3ELS4_3ELNS0_20block_scan_algorithmE0ELj4294967295EEENS1_25partition_config_selectorILNS1_17partition_subalgoE3EjNS0_10empty_typeEbEEZZNS1_14partition_implILS8_3ELb0ES6_jNS0_17counting_iteratorIjlEEPS9_SE_NS0_5tupleIJPjSE_EEENSF_IJSE_SE_EEES9_SG_JZNS1_25segmented_radix_sort_implINS0_14default_configELb1EPK6__halfPSL_PKlPlN2at6native12_GLOBAL__N_18offset_tEEE10hipError_tPvRmT1_PNSt15iterator_traitsISZ_E10value_typeET2_T3_PNS10_IS15_E10value_typeET4_jRbjT5_S1B_jjP12ihipStream_tbEUljE_EEESW_SX_SY_S15_S19_S1B_T6_T7_T9_mT8_S1D_bDpT10_ENKUlT_T0_E_clISt17integral_constantIbLb1EES1P_IbLb0EEEEDaS1L_S1M_EUlS1L_E_NS1_11comp_targetILNS1_3genE5ELNS1_11target_archE942ELNS1_3gpuE9ELNS1_3repE0EEENS1_30default_config_static_selectorELNS0_4arch9wavefront6targetE0EEEvSZ_
; %bb.0:
	.section	.rodata,"a",@progbits
	.p2align	6, 0x0
	.amdhsa_kernel _ZN7rocprim17ROCPRIM_400000_NS6detail17trampoline_kernelINS0_13select_configILj256ELj13ELNS0_17block_load_methodE3ELS4_3ELS4_3ELNS0_20block_scan_algorithmE0ELj4294967295EEENS1_25partition_config_selectorILNS1_17partition_subalgoE3EjNS0_10empty_typeEbEEZZNS1_14partition_implILS8_3ELb0ES6_jNS0_17counting_iteratorIjlEEPS9_SE_NS0_5tupleIJPjSE_EEENSF_IJSE_SE_EEES9_SG_JZNS1_25segmented_radix_sort_implINS0_14default_configELb1EPK6__halfPSL_PKlPlN2at6native12_GLOBAL__N_18offset_tEEE10hipError_tPvRmT1_PNSt15iterator_traitsISZ_E10value_typeET2_T3_PNS10_IS15_E10value_typeET4_jRbjT5_S1B_jjP12ihipStream_tbEUljE_EEESW_SX_SY_S15_S19_S1B_T6_T7_T9_mT8_S1D_bDpT10_ENKUlT_T0_E_clISt17integral_constantIbLb1EES1P_IbLb0EEEEDaS1L_S1M_EUlS1L_E_NS1_11comp_targetILNS1_3genE5ELNS1_11target_archE942ELNS1_3gpuE9ELNS1_3repE0EEENS1_30default_config_static_selectorELNS0_4arch9wavefront6targetE0EEEvSZ_
		.amdhsa_group_segment_fixed_size 0
		.amdhsa_private_segment_fixed_size 0
		.amdhsa_kernarg_size 144
		.amdhsa_user_sgpr_count 2
		.amdhsa_user_sgpr_dispatch_ptr 0
		.amdhsa_user_sgpr_queue_ptr 0
		.amdhsa_user_sgpr_kernarg_segment_ptr 1
		.amdhsa_user_sgpr_dispatch_id 0
		.amdhsa_user_sgpr_kernarg_preload_length 0
		.amdhsa_user_sgpr_kernarg_preload_offset 0
		.amdhsa_user_sgpr_private_segment_size 0
		.amdhsa_wavefront_size32 1
		.amdhsa_uses_dynamic_stack 0
		.amdhsa_enable_private_segment 0
		.amdhsa_system_sgpr_workgroup_id_x 1
		.amdhsa_system_sgpr_workgroup_id_y 0
		.amdhsa_system_sgpr_workgroup_id_z 0
		.amdhsa_system_sgpr_workgroup_info 0
		.amdhsa_system_vgpr_workitem_id 0
		.amdhsa_next_free_vgpr 1
		.amdhsa_next_free_sgpr 1
		.amdhsa_named_barrier_count 0
		.amdhsa_reserve_vcc 0
		.amdhsa_float_round_mode_32 0
		.amdhsa_float_round_mode_16_64 0
		.amdhsa_float_denorm_mode_32 3
		.amdhsa_float_denorm_mode_16_64 3
		.amdhsa_fp16_overflow 0
		.amdhsa_memory_ordered 1
		.amdhsa_forward_progress 1
		.amdhsa_inst_pref_size 0
		.amdhsa_round_robin_scheduling 0
		.amdhsa_exception_fp_ieee_invalid_op 0
		.amdhsa_exception_fp_denorm_src 0
		.amdhsa_exception_fp_ieee_div_zero 0
		.amdhsa_exception_fp_ieee_overflow 0
		.amdhsa_exception_fp_ieee_underflow 0
		.amdhsa_exception_fp_ieee_inexact 0
		.amdhsa_exception_int_div_zero 0
	.end_amdhsa_kernel
	.section	.text._ZN7rocprim17ROCPRIM_400000_NS6detail17trampoline_kernelINS0_13select_configILj256ELj13ELNS0_17block_load_methodE3ELS4_3ELS4_3ELNS0_20block_scan_algorithmE0ELj4294967295EEENS1_25partition_config_selectorILNS1_17partition_subalgoE3EjNS0_10empty_typeEbEEZZNS1_14partition_implILS8_3ELb0ES6_jNS0_17counting_iteratorIjlEEPS9_SE_NS0_5tupleIJPjSE_EEENSF_IJSE_SE_EEES9_SG_JZNS1_25segmented_radix_sort_implINS0_14default_configELb1EPK6__halfPSL_PKlPlN2at6native12_GLOBAL__N_18offset_tEEE10hipError_tPvRmT1_PNSt15iterator_traitsISZ_E10value_typeET2_T3_PNS10_IS15_E10value_typeET4_jRbjT5_S1B_jjP12ihipStream_tbEUljE_EEESW_SX_SY_S15_S19_S1B_T6_T7_T9_mT8_S1D_bDpT10_ENKUlT_T0_E_clISt17integral_constantIbLb1EES1P_IbLb0EEEEDaS1L_S1M_EUlS1L_E_NS1_11comp_targetILNS1_3genE5ELNS1_11target_archE942ELNS1_3gpuE9ELNS1_3repE0EEENS1_30default_config_static_selectorELNS0_4arch9wavefront6targetE0EEEvSZ_,"axG",@progbits,_ZN7rocprim17ROCPRIM_400000_NS6detail17trampoline_kernelINS0_13select_configILj256ELj13ELNS0_17block_load_methodE3ELS4_3ELS4_3ELNS0_20block_scan_algorithmE0ELj4294967295EEENS1_25partition_config_selectorILNS1_17partition_subalgoE3EjNS0_10empty_typeEbEEZZNS1_14partition_implILS8_3ELb0ES6_jNS0_17counting_iteratorIjlEEPS9_SE_NS0_5tupleIJPjSE_EEENSF_IJSE_SE_EEES9_SG_JZNS1_25segmented_radix_sort_implINS0_14default_configELb1EPK6__halfPSL_PKlPlN2at6native12_GLOBAL__N_18offset_tEEE10hipError_tPvRmT1_PNSt15iterator_traitsISZ_E10value_typeET2_T3_PNS10_IS15_E10value_typeET4_jRbjT5_S1B_jjP12ihipStream_tbEUljE_EEESW_SX_SY_S15_S19_S1B_T6_T7_T9_mT8_S1D_bDpT10_ENKUlT_T0_E_clISt17integral_constantIbLb1EES1P_IbLb0EEEEDaS1L_S1M_EUlS1L_E_NS1_11comp_targetILNS1_3genE5ELNS1_11target_archE942ELNS1_3gpuE9ELNS1_3repE0EEENS1_30default_config_static_selectorELNS0_4arch9wavefront6targetE0EEEvSZ_,comdat
.Lfunc_end1714:
	.size	_ZN7rocprim17ROCPRIM_400000_NS6detail17trampoline_kernelINS0_13select_configILj256ELj13ELNS0_17block_load_methodE3ELS4_3ELS4_3ELNS0_20block_scan_algorithmE0ELj4294967295EEENS1_25partition_config_selectorILNS1_17partition_subalgoE3EjNS0_10empty_typeEbEEZZNS1_14partition_implILS8_3ELb0ES6_jNS0_17counting_iteratorIjlEEPS9_SE_NS0_5tupleIJPjSE_EEENSF_IJSE_SE_EEES9_SG_JZNS1_25segmented_radix_sort_implINS0_14default_configELb1EPK6__halfPSL_PKlPlN2at6native12_GLOBAL__N_18offset_tEEE10hipError_tPvRmT1_PNSt15iterator_traitsISZ_E10value_typeET2_T3_PNS10_IS15_E10value_typeET4_jRbjT5_S1B_jjP12ihipStream_tbEUljE_EEESW_SX_SY_S15_S19_S1B_T6_T7_T9_mT8_S1D_bDpT10_ENKUlT_T0_E_clISt17integral_constantIbLb1EES1P_IbLb0EEEEDaS1L_S1M_EUlS1L_E_NS1_11comp_targetILNS1_3genE5ELNS1_11target_archE942ELNS1_3gpuE9ELNS1_3repE0EEENS1_30default_config_static_selectorELNS0_4arch9wavefront6targetE0EEEvSZ_, .Lfunc_end1714-_ZN7rocprim17ROCPRIM_400000_NS6detail17trampoline_kernelINS0_13select_configILj256ELj13ELNS0_17block_load_methodE3ELS4_3ELS4_3ELNS0_20block_scan_algorithmE0ELj4294967295EEENS1_25partition_config_selectorILNS1_17partition_subalgoE3EjNS0_10empty_typeEbEEZZNS1_14partition_implILS8_3ELb0ES6_jNS0_17counting_iteratorIjlEEPS9_SE_NS0_5tupleIJPjSE_EEENSF_IJSE_SE_EEES9_SG_JZNS1_25segmented_radix_sort_implINS0_14default_configELb1EPK6__halfPSL_PKlPlN2at6native12_GLOBAL__N_18offset_tEEE10hipError_tPvRmT1_PNSt15iterator_traitsISZ_E10value_typeET2_T3_PNS10_IS15_E10value_typeET4_jRbjT5_S1B_jjP12ihipStream_tbEUljE_EEESW_SX_SY_S15_S19_S1B_T6_T7_T9_mT8_S1D_bDpT10_ENKUlT_T0_E_clISt17integral_constantIbLb1EES1P_IbLb0EEEEDaS1L_S1M_EUlS1L_E_NS1_11comp_targetILNS1_3genE5ELNS1_11target_archE942ELNS1_3gpuE9ELNS1_3repE0EEENS1_30default_config_static_selectorELNS0_4arch9wavefront6targetE0EEEvSZ_
                                        ; -- End function
	.set _ZN7rocprim17ROCPRIM_400000_NS6detail17trampoline_kernelINS0_13select_configILj256ELj13ELNS0_17block_load_methodE3ELS4_3ELS4_3ELNS0_20block_scan_algorithmE0ELj4294967295EEENS1_25partition_config_selectorILNS1_17partition_subalgoE3EjNS0_10empty_typeEbEEZZNS1_14partition_implILS8_3ELb0ES6_jNS0_17counting_iteratorIjlEEPS9_SE_NS0_5tupleIJPjSE_EEENSF_IJSE_SE_EEES9_SG_JZNS1_25segmented_radix_sort_implINS0_14default_configELb1EPK6__halfPSL_PKlPlN2at6native12_GLOBAL__N_18offset_tEEE10hipError_tPvRmT1_PNSt15iterator_traitsISZ_E10value_typeET2_T3_PNS10_IS15_E10value_typeET4_jRbjT5_S1B_jjP12ihipStream_tbEUljE_EEESW_SX_SY_S15_S19_S1B_T6_T7_T9_mT8_S1D_bDpT10_ENKUlT_T0_E_clISt17integral_constantIbLb1EES1P_IbLb0EEEEDaS1L_S1M_EUlS1L_E_NS1_11comp_targetILNS1_3genE5ELNS1_11target_archE942ELNS1_3gpuE9ELNS1_3repE0EEENS1_30default_config_static_selectorELNS0_4arch9wavefront6targetE0EEEvSZ_.num_vgpr, 0
	.set _ZN7rocprim17ROCPRIM_400000_NS6detail17trampoline_kernelINS0_13select_configILj256ELj13ELNS0_17block_load_methodE3ELS4_3ELS4_3ELNS0_20block_scan_algorithmE0ELj4294967295EEENS1_25partition_config_selectorILNS1_17partition_subalgoE3EjNS0_10empty_typeEbEEZZNS1_14partition_implILS8_3ELb0ES6_jNS0_17counting_iteratorIjlEEPS9_SE_NS0_5tupleIJPjSE_EEENSF_IJSE_SE_EEES9_SG_JZNS1_25segmented_radix_sort_implINS0_14default_configELb1EPK6__halfPSL_PKlPlN2at6native12_GLOBAL__N_18offset_tEEE10hipError_tPvRmT1_PNSt15iterator_traitsISZ_E10value_typeET2_T3_PNS10_IS15_E10value_typeET4_jRbjT5_S1B_jjP12ihipStream_tbEUljE_EEESW_SX_SY_S15_S19_S1B_T6_T7_T9_mT8_S1D_bDpT10_ENKUlT_T0_E_clISt17integral_constantIbLb1EES1P_IbLb0EEEEDaS1L_S1M_EUlS1L_E_NS1_11comp_targetILNS1_3genE5ELNS1_11target_archE942ELNS1_3gpuE9ELNS1_3repE0EEENS1_30default_config_static_selectorELNS0_4arch9wavefront6targetE0EEEvSZ_.num_agpr, 0
	.set _ZN7rocprim17ROCPRIM_400000_NS6detail17trampoline_kernelINS0_13select_configILj256ELj13ELNS0_17block_load_methodE3ELS4_3ELS4_3ELNS0_20block_scan_algorithmE0ELj4294967295EEENS1_25partition_config_selectorILNS1_17partition_subalgoE3EjNS0_10empty_typeEbEEZZNS1_14partition_implILS8_3ELb0ES6_jNS0_17counting_iteratorIjlEEPS9_SE_NS0_5tupleIJPjSE_EEENSF_IJSE_SE_EEES9_SG_JZNS1_25segmented_radix_sort_implINS0_14default_configELb1EPK6__halfPSL_PKlPlN2at6native12_GLOBAL__N_18offset_tEEE10hipError_tPvRmT1_PNSt15iterator_traitsISZ_E10value_typeET2_T3_PNS10_IS15_E10value_typeET4_jRbjT5_S1B_jjP12ihipStream_tbEUljE_EEESW_SX_SY_S15_S19_S1B_T6_T7_T9_mT8_S1D_bDpT10_ENKUlT_T0_E_clISt17integral_constantIbLb1EES1P_IbLb0EEEEDaS1L_S1M_EUlS1L_E_NS1_11comp_targetILNS1_3genE5ELNS1_11target_archE942ELNS1_3gpuE9ELNS1_3repE0EEENS1_30default_config_static_selectorELNS0_4arch9wavefront6targetE0EEEvSZ_.numbered_sgpr, 0
	.set _ZN7rocprim17ROCPRIM_400000_NS6detail17trampoline_kernelINS0_13select_configILj256ELj13ELNS0_17block_load_methodE3ELS4_3ELS4_3ELNS0_20block_scan_algorithmE0ELj4294967295EEENS1_25partition_config_selectorILNS1_17partition_subalgoE3EjNS0_10empty_typeEbEEZZNS1_14partition_implILS8_3ELb0ES6_jNS0_17counting_iteratorIjlEEPS9_SE_NS0_5tupleIJPjSE_EEENSF_IJSE_SE_EEES9_SG_JZNS1_25segmented_radix_sort_implINS0_14default_configELb1EPK6__halfPSL_PKlPlN2at6native12_GLOBAL__N_18offset_tEEE10hipError_tPvRmT1_PNSt15iterator_traitsISZ_E10value_typeET2_T3_PNS10_IS15_E10value_typeET4_jRbjT5_S1B_jjP12ihipStream_tbEUljE_EEESW_SX_SY_S15_S19_S1B_T6_T7_T9_mT8_S1D_bDpT10_ENKUlT_T0_E_clISt17integral_constantIbLb1EES1P_IbLb0EEEEDaS1L_S1M_EUlS1L_E_NS1_11comp_targetILNS1_3genE5ELNS1_11target_archE942ELNS1_3gpuE9ELNS1_3repE0EEENS1_30default_config_static_selectorELNS0_4arch9wavefront6targetE0EEEvSZ_.num_named_barrier, 0
	.set _ZN7rocprim17ROCPRIM_400000_NS6detail17trampoline_kernelINS0_13select_configILj256ELj13ELNS0_17block_load_methodE3ELS4_3ELS4_3ELNS0_20block_scan_algorithmE0ELj4294967295EEENS1_25partition_config_selectorILNS1_17partition_subalgoE3EjNS0_10empty_typeEbEEZZNS1_14partition_implILS8_3ELb0ES6_jNS0_17counting_iteratorIjlEEPS9_SE_NS0_5tupleIJPjSE_EEENSF_IJSE_SE_EEES9_SG_JZNS1_25segmented_radix_sort_implINS0_14default_configELb1EPK6__halfPSL_PKlPlN2at6native12_GLOBAL__N_18offset_tEEE10hipError_tPvRmT1_PNSt15iterator_traitsISZ_E10value_typeET2_T3_PNS10_IS15_E10value_typeET4_jRbjT5_S1B_jjP12ihipStream_tbEUljE_EEESW_SX_SY_S15_S19_S1B_T6_T7_T9_mT8_S1D_bDpT10_ENKUlT_T0_E_clISt17integral_constantIbLb1EES1P_IbLb0EEEEDaS1L_S1M_EUlS1L_E_NS1_11comp_targetILNS1_3genE5ELNS1_11target_archE942ELNS1_3gpuE9ELNS1_3repE0EEENS1_30default_config_static_selectorELNS0_4arch9wavefront6targetE0EEEvSZ_.private_seg_size, 0
	.set _ZN7rocprim17ROCPRIM_400000_NS6detail17trampoline_kernelINS0_13select_configILj256ELj13ELNS0_17block_load_methodE3ELS4_3ELS4_3ELNS0_20block_scan_algorithmE0ELj4294967295EEENS1_25partition_config_selectorILNS1_17partition_subalgoE3EjNS0_10empty_typeEbEEZZNS1_14partition_implILS8_3ELb0ES6_jNS0_17counting_iteratorIjlEEPS9_SE_NS0_5tupleIJPjSE_EEENSF_IJSE_SE_EEES9_SG_JZNS1_25segmented_radix_sort_implINS0_14default_configELb1EPK6__halfPSL_PKlPlN2at6native12_GLOBAL__N_18offset_tEEE10hipError_tPvRmT1_PNSt15iterator_traitsISZ_E10value_typeET2_T3_PNS10_IS15_E10value_typeET4_jRbjT5_S1B_jjP12ihipStream_tbEUljE_EEESW_SX_SY_S15_S19_S1B_T6_T7_T9_mT8_S1D_bDpT10_ENKUlT_T0_E_clISt17integral_constantIbLb1EES1P_IbLb0EEEEDaS1L_S1M_EUlS1L_E_NS1_11comp_targetILNS1_3genE5ELNS1_11target_archE942ELNS1_3gpuE9ELNS1_3repE0EEENS1_30default_config_static_selectorELNS0_4arch9wavefront6targetE0EEEvSZ_.uses_vcc, 0
	.set _ZN7rocprim17ROCPRIM_400000_NS6detail17trampoline_kernelINS0_13select_configILj256ELj13ELNS0_17block_load_methodE3ELS4_3ELS4_3ELNS0_20block_scan_algorithmE0ELj4294967295EEENS1_25partition_config_selectorILNS1_17partition_subalgoE3EjNS0_10empty_typeEbEEZZNS1_14partition_implILS8_3ELb0ES6_jNS0_17counting_iteratorIjlEEPS9_SE_NS0_5tupleIJPjSE_EEENSF_IJSE_SE_EEES9_SG_JZNS1_25segmented_radix_sort_implINS0_14default_configELb1EPK6__halfPSL_PKlPlN2at6native12_GLOBAL__N_18offset_tEEE10hipError_tPvRmT1_PNSt15iterator_traitsISZ_E10value_typeET2_T3_PNS10_IS15_E10value_typeET4_jRbjT5_S1B_jjP12ihipStream_tbEUljE_EEESW_SX_SY_S15_S19_S1B_T6_T7_T9_mT8_S1D_bDpT10_ENKUlT_T0_E_clISt17integral_constantIbLb1EES1P_IbLb0EEEEDaS1L_S1M_EUlS1L_E_NS1_11comp_targetILNS1_3genE5ELNS1_11target_archE942ELNS1_3gpuE9ELNS1_3repE0EEENS1_30default_config_static_selectorELNS0_4arch9wavefront6targetE0EEEvSZ_.uses_flat_scratch, 0
	.set _ZN7rocprim17ROCPRIM_400000_NS6detail17trampoline_kernelINS0_13select_configILj256ELj13ELNS0_17block_load_methodE3ELS4_3ELS4_3ELNS0_20block_scan_algorithmE0ELj4294967295EEENS1_25partition_config_selectorILNS1_17partition_subalgoE3EjNS0_10empty_typeEbEEZZNS1_14partition_implILS8_3ELb0ES6_jNS0_17counting_iteratorIjlEEPS9_SE_NS0_5tupleIJPjSE_EEENSF_IJSE_SE_EEES9_SG_JZNS1_25segmented_radix_sort_implINS0_14default_configELb1EPK6__halfPSL_PKlPlN2at6native12_GLOBAL__N_18offset_tEEE10hipError_tPvRmT1_PNSt15iterator_traitsISZ_E10value_typeET2_T3_PNS10_IS15_E10value_typeET4_jRbjT5_S1B_jjP12ihipStream_tbEUljE_EEESW_SX_SY_S15_S19_S1B_T6_T7_T9_mT8_S1D_bDpT10_ENKUlT_T0_E_clISt17integral_constantIbLb1EES1P_IbLb0EEEEDaS1L_S1M_EUlS1L_E_NS1_11comp_targetILNS1_3genE5ELNS1_11target_archE942ELNS1_3gpuE9ELNS1_3repE0EEENS1_30default_config_static_selectorELNS0_4arch9wavefront6targetE0EEEvSZ_.has_dyn_sized_stack, 0
	.set _ZN7rocprim17ROCPRIM_400000_NS6detail17trampoline_kernelINS0_13select_configILj256ELj13ELNS0_17block_load_methodE3ELS4_3ELS4_3ELNS0_20block_scan_algorithmE0ELj4294967295EEENS1_25partition_config_selectorILNS1_17partition_subalgoE3EjNS0_10empty_typeEbEEZZNS1_14partition_implILS8_3ELb0ES6_jNS0_17counting_iteratorIjlEEPS9_SE_NS0_5tupleIJPjSE_EEENSF_IJSE_SE_EEES9_SG_JZNS1_25segmented_radix_sort_implINS0_14default_configELb1EPK6__halfPSL_PKlPlN2at6native12_GLOBAL__N_18offset_tEEE10hipError_tPvRmT1_PNSt15iterator_traitsISZ_E10value_typeET2_T3_PNS10_IS15_E10value_typeET4_jRbjT5_S1B_jjP12ihipStream_tbEUljE_EEESW_SX_SY_S15_S19_S1B_T6_T7_T9_mT8_S1D_bDpT10_ENKUlT_T0_E_clISt17integral_constantIbLb1EES1P_IbLb0EEEEDaS1L_S1M_EUlS1L_E_NS1_11comp_targetILNS1_3genE5ELNS1_11target_archE942ELNS1_3gpuE9ELNS1_3repE0EEENS1_30default_config_static_selectorELNS0_4arch9wavefront6targetE0EEEvSZ_.has_recursion, 0
	.set _ZN7rocprim17ROCPRIM_400000_NS6detail17trampoline_kernelINS0_13select_configILj256ELj13ELNS0_17block_load_methodE3ELS4_3ELS4_3ELNS0_20block_scan_algorithmE0ELj4294967295EEENS1_25partition_config_selectorILNS1_17partition_subalgoE3EjNS0_10empty_typeEbEEZZNS1_14partition_implILS8_3ELb0ES6_jNS0_17counting_iteratorIjlEEPS9_SE_NS0_5tupleIJPjSE_EEENSF_IJSE_SE_EEES9_SG_JZNS1_25segmented_radix_sort_implINS0_14default_configELb1EPK6__halfPSL_PKlPlN2at6native12_GLOBAL__N_18offset_tEEE10hipError_tPvRmT1_PNSt15iterator_traitsISZ_E10value_typeET2_T3_PNS10_IS15_E10value_typeET4_jRbjT5_S1B_jjP12ihipStream_tbEUljE_EEESW_SX_SY_S15_S19_S1B_T6_T7_T9_mT8_S1D_bDpT10_ENKUlT_T0_E_clISt17integral_constantIbLb1EES1P_IbLb0EEEEDaS1L_S1M_EUlS1L_E_NS1_11comp_targetILNS1_3genE5ELNS1_11target_archE942ELNS1_3gpuE9ELNS1_3repE0EEENS1_30default_config_static_selectorELNS0_4arch9wavefront6targetE0EEEvSZ_.has_indirect_call, 0
	.section	.AMDGPU.csdata,"",@progbits
; Kernel info:
; codeLenInByte = 0
; TotalNumSgprs: 0
; NumVgprs: 0
; ScratchSize: 0
; MemoryBound: 0
; FloatMode: 240
; IeeeMode: 1
; LDSByteSize: 0 bytes/workgroup (compile time only)
; SGPRBlocks: 0
; VGPRBlocks: 0
; NumSGPRsForWavesPerEU: 1
; NumVGPRsForWavesPerEU: 1
; NamedBarCnt: 0
; Occupancy: 16
; WaveLimiterHint : 0
; COMPUTE_PGM_RSRC2:SCRATCH_EN: 0
; COMPUTE_PGM_RSRC2:USER_SGPR: 2
; COMPUTE_PGM_RSRC2:TRAP_HANDLER: 0
; COMPUTE_PGM_RSRC2:TGID_X_EN: 1
; COMPUTE_PGM_RSRC2:TGID_Y_EN: 0
; COMPUTE_PGM_RSRC2:TGID_Z_EN: 0
; COMPUTE_PGM_RSRC2:TIDIG_COMP_CNT: 0
	.section	.text._ZN7rocprim17ROCPRIM_400000_NS6detail17trampoline_kernelINS0_13select_configILj256ELj13ELNS0_17block_load_methodE3ELS4_3ELS4_3ELNS0_20block_scan_algorithmE0ELj4294967295EEENS1_25partition_config_selectorILNS1_17partition_subalgoE3EjNS0_10empty_typeEbEEZZNS1_14partition_implILS8_3ELb0ES6_jNS0_17counting_iteratorIjlEEPS9_SE_NS0_5tupleIJPjSE_EEENSF_IJSE_SE_EEES9_SG_JZNS1_25segmented_radix_sort_implINS0_14default_configELb1EPK6__halfPSL_PKlPlN2at6native12_GLOBAL__N_18offset_tEEE10hipError_tPvRmT1_PNSt15iterator_traitsISZ_E10value_typeET2_T3_PNS10_IS15_E10value_typeET4_jRbjT5_S1B_jjP12ihipStream_tbEUljE_EEESW_SX_SY_S15_S19_S1B_T6_T7_T9_mT8_S1D_bDpT10_ENKUlT_T0_E_clISt17integral_constantIbLb1EES1P_IbLb0EEEEDaS1L_S1M_EUlS1L_E_NS1_11comp_targetILNS1_3genE4ELNS1_11target_archE910ELNS1_3gpuE8ELNS1_3repE0EEENS1_30default_config_static_selectorELNS0_4arch9wavefront6targetE0EEEvSZ_,"axG",@progbits,_ZN7rocprim17ROCPRIM_400000_NS6detail17trampoline_kernelINS0_13select_configILj256ELj13ELNS0_17block_load_methodE3ELS4_3ELS4_3ELNS0_20block_scan_algorithmE0ELj4294967295EEENS1_25partition_config_selectorILNS1_17partition_subalgoE3EjNS0_10empty_typeEbEEZZNS1_14partition_implILS8_3ELb0ES6_jNS0_17counting_iteratorIjlEEPS9_SE_NS0_5tupleIJPjSE_EEENSF_IJSE_SE_EEES9_SG_JZNS1_25segmented_radix_sort_implINS0_14default_configELb1EPK6__halfPSL_PKlPlN2at6native12_GLOBAL__N_18offset_tEEE10hipError_tPvRmT1_PNSt15iterator_traitsISZ_E10value_typeET2_T3_PNS10_IS15_E10value_typeET4_jRbjT5_S1B_jjP12ihipStream_tbEUljE_EEESW_SX_SY_S15_S19_S1B_T6_T7_T9_mT8_S1D_bDpT10_ENKUlT_T0_E_clISt17integral_constantIbLb1EES1P_IbLb0EEEEDaS1L_S1M_EUlS1L_E_NS1_11comp_targetILNS1_3genE4ELNS1_11target_archE910ELNS1_3gpuE8ELNS1_3repE0EEENS1_30default_config_static_selectorELNS0_4arch9wavefront6targetE0EEEvSZ_,comdat
	.globl	_ZN7rocprim17ROCPRIM_400000_NS6detail17trampoline_kernelINS0_13select_configILj256ELj13ELNS0_17block_load_methodE3ELS4_3ELS4_3ELNS0_20block_scan_algorithmE0ELj4294967295EEENS1_25partition_config_selectorILNS1_17partition_subalgoE3EjNS0_10empty_typeEbEEZZNS1_14partition_implILS8_3ELb0ES6_jNS0_17counting_iteratorIjlEEPS9_SE_NS0_5tupleIJPjSE_EEENSF_IJSE_SE_EEES9_SG_JZNS1_25segmented_radix_sort_implINS0_14default_configELb1EPK6__halfPSL_PKlPlN2at6native12_GLOBAL__N_18offset_tEEE10hipError_tPvRmT1_PNSt15iterator_traitsISZ_E10value_typeET2_T3_PNS10_IS15_E10value_typeET4_jRbjT5_S1B_jjP12ihipStream_tbEUljE_EEESW_SX_SY_S15_S19_S1B_T6_T7_T9_mT8_S1D_bDpT10_ENKUlT_T0_E_clISt17integral_constantIbLb1EES1P_IbLb0EEEEDaS1L_S1M_EUlS1L_E_NS1_11comp_targetILNS1_3genE4ELNS1_11target_archE910ELNS1_3gpuE8ELNS1_3repE0EEENS1_30default_config_static_selectorELNS0_4arch9wavefront6targetE0EEEvSZ_ ; -- Begin function _ZN7rocprim17ROCPRIM_400000_NS6detail17trampoline_kernelINS0_13select_configILj256ELj13ELNS0_17block_load_methodE3ELS4_3ELS4_3ELNS0_20block_scan_algorithmE0ELj4294967295EEENS1_25partition_config_selectorILNS1_17partition_subalgoE3EjNS0_10empty_typeEbEEZZNS1_14partition_implILS8_3ELb0ES6_jNS0_17counting_iteratorIjlEEPS9_SE_NS0_5tupleIJPjSE_EEENSF_IJSE_SE_EEES9_SG_JZNS1_25segmented_radix_sort_implINS0_14default_configELb1EPK6__halfPSL_PKlPlN2at6native12_GLOBAL__N_18offset_tEEE10hipError_tPvRmT1_PNSt15iterator_traitsISZ_E10value_typeET2_T3_PNS10_IS15_E10value_typeET4_jRbjT5_S1B_jjP12ihipStream_tbEUljE_EEESW_SX_SY_S15_S19_S1B_T6_T7_T9_mT8_S1D_bDpT10_ENKUlT_T0_E_clISt17integral_constantIbLb1EES1P_IbLb0EEEEDaS1L_S1M_EUlS1L_E_NS1_11comp_targetILNS1_3genE4ELNS1_11target_archE910ELNS1_3gpuE8ELNS1_3repE0EEENS1_30default_config_static_selectorELNS0_4arch9wavefront6targetE0EEEvSZ_
	.p2align	8
	.type	_ZN7rocprim17ROCPRIM_400000_NS6detail17trampoline_kernelINS0_13select_configILj256ELj13ELNS0_17block_load_methodE3ELS4_3ELS4_3ELNS0_20block_scan_algorithmE0ELj4294967295EEENS1_25partition_config_selectorILNS1_17partition_subalgoE3EjNS0_10empty_typeEbEEZZNS1_14partition_implILS8_3ELb0ES6_jNS0_17counting_iteratorIjlEEPS9_SE_NS0_5tupleIJPjSE_EEENSF_IJSE_SE_EEES9_SG_JZNS1_25segmented_radix_sort_implINS0_14default_configELb1EPK6__halfPSL_PKlPlN2at6native12_GLOBAL__N_18offset_tEEE10hipError_tPvRmT1_PNSt15iterator_traitsISZ_E10value_typeET2_T3_PNS10_IS15_E10value_typeET4_jRbjT5_S1B_jjP12ihipStream_tbEUljE_EEESW_SX_SY_S15_S19_S1B_T6_T7_T9_mT8_S1D_bDpT10_ENKUlT_T0_E_clISt17integral_constantIbLb1EES1P_IbLb0EEEEDaS1L_S1M_EUlS1L_E_NS1_11comp_targetILNS1_3genE4ELNS1_11target_archE910ELNS1_3gpuE8ELNS1_3repE0EEENS1_30default_config_static_selectorELNS0_4arch9wavefront6targetE0EEEvSZ_,@function
_ZN7rocprim17ROCPRIM_400000_NS6detail17trampoline_kernelINS0_13select_configILj256ELj13ELNS0_17block_load_methodE3ELS4_3ELS4_3ELNS0_20block_scan_algorithmE0ELj4294967295EEENS1_25partition_config_selectorILNS1_17partition_subalgoE3EjNS0_10empty_typeEbEEZZNS1_14partition_implILS8_3ELb0ES6_jNS0_17counting_iteratorIjlEEPS9_SE_NS0_5tupleIJPjSE_EEENSF_IJSE_SE_EEES9_SG_JZNS1_25segmented_radix_sort_implINS0_14default_configELb1EPK6__halfPSL_PKlPlN2at6native12_GLOBAL__N_18offset_tEEE10hipError_tPvRmT1_PNSt15iterator_traitsISZ_E10value_typeET2_T3_PNS10_IS15_E10value_typeET4_jRbjT5_S1B_jjP12ihipStream_tbEUljE_EEESW_SX_SY_S15_S19_S1B_T6_T7_T9_mT8_S1D_bDpT10_ENKUlT_T0_E_clISt17integral_constantIbLb1EES1P_IbLb0EEEEDaS1L_S1M_EUlS1L_E_NS1_11comp_targetILNS1_3genE4ELNS1_11target_archE910ELNS1_3gpuE8ELNS1_3repE0EEENS1_30default_config_static_selectorELNS0_4arch9wavefront6targetE0EEEvSZ_: ; @_ZN7rocprim17ROCPRIM_400000_NS6detail17trampoline_kernelINS0_13select_configILj256ELj13ELNS0_17block_load_methodE3ELS4_3ELS4_3ELNS0_20block_scan_algorithmE0ELj4294967295EEENS1_25partition_config_selectorILNS1_17partition_subalgoE3EjNS0_10empty_typeEbEEZZNS1_14partition_implILS8_3ELb0ES6_jNS0_17counting_iteratorIjlEEPS9_SE_NS0_5tupleIJPjSE_EEENSF_IJSE_SE_EEES9_SG_JZNS1_25segmented_radix_sort_implINS0_14default_configELb1EPK6__halfPSL_PKlPlN2at6native12_GLOBAL__N_18offset_tEEE10hipError_tPvRmT1_PNSt15iterator_traitsISZ_E10value_typeET2_T3_PNS10_IS15_E10value_typeET4_jRbjT5_S1B_jjP12ihipStream_tbEUljE_EEESW_SX_SY_S15_S19_S1B_T6_T7_T9_mT8_S1D_bDpT10_ENKUlT_T0_E_clISt17integral_constantIbLb1EES1P_IbLb0EEEEDaS1L_S1M_EUlS1L_E_NS1_11comp_targetILNS1_3genE4ELNS1_11target_archE910ELNS1_3gpuE8ELNS1_3repE0EEENS1_30default_config_static_selectorELNS0_4arch9wavefront6targetE0EEEvSZ_
; %bb.0:
	.section	.rodata,"a",@progbits
	.p2align	6, 0x0
	.amdhsa_kernel _ZN7rocprim17ROCPRIM_400000_NS6detail17trampoline_kernelINS0_13select_configILj256ELj13ELNS0_17block_load_methodE3ELS4_3ELS4_3ELNS0_20block_scan_algorithmE0ELj4294967295EEENS1_25partition_config_selectorILNS1_17partition_subalgoE3EjNS0_10empty_typeEbEEZZNS1_14partition_implILS8_3ELb0ES6_jNS0_17counting_iteratorIjlEEPS9_SE_NS0_5tupleIJPjSE_EEENSF_IJSE_SE_EEES9_SG_JZNS1_25segmented_radix_sort_implINS0_14default_configELb1EPK6__halfPSL_PKlPlN2at6native12_GLOBAL__N_18offset_tEEE10hipError_tPvRmT1_PNSt15iterator_traitsISZ_E10value_typeET2_T3_PNS10_IS15_E10value_typeET4_jRbjT5_S1B_jjP12ihipStream_tbEUljE_EEESW_SX_SY_S15_S19_S1B_T6_T7_T9_mT8_S1D_bDpT10_ENKUlT_T0_E_clISt17integral_constantIbLb1EES1P_IbLb0EEEEDaS1L_S1M_EUlS1L_E_NS1_11comp_targetILNS1_3genE4ELNS1_11target_archE910ELNS1_3gpuE8ELNS1_3repE0EEENS1_30default_config_static_selectorELNS0_4arch9wavefront6targetE0EEEvSZ_
		.amdhsa_group_segment_fixed_size 0
		.amdhsa_private_segment_fixed_size 0
		.amdhsa_kernarg_size 144
		.amdhsa_user_sgpr_count 2
		.amdhsa_user_sgpr_dispatch_ptr 0
		.amdhsa_user_sgpr_queue_ptr 0
		.amdhsa_user_sgpr_kernarg_segment_ptr 1
		.amdhsa_user_sgpr_dispatch_id 0
		.amdhsa_user_sgpr_kernarg_preload_length 0
		.amdhsa_user_sgpr_kernarg_preload_offset 0
		.amdhsa_user_sgpr_private_segment_size 0
		.amdhsa_wavefront_size32 1
		.amdhsa_uses_dynamic_stack 0
		.amdhsa_enable_private_segment 0
		.amdhsa_system_sgpr_workgroup_id_x 1
		.amdhsa_system_sgpr_workgroup_id_y 0
		.amdhsa_system_sgpr_workgroup_id_z 0
		.amdhsa_system_sgpr_workgroup_info 0
		.amdhsa_system_vgpr_workitem_id 0
		.amdhsa_next_free_vgpr 1
		.amdhsa_next_free_sgpr 1
		.amdhsa_named_barrier_count 0
		.amdhsa_reserve_vcc 0
		.amdhsa_float_round_mode_32 0
		.amdhsa_float_round_mode_16_64 0
		.amdhsa_float_denorm_mode_32 3
		.amdhsa_float_denorm_mode_16_64 3
		.amdhsa_fp16_overflow 0
		.amdhsa_memory_ordered 1
		.amdhsa_forward_progress 1
		.amdhsa_inst_pref_size 0
		.amdhsa_round_robin_scheduling 0
		.amdhsa_exception_fp_ieee_invalid_op 0
		.amdhsa_exception_fp_denorm_src 0
		.amdhsa_exception_fp_ieee_div_zero 0
		.amdhsa_exception_fp_ieee_overflow 0
		.amdhsa_exception_fp_ieee_underflow 0
		.amdhsa_exception_fp_ieee_inexact 0
		.amdhsa_exception_int_div_zero 0
	.end_amdhsa_kernel
	.section	.text._ZN7rocprim17ROCPRIM_400000_NS6detail17trampoline_kernelINS0_13select_configILj256ELj13ELNS0_17block_load_methodE3ELS4_3ELS4_3ELNS0_20block_scan_algorithmE0ELj4294967295EEENS1_25partition_config_selectorILNS1_17partition_subalgoE3EjNS0_10empty_typeEbEEZZNS1_14partition_implILS8_3ELb0ES6_jNS0_17counting_iteratorIjlEEPS9_SE_NS0_5tupleIJPjSE_EEENSF_IJSE_SE_EEES9_SG_JZNS1_25segmented_radix_sort_implINS0_14default_configELb1EPK6__halfPSL_PKlPlN2at6native12_GLOBAL__N_18offset_tEEE10hipError_tPvRmT1_PNSt15iterator_traitsISZ_E10value_typeET2_T3_PNS10_IS15_E10value_typeET4_jRbjT5_S1B_jjP12ihipStream_tbEUljE_EEESW_SX_SY_S15_S19_S1B_T6_T7_T9_mT8_S1D_bDpT10_ENKUlT_T0_E_clISt17integral_constantIbLb1EES1P_IbLb0EEEEDaS1L_S1M_EUlS1L_E_NS1_11comp_targetILNS1_3genE4ELNS1_11target_archE910ELNS1_3gpuE8ELNS1_3repE0EEENS1_30default_config_static_selectorELNS0_4arch9wavefront6targetE0EEEvSZ_,"axG",@progbits,_ZN7rocprim17ROCPRIM_400000_NS6detail17trampoline_kernelINS0_13select_configILj256ELj13ELNS0_17block_load_methodE3ELS4_3ELS4_3ELNS0_20block_scan_algorithmE0ELj4294967295EEENS1_25partition_config_selectorILNS1_17partition_subalgoE3EjNS0_10empty_typeEbEEZZNS1_14partition_implILS8_3ELb0ES6_jNS0_17counting_iteratorIjlEEPS9_SE_NS0_5tupleIJPjSE_EEENSF_IJSE_SE_EEES9_SG_JZNS1_25segmented_radix_sort_implINS0_14default_configELb1EPK6__halfPSL_PKlPlN2at6native12_GLOBAL__N_18offset_tEEE10hipError_tPvRmT1_PNSt15iterator_traitsISZ_E10value_typeET2_T3_PNS10_IS15_E10value_typeET4_jRbjT5_S1B_jjP12ihipStream_tbEUljE_EEESW_SX_SY_S15_S19_S1B_T6_T7_T9_mT8_S1D_bDpT10_ENKUlT_T0_E_clISt17integral_constantIbLb1EES1P_IbLb0EEEEDaS1L_S1M_EUlS1L_E_NS1_11comp_targetILNS1_3genE4ELNS1_11target_archE910ELNS1_3gpuE8ELNS1_3repE0EEENS1_30default_config_static_selectorELNS0_4arch9wavefront6targetE0EEEvSZ_,comdat
.Lfunc_end1715:
	.size	_ZN7rocprim17ROCPRIM_400000_NS6detail17trampoline_kernelINS0_13select_configILj256ELj13ELNS0_17block_load_methodE3ELS4_3ELS4_3ELNS0_20block_scan_algorithmE0ELj4294967295EEENS1_25partition_config_selectorILNS1_17partition_subalgoE3EjNS0_10empty_typeEbEEZZNS1_14partition_implILS8_3ELb0ES6_jNS0_17counting_iteratorIjlEEPS9_SE_NS0_5tupleIJPjSE_EEENSF_IJSE_SE_EEES9_SG_JZNS1_25segmented_radix_sort_implINS0_14default_configELb1EPK6__halfPSL_PKlPlN2at6native12_GLOBAL__N_18offset_tEEE10hipError_tPvRmT1_PNSt15iterator_traitsISZ_E10value_typeET2_T3_PNS10_IS15_E10value_typeET4_jRbjT5_S1B_jjP12ihipStream_tbEUljE_EEESW_SX_SY_S15_S19_S1B_T6_T7_T9_mT8_S1D_bDpT10_ENKUlT_T0_E_clISt17integral_constantIbLb1EES1P_IbLb0EEEEDaS1L_S1M_EUlS1L_E_NS1_11comp_targetILNS1_3genE4ELNS1_11target_archE910ELNS1_3gpuE8ELNS1_3repE0EEENS1_30default_config_static_selectorELNS0_4arch9wavefront6targetE0EEEvSZ_, .Lfunc_end1715-_ZN7rocprim17ROCPRIM_400000_NS6detail17trampoline_kernelINS0_13select_configILj256ELj13ELNS0_17block_load_methodE3ELS4_3ELS4_3ELNS0_20block_scan_algorithmE0ELj4294967295EEENS1_25partition_config_selectorILNS1_17partition_subalgoE3EjNS0_10empty_typeEbEEZZNS1_14partition_implILS8_3ELb0ES6_jNS0_17counting_iteratorIjlEEPS9_SE_NS0_5tupleIJPjSE_EEENSF_IJSE_SE_EEES9_SG_JZNS1_25segmented_radix_sort_implINS0_14default_configELb1EPK6__halfPSL_PKlPlN2at6native12_GLOBAL__N_18offset_tEEE10hipError_tPvRmT1_PNSt15iterator_traitsISZ_E10value_typeET2_T3_PNS10_IS15_E10value_typeET4_jRbjT5_S1B_jjP12ihipStream_tbEUljE_EEESW_SX_SY_S15_S19_S1B_T6_T7_T9_mT8_S1D_bDpT10_ENKUlT_T0_E_clISt17integral_constantIbLb1EES1P_IbLb0EEEEDaS1L_S1M_EUlS1L_E_NS1_11comp_targetILNS1_3genE4ELNS1_11target_archE910ELNS1_3gpuE8ELNS1_3repE0EEENS1_30default_config_static_selectorELNS0_4arch9wavefront6targetE0EEEvSZ_
                                        ; -- End function
	.set _ZN7rocprim17ROCPRIM_400000_NS6detail17trampoline_kernelINS0_13select_configILj256ELj13ELNS0_17block_load_methodE3ELS4_3ELS4_3ELNS0_20block_scan_algorithmE0ELj4294967295EEENS1_25partition_config_selectorILNS1_17partition_subalgoE3EjNS0_10empty_typeEbEEZZNS1_14partition_implILS8_3ELb0ES6_jNS0_17counting_iteratorIjlEEPS9_SE_NS0_5tupleIJPjSE_EEENSF_IJSE_SE_EEES9_SG_JZNS1_25segmented_radix_sort_implINS0_14default_configELb1EPK6__halfPSL_PKlPlN2at6native12_GLOBAL__N_18offset_tEEE10hipError_tPvRmT1_PNSt15iterator_traitsISZ_E10value_typeET2_T3_PNS10_IS15_E10value_typeET4_jRbjT5_S1B_jjP12ihipStream_tbEUljE_EEESW_SX_SY_S15_S19_S1B_T6_T7_T9_mT8_S1D_bDpT10_ENKUlT_T0_E_clISt17integral_constantIbLb1EES1P_IbLb0EEEEDaS1L_S1M_EUlS1L_E_NS1_11comp_targetILNS1_3genE4ELNS1_11target_archE910ELNS1_3gpuE8ELNS1_3repE0EEENS1_30default_config_static_selectorELNS0_4arch9wavefront6targetE0EEEvSZ_.num_vgpr, 0
	.set _ZN7rocprim17ROCPRIM_400000_NS6detail17trampoline_kernelINS0_13select_configILj256ELj13ELNS0_17block_load_methodE3ELS4_3ELS4_3ELNS0_20block_scan_algorithmE0ELj4294967295EEENS1_25partition_config_selectorILNS1_17partition_subalgoE3EjNS0_10empty_typeEbEEZZNS1_14partition_implILS8_3ELb0ES6_jNS0_17counting_iteratorIjlEEPS9_SE_NS0_5tupleIJPjSE_EEENSF_IJSE_SE_EEES9_SG_JZNS1_25segmented_radix_sort_implINS0_14default_configELb1EPK6__halfPSL_PKlPlN2at6native12_GLOBAL__N_18offset_tEEE10hipError_tPvRmT1_PNSt15iterator_traitsISZ_E10value_typeET2_T3_PNS10_IS15_E10value_typeET4_jRbjT5_S1B_jjP12ihipStream_tbEUljE_EEESW_SX_SY_S15_S19_S1B_T6_T7_T9_mT8_S1D_bDpT10_ENKUlT_T0_E_clISt17integral_constantIbLb1EES1P_IbLb0EEEEDaS1L_S1M_EUlS1L_E_NS1_11comp_targetILNS1_3genE4ELNS1_11target_archE910ELNS1_3gpuE8ELNS1_3repE0EEENS1_30default_config_static_selectorELNS0_4arch9wavefront6targetE0EEEvSZ_.num_agpr, 0
	.set _ZN7rocprim17ROCPRIM_400000_NS6detail17trampoline_kernelINS0_13select_configILj256ELj13ELNS0_17block_load_methodE3ELS4_3ELS4_3ELNS0_20block_scan_algorithmE0ELj4294967295EEENS1_25partition_config_selectorILNS1_17partition_subalgoE3EjNS0_10empty_typeEbEEZZNS1_14partition_implILS8_3ELb0ES6_jNS0_17counting_iteratorIjlEEPS9_SE_NS0_5tupleIJPjSE_EEENSF_IJSE_SE_EEES9_SG_JZNS1_25segmented_radix_sort_implINS0_14default_configELb1EPK6__halfPSL_PKlPlN2at6native12_GLOBAL__N_18offset_tEEE10hipError_tPvRmT1_PNSt15iterator_traitsISZ_E10value_typeET2_T3_PNS10_IS15_E10value_typeET4_jRbjT5_S1B_jjP12ihipStream_tbEUljE_EEESW_SX_SY_S15_S19_S1B_T6_T7_T9_mT8_S1D_bDpT10_ENKUlT_T0_E_clISt17integral_constantIbLb1EES1P_IbLb0EEEEDaS1L_S1M_EUlS1L_E_NS1_11comp_targetILNS1_3genE4ELNS1_11target_archE910ELNS1_3gpuE8ELNS1_3repE0EEENS1_30default_config_static_selectorELNS0_4arch9wavefront6targetE0EEEvSZ_.numbered_sgpr, 0
	.set _ZN7rocprim17ROCPRIM_400000_NS6detail17trampoline_kernelINS0_13select_configILj256ELj13ELNS0_17block_load_methodE3ELS4_3ELS4_3ELNS0_20block_scan_algorithmE0ELj4294967295EEENS1_25partition_config_selectorILNS1_17partition_subalgoE3EjNS0_10empty_typeEbEEZZNS1_14partition_implILS8_3ELb0ES6_jNS0_17counting_iteratorIjlEEPS9_SE_NS0_5tupleIJPjSE_EEENSF_IJSE_SE_EEES9_SG_JZNS1_25segmented_radix_sort_implINS0_14default_configELb1EPK6__halfPSL_PKlPlN2at6native12_GLOBAL__N_18offset_tEEE10hipError_tPvRmT1_PNSt15iterator_traitsISZ_E10value_typeET2_T3_PNS10_IS15_E10value_typeET4_jRbjT5_S1B_jjP12ihipStream_tbEUljE_EEESW_SX_SY_S15_S19_S1B_T6_T7_T9_mT8_S1D_bDpT10_ENKUlT_T0_E_clISt17integral_constantIbLb1EES1P_IbLb0EEEEDaS1L_S1M_EUlS1L_E_NS1_11comp_targetILNS1_3genE4ELNS1_11target_archE910ELNS1_3gpuE8ELNS1_3repE0EEENS1_30default_config_static_selectorELNS0_4arch9wavefront6targetE0EEEvSZ_.num_named_barrier, 0
	.set _ZN7rocprim17ROCPRIM_400000_NS6detail17trampoline_kernelINS0_13select_configILj256ELj13ELNS0_17block_load_methodE3ELS4_3ELS4_3ELNS0_20block_scan_algorithmE0ELj4294967295EEENS1_25partition_config_selectorILNS1_17partition_subalgoE3EjNS0_10empty_typeEbEEZZNS1_14partition_implILS8_3ELb0ES6_jNS0_17counting_iteratorIjlEEPS9_SE_NS0_5tupleIJPjSE_EEENSF_IJSE_SE_EEES9_SG_JZNS1_25segmented_radix_sort_implINS0_14default_configELb1EPK6__halfPSL_PKlPlN2at6native12_GLOBAL__N_18offset_tEEE10hipError_tPvRmT1_PNSt15iterator_traitsISZ_E10value_typeET2_T3_PNS10_IS15_E10value_typeET4_jRbjT5_S1B_jjP12ihipStream_tbEUljE_EEESW_SX_SY_S15_S19_S1B_T6_T7_T9_mT8_S1D_bDpT10_ENKUlT_T0_E_clISt17integral_constantIbLb1EES1P_IbLb0EEEEDaS1L_S1M_EUlS1L_E_NS1_11comp_targetILNS1_3genE4ELNS1_11target_archE910ELNS1_3gpuE8ELNS1_3repE0EEENS1_30default_config_static_selectorELNS0_4arch9wavefront6targetE0EEEvSZ_.private_seg_size, 0
	.set _ZN7rocprim17ROCPRIM_400000_NS6detail17trampoline_kernelINS0_13select_configILj256ELj13ELNS0_17block_load_methodE3ELS4_3ELS4_3ELNS0_20block_scan_algorithmE0ELj4294967295EEENS1_25partition_config_selectorILNS1_17partition_subalgoE3EjNS0_10empty_typeEbEEZZNS1_14partition_implILS8_3ELb0ES6_jNS0_17counting_iteratorIjlEEPS9_SE_NS0_5tupleIJPjSE_EEENSF_IJSE_SE_EEES9_SG_JZNS1_25segmented_radix_sort_implINS0_14default_configELb1EPK6__halfPSL_PKlPlN2at6native12_GLOBAL__N_18offset_tEEE10hipError_tPvRmT1_PNSt15iterator_traitsISZ_E10value_typeET2_T3_PNS10_IS15_E10value_typeET4_jRbjT5_S1B_jjP12ihipStream_tbEUljE_EEESW_SX_SY_S15_S19_S1B_T6_T7_T9_mT8_S1D_bDpT10_ENKUlT_T0_E_clISt17integral_constantIbLb1EES1P_IbLb0EEEEDaS1L_S1M_EUlS1L_E_NS1_11comp_targetILNS1_3genE4ELNS1_11target_archE910ELNS1_3gpuE8ELNS1_3repE0EEENS1_30default_config_static_selectorELNS0_4arch9wavefront6targetE0EEEvSZ_.uses_vcc, 0
	.set _ZN7rocprim17ROCPRIM_400000_NS6detail17trampoline_kernelINS0_13select_configILj256ELj13ELNS0_17block_load_methodE3ELS4_3ELS4_3ELNS0_20block_scan_algorithmE0ELj4294967295EEENS1_25partition_config_selectorILNS1_17partition_subalgoE3EjNS0_10empty_typeEbEEZZNS1_14partition_implILS8_3ELb0ES6_jNS0_17counting_iteratorIjlEEPS9_SE_NS0_5tupleIJPjSE_EEENSF_IJSE_SE_EEES9_SG_JZNS1_25segmented_radix_sort_implINS0_14default_configELb1EPK6__halfPSL_PKlPlN2at6native12_GLOBAL__N_18offset_tEEE10hipError_tPvRmT1_PNSt15iterator_traitsISZ_E10value_typeET2_T3_PNS10_IS15_E10value_typeET4_jRbjT5_S1B_jjP12ihipStream_tbEUljE_EEESW_SX_SY_S15_S19_S1B_T6_T7_T9_mT8_S1D_bDpT10_ENKUlT_T0_E_clISt17integral_constantIbLb1EES1P_IbLb0EEEEDaS1L_S1M_EUlS1L_E_NS1_11comp_targetILNS1_3genE4ELNS1_11target_archE910ELNS1_3gpuE8ELNS1_3repE0EEENS1_30default_config_static_selectorELNS0_4arch9wavefront6targetE0EEEvSZ_.uses_flat_scratch, 0
	.set _ZN7rocprim17ROCPRIM_400000_NS6detail17trampoline_kernelINS0_13select_configILj256ELj13ELNS0_17block_load_methodE3ELS4_3ELS4_3ELNS0_20block_scan_algorithmE0ELj4294967295EEENS1_25partition_config_selectorILNS1_17partition_subalgoE3EjNS0_10empty_typeEbEEZZNS1_14partition_implILS8_3ELb0ES6_jNS0_17counting_iteratorIjlEEPS9_SE_NS0_5tupleIJPjSE_EEENSF_IJSE_SE_EEES9_SG_JZNS1_25segmented_radix_sort_implINS0_14default_configELb1EPK6__halfPSL_PKlPlN2at6native12_GLOBAL__N_18offset_tEEE10hipError_tPvRmT1_PNSt15iterator_traitsISZ_E10value_typeET2_T3_PNS10_IS15_E10value_typeET4_jRbjT5_S1B_jjP12ihipStream_tbEUljE_EEESW_SX_SY_S15_S19_S1B_T6_T7_T9_mT8_S1D_bDpT10_ENKUlT_T0_E_clISt17integral_constantIbLb1EES1P_IbLb0EEEEDaS1L_S1M_EUlS1L_E_NS1_11comp_targetILNS1_3genE4ELNS1_11target_archE910ELNS1_3gpuE8ELNS1_3repE0EEENS1_30default_config_static_selectorELNS0_4arch9wavefront6targetE0EEEvSZ_.has_dyn_sized_stack, 0
	.set _ZN7rocprim17ROCPRIM_400000_NS6detail17trampoline_kernelINS0_13select_configILj256ELj13ELNS0_17block_load_methodE3ELS4_3ELS4_3ELNS0_20block_scan_algorithmE0ELj4294967295EEENS1_25partition_config_selectorILNS1_17partition_subalgoE3EjNS0_10empty_typeEbEEZZNS1_14partition_implILS8_3ELb0ES6_jNS0_17counting_iteratorIjlEEPS9_SE_NS0_5tupleIJPjSE_EEENSF_IJSE_SE_EEES9_SG_JZNS1_25segmented_radix_sort_implINS0_14default_configELb1EPK6__halfPSL_PKlPlN2at6native12_GLOBAL__N_18offset_tEEE10hipError_tPvRmT1_PNSt15iterator_traitsISZ_E10value_typeET2_T3_PNS10_IS15_E10value_typeET4_jRbjT5_S1B_jjP12ihipStream_tbEUljE_EEESW_SX_SY_S15_S19_S1B_T6_T7_T9_mT8_S1D_bDpT10_ENKUlT_T0_E_clISt17integral_constantIbLb1EES1P_IbLb0EEEEDaS1L_S1M_EUlS1L_E_NS1_11comp_targetILNS1_3genE4ELNS1_11target_archE910ELNS1_3gpuE8ELNS1_3repE0EEENS1_30default_config_static_selectorELNS0_4arch9wavefront6targetE0EEEvSZ_.has_recursion, 0
	.set _ZN7rocprim17ROCPRIM_400000_NS6detail17trampoline_kernelINS0_13select_configILj256ELj13ELNS0_17block_load_methodE3ELS4_3ELS4_3ELNS0_20block_scan_algorithmE0ELj4294967295EEENS1_25partition_config_selectorILNS1_17partition_subalgoE3EjNS0_10empty_typeEbEEZZNS1_14partition_implILS8_3ELb0ES6_jNS0_17counting_iteratorIjlEEPS9_SE_NS0_5tupleIJPjSE_EEENSF_IJSE_SE_EEES9_SG_JZNS1_25segmented_radix_sort_implINS0_14default_configELb1EPK6__halfPSL_PKlPlN2at6native12_GLOBAL__N_18offset_tEEE10hipError_tPvRmT1_PNSt15iterator_traitsISZ_E10value_typeET2_T3_PNS10_IS15_E10value_typeET4_jRbjT5_S1B_jjP12ihipStream_tbEUljE_EEESW_SX_SY_S15_S19_S1B_T6_T7_T9_mT8_S1D_bDpT10_ENKUlT_T0_E_clISt17integral_constantIbLb1EES1P_IbLb0EEEEDaS1L_S1M_EUlS1L_E_NS1_11comp_targetILNS1_3genE4ELNS1_11target_archE910ELNS1_3gpuE8ELNS1_3repE0EEENS1_30default_config_static_selectorELNS0_4arch9wavefront6targetE0EEEvSZ_.has_indirect_call, 0
	.section	.AMDGPU.csdata,"",@progbits
; Kernel info:
; codeLenInByte = 0
; TotalNumSgprs: 0
; NumVgprs: 0
; ScratchSize: 0
; MemoryBound: 0
; FloatMode: 240
; IeeeMode: 1
; LDSByteSize: 0 bytes/workgroup (compile time only)
; SGPRBlocks: 0
; VGPRBlocks: 0
; NumSGPRsForWavesPerEU: 1
; NumVGPRsForWavesPerEU: 1
; NamedBarCnt: 0
; Occupancy: 16
; WaveLimiterHint : 0
; COMPUTE_PGM_RSRC2:SCRATCH_EN: 0
; COMPUTE_PGM_RSRC2:USER_SGPR: 2
; COMPUTE_PGM_RSRC2:TRAP_HANDLER: 0
; COMPUTE_PGM_RSRC2:TGID_X_EN: 1
; COMPUTE_PGM_RSRC2:TGID_Y_EN: 0
; COMPUTE_PGM_RSRC2:TGID_Z_EN: 0
; COMPUTE_PGM_RSRC2:TIDIG_COMP_CNT: 0
	.section	.text._ZN7rocprim17ROCPRIM_400000_NS6detail17trampoline_kernelINS0_13select_configILj256ELj13ELNS0_17block_load_methodE3ELS4_3ELS4_3ELNS0_20block_scan_algorithmE0ELj4294967295EEENS1_25partition_config_selectorILNS1_17partition_subalgoE3EjNS0_10empty_typeEbEEZZNS1_14partition_implILS8_3ELb0ES6_jNS0_17counting_iteratorIjlEEPS9_SE_NS0_5tupleIJPjSE_EEENSF_IJSE_SE_EEES9_SG_JZNS1_25segmented_radix_sort_implINS0_14default_configELb1EPK6__halfPSL_PKlPlN2at6native12_GLOBAL__N_18offset_tEEE10hipError_tPvRmT1_PNSt15iterator_traitsISZ_E10value_typeET2_T3_PNS10_IS15_E10value_typeET4_jRbjT5_S1B_jjP12ihipStream_tbEUljE_EEESW_SX_SY_S15_S19_S1B_T6_T7_T9_mT8_S1D_bDpT10_ENKUlT_T0_E_clISt17integral_constantIbLb1EES1P_IbLb0EEEEDaS1L_S1M_EUlS1L_E_NS1_11comp_targetILNS1_3genE3ELNS1_11target_archE908ELNS1_3gpuE7ELNS1_3repE0EEENS1_30default_config_static_selectorELNS0_4arch9wavefront6targetE0EEEvSZ_,"axG",@progbits,_ZN7rocprim17ROCPRIM_400000_NS6detail17trampoline_kernelINS0_13select_configILj256ELj13ELNS0_17block_load_methodE3ELS4_3ELS4_3ELNS0_20block_scan_algorithmE0ELj4294967295EEENS1_25partition_config_selectorILNS1_17partition_subalgoE3EjNS0_10empty_typeEbEEZZNS1_14partition_implILS8_3ELb0ES6_jNS0_17counting_iteratorIjlEEPS9_SE_NS0_5tupleIJPjSE_EEENSF_IJSE_SE_EEES9_SG_JZNS1_25segmented_radix_sort_implINS0_14default_configELb1EPK6__halfPSL_PKlPlN2at6native12_GLOBAL__N_18offset_tEEE10hipError_tPvRmT1_PNSt15iterator_traitsISZ_E10value_typeET2_T3_PNS10_IS15_E10value_typeET4_jRbjT5_S1B_jjP12ihipStream_tbEUljE_EEESW_SX_SY_S15_S19_S1B_T6_T7_T9_mT8_S1D_bDpT10_ENKUlT_T0_E_clISt17integral_constantIbLb1EES1P_IbLb0EEEEDaS1L_S1M_EUlS1L_E_NS1_11comp_targetILNS1_3genE3ELNS1_11target_archE908ELNS1_3gpuE7ELNS1_3repE0EEENS1_30default_config_static_selectorELNS0_4arch9wavefront6targetE0EEEvSZ_,comdat
	.globl	_ZN7rocprim17ROCPRIM_400000_NS6detail17trampoline_kernelINS0_13select_configILj256ELj13ELNS0_17block_load_methodE3ELS4_3ELS4_3ELNS0_20block_scan_algorithmE0ELj4294967295EEENS1_25partition_config_selectorILNS1_17partition_subalgoE3EjNS0_10empty_typeEbEEZZNS1_14partition_implILS8_3ELb0ES6_jNS0_17counting_iteratorIjlEEPS9_SE_NS0_5tupleIJPjSE_EEENSF_IJSE_SE_EEES9_SG_JZNS1_25segmented_radix_sort_implINS0_14default_configELb1EPK6__halfPSL_PKlPlN2at6native12_GLOBAL__N_18offset_tEEE10hipError_tPvRmT1_PNSt15iterator_traitsISZ_E10value_typeET2_T3_PNS10_IS15_E10value_typeET4_jRbjT5_S1B_jjP12ihipStream_tbEUljE_EEESW_SX_SY_S15_S19_S1B_T6_T7_T9_mT8_S1D_bDpT10_ENKUlT_T0_E_clISt17integral_constantIbLb1EES1P_IbLb0EEEEDaS1L_S1M_EUlS1L_E_NS1_11comp_targetILNS1_3genE3ELNS1_11target_archE908ELNS1_3gpuE7ELNS1_3repE0EEENS1_30default_config_static_selectorELNS0_4arch9wavefront6targetE0EEEvSZ_ ; -- Begin function _ZN7rocprim17ROCPRIM_400000_NS6detail17trampoline_kernelINS0_13select_configILj256ELj13ELNS0_17block_load_methodE3ELS4_3ELS4_3ELNS0_20block_scan_algorithmE0ELj4294967295EEENS1_25partition_config_selectorILNS1_17partition_subalgoE3EjNS0_10empty_typeEbEEZZNS1_14partition_implILS8_3ELb0ES6_jNS0_17counting_iteratorIjlEEPS9_SE_NS0_5tupleIJPjSE_EEENSF_IJSE_SE_EEES9_SG_JZNS1_25segmented_radix_sort_implINS0_14default_configELb1EPK6__halfPSL_PKlPlN2at6native12_GLOBAL__N_18offset_tEEE10hipError_tPvRmT1_PNSt15iterator_traitsISZ_E10value_typeET2_T3_PNS10_IS15_E10value_typeET4_jRbjT5_S1B_jjP12ihipStream_tbEUljE_EEESW_SX_SY_S15_S19_S1B_T6_T7_T9_mT8_S1D_bDpT10_ENKUlT_T0_E_clISt17integral_constantIbLb1EES1P_IbLb0EEEEDaS1L_S1M_EUlS1L_E_NS1_11comp_targetILNS1_3genE3ELNS1_11target_archE908ELNS1_3gpuE7ELNS1_3repE0EEENS1_30default_config_static_selectorELNS0_4arch9wavefront6targetE0EEEvSZ_
	.p2align	8
	.type	_ZN7rocprim17ROCPRIM_400000_NS6detail17trampoline_kernelINS0_13select_configILj256ELj13ELNS0_17block_load_methodE3ELS4_3ELS4_3ELNS0_20block_scan_algorithmE0ELj4294967295EEENS1_25partition_config_selectorILNS1_17partition_subalgoE3EjNS0_10empty_typeEbEEZZNS1_14partition_implILS8_3ELb0ES6_jNS0_17counting_iteratorIjlEEPS9_SE_NS0_5tupleIJPjSE_EEENSF_IJSE_SE_EEES9_SG_JZNS1_25segmented_radix_sort_implINS0_14default_configELb1EPK6__halfPSL_PKlPlN2at6native12_GLOBAL__N_18offset_tEEE10hipError_tPvRmT1_PNSt15iterator_traitsISZ_E10value_typeET2_T3_PNS10_IS15_E10value_typeET4_jRbjT5_S1B_jjP12ihipStream_tbEUljE_EEESW_SX_SY_S15_S19_S1B_T6_T7_T9_mT8_S1D_bDpT10_ENKUlT_T0_E_clISt17integral_constantIbLb1EES1P_IbLb0EEEEDaS1L_S1M_EUlS1L_E_NS1_11comp_targetILNS1_3genE3ELNS1_11target_archE908ELNS1_3gpuE7ELNS1_3repE0EEENS1_30default_config_static_selectorELNS0_4arch9wavefront6targetE0EEEvSZ_,@function
_ZN7rocprim17ROCPRIM_400000_NS6detail17trampoline_kernelINS0_13select_configILj256ELj13ELNS0_17block_load_methodE3ELS4_3ELS4_3ELNS0_20block_scan_algorithmE0ELj4294967295EEENS1_25partition_config_selectorILNS1_17partition_subalgoE3EjNS0_10empty_typeEbEEZZNS1_14partition_implILS8_3ELb0ES6_jNS0_17counting_iteratorIjlEEPS9_SE_NS0_5tupleIJPjSE_EEENSF_IJSE_SE_EEES9_SG_JZNS1_25segmented_radix_sort_implINS0_14default_configELb1EPK6__halfPSL_PKlPlN2at6native12_GLOBAL__N_18offset_tEEE10hipError_tPvRmT1_PNSt15iterator_traitsISZ_E10value_typeET2_T3_PNS10_IS15_E10value_typeET4_jRbjT5_S1B_jjP12ihipStream_tbEUljE_EEESW_SX_SY_S15_S19_S1B_T6_T7_T9_mT8_S1D_bDpT10_ENKUlT_T0_E_clISt17integral_constantIbLb1EES1P_IbLb0EEEEDaS1L_S1M_EUlS1L_E_NS1_11comp_targetILNS1_3genE3ELNS1_11target_archE908ELNS1_3gpuE7ELNS1_3repE0EEENS1_30default_config_static_selectorELNS0_4arch9wavefront6targetE0EEEvSZ_: ; @_ZN7rocprim17ROCPRIM_400000_NS6detail17trampoline_kernelINS0_13select_configILj256ELj13ELNS0_17block_load_methodE3ELS4_3ELS4_3ELNS0_20block_scan_algorithmE0ELj4294967295EEENS1_25partition_config_selectorILNS1_17partition_subalgoE3EjNS0_10empty_typeEbEEZZNS1_14partition_implILS8_3ELb0ES6_jNS0_17counting_iteratorIjlEEPS9_SE_NS0_5tupleIJPjSE_EEENSF_IJSE_SE_EEES9_SG_JZNS1_25segmented_radix_sort_implINS0_14default_configELb1EPK6__halfPSL_PKlPlN2at6native12_GLOBAL__N_18offset_tEEE10hipError_tPvRmT1_PNSt15iterator_traitsISZ_E10value_typeET2_T3_PNS10_IS15_E10value_typeET4_jRbjT5_S1B_jjP12ihipStream_tbEUljE_EEESW_SX_SY_S15_S19_S1B_T6_T7_T9_mT8_S1D_bDpT10_ENKUlT_T0_E_clISt17integral_constantIbLb1EES1P_IbLb0EEEEDaS1L_S1M_EUlS1L_E_NS1_11comp_targetILNS1_3genE3ELNS1_11target_archE908ELNS1_3gpuE7ELNS1_3repE0EEENS1_30default_config_static_selectorELNS0_4arch9wavefront6targetE0EEEvSZ_
; %bb.0:
	.section	.rodata,"a",@progbits
	.p2align	6, 0x0
	.amdhsa_kernel _ZN7rocprim17ROCPRIM_400000_NS6detail17trampoline_kernelINS0_13select_configILj256ELj13ELNS0_17block_load_methodE3ELS4_3ELS4_3ELNS0_20block_scan_algorithmE0ELj4294967295EEENS1_25partition_config_selectorILNS1_17partition_subalgoE3EjNS0_10empty_typeEbEEZZNS1_14partition_implILS8_3ELb0ES6_jNS0_17counting_iteratorIjlEEPS9_SE_NS0_5tupleIJPjSE_EEENSF_IJSE_SE_EEES9_SG_JZNS1_25segmented_radix_sort_implINS0_14default_configELb1EPK6__halfPSL_PKlPlN2at6native12_GLOBAL__N_18offset_tEEE10hipError_tPvRmT1_PNSt15iterator_traitsISZ_E10value_typeET2_T3_PNS10_IS15_E10value_typeET4_jRbjT5_S1B_jjP12ihipStream_tbEUljE_EEESW_SX_SY_S15_S19_S1B_T6_T7_T9_mT8_S1D_bDpT10_ENKUlT_T0_E_clISt17integral_constantIbLb1EES1P_IbLb0EEEEDaS1L_S1M_EUlS1L_E_NS1_11comp_targetILNS1_3genE3ELNS1_11target_archE908ELNS1_3gpuE7ELNS1_3repE0EEENS1_30default_config_static_selectorELNS0_4arch9wavefront6targetE0EEEvSZ_
		.amdhsa_group_segment_fixed_size 0
		.amdhsa_private_segment_fixed_size 0
		.amdhsa_kernarg_size 144
		.amdhsa_user_sgpr_count 2
		.amdhsa_user_sgpr_dispatch_ptr 0
		.amdhsa_user_sgpr_queue_ptr 0
		.amdhsa_user_sgpr_kernarg_segment_ptr 1
		.amdhsa_user_sgpr_dispatch_id 0
		.amdhsa_user_sgpr_kernarg_preload_length 0
		.amdhsa_user_sgpr_kernarg_preload_offset 0
		.amdhsa_user_sgpr_private_segment_size 0
		.amdhsa_wavefront_size32 1
		.amdhsa_uses_dynamic_stack 0
		.amdhsa_enable_private_segment 0
		.amdhsa_system_sgpr_workgroup_id_x 1
		.amdhsa_system_sgpr_workgroup_id_y 0
		.amdhsa_system_sgpr_workgroup_id_z 0
		.amdhsa_system_sgpr_workgroup_info 0
		.amdhsa_system_vgpr_workitem_id 0
		.amdhsa_next_free_vgpr 1
		.amdhsa_next_free_sgpr 1
		.amdhsa_named_barrier_count 0
		.amdhsa_reserve_vcc 0
		.amdhsa_float_round_mode_32 0
		.amdhsa_float_round_mode_16_64 0
		.amdhsa_float_denorm_mode_32 3
		.amdhsa_float_denorm_mode_16_64 3
		.amdhsa_fp16_overflow 0
		.amdhsa_memory_ordered 1
		.amdhsa_forward_progress 1
		.amdhsa_inst_pref_size 0
		.amdhsa_round_robin_scheduling 0
		.amdhsa_exception_fp_ieee_invalid_op 0
		.amdhsa_exception_fp_denorm_src 0
		.amdhsa_exception_fp_ieee_div_zero 0
		.amdhsa_exception_fp_ieee_overflow 0
		.amdhsa_exception_fp_ieee_underflow 0
		.amdhsa_exception_fp_ieee_inexact 0
		.amdhsa_exception_int_div_zero 0
	.end_amdhsa_kernel
	.section	.text._ZN7rocprim17ROCPRIM_400000_NS6detail17trampoline_kernelINS0_13select_configILj256ELj13ELNS0_17block_load_methodE3ELS4_3ELS4_3ELNS0_20block_scan_algorithmE0ELj4294967295EEENS1_25partition_config_selectorILNS1_17partition_subalgoE3EjNS0_10empty_typeEbEEZZNS1_14partition_implILS8_3ELb0ES6_jNS0_17counting_iteratorIjlEEPS9_SE_NS0_5tupleIJPjSE_EEENSF_IJSE_SE_EEES9_SG_JZNS1_25segmented_radix_sort_implINS0_14default_configELb1EPK6__halfPSL_PKlPlN2at6native12_GLOBAL__N_18offset_tEEE10hipError_tPvRmT1_PNSt15iterator_traitsISZ_E10value_typeET2_T3_PNS10_IS15_E10value_typeET4_jRbjT5_S1B_jjP12ihipStream_tbEUljE_EEESW_SX_SY_S15_S19_S1B_T6_T7_T9_mT8_S1D_bDpT10_ENKUlT_T0_E_clISt17integral_constantIbLb1EES1P_IbLb0EEEEDaS1L_S1M_EUlS1L_E_NS1_11comp_targetILNS1_3genE3ELNS1_11target_archE908ELNS1_3gpuE7ELNS1_3repE0EEENS1_30default_config_static_selectorELNS0_4arch9wavefront6targetE0EEEvSZ_,"axG",@progbits,_ZN7rocprim17ROCPRIM_400000_NS6detail17trampoline_kernelINS0_13select_configILj256ELj13ELNS0_17block_load_methodE3ELS4_3ELS4_3ELNS0_20block_scan_algorithmE0ELj4294967295EEENS1_25partition_config_selectorILNS1_17partition_subalgoE3EjNS0_10empty_typeEbEEZZNS1_14partition_implILS8_3ELb0ES6_jNS0_17counting_iteratorIjlEEPS9_SE_NS0_5tupleIJPjSE_EEENSF_IJSE_SE_EEES9_SG_JZNS1_25segmented_radix_sort_implINS0_14default_configELb1EPK6__halfPSL_PKlPlN2at6native12_GLOBAL__N_18offset_tEEE10hipError_tPvRmT1_PNSt15iterator_traitsISZ_E10value_typeET2_T3_PNS10_IS15_E10value_typeET4_jRbjT5_S1B_jjP12ihipStream_tbEUljE_EEESW_SX_SY_S15_S19_S1B_T6_T7_T9_mT8_S1D_bDpT10_ENKUlT_T0_E_clISt17integral_constantIbLb1EES1P_IbLb0EEEEDaS1L_S1M_EUlS1L_E_NS1_11comp_targetILNS1_3genE3ELNS1_11target_archE908ELNS1_3gpuE7ELNS1_3repE0EEENS1_30default_config_static_selectorELNS0_4arch9wavefront6targetE0EEEvSZ_,comdat
.Lfunc_end1716:
	.size	_ZN7rocprim17ROCPRIM_400000_NS6detail17trampoline_kernelINS0_13select_configILj256ELj13ELNS0_17block_load_methodE3ELS4_3ELS4_3ELNS0_20block_scan_algorithmE0ELj4294967295EEENS1_25partition_config_selectorILNS1_17partition_subalgoE3EjNS0_10empty_typeEbEEZZNS1_14partition_implILS8_3ELb0ES6_jNS0_17counting_iteratorIjlEEPS9_SE_NS0_5tupleIJPjSE_EEENSF_IJSE_SE_EEES9_SG_JZNS1_25segmented_radix_sort_implINS0_14default_configELb1EPK6__halfPSL_PKlPlN2at6native12_GLOBAL__N_18offset_tEEE10hipError_tPvRmT1_PNSt15iterator_traitsISZ_E10value_typeET2_T3_PNS10_IS15_E10value_typeET4_jRbjT5_S1B_jjP12ihipStream_tbEUljE_EEESW_SX_SY_S15_S19_S1B_T6_T7_T9_mT8_S1D_bDpT10_ENKUlT_T0_E_clISt17integral_constantIbLb1EES1P_IbLb0EEEEDaS1L_S1M_EUlS1L_E_NS1_11comp_targetILNS1_3genE3ELNS1_11target_archE908ELNS1_3gpuE7ELNS1_3repE0EEENS1_30default_config_static_selectorELNS0_4arch9wavefront6targetE0EEEvSZ_, .Lfunc_end1716-_ZN7rocprim17ROCPRIM_400000_NS6detail17trampoline_kernelINS0_13select_configILj256ELj13ELNS0_17block_load_methodE3ELS4_3ELS4_3ELNS0_20block_scan_algorithmE0ELj4294967295EEENS1_25partition_config_selectorILNS1_17partition_subalgoE3EjNS0_10empty_typeEbEEZZNS1_14partition_implILS8_3ELb0ES6_jNS0_17counting_iteratorIjlEEPS9_SE_NS0_5tupleIJPjSE_EEENSF_IJSE_SE_EEES9_SG_JZNS1_25segmented_radix_sort_implINS0_14default_configELb1EPK6__halfPSL_PKlPlN2at6native12_GLOBAL__N_18offset_tEEE10hipError_tPvRmT1_PNSt15iterator_traitsISZ_E10value_typeET2_T3_PNS10_IS15_E10value_typeET4_jRbjT5_S1B_jjP12ihipStream_tbEUljE_EEESW_SX_SY_S15_S19_S1B_T6_T7_T9_mT8_S1D_bDpT10_ENKUlT_T0_E_clISt17integral_constantIbLb1EES1P_IbLb0EEEEDaS1L_S1M_EUlS1L_E_NS1_11comp_targetILNS1_3genE3ELNS1_11target_archE908ELNS1_3gpuE7ELNS1_3repE0EEENS1_30default_config_static_selectorELNS0_4arch9wavefront6targetE0EEEvSZ_
                                        ; -- End function
	.set _ZN7rocprim17ROCPRIM_400000_NS6detail17trampoline_kernelINS0_13select_configILj256ELj13ELNS0_17block_load_methodE3ELS4_3ELS4_3ELNS0_20block_scan_algorithmE0ELj4294967295EEENS1_25partition_config_selectorILNS1_17partition_subalgoE3EjNS0_10empty_typeEbEEZZNS1_14partition_implILS8_3ELb0ES6_jNS0_17counting_iteratorIjlEEPS9_SE_NS0_5tupleIJPjSE_EEENSF_IJSE_SE_EEES9_SG_JZNS1_25segmented_radix_sort_implINS0_14default_configELb1EPK6__halfPSL_PKlPlN2at6native12_GLOBAL__N_18offset_tEEE10hipError_tPvRmT1_PNSt15iterator_traitsISZ_E10value_typeET2_T3_PNS10_IS15_E10value_typeET4_jRbjT5_S1B_jjP12ihipStream_tbEUljE_EEESW_SX_SY_S15_S19_S1B_T6_T7_T9_mT8_S1D_bDpT10_ENKUlT_T0_E_clISt17integral_constantIbLb1EES1P_IbLb0EEEEDaS1L_S1M_EUlS1L_E_NS1_11comp_targetILNS1_3genE3ELNS1_11target_archE908ELNS1_3gpuE7ELNS1_3repE0EEENS1_30default_config_static_selectorELNS0_4arch9wavefront6targetE0EEEvSZ_.num_vgpr, 0
	.set _ZN7rocprim17ROCPRIM_400000_NS6detail17trampoline_kernelINS0_13select_configILj256ELj13ELNS0_17block_load_methodE3ELS4_3ELS4_3ELNS0_20block_scan_algorithmE0ELj4294967295EEENS1_25partition_config_selectorILNS1_17partition_subalgoE3EjNS0_10empty_typeEbEEZZNS1_14partition_implILS8_3ELb0ES6_jNS0_17counting_iteratorIjlEEPS9_SE_NS0_5tupleIJPjSE_EEENSF_IJSE_SE_EEES9_SG_JZNS1_25segmented_radix_sort_implINS0_14default_configELb1EPK6__halfPSL_PKlPlN2at6native12_GLOBAL__N_18offset_tEEE10hipError_tPvRmT1_PNSt15iterator_traitsISZ_E10value_typeET2_T3_PNS10_IS15_E10value_typeET4_jRbjT5_S1B_jjP12ihipStream_tbEUljE_EEESW_SX_SY_S15_S19_S1B_T6_T7_T9_mT8_S1D_bDpT10_ENKUlT_T0_E_clISt17integral_constantIbLb1EES1P_IbLb0EEEEDaS1L_S1M_EUlS1L_E_NS1_11comp_targetILNS1_3genE3ELNS1_11target_archE908ELNS1_3gpuE7ELNS1_3repE0EEENS1_30default_config_static_selectorELNS0_4arch9wavefront6targetE0EEEvSZ_.num_agpr, 0
	.set _ZN7rocprim17ROCPRIM_400000_NS6detail17trampoline_kernelINS0_13select_configILj256ELj13ELNS0_17block_load_methodE3ELS4_3ELS4_3ELNS0_20block_scan_algorithmE0ELj4294967295EEENS1_25partition_config_selectorILNS1_17partition_subalgoE3EjNS0_10empty_typeEbEEZZNS1_14partition_implILS8_3ELb0ES6_jNS0_17counting_iteratorIjlEEPS9_SE_NS0_5tupleIJPjSE_EEENSF_IJSE_SE_EEES9_SG_JZNS1_25segmented_radix_sort_implINS0_14default_configELb1EPK6__halfPSL_PKlPlN2at6native12_GLOBAL__N_18offset_tEEE10hipError_tPvRmT1_PNSt15iterator_traitsISZ_E10value_typeET2_T3_PNS10_IS15_E10value_typeET4_jRbjT5_S1B_jjP12ihipStream_tbEUljE_EEESW_SX_SY_S15_S19_S1B_T6_T7_T9_mT8_S1D_bDpT10_ENKUlT_T0_E_clISt17integral_constantIbLb1EES1P_IbLb0EEEEDaS1L_S1M_EUlS1L_E_NS1_11comp_targetILNS1_3genE3ELNS1_11target_archE908ELNS1_3gpuE7ELNS1_3repE0EEENS1_30default_config_static_selectorELNS0_4arch9wavefront6targetE0EEEvSZ_.numbered_sgpr, 0
	.set _ZN7rocprim17ROCPRIM_400000_NS6detail17trampoline_kernelINS0_13select_configILj256ELj13ELNS0_17block_load_methodE3ELS4_3ELS4_3ELNS0_20block_scan_algorithmE0ELj4294967295EEENS1_25partition_config_selectorILNS1_17partition_subalgoE3EjNS0_10empty_typeEbEEZZNS1_14partition_implILS8_3ELb0ES6_jNS0_17counting_iteratorIjlEEPS9_SE_NS0_5tupleIJPjSE_EEENSF_IJSE_SE_EEES9_SG_JZNS1_25segmented_radix_sort_implINS0_14default_configELb1EPK6__halfPSL_PKlPlN2at6native12_GLOBAL__N_18offset_tEEE10hipError_tPvRmT1_PNSt15iterator_traitsISZ_E10value_typeET2_T3_PNS10_IS15_E10value_typeET4_jRbjT5_S1B_jjP12ihipStream_tbEUljE_EEESW_SX_SY_S15_S19_S1B_T6_T7_T9_mT8_S1D_bDpT10_ENKUlT_T0_E_clISt17integral_constantIbLb1EES1P_IbLb0EEEEDaS1L_S1M_EUlS1L_E_NS1_11comp_targetILNS1_3genE3ELNS1_11target_archE908ELNS1_3gpuE7ELNS1_3repE0EEENS1_30default_config_static_selectorELNS0_4arch9wavefront6targetE0EEEvSZ_.num_named_barrier, 0
	.set _ZN7rocprim17ROCPRIM_400000_NS6detail17trampoline_kernelINS0_13select_configILj256ELj13ELNS0_17block_load_methodE3ELS4_3ELS4_3ELNS0_20block_scan_algorithmE0ELj4294967295EEENS1_25partition_config_selectorILNS1_17partition_subalgoE3EjNS0_10empty_typeEbEEZZNS1_14partition_implILS8_3ELb0ES6_jNS0_17counting_iteratorIjlEEPS9_SE_NS0_5tupleIJPjSE_EEENSF_IJSE_SE_EEES9_SG_JZNS1_25segmented_radix_sort_implINS0_14default_configELb1EPK6__halfPSL_PKlPlN2at6native12_GLOBAL__N_18offset_tEEE10hipError_tPvRmT1_PNSt15iterator_traitsISZ_E10value_typeET2_T3_PNS10_IS15_E10value_typeET4_jRbjT5_S1B_jjP12ihipStream_tbEUljE_EEESW_SX_SY_S15_S19_S1B_T6_T7_T9_mT8_S1D_bDpT10_ENKUlT_T0_E_clISt17integral_constantIbLb1EES1P_IbLb0EEEEDaS1L_S1M_EUlS1L_E_NS1_11comp_targetILNS1_3genE3ELNS1_11target_archE908ELNS1_3gpuE7ELNS1_3repE0EEENS1_30default_config_static_selectorELNS0_4arch9wavefront6targetE0EEEvSZ_.private_seg_size, 0
	.set _ZN7rocprim17ROCPRIM_400000_NS6detail17trampoline_kernelINS0_13select_configILj256ELj13ELNS0_17block_load_methodE3ELS4_3ELS4_3ELNS0_20block_scan_algorithmE0ELj4294967295EEENS1_25partition_config_selectorILNS1_17partition_subalgoE3EjNS0_10empty_typeEbEEZZNS1_14partition_implILS8_3ELb0ES6_jNS0_17counting_iteratorIjlEEPS9_SE_NS0_5tupleIJPjSE_EEENSF_IJSE_SE_EEES9_SG_JZNS1_25segmented_radix_sort_implINS0_14default_configELb1EPK6__halfPSL_PKlPlN2at6native12_GLOBAL__N_18offset_tEEE10hipError_tPvRmT1_PNSt15iterator_traitsISZ_E10value_typeET2_T3_PNS10_IS15_E10value_typeET4_jRbjT5_S1B_jjP12ihipStream_tbEUljE_EEESW_SX_SY_S15_S19_S1B_T6_T7_T9_mT8_S1D_bDpT10_ENKUlT_T0_E_clISt17integral_constantIbLb1EES1P_IbLb0EEEEDaS1L_S1M_EUlS1L_E_NS1_11comp_targetILNS1_3genE3ELNS1_11target_archE908ELNS1_3gpuE7ELNS1_3repE0EEENS1_30default_config_static_selectorELNS0_4arch9wavefront6targetE0EEEvSZ_.uses_vcc, 0
	.set _ZN7rocprim17ROCPRIM_400000_NS6detail17trampoline_kernelINS0_13select_configILj256ELj13ELNS0_17block_load_methodE3ELS4_3ELS4_3ELNS0_20block_scan_algorithmE0ELj4294967295EEENS1_25partition_config_selectorILNS1_17partition_subalgoE3EjNS0_10empty_typeEbEEZZNS1_14partition_implILS8_3ELb0ES6_jNS0_17counting_iteratorIjlEEPS9_SE_NS0_5tupleIJPjSE_EEENSF_IJSE_SE_EEES9_SG_JZNS1_25segmented_radix_sort_implINS0_14default_configELb1EPK6__halfPSL_PKlPlN2at6native12_GLOBAL__N_18offset_tEEE10hipError_tPvRmT1_PNSt15iterator_traitsISZ_E10value_typeET2_T3_PNS10_IS15_E10value_typeET4_jRbjT5_S1B_jjP12ihipStream_tbEUljE_EEESW_SX_SY_S15_S19_S1B_T6_T7_T9_mT8_S1D_bDpT10_ENKUlT_T0_E_clISt17integral_constantIbLb1EES1P_IbLb0EEEEDaS1L_S1M_EUlS1L_E_NS1_11comp_targetILNS1_3genE3ELNS1_11target_archE908ELNS1_3gpuE7ELNS1_3repE0EEENS1_30default_config_static_selectorELNS0_4arch9wavefront6targetE0EEEvSZ_.uses_flat_scratch, 0
	.set _ZN7rocprim17ROCPRIM_400000_NS6detail17trampoline_kernelINS0_13select_configILj256ELj13ELNS0_17block_load_methodE3ELS4_3ELS4_3ELNS0_20block_scan_algorithmE0ELj4294967295EEENS1_25partition_config_selectorILNS1_17partition_subalgoE3EjNS0_10empty_typeEbEEZZNS1_14partition_implILS8_3ELb0ES6_jNS0_17counting_iteratorIjlEEPS9_SE_NS0_5tupleIJPjSE_EEENSF_IJSE_SE_EEES9_SG_JZNS1_25segmented_radix_sort_implINS0_14default_configELb1EPK6__halfPSL_PKlPlN2at6native12_GLOBAL__N_18offset_tEEE10hipError_tPvRmT1_PNSt15iterator_traitsISZ_E10value_typeET2_T3_PNS10_IS15_E10value_typeET4_jRbjT5_S1B_jjP12ihipStream_tbEUljE_EEESW_SX_SY_S15_S19_S1B_T6_T7_T9_mT8_S1D_bDpT10_ENKUlT_T0_E_clISt17integral_constantIbLb1EES1P_IbLb0EEEEDaS1L_S1M_EUlS1L_E_NS1_11comp_targetILNS1_3genE3ELNS1_11target_archE908ELNS1_3gpuE7ELNS1_3repE0EEENS1_30default_config_static_selectorELNS0_4arch9wavefront6targetE0EEEvSZ_.has_dyn_sized_stack, 0
	.set _ZN7rocprim17ROCPRIM_400000_NS6detail17trampoline_kernelINS0_13select_configILj256ELj13ELNS0_17block_load_methodE3ELS4_3ELS4_3ELNS0_20block_scan_algorithmE0ELj4294967295EEENS1_25partition_config_selectorILNS1_17partition_subalgoE3EjNS0_10empty_typeEbEEZZNS1_14partition_implILS8_3ELb0ES6_jNS0_17counting_iteratorIjlEEPS9_SE_NS0_5tupleIJPjSE_EEENSF_IJSE_SE_EEES9_SG_JZNS1_25segmented_radix_sort_implINS0_14default_configELb1EPK6__halfPSL_PKlPlN2at6native12_GLOBAL__N_18offset_tEEE10hipError_tPvRmT1_PNSt15iterator_traitsISZ_E10value_typeET2_T3_PNS10_IS15_E10value_typeET4_jRbjT5_S1B_jjP12ihipStream_tbEUljE_EEESW_SX_SY_S15_S19_S1B_T6_T7_T9_mT8_S1D_bDpT10_ENKUlT_T0_E_clISt17integral_constantIbLb1EES1P_IbLb0EEEEDaS1L_S1M_EUlS1L_E_NS1_11comp_targetILNS1_3genE3ELNS1_11target_archE908ELNS1_3gpuE7ELNS1_3repE0EEENS1_30default_config_static_selectorELNS0_4arch9wavefront6targetE0EEEvSZ_.has_recursion, 0
	.set _ZN7rocprim17ROCPRIM_400000_NS6detail17trampoline_kernelINS0_13select_configILj256ELj13ELNS0_17block_load_methodE3ELS4_3ELS4_3ELNS0_20block_scan_algorithmE0ELj4294967295EEENS1_25partition_config_selectorILNS1_17partition_subalgoE3EjNS0_10empty_typeEbEEZZNS1_14partition_implILS8_3ELb0ES6_jNS0_17counting_iteratorIjlEEPS9_SE_NS0_5tupleIJPjSE_EEENSF_IJSE_SE_EEES9_SG_JZNS1_25segmented_radix_sort_implINS0_14default_configELb1EPK6__halfPSL_PKlPlN2at6native12_GLOBAL__N_18offset_tEEE10hipError_tPvRmT1_PNSt15iterator_traitsISZ_E10value_typeET2_T3_PNS10_IS15_E10value_typeET4_jRbjT5_S1B_jjP12ihipStream_tbEUljE_EEESW_SX_SY_S15_S19_S1B_T6_T7_T9_mT8_S1D_bDpT10_ENKUlT_T0_E_clISt17integral_constantIbLb1EES1P_IbLb0EEEEDaS1L_S1M_EUlS1L_E_NS1_11comp_targetILNS1_3genE3ELNS1_11target_archE908ELNS1_3gpuE7ELNS1_3repE0EEENS1_30default_config_static_selectorELNS0_4arch9wavefront6targetE0EEEvSZ_.has_indirect_call, 0
	.section	.AMDGPU.csdata,"",@progbits
; Kernel info:
; codeLenInByte = 0
; TotalNumSgprs: 0
; NumVgprs: 0
; ScratchSize: 0
; MemoryBound: 0
; FloatMode: 240
; IeeeMode: 1
; LDSByteSize: 0 bytes/workgroup (compile time only)
; SGPRBlocks: 0
; VGPRBlocks: 0
; NumSGPRsForWavesPerEU: 1
; NumVGPRsForWavesPerEU: 1
; NamedBarCnt: 0
; Occupancy: 16
; WaveLimiterHint : 0
; COMPUTE_PGM_RSRC2:SCRATCH_EN: 0
; COMPUTE_PGM_RSRC2:USER_SGPR: 2
; COMPUTE_PGM_RSRC2:TRAP_HANDLER: 0
; COMPUTE_PGM_RSRC2:TGID_X_EN: 1
; COMPUTE_PGM_RSRC2:TGID_Y_EN: 0
; COMPUTE_PGM_RSRC2:TGID_Z_EN: 0
; COMPUTE_PGM_RSRC2:TIDIG_COMP_CNT: 0
	.section	.text._ZN7rocprim17ROCPRIM_400000_NS6detail17trampoline_kernelINS0_13select_configILj256ELj13ELNS0_17block_load_methodE3ELS4_3ELS4_3ELNS0_20block_scan_algorithmE0ELj4294967295EEENS1_25partition_config_selectorILNS1_17partition_subalgoE3EjNS0_10empty_typeEbEEZZNS1_14partition_implILS8_3ELb0ES6_jNS0_17counting_iteratorIjlEEPS9_SE_NS0_5tupleIJPjSE_EEENSF_IJSE_SE_EEES9_SG_JZNS1_25segmented_radix_sort_implINS0_14default_configELb1EPK6__halfPSL_PKlPlN2at6native12_GLOBAL__N_18offset_tEEE10hipError_tPvRmT1_PNSt15iterator_traitsISZ_E10value_typeET2_T3_PNS10_IS15_E10value_typeET4_jRbjT5_S1B_jjP12ihipStream_tbEUljE_EEESW_SX_SY_S15_S19_S1B_T6_T7_T9_mT8_S1D_bDpT10_ENKUlT_T0_E_clISt17integral_constantIbLb1EES1P_IbLb0EEEEDaS1L_S1M_EUlS1L_E_NS1_11comp_targetILNS1_3genE2ELNS1_11target_archE906ELNS1_3gpuE6ELNS1_3repE0EEENS1_30default_config_static_selectorELNS0_4arch9wavefront6targetE0EEEvSZ_,"axG",@progbits,_ZN7rocprim17ROCPRIM_400000_NS6detail17trampoline_kernelINS0_13select_configILj256ELj13ELNS0_17block_load_methodE3ELS4_3ELS4_3ELNS0_20block_scan_algorithmE0ELj4294967295EEENS1_25partition_config_selectorILNS1_17partition_subalgoE3EjNS0_10empty_typeEbEEZZNS1_14partition_implILS8_3ELb0ES6_jNS0_17counting_iteratorIjlEEPS9_SE_NS0_5tupleIJPjSE_EEENSF_IJSE_SE_EEES9_SG_JZNS1_25segmented_radix_sort_implINS0_14default_configELb1EPK6__halfPSL_PKlPlN2at6native12_GLOBAL__N_18offset_tEEE10hipError_tPvRmT1_PNSt15iterator_traitsISZ_E10value_typeET2_T3_PNS10_IS15_E10value_typeET4_jRbjT5_S1B_jjP12ihipStream_tbEUljE_EEESW_SX_SY_S15_S19_S1B_T6_T7_T9_mT8_S1D_bDpT10_ENKUlT_T0_E_clISt17integral_constantIbLb1EES1P_IbLb0EEEEDaS1L_S1M_EUlS1L_E_NS1_11comp_targetILNS1_3genE2ELNS1_11target_archE906ELNS1_3gpuE6ELNS1_3repE0EEENS1_30default_config_static_selectorELNS0_4arch9wavefront6targetE0EEEvSZ_,comdat
	.globl	_ZN7rocprim17ROCPRIM_400000_NS6detail17trampoline_kernelINS0_13select_configILj256ELj13ELNS0_17block_load_methodE3ELS4_3ELS4_3ELNS0_20block_scan_algorithmE0ELj4294967295EEENS1_25partition_config_selectorILNS1_17partition_subalgoE3EjNS0_10empty_typeEbEEZZNS1_14partition_implILS8_3ELb0ES6_jNS0_17counting_iteratorIjlEEPS9_SE_NS0_5tupleIJPjSE_EEENSF_IJSE_SE_EEES9_SG_JZNS1_25segmented_radix_sort_implINS0_14default_configELb1EPK6__halfPSL_PKlPlN2at6native12_GLOBAL__N_18offset_tEEE10hipError_tPvRmT1_PNSt15iterator_traitsISZ_E10value_typeET2_T3_PNS10_IS15_E10value_typeET4_jRbjT5_S1B_jjP12ihipStream_tbEUljE_EEESW_SX_SY_S15_S19_S1B_T6_T7_T9_mT8_S1D_bDpT10_ENKUlT_T0_E_clISt17integral_constantIbLb1EES1P_IbLb0EEEEDaS1L_S1M_EUlS1L_E_NS1_11comp_targetILNS1_3genE2ELNS1_11target_archE906ELNS1_3gpuE6ELNS1_3repE0EEENS1_30default_config_static_selectorELNS0_4arch9wavefront6targetE0EEEvSZ_ ; -- Begin function _ZN7rocprim17ROCPRIM_400000_NS6detail17trampoline_kernelINS0_13select_configILj256ELj13ELNS0_17block_load_methodE3ELS4_3ELS4_3ELNS0_20block_scan_algorithmE0ELj4294967295EEENS1_25partition_config_selectorILNS1_17partition_subalgoE3EjNS0_10empty_typeEbEEZZNS1_14partition_implILS8_3ELb0ES6_jNS0_17counting_iteratorIjlEEPS9_SE_NS0_5tupleIJPjSE_EEENSF_IJSE_SE_EEES9_SG_JZNS1_25segmented_radix_sort_implINS0_14default_configELb1EPK6__halfPSL_PKlPlN2at6native12_GLOBAL__N_18offset_tEEE10hipError_tPvRmT1_PNSt15iterator_traitsISZ_E10value_typeET2_T3_PNS10_IS15_E10value_typeET4_jRbjT5_S1B_jjP12ihipStream_tbEUljE_EEESW_SX_SY_S15_S19_S1B_T6_T7_T9_mT8_S1D_bDpT10_ENKUlT_T0_E_clISt17integral_constantIbLb1EES1P_IbLb0EEEEDaS1L_S1M_EUlS1L_E_NS1_11comp_targetILNS1_3genE2ELNS1_11target_archE906ELNS1_3gpuE6ELNS1_3repE0EEENS1_30default_config_static_selectorELNS0_4arch9wavefront6targetE0EEEvSZ_
	.p2align	8
	.type	_ZN7rocprim17ROCPRIM_400000_NS6detail17trampoline_kernelINS0_13select_configILj256ELj13ELNS0_17block_load_methodE3ELS4_3ELS4_3ELNS0_20block_scan_algorithmE0ELj4294967295EEENS1_25partition_config_selectorILNS1_17partition_subalgoE3EjNS0_10empty_typeEbEEZZNS1_14partition_implILS8_3ELb0ES6_jNS0_17counting_iteratorIjlEEPS9_SE_NS0_5tupleIJPjSE_EEENSF_IJSE_SE_EEES9_SG_JZNS1_25segmented_radix_sort_implINS0_14default_configELb1EPK6__halfPSL_PKlPlN2at6native12_GLOBAL__N_18offset_tEEE10hipError_tPvRmT1_PNSt15iterator_traitsISZ_E10value_typeET2_T3_PNS10_IS15_E10value_typeET4_jRbjT5_S1B_jjP12ihipStream_tbEUljE_EEESW_SX_SY_S15_S19_S1B_T6_T7_T9_mT8_S1D_bDpT10_ENKUlT_T0_E_clISt17integral_constantIbLb1EES1P_IbLb0EEEEDaS1L_S1M_EUlS1L_E_NS1_11comp_targetILNS1_3genE2ELNS1_11target_archE906ELNS1_3gpuE6ELNS1_3repE0EEENS1_30default_config_static_selectorELNS0_4arch9wavefront6targetE0EEEvSZ_,@function
_ZN7rocprim17ROCPRIM_400000_NS6detail17trampoline_kernelINS0_13select_configILj256ELj13ELNS0_17block_load_methodE3ELS4_3ELS4_3ELNS0_20block_scan_algorithmE0ELj4294967295EEENS1_25partition_config_selectorILNS1_17partition_subalgoE3EjNS0_10empty_typeEbEEZZNS1_14partition_implILS8_3ELb0ES6_jNS0_17counting_iteratorIjlEEPS9_SE_NS0_5tupleIJPjSE_EEENSF_IJSE_SE_EEES9_SG_JZNS1_25segmented_radix_sort_implINS0_14default_configELb1EPK6__halfPSL_PKlPlN2at6native12_GLOBAL__N_18offset_tEEE10hipError_tPvRmT1_PNSt15iterator_traitsISZ_E10value_typeET2_T3_PNS10_IS15_E10value_typeET4_jRbjT5_S1B_jjP12ihipStream_tbEUljE_EEESW_SX_SY_S15_S19_S1B_T6_T7_T9_mT8_S1D_bDpT10_ENKUlT_T0_E_clISt17integral_constantIbLb1EES1P_IbLb0EEEEDaS1L_S1M_EUlS1L_E_NS1_11comp_targetILNS1_3genE2ELNS1_11target_archE906ELNS1_3gpuE6ELNS1_3repE0EEENS1_30default_config_static_selectorELNS0_4arch9wavefront6targetE0EEEvSZ_: ; @_ZN7rocprim17ROCPRIM_400000_NS6detail17trampoline_kernelINS0_13select_configILj256ELj13ELNS0_17block_load_methodE3ELS4_3ELS4_3ELNS0_20block_scan_algorithmE0ELj4294967295EEENS1_25partition_config_selectorILNS1_17partition_subalgoE3EjNS0_10empty_typeEbEEZZNS1_14partition_implILS8_3ELb0ES6_jNS0_17counting_iteratorIjlEEPS9_SE_NS0_5tupleIJPjSE_EEENSF_IJSE_SE_EEES9_SG_JZNS1_25segmented_radix_sort_implINS0_14default_configELb1EPK6__halfPSL_PKlPlN2at6native12_GLOBAL__N_18offset_tEEE10hipError_tPvRmT1_PNSt15iterator_traitsISZ_E10value_typeET2_T3_PNS10_IS15_E10value_typeET4_jRbjT5_S1B_jjP12ihipStream_tbEUljE_EEESW_SX_SY_S15_S19_S1B_T6_T7_T9_mT8_S1D_bDpT10_ENKUlT_T0_E_clISt17integral_constantIbLb1EES1P_IbLb0EEEEDaS1L_S1M_EUlS1L_E_NS1_11comp_targetILNS1_3genE2ELNS1_11target_archE906ELNS1_3gpuE6ELNS1_3repE0EEENS1_30default_config_static_selectorELNS0_4arch9wavefront6targetE0EEEvSZ_
; %bb.0:
	.section	.rodata,"a",@progbits
	.p2align	6, 0x0
	.amdhsa_kernel _ZN7rocprim17ROCPRIM_400000_NS6detail17trampoline_kernelINS0_13select_configILj256ELj13ELNS0_17block_load_methodE3ELS4_3ELS4_3ELNS0_20block_scan_algorithmE0ELj4294967295EEENS1_25partition_config_selectorILNS1_17partition_subalgoE3EjNS0_10empty_typeEbEEZZNS1_14partition_implILS8_3ELb0ES6_jNS0_17counting_iteratorIjlEEPS9_SE_NS0_5tupleIJPjSE_EEENSF_IJSE_SE_EEES9_SG_JZNS1_25segmented_radix_sort_implINS0_14default_configELb1EPK6__halfPSL_PKlPlN2at6native12_GLOBAL__N_18offset_tEEE10hipError_tPvRmT1_PNSt15iterator_traitsISZ_E10value_typeET2_T3_PNS10_IS15_E10value_typeET4_jRbjT5_S1B_jjP12ihipStream_tbEUljE_EEESW_SX_SY_S15_S19_S1B_T6_T7_T9_mT8_S1D_bDpT10_ENKUlT_T0_E_clISt17integral_constantIbLb1EES1P_IbLb0EEEEDaS1L_S1M_EUlS1L_E_NS1_11comp_targetILNS1_3genE2ELNS1_11target_archE906ELNS1_3gpuE6ELNS1_3repE0EEENS1_30default_config_static_selectorELNS0_4arch9wavefront6targetE0EEEvSZ_
		.amdhsa_group_segment_fixed_size 0
		.amdhsa_private_segment_fixed_size 0
		.amdhsa_kernarg_size 144
		.amdhsa_user_sgpr_count 2
		.amdhsa_user_sgpr_dispatch_ptr 0
		.amdhsa_user_sgpr_queue_ptr 0
		.amdhsa_user_sgpr_kernarg_segment_ptr 1
		.amdhsa_user_sgpr_dispatch_id 0
		.amdhsa_user_sgpr_kernarg_preload_length 0
		.amdhsa_user_sgpr_kernarg_preload_offset 0
		.amdhsa_user_sgpr_private_segment_size 0
		.amdhsa_wavefront_size32 1
		.amdhsa_uses_dynamic_stack 0
		.amdhsa_enable_private_segment 0
		.amdhsa_system_sgpr_workgroup_id_x 1
		.amdhsa_system_sgpr_workgroup_id_y 0
		.amdhsa_system_sgpr_workgroup_id_z 0
		.amdhsa_system_sgpr_workgroup_info 0
		.amdhsa_system_vgpr_workitem_id 0
		.amdhsa_next_free_vgpr 1
		.amdhsa_next_free_sgpr 1
		.amdhsa_named_barrier_count 0
		.amdhsa_reserve_vcc 0
		.amdhsa_float_round_mode_32 0
		.amdhsa_float_round_mode_16_64 0
		.amdhsa_float_denorm_mode_32 3
		.amdhsa_float_denorm_mode_16_64 3
		.amdhsa_fp16_overflow 0
		.amdhsa_memory_ordered 1
		.amdhsa_forward_progress 1
		.amdhsa_inst_pref_size 0
		.amdhsa_round_robin_scheduling 0
		.amdhsa_exception_fp_ieee_invalid_op 0
		.amdhsa_exception_fp_denorm_src 0
		.amdhsa_exception_fp_ieee_div_zero 0
		.amdhsa_exception_fp_ieee_overflow 0
		.amdhsa_exception_fp_ieee_underflow 0
		.amdhsa_exception_fp_ieee_inexact 0
		.amdhsa_exception_int_div_zero 0
	.end_amdhsa_kernel
	.section	.text._ZN7rocprim17ROCPRIM_400000_NS6detail17trampoline_kernelINS0_13select_configILj256ELj13ELNS0_17block_load_methodE3ELS4_3ELS4_3ELNS0_20block_scan_algorithmE0ELj4294967295EEENS1_25partition_config_selectorILNS1_17partition_subalgoE3EjNS0_10empty_typeEbEEZZNS1_14partition_implILS8_3ELb0ES6_jNS0_17counting_iteratorIjlEEPS9_SE_NS0_5tupleIJPjSE_EEENSF_IJSE_SE_EEES9_SG_JZNS1_25segmented_radix_sort_implINS0_14default_configELb1EPK6__halfPSL_PKlPlN2at6native12_GLOBAL__N_18offset_tEEE10hipError_tPvRmT1_PNSt15iterator_traitsISZ_E10value_typeET2_T3_PNS10_IS15_E10value_typeET4_jRbjT5_S1B_jjP12ihipStream_tbEUljE_EEESW_SX_SY_S15_S19_S1B_T6_T7_T9_mT8_S1D_bDpT10_ENKUlT_T0_E_clISt17integral_constantIbLb1EES1P_IbLb0EEEEDaS1L_S1M_EUlS1L_E_NS1_11comp_targetILNS1_3genE2ELNS1_11target_archE906ELNS1_3gpuE6ELNS1_3repE0EEENS1_30default_config_static_selectorELNS0_4arch9wavefront6targetE0EEEvSZ_,"axG",@progbits,_ZN7rocprim17ROCPRIM_400000_NS6detail17trampoline_kernelINS0_13select_configILj256ELj13ELNS0_17block_load_methodE3ELS4_3ELS4_3ELNS0_20block_scan_algorithmE0ELj4294967295EEENS1_25partition_config_selectorILNS1_17partition_subalgoE3EjNS0_10empty_typeEbEEZZNS1_14partition_implILS8_3ELb0ES6_jNS0_17counting_iteratorIjlEEPS9_SE_NS0_5tupleIJPjSE_EEENSF_IJSE_SE_EEES9_SG_JZNS1_25segmented_radix_sort_implINS0_14default_configELb1EPK6__halfPSL_PKlPlN2at6native12_GLOBAL__N_18offset_tEEE10hipError_tPvRmT1_PNSt15iterator_traitsISZ_E10value_typeET2_T3_PNS10_IS15_E10value_typeET4_jRbjT5_S1B_jjP12ihipStream_tbEUljE_EEESW_SX_SY_S15_S19_S1B_T6_T7_T9_mT8_S1D_bDpT10_ENKUlT_T0_E_clISt17integral_constantIbLb1EES1P_IbLb0EEEEDaS1L_S1M_EUlS1L_E_NS1_11comp_targetILNS1_3genE2ELNS1_11target_archE906ELNS1_3gpuE6ELNS1_3repE0EEENS1_30default_config_static_selectorELNS0_4arch9wavefront6targetE0EEEvSZ_,comdat
.Lfunc_end1717:
	.size	_ZN7rocprim17ROCPRIM_400000_NS6detail17trampoline_kernelINS0_13select_configILj256ELj13ELNS0_17block_load_methodE3ELS4_3ELS4_3ELNS0_20block_scan_algorithmE0ELj4294967295EEENS1_25partition_config_selectorILNS1_17partition_subalgoE3EjNS0_10empty_typeEbEEZZNS1_14partition_implILS8_3ELb0ES6_jNS0_17counting_iteratorIjlEEPS9_SE_NS0_5tupleIJPjSE_EEENSF_IJSE_SE_EEES9_SG_JZNS1_25segmented_radix_sort_implINS0_14default_configELb1EPK6__halfPSL_PKlPlN2at6native12_GLOBAL__N_18offset_tEEE10hipError_tPvRmT1_PNSt15iterator_traitsISZ_E10value_typeET2_T3_PNS10_IS15_E10value_typeET4_jRbjT5_S1B_jjP12ihipStream_tbEUljE_EEESW_SX_SY_S15_S19_S1B_T6_T7_T9_mT8_S1D_bDpT10_ENKUlT_T0_E_clISt17integral_constantIbLb1EES1P_IbLb0EEEEDaS1L_S1M_EUlS1L_E_NS1_11comp_targetILNS1_3genE2ELNS1_11target_archE906ELNS1_3gpuE6ELNS1_3repE0EEENS1_30default_config_static_selectorELNS0_4arch9wavefront6targetE0EEEvSZ_, .Lfunc_end1717-_ZN7rocprim17ROCPRIM_400000_NS6detail17trampoline_kernelINS0_13select_configILj256ELj13ELNS0_17block_load_methodE3ELS4_3ELS4_3ELNS0_20block_scan_algorithmE0ELj4294967295EEENS1_25partition_config_selectorILNS1_17partition_subalgoE3EjNS0_10empty_typeEbEEZZNS1_14partition_implILS8_3ELb0ES6_jNS0_17counting_iteratorIjlEEPS9_SE_NS0_5tupleIJPjSE_EEENSF_IJSE_SE_EEES9_SG_JZNS1_25segmented_radix_sort_implINS0_14default_configELb1EPK6__halfPSL_PKlPlN2at6native12_GLOBAL__N_18offset_tEEE10hipError_tPvRmT1_PNSt15iterator_traitsISZ_E10value_typeET2_T3_PNS10_IS15_E10value_typeET4_jRbjT5_S1B_jjP12ihipStream_tbEUljE_EEESW_SX_SY_S15_S19_S1B_T6_T7_T9_mT8_S1D_bDpT10_ENKUlT_T0_E_clISt17integral_constantIbLb1EES1P_IbLb0EEEEDaS1L_S1M_EUlS1L_E_NS1_11comp_targetILNS1_3genE2ELNS1_11target_archE906ELNS1_3gpuE6ELNS1_3repE0EEENS1_30default_config_static_selectorELNS0_4arch9wavefront6targetE0EEEvSZ_
                                        ; -- End function
	.set _ZN7rocprim17ROCPRIM_400000_NS6detail17trampoline_kernelINS0_13select_configILj256ELj13ELNS0_17block_load_methodE3ELS4_3ELS4_3ELNS0_20block_scan_algorithmE0ELj4294967295EEENS1_25partition_config_selectorILNS1_17partition_subalgoE3EjNS0_10empty_typeEbEEZZNS1_14partition_implILS8_3ELb0ES6_jNS0_17counting_iteratorIjlEEPS9_SE_NS0_5tupleIJPjSE_EEENSF_IJSE_SE_EEES9_SG_JZNS1_25segmented_radix_sort_implINS0_14default_configELb1EPK6__halfPSL_PKlPlN2at6native12_GLOBAL__N_18offset_tEEE10hipError_tPvRmT1_PNSt15iterator_traitsISZ_E10value_typeET2_T3_PNS10_IS15_E10value_typeET4_jRbjT5_S1B_jjP12ihipStream_tbEUljE_EEESW_SX_SY_S15_S19_S1B_T6_T7_T9_mT8_S1D_bDpT10_ENKUlT_T0_E_clISt17integral_constantIbLb1EES1P_IbLb0EEEEDaS1L_S1M_EUlS1L_E_NS1_11comp_targetILNS1_3genE2ELNS1_11target_archE906ELNS1_3gpuE6ELNS1_3repE0EEENS1_30default_config_static_selectorELNS0_4arch9wavefront6targetE0EEEvSZ_.num_vgpr, 0
	.set _ZN7rocprim17ROCPRIM_400000_NS6detail17trampoline_kernelINS0_13select_configILj256ELj13ELNS0_17block_load_methodE3ELS4_3ELS4_3ELNS0_20block_scan_algorithmE0ELj4294967295EEENS1_25partition_config_selectorILNS1_17partition_subalgoE3EjNS0_10empty_typeEbEEZZNS1_14partition_implILS8_3ELb0ES6_jNS0_17counting_iteratorIjlEEPS9_SE_NS0_5tupleIJPjSE_EEENSF_IJSE_SE_EEES9_SG_JZNS1_25segmented_radix_sort_implINS0_14default_configELb1EPK6__halfPSL_PKlPlN2at6native12_GLOBAL__N_18offset_tEEE10hipError_tPvRmT1_PNSt15iterator_traitsISZ_E10value_typeET2_T3_PNS10_IS15_E10value_typeET4_jRbjT5_S1B_jjP12ihipStream_tbEUljE_EEESW_SX_SY_S15_S19_S1B_T6_T7_T9_mT8_S1D_bDpT10_ENKUlT_T0_E_clISt17integral_constantIbLb1EES1P_IbLb0EEEEDaS1L_S1M_EUlS1L_E_NS1_11comp_targetILNS1_3genE2ELNS1_11target_archE906ELNS1_3gpuE6ELNS1_3repE0EEENS1_30default_config_static_selectorELNS0_4arch9wavefront6targetE0EEEvSZ_.num_agpr, 0
	.set _ZN7rocprim17ROCPRIM_400000_NS6detail17trampoline_kernelINS0_13select_configILj256ELj13ELNS0_17block_load_methodE3ELS4_3ELS4_3ELNS0_20block_scan_algorithmE0ELj4294967295EEENS1_25partition_config_selectorILNS1_17partition_subalgoE3EjNS0_10empty_typeEbEEZZNS1_14partition_implILS8_3ELb0ES6_jNS0_17counting_iteratorIjlEEPS9_SE_NS0_5tupleIJPjSE_EEENSF_IJSE_SE_EEES9_SG_JZNS1_25segmented_radix_sort_implINS0_14default_configELb1EPK6__halfPSL_PKlPlN2at6native12_GLOBAL__N_18offset_tEEE10hipError_tPvRmT1_PNSt15iterator_traitsISZ_E10value_typeET2_T3_PNS10_IS15_E10value_typeET4_jRbjT5_S1B_jjP12ihipStream_tbEUljE_EEESW_SX_SY_S15_S19_S1B_T6_T7_T9_mT8_S1D_bDpT10_ENKUlT_T0_E_clISt17integral_constantIbLb1EES1P_IbLb0EEEEDaS1L_S1M_EUlS1L_E_NS1_11comp_targetILNS1_3genE2ELNS1_11target_archE906ELNS1_3gpuE6ELNS1_3repE0EEENS1_30default_config_static_selectorELNS0_4arch9wavefront6targetE0EEEvSZ_.numbered_sgpr, 0
	.set _ZN7rocprim17ROCPRIM_400000_NS6detail17trampoline_kernelINS0_13select_configILj256ELj13ELNS0_17block_load_methodE3ELS4_3ELS4_3ELNS0_20block_scan_algorithmE0ELj4294967295EEENS1_25partition_config_selectorILNS1_17partition_subalgoE3EjNS0_10empty_typeEbEEZZNS1_14partition_implILS8_3ELb0ES6_jNS0_17counting_iteratorIjlEEPS9_SE_NS0_5tupleIJPjSE_EEENSF_IJSE_SE_EEES9_SG_JZNS1_25segmented_radix_sort_implINS0_14default_configELb1EPK6__halfPSL_PKlPlN2at6native12_GLOBAL__N_18offset_tEEE10hipError_tPvRmT1_PNSt15iterator_traitsISZ_E10value_typeET2_T3_PNS10_IS15_E10value_typeET4_jRbjT5_S1B_jjP12ihipStream_tbEUljE_EEESW_SX_SY_S15_S19_S1B_T6_T7_T9_mT8_S1D_bDpT10_ENKUlT_T0_E_clISt17integral_constantIbLb1EES1P_IbLb0EEEEDaS1L_S1M_EUlS1L_E_NS1_11comp_targetILNS1_3genE2ELNS1_11target_archE906ELNS1_3gpuE6ELNS1_3repE0EEENS1_30default_config_static_selectorELNS0_4arch9wavefront6targetE0EEEvSZ_.num_named_barrier, 0
	.set _ZN7rocprim17ROCPRIM_400000_NS6detail17trampoline_kernelINS0_13select_configILj256ELj13ELNS0_17block_load_methodE3ELS4_3ELS4_3ELNS0_20block_scan_algorithmE0ELj4294967295EEENS1_25partition_config_selectorILNS1_17partition_subalgoE3EjNS0_10empty_typeEbEEZZNS1_14partition_implILS8_3ELb0ES6_jNS0_17counting_iteratorIjlEEPS9_SE_NS0_5tupleIJPjSE_EEENSF_IJSE_SE_EEES9_SG_JZNS1_25segmented_radix_sort_implINS0_14default_configELb1EPK6__halfPSL_PKlPlN2at6native12_GLOBAL__N_18offset_tEEE10hipError_tPvRmT1_PNSt15iterator_traitsISZ_E10value_typeET2_T3_PNS10_IS15_E10value_typeET4_jRbjT5_S1B_jjP12ihipStream_tbEUljE_EEESW_SX_SY_S15_S19_S1B_T6_T7_T9_mT8_S1D_bDpT10_ENKUlT_T0_E_clISt17integral_constantIbLb1EES1P_IbLb0EEEEDaS1L_S1M_EUlS1L_E_NS1_11comp_targetILNS1_3genE2ELNS1_11target_archE906ELNS1_3gpuE6ELNS1_3repE0EEENS1_30default_config_static_selectorELNS0_4arch9wavefront6targetE0EEEvSZ_.private_seg_size, 0
	.set _ZN7rocprim17ROCPRIM_400000_NS6detail17trampoline_kernelINS0_13select_configILj256ELj13ELNS0_17block_load_methodE3ELS4_3ELS4_3ELNS0_20block_scan_algorithmE0ELj4294967295EEENS1_25partition_config_selectorILNS1_17partition_subalgoE3EjNS0_10empty_typeEbEEZZNS1_14partition_implILS8_3ELb0ES6_jNS0_17counting_iteratorIjlEEPS9_SE_NS0_5tupleIJPjSE_EEENSF_IJSE_SE_EEES9_SG_JZNS1_25segmented_radix_sort_implINS0_14default_configELb1EPK6__halfPSL_PKlPlN2at6native12_GLOBAL__N_18offset_tEEE10hipError_tPvRmT1_PNSt15iterator_traitsISZ_E10value_typeET2_T3_PNS10_IS15_E10value_typeET4_jRbjT5_S1B_jjP12ihipStream_tbEUljE_EEESW_SX_SY_S15_S19_S1B_T6_T7_T9_mT8_S1D_bDpT10_ENKUlT_T0_E_clISt17integral_constantIbLb1EES1P_IbLb0EEEEDaS1L_S1M_EUlS1L_E_NS1_11comp_targetILNS1_3genE2ELNS1_11target_archE906ELNS1_3gpuE6ELNS1_3repE0EEENS1_30default_config_static_selectorELNS0_4arch9wavefront6targetE0EEEvSZ_.uses_vcc, 0
	.set _ZN7rocprim17ROCPRIM_400000_NS6detail17trampoline_kernelINS0_13select_configILj256ELj13ELNS0_17block_load_methodE3ELS4_3ELS4_3ELNS0_20block_scan_algorithmE0ELj4294967295EEENS1_25partition_config_selectorILNS1_17partition_subalgoE3EjNS0_10empty_typeEbEEZZNS1_14partition_implILS8_3ELb0ES6_jNS0_17counting_iteratorIjlEEPS9_SE_NS0_5tupleIJPjSE_EEENSF_IJSE_SE_EEES9_SG_JZNS1_25segmented_radix_sort_implINS0_14default_configELb1EPK6__halfPSL_PKlPlN2at6native12_GLOBAL__N_18offset_tEEE10hipError_tPvRmT1_PNSt15iterator_traitsISZ_E10value_typeET2_T3_PNS10_IS15_E10value_typeET4_jRbjT5_S1B_jjP12ihipStream_tbEUljE_EEESW_SX_SY_S15_S19_S1B_T6_T7_T9_mT8_S1D_bDpT10_ENKUlT_T0_E_clISt17integral_constantIbLb1EES1P_IbLb0EEEEDaS1L_S1M_EUlS1L_E_NS1_11comp_targetILNS1_3genE2ELNS1_11target_archE906ELNS1_3gpuE6ELNS1_3repE0EEENS1_30default_config_static_selectorELNS0_4arch9wavefront6targetE0EEEvSZ_.uses_flat_scratch, 0
	.set _ZN7rocprim17ROCPRIM_400000_NS6detail17trampoline_kernelINS0_13select_configILj256ELj13ELNS0_17block_load_methodE3ELS4_3ELS4_3ELNS0_20block_scan_algorithmE0ELj4294967295EEENS1_25partition_config_selectorILNS1_17partition_subalgoE3EjNS0_10empty_typeEbEEZZNS1_14partition_implILS8_3ELb0ES6_jNS0_17counting_iteratorIjlEEPS9_SE_NS0_5tupleIJPjSE_EEENSF_IJSE_SE_EEES9_SG_JZNS1_25segmented_radix_sort_implINS0_14default_configELb1EPK6__halfPSL_PKlPlN2at6native12_GLOBAL__N_18offset_tEEE10hipError_tPvRmT1_PNSt15iterator_traitsISZ_E10value_typeET2_T3_PNS10_IS15_E10value_typeET4_jRbjT5_S1B_jjP12ihipStream_tbEUljE_EEESW_SX_SY_S15_S19_S1B_T6_T7_T9_mT8_S1D_bDpT10_ENKUlT_T0_E_clISt17integral_constantIbLb1EES1P_IbLb0EEEEDaS1L_S1M_EUlS1L_E_NS1_11comp_targetILNS1_3genE2ELNS1_11target_archE906ELNS1_3gpuE6ELNS1_3repE0EEENS1_30default_config_static_selectorELNS0_4arch9wavefront6targetE0EEEvSZ_.has_dyn_sized_stack, 0
	.set _ZN7rocprim17ROCPRIM_400000_NS6detail17trampoline_kernelINS0_13select_configILj256ELj13ELNS0_17block_load_methodE3ELS4_3ELS4_3ELNS0_20block_scan_algorithmE0ELj4294967295EEENS1_25partition_config_selectorILNS1_17partition_subalgoE3EjNS0_10empty_typeEbEEZZNS1_14partition_implILS8_3ELb0ES6_jNS0_17counting_iteratorIjlEEPS9_SE_NS0_5tupleIJPjSE_EEENSF_IJSE_SE_EEES9_SG_JZNS1_25segmented_radix_sort_implINS0_14default_configELb1EPK6__halfPSL_PKlPlN2at6native12_GLOBAL__N_18offset_tEEE10hipError_tPvRmT1_PNSt15iterator_traitsISZ_E10value_typeET2_T3_PNS10_IS15_E10value_typeET4_jRbjT5_S1B_jjP12ihipStream_tbEUljE_EEESW_SX_SY_S15_S19_S1B_T6_T7_T9_mT8_S1D_bDpT10_ENKUlT_T0_E_clISt17integral_constantIbLb1EES1P_IbLb0EEEEDaS1L_S1M_EUlS1L_E_NS1_11comp_targetILNS1_3genE2ELNS1_11target_archE906ELNS1_3gpuE6ELNS1_3repE0EEENS1_30default_config_static_selectorELNS0_4arch9wavefront6targetE0EEEvSZ_.has_recursion, 0
	.set _ZN7rocprim17ROCPRIM_400000_NS6detail17trampoline_kernelINS0_13select_configILj256ELj13ELNS0_17block_load_methodE3ELS4_3ELS4_3ELNS0_20block_scan_algorithmE0ELj4294967295EEENS1_25partition_config_selectorILNS1_17partition_subalgoE3EjNS0_10empty_typeEbEEZZNS1_14partition_implILS8_3ELb0ES6_jNS0_17counting_iteratorIjlEEPS9_SE_NS0_5tupleIJPjSE_EEENSF_IJSE_SE_EEES9_SG_JZNS1_25segmented_radix_sort_implINS0_14default_configELb1EPK6__halfPSL_PKlPlN2at6native12_GLOBAL__N_18offset_tEEE10hipError_tPvRmT1_PNSt15iterator_traitsISZ_E10value_typeET2_T3_PNS10_IS15_E10value_typeET4_jRbjT5_S1B_jjP12ihipStream_tbEUljE_EEESW_SX_SY_S15_S19_S1B_T6_T7_T9_mT8_S1D_bDpT10_ENKUlT_T0_E_clISt17integral_constantIbLb1EES1P_IbLb0EEEEDaS1L_S1M_EUlS1L_E_NS1_11comp_targetILNS1_3genE2ELNS1_11target_archE906ELNS1_3gpuE6ELNS1_3repE0EEENS1_30default_config_static_selectorELNS0_4arch9wavefront6targetE0EEEvSZ_.has_indirect_call, 0
	.section	.AMDGPU.csdata,"",@progbits
; Kernel info:
; codeLenInByte = 0
; TotalNumSgprs: 0
; NumVgprs: 0
; ScratchSize: 0
; MemoryBound: 0
; FloatMode: 240
; IeeeMode: 1
; LDSByteSize: 0 bytes/workgroup (compile time only)
; SGPRBlocks: 0
; VGPRBlocks: 0
; NumSGPRsForWavesPerEU: 1
; NumVGPRsForWavesPerEU: 1
; NamedBarCnt: 0
; Occupancy: 16
; WaveLimiterHint : 0
; COMPUTE_PGM_RSRC2:SCRATCH_EN: 0
; COMPUTE_PGM_RSRC2:USER_SGPR: 2
; COMPUTE_PGM_RSRC2:TRAP_HANDLER: 0
; COMPUTE_PGM_RSRC2:TGID_X_EN: 1
; COMPUTE_PGM_RSRC2:TGID_Y_EN: 0
; COMPUTE_PGM_RSRC2:TGID_Z_EN: 0
; COMPUTE_PGM_RSRC2:TIDIG_COMP_CNT: 0
	.section	.text._ZN7rocprim17ROCPRIM_400000_NS6detail17trampoline_kernelINS0_13select_configILj256ELj13ELNS0_17block_load_methodE3ELS4_3ELS4_3ELNS0_20block_scan_algorithmE0ELj4294967295EEENS1_25partition_config_selectorILNS1_17partition_subalgoE3EjNS0_10empty_typeEbEEZZNS1_14partition_implILS8_3ELb0ES6_jNS0_17counting_iteratorIjlEEPS9_SE_NS0_5tupleIJPjSE_EEENSF_IJSE_SE_EEES9_SG_JZNS1_25segmented_radix_sort_implINS0_14default_configELb1EPK6__halfPSL_PKlPlN2at6native12_GLOBAL__N_18offset_tEEE10hipError_tPvRmT1_PNSt15iterator_traitsISZ_E10value_typeET2_T3_PNS10_IS15_E10value_typeET4_jRbjT5_S1B_jjP12ihipStream_tbEUljE_EEESW_SX_SY_S15_S19_S1B_T6_T7_T9_mT8_S1D_bDpT10_ENKUlT_T0_E_clISt17integral_constantIbLb1EES1P_IbLb0EEEEDaS1L_S1M_EUlS1L_E_NS1_11comp_targetILNS1_3genE10ELNS1_11target_archE1200ELNS1_3gpuE4ELNS1_3repE0EEENS1_30default_config_static_selectorELNS0_4arch9wavefront6targetE0EEEvSZ_,"axG",@progbits,_ZN7rocprim17ROCPRIM_400000_NS6detail17trampoline_kernelINS0_13select_configILj256ELj13ELNS0_17block_load_methodE3ELS4_3ELS4_3ELNS0_20block_scan_algorithmE0ELj4294967295EEENS1_25partition_config_selectorILNS1_17partition_subalgoE3EjNS0_10empty_typeEbEEZZNS1_14partition_implILS8_3ELb0ES6_jNS0_17counting_iteratorIjlEEPS9_SE_NS0_5tupleIJPjSE_EEENSF_IJSE_SE_EEES9_SG_JZNS1_25segmented_radix_sort_implINS0_14default_configELb1EPK6__halfPSL_PKlPlN2at6native12_GLOBAL__N_18offset_tEEE10hipError_tPvRmT1_PNSt15iterator_traitsISZ_E10value_typeET2_T3_PNS10_IS15_E10value_typeET4_jRbjT5_S1B_jjP12ihipStream_tbEUljE_EEESW_SX_SY_S15_S19_S1B_T6_T7_T9_mT8_S1D_bDpT10_ENKUlT_T0_E_clISt17integral_constantIbLb1EES1P_IbLb0EEEEDaS1L_S1M_EUlS1L_E_NS1_11comp_targetILNS1_3genE10ELNS1_11target_archE1200ELNS1_3gpuE4ELNS1_3repE0EEENS1_30default_config_static_selectorELNS0_4arch9wavefront6targetE0EEEvSZ_,comdat
	.globl	_ZN7rocprim17ROCPRIM_400000_NS6detail17trampoline_kernelINS0_13select_configILj256ELj13ELNS0_17block_load_methodE3ELS4_3ELS4_3ELNS0_20block_scan_algorithmE0ELj4294967295EEENS1_25partition_config_selectorILNS1_17partition_subalgoE3EjNS0_10empty_typeEbEEZZNS1_14partition_implILS8_3ELb0ES6_jNS0_17counting_iteratorIjlEEPS9_SE_NS0_5tupleIJPjSE_EEENSF_IJSE_SE_EEES9_SG_JZNS1_25segmented_radix_sort_implINS0_14default_configELb1EPK6__halfPSL_PKlPlN2at6native12_GLOBAL__N_18offset_tEEE10hipError_tPvRmT1_PNSt15iterator_traitsISZ_E10value_typeET2_T3_PNS10_IS15_E10value_typeET4_jRbjT5_S1B_jjP12ihipStream_tbEUljE_EEESW_SX_SY_S15_S19_S1B_T6_T7_T9_mT8_S1D_bDpT10_ENKUlT_T0_E_clISt17integral_constantIbLb1EES1P_IbLb0EEEEDaS1L_S1M_EUlS1L_E_NS1_11comp_targetILNS1_3genE10ELNS1_11target_archE1200ELNS1_3gpuE4ELNS1_3repE0EEENS1_30default_config_static_selectorELNS0_4arch9wavefront6targetE0EEEvSZ_ ; -- Begin function _ZN7rocprim17ROCPRIM_400000_NS6detail17trampoline_kernelINS0_13select_configILj256ELj13ELNS0_17block_load_methodE3ELS4_3ELS4_3ELNS0_20block_scan_algorithmE0ELj4294967295EEENS1_25partition_config_selectorILNS1_17partition_subalgoE3EjNS0_10empty_typeEbEEZZNS1_14partition_implILS8_3ELb0ES6_jNS0_17counting_iteratorIjlEEPS9_SE_NS0_5tupleIJPjSE_EEENSF_IJSE_SE_EEES9_SG_JZNS1_25segmented_radix_sort_implINS0_14default_configELb1EPK6__halfPSL_PKlPlN2at6native12_GLOBAL__N_18offset_tEEE10hipError_tPvRmT1_PNSt15iterator_traitsISZ_E10value_typeET2_T3_PNS10_IS15_E10value_typeET4_jRbjT5_S1B_jjP12ihipStream_tbEUljE_EEESW_SX_SY_S15_S19_S1B_T6_T7_T9_mT8_S1D_bDpT10_ENKUlT_T0_E_clISt17integral_constantIbLb1EES1P_IbLb0EEEEDaS1L_S1M_EUlS1L_E_NS1_11comp_targetILNS1_3genE10ELNS1_11target_archE1200ELNS1_3gpuE4ELNS1_3repE0EEENS1_30default_config_static_selectorELNS0_4arch9wavefront6targetE0EEEvSZ_
	.p2align	8
	.type	_ZN7rocprim17ROCPRIM_400000_NS6detail17trampoline_kernelINS0_13select_configILj256ELj13ELNS0_17block_load_methodE3ELS4_3ELS4_3ELNS0_20block_scan_algorithmE0ELj4294967295EEENS1_25partition_config_selectorILNS1_17partition_subalgoE3EjNS0_10empty_typeEbEEZZNS1_14partition_implILS8_3ELb0ES6_jNS0_17counting_iteratorIjlEEPS9_SE_NS0_5tupleIJPjSE_EEENSF_IJSE_SE_EEES9_SG_JZNS1_25segmented_radix_sort_implINS0_14default_configELb1EPK6__halfPSL_PKlPlN2at6native12_GLOBAL__N_18offset_tEEE10hipError_tPvRmT1_PNSt15iterator_traitsISZ_E10value_typeET2_T3_PNS10_IS15_E10value_typeET4_jRbjT5_S1B_jjP12ihipStream_tbEUljE_EEESW_SX_SY_S15_S19_S1B_T6_T7_T9_mT8_S1D_bDpT10_ENKUlT_T0_E_clISt17integral_constantIbLb1EES1P_IbLb0EEEEDaS1L_S1M_EUlS1L_E_NS1_11comp_targetILNS1_3genE10ELNS1_11target_archE1200ELNS1_3gpuE4ELNS1_3repE0EEENS1_30default_config_static_selectorELNS0_4arch9wavefront6targetE0EEEvSZ_,@function
_ZN7rocprim17ROCPRIM_400000_NS6detail17trampoline_kernelINS0_13select_configILj256ELj13ELNS0_17block_load_methodE3ELS4_3ELS4_3ELNS0_20block_scan_algorithmE0ELj4294967295EEENS1_25partition_config_selectorILNS1_17partition_subalgoE3EjNS0_10empty_typeEbEEZZNS1_14partition_implILS8_3ELb0ES6_jNS0_17counting_iteratorIjlEEPS9_SE_NS0_5tupleIJPjSE_EEENSF_IJSE_SE_EEES9_SG_JZNS1_25segmented_radix_sort_implINS0_14default_configELb1EPK6__halfPSL_PKlPlN2at6native12_GLOBAL__N_18offset_tEEE10hipError_tPvRmT1_PNSt15iterator_traitsISZ_E10value_typeET2_T3_PNS10_IS15_E10value_typeET4_jRbjT5_S1B_jjP12ihipStream_tbEUljE_EEESW_SX_SY_S15_S19_S1B_T6_T7_T9_mT8_S1D_bDpT10_ENKUlT_T0_E_clISt17integral_constantIbLb1EES1P_IbLb0EEEEDaS1L_S1M_EUlS1L_E_NS1_11comp_targetILNS1_3genE10ELNS1_11target_archE1200ELNS1_3gpuE4ELNS1_3repE0EEENS1_30default_config_static_selectorELNS0_4arch9wavefront6targetE0EEEvSZ_: ; @_ZN7rocprim17ROCPRIM_400000_NS6detail17trampoline_kernelINS0_13select_configILj256ELj13ELNS0_17block_load_methodE3ELS4_3ELS4_3ELNS0_20block_scan_algorithmE0ELj4294967295EEENS1_25partition_config_selectorILNS1_17partition_subalgoE3EjNS0_10empty_typeEbEEZZNS1_14partition_implILS8_3ELb0ES6_jNS0_17counting_iteratorIjlEEPS9_SE_NS0_5tupleIJPjSE_EEENSF_IJSE_SE_EEES9_SG_JZNS1_25segmented_radix_sort_implINS0_14default_configELb1EPK6__halfPSL_PKlPlN2at6native12_GLOBAL__N_18offset_tEEE10hipError_tPvRmT1_PNSt15iterator_traitsISZ_E10value_typeET2_T3_PNS10_IS15_E10value_typeET4_jRbjT5_S1B_jjP12ihipStream_tbEUljE_EEESW_SX_SY_S15_S19_S1B_T6_T7_T9_mT8_S1D_bDpT10_ENKUlT_T0_E_clISt17integral_constantIbLb1EES1P_IbLb0EEEEDaS1L_S1M_EUlS1L_E_NS1_11comp_targetILNS1_3genE10ELNS1_11target_archE1200ELNS1_3gpuE4ELNS1_3repE0EEENS1_30default_config_static_selectorELNS0_4arch9wavefront6targetE0EEEvSZ_
; %bb.0:
	.section	.rodata,"a",@progbits
	.p2align	6, 0x0
	.amdhsa_kernel _ZN7rocprim17ROCPRIM_400000_NS6detail17trampoline_kernelINS0_13select_configILj256ELj13ELNS0_17block_load_methodE3ELS4_3ELS4_3ELNS0_20block_scan_algorithmE0ELj4294967295EEENS1_25partition_config_selectorILNS1_17partition_subalgoE3EjNS0_10empty_typeEbEEZZNS1_14partition_implILS8_3ELb0ES6_jNS0_17counting_iteratorIjlEEPS9_SE_NS0_5tupleIJPjSE_EEENSF_IJSE_SE_EEES9_SG_JZNS1_25segmented_radix_sort_implINS0_14default_configELb1EPK6__halfPSL_PKlPlN2at6native12_GLOBAL__N_18offset_tEEE10hipError_tPvRmT1_PNSt15iterator_traitsISZ_E10value_typeET2_T3_PNS10_IS15_E10value_typeET4_jRbjT5_S1B_jjP12ihipStream_tbEUljE_EEESW_SX_SY_S15_S19_S1B_T6_T7_T9_mT8_S1D_bDpT10_ENKUlT_T0_E_clISt17integral_constantIbLb1EES1P_IbLb0EEEEDaS1L_S1M_EUlS1L_E_NS1_11comp_targetILNS1_3genE10ELNS1_11target_archE1200ELNS1_3gpuE4ELNS1_3repE0EEENS1_30default_config_static_selectorELNS0_4arch9wavefront6targetE0EEEvSZ_
		.amdhsa_group_segment_fixed_size 0
		.amdhsa_private_segment_fixed_size 0
		.amdhsa_kernarg_size 144
		.amdhsa_user_sgpr_count 2
		.amdhsa_user_sgpr_dispatch_ptr 0
		.amdhsa_user_sgpr_queue_ptr 0
		.amdhsa_user_sgpr_kernarg_segment_ptr 1
		.amdhsa_user_sgpr_dispatch_id 0
		.amdhsa_user_sgpr_kernarg_preload_length 0
		.amdhsa_user_sgpr_kernarg_preload_offset 0
		.amdhsa_user_sgpr_private_segment_size 0
		.amdhsa_wavefront_size32 1
		.amdhsa_uses_dynamic_stack 0
		.amdhsa_enable_private_segment 0
		.amdhsa_system_sgpr_workgroup_id_x 1
		.amdhsa_system_sgpr_workgroup_id_y 0
		.amdhsa_system_sgpr_workgroup_id_z 0
		.amdhsa_system_sgpr_workgroup_info 0
		.amdhsa_system_vgpr_workitem_id 0
		.amdhsa_next_free_vgpr 1
		.amdhsa_next_free_sgpr 1
		.amdhsa_named_barrier_count 0
		.amdhsa_reserve_vcc 0
		.amdhsa_float_round_mode_32 0
		.amdhsa_float_round_mode_16_64 0
		.amdhsa_float_denorm_mode_32 3
		.amdhsa_float_denorm_mode_16_64 3
		.amdhsa_fp16_overflow 0
		.amdhsa_memory_ordered 1
		.amdhsa_forward_progress 1
		.amdhsa_inst_pref_size 0
		.amdhsa_round_robin_scheduling 0
		.amdhsa_exception_fp_ieee_invalid_op 0
		.amdhsa_exception_fp_denorm_src 0
		.amdhsa_exception_fp_ieee_div_zero 0
		.amdhsa_exception_fp_ieee_overflow 0
		.amdhsa_exception_fp_ieee_underflow 0
		.amdhsa_exception_fp_ieee_inexact 0
		.amdhsa_exception_int_div_zero 0
	.end_amdhsa_kernel
	.section	.text._ZN7rocprim17ROCPRIM_400000_NS6detail17trampoline_kernelINS0_13select_configILj256ELj13ELNS0_17block_load_methodE3ELS4_3ELS4_3ELNS0_20block_scan_algorithmE0ELj4294967295EEENS1_25partition_config_selectorILNS1_17partition_subalgoE3EjNS0_10empty_typeEbEEZZNS1_14partition_implILS8_3ELb0ES6_jNS0_17counting_iteratorIjlEEPS9_SE_NS0_5tupleIJPjSE_EEENSF_IJSE_SE_EEES9_SG_JZNS1_25segmented_radix_sort_implINS0_14default_configELb1EPK6__halfPSL_PKlPlN2at6native12_GLOBAL__N_18offset_tEEE10hipError_tPvRmT1_PNSt15iterator_traitsISZ_E10value_typeET2_T3_PNS10_IS15_E10value_typeET4_jRbjT5_S1B_jjP12ihipStream_tbEUljE_EEESW_SX_SY_S15_S19_S1B_T6_T7_T9_mT8_S1D_bDpT10_ENKUlT_T0_E_clISt17integral_constantIbLb1EES1P_IbLb0EEEEDaS1L_S1M_EUlS1L_E_NS1_11comp_targetILNS1_3genE10ELNS1_11target_archE1200ELNS1_3gpuE4ELNS1_3repE0EEENS1_30default_config_static_selectorELNS0_4arch9wavefront6targetE0EEEvSZ_,"axG",@progbits,_ZN7rocprim17ROCPRIM_400000_NS6detail17trampoline_kernelINS0_13select_configILj256ELj13ELNS0_17block_load_methodE3ELS4_3ELS4_3ELNS0_20block_scan_algorithmE0ELj4294967295EEENS1_25partition_config_selectorILNS1_17partition_subalgoE3EjNS0_10empty_typeEbEEZZNS1_14partition_implILS8_3ELb0ES6_jNS0_17counting_iteratorIjlEEPS9_SE_NS0_5tupleIJPjSE_EEENSF_IJSE_SE_EEES9_SG_JZNS1_25segmented_radix_sort_implINS0_14default_configELb1EPK6__halfPSL_PKlPlN2at6native12_GLOBAL__N_18offset_tEEE10hipError_tPvRmT1_PNSt15iterator_traitsISZ_E10value_typeET2_T3_PNS10_IS15_E10value_typeET4_jRbjT5_S1B_jjP12ihipStream_tbEUljE_EEESW_SX_SY_S15_S19_S1B_T6_T7_T9_mT8_S1D_bDpT10_ENKUlT_T0_E_clISt17integral_constantIbLb1EES1P_IbLb0EEEEDaS1L_S1M_EUlS1L_E_NS1_11comp_targetILNS1_3genE10ELNS1_11target_archE1200ELNS1_3gpuE4ELNS1_3repE0EEENS1_30default_config_static_selectorELNS0_4arch9wavefront6targetE0EEEvSZ_,comdat
.Lfunc_end1718:
	.size	_ZN7rocprim17ROCPRIM_400000_NS6detail17trampoline_kernelINS0_13select_configILj256ELj13ELNS0_17block_load_methodE3ELS4_3ELS4_3ELNS0_20block_scan_algorithmE0ELj4294967295EEENS1_25partition_config_selectorILNS1_17partition_subalgoE3EjNS0_10empty_typeEbEEZZNS1_14partition_implILS8_3ELb0ES6_jNS0_17counting_iteratorIjlEEPS9_SE_NS0_5tupleIJPjSE_EEENSF_IJSE_SE_EEES9_SG_JZNS1_25segmented_radix_sort_implINS0_14default_configELb1EPK6__halfPSL_PKlPlN2at6native12_GLOBAL__N_18offset_tEEE10hipError_tPvRmT1_PNSt15iterator_traitsISZ_E10value_typeET2_T3_PNS10_IS15_E10value_typeET4_jRbjT5_S1B_jjP12ihipStream_tbEUljE_EEESW_SX_SY_S15_S19_S1B_T6_T7_T9_mT8_S1D_bDpT10_ENKUlT_T0_E_clISt17integral_constantIbLb1EES1P_IbLb0EEEEDaS1L_S1M_EUlS1L_E_NS1_11comp_targetILNS1_3genE10ELNS1_11target_archE1200ELNS1_3gpuE4ELNS1_3repE0EEENS1_30default_config_static_selectorELNS0_4arch9wavefront6targetE0EEEvSZ_, .Lfunc_end1718-_ZN7rocprim17ROCPRIM_400000_NS6detail17trampoline_kernelINS0_13select_configILj256ELj13ELNS0_17block_load_methodE3ELS4_3ELS4_3ELNS0_20block_scan_algorithmE0ELj4294967295EEENS1_25partition_config_selectorILNS1_17partition_subalgoE3EjNS0_10empty_typeEbEEZZNS1_14partition_implILS8_3ELb0ES6_jNS0_17counting_iteratorIjlEEPS9_SE_NS0_5tupleIJPjSE_EEENSF_IJSE_SE_EEES9_SG_JZNS1_25segmented_radix_sort_implINS0_14default_configELb1EPK6__halfPSL_PKlPlN2at6native12_GLOBAL__N_18offset_tEEE10hipError_tPvRmT1_PNSt15iterator_traitsISZ_E10value_typeET2_T3_PNS10_IS15_E10value_typeET4_jRbjT5_S1B_jjP12ihipStream_tbEUljE_EEESW_SX_SY_S15_S19_S1B_T6_T7_T9_mT8_S1D_bDpT10_ENKUlT_T0_E_clISt17integral_constantIbLb1EES1P_IbLb0EEEEDaS1L_S1M_EUlS1L_E_NS1_11comp_targetILNS1_3genE10ELNS1_11target_archE1200ELNS1_3gpuE4ELNS1_3repE0EEENS1_30default_config_static_selectorELNS0_4arch9wavefront6targetE0EEEvSZ_
                                        ; -- End function
	.set _ZN7rocprim17ROCPRIM_400000_NS6detail17trampoline_kernelINS0_13select_configILj256ELj13ELNS0_17block_load_methodE3ELS4_3ELS4_3ELNS0_20block_scan_algorithmE0ELj4294967295EEENS1_25partition_config_selectorILNS1_17partition_subalgoE3EjNS0_10empty_typeEbEEZZNS1_14partition_implILS8_3ELb0ES6_jNS0_17counting_iteratorIjlEEPS9_SE_NS0_5tupleIJPjSE_EEENSF_IJSE_SE_EEES9_SG_JZNS1_25segmented_radix_sort_implINS0_14default_configELb1EPK6__halfPSL_PKlPlN2at6native12_GLOBAL__N_18offset_tEEE10hipError_tPvRmT1_PNSt15iterator_traitsISZ_E10value_typeET2_T3_PNS10_IS15_E10value_typeET4_jRbjT5_S1B_jjP12ihipStream_tbEUljE_EEESW_SX_SY_S15_S19_S1B_T6_T7_T9_mT8_S1D_bDpT10_ENKUlT_T0_E_clISt17integral_constantIbLb1EES1P_IbLb0EEEEDaS1L_S1M_EUlS1L_E_NS1_11comp_targetILNS1_3genE10ELNS1_11target_archE1200ELNS1_3gpuE4ELNS1_3repE0EEENS1_30default_config_static_selectorELNS0_4arch9wavefront6targetE0EEEvSZ_.num_vgpr, 0
	.set _ZN7rocprim17ROCPRIM_400000_NS6detail17trampoline_kernelINS0_13select_configILj256ELj13ELNS0_17block_load_methodE3ELS4_3ELS4_3ELNS0_20block_scan_algorithmE0ELj4294967295EEENS1_25partition_config_selectorILNS1_17partition_subalgoE3EjNS0_10empty_typeEbEEZZNS1_14partition_implILS8_3ELb0ES6_jNS0_17counting_iteratorIjlEEPS9_SE_NS0_5tupleIJPjSE_EEENSF_IJSE_SE_EEES9_SG_JZNS1_25segmented_radix_sort_implINS0_14default_configELb1EPK6__halfPSL_PKlPlN2at6native12_GLOBAL__N_18offset_tEEE10hipError_tPvRmT1_PNSt15iterator_traitsISZ_E10value_typeET2_T3_PNS10_IS15_E10value_typeET4_jRbjT5_S1B_jjP12ihipStream_tbEUljE_EEESW_SX_SY_S15_S19_S1B_T6_T7_T9_mT8_S1D_bDpT10_ENKUlT_T0_E_clISt17integral_constantIbLb1EES1P_IbLb0EEEEDaS1L_S1M_EUlS1L_E_NS1_11comp_targetILNS1_3genE10ELNS1_11target_archE1200ELNS1_3gpuE4ELNS1_3repE0EEENS1_30default_config_static_selectorELNS0_4arch9wavefront6targetE0EEEvSZ_.num_agpr, 0
	.set _ZN7rocprim17ROCPRIM_400000_NS6detail17trampoline_kernelINS0_13select_configILj256ELj13ELNS0_17block_load_methodE3ELS4_3ELS4_3ELNS0_20block_scan_algorithmE0ELj4294967295EEENS1_25partition_config_selectorILNS1_17partition_subalgoE3EjNS0_10empty_typeEbEEZZNS1_14partition_implILS8_3ELb0ES6_jNS0_17counting_iteratorIjlEEPS9_SE_NS0_5tupleIJPjSE_EEENSF_IJSE_SE_EEES9_SG_JZNS1_25segmented_radix_sort_implINS0_14default_configELb1EPK6__halfPSL_PKlPlN2at6native12_GLOBAL__N_18offset_tEEE10hipError_tPvRmT1_PNSt15iterator_traitsISZ_E10value_typeET2_T3_PNS10_IS15_E10value_typeET4_jRbjT5_S1B_jjP12ihipStream_tbEUljE_EEESW_SX_SY_S15_S19_S1B_T6_T7_T9_mT8_S1D_bDpT10_ENKUlT_T0_E_clISt17integral_constantIbLb1EES1P_IbLb0EEEEDaS1L_S1M_EUlS1L_E_NS1_11comp_targetILNS1_3genE10ELNS1_11target_archE1200ELNS1_3gpuE4ELNS1_3repE0EEENS1_30default_config_static_selectorELNS0_4arch9wavefront6targetE0EEEvSZ_.numbered_sgpr, 0
	.set _ZN7rocprim17ROCPRIM_400000_NS6detail17trampoline_kernelINS0_13select_configILj256ELj13ELNS0_17block_load_methodE3ELS4_3ELS4_3ELNS0_20block_scan_algorithmE0ELj4294967295EEENS1_25partition_config_selectorILNS1_17partition_subalgoE3EjNS0_10empty_typeEbEEZZNS1_14partition_implILS8_3ELb0ES6_jNS0_17counting_iteratorIjlEEPS9_SE_NS0_5tupleIJPjSE_EEENSF_IJSE_SE_EEES9_SG_JZNS1_25segmented_radix_sort_implINS0_14default_configELb1EPK6__halfPSL_PKlPlN2at6native12_GLOBAL__N_18offset_tEEE10hipError_tPvRmT1_PNSt15iterator_traitsISZ_E10value_typeET2_T3_PNS10_IS15_E10value_typeET4_jRbjT5_S1B_jjP12ihipStream_tbEUljE_EEESW_SX_SY_S15_S19_S1B_T6_T7_T9_mT8_S1D_bDpT10_ENKUlT_T0_E_clISt17integral_constantIbLb1EES1P_IbLb0EEEEDaS1L_S1M_EUlS1L_E_NS1_11comp_targetILNS1_3genE10ELNS1_11target_archE1200ELNS1_3gpuE4ELNS1_3repE0EEENS1_30default_config_static_selectorELNS0_4arch9wavefront6targetE0EEEvSZ_.num_named_barrier, 0
	.set _ZN7rocprim17ROCPRIM_400000_NS6detail17trampoline_kernelINS0_13select_configILj256ELj13ELNS0_17block_load_methodE3ELS4_3ELS4_3ELNS0_20block_scan_algorithmE0ELj4294967295EEENS1_25partition_config_selectorILNS1_17partition_subalgoE3EjNS0_10empty_typeEbEEZZNS1_14partition_implILS8_3ELb0ES6_jNS0_17counting_iteratorIjlEEPS9_SE_NS0_5tupleIJPjSE_EEENSF_IJSE_SE_EEES9_SG_JZNS1_25segmented_radix_sort_implINS0_14default_configELb1EPK6__halfPSL_PKlPlN2at6native12_GLOBAL__N_18offset_tEEE10hipError_tPvRmT1_PNSt15iterator_traitsISZ_E10value_typeET2_T3_PNS10_IS15_E10value_typeET4_jRbjT5_S1B_jjP12ihipStream_tbEUljE_EEESW_SX_SY_S15_S19_S1B_T6_T7_T9_mT8_S1D_bDpT10_ENKUlT_T0_E_clISt17integral_constantIbLb1EES1P_IbLb0EEEEDaS1L_S1M_EUlS1L_E_NS1_11comp_targetILNS1_3genE10ELNS1_11target_archE1200ELNS1_3gpuE4ELNS1_3repE0EEENS1_30default_config_static_selectorELNS0_4arch9wavefront6targetE0EEEvSZ_.private_seg_size, 0
	.set _ZN7rocprim17ROCPRIM_400000_NS6detail17trampoline_kernelINS0_13select_configILj256ELj13ELNS0_17block_load_methodE3ELS4_3ELS4_3ELNS0_20block_scan_algorithmE0ELj4294967295EEENS1_25partition_config_selectorILNS1_17partition_subalgoE3EjNS0_10empty_typeEbEEZZNS1_14partition_implILS8_3ELb0ES6_jNS0_17counting_iteratorIjlEEPS9_SE_NS0_5tupleIJPjSE_EEENSF_IJSE_SE_EEES9_SG_JZNS1_25segmented_radix_sort_implINS0_14default_configELb1EPK6__halfPSL_PKlPlN2at6native12_GLOBAL__N_18offset_tEEE10hipError_tPvRmT1_PNSt15iterator_traitsISZ_E10value_typeET2_T3_PNS10_IS15_E10value_typeET4_jRbjT5_S1B_jjP12ihipStream_tbEUljE_EEESW_SX_SY_S15_S19_S1B_T6_T7_T9_mT8_S1D_bDpT10_ENKUlT_T0_E_clISt17integral_constantIbLb1EES1P_IbLb0EEEEDaS1L_S1M_EUlS1L_E_NS1_11comp_targetILNS1_3genE10ELNS1_11target_archE1200ELNS1_3gpuE4ELNS1_3repE0EEENS1_30default_config_static_selectorELNS0_4arch9wavefront6targetE0EEEvSZ_.uses_vcc, 0
	.set _ZN7rocprim17ROCPRIM_400000_NS6detail17trampoline_kernelINS0_13select_configILj256ELj13ELNS0_17block_load_methodE3ELS4_3ELS4_3ELNS0_20block_scan_algorithmE0ELj4294967295EEENS1_25partition_config_selectorILNS1_17partition_subalgoE3EjNS0_10empty_typeEbEEZZNS1_14partition_implILS8_3ELb0ES6_jNS0_17counting_iteratorIjlEEPS9_SE_NS0_5tupleIJPjSE_EEENSF_IJSE_SE_EEES9_SG_JZNS1_25segmented_radix_sort_implINS0_14default_configELb1EPK6__halfPSL_PKlPlN2at6native12_GLOBAL__N_18offset_tEEE10hipError_tPvRmT1_PNSt15iterator_traitsISZ_E10value_typeET2_T3_PNS10_IS15_E10value_typeET4_jRbjT5_S1B_jjP12ihipStream_tbEUljE_EEESW_SX_SY_S15_S19_S1B_T6_T7_T9_mT8_S1D_bDpT10_ENKUlT_T0_E_clISt17integral_constantIbLb1EES1P_IbLb0EEEEDaS1L_S1M_EUlS1L_E_NS1_11comp_targetILNS1_3genE10ELNS1_11target_archE1200ELNS1_3gpuE4ELNS1_3repE0EEENS1_30default_config_static_selectorELNS0_4arch9wavefront6targetE0EEEvSZ_.uses_flat_scratch, 0
	.set _ZN7rocprim17ROCPRIM_400000_NS6detail17trampoline_kernelINS0_13select_configILj256ELj13ELNS0_17block_load_methodE3ELS4_3ELS4_3ELNS0_20block_scan_algorithmE0ELj4294967295EEENS1_25partition_config_selectorILNS1_17partition_subalgoE3EjNS0_10empty_typeEbEEZZNS1_14partition_implILS8_3ELb0ES6_jNS0_17counting_iteratorIjlEEPS9_SE_NS0_5tupleIJPjSE_EEENSF_IJSE_SE_EEES9_SG_JZNS1_25segmented_radix_sort_implINS0_14default_configELb1EPK6__halfPSL_PKlPlN2at6native12_GLOBAL__N_18offset_tEEE10hipError_tPvRmT1_PNSt15iterator_traitsISZ_E10value_typeET2_T3_PNS10_IS15_E10value_typeET4_jRbjT5_S1B_jjP12ihipStream_tbEUljE_EEESW_SX_SY_S15_S19_S1B_T6_T7_T9_mT8_S1D_bDpT10_ENKUlT_T0_E_clISt17integral_constantIbLb1EES1P_IbLb0EEEEDaS1L_S1M_EUlS1L_E_NS1_11comp_targetILNS1_3genE10ELNS1_11target_archE1200ELNS1_3gpuE4ELNS1_3repE0EEENS1_30default_config_static_selectorELNS0_4arch9wavefront6targetE0EEEvSZ_.has_dyn_sized_stack, 0
	.set _ZN7rocprim17ROCPRIM_400000_NS6detail17trampoline_kernelINS0_13select_configILj256ELj13ELNS0_17block_load_methodE3ELS4_3ELS4_3ELNS0_20block_scan_algorithmE0ELj4294967295EEENS1_25partition_config_selectorILNS1_17partition_subalgoE3EjNS0_10empty_typeEbEEZZNS1_14partition_implILS8_3ELb0ES6_jNS0_17counting_iteratorIjlEEPS9_SE_NS0_5tupleIJPjSE_EEENSF_IJSE_SE_EEES9_SG_JZNS1_25segmented_radix_sort_implINS0_14default_configELb1EPK6__halfPSL_PKlPlN2at6native12_GLOBAL__N_18offset_tEEE10hipError_tPvRmT1_PNSt15iterator_traitsISZ_E10value_typeET2_T3_PNS10_IS15_E10value_typeET4_jRbjT5_S1B_jjP12ihipStream_tbEUljE_EEESW_SX_SY_S15_S19_S1B_T6_T7_T9_mT8_S1D_bDpT10_ENKUlT_T0_E_clISt17integral_constantIbLb1EES1P_IbLb0EEEEDaS1L_S1M_EUlS1L_E_NS1_11comp_targetILNS1_3genE10ELNS1_11target_archE1200ELNS1_3gpuE4ELNS1_3repE0EEENS1_30default_config_static_selectorELNS0_4arch9wavefront6targetE0EEEvSZ_.has_recursion, 0
	.set _ZN7rocprim17ROCPRIM_400000_NS6detail17trampoline_kernelINS0_13select_configILj256ELj13ELNS0_17block_load_methodE3ELS4_3ELS4_3ELNS0_20block_scan_algorithmE0ELj4294967295EEENS1_25partition_config_selectorILNS1_17partition_subalgoE3EjNS0_10empty_typeEbEEZZNS1_14partition_implILS8_3ELb0ES6_jNS0_17counting_iteratorIjlEEPS9_SE_NS0_5tupleIJPjSE_EEENSF_IJSE_SE_EEES9_SG_JZNS1_25segmented_radix_sort_implINS0_14default_configELb1EPK6__halfPSL_PKlPlN2at6native12_GLOBAL__N_18offset_tEEE10hipError_tPvRmT1_PNSt15iterator_traitsISZ_E10value_typeET2_T3_PNS10_IS15_E10value_typeET4_jRbjT5_S1B_jjP12ihipStream_tbEUljE_EEESW_SX_SY_S15_S19_S1B_T6_T7_T9_mT8_S1D_bDpT10_ENKUlT_T0_E_clISt17integral_constantIbLb1EES1P_IbLb0EEEEDaS1L_S1M_EUlS1L_E_NS1_11comp_targetILNS1_3genE10ELNS1_11target_archE1200ELNS1_3gpuE4ELNS1_3repE0EEENS1_30default_config_static_selectorELNS0_4arch9wavefront6targetE0EEEvSZ_.has_indirect_call, 0
	.section	.AMDGPU.csdata,"",@progbits
; Kernel info:
; codeLenInByte = 0
; TotalNumSgprs: 0
; NumVgprs: 0
; ScratchSize: 0
; MemoryBound: 0
; FloatMode: 240
; IeeeMode: 1
; LDSByteSize: 0 bytes/workgroup (compile time only)
; SGPRBlocks: 0
; VGPRBlocks: 0
; NumSGPRsForWavesPerEU: 1
; NumVGPRsForWavesPerEU: 1
; NamedBarCnt: 0
; Occupancy: 16
; WaveLimiterHint : 0
; COMPUTE_PGM_RSRC2:SCRATCH_EN: 0
; COMPUTE_PGM_RSRC2:USER_SGPR: 2
; COMPUTE_PGM_RSRC2:TRAP_HANDLER: 0
; COMPUTE_PGM_RSRC2:TGID_X_EN: 1
; COMPUTE_PGM_RSRC2:TGID_Y_EN: 0
; COMPUTE_PGM_RSRC2:TGID_Z_EN: 0
; COMPUTE_PGM_RSRC2:TIDIG_COMP_CNT: 0
	.section	.text._ZN7rocprim17ROCPRIM_400000_NS6detail17trampoline_kernelINS0_13select_configILj256ELj13ELNS0_17block_load_methodE3ELS4_3ELS4_3ELNS0_20block_scan_algorithmE0ELj4294967295EEENS1_25partition_config_selectorILNS1_17partition_subalgoE3EjNS0_10empty_typeEbEEZZNS1_14partition_implILS8_3ELb0ES6_jNS0_17counting_iteratorIjlEEPS9_SE_NS0_5tupleIJPjSE_EEENSF_IJSE_SE_EEES9_SG_JZNS1_25segmented_radix_sort_implINS0_14default_configELb1EPK6__halfPSL_PKlPlN2at6native12_GLOBAL__N_18offset_tEEE10hipError_tPvRmT1_PNSt15iterator_traitsISZ_E10value_typeET2_T3_PNS10_IS15_E10value_typeET4_jRbjT5_S1B_jjP12ihipStream_tbEUljE_EEESW_SX_SY_S15_S19_S1B_T6_T7_T9_mT8_S1D_bDpT10_ENKUlT_T0_E_clISt17integral_constantIbLb1EES1P_IbLb0EEEEDaS1L_S1M_EUlS1L_E_NS1_11comp_targetILNS1_3genE9ELNS1_11target_archE1100ELNS1_3gpuE3ELNS1_3repE0EEENS1_30default_config_static_selectorELNS0_4arch9wavefront6targetE0EEEvSZ_,"axG",@progbits,_ZN7rocprim17ROCPRIM_400000_NS6detail17trampoline_kernelINS0_13select_configILj256ELj13ELNS0_17block_load_methodE3ELS4_3ELS4_3ELNS0_20block_scan_algorithmE0ELj4294967295EEENS1_25partition_config_selectorILNS1_17partition_subalgoE3EjNS0_10empty_typeEbEEZZNS1_14partition_implILS8_3ELb0ES6_jNS0_17counting_iteratorIjlEEPS9_SE_NS0_5tupleIJPjSE_EEENSF_IJSE_SE_EEES9_SG_JZNS1_25segmented_radix_sort_implINS0_14default_configELb1EPK6__halfPSL_PKlPlN2at6native12_GLOBAL__N_18offset_tEEE10hipError_tPvRmT1_PNSt15iterator_traitsISZ_E10value_typeET2_T3_PNS10_IS15_E10value_typeET4_jRbjT5_S1B_jjP12ihipStream_tbEUljE_EEESW_SX_SY_S15_S19_S1B_T6_T7_T9_mT8_S1D_bDpT10_ENKUlT_T0_E_clISt17integral_constantIbLb1EES1P_IbLb0EEEEDaS1L_S1M_EUlS1L_E_NS1_11comp_targetILNS1_3genE9ELNS1_11target_archE1100ELNS1_3gpuE3ELNS1_3repE0EEENS1_30default_config_static_selectorELNS0_4arch9wavefront6targetE0EEEvSZ_,comdat
	.globl	_ZN7rocprim17ROCPRIM_400000_NS6detail17trampoline_kernelINS0_13select_configILj256ELj13ELNS0_17block_load_methodE3ELS4_3ELS4_3ELNS0_20block_scan_algorithmE0ELj4294967295EEENS1_25partition_config_selectorILNS1_17partition_subalgoE3EjNS0_10empty_typeEbEEZZNS1_14partition_implILS8_3ELb0ES6_jNS0_17counting_iteratorIjlEEPS9_SE_NS0_5tupleIJPjSE_EEENSF_IJSE_SE_EEES9_SG_JZNS1_25segmented_radix_sort_implINS0_14default_configELb1EPK6__halfPSL_PKlPlN2at6native12_GLOBAL__N_18offset_tEEE10hipError_tPvRmT1_PNSt15iterator_traitsISZ_E10value_typeET2_T3_PNS10_IS15_E10value_typeET4_jRbjT5_S1B_jjP12ihipStream_tbEUljE_EEESW_SX_SY_S15_S19_S1B_T6_T7_T9_mT8_S1D_bDpT10_ENKUlT_T0_E_clISt17integral_constantIbLb1EES1P_IbLb0EEEEDaS1L_S1M_EUlS1L_E_NS1_11comp_targetILNS1_3genE9ELNS1_11target_archE1100ELNS1_3gpuE3ELNS1_3repE0EEENS1_30default_config_static_selectorELNS0_4arch9wavefront6targetE0EEEvSZ_ ; -- Begin function _ZN7rocprim17ROCPRIM_400000_NS6detail17trampoline_kernelINS0_13select_configILj256ELj13ELNS0_17block_load_methodE3ELS4_3ELS4_3ELNS0_20block_scan_algorithmE0ELj4294967295EEENS1_25partition_config_selectorILNS1_17partition_subalgoE3EjNS0_10empty_typeEbEEZZNS1_14partition_implILS8_3ELb0ES6_jNS0_17counting_iteratorIjlEEPS9_SE_NS0_5tupleIJPjSE_EEENSF_IJSE_SE_EEES9_SG_JZNS1_25segmented_radix_sort_implINS0_14default_configELb1EPK6__halfPSL_PKlPlN2at6native12_GLOBAL__N_18offset_tEEE10hipError_tPvRmT1_PNSt15iterator_traitsISZ_E10value_typeET2_T3_PNS10_IS15_E10value_typeET4_jRbjT5_S1B_jjP12ihipStream_tbEUljE_EEESW_SX_SY_S15_S19_S1B_T6_T7_T9_mT8_S1D_bDpT10_ENKUlT_T0_E_clISt17integral_constantIbLb1EES1P_IbLb0EEEEDaS1L_S1M_EUlS1L_E_NS1_11comp_targetILNS1_3genE9ELNS1_11target_archE1100ELNS1_3gpuE3ELNS1_3repE0EEENS1_30default_config_static_selectorELNS0_4arch9wavefront6targetE0EEEvSZ_
	.p2align	8
	.type	_ZN7rocprim17ROCPRIM_400000_NS6detail17trampoline_kernelINS0_13select_configILj256ELj13ELNS0_17block_load_methodE3ELS4_3ELS4_3ELNS0_20block_scan_algorithmE0ELj4294967295EEENS1_25partition_config_selectorILNS1_17partition_subalgoE3EjNS0_10empty_typeEbEEZZNS1_14partition_implILS8_3ELb0ES6_jNS0_17counting_iteratorIjlEEPS9_SE_NS0_5tupleIJPjSE_EEENSF_IJSE_SE_EEES9_SG_JZNS1_25segmented_radix_sort_implINS0_14default_configELb1EPK6__halfPSL_PKlPlN2at6native12_GLOBAL__N_18offset_tEEE10hipError_tPvRmT1_PNSt15iterator_traitsISZ_E10value_typeET2_T3_PNS10_IS15_E10value_typeET4_jRbjT5_S1B_jjP12ihipStream_tbEUljE_EEESW_SX_SY_S15_S19_S1B_T6_T7_T9_mT8_S1D_bDpT10_ENKUlT_T0_E_clISt17integral_constantIbLb1EES1P_IbLb0EEEEDaS1L_S1M_EUlS1L_E_NS1_11comp_targetILNS1_3genE9ELNS1_11target_archE1100ELNS1_3gpuE3ELNS1_3repE0EEENS1_30default_config_static_selectorELNS0_4arch9wavefront6targetE0EEEvSZ_,@function
_ZN7rocprim17ROCPRIM_400000_NS6detail17trampoline_kernelINS0_13select_configILj256ELj13ELNS0_17block_load_methodE3ELS4_3ELS4_3ELNS0_20block_scan_algorithmE0ELj4294967295EEENS1_25partition_config_selectorILNS1_17partition_subalgoE3EjNS0_10empty_typeEbEEZZNS1_14partition_implILS8_3ELb0ES6_jNS0_17counting_iteratorIjlEEPS9_SE_NS0_5tupleIJPjSE_EEENSF_IJSE_SE_EEES9_SG_JZNS1_25segmented_radix_sort_implINS0_14default_configELb1EPK6__halfPSL_PKlPlN2at6native12_GLOBAL__N_18offset_tEEE10hipError_tPvRmT1_PNSt15iterator_traitsISZ_E10value_typeET2_T3_PNS10_IS15_E10value_typeET4_jRbjT5_S1B_jjP12ihipStream_tbEUljE_EEESW_SX_SY_S15_S19_S1B_T6_T7_T9_mT8_S1D_bDpT10_ENKUlT_T0_E_clISt17integral_constantIbLb1EES1P_IbLb0EEEEDaS1L_S1M_EUlS1L_E_NS1_11comp_targetILNS1_3genE9ELNS1_11target_archE1100ELNS1_3gpuE3ELNS1_3repE0EEENS1_30default_config_static_selectorELNS0_4arch9wavefront6targetE0EEEvSZ_: ; @_ZN7rocprim17ROCPRIM_400000_NS6detail17trampoline_kernelINS0_13select_configILj256ELj13ELNS0_17block_load_methodE3ELS4_3ELS4_3ELNS0_20block_scan_algorithmE0ELj4294967295EEENS1_25partition_config_selectorILNS1_17partition_subalgoE3EjNS0_10empty_typeEbEEZZNS1_14partition_implILS8_3ELb0ES6_jNS0_17counting_iteratorIjlEEPS9_SE_NS0_5tupleIJPjSE_EEENSF_IJSE_SE_EEES9_SG_JZNS1_25segmented_radix_sort_implINS0_14default_configELb1EPK6__halfPSL_PKlPlN2at6native12_GLOBAL__N_18offset_tEEE10hipError_tPvRmT1_PNSt15iterator_traitsISZ_E10value_typeET2_T3_PNS10_IS15_E10value_typeET4_jRbjT5_S1B_jjP12ihipStream_tbEUljE_EEESW_SX_SY_S15_S19_S1B_T6_T7_T9_mT8_S1D_bDpT10_ENKUlT_T0_E_clISt17integral_constantIbLb1EES1P_IbLb0EEEEDaS1L_S1M_EUlS1L_E_NS1_11comp_targetILNS1_3genE9ELNS1_11target_archE1100ELNS1_3gpuE3ELNS1_3repE0EEENS1_30default_config_static_selectorELNS0_4arch9wavefront6targetE0EEEvSZ_
; %bb.0:
	.section	.rodata,"a",@progbits
	.p2align	6, 0x0
	.amdhsa_kernel _ZN7rocprim17ROCPRIM_400000_NS6detail17trampoline_kernelINS0_13select_configILj256ELj13ELNS0_17block_load_methodE3ELS4_3ELS4_3ELNS0_20block_scan_algorithmE0ELj4294967295EEENS1_25partition_config_selectorILNS1_17partition_subalgoE3EjNS0_10empty_typeEbEEZZNS1_14partition_implILS8_3ELb0ES6_jNS0_17counting_iteratorIjlEEPS9_SE_NS0_5tupleIJPjSE_EEENSF_IJSE_SE_EEES9_SG_JZNS1_25segmented_radix_sort_implINS0_14default_configELb1EPK6__halfPSL_PKlPlN2at6native12_GLOBAL__N_18offset_tEEE10hipError_tPvRmT1_PNSt15iterator_traitsISZ_E10value_typeET2_T3_PNS10_IS15_E10value_typeET4_jRbjT5_S1B_jjP12ihipStream_tbEUljE_EEESW_SX_SY_S15_S19_S1B_T6_T7_T9_mT8_S1D_bDpT10_ENKUlT_T0_E_clISt17integral_constantIbLb1EES1P_IbLb0EEEEDaS1L_S1M_EUlS1L_E_NS1_11comp_targetILNS1_3genE9ELNS1_11target_archE1100ELNS1_3gpuE3ELNS1_3repE0EEENS1_30default_config_static_selectorELNS0_4arch9wavefront6targetE0EEEvSZ_
		.amdhsa_group_segment_fixed_size 0
		.amdhsa_private_segment_fixed_size 0
		.amdhsa_kernarg_size 144
		.amdhsa_user_sgpr_count 2
		.amdhsa_user_sgpr_dispatch_ptr 0
		.amdhsa_user_sgpr_queue_ptr 0
		.amdhsa_user_sgpr_kernarg_segment_ptr 1
		.amdhsa_user_sgpr_dispatch_id 0
		.amdhsa_user_sgpr_kernarg_preload_length 0
		.amdhsa_user_sgpr_kernarg_preload_offset 0
		.amdhsa_user_sgpr_private_segment_size 0
		.amdhsa_wavefront_size32 1
		.amdhsa_uses_dynamic_stack 0
		.amdhsa_enable_private_segment 0
		.amdhsa_system_sgpr_workgroup_id_x 1
		.amdhsa_system_sgpr_workgroup_id_y 0
		.amdhsa_system_sgpr_workgroup_id_z 0
		.amdhsa_system_sgpr_workgroup_info 0
		.amdhsa_system_vgpr_workitem_id 0
		.amdhsa_next_free_vgpr 1
		.amdhsa_next_free_sgpr 1
		.amdhsa_named_barrier_count 0
		.amdhsa_reserve_vcc 0
		.amdhsa_float_round_mode_32 0
		.amdhsa_float_round_mode_16_64 0
		.amdhsa_float_denorm_mode_32 3
		.amdhsa_float_denorm_mode_16_64 3
		.amdhsa_fp16_overflow 0
		.amdhsa_memory_ordered 1
		.amdhsa_forward_progress 1
		.amdhsa_inst_pref_size 0
		.amdhsa_round_robin_scheduling 0
		.amdhsa_exception_fp_ieee_invalid_op 0
		.amdhsa_exception_fp_denorm_src 0
		.amdhsa_exception_fp_ieee_div_zero 0
		.amdhsa_exception_fp_ieee_overflow 0
		.amdhsa_exception_fp_ieee_underflow 0
		.amdhsa_exception_fp_ieee_inexact 0
		.amdhsa_exception_int_div_zero 0
	.end_amdhsa_kernel
	.section	.text._ZN7rocprim17ROCPRIM_400000_NS6detail17trampoline_kernelINS0_13select_configILj256ELj13ELNS0_17block_load_methodE3ELS4_3ELS4_3ELNS0_20block_scan_algorithmE0ELj4294967295EEENS1_25partition_config_selectorILNS1_17partition_subalgoE3EjNS0_10empty_typeEbEEZZNS1_14partition_implILS8_3ELb0ES6_jNS0_17counting_iteratorIjlEEPS9_SE_NS0_5tupleIJPjSE_EEENSF_IJSE_SE_EEES9_SG_JZNS1_25segmented_radix_sort_implINS0_14default_configELb1EPK6__halfPSL_PKlPlN2at6native12_GLOBAL__N_18offset_tEEE10hipError_tPvRmT1_PNSt15iterator_traitsISZ_E10value_typeET2_T3_PNS10_IS15_E10value_typeET4_jRbjT5_S1B_jjP12ihipStream_tbEUljE_EEESW_SX_SY_S15_S19_S1B_T6_T7_T9_mT8_S1D_bDpT10_ENKUlT_T0_E_clISt17integral_constantIbLb1EES1P_IbLb0EEEEDaS1L_S1M_EUlS1L_E_NS1_11comp_targetILNS1_3genE9ELNS1_11target_archE1100ELNS1_3gpuE3ELNS1_3repE0EEENS1_30default_config_static_selectorELNS0_4arch9wavefront6targetE0EEEvSZ_,"axG",@progbits,_ZN7rocprim17ROCPRIM_400000_NS6detail17trampoline_kernelINS0_13select_configILj256ELj13ELNS0_17block_load_methodE3ELS4_3ELS4_3ELNS0_20block_scan_algorithmE0ELj4294967295EEENS1_25partition_config_selectorILNS1_17partition_subalgoE3EjNS0_10empty_typeEbEEZZNS1_14partition_implILS8_3ELb0ES6_jNS0_17counting_iteratorIjlEEPS9_SE_NS0_5tupleIJPjSE_EEENSF_IJSE_SE_EEES9_SG_JZNS1_25segmented_radix_sort_implINS0_14default_configELb1EPK6__halfPSL_PKlPlN2at6native12_GLOBAL__N_18offset_tEEE10hipError_tPvRmT1_PNSt15iterator_traitsISZ_E10value_typeET2_T3_PNS10_IS15_E10value_typeET4_jRbjT5_S1B_jjP12ihipStream_tbEUljE_EEESW_SX_SY_S15_S19_S1B_T6_T7_T9_mT8_S1D_bDpT10_ENKUlT_T0_E_clISt17integral_constantIbLb1EES1P_IbLb0EEEEDaS1L_S1M_EUlS1L_E_NS1_11comp_targetILNS1_3genE9ELNS1_11target_archE1100ELNS1_3gpuE3ELNS1_3repE0EEENS1_30default_config_static_selectorELNS0_4arch9wavefront6targetE0EEEvSZ_,comdat
.Lfunc_end1719:
	.size	_ZN7rocprim17ROCPRIM_400000_NS6detail17trampoline_kernelINS0_13select_configILj256ELj13ELNS0_17block_load_methodE3ELS4_3ELS4_3ELNS0_20block_scan_algorithmE0ELj4294967295EEENS1_25partition_config_selectorILNS1_17partition_subalgoE3EjNS0_10empty_typeEbEEZZNS1_14partition_implILS8_3ELb0ES6_jNS0_17counting_iteratorIjlEEPS9_SE_NS0_5tupleIJPjSE_EEENSF_IJSE_SE_EEES9_SG_JZNS1_25segmented_radix_sort_implINS0_14default_configELb1EPK6__halfPSL_PKlPlN2at6native12_GLOBAL__N_18offset_tEEE10hipError_tPvRmT1_PNSt15iterator_traitsISZ_E10value_typeET2_T3_PNS10_IS15_E10value_typeET4_jRbjT5_S1B_jjP12ihipStream_tbEUljE_EEESW_SX_SY_S15_S19_S1B_T6_T7_T9_mT8_S1D_bDpT10_ENKUlT_T0_E_clISt17integral_constantIbLb1EES1P_IbLb0EEEEDaS1L_S1M_EUlS1L_E_NS1_11comp_targetILNS1_3genE9ELNS1_11target_archE1100ELNS1_3gpuE3ELNS1_3repE0EEENS1_30default_config_static_selectorELNS0_4arch9wavefront6targetE0EEEvSZ_, .Lfunc_end1719-_ZN7rocprim17ROCPRIM_400000_NS6detail17trampoline_kernelINS0_13select_configILj256ELj13ELNS0_17block_load_methodE3ELS4_3ELS4_3ELNS0_20block_scan_algorithmE0ELj4294967295EEENS1_25partition_config_selectorILNS1_17partition_subalgoE3EjNS0_10empty_typeEbEEZZNS1_14partition_implILS8_3ELb0ES6_jNS0_17counting_iteratorIjlEEPS9_SE_NS0_5tupleIJPjSE_EEENSF_IJSE_SE_EEES9_SG_JZNS1_25segmented_radix_sort_implINS0_14default_configELb1EPK6__halfPSL_PKlPlN2at6native12_GLOBAL__N_18offset_tEEE10hipError_tPvRmT1_PNSt15iterator_traitsISZ_E10value_typeET2_T3_PNS10_IS15_E10value_typeET4_jRbjT5_S1B_jjP12ihipStream_tbEUljE_EEESW_SX_SY_S15_S19_S1B_T6_T7_T9_mT8_S1D_bDpT10_ENKUlT_T0_E_clISt17integral_constantIbLb1EES1P_IbLb0EEEEDaS1L_S1M_EUlS1L_E_NS1_11comp_targetILNS1_3genE9ELNS1_11target_archE1100ELNS1_3gpuE3ELNS1_3repE0EEENS1_30default_config_static_selectorELNS0_4arch9wavefront6targetE0EEEvSZ_
                                        ; -- End function
	.set _ZN7rocprim17ROCPRIM_400000_NS6detail17trampoline_kernelINS0_13select_configILj256ELj13ELNS0_17block_load_methodE3ELS4_3ELS4_3ELNS0_20block_scan_algorithmE0ELj4294967295EEENS1_25partition_config_selectorILNS1_17partition_subalgoE3EjNS0_10empty_typeEbEEZZNS1_14partition_implILS8_3ELb0ES6_jNS0_17counting_iteratorIjlEEPS9_SE_NS0_5tupleIJPjSE_EEENSF_IJSE_SE_EEES9_SG_JZNS1_25segmented_radix_sort_implINS0_14default_configELb1EPK6__halfPSL_PKlPlN2at6native12_GLOBAL__N_18offset_tEEE10hipError_tPvRmT1_PNSt15iterator_traitsISZ_E10value_typeET2_T3_PNS10_IS15_E10value_typeET4_jRbjT5_S1B_jjP12ihipStream_tbEUljE_EEESW_SX_SY_S15_S19_S1B_T6_T7_T9_mT8_S1D_bDpT10_ENKUlT_T0_E_clISt17integral_constantIbLb1EES1P_IbLb0EEEEDaS1L_S1M_EUlS1L_E_NS1_11comp_targetILNS1_3genE9ELNS1_11target_archE1100ELNS1_3gpuE3ELNS1_3repE0EEENS1_30default_config_static_selectorELNS0_4arch9wavefront6targetE0EEEvSZ_.num_vgpr, 0
	.set _ZN7rocprim17ROCPRIM_400000_NS6detail17trampoline_kernelINS0_13select_configILj256ELj13ELNS0_17block_load_methodE3ELS4_3ELS4_3ELNS0_20block_scan_algorithmE0ELj4294967295EEENS1_25partition_config_selectorILNS1_17partition_subalgoE3EjNS0_10empty_typeEbEEZZNS1_14partition_implILS8_3ELb0ES6_jNS0_17counting_iteratorIjlEEPS9_SE_NS0_5tupleIJPjSE_EEENSF_IJSE_SE_EEES9_SG_JZNS1_25segmented_radix_sort_implINS0_14default_configELb1EPK6__halfPSL_PKlPlN2at6native12_GLOBAL__N_18offset_tEEE10hipError_tPvRmT1_PNSt15iterator_traitsISZ_E10value_typeET2_T3_PNS10_IS15_E10value_typeET4_jRbjT5_S1B_jjP12ihipStream_tbEUljE_EEESW_SX_SY_S15_S19_S1B_T6_T7_T9_mT8_S1D_bDpT10_ENKUlT_T0_E_clISt17integral_constantIbLb1EES1P_IbLb0EEEEDaS1L_S1M_EUlS1L_E_NS1_11comp_targetILNS1_3genE9ELNS1_11target_archE1100ELNS1_3gpuE3ELNS1_3repE0EEENS1_30default_config_static_selectorELNS0_4arch9wavefront6targetE0EEEvSZ_.num_agpr, 0
	.set _ZN7rocprim17ROCPRIM_400000_NS6detail17trampoline_kernelINS0_13select_configILj256ELj13ELNS0_17block_load_methodE3ELS4_3ELS4_3ELNS0_20block_scan_algorithmE0ELj4294967295EEENS1_25partition_config_selectorILNS1_17partition_subalgoE3EjNS0_10empty_typeEbEEZZNS1_14partition_implILS8_3ELb0ES6_jNS0_17counting_iteratorIjlEEPS9_SE_NS0_5tupleIJPjSE_EEENSF_IJSE_SE_EEES9_SG_JZNS1_25segmented_radix_sort_implINS0_14default_configELb1EPK6__halfPSL_PKlPlN2at6native12_GLOBAL__N_18offset_tEEE10hipError_tPvRmT1_PNSt15iterator_traitsISZ_E10value_typeET2_T3_PNS10_IS15_E10value_typeET4_jRbjT5_S1B_jjP12ihipStream_tbEUljE_EEESW_SX_SY_S15_S19_S1B_T6_T7_T9_mT8_S1D_bDpT10_ENKUlT_T0_E_clISt17integral_constantIbLb1EES1P_IbLb0EEEEDaS1L_S1M_EUlS1L_E_NS1_11comp_targetILNS1_3genE9ELNS1_11target_archE1100ELNS1_3gpuE3ELNS1_3repE0EEENS1_30default_config_static_selectorELNS0_4arch9wavefront6targetE0EEEvSZ_.numbered_sgpr, 0
	.set _ZN7rocprim17ROCPRIM_400000_NS6detail17trampoline_kernelINS0_13select_configILj256ELj13ELNS0_17block_load_methodE3ELS4_3ELS4_3ELNS0_20block_scan_algorithmE0ELj4294967295EEENS1_25partition_config_selectorILNS1_17partition_subalgoE3EjNS0_10empty_typeEbEEZZNS1_14partition_implILS8_3ELb0ES6_jNS0_17counting_iteratorIjlEEPS9_SE_NS0_5tupleIJPjSE_EEENSF_IJSE_SE_EEES9_SG_JZNS1_25segmented_radix_sort_implINS0_14default_configELb1EPK6__halfPSL_PKlPlN2at6native12_GLOBAL__N_18offset_tEEE10hipError_tPvRmT1_PNSt15iterator_traitsISZ_E10value_typeET2_T3_PNS10_IS15_E10value_typeET4_jRbjT5_S1B_jjP12ihipStream_tbEUljE_EEESW_SX_SY_S15_S19_S1B_T6_T7_T9_mT8_S1D_bDpT10_ENKUlT_T0_E_clISt17integral_constantIbLb1EES1P_IbLb0EEEEDaS1L_S1M_EUlS1L_E_NS1_11comp_targetILNS1_3genE9ELNS1_11target_archE1100ELNS1_3gpuE3ELNS1_3repE0EEENS1_30default_config_static_selectorELNS0_4arch9wavefront6targetE0EEEvSZ_.num_named_barrier, 0
	.set _ZN7rocprim17ROCPRIM_400000_NS6detail17trampoline_kernelINS0_13select_configILj256ELj13ELNS0_17block_load_methodE3ELS4_3ELS4_3ELNS0_20block_scan_algorithmE0ELj4294967295EEENS1_25partition_config_selectorILNS1_17partition_subalgoE3EjNS0_10empty_typeEbEEZZNS1_14partition_implILS8_3ELb0ES6_jNS0_17counting_iteratorIjlEEPS9_SE_NS0_5tupleIJPjSE_EEENSF_IJSE_SE_EEES9_SG_JZNS1_25segmented_radix_sort_implINS0_14default_configELb1EPK6__halfPSL_PKlPlN2at6native12_GLOBAL__N_18offset_tEEE10hipError_tPvRmT1_PNSt15iterator_traitsISZ_E10value_typeET2_T3_PNS10_IS15_E10value_typeET4_jRbjT5_S1B_jjP12ihipStream_tbEUljE_EEESW_SX_SY_S15_S19_S1B_T6_T7_T9_mT8_S1D_bDpT10_ENKUlT_T0_E_clISt17integral_constantIbLb1EES1P_IbLb0EEEEDaS1L_S1M_EUlS1L_E_NS1_11comp_targetILNS1_3genE9ELNS1_11target_archE1100ELNS1_3gpuE3ELNS1_3repE0EEENS1_30default_config_static_selectorELNS0_4arch9wavefront6targetE0EEEvSZ_.private_seg_size, 0
	.set _ZN7rocprim17ROCPRIM_400000_NS6detail17trampoline_kernelINS0_13select_configILj256ELj13ELNS0_17block_load_methodE3ELS4_3ELS4_3ELNS0_20block_scan_algorithmE0ELj4294967295EEENS1_25partition_config_selectorILNS1_17partition_subalgoE3EjNS0_10empty_typeEbEEZZNS1_14partition_implILS8_3ELb0ES6_jNS0_17counting_iteratorIjlEEPS9_SE_NS0_5tupleIJPjSE_EEENSF_IJSE_SE_EEES9_SG_JZNS1_25segmented_radix_sort_implINS0_14default_configELb1EPK6__halfPSL_PKlPlN2at6native12_GLOBAL__N_18offset_tEEE10hipError_tPvRmT1_PNSt15iterator_traitsISZ_E10value_typeET2_T3_PNS10_IS15_E10value_typeET4_jRbjT5_S1B_jjP12ihipStream_tbEUljE_EEESW_SX_SY_S15_S19_S1B_T6_T7_T9_mT8_S1D_bDpT10_ENKUlT_T0_E_clISt17integral_constantIbLb1EES1P_IbLb0EEEEDaS1L_S1M_EUlS1L_E_NS1_11comp_targetILNS1_3genE9ELNS1_11target_archE1100ELNS1_3gpuE3ELNS1_3repE0EEENS1_30default_config_static_selectorELNS0_4arch9wavefront6targetE0EEEvSZ_.uses_vcc, 0
	.set _ZN7rocprim17ROCPRIM_400000_NS6detail17trampoline_kernelINS0_13select_configILj256ELj13ELNS0_17block_load_methodE3ELS4_3ELS4_3ELNS0_20block_scan_algorithmE0ELj4294967295EEENS1_25partition_config_selectorILNS1_17partition_subalgoE3EjNS0_10empty_typeEbEEZZNS1_14partition_implILS8_3ELb0ES6_jNS0_17counting_iteratorIjlEEPS9_SE_NS0_5tupleIJPjSE_EEENSF_IJSE_SE_EEES9_SG_JZNS1_25segmented_radix_sort_implINS0_14default_configELb1EPK6__halfPSL_PKlPlN2at6native12_GLOBAL__N_18offset_tEEE10hipError_tPvRmT1_PNSt15iterator_traitsISZ_E10value_typeET2_T3_PNS10_IS15_E10value_typeET4_jRbjT5_S1B_jjP12ihipStream_tbEUljE_EEESW_SX_SY_S15_S19_S1B_T6_T7_T9_mT8_S1D_bDpT10_ENKUlT_T0_E_clISt17integral_constantIbLb1EES1P_IbLb0EEEEDaS1L_S1M_EUlS1L_E_NS1_11comp_targetILNS1_3genE9ELNS1_11target_archE1100ELNS1_3gpuE3ELNS1_3repE0EEENS1_30default_config_static_selectorELNS0_4arch9wavefront6targetE0EEEvSZ_.uses_flat_scratch, 0
	.set _ZN7rocprim17ROCPRIM_400000_NS6detail17trampoline_kernelINS0_13select_configILj256ELj13ELNS0_17block_load_methodE3ELS4_3ELS4_3ELNS0_20block_scan_algorithmE0ELj4294967295EEENS1_25partition_config_selectorILNS1_17partition_subalgoE3EjNS0_10empty_typeEbEEZZNS1_14partition_implILS8_3ELb0ES6_jNS0_17counting_iteratorIjlEEPS9_SE_NS0_5tupleIJPjSE_EEENSF_IJSE_SE_EEES9_SG_JZNS1_25segmented_radix_sort_implINS0_14default_configELb1EPK6__halfPSL_PKlPlN2at6native12_GLOBAL__N_18offset_tEEE10hipError_tPvRmT1_PNSt15iterator_traitsISZ_E10value_typeET2_T3_PNS10_IS15_E10value_typeET4_jRbjT5_S1B_jjP12ihipStream_tbEUljE_EEESW_SX_SY_S15_S19_S1B_T6_T7_T9_mT8_S1D_bDpT10_ENKUlT_T0_E_clISt17integral_constantIbLb1EES1P_IbLb0EEEEDaS1L_S1M_EUlS1L_E_NS1_11comp_targetILNS1_3genE9ELNS1_11target_archE1100ELNS1_3gpuE3ELNS1_3repE0EEENS1_30default_config_static_selectorELNS0_4arch9wavefront6targetE0EEEvSZ_.has_dyn_sized_stack, 0
	.set _ZN7rocprim17ROCPRIM_400000_NS6detail17trampoline_kernelINS0_13select_configILj256ELj13ELNS0_17block_load_methodE3ELS4_3ELS4_3ELNS0_20block_scan_algorithmE0ELj4294967295EEENS1_25partition_config_selectorILNS1_17partition_subalgoE3EjNS0_10empty_typeEbEEZZNS1_14partition_implILS8_3ELb0ES6_jNS0_17counting_iteratorIjlEEPS9_SE_NS0_5tupleIJPjSE_EEENSF_IJSE_SE_EEES9_SG_JZNS1_25segmented_radix_sort_implINS0_14default_configELb1EPK6__halfPSL_PKlPlN2at6native12_GLOBAL__N_18offset_tEEE10hipError_tPvRmT1_PNSt15iterator_traitsISZ_E10value_typeET2_T3_PNS10_IS15_E10value_typeET4_jRbjT5_S1B_jjP12ihipStream_tbEUljE_EEESW_SX_SY_S15_S19_S1B_T6_T7_T9_mT8_S1D_bDpT10_ENKUlT_T0_E_clISt17integral_constantIbLb1EES1P_IbLb0EEEEDaS1L_S1M_EUlS1L_E_NS1_11comp_targetILNS1_3genE9ELNS1_11target_archE1100ELNS1_3gpuE3ELNS1_3repE0EEENS1_30default_config_static_selectorELNS0_4arch9wavefront6targetE0EEEvSZ_.has_recursion, 0
	.set _ZN7rocprim17ROCPRIM_400000_NS6detail17trampoline_kernelINS0_13select_configILj256ELj13ELNS0_17block_load_methodE3ELS4_3ELS4_3ELNS0_20block_scan_algorithmE0ELj4294967295EEENS1_25partition_config_selectorILNS1_17partition_subalgoE3EjNS0_10empty_typeEbEEZZNS1_14partition_implILS8_3ELb0ES6_jNS0_17counting_iteratorIjlEEPS9_SE_NS0_5tupleIJPjSE_EEENSF_IJSE_SE_EEES9_SG_JZNS1_25segmented_radix_sort_implINS0_14default_configELb1EPK6__halfPSL_PKlPlN2at6native12_GLOBAL__N_18offset_tEEE10hipError_tPvRmT1_PNSt15iterator_traitsISZ_E10value_typeET2_T3_PNS10_IS15_E10value_typeET4_jRbjT5_S1B_jjP12ihipStream_tbEUljE_EEESW_SX_SY_S15_S19_S1B_T6_T7_T9_mT8_S1D_bDpT10_ENKUlT_T0_E_clISt17integral_constantIbLb1EES1P_IbLb0EEEEDaS1L_S1M_EUlS1L_E_NS1_11comp_targetILNS1_3genE9ELNS1_11target_archE1100ELNS1_3gpuE3ELNS1_3repE0EEENS1_30default_config_static_selectorELNS0_4arch9wavefront6targetE0EEEvSZ_.has_indirect_call, 0
	.section	.AMDGPU.csdata,"",@progbits
; Kernel info:
; codeLenInByte = 0
; TotalNumSgprs: 0
; NumVgprs: 0
; ScratchSize: 0
; MemoryBound: 0
; FloatMode: 240
; IeeeMode: 1
; LDSByteSize: 0 bytes/workgroup (compile time only)
; SGPRBlocks: 0
; VGPRBlocks: 0
; NumSGPRsForWavesPerEU: 1
; NumVGPRsForWavesPerEU: 1
; NamedBarCnt: 0
; Occupancy: 16
; WaveLimiterHint : 0
; COMPUTE_PGM_RSRC2:SCRATCH_EN: 0
; COMPUTE_PGM_RSRC2:USER_SGPR: 2
; COMPUTE_PGM_RSRC2:TRAP_HANDLER: 0
; COMPUTE_PGM_RSRC2:TGID_X_EN: 1
; COMPUTE_PGM_RSRC2:TGID_Y_EN: 0
; COMPUTE_PGM_RSRC2:TGID_Z_EN: 0
; COMPUTE_PGM_RSRC2:TIDIG_COMP_CNT: 0
	.section	.text._ZN7rocprim17ROCPRIM_400000_NS6detail17trampoline_kernelINS0_13select_configILj256ELj13ELNS0_17block_load_methodE3ELS4_3ELS4_3ELNS0_20block_scan_algorithmE0ELj4294967295EEENS1_25partition_config_selectorILNS1_17partition_subalgoE3EjNS0_10empty_typeEbEEZZNS1_14partition_implILS8_3ELb0ES6_jNS0_17counting_iteratorIjlEEPS9_SE_NS0_5tupleIJPjSE_EEENSF_IJSE_SE_EEES9_SG_JZNS1_25segmented_radix_sort_implINS0_14default_configELb1EPK6__halfPSL_PKlPlN2at6native12_GLOBAL__N_18offset_tEEE10hipError_tPvRmT1_PNSt15iterator_traitsISZ_E10value_typeET2_T3_PNS10_IS15_E10value_typeET4_jRbjT5_S1B_jjP12ihipStream_tbEUljE_EEESW_SX_SY_S15_S19_S1B_T6_T7_T9_mT8_S1D_bDpT10_ENKUlT_T0_E_clISt17integral_constantIbLb1EES1P_IbLb0EEEEDaS1L_S1M_EUlS1L_E_NS1_11comp_targetILNS1_3genE8ELNS1_11target_archE1030ELNS1_3gpuE2ELNS1_3repE0EEENS1_30default_config_static_selectorELNS0_4arch9wavefront6targetE0EEEvSZ_,"axG",@progbits,_ZN7rocprim17ROCPRIM_400000_NS6detail17trampoline_kernelINS0_13select_configILj256ELj13ELNS0_17block_load_methodE3ELS4_3ELS4_3ELNS0_20block_scan_algorithmE0ELj4294967295EEENS1_25partition_config_selectorILNS1_17partition_subalgoE3EjNS0_10empty_typeEbEEZZNS1_14partition_implILS8_3ELb0ES6_jNS0_17counting_iteratorIjlEEPS9_SE_NS0_5tupleIJPjSE_EEENSF_IJSE_SE_EEES9_SG_JZNS1_25segmented_radix_sort_implINS0_14default_configELb1EPK6__halfPSL_PKlPlN2at6native12_GLOBAL__N_18offset_tEEE10hipError_tPvRmT1_PNSt15iterator_traitsISZ_E10value_typeET2_T3_PNS10_IS15_E10value_typeET4_jRbjT5_S1B_jjP12ihipStream_tbEUljE_EEESW_SX_SY_S15_S19_S1B_T6_T7_T9_mT8_S1D_bDpT10_ENKUlT_T0_E_clISt17integral_constantIbLb1EES1P_IbLb0EEEEDaS1L_S1M_EUlS1L_E_NS1_11comp_targetILNS1_3genE8ELNS1_11target_archE1030ELNS1_3gpuE2ELNS1_3repE0EEENS1_30default_config_static_selectorELNS0_4arch9wavefront6targetE0EEEvSZ_,comdat
	.globl	_ZN7rocprim17ROCPRIM_400000_NS6detail17trampoline_kernelINS0_13select_configILj256ELj13ELNS0_17block_load_methodE3ELS4_3ELS4_3ELNS0_20block_scan_algorithmE0ELj4294967295EEENS1_25partition_config_selectorILNS1_17partition_subalgoE3EjNS0_10empty_typeEbEEZZNS1_14partition_implILS8_3ELb0ES6_jNS0_17counting_iteratorIjlEEPS9_SE_NS0_5tupleIJPjSE_EEENSF_IJSE_SE_EEES9_SG_JZNS1_25segmented_radix_sort_implINS0_14default_configELb1EPK6__halfPSL_PKlPlN2at6native12_GLOBAL__N_18offset_tEEE10hipError_tPvRmT1_PNSt15iterator_traitsISZ_E10value_typeET2_T3_PNS10_IS15_E10value_typeET4_jRbjT5_S1B_jjP12ihipStream_tbEUljE_EEESW_SX_SY_S15_S19_S1B_T6_T7_T9_mT8_S1D_bDpT10_ENKUlT_T0_E_clISt17integral_constantIbLb1EES1P_IbLb0EEEEDaS1L_S1M_EUlS1L_E_NS1_11comp_targetILNS1_3genE8ELNS1_11target_archE1030ELNS1_3gpuE2ELNS1_3repE0EEENS1_30default_config_static_selectorELNS0_4arch9wavefront6targetE0EEEvSZ_ ; -- Begin function _ZN7rocprim17ROCPRIM_400000_NS6detail17trampoline_kernelINS0_13select_configILj256ELj13ELNS0_17block_load_methodE3ELS4_3ELS4_3ELNS0_20block_scan_algorithmE0ELj4294967295EEENS1_25partition_config_selectorILNS1_17partition_subalgoE3EjNS0_10empty_typeEbEEZZNS1_14partition_implILS8_3ELb0ES6_jNS0_17counting_iteratorIjlEEPS9_SE_NS0_5tupleIJPjSE_EEENSF_IJSE_SE_EEES9_SG_JZNS1_25segmented_radix_sort_implINS0_14default_configELb1EPK6__halfPSL_PKlPlN2at6native12_GLOBAL__N_18offset_tEEE10hipError_tPvRmT1_PNSt15iterator_traitsISZ_E10value_typeET2_T3_PNS10_IS15_E10value_typeET4_jRbjT5_S1B_jjP12ihipStream_tbEUljE_EEESW_SX_SY_S15_S19_S1B_T6_T7_T9_mT8_S1D_bDpT10_ENKUlT_T0_E_clISt17integral_constantIbLb1EES1P_IbLb0EEEEDaS1L_S1M_EUlS1L_E_NS1_11comp_targetILNS1_3genE8ELNS1_11target_archE1030ELNS1_3gpuE2ELNS1_3repE0EEENS1_30default_config_static_selectorELNS0_4arch9wavefront6targetE0EEEvSZ_
	.p2align	8
	.type	_ZN7rocprim17ROCPRIM_400000_NS6detail17trampoline_kernelINS0_13select_configILj256ELj13ELNS0_17block_load_methodE3ELS4_3ELS4_3ELNS0_20block_scan_algorithmE0ELj4294967295EEENS1_25partition_config_selectorILNS1_17partition_subalgoE3EjNS0_10empty_typeEbEEZZNS1_14partition_implILS8_3ELb0ES6_jNS0_17counting_iteratorIjlEEPS9_SE_NS0_5tupleIJPjSE_EEENSF_IJSE_SE_EEES9_SG_JZNS1_25segmented_radix_sort_implINS0_14default_configELb1EPK6__halfPSL_PKlPlN2at6native12_GLOBAL__N_18offset_tEEE10hipError_tPvRmT1_PNSt15iterator_traitsISZ_E10value_typeET2_T3_PNS10_IS15_E10value_typeET4_jRbjT5_S1B_jjP12ihipStream_tbEUljE_EEESW_SX_SY_S15_S19_S1B_T6_T7_T9_mT8_S1D_bDpT10_ENKUlT_T0_E_clISt17integral_constantIbLb1EES1P_IbLb0EEEEDaS1L_S1M_EUlS1L_E_NS1_11comp_targetILNS1_3genE8ELNS1_11target_archE1030ELNS1_3gpuE2ELNS1_3repE0EEENS1_30default_config_static_selectorELNS0_4arch9wavefront6targetE0EEEvSZ_,@function
_ZN7rocprim17ROCPRIM_400000_NS6detail17trampoline_kernelINS0_13select_configILj256ELj13ELNS0_17block_load_methodE3ELS4_3ELS4_3ELNS0_20block_scan_algorithmE0ELj4294967295EEENS1_25partition_config_selectorILNS1_17partition_subalgoE3EjNS0_10empty_typeEbEEZZNS1_14partition_implILS8_3ELb0ES6_jNS0_17counting_iteratorIjlEEPS9_SE_NS0_5tupleIJPjSE_EEENSF_IJSE_SE_EEES9_SG_JZNS1_25segmented_radix_sort_implINS0_14default_configELb1EPK6__halfPSL_PKlPlN2at6native12_GLOBAL__N_18offset_tEEE10hipError_tPvRmT1_PNSt15iterator_traitsISZ_E10value_typeET2_T3_PNS10_IS15_E10value_typeET4_jRbjT5_S1B_jjP12ihipStream_tbEUljE_EEESW_SX_SY_S15_S19_S1B_T6_T7_T9_mT8_S1D_bDpT10_ENKUlT_T0_E_clISt17integral_constantIbLb1EES1P_IbLb0EEEEDaS1L_S1M_EUlS1L_E_NS1_11comp_targetILNS1_3genE8ELNS1_11target_archE1030ELNS1_3gpuE2ELNS1_3repE0EEENS1_30default_config_static_selectorELNS0_4arch9wavefront6targetE0EEEvSZ_: ; @_ZN7rocprim17ROCPRIM_400000_NS6detail17trampoline_kernelINS0_13select_configILj256ELj13ELNS0_17block_load_methodE3ELS4_3ELS4_3ELNS0_20block_scan_algorithmE0ELj4294967295EEENS1_25partition_config_selectorILNS1_17partition_subalgoE3EjNS0_10empty_typeEbEEZZNS1_14partition_implILS8_3ELb0ES6_jNS0_17counting_iteratorIjlEEPS9_SE_NS0_5tupleIJPjSE_EEENSF_IJSE_SE_EEES9_SG_JZNS1_25segmented_radix_sort_implINS0_14default_configELb1EPK6__halfPSL_PKlPlN2at6native12_GLOBAL__N_18offset_tEEE10hipError_tPvRmT1_PNSt15iterator_traitsISZ_E10value_typeET2_T3_PNS10_IS15_E10value_typeET4_jRbjT5_S1B_jjP12ihipStream_tbEUljE_EEESW_SX_SY_S15_S19_S1B_T6_T7_T9_mT8_S1D_bDpT10_ENKUlT_T0_E_clISt17integral_constantIbLb1EES1P_IbLb0EEEEDaS1L_S1M_EUlS1L_E_NS1_11comp_targetILNS1_3genE8ELNS1_11target_archE1030ELNS1_3gpuE2ELNS1_3repE0EEENS1_30default_config_static_selectorELNS0_4arch9wavefront6targetE0EEEvSZ_
; %bb.0:
	.section	.rodata,"a",@progbits
	.p2align	6, 0x0
	.amdhsa_kernel _ZN7rocprim17ROCPRIM_400000_NS6detail17trampoline_kernelINS0_13select_configILj256ELj13ELNS0_17block_load_methodE3ELS4_3ELS4_3ELNS0_20block_scan_algorithmE0ELj4294967295EEENS1_25partition_config_selectorILNS1_17partition_subalgoE3EjNS0_10empty_typeEbEEZZNS1_14partition_implILS8_3ELb0ES6_jNS0_17counting_iteratorIjlEEPS9_SE_NS0_5tupleIJPjSE_EEENSF_IJSE_SE_EEES9_SG_JZNS1_25segmented_radix_sort_implINS0_14default_configELb1EPK6__halfPSL_PKlPlN2at6native12_GLOBAL__N_18offset_tEEE10hipError_tPvRmT1_PNSt15iterator_traitsISZ_E10value_typeET2_T3_PNS10_IS15_E10value_typeET4_jRbjT5_S1B_jjP12ihipStream_tbEUljE_EEESW_SX_SY_S15_S19_S1B_T6_T7_T9_mT8_S1D_bDpT10_ENKUlT_T0_E_clISt17integral_constantIbLb1EES1P_IbLb0EEEEDaS1L_S1M_EUlS1L_E_NS1_11comp_targetILNS1_3genE8ELNS1_11target_archE1030ELNS1_3gpuE2ELNS1_3repE0EEENS1_30default_config_static_selectorELNS0_4arch9wavefront6targetE0EEEvSZ_
		.amdhsa_group_segment_fixed_size 0
		.amdhsa_private_segment_fixed_size 0
		.amdhsa_kernarg_size 144
		.amdhsa_user_sgpr_count 2
		.amdhsa_user_sgpr_dispatch_ptr 0
		.amdhsa_user_sgpr_queue_ptr 0
		.amdhsa_user_sgpr_kernarg_segment_ptr 1
		.amdhsa_user_sgpr_dispatch_id 0
		.amdhsa_user_sgpr_kernarg_preload_length 0
		.amdhsa_user_sgpr_kernarg_preload_offset 0
		.amdhsa_user_sgpr_private_segment_size 0
		.amdhsa_wavefront_size32 1
		.amdhsa_uses_dynamic_stack 0
		.amdhsa_enable_private_segment 0
		.amdhsa_system_sgpr_workgroup_id_x 1
		.amdhsa_system_sgpr_workgroup_id_y 0
		.amdhsa_system_sgpr_workgroup_id_z 0
		.amdhsa_system_sgpr_workgroup_info 0
		.amdhsa_system_vgpr_workitem_id 0
		.amdhsa_next_free_vgpr 1
		.amdhsa_next_free_sgpr 1
		.amdhsa_named_barrier_count 0
		.amdhsa_reserve_vcc 0
		.amdhsa_float_round_mode_32 0
		.amdhsa_float_round_mode_16_64 0
		.amdhsa_float_denorm_mode_32 3
		.amdhsa_float_denorm_mode_16_64 3
		.amdhsa_fp16_overflow 0
		.amdhsa_memory_ordered 1
		.amdhsa_forward_progress 1
		.amdhsa_inst_pref_size 0
		.amdhsa_round_robin_scheduling 0
		.amdhsa_exception_fp_ieee_invalid_op 0
		.amdhsa_exception_fp_denorm_src 0
		.amdhsa_exception_fp_ieee_div_zero 0
		.amdhsa_exception_fp_ieee_overflow 0
		.amdhsa_exception_fp_ieee_underflow 0
		.amdhsa_exception_fp_ieee_inexact 0
		.amdhsa_exception_int_div_zero 0
	.end_amdhsa_kernel
	.section	.text._ZN7rocprim17ROCPRIM_400000_NS6detail17trampoline_kernelINS0_13select_configILj256ELj13ELNS0_17block_load_methodE3ELS4_3ELS4_3ELNS0_20block_scan_algorithmE0ELj4294967295EEENS1_25partition_config_selectorILNS1_17partition_subalgoE3EjNS0_10empty_typeEbEEZZNS1_14partition_implILS8_3ELb0ES6_jNS0_17counting_iteratorIjlEEPS9_SE_NS0_5tupleIJPjSE_EEENSF_IJSE_SE_EEES9_SG_JZNS1_25segmented_radix_sort_implINS0_14default_configELb1EPK6__halfPSL_PKlPlN2at6native12_GLOBAL__N_18offset_tEEE10hipError_tPvRmT1_PNSt15iterator_traitsISZ_E10value_typeET2_T3_PNS10_IS15_E10value_typeET4_jRbjT5_S1B_jjP12ihipStream_tbEUljE_EEESW_SX_SY_S15_S19_S1B_T6_T7_T9_mT8_S1D_bDpT10_ENKUlT_T0_E_clISt17integral_constantIbLb1EES1P_IbLb0EEEEDaS1L_S1M_EUlS1L_E_NS1_11comp_targetILNS1_3genE8ELNS1_11target_archE1030ELNS1_3gpuE2ELNS1_3repE0EEENS1_30default_config_static_selectorELNS0_4arch9wavefront6targetE0EEEvSZ_,"axG",@progbits,_ZN7rocprim17ROCPRIM_400000_NS6detail17trampoline_kernelINS0_13select_configILj256ELj13ELNS0_17block_load_methodE3ELS4_3ELS4_3ELNS0_20block_scan_algorithmE0ELj4294967295EEENS1_25partition_config_selectorILNS1_17partition_subalgoE3EjNS0_10empty_typeEbEEZZNS1_14partition_implILS8_3ELb0ES6_jNS0_17counting_iteratorIjlEEPS9_SE_NS0_5tupleIJPjSE_EEENSF_IJSE_SE_EEES9_SG_JZNS1_25segmented_radix_sort_implINS0_14default_configELb1EPK6__halfPSL_PKlPlN2at6native12_GLOBAL__N_18offset_tEEE10hipError_tPvRmT1_PNSt15iterator_traitsISZ_E10value_typeET2_T3_PNS10_IS15_E10value_typeET4_jRbjT5_S1B_jjP12ihipStream_tbEUljE_EEESW_SX_SY_S15_S19_S1B_T6_T7_T9_mT8_S1D_bDpT10_ENKUlT_T0_E_clISt17integral_constantIbLb1EES1P_IbLb0EEEEDaS1L_S1M_EUlS1L_E_NS1_11comp_targetILNS1_3genE8ELNS1_11target_archE1030ELNS1_3gpuE2ELNS1_3repE0EEENS1_30default_config_static_selectorELNS0_4arch9wavefront6targetE0EEEvSZ_,comdat
.Lfunc_end1720:
	.size	_ZN7rocprim17ROCPRIM_400000_NS6detail17trampoline_kernelINS0_13select_configILj256ELj13ELNS0_17block_load_methodE3ELS4_3ELS4_3ELNS0_20block_scan_algorithmE0ELj4294967295EEENS1_25partition_config_selectorILNS1_17partition_subalgoE3EjNS0_10empty_typeEbEEZZNS1_14partition_implILS8_3ELb0ES6_jNS0_17counting_iteratorIjlEEPS9_SE_NS0_5tupleIJPjSE_EEENSF_IJSE_SE_EEES9_SG_JZNS1_25segmented_radix_sort_implINS0_14default_configELb1EPK6__halfPSL_PKlPlN2at6native12_GLOBAL__N_18offset_tEEE10hipError_tPvRmT1_PNSt15iterator_traitsISZ_E10value_typeET2_T3_PNS10_IS15_E10value_typeET4_jRbjT5_S1B_jjP12ihipStream_tbEUljE_EEESW_SX_SY_S15_S19_S1B_T6_T7_T9_mT8_S1D_bDpT10_ENKUlT_T0_E_clISt17integral_constantIbLb1EES1P_IbLb0EEEEDaS1L_S1M_EUlS1L_E_NS1_11comp_targetILNS1_3genE8ELNS1_11target_archE1030ELNS1_3gpuE2ELNS1_3repE0EEENS1_30default_config_static_selectorELNS0_4arch9wavefront6targetE0EEEvSZ_, .Lfunc_end1720-_ZN7rocprim17ROCPRIM_400000_NS6detail17trampoline_kernelINS0_13select_configILj256ELj13ELNS0_17block_load_methodE3ELS4_3ELS4_3ELNS0_20block_scan_algorithmE0ELj4294967295EEENS1_25partition_config_selectorILNS1_17partition_subalgoE3EjNS0_10empty_typeEbEEZZNS1_14partition_implILS8_3ELb0ES6_jNS0_17counting_iteratorIjlEEPS9_SE_NS0_5tupleIJPjSE_EEENSF_IJSE_SE_EEES9_SG_JZNS1_25segmented_radix_sort_implINS0_14default_configELb1EPK6__halfPSL_PKlPlN2at6native12_GLOBAL__N_18offset_tEEE10hipError_tPvRmT1_PNSt15iterator_traitsISZ_E10value_typeET2_T3_PNS10_IS15_E10value_typeET4_jRbjT5_S1B_jjP12ihipStream_tbEUljE_EEESW_SX_SY_S15_S19_S1B_T6_T7_T9_mT8_S1D_bDpT10_ENKUlT_T0_E_clISt17integral_constantIbLb1EES1P_IbLb0EEEEDaS1L_S1M_EUlS1L_E_NS1_11comp_targetILNS1_3genE8ELNS1_11target_archE1030ELNS1_3gpuE2ELNS1_3repE0EEENS1_30default_config_static_selectorELNS0_4arch9wavefront6targetE0EEEvSZ_
                                        ; -- End function
	.set _ZN7rocprim17ROCPRIM_400000_NS6detail17trampoline_kernelINS0_13select_configILj256ELj13ELNS0_17block_load_methodE3ELS4_3ELS4_3ELNS0_20block_scan_algorithmE0ELj4294967295EEENS1_25partition_config_selectorILNS1_17partition_subalgoE3EjNS0_10empty_typeEbEEZZNS1_14partition_implILS8_3ELb0ES6_jNS0_17counting_iteratorIjlEEPS9_SE_NS0_5tupleIJPjSE_EEENSF_IJSE_SE_EEES9_SG_JZNS1_25segmented_radix_sort_implINS0_14default_configELb1EPK6__halfPSL_PKlPlN2at6native12_GLOBAL__N_18offset_tEEE10hipError_tPvRmT1_PNSt15iterator_traitsISZ_E10value_typeET2_T3_PNS10_IS15_E10value_typeET4_jRbjT5_S1B_jjP12ihipStream_tbEUljE_EEESW_SX_SY_S15_S19_S1B_T6_T7_T9_mT8_S1D_bDpT10_ENKUlT_T0_E_clISt17integral_constantIbLb1EES1P_IbLb0EEEEDaS1L_S1M_EUlS1L_E_NS1_11comp_targetILNS1_3genE8ELNS1_11target_archE1030ELNS1_3gpuE2ELNS1_3repE0EEENS1_30default_config_static_selectorELNS0_4arch9wavefront6targetE0EEEvSZ_.num_vgpr, 0
	.set _ZN7rocprim17ROCPRIM_400000_NS6detail17trampoline_kernelINS0_13select_configILj256ELj13ELNS0_17block_load_methodE3ELS4_3ELS4_3ELNS0_20block_scan_algorithmE0ELj4294967295EEENS1_25partition_config_selectorILNS1_17partition_subalgoE3EjNS0_10empty_typeEbEEZZNS1_14partition_implILS8_3ELb0ES6_jNS0_17counting_iteratorIjlEEPS9_SE_NS0_5tupleIJPjSE_EEENSF_IJSE_SE_EEES9_SG_JZNS1_25segmented_radix_sort_implINS0_14default_configELb1EPK6__halfPSL_PKlPlN2at6native12_GLOBAL__N_18offset_tEEE10hipError_tPvRmT1_PNSt15iterator_traitsISZ_E10value_typeET2_T3_PNS10_IS15_E10value_typeET4_jRbjT5_S1B_jjP12ihipStream_tbEUljE_EEESW_SX_SY_S15_S19_S1B_T6_T7_T9_mT8_S1D_bDpT10_ENKUlT_T0_E_clISt17integral_constantIbLb1EES1P_IbLb0EEEEDaS1L_S1M_EUlS1L_E_NS1_11comp_targetILNS1_3genE8ELNS1_11target_archE1030ELNS1_3gpuE2ELNS1_3repE0EEENS1_30default_config_static_selectorELNS0_4arch9wavefront6targetE0EEEvSZ_.num_agpr, 0
	.set _ZN7rocprim17ROCPRIM_400000_NS6detail17trampoline_kernelINS0_13select_configILj256ELj13ELNS0_17block_load_methodE3ELS4_3ELS4_3ELNS0_20block_scan_algorithmE0ELj4294967295EEENS1_25partition_config_selectorILNS1_17partition_subalgoE3EjNS0_10empty_typeEbEEZZNS1_14partition_implILS8_3ELb0ES6_jNS0_17counting_iteratorIjlEEPS9_SE_NS0_5tupleIJPjSE_EEENSF_IJSE_SE_EEES9_SG_JZNS1_25segmented_radix_sort_implINS0_14default_configELb1EPK6__halfPSL_PKlPlN2at6native12_GLOBAL__N_18offset_tEEE10hipError_tPvRmT1_PNSt15iterator_traitsISZ_E10value_typeET2_T3_PNS10_IS15_E10value_typeET4_jRbjT5_S1B_jjP12ihipStream_tbEUljE_EEESW_SX_SY_S15_S19_S1B_T6_T7_T9_mT8_S1D_bDpT10_ENKUlT_T0_E_clISt17integral_constantIbLb1EES1P_IbLb0EEEEDaS1L_S1M_EUlS1L_E_NS1_11comp_targetILNS1_3genE8ELNS1_11target_archE1030ELNS1_3gpuE2ELNS1_3repE0EEENS1_30default_config_static_selectorELNS0_4arch9wavefront6targetE0EEEvSZ_.numbered_sgpr, 0
	.set _ZN7rocprim17ROCPRIM_400000_NS6detail17trampoline_kernelINS0_13select_configILj256ELj13ELNS0_17block_load_methodE3ELS4_3ELS4_3ELNS0_20block_scan_algorithmE0ELj4294967295EEENS1_25partition_config_selectorILNS1_17partition_subalgoE3EjNS0_10empty_typeEbEEZZNS1_14partition_implILS8_3ELb0ES6_jNS0_17counting_iteratorIjlEEPS9_SE_NS0_5tupleIJPjSE_EEENSF_IJSE_SE_EEES9_SG_JZNS1_25segmented_radix_sort_implINS0_14default_configELb1EPK6__halfPSL_PKlPlN2at6native12_GLOBAL__N_18offset_tEEE10hipError_tPvRmT1_PNSt15iterator_traitsISZ_E10value_typeET2_T3_PNS10_IS15_E10value_typeET4_jRbjT5_S1B_jjP12ihipStream_tbEUljE_EEESW_SX_SY_S15_S19_S1B_T6_T7_T9_mT8_S1D_bDpT10_ENKUlT_T0_E_clISt17integral_constantIbLb1EES1P_IbLb0EEEEDaS1L_S1M_EUlS1L_E_NS1_11comp_targetILNS1_3genE8ELNS1_11target_archE1030ELNS1_3gpuE2ELNS1_3repE0EEENS1_30default_config_static_selectorELNS0_4arch9wavefront6targetE0EEEvSZ_.num_named_barrier, 0
	.set _ZN7rocprim17ROCPRIM_400000_NS6detail17trampoline_kernelINS0_13select_configILj256ELj13ELNS0_17block_load_methodE3ELS4_3ELS4_3ELNS0_20block_scan_algorithmE0ELj4294967295EEENS1_25partition_config_selectorILNS1_17partition_subalgoE3EjNS0_10empty_typeEbEEZZNS1_14partition_implILS8_3ELb0ES6_jNS0_17counting_iteratorIjlEEPS9_SE_NS0_5tupleIJPjSE_EEENSF_IJSE_SE_EEES9_SG_JZNS1_25segmented_radix_sort_implINS0_14default_configELb1EPK6__halfPSL_PKlPlN2at6native12_GLOBAL__N_18offset_tEEE10hipError_tPvRmT1_PNSt15iterator_traitsISZ_E10value_typeET2_T3_PNS10_IS15_E10value_typeET4_jRbjT5_S1B_jjP12ihipStream_tbEUljE_EEESW_SX_SY_S15_S19_S1B_T6_T7_T9_mT8_S1D_bDpT10_ENKUlT_T0_E_clISt17integral_constantIbLb1EES1P_IbLb0EEEEDaS1L_S1M_EUlS1L_E_NS1_11comp_targetILNS1_3genE8ELNS1_11target_archE1030ELNS1_3gpuE2ELNS1_3repE0EEENS1_30default_config_static_selectorELNS0_4arch9wavefront6targetE0EEEvSZ_.private_seg_size, 0
	.set _ZN7rocprim17ROCPRIM_400000_NS6detail17trampoline_kernelINS0_13select_configILj256ELj13ELNS0_17block_load_methodE3ELS4_3ELS4_3ELNS0_20block_scan_algorithmE0ELj4294967295EEENS1_25partition_config_selectorILNS1_17partition_subalgoE3EjNS0_10empty_typeEbEEZZNS1_14partition_implILS8_3ELb0ES6_jNS0_17counting_iteratorIjlEEPS9_SE_NS0_5tupleIJPjSE_EEENSF_IJSE_SE_EEES9_SG_JZNS1_25segmented_radix_sort_implINS0_14default_configELb1EPK6__halfPSL_PKlPlN2at6native12_GLOBAL__N_18offset_tEEE10hipError_tPvRmT1_PNSt15iterator_traitsISZ_E10value_typeET2_T3_PNS10_IS15_E10value_typeET4_jRbjT5_S1B_jjP12ihipStream_tbEUljE_EEESW_SX_SY_S15_S19_S1B_T6_T7_T9_mT8_S1D_bDpT10_ENKUlT_T0_E_clISt17integral_constantIbLb1EES1P_IbLb0EEEEDaS1L_S1M_EUlS1L_E_NS1_11comp_targetILNS1_3genE8ELNS1_11target_archE1030ELNS1_3gpuE2ELNS1_3repE0EEENS1_30default_config_static_selectorELNS0_4arch9wavefront6targetE0EEEvSZ_.uses_vcc, 0
	.set _ZN7rocprim17ROCPRIM_400000_NS6detail17trampoline_kernelINS0_13select_configILj256ELj13ELNS0_17block_load_methodE3ELS4_3ELS4_3ELNS0_20block_scan_algorithmE0ELj4294967295EEENS1_25partition_config_selectorILNS1_17partition_subalgoE3EjNS0_10empty_typeEbEEZZNS1_14partition_implILS8_3ELb0ES6_jNS0_17counting_iteratorIjlEEPS9_SE_NS0_5tupleIJPjSE_EEENSF_IJSE_SE_EEES9_SG_JZNS1_25segmented_radix_sort_implINS0_14default_configELb1EPK6__halfPSL_PKlPlN2at6native12_GLOBAL__N_18offset_tEEE10hipError_tPvRmT1_PNSt15iterator_traitsISZ_E10value_typeET2_T3_PNS10_IS15_E10value_typeET4_jRbjT5_S1B_jjP12ihipStream_tbEUljE_EEESW_SX_SY_S15_S19_S1B_T6_T7_T9_mT8_S1D_bDpT10_ENKUlT_T0_E_clISt17integral_constantIbLb1EES1P_IbLb0EEEEDaS1L_S1M_EUlS1L_E_NS1_11comp_targetILNS1_3genE8ELNS1_11target_archE1030ELNS1_3gpuE2ELNS1_3repE0EEENS1_30default_config_static_selectorELNS0_4arch9wavefront6targetE0EEEvSZ_.uses_flat_scratch, 0
	.set _ZN7rocprim17ROCPRIM_400000_NS6detail17trampoline_kernelINS0_13select_configILj256ELj13ELNS0_17block_load_methodE3ELS4_3ELS4_3ELNS0_20block_scan_algorithmE0ELj4294967295EEENS1_25partition_config_selectorILNS1_17partition_subalgoE3EjNS0_10empty_typeEbEEZZNS1_14partition_implILS8_3ELb0ES6_jNS0_17counting_iteratorIjlEEPS9_SE_NS0_5tupleIJPjSE_EEENSF_IJSE_SE_EEES9_SG_JZNS1_25segmented_radix_sort_implINS0_14default_configELb1EPK6__halfPSL_PKlPlN2at6native12_GLOBAL__N_18offset_tEEE10hipError_tPvRmT1_PNSt15iterator_traitsISZ_E10value_typeET2_T3_PNS10_IS15_E10value_typeET4_jRbjT5_S1B_jjP12ihipStream_tbEUljE_EEESW_SX_SY_S15_S19_S1B_T6_T7_T9_mT8_S1D_bDpT10_ENKUlT_T0_E_clISt17integral_constantIbLb1EES1P_IbLb0EEEEDaS1L_S1M_EUlS1L_E_NS1_11comp_targetILNS1_3genE8ELNS1_11target_archE1030ELNS1_3gpuE2ELNS1_3repE0EEENS1_30default_config_static_selectorELNS0_4arch9wavefront6targetE0EEEvSZ_.has_dyn_sized_stack, 0
	.set _ZN7rocprim17ROCPRIM_400000_NS6detail17trampoline_kernelINS0_13select_configILj256ELj13ELNS0_17block_load_methodE3ELS4_3ELS4_3ELNS0_20block_scan_algorithmE0ELj4294967295EEENS1_25partition_config_selectorILNS1_17partition_subalgoE3EjNS0_10empty_typeEbEEZZNS1_14partition_implILS8_3ELb0ES6_jNS0_17counting_iteratorIjlEEPS9_SE_NS0_5tupleIJPjSE_EEENSF_IJSE_SE_EEES9_SG_JZNS1_25segmented_radix_sort_implINS0_14default_configELb1EPK6__halfPSL_PKlPlN2at6native12_GLOBAL__N_18offset_tEEE10hipError_tPvRmT1_PNSt15iterator_traitsISZ_E10value_typeET2_T3_PNS10_IS15_E10value_typeET4_jRbjT5_S1B_jjP12ihipStream_tbEUljE_EEESW_SX_SY_S15_S19_S1B_T6_T7_T9_mT8_S1D_bDpT10_ENKUlT_T0_E_clISt17integral_constantIbLb1EES1P_IbLb0EEEEDaS1L_S1M_EUlS1L_E_NS1_11comp_targetILNS1_3genE8ELNS1_11target_archE1030ELNS1_3gpuE2ELNS1_3repE0EEENS1_30default_config_static_selectorELNS0_4arch9wavefront6targetE0EEEvSZ_.has_recursion, 0
	.set _ZN7rocprim17ROCPRIM_400000_NS6detail17trampoline_kernelINS0_13select_configILj256ELj13ELNS0_17block_load_methodE3ELS4_3ELS4_3ELNS0_20block_scan_algorithmE0ELj4294967295EEENS1_25partition_config_selectorILNS1_17partition_subalgoE3EjNS0_10empty_typeEbEEZZNS1_14partition_implILS8_3ELb0ES6_jNS0_17counting_iteratorIjlEEPS9_SE_NS0_5tupleIJPjSE_EEENSF_IJSE_SE_EEES9_SG_JZNS1_25segmented_radix_sort_implINS0_14default_configELb1EPK6__halfPSL_PKlPlN2at6native12_GLOBAL__N_18offset_tEEE10hipError_tPvRmT1_PNSt15iterator_traitsISZ_E10value_typeET2_T3_PNS10_IS15_E10value_typeET4_jRbjT5_S1B_jjP12ihipStream_tbEUljE_EEESW_SX_SY_S15_S19_S1B_T6_T7_T9_mT8_S1D_bDpT10_ENKUlT_T0_E_clISt17integral_constantIbLb1EES1P_IbLb0EEEEDaS1L_S1M_EUlS1L_E_NS1_11comp_targetILNS1_3genE8ELNS1_11target_archE1030ELNS1_3gpuE2ELNS1_3repE0EEENS1_30default_config_static_selectorELNS0_4arch9wavefront6targetE0EEEvSZ_.has_indirect_call, 0
	.section	.AMDGPU.csdata,"",@progbits
; Kernel info:
; codeLenInByte = 0
; TotalNumSgprs: 0
; NumVgprs: 0
; ScratchSize: 0
; MemoryBound: 0
; FloatMode: 240
; IeeeMode: 1
; LDSByteSize: 0 bytes/workgroup (compile time only)
; SGPRBlocks: 0
; VGPRBlocks: 0
; NumSGPRsForWavesPerEU: 1
; NumVGPRsForWavesPerEU: 1
; NamedBarCnt: 0
; Occupancy: 16
; WaveLimiterHint : 0
; COMPUTE_PGM_RSRC2:SCRATCH_EN: 0
; COMPUTE_PGM_RSRC2:USER_SGPR: 2
; COMPUTE_PGM_RSRC2:TRAP_HANDLER: 0
; COMPUTE_PGM_RSRC2:TGID_X_EN: 1
; COMPUTE_PGM_RSRC2:TGID_Y_EN: 0
; COMPUTE_PGM_RSRC2:TGID_Z_EN: 0
; COMPUTE_PGM_RSRC2:TIDIG_COMP_CNT: 0
	.section	.text._ZN7rocprim17ROCPRIM_400000_NS6detail17trampoline_kernelINS0_13select_configILj256ELj13ELNS0_17block_load_methodE3ELS4_3ELS4_3ELNS0_20block_scan_algorithmE0ELj4294967295EEENS1_25partition_config_selectorILNS1_17partition_subalgoE3EjNS0_10empty_typeEbEEZZNS1_14partition_implILS8_3ELb0ES6_jNS0_17counting_iteratorIjlEEPS9_SE_NS0_5tupleIJPjSE_EEENSF_IJSE_SE_EEES9_SG_JZNS1_25segmented_radix_sort_implINS0_14default_configELb1EPK6__halfPSL_PKlPlN2at6native12_GLOBAL__N_18offset_tEEE10hipError_tPvRmT1_PNSt15iterator_traitsISZ_E10value_typeET2_T3_PNS10_IS15_E10value_typeET4_jRbjT5_S1B_jjP12ihipStream_tbEUljE_EEESW_SX_SY_S15_S19_S1B_T6_T7_T9_mT8_S1D_bDpT10_ENKUlT_T0_E_clISt17integral_constantIbLb0EES1P_IbLb1EEEEDaS1L_S1M_EUlS1L_E_NS1_11comp_targetILNS1_3genE0ELNS1_11target_archE4294967295ELNS1_3gpuE0ELNS1_3repE0EEENS1_30default_config_static_selectorELNS0_4arch9wavefront6targetE0EEEvSZ_,"axG",@progbits,_ZN7rocprim17ROCPRIM_400000_NS6detail17trampoline_kernelINS0_13select_configILj256ELj13ELNS0_17block_load_methodE3ELS4_3ELS4_3ELNS0_20block_scan_algorithmE0ELj4294967295EEENS1_25partition_config_selectorILNS1_17partition_subalgoE3EjNS0_10empty_typeEbEEZZNS1_14partition_implILS8_3ELb0ES6_jNS0_17counting_iteratorIjlEEPS9_SE_NS0_5tupleIJPjSE_EEENSF_IJSE_SE_EEES9_SG_JZNS1_25segmented_radix_sort_implINS0_14default_configELb1EPK6__halfPSL_PKlPlN2at6native12_GLOBAL__N_18offset_tEEE10hipError_tPvRmT1_PNSt15iterator_traitsISZ_E10value_typeET2_T3_PNS10_IS15_E10value_typeET4_jRbjT5_S1B_jjP12ihipStream_tbEUljE_EEESW_SX_SY_S15_S19_S1B_T6_T7_T9_mT8_S1D_bDpT10_ENKUlT_T0_E_clISt17integral_constantIbLb0EES1P_IbLb1EEEEDaS1L_S1M_EUlS1L_E_NS1_11comp_targetILNS1_3genE0ELNS1_11target_archE4294967295ELNS1_3gpuE0ELNS1_3repE0EEENS1_30default_config_static_selectorELNS0_4arch9wavefront6targetE0EEEvSZ_,comdat
	.globl	_ZN7rocprim17ROCPRIM_400000_NS6detail17trampoline_kernelINS0_13select_configILj256ELj13ELNS0_17block_load_methodE3ELS4_3ELS4_3ELNS0_20block_scan_algorithmE0ELj4294967295EEENS1_25partition_config_selectorILNS1_17partition_subalgoE3EjNS0_10empty_typeEbEEZZNS1_14partition_implILS8_3ELb0ES6_jNS0_17counting_iteratorIjlEEPS9_SE_NS0_5tupleIJPjSE_EEENSF_IJSE_SE_EEES9_SG_JZNS1_25segmented_radix_sort_implINS0_14default_configELb1EPK6__halfPSL_PKlPlN2at6native12_GLOBAL__N_18offset_tEEE10hipError_tPvRmT1_PNSt15iterator_traitsISZ_E10value_typeET2_T3_PNS10_IS15_E10value_typeET4_jRbjT5_S1B_jjP12ihipStream_tbEUljE_EEESW_SX_SY_S15_S19_S1B_T6_T7_T9_mT8_S1D_bDpT10_ENKUlT_T0_E_clISt17integral_constantIbLb0EES1P_IbLb1EEEEDaS1L_S1M_EUlS1L_E_NS1_11comp_targetILNS1_3genE0ELNS1_11target_archE4294967295ELNS1_3gpuE0ELNS1_3repE0EEENS1_30default_config_static_selectorELNS0_4arch9wavefront6targetE0EEEvSZ_ ; -- Begin function _ZN7rocprim17ROCPRIM_400000_NS6detail17trampoline_kernelINS0_13select_configILj256ELj13ELNS0_17block_load_methodE3ELS4_3ELS4_3ELNS0_20block_scan_algorithmE0ELj4294967295EEENS1_25partition_config_selectorILNS1_17partition_subalgoE3EjNS0_10empty_typeEbEEZZNS1_14partition_implILS8_3ELb0ES6_jNS0_17counting_iteratorIjlEEPS9_SE_NS0_5tupleIJPjSE_EEENSF_IJSE_SE_EEES9_SG_JZNS1_25segmented_radix_sort_implINS0_14default_configELb1EPK6__halfPSL_PKlPlN2at6native12_GLOBAL__N_18offset_tEEE10hipError_tPvRmT1_PNSt15iterator_traitsISZ_E10value_typeET2_T3_PNS10_IS15_E10value_typeET4_jRbjT5_S1B_jjP12ihipStream_tbEUljE_EEESW_SX_SY_S15_S19_S1B_T6_T7_T9_mT8_S1D_bDpT10_ENKUlT_T0_E_clISt17integral_constantIbLb0EES1P_IbLb1EEEEDaS1L_S1M_EUlS1L_E_NS1_11comp_targetILNS1_3genE0ELNS1_11target_archE4294967295ELNS1_3gpuE0ELNS1_3repE0EEENS1_30default_config_static_selectorELNS0_4arch9wavefront6targetE0EEEvSZ_
	.p2align	8
	.type	_ZN7rocprim17ROCPRIM_400000_NS6detail17trampoline_kernelINS0_13select_configILj256ELj13ELNS0_17block_load_methodE3ELS4_3ELS4_3ELNS0_20block_scan_algorithmE0ELj4294967295EEENS1_25partition_config_selectorILNS1_17partition_subalgoE3EjNS0_10empty_typeEbEEZZNS1_14partition_implILS8_3ELb0ES6_jNS0_17counting_iteratorIjlEEPS9_SE_NS0_5tupleIJPjSE_EEENSF_IJSE_SE_EEES9_SG_JZNS1_25segmented_radix_sort_implINS0_14default_configELb1EPK6__halfPSL_PKlPlN2at6native12_GLOBAL__N_18offset_tEEE10hipError_tPvRmT1_PNSt15iterator_traitsISZ_E10value_typeET2_T3_PNS10_IS15_E10value_typeET4_jRbjT5_S1B_jjP12ihipStream_tbEUljE_EEESW_SX_SY_S15_S19_S1B_T6_T7_T9_mT8_S1D_bDpT10_ENKUlT_T0_E_clISt17integral_constantIbLb0EES1P_IbLb1EEEEDaS1L_S1M_EUlS1L_E_NS1_11comp_targetILNS1_3genE0ELNS1_11target_archE4294967295ELNS1_3gpuE0ELNS1_3repE0EEENS1_30default_config_static_selectorELNS0_4arch9wavefront6targetE0EEEvSZ_,@function
_ZN7rocprim17ROCPRIM_400000_NS6detail17trampoline_kernelINS0_13select_configILj256ELj13ELNS0_17block_load_methodE3ELS4_3ELS4_3ELNS0_20block_scan_algorithmE0ELj4294967295EEENS1_25partition_config_selectorILNS1_17partition_subalgoE3EjNS0_10empty_typeEbEEZZNS1_14partition_implILS8_3ELb0ES6_jNS0_17counting_iteratorIjlEEPS9_SE_NS0_5tupleIJPjSE_EEENSF_IJSE_SE_EEES9_SG_JZNS1_25segmented_radix_sort_implINS0_14default_configELb1EPK6__halfPSL_PKlPlN2at6native12_GLOBAL__N_18offset_tEEE10hipError_tPvRmT1_PNSt15iterator_traitsISZ_E10value_typeET2_T3_PNS10_IS15_E10value_typeET4_jRbjT5_S1B_jjP12ihipStream_tbEUljE_EEESW_SX_SY_S15_S19_S1B_T6_T7_T9_mT8_S1D_bDpT10_ENKUlT_T0_E_clISt17integral_constantIbLb0EES1P_IbLb1EEEEDaS1L_S1M_EUlS1L_E_NS1_11comp_targetILNS1_3genE0ELNS1_11target_archE4294967295ELNS1_3gpuE0ELNS1_3repE0EEENS1_30default_config_static_selectorELNS0_4arch9wavefront6targetE0EEEvSZ_: ; @_ZN7rocprim17ROCPRIM_400000_NS6detail17trampoline_kernelINS0_13select_configILj256ELj13ELNS0_17block_load_methodE3ELS4_3ELS4_3ELNS0_20block_scan_algorithmE0ELj4294967295EEENS1_25partition_config_selectorILNS1_17partition_subalgoE3EjNS0_10empty_typeEbEEZZNS1_14partition_implILS8_3ELb0ES6_jNS0_17counting_iteratorIjlEEPS9_SE_NS0_5tupleIJPjSE_EEENSF_IJSE_SE_EEES9_SG_JZNS1_25segmented_radix_sort_implINS0_14default_configELb1EPK6__halfPSL_PKlPlN2at6native12_GLOBAL__N_18offset_tEEE10hipError_tPvRmT1_PNSt15iterator_traitsISZ_E10value_typeET2_T3_PNS10_IS15_E10value_typeET4_jRbjT5_S1B_jjP12ihipStream_tbEUljE_EEESW_SX_SY_S15_S19_S1B_T6_T7_T9_mT8_S1D_bDpT10_ENKUlT_T0_E_clISt17integral_constantIbLb0EES1P_IbLb1EEEEDaS1L_S1M_EUlS1L_E_NS1_11comp_targetILNS1_3genE0ELNS1_11target_archE4294967295ELNS1_3gpuE0ELNS1_3repE0EEENS1_30default_config_static_selectorELNS0_4arch9wavefront6targetE0EEEvSZ_
; %bb.0:
	s_clause 0x5
	s_load_b64 s[16:17], s[0:1], 0x10
	s_load_b128 s[12:15], s[0:1], 0x48
	s_load_b64 s[18:19], s[0:1], 0x58
	s_load_b64 s[20:21], s[0:1], 0x68
	s_load_b32 s3, s[0:1], 0x90
	s_load_b128 s[4:7], s[0:1], 0x80
	v_cmp_eq_u32_e64 s2, 0, v0
	s_and_saveexec_b32 s8, s2
	s_cbranch_execz .LBB1721_4
; %bb.1:
	s_mov_b32 s10, exec_lo
	s_mov_b32 s9, exec_lo
	v_mbcnt_lo_u32_b32 v1, s10, 0
                                        ; implicit-def: $vgpr2
	s_delay_alu instid0(VALU_DEP_1)
	v_cmpx_eq_u32_e32 0, v1
	s_cbranch_execz .LBB1721_3
; %bb.2:
	s_load_b64 s[22:23], s[0:1], 0x78
	s_bcnt1_i32_b32 s10, s10
	s_delay_alu instid0(SALU_CYCLE_1)
	v_dual_mov_b32 v2, 0 :: v_dual_mov_b32 v3, s10
	s_wait_xcnt 0x0
	s_wait_kmcnt 0x0
	global_atomic_add_u32 v2, v2, v3, s[22:23] th:TH_ATOMIC_RETURN scope:SCOPE_DEV
.LBB1721_3:
	s_wait_xcnt 0x0
	s_or_b32 exec_lo, exec_lo, s9
	s_wait_loadcnt 0x0
	v_readfirstlane_b32 s9, v2
	s_delay_alu instid0(VALU_DEP_1)
	v_dual_mov_b32 v2, 0 :: v_dual_add_nc_u32 v1, s9, v1
	ds_store_b32 v2, v1
.LBB1721_4:
	s_or_b32 exec_lo, exec_lo, s8
	v_dual_mov_b32 v1, 0 :: v_dual_lshlrev_b32 v19, 2, v0
	s_clause 0x2
	s_load_b32 s8, s[0:1], 0x8
	s_load_b64 s[10:11], s[0:1], 0x28
	s_load_b32 s9, s[0:1], 0x70
	s_wait_dscnt 0x0
	s_barrier_signal -1
	s_barrier_wait -1
	ds_load_b32 v4, v1
	s_wait_dscnt 0x0
	s_barrier_signal -1
	s_barrier_wait -1
	s_wait_kmcnt 0x0
	global_load_b64 v[42:43], v1, s[14:15]
	s_mov_b32 s1, 0
	s_add_co_i32 s8, s8, s16
	s_mul_i32 s0, s9, 0xd00
	s_add_co_i32 s9, s9, -1
	s_wait_xcnt 0x0
	s_add_nc_u64 s[14:15], s[16:17], s[0:1]
	s_add_co_i32 s0, s0, s16
	v_cmp_gt_u64_e64 s1, s[18:19], s[14:15]
	v_readfirstlane_b32 s23, v4
	s_sub_co_i32 s22, s18, s0
	v_cmp_ne_u32_e32 vcc_lo, s9, v4
	s_addk_co_i32 s22, 0xd00
	s_mov_b32 s15, -1
	s_cmp_eq_u32 s23, s9
	s_mul_i32 s14, s23, 0xd00
	s_cselect_b32 s9, -1, 0
	s_or_b32 s1, s1, vcc_lo
	s_delay_alu instid0(SALU_CYCLE_1)
	s_and_b32 vcc_lo, exec_lo, s1
	s_cbranch_vccz .LBB1721_6
; %bb.5:
	v_add3_u32 v1, s14, s8, v0
	s_mov_b32 s15, 0
	s_delay_alu instid0(VALU_DEP_1)
	v_add_nc_u32_e32 v2, 0x100, v1
	v_add_nc_u32_e32 v3, 0x200, v1
	;; [unrolled: 1-line block ×12, first 2 shown]
	ds_store_2addr_stride64_b32 v19, v1, v2 offset1:4
	ds_store_2addr_stride64_b32 v19, v3, v5 offset0:8 offset1:12
	ds_store_2addr_stride64_b32 v19, v6, v7 offset0:16 offset1:20
	;; [unrolled: 1-line block ×5, first 2 shown]
	ds_store_b32 v19, v14 offset:12288
	s_wait_loadcnt_dscnt 0x0
	s_barrier_signal -1
	s_barrier_wait -1
.LBB1721_6:
	v_cmp_gt_u32_e64 s0, s22, v0
	v_or_b32_e32 v40, 0x100, v0
	v_or_b32_e32 v38, 0x200, v0
	;; [unrolled: 1-line block ×12, first 2 shown]
	s_and_not1_b32 vcc_lo, exec_lo, s15
	s_cbranch_vccnz .LBB1721_8
; %bb.7:
	s_add_co_i32 s8, s14, s8
	v_cmp_gt_u32_e32 vcc_lo, s22, v40
	v_dual_add_nc_u32 v1, s8, v0 :: v_dual_add_nc_u32 v3, s8, v38
	v_dual_add_nc_u32 v2, s8, v40 :: v_dual_add_nc_u32 v8, s8, v30
	s_delay_alu instid0(VALU_DEP_2) | instskip(NEXT) | instid1(VALU_DEP_2)
	v_dual_add_nc_u32 v9, s8, v28 :: v_dual_cndmask_b32 v1, 0, v1, s0
	v_dual_cndmask_b32 v2, 0, v2 :: v_dual_add_nc_u32 v5, s8, v36
	v_cmp_gt_u32_e32 vcc_lo, s22, v38
	v_dual_add_nc_u32 v12, s8, v22 :: v_dual_add_nc_u32 v13, s8, v20
	v_dual_add_nc_u32 v6, s8, v34 :: v_dual_add_nc_u32 v7, s8, v32
	v_cndmask_b32_e32 v3, 0, v3, vcc_lo
	v_cmp_gt_u32_e32 vcc_lo, s22, v36
	v_dual_add_nc_u32 v10, s8, v26 :: v_dual_add_nc_u32 v11, s8, v24
	v_cndmask_b32_e32 v5, 0, v5, vcc_lo
	v_cmp_gt_u32_e32 vcc_lo, s22, v34
	v_cndmask_b32_e32 v6, 0, v6, vcc_lo
	v_cmp_gt_u32_e32 vcc_lo, s22, v32
	;; [unrolled: 2-line block ×7, first 2 shown]
	v_dual_add_nc_u32 v14, s8, v18 :: v_dual_cndmask_b32 v12, 0, v12, vcc_lo
	v_cmp_gt_u32_e32 vcc_lo, s22, v20
	v_cndmask_b32_e32 v13, 0, v13, vcc_lo
	v_cmp_gt_u32_e32 vcc_lo, s22, v18
	s_delay_alu instid0(VALU_DEP_4)
	v_cndmask_b32_e32 v14, 0, v14, vcc_lo
	ds_store_2addr_stride64_b32 v19, v1, v2 offset1:4
	ds_store_2addr_stride64_b32 v19, v3, v5 offset0:8 offset1:12
	ds_store_2addr_stride64_b32 v19, v6, v7 offset0:16 offset1:20
	ds_store_2addr_stride64_b32 v19, v8, v9 offset0:24 offset1:28
	ds_store_2addr_stride64_b32 v19, v10, v11 offset0:32 offset1:36
	ds_store_2addr_stride64_b32 v19, v12, v13 offset0:40 offset1:44
	ds_store_b32 v19, v14 offset:12288
	s_wait_loadcnt_dscnt 0x0
	s_barrier_signal -1
	s_barrier_wait -1
.LBB1721_8:
	v_mul_u32_u24_e32 v23, 13, v0
	s_wait_loadcnt 0x0
	v_cndmask_b32_e64 v21, 0, 1, s1
	s_and_not1_b32 vcc_lo, exec_lo, s1
	s_delay_alu instid0(VALU_DEP_2)
	v_lshlrev_b32_e32 v2, 2, v23
	ds_load_2addr_b32 v[52:53], v2 offset0:2 offset1:3
	ds_load_2addr_b32 v[48:49], v2 offset0:6 offset1:7
	;; [unrolled: 1-line block ×3, first 2 shown]
	ds_load_2addr_b32 v[54:55], v2 offset1:1
	ds_load_2addr_b32 v[44:45], v2 offset0:10 offset1:11
	ds_load_b32 v1, v2 offset:48
	ds_load_2addr_b32 v[46:47], v2 offset0:8 offset1:9
	s_wait_dscnt 0x0
	s_barrier_signal -1
	s_barrier_wait -1
	s_cbranch_vccnz .LBB1721_10
; %bb.9:
	v_dual_add_nc_u32 v2, s5, v53 :: v_dual_add_nc_u32 v3, s5, v55
	v_dual_add_nc_u32 v5, s5, v54 :: v_dual_add_nc_u32 v6, s5, v52
	;; [unrolled: 1-line block ×4, first 2 shown]
	s_delay_alu instid0(VALU_DEP_3) | instskip(NEXT) | instid1(VALU_DEP_4)
	v_mul_lo_u32 v6, v6, s4
	v_mul_lo_u32 v5, v5, s4
	;; [unrolled: 1-line block ×8, first 2 shown]
	v_dual_add_nc_u32 v11, s5, v50 :: v_dual_add_nc_u32 v12, s7, v50
	v_dual_add_nc_u32 v13, s5, v48 :: v_dual_add_nc_u32 v15, s7, v45
	v_add_nc_u32_e32 v16, s5, v44
	s_delay_alu instid0(VALU_DEP_3) | instskip(NEXT) | instid1(VALU_DEP_4)
	v_mul_lo_u32 v11, v11, s4
	v_mul_lo_u32 v12, v12, s6
	v_dual_sub_nc_u32 v2, v2, v7 :: v_dual_sub_nc_u32 v3, v3, v8
	v_dual_sub_nc_u32 v5, v5, v9 :: v_dual_sub_nc_u32 v6, v6, v10
	v_dual_add_nc_u32 v7, s5, v51 :: v_dual_add_nc_u32 v8, s7, v51
	v_dual_add_nc_u32 v9, s5, v49 :: v_dual_add_nc_u32 v10, s7, v49
	s_delay_alu instid0(VALU_DEP_4) | instskip(NEXT) | instid1(VALU_DEP_3)
	v_cmp_lt_u32_e32 vcc_lo, s3, v2
	v_mul_lo_u32 v7, v7, s4
	s_delay_alu instid0(VALU_DEP_4) | instskip(NEXT) | instid1(VALU_DEP_4)
	v_mul_lo_u32 v8, v8, s6
	v_mul_lo_u32 v9, v9, s4
	;; [unrolled: 1-line block ×3, first 2 shown]
	v_cndmask_b32_e64 v2, 0, 1, vcc_lo
	v_cmp_lt_u32_e32 vcc_lo, s3, v3
	v_dual_add_nc_u32 v17, s7, v47 :: v_dual_add_nc_u32 v25, s7, v46
	v_mul_lo_u32 v15, v15, s6
	v_add_nc_u32_e32 v14, s5, v46
	v_cndmask_b32_e64 v3, 0, 1, vcc_lo
	s_delay_alu instid0(VALU_DEP_4) | instskip(SKIP_4) | instid1(VALU_DEP_3)
	v_mul_lo_u32 v17, v17, s6
	v_sub_nc_u32_e32 v7, v7, v8
	v_dual_add_nc_u32 v8, s7, v48 :: v_dual_sub_nc_u32 v9, v9, v10
	v_dual_sub_nc_u32 v10, v11, v12 :: v_dual_add_nc_u32 v11, s5, v45
	v_mul_lo_u32 v13, v13, s4
	v_mul_lo_u32 v8, v8, s6
	v_add_nc_u32_e32 v12, s5, v47
	v_cmp_lt_u32_e32 vcc_lo, s3, v7
	v_mul_lo_u32 v11, v11, s4
	v_lshlrev_b16 v3, 8, v3
	v_mul_lo_u32 v14, v14, s4
	v_mul_lo_u32 v12, v12, s4
	v_cndmask_b32_e64 v7, 0, 1, vcc_lo
	v_cmp_lt_u32_e32 vcc_lo, s3, v9
	v_lshrrev_b32_e32 v3, 8, v3
	v_mul_lo_u32 v25, v25, s6
	v_sub_nc_u32_e32 v8, v13, v8
	v_lshlrev_b16 v7, 8, v7
	v_cndmask_b32_e64 v9, 0, 1, vcc_lo
	v_sub_nc_u32_e32 v11, v11, v15
	v_cmp_lt_u32_e32 vcc_lo, s3, v5
	s_delay_alu instid0(VALU_DEP_4)
	v_dual_add_nc_u32 v27, s7, v44 :: v_dual_lshrrev_b32 v7, 8, v7
	v_sub_nc_u32_e32 v12, v12, v17
	v_mul_lo_u32 v13, v16, s4
	v_cndmask_b32_e64 v5, 0, 1, vcc_lo
	v_cmp_lt_u32_e32 vcc_lo, s3, v11
	v_mul_lo_u32 v16, v27, s6
	v_dual_add_nc_u32 v15, s5, v1 :: v_dual_add_nc_u32 v27, s7, v1
	v_lshlrev_b16 v2, 8, v2
	v_cndmask_b32_e64 v11, 0, 1, vcc_lo
	v_cmp_lt_u32_e32 vcc_lo, s3, v12
	s_delay_alu instid0(VALU_DEP_4)
	v_mul_lo_u32 v15, v15, s4
	v_mul_lo_u32 v17, v27, s6
	v_sub_nc_u32_e32 v14, v14, v25
	v_lshlrev_b16 v3, 8, v3
	v_cndmask_b32_e64 v12, 0, 1, vcc_lo
	v_cmp_lt_u32_e32 vcc_lo, s3, v6
	v_dual_sub_nc_u32 v13, v13, v16 :: v_dual_lshrrev_b32 v2, 8, v2
	s_delay_alu instid0(VALU_DEP_4)
	v_or_b32_e32 v3, v5, v3
	v_lshlrev_b16 v5, 8, v11
	v_cndmask_b32_e64 v6, 0, 1, vcc_lo
	v_cmp_lt_u32_e32 vcc_lo, s3, v10
	v_lshlrev_b16 v11, 8, v12
	v_lshlrev_b16 v9, 8, v9
	v_sub_nc_u32_e32 v12, v15, v17
	v_lshlrev_b16 v2, 8, v2
	v_cndmask_b32_e64 v10, 0, 1, vcc_lo
	v_cmp_lt_u32_e32 vcc_lo, s3, v8
	v_lshlrev_b16 v7, 8, v7
	v_dual_lshrrev_b32 v11, 8, v11 :: v_dual_lshrrev_b32 v5, 8, v5
	v_or_b32_e32 v2, v6, v2
	v_cndmask_b32_e64 v8, 0, 1, vcc_lo
	v_cmp_lt_u32_e32 vcc_lo, s3, v14
	s_delay_alu instid0(VALU_DEP_4)
	v_lshlrev_b16 v11, 8, v11
	v_lshlrev_b16 v5, 8, v5
	v_dual_lshlrev_b32 v2, 16, v2 :: v_dual_bitop2_b32 v6, v10, v7 bitop3:0x54
	v_cndmask_b32_e64 v14, 0, 1, vcc_lo
	v_cmp_lt_u32_e32 vcc_lo, s3, v13
	v_or_b32_e32 v7, v8, v9
	v_and_b32_e32 v3, 0xffff, v3
	v_and_b32_e32 v6, 0xffff, v6
	v_cndmask_b32_e64 v13, 0, 1, vcc_lo
	s_delay_alu instid0(VALU_DEP_4) | instskip(SKIP_2) | instid1(VALU_DEP_4)
	v_lshlrev_b32_e32 v7, 16, v7
	v_cmp_lt_u32_e32 vcc_lo, s3, v12
	v_or_b32_e32 v35, v3, v2
	v_or_b32_e32 v5, v13, v5
	;; [unrolled: 1-line block ×3, first 2 shown]
	v_cndmask_b32_e64 v25, 0, 1, vcc_lo
	s_delay_alu instid0(VALU_DEP_3) | instskip(NEXT) | instid1(VALU_DEP_3)
	v_dual_lshlrev_b32 v5, 16, v5 :: v_dual_bitop2_b32 v31, v6, v7 bitop3:0x54
	v_and_b32_e32 v8, 0xffff, v8
	s_delay_alu instid0(VALU_DEP_1)
	v_or_b32_e32 v27, v8, v5
	s_cbranch_execz .LBB1721_11
	s_branch .LBB1721_38
.LBB1721_10:
                                        ; implicit-def: $vgpr25
                                        ; implicit-def: $vgpr27
                                        ; implicit-def: $vgpr31
                                        ; implicit-def: $vgpr35
.LBB1721_11:
	v_dual_mov_b32 v3, 0 :: v_dual_mov_b32 v2, 0
	s_mov_b32 s0, exec_lo
	v_cmpx_gt_u32_e64 s22, v23
	s_cbranch_execz .LBB1721_13
; %bb.12:
	v_dual_add_nc_u32 v2, s5, v54 :: v_dual_add_nc_u32 v5, s7, v54
	s_delay_alu instid0(VALU_DEP_1) | instskip(NEXT) | instid1(VALU_DEP_2)
	v_mul_lo_u32 v2, v2, s4
	v_mul_lo_u32 v5, v5, s6
	s_delay_alu instid0(VALU_DEP_1) | instskip(NEXT) | instid1(VALU_DEP_1)
	v_sub_nc_u32_e32 v2, v2, v5
	v_cmp_lt_u32_e32 vcc_lo, s3, v2
	v_cndmask_b32_e64 v2, 0, 1, vcc_lo
.LBB1721_13:
	s_or_b32 exec_lo, exec_lo, s0
	v_add_nc_u32_e32 v5, 1, v23
	s_mov_b32 s0, exec_lo
	s_delay_alu instid0(VALU_DEP_1)
	v_cmpx_gt_u32_e64 s22, v5
	s_cbranch_execz .LBB1721_15
; %bb.14:
	v_dual_add_nc_u32 v3, s5, v55 :: v_dual_add_nc_u32 v5, s7, v55
	s_delay_alu instid0(VALU_DEP_1) | instskip(NEXT) | instid1(VALU_DEP_2)
	v_mul_lo_u32 v3, v3, s4
	v_mul_lo_u32 v5, v5, s6
	s_delay_alu instid0(VALU_DEP_1) | instskip(NEXT) | instid1(VALU_DEP_1)
	v_sub_nc_u32_e32 v3, v3, v5
	v_cmp_lt_u32_e32 vcc_lo, s3, v3
	v_cndmask_b32_e64 v3, 0, 1, vcc_lo
.LBB1721_15:
	s_or_b32 exec_lo, exec_lo, s0
	v_dual_mov_b32 v6, 0 :: v_dual_add_nc_u32 v5, 2, v23
	s_delay_alu instid0(VALU_DEP_1)
	v_cmp_gt_u32_e32 vcc_lo, s22, v5
	v_mov_b32_e32 v5, 0
	s_and_saveexec_b32 s0, vcc_lo
	s_cbranch_execz .LBB1721_17
; %bb.16:
	v_dual_add_nc_u32 v5, s5, v52 :: v_dual_add_nc_u32 v7, s7, v52
	s_delay_alu instid0(VALU_DEP_1) | instskip(NEXT) | instid1(VALU_DEP_2)
	v_mul_lo_u32 v5, v5, s4
	v_mul_lo_u32 v7, v7, s6
	s_delay_alu instid0(VALU_DEP_1) | instskip(NEXT) | instid1(VALU_DEP_1)
	v_sub_nc_u32_e32 v5, v5, v7
	v_cmp_lt_u32_e32 vcc_lo, s3, v5
	v_cndmask_b32_e64 v5, 0, 1, vcc_lo
.LBB1721_17:
	s_or_b32 exec_lo, exec_lo, s0
	v_add_nc_u32_e32 v7, 3, v23
	s_mov_b32 s0, exec_lo
	s_delay_alu instid0(VALU_DEP_1)
	v_cmpx_gt_u32_e64 s22, v7
	s_cbranch_execz .LBB1721_19
; %bb.18:
	v_dual_add_nc_u32 v6, s5, v53 :: v_dual_add_nc_u32 v7, s7, v53
	s_delay_alu instid0(VALU_DEP_1) | instskip(NEXT) | instid1(VALU_DEP_2)
	v_mul_lo_u32 v6, v6, s4
	v_mul_lo_u32 v7, v7, s6
	s_delay_alu instid0(VALU_DEP_1) | instskip(NEXT) | instid1(VALU_DEP_1)
	v_sub_nc_u32_e32 v6, v6, v7
	v_cmp_lt_u32_e32 vcc_lo, s3, v6
	v_cndmask_b32_e64 v6, 0, 1, vcc_lo
.LBB1721_19:
	s_or_b32 exec_lo, exec_lo, s0
	v_dual_mov_b32 v8, 0 :: v_dual_add_nc_u32 v7, 4, v23
	s_delay_alu instid0(VALU_DEP_1)
	v_cmp_gt_u32_e32 vcc_lo, s22, v7
	v_mov_b32_e32 v7, 0
	s_and_saveexec_b32 s0, vcc_lo
	;; [unrolled: 33-line block ×5, first 2 shown]
	s_cbranch_execz .LBB1721_33
; %bb.32:
	v_dual_add_nc_u32 v13, s5, v44 :: v_dual_add_nc_u32 v15, s7, v44
	s_delay_alu instid0(VALU_DEP_1) | instskip(NEXT) | instid1(VALU_DEP_2)
	v_mul_lo_u32 v13, v13, s4
	v_mul_lo_u32 v15, v15, s6
	s_delay_alu instid0(VALU_DEP_1) | instskip(NEXT) | instid1(VALU_DEP_1)
	v_sub_nc_u32_e32 v13, v13, v15
	v_cmp_lt_u32_e32 vcc_lo, s3, v13
	v_cndmask_b32_e64 v13, 0, 1, vcc_lo
.LBB1721_33:
	s_or_b32 exec_lo, exec_lo, s0
	v_add_nc_u32_e32 v15, 11, v23
	s_mov_b32 s0, exec_lo
	s_delay_alu instid0(VALU_DEP_1)
	v_cmpx_gt_u32_e64 s22, v15
	s_cbranch_execz .LBB1721_35
; %bb.34:
	v_dual_add_nc_u32 v14, s5, v45 :: v_dual_add_nc_u32 v15, s7, v45
	s_delay_alu instid0(VALU_DEP_1) | instskip(NEXT) | instid1(VALU_DEP_2)
	v_mul_lo_u32 v14, v14, s4
	v_mul_lo_u32 v15, v15, s6
	s_delay_alu instid0(VALU_DEP_1) | instskip(NEXT) | instid1(VALU_DEP_1)
	v_sub_nc_u32_e32 v14, v14, v15
	v_cmp_lt_u32_e32 vcc_lo, s3, v14
	v_cndmask_b32_e64 v14, 0, 1, vcc_lo
.LBB1721_35:
	s_or_b32 exec_lo, exec_lo, s0
	v_dual_add_nc_u32 v15, 12, v23 :: v_dual_mov_b32 v25, 0
	s_mov_b32 s0, exec_lo
	s_delay_alu instid0(VALU_DEP_1)
	v_cmpx_gt_u32_e64 s22, v15
	s_cbranch_execz .LBB1721_37
; %bb.36:
	v_dual_add_nc_u32 v15, s7, v1 :: v_dual_add_nc_u32 v16, s5, v1
	s_delay_alu instid0(VALU_DEP_1) | instskip(NEXT) | instid1(VALU_DEP_2)
	v_mul_lo_u32 v15, v15, s6
	v_mul_lo_u32 v16, v16, s4
	s_delay_alu instid0(VALU_DEP_1) | instskip(NEXT) | instid1(VALU_DEP_1)
	v_sub_nc_u32_e32 v15, v16, v15
	v_cmp_lt_u32_e32 vcc_lo, s3, v15
	v_cndmask_b32_e64 v25, 0, 1, vcc_lo
.LBB1721_37:
	s_or_b32 exec_lo, exec_lo, s0
	v_lshlrev_b16 v6, 8, v6
	v_lshlrev_b16 v8, 8, v8
	;; [unrolled: 1-line block ×5, first 2 shown]
	v_or_b32_e32 v5, v5, v6
	v_or_b32_e32 v6, v7, v8
	;; [unrolled: 1-line block ×3, first 2 shown]
	s_delay_alu instid0(VALU_DEP_1) | instskip(NEXT) | instid1(VALU_DEP_4)
	v_dual_lshlrev_b32 v7, 16, v7 :: v_dual_bitop2_b32 v8, v11, v12 bitop3:0x54
	v_dual_lshlrev_b32 v5, 16, v5 :: v_dual_bitop2_b32 v2, v2, v3 bitop3:0x54
	v_lshlrev_b16 v3, 8, v14
	s_delay_alu instid0(VALU_DEP_3) | instskip(NEXT) | instid1(VALU_DEP_3)
	v_and_b32_e32 v8, 0xffff, v8
	v_and_b32_e32 v2, 0xffff, v2
	s_delay_alu instid0(VALU_DEP_3) | instskip(NEXT) | instid1(VALU_DEP_1)
	v_or_b32_e32 v3, v13, v3
	v_dual_lshlrev_b32 v3, 16, v3 :: v_dual_bitop2_b32 v35, v2, v5 bitop3:0x54
	v_and_b32_e32 v6, 0xffff, v6
	s_delay_alu instid0(VALU_DEP_2) | instskip(NEXT) | instid1(VALU_DEP_2)
	v_or_b32_e32 v27, v8, v3
	v_or_b32_e32 v31, v6, v7
.LBB1721_38:
	s_delay_alu instid0(VALU_DEP_4) | instskip(SKIP_2) | instid1(VALU_DEP_4)
	v_bfe_u32 v39, v35, 16, 8
	v_bfe_u32 v41, v35, 8, 8
	v_and_b32_e32 v57, 0xff, v35
	v_and_b32_e32 v58, 0xff, v31
	v_mbcnt_lo_u32_b32 v64, -1, 0
	v_lshrrev_b32_e32 v37, 24, v35
	v_bfe_u32 v59, v31, 16, 8
	v_add3_u32 v2, v41, v57, v39
	v_bfe_u32 v60, v31, 8, 8
	v_dual_lshrrev_b32 v33, 24, v31 :: v_dual_bitop2_b32 v5, 15, v64 bitop3:0x40
	v_lshrrev_b32_e32 v65, 5, v0
	s_delay_alu instid0(VALU_DEP_4)
	v_add3_u32 v2, v2, v37, v58
	v_and_b32_e32 v61, 0xff, v27
	v_bfe_u32 v62, v27, 16, 8
	v_bfe_u32 v63, v27, 8, 8
	v_dual_lshrrev_b32 v29, 24, v27 :: v_dual_bitop2_b32 v6, 31, v0 bitop3:0x54
	v_add3_u32 v2, v2, v60, v59
	v_and_b32_e32 v3, 0xff, v25
	v_and_b32_e32 v7, 16, v64
	v_cmp_ne_u32_e32 vcc_lo, 0, v4
	v_cmp_eq_u32_e64 s6, 0, v5
	v_add3_u32 v2, v2, v33, v61
	v_cmp_lt_u32_e64 s5, 1, v5
	v_cmp_lt_u32_e64 s4, 3, v5
	;; [unrolled: 1-line block ×3, first 2 shown]
	v_cmp_eq_u32_e64 s1, 0, v7
	v_add3_u32 v2, v2, v63, v62
	v_cmp_eq_u32_e64 s0, v0, v6
	s_mov_b32 s7, -1
	v_add3_u32 v66, v2, v29, v3
	s_cbranch_vccz .LBB1721_60
; %bb.39:
	s_delay_alu instid0(VALU_DEP_1) | instskip(NEXT) | instid1(VALU_DEP_1)
	v_mov_b32_dpp v2, v66 row_shr:1 row_mask:0xf bank_mask:0xf
	v_cndmask_b32_e64 v2, v2, 0, s6
	s_delay_alu instid0(VALU_DEP_1) | instskip(NEXT) | instid1(VALU_DEP_1)
	v_add_nc_u32_e32 v2, v2, v66
	v_mov_b32_dpp v3, v2 row_shr:2 row_mask:0xf bank_mask:0xf
	s_delay_alu instid0(VALU_DEP_1) | instskip(NEXT) | instid1(VALU_DEP_1)
	v_cndmask_b32_e64 v3, 0, v3, s5
	v_add_nc_u32_e32 v2, v2, v3
	s_delay_alu instid0(VALU_DEP_1) | instskip(NEXT) | instid1(VALU_DEP_1)
	v_mov_b32_dpp v3, v2 row_shr:4 row_mask:0xf bank_mask:0xf
	v_cndmask_b32_e64 v3, 0, v3, s4
	s_delay_alu instid0(VALU_DEP_1) | instskip(NEXT) | instid1(VALU_DEP_1)
	v_add_nc_u32_e32 v2, v2, v3
	v_mov_b32_dpp v3, v2 row_shr:8 row_mask:0xf bank_mask:0xf
	s_delay_alu instid0(VALU_DEP_1) | instskip(NEXT) | instid1(VALU_DEP_1)
	v_cndmask_b32_e64 v3, 0, v3, s3
	v_add_nc_u32_e32 v2, v2, v3
	ds_swizzle_b32 v3, v2 offset:swizzle(BROADCAST,32,15)
	s_wait_dscnt 0x0
	v_cndmask_b32_e64 v3, v3, 0, s1
	s_delay_alu instid0(VALU_DEP_1)
	v_add_nc_u32_e32 v2, v2, v3
	s_and_saveexec_b32 s7, s0
; %bb.40:
	v_lshlrev_b32_e32 v3, 2, v65
	ds_store_b32 v3, v2
; %bb.41:
	s_or_b32 exec_lo, exec_lo, s7
	s_delay_alu instid0(SALU_CYCLE_1)
	s_mov_b32 s7, exec_lo
	s_wait_dscnt 0x0
	s_barrier_signal -1
	s_barrier_wait -1
	v_cmpx_gt_u32_e32 8, v0
	s_cbranch_execz .LBB1721_43
; %bb.42:
	ds_load_b32 v3, v19
	s_wait_dscnt 0x0
	v_mov_b32_dpp v6, v3 row_shr:1 row_mask:0xf bank_mask:0xf
	v_and_b32_e32 v5, 7, v64
	s_delay_alu instid0(VALU_DEP_1) | instskip(NEXT) | instid1(VALU_DEP_3)
	v_cmp_ne_u32_e32 vcc_lo, 0, v5
	v_cndmask_b32_e32 v6, 0, v6, vcc_lo
	v_cmp_lt_u32_e32 vcc_lo, 1, v5
	s_delay_alu instid0(VALU_DEP_2) | instskip(NEXT) | instid1(VALU_DEP_1)
	v_add_nc_u32_e32 v3, v6, v3
	v_mov_b32_dpp v6, v3 row_shr:2 row_mask:0xf bank_mask:0xf
	s_delay_alu instid0(VALU_DEP_1) | instskip(SKIP_1) | instid1(VALU_DEP_2)
	v_cndmask_b32_e32 v6, 0, v6, vcc_lo
	v_cmp_lt_u32_e32 vcc_lo, 3, v5
	v_add_nc_u32_e32 v3, v3, v6
	s_delay_alu instid0(VALU_DEP_1) | instskip(NEXT) | instid1(VALU_DEP_1)
	v_mov_b32_dpp v6, v3 row_shr:4 row_mask:0xf bank_mask:0xf
	v_cndmask_b32_e32 v5, 0, v6, vcc_lo
	s_delay_alu instid0(VALU_DEP_1)
	v_add_nc_u32_e32 v3, v3, v5
	ds_store_b32 v19, v3
.LBB1721_43:
	s_or_b32 exec_lo, exec_lo, s7
	s_delay_alu instid0(SALU_CYCLE_1)
	s_mov_b32 s8, exec_lo
	v_cmp_gt_u32_e32 vcc_lo, 32, v0
	s_wait_dscnt 0x0
	s_barrier_signal -1
	s_barrier_wait -1
                                        ; implicit-def: $vgpr10
	v_cmpx_lt_u32_e32 31, v0
	s_cbranch_execz .LBB1721_45
; %bb.44:
	v_lshl_add_u32 v3, v65, 2, -4
	ds_load_b32 v10, v3
	s_wait_dscnt 0x0
	v_add_nc_u32_e32 v2, v10, v2
.LBB1721_45:
	s_or_b32 exec_lo, exec_lo, s8
	v_sub_co_u32 v3, s7, v64, 1
	s_delay_alu instid0(VALU_DEP_1) | instskip(NEXT) | instid1(VALU_DEP_1)
	v_cmp_gt_i32_e64 s8, 0, v3
	v_cndmask_b32_e64 v3, v3, v64, s8
	s_delay_alu instid0(VALU_DEP_1)
	v_lshlrev_b32_e32 v3, 2, v3
	ds_bpermute_b32 v11, v3, v2
	s_and_saveexec_b32 s8, vcc_lo
	s_cbranch_execz .LBB1721_65
; %bb.46:
	v_dual_mov_b32 v9, 0 :: v_dual_add_nc_u32 v12, 32, v4
	ds_load_b32 v2, v9 offset:28
	s_and_saveexec_b32 s15, s7
	s_cbranch_execz .LBB1721_48
; %bb.47:
	v_mov_b32_e32 v3, 1
	s_wait_dscnt 0x0
	global_store_b64 v12, v[2:3], s[20:21] scale_offset scope:SCOPE_DEV
.LBB1721_48:
	s_wait_xcnt 0x0
	s_or_b32 exec_lo, exec_lo, s15
	v_xad_u32 v4, v64, -1, v4
	s_mov_b32 s23, 0
	s_mov_b32 s15, exec_lo
	s_delay_alu instid0(VALU_DEP_1) | instskip(SKIP_4) | instid1(VALU_DEP_1)
	v_add_nc_u32_e32 v8, 32, v4
	global_load_b64 v[6:7], v8, s[20:21] scale_offset scope:SCOPE_DEV
	s_wait_loadcnt 0x0
	v_and_b32_e32 v3, 0xff, v7
	s_wait_xcnt 0x0
	v_cmpx_eq_u16_e32 0, v3
	s_cbranch_execz .LBB1721_52
; %bb.49:
	v_lshl_add_u64 v[8:9], v[8:9], 3, s[20:21]
.LBB1721_50:                            ; =>This Inner Loop Header: Depth=1
	global_load_b64 v[6:7], v[8:9], off scope:SCOPE_DEV
	s_wait_loadcnt 0x0
	v_and_b32_e32 v3, 0xff, v7
	s_delay_alu instid0(VALU_DEP_1)
	v_cmp_ne_u16_e32 vcc_lo, 0, v3
	s_or_b32 s23, vcc_lo, s23
	s_wait_xcnt 0x0
	s_and_not1_b32 exec_lo, exec_lo, s23
	s_cbranch_execnz .LBB1721_50
; %bb.51:
	s_or_b32 exec_lo, exec_lo, s23
.LBB1721_52:
	s_delay_alu instid0(SALU_CYCLE_1)
	s_or_b32 exec_lo, exec_lo, s15
	v_cmp_ne_u32_e32 vcc_lo, 31, v64
	v_lshlrev_b32_e64 v14, v64, -1
	v_lshl_or_b32 v69, v64, 2, 64
	v_dual_add_nc_u32 v16, 2, v64 :: v_dual_add_nc_u32 v56, 4, v64
	v_add_co_ci_u32_e64 v3, null, 0, v64, vcc_lo
	v_dual_add_nc_u32 v68, 8, v64 :: v_dual_add_nc_u32 v70, 16, v64
	s_delay_alu instid0(VALU_DEP_2)
	v_lshlrev_b32_e32 v13, 2, v3
	v_and_b32_e32 v3, 0xff, v7
	ds_bpermute_b32 v5, v13, v6
	v_cmp_eq_u16_e32 vcc_lo, 2, v3
	v_and_or_b32 v3, vcc_lo, v14, 0x80000000
	v_cmp_gt_u32_e32 vcc_lo, 30, v64
	s_delay_alu instid0(VALU_DEP_2) | instskip(SKIP_1) | instid1(VALU_DEP_2)
	v_ctz_i32_b32_e32 v3, v3
	v_cndmask_b32_e64 v8, 0, 2, vcc_lo
	v_cmp_lt_u32_e32 vcc_lo, v64, v3
	s_delay_alu instid0(VALU_DEP_2) | instskip(SKIP_3) | instid1(VALU_DEP_2)
	v_add_lshl_u32 v15, v8, v64, 2
	s_wait_dscnt 0x0
	v_cndmask_b32_e32 v5, 0, v5, vcc_lo
	v_cmp_gt_u32_e32 vcc_lo, 28, v64
	v_add_nc_u32_e32 v5, v5, v6
	v_cndmask_b32_e64 v8, 0, 4, vcc_lo
	v_cmp_le_u32_e32 vcc_lo, v16, v3
	ds_bpermute_b32 v6, v15, v5
	v_add_lshl_u32 v17, v8, v64, 2
	s_wait_dscnt 0x0
	v_cndmask_b32_e32 v6, 0, v6, vcc_lo
	v_cmp_gt_u32_e32 vcc_lo, 24, v64
	v_cndmask_b32_e64 v8, 0, 8, vcc_lo
	v_cmp_le_u32_e32 vcc_lo, v56, v3
	s_delay_alu instid0(VALU_DEP_4) | instskip(NEXT) | instid1(VALU_DEP_3)
	v_add_nc_u32_e32 v5, v5, v6
	v_add_lshl_u32 v67, v8, v64, 2
	ds_bpermute_b32 v6, v17, v5
	s_wait_dscnt 0x0
	v_cndmask_b32_e32 v6, 0, v6, vcc_lo
	v_cmp_le_u32_e32 vcc_lo, v68, v3
	s_delay_alu instid0(VALU_DEP_2) | instskip(SKIP_4) | instid1(VALU_DEP_2)
	v_add_nc_u32_e32 v5, v5, v6
	ds_bpermute_b32 v6, v67, v5
	s_wait_dscnt 0x0
	v_cndmask_b32_e32 v6, 0, v6, vcc_lo
	v_cmp_le_u32_e32 vcc_lo, v70, v3
	v_add_nc_u32_e32 v5, v5, v6
	ds_bpermute_b32 v6, v69, v5
	s_wait_dscnt 0x0
	v_cndmask_b32_e32 v3, 0, v6, vcc_lo
	s_delay_alu instid0(VALU_DEP_1)
	v_dual_mov_b32 v5, 0 :: v_dual_add_nc_u32 v6, v5, v3
	s_branch .LBB1721_56
.LBB1721_53:                            ;   in Loop: Header=BB1721_56 Depth=1
	s_or_b32 exec_lo, exec_lo, s23
.LBB1721_54:                            ;   in Loop: Header=BB1721_56 Depth=1
	s_delay_alu instid0(SALU_CYCLE_1)
	s_or_b32 exec_lo, exec_lo, s15
	v_and_b32_e32 v8, 0xff, v7
	ds_bpermute_b32 v9, v13, v6
	v_subrev_nc_u32_e32 v4, 32, v4
	s_mov_b32 s15, 0
	v_cmp_eq_u16_e32 vcc_lo, 2, v8
	v_and_or_b32 v8, vcc_lo, v14, 0x80000000
	s_delay_alu instid0(VALU_DEP_1) | instskip(NEXT) | instid1(VALU_DEP_1)
	v_ctz_i32_b32_e32 v8, v8
	v_cmp_lt_u32_e32 vcc_lo, v64, v8
	s_wait_dscnt 0x0
	v_cndmask_b32_e32 v9, 0, v9, vcc_lo
	v_cmp_le_u32_e32 vcc_lo, v16, v8
	s_delay_alu instid0(VALU_DEP_2) | instskip(SKIP_4) | instid1(VALU_DEP_2)
	v_add_nc_u32_e32 v6, v9, v6
	ds_bpermute_b32 v9, v15, v6
	s_wait_dscnt 0x0
	v_cndmask_b32_e32 v9, 0, v9, vcc_lo
	v_cmp_le_u32_e32 vcc_lo, v56, v8
	v_add_nc_u32_e32 v6, v6, v9
	ds_bpermute_b32 v9, v17, v6
	s_wait_dscnt 0x0
	v_cndmask_b32_e32 v9, 0, v9, vcc_lo
	v_cmp_le_u32_e32 vcc_lo, v68, v8
	s_delay_alu instid0(VALU_DEP_2) | instskip(SKIP_4) | instid1(VALU_DEP_2)
	v_add_nc_u32_e32 v6, v6, v9
	ds_bpermute_b32 v9, v67, v6
	s_wait_dscnt 0x0
	v_cndmask_b32_e32 v9, 0, v9, vcc_lo
	v_cmp_le_u32_e32 vcc_lo, v70, v8
	v_add_nc_u32_e32 v6, v6, v9
	ds_bpermute_b32 v9, v69, v6
	s_wait_dscnt 0x0
	v_cndmask_b32_e32 v8, 0, v9, vcc_lo
	s_delay_alu instid0(VALU_DEP_1)
	v_add3_u32 v6, v8, v3, v6
.LBB1721_55:                            ;   in Loop: Header=BB1721_56 Depth=1
	s_and_b32 vcc_lo, exec_lo, s15
	s_cbranch_vccnz .LBB1721_61
.LBB1721_56:                            ; =>This Loop Header: Depth=1
                                        ;     Child Loop BB1721_59 Depth 2
	v_and_b32_e32 v3, 0xff, v7
	s_mov_b32 s15, -1
                                        ; implicit-def: $vgpr7
	s_delay_alu instid0(VALU_DEP_1)
	v_cmp_ne_u16_e32 vcc_lo, 2, v3
	v_mov_b32_e32 v3, v6
                                        ; implicit-def: $vgpr6
	s_cmp_lg_u32 vcc_lo, exec_lo
	s_cbranch_scc1 .LBB1721_55
; %bb.57:                               ;   in Loop: Header=BB1721_56 Depth=1
	global_load_b64 v[6:7], v4, s[20:21] scale_offset scope:SCOPE_DEV
	s_mov_b32 s15, exec_lo
	s_wait_loadcnt 0x0
	v_and_b32_e32 v8, 0xff, v7
	s_wait_xcnt 0x0
	s_delay_alu instid0(VALU_DEP_1)
	v_cmpx_eq_u16_e32 0, v8
	s_cbranch_execz .LBB1721_54
; %bb.58:                               ;   in Loop: Header=BB1721_56 Depth=1
	v_lshl_add_u64 v[8:9], v[4:5], 3, s[20:21]
	s_mov_b32 s23, 0
.LBB1721_59:                            ;   Parent Loop BB1721_56 Depth=1
                                        ; =>  This Inner Loop Header: Depth=2
	global_load_b64 v[6:7], v[8:9], off scope:SCOPE_DEV
	s_wait_loadcnt 0x0
	v_and_b32_e32 v71, 0xff, v7
	s_delay_alu instid0(VALU_DEP_1)
	v_cmp_ne_u16_e32 vcc_lo, 0, v71
	s_or_b32 s23, vcc_lo, s23
	s_wait_xcnt 0x0
	s_and_not1_b32 exec_lo, exec_lo, s23
	s_cbranch_execnz .LBB1721_59
	s_branch .LBB1721_53
.LBB1721_60:
                                        ; implicit-def: $vgpr2_vgpr3_vgpr4_vgpr5_vgpr6_vgpr7_vgpr8_vgpr9_vgpr10_vgpr11_vgpr12_vgpr13_vgpr14_vgpr15_vgpr16_vgpr17
                                        ; implicit-def: $vgpr56
                                        ; implicit-def: $vgpr16
	s_and_b32 vcc_lo, exec_lo, s7
	s_cbranch_vccnz .LBB1721_66
	s_branch .LBB1721_75
.LBB1721_61:
	s_and_saveexec_b32 s15, s7
	s_cbranch_execz .LBB1721_63
; %bb.62:
	v_dual_mov_b32 v5, 2 :: v_dual_add_nc_u32 v4, v3, v2
	v_mov_b32_e32 v6, 0
	global_store_b64 v12, v[4:5], s[20:21] scale_offset scope:SCOPE_DEV
	ds_store_b64 v6, v[2:3] offset:13312
.LBB1721_63:
	s_wait_xcnt 0x0
	s_or_b32 exec_lo, exec_lo, s15
	s_delay_alu instid0(SALU_CYCLE_1)
	s_and_b32 exec_lo, exec_lo, s2
; %bb.64:
	v_mov_b32_e32 v2, 0
	ds_store_b32 v2, v3 offset:28
.LBB1721_65:
	s_or_b32 exec_lo, exec_lo, s8
	s_wait_dscnt 0x0
	v_dual_mov_b32 v12, 0 :: v_dual_cndmask_b32 v3, v11, v10, s7
	s_wait_storecnt 0x0
	s_barrier_signal -1
	s_barrier_wait -1
	ds_load_b32 v2, v12 offset:28
	v_cndmask_b32_e64 v3, v3, 0, s2
	s_wait_dscnt 0x0
	s_barrier_signal -1
	s_barrier_wait -1
	ds_load_b64 v[16:17], v12 offset:13312
	v_add_nc_u32_e32 v2, v2, v3
	s_wait_dscnt 0x0
	s_delay_alu instid0(VALU_DEP_1) | instskip(NEXT) | instid1(VALU_DEP_1)
	v_dual_mov_b32 v56, v17 :: v_dual_add_nc_u32 v3, v2, v57
	v_add_nc_u32_e32 v4, v3, v41
	s_delay_alu instid0(VALU_DEP_1) | instskip(NEXT) | instid1(VALU_DEP_1)
	v_add_nc_u32_e32 v5, v4, v39
	v_add_nc_u32_e32 v6, v5, v37
	s_delay_alu instid0(VALU_DEP_1) | instskip(NEXT) | instid1(VALU_DEP_1)
	v_add_nc_u32_e32 v7, v6, v58
	;; [unrolled: 3-line block ×5, first 2 shown]
	v_add_nc_u32_e32 v14, v13, v29
	s_branch .LBB1721_75
.LBB1721_66:
	v_mov_b32_dpp v2, v66 row_shr:1 row_mask:0xf bank_mask:0xf
	s_delay_alu instid0(VALU_DEP_1) | instskip(NEXT) | instid1(VALU_DEP_1)
	v_cndmask_b32_e64 v2, v2, 0, s6
	v_add_nc_u32_e32 v2, v2, v66
	s_delay_alu instid0(VALU_DEP_1) | instskip(NEXT) | instid1(VALU_DEP_1)
	v_mov_b32_dpp v3, v2 row_shr:2 row_mask:0xf bank_mask:0xf
	v_cndmask_b32_e64 v3, 0, v3, s5
	s_delay_alu instid0(VALU_DEP_1) | instskip(NEXT) | instid1(VALU_DEP_1)
	v_add_nc_u32_e32 v2, v2, v3
	v_mov_b32_dpp v3, v2 row_shr:4 row_mask:0xf bank_mask:0xf
	s_delay_alu instid0(VALU_DEP_1) | instskip(NEXT) | instid1(VALU_DEP_1)
	v_cndmask_b32_e64 v3, 0, v3, s4
	v_add_nc_u32_e32 v2, v2, v3
	s_delay_alu instid0(VALU_DEP_1) | instskip(NEXT) | instid1(VALU_DEP_1)
	v_mov_b32_dpp v3, v2 row_shr:8 row_mask:0xf bank_mask:0xf
	v_cndmask_b32_e64 v3, 0, v3, s3
	s_delay_alu instid0(VALU_DEP_1) | instskip(SKIP_3) | instid1(VALU_DEP_1)
	v_add_nc_u32_e32 v2, v2, v3
	ds_swizzle_b32 v3, v2 offset:swizzle(BROADCAST,32,15)
	s_wait_dscnt 0x0
	v_cndmask_b32_e64 v3, v3, 0, s1
	v_add_nc_u32_e32 v2, v2, v3
	s_and_saveexec_b32 s1, s0
; %bb.67:
	v_lshlrev_b32_e32 v3, 2, v65
	ds_store_b32 v3, v2
; %bb.68:
	s_or_b32 exec_lo, exec_lo, s1
	s_delay_alu instid0(SALU_CYCLE_1)
	s_mov_b32 s0, exec_lo
	s_wait_dscnt 0x0
	s_barrier_signal -1
	s_barrier_wait -1
	v_cmpx_gt_u32_e32 8, v0
	s_cbranch_execz .LBB1721_70
; %bb.69:
	ds_load_b32 v3, v19
	s_wait_dscnt 0x0
	v_mov_b32_dpp v5, v3 row_shr:1 row_mask:0xf bank_mask:0xf
	v_and_b32_e32 v4, 7, v64
	s_delay_alu instid0(VALU_DEP_1) | instskip(NEXT) | instid1(VALU_DEP_3)
	v_cmp_ne_u32_e32 vcc_lo, 0, v4
	v_cndmask_b32_e32 v5, 0, v5, vcc_lo
	v_cmp_lt_u32_e32 vcc_lo, 1, v4
	s_delay_alu instid0(VALU_DEP_2) | instskip(NEXT) | instid1(VALU_DEP_1)
	v_add_nc_u32_e32 v3, v5, v3
	v_mov_b32_dpp v5, v3 row_shr:2 row_mask:0xf bank_mask:0xf
	s_delay_alu instid0(VALU_DEP_1) | instskip(SKIP_1) | instid1(VALU_DEP_2)
	v_cndmask_b32_e32 v5, 0, v5, vcc_lo
	v_cmp_lt_u32_e32 vcc_lo, 3, v4
	v_add_nc_u32_e32 v3, v3, v5
	s_delay_alu instid0(VALU_DEP_1) | instskip(NEXT) | instid1(VALU_DEP_1)
	v_mov_b32_dpp v5, v3 row_shr:4 row_mask:0xf bank_mask:0xf
	v_cndmask_b32_e32 v4, 0, v5, vcc_lo
	s_delay_alu instid0(VALU_DEP_1)
	v_add_nc_u32_e32 v3, v3, v4
	ds_store_b32 v19, v3
.LBB1721_70:
	s_or_b32 exec_lo, exec_lo, s0
	v_dual_mov_b32 v4, 0 :: v_dual_mov_b32 v3, 0
	s_mov_b32 s0, exec_lo
	s_wait_dscnt 0x0
	s_barrier_signal -1
	s_barrier_wait -1
	v_cmpx_lt_u32_e32 31, v0
; %bb.71:
	v_lshl_add_u32 v3, v65, 2, -4
	ds_load_b32 v3, v3
; %bb.72:
	s_or_b32 exec_lo, exec_lo, s0
	v_sub_co_u32 v5, vcc_lo, v64, 1
	ds_load_b32 v16, v4 offset:28
	s_wait_dscnt 0x1
	v_add_nc_u32_e32 v2, v3, v2
	v_cmp_gt_i32_e64 s0, 0, v5
	s_delay_alu instid0(VALU_DEP_1) | instskip(NEXT) | instid1(VALU_DEP_1)
	v_cndmask_b32_e64 v5, v5, v64, s0
	v_lshlrev_b32_e32 v5, 2, v5
	ds_bpermute_b32 v2, v5, v2
	s_and_saveexec_b32 s0, s2
	s_cbranch_execz .LBB1721_74
; %bb.73:
	v_dual_mov_b32 v4, 0 :: v_dual_mov_b32 v17, 2
	s_wait_dscnt 0x1
	global_store_b64 v4, v[16:17], s[20:21] offset:256 scope:SCOPE_DEV
.LBB1721_74:
	s_wait_xcnt 0x0
	s_or_b32 exec_lo, exec_lo, s0
	s_wait_dscnt 0x0
	v_cndmask_b32_e32 v2, v2, v3, vcc_lo
	s_wait_storecnt 0x0
	s_barrier_signal -1
	s_barrier_wait -1
	s_delay_alu instid0(VALU_DEP_1) | instskip(NEXT) | instid1(VALU_DEP_1)
	v_cndmask_b32_e64 v2, v2, 0, s2
	v_dual_mov_b32 v56, 0 :: v_dual_add_nc_u32 v3, v2, v57
	s_delay_alu instid0(VALU_DEP_1) | instskip(NEXT) | instid1(VALU_DEP_1)
	v_add_nc_u32_e32 v4, v3, v41
	v_add_nc_u32_e32 v5, v4, v39
	s_delay_alu instid0(VALU_DEP_1) | instskip(NEXT) | instid1(VALU_DEP_1)
	v_add_nc_u32_e32 v6, v5, v37
	v_add_nc_u32_e32 v7, v6, v58
	;; [unrolled: 3-line block ×5, first 2 shown]
	s_delay_alu instid0(VALU_DEP_1)
	v_add_nc_u32_e32 v14, v13, v29
.LBB1721_75:
	v_dual_lshrrev_b32 v57, 16, v35 :: v_dual_lshrrev_b32 v58, 8, v35
	v_dual_add_nc_u32 v23, v16, v23 :: v_dual_sub_nc_u32 v3, v3, v56
	v_dual_sub_nc_u32 v2, v2, v56 :: v_dual_bitop2_b32 v35, 1, v35 bitop3:0x40
	s_delay_alu instid0(VALU_DEP_3) | instskip(NEXT) | instid1(VALU_DEP_3)
	v_dual_sub_nc_u32 v4, v4, v56 :: v_dual_bitop2_b32 v58, 1, v58 bitop3:0x40
	v_dual_sub_nc_u32 v59, v23, v3 :: v_dual_bitop2_b32 v57, 1, v57 bitop3:0x40
	s_delay_alu instid0(VALU_DEP_3) | instskip(NEXT) | instid1(VALU_DEP_4)
	v_dual_sub_nc_u32 v60, v23, v2 :: v_dual_sub_nc_u32 v5, v5, v56
	v_cmp_eq_u32_e32 vcc_lo, 1, v35
	s_delay_alu instid0(VALU_DEP_3) | instskip(SKIP_1) | instid1(VALU_DEP_4)
	v_dual_sub_nc_u32 v61, v23, v4 :: v_dual_add_nc_u32 v59, 1, v59
	v_dual_lshrrev_b32 v41, 8, v31 :: v_dual_lshrrev_b32 v39, 16, v31
	v_cndmask_b32_e32 v2, v60, v2, vcc_lo
	v_cmp_eq_u32_e32 vcc_lo, 1, v58
	v_dual_lshrrev_b32 v15, 16, v27 :: v_dual_lshrrev_b32 v17, 8, v27
	v_cndmask_b32_e32 v3, v59, v3, vcc_lo
	s_delay_alu instid0(VALU_DEP_4)
	v_dual_sub_nc_u32 v35, v23, v5 :: v_dual_lshlrev_b32 v2, 2, v2
	v_and_b32_e32 v37, 1, v37
	v_add_nc_u32_e32 v58, 2, v61
	v_cmp_eq_u32_e32 vcc_lo, 1, v57
	v_lshlrev_b32_e32 v3, 2, v3
	v_add_nc_u32_e32 v35, 3, v35
	ds_store_b32 v2, v54
	ds_store_b32 v3, v55
	v_cndmask_b32_e32 v4, v58, v4, vcc_lo
	v_cmp_eq_u32_e32 vcc_lo, 1, v37
	v_dual_cndmask_b32 v5, v35, v5 :: v_dual_sub_nc_u32 v6, v6, v56
	s_delay_alu instid0(VALU_DEP_1) | instskip(NEXT) | instid1(VALU_DEP_2)
	v_dual_lshlrev_b32 v3, 2, v4 :: v_dual_lshlrev_b32 v4, 2, v5
	v_sub_nc_u32_e32 v2, v23, v6
	v_dual_sub_nc_u32 v5, v7, v56 :: v_dual_bitop2_b32 v7, 1, v31 bitop3:0x40
	s_delay_alu instid0(VALU_DEP_2)
	v_add_nc_u32_e32 v2, 4, v2
	ds_store_b32 v3, v52
	ds_store_b32 v4, v53
	v_cmp_eq_u32_e32 vcc_lo, 1, v7
	v_dual_sub_nc_u32 v4, v8, v56 :: v_dual_cndmask_b32 v2, v2, v6, vcc_lo
	v_sub_nc_u32_e32 v3, v23, v5
	v_dual_sub_nc_u32 v7, v9, v56 :: v_dual_bitop2_b32 v6, 1, v41 bitop3:0x40
	s_delay_alu instid0(VALU_DEP_2) | instskip(NEXT) | instid1(VALU_DEP_2)
	v_dual_lshlrev_b32 v2, 2, v2 :: v_dual_add_nc_u32 v3, 5, v3
	v_cmp_eq_u32_e32 vcc_lo, 1, v6
	v_dual_sub_nc_u32 v8, v23, v4 :: v_dual_bitop2_b32 v6, 1, v39 bitop3:0x40
	ds_store_b32 v2, v50
	v_and_b32_e32 v2, 1, v33
	v_cndmask_b32_e32 v3, v3, v5, vcc_lo
	v_dual_sub_nc_u32 v5, v23, v7 :: v_dual_add_nc_u32 v8, 6, v8
	v_cmp_eq_u32_e32 vcc_lo, 1, v6
	s_delay_alu instid0(VALU_DEP_3) | instskip(NEXT) | instid1(VALU_DEP_3)
	v_dual_sub_nc_u32 v6, v11, v56 :: v_dual_lshlrev_b32 v3, 2, v3
	v_dual_cndmask_b32 v4, v8, v4 :: v_dual_add_nc_u32 v5, 7, v5
	v_cmp_eq_u32_e32 vcc_lo, 1, v2
	ds_store_b32 v3, v51
	v_dual_sub_nc_u32 v3, v23, v6 :: v_dual_sub_nc_u32 v8, v14, v56
	v_dual_lshlrev_b32 v4, 2, v4 :: v_dual_cndmask_b32 v2, v5, v7, vcc_lo
	v_dual_sub_nc_u32 v5, v10, v56 :: v_dual_bitop2_b32 v7, 1, v17 bitop3:0x40
	s_delay_alu instid0(VALU_DEP_3)
	v_add_nc_u32_e32 v3, 9, v3
	ds_store_b32 v4, v48
	v_dual_lshlrev_b32 v2, 2, v2 :: v_dual_sub_nc_u32 v4, v23, v5
	v_cmp_eq_u32_e32 vcc_lo, 1, v7
	v_sub_nc_u32_e32 v7, v12, v56
	v_sub_nc_u32_e32 v9, v23, v8
	ds_store_b32 v2, v49
	v_dual_add_nc_u32 v4, 8, v4 :: v_dual_bitop2_b32 v2, 1, v27 bitop3:0x40
	v_dual_cndmask_b32 v3, v3, v6 :: v_dual_sub_nc_u32 v6, v13, v56
	s_delay_alu instid0(VALU_DEP_2) | instskip(NEXT) | instid1(VALU_DEP_2)
	v_cmp_eq_u32_e32 vcc_lo, 1, v2
	v_dual_cndmask_b32 v2, v4, v5, vcc_lo :: v_dual_sub_nc_u32 v4, v23, v6
	v_and_b32_e32 v10, 1, v15
	v_dual_sub_nc_u32 v5, v23, v7 :: v_dual_bitop2_b32 v12, 1, v25 bitop3:0x40
	s_delay_alu instid0(VALU_DEP_3) | instskip(SKIP_1) | instid1(VALU_DEP_1)
	v_dual_lshlrev_b32 v2, 2, v2 :: v_dual_add_nc_u32 v4, 11, v4
	v_and_b32_e32 v11, 1, v29
	v_cmp_eq_u32_e32 vcc_lo, 1, v11
	s_delay_alu instid0(VALU_DEP_3) | instskip(SKIP_3) | instid1(VALU_DEP_1)
	v_cndmask_b32_e32 v4, v4, v6, vcc_lo
	v_cmp_eq_u32_e32 vcc_lo, 1, v10
	v_add_nc_u32_e32 v9, 12, v9
	v_add_nc_u32_e32 v5, 10, v5
	v_cndmask_b32_e32 v5, v5, v7, vcc_lo
	v_cmp_eq_u32_e32 vcc_lo, 1, v12
	s_delay_alu instid0(VALU_DEP_2) | instskip(SKIP_3) | instid1(VALU_DEP_3)
	v_dual_lshlrev_b32 v3, 2, v3 :: v_dual_lshlrev_b32 v5, 2, v5
	v_cndmask_b32_e32 v6, v9, v8, vcc_lo
	v_lshlrev_b32_e32 v4, 2, v4
	v_cmp_ne_u32_e32 vcc_lo, 1, v21
	v_lshlrev_b32_e32 v6, 2, v6
	ds_store_b32 v2, v46
	ds_store_b32 v3, v47
	;; [unrolled: 1-line block ×5, first 2 shown]
	s_wait_dscnt 0x0
	s_barrier_signal -1
	s_barrier_wait -1
	ds_load_2addr_stride64_b32 v[14:15], v19 offset1:4
	ds_load_2addr_stride64_b32 v[12:13], v19 offset0:8 offset1:12
	ds_load_2addr_stride64_b32 v[10:11], v19 offset0:16 offset1:20
	;; [unrolled: 1-line block ×5, first 2 shown]
	ds_load_b32 v46, v19 offset:12288
	v_mov_b32_e32 v1, 0
	s_and_b32 vcc_lo, exec_lo, vcc_lo
	s_delay_alu instid0(VALU_DEP_1) | instskip(SKIP_2) | instid1(VALU_DEP_3)
	v_dual_mov_b32 v29, v1 :: v_dual_mov_b32 v57, v1
	v_dual_mov_b32 v41, v1 :: v_dual_mov_b32 v39, v1
	;; [unrolled: 1-line block ×3, first 2 shown]
	v_add_nc_u64_e32 v[2:3], v[42:43], v[56:57]
	v_dual_mov_b32 v33, v1 :: v_dual_mov_b32 v31, v1
	v_dual_mov_b32 v27, v1 :: v_dual_mov_b32 v25, v1
	;; [unrolled: 1-line block ×3, first 2 shown]
	v_mov_b32_e32 v19, v1
	s_cbranch_vccnz .LBB1721_132
; %bb.76:
	v_mov_b32_e32 v17, v1
	s_mov_b32 s15, 0
	v_sub_nc_u64_e64 v[42:43], v[2:3], s[16:17]
	s_sub_nc_u64 s[0:1], s[18:19], s[14:15]
	s_delay_alu instid0(VALU_DEP_2) | instid1(SALU_CYCLE_1)
	v_add_nc_u64_e32 v[44:45], s[0:1], v[16:17]
	s_mov_b32 s0, exec_lo
	s_delay_alu instid0(VALU_DEP_1)
	v_add_nc_u64_e32 v[42:43], v[44:45], v[42:43]
                                        ; implicit-def: $vgpr44_vgpr45
	v_cmpx_ge_u32_e64 v0, v16
	s_xor_b32 s0, exec_lo, s0
; %bb.77:
	v_not_b32_e32 v44, v0
	s_delay_alu instid0(VALU_DEP_1) | instskip(NEXT) | instid1(VALU_DEP_1)
	v_ashrrev_i32_e32 v45, 31, v44
	v_add_nc_u64_e32 v[44:45], v[42:43], v[44:45]
; %bb.78:
	s_and_not1_saveexec_b32 s0, s0
; %bb.79:
	v_add_nc_u64_e32 v[44:45], v[2:3], v[0:1]
; %bb.80:
	s_or_b32 exec_lo, exec_lo, s0
	s_delay_alu instid0(VALU_DEP_1)
	v_lshl_add_u64 v[44:45], v[44:45], 2, s[10:11]
	s_mov_b32 s0, exec_lo
	s_wait_dscnt 0x6
	global_store_b32 v[44:45], v14, off
                                        ; implicit-def: $vgpr44_vgpr45
	s_wait_xcnt 0x0
	v_cmpx_ge_u32_e64 v40, v16
	s_xor_b32 s0, exec_lo, s0
; %bb.81:
	v_xor_b32_e32 v44, 0xfffffeff, v0
	s_delay_alu instid0(VALU_DEP_1) | instskip(NEXT) | instid1(VALU_DEP_1)
	v_ashrrev_i32_e32 v45, 31, v44
	v_add_nc_u64_e32 v[44:45], v[42:43], v[44:45]
; %bb.82:
	s_and_not1_saveexec_b32 s0, s0
; %bb.83:
	v_add_nc_u64_e32 v[44:45], v[2:3], v[40:41]
; %bb.84:
	s_or_b32 exec_lo, exec_lo, s0
	s_delay_alu instid0(VALU_DEP_1)
	v_lshl_add_u64 v[44:45], v[44:45], 2, s[10:11]
	s_mov_b32 s0, exec_lo
	global_store_b32 v[44:45], v15, off
                                        ; implicit-def: $vgpr44_vgpr45
	s_wait_xcnt 0x0
	v_cmpx_ge_u32_e64 v38, v16
	s_xor_b32 s0, exec_lo, s0
; %bb.85:
	v_xor_b32_e32 v44, 0xfffffdff, v0
	s_delay_alu instid0(VALU_DEP_1) | instskip(NEXT) | instid1(VALU_DEP_1)
	v_ashrrev_i32_e32 v45, 31, v44
	v_add_nc_u64_e32 v[44:45], v[42:43], v[44:45]
; %bb.86:
	s_and_not1_saveexec_b32 s0, s0
; %bb.87:
	v_add_nc_u64_e32 v[44:45], v[2:3], v[38:39]
; %bb.88:
	s_or_b32 exec_lo, exec_lo, s0
	s_delay_alu instid0(VALU_DEP_1)
	v_lshl_add_u64 v[44:45], v[44:45], 2, s[10:11]
	s_mov_b32 s0, exec_lo
	s_wait_dscnt 0x5
	global_store_b32 v[44:45], v12, off
                                        ; implicit-def: $vgpr44_vgpr45
	s_wait_xcnt 0x0
	v_cmpx_ge_u32_e64 v36, v16
	s_xor_b32 s0, exec_lo, s0
; %bb.89:
	v_xor_b32_e32 v44, 0xfffffcff, v0
	s_delay_alu instid0(VALU_DEP_1) | instskip(NEXT) | instid1(VALU_DEP_1)
	v_ashrrev_i32_e32 v45, 31, v44
	v_add_nc_u64_e32 v[44:45], v[42:43], v[44:45]
; %bb.90:
	s_and_not1_saveexec_b32 s0, s0
; %bb.91:
	v_add_nc_u64_e32 v[44:45], v[2:3], v[36:37]
; %bb.92:
	s_or_b32 exec_lo, exec_lo, s0
	s_delay_alu instid0(VALU_DEP_1)
	v_lshl_add_u64 v[44:45], v[44:45], 2, s[10:11]
	s_mov_b32 s0, exec_lo
	global_store_b32 v[44:45], v13, off
                                        ; implicit-def: $vgpr44_vgpr45
	s_wait_xcnt 0x0
	v_cmpx_ge_u32_e64 v34, v16
	s_xor_b32 s0, exec_lo, s0
; %bb.93:
	v_xor_b32_e32 v44, 0xfffffbff, v0
	;; [unrolled: 39-line block ×6, first 2 shown]
	s_delay_alu instid0(VALU_DEP_1) | instskip(NEXT) | instid1(VALU_DEP_1)
	v_ashrrev_i32_e32 v45, 31, v44
	v_add_nc_u64_e32 v[44:45], v[42:43], v[44:45]
; %bb.126:
	s_and_not1_saveexec_b32 s0, s0
; %bb.127:
	v_add_nc_u64_e32 v[44:45], v[2:3], v[18:19]
; %bb.128:
	s_or_b32 exec_lo, exec_lo, s0
	s_mov_b32 s0, -1
.LBB1721_129:
	s_delay_alu instid0(SALU_CYCLE_1)
	s_and_saveexec_b32 s1, s0
	s_cbranch_execz .LBB1721_212
.LBB1721_130:
	s_delay_alu instid0(VALU_DEP_1)
	v_lshl_add_u64 v[0:1], v[44:45], 2, s[10:11]
	s_wait_dscnt 0x0
	global_store_b32 v[0:1], v46, off
	s_wait_xcnt 0x0
	s_or_b32 exec_lo, exec_lo, s1
	s_and_b32 s0, s2, s9
	s_delay_alu instid0(SALU_CYCLE_1)
	s_and_saveexec_b32 s1, s0
	s_cbranch_execnz .LBB1721_213
.LBB1721_131:
	s_sendmsg sendmsg(MSG_DEALLOC_VGPRS)
	s_endpgm
.LBB1721_132:
	s_mov_b32 s0, 0
                                        ; implicit-def: $vgpr44_vgpr45
	s_cbranch_execz .LBB1721_129
; %bb.133:
	s_mov_b32 s15, 0
	v_mov_b32_e32 v17, 0
	s_add_nc_u64 s[4:5], s[16:17], s[14:15]
	s_mov_b32 s1, exec_lo
	s_sub_nc_u64 s[4:5], s[18:19], s[4:5]
	s_delay_alu instid0(VALU_DEP_1) | instid1(SALU_CYCLE_1)
	v_add_nc_u64_e32 v[42:43], s[4:5], v[16:17]
	s_delay_alu instid0(VALU_DEP_1)
	v_add_nc_u64_e32 v[42:43], v[42:43], v[2:3]
	v_cmpx_gt_u32_e64 s22, v0
	s_cbranch_execz .LBB1721_169
; %bb.134:
	s_mov_b32 s3, exec_lo
                                        ; implicit-def: $vgpr44_vgpr45
	v_cmpx_ge_u32_e64 v0, v16
	s_xor_b32 s3, exec_lo, s3
; %bb.135:
	v_not_b32_e32 v44, v0
	s_delay_alu instid0(VALU_DEP_1) | instskip(NEXT) | instid1(VALU_DEP_1)
	v_ashrrev_i32_e32 v45, 31, v44
	v_add_nc_u64_e32 v[44:45], v[42:43], v[44:45]
; %bb.136:
	s_and_not1_saveexec_b32 s3, s3
; %bb.137:
	v_add_nc_u64_e32 v[44:45], v[2:3], v[0:1]
; %bb.138:
	s_or_b32 exec_lo, exec_lo, s3
	s_delay_alu instid0(VALU_DEP_1) | instskip(SKIP_4) | instid1(SALU_CYCLE_1)
	v_lshl_add_u64 v[44:45], v[44:45], 2, s[10:11]
	s_wait_dscnt 0x6
	global_store_b32 v[44:45], v14, off
	s_wait_xcnt 0x0
	s_or_b32 exec_lo, exec_lo, s1
	s_mov_b32 s1, exec_lo
	v_cmpx_gt_u32_e64 s22, v40
	s_cbranch_execnz .LBB1721_170
.LBB1721_139:
	s_or_b32 exec_lo, exec_lo, s1
	s_delay_alu instid0(SALU_CYCLE_1)
	s_mov_b32 s1, exec_lo
	v_cmpx_gt_u32_e64 s22, v38
	s_cbranch_execz .LBB1721_175
.LBB1721_140:
	s_mov_b32 s3, exec_lo
                                        ; implicit-def: $vgpr14_vgpr15
	v_cmpx_ge_u32_e64 v38, v16
	s_xor_b32 s3, exec_lo, s3
	s_cbranch_execz .LBB1721_142
; %bb.141:
	s_wait_dscnt 0x6
	v_xor_b32_e32 v14, 0xfffffdff, v0
                                        ; implicit-def: $vgpr38_vgpr39
	s_delay_alu instid0(VALU_DEP_1) | instskip(NEXT) | instid1(VALU_DEP_1)
	v_ashrrev_i32_e32 v15, 31, v14
	v_add_nc_u64_e32 v[14:15], v[42:43], v[14:15]
.LBB1721_142:
	s_and_not1_saveexec_b32 s3, s3
	s_cbranch_execz .LBB1721_144
; %bb.143:
	s_wait_dscnt 0x6
	v_add_nc_u64_e32 v[14:15], v[2:3], v[38:39]
.LBB1721_144:
	s_or_b32 exec_lo, exec_lo, s3
	s_wait_dscnt 0x6
	s_delay_alu instid0(VALU_DEP_1) | instskip(SKIP_4) | instid1(SALU_CYCLE_1)
	v_lshl_add_u64 v[14:15], v[14:15], 2, s[10:11]
	s_wait_dscnt 0x5
	global_store_b32 v[14:15], v12, off
	s_wait_xcnt 0x0
	s_or_b32 exec_lo, exec_lo, s1
	s_mov_b32 s1, exec_lo
	v_cmpx_gt_u32_e64 s22, v36
	s_cbranch_execnz .LBB1721_176
.LBB1721_145:
	s_or_b32 exec_lo, exec_lo, s1
	s_delay_alu instid0(SALU_CYCLE_1)
	s_mov_b32 s1, exec_lo
	v_cmpx_gt_u32_e64 s22, v34
	s_cbranch_execz .LBB1721_181
.LBB1721_146:
	s_mov_b32 s3, exec_lo
                                        ; implicit-def: $vgpr12_vgpr13
	v_cmpx_ge_u32_e64 v34, v16
	s_xor_b32 s3, exec_lo, s3
	s_cbranch_execz .LBB1721_148
; %bb.147:
	s_wait_dscnt 0x5
	v_xor_b32_e32 v12, 0xfffffbff, v0
                                        ; implicit-def: $vgpr34_vgpr35
	s_delay_alu instid0(VALU_DEP_1) | instskip(NEXT) | instid1(VALU_DEP_1)
	v_ashrrev_i32_e32 v13, 31, v12
	v_add_nc_u64_e32 v[12:13], v[42:43], v[12:13]
.LBB1721_148:
	s_and_not1_saveexec_b32 s3, s3
	s_cbranch_execz .LBB1721_150
; %bb.149:
	s_wait_dscnt 0x5
	v_add_nc_u64_e32 v[12:13], v[2:3], v[34:35]
.LBB1721_150:
	s_or_b32 exec_lo, exec_lo, s3
	s_wait_dscnt 0x5
	s_delay_alu instid0(VALU_DEP_1) | instskip(SKIP_4) | instid1(SALU_CYCLE_1)
	v_lshl_add_u64 v[12:13], v[12:13], 2, s[10:11]
	s_wait_dscnt 0x4
	global_store_b32 v[12:13], v10, off
	s_wait_xcnt 0x0
	s_or_b32 exec_lo, exec_lo, s1
	s_mov_b32 s1, exec_lo
	v_cmpx_gt_u32_e64 s22, v32
	s_cbranch_execnz .LBB1721_182
.LBB1721_151:
	s_or_b32 exec_lo, exec_lo, s1
	s_delay_alu instid0(SALU_CYCLE_1)
	s_mov_b32 s1, exec_lo
	v_cmpx_gt_u32_e64 s22, v30
	s_cbranch_execz .LBB1721_187
.LBB1721_152:
	s_mov_b32 s3, exec_lo
                                        ; implicit-def: $vgpr10_vgpr11
	v_cmpx_ge_u32_e64 v30, v16
	s_xor_b32 s3, exec_lo, s3
	s_cbranch_execz .LBB1721_154
; %bb.153:
	s_wait_dscnt 0x4
	v_xor_b32_e32 v10, 0xfffff9ff, v0
                                        ; implicit-def: $vgpr30_vgpr31
	s_delay_alu instid0(VALU_DEP_1) | instskip(NEXT) | instid1(VALU_DEP_1)
	v_ashrrev_i32_e32 v11, 31, v10
	v_add_nc_u64_e32 v[10:11], v[42:43], v[10:11]
.LBB1721_154:
	s_and_not1_saveexec_b32 s3, s3
	s_cbranch_execz .LBB1721_156
; %bb.155:
	s_wait_dscnt 0x4
	v_add_nc_u64_e32 v[10:11], v[2:3], v[30:31]
.LBB1721_156:
	s_or_b32 exec_lo, exec_lo, s3
	s_wait_dscnt 0x4
	s_delay_alu instid0(VALU_DEP_1) | instskip(SKIP_4) | instid1(SALU_CYCLE_1)
	v_lshl_add_u64 v[10:11], v[10:11], 2, s[10:11]
	s_wait_dscnt 0x3
	global_store_b32 v[10:11], v8, off
	s_wait_xcnt 0x0
	s_or_b32 exec_lo, exec_lo, s1
	s_mov_b32 s1, exec_lo
	v_cmpx_gt_u32_e64 s22, v28
	s_cbranch_execnz .LBB1721_188
.LBB1721_157:
	s_or_b32 exec_lo, exec_lo, s1
	s_delay_alu instid0(SALU_CYCLE_1)
	s_mov_b32 s1, exec_lo
	v_cmpx_gt_u32_e64 s22, v26
	s_cbranch_execz .LBB1721_193
.LBB1721_158:
	s_mov_b32 s3, exec_lo
                                        ; implicit-def: $vgpr8_vgpr9
	v_cmpx_ge_u32_e64 v26, v16
	s_xor_b32 s3, exec_lo, s3
	s_cbranch_execz .LBB1721_160
; %bb.159:
	s_wait_dscnt 0x3
	v_xor_b32_e32 v8, 0xfffff7ff, v0
                                        ; implicit-def: $vgpr26_vgpr27
	s_delay_alu instid0(VALU_DEP_1) | instskip(NEXT) | instid1(VALU_DEP_1)
	v_ashrrev_i32_e32 v9, 31, v8
	v_add_nc_u64_e32 v[8:9], v[42:43], v[8:9]
.LBB1721_160:
	s_and_not1_saveexec_b32 s3, s3
	s_cbranch_execz .LBB1721_162
; %bb.161:
	s_wait_dscnt 0x3
	v_add_nc_u64_e32 v[8:9], v[2:3], v[26:27]
.LBB1721_162:
	s_or_b32 exec_lo, exec_lo, s3
	s_wait_dscnt 0x3
	s_delay_alu instid0(VALU_DEP_1) | instskip(SKIP_4) | instid1(SALU_CYCLE_1)
	v_lshl_add_u64 v[8:9], v[8:9], 2, s[10:11]
	s_wait_dscnt 0x2
	global_store_b32 v[8:9], v6, off
	s_wait_xcnt 0x0
	s_or_b32 exec_lo, exec_lo, s1
	s_mov_b32 s1, exec_lo
	v_cmpx_gt_u32_e64 s22, v24
	s_cbranch_execnz .LBB1721_194
.LBB1721_163:
	s_or_b32 exec_lo, exec_lo, s1
	s_delay_alu instid0(SALU_CYCLE_1)
	s_mov_b32 s1, exec_lo
	v_cmpx_gt_u32_e64 s22, v22
	s_cbranch_execz .LBB1721_199
.LBB1721_164:
	s_mov_b32 s3, exec_lo
                                        ; implicit-def: $vgpr6_vgpr7
	v_cmpx_ge_u32_e64 v22, v16
	s_xor_b32 s3, exec_lo, s3
	s_cbranch_execz .LBB1721_166
; %bb.165:
	s_wait_dscnt 0x2
	v_xor_b32_e32 v6, 0xfffff5ff, v0
                                        ; implicit-def: $vgpr22_vgpr23
	s_delay_alu instid0(VALU_DEP_1) | instskip(NEXT) | instid1(VALU_DEP_1)
	v_ashrrev_i32_e32 v7, 31, v6
	v_add_nc_u64_e32 v[6:7], v[42:43], v[6:7]
.LBB1721_166:
	s_and_not1_saveexec_b32 s3, s3
	s_cbranch_execz .LBB1721_168
; %bb.167:
	s_wait_dscnt 0x2
	v_add_nc_u64_e32 v[6:7], v[2:3], v[22:23]
.LBB1721_168:
	s_or_b32 exec_lo, exec_lo, s3
	s_wait_dscnt 0x2
	s_delay_alu instid0(VALU_DEP_1) | instskip(SKIP_4) | instid1(SALU_CYCLE_1)
	v_lshl_add_u64 v[6:7], v[6:7], 2, s[10:11]
	s_wait_dscnt 0x1
	global_store_b32 v[6:7], v4, off
	s_wait_xcnt 0x0
	s_or_b32 exec_lo, exec_lo, s1
	s_mov_b32 s1, exec_lo
	v_cmpx_gt_u32_e64 s22, v20
	s_cbranch_execz .LBB1721_205
	s_branch .LBB1721_200
.LBB1721_169:
	s_or_b32 exec_lo, exec_lo, s1
	s_delay_alu instid0(SALU_CYCLE_1)
	s_mov_b32 s1, exec_lo
	v_cmpx_gt_u32_e64 s22, v40
	s_cbranch_execz .LBB1721_139
.LBB1721_170:
	s_mov_b32 s3, exec_lo
                                        ; implicit-def: $vgpr44_vgpr45
	v_cmpx_ge_u32_e64 v40, v16
	s_xor_b32 s3, exec_lo, s3
; %bb.171:
	v_xor_b32_e32 v40, 0xfffffeff, v0
	s_delay_alu instid0(VALU_DEP_1) | instskip(NEXT) | instid1(VALU_DEP_1)
	v_ashrrev_i32_e32 v41, 31, v40
	v_add_nc_u64_e32 v[44:45], v[42:43], v[40:41]
                                        ; implicit-def: $vgpr40_vgpr41
; %bb.172:
	s_and_not1_saveexec_b32 s3, s3
; %bb.173:
	v_add_nc_u64_e32 v[44:45], v[2:3], v[40:41]
; %bb.174:
	s_or_b32 exec_lo, exec_lo, s3
	s_delay_alu instid0(VALU_DEP_1) | instskip(SKIP_4) | instid1(SALU_CYCLE_1)
	v_lshl_add_u64 v[40:41], v[44:45], 2, s[10:11]
	s_wait_dscnt 0x6
	global_store_b32 v[40:41], v15, off
	s_wait_xcnt 0x0
	s_or_b32 exec_lo, exec_lo, s1
	s_mov_b32 s1, exec_lo
	v_cmpx_gt_u32_e64 s22, v38
	s_cbranch_execnz .LBB1721_140
.LBB1721_175:
	s_or_b32 exec_lo, exec_lo, s1
	s_delay_alu instid0(SALU_CYCLE_1)
	s_mov_b32 s1, exec_lo
	v_cmpx_gt_u32_e64 s22, v36
	s_cbranch_execz .LBB1721_145
.LBB1721_176:
	s_mov_b32 s3, exec_lo
                                        ; implicit-def: $vgpr14_vgpr15
	v_cmpx_ge_u32_e64 v36, v16
	s_xor_b32 s3, exec_lo, s3
	s_cbranch_execz .LBB1721_178
; %bb.177:
	s_wait_dscnt 0x6
	v_xor_b32_e32 v14, 0xfffffcff, v0
                                        ; implicit-def: $vgpr36_vgpr37
	s_delay_alu instid0(VALU_DEP_1) | instskip(NEXT) | instid1(VALU_DEP_1)
	v_ashrrev_i32_e32 v15, 31, v14
	v_add_nc_u64_e32 v[14:15], v[42:43], v[14:15]
.LBB1721_178:
	s_and_not1_saveexec_b32 s3, s3
	s_cbranch_execz .LBB1721_180
; %bb.179:
	s_wait_dscnt 0x6
	v_add_nc_u64_e32 v[14:15], v[2:3], v[36:37]
.LBB1721_180:
	s_or_b32 exec_lo, exec_lo, s3
	s_wait_dscnt 0x6
	s_delay_alu instid0(VALU_DEP_1) | instskip(SKIP_4) | instid1(SALU_CYCLE_1)
	v_lshl_add_u64 v[14:15], v[14:15], 2, s[10:11]
	s_wait_dscnt 0x5
	global_store_b32 v[14:15], v13, off
	s_wait_xcnt 0x0
	s_or_b32 exec_lo, exec_lo, s1
	s_mov_b32 s1, exec_lo
	v_cmpx_gt_u32_e64 s22, v34
	s_cbranch_execnz .LBB1721_146
.LBB1721_181:
	s_or_b32 exec_lo, exec_lo, s1
	s_delay_alu instid0(SALU_CYCLE_1)
	s_mov_b32 s1, exec_lo
	v_cmpx_gt_u32_e64 s22, v32
	s_cbranch_execz .LBB1721_151
.LBB1721_182:
	s_mov_b32 s3, exec_lo
                                        ; implicit-def: $vgpr12_vgpr13
	v_cmpx_ge_u32_e64 v32, v16
	s_xor_b32 s3, exec_lo, s3
	s_cbranch_execz .LBB1721_184
; %bb.183:
	s_wait_dscnt 0x5
	v_xor_b32_e32 v12, 0xfffffaff, v0
                                        ; implicit-def: $vgpr32_vgpr33
	s_delay_alu instid0(VALU_DEP_1) | instskip(NEXT) | instid1(VALU_DEP_1)
	v_ashrrev_i32_e32 v13, 31, v12
	v_add_nc_u64_e32 v[12:13], v[42:43], v[12:13]
.LBB1721_184:
	s_and_not1_saveexec_b32 s3, s3
	s_cbranch_execz .LBB1721_186
; %bb.185:
	s_wait_dscnt 0x5
	v_add_nc_u64_e32 v[12:13], v[2:3], v[32:33]
.LBB1721_186:
	s_or_b32 exec_lo, exec_lo, s3
	s_wait_dscnt 0x5
	s_delay_alu instid0(VALU_DEP_1) | instskip(SKIP_4) | instid1(SALU_CYCLE_1)
	v_lshl_add_u64 v[12:13], v[12:13], 2, s[10:11]
	s_wait_dscnt 0x4
	global_store_b32 v[12:13], v11, off
	s_wait_xcnt 0x0
	s_or_b32 exec_lo, exec_lo, s1
	s_mov_b32 s1, exec_lo
	v_cmpx_gt_u32_e64 s22, v30
	s_cbranch_execnz .LBB1721_152
.LBB1721_187:
	s_or_b32 exec_lo, exec_lo, s1
	s_delay_alu instid0(SALU_CYCLE_1)
	s_mov_b32 s1, exec_lo
	v_cmpx_gt_u32_e64 s22, v28
	s_cbranch_execz .LBB1721_157
.LBB1721_188:
	s_mov_b32 s3, exec_lo
                                        ; implicit-def: $vgpr10_vgpr11
	v_cmpx_ge_u32_e64 v28, v16
	s_xor_b32 s3, exec_lo, s3
	s_cbranch_execz .LBB1721_190
; %bb.189:
	s_wait_dscnt 0x4
	v_xor_b32_e32 v10, 0xfffff8ff, v0
                                        ; implicit-def: $vgpr28_vgpr29
	s_delay_alu instid0(VALU_DEP_1) | instskip(NEXT) | instid1(VALU_DEP_1)
	v_ashrrev_i32_e32 v11, 31, v10
	v_add_nc_u64_e32 v[10:11], v[42:43], v[10:11]
.LBB1721_190:
	s_and_not1_saveexec_b32 s3, s3
	s_cbranch_execz .LBB1721_192
; %bb.191:
	s_wait_dscnt 0x4
	v_add_nc_u64_e32 v[10:11], v[2:3], v[28:29]
.LBB1721_192:
	s_or_b32 exec_lo, exec_lo, s3
	s_wait_dscnt 0x4
	s_delay_alu instid0(VALU_DEP_1) | instskip(SKIP_4) | instid1(SALU_CYCLE_1)
	v_lshl_add_u64 v[10:11], v[10:11], 2, s[10:11]
	s_wait_dscnt 0x3
	global_store_b32 v[10:11], v9, off
	s_wait_xcnt 0x0
	s_or_b32 exec_lo, exec_lo, s1
	s_mov_b32 s1, exec_lo
	v_cmpx_gt_u32_e64 s22, v26
	s_cbranch_execnz .LBB1721_158
.LBB1721_193:
	s_or_b32 exec_lo, exec_lo, s1
	s_delay_alu instid0(SALU_CYCLE_1)
	s_mov_b32 s1, exec_lo
	v_cmpx_gt_u32_e64 s22, v24
	s_cbranch_execz .LBB1721_163
.LBB1721_194:
	s_mov_b32 s3, exec_lo
                                        ; implicit-def: $vgpr8_vgpr9
	v_cmpx_ge_u32_e64 v24, v16
	s_xor_b32 s3, exec_lo, s3
	s_cbranch_execz .LBB1721_196
; %bb.195:
	s_wait_dscnt 0x3
	v_xor_b32_e32 v8, 0xfffff6ff, v0
                                        ; implicit-def: $vgpr24_vgpr25
	s_delay_alu instid0(VALU_DEP_1) | instskip(NEXT) | instid1(VALU_DEP_1)
	v_ashrrev_i32_e32 v9, 31, v8
	v_add_nc_u64_e32 v[8:9], v[42:43], v[8:9]
.LBB1721_196:
	s_and_not1_saveexec_b32 s3, s3
	s_cbranch_execz .LBB1721_198
; %bb.197:
	s_wait_dscnt 0x3
	v_add_nc_u64_e32 v[8:9], v[2:3], v[24:25]
.LBB1721_198:
	s_or_b32 exec_lo, exec_lo, s3
	s_wait_dscnt 0x3
	s_delay_alu instid0(VALU_DEP_1) | instskip(SKIP_4) | instid1(SALU_CYCLE_1)
	v_lshl_add_u64 v[8:9], v[8:9], 2, s[10:11]
	s_wait_dscnt 0x2
	global_store_b32 v[8:9], v7, off
	s_wait_xcnt 0x0
	s_or_b32 exec_lo, exec_lo, s1
	s_mov_b32 s1, exec_lo
	v_cmpx_gt_u32_e64 s22, v22
	s_cbranch_execnz .LBB1721_164
.LBB1721_199:
	s_or_b32 exec_lo, exec_lo, s1
	s_delay_alu instid0(SALU_CYCLE_1)
	s_mov_b32 s1, exec_lo
	v_cmpx_gt_u32_e64 s22, v20
	s_cbranch_execz .LBB1721_205
.LBB1721_200:
	s_mov_b32 s3, exec_lo
                                        ; implicit-def: $vgpr6_vgpr7
	v_cmpx_ge_u32_e64 v20, v16
	s_xor_b32 s3, exec_lo, s3
	s_cbranch_execz .LBB1721_202
; %bb.201:
	s_wait_dscnt 0x2
	v_xor_b32_e32 v6, 0xfffff4ff, v0
                                        ; implicit-def: $vgpr20_vgpr21
	s_delay_alu instid0(VALU_DEP_1) | instskip(NEXT) | instid1(VALU_DEP_1)
	v_ashrrev_i32_e32 v7, 31, v6
	v_add_nc_u64_e32 v[6:7], v[42:43], v[6:7]
.LBB1721_202:
	s_and_not1_saveexec_b32 s3, s3
	s_cbranch_execz .LBB1721_204
; %bb.203:
	s_wait_dscnt 0x2
	v_add_nc_u64_e32 v[6:7], v[2:3], v[20:21]
.LBB1721_204:
	s_or_b32 exec_lo, exec_lo, s3
	s_wait_dscnt 0x2
	s_delay_alu instid0(VALU_DEP_1)
	v_lshl_add_u64 v[6:7], v[6:7], 2, s[10:11]
	s_wait_dscnt 0x1
	global_store_b32 v[6:7], v5, off
.LBB1721_205:
	s_wait_xcnt 0x0
	s_or_b32 exec_lo, exec_lo, s1
	s_delay_alu instid0(SALU_CYCLE_1)
	s_mov_b32 s1, exec_lo
                                        ; implicit-def: $vgpr44_vgpr45
	v_cmpx_gt_u32_e64 s22, v18
	s_cbranch_execz .LBB1721_211
; %bb.206:
	s_mov_b32 s3, exec_lo
                                        ; implicit-def: $vgpr44_vgpr45
	v_cmpx_ge_u32_e64 v18, v16
	s_xor_b32 s3, exec_lo, s3
; %bb.207:
	v_xor_b32_e32 v0, 0xfffff3ff, v0
                                        ; implicit-def: $vgpr18_vgpr19
	s_delay_alu instid0(VALU_DEP_1) | instskip(NEXT) | instid1(VALU_DEP_1)
	v_ashrrev_i32_e32 v1, 31, v0
	v_add_nc_u64_e32 v[44:45], v[42:43], v[0:1]
; %bb.208:
	s_and_not1_saveexec_b32 s3, s3
; %bb.209:
	v_add_nc_u64_e32 v[44:45], v[2:3], v[18:19]
; %bb.210:
	s_or_b32 exec_lo, exec_lo, s3
	s_delay_alu instid0(SALU_CYCLE_1)
	s_or_b32 s0, s0, exec_lo
.LBB1721_211:
	s_or_b32 exec_lo, exec_lo, s1
	s_and_saveexec_b32 s1, s0
	s_cbranch_execnz .LBB1721_130
.LBB1721_212:
	s_or_b32 exec_lo, exec_lo, s1
	s_and_b32 s0, s2, s9
	s_delay_alu instid0(SALU_CYCLE_1)
	s_and_saveexec_b32 s1, s0
	s_cbranch_execz .LBB1721_131
.LBB1721_213:
	v_mov_b32_e32 v17, 0
	s_delay_alu instid0(VALU_DEP_1)
	v_add_nc_u64_e32 v[0:1], v[2:3], v[16:17]
	global_store_b64 v17, v[0:1], s[12:13]
	s_sendmsg sendmsg(MSG_DEALLOC_VGPRS)
	s_endpgm
	.section	.rodata,"a",@progbits
	.p2align	6, 0x0
	.amdhsa_kernel _ZN7rocprim17ROCPRIM_400000_NS6detail17trampoline_kernelINS0_13select_configILj256ELj13ELNS0_17block_load_methodE3ELS4_3ELS4_3ELNS0_20block_scan_algorithmE0ELj4294967295EEENS1_25partition_config_selectorILNS1_17partition_subalgoE3EjNS0_10empty_typeEbEEZZNS1_14partition_implILS8_3ELb0ES6_jNS0_17counting_iteratorIjlEEPS9_SE_NS0_5tupleIJPjSE_EEENSF_IJSE_SE_EEES9_SG_JZNS1_25segmented_radix_sort_implINS0_14default_configELb1EPK6__halfPSL_PKlPlN2at6native12_GLOBAL__N_18offset_tEEE10hipError_tPvRmT1_PNSt15iterator_traitsISZ_E10value_typeET2_T3_PNS10_IS15_E10value_typeET4_jRbjT5_S1B_jjP12ihipStream_tbEUljE_EEESW_SX_SY_S15_S19_S1B_T6_T7_T9_mT8_S1D_bDpT10_ENKUlT_T0_E_clISt17integral_constantIbLb0EES1P_IbLb1EEEEDaS1L_S1M_EUlS1L_E_NS1_11comp_targetILNS1_3genE0ELNS1_11target_archE4294967295ELNS1_3gpuE0ELNS1_3repE0EEENS1_30default_config_static_selectorELNS0_4arch9wavefront6targetE0EEEvSZ_
		.amdhsa_group_segment_fixed_size 13320
		.amdhsa_private_segment_fixed_size 0
		.amdhsa_kernarg_size 152
		.amdhsa_user_sgpr_count 2
		.amdhsa_user_sgpr_dispatch_ptr 0
		.amdhsa_user_sgpr_queue_ptr 0
		.amdhsa_user_sgpr_kernarg_segment_ptr 1
		.amdhsa_user_sgpr_dispatch_id 0
		.amdhsa_user_sgpr_kernarg_preload_length 0
		.amdhsa_user_sgpr_kernarg_preload_offset 0
		.amdhsa_user_sgpr_private_segment_size 0
		.amdhsa_wavefront_size32 1
		.amdhsa_uses_dynamic_stack 0
		.amdhsa_enable_private_segment 0
		.amdhsa_system_sgpr_workgroup_id_x 1
		.amdhsa_system_sgpr_workgroup_id_y 0
		.amdhsa_system_sgpr_workgroup_id_z 0
		.amdhsa_system_sgpr_workgroup_info 0
		.amdhsa_system_vgpr_workitem_id 0
		.amdhsa_next_free_vgpr 72
		.amdhsa_next_free_sgpr 24
		.amdhsa_named_barrier_count 0
		.amdhsa_reserve_vcc 1
		.amdhsa_float_round_mode_32 0
		.amdhsa_float_round_mode_16_64 0
		.amdhsa_float_denorm_mode_32 3
		.amdhsa_float_denorm_mode_16_64 3
		.amdhsa_fp16_overflow 0
		.amdhsa_memory_ordered 1
		.amdhsa_forward_progress 1
		.amdhsa_inst_pref_size 71
		.amdhsa_round_robin_scheduling 0
		.amdhsa_exception_fp_ieee_invalid_op 0
		.amdhsa_exception_fp_denorm_src 0
		.amdhsa_exception_fp_ieee_div_zero 0
		.amdhsa_exception_fp_ieee_overflow 0
		.amdhsa_exception_fp_ieee_underflow 0
		.amdhsa_exception_fp_ieee_inexact 0
		.amdhsa_exception_int_div_zero 0
	.end_amdhsa_kernel
	.section	.text._ZN7rocprim17ROCPRIM_400000_NS6detail17trampoline_kernelINS0_13select_configILj256ELj13ELNS0_17block_load_methodE3ELS4_3ELS4_3ELNS0_20block_scan_algorithmE0ELj4294967295EEENS1_25partition_config_selectorILNS1_17partition_subalgoE3EjNS0_10empty_typeEbEEZZNS1_14partition_implILS8_3ELb0ES6_jNS0_17counting_iteratorIjlEEPS9_SE_NS0_5tupleIJPjSE_EEENSF_IJSE_SE_EEES9_SG_JZNS1_25segmented_radix_sort_implINS0_14default_configELb1EPK6__halfPSL_PKlPlN2at6native12_GLOBAL__N_18offset_tEEE10hipError_tPvRmT1_PNSt15iterator_traitsISZ_E10value_typeET2_T3_PNS10_IS15_E10value_typeET4_jRbjT5_S1B_jjP12ihipStream_tbEUljE_EEESW_SX_SY_S15_S19_S1B_T6_T7_T9_mT8_S1D_bDpT10_ENKUlT_T0_E_clISt17integral_constantIbLb0EES1P_IbLb1EEEEDaS1L_S1M_EUlS1L_E_NS1_11comp_targetILNS1_3genE0ELNS1_11target_archE4294967295ELNS1_3gpuE0ELNS1_3repE0EEENS1_30default_config_static_selectorELNS0_4arch9wavefront6targetE0EEEvSZ_,"axG",@progbits,_ZN7rocprim17ROCPRIM_400000_NS6detail17trampoline_kernelINS0_13select_configILj256ELj13ELNS0_17block_load_methodE3ELS4_3ELS4_3ELNS0_20block_scan_algorithmE0ELj4294967295EEENS1_25partition_config_selectorILNS1_17partition_subalgoE3EjNS0_10empty_typeEbEEZZNS1_14partition_implILS8_3ELb0ES6_jNS0_17counting_iteratorIjlEEPS9_SE_NS0_5tupleIJPjSE_EEENSF_IJSE_SE_EEES9_SG_JZNS1_25segmented_radix_sort_implINS0_14default_configELb1EPK6__halfPSL_PKlPlN2at6native12_GLOBAL__N_18offset_tEEE10hipError_tPvRmT1_PNSt15iterator_traitsISZ_E10value_typeET2_T3_PNS10_IS15_E10value_typeET4_jRbjT5_S1B_jjP12ihipStream_tbEUljE_EEESW_SX_SY_S15_S19_S1B_T6_T7_T9_mT8_S1D_bDpT10_ENKUlT_T0_E_clISt17integral_constantIbLb0EES1P_IbLb1EEEEDaS1L_S1M_EUlS1L_E_NS1_11comp_targetILNS1_3genE0ELNS1_11target_archE4294967295ELNS1_3gpuE0ELNS1_3repE0EEENS1_30default_config_static_selectorELNS0_4arch9wavefront6targetE0EEEvSZ_,comdat
.Lfunc_end1721:
	.size	_ZN7rocprim17ROCPRIM_400000_NS6detail17trampoline_kernelINS0_13select_configILj256ELj13ELNS0_17block_load_methodE3ELS4_3ELS4_3ELNS0_20block_scan_algorithmE0ELj4294967295EEENS1_25partition_config_selectorILNS1_17partition_subalgoE3EjNS0_10empty_typeEbEEZZNS1_14partition_implILS8_3ELb0ES6_jNS0_17counting_iteratorIjlEEPS9_SE_NS0_5tupleIJPjSE_EEENSF_IJSE_SE_EEES9_SG_JZNS1_25segmented_radix_sort_implINS0_14default_configELb1EPK6__halfPSL_PKlPlN2at6native12_GLOBAL__N_18offset_tEEE10hipError_tPvRmT1_PNSt15iterator_traitsISZ_E10value_typeET2_T3_PNS10_IS15_E10value_typeET4_jRbjT5_S1B_jjP12ihipStream_tbEUljE_EEESW_SX_SY_S15_S19_S1B_T6_T7_T9_mT8_S1D_bDpT10_ENKUlT_T0_E_clISt17integral_constantIbLb0EES1P_IbLb1EEEEDaS1L_S1M_EUlS1L_E_NS1_11comp_targetILNS1_3genE0ELNS1_11target_archE4294967295ELNS1_3gpuE0ELNS1_3repE0EEENS1_30default_config_static_selectorELNS0_4arch9wavefront6targetE0EEEvSZ_, .Lfunc_end1721-_ZN7rocprim17ROCPRIM_400000_NS6detail17trampoline_kernelINS0_13select_configILj256ELj13ELNS0_17block_load_methodE3ELS4_3ELS4_3ELNS0_20block_scan_algorithmE0ELj4294967295EEENS1_25partition_config_selectorILNS1_17partition_subalgoE3EjNS0_10empty_typeEbEEZZNS1_14partition_implILS8_3ELb0ES6_jNS0_17counting_iteratorIjlEEPS9_SE_NS0_5tupleIJPjSE_EEENSF_IJSE_SE_EEES9_SG_JZNS1_25segmented_radix_sort_implINS0_14default_configELb1EPK6__halfPSL_PKlPlN2at6native12_GLOBAL__N_18offset_tEEE10hipError_tPvRmT1_PNSt15iterator_traitsISZ_E10value_typeET2_T3_PNS10_IS15_E10value_typeET4_jRbjT5_S1B_jjP12ihipStream_tbEUljE_EEESW_SX_SY_S15_S19_S1B_T6_T7_T9_mT8_S1D_bDpT10_ENKUlT_T0_E_clISt17integral_constantIbLb0EES1P_IbLb1EEEEDaS1L_S1M_EUlS1L_E_NS1_11comp_targetILNS1_3genE0ELNS1_11target_archE4294967295ELNS1_3gpuE0ELNS1_3repE0EEENS1_30default_config_static_selectorELNS0_4arch9wavefront6targetE0EEEvSZ_
                                        ; -- End function
	.set _ZN7rocprim17ROCPRIM_400000_NS6detail17trampoline_kernelINS0_13select_configILj256ELj13ELNS0_17block_load_methodE3ELS4_3ELS4_3ELNS0_20block_scan_algorithmE0ELj4294967295EEENS1_25partition_config_selectorILNS1_17partition_subalgoE3EjNS0_10empty_typeEbEEZZNS1_14partition_implILS8_3ELb0ES6_jNS0_17counting_iteratorIjlEEPS9_SE_NS0_5tupleIJPjSE_EEENSF_IJSE_SE_EEES9_SG_JZNS1_25segmented_radix_sort_implINS0_14default_configELb1EPK6__halfPSL_PKlPlN2at6native12_GLOBAL__N_18offset_tEEE10hipError_tPvRmT1_PNSt15iterator_traitsISZ_E10value_typeET2_T3_PNS10_IS15_E10value_typeET4_jRbjT5_S1B_jjP12ihipStream_tbEUljE_EEESW_SX_SY_S15_S19_S1B_T6_T7_T9_mT8_S1D_bDpT10_ENKUlT_T0_E_clISt17integral_constantIbLb0EES1P_IbLb1EEEEDaS1L_S1M_EUlS1L_E_NS1_11comp_targetILNS1_3genE0ELNS1_11target_archE4294967295ELNS1_3gpuE0ELNS1_3repE0EEENS1_30default_config_static_selectorELNS0_4arch9wavefront6targetE0EEEvSZ_.num_vgpr, 72
	.set _ZN7rocprim17ROCPRIM_400000_NS6detail17trampoline_kernelINS0_13select_configILj256ELj13ELNS0_17block_load_methodE3ELS4_3ELS4_3ELNS0_20block_scan_algorithmE0ELj4294967295EEENS1_25partition_config_selectorILNS1_17partition_subalgoE3EjNS0_10empty_typeEbEEZZNS1_14partition_implILS8_3ELb0ES6_jNS0_17counting_iteratorIjlEEPS9_SE_NS0_5tupleIJPjSE_EEENSF_IJSE_SE_EEES9_SG_JZNS1_25segmented_radix_sort_implINS0_14default_configELb1EPK6__halfPSL_PKlPlN2at6native12_GLOBAL__N_18offset_tEEE10hipError_tPvRmT1_PNSt15iterator_traitsISZ_E10value_typeET2_T3_PNS10_IS15_E10value_typeET4_jRbjT5_S1B_jjP12ihipStream_tbEUljE_EEESW_SX_SY_S15_S19_S1B_T6_T7_T9_mT8_S1D_bDpT10_ENKUlT_T0_E_clISt17integral_constantIbLb0EES1P_IbLb1EEEEDaS1L_S1M_EUlS1L_E_NS1_11comp_targetILNS1_3genE0ELNS1_11target_archE4294967295ELNS1_3gpuE0ELNS1_3repE0EEENS1_30default_config_static_selectorELNS0_4arch9wavefront6targetE0EEEvSZ_.num_agpr, 0
	.set _ZN7rocprim17ROCPRIM_400000_NS6detail17trampoline_kernelINS0_13select_configILj256ELj13ELNS0_17block_load_methodE3ELS4_3ELS4_3ELNS0_20block_scan_algorithmE0ELj4294967295EEENS1_25partition_config_selectorILNS1_17partition_subalgoE3EjNS0_10empty_typeEbEEZZNS1_14partition_implILS8_3ELb0ES6_jNS0_17counting_iteratorIjlEEPS9_SE_NS0_5tupleIJPjSE_EEENSF_IJSE_SE_EEES9_SG_JZNS1_25segmented_radix_sort_implINS0_14default_configELb1EPK6__halfPSL_PKlPlN2at6native12_GLOBAL__N_18offset_tEEE10hipError_tPvRmT1_PNSt15iterator_traitsISZ_E10value_typeET2_T3_PNS10_IS15_E10value_typeET4_jRbjT5_S1B_jjP12ihipStream_tbEUljE_EEESW_SX_SY_S15_S19_S1B_T6_T7_T9_mT8_S1D_bDpT10_ENKUlT_T0_E_clISt17integral_constantIbLb0EES1P_IbLb1EEEEDaS1L_S1M_EUlS1L_E_NS1_11comp_targetILNS1_3genE0ELNS1_11target_archE4294967295ELNS1_3gpuE0ELNS1_3repE0EEENS1_30default_config_static_selectorELNS0_4arch9wavefront6targetE0EEEvSZ_.numbered_sgpr, 24
	.set _ZN7rocprim17ROCPRIM_400000_NS6detail17trampoline_kernelINS0_13select_configILj256ELj13ELNS0_17block_load_methodE3ELS4_3ELS4_3ELNS0_20block_scan_algorithmE0ELj4294967295EEENS1_25partition_config_selectorILNS1_17partition_subalgoE3EjNS0_10empty_typeEbEEZZNS1_14partition_implILS8_3ELb0ES6_jNS0_17counting_iteratorIjlEEPS9_SE_NS0_5tupleIJPjSE_EEENSF_IJSE_SE_EEES9_SG_JZNS1_25segmented_radix_sort_implINS0_14default_configELb1EPK6__halfPSL_PKlPlN2at6native12_GLOBAL__N_18offset_tEEE10hipError_tPvRmT1_PNSt15iterator_traitsISZ_E10value_typeET2_T3_PNS10_IS15_E10value_typeET4_jRbjT5_S1B_jjP12ihipStream_tbEUljE_EEESW_SX_SY_S15_S19_S1B_T6_T7_T9_mT8_S1D_bDpT10_ENKUlT_T0_E_clISt17integral_constantIbLb0EES1P_IbLb1EEEEDaS1L_S1M_EUlS1L_E_NS1_11comp_targetILNS1_3genE0ELNS1_11target_archE4294967295ELNS1_3gpuE0ELNS1_3repE0EEENS1_30default_config_static_selectorELNS0_4arch9wavefront6targetE0EEEvSZ_.num_named_barrier, 0
	.set _ZN7rocprim17ROCPRIM_400000_NS6detail17trampoline_kernelINS0_13select_configILj256ELj13ELNS0_17block_load_methodE3ELS4_3ELS4_3ELNS0_20block_scan_algorithmE0ELj4294967295EEENS1_25partition_config_selectorILNS1_17partition_subalgoE3EjNS0_10empty_typeEbEEZZNS1_14partition_implILS8_3ELb0ES6_jNS0_17counting_iteratorIjlEEPS9_SE_NS0_5tupleIJPjSE_EEENSF_IJSE_SE_EEES9_SG_JZNS1_25segmented_radix_sort_implINS0_14default_configELb1EPK6__halfPSL_PKlPlN2at6native12_GLOBAL__N_18offset_tEEE10hipError_tPvRmT1_PNSt15iterator_traitsISZ_E10value_typeET2_T3_PNS10_IS15_E10value_typeET4_jRbjT5_S1B_jjP12ihipStream_tbEUljE_EEESW_SX_SY_S15_S19_S1B_T6_T7_T9_mT8_S1D_bDpT10_ENKUlT_T0_E_clISt17integral_constantIbLb0EES1P_IbLb1EEEEDaS1L_S1M_EUlS1L_E_NS1_11comp_targetILNS1_3genE0ELNS1_11target_archE4294967295ELNS1_3gpuE0ELNS1_3repE0EEENS1_30default_config_static_selectorELNS0_4arch9wavefront6targetE0EEEvSZ_.private_seg_size, 0
	.set _ZN7rocprim17ROCPRIM_400000_NS6detail17trampoline_kernelINS0_13select_configILj256ELj13ELNS0_17block_load_methodE3ELS4_3ELS4_3ELNS0_20block_scan_algorithmE0ELj4294967295EEENS1_25partition_config_selectorILNS1_17partition_subalgoE3EjNS0_10empty_typeEbEEZZNS1_14partition_implILS8_3ELb0ES6_jNS0_17counting_iteratorIjlEEPS9_SE_NS0_5tupleIJPjSE_EEENSF_IJSE_SE_EEES9_SG_JZNS1_25segmented_radix_sort_implINS0_14default_configELb1EPK6__halfPSL_PKlPlN2at6native12_GLOBAL__N_18offset_tEEE10hipError_tPvRmT1_PNSt15iterator_traitsISZ_E10value_typeET2_T3_PNS10_IS15_E10value_typeET4_jRbjT5_S1B_jjP12ihipStream_tbEUljE_EEESW_SX_SY_S15_S19_S1B_T6_T7_T9_mT8_S1D_bDpT10_ENKUlT_T0_E_clISt17integral_constantIbLb0EES1P_IbLb1EEEEDaS1L_S1M_EUlS1L_E_NS1_11comp_targetILNS1_3genE0ELNS1_11target_archE4294967295ELNS1_3gpuE0ELNS1_3repE0EEENS1_30default_config_static_selectorELNS0_4arch9wavefront6targetE0EEEvSZ_.uses_vcc, 1
	.set _ZN7rocprim17ROCPRIM_400000_NS6detail17trampoline_kernelINS0_13select_configILj256ELj13ELNS0_17block_load_methodE3ELS4_3ELS4_3ELNS0_20block_scan_algorithmE0ELj4294967295EEENS1_25partition_config_selectorILNS1_17partition_subalgoE3EjNS0_10empty_typeEbEEZZNS1_14partition_implILS8_3ELb0ES6_jNS0_17counting_iteratorIjlEEPS9_SE_NS0_5tupleIJPjSE_EEENSF_IJSE_SE_EEES9_SG_JZNS1_25segmented_radix_sort_implINS0_14default_configELb1EPK6__halfPSL_PKlPlN2at6native12_GLOBAL__N_18offset_tEEE10hipError_tPvRmT1_PNSt15iterator_traitsISZ_E10value_typeET2_T3_PNS10_IS15_E10value_typeET4_jRbjT5_S1B_jjP12ihipStream_tbEUljE_EEESW_SX_SY_S15_S19_S1B_T6_T7_T9_mT8_S1D_bDpT10_ENKUlT_T0_E_clISt17integral_constantIbLb0EES1P_IbLb1EEEEDaS1L_S1M_EUlS1L_E_NS1_11comp_targetILNS1_3genE0ELNS1_11target_archE4294967295ELNS1_3gpuE0ELNS1_3repE0EEENS1_30default_config_static_selectorELNS0_4arch9wavefront6targetE0EEEvSZ_.uses_flat_scratch, 0
	.set _ZN7rocprim17ROCPRIM_400000_NS6detail17trampoline_kernelINS0_13select_configILj256ELj13ELNS0_17block_load_methodE3ELS4_3ELS4_3ELNS0_20block_scan_algorithmE0ELj4294967295EEENS1_25partition_config_selectorILNS1_17partition_subalgoE3EjNS0_10empty_typeEbEEZZNS1_14partition_implILS8_3ELb0ES6_jNS0_17counting_iteratorIjlEEPS9_SE_NS0_5tupleIJPjSE_EEENSF_IJSE_SE_EEES9_SG_JZNS1_25segmented_radix_sort_implINS0_14default_configELb1EPK6__halfPSL_PKlPlN2at6native12_GLOBAL__N_18offset_tEEE10hipError_tPvRmT1_PNSt15iterator_traitsISZ_E10value_typeET2_T3_PNS10_IS15_E10value_typeET4_jRbjT5_S1B_jjP12ihipStream_tbEUljE_EEESW_SX_SY_S15_S19_S1B_T6_T7_T9_mT8_S1D_bDpT10_ENKUlT_T0_E_clISt17integral_constantIbLb0EES1P_IbLb1EEEEDaS1L_S1M_EUlS1L_E_NS1_11comp_targetILNS1_3genE0ELNS1_11target_archE4294967295ELNS1_3gpuE0ELNS1_3repE0EEENS1_30default_config_static_selectorELNS0_4arch9wavefront6targetE0EEEvSZ_.has_dyn_sized_stack, 0
	.set _ZN7rocprim17ROCPRIM_400000_NS6detail17trampoline_kernelINS0_13select_configILj256ELj13ELNS0_17block_load_methodE3ELS4_3ELS4_3ELNS0_20block_scan_algorithmE0ELj4294967295EEENS1_25partition_config_selectorILNS1_17partition_subalgoE3EjNS0_10empty_typeEbEEZZNS1_14partition_implILS8_3ELb0ES6_jNS0_17counting_iteratorIjlEEPS9_SE_NS0_5tupleIJPjSE_EEENSF_IJSE_SE_EEES9_SG_JZNS1_25segmented_radix_sort_implINS0_14default_configELb1EPK6__halfPSL_PKlPlN2at6native12_GLOBAL__N_18offset_tEEE10hipError_tPvRmT1_PNSt15iterator_traitsISZ_E10value_typeET2_T3_PNS10_IS15_E10value_typeET4_jRbjT5_S1B_jjP12ihipStream_tbEUljE_EEESW_SX_SY_S15_S19_S1B_T6_T7_T9_mT8_S1D_bDpT10_ENKUlT_T0_E_clISt17integral_constantIbLb0EES1P_IbLb1EEEEDaS1L_S1M_EUlS1L_E_NS1_11comp_targetILNS1_3genE0ELNS1_11target_archE4294967295ELNS1_3gpuE0ELNS1_3repE0EEENS1_30default_config_static_selectorELNS0_4arch9wavefront6targetE0EEEvSZ_.has_recursion, 0
	.set _ZN7rocprim17ROCPRIM_400000_NS6detail17trampoline_kernelINS0_13select_configILj256ELj13ELNS0_17block_load_methodE3ELS4_3ELS4_3ELNS0_20block_scan_algorithmE0ELj4294967295EEENS1_25partition_config_selectorILNS1_17partition_subalgoE3EjNS0_10empty_typeEbEEZZNS1_14partition_implILS8_3ELb0ES6_jNS0_17counting_iteratorIjlEEPS9_SE_NS0_5tupleIJPjSE_EEENSF_IJSE_SE_EEES9_SG_JZNS1_25segmented_radix_sort_implINS0_14default_configELb1EPK6__halfPSL_PKlPlN2at6native12_GLOBAL__N_18offset_tEEE10hipError_tPvRmT1_PNSt15iterator_traitsISZ_E10value_typeET2_T3_PNS10_IS15_E10value_typeET4_jRbjT5_S1B_jjP12ihipStream_tbEUljE_EEESW_SX_SY_S15_S19_S1B_T6_T7_T9_mT8_S1D_bDpT10_ENKUlT_T0_E_clISt17integral_constantIbLb0EES1P_IbLb1EEEEDaS1L_S1M_EUlS1L_E_NS1_11comp_targetILNS1_3genE0ELNS1_11target_archE4294967295ELNS1_3gpuE0ELNS1_3repE0EEENS1_30default_config_static_selectorELNS0_4arch9wavefront6targetE0EEEvSZ_.has_indirect_call, 0
	.section	.AMDGPU.csdata,"",@progbits
; Kernel info:
; codeLenInByte = 9040
; TotalNumSgprs: 26
; NumVgprs: 72
; ScratchSize: 0
; MemoryBound: 0
; FloatMode: 240
; IeeeMode: 1
; LDSByteSize: 13320 bytes/workgroup (compile time only)
; SGPRBlocks: 0
; VGPRBlocks: 4
; NumSGPRsForWavesPerEU: 26
; NumVGPRsForWavesPerEU: 72
; NamedBarCnt: 0
; Occupancy: 12
; WaveLimiterHint : 0
; COMPUTE_PGM_RSRC2:SCRATCH_EN: 0
; COMPUTE_PGM_RSRC2:USER_SGPR: 2
; COMPUTE_PGM_RSRC2:TRAP_HANDLER: 0
; COMPUTE_PGM_RSRC2:TGID_X_EN: 1
; COMPUTE_PGM_RSRC2:TGID_Y_EN: 0
; COMPUTE_PGM_RSRC2:TGID_Z_EN: 0
; COMPUTE_PGM_RSRC2:TIDIG_COMP_CNT: 0
	.section	.text._ZN7rocprim17ROCPRIM_400000_NS6detail17trampoline_kernelINS0_13select_configILj256ELj13ELNS0_17block_load_methodE3ELS4_3ELS4_3ELNS0_20block_scan_algorithmE0ELj4294967295EEENS1_25partition_config_selectorILNS1_17partition_subalgoE3EjNS0_10empty_typeEbEEZZNS1_14partition_implILS8_3ELb0ES6_jNS0_17counting_iteratorIjlEEPS9_SE_NS0_5tupleIJPjSE_EEENSF_IJSE_SE_EEES9_SG_JZNS1_25segmented_radix_sort_implINS0_14default_configELb1EPK6__halfPSL_PKlPlN2at6native12_GLOBAL__N_18offset_tEEE10hipError_tPvRmT1_PNSt15iterator_traitsISZ_E10value_typeET2_T3_PNS10_IS15_E10value_typeET4_jRbjT5_S1B_jjP12ihipStream_tbEUljE_EEESW_SX_SY_S15_S19_S1B_T6_T7_T9_mT8_S1D_bDpT10_ENKUlT_T0_E_clISt17integral_constantIbLb0EES1P_IbLb1EEEEDaS1L_S1M_EUlS1L_E_NS1_11comp_targetILNS1_3genE5ELNS1_11target_archE942ELNS1_3gpuE9ELNS1_3repE0EEENS1_30default_config_static_selectorELNS0_4arch9wavefront6targetE0EEEvSZ_,"axG",@progbits,_ZN7rocprim17ROCPRIM_400000_NS6detail17trampoline_kernelINS0_13select_configILj256ELj13ELNS0_17block_load_methodE3ELS4_3ELS4_3ELNS0_20block_scan_algorithmE0ELj4294967295EEENS1_25partition_config_selectorILNS1_17partition_subalgoE3EjNS0_10empty_typeEbEEZZNS1_14partition_implILS8_3ELb0ES6_jNS0_17counting_iteratorIjlEEPS9_SE_NS0_5tupleIJPjSE_EEENSF_IJSE_SE_EEES9_SG_JZNS1_25segmented_radix_sort_implINS0_14default_configELb1EPK6__halfPSL_PKlPlN2at6native12_GLOBAL__N_18offset_tEEE10hipError_tPvRmT1_PNSt15iterator_traitsISZ_E10value_typeET2_T3_PNS10_IS15_E10value_typeET4_jRbjT5_S1B_jjP12ihipStream_tbEUljE_EEESW_SX_SY_S15_S19_S1B_T6_T7_T9_mT8_S1D_bDpT10_ENKUlT_T0_E_clISt17integral_constantIbLb0EES1P_IbLb1EEEEDaS1L_S1M_EUlS1L_E_NS1_11comp_targetILNS1_3genE5ELNS1_11target_archE942ELNS1_3gpuE9ELNS1_3repE0EEENS1_30default_config_static_selectorELNS0_4arch9wavefront6targetE0EEEvSZ_,comdat
	.globl	_ZN7rocprim17ROCPRIM_400000_NS6detail17trampoline_kernelINS0_13select_configILj256ELj13ELNS0_17block_load_methodE3ELS4_3ELS4_3ELNS0_20block_scan_algorithmE0ELj4294967295EEENS1_25partition_config_selectorILNS1_17partition_subalgoE3EjNS0_10empty_typeEbEEZZNS1_14partition_implILS8_3ELb0ES6_jNS0_17counting_iteratorIjlEEPS9_SE_NS0_5tupleIJPjSE_EEENSF_IJSE_SE_EEES9_SG_JZNS1_25segmented_radix_sort_implINS0_14default_configELb1EPK6__halfPSL_PKlPlN2at6native12_GLOBAL__N_18offset_tEEE10hipError_tPvRmT1_PNSt15iterator_traitsISZ_E10value_typeET2_T3_PNS10_IS15_E10value_typeET4_jRbjT5_S1B_jjP12ihipStream_tbEUljE_EEESW_SX_SY_S15_S19_S1B_T6_T7_T9_mT8_S1D_bDpT10_ENKUlT_T0_E_clISt17integral_constantIbLb0EES1P_IbLb1EEEEDaS1L_S1M_EUlS1L_E_NS1_11comp_targetILNS1_3genE5ELNS1_11target_archE942ELNS1_3gpuE9ELNS1_3repE0EEENS1_30default_config_static_selectorELNS0_4arch9wavefront6targetE0EEEvSZ_ ; -- Begin function _ZN7rocprim17ROCPRIM_400000_NS6detail17trampoline_kernelINS0_13select_configILj256ELj13ELNS0_17block_load_methodE3ELS4_3ELS4_3ELNS0_20block_scan_algorithmE0ELj4294967295EEENS1_25partition_config_selectorILNS1_17partition_subalgoE3EjNS0_10empty_typeEbEEZZNS1_14partition_implILS8_3ELb0ES6_jNS0_17counting_iteratorIjlEEPS9_SE_NS0_5tupleIJPjSE_EEENSF_IJSE_SE_EEES9_SG_JZNS1_25segmented_radix_sort_implINS0_14default_configELb1EPK6__halfPSL_PKlPlN2at6native12_GLOBAL__N_18offset_tEEE10hipError_tPvRmT1_PNSt15iterator_traitsISZ_E10value_typeET2_T3_PNS10_IS15_E10value_typeET4_jRbjT5_S1B_jjP12ihipStream_tbEUljE_EEESW_SX_SY_S15_S19_S1B_T6_T7_T9_mT8_S1D_bDpT10_ENKUlT_T0_E_clISt17integral_constantIbLb0EES1P_IbLb1EEEEDaS1L_S1M_EUlS1L_E_NS1_11comp_targetILNS1_3genE5ELNS1_11target_archE942ELNS1_3gpuE9ELNS1_3repE0EEENS1_30default_config_static_selectorELNS0_4arch9wavefront6targetE0EEEvSZ_
	.p2align	8
	.type	_ZN7rocprim17ROCPRIM_400000_NS6detail17trampoline_kernelINS0_13select_configILj256ELj13ELNS0_17block_load_methodE3ELS4_3ELS4_3ELNS0_20block_scan_algorithmE0ELj4294967295EEENS1_25partition_config_selectorILNS1_17partition_subalgoE3EjNS0_10empty_typeEbEEZZNS1_14partition_implILS8_3ELb0ES6_jNS0_17counting_iteratorIjlEEPS9_SE_NS0_5tupleIJPjSE_EEENSF_IJSE_SE_EEES9_SG_JZNS1_25segmented_radix_sort_implINS0_14default_configELb1EPK6__halfPSL_PKlPlN2at6native12_GLOBAL__N_18offset_tEEE10hipError_tPvRmT1_PNSt15iterator_traitsISZ_E10value_typeET2_T3_PNS10_IS15_E10value_typeET4_jRbjT5_S1B_jjP12ihipStream_tbEUljE_EEESW_SX_SY_S15_S19_S1B_T6_T7_T9_mT8_S1D_bDpT10_ENKUlT_T0_E_clISt17integral_constantIbLb0EES1P_IbLb1EEEEDaS1L_S1M_EUlS1L_E_NS1_11comp_targetILNS1_3genE5ELNS1_11target_archE942ELNS1_3gpuE9ELNS1_3repE0EEENS1_30default_config_static_selectorELNS0_4arch9wavefront6targetE0EEEvSZ_,@function
_ZN7rocprim17ROCPRIM_400000_NS6detail17trampoline_kernelINS0_13select_configILj256ELj13ELNS0_17block_load_methodE3ELS4_3ELS4_3ELNS0_20block_scan_algorithmE0ELj4294967295EEENS1_25partition_config_selectorILNS1_17partition_subalgoE3EjNS0_10empty_typeEbEEZZNS1_14partition_implILS8_3ELb0ES6_jNS0_17counting_iteratorIjlEEPS9_SE_NS0_5tupleIJPjSE_EEENSF_IJSE_SE_EEES9_SG_JZNS1_25segmented_radix_sort_implINS0_14default_configELb1EPK6__halfPSL_PKlPlN2at6native12_GLOBAL__N_18offset_tEEE10hipError_tPvRmT1_PNSt15iterator_traitsISZ_E10value_typeET2_T3_PNS10_IS15_E10value_typeET4_jRbjT5_S1B_jjP12ihipStream_tbEUljE_EEESW_SX_SY_S15_S19_S1B_T6_T7_T9_mT8_S1D_bDpT10_ENKUlT_T0_E_clISt17integral_constantIbLb0EES1P_IbLb1EEEEDaS1L_S1M_EUlS1L_E_NS1_11comp_targetILNS1_3genE5ELNS1_11target_archE942ELNS1_3gpuE9ELNS1_3repE0EEENS1_30default_config_static_selectorELNS0_4arch9wavefront6targetE0EEEvSZ_: ; @_ZN7rocprim17ROCPRIM_400000_NS6detail17trampoline_kernelINS0_13select_configILj256ELj13ELNS0_17block_load_methodE3ELS4_3ELS4_3ELNS0_20block_scan_algorithmE0ELj4294967295EEENS1_25partition_config_selectorILNS1_17partition_subalgoE3EjNS0_10empty_typeEbEEZZNS1_14partition_implILS8_3ELb0ES6_jNS0_17counting_iteratorIjlEEPS9_SE_NS0_5tupleIJPjSE_EEENSF_IJSE_SE_EEES9_SG_JZNS1_25segmented_radix_sort_implINS0_14default_configELb1EPK6__halfPSL_PKlPlN2at6native12_GLOBAL__N_18offset_tEEE10hipError_tPvRmT1_PNSt15iterator_traitsISZ_E10value_typeET2_T3_PNS10_IS15_E10value_typeET4_jRbjT5_S1B_jjP12ihipStream_tbEUljE_EEESW_SX_SY_S15_S19_S1B_T6_T7_T9_mT8_S1D_bDpT10_ENKUlT_T0_E_clISt17integral_constantIbLb0EES1P_IbLb1EEEEDaS1L_S1M_EUlS1L_E_NS1_11comp_targetILNS1_3genE5ELNS1_11target_archE942ELNS1_3gpuE9ELNS1_3repE0EEENS1_30default_config_static_selectorELNS0_4arch9wavefront6targetE0EEEvSZ_
; %bb.0:
	.section	.rodata,"a",@progbits
	.p2align	6, 0x0
	.amdhsa_kernel _ZN7rocprim17ROCPRIM_400000_NS6detail17trampoline_kernelINS0_13select_configILj256ELj13ELNS0_17block_load_methodE3ELS4_3ELS4_3ELNS0_20block_scan_algorithmE0ELj4294967295EEENS1_25partition_config_selectorILNS1_17partition_subalgoE3EjNS0_10empty_typeEbEEZZNS1_14partition_implILS8_3ELb0ES6_jNS0_17counting_iteratorIjlEEPS9_SE_NS0_5tupleIJPjSE_EEENSF_IJSE_SE_EEES9_SG_JZNS1_25segmented_radix_sort_implINS0_14default_configELb1EPK6__halfPSL_PKlPlN2at6native12_GLOBAL__N_18offset_tEEE10hipError_tPvRmT1_PNSt15iterator_traitsISZ_E10value_typeET2_T3_PNS10_IS15_E10value_typeET4_jRbjT5_S1B_jjP12ihipStream_tbEUljE_EEESW_SX_SY_S15_S19_S1B_T6_T7_T9_mT8_S1D_bDpT10_ENKUlT_T0_E_clISt17integral_constantIbLb0EES1P_IbLb1EEEEDaS1L_S1M_EUlS1L_E_NS1_11comp_targetILNS1_3genE5ELNS1_11target_archE942ELNS1_3gpuE9ELNS1_3repE0EEENS1_30default_config_static_selectorELNS0_4arch9wavefront6targetE0EEEvSZ_
		.amdhsa_group_segment_fixed_size 0
		.amdhsa_private_segment_fixed_size 0
		.amdhsa_kernarg_size 152
		.amdhsa_user_sgpr_count 2
		.amdhsa_user_sgpr_dispatch_ptr 0
		.amdhsa_user_sgpr_queue_ptr 0
		.amdhsa_user_sgpr_kernarg_segment_ptr 1
		.amdhsa_user_sgpr_dispatch_id 0
		.amdhsa_user_sgpr_kernarg_preload_length 0
		.amdhsa_user_sgpr_kernarg_preload_offset 0
		.amdhsa_user_sgpr_private_segment_size 0
		.amdhsa_wavefront_size32 1
		.amdhsa_uses_dynamic_stack 0
		.amdhsa_enable_private_segment 0
		.amdhsa_system_sgpr_workgroup_id_x 1
		.amdhsa_system_sgpr_workgroup_id_y 0
		.amdhsa_system_sgpr_workgroup_id_z 0
		.amdhsa_system_sgpr_workgroup_info 0
		.amdhsa_system_vgpr_workitem_id 0
		.amdhsa_next_free_vgpr 1
		.amdhsa_next_free_sgpr 1
		.amdhsa_named_barrier_count 0
		.amdhsa_reserve_vcc 0
		.amdhsa_float_round_mode_32 0
		.amdhsa_float_round_mode_16_64 0
		.amdhsa_float_denorm_mode_32 3
		.amdhsa_float_denorm_mode_16_64 3
		.amdhsa_fp16_overflow 0
		.amdhsa_memory_ordered 1
		.amdhsa_forward_progress 1
		.amdhsa_inst_pref_size 0
		.amdhsa_round_robin_scheduling 0
		.amdhsa_exception_fp_ieee_invalid_op 0
		.amdhsa_exception_fp_denorm_src 0
		.amdhsa_exception_fp_ieee_div_zero 0
		.amdhsa_exception_fp_ieee_overflow 0
		.amdhsa_exception_fp_ieee_underflow 0
		.amdhsa_exception_fp_ieee_inexact 0
		.amdhsa_exception_int_div_zero 0
	.end_amdhsa_kernel
	.section	.text._ZN7rocprim17ROCPRIM_400000_NS6detail17trampoline_kernelINS0_13select_configILj256ELj13ELNS0_17block_load_methodE3ELS4_3ELS4_3ELNS0_20block_scan_algorithmE0ELj4294967295EEENS1_25partition_config_selectorILNS1_17partition_subalgoE3EjNS0_10empty_typeEbEEZZNS1_14partition_implILS8_3ELb0ES6_jNS0_17counting_iteratorIjlEEPS9_SE_NS0_5tupleIJPjSE_EEENSF_IJSE_SE_EEES9_SG_JZNS1_25segmented_radix_sort_implINS0_14default_configELb1EPK6__halfPSL_PKlPlN2at6native12_GLOBAL__N_18offset_tEEE10hipError_tPvRmT1_PNSt15iterator_traitsISZ_E10value_typeET2_T3_PNS10_IS15_E10value_typeET4_jRbjT5_S1B_jjP12ihipStream_tbEUljE_EEESW_SX_SY_S15_S19_S1B_T6_T7_T9_mT8_S1D_bDpT10_ENKUlT_T0_E_clISt17integral_constantIbLb0EES1P_IbLb1EEEEDaS1L_S1M_EUlS1L_E_NS1_11comp_targetILNS1_3genE5ELNS1_11target_archE942ELNS1_3gpuE9ELNS1_3repE0EEENS1_30default_config_static_selectorELNS0_4arch9wavefront6targetE0EEEvSZ_,"axG",@progbits,_ZN7rocprim17ROCPRIM_400000_NS6detail17trampoline_kernelINS0_13select_configILj256ELj13ELNS0_17block_load_methodE3ELS4_3ELS4_3ELNS0_20block_scan_algorithmE0ELj4294967295EEENS1_25partition_config_selectorILNS1_17partition_subalgoE3EjNS0_10empty_typeEbEEZZNS1_14partition_implILS8_3ELb0ES6_jNS0_17counting_iteratorIjlEEPS9_SE_NS0_5tupleIJPjSE_EEENSF_IJSE_SE_EEES9_SG_JZNS1_25segmented_radix_sort_implINS0_14default_configELb1EPK6__halfPSL_PKlPlN2at6native12_GLOBAL__N_18offset_tEEE10hipError_tPvRmT1_PNSt15iterator_traitsISZ_E10value_typeET2_T3_PNS10_IS15_E10value_typeET4_jRbjT5_S1B_jjP12ihipStream_tbEUljE_EEESW_SX_SY_S15_S19_S1B_T6_T7_T9_mT8_S1D_bDpT10_ENKUlT_T0_E_clISt17integral_constantIbLb0EES1P_IbLb1EEEEDaS1L_S1M_EUlS1L_E_NS1_11comp_targetILNS1_3genE5ELNS1_11target_archE942ELNS1_3gpuE9ELNS1_3repE0EEENS1_30default_config_static_selectorELNS0_4arch9wavefront6targetE0EEEvSZ_,comdat
.Lfunc_end1722:
	.size	_ZN7rocprim17ROCPRIM_400000_NS6detail17trampoline_kernelINS0_13select_configILj256ELj13ELNS0_17block_load_methodE3ELS4_3ELS4_3ELNS0_20block_scan_algorithmE0ELj4294967295EEENS1_25partition_config_selectorILNS1_17partition_subalgoE3EjNS0_10empty_typeEbEEZZNS1_14partition_implILS8_3ELb0ES6_jNS0_17counting_iteratorIjlEEPS9_SE_NS0_5tupleIJPjSE_EEENSF_IJSE_SE_EEES9_SG_JZNS1_25segmented_radix_sort_implINS0_14default_configELb1EPK6__halfPSL_PKlPlN2at6native12_GLOBAL__N_18offset_tEEE10hipError_tPvRmT1_PNSt15iterator_traitsISZ_E10value_typeET2_T3_PNS10_IS15_E10value_typeET4_jRbjT5_S1B_jjP12ihipStream_tbEUljE_EEESW_SX_SY_S15_S19_S1B_T6_T7_T9_mT8_S1D_bDpT10_ENKUlT_T0_E_clISt17integral_constantIbLb0EES1P_IbLb1EEEEDaS1L_S1M_EUlS1L_E_NS1_11comp_targetILNS1_3genE5ELNS1_11target_archE942ELNS1_3gpuE9ELNS1_3repE0EEENS1_30default_config_static_selectorELNS0_4arch9wavefront6targetE0EEEvSZ_, .Lfunc_end1722-_ZN7rocprim17ROCPRIM_400000_NS6detail17trampoline_kernelINS0_13select_configILj256ELj13ELNS0_17block_load_methodE3ELS4_3ELS4_3ELNS0_20block_scan_algorithmE0ELj4294967295EEENS1_25partition_config_selectorILNS1_17partition_subalgoE3EjNS0_10empty_typeEbEEZZNS1_14partition_implILS8_3ELb0ES6_jNS0_17counting_iteratorIjlEEPS9_SE_NS0_5tupleIJPjSE_EEENSF_IJSE_SE_EEES9_SG_JZNS1_25segmented_radix_sort_implINS0_14default_configELb1EPK6__halfPSL_PKlPlN2at6native12_GLOBAL__N_18offset_tEEE10hipError_tPvRmT1_PNSt15iterator_traitsISZ_E10value_typeET2_T3_PNS10_IS15_E10value_typeET4_jRbjT5_S1B_jjP12ihipStream_tbEUljE_EEESW_SX_SY_S15_S19_S1B_T6_T7_T9_mT8_S1D_bDpT10_ENKUlT_T0_E_clISt17integral_constantIbLb0EES1P_IbLb1EEEEDaS1L_S1M_EUlS1L_E_NS1_11comp_targetILNS1_3genE5ELNS1_11target_archE942ELNS1_3gpuE9ELNS1_3repE0EEENS1_30default_config_static_selectorELNS0_4arch9wavefront6targetE0EEEvSZ_
                                        ; -- End function
	.set _ZN7rocprim17ROCPRIM_400000_NS6detail17trampoline_kernelINS0_13select_configILj256ELj13ELNS0_17block_load_methodE3ELS4_3ELS4_3ELNS0_20block_scan_algorithmE0ELj4294967295EEENS1_25partition_config_selectorILNS1_17partition_subalgoE3EjNS0_10empty_typeEbEEZZNS1_14partition_implILS8_3ELb0ES6_jNS0_17counting_iteratorIjlEEPS9_SE_NS0_5tupleIJPjSE_EEENSF_IJSE_SE_EEES9_SG_JZNS1_25segmented_radix_sort_implINS0_14default_configELb1EPK6__halfPSL_PKlPlN2at6native12_GLOBAL__N_18offset_tEEE10hipError_tPvRmT1_PNSt15iterator_traitsISZ_E10value_typeET2_T3_PNS10_IS15_E10value_typeET4_jRbjT5_S1B_jjP12ihipStream_tbEUljE_EEESW_SX_SY_S15_S19_S1B_T6_T7_T9_mT8_S1D_bDpT10_ENKUlT_T0_E_clISt17integral_constantIbLb0EES1P_IbLb1EEEEDaS1L_S1M_EUlS1L_E_NS1_11comp_targetILNS1_3genE5ELNS1_11target_archE942ELNS1_3gpuE9ELNS1_3repE0EEENS1_30default_config_static_selectorELNS0_4arch9wavefront6targetE0EEEvSZ_.num_vgpr, 0
	.set _ZN7rocprim17ROCPRIM_400000_NS6detail17trampoline_kernelINS0_13select_configILj256ELj13ELNS0_17block_load_methodE3ELS4_3ELS4_3ELNS0_20block_scan_algorithmE0ELj4294967295EEENS1_25partition_config_selectorILNS1_17partition_subalgoE3EjNS0_10empty_typeEbEEZZNS1_14partition_implILS8_3ELb0ES6_jNS0_17counting_iteratorIjlEEPS9_SE_NS0_5tupleIJPjSE_EEENSF_IJSE_SE_EEES9_SG_JZNS1_25segmented_radix_sort_implINS0_14default_configELb1EPK6__halfPSL_PKlPlN2at6native12_GLOBAL__N_18offset_tEEE10hipError_tPvRmT1_PNSt15iterator_traitsISZ_E10value_typeET2_T3_PNS10_IS15_E10value_typeET4_jRbjT5_S1B_jjP12ihipStream_tbEUljE_EEESW_SX_SY_S15_S19_S1B_T6_T7_T9_mT8_S1D_bDpT10_ENKUlT_T0_E_clISt17integral_constantIbLb0EES1P_IbLb1EEEEDaS1L_S1M_EUlS1L_E_NS1_11comp_targetILNS1_3genE5ELNS1_11target_archE942ELNS1_3gpuE9ELNS1_3repE0EEENS1_30default_config_static_selectorELNS0_4arch9wavefront6targetE0EEEvSZ_.num_agpr, 0
	.set _ZN7rocprim17ROCPRIM_400000_NS6detail17trampoline_kernelINS0_13select_configILj256ELj13ELNS0_17block_load_methodE3ELS4_3ELS4_3ELNS0_20block_scan_algorithmE0ELj4294967295EEENS1_25partition_config_selectorILNS1_17partition_subalgoE3EjNS0_10empty_typeEbEEZZNS1_14partition_implILS8_3ELb0ES6_jNS0_17counting_iteratorIjlEEPS9_SE_NS0_5tupleIJPjSE_EEENSF_IJSE_SE_EEES9_SG_JZNS1_25segmented_radix_sort_implINS0_14default_configELb1EPK6__halfPSL_PKlPlN2at6native12_GLOBAL__N_18offset_tEEE10hipError_tPvRmT1_PNSt15iterator_traitsISZ_E10value_typeET2_T3_PNS10_IS15_E10value_typeET4_jRbjT5_S1B_jjP12ihipStream_tbEUljE_EEESW_SX_SY_S15_S19_S1B_T6_T7_T9_mT8_S1D_bDpT10_ENKUlT_T0_E_clISt17integral_constantIbLb0EES1P_IbLb1EEEEDaS1L_S1M_EUlS1L_E_NS1_11comp_targetILNS1_3genE5ELNS1_11target_archE942ELNS1_3gpuE9ELNS1_3repE0EEENS1_30default_config_static_selectorELNS0_4arch9wavefront6targetE0EEEvSZ_.numbered_sgpr, 0
	.set _ZN7rocprim17ROCPRIM_400000_NS6detail17trampoline_kernelINS0_13select_configILj256ELj13ELNS0_17block_load_methodE3ELS4_3ELS4_3ELNS0_20block_scan_algorithmE0ELj4294967295EEENS1_25partition_config_selectorILNS1_17partition_subalgoE3EjNS0_10empty_typeEbEEZZNS1_14partition_implILS8_3ELb0ES6_jNS0_17counting_iteratorIjlEEPS9_SE_NS0_5tupleIJPjSE_EEENSF_IJSE_SE_EEES9_SG_JZNS1_25segmented_radix_sort_implINS0_14default_configELb1EPK6__halfPSL_PKlPlN2at6native12_GLOBAL__N_18offset_tEEE10hipError_tPvRmT1_PNSt15iterator_traitsISZ_E10value_typeET2_T3_PNS10_IS15_E10value_typeET4_jRbjT5_S1B_jjP12ihipStream_tbEUljE_EEESW_SX_SY_S15_S19_S1B_T6_T7_T9_mT8_S1D_bDpT10_ENKUlT_T0_E_clISt17integral_constantIbLb0EES1P_IbLb1EEEEDaS1L_S1M_EUlS1L_E_NS1_11comp_targetILNS1_3genE5ELNS1_11target_archE942ELNS1_3gpuE9ELNS1_3repE0EEENS1_30default_config_static_selectorELNS0_4arch9wavefront6targetE0EEEvSZ_.num_named_barrier, 0
	.set _ZN7rocprim17ROCPRIM_400000_NS6detail17trampoline_kernelINS0_13select_configILj256ELj13ELNS0_17block_load_methodE3ELS4_3ELS4_3ELNS0_20block_scan_algorithmE0ELj4294967295EEENS1_25partition_config_selectorILNS1_17partition_subalgoE3EjNS0_10empty_typeEbEEZZNS1_14partition_implILS8_3ELb0ES6_jNS0_17counting_iteratorIjlEEPS9_SE_NS0_5tupleIJPjSE_EEENSF_IJSE_SE_EEES9_SG_JZNS1_25segmented_radix_sort_implINS0_14default_configELb1EPK6__halfPSL_PKlPlN2at6native12_GLOBAL__N_18offset_tEEE10hipError_tPvRmT1_PNSt15iterator_traitsISZ_E10value_typeET2_T3_PNS10_IS15_E10value_typeET4_jRbjT5_S1B_jjP12ihipStream_tbEUljE_EEESW_SX_SY_S15_S19_S1B_T6_T7_T9_mT8_S1D_bDpT10_ENKUlT_T0_E_clISt17integral_constantIbLb0EES1P_IbLb1EEEEDaS1L_S1M_EUlS1L_E_NS1_11comp_targetILNS1_3genE5ELNS1_11target_archE942ELNS1_3gpuE9ELNS1_3repE0EEENS1_30default_config_static_selectorELNS0_4arch9wavefront6targetE0EEEvSZ_.private_seg_size, 0
	.set _ZN7rocprim17ROCPRIM_400000_NS6detail17trampoline_kernelINS0_13select_configILj256ELj13ELNS0_17block_load_methodE3ELS4_3ELS4_3ELNS0_20block_scan_algorithmE0ELj4294967295EEENS1_25partition_config_selectorILNS1_17partition_subalgoE3EjNS0_10empty_typeEbEEZZNS1_14partition_implILS8_3ELb0ES6_jNS0_17counting_iteratorIjlEEPS9_SE_NS0_5tupleIJPjSE_EEENSF_IJSE_SE_EEES9_SG_JZNS1_25segmented_radix_sort_implINS0_14default_configELb1EPK6__halfPSL_PKlPlN2at6native12_GLOBAL__N_18offset_tEEE10hipError_tPvRmT1_PNSt15iterator_traitsISZ_E10value_typeET2_T3_PNS10_IS15_E10value_typeET4_jRbjT5_S1B_jjP12ihipStream_tbEUljE_EEESW_SX_SY_S15_S19_S1B_T6_T7_T9_mT8_S1D_bDpT10_ENKUlT_T0_E_clISt17integral_constantIbLb0EES1P_IbLb1EEEEDaS1L_S1M_EUlS1L_E_NS1_11comp_targetILNS1_3genE5ELNS1_11target_archE942ELNS1_3gpuE9ELNS1_3repE0EEENS1_30default_config_static_selectorELNS0_4arch9wavefront6targetE0EEEvSZ_.uses_vcc, 0
	.set _ZN7rocprim17ROCPRIM_400000_NS6detail17trampoline_kernelINS0_13select_configILj256ELj13ELNS0_17block_load_methodE3ELS4_3ELS4_3ELNS0_20block_scan_algorithmE0ELj4294967295EEENS1_25partition_config_selectorILNS1_17partition_subalgoE3EjNS0_10empty_typeEbEEZZNS1_14partition_implILS8_3ELb0ES6_jNS0_17counting_iteratorIjlEEPS9_SE_NS0_5tupleIJPjSE_EEENSF_IJSE_SE_EEES9_SG_JZNS1_25segmented_radix_sort_implINS0_14default_configELb1EPK6__halfPSL_PKlPlN2at6native12_GLOBAL__N_18offset_tEEE10hipError_tPvRmT1_PNSt15iterator_traitsISZ_E10value_typeET2_T3_PNS10_IS15_E10value_typeET4_jRbjT5_S1B_jjP12ihipStream_tbEUljE_EEESW_SX_SY_S15_S19_S1B_T6_T7_T9_mT8_S1D_bDpT10_ENKUlT_T0_E_clISt17integral_constantIbLb0EES1P_IbLb1EEEEDaS1L_S1M_EUlS1L_E_NS1_11comp_targetILNS1_3genE5ELNS1_11target_archE942ELNS1_3gpuE9ELNS1_3repE0EEENS1_30default_config_static_selectorELNS0_4arch9wavefront6targetE0EEEvSZ_.uses_flat_scratch, 0
	.set _ZN7rocprim17ROCPRIM_400000_NS6detail17trampoline_kernelINS0_13select_configILj256ELj13ELNS0_17block_load_methodE3ELS4_3ELS4_3ELNS0_20block_scan_algorithmE0ELj4294967295EEENS1_25partition_config_selectorILNS1_17partition_subalgoE3EjNS0_10empty_typeEbEEZZNS1_14partition_implILS8_3ELb0ES6_jNS0_17counting_iteratorIjlEEPS9_SE_NS0_5tupleIJPjSE_EEENSF_IJSE_SE_EEES9_SG_JZNS1_25segmented_radix_sort_implINS0_14default_configELb1EPK6__halfPSL_PKlPlN2at6native12_GLOBAL__N_18offset_tEEE10hipError_tPvRmT1_PNSt15iterator_traitsISZ_E10value_typeET2_T3_PNS10_IS15_E10value_typeET4_jRbjT5_S1B_jjP12ihipStream_tbEUljE_EEESW_SX_SY_S15_S19_S1B_T6_T7_T9_mT8_S1D_bDpT10_ENKUlT_T0_E_clISt17integral_constantIbLb0EES1P_IbLb1EEEEDaS1L_S1M_EUlS1L_E_NS1_11comp_targetILNS1_3genE5ELNS1_11target_archE942ELNS1_3gpuE9ELNS1_3repE0EEENS1_30default_config_static_selectorELNS0_4arch9wavefront6targetE0EEEvSZ_.has_dyn_sized_stack, 0
	.set _ZN7rocprim17ROCPRIM_400000_NS6detail17trampoline_kernelINS0_13select_configILj256ELj13ELNS0_17block_load_methodE3ELS4_3ELS4_3ELNS0_20block_scan_algorithmE0ELj4294967295EEENS1_25partition_config_selectorILNS1_17partition_subalgoE3EjNS0_10empty_typeEbEEZZNS1_14partition_implILS8_3ELb0ES6_jNS0_17counting_iteratorIjlEEPS9_SE_NS0_5tupleIJPjSE_EEENSF_IJSE_SE_EEES9_SG_JZNS1_25segmented_radix_sort_implINS0_14default_configELb1EPK6__halfPSL_PKlPlN2at6native12_GLOBAL__N_18offset_tEEE10hipError_tPvRmT1_PNSt15iterator_traitsISZ_E10value_typeET2_T3_PNS10_IS15_E10value_typeET4_jRbjT5_S1B_jjP12ihipStream_tbEUljE_EEESW_SX_SY_S15_S19_S1B_T6_T7_T9_mT8_S1D_bDpT10_ENKUlT_T0_E_clISt17integral_constantIbLb0EES1P_IbLb1EEEEDaS1L_S1M_EUlS1L_E_NS1_11comp_targetILNS1_3genE5ELNS1_11target_archE942ELNS1_3gpuE9ELNS1_3repE0EEENS1_30default_config_static_selectorELNS0_4arch9wavefront6targetE0EEEvSZ_.has_recursion, 0
	.set _ZN7rocprim17ROCPRIM_400000_NS6detail17trampoline_kernelINS0_13select_configILj256ELj13ELNS0_17block_load_methodE3ELS4_3ELS4_3ELNS0_20block_scan_algorithmE0ELj4294967295EEENS1_25partition_config_selectorILNS1_17partition_subalgoE3EjNS0_10empty_typeEbEEZZNS1_14partition_implILS8_3ELb0ES6_jNS0_17counting_iteratorIjlEEPS9_SE_NS0_5tupleIJPjSE_EEENSF_IJSE_SE_EEES9_SG_JZNS1_25segmented_radix_sort_implINS0_14default_configELb1EPK6__halfPSL_PKlPlN2at6native12_GLOBAL__N_18offset_tEEE10hipError_tPvRmT1_PNSt15iterator_traitsISZ_E10value_typeET2_T3_PNS10_IS15_E10value_typeET4_jRbjT5_S1B_jjP12ihipStream_tbEUljE_EEESW_SX_SY_S15_S19_S1B_T6_T7_T9_mT8_S1D_bDpT10_ENKUlT_T0_E_clISt17integral_constantIbLb0EES1P_IbLb1EEEEDaS1L_S1M_EUlS1L_E_NS1_11comp_targetILNS1_3genE5ELNS1_11target_archE942ELNS1_3gpuE9ELNS1_3repE0EEENS1_30default_config_static_selectorELNS0_4arch9wavefront6targetE0EEEvSZ_.has_indirect_call, 0
	.section	.AMDGPU.csdata,"",@progbits
; Kernel info:
; codeLenInByte = 0
; TotalNumSgprs: 0
; NumVgprs: 0
; ScratchSize: 0
; MemoryBound: 0
; FloatMode: 240
; IeeeMode: 1
; LDSByteSize: 0 bytes/workgroup (compile time only)
; SGPRBlocks: 0
; VGPRBlocks: 0
; NumSGPRsForWavesPerEU: 1
; NumVGPRsForWavesPerEU: 1
; NamedBarCnt: 0
; Occupancy: 16
; WaveLimiterHint : 0
; COMPUTE_PGM_RSRC2:SCRATCH_EN: 0
; COMPUTE_PGM_RSRC2:USER_SGPR: 2
; COMPUTE_PGM_RSRC2:TRAP_HANDLER: 0
; COMPUTE_PGM_RSRC2:TGID_X_EN: 1
; COMPUTE_PGM_RSRC2:TGID_Y_EN: 0
; COMPUTE_PGM_RSRC2:TGID_Z_EN: 0
; COMPUTE_PGM_RSRC2:TIDIG_COMP_CNT: 0
	.section	.text._ZN7rocprim17ROCPRIM_400000_NS6detail17trampoline_kernelINS0_13select_configILj256ELj13ELNS0_17block_load_methodE3ELS4_3ELS4_3ELNS0_20block_scan_algorithmE0ELj4294967295EEENS1_25partition_config_selectorILNS1_17partition_subalgoE3EjNS0_10empty_typeEbEEZZNS1_14partition_implILS8_3ELb0ES6_jNS0_17counting_iteratorIjlEEPS9_SE_NS0_5tupleIJPjSE_EEENSF_IJSE_SE_EEES9_SG_JZNS1_25segmented_radix_sort_implINS0_14default_configELb1EPK6__halfPSL_PKlPlN2at6native12_GLOBAL__N_18offset_tEEE10hipError_tPvRmT1_PNSt15iterator_traitsISZ_E10value_typeET2_T3_PNS10_IS15_E10value_typeET4_jRbjT5_S1B_jjP12ihipStream_tbEUljE_EEESW_SX_SY_S15_S19_S1B_T6_T7_T9_mT8_S1D_bDpT10_ENKUlT_T0_E_clISt17integral_constantIbLb0EES1P_IbLb1EEEEDaS1L_S1M_EUlS1L_E_NS1_11comp_targetILNS1_3genE4ELNS1_11target_archE910ELNS1_3gpuE8ELNS1_3repE0EEENS1_30default_config_static_selectorELNS0_4arch9wavefront6targetE0EEEvSZ_,"axG",@progbits,_ZN7rocprim17ROCPRIM_400000_NS6detail17trampoline_kernelINS0_13select_configILj256ELj13ELNS0_17block_load_methodE3ELS4_3ELS4_3ELNS0_20block_scan_algorithmE0ELj4294967295EEENS1_25partition_config_selectorILNS1_17partition_subalgoE3EjNS0_10empty_typeEbEEZZNS1_14partition_implILS8_3ELb0ES6_jNS0_17counting_iteratorIjlEEPS9_SE_NS0_5tupleIJPjSE_EEENSF_IJSE_SE_EEES9_SG_JZNS1_25segmented_radix_sort_implINS0_14default_configELb1EPK6__halfPSL_PKlPlN2at6native12_GLOBAL__N_18offset_tEEE10hipError_tPvRmT1_PNSt15iterator_traitsISZ_E10value_typeET2_T3_PNS10_IS15_E10value_typeET4_jRbjT5_S1B_jjP12ihipStream_tbEUljE_EEESW_SX_SY_S15_S19_S1B_T6_T7_T9_mT8_S1D_bDpT10_ENKUlT_T0_E_clISt17integral_constantIbLb0EES1P_IbLb1EEEEDaS1L_S1M_EUlS1L_E_NS1_11comp_targetILNS1_3genE4ELNS1_11target_archE910ELNS1_3gpuE8ELNS1_3repE0EEENS1_30default_config_static_selectorELNS0_4arch9wavefront6targetE0EEEvSZ_,comdat
	.globl	_ZN7rocprim17ROCPRIM_400000_NS6detail17trampoline_kernelINS0_13select_configILj256ELj13ELNS0_17block_load_methodE3ELS4_3ELS4_3ELNS0_20block_scan_algorithmE0ELj4294967295EEENS1_25partition_config_selectorILNS1_17partition_subalgoE3EjNS0_10empty_typeEbEEZZNS1_14partition_implILS8_3ELb0ES6_jNS0_17counting_iteratorIjlEEPS9_SE_NS0_5tupleIJPjSE_EEENSF_IJSE_SE_EEES9_SG_JZNS1_25segmented_radix_sort_implINS0_14default_configELb1EPK6__halfPSL_PKlPlN2at6native12_GLOBAL__N_18offset_tEEE10hipError_tPvRmT1_PNSt15iterator_traitsISZ_E10value_typeET2_T3_PNS10_IS15_E10value_typeET4_jRbjT5_S1B_jjP12ihipStream_tbEUljE_EEESW_SX_SY_S15_S19_S1B_T6_T7_T9_mT8_S1D_bDpT10_ENKUlT_T0_E_clISt17integral_constantIbLb0EES1P_IbLb1EEEEDaS1L_S1M_EUlS1L_E_NS1_11comp_targetILNS1_3genE4ELNS1_11target_archE910ELNS1_3gpuE8ELNS1_3repE0EEENS1_30default_config_static_selectorELNS0_4arch9wavefront6targetE0EEEvSZ_ ; -- Begin function _ZN7rocprim17ROCPRIM_400000_NS6detail17trampoline_kernelINS0_13select_configILj256ELj13ELNS0_17block_load_methodE3ELS4_3ELS4_3ELNS0_20block_scan_algorithmE0ELj4294967295EEENS1_25partition_config_selectorILNS1_17partition_subalgoE3EjNS0_10empty_typeEbEEZZNS1_14partition_implILS8_3ELb0ES6_jNS0_17counting_iteratorIjlEEPS9_SE_NS0_5tupleIJPjSE_EEENSF_IJSE_SE_EEES9_SG_JZNS1_25segmented_radix_sort_implINS0_14default_configELb1EPK6__halfPSL_PKlPlN2at6native12_GLOBAL__N_18offset_tEEE10hipError_tPvRmT1_PNSt15iterator_traitsISZ_E10value_typeET2_T3_PNS10_IS15_E10value_typeET4_jRbjT5_S1B_jjP12ihipStream_tbEUljE_EEESW_SX_SY_S15_S19_S1B_T6_T7_T9_mT8_S1D_bDpT10_ENKUlT_T0_E_clISt17integral_constantIbLb0EES1P_IbLb1EEEEDaS1L_S1M_EUlS1L_E_NS1_11comp_targetILNS1_3genE4ELNS1_11target_archE910ELNS1_3gpuE8ELNS1_3repE0EEENS1_30default_config_static_selectorELNS0_4arch9wavefront6targetE0EEEvSZ_
	.p2align	8
	.type	_ZN7rocprim17ROCPRIM_400000_NS6detail17trampoline_kernelINS0_13select_configILj256ELj13ELNS0_17block_load_methodE3ELS4_3ELS4_3ELNS0_20block_scan_algorithmE0ELj4294967295EEENS1_25partition_config_selectorILNS1_17partition_subalgoE3EjNS0_10empty_typeEbEEZZNS1_14partition_implILS8_3ELb0ES6_jNS0_17counting_iteratorIjlEEPS9_SE_NS0_5tupleIJPjSE_EEENSF_IJSE_SE_EEES9_SG_JZNS1_25segmented_radix_sort_implINS0_14default_configELb1EPK6__halfPSL_PKlPlN2at6native12_GLOBAL__N_18offset_tEEE10hipError_tPvRmT1_PNSt15iterator_traitsISZ_E10value_typeET2_T3_PNS10_IS15_E10value_typeET4_jRbjT5_S1B_jjP12ihipStream_tbEUljE_EEESW_SX_SY_S15_S19_S1B_T6_T7_T9_mT8_S1D_bDpT10_ENKUlT_T0_E_clISt17integral_constantIbLb0EES1P_IbLb1EEEEDaS1L_S1M_EUlS1L_E_NS1_11comp_targetILNS1_3genE4ELNS1_11target_archE910ELNS1_3gpuE8ELNS1_3repE0EEENS1_30default_config_static_selectorELNS0_4arch9wavefront6targetE0EEEvSZ_,@function
_ZN7rocprim17ROCPRIM_400000_NS6detail17trampoline_kernelINS0_13select_configILj256ELj13ELNS0_17block_load_methodE3ELS4_3ELS4_3ELNS0_20block_scan_algorithmE0ELj4294967295EEENS1_25partition_config_selectorILNS1_17partition_subalgoE3EjNS0_10empty_typeEbEEZZNS1_14partition_implILS8_3ELb0ES6_jNS0_17counting_iteratorIjlEEPS9_SE_NS0_5tupleIJPjSE_EEENSF_IJSE_SE_EEES9_SG_JZNS1_25segmented_radix_sort_implINS0_14default_configELb1EPK6__halfPSL_PKlPlN2at6native12_GLOBAL__N_18offset_tEEE10hipError_tPvRmT1_PNSt15iterator_traitsISZ_E10value_typeET2_T3_PNS10_IS15_E10value_typeET4_jRbjT5_S1B_jjP12ihipStream_tbEUljE_EEESW_SX_SY_S15_S19_S1B_T6_T7_T9_mT8_S1D_bDpT10_ENKUlT_T0_E_clISt17integral_constantIbLb0EES1P_IbLb1EEEEDaS1L_S1M_EUlS1L_E_NS1_11comp_targetILNS1_3genE4ELNS1_11target_archE910ELNS1_3gpuE8ELNS1_3repE0EEENS1_30default_config_static_selectorELNS0_4arch9wavefront6targetE0EEEvSZ_: ; @_ZN7rocprim17ROCPRIM_400000_NS6detail17trampoline_kernelINS0_13select_configILj256ELj13ELNS0_17block_load_methodE3ELS4_3ELS4_3ELNS0_20block_scan_algorithmE0ELj4294967295EEENS1_25partition_config_selectorILNS1_17partition_subalgoE3EjNS0_10empty_typeEbEEZZNS1_14partition_implILS8_3ELb0ES6_jNS0_17counting_iteratorIjlEEPS9_SE_NS0_5tupleIJPjSE_EEENSF_IJSE_SE_EEES9_SG_JZNS1_25segmented_radix_sort_implINS0_14default_configELb1EPK6__halfPSL_PKlPlN2at6native12_GLOBAL__N_18offset_tEEE10hipError_tPvRmT1_PNSt15iterator_traitsISZ_E10value_typeET2_T3_PNS10_IS15_E10value_typeET4_jRbjT5_S1B_jjP12ihipStream_tbEUljE_EEESW_SX_SY_S15_S19_S1B_T6_T7_T9_mT8_S1D_bDpT10_ENKUlT_T0_E_clISt17integral_constantIbLb0EES1P_IbLb1EEEEDaS1L_S1M_EUlS1L_E_NS1_11comp_targetILNS1_3genE4ELNS1_11target_archE910ELNS1_3gpuE8ELNS1_3repE0EEENS1_30default_config_static_selectorELNS0_4arch9wavefront6targetE0EEEvSZ_
; %bb.0:
	.section	.rodata,"a",@progbits
	.p2align	6, 0x0
	.amdhsa_kernel _ZN7rocprim17ROCPRIM_400000_NS6detail17trampoline_kernelINS0_13select_configILj256ELj13ELNS0_17block_load_methodE3ELS4_3ELS4_3ELNS0_20block_scan_algorithmE0ELj4294967295EEENS1_25partition_config_selectorILNS1_17partition_subalgoE3EjNS0_10empty_typeEbEEZZNS1_14partition_implILS8_3ELb0ES6_jNS0_17counting_iteratorIjlEEPS9_SE_NS0_5tupleIJPjSE_EEENSF_IJSE_SE_EEES9_SG_JZNS1_25segmented_radix_sort_implINS0_14default_configELb1EPK6__halfPSL_PKlPlN2at6native12_GLOBAL__N_18offset_tEEE10hipError_tPvRmT1_PNSt15iterator_traitsISZ_E10value_typeET2_T3_PNS10_IS15_E10value_typeET4_jRbjT5_S1B_jjP12ihipStream_tbEUljE_EEESW_SX_SY_S15_S19_S1B_T6_T7_T9_mT8_S1D_bDpT10_ENKUlT_T0_E_clISt17integral_constantIbLb0EES1P_IbLb1EEEEDaS1L_S1M_EUlS1L_E_NS1_11comp_targetILNS1_3genE4ELNS1_11target_archE910ELNS1_3gpuE8ELNS1_3repE0EEENS1_30default_config_static_selectorELNS0_4arch9wavefront6targetE0EEEvSZ_
		.amdhsa_group_segment_fixed_size 0
		.amdhsa_private_segment_fixed_size 0
		.amdhsa_kernarg_size 152
		.amdhsa_user_sgpr_count 2
		.amdhsa_user_sgpr_dispatch_ptr 0
		.amdhsa_user_sgpr_queue_ptr 0
		.amdhsa_user_sgpr_kernarg_segment_ptr 1
		.amdhsa_user_sgpr_dispatch_id 0
		.amdhsa_user_sgpr_kernarg_preload_length 0
		.amdhsa_user_sgpr_kernarg_preload_offset 0
		.amdhsa_user_sgpr_private_segment_size 0
		.amdhsa_wavefront_size32 1
		.amdhsa_uses_dynamic_stack 0
		.amdhsa_enable_private_segment 0
		.amdhsa_system_sgpr_workgroup_id_x 1
		.amdhsa_system_sgpr_workgroup_id_y 0
		.amdhsa_system_sgpr_workgroup_id_z 0
		.amdhsa_system_sgpr_workgroup_info 0
		.amdhsa_system_vgpr_workitem_id 0
		.amdhsa_next_free_vgpr 1
		.amdhsa_next_free_sgpr 1
		.amdhsa_named_barrier_count 0
		.amdhsa_reserve_vcc 0
		.amdhsa_float_round_mode_32 0
		.amdhsa_float_round_mode_16_64 0
		.amdhsa_float_denorm_mode_32 3
		.amdhsa_float_denorm_mode_16_64 3
		.amdhsa_fp16_overflow 0
		.amdhsa_memory_ordered 1
		.amdhsa_forward_progress 1
		.amdhsa_inst_pref_size 0
		.amdhsa_round_robin_scheduling 0
		.amdhsa_exception_fp_ieee_invalid_op 0
		.amdhsa_exception_fp_denorm_src 0
		.amdhsa_exception_fp_ieee_div_zero 0
		.amdhsa_exception_fp_ieee_overflow 0
		.amdhsa_exception_fp_ieee_underflow 0
		.amdhsa_exception_fp_ieee_inexact 0
		.amdhsa_exception_int_div_zero 0
	.end_amdhsa_kernel
	.section	.text._ZN7rocprim17ROCPRIM_400000_NS6detail17trampoline_kernelINS0_13select_configILj256ELj13ELNS0_17block_load_methodE3ELS4_3ELS4_3ELNS0_20block_scan_algorithmE0ELj4294967295EEENS1_25partition_config_selectorILNS1_17partition_subalgoE3EjNS0_10empty_typeEbEEZZNS1_14partition_implILS8_3ELb0ES6_jNS0_17counting_iteratorIjlEEPS9_SE_NS0_5tupleIJPjSE_EEENSF_IJSE_SE_EEES9_SG_JZNS1_25segmented_radix_sort_implINS0_14default_configELb1EPK6__halfPSL_PKlPlN2at6native12_GLOBAL__N_18offset_tEEE10hipError_tPvRmT1_PNSt15iterator_traitsISZ_E10value_typeET2_T3_PNS10_IS15_E10value_typeET4_jRbjT5_S1B_jjP12ihipStream_tbEUljE_EEESW_SX_SY_S15_S19_S1B_T6_T7_T9_mT8_S1D_bDpT10_ENKUlT_T0_E_clISt17integral_constantIbLb0EES1P_IbLb1EEEEDaS1L_S1M_EUlS1L_E_NS1_11comp_targetILNS1_3genE4ELNS1_11target_archE910ELNS1_3gpuE8ELNS1_3repE0EEENS1_30default_config_static_selectorELNS0_4arch9wavefront6targetE0EEEvSZ_,"axG",@progbits,_ZN7rocprim17ROCPRIM_400000_NS6detail17trampoline_kernelINS0_13select_configILj256ELj13ELNS0_17block_load_methodE3ELS4_3ELS4_3ELNS0_20block_scan_algorithmE0ELj4294967295EEENS1_25partition_config_selectorILNS1_17partition_subalgoE3EjNS0_10empty_typeEbEEZZNS1_14partition_implILS8_3ELb0ES6_jNS0_17counting_iteratorIjlEEPS9_SE_NS0_5tupleIJPjSE_EEENSF_IJSE_SE_EEES9_SG_JZNS1_25segmented_radix_sort_implINS0_14default_configELb1EPK6__halfPSL_PKlPlN2at6native12_GLOBAL__N_18offset_tEEE10hipError_tPvRmT1_PNSt15iterator_traitsISZ_E10value_typeET2_T3_PNS10_IS15_E10value_typeET4_jRbjT5_S1B_jjP12ihipStream_tbEUljE_EEESW_SX_SY_S15_S19_S1B_T6_T7_T9_mT8_S1D_bDpT10_ENKUlT_T0_E_clISt17integral_constantIbLb0EES1P_IbLb1EEEEDaS1L_S1M_EUlS1L_E_NS1_11comp_targetILNS1_3genE4ELNS1_11target_archE910ELNS1_3gpuE8ELNS1_3repE0EEENS1_30default_config_static_selectorELNS0_4arch9wavefront6targetE0EEEvSZ_,comdat
.Lfunc_end1723:
	.size	_ZN7rocprim17ROCPRIM_400000_NS6detail17trampoline_kernelINS0_13select_configILj256ELj13ELNS0_17block_load_methodE3ELS4_3ELS4_3ELNS0_20block_scan_algorithmE0ELj4294967295EEENS1_25partition_config_selectorILNS1_17partition_subalgoE3EjNS0_10empty_typeEbEEZZNS1_14partition_implILS8_3ELb0ES6_jNS0_17counting_iteratorIjlEEPS9_SE_NS0_5tupleIJPjSE_EEENSF_IJSE_SE_EEES9_SG_JZNS1_25segmented_radix_sort_implINS0_14default_configELb1EPK6__halfPSL_PKlPlN2at6native12_GLOBAL__N_18offset_tEEE10hipError_tPvRmT1_PNSt15iterator_traitsISZ_E10value_typeET2_T3_PNS10_IS15_E10value_typeET4_jRbjT5_S1B_jjP12ihipStream_tbEUljE_EEESW_SX_SY_S15_S19_S1B_T6_T7_T9_mT8_S1D_bDpT10_ENKUlT_T0_E_clISt17integral_constantIbLb0EES1P_IbLb1EEEEDaS1L_S1M_EUlS1L_E_NS1_11comp_targetILNS1_3genE4ELNS1_11target_archE910ELNS1_3gpuE8ELNS1_3repE0EEENS1_30default_config_static_selectorELNS0_4arch9wavefront6targetE0EEEvSZ_, .Lfunc_end1723-_ZN7rocprim17ROCPRIM_400000_NS6detail17trampoline_kernelINS0_13select_configILj256ELj13ELNS0_17block_load_methodE3ELS4_3ELS4_3ELNS0_20block_scan_algorithmE0ELj4294967295EEENS1_25partition_config_selectorILNS1_17partition_subalgoE3EjNS0_10empty_typeEbEEZZNS1_14partition_implILS8_3ELb0ES6_jNS0_17counting_iteratorIjlEEPS9_SE_NS0_5tupleIJPjSE_EEENSF_IJSE_SE_EEES9_SG_JZNS1_25segmented_radix_sort_implINS0_14default_configELb1EPK6__halfPSL_PKlPlN2at6native12_GLOBAL__N_18offset_tEEE10hipError_tPvRmT1_PNSt15iterator_traitsISZ_E10value_typeET2_T3_PNS10_IS15_E10value_typeET4_jRbjT5_S1B_jjP12ihipStream_tbEUljE_EEESW_SX_SY_S15_S19_S1B_T6_T7_T9_mT8_S1D_bDpT10_ENKUlT_T0_E_clISt17integral_constantIbLb0EES1P_IbLb1EEEEDaS1L_S1M_EUlS1L_E_NS1_11comp_targetILNS1_3genE4ELNS1_11target_archE910ELNS1_3gpuE8ELNS1_3repE0EEENS1_30default_config_static_selectorELNS0_4arch9wavefront6targetE0EEEvSZ_
                                        ; -- End function
	.set _ZN7rocprim17ROCPRIM_400000_NS6detail17trampoline_kernelINS0_13select_configILj256ELj13ELNS0_17block_load_methodE3ELS4_3ELS4_3ELNS0_20block_scan_algorithmE0ELj4294967295EEENS1_25partition_config_selectorILNS1_17partition_subalgoE3EjNS0_10empty_typeEbEEZZNS1_14partition_implILS8_3ELb0ES6_jNS0_17counting_iteratorIjlEEPS9_SE_NS0_5tupleIJPjSE_EEENSF_IJSE_SE_EEES9_SG_JZNS1_25segmented_radix_sort_implINS0_14default_configELb1EPK6__halfPSL_PKlPlN2at6native12_GLOBAL__N_18offset_tEEE10hipError_tPvRmT1_PNSt15iterator_traitsISZ_E10value_typeET2_T3_PNS10_IS15_E10value_typeET4_jRbjT5_S1B_jjP12ihipStream_tbEUljE_EEESW_SX_SY_S15_S19_S1B_T6_T7_T9_mT8_S1D_bDpT10_ENKUlT_T0_E_clISt17integral_constantIbLb0EES1P_IbLb1EEEEDaS1L_S1M_EUlS1L_E_NS1_11comp_targetILNS1_3genE4ELNS1_11target_archE910ELNS1_3gpuE8ELNS1_3repE0EEENS1_30default_config_static_selectorELNS0_4arch9wavefront6targetE0EEEvSZ_.num_vgpr, 0
	.set _ZN7rocprim17ROCPRIM_400000_NS6detail17trampoline_kernelINS0_13select_configILj256ELj13ELNS0_17block_load_methodE3ELS4_3ELS4_3ELNS0_20block_scan_algorithmE0ELj4294967295EEENS1_25partition_config_selectorILNS1_17partition_subalgoE3EjNS0_10empty_typeEbEEZZNS1_14partition_implILS8_3ELb0ES6_jNS0_17counting_iteratorIjlEEPS9_SE_NS0_5tupleIJPjSE_EEENSF_IJSE_SE_EEES9_SG_JZNS1_25segmented_radix_sort_implINS0_14default_configELb1EPK6__halfPSL_PKlPlN2at6native12_GLOBAL__N_18offset_tEEE10hipError_tPvRmT1_PNSt15iterator_traitsISZ_E10value_typeET2_T3_PNS10_IS15_E10value_typeET4_jRbjT5_S1B_jjP12ihipStream_tbEUljE_EEESW_SX_SY_S15_S19_S1B_T6_T7_T9_mT8_S1D_bDpT10_ENKUlT_T0_E_clISt17integral_constantIbLb0EES1P_IbLb1EEEEDaS1L_S1M_EUlS1L_E_NS1_11comp_targetILNS1_3genE4ELNS1_11target_archE910ELNS1_3gpuE8ELNS1_3repE0EEENS1_30default_config_static_selectorELNS0_4arch9wavefront6targetE0EEEvSZ_.num_agpr, 0
	.set _ZN7rocprim17ROCPRIM_400000_NS6detail17trampoline_kernelINS0_13select_configILj256ELj13ELNS0_17block_load_methodE3ELS4_3ELS4_3ELNS0_20block_scan_algorithmE0ELj4294967295EEENS1_25partition_config_selectorILNS1_17partition_subalgoE3EjNS0_10empty_typeEbEEZZNS1_14partition_implILS8_3ELb0ES6_jNS0_17counting_iteratorIjlEEPS9_SE_NS0_5tupleIJPjSE_EEENSF_IJSE_SE_EEES9_SG_JZNS1_25segmented_radix_sort_implINS0_14default_configELb1EPK6__halfPSL_PKlPlN2at6native12_GLOBAL__N_18offset_tEEE10hipError_tPvRmT1_PNSt15iterator_traitsISZ_E10value_typeET2_T3_PNS10_IS15_E10value_typeET4_jRbjT5_S1B_jjP12ihipStream_tbEUljE_EEESW_SX_SY_S15_S19_S1B_T6_T7_T9_mT8_S1D_bDpT10_ENKUlT_T0_E_clISt17integral_constantIbLb0EES1P_IbLb1EEEEDaS1L_S1M_EUlS1L_E_NS1_11comp_targetILNS1_3genE4ELNS1_11target_archE910ELNS1_3gpuE8ELNS1_3repE0EEENS1_30default_config_static_selectorELNS0_4arch9wavefront6targetE0EEEvSZ_.numbered_sgpr, 0
	.set _ZN7rocprim17ROCPRIM_400000_NS6detail17trampoline_kernelINS0_13select_configILj256ELj13ELNS0_17block_load_methodE3ELS4_3ELS4_3ELNS0_20block_scan_algorithmE0ELj4294967295EEENS1_25partition_config_selectorILNS1_17partition_subalgoE3EjNS0_10empty_typeEbEEZZNS1_14partition_implILS8_3ELb0ES6_jNS0_17counting_iteratorIjlEEPS9_SE_NS0_5tupleIJPjSE_EEENSF_IJSE_SE_EEES9_SG_JZNS1_25segmented_radix_sort_implINS0_14default_configELb1EPK6__halfPSL_PKlPlN2at6native12_GLOBAL__N_18offset_tEEE10hipError_tPvRmT1_PNSt15iterator_traitsISZ_E10value_typeET2_T3_PNS10_IS15_E10value_typeET4_jRbjT5_S1B_jjP12ihipStream_tbEUljE_EEESW_SX_SY_S15_S19_S1B_T6_T7_T9_mT8_S1D_bDpT10_ENKUlT_T0_E_clISt17integral_constantIbLb0EES1P_IbLb1EEEEDaS1L_S1M_EUlS1L_E_NS1_11comp_targetILNS1_3genE4ELNS1_11target_archE910ELNS1_3gpuE8ELNS1_3repE0EEENS1_30default_config_static_selectorELNS0_4arch9wavefront6targetE0EEEvSZ_.num_named_barrier, 0
	.set _ZN7rocprim17ROCPRIM_400000_NS6detail17trampoline_kernelINS0_13select_configILj256ELj13ELNS0_17block_load_methodE3ELS4_3ELS4_3ELNS0_20block_scan_algorithmE0ELj4294967295EEENS1_25partition_config_selectorILNS1_17partition_subalgoE3EjNS0_10empty_typeEbEEZZNS1_14partition_implILS8_3ELb0ES6_jNS0_17counting_iteratorIjlEEPS9_SE_NS0_5tupleIJPjSE_EEENSF_IJSE_SE_EEES9_SG_JZNS1_25segmented_radix_sort_implINS0_14default_configELb1EPK6__halfPSL_PKlPlN2at6native12_GLOBAL__N_18offset_tEEE10hipError_tPvRmT1_PNSt15iterator_traitsISZ_E10value_typeET2_T3_PNS10_IS15_E10value_typeET4_jRbjT5_S1B_jjP12ihipStream_tbEUljE_EEESW_SX_SY_S15_S19_S1B_T6_T7_T9_mT8_S1D_bDpT10_ENKUlT_T0_E_clISt17integral_constantIbLb0EES1P_IbLb1EEEEDaS1L_S1M_EUlS1L_E_NS1_11comp_targetILNS1_3genE4ELNS1_11target_archE910ELNS1_3gpuE8ELNS1_3repE0EEENS1_30default_config_static_selectorELNS0_4arch9wavefront6targetE0EEEvSZ_.private_seg_size, 0
	.set _ZN7rocprim17ROCPRIM_400000_NS6detail17trampoline_kernelINS0_13select_configILj256ELj13ELNS0_17block_load_methodE3ELS4_3ELS4_3ELNS0_20block_scan_algorithmE0ELj4294967295EEENS1_25partition_config_selectorILNS1_17partition_subalgoE3EjNS0_10empty_typeEbEEZZNS1_14partition_implILS8_3ELb0ES6_jNS0_17counting_iteratorIjlEEPS9_SE_NS0_5tupleIJPjSE_EEENSF_IJSE_SE_EEES9_SG_JZNS1_25segmented_radix_sort_implINS0_14default_configELb1EPK6__halfPSL_PKlPlN2at6native12_GLOBAL__N_18offset_tEEE10hipError_tPvRmT1_PNSt15iterator_traitsISZ_E10value_typeET2_T3_PNS10_IS15_E10value_typeET4_jRbjT5_S1B_jjP12ihipStream_tbEUljE_EEESW_SX_SY_S15_S19_S1B_T6_T7_T9_mT8_S1D_bDpT10_ENKUlT_T0_E_clISt17integral_constantIbLb0EES1P_IbLb1EEEEDaS1L_S1M_EUlS1L_E_NS1_11comp_targetILNS1_3genE4ELNS1_11target_archE910ELNS1_3gpuE8ELNS1_3repE0EEENS1_30default_config_static_selectorELNS0_4arch9wavefront6targetE0EEEvSZ_.uses_vcc, 0
	.set _ZN7rocprim17ROCPRIM_400000_NS6detail17trampoline_kernelINS0_13select_configILj256ELj13ELNS0_17block_load_methodE3ELS4_3ELS4_3ELNS0_20block_scan_algorithmE0ELj4294967295EEENS1_25partition_config_selectorILNS1_17partition_subalgoE3EjNS0_10empty_typeEbEEZZNS1_14partition_implILS8_3ELb0ES6_jNS0_17counting_iteratorIjlEEPS9_SE_NS0_5tupleIJPjSE_EEENSF_IJSE_SE_EEES9_SG_JZNS1_25segmented_radix_sort_implINS0_14default_configELb1EPK6__halfPSL_PKlPlN2at6native12_GLOBAL__N_18offset_tEEE10hipError_tPvRmT1_PNSt15iterator_traitsISZ_E10value_typeET2_T3_PNS10_IS15_E10value_typeET4_jRbjT5_S1B_jjP12ihipStream_tbEUljE_EEESW_SX_SY_S15_S19_S1B_T6_T7_T9_mT8_S1D_bDpT10_ENKUlT_T0_E_clISt17integral_constantIbLb0EES1P_IbLb1EEEEDaS1L_S1M_EUlS1L_E_NS1_11comp_targetILNS1_3genE4ELNS1_11target_archE910ELNS1_3gpuE8ELNS1_3repE0EEENS1_30default_config_static_selectorELNS0_4arch9wavefront6targetE0EEEvSZ_.uses_flat_scratch, 0
	.set _ZN7rocprim17ROCPRIM_400000_NS6detail17trampoline_kernelINS0_13select_configILj256ELj13ELNS0_17block_load_methodE3ELS4_3ELS4_3ELNS0_20block_scan_algorithmE0ELj4294967295EEENS1_25partition_config_selectorILNS1_17partition_subalgoE3EjNS0_10empty_typeEbEEZZNS1_14partition_implILS8_3ELb0ES6_jNS0_17counting_iteratorIjlEEPS9_SE_NS0_5tupleIJPjSE_EEENSF_IJSE_SE_EEES9_SG_JZNS1_25segmented_radix_sort_implINS0_14default_configELb1EPK6__halfPSL_PKlPlN2at6native12_GLOBAL__N_18offset_tEEE10hipError_tPvRmT1_PNSt15iterator_traitsISZ_E10value_typeET2_T3_PNS10_IS15_E10value_typeET4_jRbjT5_S1B_jjP12ihipStream_tbEUljE_EEESW_SX_SY_S15_S19_S1B_T6_T7_T9_mT8_S1D_bDpT10_ENKUlT_T0_E_clISt17integral_constantIbLb0EES1P_IbLb1EEEEDaS1L_S1M_EUlS1L_E_NS1_11comp_targetILNS1_3genE4ELNS1_11target_archE910ELNS1_3gpuE8ELNS1_3repE0EEENS1_30default_config_static_selectorELNS0_4arch9wavefront6targetE0EEEvSZ_.has_dyn_sized_stack, 0
	.set _ZN7rocprim17ROCPRIM_400000_NS6detail17trampoline_kernelINS0_13select_configILj256ELj13ELNS0_17block_load_methodE3ELS4_3ELS4_3ELNS0_20block_scan_algorithmE0ELj4294967295EEENS1_25partition_config_selectorILNS1_17partition_subalgoE3EjNS0_10empty_typeEbEEZZNS1_14partition_implILS8_3ELb0ES6_jNS0_17counting_iteratorIjlEEPS9_SE_NS0_5tupleIJPjSE_EEENSF_IJSE_SE_EEES9_SG_JZNS1_25segmented_radix_sort_implINS0_14default_configELb1EPK6__halfPSL_PKlPlN2at6native12_GLOBAL__N_18offset_tEEE10hipError_tPvRmT1_PNSt15iterator_traitsISZ_E10value_typeET2_T3_PNS10_IS15_E10value_typeET4_jRbjT5_S1B_jjP12ihipStream_tbEUljE_EEESW_SX_SY_S15_S19_S1B_T6_T7_T9_mT8_S1D_bDpT10_ENKUlT_T0_E_clISt17integral_constantIbLb0EES1P_IbLb1EEEEDaS1L_S1M_EUlS1L_E_NS1_11comp_targetILNS1_3genE4ELNS1_11target_archE910ELNS1_3gpuE8ELNS1_3repE0EEENS1_30default_config_static_selectorELNS0_4arch9wavefront6targetE0EEEvSZ_.has_recursion, 0
	.set _ZN7rocprim17ROCPRIM_400000_NS6detail17trampoline_kernelINS0_13select_configILj256ELj13ELNS0_17block_load_methodE3ELS4_3ELS4_3ELNS0_20block_scan_algorithmE0ELj4294967295EEENS1_25partition_config_selectorILNS1_17partition_subalgoE3EjNS0_10empty_typeEbEEZZNS1_14partition_implILS8_3ELb0ES6_jNS0_17counting_iteratorIjlEEPS9_SE_NS0_5tupleIJPjSE_EEENSF_IJSE_SE_EEES9_SG_JZNS1_25segmented_radix_sort_implINS0_14default_configELb1EPK6__halfPSL_PKlPlN2at6native12_GLOBAL__N_18offset_tEEE10hipError_tPvRmT1_PNSt15iterator_traitsISZ_E10value_typeET2_T3_PNS10_IS15_E10value_typeET4_jRbjT5_S1B_jjP12ihipStream_tbEUljE_EEESW_SX_SY_S15_S19_S1B_T6_T7_T9_mT8_S1D_bDpT10_ENKUlT_T0_E_clISt17integral_constantIbLb0EES1P_IbLb1EEEEDaS1L_S1M_EUlS1L_E_NS1_11comp_targetILNS1_3genE4ELNS1_11target_archE910ELNS1_3gpuE8ELNS1_3repE0EEENS1_30default_config_static_selectorELNS0_4arch9wavefront6targetE0EEEvSZ_.has_indirect_call, 0
	.section	.AMDGPU.csdata,"",@progbits
; Kernel info:
; codeLenInByte = 0
; TotalNumSgprs: 0
; NumVgprs: 0
; ScratchSize: 0
; MemoryBound: 0
; FloatMode: 240
; IeeeMode: 1
; LDSByteSize: 0 bytes/workgroup (compile time only)
; SGPRBlocks: 0
; VGPRBlocks: 0
; NumSGPRsForWavesPerEU: 1
; NumVGPRsForWavesPerEU: 1
; NamedBarCnt: 0
; Occupancy: 16
; WaveLimiterHint : 0
; COMPUTE_PGM_RSRC2:SCRATCH_EN: 0
; COMPUTE_PGM_RSRC2:USER_SGPR: 2
; COMPUTE_PGM_RSRC2:TRAP_HANDLER: 0
; COMPUTE_PGM_RSRC2:TGID_X_EN: 1
; COMPUTE_PGM_RSRC2:TGID_Y_EN: 0
; COMPUTE_PGM_RSRC2:TGID_Z_EN: 0
; COMPUTE_PGM_RSRC2:TIDIG_COMP_CNT: 0
	.section	.text._ZN7rocprim17ROCPRIM_400000_NS6detail17trampoline_kernelINS0_13select_configILj256ELj13ELNS0_17block_load_methodE3ELS4_3ELS4_3ELNS0_20block_scan_algorithmE0ELj4294967295EEENS1_25partition_config_selectorILNS1_17partition_subalgoE3EjNS0_10empty_typeEbEEZZNS1_14partition_implILS8_3ELb0ES6_jNS0_17counting_iteratorIjlEEPS9_SE_NS0_5tupleIJPjSE_EEENSF_IJSE_SE_EEES9_SG_JZNS1_25segmented_radix_sort_implINS0_14default_configELb1EPK6__halfPSL_PKlPlN2at6native12_GLOBAL__N_18offset_tEEE10hipError_tPvRmT1_PNSt15iterator_traitsISZ_E10value_typeET2_T3_PNS10_IS15_E10value_typeET4_jRbjT5_S1B_jjP12ihipStream_tbEUljE_EEESW_SX_SY_S15_S19_S1B_T6_T7_T9_mT8_S1D_bDpT10_ENKUlT_T0_E_clISt17integral_constantIbLb0EES1P_IbLb1EEEEDaS1L_S1M_EUlS1L_E_NS1_11comp_targetILNS1_3genE3ELNS1_11target_archE908ELNS1_3gpuE7ELNS1_3repE0EEENS1_30default_config_static_selectorELNS0_4arch9wavefront6targetE0EEEvSZ_,"axG",@progbits,_ZN7rocprim17ROCPRIM_400000_NS6detail17trampoline_kernelINS0_13select_configILj256ELj13ELNS0_17block_load_methodE3ELS4_3ELS4_3ELNS0_20block_scan_algorithmE0ELj4294967295EEENS1_25partition_config_selectorILNS1_17partition_subalgoE3EjNS0_10empty_typeEbEEZZNS1_14partition_implILS8_3ELb0ES6_jNS0_17counting_iteratorIjlEEPS9_SE_NS0_5tupleIJPjSE_EEENSF_IJSE_SE_EEES9_SG_JZNS1_25segmented_radix_sort_implINS0_14default_configELb1EPK6__halfPSL_PKlPlN2at6native12_GLOBAL__N_18offset_tEEE10hipError_tPvRmT1_PNSt15iterator_traitsISZ_E10value_typeET2_T3_PNS10_IS15_E10value_typeET4_jRbjT5_S1B_jjP12ihipStream_tbEUljE_EEESW_SX_SY_S15_S19_S1B_T6_T7_T9_mT8_S1D_bDpT10_ENKUlT_T0_E_clISt17integral_constantIbLb0EES1P_IbLb1EEEEDaS1L_S1M_EUlS1L_E_NS1_11comp_targetILNS1_3genE3ELNS1_11target_archE908ELNS1_3gpuE7ELNS1_3repE0EEENS1_30default_config_static_selectorELNS0_4arch9wavefront6targetE0EEEvSZ_,comdat
	.globl	_ZN7rocprim17ROCPRIM_400000_NS6detail17trampoline_kernelINS0_13select_configILj256ELj13ELNS0_17block_load_methodE3ELS4_3ELS4_3ELNS0_20block_scan_algorithmE0ELj4294967295EEENS1_25partition_config_selectorILNS1_17partition_subalgoE3EjNS0_10empty_typeEbEEZZNS1_14partition_implILS8_3ELb0ES6_jNS0_17counting_iteratorIjlEEPS9_SE_NS0_5tupleIJPjSE_EEENSF_IJSE_SE_EEES9_SG_JZNS1_25segmented_radix_sort_implINS0_14default_configELb1EPK6__halfPSL_PKlPlN2at6native12_GLOBAL__N_18offset_tEEE10hipError_tPvRmT1_PNSt15iterator_traitsISZ_E10value_typeET2_T3_PNS10_IS15_E10value_typeET4_jRbjT5_S1B_jjP12ihipStream_tbEUljE_EEESW_SX_SY_S15_S19_S1B_T6_T7_T9_mT8_S1D_bDpT10_ENKUlT_T0_E_clISt17integral_constantIbLb0EES1P_IbLb1EEEEDaS1L_S1M_EUlS1L_E_NS1_11comp_targetILNS1_3genE3ELNS1_11target_archE908ELNS1_3gpuE7ELNS1_3repE0EEENS1_30default_config_static_selectorELNS0_4arch9wavefront6targetE0EEEvSZ_ ; -- Begin function _ZN7rocprim17ROCPRIM_400000_NS6detail17trampoline_kernelINS0_13select_configILj256ELj13ELNS0_17block_load_methodE3ELS4_3ELS4_3ELNS0_20block_scan_algorithmE0ELj4294967295EEENS1_25partition_config_selectorILNS1_17partition_subalgoE3EjNS0_10empty_typeEbEEZZNS1_14partition_implILS8_3ELb0ES6_jNS0_17counting_iteratorIjlEEPS9_SE_NS0_5tupleIJPjSE_EEENSF_IJSE_SE_EEES9_SG_JZNS1_25segmented_radix_sort_implINS0_14default_configELb1EPK6__halfPSL_PKlPlN2at6native12_GLOBAL__N_18offset_tEEE10hipError_tPvRmT1_PNSt15iterator_traitsISZ_E10value_typeET2_T3_PNS10_IS15_E10value_typeET4_jRbjT5_S1B_jjP12ihipStream_tbEUljE_EEESW_SX_SY_S15_S19_S1B_T6_T7_T9_mT8_S1D_bDpT10_ENKUlT_T0_E_clISt17integral_constantIbLb0EES1P_IbLb1EEEEDaS1L_S1M_EUlS1L_E_NS1_11comp_targetILNS1_3genE3ELNS1_11target_archE908ELNS1_3gpuE7ELNS1_3repE0EEENS1_30default_config_static_selectorELNS0_4arch9wavefront6targetE0EEEvSZ_
	.p2align	8
	.type	_ZN7rocprim17ROCPRIM_400000_NS6detail17trampoline_kernelINS0_13select_configILj256ELj13ELNS0_17block_load_methodE3ELS4_3ELS4_3ELNS0_20block_scan_algorithmE0ELj4294967295EEENS1_25partition_config_selectorILNS1_17partition_subalgoE3EjNS0_10empty_typeEbEEZZNS1_14partition_implILS8_3ELb0ES6_jNS0_17counting_iteratorIjlEEPS9_SE_NS0_5tupleIJPjSE_EEENSF_IJSE_SE_EEES9_SG_JZNS1_25segmented_radix_sort_implINS0_14default_configELb1EPK6__halfPSL_PKlPlN2at6native12_GLOBAL__N_18offset_tEEE10hipError_tPvRmT1_PNSt15iterator_traitsISZ_E10value_typeET2_T3_PNS10_IS15_E10value_typeET4_jRbjT5_S1B_jjP12ihipStream_tbEUljE_EEESW_SX_SY_S15_S19_S1B_T6_T7_T9_mT8_S1D_bDpT10_ENKUlT_T0_E_clISt17integral_constantIbLb0EES1P_IbLb1EEEEDaS1L_S1M_EUlS1L_E_NS1_11comp_targetILNS1_3genE3ELNS1_11target_archE908ELNS1_3gpuE7ELNS1_3repE0EEENS1_30default_config_static_selectorELNS0_4arch9wavefront6targetE0EEEvSZ_,@function
_ZN7rocprim17ROCPRIM_400000_NS6detail17trampoline_kernelINS0_13select_configILj256ELj13ELNS0_17block_load_methodE3ELS4_3ELS4_3ELNS0_20block_scan_algorithmE0ELj4294967295EEENS1_25partition_config_selectorILNS1_17partition_subalgoE3EjNS0_10empty_typeEbEEZZNS1_14partition_implILS8_3ELb0ES6_jNS0_17counting_iteratorIjlEEPS9_SE_NS0_5tupleIJPjSE_EEENSF_IJSE_SE_EEES9_SG_JZNS1_25segmented_radix_sort_implINS0_14default_configELb1EPK6__halfPSL_PKlPlN2at6native12_GLOBAL__N_18offset_tEEE10hipError_tPvRmT1_PNSt15iterator_traitsISZ_E10value_typeET2_T3_PNS10_IS15_E10value_typeET4_jRbjT5_S1B_jjP12ihipStream_tbEUljE_EEESW_SX_SY_S15_S19_S1B_T6_T7_T9_mT8_S1D_bDpT10_ENKUlT_T0_E_clISt17integral_constantIbLb0EES1P_IbLb1EEEEDaS1L_S1M_EUlS1L_E_NS1_11comp_targetILNS1_3genE3ELNS1_11target_archE908ELNS1_3gpuE7ELNS1_3repE0EEENS1_30default_config_static_selectorELNS0_4arch9wavefront6targetE0EEEvSZ_: ; @_ZN7rocprim17ROCPRIM_400000_NS6detail17trampoline_kernelINS0_13select_configILj256ELj13ELNS0_17block_load_methodE3ELS4_3ELS4_3ELNS0_20block_scan_algorithmE0ELj4294967295EEENS1_25partition_config_selectorILNS1_17partition_subalgoE3EjNS0_10empty_typeEbEEZZNS1_14partition_implILS8_3ELb0ES6_jNS0_17counting_iteratorIjlEEPS9_SE_NS0_5tupleIJPjSE_EEENSF_IJSE_SE_EEES9_SG_JZNS1_25segmented_radix_sort_implINS0_14default_configELb1EPK6__halfPSL_PKlPlN2at6native12_GLOBAL__N_18offset_tEEE10hipError_tPvRmT1_PNSt15iterator_traitsISZ_E10value_typeET2_T3_PNS10_IS15_E10value_typeET4_jRbjT5_S1B_jjP12ihipStream_tbEUljE_EEESW_SX_SY_S15_S19_S1B_T6_T7_T9_mT8_S1D_bDpT10_ENKUlT_T0_E_clISt17integral_constantIbLb0EES1P_IbLb1EEEEDaS1L_S1M_EUlS1L_E_NS1_11comp_targetILNS1_3genE3ELNS1_11target_archE908ELNS1_3gpuE7ELNS1_3repE0EEENS1_30default_config_static_selectorELNS0_4arch9wavefront6targetE0EEEvSZ_
; %bb.0:
	.section	.rodata,"a",@progbits
	.p2align	6, 0x0
	.amdhsa_kernel _ZN7rocprim17ROCPRIM_400000_NS6detail17trampoline_kernelINS0_13select_configILj256ELj13ELNS0_17block_load_methodE3ELS4_3ELS4_3ELNS0_20block_scan_algorithmE0ELj4294967295EEENS1_25partition_config_selectorILNS1_17partition_subalgoE3EjNS0_10empty_typeEbEEZZNS1_14partition_implILS8_3ELb0ES6_jNS0_17counting_iteratorIjlEEPS9_SE_NS0_5tupleIJPjSE_EEENSF_IJSE_SE_EEES9_SG_JZNS1_25segmented_radix_sort_implINS0_14default_configELb1EPK6__halfPSL_PKlPlN2at6native12_GLOBAL__N_18offset_tEEE10hipError_tPvRmT1_PNSt15iterator_traitsISZ_E10value_typeET2_T3_PNS10_IS15_E10value_typeET4_jRbjT5_S1B_jjP12ihipStream_tbEUljE_EEESW_SX_SY_S15_S19_S1B_T6_T7_T9_mT8_S1D_bDpT10_ENKUlT_T0_E_clISt17integral_constantIbLb0EES1P_IbLb1EEEEDaS1L_S1M_EUlS1L_E_NS1_11comp_targetILNS1_3genE3ELNS1_11target_archE908ELNS1_3gpuE7ELNS1_3repE0EEENS1_30default_config_static_selectorELNS0_4arch9wavefront6targetE0EEEvSZ_
		.amdhsa_group_segment_fixed_size 0
		.amdhsa_private_segment_fixed_size 0
		.amdhsa_kernarg_size 152
		.amdhsa_user_sgpr_count 2
		.amdhsa_user_sgpr_dispatch_ptr 0
		.amdhsa_user_sgpr_queue_ptr 0
		.amdhsa_user_sgpr_kernarg_segment_ptr 1
		.amdhsa_user_sgpr_dispatch_id 0
		.amdhsa_user_sgpr_kernarg_preload_length 0
		.amdhsa_user_sgpr_kernarg_preload_offset 0
		.amdhsa_user_sgpr_private_segment_size 0
		.amdhsa_wavefront_size32 1
		.amdhsa_uses_dynamic_stack 0
		.amdhsa_enable_private_segment 0
		.amdhsa_system_sgpr_workgroup_id_x 1
		.amdhsa_system_sgpr_workgroup_id_y 0
		.amdhsa_system_sgpr_workgroup_id_z 0
		.amdhsa_system_sgpr_workgroup_info 0
		.amdhsa_system_vgpr_workitem_id 0
		.amdhsa_next_free_vgpr 1
		.amdhsa_next_free_sgpr 1
		.amdhsa_named_barrier_count 0
		.amdhsa_reserve_vcc 0
		.amdhsa_float_round_mode_32 0
		.amdhsa_float_round_mode_16_64 0
		.amdhsa_float_denorm_mode_32 3
		.amdhsa_float_denorm_mode_16_64 3
		.amdhsa_fp16_overflow 0
		.amdhsa_memory_ordered 1
		.amdhsa_forward_progress 1
		.amdhsa_inst_pref_size 0
		.amdhsa_round_robin_scheduling 0
		.amdhsa_exception_fp_ieee_invalid_op 0
		.amdhsa_exception_fp_denorm_src 0
		.amdhsa_exception_fp_ieee_div_zero 0
		.amdhsa_exception_fp_ieee_overflow 0
		.amdhsa_exception_fp_ieee_underflow 0
		.amdhsa_exception_fp_ieee_inexact 0
		.amdhsa_exception_int_div_zero 0
	.end_amdhsa_kernel
	.section	.text._ZN7rocprim17ROCPRIM_400000_NS6detail17trampoline_kernelINS0_13select_configILj256ELj13ELNS0_17block_load_methodE3ELS4_3ELS4_3ELNS0_20block_scan_algorithmE0ELj4294967295EEENS1_25partition_config_selectorILNS1_17partition_subalgoE3EjNS0_10empty_typeEbEEZZNS1_14partition_implILS8_3ELb0ES6_jNS0_17counting_iteratorIjlEEPS9_SE_NS0_5tupleIJPjSE_EEENSF_IJSE_SE_EEES9_SG_JZNS1_25segmented_radix_sort_implINS0_14default_configELb1EPK6__halfPSL_PKlPlN2at6native12_GLOBAL__N_18offset_tEEE10hipError_tPvRmT1_PNSt15iterator_traitsISZ_E10value_typeET2_T3_PNS10_IS15_E10value_typeET4_jRbjT5_S1B_jjP12ihipStream_tbEUljE_EEESW_SX_SY_S15_S19_S1B_T6_T7_T9_mT8_S1D_bDpT10_ENKUlT_T0_E_clISt17integral_constantIbLb0EES1P_IbLb1EEEEDaS1L_S1M_EUlS1L_E_NS1_11comp_targetILNS1_3genE3ELNS1_11target_archE908ELNS1_3gpuE7ELNS1_3repE0EEENS1_30default_config_static_selectorELNS0_4arch9wavefront6targetE0EEEvSZ_,"axG",@progbits,_ZN7rocprim17ROCPRIM_400000_NS6detail17trampoline_kernelINS0_13select_configILj256ELj13ELNS0_17block_load_methodE3ELS4_3ELS4_3ELNS0_20block_scan_algorithmE0ELj4294967295EEENS1_25partition_config_selectorILNS1_17partition_subalgoE3EjNS0_10empty_typeEbEEZZNS1_14partition_implILS8_3ELb0ES6_jNS0_17counting_iteratorIjlEEPS9_SE_NS0_5tupleIJPjSE_EEENSF_IJSE_SE_EEES9_SG_JZNS1_25segmented_radix_sort_implINS0_14default_configELb1EPK6__halfPSL_PKlPlN2at6native12_GLOBAL__N_18offset_tEEE10hipError_tPvRmT1_PNSt15iterator_traitsISZ_E10value_typeET2_T3_PNS10_IS15_E10value_typeET4_jRbjT5_S1B_jjP12ihipStream_tbEUljE_EEESW_SX_SY_S15_S19_S1B_T6_T7_T9_mT8_S1D_bDpT10_ENKUlT_T0_E_clISt17integral_constantIbLb0EES1P_IbLb1EEEEDaS1L_S1M_EUlS1L_E_NS1_11comp_targetILNS1_3genE3ELNS1_11target_archE908ELNS1_3gpuE7ELNS1_3repE0EEENS1_30default_config_static_selectorELNS0_4arch9wavefront6targetE0EEEvSZ_,comdat
.Lfunc_end1724:
	.size	_ZN7rocprim17ROCPRIM_400000_NS6detail17trampoline_kernelINS0_13select_configILj256ELj13ELNS0_17block_load_methodE3ELS4_3ELS4_3ELNS0_20block_scan_algorithmE0ELj4294967295EEENS1_25partition_config_selectorILNS1_17partition_subalgoE3EjNS0_10empty_typeEbEEZZNS1_14partition_implILS8_3ELb0ES6_jNS0_17counting_iteratorIjlEEPS9_SE_NS0_5tupleIJPjSE_EEENSF_IJSE_SE_EEES9_SG_JZNS1_25segmented_radix_sort_implINS0_14default_configELb1EPK6__halfPSL_PKlPlN2at6native12_GLOBAL__N_18offset_tEEE10hipError_tPvRmT1_PNSt15iterator_traitsISZ_E10value_typeET2_T3_PNS10_IS15_E10value_typeET4_jRbjT5_S1B_jjP12ihipStream_tbEUljE_EEESW_SX_SY_S15_S19_S1B_T6_T7_T9_mT8_S1D_bDpT10_ENKUlT_T0_E_clISt17integral_constantIbLb0EES1P_IbLb1EEEEDaS1L_S1M_EUlS1L_E_NS1_11comp_targetILNS1_3genE3ELNS1_11target_archE908ELNS1_3gpuE7ELNS1_3repE0EEENS1_30default_config_static_selectorELNS0_4arch9wavefront6targetE0EEEvSZ_, .Lfunc_end1724-_ZN7rocprim17ROCPRIM_400000_NS6detail17trampoline_kernelINS0_13select_configILj256ELj13ELNS0_17block_load_methodE3ELS4_3ELS4_3ELNS0_20block_scan_algorithmE0ELj4294967295EEENS1_25partition_config_selectorILNS1_17partition_subalgoE3EjNS0_10empty_typeEbEEZZNS1_14partition_implILS8_3ELb0ES6_jNS0_17counting_iteratorIjlEEPS9_SE_NS0_5tupleIJPjSE_EEENSF_IJSE_SE_EEES9_SG_JZNS1_25segmented_radix_sort_implINS0_14default_configELb1EPK6__halfPSL_PKlPlN2at6native12_GLOBAL__N_18offset_tEEE10hipError_tPvRmT1_PNSt15iterator_traitsISZ_E10value_typeET2_T3_PNS10_IS15_E10value_typeET4_jRbjT5_S1B_jjP12ihipStream_tbEUljE_EEESW_SX_SY_S15_S19_S1B_T6_T7_T9_mT8_S1D_bDpT10_ENKUlT_T0_E_clISt17integral_constantIbLb0EES1P_IbLb1EEEEDaS1L_S1M_EUlS1L_E_NS1_11comp_targetILNS1_3genE3ELNS1_11target_archE908ELNS1_3gpuE7ELNS1_3repE0EEENS1_30default_config_static_selectorELNS0_4arch9wavefront6targetE0EEEvSZ_
                                        ; -- End function
	.set _ZN7rocprim17ROCPRIM_400000_NS6detail17trampoline_kernelINS0_13select_configILj256ELj13ELNS0_17block_load_methodE3ELS4_3ELS4_3ELNS0_20block_scan_algorithmE0ELj4294967295EEENS1_25partition_config_selectorILNS1_17partition_subalgoE3EjNS0_10empty_typeEbEEZZNS1_14partition_implILS8_3ELb0ES6_jNS0_17counting_iteratorIjlEEPS9_SE_NS0_5tupleIJPjSE_EEENSF_IJSE_SE_EEES9_SG_JZNS1_25segmented_radix_sort_implINS0_14default_configELb1EPK6__halfPSL_PKlPlN2at6native12_GLOBAL__N_18offset_tEEE10hipError_tPvRmT1_PNSt15iterator_traitsISZ_E10value_typeET2_T3_PNS10_IS15_E10value_typeET4_jRbjT5_S1B_jjP12ihipStream_tbEUljE_EEESW_SX_SY_S15_S19_S1B_T6_T7_T9_mT8_S1D_bDpT10_ENKUlT_T0_E_clISt17integral_constantIbLb0EES1P_IbLb1EEEEDaS1L_S1M_EUlS1L_E_NS1_11comp_targetILNS1_3genE3ELNS1_11target_archE908ELNS1_3gpuE7ELNS1_3repE0EEENS1_30default_config_static_selectorELNS0_4arch9wavefront6targetE0EEEvSZ_.num_vgpr, 0
	.set _ZN7rocprim17ROCPRIM_400000_NS6detail17trampoline_kernelINS0_13select_configILj256ELj13ELNS0_17block_load_methodE3ELS4_3ELS4_3ELNS0_20block_scan_algorithmE0ELj4294967295EEENS1_25partition_config_selectorILNS1_17partition_subalgoE3EjNS0_10empty_typeEbEEZZNS1_14partition_implILS8_3ELb0ES6_jNS0_17counting_iteratorIjlEEPS9_SE_NS0_5tupleIJPjSE_EEENSF_IJSE_SE_EEES9_SG_JZNS1_25segmented_radix_sort_implINS0_14default_configELb1EPK6__halfPSL_PKlPlN2at6native12_GLOBAL__N_18offset_tEEE10hipError_tPvRmT1_PNSt15iterator_traitsISZ_E10value_typeET2_T3_PNS10_IS15_E10value_typeET4_jRbjT5_S1B_jjP12ihipStream_tbEUljE_EEESW_SX_SY_S15_S19_S1B_T6_T7_T9_mT8_S1D_bDpT10_ENKUlT_T0_E_clISt17integral_constantIbLb0EES1P_IbLb1EEEEDaS1L_S1M_EUlS1L_E_NS1_11comp_targetILNS1_3genE3ELNS1_11target_archE908ELNS1_3gpuE7ELNS1_3repE0EEENS1_30default_config_static_selectorELNS0_4arch9wavefront6targetE0EEEvSZ_.num_agpr, 0
	.set _ZN7rocprim17ROCPRIM_400000_NS6detail17trampoline_kernelINS0_13select_configILj256ELj13ELNS0_17block_load_methodE3ELS4_3ELS4_3ELNS0_20block_scan_algorithmE0ELj4294967295EEENS1_25partition_config_selectorILNS1_17partition_subalgoE3EjNS0_10empty_typeEbEEZZNS1_14partition_implILS8_3ELb0ES6_jNS0_17counting_iteratorIjlEEPS9_SE_NS0_5tupleIJPjSE_EEENSF_IJSE_SE_EEES9_SG_JZNS1_25segmented_radix_sort_implINS0_14default_configELb1EPK6__halfPSL_PKlPlN2at6native12_GLOBAL__N_18offset_tEEE10hipError_tPvRmT1_PNSt15iterator_traitsISZ_E10value_typeET2_T3_PNS10_IS15_E10value_typeET4_jRbjT5_S1B_jjP12ihipStream_tbEUljE_EEESW_SX_SY_S15_S19_S1B_T6_T7_T9_mT8_S1D_bDpT10_ENKUlT_T0_E_clISt17integral_constantIbLb0EES1P_IbLb1EEEEDaS1L_S1M_EUlS1L_E_NS1_11comp_targetILNS1_3genE3ELNS1_11target_archE908ELNS1_3gpuE7ELNS1_3repE0EEENS1_30default_config_static_selectorELNS0_4arch9wavefront6targetE0EEEvSZ_.numbered_sgpr, 0
	.set _ZN7rocprim17ROCPRIM_400000_NS6detail17trampoline_kernelINS0_13select_configILj256ELj13ELNS0_17block_load_methodE3ELS4_3ELS4_3ELNS0_20block_scan_algorithmE0ELj4294967295EEENS1_25partition_config_selectorILNS1_17partition_subalgoE3EjNS0_10empty_typeEbEEZZNS1_14partition_implILS8_3ELb0ES6_jNS0_17counting_iteratorIjlEEPS9_SE_NS0_5tupleIJPjSE_EEENSF_IJSE_SE_EEES9_SG_JZNS1_25segmented_radix_sort_implINS0_14default_configELb1EPK6__halfPSL_PKlPlN2at6native12_GLOBAL__N_18offset_tEEE10hipError_tPvRmT1_PNSt15iterator_traitsISZ_E10value_typeET2_T3_PNS10_IS15_E10value_typeET4_jRbjT5_S1B_jjP12ihipStream_tbEUljE_EEESW_SX_SY_S15_S19_S1B_T6_T7_T9_mT8_S1D_bDpT10_ENKUlT_T0_E_clISt17integral_constantIbLb0EES1P_IbLb1EEEEDaS1L_S1M_EUlS1L_E_NS1_11comp_targetILNS1_3genE3ELNS1_11target_archE908ELNS1_3gpuE7ELNS1_3repE0EEENS1_30default_config_static_selectorELNS0_4arch9wavefront6targetE0EEEvSZ_.num_named_barrier, 0
	.set _ZN7rocprim17ROCPRIM_400000_NS6detail17trampoline_kernelINS0_13select_configILj256ELj13ELNS0_17block_load_methodE3ELS4_3ELS4_3ELNS0_20block_scan_algorithmE0ELj4294967295EEENS1_25partition_config_selectorILNS1_17partition_subalgoE3EjNS0_10empty_typeEbEEZZNS1_14partition_implILS8_3ELb0ES6_jNS0_17counting_iteratorIjlEEPS9_SE_NS0_5tupleIJPjSE_EEENSF_IJSE_SE_EEES9_SG_JZNS1_25segmented_radix_sort_implINS0_14default_configELb1EPK6__halfPSL_PKlPlN2at6native12_GLOBAL__N_18offset_tEEE10hipError_tPvRmT1_PNSt15iterator_traitsISZ_E10value_typeET2_T3_PNS10_IS15_E10value_typeET4_jRbjT5_S1B_jjP12ihipStream_tbEUljE_EEESW_SX_SY_S15_S19_S1B_T6_T7_T9_mT8_S1D_bDpT10_ENKUlT_T0_E_clISt17integral_constantIbLb0EES1P_IbLb1EEEEDaS1L_S1M_EUlS1L_E_NS1_11comp_targetILNS1_3genE3ELNS1_11target_archE908ELNS1_3gpuE7ELNS1_3repE0EEENS1_30default_config_static_selectorELNS0_4arch9wavefront6targetE0EEEvSZ_.private_seg_size, 0
	.set _ZN7rocprim17ROCPRIM_400000_NS6detail17trampoline_kernelINS0_13select_configILj256ELj13ELNS0_17block_load_methodE3ELS4_3ELS4_3ELNS0_20block_scan_algorithmE0ELj4294967295EEENS1_25partition_config_selectorILNS1_17partition_subalgoE3EjNS0_10empty_typeEbEEZZNS1_14partition_implILS8_3ELb0ES6_jNS0_17counting_iteratorIjlEEPS9_SE_NS0_5tupleIJPjSE_EEENSF_IJSE_SE_EEES9_SG_JZNS1_25segmented_radix_sort_implINS0_14default_configELb1EPK6__halfPSL_PKlPlN2at6native12_GLOBAL__N_18offset_tEEE10hipError_tPvRmT1_PNSt15iterator_traitsISZ_E10value_typeET2_T3_PNS10_IS15_E10value_typeET4_jRbjT5_S1B_jjP12ihipStream_tbEUljE_EEESW_SX_SY_S15_S19_S1B_T6_T7_T9_mT8_S1D_bDpT10_ENKUlT_T0_E_clISt17integral_constantIbLb0EES1P_IbLb1EEEEDaS1L_S1M_EUlS1L_E_NS1_11comp_targetILNS1_3genE3ELNS1_11target_archE908ELNS1_3gpuE7ELNS1_3repE0EEENS1_30default_config_static_selectorELNS0_4arch9wavefront6targetE0EEEvSZ_.uses_vcc, 0
	.set _ZN7rocprim17ROCPRIM_400000_NS6detail17trampoline_kernelINS0_13select_configILj256ELj13ELNS0_17block_load_methodE3ELS4_3ELS4_3ELNS0_20block_scan_algorithmE0ELj4294967295EEENS1_25partition_config_selectorILNS1_17partition_subalgoE3EjNS0_10empty_typeEbEEZZNS1_14partition_implILS8_3ELb0ES6_jNS0_17counting_iteratorIjlEEPS9_SE_NS0_5tupleIJPjSE_EEENSF_IJSE_SE_EEES9_SG_JZNS1_25segmented_radix_sort_implINS0_14default_configELb1EPK6__halfPSL_PKlPlN2at6native12_GLOBAL__N_18offset_tEEE10hipError_tPvRmT1_PNSt15iterator_traitsISZ_E10value_typeET2_T3_PNS10_IS15_E10value_typeET4_jRbjT5_S1B_jjP12ihipStream_tbEUljE_EEESW_SX_SY_S15_S19_S1B_T6_T7_T9_mT8_S1D_bDpT10_ENKUlT_T0_E_clISt17integral_constantIbLb0EES1P_IbLb1EEEEDaS1L_S1M_EUlS1L_E_NS1_11comp_targetILNS1_3genE3ELNS1_11target_archE908ELNS1_3gpuE7ELNS1_3repE0EEENS1_30default_config_static_selectorELNS0_4arch9wavefront6targetE0EEEvSZ_.uses_flat_scratch, 0
	.set _ZN7rocprim17ROCPRIM_400000_NS6detail17trampoline_kernelINS0_13select_configILj256ELj13ELNS0_17block_load_methodE3ELS4_3ELS4_3ELNS0_20block_scan_algorithmE0ELj4294967295EEENS1_25partition_config_selectorILNS1_17partition_subalgoE3EjNS0_10empty_typeEbEEZZNS1_14partition_implILS8_3ELb0ES6_jNS0_17counting_iteratorIjlEEPS9_SE_NS0_5tupleIJPjSE_EEENSF_IJSE_SE_EEES9_SG_JZNS1_25segmented_radix_sort_implINS0_14default_configELb1EPK6__halfPSL_PKlPlN2at6native12_GLOBAL__N_18offset_tEEE10hipError_tPvRmT1_PNSt15iterator_traitsISZ_E10value_typeET2_T3_PNS10_IS15_E10value_typeET4_jRbjT5_S1B_jjP12ihipStream_tbEUljE_EEESW_SX_SY_S15_S19_S1B_T6_T7_T9_mT8_S1D_bDpT10_ENKUlT_T0_E_clISt17integral_constantIbLb0EES1P_IbLb1EEEEDaS1L_S1M_EUlS1L_E_NS1_11comp_targetILNS1_3genE3ELNS1_11target_archE908ELNS1_3gpuE7ELNS1_3repE0EEENS1_30default_config_static_selectorELNS0_4arch9wavefront6targetE0EEEvSZ_.has_dyn_sized_stack, 0
	.set _ZN7rocprim17ROCPRIM_400000_NS6detail17trampoline_kernelINS0_13select_configILj256ELj13ELNS0_17block_load_methodE3ELS4_3ELS4_3ELNS0_20block_scan_algorithmE0ELj4294967295EEENS1_25partition_config_selectorILNS1_17partition_subalgoE3EjNS0_10empty_typeEbEEZZNS1_14partition_implILS8_3ELb0ES6_jNS0_17counting_iteratorIjlEEPS9_SE_NS0_5tupleIJPjSE_EEENSF_IJSE_SE_EEES9_SG_JZNS1_25segmented_radix_sort_implINS0_14default_configELb1EPK6__halfPSL_PKlPlN2at6native12_GLOBAL__N_18offset_tEEE10hipError_tPvRmT1_PNSt15iterator_traitsISZ_E10value_typeET2_T3_PNS10_IS15_E10value_typeET4_jRbjT5_S1B_jjP12ihipStream_tbEUljE_EEESW_SX_SY_S15_S19_S1B_T6_T7_T9_mT8_S1D_bDpT10_ENKUlT_T0_E_clISt17integral_constantIbLb0EES1P_IbLb1EEEEDaS1L_S1M_EUlS1L_E_NS1_11comp_targetILNS1_3genE3ELNS1_11target_archE908ELNS1_3gpuE7ELNS1_3repE0EEENS1_30default_config_static_selectorELNS0_4arch9wavefront6targetE0EEEvSZ_.has_recursion, 0
	.set _ZN7rocprim17ROCPRIM_400000_NS6detail17trampoline_kernelINS0_13select_configILj256ELj13ELNS0_17block_load_methodE3ELS4_3ELS4_3ELNS0_20block_scan_algorithmE0ELj4294967295EEENS1_25partition_config_selectorILNS1_17partition_subalgoE3EjNS0_10empty_typeEbEEZZNS1_14partition_implILS8_3ELb0ES6_jNS0_17counting_iteratorIjlEEPS9_SE_NS0_5tupleIJPjSE_EEENSF_IJSE_SE_EEES9_SG_JZNS1_25segmented_radix_sort_implINS0_14default_configELb1EPK6__halfPSL_PKlPlN2at6native12_GLOBAL__N_18offset_tEEE10hipError_tPvRmT1_PNSt15iterator_traitsISZ_E10value_typeET2_T3_PNS10_IS15_E10value_typeET4_jRbjT5_S1B_jjP12ihipStream_tbEUljE_EEESW_SX_SY_S15_S19_S1B_T6_T7_T9_mT8_S1D_bDpT10_ENKUlT_T0_E_clISt17integral_constantIbLb0EES1P_IbLb1EEEEDaS1L_S1M_EUlS1L_E_NS1_11comp_targetILNS1_3genE3ELNS1_11target_archE908ELNS1_3gpuE7ELNS1_3repE0EEENS1_30default_config_static_selectorELNS0_4arch9wavefront6targetE0EEEvSZ_.has_indirect_call, 0
	.section	.AMDGPU.csdata,"",@progbits
; Kernel info:
; codeLenInByte = 0
; TotalNumSgprs: 0
; NumVgprs: 0
; ScratchSize: 0
; MemoryBound: 0
; FloatMode: 240
; IeeeMode: 1
; LDSByteSize: 0 bytes/workgroup (compile time only)
; SGPRBlocks: 0
; VGPRBlocks: 0
; NumSGPRsForWavesPerEU: 1
; NumVGPRsForWavesPerEU: 1
; NamedBarCnt: 0
; Occupancy: 16
; WaveLimiterHint : 0
; COMPUTE_PGM_RSRC2:SCRATCH_EN: 0
; COMPUTE_PGM_RSRC2:USER_SGPR: 2
; COMPUTE_PGM_RSRC2:TRAP_HANDLER: 0
; COMPUTE_PGM_RSRC2:TGID_X_EN: 1
; COMPUTE_PGM_RSRC2:TGID_Y_EN: 0
; COMPUTE_PGM_RSRC2:TGID_Z_EN: 0
; COMPUTE_PGM_RSRC2:TIDIG_COMP_CNT: 0
	.section	.text._ZN7rocprim17ROCPRIM_400000_NS6detail17trampoline_kernelINS0_13select_configILj256ELj13ELNS0_17block_load_methodE3ELS4_3ELS4_3ELNS0_20block_scan_algorithmE0ELj4294967295EEENS1_25partition_config_selectorILNS1_17partition_subalgoE3EjNS0_10empty_typeEbEEZZNS1_14partition_implILS8_3ELb0ES6_jNS0_17counting_iteratorIjlEEPS9_SE_NS0_5tupleIJPjSE_EEENSF_IJSE_SE_EEES9_SG_JZNS1_25segmented_radix_sort_implINS0_14default_configELb1EPK6__halfPSL_PKlPlN2at6native12_GLOBAL__N_18offset_tEEE10hipError_tPvRmT1_PNSt15iterator_traitsISZ_E10value_typeET2_T3_PNS10_IS15_E10value_typeET4_jRbjT5_S1B_jjP12ihipStream_tbEUljE_EEESW_SX_SY_S15_S19_S1B_T6_T7_T9_mT8_S1D_bDpT10_ENKUlT_T0_E_clISt17integral_constantIbLb0EES1P_IbLb1EEEEDaS1L_S1M_EUlS1L_E_NS1_11comp_targetILNS1_3genE2ELNS1_11target_archE906ELNS1_3gpuE6ELNS1_3repE0EEENS1_30default_config_static_selectorELNS0_4arch9wavefront6targetE0EEEvSZ_,"axG",@progbits,_ZN7rocprim17ROCPRIM_400000_NS6detail17trampoline_kernelINS0_13select_configILj256ELj13ELNS0_17block_load_methodE3ELS4_3ELS4_3ELNS0_20block_scan_algorithmE0ELj4294967295EEENS1_25partition_config_selectorILNS1_17partition_subalgoE3EjNS0_10empty_typeEbEEZZNS1_14partition_implILS8_3ELb0ES6_jNS0_17counting_iteratorIjlEEPS9_SE_NS0_5tupleIJPjSE_EEENSF_IJSE_SE_EEES9_SG_JZNS1_25segmented_radix_sort_implINS0_14default_configELb1EPK6__halfPSL_PKlPlN2at6native12_GLOBAL__N_18offset_tEEE10hipError_tPvRmT1_PNSt15iterator_traitsISZ_E10value_typeET2_T3_PNS10_IS15_E10value_typeET4_jRbjT5_S1B_jjP12ihipStream_tbEUljE_EEESW_SX_SY_S15_S19_S1B_T6_T7_T9_mT8_S1D_bDpT10_ENKUlT_T0_E_clISt17integral_constantIbLb0EES1P_IbLb1EEEEDaS1L_S1M_EUlS1L_E_NS1_11comp_targetILNS1_3genE2ELNS1_11target_archE906ELNS1_3gpuE6ELNS1_3repE0EEENS1_30default_config_static_selectorELNS0_4arch9wavefront6targetE0EEEvSZ_,comdat
	.globl	_ZN7rocprim17ROCPRIM_400000_NS6detail17trampoline_kernelINS0_13select_configILj256ELj13ELNS0_17block_load_methodE3ELS4_3ELS4_3ELNS0_20block_scan_algorithmE0ELj4294967295EEENS1_25partition_config_selectorILNS1_17partition_subalgoE3EjNS0_10empty_typeEbEEZZNS1_14partition_implILS8_3ELb0ES6_jNS0_17counting_iteratorIjlEEPS9_SE_NS0_5tupleIJPjSE_EEENSF_IJSE_SE_EEES9_SG_JZNS1_25segmented_radix_sort_implINS0_14default_configELb1EPK6__halfPSL_PKlPlN2at6native12_GLOBAL__N_18offset_tEEE10hipError_tPvRmT1_PNSt15iterator_traitsISZ_E10value_typeET2_T3_PNS10_IS15_E10value_typeET4_jRbjT5_S1B_jjP12ihipStream_tbEUljE_EEESW_SX_SY_S15_S19_S1B_T6_T7_T9_mT8_S1D_bDpT10_ENKUlT_T0_E_clISt17integral_constantIbLb0EES1P_IbLb1EEEEDaS1L_S1M_EUlS1L_E_NS1_11comp_targetILNS1_3genE2ELNS1_11target_archE906ELNS1_3gpuE6ELNS1_3repE0EEENS1_30default_config_static_selectorELNS0_4arch9wavefront6targetE0EEEvSZ_ ; -- Begin function _ZN7rocprim17ROCPRIM_400000_NS6detail17trampoline_kernelINS0_13select_configILj256ELj13ELNS0_17block_load_methodE3ELS4_3ELS4_3ELNS0_20block_scan_algorithmE0ELj4294967295EEENS1_25partition_config_selectorILNS1_17partition_subalgoE3EjNS0_10empty_typeEbEEZZNS1_14partition_implILS8_3ELb0ES6_jNS0_17counting_iteratorIjlEEPS9_SE_NS0_5tupleIJPjSE_EEENSF_IJSE_SE_EEES9_SG_JZNS1_25segmented_radix_sort_implINS0_14default_configELb1EPK6__halfPSL_PKlPlN2at6native12_GLOBAL__N_18offset_tEEE10hipError_tPvRmT1_PNSt15iterator_traitsISZ_E10value_typeET2_T3_PNS10_IS15_E10value_typeET4_jRbjT5_S1B_jjP12ihipStream_tbEUljE_EEESW_SX_SY_S15_S19_S1B_T6_T7_T9_mT8_S1D_bDpT10_ENKUlT_T0_E_clISt17integral_constantIbLb0EES1P_IbLb1EEEEDaS1L_S1M_EUlS1L_E_NS1_11comp_targetILNS1_3genE2ELNS1_11target_archE906ELNS1_3gpuE6ELNS1_3repE0EEENS1_30default_config_static_selectorELNS0_4arch9wavefront6targetE0EEEvSZ_
	.p2align	8
	.type	_ZN7rocprim17ROCPRIM_400000_NS6detail17trampoline_kernelINS0_13select_configILj256ELj13ELNS0_17block_load_methodE3ELS4_3ELS4_3ELNS0_20block_scan_algorithmE0ELj4294967295EEENS1_25partition_config_selectorILNS1_17partition_subalgoE3EjNS0_10empty_typeEbEEZZNS1_14partition_implILS8_3ELb0ES6_jNS0_17counting_iteratorIjlEEPS9_SE_NS0_5tupleIJPjSE_EEENSF_IJSE_SE_EEES9_SG_JZNS1_25segmented_radix_sort_implINS0_14default_configELb1EPK6__halfPSL_PKlPlN2at6native12_GLOBAL__N_18offset_tEEE10hipError_tPvRmT1_PNSt15iterator_traitsISZ_E10value_typeET2_T3_PNS10_IS15_E10value_typeET4_jRbjT5_S1B_jjP12ihipStream_tbEUljE_EEESW_SX_SY_S15_S19_S1B_T6_T7_T9_mT8_S1D_bDpT10_ENKUlT_T0_E_clISt17integral_constantIbLb0EES1P_IbLb1EEEEDaS1L_S1M_EUlS1L_E_NS1_11comp_targetILNS1_3genE2ELNS1_11target_archE906ELNS1_3gpuE6ELNS1_3repE0EEENS1_30default_config_static_selectorELNS0_4arch9wavefront6targetE0EEEvSZ_,@function
_ZN7rocprim17ROCPRIM_400000_NS6detail17trampoline_kernelINS0_13select_configILj256ELj13ELNS0_17block_load_methodE3ELS4_3ELS4_3ELNS0_20block_scan_algorithmE0ELj4294967295EEENS1_25partition_config_selectorILNS1_17partition_subalgoE3EjNS0_10empty_typeEbEEZZNS1_14partition_implILS8_3ELb0ES6_jNS0_17counting_iteratorIjlEEPS9_SE_NS0_5tupleIJPjSE_EEENSF_IJSE_SE_EEES9_SG_JZNS1_25segmented_radix_sort_implINS0_14default_configELb1EPK6__halfPSL_PKlPlN2at6native12_GLOBAL__N_18offset_tEEE10hipError_tPvRmT1_PNSt15iterator_traitsISZ_E10value_typeET2_T3_PNS10_IS15_E10value_typeET4_jRbjT5_S1B_jjP12ihipStream_tbEUljE_EEESW_SX_SY_S15_S19_S1B_T6_T7_T9_mT8_S1D_bDpT10_ENKUlT_T0_E_clISt17integral_constantIbLb0EES1P_IbLb1EEEEDaS1L_S1M_EUlS1L_E_NS1_11comp_targetILNS1_3genE2ELNS1_11target_archE906ELNS1_3gpuE6ELNS1_3repE0EEENS1_30default_config_static_selectorELNS0_4arch9wavefront6targetE0EEEvSZ_: ; @_ZN7rocprim17ROCPRIM_400000_NS6detail17trampoline_kernelINS0_13select_configILj256ELj13ELNS0_17block_load_methodE3ELS4_3ELS4_3ELNS0_20block_scan_algorithmE0ELj4294967295EEENS1_25partition_config_selectorILNS1_17partition_subalgoE3EjNS0_10empty_typeEbEEZZNS1_14partition_implILS8_3ELb0ES6_jNS0_17counting_iteratorIjlEEPS9_SE_NS0_5tupleIJPjSE_EEENSF_IJSE_SE_EEES9_SG_JZNS1_25segmented_radix_sort_implINS0_14default_configELb1EPK6__halfPSL_PKlPlN2at6native12_GLOBAL__N_18offset_tEEE10hipError_tPvRmT1_PNSt15iterator_traitsISZ_E10value_typeET2_T3_PNS10_IS15_E10value_typeET4_jRbjT5_S1B_jjP12ihipStream_tbEUljE_EEESW_SX_SY_S15_S19_S1B_T6_T7_T9_mT8_S1D_bDpT10_ENKUlT_T0_E_clISt17integral_constantIbLb0EES1P_IbLb1EEEEDaS1L_S1M_EUlS1L_E_NS1_11comp_targetILNS1_3genE2ELNS1_11target_archE906ELNS1_3gpuE6ELNS1_3repE0EEENS1_30default_config_static_selectorELNS0_4arch9wavefront6targetE0EEEvSZ_
; %bb.0:
	.section	.rodata,"a",@progbits
	.p2align	6, 0x0
	.amdhsa_kernel _ZN7rocprim17ROCPRIM_400000_NS6detail17trampoline_kernelINS0_13select_configILj256ELj13ELNS0_17block_load_methodE3ELS4_3ELS4_3ELNS0_20block_scan_algorithmE0ELj4294967295EEENS1_25partition_config_selectorILNS1_17partition_subalgoE3EjNS0_10empty_typeEbEEZZNS1_14partition_implILS8_3ELb0ES6_jNS0_17counting_iteratorIjlEEPS9_SE_NS0_5tupleIJPjSE_EEENSF_IJSE_SE_EEES9_SG_JZNS1_25segmented_radix_sort_implINS0_14default_configELb1EPK6__halfPSL_PKlPlN2at6native12_GLOBAL__N_18offset_tEEE10hipError_tPvRmT1_PNSt15iterator_traitsISZ_E10value_typeET2_T3_PNS10_IS15_E10value_typeET4_jRbjT5_S1B_jjP12ihipStream_tbEUljE_EEESW_SX_SY_S15_S19_S1B_T6_T7_T9_mT8_S1D_bDpT10_ENKUlT_T0_E_clISt17integral_constantIbLb0EES1P_IbLb1EEEEDaS1L_S1M_EUlS1L_E_NS1_11comp_targetILNS1_3genE2ELNS1_11target_archE906ELNS1_3gpuE6ELNS1_3repE0EEENS1_30default_config_static_selectorELNS0_4arch9wavefront6targetE0EEEvSZ_
		.amdhsa_group_segment_fixed_size 0
		.amdhsa_private_segment_fixed_size 0
		.amdhsa_kernarg_size 152
		.amdhsa_user_sgpr_count 2
		.amdhsa_user_sgpr_dispatch_ptr 0
		.amdhsa_user_sgpr_queue_ptr 0
		.amdhsa_user_sgpr_kernarg_segment_ptr 1
		.amdhsa_user_sgpr_dispatch_id 0
		.amdhsa_user_sgpr_kernarg_preload_length 0
		.amdhsa_user_sgpr_kernarg_preload_offset 0
		.amdhsa_user_sgpr_private_segment_size 0
		.amdhsa_wavefront_size32 1
		.amdhsa_uses_dynamic_stack 0
		.amdhsa_enable_private_segment 0
		.amdhsa_system_sgpr_workgroup_id_x 1
		.amdhsa_system_sgpr_workgroup_id_y 0
		.amdhsa_system_sgpr_workgroup_id_z 0
		.amdhsa_system_sgpr_workgroup_info 0
		.amdhsa_system_vgpr_workitem_id 0
		.amdhsa_next_free_vgpr 1
		.amdhsa_next_free_sgpr 1
		.amdhsa_named_barrier_count 0
		.amdhsa_reserve_vcc 0
		.amdhsa_float_round_mode_32 0
		.amdhsa_float_round_mode_16_64 0
		.amdhsa_float_denorm_mode_32 3
		.amdhsa_float_denorm_mode_16_64 3
		.amdhsa_fp16_overflow 0
		.amdhsa_memory_ordered 1
		.amdhsa_forward_progress 1
		.amdhsa_inst_pref_size 0
		.amdhsa_round_robin_scheduling 0
		.amdhsa_exception_fp_ieee_invalid_op 0
		.amdhsa_exception_fp_denorm_src 0
		.amdhsa_exception_fp_ieee_div_zero 0
		.amdhsa_exception_fp_ieee_overflow 0
		.amdhsa_exception_fp_ieee_underflow 0
		.amdhsa_exception_fp_ieee_inexact 0
		.amdhsa_exception_int_div_zero 0
	.end_amdhsa_kernel
	.section	.text._ZN7rocprim17ROCPRIM_400000_NS6detail17trampoline_kernelINS0_13select_configILj256ELj13ELNS0_17block_load_methodE3ELS4_3ELS4_3ELNS0_20block_scan_algorithmE0ELj4294967295EEENS1_25partition_config_selectorILNS1_17partition_subalgoE3EjNS0_10empty_typeEbEEZZNS1_14partition_implILS8_3ELb0ES6_jNS0_17counting_iteratorIjlEEPS9_SE_NS0_5tupleIJPjSE_EEENSF_IJSE_SE_EEES9_SG_JZNS1_25segmented_radix_sort_implINS0_14default_configELb1EPK6__halfPSL_PKlPlN2at6native12_GLOBAL__N_18offset_tEEE10hipError_tPvRmT1_PNSt15iterator_traitsISZ_E10value_typeET2_T3_PNS10_IS15_E10value_typeET4_jRbjT5_S1B_jjP12ihipStream_tbEUljE_EEESW_SX_SY_S15_S19_S1B_T6_T7_T9_mT8_S1D_bDpT10_ENKUlT_T0_E_clISt17integral_constantIbLb0EES1P_IbLb1EEEEDaS1L_S1M_EUlS1L_E_NS1_11comp_targetILNS1_3genE2ELNS1_11target_archE906ELNS1_3gpuE6ELNS1_3repE0EEENS1_30default_config_static_selectorELNS0_4arch9wavefront6targetE0EEEvSZ_,"axG",@progbits,_ZN7rocprim17ROCPRIM_400000_NS6detail17trampoline_kernelINS0_13select_configILj256ELj13ELNS0_17block_load_methodE3ELS4_3ELS4_3ELNS0_20block_scan_algorithmE0ELj4294967295EEENS1_25partition_config_selectorILNS1_17partition_subalgoE3EjNS0_10empty_typeEbEEZZNS1_14partition_implILS8_3ELb0ES6_jNS0_17counting_iteratorIjlEEPS9_SE_NS0_5tupleIJPjSE_EEENSF_IJSE_SE_EEES9_SG_JZNS1_25segmented_radix_sort_implINS0_14default_configELb1EPK6__halfPSL_PKlPlN2at6native12_GLOBAL__N_18offset_tEEE10hipError_tPvRmT1_PNSt15iterator_traitsISZ_E10value_typeET2_T3_PNS10_IS15_E10value_typeET4_jRbjT5_S1B_jjP12ihipStream_tbEUljE_EEESW_SX_SY_S15_S19_S1B_T6_T7_T9_mT8_S1D_bDpT10_ENKUlT_T0_E_clISt17integral_constantIbLb0EES1P_IbLb1EEEEDaS1L_S1M_EUlS1L_E_NS1_11comp_targetILNS1_3genE2ELNS1_11target_archE906ELNS1_3gpuE6ELNS1_3repE0EEENS1_30default_config_static_selectorELNS0_4arch9wavefront6targetE0EEEvSZ_,comdat
.Lfunc_end1725:
	.size	_ZN7rocprim17ROCPRIM_400000_NS6detail17trampoline_kernelINS0_13select_configILj256ELj13ELNS0_17block_load_methodE3ELS4_3ELS4_3ELNS0_20block_scan_algorithmE0ELj4294967295EEENS1_25partition_config_selectorILNS1_17partition_subalgoE3EjNS0_10empty_typeEbEEZZNS1_14partition_implILS8_3ELb0ES6_jNS0_17counting_iteratorIjlEEPS9_SE_NS0_5tupleIJPjSE_EEENSF_IJSE_SE_EEES9_SG_JZNS1_25segmented_radix_sort_implINS0_14default_configELb1EPK6__halfPSL_PKlPlN2at6native12_GLOBAL__N_18offset_tEEE10hipError_tPvRmT1_PNSt15iterator_traitsISZ_E10value_typeET2_T3_PNS10_IS15_E10value_typeET4_jRbjT5_S1B_jjP12ihipStream_tbEUljE_EEESW_SX_SY_S15_S19_S1B_T6_T7_T9_mT8_S1D_bDpT10_ENKUlT_T0_E_clISt17integral_constantIbLb0EES1P_IbLb1EEEEDaS1L_S1M_EUlS1L_E_NS1_11comp_targetILNS1_3genE2ELNS1_11target_archE906ELNS1_3gpuE6ELNS1_3repE0EEENS1_30default_config_static_selectorELNS0_4arch9wavefront6targetE0EEEvSZ_, .Lfunc_end1725-_ZN7rocprim17ROCPRIM_400000_NS6detail17trampoline_kernelINS0_13select_configILj256ELj13ELNS0_17block_load_methodE3ELS4_3ELS4_3ELNS0_20block_scan_algorithmE0ELj4294967295EEENS1_25partition_config_selectorILNS1_17partition_subalgoE3EjNS0_10empty_typeEbEEZZNS1_14partition_implILS8_3ELb0ES6_jNS0_17counting_iteratorIjlEEPS9_SE_NS0_5tupleIJPjSE_EEENSF_IJSE_SE_EEES9_SG_JZNS1_25segmented_radix_sort_implINS0_14default_configELb1EPK6__halfPSL_PKlPlN2at6native12_GLOBAL__N_18offset_tEEE10hipError_tPvRmT1_PNSt15iterator_traitsISZ_E10value_typeET2_T3_PNS10_IS15_E10value_typeET4_jRbjT5_S1B_jjP12ihipStream_tbEUljE_EEESW_SX_SY_S15_S19_S1B_T6_T7_T9_mT8_S1D_bDpT10_ENKUlT_T0_E_clISt17integral_constantIbLb0EES1P_IbLb1EEEEDaS1L_S1M_EUlS1L_E_NS1_11comp_targetILNS1_3genE2ELNS1_11target_archE906ELNS1_3gpuE6ELNS1_3repE0EEENS1_30default_config_static_selectorELNS0_4arch9wavefront6targetE0EEEvSZ_
                                        ; -- End function
	.set _ZN7rocprim17ROCPRIM_400000_NS6detail17trampoline_kernelINS0_13select_configILj256ELj13ELNS0_17block_load_methodE3ELS4_3ELS4_3ELNS0_20block_scan_algorithmE0ELj4294967295EEENS1_25partition_config_selectorILNS1_17partition_subalgoE3EjNS0_10empty_typeEbEEZZNS1_14partition_implILS8_3ELb0ES6_jNS0_17counting_iteratorIjlEEPS9_SE_NS0_5tupleIJPjSE_EEENSF_IJSE_SE_EEES9_SG_JZNS1_25segmented_radix_sort_implINS0_14default_configELb1EPK6__halfPSL_PKlPlN2at6native12_GLOBAL__N_18offset_tEEE10hipError_tPvRmT1_PNSt15iterator_traitsISZ_E10value_typeET2_T3_PNS10_IS15_E10value_typeET4_jRbjT5_S1B_jjP12ihipStream_tbEUljE_EEESW_SX_SY_S15_S19_S1B_T6_T7_T9_mT8_S1D_bDpT10_ENKUlT_T0_E_clISt17integral_constantIbLb0EES1P_IbLb1EEEEDaS1L_S1M_EUlS1L_E_NS1_11comp_targetILNS1_3genE2ELNS1_11target_archE906ELNS1_3gpuE6ELNS1_3repE0EEENS1_30default_config_static_selectorELNS0_4arch9wavefront6targetE0EEEvSZ_.num_vgpr, 0
	.set _ZN7rocprim17ROCPRIM_400000_NS6detail17trampoline_kernelINS0_13select_configILj256ELj13ELNS0_17block_load_methodE3ELS4_3ELS4_3ELNS0_20block_scan_algorithmE0ELj4294967295EEENS1_25partition_config_selectorILNS1_17partition_subalgoE3EjNS0_10empty_typeEbEEZZNS1_14partition_implILS8_3ELb0ES6_jNS0_17counting_iteratorIjlEEPS9_SE_NS0_5tupleIJPjSE_EEENSF_IJSE_SE_EEES9_SG_JZNS1_25segmented_radix_sort_implINS0_14default_configELb1EPK6__halfPSL_PKlPlN2at6native12_GLOBAL__N_18offset_tEEE10hipError_tPvRmT1_PNSt15iterator_traitsISZ_E10value_typeET2_T3_PNS10_IS15_E10value_typeET4_jRbjT5_S1B_jjP12ihipStream_tbEUljE_EEESW_SX_SY_S15_S19_S1B_T6_T7_T9_mT8_S1D_bDpT10_ENKUlT_T0_E_clISt17integral_constantIbLb0EES1P_IbLb1EEEEDaS1L_S1M_EUlS1L_E_NS1_11comp_targetILNS1_3genE2ELNS1_11target_archE906ELNS1_3gpuE6ELNS1_3repE0EEENS1_30default_config_static_selectorELNS0_4arch9wavefront6targetE0EEEvSZ_.num_agpr, 0
	.set _ZN7rocprim17ROCPRIM_400000_NS6detail17trampoline_kernelINS0_13select_configILj256ELj13ELNS0_17block_load_methodE3ELS4_3ELS4_3ELNS0_20block_scan_algorithmE0ELj4294967295EEENS1_25partition_config_selectorILNS1_17partition_subalgoE3EjNS0_10empty_typeEbEEZZNS1_14partition_implILS8_3ELb0ES6_jNS0_17counting_iteratorIjlEEPS9_SE_NS0_5tupleIJPjSE_EEENSF_IJSE_SE_EEES9_SG_JZNS1_25segmented_radix_sort_implINS0_14default_configELb1EPK6__halfPSL_PKlPlN2at6native12_GLOBAL__N_18offset_tEEE10hipError_tPvRmT1_PNSt15iterator_traitsISZ_E10value_typeET2_T3_PNS10_IS15_E10value_typeET4_jRbjT5_S1B_jjP12ihipStream_tbEUljE_EEESW_SX_SY_S15_S19_S1B_T6_T7_T9_mT8_S1D_bDpT10_ENKUlT_T0_E_clISt17integral_constantIbLb0EES1P_IbLb1EEEEDaS1L_S1M_EUlS1L_E_NS1_11comp_targetILNS1_3genE2ELNS1_11target_archE906ELNS1_3gpuE6ELNS1_3repE0EEENS1_30default_config_static_selectorELNS0_4arch9wavefront6targetE0EEEvSZ_.numbered_sgpr, 0
	.set _ZN7rocprim17ROCPRIM_400000_NS6detail17trampoline_kernelINS0_13select_configILj256ELj13ELNS0_17block_load_methodE3ELS4_3ELS4_3ELNS0_20block_scan_algorithmE0ELj4294967295EEENS1_25partition_config_selectorILNS1_17partition_subalgoE3EjNS0_10empty_typeEbEEZZNS1_14partition_implILS8_3ELb0ES6_jNS0_17counting_iteratorIjlEEPS9_SE_NS0_5tupleIJPjSE_EEENSF_IJSE_SE_EEES9_SG_JZNS1_25segmented_radix_sort_implINS0_14default_configELb1EPK6__halfPSL_PKlPlN2at6native12_GLOBAL__N_18offset_tEEE10hipError_tPvRmT1_PNSt15iterator_traitsISZ_E10value_typeET2_T3_PNS10_IS15_E10value_typeET4_jRbjT5_S1B_jjP12ihipStream_tbEUljE_EEESW_SX_SY_S15_S19_S1B_T6_T7_T9_mT8_S1D_bDpT10_ENKUlT_T0_E_clISt17integral_constantIbLb0EES1P_IbLb1EEEEDaS1L_S1M_EUlS1L_E_NS1_11comp_targetILNS1_3genE2ELNS1_11target_archE906ELNS1_3gpuE6ELNS1_3repE0EEENS1_30default_config_static_selectorELNS0_4arch9wavefront6targetE0EEEvSZ_.num_named_barrier, 0
	.set _ZN7rocprim17ROCPRIM_400000_NS6detail17trampoline_kernelINS0_13select_configILj256ELj13ELNS0_17block_load_methodE3ELS4_3ELS4_3ELNS0_20block_scan_algorithmE0ELj4294967295EEENS1_25partition_config_selectorILNS1_17partition_subalgoE3EjNS0_10empty_typeEbEEZZNS1_14partition_implILS8_3ELb0ES6_jNS0_17counting_iteratorIjlEEPS9_SE_NS0_5tupleIJPjSE_EEENSF_IJSE_SE_EEES9_SG_JZNS1_25segmented_radix_sort_implINS0_14default_configELb1EPK6__halfPSL_PKlPlN2at6native12_GLOBAL__N_18offset_tEEE10hipError_tPvRmT1_PNSt15iterator_traitsISZ_E10value_typeET2_T3_PNS10_IS15_E10value_typeET4_jRbjT5_S1B_jjP12ihipStream_tbEUljE_EEESW_SX_SY_S15_S19_S1B_T6_T7_T9_mT8_S1D_bDpT10_ENKUlT_T0_E_clISt17integral_constantIbLb0EES1P_IbLb1EEEEDaS1L_S1M_EUlS1L_E_NS1_11comp_targetILNS1_3genE2ELNS1_11target_archE906ELNS1_3gpuE6ELNS1_3repE0EEENS1_30default_config_static_selectorELNS0_4arch9wavefront6targetE0EEEvSZ_.private_seg_size, 0
	.set _ZN7rocprim17ROCPRIM_400000_NS6detail17trampoline_kernelINS0_13select_configILj256ELj13ELNS0_17block_load_methodE3ELS4_3ELS4_3ELNS0_20block_scan_algorithmE0ELj4294967295EEENS1_25partition_config_selectorILNS1_17partition_subalgoE3EjNS0_10empty_typeEbEEZZNS1_14partition_implILS8_3ELb0ES6_jNS0_17counting_iteratorIjlEEPS9_SE_NS0_5tupleIJPjSE_EEENSF_IJSE_SE_EEES9_SG_JZNS1_25segmented_radix_sort_implINS0_14default_configELb1EPK6__halfPSL_PKlPlN2at6native12_GLOBAL__N_18offset_tEEE10hipError_tPvRmT1_PNSt15iterator_traitsISZ_E10value_typeET2_T3_PNS10_IS15_E10value_typeET4_jRbjT5_S1B_jjP12ihipStream_tbEUljE_EEESW_SX_SY_S15_S19_S1B_T6_T7_T9_mT8_S1D_bDpT10_ENKUlT_T0_E_clISt17integral_constantIbLb0EES1P_IbLb1EEEEDaS1L_S1M_EUlS1L_E_NS1_11comp_targetILNS1_3genE2ELNS1_11target_archE906ELNS1_3gpuE6ELNS1_3repE0EEENS1_30default_config_static_selectorELNS0_4arch9wavefront6targetE0EEEvSZ_.uses_vcc, 0
	.set _ZN7rocprim17ROCPRIM_400000_NS6detail17trampoline_kernelINS0_13select_configILj256ELj13ELNS0_17block_load_methodE3ELS4_3ELS4_3ELNS0_20block_scan_algorithmE0ELj4294967295EEENS1_25partition_config_selectorILNS1_17partition_subalgoE3EjNS0_10empty_typeEbEEZZNS1_14partition_implILS8_3ELb0ES6_jNS0_17counting_iteratorIjlEEPS9_SE_NS0_5tupleIJPjSE_EEENSF_IJSE_SE_EEES9_SG_JZNS1_25segmented_radix_sort_implINS0_14default_configELb1EPK6__halfPSL_PKlPlN2at6native12_GLOBAL__N_18offset_tEEE10hipError_tPvRmT1_PNSt15iterator_traitsISZ_E10value_typeET2_T3_PNS10_IS15_E10value_typeET4_jRbjT5_S1B_jjP12ihipStream_tbEUljE_EEESW_SX_SY_S15_S19_S1B_T6_T7_T9_mT8_S1D_bDpT10_ENKUlT_T0_E_clISt17integral_constantIbLb0EES1P_IbLb1EEEEDaS1L_S1M_EUlS1L_E_NS1_11comp_targetILNS1_3genE2ELNS1_11target_archE906ELNS1_3gpuE6ELNS1_3repE0EEENS1_30default_config_static_selectorELNS0_4arch9wavefront6targetE0EEEvSZ_.uses_flat_scratch, 0
	.set _ZN7rocprim17ROCPRIM_400000_NS6detail17trampoline_kernelINS0_13select_configILj256ELj13ELNS0_17block_load_methodE3ELS4_3ELS4_3ELNS0_20block_scan_algorithmE0ELj4294967295EEENS1_25partition_config_selectorILNS1_17partition_subalgoE3EjNS0_10empty_typeEbEEZZNS1_14partition_implILS8_3ELb0ES6_jNS0_17counting_iteratorIjlEEPS9_SE_NS0_5tupleIJPjSE_EEENSF_IJSE_SE_EEES9_SG_JZNS1_25segmented_radix_sort_implINS0_14default_configELb1EPK6__halfPSL_PKlPlN2at6native12_GLOBAL__N_18offset_tEEE10hipError_tPvRmT1_PNSt15iterator_traitsISZ_E10value_typeET2_T3_PNS10_IS15_E10value_typeET4_jRbjT5_S1B_jjP12ihipStream_tbEUljE_EEESW_SX_SY_S15_S19_S1B_T6_T7_T9_mT8_S1D_bDpT10_ENKUlT_T0_E_clISt17integral_constantIbLb0EES1P_IbLb1EEEEDaS1L_S1M_EUlS1L_E_NS1_11comp_targetILNS1_3genE2ELNS1_11target_archE906ELNS1_3gpuE6ELNS1_3repE0EEENS1_30default_config_static_selectorELNS0_4arch9wavefront6targetE0EEEvSZ_.has_dyn_sized_stack, 0
	.set _ZN7rocprim17ROCPRIM_400000_NS6detail17trampoline_kernelINS0_13select_configILj256ELj13ELNS0_17block_load_methodE3ELS4_3ELS4_3ELNS0_20block_scan_algorithmE0ELj4294967295EEENS1_25partition_config_selectorILNS1_17partition_subalgoE3EjNS0_10empty_typeEbEEZZNS1_14partition_implILS8_3ELb0ES6_jNS0_17counting_iteratorIjlEEPS9_SE_NS0_5tupleIJPjSE_EEENSF_IJSE_SE_EEES9_SG_JZNS1_25segmented_radix_sort_implINS0_14default_configELb1EPK6__halfPSL_PKlPlN2at6native12_GLOBAL__N_18offset_tEEE10hipError_tPvRmT1_PNSt15iterator_traitsISZ_E10value_typeET2_T3_PNS10_IS15_E10value_typeET4_jRbjT5_S1B_jjP12ihipStream_tbEUljE_EEESW_SX_SY_S15_S19_S1B_T6_T7_T9_mT8_S1D_bDpT10_ENKUlT_T0_E_clISt17integral_constantIbLb0EES1P_IbLb1EEEEDaS1L_S1M_EUlS1L_E_NS1_11comp_targetILNS1_3genE2ELNS1_11target_archE906ELNS1_3gpuE6ELNS1_3repE0EEENS1_30default_config_static_selectorELNS0_4arch9wavefront6targetE0EEEvSZ_.has_recursion, 0
	.set _ZN7rocprim17ROCPRIM_400000_NS6detail17trampoline_kernelINS0_13select_configILj256ELj13ELNS0_17block_load_methodE3ELS4_3ELS4_3ELNS0_20block_scan_algorithmE0ELj4294967295EEENS1_25partition_config_selectorILNS1_17partition_subalgoE3EjNS0_10empty_typeEbEEZZNS1_14partition_implILS8_3ELb0ES6_jNS0_17counting_iteratorIjlEEPS9_SE_NS0_5tupleIJPjSE_EEENSF_IJSE_SE_EEES9_SG_JZNS1_25segmented_radix_sort_implINS0_14default_configELb1EPK6__halfPSL_PKlPlN2at6native12_GLOBAL__N_18offset_tEEE10hipError_tPvRmT1_PNSt15iterator_traitsISZ_E10value_typeET2_T3_PNS10_IS15_E10value_typeET4_jRbjT5_S1B_jjP12ihipStream_tbEUljE_EEESW_SX_SY_S15_S19_S1B_T6_T7_T9_mT8_S1D_bDpT10_ENKUlT_T0_E_clISt17integral_constantIbLb0EES1P_IbLb1EEEEDaS1L_S1M_EUlS1L_E_NS1_11comp_targetILNS1_3genE2ELNS1_11target_archE906ELNS1_3gpuE6ELNS1_3repE0EEENS1_30default_config_static_selectorELNS0_4arch9wavefront6targetE0EEEvSZ_.has_indirect_call, 0
	.section	.AMDGPU.csdata,"",@progbits
; Kernel info:
; codeLenInByte = 0
; TotalNumSgprs: 0
; NumVgprs: 0
; ScratchSize: 0
; MemoryBound: 0
; FloatMode: 240
; IeeeMode: 1
; LDSByteSize: 0 bytes/workgroup (compile time only)
; SGPRBlocks: 0
; VGPRBlocks: 0
; NumSGPRsForWavesPerEU: 1
; NumVGPRsForWavesPerEU: 1
; NamedBarCnt: 0
; Occupancy: 16
; WaveLimiterHint : 0
; COMPUTE_PGM_RSRC2:SCRATCH_EN: 0
; COMPUTE_PGM_RSRC2:USER_SGPR: 2
; COMPUTE_PGM_RSRC2:TRAP_HANDLER: 0
; COMPUTE_PGM_RSRC2:TGID_X_EN: 1
; COMPUTE_PGM_RSRC2:TGID_Y_EN: 0
; COMPUTE_PGM_RSRC2:TGID_Z_EN: 0
; COMPUTE_PGM_RSRC2:TIDIG_COMP_CNT: 0
	.section	.text._ZN7rocprim17ROCPRIM_400000_NS6detail17trampoline_kernelINS0_13select_configILj256ELj13ELNS0_17block_load_methodE3ELS4_3ELS4_3ELNS0_20block_scan_algorithmE0ELj4294967295EEENS1_25partition_config_selectorILNS1_17partition_subalgoE3EjNS0_10empty_typeEbEEZZNS1_14partition_implILS8_3ELb0ES6_jNS0_17counting_iteratorIjlEEPS9_SE_NS0_5tupleIJPjSE_EEENSF_IJSE_SE_EEES9_SG_JZNS1_25segmented_radix_sort_implINS0_14default_configELb1EPK6__halfPSL_PKlPlN2at6native12_GLOBAL__N_18offset_tEEE10hipError_tPvRmT1_PNSt15iterator_traitsISZ_E10value_typeET2_T3_PNS10_IS15_E10value_typeET4_jRbjT5_S1B_jjP12ihipStream_tbEUljE_EEESW_SX_SY_S15_S19_S1B_T6_T7_T9_mT8_S1D_bDpT10_ENKUlT_T0_E_clISt17integral_constantIbLb0EES1P_IbLb1EEEEDaS1L_S1M_EUlS1L_E_NS1_11comp_targetILNS1_3genE10ELNS1_11target_archE1200ELNS1_3gpuE4ELNS1_3repE0EEENS1_30default_config_static_selectorELNS0_4arch9wavefront6targetE0EEEvSZ_,"axG",@progbits,_ZN7rocprim17ROCPRIM_400000_NS6detail17trampoline_kernelINS0_13select_configILj256ELj13ELNS0_17block_load_methodE3ELS4_3ELS4_3ELNS0_20block_scan_algorithmE0ELj4294967295EEENS1_25partition_config_selectorILNS1_17partition_subalgoE3EjNS0_10empty_typeEbEEZZNS1_14partition_implILS8_3ELb0ES6_jNS0_17counting_iteratorIjlEEPS9_SE_NS0_5tupleIJPjSE_EEENSF_IJSE_SE_EEES9_SG_JZNS1_25segmented_radix_sort_implINS0_14default_configELb1EPK6__halfPSL_PKlPlN2at6native12_GLOBAL__N_18offset_tEEE10hipError_tPvRmT1_PNSt15iterator_traitsISZ_E10value_typeET2_T3_PNS10_IS15_E10value_typeET4_jRbjT5_S1B_jjP12ihipStream_tbEUljE_EEESW_SX_SY_S15_S19_S1B_T6_T7_T9_mT8_S1D_bDpT10_ENKUlT_T0_E_clISt17integral_constantIbLb0EES1P_IbLb1EEEEDaS1L_S1M_EUlS1L_E_NS1_11comp_targetILNS1_3genE10ELNS1_11target_archE1200ELNS1_3gpuE4ELNS1_3repE0EEENS1_30default_config_static_selectorELNS0_4arch9wavefront6targetE0EEEvSZ_,comdat
	.globl	_ZN7rocprim17ROCPRIM_400000_NS6detail17trampoline_kernelINS0_13select_configILj256ELj13ELNS0_17block_load_methodE3ELS4_3ELS4_3ELNS0_20block_scan_algorithmE0ELj4294967295EEENS1_25partition_config_selectorILNS1_17partition_subalgoE3EjNS0_10empty_typeEbEEZZNS1_14partition_implILS8_3ELb0ES6_jNS0_17counting_iteratorIjlEEPS9_SE_NS0_5tupleIJPjSE_EEENSF_IJSE_SE_EEES9_SG_JZNS1_25segmented_radix_sort_implINS0_14default_configELb1EPK6__halfPSL_PKlPlN2at6native12_GLOBAL__N_18offset_tEEE10hipError_tPvRmT1_PNSt15iterator_traitsISZ_E10value_typeET2_T3_PNS10_IS15_E10value_typeET4_jRbjT5_S1B_jjP12ihipStream_tbEUljE_EEESW_SX_SY_S15_S19_S1B_T6_T7_T9_mT8_S1D_bDpT10_ENKUlT_T0_E_clISt17integral_constantIbLb0EES1P_IbLb1EEEEDaS1L_S1M_EUlS1L_E_NS1_11comp_targetILNS1_3genE10ELNS1_11target_archE1200ELNS1_3gpuE4ELNS1_3repE0EEENS1_30default_config_static_selectorELNS0_4arch9wavefront6targetE0EEEvSZ_ ; -- Begin function _ZN7rocprim17ROCPRIM_400000_NS6detail17trampoline_kernelINS0_13select_configILj256ELj13ELNS0_17block_load_methodE3ELS4_3ELS4_3ELNS0_20block_scan_algorithmE0ELj4294967295EEENS1_25partition_config_selectorILNS1_17partition_subalgoE3EjNS0_10empty_typeEbEEZZNS1_14partition_implILS8_3ELb0ES6_jNS0_17counting_iteratorIjlEEPS9_SE_NS0_5tupleIJPjSE_EEENSF_IJSE_SE_EEES9_SG_JZNS1_25segmented_radix_sort_implINS0_14default_configELb1EPK6__halfPSL_PKlPlN2at6native12_GLOBAL__N_18offset_tEEE10hipError_tPvRmT1_PNSt15iterator_traitsISZ_E10value_typeET2_T3_PNS10_IS15_E10value_typeET4_jRbjT5_S1B_jjP12ihipStream_tbEUljE_EEESW_SX_SY_S15_S19_S1B_T6_T7_T9_mT8_S1D_bDpT10_ENKUlT_T0_E_clISt17integral_constantIbLb0EES1P_IbLb1EEEEDaS1L_S1M_EUlS1L_E_NS1_11comp_targetILNS1_3genE10ELNS1_11target_archE1200ELNS1_3gpuE4ELNS1_3repE0EEENS1_30default_config_static_selectorELNS0_4arch9wavefront6targetE0EEEvSZ_
	.p2align	8
	.type	_ZN7rocprim17ROCPRIM_400000_NS6detail17trampoline_kernelINS0_13select_configILj256ELj13ELNS0_17block_load_methodE3ELS4_3ELS4_3ELNS0_20block_scan_algorithmE0ELj4294967295EEENS1_25partition_config_selectorILNS1_17partition_subalgoE3EjNS0_10empty_typeEbEEZZNS1_14partition_implILS8_3ELb0ES6_jNS0_17counting_iteratorIjlEEPS9_SE_NS0_5tupleIJPjSE_EEENSF_IJSE_SE_EEES9_SG_JZNS1_25segmented_radix_sort_implINS0_14default_configELb1EPK6__halfPSL_PKlPlN2at6native12_GLOBAL__N_18offset_tEEE10hipError_tPvRmT1_PNSt15iterator_traitsISZ_E10value_typeET2_T3_PNS10_IS15_E10value_typeET4_jRbjT5_S1B_jjP12ihipStream_tbEUljE_EEESW_SX_SY_S15_S19_S1B_T6_T7_T9_mT8_S1D_bDpT10_ENKUlT_T0_E_clISt17integral_constantIbLb0EES1P_IbLb1EEEEDaS1L_S1M_EUlS1L_E_NS1_11comp_targetILNS1_3genE10ELNS1_11target_archE1200ELNS1_3gpuE4ELNS1_3repE0EEENS1_30default_config_static_selectorELNS0_4arch9wavefront6targetE0EEEvSZ_,@function
_ZN7rocprim17ROCPRIM_400000_NS6detail17trampoline_kernelINS0_13select_configILj256ELj13ELNS0_17block_load_methodE3ELS4_3ELS4_3ELNS0_20block_scan_algorithmE0ELj4294967295EEENS1_25partition_config_selectorILNS1_17partition_subalgoE3EjNS0_10empty_typeEbEEZZNS1_14partition_implILS8_3ELb0ES6_jNS0_17counting_iteratorIjlEEPS9_SE_NS0_5tupleIJPjSE_EEENSF_IJSE_SE_EEES9_SG_JZNS1_25segmented_radix_sort_implINS0_14default_configELb1EPK6__halfPSL_PKlPlN2at6native12_GLOBAL__N_18offset_tEEE10hipError_tPvRmT1_PNSt15iterator_traitsISZ_E10value_typeET2_T3_PNS10_IS15_E10value_typeET4_jRbjT5_S1B_jjP12ihipStream_tbEUljE_EEESW_SX_SY_S15_S19_S1B_T6_T7_T9_mT8_S1D_bDpT10_ENKUlT_T0_E_clISt17integral_constantIbLb0EES1P_IbLb1EEEEDaS1L_S1M_EUlS1L_E_NS1_11comp_targetILNS1_3genE10ELNS1_11target_archE1200ELNS1_3gpuE4ELNS1_3repE0EEENS1_30default_config_static_selectorELNS0_4arch9wavefront6targetE0EEEvSZ_: ; @_ZN7rocprim17ROCPRIM_400000_NS6detail17trampoline_kernelINS0_13select_configILj256ELj13ELNS0_17block_load_methodE3ELS4_3ELS4_3ELNS0_20block_scan_algorithmE0ELj4294967295EEENS1_25partition_config_selectorILNS1_17partition_subalgoE3EjNS0_10empty_typeEbEEZZNS1_14partition_implILS8_3ELb0ES6_jNS0_17counting_iteratorIjlEEPS9_SE_NS0_5tupleIJPjSE_EEENSF_IJSE_SE_EEES9_SG_JZNS1_25segmented_radix_sort_implINS0_14default_configELb1EPK6__halfPSL_PKlPlN2at6native12_GLOBAL__N_18offset_tEEE10hipError_tPvRmT1_PNSt15iterator_traitsISZ_E10value_typeET2_T3_PNS10_IS15_E10value_typeET4_jRbjT5_S1B_jjP12ihipStream_tbEUljE_EEESW_SX_SY_S15_S19_S1B_T6_T7_T9_mT8_S1D_bDpT10_ENKUlT_T0_E_clISt17integral_constantIbLb0EES1P_IbLb1EEEEDaS1L_S1M_EUlS1L_E_NS1_11comp_targetILNS1_3genE10ELNS1_11target_archE1200ELNS1_3gpuE4ELNS1_3repE0EEENS1_30default_config_static_selectorELNS0_4arch9wavefront6targetE0EEEvSZ_
; %bb.0:
	.section	.rodata,"a",@progbits
	.p2align	6, 0x0
	.amdhsa_kernel _ZN7rocprim17ROCPRIM_400000_NS6detail17trampoline_kernelINS0_13select_configILj256ELj13ELNS0_17block_load_methodE3ELS4_3ELS4_3ELNS0_20block_scan_algorithmE0ELj4294967295EEENS1_25partition_config_selectorILNS1_17partition_subalgoE3EjNS0_10empty_typeEbEEZZNS1_14partition_implILS8_3ELb0ES6_jNS0_17counting_iteratorIjlEEPS9_SE_NS0_5tupleIJPjSE_EEENSF_IJSE_SE_EEES9_SG_JZNS1_25segmented_radix_sort_implINS0_14default_configELb1EPK6__halfPSL_PKlPlN2at6native12_GLOBAL__N_18offset_tEEE10hipError_tPvRmT1_PNSt15iterator_traitsISZ_E10value_typeET2_T3_PNS10_IS15_E10value_typeET4_jRbjT5_S1B_jjP12ihipStream_tbEUljE_EEESW_SX_SY_S15_S19_S1B_T6_T7_T9_mT8_S1D_bDpT10_ENKUlT_T0_E_clISt17integral_constantIbLb0EES1P_IbLb1EEEEDaS1L_S1M_EUlS1L_E_NS1_11comp_targetILNS1_3genE10ELNS1_11target_archE1200ELNS1_3gpuE4ELNS1_3repE0EEENS1_30default_config_static_selectorELNS0_4arch9wavefront6targetE0EEEvSZ_
		.amdhsa_group_segment_fixed_size 0
		.amdhsa_private_segment_fixed_size 0
		.amdhsa_kernarg_size 152
		.amdhsa_user_sgpr_count 2
		.amdhsa_user_sgpr_dispatch_ptr 0
		.amdhsa_user_sgpr_queue_ptr 0
		.amdhsa_user_sgpr_kernarg_segment_ptr 1
		.amdhsa_user_sgpr_dispatch_id 0
		.amdhsa_user_sgpr_kernarg_preload_length 0
		.amdhsa_user_sgpr_kernarg_preload_offset 0
		.amdhsa_user_sgpr_private_segment_size 0
		.amdhsa_wavefront_size32 1
		.amdhsa_uses_dynamic_stack 0
		.amdhsa_enable_private_segment 0
		.amdhsa_system_sgpr_workgroup_id_x 1
		.amdhsa_system_sgpr_workgroup_id_y 0
		.amdhsa_system_sgpr_workgroup_id_z 0
		.amdhsa_system_sgpr_workgroup_info 0
		.amdhsa_system_vgpr_workitem_id 0
		.amdhsa_next_free_vgpr 1
		.amdhsa_next_free_sgpr 1
		.amdhsa_named_barrier_count 0
		.amdhsa_reserve_vcc 0
		.amdhsa_float_round_mode_32 0
		.amdhsa_float_round_mode_16_64 0
		.amdhsa_float_denorm_mode_32 3
		.amdhsa_float_denorm_mode_16_64 3
		.amdhsa_fp16_overflow 0
		.amdhsa_memory_ordered 1
		.amdhsa_forward_progress 1
		.amdhsa_inst_pref_size 0
		.amdhsa_round_robin_scheduling 0
		.amdhsa_exception_fp_ieee_invalid_op 0
		.amdhsa_exception_fp_denorm_src 0
		.amdhsa_exception_fp_ieee_div_zero 0
		.amdhsa_exception_fp_ieee_overflow 0
		.amdhsa_exception_fp_ieee_underflow 0
		.amdhsa_exception_fp_ieee_inexact 0
		.amdhsa_exception_int_div_zero 0
	.end_amdhsa_kernel
	.section	.text._ZN7rocprim17ROCPRIM_400000_NS6detail17trampoline_kernelINS0_13select_configILj256ELj13ELNS0_17block_load_methodE3ELS4_3ELS4_3ELNS0_20block_scan_algorithmE0ELj4294967295EEENS1_25partition_config_selectorILNS1_17partition_subalgoE3EjNS0_10empty_typeEbEEZZNS1_14partition_implILS8_3ELb0ES6_jNS0_17counting_iteratorIjlEEPS9_SE_NS0_5tupleIJPjSE_EEENSF_IJSE_SE_EEES9_SG_JZNS1_25segmented_radix_sort_implINS0_14default_configELb1EPK6__halfPSL_PKlPlN2at6native12_GLOBAL__N_18offset_tEEE10hipError_tPvRmT1_PNSt15iterator_traitsISZ_E10value_typeET2_T3_PNS10_IS15_E10value_typeET4_jRbjT5_S1B_jjP12ihipStream_tbEUljE_EEESW_SX_SY_S15_S19_S1B_T6_T7_T9_mT8_S1D_bDpT10_ENKUlT_T0_E_clISt17integral_constantIbLb0EES1P_IbLb1EEEEDaS1L_S1M_EUlS1L_E_NS1_11comp_targetILNS1_3genE10ELNS1_11target_archE1200ELNS1_3gpuE4ELNS1_3repE0EEENS1_30default_config_static_selectorELNS0_4arch9wavefront6targetE0EEEvSZ_,"axG",@progbits,_ZN7rocprim17ROCPRIM_400000_NS6detail17trampoline_kernelINS0_13select_configILj256ELj13ELNS0_17block_load_methodE3ELS4_3ELS4_3ELNS0_20block_scan_algorithmE0ELj4294967295EEENS1_25partition_config_selectorILNS1_17partition_subalgoE3EjNS0_10empty_typeEbEEZZNS1_14partition_implILS8_3ELb0ES6_jNS0_17counting_iteratorIjlEEPS9_SE_NS0_5tupleIJPjSE_EEENSF_IJSE_SE_EEES9_SG_JZNS1_25segmented_radix_sort_implINS0_14default_configELb1EPK6__halfPSL_PKlPlN2at6native12_GLOBAL__N_18offset_tEEE10hipError_tPvRmT1_PNSt15iterator_traitsISZ_E10value_typeET2_T3_PNS10_IS15_E10value_typeET4_jRbjT5_S1B_jjP12ihipStream_tbEUljE_EEESW_SX_SY_S15_S19_S1B_T6_T7_T9_mT8_S1D_bDpT10_ENKUlT_T0_E_clISt17integral_constantIbLb0EES1P_IbLb1EEEEDaS1L_S1M_EUlS1L_E_NS1_11comp_targetILNS1_3genE10ELNS1_11target_archE1200ELNS1_3gpuE4ELNS1_3repE0EEENS1_30default_config_static_selectorELNS0_4arch9wavefront6targetE0EEEvSZ_,comdat
.Lfunc_end1726:
	.size	_ZN7rocprim17ROCPRIM_400000_NS6detail17trampoline_kernelINS0_13select_configILj256ELj13ELNS0_17block_load_methodE3ELS4_3ELS4_3ELNS0_20block_scan_algorithmE0ELj4294967295EEENS1_25partition_config_selectorILNS1_17partition_subalgoE3EjNS0_10empty_typeEbEEZZNS1_14partition_implILS8_3ELb0ES6_jNS0_17counting_iteratorIjlEEPS9_SE_NS0_5tupleIJPjSE_EEENSF_IJSE_SE_EEES9_SG_JZNS1_25segmented_radix_sort_implINS0_14default_configELb1EPK6__halfPSL_PKlPlN2at6native12_GLOBAL__N_18offset_tEEE10hipError_tPvRmT1_PNSt15iterator_traitsISZ_E10value_typeET2_T3_PNS10_IS15_E10value_typeET4_jRbjT5_S1B_jjP12ihipStream_tbEUljE_EEESW_SX_SY_S15_S19_S1B_T6_T7_T9_mT8_S1D_bDpT10_ENKUlT_T0_E_clISt17integral_constantIbLb0EES1P_IbLb1EEEEDaS1L_S1M_EUlS1L_E_NS1_11comp_targetILNS1_3genE10ELNS1_11target_archE1200ELNS1_3gpuE4ELNS1_3repE0EEENS1_30default_config_static_selectorELNS0_4arch9wavefront6targetE0EEEvSZ_, .Lfunc_end1726-_ZN7rocprim17ROCPRIM_400000_NS6detail17trampoline_kernelINS0_13select_configILj256ELj13ELNS0_17block_load_methodE3ELS4_3ELS4_3ELNS0_20block_scan_algorithmE0ELj4294967295EEENS1_25partition_config_selectorILNS1_17partition_subalgoE3EjNS0_10empty_typeEbEEZZNS1_14partition_implILS8_3ELb0ES6_jNS0_17counting_iteratorIjlEEPS9_SE_NS0_5tupleIJPjSE_EEENSF_IJSE_SE_EEES9_SG_JZNS1_25segmented_radix_sort_implINS0_14default_configELb1EPK6__halfPSL_PKlPlN2at6native12_GLOBAL__N_18offset_tEEE10hipError_tPvRmT1_PNSt15iterator_traitsISZ_E10value_typeET2_T3_PNS10_IS15_E10value_typeET4_jRbjT5_S1B_jjP12ihipStream_tbEUljE_EEESW_SX_SY_S15_S19_S1B_T6_T7_T9_mT8_S1D_bDpT10_ENKUlT_T0_E_clISt17integral_constantIbLb0EES1P_IbLb1EEEEDaS1L_S1M_EUlS1L_E_NS1_11comp_targetILNS1_3genE10ELNS1_11target_archE1200ELNS1_3gpuE4ELNS1_3repE0EEENS1_30default_config_static_selectorELNS0_4arch9wavefront6targetE0EEEvSZ_
                                        ; -- End function
	.set _ZN7rocprim17ROCPRIM_400000_NS6detail17trampoline_kernelINS0_13select_configILj256ELj13ELNS0_17block_load_methodE3ELS4_3ELS4_3ELNS0_20block_scan_algorithmE0ELj4294967295EEENS1_25partition_config_selectorILNS1_17partition_subalgoE3EjNS0_10empty_typeEbEEZZNS1_14partition_implILS8_3ELb0ES6_jNS0_17counting_iteratorIjlEEPS9_SE_NS0_5tupleIJPjSE_EEENSF_IJSE_SE_EEES9_SG_JZNS1_25segmented_radix_sort_implINS0_14default_configELb1EPK6__halfPSL_PKlPlN2at6native12_GLOBAL__N_18offset_tEEE10hipError_tPvRmT1_PNSt15iterator_traitsISZ_E10value_typeET2_T3_PNS10_IS15_E10value_typeET4_jRbjT5_S1B_jjP12ihipStream_tbEUljE_EEESW_SX_SY_S15_S19_S1B_T6_T7_T9_mT8_S1D_bDpT10_ENKUlT_T0_E_clISt17integral_constantIbLb0EES1P_IbLb1EEEEDaS1L_S1M_EUlS1L_E_NS1_11comp_targetILNS1_3genE10ELNS1_11target_archE1200ELNS1_3gpuE4ELNS1_3repE0EEENS1_30default_config_static_selectorELNS0_4arch9wavefront6targetE0EEEvSZ_.num_vgpr, 0
	.set _ZN7rocprim17ROCPRIM_400000_NS6detail17trampoline_kernelINS0_13select_configILj256ELj13ELNS0_17block_load_methodE3ELS4_3ELS4_3ELNS0_20block_scan_algorithmE0ELj4294967295EEENS1_25partition_config_selectorILNS1_17partition_subalgoE3EjNS0_10empty_typeEbEEZZNS1_14partition_implILS8_3ELb0ES6_jNS0_17counting_iteratorIjlEEPS9_SE_NS0_5tupleIJPjSE_EEENSF_IJSE_SE_EEES9_SG_JZNS1_25segmented_radix_sort_implINS0_14default_configELb1EPK6__halfPSL_PKlPlN2at6native12_GLOBAL__N_18offset_tEEE10hipError_tPvRmT1_PNSt15iterator_traitsISZ_E10value_typeET2_T3_PNS10_IS15_E10value_typeET4_jRbjT5_S1B_jjP12ihipStream_tbEUljE_EEESW_SX_SY_S15_S19_S1B_T6_T7_T9_mT8_S1D_bDpT10_ENKUlT_T0_E_clISt17integral_constantIbLb0EES1P_IbLb1EEEEDaS1L_S1M_EUlS1L_E_NS1_11comp_targetILNS1_3genE10ELNS1_11target_archE1200ELNS1_3gpuE4ELNS1_3repE0EEENS1_30default_config_static_selectorELNS0_4arch9wavefront6targetE0EEEvSZ_.num_agpr, 0
	.set _ZN7rocprim17ROCPRIM_400000_NS6detail17trampoline_kernelINS0_13select_configILj256ELj13ELNS0_17block_load_methodE3ELS4_3ELS4_3ELNS0_20block_scan_algorithmE0ELj4294967295EEENS1_25partition_config_selectorILNS1_17partition_subalgoE3EjNS0_10empty_typeEbEEZZNS1_14partition_implILS8_3ELb0ES6_jNS0_17counting_iteratorIjlEEPS9_SE_NS0_5tupleIJPjSE_EEENSF_IJSE_SE_EEES9_SG_JZNS1_25segmented_radix_sort_implINS0_14default_configELb1EPK6__halfPSL_PKlPlN2at6native12_GLOBAL__N_18offset_tEEE10hipError_tPvRmT1_PNSt15iterator_traitsISZ_E10value_typeET2_T3_PNS10_IS15_E10value_typeET4_jRbjT5_S1B_jjP12ihipStream_tbEUljE_EEESW_SX_SY_S15_S19_S1B_T6_T7_T9_mT8_S1D_bDpT10_ENKUlT_T0_E_clISt17integral_constantIbLb0EES1P_IbLb1EEEEDaS1L_S1M_EUlS1L_E_NS1_11comp_targetILNS1_3genE10ELNS1_11target_archE1200ELNS1_3gpuE4ELNS1_3repE0EEENS1_30default_config_static_selectorELNS0_4arch9wavefront6targetE0EEEvSZ_.numbered_sgpr, 0
	.set _ZN7rocprim17ROCPRIM_400000_NS6detail17trampoline_kernelINS0_13select_configILj256ELj13ELNS0_17block_load_methodE3ELS4_3ELS4_3ELNS0_20block_scan_algorithmE0ELj4294967295EEENS1_25partition_config_selectorILNS1_17partition_subalgoE3EjNS0_10empty_typeEbEEZZNS1_14partition_implILS8_3ELb0ES6_jNS0_17counting_iteratorIjlEEPS9_SE_NS0_5tupleIJPjSE_EEENSF_IJSE_SE_EEES9_SG_JZNS1_25segmented_radix_sort_implINS0_14default_configELb1EPK6__halfPSL_PKlPlN2at6native12_GLOBAL__N_18offset_tEEE10hipError_tPvRmT1_PNSt15iterator_traitsISZ_E10value_typeET2_T3_PNS10_IS15_E10value_typeET4_jRbjT5_S1B_jjP12ihipStream_tbEUljE_EEESW_SX_SY_S15_S19_S1B_T6_T7_T9_mT8_S1D_bDpT10_ENKUlT_T0_E_clISt17integral_constantIbLb0EES1P_IbLb1EEEEDaS1L_S1M_EUlS1L_E_NS1_11comp_targetILNS1_3genE10ELNS1_11target_archE1200ELNS1_3gpuE4ELNS1_3repE0EEENS1_30default_config_static_selectorELNS0_4arch9wavefront6targetE0EEEvSZ_.num_named_barrier, 0
	.set _ZN7rocprim17ROCPRIM_400000_NS6detail17trampoline_kernelINS0_13select_configILj256ELj13ELNS0_17block_load_methodE3ELS4_3ELS4_3ELNS0_20block_scan_algorithmE0ELj4294967295EEENS1_25partition_config_selectorILNS1_17partition_subalgoE3EjNS0_10empty_typeEbEEZZNS1_14partition_implILS8_3ELb0ES6_jNS0_17counting_iteratorIjlEEPS9_SE_NS0_5tupleIJPjSE_EEENSF_IJSE_SE_EEES9_SG_JZNS1_25segmented_radix_sort_implINS0_14default_configELb1EPK6__halfPSL_PKlPlN2at6native12_GLOBAL__N_18offset_tEEE10hipError_tPvRmT1_PNSt15iterator_traitsISZ_E10value_typeET2_T3_PNS10_IS15_E10value_typeET4_jRbjT5_S1B_jjP12ihipStream_tbEUljE_EEESW_SX_SY_S15_S19_S1B_T6_T7_T9_mT8_S1D_bDpT10_ENKUlT_T0_E_clISt17integral_constantIbLb0EES1P_IbLb1EEEEDaS1L_S1M_EUlS1L_E_NS1_11comp_targetILNS1_3genE10ELNS1_11target_archE1200ELNS1_3gpuE4ELNS1_3repE0EEENS1_30default_config_static_selectorELNS0_4arch9wavefront6targetE0EEEvSZ_.private_seg_size, 0
	.set _ZN7rocprim17ROCPRIM_400000_NS6detail17trampoline_kernelINS0_13select_configILj256ELj13ELNS0_17block_load_methodE3ELS4_3ELS4_3ELNS0_20block_scan_algorithmE0ELj4294967295EEENS1_25partition_config_selectorILNS1_17partition_subalgoE3EjNS0_10empty_typeEbEEZZNS1_14partition_implILS8_3ELb0ES6_jNS0_17counting_iteratorIjlEEPS9_SE_NS0_5tupleIJPjSE_EEENSF_IJSE_SE_EEES9_SG_JZNS1_25segmented_radix_sort_implINS0_14default_configELb1EPK6__halfPSL_PKlPlN2at6native12_GLOBAL__N_18offset_tEEE10hipError_tPvRmT1_PNSt15iterator_traitsISZ_E10value_typeET2_T3_PNS10_IS15_E10value_typeET4_jRbjT5_S1B_jjP12ihipStream_tbEUljE_EEESW_SX_SY_S15_S19_S1B_T6_T7_T9_mT8_S1D_bDpT10_ENKUlT_T0_E_clISt17integral_constantIbLb0EES1P_IbLb1EEEEDaS1L_S1M_EUlS1L_E_NS1_11comp_targetILNS1_3genE10ELNS1_11target_archE1200ELNS1_3gpuE4ELNS1_3repE0EEENS1_30default_config_static_selectorELNS0_4arch9wavefront6targetE0EEEvSZ_.uses_vcc, 0
	.set _ZN7rocprim17ROCPRIM_400000_NS6detail17trampoline_kernelINS0_13select_configILj256ELj13ELNS0_17block_load_methodE3ELS4_3ELS4_3ELNS0_20block_scan_algorithmE0ELj4294967295EEENS1_25partition_config_selectorILNS1_17partition_subalgoE3EjNS0_10empty_typeEbEEZZNS1_14partition_implILS8_3ELb0ES6_jNS0_17counting_iteratorIjlEEPS9_SE_NS0_5tupleIJPjSE_EEENSF_IJSE_SE_EEES9_SG_JZNS1_25segmented_radix_sort_implINS0_14default_configELb1EPK6__halfPSL_PKlPlN2at6native12_GLOBAL__N_18offset_tEEE10hipError_tPvRmT1_PNSt15iterator_traitsISZ_E10value_typeET2_T3_PNS10_IS15_E10value_typeET4_jRbjT5_S1B_jjP12ihipStream_tbEUljE_EEESW_SX_SY_S15_S19_S1B_T6_T7_T9_mT8_S1D_bDpT10_ENKUlT_T0_E_clISt17integral_constantIbLb0EES1P_IbLb1EEEEDaS1L_S1M_EUlS1L_E_NS1_11comp_targetILNS1_3genE10ELNS1_11target_archE1200ELNS1_3gpuE4ELNS1_3repE0EEENS1_30default_config_static_selectorELNS0_4arch9wavefront6targetE0EEEvSZ_.uses_flat_scratch, 0
	.set _ZN7rocprim17ROCPRIM_400000_NS6detail17trampoline_kernelINS0_13select_configILj256ELj13ELNS0_17block_load_methodE3ELS4_3ELS4_3ELNS0_20block_scan_algorithmE0ELj4294967295EEENS1_25partition_config_selectorILNS1_17partition_subalgoE3EjNS0_10empty_typeEbEEZZNS1_14partition_implILS8_3ELb0ES6_jNS0_17counting_iteratorIjlEEPS9_SE_NS0_5tupleIJPjSE_EEENSF_IJSE_SE_EEES9_SG_JZNS1_25segmented_radix_sort_implINS0_14default_configELb1EPK6__halfPSL_PKlPlN2at6native12_GLOBAL__N_18offset_tEEE10hipError_tPvRmT1_PNSt15iterator_traitsISZ_E10value_typeET2_T3_PNS10_IS15_E10value_typeET4_jRbjT5_S1B_jjP12ihipStream_tbEUljE_EEESW_SX_SY_S15_S19_S1B_T6_T7_T9_mT8_S1D_bDpT10_ENKUlT_T0_E_clISt17integral_constantIbLb0EES1P_IbLb1EEEEDaS1L_S1M_EUlS1L_E_NS1_11comp_targetILNS1_3genE10ELNS1_11target_archE1200ELNS1_3gpuE4ELNS1_3repE0EEENS1_30default_config_static_selectorELNS0_4arch9wavefront6targetE0EEEvSZ_.has_dyn_sized_stack, 0
	.set _ZN7rocprim17ROCPRIM_400000_NS6detail17trampoline_kernelINS0_13select_configILj256ELj13ELNS0_17block_load_methodE3ELS4_3ELS4_3ELNS0_20block_scan_algorithmE0ELj4294967295EEENS1_25partition_config_selectorILNS1_17partition_subalgoE3EjNS0_10empty_typeEbEEZZNS1_14partition_implILS8_3ELb0ES6_jNS0_17counting_iteratorIjlEEPS9_SE_NS0_5tupleIJPjSE_EEENSF_IJSE_SE_EEES9_SG_JZNS1_25segmented_radix_sort_implINS0_14default_configELb1EPK6__halfPSL_PKlPlN2at6native12_GLOBAL__N_18offset_tEEE10hipError_tPvRmT1_PNSt15iterator_traitsISZ_E10value_typeET2_T3_PNS10_IS15_E10value_typeET4_jRbjT5_S1B_jjP12ihipStream_tbEUljE_EEESW_SX_SY_S15_S19_S1B_T6_T7_T9_mT8_S1D_bDpT10_ENKUlT_T0_E_clISt17integral_constantIbLb0EES1P_IbLb1EEEEDaS1L_S1M_EUlS1L_E_NS1_11comp_targetILNS1_3genE10ELNS1_11target_archE1200ELNS1_3gpuE4ELNS1_3repE0EEENS1_30default_config_static_selectorELNS0_4arch9wavefront6targetE0EEEvSZ_.has_recursion, 0
	.set _ZN7rocprim17ROCPRIM_400000_NS6detail17trampoline_kernelINS0_13select_configILj256ELj13ELNS0_17block_load_methodE3ELS4_3ELS4_3ELNS0_20block_scan_algorithmE0ELj4294967295EEENS1_25partition_config_selectorILNS1_17partition_subalgoE3EjNS0_10empty_typeEbEEZZNS1_14partition_implILS8_3ELb0ES6_jNS0_17counting_iteratorIjlEEPS9_SE_NS0_5tupleIJPjSE_EEENSF_IJSE_SE_EEES9_SG_JZNS1_25segmented_radix_sort_implINS0_14default_configELb1EPK6__halfPSL_PKlPlN2at6native12_GLOBAL__N_18offset_tEEE10hipError_tPvRmT1_PNSt15iterator_traitsISZ_E10value_typeET2_T3_PNS10_IS15_E10value_typeET4_jRbjT5_S1B_jjP12ihipStream_tbEUljE_EEESW_SX_SY_S15_S19_S1B_T6_T7_T9_mT8_S1D_bDpT10_ENKUlT_T0_E_clISt17integral_constantIbLb0EES1P_IbLb1EEEEDaS1L_S1M_EUlS1L_E_NS1_11comp_targetILNS1_3genE10ELNS1_11target_archE1200ELNS1_3gpuE4ELNS1_3repE0EEENS1_30default_config_static_selectorELNS0_4arch9wavefront6targetE0EEEvSZ_.has_indirect_call, 0
	.section	.AMDGPU.csdata,"",@progbits
; Kernel info:
; codeLenInByte = 0
; TotalNumSgprs: 0
; NumVgprs: 0
; ScratchSize: 0
; MemoryBound: 0
; FloatMode: 240
; IeeeMode: 1
; LDSByteSize: 0 bytes/workgroup (compile time only)
; SGPRBlocks: 0
; VGPRBlocks: 0
; NumSGPRsForWavesPerEU: 1
; NumVGPRsForWavesPerEU: 1
; NamedBarCnt: 0
; Occupancy: 16
; WaveLimiterHint : 0
; COMPUTE_PGM_RSRC2:SCRATCH_EN: 0
; COMPUTE_PGM_RSRC2:USER_SGPR: 2
; COMPUTE_PGM_RSRC2:TRAP_HANDLER: 0
; COMPUTE_PGM_RSRC2:TGID_X_EN: 1
; COMPUTE_PGM_RSRC2:TGID_Y_EN: 0
; COMPUTE_PGM_RSRC2:TGID_Z_EN: 0
; COMPUTE_PGM_RSRC2:TIDIG_COMP_CNT: 0
	.section	.text._ZN7rocprim17ROCPRIM_400000_NS6detail17trampoline_kernelINS0_13select_configILj256ELj13ELNS0_17block_load_methodE3ELS4_3ELS4_3ELNS0_20block_scan_algorithmE0ELj4294967295EEENS1_25partition_config_selectorILNS1_17partition_subalgoE3EjNS0_10empty_typeEbEEZZNS1_14partition_implILS8_3ELb0ES6_jNS0_17counting_iteratorIjlEEPS9_SE_NS0_5tupleIJPjSE_EEENSF_IJSE_SE_EEES9_SG_JZNS1_25segmented_radix_sort_implINS0_14default_configELb1EPK6__halfPSL_PKlPlN2at6native12_GLOBAL__N_18offset_tEEE10hipError_tPvRmT1_PNSt15iterator_traitsISZ_E10value_typeET2_T3_PNS10_IS15_E10value_typeET4_jRbjT5_S1B_jjP12ihipStream_tbEUljE_EEESW_SX_SY_S15_S19_S1B_T6_T7_T9_mT8_S1D_bDpT10_ENKUlT_T0_E_clISt17integral_constantIbLb0EES1P_IbLb1EEEEDaS1L_S1M_EUlS1L_E_NS1_11comp_targetILNS1_3genE9ELNS1_11target_archE1100ELNS1_3gpuE3ELNS1_3repE0EEENS1_30default_config_static_selectorELNS0_4arch9wavefront6targetE0EEEvSZ_,"axG",@progbits,_ZN7rocprim17ROCPRIM_400000_NS6detail17trampoline_kernelINS0_13select_configILj256ELj13ELNS0_17block_load_methodE3ELS4_3ELS4_3ELNS0_20block_scan_algorithmE0ELj4294967295EEENS1_25partition_config_selectorILNS1_17partition_subalgoE3EjNS0_10empty_typeEbEEZZNS1_14partition_implILS8_3ELb0ES6_jNS0_17counting_iteratorIjlEEPS9_SE_NS0_5tupleIJPjSE_EEENSF_IJSE_SE_EEES9_SG_JZNS1_25segmented_radix_sort_implINS0_14default_configELb1EPK6__halfPSL_PKlPlN2at6native12_GLOBAL__N_18offset_tEEE10hipError_tPvRmT1_PNSt15iterator_traitsISZ_E10value_typeET2_T3_PNS10_IS15_E10value_typeET4_jRbjT5_S1B_jjP12ihipStream_tbEUljE_EEESW_SX_SY_S15_S19_S1B_T6_T7_T9_mT8_S1D_bDpT10_ENKUlT_T0_E_clISt17integral_constantIbLb0EES1P_IbLb1EEEEDaS1L_S1M_EUlS1L_E_NS1_11comp_targetILNS1_3genE9ELNS1_11target_archE1100ELNS1_3gpuE3ELNS1_3repE0EEENS1_30default_config_static_selectorELNS0_4arch9wavefront6targetE0EEEvSZ_,comdat
	.globl	_ZN7rocprim17ROCPRIM_400000_NS6detail17trampoline_kernelINS0_13select_configILj256ELj13ELNS0_17block_load_methodE3ELS4_3ELS4_3ELNS0_20block_scan_algorithmE0ELj4294967295EEENS1_25partition_config_selectorILNS1_17partition_subalgoE3EjNS0_10empty_typeEbEEZZNS1_14partition_implILS8_3ELb0ES6_jNS0_17counting_iteratorIjlEEPS9_SE_NS0_5tupleIJPjSE_EEENSF_IJSE_SE_EEES9_SG_JZNS1_25segmented_radix_sort_implINS0_14default_configELb1EPK6__halfPSL_PKlPlN2at6native12_GLOBAL__N_18offset_tEEE10hipError_tPvRmT1_PNSt15iterator_traitsISZ_E10value_typeET2_T3_PNS10_IS15_E10value_typeET4_jRbjT5_S1B_jjP12ihipStream_tbEUljE_EEESW_SX_SY_S15_S19_S1B_T6_T7_T9_mT8_S1D_bDpT10_ENKUlT_T0_E_clISt17integral_constantIbLb0EES1P_IbLb1EEEEDaS1L_S1M_EUlS1L_E_NS1_11comp_targetILNS1_3genE9ELNS1_11target_archE1100ELNS1_3gpuE3ELNS1_3repE0EEENS1_30default_config_static_selectorELNS0_4arch9wavefront6targetE0EEEvSZ_ ; -- Begin function _ZN7rocprim17ROCPRIM_400000_NS6detail17trampoline_kernelINS0_13select_configILj256ELj13ELNS0_17block_load_methodE3ELS4_3ELS4_3ELNS0_20block_scan_algorithmE0ELj4294967295EEENS1_25partition_config_selectorILNS1_17partition_subalgoE3EjNS0_10empty_typeEbEEZZNS1_14partition_implILS8_3ELb0ES6_jNS0_17counting_iteratorIjlEEPS9_SE_NS0_5tupleIJPjSE_EEENSF_IJSE_SE_EEES9_SG_JZNS1_25segmented_radix_sort_implINS0_14default_configELb1EPK6__halfPSL_PKlPlN2at6native12_GLOBAL__N_18offset_tEEE10hipError_tPvRmT1_PNSt15iterator_traitsISZ_E10value_typeET2_T3_PNS10_IS15_E10value_typeET4_jRbjT5_S1B_jjP12ihipStream_tbEUljE_EEESW_SX_SY_S15_S19_S1B_T6_T7_T9_mT8_S1D_bDpT10_ENKUlT_T0_E_clISt17integral_constantIbLb0EES1P_IbLb1EEEEDaS1L_S1M_EUlS1L_E_NS1_11comp_targetILNS1_3genE9ELNS1_11target_archE1100ELNS1_3gpuE3ELNS1_3repE0EEENS1_30default_config_static_selectorELNS0_4arch9wavefront6targetE0EEEvSZ_
	.p2align	8
	.type	_ZN7rocprim17ROCPRIM_400000_NS6detail17trampoline_kernelINS0_13select_configILj256ELj13ELNS0_17block_load_methodE3ELS4_3ELS4_3ELNS0_20block_scan_algorithmE0ELj4294967295EEENS1_25partition_config_selectorILNS1_17partition_subalgoE3EjNS0_10empty_typeEbEEZZNS1_14partition_implILS8_3ELb0ES6_jNS0_17counting_iteratorIjlEEPS9_SE_NS0_5tupleIJPjSE_EEENSF_IJSE_SE_EEES9_SG_JZNS1_25segmented_radix_sort_implINS0_14default_configELb1EPK6__halfPSL_PKlPlN2at6native12_GLOBAL__N_18offset_tEEE10hipError_tPvRmT1_PNSt15iterator_traitsISZ_E10value_typeET2_T3_PNS10_IS15_E10value_typeET4_jRbjT5_S1B_jjP12ihipStream_tbEUljE_EEESW_SX_SY_S15_S19_S1B_T6_T7_T9_mT8_S1D_bDpT10_ENKUlT_T0_E_clISt17integral_constantIbLb0EES1P_IbLb1EEEEDaS1L_S1M_EUlS1L_E_NS1_11comp_targetILNS1_3genE9ELNS1_11target_archE1100ELNS1_3gpuE3ELNS1_3repE0EEENS1_30default_config_static_selectorELNS0_4arch9wavefront6targetE0EEEvSZ_,@function
_ZN7rocprim17ROCPRIM_400000_NS6detail17trampoline_kernelINS0_13select_configILj256ELj13ELNS0_17block_load_methodE3ELS4_3ELS4_3ELNS0_20block_scan_algorithmE0ELj4294967295EEENS1_25partition_config_selectorILNS1_17partition_subalgoE3EjNS0_10empty_typeEbEEZZNS1_14partition_implILS8_3ELb0ES6_jNS0_17counting_iteratorIjlEEPS9_SE_NS0_5tupleIJPjSE_EEENSF_IJSE_SE_EEES9_SG_JZNS1_25segmented_radix_sort_implINS0_14default_configELb1EPK6__halfPSL_PKlPlN2at6native12_GLOBAL__N_18offset_tEEE10hipError_tPvRmT1_PNSt15iterator_traitsISZ_E10value_typeET2_T3_PNS10_IS15_E10value_typeET4_jRbjT5_S1B_jjP12ihipStream_tbEUljE_EEESW_SX_SY_S15_S19_S1B_T6_T7_T9_mT8_S1D_bDpT10_ENKUlT_T0_E_clISt17integral_constantIbLb0EES1P_IbLb1EEEEDaS1L_S1M_EUlS1L_E_NS1_11comp_targetILNS1_3genE9ELNS1_11target_archE1100ELNS1_3gpuE3ELNS1_3repE0EEENS1_30default_config_static_selectorELNS0_4arch9wavefront6targetE0EEEvSZ_: ; @_ZN7rocprim17ROCPRIM_400000_NS6detail17trampoline_kernelINS0_13select_configILj256ELj13ELNS0_17block_load_methodE3ELS4_3ELS4_3ELNS0_20block_scan_algorithmE0ELj4294967295EEENS1_25partition_config_selectorILNS1_17partition_subalgoE3EjNS0_10empty_typeEbEEZZNS1_14partition_implILS8_3ELb0ES6_jNS0_17counting_iteratorIjlEEPS9_SE_NS0_5tupleIJPjSE_EEENSF_IJSE_SE_EEES9_SG_JZNS1_25segmented_radix_sort_implINS0_14default_configELb1EPK6__halfPSL_PKlPlN2at6native12_GLOBAL__N_18offset_tEEE10hipError_tPvRmT1_PNSt15iterator_traitsISZ_E10value_typeET2_T3_PNS10_IS15_E10value_typeET4_jRbjT5_S1B_jjP12ihipStream_tbEUljE_EEESW_SX_SY_S15_S19_S1B_T6_T7_T9_mT8_S1D_bDpT10_ENKUlT_T0_E_clISt17integral_constantIbLb0EES1P_IbLb1EEEEDaS1L_S1M_EUlS1L_E_NS1_11comp_targetILNS1_3genE9ELNS1_11target_archE1100ELNS1_3gpuE3ELNS1_3repE0EEENS1_30default_config_static_selectorELNS0_4arch9wavefront6targetE0EEEvSZ_
; %bb.0:
	.section	.rodata,"a",@progbits
	.p2align	6, 0x0
	.amdhsa_kernel _ZN7rocprim17ROCPRIM_400000_NS6detail17trampoline_kernelINS0_13select_configILj256ELj13ELNS0_17block_load_methodE3ELS4_3ELS4_3ELNS0_20block_scan_algorithmE0ELj4294967295EEENS1_25partition_config_selectorILNS1_17partition_subalgoE3EjNS0_10empty_typeEbEEZZNS1_14partition_implILS8_3ELb0ES6_jNS0_17counting_iteratorIjlEEPS9_SE_NS0_5tupleIJPjSE_EEENSF_IJSE_SE_EEES9_SG_JZNS1_25segmented_radix_sort_implINS0_14default_configELb1EPK6__halfPSL_PKlPlN2at6native12_GLOBAL__N_18offset_tEEE10hipError_tPvRmT1_PNSt15iterator_traitsISZ_E10value_typeET2_T3_PNS10_IS15_E10value_typeET4_jRbjT5_S1B_jjP12ihipStream_tbEUljE_EEESW_SX_SY_S15_S19_S1B_T6_T7_T9_mT8_S1D_bDpT10_ENKUlT_T0_E_clISt17integral_constantIbLb0EES1P_IbLb1EEEEDaS1L_S1M_EUlS1L_E_NS1_11comp_targetILNS1_3genE9ELNS1_11target_archE1100ELNS1_3gpuE3ELNS1_3repE0EEENS1_30default_config_static_selectorELNS0_4arch9wavefront6targetE0EEEvSZ_
		.amdhsa_group_segment_fixed_size 0
		.amdhsa_private_segment_fixed_size 0
		.amdhsa_kernarg_size 152
		.amdhsa_user_sgpr_count 2
		.amdhsa_user_sgpr_dispatch_ptr 0
		.amdhsa_user_sgpr_queue_ptr 0
		.amdhsa_user_sgpr_kernarg_segment_ptr 1
		.amdhsa_user_sgpr_dispatch_id 0
		.amdhsa_user_sgpr_kernarg_preload_length 0
		.amdhsa_user_sgpr_kernarg_preload_offset 0
		.amdhsa_user_sgpr_private_segment_size 0
		.amdhsa_wavefront_size32 1
		.amdhsa_uses_dynamic_stack 0
		.amdhsa_enable_private_segment 0
		.amdhsa_system_sgpr_workgroup_id_x 1
		.amdhsa_system_sgpr_workgroup_id_y 0
		.amdhsa_system_sgpr_workgroup_id_z 0
		.amdhsa_system_sgpr_workgroup_info 0
		.amdhsa_system_vgpr_workitem_id 0
		.amdhsa_next_free_vgpr 1
		.amdhsa_next_free_sgpr 1
		.amdhsa_named_barrier_count 0
		.amdhsa_reserve_vcc 0
		.amdhsa_float_round_mode_32 0
		.amdhsa_float_round_mode_16_64 0
		.amdhsa_float_denorm_mode_32 3
		.amdhsa_float_denorm_mode_16_64 3
		.amdhsa_fp16_overflow 0
		.amdhsa_memory_ordered 1
		.amdhsa_forward_progress 1
		.amdhsa_inst_pref_size 0
		.amdhsa_round_robin_scheduling 0
		.amdhsa_exception_fp_ieee_invalid_op 0
		.amdhsa_exception_fp_denorm_src 0
		.amdhsa_exception_fp_ieee_div_zero 0
		.amdhsa_exception_fp_ieee_overflow 0
		.amdhsa_exception_fp_ieee_underflow 0
		.amdhsa_exception_fp_ieee_inexact 0
		.amdhsa_exception_int_div_zero 0
	.end_amdhsa_kernel
	.section	.text._ZN7rocprim17ROCPRIM_400000_NS6detail17trampoline_kernelINS0_13select_configILj256ELj13ELNS0_17block_load_methodE3ELS4_3ELS4_3ELNS0_20block_scan_algorithmE0ELj4294967295EEENS1_25partition_config_selectorILNS1_17partition_subalgoE3EjNS0_10empty_typeEbEEZZNS1_14partition_implILS8_3ELb0ES6_jNS0_17counting_iteratorIjlEEPS9_SE_NS0_5tupleIJPjSE_EEENSF_IJSE_SE_EEES9_SG_JZNS1_25segmented_radix_sort_implINS0_14default_configELb1EPK6__halfPSL_PKlPlN2at6native12_GLOBAL__N_18offset_tEEE10hipError_tPvRmT1_PNSt15iterator_traitsISZ_E10value_typeET2_T3_PNS10_IS15_E10value_typeET4_jRbjT5_S1B_jjP12ihipStream_tbEUljE_EEESW_SX_SY_S15_S19_S1B_T6_T7_T9_mT8_S1D_bDpT10_ENKUlT_T0_E_clISt17integral_constantIbLb0EES1P_IbLb1EEEEDaS1L_S1M_EUlS1L_E_NS1_11comp_targetILNS1_3genE9ELNS1_11target_archE1100ELNS1_3gpuE3ELNS1_3repE0EEENS1_30default_config_static_selectorELNS0_4arch9wavefront6targetE0EEEvSZ_,"axG",@progbits,_ZN7rocprim17ROCPRIM_400000_NS6detail17trampoline_kernelINS0_13select_configILj256ELj13ELNS0_17block_load_methodE3ELS4_3ELS4_3ELNS0_20block_scan_algorithmE0ELj4294967295EEENS1_25partition_config_selectorILNS1_17partition_subalgoE3EjNS0_10empty_typeEbEEZZNS1_14partition_implILS8_3ELb0ES6_jNS0_17counting_iteratorIjlEEPS9_SE_NS0_5tupleIJPjSE_EEENSF_IJSE_SE_EEES9_SG_JZNS1_25segmented_radix_sort_implINS0_14default_configELb1EPK6__halfPSL_PKlPlN2at6native12_GLOBAL__N_18offset_tEEE10hipError_tPvRmT1_PNSt15iterator_traitsISZ_E10value_typeET2_T3_PNS10_IS15_E10value_typeET4_jRbjT5_S1B_jjP12ihipStream_tbEUljE_EEESW_SX_SY_S15_S19_S1B_T6_T7_T9_mT8_S1D_bDpT10_ENKUlT_T0_E_clISt17integral_constantIbLb0EES1P_IbLb1EEEEDaS1L_S1M_EUlS1L_E_NS1_11comp_targetILNS1_3genE9ELNS1_11target_archE1100ELNS1_3gpuE3ELNS1_3repE0EEENS1_30default_config_static_selectorELNS0_4arch9wavefront6targetE0EEEvSZ_,comdat
.Lfunc_end1727:
	.size	_ZN7rocprim17ROCPRIM_400000_NS6detail17trampoline_kernelINS0_13select_configILj256ELj13ELNS0_17block_load_methodE3ELS4_3ELS4_3ELNS0_20block_scan_algorithmE0ELj4294967295EEENS1_25partition_config_selectorILNS1_17partition_subalgoE3EjNS0_10empty_typeEbEEZZNS1_14partition_implILS8_3ELb0ES6_jNS0_17counting_iteratorIjlEEPS9_SE_NS0_5tupleIJPjSE_EEENSF_IJSE_SE_EEES9_SG_JZNS1_25segmented_radix_sort_implINS0_14default_configELb1EPK6__halfPSL_PKlPlN2at6native12_GLOBAL__N_18offset_tEEE10hipError_tPvRmT1_PNSt15iterator_traitsISZ_E10value_typeET2_T3_PNS10_IS15_E10value_typeET4_jRbjT5_S1B_jjP12ihipStream_tbEUljE_EEESW_SX_SY_S15_S19_S1B_T6_T7_T9_mT8_S1D_bDpT10_ENKUlT_T0_E_clISt17integral_constantIbLb0EES1P_IbLb1EEEEDaS1L_S1M_EUlS1L_E_NS1_11comp_targetILNS1_3genE9ELNS1_11target_archE1100ELNS1_3gpuE3ELNS1_3repE0EEENS1_30default_config_static_selectorELNS0_4arch9wavefront6targetE0EEEvSZ_, .Lfunc_end1727-_ZN7rocprim17ROCPRIM_400000_NS6detail17trampoline_kernelINS0_13select_configILj256ELj13ELNS0_17block_load_methodE3ELS4_3ELS4_3ELNS0_20block_scan_algorithmE0ELj4294967295EEENS1_25partition_config_selectorILNS1_17partition_subalgoE3EjNS0_10empty_typeEbEEZZNS1_14partition_implILS8_3ELb0ES6_jNS0_17counting_iteratorIjlEEPS9_SE_NS0_5tupleIJPjSE_EEENSF_IJSE_SE_EEES9_SG_JZNS1_25segmented_radix_sort_implINS0_14default_configELb1EPK6__halfPSL_PKlPlN2at6native12_GLOBAL__N_18offset_tEEE10hipError_tPvRmT1_PNSt15iterator_traitsISZ_E10value_typeET2_T3_PNS10_IS15_E10value_typeET4_jRbjT5_S1B_jjP12ihipStream_tbEUljE_EEESW_SX_SY_S15_S19_S1B_T6_T7_T9_mT8_S1D_bDpT10_ENKUlT_T0_E_clISt17integral_constantIbLb0EES1P_IbLb1EEEEDaS1L_S1M_EUlS1L_E_NS1_11comp_targetILNS1_3genE9ELNS1_11target_archE1100ELNS1_3gpuE3ELNS1_3repE0EEENS1_30default_config_static_selectorELNS0_4arch9wavefront6targetE0EEEvSZ_
                                        ; -- End function
	.set _ZN7rocprim17ROCPRIM_400000_NS6detail17trampoline_kernelINS0_13select_configILj256ELj13ELNS0_17block_load_methodE3ELS4_3ELS4_3ELNS0_20block_scan_algorithmE0ELj4294967295EEENS1_25partition_config_selectorILNS1_17partition_subalgoE3EjNS0_10empty_typeEbEEZZNS1_14partition_implILS8_3ELb0ES6_jNS0_17counting_iteratorIjlEEPS9_SE_NS0_5tupleIJPjSE_EEENSF_IJSE_SE_EEES9_SG_JZNS1_25segmented_radix_sort_implINS0_14default_configELb1EPK6__halfPSL_PKlPlN2at6native12_GLOBAL__N_18offset_tEEE10hipError_tPvRmT1_PNSt15iterator_traitsISZ_E10value_typeET2_T3_PNS10_IS15_E10value_typeET4_jRbjT5_S1B_jjP12ihipStream_tbEUljE_EEESW_SX_SY_S15_S19_S1B_T6_T7_T9_mT8_S1D_bDpT10_ENKUlT_T0_E_clISt17integral_constantIbLb0EES1P_IbLb1EEEEDaS1L_S1M_EUlS1L_E_NS1_11comp_targetILNS1_3genE9ELNS1_11target_archE1100ELNS1_3gpuE3ELNS1_3repE0EEENS1_30default_config_static_selectorELNS0_4arch9wavefront6targetE0EEEvSZ_.num_vgpr, 0
	.set _ZN7rocprim17ROCPRIM_400000_NS6detail17trampoline_kernelINS0_13select_configILj256ELj13ELNS0_17block_load_methodE3ELS4_3ELS4_3ELNS0_20block_scan_algorithmE0ELj4294967295EEENS1_25partition_config_selectorILNS1_17partition_subalgoE3EjNS0_10empty_typeEbEEZZNS1_14partition_implILS8_3ELb0ES6_jNS0_17counting_iteratorIjlEEPS9_SE_NS0_5tupleIJPjSE_EEENSF_IJSE_SE_EEES9_SG_JZNS1_25segmented_radix_sort_implINS0_14default_configELb1EPK6__halfPSL_PKlPlN2at6native12_GLOBAL__N_18offset_tEEE10hipError_tPvRmT1_PNSt15iterator_traitsISZ_E10value_typeET2_T3_PNS10_IS15_E10value_typeET4_jRbjT5_S1B_jjP12ihipStream_tbEUljE_EEESW_SX_SY_S15_S19_S1B_T6_T7_T9_mT8_S1D_bDpT10_ENKUlT_T0_E_clISt17integral_constantIbLb0EES1P_IbLb1EEEEDaS1L_S1M_EUlS1L_E_NS1_11comp_targetILNS1_3genE9ELNS1_11target_archE1100ELNS1_3gpuE3ELNS1_3repE0EEENS1_30default_config_static_selectorELNS0_4arch9wavefront6targetE0EEEvSZ_.num_agpr, 0
	.set _ZN7rocprim17ROCPRIM_400000_NS6detail17trampoline_kernelINS0_13select_configILj256ELj13ELNS0_17block_load_methodE3ELS4_3ELS4_3ELNS0_20block_scan_algorithmE0ELj4294967295EEENS1_25partition_config_selectorILNS1_17partition_subalgoE3EjNS0_10empty_typeEbEEZZNS1_14partition_implILS8_3ELb0ES6_jNS0_17counting_iteratorIjlEEPS9_SE_NS0_5tupleIJPjSE_EEENSF_IJSE_SE_EEES9_SG_JZNS1_25segmented_radix_sort_implINS0_14default_configELb1EPK6__halfPSL_PKlPlN2at6native12_GLOBAL__N_18offset_tEEE10hipError_tPvRmT1_PNSt15iterator_traitsISZ_E10value_typeET2_T3_PNS10_IS15_E10value_typeET4_jRbjT5_S1B_jjP12ihipStream_tbEUljE_EEESW_SX_SY_S15_S19_S1B_T6_T7_T9_mT8_S1D_bDpT10_ENKUlT_T0_E_clISt17integral_constantIbLb0EES1P_IbLb1EEEEDaS1L_S1M_EUlS1L_E_NS1_11comp_targetILNS1_3genE9ELNS1_11target_archE1100ELNS1_3gpuE3ELNS1_3repE0EEENS1_30default_config_static_selectorELNS0_4arch9wavefront6targetE0EEEvSZ_.numbered_sgpr, 0
	.set _ZN7rocprim17ROCPRIM_400000_NS6detail17trampoline_kernelINS0_13select_configILj256ELj13ELNS0_17block_load_methodE3ELS4_3ELS4_3ELNS0_20block_scan_algorithmE0ELj4294967295EEENS1_25partition_config_selectorILNS1_17partition_subalgoE3EjNS0_10empty_typeEbEEZZNS1_14partition_implILS8_3ELb0ES6_jNS0_17counting_iteratorIjlEEPS9_SE_NS0_5tupleIJPjSE_EEENSF_IJSE_SE_EEES9_SG_JZNS1_25segmented_radix_sort_implINS0_14default_configELb1EPK6__halfPSL_PKlPlN2at6native12_GLOBAL__N_18offset_tEEE10hipError_tPvRmT1_PNSt15iterator_traitsISZ_E10value_typeET2_T3_PNS10_IS15_E10value_typeET4_jRbjT5_S1B_jjP12ihipStream_tbEUljE_EEESW_SX_SY_S15_S19_S1B_T6_T7_T9_mT8_S1D_bDpT10_ENKUlT_T0_E_clISt17integral_constantIbLb0EES1P_IbLb1EEEEDaS1L_S1M_EUlS1L_E_NS1_11comp_targetILNS1_3genE9ELNS1_11target_archE1100ELNS1_3gpuE3ELNS1_3repE0EEENS1_30default_config_static_selectorELNS0_4arch9wavefront6targetE0EEEvSZ_.num_named_barrier, 0
	.set _ZN7rocprim17ROCPRIM_400000_NS6detail17trampoline_kernelINS0_13select_configILj256ELj13ELNS0_17block_load_methodE3ELS4_3ELS4_3ELNS0_20block_scan_algorithmE0ELj4294967295EEENS1_25partition_config_selectorILNS1_17partition_subalgoE3EjNS0_10empty_typeEbEEZZNS1_14partition_implILS8_3ELb0ES6_jNS0_17counting_iteratorIjlEEPS9_SE_NS0_5tupleIJPjSE_EEENSF_IJSE_SE_EEES9_SG_JZNS1_25segmented_radix_sort_implINS0_14default_configELb1EPK6__halfPSL_PKlPlN2at6native12_GLOBAL__N_18offset_tEEE10hipError_tPvRmT1_PNSt15iterator_traitsISZ_E10value_typeET2_T3_PNS10_IS15_E10value_typeET4_jRbjT5_S1B_jjP12ihipStream_tbEUljE_EEESW_SX_SY_S15_S19_S1B_T6_T7_T9_mT8_S1D_bDpT10_ENKUlT_T0_E_clISt17integral_constantIbLb0EES1P_IbLb1EEEEDaS1L_S1M_EUlS1L_E_NS1_11comp_targetILNS1_3genE9ELNS1_11target_archE1100ELNS1_3gpuE3ELNS1_3repE0EEENS1_30default_config_static_selectorELNS0_4arch9wavefront6targetE0EEEvSZ_.private_seg_size, 0
	.set _ZN7rocprim17ROCPRIM_400000_NS6detail17trampoline_kernelINS0_13select_configILj256ELj13ELNS0_17block_load_methodE3ELS4_3ELS4_3ELNS0_20block_scan_algorithmE0ELj4294967295EEENS1_25partition_config_selectorILNS1_17partition_subalgoE3EjNS0_10empty_typeEbEEZZNS1_14partition_implILS8_3ELb0ES6_jNS0_17counting_iteratorIjlEEPS9_SE_NS0_5tupleIJPjSE_EEENSF_IJSE_SE_EEES9_SG_JZNS1_25segmented_radix_sort_implINS0_14default_configELb1EPK6__halfPSL_PKlPlN2at6native12_GLOBAL__N_18offset_tEEE10hipError_tPvRmT1_PNSt15iterator_traitsISZ_E10value_typeET2_T3_PNS10_IS15_E10value_typeET4_jRbjT5_S1B_jjP12ihipStream_tbEUljE_EEESW_SX_SY_S15_S19_S1B_T6_T7_T9_mT8_S1D_bDpT10_ENKUlT_T0_E_clISt17integral_constantIbLb0EES1P_IbLb1EEEEDaS1L_S1M_EUlS1L_E_NS1_11comp_targetILNS1_3genE9ELNS1_11target_archE1100ELNS1_3gpuE3ELNS1_3repE0EEENS1_30default_config_static_selectorELNS0_4arch9wavefront6targetE0EEEvSZ_.uses_vcc, 0
	.set _ZN7rocprim17ROCPRIM_400000_NS6detail17trampoline_kernelINS0_13select_configILj256ELj13ELNS0_17block_load_methodE3ELS4_3ELS4_3ELNS0_20block_scan_algorithmE0ELj4294967295EEENS1_25partition_config_selectorILNS1_17partition_subalgoE3EjNS0_10empty_typeEbEEZZNS1_14partition_implILS8_3ELb0ES6_jNS0_17counting_iteratorIjlEEPS9_SE_NS0_5tupleIJPjSE_EEENSF_IJSE_SE_EEES9_SG_JZNS1_25segmented_radix_sort_implINS0_14default_configELb1EPK6__halfPSL_PKlPlN2at6native12_GLOBAL__N_18offset_tEEE10hipError_tPvRmT1_PNSt15iterator_traitsISZ_E10value_typeET2_T3_PNS10_IS15_E10value_typeET4_jRbjT5_S1B_jjP12ihipStream_tbEUljE_EEESW_SX_SY_S15_S19_S1B_T6_T7_T9_mT8_S1D_bDpT10_ENKUlT_T0_E_clISt17integral_constantIbLb0EES1P_IbLb1EEEEDaS1L_S1M_EUlS1L_E_NS1_11comp_targetILNS1_3genE9ELNS1_11target_archE1100ELNS1_3gpuE3ELNS1_3repE0EEENS1_30default_config_static_selectorELNS0_4arch9wavefront6targetE0EEEvSZ_.uses_flat_scratch, 0
	.set _ZN7rocprim17ROCPRIM_400000_NS6detail17trampoline_kernelINS0_13select_configILj256ELj13ELNS0_17block_load_methodE3ELS4_3ELS4_3ELNS0_20block_scan_algorithmE0ELj4294967295EEENS1_25partition_config_selectorILNS1_17partition_subalgoE3EjNS0_10empty_typeEbEEZZNS1_14partition_implILS8_3ELb0ES6_jNS0_17counting_iteratorIjlEEPS9_SE_NS0_5tupleIJPjSE_EEENSF_IJSE_SE_EEES9_SG_JZNS1_25segmented_radix_sort_implINS0_14default_configELb1EPK6__halfPSL_PKlPlN2at6native12_GLOBAL__N_18offset_tEEE10hipError_tPvRmT1_PNSt15iterator_traitsISZ_E10value_typeET2_T3_PNS10_IS15_E10value_typeET4_jRbjT5_S1B_jjP12ihipStream_tbEUljE_EEESW_SX_SY_S15_S19_S1B_T6_T7_T9_mT8_S1D_bDpT10_ENKUlT_T0_E_clISt17integral_constantIbLb0EES1P_IbLb1EEEEDaS1L_S1M_EUlS1L_E_NS1_11comp_targetILNS1_3genE9ELNS1_11target_archE1100ELNS1_3gpuE3ELNS1_3repE0EEENS1_30default_config_static_selectorELNS0_4arch9wavefront6targetE0EEEvSZ_.has_dyn_sized_stack, 0
	.set _ZN7rocprim17ROCPRIM_400000_NS6detail17trampoline_kernelINS0_13select_configILj256ELj13ELNS0_17block_load_methodE3ELS4_3ELS4_3ELNS0_20block_scan_algorithmE0ELj4294967295EEENS1_25partition_config_selectorILNS1_17partition_subalgoE3EjNS0_10empty_typeEbEEZZNS1_14partition_implILS8_3ELb0ES6_jNS0_17counting_iteratorIjlEEPS9_SE_NS0_5tupleIJPjSE_EEENSF_IJSE_SE_EEES9_SG_JZNS1_25segmented_radix_sort_implINS0_14default_configELb1EPK6__halfPSL_PKlPlN2at6native12_GLOBAL__N_18offset_tEEE10hipError_tPvRmT1_PNSt15iterator_traitsISZ_E10value_typeET2_T3_PNS10_IS15_E10value_typeET4_jRbjT5_S1B_jjP12ihipStream_tbEUljE_EEESW_SX_SY_S15_S19_S1B_T6_T7_T9_mT8_S1D_bDpT10_ENKUlT_T0_E_clISt17integral_constantIbLb0EES1P_IbLb1EEEEDaS1L_S1M_EUlS1L_E_NS1_11comp_targetILNS1_3genE9ELNS1_11target_archE1100ELNS1_3gpuE3ELNS1_3repE0EEENS1_30default_config_static_selectorELNS0_4arch9wavefront6targetE0EEEvSZ_.has_recursion, 0
	.set _ZN7rocprim17ROCPRIM_400000_NS6detail17trampoline_kernelINS0_13select_configILj256ELj13ELNS0_17block_load_methodE3ELS4_3ELS4_3ELNS0_20block_scan_algorithmE0ELj4294967295EEENS1_25partition_config_selectorILNS1_17partition_subalgoE3EjNS0_10empty_typeEbEEZZNS1_14partition_implILS8_3ELb0ES6_jNS0_17counting_iteratorIjlEEPS9_SE_NS0_5tupleIJPjSE_EEENSF_IJSE_SE_EEES9_SG_JZNS1_25segmented_radix_sort_implINS0_14default_configELb1EPK6__halfPSL_PKlPlN2at6native12_GLOBAL__N_18offset_tEEE10hipError_tPvRmT1_PNSt15iterator_traitsISZ_E10value_typeET2_T3_PNS10_IS15_E10value_typeET4_jRbjT5_S1B_jjP12ihipStream_tbEUljE_EEESW_SX_SY_S15_S19_S1B_T6_T7_T9_mT8_S1D_bDpT10_ENKUlT_T0_E_clISt17integral_constantIbLb0EES1P_IbLb1EEEEDaS1L_S1M_EUlS1L_E_NS1_11comp_targetILNS1_3genE9ELNS1_11target_archE1100ELNS1_3gpuE3ELNS1_3repE0EEENS1_30default_config_static_selectorELNS0_4arch9wavefront6targetE0EEEvSZ_.has_indirect_call, 0
	.section	.AMDGPU.csdata,"",@progbits
; Kernel info:
; codeLenInByte = 0
; TotalNumSgprs: 0
; NumVgprs: 0
; ScratchSize: 0
; MemoryBound: 0
; FloatMode: 240
; IeeeMode: 1
; LDSByteSize: 0 bytes/workgroup (compile time only)
; SGPRBlocks: 0
; VGPRBlocks: 0
; NumSGPRsForWavesPerEU: 1
; NumVGPRsForWavesPerEU: 1
; NamedBarCnt: 0
; Occupancy: 16
; WaveLimiterHint : 0
; COMPUTE_PGM_RSRC2:SCRATCH_EN: 0
; COMPUTE_PGM_RSRC2:USER_SGPR: 2
; COMPUTE_PGM_RSRC2:TRAP_HANDLER: 0
; COMPUTE_PGM_RSRC2:TGID_X_EN: 1
; COMPUTE_PGM_RSRC2:TGID_Y_EN: 0
; COMPUTE_PGM_RSRC2:TGID_Z_EN: 0
; COMPUTE_PGM_RSRC2:TIDIG_COMP_CNT: 0
	.section	.text._ZN7rocprim17ROCPRIM_400000_NS6detail17trampoline_kernelINS0_13select_configILj256ELj13ELNS0_17block_load_methodE3ELS4_3ELS4_3ELNS0_20block_scan_algorithmE0ELj4294967295EEENS1_25partition_config_selectorILNS1_17partition_subalgoE3EjNS0_10empty_typeEbEEZZNS1_14partition_implILS8_3ELb0ES6_jNS0_17counting_iteratorIjlEEPS9_SE_NS0_5tupleIJPjSE_EEENSF_IJSE_SE_EEES9_SG_JZNS1_25segmented_radix_sort_implINS0_14default_configELb1EPK6__halfPSL_PKlPlN2at6native12_GLOBAL__N_18offset_tEEE10hipError_tPvRmT1_PNSt15iterator_traitsISZ_E10value_typeET2_T3_PNS10_IS15_E10value_typeET4_jRbjT5_S1B_jjP12ihipStream_tbEUljE_EEESW_SX_SY_S15_S19_S1B_T6_T7_T9_mT8_S1D_bDpT10_ENKUlT_T0_E_clISt17integral_constantIbLb0EES1P_IbLb1EEEEDaS1L_S1M_EUlS1L_E_NS1_11comp_targetILNS1_3genE8ELNS1_11target_archE1030ELNS1_3gpuE2ELNS1_3repE0EEENS1_30default_config_static_selectorELNS0_4arch9wavefront6targetE0EEEvSZ_,"axG",@progbits,_ZN7rocprim17ROCPRIM_400000_NS6detail17trampoline_kernelINS0_13select_configILj256ELj13ELNS0_17block_load_methodE3ELS4_3ELS4_3ELNS0_20block_scan_algorithmE0ELj4294967295EEENS1_25partition_config_selectorILNS1_17partition_subalgoE3EjNS0_10empty_typeEbEEZZNS1_14partition_implILS8_3ELb0ES6_jNS0_17counting_iteratorIjlEEPS9_SE_NS0_5tupleIJPjSE_EEENSF_IJSE_SE_EEES9_SG_JZNS1_25segmented_radix_sort_implINS0_14default_configELb1EPK6__halfPSL_PKlPlN2at6native12_GLOBAL__N_18offset_tEEE10hipError_tPvRmT1_PNSt15iterator_traitsISZ_E10value_typeET2_T3_PNS10_IS15_E10value_typeET4_jRbjT5_S1B_jjP12ihipStream_tbEUljE_EEESW_SX_SY_S15_S19_S1B_T6_T7_T9_mT8_S1D_bDpT10_ENKUlT_T0_E_clISt17integral_constantIbLb0EES1P_IbLb1EEEEDaS1L_S1M_EUlS1L_E_NS1_11comp_targetILNS1_3genE8ELNS1_11target_archE1030ELNS1_3gpuE2ELNS1_3repE0EEENS1_30default_config_static_selectorELNS0_4arch9wavefront6targetE0EEEvSZ_,comdat
	.globl	_ZN7rocprim17ROCPRIM_400000_NS6detail17trampoline_kernelINS0_13select_configILj256ELj13ELNS0_17block_load_methodE3ELS4_3ELS4_3ELNS0_20block_scan_algorithmE0ELj4294967295EEENS1_25partition_config_selectorILNS1_17partition_subalgoE3EjNS0_10empty_typeEbEEZZNS1_14partition_implILS8_3ELb0ES6_jNS0_17counting_iteratorIjlEEPS9_SE_NS0_5tupleIJPjSE_EEENSF_IJSE_SE_EEES9_SG_JZNS1_25segmented_radix_sort_implINS0_14default_configELb1EPK6__halfPSL_PKlPlN2at6native12_GLOBAL__N_18offset_tEEE10hipError_tPvRmT1_PNSt15iterator_traitsISZ_E10value_typeET2_T3_PNS10_IS15_E10value_typeET4_jRbjT5_S1B_jjP12ihipStream_tbEUljE_EEESW_SX_SY_S15_S19_S1B_T6_T7_T9_mT8_S1D_bDpT10_ENKUlT_T0_E_clISt17integral_constantIbLb0EES1P_IbLb1EEEEDaS1L_S1M_EUlS1L_E_NS1_11comp_targetILNS1_3genE8ELNS1_11target_archE1030ELNS1_3gpuE2ELNS1_3repE0EEENS1_30default_config_static_selectorELNS0_4arch9wavefront6targetE0EEEvSZ_ ; -- Begin function _ZN7rocprim17ROCPRIM_400000_NS6detail17trampoline_kernelINS0_13select_configILj256ELj13ELNS0_17block_load_methodE3ELS4_3ELS4_3ELNS0_20block_scan_algorithmE0ELj4294967295EEENS1_25partition_config_selectorILNS1_17partition_subalgoE3EjNS0_10empty_typeEbEEZZNS1_14partition_implILS8_3ELb0ES6_jNS0_17counting_iteratorIjlEEPS9_SE_NS0_5tupleIJPjSE_EEENSF_IJSE_SE_EEES9_SG_JZNS1_25segmented_radix_sort_implINS0_14default_configELb1EPK6__halfPSL_PKlPlN2at6native12_GLOBAL__N_18offset_tEEE10hipError_tPvRmT1_PNSt15iterator_traitsISZ_E10value_typeET2_T3_PNS10_IS15_E10value_typeET4_jRbjT5_S1B_jjP12ihipStream_tbEUljE_EEESW_SX_SY_S15_S19_S1B_T6_T7_T9_mT8_S1D_bDpT10_ENKUlT_T0_E_clISt17integral_constantIbLb0EES1P_IbLb1EEEEDaS1L_S1M_EUlS1L_E_NS1_11comp_targetILNS1_3genE8ELNS1_11target_archE1030ELNS1_3gpuE2ELNS1_3repE0EEENS1_30default_config_static_selectorELNS0_4arch9wavefront6targetE0EEEvSZ_
	.p2align	8
	.type	_ZN7rocprim17ROCPRIM_400000_NS6detail17trampoline_kernelINS0_13select_configILj256ELj13ELNS0_17block_load_methodE3ELS4_3ELS4_3ELNS0_20block_scan_algorithmE0ELj4294967295EEENS1_25partition_config_selectorILNS1_17partition_subalgoE3EjNS0_10empty_typeEbEEZZNS1_14partition_implILS8_3ELb0ES6_jNS0_17counting_iteratorIjlEEPS9_SE_NS0_5tupleIJPjSE_EEENSF_IJSE_SE_EEES9_SG_JZNS1_25segmented_radix_sort_implINS0_14default_configELb1EPK6__halfPSL_PKlPlN2at6native12_GLOBAL__N_18offset_tEEE10hipError_tPvRmT1_PNSt15iterator_traitsISZ_E10value_typeET2_T3_PNS10_IS15_E10value_typeET4_jRbjT5_S1B_jjP12ihipStream_tbEUljE_EEESW_SX_SY_S15_S19_S1B_T6_T7_T9_mT8_S1D_bDpT10_ENKUlT_T0_E_clISt17integral_constantIbLb0EES1P_IbLb1EEEEDaS1L_S1M_EUlS1L_E_NS1_11comp_targetILNS1_3genE8ELNS1_11target_archE1030ELNS1_3gpuE2ELNS1_3repE0EEENS1_30default_config_static_selectorELNS0_4arch9wavefront6targetE0EEEvSZ_,@function
_ZN7rocprim17ROCPRIM_400000_NS6detail17trampoline_kernelINS0_13select_configILj256ELj13ELNS0_17block_load_methodE3ELS4_3ELS4_3ELNS0_20block_scan_algorithmE0ELj4294967295EEENS1_25partition_config_selectorILNS1_17partition_subalgoE3EjNS0_10empty_typeEbEEZZNS1_14partition_implILS8_3ELb0ES6_jNS0_17counting_iteratorIjlEEPS9_SE_NS0_5tupleIJPjSE_EEENSF_IJSE_SE_EEES9_SG_JZNS1_25segmented_radix_sort_implINS0_14default_configELb1EPK6__halfPSL_PKlPlN2at6native12_GLOBAL__N_18offset_tEEE10hipError_tPvRmT1_PNSt15iterator_traitsISZ_E10value_typeET2_T3_PNS10_IS15_E10value_typeET4_jRbjT5_S1B_jjP12ihipStream_tbEUljE_EEESW_SX_SY_S15_S19_S1B_T6_T7_T9_mT8_S1D_bDpT10_ENKUlT_T0_E_clISt17integral_constantIbLb0EES1P_IbLb1EEEEDaS1L_S1M_EUlS1L_E_NS1_11comp_targetILNS1_3genE8ELNS1_11target_archE1030ELNS1_3gpuE2ELNS1_3repE0EEENS1_30default_config_static_selectorELNS0_4arch9wavefront6targetE0EEEvSZ_: ; @_ZN7rocprim17ROCPRIM_400000_NS6detail17trampoline_kernelINS0_13select_configILj256ELj13ELNS0_17block_load_methodE3ELS4_3ELS4_3ELNS0_20block_scan_algorithmE0ELj4294967295EEENS1_25partition_config_selectorILNS1_17partition_subalgoE3EjNS0_10empty_typeEbEEZZNS1_14partition_implILS8_3ELb0ES6_jNS0_17counting_iteratorIjlEEPS9_SE_NS0_5tupleIJPjSE_EEENSF_IJSE_SE_EEES9_SG_JZNS1_25segmented_radix_sort_implINS0_14default_configELb1EPK6__halfPSL_PKlPlN2at6native12_GLOBAL__N_18offset_tEEE10hipError_tPvRmT1_PNSt15iterator_traitsISZ_E10value_typeET2_T3_PNS10_IS15_E10value_typeET4_jRbjT5_S1B_jjP12ihipStream_tbEUljE_EEESW_SX_SY_S15_S19_S1B_T6_T7_T9_mT8_S1D_bDpT10_ENKUlT_T0_E_clISt17integral_constantIbLb0EES1P_IbLb1EEEEDaS1L_S1M_EUlS1L_E_NS1_11comp_targetILNS1_3genE8ELNS1_11target_archE1030ELNS1_3gpuE2ELNS1_3repE0EEENS1_30default_config_static_selectorELNS0_4arch9wavefront6targetE0EEEvSZ_
; %bb.0:
	.section	.rodata,"a",@progbits
	.p2align	6, 0x0
	.amdhsa_kernel _ZN7rocprim17ROCPRIM_400000_NS6detail17trampoline_kernelINS0_13select_configILj256ELj13ELNS0_17block_load_methodE3ELS4_3ELS4_3ELNS0_20block_scan_algorithmE0ELj4294967295EEENS1_25partition_config_selectorILNS1_17partition_subalgoE3EjNS0_10empty_typeEbEEZZNS1_14partition_implILS8_3ELb0ES6_jNS0_17counting_iteratorIjlEEPS9_SE_NS0_5tupleIJPjSE_EEENSF_IJSE_SE_EEES9_SG_JZNS1_25segmented_radix_sort_implINS0_14default_configELb1EPK6__halfPSL_PKlPlN2at6native12_GLOBAL__N_18offset_tEEE10hipError_tPvRmT1_PNSt15iterator_traitsISZ_E10value_typeET2_T3_PNS10_IS15_E10value_typeET4_jRbjT5_S1B_jjP12ihipStream_tbEUljE_EEESW_SX_SY_S15_S19_S1B_T6_T7_T9_mT8_S1D_bDpT10_ENKUlT_T0_E_clISt17integral_constantIbLb0EES1P_IbLb1EEEEDaS1L_S1M_EUlS1L_E_NS1_11comp_targetILNS1_3genE8ELNS1_11target_archE1030ELNS1_3gpuE2ELNS1_3repE0EEENS1_30default_config_static_selectorELNS0_4arch9wavefront6targetE0EEEvSZ_
		.amdhsa_group_segment_fixed_size 0
		.amdhsa_private_segment_fixed_size 0
		.amdhsa_kernarg_size 152
		.amdhsa_user_sgpr_count 2
		.amdhsa_user_sgpr_dispatch_ptr 0
		.amdhsa_user_sgpr_queue_ptr 0
		.amdhsa_user_sgpr_kernarg_segment_ptr 1
		.amdhsa_user_sgpr_dispatch_id 0
		.amdhsa_user_sgpr_kernarg_preload_length 0
		.amdhsa_user_sgpr_kernarg_preload_offset 0
		.amdhsa_user_sgpr_private_segment_size 0
		.amdhsa_wavefront_size32 1
		.amdhsa_uses_dynamic_stack 0
		.amdhsa_enable_private_segment 0
		.amdhsa_system_sgpr_workgroup_id_x 1
		.amdhsa_system_sgpr_workgroup_id_y 0
		.amdhsa_system_sgpr_workgroup_id_z 0
		.amdhsa_system_sgpr_workgroup_info 0
		.amdhsa_system_vgpr_workitem_id 0
		.amdhsa_next_free_vgpr 1
		.amdhsa_next_free_sgpr 1
		.amdhsa_named_barrier_count 0
		.amdhsa_reserve_vcc 0
		.amdhsa_float_round_mode_32 0
		.amdhsa_float_round_mode_16_64 0
		.amdhsa_float_denorm_mode_32 3
		.amdhsa_float_denorm_mode_16_64 3
		.amdhsa_fp16_overflow 0
		.amdhsa_memory_ordered 1
		.amdhsa_forward_progress 1
		.amdhsa_inst_pref_size 0
		.amdhsa_round_robin_scheduling 0
		.amdhsa_exception_fp_ieee_invalid_op 0
		.amdhsa_exception_fp_denorm_src 0
		.amdhsa_exception_fp_ieee_div_zero 0
		.amdhsa_exception_fp_ieee_overflow 0
		.amdhsa_exception_fp_ieee_underflow 0
		.amdhsa_exception_fp_ieee_inexact 0
		.amdhsa_exception_int_div_zero 0
	.end_amdhsa_kernel
	.section	.text._ZN7rocprim17ROCPRIM_400000_NS6detail17trampoline_kernelINS0_13select_configILj256ELj13ELNS0_17block_load_methodE3ELS4_3ELS4_3ELNS0_20block_scan_algorithmE0ELj4294967295EEENS1_25partition_config_selectorILNS1_17partition_subalgoE3EjNS0_10empty_typeEbEEZZNS1_14partition_implILS8_3ELb0ES6_jNS0_17counting_iteratorIjlEEPS9_SE_NS0_5tupleIJPjSE_EEENSF_IJSE_SE_EEES9_SG_JZNS1_25segmented_radix_sort_implINS0_14default_configELb1EPK6__halfPSL_PKlPlN2at6native12_GLOBAL__N_18offset_tEEE10hipError_tPvRmT1_PNSt15iterator_traitsISZ_E10value_typeET2_T3_PNS10_IS15_E10value_typeET4_jRbjT5_S1B_jjP12ihipStream_tbEUljE_EEESW_SX_SY_S15_S19_S1B_T6_T7_T9_mT8_S1D_bDpT10_ENKUlT_T0_E_clISt17integral_constantIbLb0EES1P_IbLb1EEEEDaS1L_S1M_EUlS1L_E_NS1_11comp_targetILNS1_3genE8ELNS1_11target_archE1030ELNS1_3gpuE2ELNS1_3repE0EEENS1_30default_config_static_selectorELNS0_4arch9wavefront6targetE0EEEvSZ_,"axG",@progbits,_ZN7rocprim17ROCPRIM_400000_NS6detail17trampoline_kernelINS0_13select_configILj256ELj13ELNS0_17block_load_methodE3ELS4_3ELS4_3ELNS0_20block_scan_algorithmE0ELj4294967295EEENS1_25partition_config_selectorILNS1_17partition_subalgoE3EjNS0_10empty_typeEbEEZZNS1_14partition_implILS8_3ELb0ES6_jNS0_17counting_iteratorIjlEEPS9_SE_NS0_5tupleIJPjSE_EEENSF_IJSE_SE_EEES9_SG_JZNS1_25segmented_radix_sort_implINS0_14default_configELb1EPK6__halfPSL_PKlPlN2at6native12_GLOBAL__N_18offset_tEEE10hipError_tPvRmT1_PNSt15iterator_traitsISZ_E10value_typeET2_T3_PNS10_IS15_E10value_typeET4_jRbjT5_S1B_jjP12ihipStream_tbEUljE_EEESW_SX_SY_S15_S19_S1B_T6_T7_T9_mT8_S1D_bDpT10_ENKUlT_T0_E_clISt17integral_constantIbLb0EES1P_IbLb1EEEEDaS1L_S1M_EUlS1L_E_NS1_11comp_targetILNS1_3genE8ELNS1_11target_archE1030ELNS1_3gpuE2ELNS1_3repE0EEENS1_30default_config_static_selectorELNS0_4arch9wavefront6targetE0EEEvSZ_,comdat
.Lfunc_end1728:
	.size	_ZN7rocprim17ROCPRIM_400000_NS6detail17trampoline_kernelINS0_13select_configILj256ELj13ELNS0_17block_load_methodE3ELS4_3ELS4_3ELNS0_20block_scan_algorithmE0ELj4294967295EEENS1_25partition_config_selectorILNS1_17partition_subalgoE3EjNS0_10empty_typeEbEEZZNS1_14partition_implILS8_3ELb0ES6_jNS0_17counting_iteratorIjlEEPS9_SE_NS0_5tupleIJPjSE_EEENSF_IJSE_SE_EEES9_SG_JZNS1_25segmented_radix_sort_implINS0_14default_configELb1EPK6__halfPSL_PKlPlN2at6native12_GLOBAL__N_18offset_tEEE10hipError_tPvRmT1_PNSt15iterator_traitsISZ_E10value_typeET2_T3_PNS10_IS15_E10value_typeET4_jRbjT5_S1B_jjP12ihipStream_tbEUljE_EEESW_SX_SY_S15_S19_S1B_T6_T7_T9_mT8_S1D_bDpT10_ENKUlT_T0_E_clISt17integral_constantIbLb0EES1P_IbLb1EEEEDaS1L_S1M_EUlS1L_E_NS1_11comp_targetILNS1_3genE8ELNS1_11target_archE1030ELNS1_3gpuE2ELNS1_3repE0EEENS1_30default_config_static_selectorELNS0_4arch9wavefront6targetE0EEEvSZ_, .Lfunc_end1728-_ZN7rocprim17ROCPRIM_400000_NS6detail17trampoline_kernelINS0_13select_configILj256ELj13ELNS0_17block_load_methodE3ELS4_3ELS4_3ELNS0_20block_scan_algorithmE0ELj4294967295EEENS1_25partition_config_selectorILNS1_17partition_subalgoE3EjNS0_10empty_typeEbEEZZNS1_14partition_implILS8_3ELb0ES6_jNS0_17counting_iteratorIjlEEPS9_SE_NS0_5tupleIJPjSE_EEENSF_IJSE_SE_EEES9_SG_JZNS1_25segmented_radix_sort_implINS0_14default_configELb1EPK6__halfPSL_PKlPlN2at6native12_GLOBAL__N_18offset_tEEE10hipError_tPvRmT1_PNSt15iterator_traitsISZ_E10value_typeET2_T3_PNS10_IS15_E10value_typeET4_jRbjT5_S1B_jjP12ihipStream_tbEUljE_EEESW_SX_SY_S15_S19_S1B_T6_T7_T9_mT8_S1D_bDpT10_ENKUlT_T0_E_clISt17integral_constantIbLb0EES1P_IbLb1EEEEDaS1L_S1M_EUlS1L_E_NS1_11comp_targetILNS1_3genE8ELNS1_11target_archE1030ELNS1_3gpuE2ELNS1_3repE0EEENS1_30default_config_static_selectorELNS0_4arch9wavefront6targetE0EEEvSZ_
                                        ; -- End function
	.set _ZN7rocprim17ROCPRIM_400000_NS6detail17trampoline_kernelINS0_13select_configILj256ELj13ELNS0_17block_load_methodE3ELS4_3ELS4_3ELNS0_20block_scan_algorithmE0ELj4294967295EEENS1_25partition_config_selectorILNS1_17partition_subalgoE3EjNS0_10empty_typeEbEEZZNS1_14partition_implILS8_3ELb0ES6_jNS0_17counting_iteratorIjlEEPS9_SE_NS0_5tupleIJPjSE_EEENSF_IJSE_SE_EEES9_SG_JZNS1_25segmented_radix_sort_implINS0_14default_configELb1EPK6__halfPSL_PKlPlN2at6native12_GLOBAL__N_18offset_tEEE10hipError_tPvRmT1_PNSt15iterator_traitsISZ_E10value_typeET2_T3_PNS10_IS15_E10value_typeET4_jRbjT5_S1B_jjP12ihipStream_tbEUljE_EEESW_SX_SY_S15_S19_S1B_T6_T7_T9_mT8_S1D_bDpT10_ENKUlT_T0_E_clISt17integral_constantIbLb0EES1P_IbLb1EEEEDaS1L_S1M_EUlS1L_E_NS1_11comp_targetILNS1_3genE8ELNS1_11target_archE1030ELNS1_3gpuE2ELNS1_3repE0EEENS1_30default_config_static_selectorELNS0_4arch9wavefront6targetE0EEEvSZ_.num_vgpr, 0
	.set _ZN7rocprim17ROCPRIM_400000_NS6detail17trampoline_kernelINS0_13select_configILj256ELj13ELNS0_17block_load_methodE3ELS4_3ELS4_3ELNS0_20block_scan_algorithmE0ELj4294967295EEENS1_25partition_config_selectorILNS1_17partition_subalgoE3EjNS0_10empty_typeEbEEZZNS1_14partition_implILS8_3ELb0ES6_jNS0_17counting_iteratorIjlEEPS9_SE_NS0_5tupleIJPjSE_EEENSF_IJSE_SE_EEES9_SG_JZNS1_25segmented_radix_sort_implINS0_14default_configELb1EPK6__halfPSL_PKlPlN2at6native12_GLOBAL__N_18offset_tEEE10hipError_tPvRmT1_PNSt15iterator_traitsISZ_E10value_typeET2_T3_PNS10_IS15_E10value_typeET4_jRbjT5_S1B_jjP12ihipStream_tbEUljE_EEESW_SX_SY_S15_S19_S1B_T6_T7_T9_mT8_S1D_bDpT10_ENKUlT_T0_E_clISt17integral_constantIbLb0EES1P_IbLb1EEEEDaS1L_S1M_EUlS1L_E_NS1_11comp_targetILNS1_3genE8ELNS1_11target_archE1030ELNS1_3gpuE2ELNS1_3repE0EEENS1_30default_config_static_selectorELNS0_4arch9wavefront6targetE0EEEvSZ_.num_agpr, 0
	.set _ZN7rocprim17ROCPRIM_400000_NS6detail17trampoline_kernelINS0_13select_configILj256ELj13ELNS0_17block_load_methodE3ELS4_3ELS4_3ELNS0_20block_scan_algorithmE0ELj4294967295EEENS1_25partition_config_selectorILNS1_17partition_subalgoE3EjNS0_10empty_typeEbEEZZNS1_14partition_implILS8_3ELb0ES6_jNS0_17counting_iteratorIjlEEPS9_SE_NS0_5tupleIJPjSE_EEENSF_IJSE_SE_EEES9_SG_JZNS1_25segmented_radix_sort_implINS0_14default_configELb1EPK6__halfPSL_PKlPlN2at6native12_GLOBAL__N_18offset_tEEE10hipError_tPvRmT1_PNSt15iterator_traitsISZ_E10value_typeET2_T3_PNS10_IS15_E10value_typeET4_jRbjT5_S1B_jjP12ihipStream_tbEUljE_EEESW_SX_SY_S15_S19_S1B_T6_T7_T9_mT8_S1D_bDpT10_ENKUlT_T0_E_clISt17integral_constantIbLb0EES1P_IbLb1EEEEDaS1L_S1M_EUlS1L_E_NS1_11comp_targetILNS1_3genE8ELNS1_11target_archE1030ELNS1_3gpuE2ELNS1_3repE0EEENS1_30default_config_static_selectorELNS0_4arch9wavefront6targetE0EEEvSZ_.numbered_sgpr, 0
	.set _ZN7rocprim17ROCPRIM_400000_NS6detail17trampoline_kernelINS0_13select_configILj256ELj13ELNS0_17block_load_methodE3ELS4_3ELS4_3ELNS0_20block_scan_algorithmE0ELj4294967295EEENS1_25partition_config_selectorILNS1_17partition_subalgoE3EjNS0_10empty_typeEbEEZZNS1_14partition_implILS8_3ELb0ES6_jNS0_17counting_iteratorIjlEEPS9_SE_NS0_5tupleIJPjSE_EEENSF_IJSE_SE_EEES9_SG_JZNS1_25segmented_radix_sort_implINS0_14default_configELb1EPK6__halfPSL_PKlPlN2at6native12_GLOBAL__N_18offset_tEEE10hipError_tPvRmT1_PNSt15iterator_traitsISZ_E10value_typeET2_T3_PNS10_IS15_E10value_typeET4_jRbjT5_S1B_jjP12ihipStream_tbEUljE_EEESW_SX_SY_S15_S19_S1B_T6_T7_T9_mT8_S1D_bDpT10_ENKUlT_T0_E_clISt17integral_constantIbLb0EES1P_IbLb1EEEEDaS1L_S1M_EUlS1L_E_NS1_11comp_targetILNS1_3genE8ELNS1_11target_archE1030ELNS1_3gpuE2ELNS1_3repE0EEENS1_30default_config_static_selectorELNS0_4arch9wavefront6targetE0EEEvSZ_.num_named_barrier, 0
	.set _ZN7rocprim17ROCPRIM_400000_NS6detail17trampoline_kernelINS0_13select_configILj256ELj13ELNS0_17block_load_methodE3ELS4_3ELS4_3ELNS0_20block_scan_algorithmE0ELj4294967295EEENS1_25partition_config_selectorILNS1_17partition_subalgoE3EjNS0_10empty_typeEbEEZZNS1_14partition_implILS8_3ELb0ES6_jNS0_17counting_iteratorIjlEEPS9_SE_NS0_5tupleIJPjSE_EEENSF_IJSE_SE_EEES9_SG_JZNS1_25segmented_radix_sort_implINS0_14default_configELb1EPK6__halfPSL_PKlPlN2at6native12_GLOBAL__N_18offset_tEEE10hipError_tPvRmT1_PNSt15iterator_traitsISZ_E10value_typeET2_T3_PNS10_IS15_E10value_typeET4_jRbjT5_S1B_jjP12ihipStream_tbEUljE_EEESW_SX_SY_S15_S19_S1B_T6_T7_T9_mT8_S1D_bDpT10_ENKUlT_T0_E_clISt17integral_constantIbLb0EES1P_IbLb1EEEEDaS1L_S1M_EUlS1L_E_NS1_11comp_targetILNS1_3genE8ELNS1_11target_archE1030ELNS1_3gpuE2ELNS1_3repE0EEENS1_30default_config_static_selectorELNS0_4arch9wavefront6targetE0EEEvSZ_.private_seg_size, 0
	.set _ZN7rocprim17ROCPRIM_400000_NS6detail17trampoline_kernelINS0_13select_configILj256ELj13ELNS0_17block_load_methodE3ELS4_3ELS4_3ELNS0_20block_scan_algorithmE0ELj4294967295EEENS1_25partition_config_selectorILNS1_17partition_subalgoE3EjNS0_10empty_typeEbEEZZNS1_14partition_implILS8_3ELb0ES6_jNS0_17counting_iteratorIjlEEPS9_SE_NS0_5tupleIJPjSE_EEENSF_IJSE_SE_EEES9_SG_JZNS1_25segmented_radix_sort_implINS0_14default_configELb1EPK6__halfPSL_PKlPlN2at6native12_GLOBAL__N_18offset_tEEE10hipError_tPvRmT1_PNSt15iterator_traitsISZ_E10value_typeET2_T3_PNS10_IS15_E10value_typeET4_jRbjT5_S1B_jjP12ihipStream_tbEUljE_EEESW_SX_SY_S15_S19_S1B_T6_T7_T9_mT8_S1D_bDpT10_ENKUlT_T0_E_clISt17integral_constantIbLb0EES1P_IbLb1EEEEDaS1L_S1M_EUlS1L_E_NS1_11comp_targetILNS1_3genE8ELNS1_11target_archE1030ELNS1_3gpuE2ELNS1_3repE0EEENS1_30default_config_static_selectorELNS0_4arch9wavefront6targetE0EEEvSZ_.uses_vcc, 0
	.set _ZN7rocprim17ROCPRIM_400000_NS6detail17trampoline_kernelINS0_13select_configILj256ELj13ELNS0_17block_load_methodE3ELS4_3ELS4_3ELNS0_20block_scan_algorithmE0ELj4294967295EEENS1_25partition_config_selectorILNS1_17partition_subalgoE3EjNS0_10empty_typeEbEEZZNS1_14partition_implILS8_3ELb0ES6_jNS0_17counting_iteratorIjlEEPS9_SE_NS0_5tupleIJPjSE_EEENSF_IJSE_SE_EEES9_SG_JZNS1_25segmented_radix_sort_implINS0_14default_configELb1EPK6__halfPSL_PKlPlN2at6native12_GLOBAL__N_18offset_tEEE10hipError_tPvRmT1_PNSt15iterator_traitsISZ_E10value_typeET2_T3_PNS10_IS15_E10value_typeET4_jRbjT5_S1B_jjP12ihipStream_tbEUljE_EEESW_SX_SY_S15_S19_S1B_T6_T7_T9_mT8_S1D_bDpT10_ENKUlT_T0_E_clISt17integral_constantIbLb0EES1P_IbLb1EEEEDaS1L_S1M_EUlS1L_E_NS1_11comp_targetILNS1_3genE8ELNS1_11target_archE1030ELNS1_3gpuE2ELNS1_3repE0EEENS1_30default_config_static_selectorELNS0_4arch9wavefront6targetE0EEEvSZ_.uses_flat_scratch, 0
	.set _ZN7rocprim17ROCPRIM_400000_NS6detail17trampoline_kernelINS0_13select_configILj256ELj13ELNS0_17block_load_methodE3ELS4_3ELS4_3ELNS0_20block_scan_algorithmE0ELj4294967295EEENS1_25partition_config_selectorILNS1_17partition_subalgoE3EjNS0_10empty_typeEbEEZZNS1_14partition_implILS8_3ELb0ES6_jNS0_17counting_iteratorIjlEEPS9_SE_NS0_5tupleIJPjSE_EEENSF_IJSE_SE_EEES9_SG_JZNS1_25segmented_radix_sort_implINS0_14default_configELb1EPK6__halfPSL_PKlPlN2at6native12_GLOBAL__N_18offset_tEEE10hipError_tPvRmT1_PNSt15iterator_traitsISZ_E10value_typeET2_T3_PNS10_IS15_E10value_typeET4_jRbjT5_S1B_jjP12ihipStream_tbEUljE_EEESW_SX_SY_S15_S19_S1B_T6_T7_T9_mT8_S1D_bDpT10_ENKUlT_T0_E_clISt17integral_constantIbLb0EES1P_IbLb1EEEEDaS1L_S1M_EUlS1L_E_NS1_11comp_targetILNS1_3genE8ELNS1_11target_archE1030ELNS1_3gpuE2ELNS1_3repE0EEENS1_30default_config_static_selectorELNS0_4arch9wavefront6targetE0EEEvSZ_.has_dyn_sized_stack, 0
	.set _ZN7rocprim17ROCPRIM_400000_NS6detail17trampoline_kernelINS0_13select_configILj256ELj13ELNS0_17block_load_methodE3ELS4_3ELS4_3ELNS0_20block_scan_algorithmE0ELj4294967295EEENS1_25partition_config_selectorILNS1_17partition_subalgoE3EjNS0_10empty_typeEbEEZZNS1_14partition_implILS8_3ELb0ES6_jNS0_17counting_iteratorIjlEEPS9_SE_NS0_5tupleIJPjSE_EEENSF_IJSE_SE_EEES9_SG_JZNS1_25segmented_radix_sort_implINS0_14default_configELb1EPK6__halfPSL_PKlPlN2at6native12_GLOBAL__N_18offset_tEEE10hipError_tPvRmT1_PNSt15iterator_traitsISZ_E10value_typeET2_T3_PNS10_IS15_E10value_typeET4_jRbjT5_S1B_jjP12ihipStream_tbEUljE_EEESW_SX_SY_S15_S19_S1B_T6_T7_T9_mT8_S1D_bDpT10_ENKUlT_T0_E_clISt17integral_constantIbLb0EES1P_IbLb1EEEEDaS1L_S1M_EUlS1L_E_NS1_11comp_targetILNS1_3genE8ELNS1_11target_archE1030ELNS1_3gpuE2ELNS1_3repE0EEENS1_30default_config_static_selectorELNS0_4arch9wavefront6targetE0EEEvSZ_.has_recursion, 0
	.set _ZN7rocprim17ROCPRIM_400000_NS6detail17trampoline_kernelINS0_13select_configILj256ELj13ELNS0_17block_load_methodE3ELS4_3ELS4_3ELNS0_20block_scan_algorithmE0ELj4294967295EEENS1_25partition_config_selectorILNS1_17partition_subalgoE3EjNS0_10empty_typeEbEEZZNS1_14partition_implILS8_3ELb0ES6_jNS0_17counting_iteratorIjlEEPS9_SE_NS0_5tupleIJPjSE_EEENSF_IJSE_SE_EEES9_SG_JZNS1_25segmented_radix_sort_implINS0_14default_configELb1EPK6__halfPSL_PKlPlN2at6native12_GLOBAL__N_18offset_tEEE10hipError_tPvRmT1_PNSt15iterator_traitsISZ_E10value_typeET2_T3_PNS10_IS15_E10value_typeET4_jRbjT5_S1B_jjP12ihipStream_tbEUljE_EEESW_SX_SY_S15_S19_S1B_T6_T7_T9_mT8_S1D_bDpT10_ENKUlT_T0_E_clISt17integral_constantIbLb0EES1P_IbLb1EEEEDaS1L_S1M_EUlS1L_E_NS1_11comp_targetILNS1_3genE8ELNS1_11target_archE1030ELNS1_3gpuE2ELNS1_3repE0EEENS1_30default_config_static_selectorELNS0_4arch9wavefront6targetE0EEEvSZ_.has_indirect_call, 0
	.section	.AMDGPU.csdata,"",@progbits
; Kernel info:
; codeLenInByte = 0
; TotalNumSgprs: 0
; NumVgprs: 0
; ScratchSize: 0
; MemoryBound: 0
; FloatMode: 240
; IeeeMode: 1
; LDSByteSize: 0 bytes/workgroup (compile time only)
; SGPRBlocks: 0
; VGPRBlocks: 0
; NumSGPRsForWavesPerEU: 1
; NumVGPRsForWavesPerEU: 1
; NamedBarCnt: 0
; Occupancy: 16
; WaveLimiterHint : 0
; COMPUTE_PGM_RSRC2:SCRATCH_EN: 0
; COMPUTE_PGM_RSRC2:USER_SGPR: 2
; COMPUTE_PGM_RSRC2:TRAP_HANDLER: 0
; COMPUTE_PGM_RSRC2:TGID_X_EN: 1
; COMPUTE_PGM_RSRC2:TGID_Y_EN: 0
; COMPUTE_PGM_RSRC2:TGID_Z_EN: 0
; COMPUTE_PGM_RSRC2:TIDIG_COMP_CNT: 0
	.text
	.p2align	2                               ; -- Begin function _ZN7rocprim17ROCPRIM_400000_NS6detail40segmented_radix_sort_single_block_helperI6__halflLj256ELj16ELb1EE4sortIPKS3_PS3_PKlPlEEbT_T0_T1_T2_jjjjRNS4_12storage_typeE
	.type	_ZN7rocprim17ROCPRIM_400000_NS6detail40segmented_radix_sort_single_block_helperI6__halflLj256ELj16ELb1EE4sortIPKS3_PS3_PKlPlEEbT_T0_T1_T2_jjjjRNS4_12storage_typeE,@function
_ZN7rocprim17ROCPRIM_400000_NS6detail40segmented_radix_sort_single_block_helperI6__halflLj256ELj16ELb1EE4sortIPKS3_PS3_PKlPlEEbT_T0_T1_T2_jjjjRNS4_12storage_typeE: ; @_ZN7rocprim17ROCPRIM_400000_NS6detail40segmented_radix_sort_single_block_helperI6__halflLj256ELj16ELb1EE4sortIPKS3_PS3_PKlPlEEbT_T0_T1_T2_jjjjRNS4_12storage_typeE
; %bb.0:
	s_wait_loadcnt_dscnt 0x0
	s_wait_kmcnt 0x0
	s_set_vgpr_msb 64                       ;  msbs: dst=1 src0=0 src1=0 src2=0
	v_sub_nc_u32_e32 v0 /*v256*/, v9, v8
	s_mov_b32 s22, exec_lo
	s_set_vgpr_msb 4                        ;  msbs: dst=0 src0=0 src1=1 src2=0
	s_delay_alu instid0(VALU_DEP_1)
	v_cmpx_gt_u32_e32 0x1001, v0 /*v256*/
	s_set_vgpr_msb 0                        ;  msbs: dst=0 src0=0 src1=0 src2=0
	s_cbranch_execz .LBB1729_372
; %bb.1:
	v_bfe_u32 v9, v31, 10, 10
	v_bfe_u32 v14, v31, 20, 10
	v_and_b32_e32 v30, 0x3ff, v31
	v_mbcnt_lo_u32_b32 v33, -1, 0
	s_getreg_b32 s23, hwreg(HW_REG_IB_STS2, 6, 4)
	s_mov_b32 s0, exec_lo
	s_set_vgpr_msb 4                        ;  msbs: dst=0 src0=0 src1=1 src2=0
	v_cmpx_lt_u32_e32 0x800, v0 /*v256*/
	s_xor_b32 s21, exec_lo, s0
	s_set_vgpr_msb 0                        ;  msbs: dst=0 src0=0 src1=0 src2=0
	s_cbranch_execz .LBB1729_143
; %bb.2:
	s_load_b64 s[0:1], s[8:9], 0x0
	s_bfe_u32 s3, ttmp6, 0x4000c
	s_bfe_u32 s5, ttmp6, 0x40010
	s_and_b32 s4, ttmp7, 0xffff
	s_add_co_i32 s3, s3, 1
	s_add_co_i32 s5, s5, 1
	s_and_b32 s2, ttmp6, 15
	s_bfe_u32 s6, ttmp6, 0x40004
	s_mul_i32 s3, ttmp9, s3
	s_mul_i32 s5, s4, s5
	s_add_co_i32 s2, s2, s3
	s_add_co_i32 s6, s6, s5
	s_cmp_eq_u32 s23, 0
	s_mov_b32 s3, 0
	s_cselect_b32 s2, ttmp9, s2
	s_cselect_b32 s4, s4, s6
	s_wait_kmcnt 0x0
	s_cmp_lt_u32 s2, s0
	s_cselect_b32 s2, 12, 18
	s_cmp_lt_u32 s4, s1
	s_mov_b32 s1, s3
	s_cselect_b32 s0, 14, 20
	s_delay_alu instid0(SALU_CYCLE_1)
	s_add_nc_u64 s[0:1], s[8:9], s[0:1]
	s_load_u16 s4, s[0:1], 0x0
	s_wait_xcnt 0x0
	s_add_nc_u64 s[0:1], s[8:9], s[2:3]
	s_load_u16 s0, s[0:1], 0x0
	s_wait_kmcnt 0x0
	v_mad_u32_u24 v9, v14, s4, v9
	v_lshlrev_b32_e32 v14, 1, v33
	s_delay_alu instid0(VALU_DEP_2) | instskip(SKIP_1) | instid1(VALU_DEP_1)
	v_mad_u32 v38, v9, s0, v30
	v_mov_b32_e32 v9, 0
	v_lshl_add_u64 v[16:17], v[8:9], 1, v[0:1]
	s_delay_alu instid0(VALU_DEP_3) | instskip(NEXT) | instid1(VALU_DEP_1)
	v_dual_mov_b32 v15, v9 :: v_dual_lshlrev_b32 v18, 4, v38
	v_add_nc_u64_e32 v[14:15], v[16:17], v[14:15]
	v_dual_mov_b32 v16, -1 :: v_dual_mov_b32 v17, -1
	s_delay_alu instid0(VALU_DEP_3) | instskip(NEXT) | instid1(VALU_DEP_1)
	v_and_b32_e32 v0, 0xfffffe00, v18
	v_dual_mov_b32 v1, v9 :: v_dual_bitop2_b32 v34, v0, v33 bitop3:0x54
	s_delay_alu instid0(VALU_DEP_1) | instskip(SKIP_1) | instid1(VALU_DEP_2)
	v_lshl_add_u64 v[14:15], v[0:1], 1, v[14:15]
	s_set_vgpr_msb 4                        ;  msbs: dst=0 src0=0 src1=1 src2=0
	v_cmp_lt_u32_e32 vcc_lo, v34, v0 /*v256*/
	s_and_saveexec_b32 s0, vcc_lo
	s_set_vgpr_msb 0                        ;  msbs: dst=0 src0=0 src1=0 src2=0
	s_cbranch_execz .LBB1729_4
; %bb.3:
	flat_load_u16 v17, v[14:15]
.LBB1729_4:
	s_wait_xcnt 0x0
	s_or_b32 exec_lo, exec_lo, s0
	v_or_b32_e32 v18, 32, v34
	s_set_vgpr_msb 4                        ;  msbs: dst=0 src0=0 src1=1 src2=0
	s_delay_alu instid0(VALU_DEP_1)
	v_cmp_lt_u32_e64 s0, v18, v0 /*v256*/
	s_and_saveexec_b32 s1, s0
	s_set_vgpr_msb 0                        ;  msbs: dst=0 src0=0 src1=0 src2=0
	s_cbranch_execz .LBB1729_6
; %bb.5:
	flat_load_u16 v16, v[14:15] offset:64
.LBB1729_6:
	s_wait_xcnt 0x0
	s_or_b32 exec_lo, exec_lo, s1
	v_dual_mov_b32 v18, -1 :: v_dual_bitop2_b32 v19, 64, v34 bitop3:0x54
	s_set_vgpr_msb 4                        ;  msbs: dst=0 src0=0 src1=1 src2=0
	s_delay_alu instid0(VALU_DEP_1)
	v_cmp_lt_u32_e64 s1, v19, v0 /*v256*/
	v_mov_b32_e32 v19, -1
	s_and_saveexec_b32 s2, s1
	s_set_vgpr_msb 0                        ;  msbs: dst=0 src0=0 src1=0 src2=0
	s_cbranch_execz .LBB1729_8
; %bb.7:
	flat_load_u16 v19, v[14:15] offset:128
.LBB1729_8:
	s_wait_xcnt 0x0
	s_or_b32 exec_lo, exec_lo, s2
	v_or_b32_e32 v20, 0x60, v34
	s_set_vgpr_msb 4                        ;  msbs: dst=0 src0=0 src1=1 src2=0
	s_delay_alu instid0(VALU_DEP_1)
	v_cmp_lt_u32_e64 s2, v20, v0 /*v256*/
	s_and_saveexec_b32 s3, s2
	s_set_vgpr_msb 0                        ;  msbs: dst=0 src0=0 src1=0 src2=0
	s_cbranch_execz .LBB1729_10
; %bb.9:
	flat_load_u16 v18, v[14:15] offset:192
.LBB1729_10:
	s_wait_xcnt 0x0
	s_or_b32 exec_lo, exec_lo, s3
	v_or_b32_e32 v21, 0x80, v34
	v_mov_b32_e32 v20, -1
	s_set_vgpr_msb 4                        ;  msbs: dst=0 src0=0 src1=1 src2=0
	s_delay_alu instid0(VALU_DEP_2)
	v_cmp_lt_u32_e64 s3, v21, v0 /*v256*/
	v_mov_b32_e32 v21, -1
	s_and_saveexec_b32 s4, s3
	s_set_vgpr_msb 0                        ;  msbs: dst=0 src0=0 src1=0 src2=0
	s_cbranch_execz .LBB1729_12
; %bb.11:
	flat_load_u16 v21, v[14:15] offset:256
.LBB1729_12:
	s_wait_xcnt 0x0
	s_or_b32 exec_lo, exec_lo, s4
	v_or_b32_e32 v22, 0xa0, v34
	s_set_vgpr_msb 4                        ;  msbs: dst=0 src0=0 src1=1 src2=0
	s_delay_alu instid0(VALU_DEP_1)
	v_cmp_lt_u32_e64 s4, v22, v0 /*v256*/
	s_and_saveexec_b32 s5, s4
	s_set_vgpr_msb 0                        ;  msbs: dst=0 src0=0 src1=0 src2=0
	s_cbranch_execz .LBB1729_14
; %bb.13:
	flat_load_u16 v20, v[14:15] offset:320
.LBB1729_14:
	s_wait_xcnt 0x0
	s_or_b32 exec_lo, exec_lo, s5
	v_or_b32_e32 v23, 0xc0, v34
	v_mov_b32_e32 v22, -1
	s_set_vgpr_msb 4                        ;  msbs: dst=0 src0=0 src1=1 src2=0
	s_delay_alu instid0(VALU_DEP_2)
	;; [unrolled: 26-line block ×6, first 2 shown]
	v_cmp_lt_u32_e64 s15, v32, v0 /*v256*/
	v_mov_b32_e32 v32, -1
	s_and_saveexec_b32 s16, s15
	s_set_vgpr_msb 0                        ;  msbs: dst=0 src0=0 src1=0 src2=0
	s_cbranch_execz .LBB1729_32
; %bb.31:
	flat_load_u16 v32, v[14:15] offset:896
.LBB1729_32:
	s_wait_xcnt 0x0
	s_or_b32 exec_lo, exec_lo, s16
	v_or_b32_e32 v34, 0x1e0, v34
	s_set_vgpr_msb 4                        ;  msbs: dst=0 src0=0 src1=1 src2=0
	s_delay_alu instid0(VALU_DEP_1)
	v_cmp_lt_u32_e64 s16, v34, v0 /*v256*/
	s_and_saveexec_b32 s17, s16
	s_set_vgpr_msb 0                        ;  msbs: dst=0 src0=0 src1=0 src2=0
	s_cbranch_execz .LBB1729_34
; %bb.33:
	flat_load_u16 v31, v[14:15] offset:960
.LBB1729_34:
	s_wait_xcnt 0x0
	s_or_b32 exec_lo, exec_lo, s17
	v_lshl_add_u64 v[4:5], v[8:9], 3, v[4:5]
	v_dual_mov_b32 v15, 0 :: v_dual_lshlrev_b32 v14, 3, v33
                                        ; implicit-def: $vgpr66_vgpr67
	s_delay_alu instid0(VALU_DEP_1) | instskip(NEXT) | instid1(VALU_DEP_1)
	v_add_nc_u64_e32 v[4:5], v[4:5], v[14:15]
	v_lshl_add_u64 v[0:1], v[0:1], 3, v[4:5]
	s_and_saveexec_b32 s17, vcc_lo
	s_cbranch_execnz .LBB1729_196
; %bb.35:
	s_or_b32 exec_lo, exec_lo, s17
                                        ; implicit-def: $vgpr68_vgpr69
	s_and_saveexec_b32 s17, s0
	s_cbranch_execnz .LBB1729_197
.LBB1729_36:
	s_or_b32 exec_lo, exec_lo, s17
                                        ; implicit-def: $vgpr70_vgpr71
	s_and_saveexec_b32 s0, s1
	s_cbranch_execnz .LBB1729_198
.LBB1729_37:
	s_or_b32 exec_lo, exec_lo, s0
                                        ; implicit-def: $vgpr80_vgpr81
	s_and_saveexec_b32 s0, s2
	s_cbranch_execnz .LBB1729_199
.LBB1729_38:
	s_or_b32 exec_lo, exec_lo, s0
                                        ; implicit-def: $vgpr82_vgpr83
	s_and_saveexec_b32 s0, s3
	s_cbranch_execnz .LBB1729_200
.LBB1729_39:
	s_or_b32 exec_lo, exec_lo, s0
                                        ; implicit-def: $vgpr84_vgpr85
	s_and_saveexec_b32 s0, s4
	s_cbranch_execnz .LBB1729_201
.LBB1729_40:
	s_or_b32 exec_lo, exec_lo, s0
                                        ; implicit-def: $vgpr86_vgpr87
	s_and_saveexec_b32 s0, s5
	s_cbranch_execnz .LBB1729_202
.LBB1729_41:
	s_or_b32 exec_lo, exec_lo, s0
                                        ; implicit-def: $vgpr98_vgpr99
	s_and_saveexec_b32 s0, s6
	s_cbranch_execnz .LBB1729_203
.LBB1729_42:
	s_or_b32 exec_lo, exec_lo, s0
                                        ; implicit-def: $vgpr102_vgpr103
	s_and_saveexec_b32 s0, s7
	s_cbranch_execnz .LBB1729_204
.LBB1729_43:
	s_or_b32 exec_lo, exec_lo, s0
                                        ; implicit-def: $vgpr96_vgpr97
	s_and_saveexec_b32 s0, s10
	s_cbranch_execnz .LBB1729_205
.LBB1729_44:
	s_or_b32 exec_lo, exec_lo, s0
                                        ; implicit-def: $vgpr100_vgpr101
	s_and_saveexec_b32 s0, s11
	s_cbranch_execnz .LBB1729_206
.LBB1729_45:
	s_or_b32 exec_lo, exec_lo, s0
                                        ; implicit-def: $vgpr112_vgpr113
	s_and_saveexec_b32 s0, s12
	s_cbranch_execnz .LBB1729_207
.LBB1729_46:
	s_or_b32 exec_lo, exec_lo, s0
                                        ; implicit-def: $vgpr114_vgpr115
	s_and_saveexec_b32 s0, s13
	s_cbranch_execnz .LBB1729_208
.LBB1729_47:
	s_or_b32 exec_lo, exec_lo, s0
                                        ; implicit-def: $vgpr118_vgpr119
	s_and_saveexec_b32 s0, s14
	s_cbranch_execnz .LBB1729_209
.LBB1729_48:
	s_or_b32 exec_lo, exec_lo, s0
                                        ; implicit-def: $vgpr164_vgpr165
	s_and_saveexec_b32 s0, s15
	s_cbranch_execnz .LBB1729_210
.LBB1729_49:
	s_or_b32 exec_lo, exec_lo, s0
                                        ; implicit-def: $vgpr176_vgpr177
	s_and_saveexec_b32 s0, s16
	s_cbranch_execz .LBB1729_51
.LBB1729_50:
	flat_load_b64 v[176:177], v[0:1] offset:3840
.LBB1729_51:
	s_wait_xcnt 0x0
	s_or_b32 exec_lo, exec_lo, s0
	s_wait_loadcnt_dscnt 0x0
	v_cmp_gt_i16_e32 vcc_lo, 0, v17
	s_get_pc_i64 s[0:1]
	s_add_nc_u64 s[0:1], s[0:1], _ZN7rocprim17ROCPRIM_400000_NS16block_radix_sortI6__halfLj256ELj16ElLj1ELj1ELj8ELNS0_26block_radix_rank_algorithmE2ELNS0_18block_padding_hintE2ELNS0_4arch9wavefront6targetE0EE19radix_bits_per_passE@rel64+4
	v_mov_b64_e32 v[64:65], 0
	s_load_b32 s24, s[0:1], 0x0
	v_cmp_lt_u32_e64 s7, 31, v30
	v_cndmask_b32_e64 v0, 0x7fff, 0, vcc_lo
	v_cmp_gt_i16_e32 vcc_lo, 0, v16
	v_cmp_eq_u32_e64 s10, 0, v30
	s_set_vgpr_msb 64                       ;  msbs: dst=1 src0=0 src1=0 src2=0
	v_lshl_add_u32 v11 /*v267*/, v30, 2, v12
	s_mov_b32 s25, 0
	s_set_vgpr_msb 0                        ;  msbs: dst=0 src0=0 src1=0 src2=0
	v_xor_b32_e32 v183, v0, v17
	v_cndmask_b32_e64 v1, 0x7fff, 0, vcc_lo
	v_cmp_gt_i16_e32 vcc_lo, 0, v19
	s_wait_storecnt 0x0
	s_barrier_signal -1
	s_barrier_wait -1
	v_xor_b32_e32 v133, v1, v16
	v_cndmask_b32_e64 v4, 0x7fff, 0, vcc_lo
	v_cmp_gt_i16_e32 vcc_lo, 0, v18
	s_set_vgpr_msb 64                       ;  msbs: dst=1 src0=0 src1=0 src2=0
	v_lshrrev_b32_e32 v7 /*v263*/, 5, v38
	v_sub_nc_u32_e32 v30 /*v286*/, v11, v10
	s_set_vgpr_msb 0                        ;  msbs: dst=0 src0=0 src1=0 src2=0
	v_xor_b32_e32 v135, v4, v19
	v_cndmask_b32_e64 v0, 0x7fff, 0, vcc_lo
	v_cmp_gt_i16_e32 vcc_lo, 0, v21
	s_delay_alu instid0(VALU_DEP_2) | instskip(SKIP_2) | instid1(VALU_DEP_2)
	v_xor_b32_e32 v149, v0, v18
	v_cndmask_b32_e64 v1, 0x7fff, 0, vcc_lo
	v_cmp_gt_i16_e32 vcc_lo, 0, v20
	v_xor_b32_e32 v167, v1, v21
	v_cndmask_b32_e64 v4, 0x7fff, 0, vcc_lo
	v_cmp_gt_i16_e32 vcc_lo, 0, v23
	s_delay_alu instid0(VALU_DEP_2) | instskip(SKIP_2) | instid1(VALU_DEP_2)
	v_xor_b32_e32 v161, v4, v20
	v_cndmask_b32_e64 v5, 0x7fff, 0, vcc_lo
	v_cmp_gt_i16_e32 vcc_lo, 0, v22
	;; [unrolled: 7-line block ×3, first 2 shown]
	v_xor_b32_e32 v181, v0, v25
	v_cndmask_b32_e64 v1, 0x7fff, 0, vcc_lo
	v_cmp_gt_i16_e32 vcc_lo, 0, v27
	v_cndmask_b32_e64 v4, 0x7fff, 0, vcc_lo
	v_cmp_gt_i16_e32 vcc_lo, 0, v26
	s_delay_alu instid0(VALU_DEP_2) | instskip(SKIP_2) | instid1(VALU_DEP_2)
	v_xor_b32_e32 v179, v4, v27
	v_cndmask_b32_e64 v5, 0x7fff, 0, vcc_lo
	v_cmp_gt_i16_e32 vcc_lo, 0, v29
	v_xor_b32_e32 v129, v5, v26
	v_cndmask_b32_e64 v14, 0x7fff, 0, vcc_lo
	v_cmp_gt_i16_e32 vcc_lo, 0, v28
	v_lshl_add_u32 v5, v30, 5, v12
	s_set_vgpr_msb 64                       ;  msbs: dst=1 src0=0 src1=0 src2=0
	v_xor_b32_e32 v47 /*v303*/, v1, v24
	s_set_vgpr_msb 0                        ;  msbs: dst=0 src0=0 src1=0 src2=0
	v_xor_b32_e32 v117, v14, v29
	v_cndmask_b32_e64 v0, 0x7fff, 0, vcc_lo
	v_cmp_gt_i16_e32 vcc_lo, 0, v32
	v_add_nc_u32_e32 v39, 36, v5
	s_set_vgpr_msb 64                       ;  msbs: dst=1 src0=0 src1=0 src2=0
	v_dual_add_nc_u32 v1 /*v257*/, 40, v5 :: v_dual_add_nc_u32 v2 /*v258*/, 44, v5
	v_add_nc_u32_e32 v3 /*v259*/, 48, v5
	s_set_vgpr_msb 0                        ;  msbs: dst=0 src0=0 src1=0 src2=0
	v_cndmask_b32_e64 v1, 0x7fff, 0, vcc_lo
	v_cmp_gt_i16_e32 vcc_lo, 0, v31
	v_xor_b32_e32 v131, v0, v28
	v_and_b32_e32 v0, 0x3e0, v30
	s_set_vgpr_msb 64                       ;  msbs: dst=1 src0=0 src1=0 src2=0
	v_dual_add_nc_u32 v4 /*v260*/, 52, v5 :: v_dual_add_nc_u32 v5 /*v261*/, 56, v5
	s_set_vgpr_msb 0                        ;  msbs: dst=0 src0=0 src1=0 src2=0
	v_cndmask_b32_e64 v4, 0x7fff, 0, vcc_lo
	v_xor_b32_e32 v145, v1, v32
	v_and_b32_e32 v1, 15, v33
	s_set_vgpr_msb 64                       ;  msbs: dst=1 src0=0 src1=0 src2=0
	v_add_nc_u32_e32 v6 /*v262*/, 60, v5
	s_set_vgpr_msb 0                        ;  msbs: dst=0 src0=0 src1=0 src2=0
	v_min_u32_e32 v0, 0xe0, v0
	v_dual_add_nc_u32 v31, 32, v5 :: v_dual_bitop2_b32 v147, v4, v31 bitop3:0x14
	v_cmp_eq_u32_e32 vcc_lo, 0, v1
	s_wait_xcnt 0x0
	v_cmp_lt_u32_e64 s0, 1, v1
	v_cmp_lt_u32_e64 s1, 3, v1
	v_sub_co_u32 v5, s2, v33, 1
	v_cmp_lt_u32_e64 s3, 7, v1
	v_dual_lshlrev_b32 v1, 4, v30 :: v_dual_bitop2_b32 v4, 16, v33 bitop3:0x40
	v_or_b32_e32 v0, 31, v0
	s_delay_alu instid0(VALU_DEP_4) | instskip(NEXT) | instid1(VALU_DEP_3)
	v_cmp_gt_i32_e64 s6, 0, v5
	v_and_or_b32 v1, 0x3e00, v1, v33
	s_delay_alu instid0(VALU_DEP_4) | instskip(NEXT) | instid1(VALU_DEP_4)
	v_cmp_eq_u32_e64 s4, 0, v4
	v_cmp_eq_u32_e64 s5, v30, v0
	s_delay_alu instid0(VALU_DEP_4)
	v_dual_lshrrev_b32 v0, 3, v30 :: v_dual_cndmask_b32 v4, v5, v33, s6
	s_set_vgpr_msb 64                       ;  msbs: dst=1 src0=0 src1=0 src2=0
	v_lshl_add_u32 v9 /*v265*/, v1, 1, v12
	s_set_vgpr_msb 0                        ;  msbs: dst=0 src0=0 src1=0 src2=0
	v_mul_u32_u24_e32 v5, 6, v1
	v_cmp_gt_u32_e64 s6, 8, v30
	v_and_b32_e32 v0, 0x7c, v0
	s_set_vgpr_msb 64                       ;  msbs: dst=1 src0=0 src1=0 src2=0
	v_lshlrev_b32_e32 v8 /*v264*/, 2, v4
	s_set_vgpr_msb 0                        ;  msbs: dst=0 src0=0 src1=0 src2=0
	v_and_b32_e32 v4, 7, v33
	s_set_vgpr_msb 0x41                     ;  msbs: dst=1 src0=1 src1=0 src2=0
	v_add_nc_u32_e32 v12 /*v268*/, v9 /*v265*/, v5
	s_set_vgpr_msb 0                        ;  msbs: dst=0 src0=0 src1=0 src2=0
	v_mov_b32_e32 v1, 0
	s_set_vgpr_msb 64                       ;  msbs: dst=1 src0=0 src1=0 src2=0
	v_add_nc_u32_e32 v10 /*v266*/, v12, v0
	s_set_vgpr_msb 0x44                     ;  msbs: dst=1 src0=0 src1=1 src2=0
	v_add_nc_u32_e32 v13 /*v269*/, 0x380, v9 /*v265*/
	s_set_vgpr_msb 0                        ;  msbs: dst=0 src0=0 src1=0 src2=0
	v_cmp_eq_u32_e64 s11, 0, v4
	v_cmp_lt_u32_e64 s12, 1, v4
	v_cmp_lt_u32_e64 s13, 3, v4
	s_set_vgpr_msb 0x44                     ;  msbs: dst=1 src0=0 src1=1 src2=0
	v_add_nc_u32_e32 v14 /*v270*/, 0x3c0, v9 /*v265*/
	v_add_nc_u32_e32 v15 /*v271*/, 0x100, v12 /*v268*/
	;; [unrolled: 1-line block ×16, first 2 shown]
	s_set_vgpr_msb 0                        ;  msbs: dst=0 src0=0 src1=0 src2=0
	s_branch .LBB1729_53
.LBB1729_52:                            ;   in Loop: Header=BB1729_53 Depth=1
	s_or_b32 exec_lo, exec_lo, s15
	s_delay_alu instid0(SALU_CYCLE_1) | instskip(NEXT) | instid1(SALU_CYCLE_1)
	s_and_b32 s14, exec_lo, s16
	s_or_b32 s25, s14, s25
	s_delay_alu instid0(SALU_CYCLE_1)
	s_and_not1_b32 exec_lo, exec_lo, s25
	s_cbranch_execz .LBB1729_93
.LBB1729_53:                            ; =>This Inner Loop Header: Depth=1
	s_set_vgpr_msb 64                       ;  msbs: dst=1 src0=0 src1=0 src2=0
	v_dual_mov_b32 v31 /*v287*/, v183 :: v_dual_mov_b32 v34 /*v290*/, v133
	s_wait_kmcnt 0x0
	s_set_vgpr_msb 4                        ;  msbs: dst=0 src0=0 src1=1 src2=0
	v_min_u32_e32 v48, s24, v30 /*v286*/
	v_mov_b64_e32 v[26:27], v[68:69]
	v_mov_b64_e32 v[28:29], v[66:67]
	v_cmp_ne_u16_e64 s14, 0x8000, v31 /*v287*/
	v_mov_b64_e32 v[24:25], v[70:71]
	v_lshlrev_b32_e64 v68, v48, -1
	v_mov_b64_e32 v[22:23], v[80:81]
	v_mov_b64_e32 v[20:21], v[82:83]
	v_cndmask_b32_e64 v0, 0x7fff, v31 /*v287*/, s14
	v_mov_b64_e32 v[18:19], v[84:85]
	v_mov_b64_e32 v[16:17], v[86:87]
	;; [unrolled: 1-line block ×4, first 2 shown]
	s_set_vgpr_msb 0                        ;  msbs: dst=0 src0=0 src1=0 src2=0
	v_and_b32_e32 v0, 0xffff, v0
	v_mov_b64_e32 v[54:55], v[96:97]
	v_mov_b64_e32 v[52:53], v[100:101]
	;; [unrolled: 1-line block ×4, first 2 shown]
	v_lshrrev_b32_e32 v0, v10, v0
	v_mov_b64_e32 v[34:35], v[118:119]
	v_mov_b64_e32 v[32:33], v[164:165]
	;; [unrolled: 1-line block ×3, first 2 shown]
	s_set_vgpr_msb 64                       ;  msbs: dst=1 src0=0 src1=0 src2=0
	v_dual_mov_b32 v33 /*v289*/, v135 :: v_dual_mov_b32 v32 /*v288*/, v149
	s_set_vgpr_msb 0                        ;  msbs: dst=0 src0=0 src1=0 src2=0
	v_bitop3_b32 v66, v0, v68, v0 bitop3:0x30
	s_set_vgpr_msb 64                       ;  msbs: dst=1 src0=0 src1=0 src2=0
	v_dual_mov_b32 v35 /*v291*/, v167 :: v_dual_mov_b32 v37 /*v293*/, v161
	v_dual_mov_b32 v36 /*v292*/, v163 :: v_dual_mov_b32 v39 /*v295*/, v151
	s_set_vgpr_msb 0                        ;  msbs: dst=0 src0=0 src1=0 src2=0
	v_lshlrev_b32_e32 v67, 30, v66
	v_bitop3_b32 v0, v0, 1, v68 bitop3:0x40
	v_lshlrev_b32_e32 v81, 25, v66
	s_set_vgpr_msb 64                       ;  msbs: dst=1 src0=0 src1=0 src2=0
	v_dual_mov_b32 v38 /*v294*/, v181 :: v_dual_mov_b32 v41 /*v297*/, v179
	s_set_vgpr_msb 0                        ;  msbs: dst=0 src0=0 src1=0 src2=0
	v_not_b32_e32 v70, v67
	v_add_co_u32 v0, s14, v0, -1
	s_delay_alu instid0(VALU_DEP_1)
	v_cndmask_b32_e64 v69, 0, 1, s14
	v_cmp_gt_i32_e64 s15, 0, v67
	s_set_vgpr_msb 0x41                     ;  msbs: dst=1 src0=1 src1=0 src2=0
	v_mov_b32_e32 v40 /*v296*/, v47 /*v303*/
	s_set_vgpr_msb 64                       ;  msbs: dst=1 src0=0 src1=0 src2=0
	v_dual_mov_b32 v42 /*v298*/, v129 :: v_dual_mov_b32 v43 /*v299*/, v117
	v_cmp_ne_u32_e64 s14, 0, v69
	s_set_vgpr_msb 0                        ;  msbs: dst=0 src0=0 src1=0 src2=0
	v_lshlrev_b32_e32 v69, 29, v66
	v_ashrrev_i32_e32 v67, 31, v70
	v_lshlrev_b32_e32 v70, 28, v66
	s_set_vgpr_msb 64                       ;  msbs: dst=1 src0=0 src1=0 src2=0
	v_dual_mov_b32 v45 /*v301*/, v131 :: v_dual_mov_b32 v44 /*v300*/, v145
	s_set_vgpr_msb 0                        ;  msbs: dst=0 src0=0 src1=0 src2=0
	v_not_b32_e32 v71, v69
	v_xor_b32_e32 v0, s14, v0
	v_xor_b32_e32 v67, s15, v67
	v_not_b32_e32 v80, v70
	v_cmp_gt_i32_e64 s14, 0, v69
	v_dual_ashrrev_i32 v69, 31, v71 :: v_dual_lshlrev_b32 v71, 27, v66
	v_cmp_gt_i32_e64 s15, 0, v70
	s_delay_alu instid0(VALU_DEP_4) | instskip(SKIP_1) | instid1(VALU_DEP_4)
	v_ashrrev_i32_e32 v70, 31, v80
	v_bitop3_b32 v0, v0, v67, exec_lo bitop3:0x80
	v_dual_lshlrev_b32 v67, 26, v66 :: v_dual_bitop2_b32 v69, s14, v69 bitop3:0x14
	v_not_b32_e32 v80, v71
	s_delay_alu instid0(VALU_DEP_4) | instskip(SKIP_1) | instid1(VALU_DEP_4)
	v_xor_b32_e32 v70, s15, v70
	v_cmp_gt_i32_e64 s14, 0, v71
	v_not_b32_e32 v71, v67
	v_cmp_gt_i32_e64 s15, 0, v67
	v_dual_ashrrev_i32 v80, 31, v80 :: v_dual_lshlrev_b32 v67, 24, v66
	v_bitop3_b32 v0, v0, v70, v69 bitop3:0x80
	s_delay_alu instid0(VALU_DEP_4) | instskip(SKIP_1) | instid1(VALU_DEP_4)
	v_ashrrev_i32_e32 v71, 31, v71
	v_not_b32_e32 v69, v81
	v_xor_b32_e32 v70, s14, v80
	v_not_b32_e32 v80, v67
	v_cmp_gt_i32_e64 s14, 0, v81
	s_delay_alu instid0(VALU_DEP_4) | instskip(SKIP_1) | instid1(VALU_DEP_4)
	v_dual_ashrrev_i32 v69, 31, v69 :: v_dual_bitop2_b32 v71, s15, v71 bitop3:0x14
	v_cmp_gt_i32_e64 s15, 0, v67
	v_dual_ashrrev_i32 v67, 31, v80 :: v_dual_lshlrev_b32 v66, 3, v66
	s_delay_alu instid0(VALU_DEP_3) | instskip(NEXT) | instid1(VALU_DEP_4)
	v_bitop3_b32 v70, v0, v71, v70 bitop3:0x80
	v_xor_b32_e32 v69, s14, v69
	s_set_vgpr_msb 64                       ;  msbs: dst=1 src0=0 src1=0 src2=0
	v_mov_b32_e32 v46 /*v302*/, v147
	s_set_vgpr_msb 0                        ;  msbs: dst=0 src0=0 src1=0 src2=0
	v_xor_b32_e32 v67, s15, v67
	s_set_vgpr_msb 4                        ;  msbs: dst=0 src0=0 src1=1 src2=0
	v_add_lshl_u32 v0, v66, v7 /*v263*/, 2
	s_set_vgpr_msb 0                        ;  msbs: dst=0 src0=0 src1=0 src2=0
	ds_store_b64 v31, v[64:65]
	s_set_vgpr_msb 1                        ;  msbs: dst=0 src0=1 src1=0 src2=0
	ds_store_b64 v1 /*v257*/, v[64:65]
	ds_store_b64 v3 /*v259*/, v[64:65]
	;; [unrolled: 1-line block ×3, first 2 shown]
	s_wait_dscnt 0x0
	s_set_vgpr_msb 0                        ;  msbs: dst=0 src0=0 src1=0 src2=0
	v_bitop3_b32 v69, v70, v67, v69 bitop3:0x80
	v_add_nc_u64_e32 v[66:67], v[12:13], v[0:1]
	s_barrier_signal -1
	s_barrier_wait -1
	s_delay_alu instid0(VALU_DEP_2) | instskip(SKIP_1) | instid1(VALU_DEP_3)
	v_mbcnt_lo_u32_b32 v0, v69, 0
	v_cmp_ne_u32_e64 s15, 0, v69
	v_add_nc_u64_e32 v[66:67], 32, v[66:67]
	; wave barrier
	s_delay_alu instid0(VALU_DEP_3) | instskip(SKIP_1) | instid1(SALU_CYCLE_1)
	v_cmp_eq_u32_e64 s14, 0, v0
	s_and_b32 s15, s15, s14
	s_and_saveexec_b32 s14, s15
; %bb.54:                               ;   in Loop: Header=BB1729_53 Depth=1
	v_bcnt_u32_b32 v67, v69, 0
	ds_store_b32 v66, v67
; %bb.55:                               ;   in Loop: Header=BB1729_53 Depth=1
	s_or_b32 exec_lo, exec_lo, s14
	s_set_vgpr_msb 4                        ;  msbs: dst=0 src0=0 src1=1 src2=0
	v_cmp_ne_u16_e64 s14, 0x8000, v34 /*v290*/
	v_not_b32_e32 v83, v68
	; wave barrier
	s_delay_alu instid0(VALU_DEP_2) | instskip(SKIP_1) | instid1(VALU_DEP_1)
	v_cndmask_b32_e64 v67, 0x7fff, v34 /*v290*/, s14
	s_set_vgpr_msb 0                        ;  msbs: dst=0 src0=0 src1=0 src2=0
	v_and_b32_e32 v67, 0xffff, v67
	s_delay_alu instid0(VALU_DEP_1) | instskip(NEXT) | instid1(VALU_DEP_1)
	v_lshrrev_b32_e32 v67, v10, v67
	v_and_b32_e32 v68, v67, v83
	s_delay_alu instid0(VALU_DEP_1) | instskip(SKIP_1) | instid1(VALU_DEP_2)
	v_lshlrev_b32_e32 v71, 30, v68
	v_bitop3_b32 v67, v67, 1, v83 bitop3:0x80
	v_cmp_gt_i32_e64 s15, 0, v71
	s_delay_alu instid0(VALU_DEP_2) | instskip(NEXT) | instid1(VALU_DEP_1)
	v_add_co_u32 v67, s14, v67, -1
	v_cndmask_b32_e64 v70, 0, 1, s14
	s_delay_alu instid0(VALU_DEP_1) | instskip(SKIP_1) | instid1(VALU_DEP_1)
	v_cmp_ne_u32_e64 s14, 0, v70
	v_not_b32_e32 v70, v71
	v_dual_ashrrev_i32 v70, 31, v70 :: v_dual_lshlrev_b32 v80, 29, v68
	v_dual_lshlrev_b32 v81, 28, v68 :: v_dual_lshlrev_b32 v82, 27, v68
	v_lshlrev_b32_e32 v84, 26, v68
	s_set_vgpr_msb 16                       ;  msbs: dst=0 src0=0 src1=0 src2=1
	v_lshl_add_u32 v69, v68, 3, v7 /*v263*/
	v_cmp_gt_i32_e64 s16, 0, v80
	v_not_b32_e32 v71, v80
	v_not_b32_e32 v80, v81
	v_dual_lshlrev_b32 v85, 25, v68 :: v_dual_lshlrev_b32 v68, 24, v68
	v_cmp_gt_i32_e64 s17, 0, v81
	v_cmp_gt_i32_e64 s18, 0, v82
	v_not_b32_e32 v81, v82
	v_not_b32_e32 v82, v84
	v_dual_ashrrev_i32 v80, 31, v80 :: v_dual_bitop2_b32 v67, s14, v67 bitop3:0x14
	v_dual_ashrrev_i32 v71, 31, v71 :: v_dual_bitop2_b32 v70, s15, v70 bitop3:0x14
	v_cmp_gt_i32_e64 s19, 0, v84
	v_not_b32_e32 v84, v85
	v_dual_ashrrev_i32 v81, 31, v81 :: v_dual_ashrrev_i32 v82, 31, v82
	s_delay_alu instid0(VALU_DEP_4)
	v_xor_b32_e32 v71, s16, v71
	v_bitop3_b32 v67, v67, v70, exec_lo bitop3:0x80
	v_not_b32_e32 v70, v68
	v_xor_b32_e32 v80, s17, v80
	v_cmp_gt_i32_e64 s20, 0, v85
	v_dual_ashrrev_i32 v84, 31, v84 :: v_dual_bitop2_b32 v81, s18, v81 bitop3:0x14
	v_cmp_gt_i32_e64 s14, 0, v68
	v_ashrrev_i32_e32 v68, 31, v70
	s_set_vgpr_msb 0                        ;  msbs: dst=0 src0=0 src1=0 src2=0
	v_bitop3_b32 v67, v67, v80, v71 bitop3:0x80
	v_lshl_add_u32 v69, v69, 2, v12
	v_xor_b32_e32 v82, s19, v82
	v_xor_b32_e32 v70, s20, v84
	;; [unrolled: 1-line block ×3, first 2 shown]
	s_delay_alu instid0(VALU_DEP_3) | instskip(SKIP_3) | instid1(VALU_DEP_1)
	v_bitop3_b32 v71, v67, v82, v81 bitop3:0x80
	ds_load_b32 v67, v69 offset:32
	v_add_nc_u32_e32 v69, 32, v69
	; wave barrier
	v_bitop3_b32 v70, v71, v68, v70 bitop3:0x80
	v_mbcnt_lo_u32_b32 v68, v70, 0
	v_cmp_ne_u32_e64 s15, 0, v70
	s_delay_alu instid0(VALU_DEP_2) | instskip(SKIP_1) | instid1(SALU_CYCLE_1)
	v_cmp_eq_u32_e64 s14, 0, v68
	s_and_b32 s15, s15, s14
	s_and_saveexec_b32 s14, s15
	s_cbranch_execz .LBB1729_57
; %bb.56:                               ;   in Loop: Header=BB1729_53 Depth=1
	s_wait_dscnt 0x0
	v_bcnt_u32_b32 v70, v70, v67
	ds_store_b32 v69, v70
.LBB1729_57:                            ;   in Loop: Header=BB1729_53 Depth=1
	s_or_b32 exec_lo, exec_lo, s14
	s_set_vgpr_msb 4                        ;  msbs: dst=0 src0=0 src1=1 src2=0
	v_cmp_ne_u16_e64 s14, 0x8000, v33 /*v289*/
	; wave barrier
	s_delay_alu instid0(VALU_DEP_1) | instskip(SKIP_1) | instid1(VALU_DEP_1)
	v_cndmask_b32_e64 v70, 0x7fff, v33 /*v289*/, s14
	s_set_vgpr_msb 0                        ;  msbs: dst=0 src0=0 src1=0 src2=0
	v_and_b32_e32 v70, 0xffff, v70
	s_delay_alu instid0(VALU_DEP_1) | instskip(NEXT) | instid1(VALU_DEP_1)
	v_lshrrev_b32_e32 v70, v10, v70
	v_and_b32_e32 v71, v70, v83
	s_delay_alu instid0(VALU_DEP_1) | instskip(SKIP_1) | instid1(VALU_DEP_2)
	v_lshlrev_b32_e32 v82, 30, v71
	v_bitop3_b32 v70, v70, 1, v83 bitop3:0x80
	v_cmp_gt_i32_e64 s15, 0, v82
	s_delay_alu instid0(VALU_DEP_2) | instskip(NEXT) | instid1(VALU_DEP_1)
	v_add_co_u32 v70, s14, v70, -1
	v_cndmask_b32_e64 v81, 0, 1, s14
	s_delay_alu instid0(VALU_DEP_1) | instskip(SKIP_1) | instid1(VALU_DEP_1)
	v_cmp_ne_u32_e64 s14, 0, v81
	v_not_b32_e32 v81, v82
	v_dual_ashrrev_i32 v81, 31, v81 :: v_dual_lshlrev_b32 v84, 29, v71
	v_dual_lshlrev_b32 v85, 28, v71 :: v_dual_lshlrev_b32 v86, 27, v71
	v_lshlrev_b32_e32 v87, 26, v71
	s_set_vgpr_msb 16                       ;  msbs: dst=0 src0=0 src1=0 src2=1
	v_lshl_add_u32 v80, v71, 3, v7 /*v263*/
	v_cmp_gt_i32_e64 s16, 0, v84
	v_not_b32_e32 v82, v84
	v_not_b32_e32 v84, v85
	v_dual_lshlrev_b32 v96, 25, v71 :: v_dual_lshlrev_b32 v71, 24, v71
	v_cmp_gt_i32_e64 s17, 0, v85
	v_cmp_gt_i32_e64 s18, 0, v86
	v_not_b32_e32 v85, v86
	v_not_b32_e32 v86, v87
	v_dual_ashrrev_i32 v84, 31, v84 :: v_dual_bitop2_b32 v70, s14, v70 bitop3:0x14
	s_delay_alu instid0(VALU_DEP_3) | instskip(NEXT) | instid1(VALU_DEP_3)
	v_dual_ashrrev_i32 v82, 31, v82 :: v_dual_ashrrev_i32 v85, 31, v85
	v_dual_ashrrev_i32 v86, 31, v86 :: v_dual_bitop2_b32 v81, s15, v81 bitop3:0x14
	v_cmp_gt_i32_e64 s19, 0, v87
	v_not_b32_e32 v87, v96
	v_not_b32_e32 v97, v71
	v_xor_b32_e32 v82, s16, v82
	v_xor_b32_e32 v84, s17, v84
	v_bitop3_b32 v70, v70, v81, exec_lo bitop3:0x80
	v_xor_b32_e32 v81, s19, v86
	v_cmp_gt_i32_e64 s14, 0, v96
	v_ashrrev_i32_e32 v86, 31, v87
	v_cmp_gt_i32_e64 s15, 0, v71
	v_ashrrev_i32_e32 v71, 31, v97
	s_set_vgpr_msb 0                        ;  msbs: dst=0 src0=0 src1=0 src2=0
	v_bitop3_b32 v70, v70, v84, v82 bitop3:0x80
	v_lshl_add_u32 v80, v80, 2, v12
	v_xor_b32_e32 v85, s18, v85
	v_xor_b32_e32 v82, s14, v86
	;; [unrolled: 1-line block ×3, first 2 shown]
	s_delay_alu instid0(VALU_DEP_3) | instskip(SKIP_3) | instid1(VALU_DEP_1)
	v_bitop3_b32 v81, v70, v81, v85 bitop3:0x80
	ds_load_b32 v70, v80 offset:32
	v_add_nc_u32_e32 v80, 32, v80
	; wave barrier
	v_bitop3_b32 v81, v81, v71, v82 bitop3:0x80
	v_mbcnt_lo_u32_b32 v71, v81, 0
	v_cmp_ne_u32_e64 s15, 0, v81
	s_delay_alu instid0(VALU_DEP_2) | instskip(SKIP_1) | instid1(SALU_CYCLE_1)
	v_cmp_eq_u32_e64 s14, 0, v71
	s_and_b32 s15, s15, s14
	s_and_saveexec_b32 s14, s15
	s_cbranch_execz .LBB1729_59
; %bb.58:                               ;   in Loop: Header=BB1729_53 Depth=1
	s_wait_dscnt 0x0
	v_bcnt_u32_b32 v81, v81, v70
	ds_store_b32 v80, v81
.LBB1729_59:                            ;   in Loop: Header=BB1729_53 Depth=1
	s_or_b32 exec_lo, exec_lo, s14
	s_set_vgpr_msb 4                        ;  msbs: dst=0 src0=0 src1=1 src2=0
	v_cmp_ne_u16_e64 s14, 0x8000, v32 /*v288*/
	; wave barrier
	s_delay_alu instid0(VALU_DEP_1) | instskip(SKIP_1) | instid1(VALU_DEP_1)
	v_cndmask_b32_e64 v81, 0x7fff, v32 /*v288*/, s14
	s_set_vgpr_msb 0                        ;  msbs: dst=0 src0=0 src1=0 src2=0
	v_and_b32_e32 v81, 0xffff, v81
	s_delay_alu instid0(VALU_DEP_1) | instskip(NEXT) | instid1(VALU_DEP_1)
	v_lshrrev_b32_e32 v81, v10, v81
	v_and_b32_e32 v82, v81, v83
	s_delay_alu instid0(VALU_DEP_1) | instskip(SKIP_1) | instid1(VALU_DEP_2)
	v_lshlrev_b32_e32 v86, 30, v82
	v_bitop3_b32 v81, v81, 1, v83 bitop3:0x80
	v_cmp_gt_i32_e64 s15, 0, v86
	s_delay_alu instid0(VALU_DEP_2) | instskip(NEXT) | instid1(VALU_DEP_1)
	v_add_co_u32 v81, s14, v81, -1
	v_cndmask_b32_e64 v85, 0, 1, s14
	s_delay_alu instid0(VALU_DEP_1) | instskip(SKIP_1) | instid1(VALU_DEP_1)
	v_cmp_ne_u32_e64 s14, 0, v85
	v_not_b32_e32 v85, v86
	v_dual_ashrrev_i32 v85, 31, v85 :: v_dual_lshlrev_b32 v87, 29, v82
	v_dual_lshlrev_b32 v96, 28, v82 :: v_dual_lshlrev_b32 v97, 27, v82
	v_dual_lshlrev_b32 v98, 26, v82 :: v_dual_lshlrev_b32 v99, 25, v82
	s_delay_alu instid0(VALU_DEP_3) | instskip(SKIP_1) | instid1(VALU_DEP_4)
	v_cmp_gt_i32_e64 s16, 0, v87
	v_not_b32_e32 v86, v87
	v_not_b32_e32 v87, v96
	s_set_vgpr_msb 16                       ;  msbs: dst=0 src0=0 src1=0 src2=1
	v_lshl_add_u32 v84, v82, 3, v7 /*v263*/
	v_lshlrev_b32_e32 v82, 24, v82
	v_cmp_gt_i32_e64 s17, 0, v96
	v_cmp_gt_i32_e64 s18, 0, v97
	v_not_b32_e32 v96, v97
	v_cmp_gt_i32_e64 s19, 0, v98
	v_not_b32_e32 v97, v98
	v_not_b32_e32 v98, v99
	v_dual_ashrrev_i32 v86, 31, v86 :: v_dual_bitop2_b32 v81, s14, v81 bitop3:0x14
	v_dual_ashrrev_i32 v87, 31, v87 :: v_dual_ashrrev_i32 v96, 31, v96
	v_xor_b32_e32 v85, s15, v85
	v_not_b32_e32 v100, v82
	s_delay_alu instid0(VALU_DEP_4) | instskip(NEXT) | instid1(VALU_DEP_4)
	v_dual_ashrrev_i32 v97, 31, v97 :: v_dual_bitop2_b32 v86, s16, v86 bitop3:0x14
	v_xor_b32_e32 v87, s17, v87
	s_delay_alu instid0(VALU_DEP_4)
	v_bitop3_b32 v81, v81, v85, exec_lo bitop3:0x80
	v_xor_b32_e32 v96, s18, v96
	v_cmp_gt_i32_e64 s14, 0, v99
	v_cmp_gt_i32_e64 s15, 0, v82
	v_ashrrev_i32_e32 v82, 31, v100
	s_set_vgpr_msb 0                        ;  msbs: dst=0 src0=0 src1=0 src2=0
	v_bitop3_b32 v81, v81, v87, v86 bitop3:0x80
	v_lshl_add_u32 v84, v84, 2, v12
	v_dual_ashrrev_i32 v97, 31, v98 :: v_dual_bitop2_b32 v85, s19, v97 bitop3:0x14
	v_xor_b32_e32 v82, s15, v82
	s_delay_alu instid0(VALU_DEP_2) | instskip(NEXT) | instid1(VALU_DEP_3)
	v_bitop3_b32 v85, v81, v85, v96 bitop3:0x80
	v_xor_b32_e32 v86, s14, v97
	ds_load_b32 v81, v84 offset:32
	v_add_nc_u32_e32 v84, 32, v84
	; wave barrier
	v_bitop3_b32 v85, v85, v82, v86 bitop3:0x80
	s_delay_alu instid0(VALU_DEP_1) | instskip(SKIP_1) | instid1(VALU_DEP_2)
	v_mbcnt_lo_u32_b32 v82, v85, 0
	v_cmp_ne_u32_e64 s15, 0, v85
	v_cmp_eq_u32_e64 s14, 0, v82
	s_and_b32 s15, s15, s14
	s_delay_alu instid0(SALU_CYCLE_1)
	s_and_saveexec_b32 s14, s15
	s_cbranch_execz .LBB1729_61
; %bb.60:                               ;   in Loop: Header=BB1729_53 Depth=1
	s_wait_dscnt 0x0
	v_bcnt_u32_b32 v85, v85, v81
	ds_store_b32 v84, v85
.LBB1729_61:                            ;   in Loop: Header=BB1729_53 Depth=1
	s_or_b32 exec_lo, exec_lo, s14
	s_set_vgpr_msb 4                        ;  msbs: dst=0 src0=0 src1=1 src2=0
	v_cmp_ne_u16_e64 s14, 0x8000, v35 /*v291*/
	; wave barrier
	s_delay_alu instid0(VALU_DEP_1) | instskip(SKIP_1) | instid1(VALU_DEP_1)
	v_cndmask_b32_e64 v85, 0x7fff, v35 /*v291*/, s14
	s_set_vgpr_msb 0                        ;  msbs: dst=0 src0=0 src1=0 src2=0
	v_and_b32_e32 v85, 0xffff, v85
	s_delay_alu instid0(VALU_DEP_1) | instskip(NEXT) | instid1(VALU_DEP_1)
	v_lshrrev_b32_e32 v85, v10, v85
	v_and_b32_e32 v86, v85, v83
	s_delay_alu instid0(VALU_DEP_1) | instskip(SKIP_1) | instid1(VALU_DEP_2)
	v_lshlrev_b32_e32 v97, 30, v86
	v_bitop3_b32 v85, v85, 1, v83 bitop3:0x80
	v_cmp_gt_i32_e64 s15, 0, v97
	s_delay_alu instid0(VALU_DEP_2) | instskip(NEXT) | instid1(VALU_DEP_1)
	v_add_co_u32 v85, s14, v85, -1
	v_cndmask_b32_e64 v96, 0, 1, s14
	s_delay_alu instid0(VALU_DEP_1) | instskip(SKIP_1) | instid1(VALU_DEP_1)
	v_cmp_ne_u32_e64 s14, 0, v96
	v_not_b32_e32 v96, v97
	v_dual_ashrrev_i32 v96, 31, v96 :: v_dual_lshlrev_b32 v98, 29, v86
	v_dual_lshlrev_b32 v99, 28, v86 :: v_dual_lshlrev_b32 v100, 27, v86
	v_dual_lshlrev_b32 v101, 26, v86 :: v_dual_lshlrev_b32 v102, 25, v86
	s_delay_alu instid0(VALU_DEP_3) | instskip(SKIP_1) | instid1(VALU_DEP_4)
	v_cmp_gt_i32_e64 s16, 0, v98
	v_not_b32_e32 v97, v98
	v_not_b32_e32 v98, v99
	s_set_vgpr_msb 16                       ;  msbs: dst=0 src0=0 src1=0 src2=1
	v_lshl_add_u32 v87, v86, 3, v7 /*v263*/
	v_lshlrev_b32_e32 v86, 24, v86
	v_cmp_gt_i32_e64 s17, 0, v99
	v_cmp_gt_i32_e64 s18, 0, v100
	v_not_b32_e32 v99, v100
	v_cmp_gt_i32_e64 s19, 0, v101
	v_not_b32_e32 v100, v101
	v_not_b32_e32 v101, v102
	v_dual_ashrrev_i32 v98, 31, v98 :: v_dual_bitop2_b32 v85, s14, v85 bitop3:0x14
	v_dual_ashrrev_i32 v97, 31, v97 :: v_dual_ashrrev_i32 v99, 31, v99
	v_xor_b32_e32 v96, s15, v96
	v_not_b32_e32 v103, v86
	s_delay_alu instid0(VALU_DEP_3) | instskip(SKIP_1) | instid1(VALU_DEP_4)
	v_dual_ashrrev_i32 v100, 31, v100 :: v_dual_bitop2_b32 v97, s16, v97 bitop3:0x14
	v_xor_b32_e32 v98, s17, v98
	v_bitop3_b32 v85, v85, v96, exec_lo bitop3:0x80
	v_xor_b32_e32 v99, s18, v99
	v_cmp_gt_i32_e64 s14, 0, v102
	v_cmp_gt_i32_e64 s15, 0, v86
	v_ashrrev_i32_e32 v86, 31, v103
	s_set_vgpr_msb 0                        ;  msbs: dst=0 src0=0 src1=0 src2=0
	v_bitop3_b32 v85, v85, v98, v97 bitop3:0x80
	v_lshl_add_u32 v87, v87, 2, v12
	v_dual_ashrrev_i32 v100, 31, v101 :: v_dual_bitop2_b32 v96, s19, v100 bitop3:0x14
	v_xor_b32_e32 v86, s15, v86
	s_delay_alu instid0(VALU_DEP_2) | instskip(NEXT) | instid1(VALU_DEP_3)
	v_bitop3_b32 v96, v85, v96, v99 bitop3:0x80
	v_xor_b32_e32 v97, s14, v100
	ds_load_b32 v85, v87 offset:32
	v_add_nc_u32_e32 v87, 32, v87
	; wave barrier
	v_bitop3_b32 v96, v96, v86, v97 bitop3:0x80
	s_delay_alu instid0(VALU_DEP_1) | instskip(SKIP_1) | instid1(VALU_DEP_2)
	v_mbcnt_lo_u32_b32 v86, v96, 0
	v_cmp_ne_u32_e64 s15, 0, v96
	v_cmp_eq_u32_e64 s14, 0, v86
	s_and_b32 s15, s15, s14
	s_delay_alu instid0(SALU_CYCLE_1)
	s_and_saveexec_b32 s14, s15
	s_cbranch_execz .LBB1729_63
; %bb.62:                               ;   in Loop: Header=BB1729_53 Depth=1
	s_wait_dscnt 0x0
	v_bcnt_u32_b32 v96, v96, v85
	ds_store_b32 v87, v96
.LBB1729_63:                            ;   in Loop: Header=BB1729_53 Depth=1
	s_or_b32 exec_lo, exec_lo, s14
	s_set_vgpr_msb 4                        ;  msbs: dst=0 src0=0 src1=1 src2=0
	v_cmp_ne_u16_e64 s14, 0x8000, v37 /*v293*/
	; wave barrier
	s_delay_alu instid0(VALU_DEP_1) | instskip(SKIP_1) | instid1(VALU_DEP_1)
	v_cndmask_b32_e64 v96, 0x7fff, v37 /*v293*/, s14
	s_set_vgpr_msb 0                        ;  msbs: dst=0 src0=0 src1=0 src2=0
	v_and_b32_e32 v96, 0xffff, v96
	s_delay_alu instid0(VALU_DEP_1) | instskip(NEXT) | instid1(VALU_DEP_1)
	v_lshrrev_b32_e32 v96, v10, v96
	v_and_b32_e32 v97, v96, v83
	s_delay_alu instid0(VALU_DEP_1) | instskip(SKIP_2) | instid1(VALU_DEP_3)
	v_lshlrev_b32_e32 v100, 30, v97
	v_bitop3_b32 v96, v96, 1, v83 bitop3:0x80
	v_lshlrev_b32_e32 v101, 29, v97
	v_cmp_gt_i32_e64 s15, 0, v100
	s_delay_alu instid0(VALU_DEP_3) | instskip(NEXT) | instid1(VALU_DEP_1)
	v_add_co_u32 v96, s14, v96, -1
	v_cndmask_b32_e64 v99, 0, 1, s14
	s_delay_alu instid0(VALU_DEP_1) | instskip(SKIP_2) | instid1(VALU_DEP_2)
	v_cmp_ne_u32_e64 s14, 0, v99
	v_not_b32_e32 v99, v100
	v_not_b32_e32 v100, v101
	v_dual_ashrrev_i32 v99, 31, v99 :: v_dual_bitop2_b32 v96, s14, v96 bitop3:0x14
	s_delay_alu instid0(VALU_DEP_2) | instskip(SKIP_3) | instid1(VALU_DEP_4)
	v_dual_ashrrev_i32 v100, 31, v100 :: v_dual_lshlrev_b32 v102, 28, v97
	v_dual_lshlrev_b32 v103, 27, v97 :: v_dual_lshlrev_b32 v112, 26, v97
	v_lshlrev_b32_e32 v113, 25, v97
	v_cmp_gt_i32_e64 s16, 0, v101
	v_not_b32_e32 v101, v102
	s_set_vgpr_msb 16                       ;  msbs: dst=0 src0=0 src1=0 src2=1
	v_lshl_add_u32 v98, v97, 3, v7 /*v263*/
	v_lshlrev_b32_e32 v97, 24, v97
	v_cmp_gt_i32_e64 s17, 0, v102
	v_cmp_gt_i32_e64 s18, 0, v103
	v_not_b32_e32 v102, v103
	v_cmp_gt_i32_e64 s19, 0, v112
	v_not_b32_e32 v103, v112
	v_not_b32_e32 v112, v113
	s_delay_alu instid0(VALU_DEP_4) | instskip(SKIP_3) | instid1(VALU_DEP_4)
	v_dual_ashrrev_i32 v101, 31, v101 :: v_dual_ashrrev_i32 v102, 31, v102
	v_xor_b32_e32 v99, s15, v99
	v_not_b32_e32 v114, v97
	v_dual_ashrrev_i32 v103, 31, v103 :: v_dual_bitop2_b32 v100, s16, v100 bitop3:0x14
	v_xor_b32_e32 v101, s17, v101
	s_delay_alu instid0(VALU_DEP_4)
	v_bitop3_b32 v96, v96, v99, exec_lo bitop3:0x80
	v_xor_b32_e32 v102, s18, v102
	v_cmp_gt_i32_e64 s14, 0, v113
	v_cmp_gt_i32_e64 s15, 0, v97
	v_ashrrev_i32_e32 v97, 31, v114
	s_set_vgpr_msb 0                        ;  msbs: dst=0 src0=0 src1=0 src2=0
	v_bitop3_b32 v96, v96, v101, v100 bitop3:0x80
	v_lshl_add_u32 v98, v98, 2, v12
	v_dual_ashrrev_i32 v103, 31, v112 :: v_dual_bitop2_b32 v99, s19, v103 bitop3:0x14
	v_xor_b32_e32 v97, s15, v97
	s_delay_alu instid0(VALU_DEP_2) | instskip(NEXT) | instid1(VALU_DEP_3)
	v_bitop3_b32 v99, v96, v99, v102 bitop3:0x80
	v_xor_b32_e32 v100, s14, v103
	ds_load_b32 v96, v98 offset:32
	v_add_nc_u32_e32 v98, 32, v98
	; wave barrier
	v_bitop3_b32 v99, v99, v97, v100 bitop3:0x80
	s_delay_alu instid0(VALU_DEP_1) | instskip(SKIP_1) | instid1(VALU_DEP_2)
	v_mbcnt_lo_u32_b32 v97, v99, 0
	v_cmp_ne_u32_e64 s15, 0, v99
	v_cmp_eq_u32_e64 s14, 0, v97
	s_and_b32 s15, s15, s14
	s_delay_alu instid0(SALU_CYCLE_1)
	s_and_saveexec_b32 s14, s15
	s_cbranch_execz .LBB1729_65
; %bb.64:                               ;   in Loop: Header=BB1729_53 Depth=1
	s_wait_dscnt 0x0
	v_bcnt_u32_b32 v99, v99, v96
	ds_store_b32 v98, v99
.LBB1729_65:                            ;   in Loop: Header=BB1729_53 Depth=1
	s_or_b32 exec_lo, exec_lo, s14
	s_set_vgpr_msb 4                        ;  msbs: dst=0 src0=0 src1=1 src2=0
	v_cmp_ne_u16_e64 s14, 0x8000, v36 /*v292*/
	; wave barrier
	s_delay_alu instid0(VALU_DEP_1) | instskip(SKIP_1) | instid1(VALU_DEP_1)
	v_cndmask_b32_e64 v99, 0x7fff, v36 /*v292*/, s14
	s_set_vgpr_msb 0                        ;  msbs: dst=0 src0=0 src1=0 src2=0
	v_and_b32_e32 v99, 0xffff, v99
	s_delay_alu instid0(VALU_DEP_1) | instskip(NEXT) | instid1(VALU_DEP_1)
	v_lshrrev_b32_e32 v99, v10, v99
	v_and_b32_e32 v100, v99, v83
	s_delay_alu instid0(VALU_DEP_1) | instskip(SKIP_1) | instid1(VALU_DEP_2)
	v_lshlrev_b32_e32 v103, 30, v100
	v_bitop3_b32 v99, v99, 1, v83 bitop3:0x80
	v_cmp_gt_i32_e64 s15, 0, v103
	s_delay_alu instid0(VALU_DEP_2) | instskip(NEXT) | instid1(VALU_DEP_1)
	v_add_co_u32 v99, s14, v99, -1
	v_cndmask_b32_e64 v102, 0, 1, s14
	s_delay_alu instid0(VALU_DEP_1) | instskip(SKIP_1) | instid1(VALU_DEP_1)
	v_cmp_ne_u32_e64 s14, 0, v102
	v_not_b32_e32 v102, v103
	v_dual_ashrrev_i32 v102, 31, v102 :: v_dual_lshlrev_b32 v112, 29, v100
	v_dual_lshlrev_b32 v113, 28, v100 :: v_dual_lshlrev_b32 v114, 27, v100
	v_dual_lshlrev_b32 v115, 26, v100 :: v_dual_lshlrev_b32 v116, 25, v100
	s_delay_alu instid0(VALU_DEP_3) | instskip(SKIP_1) | instid1(VALU_DEP_4)
	v_cmp_gt_i32_e64 s16, 0, v112
	v_not_b32_e32 v103, v112
	v_not_b32_e32 v112, v113
	s_set_vgpr_msb 16                       ;  msbs: dst=0 src0=0 src1=0 src2=1
	v_lshl_add_u32 v101, v100, 3, v7 /*v263*/
	v_lshlrev_b32_e32 v100, 24, v100
	v_cmp_gt_i32_e64 s17, 0, v113
	v_cmp_gt_i32_e64 s18, 0, v114
	v_not_b32_e32 v113, v114
	v_cmp_gt_i32_e64 s19, 0, v115
	v_not_b32_e32 v114, v115
	v_not_b32_e32 v115, v116
	v_dual_ashrrev_i32 v112, 31, v112 :: v_dual_bitop2_b32 v99, s14, v99 bitop3:0x14
	v_dual_ashrrev_i32 v103, 31, v103 :: v_dual_ashrrev_i32 v113, 31, v113
	v_xor_b32_e32 v102, s15, v102
	v_not_b32_e32 v117, v100
	s_delay_alu instid0(VALU_DEP_3) | instskip(SKIP_1) | instid1(VALU_DEP_4)
	v_dual_ashrrev_i32 v114, 31, v114 :: v_dual_bitop2_b32 v103, s16, v103 bitop3:0x14
	v_xor_b32_e32 v112, s17, v112
	v_bitop3_b32 v99, v99, v102, exec_lo bitop3:0x80
	v_xor_b32_e32 v113, s18, v113
	v_cmp_gt_i32_e64 s14, 0, v116
	v_cmp_gt_i32_e64 s15, 0, v100
	v_ashrrev_i32_e32 v100, 31, v117
	s_set_vgpr_msb 0                        ;  msbs: dst=0 src0=0 src1=0 src2=0
	v_bitop3_b32 v99, v99, v112, v103 bitop3:0x80
	v_lshl_add_u32 v101, v101, 2, v12
	v_dual_ashrrev_i32 v114, 31, v115 :: v_dual_bitop2_b32 v102, s19, v114 bitop3:0x14
	v_xor_b32_e32 v100, s15, v100
	s_delay_alu instid0(VALU_DEP_2) | instskip(NEXT) | instid1(VALU_DEP_3)
	v_bitop3_b32 v102, v99, v102, v113 bitop3:0x80
	v_xor_b32_e32 v103, s14, v114
	ds_load_b32 v99, v101 offset:32
	v_add_nc_u32_e32 v101, 32, v101
	; wave barrier
	v_bitop3_b32 v102, v102, v100, v103 bitop3:0x80
	s_delay_alu instid0(VALU_DEP_1) | instskip(SKIP_1) | instid1(VALU_DEP_2)
	v_mbcnt_lo_u32_b32 v100, v102, 0
	v_cmp_ne_u32_e64 s15, 0, v102
	v_cmp_eq_u32_e64 s14, 0, v100
	s_and_b32 s15, s15, s14
	s_delay_alu instid0(SALU_CYCLE_1)
	s_and_saveexec_b32 s14, s15
	s_cbranch_execz .LBB1729_67
; %bb.66:                               ;   in Loop: Header=BB1729_53 Depth=1
	s_wait_dscnt 0x0
	v_bcnt_u32_b32 v102, v102, v99
	ds_store_b32 v101, v102
.LBB1729_67:                            ;   in Loop: Header=BB1729_53 Depth=1
	s_or_b32 exec_lo, exec_lo, s14
	s_set_vgpr_msb 4                        ;  msbs: dst=0 src0=0 src1=1 src2=0
	v_cmp_ne_u16_e64 s14, 0x8000, v39 /*v295*/
	; wave barrier
	s_delay_alu instid0(VALU_DEP_1) | instskip(SKIP_1) | instid1(VALU_DEP_1)
	v_cndmask_b32_e64 v102, 0x7fff, v39 /*v295*/, s14
	s_set_vgpr_msb 0                        ;  msbs: dst=0 src0=0 src1=0 src2=0
	v_and_b32_e32 v102, 0xffff, v102
	s_delay_alu instid0(VALU_DEP_1) | instskip(NEXT) | instid1(VALU_DEP_1)
	v_lshrrev_b32_e32 v102, v10, v102
	v_and_b32_e32 v103, v102, v83
	s_delay_alu instid0(VALU_DEP_1) | instskip(SKIP_1) | instid1(VALU_DEP_2)
	v_lshlrev_b32_e32 v114, 30, v103
	v_bitop3_b32 v102, v102, 1, v83 bitop3:0x80
	v_cmp_gt_i32_e64 s15, 0, v114
	s_delay_alu instid0(VALU_DEP_2) | instskip(NEXT) | instid1(VALU_DEP_1)
	v_add_co_u32 v102, s14, v102, -1
	v_cndmask_b32_e64 v113, 0, 1, s14
	s_delay_alu instid0(VALU_DEP_1) | instskip(SKIP_1) | instid1(VALU_DEP_1)
	v_cmp_ne_u32_e64 s14, 0, v113
	v_not_b32_e32 v113, v114
	v_dual_ashrrev_i32 v113, 31, v113 :: v_dual_lshlrev_b32 v115, 29, v103
	v_dual_lshlrev_b32 v116, 28, v103 :: v_dual_lshlrev_b32 v117, 27, v103
	v_dual_lshlrev_b32 v118, 26, v103 :: v_dual_lshlrev_b32 v119, 25, v103
	s_delay_alu instid0(VALU_DEP_3) | instskip(SKIP_1) | instid1(VALU_DEP_4)
	v_cmp_gt_i32_e64 s16, 0, v115
	v_not_b32_e32 v114, v115
	v_not_b32_e32 v115, v116
	s_set_vgpr_msb 16                       ;  msbs: dst=0 src0=0 src1=0 src2=1
	v_lshl_add_u32 v112, v103, 3, v7 /*v263*/
	v_lshlrev_b32_e32 v103, 24, v103
	v_cmp_gt_i32_e64 s17, 0, v116
	v_cmp_gt_i32_e64 s18, 0, v117
	v_not_b32_e32 v116, v117
	v_cmp_gt_i32_e64 s19, 0, v118
	v_not_b32_e32 v117, v118
	v_not_b32_e32 v118, v119
	v_dual_ashrrev_i32 v115, 31, v115 :: v_dual_bitop2_b32 v102, s14, v102 bitop3:0x14
	v_dual_ashrrev_i32 v114, 31, v114 :: v_dual_ashrrev_i32 v116, 31, v116
	v_xor_b32_e32 v113, s15, v113
	v_not_b32_e32 v128, v103
	s_delay_alu instid0(VALU_DEP_3) | instskip(SKIP_1) | instid1(VALU_DEP_4)
	v_dual_ashrrev_i32 v117, 31, v117 :: v_dual_bitop2_b32 v114, s16, v114 bitop3:0x14
	v_xor_b32_e32 v115, s17, v115
	v_bitop3_b32 v102, v102, v113, exec_lo bitop3:0x80
	v_xor_b32_e32 v116, s18, v116
	v_cmp_gt_i32_e64 s14, 0, v119
	v_cmp_gt_i32_e64 s15, 0, v103
	v_ashrrev_i32_e32 v103, 31, v128
	s_set_vgpr_msb 0                        ;  msbs: dst=0 src0=0 src1=0 src2=0
	v_bitop3_b32 v102, v102, v115, v114 bitop3:0x80
	v_lshl_add_u32 v112, v112, 2, v12
	v_dual_ashrrev_i32 v117, 31, v118 :: v_dual_bitop2_b32 v113, s19, v117 bitop3:0x14
	v_xor_b32_e32 v103, s15, v103
	s_delay_alu instid0(VALU_DEP_2) | instskip(NEXT) | instid1(VALU_DEP_3)
	v_bitop3_b32 v113, v102, v113, v116 bitop3:0x80
	v_xor_b32_e32 v114, s14, v117
	ds_load_b32 v102, v112 offset:32
	v_add_nc_u32_e32 v112, 32, v112
	; wave barrier
	v_bitop3_b32 v113, v113, v103, v114 bitop3:0x80
	s_delay_alu instid0(VALU_DEP_1) | instskip(SKIP_1) | instid1(VALU_DEP_2)
	v_mbcnt_lo_u32_b32 v103, v113, 0
	v_cmp_ne_u32_e64 s15, 0, v113
	v_cmp_eq_u32_e64 s14, 0, v103
	s_and_b32 s15, s15, s14
	s_delay_alu instid0(SALU_CYCLE_1)
	s_and_saveexec_b32 s14, s15
	s_cbranch_execz .LBB1729_69
; %bb.68:                               ;   in Loop: Header=BB1729_53 Depth=1
	s_wait_dscnt 0x0
	v_bcnt_u32_b32 v113, v113, v102
	ds_store_b32 v112, v113
.LBB1729_69:                            ;   in Loop: Header=BB1729_53 Depth=1
	s_or_b32 exec_lo, exec_lo, s14
	s_set_vgpr_msb 4                        ;  msbs: dst=0 src0=0 src1=1 src2=0
	v_cmp_ne_u16_e64 s14, 0x8000, v38 /*v294*/
	; wave barrier
	s_delay_alu instid0(VALU_DEP_1) | instskip(SKIP_1) | instid1(VALU_DEP_1)
	v_cndmask_b32_e64 v113, 0x7fff, v38 /*v294*/, s14
	s_set_vgpr_msb 0                        ;  msbs: dst=0 src0=0 src1=0 src2=0
	v_and_b32_e32 v113, 0xffff, v113
	s_delay_alu instid0(VALU_DEP_1) | instskip(NEXT) | instid1(VALU_DEP_1)
	v_lshrrev_b32_e32 v113, v10, v113
	v_and_b32_e32 v114, v113, v83
	s_delay_alu instid0(VALU_DEP_1) | instskip(SKIP_1) | instid1(VALU_DEP_2)
	v_lshlrev_b32_e32 v117, 30, v114
	v_bitop3_b32 v113, v113, 1, v83 bitop3:0x80
	v_cmp_gt_i32_e64 s15, 0, v117
	s_delay_alu instid0(VALU_DEP_2) | instskip(NEXT) | instid1(VALU_DEP_1)
	v_add_co_u32 v113, s14, v113, -1
	v_cndmask_b32_e64 v116, 0, 1, s14
	s_delay_alu instid0(VALU_DEP_1) | instskip(SKIP_1) | instid1(VALU_DEP_1)
	v_cmp_ne_u32_e64 s14, 0, v116
	v_not_b32_e32 v116, v117
	v_dual_ashrrev_i32 v116, 31, v116 :: v_dual_lshlrev_b32 v118, 29, v114
	v_dual_lshlrev_b32 v119, 28, v114 :: v_dual_lshlrev_b32 v128, 27, v114
	v_dual_lshlrev_b32 v129, 26, v114 :: v_dual_lshlrev_b32 v130, 25, v114
	s_delay_alu instid0(VALU_DEP_3) | instskip(SKIP_1) | instid1(VALU_DEP_4)
	v_cmp_gt_i32_e64 s16, 0, v118
	v_not_b32_e32 v117, v118
	v_not_b32_e32 v118, v119
	s_set_vgpr_msb 16                       ;  msbs: dst=0 src0=0 src1=0 src2=1
	v_lshl_add_u32 v115, v114, 3, v7 /*v263*/
	v_lshlrev_b32_e32 v114, 24, v114
	v_cmp_gt_i32_e64 s17, 0, v119
	v_cmp_gt_i32_e64 s18, 0, v128
	v_not_b32_e32 v119, v128
	v_cmp_gt_i32_e64 s19, 0, v129
	v_not_b32_e32 v128, v129
	v_not_b32_e32 v129, v130
	v_dual_ashrrev_i32 v118, 31, v118 :: v_dual_bitop2_b32 v113, s14, v113 bitop3:0x14
	v_dual_ashrrev_i32 v117, 31, v117 :: v_dual_ashrrev_i32 v119, 31, v119
	v_xor_b32_e32 v116, s15, v116
	v_not_b32_e32 v131, v114
	s_delay_alu instid0(VALU_DEP_3) | instskip(SKIP_1) | instid1(VALU_DEP_4)
	v_dual_ashrrev_i32 v128, 31, v128 :: v_dual_bitop2_b32 v117, s16, v117 bitop3:0x14
	v_xor_b32_e32 v118, s17, v118
	v_bitop3_b32 v113, v113, v116, exec_lo bitop3:0x80
	v_xor_b32_e32 v119, s18, v119
	v_cmp_gt_i32_e64 s14, 0, v130
	v_cmp_gt_i32_e64 s15, 0, v114
	v_ashrrev_i32_e32 v114, 31, v131
	s_set_vgpr_msb 0                        ;  msbs: dst=0 src0=0 src1=0 src2=0
	v_bitop3_b32 v113, v113, v118, v117 bitop3:0x80
	v_lshl_add_u32 v115, v115, 2, v12
	v_dual_ashrrev_i32 v128, 31, v129 :: v_dual_bitop2_b32 v116, s19, v128 bitop3:0x14
	v_xor_b32_e32 v114, s15, v114
	s_delay_alu instid0(VALU_DEP_2) | instskip(NEXT) | instid1(VALU_DEP_3)
	v_bitop3_b32 v116, v113, v116, v119 bitop3:0x80
	v_xor_b32_e32 v117, s14, v128
	ds_load_b32 v113, v115 offset:32
	v_add_nc_u32_e32 v115, 32, v115
	; wave barrier
	v_bitop3_b32 v116, v116, v114, v117 bitop3:0x80
	s_delay_alu instid0(VALU_DEP_1) | instskip(SKIP_1) | instid1(VALU_DEP_2)
	v_mbcnt_lo_u32_b32 v114, v116, 0
	v_cmp_ne_u32_e64 s15, 0, v116
	v_cmp_eq_u32_e64 s14, 0, v114
	s_and_b32 s15, s15, s14
	s_delay_alu instid0(SALU_CYCLE_1)
	s_and_saveexec_b32 s14, s15
	s_cbranch_execz .LBB1729_71
; %bb.70:                               ;   in Loop: Header=BB1729_53 Depth=1
	s_wait_dscnt 0x0
	v_bcnt_u32_b32 v116, v116, v113
	ds_store_b32 v115, v116
.LBB1729_71:                            ;   in Loop: Header=BB1729_53 Depth=1
	s_or_b32 exec_lo, exec_lo, s14
	s_set_vgpr_msb 4                        ;  msbs: dst=0 src0=0 src1=1 src2=0
	v_cmp_ne_u16_e64 s14, 0x8000, v40 /*v296*/
	; wave barrier
	s_delay_alu instid0(VALU_DEP_1) | instskip(SKIP_1) | instid1(VALU_DEP_1)
	v_cndmask_b32_e64 v116, 0x7fff, v40 /*v296*/, s14
	s_set_vgpr_msb 0                        ;  msbs: dst=0 src0=0 src1=0 src2=0
	v_and_b32_e32 v116, 0xffff, v116
	s_delay_alu instid0(VALU_DEP_1) | instskip(NEXT) | instid1(VALU_DEP_1)
	v_lshrrev_b32_e32 v116, v10, v116
	v_and_b32_e32 v117, v116, v83
	s_delay_alu instid0(VALU_DEP_1) | instskip(SKIP_2) | instid1(VALU_DEP_3)
	v_lshlrev_b32_e32 v128, 30, v117
	v_bitop3_b32 v116, v116, 1, v83 bitop3:0x80
	v_lshlrev_b32_e32 v129, 29, v117
	v_cmp_gt_i32_e64 s15, 0, v128
	s_delay_alu instid0(VALU_DEP_3) | instskip(NEXT) | instid1(VALU_DEP_1)
	v_add_co_u32 v116, s14, v116, -1
	v_cndmask_b32_e64 v119, 0, 1, s14
	s_delay_alu instid0(VALU_DEP_1) | instskip(SKIP_2) | instid1(VALU_DEP_2)
	v_cmp_ne_u32_e64 s14, 0, v119
	v_not_b32_e32 v119, v128
	v_not_b32_e32 v128, v129
	v_dual_ashrrev_i32 v119, 31, v119 :: v_dual_bitop2_b32 v116, s14, v116 bitop3:0x14
	s_delay_alu instid0(VALU_DEP_2) | instskip(SKIP_3) | instid1(VALU_DEP_4)
	v_dual_ashrrev_i32 v128, 31, v128 :: v_dual_lshlrev_b32 v130, 28, v117
	v_dual_lshlrev_b32 v131, 27, v117 :: v_dual_lshlrev_b32 v132, 26, v117
	v_lshlrev_b32_e32 v133, 25, v117
	v_cmp_gt_i32_e64 s16, 0, v129
	v_not_b32_e32 v129, v130
	s_set_vgpr_msb 16                       ;  msbs: dst=0 src0=0 src1=0 src2=1
	v_lshl_add_u32 v118, v117, 3, v7 /*v263*/
	v_lshlrev_b32_e32 v117, 24, v117
	v_cmp_gt_i32_e64 s17, 0, v130
	v_cmp_gt_i32_e64 s18, 0, v131
	v_not_b32_e32 v130, v131
	v_cmp_gt_i32_e64 s19, 0, v132
	v_not_b32_e32 v131, v132
	v_not_b32_e32 v132, v133
	s_delay_alu instid0(VALU_DEP_4) | instskip(SKIP_3) | instid1(VALU_DEP_4)
	v_dual_ashrrev_i32 v129, 31, v129 :: v_dual_ashrrev_i32 v130, 31, v130
	v_xor_b32_e32 v119, s15, v119
	v_not_b32_e32 v134, v117
	v_dual_ashrrev_i32 v131, 31, v131 :: v_dual_bitop2_b32 v128, s16, v128 bitop3:0x14
	v_xor_b32_e32 v129, s17, v129
	s_delay_alu instid0(VALU_DEP_4) | instskip(SKIP_1) | instid1(VALU_DEP_4)
	v_bitop3_b32 v116, v116, v119, exec_lo bitop3:0x80
	v_cmp_gt_i32_e64 s14, 0, v133
	v_dual_ashrrev_i32 v131, 31, v132 :: v_dual_bitop2_b32 v119, s19, v131 bitop3:0x14
	v_cmp_gt_i32_e64 s15, 0, v117
	v_ashrrev_i32_e32 v117, 31, v134
	s_set_vgpr_msb 0                        ;  msbs: dst=0 src0=0 src1=0 src2=0
	v_bitop3_b32 v116, v116, v129, v128 bitop3:0x80
	v_lshl_add_u32 v128, v118, 2, v12
	v_xor_b32_e32 v130, s18, v130
	v_xor_b32_e32 v129, s14, v131
	;; [unrolled: 1-line block ×3, first 2 shown]
	ds_load_b32 v118, v128 offset:32
	v_bitop3_b32 v116, v116, v119, v130 bitop3:0x80
	; wave barrier
	s_delay_alu instid0(VALU_DEP_1) | instskip(SKIP_1) | instid1(VALU_DEP_2)
	v_bitop3_b32 v117, v116, v117, v129 bitop3:0x80
	v_add_nc_u32_e32 v116, 32, v128
	v_mbcnt_lo_u32_b32 v119, v117, 0
	v_cmp_ne_u32_e64 s15, 0, v117
	s_delay_alu instid0(VALU_DEP_2) | instskip(SKIP_1) | instid1(SALU_CYCLE_1)
	v_cmp_eq_u32_e64 s14, 0, v119
	s_and_b32 s15, s15, s14
	s_and_saveexec_b32 s14, s15
	s_cbranch_execz .LBB1729_73
; %bb.72:                               ;   in Loop: Header=BB1729_53 Depth=1
	s_wait_dscnt 0x0
	v_bcnt_u32_b32 v117, v117, v118
	ds_store_b32 v116, v117
.LBB1729_73:                            ;   in Loop: Header=BB1729_53 Depth=1
	s_or_b32 exec_lo, exec_lo, s14
	s_set_vgpr_msb 4                        ;  msbs: dst=0 src0=0 src1=1 src2=0
	v_cmp_ne_u16_e64 s14, 0x8000, v41 /*v297*/
	; wave barrier
	s_delay_alu instid0(VALU_DEP_1) | instskip(SKIP_1) | instid1(VALU_DEP_1)
	v_cndmask_b32_e64 v117, 0x7fff, v41 /*v297*/, s14
	s_set_vgpr_msb 0                        ;  msbs: dst=0 src0=0 src1=0 src2=0
	v_and_b32_e32 v117, 0xffff, v117
	s_delay_alu instid0(VALU_DEP_1) | instskip(NEXT) | instid1(VALU_DEP_1)
	v_lshrrev_b32_e32 v117, v10, v117
	v_and_b32_e32 v128, v117, v83
	s_delay_alu instid0(VALU_DEP_1) | instskip(SKIP_1) | instid1(VALU_DEP_2)
	v_lshlrev_b32_e32 v131, 30, v128
	v_bitop3_b32 v117, v117, 1, v83 bitop3:0x80
	v_cmp_gt_i32_e64 s15, 0, v131
	s_delay_alu instid0(VALU_DEP_2) | instskip(NEXT) | instid1(VALU_DEP_1)
	v_add_co_u32 v117, s14, v117, -1
	v_cndmask_b32_e64 v130, 0, 1, s14
	s_delay_alu instid0(VALU_DEP_1) | instskip(SKIP_1) | instid1(VALU_DEP_1)
	v_cmp_ne_u32_e64 s14, 0, v130
	v_not_b32_e32 v130, v131
	v_dual_ashrrev_i32 v130, 31, v130 :: v_dual_lshlrev_b32 v132, 29, v128
	v_dual_lshlrev_b32 v133, 28, v128 :: v_dual_lshlrev_b32 v134, 27, v128
	v_dual_lshlrev_b32 v135, 26, v128 :: v_dual_lshlrev_b32 v144, 25, v128
	s_delay_alu instid0(VALU_DEP_3) | instskip(SKIP_1) | instid1(VALU_DEP_4)
	v_cmp_gt_i32_e64 s16, 0, v132
	v_not_b32_e32 v131, v132
	v_not_b32_e32 v132, v133
	s_set_vgpr_msb 16                       ;  msbs: dst=0 src0=0 src1=0 src2=1
	v_lshl_add_u32 v129, v128, 3, v7 /*v263*/
	v_lshlrev_b32_e32 v128, 24, v128
	v_cmp_gt_i32_e64 s17, 0, v133
	v_cmp_gt_i32_e64 s18, 0, v134
	v_not_b32_e32 v133, v134
	v_cmp_gt_i32_e64 s19, 0, v135
	v_not_b32_e32 v134, v135
	v_not_b32_e32 v135, v144
	v_dual_ashrrev_i32 v131, 31, v131 :: v_dual_bitop2_b32 v117, s14, v117 bitop3:0x14
	v_dual_ashrrev_i32 v132, 31, v132 :: v_dual_ashrrev_i32 v133, 31, v133
	v_xor_b32_e32 v130, s15, v130
	v_not_b32_e32 v145, v128
	s_delay_alu instid0(VALU_DEP_4) | instskip(NEXT) | instid1(VALU_DEP_4)
	v_dual_ashrrev_i32 v134, 31, v134 :: v_dual_bitop2_b32 v131, s16, v131 bitop3:0x14
	v_xor_b32_e32 v132, s17, v132
	s_delay_alu instid0(VALU_DEP_4)
	v_bitop3_b32 v117, v117, v130, exec_lo bitop3:0x80
	v_xor_b32_e32 v133, s18, v133
	v_cmp_gt_i32_e64 s14, 0, v144
	v_cmp_gt_i32_e64 s15, 0, v128
	v_ashrrev_i32_e32 v128, 31, v145
	s_set_vgpr_msb 0                        ;  msbs: dst=0 src0=0 src1=0 src2=0
	v_bitop3_b32 v117, v117, v132, v131 bitop3:0x80
	v_lshl_add_u32 v129, v129, 2, v12
	v_dual_ashrrev_i32 v134, 31, v135 :: v_dual_bitop2_b32 v130, s19, v134 bitop3:0x14
	v_xor_b32_e32 v128, s15, v128
	ds_load_b32 v144, v129 offset:32
	v_bitop3_b32 v117, v117, v130, v133 bitop3:0x80
	v_xor_b32_e32 v131, s14, v134
	; wave barrier
	s_delay_alu instid0(VALU_DEP_1) | instskip(SKIP_1) | instid1(VALU_DEP_2)
	v_bitop3_b32 v117, v117, v128, v131 bitop3:0x80
	v_add_nc_u32_e32 v128, 32, v129
	v_mbcnt_lo_u32_b32 v146, v117, 0
	v_cmp_ne_u32_e64 s15, 0, v117
	s_delay_alu instid0(VALU_DEP_2) | instskip(SKIP_1) | instid1(SALU_CYCLE_1)
	v_cmp_eq_u32_e64 s14, 0, v146
	s_and_b32 s15, s15, s14
	s_and_saveexec_b32 s14, s15
	s_cbranch_execz .LBB1729_75
; %bb.74:                               ;   in Loop: Header=BB1729_53 Depth=1
	s_wait_dscnt 0x0
	v_bcnt_u32_b32 v117, v117, v144
	ds_store_b32 v128, v117
.LBB1729_75:                            ;   in Loop: Header=BB1729_53 Depth=1
	s_or_b32 exec_lo, exec_lo, s14
	s_set_vgpr_msb 4                        ;  msbs: dst=0 src0=0 src1=1 src2=0
	v_cmp_ne_u16_e64 s14, 0x8000, v42 /*v298*/
	; wave barrier
	s_delay_alu instid0(VALU_DEP_1) | instskip(SKIP_1) | instid1(VALU_DEP_1)
	v_cndmask_b32_e64 v117, 0x7fff, v42 /*v298*/, s14
	s_set_vgpr_msb 0                        ;  msbs: dst=0 src0=0 src1=0 src2=0
	v_and_b32_e32 v117, 0xffff, v117
	s_delay_alu instid0(VALU_DEP_1) | instskip(NEXT) | instid1(VALU_DEP_1)
	v_lshrrev_b32_e32 v117, v10, v117
	v_and_b32_e32 v129, v117, v83
	v_bitop3_b32 v117, v117, 1, v83 bitop3:0x80
	s_delay_alu instid0(VALU_DEP_2) | instskip(NEXT) | instid1(VALU_DEP_2)
	v_dual_lshlrev_b32 v132, 30, v129 :: v_dual_lshlrev_b32 v133, 29, v129
	v_add_co_u32 v117, s14, v117, -1
	s_delay_alu instid0(VALU_DEP_1) | instskip(NEXT) | instid1(VALU_DEP_3)
	v_cndmask_b32_e64 v131, 0, 1, s14
	v_cmp_gt_i32_e64 s15, 0, v132
	s_delay_alu instid0(VALU_DEP_4) | instskip(NEXT) | instid1(VALU_DEP_3)
	v_cmp_gt_i32_e64 s16, 0, v133
	v_cmp_ne_u32_e64 s14, 0, v131
	v_not_b32_e32 v131, v132
	v_not_b32_e32 v132, v133
	s_delay_alu instid0(VALU_DEP_1) | instskip(SKIP_4) | instid1(VALU_DEP_3)
	v_dual_ashrrev_i32 v131, 31, v131 :: v_dual_ashrrev_i32 v132, 31, v132
	v_dual_lshlrev_b32 v134, 28, v129 :: v_dual_lshlrev_b32 v135, 27, v129
	v_dual_lshlrev_b32 v145, 26, v129 :: v_dual_lshlrev_b32 v147, 25, v129
	s_set_vgpr_msb 16                       ;  msbs: dst=0 src0=0 src1=0 src2=1
	v_lshl_add_u32 v130, v129, 3, v7 /*v263*/
	v_not_b32_e32 v133, v134
	v_cmp_gt_i32_e64 s17, 0, v134
	v_cmp_gt_i32_e64 s18, 0, v135
	v_not_b32_e32 v134, v135
	v_lshlrev_b32_e32 v129, 24, v129
	v_not_b32_e32 v135, v145
	v_xor_b32_e32 v117, s14, v117
	v_dual_ashrrev_i32 v133, 31, v133 :: v_dual_bitop2_b32 v131, s15, v131 bitop3:0x14
	v_cmp_gt_i32_e64 s19, 0, v145
	v_not_b32_e32 v145, v147
	v_ashrrev_i32_e32 v134, 31, v134
	v_not_b32_e32 v148, v129
	v_dual_ashrrev_i32 v135, 31, v135 :: v_dual_bitop2_b32 v132, s16, v132 bitop3:0x14
	v_xor_b32_e32 v133, s17, v133
	v_bitop3_b32 v117, v117, v131, exec_lo bitop3:0x80
	v_xor_b32_e32 v134, s18, v134
	v_cmp_gt_i32_e64 s14, 0, v147
	v_cmp_gt_i32_e64 s15, 0, v129
	v_ashrrev_i32_e32 v129, 31, v148
	s_set_vgpr_msb 0                        ;  msbs: dst=0 src0=0 src1=0 src2=0
	v_lshl_add_u32 v130, v130, 2, v12
	v_dual_ashrrev_i32 v135, 31, v145 :: v_dual_bitop2_b32 v131, s19, v135 bitop3:0x14
	v_bitop3_b32 v117, v117, v133, v132 bitop3:0x80
	v_xor_b32_e32 v129, s15, v129
	ds_load_b32 v148, v130 offset:32
	v_dual_add_nc_u32 v130, 32, v130 :: v_dual_bitop2_b32 v132, s14, v135 bitop3:0x14
	v_bitop3_b32 v117, v117, v131, v134 bitop3:0x80
	; wave barrier
	s_delay_alu instid0(VALU_DEP_1) | instskip(NEXT) | instid1(VALU_DEP_1)
	v_bitop3_b32 v117, v117, v129, v132 bitop3:0x80
	v_mbcnt_lo_u32_b32 v164, v117, 0
	v_cmp_ne_u32_e64 s15, 0, v117
	s_delay_alu instid0(VALU_DEP_2) | instskip(SKIP_1) | instid1(SALU_CYCLE_1)
	v_cmp_eq_u32_e64 s14, 0, v164
	s_and_b32 s15, s15, s14
	s_and_saveexec_b32 s14, s15
	s_cbranch_execz .LBB1729_77
; %bb.76:                               ;   in Loop: Header=BB1729_53 Depth=1
	s_wait_dscnt 0x0
	v_bcnt_u32_b32 v117, v117, v148
	ds_store_b32 v130, v117
.LBB1729_77:                            ;   in Loop: Header=BB1729_53 Depth=1
	s_or_b32 exec_lo, exec_lo, s14
	s_set_vgpr_msb 4                        ;  msbs: dst=0 src0=0 src1=1 src2=0
	v_cmp_ne_u16_e64 s14, 0x8000, v43 /*v299*/
	; wave barrier
	s_delay_alu instid0(VALU_DEP_1) | instskip(SKIP_1) | instid1(VALU_DEP_1)
	v_cndmask_b32_e64 v117, 0x7fff, v43 /*v299*/, s14
	s_set_vgpr_msb 0                        ;  msbs: dst=0 src0=0 src1=0 src2=0
	v_and_b32_e32 v117, 0xffff, v117
	s_delay_alu instid0(VALU_DEP_1) | instskip(NEXT) | instid1(VALU_DEP_1)
	v_lshrrev_b32_e32 v117, v10, v117
	v_and_b32_e32 v129, v117, v83
	v_bitop3_b32 v117, v117, 1, v83 bitop3:0x80
	s_delay_alu instid0(VALU_DEP_2) | instskip(NEXT) | instid1(VALU_DEP_2)
	v_dual_lshlrev_b32 v133, 30, v129 :: v_dual_lshlrev_b32 v134, 29, v129
	v_add_co_u32 v117, s14, v117, -1
	s_delay_alu instid0(VALU_DEP_1) | instskip(NEXT) | instid1(VALU_DEP_3)
	v_cndmask_b32_e64 v132, 0, 1, s14
	v_cmp_gt_i32_e64 s15, 0, v133
	s_delay_alu instid0(VALU_DEP_4) | instskip(NEXT) | instid1(VALU_DEP_3)
	v_cmp_gt_i32_e64 s16, 0, v134
	v_cmp_ne_u32_e64 s14, 0, v132
	v_not_b32_e32 v132, v133
	v_not_b32_e32 v133, v134
	s_delay_alu instid0(VALU_DEP_1) | instskip(SKIP_4) | instid1(VALU_DEP_3)
	v_dual_ashrrev_i32 v132, 31, v132 :: v_dual_ashrrev_i32 v133, 31, v133
	v_dual_lshlrev_b32 v135, 28, v129 :: v_dual_lshlrev_b32 v145, 27, v129
	v_dual_lshlrev_b32 v147, 26, v129 :: v_dual_lshlrev_b32 v149, 25, v129
	s_set_vgpr_msb 16                       ;  msbs: dst=0 src0=0 src1=0 src2=1
	v_lshl_add_u32 v131, v129, 3, v7 /*v263*/
	v_not_b32_e32 v134, v135
	v_lshlrev_b32_e32 v129, 24, v129
	v_cmp_gt_i32_e64 s17, 0, v135
	v_cmp_gt_i32_e64 s18, 0, v145
	v_not_b32_e32 v135, v145
	v_not_b32_e32 v145, v147
	v_dual_ashrrev_i32 v134, 31, v134 :: v_dual_bitop2_b32 v117, s14, v117 bitop3:0x14
	v_xor_b32_e32 v132, s15, v132
	v_cmp_gt_i32_e64 s19, 0, v147
	v_not_b32_e32 v147, v149
	v_not_b32_e32 v150, v129
	v_dual_ashrrev_i32 v135, 31, v135 :: v_dual_ashrrev_i32 v145, 31, v145
	v_xor_b32_e32 v133, s16, v133
	v_bitop3_b32 v117, v117, v132, exec_lo bitop3:0x80
	s_set_vgpr_msb 0                        ;  msbs: dst=0 src0=0 src1=0 src2=0
	v_lshl_add_u32 v131, v131, 2, v12
	v_xor_b32_e32 v134, s17, v134
	v_xor_b32_e32 v135, s18, v135
	;; [unrolled: 1-line block ×3, first 2 shown]
	v_cmp_gt_i32_e64 s14, 0, v149
	v_ashrrev_i32_e32 v145, 31, v147
	v_cmp_gt_i32_e64 s15, 0, v129
	v_ashrrev_i32_e32 v129, 31, v150
	v_bitop3_b32 v117, v117, v134, v133 bitop3:0x80
	ds_load_b32 v165, v131 offset:32
	v_xor_b32_e32 v133, s14, v145
	v_xor_b32_e32 v129, s15, v129
	v_bitop3_b32 v117, v117, v132, v135 bitop3:0x80
	v_add_nc_u32_e32 v132, 32, v131
	; wave barrier
	s_delay_alu instid0(VALU_DEP_2) | instskip(NEXT) | instid1(VALU_DEP_1)
	v_bitop3_b32 v117, v117, v129, v133 bitop3:0x80
	v_mbcnt_lo_u32_b32 v176, v117, 0
	v_cmp_ne_u32_e64 s15, 0, v117
	s_delay_alu instid0(VALU_DEP_2) | instskip(SKIP_1) | instid1(SALU_CYCLE_1)
	v_cmp_eq_u32_e64 s14, 0, v176
	s_and_b32 s15, s15, s14
	s_and_saveexec_b32 s14, s15
	s_cbranch_execz .LBB1729_79
; %bb.78:                               ;   in Loop: Header=BB1729_53 Depth=1
	s_wait_dscnt 0x0
	v_bcnt_u32_b32 v117, v117, v165
	ds_store_b32 v132, v117
.LBB1729_79:                            ;   in Loop: Header=BB1729_53 Depth=1
	s_or_b32 exec_lo, exec_lo, s14
	s_set_vgpr_msb 4                        ;  msbs: dst=0 src0=0 src1=1 src2=0
	v_cmp_ne_u16_e64 s14, 0x8000, v45 /*v301*/
	; wave barrier
	s_delay_alu instid0(VALU_DEP_1) | instskip(SKIP_1) | instid1(VALU_DEP_1)
	v_cndmask_b32_e64 v117, 0x7fff, v45 /*v301*/, s14
	s_set_vgpr_msb 0                        ;  msbs: dst=0 src0=0 src1=0 src2=0
	v_and_b32_e32 v117, 0xffff, v117
	s_delay_alu instid0(VALU_DEP_1) | instskip(NEXT) | instid1(VALU_DEP_1)
	v_lshrrev_b32_e32 v117, v10, v117
	v_and_b32_e32 v129, v117, v83
	v_bitop3_b32 v117, v117, 1, v83 bitop3:0x80
	s_delay_alu instid0(VALU_DEP_2) | instskip(NEXT) | instid1(VALU_DEP_2)
	v_lshlrev_b32_e32 v134, 30, v129
	v_add_co_u32 v117, s14, v117, -1
	s_delay_alu instid0(VALU_DEP_1) | instskip(NEXT) | instid1(VALU_DEP_1)
	v_cndmask_b32_e64 v133, 0, 1, s14
	v_cmp_ne_u32_e64 s14, 0, v133
	s_delay_alu instid0(VALU_DEP_4) | instskip(NEXT) | instid1(VALU_DEP_1)
	v_not_b32_e32 v133, v134
	v_ashrrev_i32_e32 v133, 31, v133
	v_dual_lshlrev_b32 v135, 29, v129 :: v_dual_lshlrev_b32 v145, 28, v129
	v_lshlrev_b32_e32 v147, 27, v129
	s_set_vgpr_msb 16                       ;  msbs: dst=0 src0=0 src1=0 src2=1
	v_lshl_add_u32 v131, v129, 3, v7 /*v263*/
	v_dual_lshlrev_b32 v149, 26, v129 :: v_dual_lshlrev_b32 v150, 25, v129
	v_cmp_gt_i32_e64 s15, 0, v134
	v_cmp_gt_i32_e64 s16, 0, v135
	v_not_b32_e32 v134, v135
	v_not_b32_e32 v135, v145
	v_lshlrev_b32_e32 v129, 24, v129
	v_cmp_gt_i32_e64 s17, 0, v145
	v_cmp_gt_i32_e64 s18, 0, v147
	v_not_b32_e32 v145, v147
	v_not_b32_e32 v147, v149
	v_dual_ashrrev_i32 v134, 31, v134 :: v_dual_bitop2_b32 v117, s14, v117 bitop3:0x14
	v_ashrrev_i32_e32 v135, 31, v135
	v_not_b32_e32 v151, v129
	v_xor_b32_e32 v133, s15, v133
	v_cmp_gt_i32_e64 s19, 0, v149
	v_not_b32_e32 v149, v150
	v_dual_ashrrev_i32 v145, 31, v145 :: v_dual_bitop2_b32 v134, s16, v134 bitop3:0x14
	v_ashrrev_i32_e32 v147, 31, v147
	v_xor_b32_e32 v135, s17, v135
	v_cmp_gt_i32_e64 s15, 0, v129
	v_ashrrev_i32_e32 v129, 31, v151
	v_bitop3_b32 v117, v117, v133, exec_lo bitop3:0x80
	v_xor_b32_e32 v133, s19, v147
	v_cmp_gt_i32_e64 s14, 0, v150
	v_ashrrev_i32_e32 v147, 31, v149
	s_set_vgpr_msb 0                        ;  msbs: dst=0 src0=0 src1=0 src2=0
	v_lshl_add_u32 v131, v131, 2, v12
	v_xor_b32_e32 v145, s18, v145
	v_bitop3_b32 v117, v117, v135, v134 bitop3:0x80
	v_xor_b32_e32 v129, s15, v129
	v_xor_b32_e32 v134, s14, v147
	ds_load_b32 v177, v131 offset:32
	v_bitop3_b32 v117, v117, v133, v145 bitop3:0x80
	; wave barrier
	s_delay_alu instid0(VALU_DEP_1) | instskip(SKIP_1) | instid1(VALU_DEP_2)
	v_bitop3_b32 v117, v117, v129, v134 bitop3:0x80
	v_add_nc_u32_e32 v134, 32, v131
	v_mbcnt_lo_u32_b32 v178, v117, 0
	v_cmp_ne_u32_e64 s15, 0, v117
	s_delay_alu instid0(VALU_DEP_2) | instskip(SKIP_1) | instid1(SALU_CYCLE_1)
	v_cmp_eq_u32_e64 s14, 0, v178
	s_and_b32 s15, s15, s14
	s_and_saveexec_b32 s14, s15
	s_cbranch_execz .LBB1729_81
; %bb.80:                               ;   in Loop: Header=BB1729_53 Depth=1
	s_wait_dscnt 0x0
	v_bcnt_u32_b32 v117, v117, v177
	ds_store_b32 v134, v117
.LBB1729_81:                            ;   in Loop: Header=BB1729_53 Depth=1
	s_or_b32 exec_lo, exec_lo, s14
	s_set_vgpr_msb 4                        ;  msbs: dst=0 src0=0 src1=1 src2=0
	v_cmp_ne_u16_e64 s14, 0x8000, v44 /*v300*/
	; wave barrier
	s_delay_alu instid0(VALU_DEP_1) | instskip(SKIP_1) | instid1(VALU_DEP_1)
	v_cndmask_b32_e64 v117, 0x7fff, v44 /*v300*/, s14
	s_set_vgpr_msb 0                        ;  msbs: dst=0 src0=0 src1=0 src2=0
	v_and_b32_e32 v117, 0xffff, v117
	s_delay_alu instid0(VALU_DEP_1) | instskip(NEXT) | instid1(VALU_DEP_1)
	v_lshrrev_b32_e32 v117, v10, v117
	v_and_b32_e32 v129, v117, v83
	v_bitop3_b32 v117, v117, 1, v83 bitop3:0x80
	s_delay_alu instid0(VALU_DEP_2) | instskip(NEXT) | instid1(VALU_DEP_2)
	v_lshlrev_b32_e32 v135, 30, v129
	v_add_co_u32 v117, s14, v117, -1
	s_delay_alu instid0(VALU_DEP_1) | instskip(NEXT) | instid1(VALU_DEP_1)
	v_cndmask_b32_e64 v133, 0, 1, s14
	v_cmp_ne_u32_e64 s14, 0, v133
	s_delay_alu instid0(VALU_DEP_4) | instskip(NEXT) | instid1(VALU_DEP_1)
	v_not_b32_e32 v133, v135
	v_ashrrev_i32_e32 v133, 31, v133
	v_dual_lshlrev_b32 v145, 29, v129 :: v_dual_lshlrev_b32 v147, 28, v129
	v_lshlrev_b32_e32 v149, 27, v129
	s_set_vgpr_msb 16                       ;  msbs: dst=0 src0=0 src1=0 src2=1
	v_lshl_add_u32 v131, v129, 3, v7 /*v263*/
	v_dual_lshlrev_b32 v150, 26, v129 :: v_dual_lshlrev_b32 v151, 25, v129
	v_cmp_gt_i32_e64 s15, 0, v135
	v_cmp_gt_i32_e64 s16, 0, v145
	v_not_b32_e32 v135, v145
	v_cmp_gt_i32_e64 s17, 0, v147
	v_not_b32_e32 v145, v147
	v_not_b32_e32 v147, v149
	v_lshlrev_b32_e32 v129, 24, v129
	v_cmp_gt_i32_e64 s18, 0, v149
	v_cmp_gt_i32_e64 s19, 0, v150
	v_not_b32_e32 v149, v150
	v_not_b32_e32 v150, v151
	v_dual_ashrrev_i32 v135, 31, v135 :: v_dual_bitop2_b32 v117, s14, v117 bitop3:0x14
	v_dual_ashrrev_i32 v145, 31, v145 :: v_dual_ashrrev_i32 v147, 31, v147
	v_not_b32_e32 v160, v129
	v_xor_b32_e32 v133, s15, v133
	s_delay_alu instid0(VALU_DEP_4) | instskip(SKIP_1) | instid1(VALU_DEP_4)
	v_dual_ashrrev_i32 v149, 31, v149 :: v_dual_bitop2_b32 v135, s16, v135 bitop3:0x14
	v_cmp_gt_i32_e64 s15, 0, v129
	v_ashrrev_i32_e32 v129, 31, v160
	s_delay_alu instid0(VALU_DEP_4)
	v_bitop3_b32 v117, v117, v133, exec_lo bitop3:0x80
	s_set_vgpr_msb 0                        ;  msbs: dst=0 src0=0 src1=0 src2=0
	v_lshl_add_u32 v131, v131, 2, v12
	v_xor_b32_e32 v145, s17, v145
	v_xor_b32_e32 v147, s18, v147
	;; [unrolled: 1-line block ×3, first 2 shown]
	v_cmp_gt_i32_e64 s14, 0, v151
	v_dual_ashrrev_i32 v149, 31, v150 :: v_dual_add_nc_u32 v150, 32, v131
	v_bitop3_b32 v117, v117, v145, v135 bitop3:0x80
	v_xor_b32_e32 v129, s15, v129
	ds_load_b32 v180, v131 offset:32
	v_xor_b32_e32 v135, s14, v149
	v_bitop3_b32 v117, v117, v133, v147 bitop3:0x80
	; wave barrier
	s_delay_alu instid0(VALU_DEP_1) | instskip(NEXT) | instid1(VALU_DEP_1)
	v_bitop3_b32 v117, v117, v129, v135 bitop3:0x80
	v_mbcnt_lo_u32_b32 v182, v117, 0
	v_cmp_ne_u32_e64 s15, 0, v117
	s_delay_alu instid0(VALU_DEP_2) | instskip(SKIP_1) | instid1(SALU_CYCLE_1)
	v_cmp_eq_u32_e64 s14, 0, v182
	s_and_b32 s15, s15, s14
	s_and_saveexec_b32 s14, s15
	s_cbranch_execz .LBB1729_83
; %bb.82:                               ;   in Loop: Header=BB1729_53 Depth=1
	s_wait_dscnt 0x0
	v_bcnt_u32_b32 v117, v117, v180
	ds_store_b32 v150, v117
.LBB1729_83:                            ;   in Loop: Header=BB1729_53 Depth=1
	s_or_b32 exec_lo, exec_lo, s14
	s_set_vgpr_msb 4                        ;  msbs: dst=0 src0=0 src1=1 src2=0
	v_cmp_ne_u16_e64 s14, 0x8000, v46 /*v302*/
	; wave barrier
	s_delay_alu instid0(VALU_DEP_1) | instskip(SKIP_1) | instid1(VALU_DEP_1)
	v_cndmask_b32_e64 v117, 0x7fff, v46 /*v302*/, s14
	s_set_vgpr_msb 0                        ;  msbs: dst=0 src0=0 src1=0 src2=0
	v_and_b32_e32 v117, 0xffff, v117
	s_delay_alu instid0(VALU_DEP_1) | instskip(NEXT) | instid1(VALU_DEP_1)
	v_lshrrev_b32_e32 v117, v10, v117
	v_and_b32_e32 v129, v117, v83
	v_bitop3_b32 v83, v117, 1, v83 bitop3:0x80
	s_delay_alu instid0(VALU_DEP_2) | instskip(NEXT) | instid1(VALU_DEP_2)
	v_dual_lshlrev_b32 v133, 30, v129 :: v_dual_lshlrev_b32 v135, 29, v129
	v_add_co_u32 v83, s14, v83, -1
	s_delay_alu instid0(VALU_DEP_1) | instskip(NEXT) | instid1(VALU_DEP_3)
	v_cndmask_b32_e64 v131, 0, 1, s14
	v_cmp_gt_i32_e64 s15, 0, v133
	s_delay_alu instid0(VALU_DEP_4) | instskip(NEXT) | instid1(VALU_DEP_3)
	v_cmp_gt_i32_e64 s16, 0, v135
	v_cmp_ne_u32_e64 s14, 0, v131
	v_not_b32_e32 v131, v133
	v_not_b32_e32 v133, v135
	s_delay_alu instid0(VALU_DEP_3) | instskip(NEXT) | instid1(VALU_DEP_2)
	v_xor_b32_e32 v83, s14, v83
	v_dual_ashrrev_i32 v131, 31, v131 :: v_dual_ashrrev_i32 v133, 31, v133
	v_dual_lshlrev_b32 v145, 28, v129 :: v_dual_lshlrev_b32 v147, 27, v129
	v_dual_lshlrev_b32 v149, 26, v129 :: v_dual_lshlrev_b32 v151, 25, v129
	s_set_vgpr_msb 16                       ;  msbs: dst=0 src0=0 src1=0 src2=1
	v_lshl_add_u32 v117, v129, 3, v7 /*v263*/
	s_delay_alu instid0(VALU_DEP_3)
	v_not_b32_e32 v135, v145
	v_lshlrev_b32_e32 v129, 24, v129
	v_cmp_gt_i32_e64 s17, 0, v145
	v_cmp_gt_i32_e64 s18, 0, v147
	v_not_b32_e32 v145, v147
	v_cmp_gt_i32_e64 s19, 0, v149
	v_not_b32_e32 v147, v149
	v_not_b32_e32 v149, v151
	s_delay_alu instid0(VALU_DEP_4) | instskip(SKIP_3) | instid1(VALU_DEP_4)
	v_dual_ashrrev_i32 v135, 31, v135 :: v_dual_ashrrev_i32 v145, 31, v145
	v_xor_b32_e32 v131, s15, v131
	v_not_b32_e32 v160, v129
	v_dual_ashrrev_i32 v147, 31, v147 :: v_dual_bitop2_b32 v133, s16, v133 bitop3:0x14
	v_xor_b32_e32 v135, s17, v135
	s_delay_alu instid0(VALU_DEP_4)
	v_bitop3_b32 v83, v83, v131, exec_lo bitop3:0x80
	v_xor_b32_e32 v145, s18, v145
	v_cmp_gt_i32_e64 s14, 0, v151
	v_cmp_gt_i32_e64 s15, 0, v129
	v_ashrrev_i32_e32 v129, 31, v160
	s_set_vgpr_msb 0                        ;  msbs: dst=0 src0=0 src1=0 src2=0
	v_bitop3_b32 v83, v83, v135, v133 bitop3:0x80
	v_lshl_add_u32 v133, v117, 2, v12
	v_dual_ashrrev_i32 v147, 31, v149 :: v_dual_bitop2_b32 v131, s19, v147 bitop3:0x14
	v_xor_b32_e32 v129, s15, v129
	s_delay_alu instid0(VALU_DEP_3) | instskip(NEXT) | instid1(VALU_DEP_3)
	v_add_nc_u32_e32 v160, 32, v133
	v_bitop3_b32 v131, v83, v131, v145 bitop3:0x80
	s_delay_alu instid0(VALU_DEP_4) | instskip(SKIP_2) | instid1(VALU_DEP_1)
	v_xor_b32_e32 v117, s14, v147
	ds_load_b32 v83, v133 offset:32
	; wave barrier
	v_bitop3_b32 v117, v131, v129, v117 bitop3:0x80
	v_mbcnt_lo_u32_b32 v192, v117, 0
	v_cmp_ne_u32_e64 s15, 0, v117
	s_delay_alu instid0(VALU_DEP_2) | instskip(SKIP_1) | instid1(SALU_CYCLE_1)
	v_cmp_eq_u32_e64 s14, 0, v192
	s_and_b32 s15, s15, s14
	s_and_saveexec_b32 s14, s15
	s_cbranch_execz .LBB1729_85
; %bb.84:                               ;   in Loop: Header=BB1729_53 Depth=1
	s_wait_dscnt 0x0
	v_bcnt_u32_b32 v117, v117, v83
	ds_store_b32 v160, v117
.LBB1729_85:                            ;   in Loop: Header=BB1729_53 Depth=1
	s_or_b32 exec_lo, exec_lo, s14
	; wave barrier
	s_wait_dscnt 0x0
	s_barrier_signal -1
	s_barrier_wait -1
	ds_load_b32 v129, v31
	ds_load_b32 v133, v39
	s_set_vgpr_msb 1                        ;  msbs: dst=0 src0=1 src1=0 src2=0
	ds_load_b32 v135, v1 /*v257*/
	ds_load_b32 v117, v2 /*v258*/
	;; [unrolled: 1-line block ×6, first 2 shown]
	s_wait_dscnt 0x6
	s_set_vgpr_msb 0                        ;  msbs: dst=0 src0=0 src1=0 src2=0
	v_add_nc_u32_e32 v147, v133, v129
	s_wait_dscnt 0x4
	s_delay_alu instid0(VALU_DEP_1) | instskip(SKIP_1) | instid1(VALU_DEP_1)
	v_add3_u32 v147, v147, v135, v117
	s_wait_dscnt 0x2
	v_add3_u32 v147, v147, v131, v149
	s_wait_dscnt 0x0
	s_delay_alu instid0(VALU_DEP_1) | instskip(NEXT) | instid1(VALU_DEP_1)
	v_add3_u32 v145, v147, v162, v145
	v_mov_b32_dpp v147, v145 row_shr:1 row_mask:0xf bank_mask:0xf
	s_delay_alu instid0(VALU_DEP_1) | instskip(NEXT) | instid1(VALU_DEP_1)
	v_cndmask_b32_e64 v147, v147, 0, vcc_lo
	v_add_nc_u32_e32 v145, v147, v145
	s_delay_alu instid0(VALU_DEP_1) | instskip(NEXT) | instid1(VALU_DEP_1)
	v_mov_b32_dpp v147, v145 row_shr:2 row_mask:0xf bank_mask:0xf
	v_cndmask_b32_e64 v147, 0, v147, s0
	s_delay_alu instid0(VALU_DEP_1) | instskip(NEXT) | instid1(VALU_DEP_1)
	v_add_nc_u32_e32 v145, v145, v147
	v_mov_b32_dpp v147, v145 row_shr:4 row_mask:0xf bank_mask:0xf
	s_delay_alu instid0(VALU_DEP_1) | instskip(NEXT) | instid1(VALU_DEP_1)
	v_cndmask_b32_e64 v147, 0, v147, s1
	v_add_nc_u32_e32 v145, v145, v147
	s_delay_alu instid0(VALU_DEP_1) | instskip(NEXT) | instid1(VALU_DEP_1)
	v_mov_b32_dpp v147, v145 row_shr:8 row_mask:0xf bank_mask:0xf
	v_cndmask_b32_e64 v147, 0, v147, s3
	s_delay_alu instid0(VALU_DEP_1) | instskip(SKIP_3) | instid1(VALU_DEP_1)
	v_add_nc_u32_e32 v145, v145, v147
	ds_swizzle_b32 v147, v145 offset:swizzle(BROADCAST,32,15)
	s_wait_dscnt 0x0
	v_cndmask_b32_e64 v147, v147, 0, s4
	v_add_nc_u32_e32 v145, v145, v147
	s_and_saveexec_b32 s14, s5
; %bb.86:                               ;   in Loop: Header=BB1729_53 Depth=1
	s_set_vgpr_msb 1                        ;  msbs: dst=0 src0=1 src1=0 src2=0
	ds_store_b32 v10 /*v266*/, v145
; %bb.87:                               ;   in Loop: Header=BB1729_53 Depth=1
	s_or_b32 exec_lo, exec_lo, s14
	s_wait_dscnt 0x0
	s_barrier_signal -1
	s_barrier_wait -1
	s_and_saveexec_b32 s14, s6
	s_set_vgpr_msb 0                        ;  msbs: dst=0 src0=0 src1=0 src2=0
	s_cbranch_execz .LBB1729_89
; %bb.88:                               ;   in Loop: Header=BB1729_53 Depth=1
	s_set_vgpr_msb 1                        ;  msbs: dst=0 src0=1 src1=0 src2=0
	ds_load_b32 v147, v11 /*v267*/
	s_wait_dscnt 0x0
	s_set_vgpr_msb 0                        ;  msbs: dst=0 src0=0 src1=0 src2=0
	v_mov_b32_dpp v151, v147 row_shr:1 row_mask:0xf bank_mask:0xf
	s_delay_alu instid0(VALU_DEP_1) | instskip(NEXT) | instid1(VALU_DEP_1)
	v_cndmask_b32_e64 v151, v151, 0, s11
	v_add_nc_u32_e32 v147, v151, v147
	s_delay_alu instid0(VALU_DEP_1) | instskip(NEXT) | instid1(VALU_DEP_1)
	v_mov_b32_dpp v151, v147 row_shr:2 row_mask:0xf bank_mask:0xf
	v_cndmask_b32_e64 v151, 0, v151, s12
	s_delay_alu instid0(VALU_DEP_1) | instskip(NEXT) | instid1(VALU_DEP_1)
	v_add_nc_u32_e32 v147, v147, v151
	v_mov_b32_dpp v151, v147 row_shr:4 row_mask:0xf bank_mask:0xf
	s_delay_alu instid0(VALU_DEP_1) | instskip(NEXT) | instid1(VALU_DEP_1)
	v_cndmask_b32_e64 v151, 0, v151, s13
	v_add_nc_u32_e32 v147, v147, v151
	s_set_vgpr_msb 1                        ;  msbs: dst=0 src0=1 src1=0 src2=0
	ds_store_b32 v11 /*v267*/, v147
.LBB1729_89:                            ;   in Loop: Header=BB1729_53 Depth=1
	s_or_b32 exec_lo, exec_lo, s14
	s_set_vgpr_msb 0                        ;  msbs: dst=0 src0=0 src1=0 src2=0
	v_mov_b32_e32 v147, 0
	s_wait_dscnt 0x0
	s_barrier_signal -1
	s_barrier_wait -1
	s_and_saveexec_b32 s14, s7
; %bb.90:                               ;   in Loop: Header=BB1729_53 Depth=1
	s_set_vgpr_msb 4                        ;  msbs: dst=0 src0=0 src1=1 src2=0
	v_add_nc_u32_e32 v147, -4, v10 /*v266*/
	ds_load_b32 v147, v147
; %bb.91:                               ;   in Loop: Header=BB1729_53 Depth=1
	s_or_b32 exec_lo, exec_lo, s14
	s_wait_dscnt 0x0
	s_set_vgpr_msb 0                        ;  msbs: dst=0 src0=0 src1=0 src2=0
	v_dual_add_nc_u32 v145, v147, v145 :: v_dual_mov_b32 v151, v1
	v_dual_mov_b32 v161, v1 :: v_dual_mov_b32 v167, v1
	s_mov_b32 s16, -1
	s_set_vgpr_msb 1                        ;  msbs: dst=0 src0=1 src1=0 src2=0
	ds_bpermute_b32 v145, v8 /*v264*/, v145
                                        ; implicit-def: $vgpr303
	v_add_nc_u32_e32 v10, 8, v10
	s_set_vgpr_msb 0                        ;  msbs: dst=0 src0=0 src1=0 src2=0
	s_delay_alu instid0(VALU_DEP_1) | instskip(SKIP_3) | instid1(VALU_DEP_2)
	v_cmp_lt_u32_e64 s14, v10, v11
	s_wait_dscnt 0x0
	v_cndmask_b32_e64 v145, v145, v147, s2
	v_mov_b32_e32 v147, v1
	v_cndmask_b32_e64 v166, v145, 0, s10
	s_delay_alu instid0(VALU_DEP_1) | instskip(NEXT) | instid1(VALU_DEP_1)
	v_dual_mov_b32 v145, v1 :: v_dual_add_nc_u32 v179, v166, v129
	v_dual_mov_b32 v129, v1 :: v_dual_add_nc_u32 v181, v179, v133
	ds_store_b32 v31, v166
	ds_store_b32 v39, v179
	s_set_vgpr_msb 1                        ;  msbs: dst=0 src0=1 src1=0 src2=0
	ds_store_b32 v1 /*v257*/, v181
	s_set_vgpr_msb 0                        ;  msbs: dst=0 src0=0 src1=0 src2=0
	v_mov_b32_e32 v133, v1
	v_add_nc_u32_e32 v183, v181, v135
	v_dual_mov_b32 v163, v1 :: v_dual_mov_b32 v179, v1
	v_dual_mov_b32 v181, v1 :: v_dual_mov_b32 v135, v1
	s_delay_alu instid0(VALU_DEP_3) | instskip(NEXT) | instid1(VALU_DEP_1)
	v_dual_add_nc_u32 v193, v183, v117 :: v_dual_mov_b32 v117, v1
	v_add_nc_u32_e32 v194, v193, v131
	s_delay_alu instid0(VALU_DEP_1) | instskip(NEXT) | instid1(VALU_DEP_1)
	v_dual_mov_b32 v131, v1 :: v_dual_add_nc_u32 v195, v194, v149
	v_dual_mov_b32 v149, v1 :: v_dual_add_nc_u32 v162, v195, v162
	s_set_vgpr_msb 1                        ;  msbs: dst=0 src0=1 src1=0 src2=0
	ds_store_b32 v2 /*v258*/, v183
	ds_store_b32 v3 /*v259*/, v193
	;; [unrolled: 1-line block ×5, first 2 shown]
	s_wait_dscnt 0x0
	s_barrier_signal -1
	s_barrier_wait -1
	s_set_vgpr_msb 0                        ;  msbs: dst=0 src0=0 src1=0 src2=0
	ds_load_b32 v66, v66
	ds_load_b32 v69, v69
	;; [unrolled: 1-line block ×16, first 2 shown]
	v_mov_b32_e32 v183, v1
	s_wait_dscnt 0x0
	v_add_nc_u32_e32 v0, v66, v0
	v_add3_u32 v150, v68, v67, v69
	v_add3_u32 v160, v71, v70, v80
	;; [unrolled: 1-line block ×15, first 2 shown]
	v_lshl_add_u64 v[246:247], v[0:1], 1, v[12:13]
	v_lshl_add_u64 v[244:245], v[150:151], 1, v[12:13]
	v_lshl_add_u64 v[242:243], v[160:161], 1, v[12:13]
	v_lshl_add_u64 v[240:241], v[162:163], 1, v[12:13]
	v_lshl_add_u64 v[230:231], v[166:167], 1, v[12:13]
	v_lshl_add_u64 v[228:229], v[132:133], 1, v[12:13]
	v_lshl_add_u64 v[226:227], v[116:117], 1, v[12:13]
	v_lshl_add_u64 v[224:225], v[128:129], 1, v[12:13]
	v_lshl_add_u64 v[214:215], v[130:131], 1, v[12:13]
	v_lshl_add_u64 v[212:213], v[134:135], 1, v[12:13]
	v_lshl_add_u64 v[210:211], v[144:145], 1, v[12:13]
	v_lshl_add_u64 v[208:209], v[146:147], 1, v[12:13]
	v_lshl_add_u64 v[198:199], v[148:149], 1, v[12:13]
	v_lshl_add_u64 v[196:197], v[178:179], 1, v[12:13]
	v_lshl_add_u64 v[194:195], v[180:181], 1, v[12:13]
	v_lshl_add_u64 v[192:193], v[182:183], 1, v[12:13]
                                        ; implicit-def: $vgpr66_vgpr67
                                        ; implicit-def: $vgpr68_vgpr69
                                        ; implicit-def: $vgpr70_vgpr71
                                        ; implicit-def: $vgpr80_vgpr81
                                        ; implicit-def: $vgpr82_vgpr83
                                        ; implicit-def: $vgpr84_vgpr85
                                        ; implicit-def: $vgpr86_vgpr87
                                        ; implicit-def: $vgpr98_vgpr99
                                        ; implicit-def: $vgpr102_vgpr103
                                        ; implicit-def: $vgpr96_vgpr97
                                        ; implicit-def: $vgpr100_vgpr101
                                        ; implicit-def: $vgpr112_vgpr113
                                        ; implicit-def: $vgpr114_vgpr115
                                        ; implicit-def: $vgpr118_vgpr119
                                        ; implicit-def: $vgpr164_vgpr165
                                        ; implicit-def: $vgpr176_vgpr177
                                        ; implicit-def: $vgpr183
                                        ; implicit-def: $vgpr133
                                        ; implicit-def: $vgpr135
                                        ; implicit-def: $vgpr149
                                        ; implicit-def: $vgpr167
                                        ; implicit-def: $vgpr161
                                        ; implicit-def: $vgpr163
                                        ; implicit-def: $vgpr151
                                        ; implicit-def: $vgpr181
                                        ; implicit-def: $vgpr179
                                        ; implicit-def: $vgpr129
                                        ; implicit-def: $vgpr117
                                        ; implicit-def: $vgpr131
                                        ; implicit-def: $vgpr145
                                        ; implicit-def: $vgpr147
	s_and_saveexec_b32 s15, s14
	s_cbranch_execz .LBB1729_52
; %bb.92:                               ;   in Loop: Header=BB1729_53 Depth=1
	s_set_vgpr_msb 4                        ;  msbs: dst=0 src0=0 src1=1 src2=0
	v_add_nc_u32_e32 v66, 64, v9 /*v265*/
	v_add_nc_u32_e32 v67, 0x80, v9 /*v265*/
	;; [unrolled: 1-line block ×3, first 2 shown]
	s_barrier_signal -1
	s_barrier_wait -1
	ds_store_b16 v246, v31 /*v287*/
	ds_store_b16 v244, v34 /*v290*/
	;; [unrolled: 1-line block ×16, first 2 shown]
	s_wait_dscnt 0x0
	s_barrier_signal -1
	s_barrier_wait -1
	s_set_vgpr_msb 1                        ;  msbs: dst=0 src0=1 src1=0 src2=0
	ds_load_u16 v183, v9 /*v265*/
	s_set_vgpr_msb 4                        ;  msbs: dst=0 src0=0 src1=1 src2=0
	ds_load_u16 v133, v66
	ds_load_u16 v135, v67
	;; [unrolled: 1-line block ×3, first 2 shown]
	v_add_nc_u32_e32 v66, 0x100, v9 /*v265*/
	v_add_nc_u32_e32 v67, 0x140, v9 /*v265*/
	;; [unrolled: 1-line block ×5, first 2 shown]
	ds_load_u16 v167, v66
	ds_load_u16 v161, v67
	;; [unrolled: 1-line block ×5, first 2 shown]
	v_add_nc_u32_e32 v66, 0x240, v9 /*v265*/
	v_add_nc_u32_e32 v67, 0x280, v9 /*v265*/
	;; [unrolled: 1-line block ×5, first 2 shown]
	s_set_vgpr_msb 64                       ;  msbs: dst=1 src0=0 src1=0 src2=0
	ds_load_u16 v47 /*v303*/, v66
	s_set_vgpr_msb 0                        ;  msbs: dst=0 src0=0 src1=0 src2=0
	ds_load_u16 v179, v67
	ds_load_u16 v129, v68
	;; [unrolled: 1-line block ×4, first 2 shown]
	v_mad_nc_u64_u32 v[66:67], v0, 6, v[246:247]
	v_mad_nc_u64_u32 v[68:69], v150, 6, v[244:245]
	;; [unrolled: 1-line block ×5, first 2 shown]
	s_set_vgpr_msb 1                        ;  msbs: dst=0 src0=1 src1=0 src2=0
	ds_load_u16 v145, v13 /*v269*/
	ds_load_u16 v147, v14 /*v270*/
	s_wait_dscnt 0x0
	s_barrier_signal -1
	s_barrier_wait -1
	s_set_vgpr_msb 0                        ;  msbs: dst=0 src0=0 src1=0 src2=0
	ds_store_b64 v66, v[28:29]
	ds_store_b64 v68, v[26:27]
	;; [unrolled: 1-line block ×5, first 2 shown]
	v_mad_nc_u64_u32 v[66:67], v132, 6, v[228:229]
	v_mad_nc_u64_u32 v[68:69], v116, 6, v[226:227]
	;; [unrolled: 1-line block ×11, first 2 shown]
	ds_store_b64 v66, v[18:19]
	ds_store_b64 v68, v[16:17]
	;; [unrolled: 1-line block ×11, first 2 shown]
	s_wait_dscnt 0x0
	s_barrier_signal -1
	s_barrier_wait -1
	s_set_vgpr_msb 1                        ;  msbs: dst=0 src0=1 src1=0 src2=0
	ds_load_b64 v[66:67], v12 /*v268*/
	ds_load_b64 v[68:69], v15 /*v271*/
	;; [unrolled: 1-line block ×16, first 2 shown]
	s_set_vgpr_msb 0x44                     ;  msbs: dst=1 src0=0 src1=1 src2=0
	v_add_nc_u32_e32 v30 /*v286*/, -8, v30 /*v286*/
	s_xor_b32 s16, exec_lo, -1
	s_wait_dscnt 0x0
	s_barrier_signal -1
	s_barrier_wait -1
	s_set_vgpr_msb 0                        ;  msbs: dst=0 src0=0 src1=0 src2=0
	s_branch .LBB1729_52
.LBB1729_93:
	s_or_b32 exec_lo, exec_lo, s25
	v_mad_nc_u64_u32 v[0:1], v0, 6, v[246:247]
	v_lshl_add_u32 v31, v30, 1, v12
	s_barrier_signal -1
	s_barrier_wait -1
	s_set_vgpr_msb 4                        ;  msbs: dst=0 src0=0 src1=1 src2=0
	ds_store_b16 v246, v31 /*v287*/
	ds_store_b16 v244, v34 /*v290*/
	;; [unrolled: 1-line block ×16, first 2 shown]
	s_wait_dscnt 0x0
	s_barrier_signal -1
	s_barrier_wait -1
	ds_load_u16 v87, v31
	ds_load_u16 v86, v31 offset:512
	ds_load_u16 v85, v31 offset:1024
	;; [unrolled: 1-line block ×7, first 2 shown]
	v_mad_nc_u64_u32 v[10:11], v150, 6, v[244:245]
	ds_load_u16 v80, v31 offset:4096
	ds_load_u16 v70, v31 offset:4608
	;; [unrolled: 1-line block ×8, first 2 shown]
	s_wait_dscnt 0x0
	s_barrier_signal -1
	s_barrier_wait -1
	s_set_vgpr_msb 0                        ;  msbs: dst=0 src0=0 src1=0 src2=0
	ds_store_b64 v0, v[28:29]
	v_mad_nc_u64_u32 v[0:1], v132, 6, v[228:229]
	v_mad_nc_u64_u32 v[12:13], v160, 6, v[242:243]
	;; [unrolled: 1-line block ×4, first 2 shown]
	ds_store_b64 v10, v[26:27]
	ds_store_b64 v12, v[24:25]
	;; [unrolled: 1-line block ×4, first 2 shown]
	v_mad_nc_u64_u32 v[10:11], v116, 6, v[226:227]
	ds_store_b64 v0, v[18:19]
	v_mad_nc_u64_u32 v[0:1], v148, 6, v[198:199]
	v_mad_nc_u64_u32 v[12:13], v128, 6, v[224:225]
	;; [unrolled: 1-line block ×9, first 2 shown]
	v_mul_u32_u24_e32 v1, 6, v30
	ds_store_b64 v10, v[16:17]
	ds_store_b64 v12, v[14:15]
	;; [unrolled: 1-line block ×10, first 2 shown]
	v_dual_mov_b32 v39, 0 :: v_dual_add_nc_u32 v0, v31, v1
	s_wait_dscnt 0x0
	s_barrier_signal -1
	s_barrier_wait -1
	ds_load_2addr_stride64_b64 v[48:51], v0 offset1:4
	ds_load_2addr_stride64_b64 v[34:37], v0 offset0:8 offset1:12
	ds_load_2addr_stride64_b64 v[30:33], v0 offset0:16 offset1:20
	;; [unrolled: 1-line block ×7, first 2 shown]
	v_lshl_add_u64 v[0:1], v[8:9], 1, v[2:3]
	s_set_vgpr_msb 4                        ;  msbs: dst=0 src0=0 src1=1 src2=0
	v_cmp_lt_u32_e32 vcc_lo, v38, v0 /*v256*/
	s_wait_dscnt 0x0
	s_barrier_signal -1
	s_barrier_wait -1
	v_lshl_add_u64 v[0:1], v[38:39], 1, v[0:1]
	s_and_saveexec_b32 s1, vcc_lo
	s_set_vgpr_msb 0                        ;  msbs: dst=0 src0=0 src1=0 src2=0
	s_cbranch_execz .LBB1729_95
; %bb.94:
	v_cmp_gt_i16_e64 s0, 0, v87
	s_delay_alu instid0(VALU_DEP_1) | instskip(NEXT) | instid1(VALU_DEP_1)
	v_cndmask_b32_e64 v2, 0x7fff, 0, s0
	v_xor_b32_e32 v2, v2, v87
	flat_store_b16 v[0:1], v2
.LBB1729_95:
	s_wait_xcnt 0x0
	s_or_b32 exec_lo, exec_lo, s1
	v_add_nc_u32_e32 v2, 0x100, v38
	s_set_vgpr_msb 4                        ;  msbs: dst=0 src0=0 src1=1 src2=0
	s_delay_alu instid0(VALU_DEP_1)
	v_cmp_lt_u32_e64 s0, v2, v0 /*v256*/
	s_and_saveexec_b32 s2, s0
	s_set_vgpr_msb 0                        ;  msbs: dst=0 src0=0 src1=0 src2=0
	s_cbranch_execz .LBB1729_97
; %bb.96:
	v_cmp_gt_i16_e64 s1, 0, v86
	s_delay_alu instid0(VALU_DEP_1) | instskip(NEXT) | instid1(VALU_DEP_1)
	v_cndmask_b32_e64 v2, 0x7fff, 0, s1
	v_xor_b32_e32 v2, v2, v86
	flat_store_b16 v[0:1], v2 offset:512
.LBB1729_97:
	s_wait_xcnt 0x0
	s_or_b32 exec_lo, exec_lo, s2
	v_add_nc_u32_e32 v2, 0x200, v38
	s_set_vgpr_msb 4                        ;  msbs: dst=0 src0=0 src1=1 src2=0
	s_delay_alu instid0(VALU_DEP_1)
	v_cmp_lt_u32_e64 s1, v2, v0 /*v256*/
	s_and_saveexec_b32 s3, s1
	s_set_vgpr_msb 0                        ;  msbs: dst=0 src0=0 src1=0 src2=0
	s_cbranch_execz .LBB1729_99
; %bb.98:
	v_cmp_gt_i16_e64 s2, 0, v85
	s_delay_alu instid0(VALU_DEP_1) | instskip(NEXT) | instid1(VALU_DEP_1)
	v_cndmask_b32_e64 v2, 0x7fff, 0, s2
	v_xor_b32_e32 v2, v2, v85
	flat_store_b16 v[0:1], v2 offset:1024
.LBB1729_99:
	;; [unrolled: 16-line block ×15, first 2 shown]
	s_wait_xcnt 0x0
	s_or_b32 exec_lo, exec_lo, s18
	v_lshl_add_u64 v[0:1], v[8:9], 3, v[6:7]
	s_delay_alu instid0(VALU_DEP_1)
	v_lshl_add_u64 v[0:1], v[38:39], 3, v[0:1]
	s_and_saveexec_b32 s17, vcc_lo
	s_cbranch_execnz .LBB1729_211
; %bb.126:
	s_or_b32 exec_lo, exec_lo, s17
	s_and_saveexec_b32 s17, s0
	s_cbranch_execnz .LBB1729_212
.LBB1729_127:
	s_or_b32 exec_lo, exec_lo, s17
	s_and_saveexec_b32 s0, s1
	s_cbranch_execnz .LBB1729_213
.LBB1729_128:
	s_or_b32 exec_lo, exec_lo, s0
	s_and_saveexec_b32 s0, s2
	s_cbranch_execnz .LBB1729_214
.LBB1729_129:
	s_or_b32 exec_lo, exec_lo, s0
	s_and_saveexec_b32 s0, s3
	s_cbranch_execnz .LBB1729_215
.LBB1729_130:
	s_or_b32 exec_lo, exec_lo, s0
	s_and_saveexec_b32 s0, s4
	s_cbranch_execnz .LBB1729_216
.LBB1729_131:
	s_or_b32 exec_lo, exec_lo, s0
	s_and_saveexec_b32 s0, s5
	s_cbranch_execnz .LBB1729_217
.LBB1729_132:
	s_or_b32 exec_lo, exec_lo, s0
	s_and_saveexec_b32 s0, s6
	s_cbranch_execnz .LBB1729_218
.LBB1729_133:
	s_or_b32 exec_lo, exec_lo, s0
	s_and_saveexec_b32 s0, s7
	s_cbranch_execnz .LBB1729_219
.LBB1729_134:
	s_or_b32 exec_lo, exec_lo, s0
	s_and_saveexec_b32 s0, s10
	s_cbranch_execnz .LBB1729_220
.LBB1729_135:
	s_or_b32 exec_lo, exec_lo, s0
	s_and_saveexec_b32 s0, s11
	s_cbranch_execnz .LBB1729_221
.LBB1729_136:
	s_or_b32 exec_lo, exec_lo, s0
	s_and_saveexec_b32 s0, s12
	s_cbranch_execnz .LBB1729_222
.LBB1729_137:
	s_or_b32 exec_lo, exec_lo, s0
	s_and_saveexec_b32 s0, s13
	s_cbranch_execnz .LBB1729_223
.LBB1729_138:
	s_or_b32 exec_lo, exec_lo, s0
	s_and_saveexec_b32 s0, s14
	s_cbranch_execnz .LBB1729_224
.LBB1729_139:
	s_or_b32 exec_lo, exec_lo, s0
	s_and_saveexec_b32 s0, s15
	s_cbranch_execnz .LBB1729_225
.LBB1729_140:
	s_or_b32 exec_lo, exec_lo, s0
	s_and_saveexec_b32 s0, s16
	s_cbranch_execz .LBB1729_142
.LBB1729_141:
	flat_store_b64 v[0:1], v[12:13] offset:30720
.LBB1729_142:
	s_wait_xcnt 0x0
	s_or_b32 exec_lo, exec_lo, s0
                                        ; implicit-def: $vgpr256
                                        ; implicit-def: $vgpr8
                                        ; implicit-def: $vgpr10
                                        ; implicit-def: $vgpr11
                                        ; implicit-def: $vgpr0_vgpr1
                                        ; implicit-def: $vgpr2_vgpr3
                                        ; implicit-def: $vgpr4_vgpr5
                                        ; implicit-def: $vgpr6_vgpr7
                                        ; implicit-def: $vgpr12_vgpr13
                                        ; implicit-def: $vgpr9
                                        ; implicit-def: $vgpr14
                                        ; implicit-def: $vgpr30
                                        ; implicit-def: $vgpr33
.LBB1729_143:
	s_and_not1_saveexec_b32 s0, s21
	s_cbranch_execz .LBB1729_372
; %bb.144:
	s_mov_b32 s0, exec_lo
	s_set_vgpr_msb 4                        ;  msbs: dst=0 src0=0 src1=1 src2=0
	v_cmpx_lt_u32_e32 0x400, v0 /*v256*/
	s_xor_b32 s21, exec_lo, s0
	s_set_vgpr_msb 0                        ;  msbs: dst=0 src0=0 src1=0 src2=0
	s_cbranch_execz .LBB1729_252
; %bb.145:
	s_load_b64 s[0:1], s[8:9], 0x0
	s_bfe_u32 s3, ttmp6, 0x4000c
	s_bfe_u32 s5, ttmp6, 0x40010
	s_and_b32 s4, ttmp7, 0xffff
	s_add_co_i32 s3, s3, 1
	s_add_co_i32 s5, s5, 1
	s_and_b32 s2, ttmp6, 15
	s_bfe_u32 s6, ttmp6, 0x40004
	s_mul_i32 s3, ttmp9, s3
	s_mul_i32 s5, s4, s5
	s_add_co_i32 s2, s2, s3
	s_add_co_i32 s6, s6, s5
	s_cmp_eq_u32 s23, 0
	s_mov_b32 s3, 0
	s_cselect_b32 s2, ttmp9, s2
	s_cselect_b32 s4, s4, s6
	s_wait_kmcnt 0x0
	s_cmp_lt_u32 s2, s0
	s_cselect_b32 s2, 12, 18
	s_cmp_lt_u32 s4, s1
	s_mov_b32 s1, s3
	s_cselect_b32 s0, 14, 20
	s_delay_alu instid0(SALU_CYCLE_1)
	s_add_nc_u64 s[0:1], s[8:9], s[0:1]
	s_load_u16 s4, s[0:1], 0x0
	s_wait_xcnt 0x0
	s_add_nc_u64 s[0:1], s[8:9], s[2:3]
	s_load_u16 s0, s[0:1], 0x0
	s_wait_kmcnt 0x0
	v_mad_u32_u24 v9, v14, s4, v9
	v_lshlrev_b32_e32 v14, 1, v33
	s_delay_alu instid0(VALU_DEP_2) | instskip(SKIP_1) | instid1(VALU_DEP_1)
	v_mad_u32 v26, v9, s0, v30
	v_mov_b32_e32 v9, 0
	v_lshl_add_u64 v[16:17], v[8:9], 1, v[0:1]
	s_delay_alu instid0(VALU_DEP_3) | instskip(NEXT) | instid1(VALU_DEP_1)
	v_dual_mov_b32 v15, v9 :: v_dual_lshlrev_b32 v18, 3, v26
	v_add_nc_u64_e32 v[14:15], v[16:17], v[14:15]
	v_dual_mov_b32 v16, -1 :: v_dual_mov_b32 v17, -1
	s_delay_alu instid0(VALU_DEP_3) | instskip(NEXT) | instid1(VALU_DEP_1)
	v_and_b32_e32 v0, 0xffffff00, v18
	v_dual_mov_b32 v1, v9 :: v_dual_bitop2_b32 v24, v0, v33 bitop3:0x54
	s_delay_alu instid0(VALU_DEP_1) | instskip(SKIP_1) | instid1(VALU_DEP_2)
	v_lshl_add_u64 v[14:15], v[0:1], 1, v[14:15]
	s_set_vgpr_msb 4                        ;  msbs: dst=0 src0=0 src1=1 src2=0
	v_cmp_lt_u32_e32 vcc_lo, v24, v0 /*v256*/
	s_and_saveexec_b32 s0, vcc_lo
	s_set_vgpr_msb 0                        ;  msbs: dst=0 src0=0 src1=0 src2=0
	s_cbranch_execz .LBB1729_147
; %bb.146:
	flat_load_u16 v17, v[14:15]
.LBB1729_147:
	s_wait_xcnt 0x0
	s_or_b32 exec_lo, exec_lo, s0
	v_or_b32_e32 v18, 32, v24
	s_set_vgpr_msb 4                        ;  msbs: dst=0 src0=0 src1=1 src2=0
	s_delay_alu instid0(VALU_DEP_1)
	v_cmp_lt_u32_e64 s0, v18, v0 /*v256*/
	s_and_saveexec_b32 s1, s0
	s_set_vgpr_msb 0                        ;  msbs: dst=0 src0=0 src1=0 src2=0
	s_cbranch_execz .LBB1729_149
; %bb.148:
	flat_load_u16 v16, v[14:15] offset:64
.LBB1729_149:
	s_wait_xcnt 0x0
	s_or_b32 exec_lo, exec_lo, s1
	v_dual_mov_b32 v18, -1 :: v_dual_bitop2_b32 v19, 64, v24 bitop3:0x54
	s_set_vgpr_msb 4                        ;  msbs: dst=0 src0=0 src1=1 src2=0
	s_delay_alu instid0(VALU_DEP_1)
	v_cmp_lt_u32_e64 s1, v19, v0 /*v256*/
	v_mov_b32_e32 v19, -1
	s_and_saveexec_b32 s2, s1
	s_set_vgpr_msb 0                        ;  msbs: dst=0 src0=0 src1=0 src2=0
	s_cbranch_execz .LBB1729_151
; %bb.150:
	flat_load_u16 v19, v[14:15] offset:128
.LBB1729_151:
	s_wait_xcnt 0x0
	s_or_b32 exec_lo, exec_lo, s2
	v_or_b32_e32 v20, 0x60, v24
	s_set_vgpr_msb 4                        ;  msbs: dst=0 src0=0 src1=1 src2=0
	s_delay_alu instid0(VALU_DEP_1)
	v_cmp_lt_u32_e64 s2, v20, v0 /*v256*/
	s_and_saveexec_b32 s3, s2
	s_set_vgpr_msb 0                        ;  msbs: dst=0 src0=0 src1=0 src2=0
	s_cbranch_execz .LBB1729_153
; %bb.152:
	flat_load_u16 v18, v[14:15] offset:192
.LBB1729_153:
	s_wait_xcnt 0x0
	s_or_b32 exec_lo, exec_lo, s3
	v_or_b32_e32 v21, 0x80, v24
	v_mov_b32_e32 v20, -1
	s_set_vgpr_msb 4                        ;  msbs: dst=0 src0=0 src1=1 src2=0
	s_delay_alu instid0(VALU_DEP_2)
	v_cmp_lt_u32_e64 s3, v21, v0 /*v256*/
	v_mov_b32_e32 v21, -1
	s_and_saveexec_b32 s4, s3
	s_set_vgpr_msb 0                        ;  msbs: dst=0 src0=0 src1=0 src2=0
	s_cbranch_execz .LBB1729_155
; %bb.154:
	flat_load_u16 v21, v[14:15] offset:256
.LBB1729_155:
	s_wait_xcnt 0x0
	s_or_b32 exec_lo, exec_lo, s4
	v_or_b32_e32 v22, 0xa0, v24
	s_set_vgpr_msb 4                        ;  msbs: dst=0 src0=0 src1=1 src2=0
	s_delay_alu instid0(VALU_DEP_1)
	v_cmp_lt_u32_e64 s4, v22, v0 /*v256*/
	s_and_saveexec_b32 s5, s4
	s_set_vgpr_msb 0                        ;  msbs: dst=0 src0=0 src1=0 src2=0
	s_cbranch_execz .LBB1729_157
; %bb.156:
	flat_load_u16 v20, v[14:15] offset:320
.LBB1729_157:
	s_wait_xcnt 0x0
	s_or_b32 exec_lo, exec_lo, s5
	v_or_b32_e32 v23, 0xc0, v24
	v_mov_b32_e32 v22, -1
	s_set_vgpr_msb 4                        ;  msbs: dst=0 src0=0 src1=1 src2=0
	s_delay_alu instid0(VALU_DEP_2)
	v_cmp_lt_u32_e64 s5, v23, v0 /*v256*/
	v_mov_b32_e32 v23, -1
	s_and_saveexec_b32 s6, s5
	s_set_vgpr_msb 0                        ;  msbs: dst=0 src0=0 src1=0 src2=0
	s_cbranch_execz .LBB1729_159
; %bb.158:
	flat_load_u16 v23, v[14:15] offset:384
.LBB1729_159:
	s_wait_xcnt 0x0
	s_or_b32 exec_lo, exec_lo, s6
	v_or_b32_e32 v24, 0xe0, v24
	s_set_vgpr_msb 4                        ;  msbs: dst=0 src0=0 src1=1 src2=0
	s_delay_alu instid0(VALU_DEP_1)
	v_cmp_lt_u32_e64 s6, v24, v0 /*v256*/
	s_and_saveexec_b32 s7, s6
	s_set_vgpr_msb 0                        ;  msbs: dst=0 src0=0 src1=0 src2=0
	s_cbranch_execz .LBB1729_161
; %bb.160:
	flat_load_u16 v22, v[14:15] offset:448
.LBB1729_161:
	s_wait_xcnt 0x0
	s_or_b32 exec_lo, exec_lo, s7
	v_lshl_add_u64 v[4:5], v[8:9], 3, v[4:5]
	v_dual_mov_b32 v15, 0 :: v_dual_lshlrev_b32 v14, 3, v33
                                        ; implicit-def: $vgpr34_vgpr35
	s_delay_alu instid0(VALU_DEP_1) | instskip(NEXT) | instid1(VALU_DEP_1)
	v_add_nc_u64_e32 v[4:5], v[4:5], v[14:15]
	v_lshl_add_u64 v[0:1], v[0:1], 3, v[4:5]
	s_and_saveexec_b32 s7, vcc_lo
	s_cbranch_execnz .LBB1729_285
; %bb.162:
	s_or_b32 exec_lo, exec_lo, s7
                                        ; implicit-def: $vgpr36_vgpr37
	s_and_saveexec_b32 s7, s0
	s_cbranch_execnz .LBB1729_286
.LBB1729_163:
	s_or_b32 exec_lo, exec_lo, s7
                                        ; implicit-def: $vgpr38_vgpr39
	s_and_saveexec_b32 s0, s1
	s_cbranch_execnz .LBB1729_287
.LBB1729_164:
	s_or_b32 exec_lo, exec_lo, s0
                                        ; implicit-def: $vgpr48_vgpr49
	s_and_saveexec_b32 s0, s2
	s_cbranch_execnz .LBB1729_288
.LBB1729_165:
	s_or_b32 exec_lo, exec_lo, s0
                                        ; implicit-def: $vgpr50_vgpr51
	s_and_saveexec_b32 s0, s3
	s_cbranch_execnz .LBB1729_289
.LBB1729_166:
	s_or_b32 exec_lo, exec_lo, s0
                                        ; implicit-def: $vgpr52_vgpr53
	s_and_saveexec_b32 s0, s4
	s_cbranch_execnz .LBB1729_290
.LBB1729_167:
	s_or_b32 exec_lo, exec_lo, s0
                                        ; implicit-def: $vgpr54_vgpr55
	s_and_saveexec_b32 s0, s5
	s_cbranch_execnz .LBB1729_291
.LBB1729_168:
	s_or_b32 exec_lo, exec_lo, s0
                                        ; implicit-def: $vgpr64_vgpr65
	s_and_saveexec_b32 s0, s6
	s_cbranch_execz .LBB1729_170
.LBB1729_169:
	flat_load_b64 v[64:65], v[0:1] offset:1792
.LBB1729_170:
	s_wait_xcnt 0x0
	s_or_b32 exec_lo, exec_lo, s0
	s_wait_loadcnt_dscnt 0x0
	v_cmp_gt_i16_e32 vcc_lo, 0, v17
	s_get_pc_i64 s[0:1]
	s_add_nc_u64 s[0:1], s[0:1], _ZN7rocprim17ROCPRIM_400000_NS16block_radix_sortI6__halfLj256ELj8ElLj1ELj1ELj8ELNS0_26block_radix_rank_algorithmE2ELNS0_18block_padding_hintE2ELNS0_4arch9wavefront6targetE0EE19radix_bits_per_passE@rel64+4
	v_cmp_gt_u32_e64 s6, 8, v30
	s_load_b32 s24, s[0:1], 0x0
	v_cmp_lt_u32_e64 s7, 31, v30
	v_cndmask_b32_e64 v0, 0x7fff, 0, vcc_lo
	v_cmp_gt_i16_e32 vcc_lo, 0, v16
	v_cmp_eq_u32_e64 s10, 0, v30
	v_lshl_add_u32 v145, v30, 2, v12
	s_delay_alu instid0(VALU_DEP_4) | instskip(SKIP_4) | instid1(VALU_DEP_2)
	v_dual_sub_nc_u32 v179, v11, v10 :: v_dual_bitop2_b32 v196, v0, v17 bitop3:0x14
	v_cndmask_b32_e64 v1, 0x7fff, 0, vcc_lo
	v_cmp_gt_i16_e32 vcc_lo, 0, v19
	s_mov_b32 s25, 0
	s_wait_storecnt 0x0
	v_dual_lshrrev_b32 v134, 5, v26 :: v_dual_bitop2_b32 v85, v1, v16 bitop3:0x14
	v_cndmask_b32_e64 v4, 0x7fff, 0, vcc_lo
	v_cmp_gt_i16_e32 vcc_lo, 0, v18
	s_barrier_signal -1
	s_barrier_wait -1
	v_cndmask_b32_e64 v5, 0x7fff, 0, vcc_lo
	v_cmp_gt_i16_e32 vcc_lo, 0, v21
	v_cndmask_b32_e64 v14, 0x7fff, 0, vcc_lo
	v_cmp_gt_i16_e32 vcc_lo, 0, v20
	;; [unrolled: 2-line block ×3, first 2 shown]
	s_delay_alu instid0(VALU_DEP_2)
	v_xor_b32_e32 v71, v0, v20
	v_cndmask_b32_e64 v1, 0x7fff, 0, vcc_lo
	v_cmp_gt_i16_e32 vcc_lo, 0, v22
	v_lshl_add_u32 v0, v30, 5, v12
	v_xor_b32_e32 v87, v4, v19
	v_xor_b32_e32 v69, v5, v18
	v_xor_b32_e32 v67, v14, v21
	v_cndmask_b32_e64 v4, 0x7fff, 0, vcc_lo
	v_dual_add_nc_u32 v129, 44, v0 :: v_dual_bitop2_b32 v81, v1, v23 bitop3:0x14
	v_dual_add_nc_u32 v27, 32, v0 :: v_dual_add_nc_u32 v31, 36, v0
	s_delay_alu instid0(VALU_DEP_3)
	v_dual_add_nc_u32 v130, 48, v0 :: v_dual_bitop2_b32 v83, v4, v22 bitop3:0x14
	v_dual_add_nc_u32 v128, 40, v0 :: v_dual_add_nc_u32 v131, 52, v0
	v_dual_add_nc_u32 v132, 56, v0 :: v_dual_bitop2_b32 v4, 15, v33 bitop3:0x40
	v_add_nc_u32_e32 v133, 60, v0
	v_and_b32_e32 v0, 0x3e0, v30
	v_sub_co_u32 v14, s2, v33, 1
	v_dual_lshlrev_b32 v1, 3, v30 :: v_dual_bitop2_b32 v5, 16, v33 bitop3:0x40
	s_delay_alu instid0(VALU_DEP_3) | instskip(NEXT) | instid1(VALU_DEP_3)
	v_min_u32_e32 v0, 0xe0, v0
	v_cmp_gt_i32_e64 s5, 0, v14
	v_cmp_eq_u32_e32 vcc_lo, 0, v4
	s_wait_xcnt 0x0
	v_cmp_lt_u32_e64 s0, 1, v4
	v_cmp_lt_u32_e64 s1, 3, v4
	;; [unrolled: 1-line block ×3, first 2 shown]
	v_or_b32_e32 v0, 31, v0
	v_cmp_eq_u32_e64 s4, 0, v5
	v_dual_lshrrev_b32 v4, 3, v30 :: v_dual_cndmask_b32 v5, v14, v33, s5
	s_delay_alu instid0(VALU_DEP_3) | instskip(NEXT) | instid1(VALU_DEP_2)
	v_cmp_eq_u32_e64 s5, v30, v0
	v_and_b32_e32 v0, 0x7c, v4
	s_delay_alu instid0(VALU_DEP_3) | instskip(SKIP_1) | instid1(VALU_DEP_3)
	v_lshlrev_b32_e32 v135, 2, v5
	v_and_or_b32 v5, 0x1f00, v1, v33
	v_dual_mov_b32 v1, 0 :: v_dual_add_nc_u32 v144, v12, v0
	v_and_b32_e32 v4, 7, v33
	s_delay_alu instid0(VALU_DEP_3) | instskip(SKIP_1) | instid1(VALU_DEP_4)
	v_lshl_add_u32 v146, v5, 1, v12
	v_mul_u32_u24_e32 v0, 6, v5
	v_add_nc_u32_e32 v147, -4, v144
	s_delay_alu instid0(VALU_DEP_4) | instskip(NEXT) | instid1(VALU_DEP_3)
	v_cmp_eq_u32_e64 s11, 0, v4
	v_dual_add_nc_u32 v148, 64, v146 :: v_dual_add_nc_u32 v151, v146, v0
	v_cmp_lt_u32_e64 s12, 1, v4
	v_cmp_lt_u32_e64 s13, 3, v4
	v_mov_b64_e32 v[4:5], 0
	v_add_nc_u32_e32 v149, 0x80, v146
	v_add_nc_u32_e32 v150, 0xc0, v146
	;; [unrolled: 1-line block ×13, first 2 shown]
	s_branch .LBB1729_172
.LBB1729_171:                           ;   in Loop: Header=BB1729_172 Depth=1
	s_or_b32 exec_lo, exec_lo, s15
	s_delay_alu instid0(SALU_CYCLE_1) | instskip(NEXT) | instid1(SALU_CYCLE_1)
	s_and_b32 s14, exec_lo, s16
	s_or_b32 s25, s14, s25
	s_delay_alu instid0(SALU_CYCLE_1)
	s_and_not1_b32 exec_lo, exec_lo, s25
	s_cbranch_execz .LBB1729_226
.LBB1729_172:                           ; =>This Inner Loop Header: Depth=1
	v_mov_b32_e32 v180, v196
	s_wait_kmcnt 0x0
	v_min_u32_e32 v14, s24, v179
	v_mov_b64_e32 v[32:33], v[36:37]
	v_mov_b64_e32 v[22:23], v[34:35]
	;; [unrolled: 1-line block ×3, first 2 shown]
	v_cmp_ne_u16_e64 s14, 0x8000, v180
	v_lshlrev_b32_e64 v36, v14, -1
	v_mov_b64_e32 v[24:25], v[48:49]
	v_mov_b64_e32 v[20:21], v[50:51]
	;; [unrolled: 1-line block ×3, first 2 shown]
	v_cndmask_b32_e64 v0, 0x7fff, v180, s14
	v_mov_b64_e32 v[16:17], v[54:55]
	v_mov_b64_e32 v[14:15], v[64:65]
	v_dual_mov_b32 v181, v85 :: v_dual_mov_b32 v182, v87
	s_delay_alu instid0(VALU_DEP_4)
	v_and_b32_e32 v0, 0xffff, v0
	v_dual_mov_b32 v193, v81 :: v_dual_mov_b32 v195, v83
	ds_store_b64 v27, v[4:5]
	ds_store_b64 v128, v[4:5]
	;; [unrolled: 1-line block ×4, first 2 shown]
	v_lshrrev_b32_e32 v0, v10, v0
	s_wait_dscnt 0x0
	s_barrier_signal -1
	s_barrier_wait -1
	s_delay_alu instid0(VALU_DEP_1) | instskip(SKIP_2) | instid1(VALU_DEP_3)
	v_bitop3_b32 v34, v0, 1, v36 bitop3:0x40
	v_bitop3_b32 v0, v0, v36, v0 bitop3:0x30
	v_mov_b32_e32 v183, v69
	; wave barrier
	v_add_co_u32 v34, s14, v34, -1
	s_delay_alu instid0(VALU_DEP_1) | instskip(NEXT) | instid1(VALU_DEP_4)
	v_cndmask_b32_e64 v35, 0, 1, s14
	v_dual_lshlrev_b32 v37, 30, v0 :: v_dual_lshlrev_b32 v38, 29, v0
	v_dual_lshlrev_b32 v39, 28, v0 :: v_dual_lshlrev_b32 v48, 27, v0
	s_delay_alu instid0(VALU_DEP_3) | instskip(NEXT) | instid1(VALU_DEP_3)
	v_cmp_ne_u32_e64 s14, 0, v35
	v_not_b32_e32 v35, v37
	v_lshlrev_b32_e32 v51, 24, v0
	v_cmp_gt_i32_e64 s15, 0, v37
	v_cmp_gt_i32_e64 s16, 0, v38
	v_not_b32_e32 v37, v38
	v_not_b32_e32 v38, v39
	v_dual_ashrrev_i32 v35, 31, v35 :: v_dual_lshlrev_b32 v49, 26, v0
	v_lshlrev_b32_e32 v50, 25, v0
	v_cmp_gt_i32_e64 s17, 0, v39
	v_dual_ashrrev_i32 v37, 31, v37 :: v_dual_bitop2_b32 v34, s14, v34 bitop3:0x14
	s_delay_alu instid0(VALU_DEP_4) | instskip(SKIP_2) | instid1(VALU_DEP_4)
	v_dual_ashrrev_i32 v38, 31, v38 :: v_dual_bitop2_b32 v35, s15, v35 bitop3:0x14
	v_not_b32_e32 v39, v48
	v_not_b32_e32 v52, v49
	v_xor_b32_e32 v37, s16, v37
	s_delay_alu instid0(VALU_DEP_4)
	v_xor_b32_e32 v38, s17, v38
	v_bitop3_b32 v34, v34, v35, exec_lo bitop3:0x80
	v_cmp_gt_i32_e64 s14, 0, v48
	v_ashrrev_i32_e32 v35, 31, v39
	v_cmp_gt_i32_e64 s15, 0, v49
	v_ashrrev_i32_e32 v39, 31, v52
	v_bitop3_b32 v34, v34, v38, v37 bitop3:0x80
	v_not_b32_e32 v37, v50
	v_not_b32_e32 v38, v51
	v_xor_b32_e32 v35, s14, v35
	v_xor_b32_e32 v39, s15, v39
	v_cmp_gt_i32_e64 s14, 0, v50
	v_ashrrev_i32_e32 v37, 31, v37
	v_cmp_gt_i32_e64 s15, 0, v51
	v_dual_ashrrev_i32 v38, 31, v38 :: v_dual_lshlrev_b32 v0, 3, v0
	v_bitop3_b32 v34, v34, v39, v35 bitop3:0x80
	s_delay_alu instid0(VALU_DEP_4) | instskip(NEXT) | instid1(VALU_DEP_3)
	v_dual_mov_b32 v192, v67 :: v_dual_bitop2_b32 v35, s14, v37 bitop3:0x14
	v_dual_mov_b32 v194, v71 :: v_dual_bitop2_b32 v37, s15, v38 bitop3:0x14
	s_delay_alu instid0(VALU_DEP_4) | instskip(NEXT) | instid1(VALU_DEP_2)
	v_add_lshl_u32 v0, v0, v134, 2
	v_bitop3_b32 v37, v34, v37, v35 bitop3:0x80
	s_delay_alu instid0(VALU_DEP_2) | instskip(NEXT) | instid1(VALU_DEP_2)
	v_add_nc_u64_e32 v[34:35], v[12:13], v[0:1]
	v_mbcnt_lo_u32_b32 v0, v37, 0
	v_cmp_ne_u32_e64 s15, 0, v37
	s_delay_alu instid0(VALU_DEP_3) | instskip(NEXT) | instid1(VALU_DEP_3)
	v_add_nc_u64_e32 v[34:35], 32, v[34:35]
	v_cmp_eq_u32_e64 s14, 0, v0
	s_and_b32 s15, s15, s14
	s_delay_alu instid0(SALU_CYCLE_1)
	s_and_saveexec_b32 s14, s15
; %bb.173:                              ;   in Loop: Header=BB1729_172 Depth=1
	v_bcnt_u32_b32 v35, v37, 0
	ds_store_b32 v34, v35
; %bb.174:                              ;   in Loop: Header=BB1729_172 Depth=1
	s_or_b32 exec_lo, exec_lo, s14
	v_cmp_ne_u16_e64 s14, 0x8000, v181
	v_not_b32_e32 v49, v36
	; wave barrier
	s_delay_alu instid0(VALU_DEP_2) | instskip(NEXT) | instid1(VALU_DEP_1)
	v_cndmask_b32_e64 v35, 0x7fff, v181, s14
	v_and_b32_e32 v35, 0xffff, v35
	s_delay_alu instid0(VALU_DEP_1) | instskip(NEXT) | instid1(VALU_DEP_1)
	v_lshrrev_b32_e32 v35, v10, v35
	v_and_b32_e32 v36, v35, v49
	s_delay_alu instid0(VALU_DEP_1) | instskip(SKIP_1) | instid1(VALU_DEP_2)
	v_lshlrev_b32_e32 v39, 30, v36
	v_bitop3_b32 v35, v35, 1, v49 bitop3:0x80
	v_cmp_gt_i32_e64 s15, 0, v39
	s_delay_alu instid0(VALU_DEP_2) | instskip(NEXT) | instid1(VALU_DEP_1)
	v_add_co_u32 v35, s14, v35, -1
	v_cndmask_b32_e64 v38, 0, 1, s14
	s_delay_alu instid0(VALU_DEP_1) | instskip(SKIP_1) | instid1(VALU_DEP_1)
	v_cmp_ne_u32_e64 s14, 0, v38
	v_not_b32_e32 v38, v39
	v_dual_ashrrev_i32 v38, 31, v38 :: v_dual_lshlrev_b32 v48, 29, v36
	v_dual_lshlrev_b32 v50, 28, v36 :: v_dual_lshlrev_b32 v51, 27, v36
	v_lshlrev_b32_e32 v52, 26, v36
	v_lshl_add_u32 v37, v36, 3, v134
	s_delay_alu instid0(VALU_DEP_4)
	v_cmp_gt_i32_e64 s16, 0, v48
	v_not_b32_e32 v39, v48
	v_not_b32_e32 v48, v50
	v_dual_lshlrev_b32 v53, 25, v36 :: v_dual_lshlrev_b32 v36, 24, v36
	v_cmp_gt_i32_e64 s17, 0, v50
	v_cmp_gt_i32_e64 s18, 0, v51
	v_not_b32_e32 v50, v51
	v_not_b32_e32 v51, v52
	v_dual_ashrrev_i32 v48, 31, v48 :: v_dual_bitop2_b32 v35, s14, v35 bitop3:0x14
	v_dual_ashrrev_i32 v39, 31, v39 :: v_dual_bitop2_b32 v38, s15, v38 bitop3:0x14
	v_cmp_gt_i32_e64 s19, 0, v52
	v_not_b32_e32 v52, v53
	v_dual_ashrrev_i32 v50, 31, v50 :: v_dual_ashrrev_i32 v51, 31, v51
	s_delay_alu instid0(VALU_DEP_4)
	v_xor_b32_e32 v39, s16, v39
	v_bitop3_b32 v35, v35, v38, exec_lo bitop3:0x80
	v_not_b32_e32 v38, v36
	v_xor_b32_e32 v48, s17, v48
	v_cmp_gt_i32_e64 s20, 0, v53
	v_dual_ashrrev_i32 v52, 31, v52 :: v_dual_bitop2_b32 v51, s19, v51 bitop3:0x14
	v_cmp_gt_i32_e64 s14, 0, v36
	v_ashrrev_i32_e32 v36, 31, v38
	v_bitop3_b32 v35, v35, v48, v39 bitop3:0x80
	v_lshl_add_u32 v37, v37, 2, v12
	v_xor_b32_e32 v50, s18, v50
	v_xor_b32_e32 v38, s20, v52
	;; [unrolled: 1-line block ×3, first 2 shown]
	s_delay_alu instid0(VALU_DEP_3) | instskip(SKIP_3) | instid1(VALU_DEP_1)
	v_bitop3_b32 v39, v35, v51, v50 bitop3:0x80
	ds_load_b32 v35, v37 offset:32
	v_add_nc_u32_e32 v37, 32, v37
	; wave barrier
	v_bitop3_b32 v38, v39, v36, v38 bitop3:0x80
	v_mbcnt_lo_u32_b32 v36, v38, 0
	v_cmp_ne_u32_e64 s15, 0, v38
	s_delay_alu instid0(VALU_DEP_2) | instskip(SKIP_1) | instid1(SALU_CYCLE_1)
	v_cmp_eq_u32_e64 s14, 0, v36
	s_and_b32 s15, s15, s14
	s_and_saveexec_b32 s14, s15
	s_cbranch_execz .LBB1729_176
; %bb.175:                              ;   in Loop: Header=BB1729_172 Depth=1
	s_wait_dscnt 0x0
	v_bcnt_u32_b32 v38, v38, v35
	ds_store_b32 v37, v38
.LBB1729_176:                           ;   in Loop: Header=BB1729_172 Depth=1
	s_or_b32 exec_lo, exec_lo, s14
	v_cmp_ne_u16_e64 s14, 0x8000, v182
	; wave barrier
	s_delay_alu instid0(VALU_DEP_1) | instskip(NEXT) | instid1(VALU_DEP_1)
	v_cndmask_b32_e64 v38, 0x7fff, v182, s14
	v_and_b32_e32 v38, 0xffff, v38
	s_delay_alu instid0(VALU_DEP_1) | instskip(NEXT) | instid1(VALU_DEP_1)
	v_lshrrev_b32_e32 v38, v10, v38
	v_and_b32_e32 v39, v38, v49
	s_delay_alu instid0(VALU_DEP_1) | instskip(SKIP_1) | instid1(VALU_DEP_2)
	v_lshlrev_b32_e32 v51, 30, v39
	v_bitop3_b32 v38, v38, 1, v49 bitop3:0x80
	v_cmp_gt_i32_e64 s15, 0, v51
	s_delay_alu instid0(VALU_DEP_2) | instskip(NEXT) | instid1(VALU_DEP_1)
	v_add_co_u32 v38, s14, v38, -1
	v_cndmask_b32_e64 v50, 0, 1, s14
	s_delay_alu instid0(VALU_DEP_1) | instskip(SKIP_1) | instid1(VALU_DEP_1)
	v_cmp_ne_u32_e64 s14, 0, v50
	v_not_b32_e32 v50, v51
	v_dual_ashrrev_i32 v50, 31, v50 :: v_dual_lshlrev_b32 v52, 29, v39
	v_dual_lshlrev_b32 v53, 28, v39 :: v_dual_lshlrev_b32 v54, 27, v39
	v_dual_lshlrev_b32 v55, 26, v39 :: v_dual_lshlrev_b32 v64, 25, v39
	s_delay_alu instid0(VALU_DEP_3) | instskip(SKIP_1) | instid1(VALU_DEP_4)
	v_cmp_gt_i32_e64 s16, 0, v52
	v_not_b32_e32 v51, v52
	v_not_b32_e32 v52, v53
	v_lshl_add_u32 v48, v39, 3, v134
	v_lshlrev_b32_e32 v39, 24, v39
	v_cmp_gt_i32_e64 s17, 0, v53
	v_cmp_gt_i32_e64 s18, 0, v54
	v_not_b32_e32 v53, v54
	v_cmp_gt_i32_e64 s19, 0, v55
	v_not_b32_e32 v54, v55
	v_not_b32_e32 v55, v64
	v_dual_ashrrev_i32 v51, 31, v51 :: v_dual_bitop2_b32 v38, s14, v38 bitop3:0x14
	v_dual_ashrrev_i32 v52, 31, v52 :: v_dual_ashrrev_i32 v53, 31, v53
	v_xor_b32_e32 v50, s15, v50
	v_not_b32_e32 v65, v39
	s_delay_alu instid0(VALU_DEP_4) | instskip(NEXT) | instid1(VALU_DEP_4)
	v_dual_ashrrev_i32 v54, 31, v54 :: v_dual_bitop2_b32 v51, s16, v51 bitop3:0x14
	v_xor_b32_e32 v52, s17, v52
	s_delay_alu instid0(VALU_DEP_4) | instskip(SKIP_1) | instid1(VALU_DEP_4)
	v_bitop3_b32 v38, v38, v50, exec_lo bitop3:0x80
	v_cmp_gt_i32_e64 s14, 0, v64
	v_dual_ashrrev_i32 v54, 31, v55 :: v_dual_bitop2_b32 v50, s19, v54 bitop3:0x14
	v_cmp_gt_i32_e64 s15, 0, v39
	v_ashrrev_i32_e32 v39, 31, v65
	v_bitop3_b32 v38, v38, v52, v51 bitop3:0x80
	v_lshl_add_u32 v48, v48, 2, v12
	v_xor_b32_e32 v53, s18, v53
	v_xor_b32_e32 v51, s14, v54
	;; [unrolled: 1-line block ×3, first 2 shown]
	s_delay_alu instid0(VALU_DEP_3) | instskip(SKIP_3) | instid1(VALU_DEP_1)
	v_bitop3_b32 v50, v38, v50, v53 bitop3:0x80
	ds_load_b32 v38, v48 offset:32
	v_add_nc_u32_e32 v48, 32, v48
	; wave barrier
	v_bitop3_b32 v50, v50, v39, v51 bitop3:0x80
	v_mbcnt_lo_u32_b32 v39, v50, 0
	v_cmp_ne_u32_e64 s15, 0, v50
	s_delay_alu instid0(VALU_DEP_2) | instskip(SKIP_1) | instid1(SALU_CYCLE_1)
	v_cmp_eq_u32_e64 s14, 0, v39
	s_and_b32 s15, s15, s14
	s_and_saveexec_b32 s14, s15
	s_cbranch_execz .LBB1729_178
; %bb.177:                              ;   in Loop: Header=BB1729_172 Depth=1
	s_wait_dscnt 0x0
	v_bcnt_u32_b32 v50, v50, v38
	ds_store_b32 v48, v50
.LBB1729_178:                           ;   in Loop: Header=BB1729_172 Depth=1
	s_or_b32 exec_lo, exec_lo, s14
	v_cmp_ne_u16_e64 s14, 0x8000, v183
	; wave barrier
	s_delay_alu instid0(VALU_DEP_1) | instskip(NEXT) | instid1(VALU_DEP_1)
	v_cndmask_b32_e64 v50, 0x7fff, v183, s14
	v_and_b32_e32 v50, 0xffff, v50
	s_delay_alu instid0(VALU_DEP_1) | instskip(NEXT) | instid1(VALU_DEP_1)
	v_lshrrev_b32_e32 v50, v10, v50
	v_and_b32_e32 v51, v50, v49
	s_delay_alu instid0(VALU_DEP_1) | instskip(SKIP_2) | instid1(VALU_DEP_3)
	v_lshlrev_b32_e32 v54, 30, v51
	v_bitop3_b32 v50, v50, 1, v49 bitop3:0x80
	v_lshlrev_b32_e32 v55, 29, v51
	v_cmp_gt_i32_e64 s15, 0, v54
	s_delay_alu instid0(VALU_DEP_3) | instskip(NEXT) | instid1(VALU_DEP_1)
	v_add_co_u32 v50, s14, v50, -1
	v_cndmask_b32_e64 v53, 0, 1, s14
	s_delay_alu instid0(VALU_DEP_1) | instskip(SKIP_2) | instid1(VALU_DEP_2)
	v_cmp_ne_u32_e64 s14, 0, v53
	v_not_b32_e32 v53, v54
	v_not_b32_e32 v54, v55
	v_dual_ashrrev_i32 v53, 31, v53 :: v_dual_bitop2_b32 v50, s14, v50 bitop3:0x14
	s_delay_alu instid0(VALU_DEP_2) | instskip(SKIP_3) | instid1(VALU_DEP_4)
	v_dual_ashrrev_i32 v54, 31, v54 :: v_dual_lshlrev_b32 v64, 28, v51
	v_dual_lshlrev_b32 v65, 27, v51 :: v_dual_lshlrev_b32 v66, 26, v51
	v_lshlrev_b32_e32 v67, 25, v51
	v_cmp_gt_i32_e64 s16, 0, v55
	v_not_b32_e32 v55, v64
	v_lshl_add_u32 v52, v51, 3, v134
	v_lshlrev_b32_e32 v51, 24, v51
	v_cmp_gt_i32_e64 s17, 0, v64
	v_cmp_gt_i32_e64 s18, 0, v65
	v_not_b32_e32 v64, v65
	v_cmp_gt_i32_e64 s19, 0, v66
	v_not_b32_e32 v65, v66
	v_not_b32_e32 v66, v67
	s_delay_alu instid0(VALU_DEP_4) | instskip(SKIP_3) | instid1(VALU_DEP_4)
	v_dual_ashrrev_i32 v55, 31, v55 :: v_dual_ashrrev_i32 v64, 31, v64
	v_xor_b32_e32 v53, s15, v53
	v_not_b32_e32 v68, v51
	v_dual_ashrrev_i32 v65, 31, v65 :: v_dual_bitop2_b32 v54, s16, v54 bitop3:0x14
	v_xor_b32_e32 v55, s17, v55
	s_delay_alu instid0(VALU_DEP_4)
	v_bitop3_b32 v50, v50, v53, exec_lo bitop3:0x80
	v_xor_b32_e32 v64, s18, v64
	v_cmp_gt_i32_e64 s14, 0, v67
	v_cmp_gt_i32_e64 s15, 0, v51
	v_ashrrev_i32_e32 v51, 31, v68
	v_bitop3_b32 v50, v50, v55, v54 bitop3:0x80
	v_lshl_add_u32 v52, v52, 2, v12
	v_dual_ashrrev_i32 v65, 31, v66 :: v_dual_bitop2_b32 v53, s19, v65 bitop3:0x14
	s_delay_alu instid0(VALU_DEP_4) | instskip(NEXT) | instid1(VALU_DEP_2)
	v_xor_b32_e32 v51, s15, v51
	v_bitop3_b32 v53, v50, v53, v64 bitop3:0x80
	s_delay_alu instid0(VALU_DEP_3) | instskip(SKIP_3) | instid1(VALU_DEP_1)
	v_xor_b32_e32 v54, s14, v65
	ds_load_b32 v50, v52 offset:32
	v_add_nc_u32_e32 v52, 32, v52
	; wave barrier
	v_bitop3_b32 v53, v53, v51, v54 bitop3:0x80
	v_mbcnt_lo_u32_b32 v51, v53, 0
	v_cmp_ne_u32_e64 s15, 0, v53
	s_delay_alu instid0(VALU_DEP_2) | instskip(SKIP_1) | instid1(SALU_CYCLE_1)
	v_cmp_eq_u32_e64 s14, 0, v51
	s_and_b32 s15, s15, s14
	s_and_saveexec_b32 s14, s15
	s_cbranch_execz .LBB1729_180
; %bb.179:                              ;   in Loop: Header=BB1729_172 Depth=1
	s_wait_dscnt 0x0
	v_bcnt_u32_b32 v53, v53, v50
	ds_store_b32 v52, v53
.LBB1729_180:                           ;   in Loop: Header=BB1729_172 Depth=1
	s_or_b32 exec_lo, exec_lo, s14
	v_cmp_ne_u16_e64 s14, 0x8000, v192
	; wave barrier
	s_delay_alu instid0(VALU_DEP_1) | instskip(NEXT) | instid1(VALU_DEP_1)
	v_cndmask_b32_e64 v53, 0x7fff, v192, s14
	v_and_b32_e32 v53, 0xffff, v53
	s_delay_alu instid0(VALU_DEP_1) | instskip(NEXT) | instid1(VALU_DEP_1)
	v_lshrrev_b32_e32 v53, v10, v53
	v_and_b32_e32 v54, v53, v49
	s_delay_alu instid0(VALU_DEP_1) | instskip(SKIP_1) | instid1(VALU_DEP_2)
	v_lshlrev_b32_e32 v65, 30, v54
	v_bitop3_b32 v53, v53, 1, v49 bitop3:0x80
	v_cmp_gt_i32_e64 s15, 0, v65
	s_delay_alu instid0(VALU_DEP_2) | instskip(NEXT) | instid1(VALU_DEP_1)
	v_add_co_u32 v53, s14, v53, -1
	v_cndmask_b32_e64 v64, 0, 1, s14
	s_delay_alu instid0(VALU_DEP_1) | instskip(SKIP_1) | instid1(VALU_DEP_1)
	v_cmp_ne_u32_e64 s14, 0, v64
	v_not_b32_e32 v64, v65
	v_dual_ashrrev_i32 v64, 31, v64 :: v_dual_lshlrev_b32 v66, 29, v54
	v_dual_lshlrev_b32 v67, 28, v54 :: v_dual_lshlrev_b32 v68, 27, v54
	v_dual_lshlrev_b32 v69, 26, v54 :: v_dual_lshlrev_b32 v70, 25, v54
	s_delay_alu instid0(VALU_DEP_3) | instskip(SKIP_1) | instid1(VALU_DEP_4)
	v_cmp_gt_i32_e64 s16, 0, v66
	v_not_b32_e32 v65, v66
	v_not_b32_e32 v66, v67
	v_lshl_add_u32 v55, v54, 3, v134
	v_lshlrev_b32_e32 v54, 24, v54
	v_cmp_gt_i32_e64 s17, 0, v67
	v_cmp_gt_i32_e64 s18, 0, v68
	v_not_b32_e32 v67, v68
	v_cmp_gt_i32_e64 s19, 0, v69
	v_not_b32_e32 v68, v69
	v_not_b32_e32 v69, v70
	v_dual_ashrrev_i32 v66, 31, v66 :: v_dual_bitop2_b32 v53, s14, v53 bitop3:0x14
	v_dual_ashrrev_i32 v65, 31, v65 :: v_dual_ashrrev_i32 v67, 31, v67
	v_xor_b32_e32 v64, s15, v64
	v_not_b32_e32 v71, v54
	s_delay_alu instid0(VALU_DEP_3) | instskip(SKIP_1) | instid1(VALU_DEP_4)
	v_dual_ashrrev_i32 v68, 31, v68 :: v_dual_bitop2_b32 v65, s16, v65 bitop3:0x14
	v_xor_b32_e32 v66, s17, v66
	v_bitop3_b32 v53, v53, v64, exec_lo bitop3:0x80
	v_xor_b32_e32 v67, s18, v67
	v_cmp_gt_i32_e64 s14, 0, v70
	v_cmp_gt_i32_e64 s15, 0, v54
	v_ashrrev_i32_e32 v54, 31, v71
	v_bitop3_b32 v53, v53, v66, v65 bitop3:0x80
	v_lshl_add_u32 v55, v55, 2, v12
	v_dual_ashrrev_i32 v68, 31, v69 :: v_dual_bitop2_b32 v64, s19, v68 bitop3:0x14
	s_delay_alu instid0(VALU_DEP_4) | instskip(NEXT) | instid1(VALU_DEP_2)
	v_xor_b32_e32 v54, s15, v54
	v_bitop3_b32 v64, v53, v64, v67 bitop3:0x80
	s_delay_alu instid0(VALU_DEP_3) | instskip(SKIP_3) | instid1(VALU_DEP_1)
	v_xor_b32_e32 v65, s14, v68
	ds_load_b32 v53, v55 offset:32
	v_add_nc_u32_e32 v55, 32, v55
	; wave barrier
	v_bitop3_b32 v64, v64, v54, v65 bitop3:0x80
	v_mbcnt_lo_u32_b32 v54, v64, 0
	v_cmp_ne_u32_e64 s15, 0, v64
	s_delay_alu instid0(VALU_DEP_2) | instskip(SKIP_1) | instid1(SALU_CYCLE_1)
	v_cmp_eq_u32_e64 s14, 0, v54
	s_and_b32 s15, s15, s14
	s_and_saveexec_b32 s14, s15
	s_cbranch_execz .LBB1729_182
; %bb.181:                              ;   in Loop: Header=BB1729_172 Depth=1
	s_wait_dscnt 0x0
	v_bcnt_u32_b32 v64, v64, v53
	ds_store_b32 v55, v64
.LBB1729_182:                           ;   in Loop: Header=BB1729_172 Depth=1
	s_or_b32 exec_lo, exec_lo, s14
	v_cmp_ne_u16_e64 s14, 0x8000, v194
	; wave barrier
	s_delay_alu instid0(VALU_DEP_1) | instskip(NEXT) | instid1(VALU_DEP_1)
	v_cndmask_b32_e64 v64, 0x7fff, v194, s14
	v_and_b32_e32 v64, 0xffff, v64
	s_delay_alu instid0(VALU_DEP_1) | instskip(NEXT) | instid1(VALU_DEP_1)
	v_lshrrev_b32_e32 v64, v10, v64
	v_and_b32_e32 v65, v64, v49
	s_delay_alu instid0(VALU_DEP_1) | instskip(SKIP_1) | instid1(VALU_DEP_2)
	v_lshlrev_b32_e32 v68, 30, v65
	v_bitop3_b32 v64, v64, 1, v49 bitop3:0x80
	v_cmp_gt_i32_e64 s15, 0, v68
	s_delay_alu instid0(VALU_DEP_2) | instskip(NEXT) | instid1(VALU_DEP_1)
	v_add_co_u32 v64, s14, v64, -1
	v_cndmask_b32_e64 v67, 0, 1, s14
	s_delay_alu instid0(VALU_DEP_1) | instskip(SKIP_1) | instid1(VALU_DEP_1)
	v_cmp_ne_u32_e64 s14, 0, v67
	v_not_b32_e32 v67, v68
	v_dual_ashrrev_i32 v67, 31, v67 :: v_dual_lshlrev_b32 v69, 29, v65
	v_dual_lshlrev_b32 v70, 28, v65 :: v_dual_lshlrev_b32 v71, 27, v65
	v_dual_lshlrev_b32 v80, 26, v65 :: v_dual_lshlrev_b32 v81, 25, v65
	s_delay_alu instid0(VALU_DEP_3) | instskip(SKIP_1) | instid1(VALU_DEP_4)
	v_cmp_gt_i32_e64 s16, 0, v69
	v_not_b32_e32 v68, v69
	v_not_b32_e32 v69, v70
	v_lshl_add_u32 v66, v65, 3, v134
	v_lshlrev_b32_e32 v65, 24, v65
	v_cmp_gt_i32_e64 s17, 0, v70
	v_cmp_gt_i32_e64 s18, 0, v71
	v_not_b32_e32 v70, v71
	v_cmp_gt_i32_e64 s19, 0, v80
	v_not_b32_e32 v71, v80
	v_not_b32_e32 v80, v81
	v_dual_ashrrev_i32 v69, 31, v69 :: v_dual_bitop2_b32 v64, s14, v64 bitop3:0x14
	v_dual_ashrrev_i32 v68, 31, v68 :: v_dual_ashrrev_i32 v70, 31, v70
	v_xor_b32_e32 v67, s15, v67
	v_not_b32_e32 v82, v65
	s_delay_alu instid0(VALU_DEP_3) | instskip(SKIP_1) | instid1(VALU_DEP_4)
	v_dual_ashrrev_i32 v71, 31, v71 :: v_dual_bitop2_b32 v68, s16, v68 bitop3:0x14
	v_xor_b32_e32 v69, s17, v69
	v_bitop3_b32 v64, v64, v67, exec_lo bitop3:0x80
	v_xor_b32_e32 v70, s18, v70
	v_cmp_gt_i32_e64 s14, 0, v81
	v_cmp_gt_i32_e64 s15, 0, v65
	v_ashrrev_i32_e32 v65, 31, v82
	v_bitop3_b32 v64, v64, v69, v68 bitop3:0x80
	v_lshl_add_u32 v66, v66, 2, v12
	v_dual_ashrrev_i32 v71, 31, v80 :: v_dual_bitop2_b32 v67, s19, v71 bitop3:0x14
	s_delay_alu instid0(VALU_DEP_4) | instskip(NEXT) | instid1(VALU_DEP_2)
	v_xor_b32_e32 v65, s15, v65
	v_bitop3_b32 v67, v64, v67, v70 bitop3:0x80
	s_delay_alu instid0(VALU_DEP_3) | instskip(SKIP_3) | instid1(VALU_DEP_1)
	v_xor_b32_e32 v68, s14, v71
	ds_load_b32 v64, v66 offset:32
	v_add_nc_u32_e32 v66, 32, v66
	; wave barrier
	v_bitop3_b32 v67, v67, v65, v68 bitop3:0x80
	v_mbcnt_lo_u32_b32 v65, v67, 0
	v_cmp_ne_u32_e64 s15, 0, v67
	s_delay_alu instid0(VALU_DEP_2) | instskip(SKIP_1) | instid1(SALU_CYCLE_1)
	v_cmp_eq_u32_e64 s14, 0, v65
	s_and_b32 s15, s15, s14
	s_and_saveexec_b32 s14, s15
	s_cbranch_execz .LBB1729_184
; %bb.183:                              ;   in Loop: Header=BB1729_172 Depth=1
	s_wait_dscnt 0x0
	v_bcnt_u32_b32 v67, v67, v64
	ds_store_b32 v66, v67
.LBB1729_184:                           ;   in Loop: Header=BB1729_172 Depth=1
	s_or_b32 exec_lo, exec_lo, s14
	v_cmp_ne_u16_e64 s14, 0x8000, v193
	; wave barrier
	s_delay_alu instid0(VALU_DEP_1) | instskip(NEXT) | instid1(VALU_DEP_1)
	v_cndmask_b32_e64 v67, 0x7fff, v193, s14
	v_and_b32_e32 v67, 0xffff, v67
	s_delay_alu instid0(VALU_DEP_1) | instskip(NEXT) | instid1(VALU_DEP_1)
	v_lshrrev_b32_e32 v67, v10, v67
	v_and_b32_e32 v68, v67, v49
	s_delay_alu instid0(VALU_DEP_1) | instskip(SKIP_1) | instid1(VALU_DEP_2)
	v_lshlrev_b32_e32 v71, 30, v68
	v_bitop3_b32 v67, v67, 1, v49 bitop3:0x80
	v_cmp_gt_i32_e64 s15, 0, v71
	s_delay_alu instid0(VALU_DEP_2) | instskip(NEXT) | instid1(VALU_DEP_1)
	v_add_co_u32 v67, s14, v67, -1
	v_cndmask_b32_e64 v70, 0, 1, s14
	s_delay_alu instid0(VALU_DEP_1) | instskip(SKIP_1) | instid1(VALU_DEP_1)
	v_cmp_ne_u32_e64 s14, 0, v70
	v_not_b32_e32 v70, v71
	v_dual_ashrrev_i32 v70, 31, v70 :: v_dual_lshlrev_b32 v80, 29, v68
	v_dual_lshlrev_b32 v81, 28, v68 :: v_dual_lshlrev_b32 v82, 27, v68
	v_dual_lshlrev_b32 v83, 26, v68 :: v_dual_lshlrev_b32 v84, 25, v68
	s_delay_alu instid0(VALU_DEP_3) | instskip(SKIP_1) | instid1(VALU_DEP_4)
	v_cmp_gt_i32_e64 s16, 0, v80
	v_not_b32_e32 v71, v80
	v_not_b32_e32 v80, v81
	v_lshl_add_u32 v69, v68, 3, v134
	v_lshlrev_b32_e32 v68, 24, v68
	v_cmp_gt_i32_e64 s17, 0, v81
	v_cmp_gt_i32_e64 s18, 0, v82
	v_not_b32_e32 v81, v82
	v_cmp_gt_i32_e64 s19, 0, v83
	v_not_b32_e32 v82, v83
	v_not_b32_e32 v83, v84
	v_dual_ashrrev_i32 v80, 31, v80 :: v_dual_bitop2_b32 v67, s14, v67 bitop3:0x14
	v_dual_ashrrev_i32 v71, 31, v71 :: v_dual_ashrrev_i32 v81, 31, v81
	v_xor_b32_e32 v70, s15, v70
	v_not_b32_e32 v85, v68
	s_delay_alu instid0(VALU_DEP_3) | instskip(SKIP_1) | instid1(VALU_DEP_4)
	v_dual_ashrrev_i32 v82, 31, v82 :: v_dual_bitop2_b32 v71, s16, v71 bitop3:0x14
	v_xor_b32_e32 v80, s17, v80
	v_bitop3_b32 v67, v67, v70, exec_lo bitop3:0x80
	v_xor_b32_e32 v81, s18, v81
	v_cmp_gt_i32_e64 s14, 0, v84
	v_cmp_gt_i32_e64 s15, 0, v68
	v_ashrrev_i32_e32 v68, 31, v85
	v_bitop3_b32 v67, v67, v80, v71 bitop3:0x80
	v_lshl_add_u32 v69, v69, 2, v12
	v_dual_ashrrev_i32 v82, 31, v83 :: v_dual_bitop2_b32 v70, s19, v82 bitop3:0x14
	s_delay_alu instid0(VALU_DEP_4) | instskip(SKIP_3) | instid1(VALU_DEP_1)
	v_xor_b32_e32 v68, s15, v68
	ds_load_b32 v84, v69 offset:32
	v_bitop3_b32 v67, v67, v70, v81 bitop3:0x80
	v_xor_b32_e32 v71, s14, v82
	; wave barrier
	v_bitop3_b32 v68, v67, v68, v71 bitop3:0x80
	v_add_nc_u32_e32 v67, 32, v69
	s_delay_alu instid0(VALU_DEP_2) | instskip(SKIP_1) | instid1(VALU_DEP_2)
	v_mbcnt_lo_u32_b32 v86, v68, 0
	v_cmp_ne_u32_e64 s15, 0, v68
	v_cmp_eq_u32_e64 s14, 0, v86
	s_and_b32 s15, s15, s14
	s_delay_alu instid0(SALU_CYCLE_1)
	s_and_saveexec_b32 s14, s15
	s_cbranch_execz .LBB1729_186
; %bb.185:                              ;   in Loop: Header=BB1729_172 Depth=1
	s_wait_dscnt 0x0
	v_bcnt_u32_b32 v68, v68, v84
	ds_store_b32 v67, v68
.LBB1729_186:                           ;   in Loop: Header=BB1729_172 Depth=1
	s_or_b32 exec_lo, exec_lo, s14
	v_cmp_ne_u16_e64 s14, 0x8000, v195
	; wave barrier
	s_delay_alu instid0(VALU_DEP_1) | instskip(NEXT) | instid1(VALU_DEP_1)
	v_cndmask_b32_e64 v68, 0x7fff, v195, s14
	v_and_b32_e32 v68, 0xffff, v68
	s_delay_alu instid0(VALU_DEP_1) | instskip(NEXT) | instid1(VALU_DEP_1)
	v_lshrrev_b32_e32 v68, v10, v68
	v_and_b32_e32 v69, v68, v49
	s_delay_alu instid0(VALU_DEP_1) | instskip(SKIP_1) | instid1(VALU_DEP_2)
	v_lshlrev_b32_e32 v71, 30, v69
	v_bitop3_b32 v49, v68, 1, v49 bitop3:0x80
	v_cmp_gt_i32_e64 s15, 0, v71
	s_delay_alu instid0(VALU_DEP_2) | instskip(NEXT) | instid1(VALU_DEP_1)
	v_add_co_u32 v49, s14, v49, -1
	v_cndmask_b32_e64 v70, 0, 1, s14
	s_delay_alu instid0(VALU_DEP_1) | instskip(SKIP_1) | instid1(VALU_DEP_1)
	v_cmp_ne_u32_e64 s14, 0, v70
	v_not_b32_e32 v70, v71
	v_dual_ashrrev_i32 v70, 31, v70 :: v_dual_lshlrev_b32 v80, 29, v69
	v_dual_lshlrev_b32 v81, 28, v69 :: v_dual_lshlrev_b32 v82, 27, v69
	v_dual_lshlrev_b32 v83, 26, v69 :: v_dual_lshlrev_b32 v85, 25, v69
	s_delay_alu instid0(VALU_DEP_3) | instskip(SKIP_1) | instid1(VALU_DEP_4)
	v_cmp_gt_i32_e64 s16, 0, v80
	v_not_b32_e32 v71, v80
	v_not_b32_e32 v80, v81
	v_lshl_add_u32 v68, v69, 3, v134
	v_lshlrev_b32_e32 v69, 24, v69
	v_cmp_gt_i32_e64 s17, 0, v81
	v_cmp_gt_i32_e64 s18, 0, v82
	v_not_b32_e32 v81, v82
	v_cmp_gt_i32_e64 s19, 0, v83
	v_not_b32_e32 v82, v83
	v_not_b32_e32 v83, v85
	v_dual_ashrrev_i32 v71, 31, v71 :: v_dual_bitop2_b32 v49, s14, v49 bitop3:0x14
	v_dual_ashrrev_i32 v80, 31, v80 :: v_dual_ashrrev_i32 v81, 31, v81
	v_xor_b32_e32 v70, s15, v70
	v_not_b32_e32 v87, v69
	s_delay_alu instid0(VALU_DEP_4) | instskip(NEXT) | instid1(VALU_DEP_4)
	v_dual_ashrrev_i32 v82, 31, v82 :: v_dual_bitop2_b32 v71, s16, v71 bitop3:0x14
	v_xor_b32_e32 v80, s17, v80
	s_delay_alu instid0(VALU_DEP_4) | instskip(SKIP_1) | instid1(VALU_DEP_4)
	v_bitop3_b32 v49, v49, v70, exec_lo bitop3:0x80
	v_cmp_gt_i32_e64 s14, 0, v85
	v_dual_ashrrev_i32 v82, 31, v83 :: v_dual_bitop2_b32 v70, s19, v82 bitop3:0x14
	v_cmp_gt_i32_e64 s15, 0, v69
	v_ashrrev_i32_e32 v69, 31, v87
	v_bitop3_b32 v49, v49, v80, v71 bitop3:0x80
	v_lshl_add_u32 v68, v68, 2, v12
	v_xor_b32_e32 v81, s18, v81
	v_xor_b32_e32 v71, s14, v82
	;; [unrolled: 1-line block ×3, first 2 shown]
	s_delay_alu instid0(VALU_DEP_3) | instskip(SKIP_3) | instid1(VALU_DEP_1)
	v_bitop3_b32 v70, v49, v70, v81 bitop3:0x80
	ds_load_b32 v49, v68 offset:32
	v_add_nc_u32_e32 v68, 32, v68
	; wave barrier
	v_bitop3_b32 v69, v70, v69, v71 bitop3:0x80
	v_mbcnt_lo_u32_b32 v96, v69, 0
	v_cmp_ne_u32_e64 s15, 0, v69
	s_delay_alu instid0(VALU_DEP_2) | instskip(SKIP_1) | instid1(SALU_CYCLE_1)
	v_cmp_eq_u32_e64 s14, 0, v96
	s_and_b32 s15, s15, s14
	s_and_saveexec_b32 s14, s15
	s_cbranch_execz .LBB1729_188
; %bb.187:                              ;   in Loop: Header=BB1729_172 Depth=1
	s_wait_dscnt 0x0
	v_bcnt_u32_b32 v69, v69, v49
	ds_store_b32 v68, v69
.LBB1729_188:                           ;   in Loop: Header=BB1729_172 Depth=1
	s_or_b32 exec_lo, exec_lo, s14
	; wave barrier
	s_wait_dscnt 0x0
	s_barrier_signal -1
	s_barrier_wait -1
	ds_load_b32 v70, v27
	ds_load_b32 v71, v31
	;; [unrolled: 1-line block ×8, first 2 shown]
	s_wait_dscnt 0x6
	v_add_nc_u32_e32 v87, v71, v70
	s_wait_dscnt 0x4
	s_delay_alu instid0(VALU_DEP_1) | instskip(SKIP_1) | instid1(VALU_DEP_1)
	v_add3_u32 v87, v87, v80, v81
	s_wait_dscnt 0x2
	v_add3_u32 v87, v87, v82, v83
	s_wait_dscnt 0x0
	s_delay_alu instid0(VALU_DEP_1) | instskip(NEXT) | instid1(VALU_DEP_1)
	v_add3_u32 v85, v87, v69, v85
	v_mov_b32_dpp v87, v85 row_shr:1 row_mask:0xf bank_mask:0xf
	s_delay_alu instid0(VALU_DEP_1) | instskip(NEXT) | instid1(VALU_DEP_1)
	v_cndmask_b32_e64 v87, v87, 0, vcc_lo
	v_add_nc_u32_e32 v85, v87, v85
	s_delay_alu instid0(VALU_DEP_1) | instskip(NEXT) | instid1(VALU_DEP_1)
	v_mov_b32_dpp v87, v85 row_shr:2 row_mask:0xf bank_mask:0xf
	v_cndmask_b32_e64 v87, 0, v87, s0
	s_delay_alu instid0(VALU_DEP_1) | instskip(NEXT) | instid1(VALU_DEP_1)
	v_add_nc_u32_e32 v85, v85, v87
	v_mov_b32_dpp v87, v85 row_shr:4 row_mask:0xf bank_mask:0xf
	s_delay_alu instid0(VALU_DEP_1) | instskip(NEXT) | instid1(VALU_DEP_1)
	v_cndmask_b32_e64 v87, 0, v87, s1
	v_add_nc_u32_e32 v85, v85, v87
	s_delay_alu instid0(VALU_DEP_1) | instskip(NEXT) | instid1(VALU_DEP_1)
	v_mov_b32_dpp v87, v85 row_shr:8 row_mask:0xf bank_mask:0xf
	v_cndmask_b32_e64 v87, 0, v87, s3
	s_delay_alu instid0(VALU_DEP_1) | instskip(SKIP_3) | instid1(VALU_DEP_1)
	v_add_nc_u32_e32 v85, v85, v87
	ds_swizzle_b32 v87, v85 offset:swizzle(BROADCAST,32,15)
	s_wait_dscnt 0x0
	v_cndmask_b32_e64 v87, v87, 0, s4
	v_add_nc_u32_e32 v85, v85, v87
	s_and_saveexec_b32 s14, s5
; %bb.189:                              ;   in Loop: Header=BB1729_172 Depth=1
	ds_store_b32 v144, v85
; %bb.190:                              ;   in Loop: Header=BB1729_172 Depth=1
	s_or_b32 exec_lo, exec_lo, s14
	s_wait_dscnt 0x0
	s_barrier_signal -1
	s_barrier_wait -1
	s_and_saveexec_b32 s14, s6
	s_cbranch_execz .LBB1729_192
; %bb.191:                              ;   in Loop: Header=BB1729_172 Depth=1
	ds_load_b32 v87, v145
	s_wait_dscnt 0x0
	v_mov_b32_dpp v97, v87 row_shr:1 row_mask:0xf bank_mask:0xf
	s_delay_alu instid0(VALU_DEP_1) | instskip(NEXT) | instid1(VALU_DEP_1)
	v_cndmask_b32_e64 v97, v97, 0, s11
	v_add_nc_u32_e32 v87, v97, v87
	s_delay_alu instid0(VALU_DEP_1) | instskip(NEXT) | instid1(VALU_DEP_1)
	v_mov_b32_dpp v97, v87 row_shr:2 row_mask:0xf bank_mask:0xf
	v_cndmask_b32_e64 v97, 0, v97, s12
	s_delay_alu instid0(VALU_DEP_1) | instskip(NEXT) | instid1(VALU_DEP_1)
	v_add_nc_u32_e32 v87, v87, v97
	v_mov_b32_dpp v97, v87 row_shr:4 row_mask:0xf bank_mask:0xf
	s_delay_alu instid0(VALU_DEP_1) | instskip(NEXT) | instid1(VALU_DEP_1)
	v_cndmask_b32_e64 v97, 0, v97, s13
	v_add_nc_u32_e32 v87, v87, v97
	ds_store_b32 v145, v87
.LBB1729_192:                           ;   in Loop: Header=BB1729_172 Depth=1
	s_or_b32 exec_lo, exec_lo, s14
	v_mov_b32_e32 v87, 0
	s_wait_dscnt 0x0
	s_barrier_signal -1
	s_barrier_wait -1
	s_and_saveexec_b32 s14, s7
; %bb.193:                              ;   in Loop: Header=BB1729_172 Depth=1
	ds_load_b32 v87, v147
; %bb.194:                              ;   in Loop: Header=BB1729_172 Depth=1
	s_or_b32 exec_lo, exec_lo, s14
	s_wait_dscnt 0x0
	v_add_nc_u32_e32 v85, v87, v85
	s_mov_b32 s16, -1
                                        ; implicit-def: $vgpr196
	v_add_nc_u32_e32 v10, 8, v10
	ds_bpermute_b32 v85, v135, v85
	v_cmp_lt_u32_e64 s14, v10, v11
	s_wait_dscnt 0x0
	v_cndmask_b32_e64 v85, v85, v87, s2
	s_delay_alu instid0(VALU_DEP_1) | instskip(NEXT) | instid1(VALU_DEP_1)
	v_cndmask_b32_e64 v85, v85, 0, s10
	v_add_nc_u32_e32 v70, v85, v70
	s_delay_alu instid0(VALU_DEP_1) | instskip(NEXT) | instid1(VALU_DEP_1)
	v_add_nc_u32_e32 v71, v70, v71
	v_add_nc_u32_e32 v80, v71, v80
	s_delay_alu instid0(VALU_DEP_1)
	v_add_nc_u32_e32 v81, v80, v81
	ds_store_b32 v27, v85
	ds_store_b32 v31, v70
	;; [unrolled: 1-line block ×3, first 2 shown]
	v_dual_mov_b32 v71, v1 :: v_dual_mov_b32 v85, v1
	v_add_nc_u32_e32 v82, v81, v82
	s_delay_alu instid0(VALU_DEP_1) | instskip(NEXT) | instid1(VALU_DEP_1)
	v_add_nc_u32_e32 v83, v82, v83
	v_add_nc_u32_e32 v69, v83, v69
	ds_store_b32 v129, v80
	ds_store_b32 v130, v81
	;; [unrolled: 1-line block ×5, first 2 shown]
	s_wait_dscnt 0x0
	s_barrier_signal -1
	s_barrier_wait -1
	ds_load_b32 v34, v34
	ds_load_b32 v37, v37
	;; [unrolled: 1-line block ×8, first 2 shown]
	v_dual_mov_b32 v67, v1 :: v_dual_mov_b32 v69, v1
	v_dual_mov_b32 v81, v1 :: v_dual_mov_b32 v83, v1
	v_mov_b32_e32 v87, v1
	s_wait_dscnt 0x0
	v_add_nc_u32_e32 v0, v34, v0
	v_add3_u32 v66, v36, v35, v37
	v_add3_u32 v68, v39, v38, v48
	;; [unrolled: 1-line block ×7, first 2 shown]
	v_lshl_add_u64 v[118:119], v[0:1], 1, v[12:13]
	v_lshl_add_u64 v[116:117], v[66:67], 1, v[12:13]
	;; [unrolled: 1-line block ×8, first 2 shown]
                                        ; implicit-def: $vgpr34_vgpr35
                                        ; implicit-def: $vgpr36_vgpr37
                                        ; implicit-def: $vgpr38_vgpr39
                                        ; implicit-def: $vgpr48_vgpr49
                                        ; implicit-def: $vgpr50_vgpr51
                                        ; implicit-def: $vgpr52_vgpr53
                                        ; implicit-def: $vgpr54_vgpr55
                                        ; implicit-def: $vgpr64_vgpr65
                                        ; implicit-def: $vgpr85
                                        ; implicit-def: $vgpr87
                                        ; implicit-def: $vgpr69
                                        ; implicit-def: $vgpr67
                                        ; implicit-def: $vgpr71
                                        ; implicit-def: $vgpr81
                                        ; implicit-def: $vgpr83
	s_and_saveexec_b32 s15, s14
	s_cbranch_execz .LBB1729_171
; %bb.195:                              ;   in Loop: Header=BB1729_172 Depth=1
	v_mad_nc_u64_u32 v[34:35], v0, 6, v[118:119]
	v_mad_nc_u64_u32 v[36:37], v66, 6, v[116:117]
	;; [unrolled: 1-line block ×8, first 2 shown]
	s_barrier_signal -1
	s_barrier_wait -1
	ds_store_b16 v118, v180
	ds_store_b16 v116, v181
	;; [unrolled: 1-line block ×8, first 2 shown]
	s_wait_dscnt 0x0
	s_barrier_signal -1
	s_barrier_wait -1
	ds_load_u16 v196, v146
	ds_load_u16 v85, v148
	;; [unrolled: 1-line block ×8, first 2 shown]
	s_wait_dscnt 0x0
	s_barrier_signal -1
	s_barrier_wait -1
	ds_store_b64 v34, v[22:23]
	ds_store_b64 v36, v[32:33]
	;; [unrolled: 1-line block ×8, first 2 shown]
	s_wait_dscnt 0x0
	s_barrier_signal -1
	s_barrier_wait -1
	ds_load_b64 v[34:35], v151
	ds_load_b64 v[36:37], v164
	;; [unrolled: 1-line block ×8, first 2 shown]
	v_add_nc_u32_e32 v179, -8, v179
	s_xor_b32 s16, exec_lo, -1
	s_wait_dscnt 0x0
	s_barrier_signal -1
	s_barrier_wait -1
	s_branch .LBB1729_171
.LBB1729_196:
	flat_load_b64 v[66:67], v[0:1]
	s_wait_xcnt 0x0
	s_or_b32 exec_lo, exec_lo, s17
                                        ; implicit-def: $vgpr68_vgpr69
	s_and_saveexec_b32 s17, s0
	s_cbranch_execz .LBB1729_36
.LBB1729_197:
	flat_load_b64 v[68:69], v[0:1] offset:256
	s_wait_xcnt 0x0
	s_or_b32 exec_lo, exec_lo, s17
                                        ; implicit-def: $vgpr70_vgpr71
	s_and_saveexec_b32 s0, s1
	s_cbranch_execz .LBB1729_37
.LBB1729_198:
	flat_load_b64 v[70:71], v[0:1] offset:512
	s_wait_xcnt 0x0
	s_or_b32 exec_lo, exec_lo, s0
                                        ; implicit-def: $vgpr80_vgpr81
	s_and_saveexec_b32 s0, s2
	s_cbranch_execz .LBB1729_38
.LBB1729_199:
	flat_load_b64 v[80:81], v[0:1] offset:768
	s_wait_xcnt 0x0
	s_or_b32 exec_lo, exec_lo, s0
                                        ; implicit-def: $vgpr82_vgpr83
	s_and_saveexec_b32 s0, s3
	s_cbranch_execz .LBB1729_39
.LBB1729_200:
	flat_load_b64 v[82:83], v[0:1] offset:1024
	s_wait_xcnt 0x0
	s_or_b32 exec_lo, exec_lo, s0
                                        ; implicit-def: $vgpr84_vgpr85
	s_and_saveexec_b32 s0, s4
	s_cbranch_execz .LBB1729_40
.LBB1729_201:
	flat_load_b64 v[84:85], v[0:1] offset:1280
	s_wait_xcnt 0x0
	s_or_b32 exec_lo, exec_lo, s0
                                        ; implicit-def: $vgpr86_vgpr87
	s_and_saveexec_b32 s0, s5
	s_cbranch_execz .LBB1729_41
.LBB1729_202:
	flat_load_b64 v[86:87], v[0:1] offset:1536
	s_wait_xcnt 0x0
	s_or_b32 exec_lo, exec_lo, s0
                                        ; implicit-def: $vgpr98_vgpr99
	s_and_saveexec_b32 s0, s6
	s_cbranch_execz .LBB1729_42
.LBB1729_203:
	flat_load_b64 v[98:99], v[0:1] offset:1792
	s_wait_xcnt 0x0
	s_or_b32 exec_lo, exec_lo, s0
                                        ; implicit-def: $vgpr102_vgpr103
	s_and_saveexec_b32 s0, s7
	s_cbranch_execz .LBB1729_43
.LBB1729_204:
	flat_load_b64 v[102:103], v[0:1] offset:2048
	s_wait_xcnt 0x0
	s_or_b32 exec_lo, exec_lo, s0
                                        ; implicit-def: $vgpr96_vgpr97
	s_and_saveexec_b32 s0, s10
	s_cbranch_execz .LBB1729_44
.LBB1729_205:
	flat_load_b64 v[96:97], v[0:1] offset:2304
	s_wait_xcnt 0x0
	s_or_b32 exec_lo, exec_lo, s0
                                        ; implicit-def: $vgpr100_vgpr101
	s_and_saveexec_b32 s0, s11
	s_cbranch_execz .LBB1729_45
.LBB1729_206:
	flat_load_b64 v[100:101], v[0:1] offset:2560
	s_wait_xcnt 0x0
	s_or_b32 exec_lo, exec_lo, s0
                                        ; implicit-def: $vgpr112_vgpr113
	s_and_saveexec_b32 s0, s12
	s_cbranch_execz .LBB1729_46
.LBB1729_207:
	flat_load_b64 v[112:113], v[0:1] offset:2816
	s_wait_xcnt 0x0
	s_or_b32 exec_lo, exec_lo, s0
                                        ; implicit-def: $vgpr114_vgpr115
	s_and_saveexec_b32 s0, s13
	s_cbranch_execz .LBB1729_47
.LBB1729_208:
	flat_load_b64 v[114:115], v[0:1] offset:3072
	s_wait_xcnt 0x0
	s_or_b32 exec_lo, exec_lo, s0
                                        ; implicit-def: $vgpr118_vgpr119
	s_and_saveexec_b32 s0, s14
	s_cbranch_execz .LBB1729_48
.LBB1729_209:
	flat_load_b64 v[118:119], v[0:1] offset:3328
	s_wait_xcnt 0x0
	s_or_b32 exec_lo, exec_lo, s0
                                        ; implicit-def: $vgpr164_vgpr165
	s_and_saveexec_b32 s0, s15
	s_cbranch_execz .LBB1729_49
.LBB1729_210:
	flat_load_b64 v[164:165], v[0:1] offset:3584
	s_wait_xcnt 0x0
	s_or_b32 exec_lo, exec_lo, s0
                                        ; implicit-def: $vgpr176_vgpr177
	s_and_saveexec_b32 s0, s16
	s_cbranch_execnz .LBB1729_50
	s_branch .LBB1729_51
.LBB1729_211:
	flat_store_b64 v[0:1], v[48:49]
	s_wait_xcnt 0x0
	s_or_b32 exec_lo, exec_lo, s17
	s_and_saveexec_b32 s17, s0
	s_cbranch_execz .LBB1729_127
.LBB1729_212:
	flat_store_b64 v[0:1], v[50:51] offset:2048
	s_wait_xcnt 0x0
	s_or_b32 exec_lo, exec_lo, s17
	s_and_saveexec_b32 s0, s1
	s_cbranch_execz .LBB1729_128
.LBB1729_213:
	flat_store_b64 v[0:1], v[34:35] offset:4096
	s_wait_xcnt 0x0
	s_or_b32 exec_lo, exec_lo, s0
	s_and_saveexec_b32 s0, s2
	s_cbranch_execz .LBB1729_129
.LBB1729_214:
	flat_store_b64 v[0:1], v[36:37] offset:6144
	s_wait_xcnt 0x0
	s_or_b32 exec_lo, exec_lo, s0
	s_and_saveexec_b32 s0, s3
	s_cbranch_execz .LBB1729_130
.LBB1729_215:
	flat_store_b64 v[0:1], v[30:31] offset:8192
	s_wait_xcnt 0x0
	s_or_b32 exec_lo, exec_lo, s0
	s_and_saveexec_b32 s0, s4
	s_cbranch_execz .LBB1729_131
.LBB1729_216:
	flat_store_b64 v[0:1], v[32:33] offset:10240
	s_wait_xcnt 0x0
	s_or_b32 exec_lo, exec_lo, s0
	s_and_saveexec_b32 s0, s5
	s_cbranch_execz .LBB1729_132
.LBB1729_217:
	flat_store_b64 v[0:1], v[26:27] offset:12288
	s_wait_xcnt 0x0
	s_or_b32 exec_lo, exec_lo, s0
	s_and_saveexec_b32 s0, s6
	s_cbranch_execz .LBB1729_133
.LBB1729_218:
	flat_store_b64 v[0:1], v[28:29] offset:14336
	s_wait_xcnt 0x0
	s_or_b32 exec_lo, exec_lo, s0
	s_and_saveexec_b32 s0, s7
	s_cbranch_execz .LBB1729_134
.LBB1729_219:
	flat_store_b64 v[0:1], v[22:23] offset:16384
	s_wait_xcnt 0x0
	s_or_b32 exec_lo, exec_lo, s0
	s_and_saveexec_b32 s0, s10
	s_cbranch_execz .LBB1729_135
.LBB1729_220:
	flat_store_b64 v[0:1], v[24:25] offset:18432
	s_wait_xcnt 0x0
	s_or_b32 exec_lo, exec_lo, s0
	s_and_saveexec_b32 s0, s11
	s_cbranch_execz .LBB1729_136
.LBB1729_221:
	flat_store_b64 v[0:1], v[18:19] offset:20480
	s_wait_xcnt 0x0
	s_or_b32 exec_lo, exec_lo, s0
	s_and_saveexec_b32 s0, s12
	s_cbranch_execz .LBB1729_137
.LBB1729_222:
	flat_store_b64 v[0:1], v[20:21] offset:22528
	s_wait_xcnt 0x0
	s_or_b32 exec_lo, exec_lo, s0
	s_and_saveexec_b32 s0, s13
	s_cbranch_execz .LBB1729_138
.LBB1729_223:
	flat_store_b64 v[0:1], v[14:15] offset:24576
	s_wait_xcnt 0x0
	s_or_b32 exec_lo, exec_lo, s0
	s_and_saveexec_b32 s0, s14
	s_cbranch_execz .LBB1729_139
.LBB1729_224:
	flat_store_b64 v[0:1], v[16:17] offset:26624
	s_wait_xcnt 0x0
	s_or_b32 exec_lo, exec_lo, s0
	s_and_saveexec_b32 s0, s15
	s_cbranch_execz .LBB1729_140
.LBB1729_225:
	flat_store_b64 v[0:1], v[10:11] offset:28672
	s_wait_xcnt 0x0
	s_or_b32 exec_lo, exec_lo, s0
	s_and_saveexec_b32 s0, s16
	s_cbranch_execnz .LBB1729_141
	s_branch .LBB1729_142
.LBB1729_226:
	s_or_b32 exec_lo, exec_lo, s25
	v_mad_nc_u64_u32 v[0:1], v0, 6, v[118:119]
	v_mad_nc_u64_u32 v[10:11], v66, 6, v[116:117]
	v_lshl_add_u32 v27, v30, 1, v12
	v_mad_nc_u64_u32 v[12:13], v68, 6, v[114:115]
	v_mad_nc_u64_u32 v[48:49], v80, 6, v[112:113]
	;; [unrolled: 1-line block ×3, first 2 shown]
	s_barrier_signal -1
	s_barrier_wait -1
	ds_store_b16 v118, v180
	ds_store_b16 v116, v181
	;; [unrolled: 1-line block ×8, first 2 shown]
	s_wait_dscnt 0x0
	s_barrier_signal -1
	s_barrier_wait -1
	ds_load_u16 v38, v27
	ds_load_u16 v37, v27 offset:512
	ds_load_u16 v36, v27 offset:1024
	;; [unrolled: 1-line block ×7, first 2 shown]
	s_wait_dscnt 0x0
	s_barrier_signal -1
	v_mad_nc_u64_u32 v[52:53], v82, 6, v[100:101]
	s_barrier_wait -1
	ds_store_b64 v0, v[22:23]
	ds_store_b64 v10, v[32:33]
	;; [unrolled: 1-line block ×4, first 2 shown]
	v_mul_u32_u24_e32 v0, 6, v30
	v_mad_nc_u64_u32 v[54:55], v84, 6, v[98:99]
	v_mad_nc_u64_u32 v[64:65], v86, 6, v[96:97]
	ds_store_b64 v50, v[20:21]
	ds_store_b64 v52, v[18:19]
	;; [unrolled: 1-line block ×4, first 2 shown]
	v_dual_mov_b32 v27, 0 :: v_dual_add_nc_u32 v0, v27, v0
	s_wait_dscnt 0x0
	s_barrier_signal -1
	s_barrier_wait -1
	ds_load_2addr_stride64_b64 v[22:25], v0 offset1:4
	ds_load_2addr_stride64_b64 v[18:21], v0 offset0:8 offset1:12
	ds_load_2addr_stride64_b64 v[14:17], v0 offset0:16 offset1:20
	;; [unrolled: 1-line block ×3, first 2 shown]
	v_lshl_add_u64 v[0:1], v[8:9], 1, v[2:3]
	s_set_vgpr_msb 4                        ;  msbs: dst=0 src0=0 src1=1 src2=0
	v_cmp_lt_u32_e32 vcc_lo, v26, v0 /*v256*/
	s_wait_dscnt 0x0
	s_barrier_signal -1
	s_barrier_wait -1
	v_lshl_add_u64 v[0:1], v[26:27], 1, v[0:1]
	s_and_saveexec_b32 s1, vcc_lo
	s_set_vgpr_msb 0                        ;  msbs: dst=0 src0=0 src1=0 src2=0
	s_cbranch_execz .LBB1729_228
; %bb.227:
	v_cmp_gt_i16_e64 s0, 0, v38
	s_delay_alu instid0(VALU_DEP_1) | instskip(NEXT) | instid1(VALU_DEP_1)
	v_cndmask_b32_e64 v2, 0x7fff, 0, s0
	v_xor_b32_e32 v2, v2, v38
	flat_store_b16 v[0:1], v2
.LBB1729_228:
	s_wait_xcnt 0x0
	s_or_b32 exec_lo, exec_lo, s1
	v_add_nc_u32_e32 v2, 0x100, v26
	s_set_vgpr_msb 4                        ;  msbs: dst=0 src0=0 src1=1 src2=0
	s_delay_alu instid0(VALU_DEP_1)
	v_cmp_lt_u32_e64 s0, v2, v0 /*v256*/
	s_and_saveexec_b32 s2, s0
	s_set_vgpr_msb 0                        ;  msbs: dst=0 src0=0 src1=0 src2=0
	s_cbranch_execz .LBB1729_230
; %bb.229:
	v_cmp_gt_i16_e64 s1, 0, v37
	s_delay_alu instid0(VALU_DEP_1) | instskip(NEXT) | instid1(VALU_DEP_1)
	v_cndmask_b32_e64 v2, 0x7fff, 0, s1
	v_xor_b32_e32 v2, v2, v37
	flat_store_b16 v[0:1], v2 offset:512
.LBB1729_230:
	s_wait_xcnt 0x0
	s_or_b32 exec_lo, exec_lo, s2
	v_add_nc_u32_e32 v2, 0x200, v26
	s_set_vgpr_msb 4                        ;  msbs: dst=0 src0=0 src1=1 src2=0
	s_delay_alu instid0(VALU_DEP_1)
	v_cmp_lt_u32_e64 s1, v2, v0 /*v256*/
	s_and_saveexec_b32 s3, s1
	s_set_vgpr_msb 0                        ;  msbs: dst=0 src0=0 src1=0 src2=0
	s_cbranch_execz .LBB1729_232
; %bb.231:
	v_cmp_gt_i16_e64 s2, 0, v36
	s_delay_alu instid0(VALU_DEP_1) | instskip(NEXT) | instid1(VALU_DEP_1)
	v_cndmask_b32_e64 v2, 0x7fff, 0, s2
	v_xor_b32_e32 v2, v2, v36
	flat_store_b16 v[0:1], v2 offset:1024
.LBB1729_232:
	;; [unrolled: 16-line block ×7, first 2 shown]
	s_wait_xcnt 0x0
	s_or_b32 exec_lo, exec_lo, s10
	v_lshl_add_u64 v[0:1], v[8:9], 3, v[6:7]
	s_delay_alu instid0(VALU_DEP_1)
	v_lshl_add_u64 v[0:1], v[26:27], 3, v[0:1]
	s_and_saveexec_b32 s7, vcc_lo
	s_cbranch_execnz .LBB1729_292
; %bb.243:
	s_or_b32 exec_lo, exec_lo, s7
	s_and_saveexec_b32 s7, s0
	s_cbranch_execnz .LBB1729_293
.LBB1729_244:
	s_or_b32 exec_lo, exec_lo, s7
	s_and_saveexec_b32 s0, s1
	s_cbranch_execnz .LBB1729_294
.LBB1729_245:
	s_or_b32 exec_lo, exec_lo, s0
	s_and_saveexec_b32 s0, s2
	s_cbranch_execnz .LBB1729_295
.LBB1729_246:
	s_or_b32 exec_lo, exec_lo, s0
	s_and_saveexec_b32 s0, s3
	s_cbranch_execnz .LBB1729_296
.LBB1729_247:
	s_or_b32 exec_lo, exec_lo, s0
	s_and_saveexec_b32 s0, s4
	s_cbranch_execnz .LBB1729_297
.LBB1729_248:
	s_or_b32 exec_lo, exec_lo, s0
	s_and_saveexec_b32 s0, s5
	s_cbranch_execnz .LBB1729_298
.LBB1729_249:
	s_or_b32 exec_lo, exec_lo, s0
	s_and_saveexec_b32 s0, s6
	s_cbranch_execz .LBB1729_251
.LBB1729_250:
	flat_store_b64 v[0:1], v[12:13] offset:14336
.LBB1729_251:
	s_wait_xcnt 0x0
	s_or_b32 exec_lo, exec_lo, s0
                                        ; implicit-def: $vgpr256
                                        ; implicit-def: $vgpr8
                                        ; implicit-def: $vgpr10
                                        ; implicit-def: $vgpr11
                                        ; implicit-def: $vgpr0_vgpr1
                                        ; implicit-def: $vgpr2_vgpr3
                                        ; implicit-def: $vgpr4_vgpr5
                                        ; implicit-def: $vgpr6_vgpr7
                                        ; implicit-def: $vgpr12_vgpr13
                                        ; implicit-def: $vgpr9
                                        ; implicit-def: $vgpr14
                                        ; implicit-def: $vgpr30
                                        ; implicit-def: $vgpr33
.LBB1729_252:
	s_and_not1_saveexec_b32 s0, s21
	s_cbranch_execz .LBB1729_372
; %bb.253:
	s_mov_b32 s0, exec_lo
	s_set_vgpr_msb 4                        ;  msbs: dst=0 src0=0 src1=1 src2=0
	v_cmpx_lt_u32_e32 0x200, v0 /*v256*/
	s_xor_b32 s24, exec_lo, s0
	s_set_vgpr_msb 0                        ;  msbs: dst=0 src0=0 src1=0 src2=0
	s_cbranch_execz .LBB1729_313
; %bb.254:
	s_load_b64 s[0:1], s[8:9], 0x0
	s_bfe_u32 s3, ttmp6, 0x4000c
	s_bfe_u32 s5, ttmp6, 0x40010
	s_and_b32 s4, ttmp7, 0xffff
	s_add_co_i32 s3, s3, 1
	s_add_co_i32 s5, s5, 1
	s_and_b32 s2, ttmp6, 15
	s_bfe_u32 s6, ttmp6, 0x40004
	s_mul_i32 s3, ttmp9, s3
	s_mul_i32 s5, s4, s5
	s_add_co_i32 s2, s2, s3
	s_add_co_i32 s6, s6, s5
	s_cmp_eq_u32 s23, 0
	s_mov_b32 s3, 0
	s_cselect_b32 s2, ttmp9, s2
	s_cselect_b32 s4, s4, s6
	s_wait_kmcnt 0x0
	s_cmp_lt_u32 s2, s0
	s_cselect_b32 s2, 12, 18
	s_cmp_lt_u32 s4, s1
	s_mov_b32 s1, s3
	s_cselect_b32 s0, 14, 20
	s_delay_alu instid0(SALU_CYCLE_1)
	s_add_nc_u64 s[0:1], s[8:9], s[0:1]
	s_load_u16 s4, s[0:1], 0x0
	s_wait_xcnt 0x0
	s_add_nc_u64 s[0:1], s[8:9], s[2:3]
	s_load_u16 s0, s[0:1], 0x0
	s_wait_kmcnt 0x0
	v_mad_u32_u24 v9, v14, s4, v9
	v_lshlrev_b32_e32 v14, 1, v33
	s_delay_alu instid0(VALU_DEP_2) | instskip(SKIP_1) | instid1(VALU_DEP_1)
	v_mad_u32 v32, v9, s0, v30
	v_mov_b32_e32 v9, 0
	v_lshl_add_u64 v[16:17], v[8:9], 1, v[0:1]
	s_delay_alu instid0(VALU_DEP_3) | instskip(NEXT) | instid1(VALU_DEP_1)
	v_dual_mov_b32 v15, v9 :: v_dual_lshlrev_b32 v18, 2, v32
	v_add_nc_u64_e32 v[14:15], v[16:17], v[14:15]
	v_dual_mov_b32 v16, -1 :: v_dual_mov_b32 v17, -1
	s_delay_alu instid0(VALU_DEP_3) | instskip(NEXT) | instid1(VALU_DEP_1)
	v_and_b32_e32 v0, 0xffffff80, v18
	v_dual_mov_b32 v1, v9 :: v_dual_bitop2_b32 v20, v0, v33 bitop3:0x54
	s_delay_alu instid0(VALU_DEP_1) | instskip(SKIP_1) | instid1(VALU_DEP_2)
	v_lshl_add_u64 v[14:15], v[0:1], 1, v[14:15]
	s_set_vgpr_msb 4                        ;  msbs: dst=0 src0=0 src1=1 src2=0
	v_cmp_lt_u32_e64 s2, v20, v0 /*v256*/
	s_and_saveexec_b32 s0, s2
	s_set_vgpr_msb 0                        ;  msbs: dst=0 src0=0 src1=0 src2=0
	s_cbranch_execz .LBB1729_256
; %bb.255:
	flat_load_u16 v17, v[14:15]
.LBB1729_256:
	s_wait_xcnt 0x0
	s_or_b32 exec_lo, exec_lo, s0
	v_or_b32_e32 v18, 32, v20
	s_set_vgpr_msb 4                        ;  msbs: dst=0 src0=0 src1=1 src2=0
	s_delay_alu instid0(VALU_DEP_1)
	v_cmp_lt_u32_e64 s0, v18, v0 /*v256*/
	s_and_saveexec_b32 s1, s0
	s_set_vgpr_msb 0                        ;  msbs: dst=0 src0=0 src1=0 src2=0
	s_cbranch_execz .LBB1729_258
; %bb.257:
	flat_load_u16 v16, v[14:15] offset:64
.LBB1729_258:
	s_wait_xcnt 0x0
	s_or_b32 exec_lo, exec_lo, s1
	v_dual_mov_b32 v18, -1 :: v_dual_bitop2_b32 v19, 64, v20 bitop3:0x54
	s_set_vgpr_msb 4                        ;  msbs: dst=0 src0=0 src1=1 src2=0
	s_delay_alu instid0(VALU_DEP_1)
	v_cmp_lt_u32_e64 s1, v19, v0 /*v256*/
	v_mov_b32_e32 v19, -1
	s_and_saveexec_b32 s3, s1
	s_set_vgpr_msb 0                        ;  msbs: dst=0 src0=0 src1=0 src2=0
	s_cbranch_execz .LBB1729_260
; %bb.259:
	flat_load_u16 v19, v[14:15] offset:128
.LBB1729_260:
	s_wait_xcnt 0x0
	s_or_b32 exec_lo, exec_lo, s3
	v_or_b32_e32 v20, 0x60, v20
	s_set_vgpr_msb 4                        ;  msbs: dst=0 src0=0 src1=1 src2=0
	s_delay_alu instid0(VALU_DEP_1)
	v_cmp_lt_u32_e32 vcc_lo, v20, v0 /*v256*/
	s_and_saveexec_b32 s3, vcc_lo
	s_set_vgpr_msb 0                        ;  msbs: dst=0 src0=0 src1=0 src2=0
	s_cbranch_execz .LBB1729_262
; %bb.261:
	flat_load_u16 v18, v[14:15] offset:192
.LBB1729_262:
	s_wait_xcnt 0x0
	s_or_b32 exec_lo, exec_lo, s3
	v_lshl_add_u64 v[4:5], v[8:9], 3, v[4:5]
	v_dual_mov_b32 v23, 0 :: v_dual_lshlrev_b32 v22, 3, v33
	s_delay_alu instid0(VALU_DEP_1) | instskip(SKIP_3) | instid1(VALU_DEP_4)
	v_add_nc_u64_e32 v[4:5], v[4:5], v[22:23]
	v_dual_mov_b32 v22, v23 :: v_dual_mov_b32 v24, v23
	v_dual_mov_b32 v25, v23 :: v_dual_mov_b32 v26, v23
	v_dual_mov_b32 v27, v23 :: v_dual_mov_b32 v28, v23
	v_lshl_add_u64 v[0:1], v[0:1], 3, v[4:5]
	v_mov_b32_e32 v29, v23
	s_and_saveexec_b32 s3, s2
	s_cbranch_execnz .LBB1729_337
; %bb.263:
	s_or_b32 exec_lo, exec_lo, s3
	s_and_saveexec_b32 s2, s0
	s_cbranch_execnz .LBB1729_338
.LBB1729_264:
	s_or_b32 exec_lo, exec_lo, s2
	s_and_saveexec_b32 s0, s1
	s_cbranch_execnz .LBB1729_339
.LBB1729_265:
	s_or_b32 exec_lo, exec_lo, s0
	s_and_saveexec_b32 s0, vcc_lo
	s_cbranch_execz .LBB1729_267
.LBB1729_266:
	flat_load_b64 v[28:29], v[0:1] offset:768
.LBB1729_267:
	s_wait_xcnt 0x0
	s_or_b32 exec_lo, exec_lo, s0
	s_wait_loadcnt_dscnt 0x0
	v_cmp_gt_i16_e32 vcc_lo, 0, v17
	v_lshl_add_u32 v5, v30, 5, v12
	s_get_pc_i64 s[0:1]
	s_add_nc_u64 s[0:1], s[0:1], _ZN7rocprim17ROCPRIM_400000_NS16block_radix_sortI6__halfLj256ELj4ElLj1ELj1ELj8ELNS0_26block_radix_rank_algorithmE2ELNS0_18block_padding_hintE2ELNS0_4arch9wavefront6targetE0EE19radix_bits_per_passE@rel64+4
	v_cmp_lt_u32_e64 s7, 31, v30
	s_load_b32 s25, s[0:1], 0x0
	v_cndmask_b32_e64 v0, 0x7fff, 0, vcc_lo
	v_cmp_gt_i16_e32 vcc_lo, 0, v16
	v_dual_add_nc_u32 v66, 44, v5 :: v_dual_add_nc_u32 v67, 48, v5
	v_dual_add_nc_u32 v68, 52, v5 :: v_dual_add_nc_u32 v69, 56, v5
	v_cndmask_b32_e64 v1, 0x7fff, 0, vcc_lo
	v_cmp_gt_i16_e32 vcc_lo, 0, v19
	v_dual_lshrrev_b32 v71, 5, v32 :: v_dual_bitop2_b32 v112, v0, v17 bitop3:0x14
	s_delay_alu instid0(VALU_DEP_3)
	v_dual_add_nc_u32 v31, 32, v5 :: v_dual_bitop2_b32 v35, v1, v16 bitop3:0x14
	v_cndmask_b32_e64 v0, 0x7fff, 0, vcc_lo
	v_cmp_gt_i16_e32 vcc_lo, 0, v18
	v_and_b32_e32 v1, 15, v33
	v_add_nc_u32_e32 v64, 36, v5
	v_cmp_eq_u32_e64 s10, 0, v30
	v_xor_b32_e32 v37, v0, v19
	v_cndmask_b32_e64 v4, 0x7fff, 0, vcc_lo
	v_and_b32_e32 v0, 0x3e0, v30
	v_add_nc_u32_e32 v65, 40, v5
	s_mov_b32 s26, 0
	s_wait_storecnt 0x0
	v_xor_b32_e32 v39, v4, v18
	v_min_u32_e32 v0, 0xe0, v0
	v_add_nc_u32_e32 v70, 60, v5
	v_sub_co_u32 v5, s2, v33, 1
	s_barrier_signal -1
	s_delay_alu instid0(VALU_DEP_3) | instskip(SKIP_1) | instid1(VALU_DEP_2)
	v_or_b32_e32 v0, 31, v0
	s_barrier_wait -1
	v_cmp_gt_i32_e64 s6, 0, v5
	v_and_b32_e32 v4, 16, v33
	s_delay_alu instid0(VALU_DEP_3)
	v_cmp_eq_u32_e64 s5, v30, v0
	v_lshrrev_b32_e32 v0, 3, v30
	v_cmp_eq_u32_e32 vcc_lo, 0, v1
	s_wait_xcnt 0x0
	v_cmp_lt_u32_e64 s0, 1, v1
	v_cmp_lt_u32_e64 s1, 3, v1
	;; [unrolled: 1-line block ×3, first 2 shown]
	v_cndmask_b32_e64 v1, v5, v33, s6
	v_cmp_eq_u32_e64 s4, 0, v4
	v_lshlrev_b32_e32 v4, 2, v30
	v_and_b32_e32 v0, 0x7c, v0
	v_cmp_gt_u32_e64 s6, 8, v30
	v_dual_mov_b32 v1, 0 :: v_dual_lshlrev_b32 v80, 2, v1
	s_delay_alu instid0(VALU_DEP_4) | instskip(SKIP_3) | instid1(VALU_DEP_3)
	v_add_nc_u32_e32 v82, v12, v4
	v_and_or_b32 v5, 0xf80, v4, v33
	v_dual_add_nc_u32 v81, v12, v0 :: v_dual_bitop2_b32 v0, 7, v33 bitop3:0x40
	v_sub_nc_u32_e32 v99, v11, v10
	v_lshl_add_u32 v33, v5, 1, v12
	v_mul_u32_u24_e32 v5, 6, v5
	s_delay_alu instid0(VALU_DEP_4)
	v_cmp_eq_u32_e64 s11, 0, v0
	v_cmp_lt_u32_e64 s12, 1, v0
	v_cmp_lt_u32_e64 s13, 3, v0
	v_add_nc_u32_e32 v84, -4, v81
	v_add_nc_u32_e32 v83, v33, v5
	v_mov_b64_e32 v[4:5], 0
	v_add_nc_u32_e32 v85, 64, v33
	v_add_nc_u32_e32 v86, 0x80, v33
	;; [unrolled: 1-line block ×6, first 2 shown]
	s_branch .LBB1729_269
.LBB1729_268:                           ;   in Loop: Header=BB1729_269 Depth=1
	s_or_b32 exec_lo, exec_lo, s15
	s_delay_alu instid0(SALU_CYCLE_1) | instskip(NEXT) | instid1(SALU_CYCLE_1)
	s_and_b32 s14, exec_lo, s16
	s_or_b32 s26, s14, s26
	s_delay_alu instid0(SALU_CYCLE_1)
	s_and_not1_b32 exec_lo, exec_lo, s26
	s_cbranch_execz .LBB1729_299
.LBB1729_269:                           ; =>This Inner Loop Header: Depth=1
	v_mov_b32_e32 v100, v112
	s_wait_kmcnt 0x0
	v_min_u32_e32 v14, s25, v99
	ds_store_b64 v31, v[4:5]
	ds_store_b64 v65, v[4:5]
	;; [unrolled: 1-line block ×4, first 2 shown]
	s_wait_dscnt 0x0
	v_cmp_ne_u16_e64 s14, 0x8000, v100
	v_lshlrev_b32_e64 v34, v14, -1
	s_barrier_signal -1
	s_barrier_wait -1
	s_delay_alu instid0(VALU_DEP_2) | instskip(SKIP_1) | instid1(VALU_DEP_2)
	v_cndmask_b32_e64 v0, 0x7fff, v100, s14
	; wave barrier
	v_dual_mov_b32 v102, v35 :: v_dual_mov_b32 v101, v37
	v_and_b32_e32 v0, 0xffff, v0
	s_delay_alu instid0(VALU_DEP_1) | instskip(NEXT) | instid1(VALU_DEP_1)
	v_dual_mov_b32 v103, v39 :: v_dual_lshrrev_b32 v0, v10, v0
	v_bitop3_b32 v14, v0, 1, v34 bitop3:0x40
	v_bitop3_b32 v0, v0, v34, v0 bitop3:0x30
	s_delay_alu instid0(VALU_DEP_2) | instskip(NEXT) | instid1(VALU_DEP_1)
	v_add_co_u32 v14, s14, v14, -1
	v_cndmask_b32_e64 v15, 0, 1, s14
	s_delay_alu instid0(VALU_DEP_3) | instskip(SKIP_1) | instid1(VALU_DEP_3)
	v_dual_lshlrev_b32 v16, 30, v0 :: v_dual_lshlrev_b32 v17, 29, v0
	v_dual_lshlrev_b32 v18, 28, v0 :: v_dual_lshlrev_b32 v19, 27, v0
	v_cmp_ne_u32_e64 s14, 0, v15
	s_delay_alu instid0(VALU_DEP_3)
	v_not_b32_e32 v15, v16
	v_dual_lshlrev_b32 v20, 26, v0 :: v_dual_lshlrev_b32 v21, 25, v0
	v_lshlrev_b32_e32 v36, 24, v0
	v_cmp_gt_i32_e64 s15, 0, v16
	v_cmp_gt_i32_e64 s16, 0, v17
	v_not_b32_e32 v16, v17
	v_not_b32_e32 v17, v18
	v_ashrrev_i32_e32 v15, 31, v15
	v_cmp_gt_i32_e64 s17, 0, v18
	v_cmp_gt_i32_e64 s18, 0, v19
	v_not_b32_e32 v18, v19
	v_not_b32_e32 v19, v20
	v_dual_ashrrev_i32 v16, 31, v16 :: v_dual_bitop2_b32 v14, s14, v14 bitop3:0x14
	v_dual_ashrrev_i32 v17, 31, v17 :: v_dual_bitop2_b32 v15, s15, v15 bitop3:0x14
	v_cmp_gt_i32_e64 s19, 0, v20
	v_cmp_gt_i32_e64 s20, 0, v21
	v_not_b32_e32 v20, v21
	v_not_b32_e32 v21, v36
	v_dual_ashrrev_i32 v18, 31, v18 :: v_dual_ashrrev_i32 v19, 31, v19
	v_xor_b32_e32 v16, s16, v16
	v_xor_b32_e32 v17, s17, v17
	v_bitop3_b32 v14, v14, v15, exec_lo bitop3:0x80
	v_cmp_gt_i32_e64 s21, 0, v36
	v_dual_ashrrev_i32 v15, 31, v20 :: v_dual_ashrrev_i32 v20, 31, v21
	v_dual_lshlrev_b32 v0, 3, v0 :: v_dual_bitop2_b32 v18, s18, v18 bitop3:0x14
	v_xor_b32_e32 v19, s19, v19
	v_bitop3_b32 v14, v14, v17, v16 bitop3:0x80
	s_delay_alu instid0(VALU_DEP_4) | instskip(SKIP_2) | instid1(VALU_DEP_4)
	v_xor_b32_e32 v36, s20, v15
	v_xor_b32_e32 v38, s21, v20
	v_add_lshl_u32 v0, v0, v71, 2
	v_bitop3_b32 v48, v14, v19, v18 bitop3:0x80
	v_mov_b64_e32 v[14:15], v[22:23]
	v_mov_b64_e32 v[16:17], v[24:25]
	;; [unrolled: 1-line block ×4, first 2 shown]
	v_bitop3_b32 v24, v48, v38, v36 bitop3:0x80
	v_add_nc_u64_e32 v[22:23], v[12:13], v[0:1]
	s_delay_alu instid0(VALU_DEP_2) | instskip(SKIP_1) | instid1(VALU_DEP_3)
	v_mbcnt_lo_u32_b32 v0, v24, 0
	v_cmp_ne_u32_e64 s15, 0, v24
	v_add_nc_u64_e32 v[22:23], 32, v[22:23]
	s_delay_alu instid0(VALU_DEP_3) | instskip(SKIP_1) | instid1(SALU_CYCLE_1)
	v_cmp_eq_u32_e64 s14, 0, v0
	s_and_b32 s15, s15, s14
	s_and_saveexec_b32 s14, s15
; %bb.270:                              ;   in Loop: Header=BB1729_269 Depth=1
	v_bcnt_u32_b32 v23, v24, 0
	ds_store_b32 v22, v23
; %bb.271:                              ;   in Loop: Header=BB1729_269 Depth=1
	s_or_b32 exec_lo, exec_lo, s14
	v_cmp_ne_u16_e64 s14, 0x8000, v102
	v_not_b32_e32 v29, v34
	; wave barrier
	s_delay_alu instid0(VALU_DEP_2) | instskip(NEXT) | instid1(VALU_DEP_1)
	v_cndmask_b32_e64 v23, 0x7fff, v102, s14
	v_and_b32_e32 v23, 0xffff, v23
	s_delay_alu instid0(VALU_DEP_1) | instskip(NEXT) | instid1(VALU_DEP_1)
	v_lshrrev_b32_e32 v23, v10, v23
	v_and_b32_e32 v24, v23, v29
	s_delay_alu instid0(VALU_DEP_1) | instskip(SKIP_1) | instid1(VALU_DEP_2)
	v_lshlrev_b32_e32 v27, 30, v24
	v_bitop3_b32 v23, v23, 1, v29 bitop3:0x80
	v_cmp_gt_i32_e64 s15, 0, v27
	s_delay_alu instid0(VALU_DEP_2) | instskip(NEXT) | instid1(VALU_DEP_1)
	v_add_co_u32 v23, s14, v23, -1
	v_cndmask_b32_e64 v26, 0, 1, s14
	s_delay_alu instid0(VALU_DEP_1) | instskip(SKIP_1) | instid1(VALU_DEP_1)
	v_cmp_ne_u32_e64 s14, 0, v26
	v_not_b32_e32 v26, v27
	v_dual_ashrrev_i32 v26, 31, v26 :: v_dual_lshlrev_b32 v28, 29, v24
	v_dual_lshlrev_b32 v34, 28, v24 :: v_dual_lshlrev_b32 v35, 27, v24
	v_lshlrev_b32_e32 v36, 26, v24
	v_lshl_add_u32 v25, v24, 3, v71
	s_delay_alu instid0(VALU_DEP_4)
	v_cmp_gt_i32_e64 s16, 0, v28
	v_not_b32_e32 v27, v28
	v_not_b32_e32 v28, v34
	v_dual_lshlrev_b32 v37, 25, v24 :: v_dual_lshlrev_b32 v24, 24, v24
	v_cmp_gt_i32_e64 s17, 0, v34
	v_cmp_gt_i32_e64 s18, 0, v35
	v_not_b32_e32 v34, v35
	v_not_b32_e32 v35, v36
	v_dual_ashrrev_i32 v28, 31, v28 :: v_dual_bitop2_b32 v23, s14, v23 bitop3:0x14
	v_dual_ashrrev_i32 v27, 31, v27 :: v_dual_bitop2_b32 v26, s15, v26 bitop3:0x14
	v_cmp_gt_i32_e64 s19, 0, v36
	v_not_b32_e32 v36, v37
	v_dual_ashrrev_i32 v34, 31, v34 :: v_dual_ashrrev_i32 v35, 31, v35
	s_delay_alu instid0(VALU_DEP_4)
	v_xor_b32_e32 v27, s16, v27
	v_bitop3_b32 v23, v23, v26, exec_lo bitop3:0x80
	v_not_b32_e32 v26, v24
	v_xor_b32_e32 v28, s17, v28
	v_cmp_gt_i32_e64 s20, 0, v37
	v_dual_ashrrev_i32 v36, 31, v36 :: v_dual_bitop2_b32 v35, s19, v35 bitop3:0x14
	v_cmp_gt_i32_e64 s14, 0, v24
	v_ashrrev_i32_e32 v24, 31, v26
	v_bitop3_b32 v23, v23, v28, v27 bitop3:0x80
	v_lshl_add_u32 v25, v25, 2, v12
	v_xor_b32_e32 v34, s18, v34
	v_xor_b32_e32 v26, s20, v36
	;; [unrolled: 1-line block ×3, first 2 shown]
	s_delay_alu instid0(VALU_DEP_3) | instskip(SKIP_3) | instid1(VALU_DEP_1)
	v_bitop3_b32 v27, v23, v35, v34 bitop3:0x80
	ds_load_b32 v23, v25 offset:32
	v_add_nc_u32_e32 v25, 32, v25
	; wave barrier
	v_bitop3_b32 v26, v27, v24, v26 bitop3:0x80
	v_mbcnt_lo_u32_b32 v24, v26, 0
	v_cmp_ne_u32_e64 s15, 0, v26
	s_delay_alu instid0(VALU_DEP_2) | instskip(SKIP_1) | instid1(SALU_CYCLE_1)
	v_cmp_eq_u32_e64 s14, 0, v24
	s_and_b32 s15, s15, s14
	s_and_saveexec_b32 s14, s15
	s_cbranch_execz .LBB1729_273
; %bb.272:                              ;   in Loop: Header=BB1729_269 Depth=1
	s_wait_dscnt 0x0
	v_bcnt_u32_b32 v26, v26, v23
	ds_store_b32 v25, v26
.LBB1729_273:                           ;   in Loop: Header=BB1729_269 Depth=1
	s_or_b32 exec_lo, exec_lo, s14
	v_cmp_ne_u16_e64 s14, 0x8000, v101
	; wave barrier
	s_delay_alu instid0(VALU_DEP_1) | instskip(NEXT) | instid1(VALU_DEP_1)
	v_cndmask_b32_e64 v26, 0x7fff, v101, s14
	v_and_b32_e32 v26, 0xffff, v26
	s_delay_alu instid0(VALU_DEP_1) | instskip(NEXT) | instid1(VALU_DEP_1)
	v_lshrrev_b32_e32 v26, v10, v26
	v_and_b32_e32 v27, v26, v29
	s_delay_alu instid0(VALU_DEP_1) | instskip(SKIP_1) | instid1(VALU_DEP_2)
	v_lshlrev_b32_e32 v35, 30, v27
	v_bitop3_b32 v26, v26, 1, v29 bitop3:0x80
	v_cmp_gt_i32_e64 s15, 0, v35
	s_delay_alu instid0(VALU_DEP_2) | instskip(NEXT) | instid1(VALU_DEP_1)
	v_add_co_u32 v26, s14, v26, -1
	v_cndmask_b32_e64 v34, 0, 1, s14
	s_delay_alu instid0(VALU_DEP_1) | instskip(SKIP_1) | instid1(VALU_DEP_1)
	v_cmp_ne_u32_e64 s14, 0, v34
	v_not_b32_e32 v34, v35
	v_dual_ashrrev_i32 v34, 31, v34 :: v_dual_lshlrev_b32 v36, 29, v27
	v_dual_lshlrev_b32 v37, 28, v27 :: v_dual_lshlrev_b32 v38, 27, v27
	v_dual_lshlrev_b32 v39, 26, v27 :: v_dual_lshlrev_b32 v48, 25, v27
	s_delay_alu instid0(VALU_DEP_3) | instskip(SKIP_1) | instid1(VALU_DEP_4)
	v_cmp_gt_i32_e64 s16, 0, v36
	v_not_b32_e32 v35, v36
	v_not_b32_e32 v36, v37
	v_lshl_add_u32 v28, v27, 3, v71
	v_lshlrev_b32_e32 v27, 24, v27
	v_cmp_gt_i32_e64 s17, 0, v37
	v_cmp_gt_i32_e64 s18, 0, v38
	v_not_b32_e32 v37, v38
	v_cmp_gt_i32_e64 s19, 0, v39
	v_not_b32_e32 v38, v39
	v_not_b32_e32 v39, v48
	v_dual_ashrrev_i32 v35, 31, v35 :: v_dual_bitop2_b32 v26, s14, v26 bitop3:0x14
	v_dual_ashrrev_i32 v36, 31, v36 :: v_dual_ashrrev_i32 v37, 31, v37
	v_xor_b32_e32 v34, s15, v34
	v_not_b32_e32 v49, v27
	s_delay_alu instid0(VALU_DEP_4) | instskip(NEXT) | instid1(VALU_DEP_4)
	v_dual_ashrrev_i32 v38, 31, v38 :: v_dual_bitop2_b32 v35, s16, v35 bitop3:0x14
	v_xor_b32_e32 v36, s17, v36
	s_delay_alu instid0(VALU_DEP_4) | instskip(SKIP_1) | instid1(VALU_DEP_4)
	v_bitop3_b32 v26, v26, v34, exec_lo bitop3:0x80
	v_cmp_gt_i32_e64 s14, 0, v48
	v_dual_ashrrev_i32 v38, 31, v39 :: v_dual_bitop2_b32 v34, s19, v38 bitop3:0x14
	v_cmp_gt_i32_e64 s15, 0, v27
	v_ashrrev_i32_e32 v27, 31, v49
	v_bitop3_b32 v26, v26, v36, v35 bitop3:0x80
	v_lshl_add_u32 v28, v28, 2, v12
	v_xor_b32_e32 v37, s18, v37
	v_xor_b32_e32 v35, s14, v38
	;; [unrolled: 1-line block ×3, first 2 shown]
	s_delay_alu instid0(VALU_DEP_3) | instskip(SKIP_3) | instid1(VALU_DEP_1)
	v_bitop3_b32 v34, v26, v34, v37 bitop3:0x80
	ds_load_b32 v26, v28 offset:32
	v_add_nc_u32_e32 v28, 32, v28
	; wave barrier
	v_bitop3_b32 v34, v34, v27, v35 bitop3:0x80
	v_mbcnt_lo_u32_b32 v27, v34, 0
	v_cmp_ne_u32_e64 s15, 0, v34
	s_delay_alu instid0(VALU_DEP_2) | instskip(SKIP_1) | instid1(SALU_CYCLE_1)
	v_cmp_eq_u32_e64 s14, 0, v27
	s_and_b32 s15, s15, s14
	s_and_saveexec_b32 s14, s15
	s_cbranch_execz .LBB1729_275
; %bb.274:                              ;   in Loop: Header=BB1729_269 Depth=1
	s_wait_dscnt 0x0
	v_bcnt_u32_b32 v34, v34, v26
	ds_store_b32 v28, v34
.LBB1729_275:                           ;   in Loop: Header=BB1729_269 Depth=1
	s_or_b32 exec_lo, exec_lo, s14
	v_cmp_ne_u16_e64 s14, 0x8000, v103
	; wave barrier
	s_delay_alu instid0(VALU_DEP_1) | instskip(NEXT) | instid1(VALU_DEP_1)
	v_cndmask_b32_e64 v34, 0x7fff, v103, s14
	v_and_b32_e32 v34, 0xffff, v34
	s_delay_alu instid0(VALU_DEP_1) | instskip(NEXT) | instid1(VALU_DEP_1)
	v_lshrrev_b32_e32 v34, v10, v34
	v_and_b32_e32 v35, v34, v29
	s_delay_alu instid0(VALU_DEP_1) | instskip(SKIP_1) | instid1(VALU_DEP_2)
	v_lshlrev_b32_e32 v37, 30, v35
	v_bitop3_b32 v29, v34, 1, v29 bitop3:0x80
	v_cmp_gt_i32_e64 s15, 0, v37
	s_delay_alu instid0(VALU_DEP_2) | instskip(NEXT) | instid1(VALU_DEP_1)
	v_add_co_u32 v29, s14, v29, -1
	v_cndmask_b32_e64 v36, 0, 1, s14
	s_delay_alu instid0(VALU_DEP_1) | instskip(SKIP_1) | instid1(VALU_DEP_1)
	v_cmp_ne_u32_e64 s14, 0, v36
	v_not_b32_e32 v36, v37
	v_dual_ashrrev_i32 v36, 31, v36 :: v_dual_lshlrev_b32 v38, 29, v35
	v_dual_lshlrev_b32 v39, 28, v35 :: v_dual_lshlrev_b32 v48, 27, v35
	v_dual_lshlrev_b32 v49, 26, v35 :: v_dual_lshlrev_b32 v50, 25, v35
	s_delay_alu instid0(VALU_DEP_3) | instskip(SKIP_1) | instid1(VALU_DEP_4)
	v_cmp_gt_i32_e64 s16, 0, v38
	v_not_b32_e32 v37, v38
	v_not_b32_e32 v38, v39
	v_lshl_add_u32 v34, v35, 3, v71
	v_lshlrev_b32_e32 v35, 24, v35
	v_cmp_gt_i32_e64 s17, 0, v39
	v_cmp_gt_i32_e64 s18, 0, v48
	v_not_b32_e32 v39, v48
	v_cmp_gt_i32_e64 s19, 0, v49
	v_not_b32_e32 v48, v49
	v_not_b32_e32 v49, v50
	v_dual_ashrrev_i32 v38, 31, v38 :: v_dual_bitop2_b32 v29, s14, v29 bitop3:0x14
	v_dual_ashrrev_i32 v37, 31, v37 :: v_dual_ashrrev_i32 v39, 31, v39
	v_xor_b32_e32 v36, s15, v36
	v_not_b32_e32 v51, v35
	s_delay_alu instid0(VALU_DEP_3) | instskip(SKIP_1) | instid1(VALU_DEP_4)
	v_dual_ashrrev_i32 v48, 31, v48 :: v_dual_bitop2_b32 v37, s16, v37 bitop3:0x14
	v_xor_b32_e32 v38, s17, v38
	v_bitop3_b32 v29, v29, v36, exec_lo bitop3:0x80
	v_cmp_gt_i32_e64 s14, 0, v50
	s_delay_alu instid0(VALU_DEP_4)
	v_dual_ashrrev_i32 v48, 31, v49 :: v_dual_bitop2_b32 v36, s19, v48 bitop3:0x14
	v_cmp_gt_i32_e64 s15, 0, v35
	v_ashrrev_i32_e32 v35, 31, v51
	v_bitop3_b32 v29, v29, v38, v37 bitop3:0x80
	v_lshl_add_u32 v37, v34, 2, v12
	v_xor_b32_e32 v39, s18, v39
	v_xor_b32_e32 v34, s14, v48
	;; [unrolled: 1-line block ×3, first 2 shown]
	s_delay_alu instid0(VALU_DEP_3) | instskip(SKIP_3) | instid1(VALU_DEP_2)
	v_bitop3_b32 v36, v29, v36, v39 bitop3:0x80
	ds_load_b32 v29, v37 offset:32
	; wave barrier
	v_bitop3_b32 v36, v36, v35, v34 bitop3:0x80
	v_add_nc_u32_e32 v35, 32, v37
	v_mbcnt_lo_u32_b32 v34, v36, 0
	v_cmp_ne_u32_e64 s15, 0, v36
	s_delay_alu instid0(VALU_DEP_2) | instskip(SKIP_1) | instid1(SALU_CYCLE_1)
	v_cmp_eq_u32_e64 s14, 0, v34
	s_and_b32 s15, s15, s14
	s_and_saveexec_b32 s14, s15
	s_cbranch_execz .LBB1729_277
; %bb.276:                              ;   in Loop: Header=BB1729_269 Depth=1
	s_wait_dscnt 0x0
	v_bcnt_u32_b32 v36, v36, v29
	ds_store_b32 v35, v36
.LBB1729_277:                           ;   in Loop: Header=BB1729_269 Depth=1
	s_or_b32 exec_lo, exec_lo, s14
	; wave barrier
	s_wait_dscnt 0x0
	s_barrier_signal -1
	s_barrier_wait -1
	ds_load_b32 v37, v31
	ds_load_b32 v38, v64
	;; [unrolled: 1-line block ×8, first 2 shown]
	s_wait_dscnt 0x6
	v_add_nc_u32_e32 v52, v38, v37
	s_wait_dscnt 0x4
	s_delay_alu instid0(VALU_DEP_1) | instskip(SKIP_1) | instid1(VALU_DEP_1)
	v_add3_u32 v52, v52, v39, v48
	s_wait_dscnt 0x2
	v_add3_u32 v52, v52, v49, v50
	s_wait_dscnt 0x0
	s_delay_alu instid0(VALU_DEP_1) | instskip(NEXT) | instid1(VALU_DEP_1)
	v_add3_u32 v51, v52, v36, v51
	v_mov_b32_dpp v52, v51 row_shr:1 row_mask:0xf bank_mask:0xf
	s_delay_alu instid0(VALU_DEP_1) | instskip(NEXT) | instid1(VALU_DEP_1)
	v_cndmask_b32_e64 v52, v52, 0, vcc_lo
	v_add_nc_u32_e32 v51, v52, v51
	s_delay_alu instid0(VALU_DEP_1) | instskip(NEXT) | instid1(VALU_DEP_1)
	v_mov_b32_dpp v52, v51 row_shr:2 row_mask:0xf bank_mask:0xf
	v_cndmask_b32_e64 v52, 0, v52, s0
	s_delay_alu instid0(VALU_DEP_1) | instskip(NEXT) | instid1(VALU_DEP_1)
	v_add_nc_u32_e32 v51, v51, v52
	v_mov_b32_dpp v52, v51 row_shr:4 row_mask:0xf bank_mask:0xf
	s_delay_alu instid0(VALU_DEP_1) | instskip(NEXT) | instid1(VALU_DEP_1)
	v_cndmask_b32_e64 v52, 0, v52, s1
	v_add_nc_u32_e32 v51, v51, v52
	s_delay_alu instid0(VALU_DEP_1) | instskip(NEXT) | instid1(VALU_DEP_1)
	v_mov_b32_dpp v52, v51 row_shr:8 row_mask:0xf bank_mask:0xf
	v_cndmask_b32_e64 v52, 0, v52, s3
	s_delay_alu instid0(VALU_DEP_1) | instskip(SKIP_3) | instid1(VALU_DEP_1)
	v_add_nc_u32_e32 v51, v51, v52
	ds_swizzle_b32 v52, v51 offset:swizzle(BROADCAST,32,15)
	s_wait_dscnt 0x0
	v_cndmask_b32_e64 v52, v52, 0, s4
	v_add_nc_u32_e32 v51, v51, v52
	s_and_saveexec_b32 s14, s5
; %bb.278:                              ;   in Loop: Header=BB1729_269 Depth=1
	ds_store_b32 v81, v51
; %bb.279:                              ;   in Loop: Header=BB1729_269 Depth=1
	s_or_b32 exec_lo, exec_lo, s14
	s_wait_dscnt 0x0
	s_barrier_signal -1
	s_barrier_wait -1
	s_and_saveexec_b32 s14, s6
	s_cbranch_execz .LBB1729_281
; %bb.280:                              ;   in Loop: Header=BB1729_269 Depth=1
	ds_load_b32 v52, v82
	s_wait_dscnt 0x0
	v_mov_b32_dpp v53, v52 row_shr:1 row_mask:0xf bank_mask:0xf
	s_delay_alu instid0(VALU_DEP_1) | instskip(NEXT) | instid1(VALU_DEP_1)
	v_cndmask_b32_e64 v53, v53, 0, s11
	v_add_nc_u32_e32 v52, v53, v52
	s_delay_alu instid0(VALU_DEP_1) | instskip(NEXT) | instid1(VALU_DEP_1)
	v_mov_b32_dpp v53, v52 row_shr:2 row_mask:0xf bank_mask:0xf
	v_cndmask_b32_e64 v53, 0, v53, s12
	s_delay_alu instid0(VALU_DEP_1) | instskip(NEXT) | instid1(VALU_DEP_1)
	v_add_nc_u32_e32 v52, v52, v53
	v_mov_b32_dpp v53, v52 row_shr:4 row_mask:0xf bank_mask:0xf
	s_delay_alu instid0(VALU_DEP_1) | instskip(NEXT) | instid1(VALU_DEP_1)
	v_cndmask_b32_e64 v53, 0, v53, s13
	v_add_nc_u32_e32 v52, v52, v53
	ds_store_b32 v82, v52
.LBB1729_281:                           ;   in Loop: Header=BB1729_269 Depth=1
	s_or_b32 exec_lo, exec_lo, s14
	v_mov_b32_e32 v52, 0
	s_wait_dscnt 0x0
	s_barrier_signal -1
	s_barrier_wait -1
	s_and_saveexec_b32 s14, s7
; %bb.282:                              ;   in Loop: Header=BB1729_269 Depth=1
	ds_load_b32 v52, v84
; %bb.283:                              ;   in Loop: Header=BB1729_269 Depth=1
	s_or_b32 exec_lo, exec_lo, s14
	s_wait_dscnt 0x0
	v_add_nc_u32_e32 v51, v52, v51
	s_mov_b32 s16, -1
	s_mov_b32 s15, exec_lo
                                        ; implicit-def: $vgpr112
	v_add_nc_u32_e32 v10, 8, v10
	ds_bpermute_b32 v51, v80, v51
	s_wait_dscnt 0x0
	v_cndmask_b32_e64 v51, v51, v52, s2
	s_delay_alu instid0(VALU_DEP_1) | instskip(NEXT) | instid1(VALU_DEP_1)
	v_cndmask_b32_e64 v51, v51, 0, s10
	v_add_nc_u32_e32 v37, v51, v37
	s_delay_alu instid0(VALU_DEP_1) | instskip(NEXT) | instid1(VALU_DEP_1)
	v_add_nc_u32_e32 v38, v37, v38
	v_add_nc_u32_e32 v39, v38, v39
	s_delay_alu instid0(VALU_DEP_1) | instskip(NEXT) | instid1(VALU_DEP_1)
	v_add_nc_u32_e32 v48, v39, v48
	v_add_nc_u32_e32 v49, v48, v49
	s_delay_alu instid0(VALU_DEP_1)
	v_add_nc_u32_e32 v50, v49, v50
	ds_store_b32 v31, v51
	ds_store_b32 v64, v37
	;; [unrolled: 1-line block ×3, first 2 shown]
	v_dual_mov_b32 v37, v1 :: v_dual_add_nc_u32 v36, v50, v36
	ds_store_b32 v66, v39
	ds_store_b32 v67, v48
	;; [unrolled: 1-line block ×5, first 2 shown]
	s_wait_dscnt 0x0
	s_barrier_signal -1
	s_barrier_wait -1
	ds_load_b32 v22, v22
	ds_load_b32 v25, v25
	ds_load_b32 v28, v28
	ds_load_b32 v48, v35
	v_dual_mov_b32 v39, v1 :: v_dual_mov_b32 v35, v1
	s_wait_dscnt 0x0
	v_add_nc_u32_e32 v0, v22, v0
	v_add3_u32 v38, v24, v23, v25
	v_add3_u32 v36, v27, v26, v28
	;; [unrolled: 1-line block ×3, first 2 shown]
                                        ; implicit-def: $vgpr22_vgpr23_vgpr24_vgpr25_vgpr26_vgpr27_vgpr28_vgpr29
	s_delay_alu instid0(VALU_DEP_4) | instskip(NEXT) | instid1(VALU_DEP_4)
	v_lshl_add_u64 v[54:55], v[0:1], 1, v[12:13]
	v_lshl_add_u64 v[52:53], v[38:39], 1, v[12:13]
	s_delay_alu instid0(VALU_DEP_4) | instskip(NEXT) | instid1(VALU_DEP_4)
	v_lshl_add_u64 v[50:51], v[36:37], 1, v[12:13]
	v_lshl_add_u64 v[48:49], v[34:35], 1, v[12:13]
                                        ; implicit-def: $vgpr35
                                        ; implicit-def: $vgpr37
                                        ; implicit-def: $vgpr39
	v_cmpx_lt_u32_e64 v10, v11
	s_cbranch_execz .LBB1729_268
; %bb.284:                              ;   in Loop: Header=BB1729_269 Depth=1
	v_mad_nc_u64_u32 v[22:23], v0, 6, v[54:55]
	v_mad_nc_u64_u32 v[24:25], v38, 6, v[52:53]
	;; [unrolled: 1-line block ×4, first 2 shown]
	s_barrier_signal -1
	s_barrier_wait -1
	ds_store_b16 v54, v100
	ds_store_b16 v52, v102
	;; [unrolled: 1-line block ×4, first 2 shown]
	s_wait_dscnt 0x0
	s_barrier_signal -1
	s_barrier_wait -1
	ds_load_u16 v112, v33
	ds_load_u16 v35, v85
	ds_load_u16 v37, v86
	ds_load_u16 v39, v87
	s_wait_dscnt 0x0
	s_barrier_signal -1
	s_barrier_wait -1
	ds_store_b64 v22, v[14:15]
	ds_store_b64 v24, v[16:17]
	;; [unrolled: 1-line block ×4, first 2 shown]
	s_wait_dscnt 0x0
	s_barrier_signal -1
	s_barrier_wait -1
	ds_load_b64 v[22:23], v83
	ds_load_b64 v[24:25], v96
	;; [unrolled: 1-line block ×4, first 2 shown]
	v_add_nc_u32_e32 v99, -8, v99
	s_xor_b32 s16, exec_lo, -1
	s_wait_dscnt 0x0
	s_barrier_signal -1
	s_barrier_wait -1
	s_branch .LBB1729_268
.LBB1729_285:
	flat_load_b64 v[34:35], v[0:1]
	s_wait_xcnt 0x0
	s_or_b32 exec_lo, exec_lo, s7
                                        ; implicit-def: $vgpr36_vgpr37
	s_and_saveexec_b32 s7, s0
	s_cbranch_execz .LBB1729_163
.LBB1729_286:
	flat_load_b64 v[36:37], v[0:1] offset:256
	s_wait_xcnt 0x0
	s_or_b32 exec_lo, exec_lo, s7
                                        ; implicit-def: $vgpr38_vgpr39
	s_and_saveexec_b32 s0, s1
	s_cbranch_execz .LBB1729_164
.LBB1729_287:
	flat_load_b64 v[38:39], v[0:1] offset:512
	s_wait_xcnt 0x0
	s_or_b32 exec_lo, exec_lo, s0
                                        ; implicit-def: $vgpr48_vgpr49
	s_and_saveexec_b32 s0, s2
	s_cbranch_execz .LBB1729_165
.LBB1729_288:
	flat_load_b64 v[48:49], v[0:1] offset:768
	s_wait_xcnt 0x0
	s_or_b32 exec_lo, exec_lo, s0
                                        ; implicit-def: $vgpr50_vgpr51
	s_and_saveexec_b32 s0, s3
	s_cbranch_execz .LBB1729_166
.LBB1729_289:
	flat_load_b64 v[50:51], v[0:1] offset:1024
	s_wait_xcnt 0x0
	s_or_b32 exec_lo, exec_lo, s0
                                        ; implicit-def: $vgpr52_vgpr53
	s_and_saveexec_b32 s0, s4
	s_cbranch_execz .LBB1729_167
.LBB1729_290:
	flat_load_b64 v[52:53], v[0:1] offset:1280
	s_wait_xcnt 0x0
	s_or_b32 exec_lo, exec_lo, s0
                                        ; implicit-def: $vgpr54_vgpr55
	s_and_saveexec_b32 s0, s5
	s_cbranch_execz .LBB1729_168
.LBB1729_291:
	flat_load_b64 v[54:55], v[0:1] offset:1536
	s_wait_xcnt 0x0
	s_or_b32 exec_lo, exec_lo, s0
                                        ; implicit-def: $vgpr64_vgpr65
	s_and_saveexec_b32 s0, s6
	s_cbranch_execnz .LBB1729_169
	s_branch .LBB1729_170
.LBB1729_292:
	flat_store_b64 v[0:1], v[22:23]
	s_wait_xcnt 0x0
	s_or_b32 exec_lo, exec_lo, s7
	s_and_saveexec_b32 s7, s0
	s_cbranch_execz .LBB1729_244
.LBB1729_293:
	flat_store_b64 v[0:1], v[24:25] offset:2048
	s_wait_xcnt 0x0
	s_or_b32 exec_lo, exec_lo, s7
	s_and_saveexec_b32 s0, s1
	s_cbranch_execz .LBB1729_245
.LBB1729_294:
	flat_store_b64 v[0:1], v[18:19] offset:4096
	s_wait_xcnt 0x0
	s_or_b32 exec_lo, exec_lo, s0
	s_and_saveexec_b32 s0, s2
	s_cbranch_execz .LBB1729_246
.LBB1729_295:
	flat_store_b64 v[0:1], v[20:21] offset:6144
	s_wait_xcnt 0x0
	s_or_b32 exec_lo, exec_lo, s0
	s_and_saveexec_b32 s0, s3
	s_cbranch_execz .LBB1729_247
.LBB1729_296:
	flat_store_b64 v[0:1], v[14:15] offset:8192
	s_wait_xcnt 0x0
	s_or_b32 exec_lo, exec_lo, s0
	s_and_saveexec_b32 s0, s4
	s_cbranch_execz .LBB1729_248
.LBB1729_297:
	flat_store_b64 v[0:1], v[16:17] offset:10240
	s_wait_xcnt 0x0
	s_or_b32 exec_lo, exec_lo, s0
	s_and_saveexec_b32 s0, s5
	s_cbranch_execz .LBB1729_249
.LBB1729_298:
	flat_store_b64 v[0:1], v[10:11] offset:12288
	s_wait_xcnt 0x0
	s_or_b32 exec_lo, exec_lo, s0
	s_and_saveexec_b32 s0, s6
	s_cbranch_execnz .LBB1729_250
	s_branch .LBB1729_251
.LBB1729_299:
	s_or_b32 exec_lo, exec_lo, s26
	v_mad_nc_u64_u32 v[0:1], v0, 6, v[54:55]
	v_mad_nc_u64_u32 v[10:11], v38, 6, v[52:53]
	v_lshl_add_u32 v26, v30, 1, v12
	v_mad_nc_u64_u32 v[12:13], v36, 6, v[50:51]
	v_mad_nc_u64_u32 v[24:25], v34, 6, v[48:49]
	v_mul_u32_u24_e32 v1, 6, v30
	s_barrier_signal -1
	s_barrier_wait -1
	ds_store_b16 v54, v100
	ds_store_b16 v52, v102
	ds_store_b16 v50, v101
	ds_store_b16 v48, v103
	s_wait_dscnt 0x0
	s_barrier_signal -1
	s_barrier_wait -1
	ds_load_u16 v23, v26
	ds_load_u16 v22, v26 offset:512
	ds_load_u16 v5, v26 offset:1024
	;; [unrolled: 1-line block ×3, first 2 shown]
	s_wait_dscnt 0x0
	s_barrier_signal -1
	s_barrier_wait -1
	ds_store_b64 v0, v[14:15]
	ds_store_b64 v10, v[16:17]
	ds_store_b64 v12, v[18:19]
	ds_store_b64 v24, v[20:21]
	v_dual_mov_b32 v33, 0 :: v_dual_add_nc_u32 v0, v26, v1
	s_wait_dscnt 0x0
	s_barrier_signal -1
	s_barrier_wait -1
	ds_load_2addr_stride64_b64 v[14:17], v0 offset1:4
	ds_load_2addr_stride64_b64 v[10:13], v0 offset0:8 offset1:12
	v_lshl_add_u64 v[0:1], v[8:9], 1, v[2:3]
	s_set_vgpr_msb 4                        ;  msbs: dst=0 src0=0 src1=1 src2=0
	v_cmp_lt_u32_e32 vcc_lo, v32, v0 /*v256*/
	s_wait_dscnt 0x0
	s_barrier_signal -1
	s_barrier_wait -1
	v_lshl_add_u64 v[0:1], v[32:33], 1, v[0:1]
	s_and_saveexec_b32 s1, vcc_lo
	s_set_vgpr_msb 0                        ;  msbs: dst=0 src0=0 src1=0 src2=0
	s_cbranch_execz .LBB1729_301
; %bb.300:
	v_cmp_gt_i16_e64 s0, 0, v23
	s_delay_alu instid0(VALU_DEP_1) | instskip(NEXT) | instid1(VALU_DEP_1)
	v_cndmask_b32_e64 v2, 0x7fff, 0, s0
	v_xor_b32_e32 v2, v2, v23
	flat_store_b16 v[0:1], v2
.LBB1729_301:
	s_wait_xcnt 0x0
	s_or_b32 exec_lo, exec_lo, s1
	v_add_nc_u32_e32 v2, 0x100, v32
	s_set_vgpr_msb 4                        ;  msbs: dst=0 src0=0 src1=1 src2=0
	s_delay_alu instid0(VALU_DEP_1)
	v_cmp_lt_u32_e64 s0, v2, v0 /*v256*/
	s_and_saveexec_b32 s2, s0
	s_set_vgpr_msb 0                        ;  msbs: dst=0 src0=0 src1=0 src2=0
	s_cbranch_execz .LBB1729_303
; %bb.302:
	v_cmp_gt_i16_e64 s1, 0, v22
	s_delay_alu instid0(VALU_DEP_1) | instskip(NEXT) | instid1(VALU_DEP_1)
	v_cndmask_b32_e64 v2, 0x7fff, 0, s1
	v_xor_b32_e32 v2, v2, v22
	flat_store_b16 v[0:1], v2 offset:512
.LBB1729_303:
	s_wait_xcnt 0x0
	s_or_b32 exec_lo, exec_lo, s2
	v_add_nc_u32_e32 v2, 0x200, v32
	s_set_vgpr_msb 4                        ;  msbs: dst=0 src0=0 src1=1 src2=0
	s_delay_alu instid0(VALU_DEP_1)
	v_cmp_lt_u32_e64 s1, v2, v0 /*v256*/
	s_and_saveexec_b32 s3, s1
	s_set_vgpr_msb 0                        ;  msbs: dst=0 src0=0 src1=0 src2=0
	s_cbranch_execz .LBB1729_305
; %bb.304:
	v_cmp_gt_i16_e64 s2, 0, v5
	s_delay_alu instid0(VALU_DEP_1) | instskip(NEXT) | instid1(VALU_DEP_1)
	v_cndmask_b32_e64 v2, 0x7fff, 0, s2
	v_xor_b32_e32 v2, v2, v5
	flat_store_b16 v[0:1], v2 offset:1024
.LBB1729_305:
	s_wait_xcnt 0x0
	s_or_b32 exec_lo, exec_lo, s3
	v_add_nc_u32_e32 v2, 0x300, v32
	s_set_vgpr_msb 4                        ;  msbs: dst=0 src0=0 src1=1 src2=0
	s_delay_alu instid0(VALU_DEP_1)
	v_cmp_lt_u32_e64 s2, v2, v0 /*v256*/
	s_and_saveexec_b32 s4, s2
	s_set_vgpr_msb 0                        ;  msbs: dst=0 src0=0 src1=0 src2=0
	s_cbranch_execz .LBB1729_307
; %bb.306:
	v_cmp_gt_i16_e64 s3, 0, v4
	s_delay_alu instid0(VALU_DEP_1) | instskip(NEXT) | instid1(VALU_DEP_1)
	v_cndmask_b32_e64 v2, 0x7fff, 0, s3
	v_xor_b32_e32 v2, v2, v4
	flat_store_b16 v[0:1], v2 offset:1536
.LBB1729_307:
	s_wait_xcnt 0x0
	s_or_b32 exec_lo, exec_lo, s4
	v_lshl_add_u64 v[0:1], v[8:9], 3, v[6:7]
	s_delay_alu instid0(VALU_DEP_1)
	v_lshl_add_u64 v[0:1], v[32:33], 3, v[0:1]
	s_and_saveexec_b32 s3, vcc_lo
	s_cbranch_execnz .LBB1729_340
; %bb.308:
	s_or_b32 exec_lo, exec_lo, s3
	s_and_saveexec_b32 s3, s0
	s_cbranch_execnz .LBB1729_341
.LBB1729_309:
	s_or_b32 exec_lo, exec_lo, s3
	s_and_saveexec_b32 s0, s1
	s_cbranch_execnz .LBB1729_342
.LBB1729_310:
	s_or_b32 exec_lo, exec_lo, s0
	s_and_saveexec_b32 s0, s2
	s_cbranch_execz .LBB1729_312
.LBB1729_311:
	flat_store_b64 v[0:1], v[12:13] offset:6144
.LBB1729_312:
	s_wait_xcnt 0x0
	s_or_b32 exec_lo, exec_lo, s0
                                        ; implicit-def: $vgpr256
                                        ; implicit-def: $vgpr8
                                        ; implicit-def: $vgpr10
                                        ; implicit-def: $vgpr11
                                        ; implicit-def: $vgpr0_vgpr1
                                        ; implicit-def: $vgpr2_vgpr3
                                        ; implicit-def: $vgpr4_vgpr5
                                        ; implicit-def: $vgpr6_vgpr7
                                        ; implicit-def: $vgpr12_vgpr13
                                        ; implicit-def: $vgpr9
                                        ; implicit-def: $vgpr14
                                        ; implicit-def: $vgpr30
                                        ; implicit-def: $vgpr33
.LBB1729_313:
	s_and_not1_saveexec_b32 s0, s24
	s_cbranch_execz .LBB1729_372
; %bb.314:
	s_load_b64 s[0:1], s[8:9], 0x0
	s_bfe_u32 s3, ttmp6, 0x4000c
	s_bfe_u32 s5, ttmp6, 0x40010
	s_and_b32 s4, ttmp7, 0xffff
	s_add_co_i32 s3, s3, 1
	s_add_co_i32 s5, s5, 1
	s_and_b32 s2, ttmp6, 15
	s_bfe_u32 s6, ttmp6, 0x40004
	s_mul_i32 s3, ttmp9, s3
	s_mul_i32 s5, s4, s5
	s_add_co_i32 s2, s2, s3
	s_add_co_i32 s6, s6, s5
	s_cmp_eq_u32 s23, 0
	s_cselect_b32 s2, ttmp9, s2
	s_cselect_b32 s3, s4, s6
	s_wait_kmcnt 0x0
	s_cmp_lt_u32 s2, s0
	s_cselect_b32 s0, 12, 18
	s_cmp_lt_u32 s3, s1
	s_mov_b32 s1, 0
	s_cselect_b32 s2, 14, 20
	s_mov_b32 s3, s1
	s_add_nc_u64 s[0:1], s[8:9], s[0:1]
	s_add_nc_u64 s[2:3], s[8:9], s[2:3]
	s_clause 0x1
	s_load_u16 s0, s[0:1], 0x0
	s_nop 0
	s_load_u16 s2, s[2:3], 0x0
	s_wait_kmcnt 0x0
	v_mad_u32_u24 v9, v14, s2, v9
	s_delay_alu instid0(VALU_DEP_1)
	v_mad_u32 v14, v9, s0, v30
	v_mov_b32_e32 v9, 0
	s_mov_b32 s0, exec_lo
	s_set_vgpr_msb 4                        ;  msbs: dst=0 src0=0 src1=1 src2=0
	v_cmpx_lt_u32_e32 0x100, v0 /*v256*/
	s_xor_b32 s20, exec_lo, s0
	s_set_vgpr_msb 0                        ;  msbs: dst=0 src0=0 src1=0 src2=0
	s_cbranch_execz .LBB1729_352
; %bb.315:
	v_lshl_add_u64 v[16:17], v[8:9], 1, v[0:1]
	s_delay_alu instid0(VALU_DEP_4) | instskip(SKIP_2) | instid1(VALU_DEP_3)
	v_dual_lshlrev_b32 v0, 1, v14 :: v_dual_lshlrev_b32 v18, 1, v33
	v_dual_mov_b32 v19, v9 :: v_dual_mov_b32 v1, v9
	v_mov_b32_e32 v15, -1
	v_and_b32_e32 v0, 0xffffffc0, v0
	s_delay_alu instid0(VALU_DEP_3) | instskip(NEXT) | instid1(VALU_DEP_2)
	v_add_nc_u64_e32 v[16:17], v[16:17], v[18:19]
	v_dual_mov_b32 v18, -1 :: v_dual_bitop2_b32 v19, v33, v0 bitop3:0x54
	s_delay_alu instid0(VALU_DEP_2) | instskip(SKIP_1) | instid1(VALU_DEP_2)
	v_lshl_add_u64 v[16:17], v[0:1], 1, v[16:17]
	s_set_vgpr_msb 4                        ;  msbs: dst=0 src0=0 src1=1 src2=0
	v_cmp_lt_u32_e32 vcc_lo, v19, v0 /*v256*/
	s_and_saveexec_b32 s0, vcc_lo
	s_set_vgpr_msb 0                        ;  msbs: dst=0 src0=0 src1=0 src2=0
	s_cbranch_execz .LBB1729_317
; %bb.316:
	flat_load_u16 v18, v[16:17]
.LBB1729_317:
	s_wait_xcnt 0x0
	s_or_b32 exec_lo, exec_lo, s0
	v_or_b32_e32 v19, 32, v19
	s_set_vgpr_msb 4                        ;  msbs: dst=0 src0=0 src1=1 src2=0
	s_delay_alu instid0(VALU_DEP_1)
	v_cmp_lt_u32_e64 s0, v19, v0 /*v256*/
	s_and_saveexec_b32 s1, s0
	s_set_vgpr_msb 0                        ;  msbs: dst=0 src0=0 src1=0 src2=0
	s_cbranch_execz .LBB1729_319
; %bb.318:
	flat_load_u16 v15, v[16:17] offset:64
.LBB1729_319:
	s_wait_xcnt 0x0
	s_or_b32 exec_lo, exec_lo, s1
	v_lshl_add_u64 v[4:5], v[8:9], 3, v[4:5]
	v_dual_mov_b32 v17, 0 :: v_dual_lshlrev_b32 v16, 3, v33
	v_mov_b64_e32 v[22:23], 0
	v_mov_b64_e32 v[20:21], 0
	s_delay_alu instid0(VALU_DEP_3) | instskip(NEXT) | instid1(VALU_DEP_1)
	v_add_nc_u64_e32 v[4:5], v[4:5], v[16:17]
	v_lshl_add_u64 v[0:1], v[0:1], 3, v[4:5]
	s_and_saveexec_b32 s1, vcc_lo
	s_cbranch_execz .LBB1729_321
; %bb.320:
	flat_load_b64 v[20:21], v[0:1]
.LBB1729_321:
	s_wait_xcnt 0x0
	s_or_b32 exec_lo, exec_lo, s1
	s_and_saveexec_b32 s1, s0
	s_cbranch_execz .LBB1729_323
; %bb.322:
	flat_load_b64 v[22:23], v[0:1] offset:256
.LBB1729_323:
	s_wait_xcnt 0x0
	s_or_b32 exec_lo, exec_lo, s1
	s_wait_loadcnt_dscnt 0x0
	v_cmp_gt_i16_e32 vcc_lo, 0, v18
	v_lshl_add_u32 v4, v30, 5, v12
	s_get_pc_i64 s[0:1]
	s_add_nc_u64 s[0:1], s[0:1], _ZN7rocprim17ROCPRIM_400000_NS16block_radix_sortI6__halfLj256ELj2ElLj1ELj1ELj8ELNS0_26block_radix_rank_algorithmE2ELNS0_18block_padding_hintE2ELNS0_4arch9wavefront6targetE0EE19radix_bits_per_passE@rel64+4
	v_cmp_lt_u32_e64 s7, 31, v30
	s_load_b32 s21, s[0:1], 0x0
	v_cndmask_b32_e64 v0, 0x7fff, 0, vcc_lo
	v_cmp_gt_i16_e32 vcc_lo, 0, v15
	v_dual_add_nc_u32 v32, 40, v4 :: v_dual_add_nc_u32 v34, 44, v4
	v_dual_add_nc_u32 v35, 48, v4 :: v_dual_add_nc_u32 v36, 52, v4
	s_delay_alu instid0(VALU_DEP_4) | instskip(SKIP_4) | instid1(VALU_DEP_4)
	v_xor_b32_e32 v66, v0, v18
	v_and_b32_e32 v0, 0x3e0, v30
	v_cndmask_b32_e64 v1, 0x7fff, 0, vcc_lo
	v_dual_add_nc_u32 v38, 60, v4 :: v_dual_lshrrev_b32 v39, 5, v14
	v_add_nc_u32_e32 v31, 36, v4
	v_min_u32_e32 v0, 0xe0, v0
	s_delay_alu instid0(VALU_DEP_4) | instskip(SKIP_2) | instid1(VALU_DEP_4)
	v_dual_add_nc_u32 v15, 32, v4 :: v_dual_bitop2_b32 v25, v1, v15 bitop3:0x14
	v_dual_add_nc_u32 v37, 56, v4 :: v_dual_bitop2_b32 v1, 15, v33 bitop3:0x40
	v_and_b32_e32 v4, 16, v33
	v_or_b32_e32 v0, 31, v0
	v_cmp_eq_u32_e64 s8, 0, v30
	s_delay_alu instid0(VALU_DEP_4)
	v_cmp_eq_u32_e32 vcc_lo, 0, v1
	s_wait_xcnt 0x0
	v_cmp_lt_u32_e64 s0, 1, v1
	v_cmp_lt_u32_e64 s1, 3, v1
	;; [unrolled: 1-line block ×3, first 2 shown]
	v_sub_co_u32 v1, s3, v33, 1
	v_cmp_eq_u32_e64 s5, v30, v0
	v_lshrrev_b32_e32 v0, 3, v30
	v_cmp_eq_u32_e64 s4, 0, v4
	v_lshlrev_b32_e32 v4, 1, v30
	v_cmp_gt_i32_e64 s6, 0, v1
	v_lshl_add_u32 v50, v30, 2, v12
	v_and_b32_e32 v0, 0x7c, v0
	s_mov_b32 s23, 0
	v_and_or_b32 v4, 0x7c0, v4, v33
	v_cndmask_b32_e64 v1, v1, v33, s6
	v_cmp_gt_u32_e64 s6, 8, v30
	v_dual_add_nc_u32 v49, v12, v0 :: v_dual_bitop2_b32 v0, 7, v33 bitop3:0x40
	s_delay_alu instid0(VALU_DEP_4) | instskip(SKIP_2) | instid1(VALU_DEP_4)
	v_lshl_add_u32 v33, v4, 1, v12
	v_mul_u32_u24_e32 v4, 6, v4
	v_dual_mov_b32 v1, 0 :: v_dual_lshlrev_b32 v48, 2, v1
	v_dual_add_nc_u32 v52, -4, v49 :: v_dual_sub_nc_u32 v55, v11, v10
	s_delay_alu instid0(VALU_DEP_3)
	v_add_nc_u32_e32 v51, v33, v4
	v_mov_b64_e32 v[4:5], 0
	v_cmp_eq_u32_e64 s9, 0, v0
	v_cmp_lt_u32_e64 s10, 1, v0
	v_cmp_lt_u32_e64 s11, 3, v0
	v_add_nc_u32_e32 v53, 64, v33
	v_add_nc_u32_e32 v54, 0x100, v51
	s_wait_storecnt 0x0
	s_barrier_signal -1
	s_barrier_wait -1
	s_branch .LBB1729_325
.LBB1729_324:                           ;   in Loop: Header=BB1729_325 Depth=1
	s_or_b32 exec_lo, exec_lo, s13
	s_delay_alu instid0(SALU_CYCLE_1) | instskip(NEXT) | instid1(SALU_CYCLE_1)
	s_and_b32 s12, exec_lo, s14
	s_or_b32 s23, s12, s23
	s_delay_alu instid0(SALU_CYCLE_1)
	s_and_not1_b32 exec_lo, exec_lo, s23
	s_cbranch_execz .LBB1729_343
.LBB1729_325:                           ; =>This Inner Loop Header: Depth=1
	v_mov_b32_e32 v64, v66
	s_wait_kmcnt 0x0
	v_min_u32_e32 v16, s21, v55
	ds_store_b64 v15, v[4:5]
	ds_store_b64 v32, v[4:5]
	;; [unrolled: 1-line block ×4, first 2 shown]
	s_wait_dscnt 0x0
	v_cmp_ne_u16_e64 s12, 0x8000, v64
	v_lshlrev_b32_e64 v24, v16, -1
	s_barrier_signal -1
	s_barrier_wait -1
	s_delay_alu instid0(VALU_DEP_2) | instskip(NEXT) | instid1(VALU_DEP_1)
	v_cndmask_b32_e64 v0, 0x7fff, v64, s12
	; wave barrier
	v_and_b32_e32 v0, 0xffff, v0
	s_delay_alu instid0(VALU_DEP_1) | instskip(NEXT) | instid1(VALU_DEP_1)
	v_lshrrev_b32_e32 v0, v10, v0
	v_bitop3_b32 v16, v0, 1, v24 bitop3:0x40
	v_bitop3_b32 v0, v0, v24, v0 bitop3:0x30
	s_delay_alu instid0(VALU_DEP_2) | instskip(NEXT) | instid1(VALU_DEP_1)
	v_add_co_u32 v16, s12, v16, -1
	v_cndmask_b32_e64 v17, 0, 1, s12
	s_delay_alu instid0(VALU_DEP_3) | instskip(SKIP_2) | instid1(VALU_DEP_4)
	v_dual_lshlrev_b32 v18, 30, v0 :: v_dual_lshlrev_b32 v19, 29, v0
	v_dual_lshlrev_b32 v26, 28, v0 :: v_dual_lshlrev_b32 v27, 27, v0
	v_lshlrev_b32_e32 v28, 26, v0
	v_cmp_ne_u32_e64 s12, 0, v17
	s_delay_alu instid0(VALU_DEP_4)
	v_not_b32_e32 v17, v18
	v_cmp_gt_i32_e64 s13, 0, v18
	v_cmp_gt_i32_e64 s14, 0, v19
	v_not_b32_e32 v18, v19
	v_not_b32_e32 v19, v26
	v_dual_ashrrev_i32 v17, 31, v17 :: v_dual_lshlrev_b32 v29, 25, v0
	v_lshlrev_b32_e32 v65, 24, v0
	v_cmp_gt_i32_e64 s15, 0, v26
	v_cmp_gt_i32_e64 s16, 0, v27
	v_not_b32_e32 v26, v27
	v_not_b32_e32 v27, v28
	v_dual_ashrrev_i32 v18, 31, v18 :: v_dual_bitop2_b32 v16, s12, v16 bitop3:0x14
	v_dual_ashrrev_i32 v19, 31, v19 :: v_dual_bitop2_b32 v17, s13, v17 bitop3:0x14
	v_cmp_gt_i32_e64 s17, 0, v28
	v_cmp_gt_i32_e64 s18, 0, v29
	v_not_b32_e32 v28, v29
	v_not_b32_e32 v29, v65
	v_dual_ashrrev_i32 v26, 31, v26 :: v_dual_ashrrev_i32 v27, 31, v27
	v_xor_b32_e32 v18, s14, v18
	v_xor_b32_e32 v19, s15, v19
	v_bitop3_b32 v16, v16, v17, exec_lo bitop3:0x80
	v_cmp_gt_i32_e64 s19, 0, v65
	v_dual_ashrrev_i32 v17, 31, v28 :: v_dual_ashrrev_i32 v28, 31, v29
	v_dual_lshlrev_b32 v0, 3, v0 :: v_dual_bitop2_b32 v26, s16, v26 bitop3:0x14
	v_dual_mov_b32 v65, v25 :: v_dual_bitop2_b32 v27, s17, v27 bitop3:0x14
	v_bitop3_b32 v16, v16, v19, v18 bitop3:0x80
	s_delay_alu instid0(VALU_DEP_4)
	v_xor_b32_e32 v29, s18, v17
	v_xor_b32_e32 v28, s19, v28
	v_add_lshl_u32 v0, v0, v39, 2
	v_mov_b64_e32 v[18:19], v[20:21]
	v_bitop3_b32 v26, v16, v27, v26 bitop3:0x80
	v_mov_b64_e32 v[16:17], v[22:23]
	s_delay_alu instid0(VALU_DEP_4) | instskip(NEXT) | instid1(VALU_DEP_3)
	v_add_nc_u64_e32 v[20:21], v[12:13], v[0:1]
	v_bitop3_b32 v22, v26, v28, v29 bitop3:0x80
	s_delay_alu instid0(VALU_DEP_1) | instskip(NEXT) | instid1(VALU_DEP_3)
	v_mbcnt_lo_u32_b32 v0, v22, 0
	v_add_nc_u64_e32 v[20:21], 32, v[20:21]
	v_cmp_ne_u32_e64 s13, 0, v22
	s_delay_alu instid0(VALU_DEP_3) | instskip(SKIP_1) | instid1(SALU_CYCLE_1)
	v_cmp_eq_u32_e64 s12, 0, v0
	s_and_b32 s13, s13, s12
	s_and_saveexec_b32 s12, s13
; %bb.326:                              ;   in Loop: Header=BB1729_325 Depth=1
	v_bcnt_u32_b32 v21, v22, 0
	ds_store_b32 v20, v21
; %bb.327:                              ;   in Loop: Header=BB1729_325 Depth=1
	s_or_b32 exec_lo, exec_lo, s12
	v_cmp_ne_u16_e64 s12, 0x8000, v65
	v_not_b32_e32 v22, v24
	; wave barrier
	s_delay_alu instid0(VALU_DEP_2) | instskip(NEXT) | instid1(VALU_DEP_1)
	v_cndmask_b32_e64 v21, 0x7fff, v65, s12
	v_and_b32_e32 v21, 0xffff, v21
	s_delay_alu instid0(VALU_DEP_1) | instskip(NEXT) | instid1(VALU_DEP_1)
	v_lshrrev_b32_e32 v21, v10, v21
	v_and_b32_e32 v23, v21, v22
	s_delay_alu instid0(VALU_DEP_1) | instskip(SKIP_1) | instid1(VALU_DEP_2)
	v_lshlrev_b32_e32 v25, 30, v23
	v_bitop3_b32 v21, v21, 1, v22 bitop3:0x80
	v_cmp_gt_i32_e64 s13, 0, v25
	s_delay_alu instid0(VALU_DEP_2) | instskip(NEXT) | instid1(VALU_DEP_1)
	v_add_co_u32 v21, s12, v21, -1
	v_cndmask_b32_e64 v24, 0, 1, s12
	s_delay_alu instid0(VALU_DEP_1) | instskip(SKIP_1) | instid1(VALU_DEP_1)
	v_cmp_ne_u32_e64 s12, 0, v24
	v_not_b32_e32 v24, v25
	v_dual_ashrrev_i32 v24, 31, v24 :: v_dual_lshlrev_b32 v26, 29, v23
	v_dual_lshlrev_b32 v27, 28, v23 :: v_dual_lshlrev_b32 v28, 27, v23
	v_lshlrev_b32_e32 v29, 26, v23
	v_lshl_add_u32 v22, v23, 3, v39
	s_delay_alu instid0(VALU_DEP_4)
	v_cmp_gt_i32_e64 s14, 0, v26
	v_not_b32_e32 v25, v26
	v_not_b32_e32 v26, v27
	v_dual_lshlrev_b32 v66, 25, v23 :: v_dual_lshlrev_b32 v23, 24, v23
	v_cmp_gt_i32_e64 s15, 0, v27
	v_cmp_gt_i32_e64 s16, 0, v28
	v_not_b32_e32 v27, v28
	v_not_b32_e32 v28, v29
	v_dual_ashrrev_i32 v26, 31, v26 :: v_dual_bitop2_b32 v21, s12, v21 bitop3:0x14
	v_dual_ashrrev_i32 v25, 31, v25 :: v_dual_bitop2_b32 v24, s13, v24 bitop3:0x14
	v_cmp_gt_i32_e64 s17, 0, v29
	v_not_b32_e32 v29, v66
	v_dual_ashrrev_i32 v27, 31, v27 :: v_dual_ashrrev_i32 v28, 31, v28
	v_xor_b32_e32 v26, s15, v26
	v_bitop3_b32 v21, v21, v24, exec_lo bitop3:0x80
	v_not_b32_e32 v24, v23
	v_xor_b32_e32 v25, s14, v25
	v_cmp_gt_i32_e64 s18, 0, v66
	v_dual_ashrrev_i32 v29, 31, v29 :: v_dual_bitop2_b32 v28, s17, v28 bitop3:0x14
	v_cmp_gt_i32_e64 s12, 0, v23
	v_ashrrev_i32_e32 v23, 31, v24
	v_bitop3_b32 v21, v21, v26, v25 bitop3:0x80
	v_lshl_add_u32 v25, v22, 2, v12
	v_xor_b32_e32 v27, s16, v27
	v_xor_b32_e32 v22, s18, v29
	v_xor_b32_e32 v23, s12, v23
	s_delay_alu instid0(VALU_DEP_3) | instskip(SKIP_3) | instid1(VALU_DEP_2)
	v_bitop3_b32 v24, v21, v28, v27 bitop3:0x80
	ds_load_b32 v21, v25 offset:32
	; wave barrier
	v_bitop3_b32 v24, v24, v23, v22 bitop3:0x80
	v_add_nc_u32_e32 v23, 32, v25
	v_mbcnt_lo_u32_b32 v22, v24, 0
	v_cmp_ne_u32_e64 s13, 0, v24
	s_delay_alu instid0(VALU_DEP_2) | instskip(SKIP_1) | instid1(SALU_CYCLE_1)
	v_cmp_eq_u32_e64 s12, 0, v22
	s_and_b32 s13, s13, s12
	s_and_saveexec_b32 s12, s13
	s_cbranch_execz .LBB1729_329
; %bb.328:                              ;   in Loop: Header=BB1729_325 Depth=1
	s_wait_dscnt 0x0
	v_bcnt_u32_b32 v24, v24, v21
	ds_store_b32 v23, v24
.LBB1729_329:                           ;   in Loop: Header=BB1729_325 Depth=1
	s_or_b32 exec_lo, exec_lo, s12
	; wave barrier
	s_wait_dscnt 0x0
	s_barrier_signal -1
	s_barrier_wait -1
	ds_load_b32 v25, v15
	ds_load_b32 v26, v31
	;; [unrolled: 1-line block ×8, first 2 shown]
	s_wait_dscnt 0x6
	v_add_nc_u32_e32 v68, v26, v25
	s_wait_dscnt 0x4
	s_delay_alu instid0(VALU_DEP_1) | instskip(SKIP_1) | instid1(VALU_DEP_1)
	v_add3_u32 v68, v68, v27, v28
	s_wait_dscnt 0x2
	v_add3_u32 v68, v68, v29, v66
	s_wait_dscnt 0x0
	s_delay_alu instid0(VALU_DEP_1) | instskip(NEXT) | instid1(VALU_DEP_1)
	v_add3_u32 v67, v68, v24, v67
	v_mov_b32_dpp v68, v67 row_shr:1 row_mask:0xf bank_mask:0xf
	s_delay_alu instid0(VALU_DEP_1) | instskip(NEXT) | instid1(VALU_DEP_1)
	v_cndmask_b32_e64 v68, v68, 0, vcc_lo
	v_add_nc_u32_e32 v67, v68, v67
	s_delay_alu instid0(VALU_DEP_1) | instskip(NEXT) | instid1(VALU_DEP_1)
	v_mov_b32_dpp v68, v67 row_shr:2 row_mask:0xf bank_mask:0xf
	v_cndmask_b32_e64 v68, 0, v68, s0
	s_delay_alu instid0(VALU_DEP_1) | instskip(NEXT) | instid1(VALU_DEP_1)
	v_add_nc_u32_e32 v67, v67, v68
	v_mov_b32_dpp v68, v67 row_shr:4 row_mask:0xf bank_mask:0xf
	s_delay_alu instid0(VALU_DEP_1) | instskip(NEXT) | instid1(VALU_DEP_1)
	v_cndmask_b32_e64 v68, 0, v68, s1
	v_add_nc_u32_e32 v67, v67, v68
	s_delay_alu instid0(VALU_DEP_1) | instskip(NEXT) | instid1(VALU_DEP_1)
	v_mov_b32_dpp v68, v67 row_shr:8 row_mask:0xf bank_mask:0xf
	v_cndmask_b32_e64 v68, 0, v68, s2
	s_delay_alu instid0(VALU_DEP_1) | instskip(SKIP_3) | instid1(VALU_DEP_1)
	v_add_nc_u32_e32 v67, v67, v68
	ds_swizzle_b32 v68, v67 offset:swizzle(BROADCAST,32,15)
	s_wait_dscnt 0x0
	v_cndmask_b32_e64 v68, v68, 0, s4
	v_add_nc_u32_e32 v67, v67, v68
	s_and_saveexec_b32 s12, s5
; %bb.330:                              ;   in Loop: Header=BB1729_325 Depth=1
	ds_store_b32 v49, v67
; %bb.331:                              ;   in Loop: Header=BB1729_325 Depth=1
	s_or_b32 exec_lo, exec_lo, s12
	s_wait_dscnt 0x0
	s_barrier_signal -1
	s_barrier_wait -1
	s_and_saveexec_b32 s12, s6
	s_cbranch_execz .LBB1729_333
; %bb.332:                              ;   in Loop: Header=BB1729_325 Depth=1
	ds_load_b32 v68, v50
	s_wait_dscnt 0x0
	v_mov_b32_dpp v69, v68 row_shr:1 row_mask:0xf bank_mask:0xf
	s_delay_alu instid0(VALU_DEP_1) | instskip(NEXT) | instid1(VALU_DEP_1)
	v_cndmask_b32_e64 v69, v69, 0, s9
	v_add_nc_u32_e32 v68, v69, v68
	s_delay_alu instid0(VALU_DEP_1) | instskip(NEXT) | instid1(VALU_DEP_1)
	v_mov_b32_dpp v69, v68 row_shr:2 row_mask:0xf bank_mask:0xf
	v_cndmask_b32_e64 v69, 0, v69, s10
	s_delay_alu instid0(VALU_DEP_1) | instskip(NEXT) | instid1(VALU_DEP_1)
	v_add_nc_u32_e32 v68, v68, v69
	v_mov_b32_dpp v69, v68 row_shr:4 row_mask:0xf bank_mask:0xf
	s_delay_alu instid0(VALU_DEP_1) | instskip(NEXT) | instid1(VALU_DEP_1)
	v_cndmask_b32_e64 v69, 0, v69, s11
	v_add_nc_u32_e32 v68, v68, v69
	ds_store_b32 v50, v68
.LBB1729_333:                           ;   in Loop: Header=BB1729_325 Depth=1
	s_or_b32 exec_lo, exec_lo, s12
	v_mov_b32_e32 v68, 0
	s_wait_dscnt 0x0
	s_barrier_signal -1
	s_barrier_wait -1
	s_and_saveexec_b32 s12, s7
; %bb.334:                              ;   in Loop: Header=BB1729_325 Depth=1
	ds_load_b32 v68, v52
; %bb.335:                              ;   in Loop: Header=BB1729_325 Depth=1
	s_or_b32 exec_lo, exec_lo, s12
	s_wait_dscnt 0x0
	v_add_nc_u32_e32 v67, v68, v67
	s_mov_b32 s14, -1
	s_mov_b32 s13, exec_lo
	v_add_nc_u32_e32 v10, 8, v10
	ds_bpermute_b32 v67, v48, v67
	s_wait_dscnt 0x0
	v_cndmask_b32_e64 v67, v67, v68, s3
	s_delay_alu instid0(VALU_DEP_1) | instskip(NEXT) | instid1(VALU_DEP_1)
	v_cndmask_b32_e64 v67, v67, 0, s8
	v_add_nc_u32_e32 v25, v67, v25
	s_delay_alu instid0(VALU_DEP_1) | instskip(NEXT) | instid1(VALU_DEP_1)
	v_add_nc_u32_e32 v26, v25, v26
	v_add_nc_u32_e32 v27, v26, v27
	s_delay_alu instid0(VALU_DEP_1) | instskip(NEXT) | instid1(VALU_DEP_1)
	v_add_nc_u32_e32 v28, v27, v28
	v_add_nc_u32_e32 v29, v28, v29
	s_delay_alu instid0(VALU_DEP_1)
	v_add_nc_u32_e32 v66, v29, v66
	ds_store_b32 v15, v67
	ds_store_b32 v31, v25
	;; [unrolled: 1-line block ×3, first 2 shown]
	v_add_nc_u32_e32 v24, v66, v24
	ds_store_b32 v34, v27
	ds_store_b32 v35, v28
	;; [unrolled: 1-line block ×5, first 2 shown]
	s_wait_dscnt 0x0
	s_barrier_signal -1
	s_barrier_wait -1
	ds_load_b32 v20, v20
	ds_load_b32 v23, v23
	v_mov_b32_e32 v25, v1
	s_wait_dscnt 0x0
                                        ; implicit-def: $vgpr66
	v_add_nc_u32_e32 v0, v20, v0
	v_add3_u32 v24, v22, v21, v23
                                        ; implicit-def: $vgpr22_vgpr23
                                        ; implicit-def: $vgpr20_vgpr21
	s_delay_alu instid0(VALU_DEP_2) | instskip(NEXT) | instid1(VALU_DEP_2)
	v_lshl_add_u64 v[28:29], v[0:1], 1, v[12:13]
	v_lshl_add_u64 v[26:27], v[24:25], 1, v[12:13]
                                        ; implicit-def: $vgpr25
	v_cmpx_lt_u32_e64 v10, v11
	s_cbranch_execz .LBB1729_324
; %bb.336:                              ;   in Loop: Header=BB1729_325 Depth=1
	s_delay_alu instid0(VALU_DEP_3) | instskip(NEXT) | instid1(VALU_DEP_3)
	v_mad_nc_u64_u32 v[20:21], v0, 6, v[28:29]
	v_mad_nc_u64_u32 v[22:23], v24, 6, v[26:27]
	s_barrier_signal -1
	s_barrier_wait -1
	ds_store_b16 v28, v64
	ds_store_b16 v26, v65
	s_wait_dscnt 0x0
	s_barrier_signal -1
	s_barrier_wait -1
	ds_load_u16 v66, v33
	ds_load_u16 v25, v53
	s_wait_dscnt 0x0
	s_barrier_signal -1
	s_barrier_wait -1
	ds_store_b64 v20, v[18:19]
	ds_store_b64 v22, v[16:17]
	s_wait_dscnt 0x0
	s_barrier_signal -1
	s_barrier_wait -1
	ds_load_b64 v[20:21], v51
	ds_load_b64 v[22:23], v54
	v_add_nc_u32_e32 v55, -8, v55
	s_xor_b32 s14, exec_lo, -1
	s_wait_dscnt 0x0
	s_barrier_signal -1
	s_barrier_wait -1
	s_branch .LBB1729_324
.LBB1729_337:
	flat_load_b64 v[48:49], v[0:1]
	v_dual_mov_b32 v50, v23 :: v_dual_mov_b32 v51, v23
	v_dual_mov_b32 v52, v23 :: v_dual_mov_b32 v53, v23
	;; [unrolled: 1-line block ×3, first 2 shown]
	s_wait_loadcnt_dscnt 0x0
	v_mov_b64_e32 v[22:23], v[48:49]
	v_mov_b64_e32 v[24:25], v[50:51]
	v_mov_b64_e32 v[26:27], v[52:53]
	v_mov_b64_e32 v[28:29], v[54:55]
	s_wait_xcnt 0x0
	s_or_b32 exec_lo, exec_lo, s3
	s_and_saveexec_b32 s2, s0
	s_cbranch_execz .LBB1729_264
.LBB1729_338:
	flat_load_b64 v[24:25], v[0:1] offset:256
	s_wait_xcnt 0x0
	s_or_b32 exec_lo, exec_lo, s2
	s_and_saveexec_b32 s0, s1
	s_cbranch_execz .LBB1729_265
.LBB1729_339:
	flat_load_b64 v[26:27], v[0:1] offset:512
	s_wait_xcnt 0x0
	s_or_b32 exec_lo, exec_lo, s0
	s_and_saveexec_b32 s0, vcc_lo
	s_cbranch_execnz .LBB1729_266
	s_branch .LBB1729_267
.LBB1729_340:
	flat_store_b64 v[0:1], v[14:15]
	s_wait_xcnt 0x0
	s_or_b32 exec_lo, exec_lo, s3
	s_and_saveexec_b32 s3, s0
	s_cbranch_execz .LBB1729_309
.LBB1729_341:
	flat_store_b64 v[0:1], v[16:17] offset:2048
	s_wait_xcnt 0x0
	s_or_b32 exec_lo, exec_lo, s3
	s_and_saveexec_b32 s0, s1
	s_cbranch_execz .LBB1729_310
.LBB1729_342:
	flat_store_b64 v[0:1], v[10:11] offset:4096
	s_wait_xcnt 0x0
	s_or_b32 exec_lo, exec_lo, s0
	s_and_saveexec_b32 s0, s2
	s_cbranch_execnz .LBB1729_311
	s_branch .LBB1729_312
.LBB1729_343:
	s_or_b32 exec_lo, exec_lo, s23
	v_mad_nc_u64_u32 v[0:1], v0, 6, v[28:29]
	v_mad_nc_u64_u32 v[10:11], v24, 6, v[26:27]
	v_lshl_add_u32 v12, v30, 1, v12
	v_mul_u32_u24_e32 v1, 6, v30
	s_barrier_signal -1
	s_barrier_wait -1
	ds_store_b16 v28, v64
	ds_store_b16 v26, v65
	s_wait_dscnt 0x0
	s_barrier_signal -1
	s_barrier_wait -1
	ds_load_u16 v5, v12
	ds_load_u16 v4, v12 offset:512
	s_wait_dscnt 0x0
	s_barrier_signal -1
	s_barrier_wait -1
	ds_store_b64 v0, v[18:19]
	ds_store_b64 v10, v[16:17]
	v_dual_mov_b32 v15, 0 :: v_dual_add_nc_u32 v0, v12, v1
	s_wait_dscnt 0x0
	s_barrier_signal -1
	s_barrier_wait -1
	ds_load_2addr_stride64_b64 v[10:13], v0 offset1:4
	v_lshl_add_u64 v[0:1], v[8:9], 1, v[2:3]
	s_set_vgpr_msb 4                        ;  msbs: dst=0 src0=0 src1=1 src2=0
	v_cmp_lt_u32_e32 vcc_lo, v14, v0 /*v256*/
	s_wait_dscnt 0x0
	s_barrier_signal -1
	s_barrier_wait -1
	v_lshl_add_u64 v[0:1], v[14:15], 1, v[0:1]
	s_and_saveexec_b32 s1, vcc_lo
	s_set_vgpr_msb 0                        ;  msbs: dst=0 src0=0 src1=0 src2=0
	s_cbranch_execz .LBB1729_345
; %bb.344:
	v_cmp_gt_i16_e64 s0, 0, v5
	s_delay_alu instid0(VALU_DEP_1) | instskip(NEXT) | instid1(VALU_DEP_1)
	v_cndmask_b32_e64 v2, 0x7fff, 0, s0
	v_xor_b32_e32 v2, v2, v5
	flat_store_b16 v[0:1], v2
.LBB1729_345:
	s_wait_xcnt 0x0
	s_or_b32 exec_lo, exec_lo, s1
	v_add_nc_u32_e32 v2, 0x100, v14
	s_set_vgpr_msb 4                        ;  msbs: dst=0 src0=0 src1=1 src2=0
	s_delay_alu instid0(VALU_DEP_1)
	v_cmp_lt_u32_e64 s0, v2, v0 /*v256*/
	s_and_saveexec_b32 s2, s0
	s_set_vgpr_msb 0                        ;  msbs: dst=0 src0=0 src1=0 src2=0
	s_cbranch_execz .LBB1729_347
; %bb.346:
	v_cmp_gt_i16_e64 s1, 0, v4
	s_delay_alu instid0(VALU_DEP_1) | instskip(NEXT) | instid1(VALU_DEP_1)
	v_cndmask_b32_e64 v2, 0x7fff, 0, s1
	v_xor_b32_e32 v2, v2, v4
	flat_store_b16 v[0:1], v2 offset:512
.LBB1729_347:
	s_wait_xcnt 0x0
	s_or_b32 exec_lo, exec_lo, s2
	v_lshl_add_u64 v[0:1], v[8:9], 3, v[6:7]
	s_delay_alu instid0(VALU_DEP_1)
	v_lshl_add_u64 v[0:1], v[14:15], 3, v[0:1]
	s_and_saveexec_b32 s1, vcc_lo
	s_cbranch_execz .LBB1729_349
; %bb.348:
	flat_store_b64 v[0:1], v[10:11]
.LBB1729_349:
	s_wait_xcnt 0x0
	s_or_b32 exec_lo, exec_lo, s1
	s_and_saveexec_b32 s1, s0
	s_cbranch_execz .LBB1729_351
; %bb.350:
	flat_store_b64 v[0:1], v[12:13] offset:2048
.LBB1729_351:
	s_wait_xcnt 0x0
	s_or_b32 exec_lo, exec_lo, s1
                                        ; implicit-def: $vgpr14
                                        ; implicit-def: $vgpr8_vgpr9
                                        ; implicit-def: $vgpr256
                                        ; implicit-def: $vgpr10
                                        ; implicit-def: $vgpr11
                                        ; implicit-def: $vgpr0_vgpr1
                                        ; implicit-def: $vgpr2_vgpr3
                                        ; implicit-def: $vgpr4_vgpr5
                                        ; implicit-def: $vgpr6_vgpr7
                                        ; implicit-def: $vgpr12_vgpr13
                                        ; implicit-def: $vgpr30
                                        ; implicit-def: $vgpr33
.LBB1729_352:
	s_and_not1_saveexec_b32 s0, s20
	s_cbranch_execz .LBB1729_372
; %bb.353:
	s_delay_alu instid0(VALU_DEP_3) | instskip(NEXT) | instid1(VALU_DEP_1)
	v_and_b32_e32 v16, 0xffffffe0, v14
	v_or_b32_e32 v15, v33, v16
	s_set_vgpr_msb 4                        ;  msbs: dst=0 src0=0 src1=1 src2=0
	s_delay_alu instid0(VALU_DEP_1)
	v_cmp_lt_u32_e32 vcc_lo, v15, v0 /*v256*/
	v_mov_b32_e32 v15, -1
	s_and_saveexec_b32 s0, vcc_lo
	s_set_vgpr_msb 0                        ;  msbs: dst=0 src0=0 src1=0 src2=0
	s_cbranch_execz .LBB1729_355
; %bb.354:
	v_lshl_add_u64 v[0:1], v[8:9], 1, v[0:1]
	v_dual_mov_b32 v19, 0 :: v_dual_lshlrev_b32 v18, 1, v33
	s_delay_alu instid0(VALU_DEP_1) | instskip(SKIP_1) | instid1(VALU_DEP_1)
	v_add_nc_u64_e32 v[0:1], v[0:1], v[18:19]
	v_mov_b32_e32 v17, v19
	v_lshl_add_u64 v[0:1], v[16:17], 1, v[0:1]
	flat_load_u16 v15, v[0:1]
.LBB1729_355:
	s_wait_xcnt 0x0
	s_or_b32 exec_lo, exec_lo, s0
                                        ; implicit-def: $vgpr18_vgpr19
	s_and_saveexec_b32 s0, vcc_lo
	s_cbranch_execz .LBB1729_357
; %bb.356:
	v_lshl_add_u64 v[0:1], v[8:9], 3, v[4:5]
	v_dual_mov_b32 v5, 0 :: v_dual_lshlrev_b32 v4, 3, v33
	s_delay_alu instid0(VALU_DEP_1) | instskip(SKIP_1) | instid1(VALU_DEP_1)
	v_add_nc_u64_e32 v[0:1], v[0:1], v[4:5]
	v_mov_b32_e32 v17, v5
	v_lshl_add_u64 v[0:1], v[16:17], 3, v[0:1]
	flat_load_b64 v[18:19], v[0:1]
.LBB1729_357:
	s_wait_xcnt 0x0
	s_or_b32 exec_lo, exec_lo, s0
	s_wait_loadcnt_dscnt 0x0
	v_cmp_gt_i16_e32 vcc_lo, 0, v15
	v_lshl_add_u32 v1, v30, 5, v12
	v_sub_co_u32 v16, s2, v33, 1
	v_and_b32_e32 v5, 16, v33
	v_cndmask_b32_e64 v0, 0x7fff, 0, vcc_lo
	s_delay_alu instid0(VALU_DEP_4) | instskip(SKIP_1) | instid1(VALU_DEP_3)
	v_dual_add_nc_u32 v22, 36, v1 :: v_dual_add_nc_u32 v23, 40, v1
	v_dual_add_nc_u32 v24, 44, v1 :: v_dual_add_nc_u32 v25, 48, v1
	v_dual_add_nc_u32 v15, 32, v1 :: v_dual_bitop2_b32 v39, v0, v15 bitop3:0x14
	v_dual_add_nc_u32 v26, 52, v1 :: v_dual_add_nc_u32 v27, 56, v1
	v_add_nc_u32_e32 v28, 60, v1
	v_and_b32_e32 v1, 0x3e0, v30
	v_dual_lshrrev_b32 v29, 5, v14 :: v_dual_bitop2_b32 v0, 15, v33 bitop3:0x40
	v_cmp_gt_i32_e64 s5, 0, v16
	s_get_pc_i64 s[0:1]
	s_add_nc_u64 s[0:1], s[0:1], _ZN7rocprim17ROCPRIM_400000_NS16block_radix_sortI6__halfLj256ELj1ElLj1ELj1ELj8ELNS0_26block_radix_rank_algorithmE2ELNS0_18block_padding_hintE2ELNS0_4arch9wavefront6targetE0EE19radix_bits_per_passE@rel64+4
	v_min_u32_e32 v4, 0xe0, v1
	s_load_b32 s20, s[0:1], 0x0
	v_cmp_eq_u32_e32 vcc_lo, 0, v0
	s_wait_xcnt 0x0
	v_cmp_lt_u32_e64 s0, 1, v0
	v_cmp_lt_u32_e64 s1, 3, v0
	;; [unrolled: 1-line block ×3, first 2 shown]
	v_dual_lshrrev_b32 v4, 3, v30 :: v_dual_bitop2_b32 v0, 31, v4 bitop3:0x54
	v_cmp_eq_u32_e64 s4, 0, v5
	v_cndmask_b32_e64 v5, v16, v33, s5
	v_cmp_gt_u32_e64 s6, 8, v30
	s_delay_alu instid0(VALU_DEP_4) | instskip(SKIP_4) | instid1(VALU_DEP_4)
	v_cmp_eq_u32_e64 s5, v30, v0
	v_and_b32_e32 v0, 0x7c, v4
	v_and_b32_e32 v4, 7, v33
	v_lshlrev_b32_e32 v31, 2, v5
	v_dual_mov_b32 v1, 0 :: v_dual_bitop2_b32 v5, v33, v1 bitop3:0x54
	v_add_nc_u32_e32 v32, v12, v0
	s_delay_alu instid0(VALU_DEP_4) | instskip(SKIP_1) | instid1(VALU_DEP_4)
	v_cmp_eq_u32_e64 s9, 0, v4
	v_cmp_lt_u32_e64 s10, 1, v4
	v_lshl_add_u32 v34, v5, 1, v12
	v_mul_u32_u24_e32 v0, 6, v5
	v_cmp_lt_u32_e64 s11, 3, v4
	v_mov_b64_e32 v[4:5], 0
	v_cmp_lt_u32_e64 s7, 31, v30
	v_cmp_eq_u32_e64 s8, 0, v30
	v_lshl_add_u32 v33, v30, 2, v12
	v_dual_add_nc_u32 v35, -4, v32 :: v_dual_sub_nc_u32 v37, v11, v10
	v_add_nc_u32_e32 v36, v34, v0
	s_mov_b32 s21, 0
	s_wait_storecnt 0x0
	s_barrier_signal -1
	s_barrier_wait -1
	s_branch .LBB1729_359
.LBB1729_358:                           ;   in Loop: Header=BB1729_359 Depth=1
	s_or_b32 exec_lo, exec_lo, s13
	s_delay_alu instid0(SALU_CYCLE_1) | instskip(NEXT) | instid1(SALU_CYCLE_1)
	s_and_b32 s12, exec_lo, s14
	s_or_b32 s21, s12, s21
	s_delay_alu instid0(SALU_CYCLE_1)
	s_and_not1_b32 exec_lo, exec_lo, s21
	s_cbranch_execz .LBB1729_369
.LBB1729_359:                           ; =>This Inner Loop Header: Depth=1
	v_mov_b32_e32 v38, v39
	s_wait_kmcnt 0x0
	v_min_u32_e32 v16, s20, v37
	ds_store_b64 v15, v[4:5]
	ds_store_b64 v23, v[4:5]
	;; [unrolled: 1-line block ×4, first 2 shown]
	s_wait_dscnt 0x0
	v_cmp_ne_u16_e64 s12, 0x8000, v38
	v_lshlrev_b32_e64 v16, v16, -1
	s_barrier_signal -1
	s_barrier_wait -1
	s_delay_alu instid0(VALU_DEP_2) | instskip(NEXT) | instid1(VALU_DEP_1)
	v_cndmask_b32_e64 v0, 0x7fff, v38, s12
	; wave barrier
	v_and_b32_e32 v0, 0xffff, v0
	s_delay_alu instid0(VALU_DEP_1) | instskip(NEXT) | instid1(VALU_DEP_1)
	v_lshrrev_b32_e32 v0, v10, v0
	v_bitop3_b32 v17, v0, 1, v16 bitop3:0x40
	v_bitop3_b32 v0, v0, v16, v0 bitop3:0x30
	s_delay_alu instid0(VALU_DEP_2) | instskip(NEXT) | instid1(VALU_DEP_1)
	v_add_co_u32 v16, s12, v17, -1
	v_cndmask_b32_e64 v17, 0, 1, s12
	s_delay_alu instid0(VALU_DEP_3) | instskip(SKIP_1) | instid1(VALU_DEP_3)
	v_dual_lshlrev_b32 v20, 30, v0 :: v_dual_lshlrev_b32 v21, 29, v0
	v_dual_lshlrev_b32 v39, 28, v0 :: v_dual_lshlrev_b32 v48, 27, v0
	v_cmp_ne_u32_e64 s12, 0, v17
	s_delay_alu instid0(VALU_DEP_3)
	v_not_b32_e32 v17, v20
	v_dual_lshlrev_b32 v49, 26, v0 :: v_dual_lshlrev_b32 v50, 25, v0
	v_lshlrev_b32_e32 v51, 24, v0
	v_cmp_gt_i32_e64 s13, 0, v20
	v_cmp_gt_i32_e64 s14, 0, v21
	v_not_b32_e32 v20, v21
	v_not_b32_e32 v21, v39
	v_ashrrev_i32_e32 v17, 31, v17
	v_cmp_gt_i32_e64 s15, 0, v39
	v_cmp_gt_i32_e64 s16, 0, v48
	v_not_b32_e32 v39, v48
	v_not_b32_e32 v48, v49
	v_dual_ashrrev_i32 v21, 31, v21 :: v_dual_bitop2_b32 v16, s12, v16 bitop3:0x14
	v_dual_ashrrev_i32 v20, 31, v20 :: v_dual_bitop2_b32 v17, s13, v17 bitop3:0x14
	v_cmp_gt_i32_e64 s17, 0, v49
	v_cmp_gt_i32_e64 s18, 0, v50
	v_not_b32_e32 v49, v50
	v_not_b32_e32 v50, v51
	v_dual_ashrrev_i32 v39, 31, v39 :: v_dual_ashrrev_i32 v48, 31, v48
	v_xor_b32_e32 v20, s14, v20
	v_xor_b32_e32 v21, s15, v21
	v_bitop3_b32 v16, v16, v17, exec_lo bitop3:0x80
	v_cmp_gt_i32_e64 s19, 0, v51
	v_dual_ashrrev_i32 v17, 31, v49 :: v_dual_ashrrev_i32 v49, 31, v50
	v_dual_lshlrev_b32 v0, 3, v0 :: v_dual_bitop2_b32 v39, s16, v39 bitop3:0x14
	v_xor_b32_e32 v48, s17, v48
	v_bitop3_b32 v16, v16, v21, v20 bitop3:0x80
	s_delay_alu instid0(VALU_DEP_4) | instskip(SKIP_2) | instid1(VALU_DEP_4)
	v_xor_b32_e32 v17, s18, v17
	v_xor_b32_e32 v20, s19, v49
	v_add_lshl_u32 v0, v0, v29, 2
	v_bitop3_b32 v16, v16, v48, v39 bitop3:0x80
	s_delay_alu instid0(VALU_DEP_1) | instskip(SKIP_1) | instid1(VALU_DEP_4)
	v_bitop3_b32 v20, v16, v20, v17 bitop3:0x80
	v_mov_b64_e32 v[16:17], v[18:19]
	v_add_nc_u64_e32 v[18:19], v[12:13], v[0:1]
	s_delay_alu instid0(VALU_DEP_3) | instskip(SKIP_1) | instid1(VALU_DEP_3)
	v_mbcnt_lo_u32_b32 v0, v20, 0
	v_cmp_ne_u32_e64 s13, 0, v20
	v_add_nc_u64_e32 v[18:19], 32, v[18:19]
	s_delay_alu instid0(VALU_DEP_3) | instskip(SKIP_1) | instid1(SALU_CYCLE_1)
	v_cmp_eq_u32_e64 s12, 0, v0
	s_and_b32 s13, s13, s12
	s_and_saveexec_b32 s12, s13
; %bb.360:                              ;   in Loop: Header=BB1729_359 Depth=1
	v_bcnt_u32_b32 v19, v20, 0
	ds_store_b32 v18, v19
; %bb.361:                              ;   in Loop: Header=BB1729_359 Depth=1
	s_or_b32 exec_lo, exec_lo, s12
	; wave barrier
	s_wait_dscnt 0x0
	s_barrier_signal -1
	s_barrier_wait -1
	ds_load_b32 v20, v15
	ds_load_b32 v21, v22
	;; [unrolled: 1-line block ×8, first 2 shown]
	s_wait_dscnt 0x6
	v_add_nc_u32_e32 v52, v21, v20
	s_wait_dscnt 0x4
	s_delay_alu instid0(VALU_DEP_1) | instskip(SKIP_1) | instid1(VALU_DEP_1)
	v_add3_u32 v52, v52, v39, v48
	s_wait_dscnt 0x2
	v_add3_u32 v52, v52, v49, v50
	s_wait_dscnt 0x0
	s_delay_alu instid0(VALU_DEP_1) | instskip(NEXT) | instid1(VALU_DEP_1)
	v_add3_u32 v51, v52, v19, v51
	v_mov_b32_dpp v52, v51 row_shr:1 row_mask:0xf bank_mask:0xf
	s_delay_alu instid0(VALU_DEP_1) | instskip(NEXT) | instid1(VALU_DEP_1)
	v_cndmask_b32_e64 v52, v52, 0, vcc_lo
	v_add_nc_u32_e32 v51, v52, v51
	s_delay_alu instid0(VALU_DEP_1) | instskip(NEXT) | instid1(VALU_DEP_1)
	v_mov_b32_dpp v52, v51 row_shr:2 row_mask:0xf bank_mask:0xf
	v_cndmask_b32_e64 v52, 0, v52, s0
	s_delay_alu instid0(VALU_DEP_1) | instskip(NEXT) | instid1(VALU_DEP_1)
	v_add_nc_u32_e32 v51, v51, v52
	v_mov_b32_dpp v52, v51 row_shr:4 row_mask:0xf bank_mask:0xf
	s_delay_alu instid0(VALU_DEP_1) | instskip(NEXT) | instid1(VALU_DEP_1)
	v_cndmask_b32_e64 v52, 0, v52, s1
	v_add_nc_u32_e32 v51, v51, v52
	s_delay_alu instid0(VALU_DEP_1) | instskip(NEXT) | instid1(VALU_DEP_1)
	v_mov_b32_dpp v52, v51 row_shr:8 row_mask:0xf bank_mask:0xf
	v_cndmask_b32_e64 v52, 0, v52, s3
	s_delay_alu instid0(VALU_DEP_1) | instskip(SKIP_3) | instid1(VALU_DEP_1)
	v_add_nc_u32_e32 v51, v51, v52
	ds_swizzle_b32 v52, v51 offset:swizzle(BROADCAST,32,15)
	s_wait_dscnt 0x0
	v_cndmask_b32_e64 v52, v52, 0, s4
	v_add_nc_u32_e32 v51, v51, v52
	s_and_saveexec_b32 s12, s5
; %bb.362:                              ;   in Loop: Header=BB1729_359 Depth=1
	ds_store_b32 v32, v51
; %bb.363:                              ;   in Loop: Header=BB1729_359 Depth=1
	s_or_b32 exec_lo, exec_lo, s12
	s_wait_dscnt 0x0
	s_barrier_signal -1
	s_barrier_wait -1
	s_and_saveexec_b32 s12, s6
	s_cbranch_execz .LBB1729_365
; %bb.364:                              ;   in Loop: Header=BB1729_359 Depth=1
	ds_load_b32 v52, v33
	s_wait_dscnt 0x0
	v_mov_b32_dpp v53, v52 row_shr:1 row_mask:0xf bank_mask:0xf
	s_delay_alu instid0(VALU_DEP_1) | instskip(NEXT) | instid1(VALU_DEP_1)
	v_cndmask_b32_e64 v53, v53, 0, s9
	v_add_nc_u32_e32 v52, v53, v52
	s_delay_alu instid0(VALU_DEP_1) | instskip(NEXT) | instid1(VALU_DEP_1)
	v_mov_b32_dpp v53, v52 row_shr:2 row_mask:0xf bank_mask:0xf
	v_cndmask_b32_e64 v53, 0, v53, s10
	s_delay_alu instid0(VALU_DEP_1) | instskip(NEXT) | instid1(VALU_DEP_1)
	v_add_nc_u32_e32 v52, v52, v53
	v_mov_b32_dpp v53, v52 row_shr:4 row_mask:0xf bank_mask:0xf
	s_delay_alu instid0(VALU_DEP_1) | instskip(NEXT) | instid1(VALU_DEP_1)
	v_cndmask_b32_e64 v53, 0, v53, s11
	v_add_nc_u32_e32 v52, v52, v53
	ds_store_b32 v33, v52
.LBB1729_365:                           ;   in Loop: Header=BB1729_359 Depth=1
	s_or_b32 exec_lo, exec_lo, s12
	v_mov_b32_e32 v52, 0
	s_wait_dscnt 0x0
	s_barrier_signal -1
	s_barrier_wait -1
	s_and_saveexec_b32 s12, s7
; %bb.366:                              ;   in Loop: Header=BB1729_359 Depth=1
	ds_load_b32 v52, v35
; %bb.367:                              ;   in Loop: Header=BB1729_359 Depth=1
	s_or_b32 exec_lo, exec_lo, s12
	s_wait_dscnt 0x0
	v_dual_add_nc_u32 v51, v52, v51 :: v_dual_add_nc_u32 v10, 8, v10
	s_mov_b32 s14, -1
	s_mov_b32 s13, exec_lo
	ds_bpermute_b32 v51, v31, v51
	s_wait_dscnt 0x0
	v_cndmask_b32_e64 v51, v51, v52, s2
	s_delay_alu instid0(VALU_DEP_1) | instskip(NEXT) | instid1(VALU_DEP_1)
	v_cndmask_b32_e64 v51, v51, 0, s8
	v_add_nc_u32_e32 v20, v51, v20
	s_delay_alu instid0(VALU_DEP_1) | instskip(NEXT) | instid1(VALU_DEP_1)
	v_add_nc_u32_e32 v21, v20, v21
	v_add_nc_u32_e32 v39, v21, v39
	ds_store_b32 v15, v51
	ds_store_b32 v22, v20
	;; [unrolled: 1-line block ×3, first 2 shown]
	v_add_nc_u32_e32 v48, v39, v48
	s_delay_alu instid0(VALU_DEP_1) | instskip(NEXT) | instid1(VALU_DEP_1)
	v_add_nc_u32_e32 v49, v48, v49
	v_add_nc_u32_e32 v50, v49, v50
	s_delay_alu instid0(VALU_DEP_1)
	v_add_nc_u32_e32 v19, v50, v19
	ds_store_b32 v24, v39
	ds_store_b32 v25, v48
	;; [unrolled: 1-line block ×5, first 2 shown]
	s_wait_dscnt 0x0
	s_barrier_signal -1
	s_barrier_wait -1
	ds_load_b32 v18, v18
	s_wait_dscnt 0x0
                                        ; implicit-def: $vgpr39
	v_add_nc_u32_e32 v0, v18, v0
                                        ; implicit-def: $vgpr18_vgpr19
	s_delay_alu instid0(VALU_DEP_1)
	v_lshl_add_u64 v[20:21], v[0:1], 1, v[12:13]
	v_cmpx_lt_u32_e64 v10, v11
	s_cbranch_execz .LBB1729_358
; %bb.368:                              ;   in Loop: Header=BB1729_359 Depth=1
	s_delay_alu instid0(VALU_DEP_2)
	v_mad_nc_u64_u32 v[18:19], v0, 6, v[20:21]
	s_barrier_signal -1
	s_barrier_wait -1
	ds_store_b16 v20, v38
	s_wait_dscnt 0x0
	s_barrier_signal -1
	s_barrier_wait -1
	ds_load_u16 v39, v34
	s_wait_dscnt 0x0
	s_barrier_signal -1
	s_barrier_wait -1
	ds_store_b64 v18, v[16:17]
	s_wait_dscnt 0x0
	s_barrier_signal -1
	s_barrier_wait -1
	ds_load_b64 v[18:19], v36
	v_add_nc_u32_e32 v37, -8, v37
	s_xor_b32 s14, exec_lo, -1
	s_wait_dscnt 0x0
	s_barrier_signal -1
	s_barrier_wait -1
	s_branch .LBB1729_358
.LBB1729_369:
	s_or_b32 exec_lo, exec_lo, s21
	v_mad_nc_u64_u32 v[0:1], v0, 6, v[20:21]
	v_lshl_add_u32 v5, v30, 1, v12
	v_mul_u32_u24_e32 v1, 6, v30
	s_barrier_signal -1
	s_barrier_wait -1
	ds_store_b16 v20, v38
	s_wait_dscnt 0x0
	s_barrier_signal -1
	s_barrier_wait -1
	ds_load_u16 v4, v5
	s_wait_dscnt 0x0
	s_barrier_signal -1
	s_barrier_wait -1
	ds_store_b64 v0, v[16:17]
	v_add_nc_u32_e32 v0, v5, v1
	s_wait_dscnt 0x0
	s_barrier_signal -1
	s_barrier_wait -1
	ds_load_b64 v[0:1], v0
	s_mov_b32 s0, exec_lo
	s_wait_dscnt 0x0
	s_barrier_signal -1
	s_barrier_wait -1
	s_set_vgpr_msb 4                        ;  msbs: dst=0 src0=0 src1=1 src2=0
	v_cmpx_lt_u32_e64 v14, v0 /*v256*/
	s_set_vgpr_msb 0                        ;  msbs: dst=0 src0=0 src1=0 src2=0
	s_cbranch_execz .LBB1729_371
; %bb.370:
	v_cmp_gt_i16_e32 vcc_lo, 0, v4
	v_lshl_add_u64 v[2:3], v[8:9], 1, v[2:3]
	v_lshl_add_u64 v[6:7], v[8:9], 3, v[6:7]
	v_cndmask_b32_e64 v5, 0x7fff, 0, vcc_lo
	s_delay_alu instid0(VALU_DEP_1) | instskip(NEXT) | instid1(VALU_DEP_1)
	v_dual_mov_b32 v15, 0 :: v_dual_bitop2_b32 v8, v5, v4 bitop3:0x14
	v_lshl_add_u64 v[2:3], v[14:15], 1, v[2:3]
	s_delay_alu instid0(VALU_DEP_4)
	v_lshl_add_u64 v[4:5], v[14:15], 3, v[6:7]
	flat_store_b16 v[2:3], v8
	flat_store_b64 v[4:5], v[0:1]
.LBB1729_371:
	s_wait_xcnt 0x0
	s_or_b32 exec_lo, exec_lo, s0
.LBB1729_372:
	s_delay_alu instid0(SALU_CYCLE_1)
	s_or_b32 exec_lo, exec_lo, s22
	s_wait_dscnt 0x0
	s_set_pc_i64 s[30:31]
.Lfunc_end1729:
	.size	_ZN7rocprim17ROCPRIM_400000_NS6detail40segmented_radix_sort_single_block_helperI6__halflLj256ELj16ELb1EE4sortIPKS3_PS3_PKlPlEEbT_T0_T1_T2_jjjjRNS4_12storage_typeE, .Lfunc_end1729-_ZN7rocprim17ROCPRIM_400000_NS6detail40segmented_radix_sort_single_block_helperI6__halflLj256ELj16ELb1EE4sortIPKS3_PS3_PKlPlEEbT_T0_T1_T2_jjjjRNS4_12storage_typeE
                                        ; -- End function
	.set .L_ZN7rocprim17ROCPRIM_400000_NS6detail40segmented_radix_sort_single_block_helperI6__halflLj256ELj16ELb1EE4sortIPKS3_PS3_PKlPlEEbT_T0_T1_T2_jjjjRNS4_12storage_typeE.num_vgpr, 304
	.set .L_ZN7rocprim17ROCPRIM_400000_NS6detail40segmented_radix_sort_single_block_helperI6__halflLj256ELj16ELb1EE4sortIPKS3_PS3_PKlPlEEbT_T0_T1_T2_jjjjRNS4_12storage_typeE.num_agpr, 0
	.set .L_ZN7rocprim17ROCPRIM_400000_NS6detail40segmented_radix_sort_single_block_helperI6__halflLj256ELj16ELb1EE4sortIPKS3_PS3_PKlPlEEbT_T0_T1_T2_jjjjRNS4_12storage_typeE.numbered_sgpr, 32
	.set .L_ZN7rocprim17ROCPRIM_400000_NS6detail40segmented_radix_sort_single_block_helperI6__halflLj256ELj16ELb1EE4sortIPKS3_PS3_PKlPlEEbT_T0_T1_T2_jjjjRNS4_12storage_typeE.num_named_barrier, 0
	.set .L_ZN7rocprim17ROCPRIM_400000_NS6detail40segmented_radix_sort_single_block_helperI6__halflLj256ELj16ELb1EE4sortIPKS3_PS3_PKlPlEEbT_T0_T1_T2_jjjjRNS4_12storage_typeE.private_seg_size, 0
	.set .L_ZN7rocprim17ROCPRIM_400000_NS6detail40segmented_radix_sort_single_block_helperI6__halflLj256ELj16ELb1EE4sortIPKS3_PS3_PKlPlEEbT_T0_T1_T2_jjjjRNS4_12storage_typeE.uses_vcc, 1
	.set .L_ZN7rocprim17ROCPRIM_400000_NS6detail40segmented_radix_sort_single_block_helperI6__halflLj256ELj16ELb1EE4sortIPKS3_PS3_PKlPlEEbT_T0_T1_T2_jjjjRNS4_12storage_typeE.uses_flat_scratch, 0
	.set .L_ZN7rocprim17ROCPRIM_400000_NS6detail40segmented_radix_sort_single_block_helperI6__halflLj256ELj16ELb1EE4sortIPKS3_PS3_PKlPlEEbT_T0_T1_T2_jjjjRNS4_12storage_typeE.has_dyn_sized_stack, 0
	.set .L_ZN7rocprim17ROCPRIM_400000_NS6detail40segmented_radix_sort_single_block_helperI6__halflLj256ELj16ELb1EE4sortIPKS3_PS3_PKlPlEEbT_T0_T1_T2_jjjjRNS4_12storage_typeE.has_recursion, 0
	.set .L_ZN7rocprim17ROCPRIM_400000_NS6detail40segmented_radix_sort_single_block_helperI6__halflLj256ELj16ELb1EE4sortIPKS3_PS3_PKlPlEEbT_T0_T1_T2_jjjjRNS4_12storage_typeE.has_indirect_call, 0
	.section	.AMDGPU.csdata,"",@progbits
; Function info:
; codeLenInByte = 32672
; TotalNumSgprs: 34
; NumVgprs: 304
; ScratchSize: 0
; MemoryBound: 1
	.section	.text._ZN7rocprim17ROCPRIM_400000_NS6detail17trampoline_kernelINS0_14default_configENS1_36segmented_radix_sort_config_selectorI6__halflEEZNS1_25segmented_radix_sort_implIS3_Lb1EPKS5_PS5_PKlPlN2at6native12_GLOBAL__N_18offset_tEEE10hipError_tPvRmT1_PNSt15iterator_traitsISL_E10value_typeET2_T3_PNSM_ISR_E10value_typeET4_jRbjT5_SX_jjP12ihipStream_tbEUlT_E_NS1_11comp_targetILNS1_3genE0ELNS1_11target_archE4294967295ELNS1_3gpuE0ELNS1_3repE0EEENS1_30default_config_static_selectorELNS0_4arch9wavefront6targetE0EEEvSL_,"axG",@progbits,_ZN7rocprim17ROCPRIM_400000_NS6detail17trampoline_kernelINS0_14default_configENS1_36segmented_radix_sort_config_selectorI6__halflEEZNS1_25segmented_radix_sort_implIS3_Lb1EPKS5_PS5_PKlPlN2at6native12_GLOBAL__N_18offset_tEEE10hipError_tPvRmT1_PNSt15iterator_traitsISL_E10value_typeET2_T3_PNSM_ISR_E10value_typeET4_jRbjT5_SX_jjP12ihipStream_tbEUlT_E_NS1_11comp_targetILNS1_3genE0ELNS1_11target_archE4294967295ELNS1_3gpuE0ELNS1_3repE0EEENS1_30default_config_static_selectorELNS0_4arch9wavefront6targetE0EEEvSL_,comdat
	.globl	_ZN7rocprim17ROCPRIM_400000_NS6detail17trampoline_kernelINS0_14default_configENS1_36segmented_radix_sort_config_selectorI6__halflEEZNS1_25segmented_radix_sort_implIS3_Lb1EPKS5_PS5_PKlPlN2at6native12_GLOBAL__N_18offset_tEEE10hipError_tPvRmT1_PNSt15iterator_traitsISL_E10value_typeET2_T3_PNSM_ISR_E10value_typeET4_jRbjT5_SX_jjP12ihipStream_tbEUlT_E_NS1_11comp_targetILNS1_3genE0ELNS1_11target_archE4294967295ELNS1_3gpuE0ELNS1_3repE0EEENS1_30default_config_static_selectorELNS0_4arch9wavefront6targetE0EEEvSL_ ; -- Begin function _ZN7rocprim17ROCPRIM_400000_NS6detail17trampoline_kernelINS0_14default_configENS1_36segmented_radix_sort_config_selectorI6__halflEEZNS1_25segmented_radix_sort_implIS3_Lb1EPKS5_PS5_PKlPlN2at6native12_GLOBAL__N_18offset_tEEE10hipError_tPvRmT1_PNSt15iterator_traitsISL_E10value_typeET2_T3_PNSM_ISR_E10value_typeET4_jRbjT5_SX_jjP12ihipStream_tbEUlT_E_NS1_11comp_targetILNS1_3genE0ELNS1_11target_archE4294967295ELNS1_3gpuE0ELNS1_3repE0EEENS1_30default_config_static_selectorELNS0_4arch9wavefront6targetE0EEEvSL_
	.p2align	8
	.type	_ZN7rocprim17ROCPRIM_400000_NS6detail17trampoline_kernelINS0_14default_configENS1_36segmented_radix_sort_config_selectorI6__halflEEZNS1_25segmented_radix_sort_implIS3_Lb1EPKS5_PS5_PKlPlN2at6native12_GLOBAL__N_18offset_tEEE10hipError_tPvRmT1_PNSt15iterator_traitsISL_E10value_typeET2_T3_PNSM_ISR_E10value_typeET4_jRbjT5_SX_jjP12ihipStream_tbEUlT_E_NS1_11comp_targetILNS1_3genE0ELNS1_11target_archE4294967295ELNS1_3gpuE0ELNS1_3repE0EEENS1_30default_config_static_selectorELNS0_4arch9wavefront6targetE0EEEvSL_,@function
_ZN7rocprim17ROCPRIM_400000_NS6detail17trampoline_kernelINS0_14default_configENS1_36segmented_radix_sort_config_selectorI6__halflEEZNS1_25segmented_radix_sort_implIS3_Lb1EPKS5_PS5_PKlPlN2at6native12_GLOBAL__N_18offset_tEEE10hipError_tPvRmT1_PNSt15iterator_traitsISL_E10value_typeET2_T3_PNSM_ISR_E10value_typeET4_jRbjT5_SX_jjP12ihipStream_tbEUlT_E_NS1_11comp_targetILNS1_3genE0ELNS1_11target_archE4294967295ELNS1_3gpuE0ELNS1_3repE0EEENS1_30default_config_static_selectorELNS0_4arch9wavefront6targetE0EEEvSL_: ; @_ZN7rocprim17ROCPRIM_400000_NS6detail17trampoline_kernelINS0_14default_configENS1_36segmented_radix_sort_config_selectorI6__halflEEZNS1_25segmented_radix_sort_implIS3_Lb1EPKS5_PS5_PKlPlN2at6native12_GLOBAL__N_18offset_tEEE10hipError_tPvRmT1_PNSt15iterator_traitsISL_E10value_typeET2_T3_PNSM_ISR_E10value_typeET4_jRbjT5_SX_jjP12ihipStream_tbEUlT_E_NS1_11comp_targetILNS1_3genE0ELNS1_11target_archE4294967295ELNS1_3gpuE0ELNS1_3repE0EEENS1_30default_config_static_selectorELNS0_4arch9wavefront6targetE0EEEvSL_
; %bb.0:
	s_load_b64 s[8:9], s[2:3], 0x38
	s_bfe_u32 s4, ttmp6, 0x4000c
	s_and_b32 s5, ttmp6, 15
	s_add_co_i32 s4, s4, 1
	s_getreg_b32 s27, hwreg(HW_REG_IB_STS2, 6, 4)
	s_mul_i32 s4, ttmp9, s4
	s_mov_b32 s32, 0
	s_add_co_i32 s5, s5, s4
	s_cmp_eq_u32 s27, 0
	s_cselect_b32 s33, ttmp9, s5
	s_load_b128 s[4:7], s[2:3], 0x40
	s_wait_kmcnt 0x0
	s_load_b32 s10, s[8:9], s33 offset:0x0 scale_offset
	s_wait_kmcnt 0x0
	s_add_co_i32 s51, s10, s7
	s_add_co_i32 s54, s10, s5
	s_mul_i32 s51, s51, s6
	s_mul_i32 s54, s54, s4
	s_delay_alu instid0(SALU_CYCLE_1)
	s_cmp_le_u32 s51, s54
	s_cbranch_scc1 .LBB1730_1182
; %bb.1:
	s_clause 0x3
	s_load_b32 s4, s[2:3], 0x30
	s_load_b128 s[44:47], s[2:3], 0x20
	s_load_b96 s[48:50], s[2:3], 0x50
	s_load_b256 s[36:43], s[2:3], 0x0
	s_wait_kmcnt 0x0
	s_bitcmp1_b32 s4, 0
	s_mov_b32 s4, -1
	s_cselect_b32 s55, -1, 0
	s_sub_co_i32 s56, s51, s54
	s_delay_alu instid0(SALU_CYCLE_1)
	s_cmp_lt_u32 s56, 0x1001
	s_cbranch_scc0 .LBB1730_7
; %bb.2:
	v_cndmask_b32_e64 v1, 0, 1, s55
	s_and_b32 s4, s48, 1
	s_get_pc_i64 s[28:29]
	s_add_nc_u64 s[28:29], s[28:29], _ZN7rocprim17ROCPRIM_400000_NS6detail40segmented_radix_sort_single_block_helperI6__halflLj256ELj16ELb1EE4sortIPKS3_PS3_PKlPlEEbT_T0_T1_T2_jjjjRNS4_12storage_typeE@rel64+4
	s_delay_alu instid0(VALU_DEP_1)
	v_cmp_ne_u32_e32 vcc_lo, s4, v1
	s_mov_b32 s4, -1
	s_cbranch_vccnz .LBB1730_4
; %bb.3:
	s_mov_b64 s[4:5], src_shared_base
	v_dual_mov_b32 v31, v0 :: v_dual_mov_b32 v40, v0
	v_dual_mov_b32 v0, s36 :: v_dual_mov_b32 v1, s37
	;; [unrolled: 1-line block ×8, first 2 shown]
	s_add_nc_u64 s[8:9], s[2:3], 0x60
	s_mov_b64 s[6:7], s[0:1]
	s_mov_b64 s[34:35], s[2:3]
	;; [unrolled: 1-line block ×3, first 2 shown]
	s_swap_pc_i64 s[30:31], s[28:29]
	v_mov_b32_e32 v0, v40
	s_mov_b64 s[0:1], s[52:53]
	s_mov_b64 s[2:3], s[34:35]
	s_mov_b32 s4, 0
.LBB1730_4:
	s_delay_alu instid0(SALU_CYCLE_1)
	s_and_not1_b32 vcc_lo, exec_lo, s4
	s_cbranch_vccnz .LBB1730_6
; %bb.5:
	s_mov_b64 s[4:5], src_shared_base
	v_dual_mov_b32 v31, v0 :: v_dual_mov_b32 v40, v0
	v_dual_mov_b32 v0, s36 :: v_dual_mov_b32 v1, s37
	;; [unrolled: 1-line block ×8, first 2 shown]
	s_add_nc_u64 s[8:9], s[2:3], 0x60
	s_mov_b64 s[6:7], s[0:1]
	s_mov_b64 s[34:35], s[2:3]
	s_swap_pc_i64 s[30:31], s[28:29]
	v_mov_b32_e32 v0, v40
	s_mov_b64 s[2:3], s[34:35]
.LBB1730_6:
	s_mov_b32 s4, 0
.LBB1730_7:
	s_delay_alu instid0(SALU_CYCLE_1)
	s_and_not1_b32 vcc_lo, exec_lo, s4
	s_cbranch_vccnz .LBB1730_1182
; %bb.8:
	s_cmp_ge_u32 s49, s50
	s_cbranch_scc1 .LBB1730_1182
; %bb.9:
	v_and_b32_e32 v2, 0x3ff, v0
	v_dual_mov_b32 v5, 0 :: v_dual_bitop2_b32 v1, 3, v0 bitop3:0x40
	v_lshrrev_b32_e32 v8, 3, v0
	v_bfe_u32 v89, v0, 20, 10
	s_delay_alu instid0(VALU_DEP_4) | instskip(NEXT) | instid1(VALU_DEP_4)
	v_dual_lshlrev_b32 v3, 2, v2 :: v_dual_lshlrev_b32 v4, 1, v2
	v_dual_lshlrev_b32 v83, 2, v1 :: v_dual_bitop2_b32 v1, 31, v2 bitop3:0x54
	s_delay_alu instid0(VALU_DEP_4) | instskip(NEXT) | instid1(VALU_DEP_3)
	v_dual_lshlrev_b32 v8, 4, v2 :: v_dual_bitop2_b32 v84, 28, v8 bitop3:0x40
	v_mad_u32_u24 v85, v2, 12, v3
	v_bfe_u32 v90, v0, 10, 10
	v_lshlrev_b32_e32 v0, 5, v2
	v_mbcnt_lo_u32_b32 v95, -1, 0
	v_and_b32_e32 v22, 0xe00, v8
	v_mad_u32_u24 v91, v2, 20, v85
	v_dual_mov_b32 v19, v5 :: v_dual_add_nc_u32 v88, 0x83fc, v84
	s_delay_alu instid0(VALU_DEP_3)
	v_dual_mov_b32 v21, v5 :: v_dual_lshlrev_b32 v18, 3, v22
	v_lshlrev_b32_e32 v20, 1, v22
	s_bfe_u32 s6, ttmp6, 0x40010
	v_sub_nc_u32_e32 v92, v91, v0
	v_dual_lshlrev_b32 v22, 1, v95 :: v_dual_bitop2_b32 v100, v95, v22 bitop3:0x54
	s_add_co_i32 s6, s6, 1
	v_add_nc_u64_e32 v[6:7], s[40:41], v[4:5]
	v_cmp_eq_u32_e64 s1, v2, v1
	s_mul_i32 s6, ttmp7, s6
	s_bfe_u32 s7, ttmp6, 0x40004
	v_add_nc_u64_e32 v[0:1], s[46:47], v[18:19]
	v_add_nc_u64_e32 v[8:9], s[40:41], v[20:21]
	;; [unrolled: 1-line block ×8, first 2 shown]
	v_or_b32_e32 v68, 0x100, v2
	v_or_b32_e32 v69, 0x200, v2
	v_or_b32_e32 v70, 0x300, v2
	v_or_b32_e32 v71, 0x400, v2
	v_or_b32_e32 v72, 0x500, v2
	v_or_b32_e32 v73, 0x600, v2
	v_or_b32_e32 v74, 0x700, v2
	v_or_b32_e32 v75, 0x800, v2
	v_or_b32_e32 v76, 0x900, v2
	v_or_b32_e32 v77, 0xa00, v2
	v_or_b32_e32 v78, 0xb00, v2
	v_or_b32_e32 v79, 0xc00, v2
	v_or_b32_e32 v80, 0xd00, v2
	v_or_b32_e32 v81, 0xe00, v2
	v_or_b32_e32 v82, 0xf00, v2
	v_cmp_gt_u32_e64 s0, 0x100, v2
	v_or_b32_e32 v86, 0x8400, v84
	v_cmp_gt_u32_e64 s4, 8, v2
	v_dual_mov_b32 v96, 1 :: v_dual_add_nc_u32 v87, 0x8400, v3
	v_cmp_lt_u32_e64 s5, 31, v2
	s_add_nc_u64 s[34:35], s[2:3], 0x60
	s_add_co_i32 s7, s7, s6
	v_cmp_eq_u32_e64 s2, 0, v2
	v_cmp_ne_u32_e64 s3, 0xff, v2
	v_dual_sub_nc_u32 v93, v92, v4 :: v_dual_bitop2_b32 v97, 15, v95 bitop3:0x40
	v_mul_u32_u24_e32 v94, 6, v2
	v_bfe_i32 v98, v95, 4, 1
	v_dual_lshlrev_b32 v4, 3, v95 :: v_dual_bitop2_b32 v99, 16, v95 bitop3:0x40
	v_and_b32_e32 v101, 7, v95
	v_sub_co_u32 v102, s6, v95, 1
	v_or_b32_e32 v103, 32, v100
	v_or_b32_e32 v104, 64, v100
	;; [unrolled: 1-line block ×15, first 2 shown]
	v_add_nc_u32_e32 v118, 0x420, v91
	v_add_nc_u32_e32 v119, 0x428, v91
	;; [unrolled: 1-line block ×4, first 2 shown]
	s_cmp_eq_u32 s27, 0
	s_mov_b32 s43, 0
	s_cselect_b32 s31, ttmp7, s7
	s_mov_b32 s48, s49
	s_branch .LBB1730_12
.LBB1730_10:                            ;   in Loop: Header=BB1730_12 Depth=1
	s_wait_dscnt 0x0
	s_barrier_signal -1
	s_barrier_wait -1
.LBB1730_11:                            ;   in Loop: Header=BB1730_12 Depth=1
	s_add_co_i32 s48, s48, 8
	s_delay_alu instid0(SALU_CYCLE_1)
	s_cmp_ge_u32 s48, s50
	s_cbranch_scc1 .LBB1730_1182
.LBB1730_12:                            ; =>This Loop Header: Depth=1
                                        ;     Child Loop BB1730_16 Depth 2
                                        ;     Child Loop BB1730_96 Depth 2
	;; [unrolled: 1-line block ×8, first 2 shown]
	s_sub_co_i32 s7, s50, s48
	s_xor_b32 s55, s55, -1
	s_min_u32 s7, s7, 8
	ds_store_2addr_stride64_b32 v3, v5, v5 offset1:4
	s_lshl_b32 s7, -1, s7
	ds_store_2addr_stride64_b32 v3, v5, v5 offset0:8 offset1:12
	s_not_b32 s52, s7
	s_cmp_lg_u32 s48, s49
	s_mov_b32 s7, -1
	s_wait_storecnt_dscnt 0x0
	s_cbranch_scc0 .LBB1730_598
; %bb.13:                               ;   in Loop: Header=BB1730_12 Depth=1
	s_and_b32 vcc_lo, exec_lo, s55
	s_cbranch_vccz .LBB1730_305
; %bb.14:                               ;   in Loop: Header=BB1730_12 Depth=1
	s_mov_b32 s7, s56
	s_mov_b32 s42, s54
	s_barrier_signal -1
	s_barrier_wait -1
                                        ; implicit-def: $vgpr23
                                        ; implicit-def: $vgpr24
                                        ; implicit-def: $vgpr25
                                        ; implicit-def: $vgpr26
                                        ; implicit-def: $vgpr27
                                        ; implicit-def: $vgpr28
                                        ; implicit-def: $vgpr29
                                        ; implicit-def: $vgpr30
                                        ; implicit-def: $vgpr31
                                        ; implicit-def: $vgpr32
                                        ; implicit-def: $vgpr33
                                        ; implicit-def: $vgpr34
                                        ; implicit-def: $vgpr35
                                        ; implicit-def: $vgpr36
                                        ; implicit-def: $vgpr37
                                        ; implicit-def: $vgpr38
	s_branch .LBB1730_16
.LBB1730_15:                            ;   in Loop: Header=BB1730_16 Depth=2
	s_or_b32 exec_lo, exec_lo, s8
	s_addk_co_i32 s7, 0xf000
	s_cmp_ge_u32 s10, s51
	s_mov_b32 s42, s10
	s_cbranch_scc1 .LBB1730_84
.LBB1730_16:                            ;   Parent Loop BB1730_12 Depth=1
                                        ; =>  This Inner Loop Header: Depth=2
	s_add_co_i32 s10, s42, 0x1000
	s_mov_b32 s8, -1
	s_cmp_gt_u32 s10, s51
                                        ; implicit-def: $vgpr39
                                        ; implicit-def: $vgpr40
                                        ; implicit-def: $vgpr41
                                        ; implicit-def: $vgpr42
                                        ; implicit-def: $vgpr43
                                        ; implicit-def: $vgpr44
                                        ; implicit-def: $vgpr45
                                        ; implicit-def: $vgpr46
                                        ; implicit-def: $vgpr47
                                        ; implicit-def: $vgpr48
                                        ; implicit-def: $vgpr49
                                        ; implicit-def: $vgpr50
                                        ; implicit-def: $vgpr51
                                        ; implicit-def: $vgpr52
                                        ; implicit-def: $vgpr53
                                        ; implicit-def: $vgpr54
	s_cbranch_scc1 .LBB1730_18
; %bb.17:                               ;   in Loop: Header=BB1730_16 Depth=2
	v_lshl_add_u64 v[54:55], s[42:43], 1, v[6:7]
	s_mov_b32 s8, 0
	s_clause 0xf
	global_load_u16 v39, v[54:55], off
	global_load_u16 v40, v[54:55], off offset:512
	global_load_u16 v41, v[54:55], off offset:1024
	;; [unrolled: 1-line block ×15, first 2 shown]
.LBB1730_18:                            ;   in Loop: Header=BB1730_16 Depth=2
	s_and_not1_b32 vcc_lo, exec_lo, s8
	s_movk_i32 s8, 0x1000
	s_cbranch_vccnz .LBB1730_37
; %bb.19:                               ;   in Loop: Header=BB1730_16 Depth=2
	s_lshl_b64 s[8:9], s[42:43], 1
	s_mov_b32 s11, exec_lo
	s_add_nc_u64 s[8:9], s[40:41], s[8:9]
	s_wait_xcnt 0x0
	v_cmpx_gt_u32_e64 s7, v2
	s_cbranch_execnz .LBB1730_69
; %bb.20:                               ;   in Loop: Header=BB1730_16 Depth=2
	s_or_b32 exec_lo, exec_lo, s11
	s_delay_alu instid0(SALU_CYCLE_1)
	s_mov_b32 s11, exec_lo
	v_cmpx_gt_u32_e64 s7, v68
	s_cbranch_execnz .LBB1730_70
.LBB1730_21:                            ;   in Loop: Header=BB1730_16 Depth=2
	s_or_b32 exec_lo, exec_lo, s11
	s_delay_alu instid0(SALU_CYCLE_1)
	s_mov_b32 s11, exec_lo
	v_cmpx_gt_u32_e64 s7, v69
	s_cbranch_execnz .LBB1730_71
.LBB1730_22:                            ;   in Loop: Header=BB1730_16 Depth=2
	s_or_b32 exec_lo, exec_lo, s11
	s_delay_alu instid0(SALU_CYCLE_1)
	s_mov_b32 s11, exec_lo
	v_cmpx_gt_u32_e64 s7, v70
	s_cbranch_execnz .LBB1730_72
.LBB1730_23:                            ;   in Loop: Header=BB1730_16 Depth=2
	s_or_b32 exec_lo, exec_lo, s11
	s_delay_alu instid0(SALU_CYCLE_1)
	s_mov_b32 s11, exec_lo
	v_cmpx_gt_u32_e64 s7, v71
	s_cbranch_execnz .LBB1730_73
.LBB1730_24:                            ;   in Loop: Header=BB1730_16 Depth=2
	s_or_b32 exec_lo, exec_lo, s11
	s_delay_alu instid0(SALU_CYCLE_1)
	s_mov_b32 s11, exec_lo
	v_cmpx_gt_u32_e64 s7, v72
	s_cbranch_execnz .LBB1730_74
.LBB1730_25:                            ;   in Loop: Header=BB1730_16 Depth=2
	s_or_b32 exec_lo, exec_lo, s11
	s_delay_alu instid0(SALU_CYCLE_1)
	s_mov_b32 s11, exec_lo
	v_cmpx_gt_u32_e64 s7, v73
	s_cbranch_execnz .LBB1730_75
.LBB1730_26:                            ;   in Loop: Header=BB1730_16 Depth=2
	s_or_b32 exec_lo, exec_lo, s11
	s_delay_alu instid0(SALU_CYCLE_1)
	s_mov_b32 s11, exec_lo
	v_cmpx_gt_u32_e64 s7, v74
	s_cbranch_execnz .LBB1730_76
.LBB1730_27:                            ;   in Loop: Header=BB1730_16 Depth=2
	s_or_b32 exec_lo, exec_lo, s11
	s_delay_alu instid0(SALU_CYCLE_1)
	s_mov_b32 s11, exec_lo
	v_cmpx_gt_u32_e64 s7, v75
	s_cbranch_execnz .LBB1730_77
.LBB1730_28:                            ;   in Loop: Header=BB1730_16 Depth=2
	s_or_b32 exec_lo, exec_lo, s11
	s_delay_alu instid0(SALU_CYCLE_1)
	s_mov_b32 s11, exec_lo
	v_cmpx_gt_u32_e64 s7, v76
	s_cbranch_execnz .LBB1730_78
.LBB1730_29:                            ;   in Loop: Header=BB1730_16 Depth=2
	s_or_b32 exec_lo, exec_lo, s11
	s_delay_alu instid0(SALU_CYCLE_1)
	s_mov_b32 s11, exec_lo
	v_cmpx_gt_u32_e64 s7, v77
	s_cbranch_execnz .LBB1730_79
.LBB1730_30:                            ;   in Loop: Header=BB1730_16 Depth=2
	s_or_b32 exec_lo, exec_lo, s11
	s_delay_alu instid0(SALU_CYCLE_1)
	s_mov_b32 s11, exec_lo
	v_cmpx_gt_u32_e64 s7, v78
	s_cbranch_execnz .LBB1730_80
.LBB1730_31:                            ;   in Loop: Header=BB1730_16 Depth=2
	s_or_b32 exec_lo, exec_lo, s11
	s_delay_alu instid0(SALU_CYCLE_1)
	s_mov_b32 s11, exec_lo
	v_cmpx_gt_u32_e64 s7, v79
	s_cbranch_execnz .LBB1730_81
.LBB1730_32:                            ;   in Loop: Header=BB1730_16 Depth=2
	s_or_b32 exec_lo, exec_lo, s11
	s_delay_alu instid0(SALU_CYCLE_1)
	s_mov_b32 s11, exec_lo
	v_cmpx_gt_u32_e64 s7, v80
	s_cbranch_execnz .LBB1730_82
.LBB1730_33:                            ;   in Loop: Header=BB1730_16 Depth=2
	s_or_b32 exec_lo, exec_lo, s11
	s_delay_alu instid0(SALU_CYCLE_1)
	s_mov_b32 s11, exec_lo
	v_cmpx_gt_u32_e64 s7, v81
	s_cbranch_execnz .LBB1730_83
.LBB1730_34:                            ;   in Loop: Header=BB1730_16 Depth=2
	s_or_b32 exec_lo, exec_lo, s11
	s_delay_alu instid0(SALU_CYCLE_1)
	s_mov_b32 s11, exec_lo
	v_cmpx_gt_u32_e64 s7, v82
	s_cbranch_execz .LBB1730_36
.LBB1730_35:                            ;   in Loop: Header=BB1730_16 Depth=2
	global_load_u16 v23, v2, s[8:9] offset:7680 scale_offset
.LBB1730_36:                            ;   in Loop: Header=BB1730_16 Depth=2
	s_wait_xcnt 0x0
	s_or_b32 exec_lo, exec_lo, s11
	s_wait_loadcnt 0x0
	v_dual_mov_b32 v39, v38 :: v_dual_mov_b32 v40, v37
	v_dual_mov_b32 v41, v36 :: v_dual_mov_b32 v42, v35
	;; [unrolled: 1-line block ×8, first 2 shown]
	s_mov_b32 s8, s7
.LBB1730_37:                            ;   in Loop: Header=BB1730_16 Depth=2
	s_wait_loadcnt 0x0
	s_delay_alu instid0(VALU_DEP_1)
	v_dual_mov_b32 v23, v54 :: v_dual_mov_b32 v24, v53
	v_dual_mov_b32 v25, v52 :: v_dual_mov_b32 v26, v51
	;; [unrolled: 1-line block ×8, first 2 shown]
	s_mov_b32 s9, exec_lo
	s_wait_xcnt 0x0
	v_cmpx_gt_u32_e64 s8, v2
	s_cbranch_execnz .LBB1730_53
; %bb.38:                               ;   in Loop: Header=BB1730_16 Depth=2
	s_or_b32 exec_lo, exec_lo, s9
	s_delay_alu instid0(SALU_CYCLE_1)
	s_mov_b32 s9, exec_lo
	v_cmpx_gt_u32_e64 s8, v68
	s_cbranch_execnz .LBB1730_54
.LBB1730_39:                            ;   in Loop: Header=BB1730_16 Depth=2
	s_or_b32 exec_lo, exec_lo, s9
	s_delay_alu instid0(SALU_CYCLE_1)
	s_mov_b32 s9, exec_lo
	v_cmpx_gt_u32_e64 s8, v69
	s_cbranch_execnz .LBB1730_55
.LBB1730_40:                            ;   in Loop: Header=BB1730_16 Depth=2
	s_or_b32 exec_lo, exec_lo, s9
	s_delay_alu instid0(SALU_CYCLE_1)
	s_mov_b32 s9, exec_lo
	v_cmpx_gt_u32_e64 s8, v70
	s_cbranch_execnz .LBB1730_56
.LBB1730_41:                            ;   in Loop: Header=BB1730_16 Depth=2
	s_or_b32 exec_lo, exec_lo, s9
	s_delay_alu instid0(SALU_CYCLE_1)
	s_mov_b32 s9, exec_lo
	v_cmpx_gt_u32_e64 s8, v71
	s_cbranch_execnz .LBB1730_57
.LBB1730_42:                            ;   in Loop: Header=BB1730_16 Depth=2
	s_or_b32 exec_lo, exec_lo, s9
	s_delay_alu instid0(SALU_CYCLE_1)
	s_mov_b32 s9, exec_lo
	v_cmpx_gt_u32_e64 s8, v72
	s_cbranch_execnz .LBB1730_58
.LBB1730_43:                            ;   in Loop: Header=BB1730_16 Depth=2
	s_or_b32 exec_lo, exec_lo, s9
	s_delay_alu instid0(SALU_CYCLE_1)
	s_mov_b32 s9, exec_lo
	v_cmpx_gt_u32_e64 s8, v73
	s_cbranch_execnz .LBB1730_59
.LBB1730_44:                            ;   in Loop: Header=BB1730_16 Depth=2
	s_or_b32 exec_lo, exec_lo, s9
	s_delay_alu instid0(SALU_CYCLE_1)
	s_mov_b32 s9, exec_lo
	v_cmpx_gt_u32_e64 s8, v74
	s_cbranch_execnz .LBB1730_60
.LBB1730_45:                            ;   in Loop: Header=BB1730_16 Depth=2
	s_or_b32 exec_lo, exec_lo, s9
	s_delay_alu instid0(SALU_CYCLE_1)
	s_mov_b32 s9, exec_lo
	v_cmpx_gt_u32_e64 s8, v75
	s_cbranch_execnz .LBB1730_61
.LBB1730_46:                            ;   in Loop: Header=BB1730_16 Depth=2
	s_or_b32 exec_lo, exec_lo, s9
	s_delay_alu instid0(SALU_CYCLE_1)
	s_mov_b32 s9, exec_lo
	v_cmpx_gt_u32_e64 s8, v76
	s_cbranch_execnz .LBB1730_62
.LBB1730_47:                            ;   in Loop: Header=BB1730_16 Depth=2
	s_or_b32 exec_lo, exec_lo, s9
	s_delay_alu instid0(SALU_CYCLE_1)
	s_mov_b32 s9, exec_lo
	v_cmpx_gt_u32_e64 s8, v77
	s_cbranch_execnz .LBB1730_63
.LBB1730_48:                            ;   in Loop: Header=BB1730_16 Depth=2
	s_or_b32 exec_lo, exec_lo, s9
	s_delay_alu instid0(SALU_CYCLE_1)
	s_mov_b32 s9, exec_lo
	v_cmpx_gt_u32_e64 s8, v78
	s_cbranch_execnz .LBB1730_64
.LBB1730_49:                            ;   in Loop: Header=BB1730_16 Depth=2
	s_or_b32 exec_lo, exec_lo, s9
	s_delay_alu instid0(SALU_CYCLE_1)
	s_mov_b32 s9, exec_lo
	v_cmpx_gt_u32_e64 s8, v79
	s_cbranch_execnz .LBB1730_65
.LBB1730_50:                            ;   in Loop: Header=BB1730_16 Depth=2
	s_or_b32 exec_lo, exec_lo, s9
	s_delay_alu instid0(SALU_CYCLE_1)
	s_mov_b32 s9, exec_lo
	v_cmpx_gt_u32_e64 s8, v80
	s_cbranch_execnz .LBB1730_66
.LBB1730_51:                            ;   in Loop: Header=BB1730_16 Depth=2
	s_or_b32 exec_lo, exec_lo, s9
	s_delay_alu instid0(SALU_CYCLE_1)
	s_mov_b32 s9, exec_lo
	v_cmpx_gt_u32_e64 s8, v81
	s_cbranch_execnz .LBB1730_67
.LBB1730_52:                            ;   in Loop: Header=BB1730_16 Depth=2
	s_or_b32 exec_lo, exec_lo, s9
	v_cmp_gt_u32_e32 vcc_lo, s8, v82
	s_and_saveexec_b32 s8, vcc_lo
	s_cbranch_execz .LBB1730_15
	s_branch .LBB1730_68
.LBB1730_53:                            ;   in Loop: Header=BB1730_16 Depth=2
	v_cmp_gt_i16_e32 vcc_lo, 0, v38
	v_cndmask_b32_e64 v39, 0x7fff, 0, vcc_lo
	s_delay_alu instid0(VALU_DEP_1) | instskip(NEXT) | instid1(VALU_DEP_1)
	v_xor_b32_e32 v39, v39, v38
	v_cmp_ne_u16_e32 vcc_lo, 0x8000, v39
	v_cndmask_b32_e32 v39, 0x7fff, v39, vcc_lo
	s_delay_alu instid0(VALU_DEP_1) | instskip(NEXT) | instid1(VALU_DEP_1)
	v_and_b32_e32 v39, 0xffff, v39
	v_lshrrev_b32_e32 v39, s48, v39
	s_delay_alu instid0(VALU_DEP_1) | instskip(NEXT) | instid1(VALU_DEP_1)
	v_and_b32_e32 v39, s52, v39
	v_lshl_or_b32 v39, v39, 4, v83
	ds_add_u32 v39, v96
	s_or_b32 exec_lo, exec_lo, s9
	s_delay_alu instid0(SALU_CYCLE_1)
	s_mov_b32 s9, exec_lo
	v_cmpx_gt_u32_e64 s8, v68
	s_cbranch_execz .LBB1730_39
.LBB1730_54:                            ;   in Loop: Header=BB1730_16 Depth=2
	v_cmp_gt_i16_e32 vcc_lo, 0, v37
	v_cndmask_b32_e64 v39, 0x7fff, 0, vcc_lo
	s_delay_alu instid0(VALU_DEP_1) | instskip(NEXT) | instid1(VALU_DEP_1)
	v_xor_b32_e32 v39, v39, v37
	v_cmp_ne_u16_e32 vcc_lo, 0x8000, v39
	v_cndmask_b32_e32 v39, 0x7fff, v39, vcc_lo
	s_delay_alu instid0(VALU_DEP_1) | instskip(NEXT) | instid1(VALU_DEP_1)
	v_and_b32_e32 v39, 0xffff, v39
	v_lshrrev_b32_e32 v39, s48, v39
	s_delay_alu instid0(VALU_DEP_1) | instskip(NEXT) | instid1(VALU_DEP_1)
	v_and_b32_e32 v39, s52, v39
	v_lshl_or_b32 v39, v39, 4, v83
	ds_add_u32 v39, v96
	s_or_b32 exec_lo, exec_lo, s9
	s_delay_alu instid0(SALU_CYCLE_1)
	s_mov_b32 s9, exec_lo
	v_cmpx_gt_u32_e64 s8, v69
	s_cbranch_execz .LBB1730_40
.LBB1730_55:                            ;   in Loop: Header=BB1730_16 Depth=2
	v_cmp_gt_i16_e32 vcc_lo, 0, v36
	v_cndmask_b32_e64 v39, 0x7fff, 0, vcc_lo
	s_delay_alu instid0(VALU_DEP_1) | instskip(NEXT) | instid1(VALU_DEP_1)
	v_xor_b32_e32 v39, v39, v36
	v_cmp_ne_u16_e32 vcc_lo, 0x8000, v39
	v_cndmask_b32_e32 v39, 0x7fff, v39, vcc_lo
	s_delay_alu instid0(VALU_DEP_1) | instskip(NEXT) | instid1(VALU_DEP_1)
	v_and_b32_e32 v39, 0xffff, v39
	v_lshrrev_b32_e32 v39, s48, v39
	s_delay_alu instid0(VALU_DEP_1) | instskip(NEXT) | instid1(VALU_DEP_1)
	v_and_b32_e32 v39, s52, v39
	v_lshl_or_b32 v39, v39, 4, v83
	ds_add_u32 v39, v96
	s_or_b32 exec_lo, exec_lo, s9
	s_delay_alu instid0(SALU_CYCLE_1)
	s_mov_b32 s9, exec_lo
	v_cmpx_gt_u32_e64 s8, v70
	s_cbranch_execz .LBB1730_41
.LBB1730_56:                            ;   in Loop: Header=BB1730_16 Depth=2
	v_cmp_gt_i16_e32 vcc_lo, 0, v35
	v_cndmask_b32_e64 v39, 0x7fff, 0, vcc_lo
	s_delay_alu instid0(VALU_DEP_1) | instskip(NEXT) | instid1(VALU_DEP_1)
	v_xor_b32_e32 v39, v39, v35
	v_cmp_ne_u16_e32 vcc_lo, 0x8000, v39
	v_cndmask_b32_e32 v39, 0x7fff, v39, vcc_lo
	s_delay_alu instid0(VALU_DEP_1) | instskip(NEXT) | instid1(VALU_DEP_1)
	v_and_b32_e32 v39, 0xffff, v39
	v_lshrrev_b32_e32 v39, s48, v39
	s_delay_alu instid0(VALU_DEP_1) | instskip(NEXT) | instid1(VALU_DEP_1)
	v_and_b32_e32 v39, s52, v39
	v_lshl_or_b32 v39, v39, 4, v83
	ds_add_u32 v39, v96
	s_or_b32 exec_lo, exec_lo, s9
	s_delay_alu instid0(SALU_CYCLE_1)
	s_mov_b32 s9, exec_lo
	v_cmpx_gt_u32_e64 s8, v71
	s_cbranch_execz .LBB1730_42
.LBB1730_57:                            ;   in Loop: Header=BB1730_16 Depth=2
	v_cmp_gt_i16_e32 vcc_lo, 0, v34
	v_cndmask_b32_e64 v39, 0x7fff, 0, vcc_lo
	s_delay_alu instid0(VALU_DEP_1) | instskip(NEXT) | instid1(VALU_DEP_1)
	v_xor_b32_e32 v39, v39, v34
	v_cmp_ne_u16_e32 vcc_lo, 0x8000, v39
	v_cndmask_b32_e32 v39, 0x7fff, v39, vcc_lo
	s_delay_alu instid0(VALU_DEP_1) | instskip(NEXT) | instid1(VALU_DEP_1)
	v_and_b32_e32 v39, 0xffff, v39
	v_lshrrev_b32_e32 v39, s48, v39
	s_delay_alu instid0(VALU_DEP_1) | instskip(NEXT) | instid1(VALU_DEP_1)
	v_and_b32_e32 v39, s52, v39
	v_lshl_or_b32 v39, v39, 4, v83
	ds_add_u32 v39, v96
	s_or_b32 exec_lo, exec_lo, s9
	s_delay_alu instid0(SALU_CYCLE_1)
	s_mov_b32 s9, exec_lo
	v_cmpx_gt_u32_e64 s8, v72
	s_cbranch_execz .LBB1730_43
.LBB1730_58:                            ;   in Loop: Header=BB1730_16 Depth=2
	v_cmp_gt_i16_e32 vcc_lo, 0, v33
	v_cndmask_b32_e64 v39, 0x7fff, 0, vcc_lo
	s_delay_alu instid0(VALU_DEP_1) | instskip(NEXT) | instid1(VALU_DEP_1)
	v_xor_b32_e32 v39, v39, v33
	v_cmp_ne_u16_e32 vcc_lo, 0x8000, v39
	v_cndmask_b32_e32 v39, 0x7fff, v39, vcc_lo
	s_delay_alu instid0(VALU_DEP_1) | instskip(NEXT) | instid1(VALU_DEP_1)
	v_and_b32_e32 v39, 0xffff, v39
	v_lshrrev_b32_e32 v39, s48, v39
	s_delay_alu instid0(VALU_DEP_1) | instskip(NEXT) | instid1(VALU_DEP_1)
	v_and_b32_e32 v39, s52, v39
	v_lshl_or_b32 v39, v39, 4, v83
	ds_add_u32 v39, v96
	s_or_b32 exec_lo, exec_lo, s9
	s_delay_alu instid0(SALU_CYCLE_1)
	s_mov_b32 s9, exec_lo
	v_cmpx_gt_u32_e64 s8, v73
	s_cbranch_execz .LBB1730_44
.LBB1730_59:                            ;   in Loop: Header=BB1730_16 Depth=2
	v_cmp_gt_i16_e32 vcc_lo, 0, v32
	v_cndmask_b32_e64 v39, 0x7fff, 0, vcc_lo
	s_delay_alu instid0(VALU_DEP_1) | instskip(NEXT) | instid1(VALU_DEP_1)
	v_xor_b32_e32 v39, v39, v32
	v_cmp_ne_u16_e32 vcc_lo, 0x8000, v39
	v_cndmask_b32_e32 v39, 0x7fff, v39, vcc_lo
	s_delay_alu instid0(VALU_DEP_1) | instskip(NEXT) | instid1(VALU_DEP_1)
	v_and_b32_e32 v39, 0xffff, v39
	v_lshrrev_b32_e32 v39, s48, v39
	s_delay_alu instid0(VALU_DEP_1) | instskip(NEXT) | instid1(VALU_DEP_1)
	v_and_b32_e32 v39, s52, v39
	v_lshl_or_b32 v39, v39, 4, v83
	ds_add_u32 v39, v96
	s_or_b32 exec_lo, exec_lo, s9
	s_delay_alu instid0(SALU_CYCLE_1)
	s_mov_b32 s9, exec_lo
	v_cmpx_gt_u32_e64 s8, v74
	s_cbranch_execz .LBB1730_45
.LBB1730_60:                            ;   in Loop: Header=BB1730_16 Depth=2
	v_cmp_gt_i16_e32 vcc_lo, 0, v31
	v_cndmask_b32_e64 v39, 0x7fff, 0, vcc_lo
	s_delay_alu instid0(VALU_DEP_1) | instskip(NEXT) | instid1(VALU_DEP_1)
	v_xor_b32_e32 v39, v39, v31
	v_cmp_ne_u16_e32 vcc_lo, 0x8000, v39
	v_cndmask_b32_e32 v39, 0x7fff, v39, vcc_lo
	s_delay_alu instid0(VALU_DEP_1) | instskip(NEXT) | instid1(VALU_DEP_1)
	v_and_b32_e32 v39, 0xffff, v39
	v_lshrrev_b32_e32 v39, s48, v39
	s_delay_alu instid0(VALU_DEP_1) | instskip(NEXT) | instid1(VALU_DEP_1)
	v_and_b32_e32 v39, s52, v39
	v_lshl_or_b32 v39, v39, 4, v83
	ds_add_u32 v39, v96
	s_or_b32 exec_lo, exec_lo, s9
	s_delay_alu instid0(SALU_CYCLE_1)
	s_mov_b32 s9, exec_lo
	v_cmpx_gt_u32_e64 s8, v75
	s_cbranch_execz .LBB1730_46
.LBB1730_61:                            ;   in Loop: Header=BB1730_16 Depth=2
	v_cmp_gt_i16_e32 vcc_lo, 0, v30
	v_cndmask_b32_e64 v39, 0x7fff, 0, vcc_lo
	s_delay_alu instid0(VALU_DEP_1) | instskip(NEXT) | instid1(VALU_DEP_1)
	v_xor_b32_e32 v39, v39, v30
	v_cmp_ne_u16_e32 vcc_lo, 0x8000, v39
	v_cndmask_b32_e32 v39, 0x7fff, v39, vcc_lo
	s_delay_alu instid0(VALU_DEP_1) | instskip(NEXT) | instid1(VALU_DEP_1)
	v_and_b32_e32 v39, 0xffff, v39
	v_lshrrev_b32_e32 v39, s48, v39
	s_delay_alu instid0(VALU_DEP_1) | instskip(NEXT) | instid1(VALU_DEP_1)
	v_and_b32_e32 v39, s52, v39
	v_lshl_or_b32 v39, v39, 4, v83
	ds_add_u32 v39, v96
	s_or_b32 exec_lo, exec_lo, s9
	s_delay_alu instid0(SALU_CYCLE_1)
	s_mov_b32 s9, exec_lo
	v_cmpx_gt_u32_e64 s8, v76
	s_cbranch_execz .LBB1730_47
.LBB1730_62:                            ;   in Loop: Header=BB1730_16 Depth=2
	v_cmp_gt_i16_e32 vcc_lo, 0, v29
	v_cndmask_b32_e64 v39, 0x7fff, 0, vcc_lo
	s_delay_alu instid0(VALU_DEP_1) | instskip(NEXT) | instid1(VALU_DEP_1)
	v_xor_b32_e32 v39, v39, v29
	v_cmp_ne_u16_e32 vcc_lo, 0x8000, v39
	v_cndmask_b32_e32 v39, 0x7fff, v39, vcc_lo
	s_delay_alu instid0(VALU_DEP_1) | instskip(NEXT) | instid1(VALU_DEP_1)
	v_and_b32_e32 v39, 0xffff, v39
	v_lshrrev_b32_e32 v39, s48, v39
	s_delay_alu instid0(VALU_DEP_1) | instskip(NEXT) | instid1(VALU_DEP_1)
	v_and_b32_e32 v39, s52, v39
	v_lshl_or_b32 v39, v39, 4, v83
	ds_add_u32 v39, v96
	s_or_b32 exec_lo, exec_lo, s9
	s_delay_alu instid0(SALU_CYCLE_1)
	s_mov_b32 s9, exec_lo
	v_cmpx_gt_u32_e64 s8, v77
	s_cbranch_execz .LBB1730_48
.LBB1730_63:                            ;   in Loop: Header=BB1730_16 Depth=2
	v_cmp_gt_i16_e32 vcc_lo, 0, v28
	v_cndmask_b32_e64 v39, 0x7fff, 0, vcc_lo
	s_delay_alu instid0(VALU_DEP_1) | instskip(NEXT) | instid1(VALU_DEP_1)
	v_xor_b32_e32 v39, v39, v28
	v_cmp_ne_u16_e32 vcc_lo, 0x8000, v39
	v_cndmask_b32_e32 v39, 0x7fff, v39, vcc_lo
	s_delay_alu instid0(VALU_DEP_1) | instskip(NEXT) | instid1(VALU_DEP_1)
	v_and_b32_e32 v39, 0xffff, v39
	v_lshrrev_b32_e32 v39, s48, v39
	s_delay_alu instid0(VALU_DEP_1) | instskip(NEXT) | instid1(VALU_DEP_1)
	v_and_b32_e32 v39, s52, v39
	v_lshl_or_b32 v39, v39, 4, v83
	ds_add_u32 v39, v96
	s_or_b32 exec_lo, exec_lo, s9
	s_delay_alu instid0(SALU_CYCLE_1)
	s_mov_b32 s9, exec_lo
	v_cmpx_gt_u32_e64 s8, v78
	s_cbranch_execz .LBB1730_49
.LBB1730_64:                            ;   in Loop: Header=BB1730_16 Depth=2
	v_cmp_gt_i16_e32 vcc_lo, 0, v27
	v_cndmask_b32_e64 v39, 0x7fff, 0, vcc_lo
	s_delay_alu instid0(VALU_DEP_1) | instskip(NEXT) | instid1(VALU_DEP_1)
	v_xor_b32_e32 v39, v39, v27
	v_cmp_ne_u16_e32 vcc_lo, 0x8000, v39
	v_cndmask_b32_e32 v39, 0x7fff, v39, vcc_lo
	s_delay_alu instid0(VALU_DEP_1) | instskip(NEXT) | instid1(VALU_DEP_1)
	v_and_b32_e32 v39, 0xffff, v39
	v_lshrrev_b32_e32 v39, s48, v39
	s_delay_alu instid0(VALU_DEP_1) | instskip(NEXT) | instid1(VALU_DEP_1)
	v_and_b32_e32 v39, s52, v39
	v_lshl_or_b32 v39, v39, 4, v83
	ds_add_u32 v39, v96
	s_or_b32 exec_lo, exec_lo, s9
	s_delay_alu instid0(SALU_CYCLE_1)
	s_mov_b32 s9, exec_lo
	v_cmpx_gt_u32_e64 s8, v79
	s_cbranch_execz .LBB1730_50
.LBB1730_65:                            ;   in Loop: Header=BB1730_16 Depth=2
	v_cmp_gt_i16_e32 vcc_lo, 0, v26
	v_cndmask_b32_e64 v39, 0x7fff, 0, vcc_lo
	s_delay_alu instid0(VALU_DEP_1) | instskip(NEXT) | instid1(VALU_DEP_1)
	v_xor_b32_e32 v39, v39, v26
	v_cmp_ne_u16_e32 vcc_lo, 0x8000, v39
	v_cndmask_b32_e32 v39, 0x7fff, v39, vcc_lo
	s_delay_alu instid0(VALU_DEP_1) | instskip(NEXT) | instid1(VALU_DEP_1)
	v_and_b32_e32 v39, 0xffff, v39
	v_lshrrev_b32_e32 v39, s48, v39
	s_delay_alu instid0(VALU_DEP_1) | instskip(NEXT) | instid1(VALU_DEP_1)
	v_and_b32_e32 v39, s52, v39
	v_lshl_or_b32 v39, v39, 4, v83
	ds_add_u32 v39, v96
	s_or_b32 exec_lo, exec_lo, s9
	s_delay_alu instid0(SALU_CYCLE_1)
	s_mov_b32 s9, exec_lo
	v_cmpx_gt_u32_e64 s8, v80
	s_cbranch_execz .LBB1730_51
.LBB1730_66:                            ;   in Loop: Header=BB1730_16 Depth=2
	v_cmp_gt_i16_e32 vcc_lo, 0, v25
	v_cndmask_b32_e64 v39, 0x7fff, 0, vcc_lo
	s_delay_alu instid0(VALU_DEP_1) | instskip(NEXT) | instid1(VALU_DEP_1)
	v_xor_b32_e32 v39, v39, v25
	v_cmp_ne_u16_e32 vcc_lo, 0x8000, v39
	v_cndmask_b32_e32 v39, 0x7fff, v39, vcc_lo
	s_delay_alu instid0(VALU_DEP_1) | instskip(NEXT) | instid1(VALU_DEP_1)
	v_and_b32_e32 v39, 0xffff, v39
	v_lshrrev_b32_e32 v39, s48, v39
	s_delay_alu instid0(VALU_DEP_1) | instskip(NEXT) | instid1(VALU_DEP_1)
	v_and_b32_e32 v39, s52, v39
	v_lshl_or_b32 v39, v39, 4, v83
	ds_add_u32 v39, v96
	s_or_b32 exec_lo, exec_lo, s9
	s_delay_alu instid0(SALU_CYCLE_1)
	s_mov_b32 s9, exec_lo
	v_cmpx_gt_u32_e64 s8, v81
	s_cbranch_execz .LBB1730_52
.LBB1730_67:                            ;   in Loop: Header=BB1730_16 Depth=2
	v_cmp_gt_i16_e32 vcc_lo, 0, v24
	v_cndmask_b32_e64 v39, 0x7fff, 0, vcc_lo
	s_delay_alu instid0(VALU_DEP_1) | instskip(NEXT) | instid1(VALU_DEP_1)
	v_xor_b32_e32 v39, v39, v24
	v_cmp_ne_u16_e32 vcc_lo, 0x8000, v39
	v_cndmask_b32_e32 v39, 0x7fff, v39, vcc_lo
	s_delay_alu instid0(VALU_DEP_1) | instskip(NEXT) | instid1(VALU_DEP_1)
	v_and_b32_e32 v39, 0xffff, v39
	v_lshrrev_b32_e32 v39, s48, v39
	s_delay_alu instid0(VALU_DEP_1) | instskip(NEXT) | instid1(VALU_DEP_1)
	v_and_b32_e32 v39, s52, v39
	v_lshl_or_b32 v39, v39, 4, v83
	ds_add_u32 v39, v96
	s_or_b32 exec_lo, exec_lo, s9
	v_cmp_gt_u32_e32 vcc_lo, s8, v82
	s_and_saveexec_b32 s8, vcc_lo
	s_cbranch_execz .LBB1730_15
.LBB1730_68:                            ;   in Loop: Header=BB1730_16 Depth=2
	v_cmp_gt_i16_e32 vcc_lo, 0, v23
	v_cndmask_b32_e64 v39, 0x7fff, 0, vcc_lo
	s_delay_alu instid0(VALU_DEP_1) | instskip(NEXT) | instid1(VALU_DEP_1)
	v_xor_b32_e32 v39, v39, v23
	v_cmp_ne_u16_e32 vcc_lo, 0x8000, v39
	v_cndmask_b32_e32 v39, 0x7fff, v39, vcc_lo
	s_delay_alu instid0(VALU_DEP_1) | instskip(NEXT) | instid1(VALU_DEP_1)
	v_and_b32_e32 v39, 0xffff, v39
	v_lshrrev_b32_e32 v39, s48, v39
	s_delay_alu instid0(VALU_DEP_1) | instskip(NEXT) | instid1(VALU_DEP_1)
	v_and_b32_e32 v39, s52, v39
	v_lshl_or_b32 v39, v39, 4, v83
	ds_add_u32 v39, v96
	s_branch .LBB1730_15
.LBB1730_69:                            ;   in Loop: Header=BB1730_16 Depth=2
	global_load_u16 v38, v2, s[8:9] scale_offset
	s_wait_xcnt 0x0
	s_or_b32 exec_lo, exec_lo, s11
	s_delay_alu instid0(SALU_CYCLE_1)
	s_mov_b32 s11, exec_lo
	v_cmpx_gt_u32_e64 s7, v68
	s_cbranch_execz .LBB1730_21
.LBB1730_70:                            ;   in Loop: Header=BB1730_16 Depth=2
	global_load_u16 v37, v2, s[8:9] offset:512 scale_offset
	s_wait_xcnt 0x0
	s_or_b32 exec_lo, exec_lo, s11
	s_delay_alu instid0(SALU_CYCLE_1)
	s_mov_b32 s11, exec_lo
	v_cmpx_gt_u32_e64 s7, v69
	s_cbranch_execz .LBB1730_22
.LBB1730_71:                            ;   in Loop: Header=BB1730_16 Depth=2
	global_load_u16 v36, v2, s[8:9] offset:1024 scale_offset
	s_wait_xcnt 0x0
	s_or_b32 exec_lo, exec_lo, s11
	s_delay_alu instid0(SALU_CYCLE_1)
	s_mov_b32 s11, exec_lo
	v_cmpx_gt_u32_e64 s7, v70
	s_cbranch_execz .LBB1730_23
.LBB1730_72:                            ;   in Loop: Header=BB1730_16 Depth=2
	global_load_u16 v35, v2, s[8:9] offset:1536 scale_offset
	s_wait_xcnt 0x0
	s_or_b32 exec_lo, exec_lo, s11
	s_delay_alu instid0(SALU_CYCLE_1)
	s_mov_b32 s11, exec_lo
	v_cmpx_gt_u32_e64 s7, v71
	s_cbranch_execz .LBB1730_24
.LBB1730_73:                            ;   in Loop: Header=BB1730_16 Depth=2
	global_load_u16 v34, v2, s[8:9] offset:2048 scale_offset
	s_wait_xcnt 0x0
	s_or_b32 exec_lo, exec_lo, s11
	s_delay_alu instid0(SALU_CYCLE_1)
	s_mov_b32 s11, exec_lo
	v_cmpx_gt_u32_e64 s7, v72
	s_cbranch_execz .LBB1730_25
.LBB1730_74:                            ;   in Loop: Header=BB1730_16 Depth=2
	global_load_u16 v33, v2, s[8:9] offset:2560 scale_offset
	s_wait_xcnt 0x0
	s_or_b32 exec_lo, exec_lo, s11
	s_delay_alu instid0(SALU_CYCLE_1)
	s_mov_b32 s11, exec_lo
	v_cmpx_gt_u32_e64 s7, v73
	s_cbranch_execz .LBB1730_26
.LBB1730_75:                            ;   in Loop: Header=BB1730_16 Depth=2
	global_load_u16 v32, v2, s[8:9] offset:3072 scale_offset
	s_wait_xcnt 0x0
	s_or_b32 exec_lo, exec_lo, s11
	s_delay_alu instid0(SALU_CYCLE_1)
	s_mov_b32 s11, exec_lo
	v_cmpx_gt_u32_e64 s7, v74
	s_cbranch_execz .LBB1730_27
.LBB1730_76:                            ;   in Loop: Header=BB1730_16 Depth=2
	global_load_u16 v31, v2, s[8:9] offset:3584 scale_offset
	s_wait_xcnt 0x0
	s_or_b32 exec_lo, exec_lo, s11
	s_delay_alu instid0(SALU_CYCLE_1)
	s_mov_b32 s11, exec_lo
	v_cmpx_gt_u32_e64 s7, v75
	s_cbranch_execz .LBB1730_28
.LBB1730_77:                            ;   in Loop: Header=BB1730_16 Depth=2
	global_load_u16 v30, v2, s[8:9] offset:4096 scale_offset
	s_wait_xcnt 0x0
	s_or_b32 exec_lo, exec_lo, s11
	s_delay_alu instid0(SALU_CYCLE_1)
	s_mov_b32 s11, exec_lo
	v_cmpx_gt_u32_e64 s7, v76
	s_cbranch_execz .LBB1730_29
.LBB1730_78:                            ;   in Loop: Header=BB1730_16 Depth=2
	global_load_u16 v29, v2, s[8:9] offset:4608 scale_offset
	s_wait_xcnt 0x0
	s_or_b32 exec_lo, exec_lo, s11
	s_delay_alu instid0(SALU_CYCLE_1)
	s_mov_b32 s11, exec_lo
	v_cmpx_gt_u32_e64 s7, v77
	s_cbranch_execz .LBB1730_30
.LBB1730_79:                            ;   in Loop: Header=BB1730_16 Depth=2
	global_load_u16 v28, v2, s[8:9] offset:5120 scale_offset
	s_wait_xcnt 0x0
	s_or_b32 exec_lo, exec_lo, s11
	s_delay_alu instid0(SALU_CYCLE_1)
	s_mov_b32 s11, exec_lo
	v_cmpx_gt_u32_e64 s7, v78
	s_cbranch_execz .LBB1730_31
.LBB1730_80:                            ;   in Loop: Header=BB1730_16 Depth=2
	global_load_u16 v27, v2, s[8:9] offset:5632 scale_offset
	s_wait_xcnt 0x0
	s_or_b32 exec_lo, exec_lo, s11
	s_delay_alu instid0(SALU_CYCLE_1)
	s_mov_b32 s11, exec_lo
	v_cmpx_gt_u32_e64 s7, v79
	s_cbranch_execz .LBB1730_32
.LBB1730_81:                            ;   in Loop: Header=BB1730_16 Depth=2
	global_load_u16 v26, v2, s[8:9] offset:6144 scale_offset
	s_wait_xcnt 0x0
	s_or_b32 exec_lo, exec_lo, s11
	s_delay_alu instid0(SALU_CYCLE_1)
	s_mov_b32 s11, exec_lo
	v_cmpx_gt_u32_e64 s7, v80
	s_cbranch_execz .LBB1730_33
.LBB1730_82:                            ;   in Loop: Header=BB1730_16 Depth=2
	global_load_u16 v25, v2, s[8:9] offset:6656 scale_offset
	s_wait_xcnt 0x0
	s_or_b32 exec_lo, exec_lo, s11
	s_delay_alu instid0(SALU_CYCLE_1)
	s_mov_b32 s11, exec_lo
	v_cmpx_gt_u32_e64 s7, v81
	s_cbranch_execz .LBB1730_34
.LBB1730_83:                            ;   in Loop: Header=BB1730_16 Depth=2
	global_load_u16 v24, v2, s[8:9] offset:7168 scale_offset
	s_wait_xcnt 0x0
	s_or_b32 exec_lo, exec_lo, s11
	s_delay_alu instid0(SALU_CYCLE_1)
	s_mov_b32 s11, exec_lo
	v_cmpx_gt_u32_e64 s7, v82
	s_cbranch_execnz .LBB1730_35
	s_branch .LBB1730_36
.LBB1730_84:                            ;   in Loop: Header=BB1730_12 Depth=1
	v_mov_b32_e32 v23, 0
	s_wait_dscnt 0x0
	s_barrier_signal -1
	s_barrier_wait -1
	s_and_saveexec_b32 s7, s0
	s_cbranch_execz .LBB1730_86
; %bb.85:                               ;   in Loop: Header=BB1730_12 Depth=1
	ds_load_2addr_b64 v[24:27], v85 offset1:1
	s_wait_dscnt 0x0
	v_add_nc_u32_e32 v23, v25, v24
	s_delay_alu instid0(VALU_DEP_1)
	v_add3_u32 v23, v23, v26, v27
.LBB1730_86:                            ;   in Loop: Header=BB1730_12 Depth=1
	s_or_b32 exec_lo, exec_lo, s7
	s_delay_alu instid0(VALU_DEP_1)
	v_mov_b32_dpp v24, v23 row_shr:1 row_mask:0xf bank_mask:0xf
	v_cmp_eq_u32_e64 s7, 0, v97
	v_cmp_lt_u32_e64 s8, 1, v97
	v_cmp_lt_u32_e64 s9, 3, v97
	;; [unrolled: 1-line block ×3, first 2 shown]
	v_cmp_eq_u32_e64 s11, 0, v99
	v_cndmask_b32_e64 v24, v24, 0, s7
	s_delay_alu instid0(VALU_DEP_1) | instskip(NEXT) | instid1(VALU_DEP_1)
	v_add_nc_u32_e32 v23, v24, v23
	v_mov_b32_dpp v24, v23 row_shr:2 row_mask:0xf bank_mask:0xf
	s_delay_alu instid0(VALU_DEP_1) | instskip(NEXT) | instid1(VALU_DEP_1)
	v_cndmask_b32_e64 v24, 0, v24, s8
	v_add_nc_u32_e32 v23, v23, v24
	s_delay_alu instid0(VALU_DEP_1) | instskip(NEXT) | instid1(VALU_DEP_1)
	v_mov_b32_dpp v24, v23 row_shr:4 row_mask:0xf bank_mask:0xf
	v_cndmask_b32_e64 v24, 0, v24, s9
	s_delay_alu instid0(VALU_DEP_1) | instskip(NEXT) | instid1(VALU_DEP_1)
	v_add_nc_u32_e32 v23, v23, v24
	v_mov_b32_dpp v24, v23 row_shr:8 row_mask:0xf bank_mask:0xf
	s_delay_alu instid0(VALU_DEP_1) | instskip(NEXT) | instid1(VALU_DEP_1)
	v_cndmask_b32_e64 v24, 0, v24, s10
	v_add_nc_u32_e32 v23, v23, v24
	ds_swizzle_b32 v24, v23 offset:swizzle(BROADCAST,32,15)
	s_wait_dscnt 0x0
	v_and_b32_e32 v24, v98, v24
	s_delay_alu instid0(VALU_DEP_1)
	v_add_nc_u32_e32 v23, v23, v24
	s_and_saveexec_b32 s12, s1
; %bb.87:                               ;   in Loop: Header=BB1730_12 Depth=1
	ds_store_b32 v86, v23
; %bb.88:                               ;   in Loop: Header=BB1730_12 Depth=1
	s_or_b32 exec_lo, exec_lo, s12
	s_wait_dscnt 0x0
	s_barrier_signal -1
	s_barrier_wait -1
	s_and_saveexec_b32 s12, s4
	s_cbranch_execz .LBB1730_90
; %bb.89:                               ;   in Loop: Header=BB1730_12 Depth=1
	ds_load_b32 v24, v87
	v_cmp_ne_u32_e32 vcc_lo, 0, v101
	s_wait_dscnt 0x0
	v_mov_b32_dpp v25, v24 row_shr:1 row_mask:0xf bank_mask:0xf
	s_delay_alu instid0(VALU_DEP_1) | instskip(SKIP_1) | instid1(VALU_DEP_2)
	v_cndmask_b32_e32 v25, 0, v25, vcc_lo
	v_cmp_lt_u32_e32 vcc_lo, 1, v101
	v_add_nc_u32_e32 v24, v25, v24
	s_delay_alu instid0(VALU_DEP_1) | instskip(NEXT) | instid1(VALU_DEP_1)
	v_mov_b32_dpp v25, v24 row_shr:2 row_mask:0xf bank_mask:0xf
	v_cndmask_b32_e32 v25, 0, v25, vcc_lo
	v_cmp_lt_u32_e32 vcc_lo, 3, v101
	s_delay_alu instid0(VALU_DEP_2) | instskip(NEXT) | instid1(VALU_DEP_1)
	v_add_nc_u32_e32 v24, v24, v25
	v_mov_b32_dpp v25, v24 row_shr:4 row_mask:0xf bank_mask:0xf
	s_delay_alu instid0(VALU_DEP_1) | instskip(NEXT) | instid1(VALU_DEP_1)
	v_cndmask_b32_e32 v25, 0, v25, vcc_lo
	v_add_nc_u32_e32 v24, v24, v25
	ds_store_b32 v87, v24
.LBB1730_90:                            ;   in Loop: Header=BB1730_12 Depth=1
	s_or_b32 exec_lo, exec_lo, s12
	v_mov_b32_e32 v24, 0
	s_wait_dscnt 0x0
	s_barrier_signal -1
	s_barrier_wait -1
	s_and_saveexec_b32 s12, s5
; %bb.91:                               ;   in Loop: Header=BB1730_12 Depth=1
	ds_load_b32 v24, v88
; %bb.92:                               ;   in Loop: Header=BB1730_12 Depth=1
	s_or_b32 exec_lo, exec_lo, s12
	v_cmp_gt_i32_e32 vcc_lo, 0, v102
	s_wait_dscnt 0x0
	s_barrier_signal -1
	s_barrier_wait -1
	v_cndmask_b32_e32 v25, v102, v95, vcc_lo
	s_delay_alu instid0(VALU_DEP_1)
	v_dual_add_nc_u32 v23, v24, v23 :: v_dual_lshlrev_b32 v122, 2, v25
	ds_bpermute_b32 v23, v122, v23
	s_and_saveexec_b32 s12, s0
	s_cbranch_execz .LBB1730_94
; %bb.93:                               ;   in Loop: Header=BB1730_12 Depth=1
	s_wait_dscnt 0x0
	v_cndmask_b32_e64 v23, v23, v24, s6
	s_delay_alu instid0(VALU_DEP_1)
	v_add_nc_u32_e32 v23, s54, v23
	ds_store_b32 v3, v23
.LBB1730_94:                            ;   in Loop: Header=BB1730_12 Depth=1
	s_or_b32 exec_lo, exec_lo, s12
	s_clause 0x1
	s_load_b32 s12, s[34:35], 0x4
	s_load_b32 s14, s[34:35], 0xc
	s_mov_b32 s53, s56
                                        ; implicit-def: $vgpr30_vgpr31
                                        ; implicit-def: $vgpr32_vgpr33
                                        ; implicit-def: $vgpr34_vgpr35
                                        ; implicit-def: $vgpr36_vgpr37
                                        ; implicit-def: $vgpr38_vgpr39
                                        ; implicit-def: $vgpr40_vgpr41
                                        ; implicit-def: $vgpr42_vgpr43
                                        ; implicit-def: $vgpr44_vgpr45
                                        ; implicit-def: $vgpr46_vgpr47
                                        ; implicit-def: $vgpr48_vgpr49
                                        ; implicit-def: $vgpr50_vgpr51
                                        ; implicit-def: $vgpr52_vgpr53
                                        ; implicit-def: $vgpr54_vgpr55
                                        ; implicit-def: $vgpr56_vgpr57
                                        ; implicit-def: $vgpr58_vgpr59
                                        ; implicit-def: $vgpr123
                                        ; implicit-def: $vgpr124
                                        ; implicit-def: $vgpr125
                                        ; implicit-def: $vgpr126
                                        ; implicit-def: $vgpr127
                                        ; implicit-def: $vgpr128
                                        ; implicit-def: $vgpr129
                                        ; implicit-def: $vgpr130
                                        ; implicit-def: $vgpr131
                                        ; implicit-def: $vgpr132
                                        ; implicit-def: $vgpr133
                                        ; implicit-def: $vgpr134
                                        ; implicit-def: $vgpr135
                                        ; implicit-def: $vgpr136
                                        ; implicit-def: $vgpr137
                                        ; implicit-def: $vgpr138
	s_wait_kmcnt 0x0
	s_cmp_lt_u32 s31, s12
	s_cselect_b32 s42, 14, 20
	s_delay_alu instid0(SALU_CYCLE_1)
	s_add_nc_u64 s[12:13], s[34:35], s[42:43]
	s_mov_b32 s42, s54
	s_load_u16 s12, s[12:13], 0x0
	s_wait_xcnt 0x0
	v_cmp_lt_u32_e64 s13, 1, v101
	s_wait_dscnt 0x0
	s_wait_kmcnt 0x0
	v_mad_u32_u24 v23, v89, s12, v90
	s_and_b32 s12, s14, 0xffff
	v_cmp_lt_u32_e64 s14, 3, v101
	s_delay_alu instid0(VALU_DEP_2) | instskip(SKIP_2) | instid1(VALU_DEP_3)
	v_mad_u32 v24, v23, s12, v2
	v_mov_b32_e32 v23, v5
	v_cmp_eq_u32_e64 s12, 0, v101
	v_lshrrev_b32_e32 v28, 3, v24
	v_add_nc_u64_e32 v[24:25], v[0:1], v[4:5]
	s_delay_alu instid0(VALU_DEP_4) | instskip(NEXT) | instid1(VALU_DEP_3)
	v_add_nc_u64_e32 v[26:27], v[8:9], v[22:23]
	v_and_b32_e32 v23, 0x1ffffffc, v28
                                        ; implicit-def: $vgpr28_vgpr29
	s_branch .LBB1730_96
.LBB1730_95:                            ;   in Loop: Header=BB1730_96 Depth=2
	s_or_b32 exec_lo, exec_lo, s15
	s_addk_co_i32 s53, 0xf000
	s_cmp_lt_u32 s57, s51
	s_mov_b32 s42, s57
	s_cbranch_scc0 .LBB1730_304
.LBB1730_96:                            ;   Parent Loop BB1730_12 Depth=1
                                        ; =>  This Inner Loop Header: Depth=2
	s_add_co_i32 s57, s42, 0x1000
	s_delay_alu instid0(SALU_CYCLE_1)
	s_cmp_gt_u32 s57, s51
	s_cbranch_scc1 .LBB1730_98
; %bb.97:                               ;   in Loop: Header=BB1730_96 Depth=2
	s_delay_alu instid0(VALU_DEP_2)
	v_lshl_add_u64 v[60:61], s[42:43], 1, v[26:27]
	s_mov_b32 s15, -1
	s_clause 0xe
	global_load_u16 v140, v[60:61], off
	global_load_u16 v141, v[60:61], off offset:64
	global_load_u16 v144, v[60:61], off offset:128
	;; [unrolled: 1-line block ×14, first 2 shown]
	s_movk_i32 s16, 0x1000
	s_cbranch_execz .LBB1730_99
	s_branch .LBB1730_130
.LBB1730_98:                            ;   in Loop: Header=BB1730_96 Depth=2
	s_mov_b32 s15, 0
                                        ; implicit-def: $vgpr140
                                        ; implicit-def: $vgpr141
                                        ; implicit-def: $vgpr144
                                        ; implicit-def: $vgpr148
                                        ; implicit-def: $vgpr152
                                        ; implicit-def: $vgpr156
                                        ; implicit-def: $vgpr160
                                        ; implicit-def: $vgpr164
                                        ; implicit-def: $vgpr168
                                        ; implicit-def: $vgpr67
                                        ; implicit-def: $vgpr66
                                        ; implicit-def: $vgpr65
                                        ; implicit-def: $vgpr64
                                        ; implicit-def: $vgpr63
                                        ; implicit-def: $vgpr62
	s_movk_i32 s16, 0x1000
.LBB1730_99:                            ;   in Loop: Header=BB1730_96 Depth=2
	s_wait_xcnt 0x0
	v_lshl_add_u64 v[60:61], s[42:43], 1, v[26:27]
	s_wait_loadcnt 0xd
	v_dual_mov_b32 v141, -1 :: v_dual_mov_b32 v140, -1
	s_mov_b32 s15, exec_lo
	v_cmpx_gt_u32_e64 s53, v100
	s_cbranch_execz .LBB1730_101
; %bb.100:                              ;   in Loop: Header=BB1730_96 Depth=2
	global_load_u16 v140, v[60:61], off
.LBB1730_101:                           ;   in Loop: Header=BB1730_96 Depth=2
	s_wait_xcnt 0x0
	s_or_b32 exec_lo, exec_lo, s15
	s_delay_alu instid0(SALU_CYCLE_1)
	s_mov_b32 s15, exec_lo
	v_cmpx_gt_u32_e64 s53, v103
	s_cbranch_execz .LBB1730_103
; %bb.102:                              ;   in Loop: Header=BB1730_96 Depth=2
	global_load_u16 v141, v[60:61], off offset:64
.LBB1730_103:                           ;   in Loop: Header=BB1730_96 Depth=2
	s_wait_xcnt 0x0
	s_or_b32 exec_lo, exec_lo, s15
	s_wait_loadcnt 0xb
	v_dual_mov_b32 v148, -1 :: v_dual_mov_b32 v144, -1
	s_mov_b32 s15, exec_lo
	v_cmpx_gt_u32_e64 s53, v104
	s_cbranch_execz .LBB1730_105
; %bb.104:                              ;   in Loop: Header=BB1730_96 Depth=2
	global_load_u16 v144, v[60:61], off offset:128
.LBB1730_105:                           ;   in Loop: Header=BB1730_96 Depth=2
	s_wait_xcnt 0x0
	s_or_b32 exec_lo, exec_lo, s15
	s_delay_alu instid0(SALU_CYCLE_1)
	s_mov_b32 s15, exec_lo
	v_cmpx_gt_u32_e64 s53, v105
	s_cbranch_execz .LBB1730_107
; %bb.106:                              ;   in Loop: Header=BB1730_96 Depth=2
	global_load_u16 v148, v[60:61], off offset:192
.LBB1730_107:                           ;   in Loop: Header=BB1730_96 Depth=2
	s_wait_xcnt 0x0
	s_or_b32 exec_lo, exec_lo, s15
	s_wait_loadcnt 0x9
	v_dual_mov_b32 v156, -1 :: v_dual_mov_b32 v152, -1
	s_mov_b32 s15, exec_lo
	v_cmpx_gt_u32_e64 s53, v106
	s_cbranch_execz .LBB1730_109
; %bb.108:                              ;   in Loop: Header=BB1730_96 Depth=2
	global_load_u16 v152, v[60:61], off offset:256
.LBB1730_109:                           ;   in Loop: Header=BB1730_96 Depth=2
	;; [unrolled: 19-line block ×6, first 2 shown]
	s_wait_xcnt 0x0
	s_or_b32 exec_lo, exec_lo, s15
	s_delay_alu instid0(SALU_CYCLE_1)
	s_mov_b32 s15, exec_lo
	v_cmpx_gt_u32_e64 s53, v115
	s_cbranch_execz .LBB1730_127
; %bb.126:                              ;   in Loop: Header=BB1730_96 Depth=2
	global_load_u16 v63, v[60:61], off offset:832
.LBB1730_127:                           ;   in Loop: Header=BB1730_96 Depth=2
	s_wait_xcnt 0x0
	s_or_b32 exec_lo, exec_lo, s15
	s_wait_loadcnt 0x0
	v_mov_b32_e32 v62, -1
	s_mov_b32 s15, exec_lo
	v_cmpx_gt_u32_e64 s53, v116
	s_cbranch_execz .LBB1730_129
; %bb.128:                              ;   in Loop: Header=BB1730_96 Depth=2
	global_load_u16 v62, v[60:61], off offset:896
.LBB1730_129:                           ;   in Loop: Header=BB1730_96 Depth=2
	s_wait_xcnt 0x0
	s_or_b32 exec_lo, exec_lo, s15
	v_cmp_gt_u32_e64 s15, s53, v117
	s_sub_co_i32 s16, s51, s42
.LBB1730_130:                           ;   in Loop: Header=BB1730_96 Depth=2
	s_wait_xcnt 0x0
	v_dual_mov_b32 v60, -1 :: v_dual_mov_b32 v139, s53
	s_and_saveexec_b32 s17, s15
	s_cbranch_execz .LBB1730_132
; %bb.131:                              ;   in Loop: Header=BB1730_96 Depth=2
	v_lshl_add_u64 v[60:61], s[42:43], 1, v[26:27]
	v_mov_b32_e32 v139, s16
	global_load_u16 v60, v[60:61], off offset:960
.LBB1730_132:                           ;   in Loop: Header=BB1730_96 Depth=2
	s_wait_xcnt 0x0
	s_or_b32 exec_lo, exec_lo, s17
	s_wait_loadcnt 0xe
	v_cmp_gt_i16_e64 vcc_lo, 0, v140
	ds_store_2addr_b32 v121, v5, v5 offset1:1
	ds_store_2addr_b32 v118, v5, v5 offset1:1
	;; [unrolled: 1-line block ×4, first 2 shown]
	ds_store_b32 v91, v5 offset:1088
	s_wait_loadcnt_dscnt 0x0
	s_barrier_signal -1
	v_cndmask_b32_e64 v61, 0x7fff, 0, vcc_lo
	s_barrier_wait -1
	; wave barrier
	s_delay_alu instid0(VALU_DEP_1) | instskip(NEXT) | instid1(VALU_DEP_1)
	v_xor_b32_e32 v140, v61, v140
	v_cmp_ne_u16_e64 vcc_lo, 0x8000, v140
	v_cndmask_b32_e32 v61, 0x7fff, v140, vcc_lo
	s_delay_alu instid0(VALU_DEP_1) | instskip(NEXT) | instid1(VALU_DEP_1)
	v_and_b32_e32 v61, 0xffff, v61
	v_lshrrev_b32_e32 v61, s48, v61
	s_delay_alu instid0(VALU_DEP_1) | instskip(SKIP_1) | instid1(VALU_DEP_2)
	v_bitop3_b32 v142, v61, 1, s52 bitop3:0x80
	v_and_b32_e32 v143, s52, v61
	v_add_co_u32 v61, s15, v142, -1
	s_delay_alu instid0(VALU_DEP_1) | instskip(NEXT) | instid1(VALU_DEP_3)
	v_cndmask_b32_e64 v142, 0, 1, s15
	v_lshlrev_b32_e32 v145, 30, v143
	s_delay_alu instid0(VALU_DEP_2) | instskip(NEXT) | instid1(VALU_DEP_2)
	v_cmp_ne_u32_e32 vcc_lo, 0, v142
	v_not_b32_e32 v142, v145
	s_delay_alu instid0(VALU_DEP_1) | instskip(SKIP_3) | instid1(VALU_DEP_4)
	v_dual_ashrrev_i32 v142, 31, v142 :: v_dual_lshlrev_b32 v146, 29, v143
	v_dual_lshlrev_b32 v147, 28, v143 :: v_dual_lshlrev_b32 v149, 27, v143
	v_lshlrev_b32_e32 v150, 26, v143
	v_cmp_gt_i32_e64 s15, 0, v145
	v_cmp_gt_i32_e64 s16, 0, v146
	v_not_b32_e32 v145, v146
	v_not_b32_e32 v146, v147
	v_dual_lshlrev_b32 v151, 25, v143 :: v_dual_lshlrev_b32 v153, 24, v143
	v_cmp_gt_i32_e64 s17, 0, v147
	v_cmp_gt_i32_e64 s18, 0, v149
	v_not_b32_e32 v147, v149
	v_not_b32_e32 v149, v150
	v_dual_ashrrev_i32 v146, 31, v146 :: v_dual_bitop2_b32 v61, vcc_lo, v61 bitop3:0x14
	v_dual_ashrrev_i32 v145, 31, v145 :: v_dual_bitop2_b32 v142, s15, v142 bitop3:0x14
	v_cmp_gt_i32_e64 s19, 0, v150
	v_cmp_gt_i32_e64 s20, 0, v151
	v_not_b32_e32 v150, v151
	v_not_b32_e32 v151, v153
	v_dual_ashrrev_i32 v147, 31, v147 :: v_dual_ashrrev_i32 v149, 31, v149
	v_xor_b32_e32 v145, s16, v145
	v_xor_b32_e32 v146, s17, v146
	v_bitop3_b32 v61, v61, v142, exec_lo bitop3:0x80
	v_cmp_gt_i32_e64 s21, 0, v153
	v_dual_ashrrev_i32 v142, 31, v150 :: v_dual_ashrrev_i32 v150, 31, v151
	v_xor_b32_e32 v147, s18, v147
	s_delay_alu instid0(VALU_DEP_4) | instskip(SKIP_3) | instid1(VALU_DEP_3)
	v_bitop3_b32 v61, v61, v146, v145 bitop3:0x80
	v_mul_u32_u24_e32 v143, 36, v143
	v_xor_b32_e32 v149, s19, v149
	v_xor_b32_e32 v142, s20, v142
	v_dual_add_nc_u32 v143, v23, v143 :: v_dual_bitop2_b32 v145, s21, v150 bitop3:0x14
	s_delay_alu instid0(VALU_DEP_3) | instskip(NEXT) | instid1(VALU_DEP_1)
	v_bitop3_b32 v61, v61, v149, v147 bitop3:0x80
	v_bitop3_b32 v61, v61, v145, v142 bitop3:0x80
	s_delay_alu instid0(VALU_DEP_1) | instskip(SKIP_1) | instid1(VALU_DEP_2)
	v_mbcnt_lo_u32_b32 v142, v61, 0
	v_cmp_ne_u32_e64 s15, 0, v61
	v_cmp_eq_u32_e32 vcc_lo, 0, v142
	s_and_b32 s16, s15, vcc_lo
	s_delay_alu instid0(SALU_CYCLE_1)
	s_and_saveexec_b32 s15, s16
; %bb.133:                              ;   in Loop: Header=BB1730_96 Depth=2
	v_bcnt_u32_b32 v61, v61, 0
	ds_store_b32 v143, v61 offset:1056
; %bb.134:                              ;   in Loop: Header=BB1730_96 Depth=2
	s_or_b32 exec_lo, exec_lo, s15
	v_cmp_gt_i16_e64 vcc_lo, 0, v141
	; wave barrier
	s_delay_alu instid0(VALU_DEP_1) | instskip(NEXT) | instid1(VALU_DEP_1)
	v_cndmask_b32_e64 v61, 0x7fff, 0, vcc_lo
	v_xor_b32_e32 v141, v61, v141
	s_delay_alu instid0(VALU_DEP_1) | instskip(SKIP_1) | instid1(VALU_DEP_1)
	v_cmp_ne_u16_e64 vcc_lo, 0x8000, v141
	v_cndmask_b32_e32 v61, 0x7fff, v141, vcc_lo
	v_and_b32_e32 v61, 0xffff, v61
	s_delay_alu instid0(VALU_DEP_1) | instskip(NEXT) | instid1(VALU_DEP_1)
	v_lshrrev_b32_e32 v61, s48, v61
	v_and_b32_e32 v147, s52, v61
	s_delay_alu instid0(VALU_DEP_1) | instskip(SKIP_2) | instid1(VALU_DEP_3)
	v_lshlrev_b32_e32 v149, 29, v147
	v_bitop3_b32 v145, v61, 1, s52 bitop3:0x80
	v_lshlrev_b32_e32 v146, 30, v147
	v_cmp_gt_i32_e64 s16, 0, v149
	s_delay_alu instid0(VALU_DEP_3) | instskip(NEXT) | instid1(VALU_DEP_1)
	v_add_co_u32 v61, s15, v145, -1
	v_cndmask_b32_e64 v145, 0, 1, s15
	s_delay_alu instid0(VALU_DEP_4) | instskip(NEXT) | instid1(VALU_DEP_2)
	v_cmp_gt_i32_e64 s15, 0, v146
	v_cmp_ne_u32_e32 vcc_lo, 0, v145
	v_not_b32_e32 v145, v146
	v_not_b32_e32 v146, v149
	s_delay_alu instid0(VALU_DEP_1) | instskip(SKIP_2) | instid1(VALU_DEP_3)
	v_dual_ashrrev_i32 v146, 31, v146 :: v_dual_lshlrev_b32 v150, 28, v147
	v_dual_lshlrev_b32 v151, 27, v147 :: v_dual_lshlrev_b32 v153, 26, v147
	v_dual_lshlrev_b32 v154, 25, v147 :: v_dual_lshlrev_b32 v155, 24, v147
	v_cmp_gt_i32_e64 s17, 0, v150
	v_not_b32_e32 v149, v150
	s_delay_alu instid0(VALU_DEP_4)
	v_not_b32_e32 v150, v151
	v_ashrrev_i32_e32 v145, 31, v145
	v_cmp_gt_i32_e64 s18, 0, v151
	v_cmp_gt_i32_e64 s19, 0, v153
	v_not_b32_e32 v151, v153
	v_cmp_gt_i32_e64 s20, 0, v154
	v_not_b32_e32 v153, v154
	v_not_b32_e32 v154, v155
	s_delay_alu instid0(VALU_DEP_4) | instskip(SKIP_3) | instid1(VALU_DEP_3)
	v_dual_ashrrev_i32 v151, 31, v151 :: v_dual_bitop2_b32 v61, vcc_lo, v61 bitop3:0x14
	v_dual_ashrrev_i32 v149, 31, v149 :: v_dual_bitop2_b32 v146, s16, v146 bitop3:0x14
	v_dual_ashrrev_i32 v150, 31, v150 :: v_dual_bitop2_b32 v145, s15, v145 bitop3:0x14
	v_cmp_gt_i32_e64 s21, 0, v155
	v_xor_b32_e32 v149, s17, v149
	v_xor_b32_e32 v151, s19, v151
	s_delay_alu instid0(VALU_DEP_4) | instskip(SKIP_2) | instid1(VALU_DEP_2)
	v_xor_b32_e32 v150, s18, v150
	v_bitop3_b32 v61, v61, v145, exec_lo bitop3:0x80
	v_dual_ashrrev_i32 v145, 31, v153 :: v_dual_ashrrev_i32 v153, 31, v154
	v_bitop3_b32 v61, v61, v149, v146 bitop3:0x80
	v_mad_u32_u24 v146, v147, 36, v23
	s_delay_alu instid0(VALU_DEP_3) | instskip(NEXT) | instid1(VALU_DEP_4)
	v_xor_b32_e32 v149, s20, v145
	v_xor_b32_e32 v153, s21, v153
	v_mul_u32_u24_e32 v147, 36, v147
	v_bitop3_b32 v61, v61, v151, v150 bitop3:0x80
	ds_load_b32 v145, v146 offset:1056
	; wave barrier
	v_add_nc_u32_e32 v147, v23, v147
	v_bitop3_b32 v61, v61, v153, v149 bitop3:0x80
	s_delay_alu instid0(VALU_DEP_1) | instskip(SKIP_1) | instid1(VALU_DEP_2)
	v_mbcnt_lo_u32_b32 v146, v61, 0
	v_cmp_ne_u32_e64 s15, 0, v61
	v_cmp_eq_u32_e32 vcc_lo, 0, v146
	s_and_b32 s16, s15, vcc_lo
	s_delay_alu instid0(SALU_CYCLE_1)
	s_and_saveexec_b32 s15, s16
	s_cbranch_execz .LBB1730_136
; %bb.135:                              ;   in Loop: Header=BB1730_96 Depth=2
	s_wait_dscnt 0x0
	v_bcnt_u32_b32 v61, v61, v145
	ds_store_b32 v147, v61 offset:1056
.LBB1730_136:                           ;   in Loop: Header=BB1730_96 Depth=2
	s_or_b32 exec_lo, exec_lo, s15
	v_cmp_gt_i16_e64 vcc_lo, 0, v144
	; wave barrier
	s_delay_alu instid0(VALU_DEP_1) | instskip(NEXT) | instid1(VALU_DEP_1)
	v_cndmask_b32_e64 v61, 0x7fff, 0, vcc_lo
	v_xor_b32_e32 v144, v61, v144
	s_delay_alu instid0(VALU_DEP_1) | instskip(SKIP_1) | instid1(VALU_DEP_1)
	v_cmp_ne_u16_e64 vcc_lo, 0x8000, v144
	v_cndmask_b32_e32 v61, 0x7fff, v144, vcc_lo
	v_and_b32_e32 v61, 0xffff, v61
	s_delay_alu instid0(VALU_DEP_1) | instskip(NEXT) | instid1(VALU_DEP_1)
	v_lshrrev_b32_e32 v61, s48, v61
	v_bitop3_b32 v149, v61, 1, s52 bitop3:0x80
	v_and_b32_e32 v151, s52, v61
	s_delay_alu instid0(VALU_DEP_2) | instskip(NEXT) | instid1(VALU_DEP_1)
	v_add_co_u32 v61, s15, v149, -1
	v_cndmask_b32_e64 v149, 0, 1, s15
	s_delay_alu instid0(VALU_DEP_3) | instskip(NEXT) | instid1(VALU_DEP_2)
	v_dual_lshlrev_b32 v150, 30, v151 :: v_dual_lshlrev_b32 v153, 29, v151
	v_cmp_ne_u32_e32 vcc_lo, 0, v149
	s_delay_alu instid0(VALU_DEP_2) | instskip(SKIP_1) | instid1(VALU_DEP_4)
	v_cmp_gt_i32_e64 s15, 0, v150
	v_not_b32_e32 v149, v150
	v_not_b32_e32 v150, v153
	s_delay_alu instid0(VALU_DEP_1) | instskip(SKIP_3) | instid1(VALU_DEP_4)
	v_dual_ashrrev_i32 v150, 31, v150 :: v_dual_lshlrev_b32 v154, 28, v151
	v_dual_lshlrev_b32 v155, 27, v151 :: v_dual_lshlrev_b32 v157, 26, v151
	v_dual_lshlrev_b32 v158, 25, v151 :: v_dual_lshlrev_b32 v159, 24, v151
	v_cmp_gt_i32_e64 s16, 0, v153
	v_cmp_gt_i32_e64 s17, 0, v154
	v_not_b32_e32 v153, v154
	v_not_b32_e32 v154, v155
	v_ashrrev_i32_e32 v149, 31, v149
	v_cmp_gt_i32_e64 s18, 0, v155
	v_cmp_gt_i32_e64 s19, 0, v157
	v_not_b32_e32 v155, v157
	v_cmp_gt_i32_e64 s20, 0, v158
	v_not_b32_e32 v157, v158
	v_not_b32_e32 v158, v159
	s_delay_alu instid0(VALU_DEP_4) | instskip(SKIP_3) | instid1(VALU_DEP_3)
	v_dual_ashrrev_i32 v155, 31, v155 :: v_dual_bitop2_b32 v61, vcc_lo, v61 bitop3:0x14
	v_dual_ashrrev_i32 v153, 31, v153 :: v_dual_bitop2_b32 v150, s16, v150 bitop3:0x14
	v_dual_ashrrev_i32 v154, 31, v154 :: v_dual_bitop2_b32 v149, s15, v149 bitop3:0x14
	v_cmp_gt_i32_e64 s21, 0, v159
	v_xor_b32_e32 v153, s17, v153
	v_xor_b32_e32 v155, s19, v155
	s_delay_alu instid0(VALU_DEP_4) | instskip(SKIP_2) | instid1(VALU_DEP_2)
	v_xor_b32_e32 v154, s18, v154
	v_bitop3_b32 v61, v61, v149, exec_lo bitop3:0x80
	v_dual_ashrrev_i32 v149, 31, v157 :: v_dual_ashrrev_i32 v157, 31, v158
	v_bitop3_b32 v61, v61, v153, v150 bitop3:0x80
	v_mad_u32_u24 v150, v151, 36, v23
	s_delay_alu instid0(VALU_DEP_3) | instskip(NEXT) | instid1(VALU_DEP_4)
	v_xor_b32_e32 v153, s20, v149
	v_xor_b32_e32 v157, s21, v157
	v_mul_u32_u24_e32 v151, 36, v151
	v_bitop3_b32 v61, v61, v155, v154 bitop3:0x80
	ds_load_b32 v149, v150 offset:1056
	; wave barrier
	v_add_nc_u32_e32 v151, v23, v151
	v_bitop3_b32 v61, v61, v157, v153 bitop3:0x80
	s_delay_alu instid0(VALU_DEP_1) | instskip(SKIP_1) | instid1(VALU_DEP_2)
	v_mbcnt_lo_u32_b32 v150, v61, 0
	v_cmp_ne_u32_e64 s15, 0, v61
	v_cmp_eq_u32_e32 vcc_lo, 0, v150
	s_and_b32 s16, s15, vcc_lo
	s_delay_alu instid0(SALU_CYCLE_1)
	s_and_saveexec_b32 s15, s16
	s_cbranch_execz .LBB1730_138
; %bb.137:                              ;   in Loop: Header=BB1730_96 Depth=2
	s_wait_dscnt 0x0
	v_bcnt_u32_b32 v61, v61, v149
	ds_store_b32 v151, v61 offset:1056
.LBB1730_138:                           ;   in Loop: Header=BB1730_96 Depth=2
	s_or_b32 exec_lo, exec_lo, s15
	v_cmp_gt_i16_e64 vcc_lo, 0, v148
	; wave barrier
	s_delay_alu instid0(VALU_DEP_1) | instskip(NEXT) | instid1(VALU_DEP_1)
	v_cndmask_b32_e64 v61, 0x7fff, 0, vcc_lo
	v_xor_b32_e32 v148, v61, v148
	s_delay_alu instid0(VALU_DEP_1) | instskip(SKIP_1) | instid1(VALU_DEP_1)
	v_cmp_ne_u16_e64 vcc_lo, 0x8000, v148
	v_cndmask_b32_e32 v61, 0x7fff, v148, vcc_lo
	v_and_b32_e32 v61, 0xffff, v61
	s_delay_alu instid0(VALU_DEP_1) | instskip(NEXT) | instid1(VALU_DEP_1)
	v_lshrrev_b32_e32 v61, s48, v61
	v_bitop3_b32 v153, v61, 1, s52 bitop3:0x80
	v_and_b32_e32 v155, s52, v61
	s_delay_alu instid0(VALU_DEP_2) | instskip(NEXT) | instid1(VALU_DEP_1)
	v_add_co_u32 v61, s15, v153, -1
	v_cndmask_b32_e64 v153, 0, 1, s15
	s_delay_alu instid0(VALU_DEP_3) | instskip(NEXT) | instid1(VALU_DEP_2)
	v_dual_lshlrev_b32 v154, 30, v155 :: v_dual_lshlrev_b32 v157, 29, v155
	v_cmp_ne_u32_e32 vcc_lo, 0, v153
	s_delay_alu instid0(VALU_DEP_2) | instskip(SKIP_1) | instid1(VALU_DEP_4)
	v_cmp_gt_i32_e64 s15, 0, v154
	v_not_b32_e32 v153, v154
	v_not_b32_e32 v154, v157
	s_delay_alu instid0(VALU_DEP_1) | instskip(SKIP_3) | instid1(VALU_DEP_4)
	v_dual_ashrrev_i32 v154, 31, v154 :: v_dual_lshlrev_b32 v158, 28, v155
	v_dual_lshlrev_b32 v159, 27, v155 :: v_dual_lshlrev_b32 v161, 26, v155
	v_dual_lshlrev_b32 v162, 25, v155 :: v_dual_lshlrev_b32 v163, 24, v155
	v_cmp_gt_i32_e64 s16, 0, v157
	v_cmp_gt_i32_e64 s17, 0, v158
	v_not_b32_e32 v157, v158
	v_not_b32_e32 v158, v159
	v_ashrrev_i32_e32 v153, 31, v153
	v_cmp_gt_i32_e64 s18, 0, v159
	v_cmp_gt_i32_e64 s19, 0, v161
	v_not_b32_e32 v159, v161
	v_cmp_gt_i32_e64 s20, 0, v162
	v_not_b32_e32 v161, v162
	v_not_b32_e32 v162, v163
	s_delay_alu instid0(VALU_DEP_4) | instskip(SKIP_3) | instid1(VALU_DEP_3)
	v_dual_ashrrev_i32 v159, 31, v159 :: v_dual_bitop2_b32 v61, vcc_lo, v61 bitop3:0x14
	v_dual_ashrrev_i32 v157, 31, v157 :: v_dual_bitop2_b32 v154, s16, v154 bitop3:0x14
	v_dual_ashrrev_i32 v158, 31, v158 :: v_dual_bitop2_b32 v153, s15, v153 bitop3:0x14
	v_cmp_gt_i32_e64 s21, 0, v163
	v_xor_b32_e32 v157, s17, v157
	v_xor_b32_e32 v159, s19, v159
	s_delay_alu instid0(VALU_DEP_4) | instskip(SKIP_2) | instid1(VALU_DEP_2)
	v_xor_b32_e32 v158, s18, v158
	v_bitop3_b32 v61, v61, v153, exec_lo bitop3:0x80
	v_dual_ashrrev_i32 v153, 31, v161 :: v_dual_ashrrev_i32 v161, 31, v162
	v_bitop3_b32 v61, v61, v157, v154 bitop3:0x80
	v_mad_u32_u24 v154, v155, 36, v23
	s_delay_alu instid0(VALU_DEP_3) | instskip(NEXT) | instid1(VALU_DEP_4)
	v_xor_b32_e32 v157, s20, v153
	v_xor_b32_e32 v161, s21, v161
	v_mul_u32_u24_e32 v155, 36, v155
	v_bitop3_b32 v61, v61, v159, v158 bitop3:0x80
	ds_load_b32 v153, v154 offset:1056
	; wave barrier
	v_add_nc_u32_e32 v155, v23, v155
	v_bitop3_b32 v61, v61, v161, v157 bitop3:0x80
	s_delay_alu instid0(VALU_DEP_1) | instskip(SKIP_1) | instid1(VALU_DEP_2)
	v_mbcnt_lo_u32_b32 v154, v61, 0
	v_cmp_ne_u32_e64 s15, 0, v61
	v_cmp_eq_u32_e32 vcc_lo, 0, v154
	s_and_b32 s16, s15, vcc_lo
	s_delay_alu instid0(SALU_CYCLE_1)
	s_and_saveexec_b32 s15, s16
	s_cbranch_execz .LBB1730_140
; %bb.139:                              ;   in Loop: Header=BB1730_96 Depth=2
	s_wait_dscnt 0x0
	v_bcnt_u32_b32 v61, v61, v153
	ds_store_b32 v155, v61 offset:1056
.LBB1730_140:                           ;   in Loop: Header=BB1730_96 Depth=2
	s_or_b32 exec_lo, exec_lo, s15
	v_cmp_gt_i16_e64 vcc_lo, 0, v152
	; wave barrier
	s_delay_alu instid0(VALU_DEP_1) | instskip(NEXT) | instid1(VALU_DEP_1)
	v_cndmask_b32_e64 v61, 0x7fff, 0, vcc_lo
	v_xor_b32_e32 v152, v61, v152
	s_delay_alu instid0(VALU_DEP_1) | instskip(SKIP_1) | instid1(VALU_DEP_1)
	v_cmp_ne_u16_e64 vcc_lo, 0x8000, v152
	v_cndmask_b32_e32 v61, 0x7fff, v152, vcc_lo
	v_and_b32_e32 v61, 0xffff, v61
	s_delay_alu instid0(VALU_DEP_1) | instskip(NEXT) | instid1(VALU_DEP_1)
	v_lshrrev_b32_e32 v61, s48, v61
	v_bitop3_b32 v157, v61, 1, s52 bitop3:0x80
	v_and_b32_e32 v159, s52, v61
	s_delay_alu instid0(VALU_DEP_2) | instskip(NEXT) | instid1(VALU_DEP_1)
	v_add_co_u32 v61, s15, v157, -1
	v_cndmask_b32_e64 v157, 0, 1, s15
	s_delay_alu instid0(VALU_DEP_3) | instskip(NEXT) | instid1(VALU_DEP_2)
	v_dual_lshlrev_b32 v158, 30, v159 :: v_dual_lshlrev_b32 v161, 29, v159
	v_cmp_ne_u32_e32 vcc_lo, 0, v157
	s_delay_alu instid0(VALU_DEP_2) | instskip(SKIP_1) | instid1(VALU_DEP_4)
	v_cmp_gt_i32_e64 s15, 0, v158
	v_not_b32_e32 v157, v158
	v_not_b32_e32 v158, v161
	s_delay_alu instid0(VALU_DEP_1) | instskip(SKIP_3) | instid1(VALU_DEP_4)
	v_dual_ashrrev_i32 v158, 31, v158 :: v_dual_lshlrev_b32 v162, 28, v159
	v_dual_lshlrev_b32 v163, 27, v159 :: v_dual_lshlrev_b32 v165, 26, v159
	v_dual_lshlrev_b32 v166, 25, v159 :: v_dual_lshlrev_b32 v167, 24, v159
	v_cmp_gt_i32_e64 s16, 0, v161
	v_cmp_gt_i32_e64 s17, 0, v162
	v_not_b32_e32 v161, v162
	v_not_b32_e32 v162, v163
	v_ashrrev_i32_e32 v157, 31, v157
	v_cmp_gt_i32_e64 s18, 0, v163
	v_cmp_gt_i32_e64 s19, 0, v165
	v_not_b32_e32 v163, v165
	v_cmp_gt_i32_e64 s20, 0, v166
	v_not_b32_e32 v165, v166
	v_not_b32_e32 v166, v167
	s_delay_alu instid0(VALU_DEP_4) | instskip(SKIP_3) | instid1(VALU_DEP_3)
	v_dual_ashrrev_i32 v163, 31, v163 :: v_dual_bitop2_b32 v61, vcc_lo, v61 bitop3:0x14
	v_dual_ashrrev_i32 v161, 31, v161 :: v_dual_bitop2_b32 v158, s16, v158 bitop3:0x14
	v_dual_ashrrev_i32 v162, 31, v162 :: v_dual_bitop2_b32 v157, s15, v157 bitop3:0x14
	v_cmp_gt_i32_e64 s21, 0, v167
	v_xor_b32_e32 v161, s17, v161
	v_xor_b32_e32 v163, s19, v163
	s_delay_alu instid0(VALU_DEP_4) | instskip(SKIP_2) | instid1(VALU_DEP_2)
	v_xor_b32_e32 v162, s18, v162
	v_bitop3_b32 v61, v61, v157, exec_lo bitop3:0x80
	v_dual_ashrrev_i32 v157, 31, v165 :: v_dual_ashrrev_i32 v165, 31, v166
	v_bitop3_b32 v61, v61, v161, v158 bitop3:0x80
	v_mad_u32_u24 v158, v159, 36, v23
	s_delay_alu instid0(VALU_DEP_3) | instskip(NEXT) | instid1(VALU_DEP_4)
	v_xor_b32_e32 v161, s20, v157
	v_xor_b32_e32 v165, s21, v165
	v_mul_u32_u24_e32 v159, 36, v159
	v_bitop3_b32 v61, v61, v163, v162 bitop3:0x80
	ds_load_b32 v157, v158 offset:1056
	; wave barrier
	v_add_nc_u32_e32 v159, v23, v159
	v_bitop3_b32 v61, v61, v165, v161 bitop3:0x80
	s_delay_alu instid0(VALU_DEP_1) | instskip(SKIP_1) | instid1(VALU_DEP_2)
	v_mbcnt_lo_u32_b32 v158, v61, 0
	v_cmp_ne_u32_e64 s15, 0, v61
	v_cmp_eq_u32_e32 vcc_lo, 0, v158
	s_and_b32 s16, s15, vcc_lo
	s_delay_alu instid0(SALU_CYCLE_1)
	s_and_saveexec_b32 s15, s16
	s_cbranch_execz .LBB1730_142
; %bb.141:                              ;   in Loop: Header=BB1730_96 Depth=2
	s_wait_dscnt 0x0
	v_bcnt_u32_b32 v61, v61, v157
	ds_store_b32 v159, v61 offset:1056
.LBB1730_142:                           ;   in Loop: Header=BB1730_96 Depth=2
	s_or_b32 exec_lo, exec_lo, s15
	v_cmp_gt_i16_e64 vcc_lo, 0, v156
	; wave barrier
	s_delay_alu instid0(VALU_DEP_1) | instskip(NEXT) | instid1(VALU_DEP_1)
	v_cndmask_b32_e64 v61, 0x7fff, 0, vcc_lo
	v_xor_b32_e32 v156, v61, v156
	s_delay_alu instid0(VALU_DEP_1) | instskip(SKIP_1) | instid1(VALU_DEP_1)
	v_cmp_ne_u16_e64 vcc_lo, 0x8000, v156
	v_cndmask_b32_e32 v61, 0x7fff, v156, vcc_lo
	v_and_b32_e32 v61, 0xffff, v61
	s_delay_alu instid0(VALU_DEP_1) | instskip(NEXT) | instid1(VALU_DEP_1)
	v_lshrrev_b32_e32 v61, s48, v61
	v_bitop3_b32 v161, v61, 1, s52 bitop3:0x80
	v_and_b32_e32 v163, s52, v61
	s_delay_alu instid0(VALU_DEP_2) | instskip(NEXT) | instid1(VALU_DEP_1)
	v_add_co_u32 v61, s15, v161, -1
	v_cndmask_b32_e64 v161, 0, 1, s15
	s_delay_alu instid0(VALU_DEP_3) | instskip(NEXT) | instid1(VALU_DEP_2)
	v_dual_lshlrev_b32 v162, 30, v163 :: v_dual_lshlrev_b32 v165, 29, v163
	v_cmp_ne_u32_e32 vcc_lo, 0, v161
	s_delay_alu instid0(VALU_DEP_2) | instskip(SKIP_1) | instid1(VALU_DEP_4)
	v_cmp_gt_i32_e64 s15, 0, v162
	v_not_b32_e32 v161, v162
	v_not_b32_e32 v162, v165
	s_delay_alu instid0(VALU_DEP_1) | instskip(SKIP_3) | instid1(VALU_DEP_4)
	v_dual_ashrrev_i32 v162, 31, v162 :: v_dual_lshlrev_b32 v166, 28, v163
	v_dual_lshlrev_b32 v167, 27, v163 :: v_dual_lshlrev_b32 v169, 26, v163
	v_dual_lshlrev_b32 v170, 25, v163 :: v_dual_lshlrev_b32 v171, 24, v163
	v_cmp_gt_i32_e64 s16, 0, v165
	v_cmp_gt_i32_e64 s17, 0, v166
	v_not_b32_e32 v165, v166
	v_not_b32_e32 v166, v167
	v_ashrrev_i32_e32 v161, 31, v161
	v_cmp_gt_i32_e64 s18, 0, v167
	v_cmp_gt_i32_e64 s19, 0, v169
	v_not_b32_e32 v167, v169
	v_cmp_gt_i32_e64 s20, 0, v170
	v_not_b32_e32 v169, v170
	v_not_b32_e32 v170, v171
	s_delay_alu instid0(VALU_DEP_4) | instskip(SKIP_3) | instid1(VALU_DEP_3)
	v_dual_ashrrev_i32 v167, 31, v167 :: v_dual_bitop2_b32 v61, vcc_lo, v61 bitop3:0x14
	v_dual_ashrrev_i32 v165, 31, v165 :: v_dual_bitop2_b32 v162, s16, v162 bitop3:0x14
	v_dual_ashrrev_i32 v166, 31, v166 :: v_dual_bitop2_b32 v161, s15, v161 bitop3:0x14
	v_cmp_gt_i32_e64 s21, 0, v171
	v_xor_b32_e32 v165, s17, v165
	v_xor_b32_e32 v167, s19, v167
	s_delay_alu instid0(VALU_DEP_4) | instskip(SKIP_2) | instid1(VALU_DEP_2)
	v_xor_b32_e32 v166, s18, v166
	v_bitop3_b32 v61, v61, v161, exec_lo bitop3:0x80
	v_dual_ashrrev_i32 v161, 31, v169 :: v_dual_ashrrev_i32 v169, 31, v170
	v_bitop3_b32 v61, v61, v165, v162 bitop3:0x80
	v_mad_u32_u24 v162, v163, 36, v23
	s_delay_alu instid0(VALU_DEP_3) | instskip(NEXT) | instid1(VALU_DEP_4)
	v_xor_b32_e32 v165, s20, v161
	v_xor_b32_e32 v169, s21, v169
	v_mul_u32_u24_e32 v163, 36, v163
	v_bitop3_b32 v61, v61, v167, v166 bitop3:0x80
	ds_load_b32 v161, v162 offset:1056
	; wave barrier
	v_add_nc_u32_e32 v163, v23, v163
	v_bitop3_b32 v61, v61, v169, v165 bitop3:0x80
	s_delay_alu instid0(VALU_DEP_1) | instskip(SKIP_1) | instid1(VALU_DEP_2)
	v_mbcnt_lo_u32_b32 v162, v61, 0
	v_cmp_ne_u32_e64 s15, 0, v61
	v_cmp_eq_u32_e32 vcc_lo, 0, v162
	s_and_b32 s16, s15, vcc_lo
	s_delay_alu instid0(SALU_CYCLE_1)
	s_and_saveexec_b32 s15, s16
	s_cbranch_execz .LBB1730_144
; %bb.143:                              ;   in Loop: Header=BB1730_96 Depth=2
	s_wait_dscnt 0x0
	v_bcnt_u32_b32 v61, v61, v161
	ds_store_b32 v163, v61 offset:1056
.LBB1730_144:                           ;   in Loop: Header=BB1730_96 Depth=2
	s_or_b32 exec_lo, exec_lo, s15
	v_cmp_gt_i16_e64 vcc_lo, 0, v160
	; wave barrier
	s_delay_alu instid0(VALU_DEP_1) | instskip(NEXT) | instid1(VALU_DEP_1)
	v_cndmask_b32_e64 v61, 0x7fff, 0, vcc_lo
	v_xor_b32_e32 v160, v61, v160
	s_delay_alu instid0(VALU_DEP_1) | instskip(SKIP_1) | instid1(VALU_DEP_1)
	v_cmp_ne_u16_e64 vcc_lo, 0x8000, v160
	v_cndmask_b32_e32 v61, 0x7fff, v160, vcc_lo
	v_and_b32_e32 v61, 0xffff, v61
	s_delay_alu instid0(VALU_DEP_1) | instskip(NEXT) | instid1(VALU_DEP_1)
	v_lshrrev_b32_e32 v61, s48, v61
	v_bitop3_b32 v165, v61, 1, s52 bitop3:0x80
	v_and_b32_e32 v167, s52, v61
	s_delay_alu instid0(VALU_DEP_2) | instskip(NEXT) | instid1(VALU_DEP_1)
	v_add_co_u32 v61, s15, v165, -1
	v_cndmask_b32_e64 v165, 0, 1, s15
	s_delay_alu instid0(VALU_DEP_3) | instskip(NEXT) | instid1(VALU_DEP_2)
	v_dual_lshlrev_b32 v166, 30, v167 :: v_dual_lshlrev_b32 v169, 29, v167
	v_cmp_ne_u32_e32 vcc_lo, 0, v165
	s_delay_alu instid0(VALU_DEP_2) | instskip(SKIP_1) | instid1(VALU_DEP_4)
	v_cmp_gt_i32_e64 s15, 0, v166
	v_not_b32_e32 v165, v166
	v_not_b32_e32 v166, v169
	s_delay_alu instid0(VALU_DEP_1) | instskip(SKIP_3) | instid1(VALU_DEP_4)
	v_dual_ashrrev_i32 v166, 31, v166 :: v_dual_lshlrev_b32 v170, 28, v167
	v_dual_lshlrev_b32 v171, 27, v167 :: v_dual_lshlrev_b32 v172, 26, v167
	v_cmp_gt_i32_e64 s16, 0, v169
	v_dual_lshlrev_b32 v173, 25, v167 :: v_dual_lshlrev_b32 v174, 24, v167
	v_cmp_gt_i32_e64 s17, 0, v170
	v_not_b32_e32 v169, v170
	v_not_b32_e32 v170, v171
	v_ashrrev_i32_e32 v165, 31, v165
	v_cmp_gt_i32_e64 s18, 0, v171
	v_not_b32_e32 v171, v172
	v_xor_b32_e32 v61, vcc_lo, v61
	v_dual_ashrrev_i32 v169, 31, v169 :: v_dual_bitop2_b32 v166, s16, v166 bitop3:0x14
	v_dual_ashrrev_i32 v170, 31, v170 :: v_dual_bitop2_b32 v165, s15, v165 bitop3:0x14
	v_cmp_gt_i32_e64 s19, 0, v172
	v_cmp_gt_i32_e64 s20, 0, v173
	v_not_b32_e32 v172, v173
	v_not_b32_e32 v173, v174
	v_dual_ashrrev_i32 v171, 31, v171 :: v_dual_bitop2_b32 v169, s17, v169 bitop3:0x14
	v_bitop3_b32 v61, v61, v165, exec_lo bitop3:0x80
	v_cmp_gt_i32_e64 s21, 0, v174
	s_delay_alu instid0(VALU_DEP_4)
	v_dual_ashrrev_i32 v165, 31, v172 :: v_dual_ashrrev_i32 v172, 31, v173
	v_xor_b32_e32 v170, s18, v170
	v_xor_b32_e32 v171, s19, v171
	v_bitop3_b32 v61, v61, v169, v166 bitop3:0x80
	v_mad_u32_u24 v166, v167, 36, v23
	v_xor_b32_e32 v169, s20, v165
	v_xor_b32_e32 v172, s21, v172
	v_mul_u32_u24_e32 v167, 36, v167
	v_bitop3_b32 v61, v61, v171, v170 bitop3:0x80
	ds_load_b32 v165, v166 offset:1056
	; wave barrier
	v_add_nc_u32_e32 v167, v23, v167
	v_bitop3_b32 v61, v61, v172, v169 bitop3:0x80
	s_delay_alu instid0(VALU_DEP_1) | instskip(SKIP_1) | instid1(VALU_DEP_2)
	v_mbcnt_lo_u32_b32 v166, v61, 0
	v_cmp_ne_u32_e64 s15, 0, v61
	v_cmp_eq_u32_e32 vcc_lo, 0, v166
	s_and_b32 s16, s15, vcc_lo
	s_delay_alu instid0(SALU_CYCLE_1)
	s_and_saveexec_b32 s15, s16
	s_cbranch_execz .LBB1730_146
; %bb.145:                              ;   in Loop: Header=BB1730_96 Depth=2
	s_wait_dscnt 0x0
	v_bcnt_u32_b32 v61, v61, v165
	ds_store_b32 v167, v61 offset:1056
.LBB1730_146:                           ;   in Loop: Header=BB1730_96 Depth=2
	s_or_b32 exec_lo, exec_lo, s15
	v_cmp_gt_i16_e64 vcc_lo, 0, v164
	; wave barrier
	s_delay_alu instid0(VALU_DEP_1) | instskip(NEXT) | instid1(VALU_DEP_1)
	v_cndmask_b32_e64 v61, 0x7fff, 0, vcc_lo
	v_xor_b32_e32 v164, v61, v164
	s_delay_alu instid0(VALU_DEP_1) | instskip(SKIP_1) | instid1(VALU_DEP_1)
	v_cmp_ne_u16_e64 vcc_lo, 0x8000, v164
	v_cndmask_b32_e32 v61, 0x7fff, v164, vcc_lo
	v_and_b32_e32 v61, 0xffff, v61
	s_delay_alu instid0(VALU_DEP_1) | instskip(NEXT) | instid1(VALU_DEP_1)
	v_lshrrev_b32_e32 v61, s48, v61
	v_bitop3_b32 v169, v61, 1, s52 bitop3:0x80
	v_and_b32_e32 v171, s52, v61
	s_delay_alu instid0(VALU_DEP_2) | instskip(NEXT) | instid1(VALU_DEP_1)
	v_add_co_u32 v61, s15, v169, -1
	v_cndmask_b32_e64 v169, 0, 1, s15
	s_delay_alu instid0(VALU_DEP_3) | instskip(NEXT) | instid1(VALU_DEP_2)
	v_dual_lshlrev_b32 v170, 30, v171 :: v_dual_lshlrev_b32 v172, 29, v171
	v_cmp_ne_u32_e32 vcc_lo, 0, v169
	s_delay_alu instid0(VALU_DEP_2) | instskip(SKIP_1) | instid1(VALU_DEP_4)
	v_cmp_gt_i32_e64 s15, 0, v170
	v_not_b32_e32 v169, v170
	v_not_b32_e32 v170, v172
	s_delay_alu instid0(VALU_DEP_1) | instskip(SKIP_3) | instid1(VALU_DEP_4)
	v_dual_ashrrev_i32 v170, 31, v170 :: v_dual_lshlrev_b32 v173, 28, v171
	v_dual_lshlrev_b32 v174, 27, v171 :: v_dual_lshlrev_b32 v175, 26, v171
	v_dual_lshlrev_b32 v176, 25, v171 :: v_dual_lshlrev_b32 v177, 24, v171
	v_cmp_gt_i32_e64 s16, 0, v172
	v_not_b32_e32 v172, v173
	v_ashrrev_i32_e32 v169, 31, v169
	v_cmp_gt_i32_e64 s17, 0, v173
	v_cmp_gt_i32_e64 s18, 0, v174
	v_not_b32_e32 v173, v174
	v_cmp_gt_i32_e64 s19, 0, v175
	v_not_b32_e32 v174, v175
	;; [unrolled: 2-line block ×3, first 2 shown]
	v_not_b32_e32 v176, v177
	s_delay_alu instid0(VALU_DEP_4) | instskip(SKIP_3) | instid1(VALU_DEP_3)
	v_dual_ashrrev_i32 v174, 31, v174 :: v_dual_bitop2_b32 v61, vcc_lo, v61 bitop3:0x14
	v_dual_ashrrev_i32 v172, 31, v172 :: v_dual_bitop2_b32 v169, s15, v169 bitop3:0x14
	v_dual_ashrrev_i32 v173, 31, v173 :: v_dual_bitop2_b32 v170, s16, v170 bitop3:0x14
	v_cmp_gt_i32_e64 s21, 0, v177
	v_xor_b32_e32 v172, s17, v172
	s_delay_alu instid0(VALU_DEP_4) | instskip(SKIP_2) | instid1(VALU_DEP_3)
	v_bitop3_b32 v61, v61, v169, exec_lo bitop3:0x80
	v_dual_ashrrev_i32 v169, 31, v175 :: v_dual_ashrrev_i32 v175, 31, v176
	v_xor_b32_e32 v174, s19, v174
	v_bitop3_b32 v61, v61, v172, v170 bitop3:0x80
	v_mad_u32_u24 v170, v171, 36, v23
	v_mul_u32_u24_e32 v171, 36, v171
	v_xor_b32_e32 v173, s18, v173
	v_xor_b32_e32 v172, s20, v169
	;; [unrolled: 1-line block ×3, first 2 shown]
	ds_load_b32 v169, v170 offset:1056
	v_add_nc_u32_e32 v171, v23, v171
	v_bitop3_b32 v61, v61, v174, v173 bitop3:0x80
	; wave barrier
	s_delay_alu instid0(VALU_DEP_1) | instskip(NEXT) | instid1(VALU_DEP_1)
	v_bitop3_b32 v61, v61, v175, v172 bitop3:0x80
	v_mbcnt_lo_u32_b32 v170, v61, 0
	v_cmp_ne_u32_e64 s15, 0, v61
	s_delay_alu instid0(VALU_DEP_2) | instskip(SKIP_1) | instid1(SALU_CYCLE_1)
	v_cmp_eq_u32_e32 vcc_lo, 0, v170
	s_and_b32 s16, s15, vcc_lo
	s_and_saveexec_b32 s15, s16
	s_cbranch_execz .LBB1730_148
; %bb.147:                              ;   in Loop: Header=BB1730_96 Depth=2
	s_wait_dscnt 0x0
	v_bcnt_u32_b32 v61, v61, v169
	ds_store_b32 v171, v61 offset:1056
.LBB1730_148:                           ;   in Loop: Header=BB1730_96 Depth=2
	s_or_b32 exec_lo, exec_lo, s15
	v_cmp_gt_i16_e64 vcc_lo, 0, v168
	; wave barrier
	s_delay_alu instid0(VALU_DEP_1) | instskip(NEXT) | instid1(VALU_DEP_1)
	v_cndmask_b32_e64 v61, 0x7fff, 0, vcc_lo
	v_xor_b32_e32 v168, v61, v168
	s_delay_alu instid0(VALU_DEP_1) | instskip(SKIP_1) | instid1(VALU_DEP_1)
	v_cmp_ne_u16_e64 vcc_lo, 0x8000, v168
	v_cndmask_b32_e32 v61, 0x7fff, v168, vcc_lo
	v_and_b32_e32 v61, 0xffff, v61
	s_delay_alu instid0(VALU_DEP_1) | instskip(NEXT) | instid1(VALU_DEP_1)
	v_lshrrev_b32_e32 v61, s48, v61
	v_bitop3_b32 v172, v61, 1, s52 bitop3:0x80
	v_and_b32_e32 v175, s52, v61
	s_delay_alu instid0(VALU_DEP_2) | instskip(NEXT) | instid1(VALU_DEP_1)
	v_add_co_u32 v61, s15, v172, -1
	v_cndmask_b32_e64 v172, 0, 1, s15
	s_delay_alu instid0(VALU_DEP_3) | instskip(NEXT) | instid1(VALU_DEP_2)
	v_lshlrev_b32_e32 v173, 30, v175
	v_cmp_ne_u32_e32 vcc_lo, 0, v172
	s_delay_alu instid0(VALU_DEP_2) | instskip(NEXT) | instid1(VALU_DEP_1)
	v_not_b32_e32 v172, v173
	v_dual_ashrrev_i32 v172, 31, v172 :: v_dual_lshlrev_b32 v174, 29, v175
	v_dual_lshlrev_b32 v176, 28, v175 :: v_dual_lshlrev_b32 v177, 27, v175
	v_lshlrev_b32_e32 v178, 26, v175
	v_cmp_gt_i32_e64 s15, 0, v173
	s_delay_alu instid0(VALU_DEP_4)
	v_cmp_gt_i32_e64 s16, 0, v174
	v_not_b32_e32 v173, v174
	v_not_b32_e32 v174, v176
	v_dual_lshlrev_b32 v179, 25, v175 :: v_dual_lshlrev_b32 v180, 24, v175
	v_cmp_gt_i32_e64 s17, 0, v176
	v_cmp_gt_i32_e64 s18, 0, v177
	v_not_b32_e32 v176, v177
	v_not_b32_e32 v177, v178
	v_dual_ashrrev_i32 v174, 31, v174 :: v_dual_bitop2_b32 v61, vcc_lo, v61 bitop3:0x14
	v_dual_ashrrev_i32 v173, 31, v173 :: v_dual_bitop2_b32 v172, s15, v172 bitop3:0x14
	v_cmp_gt_i32_e64 s19, 0, v178
	v_cmp_gt_i32_e64 s20, 0, v179
	v_not_b32_e32 v178, v179
	v_not_b32_e32 v179, v180
	v_dual_ashrrev_i32 v176, 31, v176 :: v_dual_ashrrev_i32 v177, 31, v177
	v_xor_b32_e32 v173, s16, v173
	v_xor_b32_e32 v174, s17, v174
	v_bitop3_b32 v61, v61, v172, exec_lo bitop3:0x80
	v_cmp_gt_i32_e64 s21, 0, v180
	v_dual_ashrrev_i32 v172, 31, v178 :: v_dual_ashrrev_i32 v178, 31, v179
	v_xor_b32_e32 v176, s18, v176
	v_xor_b32_e32 v177, s19, v177
	v_bitop3_b32 v61, v61, v174, v173 bitop3:0x80
	v_mad_u32_u24 v173, v175, 36, v23
	v_xor_b32_e32 v172, s20, v172
	v_xor_b32_e32 v174, s21, v178
	s_delay_alu instid0(VALU_DEP_4) | instskip(SKIP_3) | instid1(VALU_DEP_2)
	v_bitop3_b32 v61, v61, v177, v176 bitop3:0x80
	ds_load_b32 v173, v173 offset:1056
	; wave barrier
	v_bitop3_b32 v61, v61, v174, v172 bitop3:0x80
	v_mul_u32_u24_e32 v172, 36, v175
	v_mbcnt_lo_u32_b32 v174, v61, 0
	v_cmp_ne_u32_e64 s15, 0, v61
	s_delay_alu instid0(VALU_DEP_3) | instskip(NEXT) | instid1(VALU_DEP_3)
	v_add_nc_u32_e32 v175, v23, v172
	v_cmp_eq_u32_e32 vcc_lo, 0, v174
	s_and_b32 s16, s15, vcc_lo
	s_delay_alu instid0(SALU_CYCLE_1)
	s_and_saveexec_b32 s15, s16
	s_cbranch_execz .LBB1730_150
; %bb.149:                              ;   in Loop: Header=BB1730_96 Depth=2
	s_wait_dscnt 0x0
	v_bcnt_u32_b32 v61, v61, v173
	ds_store_b32 v175, v61 offset:1056
.LBB1730_150:                           ;   in Loop: Header=BB1730_96 Depth=2
	s_or_b32 exec_lo, exec_lo, s15
	v_cmp_gt_i16_e32 vcc_lo, 0, v67
	; wave barrier
	v_cndmask_b32_e64 v61, 0x7fff, 0, vcc_lo
	s_delay_alu instid0(VALU_DEP_1) | instskip(NEXT) | instid1(VALU_DEP_1)
	v_xor_b32_e32 v172, v61, v67
	v_cmp_ne_u16_e64 vcc_lo, 0x8000, v172
	v_cndmask_b32_e32 v61, 0x7fff, v172, vcc_lo
	s_delay_alu instid0(VALU_DEP_1) | instskip(NEXT) | instid1(VALU_DEP_1)
	v_and_b32_e32 v61, 0xffff, v61
	v_lshrrev_b32_e32 v61, s48, v61
	s_delay_alu instid0(VALU_DEP_1) | instskip(SKIP_1) | instid1(VALU_DEP_2)
	v_bitop3_b32 v67, v61, 1, s52 bitop3:0x80
	v_and_b32_e32 v176, s52, v61
	v_add_co_u32 v61, s15, v67, -1
	s_delay_alu instid0(VALU_DEP_1) | instskip(NEXT) | instid1(VALU_DEP_3)
	v_cndmask_b32_e64 v67, 0, 1, s15
	v_lshlrev_b32_e32 v177, 30, v176
	s_delay_alu instid0(VALU_DEP_2) | instskip(NEXT) | instid1(VALU_DEP_2)
	v_cmp_ne_u32_e32 vcc_lo, 0, v67
	v_not_b32_e32 v67, v177
	s_delay_alu instid0(VALU_DEP_1) | instskip(SKIP_4) | instid1(VALU_DEP_4)
	v_dual_ashrrev_i32 v67, 31, v67 :: v_dual_bitop2_b32 v61, vcc_lo, v61 bitop3:0x14
	v_dual_lshlrev_b32 v178, 29, v176 :: v_dual_lshlrev_b32 v179, 28, v176
	v_dual_lshlrev_b32 v180, 27, v176 :: v_dual_lshlrev_b32 v181, 26, v176
	v_lshlrev_b32_e32 v182, 25, v176
	v_cmp_gt_i32_e64 s15, 0, v177
	v_cmp_gt_i32_e64 s16, 0, v178
	v_not_b32_e32 v177, v178
	v_not_b32_e32 v178, v179
	v_lshlrev_b32_e32 v183, 24, v176
	v_cmp_gt_i32_e64 s17, 0, v179
	v_cmp_gt_i32_e64 s18, 0, v180
	v_not_b32_e32 v179, v180
	v_not_b32_e32 v180, v181
	v_dual_ashrrev_i32 v177, 31, v177 :: v_dual_bitop2_b32 v67, s15, v67 bitop3:0x14
	v_ashrrev_i32_e32 v178, 31, v178
	v_cmp_gt_i32_e64 s19, 0, v181
	v_cmp_gt_i32_e64 s20, 0, v182
	v_not_b32_e32 v181, v182
	v_not_b32_e32 v182, v183
	v_dual_ashrrev_i32 v179, 31, v179 :: v_dual_ashrrev_i32 v180, 31, v180
	v_xor_b32_e32 v177, s16, v177
	v_xor_b32_e32 v178, s17, v178
	v_bitop3_b32 v61, v61, v67, exec_lo bitop3:0x80
	v_cmp_gt_i32_e64 s21, 0, v183
	v_dual_ashrrev_i32 v67, 31, v181 :: v_dual_ashrrev_i32 v181, 31, v182
	v_xor_b32_e32 v179, s18, v179
	v_xor_b32_e32 v180, s19, v180
	v_bitop3_b32 v61, v61, v178, v177 bitop3:0x80
	v_mad_u32_u24 v177, v176, 36, v23
	v_xor_b32_e32 v67, s20, v67
	v_xor_b32_e32 v178, s21, v181
	s_delay_alu instid0(VALU_DEP_4) | instskip(SKIP_3) | instid1(VALU_DEP_2)
	v_bitop3_b32 v61, v61, v180, v179 bitop3:0x80
	ds_load_b32 v177, v177 offset:1056
	; wave barrier
	v_bitop3_b32 v61, v61, v178, v67 bitop3:0x80
	v_mul_u32_u24_e32 v67, 36, v176
	v_mbcnt_lo_u32_b32 v178, v61, 0
	v_cmp_ne_u32_e64 s15, 0, v61
	s_delay_alu instid0(VALU_DEP_3) | instskip(NEXT) | instid1(VALU_DEP_3)
	v_add_nc_u32_e32 v179, v23, v67
	v_cmp_eq_u32_e32 vcc_lo, 0, v178
	s_and_b32 s16, s15, vcc_lo
	s_delay_alu instid0(SALU_CYCLE_1)
	s_and_saveexec_b32 s15, s16
	s_cbranch_execz .LBB1730_152
; %bb.151:                              ;   in Loop: Header=BB1730_96 Depth=2
	s_wait_dscnt 0x0
	v_bcnt_u32_b32 v61, v61, v177
	ds_store_b32 v179, v61 offset:1056
.LBB1730_152:                           ;   in Loop: Header=BB1730_96 Depth=2
	s_or_b32 exec_lo, exec_lo, s15
	v_cmp_gt_i16_e32 vcc_lo, 0, v66
	; wave barrier
	v_cndmask_b32_e64 v61, 0x7fff, 0, vcc_lo
	s_delay_alu instid0(VALU_DEP_1) | instskip(NEXT) | instid1(VALU_DEP_1)
	v_xor_b32_e32 v176, v61, v66
	v_cmp_ne_u16_e64 vcc_lo, 0x8000, v176
	v_cndmask_b32_e32 v61, 0x7fff, v176, vcc_lo
	s_delay_alu instid0(VALU_DEP_1) | instskip(NEXT) | instid1(VALU_DEP_1)
	v_and_b32_e32 v61, 0xffff, v61
	v_lshrrev_b32_e32 v61, s48, v61
	s_delay_alu instid0(VALU_DEP_1) | instskip(SKIP_1) | instid1(VALU_DEP_2)
	v_bitop3_b32 v66, v61, 1, s52 bitop3:0x80
	v_and_b32_e32 v67, s52, v61
	v_add_co_u32 v61, s15, v66, -1
	s_delay_alu instid0(VALU_DEP_1) | instskip(NEXT) | instid1(VALU_DEP_3)
	v_cndmask_b32_e64 v66, 0, 1, s15
	v_lshlrev_b32_e32 v180, 30, v67
	s_delay_alu instid0(VALU_DEP_2) | instskip(NEXT) | instid1(VALU_DEP_2)
	v_cmp_ne_u32_e32 vcc_lo, 0, v66
	v_not_b32_e32 v66, v180
	v_cmp_gt_i32_e64 s15, 0, v180
	s_delay_alu instid0(VALU_DEP_2) | instskip(SKIP_3) | instid1(VALU_DEP_4)
	v_dual_ashrrev_i32 v66, 31, v66 :: v_dual_lshlrev_b32 v181, 29, v67
	v_dual_lshlrev_b32 v182, 28, v67 :: v_dual_lshlrev_b32 v183, 27, v67
	v_dual_lshlrev_b32 v184, 26, v67 :: v_dual_lshlrev_b32 v185, 25, v67
	v_lshlrev_b32_e32 v186, 24, v67
	v_cmp_gt_i32_e64 s16, 0, v181
	v_not_b32_e32 v180, v181
	v_not_b32_e32 v181, v182
	v_cmp_gt_i32_e64 s17, 0, v182
	v_cmp_gt_i32_e64 s18, 0, v183
	v_not_b32_e32 v182, v183
	v_not_b32_e32 v183, v184
	v_dual_ashrrev_i32 v180, 31, v180 :: v_dual_bitop2_b32 v61, vcc_lo, v61 bitop3:0x14
	v_dual_ashrrev_i32 v181, 31, v181 :: v_dual_bitop2_b32 v66, s15, v66 bitop3:0x14
	v_cmp_gt_i32_e64 s19, 0, v184
	v_cmp_gt_i32_e64 s20, 0, v185
	v_not_b32_e32 v184, v185
	v_not_b32_e32 v185, v186
	v_dual_ashrrev_i32 v182, 31, v182 :: v_dual_ashrrev_i32 v183, 31, v183
	v_xor_b32_e32 v180, s16, v180
	v_xor_b32_e32 v181, s17, v181
	v_bitop3_b32 v61, v61, v66, exec_lo bitop3:0x80
	v_cmp_gt_i32_e64 s21, 0, v186
	v_dual_ashrrev_i32 v66, 31, v184 :: v_dual_ashrrev_i32 v184, 31, v185
	v_xor_b32_e32 v182, s18, v182
	v_xor_b32_e32 v183, s19, v183
	v_bitop3_b32 v61, v61, v181, v180 bitop3:0x80
	v_mad_u32_u24 v180, v67, 36, v23
	v_xor_b32_e32 v66, s20, v66
	v_xor_b32_e32 v184, s21, v184
	s_delay_alu instid0(VALU_DEP_4) | instskip(SKIP_3) | instid1(VALU_DEP_2)
	v_bitop3_b32 v61, v61, v183, v182 bitop3:0x80
	ds_load_b32 v181, v180 offset:1056
	; wave barrier
	v_bitop3_b32 v61, v61, v184, v66 bitop3:0x80
	v_mul_u32_u24_e32 v66, 36, v67
	v_mbcnt_lo_u32_b32 v182, v61, 0
	v_cmp_ne_u32_e64 s15, 0, v61
	s_delay_alu instid0(VALU_DEP_3) | instskip(NEXT) | instid1(VALU_DEP_3)
	v_add_nc_u32_e32 v183, v23, v66
	v_cmp_eq_u32_e32 vcc_lo, 0, v182
	s_and_b32 s16, s15, vcc_lo
	s_delay_alu instid0(SALU_CYCLE_1)
	s_and_saveexec_b32 s15, s16
	s_cbranch_execz .LBB1730_154
; %bb.153:                              ;   in Loop: Header=BB1730_96 Depth=2
	s_wait_dscnt 0x0
	v_bcnt_u32_b32 v61, v61, v181
	ds_store_b32 v183, v61 offset:1056
.LBB1730_154:                           ;   in Loop: Header=BB1730_96 Depth=2
	s_or_b32 exec_lo, exec_lo, s15
	v_cmp_gt_i16_e32 vcc_lo, 0, v65
	; wave barrier
	v_cndmask_b32_e64 v61, 0x7fff, 0, vcc_lo
	s_delay_alu instid0(VALU_DEP_1) | instskip(NEXT) | instid1(VALU_DEP_1)
	v_xor_b32_e32 v180, v61, v65
	v_cmp_ne_u16_e64 vcc_lo, 0x8000, v180
	v_cndmask_b32_e32 v61, 0x7fff, v180, vcc_lo
	s_delay_alu instid0(VALU_DEP_1) | instskip(NEXT) | instid1(VALU_DEP_1)
	v_and_b32_e32 v61, 0xffff, v61
	v_lshrrev_b32_e32 v61, s48, v61
	s_delay_alu instid0(VALU_DEP_1) | instskip(NEXT) | instid1(VALU_DEP_1)
	v_and_b32_e32 v66, s52, v61
	v_lshlrev_b32_e32 v185, 28, v66
	v_bitop3_b32 v65, v61, 1, s52 bitop3:0x80
	v_dual_lshlrev_b32 v67, 30, v66 :: v_dual_lshlrev_b32 v184, 29, v66
	s_delay_alu instid0(VALU_DEP_3) | instskip(NEXT) | instid1(VALU_DEP_3)
	v_cmp_gt_i32_e64 s17, 0, v185
	v_add_co_u32 v61, s15, v65, -1
	s_delay_alu instid0(VALU_DEP_1) | instskip(NEXT) | instid1(VALU_DEP_4)
	v_cndmask_b32_e64 v65, 0, 1, s15
	v_cmp_gt_i32_e64 s15, 0, v67
	v_cmp_gt_i32_e64 s16, 0, v184
	s_delay_alu instid0(VALU_DEP_3) | instskip(SKIP_3) | instid1(VALU_DEP_2)
	v_cmp_ne_u32_e32 vcc_lo, 0, v65
	v_not_b32_e32 v65, v67
	v_not_b32_e32 v67, v184
	;; [unrolled: 1-line block ×3, first 2 shown]
	v_dual_ashrrev_i32 v65, 31, v65 :: v_dual_ashrrev_i32 v67, 31, v67
	v_dual_lshlrev_b32 v186, 27, v66 :: v_dual_lshlrev_b32 v187, 26, v66
	v_dual_lshlrev_b32 v188, 25, v66 :: v_dual_lshlrev_b32 v189, 24, v66
	s_delay_alu instid0(VALU_DEP_4) | instskip(NEXT) | instid1(VALU_DEP_3)
	v_ashrrev_i32_e32 v184, 31, v184
	v_cmp_gt_i32_e64 s18, 0, v186
	v_not_b32_e32 v185, v186
	v_cmp_gt_i32_e64 s19, 0, v187
	v_not_b32_e32 v186, v187
	;; [unrolled: 2-line block ×3, first 2 shown]
	v_not_b32_e32 v188, v189
	s_delay_alu instid0(VALU_DEP_4) | instskip(SKIP_4) | instid1(VALU_DEP_4)
	v_dual_ashrrev_i32 v186, 31, v186 :: v_dual_bitop2_b32 v61, vcc_lo, v61 bitop3:0x14
	v_xor_b32_e32 v65, s15, v65
	v_dual_ashrrev_i32 v185, 31, v185 :: v_dual_bitop2_b32 v67, s16, v67 bitop3:0x14
	v_xor_b32_e32 v184, s17, v184
	v_cmp_gt_i32_e64 s21, 0, v189
	v_bitop3_b32 v61, v61, v65, exec_lo bitop3:0x80
	v_dual_ashrrev_i32 v65, 31, v187 :: v_dual_ashrrev_i32 v187, 31, v188
	v_xor_b32_e32 v185, s18, v185
	v_xor_b32_e32 v186, s19, v186
	s_delay_alu instid0(VALU_DEP_4) | instskip(SKIP_3) | instid1(VALU_DEP_4)
	v_bitop3_b32 v61, v61, v184, v67 bitop3:0x80
	v_mad_u32_u24 v67, v66, 36, v23
	v_xor_b32_e32 v65, s20, v65
	v_xor_b32_e32 v184, s21, v187
	v_bitop3_b32 v61, v61, v186, v185 bitop3:0x80
	ds_load_b32 v185, v67 offset:1056
	; wave barrier
	v_bitop3_b32 v61, v61, v184, v65 bitop3:0x80
	v_mul_u32_u24_e32 v65, 36, v66
	s_delay_alu instid0(VALU_DEP_2) | instskip(SKIP_1) | instid1(VALU_DEP_3)
	v_mbcnt_lo_u32_b32 v186, v61, 0
	v_cmp_ne_u32_e64 s15, 0, v61
	v_add_nc_u32_e32 v187, v23, v65
	s_delay_alu instid0(VALU_DEP_3) | instskip(SKIP_1) | instid1(SALU_CYCLE_1)
	v_cmp_eq_u32_e32 vcc_lo, 0, v186
	s_and_b32 s16, s15, vcc_lo
	s_and_saveexec_b32 s15, s16
	s_cbranch_execz .LBB1730_156
; %bb.155:                              ;   in Loop: Header=BB1730_96 Depth=2
	s_wait_dscnt 0x0
	v_bcnt_u32_b32 v61, v61, v185
	ds_store_b32 v187, v61 offset:1056
.LBB1730_156:                           ;   in Loop: Header=BB1730_96 Depth=2
	s_or_b32 exec_lo, exec_lo, s15
	v_cmp_gt_i16_e32 vcc_lo, 0, v64
	; wave barrier
	v_cndmask_b32_e64 v61, 0x7fff, 0, vcc_lo
	s_delay_alu instid0(VALU_DEP_1) | instskip(NEXT) | instid1(VALU_DEP_1)
	v_xor_b32_e32 v184, v61, v64
	v_cmp_ne_u16_e64 vcc_lo, 0x8000, v184
	v_cndmask_b32_e32 v61, 0x7fff, v184, vcc_lo
	s_delay_alu instid0(VALU_DEP_1) | instskip(NEXT) | instid1(VALU_DEP_1)
	v_and_b32_e32 v61, 0xffff, v61
	v_lshrrev_b32_e32 v61, s48, v61
	s_delay_alu instid0(VALU_DEP_1) | instskip(SKIP_1) | instid1(VALU_DEP_2)
	v_bitop3_b32 v64, v61, 1, s52 bitop3:0x80
	v_and_b32_e32 v65, s52, v61
	v_add_co_u32 v61, s15, v64, -1
	s_delay_alu instid0(VALU_DEP_1) | instskip(NEXT) | instid1(VALU_DEP_3)
	v_cndmask_b32_e64 v64, 0, 1, s15
	v_lshlrev_b32_e32 v66, 30, v65
	s_delay_alu instid0(VALU_DEP_2) | instskip(NEXT) | instid1(VALU_DEP_2)
	v_cmp_ne_u32_e32 vcc_lo, 0, v64
	v_not_b32_e32 v64, v66
	v_cmp_gt_i32_e64 s15, 0, v66
	s_delay_alu instid0(VALU_DEP_2) | instskip(SKIP_3) | instid1(VALU_DEP_4)
	v_dual_ashrrev_i32 v64, 31, v64 :: v_dual_lshlrev_b32 v67, 29, v65
	v_dual_lshlrev_b32 v188, 28, v65 :: v_dual_lshlrev_b32 v189, 27, v65
	v_dual_lshlrev_b32 v190, 26, v65 :: v_dual_lshlrev_b32 v191, 25, v65
	v_lshlrev_b32_e32 v192, 24, v65
	v_cmp_gt_i32_e64 s16, 0, v67
	v_not_b32_e32 v66, v67
	v_not_b32_e32 v67, v188
	v_cmp_gt_i32_e64 s17, 0, v188
	v_cmp_gt_i32_e64 s18, 0, v189
	v_not_b32_e32 v188, v189
	v_not_b32_e32 v189, v190
	v_dual_ashrrev_i32 v66, 31, v66 :: v_dual_bitop2_b32 v61, vcc_lo, v61 bitop3:0x14
	v_dual_ashrrev_i32 v67, 31, v67 :: v_dual_bitop2_b32 v64, s15, v64 bitop3:0x14
	v_cmp_gt_i32_e64 s19, 0, v190
	v_cmp_gt_i32_e64 s20, 0, v191
	v_not_b32_e32 v190, v191
	v_not_b32_e32 v191, v192
	v_dual_ashrrev_i32 v188, 31, v188 :: v_dual_ashrrev_i32 v189, 31, v189
	v_xor_b32_e32 v66, s16, v66
	v_xor_b32_e32 v67, s17, v67
	v_bitop3_b32 v61, v61, v64, exec_lo bitop3:0x80
	v_cmp_gt_i32_e64 s21, 0, v192
	v_dual_ashrrev_i32 v64, 31, v190 :: v_dual_ashrrev_i32 v190, 31, v191
	v_xor_b32_e32 v188, s18, v188
	v_xor_b32_e32 v189, s19, v189
	v_bitop3_b32 v61, v61, v67, v66 bitop3:0x80
	v_mad_u32_u24 v66, v65, 36, v23
	v_xor_b32_e32 v64, s20, v64
	v_xor_b32_e32 v67, s21, v190
	s_delay_alu instid0(VALU_DEP_4) | instskip(SKIP_3) | instid1(VALU_DEP_2)
	v_bitop3_b32 v61, v61, v189, v188 bitop3:0x80
	ds_load_b32 v189, v66 offset:1056
	; wave barrier
	v_bitop3_b32 v61, v61, v67, v64 bitop3:0x80
	v_mul_u32_u24_e32 v64, 36, v65
	v_mbcnt_lo_u32_b32 v190, v61, 0
	v_cmp_ne_u32_e64 s15, 0, v61
	s_delay_alu instid0(VALU_DEP_3) | instskip(NEXT) | instid1(VALU_DEP_3)
	v_add_nc_u32_e32 v191, v23, v64
	v_cmp_eq_u32_e32 vcc_lo, 0, v190
	s_and_b32 s16, s15, vcc_lo
	s_delay_alu instid0(SALU_CYCLE_1)
	s_and_saveexec_b32 s15, s16
	s_cbranch_execz .LBB1730_158
; %bb.157:                              ;   in Loop: Header=BB1730_96 Depth=2
	s_wait_dscnt 0x0
	v_bcnt_u32_b32 v61, v61, v189
	ds_store_b32 v191, v61 offset:1056
.LBB1730_158:                           ;   in Loop: Header=BB1730_96 Depth=2
	s_or_b32 exec_lo, exec_lo, s15
	v_cmp_gt_i16_e32 vcc_lo, 0, v63
	; wave barrier
	v_cndmask_b32_e64 v61, 0x7fff, 0, vcc_lo
	s_delay_alu instid0(VALU_DEP_1) | instskip(NEXT) | instid1(VALU_DEP_1)
	v_xor_b32_e32 v188, v61, v63
	v_cmp_ne_u16_e64 vcc_lo, 0x8000, v188
	v_cndmask_b32_e32 v61, 0x7fff, v188, vcc_lo
	s_delay_alu instid0(VALU_DEP_1) | instskip(NEXT) | instid1(VALU_DEP_1)
	v_and_b32_e32 v61, 0xffff, v61
	v_lshrrev_b32_e32 v61, s48, v61
	s_delay_alu instid0(VALU_DEP_1) | instskip(SKIP_1) | instid1(VALU_DEP_2)
	v_bitop3_b32 v63, v61, 1, s52 bitop3:0x80
	v_and_b32_e32 v64, s52, v61
	v_add_co_u32 v61, s15, v63, -1
	s_delay_alu instid0(VALU_DEP_1) | instskip(NEXT) | instid1(VALU_DEP_3)
	v_cndmask_b32_e64 v63, 0, 1, s15
	v_lshlrev_b32_e32 v65, 30, v64
	s_delay_alu instid0(VALU_DEP_2) | instskip(NEXT) | instid1(VALU_DEP_2)
	v_cmp_ne_u32_e32 vcc_lo, 0, v63
	v_not_b32_e32 v63, v65
	s_delay_alu instid0(VALU_DEP_1) | instskip(SKIP_4) | instid1(VALU_DEP_4)
	v_dual_ashrrev_i32 v63, 31, v63 :: v_dual_bitop2_b32 v61, vcc_lo, v61 bitop3:0x14
	v_dual_lshlrev_b32 v66, 29, v64 :: v_dual_lshlrev_b32 v67, 28, v64
	v_dual_lshlrev_b32 v192, 27, v64 :: v_dual_lshlrev_b32 v193, 26, v64
	v_lshlrev_b32_e32 v194, 25, v64
	v_cmp_gt_i32_e64 s15, 0, v65
	v_cmp_gt_i32_e64 s16, 0, v66
	v_not_b32_e32 v65, v66
	v_not_b32_e32 v66, v67
	v_lshlrev_b32_e32 v195, 24, v64
	v_cmp_gt_i32_e64 s17, 0, v67
	v_cmp_gt_i32_e64 s18, 0, v192
	v_not_b32_e32 v67, v192
	v_not_b32_e32 v192, v193
	v_dual_ashrrev_i32 v65, 31, v65 :: v_dual_bitop2_b32 v63, s15, v63 bitop3:0x14
	v_ashrrev_i32_e32 v66, 31, v66
	v_cmp_gt_i32_e64 s19, 0, v193
	v_cmp_gt_i32_e64 s20, 0, v194
	v_not_b32_e32 v193, v194
	v_not_b32_e32 v194, v195
	v_dual_ashrrev_i32 v67, 31, v67 :: v_dual_ashrrev_i32 v192, 31, v192
	v_xor_b32_e32 v65, s16, v65
	v_xor_b32_e32 v66, s17, v66
	v_bitop3_b32 v61, v61, v63, exec_lo bitop3:0x80
	v_cmp_gt_i32_e64 s21, 0, v195
	v_dual_ashrrev_i32 v63, 31, v193 :: v_dual_ashrrev_i32 v193, 31, v194
	v_xor_b32_e32 v67, s18, v67
	v_xor_b32_e32 v192, s19, v192
	v_bitop3_b32 v61, v61, v66, v65 bitop3:0x80
	v_mad_u32_u24 v65, v64, 36, v23
	v_xor_b32_e32 v63, s20, v63
	v_xor_b32_e32 v66, s21, v193
	s_delay_alu instid0(VALU_DEP_4) | instskip(SKIP_3) | instid1(VALU_DEP_2)
	v_bitop3_b32 v61, v61, v192, v67 bitop3:0x80
	ds_load_b32 v193, v65 offset:1056
	; wave barrier
	v_bitop3_b32 v61, v61, v66, v63 bitop3:0x80
	v_mul_u32_u24_e32 v63, 36, v64
	v_mbcnt_lo_u32_b32 v194, v61, 0
	v_cmp_ne_u32_e64 s15, 0, v61
	s_delay_alu instid0(VALU_DEP_3) | instskip(NEXT) | instid1(VALU_DEP_3)
	v_add_nc_u32_e32 v195, v23, v63
	v_cmp_eq_u32_e32 vcc_lo, 0, v194
	s_and_b32 s16, s15, vcc_lo
	s_delay_alu instid0(SALU_CYCLE_1)
	s_and_saveexec_b32 s15, s16
	s_cbranch_execz .LBB1730_160
; %bb.159:                              ;   in Loop: Header=BB1730_96 Depth=2
	s_wait_dscnt 0x0
	v_bcnt_u32_b32 v61, v61, v193
	ds_store_b32 v195, v61 offset:1056
.LBB1730_160:                           ;   in Loop: Header=BB1730_96 Depth=2
	s_or_b32 exec_lo, exec_lo, s15
	v_cmp_gt_i16_e32 vcc_lo, 0, v62
	; wave barrier
	v_cndmask_b32_e64 v61, 0x7fff, 0, vcc_lo
	s_delay_alu instid0(VALU_DEP_1) | instskip(NEXT) | instid1(VALU_DEP_1)
	v_xor_b32_e32 v192, v61, v62
	v_cmp_ne_u16_e64 vcc_lo, 0x8000, v192
	v_cndmask_b32_e32 v61, 0x7fff, v192, vcc_lo
	s_delay_alu instid0(VALU_DEP_1) | instskip(NEXT) | instid1(VALU_DEP_1)
	v_and_b32_e32 v61, 0xffff, v61
	v_lshrrev_b32_e32 v61, s48, v61
	s_delay_alu instid0(VALU_DEP_1) | instskip(SKIP_1) | instid1(VALU_DEP_2)
	v_bitop3_b32 v62, v61, 1, s52 bitop3:0x80
	v_and_b32_e32 v63, s52, v61
	v_add_co_u32 v61, s15, v62, -1
	s_delay_alu instid0(VALU_DEP_1) | instskip(NEXT) | instid1(VALU_DEP_3)
	v_cndmask_b32_e64 v62, 0, 1, s15
	v_lshlrev_b32_e32 v64, 30, v63
	s_delay_alu instid0(VALU_DEP_2) | instskip(NEXT) | instid1(VALU_DEP_2)
	v_cmp_ne_u32_e32 vcc_lo, 0, v62
	v_not_b32_e32 v62, v64
	v_cmp_gt_i32_e64 s15, 0, v64
	s_delay_alu instid0(VALU_DEP_2) | instskip(SKIP_3) | instid1(VALU_DEP_4)
	v_dual_ashrrev_i32 v62, 31, v62 :: v_dual_lshlrev_b32 v65, 29, v63
	v_dual_lshlrev_b32 v66, 28, v63 :: v_dual_lshlrev_b32 v67, 27, v63
	v_dual_lshlrev_b32 v196, 26, v63 :: v_dual_lshlrev_b32 v197, 25, v63
	v_lshlrev_b32_e32 v198, 24, v63
	v_cmp_gt_i32_e64 s16, 0, v65
	v_not_b32_e32 v64, v65
	v_not_b32_e32 v65, v66
	v_cmp_gt_i32_e64 s17, 0, v66
	v_cmp_gt_i32_e64 s18, 0, v67
	v_not_b32_e32 v66, v67
	v_not_b32_e32 v67, v196
	v_dual_ashrrev_i32 v64, 31, v64 :: v_dual_bitop2_b32 v61, vcc_lo, v61 bitop3:0x14
	v_dual_ashrrev_i32 v65, 31, v65 :: v_dual_bitop2_b32 v62, s15, v62 bitop3:0x14
	v_cmp_gt_i32_e64 s19, 0, v196
	v_cmp_gt_i32_e64 s20, 0, v197
	v_not_b32_e32 v196, v197
	v_not_b32_e32 v197, v198
	v_dual_ashrrev_i32 v66, 31, v66 :: v_dual_ashrrev_i32 v67, 31, v67
	v_xor_b32_e32 v64, s16, v64
	v_xor_b32_e32 v65, s17, v65
	v_bitop3_b32 v61, v61, v62, exec_lo bitop3:0x80
	v_cmp_gt_i32_e64 s21, 0, v198
	v_dual_ashrrev_i32 v62, 31, v196 :: v_dual_ashrrev_i32 v196, 31, v197
	v_xor_b32_e32 v66, s18, v66
	v_xor_b32_e32 v67, s19, v67
	v_bitop3_b32 v61, v61, v65, v64 bitop3:0x80
	v_mad_u32_u24 v64, v63, 36, v23
	v_xor_b32_e32 v62, s20, v62
	v_xor_b32_e32 v65, s21, v196
	s_delay_alu instid0(VALU_DEP_4) | instskip(SKIP_3) | instid1(VALU_DEP_2)
	v_bitop3_b32 v61, v61, v67, v66 bitop3:0x80
	ds_load_b32 v197, v64 offset:1056
	; wave barrier
	v_bitop3_b32 v61, v61, v65, v62 bitop3:0x80
	v_mul_u32_u24_e32 v62, 36, v63
	v_mbcnt_lo_u32_b32 v198, v61, 0
	v_cmp_ne_u32_e64 s15, 0, v61
	s_delay_alu instid0(VALU_DEP_3) | instskip(NEXT) | instid1(VALU_DEP_3)
	v_add_nc_u32_e32 v199, v23, v62
	v_cmp_eq_u32_e32 vcc_lo, 0, v198
	s_and_b32 s16, s15, vcc_lo
	s_delay_alu instid0(SALU_CYCLE_1)
	s_and_saveexec_b32 s15, s16
	s_cbranch_execz .LBB1730_162
; %bb.161:                              ;   in Loop: Header=BB1730_96 Depth=2
	s_wait_dscnt 0x0
	v_bcnt_u32_b32 v61, v61, v197
	ds_store_b32 v199, v61 offset:1056
.LBB1730_162:                           ;   in Loop: Header=BB1730_96 Depth=2
	s_or_b32 exec_lo, exec_lo, s15
	v_cmp_gt_i16_e32 vcc_lo, 0, v60
	; wave barrier
	v_cndmask_b32_e64 v61, 0x7fff, 0, vcc_lo
	s_delay_alu instid0(VALU_DEP_1) | instskip(NEXT) | instid1(VALU_DEP_1)
	v_xor_b32_e32 v196, v61, v60
	v_cmp_ne_u16_e64 vcc_lo, 0x8000, v196
	v_cndmask_b32_e32 v60, 0x7fff, v196, vcc_lo
	s_delay_alu instid0(VALU_DEP_1) | instskip(NEXT) | instid1(VALU_DEP_1)
	v_and_b32_e32 v60, 0xffff, v60
	v_lshrrev_b32_e32 v60, s48, v60
	s_delay_alu instid0(VALU_DEP_1) | instskip(SKIP_1) | instid1(VALU_DEP_2)
	v_bitop3_b32 v61, v60, 1, s52 bitop3:0x80
	v_and_b32_e32 v62, s52, v60
	v_add_co_u32 v60, s15, v61, -1
	s_delay_alu instid0(VALU_DEP_1) | instskip(NEXT) | instid1(VALU_DEP_3)
	v_cndmask_b32_e64 v61, 0, 1, s15
	v_lshlrev_b32_e32 v63, 30, v62
	s_delay_alu instid0(VALU_DEP_2) | instskip(NEXT) | instid1(VALU_DEP_2)
	v_cmp_ne_u32_e32 vcc_lo, 0, v61
	v_not_b32_e32 v61, v63
	v_cmp_gt_i32_e64 s15, 0, v63
	s_delay_alu instid0(VALU_DEP_2) | instskip(SKIP_3) | instid1(VALU_DEP_4)
	v_dual_ashrrev_i32 v61, 31, v61 :: v_dual_lshlrev_b32 v64, 29, v62
	v_dual_lshlrev_b32 v65, 28, v62 :: v_dual_lshlrev_b32 v66, 27, v62
	v_dual_lshlrev_b32 v67, 26, v62 :: v_dual_lshlrev_b32 v200, 25, v62
	v_lshlrev_b32_e32 v201, 24, v62
	v_cmp_gt_i32_e64 s16, 0, v64
	v_not_b32_e32 v63, v64
	v_not_b32_e32 v64, v65
	v_cmp_gt_i32_e64 s17, 0, v65
	v_cmp_gt_i32_e64 s18, 0, v66
	v_not_b32_e32 v65, v66
	v_not_b32_e32 v66, v67
	v_dual_ashrrev_i32 v63, 31, v63 :: v_dual_bitop2_b32 v60, vcc_lo, v60 bitop3:0x14
	v_dual_ashrrev_i32 v64, 31, v64 :: v_dual_bitop2_b32 v61, s15, v61 bitop3:0x14
	v_cmp_gt_i32_e64 s19, 0, v67
	v_cmp_gt_i32_e64 s20, 0, v200
	v_not_b32_e32 v67, v200
	v_not_b32_e32 v200, v201
	v_dual_ashrrev_i32 v65, 31, v65 :: v_dual_ashrrev_i32 v66, 31, v66
	v_xor_b32_e32 v63, s16, v63
	v_xor_b32_e32 v64, s17, v64
	v_bitop3_b32 v60, v60, v61, exec_lo bitop3:0x80
	v_cmp_gt_i32_e64 s21, 0, v201
	v_dual_ashrrev_i32 v61, 31, v67 :: v_dual_ashrrev_i32 v67, 31, v200
	v_xor_b32_e32 v65, s18, v65
	v_xor_b32_e32 v66, s19, v66
	v_bitop3_b32 v60, v60, v64, v63 bitop3:0x80
	v_mad_u32_u24 v63, v62, 36, v23
	v_xor_b32_e32 v61, s20, v61
	v_xor_b32_e32 v64, s21, v67
	s_delay_alu instid0(VALU_DEP_4) | instskip(SKIP_3) | instid1(VALU_DEP_2)
	v_bitop3_b32 v60, v60, v66, v65 bitop3:0x80
	ds_load_b32 v200, v63 offset:1056
	; wave barrier
	v_bitop3_b32 v60, v60, v64, v61 bitop3:0x80
	v_mul_u32_u24_e32 v61, 36, v62
	v_mbcnt_lo_u32_b32 v201, v60, 0
	v_cmp_ne_u32_e64 s15, 0, v60
	s_delay_alu instid0(VALU_DEP_3) | instskip(NEXT) | instid1(VALU_DEP_3)
	v_add_nc_u32_e32 v202, v23, v61
	v_cmp_eq_u32_e32 vcc_lo, 0, v201
	s_and_b32 s16, s15, vcc_lo
	s_delay_alu instid0(SALU_CYCLE_1)
	s_and_saveexec_b32 s15, s16
	s_cbranch_execz .LBB1730_164
; %bb.163:                              ;   in Loop: Header=BB1730_96 Depth=2
	s_wait_dscnt 0x0
	v_bcnt_u32_b32 v60, v60, v200
	ds_store_b32 v202, v60 offset:1056
.LBB1730_164:                           ;   in Loop: Header=BB1730_96 Depth=2
	s_or_b32 exec_lo, exec_lo, s15
	; wave barrier
	s_wait_dscnt 0x0
	s_barrier_signal -1
	s_barrier_wait -1
	ds_load_2addr_b32 v[66:67], v118 offset1:1
	ds_load_2addr_b32 v[64:65], v119 offset1:1
	;; [unrolled: 1-line block ×4, first 2 shown]
	ds_load_b32 v203, v91 offset:1088
	s_wait_dscnt 0x3
	v_add3_u32 v204, v67, v66, v64
	s_wait_dscnt 0x2
	s_delay_alu instid0(VALU_DEP_1) | instskip(SKIP_1) | instid1(VALU_DEP_1)
	v_add3_u32 v204, v204, v65, v62
	s_wait_dscnt 0x1
	v_add3_u32 v204, v204, v63, v60
	s_wait_dscnt 0x0
	s_delay_alu instid0(VALU_DEP_1) | instskip(NEXT) | instid1(VALU_DEP_1)
	v_add3_u32 v203, v204, v61, v203
	v_mov_b32_dpp v204, v203 row_shr:1 row_mask:0xf bank_mask:0xf
	s_delay_alu instid0(VALU_DEP_1) | instskip(NEXT) | instid1(VALU_DEP_1)
	v_cndmask_b32_e64 v204, v204, 0, s7
	v_add_nc_u32_e32 v203, v204, v203
	s_delay_alu instid0(VALU_DEP_1) | instskip(NEXT) | instid1(VALU_DEP_1)
	v_mov_b32_dpp v204, v203 row_shr:2 row_mask:0xf bank_mask:0xf
	v_cndmask_b32_e64 v204, 0, v204, s8
	s_delay_alu instid0(VALU_DEP_1) | instskip(NEXT) | instid1(VALU_DEP_1)
	v_add_nc_u32_e32 v203, v203, v204
	v_mov_b32_dpp v204, v203 row_shr:4 row_mask:0xf bank_mask:0xf
	s_delay_alu instid0(VALU_DEP_1) | instskip(NEXT) | instid1(VALU_DEP_1)
	v_cndmask_b32_e64 v204, 0, v204, s9
	v_add_nc_u32_e32 v203, v203, v204
	s_delay_alu instid0(VALU_DEP_1) | instskip(NEXT) | instid1(VALU_DEP_1)
	v_mov_b32_dpp v204, v203 row_shr:8 row_mask:0xf bank_mask:0xf
	v_cndmask_b32_e64 v204, 0, v204, s10
	s_delay_alu instid0(VALU_DEP_1) | instskip(SKIP_3) | instid1(VALU_DEP_1)
	v_add_nc_u32_e32 v203, v203, v204
	ds_swizzle_b32 v204, v203 offset:swizzle(BROADCAST,32,15)
	s_wait_dscnt 0x0
	v_cndmask_b32_e64 v204, v204, 0, s11
	v_add_nc_u32_e32 v203, v203, v204
	s_and_saveexec_b32 s15, s1
; %bb.165:                              ;   in Loop: Header=BB1730_96 Depth=2
	ds_store_b32 v84, v203 offset:1024
; %bb.166:                              ;   in Loop: Header=BB1730_96 Depth=2
	s_or_b32 exec_lo, exec_lo, s15
	s_wait_dscnt 0x0
	s_barrier_signal -1
	s_barrier_wait -1
	s_and_saveexec_b32 s15, s4
	s_cbranch_execz .LBB1730_168
; %bb.167:                              ;   in Loop: Header=BB1730_96 Depth=2
	ds_load_b32 v204, v92 offset:1024
	s_wait_dscnt 0x0
	v_mov_b32_dpp v205, v204 row_shr:1 row_mask:0xf bank_mask:0xf
	s_delay_alu instid0(VALU_DEP_1) | instskip(NEXT) | instid1(VALU_DEP_1)
	v_cndmask_b32_e64 v205, v205, 0, s12
	v_add_nc_u32_e32 v204, v205, v204
	s_delay_alu instid0(VALU_DEP_1) | instskip(NEXT) | instid1(VALU_DEP_1)
	v_mov_b32_dpp v205, v204 row_shr:2 row_mask:0xf bank_mask:0xf
	v_cndmask_b32_e64 v205, 0, v205, s13
	s_delay_alu instid0(VALU_DEP_1) | instskip(NEXT) | instid1(VALU_DEP_1)
	v_add_nc_u32_e32 v204, v204, v205
	v_mov_b32_dpp v205, v204 row_shr:4 row_mask:0xf bank_mask:0xf
	s_delay_alu instid0(VALU_DEP_1) | instskip(NEXT) | instid1(VALU_DEP_1)
	v_cndmask_b32_e64 v205, 0, v205, s14
	v_add_nc_u32_e32 v204, v204, v205
	ds_store_b32 v92, v204 offset:1024
.LBB1730_168:                           ;   in Loop: Header=BB1730_96 Depth=2
	s_or_b32 exec_lo, exec_lo, s15
	v_mov_b32_e32 v204, 0
	s_wait_dscnt 0x0
	s_barrier_signal -1
	s_barrier_wait -1
	s_and_saveexec_b32 s15, s5
; %bb.169:                              ;   in Loop: Header=BB1730_96 Depth=2
	ds_load_b32 v204, v84 offset:1020
; %bb.170:                              ;   in Loop: Header=BB1730_96 Depth=2
	s_or_b32 exec_lo, exec_lo, s15
	s_wait_dscnt 0x0
	v_add_nc_u32_e32 v203, v204, v203
	ds_bpermute_b32 v203, v122, v203
	s_wait_dscnt 0x0
	v_cndmask_b32_e64 v203, v203, v204, s6
	s_delay_alu instid0(VALU_DEP_1) | instskip(NEXT) | instid1(VALU_DEP_1)
	v_cndmask_b32_e64 v203, v203, 0, s2
	v_add_nc_u32_e32 v66, v203, v66
	s_delay_alu instid0(VALU_DEP_1) | instskip(NEXT) | instid1(VALU_DEP_1)
	v_add_nc_u32_e32 v67, v66, v67
	v_add_nc_u32_e32 v64, v67, v64
	s_delay_alu instid0(VALU_DEP_1) | instskip(NEXT) | instid1(VALU_DEP_1)
	v_add_nc_u32_e32 v65, v64, v65
	;; [unrolled: 3-line block ×3, first 2 shown]
	v_add_nc_u32_e32 v60, v63, v60
	s_delay_alu instid0(VALU_DEP_1)
	v_add_nc_u32_e32 v61, v60, v61
	ds_store_2addr_b32 v121, v63, v60 offset1:1
	ds_store_2addr_b32 v118, v203, v66 offset1:1
	;; [unrolled: 1-line block ×4, first 2 shown]
	ds_store_b32 v91, v61 offset:1088
	s_wait_dscnt 0x0
	s_barrier_signal -1
	s_barrier_wait -1
	ds_load_b32 v63, v143 offset:1056
	ds_load_b32 v65, v147 offset:1056
	;; [unrolled: 1-line block ×17, first 2 shown]
	v_mov_b32_e32 v62, 0x1000
	s_and_saveexec_b32 s15, s3
; %bb.171:                              ;   in Loop: Header=BB1730_96 Depth=2
	ds_load_b32 v62, v91 offset:1092
; %bb.172:                              ;   in Loop: Header=BB1730_96 Depth=2
	s_or_b32 exec_lo, exec_lo, s15
	s_wait_dscnt 0x0
	s_barrier_signal -1
	s_barrier_wait -1
	s_and_saveexec_b32 s15, s0
	s_cbranch_execz .LBB1730_174
; %bb.173:                              ;   in Loop: Header=BB1730_96 Depth=2
	ds_load_b32 v155, v3
	s_wait_dscnt 0x0
	v_sub_nc_u32_e32 v151, v155, v151
	ds_store_b32 v3, v151
.LBB1730_174:                           ;   in Loop: Header=BB1730_96 Depth=2
	s_or_b32 exec_lo, exec_lo, s15
	v_add3_u32 v159, v146, v145, v65
	v_add_nc_u32_e32 v163, v63, v142
	v_add3_u32 v155, v150, v149, v66
	v_add3_u32 v151, v154, v153, v67
	v_add3_u32 v149, v162, v161, v147
	v_add3_u32 v67, v190, v189, v60
	v_lshlrev_b32_e32 v60, 1, v159
	v_lshlrev_b32_e32 v153, 1, v163
	v_add3_u32 v150, v158, v157, v143
	v_add3_u32 v147, v166, v165, v203
	;; [unrolled: 1-line block ×4, first 2 shown]
	v_lshlrev_b32_e32 v61, 1, v155
	v_add3_u32 v145, v174, v173, v175
	v_lshlrev_b32_e32 v154, 1, v149
	ds_store_b16 v153, v140 offset:1024
	v_lshlrev_b32_e32 v140, 1, v151
	v_add3_u32 v143, v178, v177, v179
	v_lshlrev_b32_e32 v153, 1, v150
	v_add3_u32 v142, v182, v181, v183
	v_add3_u32 v63, v186, v185, v187
	ds_store_b16 v60, v141 offset:1024
	ds_store_b16 v61, v144 offset:1024
	;; [unrolled: 1-line block ×5, first 2 shown]
	v_dual_lshlrev_b32 v60, 1, v147 :: v_dual_lshlrev_b32 v140, 1, v145
	v_lshlrev_b32_e32 v61, 1, v146
	v_add3_u32 v65, v198, v197, v64
	v_dual_lshlrev_b32 v141, 1, v143 :: v_dual_lshlrev_b32 v144, 1, v142
	v_add3_u32 v64, v201, v200, v167
	ds_store_b16 v60, v160 offset:1024
	ds_store_b16 v61, v164 offset:1024
	ds_store_b16 v140, v168 offset:1024
	ds_store_b16 v141, v172 offset:1024
	ds_store_b16 v144, v176 offset:1024
	v_dual_lshlrev_b32 v60, 1, v63 :: v_dual_lshlrev_b32 v140, 1, v66
	v_cmp_lt_u32_e32 vcc_lo, v2, v139
	v_dual_lshlrev_b32 v61, 1, v67 :: v_dual_lshlrev_b32 v141, 1, v65
	v_lshlrev_b32_e32 v144, 1, v64
	ds_store_b16 v60, v180 offset:1024
	ds_store_b16 v61, v184 offset:1024
	;; [unrolled: 1-line block ×5, first 2 shown]
	s_wait_dscnt 0x0
	s_barrier_signal -1
	s_barrier_wait -1
	s_and_saveexec_b32 s16, vcc_lo
	s_cbranch_execnz .LBB1730_243
; %bb.175:                              ;   in Loop: Header=BB1730_96 Depth=2
	s_or_b32 exec_lo, exec_lo, s16
	v_cmp_lt_u32_e64 s15, v68, v139
	s_and_saveexec_b32 s17, s15
	s_cbranch_execnz .LBB1730_244
.LBB1730_176:                           ;   in Loop: Header=BB1730_96 Depth=2
	s_or_b32 exec_lo, exec_lo, s17
	v_cmp_lt_u32_e64 s16, v69, v139
	s_and_saveexec_b32 s18, s16
	s_cbranch_execnz .LBB1730_245
.LBB1730_177:                           ;   in Loop: Header=BB1730_96 Depth=2
	s_or_b32 exec_lo, exec_lo, s18
	v_cmp_lt_u32_e64 s17, v70, v139
	s_and_saveexec_b32 s19, s17
	s_cbranch_execnz .LBB1730_246
.LBB1730_178:                           ;   in Loop: Header=BB1730_96 Depth=2
	s_or_b32 exec_lo, exec_lo, s19
	v_cmp_lt_u32_e64 s18, v71, v139
	s_and_saveexec_b32 s20, s18
	s_cbranch_execnz .LBB1730_247
.LBB1730_179:                           ;   in Loop: Header=BB1730_96 Depth=2
	s_or_b32 exec_lo, exec_lo, s20
	v_cmp_lt_u32_e64 s19, v72, v139
	s_and_saveexec_b32 s21, s19
	s_cbranch_execnz .LBB1730_248
.LBB1730_180:                           ;   in Loop: Header=BB1730_96 Depth=2
	s_or_b32 exec_lo, exec_lo, s21
	v_cmp_lt_u32_e64 s20, v73, v139
	s_and_saveexec_b32 s22, s20
	s_cbranch_execnz .LBB1730_249
.LBB1730_181:                           ;   in Loop: Header=BB1730_96 Depth=2
	s_or_b32 exec_lo, exec_lo, s22
	v_cmp_lt_u32_e64 s21, v74, v139
	s_and_saveexec_b32 s23, s21
	s_cbranch_execnz .LBB1730_250
.LBB1730_182:                           ;   in Loop: Header=BB1730_96 Depth=2
	s_or_b32 exec_lo, exec_lo, s23
	v_cmp_lt_u32_e64 s22, v75, v139
	s_and_saveexec_b32 s24, s22
	s_cbranch_execnz .LBB1730_251
.LBB1730_183:                           ;   in Loop: Header=BB1730_96 Depth=2
	s_or_b32 exec_lo, exec_lo, s24
	v_cmp_lt_u32_e64 s23, v76, v139
	s_and_saveexec_b32 s25, s23
	s_cbranch_execnz .LBB1730_252
.LBB1730_184:                           ;   in Loop: Header=BB1730_96 Depth=2
	s_or_b32 exec_lo, exec_lo, s25
	v_cmp_lt_u32_e64 s24, v77, v139
	s_and_saveexec_b32 s26, s24
	s_cbranch_execnz .LBB1730_253
.LBB1730_185:                           ;   in Loop: Header=BB1730_96 Depth=2
	s_or_b32 exec_lo, exec_lo, s26
	v_cmp_lt_u32_e64 s25, v78, v139
	s_and_saveexec_b32 s27, s25
	s_cbranch_execnz .LBB1730_254
.LBB1730_186:                           ;   in Loop: Header=BB1730_96 Depth=2
	s_or_b32 exec_lo, exec_lo, s27
	v_cmp_lt_u32_e64 s26, v79, v139
	s_and_saveexec_b32 s28, s26
	s_cbranch_execnz .LBB1730_255
.LBB1730_187:                           ;   in Loop: Header=BB1730_96 Depth=2
	s_or_b32 exec_lo, exec_lo, s28
	v_cmp_lt_u32_e64 s27, v80, v139
	s_and_saveexec_b32 s29, s27
	s_cbranch_execnz .LBB1730_256
.LBB1730_188:                           ;   in Loop: Header=BB1730_96 Depth=2
	s_or_b32 exec_lo, exec_lo, s29
	v_cmp_lt_u32_e64 s28, v81, v139
	s_and_saveexec_b32 s30, s28
	s_cbranch_execnz .LBB1730_257
.LBB1730_189:                           ;   in Loop: Header=BB1730_96 Depth=2
	s_or_b32 exec_lo, exec_lo, s30
	v_cmp_lt_u32_e64 s29, v82, v139
	s_and_saveexec_b32 s58, s29
	s_cbranch_execz .LBB1730_191
.LBB1730_190:                           ;   in Loop: Header=BB1730_96 Depth=2
	ds_load_u16 v60, v93 offset:8704
	s_wait_dscnt 0x0
	v_cmp_ne_u16_e64 s30, 0x8000, v60
	s_delay_alu instid0(VALU_DEP_1) | instskip(SKIP_1) | instid1(VALU_DEP_2)
	v_cndmask_b32_e64 v61, 0x7fff, v60, s30
	v_cmp_gt_i16_e64 s30, 0, v60
	v_and_b32_e32 v61, 0xffff, v61
	s_delay_alu instid0(VALU_DEP_2) | instskip(NEXT) | instid1(VALU_DEP_1)
	v_cndmask_b32_e64 v140, 0x7fff, 0, s30
	v_dual_lshrrev_b32 v61, s48, v61 :: v_dual_bitop2_b32 v60, v140, v60 bitop3:0x14
	s_delay_alu instid0(VALU_DEP_1) | instskip(NEXT) | instid1(VALU_DEP_1)
	v_and_b32_e32 v61, s52, v61
	v_lshlrev_b32_e32 v61, 2, v61
	ds_load_b32 v61, v61
	s_wait_dscnt 0x0
	v_add_nc_u32_e32 v61, v61, v82
	global_store_b16 v61, v60, s[38:39] scale_offset
.LBB1730_191:                           ;   in Loop: Header=BB1730_96 Depth=2
	s_wait_xcnt 0x0
	s_or_b32 exec_lo, exec_lo, s58
	v_lshl_add_u64 v[60:61], s[42:43], 3, v[24:25]
	v_cmp_lt_u32_e64 s30, v100, v139
	s_and_saveexec_b32 s42, s30
	s_delay_alu instid0(SALU_CYCLE_1)
	s_xor_b32 s30, exec_lo, s42
	s_cbranch_execnz .LBB1730_258
; %bb.192:                              ;   in Loop: Header=BB1730_96 Depth=2
	s_or_b32 exec_lo, exec_lo, s30
	s_delay_alu instid0(SALU_CYCLE_1)
	s_mov_b32 s42, exec_lo
	v_cmpx_lt_u32_e64 v103, v139
	s_cbranch_execnz .LBB1730_259
.LBB1730_193:                           ;   in Loop: Header=BB1730_96 Depth=2
	s_or_b32 exec_lo, exec_lo, s42
	s_delay_alu instid0(SALU_CYCLE_1)
	s_mov_b32 s42, exec_lo
	v_cmpx_lt_u32_e64 v104, v139
	s_cbranch_execnz .LBB1730_260
.LBB1730_194:                           ;   in Loop: Header=BB1730_96 Depth=2
	s_or_b32 exec_lo, exec_lo, s42
	s_delay_alu instid0(SALU_CYCLE_1)
	s_mov_b32 s42, exec_lo
	v_cmpx_lt_u32_e64 v105, v139
	s_cbranch_execnz .LBB1730_261
.LBB1730_195:                           ;   in Loop: Header=BB1730_96 Depth=2
	s_or_b32 exec_lo, exec_lo, s42
	s_delay_alu instid0(SALU_CYCLE_1)
	s_mov_b32 s42, exec_lo
	v_cmpx_lt_u32_e64 v106, v139
	s_cbranch_execnz .LBB1730_262
.LBB1730_196:                           ;   in Loop: Header=BB1730_96 Depth=2
	s_or_b32 exec_lo, exec_lo, s42
	s_delay_alu instid0(SALU_CYCLE_1)
	s_mov_b32 s42, exec_lo
	v_cmpx_lt_u32_e64 v107, v139
	s_cbranch_execnz .LBB1730_263
.LBB1730_197:                           ;   in Loop: Header=BB1730_96 Depth=2
	s_or_b32 exec_lo, exec_lo, s42
	s_delay_alu instid0(SALU_CYCLE_1)
	s_mov_b32 s42, exec_lo
	v_cmpx_lt_u32_e64 v108, v139
	s_cbranch_execnz .LBB1730_264
.LBB1730_198:                           ;   in Loop: Header=BB1730_96 Depth=2
	s_or_b32 exec_lo, exec_lo, s42
	s_delay_alu instid0(SALU_CYCLE_1)
	s_mov_b32 s42, exec_lo
	v_cmpx_lt_u32_e64 v109, v139
	s_cbranch_execnz .LBB1730_265
.LBB1730_199:                           ;   in Loop: Header=BB1730_96 Depth=2
	s_or_b32 exec_lo, exec_lo, s42
	s_delay_alu instid0(SALU_CYCLE_1)
	s_mov_b32 s42, exec_lo
	v_cmpx_lt_u32_e64 v110, v139
	s_cbranch_execnz .LBB1730_266
.LBB1730_200:                           ;   in Loop: Header=BB1730_96 Depth=2
	s_or_b32 exec_lo, exec_lo, s42
	s_delay_alu instid0(SALU_CYCLE_1)
	s_mov_b32 s42, exec_lo
	v_cmpx_lt_u32_e64 v111, v139
	s_cbranch_execnz .LBB1730_267
.LBB1730_201:                           ;   in Loop: Header=BB1730_96 Depth=2
	s_or_b32 exec_lo, exec_lo, s42
	s_delay_alu instid0(SALU_CYCLE_1)
	s_mov_b32 s42, exec_lo
	v_cmpx_lt_u32_e64 v112, v139
	s_cbranch_execnz .LBB1730_268
.LBB1730_202:                           ;   in Loop: Header=BB1730_96 Depth=2
	s_or_b32 exec_lo, exec_lo, s42
	s_delay_alu instid0(SALU_CYCLE_1)
	s_mov_b32 s42, exec_lo
	v_cmpx_lt_u32_e64 v113, v139
	s_cbranch_execnz .LBB1730_269
.LBB1730_203:                           ;   in Loop: Header=BB1730_96 Depth=2
	s_or_b32 exec_lo, exec_lo, s42
	s_delay_alu instid0(SALU_CYCLE_1)
	s_mov_b32 s42, exec_lo
	v_cmpx_lt_u32_e64 v114, v139
	s_cbranch_execnz .LBB1730_270
.LBB1730_204:                           ;   in Loop: Header=BB1730_96 Depth=2
	s_or_b32 exec_lo, exec_lo, s42
	s_delay_alu instid0(SALU_CYCLE_1)
	s_mov_b32 s42, exec_lo
	v_cmpx_lt_u32_e64 v115, v139
	s_cbranch_execnz .LBB1730_271
.LBB1730_205:                           ;   in Loop: Header=BB1730_96 Depth=2
	s_or_b32 exec_lo, exec_lo, s42
	s_delay_alu instid0(SALU_CYCLE_1)
	s_mov_b32 s42, exec_lo
	v_cmpx_lt_u32_e64 v116, v139
	s_cbranch_execnz .LBB1730_272
.LBB1730_206:                           ;   in Loop: Header=BB1730_96 Depth=2
	s_or_b32 exec_lo, exec_lo, s42
	s_delay_alu instid0(SALU_CYCLE_1)
	s_mov_b32 s42, exec_lo
	v_cmpx_lt_u32_e64 v117, v139
	s_cbranch_execnz .LBB1730_273
.LBB1730_207:                           ;   in Loop: Header=BB1730_96 Depth=2
	s_or_b32 exec_lo, exec_lo, s42
	s_and_saveexec_b32 s42, vcc_lo
	s_cbranch_execnz .LBB1730_274
.LBB1730_208:                           ;   in Loop: Header=BB1730_96 Depth=2
	s_or_b32 exec_lo, exec_lo, s42
	s_and_saveexec_b32 s42, s15
	s_cbranch_execnz .LBB1730_275
.LBB1730_209:                           ;   in Loop: Header=BB1730_96 Depth=2
	s_or_b32 exec_lo, exec_lo, s42
	s_and_saveexec_b32 s42, s16
	s_cbranch_execnz .LBB1730_276
.LBB1730_210:                           ;   in Loop: Header=BB1730_96 Depth=2
	s_or_b32 exec_lo, exec_lo, s42
	s_and_saveexec_b32 s42, s17
	s_cbranch_execnz .LBB1730_277
.LBB1730_211:                           ;   in Loop: Header=BB1730_96 Depth=2
	s_or_b32 exec_lo, exec_lo, s42
	s_and_saveexec_b32 s42, s18
	s_cbranch_execnz .LBB1730_278
.LBB1730_212:                           ;   in Loop: Header=BB1730_96 Depth=2
	s_or_b32 exec_lo, exec_lo, s42
	s_and_saveexec_b32 s42, s19
	s_cbranch_execnz .LBB1730_279
.LBB1730_213:                           ;   in Loop: Header=BB1730_96 Depth=2
	s_or_b32 exec_lo, exec_lo, s42
	s_and_saveexec_b32 s42, s20
	s_cbranch_execnz .LBB1730_280
.LBB1730_214:                           ;   in Loop: Header=BB1730_96 Depth=2
	s_or_b32 exec_lo, exec_lo, s42
	s_and_saveexec_b32 s42, s21
	s_cbranch_execnz .LBB1730_281
.LBB1730_215:                           ;   in Loop: Header=BB1730_96 Depth=2
	s_or_b32 exec_lo, exec_lo, s42
	s_and_saveexec_b32 s42, s22
	s_cbranch_execnz .LBB1730_282
.LBB1730_216:                           ;   in Loop: Header=BB1730_96 Depth=2
	s_or_b32 exec_lo, exec_lo, s42
	s_and_saveexec_b32 s42, s23
	s_cbranch_execnz .LBB1730_283
.LBB1730_217:                           ;   in Loop: Header=BB1730_96 Depth=2
	s_or_b32 exec_lo, exec_lo, s42
	s_and_saveexec_b32 s42, s24
	s_cbranch_execnz .LBB1730_284
.LBB1730_218:                           ;   in Loop: Header=BB1730_96 Depth=2
	s_or_b32 exec_lo, exec_lo, s42
	s_and_saveexec_b32 s42, s25
	s_cbranch_execnz .LBB1730_285
.LBB1730_219:                           ;   in Loop: Header=BB1730_96 Depth=2
	s_or_b32 exec_lo, exec_lo, s42
	s_and_saveexec_b32 s42, s26
	s_cbranch_execnz .LBB1730_286
.LBB1730_220:                           ;   in Loop: Header=BB1730_96 Depth=2
	s_or_b32 exec_lo, exec_lo, s42
	s_and_saveexec_b32 s42, s27
	s_cbranch_execnz .LBB1730_287
.LBB1730_221:                           ;   in Loop: Header=BB1730_96 Depth=2
	s_or_b32 exec_lo, exec_lo, s42
	s_and_saveexec_b32 s42, s28
	s_cbranch_execnz .LBB1730_288
.LBB1730_222:                           ;   in Loop: Header=BB1730_96 Depth=2
	s_or_b32 exec_lo, exec_lo, s42
	s_and_saveexec_b32 s42, s29
	s_cbranch_execz .LBB1730_224
.LBB1730_223:                           ;   in Loop: Header=BB1730_96 Depth=2
	ds_load_u16 v60, v93 offset:8704
	s_wait_dscnt 0x0
	v_cmp_ne_u16_e64 s30, 0x8000, v60
	s_delay_alu instid0(VALU_DEP_1) | instskip(NEXT) | instid1(VALU_DEP_1)
	v_cndmask_b32_e64 v60, 0x7fff, v60, s30
	v_and_b32_e32 v60, 0xffff, v60
	s_delay_alu instid0(VALU_DEP_1) | instskip(NEXT) | instid1(VALU_DEP_1)
	v_lshrrev_b32_e32 v60, s48, v60
	v_and_b32_e32 v123, s52, v60
.LBB1730_224:                           ;   in Loop: Header=BB1730_96 Depth=2
	s_or_b32 exec_lo, exec_lo, s42
	v_dual_lshlrev_b32 v60, 3, v163 :: v_dual_lshlrev_b32 v140, 3, v150
	s_wait_loadcnt 0x0
	s_wait_storecnt 0x0
	s_barrier_signal -1
	s_barrier_wait -1
	ds_store_b64 v60, v[58:59] offset:1024
	v_dual_lshlrev_b32 v60, 3, v159 :: v_dual_lshlrev_b32 v141, 3, v149
	v_lshlrev_b32_e32 v61, 3, v155
	v_lshlrev_b32_e32 v139, 3, v151
	ds_store_b64 v60, v[56:57] offset:1024
	ds_store_b64 v61, v[54:55] offset:1024
	;; [unrolled: 1-line block ×5, first 2 shown]
	v_dual_lshlrev_b32 v60, 3, v147 :: v_dual_lshlrev_b32 v141, 3, v142
	v_dual_lshlrev_b32 v61, 3, v146 :: v_dual_lshlrev_b32 v139, 3, v145
	v_lshlrev_b32_e32 v140, 3, v143
	ds_store_b64 v60, v[46:47] offset:1024
	ds_store_b64 v61, v[44:45] offset:1024
	;; [unrolled: 1-line block ×5, first 2 shown]
	v_dual_lshlrev_b32 v60, 3, v63 :: v_dual_lshlrev_b32 v65, 3, v65
	v_dual_lshlrev_b32 v61, 3, v67 :: v_dual_lshlrev_b32 v64, 3, v64
	v_lshlrev_b32_e32 v63, 3, v66
	ds_store_b64 v60, v[36:37] offset:1024
	ds_store_b64 v61, v[34:35] offset:1024
	ds_store_b64 v63, v[32:33] offset:1024
	ds_store_b64 v65, v[30:31] offset:1024
	ds_store_b64 v64, v[28:29] offset:1024
	s_wait_dscnt 0x0
	s_barrier_signal -1
	s_barrier_wait -1
	s_and_saveexec_b32 s30, vcc_lo
	s_cbranch_execnz .LBB1730_289
; %bb.225:                              ;   in Loop: Header=BB1730_96 Depth=2
	s_or_b32 exec_lo, exec_lo, s30
	s_and_saveexec_b32 s30, s15
	s_cbranch_execnz .LBB1730_290
.LBB1730_226:                           ;   in Loop: Header=BB1730_96 Depth=2
	s_or_b32 exec_lo, exec_lo, s30
	s_and_saveexec_b32 s15, s16
	s_cbranch_execnz .LBB1730_291
.LBB1730_227:                           ;   in Loop: Header=BB1730_96 Depth=2
	s_or_b32 exec_lo, exec_lo, s15
	s_and_saveexec_b32 s15, s17
	s_cbranch_execnz .LBB1730_292
.LBB1730_228:                           ;   in Loop: Header=BB1730_96 Depth=2
	s_or_b32 exec_lo, exec_lo, s15
	s_and_saveexec_b32 s15, s18
	s_cbranch_execnz .LBB1730_293
.LBB1730_229:                           ;   in Loop: Header=BB1730_96 Depth=2
	s_or_b32 exec_lo, exec_lo, s15
	s_and_saveexec_b32 s15, s19
	s_cbranch_execnz .LBB1730_294
.LBB1730_230:                           ;   in Loop: Header=BB1730_96 Depth=2
	s_or_b32 exec_lo, exec_lo, s15
	s_and_saveexec_b32 s15, s20
	s_cbranch_execnz .LBB1730_295
.LBB1730_231:                           ;   in Loop: Header=BB1730_96 Depth=2
	s_or_b32 exec_lo, exec_lo, s15
	s_and_saveexec_b32 s15, s21
	s_cbranch_execnz .LBB1730_296
.LBB1730_232:                           ;   in Loop: Header=BB1730_96 Depth=2
	s_or_b32 exec_lo, exec_lo, s15
	s_and_saveexec_b32 s15, s22
	s_cbranch_execnz .LBB1730_297
.LBB1730_233:                           ;   in Loop: Header=BB1730_96 Depth=2
	s_or_b32 exec_lo, exec_lo, s15
	s_and_saveexec_b32 s15, s23
	s_cbranch_execnz .LBB1730_298
.LBB1730_234:                           ;   in Loop: Header=BB1730_96 Depth=2
	s_or_b32 exec_lo, exec_lo, s15
	s_and_saveexec_b32 s15, s24
	s_cbranch_execnz .LBB1730_299
.LBB1730_235:                           ;   in Loop: Header=BB1730_96 Depth=2
	s_or_b32 exec_lo, exec_lo, s15
	s_and_saveexec_b32 s15, s25
	s_cbranch_execnz .LBB1730_300
.LBB1730_236:                           ;   in Loop: Header=BB1730_96 Depth=2
	s_or_b32 exec_lo, exec_lo, s15
	s_and_saveexec_b32 s15, s26
	s_cbranch_execnz .LBB1730_301
.LBB1730_237:                           ;   in Loop: Header=BB1730_96 Depth=2
	s_or_b32 exec_lo, exec_lo, s15
	s_and_saveexec_b32 s15, s27
	s_cbranch_execnz .LBB1730_302
.LBB1730_238:                           ;   in Loop: Header=BB1730_96 Depth=2
	s_or_b32 exec_lo, exec_lo, s15
	s_and_saveexec_b32 s15, s28
	s_cbranch_execnz .LBB1730_303
.LBB1730_239:                           ;   in Loop: Header=BB1730_96 Depth=2
	s_or_b32 exec_lo, exec_lo, s15
	s_and_saveexec_b32 s15, s29
	s_cbranch_execz .LBB1730_241
.LBB1730_240:                           ;   in Loop: Header=BB1730_96 Depth=2
	v_dual_lshlrev_b32 v60, 2, v123 :: v_dual_add_nc_u32 v61, v93, v94
	ds_load_b32 v63, v60
	ds_load_b64 v[60:61], v61 offset:31744
	s_wait_dscnt 0x1
	v_add_nc_u32_e32 v63, v63, v82
	s_wait_dscnt 0x0
	global_store_b64 v63, v[60:61], s[44:45] scale_offset
.LBB1730_241:                           ;   in Loop: Header=BB1730_96 Depth=2
	s_wait_xcnt 0x0
	s_or_b32 exec_lo, exec_lo, s15
	s_wait_storecnt 0x0
	s_barrier_signal -1
	s_barrier_wait -1
	s_and_saveexec_b32 s15, s0
	s_cbranch_execz .LBB1730_95
; %bb.242:                              ;   in Loop: Header=BB1730_96 Depth=2
	ds_load_b32 v60, v3
	s_wait_dscnt 0x0
	v_add_nc_u32_e32 v60, v60, v62
	ds_store_b32 v3, v60
	s_branch .LBB1730_95
.LBB1730_243:                           ;   in Loop: Header=BB1730_96 Depth=2
	ds_load_u16 v60, v93 offset:1024
	s_wait_dscnt 0x0
	v_cmp_ne_u16_e64 s15, 0x8000, v60
	s_delay_alu instid0(VALU_DEP_1) | instskip(SKIP_1) | instid1(VALU_DEP_2)
	v_cndmask_b32_e64 v61, 0x7fff, v60, s15
	v_cmp_gt_i16_e64 s15, 0, v60
	v_and_b32_e32 v61, 0xffff, v61
	s_delay_alu instid0(VALU_DEP_2) | instskip(NEXT) | instid1(VALU_DEP_1)
	v_cndmask_b32_e64 v140, 0x7fff, 0, s15
	v_dual_lshrrev_b32 v61, s48, v61 :: v_dual_bitop2_b32 v60, v140, v60 bitop3:0x14
	s_delay_alu instid0(VALU_DEP_1) | instskip(NEXT) | instid1(VALU_DEP_1)
	v_and_b32_e32 v61, s52, v61
	v_lshlrev_b32_e32 v61, 2, v61
	ds_load_b32 v61, v61
	s_wait_dscnt 0x0
	v_add_nc_u32_e32 v61, v61, v2
	global_store_b16 v61, v60, s[38:39] scale_offset
	s_wait_xcnt 0x0
	s_or_b32 exec_lo, exec_lo, s16
	v_cmp_lt_u32_e64 s15, v68, v139
	s_and_saveexec_b32 s17, s15
	s_cbranch_execz .LBB1730_176
.LBB1730_244:                           ;   in Loop: Header=BB1730_96 Depth=2
	ds_load_u16 v60, v93 offset:1536
	s_wait_dscnt 0x0
	v_cmp_ne_u16_e64 s16, 0x8000, v60
	s_delay_alu instid0(VALU_DEP_1) | instskip(SKIP_1) | instid1(VALU_DEP_2)
	v_cndmask_b32_e64 v61, 0x7fff, v60, s16
	v_cmp_gt_i16_e64 s16, 0, v60
	v_and_b32_e32 v61, 0xffff, v61
	s_delay_alu instid0(VALU_DEP_2) | instskip(NEXT) | instid1(VALU_DEP_1)
	v_cndmask_b32_e64 v140, 0x7fff, 0, s16
	v_dual_lshrrev_b32 v61, s48, v61 :: v_dual_bitop2_b32 v60, v140, v60 bitop3:0x14
	s_delay_alu instid0(VALU_DEP_1) | instskip(NEXT) | instid1(VALU_DEP_1)
	v_and_b32_e32 v61, s52, v61
	v_lshlrev_b32_e32 v61, 2, v61
	ds_load_b32 v61, v61
	s_wait_dscnt 0x0
	v_add_nc_u32_e32 v61, v61, v68
	global_store_b16 v61, v60, s[38:39] scale_offset
	s_wait_xcnt 0x0
	s_or_b32 exec_lo, exec_lo, s17
	v_cmp_lt_u32_e64 s16, v69, v139
	s_and_saveexec_b32 s18, s16
	s_cbranch_execz .LBB1730_177
.LBB1730_245:                           ;   in Loop: Header=BB1730_96 Depth=2
	ds_load_u16 v60, v93 offset:2048
	s_wait_dscnt 0x0
	v_cmp_ne_u16_e64 s17, 0x8000, v60
	s_delay_alu instid0(VALU_DEP_1) | instskip(SKIP_1) | instid1(VALU_DEP_2)
	v_cndmask_b32_e64 v61, 0x7fff, v60, s17
	v_cmp_gt_i16_e64 s17, 0, v60
	v_and_b32_e32 v61, 0xffff, v61
	s_delay_alu instid0(VALU_DEP_2) | instskip(NEXT) | instid1(VALU_DEP_1)
	v_cndmask_b32_e64 v140, 0x7fff, 0, s17
	v_dual_lshrrev_b32 v61, s48, v61 :: v_dual_bitop2_b32 v60, v140, v60 bitop3:0x14
	s_delay_alu instid0(VALU_DEP_1) | instskip(NEXT) | instid1(VALU_DEP_1)
	v_and_b32_e32 v61, s52, v61
	v_lshlrev_b32_e32 v61, 2, v61
	ds_load_b32 v61, v61
	s_wait_dscnt 0x0
	v_add_nc_u32_e32 v61, v61, v69
	global_store_b16 v61, v60, s[38:39] scale_offset
	s_wait_xcnt 0x0
	s_or_b32 exec_lo, exec_lo, s18
	v_cmp_lt_u32_e64 s17, v70, v139
	s_and_saveexec_b32 s19, s17
	s_cbranch_execz .LBB1730_178
.LBB1730_246:                           ;   in Loop: Header=BB1730_96 Depth=2
	ds_load_u16 v60, v93 offset:2560
	s_wait_dscnt 0x0
	v_cmp_ne_u16_e64 s18, 0x8000, v60
	s_delay_alu instid0(VALU_DEP_1) | instskip(SKIP_1) | instid1(VALU_DEP_2)
	v_cndmask_b32_e64 v61, 0x7fff, v60, s18
	v_cmp_gt_i16_e64 s18, 0, v60
	v_and_b32_e32 v61, 0xffff, v61
	s_delay_alu instid0(VALU_DEP_2) | instskip(NEXT) | instid1(VALU_DEP_1)
	v_cndmask_b32_e64 v140, 0x7fff, 0, s18
	v_dual_lshrrev_b32 v61, s48, v61 :: v_dual_bitop2_b32 v60, v140, v60 bitop3:0x14
	s_delay_alu instid0(VALU_DEP_1) | instskip(NEXT) | instid1(VALU_DEP_1)
	v_and_b32_e32 v61, s52, v61
	v_lshlrev_b32_e32 v61, 2, v61
	ds_load_b32 v61, v61
	s_wait_dscnt 0x0
	v_add_nc_u32_e32 v61, v61, v70
	global_store_b16 v61, v60, s[38:39] scale_offset
	s_wait_xcnt 0x0
	s_or_b32 exec_lo, exec_lo, s19
	v_cmp_lt_u32_e64 s18, v71, v139
	s_and_saveexec_b32 s20, s18
	s_cbranch_execz .LBB1730_179
.LBB1730_247:                           ;   in Loop: Header=BB1730_96 Depth=2
	ds_load_u16 v60, v93 offset:3072
	s_wait_dscnt 0x0
	v_cmp_ne_u16_e64 s19, 0x8000, v60
	s_delay_alu instid0(VALU_DEP_1) | instskip(SKIP_1) | instid1(VALU_DEP_2)
	v_cndmask_b32_e64 v61, 0x7fff, v60, s19
	v_cmp_gt_i16_e64 s19, 0, v60
	v_and_b32_e32 v61, 0xffff, v61
	s_delay_alu instid0(VALU_DEP_2) | instskip(NEXT) | instid1(VALU_DEP_1)
	v_cndmask_b32_e64 v140, 0x7fff, 0, s19
	v_dual_lshrrev_b32 v61, s48, v61 :: v_dual_bitop2_b32 v60, v140, v60 bitop3:0x14
	s_delay_alu instid0(VALU_DEP_1) | instskip(NEXT) | instid1(VALU_DEP_1)
	v_and_b32_e32 v61, s52, v61
	v_lshlrev_b32_e32 v61, 2, v61
	ds_load_b32 v61, v61
	s_wait_dscnt 0x0
	v_add_nc_u32_e32 v61, v61, v71
	global_store_b16 v61, v60, s[38:39] scale_offset
	s_wait_xcnt 0x0
	s_or_b32 exec_lo, exec_lo, s20
	v_cmp_lt_u32_e64 s19, v72, v139
	s_and_saveexec_b32 s21, s19
	s_cbranch_execz .LBB1730_180
.LBB1730_248:                           ;   in Loop: Header=BB1730_96 Depth=2
	ds_load_u16 v60, v93 offset:3584
	s_wait_dscnt 0x0
	v_cmp_ne_u16_e64 s20, 0x8000, v60
	s_delay_alu instid0(VALU_DEP_1) | instskip(SKIP_1) | instid1(VALU_DEP_2)
	v_cndmask_b32_e64 v61, 0x7fff, v60, s20
	v_cmp_gt_i16_e64 s20, 0, v60
	v_and_b32_e32 v61, 0xffff, v61
	s_delay_alu instid0(VALU_DEP_2) | instskip(NEXT) | instid1(VALU_DEP_1)
	v_cndmask_b32_e64 v140, 0x7fff, 0, s20
	v_dual_lshrrev_b32 v61, s48, v61 :: v_dual_bitop2_b32 v60, v140, v60 bitop3:0x14
	s_delay_alu instid0(VALU_DEP_1) | instskip(NEXT) | instid1(VALU_DEP_1)
	v_and_b32_e32 v61, s52, v61
	v_lshlrev_b32_e32 v61, 2, v61
	ds_load_b32 v61, v61
	s_wait_dscnt 0x0
	v_add_nc_u32_e32 v61, v61, v72
	global_store_b16 v61, v60, s[38:39] scale_offset
	s_wait_xcnt 0x0
	s_or_b32 exec_lo, exec_lo, s21
	v_cmp_lt_u32_e64 s20, v73, v139
	s_and_saveexec_b32 s22, s20
	s_cbranch_execz .LBB1730_181
.LBB1730_249:                           ;   in Loop: Header=BB1730_96 Depth=2
	ds_load_u16 v60, v93 offset:4096
	s_wait_dscnt 0x0
	v_cmp_ne_u16_e64 s21, 0x8000, v60
	s_delay_alu instid0(VALU_DEP_1) | instskip(SKIP_1) | instid1(VALU_DEP_2)
	v_cndmask_b32_e64 v61, 0x7fff, v60, s21
	v_cmp_gt_i16_e64 s21, 0, v60
	v_and_b32_e32 v61, 0xffff, v61
	s_delay_alu instid0(VALU_DEP_2) | instskip(NEXT) | instid1(VALU_DEP_1)
	v_cndmask_b32_e64 v140, 0x7fff, 0, s21
	v_dual_lshrrev_b32 v61, s48, v61 :: v_dual_bitop2_b32 v60, v140, v60 bitop3:0x14
	s_delay_alu instid0(VALU_DEP_1) | instskip(NEXT) | instid1(VALU_DEP_1)
	v_and_b32_e32 v61, s52, v61
	v_lshlrev_b32_e32 v61, 2, v61
	ds_load_b32 v61, v61
	s_wait_dscnt 0x0
	v_add_nc_u32_e32 v61, v61, v73
	global_store_b16 v61, v60, s[38:39] scale_offset
	s_wait_xcnt 0x0
	s_or_b32 exec_lo, exec_lo, s22
	v_cmp_lt_u32_e64 s21, v74, v139
	s_and_saveexec_b32 s23, s21
	s_cbranch_execz .LBB1730_182
.LBB1730_250:                           ;   in Loop: Header=BB1730_96 Depth=2
	ds_load_u16 v60, v93 offset:4608
	s_wait_dscnt 0x0
	v_cmp_ne_u16_e64 s22, 0x8000, v60
	s_delay_alu instid0(VALU_DEP_1) | instskip(SKIP_1) | instid1(VALU_DEP_2)
	v_cndmask_b32_e64 v61, 0x7fff, v60, s22
	v_cmp_gt_i16_e64 s22, 0, v60
	v_and_b32_e32 v61, 0xffff, v61
	s_delay_alu instid0(VALU_DEP_2) | instskip(NEXT) | instid1(VALU_DEP_1)
	v_cndmask_b32_e64 v140, 0x7fff, 0, s22
	v_dual_lshrrev_b32 v61, s48, v61 :: v_dual_bitop2_b32 v60, v140, v60 bitop3:0x14
	s_delay_alu instid0(VALU_DEP_1) | instskip(NEXT) | instid1(VALU_DEP_1)
	v_and_b32_e32 v61, s52, v61
	v_lshlrev_b32_e32 v61, 2, v61
	ds_load_b32 v61, v61
	s_wait_dscnt 0x0
	v_add_nc_u32_e32 v61, v61, v74
	global_store_b16 v61, v60, s[38:39] scale_offset
	s_wait_xcnt 0x0
	s_or_b32 exec_lo, exec_lo, s23
	v_cmp_lt_u32_e64 s22, v75, v139
	s_and_saveexec_b32 s24, s22
	s_cbranch_execz .LBB1730_183
.LBB1730_251:                           ;   in Loop: Header=BB1730_96 Depth=2
	ds_load_u16 v60, v93 offset:5120
	s_wait_dscnt 0x0
	v_cmp_ne_u16_e64 s23, 0x8000, v60
	s_delay_alu instid0(VALU_DEP_1) | instskip(SKIP_1) | instid1(VALU_DEP_2)
	v_cndmask_b32_e64 v61, 0x7fff, v60, s23
	v_cmp_gt_i16_e64 s23, 0, v60
	v_and_b32_e32 v61, 0xffff, v61
	s_delay_alu instid0(VALU_DEP_2) | instskip(NEXT) | instid1(VALU_DEP_1)
	v_cndmask_b32_e64 v140, 0x7fff, 0, s23
	v_dual_lshrrev_b32 v61, s48, v61 :: v_dual_bitop2_b32 v60, v140, v60 bitop3:0x14
	s_delay_alu instid0(VALU_DEP_1) | instskip(NEXT) | instid1(VALU_DEP_1)
	v_and_b32_e32 v61, s52, v61
	v_lshlrev_b32_e32 v61, 2, v61
	ds_load_b32 v61, v61
	s_wait_dscnt 0x0
	v_add_nc_u32_e32 v61, v61, v75
	global_store_b16 v61, v60, s[38:39] scale_offset
	s_wait_xcnt 0x0
	s_or_b32 exec_lo, exec_lo, s24
	v_cmp_lt_u32_e64 s23, v76, v139
	s_and_saveexec_b32 s25, s23
	s_cbranch_execz .LBB1730_184
.LBB1730_252:                           ;   in Loop: Header=BB1730_96 Depth=2
	ds_load_u16 v60, v93 offset:5632
	s_wait_dscnt 0x0
	v_cmp_ne_u16_e64 s24, 0x8000, v60
	s_delay_alu instid0(VALU_DEP_1) | instskip(SKIP_1) | instid1(VALU_DEP_2)
	v_cndmask_b32_e64 v61, 0x7fff, v60, s24
	v_cmp_gt_i16_e64 s24, 0, v60
	v_and_b32_e32 v61, 0xffff, v61
	s_delay_alu instid0(VALU_DEP_2) | instskip(NEXT) | instid1(VALU_DEP_1)
	v_cndmask_b32_e64 v140, 0x7fff, 0, s24
	v_dual_lshrrev_b32 v61, s48, v61 :: v_dual_bitop2_b32 v60, v140, v60 bitop3:0x14
	s_delay_alu instid0(VALU_DEP_1) | instskip(NEXT) | instid1(VALU_DEP_1)
	v_and_b32_e32 v61, s52, v61
	v_lshlrev_b32_e32 v61, 2, v61
	ds_load_b32 v61, v61
	s_wait_dscnt 0x0
	v_add_nc_u32_e32 v61, v61, v76
	global_store_b16 v61, v60, s[38:39] scale_offset
	s_wait_xcnt 0x0
	s_or_b32 exec_lo, exec_lo, s25
	v_cmp_lt_u32_e64 s24, v77, v139
	s_and_saveexec_b32 s26, s24
	s_cbranch_execz .LBB1730_185
.LBB1730_253:                           ;   in Loop: Header=BB1730_96 Depth=2
	ds_load_u16 v60, v93 offset:6144
	s_wait_dscnt 0x0
	v_cmp_ne_u16_e64 s25, 0x8000, v60
	s_delay_alu instid0(VALU_DEP_1) | instskip(SKIP_1) | instid1(VALU_DEP_2)
	v_cndmask_b32_e64 v61, 0x7fff, v60, s25
	v_cmp_gt_i16_e64 s25, 0, v60
	v_and_b32_e32 v61, 0xffff, v61
	s_delay_alu instid0(VALU_DEP_2) | instskip(NEXT) | instid1(VALU_DEP_1)
	v_cndmask_b32_e64 v140, 0x7fff, 0, s25
	v_dual_lshrrev_b32 v61, s48, v61 :: v_dual_bitop2_b32 v60, v140, v60 bitop3:0x14
	s_delay_alu instid0(VALU_DEP_1) | instskip(NEXT) | instid1(VALU_DEP_1)
	v_and_b32_e32 v61, s52, v61
	v_lshlrev_b32_e32 v61, 2, v61
	ds_load_b32 v61, v61
	s_wait_dscnt 0x0
	v_add_nc_u32_e32 v61, v61, v77
	global_store_b16 v61, v60, s[38:39] scale_offset
	s_wait_xcnt 0x0
	s_or_b32 exec_lo, exec_lo, s26
	v_cmp_lt_u32_e64 s25, v78, v139
	s_and_saveexec_b32 s27, s25
	s_cbranch_execz .LBB1730_186
.LBB1730_254:                           ;   in Loop: Header=BB1730_96 Depth=2
	ds_load_u16 v60, v93 offset:6656
	s_wait_dscnt 0x0
	v_cmp_ne_u16_e64 s26, 0x8000, v60
	s_delay_alu instid0(VALU_DEP_1) | instskip(SKIP_1) | instid1(VALU_DEP_2)
	v_cndmask_b32_e64 v61, 0x7fff, v60, s26
	v_cmp_gt_i16_e64 s26, 0, v60
	v_and_b32_e32 v61, 0xffff, v61
	s_delay_alu instid0(VALU_DEP_2) | instskip(NEXT) | instid1(VALU_DEP_1)
	v_cndmask_b32_e64 v140, 0x7fff, 0, s26
	v_dual_lshrrev_b32 v61, s48, v61 :: v_dual_bitop2_b32 v60, v140, v60 bitop3:0x14
	s_delay_alu instid0(VALU_DEP_1) | instskip(NEXT) | instid1(VALU_DEP_1)
	v_and_b32_e32 v61, s52, v61
	v_lshlrev_b32_e32 v61, 2, v61
	ds_load_b32 v61, v61
	s_wait_dscnt 0x0
	v_add_nc_u32_e32 v61, v61, v78
	global_store_b16 v61, v60, s[38:39] scale_offset
	s_wait_xcnt 0x0
	s_or_b32 exec_lo, exec_lo, s27
	v_cmp_lt_u32_e64 s26, v79, v139
	s_and_saveexec_b32 s28, s26
	s_cbranch_execz .LBB1730_187
.LBB1730_255:                           ;   in Loop: Header=BB1730_96 Depth=2
	ds_load_u16 v60, v93 offset:7168
	s_wait_dscnt 0x0
	v_cmp_ne_u16_e64 s27, 0x8000, v60
	s_delay_alu instid0(VALU_DEP_1) | instskip(SKIP_1) | instid1(VALU_DEP_2)
	v_cndmask_b32_e64 v61, 0x7fff, v60, s27
	v_cmp_gt_i16_e64 s27, 0, v60
	v_and_b32_e32 v61, 0xffff, v61
	s_delay_alu instid0(VALU_DEP_2) | instskip(NEXT) | instid1(VALU_DEP_1)
	v_cndmask_b32_e64 v140, 0x7fff, 0, s27
	v_dual_lshrrev_b32 v61, s48, v61 :: v_dual_bitop2_b32 v60, v140, v60 bitop3:0x14
	s_delay_alu instid0(VALU_DEP_1) | instskip(NEXT) | instid1(VALU_DEP_1)
	v_and_b32_e32 v61, s52, v61
	v_lshlrev_b32_e32 v61, 2, v61
	ds_load_b32 v61, v61
	s_wait_dscnt 0x0
	v_add_nc_u32_e32 v61, v61, v79
	global_store_b16 v61, v60, s[38:39] scale_offset
	s_wait_xcnt 0x0
	s_or_b32 exec_lo, exec_lo, s28
	v_cmp_lt_u32_e64 s27, v80, v139
	s_and_saveexec_b32 s29, s27
	s_cbranch_execz .LBB1730_188
.LBB1730_256:                           ;   in Loop: Header=BB1730_96 Depth=2
	ds_load_u16 v60, v93 offset:7680
	s_wait_dscnt 0x0
	v_cmp_ne_u16_e64 s28, 0x8000, v60
	s_delay_alu instid0(VALU_DEP_1) | instskip(SKIP_1) | instid1(VALU_DEP_2)
	v_cndmask_b32_e64 v61, 0x7fff, v60, s28
	v_cmp_gt_i16_e64 s28, 0, v60
	v_and_b32_e32 v61, 0xffff, v61
	s_delay_alu instid0(VALU_DEP_2) | instskip(NEXT) | instid1(VALU_DEP_1)
	v_cndmask_b32_e64 v140, 0x7fff, 0, s28
	v_dual_lshrrev_b32 v61, s48, v61 :: v_dual_bitop2_b32 v60, v140, v60 bitop3:0x14
	s_delay_alu instid0(VALU_DEP_1) | instskip(NEXT) | instid1(VALU_DEP_1)
	v_and_b32_e32 v61, s52, v61
	v_lshlrev_b32_e32 v61, 2, v61
	ds_load_b32 v61, v61
	s_wait_dscnt 0x0
	v_add_nc_u32_e32 v61, v61, v80
	global_store_b16 v61, v60, s[38:39] scale_offset
	s_wait_xcnt 0x0
	s_or_b32 exec_lo, exec_lo, s29
	v_cmp_lt_u32_e64 s28, v81, v139
	s_and_saveexec_b32 s30, s28
	s_cbranch_execz .LBB1730_189
.LBB1730_257:                           ;   in Loop: Header=BB1730_96 Depth=2
	ds_load_u16 v60, v93 offset:8192
	s_wait_dscnt 0x0
	v_cmp_ne_u16_e64 s29, 0x8000, v60
	s_delay_alu instid0(VALU_DEP_1) | instskip(SKIP_1) | instid1(VALU_DEP_2)
	v_cndmask_b32_e64 v61, 0x7fff, v60, s29
	v_cmp_gt_i16_e64 s29, 0, v60
	v_and_b32_e32 v61, 0xffff, v61
	s_delay_alu instid0(VALU_DEP_2) | instskip(NEXT) | instid1(VALU_DEP_1)
	v_cndmask_b32_e64 v140, 0x7fff, 0, s29
	v_dual_lshrrev_b32 v61, s48, v61 :: v_dual_bitop2_b32 v60, v140, v60 bitop3:0x14
	s_delay_alu instid0(VALU_DEP_1) | instskip(NEXT) | instid1(VALU_DEP_1)
	v_and_b32_e32 v61, s52, v61
	v_lshlrev_b32_e32 v61, 2, v61
	ds_load_b32 v61, v61
	s_wait_dscnt 0x0
	v_add_nc_u32_e32 v61, v61, v81
	global_store_b16 v61, v60, s[38:39] scale_offset
	s_wait_xcnt 0x0
	s_or_b32 exec_lo, exec_lo, s30
	v_cmp_lt_u32_e64 s29, v82, v139
	s_and_saveexec_b32 s58, s29
	s_cbranch_execnz .LBB1730_190
	s_branch .LBB1730_191
.LBB1730_258:                           ;   in Loop: Header=BB1730_96 Depth=2
	global_load_b64 v[58:59], v[60:61], off
	s_wait_xcnt 0x0
	s_or_b32 exec_lo, exec_lo, s30
	s_delay_alu instid0(SALU_CYCLE_1)
	s_mov_b32 s42, exec_lo
	v_cmpx_lt_u32_e64 v103, v139
	s_cbranch_execz .LBB1730_193
.LBB1730_259:                           ;   in Loop: Header=BB1730_96 Depth=2
	global_load_b64 v[56:57], v[60:61], off offset:256
	s_wait_xcnt 0x0
	s_or_b32 exec_lo, exec_lo, s42
	s_delay_alu instid0(SALU_CYCLE_1)
	s_mov_b32 s42, exec_lo
	v_cmpx_lt_u32_e64 v104, v139
	s_cbranch_execz .LBB1730_194
.LBB1730_260:                           ;   in Loop: Header=BB1730_96 Depth=2
	global_load_b64 v[54:55], v[60:61], off offset:512
	s_wait_xcnt 0x0
	s_or_b32 exec_lo, exec_lo, s42
	s_delay_alu instid0(SALU_CYCLE_1)
	s_mov_b32 s42, exec_lo
	v_cmpx_lt_u32_e64 v105, v139
	s_cbranch_execz .LBB1730_195
.LBB1730_261:                           ;   in Loop: Header=BB1730_96 Depth=2
	global_load_b64 v[52:53], v[60:61], off offset:768
	s_wait_xcnt 0x0
	s_or_b32 exec_lo, exec_lo, s42
	s_delay_alu instid0(SALU_CYCLE_1)
	s_mov_b32 s42, exec_lo
	v_cmpx_lt_u32_e64 v106, v139
	s_cbranch_execz .LBB1730_196
.LBB1730_262:                           ;   in Loop: Header=BB1730_96 Depth=2
	global_load_b64 v[50:51], v[60:61], off offset:1024
	s_wait_xcnt 0x0
	s_or_b32 exec_lo, exec_lo, s42
	s_delay_alu instid0(SALU_CYCLE_1)
	s_mov_b32 s42, exec_lo
	v_cmpx_lt_u32_e64 v107, v139
	s_cbranch_execz .LBB1730_197
.LBB1730_263:                           ;   in Loop: Header=BB1730_96 Depth=2
	global_load_b64 v[48:49], v[60:61], off offset:1280
	s_wait_xcnt 0x0
	s_or_b32 exec_lo, exec_lo, s42
	s_delay_alu instid0(SALU_CYCLE_1)
	s_mov_b32 s42, exec_lo
	v_cmpx_lt_u32_e64 v108, v139
	s_cbranch_execz .LBB1730_198
.LBB1730_264:                           ;   in Loop: Header=BB1730_96 Depth=2
	global_load_b64 v[46:47], v[60:61], off offset:1536
	s_wait_xcnt 0x0
	s_or_b32 exec_lo, exec_lo, s42
	s_delay_alu instid0(SALU_CYCLE_1)
	s_mov_b32 s42, exec_lo
	v_cmpx_lt_u32_e64 v109, v139
	s_cbranch_execz .LBB1730_199
.LBB1730_265:                           ;   in Loop: Header=BB1730_96 Depth=2
	global_load_b64 v[44:45], v[60:61], off offset:1792
	s_wait_xcnt 0x0
	s_or_b32 exec_lo, exec_lo, s42
	s_delay_alu instid0(SALU_CYCLE_1)
	s_mov_b32 s42, exec_lo
	v_cmpx_lt_u32_e64 v110, v139
	s_cbranch_execz .LBB1730_200
.LBB1730_266:                           ;   in Loop: Header=BB1730_96 Depth=2
	global_load_b64 v[42:43], v[60:61], off offset:2048
	s_wait_xcnt 0x0
	s_or_b32 exec_lo, exec_lo, s42
	s_delay_alu instid0(SALU_CYCLE_1)
	s_mov_b32 s42, exec_lo
	v_cmpx_lt_u32_e64 v111, v139
	s_cbranch_execz .LBB1730_201
.LBB1730_267:                           ;   in Loop: Header=BB1730_96 Depth=2
	global_load_b64 v[40:41], v[60:61], off offset:2304
	s_wait_xcnt 0x0
	s_or_b32 exec_lo, exec_lo, s42
	s_delay_alu instid0(SALU_CYCLE_1)
	s_mov_b32 s42, exec_lo
	v_cmpx_lt_u32_e64 v112, v139
	s_cbranch_execz .LBB1730_202
.LBB1730_268:                           ;   in Loop: Header=BB1730_96 Depth=2
	global_load_b64 v[38:39], v[60:61], off offset:2560
	s_wait_xcnt 0x0
	s_or_b32 exec_lo, exec_lo, s42
	s_delay_alu instid0(SALU_CYCLE_1)
	s_mov_b32 s42, exec_lo
	v_cmpx_lt_u32_e64 v113, v139
	s_cbranch_execz .LBB1730_203
.LBB1730_269:                           ;   in Loop: Header=BB1730_96 Depth=2
	global_load_b64 v[36:37], v[60:61], off offset:2816
	s_wait_xcnt 0x0
	s_or_b32 exec_lo, exec_lo, s42
	s_delay_alu instid0(SALU_CYCLE_1)
	s_mov_b32 s42, exec_lo
	v_cmpx_lt_u32_e64 v114, v139
	s_cbranch_execz .LBB1730_204
.LBB1730_270:                           ;   in Loop: Header=BB1730_96 Depth=2
	global_load_b64 v[34:35], v[60:61], off offset:3072
	s_wait_xcnt 0x0
	s_or_b32 exec_lo, exec_lo, s42
	s_delay_alu instid0(SALU_CYCLE_1)
	s_mov_b32 s42, exec_lo
	v_cmpx_lt_u32_e64 v115, v139
	s_cbranch_execz .LBB1730_205
.LBB1730_271:                           ;   in Loop: Header=BB1730_96 Depth=2
	global_load_b64 v[32:33], v[60:61], off offset:3328
	s_wait_xcnt 0x0
	s_or_b32 exec_lo, exec_lo, s42
	s_delay_alu instid0(SALU_CYCLE_1)
	s_mov_b32 s42, exec_lo
	v_cmpx_lt_u32_e64 v116, v139
	s_cbranch_execz .LBB1730_206
.LBB1730_272:                           ;   in Loop: Header=BB1730_96 Depth=2
	global_load_b64 v[30:31], v[60:61], off offset:3584
	s_wait_xcnt 0x0
	s_or_b32 exec_lo, exec_lo, s42
	s_delay_alu instid0(SALU_CYCLE_1)
	s_mov_b32 s42, exec_lo
	v_cmpx_lt_u32_e64 v117, v139
	s_cbranch_execz .LBB1730_207
.LBB1730_273:                           ;   in Loop: Header=BB1730_96 Depth=2
	global_load_b64 v[28:29], v[60:61], off offset:3840
	s_wait_xcnt 0x0
	s_or_b32 exec_lo, exec_lo, s42
	s_and_saveexec_b32 s42, vcc_lo
	s_cbranch_execz .LBB1730_208
.LBB1730_274:                           ;   in Loop: Header=BB1730_96 Depth=2
	ds_load_u16 v60, v93 offset:1024
	s_wait_dscnt 0x0
	v_cmp_ne_u16_e64 s30, 0x8000, v60
	s_delay_alu instid0(VALU_DEP_1) | instskip(NEXT) | instid1(VALU_DEP_1)
	v_cndmask_b32_e64 v60, 0x7fff, v60, s30
	v_and_b32_e32 v60, 0xffff, v60
	s_delay_alu instid0(VALU_DEP_1) | instskip(NEXT) | instid1(VALU_DEP_1)
	v_lshrrev_b32_e32 v60, s48, v60
	v_and_b32_e32 v138, s52, v60
	s_or_b32 exec_lo, exec_lo, s42
	s_and_saveexec_b32 s42, s15
	s_cbranch_execz .LBB1730_209
.LBB1730_275:                           ;   in Loop: Header=BB1730_96 Depth=2
	ds_load_u16 v60, v93 offset:1536
	s_wait_dscnt 0x0
	v_cmp_ne_u16_e64 s30, 0x8000, v60
	s_delay_alu instid0(VALU_DEP_1) | instskip(NEXT) | instid1(VALU_DEP_1)
	v_cndmask_b32_e64 v60, 0x7fff, v60, s30
	v_and_b32_e32 v60, 0xffff, v60
	s_delay_alu instid0(VALU_DEP_1) | instskip(NEXT) | instid1(VALU_DEP_1)
	v_lshrrev_b32_e32 v60, s48, v60
	v_and_b32_e32 v137, s52, v60
	s_or_b32 exec_lo, exec_lo, s42
	s_and_saveexec_b32 s42, s16
	s_cbranch_execz .LBB1730_210
.LBB1730_276:                           ;   in Loop: Header=BB1730_96 Depth=2
	ds_load_u16 v60, v93 offset:2048
	s_wait_dscnt 0x0
	v_cmp_ne_u16_e64 s30, 0x8000, v60
	s_delay_alu instid0(VALU_DEP_1) | instskip(NEXT) | instid1(VALU_DEP_1)
	v_cndmask_b32_e64 v60, 0x7fff, v60, s30
	v_and_b32_e32 v60, 0xffff, v60
	s_delay_alu instid0(VALU_DEP_1) | instskip(NEXT) | instid1(VALU_DEP_1)
	v_lshrrev_b32_e32 v60, s48, v60
	v_and_b32_e32 v136, s52, v60
	s_or_b32 exec_lo, exec_lo, s42
	s_and_saveexec_b32 s42, s17
	s_cbranch_execz .LBB1730_211
.LBB1730_277:                           ;   in Loop: Header=BB1730_96 Depth=2
	ds_load_u16 v60, v93 offset:2560
	s_wait_dscnt 0x0
	v_cmp_ne_u16_e64 s30, 0x8000, v60
	s_delay_alu instid0(VALU_DEP_1) | instskip(NEXT) | instid1(VALU_DEP_1)
	v_cndmask_b32_e64 v60, 0x7fff, v60, s30
	v_and_b32_e32 v60, 0xffff, v60
	s_delay_alu instid0(VALU_DEP_1) | instskip(NEXT) | instid1(VALU_DEP_1)
	v_lshrrev_b32_e32 v60, s48, v60
	v_and_b32_e32 v135, s52, v60
	s_or_b32 exec_lo, exec_lo, s42
	s_and_saveexec_b32 s42, s18
	s_cbranch_execz .LBB1730_212
.LBB1730_278:                           ;   in Loop: Header=BB1730_96 Depth=2
	ds_load_u16 v60, v93 offset:3072
	s_wait_dscnt 0x0
	v_cmp_ne_u16_e64 s30, 0x8000, v60
	s_delay_alu instid0(VALU_DEP_1) | instskip(NEXT) | instid1(VALU_DEP_1)
	v_cndmask_b32_e64 v60, 0x7fff, v60, s30
	v_and_b32_e32 v60, 0xffff, v60
	s_delay_alu instid0(VALU_DEP_1) | instskip(NEXT) | instid1(VALU_DEP_1)
	v_lshrrev_b32_e32 v60, s48, v60
	v_and_b32_e32 v134, s52, v60
	s_or_b32 exec_lo, exec_lo, s42
	s_and_saveexec_b32 s42, s19
	s_cbranch_execz .LBB1730_213
.LBB1730_279:                           ;   in Loop: Header=BB1730_96 Depth=2
	ds_load_u16 v60, v93 offset:3584
	s_wait_dscnt 0x0
	v_cmp_ne_u16_e64 s30, 0x8000, v60
	s_delay_alu instid0(VALU_DEP_1) | instskip(NEXT) | instid1(VALU_DEP_1)
	v_cndmask_b32_e64 v60, 0x7fff, v60, s30
	v_and_b32_e32 v60, 0xffff, v60
	s_delay_alu instid0(VALU_DEP_1) | instskip(NEXT) | instid1(VALU_DEP_1)
	v_lshrrev_b32_e32 v60, s48, v60
	v_and_b32_e32 v133, s52, v60
	s_or_b32 exec_lo, exec_lo, s42
	s_and_saveexec_b32 s42, s20
	s_cbranch_execz .LBB1730_214
.LBB1730_280:                           ;   in Loop: Header=BB1730_96 Depth=2
	ds_load_u16 v60, v93 offset:4096
	s_wait_dscnt 0x0
	v_cmp_ne_u16_e64 s30, 0x8000, v60
	s_delay_alu instid0(VALU_DEP_1) | instskip(NEXT) | instid1(VALU_DEP_1)
	v_cndmask_b32_e64 v60, 0x7fff, v60, s30
	v_and_b32_e32 v60, 0xffff, v60
	s_delay_alu instid0(VALU_DEP_1) | instskip(NEXT) | instid1(VALU_DEP_1)
	v_lshrrev_b32_e32 v60, s48, v60
	v_and_b32_e32 v132, s52, v60
	s_or_b32 exec_lo, exec_lo, s42
	s_and_saveexec_b32 s42, s21
	s_cbranch_execz .LBB1730_215
.LBB1730_281:                           ;   in Loop: Header=BB1730_96 Depth=2
	ds_load_u16 v60, v93 offset:4608
	s_wait_dscnt 0x0
	v_cmp_ne_u16_e64 s30, 0x8000, v60
	s_delay_alu instid0(VALU_DEP_1) | instskip(NEXT) | instid1(VALU_DEP_1)
	v_cndmask_b32_e64 v60, 0x7fff, v60, s30
	v_and_b32_e32 v60, 0xffff, v60
	s_delay_alu instid0(VALU_DEP_1) | instskip(NEXT) | instid1(VALU_DEP_1)
	v_lshrrev_b32_e32 v60, s48, v60
	v_and_b32_e32 v131, s52, v60
	s_or_b32 exec_lo, exec_lo, s42
	s_and_saveexec_b32 s42, s22
	s_cbranch_execz .LBB1730_216
.LBB1730_282:                           ;   in Loop: Header=BB1730_96 Depth=2
	ds_load_u16 v60, v93 offset:5120
	s_wait_dscnt 0x0
	v_cmp_ne_u16_e64 s30, 0x8000, v60
	s_delay_alu instid0(VALU_DEP_1) | instskip(NEXT) | instid1(VALU_DEP_1)
	v_cndmask_b32_e64 v60, 0x7fff, v60, s30
	v_and_b32_e32 v60, 0xffff, v60
	s_delay_alu instid0(VALU_DEP_1) | instskip(NEXT) | instid1(VALU_DEP_1)
	v_lshrrev_b32_e32 v60, s48, v60
	v_and_b32_e32 v130, s52, v60
	s_or_b32 exec_lo, exec_lo, s42
	s_and_saveexec_b32 s42, s23
	s_cbranch_execz .LBB1730_217
.LBB1730_283:                           ;   in Loop: Header=BB1730_96 Depth=2
	ds_load_u16 v60, v93 offset:5632
	s_wait_dscnt 0x0
	v_cmp_ne_u16_e64 s30, 0x8000, v60
	s_delay_alu instid0(VALU_DEP_1) | instskip(NEXT) | instid1(VALU_DEP_1)
	v_cndmask_b32_e64 v60, 0x7fff, v60, s30
	v_and_b32_e32 v60, 0xffff, v60
	s_delay_alu instid0(VALU_DEP_1) | instskip(NEXT) | instid1(VALU_DEP_1)
	v_lshrrev_b32_e32 v60, s48, v60
	v_and_b32_e32 v129, s52, v60
	s_or_b32 exec_lo, exec_lo, s42
	s_and_saveexec_b32 s42, s24
	s_cbranch_execz .LBB1730_218
.LBB1730_284:                           ;   in Loop: Header=BB1730_96 Depth=2
	ds_load_u16 v60, v93 offset:6144
	s_wait_dscnt 0x0
	v_cmp_ne_u16_e64 s30, 0x8000, v60
	s_delay_alu instid0(VALU_DEP_1) | instskip(NEXT) | instid1(VALU_DEP_1)
	v_cndmask_b32_e64 v60, 0x7fff, v60, s30
	v_and_b32_e32 v60, 0xffff, v60
	s_delay_alu instid0(VALU_DEP_1) | instskip(NEXT) | instid1(VALU_DEP_1)
	v_lshrrev_b32_e32 v60, s48, v60
	v_and_b32_e32 v128, s52, v60
	s_or_b32 exec_lo, exec_lo, s42
	s_and_saveexec_b32 s42, s25
	s_cbranch_execz .LBB1730_219
.LBB1730_285:                           ;   in Loop: Header=BB1730_96 Depth=2
	ds_load_u16 v60, v93 offset:6656
	s_wait_dscnt 0x0
	v_cmp_ne_u16_e64 s30, 0x8000, v60
	s_delay_alu instid0(VALU_DEP_1) | instskip(NEXT) | instid1(VALU_DEP_1)
	v_cndmask_b32_e64 v60, 0x7fff, v60, s30
	v_and_b32_e32 v60, 0xffff, v60
	s_delay_alu instid0(VALU_DEP_1) | instskip(NEXT) | instid1(VALU_DEP_1)
	v_lshrrev_b32_e32 v60, s48, v60
	v_and_b32_e32 v127, s52, v60
	s_or_b32 exec_lo, exec_lo, s42
	s_and_saveexec_b32 s42, s26
	s_cbranch_execz .LBB1730_220
.LBB1730_286:                           ;   in Loop: Header=BB1730_96 Depth=2
	ds_load_u16 v60, v93 offset:7168
	s_wait_dscnt 0x0
	v_cmp_ne_u16_e64 s30, 0x8000, v60
	s_delay_alu instid0(VALU_DEP_1) | instskip(NEXT) | instid1(VALU_DEP_1)
	v_cndmask_b32_e64 v60, 0x7fff, v60, s30
	v_and_b32_e32 v60, 0xffff, v60
	s_delay_alu instid0(VALU_DEP_1) | instskip(NEXT) | instid1(VALU_DEP_1)
	v_lshrrev_b32_e32 v60, s48, v60
	v_and_b32_e32 v126, s52, v60
	s_or_b32 exec_lo, exec_lo, s42
	s_and_saveexec_b32 s42, s27
	s_cbranch_execz .LBB1730_221
.LBB1730_287:                           ;   in Loop: Header=BB1730_96 Depth=2
	ds_load_u16 v60, v93 offset:7680
	s_wait_dscnt 0x0
	v_cmp_ne_u16_e64 s30, 0x8000, v60
	s_delay_alu instid0(VALU_DEP_1) | instskip(NEXT) | instid1(VALU_DEP_1)
	v_cndmask_b32_e64 v60, 0x7fff, v60, s30
	v_and_b32_e32 v60, 0xffff, v60
	s_delay_alu instid0(VALU_DEP_1) | instskip(NEXT) | instid1(VALU_DEP_1)
	v_lshrrev_b32_e32 v60, s48, v60
	v_and_b32_e32 v125, s52, v60
	s_or_b32 exec_lo, exec_lo, s42
	s_and_saveexec_b32 s42, s28
	s_cbranch_execz .LBB1730_222
.LBB1730_288:                           ;   in Loop: Header=BB1730_96 Depth=2
	ds_load_u16 v60, v93 offset:8192
	s_wait_dscnt 0x0
	v_cmp_ne_u16_e64 s30, 0x8000, v60
	s_delay_alu instid0(VALU_DEP_1) | instskip(NEXT) | instid1(VALU_DEP_1)
	v_cndmask_b32_e64 v60, 0x7fff, v60, s30
	v_and_b32_e32 v60, 0xffff, v60
	s_delay_alu instid0(VALU_DEP_1) | instskip(NEXT) | instid1(VALU_DEP_1)
	v_lshrrev_b32_e32 v60, s48, v60
	v_and_b32_e32 v124, s52, v60
	s_or_b32 exec_lo, exec_lo, s42
	s_and_saveexec_b32 s42, s29
	s_cbranch_execnz .LBB1730_223
	s_branch .LBB1730_224
.LBB1730_289:                           ;   in Loop: Header=BB1730_96 Depth=2
	v_lshlrev_b32_e32 v60, 2, v138
	v_add_nc_u32_e32 v61, v93, v94
	ds_load_b32 v63, v60
	ds_load_b64 v[60:61], v61 offset:1024
	s_wait_dscnt 0x1
	v_add_nc_u32_e32 v63, v63, v2
	s_wait_dscnt 0x0
	global_store_b64 v63, v[60:61], s[44:45] scale_offset
	s_wait_xcnt 0x0
	s_or_b32 exec_lo, exec_lo, s30
	s_and_saveexec_b32 s30, s15
	s_cbranch_execz .LBB1730_226
.LBB1730_290:                           ;   in Loop: Header=BB1730_96 Depth=2
	v_dual_lshlrev_b32 v60, 2, v137 :: v_dual_add_nc_u32 v61, v93, v94
	ds_load_b32 v63, v60
	ds_load_b64 v[60:61], v61 offset:3072
	s_wait_dscnt 0x1
	v_add_nc_u32_e32 v63, v63, v68
	s_wait_dscnt 0x0
	global_store_b64 v63, v[60:61], s[44:45] scale_offset
	s_wait_xcnt 0x0
	s_or_b32 exec_lo, exec_lo, s30
	s_and_saveexec_b32 s15, s16
	s_cbranch_execz .LBB1730_227
.LBB1730_291:                           ;   in Loop: Header=BB1730_96 Depth=2
	v_dual_lshlrev_b32 v60, 2, v136 :: v_dual_add_nc_u32 v61, v93, v94
	ds_load_b32 v63, v60
	ds_load_b64 v[60:61], v61 offset:5120
	s_wait_dscnt 0x1
	v_add_nc_u32_e32 v63, v63, v69
	s_wait_dscnt 0x0
	global_store_b64 v63, v[60:61], s[44:45] scale_offset
	s_wait_xcnt 0x0
	s_or_b32 exec_lo, exec_lo, s15
	s_and_saveexec_b32 s15, s17
	s_cbranch_execz .LBB1730_228
.LBB1730_292:                           ;   in Loop: Header=BB1730_96 Depth=2
	v_dual_lshlrev_b32 v60, 2, v135 :: v_dual_add_nc_u32 v61, v93, v94
	ds_load_b32 v63, v60
	ds_load_b64 v[60:61], v61 offset:7168
	s_wait_dscnt 0x1
	v_add_nc_u32_e32 v63, v63, v70
	s_wait_dscnt 0x0
	global_store_b64 v63, v[60:61], s[44:45] scale_offset
	s_wait_xcnt 0x0
	s_or_b32 exec_lo, exec_lo, s15
	s_and_saveexec_b32 s15, s18
	s_cbranch_execz .LBB1730_229
.LBB1730_293:                           ;   in Loop: Header=BB1730_96 Depth=2
	v_lshlrev_b32_e32 v60, 2, v134
	v_add_nc_u32_e32 v61, v93, v94
	ds_load_b32 v63, v60
	ds_load_b64 v[60:61], v61 offset:9216
	s_wait_dscnt 0x1
	v_add_nc_u32_e32 v63, v63, v71
	s_wait_dscnt 0x0
	global_store_b64 v63, v[60:61], s[44:45] scale_offset
	s_wait_xcnt 0x0
	s_or_b32 exec_lo, exec_lo, s15
	s_and_saveexec_b32 s15, s19
	s_cbranch_execz .LBB1730_230
.LBB1730_294:                           ;   in Loop: Header=BB1730_96 Depth=2
	v_dual_lshlrev_b32 v60, 2, v133 :: v_dual_add_nc_u32 v61, v93, v94
	ds_load_b32 v63, v60
	ds_load_b64 v[60:61], v61 offset:11264
	s_wait_dscnt 0x1
	v_add_nc_u32_e32 v63, v63, v72
	s_wait_dscnt 0x0
	global_store_b64 v63, v[60:61], s[44:45] scale_offset
	s_wait_xcnt 0x0
	s_or_b32 exec_lo, exec_lo, s15
	s_and_saveexec_b32 s15, s20
	s_cbranch_execz .LBB1730_231
.LBB1730_295:                           ;   in Loop: Header=BB1730_96 Depth=2
	v_dual_lshlrev_b32 v60, 2, v132 :: v_dual_add_nc_u32 v61, v93, v94
	ds_load_b32 v63, v60
	ds_load_b64 v[60:61], v61 offset:13312
	s_wait_dscnt 0x1
	v_add_nc_u32_e32 v63, v63, v73
	s_wait_dscnt 0x0
	global_store_b64 v63, v[60:61], s[44:45] scale_offset
	s_wait_xcnt 0x0
	s_or_b32 exec_lo, exec_lo, s15
	s_and_saveexec_b32 s15, s21
	s_cbranch_execz .LBB1730_232
.LBB1730_296:                           ;   in Loop: Header=BB1730_96 Depth=2
	v_dual_lshlrev_b32 v60, 2, v131 :: v_dual_add_nc_u32 v61, v93, v94
	ds_load_b32 v63, v60
	ds_load_b64 v[60:61], v61 offset:15360
	s_wait_dscnt 0x1
	v_add_nc_u32_e32 v63, v63, v74
	s_wait_dscnt 0x0
	global_store_b64 v63, v[60:61], s[44:45] scale_offset
	s_wait_xcnt 0x0
	s_or_b32 exec_lo, exec_lo, s15
	s_and_saveexec_b32 s15, s22
	s_cbranch_execz .LBB1730_233
.LBB1730_297:                           ;   in Loop: Header=BB1730_96 Depth=2
	v_lshlrev_b32_e32 v60, 2, v130
	v_add_nc_u32_e32 v61, v93, v94
	ds_load_b32 v63, v60
	ds_load_b64 v[60:61], v61 offset:17408
	s_wait_dscnt 0x1
	v_add_nc_u32_e32 v63, v63, v75
	s_wait_dscnt 0x0
	global_store_b64 v63, v[60:61], s[44:45] scale_offset
	s_wait_xcnt 0x0
	s_or_b32 exec_lo, exec_lo, s15
	s_and_saveexec_b32 s15, s23
	s_cbranch_execz .LBB1730_234
.LBB1730_298:                           ;   in Loop: Header=BB1730_96 Depth=2
	v_dual_lshlrev_b32 v60, 2, v129 :: v_dual_add_nc_u32 v61, v93, v94
	ds_load_b32 v63, v60
	ds_load_b64 v[60:61], v61 offset:19456
	s_wait_dscnt 0x1
	v_add_nc_u32_e32 v63, v63, v76
	s_wait_dscnt 0x0
	global_store_b64 v63, v[60:61], s[44:45] scale_offset
	s_wait_xcnt 0x0
	s_or_b32 exec_lo, exec_lo, s15
	s_and_saveexec_b32 s15, s24
	s_cbranch_execz .LBB1730_235
.LBB1730_299:                           ;   in Loop: Header=BB1730_96 Depth=2
	v_dual_lshlrev_b32 v60, 2, v128 :: v_dual_add_nc_u32 v61, v93, v94
	ds_load_b32 v63, v60
	ds_load_b64 v[60:61], v61 offset:21504
	s_wait_dscnt 0x1
	v_add_nc_u32_e32 v63, v63, v77
	s_wait_dscnt 0x0
	global_store_b64 v63, v[60:61], s[44:45] scale_offset
	s_wait_xcnt 0x0
	s_or_b32 exec_lo, exec_lo, s15
	s_and_saveexec_b32 s15, s25
	s_cbranch_execz .LBB1730_236
.LBB1730_300:                           ;   in Loop: Header=BB1730_96 Depth=2
	v_dual_lshlrev_b32 v60, 2, v127 :: v_dual_add_nc_u32 v61, v93, v94
	ds_load_b32 v63, v60
	ds_load_b64 v[60:61], v61 offset:23552
	s_wait_dscnt 0x1
	v_add_nc_u32_e32 v63, v63, v78
	s_wait_dscnt 0x0
	global_store_b64 v63, v[60:61], s[44:45] scale_offset
	s_wait_xcnt 0x0
	s_or_b32 exec_lo, exec_lo, s15
	s_and_saveexec_b32 s15, s26
	s_cbranch_execz .LBB1730_237
.LBB1730_301:                           ;   in Loop: Header=BB1730_96 Depth=2
	v_lshlrev_b32_e32 v60, 2, v126
	v_add_nc_u32_e32 v61, v93, v94
	ds_load_b32 v63, v60
	ds_load_b64 v[60:61], v61 offset:25600
	s_wait_dscnt 0x1
	v_add_nc_u32_e32 v63, v63, v79
	s_wait_dscnt 0x0
	global_store_b64 v63, v[60:61], s[44:45] scale_offset
	s_wait_xcnt 0x0
	s_or_b32 exec_lo, exec_lo, s15
	s_and_saveexec_b32 s15, s27
	s_cbranch_execz .LBB1730_238
.LBB1730_302:                           ;   in Loop: Header=BB1730_96 Depth=2
	v_dual_lshlrev_b32 v60, 2, v125 :: v_dual_add_nc_u32 v61, v93, v94
	ds_load_b32 v63, v60
	ds_load_b64 v[60:61], v61 offset:27648
	s_wait_dscnt 0x1
	v_add_nc_u32_e32 v63, v63, v80
	s_wait_dscnt 0x0
	global_store_b64 v63, v[60:61], s[44:45] scale_offset
	s_wait_xcnt 0x0
	s_or_b32 exec_lo, exec_lo, s15
	s_and_saveexec_b32 s15, s28
	s_cbranch_execz .LBB1730_239
.LBB1730_303:                           ;   in Loop: Header=BB1730_96 Depth=2
	v_dual_lshlrev_b32 v60, 2, v124 :: v_dual_add_nc_u32 v61, v93, v94
	ds_load_b32 v63, v60
	ds_load_b64 v[60:61], v61 offset:29696
	s_wait_dscnt 0x1
	v_add_nc_u32_e32 v63, v63, v81
	s_wait_dscnt 0x0
	global_store_b64 v63, v[60:61], s[44:45] scale_offset
	s_wait_xcnt 0x0
	s_or_b32 exec_lo, exec_lo, s15
	s_and_saveexec_b32 s15, s29
	s_cbranch_execnz .LBB1730_240
	s_branch .LBB1730_241
.LBB1730_304:                           ;   in Loop: Header=BB1730_12 Depth=1
	s_wait_dscnt 0x0
	s_barrier_signal -1
	s_mov_b32 s7, 0
	s_barrier_wait -1
.LBB1730_305:                           ;   in Loop: Header=BB1730_12 Depth=1
	s_and_b32 vcc_lo, exec_lo, s7
	s_cbranch_vccz .LBB1730_597
; %bb.306:                              ;   in Loop: Header=BB1730_12 Depth=1
	s_mov_b32 s7, s56
	s_mov_b32 s42, s54
	s_barrier_signal -1
	s_barrier_wait -1
                                        ; implicit-def: $vgpr23
                                        ; implicit-def: $vgpr24
                                        ; implicit-def: $vgpr25
                                        ; implicit-def: $vgpr26
                                        ; implicit-def: $vgpr27
                                        ; implicit-def: $vgpr28
                                        ; implicit-def: $vgpr29
                                        ; implicit-def: $vgpr30
                                        ; implicit-def: $vgpr31
                                        ; implicit-def: $vgpr32
                                        ; implicit-def: $vgpr33
                                        ; implicit-def: $vgpr34
                                        ; implicit-def: $vgpr35
                                        ; implicit-def: $vgpr36
                                        ; implicit-def: $vgpr37
                                        ; implicit-def: $vgpr38
	s_branch .LBB1730_308
.LBB1730_307:                           ;   in Loop: Header=BB1730_308 Depth=2
	s_or_b32 exec_lo, exec_lo, s8
	s_addk_co_i32 s7, 0xf000
	s_cmp_ge_u32 s10, s51
	s_mov_b32 s42, s10
	s_cbranch_scc1 .LBB1730_376
.LBB1730_308:                           ;   Parent Loop BB1730_12 Depth=1
                                        ; =>  This Inner Loop Header: Depth=2
	s_add_co_i32 s10, s42, 0x1000
	s_mov_b32 s8, -1
	s_cmp_gt_u32 s10, s51
                                        ; implicit-def: $vgpr39
                                        ; implicit-def: $vgpr40
                                        ; implicit-def: $vgpr41
                                        ; implicit-def: $vgpr42
                                        ; implicit-def: $vgpr43
                                        ; implicit-def: $vgpr44
                                        ; implicit-def: $vgpr45
                                        ; implicit-def: $vgpr46
                                        ; implicit-def: $vgpr47
                                        ; implicit-def: $vgpr48
                                        ; implicit-def: $vgpr49
                                        ; implicit-def: $vgpr50
                                        ; implicit-def: $vgpr51
                                        ; implicit-def: $vgpr52
                                        ; implicit-def: $vgpr53
                                        ; implicit-def: $vgpr54
	s_cbranch_scc1 .LBB1730_310
; %bb.309:                              ;   in Loop: Header=BB1730_308 Depth=2
	v_lshl_add_u64 v[54:55], s[42:43], 1, v[10:11]
	s_mov_b32 s8, 0
	s_clause 0xf
	global_load_u16 v39, v[54:55], off
	global_load_u16 v40, v[54:55], off offset:512
	global_load_u16 v41, v[54:55], off offset:1024
	;; [unrolled: 1-line block ×15, first 2 shown]
.LBB1730_310:                           ;   in Loop: Header=BB1730_308 Depth=2
	s_and_not1_b32 vcc_lo, exec_lo, s8
	s_movk_i32 s8, 0x1000
	s_cbranch_vccnz .LBB1730_329
; %bb.311:                              ;   in Loop: Header=BB1730_308 Depth=2
	s_lshl_b64 s[8:9], s[42:43], 1
	s_mov_b32 s11, exec_lo
	s_add_nc_u64 s[8:9], s[38:39], s[8:9]
	s_wait_xcnt 0x0
	v_cmpx_gt_u32_e64 s7, v2
	s_cbranch_execnz .LBB1730_361
; %bb.312:                              ;   in Loop: Header=BB1730_308 Depth=2
	s_or_b32 exec_lo, exec_lo, s11
	s_delay_alu instid0(SALU_CYCLE_1)
	s_mov_b32 s11, exec_lo
	v_cmpx_gt_u32_e64 s7, v68
	s_cbranch_execnz .LBB1730_362
.LBB1730_313:                           ;   in Loop: Header=BB1730_308 Depth=2
	s_or_b32 exec_lo, exec_lo, s11
	s_delay_alu instid0(SALU_CYCLE_1)
	s_mov_b32 s11, exec_lo
	v_cmpx_gt_u32_e64 s7, v69
	s_cbranch_execnz .LBB1730_363
.LBB1730_314:                           ;   in Loop: Header=BB1730_308 Depth=2
	s_or_b32 exec_lo, exec_lo, s11
	s_delay_alu instid0(SALU_CYCLE_1)
	s_mov_b32 s11, exec_lo
	v_cmpx_gt_u32_e64 s7, v70
	s_cbranch_execnz .LBB1730_364
.LBB1730_315:                           ;   in Loop: Header=BB1730_308 Depth=2
	s_or_b32 exec_lo, exec_lo, s11
	s_delay_alu instid0(SALU_CYCLE_1)
	s_mov_b32 s11, exec_lo
	v_cmpx_gt_u32_e64 s7, v71
	s_cbranch_execnz .LBB1730_365
.LBB1730_316:                           ;   in Loop: Header=BB1730_308 Depth=2
	s_or_b32 exec_lo, exec_lo, s11
	s_delay_alu instid0(SALU_CYCLE_1)
	s_mov_b32 s11, exec_lo
	v_cmpx_gt_u32_e64 s7, v72
	s_cbranch_execnz .LBB1730_366
.LBB1730_317:                           ;   in Loop: Header=BB1730_308 Depth=2
	s_or_b32 exec_lo, exec_lo, s11
	s_delay_alu instid0(SALU_CYCLE_1)
	s_mov_b32 s11, exec_lo
	v_cmpx_gt_u32_e64 s7, v73
	s_cbranch_execnz .LBB1730_367
.LBB1730_318:                           ;   in Loop: Header=BB1730_308 Depth=2
	s_or_b32 exec_lo, exec_lo, s11
	s_delay_alu instid0(SALU_CYCLE_1)
	s_mov_b32 s11, exec_lo
	v_cmpx_gt_u32_e64 s7, v74
	s_cbranch_execnz .LBB1730_368
.LBB1730_319:                           ;   in Loop: Header=BB1730_308 Depth=2
	s_or_b32 exec_lo, exec_lo, s11
	s_delay_alu instid0(SALU_CYCLE_1)
	s_mov_b32 s11, exec_lo
	v_cmpx_gt_u32_e64 s7, v75
	s_cbranch_execnz .LBB1730_369
.LBB1730_320:                           ;   in Loop: Header=BB1730_308 Depth=2
	s_or_b32 exec_lo, exec_lo, s11
	s_delay_alu instid0(SALU_CYCLE_1)
	s_mov_b32 s11, exec_lo
	v_cmpx_gt_u32_e64 s7, v76
	s_cbranch_execnz .LBB1730_370
.LBB1730_321:                           ;   in Loop: Header=BB1730_308 Depth=2
	s_or_b32 exec_lo, exec_lo, s11
	s_delay_alu instid0(SALU_CYCLE_1)
	s_mov_b32 s11, exec_lo
	v_cmpx_gt_u32_e64 s7, v77
	s_cbranch_execnz .LBB1730_371
.LBB1730_322:                           ;   in Loop: Header=BB1730_308 Depth=2
	s_or_b32 exec_lo, exec_lo, s11
	s_delay_alu instid0(SALU_CYCLE_1)
	s_mov_b32 s11, exec_lo
	v_cmpx_gt_u32_e64 s7, v78
	s_cbranch_execnz .LBB1730_372
.LBB1730_323:                           ;   in Loop: Header=BB1730_308 Depth=2
	s_or_b32 exec_lo, exec_lo, s11
	s_delay_alu instid0(SALU_CYCLE_1)
	s_mov_b32 s11, exec_lo
	v_cmpx_gt_u32_e64 s7, v79
	s_cbranch_execnz .LBB1730_373
.LBB1730_324:                           ;   in Loop: Header=BB1730_308 Depth=2
	s_or_b32 exec_lo, exec_lo, s11
	s_delay_alu instid0(SALU_CYCLE_1)
	s_mov_b32 s11, exec_lo
	v_cmpx_gt_u32_e64 s7, v80
	s_cbranch_execnz .LBB1730_374
.LBB1730_325:                           ;   in Loop: Header=BB1730_308 Depth=2
	s_or_b32 exec_lo, exec_lo, s11
	s_delay_alu instid0(SALU_CYCLE_1)
	s_mov_b32 s11, exec_lo
	v_cmpx_gt_u32_e64 s7, v81
	s_cbranch_execnz .LBB1730_375
.LBB1730_326:                           ;   in Loop: Header=BB1730_308 Depth=2
	s_or_b32 exec_lo, exec_lo, s11
	s_delay_alu instid0(SALU_CYCLE_1)
	s_mov_b32 s11, exec_lo
	v_cmpx_gt_u32_e64 s7, v82
	s_cbranch_execz .LBB1730_328
.LBB1730_327:                           ;   in Loop: Header=BB1730_308 Depth=2
	global_load_u16 v23, v2, s[8:9] offset:7680 scale_offset
.LBB1730_328:                           ;   in Loop: Header=BB1730_308 Depth=2
	s_wait_xcnt 0x0
	s_or_b32 exec_lo, exec_lo, s11
	s_wait_loadcnt 0x0
	v_dual_mov_b32 v39, v38 :: v_dual_mov_b32 v40, v37
	v_dual_mov_b32 v41, v36 :: v_dual_mov_b32 v42, v35
	;; [unrolled: 1-line block ×8, first 2 shown]
	s_mov_b32 s8, s7
.LBB1730_329:                           ;   in Loop: Header=BB1730_308 Depth=2
	s_wait_loadcnt 0x0
	s_delay_alu instid0(VALU_DEP_1)
	v_dual_mov_b32 v23, v54 :: v_dual_mov_b32 v24, v53
	v_dual_mov_b32 v25, v52 :: v_dual_mov_b32 v26, v51
	v_dual_mov_b32 v27, v50 :: v_dual_mov_b32 v28, v49
	v_dual_mov_b32 v29, v48 :: v_dual_mov_b32 v30, v47
	v_dual_mov_b32 v31, v46 :: v_dual_mov_b32 v32, v45
	v_dual_mov_b32 v33, v44 :: v_dual_mov_b32 v34, v43
	v_dual_mov_b32 v35, v42 :: v_dual_mov_b32 v36, v41
	v_dual_mov_b32 v37, v40 :: v_dual_mov_b32 v38, v39
	s_mov_b32 s9, exec_lo
	s_wait_xcnt 0x0
	v_cmpx_gt_u32_e64 s8, v2
	s_cbranch_execnz .LBB1730_345
; %bb.330:                              ;   in Loop: Header=BB1730_308 Depth=2
	s_or_b32 exec_lo, exec_lo, s9
	s_delay_alu instid0(SALU_CYCLE_1)
	s_mov_b32 s9, exec_lo
	v_cmpx_gt_u32_e64 s8, v68
	s_cbranch_execnz .LBB1730_346
.LBB1730_331:                           ;   in Loop: Header=BB1730_308 Depth=2
	s_or_b32 exec_lo, exec_lo, s9
	s_delay_alu instid0(SALU_CYCLE_1)
	s_mov_b32 s9, exec_lo
	v_cmpx_gt_u32_e64 s8, v69
	s_cbranch_execnz .LBB1730_347
.LBB1730_332:                           ;   in Loop: Header=BB1730_308 Depth=2
	s_or_b32 exec_lo, exec_lo, s9
	s_delay_alu instid0(SALU_CYCLE_1)
	s_mov_b32 s9, exec_lo
	v_cmpx_gt_u32_e64 s8, v70
	s_cbranch_execnz .LBB1730_348
.LBB1730_333:                           ;   in Loop: Header=BB1730_308 Depth=2
	s_or_b32 exec_lo, exec_lo, s9
	s_delay_alu instid0(SALU_CYCLE_1)
	s_mov_b32 s9, exec_lo
	v_cmpx_gt_u32_e64 s8, v71
	s_cbranch_execnz .LBB1730_349
.LBB1730_334:                           ;   in Loop: Header=BB1730_308 Depth=2
	s_or_b32 exec_lo, exec_lo, s9
	s_delay_alu instid0(SALU_CYCLE_1)
	s_mov_b32 s9, exec_lo
	v_cmpx_gt_u32_e64 s8, v72
	s_cbranch_execnz .LBB1730_350
.LBB1730_335:                           ;   in Loop: Header=BB1730_308 Depth=2
	s_or_b32 exec_lo, exec_lo, s9
	s_delay_alu instid0(SALU_CYCLE_1)
	s_mov_b32 s9, exec_lo
	v_cmpx_gt_u32_e64 s8, v73
	s_cbranch_execnz .LBB1730_351
.LBB1730_336:                           ;   in Loop: Header=BB1730_308 Depth=2
	s_or_b32 exec_lo, exec_lo, s9
	s_delay_alu instid0(SALU_CYCLE_1)
	s_mov_b32 s9, exec_lo
	v_cmpx_gt_u32_e64 s8, v74
	s_cbranch_execnz .LBB1730_352
.LBB1730_337:                           ;   in Loop: Header=BB1730_308 Depth=2
	s_or_b32 exec_lo, exec_lo, s9
	s_delay_alu instid0(SALU_CYCLE_1)
	s_mov_b32 s9, exec_lo
	v_cmpx_gt_u32_e64 s8, v75
	s_cbranch_execnz .LBB1730_353
.LBB1730_338:                           ;   in Loop: Header=BB1730_308 Depth=2
	s_or_b32 exec_lo, exec_lo, s9
	s_delay_alu instid0(SALU_CYCLE_1)
	s_mov_b32 s9, exec_lo
	v_cmpx_gt_u32_e64 s8, v76
	s_cbranch_execnz .LBB1730_354
.LBB1730_339:                           ;   in Loop: Header=BB1730_308 Depth=2
	s_or_b32 exec_lo, exec_lo, s9
	s_delay_alu instid0(SALU_CYCLE_1)
	s_mov_b32 s9, exec_lo
	v_cmpx_gt_u32_e64 s8, v77
	s_cbranch_execnz .LBB1730_355
.LBB1730_340:                           ;   in Loop: Header=BB1730_308 Depth=2
	s_or_b32 exec_lo, exec_lo, s9
	s_delay_alu instid0(SALU_CYCLE_1)
	s_mov_b32 s9, exec_lo
	v_cmpx_gt_u32_e64 s8, v78
	s_cbranch_execnz .LBB1730_356
.LBB1730_341:                           ;   in Loop: Header=BB1730_308 Depth=2
	s_or_b32 exec_lo, exec_lo, s9
	s_delay_alu instid0(SALU_CYCLE_1)
	s_mov_b32 s9, exec_lo
	v_cmpx_gt_u32_e64 s8, v79
	s_cbranch_execnz .LBB1730_357
.LBB1730_342:                           ;   in Loop: Header=BB1730_308 Depth=2
	s_or_b32 exec_lo, exec_lo, s9
	s_delay_alu instid0(SALU_CYCLE_1)
	s_mov_b32 s9, exec_lo
	v_cmpx_gt_u32_e64 s8, v80
	s_cbranch_execnz .LBB1730_358
.LBB1730_343:                           ;   in Loop: Header=BB1730_308 Depth=2
	s_or_b32 exec_lo, exec_lo, s9
	s_delay_alu instid0(SALU_CYCLE_1)
	s_mov_b32 s9, exec_lo
	v_cmpx_gt_u32_e64 s8, v81
	s_cbranch_execnz .LBB1730_359
.LBB1730_344:                           ;   in Loop: Header=BB1730_308 Depth=2
	s_or_b32 exec_lo, exec_lo, s9
	v_cmp_gt_u32_e32 vcc_lo, s8, v82
	s_and_saveexec_b32 s8, vcc_lo
	s_cbranch_execz .LBB1730_307
	s_branch .LBB1730_360
.LBB1730_345:                           ;   in Loop: Header=BB1730_308 Depth=2
	v_cmp_gt_i16_e32 vcc_lo, 0, v38
	v_cndmask_b32_e64 v39, 0x7fff, 0, vcc_lo
	s_delay_alu instid0(VALU_DEP_1) | instskip(NEXT) | instid1(VALU_DEP_1)
	v_xor_b32_e32 v39, v39, v38
	v_cmp_ne_u16_e32 vcc_lo, 0x8000, v39
	v_cndmask_b32_e32 v39, 0x7fff, v39, vcc_lo
	s_delay_alu instid0(VALU_DEP_1) | instskip(NEXT) | instid1(VALU_DEP_1)
	v_and_b32_e32 v39, 0xffff, v39
	v_lshrrev_b32_e32 v39, s48, v39
	s_delay_alu instid0(VALU_DEP_1) | instskip(NEXT) | instid1(VALU_DEP_1)
	v_and_b32_e32 v39, s52, v39
	v_lshl_or_b32 v39, v39, 4, v83
	ds_add_u32 v39, v96
	s_or_b32 exec_lo, exec_lo, s9
	s_delay_alu instid0(SALU_CYCLE_1)
	s_mov_b32 s9, exec_lo
	v_cmpx_gt_u32_e64 s8, v68
	s_cbranch_execz .LBB1730_331
.LBB1730_346:                           ;   in Loop: Header=BB1730_308 Depth=2
	v_cmp_gt_i16_e32 vcc_lo, 0, v37
	v_cndmask_b32_e64 v39, 0x7fff, 0, vcc_lo
	s_delay_alu instid0(VALU_DEP_1) | instskip(NEXT) | instid1(VALU_DEP_1)
	v_xor_b32_e32 v39, v39, v37
	v_cmp_ne_u16_e32 vcc_lo, 0x8000, v39
	v_cndmask_b32_e32 v39, 0x7fff, v39, vcc_lo
	s_delay_alu instid0(VALU_DEP_1) | instskip(NEXT) | instid1(VALU_DEP_1)
	v_and_b32_e32 v39, 0xffff, v39
	v_lshrrev_b32_e32 v39, s48, v39
	s_delay_alu instid0(VALU_DEP_1) | instskip(NEXT) | instid1(VALU_DEP_1)
	v_and_b32_e32 v39, s52, v39
	v_lshl_or_b32 v39, v39, 4, v83
	ds_add_u32 v39, v96
	s_or_b32 exec_lo, exec_lo, s9
	s_delay_alu instid0(SALU_CYCLE_1)
	s_mov_b32 s9, exec_lo
	v_cmpx_gt_u32_e64 s8, v69
	s_cbranch_execz .LBB1730_332
.LBB1730_347:                           ;   in Loop: Header=BB1730_308 Depth=2
	v_cmp_gt_i16_e32 vcc_lo, 0, v36
	v_cndmask_b32_e64 v39, 0x7fff, 0, vcc_lo
	s_delay_alu instid0(VALU_DEP_1) | instskip(NEXT) | instid1(VALU_DEP_1)
	v_xor_b32_e32 v39, v39, v36
	v_cmp_ne_u16_e32 vcc_lo, 0x8000, v39
	v_cndmask_b32_e32 v39, 0x7fff, v39, vcc_lo
	s_delay_alu instid0(VALU_DEP_1) | instskip(NEXT) | instid1(VALU_DEP_1)
	v_and_b32_e32 v39, 0xffff, v39
	v_lshrrev_b32_e32 v39, s48, v39
	s_delay_alu instid0(VALU_DEP_1) | instskip(NEXT) | instid1(VALU_DEP_1)
	v_and_b32_e32 v39, s52, v39
	v_lshl_or_b32 v39, v39, 4, v83
	ds_add_u32 v39, v96
	s_or_b32 exec_lo, exec_lo, s9
	s_delay_alu instid0(SALU_CYCLE_1)
	s_mov_b32 s9, exec_lo
	v_cmpx_gt_u32_e64 s8, v70
	s_cbranch_execz .LBB1730_333
.LBB1730_348:                           ;   in Loop: Header=BB1730_308 Depth=2
	v_cmp_gt_i16_e32 vcc_lo, 0, v35
	v_cndmask_b32_e64 v39, 0x7fff, 0, vcc_lo
	s_delay_alu instid0(VALU_DEP_1) | instskip(NEXT) | instid1(VALU_DEP_1)
	v_xor_b32_e32 v39, v39, v35
	v_cmp_ne_u16_e32 vcc_lo, 0x8000, v39
	v_cndmask_b32_e32 v39, 0x7fff, v39, vcc_lo
	s_delay_alu instid0(VALU_DEP_1) | instskip(NEXT) | instid1(VALU_DEP_1)
	v_and_b32_e32 v39, 0xffff, v39
	v_lshrrev_b32_e32 v39, s48, v39
	s_delay_alu instid0(VALU_DEP_1) | instskip(NEXT) | instid1(VALU_DEP_1)
	v_and_b32_e32 v39, s52, v39
	v_lshl_or_b32 v39, v39, 4, v83
	ds_add_u32 v39, v96
	s_or_b32 exec_lo, exec_lo, s9
	s_delay_alu instid0(SALU_CYCLE_1)
	s_mov_b32 s9, exec_lo
	v_cmpx_gt_u32_e64 s8, v71
	s_cbranch_execz .LBB1730_334
.LBB1730_349:                           ;   in Loop: Header=BB1730_308 Depth=2
	v_cmp_gt_i16_e32 vcc_lo, 0, v34
	v_cndmask_b32_e64 v39, 0x7fff, 0, vcc_lo
	s_delay_alu instid0(VALU_DEP_1) | instskip(NEXT) | instid1(VALU_DEP_1)
	v_xor_b32_e32 v39, v39, v34
	v_cmp_ne_u16_e32 vcc_lo, 0x8000, v39
	v_cndmask_b32_e32 v39, 0x7fff, v39, vcc_lo
	s_delay_alu instid0(VALU_DEP_1) | instskip(NEXT) | instid1(VALU_DEP_1)
	v_and_b32_e32 v39, 0xffff, v39
	v_lshrrev_b32_e32 v39, s48, v39
	s_delay_alu instid0(VALU_DEP_1) | instskip(NEXT) | instid1(VALU_DEP_1)
	v_and_b32_e32 v39, s52, v39
	v_lshl_or_b32 v39, v39, 4, v83
	ds_add_u32 v39, v96
	s_or_b32 exec_lo, exec_lo, s9
	s_delay_alu instid0(SALU_CYCLE_1)
	s_mov_b32 s9, exec_lo
	v_cmpx_gt_u32_e64 s8, v72
	s_cbranch_execz .LBB1730_335
.LBB1730_350:                           ;   in Loop: Header=BB1730_308 Depth=2
	v_cmp_gt_i16_e32 vcc_lo, 0, v33
	v_cndmask_b32_e64 v39, 0x7fff, 0, vcc_lo
	s_delay_alu instid0(VALU_DEP_1) | instskip(NEXT) | instid1(VALU_DEP_1)
	v_xor_b32_e32 v39, v39, v33
	v_cmp_ne_u16_e32 vcc_lo, 0x8000, v39
	v_cndmask_b32_e32 v39, 0x7fff, v39, vcc_lo
	s_delay_alu instid0(VALU_DEP_1) | instskip(NEXT) | instid1(VALU_DEP_1)
	v_and_b32_e32 v39, 0xffff, v39
	v_lshrrev_b32_e32 v39, s48, v39
	s_delay_alu instid0(VALU_DEP_1) | instskip(NEXT) | instid1(VALU_DEP_1)
	v_and_b32_e32 v39, s52, v39
	v_lshl_or_b32 v39, v39, 4, v83
	ds_add_u32 v39, v96
	s_or_b32 exec_lo, exec_lo, s9
	s_delay_alu instid0(SALU_CYCLE_1)
	s_mov_b32 s9, exec_lo
	v_cmpx_gt_u32_e64 s8, v73
	s_cbranch_execz .LBB1730_336
.LBB1730_351:                           ;   in Loop: Header=BB1730_308 Depth=2
	v_cmp_gt_i16_e32 vcc_lo, 0, v32
	v_cndmask_b32_e64 v39, 0x7fff, 0, vcc_lo
	s_delay_alu instid0(VALU_DEP_1) | instskip(NEXT) | instid1(VALU_DEP_1)
	v_xor_b32_e32 v39, v39, v32
	v_cmp_ne_u16_e32 vcc_lo, 0x8000, v39
	v_cndmask_b32_e32 v39, 0x7fff, v39, vcc_lo
	s_delay_alu instid0(VALU_DEP_1) | instskip(NEXT) | instid1(VALU_DEP_1)
	v_and_b32_e32 v39, 0xffff, v39
	v_lshrrev_b32_e32 v39, s48, v39
	s_delay_alu instid0(VALU_DEP_1) | instskip(NEXT) | instid1(VALU_DEP_1)
	v_and_b32_e32 v39, s52, v39
	v_lshl_or_b32 v39, v39, 4, v83
	ds_add_u32 v39, v96
	s_or_b32 exec_lo, exec_lo, s9
	s_delay_alu instid0(SALU_CYCLE_1)
	s_mov_b32 s9, exec_lo
	v_cmpx_gt_u32_e64 s8, v74
	s_cbranch_execz .LBB1730_337
.LBB1730_352:                           ;   in Loop: Header=BB1730_308 Depth=2
	v_cmp_gt_i16_e32 vcc_lo, 0, v31
	v_cndmask_b32_e64 v39, 0x7fff, 0, vcc_lo
	s_delay_alu instid0(VALU_DEP_1) | instskip(NEXT) | instid1(VALU_DEP_1)
	v_xor_b32_e32 v39, v39, v31
	v_cmp_ne_u16_e32 vcc_lo, 0x8000, v39
	v_cndmask_b32_e32 v39, 0x7fff, v39, vcc_lo
	s_delay_alu instid0(VALU_DEP_1) | instskip(NEXT) | instid1(VALU_DEP_1)
	v_and_b32_e32 v39, 0xffff, v39
	v_lshrrev_b32_e32 v39, s48, v39
	s_delay_alu instid0(VALU_DEP_1) | instskip(NEXT) | instid1(VALU_DEP_1)
	v_and_b32_e32 v39, s52, v39
	v_lshl_or_b32 v39, v39, 4, v83
	ds_add_u32 v39, v96
	s_or_b32 exec_lo, exec_lo, s9
	s_delay_alu instid0(SALU_CYCLE_1)
	s_mov_b32 s9, exec_lo
	v_cmpx_gt_u32_e64 s8, v75
	s_cbranch_execz .LBB1730_338
.LBB1730_353:                           ;   in Loop: Header=BB1730_308 Depth=2
	v_cmp_gt_i16_e32 vcc_lo, 0, v30
	v_cndmask_b32_e64 v39, 0x7fff, 0, vcc_lo
	s_delay_alu instid0(VALU_DEP_1) | instskip(NEXT) | instid1(VALU_DEP_1)
	v_xor_b32_e32 v39, v39, v30
	v_cmp_ne_u16_e32 vcc_lo, 0x8000, v39
	v_cndmask_b32_e32 v39, 0x7fff, v39, vcc_lo
	s_delay_alu instid0(VALU_DEP_1) | instskip(NEXT) | instid1(VALU_DEP_1)
	v_and_b32_e32 v39, 0xffff, v39
	v_lshrrev_b32_e32 v39, s48, v39
	s_delay_alu instid0(VALU_DEP_1) | instskip(NEXT) | instid1(VALU_DEP_1)
	v_and_b32_e32 v39, s52, v39
	v_lshl_or_b32 v39, v39, 4, v83
	ds_add_u32 v39, v96
	s_or_b32 exec_lo, exec_lo, s9
	s_delay_alu instid0(SALU_CYCLE_1)
	s_mov_b32 s9, exec_lo
	v_cmpx_gt_u32_e64 s8, v76
	s_cbranch_execz .LBB1730_339
.LBB1730_354:                           ;   in Loop: Header=BB1730_308 Depth=2
	v_cmp_gt_i16_e32 vcc_lo, 0, v29
	v_cndmask_b32_e64 v39, 0x7fff, 0, vcc_lo
	s_delay_alu instid0(VALU_DEP_1) | instskip(NEXT) | instid1(VALU_DEP_1)
	v_xor_b32_e32 v39, v39, v29
	v_cmp_ne_u16_e32 vcc_lo, 0x8000, v39
	v_cndmask_b32_e32 v39, 0x7fff, v39, vcc_lo
	s_delay_alu instid0(VALU_DEP_1) | instskip(NEXT) | instid1(VALU_DEP_1)
	v_and_b32_e32 v39, 0xffff, v39
	v_lshrrev_b32_e32 v39, s48, v39
	s_delay_alu instid0(VALU_DEP_1) | instskip(NEXT) | instid1(VALU_DEP_1)
	v_and_b32_e32 v39, s52, v39
	v_lshl_or_b32 v39, v39, 4, v83
	ds_add_u32 v39, v96
	s_or_b32 exec_lo, exec_lo, s9
	s_delay_alu instid0(SALU_CYCLE_1)
	s_mov_b32 s9, exec_lo
	v_cmpx_gt_u32_e64 s8, v77
	s_cbranch_execz .LBB1730_340
.LBB1730_355:                           ;   in Loop: Header=BB1730_308 Depth=2
	v_cmp_gt_i16_e32 vcc_lo, 0, v28
	v_cndmask_b32_e64 v39, 0x7fff, 0, vcc_lo
	s_delay_alu instid0(VALU_DEP_1) | instskip(NEXT) | instid1(VALU_DEP_1)
	v_xor_b32_e32 v39, v39, v28
	v_cmp_ne_u16_e32 vcc_lo, 0x8000, v39
	v_cndmask_b32_e32 v39, 0x7fff, v39, vcc_lo
	s_delay_alu instid0(VALU_DEP_1) | instskip(NEXT) | instid1(VALU_DEP_1)
	v_and_b32_e32 v39, 0xffff, v39
	v_lshrrev_b32_e32 v39, s48, v39
	s_delay_alu instid0(VALU_DEP_1) | instskip(NEXT) | instid1(VALU_DEP_1)
	v_and_b32_e32 v39, s52, v39
	v_lshl_or_b32 v39, v39, 4, v83
	ds_add_u32 v39, v96
	s_or_b32 exec_lo, exec_lo, s9
	s_delay_alu instid0(SALU_CYCLE_1)
	s_mov_b32 s9, exec_lo
	v_cmpx_gt_u32_e64 s8, v78
	s_cbranch_execz .LBB1730_341
.LBB1730_356:                           ;   in Loop: Header=BB1730_308 Depth=2
	v_cmp_gt_i16_e32 vcc_lo, 0, v27
	v_cndmask_b32_e64 v39, 0x7fff, 0, vcc_lo
	s_delay_alu instid0(VALU_DEP_1) | instskip(NEXT) | instid1(VALU_DEP_1)
	v_xor_b32_e32 v39, v39, v27
	v_cmp_ne_u16_e32 vcc_lo, 0x8000, v39
	v_cndmask_b32_e32 v39, 0x7fff, v39, vcc_lo
	s_delay_alu instid0(VALU_DEP_1) | instskip(NEXT) | instid1(VALU_DEP_1)
	v_and_b32_e32 v39, 0xffff, v39
	v_lshrrev_b32_e32 v39, s48, v39
	s_delay_alu instid0(VALU_DEP_1) | instskip(NEXT) | instid1(VALU_DEP_1)
	v_and_b32_e32 v39, s52, v39
	v_lshl_or_b32 v39, v39, 4, v83
	ds_add_u32 v39, v96
	s_or_b32 exec_lo, exec_lo, s9
	s_delay_alu instid0(SALU_CYCLE_1)
	s_mov_b32 s9, exec_lo
	v_cmpx_gt_u32_e64 s8, v79
	s_cbranch_execz .LBB1730_342
.LBB1730_357:                           ;   in Loop: Header=BB1730_308 Depth=2
	v_cmp_gt_i16_e32 vcc_lo, 0, v26
	v_cndmask_b32_e64 v39, 0x7fff, 0, vcc_lo
	s_delay_alu instid0(VALU_DEP_1) | instskip(NEXT) | instid1(VALU_DEP_1)
	v_xor_b32_e32 v39, v39, v26
	v_cmp_ne_u16_e32 vcc_lo, 0x8000, v39
	v_cndmask_b32_e32 v39, 0x7fff, v39, vcc_lo
	s_delay_alu instid0(VALU_DEP_1) | instskip(NEXT) | instid1(VALU_DEP_1)
	v_and_b32_e32 v39, 0xffff, v39
	v_lshrrev_b32_e32 v39, s48, v39
	s_delay_alu instid0(VALU_DEP_1) | instskip(NEXT) | instid1(VALU_DEP_1)
	v_and_b32_e32 v39, s52, v39
	v_lshl_or_b32 v39, v39, 4, v83
	ds_add_u32 v39, v96
	s_or_b32 exec_lo, exec_lo, s9
	s_delay_alu instid0(SALU_CYCLE_1)
	s_mov_b32 s9, exec_lo
	v_cmpx_gt_u32_e64 s8, v80
	s_cbranch_execz .LBB1730_343
.LBB1730_358:                           ;   in Loop: Header=BB1730_308 Depth=2
	v_cmp_gt_i16_e32 vcc_lo, 0, v25
	v_cndmask_b32_e64 v39, 0x7fff, 0, vcc_lo
	s_delay_alu instid0(VALU_DEP_1) | instskip(NEXT) | instid1(VALU_DEP_1)
	v_xor_b32_e32 v39, v39, v25
	v_cmp_ne_u16_e32 vcc_lo, 0x8000, v39
	v_cndmask_b32_e32 v39, 0x7fff, v39, vcc_lo
	s_delay_alu instid0(VALU_DEP_1) | instskip(NEXT) | instid1(VALU_DEP_1)
	v_and_b32_e32 v39, 0xffff, v39
	v_lshrrev_b32_e32 v39, s48, v39
	s_delay_alu instid0(VALU_DEP_1) | instskip(NEXT) | instid1(VALU_DEP_1)
	v_and_b32_e32 v39, s52, v39
	v_lshl_or_b32 v39, v39, 4, v83
	ds_add_u32 v39, v96
	s_or_b32 exec_lo, exec_lo, s9
	s_delay_alu instid0(SALU_CYCLE_1)
	s_mov_b32 s9, exec_lo
	v_cmpx_gt_u32_e64 s8, v81
	s_cbranch_execz .LBB1730_344
.LBB1730_359:                           ;   in Loop: Header=BB1730_308 Depth=2
	v_cmp_gt_i16_e32 vcc_lo, 0, v24
	v_cndmask_b32_e64 v39, 0x7fff, 0, vcc_lo
	s_delay_alu instid0(VALU_DEP_1) | instskip(NEXT) | instid1(VALU_DEP_1)
	v_xor_b32_e32 v39, v39, v24
	v_cmp_ne_u16_e32 vcc_lo, 0x8000, v39
	v_cndmask_b32_e32 v39, 0x7fff, v39, vcc_lo
	s_delay_alu instid0(VALU_DEP_1) | instskip(NEXT) | instid1(VALU_DEP_1)
	v_and_b32_e32 v39, 0xffff, v39
	v_lshrrev_b32_e32 v39, s48, v39
	s_delay_alu instid0(VALU_DEP_1) | instskip(NEXT) | instid1(VALU_DEP_1)
	v_and_b32_e32 v39, s52, v39
	v_lshl_or_b32 v39, v39, 4, v83
	ds_add_u32 v39, v96
	s_or_b32 exec_lo, exec_lo, s9
	v_cmp_gt_u32_e32 vcc_lo, s8, v82
	s_and_saveexec_b32 s8, vcc_lo
	s_cbranch_execz .LBB1730_307
.LBB1730_360:                           ;   in Loop: Header=BB1730_308 Depth=2
	v_cmp_gt_i16_e32 vcc_lo, 0, v23
	v_cndmask_b32_e64 v39, 0x7fff, 0, vcc_lo
	s_delay_alu instid0(VALU_DEP_1) | instskip(NEXT) | instid1(VALU_DEP_1)
	v_xor_b32_e32 v39, v39, v23
	v_cmp_ne_u16_e32 vcc_lo, 0x8000, v39
	v_cndmask_b32_e32 v39, 0x7fff, v39, vcc_lo
	s_delay_alu instid0(VALU_DEP_1) | instskip(NEXT) | instid1(VALU_DEP_1)
	v_and_b32_e32 v39, 0xffff, v39
	v_lshrrev_b32_e32 v39, s48, v39
	s_delay_alu instid0(VALU_DEP_1) | instskip(NEXT) | instid1(VALU_DEP_1)
	v_and_b32_e32 v39, s52, v39
	v_lshl_or_b32 v39, v39, 4, v83
	ds_add_u32 v39, v96
	s_branch .LBB1730_307
.LBB1730_361:                           ;   in Loop: Header=BB1730_308 Depth=2
	global_load_u16 v38, v2, s[8:9] scale_offset
	s_wait_xcnt 0x0
	s_or_b32 exec_lo, exec_lo, s11
	s_delay_alu instid0(SALU_CYCLE_1)
	s_mov_b32 s11, exec_lo
	v_cmpx_gt_u32_e64 s7, v68
	s_cbranch_execz .LBB1730_313
.LBB1730_362:                           ;   in Loop: Header=BB1730_308 Depth=2
	global_load_u16 v37, v2, s[8:9] offset:512 scale_offset
	s_wait_xcnt 0x0
	s_or_b32 exec_lo, exec_lo, s11
	s_delay_alu instid0(SALU_CYCLE_1)
	s_mov_b32 s11, exec_lo
	v_cmpx_gt_u32_e64 s7, v69
	s_cbranch_execz .LBB1730_314
.LBB1730_363:                           ;   in Loop: Header=BB1730_308 Depth=2
	global_load_u16 v36, v2, s[8:9] offset:1024 scale_offset
	s_wait_xcnt 0x0
	s_or_b32 exec_lo, exec_lo, s11
	s_delay_alu instid0(SALU_CYCLE_1)
	s_mov_b32 s11, exec_lo
	v_cmpx_gt_u32_e64 s7, v70
	s_cbranch_execz .LBB1730_315
.LBB1730_364:                           ;   in Loop: Header=BB1730_308 Depth=2
	global_load_u16 v35, v2, s[8:9] offset:1536 scale_offset
	s_wait_xcnt 0x0
	s_or_b32 exec_lo, exec_lo, s11
	s_delay_alu instid0(SALU_CYCLE_1)
	s_mov_b32 s11, exec_lo
	v_cmpx_gt_u32_e64 s7, v71
	s_cbranch_execz .LBB1730_316
.LBB1730_365:                           ;   in Loop: Header=BB1730_308 Depth=2
	global_load_u16 v34, v2, s[8:9] offset:2048 scale_offset
	s_wait_xcnt 0x0
	s_or_b32 exec_lo, exec_lo, s11
	s_delay_alu instid0(SALU_CYCLE_1)
	s_mov_b32 s11, exec_lo
	v_cmpx_gt_u32_e64 s7, v72
	s_cbranch_execz .LBB1730_317
.LBB1730_366:                           ;   in Loop: Header=BB1730_308 Depth=2
	global_load_u16 v33, v2, s[8:9] offset:2560 scale_offset
	s_wait_xcnt 0x0
	s_or_b32 exec_lo, exec_lo, s11
	s_delay_alu instid0(SALU_CYCLE_1)
	s_mov_b32 s11, exec_lo
	v_cmpx_gt_u32_e64 s7, v73
	s_cbranch_execz .LBB1730_318
.LBB1730_367:                           ;   in Loop: Header=BB1730_308 Depth=2
	global_load_u16 v32, v2, s[8:9] offset:3072 scale_offset
	s_wait_xcnt 0x0
	s_or_b32 exec_lo, exec_lo, s11
	s_delay_alu instid0(SALU_CYCLE_1)
	s_mov_b32 s11, exec_lo
	v_cmpx_gt_u32_e64 s7, v74
	s_cbranch_execz .LBB1730_319
.LBB1730_368:                           ;   in Loop: Header=BB1730_308 Depth=2
	global_load_u16 v31, v2, s[8:9] offset:3584 scale_offset
	s_wait_xcnt 0x0
	s_or_b32 exec_lo, exec_lo, s11
	s_delay_alu instid0(SALU_CYCLE_1)
	s_mov_b32 s11, exec_lo
	v_cmpx_gt_u32_e64 s7, v75
	s_cbranch_execz .LBB1730_320
.LBB1730_369:                           ;   in Loop: Header=BB1730_308 Depth=2
	global_load_u16 v30, v2, s[8:9] offset:4096 scale_offset
	s_wait_xcnt 0x0
	s_or_b32 exec_lo, exec_lo, s11
	s_delay_alu instid0(SALU_CYCLE_1)
	s_mov_b32 s11, exec_lo
	v_cmpx_gt_u32_e64 s7, v76
	s_cbranch_execz .LBB1730_321
.LBB1730_370:                           ;   in Loop: Header=BB1730_308 Depth=2
	global_load_u16 v29, v2, s[8:9] offset:4608 scale_offset
	s_wait_xcnt 0x0
	s_or_b32 exec_lo, exec_lo, s11
	s_delay_alu instid0(SALU_CYCLE_1)
	s_mov_b32 s11, exec_lo
	v_cmpx_gt_u32_e64 s7, v77
	s_cbranch_execz .LBB1730_322
.LBB1730_371:                           ;   in Loop: Header=BB1730_308 Depth=2
	global_load_u16 v28, v2, s[8:9] offset:5120 scale_offset
	s_wait_xcnt 0x0
	s_or_b32 exec_lo, exec_lo, s11
	s_delay_alu instid0(SALU_CYCLE_1)
	s_mov_b32 s11, exec_lo
	v_cmpx_gt_u32_e64 s7, v78
	s_cbranch_execz .LBB1730_323
.LBB1730_372:                           ;   in Loop: Header=BB1730_308 Depth=2
	global_load_u16 v27, v2, s[8:9] offset:5632 scale_offset
	s_wait_xcnt 0x0
	s_or_b32 exec_lo, exec_lo, s11
	s_delay_alu instid0(SALU_CYCLE_1)
	s_mov_b32 s11, exec_lo
	v_cmpx_gt_u32_e64 s7, v79
	s_cbranch_execz .LBB1730_324
.LBB1730_373:                           ;   in Loop: Header=BB1730_308 Depth=2
	global_load_u16 v26, v2, s[8:9] offset:6144 scale_offset
	s_wait_xcnt 0x0
	s_or_b32 exec_lo, exec_lo, s11
	s_delay_alu instid0(SALU_CYCLE_1)
	s_mov_b32 s11, exec_lo
	v_cmpx_gt_u32_e64 s7, v80
	s_cbranch_execz .LBB1730_325
.LBB1730_374:                           ;   in Loop: Header=BB1730_308 Depth=2
	global_load_u16 v25, v2, s[8:9] offset:6656 scale_offset
	s_wait_xcnt 0x0
	s_or_b32 exec_lo, exec_lo, s11
	s_delay_alu instid0(SALU_CYCLE_1)
	s_mov_b32 s11, exec_lo
	v_cmpx_gt_u32_e64 s7, v81
	s_cbranch_execz .LBB1730_326
.LBB1730_375:                           ;   in Loop: Header=BB1730_308 Depth=2
	global_load_u16 v24, v2, s[8:9] offset:7168 scale_offset
	s_wait_xcnt 0x0
	s_or_b32 exec_lo, exec_lo, s11
	s_delay_alu instid0(SALU_CYCLE_1)
	s_mov_b32 s11, exec_lo
	v_cmpx_gt_u32_e64 s7, v82
	s_cbranch_execnz .LBB1730_327
	s_branch .LBB1730_328
.LBB1730_376:                           ;   in Loop: Header=BB1730_12 Depth=1
	v_mov_b32_e32 v23, 0
	s_wait_dscnt 0x0
	s_barrier_signal -1
	s_barrier_wait -1
	s_and_saveexec_b32 s7, s0
	s_cbranch_execz .LBB1730_378
; %bb.377:                              ;   in Loop: Header=BB1730_12 Depth=1
	ds_load_2addr_b64 v[24:27], v85 offset1:1
	s_wait_dscnt 0x0
	v_add_nc_u32_e32 v23, v25, v24
	s_delay_alu instid0(VALU_DEP_1)
	v_add3_u32 v23, v23, v26, v27
.LBB1730_378:                           ;   in Loop: Header=BB1730_12 Depth=1
	s_or_b32 exec_lo, exec_lo, s7
	s_delay_alu instid0(VALU_DEP_1)
	v_mov_b32_dpp v24, v23 row_shr:1 row_mask:0xf bank_mask:0xf
	v_cmp_eq_u32_e64 s7, 0, v97
	v_cmp_lt_u32_e64 s8, 1, v97
	v_cmp_lt_u32_e64 s9, 3, v97
	v_cmp_lt_u32_e64 s10, 7, v97
	v_cmp_eq_u32_e64 s11, 0, v99
	v_cndmask_b32_e64 v24, v24, 0, s7
	s_delay_alu instid0(VALU_DEP_1) | instskip(NEXT) | instid1(VALU_DEP_1)
	v_add_nc_u32_e32 v23, v24, v23
	v_mov_b32_dpp v24, v23 row_shr:2 row_mask:0xf bank_mask:0xf
	s_delay_alu instid0(VALU_DEP_1) | instskip(NEXT) | instid1(VALU_DEP_1)
	v_cndmask_b32_e64 v24, 0, v24, s8
	v_add_nc_u32_e32 v23, v23, v24
	s_delay_alu instid0(VALU_DEP_1) | instskip(NEXT) | instid1(VALU_DEP_1)
	v_mov_b32_dpp v24, v23 row_shr:4 row_mask:0xf bank_mask:0xf
	v_cndmask_b32_e64 v24, 0, v24, s9
	s_delay_alu instid0(VALU_DEP_1) | instskip(NEXT) | instid1(VALU_DEP_1)
	v_add_nc_u32_e32 v23, v23, v24
	v_mov_b32_dpp v24, v23 row_shr:8 row_mask:0xf bank_mask:0xf
	s_delay_alu instid0(VALU_DEP_1) | instskip(NEXT) | instid1(VALU_DEP_1)
	v_cndmask_b32_e64 v24, 0, v24, s10
	v_add_nc_u32_e32 v23, v23, v24
	ds_swizzle_b32 v24, v23 offset:swizzle(BROADCAST,32,15)
	s_wait_dscnt 0x0
	v_and_b32_e32 v24, v98, v24
	s_delay_alu instid0(VALU_DEP_1)
	v_add_nc_u32_e32 v23, v23, v24
	s_and_saveexec_b32 s12, s1
; %bb.379:                              ;   in Loop: Header=BB1730_12 Depth=1
	ds_store_b32 v86, v23
; %bb.380:                              ;   in Loop: Header=BB1730_12 Depth=1
	s_or_b32 exec_lo, exec_lo, s12
	s_wait_dscnt 0x0
	s_barrier_signal -1
	s_barrier_wait -1
	s_and_saveexec_b32 s12, s4
	s_cbranch_execz .LBB1730_382
; %bb.381:                              ;   in Loop: Header=BB1730_12 Depth=1
	ds_load_b32 v24, v87
	v_cmp_ne_u32_e32 vcc_lo, 0, v101
	s_wait_dscnt 0x0
	v_mov_b32_dpp v25, v24 row_shr:1 row_mask:0xf bank_mask:0xf
	s_delay_alu instid0(VALU_DEP_1) | instskip(SKIP_1) | instid1(VALU_DEP_2)
	v_cndmask_b32_e32 v25, 0, v25, vcc_lo
	v_cmp_lt_u32_e32 vcc_lo, 1, v101
	v_add_nc_u32_e32 v24, v25, v24
	s_delay_alu instid0(VALU_DEP_1) | instskip(NEXT) | instid1(VALU_DEP_1)
	v_mov_b32_dpp v25, v24 row_shr:2 row_mask:0xf bank_mask:0xf
	v_cndmask_b32_e32 v25, 0, v25, vcc_lo
	v_cmp_lt_u32_e32 vcc_lo, 3, v101
	s_delay_alu instid0(VALU_DEP_2) | instskip(NEXT) | instid1(VALU_DEP_1)
	v_add_nc_u32_e32 v24, v24, v25
	v_mov_b32_dpp v25, v24 row_shr:4 row_mask:0xf bank_mask:0xf
	s_delay_alu instid0(VALU_DEP_1) | instskip(NEXT) | instid1(VALU_DEP_1)
	v_cndmask_b32_e32 v25, 0, v25, vcc_lo
	v_add_nc_u32_e32 v24, v24, v25
	ds_store_b32 v87, v24
.LBB1730_382:                           ;   in Loop: Header=BB1730_12 Depth=1
	s_or_b32 exec_lo, exec_lo, s12
	v_mov_b32_e32 v24, 0
	s_wait_dscnt 0x0
	s_barrier_signal -1
	s_barrier_wait -1
	s_and_saveexec_b32 s12, s5
; %bb.383:                              ;   in Loop: Header=BB1730_12 Depth=1
	ds_load_b32 v24, v88
; %bb.384:                              ;   in Loop: Header=BB1730_12 Depth=1
	s_or_b32 exec_lo, exec_lo, s12
	v_cmp_gt_i32_e32 vcc_lo, 0, v102
	s_wait_dscnt 0x0
	s_barrier_signal -1
	s_barrier_wait -1
	v_cndmask_b32_e32 v25, v102, v95, vcc_lo
	s_delay_alu instid0(VALU_DEP_1)
	v_dual_add_nc_u32 v23, v24, v23 :: v_dual_lshlrev_b32 v122, 2, v25
	ds_bpermute_b32 v23, v122, v23
	s_and_saveexec_b32 s12, s0
	s_cbranch_execz .LBB1730_386
; %bb.385:                              ;   in Loop: Header=BB1730_12 Depth=1
	s_wait_dscnt 0x0
	v_cndmask_b32_e64 v23, v23, v24, s6
	s_delay_alu instid0(VALU_DEP_1)
	v_add_nc_u32_e32 v23, s54, v23
	ds_store_b32 v3, v23
.LBB1730_386:                           ;   in Loop: Header=BB1730_12 Depth=1
	s_or_b32 exec_lo, exec_lo, s12
	s_load_b64 s[12:13], s[34:35], 0x0
	s_mov_b32 s53, s56
                                        ; implicit-def: $vgpr30_vgpr31
                                        ; implicit-def: $vgpr32_vgpr33
                                        ; implicit-def: $vgpr34_vgpr35
                                        ; implicit-def: $vgpr36_vgpr37
                                        ; implicit-def: $vgpr38_vgpr39
                                        ; implicit-def: $vgpr40_vgpr41
                                        ; implicit-def: $vgpr42_vgpr43
                                        ; implicit-def: $vgpr44_vgpr45
                                        ; implicit-def: $vgpr46_vgpr47
                                        ; implicit-def: $vgpr48_vgpr49
                                        ; implicit-def: $vgpr50_vgpr51
                                        ; implicit-def: $vgpr52_vgpr53
                                        ; implicit-def: $vgpr54_vgpr55
                                        ; implicit-def: $vgpr56_vgpr57
                                        ; implicit-def: $vgpr58_vgpr59
                                        ; implicit-def: $vgpr123
                                        ; implicit-def: $vgpr124
                                        ; implicit-def: $vgpr125
                                        ; implicit-def: $vgpr126
                                        ; implicit-def: $vgpr127
                                        ; implicit-def: $vgpr128
                                        ; implicit-def: $vgpr129
                                        ; implicit-def: $vgpr130
                                        ; implicit-def: $vgpr131
                                        ; implicit-def: $vgpr132
                                        ; implicit-def: $vgpr133
                                        ; implicit-def: $vgpr134
                                        ; implicit-def: $vgpr135
                                        ; implicit-def: $vgpr136
                                        ; implicit-def: $vgpr137
                                        ; implicit-def: $vgpr138
	s_wait_kmcnt 0x0
	s_cmp_lt_u32 s33, s12
	s_cselect_b32 s42, 12, 18
	s_cmp_lt_u32 s31, s13
	s_mov_b32 s13, s43
	s_cselect_b32 s12, 14, 20
	s_delay_alu instid0(SALU_CYCLE_1)
	s_add_nc_u64 s[12:13], s[34:35], s[12:13]
	s_load_u16 s14, s[12:13], 0x0
	s_wait_xcnt 0x0
	s_add_nc_u64 s[12:13], s[34:35], s[42:43]
	s_mov_b32 s42, s54
	s_load_u16 s12, s[12:13], 0x0
	s_wait_xcnt 0x0
	v_cmp_lt_u32_e64 s13, 1, v101
	s_wait_dscnt 0x0
	s_wait_kmcnt 0x0
	v_mad_u32_u24 v23, v89, s14, v90
	v_cmp_lt_u32_e64 s14, 3, v101
	s_delay_alu instid0(VALU_DEP_2) | instskip(SKIP_2) | instid1(VALU_DEP_3)
	v_mad_u32 v24, v23, s12, v2
	v_mov_b32_e32 v23, v5
	v_cmp_eq_u32_e64 s12, 0, v101
	v_lshrrev_b32_e32 v28, 3, v24
	v_add_nc_u64_e32 v[24:25], v[12:13], v[4:5]
	s_delay_alu instid0(VALU_DEP_4) | instskip(NEXT) | instid1(VALU_DEP_3)
	v_add_nc_u64_e32 v[26:27], v[14:15], v[22:23]
	v_and_b32_e32 v23, 0x1ffffffc, v28
                                        ; implicit-def: $vgpr28_vgpr29
	s_branch .LBB1730_388
.LBB1730_387:                           ;   in Loop: Header=BB1730_388 Depth=2
	s_or_b32 exec_lo, exec_lo, s15
	s_addk_co_i32 s53, 0xf000
	s_cmp_lt_u32 s57, s51
	s_mov_b32 s42, s57
	s_cbranch_scc0 .LBB1730_596
.LBB1730_388:                           ;   Parent Loop BB1730_12 Depth=1
                                        ; =>  This Inner Loop Header: Depth=2
	s_add_co_i32 s57, s42, 0x1000
	s_delay_alu instid0(SALU_CYCLE_1)
	s_cmp_gt_u32 s57, s51
	s_cbranch_scc1 .LBB1730_390
; %bb.389:                              ;   in Loop: Header=BB1730_388 Depth=2
	s_delay_alu instid0(VALU_DEP_2)
	v_lshl_add_u64 v[60:61], s[42:43], 1, v[26:27]
	s_mov_b32 s15, -1
	s_clause 0xe
	global_load_u16 v140, v[60:61], off
	global_load_u16 v141, v[60:61], off offset:64
	global_load_u16 v144, v[60:61], off offset:128
	;; [unrolled: 1-line block ×14, first 2 shown]
	s_movk_i32 s16, 0x1000
	s_cbranch_execz .LBB1730_391
	s_branch .LBB1730_422
.LBB1730_390:                           ;   in Loop: Header=BB1730_388 Depth=2
	s_mov_b32 s15, 0
                                        ; implicit-def: $vgpr140
                                        ; implicit-def: $vgpr141
                                        ; implicit-def: $vgpr144
                                        ; implicit-def: $vgpr148
                                        ; implicit-def: $vgpr152
                                        ; implicit-def: $vgpr156
                                        ; implicit-def: $vgpr160
                                        ; implicit-def: $vgpr164
                                        ; implicit-def: $vgpr168
                                        ; implicit-def: $vgpr67
                                        ; implicit-def: $vgpr66
                                        ; implicit-def: $vgpr65
                                        ; implicit-def: $vgpr64
                                        ; implicit-def: $vgpr63
                                        ; implicit-def: $vgpr62
	s_movk_i32 s16, 0x1000
.LBB1730_391:                           ;   in Loop: Header=BB1730_388 Depth=2
	s_wait_xcnt 0x0
	v_lshl_add_u64 v[60:61], s[42:43], 1, v[26:27]
	s_wait_loadcnt 0xd
	v_dual_mov_b32 v141, -1 :: v_dual_mov_b32 v140, -1
	s_mov_b32 s15, exec_lo
	v_cmpx_gt_u32_e64 s53, v100
	s_cbranch_execz .LBB1730_393
; %bb.392:                              ;   in Loop: Header=BB1730_388 Depth=2
	global_load_u16 v140, v[60:61], off
.LBB1730_393:                           ;   in Loop: Header=BB1730_388 Depth=2
	s_wait_xcnt 0x0
	s_or_b32 exec_lo, exec_lo, s15
	s_delay_alu instid0(SALU_CYCLE_1)
	s_mov_b32 s15, exec_lo
	v_cmpx_gt_u32_e64 s53, v103
	s_cbranch_execz .LBB1730_395
; %bb.394:                              ;   in Loop: Header=BB1730_388 Depth=2
	global_load_u16 v141, v[60:61], off offset:64
.LBB1730_395:                           ;   in Loop: Header=BB1730_388 Depth=2
	s_wait_xcnt 0x0
	s_or_b32 exec_lo, exec_lo, s15
	s_wait_loadcnt 0xb
	v_dual_mov_b32 v148, -1 :: v_dual_mov_b32 v144, -1
	s_mov_b32 s15, exec_lo
	v_cmpx_gt_u32_e64 s53, v104
	s_cbranch_execz .LBB1730_397
; %bb.396:                              ;   in Loop: Header=BB1730_388 Depth=2
	global_load_u16 v144, v[60:61], off offset:128
.LBB1730_397:                           ;   in Loop: Header=BB1730_388 Depth=2
	s_wait_xcnt 0x0
	s_or_b32 exec_lo, exec_lo, s15
	s_delay_alu instid0(SALU_CYCLE_1)
	s_mov_b32 s15, exec_lo
	v_cmpx_gt_u32_e64 s53, v105
	s_cbranch_execz .LBB1730_399
; %bb.398:                              ;   in Loop: Header=BB1730_388 Depth=2
	global_load_u16 v148, v[60:61], off offset:192
.LBB1730_399:                           ;   in Loop: Header=BB1730_388 Depth=2
	s_wait_xcnt 0x0
	s_or_b32 exec_lo, exec_lo, s15
	s_wait_loadcnt 0x9
	v_dual_mov_b32 v156, -1 :: v_dual_mov_b32 v152, -1
	s_mov_b32 s15, exec_lo
	v_cmpx_gt_u32_e64 s53, v106
	s_cbranch_execz .LBB1730_401
; %bb.400:                              ;   in Loop: Header=BB1730_388 Depth=2
	global_load_u16 v152, v[60:61], off offset:256
.LBB1730_401:                           ;   in Loop: Header=BB1730_388 Depth=2
	;; [unrolled: 19-line block ×6, first 2 shown]
	s_wait_xcnt 0x0
	s_or_b32 exec_lo, exec_lo, s15
	s_delay_alu instid0(SALU_CYCLE_1)
	s_mov_b32 s15, exec_lo
	v_cmpx_gt_u32_e64 s53, v115
	s_cbranch_execz .LBB1730_419
; %bb.418:                              ;   in Loop: Header=BB1730_388 Depth=2
	global_load_u16 v63, v[60:61], off offset:832
.LBB1730_419:                           ;   in Loop: Header=BB1730_388 Depth=2
	s_wait_xcnt 0x0
	s_or_b32 exec_lo, exec_lo, s15
	s_wait_loadcnt 0x0
	v_mov_b32_e32 v62, -1
	s_mov_b32 s15, exec_lo
	v_cmpx_gt_u32_e64 s53, v116
	s_cbranch_execz .LBB1730_421
; %bb.420:                              ;   in Loop: Header=BB1730_388 Depth=2
	global_load_u16 v62, v[60:61], off offset:896
.LBB1730_421:                           ;   in Loop: Header=BB1730_388 Depth=2
	s_wait_xcnt 0x0
	s_or_b32 exec_lo, exec_lo, s15
	v_cmp_gt_u32_e64 s15, s53, v117
	s_sub_co_i32 s16, s51, s42
.LBB1730_422:                           ;   in Loop: Header=BB1730_388 Depth=2
	s_wait_xcnt 0x0
	v_dual_mov_b32 v60, -1 :: v_dual_mov_b32 v139, s53
	s_and_saveexec_b32 s17, s15
	s_cbranch_execz .LBB1730_424
; %bb.423:                              ;   in Loop: Header=BB1730_388 Depth=2
	v_lshl_add_u64 v[60:61], s[42:43], 1, v[26:27]
	v_mov_b32_e32 v139, s16
	global_load_u16 v60, v[60:61], off offset:960
.LBB1730_424:                           ;   in Loop: Header=BB1730_388 Depth=2
	s_wait_xcnt 0x0
	s_or_b32 exec_lo, exec_lo, s17
	s_wait_loadcnt 0xe
	v_cmp_gt_i16_e64 vcc_lo, 0, v140
	ds_store_2addr_b32 v121, v5, v5 offset1:1
	ds_store_2addr_b32 v118, v5, v5 offset1:1
	;; [unrolled: 1-line block ×4, first 2 shown]
	ds_store_b32 v91, v5 offset:1088
	s_wait_loadcnt_dscnt 0x0
	s_barrier_signal -1
	v_cndmask_b32_e64 v61, 0x7fff, 0, vcc_lo
	s_barrier_wait -1
	; wave barrier
	s_delay_alu instid0(VALU_DEP_1) | instskip(NEXT) | instid1(VALU_DEP_1)
	v_xor_b32_e32 v140, v61, v140
	v_cmp_ne_u16_e64 vcc_lo, 0x8000, v140
	v_cndmask_b32_e32 v61, 0x7fff, v140, vcc_lo
	s_delay_alu instid0(VALU_DEP_1) | instskip(NEXT) | instid1(VALU_DEP_1)
	v_and_b32_e32 v61, 0xffff, v61
	v_lshrrev_b32_e32 v61, s48, v61
	s_delay_alu instid0(VALU_DEP_1) | instskip(SKIP_1) | instid1(VALU_DEP_2)
	v_bitop3_b32 v142, v61, 1, s52 bitop3:0x80
	v_and_b32_e32 v143, s52, v61
	v_add_co_u32 v61, s15, v142, -1
	s_delay_alu instid0(VALU_DEP_1) | instskip(NEXT) | instid1(VALU_DEP_3)
	v_cndmask_b32_e64 v142, 0, 1, s15
	v_lshlrev_b32_e32 v145, 30, v143
	s_delay_alu instid0(VALU_DEP_2) | instskip(NEXT) | instid1(VALU_DEP_2)
	v_cmp_ne_u32_e32 vcc_lo, 0, v142
	v_not_b32_e32 v142, v145
	s_delay_alu instid0(VALU_DEP_1) | instskip(SKIP_3) | instid1(VALU_DEP_4)
	v_dual_ashrrev_i32 v142, 31, v142 :: v_dual_lshlrev_b32 v146, 29, v143
	v_dual_lshlrev_b32 v147, 28, v143 :: v_dual_lshlrev_b32 v149, 27, v143
	v_lshlrev_b32_e32 v150, 26, v143
	v_cmp_gt_i32_e64 s15, 0, v145
	v_cmp_gt_i32_e64 s16, 0, v146
	v_not_b32_e32 v145, v146
	v_not_b32_e32 v146, v147
	v_dual_lshlrev_b32 v151, 25, v143 :: v_dual_lshlrev_b32 v153, 24, v143
	v_cmp_gt_i32_e64 s17, 0, v147
	v_cmp_gt_i32_e64 s18, 0, v149
	v_not_b32_e32 v147, v149
	v_not_b32_e32 v149, v150
	v_dual_ashrrev_i32 v146, 31, v146 :: v_dual_bitop2_b32 v61, vcc_lo, v61 bitop3:0x14
	v_dual_ashrrev_i32 v145, 31, v145 :: v_dual_bitop2_b32 v142, s15, v142 bitop3:0x14
	v_cmp_gt_i32_e64 s19, 0, v150
	v_cmp_gt_i32_e64 s20, 0, v151
	v_not_b32_e32 v150, v151
	v_not_b32_e32 v151, v153
	v_dual_ashrrev_i32 v147, 31, v147 :: v_dual_ashrrev_i32 v149, 31, v149
	v_xor_b32_e32 v145, s16, v145
	v_xor_b32_e32 v146, s17, v146
	v_bitop3_b32 v61, v61, v142, exec_lo bitop3:0x80
	v_cmp_gt_i32_e64 s21, 0, v153
	v_dual_ashrrev_i32 v142, 31, v150 :: v_dual_ashrrev_i32 v150, 31, v151
	v_xor_b32_e32 v147, s18, v147
	s_delay_alu instid0(VALU_DEP_4) | instskip(SKIP_3) | instid1(VALU_DEP_3)
	v_bitop3_b32 v61, v61, v146, v145 bitop3:0x80
	v_mul_u32_u24_e32 v143, 36, v143
	v_xor_b32_e32 v149, s19, v149
	v_xor_b32_e32 v142, s20, v142
	v_dual_add_nc_u32 v143, v23, v143 :: v_dual_bitop2_b32 v145, s21, v150 bitop3:0x14
	s_delay_alu instid0(VALU_DEP_3) | instskip(NEXT) | instid1(VALU_DEP_1)
	v_bitop3_b32 v61, v61, v149, v147 bitop3:0x80
	v_bitop3_b32 v61, v61, v145, v142 bitop3:0x80
	s_delay_alu instid0(VALU_DEP_1) | instskip(SKIP_1) | instid1(VALU_DEP_2)
	v_mbcnt_lo_u32_b32 v142, v61, 0
	v_cmp_ne_u32_e64 s15, 0, v61
	v_cmp_eq_u32_e32 vcc_lo, 0, v142
	s_and_b32 s16, s15, vcc_lo
	s_delay_alu instid0(SALU_CYCLE_1)
	s_and_saveexec_b32 s15, s16
; %bb.425:                              ;   in Loop: Header=BB1730_388 Depth=2
	v_bcnt_u32_b32 v61, v61, 0
	ds_store_b32 v143, v61 offset:1056
; %bb.426:                              ;   in Loop: Header=BB1730_388 Depth=2
	s_or_b32 exec_lo, exec_lo, s15
	v_cmp_gt_i16_e64 vcc_lo, 0, v141
	; wave barrier
	s_delay_alu instid0(VALU_DEP_1) | instskip(NEXT) | instid1(VALU_DEP_1)
	v_cndmask_b32_e64 v61, 0x7fff, 0, vcc_lo
	v_xor_b32_e32 v141, v61, v141
	s_delay_alu instid0(VALU_DEP_1) | instskip(SKIP_1) | instid1(VALU_DEP_1)
	v_cmp_ne_u16_e64 vcc_lo, 0x8000, v141
	v_cndmask_b32_e32 v61, 0x7fff, v141, vcc_lo
	v_and_b32_e32 v61, 0xffff, v61
	s_delay_alu instid0(VALU_DEP_1) | instskip(NEXT) | instid1(VALU_DEP_1)
	v_lshrrev_b32_e32 v61, s48, v61
	v_and_b32_e32 v147, s52, v61
	s_delay_alu instid0(VALU_DEP_1) | instskip(SKIP_2) | instid1(VALU_DEP_3)
	v_lshlrev_b32_e32 v149, 29, v147
	v_bitop3_b32 v145, v61, 1, s52 bitop3:0x80
	v_lshlrev_b32_e32 v146, 30, v147
	v_cmp_gt_i32_e64 s16, 0, v149
	s_delay_alu instid0(VALU_DEP_3) | instskip(NEXT) | instid1(VALU_DEP_1)
	v_add_co_u32 v61, s15, v145, -1
	v_cndmask_b32_e64 v145, 0, 1, s15
	s_delay_alu instid0(VALU_DEP_4) | instskip(NEXT) | instid1(VALU_DEP_2)
	v_cmp_gt_i32_e64 s15, 0, v146
	v_cmp_ne_u32_e32 vcc_lo, 0, v145
	v_not_b32_e32 v145, v146
	v_not_b32_e32 v146, v149
	s_delay_alu instid0(VALU_DEP_1) | instskip(SKIP_2) | instid1(VALU_DEP_3)
	v_dual_ashrrev_i32 v146, 31, v146 :: v_dual_lshlrev_b32 v150, 28, v147
	v_dual_lshlrev_b32 v151, 27, v147 :: v_dual_lshlrev_b32 v153, 26, v147
	v_dual_lshlrev_b32 v154, 25, v147 :: v_dual_lshlrev_b32 v155, 24, v147
	v_cmp_gt_i32_e64 s17, 0, v150
	v_not_b32_e32 v149, v150
	s_delay_alu instid0(VALU_DEP_4)
	v_not_b32_e32 v150, v151
	v_ashrrev_i32_e32 v145, 31, v145
	v_cmp_gt_i32_e64 s18, 0, v151
	v_cmp_gt_i32_e64 s19, 0, v153
	v_not_b32_e32 v151, v153
	v_cmp_gt_i32_e64 s20, 0, v154
	v_not_b32_e32 v153, v154
	v_not_b32_e32 v154, v155
	s_delay_alu instid0(VALU_DEP_4) | instskip(SKIP_3) | instid1(VALU_DEP_3)
	v_dual_ashrrev_i32 v151, 31, v151 :: v_dual_bitop2_b32 v61, vcc_lo, v61 bitop3:0x14
	v_dual_ashrrev_i32 v149, 31, v149 :: v_dual_bitop2_b32 v146, s16, v146 bitop3:0x14
	v_dual_ashrrev_i32 v150, 31, v150 :: v_dual_bitop2_b32 v145, s15, v145 bitop3:0x14
	v_cmp_gt_i32_e64 s21, 0, v155
	v_xor_b32_e32 v149, s17, v149
	v_xor_b32_e32 v151, s19, v151
	s_delay_alu instid0(VALU_DEP_4) | instskip(SKIP_2) | instid1(VALU_DEP_2)
	v_xor_b32_e32 v150, s18, v150
	v_bitop3_b32 v61, v61, v145, exec_lo bitop3:0x80
	v_dual_ashrrev_i32 v145, 31, v153 :: v_dual_ashrrev_i32 v153, 31, v154
	v_bitop3_b32 v61, v61, v149, v146 bitop3:0x80
	v_mad_u32_u24 v146, v147, 36, v23
	s_delay_alu instid0(VALU_DEP_3) | instskip(NEXT) | instid1(VALU_DEP_4)
	v_xor_b32_e32 v149, s20, v145
	v_xor_b32_e32 v153, s21, v153
	v_mul_u32_u24_e32 v147, 36, v147
	v_bitop3_b32 v61, v61, v151, v150 bitop3:0x80
	ds_load_b32 v145, v146 offset:1056
	; wave barrier
	v_add_nc_u32_e32 v147, v23, v147
	v_bitop3_b32 v61, v61, v153, v149 bitop3:0x80
	s_delay_alu instid0(VALU_DEP_1) | instskip(SKIP_1) | instid1(VALU_DEP_2)
	v_mbcnt_lo_u32_b32 v146, v61, 0
	v_cmp_ne_u32_e64 s15, 0, v61
	v_cmp_eq_u32_e32 vcc_lo, 0, v146
	s_and_b32 s16, s15, vcc_lo
	s_delay_alu instid0(SALU_CYCLE_1)
	s_and_saveexec_b32 s15, s16
	s_cbranch_execz .LBB1730_428
; %bb.427:                              ;   in Loop: Header=BB1730_388 Depth=2
	s_wait_dscnt 0x0
	v_bcnt_u32_b32 v61, v61, v145
	ds_store_b32 v147, v61 offset:1056
.LBB1730_428:                           ;   in Loop: Header=BB1730_388 Depth=2
	s_or_b32 exec_lo, exec_lo, s15
	v_cmp_gt_i16_e64 vcc_lo, 0, v144
	; wave barrier
	s_delay_alu instid0(VALU_DEP_1) | instskip(NEXT) | instid1(VALU_DEP_1)
	v_cndmask_b32_e64 v61, 0x7fff, 0, vcc_lo
	v_xor_b32_e32 v144, v61, v144
	s_delay_alu instid0(VALU_DEP_1) | instskip(SKIP_1) | instid1(VALU_DEP_1)
	v_cmp_ne_u16_e64 vcc_lo, 0x8000, v144
	v_cndmask_b32_e32 v61, 0x7fff, v144, vcc_lo
	v_and_b32_e32 v61, 0xffff, v61
	s_delay_alu instid0(VALU_DEP_1) | instskip(NEXT) | instid1(VALU_DEP_1)
	v_lshrrev_b32_e32 v61, s48, v61
	v_bitop3_b32 v149, v61, 1, s52 bitop3:0x80
	v_and_b32_e32 v151, s52, v61
	s_delay_alu instid0(VALU_DEP_2) | instskip(NEXT) | instid1(VALU_DEP_1)
	v_add_co_u32 v61, s15, v149, -1
	v_cndmask_b32_e64 v149, 0, 1, s15
	s_delay_alu instid0(VALU_DEP_3) | instskip(NEXT) | instid1(VALU_DEP_2)
	v_dual_lshlrev_b32 v150, 30, v151 :: v_dual_lshlrev_b32 v153, 29, v151
	v_cmp_ne_u32_e32 vcc_lo, 0, v149
	s_delay_alu instid0(VALU_DEP_2) | instskip(SKIP_1) | instid1(VALU_DEP_4)
	v_cmp_gt_i32_e64 s15, 0, v150
	v_not_b32_e32 v149, v150
	v_not_b32_e32 v150, v153
	s_delay_alu instid0(VALU_DEP_1) | instskip(SKIP_3) | instid1(VALU_DEP_4)
	v_dual_ashrrev_i32 v150, 31, v150 :: v_dual_lshlrev_b32 v154, 28, v151
	v_dual_lshlrev_b32 v155, 27, v151 :: v_dual_lshlrev_b32 v157, 26, v151
	v_dual_lshlrev_b32 v158, 25, v151 :: v_dual_lshlrev_b32 v159, 24, v151
	v_cmp_gt_i32_e64 s16, 0, v153
	v_cmp_gt_i32_e64 s17, 0, v154
	v_not_b32_e32 v153, v154
	v_not_b32_e32 v154, v155
	v_ashrrev_i32_e32 v149, 31, v149
	v_cmp_gt_i32_e64 s18, 0, v155
	v_cmp_gt_i32_e64 s19, 0, v157
	v_not_b32_e32 v155, v157
	v_cmp_gt_i32_e64 s20, 0, v158
	v_not_b32_e32 v157, v158
	v_not_b32_e32 v158, v159
	s_delay_alu instid0(VALU_DEP_4) | instskip(SKIP_3) | instid1(VALU_DEP_3)
	v_dual_ashrrev_i32 v155, 31, v155 :: v_dual_bitop2_b32 v61, vcc_lo, v61 bitop3:0x14
	v_dual_ashrrev_i32 v153, 31, v153 :: v_dual_bitop2_b32 v150, s16, v150 bitop3:0x14
	v_dual_ashrrev_i32 v154, 31, v154 :: v_dual_bitop2_b32 v149, s15, v149 bitop3:0x14
	v_cmp_gt_i32_e64 s21, 0, v159
	v_xor_b32_e32 v153, s17, v153
	v_xor_b32_e32 v155, s19, v155
	s_delay_alu instid0(VALU_DEP_4) | instskip(SKIP_2) | instid1(VALU_DEP_2)
	v_xor_b32_e32 v154, s18, v154
	v_bitop3_b32 v61, v61, v149, exec_lo bitop3:0x80
	v_dual_ashrrev_i32 v149, 31, v157 :: v_dual_ashrrev_i32 v157, 31, v158
	v_bitop3_b32 v61, v61, v153, v150 bitop3:0x80
	v_mad_u32_u24 v150, v151, 36, v23
	s_delay_alu instid0(VALU_DEP_3) | instskip(NEXT) | instid1(VALU_DEP_4)
	v_xor_b32_e32 v153, s20, v149
	v_xor_b32_e32 v157, s21, v157
	v_mul_u32_u24_e32 v151, 36, v151
	v_bitop3_b32 v61, v61, v155, v154 bitop3:0x80
	ds_load_b32 v149, v150 offset:1056
	; wave barrier
	v_add_nc_u32_e32 v151, v23, v151
	v_bitop3_b32 v61, v61, v157, v153 bitop3:0x80
	s_delay_alu instid0(VALU_DEP_1) | instskip(SKIP_1) | instid1(VALU_DEP_2)
	v_mbcnt_lo_u32_b32 v150, v61, 0
	v_cmp_ne_u32_e64 s15, 0, v61
	v_cmp_eq_u32_e32 vcc_lo, 0, v150
	s_and_b32 s16, s15, vcc_lo
	s_delay_alu instid0(SALU_CYCLE_1)
	s_and_saveexec_b32 s15, s16
	s_cbranch_execz .LBB1730_430
; %bb.429:                              ;   in Loop: Header=BB1730_388 Depth=2
	s_wait_dscnt 0x0
	v_bcnt_u32_b32 v61, v61, v149
	ds_store_b32 v151, v61 offset:1056
.LBB1730_430:                           ;   in Loop: Header=BB1730_388 Depth=2
	s_or_b32 exec_lo, exec_lo, s15
	v_cmp_gt_i16_e64 vcc_lo, 0, v148
	; wave barrier
	s_delay_alu instid0(VALU_DEP_1) | instskip(NEXT) | instid1(VALU_DEP_1)
	v_cndmask_b32_e64 v61, 0x7fff, 0, vcc_lo
	v_xor_b32_e32 v148, v61, v148
	s_delay_alu instid0(VALU_DEP_1) | instskip(SKIP_1) | instid1(VALU_DEP_1)
	v_cmp_ne_u16_e64 vcc_lo, 0x8000, v148
	v_cndmask_b32_e32 v61, 0x7fff, v148, vcc_lo
	v_and_b32_e32 v61, 0xffff, v61
	s_delay_alu instid0(VALU_DEP_1) | instskip(NEXT) | instid1(VALU_DEP_1)
	v_lshrrev_b32_e32 v61, s48, v61
	v_bitop3_b32 v153, v61, 1, s52 bitop3:0x80
	v_and_b32_e32 v155, s52, v61
	s_delay_alu instid0(VALU_DEP_2) | instskip(NEXT) | instid1(VALU_DEP_1)
	v_add_co_u32 v61, s15, v153, -1
	v_cndmask_b32_e64 v153, 0, 1, s15
	s_delay_alu instid0(VALU_DEP_3) | instskip(NEXT) | instid1(VALU_DEP_2)
	v_dual_lshlrev_b32 v154, 30, v155 :: v_dual_lshlrev_b32 v157, 29, v155
	v_cmp_ne_u32_e32 vcc_lo, 0, v153
	s_delay_alu instid0(VALU_DEP_2) | instskip(SKIP_1) | instid1(VALU_DEP_4)
	v_cmp_gt_i32_e64 s15, 0, v154
	v_not_b32_e32 v153, v154
	v_not_b32_e32 v154, v157
	s_delay_alu instid0(VALU_DEP_1) | instskip(SKIP_3) | instid1(VALU_DEP_4)
	v_dual_ashrrev_i32 v154, 31, v154 :: v_dual_lshlrev_b32 v158, 28, v155
	v_dual_lshlrev_b32 v159, 27, v155 :: v_dual_lshlrev_b32 v161, 26, v155
	v_dual_lshlrev_b32 v162, 25, v155 :: v_dual_lshlrev_b32 v163, 24, v155
	v_cmp_gt_i32_e64 s16, 0, v157
	v_cmp_gt_i32_e64 s17, 0, v158
	v_not_b32_e32 v157, v158
	v_not_b32_e32 v158, v159
	v_ashrrev_i32_e32 v153, 31, v153
	v_cmp_gt_i32_e64 s18, 0, v159
	v_cmp_gt_i32_e64 s19, 0, v161
	v_not_b32_e32 v159, v161
	v_cmp_gt_i32_e64 s20, 0, v162
	v_not_b32_e32 v161, v162
	v_not_b32_e32 v162, v163
	s_delay_alu instid0(VALU_DEP_4) | instskip(SKIP_3) | instid1(VALU_DEP_3)
	v_dual_ashrrev_i32 v159, 31, v159 :: v_dual_bitop2_b32 v61, vcc_lo, v61 bitop3:0x14
	v_dual_ashrrev_i32 v157, 31, v157 :: v_dual_bitop2_b32 v154, s16, v154 bitop3:0x14
	v_dual_ashrrev_i32 v158, 31, v158 :: v_dual_bitop2_b32 v153, s15, v153 bitop3:0x14
	v_cmp_gt_i32_e64 s21, 0, v163
	v_xor_b32_e32 v157, s17, v157
	v_xor_b32_e32 v159, s19, v159
	s_delay_alu instid0(VALU_DEP_4) | instskip(SKIP_2) | instid1(VALU_DEP_2)
	v_xor_b32_e32 v158, s18, v158
	v_bitop3_b32 v61, v61, v153, exec_lo bitop3:0x80
	v_dual_ashrrev_i32 v153, 31, v161 :: v_dual_ashrrev_i32 v161, 31, v162
	v_bitop3_b32 v61, v61, v157, v154 bitop3:0x80
	v_mad_u32_u24 v154, v155, 36, v23
	s_delay_alu instid0(VALU_DEP_3) | instskip(NEXT) | instid1(VALU_DEP_4)
	v_xor_b32_e32 v157, s20, v153
	v_xor_b32_e32 v161, s21, v161
	v_mul_u32_u24_e32 v155, 36, v155
	v_bitop3_b32 v61, v61, v159, v158 bitop3:0x80
	ds_load_b32 v153, v154 offset:1056
	; wave barrier
	v_add_nc_u32_e32 v155, v23, v155
	v_bitop3_b32 v61, v61, v161, v157 bitop3:0x80
	s_delay_alu instid0(VALU_DEP_1) | instskip(SKIP_1) | instid1(VALU_DEP_2)
	v_mbcnt_lo_u32_b32 v154, v61, 0
	v_cmp_ne_u32_e64 s15, 0, v61
	v_cmp_eq_u32_e32 vcc_lo, 0, v154
	s_and_b32 s16, s15, vcc_lo
	s_delay_alu instid0(SALU_CYCLE_1)
	s_and_saveexec_b32 s15, s16
	s_cbranch_execz .LBB1730_432
; %bb.431:                              ;   in Loop: Header=BB1730_388 Depth=2
	s_wait_dscnt 0x0
	v_bcnt_u32_b32 v61, v61, v153
	ds_store_b32 v155, v61 offset:1056
.LBB1730_432:                           ;   in Loop: Header=BB1730_388 Depth=2
	s_or_b32 exec_lo, exec_lo, s15
	v_cmp_gt_i16_e64 vcc_lo, 0, v152
	; wave barrier
	s_delay_alu instid0(VALU_DEP_1) | instskip(NEXT) | instid1(VALU_DEP_1)
	v_cndmask_b32_e64 v61, 0x7fff, 0, vcc_lo
	v_xor_b32_e32 v152, v61, v152
	s_delay_alu instid0(VALU_DEP_1) | instskip(SKIP_1) | instid1(VALU_DEP_1)
	v_cmp_ne_u16_e64 vcc_lo, 0x8000, v152
	v_cndmask_b32_e32 v61, 0x7fff, v152, vcc_lo
	v_and_b32_e32 v61, 0xffff, v61
	s_delay_alu instid0(VALU_DEP_1) | instskip(NEXT) | instid1(VALU_DEP_1)
	v_lshrrev_b32_e32 v61, s48, v61
	v_bitop3_b32 v157, v61, 1, s52 bitop3:0x80
	v_and_b32_e32 v159, s52, v61
	s_delay_alu instid0(VALU_DEP_2) | instskip(NEXT) | instid1(VALU_DEP_1)
	v_add_co_u32 v61, s15, v157, -1
	v_cndmask_b32_e64 v157, 0, 1, s15
	s_delay_alu instid0(VALU_DEP_3) | instskip(NEXT) | instid1(VALU_DEP_2)
	v_dual_lshlrev_b32 v158, 30, v159 :: v_dual_lshlrev_b32 v161, 29, v159
	v_cmp_ne_u32_e32 vcc_lo, 0, v157
	s_delay_alu instid0(VALU_DEP_2) | instskip(SKIP_1) | instid1(VALU_DEP_4)
	v_cmp_gt_i32_e64 s15, 0, v158
	v_not_b32_e32 v157, v158
	v_not_b32_e32 v158, v161
	s_delay_alu instid0(VALU_DEP_1) | instskip(SKIP_3) | instid1(VALU_DEP_4)
	v_dual_ashrrev_i32 v158, 31, v158 :: v_dual_lshlrev_b32 v162, 28, v159
	v_dual_lshlrev_b32 v163, 27, v159 :: v_dual_lshlrev_b32 v165, 26, v159
	v_dual_lshlrev_b32 v166, 25, v159 :: v_dual_lshlrev_b32 v167, 24, v159
	v_cmp_gt_i32_e64 s16, 0, v161
	v_cmp_gt_i32_e64 s17, 0, v162
	v_not_b32_e32 v161, v162
	v_not_b32_e32 v162, v163
	v_ashrrev_i32_e32 v157, 31, v157
	v_cmp_gt_i32_e64 s18, 0, v163
	v_cmp_gt_i32_e64 s19, 0, v165
	v_not_b32_e32 v163, v165
	v_cmp_gt_i32_e64 s20, 0, v166
	v_not_b32_e32 v165, v166
	v_not_b32_e32 v166, v167
	s_delay_alu instid0(VALU_DEP_4) | instskip(SKIP_3) | instid1(VALU_DEP_3)
	v_dual_ashrrev_i32 v163, 31, v163 :: v_dual_bitop2_b32 v61, vcc_lo, v61 bitop3:0x14
	v_dual_ashrrev_i32 v161, 31, v161 :: v_dual_bitop2_b32 v158, s16, v158 bitop3:0x14
	v_dual_ashrrev_i32 v162, 31, v162 :: v_dual_bitop2_b32 v157, s15, v157 bitop3:0x14
	v_cmp_gt_i32_e64 s21, 0, v167
	v_xor_b32_e32 v161, s17, v161
	v_xor_b32_e32 v163, s19, v163
	s_delay_alu instid0(VALU_DEP_4) | instskip(SKIP_2) | instid1(VALU_DEP_2)
	v_xor_b32_e32 v162, s18, v162
	v_bitop3_b32 v61, v61, v157, exec_lo bitop3:0x80
	v_dual_ashrrev_i32 v157, 31, v165 :: v_dual_ashrrev_i32 v165, 31, v166
	v_bitop3_b32 v61, v61, v161, v158 bitop3:0x80
	v_mad_u32_u24 v158, v159, 36, v23
	s_delay_alu instid0(VALU_DEP_3) | instskip(NEXT) | instid1(VALU_DEP_4)
	v_xor_b32_e32 v161, s20, v157
	v_xor_b32_e32 v165, s21, v165
	v_mul_u32_u24_e32 v159, 36, v159
	v_bitop3_b32 v61, v61, v163, v162 bitop3:0x80
	ds_load_b32 v157, v158 offset:1056
	; wave barrier
	v_add_nc_u32_e32 v159, v23, v159
	v_bitop3_b32 v61, v61, v165, v161 bitop3:0x80
	s_delay_alu instid0(VALU_DEP_1) | instskip(SKIP_1) | instid1(VALU_DEP_2)
	v_mbcnt_lo_u32_b32 v158, v61, 0
	v_cmp_ne_u32_e64 s15, 0, v61
	v_cmp_eq_u32_e32 vcc_lo, 0, v158
	s_and_b32 s16, s15, vcc_lo
	s_delay_alu instid0(SALU_CYCLE_1)
	s_and_saveexec_b32 s15, s16
	s_cbranch_execz .LBB1730_434
; %bb.433:                              ;   in Loop: Header=BB1730_388 Depth=2
	s_wait_dscnt 0x0
	v_bcnt_u32_b32 v61, v61, v157
	ds_store_b32 v159, v61 offset:1056
.LBB1730_434:                           ;   in Loop: Header=BB1730_388 Depth=2
	s_or_b32 exec_lo, exec_lo, s15
	v_cmp_gt_i16_e64 vcc_lo, 0, v156
	; wave barrier
	s_delay_alu instid0(VALU_DEP_1) | instskip(NEXT) | instid1(VALU_DEP_1)
	v_cndmask_b32_e64 v61, 0x7fff, 0, vcc_lo
	v_xor_b32_e32 v156, v61, v156
	s_delay_alu instid0(VALU_DEP_1) | instskip(SKIP_1) | instid1(VALU_DEP_1)
	v_cmp_ne_u16_e64 vcc_lo, 0x8000, v156
	v_cndmask_b32_e32 v61, 0x7fff, v156, vcc_lo
	v_and_b32_e32 v61, 0xffff, v61
	s_delay_alu instid0(VALU_DEP_1) | instskip(NEXT) | instid1(VALU_DEP_1)
	v_lshrrev_b32_e32 v61, s48, v61
	v_bitop3_b32 v161, v61, 1, s52 bitop3:0x80
	v_and_b32_e32 v163, s52, v61
	s_delay_alu instid0(VALU_DEP_2) | instskip(NEXT) | instid1(VALU_DEP_1)
	v_add_co_u32 v61, s15, v161, -1
	v_cndmask_b32_e64 v161, 0, 1, s15
	s_delay_alu instid0(VALU_DEP_3) | instskip(NEXT) | instid1(VALU_DEP_2)
	v_dual_lshlrev_b32 v162, 30, v163 :: v_dual_lshlrev_b32 v165, 29, v163
	v_cmp_ne_u32_e32 vcc_lo, 0, v161
	s_delay_alu instid0(VALU_DEP_2) | instskip(SKIP_1) | instid1(VALU_DEP_4)
	v_cmp_gt_i32_e64 s15, 0, v162
	v_not_b32_e32 v161, v162
	v_not_b32_e32 v162, v165
	s_delay_alu instid0(VALU_DEP_1) | instskip(SKIP_3) | instid1(VALU_DEP_4)
	v_dual_ashrrev_i32 v162, 31, v162 :: v_dual_lshlrev_b32 v166, 28, v163
	v_dual_lshlrev_b32 v167, 27, v163 :: v_dual_lshlrev_b32 v169, 26, v163
	v_dual_lshlrev_b32 v170, 25, v163 :: v_dual_lshlrev_b32 v171, 24, v163
	v_cmp_gt_i32_e64 s16, 0, v165
	v_cmp_gt_i32_e64 s17, 0, v166
	v_not_b32_e32 v165, v166
	v_not_b32_e32 v166, v167
	v_ashrrev_i32_e32 v161, 31, v161
	v_cmp_gt_i32_e64 s18, 0, v167
	v_cmp_gt_i32_e64 s19, 0, v169
	v_not_b32_e32 v167, v169
	v_cmp_gt_i32_e64 s20, 0, v170
	v_not_b32_e32 v169, v170
	v_not_b32_e32 v170, v171
	s_delay_alu instid0(VALU_DEP_4) | instskip(SKIP_3) | instid1(VALU_DEP_3)
	v_dual_ashrrev_i32 v167, 31, v167 :: v_dual_bitop2_b32 v61, vcc_lo, v61 bitop3:0x14
	v_dual_ashrrev_i32 v165, 31, v165 :: v_dual_bitop2_b32 v162, s16, v162 bitop3:0x14
	v_dual_ashrrev_i32 v166, 31, v166 :: v_dual_bitop2_b32 v161, s15, v161 bitop3:0x14
	v_cmp_gt_i32_e64 s21, 0, v171
	v_xor_b32_e32 v165, s17, v165
	v_xor_b32_e32 v167, s19, v167
	s_delay_alu instid0(VALU_DEP_4) | instskip(SKIP_2) | instid1(VALU_DEP_2)
	v_xor_b32_e32 v166, s18, v166
	v_bitop3_b32 v61, v61, v161, exec_lo bitop3:0x80
	v_dual_ashrrev_i32 v161, 31, v169 :: v_dual_ashrrev_i32 v169, 31, v170
	v_bitop3_b32 v61, v61, v165, v162 bitop3:0x80
	v_mad_u32_u24 v162, v163, 36, v23
	s_delay_alu instid0(VALU_DEP_3) | instskip(NEXT) | instid1(VALU_DEP_4)
	v_xor_b32_e32 v165, s20, v161
	v_xor_b32_e32 v169, s21, v169
	v_mul_u32_u24_e32 v163, 36, v163
	v_bitop3_b32 v61, v61, v167, v166 bitop3:0x80
	ds_load_b32 v161, v162 offset:1056
	; wave barrier
	v_add_nc_u32_e32 v163, v23, v163
	v_bitop3_b32 v61, v61, v169, v165 bitop3:0x80
	s_delay_alu instid0(VALU_DEP_1) | instskip(SKIP_1) | instid1(VALU_DEP_2)
	v_mbcnt_lo_u32_b32 v162, v61, 0
	v_cmp_ne_u32_e64 s15, 0, v61
	v_cmp_eq_u32_e32 vcc_lo, 0, v162
	s_and_b32 s16, s15, vcc_lo
	s_delay_alu instid0(SALU_CYCLE_1)
	s_and_saveexec_b32 s15, s16
	s_cbranch_execz .LBB1730_436
; %bb.435:                              ;   in Loop: Header=BB1730_388 Depth=2
	s_wait_dscnt 0x0
	v_bcnt_u32_b32 v61, v61, v161
	ds_store_b32 v163, v61 offset:1056
.LBB1730_436:                           ;   in Loop: Header=BB1730_388 Depth=2
	s_or_b32 exec_lo, exec_lo, s15
	v_cmp_gt_i16_e64 vcc_lo, 0, v160
	; wave barrier
	s_delay_alu instid0(VALU_DEP_1) | instskip(NEXT) | instid1(VALU_DEP_1)
	v_cndmask_b32_e64 v61, 0x7fff, 0, vcc_lo
	v_xor_b32_e32 v160, v61, v160
	s_delay_alu instid0(VALU_DEP_1) | instskip(SKIP_1) | instid1(VALU_DEP_1)
	v_cmp_ne_u16_e64 vcc_lo, 0x8000, v160
	v_cndmask_b32_e32 v61, 0x7fff, v160, vcc_lo
	v_and_b32_e32 v61, 0xffff, v61
	s_delay_alu instid0(VALU_DEP_1) | instskip(NEXT) | instid1(VALU_DEP_1)
	v_lshrrev_b32_e32 v61, s48, v61
	v_bitop3_b32 v165, v61, 1, s52 bitop3:0x80
	v_and_b32_e32 v167, s52, v61
	s_delay_alu instid0(VALU_DEP_2) | instskip(NEXT) | instid1(VALU_DEP_1)
	v_add_co_u32 v61, s15, v165, -1
	v_cndmask_b32_e64 v165, 0, 1, s15
	s_delay_alu instid0(VALU_DEP_3) | instskip(NEXT) | instid1(VALU_DEP_2)
	v_dual_lshlrev_b32 v166, 30, v167 :: v_dual_lshlrev_b32 v169, 29, v167
	v_cmp_ne_u32_e32 vcc_lo, 0, v165
	s_delay_alu instid0(VALU_DEP_2) | instskip(SKIP_1) | instid1(VALU_DEP_4)
	v_cmp_gt_i32_e64 s15, 0, v166
	v_not_b32_e32 v165, v166
	v_not_b32_e32 v166, v169
	s_delay_alu instid0(VALU_DEP_1) | instskip(SKIP_3) | instid1(VALU_DEP_4)
	v_dual_ashrrev_i32 v166, 31, v166 :: v_dual_lshlrev_b32 v170, 28, v167
	v_dual_lshlrev_b32 v171, 27, v167 :: v_dual_lshlrev_b32 v172, 26, v167
	v_cmp_gt_i32_e64 s16, 0, v169
	v_dual_lshlrev_b32 v173, 25, v167 :: v_dual_lshlrev_b32 v174, 24, v167
	v_cmp_gt_i32_e64 s17, 0, v170
	v_not_b32_e32 v169, v170
	v_not_b32_e32 v170, v171
	v_ashrrev_i32_e32 v165, 31, v165
	v_cmp_gt_i32_e64 s18, 0, v171
	v_not_b32_e32 v171, v172
	v_xor_b32_e32 v61, vcc_lo, v61
	v_dual_ashrrev_i32 v169, 31, v169 :: v_dual_bitop2_b32 v166, s16, v166 bitop3:0x14
	v_dual_ashrrev_i32 v170, 31, v170 :: v_dual_bitop2_b32 v165, s15, v165 bitop3:0x14
	v_cmp_gt_i32_e64 s19, 0, v172
	v_cmp_gt_i32_e64 s20, 0, v173
	v_not_b32_e32 v172, v173
	v_not_b32_e32 v173, v174
	v_dual_ashrrev_i32 v171, 31, v171 :: v_dual_bitop2_b32 v169, s17, v169 bitop3:0x14
	v_bitop3_b32 v61, v61, v165, exec_lo bitop3:0x80
	v_cmp_gt_i32_e64 s21, 0, v174
	s_delay_alu instid0(VALU_DEP_4)
	v_dual_ashrrev_i32 v165, 31, v172 :: v_dual_ashrrev_i32 v172, 31, v173
	v_xor_b32_e32 v170, s18, v170
	v_xor_b32_e32 v171, s19, v171
	v_bitop3_b32 v61, v61, v169, v166 bitop3:0x80
	v_mad_u32_u24 v166, v167, 36, v23
	v_xor_b32_e32 v169, s20, v165
	v_xor_b32_e32 v172, s21, v172
	v_mul_u32_u24_e32 v167, 36, v167
	v_bitop3_b32 v61, v61, v171, v170 bitop3:0x80
	ds_load_b32 v165, v166 offset:1056
	; wave barrier
	v_add_nc_u32_e32 v167, v23, v167
	v_bitop3_b32 v61, v61, v172, v169 bitop3:0x80
	s_delay_alu instid0(VALU_DEP_1) | instskip(SKIP_1) | instid1(VALU_DEP_2)
	v_mbcnt_lo_u32_b32 v166, v61, 0
	v_cmp_ne_u32_e64 s15, 0, v61
	v_cmp_eq_u32_e32 vcc_lo, 0, v166
	s_and_b32 s16, s15, vcc_lo
	s_delay_alu instid0(SALU_CYCLE_1)
	s_and_saveexec_b32 s15, s16
	s_cbranch_execz .LBB1730_438
; %bb.437:                              ;   in Loop: Header=BB1730_388 Depth=2
	s_wait_dscnt 0x0
	v_bcnt_u32_b32 v61, v61, v165
	ds_store_b32 v167, v61 offset:1056
.LBB1730_438:                           ;   in Loop: Header=BB1730_388 Depth=2
	s_or_b32 exec_lo, exec_lo, s15
	v_cmp_gt_i16_e64 vcc_lo, 0, v164
	; wave barrier
	s_delay_alu instid0(VALU_DEP_1) | instskip(NEXT) | instid1(VALU_DEP_1)
	v_cndmask_b32_e64 v61, 0x7fff, 0, vcc_lo
	v_xor_b32_e32 v164, v61, v164
	s_delay_alu instid0(VALU_DEP_1) | instskip(SKIP_1) | instid1(VALU_DEP_1)
	v_cmp_ne_u16_e64 vcc_lo, 0x8000, v164
	v_cndmask_b32_e32 v61, 0x7fff, v164, vcc_lo
	v_and_b32_e32 v61, 0xffff, v61
	s_delay_alu instid0(VALU_DEP_1) | instskip(NEXT) | instid1(VALU_DEP_1)
	v_lshrrev_b32_e32 v61, s48, v61
	v_bitop3_b32 v169, v61, 1, s52 bitop3:0x80
	v_and_b32_e32 v171, s52, v61
	s_delay_alu instid0(VALU_DEP_2) | instskip(NEXT) | instid1(VALU_DEP_1)
	v_add_co_u32 v61, s15, v169, -1
	v_cndmask_b32_e64 v169, 0, 1, s15
	s_delay_alu instid0(VALU_DEP_3) | instskip(NEXT) | instid1(VALU_DEP_2)
	v_dual_lshlrev_b32 v170, 30, v171 :: v_dual_lshlrev_b32 v172, 29, v171
	v_cmp_ne_u32_e32 vcc_lo, 0, v169
	s_delay_alu instid0(VALU_DEP_2) | instskip(SKIP_1) | instid1(VALU_DEP_4)
	v_cmp_gt_i32_e64 s15, 0, v170
	v_not_b32_e32 v169, v170
	v_not_b32_e32 v170, v172
	s_delay_alu instid0(VALU_DEP_1) | instskip(SKIP_3) | instid1(VALU_DEP_4)
	v_dual_ashrrev_i32 v170, 31, v170 :: v_dual_lshlrev_b32 v173, 28, v171
	v_dual_lshlrev_b32 v174, 27, v171 :: v_dual_lshlrev_b32 v175, 26, v171
	v_dual_lshlrev_b32 v176, 25, v171 :: v_dual_lshlrev_b32 v177, 24, v171
	v_cmp_gt_i32_e64 s16, 0, v172
	v_not_b32_e32 v172, v173
	v_ashrrev_i32_e32 v169, 31, v169
	v_cmp_gt_i32_e64 s17, 0, v173
	v_cmp_gt_i32_e64 s18, 0, v174
	v_not_b32_e32 v173, v174
	v_cmp_gt_i32_e64 s19, 0, v175
	v_not_b32_e32 v174, v175
	;; [unrolled: 2-line block ×3, first 2 shown]
	v_not_b32_e32 v176, v177
	s_delay_alu instid0(VALU_DEP_4) | instskip(SKIP_3) | instid1(VALU_DEP_3)
	v_dual_ashrrev_i32 v174, 31, v174 :: v_dual_bitop2_b32 v61, vcc_lo, v61 bitop3:0x14
	v_dual_ashrrev_i32 v172, 31, v172 :: v_dual_bitop2_b32 v169, s15, v169 bitop3:0x14
	v_dual_ashrrev_i32 v173, 31, v173 :: v_dual_bitop2_b32 v170, s16, v170 bitop3:0x14
	v_cmp_gt_i32_e64 s21, 0, v177
	v_xor_b32_e32 v172, s17, v172
	s_delay_alu instid0(VALU_DEP_4) | instskip(SKIP_2) | instid1(VALU_DEP_3)
	v_bitop3_b32 v61, v61, v169, exec_lo bitop3:0x80
	v_dual_ashrrev_i32 v169, 31, v175 :: v_dual_ashrrev_i32 v175, 31, v176
	v_xor_b32_e32 v174, s19, v174
	v_bitop3_b32 v61, v61, v172, v170 bitop3:0x80
	v_mad_u32_u24 v170, v171, 36, v23
	v_mul_u32_u24_e32 v171, 36, v171
	v_xor_b32_e32 v173, s18, v173
	v_xor_b32_e32 v172, s20, v169
	;; [unrolled: 1-line block ×3, first 2 shown]
	ds_load_b32 v169, v170 offset:1056
	v_add_nc_u32_e32 v171, v23, v171
	v_bitop3_b32 v61, v61, v174, v173 bitop3:0x80
	; wave barrier
	s_delay_alu instid0(VALU_DEP_1) | instskip(NEXT) | instid1(VALU_DEP_1)
	v_bitop3_b32 v61, v61, v175, v172 bitop3:0x80
	v_mbcnt_lo_u32_b32 v170, v61, 0
	v_cmp_ne_u32_e64 s15, 0, v61
	s_delay_alu instid0(VALU_DEP_2) | instskip(SKIP_1) | instid1(SALU_CYCLE_1)
	v_cmp_eq_u32_e32 vcc_lo, 0, v170
	s_and_b32 s16, s15, vcc_lo
	s_and_saveexec_b32 s15, s16
	s_cbranch_execz .LBB1730_440
; %bb.439:                              ;   in Loop: Header=BB1730_388 Depth=2
	s_wait_dscnt 0x0
	v_bcnt_u32_b32 v61, v61, v169
	ds_store_b32 v171, v61 offset:1056
.LBB1730_440:                           ;   in Loop: Header=BB1730_388 Depth=2
	s_or_b32 exec_lo, exec_lo, s15
	v_cmp_gt_i16_e64 vcc_lo, 0, v168
	; wave barrier
	s_delay_alu instid0(VALU_DEP_1) | instskip(NEXT) | instid1(VALU_DEP_1)
	v_cndmask_b32_e64 v61, 0x7fff, 0, vcc_lo
	v_xor_b32_e32 v168, v61, v168
	s_delay_alu instid0(VALU_DEP_1) | instskip(SKIP_1) | instid1(VALU_DEP_1)
	v_cmp_ne_u16_e64 vcc_lo, 0x8000, v168
	v_cndmask_b32_e32 v61, 0x7fff, v168, vcc_lo
	v_and_b32_e32 v61, 0xffff, v61
	s_delay_alu instid0(VALU_DEP_1) | instskip(NEXT) | instid1(VALU_DEP_1)
	v_lshrrev_b32_e32 v61, s48, v61
	v_bitop3_b32 v172, v61, 1, s52 bitop3:0x80
	v_and_b32_e32 v175, s52, v61
	s_delay_alu instid0(VALU_DEP_2) | instskip(NEXT) | instid1(VALU_DEP_1)
	v_add_co_u32 v61, s15, v172, -1
	v_cndmask_b32_e64 v172, 0, 1, s15
	s_delay_alu instid0(VALU_DEP_3) | instskip(NEXT) | instid1(VALU_DEP_2)
	v_lshlrev_b32_e32 v173, 30, v175
	v_cmp_ne_u32_e32 vcc_lo, 0, v172
	s_delay_alu instid0(VALU_DEP_2) | instskip(NEXT) | instid1(VALU_DEP_1)
	v_not_b32_e32 v172, v173
	v_dual_ashrrev_i32 v172, 31, v172 :: v_dual_lshlrev_b32 v174, 29, v175
	v_dual_lshlrev_b32 v176, 28, v175 :: v_dual_lshlrev_b32 v177, 27, v175
	v_lshlrev_b32_e32 v178, 26, v175
	v_cmp_gt_i32_e64 s15, 0, v173
	s_delay_alu instid0(VALU_DEP_4)
	v_cmp_gt_i32_e64 s16, 0, v174
	v_not_b32_e32 v173, v174
	v_not_b32_e32 v174, v176
	v_dual_lshlrev_b32 v179, 25, v175 :: v_dual_lshlrev_b32 v180, 24, v175
	v_cmp_gt_i32_e64 s17, 0, v176
	v_cmp_gt_i32_e64 s18, 0, v177
	v_not_b32_e32 v176, v177
	v_not_b32_e32 v177, v178
	v_dual_ashrrev_i32 v174, 31, v174 :: v_dual_bitop2_b32 v61, vcc_lo, v61 bitop3:0x14
	v_dual_ashrrev_i32 v173, 31, v173 :: v_dual_bitop2_b32 v172, s15, v172 bitop3:0x14
	v_cmp_gt_i32_e64 s19, 0, v178
	v_cmp_gt_i32_e64 s20, 0, v179
	v_not_b32_e32 v178, v179
	v_not_b32_e32 v179, v180
	v_dual_ashrrev_i32 v176, 31, v176 :: v_dual_ashrrev_i32 v177, 31, v177
	v_xor_b32_e32 v173, s16, v173
	v_xor_b32_e32 v174, s17, v174
	v_bitop3_b32 v61, v61, v172, exec_lo bitop3:0x80
	v_cmp_gt_i32_e64 s21, 0, v180
	v_dual_ashrrev_i32 v172, 31, v178 :: v_dual_ashrrev_i32 v178, 31, v179
	v_xor_b32_e32 v176, s18, v176
	v_xor_b32_e32 v177, s19, v177
	v_bitop3_b32 v61, v61, v174, v173 bitop3:0x80
	v_mad_u32_u24 v173, v175, 36, v23
	v_xor_b32_e32 v172, s20, v172
	v_xor_b32_e32 v174, s21, v178
	s_delay_alu instid0(VALU_DEP_4) | instskip(SKIP_3) | instid1(VALU_DEP_2)
	v_bitop3_b32 v61, v61, v177, v176 bitop3:0x80
	ds_load_b32 v173, v173 offset:1056
	; wave barrier
	v_bitop3_b32 v61, v61, v174, v172 bitop3:0x80
	v_mul_u32_u24_e32 v172, 36, v175
	v_mbcnt_lo_u32_b32 v174, v61, 0
	v_cmp_ne_u32_e64 s15, 0, v61
	s_delay_alu instid0(VALU_DEP_3) | instskip(NEXT) | instid1(VALU_DEP_3)
	v_add_nc_u32_e32 v175, v23, v172
	v_cmp_eq_u32_e32 vcc_lo, 0, v174
	s_and_b32 s16, s15, vcc_lo
	s_delay_alu instid0(SALU_CYCLE_1)
	s_and_saveexec_b32 s15, s16
	s_cbranch_execz .LBB1730_442
; %bb.441:                              ;   in Loop: Header=BB1730_388 Depth=2
	s_wait_dscnt 0x0
	v_bcnt_u32_b32 v61, v61, v173
	ds_store_b32 v175, v61 offset:1056
.LBB1730_442:                           ;   in Loop: Header=BB1730_388 Depth=2
	s_or_b32 exec_lo, exec_lo, s15
	v_cmp_gt_i16_e32 vcc_lo, 0, v67
	; wave barrier
	v_cndmask_b32_e64 v61, 0x7fff, 0, vcc_lo
	s_delay_alu instid0(VALU_DEP_1) | instskip(NEXT) | instid1(VALU_DEP_1)
	v_xor_b32_e32 v172, v61, v67
	v_cmp_ne_u16_e64 vcc_lo, 0x8000, v172
	v_cndmask_b32_e32 v61, 0x7fff, v172, vcc_lo
	s_delay_alu instid0(VALU_DEP_1) | instskip(NEXT) | instid1(VALU_DEP_1)
	v_and_b32_e32 v61, 0xffff, v61
	v_lshrrev_b32_e32 v61, s48, v61
	s_delay_alu instid0(VALU_DEP_1) | instskip(SKIP_1) | instid1(VALU_DEP_2)
	v_bitop3_b32 v67, v61, 1, s52 bitop3:0x80
	v_and_b32_e32 v176, s52, v61
	v_add_co_u32 v61, s15, v67, -1
	s_delay_alu instid0(VALU_DEP_1) | instskip(NEXT) | instid1(VALU_DEP_3)
	v_cndmask_b32_e64 v67, 0, 1, s15
	v_lshlrev_b32_e32 v177, 30, v176
	s_delay_alu instid0(VALU_DEP_2) | instskip(NEXT) | instid1(VALU_DEP_2)
	v_cmp_ne_u32_e32 vcc_lo, 0, v67
	v_not_b32_e32 v67, v177
	s_delay_alu instid0(VALU_DEP_1) | instskip(SKIP_4) | instid1(VALU_DEP_4)
	v_dual_ashrrev_i32 v67, 31, v67 :: v_dual_bitop2_b32 v61, vcc_lo, v61 bitop3:0x14
	v_dual_lshlrev_b32 v178, 29, v176 :: v_dual_lshlrev_b32 v179, 28, v176
	v_dual_lshlrev_b32 v180, 27, v176 :: v_dual_lshlrev_b32 v181, 26, v176
	v_lshlrev_b32_e32 v182, 25, v176
	v_cmp_gt_i32_e64 s15, 0, v177
	v_cmp_gt_i32_e64 s16, 0, v178
	v_not_b32_e32 v177, v178
	v_not_b32_e32 v178, v179
	v_lshlrev_b32_e32 v183, 24, v176
	v_cmp_gt_i32_e64 s17, 0, v179
	v_cmp_gt_i32_e64 s18, 0, v180
	v_not_b32_e32 v179, v180
	v_not_b32_e32 v180, v181
	v_dual_ashrrev_i32 v177, 31, v177 :: v_dual_bitop2_b32 v67, s15, v67 bitop3:0x14
	v_ashrrev_i32_e32 v178, 31, v178
	v_cmp_gt_i32_e64 s19, 0, v181
	v_cmp_gt_i32_e64 s20, 0, v182
	v_not_b32_e32 v181, v182
	v_not_b32_e32 v182, v183
	v_dual_ashrrev_i32 v179, 31, v179 :: v_dual_ashrrev_i32 v180, 31, v180
	v_xor_b32_e32 v177, s16, v177
	v_xor_b32_e32 v178, s17, v178
	v_bitop3_b32 v61, v61, v67, exec_lo bitop3:0x80
	v_cmp_gt_i32_e64 s21, 0, v183
	v_dual_ashrrev_i32 v67, 31, v181 :: v_dual_ashrrev_i32 v181, 31, v182
	v_xor_b32_e32 v179, s18, v179
	v_xor_b32_e32 v180, s19, v180
	v_bitop3_b32 v61, v61, v178, v177 bitop3:0x80
	v_mad_u32_u24 v177, v176, 36, v23
	v_xor_b32_e32 v67, s20, v67
	v_xor_b32_e32 v178, s21, v181
	s_delay_alu instid0(VALU_DEP_4) | instskip(SKIP_3) | instid1(VALU_DEP_2)
	v_bitop3_b32 v61, v61, v180, v179 bitop3:0x80
	ds_load_b32 v177, v177 offset:1056
	; wave barrier
	v_bitop3_b32 v61, v61, v178, v67 bitop3:0x80
	v_mul_u32_u24_e32 v67, 36, v176
	v_mbcnt_lo_u32_b32 v178, v61, 0
	v_cmp_ne_u32_e64 s15, 0, v61
	s_delay_alu instid0(VALU_DEP_3) | instskip(NEXT) | instid1(VALU_DEP_3)
	v_add_nc_u32_e32 v179, v23, v67
	v_cmp_eq_u32_e32 vcc_lo, 0, v178
	s_and_b32 s16, s15, vcc_lo
	s_delay_alu instid0(SALU_CYCLE_1)
	s_and_saveexec_b32 s15, s16
	s_cbranch_execz .LBB1730_444
; %bb.443:                              ;   in Loop: Header=BB1730_388 Depth=2
	s_wait_dscnt 0x0
	v_bcnt_u32_b32 v61, v61, v177
	ds_store_b32 v179, v61 offset:1056
.LBB1730_444:                           ;   in Loop: Header=BB1730_388 Depth=2
	s_or_b32 exec_lo, exec_lo, s15
	v_cmp_gt_i16_e32 vcc_lo, 0, v66
	; wave barrier
	v_cndmask_b32_e64 v61, 0x7fff, 0, vcc_lo
	s_delay_alu instid0(VALU_DEP_1) | instskip(NEXT) | instid1(VALU_DEP_1)
	v_xor_b32_e32 v176, v61, v66
	v_cmp_ne_u16_e64 vcc_lo, 0x8000, v176
	v_cndmask_b32_e32 v61, 0x7fff, v176, vcc_lo
	s_delay_alu instid0(VALU_DEP_1) | instskip(NEXT) | instid1(VALU_DEP_1)
	v_and_b32_e32 v61, 0xffff, v61
	v_lshrrev_b32_e32 v61, s48, v61
	s_delay_alu instid0(VALU_DEP_1) | instskip(SKIP_1) | instid1(VALU_DEP_2)
	v_bitop3_b32 v66, v61, 1, s52 bitop3:0x80
	v_and_b32_e32 v67, s52, v61
	v_add_co_u32 v61, s15, v66, -1
	s_delay_alu instid0(VALU_DEP_1) | instskip(NEXT) | instid1(VALU_DEP_3)
	v_cndmask_b32_e64 v66, 0, 1, s15
	v_lshlrev_b32_e32 v180, 30, v67
	s_delay_alu instid0(VALU_DEP_2) | instskip(NEXT) | instid1(VALU_DEP_2)
	v_cmp_ne_u32_e32 vcc_lo, 0, v66
	v_not_b32_e32 v66, v180
	v_cmp_gt_i32_e64 s15, 0, v180
	s_delay_alu instid0(VALU_DEP_2) | instskip(SKIP_3) | instid1(VALU_DEP_4)
	v_dual_ashrrev_i32 v66, 31, v66 :: v_dual_lshlrev_b32 v181, 29, v67
	v_dual_lshlrev_b32 v182, 28, v67 :: v_dual_lshlrev_b32 v183, 27, v67
	v_dual_lshlrev_b32 v184, 26, v67 :: v_dual_lshlrev_b32 v185, 25, v67
	v_lshlrev_b32_e32 v186, 24, v67
	v_cmp_gt_i32_e64 s16, 0, v181
	v_not_b32_e32 v180, v181
	v_not_b32_e32 v181, v182
	v_cmp_gt_i32_e64 s17, 0, v182
	v_cmp_gt_i32_e64 s18, 0, v183
	v_not_b32_e32 v182, v183
	v_not_b32_e32 v183, v184
	v_dual_ashrrev_i32 v180, 31, v180 :: v_dual_bitop2_b32 v61, vcc_lo, v61 bitop3:0x14
	v_dual_ashrrev_i32 v181, 31, v181 :: v_dual_bitop2_b32 v66, s15, v66 bitop3:0x14
	v_cmp_gt_i32_e64 s19, 0, v184
	v_cmp_gt_i32_e64 s20, 0, v185
	v_not_b32_e32 v184, v185
	v_not_b32_e32 v185, v186
	v_dual_ashrrev_i32 v182, 31, v182 :: v_dual_ashrrev_i32 v183, 31, v183
	v_xor_b32_e32 v180, s16, v180
	v_xor_b32_e32 v181, s17, v181
	v_bitop3_b32 v61, v61, v66, exec_lo bitop3:0x80
	v_cmp_gt_i32_e64 s21, 0, v186
	v_dual_ashrrev_i32 v66, 31, v184 :: v_dual_ashrrev_i32 v184, 31, v185
	v_xor_b32_e32 v182, s18, v182
	v_xor_b32_e32 v183, s19, v183
	v_bitop3_b32 v61, v61, v181, v180 bitop3:0x80
	v_mad_u32_u24 v180, v67, 36, v23
	v_xor_b32_e32 v66, s20, v66
	v_xor_b32_e32 v184, s21, v184
	s_delay_alu instid0(VALU_DEP_4) | instskip(SKIP_3) | instid1(VALU_DEP_2)
	v_bitop3_b32 v61, v61, v183, v182 bitop3:0x80
	ds_load_b32 v181, v180 offset:1056
	; wave barrier
	v_bitop3_b32 v61, v61, v184, v66 bitop3:0x80
	v_mul_u32_u24_e32 v66, 36, v67
	v_mbcnt_lo_u32_b32 v182, v61, 0
	v_cmp_ne_u32_e64 s15, 0, v61
	s_delay_alu instid0(VALU_DEP_3) | instskip(NEXT) | instid1(VALU_DEP_3)
	v_add_nc_u32_e32 v183, v23, v66
	v_cmp_eq_u32_e32 vcc_lo, 0, v182
	s_and_b32 s16, s15, vcc_lo
	s_delay_alu instid0(SALU_CYCLE_1)
	s_and_saveexec_b32 s15, s16
	s_cbranch_execz .LBB1730_446
; %bb.445:                              ;   in Loop: Header=BB1730_388 Depth=2
	s_wait_dscnt 0x0
	v_bcnt_u32_b32 v61, v61, v181
	ds_store_b32 v183, v61 offset:1056
.LBB1730_446:                           ;   in Loop: Header=BB1730_388 Depth=2
	s_or_b32 exec_lo, exec_lo, s15
	v_cmp_gt_i16_e32 vcc_lo, 0, v65
	; wave barrier
	v_cndmask_b32_e64 v61, 0x7fff, 0, vcc_lo
	s_delay_alu instid0(VALU_DEP_1) | instskip(NEXT) | instid1(VALU_DEP_1)
	v_xor_b32_e32 v180, v61, v65
	v_cmp_ne_u16_e64 vcc_lo, 0x8000, v180
	v_cndmask_b32_e32 v61, 0x7fff, v180, vcc_lo
	s_delay_alu instid0(VALU_DEP_1) | instskip(NEXT) | instid1(VALU_DEP_1)
	v_and_b32_e32 v61, 0xffff, v61
	v_lshrrev_b32_e32 v61, s48, v61
	s_delay_alu instid0(VALU_DEP_1) | instskip(NEXT) | instid1(VALU_DEP_1)
	v_and_b32_e32 v66, s52, v61
	v_lshlrev_b32_e32 v185, 28, v66
	v_bitop3_b32 v65, v61, 1, s52 bitop3:0x80
	v_dual_lshlrev_b32 v67, 30, v66 :: v_dual_lshlrev_b32 v184, 29, v66
	s_delay_alu instid0(VALU_DEP_3) | instskip(NEXT) | instid1(VALU_DEP_3)
	v_cmp_gt_i32_e64 s17, 0, v185
	v_add_co_u32 v61, s15, v65, -1
	s_delay_alu instid0(VALU_DEP_1) | instskip(NEXT) | instid1(VALU_DEP_4)
	v_cndmask_b32_e64 v65, 0, 1, s15
	v_cmp_gt_i32_e64 s15, 0, v67
	v_cmp_gt_i32_e64 s16, 0, v184
	s_delay_alu instid0(VALU_DEP_3) | instskip(SKIP_3) | instid1(VALU_DEP_2)
	v_cmp_ne_u32_e32 vcc_lo, 0, v65
	v_not_b32_e32 v65, v67
	v_not_b32_e32 v67, v184
	;; [unrolled: 1-line block ×3, first 2 shown]
	v_dual_ashrrev_i32 v65, 31, v65 :: v_dual_ashrrev_i32 v67, 31, v67
	v_dual_lshlrev_b32 v186, 27, v66 :: v_dual_lshlrev_b32 v187, 26, v66
	v_dual_lshlrev_b32 v188, 25, v66 :: v_dual_lshlrev_b32 v189, 24, v66
	s_delay_alu instid0(VALU_DEP_4) | instskip(NEXT) | instid1(VALU_DEP_3)
	v_ashrrev_i32_e32 v184, 31, v184
	v_cmp_gt_i32_e64 s18, 0, v186
	v_not_b32_e32 v185, v186
	v_cmp_gt_i32_e64 s19, 0, v187
	v_not_b32_e32 v186, v187
	;; [unrolled: 2-line block ×3, first 2 shown]
	v_not_b32_e32 v188, v189
	s_delay_alu instid0(VALU_DEP_4) | instskip(SKIP_4) | instid1(VALU_DEP_4)
	v_dual_ashrrev_i32 v186, 31, v186 :: v_dual_bitop2_b32 v61, vcc_lo, v61 bitop3:0x14
	v_xor_b32_e32 v65, s15, v65
	v_dual_ashrrev_i32 v185, 31, v185 :: v_dual_bitop2_b32 v67, s16, v67 bitop3:0x14
	v_xor_b32_e32 v184, s17, v184
	v_cmp_gt_i32_e64 s21, 0, v189
	v_bitop3_b32 v61, v61, v65, exec_lo bitop3:0x80
	v_dual_ashrrev_i32 v65, 31, v187 :: v_dual_ashrrev_i32 v187, 31, v188
	v_xor_b32_e32 v185, s18, v185
	v_xor_b32_e32 v186, s19, v186
	s_delay_alu instid0(VALU_DEP_4) | instskip(SKIP_3) | instid1(VALU_DEP_4)
	v_bitop3_b32 v61, v61, v184, v67 bitop3:0x80
	v_mad_u32_u24 v67, v66, 36, v23
	v_xor_b32_e32 v65, s20, v65
	v_xor_b32_e32 v184, s21, v187
	v_bitop3_b32 v61, v61, v186, v185 bitop3:0x80
	ds_load_b32 v185, v67 offset:1056
	; wave barrier
	v_bitop3_b32 v61, v61, v184, v65 bitop3:0x80
	v_mul_u32_u24_e32 v65, 36, v66
	s_delay_alu instid0(VALU_DEP_2) | instskip(SKIP_1) | instid1(VALU_DEP_3)
	v_mbcnt_lo_u32_b32 v186, v61, 0
	v_cmp_ne_u32_e64 s15, 0, v61
	v_add_nc_u32_e32 v187, v23, v65
	s_delay_alu instid0(VALU_DEP_3) | instskip(SKIP_1) | instid1(SALU_CYCLE_1)
	v_cmp_eq_u32_e32 vcc_lo, 0, v186
	s_and_b32 s16, s15, vcc_lo
	s_and_saveexec_b32 s15, s16
	s_cbranch_execz .LBB1730_448
; %bb.447:                              ;   in Loop: Header=BB1730_388 Depth=2
	s_wait_dscnt 0x0
	v_bcnt_u32_b32 v61, v61, v185
	ds_store_b32 v187, v61 offset:1056
.LBB1730_448:                           ;   in Loop: Header=BB1730_388 Depth=2
	s_or_b32 exec_lo, exec_lo, s15
	v_cmp_gt_i16_e32 vcc_lo, 0, v64
	; wave barrier
	v_cndmask_b32_e64 v61, 0x7fff, 0, vcc_lo
	s_delay_alu instid0(VALU_DEP_1) | instskip(NEXT) | instid1(VALU_DEP_1)
	v_xor_b32_e32 v184, v61, v64
	v_cmp_ne_u16_e64 vcc_lo, 0x8000, v184
	v_cndmask_b32_e32 v61, 0x7fff, v184, vcc_lo
	s_delay_alu instid0(VALU_DEP_1) | instskip(NEXT) | instid1(VALU_DEP_1)
	v_and_b32_e32 v61, 0xffff, v61
	v_lshrrev_b32_e32 v61, s48, v61
	s_delay_alu instid0(VALU_DEP_1) | instskip(SKIP_1) | instid1(VALU_DEP_2)
	v_bitop3_b32 v64, v61, 1, s52 bitop3:0x80
	v_and_b32_e32 v65, s52, v61
	v_add_co_u32 v61, s15, v64, -1
	s_delay_alu instid0(VALU_DEP_1) | instskip(NEXT) | instid1(VALU_DEP_3)
	v_cndmask_b32_e64 v64, 0, 1, s15
	v_lshlrev_b32_e32 v66, 30, v65
	s_delay_alu instid0(VALU_DEP_2) | instskip(NEXT) | instid1(VALU_DEP_2)
	v_cmp_ne_u32_e32 vcc_lo, 0, v64
	v_not_b32_e32 v64, v66
	v_cmp_gt_i32_e64 s15, 0, v66
	s_delay_alu instid0(VALU_DEP_2) | instskip(SKIP_3) | instid1(VALU_DEP_4)
	v_dual_ashrrev_i32 v64, 31, v64 :: v_dual_lshlrev_b32 v67, 29, v65
	v_dual_lshlrev_b32 v188, 28, v65 :: v_dual_lshlrev_b32 v189, 27, v65
	v_dual_lshlrev_b32 v190, 26, v65 :: v_dual_lshlrev_b32 v191, 25, v65
	v_lshlrev_b32_e32 v192, 24, v65
	v_cmp_gt_i32_e64 s16, 0, v67
	v_not_b32_e32 v66, v67
	v_not_b32_e32 v67, v188
	v_cmp_gt_i32_e64 s17, 0, v188
	v_cmp_gt_i32_e64 s18, 0, v189
	v_not_b32_e32 v188, v189
	v_not_b32_e32 v189, v190
	v_dual_ashrrev_i32 v66, 31, v66 :: v_dual_bitop2_b32 v61, vcc_lo, v61 bitop3:0x14
	v_dual_ashrrev_i32 v67, 31, v67 :: v_dual_bitop2_b32 v64, s15, v64 bitop3:0x14
	v_cmp_gt_i32_e64 s19, 0, v190
	v_cmp_gt_i32_e64 s20, 0, v191
	v_not_b32_e32 v190, v191
	v_not_b32_e32 v191, v192
	v_dual_ashrrev_i32 v188, 31, v188 :: v_dual_ashrrev_i32 v189, 31, v189
	v_xor_b32_e32 v66, s16, v66
	v_xor_b32_e32 v67, s17, v67
	v_bitop3_b32 v61, v61, v64, exec_lo bitop3:0x80
	v_cmp_gt_i32_e64 s21, 0, v192
	v_dual_ashrrev_i32 v64, 31, v190 :: v_dual_ashrrev_i32 v190, 31, v191
	v_xor_b32_e32 v188, s18, v188
	v_xor_b32_e32 v189, s19, v189
	v_bitop3_b32 v61, v61, v67, v66 bitop3:0x80
	v_mad_u32_u24 v66, v65, 36, v23
	v_xor_b32_e32 v64, s20, v64
	v_xor_b32_e32 v67, s21, v190
	s_delay_alu instid0(VALU_DEP_4) | instskip(SKIP_3) | instid1(VALU_DEP_2)
	v_bitop3_b32 v61, v61, v189, v188 bitop3:0x80
	ds_load_b32 v189, v66 offset:1056
	; wave barrier
	v_bitop3_b32 v61, v61, v67, v64 bitop3:0x80
	v_mul_u32_u24_e32 v64, 36, v65
	v_mbcnt_lo_u32_b32 v190, v61, 0
	v_cmp_ne_u32_e64 s15, 0, v61
	s_delay_alu instid0(VALU_DEP_3) | instskip(NEXT) | instid1(VALU_DEP_3)
	v_add_nc_u32_e32 v191, v23, v64
	v_cmp_eq_u32_e32 vcc_lo, 0, v190
	s_and_b32 s16, s15, vcc_lo
	s_delay_alu instid0(SALU_CYCLE_1)
	s_and_saveexec_b32 s15, s16
	s_cbranch_execz .LBB1730_450
; %bb.449:                              ;   in Loop: Header=BB1730_388 Depth=2
	s_wait_dscnt 0x0
	v_bcnt_u32_b32 v61, v61, v189
	ds_store_b32 v191, v61 offset:1056
.LBB1730_450:                           ;   in Loop: Header=BB1730_388 Depth=2
	s_or_b32 exec_lo, exec_lo, s15
	v_cmp_gt_i16_e32 vcc_lo, 0, v63
	; wave barrier
	v_cndmask_b32_e64 v61, 0x7fff, 0, vcc_lo
	s_delay_alu instid0(VALU_DEP_1) | instskip(NEXT) | instid1(VALU_DEP_1)
	v_xor_b32_e32 v188, v61, v63
	v_cmp_ne_u16_e64 vcc_lo, 0x8000, v188
	v_cndmask_b32_e32 v61, 0x7fff, v188, vcc_lo
	s_delay_alu instid0(VALU_DEP_1) | instskip(NEXT) | instid1(VALU_DEP_1)
	v_and_b32_e32 v61, 0xffff, v61
	v_lshrrev_b32_e32 v61, s48, v61
	s_delay_alu instid0(VALU_DEP_1) | instskip(SKIP_1) | instid1(VALU_DEP_2)
	v_bitop3_b32 v63, v61, 1, s52 bitop3:0x80
	v_and_b32_e32 v64, s52, v61
	v_add_co_u32 v61, s15, v63, -1
	s_delay_alu instid0(VALU_DEP_1) | instskip(NEXT) | instid1(VALU_DEP_3)
	v_cndmask_b32_e64 v63, 0, 1, s15
	v_lshlrev_b32_e32 v65, 30, v64
	s_delay_alu instid0(VALU_DEP_2) | instskip(NEXT) | instid1(VALU_DEP_2)
	v_cmp_ne_u32_e32 vcc_lo, 0, v63
	v_not_b32_e32 v63, v65
	s_delay_alu instid0(VALU_DEP_1) | instskip(SKIP_4) | instid1(VALU_DEP_4)
	v_dual_ashrrev_i32 v63, 31, v63 :: v_dual_bitop2_b32 v61, vcc_lo, v61 bitop3:0x14
	v_dual_lshlrev_b32 v66, 29, v64 :: v_dual_lshlrev_b32 v67, 28, v64
	v_dual_lshlrev_b32 v192, 27, v64 :: v_dual_lshlrev_b32 v193, 26, v64
	v_lshlrev_b32_e32 v194, 25, v64
	v_cmp_gt_i32_e64 s15, 0, v65
	v_cmp_gt_i32_e64 s16, 0, v66
	v_not_b32_e32 v65, v66
	v_not_b32_e32 v66, v67
	v_lshlrev_b32_e32 v195, 24, v64
	v_cmp_gt_i32_e64 s17, 0, v67
	v_cmp_gt_i32_e64 s18, 0, v192
	v_not_b32_e32 v67, v192
	v_not_b32_e32 v192, v193
	v_dual_ashrrev_i32 v65, 31, v65 :: v_dual_bitop2_b32 v63, s15, v63 bitop3:0x14
	v_ashrrev_i32_e32 v66, 31, v66
	v_cmp_gt_i32_e64 s19, 0, v193
	v_cmp_gt_i32_e64 s20, 0, v194
	v_not_b32_e32 v193, v194
	v_not_b32_e32 v194, v195
	v_dual_ashrrev_i32 v67, 31, v67 :: v_dual_ashrrev_i32 v192, 31, v192
	v_xor_b32_e32 v65, s16, v65
	v_xor_b32_e32 v66, s17, v66
	v_bitop3_b32 v61, v61, v63, exec_lo bitop3:0x80
	v_cmp_gt_i32_e64 s21, 0, v195
	v_dual_ashrrev_i32 v63, 31, v193 :: v_dual_ashrrev_i32 v193, 31, v194
	v_xor_b32_e32 v67, s18, v67
	v_xor_b32_e32 v192, s19, v192
	v_bitop3_b32 v61, v61, v66, v65 bitop3:0x80
	v_mad_u32_u24 v65, v64, 36, v23
	v_xor_b32_e32 v63, s20, v63
	v_xor_b32_e32 v66, s21, v193
	s_delay_alu instid0(VALU_DEP_4) | instskip(SKIP_3) | instid1(VALU_DEP_2)
	v_bitop3_b32 v61, v61, v192, v67 bitop3:0x80
	ds_load_b32 v193, v65 offset:1056
	; wave barrier
	v_bitop3_b32 v61, v61, v66, v63 bitop3:0x80
	v_mul_u32_u24_e32 v63, 36, v64
	v_mbcnt_lo_u32_b32 v194, v61, 0
	v_cmp_ne_u32_e64 s15, 0, v61
	s_delay_alu instid0(VALU_DEP_3) | instskip(NEXT) | instid1(VALU_DEP_3)
	v_add_nc_u32_e32 v195, v23, v63
	v_cmp_eq_u32_e32 vcc_lo, 0, v194
	s_and_b32 s16, s15, vcc_lo
	s_delay_alu instid0(SALU_CYCLE_1)
	s_and_saveexec_b32 s15, s16
	s_cbranch_execz .LBB1730_452
; %bb.451:                              ;   in Loop: Header=BB1730_388 Depth=2
	s_wait_dscnt 0x0
	v_bcnt_u32_b32 v61, v61, v193
	ds_store_b32 v195, v61 offset:1056
.LBB1730_452:                           ;   in Loop: Header=BB1730_388 Depth=2
	s_or_b32 exec_lo, exec_lo, s15
	v_cmp_gt_i16_e32 vcc_lo, 0, v62
	; wave barrier
	v_cndmask_b32_e64 v61, 0x7fff, 0, vcc_lo
	s_delay_alu instid0(VALU_DEP_1) | instskip(NEXT) | instid1(VALU_DEP_1)
	v_xor_b32_e32 v192, v61, v62
	v_cmp_ne_u16_e64 vcc_lo, 0x8000, v192
	v_cndmask_b32_e32 v61, 0x7fff, v192, vcc_lo
	s_delay_alu instid0(VALU_DEP_1) | instskip(NEXT) | instid1(VALU_DEP_1)
	v_and_b32_e32 v61, 0xffff, v61
	v_lshrrev_b32_e32 v61, s48, v61
	s_delay_alu instid0(VALU_DEP_1) | instskip(SKIP_1) | instid1(VALU_DEP_2)
	v_bitop3_b32 v62, v61, 1, s52 bitop3:0x80
	v_and_b32_e32 v63, s52, v61
	v_add_co_u32 v61, s15, v62, -1
	s_delay_alu instid0(VALU_DEP_1) | instskip(NEXT) | instid1(VALU_DEP_3)
	v_cndmask_b32_e64 v62, 0, 1, s15
	v_lshlrev_b32_e32 v64, 30, v63
	s_delay_alu instid0(VALU_DEP_2) | instskip(NEXT) | instid1(VALU_DEP_2)
	v_cmp_ne_u32_e32 vcc_lo, 0, v62
	v_not_b32_e32 v62, v64
	v_cmp_gt_i32_e64 s15, 0, v64
	s_delay_alu instid0(VALU_DEP_2) | instskip(SKIP_3) | instid1(VALU_DEP_4)
	v_dual_ashrrev_i32 v62, 31, v62 :: v_dual_lshlrev_b32 v65, 29, v63
	v_dual_lshlrev_b32 v66, 28, v63 :: v_dual_lshlrev_b32 v67, 27, v63
	v_dual_lshlrev_b32 v196, 26, v63 :: v_dual_lshlrev_b32 v197, 25, v63
	v_lshlrev_b32_e32 v198, 24, v63
	v_cmp_gt_i32_e64 s16, 0, v65
	v_not_b32_e32 v64, v65
	v_not_b32_e32 v65, v66
	v_cmp_gt_i32_e64 s17, 0, v66
	v_cmp_gt_i32_e64 s18, 0, v67
	v_not_b32_e32 v66, v67
	v_not_b32_e32 v67, v196
	v_dual_ashrrev_i32 v64, 31, v64 :: v_dual_bitop2_b32 v61, vcc_lo, v61 bitop3:0x14
	v_dual_ashrrev_i32 v65, 31, v65 :: v_dual_bitop2_b32 v62, s15, v62 bitop3:0x14
	v_cmp_gt_i32_e64 s19, 0, v196
	v_cmp_gt_i32_e64 s20, 0, v197
	v_not_b32_e32 v196, v197
	v_not_b32_e32 v197, v198
	v_dual_ashrrev_i32 v66, 31, v66 :: v_dual_ashrrev_i32 v67, 31, v67
	v_xor_b32_e32 v64, s16, v64
	v_xor_b32_e32 v65, s17, v65
	v_bitop3_b32 v61, v61, v62, exec_lo bitop3:0x80
	v_cmp_gt_i32_e64 s21, 0, v198
	v_dual_ashrrev_i32 v62, 31, v196 :: v_dual_ashrrev_i32 v196, 31, v197
	v_xor_b32_e32 v66, s18, v66
	v_xor_b32_e32 v67, s19, v67
	v_bitop3_b32 v61, v61, v65, v64 bitop3:0x80
	v_mad_u32_u24 v64, v63, 36, v23
	v_xor_b32_e32 v62, s20, v62
	v_xor_b32_e32 v65, s21, v196
	s_delay_alu instid0(VALU_DEP_4) | instskip(SKIP_3) | instid1(VALU_DEP_2)
	v_bitop3_b32 v61, v61, v67, v66 bitop3:0x80
	ds_load_b32 v197, v64 offset:1056
	; wave barrier
	v_bitop3_b32 v61, v61, v65, v62 bitop3:0x80
	v_mul_u32_u24_e32 v62, 36, v63
	v_mbcnt_lo_u32_b32 v198, v61, 0
	v_cmp_ne_u32_e64 s15, 0, v61
	s_delay_alu instid0(VALU_DEP_3) | instskip(NEXT) | instid1(VALU_DEP_3)
	v_add_nc_u32_e32 v199, v23, v62
	v_cmp_eq_u32_e32 vcc_lo, 0, v198
	s_and_b32 s16, s15, vcc_lo
	s_delay_alu instid0(SALU_CYCLE_1)
	s_and_saveexec_b32 s15, s16
	s_cbranch_execz .LBB1730_454
; %bb.453:                              ;   in Loop: Header=BB1730_388 Depth=2
	s_wait_dscnt 0x0
	v_bcnt_u32_b32 v61, v61, v197
	ds_store_b32 v199, v61 offset:1056
.LBB1730_454:                           ;   in Loop: Header=BB1730_388 Depth=2
	s_or_b32 exec_lo, exec_lo, s15
	v_cmp_gt_i16_e32 vcc_lo, 0, v60
	; wave barrier
	v_cndmask_b32_e64 v61, 0x7fff, 0, vcc_lo
	s_delay_alu instid0(VALU_DEP_1) | instskip(NEXT) | instid1(VALU_DEP_1)
	v_xor_b32_e32 v196, v61, v60
	v_cmp_ne_u16_e64 vcc_lo, 0x8000, v196
	v_cndmask_b32_e32 v60, 0x7fff, v196, vcc_lo
	s_delay_alu instid0(VALU_DEP_1) | instskip(NEXT) | instid1(VALU_DEP_1)
	v_and_b32_e32 v60, 0xffff, v60
	v_lshrrev_b32_e32 v60, s48, v60
	s_delay_alu instid0(VALU_DEP_1) | instskip(SKIP_1) | instid1(VALU_DEP_2)
	v_bitop3_b32 v61, v60, 1, s52 bitop3:0x80
	v_and_b32_e32 v62, s52, v60
	v_add_co_u32 v60, s15, v61, -1
	s_delay_alu instid0(VALU_DEP_1) | instskip(NEXT) | instid1(VALU_DEP_3)
	v_cndmask_b32_e64 v61, 0, 1, s15
	v_lshlrev_b32_e32 v63, 30, v62
	s_delay_alu instid0(VALU_DEP_2) | instskip(NEXT) | instid1(VALU_DEP_2)
	v_cmp_ne_u32_e32 vcc_lo, 0, v61
	v_not_b32_e32 v61, v63
	v_cmp_gt_i32_e64 s15, 0, v63
	s_delay_alu instid0(VALU_DEP_2) | instskip(SKIP_3) | instid1(VALU_DEP_4)
	v_dual_ashrrev_i32 v61, 31, v61 :: v_dual_lshlrev_b32 v64, 29, v62
	v_dual_lshlrev_b32 v65, 28, v62 :: v_dual_lshlrev_b32 v66, 27, v62
	v_dual_lshlrev_b32 v67, 26, v62 :: v_dual_lshlrev_b32 v200, 25, v62
	v_lshlrev_b32_e32 v201, 24, v62
	v_cmp_gt_i32_e64 s16, 0, v64
	v_not_b32_e32 v63, v64
	v_not_b32_e32 v64, v65
	v_cmp_gt_i32_e64 s17, 0, v65
	v_cmp_gt_i32_e64 s18, 0, v66
	v_not_b32_e32 v65, v66
	v_not_b32_e32 v66, v67
	v_dual_ashrrev_i32 v63, 31, v63 :: v_dual_bitop2_b32 v60, vcc_lo, v60 bitop3:0x14
	v_dual_ashrrev_i32 v64, 31, v64 :: v_dual_bitop2_b32 v61, s15, v61 bitop3:0x14
	v_cmp_gt_i32_e64 s19, 0, v67
	v_cmp_gt_i32_e64 s20, 0, v200
	v_not_b32_e32 v67, v200
	v_not_b32_e32 v200, v201
	v_dual_ashrrev_i32 v65, 31, v65 :: v_dual_ashrrev_i32 v66, 31, v66
	v_xor_b32_e32 v63, s16, v63
	v_xor_b32_e32 v64, s17, v64
	v_bitop3_b32 v60, v60, v61, exec_lo bitop3:0x80
	v_cmp_gt_i32_e64 s21, 0, v201
	v_dual_ashrrev_i32 v61, 31, v67 :: v_dual_ashrrev_i32 v67, 31, v200
	v_xor_b32_e32 v65, s18, v65
	v_xor_b32_e32 v66, s19, v66
	v_bitop3_b32 v60, v60, v64, v63 bitop3:0x80
	v_mad_u32_u24 v63, v62, 36, v23
	v_xor_b32_e32 v61, s20, v61
	v_xor_b32_e32 v64, s21, v67
	s_delay_alu instid0(VALU_DEP_4) | instskip(SKIP_3) | instid1(VALU_DEP_2)
	v_bitop3_b32 v60, v60, v66, v65 bitop3:0x80
	ds_load_b32 v200, v63 offset:1056
	; wave barrier
	v_bitop3_b32 v60, v60, v64, v61 bitop3:0x80
	v_mul_u32_u24_e32 v61, 36, v62
	v_mbcnt_lo_u32_b32 v201, v60, 0
	v_cmp_ne_u32_e64 s15, 0, v60
	s_delay_alu instid0(VALU_DEP_3) | instskip(NEXT) | instid1(VALU_DEP_3)
	v_add_nc_u32_e32 v202, v23, v61
	v_cmp_eq_u32_e32 vcc_lo, 0, v201
	s_and_b32 s16, s15, vcc_lo
	s_delay_alu instid0(SALU_CYCLE_1)
	s_and_saveexec_b32 s15, s16
	s_cbranch_execz .LBB1730_456
; %bb.455:                              ;   in Loop: Header=BB1730_388 Depth=2
	s_wait_dscnt 0x0
	v_bcnt_u32_b32 v60, v60, v200
	ds_store_b32 v202, v60 offset:1056
.LBB1730_456:                           ;   in Loop: Header=BB1730_388 Depth=2
	s_or_b32 exec_lo, exec_lo, s15
	; wave barrier
	s_wait_dscnt 0x0
	s_barrier_signal -1
	s_barrier_wait -1
	ds_load_2addr_b32 v[66:67], v118 offset1:1
	ds_load_2addr_b32 v[64:65], v119 offset1:1
	;; [unrolled: 1-line block ×4, first 2 shown]
	ds_load_b32 v203, v91 offset:1088
	s_wait_dscnt 0x3
	v_add3_u32 v204, v67, v66, v64
	s_wait_dscnt 0x2
	s_delay_alu instid0(VALU_DEP_1) | instskip(SKIP_1) | instid1(VALU_DEP_1)
	v_add3_u32 v204, v204, v65, v62
	s_wait_dscnt 0x1
	v_add3_u32 v204, v204, v63, v60
	s_wait_dscnt 0x0
	s_delay_alu instid0(VALU_DEP_1) | instskip(NEXT) | instid1(VALU_DEP_1)
	v_add3_u32 v203, v204, v61, v203
	v_mov_b32_dpp v204, v203 row_shr:1 row_mask:0xf bank_mask:0xf
	s_delay_alu instid0(VALU_DEP_1) | instskip(NEXT) | instid1(VALU_DEP_1)
	v_cndmask_b32_e64 v204, v204, 0, s7
	v_add_nc_u32_e32 v203, v204, v203
	s_delay_alu instid0(VALU_DEP_1) | instskip(NEXT) | instid1(VALU_DEP_1)
	v_mov_b32_dpp v204, v203 row_shr:2 row_mask:0xf bank_mask:0xf
	v_cndmask_b32_e64 v204, 0, v204, s8
	s_delay_alu instid0(VALU_DEP_1) | instskip(NEXT) | instid1(VALU_DEP_1)
	v_add_nc_u32_e32 v203, v203, v204
	v_mov_b32_dpp v204, v203 row_shr:4 row_mask:0xf bank_mask:0xf
	s_delay_alu instid0(VALU_DEP_1) | instskip(NEXT) | instid1(VALU_DEP_1)
	v_cndmask_b32_e64 v204, 0, v204, s9
	v_add_nc_u32_e32 v203, v203, v204
	s_delay_alu instid0(VALU_DEP_1) | instskip(NEXT) | instid1(VALU_DEP_1)
	v_mov_b32_dpp v204, v203 row_shr:8 row_mask:0xf bank_mask:0xf
	v_cndmask_b32_e64 v204, 0, v204, s10
	s_delay_alu instid0(VALU_DEP_1) | instskip(SKIP_3) | instid1(VALU_DEP_1)
	v_add_nc_u32_e32 v203, v203, v204
	ds_swizzle_b32 v204, v203 offset:swizzle(BROADCAST,32,15)
	s_wait_dscnt 0x0
	v_cndmask_b32_e64 v204, v204, 0, s11
	v_add_nc_u32_e32 v203, v203, v204
	s_and_saveexec_b32 s15, s1
; %bb.457:                              ;   in Loop: Header=BB1730_388 Depth=2
	ds_store_b32 v84, v203 offset:1024
; %bb.458:                              ;   in Loop: Header=BB1730_388 Depth=2
	s_or_b32 exec_lo, exec_lo, s15
	s_wait_dscnt 0x0
	s_barrier_signal -1
	s_barrier_wait -1
	s_and_saveexec_b32 s15, s4
	s_cbranch_execz .LBB1730_460
; %bb.459:                              ;   in Loop: Header=BB1730_388 Depth=2
	ds_load_b32 v204, v92 offset:1024
	s_wait_dscnt 0x0
	v_mov_b32_dpp v205, v204 row_shr:1 row_mask:0xf bank_mask:0xf
	s_delay_alu instid0(VALU_DEP_1) | instskip(NEXT) | instid1(VALU_DEP_1)
	v_cndmask_b32_e64 v205, v205, 0, s12
	v_add_nc_u32_e32 v204, v205, v204
	s_delay_alu instid0(VALU_DEP_1) | instskip(NEXT) | instid1(VALU_DEP_1)
	v_mov_b32_dpp v205, v204 row_shr:2 row_mask:0xf bank_mask:0xf
	v_cndmask_b32_e64 v205, 0, v205, s13
	s_delay_alu instid0(VALU_DEP_1) | instskip(NEXT) | instid1(VALU_DEP_1)
	v_add_nc_u32_e32 v204, v204, v205
	v_mov_b32_dpp v205, v204 row_shr:4 row_mask:0xf bank_mask:0xf
	s_delay_alu instid0(VALU_DEP_1) | instskip(NEXT) | instid1(VALU_DEP_1)
	v_cndmask_b32_e64 v205, 0, v205, s14
	v_add_nc_u32_e32 v204, v204, v205
	ds_store_b32 v92, v204 offset:1024
.LBB1730_460:                           ;   in Loop: Header=BB1730_388 Depth=2
	s_or_b32 exec_lo, exec_lo, s15
	v_mov_b32_e32 v204, 0
	s_wait_dscnt 0x0
	s_barrier_signal -1
	s_barrier_wait -1
	s_and_saveexec_b32 s15, s5
; %bb.461:                              ;   in Loop: Header=BB1730_388 Depth=2
	ds_load_b32 v204, v84 offset:1020
; %bb.462:                              ;   in Loop: Header=BB1730_388 Depth=2
	s_or_b32 exec_lo, exec_lo, s15
	s_wait_dscnt 0x0
	v_add_nc_u32_e32 v203, v204, v203
	ds_bpermute_b32 v203, v122, v203
	s_wait_dscnt 0x0
	v_cndmask_b32_e64 v203, v203, v204, s6
	s_delay_alu instid0(VALU_DEP_1) | instskip(NEXT) | instid1(VALU_DEP_1)
	v_cndmask_b32_e64 v203, v203, 0, s2
	v_add_nc_u32_e32 v66, v203, v66
	s_delay_alu instid0(VALU_DEP_1) | instskip(NEXT) | instid1(VALU_DEP_1)
	v_add_nc_u32_e32 v67, v66, v67
	v_add_nc_u32_e32 v64, v67, v64
	s_delay_alu instid0(VALU_DEP_1) | instskip(NEXT) | instid1(VALU_DEP_1)
	v_add_nc_u32_e32 v65, v64, v65
	;; [unrolled: 3-line block ×3, first 2 shown]
	v_add_nc_u32_e32 v60, v63, v60
	s_delay_alu instid0(VALU_DEP_1)
	v_add_nc_u32_e32 v61, v60, v61
	ds_store_2addr_b32 v121, v63, v60 offset1:1
	ds_store_2addr_b32 v118, v203, v66 offset1:1
	;; [unrolled: 1-line block ×4, first 2 shown]
	ds_store_b32 v91, v61 offset:1088
	s_wait_dscnt 0x0
	s_barrier_signal -1
	s_barrier_wait -1
	ds_load_b32 v63, v143 offset:1056
	ds_load_b32 v65, v147 offset:1056
	;; [unrolled: 1-line block ×17, first 2 shown]
	v_mov_b32_e32 v62, 0x1000
	s_and_saveexec_b32 s15, s3
; %bb.463:                              ;   in Loop: Header=BB1730_388 Depth=2
	ds_load_b32 v62, v91 offset:1092
; %bb.464:                              ;   in Loop: Header=BB1730_388 Depth=2
	s_or_b32 exec_lo, exec_lo, s15
	s_wait_dscnt 0x0
	s_barrier_signal -1
	s_barrier_wait -1
	s_and_saveexec_b32 s15, s0
	s_cbranch_execz .LBB1730_466
; %bb.465:                              ;   in Loop: Header=BB1730_388 Depth=2
	ds_load_b32 v155, v3
	s_wait_dscnt 0x0
	v_sub_nc_u32_e32 v151, v155, v151
	ds_store_b32 v3, v151
.LBB1730_466:                           ;   in Loop: Header=BB1730_388 Depth=2
	s_or_b32 exec_lo, exec_lo, s15
	v_add3_u32 v159, v146, v145, v65
	v_add_nc_u32_e32 v163, v63, v142
	v_add3_u32 v155, v150, v149, v66
	v_add3_u32 v151, v154, v153, v67
	;; [unrolled: 1-line block ×4, first 2 shown]
	v_lshlrev_b32_e32 v60, 1, v159
	v_lshlrev_b32_e32 v153, 1, v163
	v_add3_u32 v150, v158, v157, v143
	v_add3_u32 v147, v166, v165, v203
	;; [unrolled: 1-line block ×4, first 2 shown]
	v_lshlrev_b32_e32 v61, 1, v155
	v_add3_u32 v145, v174, v173, v175
	v_lshlrev_b32_e32 v154, 1, v149
	ds_store_b16 v153, v140 offset:1024
	v_lshlrev_b32_e32 v140, 1, v151
	v_add3_u32 v143, v178, v177, v179
	v_lshlrev_b32_e32 v153, 1, v150
	v_add3_u32 v142, v182, v181, v183
	v_add3_u32 v63, v186, v185, v187
	ds_store_b16 v60, v141 offset:1024
	ds_store_b16 v61, v144 offset:1024
	;; [unrolled: 1-line block ×5, first 2 shown]
	v_dual_lshlrev_b32 v60, 1, v147 :: v_dual_lshlrev_b32 v140, 1, v145
	v_lshlrev_b32_e32 v61, 1, v146
	v_add3_u32 v65, v198, v197, v64
	v_dual_lshlrev_b32 v141, 1, v143 :: v_dual_lshlrev_b32 v144, 1, v142
	v_add3_u32 v64, v201, v200, v167
	ds_store_b16 v60, v160 offset:1024
	ds_store_b16 v61, v164 offset:1024
	;; [unrolled: 1-line block ×5, first 2 shown]
	v_dual_lshlrev_b32 v60, 1, v63 :: v_dual_lshlrev_b32 v140, 1, v66
	v_cmp_lt_u32_e32 vcc_lo, v2, v139
	v_dual_lshlrev_b32 v61, 1, v67 :: v_dual_lshlrev_b32 v141, 1, v65
	v_lshlrev_b32_e32 v144, 1, v64
	ds_store_b16 v60, v180 offset:1024
	ds_store_b16 v61, v184 offset:1024
	;; [unrolled: 1-line block ×5, first 2 shown]
	s_wait_dscnt 0x0
	s_barrier_signal -1
	s_barrier_wait -1
	s_and_saveexec_b32 s16, vcc_lo
	s_cbranch_execnz .LBB1730_535
; %bb.467:                              ;   in Loop: Header=BB1730_388 Depth=2
	s_or_b32 exec_lo, exec_lo, s16
	v_cmp_lt_u32_e64 s15, v68, v139
	s_and_saveexec_b32 s17, s15
	s_cbranch_execnz .LBB1730_536
.LBB1730_468:                           ;   in Loop: Header=BB1730_388 Depth=2
	s_or_b32 exec_lo, exec_lo, s17
	v_cmp_lt_u32_e64 s16, v69, v139
	s_and_saveexec_b32 s18, s16
	s_cbranch_execnz .LBB1730_537
.LBB1730_469:                           ;   in Loop: Header=BB1730_388 Depth=2
	s_or_b32 exec_lo, exec_lo, s18
	v_cmp_lt_u32_e64 s17, v70, v139
	s_and_saveexec_b32 s19, s17
	s_cbranch_execnz .LBB1730_538
.LBB1730_470:                           ;   in Loop: Header=BB1730_388 Depth=2
	s_or_b32 exec_lo, exec_lo, s19
	v_cmp_lt_u32_e64 s18, v71, v139
	s_and_saveexec_b32 s20, s18
	s_cbranch_execnz .LBB1730_539
.LBB1730_471:                           ;   in Loop: Header=BB1730_388 Depth=2
	s_or_b32 exec_lo, exec_lo, s20
	v_cmp_lt_u32_e64 s19, v72, v139
	s_and_saveexec_b32 s21, s19
	s_cbranch_execnz .LBB1730_540
.LBB1730_472:                           ;   in Loop: Header=BB1730_388 Depth=2
	s_or_b32 exec_lo, exec_lo, s21
	v_cmp_lt_u32_e64 s20, v73, v139
	s_and_saveexec_b32 s22, s20
	s_cbranch_execnz .LBB1730_541
.LBB1730_473:                           ;   in Loop: Header=BB1730_388 Depth=2
	s_or_b32 exec_lo, exec_lo, s22
	v_cmp_lt_u32_e64 s21, v74, v139
	s_and_saveexec_b32 s23, s21
	s_cbranch_execnz .LBB1730_542
.LBB1730_474:                           ;   in Loop: Header=BB1730_388 Depth=2
	s_or_b32 exec_lo, exec_lo, s23
	v_cmp_lt_u32_e64 s22, v75, v139
	s_and_saveexec_b32 s24, s22
	s_cbranch_execnz .LBB1730_543
.LBB1730_475:                           ;   in Loop: Header=BB1730_388 Depth=2
	s_or_b32 exec_lo, exec_lo, s24
	v_cmp_lt_u32_e64 s23, v76, v139
	s_and_saveexec_b32 s25, s23
	s_cbranch_execnz .LBB1730_544
.LBB1730_476:                           ;   in Loop: Header=BB1730_388 Depth=2
	s_or_b32 exec_lo, exec_lo, s25
	v_cmp_lt_u32_e64 s24, v77, v139
	s_and_saveexec_b32 s26, s24
	s_cbranch_execnz .LBB1730_545
.LBB1730_477:                           ;   in Loop: Header=BB1730_388 Depth=2
	s_or_b32 exec_lo, exec_lo, s26
	v_cmp_lt_u32_e64 s25, v78, v139
	s_and_saveexec_b32 s27, s25
	s_cbranch_execnz .LBB1730_546
.LBB1730_478:                           ;   in Loop: Header=BB1730_388 Depth=2
	s_or_b32 exec_lo, exec_lo, s27
	v_cmp_lt_u32_e64 s26, v79, v139
	s_and_saveexec_b32 s28, s26
	s_cbranch_execnz .LBB1730_547
.LBB1730_479:                           ;   in Loop: Header=BB1730_388 Depth=2
	s_or_b32 exec_lo, exec_lo, s28
	v_cmp_lt_u32_e64 s27, v80, v139
	s_and_saveexec_b32 s29, s27
	s_cbranch_execnz .LBB1730_548
.LBB1730_480:                           ;   in Loop: Header=BB1730_388 Depth=2
	s_or_b32 exec_lo, exec_lo, s29
	v_cmp_lt_u32_e64 s28, v81, v139
	s_and_saveexec_b32 s30, s28
	s_cbranch_execnz .LBB1730_549
.LBB1730_481:                           ;   in Loop: Header=BB1730_388 Depth=2
	s_or_b32 exec_lo, exec_lo, s30
	v_cmp_lt_u32_e64 s29, v82, v139
	s_and_saveexec_b32 s58, s29
	s_cbranch_execz .LBB1730_483
.LBB1730_482:                           ;   in Loop: Header=BB1730_388 Depth=2
	ds_load_u16 v60, v93 offset:8704
	s_wait_dscnt 0x0
	v_cmp_ne_u16_e64 s30, 0x8000, v60
	s_delay_alu instid0(VALU_DEP_1) | instskip(SKIP_1) | instid1(VALU_DEP_2)
	v_cndmask_b32_e64 v61, 0x7fff, v60, s30
	v_cmp_gt_i16_e64 s30, 0, v60
	v_and_b32_e32 v61, 0xffff, v61
	s_delay_alu instid0(VALU_DEP_2) | instskip(NEXT) | instid1(VALU_DEP_1)
	v_cndmask_b32_e64 v140, 0x7fff, 0, s30
	v_dual_lshrrev_b32 v61, s48, v61 :: v_dual_bitop2_b32 v60, v140, v60 bitop3:0x14
	s_delay_alu instid0(VALU_DEP_1) | instskip(NEXT) | instid1(VALU_DEP_1)
	v_and_b32_e32 v61, s52, v61
	v_lshlrev_b32_e32 v61, 2, v61
	ds_load_b32 v61, v61
	s_wait_dscnt 0x0
	v_add_nc_u32_e32 v61, v61, v82
	global_store_b16 v61, v60, s[40:41] scale_offset
.LBB1730_483:                           ;   in Loop: Header=BB1730_388 Depth=2
	s_wait_xcnt 0x0
	s_or_b32 exec_lo, exec_lo, s58
	v_lshl_add_u64 v[60:61], s[42:43], 3, v[24:25]
	v_cmp_lt_u32_e64 s30, v100, v139
	s_and_saveexec_b32 s42, s30
	s_delay_alu instid0(SALU_CYCLE_1)
	s_xor_b32 s30, exec_lo, s42
	s_cbranch_execnz .LBB1730_550
; %bb.484:                              ;   in Loop: Header=BB1730_388 Depth=2
	s_or_b32 exec_lo, exec_lo, s30
	s_delay_alu instid0(SALU_CYCLE_1)
	s_mov_b32 s42, exec_lo
	v_cmpx_lt_u32_e64 v103, v139
	s_cbranch_execnz .LBB1730_551
.LBB1730_485:                           ;   in Loop: Header=BB1730_388 Depth=2
	s_or_b32 exec_lo, exec_lo, s42
	s_delay_alu instid0(SALU_CYCLE_1)
	s_mov_b32 s42, exec_lo
	v_cmpx_lt_u32_e64 v104, v139
	s_cbranch_execnz .LBB1730_552
.LBB1730_486:                           ;   in Loop: Header=BB1730_388 Depth=2
	s_or_b32 exec_lo, exec_lo, s42
	s_delay_alu instid0(SALU_CYCLE_1)
	s_mov_b32 s42, exec_lo
	v_cmpx_lt_u32_e64 v105, v139
	s_cbranch_execnz .LBB1730_553
.LBB1730_487:                           ;   in Loop: Header=BB1730_388 Depth=2
	s_or_b32 exec_lo, exec_lo, s42
	s_delay_alu instid0(SALU_CYCLE_1)
	s_mov_b32 s42, exec_lo
	v_cmpx_lt_u32_e64 v106, v139
	s_cbranch_execnz .LBB1730_554
.LBB1730_488:                           ;   in Loop: Header=BB1730_388 Depth=2
	s_or_b32 exec_lo, exec_lo, s42
	s_delay_alu instid0(SALU_CYCLE_1)
	s_mov_b32 s42, exec_lo
	v_cmpx_lt_u32_e64 v107, v139
	s_cbranch_execnz .LBB1730_555
.LBB1730_489:                           ;   in Loop: Header=BB1730_388 Depth=2
	s_or_b32 exec_lo, exec_lo, s42
	s_delay_alu instid0(SALU_CYCLE_1)
	s_mov_b32 s42, exec_lo
	v_cmpx_lt_u32_e64 v108, v139
	s_cbranch_execnz .LBB1730_556
.LBB1730_490:                           ;   in Loop: Header=BB1730_388 Depth=2
	s_or_b32 exec_lo, exec_lo, s42
	s_delay_alu instid0(SALU_CYCLE_1)
	s_mov_b32 s42, exec_lo
	v_cmpx_lt_u32_e64 v109, v139
	s_cbranch_execnz .LBB1730_557
.LBB1730_491:                           ;   in Loop: Header=BB1730_388 Depth=2
	s_or_b32 exec_lo, exec_lo, s42
	s_delay_alu instid0(SALU_CYCLE_1)
	s_mov_b32 s42, exec_lo
	v_cmpx_lt_u32_e64 v110, v139
	s_cbranch_execnz .LBB1730_558
.LBB1730_492:                           ;   in Loop: Header=BB1730_388 Depth=2
	s_or_b32 exec_lo, exec_lo, s42
	s_delay_alu instid0(SALU_CYCLE_1)
	s_mov_b32 s42, exec_lo
	v_cmpx_lt_u32_e64 v111, v139
	s_cbranch_execnz .LBB1730_559
.LBB1730_493:                           ;   in Loop: Header=BB1730_388 Depth=2
	s_or_b32 exec_lo, exec_lo, s42
	s_delay_alu instid0(SALU_CYCLE_1)
	s_mov_b32 s42, exec_lo
	v_cmpx_lt_u32_e64 v112, v139
	s_cbranch_execnz .LBB1730_560
.LBB1730_494:                           ;   in Loop: Header=BB1730_388 Depth=2
	s_or_b32 exec_lo, exec_lo, s42
	s_delay_alu instid0(SALU_CYCLE_1)
	s_mov_b32 s42, exec_lo
	v_cmpx_lt_u32_e64 v113, v139
	s_cbranch_execnz .LBB1730_561
.LBB1730_495:                           ;   in Loop: Header=BB1730_388 Depth=2
	s_or_b32 exec_lo, exec_lo, s42
	s_delay_alu instid0(SALU_CYCLE_1)
	s_mov_b32 s42, exec_lo
	v_cmpx_lt_u32_e64 v114, v139
	s_cbranch_execnz .LBB1730_562
.LBB1730_496:                           ;   in Loop: Header=BB1730_388 Depth=2
	s_or_b32 exec_lo, exec_lo, s42
	s_delay_alu instid0(SALU_CYCLE_1)
	s_mov_b32 s42, exec_lo
	v_cmpx_lt_u32_e64 v115, v139
	s_cbranch_execnz .LBB1730_563
.LBB1730_497:                           ;   in Loop: Header=BB1730_388 Depth=2
	s_or_b32 exec_lo, exec_lo, s42
	s_delay_alu instid0(SALU_CYCLE_1)
	s_mov_b32 s42, exec_lo
	v_cmpx_lt_u32_e64 v116, v139
	s_cbranch_execnz .LBB1730_564
.LBB1730_498:                           ;   in Loop: Header=BB1730_388 Depth=2
	s_or_b32 exec_lo, exec_lo, s42
	s_delay_alu instid0(SALU_CYCLE_1)
	s_mov_b32 s42, exec_lo
	v_cmpx_lt_u32_e64 v117, v139
	s_cbranch_execnz .LBB1730_565
.LBB1730_499:                           ;   in Loop: Header=BB1730_388 Depth=2
	s_or_b32 exec_lo, exec_lo, s42
	s_and_saveexec_b32 s42, vcc_lo
	s_cbranch_execnz .LBB1730_566
.LBB1730_500:                           ;   in Loop: Header=BB1730_388 Depth=2
	s_or_b32 exec_lo, exec_lo, s42
	s_and_saveexec_b32 s42, s15
	s_cbranch_execnz .LBB1730_567
.LBB1730_501:                           ;   in Loop: Header=BB1730_388 Depth=2
	s_or_b32 exec_lo, exec_lo, s42
	s_and_saveexec_b32 s42, s16
	s_cbranch_execnz .LBB1730_568
.LBB1730_502:                           ;   in Loop: Header=BB1730_388 Depth=2
	s_or_b32 exec_lo, exec_lo, s42
	s_and_saveexec_b32 s42, s17
	s_cbranch_execnz .LBB1730_569
.LBB1730_503:                           ;   in Loop: Header=BB1730_388 Depth=2
	s_or_b32 exec_lo, exec_lo, s42
	s_and_saveexec_b32 s42, s18
	s_cbranch_execnz .LBB1730_570
.LBB1730_504:                           ;   in Loop: Header=BB1730_388 Depth=2
	s_or_b32 exec_lo, exec_lo, s42
	s_and_saveexec_b32 s42, s19
	s_cbranch_execnz .LBB1730_571
.LBB1730_505:                           ;   in Loop: Header=BB1730_388 Depth=2
	s_or_b32 exec_lo, exec_lo, s42
	s_and_saveexec_b32 s42, s20
	s_cbranch_execnz .LBB1730_572
.LBB1730_506:                           ;   in Loop: Header=BB1730_388 Depth=2
	s_or_b32 exec_lo, exec_lo, s42
	s_and_saveexec_b32 s42, s21
	s_cbranch_execnz .LBB1730_573
.LBB1730_507:                           ;   in Loop: Header=BB1730_388 Depth=2
	s_or_b32 exec_lo, exec_lo, s42
	s_and_saveexec_b32 s42, s22
	s_cbranch_execnz .LBB1730_574
.LBB1730_508:                           ;   in Loop: Header=BB1730_388 Depth=2
	s_or_b32 exec_lo, exec_lo, s42
	s_and_saveexec_b32 s42, s23
	s_cbranch_execnz .LBB1730_575
.LBB1730_509:                           ;   in Loop: Header=BB1730_388 Depth=2
	s_or_b32 exec_lo, exec_lo, s42
	s_and_saveexec_b32 s42, s24
	s_cbranch_execnz .LBB1730_576
.LBB1730_510:                           ;   in Loop: Header=BB1730_388 Depth=2
	s_or_b32 exec_lo, exec_lo, s42
	s_and_saveexec_b32 s42, s25
	s_cbranch_execnz .LBB1730_577
.LBB1730_511:                           ;   in Loop: Header=BB1730_388 Depth=2
	s_or_b32 exec_lo, exec_lo, s42
	s_and_saveexec_b32 s42, s26
	s_cbranch_execnz .LBB1730_578
.LBB1730_512:                           ;   in Loop: Header=BB1730_388 Depth=2
	s_or_b32 exec_lo, exec_lo, s42
	s_and_saveexec_b32 s42, s27
	s_cbranch_execnz .LBB1730_579
.LBB1730_513:                           ;   in Loop: Header=BB1730_388 Depth=2
	s_or_b32 exec_lo, exec_lo, s42
	s_and_saveexec_b32 s42, s28
	s_cbranch_execnz .LBB1730_580
.LBB1730_514:                           ;   in Loop: Header=BB1730_388 Depth=2
	s_or_b32 exec_lo, exec_lo, s42
	s_and_saveexec_b32 s42, s29
	s_cbranch_execz .LBB1730_516
.LBB1730_515:                           ;   in Loop: Header=BB1730_388 Depth=2
	ds_load_u16 v60, v93 offset:8704
	s_wait_dscnt 0x0
	v_cmp_ne_u16_e64 s30, 0x8000, v60
	s_delay_alu instid0(VALU_DEP_1) | instskip(NEXT) | instid1(VALU_DEP_1)
	v_cndmask_b32_e64 v60, 0x7fff, v60, s30
	v_and_b32_e32 v60, 0xffff, v60
	s_delay_alu instid0(VALU_DEP_1) | instskip(NEXT) | instid1(VALU_DEP_1)
	v_lshrrev_b32_e32 v60, s48, v60
	v_and_b32_e32 v123, s52, v60
.LBB1730_516:                           ;   in Loop: Header=BB1730_388 Depth=2
	s_or_b32 exec_lo, exec_lo, s42
	v_dual_lshlrev_b32 v60, 3, v163 :: v_dual_lshlrev_b32 v140, 3, v150
	s_wait_loadcnt 0x0
	s_wait_storecnt 0x0
	s_barrier_signal -1
	s_barrier_wait -1
	ds_store_b64 v60, v[58:59] offset:1024
	v_dual_lshlrev_b32 v60, 3, v159 :: v_dual_lshlrev_b32 v141, 3, v149
	v_lshlrev_b32_e32 v61, 3, v155
	v_lshlrev_b32_e32 v139, 3, v151
	ds_store_b64 v60, v[56:57] offset:1024
	ds_store_b64 v61, v[54:55] offset:1024
	;; [unrolled: 1-line block ×5, first 2 shown]
	v_dual_lshlrev_b32 v60, 3, v147 :: v_dual_lshlrev_b32 v141, 3, v142
	v_dual_lshlrev_b32 v61, 3, v146 :: v_dual_lshlrev_b32 v139, 3, v145
	v_lshlrev_b32_e32 v140, 3, v143
	ds_store_b64 v60, v[46:47] offset:1024
	ds_store_b64 v61, v[44:45] offset:1024
	;; [unrolled: 1-line block ×5, first 2 shown]
	v_dual_lshlrev_b32 v60, 3, v63 :: v_dual_lshlrev_b32 v65, 3, v65
	v_dual_lshlrev_b32 v61, 3, v67 :: v_dual_lshlrev_b32 v64, 3, v64
	v_lshlrev_b32_e32 v63, 3, v66
	ds_store_b64 v60, v[36:37] offset:1024
	ds_store_b64 v61, v[34:35] offset:1024
	;; [unrolled: 1-line block ×5, first 2 shown]
	s_wait_dscnt 0x0
	s_barrier_signal -1
	s_barrier_wait -1
	s_and_saveexec_b32 s30, vcc_lo
	s_cbranch_execnz .LBB1730_581
; %bb.517:                              ;   in Loop: Header=BB1730_388 Depth=2
	s_or_b32 exec_lo, exec_lo, s30
	s_and_saveexec_b32 s30, s15
	s_cbranch_execnz .LBB1730_582
.LBB1730_518:                           ;   in Loop: Header=BB1730_388 Depth=2
	s_or_b32 exec_lo, exec_lo, s30
	s_and_saveexec_b32 s15, s16
	s_cbranch_execnz .LBB1730_583
.LBB1730_519:                           ;   in Loop: Header=BB1730_388 Depth=2
	s_or_b32 exec_lo, exec_lo, s15
	s_and_saveexec_b32 s15, s17
	s_cbranch_execnz .LBB1730_584
.LBB1730_520:                           ;   in Loop: Header=BB1730_388 Depth=2
	s_or_b32 exec_lo, exec_lo, s15
	s_and_saveexec_b32 s15, s18
	s_cbranch_execnz .LBB1730_585
.LBB1730_521:                           ;   in Loop: Header=BB1730_388 Depth=2
	s_or_b32 exec_lo, exec_lo, s15
	s_and_saveexec_b32 s15, s19
	s_cbranch_execnz .LBB1730_586
.LBB1730_522:                           ;   in Loop: Header=BB1730_388 Depth=2
	s_or_b32 exec_lo, exec_lo, s15
	s_and_saveexec_b32 s15, s20
	s_cbranch_execnz .LBB1730_587
.LBB1730_523:                           ;   in Loop: Header=BB1730_388 Depth=2
	s_or_b32 exec_lo, exec_lo, s15
	s_and_saveexec_b32 s15, s21
	s_cbranch_execnz .LBB1730_588
.LBB1730_524:                           ;   in Loop: Header=BB1730_388 Depth=2
	s_or_b32 exec_lo, exec_lo, s15
	s_and_saveexec_b32 s15, s22
	s_cbranch_execnz .LBB1730_589
.LBB1730_525:                           ;   in Loop: Header=BB1730_388 Depth=2
	s_or_b32 exec_lo, exec_lo, s15
	s_and_saveexec_b32 s15, s23
	s_cbranch_execnz .LBB1730_590
.LBB1730_526:                           ;   in Loop: Header=BB1730_388 Depth=2
	s_or_b32 exec_lo, exec_lo, s15
	s_and_saveexec_b32 s15, s24
	s_cbranch_execnz .LBB1730_591
.LBB1730_527:                           ;   in Loop: Header=BB1730_388 Depth=2
	s_or_b32 exec_lo, exec_lo, s15
	s_and_saveexec_b32 s15, s25
	s_cbranch_execnz .LBB1730_592
.LBB1730_528:                           ;   in Loop: Header=BB1730_388 Depth=2
	s_or_b32 exec_lo, exec_lo, s15
	s_and_saveexec_b32 s15, s26
	s_cbranch_execnz .LBB1730_593
.LBB1730_529:                           ;   in Loop: Header=BB1730_388 Depth=2
	s_or_b32 exec_lo, exec_lo, s15
	s_and_saveexec_b32 s15, s27
	s_cbranch_execnz .LBB1730_594
.LBB1730_530:                           ;   in Loop: Header=BB1730_388 Depth=2
	s_or_b32 exec_lo, exec_lo, s15
	s_and_saveexec_b32 s15, s28
	s_cbranch_execnz .LBB1730_595
.LBB1730_531:                           ;   in Loop: Header=BB1730_388 Depth=2
	s_or_b32 exec_lo, exec_lo, s15
	s_and_saveexec_b32 s15, s29
	s_cbranch_execz .LBB1730_533
.LBB1730_532:                           ;   in Loop: Header=BB1730_388 Depth=2
	v_dual_lshlrev_b32 v60, 2, v123 :: v_dual_add_nc_u32 v61, v93, v94
	ds_load_b32 v63, v60
	ds_load_b64 v[60:61], v61 offset:31744
	s_wait_dscnt 0x1
	v_add_nc_u32_e32 v63, v63, v82
	s_wait_dscnt 0x0
	global_store_b64 v63, v[60:61], s[46:47] scale_offset
.LBB1730_533:                           ;   in Loop: Header=BB1730_388 Depth=2
	s_wait_xcnt 0x0
	s_or_b32 exec_lo, exec_lo, s15
	s_wait_storecnt 0x0
	s_barrier_signal -1
	s_barrier_wait -1
	s_and_saveexec_b32 s15, s0
	s_cbranch_execz .LBB1730_387
; %bb.534:                              ;   in Loop: Header=BB1730_388 Depth=2
	ds_load_b32 v60, v3
	s_wait_dscnt 0x0
	v_add_nc_u32_e32 v60, v60, v62
	ds_store_b32 v3, v60
	s_branch .LBB1730_387
.LBB1730_535:                           ;   in Loop: Header=BB1730_388 Depth=2
	ds_load_u16 v60, v93 offset:1024
	s_wait_dscnt 0x0
	v_cmp_ne_u16_e64 s15, 0x8000, v60
	s_delay_alu instid0(VALU_DEP_1) | instskip(SKIP_1) | instid1(VALU_DEP_2)
	v_cndmask_b32_e64 v61, 0x7fff, v60, s15
	v_cmp_gt_i16_e64 s15, 0, v60
	v_and_b32_e32 v61, 0xffff, v61
	s_delay_alu instid0(VALU_DEP_2) | instskip(NEXT) | instid1(VALU_DEP_1)
	v_cndmask_b32_e64 v140, 0x7fff, 0, s15
	v_dual_lshrrev_b32 v61, s48, v61 :: v_dual_bitop2_b32 v60, v140, v60 bitop3:0x14
	s_delay_alu instid0(VALU_DEP_1) | instskip(NEXT) | instid1(VALU_DEP_1)
	v_and_b32_e32 v61, s52, v61
	v_lshlrev_b32_e32 v61, 2, v61
	ds_load_b32 v61, v61
	s_wait_dscnt 0x0
	v_add_nc_u32_e32 v61, v61, v2
	global_store_b16 v61, v60, s[40:41] scale_offset
	s_wait_xcnt 0x0
	s_or_b32 exec_lo, exec_lo, s16
	v_cmp_lt_u32_e64 s15, v68, v139
	s_and_saveexec_b32 s17, s15
	s_cbranch_execz .LBB1730_468
.LBB1730_536:                           ;   in Loop: Header=BB1730_388 Depth=2
	ds_load_u16 v60, v93 offset:1536
	s_wait_dscnt 0x0
	v_cmp_ne_u16_e64 s16, 0x8000, v60
	s_delay_alu instid0(VALU_DEP_1) | instskip(SKIP_1) | instid1(VALU_DEP_2)
	v_cndmask_b32_e64 v61, 0x7fff, v60, s16
	v_cmp_gt_i16_e64 s16, 0, v60
	v_and_b32_e32 v61, 0xffff, v61
	s_delay_alu instid0(VALU_DEP_2) | instskip(NEXT) | instid1(VALU_DEP_1)
	v_cndmask_b32_e64 v140, 0x7fff, 0, s16
	v_dual_lshrrev_b32 v61, s48, v61 :: v_dual_bitop2_b32 v60, v140, v60 bitop3:0x14
	s_delay_alu instid0(VALU_DEP_1) | instskip(NEXT) | instid1(VALU_DEP_1)
	v_and_b32_e32 v61, s52, v61
	v_lshlrev_b32_e32 v61, 2, v61
	ds_load_b32 v61, v61
	s_wait_dscnt 0x0
	v_add_nc_u32_e32 v61, v61, v68
	global_store_b16 v61, v60, s[40:41] scale_offset
	s_wait_xcnt 0x0
	s_or_b32 exec_lo, exec_lo, s17
	v_cmp_lt_u32_e64 s16, v69, v139
	s_and_saveexec_b32 s18, s16
	s_cbranch_execz .LBB1730_469
.LBB1730_537:                           ;   in Loop: Header=BB1730_388 Depth=2
	ds_load_u16 v60, v93 offset:2048
	s_wait_dscnt 0x0
	v_cmp_ne_u16_e64 s17, 0x8000, v60
	s_delay_alu instid0(VALU_DEP_1) | instskip(SKIP_1) | instid1(VALU_DEP_2)
	v_cndmask_b32_e64 v61, 0x7fff, v60, s17
	v_cmp_gt_i16_e64 s17, 0, v60
	v_and_b32_e32 v61, 0xffff, v61
	s_delay_alu instid0(VALU_DEP_2) | instskip(NEXT) | instid1(VALU_DEP_1)
	v_cndmask_b32_e64 v140, 0x7fff, 0, s17
	v_dual_lshrrev_b32 v61, s48, v61 :: v_dual_bitop2_b32 v60, v140, v60 bitop3:0x14
	s_delay_alu instid0(VALU_DEP_1) | instskip(NEXT) | instid1(VALU_DEP_1)
	v_and_b32_e32 v61, s52, v61
	v_lshlrev_b32_e32 v61, 2, v61
	ds_load_b32 v61, v61
	s_wait_dscnt 0x0
	v_add_nc_u32_e32 v61, v61, v69
	global_store_b16 v61, v60, s[40:41] scale_offset
	s_wait_xcnt 0x0
	s_or_b32 exec_lo, exec_lo, s18
	v_cmp_lt_u32_e64 s17, v70, v139
	s_and_saveexec_b32 s19, s17
	s_cbranch_execz .LBB1730_470
.LBB1730_538:                           ;   in Loop: Header=BB1730_388 Depth=2
	ds_load_u16 v60, v93 offset:2560
	s_wait_dscnt 0x0
	v_cmp_ne_u16_e64 s18, 0x8000, v60
	s_delay_alu instid0(VALU_DEP_1) | instskip(SKIP_1) | instid1(VALU_DEP_2)
	v_cndmask_b32_e64 v61, 0x7fff, v60, s18
	v_cmp_gt_i16_e64 s18, 0, v60
	v_and_b32_e32 v61, 0xffff, v61
	s_delay_alu instid0(VALU_DEP_2) | instskip(NEXT) | instid1(VALU_DEP_1)
	v_cndmask_b32_e64 v140, 0x7fff, 0, s18
	v_dual_lshrrev_b32 v61, s48, v61 :: v_dual_bitop2_b32 v60, v140, v60 bitop3:0x14
	s_delay_alu instid0(VALU_DEP_1) | instskip(NEXT) | instid1(VALU_DEP_1)
	v_and_b32_e32 v61, s52, v61
	v_lshlrev_b32_e32 v61, 2, v61
	ds_load_b32 v61, v61
	s_wait_dscnt 0x0
	v_add_nc_u32_e32 v61, v61, v70
	global_store_b16 v61, v60, s[40:41] scale_offset
	s_wait_xcnt 0x0
	s_or_b32 exec_lo, exec_lo, s19
	v_cmp_lt_u32_e64 s18, v71, v139
	s_and_saveexec_b32 s20, s18
	s_cbranch_execz .LBB1730_471
.LBB1730_539:                           ;   in Loop: Header=BB1730_388 Depth=2
	ds_load_u16 v60, v93 offset:3072
	s_wait_dscnt 0x0
	v_cmp_ne_u16_e64 s19, 0x8000, v60
	s_delay_alu instid0(VALU_DEP_1) | instskip(SKIP_1) | instid1(VALU_DEP_2)
	v_cndmask_b32_e64 v61, 0x7fff, v60, s19
	v_cmp_gt_i16_e64 s19, 0, v60
	v_and_b32_e32 v61, 0xffff, v61
	s_delay_alu instid0(VALU_DEP_2) | instskip(NEXT) | instid1(VALU_DEP_1)
	v_cndmask_b32_e64 v140, 0x7fff, 0, s19
	v_dual_lshrrev_b32 v61, s48, v61 :: v_dual_bitop2_b32 v60, v140, v60 bitop3:0x14
	s_delay_alu instid0(VALU_DEP_1) | instskip(NEXT) | instid1(VALU_DEP_1)
	v_and_b32_e32 v61, s52, v61
	v_lshlrev_b32_e32 v61, 2, v61
	ds_load_b32 v61, v61
	s_wait_dscnt 0x0
	v_add_nc_u32_e32 v61, v61, v71
	global_store_b16 v61, v60, s[40:41] scale_offset
	s_wait_xcnt 0x0
	s_or_b32 exec_lo, exec_lo, s20
	v_cmp_lt_u32_e64 s19, v72, v139
	s_and_saveexec_b32 s21, s19
	s_cbranch_execz .LBB1730_472
.LBB1730_540:                           ;   in Loop: Header=BB1730_388 Depth=2
	ds_load_u16 v60, v93 offset:3584
	s_wait_dscnt 0x0
	v_cmp_ne_u16_e64 s20, 0x8000, v60
	s_delay_alu instid0(VALU_DEP_1) | instskip(SKIP_1) | instid1(VALU_DEP_2)
	v_cndmask_b32_e64 v61, 0x7fff, v60, s20
	v_cmp_gt_i16_e64 s20, 0, v60
	v_and_b32_e32 v61, 0xffff, v61
	s_delay_alu instid0(VALU_DEP_2) | instskip(NEXT) | instid1(VALU_DEP_1)
	v_cndmask_b32_e64 v140, 0x7fff, 0, s20
	v_dual_lshrrev_b32 v61, s48, v61 :: v_dual_bitop2_b32 v60, v140, v60 bitop3:0x14
	s_delay_alu instid0(VALU_DEP_1) | instskip(NEXT) | instid1(VALU_DEP_1)
	v_and_b32_e32 v61, s52, v61
	v_lshlrev_b32_e32 v61, 2, v61
	ds_load_b32 v61, v61
	s_wait_dscnt 0x0
	v_add_nc_u32_e32 v61, v61, v72
	global_store_b16 v61, v60, s[40:41] scale_offset
	s_wait_xcnt 0x0
	s_or_b32 exec_lo, exec_lo, s21
	v_cmp_lt_u32_e64 s20, v73, v139
	s_and_saveexec_b32 s22, s20
	s_cbranch_execz .LBB1730_473
.LBB1730_541:                           ;   in Loop: Header=BB1730_388 Depth=2
	ds_load_u16 v60, v93 offset:4096
	s_wait_dscnt 0x0
	v_cmp_ne_u16_e64 s21, 0x8000, v60
	s_delay_alu instid0(VALU_DEP_1) | instskip(SKIP_1) | instid1(VALU_DEP_2)
	v_cndmask_b32_e64 v61, 0x7fff, v60, s21
	v_cmp_gt_i16_e64 s21, 0, v60
	v_and_b32_e32 v61, 0xffff, v61
	s_delay_alu instid0(VALU_DEP_2) | instskip(NEXT) | instid1(VALU_DEP_1)
	v_cndmask_b32_e64 v140, 0x7fff, 0, s21
	v_dual_lshrrev_b32 v61, s48, v61 :: v_dual_bitop2_b32 v60, v140, v60 bitop3:0x14
	s_delay_alu instid0(VALU_DEP_1) | instskip(NEXT) | instid1(VALU_DEP_1)
	v_and_b32_e32 v61, s52, v61
	v_lshlrev_b32_e32 v61, 2, v61
	ds_load_b32 v61, v61
	s_wait_dscnt 0x0
	v_add_nc_u32_e32 v61, v61, v73
	global_store_b16 v61, v60, s[40:41] scale_offset
	s_wait_xcnt 0x0
	s_or_b32 exec_lo, exec_lo, s22
	v_cmp_lt_u32_e64 s21, v74, v139
	s_and_saveexec_b32 s23, s21
	s_cbranch_execz .LBB1730_474
.LBB1730_542:                           ;   in Loop: Header=BB1730_388 Depth=2
	ds_load_u16 v60, v93 offset:4608
	s_wait_dscnt 0x0
	v_cmp_ne_u16_e64 s22, 0x8000, v60
	s_delay_alu instid0(VALU_DEP_1) | instskip(SKIP_1) | instid1(VALU_DEP_2)
	v_cndmask_b32_e64 v61, 0x7fff, v60, s22
	v_cmp_gt_i16_e64 s22, 0, v60
	v_and_b32_e32 v61, 0xffff, v61
	s_delay_alu instid0(VALU_DEP_2) | instskip(NEXT) | instid1(VALU_DEP_1)
	v_cndmask_b32_e64 v140, 0x7fff, 0, s22
	v_dual_lshrrev_b32 v61, s48, v61 :: v_dual_bitop2_b32 v60, v140, v60 bitop3:0x14
	s_delay_alu instid0(VALU_DEP_1) | instskip(NEXT) | instid1(VALU_DEP_1)
	v_and_b32_e32 v61, s52, v61
	v_lshlrev_b32_e32 v61, 2, v61
	ds_load_b32 v61, v61
	s_wait_dscnt 0x0
	v_add_nc_u32_e32 v61, v61, v74
	global_store_b16 v61, v60, s[40:41] scale_offset
	s_wait_xcnt 0x0
	s_or_b32 exec_lo, exec_lo, s23
	v_cmp_lt_u32_e64 s22, v75, v139
	s_and_saveexec_b32 s24, s22
	s_cbranch_execz .LBB1730_475
.LBB1730_543:                           ;   in Loop: Header=BB1730_388 Depth=2
	ds_load_u16 v60, v93 offset:5120
	s_wait_dscnt 0x0
	v_cmp_ne_u16_e64 s23, 0x8000, v60
	s_delay_alu instid0(VALU_DEP_1) | instskip(SKIP_1) | instid1(VALU_DEP_2)
	v_cndmask_b32_e64 v61, 0x7fff, v60, s23
	v_cmp_gt_i16_e64 s23, 0, v60
	v_and_b32_e32 v61, 0xffff, v61
	s_delay_alu instid0(VALU_DEP_2) | instskip(NEXT) | instid1(VALU_DEP_1)
	v_cndmask_b32_e64 v140, 0x7fff, 0, s23
	v_dual_lshrrev_b32 v61, s48, v61 :: v_dual_bitop2_b32 v60, v140, v60 bitop3:0x14
	s_delay_alu instid0(VALU_DEP_1) | instskip(NEXT) | instid1(VALU_DEP_1)
	v_and_b32_e32 v61, s52, v61
	v_lshlrev_b32_e32 v61, 2, v61
	ds_load_b32 v61, v61
	s_wait_dscnt 0x0
	v_add_nc_u32_e32 v61, v61, v75
	global_store_b16 v61, v60, s[40:41] scale_offset
	s_wait_xcnt 0x0
	s_or_b32 exec_lo, exec_lo, s24
	v_cmp_lt_u32_e64 s23, v76, v139
	s_and_saveexec_b32 s25, s23
	s_cbranch_execz .LBB1730_476
.LBB1730_544:                           ;   in Loop: Header=BB1730_388 Depth=2
	ds_load_u16 v60, v93 offset:5632
	s_wait_dscnt 0x0
	v_cmp_ne_u16_e64 s24, 0x8000, v60
	s_delay_alu instid0(VALU_DEP_1) | instskip(SKIP_1) | instid1(VALU_DEP_2)
	v_cndmask_b32_e64 v61, 0x7fff, v60, s24
	v_cmp_gt_i16_e64 s24, 0, v60
	v_and_b32_e32 v61, 0xffff, v61
	s_delay_alu instid0(VALU_DEP_2) | instskip(NEXT) | instid1(VALU_DEP_1)
	v_cndmask_b32_e64 v140, 0x7fff, 0, s24
	v_dual_lshrrev_b32 v61, s48, v61 :: v_dual_bitop2_b32 v60, v140, v60 bitop3:0x14
	s_delay_alu instid0(VALU_DEP_1) | instskip(NEXT) | instid1(VALU_DEP_1)
	v_and_b32_e32 v61, s52, v61
	v_lshlrev_b32_e32 v61, 2, v61
	ds_load_b32 v61, v61
	s_wait_dscnt 0x0
	v_add_nc_u32_e32 v61, v61, v76
	global_store_b16 v61, v60, s[40:41] scale_offset
	s_wait_xcnt 0x0
	s_or_b32 exec_lo, exec_lo, s25
	v_cmp_lt_u32_e64 s24, v77, v139
	s_and_saveexec_b32 s26, s24
	s_cbranch_execz .LBB1730_477
.LBB1730_545:                           ;   in Loop: Header=BB1730_388 Depth=2
	ds_load_u16 v60, v93 offset:6144
	s_wait_dscnt 0x0
	v_cmp_ne_u16_e64 s25, 0x8000, v60
	s_delay_alu instid0(VALU_DEP_1) | instskip(SKIP_1) | instid1(VALU_DEP_2)
	v_cndmask_b32_e64 v61, 0x7fff, v60, s25
	v_cmp_gt_i16_e64 s25, 0, v60
	v_and_b32_e32 v61, 0xffff, v61
	s_delay_alu instid0(VALU_DEP_2) | instskip(NEXT) | instid1(VALU_DEP_1)
	v_cndmask_b32_e64 v140, 0x7fff, 0, s25
	v_dual_lshrrev_b32 v61, s48, v61 :: v_dual_bitop2_b32 v60, v140, v60 bitop3:0x14
	s_delay_alu instid0(VALU_DEP_1) | instskip(NEXT) | instid1(VALU_DEP_1)
	v_and_b32_e32 v61, s52, v61
	v_lshlrev_b32_e32 v61, 2, v61
	ds_load_b32 v61, v61
	s_wait_dscnt 0x0
	v_add_nc_u32_e32 v61, v61, v77
	global_store_b16 v61, v60, s[40:41] scale_offset
	s_wait_xcnt 0x0
	s_or_b32 exec_lo, exec_lo, s26
	v_cmp_lt_u32_e64 s25, v78, v139
	s_and_saveexec_b32 s27, s25
	s_cbranch_execz .LBB1730_478
.LBB1730_546:                           ;   in Loop: Header=BB1730_388 Depth=2
	ds_load_u16 v60, v93 offset:6656
	s_wait_dscnt 0x0
	v_cmp_ne_u16_e64 s26, 0x8000, v60
	s_delay_alu instid0(VALU_DEP_1) | instskip(SKIP_1) | instid1(VALU_DEP_2)
	v_cndmask_b32_e64 v61, 0x7fff, v60, s26
	v_cmp_gt_i16_e64 s26, 0, v60
	v_and_b32_e32 v61, 0xffff, v61
	s_delay_alu instid0(VALU_DEP_2) | instskip(NEXT) | instid1(VALU_DEP_1)
	v_cndmask_b32_e64 v140, 0x7fff, 0, s26
	v_dual_lshrrev_b32 v61, s48, v61 :: v_dual_bitop2_b32 v60, v140, v60 bitop3:0x14
	s_delay_alu instid0(VALU_DEP_1) | instskip(NEXT) | instid1(VALU_DEP_1)
	v_and_b32_e32 v61, s52, v61
	v_lshlrev_b32_e32 v61, 2, v61
	ds_load_b32 v61, v61
	s_wait_dscnt 0x0
	v_add_nc_u32_e32 v61, v61, v78
	global_store_b16 v61, v60, s[40:41] scale_offset
	s_wait_xcnt 0x0
	s_or_b32 exec_lo, exec_lo, s27
	v_cmp_lt_u32_e64 s26, v79, v139
	s_and_saveexec_b32 s28, s26
	s_cbranch_execz .LBB1730_479
.LBB1730_547:                           ;   in Loop: Header=BB1730_388 Depth=2
	ds_load_u16 v60, v93 offset:7168
	s_wait_dscnt 0x0
	v_cmp_ne_u16_e64 s27, 0x8000, v60
	s_delay_alu instid0(VALU_DEP_1) | instskip(SKIP_1) | instid1(VALU_DEP_2)
	v_cndmask_b32_e64 v61, 0x7fff, v60, s27
	v_cmp_gt_i16_e64 s27, 0, v60
	v_and_b32_e32 v61, 0xffff, v61
	s_delay_alu instid0(VALU_DEP_2) | instskip(NEXT) | instid1(VALU_DEP_1)
	v_cndmask_b32_e64 v140, 0x7fff, 0, s27
	v_dual_lshrrev_b32 v61, s48, v61 :: v_dual_bitop2_b32 v60, v140, v60 bitop3:0x14
	s_delay_alu instid0(VALU_DEP_1) | instskip(NEXT) | instid1(VALU_DEP_1)
	v_and_b32_e32 v61, s52, v61
	v_lshlrev_b32_e32 v61, 2, v61
	ds_load_b32 v61, v61
	s_wait_dscnt 0x0
	v_add_nc_u32_e32 v61, v61, v79
	global_store_b16 v61, v60, s[40:41] scale_offset
	s_wait_xcnt 0x0
	s_or_b32 exec_lo, exec_lo, s28
	v_cmp_lt_u32_e64 s27, v80, v139
	s_and_saveexec_b32 s29, s27
	s_cbranch_execz .LBB1730_480
.LBB1730_548:                           ;   in Loop: Header=BB1730_388 Depth=2
	ds_load_u16 v60, v93 offset:7680
	s_wait_dscnt 0x0
	v_cmp_ne_u16_e64 s28, 0x8000, v60
	s_delay_alu instid0(VALU_DEP_1) | instskip(SKIP_1) | instid1(VALU_DEP_2)
	v_cndmask_b32_e64 v61, 0x7fff, v60, s28
	v_cmp_gt_i16_e64 s28, 0, v60
	v_and_b32_e32 v61, 0xffff, v61
	s_delay_alu instid0(VALU_DEP_2) | instskip(NEXT) | instid1(VALU_DEP_1)
	v_cndmask_b32_e64 v140, 0x7fff, 0, s28
	v_dual_lshrrev_b32 v61, s48, v61 :: v_dual_bitop2_b32 v60, v140, v60 bitop3:0x14
	s_delay_alu instid0(VALU_DEP_1) | instskip(NEXT) | instid1(VALU_DEP_1)
	v_and_b32_e32 v61, s52, v61
	v_lshlrev_b32_e32 v61, 2, v61
	ds_load_b32 v61, v61
	s_wait_dscnt 0x0
	v_add_nc_u32_e32 v61, v61, v80
	global_store_b16 v61, v60, s[40:41] scale_offset
	s_wait_xcnt 0x0
	s_or_b32 exec_lo, exec_lo, s29
	v_cmp_lt_u32_e64 s28, v81, v139
	s_and_saveexec_b32 s30, s28
	s_cbranch_execz .LBB1730_481
.LBB1730_549:                           ;   in Loop: Header=BB1730_388 Depth=2
	ds_load_u16 v60, v93 offset:8192
	s_wait_dscnt 0x0
	v_cmp_ne_u16_e64 s29, 0x8000, v60
	s_delay_alu instid0(VALU_DEP_1) | instskip(SKIP_1) | instid1(VALU_DEP_2)
	v_cndmask_b32_e64 v61, 0x7fff, v60, s29
	v_cmp_gt_i16_e64 s29, 0, v60
	v_and_b32_e32 v61, 0xffff, v61
	s_delay_alu instid0(VALU_DEP_2) | instskip(NEXT) | instid1(VALU_DEP_1)
	v_cndmask_b32_e64 v140, 0x7fff, 0, s29
	v_dual_lshrrev_b32 v61, s48, v61 :: v_dual_bitop2_b32 v60, v140, v60 bitop3:0x14
	s_delay_alu instid0(VALU_DEP_1) | instskip(NEXT) | instid1(VALU_DEP_1)
	v_and_b32_e32 v61, s52, v61
	v_lshlrev_b32_e32 v61, 2, v61
	ds_load_b32 v61, v61
	s_wait_dscnt 0x0
	v_add_nc_u32_e32 v61, v61, v81
	global_store_b16 v61, v60, s[40:41] scale_offset
	s_wait_xcnt 0x0
	s_or_b32 exec_lo, exec_lo, s30
	v_cmp_lt_u32_e64 s29, v82, v139
	s_and_saveexec_b32 s58, s29
	s_cbranch_execnz .LBB1730_482
	s_branch .LBB1730_483
.LBB1730_550:                           ;   in Loop: Header=BB1730_388 Depth=2
	global_load_b64 v[58:59], v[60:61], off
	s_wait_xcnt 0x0
	s_or_b32 exec_lo, exec_lo, s30
	s_delay_alu instid0(SALU_CYCLE_1)
	s_mov_b32 s42, exec_lo
	v_cmpx_lt_u32_e64 v103, v139
	s_cbranch_execz .LBB1730_485
.LBB1730_551:                           ;   in Loop: Header=BB1730_388 Depth=2
	global_load_b64 v[56:57], v[60:61], off offset:256
	s_wait_xcnt 0x0
	s_or_b32 exec_lo, exec_lo, s42
	s_delay_alu instid0(SALU_CYCLE_1)
	s_mov_b32 s42, exec_lo
	v_cmpx_lt_u32_e64 v104, v139
	s_cbranch_execz .LBB1730_486
.LBB1730_552:                           ;   in Loop: Header=BB1730_388 Depth=2
	global_load_b64 v[54:55], v[60:61], off offset:512
	s_wait_xcnt 0x0
	s_or_b32 exec_lo, exec_lo, s42
	s_delay_alu instid0(SALU_CYCLE_1)
	s_mov_b32 s42, exec_lo
	v_cmpx_lt_u32_e64 v105, v139
	s_cbranch_execz .LBB1730_487
.LBB1730_553:                           ;   in Loop: Header=BB1730_388 Depth=2
	global_load_b64 v[52:53], v[60:61], off offset:768
	s_wait_xcnt 0x0
	s_or_b32 exec_lo, exec_lo, s42
	s_delay_alu instid0(SALU_CYCLE_1)
	s_mov_b32 s42, exec_lo
	v_cmpx_lt_u32_e64 v106, v139
	s_cbranch_execz .LBB1730_488
.LBB1730_554:                           ;   in Loop: Header=BB1730_388 Depth=2
	global_load_b64 v[50:51], v[60:61], off offset:1024
	s_wait_xcnt 0x0
	s_or_b32 exec_lo, exec_lo, s42
	s_delay_alu instid0(SALU_CYCLE_1)
	s_mov_b32 s42, exec_lo
	v_cmpx_lt_u32_e64 v107, v139
	s_cbranch_execz .LBB1730_489
.LBB1730_555:                           ;   in Loop: Header=BB1730_388 Depth=2
	global_load_b64 v[48:49], v[60:61], off offset:1280
	s_wait_xcnt 0x0
	s_or_b32 exec_lo, exec_lo, s42
	s_delay_alu instid0(SALU_CYCLE_1)
	s_mov_b32 s42, exec_lo
	v_cmpx_lt_u32_e64 v108, v139
	s_cbranch_execz .LBB1730_490
.LBB1730_556:                           ;   in Loop: Header=BB1730_388 Depth=2
	global_load_b64 v[46:47], v[60:61], off offset:1536
	s_wait_xcnt 0x0
	s_or_b32 exec_lo, exec_lo, s42
	s_delay_alu instid0(SALU_CYCLE_1)
	s_mov_b32 s42, exec_lo
	v_cmpx_lt_u32_e64 v109, v139
	s_cbranch_execz .LBB1730_491
.LBB1730_557:                           ;   in Loop: Header=BB1730_388 Depth=2
	global_load_b64 v[44:45], v[60:61], off offset:1792
	s_wait_xcnt 0x0
	s_or_b32 exec_lo, exec_lo, s42
	s_delay_alu instid0(SALU_CYCLE_1)
	s_mov_b32 s42, exec_lo
	v_cmpx_lt_u32_e64 v110, v139
	s_cbranch_execz .LBB1730_492
.LBB1730_558:                           ;   in Loop: Header=BB1730_388 Depth=2
	global_load_b64 v[42:43], v[60:61], off offset:2048
	s_wait_xcnt 0x0
	s_or_b32 exec_lo, exec_lo, s42
	s_delay_alu instid0(SALU_CYCLE_1)
	s_mov_b32 s42, exec_lo
	v_cmpx_lt_u32_e64 v111, v139
	s_cbranch_execz .LBB1730_493
.LBB1730_559:                           ;   in Loop: Header=BB1730_388 Depth=2
	global_load_b64 v[40:41], v[60:61], off offset:2304
	s_wait_xcnt 0x0
	s_or_b32 exec_lo, exec_lo, s42
	s_delay_alu instid0(SALU_CYCLE_1)
	s_mov_b32 s42, exec_lo
	v_cmpx_lt_u32_e64 v112, v139
	s_cbranch_execz .LBB1730_494
.LBB1730_560:                           ;   in Loop: Header=BB1730_388 Depth=2
	global_load_b64 v[38:39], v[60:61], off offset:2560
	s_wait_xcnt 0x0
	s_or_b32 exec_lo, exec_lo, s42
	s_delay_alu instid0(SALU_CYCLE_1)
	s_mov_b32 s42, exec_lo
	v_cmpx_lt_u32_e64 v113, v139
	s_cbranch_execz .LBB1730_495
.LBB1730_561:                           ;   in Loop: Header=BB1730_388 Depth=2
	global_load_b64 v[36:37], v[60:61], off offset:2816
	s_wait_xcnt 0x0
	s_or_b32 exec_lo, exec_lo, s42
	s_delay_alu instid0(SALU_CYCLE_1)
	s_mov_b32 s42, exec_lo
	v_cmpx_lt_u32_e64 v114, v139
	s_cbranch_execz .LBB1730_496
.LBB1730_562:                           ;   in Loop: Header=BB1730_388 Depth=2
	global_load_b64 v[34:35], v[60:61], off offset:3072
	s_wait_xcnt 0x0
	s_or_b32 exec_lo, exec_lo, s42
	s_delay_alu instid0(SALU_CYCLE_1)
	s_mov_b32 s42, exec_lo
	v_cmpx_lt_u32_e64 v115, v139
	s_cbranch_execz .LBB1730_497
.LBB1730_563:                           ;   in Loop: Header=BB1730_388 Depth=2
	global_load_b64 v[32:33], v[60:61], off offset:3328
	s_wait_xcnt 0x0
	s_or_b32 exec_lo, exec_lo, s42
	s_delay_alu instid0(SALU_CYCLE_1)
	s_mov_b32 s42, exec_lo
	v_cmpx_lt_u32_e64 v116, v139
	s_cbranch_execz .LBB1730_498
.LBB1730_564:                           ;   in Loop: Header=BB1730_388 Depth=2
	global_load_b64 v[30:31], v[60:61], off offset:3584
	s_wait_xcnt 0x0
	s_or_b32 exec_lo, exec_lo, s42
	s_delay_alu instid0(SALU_CYCLE_1)
	s_mov_b32 s42, exec_lo
	v_cmpx_lt_u32_e64 v117, v139
	s_cbranch_execz .LBB1730_499
.LBB1730_565:                           ;   in Loop: Header=BB1730_388 Depth=2
	global_load_b64 v[28:29], v[60:61], off offset:3840
	s_wait_xcnt 0x0
	s_or_b32 exec_lo, exec_lo, s42
	s_and_saveexec_b32 s42, vcc_lo
	s_cbranch_execz .LBB1730_500
.LBB1730_566:                           ;   in Loop: Header=BB1730_388 Depth=2
	ds_load_u16 v60, v93 offset:1024
	s_wait_dscnt 0x0
	v_cmp_ne_u16_e64 s30, 0x8000, v60
	s_delay_alu instid0(VALU_DEP_1) | instskip(NEXT) | instid1(VALU_DEP_1)
	v_cndmask_b32_e64 v60, 0x7fff, v60, s30
	v_and_b32_e32 v60, 0xffff, v60
	s_delay_alu instid0(VALU_DEP_1) | instskip(NEXT) | instid1(VALU_DEP_1)
	v_lshrrev_b32_e32 v60, s48, v60
	v_and_b32_e32 v138, s52, v60
	s_or_b32 exec_lo, exec_lo, s42
	s_and_saveexec_b32 s42, s15
	s_cbranch_execz .LBB1730_501
.LBB1730_567:                           ;   in Loop: Header=BB1730_388 Depth=2
	ds_load_u16 v60, v93 offset:1536
	s_wait_dscnt 0x0
	v_cmp_ne_u16_e64 s30, 0x8000, v60
	s_delay_alu instid0(VALU_DEP_1) | instskip(NEXT) | instid1(VALU_DEP_1)
	v_cndmask_b32_e64 v60, 0x7fff, v60, s30
	v_and_b32_e32 v60, 0xffff, v60
	s_delay_alu instid0(VALU_DEP_1) | instskip(NEXT) | instid1(VALU_DEP_1)
	v_lshrrev_b32_e32 v60, s48, v60
	v_and_b32_e32 v137, s52, v60
	s_or_b32 exec_lo, exec_lo, s42
	s_and_saveexec_b32 s42, s16
	s_cbranch_execz .LBB1730_502
.LBB1730_568:                           ;   in Loop: Header=BB1730_388 Depth=2
	ds_load_u16 v60, v93 offset:2048
	s_wait_dscnt 0x0
	v_cmp_ne_u16_e64 s30, 0x8000, v60
	s_delay_alu instid0(VALU_DEP_1) | instskip(NEXT) | instid1(VALU_DEP_1)
	v_cndmask_b32_e64 v60, 0x7fff, v60, s30
	v_and_b32_e32 v60, 0xffff, v60
	s_delay_alu instid0(VALU_DEP_1) | instskip(NEXT) | instid1(VALU_DEP_1)
	v_lshrrev_b32_e32 v60, s48, v60
	v_and_b32_e32 v136, s52, v60
	s_or_b32 exec_lo, exec_lo, s42
	s_and_saveexec_b32 s42, s17
	s_cbranch_execz .LBB1730_503
.LBB1730_569:                           ;   in Loop: Header=BB1730_388 Depth=2
	ds_load_u16 v60, v93 offset:2560
	s_wait_dscnt 0x0
	v_cmp_ne_u16_e64 s30, 0x8000, v60
	s_delay_alu instid0(VALU_DEP_1) | instskip(NEXT) | instid1(VALU_DEP_1)
	v_cndmask_b32_e64 v60, 0x7fff, v60, s30
	v_and_b32_e32 v60, 0xffff, v60
	s_delay_alu instid0(VALU_DEP_1) | instskip(NEXT) | instid1(VALU_DEP_1)
	v_lshrrev_b32_e32 v60, s48, v60
	v_and_b32_e32 v135, s52, v60
	s_or_b32 exec_lo, exec_lo, s42
	s_and_saveexec_b32 s42, s18
	s_cbranch_execz .LBB1730_504
.LBB1730_570:                           ;   in Loop: Header=BB1730_388 Depth=2
	ds_load_u16 v60, v93 offset:3072
	s_wait_dscnt 0x0
	v_cmp_ne_u16_e64 s30, 0x8000, v60
	s_delay_alu instid0(VALU_DEP_1) | instskip(NEXT) | instid1(VALU_DEP_1)
	v_cndmask_b32_e64 v60, 0x7fff, v60, s30
	v_and_b32_e32 v60, 0xffff, v60
	s_delay_alu instid0(VALU_DEP_1) | instskip(NEXT) | instid1(VALU_DEP_1)
	v_lshrrev_b32_e32 v60, s48, v60
	v_and_b32_e32 v134, s52, v60
	s_or_b32 exec_lo, exec_lo, s42
	s_and_saveexec_b32 s42, s19
	s_cbranch_execz .LBB1730_505
.LBB1730_571:                           ;   in Loop: Header=BB1730_388 Depth=2
	ds_load_u16 v60, v93 offset:3584
	s_wait_dscnt 0x0
	v_cmp_ne_u16_e64 s30, 0x8000, v60
	s_delay_alu instid0(VALU_DEP_1) | instskip(NEXT) | instid1(VALU_DEP_1)
	v_cndmask_b32_e64 v60, 0x7fff, v60, s30
	v_and_b32_e32 v60, 0xffff, v60
	s_delay_alu instid0(VALU_DEP_1) | instskip(NEXT) | instid1(VALU_DEP_1)
	v_lshrrev_b32_e32 v60, s48, v60
	v_and_b32_e32 v133, s52, v60
	s_or_b32 exec_lo, exec_lo, s42
	s_and_saveexec_b32 s42, s20
	s_cbranch_execz .LBB1730_506
.LBB1730_572:                           ;   in Loop: Header=BB1730_388 Depth=2
	ds_load_u16 v60, v93 offset:4096
	s_wait_dscnt 0x0
	v_cmp_ne_u16_e64 s30, 0x8000, v60
	s_delay_alu instid0(VALU_DEP_1) | instskip(NEXT) | instid1(VALU_DEP_1)
	v_cndmask_b32_e64 v60, 0x7fff, v60, s30
	v_and_b32_e32 v60, 0xffff, v60
	s_delay_alu instid0(VALU_DEP_1) | instskip(NEXT) | instid1(VALU_DEP_1)
	v_lshrrev_b32_e32 v60, s48, v60
	v_and_b32_e32 v132, s52, v60
	s_or_b32 exec_lo, exec_lo, s42
	s_and_saveexec_b32 s42, s21
	s_cbranch_execz .LBB1730_507
.LBB1730_573:                           ;   in Loop: Header=BB1730_388 Depth=2
	ds_load_u16 v60, v93 offset:4608
	s_wait_dscnt 0x0
	v_cmp_ne_u16_e64 s30, 0x8000, v60
	s_delay_alu instid0(VALU_DEP_1) | instskip(NEXT) | instid1(VALU_DEP_1)
	v_cndmask_b32_e64 v60, 0x7fff, v60, s30
	v_and_b32_e32 v60, 0xffff, v60
	s_delay_alu instid0(VALU_DEP_1) | instskip(NEXT) | instid1(VALU_DEP_1)
	v_lshrrev_b32_e32 v60, s48, v60
	v_and_b32_e32 v131, s52, v60
	s_or_b32 exec_lo, exec_lo, s42
	s_and_saveexec_b32 s42, s22
	s_cbranch_execz .LBB1730_508
.LBB1730_574:                           ;   in Loop: Header=BB1730_388 Depth=2
	ds_load_u16 v60, v93 offset:5120
	s_wait_dscnt 0x0
	v_cmp_ne_u16_e64 s30, 0x8000, v60
	s_delay_alu instid0(VALU_DEP_1) | instskip(NEXT) | instid1(VALU_DEP_1)
	v_cndmask_b32_e64 v60, 0x7fff, v60, s30
	v_and_b32_e32 v60, 0xffff, v60
	s_delay_alu instid0(VALU_DEP_1) | instskip(NEXT) | instid1(VALU_DEP_1)
	v_lshrrev_b32_e32 v60, s48, v60
	v_and_b32_e32 v130, s52, v60
	s_or_b32 exec_lo, exec_lo, s42
	s_and_saveexec_b32 s42, s23
	s_cbranch_execz .LBB1730_509
.LBB1730_575:                           ;   in Loop: Header=BB1730_388 Depth=2
	ds_load_u16 v60, v93 offset:5632
	s_wait_dscnt 0x0
	v_cmp_ne_u16_e64 s30, 0x8000, v60
	s_delay_alu instid0(VALU_DEP_1) | instskip(NEXT) | instid1(VALU_DEP_1)
	v_cndmask_b32_e64 v60, 0x7fff, v60, s30
	v_and_b32_e32 v60, 0xffff, v60
	s_delay_alu instid0(VALU_DEP_1) | instskip(NEXT) | instid1(VALU_DEP_1)
	v_lshrrev_b32_e32 v60, s48, v60
	v_and_b32_e32 v129, s52, v60
	s_or_b32 exec_lo, exec_lo, s42
	s_and_saveexec_b32 s42, s24
	s_cbranch_execz .LBB1730_510
.LBB1730_576:                           ;   in Loop: Header=BB1730_388 Depth=2
	ds_load_u16 v60, v93 offset:6144
	s_wait_dscnt 0x0
	v_cmp_ne_u16_e64 s30, 0x8000, v60
	s_delay_alu instid0(VALU_DEP_1) | instskip(NEXT) | instid1(VALU_DEP_1)
	v_cndmask_b32_e64 v60, 0x7fff, v60, s30
	v_and_b32_e32 v60, 0xffff, v60
	s_delay_alu instid0(VALU_DEP_1) | instskip(NEXT) | instid1(VALU_DEP_1)
	v_lshrrev_b32_e32 v60, s48, v60
	v_and_b32_e32 v128, s52, v60
	s_or_b32 exec_lo, exec_lo, s42
	s_and_saveexec_b32 s42, s25
	s_cbranch_execz .LBB1730_511
.LBB1730_577:                           ;   in Loop: Header=BB1730_388 Depth=2
	ds_load_u16 v60, v93 offset:6656
	s_wait_dscnt 0x0
	v_cmp_ne_u16_e64 s30, 0x8000, v60
	s_delay_alu instid0(VALU_DEP_1) | instskip(NEXT) | instid1(VALU_DEP_1)
	v_cndmask_b32_e64 v60, 0x7fff, v60, s30
	v_and_b32_e32 v60, 0xffff, v60
	s_delay_alu instid0(VALU_DEP_1) | instskip(NEXT) | instid1(VALU_DEP_1)
	v_lshrrev_b32_e32 v60, s48, v60
	v_and_b32_e32 v127, s52, v60
	s_or_b32 exec_lo, exec_lo, s42
	s_and_saveexec_b32 s42, s26
	s_cbranch_execz .LBB1730_512
.LBB1730_578:                           ;   in Loop: Header=BB1730_388 Depth=2
	ds_load_u16 v60, v93 offset:7168
	s_wait_dscnt 0x0
	v_cmp_ne_u16_e64 s30, 0x8000, v60
	s_delay_alu instid0(VALU_DEP_1) | instskip(NEXT) | instid1(VALU_DEP_1)
	v_cndmask_b32_e64 v60, 0x7fff, v60, s30
	v_and_b32_e32 v60, 0xffff, v60
	s_delay_alu instid0(VALU_DEP_1) | instskip(NEXT) | instid1(VALU_DEP_1)
	v_lshrrev_b32_e32 v60, s48, v60
	v_and_b32_e32 v126, s52, v60
	s_or_b32 exec_lo, exec_lo, s42
	s_and_saveexec_b32 s42, s27
	s_cbranch_execz .LBB1730_513
.LBB1730_579:                           ;   in Loop: Header=BB1730_388 Depth=2
	ds_load_u16 v60, v93 offset:7680
	s_wait_dscnt 0x0
	v_cmp_ne_u16_e64 s30, 0x8000, v60
	s_delay_alu instid0(VALU_DEP_1) | instskip(NEXT) | instid1(VALU_DEP_1)
	v_cndmask_b32_e64 v60, 0x7fff, v60, s30
	v_and_b32_e32 v60, 0xffff, v60
	s_delay_alu instid0(VALU_DEP_1) | instskip(NEXT) | instid1(VALU_DEP_1)
	v_lshrrev_b32_e32 v60, s48, v60
	v_and_b32_e32 v125, s52, v60
	s_or_b32 exec_lo, exec_lo, s42
	s_and_saveexec_b32 s42, s28
	s_cbranch_execz .LBB1730_514
.LBB1730_580:                           ;   in Loop: Header=BB1730_388 Depth=2
	ds_load_u16 v60, v93 offset:8192
	s_wait_dscnt 0x0
	v_cmp_ne_u16_e64 s30, 0x8000, v60
	s_delay_alu instid0(VALU_DEP_1) | instskip(NEXT) | instid1(VALU_DEP_1)
	v_cndmask_b32_e64 v60, 0x7fff, v60, s30
	v_and_b32_e32 v60, 0xffff, v60
	s_delay_alu instid0(VALU_DEP_1) | instskip(NEXT) | instid1(VALU_DEP_1)
	v_lshrrev_b32_e32 v60, s48, v60
	v_and_b32_e32 v124, s52, v60
	s_or_b32 exec_lo, exec_lo, s42
	s_and_saveexec_b32 s42, s29
	s_cbranch_execnz .LBB1730_515
	s_branch .LBB1730_516
.LBB1730_581:                           ;   in Loop: Header=BB1730_388 Depth=2
	v_lshlrev_b32_e32 v60, 2, v138
	v_add_nc_u32_e32 v61, v93, v94
	ds_load_b32 v63, v60
	ds_load_b64 v[60:61], v61 offset:1024
	s_wait_dscnt 0x1
	v_add_nc_u32_e32 v63, v63, v2
	s_wait_dscnt 0x0
	global_store_b64 v63, v[60:61], s[46:47] scale_offset
	s_wait_xcnt 0x0
	s_or_b32 exec_lo, exec_lo, s30
	s_and_saveexec_b32 s30, s15
	s_cbranch_execz .LBB1730_518
.LBB1730_582:                           ;   in Loop: Header=BB1730_388 Depth=2
	v_dual_lshlrev_b32 v60, 2, v137 :: v_dual_add_nc_u32 v61, v93, v94
	ds_load_b32 v63, v60
	ds_load_b64 v[60:61], v61 offset:3072
	s_wait_dscnt 0x1
	v_add_nc_u32_e32 v63, v63, v68
	s_wait_dscnt 0x0
	global_store_b64 v63, v[60:61], s[46:47] scale_offset
	s_wait_xcnt 0x0
	s_or_b32 exec_lo, exec_lo, s30
	s_and_saveexec_b32 s15, s16
	s_cbranch_execz .LBB1730_519
.LBB1730_583:                           ;   in Loop: Header=BB1730_388 Depth=2
	v_dual_lshlrev_b32 v60, 2, v136 :: v_dual_add_nc_u32 v61, v93, v94
	ds_load_b32 v63, v60
	ds_load_b64 v[60:61], v61 offset:5120
	s_wait_dscnt 0x1
	v_add_nc_u32_e32 v63, v63, v69
	s_wait_dscnt 0x0
	global_store_b64 v63, v[60:61], s[46:47] scale_offset
	s_wait_xcnt 0x0
	s_or_b32 exec_lo, exec_lo, s15
	s_and_saveexec_b32 s15, s17
	s_cbranch_execz .LBB1730_520
.LBB1730_584:                           ;   in Loop: Header=BB1730_388 Depth=2
	v_dual_lshlrev_b32 v60, 2, v135 :: v_dual_add_nc_u32 v61, v93, v94
	ds_load_b32 v63, v60
	ds_load_b64 v[60:61], v61 offset:7168
	s_wait_dscnt 0x1
	v_add_nc_u32_e32 v63, v63, v70
	s_wait_dscnt 0x0
	global_store_b64 v63, v[60:61], s[46:47] scale_offset
	s_wait_xcnt 0x0
	s_or_b32 exec_lo, exec_lo, s15
	s_and_saveexec_b32 s15, s18
	s_cbranch_execz .LBB1730_521
.LBB1730_585:                           ;   in Loop: Header=BB1730_388 Depth=2
	v_lshlrev_b32_e32 v60, 2, v134
	v_add_nc_u32_e32 v61, v93, v94
	ds_load_b32 v63, v60
	ds_load_b64 v[60:61], v61 offset:9216
	s_wait_dscnt 0x1
	v_add_nc_u32_e32 v63, v63, v71
	s_wait_dscnt 0x0
	global_store_b64 v63, v[60:61], s[46:47] scale_offset
	s_wait_xcnt 0x0
	s_or_b32 exec_lo, exec_lo, s15
	s_and_saveexec_b32 s15, s19
	s_cbranch_execz .LBB1730_522
.LBB1730_586:                           ;   in Loop: Header=BB1730_388 Depth=2
	v_dual_lshlrev_b32 v60, 2, v133 :: v_dual_add_nc_u32 v61, v93, v94
	ds_load_b32 v63, v60
	ds_load_b64 v[60:61], v61 offset:11264
	s_wait_dscnt 0x1
	v_add_nc_u32_e32 v63, v63, v72
	s_wait_dscnt 0x0
	global_store_b64 v63, v[60:61], s[46:47] scale_offset
	s_wait_xcnt 0x0
	s_or_b32 exec_lo, exec_lo, s15
	s_and_saveexec_b32 s15, s20
	s_cbranch_execz .LBB1730_523
.LBB1730_587:                           ;   in Loop: Header=BB1730_388 Depth=2
	v_dual_lshlrev_b32 v60, 2, v132 :: v_dual_add_nc_u32 v61, v93, v94
	ds_load_b32 v63, v60
	ds_load_b64 v[60:61], v61 offset:13312
	s_wait_dscnt 0x1
	v_add_nc_u32_e32 v63, v63, v73
	s_wait_dscnt 0x0
	global_store_b64 v63, v[60:61], s[46:47] scale_offset
	s_wait_xcnt 0x0
	s_or_b32 exec_lo, exec_lo, s15
	s_and_saveexec_b32 s15, s21
	s_cbranch_execz .LBB1730_524
.LBB1730_588:                           ;   in Loop: Header=BB1730_388 Depth=2
	v_dual_lshlrev_b32 v60, 2, v131 :: v_dual_add_nc_u32 v61, v93, v94
	ds_load_b32 v63, v60
	ds_load_b64 v[60:61], v61 offset:15360
	s_wait_dscnt 0x1
	v_add_nc_u32_e32 v63, v63, v74
	s_wait_dscnt 0x0
	global_store_b64 v63, v[60:61], s[46:47] scale_offset
	s_wait_xcnt 0x0
	s_or_b32 exec_lo, exec_lo, s15
	s_and_saveexec_b32 s15, s22
	s_cbranch_execz .LBB1730_525
.LBB1730_589:                           ;   in Loop: Header=BB1730_388 Depth=2
	v_lshlrev_b32_e32 v60, 2, v130
	v_add_nc_u32_e32 v61, v93, v94
	ds_load_b32 v63, v60
	ds_load_b64 v[60:61], v61 offset:17408
	s_wait_dscnt 0x1
	v_add_nc_u32_e32 v63, v63, v75
	s_wait_dscnt 0x0
	global_store_b64 v63, v[60:61], s[46:47] scale_offset
	s_wait_xcnt 0x0
	s_or_b32 exec_lo, exec_lo, s15
	s_and_saveexec_b32 s15, s23
	s_cbranch_execz .LBB1730_526
.LBB1730_590:                           ;   in Loop: Header=BB1730_388 Depth=2
	v_dual_lshlrev_b32 v60, 2, v129 :: v_dual_add_nc_u32 v61, v93, v94
	ds_load_b32 v63, v60
	ds_load_b64 v[60:61], v61 offset:19456
	s_wait_dscnt 0x1
	v_add_nc_u32_e32 v63, v63, v76
	s_wait_dscnt 0x0
	global_store_b64 v63, v[60:61], s[46:47] scale_offset
	s_wait_xcnt 0x0
	s_or_b32 exec_lo, exec_lo, s15
	s_and_saveexec_b32 s15, s24
	s_cbranch_execz .LBB1730_527
.LBB1730_591:                           ;   in Loop: Header=BB1730_388 Depth=2
	v_dual_lshlrev_b32 v60, 2, v128 :: v_dual_add_nc_u32 v61, v93, v94
	ds_load_b32 v63, v60
	ds_load_b64 v[60:61], v61 offset:21504
	s_wait_dscnt 0x1
	v_add_nc_u32_e32 v63, v63, v77
	s_wait_dscnt 0x0
	global_store_b64 v63, v[60:61], s[46:47] scale_offset
	s_wait_xcnt 0x0
	s_or_b32 exec_lo, exec_lo, s15
	s_and_saveexec_b32 s15, s25
	s_cbranch_execz .LBB1730_528
.LBB1730_592:                           ;   in Loop: Header=BB1730_388 Depth=2
	v_dual_lshlrev_b32 v60, 2, v127 :: v_dual_add_nc_u32 v61, v93, v94
	ds_load_b32 v63, v60
	ds_load_b64 v[60:61], v61 offset:23552
	s_wait_dscnt 0x1
	v_add_nc_u32_e32 v63, v63, v78
	s_wait_dscnt 0x0
	global_store_b64 v63, v[60:61], s[46:47] scale_offset
	s_wait_xcnt 0x0
	s_or_b32 exec_lo, exec_lo, s15
	s_and_saveexec_b32 s15, s26
	s_cbranch_execz .LBB1730_529
.LBB1730_593:                           ;   in Loop: Header=BB1730_388 Depth=2
	v_lshlrev_b32_e32 v60, 2, v126
	v_add_nc_u32_e32 v61, v93, v94
	ds_load_b32 v63, v60
	ds_load_b64 v[60:61], v61 offset:25600
	s_wait_dscnt 0x1
	v_add_nc_u32_e32 v63, v63, v79
	s_wait_dscnt 0x0
	global_store_b64 v63, v[60:61], s[46:47] scale_offset
	s_wait_xcnt 0x0
	s_or_b32 exec_lo, exec_lo, s15
	s_and_saveexec_b32 s15, s27
	s_cbranch_execz .LBB1730_530
.LBB1730_594:                           ;   in Loop: Header=BB1730_388 Depth=2
	v_dual_lshlrev_b32 v60, 2, v125 :: v_dual_add_nc_u32 v61, v93, v94
	ds_load_b32 v63, v60
	ds_load_b64 v[60:61], v61 offset:27648
	s_wait_dscnt 0x1
	v_add_nc_u32_e32 v63, v63, v80
	s_wait_dscnt 0x0
	global_store_b64 v63, v[60:61], s[46:47] scale_offset
	s_wait_xcnt 0x0
	s_or_b32 exec_lo, exec_lo, s15
	s_and_saveexec_b32 s15, s28
	s_cbranch_execz .LBB1730_531
.LBB1730_595:                           ;   in Loop: Header=BB1730_388 Depth=2
	v_dual_lshlrev_b32 v60, 2, v124 :: v_dual_add_nc_u32 v61, v93, v94
	ds_load_b32 v63, v60
	ds_load_b64 v[60:61], v61 offset:29696
	s_wait_dscnt 0x1
	v_add_nc_u32_e32 v63, v63, v81
	s_wait_dscnt 0x0
	global_store_b64 v63, v[60:61], s[46:47] scale_offset
	s_wait_xcnt 0x0
	s_or_b32 exec_lo, exec_lo, s15
	s_and_saveexec_b32 s15, s29
	s_cbranch_execnz .LBB1730_532
	s_branch .LBB1730_533
.LBB1730_596:                           ;   in Loop: Header=BB1730_12 Depth=1
	s_wait_dscnt 0x0
	s_barrier_signal -1
	s_barrier_wait -1
.LBB1730_597:                           ;   in Loop: Header=BB1730_12 Depth=1
	s_mov_b32 s7, 0
.LBB1730_598:                           ;   in Loop: Header=BB1730_12 Depth=1
	s_delay_alu instid0(SALU_CYCLE_1)
	s_and_not1_b32 vcc_lo, exec_lo, s7
	s_cbranch_vccnz .LBB1730_11
; %bb.599:                              ;   in Loop: Header=BB1730_12 Depth=1
	s_and_b32 vcc_lo, exec_lo, s55
	s_mov_b32 s7, -1
	s_cbranch_vccz .LBB1730_891
; %bb.600:                              ;   in Loop: Header=BB1730_12 Depth=1
	s_mov_b32 s7, s56
	s_mov_b32 s42, s54
	s_barrier_signal -1
	s_barrier_wait -1
                                        ; implicit-def: $vgpr23
                                        ; implicit-def: $vgpr24
                                        ; implicit-def: $vgpr25
                                        ; implicit-def: $vgpr26
                                        ; implicit-def: $vgpr27
                                        ; implicit-def: $vgpr28
                                        ; implicit-def: $vgpr29
                                        ; implicit-def: $vgpr30
                                        ; implicit-def: $vgpr31
                                        ; implicit-def: $vgpr32
                                        ; implicit-def: $vgpr33
                                        ; implicit-def: $vgpr34
                                        ; implicit-def: $vgpr35
                                        ; implicit-def: $vgpr36
                                        ; implicit-def: $vgpr37
                                        ; implicit-def: $vgpr38
	s_branch .LBB1730_602
.LBB1730_601:                           ;   in Loop: Header=BB1730_602 Depth=2
	s_or_b32 exec_lo, exec_lo, s8
	s_addk_co_i32 s7, 0xf000
	s_cmp_ge_u32 s10, s51
	s_mov_b32 s42, s10
	s_cbranch_scc1 .LBB1730_670
.LBB1730_602:                           ;   Parent Loop BB1730_12 Depth=1
                                        ; =>  This Inner Loop Header: Depth=2
	s_add_co_i32 s10, s42, 0x1000
	s_mov_b32 s8, -1
	s_cmp_gt_u32 s10, s51
                                        ; implicit-def: $vgpr39
                                        ; implicit-def: $vgpr40
                                        ; implicit-def: $vgpr41
                                        ; implicit-def: $vgpr42
                                        ; implicit-def: $vgpr43
                                        ; implicit-def: $vgpr44
                                        ; implicit-def: $vgpr45
                                        ; implicit-def: $vgpr46
                                        ; implicit-def: $vgpr47
                                        ; implicit-def: $vgpr48
                                        ; implicit-def: $vgpr49
                                        ; implicit-def: $vgpr50
                                        ; implicit-def: $vgpr51
                                        ; implicit-def: $vgpr52
                                        ; implicit-def: $vgpr53
                                        ; implicit-def: $vgpr54
	s_cbranch_scc1 .LBB1730_604
; %bb.603:                              ;   in Loop: Header=BB1730_602 Depth=2
	v_lshl_add_u64 v[54:55], s[42:43], 1, v[16:17]
	s_mov_b32 s8, 0
	s_clause 0xf
	global_load_u16 v39, v[54:55], off
	global_load_u16 v40, v[54:55], off offset:512
	global_load_u16 v41, v[54:55], off offset:1024
	;; [unrolled: 1-line block ×15, first 2 shown]
.LBB1730_604:                           ;   in Loop: Header=BB1730_602 Depth=2
	s_and_not1_b32 vcc_lo, exec_lo, s8
	s_movk_i32 s8, 0x1000
	s_cbranch_vccnz .LBB1730_623
; %bb.605:                              ;   in Loop: Header=BB1730_602 Depth=2
	s_lshl_b64 s[8:9], s[42:43], 1
	s_mov_b32 s11, exec_lo
	s_add_nc_u64 s[8:9], s[36:37], s[8:9]
	s_wait_xcnt 0x0
	v_cmpx_gt_u32_e64 s7, v2
	s_cbranch_execnz .LBB1730_655
; %bb.606:                              ;   in Loop: Header=BB1730_602 Depth=2
	s_or_b32 exec_lo, exec_lo, s11
	s_delay_alu instid0(SALU_CYCLE_1)
	s_mov_b32 s11, exec_lo
	v_cmpx_gt_u32_e64 s7, v68
	s_cbranch_execnz .LBB1730_656
.LBB1730_607:                           ;   in Loop: Header=BB1730_602 Depth=2
	s_or_b32 exec_lo, exec_lo, s11
	s_delay_alu instid0(SALU_CYCLE_1)
	s_mov_b32 s11, exec_lo
	v_cmpx_gt_u32_e64 s7, v69
	s_cbranch_execnz .LBB1730_657
.LBB1730_608:                           ;   in Loop: Header=BB1730_602 Depth=2
	s_or_b32 exec_lo, exec_lo, s11
	s_delay_alu instid0(SALU_CYCLE_1)
	s_mov_b32 s11, exec_lo
	v_cmpx_gt_u32_e64 s7, v70
	s_cbranch_execnz .LBB1730_658
.LBB1730_609:                           ;   in Loop: Header=BB1730_602 Depth=2
	s_or_b32 exec_lo, exec_lo, s11
	s_delay_alu instid0(SALU_CYCLE_1)
	s_mov_b32 s11, exec_lo
	v_cmpx_gt_u32_e64 s7, v71
	s_cbranch_execnz .LBB1730_659
.LBB1730_610:                           ;   in Loop: Header=BB1730_602 Depth=2
	s_or_b32 exec_lo, exec_lo, s11
	s_delay_alu instid0(SALU_CYCLE_1)
	s_mov_b32 s11, exec_lo
	v_cmpx_gt_u32_e64 s7, v72
	s_cbranch_execnz .LBB1730_660
.LBB1730_611:                           ;   in Loop: Header=BB1730_602 Depth=2
	s_or_b32 exec_lo, exec_lo, s11
	s_delay_alu instid0(SALU_CYCLE_1)
	s_mov_b32 s11, exec_lo
	v_cmpx_gt_u32_e64 s7, v73
	s_cbranch_execnz .LBB1730_661
.LBB1730_612:                           ;   in Loop: Header=BB1730_602 Depth=2
	s_or_b32 exec_lo, exec_lo, s11
	s_delay_alu instid0(SALU_CYCLE_1)
	s_mov_b32 s11, exec_lo
	v_cmpx_gt_u32_e64 s7, v74
	s_cbranch_execnz .LBB1730_662
.LBB1730_613:                           ;   in Loop: Header=BB1730_602 Depth=2
	s_or_b32 exec_lo, exec_lo, s11
	s_delay_alu instid0(SALU_CYCLE_1)
	s_mov_b32 s11, exec_lo
	v_cmpx_gt_u32_e64 s7, v75
	s_cbranch_execnz .LBB1730_663
.LBB1730_614:                           ;   in Loop: Header=BB1730_602 Depth=2
	s_or_b32 exec_lo, exec_lo, s11
	s_delay_alu instid0(SALU_CYCLE_1)
	s_mov_b32 s11, exec_lo
	v_cmpx_gt_u32_e64 s7, v76
	s_cbranch_execnz .LBB1730_664
.LBB1730_615:                           ;   in Loop: Header=BB1730_602 Depth=2
	s_or_b32 exec_lo, exec_lo, s11
	s_delay_alu instid0(SALU_CYCLE_1)
	s_mov_b32 s11, exec_lo
	v_cmpx_gt_u32_e64 s7, v77
	s_cbranch_execnz .LBB1730_665
.LBB1730_616:                           ;   in Loop: Header=BB1730_602 Depth=2
	s_or_b32 exec_lo, exec_lo, s11
	s_delay_alu instid0(SALU_CYCLE_1)
	s_mov_b32 s11, exec_lo
	v_cmpx_gt_u32_e64 s7, v78
	s_cbranch_execnz .LBB1730_666
.LBB1730_617:                           ;   in Loop: Header=BB1730_602 Depth=2
	s_or_b32 exec_lo, exec_lo, s11
	s_delay_alu instid0(SALU_CYCLE_1)
	s_mov_b32 s11, exec_lo
	v_cmpx_gt_u32_e64 s7, v79
	s_cbranch_execnz .LBB1730_667
.LBB1730_618:                           ;   in Loop: Header=BB1730_602 Depth=2
	s_or_b32 exec_lo, exec_lo, s11
	s_delay_alu instid0(SALU_CYCLE_1)
	s_mov_b32 s11, exec_lo
	v_cmpx_gt_u32_e64 s7, v80
	s_cbranch_execnz .LBB1730_668
.LBB1730_619:                           ;   in Loop: Header=BB1730_602 Depth=2
	s_or_b32 exec_lo, exec_lo, s11
	s_delay_alu instid0(SALU_CYCLE_1)
	s_mov_b32 s11, exec_lo
	v_cmpx_gt_u32_e64 s7, v81
	s_cbranch_execnz .LBB1730_669
.LBB1730_620:                           ;   in Loop: Header=BB1730_602 Depth=2
	s_or_b32 exec_lo, exec_lo, s11
	s_delay_alu instid0(SALU_CYCLE_1)
	s_mov_b32 s11, exec_lo
	v_cmpx_gt_u32_e64 s7, v82
	s_cbranch_execz .LBB1730_622
.LBB1730_621:                           ;   in Loop: Header=BB1730_602 Depth=2
	global_load_u16 v23, v2, s[8:9] offset:7680 scale_offset
.LBB1730_622:                           ;   in Loop: Header=BB1730_602 Depth=2
	s_wait_xcnt 0x0
	s_or_b32 exec_lo, exec_lo, s11
	s_wait_loadcnt 0x0
	v_dual_mov_b32 v39, v38 :: v_dual_mov_b32 v40, v37
	v_dual_mov_b32 v41, v36 :: v_dual_mov_b32 v42, v35
	;; [unrolled: 1-line block ×8, first 2 shown]
	s_mov_b32 s8, s7
.LBB1730_623:                           ;   in Loop: Header=BB1730_602 Depth=2
	s_wait_loadcnt 0x0
	s_delay_alu instid0(VALU_DEP_1)
	v_dual_mov_b32 v23, v54 :: v_dual_mov_b32 v24, v53
	v_dual_mov_b32 v25, v52 :: v_dual_mov_b32 v26, v51
	;; [unrolled: 1-line block ×8, first 2 shown]
	s_mov_b32 s9, exec_lo
	s_wait_xcnt 0x0
	v_cmpx_gt_u32_e64 s8, v2
	s_cbranch_execnz .LBB1730_639
; %bb.624:                              ;   in Loop: Header=BB1730_602 Depth=2
	s_or_b32 exec_lo, exec_lo, s9
	s_delay_alu instid0(SALU_CYCLE_1)
	s_mov_b32 s9, exec_lo
	v_cmpx_gt_u32_e64 s8, v68
	s_cbranch_execnz .LBB1730_640
.LBB1730_625:                           ;   in Loop: Header=BB1730_602 Depth=2
	s_or_b32 exec_lo, exec_lo, s9
	s_delay_alu instid0(SALU_CYCLE_1)
	s_mov_b32 s9, exec_lo
	v_cmpx_gt_u32_e64 s8, v69
	s_cbranch_execnz .LBB1730_641
.LBB1730_626:                           ;   in Loop: Header=BB1730_602 Depth=2
	s_or_b32 exec_lo, exec_lo, s9
	s_delay_alu instid0(SALU_CYCLE_1)
	s_mov_b32 s9, exec_lo
	v_cmpx_gt_u32_e64 s8, v70
	s_cbranch_execnz .LBB1730_642
.LBB1730_627:                           ;   in Loop: Header=BB1730_602 Depth=2
	s_or_b32 exec_lo, exec_lo, s9
	s_delay_alu instid0(SALU_CYCLE_1)
	s_mov_b32 s9, exec_lo
	v_cmpx_gt_u32_e64 s8, v71
	s_cbranch_execnz .LBB1730_643
.LBB1730_628:                           ;   in Loop: Header=BB1730_602 Depth=2
	s_or_b32 exec_lo, exec_lo, s9
	s_delay_alu instid0(SALU_CYCLE_1)
	s_mov_b32 s9, exec_lo
	v_cmpx_gt_u32_e64 s8, v72
	s_cbranch_execnz .LBB1730_644
.LBB1730_629:                           ;   in Loop: Header=BB1730_602 Depth=2
	s_or_b32 exec_lo, exec_lo, s9
	s_delay_alu instid0(SALU_CYCLE_1)
	s_mov_b32 s9, exec_lo
	v_cmpx_gt_u32_e64 s8, v73
	s_cbranch_execnz .LBB1730_645
.LBB1730_630:                           ;   in Loop: Header=BB1730_602 Depth=2
	s_or_b32 exec_lo, exec_lo, s9
	s_delay_alu instid0(SALU_CYCLE_1)
	s_mov_b32 s9, exec_lo
	v_cmpx_gt_u32_e64 s8, v74
	s_cbranch_execnz .LBB1730_646
.LBB1730_631:                           ;   in Loop: Header=BB1730_602 Depth=2
	s_or_b32 exec_lo, exec_lo, s9
	s_delay_alu instid0(SALU_CYCLE_1)
	s_mov_b32 s9, exec_lo
	v_cmpx_gt_u32_e64 s8, v75
	s_cbranch_execnz .LBB1730_647
.LBB1730_632:                           ;   in Loop: Header=BB1730_602 Depth=2
	s_or_b32 exec_lo, exec_lo, s9
	s_delay_alu instid0(SALU_CYCLE_1)
	s_mov_b32 s9, exec_lo
	v_cmpx_gt_u32_e64 s8, v76
	s_cbranch_execnz .LBB1730_648
.LBB1730_633:                           ;   in Loop: Header=BB1730_602 Depth=2
	s_or_b32 exec_lo, exec_lo, s9
	s_delay_alu instid0(SALU_CYCLE_1)
	s_mov_b32 s9, exec_lo
	v_cmpx_gt_u32_e64 s8, v77
	s_cbranch_execnz .LBB1730_649
.LBB1730_634:                           ;   in Loop: Header=BB1730_602 Depth=2
	s_or_b32 exec_lo, exec_lo, s9
	s_delay_alu instid0(SALU_CYCLE_1)
	s_mov_b32 s9, exec_lo
	v_cmpx_gt_u32_e64 s8, v78
	s_cbranch_execnz .LBB1730_650
.LBB1730_635:                           ;   in Loop: Header=BB1730_602 Depth=2
	s_or_b32 exec_lo, exec_lo, s9
	s_delay_alu instid0(SALU_CYCLE_1)
	s_mov_b32 s9, exec_lo
	v_cmpx_gt_u32_e64 s8, v79
	s_cbranch_execnz .LBB1730_651
.LBB1730_636:                           ;   in Loop: Header=BB1730_602 Depth=2
	s_or_b32 exec_lo, exec_lo, s9
	s_delay_alu instid0(SALU_CYCLE_1)
	s_mov_b32 s9, exec_lo
	v_cmpx_gt_u32_e64 s8, v80
	s_cbranch_execnz .LBB1730_652
.LBB1730_637:                           ;   in Loop: Header=BB1730_602 Depth=2
	s_or_b32 exec_lo, exec_lo, s9
	s_delay_alu instid0(SALU_CYCLE_1)
	s_mov_b32 s9, exec_lo
	v_cmpx_gt_u32_e64 s8, v81
	s_cbranch_execnz .LBB1730_653
.LBB1730_638:                           ;   in Loop: Header=BB1730_602 Depth=2
	s_or_b32 exec_lo, exec_lo, s9
	v_cmp_gt_u32_e32 vcc_lo, s8, v82
	s_and_saveexec_b32 s8, vcc_lo
	s_cbranch_execz .LBB1730_601
	s_branch .LBB1730_654
.LBB1730_639:                           ;   in Loop: Header=BB1730_602 Depth=2
	v_cmp_gt_i16_e32 vcc_lo, 0, v38
	v_cndmask_b32_e64 v39, 0x7fff, 0, vcc_lo
	s_delay_alu instid0(VALU_DEP_1) | instskip(NEXT) | instid1(VALU_DEP_1)
	v_xor_b32_e32 v39, v39, v38
	v_cmp_ne_u16_e32 vcc_lo, 0x8000, v39
	v_cndmask_b32_e32 v39, 0x7fff, v39, vcc_lo
	s_delay_alu instid0(VALU_DEP_1) | instskip(NEXT) | instid1(VALU_DEP_1)
	v_and_b32_e32 v39, 0xffff, v39
	v_lshrrev_b32_e32 v39, s49, v39
	s_delay_alu instid0(VALU_DEP_1) | instskip(NEXT) | instid1(VALU_DEP_1)
	v_and_b32_e32 v39, s52, v39
	v_lshl_or_b32 v39, v39, 4, v83
	ds_add_u32 v39, v96
	s_or_b32 exec_lo, exec_lo, s9
	s_delay_alu instid0(SALU_CYCLE_1)
	s_mov_b32 s9, exec_lo
	v_cmpx_gt_u32_e64 s8, v68
	s_cbranch_execz .LBB1730_625
.LBB1730_640:                           ;   in Loop: Header=BB1730_602 Depth=2
	v_cmp_gt_i16_e32 vcc_lo, 0, v37
	v_cndmask_b32_e64 v39, 0x7fff, 0, vcc_lo
	s_delay_alu instid0(VALU_DEP_1) | instskip(NEXT) | instid1(VALU_DEP_1)
	v_xor_b32_e32 v39, v39, v37
	v_cmp_ne_u16_e32 vcc_lo, 0x8000, v39
	v_cndmask_b32_e32 v39, 0x7fff, v39, vcc_lo
	s_delay_alu instid0(VALU_DEP_1) | instskip(NEXT) | instid1(VALU_DEP_1)
	v_and_b32_e32 v39, 0xffff, v39
	v_lshrrev_b32_e32 v39, s49, v39
	s_delay_alu instid0(VALU_DEP_1) | instskip(NEXT) | instid1(VALU_DEP_1)
	v_and_b32_e32 v39, s52, v39
	v_lshl_or_b32 v39, v39, 4, v83
	ds_add_u32 v39, v96
	s_or_b32 exec_lo, exec_lo, s9
	s_delay_alu instid0(SALU_CYCLE_1)
	s_mov_b32 s9, exec_lo
	v_cmpx_gt_u32_e64 s8, v69
	s_cbranch_execz .LBB1730_626
.LBB1730_641:                           ;   in Loop: Header=BB1730_602 Depth=2
	v_cmp_gt_i16_e32 vcc_lo, 0, v36
	v_cndmask_b32_e64 v39, 0x7fff, 0, vcc_lo
	s_delay_alu instid0(VALU_DEP_1) | instskip(NEXT) | instid1(VALU_DEP_1)
	v_xor_b32_e32 v39, v39, v36
	v_cmp_ne_u16_e32 vcc_lo, 0x8000, v39
	v_cndmask_b32_e32 v39, 0x7fff, v39, vcc_lo
	s_delay_alu instid0(VALU_DEP_1) | instskip(NEXT) | instid1(VALU_DEP_1)
	v_and_b32_e32 v39, 0xffff, v39
	v_lshrrev_b32_e32 v39, s49, v39
	s_delay_alu instid0(VALU_DEP_1) | instskip(NEXT) | instid1(VALU_DEP_1)
	v_and_b32_e32 v39, s52, v39
	v_lshl_or_b32 v39, v39, 4, v83
	ds_add_u32 v39, v96
	s_or_b32 exec_lo, exec_lo, s9
	s_delay_alu instid0(SALU_CYCLE_1)
	s_mov_b32 s9, exec_lo
	v_cmpx_gt_u32_e64 s8, v70
	s_cbranch_execz .LBB1730_627
.LBB1730_642:                           ;   in Loop: Header=BB1730_602 Depth=2
	v_cmp_gt_i16_e32 vcc_lo, 0, v35
	v_cndmask_b32_e64 v39, 0x7fff, 0, vcc_lo
	s_delay_alu instid0(VALU_DEP_1) | instskip(NEXT) | instid1(VALU_DEP_1)
	v_xor_b32_e32 v39, v39, v35
	v_cmp_ne_u16_e32 vcc_lo, 0x8000, v39
	v_cndmask_b32_e32 v39, 0x7fff, v39, vcc_lo
	s_delay_alu instid0(VALU_DEP_1) | instskip(NEXT) | instid1(VALU_DEP_1)
	v_and_b32_e32 v39, 0xffff, v39
	v_lshrrev_b32_e32 v39, s49, v39
	s_delay_alu instid0(VALU_DEP_1) | instskip(NEXT) | instid1(VALU_DEP_1)
	v_and_b32_e32 v39, s52, v39
	v_lshl_or_b32 v39, v39, 4, v83
	ds_add_u32 v39, v96
	s_or_b32 exec_lo, exec_lo, s9
	s_delay_alu instid0(SALU_CYCLE_1)
	s_mov_b32 s9, exec_lo
	v_cmpx_gt_u32_e64 s8, v71
	s_cbranch_execz .LBB1730_628
.LBB1730_643:                           ;   in Loop: Header=BB1730_602 Depth=2
	v_cmp_gt_i16_e32 vcc_lo, 0, v34
	v_cndmask_b32_e64 v39, 0x7fff, 0, vcc_lo
	s_delay_alu instid0(VALU_DEP_1) | instskip(NEXT) | instid1(VALU_DEP_1)
	v_xor_b32_e32 v39, v39, v34
	v_cmp_ne_u16_e32 vcc_lo, 0x8000, v39
	v_cndmask_b32_e32 v39, 0x7fff, v39, vcc_lo
	s_delay_alu instid0(VALU_DEP_1) | instskip(NEXT) | instid1(VALU_DEP_1)
	v_and_b32_e32 v39, 0xffff, v39
	v_lshrrev_b32_e32 v39, s49, v39
	s_delay_alu instid0(VALU_DEP_1) | instskip(NEXT) | instid1(VALU_DEP_1)
	v_and_b32_e32 v39, s52, v39
	v_lshl_or_b32 v39, v39, 4, v83
	ds_add_u32 v39, v96
	s_or_b32 exec_lo, exec_lo, s9
	s_delay_alu instid0(SALU_CYCLE_1)
	s_mov_b32 s9, exec_lo
	v_cmpx_gt_u32_e64 s8, v72
	s_cbranch_execz .LBB1730_629
.LBB1730_644:                           ;   in Loop: Header=BB1730_602 Depth=2
	v_cmp_gt_i16_e32 vcc_lo, 0, v33
	v_cndmask_b32_e64 v39, 0x7fff, 0, vcc_lo
	s_delay_alu instid0(VALU_DEP_1) | instskip(NEXT) | instid1(VALU_DEP_1)
	v_xor_b32_e32 v39, v39, v33
	v_cmp_ne_u16_e32 vcc_lo, 0x8000, v39
	v_cndmask_b32_e32 v39, 0x7fff, v39, vcc_lo
	s_delay_alu instid0(VALU_DEP_1) | instskip(NEXT) | instid1(VALU_DEP_1)
	v_and_b32_e32 v39, 0xffff, v39
	v_lshrrev_b32_e32 v39, s49, v39
	s_delay_alu instid0(VALU_DEP_1) | instskip(NEXT) | instid1(VALU_DEP_1)
	v_and_b32_e32 v39, s52, v39
	v_lshl_or_b32 v39, v39, 4, v83
	ds_add_u32 v39, v96
	s_or_b32 exec_lo, exec_lo, s9
	s_delay_alu instid0(SALU_CYCLE_1)
	s_mov_b32 s9, exec_lo
	v_cmpx_gt_u32_e64 s8, v73
	s_cbranch_execz .LBB1730_630
.LBB1730_645:                           ;   in Loop: Header=BB1730_602 Depth=2
	v_cmp_gt_i16_e32 vcc_lo, 0, v32
	v_cndmask_b32_e64 v39, 0x7fff, 0, vcc_lo
	s_delay_alu instid0(VALU_DEP_1) | instskip(NEXT) | instid1(VALU_DEP_1)
	v_xor_b32_e32 v39, v39, v32
	v_cmp_ne_u16_e32 vcc_lo, 0x8000, v39
	v_cndmask_b32_e32 v39, 0x7fff, v39, vcc_lo
	s_delay_alu instid0(VALU_DEP_1) | instskip(NEXT) | instid1(VALU_DEP_1)
	v_and_b32_e32 v39, 0xffff, v39
	v_lshrrev_b32_e32 v39, s49, v39
	s_delay_alu instid0(VALU_DEP_1) | instskip(NEXT) | instid1(VALU_DEP_1)
	v_and_b32_e32 v39, s52, v39
	v_lshl_or_b32 v39, v39, 4, v83
	ds_add_u32 v39, v96
	s_or_b32 exec_lo, exec_lo, s9
	s_delay_alu instid0(SALU_CYCLE_1)
	s_mov_b32 s9, exec_lo
	v_cmpx_gt_u32_e64 s8, v74
	s_cbranch_execz .LBB1730_631
.LBB1730_646:                           ;   in Loop: Header=BB1730_602 Depth=2
	v_cmp_gt_i16_e32 vcc_lo, 0, v31
	v_cndmask_b32_e64 v39, 0x7fff, 0, vcc_lo
	s_delay_alu instid0(VALU_DEP_1) | instskip(NEXT) | instid1(VALU_DEP_1)
	v_xor_b32_e32 v39, v39, v31
	v_cmp_ne_u16_e32 vcc_lo, 0x8000, v39
	v_cndmask_b32_e32 v39, 0x7fff, v39, vcc_lo
	s_delay_alu instid0(VALU_DEP_1) | instskip(NEXT) | instid1(VALU_DEP_1)
	v_and_b32_e32 v39, 0xffff, v39
	v_lshrrev_b32_e32 v39, s49, v39
	s_delay_alu instid0(VALU_DEP_1) | instskip(NEXT) | instid1(VALU_DEP_1)
	v_and_b32_e32 v39, s52, v39
	v_lshl_or_b32 v39, v39, 4, v83
	ds_add_u32 v39, v96
	s_or_b32 exec_lo, exec_lo, s9
	s_delay_alu instid0(SALU_CYCLE_1)
	s_mov_b32 s9, exec_lo
	v_cmpx_gt_u32_e64 s8, v75
	s_cbranch_execz .LBB1730_632
.LBB1730_647:                           ;   in Loop: Header=BB1730_602 Depth=2
	v_cmp_gt_i16_e32 vcc_lo, 0, v30
	v_cndmask_b32_e64 v39, 0x7fff, 0, vcc_lo
	s_delay_alu instid0(VALU_DEP_1) | instskip(NEXT) | instid1(VALU_DEP_1)
	v_xor_b32_e32 v39, v39, v30
	v_cmp_ne_u16_e32 vcc_lo, 0x8000, v39
	v_cndmask_b32_e32 v39, 0x7fff, v39, vcc_lo
	s_delay_alu instid0(VALU_DEP_1) | instskip(NEXT) | instid1(VALU_DEP_1)
	v_and_b32_e32 v39, 0xffff, v39
	v_lshrrev_b32_e32 v39, s49, v39
	s_delay_alu instid0(VALU_DEP_1) | instskip(NEXT) | instid1(VALU_DEP_1)
	v_and_b32_e32 v39, s52, v39
	v_lshl_or_b32 v39, v39, 4, v83
	ds_add_u32 v39, v96
	s_or_b32 exec_lo, exec_lo, s9
	s_delay_alu instid0(SALU_CYCLE_1)
	s_mov_b32 s9, exec_lo
	v_cmpx_gt_u32_e64 s8, v76
	s_cbranch_execz .LBB1730_633
.LBB1730_648:                           ;   in Loop: Header=BB1730_602 Depth=2
	v_cmp_gt_i16_e32 vcc_lo, 0, v29
	v_cndmask_b32_e64 v39, 0x7fff, 0, vcc_lo
	s_delay_alu instid0(VALU_DEP_1) | instskip(NEXT) | instid1(VALU_DEP_1)
	v_xor_b32_e32 v39, v39, v29
	v_cmp_ne_u16_e32 vcc_lo, 0x8000, v39
	v_cndmask_b32_e32 v39, 0x7fff, v39, vcc_lo
	s_delay_alu instid0(VALU_DEP_1) | instskip(NEXT) | instid1(VALU_DEP_1)
	v_and_b32_e32 v39, 0xffff, v39
	v_lshrrev_b32_e32 v39, s49, v39
	s_delay_alu instid0(VALU_DEP_1) | instskip(NEXT) | instid1(VALU_DEP_1)
	v_and_b32_e32 v39, s52, v39
	v_lshl_or_b32 v39, v39, 4, v83
	ds_add_u32 v39, v96
	s_or_b32 exec_lo, exec_lo, s9
	s_delay_alu instid0(SALU_CYCLE_1)
	s_mov_b32 s9, exec_lo
	v_cmpx_gt_u32_e64 s8, v77
	s_cbranch_execz .LBB1730_634
.LBB1730_649:                           ;   in Loop: Header=BB1730_602 Depth=2
	v_cmp_gt_i16_e32 vcc_lo, 0, v28
	v_cndmask_b32_e64 v39, 0x7fff, 0, vcc_lo
	s_delay_alu instid0(VALU_DEP_1) | instskip(NEXT) | instid1(VALU_DEP_1)
	v_xor_b32_e32 v39, v39, v28
	v_cmp_ne_u16_e32 vcc_lo, 0x8000, v39
	v_cndmask_b32_e32 v39, 0x7fff, v39, vcc_lo
	s_delay_alu instid0(VALU_DEP_1) | instskip(NEXT) | instid1(VALU_DEP_1)
	v_and_b32_e32 v39, 0xffff, v39
	v_lshrrev_b32_e32 v39, s49, v39
	s_delay_alu instid0(VALU_DEP_1) | instskip(NEXT) | instid1(VALU_DEP_1)
	v_and_b32_e32 v39, s52, v39
	v_lshl_or_b32 v39, v39, 4, v83
	ds_add_u32 v39, v96
	s_or_b32 exec_lo, exec_lo, s9
	s_delay_alu instid0(SALU_CYCLE_1)
	s_mov_b32 s9, exec_lo
	v_cmpx_gt_u32_e64 s8, v78
	s_cbranch_execz .LBB1730_635
.LBB1730_650:                           ;   in Loop: Header=BB1730_602 Depth=2
	v_cmp_gt_i16_e32 vcc_lo, 0, v27
	v_cndmask_b32_e64 v39, 0x7fff, 0, vcc_lo
	s_delay_alu instid0(VALU_DEP_1) | instskip(NEXT) | instid1(VALU_DEP_1)
	v_xor_b32_e32 v39, v39, v27
	v_cmp_ne_u16_e32 vcc_lo, 0x8000, v39
	v_cndmask_b32_e32 v39, 0x7fff, v39, vcc_lo
	s_delay_alu instid0(VALU_DEP_1) | instskip(NEXT) | instid1(VALU_DEP_1)
	v_and_b32_e32 v39, 0xffff, v39
	v_lshrrev_b32_e32 v39, s49, v39
	s_delay_alu instid0(VALU_DEP_1) | instskip(NEXT) | instid1(VALU_DEP_1)
	v_and_b32_e32 v39, s52, v39
	v_lshl_or_b32 v39, v39, 4, v83
	ds_add_u32 v39, v96
	s_or_b32 exec_lo, exec_lo, s9
	s_delay_alu instid0(SALU_CYCLE_1)
	s_mov_b32 s9, exec_lo
	v_cmpx_gt_u32_e64 s8, v79
	s_cbranch_execz .LBB1730_636
.LBB1730_651:                           ;   in Loop: Header=BB1730_602 Depth=2
	v_cmp_gt_i16_e32 vcc_lo, 0, v26
	v_cndmask_b32_e64 v39, 0x7fff, 0, vcc_lo
	s_delay_alu instid0(VALU_DEP_1) | instskip(NEXT) | instid1(VALU_DEP_1)
	v_xor_b32_e32 v39, v39, v26
	v_cmp_ne_u16_e32 vcc_lo, 0x8000, v39
	v_cndmask_b32_e32 v39, 0x7fff, v39, vcc_lo
	s_delay_alu instid0(VALU_DEP_1) | instskip(NEXT) | instid1(VALU_DEP_1)
	v_and_b32_e32 v39, 0xffff, v39
	v_lshrrev_b32_e32 v39, s49, v39
	s_delay_alu instid0(VALU_DEP_1) | instskip(NEXT) | instid1(VALU_DEP_1)
	v_and_b32_e32 v39, s52, v39
	v_lshl_or_b32 v39, v39, 4, v83
	ds_add_u32 v39, v96
	s_or_b32 exec_lo, exec_lo, s9
	s_delay_alu instid0(SALU_CYCLE_1)
	s_mov_b32 s9, exec_lo
	v_cmpx_gt_u32_e64 s8, v80
	s_cbranch_execz .LBB1730_637
.LBB1730_652:                           ;   in Loop: Header=BB1730_602 Depth=2
	v_cmp_gt_i16_e32 vcc_lo, 0, v25
	v_cndmask_b32_e64 v39, 0x7fff, 0, vcc_lo
	s_delay_alu instid0(VALU_DEP_1) | instskip(NEXT) | instid1(VALU_DEP_1)
	v_xor_b32_e32 v39, v39, v25
	v_cmp_ne_u16_e32 vcc_lo, 0x8000, v39
	v_cndmask_b32_e32 v39, 0x7fff, v39, vcc_lo
	s_delay_alu instid0(VALU_DEP_1) | instskip(NEXT) | instid1(VALU_DEP_1)
	v_and_b32_e32 v39, 0xffff, v39
	v_lshrrev_b32_e32 v39, s49, v39
	s_delay_alu instid0(VALU_DEP_1) | instskip(NEXT) | instid1(VALU_DEP_1)
	v_and_b32_e32 v39, s52, v39
	v_lshl_or_b32 v39, v39, 4, v83
	ds_add_u32 v39, v96
	s_or_b32 exec_lo, exec_lo, s9
	s_delay_alu instid0(SALU_CYCLE_1)
	s_mov_b32 s9, exec_lo
	v_cmpx_gt_u32_e64 s8, v81
	s_cbranch_execz .LBB1730_638
.LBB1730_653:                           ;   in Loop: Header=BB1730_602 Depth=2
	v_cmp_gt_i16_e32 vcc_lo, 0, v24
	v_cndmask_b32_e64 v39, 0x7fff, 0, vcc_lo
	s_delay_alu instid0(VALU_DEP_1) | instskip(NEXT) | instid1(VALU_DEP_1)
	v_xor_b32_e32 v39, v39, v24
	v_cmp_ne_u16_e32 vcc_lo, 0x8000, v39
	v_cndmask_b32_e32 v39, 0x7fff, v39, vcc_lo
	s_delay_alu instid0(VALU_DEP_1) | instskip(NEXT) | instid1(VALU_DEP_1)
	v_and_b32_e32 v39, 0xffff, v39
	v_lshrrev_b32_e32 v39, s49, v39
	s_delay_alu instid0(VALU_DEP_1) | instskip(NEXT) | instid1(VALU_DEP_1)
	v_and_b32_e32 v39, s52, v39
	v_lshl_or_b32 v39, v39, 4, v83
	ds_add_u32 v39, v96
	s_or_b32 exec_lo, exec_lo, s9
	v_cmp_gt_u32_e32 vcc_lo, s8, v82
	s_and_saveexec_b32 s8, vcc_lo
	s_cbranch_execz .LBB1730_601
.LBB1730_654:                           ;   in Loop: Header=BB1730_602 Depth=2
	v_cmp_gt_i16_e32 vcc_lo, 0, v23
	v_cndmask_b32_e64 v39, 0x7fff, 0, vcc_lo
	s_delay_alu instid0(VALU_DEP_1) | instskip(NEXT) | instid1(VALU_DEP_1)
	v_xor_b32_e32 v39, v39, v23
	v_cmp_ne_u16_e32 vcc_lo, 0x8000, v39
	v_cndmask_b32_e32 v39, 0x7fff, v39, vcc_lo
	s_delay_alu instid0(VALU_DEP_1) | instskip(NEXT) | instid1(VALU_DEP_1)
	v_and_b32_e32 v39, 0xffff, v39
	v_lshrrev_b32_e32 v39, s49, v39
	s_delay_alu instid0(VALU_DEP_1) | instskip(NEXT) | instid1(VALU_DEP_1)
	v_and_b32_e32 v39, s52, v39
	v_lshl_or_b32 v39, v39, 4, v83
	ds_add_u32 v39, v96
	s_branch .LBB1730_601
.LBB1730_655:                           ;   in Loop: Header=BB1730_602 Depth=2
	global_load_u16 v38, v2, s[8:9] scale_offset
	s_wait_xcnt 0x0
	s_or_b32 exec_lo, exec_lo, s11
	s_delay_alu instid0(SALU_CYCLE_1)
	s_mov_b32 s11, exec_lo
	v_cmpx_gt_u32_e64 s7, v68
	s_cbranch_execz .LBB1730_607
.LBB1730_656:                           ;   in Loop: Header=BB1730_602 Depth=2
	global_load_u16 v37, v2, s[8:9] offset:512 scale_offset
	s_wait_xcnt 0x0
	s_or_b32 exec_lo, exec_lo, s11
	s_delay_alu instid0(SALU_CYCLE_1)
	s_mov_b32 s11, exec_lo
	v_cmpx_gt_u32_e64 s7, v69
	s_cbranch_execz .LBB1730_608
.LBB1730_657:                           ;   in Loop: Header=BB1730_602 Depth=2
	global_load_u16 v36, v2, s[8:9] offset:1024 scale_offset
	s_wait_xcnt 0x0
	s_or_b32 exec_lo, exec_lo, s11
	s_delay_alu instid0(SALU_CYCLE_1)
	s_mov_b32 s11, exec_lo
	v_cmpx_gt_u32_e64 s7, v70
	s_cbranch_execz .LBB1730_609
.LBB1730_658:                           ;   in Loop: Header=BB1730_602 Depth=2
	global_load_u16 v35, v2, s[8:9] offset:1536 scale_offset
	s_wait_xcnt 0x0
	s_or_b32 exec_lo, exec_lo, s11
	s_delay_alu instid0(SALU_CYCLE_1)
	s_mov_b32 s11, exec_lo
	v_cmpx_gt_u32_e64 s7, v71
	s_cbranch_execz .LBB1730_610
.LBB1730_659:                           ;   in Loop: Header=BB1730_602 Depth=2
	global_load_u16 v34, v2, s[8:9] offset:2048 scale_offset
	s_wait_xcnt 0x0
	s_or_b32 exec_lo, exec_lo, s11
	s_delay_alu instid0(SALU_CYCLE_1)
	s_mov_b32 s11, exec_lo
	v_cmpx_gt_u32_e64 s7, v72
	s_cbranch_execz .LBB1730_611
.LBB1730_660:                           ;   in Loop: Header=BB1730_602 Depth=2
	global_load_u16 v33, v2, s[8:9] offset:2560 scale_offset
	s_wait_xcnt 0x0
	s_or_b32 exec_lo, exec_lo, s11
	s_delay_alu instid0(SALU_CYCLE_1)
	s_mov_b32 s11, exec_lo
	v_cmpx_gt_u32_e64 s7, v73
	s_cbranch_execz .LBB1730_612
.LBB1730_661:                           ;   in Loop: Header=BB1730_602 Depth=2
	global_load_u16 v32, v2, s[8:9] offset:3072 scale_offset
	s_wait_xcnt 0x0
	s_or_b32 exec_lo, exec_lo, s11
	s_delay_alu instid0(SALU_CYCLE_1)
	s_mov_b32 s11, exec_lo
	v_cmpx_gt_u32_e64 s7, v74
	s_cbranch_execz .LBB1730_613
.LBB1730_662:                           ;   in Loop: Header=BB1730_602 Depth=2
	global_load_u16 v31, v2, s[8:9] offset:3584 scale_offset
	s_wait_xcnt 0x0
	s_or_b32 exec_lo, exec_lo, s11
	s_delay_alu instid0(SALU_CYCLE_1)
	s_mov_b32 s11, exec_lo
	v_cmpx_gt_u32_e64 s7, v75
	s_cbranch_execz .LBB1730_614
.LBB1730_663:                           ;   in Loop: Header=BB1730_602 Depth=2
	global_load_u16 v30, v2, s[8:9] offset:4096 scale_offset
	s_wait_xcnt 0x0
	s_or_b32 exec_lo, exec_lo, s11
	s_delay_alu instid0(SALU_CYCLE_1)
	s_mov_b32 s11, exec_lo
	v_cmpx_gt_u32_e64 s7, v76
	s_cbranch_execz .LBB1730_615
.LBB1730_664:                           ;   in Loop: Header=BB1730_602 Depth=2
	global_load_u16 v29, v2, s[8:9] offset:4608 scale_offset
	s_wait_xcnt 0x0
	s_or_b32 exec_lo, exec_lo, s11
	s_delay_alu instid0(SALU_CYCLE_1)
	s_mov_b32 s11, exec_lo
	v_cmpx_gt_u32_e64 s7, v77
	s_cbranch_execz .LBB1730_616
.LBB1730_665:                           ;   in Loop: Header=BB1730_602 Depth=2
	global_load_u16 v28, v2, s[8:9] offset:5120 scale_offset
	s_wait_xcnt 0x0
	s_or_b32 exec_lo, exec_lo, s11
	s_delay_alu instid0(SALU_CYCLE_1)
	s_mov_b32 s11, exec_lo
	v_cmpx_gt_u32_e64 s7, v78
	s_cbranch_execz .LBB1730_617
.LBB1730_666:                           ;   in Loop: Header=BB1730_602 Depth=2
	global_load_u16 v27, v2, s[8:9] offset:5632 scale_offset
	s_wait_xcnt 0x0
	s_or_b32 exec_lo, exec_lo, s11
	s_delay_alu instid0(SALU_CYCLE_1)
	s_mov_b32 s11, exec_lo
	v_cmpx_gt_u32_e64 s7, v79
	s_cbranch_execz .LBB1730_618
.LBB1730_667:                           ;   in Loop: Header=BB1730_602 Depth=2
	global_load_u16 v26, v2, s[8:9] offset:6144 scale_offset
	s_wait_xcnt 0x0
	s_or_b32 exec_lo, exec_lo, s11
	s_delay_alu instid0(SALU_CYCLE_1)
	s_mov_b32 s11, exec_lo
	v_cmpx_gt_u32_e64 s7, v80
	s_cbranch_execz .LBB1730_619
.LBB1730_668:                           ;   in Loop: Header=BB1730_602 Depth=2
	global_load_u16 v25, v2, s[8:9] offset:6656 scale_offset
	s_wait_xcnt 0x0
	s_or_b32 exec_lo, exec_lo, s11
	s_delay_alu instid0(SALU_CYCLE_1)
	s_mov_b32 s11, exec_lo
	v_cmpx_gt_u32_e64 s7, v81
	s_cbranch_execz .LBB1730_620
.LBB1730_669:                           ;   in Loop: Header=BB1730_602 Depth=2
	global_load_u16 v24, v2, s[8:9] offset:7168 scale_offset
	s_wait_xcnt 0x0
	s_or_b32 exec_lo, exec_lo, s11
	s_delay_alu instid0(SALU_CYCLE_1)
	s_mov_b32 s11, exec_lo
	v_cmpx_gt_u32_e64 s7, v82
	s_cbranch_execnz .LBB1730_621
	s_branch .LBB1730_622
.LBB1730_670:                           ;   in Loop: Header=BB1730_12 Depth=1
	v_mov_b32_e32 v23, 0
	s_wait_dscnt 0x0
	s_barrier_signal -1
	s_barrier_wait -1
	s_and_saveexec_b32 s7, s0
	s_cbranch_execz .LBB1730_672
; %bb.671:                              ;   in Loop: Header=BB1730_12 Depth=1
	ds_load_2addr_b64 v[24:27], v85 offset1:1
	s_wait_dscnt 0x0
	v_add_nc_u32_e32 v23, v25, v24
	s_delay_alu instid0(VALU_DEP_1)
	v_add3_u32 v23, v23, v26, v27
.LBB1730_672:                           ;   in Loop: Header=BB1730_12 Depth=1
	s_or_b32 exec_lo, exec_lo, s7
	s_delay_alu instid0(VALU_DEP_1)
	v_mov_b32_dpp v24, v23 row_shr:1 row_mask:0xf bank_mask:0xf
	v_cmp_eq_u32_e64 s7, 0, v97
	v_cmp_lt_u32_e64 s8, 1, v97
	v_cmp_lt_u32_e64 s9, 3, v97
	;; [unrolled: 1-line block ×3, first 2 shown]
	v_cmp_eq_u32_e64 s11, 0, v99
	v_cndmask_b32_e64 v24, v24, 0, s7
	s_delay_alu instid0(VALU_DEP_1) | instskip(NEXT) | instid1(VALU_DEP_1)
	v_add_nc_u32_e32 v23, v24, v23
	v_mov_b32_dpp v24, v23 row_shr:2 row_mask:0xf bank_mask:0xf
	s_delay_alu instid0(VALU_DEP_1) | instskip(NEXT) | instid1(VALU_DEP_1)
	v_cndmask_b32_e64 v24, 0, v24, s8
	v_add_nc_u32_e32 v23, v23, v24
	s_delay_alu instid0(VALU_DEP_1) | instskip(NEXT) | instid1(VALU_DEP_1)
	v_mov_b32_dpp v24, v23 row_shr:4 row_mask:0xf bank_mask:0xf
	v_cndmask_b32_e64 v24, 0, v24, s9
	s_delay_alu instid0(VALU_DEP_1) | instskip(NEXT) | instid1(VALU_DEP_1)
	v_add_nc_u32_e32 v23, v23, v24
	v_mov_b32_dpp v24, v23 row_shr:8 row_mask:0xf bank_mask:0xf
	s_delay_alu instid0(VALU_DEP_1) | instskip(NEXT) | instid1(VALU_DEP_1)
	v_cndmask_b32_e64 v24, 0, v24, s10
	v_add_nc_u32_e32 v23, v23, v24
	ds_swizzle_b32 v24, v23 offset:swizzle(BROADCAST,32,15)
	s_wait_dscnt 0x0
	v_and_b32_e32 v24, v98, v24
	s_delay_alu instid0(VALU_DEP_1)
	v_add_nc_u32_e32 v23, v23, v24
	s_and_saveexec_b32 s12, s1
; %bb.673:                              ;   in Loop: Header=BB1730_12 Depth=1
	ds_store_b32 v86, v23
; %bb.674:                              ;   in Loop: Header=BB1730_12 Depth=1
	s_or_b32 exec_lo, exec_lo, s12
	s_wait_dscnt 0x0
	s_barrier_signal -1
	s_barrier_wait -1
	s_and_saveexec_b32 s12, s4
	s_cbranch_execz .LBB1730_676
; %bb.675:                              ;   in Loop: Header=BB1730_12 Depth=1
	ds_load_b32 v24, v87
	v_cmp_ne_u32_e32 vcc_lo, 0, v101
	s_wait_dscnt 0x0
	v_mov_b32_dpp v25, v24 row_shr:1 row_mask:0xf bank_mask:0xf
	s_delay_alu instid0(VALU_DEP_1) | instskip(SKIP_1) | instid1(VALU_DEP_2)
	v_cndmask_b32_e32 v25, 0, v25, vcc_lo
	v_cmp_lt_u32_e32 vcc_lo, 1, v101
	v_add_nc_u32_e32 v24, v25, v24
	s_delay_alu instid0(VALU_DEP_1) | instskip(NEXT) | instid1(VALU_DEP_1)
	v_mov_b32_dpp v25, v24 row_shr:2 row_mask:0xf bank_mask:0xf
	v_cndmask_b32_e32 v25, 0, v25, vcc_lo
	v_cmp_lt_u32_e32 vcc_lo, 3, v101
	s_delay_alu instid0(VALU_DEP_2) | instskip(NEXT) | instid1(VALU_DEP_1)
	v_add_nc_u32_e32 v24, v24, v25
	v_mov_b32_dpp v25, v24 row_shr:4 row_mask:0xf bank_mask:0xf
	s_delay_alu instid0(VALU_DEP_1) | instskip(NEXT) | instid1(VALU_DEP_1)
	v_cndmask_b32_e32 v25, 0, v25, vcc_lo
	v_add_nc_u32_e32 v24, v24, v25
	ds_store_b32 v87, v24
.LBB1730_676:                           ;   in Loop: Header=BB1730_12 Depth=1
	s_or_b32 exec_lo, exec_lo, s12
	v_mov_b32_e32 v24, 0
	s_wait_dscnt 0x0
	s_barrier_signal -1
	s_barrier_wait -1
	s_and_saveexec_b32 s12, s5
; %bb.677:                              ;   in Loop: Header=BB1730_12 Depth=1
	ds_load_b32 v24, v88
; %bb.678:                              ;   in Loop: Header=BB1730_12 Depth=1
	s_or_b32 exec_lo, exec_lo, s12
	v_cmp_gt_i32_e32 vcc_lo, 0, v102
	s_wait_dscnt 0x0
	s_barrier_signal -1
	s_barrier_wait -1
	v_cndmask_b32_e32 v25, v102, v95, vcc_lo
	s_delay_alu instid0(VALU_DEP_1)
	v_dual_add_nc_u32 v23, v24, v23 :: v_dual_lshlrev_b32 v122, 2, v25
	ds_bpermute_b32 v23, v122, v23
	s_and_saveexec_b32 s12, s0
	s_cbranch_execz .LBB1730_680
; %bb.679:                              ;   in Loop: Header=BB1730_12 Depth=1
	s_wait_dscnt 0x0
	v_cndmask_b32_e64 v23, v23, v24, s6
	s_delay_alu instid0(VALU_DEP_1)
	v_add_nc_u32_e32 v23, s54, v23
	ds_store_b32 v3, v23
.LBB1730_680:                           ;   in Loop: Header=BB1730_12 Depth=1
	s_or_b32 exec_lo, exec_lo, s12
	s_load_b64 s[12:13], s[34:35], 0x0
	s_mov_b32 s53, s56
                                        ; implicit-def: $vgpr30_vgpr31
                                        ; implicit-def: $vgpr32_vgpr33
                                        ; implicit-def: $vgpr34_vgpr35
                                        ; implicit-def: $vgpr36_vgpr37
                                        ; implicit-def: $vgpr38_vgpr39
                                        ; implicit-def: $vgpr40_vgpr41
                                        ; implicit-def: $vgpr42_vgpr43
                                        ; implicit-def: $vgpr44_vgpr45
                                        ; implicit-def: $vgpr46_vgpr47
                                        ; implicit-def: $vgpr48_vgpr49
                                        ; implicit-def: $vgpr50_vgpr51
                                        ; implicit-def: $vgpr52_vgpr53
                                        ; implicit-def: $vgpr54_vgpr55
                                        ; implicit-def: $vgpr56_vgpr57
                                        ; implicit-def: $vgpr58_vgpr59
                                        ; implicit-def: $vgpr123
                                        ; implicit-def: $vgpr124
                                        ; implicit-def: $vgpr125
                                        ; implicit-def: $vgpr126
                                        ; implicit-def: $vgpr127
                                        ; implicit-def: $vgpr128
                                        ; implicit-def: $vgpr129
                                        ; implicit-def: $vgpr130
                                        ; implicit-def: $vgpr131
                                        ; implicit-def: $vgpr132
                                        ; implicit-def: $vgpr133
                                        ; implicit-def: $vgpr134
                                        ; implicit-def: $vgpr135
                                        ; implicit-def: $vgpr136
                                        ; implicit-def: $vgpr137
                                        ; implicit-def: $vgpr138
	s_wait_kmcnt 0x0
	s_cmp_lt_u32 s33, s12
	s_cselect_b32 s42, 12, 18
	s_cmp_lt_u32 s31, s13
	s_mov_b32 s13, s43
	s_cselect_b32 s12, 14, 20
	s_delay_alu instid0(SALU_CYCLE_1)
	s_add_nc_u64 s[12:13], s[34:35], s[12:13]
	s_load_u16 s14, s[12:13], 0x0
	s_wait_xcnt 0x0
	s_add_nc_u64 s[12:13], s[34:35], s[42:43]
	s_mov_b32 s42, s54
	s_load_u16 s12, s[12:13], 0x0
	s_wait_xcnt 0x0
	v_cmp_lt_u32_e64 s13, 1, v101
	s_wait_dscnt 0x0
	s_wait_kmcnt 0x0
	v_mad_u32_u24 v23, v89, s14, v90
	v_cmp_lt_u32_e64 s14, 3, v101
	s_delay_alu instid0(VALU_DEP_2) | instskip(SKIP_2) | instid1(VALU_DEP_3)
	v_mad_u32 v24, v23, s12, v2
	v_mov_b32_e32 v23, v5
	v_cmp_eq_u32_e64 s12, 0, v101
	v_lshrrev_b32_e32 v28, 3, v24
	v_add_nc_u64_e32 v[24:25], v[18:19], v[4:5]
	s_delay_alu instid0(VALU_DEP_4) | instskip(NEXT) | instid1(VALU_DEP_3)
	v_add_nc_u64_e32 v[26:27], v[20:21], v[22:23]
	v_and_b32_e32 v23, 0x1ffffffc, v28
                                        ; implicit-def: $vgpr28_vgpr29
	s_branch .LBB1730_682
.LBB1730_681:                           ;   in Loop: Header=BB1730_682 Depth=2
	s_or_b32 exec_lo, exec_lo, s15
	s_addk_co_i32 s53, 0xf000
	s_cmp_lt_u32 s57, s51
	s_mov_b32 s42, s57
	s_cbranch_scc0 .LBB1730_890
.LBB1730_682:                           ;   Parent Loop BB1730_12 Depth=1
                                        ; =>  This Inner Loop Header: Depth=2
	s_add_co_i32 s57, s42, 0x1000
	s_delay_alu instid0(SALU_CYCLE_1)
	s_cmp_gt_u32 s57, s51
	s_cbranch_scc1 .LBB1730_684
; %bb.683:                              ;   in Loop: Header=BB1730_682 Depth=2
	s_delay_alu instid0(VALU_DEP_2)
	v_lshl_add_u64 v[60:61], s[42:43], 1, v[26:27]
	s_mov_b32 s15, -1
	s_clause 0xe
	global_load_u16 v140, v[60:61], off
	global_load_u16 v141, v[60:61], off offset:64
	global_load_u16 v144, v[60:61], off offset:128
	;; [unrolled: 1-line block ×14, first 2 shown]
	s_movk_i32 s16, 0x1000
	s_cbranch_execz .LBB1730_685
	s_branch .LBB1730_716
.LBB1730_684:                           ;   in Loop: Header=BB1730_682 Depth=2
	s_mov_b32 s15, 0
                                        ; implicit-def: $vgpr140
                                        ; implicit-def: $vgpr141
                                        ; implicit-def: $vgpr144
                                        ; implicit-def: $vgpr148
                                        ; implicit-def: $vgpr152
                                        ; implicit-def: $vgpr156
                                        ; implicit-def: $vgpr160
                                        ; implicit-def: $vgpr164
                                        ; implicit-def: $vgpr168
                                        ; implicit-def: $vgpr67
                                        ; implicit-def: $vgpr66
                                        ; implicit-def: $vgpr65
                                        ; implicit-def: $vgpr64
                                        ; implicit-def: $vgpr63
                                        ; implicit-def: $vgpr62
	s_movk_i32 s16, 0x1000
.LBB1730_685:                           ;   in Loop: Header=BB1730_682 Depth=2
	s_wait_xcnt 0x0
	v_lshl_add_u64 v[60:61], s[42:43], 1, v[26:27]
	s_wait_loadcnt 0xd
	v_dual_mov_b32 v141, -1 :: v_dual_mov_b32 v140, -1
	s_mov_b32 s15, exec_lo
	v_cmpx_gt_u32_e64 s53, v100
	s_cbranch_execz .LBB1730_687
; %bb.686:                              ;   in Loop: Header=BB1730_682 Depth=2
	global_load_u16 v140, v[60:61], off
.LBB1730_687:                           ;   in Loop: Header=BB1730_682 Depth=2
	s_wait_xcnt 0x0
	s_or_b32 exec_lo, exec_lo, s15
	s_delay_alu instid0(SALU_CYCLE_1)
	s_mov_b32 s15, exec_lo
	v_cmpx_gt_u32_e64 s53, v103
	s_cbranch_execz .LBB1730_689
; %bb.688:                              ;   in Loop: Header=BB1730_682 Depth=2
	global_load_u16 v141, v[60:61], off offset:64
.LBB1730_689:                           ;   in Loop: Header=BB1730_682 Depth=2
	s_wait_xcnt 0x0
	s_or_b32 exec_lo, exec_lo, s15
	s_wait_loadcnt 0xb
	v_dual_mov_b32 v148, -1 :: v_dual_mov_b32 v144, -1
	s_mov_b32 s15, exec_lo
	v_cmpx_gt_u32_e64 s53, v104
	s_cbranch_execz .LBB1730_691
; %bb.690:                              ;   in Loop: Header=BB1730_682 Depth=2
	global_load_u16 v144, v[60:61], off offset:128
.LBB1730_691:                           ;   in Loop: Header=BB1730_682 Depth=2
	s_wait_xcnt 0x0
	s_or_b32 exec_lo, exec_lo, s15
	s_delay_alu instid0(SALU_CYCLE_1)
	s_mov_b32 s15, exec_lo
	v_cmpx_gt_u32_e64 s53, v105
	s_cbranch_execz .LBB1730_693
; %bb.692:                              ;   in Loop: Header=BB1730_682 Depth=2
	global_load_u16 v148, v[60:61], off offset:192
.LBB1730_693:                           ;   in Loop: Header=BB1730_682 Depth=2
	s_wait_xcnt 0x0
	s_or_b32 exec_lo, exec_lo, s15
	s_wait_loadcnt 0x9
	v_dual_mov_b32 v156, -1 :: v_dual_mov_b32 v152, -1
	s_mov_b32 s15, exec_lo
	v_cmpx_gt_u32_e64 s53, v106
	s_cbranch_execz .LBB1730_695
; %bb.694:                              ;   in Loop: Header=BB1730_682 Depth=2
	global_load_u16 v152, v[60:61], off offset:256
.LBB1730_695:                           ;   in Loop: Header=BB1730_682 Depth=2
	;; [unrolled: 19-line block ×6, first 2 shown]
	s_wait_xcnt 0x0
	s_or_b32 exec_lo, exec_lo, s15
	s_delay_alu instid0(SALU_CYCLE_1)
	s_mov_b32 s15, exec_lo
	v_cmpx_gt_u32_e64 s53, v115
	s_cbranch_execz .LBB1730_713
; %bb.712:                              ;   in Loop: Header=BB1730_682 Depth=2
	global_load_u16 v63, v[60:61], off offset:832
.LBB1730_713:                           ;   in Loop: Header=BB1730_682 Depth=2
	s_wait_xcnt 0x0
	s_or_b32 exec_lo, exec_lo, s15
	s_wait_loadcnt 0x0
	v_mov_b32_e32 v62, -1
	s_mov_b32 s15, exec_lo
	v_cmpx_gt_u32_e64 s53, v116
	s_cbranch_execz .LBB1730_715
; %bb.714:                              ;   in Loop: Header=BB1730_682 Depth=2
	global_load_u16 v62, v[60:61], off offset:896
.LBB1730_715:                           ;   in Loop: Header=BB1730_682 Depth=2
	s_wait_xcnt 0x0
	s_or_b32 exec_lo, exec_lo, s15
	v_cmp_gt_u32_e64 s15, s53, v117
	s_sub_co_i32 s16, s51, s42
.LBB1730_716:                           ;   in Loop: Header=BB1730_682 Depth=2
	s_wait_xcnt 0x0
	v_dual_mov_b32 v60, -1 :: v_dual_mov_b32 v139, s53
	s_and_saveexec_b32 s17, s15
	s_cbranch_execz .LBB1730_718
; %bb.717:                              ;   in Loop: Header=BB1730_682 Depth=2
	v_lshl_add_u64 v[60:61], s[42:43], 1, v[26:27]
	v_mov_b32_e32 v139, s16
	global_load_u16 v60, v[60:61], off offset:960
.LBB1730_718:                           ;   in Loop: Header=BB1730_682 Depth=2
	s_wait_xcnt 0x0
	s_or_b32 exec_lo, exec_lo, s17
	s_wait_loadcnt 0xe
	v_cmp_gt_i16_e64 vcc_lo, 0, v140
	ds_store_2addr_b32 v121, v5, v5 offset1:1
	ds_store_2addr_b32 v118, v5, v5 offset1:1
	ds_store_2addr_b32 v119, v5, v5 offset1:1
	ds_store_2addr_b32 v120, v5, v5 offset1:1
	ds_store_b32 v91, v5 offset:1088
	s_wait_loadcnt_dscnt 0x0
	s_barrier_signal -1
	v_cndmask_b32_e64 v61, 0x7fff, 0, vcc_lo
	s_barrier_wait -1
	; wave barrier
	s_delay_alu instid0(VALU_DEP_1) | instskip(NEXT) | instid1(VALU_DEP_1)
	v_xor_b32_e32 v140, v61, v140
	v_cmp_ne_u16_e64 vcc_lo, 0x8000, v140
	v_cndmask_b32_e32 v61, 0x7fff, v140, vcc_lo
	s_delay_alu instid0(VALU_DEP_1) | instskip(NEXT) | instid1(VALU_DEP_1)
	v_and_b32_e32 v61, 0xffff, v61
	v_lshrrev_b32_e32 v61, s49, v61
	s_delay_alu instid0(VALU_DEP_1) | instskip(SKIP_1) | instid1(VALU_DEP_2)
	v_bitop3_b32 v142, v61, 1, s52 bitop3:0x80
	v_and_b32_e32 v143, s52, v61
	v_add_co_u32 v61, s15, v142, -1
	s_delay_alu instid0(VALU_DEP_1) | instskip(NEXT) | instid1(VALU_DEP_3)
	v_cndmask_b32_e64 v142, 0, 1, s15
	v_lshlrev_b32_e32 v145, 30, v143
	s_delay_alu instid0(VALU_DEP_2) | instskip(NEXT) | instid1(VALU_DEP_2)
	v_cmp_ne_u32_e32 vcc_lo, 0, v142
	v_not_b32_e32 v142, v145
	s_delay_alu instid0(VALU_DEP_1) | instskip(SKIP_3) | instid1(VALU_DEP_4)
	v_dual_ashrrev_i32 v142, 31, v142 :: v_dual_lshlrev_b32 v146, 29, v143
	v_dual_lshlrev_b32 v147, 28, v143 :: v_dual_lshlrev_b32 v149, 27, v143
	v_lshlrev_b32_e32 v150, 26, v143
	v_cmp_gt_i32_e64 s15, 0, v145
	v_cmp_gt_i32_e64 s16, 0, v146
	v_not_b32_e32 v145, v146
	v_not_b32_e32 v146, v147
	v_dual_lshlrev_b32 v151, 25, v143 :: v_dual_lshlrev_b32 v153, 24, v143
	v_cmp_gt_i32_e64 s17, 0, v147
	v_cmp_gt_i32_e64 s18, 0, v149
	v_not_b32_e32 v147, v149
	v_not_b32_e32 v149, v150
	v_dual_ashrrev_i32 v146, 31, v146 :: v_dual_bitop2_b32 v61, vcc_lo, v61 bitop3:0x14
	v_dual_ashrrev_i32 v145, 31, v145 :: v_dual_bitop2_b32 v142, s15, v142 bitop3:0x14
	v_cmp_gt_i32_e64 s19, 0, v150
	v_cmp_gt_i32_e64 s20, 0, v151
	v_not_b32_e32 v150, v151
	v_not_b32_e32 v151, v153
	v_dual_ashrrev_i32 v147, 31, v147 :: v_dual_ashrrev_i32 v149, 31, v149
	v_xor_b32_e32 v145, s16, v145
	v_xor_b32_e32 v146, s17, v146
	v_bitop3_b32 v61, v61, v142, exec_lo bitop3:0x80
	v_cmp_gt_i32_e64 s21, 0, v153
	v_dual_ashrrev_i32 v142, 31, v150 :: v_dual_ashrrev_i32 v150, 31, v151
	v_xor_b32_e32 v147, s18, v147
	s_delay_alu instid0(VALU_DEP_4) | instskip(SKIP_3) | instid1(VALU_DEP_3)
	v_bitop3_b32 v61, v61, v146, v145 bitop3:0x80
	v_mul_u32_u24_e32 v143, 36, v143
	v_xor_b32_e32 v149, s19, v149
	v_xor_b32_e32 v142, s20, v142
	v_dual_add_nc_u32 v143, v23, v143 :: v_dual_bitop2_b32 v145, s21, v150 bitop3:0x14
	s_delay_alu instid0(VALU_DEP_3) | instskip(NEXT) | instid1(VALU_DEP_1)
	v_bitop3_b32 v61, v61, v149, v147 bitop3:0x80
	v_bitop3_b32 v61, v61, v145, v142 bitop3:0x80
	s_delay_alu instid0(VALU_DEP_1) | instskip(SKIP_1) | instid1(VALU_DEP_2)
	v_mbcnt_lo_u32_b32 v142, v61, 0
	v_cmp_ne_u32_e64 s15, 0, v61
	v_cmp_eq_u32_e32 vcc_lo, 0, v142
	s_and_b32 s16, s15, vcc_lo
	s_delay_alu instid0(SALU_CYCLE_1)
	s_and_saveexec_b32 s15, s16
; %bb.719:                              ;   in Loop: Header=BB1730_682 Depth=2
	v_bcnt_u32_b32 v61, v61, 0
	ds_store_b32 v143, v61 offset:1056
; %bb.720:                              ;   in Loop: Header=BB1730_682 Depth=2
	s_or_b32 exec_lo, exec_lo, s15
	v_cmp_gt_i16_e64 vcc_lo, 0, v141
	; wave barrier
	s_delay_alu instid0(VALU_DEP_1) | instskip(NEXT) | instid1(VALU_DEP_1)
	v_cndmask_b32_e64 v61, 0x7fff, 0, vcc_lo
	v_xor_b32_e32 v141, v61, v141
	s_delay_alu instid0(VALU_DEP_1) | instskip(SKIP_1) | instid1(VALU_DEP_1)
	v_cmp_ne_u16_e64 vcc_lo, 0x8000, v141
	v_cndmask_b32_e32 v61, 0x7fff, v141, vcc_lo
	v_and_b32_e32 v61, 0xffff, v61
	s_delay_alu instid0(VALU_DEP_1) | instskip(NEXT) | instid1(VALU_DEP_1)
	v_lshrrev_b32_e32 v61, s49, v61
	v_and_b32_e32 v147, s52, v61
	s_delay_alu instid0(VALU_DEP_1) | instskip(SKIP_2) | instid1(VALU_DEP_3)
	v_lshlrev_b32_e32 v149, 29, v147
	v_bitop3_b32 v145, v61, 1, s52 bitop3:0x80
	v_lshlrev_b32_e32 v146, 30, v147
	v_cmp_gt_i32_e64 s16, 0, v149
	s_delay_alu instid0(VALU_DEP_3) | instskip(NEXT) | instid1(VALU_DEP_1)
	v_add_co_u32 v61, s15, v145, -1
	v_cndmask_b32_e64 v145, 0, 1, s15
	s_delay_alu instid0(VALU_DEP_4) | instskip(NEXT) | instid1(VALU_DEP_2)
	v_cmp_gt_i32_e64 s15, 0, v146
	v_cmp_ne_u32_e32 vcc_lo, 0, v145
	v_not_b32_e32 v145, v146
	v_not_b32_e32 v146, v149
	s_delay_alu instid0(VALU_DEP_1) | instskip(SKIP_2) | instid1(VALU_DEP_3)
	v_dual_ashrrev_i32 v146, 31, v146 :: v_dual_lshlrev_b32 v150, 28, v147
	v_dual_lshlrev_b32 v151, 27, v147 :: v_dual_lshlrev_b32 v153, 26, v147
	v_dual_lshlrev_b32 v154, 25, v147 :: v_dual_lshlrev_b32 v155, 24, v147
	v_cmp_gt_i32_e64 s17, 0, v150
	v_not_b32_e32 v149, v150
	s_delay_alu instid0(VALU_DEP_4)
	v_not_b32_e32 v150, v151
	v_ashrrev_i32_e32 v145, 31, v145
	v_cmp_gt_i32_e64 s18, 0, v151
	v_cmp_gt_i32_e64 s19, 0, v153
	v_not_b32_e32 v151, v153
	v_cmp_gt_i32_e64 s20, 0, v154
	v_not_b32_e32 v153, v154
	v_not_b32_e32 v154, v155
	s_delay_alu instid0(VALU_DEP_4) | instskip(SKIP_3) | instid1(VALU_DEP_3)
	v_dual_ashrrev_i32 v151, 31, v151 :: v_dual_bitop2_b32 v61, vcc_lo, v61 bitop3:0x14
	v_dual_ashrrev_i32 v149, 31, v149 :: v_dual_bitop2_b32 v146, s16, v146 bitop3:0x14
	v_dual_ashrrev_i32 v150, 31, v150 :: v_dual_bitop2_b32 v145, s15, v145 bitop3:0x14
	v_cmp_gt_i32_e64 s21, 0, v155
	v_xor_b32_e32 v149, s17, v149
	v_xor_b32_e32 v151, s19, v151
	s_delay_alu instid0(VALU_DEP_4) | instskip(SKIP_2) | instid1(VALU_DEP_2)
	v_xor_b32_e32 v150, s18, v150
	v_bitop3_b32 v61, v61, v145, exec_lo bitop3:0x80
	v_dual_ashrrev_i32 v145, 31, v153 :: v_dual_ashrrev_i32 v153, 31, v154
	v_bitop3_b32 v61, v61, v149, v146 bitop3:0x80
	v_mad_u32_u24 v146, v147, 36, v23
	s_delay_alu instid0(VALU_DEP_3) | instskip(NEXT) | instid1(VALU_DEP_4)
	v_xor_b32_e32 v149, s20, v145
	v_xor_b32_e32 v153, s21, v153
	v_mul_u32_u24_e32 v147, 36, v147
	v_bitop3_b32 v61, v61, v151, v150 bitop3:0x80
	ds_load_b32 v145, v146 offset:1056
	; wave barrier
	v_add_nc_u32_e32 v147, v23, v147
	v_bitop3_b32 v61, v61, v153, v149 bitop3:0x80
	s_delay_alu instid0(VALU_DEP_1) | instskip(SKIP_1) | instid1(VALU_DEP_2)
	v_mbcnt_lo_u32_b32 v146, v61, 0
	v_cmp_ne_u32_e64 s15, 0, v61
	v_cmp_eq_u32_e32 vcc_lo, 0, v146
	s_and_b32 s16, s15, vcc_lo
	s_delay_alu instid0(SALU_CYCLE_1)
	s_and_saveexec_b32 s15, s16
	s_cbranch_execz .LBB1730_722
; %bb.721:                              ;   in Loop: Header=BB1730_682 Depth=2
	s_wait_dscnt 0x0
	v_bcnt_u32_b32 v61, v61, v145
	ds_store_b32 v147, v61 offset:1056
.LBB1730_722:                           ;   in Loop: Header=BB1730_682 Depth=2
	s_or_b32 exec_lo, exec_lo, s15
	v_cmp_gt_i16_e64 vcc_lo, 0, v144
	; wave barrier
	s_delay_alu instid0(VALU_DEP_1) | instskip(NEXT) | instid1(VALU_DEP_1)
	v_cndmask_b32_e64 v61, 0x7fff, 0, vcc_lo
	v_xor_b32_e32 v144, v61, v144
	s_delay_alu instid0(VALU_DEP_1) | instskip(SKIP_1) | instid1(VALU_DEP_1)
	v_cmp_ne_u16_e64 vcc_lo, 0x8000, v144
	v_cndmask_b32_e32 v61, 0x7fff, v144, vcc_lo
	v_and_b32_e32 v61, 0xffff, v61
	s_delay_alu instid0(VALU_DEP_1) | instskip(NEXT) | instid1(VALU_DEP_1)
	v_lshrrev_b32_e32 v61, s49, v61
	v_bitop3_b32 v149, v61, 1, s52 bitop3:0x80
	v_and_b32_e32 v151, s52, v61
	s_delay_alu instid0(VALU_DEP_2) | instskip(NEXT) | instid1(VALU_DEP_1)
	v_add_co_u32 v61, s15, v149, -1
	v_cndmask_b32_e64 v149, 0, 1, s15
	s_delay_alu instid0(VALU_DEP_3) | instskip(NEXT) | instid1(VALU_DEP_2)
	v_dual_lshlrev_b32 v150, 30, v151 :: v_dual_lshlrev_b32 v153, 29, v151
	v_cmp_ne_u32_e32 vcc_lo, 0, v149
	s_delay_alu instid0(VALU_DEP_2) | instskip(SKIP_1) | instid1(VALU_DEP_4)
	v_cmp_gt_i32_e64 s15, 0, v150
	v_not_b32_e32 v149, v150
	v_not_b32_e32 v150, v153
	s_delay_alu instid0(VALU_DEP_1) | instskip(SKIP_3) | instid1(VALU_DEP_4)
	v_dual_ashrrev_i32 v150, 31, v150 :: v_dual_lshlrev_b32 v154, 28, v151
	v_dual_lshlrev_b32 v155, 27, v151 :: v_dual_lshlrev_b32 v157, 26, v151
	v_dual_lshlrev_b32 v158, 25, v151 :: v_dual_lshlrev_b32 v159, 24, v151
	v_cmp_gt_i32_e64 s16, 0, v153
	v_cmp_gt_i32_e64 s17, 0, v154
	v_not_b32_e32 v153, v154
	v_not_b32_e32 v154, v155
	v_ashrrev_i32_e32 v149, 31, v149
	v_cmp_gt_i32_e64 s18, 0, v155
	v_cmp_gt_i32_e64 s19, 0, v157
	v_not_b32_e32 v155, v157
	v_cmp_gt_i32_e64 s20, 0, v158
	v_not_b32_e32 v157, v158
	v_not_b32_e32 v158, v159
	s_delay_alu instid0(VALU_DEP_4) | instskip(SKIP_3) | instid1(VALU_DEP_3)
	v_dual_ashrrev_i32 v155, 31, v155 :: v_dual_bitop2_b32 v61, vcc_lo, v61 bitop3:0x14
	v_dual_ashrrev_i32 v153, 31, v153 :: v_dual_bitop2_b32 v150, s16, v150 bitop3:0x14
	v_dual_ashrrev_i32 v154, 31, v154 :: v_dual_bitop2_b32 v149, s15, v149 bitop3:0x14
	v_cmp_gt_i32_e64 s21, 0, v159
	v_xor_b32_e32 v153, s17, v153
	v_xor_b32_e32 v155, s19, v155
	s_delay_alu instid0(VALU_DEP_4) | instskip(SKIP_2) | instid1(VALU_DEP_2)
	v_xor_b32_e32 v154, s18, v154
	v_bitop3_b32 v61, v61, v149, exec_lo bitop3:0x80
	v_dual_ashrrev_i32 v149, 31, v157 :: v_dual_ashrrev_i32 v157, 31, v158
	v_bitop3_b32 v61, v61, v153, v150 bitop3:0x80
	v_mad_u32_u24 v150, v151, 36, v23
	s_delay_alu instid0(VALU_DEP_3) | instskip(NEXT) | instid1(VALU_DEP_4)
	v_xor_b32_e32 v153, s20, v149
	v_xor_b32_e32 v157, s21, v157
	v_mul_u32_u24_e32 v151, 36, v151
	v_bitop3_b32 v61, v61, v155, v154 bitop3:0x80
	ds_load_b32 v149, v150 offset:1056
	; wave barrier
	v_add_nc_u32_e32 v151, v23, v151
	v_bitop3_b32 v61, v61, v157, v153 bitop3:0x80
	s_delay_alu instid0(VALU_DEP_1) | instskip(SKIP_1) | instid1(VALU_DEP_2)
	v_mbcnt_lo_u32_b32 v150, v61, 0
	v_cmp_ne_u32_e64 s15, 0, v61
	v_cmp_eq_u32_e32 vcc_lo, 0, v150
	s_and_b32 s16, s15, vcc_lo
	s_delay_alu instid0(SALU_CYCLE_1)
	s_and_saveexec_b32 s15, s16
	s_cbranch_execz .LBB1730_724
; %bb.723:                              ;   in Loop: Header=BB1730_682 Depth=2
	s_wait_dscnt 0x0
	v_bcnt_u32_b32 v61, v61, v149
	ds_store_b32 v151, v61 offset:1056
.LBB1730_724:                           ;   in Loop: Header=BB1730_682 Depth=2
	s_or_b32 exec_lo, exec_lo, s15
	v_cmp_gt_i16_e64 vcc_lo, 0, v148
	; wave barrier
	s_delay_alu instid0(VALU_DEP_1) | instskip(NEXT) | instid1(VALU_DEP_1)
	v_cndmask_b32_e64 v61, 0x7fff, 0, vcc_lo
	v_xor_b32_e32 v148, v61, v148
	s_delay_alu instid0(VALU_DEP_1) | instskip(SKIP_1) | instid1(VALU_DEP_1)
	v_cmp_ne_u16_e64 vcc_lo, 0x8000, v148
	v_cndmask_b32_e32 v61, 0x7fff, v148, vcc_lo
	v_and_b32_e32 v61, 0xffff, v61
	s_delay_alu instid0(VALU_DEP_1) | instskip(NEXT) | instid1(VALU_DEP_1)
	v_lshrrev_b32_e32 v61, s49, v61
	v_bitop3_b32 v153, v61, 1, s52 bitop3:0x80
	v_and_b32_e32 v155, s52, v61
	s_delay_alu instid0(VALU_DEP_2) | instskip(NEXT) | instid1(VALU_DEP_1)
	v_add_co_u32 v61, s15, v153, -1
	v_cndmask_b32_e64 v153, 0, 1, s15
	s_delay_alu instid0(VALU_DEP_3) | instskip(NEXT) | instid1(VALU_DEP_2)
	v_dual_lshlrev_b32 v154, 30, v155 :: v_dual_lshlrev_b32 v157, 29, v155
	v_cmp_ne_u32_e32 vcc_lo, 0, v153
	s_delay_alu instid0(VALU_DEP_2) | instskip(SKIP_1) | instid1(VALU_DEP_4)
	v_cmp_gt_i32_e64 s15, 0, v154
	v_not_b32_e32 v153, v154
	v_not_b32_e32 v154, v157
	s_delay_alu instid0(VALU_DEP_1) | instskip(SKIP_3) | instid1(VALU_DEP_4)
	v_dual_ashrrev_i32 v154, 31, v154 :: v_dual_lshlrev_b32 v158, 28, v155
	v_dual_lshlrev_b32 v159, 27, v155 :: v_dual_lshlrev_b32 v161, 26, v155
	v_dual_lshlrev_b32 v162, 25, v155 :: v_dual_lshlrev_b32 v163, 24, v155
	v_cmp_gt_i32_e64 s16, 0, v157
	v_cmp_gt_i32_e64 s17, 0, v158
	v_not_b32_e32 v157, v158
	v_not_b32_e32 v158, v159
	v_ashrrev_i32_e32 v153, 31, v153
	v_cmp_gt_i32_e64 s18, 0, v159
	v_cmp_gt_i32_e64 s19, 0, v161
	v_not_b32_e32 v159, v161
	v_cmp_gt_i32_e64 s20, 0, v162
	v_not_b32_e32 v161, v162
	v_not_b32_e32 v162, v163
	s_delay_alu instid0(VALU_DEP_4) | instskip(SKIP_3) | instid1(VALU_DEP_3)
	v_dual_ashrrev_i32 v159, 31, v159 :: v_dual_bitop2_b32 v61, vcc_lo, v61 bitop3:0x14
	v_dual_ashrrev_i32 v157, 31, v157 :: v_dual_bitop2_b32 v154, s16, v154 bitop3:0x14
	v_dual_ashrrev_i32 v158, 31, v158 :: v_dual_bitop2_b32 v153, s15, v153 bitop3:0x14
	v_cmp_gt_i32_e64 s21, 0, v163
	v_xor_b32_e32 v157, s17, v157
	v_xor_b32_e32 v159, s19, v159
	s_delay_alu instid0(VALU_DEP_4) | instskip(SKIP_2) | instid1(VALU_DEP_2)
	v_xor_b32_e32 v158, s18, v158
	v_bitop3_b32 v61, v61, v153, exec_lo bitop3:0x80
	v_dual_ashrrev_i32 v153, 31, v161 :: v_dual_ashrrev_i32 v161, 31, v162
	v_bitop3_b32 v61, v61, v157, v154 bitop3:0x80
	v_mad_u32_u24 v154, v155, 36, v23
	s_delay_alu instid0(VALU_DEP_3) | instskip(NEXT) | instid1(VALU_DEP_4)
	v_xor_b32_e32 v157, s20, v153
	v_xor_b32_e32 v161, s21, v161
	v_mul_u32_u24_e32 v155, 36, v155
	v_bitop3_b32 v61, v61, v159, v158 bitop3:0x80
	ds_load_b32 v153, v154 offset:1056
	; wave barrier
	v_add_nc_u32_e32 v155, v23, v155
	v_bitop3_b32 v61, v61, v161, v157 bitop3:0x80
	s_delay_alu instid0(VALU_DEP_1) | instskip(SKIP_1) | instid1(VALU_DEP_2)
	v_mbcnt_lo_u32_b32 v154, v61, 0
	v_cmp_ne_u32_e64 s15, 0, v61
	v_cmp_eq_u32_e32 vcc_lo, 0, v154
	s_and_b32 s16, s15, vcc_lo
	s_delay_alu instid0(SALU_CYCLE_1)
	s_and_saveexec_b32 s15, s16
	s_cbranch_execz .LBB1730_726
; %bb.725:                              ;   in Loop: Header=BB1730_682 Depth=2
	s_wait_dscnt 0x0
	v_bcnt_u32_b32 v61, v61, v153
	ds_store_b32 v155, v61 offset:1056
.LBB1730_726:                           ;   in Loop: Header=BB1730_682 Depth=2
	s_or_b32 exec_lo, exec_lo, s15
	v_cmp_gt_i16_e64 vcc_lo, 0, v152
	; wave barrier
	s_delay_alu instid0(VALU_DEP_1) | instskip(NEXT) | instid1(VALU_DEP_1)
	v_cndmask_b32_e64 v61, 0x7fff, 0, vcc_lo
	v_xor_b32_e32 v152, v61, v152
	s_delay_alu instid0(VALU_DEP_1) | instskip(SKIP_1) | instid1(VALU_DEP_1)
	v_cmp_ne_u16_e64 vcc_lo, 0x8000, v152
	v_cndmask_b32_e32 v61, 0x7fff, v152, vcc_lo
	v_and_b32_e32 v61, 0xffff, v61
	s_delay_alu instid0(VALU_DEP_1) | instskip(NEXT) | instid1(VALU_DEP_1)
	v_lshrrev_b32_e32 v61, s49, v61
	v_bitop3_b32 v157, v61, 1, s52 bitop3:0x80
	v_and_b32_e32 v159, s52, v61
	s_delay_alu instid0(VALU_DEP_2) | instskip(NEXT) | instid1(VALU_DEP_1)
	v_add_co_u32 v61, s15, v157, -1
	v_cndmask_b32_e64 v157, 0, 1, s15
	s_delay_alu instid0(VALU_DEP_3) | instskip(NEXT) | instid1(VALU_DEP_2)
	v_dual_lshlrev_b32 v158, 30, v159 :: v_dual_lshlrev_b32 v161, 29, v159
	v_cmp_ne_u32_e32 vcc_lo, 0, v157
	s_delay_alu instid0(VALU_DEP_2) | instskip(SKIP_1) | instid1(VALU_DEP_4)
	v_cmp_gt_i32_e64 s15, 0, v158
	v_not_b32_e32 v157, v158
	v_not_b32_e32 v158, v161
	s_delay_alu instid0(VALU_DEP_1) | instskip(SKIP_3) | instid1(VALU_DEP_4)
	v_dual_ashrrev_i32 v158, 31, v158 :: v_dual_lshlrev_b32 v162, 28, v159
	v_dual_lshlrev_b32 v163, 27, v159 :: v_dual_lshlrev_b32 v165, 26, v159
	v_dual_lshlrev_b32 v166, 25, v159 :: v_dual_lshlrev_b32 v167, 24, v159
	v_cmp_gt_i32_e64 s16, 0, v161
	v_cmp_gt_i32_e64 s17, 0, v162
	v_not_b32_e32 v161, v162
	v_not_b32_e32 v162, v163
	v_ashrrev_i32_e32 v157, 31, v157
	v_cmp_gt_i32_e64 s18, 0, v163
	v_cmp_gt_i32_e64 s19, 0, v165
	v_not_b32_e32 v163, v165
	v_cmp_gt_i32_e64 s20, 0, v166
	v_not_b32_e32 v165, v166
	v_not_b32_e32 v166, v167
	s_delay_alu instid0(VALU_DEP_4) | instskip(SKIP_3) | instid1(VALU_DEP_3)
	v_dual_ashrrev_i32 v163, 31, v163 :: v_dual_bitop2_b32 v61, vcc_lo, v61 bitop3:0x14
	v_dual_ashrrev_i32 v161, 31, v161 :: v_dual_bitop2_b32 v158, s16, v158 bitop3:0x14
	v_dual_ashrrev_i32 v162, 31, v162 :: v_dual_bitop2_b32 v157, s15, v157 bitop3:0x14
	v_cmp_gt_i32_e64 s21, 0, v167
	v_xor_b32_e32 v161, s17, v161
	v_xor_b32_e32 v163, s19, v163
	s_delay_alu instid0(VALU_DEP_4) | instskip(SKIP_2) | instid1(VALU_DEP_2)
	v_xor_b32_e32 v162, s18, v162
	v_bitop3_b32 v61, v61, v157, exec_lo bitop3:0x80
	v_dual_ashrrev_i32 v157, 31, v165 :: v_dual_ashrrev_i32 v165, 31, v166
	v_bitop3_b32 v61, v61, v161, v158 bitop3:0x80
	v_mad_u32_u24 v158, v159, 36, v23
	s_delay_alu instid0(VALU_DEP_3) | instskip(NEXT) | instid1(VALU_DEP_4)
	v_xor_b32_e32 v161, s20, v157
	v_xor_b32_e32 v165, s21, v165
	v_mul_u32_u24_e32 v159, 36, v159
	v_bitop3_b32 v61, v61, v163, v162 bitop3:0x80
	ds_load_b32 v157, v158 offset:1056
	; wave barrier
	v_add_nc_u32_e32 v159, v23, v159
	v_bitop3_b32 v61, v61, v165, v161 bitop3:0x80
	s_delay_alu instid0(VALU_DEP_1) | instskip(SKIP_1) | instid1(VALU_DEP_2)
	v_mbcnt_lo_u32_b32 v158, v61, 0
	v_cmp_ne_u32_e64 s15, 0, v61
	v_cmp_eq_u32_e32 vcc_lo, 0, v158
	s_and_b32 s16, s15, vcc_lo
	s_delay_alu instid0(SALU_CYCLE_1)
	s_and_saveexec_b32 s15, s16
	s_cbranch_execz .LBB1730_728
; %bb.727:                              ;   in Loop: Header=BB1730_682 Depth=2
	s_wait_dscnt 0x0
	v_bcnt_u32_b32 v61, v61, v157
	ds_store_b32 v159, v61 offset:1056
.LBB1730_728:                           ;   in Loop: Header=BB1730_682 Depth=2
	s_or_b32 exec_lo, exec_lo, s15
	v_cmp_gt_i16_e64 vcc_lo, 0, v156
	; wave barrier
	s_delay_alu instid0(VALU_DEP_1) | instskip(NEXT) | instid1(VALU_DEP_1)
	v_cndmask_b32_e64 v61, 0x7fff, 0, vcc_lo
	v_xor_b32_e32 v156, v61, v156
	s_delay_alu instid0(VALU_DEP_1) | instskip(SKIP_1) | instid1(VALU_DEP_1)
	v_cmp_ne_u16_e64 vcc_lo, 0x8000, v156
	v_cndmask_b32_e32 v61, 0x7fff, v156, vcc_lo
	v_and_b32_e32 v61, 0xffff, v61
	s_delay_alu instid0(VALU_DEP_1) | instskip(NEXT) | instid1(VALU_DEP_1)
	v_lshrrev_b32_e32 v61, s49, v61
	v_bitop3_b32 v161, v61, 1, s52 bitop3:0x80
	v_and_b32_e32 v163, s52, v61
	s_delay_alu instid0(VALU_DEP_2) | instskip(NEXT) | instid1(VALU_DEP_1)
	v_add_co_u32 v61, s15, v161, -1
	v_cndmask_b32_e64 v161, 0, 1, s15
	s_delay_alu instid0(VALU_DEP_3) | instskip(NEXT) | instid1(VALU_DEP_2)
	v_dual_lshlrev_b32 v162, 30, v163 :: v_dual_lshlrev_b32 v165, 29, v163
	v_cmp_ne_u32_e32 vcc_lo, 0, v161
	s_delay_alu instid0(VALU_DEP_2) | instskip(SKIP_1) | instid1(VALU_DEP_4)
	v_cmp_gt_i32_e64 s15, 0, v162
	v_not_b32_e32 v161, v162
	v_not_b32_e32 v162, v165
	s_delay_alu instid0(VALU_DEP_1) | instskip(SKIP_3) | instid1(VALU_DEP_4)
	v_dual_ashrrev_i32 v162, 31, v162 :: v_dual_lshlrev_b32 v166, 28, v163
	v_dual_lshlrev_b32 v167, 27, v163 :: v_dual_lshlrev_b32 v169, 26, v163
	v_dual_lshlrev_b32 v170, 25, v163 :: v_dual_lshlrev_b32 v171, 24, v163
	v_cmp_gt_i32_e64 s16, 0, v165
	v_cmp_gt_i32_e64 s17, 0, v166
	v_not_b32_e32 v165, v166
	v_not_b32_e32 v166, v167
	v_ashrrev_i32_e32 v161, 31, v161
	v_cmp_gt_i32_e64 s18, 0, v167
	v_cmp_gt_i32_e64 s19, 0, v169
	v_not_b32_e32 v167, v169
	v_cmp_gt_i32_e64 s20, 0, v170
	v_not_b32_e32 v169, v170
	v_not_b32_e32 v170, v171
	s_delay_alu instid0(VALU_DEP_4) | instskip(SKIP_3) | instid1(VALU_DEP_3)
	v_dual_ashrrev_i32 v167, 31, v167 :: v_dual_bitop2_b32 v61, vcc_lo, v61 bitop3:0x14
	v_dual_ashrrev_i32 v165, 31, v165 :: v_dual_bitop2_b32 v162, s16, v162 bitop3:0x14
	v_dual_ashrrev_i32 v166, 31, v166 :: v_dual_bitop2_b32 v161, s15, v161 bitop3:0x14
	v_cmp_gt_i32_e64 s21, 0, v171
	v_xor_b32_e32 v165, s17, v165
	v_xor_b32_e32 v167, s19, v167
	s_delay_alu instid0(VALU_DEP_4) | instskip(SKIP_2) | instid1(VALU_DEP_2)
	v_xor_b32_e32 v166, s18, v166
	v_bitop3_b32 v61, v61, v161, exec_lo bitop3:0x80
	v_dual_ashrrev_i32 v161, 31, v169 :: v_dual_ashrrev_i32 v169, 31, v170
	v_bitop3_b32 v61, v61, v165, v162 bitop3:0x80
	v_mad_u32_u24 v162, v163, 36, v23
	s_delay_alu instid0(VALU_DEP_3) | instskip(NEXT) | instid1(VALU_DEP_4)
	v_xor_b32_e32 v165, s20, v161
	v_xor_b32_e32 v169, s21, v169
	v_mul_u32_u24_e32 v163, 36, v163
	v_bitop3_b32 v61, v61, v167, v166 bitop3:0x80
	ds_load_b32 v161, v162 offset:1056
	; wave barrier
	v_add_nc_u32_e32 v163, v23, v163
	v_bitop3_b32 v61, v61, v169, v165 bitop3:0x80
	s_delay_alu instid0(VALU_DEP_1) | instskip(SKIP_1) | instid1(VALU_DEP_2)
	v_mbcnt_lo_u32_b32 v162, v61, 0
	v_cmp_ne_u32_e64 s15, 0, v61
	v_cmp_eq_u32_e32 vcc_lo, 0, v162
	s_and_b32 s16, s15, vcc_lo
	s_delay_alu instid0(SALU_CYCLE_1)
	s_and_saveexec_b32 s15, s16
	s_cbranch_execz .LBB1730_730
; %bb.729:                              ;   in Loop: Header=BB1730_682 Depth=2
	s_wait_dscnt 0x0
	v_bcnt_u32_b32 v61, v61, v161
	ds_store_b32 v163, v61 offset:1056
.LBB1730_730:                           ;   in Loop: Header=BB1730_682 Depth=2
	s_or_b32 exec_lo, exec_lo, s15
	v_cmp_gt_i16_e64 vcc_lo, 0, v160
	; wave barrier
	s_delay_alu instid0(VALU_DEP_1) | instskip(NEXT) | instid1(VALU_DEP_1)
	v_cndmask_b32_e64 v61, 0x7fff, 0, vcc_lo
	v_xor_b32_e32 v160, v61, v160
	s_delay_alu instid0(VALU_DEP_1) | instskip(SKIP_1) | instid1(VALU_DEP_1)
	v_cmp_ne_u16_e64 vcc_lo, 0x8000, v160
	v_cndmask_b32_e32 v61, 0x7fff, v160, vcc_lo
	v_and_b32_e32 v61, 0xffff, v61
	s_delay_alu instid0(VALU_DEP_1) | instskip(NEXT) | instid1(VALU_DEP_1)
	v_lshrrev_b32_e32 v61, s49, v61
	v_bitop3_b32 v165, v61, 1, s52 bitop3:0x80
	v_and_b32_e32 v167, s52, v61
	s_delay_alu instid0(VALU_DEP_2) | instskip(NEXT) | instid1(VALU_DEP_1)
	v_add_co_u32 v61, s15, v165, -1
	v_cndmask_b32_e64 v165, 0, 1, s15
	s_delay_alu instid0(VALU_DEP_3) | instskip(NEXT) | instid1(VALU_DEP_2)
	v_dual_lshlrev_b32 v166, 30, v167 :: v_dual_lshlrev_b32 v169, 29, v167
	v_cmp_ne_u32_e32 vcc_lo, 0, v165
	s_delay_alu instid0(VALU_DEP_2) | instskip(SKIP_1) | instid1(VALU_DEP_4)
	v_cmp_gt_i32_e64 s15, 0, v166
	v_not_b32_e32 v165, v166
	v_not_b32_e32 v166, v169
	s_delay_alu instid0(VALU_DEP_1) | instskip(SKIP_3) | instid1(VALU_DEP_4)
	v_dual_ashrrev_i32 v166, 31, v166 :: v_dual_lshlrev_b32 v170, 28, v167
	v_dual_lshlrev_b32 v171, 27, v167 :: v_dual_lshlrev_b32 v172, 26, v167
	v_cmp_gt_i32_e64 s16, 0, v169
	v_dual_lshlrev_b32 v173, 25, v167 :: v_dual_lshlrev_b32 v174, 24, v167
	v_cmp_gt_i32_e64 s17, 0, v170
	v_not_b32_e32 v169, v170
	v_not_b32_e32 v170, v171
	v_ashrrev_i32_e32 v165, 31, v165
	v_cmp_gt_i32_e64 s18, 0, v171
	v_not_b32_e32 v171, v172
	v_xor_b32_e32 v61, vcc_lo, v61
	v_dual_ashrrev_i32 v169, 31, v169 :: v_dual_bitop2_b32 v166, s16, v166 bitop3:0x14
	v_dual_ashrrev_i32 v170, 31, v170 :: v_dual_bitop2_b32 v165, s15, v165 bitop3:0x14
	v_cmp_gt_i32_e64 s19, 0, v172
	v_cmp_gt_i32_e64 s20, 0, v173
	v_not_b32_e32 v172, v173
	v_not_b32_e32 v173, v174
	v_dual_ashrrev_i32 v171, 31, v171 :: v_dual_bitop2_b32 v169, s17, v169 bitop3:0x14
	v_bitop3_b32 v61, v61, v165, exec_lo bitop3:0x80
	v_cmp_gt_i32_e64 s21, 0, v174
	s_delay_alu instid0(VALU_DEP_4)
	v_dual_ashrrev_i32 v165, 31, v172 :: v_dual_ashrrev_i32 v172, 31, v173
	v_xor_b32_e32 v170, s18, v170
	v_xor_b32_e32 v171, s19, v171
	v_bitop3_b32 v61, v61, v169, v166 bitop3:0x80
	v_mad_u32_u24 v166, v167, 36, v23
	v_xor_b32_e32 v169, s20, v165
	v_xor_b32_e32 v172, s21, v172
	v_mul_u32_u24_e32 v167, 36, v167
	v_bitop3_b32 v61, v61, v171, v170 bitop3:0x80
	ds_load_b32 v165, v166 offset:1056
	; wave barrier
	v_add_nc_u32_e32 v167, v23, v167
	v_bitop3_b32 v61, v61, v172, v169 bitop3:0x80
	s_delay_alu instid0(VALU_DEP_1) | instskip(SKIP_1) | instid1(VALU_DEP_2)
	v_mbcnt_lo_u32_b32 v166, v61, 0
	v_cmp_ne_u32_e64 s15, 0, v61
	v_cmp_eq_u32_e32 vcc_lo, 0, v166
	s_and_b32 s16, s15, vcc_lo
	s_delay_alu instid0(SALU_CYCLE_1)
	s_and_saveexec_b32 s15, s16
	s_cbranch_execz .LBB1730_732
; %bb.731:                              ;   in Loop: Header=BB1730_682 Depth=2
	s_wait_dscnt 0x0
	v_bcnt_u32_b32 v61, v61, v165
	ds_store_b32 v167, v61 offset:1056
.LBB1730_732:                           ;   in Loop: Header=BB1730_682 Depth=2
	s_or_b32 exec_lo, exec_lo, s15
	v_cmp_gt_i16_e64 vcc_lo, 0, v164
	; wave barrier
	s_delay_alu instid0(VALU_DEP_1) | instskip(NEXT) | instid1(VALU_DEP_1)
	v_cndmask_b32_e64 v61, 0x7fff, 0, vcc_lo
	v_xor_b32_e32 v164, v61, v164
	s_delay_alu instid0(VALU_DEP_1) | instskip(SKIP_1) | instid1(VALU_DEP_1)
	v_cmp_ne_u16_e64 vcc_lo, 0x8000, v164
	v_cndmask_b32_e32 v61, 0x7fff, v164, vcc_lo
	v_and_b32_e32 v61, 0xffff, v61
	s_delay_alu instid0(VALU_DEP_1) | instskip(NEXT) | instid1(VALU_DEP_1)
	v_lshrrev_b32_e32 v61, s49, v61
	v_bitop3_b32 v169, v61, 1, s52 bitop3:0x80
	v_and_b32_e32 v171, s52, v61
	s_delay_alu instid0(VALU_DEP_2) | instskip(NEXT) | instid1(VALU_DEP_1)
	v_add_co_u32 v61, s15, v169, -1
	v_cndmask_b32_e64 v169, 0, 1, s15
	s_delay_alu instid0(VALU_DEP_3) | instskip(NEXT) | instid1(VALU_DEP_2)
	v_dual_lshlrev_b32 v170, 30, v171 :: v_dual_lshlrev_b32 v172, 29, v171
	v_cmp_ne_u32_e32 vcc_lo, 0, v169
	s_delay_alu instid0(VALU_DEP_2) | instskip(SKIP_1) | instid1(VALU_DEP_4)
	v_cmp_gt_i32_e64 s15, 0, v170
	v_not_b32_e32 v169, v170
	v_not_b32_e32 v170, v172
	s_delay_alu instid0(VALU_DEP_1) | instskip(SKIP_3) | instid1(VALU_DEP_4)
	v_dual_ashrrev_i32 v170, 31, v170 :: v_dual_lshlrev_b32 v173, 28, v171
	v_dual_lshlrev_b32 v174, 27, v171 :: v_dual_lshlrev_b32 v175, 26, v171
	v_dual_lshlrev_b32 v176, 25, v171 :: v_dual_lshlrev_b32 v177, 24, v171
	v_cmp_gt_i32_e64 s16, 0, v172
	v_not_b32_e32 v172, v173
	v_ashrrev_i32_e32 v169, 31, v169
	v_cmp_gt_i32_e64 s17, 0, v173
	v_cmp_gt_i32_e64 s18, 0, v174
	v_not_b32_e32 v173, v174
	v_cmp_gt_i32_e64 s19, 0, v175
	v_not_b32_e32 v174, v175
	;; [unrolled: 2-line block ×3, first 2 shown]
	v_not_b32_e32 v176, v177
	s_delay_alu instid0(VALU_DEP_4) | instskip(SKIP_3) | instid1(VALU_DEP_3)
	v_dual_ashrrev_i32 v174, 31, v174 :: v_dual_bitop2_b32 v61, vcc_lo, v61 bitop3:0x14
	v_dual_ashrrev_i32 v172, 31, v172 :: v_dual_bitop2_b32 v169, s15, v169 bitop3:0x14
	v_dual_ashrrev_i32 v173, 31, v173 :: v_dual_bitop2_b32 v170, s16, v170 bitop3:0x14
	v_cmp_gt_i32_e64 s21, 0, v177
	v_xor_b32_e32 v172, s17, v172
	s_delay_alu instid0(VALU_DEP_4) | instskip(SKIP_2) | instid1(VALU_DEP_3)
	v_bitop3_b32 v61, v61, v169, exec_lo bitop3:0x80
	v_dual_ashrrev_i32 v169, 31, v175 :: v_dual_ashrrev_i32 v175, 31, v176
	v_xor_b32_e32 v174, s19, v174
	v_bitop3_b32 v61, v61, v172, v170 bitop3:0x80
	v_mad_u32_u24 v170, v171, 36, v23
	v_mul_u32_u24_e32 v171, 36, v171
	v_xor_b32_e32 v173, s18, v173
	v_xor_b32_e32 v172, s20, v169
	;; [unrolled: 1-line block ×3, first 2 shown]
	ds_load_b32 v169, v170 offset:1056
	v_add_nc_u32_e32 v171, v23, v171
	v_bitop3_b32 v61, v61, v174, v173 bitop3:0x80
	; wave barrier
	s_delay_alu instid0(VALU_DEP_1) | instskip(NEXT) | instid1(VALU_DEP_1)
	v_bitop3_b32 v61, v61, v175, v172 bitop3:0x80
	v_mbcnt_lo_u32_b32 v170, v61, 0
	v_cmp_ne_u32_e64 s15, 0, v61
	s_delay_alu instid0(VALU_DEP_2) | instskip(SKIP_1) | instid1(SALU_CYCLE_1)
	v_cmp_eq_u32_e32 vcc_lo, 0, v170
	s_and_b32 s16, s15, vcc_lo
	s_and_saveexec_b32 s15, s16
	s_cbranch_execz .LBB1730_734
; %bb.733:                              ;   in Loop: Header=BB1730_682 Depth=2
	s_wait_dscnt 0x0
	v_bcnt_u32_b32 v61, v61, v169
	ds_store_b32 v171, v61 offset:1056
.LBB1730_734:                           ;   in Loop: Header=BB1730_682 Depth=2
	s_or_b32 exec_lo, exec_lo, s15
	v_cmp_gt_i16_e64 vcc_lo, 0, v168
	; wave barrier
	s_delay_alu instid0(VALU_DEP_1) | instskip(NEXT) | instid1(VALU_DEP_1)
	v_cndmask_b32_e64 v61, 0x7fff, 0, vcc_lo
	v_xor_b32_e32 v168, v61, v168
	s_delay_alu instid0(VALU_DEP_1) | instskip(SKIP_1) | instid1(VALU_DEP_1)
	v_cmp_ne_u16_e64 vcc_lo, 0x8000, v168
	v_cndmask_b32_e32 v61, 0x7fff, v168, vcc_lo
	v_and_b32_e32 v61, 0xffff, v61
	s_delay_alu instid0(VALU_DEP_1) | instskip(NEXT) | instid1(VALU_DEP_1)
	v_lshrrev_b32_e32 v61, s49, v61
	v_bitop3_b32 v172, v61, 1, s52 bitop3:0x80
	v_and_b32_e32 v175, s52, v61
	s_delay_alu instid0(VALU_DEP_2) | instskip(NEXT) | instid1(VALU_DEP_1)
	v_add_co_u32 v61, s15, v172, -1
	v_cndmask_b32_e64 v172, 0, 1, s15
	s_delay_alu instid0(VALU_DEP_3) | instskip(NEXT) | instid1(VALU_DEP_2)
	v_lshlrev_b32_e32 v173, 30, v175
	v_cmp_ne_u32_e32 vcc_lo, 0, v172
	s_delay_alu instid0(VALU_DEP_2) | instskip(NEXT) | instid1(VALU_DEP_1)
	v_not_b32_e32 v172, v173
	v_dual_ashrrev_i32 v172, 31, v172 :: v_dual_lshlrev_b32 v174, 29, v175
	v_dual_lshlrev_b32 v176, 28, v175 :: v_dual_lshlrev_b32 v177, 27, v175
	v_lshlrev_b32_e32 v178, 26, v175
	v_cmp_gt_i32_e64 s15, 0, v173
	s_delay_alu instid0(VALU_DEP_4)
	v_cmp_gt_i32_e64 s16, 0, v174
	v_not_b32_e32 v173, v174
	v_not_b32_e32 v174, v176
	v_dual_lshlrev_b32 v179, 25, v175 :: v_dual_lshlrev_b32 v180, 24, v175
	v_cmp_gt_i32_e64 s17, 0, v176
	v_cmp_gt_i32_e64 s18, 0, v177
	v_not_b32_e32 v176, v177
	v_not_b32_e32 v177, v178
	v_dual_ashrrev_i32 v174, 31, v174 :: v_dual_bitop2_b32 v61, vcc_lo, v61 bitop3:0x14
	v_dual_ashrrev_i32 v173, 31, v173 :: v_dual_bitop2_b32 v172, s15, v172 bitop3:0x14
	v_cmp_gt_i32_e64 s19, 0, v178
	v_cmp_gt_i32_e64 s20, 0, v179
	v_not_b32_e32 v178, v179
	v_not_b32_e32 v179, v180
	v_dual_ashrrev_i32 v176, 31, v176 :: v_dual_ashrrev_i32 v177, 31, v177
	v_xor_b32_e32 v173, s16, v173
	v_xor_b32_e32 v174, s17, v174
	v_bitop3_b32 v61, v61, v172, exec_lo bitop3:0x80
	v_cmp_gt_i32_e64 s21, 0, v180
	v_dual_ashrrev_i32 v172, 31, v178 :: v_dual_ashrrev_i32 v178, 31, v179
	v_xor_b32_e32 v176, s18, v176
	v_xor_b32_e32 v177, s19, v177
	v_bitop3_b32 v61, v61, v174, v173 bitop3:0x80
	v_mad_u32_u24 v173, v175, 36, v23
	v_xor_b32_e32 v172, s20, v172
	v_xor_b32_e32 v174, s21, v178
	s_delay_alu instid0(VALU_DEP_4) | instskip(SKIP_3) | instid1(VALU_DEP_2)
	v_bitop3_b32 v61, v61, v177, v176 bitop3:0x80
	ds_load_b32 v173, v173 offset:1056
	; wave barrier
	v_bitop3_b32 v61, v61, v174, v172 bitop3:0x80
	v_mul_u32_u24_e32 v172, 36, v175
	v_mbcnt_lo_u32_b32 v174, v61, 0
	v_cmp_ne_u32_e64 s15, 0, v61
	s_delay_alu instid0(VALU_DEP_3) | instskip(NEXT) | instid1(VALU_DEP_3)
	v_add_nc_u32_e32 v175, v23, v172
	v_cmp_eq_u32_e32 vcc_lo, 0, v174
	s_and_b32 s16, s15, vcc_lo
	s_delay_alu instid0(SALU_CYCLE_1)
	s_and_saveexec_b32 s15, s16
	s_cbranch_execz .LBB1730_736
; %bb.735:                              ;   in Loop: Header=BB1730_682 Depth=2
	s_wait_dscnt 0x0
	v_bcnt_u32_b32 v61, v61, v173
	ds_store_b32 v175, v61 offset:1056
.LBB1730_736:                           ;   in Loop: Header=BB1730_682 Depth=2
	s_or_b32 exec_lo, exec_lo, s15
	v_cmp_gt_i16_e32 vcc_lo, 0, v67
	; wave barrier
	v_cndmask_b32_e64 v61, 0x7fff, 0, vcc_lo
	s_delay_alu instid0(VALU_DEP_1) | instskip(NEXT) | instid1(VALU_DEP_1)
	v_xor_b32_e32 v172, v61, v67
	v_cmp_ne_u16_e64 vcc_lo, 0x8000, v172
	v_cndmask_b32_e32 v61, 0x7fff, v172, vcc_lo
	s_delay_alu instid0(VALU_DEP_1) | instskip(NEXT) | instid1(VALU_DEP_1)
	v_and_b32_e32 v61, 0xffff, v61
	v_lshrrev_b32_e32 v61, s49, v61
	s_delay_alu instid0(VALU_DEP_1) | instskip(SKIP_1) | instid1(VALU_DEP_2)
	v_bitop3_b32 v67, v61, 1, s52 bitop3:0x80
	v_and_b32_e32 v176, s52, v61
	v_add_co_u32 v61, s15, v67, -1
	s_delay_alu instid0(VALU_DEP_1) | instskip(NEXT) | instid1(VALU_DEP_3)
	v_cndmask_b32_e64 v67, 0, 1, s15
	v_lshlrev_b32_e32 v177, 30, v176
	s_delay_alu instid0(VALU_DEP_2) | instskip(NEXT) | instid1(VALU_DEP_2)
	v_cmp_ne_u32_e32 vcc_lo, 0, v67
	v_not_b32_e32 v67, v177
	s_delay_alu instid0(VALU_DEP_1) | instskip(SKIP_4) | instid1(VALU_DEP_4)
	v_dual_ashrrev_i32 v67, 31, v67 :: v_dual_bitop2_b32 v61, vcc_lo, v61 bitop3:0x14
	v_dual_lshlrev_b32 v178, 29, v176 :: v_dual_lshlrev_b32 v179, 28, v176
	v_dual_lshlrev_b32 v180, 27, v176 :: v_dual_lshlrev_b32 v181, 26, v176
	v_lshlrev_b32_e32 v182, 25, v176
	v_cmp_gt_i32_e64 s15, 0, v177
	v_cmp_gt_i32_e64 s16, 0, v178
	v_not_b32_e32 v177, v178
	v_not_b32_e32 v178, v179
	v_lshlrev_b32_e32 v183, 24, v176
	v_cmp_gt_i32_e64 s17, 0, v179
	v_cmp_gt_i32_e64 s18, 0, v180
	v_not_b32_e32 v179, v180
	v_not_b32_e32 v180, v181
	v_dual_ashrrev_i32 v177, 31, v177 :: v_dual_bitop2_b32 v67, s15, v67 bitop3:0x14
	v_ashrrev_i32_e32 v178, 31, v178
	v_cmp_gt_i32_e64 s19, 0, v181
	v_cmp_gt_i32_e64 s20, 0, v182
	v_not_b32_e32 v181, v182
	v_not_b32_e32 v182, v183
	v_dual_ashrrev_i32 v179, 31, v179 :: v_dual_ashrrev_i32 v180, 31, v180
	v_xor_b32_e32 v177, s16, v177
	v_xor_b32_e32 v178, s17, v178
	v_bitop3_b32 v61, v61, v67, exec_lo bitop3:0x80
	v_cmp_gt_i32_e64 s21, 0, v183
	v_dual_ashrrev_i32 v67, 31, v181 :: v_dual_ashrrev_i32 v181, 31, v182
	v_xor_b32_e32 v179, s18, v179
	v_xor_b32_e32 v180, s19, v180
	v_bitop3_b32 v61, v61, v178, v177 bitop3:0x80
	v_mad_u32_u24 v177, v176, 36, v23
	v_xor_b32_e32 v67, s20, v67
	v_xor_b32_e32 v178, s21, v181
	s_delay_alu instid0(VALU_DEP_4) | instskip(SKIP_3) | instid1(VALU_DEP_2)
	v_bitop3_b32 v61, v61, v180, v179 bitop3:0x80
	ds_load_b32 v177, v177 offset:1056
	; wave barrier
	v_bitop3_b32 v61, v61, v178, v67 bitop3:0x80
	v_mul_u32_u24_e32 v67, 36, v176
	v_mbcnt_lo_u32_b32 v178, v61, 0
	v_cmp_ne_u32_e64 s15, 0, v61
	s_delay_alu instid0(VALU_DEP_3) | instskip(NEXT) | instid1(VALU_DEP_3)
	v_add_nc_u32_e32 v179, v23, v67
	v_cmp_eq_u32_e32 vcc_lo, 0, v178
	s_and_b32 s16, s15, vcc_lo
	s_delay_alu instid0(SALU_CYCLE_1)
	s_and_saveexec_b32 s15, s16
	s_cbranch_execz .LBB1730_738
; %bb.737:                              ;   in Loop: Header=BB1730_682 Depth=2
	s_wait_dscnt 0x0
	v_bcnt_u32_b32 v61, v61, v177
	ds_store_b32 v179, v61 offset:1056
.LBB1730_738:                           ;   in Loop: Header=BB1730_682 Depth=2
	s_or_b32 exec_lo, exec_lo, s15
	v_cmp_gt_i16_e32 vcc_lo, 0, v66
	; wave barrier
	v_cndmask_b32_e64 v61, 0x7fff, 0, vcc_lo
	s_delay_alu instid0(VALU_DEP_1) | instskip(NEXT) | instid1(VALU_DEP_1)
	v_xor_b32_e32 v176, v61, v66
	v_cmp_ne_u16_e64 vcc_lo, 0x8000, v176
	v_cndmask_b32_e32 v61, 0x7fff, v176, vcc_lo
	s_delay_alu instid0(VALU_DEP_1) | instskip(NEXT) | instid1(VALU_DEP_1)
	v_and_b32_e32 v61, 0xffff, v61
	v_lshrrev_b32_e32 v61, s49, v61
	s_delay_alu instid0(VALU_DEP_1) | instskip(SKIP_1) | instid1(VALU_DEP_2)
	v_bitop3_b32 v66, v61, 1, s52 bitop3:0x80
	v_and_b32_e32 v67, s52, v61
	v_add_co_u32 v61, s15, v66, -1
	s_delay_alu instid0(VALU_DEP_1) | instskip(NEXT) | instid1(VALU_DEP_3)
	v_cndmask_b32_e64 v66, 0, 1, s15
	v_lshlrev_b32_e32 v180, 30, v67
	s_delay_alu instid0(VALU_DEP_2) | instskip(NEXT) | instid1(VALU_DEP_2)
	v_cmp_ne_u32_e32 vcc_lo, 0, v66
	v_not_b32_e32 v66, v180
	v_cmp_gt_i32_e64 s15, 0, v180
	s_delay_alu instid0(VALU_DEP_2) | instskip(SKIP_3) | instid1(VALU_DEP_4)
	v_dual_ashrrev_i32 v66, 31, v66 :: v_dual_lshlrev_b32 v181, 29, v67
	v_dual_lshlrev_b32 v182, 28, v67 :: v_dual_lshlrev_b32 v183, 27, v67
	v_dual_lshlrev_b32 v184, 26, v67 :: v_dual_lshlrev_b32 v185, 25, v67
	v_lshlrev_b32_e32 v186, 24, v67
	v_cmp_gt_i32_e64 s16, 0, v181
	v_not_b32_e32 v180, v181
	v_not_b32_e32 v181, v182
	v_cmp_gt_i32_e64 s17, 0, v182
	v_cmp_gt_i32_e64 s18, 0, v183
	v_not_b32_e32 v182, v183
	v_not_b32_e32 v183, v184
	v_dual_ashrrev_i32 v180, 31, v180 :: v_dual_bitop2_b32 v61, vcc_lo, v61 bitop3:0x14
	v_dual_ashrrev_i32 v181, 31, v181 :: v_dual_bitop2_b32 v66, s15, v66 bitop3:0x14
	v_cmp_gt_i32_e64 s19, 0, v184
	v_cmp_gt_i32_e64 s20, 0, v185
	v_not_b32_e32 v184, v185
	v_not_b32_e32 v185, v186
	v_dual_ashrrev_i32 v182, 31, v182 :: v_dual_ashrrev_i32 v183, 31, v183
	v_xor_b32_e32 v180, s16, v180
	v_xor_b32_e32 v181, s17, v181
	v_bitop3_b32 v61, v61, v66, exec_lo bitop3:0x80
	v_cmp_gt_i32_e64 s21, 0, v186
	v_dual_ashrrev_i32 v66, 31, v184 :: v_dual_ashrrev_i32 v184, 31, v185
	v_xor_b32_e32 v182, s18, v182
	v_xor_b32_e32 v183, s19, v183
	v_bitop3_b32 v61, v61, v181, v180 bitop3:0x80
	v_mad_u32_u24 v180, v67, 36, v23
	v_xor_b32_e32 v66, s20, v66
	v_xor_b32_e32 v184, s21, v184
	s_delay_alu instid0(VALU_DEP_4) | instskip(SKIP_3) | instid1(VALU_DEP_2)
	v_bitop3_b32 v61, v61, v183, v182 bitop3:0x80
	ds_load_b32 v181, v180 offset:1056
	; wave barrier
	v_bitop3_b32 v61, v61, v184, v66 bitop3:0x80
	v_mul_u32_u24_e32 v66, 36, v67
	v_mbcnt_lo_u32_b32 v182, v61, 0
	v_cmp_ne_u32_e64 s15, 0, v61
	s_delay_alu instid0(VALU_DEP_3) | instskip(NEXT) | instid1(VALU_DEP_3)
	v_add_nc_u32_e32 v183, v23, v66
	v_cmp_eq_u32_e32 vcc_lo, 0, v182
	s_and_b32 s16, s15, vcc_lo
	s_delay_alu instid0(SALU_CYCLE_1)
	s_and_saveexec_b32 s15, s16
	s_cbranch_execz .LBB1730_740
; %bb.739:                              ;   in Loop: Header=BB1730_682 Depth=2
	s_wait_dscnt 0x0
	v_bcnt_u32_b32 v61, v61, v181
	ds_store_b32 v183, v61 offset:1056
.LBB1730_740:                           ;   in Loop: Header=BB1730_682 Depth=2
	s_or_b32 exec_lo, exec_lo, s15
	v_cmp_gt_i16_e32 vcc_lo, 0, v65
	; wave barrier
	v_cndmask_b32_e64 v61, 0x7fff, 0, vcc_lo
	s_delay_alu instid0(VALU_DEP_1) | instskip(NEXT) | instid1(VALU_DEP_1)
	v_xor_b32_e32 v180, v61, v65
	v_cmp_ne_u16_e64 vcc_lo, 0x8000, v180
	v_cndmask_b32_e32 v61, 0x7fff, v180, vcc_lo
	s_delay_alu instid0(VALU_DEP_1) | instskip(NEXT) | instid1(VALU_DEP_1)
	v_and_b32_e32 v61, 0xffff, v61
	v_lshrrev_b32_e32 v61, s49, v61
	s_delay_alu instid0(VALU_DEP_1) | instskip(NEXT) | instid1(VALU_DEP_1)
	v_and_b32_e32 v66, s52, v61
	v_lshlrev_b32_e32 v185, 28, v66
	v_bitop3_b32 v65, v61, 1, s52 bitop3:0x80
	v_dual_lshlrev_b32 v67, 30, v66 :: v_dual_lshlrev_b32 v184, 29, v66
	s_delay_alu instid0(VALU_DEP_3) | instskip(NEXT) | instid1(VALU_DEP_3)
	v_cmp_gt_i32_e64 s17, 0, v185
	v_add_co_u32 v61, s15, v65, -1
	s_delay_alu instid0(VALU_DEP_1) | instskip(NEXT) | instid1(VALU_DEP_4)
	v_cndmask_b32_e64 v65, 0, 1, s15
	v_cmp_gt_i32_e64 s15, 0, v67
	v_cmp_gt_i32_e64 s16, 0, v184
	s_delay_alu instid0(VALU_DEP_3) | instskip(SKIP_3) | instid1(VALU_DEP_2)
	v_cmp_ne_u32_e32 vcc_lo, 0, v65
	v_not_b32_e32 v65, v67
	v_not_b32_e32 v67, v184
	v_not_b32_e32 v184, v185
	v_dual_ashrrev_i32 v65, 31, v65 :: v_dual_ashrrev_i32 v67, 31, v67
	v_dual_lshlrev_b32 v186, 27, v66 :: v_dual_lshlrev_b32 v187, 26, v66
	v_dual_lshlrev_b32 v188, 25, v66 :: v_dual_lshlrev_b32 v189, 24, v66
	s_delay_alu instid0(VALU_DEP_4) | instskip(NEXT) | instid1(VALU_DEP_3)
	v_ashrrev_i32_e32 v184, 31, v184
	v_cmp_gt_i32_e64 s18, 0, v186
	v_not_b32_e32 v185, v186
	v_cmp_gt_i32_e64 s19, 0, v187
	v_not_b32_e32 v186, v187
	;; [unrolled: 2-line block ×3, first 2 shown]
	v_not_b32_e32 v188, v189
	s_delay_alu instid0(VALU_DEP_4) | instskip(SKIP_4) | instid1(VALU_DEP_4)
	v_dual_ashrrev_i32 v186, 31, v186 :: v_dual_bitop2_b32 v61, vcc_lo, v61 bitop3:0x14
	v_xor_b32_e32 v65, s15, v65
	v_dual_ashrrev_i32 v185, 31, v185 :: v_dual_bitop2_b32 v67, s16, v67 bitop3:0x14
	v_xor_b32_e32 v184, s17, v184
	v_cmp_gt_i32_e64 s21, 0, v189
	v_bitop3_b32 v61, v61, v65, exec_lo bitop3:0x80
	v_dual_ashrrev_i32 v65, 31, v187 :: v_dual_ashrrev_i32 v187, 31, v188
	v_xor_b32_e32 v185, s18, v185
	v_xor_b32_e32 v186, s19, v186
	s_delay_alu instid0(VALU_DEP_4) | instskip(SKIP_3) | instid1(VALU_DEP_4)
	v_bitop3_b32 v61, v61, v184, v67 bitop3:0x80
	v_mad_u32_u24 v67, v66, 36, v23
	v_xor_b32_e32 v65, s20, v65
	v_xor_b32_e32 v184, s21, v187
	v_bitop3_b32 v61, v61, v186, v185 bitop3:0x80
	ds_load_b32 v185, v67 offset:1056
	; wave barrier
	v_bitop3_b32 v61, v61, v184, v65 bitop3:0x80
	v_mul_u32_u24_e32 v65, 36, v66
	s_delay_alu instid0(VALU_DEP_2) | instskip(SKIP_1) | instid1(VALU_DEP_3)
	v_mbcnt_lo_u32_b32 v186, v61, 0
	v_cmp_ne_u32_e64 s15, 0, v61
	v_add_nc_u32_e32 v187, v23, v65
	s_delay_alu instid0(VALU_DEP_3) | instskip(SKIP_1) | instid1(SALU_CYCLE_1)
	v_cmp_eq_u32_e32 vcc_lo, 0, v186
	s_and_b32 s16, s15, vcc_lo
	s_and_saveexec_b32 s15, s16
	s_cbranch_execz .LBB1730_742
; %bb.741:                              ;   in Loop: Header=BB1730_682 Depth=2
	s_wait_dscnt 0x0
	v_bcnt_u32_b32 v61, v61, v185
	ds_store_b32 v187, v61 offset:1056
.LBB1730_742:                           ;   in Loop: Header=BB1730_682 Depth=2
	s_or_b32 exec_lo, exec_lo, s15
	v_cmp_gt_i16_e32 vcc_lo, 0, v64
	; wave barrier
	v_cndmask_b32_e64 v61, 0x7fff, 0, vcc_lo
	s_delay_alu instid0(VALU_DEP_1) | instskip(NEXT) | instid1(VALU_DEP_1)
	v_xor_b32_e32 v184, v61, v64
	v_cmp_ne_u16_e64 vcc_lo, 0x8000, v184
	v_cndmask_b32_e32 v61, 0x7fff, v184, vcc_lo
	s_delay_alu instid0(VALU_DEP_1) | instskip(NEXT) | instid1(VALU_DEP_1)
	v_and_b32_e32 v61, 0xffff, v61
	v_lshrrev_b32_e32 v61, s49, v61
	s_delay_alu instid0(VALU_DEP_1) | instskip(SKIP_1) | instid1(VALU_DEP_2)
	v_bitop3_b32 v64, v61, 1, s52 bitop3:0x80
	v_and_b32_e32 v65, s52, v61
	v_add_co_u32 v61, s15, v64, -1
	s_delay_alu instid0(VALU_DEP_1) | instskip(NEXT) | instid1(VALU_DEP_3)
	v_cndmask_b32_e64 v64, 0, 1, s15
	v_lshlrev_b32_e32 v66, 30, v65
	s_delay_alu instid0(VALU_DEP_2) | instskip(NEXT) | instid1(VALU_DEP_2)
	v_cmp_ne_u32_e32 vcc_lo, 0, v64
	v_not_b32_e32 v64, v66
	v_cmp_gt_i32_e64 s15, 0, v66
	s_delay_alu instid0(VALU_DEP_2) | instskip(SKIP_3) | instid1(VALU_DEP_4)
	v_dual_ashrrev_i32 v64, 31, v64 :: v_dual_lshlrev_b32 v67, 29, v65
	v_dual_lshlrev_b32 v188, 28, v65 :: v_dual_lshlrev_b32 v189, 27, v65
	v_dual_lshlrev_b32 v190, 26, v65 :: v_dual_lshlrev_b32 v191, 25, v65
	v_lshlrev_b32_e32 v192, 24, v65
	v_cmp_gt_i32_e64 s16, 0, v67
	v_not_b32_e32 v66, v67
	v_not_b32_e32 v67, v188
	v_cmp_gt_i32_e64 s17, 0, v188
	v_cmp_gt_i32_e64 s18, 0, v189
	v_not_b32_e32 v188, v189
	v_not_b32_e32 v189, v190
	v_dual_ashrrev_i32 v66, 31, v66 :: v_dual_bitop2_b32 v61, vcc_lo, v61 bitop3:0x14
	v_dual_ashrrev_i32 v67, 31, v67 :: v_dual_bitop2_b32 v64, s15, v64 bitop3:0x14
	v_cmp_gt_i32_e64 s19, 0, v190
	v_cmp_gt_i32_e64 s20, 0, v191
	v_not_b32_e32 v190, v191
	v_not_b32_e32 v191, v192
	v_dual_ashrrev_i32 v188, 31, v188 :: v_dual_ashrrev_i32 v189, 31, v189
	v_xor_b32_e32 v66, s16, v66
	v_xor_b32_e32 v67, s17, v67
	v_bitop3_b32 v61, v61, v64, exec_lo bitop3:0x80
	v_cmp_gt_i32_e64 s21, 0, v192
	v_dual_ashrrev_i32 v64, 31, v190 :: v_dual_ashrrev_i32 v190, 31, v191
	v_xor_b32_e32 v188, s18, v188
	v_xor_b32_e32 v189, s19, v189
	v_bitop3_b32 v61, v61, v67, v66 bitop3:0x80
	v_mad_u32_u24 v66, v65, 36, v23
	v_xor_b32_e32 v64, s20, v64
	v_xor_b32_e32 v67, s21, v190
	s_delay_alu instid0(VALU_DEP_4) | instskip(SKIP_3) | instid1(VALU_DEP_2)
	v_bitop3_b32 v61, v61, v189, v188 bitop3:0x80
	ds_load_b32 v189, v66 offset:1056
	; wave barrier
	v_bitop3_b32 v61, v61, v67, v64 bitop3:0x80
	v_mul_u32_u24_e32 v64, 36, v65
	v_mbcnt_lo_u32_b32 v190, v61, 0
	v_cmp_ne_u32_e64 s15, 0, v61
	s_delay_alu instid0(VALU_DEP_3) | instskip(NEXT) | instid1(VALU_DEP_3)
	v_add_nc_u32_e32 v191, v23, v64
	v_cmp_eq_u32_e32 vcc_lo, 0, v190
	s_and_b32 s16, s15, vcc_lo
	s_delay_alu instid0(SALU_CYCLE_1)
	s_and_saveexec_b32 s15, s16
	s_cbranch_execz .LBB1730_744
; %bb.743:                              ;   in Loop: Header=BB1730_682 Depth=2
	s_wait_dscnt 0x0
	v_bcnt_u32_b32 v61, v61, v189
	ds_store_b32 v191, v61 offset:1056
.LBB1730_744:                           ;   in Loop: Header=BB1730_682 Depth=2
	s_or_b32 exec_lo, exec_lo, s15
	v_cmp_gt_i16_e32 vcc_lo, 0, v63
	; wave barrier
	v_cndmask_b32_e64 v61, 0x7fff, 0, vcc_lo
	s_delay_alu instid0(VALU_DEP_1) | instskip(NEXT) | instid1(VALU_DEP_1)
	v_xor_b32_e32 v188, v61, v63
	v_cmp_ne_u16_e64 vcc_lo, 0x8000, v188
	v_cndmask_b32_e32 v61, 0x7fff, v188, vcc_lo
	s_delay_alu instid0(VALU_DEP_1) | instskip(NEXT) | instid1(VALU_DEP_1)
	v_and_b32_e32 v61, 0xffff, v61
	v_lshrrev_b32_e32 v61, s49, v61
	s_delay_alu instid0(VALU_DEP_1) | instskip(SKIP_1) | instid1(VALU_DEP_2)
	v_bitop3_b32 v63, v61, 1, s52 bitop3:0x80
	v_and_b32_e32 v64, s52, v61
	v_add_co_u32 v61, s15, v63, -1
	s_delay_alu instid0(VALU_DEP_1) | instskip(NEXT) | instid1(VALU_DEP_3)
	v_cndmask_b32_e64 v63, 0, 1, s15
	v_lshlrev_b32_e32 v65, 30, v64
	s_delay_alu instid0(VALU_DEP_2) | instskip(NEXT) | instid1(VALU_DEP_2)
	v_cmp_ne_u32_e32 vcc_lo, 0, v63
	v_not_b32_e32 v63, v65
	s_delay_alu instid0(VALU_DEP_1) | instskip(SKIP_4) | instid1(VALU_DEP_4)
	v_dual_ashrrev_i32 v63, 31, v63 :: v_dual_bitop2_b32 v61, vcc_lo, v61 bitop3:0x14
	v_dual_lshlrev_b32 v66, 29, v64 :: v_dual_lshlrev_b32 v67, 28, v64
	v_dual_lshlrev_b32 v192, 27, v64 :: v_dual_lshlrev_b32 v193, 26, v64
	v_lshlrev_b32_e32 v194, 25, v64
	v_cmp_gt_i32_e64 s15, 0, v65
	v_cmp_gt_i32_e64 s16, 0, v66
	v_not_b32_e32 v65, v66
	v_not_b32_e32 v66, v67
	v_lshlrev_b32_e32 v195, 24, v64
	v_cmp_gt_i32_e64 s17, 0, v67
	v_cmp_gt_i32_e64 s18, 0, v192
	v_not_b32_e32 v67, v192
	v_not_b32_e32 v192, v193
	v_dual_ashrrev_i32 v65, 31, v65 :: v_dual_bitop2_b32 v63, s15, v63 bitop3:0x14
	v_ashrrev_i32_e32 v66, 31, v66
	v_cmp_gt_i32_e64 s19, 0, v193
	v_cmp_gt_i32_e64 s20, 0, v194
	v_not_b32_e32 v193, v194
	v_not_b32_e32 v194, v195
	v_dual_ashrrev_i32 v67, 31, v67 :: v_dual_ashrrev_i32 v192, 31, v192
	v_xor_b32_e32 v65, s16, v65
	v_xor_b32_e32 v66, s17, v66
	v_bitop3_b32 v61, v61, v63, exec_lo bitop3:0x80
	v_cmp_gt_i32_e64 s21, 0, v195
	v_dual_ashrrev_i32 v63, 31, v193 :: v_dual_ashrrev_i32 v193, 31, v194
	v_xor_b32_e32 v67, s18, v67
	v_xor_b32_e32 v192, s19, v192
	v_bitop3_b32 v61, v61, v66, v65 bitop3:0x80
	v_mad_u32_u24 v65, v64, 36, v23
	v_xor_b32_e32 v63, s20, v63
	v_xor_b32_e32 v66, s21, v193
	s_delay_alu instid0(VALU_DEP_4) | instskip(SKIP_3) | instid1(VALU_DEP_2)
	v_bitop3_b32 v61, v61, v192, v67 bitop3:0x80
	ds_load_b32 v193, v65 offset:1056
	; wave barrier
	v_bitop3_b32 v61, v61, v66, v63 bitop3:0x80
	v_mul_u32_u24_e32 v63, 36, v64
	v_mbcnt_lo_u32_b32 v194, v61, 0
	v_cmp_ne_u32_e64 s15, 0, v61
	s_delay_alu instid0(VALU_DEP_3) | instskip(NEXT) | instid1(VALU_DEP_3)
	v_add_nc_u32_e32 v195, v23, v63
	v_cmp_eq_u32_e32 vcc_lo, 0, v194
	s_and_b32 s16, s15, vcc_lo
	s_delay_alu instid0(SALU_CYCLE_1)
	s_and_saveexec_b32 s15, s16
	s_cbranch_execz .LBB1730_746
; %bb.745:                              ;   in Loop: Header=BB1730_682 Depth=2
	s_wait_dscnt 0x0
	v_bcnt_u32_b32 v61, v61, v193
	ds_store_b32 v195, v61 offset:1056
.LBB1730_746:                           ;   in Loop: Header=BB1730_682 Depth=2
	s_or_b32 exec_lo, exec_lo, s15
	v_cmp_gt_i16_e32 vcc_lo, 0, v62
	; wave barrier
	v_cndmask_b32_e64 v61, 0x7fff, 0, vcc_lo
	s_delay_alu instid0(VALU_DEP_1) | instskip(NEXT) | instid1(VALU_DEP_1)
	v_xor_b32_e32 v192, v61, v62
	v_cmp_ne_u16_e64 vcc_lo, 0x8000, v192
	v_cndmask_b32_e32 v61, 0x7fff, v192, vcc_lo
	s_delay_alu instid0(VALU_DEP_1) | instskip(NEXT) | instid1(VALU_DEP_1)
	v_and_b32_e32 v61, 0xffff, v61
	v_lshrrev_b32_e32 v61, s49, v61
	s_delay_alu instid0(VALU_DEP_1) | instskip(SKIP_1) | instid1(VALU_DEP_2)
	v_bitop3_b32 v62, v61, 1, s52 bitop3:0x80
	v_and_b32_e32 v63, s52, v61
	v_add_co_u32 v61, s15, v62, -1
	s_delay_alu instid0(VALU_DEP_1) | instskip(NEXT) | instid1(VALU_DEP_3)
	v_cndmask_b32_e64 v62, 0, 1, s15
	v_lshlrev_b32_e32 v64, 30, v63
	s_delay_alu instid0(VALU_DEP_2) | instskip(NEXT) | instid1(VALU_DEP_2)
	v_cmp_ne_u32_e32 vcc_lo, 0, v62
	v_not_b32_e32 v62, v64
	v_cmp_gt_i32_e64 s15, 0, v64
	s_delay_alu instid0(VALU_DEP_2) | instskip(SKIP_3) | instid1(VALU_DEP_4)
	v_dual_ashrrev_i32 v62, 31, v62 :: v_dual_lshlrev_b32 v65, 29, v63
	v_dual_lshlrev_b32 v66, 28, v63 :: v_dual_lshlrev_b32 v67, 27, v63
	v_dual_lshlrev_b32 v196, 26, v63 :: v_dual_lshlrev_b32 v197, 25, v63
	v_lshlrev_b32_e32 v198, 24, v63
	v_cmp_gt_i32_e64 s16, 0, v65
	v_not_b32_e32 v64, v65
	v_not_b32_e32 v65, v66
	v_cmp_gt_i32_e64 s17, 0, v66
	v_cmp_gt_i32_e64 s18, 0, v67
	v_not_b32_e32 v66, v67
	v_not_b32_e32 v67, v196
	v_dual_ashrrev_i32 v64, 31, v64 :: v_dual_bitop2_b32 v61, vcc_lo, v61 bitop3:0x14
	v_dual_ashrrev_i32 v65, 31, v65 :: v_dual_bitop2_b32 v62, s15, v62 bitop3:0x14
	v_cmp_gt_i32_e64 s19, 0, v196
	v_cmp_gt_i32_e64 s20, 0, v197
	v_not_b32_e32 v196, v197
	v_not_b32_e32 v197, v198
	v_dual_ashrrev_i32 v66, 31, v66 :: v_dual_ashrrev_i32 v67, 31, v67
	v_xor_b32_e32 v64, s16, v64
	v_xor_b32_e32 v65, s17, v65
	v_bitop3_b32 v61, v61, v62, exec_lo bitop3:0x80
	v_cmp_gt_i32_e64 s21, 0, v198
	v_dual_ashrrev_i32 v62, 31, v196 :: v_dual_ashrrev_i32 v196, 31, v197
	v_xor_b32_e32 v66, s18, v66
	v_xor_b32_e32 v67, s19, v67
	v_bitop3_b32 v61, v61, v65, v64 bitop3:0x80
	v_mad_u32_u24 v64, v63, 36, v23
	v_xor_b32_e32 v62, s20, v62
	v_xor_b32_e32 v65, s21, v196
	s_delay_alu instid0(VALU_DEP_4) | instskip(SKIP_3) | instid1(VALU_DEP_2)
	v_bitop3_b32 v61, v61, v67, v66 bitop3:0x80
	ds_load_b32 v197, v64 offset:1056
	; wave barrier
	v_bitop3_b32 v61, v61, v65, v62 bitop3:0x80
	v_mul_u32_u24_e32 v62, 36, v63
	v_mbcnt_lo_u32_b32 v198, v61, 0
	v_cmp_ne_u32_e64 s15, 0, v61
	s_delay_alu instid0(VALU_DEP_3) | instskip(NEXT) | instid1(VALU_DEP_3)
	v_add_nc_u32_e32 v199, v23, v62
	v_cmp_eq_u32_e32 vcc_lo, 0, v198
	s_and_b32 s16, s15, vcc_lo
	s_delay_alu instid0(SALU_CYCLE_1)
	s_and_saveexec_b32 s15, s16
	s_cbranch_execz .LBB1730_748
; %bb.747:                              ;   in Loop: Header=BB1730_682 Depth=2
	s_wait_dscnt 0x0
	v_bcnt_u32_b32 v61, v61, v197
	ds_store_b32 v199, v61 offset:1056
.LBB1730_748:                           ;   in Loop: Header=BB1730_682 Depth=2
	s_or_b32 exec_lo, exec_lo, s15
	v_cmp_gt_i16_e32 vcc_lo, 0, v60
	; wave barrier
	v_cndmask_b32_e64 v61, 0x7fff, 0, vcc_lo
	s_delay_alu instid0(VALU_DEP_1) | instskip(NEXT) | instid1(VALU_DEP_1)
	v_xor_b32_e32 v196, v61, v60
	v_cmp_ne_u16_e64 vcc_lo, 0x8000, v196
	v_cndmask_b32_e32 v60, 0x7fff, v196, vcc_lo
	s_delay_alu instid0(VALU_DEP_1) | instskip(NEXT) | instid1(VALU_DEP_1)
	v_and_b32_e32 v60, 0xffff, v60
	v_lshrrev_b32_e32 v60, s49, v60
	s_delay_alu instid0(VALU_DEP_1) | instskip(SKIP_1) | instid1(VALU_DEP_2)
	v_bitop3_b32 v61, v60, 1, s52 bitop3:0x80
	v_and_b32_e32 v62, s52, v60
	v_add_co_u32 v60, s15, v61, -1
	s_delay_alu instid0(VALU_DEP_1) | instskip(NEXT) | instid1(VALU_DEP_3)
	v_cndmask_b32_e64 v61, 0, 1, s15
	v_lshlrev_b32_e32 v63, 30, v62
	s_delay_alu instid0(VALU_DEP_2) | instskip(NEXT) | instid1(VALU_DEP_2)
	v_cmp_ne_u32_e32 vcc_lo, 0, v61
	v_not_b32_e32 v61, v63
	v_cmp_gt_i32_e64 s15, 0, v63
	s_delay_alu instid0(VALU_DEP_2) | instskip(SKIP_3) | instid1(VALU_DEP_4)
	v_dual_ashrrev_i32 v61, 31, v61 :: v_dual_lshlrev_b32 v64, 29, v62
	v_dual_lshlrev_b32 v65, 28, v62 :: v_dual_lshlrev_b32 v66, 27, v62
	v_dual_lshlrev_b32 v67, 26, v62 :: v_dual_lshlrev_b32 v200, 25, v62
	v_lshlrev_b32_e32 v201, 24, v62
	v_cmp_gt_i32_e64 s16, 0, v64
	v_not_b32_e32 v63, v64
	v_not_b32_e32 v64, v65
	v_cmp_gt_i32_e64 s17, 0, v65
	v_cmp_gt_i32_e64 s18, 0, v66
	v_not_b32_e32 v65, v66
	v_not_b32_e32 v66, v67
	v_dual_ashrrev_i32 v63, 31, v63 :: v_dual_bitop2_b32 v60, vcc_lo, v60 bitop3:0x14
	v_dual_ashrrev_i32 v64, 31, v64 :: v_dual_bitop2_b32 v61, s15, v61 bitop3:0x14
	v_cmp_gt_i32_e64 s19, 0, v67
	v_cmp_gt_i32_e64 s20, 0, v200
	v_not_b32_e32 v67, v200
	v_not_b32_e32 v200, v201
	v_dual_ashrrev_i32 v65, 31, v65 :: v_dual_ashrrev_i32 v66, 31, v66
	v_xor_b32_e32 v63, s16, v63
	v_xor_b32_e32 v64, s17, v64
	v_bitop3_b32 v60, v60, v61, exec_lo bitop3:0x80
	v_cmp_gt_i32_e64 s21, 0, v201
	v_dual_ashrrev_i32 v61, 31, v67 :: v_dual_ashrrev_i32 v67, 31, v200
	v_xor_b32_e32 v65, s18, v65
	v_xor_b32_e32 v66, s19, v66
	v_bitop3_b32 v60, v60, v64, v63 bitop3:0x80
	v_mad_u32_u24 v63, v62, 36, v23
	v_xor_b32_e32 v61, s20, v61
	v_xor_b32_e32 v64, s21, v67
	s_delay_alu instid0(VALU_DEP_4) | instskip(SKIP_3) | instid1(VALU_DEP_2)
	v_bitop3_b32 v60, v60, v66, v65 bitop3:0x80
	ds_load_b32 v200, v63 offset:1056
	; wave barrier
	v_bitop3_b32 v60, v60, v64, v61 bitop3:0x80
	v_mul_u32_u24_e32 v61, 36, v62
	v_mbcnt_lo_u32_b32 v201, v60, 0
	v_cmp_ne_u32_e64 s15, 0, v60
	s_delay_alu instid0(VALU_DEP_3) | instskip(NEXT) | instid1(VALU_DEP_3)
	v_add_nc_u32_e32 v202, v23, v61
	v_cmp_eq_u32_e32 vcc_lo, 0, v201
	s_and_b32 s16, s15, vcc_lo
	s_delay_alu instid0(SALU_CYCLE_1)
	s_and_saveexec_b32 s15, s16
	s_cbranch_execz .LBB1730_750
; %bb.749:                              ;   in Loop: Header=BB1730_682 Depth=2
	s_wait_dscnt 0x0
	v_bcnt_u32_b32 v60, v60, v200
	ds_store_b32 v202, v60 offset:1056
.LBB1730_750:                           ;   in Loop: Header=BB1730_682 Depth=2
	s_or_b32 exec_lo, exec_lo, s15
	; wave barrier
	s_wait_dscnt 0x0
	s_barrier_signal -1
	s_barrier_wait -1
	ds_load_2addr_b32 v[66:67], v118 offset1:1
	ds_load_2addr_b32 v[64:65], v119 offset1:1
	ds_load_2addr_b32 v[62:63], v120 offset1:1
	ds_load_2addr_b32 v[60:61], v121 offset1:1
	ds_load_b32 v203, v91 offset:1088
	s_wait_dscnt 0x3
	v_add3_u32 v204, v67, v66, v64
	s_wait_dscnt 0x2
	s_delay_alu instid0(VALU_DEP_1) | instskip(SKIP_1) | instid1(VALU_DEP_1)
	v_add3_u32 v204, v204, v65, v62
	s_wait_dscnt 0x1
	v_add3_u32 v204, v204, v63, v60
	s_wait_dscnt 0x0
	s_delay_alu instid0(VALU_DEP_1) | instskip(NEXT) | instid1(VALU_DEP_1)
	v_add3_u32 v203, v204, v61, v203
	v_mov_b32_dpp v204, v203 row_shr:1 row_mask:0xf bank_mask:0xf
	s_delay_alu instid0(VALU_DEP_1) | instskip(NEXT) | instid1(VALU_DEP_1)
	v_cndmask_b32_e64 v204, v204, 0, s7
	v_add_nc_u32_e32 v203, v204, v203
	s_delay_alu instid0(VALU_DEP_1) | instskip(NEXT) | instid1(VALU_DEP_1)
	v_mov_b32_dpp v204, v203 row_shr:2 row_mask:0xf bank_mask:0xf
	v_cndmask_b32_e64 v204, 0, v204, s8
	s_delay_alu instid0(VALU_DEP_1) | instskip(NEXT) | instid1(VALU_DEP_1)
	v_add_nc_u32_e32 v203, v203, v204
	v_mov_b32_dpp v204, v203 row_shr:4 row_mask:0xf bank_mask:0xf
	s_delay_alu instid0(VALU_DEP_1) | instskip(NEXT) | instid1(VALU_DEP_1)
	v_cndmask_b32_e64 v204, 0, v204, s9
	v_add_nc_u32_e32 v203, v203, v204
	s_delay_alu instid0(VALU_DEP_1) | instskip(NEXT) | instid1(VALU_DEP_1)
	v_mov_b32_dpp v204, v203 row_shr:8 row_mask:0xf bank_mask:0xf
	v_cndmask_b32_e64 v204, 0, v204, s10
	s_delay_alu instid0(VALU_DEP_1) | instskip(SKIP_3) | instid1(VALU_DEP_1)
	v_add_nc_u32_e32 v203, v203, v204
	ds_swizzle_b32 v204, v203 offset:swizzle(BROADCAST,32,15)
	s_wait_dscnt 0x0
	v_cndmask_b32_e64 v204, v204, 0, s11
	v_add_nc_u32_e32 v203, v203, v204
	s_and_saveexec_b32 s15, s1
; %bb.751:                              ;   in Loop: Header=BB1730_682 Depth=2
	ds_store_b32 v84, v203 offset:1024
; %bb.752:                              ;   in Loop: Header=BB1730_682 Depth=2
	s_or_b32 exec_lo, exec_lo, s15
	s_wait_dscnt 0x0
	s_barrier_signal -1
	s_barrier_wait -1
	s_and_saveexec_b32 s15, s4
	s_cbranch_execz .LBB1730_754
; %bb.753:                              ;   in Loop: Header=BB1730_682 Depth=2
	ds_load_b32 v204, v92 offset:1024
	s_wait_dscnt 0x0
	v_mov_b32_dpp v205, v204 row_shr:1 row_mask:0xf bank_mask:0xf
	s_delay_alu instid0(VALU_DEP_1) | instskip(NEXT) | instid1(VALU_DEP_1)
	v_cndmask_b32_e64 v205, v205, 0, s12
	v_add_nc_u32_e32 v204, v205, v204
	s_delay_alu instid0(VALU_DEP_1) | instskip(NEXT) | instid1(VALU_DEP_1)
	v_mov_b32_dpp v205, v204 row_shr:2 row_mask:0xf bank_mask:0xf
	v_cndmask_b32_e64 v205, 0, v205, s13
	s_delay_alu instid0(VALU_DEP_1) | instskip(NEXT) | instid1(VALU_DEP_1)
	v_add_nc_u32_e32 v204, v204, v205
	v_mov_b32_dpp v205, v204 row_shr:4 row_mask:0xf bank_mask:0xf
	s_delay_alu instid0(VALU_DEP_1) | instskip(NEXT) | instid1(VALU_DEP_1)
	v_cndmask_b32_e64 v205, 0, v205, s14
	v_add_nc_u32_e32 v204, v204, v205
	ds_store_b32 v92, v204 offset:1024
.LBB1730_754:                           ;   in Loop: Header=BB1730_682 Depth=2
	s_or_b32 exec_lo, exec_lo, s15
	v_mov_b32_e32 v204, 0
	s_wait_dscnt 0x0
	s_barrier_signal -1
	s_barrier_wait -1
	s_and_saveexec_b32 s15, s5
; %bb.755:                              ;   in Loop: Header=BB1730_682 Depth=2
	ds_load_b32 v204, v84 offset:1020
; %bb.756:                              ;   in Loop: Header=BB1730_682 Depth=2
	s_or_b32 exec_lo, exec_lo, s15
	s_wait_dscnt 0x0
	v_add_nc_u32_e32 v203, v204, v203
	ds_bpermute_b32 v203, v122, v203
	s_wait_dscnt 0x0
	v_cndmask_b32_e64 v203, v203, v204, s6
	s_delay_alu instid0(VALU_DEP_1) | instskip(NEXT) | instid1(VALU_DEP_1)
	v_cndmask_b32_e64 v203, v203, 0, s2
	v_add_nc_u32_e32 v66, v203, v66
	s_delay_alu instid0(VALU_DEP_1) | instskip(NEXT) | instid1(VALU_DEP_1)
	v_add_nc_u32_e32 v67, v66, v67
	v_add_nc_u32_e32 v64, v67, v64
	s_delay_alu instid0(VALU_DEP_1) | instskip(NEXT) | instid1(VALU_DEP_1)
	v_add_nc_u32_e32 v65, v64, v65
	v_add_nc_u32_e32 v62, v65, v62
	s_delay_alu instid0(VALU_DEP_1) | instskip(NEXT) | instid1(VALU_DEP_1)
	v_add_nc_u32_e32 v63, v62, v63
	v_add_nc_u32_e32 v60, v63, v60
	s_delay_alu instid0(VALU_DEP_1)
	v_add_nc_u32_e32 v61, v60, v61
	ds_store_2addr_b32 v121, v63, v60 offset1:1
	ds_store_2addr_b32 v118, v203, v66 offset1:1
	;; [unrolled: 1-line block ×4, first 2 shown]
	ds_store_b32 v91, v61 offset:1088
	s_wait_dscnt 0x0
	s_barrier_signal -1
	s_barrier_wait -1
	ds_load_b32 v63, v143 offset:1056
	ds_load_b32 v65, v147 offset:1056
	;; [unrolled: 1-line block ×17, first 2 shown]
	v_mov_b32_e32 v62, 0x1000
	s_and_saveexec_b32 s15, s3
; %bb.757:                              ;   in Loop: Header=BB1730_682 Depth=2
	ds_load_b32 v62, v91 offset:1092
; %bb.758:                              ;   in Loop: Header=BB1730_682 Depth=2
	s_or_b32 exec_lo, exec_lo, s15
	s_wait_dscnt 0x0
	s_barrier_signal -1
	s_barrier_wait -1
	s_and_saveexec_b32 s15, s0
	s_cbranch_execz .LBB1730_760
; %bb.759:                              ;   in Loop: Header=BB1730_682 Depth=2
	ds_load_b32 v155, v3
	s_wait_dscnt 0x0
	v_sub_nc_u32_e32 v151, v155, v151
	ds_store_b32 v3, v151
.LBB1730_760:                           ;   in Loop: Header=BB1730_682 Depth=2
	s_or_b32 exec_lo, exec_lo, s15
	v_add3_u32 v159, v146, v145, v65
	v_add_nc_u32_e32 v163, v63, v142
	v_add3_u32 v155, v150, v149, v66
	v_add3_u32 v151, v154, v153, v67
	;; [unrolled: 1-line block ×4, first 2 shown]
	v_lshlrev_b32_e32 v60, 1, v159
	v_lshlrev_b32_e32 v153, 1, v163
	v_add3_u32 v150, v158, v157, v143
	v_add3_u32 v147, v166, v165, v203
	;; [unrolled: 1-line block ×4, first 2 shown]
	v_lshlrev_b32_e32 v61, 1, v155
	v_add3_u32 v145, v174, v173, v175
	v_lshlrev_b32_e32 v154, 1, v149
	ds_store_b16 v153, v140 offset:1024
	v_lshlrev_b32_e32 v140, 1, v151
	v_add3_u32 v143, v178, v177, v179
	v_lshlrev_b32_e32 v153, 1, v150
	v_add3_u32 v142, v182, v181, v183
	v_add3_u32 v63, v186, v185, v187
	ds_store_b16 v60, v141 offset:1024
	ds_store_b16 v61, v144 offset:1024
	;; [unrolled: 1-line block ×5, first 2 shown]
	v_dual_lshlrev_b32 v60, 1, v147 :: v_dual_lshlrev_b32 v140, 1, v145
	v_lshlrev_b32_e32 v61, 1, v146
	v_add3_u32 v65, v198, v197, v64
	v_dual_lshlrev_b32 v141, 1, v143 :: v_dual_lshlrev_b32 v144, 1, v142
	v_add3_u32 v64, v201, v200, v167
	ds_store_b16 v60, v160 offset:1024
	ds_store_b16 v61, v164 offset:1024
	;; [unrolled: 1-line block ×5, first 2 shown]
	v_dual_lshlrev_b32 v60, 1, v63 :: v_dual_lshlrev_b32 v140, 1, v66
	v_cmp_lt_u32_e32 vcc_lo, v2, v139
	v_dual_lshlrev_b32 v61, 1, v67 :: v_dual_lshlrev_b32 v141, 1, v65
	v_lshlrev_b32_e32 v144, 1, v64
	ds_store_b16 v60, v180 offset:1024
	ds_store_b16 v61, v184 offset:1024
	;; [unrolled: 1-line block ×5, first 2 shown]
	s_wait_dscnt 0x0
	s_barrier_signal -1
	s_barrier_wait -1
	s_and_saveexec_b32 s16, vcc_lo
	s_cbranch_execnz .LBB1730_829
; %bb.761:                              ;   in Loop: Header=BB1730_682 Depth=2
	s_or_b32 exec_lo, exec_lo, s16
	v_cmp_lt_u32_e64 s15, v68, v139
	s_and_saveexec_b32 s17, s15
	s_cbranch_execnz .LBB1730_830
.LBB1730_762:                           ;   in Loop: Header=BB1730_682 Depth=2
	s_or_b32 exec_lo, exec_lo, s17
	v_cmp_lt_u32_e64 s16, v69, v139
	s_and_saveexec_b32 s18, s16
	s_cbranch_execnz .LBB1730_831
.LBB1730_763:                           ;   in Loop: Header=BB1730_682 Depth=2
	s_or_b32 exec_lo, exec_lo, s18
	v_cmp_lt_u32_e64 s17, v70, v139
	s_and_saveexec_b32 s19, s17
	s_cbranch_execnz .LBB1730_832
.LBB1730_764:                           ;   in Loop: Header=BB1730_682 Depth=2
	s_or_b32 exec_lo, exec_lo, s19
	v_cmp_lt_u32_e64 s18, v71, v139
	s_and_saveexec_b32 s20, s18
	s_cbranch_execnz .LBB1730_833
.LBB1730_765:                           ;   in Loop: Header=BB1730_682 Depth=2
	s_or_b32 exec_lo, exec_lo, s20
	v_cmp_lt_u32_e64 s19, v72, v139
	s_and_saveexec_b32 s21, s19
	s_cbranch_execnz .LBB1730_834
.LBB1730_766:                           ;   in Loop: Header=BB1730_682 Depth=2
	s_or_b32 exec_lo, exec_lo, s21
	v_cmp_lt_u32_e64 s20, v73, v139
	s_and_saveexec_b32 s22, s20
	s_cbranch_execnz .LBB1730_835
.LBB1730_767:                           ;   in Loop: Header=BB1730_682 Depth=2
	s_or_b32 exec_lo, exec_lo, s22
	v_cmp_lt_u32_e64 s21, v74, v139
	s_and_saveexec_b32 s23, s21
	s_cbranch_execnz .LBB1730_836
.LBB1730_768:                           ;   in Loop: Header=BB1730_682 Depth=2
	s_or_b32 exec_lo, exec_lo, s23
	v_cmp_lt_u32_e64 s22, v75, v139
	s_and_saveexec_b32 s24, s22
	s_cbranch_execnz .LBB1730_837
.LBB1730_769:                           ;   in Loop: Header=BB1730_682 Depth=2
	s_or_b32 exec_lo, exec_lo, s24
	v_cmp_lt_u32_e64 s23, v76, v139
	s_and_saveexec_b32 s25, s23
	s_cbranch_execnz .LBB1730_838
.LBB1730_770:                           ;   in Loop: Header=BB1730_682 Depth=2
	s_or_b32 exec_lo, exec_lo, s25
	v_cmp_lt_u32_e64 s24, v77, v139
	s_and_saveexec_b32 s26, s24
	s_cbranch_execnz .LBB1730_839
.LBB1730_771:                           ;   in Loop: Header=BB1730_682 Depth=2
	s_or_b32 exec_lo, exec_lo, s26
	v_cmp_lt_u32_e64 s25, v78, v139
	s_and_saveexec_b32 s27, s25
	s_cbranch_execnz .LBB1730_840
.LBB1730_772:                           ;   in Loop: Header=BB1730_682 Depth=2
	s_or_b32 exec_lo, exec_lo, s27
	v_cmp_lt_u32_e64 s26, v79, v139
	s_and_saveexec_b32 s28, s26
	s_cbranch_execnz .LBB1730_841
.LBB1730_773:                           ;   in Loop: Header=BB1730_682 Depth=2
	s_or_b32 exec_lo, exec_lo, s28
	v_cmp_lt_u32_e64 s27, v80, v139
	s_and_saveexec_b32 s29, s27
	s_cbranch_execnz .LBB1730_842
.LBB1730_774:                           ;   in Loop: Header=BB1730_682 Depth=2
	s_or_b32 exec_lo, exec_lo, s29
	v_cmp_lt_u32_e64 s28, v81, v139
	s_and_saveexec_b32 s30, s28
	s_cbranch_execnz .LBB1730_843
.LBB1730_775:                           ;   in Loop: Header=BB1730_682 Depth=2
	s_or_b32 exec_lo, exec_lo, s30
	v_cmp_lt_u32_e64 s29, v82, v139
	s_and_saveexec_b32 s58, s29
	s_cbranch_execz .LBB1730_777
.LBB1730_776:                           ;   in Loop: Header=BB1730_682 Depth=2
	ds_load_u16 v60, v93 offset:8704
	s_wait_dscnt 0x0
	v_cmp_ne_u16_e64 s30, 0x8000, v60
	s_delay_alu instid0(VALU_DEP_1) | instskip(SKIP_1) | instid1(VALU_DEP_2)
	v_cndmask_b32_e64 v61, 0x7fff, v60, s30
	v_cmp_gt_i16_e64 s30, 0, v60
	v_and_b32_e32 v61, 0xffff, v61
	s_delay_alu instid0(VALU_DEP_2) | instskip(NEXT) | instid1(VALU_DEP_1)
	v_cndmask_b32_e64 v140, 0x7fff, 0, s30
	v_dual_lshrrev_b32 v61, s49, v61 :: v_dual_bitop2_b32 v60, v140, v60 bitop3:0x14
	s_delay_alu instid0(VALU_DEP_1) | instskip(NEXT) | instid1(VALU_DEP_1)
	v_and_b32_e32 v61, s52, v61
	v_lshlrev_b32_e32 v61, 2, v61
	ds_load_b32 v61, v61
	s_wait_dscnt 0x0
	v_add_nc_u32_e32 v61, v61, v82
	global_store_b16 v61, v60, s[38:39] scale_offset
.LBB1730_777:                           ;   in Loop: Header=BB1730_682 Depth=2
	s_wait_xcnt 0x0
	s_or_b32 exec_lo, exec_lo, s58
	v_lshl_add_u64 v[60:61], s[42:43], 3, v[24:25]
	v_cmp_lt_u32_e64 s30, v100, v139
	s_and_saveexec_b32 s42, s30
	s_delay_alu instid0(SALU_CYCLE_1)
	s_xor_b32 s30, exec_lo, s42
	s_cbranch_execnz .LBB1730_844
; %bb.778:                              ;   in Loop: Header=BB1730_682 Depth=2
	s_or_b32 exec_lo, exec_lo, s30
	s_delay_alu instid0(SALU_CYCLE_1)
	s_mov_b32 s42, exec_lo
	v_cmpx_lt_u32_e64 v103, v139
	s_cbranch_execnz .LBB1730_845
.LBB1730_779:                           ;   in Loop: Header=BB1730_682 Depth=2
	s_or_b32 exec_lo, exec_lo, s42
	s_delay_alu instid0(SALU_CYCLE_1)
	s_mov_b32 s42, exec_lo
	v_cmpx_lt_u32_e64 v104, v139
	s_cbranch_execnz .LBB1730_846
.LBB1730_780:                           ;   in Loop: Header=BB1730_682 Depth=2
	s_or_b32 exec_lo, exec_lo, s42
	s_delay_alu instid0(SALU_CYCLE_1)
	s_mov_b32 s42, exec_lo
	v_cmpx_lt_u32_e64 v105, v139
	s_cbranch_execnz .LBB1730_847
.LBB1730_781:                           ;   in Loop: Header=BB1730_682 Depth=2
	s_or_b32 exec_lo, exec_lo, s42
	s_delay_alu instid0(SALU_CYCLE_1)
	s_mov_b32 s42, exec_lo
	v_cmpx_lt_u32_e64 v106, v139
	s_cbranch_execnz .LBB1730_848
.LBB1730_782:                           ;   in Loop: Header=BB1730_682 Depth=2
	s_or_b32 exec_lo, exec_lo, s42
	s_delay_alu instid0(SALU_CYCLE_1)
	s_mov_b32 s42, exec_lo
	v_cmpx_lt_u32_e64 v107, v139
	s_cbranch_execnz .LBB1730_849
.LBB1730_783:                           ;   in Loop: Header=BB1730_682 Depth=2
	s_or_b32 exec_lo, exec_lo, s42
	s_delay_alu instid0(SALU_CYCLE_1)
	s_mov_b32 s42, exec_lo
	v_cmpx_lt_u32_e64 v108, v139
	s_cbranch_execnz .LBB1730_850
.LBB1730_784:                           ;   in Loop: Header=BB1730_682 Depth=2
	s_or_b32 exec_lo, exec_lo, s42
	s_delay_alu instid0(SALU_CYCLE_1)
	s_mov_b32 s42, exec_lo
	v_cmpx_lt_u32_e64 v109, v139
	s_cbranch_execnz .LBB1730_851
.LBB1730_785:                           ;   in Loop: Header=BB1730_682 Depth=2
	s_or_b32 exec_lo, exec_lo, s42
	s_delay_alu instid0(SALU_CYCLE_1)
	s_mov_b32 s42, exec_lo
	v_cmpx_lt_u32_e64 v110, v139
	s_cbranch_execnz .LBB1730_852
.LBB1730_786:                           ;   in Loop: Header=BB1730_682 Depth=2
	s_or_b32 exec_lo, exec_lo, s42
	s_delay_alu instid0(SALU_CYCLE_1)
	s_mov_b32 s42, exec_lo
	v_cmpx_lt_u32_e64 v111, v139
	s_cbranch_execnz .LBB1730_853
.LBB1730_787:                           ;   in Loop: Header=BB1730_682 Depth=2
	s_or_b32 exec_lo, exec_lo, s42
	s_delay_alu instid0(SALU_CYCLE_1)
	s_mov_b32 s42, exec_lo
	v_cmpx_lt_u32_e64 v112, v139
	s_cbranch_execnz .LBB1730_854
.LBB1730_788:                           ;   in Loop: Header=BB1730_682 Depth=2
	s_or_b32 exec_lo, exec_lo, s42
	s_delay_alu instid0(SALU_CYCLE_1)
	s_mov_b32 s42, exec_lo
	v_cmpx_lt_u32_e64 v113, v139
	s_cbranch_execnz .LBB1730_855
.LBB1730_789:                           ;   in Loop: Header=BB1730_682 Depth=2
	s_or_b32 exec_lo, exec_lo, s42
	s_delay_alu instid0(SALU_CYCLE_1)
	s_mov_b32 s42, exec_lo
	v_cmpx_lt_u32_e64 v114, v139
	s_cbranch_execnz .LBB1730_856
.LBB1730_790:                           ;   in Loop: Header=BB1730_682 Depth=2
	s_or_b32 exec_lo, exec_lo, s42
	s_delay_alu instid0(SALU_CYCLE_1)
	s_mov_b32 s42, exec_lo
	v_cmpx_lt_u32_e64 v115, v139
	s_cbranch_execnz .LBB1730_857
.LBB1730_791:                           ;   in Loop: Header=BB1730_682 Depth=2
	s_or_b32 exec_lo, exec_lo, s42
	s_delay_alu instid0(SALU_CYCLE_1)
	s_mov_b32 s42, exec_lo
	v_cmpx_lt_u32_e64 v116, v139
	s_cbranch_execnz .LBB1730_858
.LBB1730_792:                           ;   in Loop: Header=BB1730_682 Depth=2
	s_or_b32 exec_lo, exec_lo, s42
	s_delay_alu instid0(SALU_CYCLE_1)
	s_mov_b32 s42, exec_lo
	v_cmpx_lt_u32_e64 v117, v139
	s_cbranch_execnz .LBB1730_859
.LBB1730_793:                           ;   in Loop: Header=BB1730_682 Depth=2
	s_or_b32 exec_lo, exec_lo, s42
	s_and_saveexec_b32 s42, vcc_lo
	s_cbranch_execnz .LBB1730_860
.LBB1730_794:                           ;   in Loop: Header=BB1730_682 Depth=2
	s_or_b32 exec_lo, exec_lo, s42
	s_and_saveexec_b32 s42, s15
	s_cbranch_execnz .LBB1730_861
.LBB1730_795:                           ;   in Loop: Header=BB1730_682 Depth=2
	s_or_b32 exec_lo, exec_lo, s42
	s_and_saveexec_b32 s42, s16
	s_cbranch_execnz .LBB1730_862
.LBB1730_796:                           ;   in Loop: Header=BB1730_682 Depth=2
	s_or_b32 exec_lo, exec_lo, s42
	s_and_saveexec_b32 s42, s17
	s_cbranch_execnz .LBB1730_863
.LBB1730_797:                           ;   in Loop: Header=BB1730_682 Depth=2
	s_or_b32 exec_lo, exec_lo, s42
	s_and_saveexec_b32 s42, s18
	s_cbranch_execnz .LBB1730_864
.LBB1730_798:                           ;   in Loop: Header=BB1730_682 Depth=2
	s_or_b32 exec_lo, exec_lo, s42
	s_and_saveexec_b32 s42, s19
	s_cbranch_execnz .LBB1730_865
.LBB1730_799:                           ;   in Loop: Header=BB1730_682 Depth=2
	s_or_b32 exec_lo, exec_lo, s42
	s_and_saveexec_b32 s42, s20
	s_cbranch_execnz .LBB1730_866
.LBB1730_800:                           ;   in Loop: Header=BB1730_682 Depth=2
	s_or_b32 exec_lo, exec_lo, s42
	s_and_saveexec_b32 s42, s21
	s_cbranch_execnz .LBB1730_867
.LBB1730_801:                           ;   in Loop: Header=BB1730_682 Depth=2
	s_or_b32 exec_lo, exec_lo, s42
	s_and_saveexec_b32 s42, s22
	s_cbranch_execnz .LBB1730_868
.LBB1730_802:                           ;   in Loop: Header=BB1730_682 Depth=2
	s_or_b32 exec_lo, exec_lo, s42
	s_and_saveexec_b32 s42, s23
	s_cbranch_execnz .LBB1730_869
.LBB1730_803:                           ;   in Loop: Header=BB1730_682 Depth=2
	s_or_b32 exec_lo, exec_lo, s42
	s_and_saveexec_b32 s42, s24
	s_cbranch_execnz .LBB1730_870
.LBB1730_804:                           ;   in Loop: Header=BB1730_682 Depth=2
	s_or_b32 exec_lo, exec_lo, s42
	s_and_saveexec_b32 s42, s25
	s_cbranch_execnz .LBB1730_871
.LBB1730_805:                           ;   in Loop: Header=BB1730_682 Depth=2
	s_or_b32 exec_lo, exec_lo, s42
	s_and_saveexec_b32 s42, s26
	s_cbranch_execnz .LBB1730_872
.LBB1730_806:                           ;   in Loop: Header=BB1730_682 Depth=2
	s_or_b32 exec_lo, exec_lo, s42
	s_and_saveexec_b32 s42, s27
	s_cbranch_execnz .LBB1730_873
.LBB1730_807:                           ;   in Loop: Header=BB1730_682 Depth=2
	s_or_b32 exec_lo, exec_lo, s42
	s_and_saveexec_b32 s42, s28
	s_cbranch_execnz .LBB1730_874
.LBB1730_808:                           ;   in Loop: Header=BB1730_682 Depth=2
	s_or_b32 exec_lo, exec_lo, s42
	s_and_saveexec_b32 s42, s29
	s_cbranch_execz .LBB1730_810
.LBB1730_809:                           ;   in Loop: Header=BB1730_682 Depth=2
	ds_load_u16 v60, v93 offset:8704
	s_wait_dscnt 0x0
	v_cmp_ne_u16_e64 s30, 0x8000, v60
	s_delay_alu instid0(VALU_DEP_1) | instskip(NEXT) | instid1(VALU_DEP_1)
	v_cndmask_b32_e64 v60, 0x7fff, v60, s30
	v_and_b32_e32 v60, 0xffff, v60
	s_delay_alu instid0(VALU_DEP_1) | instskip(NEXT) | instid1(VALU_DEP_1)
	v_lshrrev_b32_e32 v60, s49, v60
	v_and_b32_e32 v123, s52, v60
.LBB1730_810:                           ;   in Loop: Header=BB1730_682 Depth=2
	s_or_b32 exec_lo, exec_lo, s42
	v_dual_lshlrev_b32 v60, 3, v163 :: v_dual_lshlrev_b32 v140, 3, v150
	s_wait_loadcnt 0x0
	s_wait_storecnt 0x0
	s_barrier_signal -1
	s_barrier_wait -1
	ds_store_b64 v60, v[58:59] offset:1024
	v_dual_lshlrev_b32 v60, 3, v159 :: v_dual_lshlrev_b32 v141, 3, v149
	v_lshlrev_b32_e32 v61, 3, v155
	v_lshlrev_b32_e32 v139, 3, v151
	ds_store_b64 v60, v[56:57] offset:1024
	ds_store_b64 v61, v[54:55] offset:1024
	;; [unrolled: 1-line block ×5, first 2 shown]
	v_dual_lshlrev_b32 v60, 3, v147 :: v_dual_lshlrev_b32 v141, 3, v142
	v_dual_lshlrev_b32 v61, 3, v146 :: v_dual_lshlrev_b32 v139, 3, v145
	v_lshlrev_b32_e32 v140, 3, v143
	ds_store_b64 v60, v[46:47] offset:1024
	ds_store_b64 v61, v[44:45] offset:1024
	;; [unrolled: 1-line block ×5, first 2 shown]
	v_dual_lshlrev_b32 v60, 3, v63 :: v_dual_lshlrev_b32 v65, 3, v65
	v_dual_lshlrev_b32 v61, 3, v67 :: v_dual_lshlrev_b32 v64, 3, v64
	v_lshlrev_b32_e32 v63, 3, v66
	ds_store_b64 v60, v[36:37] offset:1024
	ds_store_b64 v61, v[34:35] offset:1024
	;; [unrolled: 1-line block ×5, first 2 shown]
	s_wait_dscnt 0x0
	s_barrier_signal -1
	s_barrier_wait -1
	s_and_saveexec_b32 s30, vcc_lo
	s_cbranch_execnz .LBB1730_875
; %bb.811:                              ;   in Loop: Header=BB1730_682 Depth=2
	s_or_b32 exec_lo, exec_lo, s30
	s_and_saveexec_b32 s30, s15
	s_cbranch_execnz .LBB1730_876
.LBB1730_812:                           ;   in Loop: Header=BB1730_682 Depth=2
	s_or_b32 exec_lo, exec_lo, s30
	s_and_saveexec_b32 s15, s16
	s_cbranch_execnz .LBB1730_877
.LBB1730_813:                           ;   in Loop: Header=BB1730_682 Depth=2
	s_or_b32 exec_lo, exec_lo, s15
	s_and_saveexec_b32 s15, s17
	s_cbranch_execnz .LBB1730_878
.LBB1730_814:                           ;   in Loop: Header=BB1730_682 Depth=2
	s_or_b32 exec_lo, exec_lo, s15
	s_and_saveexec_b32 s15, s18
	s_cbranch_execnz .LBB1730_879
.LBB1730_815:                           ;   in Loop: Header=BB1730_682 Depth=2
	s_or_b32 exec_lo, exec_lo, s15
	s_and_saveexec_b32 s15, s19
	s_cbranch_execnz .LBB1730_880
.LBB1730_816:                           ;   in Loop: Header=BB1730_682 Depth=2
	s_or_b32 exec_lo, exec_lo, s15
	s_and_saveexec_b32 s15, s20
	s_cbranch_execnz .LBB1730_881
.LBB1730_817:                           ;   in Loop: Header=BB1730_682 Depth=2
	s_or_b32 exec_lo, exec_lo, s15
	s_and_saveexec_b32 s15, s21
	s_cbranch_execnz .LBB1730_882
.LBB1730_818:                           ;   in Loop: Header=BB1730_682 Depth=2
	s_or_b32 exec_lo, exec_lo, s15
	s_and_saveexec_b32 s15, s22
	s_cbranch_execnz .LBB1730_883
.LBB1730_819:                           ;   in Loop: Header=BB1730_682 Depth=2
	s_or_b32 exec_lo, exec_lo, s15
	s_and_saveexec_b32 s15, s23
	s_cbranch_execnz .LBB1730_884
.LBB1730_820:                           ;   in Loop: Header=BB1730_682 Depth=2
	s_or_b32 exec_lo, exec_lo, s15
	s_and_saveexec_b32 s15, s24
	s_cbranch_execnz .LBB1730_885
.LBB1730_821:                           ;   in Loop: Header=BB1730_682 Depth=2
	s_or_b32 exec_lo, exec_lo, s15
	s_and_saveexec_b32 s15, s25
	s_cbranch_execnz .LBB1730_886
.LBB1730_822:                           ;   in Loop: Header=BB1730_682 Depth=2
	s_or_b32 exec_lo, exec_lo, s15
	s_and_saveexec_b32 s15, s26
	s_cbranch_execnz .LBB1730_887
.LBB1730_823:                           ;   in Loop: Header=BB1730_682 Depth=2
	s_or_b32 exec_lo, exec_lo, s15
	s_and_saveexec_b32 s15, s27
	s_cbranch_execnz .LBB1730_888
.LBB1730_824:                           ;   in Loop: Header=BB1730_682 Depth=2
	s_or_b32 exec_lo, exec_lo, s15
	s_and_saveexec_b32 s15, s28
	s_cbranch_execnz .LBB1730_889
.LBB1730_825:                           ;   in Loop: Header=BB1730_682 Depth=2
	s_or_b32 exec_lo, exec_lo, s15
	s_and_saveexec_b32 s15, s29
	s_cbranch_execz .LBB1730_827
.LBB1730_826:                           ;   in Loop: Header=BB1730_682 Depth=2
	v_dual_lshlrev_b32 v60, 2, v123 :: v_dual_add_nc_u32 v61, v93, v94
	ds_load_b32 v63, v60
	ds_load_b64 v[60:61], v61 offset:31744
	s_wait_dscnt 0x1
	v_add_nc_u32_e32 v63, v63, v82
	s_wait_dscnt 0x0
	global_store_b64 v63, v[60:61], s[44:45] scale_offset
.LBB1730_827:                           ;   in Loop: Header=BB1730_682 Depth=2
	s_wait_xcnt 0x0
	s_or_b32 exec_lo, exec_lo, s15
	s_wait_storecnt 0x0
	s_barrier_signal -1
	s_barrier_wait -1
	s_and_saveexec_b32 s15, s0
	s_cbranch_execz .LBB1730_681
; %bb.828:                              ;   in Loop: Header=BB1730_682 Depth=2
	ds_load_b32 v60, v3
	s_wait_dscnt 0x0
	v_add_nc_u32_e32 v60, v60, v62
	ds_store_b32 v3, v60
	s_branch .LBB1730_681
.LBB1730_829:                           ;   in Loop: Header=BB1730_682 Depth=2
	ds_load_u16 v60, v93 offset:1024
	s_wait_dscnt 0x0
	v_cmp_ne_u16_e64 s15, 0x8000, v60
	s_delay_alu instid0(VALU_DEP_1) | instskip(SKIP_1) | instid1(VALU_DEP_2)
	v_cndmask_b32_e64 v61, 0x7fff, v60, s15
	v_cmp_gt_i16_e64 s15, 0, v60
	v_and_b32_e32 v61, 0xffff, v61
	s_delay_alu instid0(VALU_DEP_2) | instskip(NEXT) | instid1(VALU_DEP_1)
	v_cndmask_b32_e64 v140, 0x7fff, 0, s15
	v_dual_lshrrev_b32 v61, s49, v61 :: v_dual_bitop2_b32 v60, v140, v60 bitop3:0x14
	s_delay_alu instid0(VALU_DEP_1) | instskip(NEXT) | instid1(VALU_DEP_1)
	v_and_b32_e32 v61, s52, v61
	v_lshlrev_b32_e32 v61, 2, v61
	ds_load_b32 v61, v61
	s_wait_dscnt 0x0
	v_add_nc_u32_e32 v61, v61, v2
	global_store_b16 v61, v60, s[38:39] scale_offset
	s_wait_xcnt 0x0
	s_or_b32 exec_lo, exec_lo, s16
	v_cmp_lt_u32_e64 s15, v68, v139
	s_and_saveexec_b32 s17, s15
	s_cbranch_execz .LBB1730_762
.LBB1730_830:                           ;   in Loop: Header=BB1730_682 Depth=2
	ds_load_u16 v60, v93 offset:1536
	s_wait_dscnt 0x0
	v_cmp_ne_u16_e64 s16, 0x8000, v60
	s_delay_alu instid0(VALU_DEP_1) | instskip(SKIP_1) | instid1(VALU_DEP_2)
	v_cndmask_b32_e64 v61, 0x7fff, v60, s16
	v_cmp_gt_i16_e64 s16, 0, v60
	v_and_b32_e32 v61, 0xffff, v61
	s_delay_alu instid0(VALU_DEP_2) | instskip(NEXT) | instid1(VALU_DEP_1)
	v_cndmask_b32_e64 v140, 0x7fff, 0, s16
	v_dual_lshrrev_b32 v61, s49, v61 :: v_dual_bitop2_b32 v60, v140, v60 bitop3:0x14
	s_delay_alu instid0(VALU_DEP_1) | instskip(NEXT) | instid1(VALU_DEP_1)
	v_and_b32_e32 v61, s52, v61
	v_lshlrev_b32_e32 v61, 2, v61
	ds_load_b32 v61, v61
	s_wait_dscnt 0x0
	v_add_nc_u32_e32 v61, v61, v68
	global_store_b16 v61, v60, s[38:39] scale_offset
	s_wait_xcnt 0x0
	s_or_b32 exec_lo, exec_lo, s17
	v_cmp_lt_u32_e64 s16, v69, v139
	s_and_saveexec_b32 s18, s16
	s_cbranch_execz .LBB1730_763
.LBB1730_831:                           ;   in Loop: Header=BB1730_682 Depth=2
	ds_load_u16 v60, v93 offset:2048
	s_wait_dscnt 0x0
	v_cmp_ne_u16_e64 s17, 0x8000, v60
	s_delay_alu instid0(VALU_DEP_1) | instskip(SKIP_1) | instid1(VALU_DEP_2)
	v_cndmask_b32_e64 v61, 0x7fff, v60, s17
	v_cmp_gt_i16_e64 s17, 0, v60
	v_and_b32_e32 v61, 0xffff, v61
	s_delay_alu instid0(VALU_DEP_2) | instskip(NEXT) | instid1(VALU_DEP_1)
	v_cndmask_b32_e64 v140, 0x7fff, 0, s17
	v_dual_lshrrev_b32 v61, s49, v61 :: v_dual_bitop2_b32 v60, v140, v60 bitop3:0x14
	s_delay_alu instid0(VALU_DEP_1) | instskip(NEXT) | instid1(VALU_DEP_1)
	v_and_b32_e32 v61, s52, v61
	v_lshlrev_b32_e32 v61, 2, v61
	ds_load_b32 v61, v61
	s_wait_dscnt 0x0
	v_add_nc_u32_e32 v61, v61, v69
	global_store_b16 v61, v60, s[38:39] scale_offset
	s_wait_xcnt 0x0
	s_or_b32 exec_lo, exec_lo, s18
	v_cmp_lt_u32_e64 s17, v70, v139
	s_and_saveexec_b32 s19, s17
	s_cbranch_execz .LBB1730_764
.LBB1730_832:                           ;   in Loop: Header=BB1730_682 Depth=2
	ds_load_u16 v60, v93 offset:2560
	s_wait_dscnt 0x0
	v_cmp_ne_u16_e64 s18, 0x8000, v60
	s_delay_alu instid0(VALU_DEP_1) | instskip(SKIP_1) | instid1(VALU_DEP_2)
	v_cndmask_b32_e64 v61, 0x7fff, v60, s18
	v_cmp_gt_i16_e64 s18, 0, v60
	v_and_b32_e32 v61, 0xffff, v61
	s_delay_alu instid0(VALU_DEP_2) | instskip(NEXT) | instid1(VALU_DEP_1)
	v_cndmask_b32_e64 v140, 0x7fff, 0, s18
	v_dual_lshrrev_b32 v61, s49, v61 :: v_dual_bitop2_b32 v60, v140, v60 bitop3:0x14
	s_delay_alu instid0(VALU_DEP_1) | instskip(NEXT) | instid1(VALU_DEP_1)
	v_and_b32_e32 v61, s52, v61
	v_lshlrev_b32_e32 v61, 2, v61
	ds_load_b32 v61, v61
	s_wait_dscnt 0x0
	v_add_nc_u32_e32 v61, v61, v70
	global_store_b16 v61, v60, s[38:39] scale_offset
	s_wait_xcnt 0x0
	s_or_b32 exec_lo, exec_lo, s19
	v_cmp_lt_u32_e64 s18, v71, v139
	s_and_saveexec_b32 s20, s18
	s_cbranch_execz .LBB1730_765
.LBB1730_833:                           ;   in Loop: Header=BB1730_682 Depth=2
	ds_load_u16 v60, v93 offset:3072
	s_wait_dscnt 0x0
	v_cmp_ne_u16_e64 s19, 0x8000, v60
	s_delay_alu instid0(VALU_DEP_1) | instskip(SKIP_1) | instid1(VALU_DEP_2)
	v_cndmask_b32_e64 v61, 0x7fff, v60, s19
	v_cmp_gt_i16_e64 s19, 0, v60
	v_and_b32_e32 v61, 0xffff, v61
	s_delay_alu instid0(VALU_DEP_2) | instskip(NEXT) | instid1(VALU_DEP_1)
	v_cndmask_b32_e64 v140, 0x7fff, 0, s19
	v_dual_lshrrev_b32 v61, s49, v61 :: v_dual_bitop2_b32 v60, v140, v60 bitop3:0x14
	s_delay_alu instid0(VALU_DEP_1) | instskip(NEXT) | instid1(VALU_DEP_1)
	v_and_b32_e32 v61, s52, v61
	v_lshlrev_b32_e32 v61, 2, v61
	ds_load_b32 v61, v61
	s_wait_dscnt 0x0
	v_add_nc_u32_e32 v61, v61, v71
	global_store_b16 v61, v60, s[38:39] scale_offset
	s_wait_xcnt 0x0
	s_or_b32 exec_lo, exec_lo, s20
	v_cmp_lt_u32_e64 s19, v72, v139
	s_and_saveexec_b32 s21, s19
	s_cbranch_execz .LBB1730_766
.LBB1730_834:                           ;   in Loop: Header=BB1730_682 Depth=2
	ds_load_u16 v60, v93 offset:3584
	s_wait_dscnt 0x0
	v_cmp_ne_u16_e64 s20, 0x8000, v60
	s_delay_alu instid0(VALU_DEP_1) | instskip(SKIP_1) | instid1(VALU_DEP_2)
	v_cndmask_b32_e64 v61, 0x7fff, v60, s20
	v_cmp_gt_i16_e64 s20, 0, v60
	v_and_b32_e32 v61, 0xffff, v61
	s_delay_alu instid0(VALU_DEP_2) | instskip(NEXT) | instid1(VALU_DEP_1)
	v_cndmask_b32_e64 v140, 0x7fff, 0, s20
	v_dual_lshrrev_b32 v61, s49, v61 :: v_dual_bitop2_b32 v60, v140, v60 bitop3:0x14
	s_delay_alu instid0(VALU_DEP_1) | instskip(NEXT) | instid1(VALU_DEP_1)
	v_and_b32_e32 v61, s52, v61
	v_lshlrev_b32_e32 v61, 2, v61
	ds_load_b32 v61, v61
	s_wait_dscnt 0x0
	v_add_nc_u32_e32 v61, v61, v72
	global_store_b16 v61, v60, s[38:39] scale_offset
	s_wait_xcnt 0x0
	s_or_b32 exec_lo, exec_lo, s21
	v_cmp_lt_u32_e64 s20, v73, v139
	s_and_saveexec_b32 s22, s20
	s_cbranch_execz .LBB1730_767
.LBB1730_835:                           ;   in Loop: Header=BB1730_682 Depth=2
	ds_load_u16 v60, v93 offset:4096
	s_wait_dscnt 0x0
	v_cmp_ne_u16_e64 s21, 0x8000, v60
	s_delay_alu instid0(VALU_DEP_1) | instskip(SKIP_1) | instid1(VALU_DEP_2)
	v_cndmask_b32_e64 v61, 0x7fff, v60, s21
	v_cmp_gt_i16_e64 s21, 0, v60
	v_and_b32_e32 v61, 0xffff, v61
	s_delay_alu instid0(VALU_DEP_2) | instskip(NEXT) | instid1(VALU_DEP_1)
	v_cndmask_b32_e64 v140, 0x7fff, 0, s21
	v_dual_lshrrev_b32 v61, s49, v61 :: v_dual_bitop2_b32 v60, v140, v60 bitop3:0x14
	s_delay_alu instid0(VALU_DEP_1) | instskip(NEXT) | instid1(VALU_DEP_1)
	v_and_b32_e32 v61, s52, v61
	v_lshlrev_b32_e32 v61, 2, v61
	ds_load_b32 v61, v61
	s_wait_dscnt 0x0
	v_add_nc_u32_e32 v61, v61, v73
	global_store_b16 v61, v60, s[38:39] scale_offset
	s_wait_xcnt 0x0
	s_or_b32 exec_lo, exec_lo, s22
	v_cmp_lt_u32_e64 s21, v74, v139
	s_and_saveexec_b32 s23, s21
	s_cbranch_execz .LBB1730_768
.LBB1730_836:                           ;   in Loop: Header=BB1730_682 Depth=2
	ds_load_u16 v60, v93 offset:4608
	s_wait_dscnt 0x0
	v_cmp_ne_u16_e64 s22, 0x8000, v60
	s_delay_alu instid0(VALU_DEP_1) | instskip(SKIP_1) | instid1(VALU_DEP_2)
	v_cndmask_b32_e64 v61, 0x7fff, v60, s22
	v_cmp_gt_i16_e64 s22, 0, v60
	v_and_b32_e32 v61, 0xffff, v61
	s_delay_alu instid0(VALU_DEP_2) | instskip(NEXT) | instid1(VALU_DEP_1)
	v_cndmask_b32_e64 v140, 0x7fff, 0, s22
	v_dual_lshrrev_b32 v61, s49, v61 :: v_dual_bitop2_b32 v60, v140, v60 bitop3:0x14
	s_delay_alu instid0(VALU_DEP_1) | instskip(NEXT) | instid1(VALU_DEP_1)
	v_and_b32_e32 v61, s52, v61
	v_lshlrev_b32_e32 v61, 2, v61
	ds_load_b32 v61, v61
	s_wait_dscnt 0x0
	v_add_nc_u32_e32 v61, v61, v74
	global_store_b16 v61, v60, s[38:39] scale_offset
	s_wait_xcnt 0x0
	s_or_b32 exec_lo, exec_lo, s23
	v_cmp_lt_u32_e64 s22, v75, v139
	s_and_saveexec_b32 s24, s22
	s_cbranch_execz .LBB1730_769
.LBB1730_837:                           ;   in Loop: Header=BB1730_682 Depth=2
	ds_load_u16 v60, v93 offset:5120
	s_wait_dscnt 0x0
	v_cmp_ne_u16_e64 s23, 0x8000, v60
	s_delay_alu instid0(VALU_DEP_1) | instskip(SKIP_1) | instid1(VALU_DEP_2)
	v_cndmask_b32_e64 v61, 0x7fff, v60, s23
	v_cmp_gt_i16_e64 s23, 0, v60
	v_and_b32_e32 v61, 0xffff, v61
	s_delay_alu instid0(VALU_DEP_2) | instskip(NEXT) | instid1(VALU_DEP_1)
	v_cndmask_b32_e64 v140, 0x7fff, 0, s23
	v_dual_lshrrev_b32 v61, s49, v61 :: v_dual_bitop2_b32 v60, v140, v60 bitop3:0x14
	s_delay_alu instid0(VALU_DEP_1) | instskip(NEXT) | instid1(VALU_DEP_1)
	v_and_b32_e32 v61, s52, v61
	v_lshlrev_b32_e32 v61, 2, v61
	ds_load_b32 v61, v61
	s_wait_dscnt 0x0
	v_add_nc_u32_e32 v61, v61, v75
	global_store_b16 v61, v60, s[38:39] scale_offset
	s_wait_xcnt 0x0
	s_or_b32 exec_lo, exec_lo, s24
	v_cmp_lt_u32_e64 s23, v76, v139
	s_and_saveexec_b32 s25, s23
	s_cbranch_execz .LBB1730_770
.LBB1730_838:                           ;   in Loop: Header=BB1730_682 Depth=2
	ds_load_u16 v60, v93 offset:5632
	s_wait_dscnt 0x0
	v_cmp_ne_u16_e64 s24, 0x8000, v60
	s_delay_alu instid0(VALU_DEP_1) | instskip(SKIP_1) | instid1(VALU_DEP_2)
	v_cndmask_b32_e64 v61, 0x7fff, v60, s24
	v_cmp_gt_i16_e64 s24, 0, v60
	v_and_b32_e32 v61, 0xffff, v61
	s_delay_alu instid0(VALU_DEP_2) | instskip(NEXT) | instid1(VALU_DEP_1)
	v_cndmask_b32_e64 v140, 0x7fff, 0, s24
	v_dual_lshrrev_b32 v61, s49, v61 :: v_dual_bitop2_b32 v60, v140, v60 bitop3:0x14
	s_delay_alu instid0(VALU_DEP_1) | instskip(NEXT) | instid1(VALU_DEP_1)
	v_and_b32_e32 v61, s52, v61
	v_lshlrev_b32_e32 v61, 2, v61
	ds_load_b32 v61, v61
	s_wait_dscnt 0x0
	v_add_nc_u32_e32 v61, v61, v76
	global_store_b16 v61, v60, s[38:39] scale_offset
	s_wait_xcnt 0x0
	s_or_b32 exec_lo, exec_lo, s25
	v_cmp_lt_u32_e64 s24, v77, v139
	s_and_saveexec_b32 s26, s24
	s_cbranch_execz .LBB1730_771
.LBB1730_839:                           ;   in Loop: Header=BB1730_682 Depth=2
	ds_load_u16 v60, v93 offset:6144
	s_wait_dscnt 0x0
	v_cmp_ne_u16_e64 s25, 0x8000, v60
	s_delay_alu instid0(VALU_DEP_1) | instskip(SKIP_1) | instid1(VALU_DEP_2)
	v_cndmask_b32_e64 v61, 0x7fff, v60, s25
	v_cmp_gt_i16_e64 s25, 0, v60
	v_and_b32_e32 v61, 0xffff, v61
	s_delay_alu instid0(VALU_DEP_2) | instskip(NEXT) | instid1(VALU_DEP_1)
	v_cndmask_b32_e64 v140, 0x7fff, 0, s25
	v_dual_lshrrev_b32 v61, s49, v61 :: v_dual_bitop2_b32 v60, v140, v60 bitop3:0x14
	s_delay_alu instid0(VALU_DEP_1) | instskip(NEXT) | instid1(VALU_DEP_1)
	v_and_b32_e32 v61, s52, v61
	v_lshlrev_b32_e32 v61, 2, v61
	ds_load_b32 v61, v61
	s_wait_dscnt 0x0
	v_add_nc_u32_e32 v61, v61, v77
	global_store_b16 v61, v60, s[38:39] scale_offset
	s_wait_xcnt 0x0
	s_or_b32 exec_lo, exec_lo, s26
	v_cmp_lt_u32_e64 s25, v78, v139
	s_and_saveexec_b32 s27, s25
	s_cbranch_execz .LBB1730_772
.LBB1730_840:                           ;   in Loop: Header=BB1730_682 Depth=2
	ds_load_u16 v60, v93 offset:6656
	s_wait_dscnt 0x0
	v_cmp_ne_u16_e64 s26, 0x8000, v60
	s_delay_alu instid0(VALU_DEP_1) | instskip(SKIP_1) | instid1(VALU_DEP_2)
	v_cndmask_b32_e64 v61, 0x7fff, v60, s26
	v_cmp_gt_i16_e64 s26, 0, v60
	v_and_b32_e32 v61, 0xffff, v61
	s_delay_alu instid0(VALU_DEP_2) | instskip(NEXT) | instid1(VALU_DEP_1)
	v_cndmask_b32_e64 v140, 0x7fff, 0, s26
	v_dual_lshrrev_b32 v61, s49, v61 :: v_dual_bitop2_b32 v60, v140, v60 bitop3:0x14
	s_delay_alu instid0(VALU_DEP_1) | instskip(NEXT) | instid1(VALU_DEP_1)
	v_and_b32_e32 v61, s52, v61
	v_lshlrev_b32_e32 v61, 2, v61
	ds_load_b32 v61, v61
	s_wait_dscnt 0x0
	v_add_nc_u32_e32 v61, v61, v78
	global_store_b16 v61, v60, s[38:39] scale_offset
	s_wait_xcnt 0x0
	s_or_b32 exec_lo, exec_lo, s27
	v_cmp_lt_u32_e64 s26, v79, v139
	s_and_saveexec_b32 s28, s26
	s_cbranch_execz .LBB1730_773
.LBB1730_841:                           ;   in Loop: Header=BB1730_682 Depth=2
	ds_load_u16 v60, v93 offset:7168
	s_wait_dscnt 0x0
	v_cmp_ne_u16_e64 s27, 0x8000, v60
	s_delay_alu instid0(VALU_DEP_1) | instskip(SKIP_1) | instid1(VALU_DEP_2)
	v_cndmask_b32_e64 v61, 0x7fff, v60, s27
	v_cmp_gt_i16_e64 s27, 0, v60
	v_and_b32_e32 v61, 0xffff, v61
	s_delay_alu instid0(VALU_DEP_2) | instskip(NEXT) | instid1(VALU_DEP_1)
	v_cndmask_b32_e64 v140, 0x7fff, 0, s27
	v_dual_lshrrev_b32 v61, s49, v61 :: v_dual_bitop2_b32 v60, v140, v60 bitop3:0x14
	s_delay_alu instid0(VALU_DEP_1) | instskip(NEXT) | instid1(VALU_DEP_1)
	v_and_b32_e32 v61, s52, v61
	v_lshlrev_b32_e32 v61, 2, v61
	ds_load_b32 v61, v61
	s_wait_dscnt 0x0
	v_add_nc_u32_e32 v61, v61, v79
	global_store_b16 v61, v60, s[38:39] scale_offset
	s_wait_xcnt 0x0
	s_or_b32 exec_lo, exec_lo, s28
	v_cmp_lt_u32_e64 s27, v80, v139
	s_and_saveexec_b32 s29, s27
	s_cbranch_execz .LBB1730_774
.LBB1730_842:                           ;   in Loop: Header=BB1730_682 Depth=2
	ds_load_u16 v60, v93 offset:7680
	s_wait_dscnt 0x0
	v_cmp_ne_u16_e64 s28, 0x8000, v60
	s_delay_alu instid0(VALU_DEP_1) | instskip(SKIP_1) | instid1(VALU_DEP_2)
	v_cndmask_b32_e64 v61, 0x7fff, v60, s28
	v_cmp_gt_i16_e64 s28, 0, v60
	v_and_b32_e32 v61, 0xffff, v61
	s_delay_alu instid0(VALU_DEP_2) | instskip(NEXT) | instid1(VALU_DEP_1)
	v_cndmask_b32_e64 v140, 0x7fff, 0, s28
	v_dual_lshrrev_b32 v61, s49, v61 :: v_dual_bitop2_b32 v60, v140, v60 bitop3:0x14
	s_delay_alu instid0(VALU_DEP_1) | instskip(NEXT) | instid1(VALU_DEP_1)
	v_and_b32_e32 v61, s52, v61
	v_lshlrev_b32_e32 v61, 2, v61
	ds_load_b32 v61, v61
	s_wait_dscnt 0x0
	v_add_nc_u32_e32 v61, v61, v80
	global_store_b16 v61, v60, s[38:39] scale_offset
	s_wait_xcnt 0x0
	s_or_b32 exec_lo, exec_lo, s29
	v_cmp_lt_u32_e64 s28, v81, v139
	s_and_saveexec_b32 s30, s28
	s_cbranch_execz .LBB1730_775
.LBB1730_843:                           ;   in Loop: Header=BB1730_682 Depth=2
	ds_load_u16 v60, v93 offset:8192
	s_wait_dscnt 0x0
	v_cmp_ne_u16_e64 s29, 0x8000, v60
	s_delay_alu instid0(VALU_DEP_1) | instskip(SKIP_1) | instid1(VALU_DEP_2)
	v_cndmask_b32_e64 v61, 0x7fff, v60, s29
	v_cmp_gt_i16_e64 s29, 0, v60
	v_and_b32_e32 v61, 0xffff, v61
	s_delay_alu instid0(VALU_DEP_2) | instskip(NEXT) | instid1(VALU_DEP_1)
	v_cndmask_b32_e64 v140, 0x7fff, 0, s29
	v_dual_lshrrev_b32 v61, s49, v61 :: v_dual_bitop2_b32 v60, v140, v60 bitop3:0x14
	s_delay_alu instid0(VALU_DEP_1) | instskip(NEXT) | instid1(VALU_DEP_1)
	v_and_b32_e32 v61, s52, v61
	v_lshlrev_b32_e32 v61, 2, v61
	ds_load_b32 v61, v61
	s_wait_dscnt 0x0
	v_add_nc_u32_e32 v61, v61, v81
	global_store_b16 v61, v60, s[38:39] scale_offset
	s_wait_xcnt 0x0
	s_or_b32 exec_lo, exec_lo, s30
	v_cmp_lt_u32_e64 s29, v82, v139
	s_and_saveexec_b32 s58, s29
	s_cbranch_execnz .LBB1730_776
	s_branch .LBB1730_777
.LBB1730_844:                           ;   in Loop: Header=BB1730_682 Depth=2
	global_load_b64 v[58:59], v[60:61], off
	s_wait_xcnt 0x0
	s_or_b32 exec_lo, exec_lo, s30
	s_delay_alu instid0(SALU_CYCLE_1)
	s_mov_b32 s42, exec_lo
	v_cmpx_lt_u32_e64 v103, v139
	s_cbranch_execz .LBB1730_779
.LBB1730_845:                           ;   in Loop: Header=BB1730_682 Depth=2
	global_load_b64 v[56:57], v[60:61], off offset:256
	s_wait_xcnt 0x0
	s_or_b32 exec_lo, exec_lo, s42
	s_delay_alu instid0(SALU_CYCLE_1)
	s_mov_b32 s42, exec_lo
	v_cmpx_lt_u32_e64 v104, v139
	s_cbranch_execz .LBB1730_780
.LBB1730_846:                           ;   in Loop: Header=BB1730_682 Depth=2
	global_load_b64 v[54:55], v[60:61], off offset:512
	s_wait_xcnt 0x0
	s_or_b32 exec_lo, exec_lo, s42
	s_delay_alu instid0(SALU_CYCLE_1)
	s_mov_b32 s42, exec_lo
	v_cmpx_lt_u32_e64 v105, v139
	s_cbranch_execz .LBB1730_781
.LBB1730_847:                           ;   in Loop: Header=BB1730_682 Depth=2
	global_load_b64 v[52:53], v[60:61], off offset:768
	s_wait_xcnt 0x0
	s_or_b32 exec_lo, exec_lo, s42
	s_delay_alu instid0(SALU_CYCLE_1)
	s_mov_b32 s42, exec_lo
	v_cmpx_lt_u32_e64 v106, v139
	s_cbranch_execz .LBB1730_782
.LBB1730_848:                           ;   in Loop: Header=BB1730_682 Depth=2
	global_load_b64 v[50:51], v[60:61], off offset:1024
	s_wait_xcnt 0x0
	s_or_b32 exec_lo, exec_lo, s42
	s_delay_alu instid0(SALU_CYCLE_1)
	s_mov_b32 s42, exec_lo
	v_cmpx_lt_u32_e64 v107, v139
	s_cbranch_execz .LBB1730_783
.LBB1730_849:                           ;   in Loop: Header=BB1730_682 Depth=2
	global_load_b64 v[48:49], v[60:61], off offset:1280
	s_wait_xcnt 0x0
	s_or_b32 exec_lo, exec_lo, s42
	s_delay_alu instid0(SALU_CYCLE_1)
	s_mov_b32 s42, exec_lo
	v_cmpx_lt_u32_e64 v108, v139
	s_cbranch_execz .LBB1730_784
.LBB1730_850:                           ;   in Loop: Header=BB1730_682 Depth=2
	global_load_b64 v[46:47], v[60:61], off offset:1536
	s_wait_xcnt 0x0
	s_or_b32 exec_lo, exec_lo, s42
	s_delay_alu instid0(SALU_CYCLE_1)
	s_mov_b32 s42, exec_lo
	v_cmpx_lt_u32_e64 v109, v139
	s_cbranch_execz .LBB1730_785
.LBB1730_851:                           ;   in Loop: Header=BB1730_682 Depth=2
	global_load_b64 v[44:45], v[60:61], off offset:1792
	s_wait_xcnt 0x0
	s_or_b32 exec_lo, exec_lo, s42
	s_delay_alu instid0(SALU_CYCLE_1)
	s_mov_b32 s42, exec_lo
	v_cmpx_lt_u32_e64 v110, v139
	s_cbranch_execz .LBB1730_786
.LBB1730_852:                           ;   in Loop: Header=BB1730_682 Depth=2
	global_load_b64 v[42:43], v[60:61], off offset:2048
	s_wait_xcnt 0x0
	s_or_b32 exec_lo, exec_lo, s42
	s_delay_alu instid0(SALU_CYCLE_1)
	s_mov_b32 s42, exec_lo
	v_cmpx_lt_u32_e64 v111, v139
	s_cbranch_execz .LBB1730_787
.LBB1730_853:                           ;   in Loop: Header=BB1730_682 Depth=2
	global_load_b64 v[40:41], v[60:61], off offset:2304
	s_wait_xcnt 0x0
	s_or_b32 exec_lo, exec_lo, s42
	s_delay_alu instid0(SALU_CYCLE_1)
	s_mov_b32 s42, exec_lo
	v_cmpx_lt_u32_e64 v112, v139
	s_cbranch_execz .LBB1730_788
.LBB1730_854:                           ;   in Loop: Header=BB1730_682 Depth=2
	global_load_b64 v[38:39], v[60:61], off offset:2560
	s_wait_xcnt 0x0
	s_or_b32 exec_lo, exec_lo, s42
	s_delay_alu instid0(SALU_CYCLE_1)
	s_mov_b32 s42, exec_lo
	v_cmpx_lt_u32_e64 v113, v139
	s_cbranch_execz .LBB1730_789
.LBB1730_855:                           ;   in Loop: Header=BB1730_682 Depth=2
	global_load_b64 v[36:37], v[60:61], off offset:2816
	s_wait_xcnt 0x0
	s_or_b32 exec_lo, exec_lo, s42
	s_delay_alu instid0(SALU_CYCLE_1)
	s_mov_b32 s42, exec_lo
	v_cmpx_lt_u32_e64 v114, v139
	s_cbranch_execz .LBB1730_790
.LBB1730_856:                           ;   in Loop: Header=BB1730_682 Depth=2
	global_load_b64 v[34:35], v[60:61], off offset:3072
	s_wait_xcnt 0x0
	s_or_b32 exec_lo, exec_lo, s42
	s_delay_alu instid0(SALU_CYCLE_1)
	s_mov_b32 s42, exec_lo
	v_cmpx_lt_u32_e64 v115, v139
	s_cbranch_execz .LBB1730_791
.LBB1730_857:                           ;   in Loop: Header=BB1730_682 Depth=2
	global_load_b64 v[32:33], v[60:61], off offset:3328
	s_wait_xcnt 0x0
	s_or_b32 exec_lo, exec_lo, s42
	s_delay_alu instid0(SALU_CYCLE_1)
	s_mov_b32 s42, exec_lo
	v_cmpx_lt_u32_e64 v116, v139
	s_cbranch_execz .LBB1730_792
.LBB1730_858:                           ;   in Loop: Header=BB1730_682 Depth=2
	global_load_b64 v[30:31], v[60:61], off offset:3584
	s_wait_xcnt 0x0
	s_or_b32 exec_lo, exec_lo, s42
	s_delay_alu instid0(SALU_CYCLE_1)
	s_mov_b32 s42, exec_lo
	v_cmpx_lt_u32_e64 v117, v139
	s_cbranch_execz .LBB1730_793
.LBB1730_859:                           ;   in Loop: Header=BB1730_682 Depth=2
	global_load_b64 v[28:29], v[60:61], off offset:3840
	s_wait_xcnt 0x0
	s_or_b32 exec_lo, exec_lo, s42
	s_and_saveexec_b32 s42, vcc_lo
	s_cbranch_execz .LBB1730_794
.LBB1730_860:                           ;   in Loop: Header=BB1730_682 Depth=2
	ds_load_u16 v60, v93 offset:1024
	s_wait_dscnt 0x0
	v_cmp_ne_u16_e64 s30, 0x8000, v60
	s_delay_alu instid0(VALU_DEP_1) | instskip(NEXT) | instid1(VALU_DEP_1)
	v_cndmask_b32_e64 v60, 0x7fff, v60, s30
	v_and_b32_e32 v60, 0xffff, v60
	s_delay_alu instid0(VALU_DEP_1) | instskip(NEXT) | instid1(VALU_DEP_1)
	v_lshrrev_b32_e32 v60, s49, v60
	v_and_b32_e32 v138, s52, v60
	s_or_b32 exec_lo, exec_lo, s42
	s_and_saveexec_b32 s42, s15
	s_cbranch_execz .LBB1730_795
.LBB1730_861:                           ;   in Loop: Header=BB1730_682 Depth=2
	ds_load_u16 v60, v93 offset:1536
	s_wait_dscnt 0x0
	v_cmp_ne_u16_e64 s30, 0x8000, v60
	s_delay_alu instid0(VALU_DEP_1) | instskip(NEXT) | instid1(VALU_DEP_1)
	v_cndmask_b32_e64 v60, 0x7fff, v60, s30
	v_and_b32_e32 v60, 0xffff, v60
	s_delay_alu instid0(VALU_DEP_1) | instskip(NEXT) | instid1(VALU_DEP_1)
	v_lshrrev_b32_e32 v60, s49, v60
	v_and_b32_e32 v137, s52, v60
	s_or_b32 exec_lo, exec_lo, s42
	s_and_saveexec_b32 s42, s16
	s_cbranch_execz .LBB1730_796
.LBB1730_862:                           ;   in Loop: Header=BB1730_682 Depth=2
	ds_load_u16 v60, v93 offset:2048
	s_wait_dscnt 0x0
	v_cmp_ne_u16_e64 s30, 0x8000, v60
	s_delay_alu instid0(VALU_DEP_1) | instskip(NEXT) | instid1(VALU_DEP_1)
	v_cndmask_b32_e64 v60, 0x7fff, v60, s30
	v_and_b32_e32 v60, 0xffff, v60
	s_delay_alu instid0(VALU_DEP_1) | instskip(NEXT) | instid1(VALU_DEP_1)
	v_lshrrev_b32_e32 v60, s49, v60
	v_and_b32_e32 v136, s52, v60
	s_or_b32 exec_lo, exec_lo, s42
	s_and_saveexec_b32 s42, s17
	s_cbranch_execz .LBB1730_797
.LBB1730_863:                           ;   in Loop: Header=BB1730_682 Depth=2
	ds_load_u16 v60, v93 offset:2560
	s_wait_dscnt 0x0
	v_cmp_ne_u16_e64 s30, 0x8000, v60
	s_delay_alu instid0(VALU_DEP_1) | instskip(NEXT) | instid1(VALU_DEP_1)
	v_cndmask_b32_e64 v60, 0x7fff, v60, s30
	v_and_b32_e32 v60, 0xffff, v60
	s_delay_alu instid0(VALU_DEP_1) | instskip(NEXT) | instid1(VALU_DEP_1)
	v_lshrrev_b32_e32 v60, s49, v60
	v_and_b32_e32 v135, s52, v60
	s_or_b32 exec_lo, exec_lo, s42
	s_and_saveexec_b32 s42, s18
	s_cbranch_execz .LBB1730_798
.LBB1730_864:                           ;   in Loop: Header=BB1730_682 Depth=2
	ds_load_u16 v60, v93 offset:3072
	s_wait_dscnt 0x0
	v_cmp_ne_u16_e64 s30, 0x8000, v60
	s_delay_alu instid0(VALU_DEP_1) | instskip(NEXT) | instid1(VALU_DEP_1)
	v_cndmask_b32_e64 v60, 0x7fff, v60, s30
	v_and_b32_e32 v60, 0xffff, v60
	s_delay_alu instid0(VALU_DEP_1) | instskip(NEXT) | instid1(VALU_DEP_1)
	v_lshrrev_b32_e32 v60, s49, v60
	v_and_b32_e32 v134, s52, v60
	s_or_b32 exec_lo, exec_lo, s42
	s_and_saveexec_b32 s42, s19
	s_cbranch_execz .LBB1730_799
.LBB1730_865:                           ;   in Loop: Header=BB1730_682 Depth=2
	ds_load_u16 v60, v93 offset:3584
	s_wait_dscnt 0x0
	v_cmp_ne_u16_e64 s30, 0x8000, v60
	s_delay_alu instid0(VALU_DEP_1) | instskip(NEXT) | instid1(VALU_DEP_1)
	v_cndmask_b32_e64 v60, 0x7fff, v60, s30
	v_and_b32_e32 v60, 0xffff, v60
	s_delay_alu instid0(VALU_DEP_1) | instskip(NEXT) | instid1(VALU_DEP_1)
	v_lshrrev_b32_e32 v60, s49, v60
	v_and_b32_e32 v133, s52, v60
	s_or_b32 exec_lo, exec_lo, s42
	s_and_saveexec_b32 s42, s20
	s_cbranch_execz .LBB1730_800
.LBB1730_866:                           ;   in Loop: Header=BB1730_682 Depth=2
	ds_load_u16 v60, v93 offset:4096
	s_wait_dscnt 0x0
	v_cmp_ne_u16_e64 s30, 0x8000, v60
	s_delay_alu instid0(VALU_DEP_1) | instskip(NEXT) | instid1(VALU_DEP_1)
	v_cndmask_b32_e64 v60, 0x7fff, v60, s30
	v_and_b32_e32 v60, 0xffff, v60
	s_delay_alu instid0(VALU_DEP_1) | instskip(NEXT) | instid1(VALU_DEP_1)
	v_lshrrev_b32_e32 v60, s49, v60
	v_and_b32_e32 v132, s52, v60
	s_or_b32 exec_lo, exec_lo, s42
	s_and_saveexec_b32 s42, s21
	s_cbranch_execz .LBB1730_801
.LBB1730_867:                           ;   in Loop: Header=BB1730_682 Depth=2
	ds_load_u16 v60, v93 offset:4608
	s_wait_dscnt 0x0
	v_cmp_ne_u16_e64 s30, 0x8000, v60
	s_delay_alu instid0(VALU_DEP_1) | instskip(NEXT) | instid1(VALU_DEP_1)
	v_cndmask_b32_e64 v60, 0x7fff, v60, s30
	v_and_b32_e32 v60, 0xffff, v60
	s_delay_alu instid0(VALU_DEP_1) | instskip(NEXT) | instid1(VALU_DEP_1)
	v_lshrrev_b32_e32 v60, s49, v60
	v_and_b32_e32 v131, s52, v60
	s_or_b32 exec_lo, exec_lo, s42
	s_and_saveexec_b32 s42, s22
	s_cbranch_execz .LBB1730_802
.LBB1730_868:                           ;   in Loop: Header=BB1730_682 Depth=2
	ds_load_u16 v60, v93 offset:5120
	s_wait_dscnt 0x0
	v_cmp_ne_u16_e64 s30, 0x8000, v60
	s_delay_alu instid0(VALU_DEP_1) | instskip(NEXT) | instid1(VALU_DEP_1)
	v_cndmask_b32_e64 v60, 0x7fff, v60, s30
	v_and_b32_e32 v60, 0xffff, v60
	s_delay_alu instid0(VALU_DEP_1) | instskip(NEXT) | instid1(VALU_DEP_1)
	v_lshrrev_b32_e32 v60, s49, v60
	v_and_b32_e32 v130, s52, v60
	s_or_b32 exec_lo, exec_lo, s42
	s_and_saveexec_b32 s42, s23
	s_cbranch_execz .LBB1730_803
.LBB1730_869:                           ;   in Loop: Header=BB1730_682 Depth=2
	ds_load_u16 v60, v93 offset:5632
	s_wait_dscnt 0x0
	v_cmp_ne_u16_e64 s30, 0x8000, v60
	s_delay_alu instid0(VALU_DEP_1) | instskip(NEXT) | instid1(VALU_DEP_1)
	v_cndmask_b32_e64 v60, 0x7fff, v60, s30
	v_and_b32_e32 v60, 0xffff, v60
	s_delay_alu instid0(VALU_DEP_1) | instskip(NEXT) | instid1(VALU_DEP_1)
	v_lshrrev_b32_e32 v60, s49, v60
	v_and_b32_e32 v129, s52, v60
	s_or_b32 exec_lo, exec_lo, s42
	s_and_saveexec_b32 s42, s24
	s_cbranch_execz .LBB1730_804
.LBB1730_870:                           ;   in Loop: Header=BB1730_682 Depth=2
	ds_load_u16 v60, v93 offset:6144
	s_wait_dscnt 0x0
	v_cmp_ne_u16_e64 s30, 0x8000, v60
	s_delay_alu instid0(VALU_DEP_1) | instskip(NEXT) | instid1(VALU_DEP_1)
	v_cndmask_b32_e64 v60, 0x7fff, v60, s30
	v_and_b32_e32 v60, 0xffff, v60
	s_delay_alu instid0(VALU_DEP_1) | instskip(NEXT) | instid1(VALU_DEP_1)
	v_lshrrev_b32_e32 v60, s49, v60
	v_and_b32_e32 v128, s52, v60
	s_or_b32 exec_lo, exec_lo, s42
	s_and_saveexec_b32 s42, s25
	s_cbranch_execz .LBB1730_805
.LBB1730_871:                           ;   in Loop: Header=BB1730_682 Depth=2
	ds_load_u16 v60, v93 offset:6656
	s_wait_dscnt 0x0
	v_cmp_ne_u16_e64 s30, 0x8000, v60
	s_delay_alu instid0(VALU_DEP_1) | instskip(NEXT) | instid1(VALU_DEP_1)
	v_cndmask_b32_e64 v60, 0x7fff, v60, s30
	v_and_b32_e32 v60, 0xffff, v60
	s_delay_alu instid0(VALU_DEP_1) | instskip(NEXT) | instid1(VALU_DEP_1)
	v_lshrrev_b32_e32 v60, s49, v60
	v_and_b32_e32 v127, s52, v60
	s_or_b32 exec_lo, exec_lo, s42
	s_and_saveexec_b32 s42, s26
	s_cbranch_execz .LBB1730_806
.LBB1730_872:                           ;   in Loop: Header=BB1730_682 Depth=2
	ds_load_u16 v60, v93 offset:7168
	s_wait_dscnt 0x0
	v_cmp_ne_u16_e64 s30, 0x8000, v60
	s_delay_alu instid0(VALU_DEP_1) | instskip(NEXT) | instid1(VALU_DEP_1)
	v_cndmask_b32_e64 v60, 0x7fff, v60, s30
	v_and_b32_e32 v60, 0xffff, v60
	s_delay_alu instid0(VALU_DEP_1) | instskip(NEXT) | instid1(VALU_DEP_1)
	v_lshrrev_b32_e32 v60, s49, v60
	v_and_b32_e32 v126, s52, v60
	s_or_b32 exec_lo, exec_lo, s42
	s_and_saveexec_b32 s42, s27
	s_cbranch_execz .LBB1730_807
.LBB1730_873:                           ;   in Loop: Header=BB1730_682 Depth=2
	ds_load_u16 v60, v93 offset:7680
	s_wait_dscnt 0x0
	v_cmp_ne_u16_e64 s30, 0x8000, v60
	s_delay_alu instid0(VALU_DEP_1) | instskip(NEXT) | instid1(VALU_DEP_1)
	v_cndmask_b32_e64 v60, 0x7fff, v60, s30
	v_and_b32_e32 v60, 0xffff, v60
	s_delay_alu instid0(VALU_DEP_1) | instskip(NEXT) | instid1(VALU_DEP_1)
	v_lshrrev_b32_e32 v60, s49, v60
	v_and_b32_e32 v125, s52, v60
	s_or_b32 exec_lo, exec_lo, s42
	s_and_saveexec_b32 s42, s28
	s_cbranch_execz .LBB1730_808
.LBB1730_874:                           ;   in Loop: Header=BB1730_682 Depth=2
	ds_load_u16 v60, v93 offset:8192
	s_wait_dscnt 0x0
	v_cmp_ne_u16_e64 s30, 0x8000, v60
	s_delay_alu instid0(VALU_DEP_1) | instskip(NEXT) | instid1(VALU_DEP_1)
	v_cndmask_b32_e64 v60, 0x7fff, v60, s30
	v_and_b32_e32 v60, 0xffff, v60
	s_delay_alu instid0(VALU_DEP_1) | instskip(NEXT) | instid1(VALU_DEP_1)
	v_lshrrev_b32_e32 v60, s49, v60
	v_and_b32_e32 v124, s52, v60
	s_or_b32 exec_lo, exec_lo, s42
	s_and_saveexec_b32 s42, s29
	s_cbranch_execnz .LBB1730_809
	s_branch .LBB1730_810
.LBB1730_875:                           ;   in Loop: Header=BB1730_682 Depth=2
	v_lshlrev_b32_e32 v60, 2, v138
	v_add_nc_u32_e32 v61, v93, v94
	ds_load_b32 v63, v60
	ds_load_b64 v[60:61], v61 offset:1024
	s_wait_dscnt 0x1
	v_add_nc_u32_e32 v63, v63, v2
	s_wait_dscnt 0x0
	global_store_b64 v63, v[60:61], s[44:45] scale_offset
	s_wait_xcnt 0x0
	s_or_b32 exec_lo, exec_lo, s30
	s_and_saveexec_b32 s30, s15
	s_cbranch_execz .LBB1730_812
.LBB1730_876:                           ;   in Loop: Header=BB1730_682 Depth=2
	v_dual_lshlrev_b32 v60, 2, v137 :: v_dual_add_nc_u32 v61, v93, v94
	ds_load_b32 v63, v60
	ds_load_b64 v[60:61], v61 offset:3072
	s_wait_dscnt 0x1
	v_add_nc_u32_e32 v63, v63, v68
	s_wait_dscnt 0x0
	global_store_b64 v63, v[60:61], s[44:45] scale_offset
	s_wait_xcnt 0x0
	s_or_b32 exec_lo, exec_lo, s30
	s_and_saveexec_b32 s15, s16
	s_cbranch_execz .LBB1730_813
.LBB1730_877:                           ;   in Loop: Header=BB1730_682 Depth=2
	v_dual_lshlrev_b32 v60, 2, v136 :: v_dual_add_nc_u32 v61, v93, v94
	ds_load_b32 v63, v60
	ds_load_b64 v[60:61], v61 offset:5120
	s_wait_dscnt 0x1
	v_add_nc_u32_e32 v63, v63, v69
	s_wait_dscnt 0x0
	global_store_b64 v63, v[60:61], s[44:45] scale_offset
	s_wait_xcnt 0x0
	s_or_b32 exec_lo, exec_lo, s15
	s_and_saveexec_b32 s15, s17
	s_cbranch_execz .LBB1730_814
.LBB1730_878:                           ;   in Loop: Header=BB1730_682 Depth=2
	v_dual_lshlrev_b32 v60, 2, v135 :: v_dual_add_nc_u32 v61, v93, v94
	ds_load_b32 v63, v60
	ds_load_b64 v[60:61], v61 offset:7168
	s_wait_dscnt 0x1
	v_add_nc_u32_e32 v63, v63, v70
	s_wait_dscnt 0x0
	global_store_b64 v63, v[60:61], s[44:45] scale_offset
	s_wait_xcnt 0x0
	s_or_b32 exec_lo, exec_lo, s15
	s_and_saveexec_b32 s15, s18
	s_cbranch_execz .LBB1730_815
.LBB1730_879:                           ;   in Loop: Header=BB1730_682 Depth=2
	v_lshlrev_b32_e32 v60, 2, v134
	v_add_nc_u32_e32 v61, v93, v94
	ds_load_b32 v63, v60
	ds_load_b64 v[60:61], v61 offset:9216
	s_wait_dscnt 0x1
	v_add_nc_u32_e32 v63, v63, v71
	s_wait_dscnt 0x0
	global_store_b64 v63, v[60:61], s[44:45] scale_offset
	s_wait_xcnt 0x0
	s_or_b32 exec_lo, exec_lo, s15
	s_and_saveexec_b32 s15, s19
	s_cbranch_execz .LBB1730_816
.LBB1730_880:                           ;   in Loop: Header=BB1730_682 Depth=2
	v_dual_lshlrev_b32 v60, 2, v133 :: v_dual_add_nc_u32 v61, v93, v94
	ds_load_b32 v63, v60
	ds_load_b64 v[60:61], v61 offset:11264
	s_wait_dscnt 0x1
	v_add_nc_u32_e32 v63, v63, v72
	s_wait_dscnt 0x0
	global_store_b64 v63, v[60:61], s[44:45] scale_offset
	s_wait_xcnt 0x0
	s_or_b32 exec_lo, exec_lo, s15
	s_and_saveexec_b32 s15, s20
	s_cbranch_execz .LBB1730_817
.LBB1730_881:                           ;   in Loop: Header=BB1730_682 Depth=2
	v_dual_lshlrev_b32 v60, 2, v132 :: v_dual_add_nc_u32 v61, v93, v94
	ds_load_b32 v63, v60
	ds_load_b64 v[60:61], v61 offset:13312
	s_wait_dscnt 0x1
	v_add_nc_u32_e32 v63, v63, v73
	s_wait_dscnt 0x0
	global_store_b64 v63, v[60:61], s[44:45] scale_offset
	s_wait_xcnt 0x0
	s_or_b32 exec_lo, exec_lo, s15
	s_and_saveexec_b32 s15, s21
	s_cbranch_execz .LBB1730_818
.LBB1730_882:                           ;   in Loop: Header=BB1730_682 Depth=2
	v_dual_lshlrev_b32 v60, 2, v131 :: v_dual_add_nc_u32 v61, v93, v94
	ds_load_b32 v63, v60
	ds_load_b64 v[60:61], v61 offset:15360
	s_wait_dscnt 0x1
	v_add_nc_u32_e32 v63, v63, v74
	s_wait_dscnt 0x0
	global_store_b64 v63, v[60:61], s[44:45] scale_offset
	s_wait_xcnt 0x0
	s_or_b32 exec_lo, exec_lo, s15
	s_and_saveexec_b32 s15, s22
	s_cbranch_execz .LBB1730_819
.LBB1730_883:                           ;   in Loop: Header=BB1730_682 Depth=2
	v_lshlrev_b32_e32 v60, 2, v130
	v_add_nc_u32_e32 v61, v93, v94
	ds_load_b32 v63, v60
	ds_load_b64 v[60:61], v61 offset:17408
	s_wait_dscnt 0x1
	v_add_nc_u32_e32 v63, v63, v75
	s_wait_dscnt 0x0
	global_store_b64 v63, v[60:61], s[44:45] scale_offset
	s_wait_xcnt 0x0
	s_or_b32 exec_lo, exec_lo, s15
	s_and_saveexec_b32 s15, s23
	s_cbranch_execz .LBB1730_820
.LBB1730_884:                           ;   in Loop: Header=BB1730_682 Depth=2
	v_dual_lshlrev_b32 v60, 2, v129 :: v_dual_add_nc_u32 v61, v93, v94
	ds_load_b32 v63, v60
	ds_load_b64 v[60:61], v61 offset:19456
	s_wait_dscnt 0x1
	v_add_nc_u32_e32 v63, v63, v76
	s_wait_dscnt 0x0
	global_store_b64 v63, v[60:61], s[44:45] scale_offset
	s_wait_xcnt 0x0
	s_or_b32 exec_lo, exec_lo, s15
	s_and_saveexec_b32 s15, s24
	s_cbranch_execz .LBB1730_821
.LBB1730_885:                           ;   in Loop: Header=BB1730_682 Depth=2
	v_dual_lshlrev_b32 v60, 2, v128 :: v_dual_add_nc_u32 v61, v93, v94
	ds_load_b32 v63, v60
	ds_load_b64 v[60:61], v61 offset:21504
	s_wait_dscnt 0x1
	v_add_nc_u32_e32 v63, v63, v77
	s_wait_dscnt 0x0
	global_store_b64 v63, v[60:61], s[44:45] scale_offset
	s_wait_xcnt 0x0
	s_or_b32 exec_lo, exec_lo, s15
	s_and_saveexec_b32 s15, s25
	s_cbranch_execz .LBB1730_822
.LBB1730_886:                           ;   in Loop: Header=BB1730_682 Depth=2
	v_dual_lshlrev_b32 v60, 2, v127 :: v_dual_add_nc_u32 v61, v93, v94
	ds_load_b32 v63, v60
	ds_load_b64 v[60:61], v61 offset:23552
	s_wait_dscnt 0x1
	v_add_nc_u32_e32 v63, v63, v78
	s_wait_dscnt 0x0
	global_store_b64 v63, v[60:61], s[44:45] scale_offset
	s_wait_xcnt 0x0
	s_or_b32 exec_lo, exec_lo, s15
	s_and_saveexec_b32 s15, s26
	s_cbranch_execz .LBB1730_823
.LBB1730_887:                           ;   in Loop: Header=BB1730_682 Depth=2
	v_lshlrev_b32_e32 v60, 2, v126
	v_add_nc_u32_e32 v61, v93, v94
	ds_load_b32 v63, v60
	ds_load_b64 v[60:61], v61 offset:25600
	s_wait_dscnt 0x1
	v_add_nc_u32_e32 v63, v63, v79
	s_wait_dscnt 0x0
	global_store_b64 v63, v[60:61], s[44:45] scale_offset
	s_wait_xcnt 0x0
	s_or_b32 exec_lo, exec_lo, s15
	s_and_saveexec_b32 s15, s27
	s_cbranch_execz .LBB1730_824
.LBB1730_888:                           ;   in Loop: Header=BB1730_682 Depth=2
	v_dual_lshlrev_b32 v60, 2, v125 :: v_dual_add_nc_u32 v61, v93, v94
	ds_load_b32 v63, v60
	ds_load_b64 v[60:61], v61 offset:27648
	s_wait_dscnt 0x1
	v_add_nc_u32_e32 v63, v63, v80
	s_wait_dscnt 0x0
	global_store_b64 v63, v[60:61], s[44:45] scale_offset
	s_wait_xcnt 0x0
	s_or_b32 exec_lo, exec_lo, s15
	s_and_saveexec_b32 s15, s28
	s_cbranch_execz .LBB1730_825
.LBB1730_889:                           ;   in Loop: Header=BB1730_682 Depth=2
	v_dual_lshlrev_b32 v60, 2, v124 :: v_dual_add_nc_u32 v61, v93, v94
	ds_load_b32 v63, v60
	ds_load_b64 v[60:61], v61 offset:29696
	s_wait_dscnt 0x1
	v_add_nc_u32_e32 v63, v63, v81
	s_wait_dscnt 0x0
	global_store_b64 v63, v[60:61], s[44:45] scale_offset
	s_wait_xcnt 0x0
	s_or_b32 exec_lo, exec_lo, s15
	s_and_saveexec_b32 s15, s29
	s_cbranch_execnz .LBB1730_826
	s_branch .LBB1730_827
.LBB1730_890:                           ;   in Loop: Header=BB1730_12 Depth=1
	s_wait_dscnt 0x0
	s_barrier_signal -1
	s_mov_b32 s7, 0
	s_barrier_wait -1
.LBB1730_891:                           ;   in Loop: Header=BB1730_12 Depth=1
	s_and_b32 vcc_lo, exec_lo, s7
	s_cbranch_vccz .LBB1730_11
; %bb.892:                              ;   in Loop: Header=BB1730_12 Depth=1
	s_mov_b32 s7, s56
	s_mov_b32 s42, s54
	s_barrier_signal -1
	s_barrier_wait -1
                                        ; implicit-def: $vgpr23
                                        ; implicit-def: $vgpr24
                                        ; implicit-def: $vgpr25
                                        ; implicit-def: $vgpr26
                                        ; implicit-def: $vgpr27
                                        ; implicit-def: $vgpr28
                                        ; implicit-def: $vgpr29
                                        ; implicit-def: $vgpr30
                                        ; implicit-def: $vgpr31
                                        ; implicit-def: $vgpr32
                                        ; implicit-def: $vgpr33
                                        ; implicit-def: $vgpr34
                                        ; implicit-def: $vgpr35
                                        ; implicit-def: $vgpr36
                                        ; implicit-def: $vgpr37
                                        ; implicit-def: $vgpr38
	s_branch .LBB1730_894
.LBB1730_893:                           ;   in Loop: Header=BB1730_894 Depth=2
	s_or_b32 exec_lo, exec_lo, s8
	s_addk_co_i32 s7, 0xf000
	s_cmp_ge_u32 s10, s51
	s_mov_b32 s42, s10
	s_cbranch_scc1 .LBB1730_962
.LBB1730_894:                           ;   Parent Loop BB1730_12 Depth=1
                                        ; =>  This Inner Loop Header: Depth=2
	s_add_co_i32 s10, s42, 0x1000
	s_mov_b32 s8, -1
	s_cmp_gt_u32 s10, s51
                                        ; implicit-def: $vgpr39
                                        ; implicit-def: $vgpr40
                                        ; implicit-def: $vgpr41
                                        ; implicit-def: $vgpr42
                                        ; implicit-def: $vgpr43
                                        ; implicit-def: $vgpr44
                                        ; implicit-def: $vgpr45
                                        ; implicit-def: $vgpr46
                                        ; implicit-def: $vgpr47
                                        ; implicit-def: $vgpr48
                                        ; implicit-def: $vgpr49
                                        ; implicit-def: $vgpr50
                                        ; implicit-def: $vgpr51
                                        ; implicit-def: $vgpr52
                                        ; implicit-def: $vgpr53
                                        ; implicit-def: $vgpr54
	s_cbranch_scc1 .LBB1730_896
; %bb.895:                              ;   in Loop: Header=BB1730_894 Depth=2
	v_lshl_add_u64 v[54:55], s[42:43], 1, v[16:17]
	s_mov_b32 s8, 0
	s_clause 0xf
	global_load_u16 v39, v[54:55], off
	global_load_u16 v40, v[54:55], off offset:512
	global_load_u16 v41, v[54:55], off offset:1024
	;; [unrolled: 1-line block ×15, first 2 shown]
.LBB1730_896:                           ;   in Loop: Header=BB1730_894 Depth=2
	s_and_not1_b32 vcc_lo, exec_lo, s8
	s_movk_i32 s8, 0x1000
	s_cbranch_vccnz .LBB1730_915
; %bb.897:                              ;   in Loop: Header=BB1730_894 Depth=2
	s_lshl_b64 s[8:9], s[42:43], 1
	s_mov_b32 s11, exec_lo
	s_add_nc_u64 s[8:9], s[36:37], s[8:9]
	s_wait_xcnt 0x0
	v_cmpx_gt_u32_e64 s7, v2
	s_cbranch_execnz .LBB1730_947
; %bb.898:                              ;   in Loop: Header=BB1730_894 Depth=2
	s_or_b32 exec_lo, exec_lo, s11
	s_delay_alu instid0(SALU_CYCLE_1)
	s_mov_b32 s11, exec_lo
	v_cmpx_gt_u32_e64 s7, v68
	s_cbranch_execnz .LBB1730_948
.LBB1730_899:                           ;   in Loop: Header=BB1730_894 Depth=2
	s_or_b32 exec_lo, exec_lo, s11
	s_delay_alu instid0(SALU_CYCLE_1)
	s_mov_b32 s11, exec_lo
	v_cmpx_gt_u32_e64 s7, v69
	s_cbranch_execnz .LBB1730_949
.LBB1730_900:                           ;   in Loop: Header=BB1730_894 Depth=2
	s_or_b32 exec_lo, exec_lo, s11
	s_delay_alu instid0(SALU_CYCLE_1)
	s_mov_b32 s11, exec_lo
	v_cmpx_gt_u32_e64 s7, v70
	s_cbranch_execnz .LBB1730_950
.LBB1730_901:                           ;   in Loop: Header=BB1730_894 Depth=2
	s_or_b32 exec_lo, exec_lo, s11
	s_delay_alu instid0(SALU_CYCLE_1)
	s_mov_b32 s11, exec_lo
	v_cmpx_gt_u32_e64 s7, v71
	s_cbranch_execnz .LBB1730_951
.LBB1730_902:                           ;   in Loop: Header=BB1730_894 Depth=2
	s_or_b32 exec_lo, exec_lo, s11
	s_delay_alu instid0(SALU_CYCLE_1)
	s_mov_b32 s11, exec_lo
	v_cmpx_gt_u32_e64 s7, v72
	s_cbranch_execnz .LBB1730_952
.LBB1730_903:                           ;   in Loop: Header=BB1730_894 Depth=2
	s_or_b32 exec_lo, exec_lo, s11
	s_delay_alu instid0(SALU_CYCLE_1)
	s_mov_b32 s11, exec_lo
	v_cmpx_gt_u32_e64 s7, v73
	s_cbranch_execnz .LBB1730_953
.LBB1730_904:                           ;   in Loop: Header=BB1730_894 Depth=2
	s_or_b32 exec_lo, exec_lo, s11
	s_delay_alu instid0(SALU_CYCLE_1)
	s_mov_b32 s11, exec_lo
	v_cmpx_gt_u32_e64 s7, v74
	s_cbranch_execnz .LBB1730_954
.LBB1730_905:                           ;   in Loop: Header=BB1730_894 Depth=2
	s_or_b32 exec_lo, exec_lo, s11
	s_delay_alu instid0(SALU_CYCLE_1)
	s_mov_b32 s11, exec_lo
	v_cmpx_gt_u32_e64 s7, v75
	s_cbranch_execnz .LBB1730_955
.LBB1730_906:                           ;   in Loop: Header=BB1730_894 Depth=2
	s_or_b32 exec_lo, exec_lo, s11
	s_delay_alu instid0(SALU_CYCLE_1)
	s_mov_b32 s11, exec_lo
	v_cmpx_gt_u32_e64 s7, v76
	s_cbranch_execnz .LBB1730_956
.LBB1730_907:                           ;   in Loop: Header=BB1730_894 Depth=2
	s_or_b32 exec_lo, exec_lo, s11
	s_delay_alu instid0(SALU_CYCLE_1)
	s_mov_b32 s11, exec_lo
	v_cmpx_gt_u32_e64 s7, v77
	s_cbranch_execnz .LBB1730_957
.LBB1730_908:                           ;   in Loop: Header=BB1730_894 Depth=2
	s_or_b32 exec_lo, exec_lo, s11
	s_delay_alu instid0(SALU_CYCLE_1)
	s_mov_b32 s11, exec_lo
	v_cmpx_gt_u32_e64 s7, v78
	s_cbranch_execnz .LBB1730_958
.LBB1730_909:                           ;   in Loop: Header=BB1730_894 Depth=2
	s_or_b32 exec_lo, exec_lo, s11
	s_delay_alu instid0(SALU_CYCLE_1)
	s_mov_b32 s11, exec_lo
	v_cmpx_gt_u32_e64 s7, v79
	s_cbranch_execnz .LBB1730_959
.LBB1730_910:                           ;   in Loop: Header=BB1730_894 Depth=2
	s_or_b32 exec_lo, exec_lo, s11
	s_delay_alu instid0(SALU_CYCLE_1)
	s_mov_b32 s11, exec_lo
	v_cmpx_gt_u32_e64 s7, v80
	s_cbranch_execnz .LBB1730_960
.LBB1730_911:                           ;   in Loop: Header=BB1730_894 Depth=2
	s_or_b32 exec_lo, exec_lo, s11
	s_delay_alu instid0(SALU_CYCLE_1)
	s_mov_b32 s11, exec_lo
	v_cmpx_gt_u32_e64 s7, v81
	s_cbranch_execnz .LBB1730_961
.LBB1730_912:                           ;   in Loop: Header=BB1730_894 Depth=2
	s_or_b32 exec_lo, exec_lo, s11
	s_delay_alu instid0(SALU_CYCLE_1)
	s_mov_b32 s11, exec_lo
	v_cmpx_gt_u32_e64 s7, v82
	s_cbranch_execz .LBB1730_914
.LBB1730_913:                           ;   in Loop: Header=BB1730_894 Depth=2
	global_load_u16 v23, v2, s[8:9] offset:7680 scale_offset
.LBB1730_914:                           ;   in Loop: Header=BB1730_894 Depth=2
	s_wait_xcnt 0x0
	s_or_b32 exec_lo, exec_lo, s11
	s_wait_loadcnt 0x0
	v_dual_mov_b32 v39, v38 :: v_dual_mov_b32 v40, v37
	v_dual_mov_b32 v41, v36 :: v_dual_mov_b32 v42, v35
	v_dual_mov_b32 v43, v34 :: v_dual_mov_b32 v44, v33
	v_dual_mov_b32 v45, v32 :: v_dual_mov_b32 v46, v31
	v_dual_mov_b32 v47, v30 :: v_dual_mov_b32 v48, v29
	v_dual_mov_b32 v49, v28 :: v_dual_mov_b32 v50, v27
	v_dual_mov_b32 v51, v26 :: v_dual_mov_b32 v52, v25
	v_dual_mov_b32 v53, v24 :: v_dual_mov_b32 v54, v23
	s_mov_b32 s8, s7
.LBB1730_915:                           ;   in Loop: Header=BB1730_894 Depth=2
	s_wait_loadcnt 0x0
	s_delay_alu instid0(VALU_DEP_1)
	v_dual_mov_b32 v23, v54 :: v_dual_mov_b32 v24, v53
	v_dual_mov_b32 v25, v52 :: v_dual_mov_b32 v26, v51
	;; [unrolled: 1-line block ×8, first 2 shown]
	s_mov_b32 s9, exec_lo
	s_wait_xcnt 0x0
	v_cmpx_gt_u32_e64 s8, v2
	s_cbranch_execnz .LBB1730_931
; %bb.916:                              ;   in Loop: Header=BB1730_894 Depth=2
	s_or_b32 exec_lo, exec_lo, s9
	s_delay_alu instid0(SALU_CYCLE_1)
	s_mov_b32 s9, exec_lo
	v_cmpx_gt_u32_e64 s8, v68
	s_cbranch_execnz .LBB1730_932
.LBB1730_917:                           ;   in Loop: Header=BB1730_894 Depth=2
	s_or_b32 exec_lo, exec_lo, s9
	s_delay_alu instid0(SALU_CYCLE_1)
	s_mov_b32 s9, exec_lo
	v_cmpx_gt_u32_e64 s8, v69
	s_cbranch_execnz .LBB1730_933
.LBB1730_918:                           ;   in Loop: Header=BB1730_894 Depth=2
	s_or_b32 exec_lo, exec_lo, s9
	s_delay_alu instid0(SALU_CYCLE_1)
	s_mov_b32 s9, exec_lo
	v_cmpx_gt_u32_e64 s8, v70
	s_cbranch_execnz .LBB1730_934
.LBB1730_919:                           ;   in Loop: Header=BB1730_894 Depth=2
	s_or_b32 exec_lo, exec_lo, s9
	s_delay_alu instid0(SALU_CYCLE_1)
	s_mov_b32 s9, exec_lo
	v_cmpx_gt_u32_e64 s8, v71
	s_cbranch_execnz .LBB1730_935
.LBB1730_920:                           ;   in Loop: Header=BB1730_894 Depth=2
	s_or_b32 exec_lo, exec_lo, s9
	s_delay_alu instid0(SALU_CYCLE_1)
	s_mov_b32 s9, exec_lo
	v_cmpx_gt_u32_e64 s8, v72
	s_cbranch_execnz .LBB1730_936
.LBB1730_921:                           ;   in Loop: Header=BB1730_894 Depth=2
	s_or_b32 exec_lo, exec_lo, s9
	s_delay_alu instid0(SALU_CYCLE_1)
	s_mov_b32 s9, exec_lo
	v_cmpx_gt_u32_e64 s8, v73
	s_cbranch_execnz .LBB1730_937
.LBB1730_922:                           ;   in Loop: Header=BB1730_894 Depth=2
	s_or_b32 exec_lo, exec_lo, s9
	s_delay_alu instid0(SALU_CYCLE_1)
	s_mov_b32 s9, exec_lo
	v_cmpx_gt_u32_e64 s8, v74
	s_cbranch_execnz .LBB1730_938
.LBB1730_923:                           ;   in Loop: Header=BB1730_894 Depth=2
	s_or_b32 exec_lo, exec_lo, s9
	s_delay_alu instid0(SALU_CYCLE_1)
	s_mov_b32 s9, exec_lo
	v_cmpx_gt_u32_e64 s8, v75
	s_cbranch_execnz .LBB1730_939
.LBB1730_924:                           ;   in Loop: Header=BB1730_894 Depth=2
	s_or_b32 exec_lo, exec_lo, s9
	s_delay_alu instid0(SALU_CYCLE_1)
	s_mov_b32 s9, exec_lo
	v_cmpx_gt_u32_e64 s8, v76
	s_cbranch_execnz .LBB1730_940
.LBB1730_925:                           ;   in Loop: Header=BB1730_894 Depth=2
	s_or_b32 exec_lo, exec_lo, s9
	s_delay_alu instid0(SALU_CYCLE_1)
	s_mov_b32 s9, exec_lo
	v_cmpx_gt_u32_e64 s8, v77
	s_cbranch_execnz .LBB1730_941
.LBB1730_926:                           ;   in Loop: Header=BB1730_894 Depth=2
	s_or_b32 exec_lo, exec_lo, s9
	s_delay_alu instid0(SALU_CYCLE_1)
	s_mov_b32 s9, exec_lo
	v_cmpx_gt_u32_e64 s8, v78
	s_cbranch_execnz .LBB1730_942
.LBB1730_927:                           ;   in Loop: Header=BB1730_894 Depth=2
	s_or_b32 exec_lo, exec_lo, s9
	s_delay_alu instid0(SALU_CYCLE_1)
	s_mov_b32 s9, exec_lo
	v_cmpx_gt_u32_e64 s8, v79
	s_cbranch_execnz .LBB1730_943
.LBB1730_928:                           ;   in Loop: Header=BB1730_894 Depth=2
	s_or_b32 exec_lo, exec_lo, s9
	s_delay_alu instid0(SALU_CYCLE_1)
	s_mov_b32 s9, exec_lo
	v_cmpx_gt_u32_e64 s8, v80
	s_cbranch_execnz .LBB1730_944
.LBB1730_929:                           ;   in Loop: Header=BB1730_894 Depth=2
	s_or_b32 exec_lo, exec_lo, s9
	s_delay_alu instid0(SALU_CYCLE_1)
	s_mov_b32 s9, exec_lo
	v_cmpx_gt_u32_e64 s8, v81
	s_cbranch_execnz .LBB1730_945
.LBB1730_930:                           ;   in Loop: Header=BB1730_894 Depth=2
	s_or_b32 exec_lo, exec_lo, s9
	v_cmp_gt_u32_e32 vcc_lo, s8, v82
	s_and_saveexec_b32 s8, vcc_lo
	s_cbranch_execz .LBB1730_893
	s_branch .LBB1730_946
.LBB1730_931:                           ;   in Loop: Header=BB1730_894 Depth=2
	v_cmp_gt_i16_e32 vcc_lo, 0, v38
	v_cndmask_b32_e64 v39, 0x7fff, 0, vcc_lo
	s_delay_alu instid0(VALU_DEP_1) | instskip(NEXT) | instid1(VALU_DEP_1)
	v_xor_b32_e32 v39, v39, v38
	v_cmp_ne_u16_e32 vcc_lo, 0x8000, v39
	v_cndmask_b32_e32 v39, 0x7fff, v39, vcc_lo
	s_delay_alu instid0(VALU_DEP_1) | instskip(NEXT) | instid1(VALU_DEP_1)
	v_and_b32_e32 v39, 0xffff, v39
	v_lshrrev_b32_e32 v39, s49, v39
	s_delay_alu instid0(VALU_DEP_1) | instskip(NEXT) | instid1(VALU_DEP_1)
	v_and_b32_e32 v39, s52, v39
	v_lshl_or_b32 v39, v39, 4, v83
	ds_add_u32 v39, v96
	s_or_b32 exec_lo, exec_lo, s9
	s_delay_alu instid0(SALU_CYCLE_1)
	s_mov_b32 s9, exec_lo
	v_cmpx_gt_u32_e64 s8, v68
	s_cbranch_execz .LBB1730_917
.LBB1730_932:                           ;   in Loop: Header=BB1730_894 Depth=2
	v_cmp_gt_i16_e32 vcc_lo, 0, v37
	v_cndmask_b32_e64 v39, 0x7fff, 0, vcc_lo
	s_delay_alu instid0(VALU_DEP_1) | instskip(NEXT) | instid1(VALU_DEP_1)
	v_xor_b32_e32 v39, v39, v37
	v_cmp_ne_u16_e32 vcc_lo, 0x8000, v39
	v_cndmask_b32_e32 v39, 0x7fff, v39, vcc_lo
	s_delay_alu instid0(VALU_DEP_1) | instskip(NEXT) | instid1(VALU_DEP_1)
	v_and_b32_e32 v39, 0xffff, v39
	v_lshrrev_b32_e32 v39, s49, v39
	s_delay_alu instid0(VALU_DEP_1) | instskip(NEXT) | instid1(VALU_DEP_1)
	v_and_b32_e32 v39, s52, v39
	v_lshl_or_b32 v39, v39, 4, v83
	ds_add_u32 v39, v96
	s_or_b32 exec_lo, exec_lo, s9
	s_delay_alu instid0(SALU_CYCLE_1)
	s_mov_b32 s9, exec_lo
	v_cmpx_gt_u32_e64 s8, v69
	s_cbranch_execz .LBB1730_918
.LBB1730_933:                           ;   in Loop: Header=BB1730_894 Depth=2
	v_cmp_gt_i16_e32 vcc_lo, 0, v36
	v_cndmask_b32_e64 v39, 0x7fff, 0, vcc_lo
	s_delay_alu instid0(VALU_DEP_1) | instskip(NEXT) | instid1(VALU_DEP_1)
	v_xor_b32_e32 v39, v39, v36
	v_cmp_ne_u16_e32 vcc_lo, 0x8000, v39
	v_cndmask_b32_e32 v39, 0x7fff, v39, vcc_lo
	s_delay_alu instid0(VALU_DEP_1) | instskip(NEXT) | instid1(VALU_DEP_1)
	v_and_b32_e32 v39, 0xffff, v39
	v_lshrrev_b32_e32 v39, s49, v39
	s_delay_alu instid0(VALU_DEP_1) | instskip(NEXT) | instid1(VALU_DEP_1)
	v_and_b32_e32 v39, s52, v39
	v_lshl_or_b32 v39, v39, 4, v83
	ds_add_u32 v39, v96
	s_or_b32 exec_lo, exec_lo, s9
	s_delay_alu instid0(SALU_CYCLE_1)
	s_mov_b32 s9, exec_lo
	v_cmpx_gt_u32_e64 s8, v70
	s_cbranch_execz .LBB1730_919
.LBB1730_934:                           ;   in Loop: Header=BB1730_894 Depth=2
	v_cmp_gt_i16_e32 vcc_lo, 0, v35
	v_cndmask_b32_e64 v39, 0x7fff, 0, vcc_lo
	s_delay_alu instid0(VALU_DEP_1) | instskip(NEXT) | instid1(VALU_DEP_1)
	v_xor_b32_e32 v39, v39, v35
	v_cmp_ne_u16_e32 vcc_lo, 0x8000, v39
	v_cndmask_b32_e32 v39, 0x7fff, v39, vcc_lo
	s_delay_alu instid0(VALU_DEP_1) | instskip(NEXT) | instid1(VALU_DEP_1)
	v_and_b32_e32 v39, 0xffff, v39
	v_lshrrev_b32_e32 v39, s49, v39
	s_delay_alu instid0(VALU_DEP_1) | instskip(NEXT) | instid1(VALU_DEP_1)
	v_and_b32_e32 v39, s52, v39
	v_lshl_or_b32 v39, v39, 4, v83
	ds_add_u32 v39, v96
	s_or_b32 exec_lo, exec_lo, s9
	s_delay_alu instid0(SALU_CYCLE_1)
	s_mov_b32 s9, exec_lo
	v_cmpx_gt_u32_e64 s8, v71
	s_cbranch_execz .LBB1730_920
.LBB1730_935:                           ;   in Loop: Header=BB1730_894 Depth=2
	v_cmp_gt_i16_e32 vcc_lo, 0, v34
	v_cndmask_b32_e64 v39, 0x7fff, 0, vcc_lo
	s_delay_alu instid0(VALU_DEP_1) | instskip(NEXT) | instid1(VALU_DEP_1)
	v_xor_b32_e32 v39, v39, v34
	v_cmp_ne_u16_e32 vcc_lo, 0x8000, v39
	v_cndmask_b32_e32 v39, 0x7fff, v39, vcc_lo
	s_delay_alu instid0(VALU_DEP_1) | instskip(NEXT) | instid1(VALU_DEP_1)
	v_and_b32_e32 v39, 0xffff, v39
	v_lshrrev_b32_e32 v39, s49, v39
	s_delay_alu instid0(VALU_DEP_1) | instskip(NEXT) | instid1(VALU_DEP_1)
	v_and_b32_e32 v39, s52, v39
	v_lshl_or_b32 v39, v39, 4, v83
	ds_add_u32 v39, v96
	s_or_b32 exec_lo, exec_lo, s9
	s_delay_alu instid0(SALU_CYCLE_1)
	s_mov_b32 s9, exec_lo
	v_cmpx_gt_u32_e64 s8, v72
	s_cbranch_execz .LBB1730_921
.LBB1730_936:                           ;   in Loop: Header=BB1730_894 Depth=2
	v_cmp_gt_i16_e32 vcc_lo, 0, v33
	v_cndmask_b32_e64 v39, 0x7fff, 0, vcc_lo
	s_delay_alu instid0(VALU_DEP_1) | instskip(NEXT) | instid1(VALU_DEP_1)
	v_xor_b32_e32 v39, v39, v33
	v_cmp_ne_u16_e32 vcc_lo, 0x8000, v39
	v_cndmask_b32_e32 v39, 0x7fff, v39, vcc_lo
	s_delay_alu instid0(VALU_DEP_1) | instskip(NEXT) | instid1(VALU_DEP_1)
	v_and_b32_e32 v39, 0xffff, v39
	v_lshrrev_b32_e32 v39, s49, v39
	s_delay_alu instid0(VALU_DEP_1) | instskip(NEXT) | instid1(VALU_DEP_1)
	v_and_b32_e32 v39, s52, v39
	v_lshl_or_b32 v39, v39, 4, v83
	ds_add_u32 v39, v96
	s_or_b32 exec_lo, exec_lo, s9
	s_delay_alu instid0(SALU_CYCLE_1)
	s_mov_b32 s9, exec_lo
	v_cmpx_gt_u32_e64 s8, v73
	s_cbranch_execz .LBB1730_922
.LBB1730_937:                           ;   in Loop: Header=BB1730_894 Depth=2
	v_cmp_gt_i16_e32 vcc_lo, 0, v32
	v_cndmask_b32_e64 v39, 0x7fff, 0, vcc_lo
	s_delay_alu instid0(VALU_DEP_1) | instskip(NEXT) | instid1(VALU_DEP_1)
	v_xor_b32_e32 v39, v39, v32
	v_cmp_ne_u16_e32 vcc_lo, 0x8000, v39
	v_cndmask_b32_e32 v39, 0x7fff, v39, vcc_lo
	s_delay_alu instid0(VALU_DEP_1) | instskip(NEXT) | instid1(VALU_DEP_1)
	v_and_b32_e32 v39, 0xffff, v39
	v_lshrrev_b32_e32 v39, s49, v39
	s_delay_alu instid0(VALU_DEP_1) | instskip(NEXT) | instid1(VALU_DEP_1)
	v_and_b32_e32 v39, s52, v39
	v_lshl_or_b32 v39, v39, 4, v83
	ds_add_u32 v39, v96
	s_or_b32 exec_lo, exec_lo, s9
	s_delay_alu instid0(SALU_CYCLE_1)
	s_mov_b32 s9, exec_lo
	v_cmpx_gt_u32_e64 s8, v74
	s_cbranch_execz .LBB1730_923
.LBB1730_938:                           ;   in Loop: Header=BB1730_894 Depth=2
	v_cmp_gt_i16_e32 vcc_lo, 0, v31
	v_cndmask_b32_e64 v39, 0x7fff, 0, vcc_lo
	s_delay_alu instid0(VALU_DEP_1) | instskip(NEXT) | instid1(VALU_DEP_1)
	v_xor_b32_e32 v39, v39, v31
	v_cmp_ne_u16_e32 vcc_lo, 0x8000, v39
	v_cndmask_b32_e32 v39, 0x7fff, v39, vcc_lo
	s_delay_alu instid0(VALU_DEP_1) | instskip(NEXT) | instid1(VALU_DEP_1)
	v_and_b32_e32 v39, 0xffff, v39
	v_lshrrev_b32_e32 v39, s49, v39
	s_delay_alu instid0(VALU_DEP_1) | instskip(NEXT) | instid1(VALU_DEP_1)
	v_and_b32_e32 v39, s52, v39
	v_lshl_or_b32 v39, v39, 4, v83
	ds_add_u32 v39, v96
	s_or_b32 exec_lo, exec_lo, s9
	s_delay_alu instid0(SALU_CYCLE_1)
	s_mov_b32 s9, exec_lo
	v_cmpx_gt_u32_e64 s8, v75
	s_cbranch_execz .LBB1730_924
.LBB1730_939:                           ;   in Loop: Header=BB1730_894 Depth=2
	v_cmp_gt_i16_e32 vcc_lo, 0, v30
	v_cndmask_b32_e64 v39, 0x7fff, 0, vcc_lo
	s_delay_alu instid0(VALU_DEP_1) | instskip(NEXT) | instid1(VALU_DEP_1)
	v_xor_b32_e32 v39, v39, v30
	v_cmp_ne_u16_e32 vcc_lo, 0x8000, v39
	v_cndmask_b32_e32 v39, 0x7fff, v39, vcc_lo
	s_delay_alu instid0(VALU_DEP_1) | instskip(NEXT) | instid1(VALU_DEP_1)
	v_and_b32_e32 v39, 0xffff, v39
	v_lshrrev_b32_e32 v39, s49, v39
	s_delay_alu instid0(VALU_DEP_1) | instskip(NEXT) | instid1(VALU_DEP_1)
	v_and_b32_e32 v39, s52, v39
	v_lshl_or_b32 v39, v39, 4, v83
	ds_add_u32 v39, v96
	s_or_b32 exec_lo, exec_lo, s9
	s_delay_alu instid0(SALU_CYCLE_1)
	s_mov_b32 s9, exec_lo
	v_cmpx_gt_u32_e64 s8, v76
	s_cbranch_execz .LBB1730_925
.LBB1730_940:                           ;   in Loop: Header=BB1730_894 Depth=2
	v_cmp_gt_i16_e32 vcc_lo, 0, v29
	v_cndmask_b32_e64 v39, 0x7fff, 0, vcc_lo
	s_delay_alu instid0(VALU_DEP_1) | instskip(NEXT) | instid1(VALU_DEP_1)
	v_xor_b32_e32 v39, v39, v29
	v_cmp_ne_u16_e32 vcc_lo, 0x8000, v39
	v_cndmask_b32_e32 v39, 0x7fff, v39, vcc_lo
	s_delay_alu instid0(VALU_DEP_1) | instskip(NEXT) | instid1(VALU_DEP_1)
	v_and_b32_e32 v39, 0xffff, v39
	v_lshrrev_b32_e32 v39, s49, v39
	s_delay_alu instid0(VALU_DEP_1) | instskip(NEXT) | instid1(VALU_DEP_1)
	v_and_b32_e32 v39, s52, v39
	v_lshl_or_b32 v39, v39, 4, v83
	ds_add_u32 v39, v96
	s_or_b32 exec_lo, exec_lo, s9
	s_delay_alu instid0(SALU_CYCLE_1)
	s_mov_b32 s9, exec_lo
	v_cmpx_gt_u32_e64 s8, v77
	s_cbranch_execz .LBB1730_926
.LBB1730_941:                           ;   in Loop: Header=BB1730_894 Depth=2
	v_cmp_gt_i16_e32 vcc_lo, 0, v28
	v_cndmask_b32_e64 v39, 0x7fff, 0, vcc_lo
	s_delay_alu instid0(VALU_DEP_1) | instskip(NEXT) | instid1(VALU_DEP_1)
	v_xor_b32_e32 v39, v39, v28
	v_cmp_ne_u16_e32 vcc_lo, 0x8000, v39
	v_cndmask_b32_e32 v39, 0x7fff, v39, vcc_lo
	s_delay_alu instid0(VALU_DEP_1) | instskip(NEXT) | instid1(VALU_DEP_1)
	v_and_b32_e32 v39, 0xffff, v39
	v_lshrrev_b32_e32 v39, s49, v39
	s_delay_alu instid0(VALU_DEP_1) | instskip(NEXT) | instid1(VALU_DEP_1)
	v_and_b32_e32 v39, s52, v39
	v_lshl_or_b32 v39, v39, 4, v83
	ds_add_u32 v39, v96
	s_or_b32 exec_lo, exec_lo, s9
	s_delay_alu instid0(SALU_CYCLE_1)
	s_mov_b32 s9, exec_lo
	v_cmpx_gt_u32_e64 s8, v78
	s_cbranch_execz .LBB1730_927
.LBB1730_942:                           ;   in Loop: Header=BB1730_894 Depth=2
	v_cmp_gt_i16_e32 vcc_lo, 0, v27
	v_cndmask_b32_e64 v39, 0x7fff, 0, vcc_lo
	s_delay_alu instid0(VALU_DEP_1) | instskip(NEXT) | instid1(VALU_DEP_1)
	v_xor_b32_e32 v39, v39, v27
	v_cmp_ne_u16_e32 vcc_lo, 0x8000, v39
	v_cndmask_b32_e32 v39, 0x7fff, v39, vcc_lo
	s_delay_alu instid0(VALU_DEP_1) | instskip(NEXT) | instid1(VALU_DEP_1)
	v_and_b32_e32 v39, 0xffff, v39
	v_lshrrev_b32_e32 v39, s49, v39
	s_delay_alu instid0(VALU_DEP_1) | instskip(NEXT) | instid1(VALU_DEP_1)
	v_and_b32_e32 v39, s52, v39
	v_lshl_or_b32 v39, v39, 4, v83
	ds_add_u32 v39, v96
	s_or_b32 exec_lo, exec_lo, s9
	s_delay_alu instid0(SALU_CYCLE_1)
	s_mov_b32 s9, exec_lo
	v_cmpx_gt_u32_e64 s8, v79
	s_cbranch_execz .LBB1730_928
.LBB1730_943:                           ;   in Loop: Header=BB1730_894 Depth=2
	v_cmp_gt_i16_e32 vcc_lo, 0, v26
	v_cndmask_b32_e64 v39, 0x7fff, 0, vcc_lo
	s_delay_alu instid0(VALU_DEP_1) | instskip(NEXT) | instid1(VALU_DEP_1)
	v_xor_b32_e32 v39, v39, v26
	v_cmp_ne_u16_e32 vcc_lo, 0x8000, v39
	v_cndmask_b32_e32 v39, 0x7fff, v39, vcc_lo
	s_delay_alu instid0(VALU_DEP_1) | instskip(NEXT) | instid1(VALU_DEP_1)
	v_and_b32_e32 v39, 0xffff, v39
	v_lshrrev_b32_e32 v39, s49, v39
	s_delay_alu instid0(VALU_DEP_1) | instskip(NEXT) | instid1(VALU_DEP_1)
	v_and_b32_e32 v39, s52, v39
	v_lshl_or_b32 v39, v39, 4, v83
	ds_add_u32 v39, v96
	s_or_b32 exec_lo, exec_lo, s9
	s_delay_alu instid0(SALU_CYCLE_1)
	s_mov_b32 s9, exec_lo
	v_cmpx_gt_u32_e64 s8, v80
	s_cbranch_execz .LBB1730_929
.LBB1730_944:                           ;   in Loop: Header=BB1730_894 Depth=2
	v_cmp_gt_i16_e32 vcc_lo, 0, v25
	v_cndmask_b32_e64 v39, 0x7fff, 0, vcc_lo
	s_delay_alu instid0(VALU_DEP_1) | instskip(NEXT) | instid1(VALU_DEP_1)
	v_xor_b32_e32 v39, v39, v25
	v_cmp_ne_u16_e32 vcc_lo, 0x8000, v39
	v_cndmask_b32_e32 v39, 0x7fff, v39, vcc_lo
	s_delay_alu instid0(VALU_DEP_1) | instskip(NEXT) | instid1(VALU_DEP_1)
	v_and_b32_e32 v39, 0xffff, v39
	v_lshrrev_b32_e32 v39, s49, v39
	s_delay_alu instid0(VALU_DEP_1) | instskip(NEXT) | instid1(VALU_DEP_1)
	v_and_b32_e32 v39, s52, v39
	v_lshl_or_b32 v39, v39, 4, v83
	ds_add_u32 v39, v96
	s_or_b32 exec_lo, exec_lo, s9
	s_delay_alu instid0(SALU_CYCLE_1)
	s_mov_b32 s9, exec_lo
	v_cmpx_gt_u32_e64 s8, v81
	s_cbranch_execz .LBB1730_930
.LBB1730_945:                           ;   in Loop: Header=BB1730_894 Depth=2
	v_cmp_gt_i16_e32 vcc_lo, 0, v24
	v_cndmask_b32_e64 v39, 0x7fff, 0, vcc_lo
	s_delay_alu instid0(VALU_DEP_1) | instskip(NEXT) | instid1(VALU_DEP_1)
	v_xor_b32_e32 v39, v39, v24
	v_cmp_ne_u16_e32 vcc_lo, 0x8000, v39
	v_cndmask_b32_e32 v39, 0x7fff, v39, vcc_lo
	s_delay_alu instid0(VALU_DEP_1) | instskip(NEXT) | instid1(VALU_DEP_1)
	v_and_b32_e32 v39, 0xffff, v39
	v_lshrrev_b32_e32 v39, s49, v39
	s_delay_alu instid0(VALU_DEP_1) | instskip(NEXT) | instid1(VALU_DEP_1)
	v_and_b32_e32 v39, s52, v39
	v_lshl_or_b32 v39, v39, 4, v83
	ds_add_u32 v39, v96
	s_or_b32 exec_lo, exec_lo, s9
	v_cmp_gt_u32_e32 vcc_lo, s8, v82
	s_and_saveexec_b32 s8, vcc_lo
	s_cbranch_execz .LBB1730_893
.LBB1730_946:                           ;   in Loop: Header=BB1730_894 Depth=2
	v_cmp_gt_i16_e32 vcc_lo, 0, v23
	v_cndmask_b32_e64 v39, 0x7fff, 0, vcc_lo
	s_delay_alu instid0(VALU_DEP_1) | instskip(NEXT) | instid1(VALU_DEP_1)
	v_xor_b32_e32 v39, v39, v23
	v_cmp_ne_u16_e32 vcc_lo, 0x8000, v39
	v_cndmask_b32_e32 v39, 0x7fff, v39, vcc_lo
	s_delay_alu instid0(VALU_DEP_1) | instskip(NEXT) | instid1(VALU_DEP_1)
	v_and_b32_e32 v39, 0xffff, v39
	v_lshrrev_b32_e32 v39, s49, v39
	s_delay_alu instid0(VALU_DEP_1) | instskip(NEXT) | instid1(VALU_DEP_1)
	v_and_b32_e32 v39, s52, v39
	v_lshl_or_b32 v39, v39, 4, v83
	ds_add_u32 v39, v96
	s_branch .LBB1730_893
.LBB1730_947:                           ;   in Loop: Header=BB1730_894 Depth=2
	global_load_u16 v38, v2, s[8:9] scale_offset
	s_wait_xcnt 0x0
	s_or_b32 exec_lo, exec_lo, s11
	s_delay_alu instid0(SALU_CYCLE_1)
	s_mov_b32 s11, exec_lo
	v_cmpx_gt_u32_e64 s7, v68
	s_cbranch_execz .LBB1730_899
.LBB1730_948:                           ;   in Loop: Header=BB1730_894 Depth=2
	global_load_u16 v37, v2, s[8:9] offset:512 scale_offset
	s_wait_xcnt 0x0
	s_or_b32 exec_lo, exec_lo, s11
	s_delay_alu instid0(SALU_CYCLE_1)
	s_mov_b32 s11, exec_lo
	v_cmpx_gt_u32_e64 s7, v69
	s_cbranch_execz .LBB1730_900
.LBB1730_949:                           ;   in Loop: Header=BB1730_894 Depth=2
	global_load_u16 v36, v2, s[8:9] offset:1024 scale_offset
	s_wait_xcnt 0x0
	s_or_b32 exec_lo, exec_lo, s11
	s_delay_alu instid0(SALU_CYCLE_1)
	s_mov_b32 s11, exec_lo
	v_cmpx_gt_u32_e64 s7, v70
	s_cbranch_execz .LBB1730_901
.LBB1730_950:                           ;   in Loop: Header=BB1730_894 Depth=2
	global_load_u16 v35, v2, s[8:9] offset:1536 scale_offset
	s_wait_xcnt 0x0
	s_or_b32 exec_lo, exec_lo, s11
	s_delay_alu instid0(SALU_CYCLE_1)
	s_mov_b32 s11, exec_lo
	v_cmpx_gt_u32_e64 s7, v71
	s_cbranch_execz .LBB1730_902
.LBB1730_951:                           ;   in Loop: Header=BB1730_894 Depth=2
	global_load_u16 v34, v2, s[8:9] offset:2048 scale_offset
	s_wait_xcnt 0x0
	s_or_b32 exec_lo, exec_lo, s11
	s_delay_alu instid0(SALU_CYCLE_1)
	s_mov_b32 s11, exec_lo
	v_cmpx_gt_u32_e64 s7, v72
	s_cbranch_execz .LBB1730_903
.LBB1730_952:                           ;   in Loop: Header=BB1730_894 Depth=2
	global_load_u16 v33, v2, s[8:9] offset:2560 scale_offset
	s_wait_xcnt 0x0
	s_or_b32 exec_lo, exec_lo, s11
	s_delay_alu instid0(SALU_CYCLE_1)
	s_mov_b32 s11, exec_lo
	v_cmpx_gt_u32_e64 s7, v73
	s_cbranch_execz .LBB1730_904
.LBB1730_953:                           ;   in Loop: Header=BB1730_894 Depth=2
	global_load_u16 v32, v2, s[8:9] offset:3072 scale_offset
	s_wait_xcnt 0x0
	s_or_b32 exec_lo, exec_lo, s11
	s_delay_alu instid0(SALU_CYCLE_1)
	s_mov_b32 s11, exec_lo
	v_cmpx_gt_u32_e64 s7, v74
	s_cbranch_execz .LBB1730_905
.LBB1730_954:                           ;   in Loop: Header=BB1730_894 Depth=2
	global_load_u16 v31, v2, s[8:9] offset:3584 scale_offset
	s_wait_xcnt 0x0
	s_or_b32 exec_lo, exec_lo, s11
	s_delay_alu instid0(SALU_CYCLE_1)
	s_mov_b32 s11, exec_lo
	v_cmpx_gt_u32_e64 s7, v75
	s_cbranch_execz .LBB1730_906
.LBB1730_955:                           ;   in Loop: Header=BB1730_894 Depth=2
	global_load_u16 v30, v2, s[8:9] offset:4096 scale_offset
	s_wait_xcnt 0x0
	s_or_b32 exec_lo, exec_lo, s11
	s_delay_alu instid0(SALU_CYCLE_1)
	s_mov_b32 s11, exec_lo
	v_cmpx_gt_u32_e64 s7, v76
	s_cbranch_execz .LBB1730_907
.LBB1730_956:                           ;   in Loop: Header=BB1730_894 Depth=2
	global_load_u16 v29, v2, s[8:9] offset:4608 scale_offset
	s_wait_xcnt 0x0
	s_or_b32 exec_lo, exec_lo, s11
	s_delay_alu instid0(SALU_CYCLE_1)
	s_mov_b32 s11, exec_lo
	v_cmpx_gt_u32_e64 s7, v77
	s_cbranch_execz .LBB1730_908
.LBB1730_957:                           ;   in Loop: Header=BB1730_894 Depth=2
	global_load_u16 v28, v2, s[8:9] offset:5120 scale_offset
	s_wait_xcnt 0x0
	s_or_b32 exec_lo, exec_lo, s11
	s_delay_alu instid0(SALU_CYCLE_1)
	s_mov_b32 s11, exec_lo
	v_cmpx_gt_u32_e64 s7, v78
	s_cbranch_execz .LBB1730_909
.LBB1730_958:                           ;   in Loop: Header=BB1730_894 Depth=2
	global_load_u16 v27, v2, s[8:9] offset:5632 scale_offset
	s_wait_xcnt 0x0
	s_or_b32 exec_lo, exec_lo, s11
	s_delay_alu instid0(SALU_CYCLE_1)
	s_mov_b32 s11, exec_lo
	v_cmpx_gt_u32_e64 s7, v79
	s_cbranch_execz .LBB1730_910
.LBB1730_959:                           ;   in Loop: Header=BB1730_894 Depth=2
	global_load_u16 v26, v2, s[8:9] offset:6144 scale_offset
	s_wait_xcnt 0x0
	s_or_b32 exec_lo, exec_lo, s11
	s_delay_alu instid0(SALU_CYCLE_1)
	s_mov_b32 s11, exec_lo
	v_cmpx_gt_u32_e64 s7, v80
	s_cbranch_execz .LBB1730_911
.LBB1730_960:                           ;   in Loop: Header=BB1730_894 Depth=2
	global_load_u16 v25, v2, s[8:9] offset:6656 scale_offset
	s_wait_xcnt 0x0
	s_or_b32 exec_lo, exec_lo, s11
	s_delay_alu instid0(SALU_CYCLE_1)
	s_mov_b32 s11, exec_lo
	v_cmpx_gt_u32_e64 s7, v81
	s_cbranch_execz .LBB1730_912
.LBB1730_961:                           ;   in Loop: Header=BB1730_894 Depth=2
	global_load_u16 v24, v2, s[8:9] offset:7168 scale_offset
	s_wait_xcnt 0x0
	s_or_b32 exec_lo, exec_lo, s11
	s_delay_alu instid0(SALU_CYCLE_1)
	s_mov_b32 s11, exec_lo
	v_cmpx_gt_u32_e64 s7, v82
	s_cbranch_execnz .LBB1730_913
	s_branch .LBB1730_914
.LBB1730_962:                           ;   in Loop: Header=BB1730_12 Depth=1
	v_mov_b32_e32 v23, 0
	s_wait_dscnt 0x0
	s_barrier_signal -1
	s_barrier_wait -1
	s_and_saveexec_b32 s7, s0
	s_cbranch_execz .LBB1730_964
; %bb.963:                              ;   in Loop: Header=BB1730_12 Depth=1
	ds_load_2addr_b64 v[24:27], v85 offset1:1
	s_wait_dscnt 0x0
	v_add_nc_u32_e32 v23, v25, v24
	s_delay_alu instid0(VALU_DEP_1)
	v_add3_u32 v23, v23, v26, v27
.LBB1730_964:                           ;   in Loop: Header=BB1730_12 Depth=1
	s_or_b32 exec_lo, exec_lo, s7
	s_delay_alu instid0(VALU_DEP_1)
	v_mov_b32_dpp v24, v23 row_shr:1 row_mask:0xf bank_mask:0xf
	v_cmp_eq_u32_e64 s7, 0, v97
	v_cmp_lt_u32_e64 s8, 1, v97
	v_cmp_lt_u32_e64 s9, 3, v97
	;; [unrolled: 1-line block ×3, first 2 shown]
	v_cmp_eq_u32_e64 s11, 0, v99
	v_cndmask_b32_e64 v24, v24, 0, s7
	s_delay_alu instid0(VALU_DEP_1) | instskip(NEXT) | instid1(VALU_DEP_1)
	v_add_nc_u32_e32 v23, v24, v23
	v_mov_b32_dpp v24, v23 row_shr:2 row_mask:0xf bank_mask:0xf
	s_delay_alu instid0(VALU_DEP_1) | instskip(NEXT) | instid1(VALU_DEP_1)
	v_cndmask_b32_e64 v24, 0, v24, s8
	v_add_nc_u32_e32 v23, v23, v24
	s_delay_alu instid0(VALU_DEP_1) | instskip(NEXT) | instid1(VALU_DEP_1)
	v_mov_b32_dpp v24, v23 row_shr:4 row_mask:0xf bank_mask:0xf
	v_cndmask_b32_e64 v24, 0, v24, s9
	s_delay_alu instid0(VALU_DEP_1) | instskip(NEXT) | instid1(VALU_DEP_1)
	v_add_nc_u32_e32 v23, v23, v24
	v_mov_b32_dpp v24, v23 row_shr:8 row_mask:0xf bank_mask:0xf
	s_delay_alu instid0(VALU_DEP_1) | instskip(NEXT) | instid1(VALU_DEP_1)
	v_cndmask_b32_e64 v24, 0, v24, s10
	v_add_nc_u32_e32 v23, v23, v24
	ds_swizzle_b32 v24, v23 offset:swizzle(BROADCAST,32,15)
	s_wait_dscnt 0x0
	v_and_b32_e32 v24, v98, v24
	s_delay_alu instid0(VALU_DEP_1)
	v_add_nc_u32_e32 v23, v23, v24
	s_and_saveexec_b32 s12, s1
; %bb.965:                              ;   in Loop: Header=BB1730_12 Depth=1
	ds_store_b32 v86, v23
; %bb.966:                              ;   in Loop: Header=BB1730_12 Depth=1
	s_or_b32 exec_lo, exec_lo, s12
	s_wait_dscnt 0x0
	s_barrier_signal -1
	s_barrier_wait -1
	s_and_saveexec_b32 s12, s4
	s_cbranch_execz .LBB1730_968
; %bb.967:                              ;   in Loop: Header=BB1730_12 Depth=1
	ds_load_b32 v24, v87
	v_cmp_ne_u32_e32 vcc_lo, 0, v101
	s_wait_dscnt 0x0
	v_mov_b32_dpp v25, v24 row_shr:1 row_mask:0xf bank_mask:0xf
	s_delay_alu instid0(VALU_DEP_1) | instskip(SKIP_1) | instid1(VALU_DEP_2)
	v_cndmask_b32_e32 v25, 0, v25, vcc_lo
	v_cmp_lt_u32_e32 vcc_lo, 1, v101
	v_add_nc_u32_e32 v24, v25, v24
	s_delay_alu instid0(VALU_DEP_1) | instskip(NEXT) | instid1(VALU_DEP_1)
	v_mov_b32_dpp v25, v24 row_shr:2 row_mask:0xf bank_mask:0xf
	v_cndmask_b32_e32 v25, 0, v25, vcc_lo
	v_cmp_lt_u32_e32 vcc_lo, 3, v101
	s_delay_alu instid0(VALU_DEP_2) | instskip(NEXT) | instid1(VALU_DEP_1)
	v_add_nc_u32_e32 v24, v24, v25
	v_mov_b32_dpp v25, v24 row_shr:4 row_mask:0xf bank_mask:0xf
	s_delay_alu instid0(VALU_DEP_1) | instskip(NEXT) | instid1(VALU_DEP_1)
	v_cndmask_b32_e32 v25, 0, v25, vcc_lo
	v_add_nc_u32_e32 v24, v24, v25
	ds_store_b32 v87, v24
.LBB1730_968:                           ;   in Loop: Header=BB1730_12 Depth=1
	s_or_b32 exec_lo, exec_lo, s12
	v_mov_b32_e32 v24, 0
	s_wait_dscnt 0x0
	s_barrier_signal -1
	s_barrier_wait -1
	s_and_saveexec_b32 s12, s5
; %bb.969:                              ;   in Loop: Header=BB1730_12 Depth=1
	ds_load_b32 v24, v88
; %bb.970:                              ;   in Loop: Header=BB1730_12 Depth=1
	s_or_b32 exec_lo, exec_lo, s12
	v_cmp_gt_i32_e32 vcc_lo, 0, v102
	s_wait_dscnt 0x0
	s_barrier_signal -1
	s_barrier_wait -1
	v_cndmask_b32_e32 v25, v102, v95, vcc_lo
	s_delay_alu instid0(VALU_DEP_1)
	v_dual_add_nc_u32 v23, v24, v23 :: v_dual_lshlrev_b32 v122, 2, v25
	ds_bpermute_b32 v23, v122, v23
	s_and_saveexec_b32 s12, s0
	s_cbranch_execz .LBB1730_972
; %bb.971:                              ;   in Loop: Header=BB1730_12 Depth=1
	s_wait_dscnt 0x0
	v_cndmask_b32_e64 v23, v23, v24, s6
	s_delay_alu instid0(VALU_DEP_1)
	v_add_nc_u32_e32 v23, s54, v23
	ds_store_b32 v3, v23
.LBB1730_972:                           ;   in Loop: Header=BB1730_12 Depth=1
	s_or_b32 exec_lo, exec_lo, s12
	s_load_b64 s[12:13], s[34:35], 0x0
	s_mov_b32 s53, s56
                                        ; implicit-def: $vgpr30_vgpr31
                                        ; implicit-def: $vgpr32_vgpr33
                                        ; implicit-def: $vgpr34_vgpr35
                                        ; implicit-def: $vgpr36_vgpr37
                                        ; implicit-def: $vgpr38_vgpr39
                                        ; implicit-def: $vgpr40_vgpr41
                                        ; implicit-def: $vgpr42_vgpr43
                                        ; implicit-def: $vgpr44_vgpr45
                                        ; implicit-def: $vgpr46_vgpr47
                                        ; implicit-def: $vgpr48_vgpr49
                                        ; implicit-def: $vgpr50_vgpr51
                                        ; implicit-def: $vgpr52_vgpr53
                                        ; implicit-def: $vgpr54_vgpr55
                                        ; implicit-def: $vgpr56_vgpr57
                                        ; implicit-def: $vgpr58_vgpr59
                                        ; implicit-def: $vgpr123
                                        ; implicit-def: $vgpr124
                                        ; implicit-def: $vgpr125
                                        ; implicit-def: $vgpr126
                                        ; implicit-def: $vgpr127
                                        ; implicit-def: $vgpr128
                                        ; implicit-def: $vgpr129
                                        ; implicit-def: $vgpr130
                                        ; implicit-def: $vgpr131
                                        ; implicit-def: $vgpr132
                                        ; implicit-def: $vgpr133
                                        ; implicit-def: $vgpr134
                                        ; implicit-def: $vgpr135
                                        ; implicit-def: $vgpr136
                                        ; implicit-def: $vgpr137
                                        ; implicit-def: $vgpr138
	s_wait_kmcnt 0x0
	s_cmp_lt_u32 s33, s12
	s_cselect_b32 s42, 12, 18
	s_cmp_lt_u32 s31, s13
	s_mov_b32 s13, s43
	s_cselect_b32 s12, 14, 20
	s_delay_alu instid0(SALU_CYCLE_1)
	s_add_nc_u64 s[12:13], s[34:35], s[12:13]
	s_load_u16 s14, s[12:13], 0x0
	s_wait_xcnt 0x0
	s_add_nc_u64 s[12:13], s[34:35], s[42:43]
	s_mov_b32 s42, s54
	s_load_u16 s12, s[12:13], 0x0
	s_wait_xcnt 0x0
	v_cmp_lt_u32_e64 s13, 1, v101
	s_wait_dscnt 0x0
	s_wait_kmcnt 0x0
	v_mad_u32_u24 v23, v89, s14, v90
	v_cmp_lt_u32_e64 s14, 3, v101
	s_delay_alu instid0(VALU_DEP_2) | instskip(SKIP_2) | instid1(VALU_DEP_3)
	v_mad_u32 v24, v23, s12, v2
	v_mov_b32_e32 v23, v5
	v_cmp_eq_u32_e64 s12, 0, v101
	v_lshrrev_b32_e32 v28, 3, v24
	v_add_nc_u64_e32 v[24:25], v[18:19], v[4:5]
	s_delay_alu instid0(VALU_DEP_4) | instskip(NEXT) | instid1(VALU_DEP_3)
	v_add_nc_u64_e32 v[26:27], v[20:21], v[22:23]
	v_and_b32_e32 v23, 0x1ffffffc, v28
                                        ; implicit-def: $vgpr28_vgpr29
	s_branch .LBB1730_974
.LBB1730_973:                           ;   in Loop: Header=BB1730_974 Depth=2
	s_or_b32 exec_lo, exec_lo, s15
	s_addk_co_i32 s53, 0xf000
	s_cmp_lt_u32 s57, s51
	s_mov_b32 s42, s57
	s_cbranch_scc0 .LBB1730_10
.LBB1730_974:                           ;   Parent Loop BB1730_12 Depth=1
                                        ; =>  This Inner Loop Header: Depth=2
	s_add_co_i32 s57, s42, 0x1000
	s_delay_alu instid0(SALU_CYCLE_1)
	s_cmp_gt_u32 s57, s51
	s_cbranch_scc1 .LBB1730_976
; %bb.975:                              ;   in Loop: Header=BB1730_974 Depth=2
	s_delay_alu instid0(VALU_DEP_2)
	v_lshl_add_u64 v[60:61], s[42:43], 1, v[26:27]
	s_mov_b32 s15, -1
	s_clause 0xe
	global_load_u16 v140, v[60:61], off
	global_load_u16 v141, v[60:61], off offset:64
	global_load_u16 v144, v[60:61], off offset:128
	;; [unrolled: 1-line block ×14, first 2 shown]
	s_movk_i32 s16, 0x1000
	s_cbranch_execz .LBB1730_977
	s_branch .LBB1730_1008
.LBB1730_976:                           ;   in Loop: Header=BB1730_974 Depth=2
	s_mov_b32 s15, 0
                                        ; implicit-def: $vgpr140
                                        ; implicit-def: $vgpr141
                                        ; implicit-def: $vgpr144
                                        ; implicit-def: $vgpr148
                                        ; implicit-def: $vgpr152
                                        ; implicit-def: $vgpr156
                                        ; implicit-def: $vgpr160
                                        ; implicit-def: $vgpr164
                                        ; implicit-def: $vgpr168
                                        ; implicit-def: $vgpr67
                                        ; implicit-def: $vgpr66
                                        ; implicit-def: $vgpr65
                                        ; implicit-def: $vgpr64
                                        ; implicit-def: $vgpr63
                                        ; implicit-def: $vgpr62
	s_movk_i32 s16, 0x1000
.LBB1730_977:                           ;   in Loop: Header=BB1730_974 Depth=2
	s_wait_xcnt 0x0
	v_lshl_add_u64 v[60:61], s[42:43], 1, v[26:27]
	s_wait_loadcnt 0xd
	v_dual_mov_b32 v141, -1 :: v_dual_mov_b32 v140, -1
	s_mov_b32 s15, exec_lo
	v_cmpx_gt_u32_e64 s53, v100
	s_cbranch_execz .LBB1730_979
; %bb.978:                              ;   in Loop: Header=BB1730_974 Depth=2
	global_load_u16 v140, v[60:61], off
.LBB1730_979:                           ;   in Loop: Header=BB1730_974 Depth=2
	s_wait_xcnt 0x0
	s_or_b32 exec_lo, exec_lo, s15
	s_delay_alu instid0(SALU_CYCLE_1)
	s_mov_b32 s15, exec_lo
	v_cmpx_gt_u32_e64 s53, v103
	s_cbranch_execz .LBB1730_981
; %bb.980:                              ;   in Loop: Header=BB1730_974 Depth=2
	global_load_u16 v141, v[60:61], off offset:64
.LBB1730_981:                           ;   in Loop: Header=BB1730_974 Depth=2
	s_wait_xcnt 0x0
	s_or_b32 exec_lo, exec_lo, s15
	s_wait_loadcnt 0xb
	v_dual_mov_b32 v148, -1 :: v_dual_mov_b32 v144, -1
	s_mov_b32 s15, exec_lo
	v_cmpx_gt_u32_e64 s53, v104
	s_cbranch_execz .LBB1730_983
; %bb.982:                              ;   in Loop: Header=BB1730_974 Depth=2
	global_load_u16 v144, v[60:61], off offset:128
.LBB1730_983:                           ;   in Loop: Header=BB1730_974 Depth=2
	s_wait_xcnt 0x0
	s_or_b32 exec_lo, exec_lo, s15
	s_delay_alu instid0(SALU_CYCLE_1)
	s_mov_b32 s15, exec_lo
	v_cmpx_gt_u32_e64 s53, v105
	s_cbranch_execz .LBB1730_985
; %bb.984:                              ;   in Loop: Header=BB1730_974 Depth=2
	global_load_u16 v148, v[60:61], off offset:192
.LBB1730_985:                           ;   in Loop: Header=BB1730_974 Depth=2
	s_wait_xcnt 0x0
	s_or_b32 exec_lo, exec_lo, s15
	s_wait_loadcnt 0x9
	v_dual_mov_b32 v156, -1 :: v_dual_mov_b32 v152, -1
	s_mov_b32 s15, exec_lo
	v_cmpx_gt_u32_e64 s53, v106
	s_cbranch_execz .LBB1730_987
; %bb.986:                              ;   in Loop: Header=BB1730_974 Depth=2
	global_load_u16 v152, v[60:61], off offset:256
.LBB1730_987:                           ;   in Loop: Header=BB1730_974 Depth=2
	;; [unrolled: 19-line block ×5, first 2 shown]
	s_wait_xcnt 0x0
	s_or_b32 exec_lo, exec_lo, s15
	s_delay_alu instid0(SALU_CYCLE_1)
	s_mov_b32 s15, exec_lo
	v_cmpx_gt_u32_e64 s53, v113
	s_cbranch_execz .LBB1730_1001
; %bb.1000:                             ;   in Loop: Header=BB1730_974 Depth=2
	global_load_u16 v65, v[60:61], off offset:704
.LBB1730_1001:                          ;   in Loop: Header=BB1730_974 Depth=2
	s_wait_xcnt 0x0
	s_or_b32 exec_lo, exec_lo, s15
	s_wait_loadcnt 0x1
	v_dual_mov_b32 v63, -1 :: v_dual_mov_b32 v64, -1
	s_mov_b32 s15, exec_lo
	v_cmpx_gt_u32_e64 s53, v114
	s_cbranch_execz .LBB1730_1003
; %bb.1002:                             ;   in Loop: Header=BB1730_974 Depth=2
	global_load_u16 v64, v[60:61], off offset:768
.LBB1730_1003:                          ;   in Loop: Header=BB1730_974 Depth=2
	s_wait_xcnt 0x0
	s_or_b32 exec_lo, exec_lo, s15
	s_delay_alu instid0(SALU_CYCLE_1)
	s_mov_b32 s15, exec_lo
	v_cmpx_gt_u32_e64 s53, v115
	s_cbranch_execz .LBB1730_1005
; %bb.1004:                             ;   in Loop: Header=BB1730_974 Depth=2
	global_load_u16 v63, v[60:61], off offset:832
.LBB1730_1005:                          ;   in Loop: Header=BB1730_974 Depth=2
	s_wait_xcnt 0x0
	s_or_b32 exec_lo, exec_lo, s15
	s_wait_loadcnt 0x0
	v_mov_b32_e32 v62, -1
	s_mov_b32 s15, exec_lo
	v_cmpx_gt_u32_e64 s53, v116
	s_cbranch_execz .LBB1730_1007
; %bb.1006:                             ;   in Loop: Header=BB1730_974 Depth=2
	global_load_u16 v62, v[60:61], off offset:896
.LBB1730_1007:                          ;   in Loop: Header=BB1730_974 Depth=2
	s_wait_xcnt 0x0
	s_or_b32 exec_lo, exec_lo, s15
	v_cmp_gt_u32_e64 s15, s53, v117
	s_sub_co_i32 s16, s51, s42
.LBB1730_1008:                          ;   in Loop: Header=BB1730_974 Depth=2
	s_wait_xcnt 0x0
	v_dual_mov_b32 v60, -1 :: v_dual_mov_b32 v139, s53
	s_and_saveexec_b32 s17, s15
	s_cbranch_execz .LBB1730_1010
; %bb.1009:                             ;   in Loop: Header=BB1730_974 Depth=2
	v_lshl_add_u64 v[60:61], s[42:43], 1, v[26:27]
	v_mov_b32_e32 v139, s16
	global_load_u16 v60, v[60:61], off offset:960
.LBB1730_1010:                          ;   in Loop: Header=BB1730_974 Depth=2
	s_wait_xcnt 0x0
	s_or_b32 exec_lo, exec_lo, s17
	s_wait_loadcnt 0xe
	v_cmp_gt_i16_e64 vcc_lo, 0, v140
	ds_store_2addr_b32 v121, v5, v5 offset1:1
	ds_store_2addr_b32 v118, v5, v5 offset1:1
	;; [unrolled: 1-line block ×4, first 2 shown]
	ds_store_b32 v91, v5 offset:1088
	s_wait_loadcnt_dscnt 0x0
	s_barrier_signal -1
	v_cndmask_b32_e64 v61, 0x7fff, 0, vcc_lo
	s_barrier_wait -1
	; wave barrier
	s_delay_alu instid0(VALU_DEP_1) | instskip(NEXT) | instid1(VALU_DEP_1)
	v_xor_b32_e32 v140, v61, v140
	v_cmp_ne_u16_e64 vcc_lo, 0x8000, v140
	v_cndmask_b32_e32 v61, 0x7fff, v140, vcc_lo
	s_delay_alu instid0(VALU_DEP_1) | instskip(NEXT) | instid1(VALU_DEP_1)
	v_and_b32_e32 v61, 0xffff, v61
	v_lshrrev_b32_e32 v61, s49, v61
	s_delay_alu instid0(VALU_DEP_1) | instskip(SKIP_1) | instid1(VALU_DEP_2)
	v_bitop3_b32 v142, v61, 1, s52 bitop3:0x80
	v_and_b32_e32 v143, s52, v61
	v_add_co_u32 v61, s15, v142, -1
	s_delay_alu instid0(VALU_DEP_1) | instskip(NEXT) | instid1(VALU_DEP_3)
	v_cndmask_b32_e64 v142, 0, 1, s15
	v_lshlrev_b32_e32 v145, 30, v143
	s_delay_alu instid0(VALU_DEP_2) | instskip(NEXT) | instid1(VALU_DEP_2)
	v_cmp_ne_u32_e32 vcc_lo, 0, v142
	v_not_b32_e32 v142, v145
	s_delay_alu instid0(VALU_DEP_1) | instskip(SKIP_3) | instid1(VALU_DEP_4)
	v_dual_ashrrev_i32 v142, 31, v142 :: v_dual_lshlrev_b32 v146, 29, v143
	v_dual_lshlrev_b32 v147, 28, v143 :: v_dual_lshlrev_b32 v149, 27, v143
	v_lshlrev_b32_e32 v150, 26, v143
	v_cmp_gt_i32_e64 s15, 0, v145
	v_cmp_gt_i32_e64 s16, 0, v146
	v_not_b32_e32 v145, v146
	v_not_b32_e32 v146, v147
	v_dual_lshlrev_b32 v151, 25, v143 :: v_dual_lshlrev_b32 v153, 24, v143
	v_cmp_gt_i32_e64 s17, 0, v147
	v_cmp_gt_i32_e64 s18, 0, v149
	v_not_b32_e32 v147, v149
	v_not_b32_e32 v149, v150
	v_dual_ashrrev_i32 v146, 31, v146 :: v_dual_bitop2_b32 v61, vcc_lo, v61 bitop3:0x14
	v_dual_ashrrev_i32 v145, 31, v145 :: v_dual_bitop2_b32 v142, s15, v142 bitop3:0x14
	v_cmp_gt_i32_e64 s19, 0, v150
	v_cmp_gt_i32_e64 s20, 0, v151
	v_not_b32_e32 v150, v151
	v_not_b32_e32 v151, v153
	v_dual_ashrrev_i32 v147, 31, v147 :: v_dual_ashrrev_i32 v149, 31, v149
	v_xor_b32_e32 v145, s16, v145
	v_xor_b32_e32 v146, s17, v146
	v_bitop3_b32 v61, v61, v142, exec_lo bitop3:0x80
	v_cmp_gt_i32_e64 s21, 0, v153
	v_dual_ashrrev_i32 v142, 31, v150 :: v_dual_ashrrev_i32 v150, 31, v151
	v_xor_b32_e32 v147, s18, v147
	s_delay_alu instid0(VALU_DEP_4) | instskip(SKIP_3) | instid1(VALU_DEP_3)
	v_bitop3_b32 v61, v61, v146, v145 bitop3:0x80
	v_mul_u32_u24_e32 v143, 36, v143
	v_xor_b32_e32 v149, s19, v149
	v_xor_b32_e32 v142, s20, v142
	v_dual_add_nc_u32 v143, v23, v143 :: v_dual_bitop2_b32 v145, s21, v150 bitop3:0x14
	s_delay_alu instid0(VALU_DEP_3) | instskip(NEXT) | instid1(VALU_DEP_1)
	v_bitop3_b32 v61, v61, v149, v147 bitop3:0x80
	v_bitop3_b32 v61, v61, v145, v142 bitop3:0x80
	s_delay_alu instid0(VALU_DEP_1) | instskip(SKIP_1) | instid1(VALU_DEP_2)
	v_mbcnt_lo_u32_b32 v142, v61, 0
	v_cmp_ne_u32_e64 s15, 0, v61
	v_cmp_eq_u32_e32 vcc_lo, 0, v142
	s_and_b32 s16, s15, vcc_lo
	s_delay_alu instid0(SALU_CYCLE_1)
	s_and_saveexec_b32 s15, s16
; %bb.1011:                             ;   in Loop: Header=BB1730_974 Depth=2
	v_bcnt_u32_b32 v61, v61, 0
	ds_store_b32 v143, v61 offset:1056
; %bb.1012:                             ;   in Loop: Header=BB1730_974 Depth=2
	s_or_b32 exec_lo, exec_lo, s15
	v_cmp_gt_i16_e64 vcc_lo, 0, v141
	; wave barrier
	s_delay_alu instid0(VALU_DEP_1) | instskip(NEXT) | instid1(VALU_DEP_1)
	v_cndmask_b32_e64 v61, 0x7fff, 0, vcc_lo
	v_xor_b32_e32 v141, v61, v141
	s_delay_alu instid0(VALU_DEP_1) | instskip(SKIP_1) | instid1(VALU_DEP_1)
	v_cmp_ne_u16_e64 vcc_lo, 0x8000, v141
	v_cndmask_b32_e32 v61, 0x7fff, v141, vcc_lo
	v_and_b32_e32 v61, 0xffff, v61
	s_delay_alu instid0(VALU_DEP_1) | instskip(NEXT) | instid1(VALU_DEP_1)
	v_lshrrev_b32_e32 v61, s49, v61
	v_and_b32_e32 v147, s52, v61
	s_delay_alu instid0(VALU_DEP_1) | instskip(SKIP_2) | instid1(VALU_DEP_3)
	v_lshlrev_b32_e32 v149, 29, v147
	v_bitop3_b32 v145, v61, 1, s52 bitop3:0x80
	v_lshlrev_b32_e32 v146, 30, v147
	v_cmp_gt_i32_e64 s16, 0, v149
	s_delay_alu instid0(VALU_DEP_3) | instskip(NEXT) | instid1(VALU_DEP_1)
	v_add_co_u32 v61, s15, v145, -1
	v_cndmask_b32_e64 v145, 0, 1, s15
	s_delay_alu instid0(VALU_DEP_4) | instskip(NEXT) | instid1(VALU_DEP_2)
	v_cmp_gt_i32_e64 s15, 0, v146
	v_cmp_ne_u32_e32 vcc_lo, 0, v145
	v_not_b32_e32 v145, v146
	v_not_b32_e32 v146, v149
	s_delay_alu instid0(VALU_DEP_1) | instskip(SKIP_2) | instid1(VALU_DEP_3)
	v_dual_ashrrev_i32 v146, 31, v146 :: v_dual_lshlrev_b32 v150, 28, v147
	v_dual_lshlrev_b32 v151, 27, v147 :: v_dual_lshlrev_b32 v153, 26, v147
	v_dual_lshlrev_b32 v154, 25, v147 :: v_dual_lshlrev_b32 v155, 24, v147
	v_cmp_gt_i32_e64 s17, 0, v150
	v_not_b32_e32 v149, v150
	s_delay_alu instid0(VALU_DEP_4)
	v_not_b32_e32 v150, v151
	v_ashrrev_i32_e32 v145, 31, v145
	v_cmp_gt_i32_e64 s18, 0, v151
	v_cmp_gt_i32_e64 s19, 0, v153
	v_not_b32_e32 v151, v153
	v_cmp_gt_i32_e64 s20, 0, v154
	v_not_b32_e32 v153, v154
	v_not_b32_e32 v154, v155
	s_delay_alu instid0(VALU_DEP_4) | instskip(SKIP_3) | instid1(VALU_DEP_3)
	v_dual_ashrrev_i32 v151, 31, v151 :: v_dual_bitop2_b32 v61, vcc_lo, v61 bitop3:0x14
	v_dual_ashrrev_i32 v149, 31, v149 :: v_dual_bitop2_b32 v146, s16, v146 bitop3:0x14
	v_dual_ashrrev_i32 v150, 31, v150 :: v_dual_bitop2_b32 v145, s15, v145 bitop3:0x14
	v_cmp_gt_i32_e64 s21, 0, v155
	v_xor_b32_e32 v149, s17, v149
	v_xor_b32_e32 v151, s19, v151
	s_delay_alu instid0(VALU_DEP_4) | instskip(SKIP_2) | instid1(VALU_DEP_2)
	v_xor_b32_e32 v150, s18, v150
	v_bitop3_b32 v61, v61, v145, exec_lo bitop3:0x80
	v_dual_ashrrev_i32 v145, 31, v153 :: v_dual_ashrrev_i32 v153, 31, v154
	v_bitop3_b32 v61, v61, v149, v146 bitop3:0x80
	v_mad_u32_u24 v146, v147, 36, v23
	s_delay_alu instid0(VALU_DEP_3) | instskip(NEXT) | instid1(VALU_DEP_4)
	v_xor_b32_e32 v149, s20, v145
	v_xor_b32_e32 v153, s21, v153
	v_mul_u32_u24_e32 v147, 36, v147
	v_bitop3_b32 v61, v61, v151, v150 bitop3:0x80
	ds_load_b32 v145, v146 offset:1056
	; wave barrier
	v_add_nc_u32_e32 v147, v23, v147
	v_bitop3_b32 v61, v61, v153, v149 bitop3:0x80
	s_delay_alu instid0(VALU_DEP_1) | instskip(SKIP_1) | instid1(VALU_DEP_2)
	v_mbcnt_lo_u32_b32 v146, v61, 0
	v_cmp_ne_u32_e64 s15, 0, v61
	v_cmp_eq_u32_e32 vcc_lo, 0, v146
	s_and_b32 s16, s15, vcc_lo
	s_delay_alu instid0(SALU_CYCLE_1)
	s_and_saveexec_b32 s15, s16
	s_cbranch_execz .LBB1730_1014
; %bb.1013:                             ;   in Loop: Header=BB1730_974 Depth=2
	s_wait_dscnt 0x0
	v_bcnt_u32_b32 v61, v61, v145
	ds_store_b32 v147, v61 offset:1056
.LBB1730_1014:                          ;   in Loop: Header=BB1730_974 Depth=2
	s_or_b32 exec_lo, exec_lo, s15
	v_cmp_gt_i16_e64 vcc_lo, 0, v144
	; wave barrier
	s_delay_alu instid0(VALU_DEP_1) | instskip(NEXT) | instid1(VALU_DEP_1)
	v_cndmask_b32_e64 v61, 0x7fff, 0, vcc_lo
	v_xor_b32_e32 v144, v61, v144
	s_delay_alu instid0(VALU_DEP_1) | instskip(SKIP_1) | instid1(VALU_DEP_1)
	v_cmp_ne_u16_e64 vcc_lo, 0x8000, v144
	v_cndmask_b32_e32 v61, 0x7fff, v144, vcc_lo
	v_and_b32_e32 v61, 0xffff, v61
	s_delay_alu instid0(VALU_DEP_1) | instskip(NEXT) | instid1(VALU_DEP_1)
	v_lshrrev_b32_e32 v61, s49, v61
	v_bitop3_b32 v149, v61, 1, s52 bitop3:0x80
	v_and_b32_e32 v151, s52, v61
	s_delay_alu instid0(VALU_DEP_2) | instskip(NEXT) | instid1(VALU_DEP_1)
	v_add_co_u32 v61, s15, v149, -1
	v_cndmask_b32_e64 v149, 0, 1, s15
	s_delay_alu instid0(VALU_DEP_3) | instskip(NEXT) | instid1(VALU_DEP_2)
	v_dual_lshlrev_b32 v150, 30, v151 :: v_dual_lshlrev_b32 v153, 29, v151
	v_cmp_ne_u32_e32 vcc_lo, 0, v149
	s_delay_alu instid0(VALU_DEP_2) | instskip(SKIP_1) | instid1(VALU_DEP_4)
	v_cmp_gt_i32_e64 s15, 0, v150
	v_not_b32_e32 v149, v150
	v_not_b32_e32 v150, v153
	s_delay_alu instid0(VALU_DEP_1) | instskip(SKIP_3) | instid1(VALU_DEP_4)
	v_dual_ashrrev_i32 v150, 31, v150 :: v_dual_lshlrev_b32 v154, 28, v151
	v_dual_lshlrev_b32 v155, 27, v151 :: v_dual_lshlrev_b32 v157, 26, v151
	v_dual_lshlrev_b32 v158, 25, v151 :: v_dual_lshlrev_b32 v159, 24, v151
	v_cmp_gt_i32_e64 s16, 0, v153
	v_cmp_gt_i32_e64 s17, 0, v154
	v_not_b32_e32 v153, v154
	v_not_b32_e32 v154, v155
	v_ashrrev_i32_e32 v149, 31, v149
	v_cmp_gt_i32_e64 s18, 0, v155
	v_cmp_gt_i32_e64 s19, 0, v157
	v_not_b32_e32 v155, v157
	v_cmp_gt_i32_e64 s20, 0, v158
	v_not_b32_e32 v157, v158
	v_not_b32_e32 v158, v159
	s_delay_alu instid0(VALU_DEP_4) | instskip(SKIP_3) | instid1(VALU_DEP_3)
	v_dual_ashrrev_i32 v155, 31, v155 :: v_dual_bitop2_b32 v61, vcc_lo, v61 bitop3:0x14
	v_dual_ashrrev_i32 v153, 31, v153 :: v_dual_bitop2_b32 v150, s16, v150 bitop3:0x14
	v_dual_ashrrev_i32 v154, 31, v154 :: v_dual_bitop2_b32 v149, s15, v149 bitop3:0x14
	v_cmp_gt_i32_e64 s21, 0, v159
	v_xor_b32_e32 v153, s17, v153
	v_xor_b32_e32 v155, s19, v155
	s_delay_alu instid0(VALU_DEP_4) | instskip(SKIP_2) | instid1(VALU_DEP_2)
	v_xor_b32_e32 v154, s18, v154
	v_bitop3_b32 v61, v61, v149, exec_lo bitop3:0x80
	v_dual_ashrrev_i32 v149, 31, v157 :: v_dual_ashrrev_i32 v157, 31, v158
	v_bitop3_b32 v61, v61, v153, v150 bitop3:0x80
	v_mad_u32_u24 v150, v151, 36, v23
	s_delay_alu instid0(VALU_DEP_3) | instskip(NEXT) | instid1(VALU_DEP_4)
	v_xor_b32_e32 v153, s20, v149
	v_xor_b32_e32 v157, s21, v157
	v_mul_u32_u24_e32 v151, 36, v151
	v_bitop3_b32 v61, v61, v155, v154 bitop3:0x80
	ds_load_b32 v149, v150 offset:1056
	; wave barrier
	v_add_nc_u32_e32 v151, v23, v151
	v_bitop3_b32 v61, v61, v157, v153 bitop3:0x80
	s_delay_alu instid0(VALU_DEP_1) | instskip(SKIP_1) | instid1(VALU_DEP_2)
	v_mbcnt_lo_u32_b32 v150, v61, 0
	v_cmp_ne_u32_e64 s15, 0, v61
	v_cmp_eq_u32_e32 vcc_lo, 0, v150
	s_and_b32 s16, s15, vcc_lo
	s_delay_alu instid0(SALU_CYCLE_1)
	s_and_saveexec_b32 s15, s16
	s_cbranch_execz .LBB1730_1016
; %bb.1015:                             ;   in Loop: Header=BB1730_974 Depth=2
	s_wait_dscnt 0x0
	v_bcnt_u32_b32 v61, v61, v149
	ds_store_b32 v151, v61 offset:1056
.LBB1730_1016:                          ;   in Loop: Header=BB1730_974 Depth=2
	s_or_b32 exec_lo, exec_lo, s15
	v_cmp_gt_i16_e64 vcc_lo, 0, v148
	; wave barrier
	s_delay_alu instid0(VALU_DEP_1) | instskip(NEXT) | instid1(VALU_DEP_1)
	v_cndmask_b32_e64 v61, 0x7fff, 0, vcc_lo
	v_xor_b32_e32 v148, v61, v148
	s_delay_alu instid0(VALU_DEP_1) | instskip(SKIP_1) | instid1(VALU_DEP_1)
	v_cmp_ne_u16_e64 vcc_lo, 0x8000, v148
	v_cndmask_b32_e32 v61, 0x7fff, v148, vcc_lo
	v_and_b32_e32 v61, 0xffff, v61
	s_delay_alu instid0(VALU_DEP_1) | instskip(NEXT) | instid1(VALU_DEP_1)
	v_lshrrev_b32_e32 v61, s49, v61
	v_bitop3_b32 v153, v61, 1, s52 bitop3:0x80
	v_and_b32_e32 v155, s52, v61
	s_delay_alu instid0(VALU_DEP_2) | instskip(NEXT) | instid1(VALU_DEP_1)
	v_add_co_u32 v61, s15, v153, -1
	v_cndmask_b32_e64 v153, 0, 1, s15
	s_delay_alu instid0(VALU_DEP_3) | instskip(NEXT) | instid1(VALU_DEP_2)
	v_dual_lshlrev_b32 v154, 30, v155 :: v_dual_lshlrev_b32 v157, 29, v155
	v_cmp_ne_u32_e32 vcc_lo, 0, v153
	s_delay_alu instid0(VALU_DEP_2) | instskip(SKIP_1) | instid1(VALU_DEP_4)
	v_cmp_gt_i32_e64 s15, 0, v154
	v_not_b32_e32 v153, v154
	v_not_b32_e32 v154, v157
	s_delay_alu instid0(VALU_DEP_1) | instskip(SKIP_3) | instid1(VALU_DEP_4)
	v_dual_ashrrev_i32 v154, 31, v154 :: v_dual_lshlrev_b32 v158, 28, v155
	v_dual_lshlrev_b32 v159, 27, v155 :: v_dual_lshlrev_b32 v161, 26, v155
	v_dual_lshlrev_b32 v162, 25, v155 :: v_dual_lshlrev_b32 v163, 24, v155
	v_cmp_gt_i32_e64 s16, 0, v157
	v_cmp_gt_i32_e64 s17, 0, v158
	v_not_b32_e32 v157, v158
	v_not_b32_e32 v158, v159
	v_ashrrev_i32_e32 v153, 31, v153
	v_cmp_gt_i32_e64 s18, 0, v159
	v_cmp_gt_i32_e64 s19, 0, v161
	v_not_b32_e32 v159, v161
	v_cmp_gt_i32_e64 s20, 0, v162
	v_not_b32_e32 v161, v162
	v_not_b32_e32 v162, v163
	s_delay_alu instid0(VALU_DEP_4) | instskip(SKIP_3) | instid1(VALU_DEP_3)
	v_dual_ashrrev_i32 v159, 31, v159 :: v_dual_bitop2_b32 v61, vcc_lo, v61 bitop3:0x14
	v_dual_ashrrev_i32 v157, 31, v157 :: v_dual_bitop2_b32 v154, s16, v154 bitop3:0x14
	v_dual_ashrrev_i32 v158, 31, v158 :: v_dual_bitop2_b32 v153, s15, v153 bitop3:0x14
	v_cmp_gt_i32_e64 s21, 0, v163
	v_xor_b32_e32 v157, s17, v157
	v_xor_b32_e32 v159, s19, v159
	s_delay_alu instid0(VALU_DEP_4) | instskip(SKIP_2) | instid1(VALU_DEP_2)
	v_xor_b32_e32 v158, s18, v158
	v_bitop3_b32 v61, v61, v153, exec_lo bitop3:0x80
	v_dual_ashrrev_i32 v153, 31, v161 :: v_dual_ashrrev_i32 v161, 31, v162
	v_bitop3_b32 v61, v61, v157, v154 bitop3:0x80
	v_mad_u32_u24 v154, v155, 36, v23
	s_delay_alu instid0(VALU_DEP_3) | instskip(NEXT) | instid1(VALU_DEP_4)
	v_xor_b32_e32 v157, s20, v153
	v_xor_b32_e32 v161, s21, v161
	v_mul_u32_u24_e32 v155, 36, v155
	v_bitop3_b32 v61, v61, v159, v158 bitop3:0x80
	ds_load_b32 v153, v154 offset:1056
	; wave barrier
	v_add_nc_u32_e32 v155, v23, v155
	v_bitop3_b32 v61, v61, v161, v157 bitop3:0x80
	s_delay_alu instid0(VALU_DEP_1) | instskip(SKIP_1) | instid1(VALU_DEP_2)
	v_mbcnt_lo_u32_b32 v154, v61, 0
	v_cmp_ne_u32_e64 s15, 0, v61
	v_cmp_eq_u32_e32 vcc_lo, 0, v154
	s_and_b32 s16, s15, vcc_lo
	s_delay_alu instid0(SALU_CYCLE_1)
	s_and_saveexec_b32 s15, s16
	s_cbranch_execz .LBB1730_1018
; %bb.1017:                             ;   in Loop: Header=BB1730_974 Depth=2
	s_wait_dscnt 0x0
	v_bcnt_u32_b32 v61, v61, v153
	ds_store_b32 v155, v61 offset:1056
.LBB1730_1018:                          ;   in Loop: Header=BB1730_974 Depth=2
	s_or_b32 exec_lo, exec_lo, s15
	v_cmp_gt_i16_e64 vcc_lo, 0, v152
	; wave barrier
	s_delay_alu instid0(VALU_DEP_1) | instskip(NEXT) | instid1(VALU_DEP_1)
	v_cndmask_b32_e64 v61, 0x7fff, 0, vcc_lo
	v_xor_b32_e32 v152, v61, v152
	s_delay_alu instid0(VALU_DEP_1) | instskip(SKIP_1) | instid1(VALU_DEP_1)
	v_cmp_ne_u16_e64 vcc_lo, 0x8000, v152
	v_cndmask_b32_e32 v61, 0x7fff, v152, vcc_lo
	v_and_b32_e32 v61, 0xffff, v61
	s_delay_alu instid0(VALU_DEP_1) | instskip(NEXT) | instid1(VALU_DEP_1)
	v_lshrrev_b32_e32 v61, s49, v61
	v_bitop3_b32 v157, v61, 1, s52 bitop3:0x80
	v_and_b32_e32 v159, s52, v61
	s_delay_alu instid0(VALU_DEP_2) | instskip(NEXT) | instid1(VALU_DEP_1)
	v_add_co_u32 v61, s15, v157, -1
	v_cndmask_b32_e64 v157, 0, 1, s15
	s_delay_alu instid0(VALU_DEP_3) | instskip(NEXT) | instid1(VALU_DEP_2)
	v_dual_lshlrev_b32 v158, 30, v159 :: v_dual_lshlrev_b32 v161, 29, v159
	v_cmp_ne_u32_e32 vcc_lo, 0, v157
	s_delay_alu instid0(VALU_DEP_2) | instskip(SKIP_1) | instid1(VALU_DEP_4)
	v_cmp_gt_i32_e64 s15, 0, v158
	v_not_b32_e32 v157, v158
	v_not_b32_e32 v158, v161
	s_delay_alu instid0(VALU_DEP_1) | instskip(SKIP_3) | instid1(VALU_DEP_4)
	v_dual_ashrrev_i32 v158, 31, v158 :: v_dual_lshlrev_b32 v162, 28, v159
	v_dual_lshlrev_b32 v163, 27, v159 :: v_dual_lshlrev_b32 v165, 26, v159
	v_dual_lshlrev_b32 v166, 25, v159 :: v_dual_lshlrev_b32 v167, 24, v159
	v_cmp_gt_i32_e64 s16, 0, v161
	v_cmp_gt_i32_e64 s17, 0, v162
	v_not_b32_e32 v161, v162
	v_not_b32_e32 v162, v163
	v_ashrrev_i32_e32 v157, 31, v157
	v_cmp_gt_i32_e64 s18, 0, v163
	v_cmp_gt_i32_e64 s19, 0, v165
	v_not_b32_e32 v163, v165
	v_cmp_gt_i32_e64 s20, 0, v166
	v_not_b32_e32 v165, v166
	v_not_b32_e32 v166, v167
	s_delay_alu instid0(VALU_DEP_4) | instskip(SKIP_3) | instid1(VALU_DEP_3)
	v_dual_ashrrev_i32 v163, 31, v163 :: v_dual_bitop2_b32 v61, vcc_lo, v61 bitop3:0x14
	v_dual_ashrrev_i32 v161, 31, v161 :: v_dual_bitop2_b32 v158, s16, v158 bitop3:0x14
	v_dual_ashrrev_i32 v162, 31, v162 :: v_dual_bitop2_b32 v157, s15, v157 bitop3:0x14
	v_cmp_gt_i32_e64 s21, 0, v167
	v_xor_b32_e32 v161, s17, v161
	v_xor_b32_e32 v163, s19, v163
	s_delay_alu instid0(VALU_DEP_4) | instskip(SKIP_2) | instid1(VALU_DEP_2)
	v_xor_b32_e32 v162, s18, v162
	v_bitop3_b32 v61, v61, v157, exec_lo bitop3:0x80
	v_dual_ashrrev_i32 v157, 31, v165 :: v_dual_ashrrev_i32 v165, 31, v166
	v_bitop3_b32 v61, v61, v161, v158 bitop3:0x80
	v_mad_u32_u24 v158, v159, 36, v23
	s_delay_alu instid0(VALU_DEP_3) | instskip(NEXT) | instid1(VALU_DEP_4)
	v_xor_b32_e32 v161, s20, v157
	v_xor_b32_e32 v165, s21, v165
	v_mul_u32_u24_e32 v159, 36, v159
	v_bitop3_b32 v61, v61, v163, v162 bitop3:0x80
	ds_load_b32 v157, v158 offset:1056
	; wave barrier
	v_add_nc_u32_e32 v159, v23, v159
	v_bitop3_b32 v61, v61, v165, v161 bitop3:0x80
	s_delay_alu instid0(VALU_DEP_1) | instskip(SKIP_1) | instid1(VALU_DEP_2)
	v_mbcnt_lo_u32_b32 v158, v61, 0
	v_cmp_ne_u32_e64 s15, 0, v61
	v_cmp_eq_u32_e32 vcc_lo, 0, v158
	s_and_b32 s16, s15, vcc_lo
	s_delay_alu instid0(SALU_CYCLE_1)
	s_and_saveexec_b32 s15, s16
	s_cbranch_execz .LBB1730_1020
; %bb.1019:                             ;   in Loop: Header=BB1730_974 Depth=2
	s_wait_dscnt 0x0
	v_bcnt_u32_b32 v61, v61, v157
	ds_store_b32 v159, v61 offset:1056
.LBB1730_1020:                          ;   in Loop: Header=BB1730_974 Depth=2
	s_or_b32 exec_lo, exec_lo, s15
	v_cmp_gt_i16_e64 vcc_lo, 0, v156
	; wave barrier
	s_delay_alu instid0(VALU_DEP_1) | instskip(NEXT) | instid1(VALU_DEP_1)
	v_cndmask_b32_e64 v61, 0x7fff, 0, vcc_lo
	v_xor_b32_e32 v156, v61, v156
	s_delay_alu instid0(VALU_DEP_1) | instskip(SKIP_1) | instid1(VALU_DEP_1)
	v_cmp_ne_u16_e64 vcc_lo, 0x8000, v156
	v_cndmask_b32_e32 v61, 0x7fff, v156, vcc_lo
	v_and_b32_e32 v61, 0xffff, v61
	s_delay_alu instid0(VALU_DEP_1) | instskip(NEXT) | instid1(VALU_DEP_1)
	v_lshrrev_b32_e32 v61, s49, v61
	v_bitop3_b32 v161, v61, 1, s52 bitop3:0x80
	v_and_b32_e32 v163, s52, v61
	s_delay_alu instid0(VALU_DEP_2) | instskip(NEXT) | instid1(VALU_DEP_1)
	v_add_co_u32 v61, s15, v161, -1
	v_cndmask_b32_e64 v161, 0, 1, s15
	s_delay_alu instid0(VALU_DEP_3) | instskip(NEXT) | instid1(VALU_DEP_2)
	v_dual_lshlrev_b32 v162, 30, v163 :: v_dual_lshlrev_b32 v165, 29, v163
	v_cmp_ne_u32_e32 vcc_lo, 0, v161
	s_delay_alu instid0(VALU_DEP_2) | instskip(SKIP_1) | instid1(VALU_DEP_4)
	v_cmp_gt_i32_e64 s15, 0, v162
	v_not_b32_e32 v161, v162
	v_not_b32_e32 v162, v165
	s_delay_alu instid0(VALU_DEP_1) | instskip(SKIP_3) | instid1(VALU_DEP_4)
	v_dual_ashrrev_i32 v162, 31, v162 :: v_dual_lshlrev_b32 v166, 28, v163
	v_dual_lshlrev_b32 v167, 27, v163 :: v_dual_lshlrev_b32 v169, 26, v163
	v_dual_lshlrev_b32 v170, 25, v163 :: v_dual_lshlrev_b32 v171, 24, v163
	v_cmp_gt_i32_e64 s16, 0, v165
	v_cmp_gt_i32_e64 s17, 0, v166
	v_not_b32_e32 v165, v166
	v_not_b32_e32 v166, v167
	v_ashrrev_i32_e32 v161, 31, v161
	v_cmp_gt_i32_e64 s18, 0, v167
	v_cmp_gt_i32_e64 s19, 0, v169
	v_not_b32_e32 v167, v169
	v_cmp_gt_i32_e64 s20, 0, v170
	v_not_b32_e32 v169, v170
	v_not_b32_e32 v170, v171
	s_delay_alu instid0(VALU_DEP_4) | instskip(SKIP_3) | instid1(VALU_DEP_3)
	v_dual_ashrrev_i32 v167, 31, v167 :: v_dual_bitop2_b32 v61, vcc_lo, v61 bitop3:0x14
	v_dual_ashrrev_i32 v165, 31, v165 :: v_dual_bitop2_b32 v162, s16, v162 bitop3:0x14
	v_dual_ashrrev_i32 v166, 31, v166 :: v_dual_bitop2_b32 v161, s15, v161 bitop3:0x14
	v_cmp_gt_i32_e64 s21, 0, v171
	v_xor_b32_e32 v165, s17, v165
	v_xor_b32_e32 v167, s19, v167
	s_delay_alu instid0(VALU_DEP_4) | instskip(SKIP_2) | instid1(VALU_DEP_2)
	v_xor_b32_e32 v166, s18, v166
	v_bitop3_b32 v61, v61, v161, exec_lo bitop3:0x80
	v_dual_ashrrev_i32 v161, 31, v169 :: v_dual_ashrrev_i32 v169, 31, v170
	v_bitop3_b32 v61, v61, v165, v162 bitop3:0x80
	v_mad_u32_u24 v162, v163, 36, v23
	s_delay_alu instid0(VALU_DEP_3) | instskip(NEXT) | instid1(VALU_DEP_4)
	v_xor_b32_e32 v165, s20, v161
	v_xor_b32_e32 v169, s21, v169
	v_mul_u32_u24_e32 v163, 36, v163
	v_bitop3_b32 v61, v61, v167, v166 bitop3:0x80
	ds_load_b32 v161, v162 offset:1056
	; wave barrier
	v_add_nc_u32_e32 v163, v23, v163
	v_bitop3_b32 v61, v61, v169, v165 bitop3:0x80
	s_delay_alu instid0(VALU_DEP_1) | instskip(SKIP_1) | instid1(VALU_DEP_2)
	v_mbcnt_lo_u32_b32 v162, v61, 0
	v_cmp_ne_u32_e64 s15, 0, v61
	v_cmp_eq_u32_e32 vcc_lo, 0, v162
	s_and_b32 s16, s15, vcc_lo
	s_delay_alu instid0(SALU_CYCLE_1)
	s_and_saveexec_b32 s15, s16
	s_cbranch_execz .LBB1730_1022
; %bb.1021:                             ;   in Loop: Header=BB1730_974 Depth=2
	s_wait_dscnt 0x0
	v_bcnt_u32_b32 v61, v61, v161
	ds_store_b32 v163, v61 offset:1056
.LBB1730_1022:                          ;   in Loop: Header=BB1730_974 Depth=2
	s_or_b32 exec_lo, exec_lo, s15
	v_cmp_gt_i16_e64 vcc_lo, 0, v160
	; wave barrier
	s_delay_alu instid0(VALU_DEP_1) | instskip(NEXT) | instid1(VALU_DEP_1)
	v_cndmask_b32_e64 v61, 0x7fff, 0, vcc_lo
	v_xor_b32_e32 v160, v61, v160
	s_delay_alu instid0(VALU_DEP_1) | instskip(SKIP_1) | instid1(VALU_DEP_1)
	v_cmp_ne_u16_e64 vcc_lo, 0x8000, v160
	v_cndmask_b32_e32 v61, 0x7fff, v160, vcc_lo
	v_and_b32_e32 v61, 0xffff, v61
	s_delay_alu instid0(VALU_DEP_1) | instskip(NEXT) | instid1(VALU_DEP_1)
	v_lshrrev_b32_e32 v61, s49, v61
	v_bitop3_b32 v165, v61, 1, s52 bitop3:0x80
	v_and_b32_e32 v167, s52, v61
	s_delay_alu instid0(VALU_DEP_2) | instskip(NEXT) | instid1(VALU_DEP_1)
	v_add_co_u32 v61, s15, v165, -1
	v_cndmask_b32_e64 v165, 0, 1, s15
	s_delay_alu instid0(VALU_DEP_3) | instskip(NEXT) | instid1(VALU_DEP_2)
	v_dual_lshlrev_b32 v166, 30, v167 :: v_dual_lshlrev_b32 v169, 29, v167
	v_cmp_ne_u32_e32 vcc_lo, 0, v165
	s_delay_alu instid0(VALU_DEP_2) | instskip(SKIP_1) | instid1(VALU_DEP_4)
	v_cmp_gt_i32_e64 s15, 0, v166
	v_not_b32_e32 v165, v166
	v_not_b32_e32 v166, v169
	s_delay_alu instid0(VALU_DEP_1) | instskip(SKIP_3) | instid1(VALU_DEP_4)
	v_dual_ashrrev_i32 v166, 31, v166 :: v_dual_lshlrev_b32 v170, 28, v167
	v_dual_lshlrev_b32 v171, 27, v167 :: v_dual_lshlrev_b32 v172, 26, v167
	v_cmp_gt_i32_e64 s16, 0, v169
	v_dual_lshlrev_b32 v173, 25, v167 :: v_dual_lshlrev_b32 v174, 24, v167
	v_cmp_gt_i32_e64 s17, 0, v170
	v_not_b32_e32 v169, v170
	v_not_b32_e32 v170, v171
	v_ashrrev_i32_e32 v165, 31, v165
	v_cmp_gt_i32_e64 s18, 0, v171
	v_not_b32_e32 v171, v172
	v_xor_b32_e32 v61, vcc_lo, v61
	v_dual_ashrrev_i32 v169, 31, v169 :: v_dual_bitop2_b32 v166, s16, v166 bitop3:0x14
	v_dual_ashrrev_i32 v170, 31, v170 :: v_dual_bitop2_b32 v165, s15, v165 bitop3:0x14
	v_cmp_gt_i32_e64 s19, 0, v172
	v_cmp_gt_i32_e64 s20, 0, v173
	v_not_b32_e32 v172, v173
	v_not_b32_e32 v173, v174
	v_dual_ashrrev_i32 v171, 31, v171 :: v_dual_bitop2_b32 v169, s17, v169 bitop3:0x14
	v_bitop3_b32 v61, v61, v165, exec_lo bitop3:0x80
	v_cmp_gt_i32_e64 s21, 0, v174
	s_delay_alu instid0(VALU_DEP_4)
	v_dual_ashrrev_i32 v165, 31, v172 :: v_dual_ashrrev_i32 v172, 31, v173
	v_xor_b32_e32 v170, s18, v170
	v_xor_b32_e32 v171, s19, v171
	v_bitop3_b32 v61, v61, v169, v166 bitop3:0x80
	v_mad_u32_u24 v166, v167, 36, v23
	v_xor_b32_e32 v169, s20, v165
	v_xor_b32_e32 v172, s21, v172
	v_mul_u32_u24_e32 v167, 36, v167
	v_bitop3_b32 v61, v61, v171, v170 bitop3:0x80
	ds_load_b32 v165, v166 offset:1056
	; wave barrier
	v_add_nc_u32_e32 v167, v23, v167
	v_bitop3_b32 v61, v61, v172, v169 bitop3:0x80
	s_delay_alu instid0(VALU_DEP_1) | instskip(SKIP_1) | instid1(VALU_DEP_2)
	v_mbcnt_lo_u32_b32 v166, v61, 0
	v_cmp_ne_u32_e64 s15, 0, v61
	v_cmp_eq_u32_e32 vcc_lo, 0, v166
	s_and_b32 s16, s15, vcc_lo
	s_delay_alu instid0(SALU_CYCLE_1)
	s_and_saveexec_b32 s15, s16
	s_cbranch_execz .LBB1730_1024
; %bb.1023:                             ;   in Loop: Header=BB1730_974 Depth=2
	s_wait_dscnt 0x0
	v_bcnt_u32_b32 v61, v61, v165
	ds_store_b32 v167, v61 offset:1056
.LBB1730_1024:                          ;   in Loop: Header=BB1730_974 Depth=2
	s_or_b32 exec_lo, exec_lo, s15
	v_cmp_gt_i16_e64 vcc_lo, 0, v164
	; wave barrier
	s_delay_alu instid0(VALU_DEP_1) | instskip(NEXT) | instid1(VALU_DEP_1)
	v_cndmask_b32_e64 v61, 0x7fff, 0, vcc_lo
	v_xor_b32_e32 v164, v61, v164
	s_delay_alu instid0(VALU_DEP_1) | instskip(SKIP_1) | instid1(VALU_DEP_1)
	v_cmp_ne_u16_e64 vcc_lo, 0x8000, v164
	v_cndmask_b32_e32 v61, 0x7fff, v164, vcc_lo
	v_and_b32_e32 v61, 0xffff, v61
	s_delay_alu instid0(VALU_DEP_1) | instskip(NEXT) | instid1(VALU_DEP_1)
	v_lshrrev_b32_e32 v61, s49, v61
	v_bitop3_b32 v169, v61, 1, s52 bitop3:0x80
	v_and_b32_e32 v171, s52, v61
	s_delay_alu instid0(VALU_DEP_2) | instskip(NEXT) | instid1(VALU_DEP_1)
	v_add_co_u32 v61, s15, v169, -1
	v_cndmask_b32_e64 v169, 0, 1, s15
	s_delay_alu instid0(VALU_DEP_3) | instskip(NEXT) | instid1(VALU_DEP_2)
	v_dual_lshlrev_b32 v170, 30, v171 :: v_dual_lshlrev_b32 v172, 29, v171
	v_cmp_ne_u32_e32 vcc_lo, 0, v169
	s_delay_alu instid0(VALU_DEP_2) | instskip(SKIP_1) | instid1(VALU_DEP_4)
	v_cmp_gt_i32_e64 s15, 0, v170
	v_not_b32_e32 v169, v170
	v_not_b32_e32 v170, v172
	s_delay_alu instid0(VALU_DEP_1) | instskip(SKIP_3) | instid1(VALU_DEP_4)
	v_dual_ashrrev_i32 v170, 31, v170 :: v_dual_lshlrev_b32 v173, 28, v171
	v_dual_lshlrev_b32 v174, 27, v171 :: v_dual_lshlrev_b32 v175, 26, v171
	v_dual_lshlrev_b32 v176, 25, v171 :: v_dual_lshlrev_b32 v177, 24, v171
	v_cmp_gt_i32_e64 s16, 0, v172
	v_not_b32_e32 v172, v173
	v_ashrrev_i32_e32 v169, 31, v169
	v_cmp_gt_i32_e64 s17, 0, v173
	v_cmp_gt_i32_e64 s18, 0, v174
	v_not_b32_e32 v173, v174
	v_cmp_gt_i32_e64 s19, 0, v175
	v_not_b32_e32 v174, v175
	;; [unrolled: 2-line block ×3, first 2 shown]
	v_not_b32_e32 v176, v177
	s_delay_alu instid0(VALU_DEP_4) | instskip(SKIP_3) | instid1(VALU_DEP_3)
	v_dual_ashrrev_i32 v174, 31, v174 :: v_dual_bitop2_b32 v61, vcc_lo, v61 bitop3:0x14
	v_dual_ashrrev_i32 v172, 31, v172 :: v_dual_bitop2_b32 v169, s15, v169 bitop3:0x14
	v_dual_ashrrev_i32 v173, 31, v173 :: v_dual_bitop2_b32 v170, s16, v170 bitop3:0x14
	v_cmp_gt_i32_e64 s21, 0, v177
	v_xor_b32_e32 v172, s17, v172
	s_delay_alu instid0(VALU_DEP_4) | instskip(SKIP_2) | instid1(VALU_DEP_3)
	v_bitop3_b32 v61, v61, v169, exec_lo bitop3:0x80
	v_dual_ashrrev_i32 v169, 31, v175 :: v_dual_ashrrev_i32 v175, 31, v176
	v_xor_b32_e32 v174, s19, v174
	v_bitop3_b32 v61, v61, v172, v170 bitop3:0x80
	v_mad_u32_u24 v170, v171, 36, v23
	v_mul_u32_u24_e32 v171, 36, v171
	v_xor_b32_e32 v173, s18, v173
	v_xor_b32_e32 v172, s20, v169
	;; [unrolled: 1-line block ×3, first 2 shown]
	ds_load_b32 v169, v170 offset:1056
	v_add_nc_u32_e32 v171, v23, v171
	v_bitop3_b32 v61, v61, v174, v173 bitop3:0x80
	; wave barrier
	s_delay_alu instid0(VALU_DEP_1) | instskip(NEXT) | instid1(VALU_DEP_1)
	v_bitop3_b32 v61, v61, v175, v172 bitop3:0x80
	v_mbcnt_lo_u32_b32 v170, v61, 0
	v_cmp_ne_u32_e64 s15, 0, v61
	s_delay_alu instid0(VALU_DEP_2) | instskip(SKIP_1) | instid1(SALU_CYCLE_1)
	v_cmp_eq_u32_e32 vcc_lo, 0, v170
	s_and_b32 s16, s15, vcc_lo
	s_and_saveexec_b32 s15, s16
	s_cbranch_execz .LBB1730_1026
; %bb.1025:                             ;   in Loop: Header=BB1730_974 Depth=2
	s_wait_dscnt 0x0
	v_bcnt_u32_b32 v61, v61, v169
	ds_store_b32 v171, v61 offset:1056
.LBB1730_1026:                          ;   in Loop: Header=BB1730_974 Depth=2
	s_or_b32 exec_lo, exec_lo, s15
	v_cmp_gt_i16_e64 vcc_lo, 0, v168
	; wave barrier
	s_delay_alu instid0(VALU_DEP_1) | instskip(NEXT) | instid1(VALU_DEP_1)
	v_cndmask_b32_e64 v61, 0x7fff, 0, vcc_lo
	v_xor_b32_e32 v168, v61, v168
	s_delay_alu instid0(VALU_DEP_1) | instskip(SKIP_1) | instid1(VALU_DEP_1)
	v_cmp_ne_u16_e64 vcc_lo, 0x8000, v168
	v_cndmask_b32_e32 v61, 0x7fff, v168, vcc_lo
	v_and_b32_e32 v61, 0xffff, v61
	s_delay_alu instid0(VALU_DEP_1) | instskip(NEXT) | instid1(VALU_DEP_1)
	v_lshrrev_b32_e32 v61, s49, v61
	v_bitop3_b32 v172, v61, 1, s52 bitop3:0x80
	v_and_b32_e32 v175, s52, v61
	s_delay_alu instid0(VALU_DEP_2) | instskip(NEXT) | instid1(VALU_DEP_1)
	v_add_co_u32 v61, s15, v172, -1
	v_cndmask_b32_e64 v172, 0, 1, s15
	s_delay_alu instid0(VALU_DEP_3) | instskip(NEXT) | instid1(VALU_DEP_2)
	v_lshlrev_b32_e32 v173, 30, v175
	v_cmp_ne_u32_e32 vcc_lo, 0, v172
	s_delay_alu instid0(VALU_DEP_2) | instskip(NEXT) | instid1(VALU_DEP_1)
	v_not_b32_e32 v172, v173
	v_dual_ashrrev_i32 v172, 31, v172 :: v_dual_lshlrev_b32 v174, 29, v175
	v_dual_lshlrev_b32 v176, 28, v175 :: v_dual_lshlrev_b32 v177, 27, v175
	v_lshlrev_b32_e32 v178, 26, v175
	v_cmp_gt_i32_e64 s15, 0, v173
	s_delay_alu instid0(VALU_DEP_4)
	v_cmp_gt_i32_e64 s16, 0, v174
	v_not_b32_e32 v173, v174
	v_not_b32_e32 v174, v176
	v_dual_lshlrev_b32 v179, 25, v175 :: v_dual_lshlrev_b32 v180, 24, v175
	v_cmp_gt_i32_e64 s17, 0, v176
	v_cmp_gt_i32_e64 s18, 0, v177
	v_not_b32_e32 v176, v177
	v_not_b32_e32 v177, v178
	v_dual_ashrrev_i32 v174, 31, v174 :: v_dual_bitop2_b32 v61, vcc_lo, v61 bitop3:0x14
	v_dual_ashrrev_i32 v173, 31, v173 :: v_dual_bitop2_b32 v172, s15, v172 bitop3:0x14
	v_cmp_gt_i32_e64 s19, 0, v178
	v_cmp_gt_i32_e64 s20, 0, v179
	v_not_b32_e32 v178, v179
	v_not_b32_e32 v179, v180
	v_dual_ashrrev_i32 v176, 31, v176 :: v_dual_ashrrev_i32 v177, 31, v177
	v_xor_b32_e32 v173, s16, v173
	v_xor_b32_e32 v174, s17, v174
	v_bitop3_b32 v61, v61, v172, exec_lo bitop3:0x80
	v_cmp_gt_i32_e64 s21, 0, v180
	v_dual_ashrrev_i32 v172, 31, v178 :: v_dual_ashrrev_i32 v178, 31, v179
	v_xor_b32_e32 v176, s18, v176
	v_xor_b32_e32 v177, s19, v177
	v_bitop3_b32 v61, v61, v174, v173 bitop3:0x80
	v_mad_u32_u24 v173, v175, 36, v23
	v_xor_b32_e32 v172, s20, v172
	v_xor_b32_e32 v174, s21, v178
	s_delay_alu instid0(VALU_DEP_4) | instskip(SKIP_3) | instid1(VALU_DEP_2)
	v_bitop3_b32 v61, v61, v177, v176 bitop3:0x80
	ds_load_b32 v173, v173 offset:1056
	; wave barrier
	v_bitop3_b32 v61, v61, v174, v172 bitop3:0x80
	v_mul_u32_u24_e32 v172, 36, v175
	v_mbcnt_lo_u32_b32 v174, v61, 0
	v_cmp_ne_u32_e64 s15, 0, v61
	s_delay_alu instid0(VALU_DEP_3) | instskip(NEXT) | instid1(VALU_DEP_3)
	v_add_nc_u32_e32 v175, v23, v172
	v_cmp_eq_u32_e32 vcc_lo, 0, v174
	s_and_b32 s16, s15, vcc_lo
	s_delay_alu instid0(SALU_CYCLE_1)
	s_and_saveexec_b32 s15, s16
	s_cbranch_execz .LBB1730_1028
; %bb.1027:                             ;   in Loop: Header=BB1730_974 Depth=2
	s_wait_dscnt 0x0
	v_bcnt_u32_b32 v61, v61, v173
	ds_store_b32 v175, v61 offset:1056
.LBB1730_1028:                          ;   in Loop: Header=BB1730_974 Depth=2
	s_or_b32 exec_lo, exec_lo, s15
	v_cmp_gt_i16_e32 vcc_lo, 0, v67
	; wave barrier
	v_cndmask_b32_e64 v61, 0x7fff, 0, vcc_lo
	s_delay_alu instid0(VALU_DEP_1) | instskip(NEXT) | instid1(VALU_DEP_1)
	v_xor_b32_e32 v172, v61, v67
	v_cmp_ne_u16_e64 vcc_lo, 0x8000, v172
	v_cndmask_b32_e32 v61, 0x7fff, v172, vcc_lo
	s_delay_alu instid0(VALU_DEP_1) | instskip(NEXT) | instid1(VALU_DEP_1)
	v_and_b32_e32 v61, 0xffff, v61
	v_lshrrev_b32_e32 v61, s49, v61
	s_delay_alu instid0(VALU_DEP_1) | instskip(SKIP_1) | instid1(VALU_DEP_2)
	v_bitop3_b32 v67, v61, 1, s52 bitop3:0x80
	v_and_b32_e32 v176, s52, v61
	v_add_co_u32 v61, s15, v67, -1
	s_delay_alu instid0(VALU_DEP_1) | instskip(NEXT) | instid1(VALU_DEP_3)
	v_cndmask_b32_e64 v67, 0, 1, s15
	v_lshlrev_b32_e32 v177, 30, v176
	s_delay_alu instid0(VALU_DEP_2) | instskip(NEXT) | instid1(VALU_DEP_2)
	v_cmp_ne_u32_e32 vcc_lo, 0, v67
	v_not_b32_e32 v67, v177
	s_delay_alu instid0(VALU_DEP_1) | instskip(SKIP_4) | instid1(VALU_DEP_4)
	v_dual_ashrrev_i32 v67, 31, v67 :: v_dual_bitop2_b32 v61, vcc_lo, v61 bitop3:0x14
	v_dual_lshlrev_b32 v178, 29, v176 :: v_dual_lshlrev_b32 v179, 28, v176
	v_dual_lshlrev_b32 v180, 27, v176 :: v_dual_lshlrev_b32 v181, 26, v176
	v_lshlrev_b32_e32 v182, 25, v176
	v_cmp_gt_i32_e64 s15, 0, v177
	v_cmp_gt_i32_e64 s16, 0, v178
	v_not_b32_e32 v177, v178
	v_not_b32_e32 v178, v179
	v_lshlrev_b32_e32 v183, 24, v176
	v_cmp_gt_i32_e64 s17, 0, v179
	v_cmp_gt_i32_e64 s18, 0, v180
	v_not_b32_e32 v179, v180
	v_not_b32_e32 v180, v181
	v_dual_ashrrev_i32 v177, 31, v177 :: v_dual_bitop2_b32 v67, s15, v67 bitop3:0x14
	v_ashrrev_i32_e32 v178, 31, v178
	v_cmp_gt_i32_e64 s19, 0, v181
	v_cmp_gt_i32_e64 s20, 0, v182
	v_not_b32_e32 v181, v182
	v_not_b32_e32 v182, v183
	v_dual_ashrrev_i32 v179, 31, v179 :: v_dual_ashrrev_i32 v180, 31, v180
	v_xor_b32_e32 v177, s16, v177
	v_xor_b32_e32 v178, s17, v178
	v_bitop3_b32 v61, v61, v67, exec_lo bitop3:0x80
	v_cmp_gt_i32_e64 s21, 0, v183
	v_dual_ashrrev_i32 v67, 31, v181 :: v_dual_ashrrev_i32 v181, 31, v182
	v_xor_b32_e32 v179, s18, v179
	v_xor_b32_e32 v180, s19, v180
	v_bitop3_b32 v61, v61, v178, v177 bitop3:0x80
	v_mad_u32_u24 v177, v176, 36, v23
	v_xor_b32_e32 v67, s20, v67
	v_xor_b32_e32 v178, s21, v181
	s_delay_alu instid0(VALU_DEP_4) | instskip(SKIP_3) | instid1(VALU_DEP_2)
	v_bitop3_b32 v61, v61, v180, v179 bitop3:0x80
	ds_load_b32 v177, v177 offset:1056
	; wave barrier
	v_bitop3_b32 v61, v61, v178, v67 bitop3:0x80
	v_mul_u32_u24_e32 v67, 36, v176
	v_mbcnt_lo_u32_b32 v178, v61, 0
	v_cmp_ne_u32_e64 s15, 0, v61
	s_delay_alu instid0(VALU_DEP_3) | instskip(NEXT) | instid1(VALU_DEP_3)
	v_add_nc_u32_e32 v179, v23, v67
	v_cmp_eq_u32_e32 vcc_lo, 0, v178
	s_and_b32 s16, s15, vcc_lo
	s_delay_alu instid0(SALU_CYCLE_1)
	s_and_saveexec_b32 s15, s16
	s_cbranch_execz .LBB1730_1030
; %bb.1029:                             ;   in Loop: Header=BB1730_974 Depth=2
	s_wait_dscnt 0x0
	v_bcnt_u32_b32 v61, v61, v177
	ds_store_b32 v179, v61 offset:1056
.LBB1730_1030:                          ;   in Loop: Header=BB1730_974 Depth=2
	s_or_b32 exec_lo, exec_lo, s15
	v_cmp_gt_i16_e32 vcc_lo, 0, v66
	; wave barrier
	v_cndmask_b32_e64 v61, 0x7fff, 0, vcc_lo
	s_delay_alu instid0(VALU_DEP_1) | instskip(NEXT) | instid1(VALU_DEP_1)
	v_xor_b32_e32 v176, v61, v66
	v_cmp_ne_u16_e64 vcc_lo, 0x8000, v176
	v_cndmask_b32_e32 v61, 0x7fff, v176, vcc_lo
	s_delay_alu instid0(VALU_DEP_1) | instskip(NEXT) | instid1(VALU_DEP_1)
	v_and_b32_e32 v61, 0xffff, v61
	v_lshrrev_b32_e32 v61, s49, v61
	s_delay_alu instid0(VALU_DEP_1) | instskip(SKIP_1) | instid1(VALU_DEP_2)
	v_bitop3_b32 v66, v61, 1, s52 bitop3:0x80
	v_and_b32_e32 v67, s52, v61
	v_add_co_u32 v61, s15, v66, -1
	s_delay_alu instid0(VALU_DEP_1) | instskip(NEXT) | instid1(VALU_DEP_3)
	v_cndmask_b32_e64 v66, 0, 1, s15
	v_lshlrev_b32_e32 v180, 30, v67
	s_delay_alu instid0(VALU_DEP_2) | instskip(NEXT) | instid1(VALU_DEP_2)
	v_cmp_ne_u32_e32 vcc_lo, 0, v66
	v_not_b32_e32 v66, v180
	v_cmp_gt_i32_e64 s15, 0, v180
	s_delay_alu instid0(VALU_DEP_2) | instskip(SKIP_3) | instid1(VALU_DEP_4)
	v_dual_ashrrev_i32 v66, 31, v66 :: v_dual_lshlrev_b32 v181, 29, v67
	v_dual_lshlrev_b32 v182, 28, v67 :: v_dual_lshlrev_b32 v183, 27, v67
	v_dual_lshlrev_b32 v184, 26, v67 :: v_dual_lshlrev_b32 v185, 25, v67
	v_lshlrev_b32_e32 v186, 24, v67
	v_cmp_gt_i32_e64 s16, 0, v181
	v_not_b32_e32 v180, v181
	v_not_b32_e32 v181, v182
	v_cmp_gt_i32_e64 s17, 0, v182
	v_cmp_gt_i32_e64 s18, 0, v183
	v_not_b32_e32 v182, v183
	v_not_b32_e32 v183, v184
	v_dual_ashrrev_i32 v180, 31, v180 :: v_dual_bitop2_b32 v61, vcc_lo, v61 bitop3:0x14
	v_dual_ashrrev_i32 v181, 31, v181 :: v_dual_bitop2_b32 v66, s15, v66 bitop3:0x14
	v_cmp_gt_i32_e64 s19, 0, v184
	v_cmp_gt_i32_e64 s20, 0, v185
	v_not_b32_e32 v184, v185
	v_not_b32_e32 v185, v186
	v_dual_ashrrev_i32 v182, 31, v182 :: v_dual_ashrrev_i32 v183, 31, v183
	v_xor_b32_e32 v180, s16, v180
	v_xor_b32_e32 v181, s17, v181
	v_bitop3_b32 v61, v61, v66, exec_lo bitop3:0x80
	v_cmp_gt_i32_e64 s21, 0, v186
	v_dual_ashrrev_i32 v66, 31, v184 :: v_dual_ashrrev_i32 v184, 31, v185
	v_xor_b32_e32 v182, s18, v182
	v_xor_b32_e32 v183, s19, v183
	v_bitop3_b32 v61, v61, v181, v180 bitop3:0x80
	v_mad_u32_u24 v180, v67, 36, v23
	v_xor_b32_e32 v66, s20, v66
	v_xor_b32_e32 v184, s21, v184
	s_delay_alu instid0(VALU_DEP_4) | instskip(SKIP_3) | instid1(VALU_DEP_2)
	v_bitop3_b32 v61, v61, v183, v182 bitop3:0x80
	ds_load_b32 v181, v180 offset:1056
	; wave barrier
	v_bitop3_b32 v61, v61, v184, v66 bitop3:0x80
	v_mul_u32_u24_e32 v66, 36, v67
	v_mbcnt_lo_u32_b32 v182, v61, 0
	v_cmp_ne_u32_e64 s15, 0, v61
	s_delay_alu instid0(VALU_DEP_3) | instskip(NEXT) | instid1(VALU_DEP_3)
	v_add_nc_u32_e32 v183, v23, v66
	v_cmp_eq_u32_e32 vcc_lo, 0, v182
	s_and_b32 s16, s15, vcc_lo
	s_delay_alu instid0(SALU_CYCLE_1)
	s_and_saveexec_b32 s15, s16
	s_cbranch_execz .LBB1730_1032
; %bb.1031:                             ;   in Loop: Header=BB1730_974 Depth=2
	s_wait_dscnt 0x0
	v_bcnt_u32_b32 v61, v61, v181
	ds_store_b32 v183, v61 offset:1056
.LBB1730_1032:                          ;   in Loop: Header=BB1730_974 Depth=2
	s_or_b32 exec_lo, exec_lo, s15
	v_cmp_gt_i16_e32 vcc_lo, 0, v65
	; wave barrier
	v_cndmask_b32_e64 v61, 0x7fff, 0, vcc_lo
	s_delay_alu instid0(VALU_DEP_1) | instskip(NEXT) | instid1(VALU_DEP_1)
	v_xor_b32_e32 v180, v61, v65
	v_cmp_ne_u16_e64 vcc_lo, 0x8000, v180
	v_cndmask_b32_e32 v61, 0x7fff, v180, vcc_lo
	s_delay_alu instid0(VALU_DEP_1) | instskip(NEXT) | instid1(VALU_DEP_1)
	v_and_b32_e32 v61, 0xffff, v61
	v_lshrrev_b32_e32 v61, s49, v61
	s_delay_alu instid0(VALU_DEP_1) | instskip(NEXT) | instid1(VALU_DEP_1)
	v_and_b32_e32 v66, s52, v61
	v_lshlrev_b32_e32 v185, 28, v66
	v_bitop3_b32 v65, v61, 1, s52 bitop3:0x80
	v_dual_lshlrev_b32 v67, 30, v66 :: v_dual_lshlrev_b32 v184, 29, v66
	s_delay_alu instid0(VALU_DEP_3) | instskip(NEXT) | instid1(VALU_DEP_3)
	v_cmp_gt_i32_e64 s17, 0, v185
	v_add_co_u32 v61, s15, v65, -1
	s_delay_alu instid0(VALU_DEP_1) | instskip(NEXT) | instid1(VALU_DEP_4)
	v_cndmask_b32_e64 v65, 0, 1, s15
	v_cmp_gt_i32_e64 s15, 0, v67
	v_cmp_gt_i32_e64 s16, 0, v184
	s_delay_alu instid0(VALU_DEP_3) | instskip(SKIP_3) | instid1(VALU_DEP_2)
	v_cmp_ne_u32_e32 vcc_lo, 0, v65
	v_not_b32_e32 v65, v67
	v_not_b32_e32 v67, v184
	;; [unrolled: 1-line block ×3, first 2 shown]
	v_dual_ashrrev_i32 v65, 31, v65 :: v_dual_ashrrev_i32 v67, 31, v67
	v_dual_lshlrev_b32 v186, 27, v66 :: v_dual_lshlrev_b32 v187, 26, v66
	v_dual_lshlrev_b32 v188, 25, v66 :: v_dual_lshlrev_b32 v189, 24, v66
	s_delay_alu instid0(VALU_DEP_4) | instskip(NEXT) | instid1(VALU_DEP_3)
	v_ashrrev_i32_e32 v184, 31, v184
	v_cmp_gt_i32_e64 s18, 0, v186
	v_not_b32_e32 v185, v186
	v_cmp_gt_i32_e64 s19, 0, v187
	v_not_b32_e32 v186, v187
	;; [unrolled: 2-line block ×3, first 2 shown]
	v_not_b32_e32 v188, v189
	s_delay_alu instid0(VALU_DEP_4) | instskip(SKIP_4) | instid1(VALU_DEP_4)
	v_dual_ashrrev_i32 v186, 31, v186 :: v_dual_bitop2_b32 v61, vcc_lo, v61 bitop3:0x14
	v_xor_b32_e32 v65, s15, v65
	v_dual_ashrrev_i32 v185, 31, v185 :: v_dual_bitop2_b32 v67, s16, v67 bitop3:0x14
	v_xor_b32_e32 v184, s17, v184
	v_cmp_gt_i32_e64 s21, 0, v189
	v_bitop3_b32 v61, v61, v65, exec_lo bitop3:0x80
	v_dual_ashrrev_i32 v65, 31, v187 :: v_dual_ashrrev_i32 v187, 31, v188
	v_xor_b32_e32 v185, s18, v185
	v_xor_b32_e32 v186, s19, v186
	s_delay_alu instid0(VALU_DEP_4) | instskip(SKIP_3) | instid1(VALU_DEP_4)
	v_bitop3_b32 v61, v61, v184, v67 bitop3:0x80
	v_mad_u32_u24 v67, v66, 36, v23
	v_xor_b32_e32 v65, s20, v65
	v_xor_b32_e32 v184, s21, v187
	v_bitop3_b32 v61, v61, v186, v185 bitop3:0x80
	ds_load_b32 v185, v67 offset:1056
	; wave barrier
	v_bitop3_b32 v61, v61, v184, v65 bitop3:0x80
	v_mul_u32_u24_e32 v65, 36, v66
	s_delay_alu instid0(VALU_DEP_2) | instskip(SKIP_1) | instid1(VALU_DEP_3)
	v_mbcnt_lo_u32_b32 v186, v61, 0
	v_cmp_ne_u32_e64 s15, 0, v61
	v_add_nc_u32_e32 v187, v23, v65
	s_delay_alu instid0(VALU_DEP_3) | instskip(SKIP_1) | instid1(SALU_CYCLE_1)
	v_cmp_eq_u32_e32 vcc_lo, 0, v186
	s_and_b32 s16, s15, vcc_lo
	s_and_saveexec_b32 s15, s16
	s_cbranch_execz .LBB1730_1034
; %bb.1033:                             ;   in Loop: Header=BB1730_974 Depth=2
	s_wait_dscnt 0x0
	v_bcnt_u32_b32 v61, v61, v185
	ds_store_b32 v187, v61 offset:1056
.LBB1730_1034:                          ;   in Loop: Header=BB1730_974 Depth=2
	s_or_b32 exec_lo, exec_lo, s15
	v_cmp_gt_i16_e32 vcc_lo, 0, v64
	; wave barrier
	v_cndmask_b32_e64 v61, 0x7fff, 0, vcc_lo
	s_delay_alu instid0(VALU_DEP_1) | instskip(NEXT) | instid1(VALU_DEP_1)
	v_xor_b32_e32 v184, v61, v64
	v_cmp_ne_u16_e64 vcc_lo, 0x8000, v184
	v_cndmask_b32_e32 v61, 0x7fff, v184, vcc_lo
	s_delay_alu instid0(VALU_DEP_1) | instskip(NEXT) | instid1(VALU_DEP_1)
	v_and_b32_e32 v61, 0xffff, v61
	v_lshrrev_b32_e32 v61, s49, v61
	s_delay_alu instid0(VALU_DEP_1) | instskip(SKIP_1) | instid1(VALU_DEP_2)
	v_bitop3_b32 v64, v61, 1, s52 bitop3:0x80
	v_and_b32_e32 v65, s52, v61
	v_add_co_u32 v61, s15, v64, -1
	s_delay_alu instid0(VALU_DEP_2) | instskip(SKIP_1) | instid1(VALU_DEP_2)
	v_lshlrev_b32_e32 v64, 30, v65
	v_cndmask_b32_e64 v192, 0, 1, s15
	v_cmp_gt_i32_e32 vcc_lo, 0, v64
	v_not_b32_e32 v64, v64
	s_delay_alu instid0(VALU_DEP_3) | instskip(NEXT) | instid1(VALU_DEP_2)
	v_cmp_ne_u32_e64 s21, 0, v192
	v_dual_ashrrev_i32 v64, 31, v64 :: v_dual_lshlrev_b32 v66, 29, v65
	v_dual_lshlrev_b32 v67, 28, v65 :: v_dual_lshlrev_b32 v188, 27, v65
	v_dual_lshlrev_b32 v189, 26, v65 :: v_dual_lshlrev_b32 v190, 25, v65
	v_lshlrev_b32_e32 v191, 24, v65
	s_delay_alu instid0(VALU_DEP_4)
	v_cmp_gt_i32_e64 s15, 0, v66
	v_not_b32_e32 v66, v66
	v_cmp_gt_i32_e64 s16, 0, v67
	v_not_b32_e32 v67, v67
	;; [unrolled: 2-line block ×4, first 2 shown]
	v_dual_ashrrev_i32 v66, 31, v66 :: v_dual_ashrrev_i32 v67, 31, v67
	s_delay_alu instid0(VALU_DEP_4) | instskip(NEXT) | instid1(VALU_DEP_3)
	v_dual_ashrrev_i32 v188, 31, v188 :: v_dual_bitop2_b32 v61, s21, v61 bitop3:0x14
	v_dual_ashrrev_i32 v189, 31, v189 :: v_dual_bitop2_b32 v64, vcc_lo, v64 bitop3:0x14
	v_cmp_gt_i32_e64 s19, 0, v190
	v_not_b32_e32 v190, v190
	v_cmp_gt_i32_e64 s20, 0, v191
	v_not_b32_e32 v191, v191
	v_xor_b32_e32 v66, s15, v66
	v_xor_b32_e32 v67, s16, v67
	v_bitop3_b32 v61, v61, v64, exec_lo bitop3:0x80
	s_delay_alu instid0(VALU_DEP_4) | instskip(SKIP_2) | instid1(VALU_DEP_4)
	v_dual_ashrrev_i32 v64, 31, v190 :: v_dual_ashrrev_i32 v190, 31, v191
	v_xor_b32_e32 v188, s17, v188
	v_xor_b32_e32 v189, s18, v189
	v_bitop3_b32 v61, v61, v67, v66 bitop3:0x80
	v_mad_u32_u24 v66, v65, 36, v23
	v_xor_b32_e32 v64, s19, v64
	v_xor_b32_e32 v67, s20, v190
	s_delay_alu instid0(VALU_DEP_4) | instskip(SKIP_3) | instid1(VALU_DEP_2)
	v_bitop3_b32 v61, v61, v189, v188 bitop3:0x80
	ds_load_b32 v189, v66 offset:1056
	; wave barrier
	v_bitop3_b32 v61, v61, v67, v64 bitop3:0x80
	v_mul_u32_u24_e32 v64, 36, v65
	v_mbcnt_lo_u32_b32 v190, v61, 0
	v_cmp_ne_u32_e64 s15, 0, v61
	s_delay_alu instid0(VALU_DEP_3) | instskip(NEXT) | instid1(VALU_DEP_3)
	v_add_nc_u32_e32 v191, v23, v64
	v_cmp_eq_u32_e32 vcc_lo, 0, v190
	s_and_b32 s16, s15, vcc_lo
	s_delay_alu instid0(SALU_CYCLE_1)
	s_and_saveexec_b32 s15, s16
	s_cbranch_execz .LBB1730_1036
; %bb.1035:                             ;   in Loop: Header=BB1730_974 Depth=2
	s_wait_dscnt 0x0
	v_bcnt_u32_b32 v61, v61, v189
	ds_store_b32 v191, v61 offset:1056
.LBB1730_1036:                          ;   in Loop: Header=BB1730_974 Depth=2
	s_or_b32 exec_lo, exec_lo, s15
	v_cmp_gt_i16_e32 vcc_lo, 0, v63
	; wave barrier
	v_cndmask_b32_e64 v61, 0x7fff, 0, vcc_lo
	s_delay_alu instid0(VALU_DEP_1) | instskip(NEXT) | instid1(VALU_DEP_1)
	v_xor_b32_e32 v188, v61, v63
	v_cmp_ne_u16_e64 vcc_lo, 0x8000, v188
	v_cndmask_b32_e32 v61, 0x7fff, v188, vcc_lo
	s_delay_alu instid0(VALU_DEP_1) | instskip(NEXT) | instid1(VALU_DEP_1)
	v_and_b32_e32 v61, 0xffff, v61
	v_lshrrev_b32_e32 v61, s49, v61
	s_delay_alu instid0(VALU_DEP_1) | instskip(SKIP_1) | instid1(VALU_DEP_2)
	v_bitop3_b32 v63, v61, 1, s52 bitop3:0x80
	v_and_b32_e32 v64, s52, v61
	v_add_co_u32 v61, s15, v63, -1
	s_delay_alu instid0(VALU_DEP_1) | instskip(NEXT) | instid1(VALU_DEP_3)
	v_cndmask_b32_e64 v63, 0, 1, s15
	v_lshlrev_b32_e32 v65, 30, v64
	s_delay_alu instid0(VALU_DEP_2) | instskip(NEXT) | instid1(VALU_DEP_2)
	v_cmp_ne_u32_e32 vcc_lo, 0, v63
	v_not_b32_e32 v63, v65
	s_delay_alu instid0(VALU_DEP_1) | instskip(SKIP_4) | instid1(VALU_DEP_4)
	v_dual_ashrrev_i32 v63, 31, v63 :: v_dual_bitop2_b32 v61, vcc_lo, v61 bitop3:0x14
	v_dual_lshlrev_b32 v66, 29, v64 :: v_dual_lshlrev_b32 v67, 28, v64
	v_dual_lshlrev_b32 v192, 27, v64 :: v_dual_lshlrev_b32 v193, 26, v64
	v_lshlrev_b32_e32 v194, 25, v64
	v_cmp_gt_i32_e64 s15, 0, v65
	v_cmp_gt_i32_e64 s16, 0, v66
	v_not_b32_e32 v65, v66
	v_not_b32_e32 v66, v67
	v_lshlrev_b32_e32 v195, 24, v64
	v_cmp_gt_i32_e64 s17, 0, v67
	v_cmp_gt_i32_e64 s18, 0, v192
	v_not_b32_e32 v67, v192
	v_not_b32_e32 v192, v193
	v_dual_ashrrev_i32 v65, 31, v65 :: v_dual_bitop2_b32 v63, s15, v63 bitop3:0x14
	v_ashrrev_i32_e32 v66, 31, v66
	v_cmp_gt_i32_e64 s19, 0, v193
	v_cmp_gt_i32_e64 s20, 0, v194
	v_not_b32_e32 v193, v194
	v_not_b32_e32 v194, v195
	v_dual_ashrrev_i32 v67, 31, v67 :: v_dual_ashrrev_i32 v192, 31, v192
	v_xor_b32_e32 v65, s16, v65
	v_xor_b32_e32 v66, s17, v66
	v_bitop3_b32 v61, v61, v63, exec_lo bitop3:0x80
	v_cmp_gt_i32_e64 s21, 0, v195
	v_dual_ashrrev_i32 v63, 31, v193 :: v_dual_ashrrev_i32 v193, 31, v194
	v_xor_b32_e32 v67, s18, v67
	v_xor_b32_e32 v192, s19, v192
	v_bitop3_b32 v61, v61, v66, v65 bitop3:0x80
	v_mad_u32_u24 v65, v64, 36, v23
	v_xor_b32_e32 v63, s20, v63
	v_xor_b32_e32 v66, s21, v193
	s_delay_alu instid0(VALU_DEP_4) | instskip(SKIP_3) | instid1(VALU_DEP_2)
	v_bitop3_b32 v61, v61, v192, v67 bitop3:0x80
	ds_load_b32 v193, v65 offset:1056
	; wave barrier
	v_bitop3_b32 v61, v61, v66, v63 bitop3:0x80
	v_mul_u32_u24_e32 v63, 36, v64
	v_mbcnt_lo_u32_b32 v194, v61, 0
	v_cmp_ne_u32_e64 s15, 0, v61
	s_delay_alu instid0(VALU_DEP_3) | instskip(NEXT) | instid1(VALU_DEP_3)
	v_add_nc_u32_e32 v195, v23, v63
	v_cmp_eq_u32_e32 vcc_lo, 0, v194
	s_and_b32 s16, s15, vcc_lo
	s_delay_alu instid0(SALU_CYCLE_1)
	s_and_saveexec_b32 s15, s16
	s_cbranch_execz .LBB1730_1038
; %bb.1037:                             ;   in Loop: Header=BB1730_974 Depth=2
	s_wait_dscnt 0x0
	v_bcnt_u32_b32 v61, v61, v193
	ds_store_b32 v195, v61 offset:1056
.LBB1730_1038:                          ;   in Loop: Header=BB1730_974 Depth=2
	s_or_b32 exec_lo, exec_lo, s15
	v_cmp_gt_i16_e32 vcc_lo, 0, v62
	; wave barrier
	v_cndmask_b32_e64 v61, 0x7fff, 0, vcc_lo
	s_delay_alu instid0(VALU_DEP_1) | instskip(NEXT) | instid1(VALU_DEP_1)
	v_xor_b32_e32 v192, v61, v62
	v_cmp_ne_u16_e64 vcc_lo, 0x8000, v192
	v_cndmask_b32_e32 v61, 0x7fff, v192, vcc_lo
	s_delay_alu instid0(VALU_DEP_1) | instskip(NEXT) | instid1(VALU_DEP_1)
	v_and_b32_e32 v61, 0xffff, v61
	v_lshrrev_b32_e32 v61, s49, v61
	s_delay_alu instid0(VALU_DEP_1) | instskip(SKIP_1) | instid1(VALU_DEP_2)
	v_bitop3_b32 v62, v61, 1, s52 bitop3:0x80
	v_and_b32_e32 v63, s52, v61
	v_add_co_u32 v61, s15, v62, -1
	s_delay_alu instid0(VALU_DEP_1) | instskip(NEXT) | instid1(VALU_DEP_3)
	v_cndmask_b32_e64 v62, 0, 1, s15
	v_lshlrev_b32_e32 v64, 30, v63
	s_delay_alu instid0(VALU_DEP_2) | instskip(NEXT) | instid1(VALU_DEP_2)
	v_cmp_ne_u32_e32 vcc_lo, 0, v62
	v_not_b32_e32 v62, v64
	v_cmp_gt_i32_e64 s15, 0, v64
	s_delay_alu instid0(VALU_DEP_2) | instskip(SKIP_3) | instid1(VALU_DEP_4)
	v_dual_ashrrev_i32 v62, 31, v62 :: v_dual_lshlrev_b32 v65, 29, v63
	v_dual_lshlrev_b32 v66, 28, v63 :: v_dual_lshlrev_b32 v67, 27, v63
	v_dual_lshlrev_b32 v196, 26, v63 :: v_dual_lshlrev_b32 v197, 25, v63
	v_lshlrev_b32_e32 v198, 24, v63
	v_cmp_gt_i32_e64 s16, 0, v65
	v_not_b32_e32 v64, v65
	v_not_b32_e32 v65, v66
	v_cmp_gt_i32_e64 s17, 0, v66
	v_cmp_gt_i32_e64 s18, 0, v67
	v_not_b32_e32 v66, v67
	v_not_b32_e32 v67, v196
	v_dual_ashrrev_i32 v64, 31, v64 :: v_dual_bitop2_b32 v61, vcc_lo, v61 bitop3:0x14
	v_dual_ashrrev_i32 v65, 31, v65 :: v_dual_bitop2_b32 v62, s15, v62 bitop3:0x14
	v_cmp_gt_i32_e64 s19, 0, v196
	v_cmp_gt_i32_e64 s20, 0, v197
	v_not_b32_e32 v196, v197
	v_not_b32_e32 v197, v198
	v_dual_ashrrev_i32 v66, 31, v66 :: v_dual_ashrrev_i32 v67, 31, v67
	v_xor_b32_e32 v64, s16, v64
	v_xor_b32_e32 v65, s17, v65
	v_bitop3_b32 v61, v61, v62, exec_lo bitop3:0x80
	v_cmp_gt_i32_e64 s21, 0, v198
	v_dual_ashrrev_i32 v62, 31, v196 :: v_dual_ashrrev_i32 v196, 31, v197
	v_xor_b32_e32 v66, s18, v66
	v_xor_b32_e32 v67, s19, v67
	v_bitop3_b32 v61, v61, v65, v64 bitop3:0x80
	v_mad_u32_u24 v64, v63, 36, v23
	v_xor_b32_e32 v62, s20, v62
	v_xor_b32_e32 v65, s21, v196
	s_delay_alu instid0(VALU_DEP_4) | instskip(SKIP_3) | instid1(VALU_DEP_2)
	v_bitop3_b32 v61, v61, v67, v66 bitop3:0x80
	ds_load_b32 v197, v64 offset:1056
	; wave barrier
	v_bitop3_b32 v61, v61, v65, v62 bitop3:0x80
	v_mul_u32_u24_e32 v62, 36, v63
	v_mbcnt_lo_u32_b32 v198, v61, 0
	v_cmp_ne_u32_e64 s15, 0, v61
	s_delay_alu instid0(VALU_DEP_3) | instskip(NEXT) | instid1(VALU_DEP_3)
	v_add_nc_u32_e32 v199, v23, v62
	v_cmp_eq_u32_e32 vcc_lo, 0, v198
	s_and_b32 s16, s15, vcc_lo
	s_delay_alu instid0(SALU_CYCLE_1)
	s_and_saveexec_b32 s15, s16
	s_cbranch_execz .LBB1730_1040
; %bb.1039:                             ;   in Loop: Header=BB1730_974 Depth=2
	s_wait_dscnt 0x0
	v_bcnt_u32_b32 v61, v61, v197
	ds_store_b32 v199, v61 offset:1056
.LBB1730_1040:                          ;   in Loop: Header=BB1730_974 Depth=2
	s_or_b32 exec_lo, exec_lo, s15
	v_cmp_gt_i16_e32 vcc_lo, 0, v60
	; wave barrier
	v_cndmask_b32_e64 v61, 0x7fff, 0, vcc_lo
	s_delay_alu instid0(VALU_DEP_1) | instskip(NEXT) | instid1(VALU_DEP_1)
	v_xor_b32_e32 v196, v61, v60
	v_cmp_ne_u16_e64 vcc_lo, 0x8000, v196
	v_cndmask_b32_e32 v60, 0x7fff, v196, vcc_lo
	s_delay_alu instid0(VALU_DEP_1) | instskip(NEXT) | instid1(VALU_DEP_1)
	v_and_b32_e32 v60, 0xffff, v60
	v_lshrrev_b32_e32 v60, s49, v60
	s_delay_alu instid0(VALU_DEP_1) | instskip(SKIP_1) | instid1(VALU_DEP_2)
	v_bitop3_b32 v61, v60, 1, s52 bitop3:0x80
	v_and_b32_e32 v62, s52, v60
	v_add_co_u32 v60, s15, v61, -1
	s_delay_alu instid0(VALU_DEP_1) | instskip(NEXT) | instid1(VALU_DEP_3)
	v_cndmask_b32_e64 v61, 0, 1, s15
	v_lshlrev_b32_e32 v63, 30, v62
	s_delay_alu instid0(VALU_DEP_2) | instskip(NEXT) | instid1(VALU_DEP_2)
	v_cmp_ne_u32_e32 vcc_lo, 0, v61
	v_not_b32_e32 v61, v63
	v_cmp_gt_i32_e64 s15, 0, v63
	s_delay_alu instid0(VALU_DEP_2) | instskip(SKIP_3) | instid1(VALU_DEP_4)
	v_dual_ashrrev_i32 v61, 31, v61 :: v_dual_lshlrev_b32 v64, 29, v62
	v_dual_lshlrev_b32 v65, 28, v62 :: v_dual_lshlrev_b32 v66, 27, v62
	v_dual_lshlrev_b32 v67, 26, v62 :: v_dual_lshlrev_b32 v200, 25, v62
	v_lshlrev_b32_e32 v201, 24, v62
	v_cmp_gt_i32_e64 s16, 0, v64
	v_not_b32_e32 v63, v64
	v_not_b32_e32 v64, v65
	v_cmp_gt_i32_e64 s17, 0, v65
	v_cmp_gt_i32_e64 s18, 0, v66
	v_not_b32_e32 v65, v66
	v_not_b32_e32 v66, v67
	v_dual_ashrrev_i32 v63, 31, v63 :: v_dual_bitop2_b32 v60, vcc_lo, v60 bitop3:0x14
	v_dual_ashrrev_i32 v64, 31, v64 :: v_dual_bitop2_b32 v61, s15, v61 bitop3:0x14
	v_cmp_gt_i32_e64 s19, 0, v67
	v_cmp_gt_i32_e64 s20, 0, v200
	v_not_b32_e32 v67, v200
	v_not_b32_e32 v200, v201
	v_dual_ashrrev_i32 v65, 31, v65 :: v_dual_ashrrev_i32 v66, 31, v66
	v_xor_b32_e32 v63, s16, v63
	v_xor_b32_e32 v64, s17, v64
	v_bitop3_b32 v60, v60, v61, exec_lo bitop3:0x80
	v_cmp_gt_i32_e64 s21, 0, v201
	v_dual_ashrrev_i32 v61, 31, v67 :: v_dual_ashrrev_i32 v67, 31, v200
	v_xor_b32_e32 v65, s18, v65
	v_xor_b32_e32 v66, s19, v66
	v_bitop3_b32 v60, v60, v64, v63 bitop3:0x80
	v_mad_u32_u24 v63, v62, 36, v23
	v_xor_b32_e32 v61, s20, v61
	v_xor_b32_e32 v64, s21, v67
	s_delay_alu instid0(VALU_DEP_4) | instskip(SKIP_3) | instid1(VALU_DEP_2)
	v_bitop3_b32 v60, v60, v66, v65 bitop3:0x80
	ds_load_b32 v200, v63 offset:1056
	; wave barrier
	v_bitop3_b32 v60, v60, v64, v61 bitop3:0x80
	v_mul_u32_u24_e32 v61, 36, v62
	v_mbcnt_lo_u32_b32 v201, v60, 0
	v_cmp_ne_u32_e64 s15, 0, v60
	s_delay_alu instid0(VALU_DEP_3) | instskip(NEXT) | instid1(VALU_DEP_3)
	v_add_nc_u32_e32 v202, v23, v61
	v_cmp_eq_u32_e32 vcc_lo, 0, v201
	s_and_b32 s16, s15, vcc_lo
	s_delay_alu instid0(SALU_CYCLE_1)
	s_and_saveexec_b32 s15, s16
	s_cbranch_execz .LBB1730_1042
; %bb.1041:                             ;   in Loop: Header=BB1730_974 Depth=2
	s_wait_dscnt 0x0
	v_bcnt_u32_b32 v60, v60, v200
	ds_store_b32 v202, v60 offset:1056
.LBB1730_1042:                          ;   in Loop: Header=BB1730_974 Depth=2
	s_or_b32 exec_lo, exec_lo, s15
	; wave barrier
	s_wait_dscnt 0x0
	s_barrier_signal -1
	s_barrier_wait -1
	ds_load_2addr_b32 v[66:67], v118 offset1:1
	ds_load_2addr_b32 v[64:65], v119 offset1:1
	;; [unrolled: 1-line block ×4, first 2 shown]
	ds_load_b32 v203, v91 offset:1088
	s_wait_dscnt 0x3
	v_add3_u32 v204, v67, v66, v64
	s_wait_dscnt 0x2
	s_delay_alu instid0(VALU_DEP_1) | instskip(SKIP_1) | instid1(VALU_DEP_1)
	v_add3_u32 v204, v204, v65, v62
	s_wait_dscnt 0x1
	v_add3_u32 v204, v204, v63, v60
	s_wait_dscnt 0x0
	s_delay_alu instid0(VALU_DEP_1) | instskip(NEXT) | instid1(VALU_DEP_1)
	v_add3_u32 v203, v204, v61, v203
	v_mov_b32_dpp v204, v203 row_shr:1 row_mask:0xf bank_mask:0xf
	s_delay_alu instid0(VALU_DEP_1) | instskip(NEXT) | instid1(VALU_DEP_1)
	v_cndmask_b32_e64 v204, v204, 0, s7
	v_add_nc_u32_e32 v203, v204, v203
	s_delay_alu instid0(VALU_DEP_1) | instskip(NEXT) | instid1(VALU_DEP_1)
	v_mov_b32_dpp v204, v203 row_shr:2 row_mask:0xf bank_mask:0xf
	v_cndmask_b32_e64 v204, 0, v204, s8
	s_delay_alu instid0(VALU_DEP_1) | instskip(NEXT) | instid1(VALU_DEP_1)
	v_add_nc_u32_e32 v203, v203, v204
	v_mov_b32_dpp v204, v203 row_shr:4 row_mask:0xf bank_mask:0xf
	s_delay_alu instid0(VALU_DEP_1) | instskip(NEXT) | instid1(VALU_DEP_1)
	v_cndmask_b32_e64 v204, 0, v204, s9
	v_add_nc_u32_e32 v203, v203, v204
	s_delay_alu instid0(VALU_DEP_1) | instskip(NEXT) | instid1(VALU_DEP_1)
	v_mov_b32_dpp v204, v203 row_shr:8 row_mask:0xf bank_mask:0xf
	v_cndmask_b32_e64 v204, 0, v204, s10
	s_delay_alu instid0(VALU_DEP_1) | instskip(SKIP_3) | instid1(VALU_DEP_1)
	v_add_nc_u32_e32 v203, v203, v204
	ds_swizzle_b32 v204, v203 offset:swizzle(BROADCAST,32,15)
	s_wait_dscnt 0x0
	v_cndmask_b32_e64 v204, v204, 0, s11
	v_add_nc_u32_e32 v203, v203, v204
	s_and_saveexec_b32 s15, s1
; %bb.1043:                             ;   in Loop: Header=BB1730_974 Depth=2
	ds_store_b32 v84, v203 offset:1024
; %bb.1044:                             ;   in Loop: Header=BB1730_974 Depth=2
	s_or_b32 exec_lo, exec_lo, s15
	s_wait_dscnt 0x0
	s_barrier_signal -1
	s_barrier_wait -1
	s_and_saveexec_b32 s15, s4
	s_cbranch_execz .LBB1730_1046
; %bb.1045:                             ;   in Loop: Header=BB1730_974 Depth=2
	ds_load_b32 v204, v92 offset:1024
	s_wait_dscnt 0x0
	v_mov_b32_dpp v205, v204 row_shr:1 row_mask:0xf bank_mask:0xf
	s_delay_alu instid0(VALU_DEP_1) | instskip(NEXT) | instid1(VALU_DEP_1)
	v_cndmask_b32_e64 v205, v205, 0, s12
	v_add_nc_u32_e32 v204, v205, v204
	s_delay_alu instid0(VALU_DEP_1) | instskip(NEXT) | instid1(VALU_DEP_1)
	v_mov_b32_dpp v205, v204 row_shr:2 row_mask:0xf bank_mask:0xf
	v_cndmask_b32_e64 v205, 0, v205, s13
	s_delay_alu instid0(VALU_DEP_1) | instskip(NEXT) | instid1(VALU_DEP_1)
	v_add_nc_u32_e32 v204, v204, v205
	v_mov_b32_dpp v205, v204 row_shr:4 row_mask:0xf bank_mask:0xf
	s_delay_alu instid0(VALU_DEP_1) | instskip(NEXT) | instid1(VALU_DEP_1)
	v_cndmask_b32_e64 v205, 0, v205, s14
	v_add_nc_u32_e32 v204, v204, v205
	ds_store_b32 v92, v204 offset:1024
.LBB1730_1046:                          ;   in Loop: Header=BB1730_974 Depth=2
	s_or_b32 exec_lo, exec_lo, s15
	v_mov_b32_e32 v204, 0
	s_wait_dscnt 0x0
	s_barrier_signal -1
	s_barrier_wait -1
	s_and_saveexec_b32 s15, s5
; %bb.1047:                             ;   in Loop: Header=BB1730_974 Depth=2
	ds_load_b32 v204, v84 offset:1020
; %bb.1048:                             ;   in Loop: Header=BB1730_974 Depth=2
	s_or_b32 exec_lo, exec_lo, s15
	s_wait_dscnt 0x0
	v_add_nc_u32_e32 v203, v204, v203
	ds_bpermute_b32 v203, v122, v203
	s_wait_dscnt 0x0
	v_cndmask_b32_e64 v203, v203, v204, s6
	s_delay_alu instid0(VALU_DEP_1) | instskip(NEXT) | instid1(VALU_DEP_1)
	v_cndmask_b32_e64 v203, v203, 0, s2
	v_add_nc_u32_e32 v66, v203, v66
	s_delay_alu instid0(VALU_DEP_1) | instskip(NEXT) | instid1(VALU_DEP_1)
	v_add_nc_u32_e32 v67, v66, v67
	v_add_nc_u32_e32 v64, v67, v64
	s_delay_alu instid0(VALU_DEP_1) | instskip(NEXT) | instid1(VALU_DEP_1)
	v_add_nc_u32_e32 v65, v64, v65
	;; [unrolled: 3-line block ×3, first 2 shown]
	v_add_nc_u32_e32 v60, v63, v60
	s_delay_alu instid0(VALU_DEP_1)
	v_add_nc_u32_e32 v61, v60, v61
	ds_store_2addr_b32 v121, v63, v60 offset1:1
	ds_store_2addr_b32 v118, v203, v66 offset1:1
	ds_store_2addr_b32 v119, v67, v64 offset1:1
	ds_store_2addr_b32 v120, v65, v62 offset1:1
	ds_store_b32 v91, v61 offset:1088
	s_wait_dscnt 0x0
	s_barrier_signal -1
	s_barrier_wait -1
	ds_load_b32 v63, v143 offset:1056
	ds_load_b32 v65, v147 offset:1056
	;; [unrolled: 1-line block ×17, first 2 shown]
	v_mov_b32_e32 v62, 0x1000
	s_and_saveexec_b32 s15, s3
; %bb.1049:                             ;   in Loop: Header=BB1730_974 Depth=2
	ds_load_b32 v62, v91 offset:1092
; %bb.1050:                             ;   in Loop: Header=BB1730_974 Depth=2
	s_or_b32 exec_lo, exec_lo, s15
	s_wait_dscnt 0x0
	s_barrier_signal -1
	s_barrier_wait -1
	s_and_saveexec_b32 s15, s0
	s_cbranch_execz .LBB1730_1052
; %bb.1051:                             ;   in Loop: Header=BB1730_974 Depth=2
	ds_load_b32 v155, v3
	s_wait_dscnt 0x0
	v_sub_nc_u32_e32 v151, v155, v151
	ds_store_b32 v3, v151
.LBB1730_1052:                          ;   in Loop: Header=BB1730_974 Depth=2
	s_or_b32 exec_lo, exec_lo, s15
	v_add3_u32 v159, v146, v145, v65
	v_add_nc_u32_e32 v163, v63, v142
	v_add3_u32 v155, v150, v149, v66
	v_add3_u32 v151, v154, v153, v67
	;; [unrolled: 1-line block ×4, first 2 shown]
	v_lshlrev_b32_e32 v60, 1, v159
	v_lshlrev_b32_e32 v153, 1, v163
	v_add3_u32 v150, v158, v157, v143
	v_add3_u32 v147, v166, v165, v203
	;; [unrolled: 1-line block ×4, first 2 shown]
	v_lshlrev_b32_e32 v61, 1, v155
	v_add3_u32 v145, v174, v173, v175
	v_lshlrev_b32_e32 v154, 1, v149
	ds_store_b16 v153, v140 offset:1024
	v_lshlrev_b32_e32 v140, 1, v151
	v_add3_u32 v143, v178, v177, v179
	v_lshlrev_b32_e32 v153, 1, v150
	v_add3_u32 v142, v182, v181, v183
	v_add3_u32 v63, v186, v185, v187
	ds_store_b16 v60, v141 offset:1024
	ds_store_b16 v61, v144 offset:1024
	;; [unrolled: 1-line block ×5, first 2 shown]
	v_dual_lshlrev_b32 v60, 1, v147 :: v_dual_lshlrev_b32 v140, 1, v145
	v_lshlrev_b32_e32 v61, 1, v146
	v_add3_u32 v65, v198, v197, v64
	v_dual_lshlrev_b32 v141, 1, v143 :: v_dual_lshlrev_b32 v144, 1, v142
	v_add3_u32 v64, v201, v200, v167
	ds_store_b16 v60, v160 offset:1024
	ds_store_b16 v61, v164 offset:1024
	;; [unrolled: 1-line block ×5, first 2 shown]
	v_dual_lshlrev_b32 v60, 1, v63 :: v_dual_lshlrev_b32 v140, 1, v66
	v_cmp_lt_u32_e32 vcc_lo, v2, v139
	v_dual_lshlrev_b32 v61, 1, v67 :: v_dual_lshlrev_b32 v141, 1, v65
	v_lshlrev_b32_e32 v144, 1, v64
	ds_store_b16 v60, v180 offset:1024
	ds_store_b16 v61, v184 offset:1024
	;; [unrolled: 1-line block ×5, first 2 shown]
	s_wait_dscnt 0x0
	s_barrier_signal -1
	s_barrier_wait -1
	s_and_saveexec_b32 s16, vcc_lo
	s_cbranch_execnz .LBB1730_1121
; %bb.1053:                             ;   in Loop: Header=BB1730_974 Depth=2
	s_or_b32 exec_lo, exec_lo, s16
	v_cmp_lt_u32_e64 s15, v68, v139
	s_and_saveexec_b32 s17, s15
	s_cbranch_execnz .LBB1730_1122
.LBB1730_1054:                          ;   in Loop: Header=BB1730_974 Depth=2
	s_or_b32 exec_lo, exec_lo, s17
	v_cmp_lt_u32_e64 s16, v69, v139
	s_and_saveexec_b32 s18, s16
	s_cbranch_execnz .LBB1730_1123
.LBB1730_1055:                          ;   in Loop: Header=BB1730_974 Depth=2
	s_or_b32 exec_lo, exec_lo, s18
	v_cmp_lt_u32_e64 s17, v70, v139
	s_and_saveexec_b32 s19, s17
	s_cbranch_execnz .LBB1730_1124
.LBB1730_1056:                          ;   in Loop: Header=BB1730_974 Depth=2
	s_or_b32 exec_lo, exec_lo, s19
	v_cmp_lt_u32_e64 s18, v71, v139
	s_and_saveexec_b32 s20, s18
	s_cbranch_execnz .LBB1730_1125
.LBB1730_1057:                          ;   in Loop: Header=BB1730_974 Depth=2
	s_or_b32 exec_lo, exec_lo, s20
	v_cmp_lt_u32_e64 s19, v72, v139
	s_and_saveexec_b32 s21, s19
	s_cbranch_execnz .LBB1730_1126
.LBB1730_1058:                          ;   in Loop: Header=BB1730_974 Depth=2
	s_or_b32 exec_lo, exec_lo, s21
	v_cmp_lt_u32_e64 s20, v73, v139
	s_and_saveexec_b32 s22, s20
	s_cbranch_execnz .LBB1730_1127
.LBB1730_1059:                          ;   in Loop: Header=BB1730_974 Depth=2
	s_or_b32 exec_lo, exec_lo, s22
	v_cmp_lt_u32_e64 s21, v74, v139
	s_and_saveexec_b32 s23, s21
	s_cbranch_execnz .LBB1730_1128
.LBB1730_1060:                          ;   in Loop: Header=BB1730_974 Depth=2
	s_or_b32 exec_lo, exec_lo, s23
	v_cmp_lt_u32_e64 s22, v75, v139
	s_and_saveexec_b32 s24, s22
	s_cbranch_execnz .LBB1730_1129
.LBB1730_1061:                          ;   in Loop: Header=BB1730_974 Depth=2
	s_or_b32 exec_lo, exec_lo, s24
	v_cmp_lt_u32_e64 s23, v76, v139
	s_and_saveexec_b32 s25, s23
	s_cbranch_execnz .LBB1730_1130
.LBB1730_1062:                          ;   in Loop: Header=BB1730_974 Depth=2
	s_or_b32 exec_lo, exec_lo, s25
	v_cmp_lt_u32_e64 s24, v77, v139
	s_and_saveexec_b32 s26, s24
	s_cbranch_execnz .LBB1730_1131
.LBB1730_1063:                          ;   in Loop: Header=BB1730_974 Depth=2
	s_or_b32 exec_lo, exec_lo, s26
	v_cmp_lt_u32_e64 s25, v78, v139
	s_and_saveexec_b32 s27, s25
	s_cbranch_execnz .LBB1730_1132
.LBB1730_1064:                          ;   in Loop: Header=BB1730_974 Depth=2
	s_or_b32 exec_lo, exec_lo, s27
	v_cmp_lt_u32_e64 s26, v79, v139
	s_and_saveexec_b32 s28, s26
	s_cbranch_execnz .LBB1730_1133
.LBB1730_1065:                          ;   in Loop: Header=BB1730_974 Depth=2
	s_or_b32 exec_lo, exec_lo, s28
	v_cmp_lt_u32_e64 s27, v80, v139
	s_and_saveexec_b32 s29, s27
	s_cbranch_execnz .LBB1730_1134
.LBB1730_1066:                          ;   in Loop: Header=BB1730_974 Depth=2
	s_or_b32 exec_lo, exec_lo, s29
	v_cmp_lt_u32_e64 s28, v81, v139
	s_and_saveexec_b32 s30, s28
	s_cbranch_execnz .LBB1730_1135
.LBB1730_1067:                          ;   in Loop: Header=BB1730_974 Depth=2
	s_or_b32 exec_lo, exec_lo, s30
	v_cmp_lt_u32_e64 s29, v82, v139
	s_and_saveexec_b32 s58, s29
	s_cbranch_execz .LBB1730_1069
.LBB1730_1068:                          ;   in Loop: Header=BB1730_974 Depth=2
	ds_load_u16 v60, v93 offset:8704
	s_wait_dscnt 0x0
	v_cmp_ne_u16_e64 s30, 0x8000, v60
	s_delay_alu instid0(VALU_DEP_1) | instskip(SKIP_1) | instid1(VALU_DEP_2)
	v_cndmask_b32_e64 v61, 0x7fff, v60, s30
	v_cmp_gt_i16_e64 s30, 0, v60
	v_and_b32_e32 v61, 0xffff, v61
	s_delay_alu instid0(VALU_DEP_2) | instskip(NEXT) | instid1(VALU_DEP_1)
	v_cndmask_b32_e64 v140, 0x7fff, 0, s30
	v_dual_lshrrev_b32 v61, s49, v61 :: v_dual_bitop2_b32 v60, v140, v60 bitop3:0x14
	s_delay_alu instid0(VALU_DEP_1) | instskip(NEXT) | instid1(VALU_DEP_1)
	v_and_b32_e32 v61, s52, v61
	v_lshlrev_b32_e32 v61, 2, v61
	ds_load_b32 v61, v61
	s_wait_dscnt 0x0
	v_add_nc_u32_e32 v61, v61, v82
	global_store_b16 v61, v60, s[40:41] scale_offset
.LBB1730_1069:                          ;   in Loop: Header=BB1730_974 Depth=2
	s_wait_xcnt 0x0
	s_or_b32 exec_lo, exec_lo, s58
	v_lshl_add_u64 v[60:61], s[42:43], 3, v[24:25]
	v_cmp_lt_u32_e64 s30, v100, v139
	s_and_saveexec_b32 s42, s30
	s_delay_alu instid0(SALU_CYCLE_1)
	s_xor_b32 s30, exec_lo, s42
	s_cbranch_execnz .LBB1730_1136
; %bb.1070:                             ;   in Loop: Header=BB1730_974 Depth=2
	s_or_b32 exec_lo, exec_lo, s30
	s_delay_alu instid0(SALU_CYCLE_1)
	s_mov_b32 s42, exec_lo
	v_cmpx_lt_u32_e64 v103, v139
	s_cbranch_execnz .LBB1730_1137
.LBB1730_1071:                          ;   in Loop: Header=BB1730_974 Depth=2
	s_or_b32 exec_lo, exec_lo, s42
	s_delay_alu instid0(SALU_CYCLE_1)
	s_mov_b32 s42, exec_lo
	v_cmpx_lt_u32_e64 v104, v139
	s_cbranch_execnz .LBB1730_1138
.LBB1730_1072:                          ;   in Loop: Header=BB1730_974 Depth=2
	s_or_b32 exec_lo, exec_lo, s42
	s_delay_alu instid0(SALU_CYCLE_1)
	s_mov_b32 s42, exec_lo
	v_cmpx_lt_u32_e64 v105, v139
	s_cbranch_execnz .LBB1730_1139
.LBB1730_1073:                          ;   in Loop: Header=BB1730_974 Depth=2
	s_or_b32 exec_lo, exec_lo, s42
	s_delay_alu instid0(SALU_CYCLE_1)
	s_mov_b32 s42, exec_lo
	v_cmpx_lt_u32_e64 v106, v139
	s_cbranch_execnz .LBB1730_1140
.LBB1730_1074:                          ;   in Loop: Header=BB1730_974 Depth=2
	s_or_b32 exec_lo, exec_lo, s42
	s_delay_alu instid0(SALU_CYCLE_1)
	s_mov_b32 s42, exec_lo
	v_cmpx_lt_u32_e64 v107, v139
	s_cbranch_execnz .LBB1730_1141
.LBB1730_1075:                          ;   in Loop: Header=BB1730_974 Depth=2
	s_or_b32 exec_lo, exec_lo, s42
	s_delay_alu instid0(SALU_CYCLE_1)
	s_mov_b32 s42, exec_lo
	v_cmpx_lt_u32_e64 v108, v139
	s_cbranch_execnz .LBB1730_1142
.LBB1730_1076:                          ;   in Loop: Header=BB1730_974 Depth=2
	s_or_b32 exec_lo, exec_lo, s42
	s_delay_alu instid0(SALU_CYCLE_1)
	s_mov_b32 s42, exec_lo
	v_cmpx_lt_u32_e64 v109, v139
	s_cbranch_execnz .LBB1730_1143
.LBB1730_1077:                          ;   in Loop: Header=BB1730_974 Depth=2
	s_or_b32 exec_lo, exec_lo, s42
	s_delay_alu instid0(SALU_CYCLE_1)
	s_mov_b32 s42, exec_lo
	v_cmpx_lt_u32_e64 v110, v139
	s_cbranch_execnz .LBB1730_1144
.LBB1730_1078:                          ;   in Loop: Header=BB1730_974 Depth=2
	s_or_b32 exec_lo, exec_lo, s42
	s_delay_alu instid0(SALU_CYCLE_1)
	s_mov_b32 s42, exec_lo
	v_cmpx_lt_u32_e64 v111, v139
	s_cbranch_execnz .LBB1730_1145
.LBB1730_1079:                          ;   in Loop: Header=BB1730_974 Depth=2
	s_or_b32 exec_lo, exec_lo, s42
	s_delay_alu instid0(SALU_CYCLE_1)
	s_mov_b32 s42, exec_lo
	v_cmpx_lt_u32_e64 v112, v139
	s_cbranch_execnz .LBB1730_1146
.LBB1730_1080:                          ;   in Loop: Header=BB1730_974 Depth=2
	s_or_b32 exec_lo, exec_lo, s42
	s_delay_alu instid0(SALU_CYCLE_1)
	s_mov_b32 s42, exec_lo
	v_cmpx_lt_u32_e64 v113, v139
	s_cbranch_execnz .LBB1730_1147
.LBB1730_1081:                          ;   in Loop: Header=BB1730_974 Depth=2
	s_or_b32 exec_lo, exec_lo, s42
	s_delay_alu instid0(SALU_CYCLE_1)
	s_mov_b32 s42, exec_lo
	v_cmpx_lt_u32_e64 v114, v139
	s_cbranch_execnz .LBB1730_1148
.LBB1730_1082:                          ;   in Loop: Header=BB1730_974 Depth=2
	s_or_b32 exec_lo, exec_lo, s42
	s_delay_alu instid0(SALU_CYCLE_1)
	s_mov_b32 s42, exec_lo
	v_cmpx_lt_u32_e64 v115, v139
	s_cbranch_execnz .LBB1730_1149
.LBB1730_1083:                          ;   in Loop: Header=BB1730_974 Depth=2
	s_or_b32 exec_lo, exec_lo, s42
	s_delay_alu instid0(SALU_CYCLE_1)
	s_mov_b32 s42, exec_lo
	v_cmpx_lt_u32_e64 v116, v139
	s_cbranch_execnz .LBB1730_1150
.LBB1730_1084:                          ;   in Loop: Header=BB1730_974 Depth=2
	s_or_b32 exec_lo, exec_lo, s42
	s_delay_alu instid0(SALU_CYCLE_1)
	s_mov_b32 s42, exec_lo
	v_cmpx_lt_u32_e64 v117, v139
	s_cbranch_execnz .LBB1730_1151
.LBB1730_1085:                          ;   in Loop: Header=BB1730_974 Depth=2
	s_or_b32 exec_lo, exec_lo, s42
	s_and_saveexec_b32 s42, vcc_lo
	s_cbranch_execnz .LBB1730_1152
.LBB1730_1086:                          ;   in Loop: Header=BB1730_974 Depth=2
	s_or_b32 exec_lo, exec_lo, s42
	s_and_saveexec_b32 s42, s15
	s_cbranch_execnz .LBB1730_1153
.LBB1730_1087:                          ;   in Loop: Header=BB1730_974 Depth=2
	s_or_b32 exec_lo, exec_lo, s42
	s_and_saveexec_b32 s42, s16
	s_cbranch_execnz .LBB1730_1154
.LBB1730_1088:                          ;   in Loop: Header=BB1730_974 Depth=2
	s_or_b32 exec_lo, exec_lo, s42
	s_and_saveexec_b32 s42, s17
	s_cbranch_execnz .LBB1730_1155
.LBB1730_1089:                          ;   in Loop: Header=BB1730_974 Depth=2
	s_or_b32 exec_lo, exec_lo, s42
	s_and_saveexec_b32 s42, s18
	s_cbranch_execnz .LBB1730_1156
.LBB1730_1090:                          ;   in Loop: Header=BB1730_974 Depth=2
	s_or_b32 exec_lo, exec_lo, s42
	s_and_saveexec_b32 s42, s19
	s_cbranch_execnz .LBB1730_1157
.LBB1730_1091:                          ;   in Loop: Header=BB1730_974 Depth=2
	s_or_b32 exec_lo, exec_lo, s42
	s_and_saveexec_b32 s42, s20
	s_cbranch_execnz .LBB1730_1158
.LBB1730_1092:                          ;   in Loop: Header=BB1730_974 Depth=2
	s_or_b32 exec_lo, exec_lo, s42
	s_and_saveexec_b32 s42, s21
	s_cbranch_execnz .LBB1730_1159
.LBB1730_1093:                          ;   in Loop: Header=BB1730_974 Depth=2
	s_or_b32 exec_lo, exec_lo, s42
	s_and_saveexec_b32 s42, s22
	s_cbranch_execnz .LBB1730_1160
.LBB1730_1094:                          ;   in Loop: Header=BB1730_974 Depth=2
	s_or_b32 exec_lo, exec_lo, s42
	s_and_saveexec_b32 s42, s23
	s_cbranch_execnz .LBB1730_1161
.LBB1730_1095:                          ;   in Loop: Header=BB1730_974 Depth=2
	s_or_b32 exec_lo, exec_lo, s42
	s_and_saveexec_b32 s42, s24
	s_cbranch_execnz .LBB1730_1162
.LBB1730_1096:                          ;   in Loop: Header=BB1730_974 Depth=2
	s_or_b32 exec_lo, exec_lo, s42
	s_and_saveexec_b32 s42, s25
	s_cbranch_execnz .LBB1730_1163
.LBB1730_1097:                          ;   in Loop: Header=BB1730_974 Depth=2
	s_or_b32 exec_lo, exec_lo, s42
	s_and_saveexec_b32 s42, s26
	s_cbranch_execnz .LBB1730_1164
.LBB1730_1098:                          ;   in Loop: Header=BB1730_974 Depth=2
	s_or_b32 exec_lo, exec_lo, s42
	s_and_saveexec_b32 s42, s27
	s_cbranch_execnz .LBB1730_1165
.LBB1730_1099:                          ;   in Loop: Header=BB1730_974 Depth=2
	s_or_b32 exec_lo, exec_lo, s42
	s_and_saveexec_b32 s42, s28
	s_cbranch_execnz .LBB1730_1166
.LBB1730_1100:                          ;   in Loop: Header=BB1730_974 Depth=2
	s_or_b32 exec_lo, exec_lo, s42
	s_and_saveexec_b32 s42, s29
	s_cbranch_execz .LBB1730_1102
.LBB1730_1101:                          ;   in Loop: Header=BB1730_974 Depth=2
	ds_load_u16 v60, v93 offset:8704
	s_wait_dscnt 0x0
	v_cmp_ne_u16_e64 s30, 0x8000, v60
	s_delay_alu instid0(VALU_DEP_1) | instskip(NEXT) | instid1(VALU_DEP_1)
	v_cndmask_b32_e64 v60, 0x7fff, v60, s30
	v_and_b32_e32 v60, 0xffff, v60
	s_delay_alu instid0(VALU_DEP_1) | instskip(NEXT) | instid1(VALU_DEP_1)
	v_lshrrev_b32_e32 v60, s49, v60
	v_and_b32_e32 v123, s52, v60
.LBB1730_1102:                          ;   in Loop: Header=BB1730_974 Depth=2
	s_or_b32 exec_lo, exec_lo, s42
	v_dual_lshlrev_b32 v60, 3, v163 :: v_dual_lshlrev_b32 v140, 3, v150
	s_wait_loadcnt 0x0
	s_wait_storecnt 0x0
	s_barrier_signal -1
	s_barrier_wait -1
	ds_store_b64 v60, v[58:59] offset:1024
	v_dual_lshlrev_b32 v60, 3, v159 :: v_dual_lshlrev_b32 v141, 3, v149
	v_lshlrev_b32_e32 v61, 3, v155
	v_lshlrev_b32_e32 v139, 3, v151
	ds_store_b64 v60, v[56:57] offset:1024
	ds_store_b64 v61, v[54:55] offset:1024
	;; [unrolled: 1-line block ×5, first 2 shown]
	v_dual_lshlrev_b32 v60, 3, v147 :: v_dual_lshlrev_b32 v141, 3, v142
	v_dual_lshlrev_b32 v61, 3, v146 :: v_dual_lshlrev_b32 v139, 3, v145
	v_lshlrev_b32_e32 v140, 3, v143
	ds_store_b64 v60, v[46:47] offset:1024
	ds_store_b64 v61, v[44:45] offset:1024
	ds_store_b64 v139, v[42:43] offset:1024
	ds_store_b64 v140, v[40:41] offset:1024
	ds_store_b64 v141, v[38:39] offset:1024
	v_dual_lshlrev_b32 v60, 3, v63 :: v_dual_lshlrev_b32 v65, 3, v65
	v_dual_lshlrev_b32 v61, 3, v67 :: v_dual_lshlrev_b32 v64, 3, v64
	v_lshlrev_b32_e32 v63, 3, v66
	ds_store_b64 v60, v[36:37] offset:1024
	ds_store_b64 v61, v[34:35] offset:1024
	;; [unrolled: 1-line block ×5, first 2 shown]
	v_add_nc_u32_e32 v60, v93, v94
	s_wait_dscnt 0x0
	s_barrier_signal -1
	s_barrier_wait -1
	s_and_saveexec_b32 s30, vcc_lo
	s_cbranch_execnz .LBB1730_1167
; %bb.1103:                             ;   in Loop: Header=BB1730_974 Depth=2
	s_or_b32 exec_lo, exec_lo, s30
	s_and_saveexec_b32 s30, s15
	s_cbranch_execnz .LBB1730_1168
.LBB1730_1104:                          ;   in Loop: Header=BB1730_974 Depth=2
	s_or_b32 exec_lo, exec_lo, s30
	s_and_saveexec_b32 s15, s16
	s_cbranch_execnz .LBB1730_1169
.LBB1730_1105:                          ;   in Loop: Header=BB1730_974 Depth=2
	s_or_b32 exec_lo, exec_lo, s15
	s_and_saveexec_b32 s15, s17
	s_cbranch_execnz .LBB1730_1170
.LBB1730_1106:                          ;   in Loop: Header=BB1730_974 Depth=2
	s_or_b32 exec_lo, exec_lo, s15
	s_and_saveexec_b32 s15, s18
	s_cbranch_execnz .LBB1730_1171
.LBB1730_1107:                          ;   in Loop: Header=BB1730_974 Depth=2
	s_or_b32 exec_lo, exec_lo, s15
	s_and_saveexec_b32 s15, s19
	s_cbranch_execnz .LBB1730_1172
.LBB1730_1108:                          ;   in Loop: Header=BB1730_974 Depth=2
	s_or_b32 exec_lo, exec_lo, s15
	s_and_saveexec_b32 s15, s20
	s_cbranch_execnz .LBB1730_1173
.LBB1730_1109:                          ;   in Loop: Header=BB1730_974 Depth=2
	s_or_b32 exec_lo, exec_lo, s15
	s_and_saveexec_b32 s15, s21
	s_cbranch_execnz .LBB1730_1174
.LBB1730_1110:                          ;   in Loop: Header=BB1730_974 Depth=2
	s_or_b32 exec_lo, exec_lo, s15
	s_and_saveexec_b32 s15, s22
	s_cbranch_execnz .LBB1730_1175
.LBB1730_1111:                          ;   in Loop: Header=BB1730_974 Depth=2
	s_or_b32 exec_lo, exec_lo, s15
	s_and_saveexec_b32 s15, s23
	s_cbranch_execnz .LBB1730_1176
.LBB1730_1112:                          ;   in Loop: Header=BB1730_974 Depth=2
	s_or_b32 exec_lo, exec_lo, s15
	s_and_saveexec_b32 s15, s24
	s_cbranch_execnz .LBB1730_1177
.LBB1730_1113:                          ;   in Loop: Header=BB1730_974 Depth=2
	s_or_b32 exec_lo, exec_lo, s15
	s_and_saveexec_b32 s15, s25
	s_cbranch_execnz .LBB1730_1178
.LBB1730_1114:                          ;   in Loop: Header=BB1730_974 Depth=2
	s_or_b32 exec_lo, exec_lo, s15
	s_and_saveexec_b32 s15, s26
	s_cbranch_execnz .LBB1730_1179
.LBB1730_1115:                          ;   in Loop: Header=BB1730_974 Depth=2
	s_or_b32 exec_lo, exec_lo, s15
	s_and_saveexec_b32 s15, s27
	s_cbranch_execnz .LBB1730_1180
.LBB1730_1116:                          ;   in Loop: Header=BB1730_974 Depth=2
	s_or_b32 exec_lo, exec_lo, s15
	s_and_saveexec_b32 s15, s28
	s_cbranch_execnz .LBB1730_1181
.LBB1730_1117:                          ;   in Loop: Header=BB1730_974 Depth=2
	s_or_b32 exec_lo, exec_lo, s15
	s_and_saveexec_b32 s15, s29
	s_cbranch_execz .LBB1730_1119
.LBB1730_1118:                          ;   in Loop: Header=BB1730_974 Depth=2
	v_lshlrev_b32_e32 v61, 2, v123
	ds_load_b32 v63, v61
	ds_load_b64 v[60:61], v60 offset:31744
	s_wait_dscnt 0x1
	v_add_nc_u32_e32 v63, v63, v82
	s_wait_dscnt 0x0
	global_store_b64 v63, v[60:61], s[46:47] scale_offset
.LBB1730_1119:                          ;   in Loop: Header=BB1730_974 Depth=2
	s_wait_xcnt 0x0
	s_or_b32 exec_lo, exec_lo, s15
	s_wait_storecnt 0x0
	s_barrier_signal -1
	s_barrier_wait -1
	s_and_saveexec_b32 s15, s0
	s_cbranch_execz .LBB1730_973
; %bb.1120:                             ;   in Loop: Header=BB1730_974 Depth=2
	ds_load_b32 v60, v3
	s_wait_dscnt 0x0
	v_add_nc_u32_e32 v60, v60, v62
	ds_store_b32 v3, v60
	s_branch .LBB1730_973
.LBB1730_1121:                          ;   in Loop: Header=BB1730_974 Depth=2
	ds_load_u16 v60, v93 offset:1024
	s_wait_dscnt 0x0
	v_cmp_ne_u16_e64 s15, 0x8000, v60
	s_delay_alu instid0(VALU_DEP_1) | instskip(SKIP_1) | instid1(VALU_DEP_2)
	v_cndmask_b32_e64 v61, 0x7fff, v60, s15
	v_cmp_gt_i16_e64 s15, 0, v60
	v_and_b32_e32 v61, 0xffff, v61
	s_delay_alu instid0(VALU_DEP_2) | instskip(NEXT) | instid1(VALU_DEP_1)
	v_cndmask_b32_e64 v140, 0x7fff, 0, s15
	v_dual_lshrrev_b32 v61, s49, v61 :: v_dual_bitop2_b32 v60, v140, v60 bitop3:0x14
	s_delay_alu instid0(VALU_DEP_1) | instskip(NEXT) | instid1(VALU_DEP_1)
	v_and_b32_e32 v61, s52, v61
	v_lshlrev_b32_e32 v61, 2, v61
	ds_load_b32 v61, v61
	s_wait_dscnt 0x0
	v_add_nc_u32_e32 v61, v61, v2
	global_store_b16 v61, v60, s[40:41] scale_offset
	s_wait_xcnt 0x0
	s_or_b32 exec_lo, exec_lo, s16
	v_cmp_lt_u32_e64 s15, v68, v139
	s_and_saveexec_b32 s17, s15
	s_cbranch_execz .LBB1730_1054
.LBB1730_1122:                          ;   in Loop: Header=BB1730_974 Depth=2
	ds_load_u16 v60, v93 offset:1536
	s_wait_dscnt 0x0
	v_cmp_ne_u16_e64 s16, 0x8000, v60
	s_delay_alu instid0(VALU_DEP_1) | instskip(SKIP_1) | instid1(VALU_DEP_2)
	v_cndmask_b32_e64 v61, 0x7fff, v60, s16
	v_cmp_gt_i16_e64 s16, 0, v60
	v_and_b32_e32 v61, 0xffff, v61
	s_delay_alu instid0(VALU_DEP_2) | instskip(NEXT) | instid1(VALU_DEP_1)
	v_cndmask_b32_e64 v140, 0x7fff, 0, s16
	v_dual_lshrrev_b32 v61, s49, v61 :: v_dual_bitop2_b32 v60, v140, v60 bitop3:0x14
	s_delay_alu instid0(VALU_DEP_1) | instskip(NEXT) | instid1(VALU_DEP_1)
	v_and_b32_e32 v61, s52, v61
	v_lshlrev_b32_e32 v61, 2, v61
	ds_load_b32 v61, v61
	s_wait_dscnt 0x0
	v_add_nc_u32_e32 v61, v61, v68
	global_store_b16 v61, v60, s[40:41] scale_offset
	s_wait_xcnt 0x0
	s_or_b32 exec_lo, exec_lo, s17
	v_cmp_lt_u32_e64 s16, v69, v139
	s_and_saveexec_b32 s18, s16
	s_cbranch_execz .LBB1730_1055
.LBB1730_1123:                          ;   in Loop: Header=BB1730_974 Depth=2
	ds_load_u16 v60, v93 offset:2048
	s_wait_dscnt 0x0
	v_cmp_ne_u16_e64 s17, 0x8000, v60
	s_delay_alu instid0(VALU_DEP_1) | instskip(SKIP_1) | instid1(VALU_DEP_2)
	v_cndmask_b32_e64 v61, 0x7fff, v60, s17
	v_cmp_gt_i16_e64 s17, 0, v60
	v_and_b32_e32 v61, 0xffff, v61
	s_delay_alu instid0(VALU_DEP_2) | instskip(NEXT) | instid1(VALU_DEP_1)
	v_cndmask_b32_e64 v140, 0x7fff, 0, s17
	v_dual_lshrrev_b32 v61, s49, v61 :: v_dual_bitop2_b32 v60, v140, v60 bitop3:0x14
	s_delay_alu instid0(VALU_DEP_1) | instskip(NEXT) | instid1(VALU_DEP_1)
	v_and_b32_e32 v61, s52, v61
	v_lshlrev_b32_e32 v61, 2, v61
	ds_load_b32 v61, v61
	s_wait_dscnt 0x0
	v_add_nc_u32_e32 v61, v61, v69
	global_store_b16 v61, v60, s[40:41] scale_offset
	s_wait_xcnt 0x0
	s_or_b32 exec_lo, exec_lo, s18
	v_cmp_lt_u32_e64 s17, v70, v139
	s_and_saveexec_b32 s19, s17
	s_cbranch_execz .LBB1730_1056
.LBB1730_1124:                          ;   in Loop: Header=BB1730_974 Depth=2
	ds_load_u16 v60, v93 offset:2560
	s_wait_dscnt 0x0
	v_cmp_ne_u16_e64 s18, 0x8000, v60
	s_delay_alu instid0(VALU_DEP_1) | instskip(SKIP_1) | instid1(VALU_DEP_2)
	v_cndmask_b32_e64 v61, 0x7fff, v60, s18
	v_cmp_gt_i16_e64 s18, 0, v60
	v_and_b32_e32 v61, 0xffff, v61
	s_delay_alu instid0(VALU_DEP_2) | instskip(NEXT) | instid1(VALU_DEP_1)
	v_cndmask_b32_e64 v140, 0x7fff, 0, s18
	v_dual_lshrrev_b32 v61, s49, v61 :: v_dual_bitop2_b32 v60, v140, v60 bitop3:0x14
	s_delay_alu instid0(VALU_DEP_1) | instskip(NEXT) | instid1(VALU_DEP_1)
	v_and_b32_e32 v61, s52, v61
	v_lshlrev_b32_e32 v61, 2, v61
	ds_load_b32 v61, v61
	s_wait_dscnt 0x0
	v_add_nc_u32_e32 v61, v61, v70
	global_store_b16 v61, v60, s[40:41] scale_offset
	s_wait_xcnt 0x0
	s_or_b32 exec_lo, exec_lo, s19
	v_cmp_lt_u32_e64 s18, v71, v139
	s_and_saveexec_b32 s20, s18
	s_cbranch_execz .LBB1730_1057
.LBB1730_1125:                          ;   in Loop: Header=BB1730_974 Depth=2
	ds_load_u16 v60, v93 offset:3072
	s_wait_dscnt 0x0
	v_cmp_ne_u16_e64 s19, 0x8000, v60
	s_delay_alu instid0(VALU_DEP_1) | instskip(SKIP_1) | instid1(VALU_DEP_2)
	v_cndmask_b32_e64 v61, 0x7fff, v60, s19
	v_cmp_gt_i16_e64 s19, 0, v60
	v_and_b32_e32 v61, 0xffff, v61
	s_delay_alu instid0(VALU_DEP_2) | instskip(NEXT) | instid1(VALU_DEP_1)
	v_cndmask_b32_e64 v140, 0x7fff, 0, s19
	v_dual_lshrrev_b32 v61, s49, v61 :: v_dual_bitop2_b32 v60, v140, v60 bitop3:0x14
	s_delay_alu instid0(VALU_DEP_1) | instskip(NEXT) | instid1(VALU_DEP_1)
	v_and_b32_e32 v61, s52, v61
	v_lshlrev_b32_e32 v61, 2, v61
	ds_load_b32 v61, v61
	s_wait_dscnt 0x0
	v_add_nc_u32_e32 v61, v61, v71
	global_store_b16 v61, v60, s[40:41] scale_offset
	s_wait_xcnt 0x0
	s_or_b32 exec_lo, exec_lo, s20
	v_cmp_lt_u32_e64 s19, v72, v139
	s_and_saveexec_b32 s21, s19
	s_cbranch_execz .LBB1730_1058
.LBB1730_1126:                          ;   in Loop: Header=BB1730_974 Depth=2
	ds_load_u16 v60, v93 offset:3584
	s_wait_dscnt 0x0
	v_cmp_ne_u16_e64 s20, 0x8000, v60
	s_delay_alu instid0(VALU_DEP_1) | instskip(SKIP_1) | instid1(VALU_DEP_2)
	v_cndmask_b32_e64 v61, 0x7fff, v60, s20
	v_cmp_gt_i16_e64 s20, 0, v60
	v_and_b32_e32 v61, 0xffff, v61
	s_delay_alu instid0(VALU_DEP_2) | instskip(NEXT) | instid1(VALU_DEP_1)
	v_cndmask_b32_e64 v140, 0x7fff, 0, s20
	v_dual_lshrrev_b32 v61, s49, v61 :: v_dual_bitop2_b32 v60, v140, v60 bitop3:0x14
	s_delay_alu instid0(VALU_DEP_1) | instskip(NEXT) | instid1(VALU_DEP_1)
	v_and_b32_e32 v61, s52, v61
	v_lshlrev_b32_e32 v61, 2, v61
	ds_load_b32 v61, v61
	s_wait_dscnt 0x0
	v_add_nc_u32_e32 v61, v61, v72
	global_store_b16 v61, v60, s[40:41] scale_offset
	s_wait_xcnt 0x0
	s_or_b32 exec_lo, exec_lo, s21
	v_cmp_lt_u32_e64 s20, v73, v139
	s_and_saveexec_b32 s22, s20
	s_cbranch_execz .LBB1730_1059
.LBB1730_1127:                          ;   in Loop: Header=BB1730_974 Depth=2
	ds_load_u16 v60, v93 offset:4096
	s_wait_dscnt 0x0
	v_cmp_ne_u16_e64 s21, 0x8000, v60
	s_delay_alu instid0(VALU_DEP_1) | instskip(SKIP_1) | instid1(VALU_DEP_2)
	v_cndmask_b32_e64 v61, 0x7fff, v60, s21
	v_cmp_gt_i16_e64 s21, 0, v60
	v_and_b32_e32 v61, 0xffff, v61
	s_delay_alu instid0(VALU_DEP_2) | instskip(NEXT) | instid1(VALU_DEP_1)
	v_cndmask_b32_e64 v140, 0x7fff, 0, s21
	v_dual_lshrrev_b32 v61, s49, v61 :: v_dual_bitop2_b32 v60, v140, v60 bitop3:0x14
	s_delay_alu instid0(VALU_DEP_1) | instskip(NEXT) | instid1(VALU_DEP_1)
	v_and_b32_e32 v61, s52, v61
	v_lshlrev_b32_e32 v61, 2, v61
	ds_load_b32 v61, v61
	s_wait_dscnt 0x0
	v_add_nc_u32_e32 v61, v61, v73
	global_store_b16 v61, v60, s[40:41] scale_offset
	s_wait_xcnt 0x0
	s_or_b32 exec_lo, exec_lo, s22
	v_cmp_lt_u32_e64 s21, v74, v139
	s_and_saveexec_b32 s23, s21
	s_cbranch_execz .LBB1730_1060
.LBB1730_1128:                          ;   in Loop: Header=BB1730_974 Depth=2
	ds_load_u16 v60, v93 offset:4608
	s_wait_dscnt 0x0
	v_cmp_ne_u16_e64 s22, 0x8000, v60
	s_delay_alu instid0(VALU_DEP_1) | instskip(SKIP_1) | instid1(VALU_DEP_2)
	v_cndmask_b32_e64 v61, 0x7fff, v60, s22
	v_cmp_gt_i16_e64 s22, 0, v60
	v_and_b32_e32 v61, 0xffff, v61
	s_delay_alu instid0(VALU_DEP_2) | instskip(NEXT) | instid1(VALU_DEP_1)
	v_cndmask_b32_e64 v140, 0x7fff, 0, s22
	v_dual_lshrrev_b32 v61, s49, v61 :: v_dual_bitop2_b32 v60, v140, v60 bitop3:0x14
	s_delay_alu instid0(VALU_DEP_1) | instskip(NEXT) | instid1(VALU_DEP_1)
	v_and_b32_e32 v61, s52, v61
	v_lshlrev_b32_e32 v61, 2, v61
	ds_load_b32 v61, v61
	s_wait_dscnt 0x0
	v_add_nc_u32_e32 v61, v61, v74
	global_store_b16 v61, v60, s[40:41] scale_offset
	s_wait_xcnt 0x0
	s_or_b32 exec_lo, exec_lo, s23
	v_cmp_lt_u32_e64 s22, v75, v139
	s_and_saveexec_b32 s24, s22
	s_cbranch_execz .LBB1730_1061
.LBB1730_1129:                          ;   in Loop: Header=BB1730_974 Depth=2
	ds_load_u16 v60, v93 offset:5120
	s_wait_dscnt 0x0
	v_cmp_ne_u16_e64 s23, 0x8000, v60
	s_delay_alu instid0(VALU_DEP_1) | instskip(SKIP_1) | instid1(VALU_DEP_2)
	v_cndmask_b32_e64 v61, 0x7fff, v60, s23
	v_cmp_gt_i16_e64 s23, 0, v60
	v_and_b32_e32 v61, 0xffff, v61
	s_delay_alu instid0(VALU_DEP_2) | instskip(NEXT) | instid1(VALU_DEP_1)
	v_cndmask_b32_e64 v140, 0x7fff, 0, s23
	v_dual_lshrrev_b32 v61, s49, v61 :: v_dual_bitop2_b32 v60, v140, v60 bitop3:0x14
	s_delay_alu instid0(VALU_DEP_1) | instskip(NEXT) | instid1(VALU_DEP_1)
	v_and_b32_e32 v61, s52, v61
	v_lshlrev_b32_e32 v61, 2, v61
	ds_load_b32 v61, v61
	s_wait_dscnt 0x0
	v_add_nc_u32_e32 v61, v61, v75
	global_store_b16 v61, v60, s[40:41] scale_offset
	s_wait_xcnt 0x0
	s_or_b32 exec_lo, exec_lo, s24
	v_cmp_lt_u32_e64 s23, v76, v139
	s_and_saveexec_b32 s25, s23
	s_cbranch_execz .LBB1730_1062
.LBB1730_1130:                          ;   in Loop: Header=BB1730_974 Depth=2
	ds_load_u16 v60, v93 offset:5632
	s_wait_dscnt 0x0
	v_cmp_ne_u16_e64 s24, 0x8000, v60
	s_delay_alu instid0(VALU_DEP_1) | instskip(SKIP_1) | instid1(VALU_DEP_2)
	v_cndmask_b32_e64 v61, 0x7fff, v60, s24
	v_cmp_gt_i16_e64 s24, 0, v60
	v_and_b32_e32 v61, 0xffff, v61
	s_delay_alu instid0(VALU_DEP_2) | instskip(NEXT) | instid1(VALU_DEP_1)
	v_cndmask_b32_e64 v140, 0x7fff, 0, s24
	v_dual_lshrrev_b32 v61, s49, v61 :: v_dual_bitop2_b32 v60, v140, v60 bitop3:0x14
	s_delay_alu instid0(VALU_DEP_1) | instskip(NEXT) | instid1(VALU_DEP_1)
	v_and_b32_e32 v61, s52, v61
	v_lshlrev_b32_e32 v61, 2, v61
	ds_load_b32 v61, v61
	s_wait_dscnt 0x0
	v_add_nc_u32_e32 v61, v61, v76
	global_store_b16 v61, v60, s[40:41] scale_offset
	s_wait_xcnt 0x0
	s_or_b32 exec_lo, exec_lo, s25
	v_cmp_lt_u32_e64 s24, v77, v139
	s_and_saveexec_b32 s26, s24
	s_cbranch_execz .LBB1730_1063
.LBB1730_1131:                          ;   in Loop: Header=BB1730_974 Depth=2
	ds_load_u16 v60, v93 offset:6144
	s_wait_dscnt 0x0
	v_cmp_ne_u16_e64 s25, 0x8000, v60
	s_delay_alu instid0(VALU_DEP_1) | instskip(SKIP_1) | instid1(VALU_DEP_2)
	v_cndmask_b32_e64 v61, 0x7fff, v60, s25
	v_cmp_gt_i16_e64 s25, 0, v60
	v_and_b32_e32 v61, 0xffff, v61
	s_delay_alu instid0(VALU_DEP_2) | instskip(NEXT) | instid1(VALU_DEP_1)
	v_cndmask_b32_e64 v140, 0x7fff, 0, s25
	v_dual_lshrrev_b32 v61, s49, v61 :: v_dual_bitop2_b32 v60, v140, v60 bitop3:0x14
	s_delay_alu instid0(VALU_DEP_1) | instskip(NEXT) | instid1(VALU_DEP_1)
	v_and_b32_e32 v61, s52, v61
	v_lshlrev_b32_e32 v61, 2, v61
	ds_load_b32 v61, v61
	s_wait_dscnt 0x0
	v_add_nc_u32_e32 v61, v61, v77
	global_store_b16 v61, v60, s[40:41] scale_offset
	s_wait_xcnt 0x0
	s_or_b32 exec_lo, exec_lo, s26
	v_cmp_lt_u32_e64 s25, v78, v139
	s_and_saveexec_b32 s27, s25
	s_cbranch_execz .LBB1730_1064
.LBB1730_1132:                          ;   in Loop: Header=BB1730_974 Depth=2
	ds_load_u16 v60, v93 offset:6656
	s_wait_dscnt 0x0
	v_cmp_ne_u16_e64 s26, 0x8000, v60
	s_delay_alu instid0(VALU_DEP_1) | instskip(SKIP_1) | instid1(VALU_DEP_2)
	v_cndmask_b32_e64 v61, 0x7fff, v60, s26
	v_cmp_gt_i16_e64 s26, 0, v60
	v_and_b32_e32 v61, 0xffff, v61
	s_delay_alu instid0(VALU_DEP_2) | instskip(NEXT) | instid1(VALU_DEP_1)
	v_cndmask_b32_e64 v140, 0x7fff, 0, s26
	v_dual_lshrrev_b32 v61, s49, v61 :: v_dual_bitop2_b32 v60, v140, v60 bitop3:0x14
	s_delay_alu instid0(VALU_DEP_1) | instskip(NEXT) | instid1(VALU_DEP_1)
	v_and_b32_e32 v61, s52, v61
	v_lshlrev_b32_e32 v61, 2, v61
	ds_load_b32 v61, v61
	s_wait_dscnt 0x0
	v_add_nc_u32_e32 v61, v61, v78
	global_store_b16 v61, v60, s[40:41] scale_offset
	s_wait_xcnt 0x0
	s_or_b32 exec_lo, exec_lo, s27
	v_cmp_lt_u32_e64 s26, v79, v139
	s_and_saveexec_b32 s28, s26
	s_cbranch_execz .LBB1730_1065
.LBB1730_1133:                          ;   in Loop: Header=BB1730_974 Depth=2
	ds_load_u16 v60, v93 offset:7168
	s_wait_dscnt 0x0
	v_cmp_ne_u16_e64 s27, 0x8000, v60
	s_delay_alu instid0(VALU_DEP_1) | instskip(SKIP_1) | instid1(VALU_DEP_2)
	v_cndmask_b32_e64 v61, 0x7fff, v60, s27
	v_cmp_gt_i16_e64 s27, 0, v60
	v_and_b32_e32 v61, 0xffff, v61
	s_delay_alu instid0(VALU_DEP_2) | instskip(NEXT) | instid1(VALU_DEP_1)
	v_cndmask_b32_e64 v140, 0x7fff, 0, s27
	v_dual_lshrrev_b32 v61, s49, v61 :: v_dual_bitop2_b32 v60, v140, v60 bitop3:0x14
	s_delay_alu instid0(VALU_DEP_1) | instskip(NEXT) | instid1(VALU_DEP_1)
	v_and_b32_e32 v61, s52, v61
	v_lshlrev_b32_e32 v61, 2, v61
	ds_load_b32 v61, v61
	s_wait_dscnt 0x0
	v_add_nc_u32_e32 v61, v61, v79
	global_store_b16 v61, v60, s[40:41] scale_offset
	s_wait_xcnt 0x0
	s_or_b32 exec_lo, exec_lo, s28
	v_cmp_lt_u32_e64 s27, v80, v139
	s_and_saveexec_b32 s29, s27
	s_cbranch_execz .LBB1730_1066
.LBB1730_1134:                          ;   in Loop: Header=BB1730_974 Depth=2
	ds_load_u16 v60, v93 offset:7680
	s_wait_dscnt 0x0
	v_cmp_ne_u16_e64 s28, 0x8000, v60
	s_delay_alu instid0(VALU_DEP_1) | instskip(SKIP_1) | instid1(VALU_DEP_2)
	v_cndmask_b32_e64 v61, 0x7fff, v60, s28
	v_cmp_gt_i16_e64 s28, 0, v60
	v_and_b32_e32 v61, 0xffff, v61
	s_delay_alu instid0(VALU_DEP_2) | instskip(NEXT) | instid1(VALU_DEP_1)
	v_cndmask_b32_e64 v140, 0x7fff, 0, s28
	v_dual_lshrrev_b32 v61, s49, v61 :: v_dual_bitop2_b32 v60, v140, v60 bitop3:0x14
	s_delay_alu instid0(VALU_DEP_1) | instskip(NEXT) | instid1(VALU_DEP_1)
	v_and_b32_e32 v61, s52, v61
	v_lshlrev_b32_e32 v61, 2, v61
	ds_load_b32 v61, v61
	s_wait_dscnt 0x0
	v_add_nc_u32_e32 v61, v61, v80
	global_store_b16 v61, v60, s[40:41] scale_offset
	s_wait_xcnt 0x0
	s_or_b32 exec_lo, exec_lo, s29
	v_cmp_lt_u32_e64 s28, v81, v139
	s_and_saveexec_b32 s30, s28
	s_cbranch_execz .LBB1730_1067
.LBB1730_1135:                          ;   in Loop: Header=BB1730_974 Depth=2
	ds_load_u16 v60, v93 offset:8192
	s_wait_dscnt 0x0
	v_cmp_ne_u16_e64 s29, 0x8000, v60
	s_delay_alu instid0(VALU_DEP_1) | instskip(SKIP_1) | instid1(VALU_DEP_2)
	v_cndmask_b32_e64 v61, 0x7fff, v60, s29
	v_cmp_gt_i16_e64 s29, 0, v60
	v_and_b32_e32 v61, 0xffff, v61
	s_delay_alu instid0(VALU_DEP_2) | instskip(NEXT) | instid1(VALU_DEP_1)
	v_cndmask_b32_e64 v140, 0x7fff, 0, s29
	v_dual_lshrrev_b32 v61, s49, v61 :: v_dual_bitop2_b32 v60, v140, v60 bitop3:0x14
	s_delay_alu instid0(VALU_DEP_1) | instskip(NEXT) | instid1(VALU_DEP_1)
	v_and_b32_e32 v61, s52, v61
	v_lshlrev_b32_e32 v61, 2, v61
	ds_load_b32 v61, v61
	s_wait_dscnt 0x0
	v_add_nc_u32_e32 v61, v61, v81
	global_store_b16 v61, v60, s[40:41] scale_offset
	s_wait_xcnt 0x0
	s_or_b32 exec_lo, exec_lo, s30
	v_cmp_lt_u32_e64 s29, v82, v139
	s_and_saveexec_b32 s58, s29
	s_cbranch_execnz .LBB1730_1068
	s_branch .LBB1730_1069
.LBB1730_1136:                          ;   in Loop: Header=BB1730_974 Depth=2
	global_load_b64 v[58:59], v[60:61], off
	s_wait_xcnt 0x0
	s_or_b32 exec_lo, exec_lo, s30
	s_delay_alu instid0(SALU_CYCLE_1)
	s_mov_b32 s42, exec_lo
	v_cmpx_lt_u32_e64 v103, v139
	s_cbranch_execz .LBB1730_1071
.LBB1730_1137:                          ;   in Loop: Header=BB1730_974 Depth=2
	global_load_b64 v[56:57], v[60:61], off offset:256
	s_wait_xcnt 0x0
	s_or_b32 exec_lo, exec_lo, s42
	s_delay_alu instid0(SALU_CYCLE_1)
	s_mov_b32 s42, exec_lo
	v_cmpx_lt_u32_e64 v104, v139
	s_cbranch_execz .LBB1730_1072
.LBB1730_1138:                          ;   in Loop: Header=BB1730_974 Depth=2
	global_load_b64 v[54:55], v[60:61], off offset:512
	s_wait_xcnt 0x0
	s_or_b32 exec_lo, exec_lo, s42
	s_delay_alu instid0(SALU_CYCLE_1)
	s_mov_b32 s42, exec_lo
	v_cmpx_lt_u32_e64 v105, v139
	s_cbranch_execz .LBB1730_1073
.LBB1730_1139:                          ;   in Loop: Header=BB1730_974 Depth=2
	global_load_b64 v[52:53], v[60:61], off offset:768
	s_wait_xcnt 0x0
	s_or_b32 exec_lo, exec_lo, s42
	s_delay_alu instid0(SALU_CYCLE_1)
	s_mov_b32 s42, exec_lo
	v_cmpx_lt_u32_e64 v106, v139
	s_cbranch_execz .LBB1730_1074
.LBB1730_1140:                          ;   in Loop: Header=BB1730_974 Depth=2
	global_load_b64 v[50:51], v[60:61], off offset:1024
	s_wait_xcnt 0x0
	s_or_b32 exec_lo, exec_lo, s42
	s_delay_alu instid0(SALU_CYCLE_1)
	s_mov_b32 s42, exec_lo
	v_cmpx_lt_u32_e64 v107, v139
	s_cbranch_execz .LBB1730_1075
.LBB1730_1141:                          ;   in Loop: Header=BB1730_974 Depth=2
	global_load_b64 v[48:49], v[60:61], off offset:1280
	s_wait_xcnt 0x0
	s_or_b32 exec_lo, exec_lo, s42
	s_delay_alu instid0(SALU_CYCLE_1)
	s_mov_b32 s42, exec_lo
	v_cmpx_lt_u32_e64 v108, v139
	s_cbranch_execz .LBB1730_1076
.LBB1730_1142:                          ;   in Loop: Header=BB1730_974 Depth=2
	global_load_b64 v[46:47], v[60:61], off offset:1536
	s_wait_xcnt 0x0
	s_or_b32 exec_lo, exec_lo, s42
	s_delay_alu instid0(SALU_CYCLE_1)
	s_mov_b32 s42, exec_lo
	v_cmpx_lt_u32_e64 v109, v139
	s_cbranch_execz .LBB1730_1077
.LBB1730_1143:                          ;   in Loop: Header=BB1730_974 Depth=2
	global_load_b64 v[44:45], v[60:61], off offset:1792
	s_wait_xcnt 0x0
	s_or_b32 exec_lo, exec_lo, s42
	s_delay_alu instid0(SALU_CYCLE_1)
	s_mov_b32 s42, exec_lo
	v_cmpx_lt_u32_e64 v110, v139
	s_cbranch_execz .LBB1730_1078
.LBB1730_1144:                          ;   in Loop: Header=BB1730_974 Depth=2
	global_load_b64 v[42:43], v[60:61], off offset:2048
	s_wait_xcnt 0x0
	s_or_b32 exec_lo, exec_lo, s42
	s_delay_alu instid0(SALU_CYCLE_1)
	s_mov_b32 s42, exec_lo
	v_cmpx_lt_u32_e64 v111, v139
	s_cbranch_execz .LBB1730_1079
.LBB1730_1145:                          ;   in Loop: Header=BB1730_974 Depth=2
	global_load_b64 v[40:41], v[60:61], off offset:2304
	s_wait_xcnt 0x0
	s_or_b32 exec_lo, exec_lo, s42
	s_delay_alu instid0(SALU_CYCLE_1)
	s_mov_b32 s42, exec_lo
	v_cmpx_lt_u32_e64 v112, v139
	s_cbranch_execz .LBB1730_1080
.LBB1730_1146:                          ;   in Loop: Header=BB1730_974 Depth=2
	global_load_b64 v[38:39], v[60:61], off offset:2560
	s_wait_xcnt 0x0
	s_or_b32 exec_lo, exec_lo, s42
	s_delay_alu instid0(SALU_CYCLE_1)
	s_mov_b32 s42, exec_lo
	v_cmpx_lt_u32_e64 v113, v139
	s_cbranch_execz .LBB1730_1081
.LBB1730_1147:                          ;   in Loop: Header=BB1730_974 Depth=2
	global_load_b64 v[36:37], v[60:61], off offset:2816
	s_wait_xcnt 0x0
	s_or_b32 exec_lo, exec_lo, s42
	s_delay_alu instid0(SALU_CYCLE_1)
	s_mov_b32 s42, exec_lo
	v_cmpx_lt_u32_e64 v114, v139
	s_cbranch_execz .LBB1730_1082
.LBB1730_1148:                          ;   in Loop: Header=BB1730_974 Depth=2
	global_load_b64 v[34:35], v[60:61], off offset:3072
	s_wait_xcnt 0x0
	s_or_b32 exec_lo, exec_lo, s42
	s_delay_alu instid0(SALU_CYCLE_1)
	s_mov_b32 s42, exec_lo
	v_cmpx_lt_u32_e64 v115, v139
	s_cbranch_execz .LBB1730_1083
.LBB1730_1149:                          ;   in Loop: Header=BB1730_974 Depth=2
	global_load_b64 v[32:33], v[60:61], off offset:3328
	s_wait_xcnt 0x0
	s_or_b32 exec_lo, exec_lo, s42
	s_delay_alu instid0(SALU_CYCLE_1)
	s_mov_b32 s42, exec_lo
	v_cmpx_lt_u32_e64 v116, v139
	s_cbranch_execz .LBB1730_1084
.LBB1730_1150:                          ;   in Loop: Header=BB1730_974 Depth=2
	global_load_b64 v[30:31], v[60:61], off offset:3584
	s_wait_xcnt 0x0
	s_or_b32 exec_lo, exec_lo, s42
	s_delay_alu instid0(SALU_CYCLE_1)
	s_mov_b32 s42, exec_lo
	v_cmpx_lt_u32_e64 v117, v139
	s_cbranch_execz .LBB1730_1085
.LBB1730_1151:                          ;   in Loop: Header=BB1730_974 Depth=2
	global_load_b64 v[28:29], v[60:61], off offset:3840
	s_wait_xcnt 0x0
	s_or_b32 exec_lo, exec_lo, s42
	s_and_saveexec_b32 s42, vcc_lo
	s_cbranch_execz .LBB1730_1086
.LBB1730_1152:                          ;   in Loop: Header=BB1730_974 Depth=2
	ds_load_u16 v60, v93 offset:1024
	s_wait_dscnt 0x0
	v_cmp_ne_u16_e64 s30, 0x8000, v60
	s_delay_alu instid0(VALU_DEP_1) | instskip(NEXT) | instid1(VALU_DEP_1)
	v_cndmask_b32_e64 v60, 0x7fff, v60, s30
	v_and_b32_e32 v60, 0xffff, v60
	s_delay_alu instid0(VALU_DEP_1) | instskip(NEXT) | instid1(VALU_DEP_1)
	v_lshrrev_b32_e32 v60, s49, v60
	v_and_b32_e32 v138, s52, v60
	s_or_b32 exec_lo, exec_lo, s42
	s_and_saveexec_b32 s42, s15
	s_cbranch_execz .LBB1730_1087
.LBB1730_1153:                          ;   in Loop: Header=BB1730_974 Depth=2
	ds_load_u16 v60, v93 offset:1536
	s_wait_dscnt 0x0
	v_cmp_ne_u16_e64 s30, 0x8000, v60
	s_delay_alu instid0(VALU_DEP_1) | instskip(NEXT) | instid1(VALU_DEP_1)
	v_cndmask_b32_e64 v60, 0x7fff, v60, s30
	v_and_b32_e32 v60, 0xffff, v60
	s_delay_alu instid0(VALU_DEP_1) | instskip(NEXT) | instid1(VALU_DEP_1)
	v_lshrrev_b32_e32 v60, s49, v60
	v_and_b32_e32 v137, s52, v60
	s_or_b32 exec_lo, exec_lo, s42
	s_and_saveexec_b32 s42, s16
	s_cbranch_execz .LBB1730_1088
.LBB1730_1154:                          ;   in Loop: Header=BB1730_974 Depth=2
	ds_load_u16 v60, v93 offset:2048
	s_wait_dscnt 0x0
	v_cmp_ne_u16_e64 s30, 0x8000, v60
	s_delay_alu instid0(VALU_DEP_1) | instskip(NEXT) | instid1(VALU_DEP_1)
	v_cndmask_b32_e64 v60, 0x7fff, v60, s30
	v_and_b32_e32 v60, 0xffff, v60
	s_delay_alu instid0(VALU_DEP_1) | instskip(NEXT) | instid1(VALU_DEP_1)
	v_lshrrev_b32_e32 v60, s49, v60
	v_and_b32_e32 v136, s52, v60
	s_or_b32 exec_lo, exec_lo, s42
	s_and_saveexec_b32 s42, s17
	s_cbranch_execz .LBB1730_1089
.LBB1730_1155:                          ;   in Loop: Header=BB1730_974 Depth=2
	ds_load_u16 v60, v93 offset:2560
	s_wait_dscnt 0x0
	v_cmp_ne_u16_e64 s30, 0x8000, v60
	s_delay_alu instid0(VALU_DEP_1) | instskip(NEXT) | instid1(VALU_DEP_1)
	v_cndmask_b32_e64 v60, 0x7fff, v60, s30
	v_and_b32_e32 v60, 0xffff, v60
	s_delay_alu instid0(VALU_DEP_1) | instskip(NEXT) | instid1(VALU_DEP_1)
	v_lshrrev_b32_e32 v60, s49, v60
	v_and_b32_e32 v135, s52, v60
	s_or_b32 exec_lo, exec_lo, s42
	s_and_saveexec_b32 s42, s18
	s_cbranch_execz .LBB1730_1090
.LBB1730_1156:                          ;   in Loop: Header=BB1730_974 Depth=2
	ds_load_u16 v60, v93 offset:3072
	s_wait_dscnt 0x0
	v_cmp_ne_u16_e64 s30, 0x8000, v60
	s_delay_alu instid0(VALU_DEP_1) | instskip(NEXT) | instid1(VALU_DEP_1)
	v_cndmask_b32_e64 v60, 0x7fff, v60, s30
	v_and_b32_e32 v60, 0xffff, v60
	s_delay_alu instid0(VALU_DEP_1) | instskip(NEXT) | instid1(VALU_DEP_1)
	v_lshrrev_b32_e32 v60, s49, v60
	v_and_b32_e32 v134, s52, v60
	s_or_b32 exec_lo, exec_lo, s42
	s_and_saveexec_b32 s42, s19
	s_cbranch_execz .LBB1730_1091
.LBB1730_1157:                          ;   in Loop: Header=BB1730_974 Depth=2
	ds_load_u16 v60, v93 offset:3584
	s_wait_dscnt 0x0
	v_cmp_ne_u16_e64 s30, 0x8000, v60
	s_delay_alu instid0(VALU_DEP_1) | instskip(NEXT) | instid1(VALU_DEP_1)
	v_cndmask_b32_e64 v60, 0x7fff, v60, s30
	v_and_b32_e32 v60, 0xffff, v60
	s_delay_alu instid0(VALU_DEP_1) | instskip(NEXT) | instid1(VALU_DEP_1)
	v_lshrrev_b32_e32 v60, s49, v60
	v_and_b32_e32 v133, s52, v60
	s_or_b32 exec_lo, exec_lo, s42
	s_and_saveexec_b32 s42, s20
	s_cbranch_execz .LBB1730_1092
.LBB1730_1158:                          ;   in Loop: Header=BB1730_974 Depth=2
	ds_load_u16 v60, v93 offset:4096
	s_wait_dscnt 0x0
	v_cmp_ne_u16_e64 s30, 0x8000, v60
	s_delay_alu instid0(VALU_DEP_1) | instskip(NEXT) | instid1(VALU_DEP_1)
	v_cndmask_b32_e64 v60, 0x7fff, v60, s30
	v_and_b32_e32 v60, 0xffff, v60
	s_delay_alu instid0(VALU_DEP_1) | instskip(NEXT) | instid1(VALU_DEP_1)
	v_lshrrev_b32_e32 v60, s49, v60
	v_and_b32_e32 v132, s52, v60
	s_or_b32 exec_lo, exec_lo, s42
	s_and_saveexec_b32 s42, s21
	s_cbranch_execz .LBB1730_1093
.LBB1730_1159:                          ;   in Loop: Header=BB1730_974 Depth=2
	ds_load_u16 v60, v93 offset:4608
	s_wait_dscnt 0x0
	v_cmp_ne_u16_e64 s30, 0x8000, v60
	s_delay_alu instid0(VALU_DEP_1) | instskip(NEXT) | instid1(VALU_DEP_1)
	v_cndmask_b32_e64 v60, 0x7fff, v60, s30
	v_and_b32_e32 v60, 0xffff, v60
	s_delay_alu instid0(VALU_DEP_1) | instskip(NEXT) | instid1(VALU_DEP_1)
	v_lshrrev_b32_e32 v60, s49, v60
	v_and_b32_e32 v131, s52, v60
	s_or_b32 exec_lo, exec_lo, s42
	s_and_saveexec_b32 s42, s22
	s_cbranch_execz .LBB1730_1094
.LBB1730_1160:                          ;   in Loop: Header=BB1730_974 Depth=2
	ds_load_u16 v60, v93 offset:5120
	s_wait_dscnt 0x0
	v_cmp_ne_u16_e64 s30, 0x8000, v60
	s_delay_alu instid0(VALU_DEP_1) | instskip(NEXT) | instid1(VALU_DEP_1)
	v_cndmask_b32_e64 v60, 0x7fff, v60, s30
	v_and_b32_e32 v60, 0xffff, v60
	s_delay_alu instid0(VALU_DEP_1) | instskip(NEXT) | instid1(VALU_DEP_1)
	v_lshrrev_b32_e32 v60, s49, v60
	v_and_b32_e32 v130, s52, v60
	s_or_b32 exec_lo, exec_lo, s42
	s_and_saveexec_b32 s42, s23
	s_cbranch_execz .LBB1730_1095
.LBB1730_1161:                          ;   in Loop: Header=BB1730_974 Depth=2
	ds_load_u16 v60, v93 offset:5632
	s_wait_dscnt 0x0
	v_cmp_ne_u16_e64 s30, 0x8000, v60
	s_delay_alu instid0(VALU_DEP_1) | instskip(NEXT) | instid1(VALU_DEP_1)
	v_cndmask_b32_e64 v60, 0x7fff, v60, s30
	v_and_b32_e32 v60, 0xffff, v60
	s_delay_alu instid0(VALU_DEP_1) | instskip(NEXT) | instid1(VALU_DEP_1)
	v_lshrrev_b32_e32 v60, s49, v60
	v_and_b32_e32 v129, s52, v60
	s_or_b32 exec_lo, exec_lo, s42
	s_and_saveexec_b32 s42, s24
	s_cbranch_execz .LBB1730_1096
.LBB1730_1162:                          ;   in Loop: Header=BB1730_974 Depth=2
	ds_load_u16 v60, v93 offset:6144
	s_wait_dscnt 0x0
	v_cmp_ne_u16_e64 s30, 0x8000, v60
	s_delay_alu instid0(VALU_DEP_1) | instskip(NEXT) | instid1(VALU_DEP_1)
	v_cndmask_b32_e64 v60, 0x7fff, v60, s30
	v_and_b32_e32 v60, 0xffff, v60
	s_delay_alu instid0(VALU_DEP_1) | instskip(NEXT) | instid1(VALU_DEP_1)
	v_lshrrev_b32_e32 v60, s49, v60
	v_and_b32_e32 v128, s52, v60
	s_or_b32 exec_lo, exec_lo, s42
	s_and_saveexec_b32 s42, s25
	s_cbranch_execz .LBB1730_1097
.LBB1730_1163:                          ;   in Loop: Header=BB1730_974 Depth=2
	ds_load_u16 v60, v93 offset:6656
	s_wait_dscnt 0x0
	v_cmp_ne_u16_e64 s30, 0x8000, v60
	s_delay_alu instid0(VALU_DEP_1) | instskip(NEXT) | instid1(VALU_DEP_1)
	v_cndmask_b32_e64 v60, 0x7fff, v60, s30
	v_and_b32_e32 v60, 0xffff, v60
	s_delay_alu instid0(VALU_DEP_1) | instskip(NEXT) | instid1(VALU_DEP_1)
	v_lshrrev_b32_e32 v60, s49, v60
	v_and_b32_e32 v127, s52, v60
	s_or_b32 exec_lo, exec_lo, s42
	s_and_saveexec_b32 s42, s26
	s_cbranch_execz .LBB1730_1098
.LBB1730_1164:                          ;   in Loop: Header=BB1730_974 Depth=2
	ds_load_u16 v60, v93 offset:7168
	s_wait_dscnt 0x0
	v_cmp_ne_u16_e64 s30, 0x8000, v60
	s_delay_alu instid0(VALU_DEP_1) | instskip(NEXT) | instid1(VALU_DEP_1)
	v_cndmask_b32_e64 v60, 0x7fff, v60, s30
	v_and_b32_e32 v60, 0xffff, v60
	s_delay_alu instid0(VALU_DEP_1) | instskip(NEXT) | instid1(VALU_DEP_1)
	v_lshrrev_b32_e32 v60, s49, v60
	v_and_b32_e32 v126, s52, v60
	s_or_b32 exec_lo, exec_lo, s42
	s_and_saveexec_b32 s42, s27
	s_cbranch_execz .LBB1730_1099
.LBB1730_1165:                          ;   in Loop: Header=BB1730_974 Depth=2
	ds_load_u16 v60, v93 offset:7680
	s_wait_dscnt 0x0
	v_cmp_ne_u16_e64 s30, 0x8000, v60
	s_delay_alu instid0(VALU_DEP_1) | instskip(NEXT) | instid1(VALU_DEP_1)
	v_cndmask_b32_e64 v60, 0x7fff, v60, s30
	v_and_b32_e32 v60, 0xffff, v60
	s_delay_alu instid0(VALU_DEP_1) | instskip(NEXT) | instid1(VALU_DEP_1)
	v_lshrrev_b32_e32 v60, s49, v60
	v_and_b32_e32 v125, s52, v60
	s_or_b32 exec_lo, exec_lo, s42
	s_and_saveexec_b32 s42, s28
	s_cbranch_execz .LBB1730_1100
.LBB1730_1166:                          ;   in Loop: Header=BB1730_974 Depth=2
	ds_load_u16 v60, v93 offset:8192
	s_wait_dscnt 0x0
	v_cmp_ne_u16_e64 s30, 0x8000, v60
	s_delay_alu instid0(VALU_DEP_1) | instskip(NEXT) | instid1(VALU_DEP_1)
	v_cndmask_b32_e64 v60, 0x7fff, v60, s30
	v_and_b32_e32 v60, 0xffff, v60
	s_delay_alu instid0(VALU_DEP_1) | instskip(NEXT) | instid1(VALU_DEP_1)
	v_lshrrev_b32_e32 v60, s49, v60
	v_and_b32_e32 v124, s52, v60
	s_or_b32 exec_lo, exec_lo, s42
	s_and_saveexec_b32 s42, s29
	s_cbranch_execnz .LBB1730_1101
	s_branch .LBB1730_1102
.LBB1730_1167:                          ;   in Loop: Header=BB1730_974 Depth=2
	v_lshlrev_b32_e32 v61, 2, v138
	ds_load_b32 v61, v61
	ds_load_b64 v[64:65], v60 offset:1024
	s_wait_dscnt 0x1
	v_add_nc_u32_e32 v61, v61, v2
	s_wait_dscnt 0x0
	global_store_b64 v61, v[64:65], s[46:47] scale_offset
	s_wait_xcnt 0x0
	s_or_b32 exec_lo, exec_lo, s30
	s_and_saveexec_b32 s30, s15
	s_cbranch_execz .LBB1730_1104
.LBB1730_1168:                          ;   in Loop: Header=BB1730_974 Depth=2
	v_lshlrev_b32_e32 v61, 2, v137
	ds_load_b32 v61, v61
	ds_load_b64 v[64:65], v60 offset:3072
	s_wait_dscnt 0x1
	v_add_nc_u32_e32 v61, v61, v68
	s_wait_dscnt 0x0
	global_store_b64 v61, v[64:65], s[46:47] scale_offset
	s_wait_xcnt 0x0
	s_or_b32 exec_lo, exec_lo, s30
	s_and_saveexec_b32 s15, s16
	s_cbranch_execz .LBB1730_1105
.LBB1730_1169:                          ;   in Loop: Header=BB1730_974 Depth=2
	v_lshlrev_b32_e32 v61, 2, v136
	ds_load_b32 v61, v61
	ds_load_b64 v[64:65], v60 offset:5120
	s_wait_dscnt 0x1
	v_add_nc_u32_e32 v61, v61, v69
	s_wait_dscnt 0x0
	global_store_b64 v61, v[64:65], s[46:47] scale_offset
	s_wait_xcnt 0x0
	s_or_b32 exec_lo, exec_lo, s15
	s_and_saveexec_b32 s15, s17
	s_cbranch_execz .LBB1730_1106
.LBB1730_1170:                          ;   in Loop: Header=BB1730_974 Depth=2
	v_lshlrev_b32_e32 v61, 2, v135
	ds_load_b32 v61, v61
	ds_load_b64 v[64:65], v60 offset:7168
	s_wait_dscnt 0x1
	v_add_nc_u32_e32 v61, v61, v70
	s_wait_dscnt 0x0
	global_store_b64 v61, v[64:65], s[46:47] scale_offset
	s_wait_xcnt 0x0
	s_or_b32 exec_lo, exec_lo, s15
	s_and_saveexec_b32 s15, s18
	s_cbranch_execz .LBB1730_1107
.LBB1730_1171:                          ;   in Loop: Header=BB1730_974 Depth=2
	v_lshlrev_b32_e32 v61, 2, v134
	ds_load_b32 v61, v61
	ds_load_b64 v[64:65], v60 offset:9216
	s_wait_dscnt 0x1
	v_add_nc_u32_e32 v61, v61, v71
	s_wait_dscnt 0x0
	global_store_b64 v61, v[64:65], s[46:47] scale_offset
	s_wait_xcnt 0x0
	s_or_b32 exec_lo, exec_lo, s15
	s_and_saveexec_b32 s15, s19
	s_cbranch_execz .LBB1730_1108
.LBB1730_1172:                          ;   in Loop: Header=BB1730_974 Depth=2
	v_lshlrev_b32_e32 v61, 2, v133
	ds_load_b32 v61, v61
	ds_load_b64 v[64:65], v60 offset:11264
	s_wait_dscnt 0x1
	v_add_nc_u32_e32 v61, v61, v72
	s_wait_dscnt 0x0
	global_store_b64 v61, v[64:65], s[46:47] scale_offset
	s_wait_xcnt 0x0
	s_or_b32 exec_lo, exec_lo, s15
	s_and_saveexec_b32 s15, s20
	s_cbranch_execz .LBB1730_1109
.LBB1730_1173:                          ;   in Loop: Header=BB1730_974 Depth=2
	v_lshlrev_b32_e32 v61, 2, v132
	ds_load_b32 v61, v61
	ds_load_b64 v[64:65], v60 offset:13312
	s_wait_dscnt 0x1
	v_add_nc_u32_e32 v61, v61, v73
	s_wait_dscnt 0x0
	global_store_b64 v61, v[64:65], s[46:47] scale_offset
	s_wait_xcnt 0x0
	s_or_b32 exec_lo, exec_lo, s15
	s_and_saveexec_b32 s15, s21
	s_cbranch_execz .LBB1730_1110
.LBB1730_1174:                          ;   in Loop: Header=BB1730_974 Depth=2
	v_lshlrev_b32_e32 v61, 2, v131
	ds_load_b32 v61, v61
	ds_load_b64 v[64:65], v60 offset:15360
	s_wait_dscnt 0x1
	v_add_nc_u32_e32 v61, v61, v74
	s_wait_dscnt 0x0
	global_store_b64 v61, v[64:65], s[46:47] scale_offset
	s_wait_xcnt 0x0
	s_or_b32 exec_lo, exec_lo, s15
	s_and_saveexec_b32 s15, s22
	s_cbranch_execz .LBB1730_1111
.LBB1730_1175:                          ;   in Loop: Header=BB1730_974 Depth=2
	v_lshlrev_b32_e32 v61, 2, v130
	ds_load_b32 v61, v61
	ds_load_b64 v[64:65], v60 offset:17408
	s_wait_dscnt 0x1
	v_add_nc_u32_e32 v61, v61, v75
	s_wait_dscnt 0x0
	global_store_b64 v61, v[64:65], s[46:47] scale_offset
	s_wait_xcnt 0x0
	s_or_b32 exec_lo, exec_lo, s15
	s_and_saveexec_b32 s15, s23
	s_cbranch_execz .LBB1730_1112
.LBB1730_1176:                          ;   in Loop: Header=BB1730_974 Depth=2
	v_lshlrev_b32_e32 v61, 2, v129
	ds_load_b32 v61, v61
	ds_load_b64 v[64:65], v60 offset:19456
	s_wait_dscnt 0x1
	v_add_nc_u32_e32 v61, v61, v76
	s_wait_dscnt 0x0
	global_store_b64 v61, v[64:65], s[46:47] scale_offset
	s_wait_xcnt 0x0
	s_or_b32 exec_lo, exec_lo, s15
	s_and_saveexec_b32 s15, s24
	s_cbranch_execz .LBB1730_1113
.LBB1730_1177:                          ;   in Loop: Header=BB1730_974 Depth=2
	v_lshlrev_b32_e32 v61, 2, v128
	ds_load_b32 v61, v61
	ds_load_b64 v[64:65], v60 offset:21504
	s_wait_dscnt 0x1
	v_add_nc_u32_e32 v61, v61, v77
	s_wait_dscnt 0x0
	global_store_b64 v61, v[64:65], s[46:47] scale_offset
	s_wait_xcnt 0x0
	s_or_b32 exec_lo, exec_lo, s15
	s_and_saveexec_b32 s15, s25
	s_cbranch_execz .LBB1730_1114
.LBB1730_1178:                          ;   in Loop: Header=BB1730_974 Depth=2
	v_lshlrev_b32_e32 v61, 2, v127
	ds_load_b32 v61, v61
	ds_load_b64 v[64:65], v60 offset:23552
	s_wait_dscnt 0x1
	v_add_nc_u32_e32 v61, v61, v78
	s_wait_dscnt 0x0
	global_store_b64 v61, v[64:65], s[46:47] scale_offset
	s_wait_xcnt 0x0
	s_or_b32 exec_lo, exec_lo, s15
	s_and_saveexec_b32 s15, s26
	s_cbranch_execz .LBB1730_1115
.LBB1730_1179:                          ;   in Loop: Header=BB1730_974 Depth=2
	v_lshlrev_b32_e32 v61, 2, v126
	ds_load_b32 v61, v61
	ds_load_b64 v[64:65], v60 offset:25600
	s_wait_dscnt 0x1
	v_add_nc_u32_e32 v61, v61, v79
	s_wait_dscnt 0x0
	global_store_b64 v61, v[64:65], s[46:47] scale_offset
	s_wait_xcnt 0x0
	s_or_b32 exec_lo, exec_lo, s15
	s_and_saveexec_b32 s15, s27
	s_cbranch_execz .LBB1730_1116
.LBB1730_1180:                          ;   in Loop: Header=BB1730_974 Depth=2
	v_lshlrev_b32_e32 v61, 2, v125
	ds_load_b32 v61, v61
	ds_load_b64 v[64:65], v60 offset:27648
	s_wait_dscnt 0x1
	v_add_nc_u32_e32 v61, v61, v80
	s_wait_dscnt 0x0
	global_store_b64 v61, v[64:65], s[46:47] scale_offset
	s_wait_xcnt 0x0
	s_or_b32 exec_lo, exec_lo, s15
	s_and_saveexec_b32 s15, s28
	s_cbranch_execz .LBB1730_1117
.LBB1730_1181:                          ;   in Loop: Header=BB1730_974 Depth=2
	v_lshlrev_b32_e32 v61, 2, v124
	ds_load_b32 v61, v61
	ds_load_b64 v[64:65], v60 offset:29696
	s_wait_dscnt 0x1
	v_add_nc_u32_e32 v61, v61, v81
	s_wait_dscnt 0x0
	global_store_b64 v61, v[64:65], s[46:47] scale_offset
	s_wait_xcnt 0x0
	s_or_b32 exec_lo, exec_lo, s15
	s_and_saveexec_b32 s15, s29
	s_cbranch_execnz .LBB1730_1118
	s_branch .LBB1730_1119
.LBB1730_1182:
	s_endpgm
	.section	.rodata,"a",@progbits
	.p2align	6, 0x0
	.amdhsa_kernel _ZN7rocprim17ROCPRIM_400000_NS6detail17trampoline_kernelINS0_14default_configENS1_36segmented_radix_sort_config_selectorI6__halflEEZNS1_25segmented_radix_sort_implIS3_Lb1EPKS5_PS5_PKlPlN2at6native12_GLOBAL__N_18offset_tEEE10hipError_tPvRmT1_PNSt15iterator_traitsISL_E10value_typeET2_T3_PNSM_ISR_E10value_typeET4_jRbjT5_SX_jjP12ihipStream_tbEUlT_E_NS1_11comp_targetILNS1_3genE0ELNS1_11target_archE4294967295ELNS1_3gpuE0ELNS1_3repE0EEENS1_30default_config_static_selectorELNS0_4arch9wavefront6targetE0EEEvSL_
		.amdhsa_group_segment_fixed_size 33824
		.amdhsa_private_segment_fixed_size 0
		.amdhsa_kernarg_size 352
		.amdhsa_user_sgpr_count 4
		.amdhsa_user_sgpr_dispatch_ptr 0
		.amdhsa_user_sgpr_queue_ptr 1
		.amdhsa_user_sgpr_kernarg_segment_ptr 1
		.amdhsa_user_sgpr_dispatch_id 0
		.amdhsa_user_sgpr_kernarg_preload_length 0
		.amdhsa_user_sgpr_kernarg_preload_offset 0
		.amdhsa_user_sgpr_private_segment_size 0
		.amdhsa_wavefront_size32 1
		.amdhsa_uses_dynamic_stack 0
		.amdhsa_enable_private_segment 0
		.amdhsa_system_sgpr_workgroup_id_x 1
		.amdhsa_system_sgpr_workgroup_id_y 1
		.amdhsa_system_sgpr_workgroup_id_z 0
		.amdhsa_system_sgpr_workgroup_info 0
		.amdhsa_system_vgpr_workitem_id 2
		.amdhsa_next_free_vgpr 304
		.amdhsa_next_free_sgpr 59
		.amdhsa_named_barrier_count 0
		.amdhsa_reserve_vcc 1
		.amdhsa_float_round_mode_32 0
		.amdhsa_float_round_mode_16_64 0
		.amdhsa_float_denorm_mode_32 3
		.amdhsa_float_denorm_mode_16_64 3
		.amdhsa_fp16_overflow 0
		.amdhsa_memory_ordered 1
		.amdhsa_forward_progress 1
		.amdhsa_inst_pref_size 255
		.amdhsa_round_robin_scheduling 0
		.amdhsa_exception_fp_ieee_invalid_op 0
		.amdhsa_exception_fp_denorm_src 0
		.amdhsa_exception_fp_ieee_div_zero 0
		.amdhsa_exception_fp_ieee_overflow 0
		.amdhsa_exception_fp_ieee_underflow 0
		.amdhsa_exception_fp_ieee_inexact 0
		.amdhsa_exception_int_div_zero 0
	.end_amdhsa_kernel
	.section	.text._ZN7rocprim17ROCPRIM_400000_NS6detail17trampoline_kernelINS0_14default_configENS1_36segmented_radix_sort_config_selectorI6__halflEEZNS1_25segmented_radix_sort_implIS3_Lb1EPKS5_PS5_PKlPlN2at6native12_GLOBAL__N_18offset_tEEE10hipError_tPvRmT1_PNSt15iterator_traitsISL_E10value_typeET2_T3_PNSM_ISR_E10value_typeET4_jRbjT5_SX_jjP12ihipStream_tbEUlT_E_NS1_11comp_targetILNS1_3genE0ELNS1_11target_archE4294967295ELNS1_3gpuE0ELNS1_3repE0EEENS1_30default_config_static_selectorELNS0_4arch9wavefront6targetE0EEEvSL_,"axG",@progbits,_ZN7rocprim17ROCPRIM_400000_NS6detail17trampoline_kernelINS0_14default_configENS1_36segmented_radix_sort_config_selectorI6__halflEEZNS1_25segmented_radix_sort_implIS3_Lb1EPKS5_PS5_PKlPlN2at6native12_GLOBAL__N_18offset_tEEE10hipError_tPvRmT1_PNSt15iterator_traitsISL_E10value_typeET2_T3_PNSM_ISR_E10value_typeET4_jRbjT5_SX_jjP12ihipStream_tbEUlT_E_NS1_11comp_targetILNS1_3genE0ELNS1_11target_archE4294967295ELNS1_3gpuE0ELNS1_3repE0EEENS1_30default_config_static_selectorELNS0_4arch9wavefront6targetE0EEEvSL_,comdat
.Lfunc_end1730:
	.size	_ZN7rocprim17ROCPRIM_400000_NS6detail17trampoline_kernelINS0_14default_configENS1_36segmented_radix_sort_config_selectorI6__halflEEZNS1_25segmented_radix_sort_implIS3_Lb1EPKS5_PS5_PKlPlN2at6native12_GLOBAL__N_18offset_tEEE10hipError_tPvRmT1_PNSt15iterator_traitsISL_E10value_typeET2_T3_PNSM_ISR_E10value_typeET4_jRbjT5_SX_jjP12ihipStream_tbEUlT_E_NS1_11comp_targetILNS1_3genE0ELNS1_11target_archE4294967295ELNS1_3gpuE0ELNS1_3repE0EEENS1_30default_config_static_selectorELNS0_4arch9wavefront6targetE0EEEvSL_, .Lfunc_end1730-_ZN7rocprim17ROCPRIM_400000_NS6detail17trampoline_kernelINS0_14default_configENS1_36segmented_radix_sort_config_selectorI6__halflEEZNS1_25segmented_radix_sort_implIS3_Lb1EPKS5_PS5_PKlPlN2at6native12_GLOBAL__N_18offset_tEEE10hipError_tPvRmT1_PNSt15iterator_traitsISL_E10value_typeET2_T3_PNSM_ISR_E10value_typeET4_jRbjT5_SX_jjP12ihipStream_tbEUlT_E_NS1_11comp_targetILNS1_3genE0ELNS1_11target_archE4294967295ELNS1_3gpuE0ELNS1_3repE0EEENS1_30default_config_static_selectorELNS0_4arch9wavefront6targetE0EEEvSL_
                                        ; -- End function
	.set _ZN7rocprim17ROCPRIM_400000_NS6detail17trampoline_kernelINS0_14default_configENS1_36segmented_radix_sort_config_selectorI6__halflEEZNS1_25segmented_radix_sort_implIS3_Lb1EPKS5_PS5_PKlPlN2at6native12_GLOBAL__N_18offset_tEEE10hipError_tPvRmT1_PNSt15iterator_traitsISL_E10value_typeET2_T3_PNSM_ISR_E10value_typeET4_jRbjT5_SX_jjP12ihipStream_tbEUlT_E_NS1_11comp_targetILNS1_3genE0ELNS1_11target_archE4294967295ELNS1_3gpuE0ELNS1_3repE0EEENS1_30default_config_static_selectorELNS0_4arch9wavefront6targetE0EEEvSL_.num_vgpr, max(206, .L_ZN7rocprim17ROCPRIM_400000_NS6detail40segmented_radix_sort_single_block_helperI6__halflLj256ELj16ELb1EE4sortIPKS3_PS3_PKlPlEEbT_T0_T1_T2_jjjjRNS4_12storage_typeE.num_vgpr)
	.set _ZN7rocprim17ROCPRIM_400000_NS6detail17trampoline_kernelINS0_14default_configENS1_36segmented_radix_sort_config_selectorI6__halflEEZNS1_25segmented_radix_sort_implIS3_Lb1EPKS5_PS5_PKlPlN2at6native12_GLOBAL__N_18offset_tEEE10hipError_tPvRmT1_PNSt15iterator_traitsISL_E10value_typeET2_T3_PNSM_ISR_E10value_typeET4_jRbjT5_SX_jjP12ihipStream_tbEUlT_E_NS1_11comp_targetILNS1_3genE0ELNS1_11target_archE4294967295ELNS1_3gpuE0ELNS1_3repE0EEENS1_30default_config_static_selectorELNS0_4arch9wavefront6targetE0EEEvSL_.num_agpr, max(0, .L_ZN7rocprim17ROCPRIM_400000_NS6detail40segmented_radix_sort_single_block_helperI6__halflLj256ELj16ELb1EE4sortIPKS3_PS3_PKlPlEEbT_T0_T1_T2_jjjjRNS4_12storage_typeE.num_agpr)
	.set _ZN7rocprim17ROCPRIM_400000_NS6detail17trampoline_kernelINS0_14default_configENS1_36segmented_radix_sort_config_selectorI6__halflEEZNS1_25segmented_radix_sort_implIS3_Lb1EPKS5_PS5_PKlPlN2at6native12_GLOBAL__N_18offset_tEEE10hipError_tPvRmT1_PNSt15iterator_traitsISL_E10value_typeET2_T3_PNSM_ISR_E10value_typeET4_jRbjT5_SX_jjP12ihipStream_tbEUlT_E_NS1_11comp_targetILNS1_3genE0ELNS1_11target_archE4294967295ELNS1_3gpuE0ELNS1_3repE0EEENS1_30default_config_static_selectorELNS0_4arch9wavefront6targetE0EEEvSL_.numbered_sgpr, max(59, .L_ZN7rocprim17ROCPRIM_400000_NS6detail40segmented_radix_sort_single_block_helperI6__halflLj256ELj16ELb1EE4sortIPKS3_PS3_PKlPlEEbT_T0_T1_T2_jjjjRNS4_12storage_typeE.numbered_sgpr)
	.set _ZN7rocprim17ROCPRIM_400000_NS6detail17trampoline_kernelINS0_14default_configENS1_36segmented_radix_sort_config_selectorI6__halflEEZNS1_25segmented_radix_sort_implIS3_Lb1EPKS5_PS5_PKlPlN2at6native12_GLOBAL__N_18offset_tEEE10hipError_tPvRmT1_PNSt15iterator_traitsISL_E10value_typeET2_T3_PNSM_ISR_E10value_typeET4_jRbjT5_SX_jjP12ihipStream_tbEUlT_E_NS1_11comp_targetILNS1_3genE0ELNS1_11target_archE4294967295ELNS1_3gpuE0ELNS1_3repE0EEENS1_30default_config_static_selectorELNS0_4arch9wavefront6targetE0EEEvSL_.num_named_barrier, max(0, .L_ZN7rocprim17ROCPRIM_400000_NS6detail40segmented_radix_sort_single_block_helperI6__halflLj256ELj16ELb1EE4sortIPKS3_PS3_PKlPlEEbT_T0_T1_T2_jjjjRNS4_12storage_typeE.num_named_barrier)
	.set _ZN7rocprim17ROCPRIM_400000_NS6detail17trampoline_kernelINS0_14default_configENS1_36segmented_radix_sort_config_selectorI6__halflEEZNS1_25segmented_radix_sort_implIS3_Lb1EPKS5_PS5_PKlPlN2at6native12_GLOBAL__N_18offset_tEEE10hipError_tPvRmT1_PNSt15iterator_traitsISL_E10value_typeET2_T3_PNSM_ISR_E10value_typeET4_jRbjT5_SX_jjP12ihipStream_tbEUlT_E_NS1_11comp_targetILNS1_3genE0ELNS1_11target_archE4294967295ELNS1_3gpuE0ELNS1_3repE0EEENS1_30default_config_static_selectorELNS0_4arch9wavefront6targetE0EEEvSL_.private_seg_size, 0+max(.L_ZN7rocprim17ROCPRIM_400000_NS6detail40segmented_radix_sort_single_block_helperI6__halflLj256ELj16ELb1EE4sortIPKS3_PS3_PKlPlEEbT_T0_T1_T2_jjjjRNS4_12storage_typeE.private_seg_size)
	.set _ZN7rocprim17ROCPRIM_400000_NS6detail17trampoline_kernelINS0_14default_configENS1_36segmented_radix_sort_config_selectorI6__halflEEZNS1_25segmented_radix_sort_implIS3_Lb1EPKS5_PS5_PKlPlN2at6native12_GLOBAL__N_18offset_tEEE10hipError_tPvRmT1_PNSt15iterator_traitsISL_E10value_typeET2_T3_PNSM_ISR_E10value_typeET4_jRbjT5_SX_jjP12ihipStream_tbEUlT_E_NS1_11comp_targetILNS1_3genE0ELNS1_11target_archE4294967295ELNS1_3gpuE0ELNS1_3repE0EEENS1_30default_config_static_selectorELNS0_4arch9wavefront6targetE0EEEvSL_.uses_vcc, or(1, .L_ZN7rocprim17ROCPRIM_400000_NS6detail40segmented_radix_sort_single_block_helperI6__halflLj256ELj16ELb1EE4sortIPKS3_PS3_PKlPlEEbT_T0_T1_T2_jjjjRNS4_12storage_typeE.uses_vcc)
	.set _ZN7rocprim17ROCPRIM_400000_NS6detail17trampoline_kernelINS0_14default_configENS1_36segmented_radix_sort_config_selectorI6__halflEEZNS1_25segmented_radix_sort_implIS3_Lb1EPKS5_PS5_PKlPlN2at6native12_GLOBAL__N_18offset_tEEE10hipError_tPvRmT1_PNSt15iterator_traitsISL_E10value_typeET2_T3_PNSM_ISR_E10value_typeET4_jRbjT5_SX_jjP12ihipStream_tbEUlT_E_NS1_11comp_targetILNS1_3genE0ELNS1_11target_archE4294967295ELNS1_3gpuE0ELNS1_3repE0EEENS1_30default_config_static_selectorELNS0_4arch9wavefront6targetE0EEEvSL_.uses_flat_scratch, or(0, .L_ZN7rocprim17ROCPRIM_400000_NS6detail40segmented_radix_sort_single_block_helperI6__halflLj256ELj16ELb1EE4sortIPKS3_PS3_PKlPlEEbT_T0_T1_T2_jjjjRNS4_12storage_typeE.uses_flat_scratch)
	.set _ZN7rocprim17ROCPRIM_400000_NS6detail17trampoline_kernelINS0_14default_configENS1_36segmented_radix_sort_config_selectorI6__halflEEZNS1_25segmented_radix_sort_implIS3_Lb1EPKS5_PS5_PKlPlN2at6native12_GLOBAL__N_18offset_tEEE10hipError_tPvRmT1_PNSt15iterator_traitsISL_E10value_typeET2_T3_PNSM_ISR_E10value_typeET4_jRbjT5_SX_jjP12ihipStream_tbEUlT_E_NS1_11comp_targetILNS1_3genE0ELNS1_11target_archE4294967295ELNS1_3gpuE0ELNS1_3repE0EEENS1_30default_config_static_selectorELNS0_4arch9wavefront6targetE0EEEvSL_.has_dyn_sized_stack, or(0, .L_ZN7rocprim17ROCPRIM_400000_NS6detail40segmented_radix_sort_single_block_helperI6__halflLj256ELj16ELb1EE4sortIPKS3_PS3_PKlPlEEbT_T0_T1_T2_jjjjRNS4_12storage_typeE.has_dyn_sized_stack)
	.set _ZN7rocprim17ROCPRIM_400000_NS6detail17trampoline_kernelINS0_14default_configENS1_36segmented_radix_sort_config_selectorI6__halflEEZNS1_25segmented_radix_sort_implIS3_Lb1EPKS5_PS5_PKlPlN2at6native12_GLOBAL__N_18offset_tEEE10hipError_tPvRmT1_PNSt15iterator_traitsISL_E10value_typeET2_T3_PNSM_ISR_E10value_typeET4_jRbjT5_SX_jjP12ihipStream_tbEUlT_E_NS1_11comp_targetILNS1_3genE0ELNS1_11target_archE4294967295ELNS1_3gpuE0ELNS1_3repE0EEENS1_30default_config_static_selectorELNS0_4arch9wavefront6targetE0EEEvSL_.has_recursion, or(0, .L_ZN7rocprim17ROCPRIM_400000_NS6detail40segmented_radix_sort_single_block_helperI6__halflLj256ELj16ELb1EE4sortIPKS3_PS3_PKlPlEEbT_T0_T1_T2_jjjjRNS4_12storage_typeE.has_recursion)
	.set _ZN7rocprim17ROCPRIM_400000_NS6detail17trampoline_kernelINS0_14default_configENS1_36segmented_radix_sort_config_selectorI6__halflEEZNS1_25segmented_radix_sort_implIS3_Lb1EPKS5_PS5_PKlPlN2at6native12_GLOBAL__N_18offset_tEEE10hipError_tPvRmT1_PNSt15iterator_traitsISL_E10value_typeET2_T3_PNSM_ISR_E10value_typeET4_jRbjT5_SX_jjP12ihipStream_tbEUlT_E_NS1_11comp_targetILNS1_3genE0ELNS1_11target_archE4294967295ELNS1_3gpuE0ELNS1_3repE0EEENS1_30default_config_static_selectorELNS0_4arch9wavefront6targetE0EEEvSL_.has_indirect_call, or(0, .L_ZN7rocprim17ROCPRIM_400000_NS6detail40segmented_radix_sort_single_block_helperI6__halflLj256ELj16ELb1EE4sortIPKS3_PS3_PKlPlEEbT_T0_T1_T2_jjjjRNS4_12storage_typeE.has_indirect_call)
	.section	.AMDGPU.csdata,"",@progbits
; Kernel info:
; codeLenInByte = 80596
; TotalNumSgprs: 61
; NumVgprs: 304
; ScratchSize: 0
; MemoryBound: 0
; FloatMode: 240
; IeeeMode: 1
; LDSByteSize: 33824 bytes/workgroup (compile time only)
; SGPRBlocks: 0
; VGPRBlocks: 18
; NumSGPRsForWavesPerEU: 61
; NumVGPRsForWavesPerEU: 304
; NamedBarCnt: 0
; Occupancy: 3
; WaveLimiterHint : 1
; COMPUTE_PGM_RSRC2:SCRATCH_EN: 0
; COMPUTE_PGM_RSRC2:USER_SGPR: 4
; COMPUTE_PGM_RSRC2:TRAP_HANDLER: 0
; COMPUTE_PGM_RSRC2:TGID_X_EN: 1
; COMPUTE_PGM_RSRC2:TGID_Y_EN: 1
; COMPUTE_PGM_RSRC2:TGID_Z_EN: 0
; COMPUTE_PGM_RSRC2:TIDIG_COMP_CNT: 2
	.section	.text._ZN7rocprim17ROCPRIM_400000_NS6detail17trampoline_kernelINS0_14default_configENS1_36segmented_radix_sort_config_selectorI6__halflEEZNS1_25segmented_radix_sort_implIS3_Lb1EPKS5_PS5_PKlPlN2at6native12_GLOBAL__N_18offset_tEEE10hipError_tPvRmT1_PNSt15iterator_traitsISL_E10value_typeET2_T3_PNSM_ISR_E10value_typeET4_jRbjT5_SX_jjP12ihipStream_tbEUlT_E_NS1_11comp_targetILNS1_3genE5ELNS1_11target_archE942ELNS1_3gpuE9ELNS1_3repE0EEENS1_30default_config_static_selectorELNS0_4arch9wavefront6targetE0EEEvSL_,"axG",@progbits,_ZN7rocprim17ROCPRIM_400000_NS6detail17trampoline_kernelINS0_14default_configENS1_36segmented_radix_sort_config_selectorI6__halflEEZNS1_25segmented_radix_sort_implIS3_Lb1EPKS5_PS5_PKlPlN2at6native12_GLOBAL__N_18offset_tEEE10hipError_tPvRmT1_PNSt15iterator_traitsISL_E10value_typeET2_T3_PNSM_ISR_E10value_typeET4_jRbjT5_SX_jjP12ihipStream_tbEUlT_E_NS1_11comp_targetILNS1_3genE5ELNS1_11target_archE942ELNS1_3gpuE9ELNS1_3repE0EEENS1_30default_config_static_selectorELNS0_4arch9wavefront6targetE0EEEvSL_,comdat
	.globl	_ZN7rocprim17ROCPRIM_400000_NS6detail17trampoline_kernelINS0_14default_configENS1_36segmented_radix_sort_config_selectorI6__halflEEZNS1_25segmented_radix_sort_implIS3_Lb1EPKS5_PS5_PKlPlN2at6native12_GLOBAL__N_18offset_tEEE10hipError_tPvRmT1_PNSt15iterator_traitsISL_E10value_typeET2_T3_PNSM_ISR_E10value_typeET4_jRbjT5_SX_jjP12ihipStream_tbEUlT_E_NS1_11comp_targetILNS1_3genE5ELNS1_11target_archE942ELNS1_3gpuE9ELNS1_3repE0EEENS1_30default_config_static_selectorELNS0_4arch9wavefront6targetE0EEEvSL_ ; -- Begin function _ZN7rocprim17ROCPRIM_400000_NS6detail17trampoline_kernelINS0_14default_configENS1_36segmented_radix_sort_config_selectorI6__halflEEZNS1_25segmented_radix_sort_implIS3_Lb1EPKS5_PS5_PKlPlN2at6native12_GLOBAL__N_18offset_tEEE10hipError_tPvRmT1_PNSt15iterator_traitsISL_E10value_typeET2_T3_PNSM_ISR_E10value_typeET4_jRbjT5_SX_jjP12ihipStream_tbEUlT_E_NS1_11comp_targetILNS1_3genE5ELNS1_11target_archE942ELNS1_3gpuE9ELNS1_3repE0EEENS1_30default_config_static_selectorELNS0_4arch9wavefront6targetE0EEEvSL_
	.p2align	8
	.type	_ZN7rocprim17ROCPRIM_400000_NS6detail17trampoline_kernelINS0_14default_configENS1_36segmented_radix_sort_config_selectorI6__halflEEZNS1_25segmented_radix_sort_implIS3_Lb1EPKS5_PS5_PKlPlN2at6native12_GLOBAL__N_18offset_tEEE10hipError_tPvRmT1_PNSt15iterator_traitsISL_E10value_typeET2_T3_PNSM_ISR_E10value_typeET4_jRbjT5_SX_jjP12ihipStream_tbEUlT_E_NS1_11comp_targetILNS1_3genE5ELNS1_11target_archE942ELNS1_3gpuE9ELNS1_3repE0EEENS1_30default_config_static_selectorELNS0_4arch9wavefront6targetE0EEEvSL_,@function
_ZN7rocprim17ROCPRIM_400000_NS6detail17trampoline_kernelINS0_14default_configENS1_36segmented_radix_sort_config_selectorI6__halflEEZNS1_25segmented_radix_sort_implIS3_Lb1EPKS5_PS5_PKlPlN2at6native12_GLOBAL__N_18offset_tEEE10hipError_tPvRmT1_PNSt15iterator_traitsISL_E10value_typeET2_T3_PNSM_ISR_E10value_typeET4_jRbjT5_SX_jjP12ihipStream_tbEUlT_E_NS1_11comp_targetILNS1_3genE5ELNS1_11target_archE942ELNS1_3gpuE9ELNS1_3repE0EEENS1_30default_config_static_selectorELNS0_4arch9wavefront6targetE0EEEvSL_: ; @_ZN7rocprim17ROCPRIM_400000_NS6detail17trampoline_kernelINS0_14default_configENS1_36segmented_radix_sort_config_selectorI6__halflEEZNS1_25segmented_radix_sort_implIS3_Lb1EPKS5_PS5_PKlPlN2at6native12_GLOBAL__N_18offset_tEEE10hipError_tPvRmT1_PNSt15iterator_traitsISL_E10value_typeET2_T3_PNSM_ISR_E10value_typeET4_jRbjT5_SX_jjP12ihipStream_tbEUlT_E_NS1_11comp_targetILNS1_3genE5ELNS1_11target_archE942ELNS1_3gpuE9ELNS1_3repE0EEENS1_30default_config_static_selectorELNS0_4arch9wavefront6targetE0EEEvSL_
; %bb.0:
	.section	.rodata,"a",@progbits
	.p2align	6, 0x0
	.amdhsa_kernel _ZN7rocprim17ROCPRIM_400000_NS6detail17trampoline_kernelINS0_14default_configENS1_36segmented_radix_sort_config_selectorI6__halflEEZNS1_25segmented_radix_sort_implIS3_Lb1EPKS5_PS5_PKlPlN2at6native12_GLOBAL__N_18offset_tEEE10hipError_tPvRmT1_PNSt15iterator_traitsISL_E10value_typeET2_T3_PNSM_ISR_E10value_typeET4_jRbjT5_SX_jjP12ihipStream_tbEUlT_E_NS1_11comp_targetILNS1_3genE5ELNS1_11target_archE942ELNS1_3gpuE9ELNS1_3repE0EEENS1_30default_config_static_selectorELNS0_4arch9wavefront6targetE0EEEvSL_
		.amdhsa_group_segment_fixed_size 0
		.amdhsa_private_segment_fixed_size 0
		.amdhsa_kernarg_size 96
		.amdhsa_user_sgpr_count 2
		.amdhsa_user_sgpr_dispatch_ptr 0
		.amdhsa_user_sgpr_queue_ptr 0
		.amdhsa_user_sgpr_kernarg_segment_ptr 1
		.amdhsa_user_sgpr_dispatch_id 0
		.amdhsa_user_sgpr_kernarg_preload_length 0
		.amdhsa_user_sgpr_kernarg_preload_offset 0
		.amdhsa_user_sgpr_private_segment_size 0
		.amdhsa_wavefront_size32 1
		.amdhsa_uses_dynamic_stack 0
		.amdhsa_enable_private_segment 0
		.amdhsa_system_sgpr_workgroup_id_x 1
		.amdhsa_system_sgpr_workgroup_id_y 0
		.amdhsa_system_sgpr_workgroup_id_z 0
		.amdhsa_system_sgpr_workgroup_info 0
		.amdhsa_system_vgpr_workitem_id 0
		.amdhsa_next_free_vgpr 1
		.amdhsa_next_free_sgpr 1
		.amdhsa_named_barrier_count 0
		.amdhsa_reserve_vcc 0
		.amdhsa_float_round_mode_32 0
		.amdhsa_float_round_mode_16_64 0
		.amdhsa_float_denorm_mode_32 3
		.amdhsa_float_denorm_mode_16_64 3
		.amdhsa_fp16_overflow 0
		.amdhsa_memory_ordered 1
		.amdhsa_forward_progress 1
		.amdhsa_inst_pref_size 0
		.amdhsa_round_robin_scheduling 0
		.amdhsa_exception_fp_ieee_invalid_op 0
		.amdhsa_exception_fp_denorm_src 0
		.amdhsa_exception_fp_ieee_div_zero 0
		.amdhsa_exception_fp_ieee_overflow 0
		.amdhsa_exception_fp_ieee_underflow 0
		.amdhsa_exception_fp_ieee_inexact 0
		.amdhsa_exception_int_div_zero 0
	.end_amdhsa_kernel
	.section	.text._ZN7rocprim17ROCPRIM_400000_NS6detail17trampoline_kernelINS0_14default_configENS1_36segmented_radix_sort_config_selectorI6__halflEEZNS1_25segmented_radix_sort_implIS3_Lb1EPKS5_PS5_PKlPlN2at6native12_GLOBAL__N_18offset_tEEE10hipError_tPvRmT1_PNSt15iterator_traitsISL_E10value_typeET2_T3_PNSM_ISR_E10value_typeET4_jRbjT5_SX_jjP12ihipStream_tbEUlT_E_NS1_11comp_targetILNS1_3genE5ELNS1_11target_archE942ELNS1_3gpuE9ELNS1_3repE0EEENS1_30default_config_static_selectorELNS0_4arch9wavefront6targetE0EEEvSL_,"axG",@progbits,_ZN7rocprim17ROCPRIM_400000_NS6detail17trampoline_kernelINS0_14default_configENS1_36segmented_radix_sort_config_selectorI6__halflEEZNS1_25segmented_radix_sort_implIS3_Lb1EPKS5_PS5_PKlPlN2at6native12_GLOBAL__N_18offset_tEEE10hipError_tPvRmT1_PNSt15iterator_traitsISL_E10value_typeET2_T3_PNSM_ISR_E10value_typeET4_jRbjT5_SX_jjP12ihipStream_tbEUlT_E_NS1_11comp_targetILNS1_3genE5ELNS1_11target_archE942ELNS1_3gpuE9ELNS1_3repE0EEENS1_30default_config_static_selectorELNS0_4arch9wavefront6targetE0EEEvSL_,comdat
.Lfunc_end1731:
	.size	_ZN7rocprim17ROCPRIM_400000_NS6detail17trampoline_kernelINS0_14default_configENS1_36segmented_radix_sort_config_selectorI6__halflEEZNS1_25segmented_radix_sort_implIS3_Lb1EPKS5_PS5_PKlPlN2at6native12_GLOBAL__N_18offset_tEEE10hipError_tPvRmT1_PNSt15iterator_traitsISL_E10value_typeET2_T3_PNSM_ISR_E10value_typeET4_jRbjT5_SX_jjP12ihipStream_tbEUlT_E_NS1_11comp_targetILNS1_3genE5ELNS1_11target_archE942ELNS1_3gpuE9ELNS1_3repE0EEENS1_30default_config_static_selectorELNS0_4arch9wavefront6targetE0EEEvSL_, .Lfunc_end1731-_ZN7rocprim17ROCPRIM_400000_NS6detail17trampoline_kernelINS0_14default_configENS1_36segmented_radix_sort_config_selectorI6__halflEEZNS1_25segmented_radix_sort_implIS3_Lb1EPKS5_PS5_PKlPlN2at6native12_GLOBAL__N_18offset_tEEE10hipError_tPvRmT1_PNSt15iterator_traitsISL_E10value_typeET2_T3_PNSM_ISR_E10value_typeET4_jRbjT5_SX_jjP12ihipStream_tbEUlT_E_NS1_11comp_targetILNS1_3genE5ELNS1_11target_archE942ELNS1_3gpuE9ELNS1_3repE0EEENS1_30default_config_static_selectorELNS0_4arch9wavefront6targetE0EEEvSL_
                                        ; -- End function
	.set _ZN7rocprim17ROCPRIM_400000_NS6detail17trampoline_kernelINS0_14default_configENS1_36segmented_radix_sort_config_selectorI6__halflEEZNS1_25segmented_radix_sort_implIS3_Lb1EPKS5_PS5_PKlPlN2at6native12_GLOBAL__N_18offset_tEEE10hipError_tPvRmT1_PNSt15iterator_traitsISL_E10value_typeET2_T3_PNSM_ISR_E10value_typeET4_jRbjT5_SX_jjP12ihipStream_tbEUlT_E_NS1_11comp_targetILNS1_3genE5ELNS1_11target_archE942ELNS1_3gpuE9ELNS1_3repE0EEENS1_30default_config_static_selectorELNS0_4arch9wavefront6targetE0EEEvSL_.num_vgpr, 0
	.set _ZN7rocprim17ROCPRIM_400000_NS6detail17trampoline_kernelINS0_14default_configENS1_36segmented_radix_sort_config_selectorI6__halflEEZNS1_25segmented_radix_sort_implIS3_Lb1EPKS5_PS5_PKlPlN2at6native12_GLOBAL__N_18offset_tEEE10hipError_tPvRmT1_PNSt15iterator_traitsISL_E10value_typeET2_T3_PNSM_ISR_E10value_typeET4_jRbjT5_SX_jjP12ihipStream_tbEUlT_E_NS1_11comp_targetILNS1_3genE5ELNS1_11target_archE942ELNS1_3gpuE9ELNS1_3repE0EEENS1_30default_config_static_selectorELNS0_4arch9wavefront6targetE0EEEvSL_.num_agpr, 0
	.set _ZN7rocprim17ROCPRIM_400000_NS6detail17trampoline_kernelINS0_14default_configENS1_36segmented_radix_sort_config_selectorI6__halflEEZNS1_25segmented_radix_sort_implIS3_Lb1EPKS5_PS5_PKlPlN2at6native12_GLOBAL__N_18offset_tEEE10hipError_tPvRmT1_PNSt15iterator_traitsISL_E10value_typeET2_T3_PNSM_ISR_E10value_typeET4_jRbjT5_SX_jjP12ihipStream_tbEUlT_E_NS1_11comp_targetILNS1_3genE5ELNS1_11target_archE942ELNS1_3gpuE9ELNS1_3repE0EEENS1_30default_config_static_selectorELNS0_4arch9wavefront6targetE0EEEvSL_.numbered_sgpr, 0
	.set _ZN7rocprim17ROCPRIM_400000_NS6detail17trampoline_kernelINS0_14default_configENS1_36segmented_radix_sort_config_selectorI6__halflEEZNS1_25segmented_radix_sort_implIS3_Lb1EPKS5_PS5_PKlPlN2at6native12_GLOBAL__N_18offset_tEEE10hipError_tPvRmT1_PNSt15iterator_traitsISL_E10value_typeET2_T3_PNSM_ISR_E10value_typeET4_jRbjT5_SX_jjP12ihipStream_tbEUlT_E_NS1_11comp_targetILNS1_3genE5ELNS1_11target_archE942ELNS1_3gpuE9ELNS1_3repE0EEENS1_30default_config_static_selectorELNS0_4arch9wavefront6targetE0EEEvSL_.num_named_barrier, 0
	.set _ZN7rocprim17ROCPRIM_400000_NS6detail17trampoline_kernelINS0_14default_configENS1_36segmented_radix_sort_config_selectorI6__halflEEZNS1_25segmented_radix_sort_implIS3_Lb1EPKS5_PS5_PKlPlN2at6native12_GLOBAL__N_18offset_tEEE10hipError_tPvRmT1_PNSt15iterator_traitsISL_E10value_typeET2_T3_PNSM_ISR_E10value_typeET4_jRbjT5_SX_jjP12ihipStream_tbEUlT_E_NS1_11comp_targetILNS1_3genE5ELNS1_11target_archE942ELNS1_3gpuE9ELNS1_3repE0EEENS1_30default_config_static_selectorELNS0_4arch9wavefront6targetE0EEEvSL_.private_seg_size, 0
	.set _ZN7rocprim17ROCPRIM_400000_NS6detail17trampoline_kernelINS0_14default_configENS1_36segmented_radix_sort_config_selectorI6__halflEEZNS1_25segmented_radix_sort_implIS3_Lb1EPKS5_PS5_PKlPlN2at6native12_GLOBAL__N_18offset_tEEE10hipError_tPvRmT1_PNSt15iterator_traitsISL_E10value_typeET2_T3_PNSM_ISR_E10value_typeET4_jRbjT5_SX_jjP12ihipStream_tbEUlT_E_NS1_11comp_targetILNS1_3genE5ELNS1_11target_archE942ELNS1_3gpuE9ELNS1_3repE0EEENS1_30default_config_static_selectorELNS0_4arch9wavefront6targetE0EEEvSL_.uses_vcc, 0
	.set _ZN7rocprim17ROCPRIM_400000_NS6detail17trampoline_kernelINS0_14default_configENS1_36segmented_radix_sort_config_selectorI6__halflEEZNS1_25segmented_radix_sort_implIS3_Lb1EPKS5_PS5_PKlPlN2at6native12_GLOBAL__N_18offset_tEEE10hipError_tPvRmT1_PNSt15iterator_traitsISL_E10value_typeET2_T3_PNSM_ISR_E10value_typeET4_jRbjT5_SX_jjP12ihipStream_tbEUlT_E_NS1_11comp_targetILNS1_3genE5ELNS1_11target_archE942ELNS1_3gpuE9ELNS1_3repE0EEENS1_30default_config_static_selectorELNS0_4arch9wavefront6targetE0EEEvSL_.uses_flat_scratch, 0
	.set _ZN7rocprim17ROCPRIM_400000_NS6detail17trampoline_kernelINS0_14default_configENS1_36segmented_radix_sort_config_selectorI6__halflEEZNS1_25segmented_radix_sort_implIS3_Lb1EPKS5_PS5_PKlPlN2at6native12_GLOBAL__N_18offset_tEEE10hipError_tPvRmT1_PNSt15iterator_traitsISL_E10value_typeET2_T3_PNSM_ISR_E10value_typeET4_jRbjT5_SX_jjP12ihipStream_tbEUlT_E_NS1_11comp_targetILNS1_3genE5ELNS1_11target_archE942ELNS1_3gpuE9ELNS1_3repE0EEENS1_30default_config_static_selectorELNS0_4arch9wavefront6targetE0EEEvSL_.has_dyn_sized_stack, 0
	.set _ZN7rocprim17ROCPRIM_400000_NS6detail17trampoline_kernelINS0_14default_configENS1_36segmented_radix_sort_config_selectorI6__halflEEZNS1_25segmented_radix_sort_implIS3_Lb1EPKS5_PS5_PKlPlN2at6native12_GLOBAL__N_18offset_tEEE10hipError_tPvRmT1_PNSt15iterator_traitsISL_E10value_typeET2_T3_PNSM_ISR_E10value_typeET4_jRbjT5_SX_jjP12ihipStream_tbEUlT_E_NS1_11comp_targetILNS1_3genE5ELNS1_11target_archE942ELNS1_3gpuE9ELNS1_3repE0EEENS1_30default_config_static_selectorELNS0_4arch9wavefront6targetE0EEEvSL_.has_recursion, 0
	.set _ZN7rocprim17ROCPRIM_400000_NS6detail17trampoline_kernelINS0_14default_configENS1_36segmented_radix_sort_config_selectorI6__halflEEZNS1_25segmented_radix_sort_implIS3_Lb1EPKS5_PS5_PKlPlN2at6native12_GLOBAL__N_18offset_tEEE10hipError_tPvRmT1_PNSt15iterator_traitsISL_E10value_typeET2_T3_PNSM_ISR_E10value_typeET4_jRbjT5_SX_jjP12ihipStream_tbEUlT_E_NS1_11comp_targetILNS1_3genE5ELNS1_11target_archE942ELNS1_3gpuE9ELNS1_3repE0EEENS1_30default_config_static_selectorELNS0_4arch9wavefront6targetE0EEEvSL_.has_indirect_call, 0
	.section	.AMDGPU.csdata,"",@progbits
; Kernel info:
; codeLenInByte = 0
; TotalNumSgprs: 0
; NumVgprs: 0
; ScratchSize: 0
; MemoryBound: 0
; FloatMode: 240
; IeeeMode: 1
; LDSByteSize: 0 bytes/workgroup (compile time only)
; SGPRBlocks: 0
; VGPRBlocks: 0
; NumSGPRsForWavesPerEU: 1
; NumVGPRsForWavesPerEU: 1
; NamedBarCnt: 0
; Occupancy: 16
; WaveLimiterHint : 0
; COMPUTE_PGM_RSRC2:SCRATCH_EN: 0
; COMPUTE_PGM_RSRC2:USER_SGPR: 2
; COMPUTE_PGM_RSRC2:TRAP_HANDLER: 0
; COMPUTE_PGM_RSRC2:TGID_X_EN: 1
; COMPUTE_PGM_RSRC2:TGID_Y_EN: 0
; COMPUTE_PGM_RSRC2:TGID_Z_EN: 0
; COMPUTE_PGM_RSRC2:TIDIG_COMP_CNT: 0
	.section	.text._ZN7rocprim17ROCPRIM_400000_NS6detail17trampoline_kernelINS0_14default_configENS1_36segmented_radix_sort_config_selectorI6__halflEEZNS1_25segmented_radix_sort_implIS3_Lb1EPKS5_PS5_PKlPlN2at6native12_GLOBAL__N_18offset_tEEE10hipError_tPvRmT1_PNSt15iterator_traitsISL_E10value_typeET2_T3_PNSM_ISR_E10value_typeET4_jRbjT5_SX_jjP12ihipStream_tbEUlT_E_NS1_11comp_targetILNS1_3genE4ELNS1_11target_archE910ELNS1_3gpuE8ELNS1_3repE0EEENS1_30default_config_static_selectorELNS0_4arch9wavefront6targetE0EEEvSL_,"axG",@progbits,_ZN7rocprim17ROCPRIM_400000_NS6detail17trampoline_kernelINS0_14default_configENS1_36segmented_radix_sort_config_selectorI6__halflEEZNS1_25segmented_radix_sort_implIS3_Lb1EPKS5_PS5_PKlPlN2at6native12_GLOBAL__N_18offset_tEEE10hipError_tPvRmT1_PNSt15iterator_traitsISL_E10value_typeET2_T3_PNSM_ISR_E10value_typeET4_jRbjT5_SX_jjP12ihipStream_tbEUlT_E_NS1_11comp_targetILNS1_3genE4ELNS1_11target_archE910ELNS1_3gpuE8ELNS1_3repE0EEENS1_30default_config_static_selectorELNS0_4arch9wavefront6targetE0EEEvSL_,comdat
	.globl	_ZN7rocprim17ROCPRIM_400000_NS6detail17trampoline_kernelINS0_14default_configENS1_36segmented_radix_sort_config_selectorI6__halflEEZNS1_25segmented_radix_sort_implIS3_Lb1EPKS5_PS5_PKlPlN2at6native12_GLOBAL__N_18offset_tEEE10hipError_tPvRmT1_PNSt15iterator_traitsISL_E10value_typeET2_T3_PNSM_ISR_E10value_typeET4_jRbjT5_SX_jjP12ihipStream_tbEUlT_E_NS1_11comp_targetILNS1_3genE4ELNS1_11target_archE910ELNS1_3gpuE8ELNS1_3repE0EEENS1_30default_config_static_selectorELNS0_4arch9wavefront6targetE0EEEvSL_ ; -- Begin function _ZN7rocprim17ROCPRIM_400000_NS6detail17trampoline_kernelINS0_14default_configENS1_36segmented_radix_sort_config_selectorI6__halflEEZNS1_25segmented_radix_sort_implIS3_Lb1EPKS5_PS5_PKlPlN2at6native12_GLOBAL__N_18offset_tEEE10hipError_tPvRmT1_PNSt15iterator_traitsISL_E10value_typeET2_T3_PNSM_ISR_E10value_typeET4_jRbjT5_SX_jjP12ihipStream_tbEUlT_E_NS1_11comp_targetILNS1_3genE4ELNS1_11target_archE910ELNS1_3gpuE8ELNS1_3repE0EEENS1_30default_config_static_selectorELNS0_4arch9wavefront6targetE0EEEvSL_
	.p2align	8
	.type	_ZN7rocprim17ROCPRIM_400000_NS6detail17trampoline_kernelINS0_14default_configENS1_36segmented_radix_sort_config_selectorI6__halflEEZNS1_25segmented_radix_sort_implIS3_Lb1EPKS5_PS5_PKlPlN2at6native12_GLOBAL__N_18offset_tEEE10hipError_tPvRmT1_PNSt15iterator_traitsISL_E10value_typeET2_T3_PNSM_ISR_E10value_typeET4_jRbjT5_SX_jjP12ihipStream_tbEUlT_E_NS1_11comp_targetILNS1_3genE4ELNS1_11target_archE910ELNS1_3gpuE8ELNS1_3repE0EEENS1_30default_config_static_selectorELNS0_4arch9wavefront6targetE0EEEvSL_,@function
_ZN7rocprim17ROCPRIM_400000_NS6detail17trampoline_kernelINS0_14default_configENS1_36segmented_radix_sort_config_selectorI6__halflEEZNS1_25segmented_radix_sort_implIS3_Lb1EPKS5_PS5_PKlPlN2at6native12_GLOBAL__N_18offset_tEEE10hipError_tPvRmT1_PNSt15iterator_traitsISL_E10value_typeET2_T3_PNSM_ISR_E10value_typeET4_jRbjT5_SX_jjP12ihipStream_tbEUlT_E_NS1_11comp_targetILNS1_3genE4ELNS1_11target_archE910ELNS1_3gpuE8ELNS1_3repE0EEENS1_30default_config_static_selectorELNS0_4arch9wavefront6targetE0EEEvSL_: ; @_ZN7rocprim17ROCPRIM_400000_NS6detail17trampoline_kernelINS0_14default_configENS1_36segmented_radix_sort_config_selectorI6__halflEEZNS1_25segmented_radix_sort_implIS3_Lb1EPKS5_PS5_PKlPlN2at6native12_GLOBAL__N_18offset_tEEE10hipError_tPvRmT1_PNSt15iterator_traitsISL_E10value_typeET2_T3_PNSM_ISR_E10value_typeET4_jRbjT5_SX_jjP12ihipStream_tbEUlT_E_NS1_11comp_targetILNS1_3genE4ELNS1_11target_archE910ELNS1_3gpuE8ELNS1_3repE0EEENS1_30default_config_static_selectorELNS0_4arch9wavefront6targetE0EEEvSL_
; %bb.0:
	.section	.rodata,"a",@progbits
	.p2align	6, 0x0
	.amdhsa_kernel _ZN7rocprim17ROCPRIM_400000_NS6detail17trampoline_kernelINS0_14default_configENS1_36segmented_radix_sort_config_selectorI6__halflEEZNS1_25segmented_radix_sort_implIS3_Lb1EPKS5_PS5_PKlPlN2at6native12_GLOBAL__N_18offset_tEEE10hipError_tPvRmT1_PNSt15iterator_traitsISL_E10value_typeET2_T3_PNSM_ISR_E10value_typeET4_jRbjT5_SX_jjP12ihipStream_tbEUlT_E_NS1_11comp_targetILNS1_3genE4ELNS1_11target_archE910ELNS1_3gpuE8ELNS1_3repE0EEENS1_30default_config_static_selectorELNS0_4arch9wavefront6targetE0EEEvSL_
		.amdhsa_group_segment_fixed_size 0
		.amdhsa_private_segment_fixed_size 0
		.amdhsa_kernarg_size 96
		.amdhsa_user_sgpr_count 2
		.amdhsa_user_sgpr_dispatch_ptr 0
		.amdhsa_user_sgpr_queue_ptr 0
		.amdhsa_user_sgpr_kernarg_segment_ptr 1
		.amdhsa_user_sgpr_dispatch_id 0
		.amdhsa_user_sgpr_kernarg_preload_length 0
		.amdhsa_user_sgpr_kernarg_preload_offset 0
		.amdhsa_user_sgpr_private_segment_size 0
		.amdhsa_wavefront_size32 1
		.amdhsa_uses_dynamic_stack 0
		.amdhsa_enable_private_segment 0
		.amdhsa_system_sgpr_workgroup_id_x 1
		.amdhsa_system_sgpr_workgroup_id_y 0
		.amdhsa_system_sgpr_workgroup_id_z 0
		.amdhsa_system_sgpr_workgroup_info 0
		.amdhsa_system_vgpr_workitem_id 0
		.amdhsa_next_free_vgpr 1
		.amdhsa_next_free_sgpr 1
		.amdhsa_named_barrier_count 0
		.amdhsa_reserve_vcc 0
		.amdhsa_float_round_mode_32 0
		.amdhsa_float_round_mode_16_64 0
		.amdhsa_float_denorm_mode_32 3
		.amdhsa_float_denorm_mode_16_64 3
		.amdhsa_fp16_overflow 0
		.amdhsa_memory_ordered 1
		.amdhsa_forward_progress 1
		.amdhsa_inst_pref_size 0
		.amdhsa_round_robin_scheduling 0
		.amdhsa_exception_fp_ieee_invalid_op 0
		.amdhsa_exception_fp_denorm_src 0
		.amdhsa_exception_fp_ieee_div_zero 0
		.amdhsa_exception_fp_ieee_overflow 0
		.amdhsa_exception_fp_ieee_underflow 0
		.amdhsa_exception_fp_ieee_inexact 0
		.amdhsa_exception_int_div_zero 0
	.end_amdhsa_kernel
	.section	.text._ZN7rocprim17ROCPRIM_400000_NS6detail17trampoline_kernelINS0_14default_configENS1_36segmented_radix_sort_config_selectorI6__halflEEZNS1_25segmented_radix_sort_implIS3_Lb1EPKS5_PS5_PKlPlN2at6native12_GLOBAL__N_18offset_tEEE10hipError_tPvRmT1_PNSt15iterator_traitsISL_E10value_typeET2_T3_PNSM_ISR_E10value_typeET4_jRbjT5_SX_jjP12ihipStream_tbEUlT_E_NS1_11comp_targetILNS1_3genE4ELNS1_11target_archE910ELNS1_3gpuE8ELNS1_3repE0EEENS1_30default_config_static_selectorELNS0_4arch9wavefront6targetE0EEEvSL_,"axG",@progbits,_ZN7rocprim17ROCPRIM_400000_NS6detail17trampoline_kernelINS0_14default_configENS1_36segmented_radix_sort_config_selectorI6__halflEEZNS1_25segmented_radix_sort_implIS3_Lb1EPKS5_PS5_PKlPlN2at6native12_GLOBAL__N_18offset_tEEE10hipError_tPvRmT1_PNSt15iterator_traitsISL_E10value_typeET2_T3_PNSM_ISR_E10value_typeET4_jRbjT5_SX_jjP12ihipStream_tbEUlT_E_NS1_11comp_targetILNS1_3genE4ELNS1_11target_archE910ELNS1_3gpuE8ELNS1_3repE0EEENS1_30default_config_static_selectorELNS0_4arch9wavefront6targetE0EEEvSL_,comdat
.Lfunc_end1732:
	.size	_ZN7rocprim17ROCPRIM_400000_NS6detail17trampoline_kernelINS0_14default_configENS1_36segmented_radix_sort_config_selectorI6__halflEEZNS1_25segmented_radix_sort_implIS3_Lb1EPKS5_PS5_PKlPlN2at6native12_GLOBAL__N_18offset_tEEE10hipError_tPvRmT1_PNSt15iterator_traitsISL_E10value_typeET2_T3_PNSM_ISR_E10value_typeET4_jRbjT5_SX_jjP12ihipStream_tbEUlT_E_NS1_11comp_targetILNS1_3genE4ELNS1_11target_archE910ELNS1_3gpuE8ELNS1_3repE0EEENS1_30default_config_static_selectorELNS0_4arch9wavefront6targetE0EEEvSL_, .Lfunc_end1732-_ZN7rocprim17ROCPRIM_400000_NS6detail17trampoline_kernelINS0_14default_configENS1_36segmented_radix_sort_config_selectorI6__halflEEZNS1_25segmented_radix_sort_implIS3_Lb1EPKS5_PS5_PKlPlN2at6native12_GLOBAL__N_18offset_tEEE10hipError_tPvRmT1_PNSt15iterator_traitsISL_E10value_typeET2_T3_PNSM_ISR_E10value_typeET4_jRbjT5_SX_jjP12ihipStream_tbEUlT_E_NS1_11comp_targetILNS1_3genE4ELNS1_11target_archE910ELNS1_3gpuE8ELNS1_3repE0EEENS1_30default_config_static_selectorELNS0_4arch9wavefront6targetE0EEEvSL_
                                        ; -- End function
	.set _ZN7rocprim17ROCPRIM_400000_NS6detail17trampoline_kernelINS0_14default_configENS1_36segmented_radix_sort_config_selectorI6__halflEEZNS1_25segmented_radix_sort_implIS3_Lb1EPKS5_PS5_PKlPlN2at6native12_GLOBAL__N_18offset_tEEE10hipError_tPvRmT1_PNSt15iterator_traitsISL_E10value_typeET2_T3_PNSM_ISR_E10value_typeET4_jRbjT5_SX_jjP12ihipStream_tbEUlT_E_NS1_11comp_targetILNS1_3genE4ELNS1_11target_archE910ELNS1_3gpuE8ELNS1_3repE0EEENS1_30default_config_static_selectorELNS0_4arch9wavefront6targetE0EEEvSL_.num_vgpr, 0
	.set _ZN7rocprim17ROCPRIM_400000_NS6detail17trampoline_kernelINS0_14default_configENS1_36segmented_radix_sort_config_selectorI6__halflEEZNS1_25segmented_radix_sort_implIS3_Lb1EPKS5_PS5_PKlPlN2at6native12_GLOBAL__N_18offset_tEEE10hipError_tPvRmT1_PNSt15iterator_traitsISL_E10value_typeET2_T3_PNSM_ISR_E10value_typeET4_jRbjT5_SX_jjP12ihipStream_tbEUlT_E_NS1_11comp_targetILNS1_3genE4ELNS1_11target_archE910ELNS1_3gpuE8ELNS1_3repE0EEENS1_30default_config_static_selectorELNS0_4arch9wavefront6targetE0EEEvSL_.num_agpr, 0
	.set _ZN7rocprim17ROCPRIM_400000_NS6detail17trampoline_kernelINS0_14default_configENS1_36segmented_radix_sort_config_selectorI6__halflEEZNS1_25segmented_radix_sort_implIS3_Lb1EPKS5_PS5_PKlPlN2at6native12_GLOBAL__N_18offset_tEEE10hipError_tPvRmT1_PNSt15iterator_traitsISL_E10value_typeET2_T3_PNSM_ISR_E10value_typeET4_jRbjT5_SX_jjP12ihipStream_tbEUlT_E_NS1_11comp_targetILNS1_3genE4ELNS1_11target_archE910ELNS1_3gpuE8ELNS1_3repE0EEENS1_30default_config_static_selectorELNS0_4arch9wavefront6targetE0EEEvSL_.numbered_sgpr, 0
	.set _ZN7rocprim17ROCPRIM_400000_NS6detail17trampoline_kernelINS0_14default_configENS1_36segmented_radix_sort_config_selectorI6__halflEEZNS1_25segmented_radix_sort_implIS3_Lb1EPKS5_PS5_PKlPlN2at6native12_GLOBAL__N_18offset_tEEE10hipError_tPvRmT1_PNSt15iterator_traitsISL_E10value_typeET2_T3_PNSM_ISR_E10value_typeET4_jRbjT5_SX_jjP12ihipStream_tbEUlT_E_NS1_11comp_targetILNS1_3genE4ELNS1_11target_archE910ELNS1_3gpuE8ELNS1_3repE0EEENS1_30default_config_static_selectorELNS0_4arch9wavefront6targetE0EEEvSL_.num_named_barrier, 0
	.set _ZN7rocprim17ROCPRIM_400000_NS6detail17trampoline_kernelINS0_14default_configENS1_36segmented_radix_sort_config_selectorI6__halflEEZNS1_25segmented_radix_sort_implIS3_Lb1EPKS5_PS5_PKlPlN2at6native12_GLOBAL__N_18offset_tEEE10hipError_tPvRmT1_PNSt15iterator_traitsISL_E10value_typeET2_T3_PNSM_ISR_E10value_typeET4_jRbjT5_SX_jjP12ihipStream_tbEUlT_E_NS1_11comp_targetILNS1_3genE4ELNS1_11target_archE910ELNS1_3gpuE8ELNS1_3repE0EEENS1_30default_config_static_selectorELNS0_4arch9wavefront6targetE0EEEvSL_.private_seg_size, 0
	.set _ZN7rocprim17ROCPRIM_400000_NS6detail17trampoline_kernelINS0_14default_configENS1_36segmented_radix_sort_config_selectorI6__halflEEZNS1_25segmented_radix_sort_implIS3_Lb1EPKS5_PS5_PKlPlN2at6native12_GLOBAL__N_18offset_tEEE10hipError_tPvRmT1_PNSt15iterator_traitsISL_E10value_typeET2_T3_PNSM_ISR_E10value_typeET4_jRbjT5_SX_jjP12ihipStream_tbEUlT_E_NS1_11comp_targetILNS1_3genE4ELNS1_11target_archE910ELNS1_3gpuE8ELNS1_3repE0EEENS1_30default_config_static_selectorELNS0_4arch9wavefront6targetE0EEEvSL_.uses_vcc, 0
	.set _ZN7rocprim17ROCPRIM_400000_NS6detail17trampoline_kernelINS0_14default_configENS1_36segmented_radix_sort_config_selectorI6__halflEEZNS1_25segmented_radix_sort_implIS3_Lb1EPKS5_PS5_PKlPlN2at6native12_GLOBAL__N_18offset_tEEE10hipError_tPvRmT1_PNSt15iterator_traitsISL_E10value_typeET2_T3_PNSM_ISR_E10value_typeET4_jRbjT5_SX_jjP12ihipStream_tbEUlT_E_NS1_11comp_targetILNS1_3genE4ELNS1_11target_archE910ELNS1_3gpuE8ELNS1_3repE0EEENS1_30default_config_static_selectorELNS0_4arch9wavefront6targetE0EEEvSL_.uses_flat_scratch, 0
	.set _ZN7rocprim17ROCPRIM_400000_NS6detail17trampoline_kernelINS0_14default_configENS1_36segmented_radix_sort_config_selectorI6__halflEEZNS1_25segmented_radix_sort_implIS3_Lb1EPKS5_PS5_PKlPlN2at6native12_GLOBAL__N_18offset_tEEE10hipError_tPvRmT1_PNSt15iterator_traitsISL_E10value_typeET2_T3_PNSM_ISR_E10value_typeET4_jRbjT5_SX_jjP12ihipStream_tbEUlT_E_NS1_11comp_targetILNS1_3genE4ELNS1_11target_archE910ELNS1_3gpuE8ELNS1_3repE0EEENS1_30default_config_static_selectorELNS0_4arch9wavefront6targetE0EEEvSL_.has_dyn_sized_stack, 0
	.set _ZN7rocprim17ROCPRIM_400000_NS6detail17trampoline_kernelINS0_14default_configENS1_36segmented_radix_sort_config_selectorI6__halflEEZNS1_25segmented_radix_sort_implIS3_Lb1EPKS5_PS5_PKlPlN2at6native12_GLOBAL__N_18offset_tEEE10hipError_tPvRmT1_PNSt15iterator_traitsISL_E10value_typeET2_T3_PNSM_ISR_E10value_typeET4_jRbjT5_SX_jjP12ihipStream_tbEUlT_E_NS1_11comp_targetILNS1_3genE4ELNS1_11target_archE910ELNS1_3gpuE8ELNS1_3repE0EEENS1_30default_config_static_selectorELNS0_4arch9wavefront6targetE0EEEvSL_.has_recursion, 0
	.set _ZN7rocprim17ROCPRIM_400000_NS6detail17trampoline_kernelINS0_14default_configENS1_36segmented_radix_sort_config_selectorI6__halflEEZNS1_25segmented_radix_sort_implIS3_Lb1EPKS5_PS5_PKlPlN2at6native12_GLOBAL__N_18offset_tEEE10hipError_tPvRmT1_PNSt15iterator_traitsISL_E10value_typeET2_T3_PNSM_ISR_E10value_typeET4_jRbjT5_SX_jjP12ihipStream_tbEUlT_E_NS1_11comp_targetILNS1_3genE4ELNS1_11target_archE910ELNS1_3gpuE8ELNS1_3repE0EEENS1_30default_config_static_selectorELNS0_4arch9wavefront6targetE0EEEvSL_.has_indirect_call, 0
	.section	.AMDGPU.csdata,"",@progbits
; Kernel info:
; codeLenInByte = 0
; TotalNumSgprs: 0
; NumVgprs: 0
; ScratchSize: 0
; MemoryBound: 0
; FloatMode: 240
; IeeeMode: 1
; LDSByteSize: 0 bytes/workgroup (compile time only)
; SGPRBlocks: 0
; VGPRBlocks: 0
; NumSGPRsForWavesPerEU: 1
; NumVGPRsForWavesPerEU: 1
; NamedBarCnt: 0
; Occupancy: 16
; WaveLimiterHint : 0
; COMPUTE_PGM_RSRC2:SCRATCH_EN: 0
; COMPUTE_PGM_RSRC2:USER_SGPR: 2
; COMPUTE_PGM_RSRC2:TRAP_HANDLER: 0
; COMPUTE_PGM_RSRC2:TGID_X_EN: 1
; COMPUTE_PGM_RSRC2:TGID_Y_EN: 0
; COMPUTE_PGM_RSRC2:TGID_Z_EN: 0
; COMPUTE_PGM_RSRC2:TIDIG_COMP_CNT: 0
	.section	.text._ZN7rocprim17ROCPRIM_400000_NS6detail17trampoline_kernelINS0_14default_configENS1_36segmented_radix_sort_config_selectorI6__halflEEZNS1_25segmented_radix_sort_implIS3_Lb1EPKS5_PS5_PKlPlN2at6native12_GLOBAL__N_18offset_tEEE10hipError_tPvRmT1_PNSt15iterator_traitsISL_E10value_typeET2_T3_PNSM_ISR_E10value_typeET4_jRbjT5_SX_jjP12ihipStream_tbEUlT_E_NS1_11comp_targetILNS1_3genE3ELNS1_11target_archE908ELNS1_3gpuE7ELNS1_3repE0EEENS1_30default_config_static_selectorELNS0_4arch9wavefront6targetE0EEEvSL_,"axG",@progbits,_ZN7rocprim17ROCPRIM_400000_NS6detail17trampoline_kernelINS0_14default_configENS1_36segmented_radix_sort_config_selectorI6__halflEEZNS1_25segmented_radix_sort_implIS3_Lb1EPKS5_PS5_PKlPlN2at6native12_GLOBAL__N_18offset_tEEE10hipError_tPvRmT1_PNSt15iterator_traitsISL_E10value_typeET2_T3_PNSM_ISR_E10value_typeET4_jRbjT5_SX_jjP12ihipStream_tbEUlT_E_NS1_11comp_targetILNS1_3genE3ELNS1_11target_archE908ELNS1_3gpuE7ELNS1_3repE0EEENS1_30default_config_static_selectorELNS0_4arch9wavefront6targetE0EEEvSL_,comdat
	.globl	_ZN7rocprim17ROCPRIM_400000_NS6detail17trampoline_kernelINS0_14default_configENS1_36segmented_radix_sort_config_selectorI6__halflEEZNS1_25segmented_radix_sort_implIS3_Lb1EPKS5_PS5_PKlPlN2at6native12_GLOBAL__N_18offset_tEEE10hipError_tPvRmT1_PNSt15iterator_traitsISL_E10value_typeET2_T3_PNSM_ISR_E10value_typeET4_jRbjT5_SX_jjP12ihipStream_tbEUlT_E_NS1_11comp_targetILNS1_3genE3ELNS1_11target_archE908ELNS1_3gpuE7ELNS1_3repE0EEENS1_30default_config_static_selectorELNS0_4arch9wavefront6targetE0EEEvSL_ ; -- Begin function _ZN7rocprim17ROCPRIM_400000_NS6detail17trampoline_kernelINS0_14default_configENS1_36segmented_radix_sort_config_selectorI6__halflEEZNS1_25segmented_radix_sort_implIS3_Lb1EPKS5_PS5_PKlPlN2at6native12_GLOBAL__N_18offset_tEEE10hipError_tPvRmT1_PNSt15iterator_traitsISL_E10value_typeET2_T3_PNSM_ISR_E10value_typeET4_jRbjT5_SX_jjP12ihipStream_tbEUlT_E_NS1_11comp_targetILNS1_3genE3ELNS1_11target_archE908ELNS1_3gpuE7ELNS1_3repE0EEENS1_30default_config_static_selectorELNS0_4arch9wavefront6targetE0EEEvSL_
	.p2align	8
	.type	_ZN7rocprim17ROCPRIM_400000_NS6detail17trampoline_kernelINS0_14default_configENS1_36segmented_radix_sort_config_selectorI6__halflEEZNS1_25segmented_radix_sort_implIS3_Lb1EPKS5_PS5_PKlPlN2at6native12_GLOBAL__N_18offset_tEEE10hipError_tPvRmT1_PNSt15iterator_traitsISL_E10value_typeET2_T3_PNSM_ISR_E10value_typeET4_jRbjT5_SX_jjP12ihipStream_tbEUlT_E_NS1_11comp_targetILNS1_3genE3ELNS1_11target_archE908ELNS1_3gpuE7ELNS1_3repE0EEENS1_30default_config_static_selectorELNS0_4arch9wavefront6targetE0EEEvSL_,@function
_ZN7rocprim17ROCPRIM_400000_NS6detail17trampoline_kernelINS0_14default_configENS1_36segmented_radix_sort_config_selectorI6__halflEEZNS1_25segmented_radix_sort_implIS3_Lb1EPKS5_PS5_PKlPlN2at6native12_GLOBAL__N_18offset_tEEE10hipError_tPvRmT1_PNSt15iterator_traitsISL_E10value_typeET2_T3_PNSM_ISR_E10value_typeET4_jRbjT5_SX_jjP12ihipStream_tbEUlT_E_NS1_11comp_targetILNS1_3genE3ELNS1_11target_archE908ELNS1_3gpuE7ELNS1_3repE0EEENS1_30default_config_static_selectorELNS0_4arch9wavefront6targetE0EEEvSL_: ; @_ZN7rocprim17ROCPRIM_400000_NS6detail17trampoline_kernelINS0_14default_configENS1_36segmented_radix_sort_config_selectorI6__halflEEZNS1_25segmented_radix_sort_implIS3_Lb1EPKS5_PS5_PKlPlN2at6native12_GLOBAL__N_18offset_tEEE10hipError_tPvRmT1_PNSt15iterator_traitsISL_E10value_typeET2_T3_PNSM_ISR_E10value_typeET4_jRbjT5_SX_jjP12ihipStream_tbEUlT_E_NS1_11comp_targetILNS1_3genE3ELNS1_11target_archE908ELNS1_3gpuE7ELNS1_3repE0EEENS1_30default_config_static_selectorELNS0_4arch9wavefront6targetE0EEEvSL_
; %bb.0:
	.section	.rodata,"a",@progbits
	.p2align	6, 0x0
	.amdhsa_kernel _ZN7rocprim17ROCPRIM_400000_NS6detail17trampoline_kernelINS0_14default_configENS1_36segmented_radix_sort_config_selectorI6__halflEEZNS1_25segmented_radix_sort_implIS3_Lb1EPKS5_PS5_PKlPlN2at6native12_GLOBAL__N_18offset_tEEE10hipError_tPvRmT1_PNSt15iterator_traitsISL_E10value_typeET2_T3_PNSM_ISR_E10value_typeET4_jRbjT5_SX_jjP12ihipStream_tbEUlT_E_NS1_11comp_targetILNS1_3genE3ELNS1_11target_archE908ELNS1_3gpuE7ELNS1_3repE0EEENS1_30default_config_static_selectorELNS0_4arch9wavefront6targetE0EEEvSL_
		.amdhsa_group_segment_fixed_size 0
		.amdhsa_private_segment_fixed_size 0
		.amdhsa_kernarg_size 96
		.amdhsa_user_sgpr_count 2
		.amdhsa_user_sgpr_dispatch_ptr 0
		.amdhsa_user_sgpr_queue_ptr 0
		.amdhsa_user_sgpr_kernarg_segment_ptr 1
		.amdhsa_user_sgpr_dispatch_id 0
		.amdhsa_user_sgpr_kernarg_preload_length 0
		.amdhsa_user_sgpr_kernarg_preload_offset 0
		.amdhsa_user_sgpr_private_segment_size 0
		.amdhsa_wavefront_size32 1
		.amdhsa_uses_dynamic_stack 0
		.amdhsa_enable_private_segment 0
		.amdhsa_system_sgpr_workgroup_id_x 1
		.amdhsa_system_sgpr_workgroup_id_y 0
		.amdhsa_system_sgpr_workgroup_id_z 0
		.amdhsa_system_sgpr_workgroup_info 0
		.amdhsa_system_vgpr_workitem_id 0
		.amdhsa_next_free_vgpr 1
		.amdhsa_next_free_sgpr 1
		.amdhsa_named_barrier_count 0
		.amdhsa_reserve_vcc 0
		.amdhsa_float_round_mode_32 0
		.amdhsa_float_round_mode_16_64 0
		.amdhsa_float_denorm_mode_32 3
		.amdhsa_float_denorm_mode_16_64 3
		.amdhsa_fp16_overflow 0
		.amdhsa_memory_ordered 1
		.amdhsa_forward_progress 1
		.amdhsa_inst_pref_size 0
		.amdhsa_round_robin_scheduling 0
		.amdhsa_exception_fp_ieee_invalid_op 0
		.amdhsa_exception_fp_denorm_src 0
		.amdhsa_exception_fp_ieee_div_zero 0
		.amdhsa_exception_fp_ieee_overflow 0
		.amdhsa_exception_fp_ieee_underflow 0
		.amdhsa_exception_fp_ieee_inexact 0
		.amdhsa_exception_int_div_zero 0
	.end_amdhsa_kernel
	.section	.text._ZN7rocprim17ROCPRIM_400000_NS6detail17trampoline_kernelINS0_14default_configENS1_36segmented_radix_sort_config_selectorI6__halflEEZNS1_25segmented_radix_sort_implIS3_Lb1EPKS5_PS5_PKlPlN2at6native12_GLOBAL__N_18offset_tEEE10hipError_tPvRmT1_PNSt15iterator_traitsISL_E10value_typeET2_T3_PNSM_ISR_E10value_typeET4_jRbjT5_SX_jjP12ihipStream_tbEUlT_E_NS1_11comp_targetILNS1_3genE3ELNS1_11target_archE908ELNS1_3gpuE7ELNS1_3repE0EEENS1_30default_config_static_selectorELNS0_4arch9wavefront6targetE0EEEvSL_,"axG",@progbits,_ZN7rocprim17ROCPRIM_400000_NS6detail17trampoline_kernelINS0_14default_configENS1_36segmented_radix_sort_config_selectorI6__halflEEZNS1_25segmented_radix_sort_implIS3_Lb1EPKS5_PS5_PKlPlN2at6native12_GLOBAL__N_18offset_tEEE10hipError_tPvRmT1_PNSt15iterator_traitsISL_E10value_typeET2_T3_PNSM_ISR_E10value_typeET4_jRbjT5_SX_jjP12ihipStream_tbEUlT_E_NS1_11comp_targetILNS1_3genE3ELNS1_11target_archE908ELNS1_3gpuE7ELNS1_3repE0EEENS1_30default_config_static_selectorELNS0_4arch9wavefront6targetE0EEEvSL_,comdat
.Lfunc_end1733:
	.size	_ZN7rocprim17ROCPRIM_400000_NS6detail17trampoline_kernelINS0_14default_configENS1_36segmented_radix_sort_config_selectorI6__halflEEZNS1_25segmented_radix_sort_implIS3_Lb1EPKS5_PS5_PKlPlN2at6native12_GLOBAL__N_18offset_tEEE10hipError_tPvRmT1_PNSt15iterator_traitsISL_E10value_typeET2_T3_PNSM_ISR_E10value_typeET4_jRbjT5_SX_jjP12ihipStream_tbEUlT_E_NS1_11comp_targetILNS1_3genE3ELNS1_11target_archE908ELNS1_3gpuE7ELNS1_3repE0EEENS1_30default_config_static_selectorELNS0_4arch9wavefront6targetE0EEEvSL_, .Lfunc_end1733-_ZN7rocprim17ROCPRIM_400000_NS6detail17trampoline_kernelINS0_14default_configENS1_36segmented_radix_sort_config_selectorI6__halflEEZNS1_25segmented_radix_sort_implIS3_Lb1EPKS5_PS5_PKlPlN2at6native12_GLOBAL__N_18offset_tEEE10hipError_tPvRmT1_PNSt15iterator_traitsISL_E10value_typeET2_T3_PNSM_ISR_E10value_typeET4_jRbjT5_SX_jjP12ihipStream_tbEUlT_E_NS1_11comp_targetILNS1_3genE3ELNS1_11target_archE908ELNS1_3gpuE7ELNS1_3repE0EEENS1_30default_config_static_selectorELNS0_4arch9wavefront6targetE0EEEvSL_
                                        ; -- End function
	.set _ZN7rocprim17ROCPRIM_400000_NS6detail17trampoline_kernelINS0_14default_configENS1_36segmented_radix_sort_config_selectorI6__halflEEZNS1_25segmented_radix_sort_implIS3_Lb1EPKS5_PS5_PKlPlN2at6native12_GLOBAL__N_18offset_tEEE10hipError_tPvRmT1_PNSt15iterator_traitsISL_E10value_typeET2_T3_PNSM_ISR_E10value_typeET4_jRbjT5_SX_jjP12ihipStream_tbEUlT_E_NS1_11comp_targetILNS1_3genE3ELNS1_11target_archE908ELNS1_3gpuE7ELNS1_3repE0EEENS1_30default_config_static_selectorELNS0_4arch9wavefront6targetE0EEEvSL_.num_vgpr, 0
	.set _ZN7rocprim17ROCPRIM_400000_NS6detail17trampoline_kernelINS0_14default_configENS1_36segmented_radix_sort_config_selectorI6__halflEEZNS1_25segmented_radix_sort_implIS3_Lb1EPKS5_PS5_PKlPlN2at6native12_GLOBAL__N_18offset_tEEE10hipError_tPvRmT1_PNSt15iterator_traitsISL_E10value_typeET2_T3_PNSM_ISR_E10value_typeET4_jRbjT5_SX_jjP12ihipStream_tbEUlT_E_NS1_11comp_targetILNS1_3genE3ELNS1_11target_archE908ELNS1_3gpuE7ELNS1_3repE0EEENS1_30default_config_static_selectorELNS0_4arch9wavefront6targetE0EEEvSL_.num_agpr, 0
	.set _ZN7rocprim17ROCPRIM_400000_NS6detail17trampoline_kernelINS0_14default_configENS1_36segmented_radix_sort_config_selectorI6__halflEEZNS1_25segmented_radix_sort_implIS3_Lb1EPKS5_PS5_PKlPlN2at6native12_GLOBAL__N_18offset_tEEE10hipError_tPvRmT1_PNSt15iterator_traitsISL_E10value_typeET2_T3_PNSM_ISR_E10value_typeET4_jRbjT5_SX_jjP12ihipStream_tbEUlT_E_NS1_11comp_targetILNS1_3genE3ELNS1_11target_archE908ELNS1_3gpuE7ELNS1_3repE0EEENS1_30default_config_static_selectorELNS0_4arch9wavefront6targetE0EEEvSL_.numbered_sgpr, 0
	.set _ZN7rocprim17ROCPRIM_400000_NS6detail17trampoline_kernelINS0_14default_configENS1_36segmented_radix_sort_config_selectorI6__halflEEZNS1_25segmented_radix_sort_implIS3_Lb1EPKS5_PS5_PKlPlN2at6native12_GLOBAL__N_18offset_tEEE10hipError_tPvRmT1_PNSt15iterator_traitsISL_E10value_typeET2_T3_PNSM_ISR_E10value_typeET4_jRbjT5_SX_jjP12ihipStream_tbEUlT_E_NS1_11comp_targetILNS1_3genE3ELNS1_11target_archE908ELNS1_3gpuE7ELNS1_3repE0EEENS1_30default_config_static_selectorELNS0_4arch9wavefront6targetE0EEEvSL_.num_named_barrier, 0
	.set _ZN7rocprim17ROCPRIM_400000_NS6detail17trampoline_kernelINS0_14default_configENS1_36segmented_radix_sort_config_selectorI6__halflEEZNS1_25segmented_radix_sort_implIS3_Lb1EPKS5_PS5_PKlPlN2at6native12_GLOBAL__N_18offset_tEEE10hipError_tPvRmT1_PNSt15iterator_traitsISL_E10value_typeET2_T3_PNSM_ISR_E10value_typeET4_jRbjT5_SX_jjP12ihipStream_tbEUlT_E_NS1_11comp_targetILNS1_3genE3ELNS1_11target_archE908ELNS1_3gpuE7ELNS1_3repE0EEENS1_30default_config_static_selectorELNS0_4arch9wavefront6targetE0EEEvSL_.private_seg_size, 0
	.set _ZN7rocprim17ROCPRIM_400000_NS6detail17trampoline_kernelINS0_14default_configENS1_36segmented_radix_sort_config_selectorI6__halflEEZNS1_25segmented_radix_sort_implIS3_Lb1EPKS5_PS5_PKlPlN2at6native12_GLOBAL__N_18offset_tEEE10hipError_tPvRmT1_PNSt15iterator_traitsISL_E10value_typeET2_T3_PNSM_ISR_E10value_typeET4_jRbjT5_SX_jjP12ihipStream_tbEUlT_E_NS1_11comp_targetILNS1_3genE3ELNS1_11target_archE908ELNS1_3gpuE7ELNS1_3repE0EEENS1_30default_config_static_selectorELNS0_4arch9wavefront6targetE0EEEvSL_.uses_vcc, 0
	.set _ZN7rocprim17ROCPRIM_400000_NS6detail17trampoline_kernelINS0_14default_configENS1_36segmented_radix_sort_config_selectorI6__halflEEZNS1_25segmented_radix_sort_implIS3_Lb1EPKS5_PS5_PKlPlN2at6native12_GLOBAL__N_18offset_tEEE10hipError_tPvRmT1_PNSt15iterator_traitsISL_E10value_typeET2_T3_PNSM_ISR_E10value_typeET4_jRbjT5_SX_jjP12ihipStream_tbEUlT_E_NS1_11comp_targetILNS1_3genE3ELNS1_11target_archE908ELNS1_3gpuE7ELNS1_3repE0EEENS1_30default_config_static_selectorELNS0_4arch9wavefront6targetE0EEEvSL_.uses_flat_scratch, 0
	.set _ZN7rocprim17ROCPRIM_400000_NS6detail17trampoline_kernelINS0_14default_configENS1_36segmented_radix_sort_config_selectorI6__halflEEZNS1_25segmented_radix_sort_implIS3_Lb1EPKS5_PS5_PKlPlN2at6native12_GLOBAL__N_18offset_tEEE10hipError_tPvRmT1_PNSt15iterator_traitsISL_E10value_typeET2_T3_PNSM_ISR_E10value_typeET4_jRbjT5_SX_jjP12ihipStream_tbEUlT_E_NS1_11comp_targetILNS1_3genE3ELNS1_11target_archE908ELNS1_3gpuE7ELNS1_3repE0EEENS1_30default_config_static_selectorELNS0_4arch9wavefront6targetE0EEEvSL_.has_dyn_sized_stack, 0
	.set _ZN7rocprim17ROCPRIM_400000_NS6detail17trampoline_kernelINS0_14default_configENS1_36segmented_radix_sort_config_selectorI6__halflEEZNS1_25segmented_radix_sort_implIS3_Lb1EPKS5_PS5_PKlPlN2at6native12_GLOBAL__N_18offset_tEEE10hipError_tPvRmT1_PNSt15iterator_traitsISL_E10value_typeET2_T3_PNSM_ISR_E10value_typeET4_jRbjT5_SX_jjP12ihipStream_tbEUlT_E_NS1_11comp_targetILNS1_3genE3ELNS1_11target_archE908ELNS1_3gpuE7ELNS1_3repE0EEENS1_30default_config_static_selectorELNS0_4arch9wavefront6targetE0EEEvSL_.has_recursion, 0
	.set _ZN7rocprim17ROCPRIM_400000_NS6detail17trampoline_kernelINS0_14default_configENS1_36segmented_radix_sort_config_selectorI6__halflEEZNS1_25segmented_radix_sort_implIS3_Lb1EPKS5_PS5_PKlPlN2at6native12_GLOBAL__N_18offset_tEEE10hipError_tPvRmT1_PNSt15iterator_traitsISL_E10value_typeET2_T3_PNSM_ISR_E10value_typeET4_jRbjT5_SX_jjP12ihipStream_tbEUlT_E_NS1_11comp_targetILNS1_3genE3ELNS1_11target_archE908ELNS1_3gpuE7ELNS1_3repE0EEENS1_30default_config_static_selectorELNS0_4arch9wavefront6targetE0EEEvSL_.has_indirect_call, 0
	.section	.AMDGPU.csdata,"",@progbits
; Kernel info:
; codeLenInByte = 0
; TotalNumSgprs: 0
; NumVgprs: 0
; ScratchSize: 0
; MemoryBound: 0
; FloatMode: 240
; IeeeMode: 1
; LDSByteSize: 0 bytes/workgroup (compile time only)
; SGPRBlocks: 0
; VGPRBlocks: 0
; NumSGPRsForWavesPerEU: 1
; NumVGPRsForWavesPerEU: 1
; NamedBarCnt: 0
; Occupancy: 16
; WaveLimiterHint : 0
; COMPUTE_PGM_RSRC2:SCRATCH_EN: 0
; COMPUTE_PGM_RSRC2:USER_SGPR: 2
; COMPUTE_PGM_RSRC2:TRAP_HANDLER: 0
; COMPUTE_PGM_RSRC2:TGID_X_EN: 1
; COMPUTE_PGM_RSRC2:TGID_Y_EN: 0
; COMPUTE_PGM_RSRC2:TGID_Z_EN: 0
; COMPUTE_PGM_RSRC2:TIDIG_COMP_CNT: 0
	.section	.text._ZN7rocprim17ROCPRIM_400000_NS6detail17trampoline_kernelINS0_14default_configENS1_36segmented_radix_sort_config_selectorI6__halflEEZNS1_25segmented_radix_sort_implIS3_Lb1EPKS5_PS5_PKlPlN2at6native12_GLOBAL__N_18offset_tEEE10hipError_tPvRmT1_PNSt15iterator_traitsISL_E10value_typeET2_T3_PNSM_ISR_E10value_typeET4_jRbjT5_SX_jjP12ihipStream_tbEUlT_E_NS1_11comp_targetILNS1_3genE2ELNS1_11target_archE906ELNS1_3gpuE6ELNS1_3repE0EEENS1_30default_config_static_selectorELNS0_4arch9wavefront6targetE0EEEvSL_,"axG",@progbits,_ZN7rocprim17ROCPRIM_400000_NS6detail17trampoline_kernelINS0_14default_configENS1_36segmented_radix_sort_config_selectorI6__halflEEZNS1_25segmented_radix_sort_implIS3_Lb1EPKS5_PS5_PKlPlN2at6native12_GLOBAL__N_18offset_tEEE10hipError_tPvRmT1_PNSt15iterator_traitsISL_E10value_typeET2_T3_PNSM_ISR_E10value_typeET4_jRbjT5_SX_jjP12ihipStream_tbEUlT_E_NS1_11comp_targetILNS1_3genE2ELNS1_11target_archE906ELNS1_3gpuE6ELNS1_3repE0EEENS1_30default_config_static_selectorELNS0_4arch9wavefront6targetE0EEEvSL_,comdat
	.globl	_ZN7rocprim17ROCPRIM_400000_NS6detail17trampoline_kernelINS0_14default_configENS1_36segmented_radix_sort_config_selectorI6__halflEEZNS1_25segmented_radix_sort_implIS3_Lb1EPKS5_PS5_PKlPlN2at6native12_GLOBAL__N_18offset_tEEE10hipError_tPvRmT1_PNSt15iterator_traitsISL_E10value_typeET2_T3_PNSM_ISR_E10value_typeET4_jRbjT5_SX_jjP12ihipStream_tbEUlT_E_NS1_11comp_targetILNS1_3genE2ELNS1_11target_archE906ELNS1_3gpuE6ELNS1_3repE0EEENS1_30default_config_static_selectorELNS0_4arch9wavefront6targetE0EEEvSL_ ; -- Begin function _ZN7rocprim17ROCPRIM_400000_NS6detail17trampoline_kernelINS0_14default_configENS1_36segmented_radix_sort_config_selectorI6__halflEEZNS1_25segmented_radix_sort_implIS3_Lb1EPKS5_PS5_PKlPlN2at6native12_GLOBAL__N_18offset_tEEE10hipError_tPvRmT1_PNSt15iterator_traitsISL_E10value_typeET2_T3_PNSM_ISR_E10value_typeET4_jRbjT5_SX_jjP12ihipStream_tbEUlT_E_NS1_11comp_targetILNS1_3genE2ELNS1_11target_archE906ELNS1_3gpuE6ELNS1_3repE0EEENS1_30default_config_static_selectorELNS0_4arch9wavefront6targetE0EEEvSL_
	.p2align	8
	.type	_ZN7rocprim17ROCPRIM_400000_NS6detail17trampoline_kernelINS0_14default_configENS1_36segmented_radix_sort_config_selectorI6__halflEEZNS1_25segmented_radix_sort_implIS3_Lb1EPKS5_PS5_PKlPlN2at6native12_GLOBAL__N_18offset_tEEE10hipError_tPvRmT1_PNSt15iterator_traitsISL_E10value_typeET2_T3_PNSM_ISR_E10value_typeET4_jRbjT5_SX_jjP12ihipStream_tbEUlT_E_NS1_11comp_targetILNS1_3genE2ELNS1_11target_archE906ELNS1_3gpuE6ELNS1_3repE0EEENS1_30default_config_static_selectorELNS0_4arch9wavefront6targetE0EEEvSL_,@function
_ZN7rocprim17ROCPRIM_400000_NS6detail17trampoline_kernelINS0_14default_configENS1_36segmented_radix_sort_config_selectorI6__halflEEZNS1_25segmented_radix_sort_implIS3_Lb1EPKS5_PS5_PKlPlN2at6native12_GLOBAL__N_18offset_tEEE10hipError_tPvRmT1_PNSt15iterator_traitsISL_E10value_typeET2_T3_PNSM_ISR_E10value_typeET4_jRbjT5_SX_jjP12ihipStream_tbEUlT_E_NS1_11comp_targetILNS1_3genE2ELNS1_11target_archE906ELNS1_3gpuE6ELNS1_3repE0EEENS1_30default_config_static_selectorELNS0_4arch9wavefront6targetE0EEEvSL_: ; @_ZN7rocprim17ROCPRIM_400000_NS6detail17trampoline_kernelINS0_14default_configENS1_36segmented_radix_sort_config_selectorI6__halflEEZNS1_25segmented_radix_sort_implIS3_Lb1EPKS5_PS5_PKlPlN2at6native12_GLOBAL__N_18offset_tEEE10hipError_tPvRmT1_PNSt15iterator_traitsISL_E10value_typeET2_T3_PNSM_ISR_E10value_typeET4_jRbjT5_SX_jjP12ihipStream_tbEUlT_E_NS1_11comp_targetILNS1_3genE2ELNS1_11target_archE906ELNS1_3gpuE6ELNS1_3repE0EEENS1_30default_config_static_selectorELNS0_4arch9wavefront6targetE0EEEvSL_
; %bb.0:
	.section	.rodata,"a",@progbits
	.p2align	6, 0x0
	.amdhsa_kernel _ZN7rocprim17ROCPRIM_400000_NS6detail17trampoline_kernelINS0_14default_configENS1_36segmented_radix_sort_config_selectorI6__halflEEZNS1_25segmented_radix_sort_implIS3_Lb1EPKS5_PS5_PKlPlN2at6native12_GLOBAL__N_18offset_tEEE10hipError_tPvRmT1_PNSt15iterator_traitsISL_E10value_typeET2_T3_PNSM_ISR_E10value_typeET4_jRbjT5_SX_jjP12ihipStream_tbEUlT_E_NS1_11comp_targetILNS1_3genE2ELNS1_11target_archE906ELNS1_3gpuE6ELNS1_3repE0EEENS1_30default_config_static_selectorELNS0_4arch9wavefront6targetE0EEEvSL_
		.amdhsa_group_segment_fixed_size 0
		.amdhsa_private_segment_fixed_size 0
		.amdhsa_kernarg_size 96
		.amdhsa_user_sgpr_count 2
		.amdhsa_user_sgpr_dispatch_ptr 0
		.amdhsa_user_sgpr_queue_ptr 0
		.amdhsa_user_sgpr_kernarg_segment_ptr 1
		.amdhsa_user_sgpr_dispatch_id 0
		.amdhsa_user_sgpr_kernarg_preload_length 0
		.amdhsa_user_sgpr_kernarg_preload_offset 0
		.amdhsa_user_sgpr_private_segment_size 0
		.amdhsa_wavefront_size32 1
		.amdhsa_uses_dynamic_stack 0
		.amdhsa_enable_private_segment 0
		.amdhsa_system_sgpr_workgroup_id_x 1
		.amdhsa_system_sgpr_workgroup_id_y 0
		.amdhsa_system_sgpr_workgroup_id_z 0
		.amdhsa_system_sgpr_workgroup_info 0
		.amdhsa_system_vgpr_workitem_id 0
		.amdhsa_next_free_vgpr 1
		.amdhsa_next_free_sgpr 1
		.amdhsa_named_barrier_count 0
		.amdhsa_reserve_vcc 0
		.amdhsa_float_round_mode_32 0
		.amdhsa_float_round_mode_16_64 0
		.amdhsa_float_denorm_mode_32 3
		.amdhsa_float_denorm_mode_16_64 3
		.amdhsa_fp16_overflow 0
		.amdhsa_memory_ordered 1
		.amdhsa_forward_progress 1
		.amdhsa_inst_pref_size 0
		.amdhsa_round_robin_scheduling 0
		.amdhsa_exception_fp_ieee_invalid_op 0
		.amdhsa_exception_fp_denorm_src 0
		.amdhsa_exception_fp_ieee_div_zero 0
		.amdhsa_exception_fp_ieee_overflow 0
		.amdhsa_exception_fp_ieee_underflow 0
		.amdhsa_exception_fp_ieee_inexact 0
		.amdhsa_exception_int_div_zero 0
	.end_amdhsa_kernel
	.section	.text._ZN7rocprim17ROCPRIM_400000_NS6detail17trampoline_kernelINS0_14default_configENS1_36segmented_radix_sort_config_selectorI6__halflEEZNS1_25segmented_radix_sort_implIS3_Lb1EPKS5_PS5_PKlPlN2at6native12_GLOBAL__N_18offset_tEEE10hipError_tPvRmT1_PNSt15iterator_traitsISL_E10value_typeET2_T3_PNSM_ISR_E10value_typeET4_jRbjT5_SX_jjP12ihipStream_tbEUlT_E_NS1_11comp_targetILNS1_3genE2ELNS1_11target_archE906ELNS1_3gpuE6ELNS1_3repE0EEENS1_30default_config_static_selectorELNS0_4arch9wavefront6targetE0EEEvSL_,"axG",@progbits,_ZN7rocprim17ROCPRIM_400000_NS6detail17trampoline_kernelINS0_14default_configENS1_36segmented_radix_sort_config_selectorI6__halflEEZNS1_25segmented_radix_sort_implIS3_Lb1EPKS5_PS5_PKlPlN2at6native12_GLOBAL__N_18offset_tEEE10hipError_tPvRmT1_PNSt15iterator_traitsISL_E10value_typeET2_T3_PNSM_ISR_E10value_typeET4_jRbjT5_SX_jjP12ihipStream_tbEUlT_E_NS1_11comp_targetILNS1_3genE2ELNS1_11target_archE906ELNS1_3gpuE6ELNS1_3repE0EEENS1_30default_config_static_selectorELNS0_4arch9wavefront6targetE0EEEvSL_,comdat
.Lfunc_end1734:
	.size	_ZN7rocprim17ROCPRIM_400000_NS6detail17trampoline_kernelINS0_14default_configENS1_36segmented_radix_sort_config_selectorI6__halflEEZNS1_25segmented_radix_sort_implIS3_Lb1EPKS5_PS5_PKlPlN2at6native12_GLOBAL__N_18offset_tEEE10hipError_tPvRmT1_PNSt15iterator_traitsISL_E10value_typeET2_T3_PNSM_ISR_E10value_typeET4_jRbjT5_SX_jjP12ihipStream_tbEUlT_E_NS1_11comp_targetILNS1_3genE2ELNS1_11target_archE906ELNS1_3gpuE6ELNS1_3repE0EEENS1_30default_config_static_selectorELNS0_4arch9wavefront6targetE0EEEvSL_, .Lfunc_end1734-_ZN7rocprim17ROCPRIM_400000_NS6detail17trampoline_kernelINS0_14default_configENS1_36segmented_radix_sort_config_selectorI6__halflEEZNS1_25segmented_radix_sort_implIS3_Lb1EPKS5_PS5_PKlPlN2at6native12_GLOBAL__N_18offset_tEEE10hipError_tPvRmT1_PNSt15iterator_traitsISL_E10value_typeET2_T3_PNSM_ISR_E10value_typeET4_jRbjT5_SX_jjP12ihipStream_tbEUlT_E_NS1_11comp_targetILNS1_3genE2ELNS1_11target_archE906ELNS1_3gpuE6ELNS1_3repE0EEENS1_30default_config_static_selectorELNS0_4arch9wavefront6targetE0EEEvSL_
                                        ; -- End function
	.set _ZN7rocprim17ROCPRIM_400000_NS6detail17trampoline_kernelINS0_14default_configENS1_36segmented_radix_sort_config_selectorI6__halflEEZNS1_25segmented_radix_sort_implIS3_Lb1EPKS5_PS5_PKlPlN2at6native12_GLOBAL__N_18offset_tEEE10hipError_tPvRmT1_PNSt15iterator_traitsISL_E10value_typeET2_T3_PNSM_ISR_E10value_typeET4_jRbjT5_SX_jjP12ihipStream_tbEUlT_E_NS1_11comp_targetILNS1_3genE2ELNS1_11target_archE906ELNS1_3gpuE6ELNS1_3repE0EEENS1_30default_config_static_selectorELNS0_4arch9wavefront6targetE0EEEvSL_.num_vgpr, 0
	.set _ZN7rocprim17ROCPRIM_400000_NS6detail17trampoline_kernelINS0_14default_configENS1_36segmented_radix_sort_config_selectorI6__halflEEZNS1_25segmented_radix_sort_implIS3_Lb1EPKS5_PS5_PKlPlN2at6native12_GLOBAL__N_18offset_tEEE10hipError_tPvRmT1_PNSt15iterator_traitsISL_E10value_typeET2_T3_PNSM_ISR_E10value_typeET4_jRbjT5_SX_jjP12ihipStream_tbEUlT_E_NS1_11comp_targetILNS1_3genE2ELNS1_11target_archE906ELNS1_3gpuE6ELNS1_3repE0EEENS1_30default_config_static_selectorELNS0_4arch9wavefront6targetE0EEEvSL_.num_agpr, 0
	.set _ZN7rocprim17ROCPRIM_400000_NS6detail17trampoline_kernelINS0_14default_configENS1_36segmented_radix_sort_config_selectorI6__halflEEZNS1_25segmented_radix_sort_implIS3_Lb1EPKS5_PS5_PKlPlN2at6native12_GLOBAL__N_18offset_tEEE10hipError_tPvRmT1_PNSt15iterator_traitsISL_E10value_typeET2_T3_PNSM_ISR_E10value_typeET4_jRbjT5_SX_jjP12ihipStream_tbEUlT_E_NS1_11comp_targetILNS1_3genE2ELNS1_11target_archE906ELNS1_3gpuE6ELNS1_3repE0EEENS1_30default_config_static_selectorELNS0_4arch9wavefront6targetE0EEEvSL_.numbered_sgpr, 0
	.set _ZN7rocprim17ROCPRIM_400000_NS6detail17trampoline_kernelINS0_14default_configENS1_36segmented_radix_sort_config_selectorI6__halflEEZNS1_25segmented_radix_sort_implIS3_Lb1EPKS5_PS5_PKlPlN2at6native12_GLOBAL__N_18offset_tEEE10hipError_tPvRmT1_PNSt15iterator_traitsISL_E10value_typeET2_T3_PNSM_ISR_E10value_typeET4_jRbjT5_SX_jjP12ihipStream_tbEUlT_E_NS1_11comp_targetILNS1_3genE2ELNS1_11target_archE906ELNS1_3gpuE6ELNS1_3repE0EEENS1_30default_config_static_selectorELNS0_4arch9wavefront6targetE0EEEvSL_.num_named_barrier, 0
	.set _ZN7rocprim17ROCPRIM_400000_NS6detail17trampoline_kernelINS0_14default_configENS1_36segmented_radix_sort_config_selectorI6__halflEEZNS1_25segmented_radix_sort_implIS3_Lb1EPKS5_PS5_PKlPlN2at6native12_GLOBAL__N_18offset_tEEE10hipError_tPvRmT1_PNSt15iterator_traitsISL_E10value_typeET2_T3_PNSM_ISR_E10value_typeET4_jRbjT5_SX_jjP12ihipStream_tbEUlT_E_NS1_11comp_targetILNS1_3genE2ELNS1_11target_archE906ELNS1_3gpuE6ELNS1_3repE0EEENS1_30default_config_static_selectorELNS0_4arch9wavefront6targetE0EEEvSL_.private_seg_size, 0
	.set _ZN7rocprim17ROCPRIM_400000_NS6detail17trampoline_kernelINS0_14default_configENS1_36segmented_radix_sort_config_selectorI6__halflEEZNS1_25segmented_radix_sort_implIS3_Lb1EPKS5_PS5_PKlPlN2at6native12_GLOBAL__N_18offset_tEEE10hipError_tPvRmT1_PNSt15iterator_traitsISL_E10value_typeET2_T3_PNSM_ISR_E10value_typeET4_jRbjT5_SX_jjP12ihipStream_tbEUlT_E_NS1_11comp_targetILNS1_3genE2ELNS1_11target_archE906ELNS1_3gpuE6ELNS1_3repE0EEENS1_30default_config_static_selectorELNS0_4arch9wavefront6targetE0EEEvSL_.uses_vcc, 0
	.set _ZN7rocprim17ROCPRIM_400000_NS6detail17trampoline_kernelINS0_14default_configENS1_36segmented_radix_sort_config_selectorI6__halflEEZNS1_25segmented_radix_sort_implIS3_Lb1EPKS5_PS5_PKlPlN2at6native12_GLOBAL__N_18offset_tEEE10hipError_tPvRmT1_PNSt15iterator_traitsISL_E10value_typeET2_T3_PNSM_ISR_E10value_typeET4_jRbjT5_SX_jjP12ihipStream_tbEUlT_E_NS1_11comp_targetILNS1_3genE2ELNS1_11target_archE906ELNS1_3gpuE6ELNS1_3repE0EEENS1_30default_config_static_selectorELNS0_4arch9wavefront6targetE0EEEvSL_.uses_flat_scratch, 0
	.set _ZN7rocprim17ROCPRIM_400000_NS6detail17trampoline_kernelINS0_14default_configENS1_36segmented_radix_sort_config_selectorI6__halflEEZNS1_25segmented_radix_sort_implIS3_Lb1EPKS5_PS5_PKlPlN2at6native12_GLOBAL__N_18offset_tEEE10hipError_tPvRmT1_PNSt15iterator_traitsISL_E10value_typeET2_T3_PNSM_ISR_E10value_typeET4_jRbjT5_SX_jjP12ihipStream_tbEUlT_E_NS1_11comp_targetILNS1_3genE2ELNS1_11target_archE906ELNS1_3gpuE6ELNS1_3repE0EEENS1_30default_config_static_selectorELNS0_4arch9wavefront6targetE0EEEvSL_.has_dyn_sized_stack, 0
	.set _ZN7rocprim17ROCPRIM_400000_NS6detail17trampoline_kernelINS0_14default_configENS1_36segmented_radix_sort_config_selectorI6__halflEEZNS1_25segmented_radix_sort_implIS3_Lb1EPKS5_PS5_PKlPlN2at6native12_GLOBAL__N_18offset_tEEE10hipError_tPvRmT1_PNSt15iterator_traitsISL_E10value_typeET2_T3_PNSM_ISR_E10value_typeET4_jRbjT5_SX_jjP12ihipStream_tbEUlT_E_NS1_11comp_targetILNS1_3genE2ELNS1_11target_archE906ELNS1_3gpuE6ELNS1_3repE0EEENS1_30default_config_static_selectorELNS0_4arch9wavefront6targetE0EEEvSL_.has_recursion, 0
	.set _ZN7rocprim17ROCPRIM_400000_NS6detail17trampoline_kernelINS0_14default_configENS1_36segmented_radix_sort_config_selectorI6__halflEEZNS1_25segmented_radix_sort_implIS3_Lb1EPKS5_PS5_PKlPlN2at6native12_GLOBAL__N_18offset_tEEE10hipError_tPvRmT1_PNSt15iterator_traitsISL_E10value_typeET2_T3_PNSM_ISR_E10value_typeET4_jRbjT5_SX_jjP12ihipStream_tbEUlT_E_NS1_11comp_targetILNS1_3genE2ELNS1_11target_archE906ELNS1_3gpuE6ELNS1_3repE0EEENS1_30default_config_static_selectorELNS0_4arch9wavefront6targetE0EEEvSL_.has_indirect_call, 0
	.section	.AMDGPU.csdata,"",@progbits
; Kernel info:
; codeLenInByte = 0
; TotalNumSgprs: 0
; NumVgprs: 0
; ScratchSize: 0
; MemoryBound: 0
; FloatMode: 240
; IeeeMode: 1
; LDSByteSize: 0 bytes/workgroup (compile time only)
; SGPRBlocks: 0
; VGPRBlocks: 0
; NumSGPRsForWavesPerEU: 1
; NumVGPRsForWavesPerEU: 1
; NamedBarCnt: 0
; Occupancy: 16
; WaveLimiterHint : 0
; COMPUTE_PGM_RSRC2:SCRATCH_EN: 0
; COMPUTE_PGM_RSRC2:USER_SGPR: 2
; COMPUTE_PGM_RSRC2:TRAP_HANDLER: 0
; COMPUTE_PGM_RSRC2:TGID_X_EN: 1
; COMPUTE_PGM_RSRC2:TGID_Y_EN: 0
; COMPUTE_PGM_RSRC2:TGID_Z_EN: 0
; COMPUTE_PGM_RSRC2:TIDIG_COMP_CNT: 0
	.section	.text._ZN7rocprim17ROCPRIM_400000_NS6detail17trampoline_kernelINS0_14default_configENS1_36segmented_radix_sort_config_selectorI6__halflEEZNS1_25segmented_radix_sort_implIS3_Lb1EPKS5_PS5_PKlPlN2at6native12_GLOBAL__N_18offset_tEEE10hipError_tPvRmT1_PNSt15iterator_traitsISL_E10value_typeET2_T3_PNSM_ISR_E10value_typeET4_jRbjT5_SX_jjP12ihipStream_tbEUlT_E_NS1_11comp_targetILNS1_3genE10ELNS1_11target_archE1201ELNS1_3gpuE5ELNS1_3repE0EEENS1_30default_config_static_selectorELNS0_4arch9wavefront6targetE0EEEvSL_,"axG",@progbits,_ZN7rocprim17ROCPRIM_400000_NS6detail17trampoline_kernelINS0_14default_configENS1_36segmented_radix_sort_config_selectorI6__halflEEZNS1_25segmented_radix_sort_implIS3_Lb1EPKS5_PS5_PKlPlN2at6native12_GLOBAL__N_18offset_tEEE10hipError_tPvRmT1_PNSt15iterator_traitsISL_E10value_typeET2_T3_PNSM_ISR_E10value_typeET4_jRbjT5_SX_jjP12ihipStream_tbEUlT_E_NS1_11comp_targetILNS1_3genE10ELNS1_11target_archE1201ELNS1_3gpuE5ELNS1_3repE0EEENS1_30default_config_static_selectorELNS0_4arch9wavefront6targetE0EEEvSL_,comdat
	.globl	_ZN7rocprim17ROCPRIM_400000_NS6detail17trampoline_kernelINS0_14default_configENS1_36segmented_radix_sort_config_selectorI6__halflEEZNS1_25segmented_radix_sort_implIS3_Lb1EPKS5_PS5_PKlPlN2at6native12_GLOBAL__N_18offset_tEEE10hipError_tPvRmT1_PNSt15iterator_traitsISL_E10value_typeET2_T3_PNSM_ISR_E10value_typeET4_jRbjT5_SX_jjP12ihipStream_tbEUlT_E_NS1_11comp_targetILNS1_3genE10ELNS1_11target_archE1201ELNS1_3gpuE5ELNS1_3repE0EEENS1_30default_config_static_selectorELNS0_4arch9wavefront6targetE0EEEvSL_ ; -- Begin function _ZN7rocprim17ROCPRIM_400000_NS6detail17trampoline_kernelINS0_14default_configENS1_36segmented_radix_sort_config_selectorI6__halflEEZNS1_25segmented_radix_sort_implIS3_Lb1EPKS5_PS5_PKlPlN2at6native12_GLOBAL__N_18offset_tEEE10hipError_tPvRmT1_PNSt15iterator_traitsISL_E10value_typeET2_T3_PNSM_ISR_E10value_typeET4_jRbjT5_SX_jjP12ihipStream_tbEUlT_E_NS1_11comp_targetILNS1_3genE10ELNS1_11target_archE1201ELNS1_3gpuE5ELNS1_3repE0EEENS1_30default_config_static_selectorELNS0_4arch9wavefront6targetE0EEEvSL_
	.p2align	8
	.type	_ZN7rocprim17ROCPRIM_400000_NS6detail17trampoline_kernelINS0_14default_configENS1_36segmented_radix_sort_config_selectorI6__halflEEZNS1_25segmented_radix_sort_implIS3_Lb1EPKS5_PS5_PKlPlN2at6native12_GLOBAL__N_18offset_tEEE10hipError_tPvRmT1_PNSt15iterator_traitsISL_E10value_typeET2_T3_PNSM_ISR_E10value_typeET4_jRbjT5_SX_jjP12ihipStream_tbEUlT_E_NS1_11comp_targetILNS1_3genE10ELNS1_11target_archE1201ELNS1_3gpuE5ELNS1_3repE0EEENS1_30default_config_static_selectorELNS0_4arch9wavefront6targetE0EEEvSL_,@function
_ZN7rocprim17ROCPRIM_400000_NS6detail17trampoline_kernelINS0_14default_configENS1_36segmented_radix_sort_config_selectorI6__halflEEZNS1_25segmented_radix_sort_implIS3_Lb1EPKS5_PS5_PKlPlN2at6native12_GLOBAL__N_18offset_tEEE10hipError_tPvRmT1_PNSt15iterator_traitsISL_E10value_typeET2_T3_PNSM_ISR_E10value_typeET4_jRbjT5_SX_jjP12ihipStream_tbEUlT_E_NS1_11comp_targetILNS1_3genE10ELNS1_11target_archE1201ELNS1_3gpuE5ELNS1_3repE0EEENS1_30default_config_static_selectorELNS0_4arch9wavefront6targetE0EEEvSL_: ; @_ZN7rocprim17ROCPRIM_400000_NS6detail17trampoline_kernelINS0_14default_configENS1_36segmented_radix_sort_config_selectorI6__halflEEZNS1_25segmented_radix_sort_implIS3_Lb1EPKS5_PS5_PKlPlN2at6native12_GLOBAL__N_18offset_tEEE10hipError_tPvRmT1_PNSt15iterator_traitsISL_E10value_typeET2_T3_PNSM_ISR_E10value_typeET4_jRbjT5_SX_jjP12ihipStream_tbEUlT_E_NS1_11comp_targetILNS1_3genE10ELNS1_11target_archE1201ELNS1_3gpuE5ELNS1_3repE0EEENS1_30default_config_static_selectorELNS0_4arch9wavefront6targetE0EEEvSL_
; %bb.0:
	.section	.rodata,"a",@progbits
	.p2align	6, 0x0
	.amdhsa_kernel _ZN7rocprim17ROCPRIM_400000_NS6detail17trampoline_kernelINS0_14default_configENS1_36segmented_radix_sort_config_selectorI6__halflEEZNS1_25segmented_radix_sort_implIS3_Lb1EPKS5_PS5_PKlPlN2at6native12_GLOBAL__N_18offset_tEEE10hipError_tPvRmT1_PNSt15iterator_traitsISL_E10value_typeET2_T3_PNSM_ISR_E10value_typeET4_jRbjT5_SX_jjP12ihipStream_tbEUlT_E_NS1_11comp_targetILNS1_3genE10ELNS1_11target_archE1201ELNS1_3gpuE5ELNS1_3repE0EEENS1_30default_config_static_selectorELNS0_4arch9wavefront6targetE0EEEvSL_
		.amdhsa_group_segment_fixed_size 0
		.amdhsa_private_segment_fixed_size 0
		.amdhsa_kernarg_size 96
		.amdhsa_user_sgpr_count 2
		.amdhsa_user_sgpr_dispatch_ptr 0
		.amdhsa_user_sgpr_queue_ptr 0
		.amdhsa_user_sgpr_kernarg_segment_ptr 1
		.amdhsa_user_sgpr_dispatch_id 0
		.amdhsa_user_sgpr_kernarg_preload_length 0
		.amdhsa_user_sgpr_kernarg_preload_offset 0
		.amdhsa_user_sgpr_private_segment_size 0
		.amdhsa_wavefront_size32 1
		.amdhsa_uses_dynamic_stack 0
		.amdhsa_enable_private_segment 0
		.amdhsa_system_sgpr_workgroup_id_x 1
		.amdhsa_system_sgpr_workgroup_id_y 0
		.amdhsa_system_sgpr_workgroup_id_z 0
		.amdhsa_system_sgpr_workgroup_info 0
		.amdhsa_system_vgpr_workitem_id 0
		.amdhsa_next_free_vgpr 1
		.amdhsa_next_free_sgpr 1
		.amdhsa_named_barrier_count 0
		.amdhsa_reserve_vcc 0
		.amdhsa_float_round_mode_32 0
		.amdhsa_float_round_mode_16_64 0
		.amdhsa_float_denorm_mode_32 3
		.amdhsa_float_denorm_mode_16_64 3
		.amdhsa_fp16_overflow 0
		.amdhsa_memory_ordered 1
		.amdhsa_forward_progress 1
		.amdhsa_inst_pref_size 0
		.amdhsa_round_robin_scheduling 0
		.amdhsa_exception_fp_ieee_invalid_op 0
		.amdhsa_exception_fp_denorm_src 0
		.amdhsa_exception_fp_ieee_div_zero 0
		.amdhsa_exception_fp_ieee_overflow 0
		.amdhsa_exception_fp_ieee_underflow 0
		.amdhsa_exception_fp_ieee_inexact 0
		.amdhsa_exception_int_div_zero 0
	.end_amdhsa_kernel
	.section	.text._ZN7rocprim17ROCPRIM_400000_NS6detail17trampoline_kernelINS0_14default_configENS1_36segmented_radix_sort_config_selectorI6__halflEEZNS1_25segmented_radix_sort_implIS3_Lb1EPKS5_PS5_PKlPlN2at6native12_GLOBAL__N_18offset_tEEE10hipError_tPvRmT1_PNSt15iterator_traitsISL_E10value_typeET2_T3_PNSM_ISR_E10value_typeET4_jRbjT5_SX_jjP12ihipStream_tbEUlT_E_NS1_11comp_targetILNS1_3genE10ELNS1_11target_archE1201ELNS1_3gpuE5ELNS1_3repE0EEENS1_30default_config_static_selectorELNS0_4arch9wavefront6targetE0EEEvSL_,"axG",@progbits,_ZN7rocprim17ROCPRIM_400000_NS6detail17trampoline_kernelINS0_14default_configENS1_36segmented_radix_sort_config_selectorI6__halflEEZNS1_25segmented_radix_sort_implIS3_Lb1EPKS5_PS5_PKlPlN2at6native12_GLOBAL__N_18offset_tEEE10hipError_tPvRmT1_PNSt15iterator_traitsISL_E10value_typeET2_T3_PNSM_ISR_E10value_typeET4_jRbjT5_SX_jjP12ihipStream_tbEUlT_E_NS1_11comp_targetILNS1_3genE10ELNS1_11target_archE1201ELNS1_3gpuE5ELNS1_3repE0EEENS1_30default_config_static_selectorELNS0_4arch9wavefront6targetE0EEEvSL_,comdat
.Lfunc_end1735:
	.size	_ZN7rocprim17ROCPRIM_400000_NS6detail17trampoline_kernelINS0_14default_configENS1_36segmented_radix_sort_config_selectorI6__halflEEZNS1_25segmented_radix_sort_implIS3_Lb1EPKS5_PS5_PKlPlN2at6native12_GLOBAL__N_18offset_tEEE10hipError_tPvRmT1_PNSt15iterator_traitsISL_E10value_typeET2_T3_PNSM_ISR_E10value_typeET4_jRbjT5_SX_jjP12ihipStream_tbEUlT_E_NS1_11comp_targetILNS1_3genE10ELNS1_11target_archE1201ELNS1_3gpuE5ELNS1_3repE0EEENS1_30default_config_static_selectorELNS0_4arch9wavefront6targetE0EEEvSL_, .Lfunc_end1735-_ZN7rocprim17ROCPRIM_400000_NS6detail17trampoline_kernelINS0_14default_configENS1_36segmented_radix_sort_config_selectorI6__halflEEZNS1_25segmented_radix_sort_implIS3_Lb1EPKS5_PS5_PKlPlN2at6native12_GLOBAL__N_18offset_tEEE10hipError_tPvRmT1_PNSt15iterator_traitsISL_E10value_typeET2_T3_PNSM_ISR_E10value_typeET4_jRbjT5_SX_jjP12ihipStream_tbEUlT_E_NS1_11comp_targetILNS1_3genE10ELNS1_11target_archE1201ELNS1_3gpuE5ELNS1_3repE0EEENS1_30default_config_static_selectorELNS0_4arch9wavefront6targetE0EEEvSL_
                                        ; -- End function
	.set _ZN7rocprim17ROCPRIM_400000_NS6detail17trampoline_kernelINS0_14default_configENS1_36segmented_radix_sort_config_selectorI6__halflEEZNS1_25segmented_radix_sort_implIS3_Lb1EPKS5_PS5_PKlPlN2at6native12_GLOBAL__N_18offset_tEEE10hipError_tPvRmT1_PNSt15iterator_traitsISL_E10value_typeET2_T3_PNSM_ISR_E10value_typeET4_jRbjT5_SX_jjP12ihipStream_tbEUlT_E_NS1_11comp_targetILNS1_3genE10ELNS1_11target_archE1201ELNS1_3gpuE5ELNS1_3repE0EEENS1_30default_config_static_selectorELNS0_4arch9wavefront6targetE0EEEvSL_.num_vgpr, 0
	.set _ZN7rocprim17ROCPRIM_400000_NS6detail17trampoline_kernelINS0_14default_configENS1_36segmented_radix_sort_config_selectorI6__halflEEZNS1_25segmented_radix_sort_implIS3_Lb1EPKS5_PS5_PKlPlN2at6native12_GLOBAL__N_18offset_tEEE10hipError_tPvRmT1_PNSt15iterator_traitsISL_E10value_typeET2_T3_PNSM_ISR_E10value_typeET4_jRbjT5_SX_jjP12ihipStream_tbEUlT_E_NS1_11comp_targetILNS1_3genE10ELNS1_11target_archE1201ELNS1_3gpuE5ELNS1_3repE0EEENS1_30default_config_static_selectorELNS0_4arch9wavefront6targetE0EEEvSL_.num_agpr, 0
	.set _ZN7rocprim17ROCPRIM_400000_NS6detail17trampoline_kernelINS0_14default_configENS1_36segmented_radix_sort_config_selectorI6__halflEEZNS1_25segmented_radix_sort_implIS3_Lb1EPKS5_PS5_PKlPlN2at6native12_GLOBAL__N_18offset_tEEE10hipError_tPvRmT1_PNSt15iterator_traitsISL_E10value_typeET2_T3_PNSM_ISR_E10value_typeET4_jRbjT5_SX_jjP12ihipStream_tbEUlT_E_NS1_11comp_targetILNS1_3genE10ELNS1_11target_archE1201ELNS1_3gpuE5ELNS1_3repE0EEENS1_30default_config_static_selectorELNS0_4arch9wavefront6targetE0EEEvSL_.numbered_sgpr, 0
	.set _ZN7rocprim17ROCPRIM_400000_NS6detail17trampoline_kernelINS0_14default_configENS1_36segmented_radix_sort_config_selectorI6__halflEEZNS1_25segmented_radix_sort_implIS3_Lb1EPKS5_PS5_PKlPlN2at6native12_GLOBAL__N_18offset_tEEE10hipError_tPvRmT1_PNSt15iterator_traitsISL_E10value_typeET2_T3_PNSM_ISR_E10value_typeET4_jRbjT5_SX_jjP12ihipStream_tbEUlT_E_NS1_11comp_targetILNS1_3genE10ELNS1_11target_archE1201ELNS1_3gpuE5ELNS1_3repE0EEENS1_30default_config_static_selectorELNS0_4arch9wavefront6targetE0EEEvSL_.num_named_barrier, 0
	.set _ZN7rocprim17ROCPRIM_400000_NS6detail17trampoline_kernelINS0_14default_configENS1_36segmented_radix_sort_config_selectorI6__halflEEZNS1_25segmented_radix_sort_implIS3_Lb1EPKS5_PS5_PKlPlN2at6native12_GLOBAL__N_18offset_tEEE10hipError_tPvRmT1_PNSt15iterator_traitsISL_E10value_typeET2_T3_PNSM_ISR_E10value_typeET4_jRbjT5_SX_jjP12ihipStream_tbEUlT_E_NS1_11comp_targetILNS1_3genE10ELNS1_11target_archE1201ELNS1_3gpuE5ELNS1_3repE0EEENS1_30default_config_static_selectorELNS0_4arch9wavefront6targetE0EEEvSL_.private_seg_size, 0
	.set _ZN7rocprim17ROCPRIM_400000_NS6detail17trampoline_kernelINS0_14default_configENS1_36segmented_radix_sort_config_selectorI6__halflEEZNS1_25segmented_radix_sort_implIS3_Lb1EPKS5_PS5_PKlPlN2at6native12_GLOBAL__N_18offset_tEEE10hipError_tPvRmT1_PNSt15iterator_traitsISL_E10value_typeET2_T3_PNSM_ISR_E10value_typeET4_jRbjT5_SX_jjP12ihipStream_tbEUlT_E_NS1_11comp_targetILNS1_3genE10ELNS1_11target_archE1201ELNS1_3gpuE5ELNS1_3repE0EEENS1_30default_config_static_selectorELNS0_4arch9wavefront6targetE0EEEvSL_.uses_vcc, 0
	.set _ZN7rocprim17ROCPRIM_400000_NS6detail17trampoline_kernelINS0_14default_configENS1_36segmented_radix_sort_config_selectorI6__halflEEZNS1_25segmented_radix_sort_implIS3_Lb1EPKS5_PS5_PKlPlN2at6native12_GLOBAL__N_18offset_tEEE10hipError_tPvRmT1_PNSt15iterator_traitsISL_E10value_typeET2_T3_PNSM_ISR_E10value_typeET4_jRbjT5_SX_jjP12ihipStream_tbEUlT_E_NS1_11comp_targetILNS1_3genE10ELNS1_11target_archE1201ELNS1_3gpuE5ELNS1_3repE0EEENS1_30default_config_static_selectorELNS0_4arch9wavefront6targetE0EEEvSL_.uses_flat_scratch, 0
	.set _ZN7rocprim17ROCPRIM_400000_NS6detail17trampoline_kernelINS0_14default_configENS1_36segmented_radix_sort_config_selectorI6__halflEEZNS1_25segmented_radix_sort_implIS3_Lb1EPKS5_PS5_PKlPlN2at6native12_GLOBAL__N_18offset_tEEE10hipError_tPvRmT1_PNSt15iterator_traitsISL_E10value_typeET2_T3_PNSM_ISR_E10value_typeET4_jRbjT5_SX_jjP12ihipStream_tbEUlT_E_NS1_11comp_targetILNS1_3genE10ELNS1_11target_archE1201ELNS1_3gpuE5ELNS1_3repE0EEENS1_30default_config_static_selectorELNS0_4arch9wavefront6targetE0EEEvSL_.has_dyn_sized_stack, 0
	.set _ZN7rocprim17ROCPRIM_400000_NS6detail17trampoline_kernelINS0_14default_configENS1_36segmented_radix_sort_config_selectorI6__halflEEZNS1_25segmented_radix_sort_implIS3_Lb1EPKS5_PS5_PKlPlN2at6native12_GLOBAL__N_18offset_tEEE10hipError_tPvRmT1_PNSt15iterator_traitsISL_E10value_typeET2_T3_PNSM_ISR_E10value_typeET4_jRbjT5_SX_jjP12ihipStream_tbEUlT_E_NS1_11comp_targetILNS1_3genE10ELNS1_11target_archE1201ELNS1_3gpuE5ELNS1_3repE0EEENS1_30default_config_static_selectorELNS0_4arch9wavefront6targetE0EEEvSL_.has_recursion, 0
	.set _ZN7rocprim17ROCPRIM_400000_NS6detail17trampoline_kernelINS0_14default_configENS1_36segmented_radix_sort_config_selectorI6__halflEEZNS1_25segmented_radix_sort_implIS3_Lb1EPKS5_PS5_PKlPlN2at6native12_GLOBAL__N_18offset_tEEE10hipError_tPvRmT1_PNSt15iterator_traitsISL_E10value_typeET2_T3_PNSM_ISR_E10value_typeET4_jRbjT5_SX_jjP12ihipStream_tbEUlT_E_NS1_11comp_targetILNS1_3genE10ELNS1_11target_archE1201ELNS1_3gpuE5ELNS1_3repE0EEENS1_30default_config_static_selectorELNS0_4arch9wavefront6targetE0EEEvSL_.has_indirect_call, 0
	.section	.AMDGPU.csdata,"",@progbits
; Kernel info:
; codeLenInByte = 0
; TotalNumSgprs: 0
; NumVgprs: 0
; ScratchSize: 0
; MemoryBound: 0
; FloatMode: 240
; IeeeMode: 1
; LDSByteSize: 0 bytes/workgroup (compile time only)
; SGPRBlocks: 0
; VGPRBlocks: 0
; NumSGPRsForWavesPerEU: 1
; NumVGPRsForWavesPerEU: 1
; NamedBarCnt: 0
; Occupancy: 16
; WaveLimiterHint : 0
; COMPUTE_PGM_RSRC2:SCRATCH_EN: 0
; COMPUTE_PGM_RSRC2:USER_SGPR: 2
; COMPUTE_PGM_RSRC2:TRAP_HANDLER: 0
; COMPUTE_PGM_RSRC2:TGID_X_EN: 1
; COMPUTE_PGM_RSRC2:TGID_Y_EN: 0
; COMPUTE_PGM_RSRC2:TGID_Z_EN: 0
; COMPUTE_PGM_RSRC2:TIDIG_COMP_CNT: 0
	.section	.text._ZN7rocprim17ROCPRIM_400000_NS6detail17trampoline_kernelINS0_14default_configENS1_36segmented_radix_sort_config_selectorI6__halflEEZNS1_25segmented_radix_sort_implIS3_Lb1EPKS5_PS5_PKlPlN2at6native12_GLOBAL__N_18offset_tEEE10hipError_tPvRmT1_PNSt15iterator_traitsISL_E10value_typeET2_T3_PNSM_ISR_E10value_typeET4_jRbjT5_SX_jjP12ihipStream_tbEUlT_E_NS1_11comp_targetILNS1_3genE10ELNS1_11target_archE1200ELNS1_3gpuE4ELNS1_3repE0EEENS1_30default_config_static_selectorELNS0_4arch9wavefront6targetE0EEEvSL_,"axG",@progbits,_ZN7rocprim17ROCPRIM_400000_NS6detail17trampoline_kernelINS0_14default_configENS1_36segmented_radix_sort_config_selectorI6__halflEEZNS1_25segmented_radix_sort_implIS3_Lb1EPKS5_PS5_PKlPlN2at6native12_GLOBAL__N_18offset_tEEE10hipError_tPvRmT1_PNSt15iterator_traitsISL_E10value_typeET2_T3_PNSM_ISR_E10value_typeET4_jRbjT5_SX_jjP12ihipStream_tbEUlT_E_NS1_11comp_targetILNS1_3genE10ELNS1_11target_archE1200ELNS1_3gpuE4ELNS1_3repE0EEENS1_30default_config_static_selectorELNS0_4arch9wavefront6targetE0EEEvSL_,comdat
	.globl	_ZN7rocprim17ROCPRIM_400000_NS6detail17trampoline_kernelINS0_14default_configENS1_36segmented_radix_sort_config_selectorI6__halflEEZNS1_25segmented_radix_sort_implIS3_Lb1EPKS5_PS5_PKlPlN2at6native12_GLOBAL__N_18offset_tEEE10hipError_tPvRmT1_PNSt15iterator_traitsISL_E10value_typeET2_T3_PNSM_ISR_E10value_typeET4_jRbjT5_SX_jjP12ihipStream_tbEUlT_E_NS1_11comp_targetILNS1_3genE10ELNS1_11target_archE1200ELNS1_3gpuE4ELNS1_3repE0EEENS1_30default_config_static_selectorELNS0_4arch9wavefront6targetE0EEEvSL_ ; -- Begin function _ZN7rocprim17ROCPRIM_400000_NS6detail17trampoline_kernelINS0_14default_configENS1_36segmented_radix_sort_config_selectorI6__halflEEZNS1_25segmented_radix_sort_implIS3_Lb1EPKS5_PS5_PKlPlN2at6native12_GLOBAL__N_18offset_tEEE10hipError_tPvRmT1_PNSt15iterator_traitsISL_E10value_typeET2_T3_PNSM_ISR_E10value_typeET4_jRbjT5_SX_jjP12ihipStream_tbEUlT_E_NS1_11comp_targetILNS1_3genE10ELNS1_11target_archE1200ELNS1_3gpuE4ELNS1_3repE0EEENS1_30default_config_static_selectorELNS0_4arch9wavefront6targetE0EEEvSL_
	.p2align	8
	.type	_ZN7rocprim17ROCPRIM_400000_NS6detail17trampoline_kernelINS0_14default_configENS1_36segmented_radix_sort_config_selectorI6__halflEEZNS1_25segmented_radix_sort_implIS3_Lb1EPKS5_PS5_PKlPlN2at6native12_GLOBAL__N_18offset_tEEE10hipError_tPvRmT1_PNSt15iterator_traitsISL_E10value_typeET2_T3_PNSM_ISR_E10value_typeET4_jRbjT5_SX_jjP12ihipStream_tbEUlT_E_NS1_11comp_targetILNS1_3genE10ELNS1_11target_archE1200ELNS1_3gpuE4ELNS1_3repE0EEENS1_30default_config_static_selectorELNS0_4arch9wavefront6targetE0EEEvSL_,@function
_ZN7rocprim17ROCPRIM_400000_NS6detail17trampoline_kernelINS0_14default_configENS1_36segmented_radix_sort_config_selectorI6__halflEEZNS1_25segmented_radix_sort_implIS3_Lb1EPKS5_PS5_PKlPlN2at6native12_GLOBAL__N_18offset_tEEE10hipError_tPvRmT1_PNSt15iterator_traitsISL_E10value_typeET2_T3_PNSM_ISR_E10value_typeET4_jRbjT5_SX_jjP12ihipStream_tbEUlT_E_NS1_11comp_targetILNS1_3genE10ELNS1_11target_archE1200ELNS1_3gpuE4ELNS1_3repE0EEENS1_30default_config_static_selectorELNS0_4arch9wavefront6targetE0EEEvSL_: ; @_ZN7rocprim17ROCPRIM_400000_NS6detail17trampoline_kernelINS0_14default_configENS1_36segmented_radix_sort_config_selectorI6__halflEEZNS1_25segmented_radix_sort_implIS3_Lb1EPKS5_PS5_PKlPlN2at6native12_GLOBAL__N_18offset_tEEE10hipError_tPvRmT1_PNSt15iterator_traitsISL_E10value_typeET2_T3_PNSM_ISR_E10value_typeET4_jRbjT5_SX_jjP12ihipStream_tbEUlT_E_NS1_11comp_targetILNS1_3genE10ELNS1_11target_archE1200ELNS1_3gpuE4ELNS1_3repE0EEENS1_30default_config_static_selectorELNS0_4arch9wavefront6targetE0EEEvSL_
; %bb.0:
	.section	.rodata,"a",@progbits
	.p2align	6, 0x0
	.amdhsa_kernel _ZN7rocprim17ROCPRIM_400000_NS6detail17trampoline_kernelINS0_14default_configENS1_36segmented_radix_sort_config_selectorI6__halflEEZNS1_25segmented_radix_sort_implIS3_Lb1EPKS5_PS5_PKlPlN2at6native12_GLOBAL__N_18offset_tEEE10hipError_tPvRmT1_PNSt15iterator_traitsISL_E10value_typeET2_T3_PNSM_ISR_E10value_typeET4_jRbjT5_SX_jjP12ihipStream_tbEUlT_E_NS1_11comp_targetILNS1_3genE10ELNS1_11target_archE1200ELNS1_3gpuE4ELNS1_3repE0EEENS1_30default_config_static_selectorELNS0_4arch9wavefront6targetE0EEEvSL_
		.amdhsa_group_segment_fixed_size 0
		.amdhsa_private_segment_fixed_size 0
		.amdhsa_kernarg_size 96
		.amdhsa_user_sgpr_count 2
		.amdhsa_user_sgpr_dispatch_ptr 0
		.amdhsa_user_sgpr_queue_ptr 0
		.amdhsa_user_sgpr_kernarg_segment_ptr 1
		.amdhsa_user_sgpr_dispatch_id 0
		.amdhsa_user_sgpr_kernarg_preload_length 0
		.amdhsa_user_sgpr_kernarg_preload_offset 0
		.amdhsa_user_sgpr_private_segment_size 0
		.amdhsa_wavefront_size32 1
		.amdhsa_uses_dynamic_stack 0
		.amdhsa_enable_private_segment 0
		.amdhsa_system_sgpr_workgroup_id_x 1
		.amdhsa_system_sgpr_workgroup_id_y 0
		.amdhsa_system_sgpr_workgroup_id_z 0
		.amdhsa_system_sgpr_workgroup_info 0
		.amdhsa_system_vgpr_workitem_id 0
		.amdhsa_next_free_vgpr 1
		.amdhsa_next_free_sgpr 1
		.amdhsa_named_barrier_count 0
		.amdhsa_reserve_vcc 0
		.amdhsa_float_round_mode_32 0
		.amdhsa_float_round_mode_16_64 0
		.amdhsa_float_denorm_mode_32 3
		.amdhsa_float_denorm_mode_16_64 3
		.amdhsa_fp16_overflow 0
		.amdhsa_memory_ordered 1
		.amdhsa_forward_progress 1
		.amdhsa_inst_pref_size 0
		.amdhsa_round_robin_scheduling 0
		.amdhsa_exception_fp_ieee_invalid_op 0
		.amdhsa_exception_fp_denorm_src 0
		.amdhsa_exception_fp_ieee_div_zero 0
		.amdhsa_exception_fp_ieee_overflow 0
		.amdhsa_exception_fp_ieee_underflow 0
		.amdhsa_exception_fp_ieee_inexact 0
		.amdhsa_exception_int_div_zero 0
	.end_amdhsa_kernel
	.section	.text._ZN7rocprim17ROCPRIM_400000_NS6detail17trampoline_kernelINS0_14default_configENS1_36segmented_radix_sort_config_selectorI6__halflEEZNS1_25segmented_radix_sort_implIS3_Lb1EPKS5_PS5_PKlPlN2at6native12_GLOBAL__N_18offset_tEEE10hipError_tPvRmT1_PNSt15iterator_traitsISL_E10value_typeET2_T3_PNSM_ISR_E10value_typeET4_jRbjT5_SX_jjP12ihipStream_tbEUlT_E_NS1_11comp_targetILNS1_3genE10ELNS1_11target_archE1200ELNS1_3gpuE4ELNS1_3repE0EEENS1_30default_config_static_selectorELNS0_4arch9wavefront6targetE0EEEvSL_,"axG",@progbits,_ZN7rocprim17ROCPRIM_400000_NS6detail17trampoline_kernelINS0_14default_configENS1_36segmented_radix_sort_config_selectorI6__halflEEZNS1_25segmented_radix_sort_implIS3_Lb1EPKS5_PS5_PKlPlN2at6native12_GLOBAL__N_18offset_tEEE10hipError_tPvRmT1_PNSt15iterator_traitsISL_E10value_typeET2_T3_PNSM_ISR_E10value_typeET4_jRbjT5_SX_jjP12ihipStream_tbEUlT_E_NS1_11comp_targetILNS1_3genE10ELNS1_11target_archE1200ELNS1_3gpuE4ELNS1_3repE0EEENS1_30default_config_static_selectorELNS0_4arch9wavefront6targetE0EEEvSL_,comdat
.Lfunc_end1736:
	.size	_ZN7rocprim17ROCPRIM_400000_NS6detail17trampoline_kernelINS0_14default_configENS1_36segmented_radix_sort_config_selectorI6__halflEEZNS1_25segmented_radix_sort_implIS3_Lb1EPKS5_PS5_PKlPlN2at6native12_GLOBAL__N_18offset_tEEE10hipError_tPvRmT1_PNSt15iterator_traitsISL_E10value_typeET2_T3_PNSM_ISR_E10value_typeET4_jRbjT5_SX_jjP12ihipStream_tbEUlT_E_NS1_11comp_targetILNS1_3genE10ELNS1_11target_archE1200ELNS1_3gpuE4ELNS1_3repE0EEENS1_30default_config_static_selectorELNS0_4arch9wavefront6targetE0EEEvSL_, .Lfunc_end1736-_ZN7rocprim17ROCPRIM_400000_NS6detail17trampoline_kernelINS0_14default_configENS1_36segmented_radix_sort_config_selectorI6__halflEEZNS1_25segmented_radix_sort_implIS3_Lb1EPKS5_PS5_PKlPlN2at6native12_GLOBAL__N_18offset_tEEE10hipError_tPvRmT1_PNSt15iterator_traitsISL_E10value_typeET2_T3_PNSM_ISR_E10value_typeET4_jRbjT5_SX_jjP12ihipStream_tbEUlT_E_NS1_11comp_targetILNS1_3genE10ELNS1_11target_archE1200ELNS1_3gpuE4ELNS1_3repE0EEENS1_30default_config_static_selectorELNS0_4arch9wavefront6targetE0EEEvSL_
                                        ; -- End function
	.set _ZN7rocprim17ROCPRIM_400000_NS6detail17trampoline_kernelINS0_14default_configENS1_36segmented_radix_sort_config_selectorI6__halflEEZNS1_25segmented_radix_sort_implIS3_Lb1EPKS5_PS5_PKlPlN2at6native12_GLOBAL__N_18offset_tEEE10hipError_tPvRmT1_PNSt15iterator_traitsISL_E10value_typeET2_T3_PNSM_ISR_E10value_typeET4_jRbjT5_SX_jjP12ihipStream_tbEUlT_E_NS1_11comp_targetILNS1_3genE10ELNS1_11target_archE1200ELNS1_3gpuE4ELNS1_3repE0EEENS1_30default_config_static_selectorELNS0_4arch9wavefront6targetE0EEEvSL_.num_vgpr, 0
	.set _ZN7rocprim17ROCPRIM_400000_NS6detail17trampoline_kernelINS0_14default_configENS1_36segmented_radix_sort_config_selectorI6__halflEEZNS1_25segmented_radix_sort_implIS3_Lb1EPKS5_PS5_PKlPlN2at6native12_GLOBAL__N_18offset_tEEE10hipError_tPvRmT1_PNSt15iterator_traitsISL_E10value_typeET2_T3_PNSM_ISR_E10value_typeET4_jRbjT5_SX_jjP12ihipStream_tbEUlT_E_NS1_11comp_targetILNS1_3genE10ELNS1_11target_archE1200ELNS1_3gpuE4ELNS1_3repE0EEENS1_30default_config_static_selectorELNS0_4arch9wavefront6targetE0EEEvSL_.num_agpr, 0
	.set _ZN7rocprim17ROCPRIM_400000_NS6detail17trampoline_kernelINS0_14default_configENS1_36segmented_radix_sort_config_selectorI6__halflEEZNS1_25segmented_radix_sort_implIS3_Lb1EPKS5_PS5_PKlPlN2at6native12_GLOBAL__N_18offset_tEEE10hipError_tPvRmT1_PNSt15iterator_traitsISL_E10value_typeET2_T3_PNSM_ISR_E10value_typeET4_jRbjT5_SX_jjP12ihipStream_tbEUlT_E_NS1_11comp_targetILNS1_3genE10ELNS1_11target_archE1200ELNS1_3gpuE4ELNS1_3repE0EEENS1_30default_config_static_selectorELNS0_4arch9wavefront6targetE0EEEvSL_.numbered_sgpr, 0
	.set _ZN7rocprim17ROCPRIM_400000_NS6detail17trampoline_kernelINS0_14default_configENS1_36segmented_radix_sort_config_selectorI6__halflEEZNS1_25segmented_radix_sort_implIS3_Lb1EPKS5_PS5_PKlPlN2at6native12_GLOBAL__N_18offset_tEEE10hipError_tPvRmT1_PNSt15iterator_traitsISL_E10value_typeET2_T3_PNSM_ISR_E10value_typeET4_jRbjT5_SX_jjP12ihipStream_tbEUlT_E_NS1_11comp_targetILNS1_3genE10ELNS1_11target_archE1200ELNS1_3gpuE4ELNS1_3repE0EEENS1_30default_config_static_selectorELNS0_4arch9wavefront6targetE0EEEvSL_.num_named_barrier, 0
	.set _ZN7rocprim17ROCPRIM_400000_NS6detail17trampoline_kernelINS0_14default_configENS1_36segmented_radix_sort_config_selectorI6__halflEEZNS1_25segmented_radix_sort_implIS3_Lb1EPKS5_PS5_PKlPlN2at6native12_GLOBAL__N_18offset_tEEE10hipError_tPvRmT1_PNSt15iterator_traitsISL_E10value_typeET2_T3_PNSM_ISR_E10value_typeET4_jRbjT5_SX_jjP12ihipStream_tbEUlT_E_NS1_11comp_targetILNS1_3genE10ELNS1_11target_archE1200ELNS1_3gpuE4ELNS1_3repE0EEENS1_30default_config_static_selectorELNS0_4arch9wavefront6targetE0EEEvSL_.private_seg_size, 0
	.set _ZN7rocprim17ROCPRIM_400000_NS6detail17trampoline_kernelINS0_14default_configENS1_36segmented_radix_sort_config_selectorI6__halflEEZNS1_25segmented_radix_sort_implIS3_Lb1EPKS5_PS5_PKlPlN2at6native12_GLOBAL__N_18offset_tEEE10hipError_tPvRmT1_PNSt15iterator_traitsISL_E10value_typeET2_T3_PNSM_ISR_E10value_typeET4_jRbjT5_SX_jjP12ihipStream_tbEUlT_E_NS1_11comp_targetILNS1_3genE10ELNS1_11target_archE1200ELNS1_3gpuE4ELNS1_3repE0EEENS1_30default_config_static_selectorELNS0_4arch9wavefront6targetE0EEEvSL_.uses_vcc, 0
	.set _ZN7rocprim17ROCPRIM_400000_NS6detail17trampoline_kernelINS0_14default_configENS1_36segmented_radix_sort_config_selectorI6__halflEEZNS1_25segmented_radix_sort_implIS3_Lb1EPKS5_PS5_PKlPlN2at6native12_GLOBAL__N_18offset_tEEE10hipError_tPvRmT1_PNSt15iterator_traitsISL_E10value_typeET2_T3_PNSM_ISR_E10value_typeET4_jRbjT5_SX_jjP12ihipStream_tbEUlT_E_NS1_11comp_targetILNS1_3genE10ELNS1_11target_archE1200ELNS1_3gpuE4ELNS1_3repE0EEENS1_30default_config_static_selectorELNS0_4arch9wavefront6targetE0EEEvSL_.uses_flat_scratch, 0
	.set _ZN7rocprim17ROCPRIM_400000_NS6detail17trampoline_kernelINS0_14default_configENS1_36segmented_radix_sort_config_selectorI6__halflEEZNS1_25segmented_radix_sort_implIS3_Lb1EPKS5_PS5_PKlPlN2at6native12_GLOBAL__N_18offset_tEEE10hipError_tPvRmT1_PNSt15iterator_traitsISL_E10value_typeET2_T3_PNSM_ISR_E10value_typeET4_jRbjT5_SX_jjP12ihipStream_tbEUlT_E_NS1_11comp_targetILNS1_3genE10ELNS1_11target_archE1200ELNS1_3gpuE4ELNS1_3repE0EEENS1_30default_config_static_selectorELNS0_4arch9wavefront6targetE0EEEvSL_.has_dyn_sized_stack, 0
	.set _ZN7rocprim17ROCPRIM_400000_NS6detail17trampoline_kernelINS0_14default_configENS1_36segmented_radix_sort_config_selectorI6__halflEEZNS1_25segmented_radix_sort_implIS3_Lb1EPKS5_PS5_PKlPlN2at6native12_GLOBAL__N_18offset_tEEE10hipError_tPvRmT1_PNSt15iterator_traitsISL_E10value_typeET2_T3_PNSM_ISR_E10value_typeET4_jRbjT5_SX_jjP12ihipStream_tbEUlT_E_NS1_11comp_targetILNS1_3genE10ELNS1_11target_archE1200ELNS1_3gpuE4ELNS1_3repE0EEENS1_30default_config_static_selectorELNS0_4arch9wavefront6targetE0EEEvSL_.has_recursion, 0
	.set _ZN7rocprim17ROCPRIM_400000_NS6detail17trampoline_kernelINS0_14default_configENS1_36segmented_radix_sort_config_selectorI6__halflEEZNS1_25segmented_radix_sort_implIS3_Lb1EPKS5_PS5_PKlPlN2at6native12_GLOBAL__N_18offset_tEEE10hipError_tPvRmT1_PNSt15iterator_traitsISL_E10value_typeET2_T3_PNSM_ISR_E10value_typeET4_jRbjT5_SX_jjP12ihipStream_tbEUlT_E_NS1_11comp_targetILNS1_3genE10ELNS1_11target_archE1200ELNS1_3gpuE4ELNS1_3repE0EEENS1_30default_config_static_selectorELNS0_4arch9wavefront6targetE0EEEvSL_.has_indirect_call, 0
	.section	.AMDGPU.csdata,"",@progbits
; Kernel info:
; codeLenInByte = 0
; TotalNumSgprs: 0
; NumVgprs: 0
; ScratchSize: 0
; MemoryBound: 0
; FloatMode: 240
; IeeeMode: 1
; LDSByteSize: 0 bytes/workgroup (compile time only)
; SGPRBlocks: 0
; VGPRBlocks: 0
; NumSGPRsForWavesPerEU: 1
; NumVGPRsForWavesPerEU: 1
; NamedBarCnt: 0
; Occupancy: 16
; WaveLimiterHint : 0
; COMPUTE_PGM_RSRC2:SCRATCH_EN: 0
; COMPUTE_PGM_RSRC2:USER_SGPR: 2
; COMPUTE_PGM_RSRC2:TRAP_HANDLER: 0
; COMPUTE_PGM_RSRC2:TGID_X_EN: 1
; COMPUTE_PGM_RSRC2:TGID_Y_EN: 0
; COMPUTE_PGM_RSRC2:TGID_Z_EN: 0
; COMPUTE_PGM_RSRC2:TIDIG_COMP_CNT: 0
	.section	.text._ZN7rocprim17ROCPRIM_400000_NS6detail17trampoline_kernelINS0_14default_configENS1_36segmented_radix_sort_config_selectorI6__halflEEZNS1_25segmented_radix_sort_implIS3_Lb1EPKS5_PS5_PKlPlN2at6native12_GLOBAL__N_18offset_tEEE10hipError_tPvRmT1_PNSt15iterator_traitsISL_E10value_typeET2_T3_PNSM_ISR_E10value_typeET4_jRbjT5_SX_jjP12ihipStream_tbEUlT_E_NS1_11comp_targetILNS1_3genE9ELNS1_11target_archE1100ELNS1_3gpuE3ELNS1_3repE0EEENS1_30default_config_static_selectorELNS0_4arch9wavefront6targetE0EEEvSL_,"axG",@progbits,_ZN7rocprim17ROCPRIM_400000_NS6detail17trampoline_kernelINS0_14default_configENS1_36segmented_radix_sort_config_selectorI6__halflEEZNS1_25segmented_radix_sort_implIS3_Lb1EPKS5_PS5_PKlPlN2at6native12_GLOBAL__N_18offset_tEEE10hipError_tPvRmT1_PNSt15iterator_traitsISL_E10value_typeET2_T3_PNSM_ISR_E10value_typeET4_jRbjT5_SX_jjP12ihipStream_tbEUlT_E_NS1_11comp_targetILNS1_3genE9ELNS1_11target_archE1100ELNS1_3gpuE3ELNS1_3repE0EEENS1_30default_config_static_selectorELNS0_4arch9wavefront6targetE0EEEvSL_,comdat
	.globl	_ZN7rocprim17ROCPRIM_400000_NS6detail17trampoline_kernelINS0_14default_configENS1_36segmented_radix_sort_config_selectorI6__halflEEZNS1_25segmented_radix_sort_implIS3_Lb1EPKS5_PS5_PKlPlN2at6native12_GLOBAL__N_18offset_tEEE10hipError_tPvRmT1_PNSt15iterator_traitsISL_E10value_typeET2_T3_PNSM_ISR_E10value_typeET4_jRbjT5_SX_jjP12ihipStream_tbEUlT_E_NS1_11comp_targetILNS1_3genE9ELNS1_11target_archE1100ELNS1_3gpuE3ELNS1_3repE0EEENS1_30default_config_static_selectorELNS0_4arch9wavefront6targetE0EEEvSL_ ; -- Begin function _ZN7rocprim17ROCPRIM_400000_NS6detail17trampoline_kernelINS0_14default_configENS1_36segmented_radix_sort_config_selectorI6__halflEEZNS1_25segmented_radix_sort_implIS3_Lb1EPKS5_PS5_PKlPlN2at6native12_GLOBAL__N_18offset_tEEE10hipError_tPvRmT1_PNSt15iterator_traitsISL_E10value_typeET2_T3_PNSM_ISR_E10value_typeET4_jRbjT5_SX_jjP12ihipStream_tbEUlT_E_NS1_11comp_targetILNS1_3genE9ELNS1_11target_archE1100ELNS1_3gpuE3ELNS1_3repE0EEENS1_30default_config_static_selectorELNS0_4arch9wavefront6targetE0EEEvSL_
	.p2align	8
	.type	_ZN7rocprim17ROCPRIM_400000_NS6detail17trampoline_kernelINS0_14default_configENS1_36segmented_radix_sort_config_selectorI6__halflEEZNS1_25segmented_radix_sort_implIS3_Lb1EPKS5_PS5_PKlPlN2at6native12_GLOBAL__N_18offset_tEEE10hipError_tPvRmT1_PNSt15iterator_traitsISL_E10value_typeET2_T3_PNSM_ISR_E10value_typeET4_jRbjT5_SX_jjP12ihipStream_tbEUlT_E_NS1_11comp_targetILNS1_3genE9ELNS1_11target_archE1100ELNS1_3gpuE3ELNS1_3repE0EEENS1_30default_config_static_selectorELNS0_4arch9wavefront6targetE0EEEvSL_,@function
_ZN7rocprim17ROCPRIM_400000_NS6detail17trampoline_kernelINS0_14default_configENS1_36segmented_radix_sort_config_selectorI6__halflEEZNS1_25segmented_radix_sort_implIS3_Lb1EPKS5_PS5_PKlPlN2at6native12_GLOBAL__N_18offset_tEEE10hipError_tPvRmT1_PNSt15iterator_traitsISL_E10value_typeET2_T3_PNSM_ISR_E10value_typeET4_jRbjT5_SX_jjP12ihipStream_tbEUlT_E_NS1_11comp_targetILNS1_3genE9ELNS1_11target_archE1100ELNS1_3gpuE3ELNS1_3repE0EEENS1_30default_config_static_selectorELNS0_4arch9wavefront6targetE0EEEvSL_: ; @_ZN7rocprim17ROCPRIM_400000_NS6detail17trampoline_kernelINS0_14default_configENS1_36segmented_radix_sort_config_selectorI6__halflEEZNS1_25segmented_radix_sort_implIS3_Lb1EPKS5_PS5_PKlPlN2at6native12_GLOBAL__N_18offset_tEEE10hipError_tPvRmT1_PNSt15iterator_traitsISL_E10value_typeET2_T3_PNSM_ISR_E10value_typeET4_jRbjT5_SX_jjP12ihipStream_tbEUlT_E_NS1_11comp_targetILNS1_3genE9ELNS1_11target_archE1100ELNS1_3gpuE3ELNS1_3repE0EEENS1_30default_config_static_selectorELNS0_4arch9wavefront6targetE0EEEvSL_
; %bb.0:
	.section	.rodata,"a",@progbits
	.p2align	6, 0x0
	.amdhsa_kernel _ZN7rocprim17ROCPRIM_400000_NS6detail17trampoline_kernelINS0_14default_configENS1_36segmented_radix_sort_config_selectorI6__halflEEZNS1_25segmented_radix_sort_implIS3_Lb1EPKS5_PS5_PKlPlN2at6native12_GLOBAL__N_18offset_tEEE10hipError_tPvRmT1_PNSt15iterator_traitsISL_E10value_typeET2_T3_PNSM_ISR_E10value_typeET4_jRbjT5_SX_jjP12ihipStream_tbEUlT_E_NS1_11comp_targetILNS1_3genE9ELNS1_11target_archE1100ELNS1_3gpuE3ELNS1_3repE0EEENS1_30default_config_static_selectorELNS0_4arch9wavefront6targetE0EEEvSL_
		.amdhsa_group_segment_fixed_size 0
		.amdhsa_private_segment_fixed_size 0
		.amdhsa_kernarg_size 96
		.amdhsa_user_sgpr_count 2
		.amdhsa_user_sgpr_dispatch_ptr 0
		.amdhsa_user_sgpr_queue_ptr 0
		.amdhsa_user_sgpr_kernarg_segment_ptr 1
		.amdhsa_user_sgpr_dispatch_id 0
		.amdhsa_user_sgpr_kernarg_preload_length 0
		.amdhsa_user_sgpr_kernarg_preload_offset 0
		.amdhsa_user_sgpr_private_segment_size 0
		.amdhsa_wavefront_size32 1
		.amdhsa_uses_dynamic_stack 0
		.amdhsa_enable_private_segment 0
		.amdhsa_system_sgpr_workgroup_id_x 1
		.amdhsa_system_sgpr_workgroup_id_y 0
		.amdhsa_system_sgpr_workgroup_id_z 0
		.amdhsa_system_sgpr_workgroup_info 0
		.amdhsa_system_vgpr_workitem_id 0
		.amdhsa_next_free_vgpr 1
		.amdhsa_next_free_sgpr 1
		.amdhsa_named_barrier_count 0
		.amdhsa_reserve_vcc 0
		.amdhsa_float_round_mode_32 0
		.amdhsa_float_round_mode_16_64 0
		.amdhsa_float_denorm_mode_32 3
		.amdhsa_float_denorm_mode_16_64 3
		.amdhsa_fp16_overflow 0
		.amdhsa_memory_ordered 1
		.amdhsa_forward_progress 1
		.amdhsa_inst_pref_size 0
		.amdhsa_round_robin_scheduling 0
		.amdhsa_exception_fp_ieee_invalid_op 0
		.amdhsa_exception_fp_denorm_src 0
		.amdhsa_exception_fp_ieee_div_zero 0
		.amdhsa_exception_fp_ieee_overflow 0
		.amdhsa_exception_fp_ieee_underflow 0
		.amdhsa_exception_fp_ieee_inexact 0
		.amdhsa_exception_int_div_zero 0
	.end_amdhsa_kernel
	.section	.text._ZN7rocprim17ROCPRIM_400000_NS6detail17trampoline_kernelINS0_14default_configENS1_36segmented_radix_sort_config_selectorI6__halflEEZNS1_25segmented_radix_sort_implIS3_Lb1EPKS5_PS5_PKlPlN2at6native12_GLOBAL__N_18offset_tEEE10hipError_tPvRmT1_PNSt15iterator_traitsISL_E10value_typeET2_T3_PNSM_ISR_E10value_typeET4_jRbjT5_SX_jjP12ihipStream_tbEUlT_E_NS1_11comp_targetILNS1_3genE9ELNS1_11target_archE1100ELNS1_3gpuE3ELNS1_3repE0EEENS1_30default_config_static_selectorELNS0_4arch9wavefront6targetE0EEEvSL_,"axG",@progbits,_ZN7rocprim17ROCPRIM_400000_NS6detail17trampoline_kernelINS0_14default_configENS1_36segmented_radix_sort_config_selectorI6__halflEEZNS1_25segmented_radix_sort_implIS3_Lb1EPKS5_PS5_PKlPlN2at6native12_GLOBAL__N_18offset_tEEE10hipError_tPvRmT1_PNSt15iterator_traitsISL_E10value_typeET2_T3_PNSM_ISR_E10value_typeET4_jRbjT5_SX_jjP12ihipStream_tbEUlT_E_NS1_11comp_targetILNS1_3genE9ELNS1_11target_archE1100ELNS1_3gpuE3ELNS1_3repE0EEENS1_30default_config_static_selectorELNS0_4arch9wavefront6targetE0EEEvSL_,comdat
.Lfunc_end1737:
	.size	_ZN7rocprim17ROCPRIM_400000_NS6detail17trampoline_kernelINS0_14default_configENS1_36segmented_radix_sort_config_selectorI6__halflEEZNS1_25segmented_radix_sort_implIS3_Lb1EPKS5_PS5_PKlPlN2at6native12_GLOBAL__N_18offset_tEEE10hipError_tPvRmT1_PNSt15iterator_traitsISL_E10value_typeET2_T3_PNSM_ISR_E10value_typeET4_jRbjT5_SX_jjP12ihipStream_tbEUlT_E_NS1_11comp_targetILNS1_3genE9ELNS1_11target_archE1100ELNS1_3gpuE3ELNS1_3repE0EEENS1_30default_config_static_selectorELNS0_4arch9wavefront6targetE0EEEvSL_, .Lfunc_end1737-_ZN7rocprim17ROCPRIM_400000_NS6detail17trampoline_kernelINS0_14default_configENS1_36segmented_radix_sort_config_selectorI6__halflEEZNS1_25segmented_radix_sort_implIS3_Lb1EPKS5_PS5_PKlPlN2at6native12_GLOBAL__N_18offset_tEEE10hipError_tPvRmT1_PNSt15iterator_traitsISL_E10value_typeET2_T3_PNSM_ISR_E10value_typeET4_jRbjT5_SX_jjP12ihipStream_tbEUlT_E_NS1_11comp_targetILNS1_3genE9ELNS1_11target_archE1100ELNS1_3gpuE3ELNS1_3repE0EEENS1_30default_config_static_selectorELNS0_4arch9wavefront6targetE0EEEvSL_
                                        ; -- End function
	.set _ZN7rocprim17ROCPRIM_400000_NS6detail17trampoline_kernelINS0_14default_configENS1_36segmented_radix_sort_config_selectorI6__halflEEZNS1_25segmented_radix_sort_implIS3_Lb1EPKS5_PS5_PKlPlN2at6native12_GLOBAL__N_18offset_tEEE10hipError_tPvRmT1_PNSt15iterator_traitsISL_E10value_typeET2_T3_PNSM_ISR_E10value_typeET4_jRbjT5_SX_jjP12ihipStream_tbEUlT_E_NS1_11comp_targetILNS1_3genE9ELNS1_11target_archE1100ELNS1_3gpuE3ELNS1_3repE0EEENS1_30default_config_static_selectorELNS0_4arch9wavefront6targetE0EEEvSL_.num_vgpr, 0
	.set _ZN7rocprim17ROCPRIM_400000_NS6detail17trampoline_kernelINS0_14default_configENS1_36segmented_radix_sort_config_selectorI6__halflEEZNS1_25segmented_radix_sort_implIS3_Lb1EPKS5_PS5_PKlPlN2at6native12_GLOBAL__N_18offset_tEEE10hipError_tPvRmT1_PNSt15iterator_traitsISL_E10value_typeET2_T3_PNSM_ISR_E10value_typeET4_jRbjT5_SX_jjP12ihipStream_tbEUlT_E_NS1_11comp_targetILNS1_3genE9ELNS1_11target_archE1100ELNS1_3gpuE3ELNS1_3repE0EEENS1_30default_config_static_selectorELNS0_4arch9wavefront6targetE0EEEvSL_.num_agpr, 0
	.set _ZN7rocprim17ROCPRIM_400000_NS6detail17trampoline_kernelINS0_14default_configENS1_36segmented_radix_sort_config_selectorI6__halflEEZNS1_25segmented_radix_sort_implIS3_Lb1EPKS5_PS5_PKlPlN2at6native12_GLOBAL__N_18offset_tEEE10hipError_tPvRmT1_PNSt15iterator_traitsISL_E10value_typeET2_T3_PNSM_ISR_E10value_typeET4_jRbjT5_SX_jjP12ihipStream_tbEUlT_E_NS1_11comp_targetILNS1_3genE9ELNS1_11target_archE1100ELNS1_3gpuE3ELNS1_3repE0EEENS1_30default_config_static_selectorELNS0_4arch9wavefront6targetE0EEEvSL_.numbered_sgpr, 0
	.set _ZN7rocprim17ROCPRIM_400000_NS6detail17trampoline_kernelINS0_14default_configENS1_36segmented_radix_sort_config_selectorI6__halflEEZNS1_25segmented_radix_sort_implIS3_Lb1EPKS5_PS5_PKlPlN2at6native12_GLOBAL__N_18offset_tEEE10hipError_tPvRmT1_PNSt15iterator_traitsISL_E10value_typeET2_T3_PNSM_ISR_E10value_typeET4_jRbjT5_SX_jjP12ihipStream_tbEUlT_E_NS1_11comp_targetILNS1_3genE9ELNS1_11target_archE1100ELNS1_3gpuE3ELNS1_3repE0EEENS1_30default_config_static_selectorELNS0_4arch9wavefront6targetE0EEEvSL_.num_named_barrier, 0
	.set _ZN7rocprim17ROCPRIM_400000_NS6detail17trampoline_kernelINS0_14default_configENS1_36segmented_radix_sort_config_selectorI6__halflEEZNS1_25segmented_radix_sort_implIS3_Lb1EPKS5_PS5_PKlPlN2at6native12_GLOBAL__N_18offset_tEEE10hipError_tPvRmT1_PNSt15iterator_traitsISL_E10value_typeET2_T3_PNSM_ISR_E10value_typeET4_jRbjT5_SX_jjP12ihipStream_tbEUlT_E_NS1_11comp_targetILNS1_3genE9ELNS1_11target_archE1100ELNS1_3gpuE3ELNS1_3repE0EEENS1_30default_config_static_selectorELNS0_4arch9wavefront6targetE0EEEvSL_.private_seg_size, 0
	.set _ZN7rocprim17ROCPRIM_400000_NS6detail17trampoline_kernelINS0_14default_configENS1_36segmented_radix_sort_config_selectorI6__halflEEZNS1_25segmented_radix_sort_implIS3_Lb1EPKS5_PS5_PKlPlN2at6native12_GLOBAL__N_18offset_tEEE10hipError_tPvRmT1_PNSt15iterator_traitsISL_E10value_typeET2_T3_PNSM_ISR_E10value_typeET4_jRbjT5_SX_jjP12ihipStream_tbEUlT_E_NS1_11comp_targetILNS1_3genE9ELNS1_11target_archE1100ELNS1_3gpuE3ELNS1_3repE0EEENS1_30default_config_static_selectorELNS0_4arch9wavefront6targetE0EEEvSL_.uses_vcc, 0
	.set _ZN7rocprim17ROCPRIM_400000_NS6detail17trampoline_kernelINS0_14default_configENS1_36segmented_radix_sort_config_selectorI6__halflEEZNS1_25segmented_radix_sort_implIS3_Lb1EPKS5_PS5_PKlPlN2at6native12_GLOBAL__N_18offset_tEEE10hipError_tPvRmT1_PNSt15iterator_traitsISL_E10value_typeET2_T3_PNSM_ISR_E10value_typeET4_jRbjT5_SX_jjP12ihipStream_tbEUlT_E_NS1_11comp_targetILNS1_3genE9ELNS1_11target_archE1100ELNS1_3gpuE3ELNS1_3repE0EEENS1_30default_config_static_selectorELNS0_4arch9wavefront6targetE0EEEvSL_.uses_flat_scratch, 0
	.set _ZN7rocprim17ROCPRIM_400000_NS6detail17trampoline_kernelINS0_14default_configENS1_36segmented_radix_sort_config_selectorI6__halflEEZNS1_25segmented_radix_sort_implIS3_Lb1EPKS5_PS5_PKlPlN2at6native12_GLOBAL__N_18offset_tEEE10hipError_tPvRmT1_PNSt15iterator_traitsISL_E10value_typeET2_T3_PNSM_ISR_E10value_typeET4_jRbjT5_SX_jjP12ihipStream_tbEUlT_E_NS1_11comp_targetILNS1_3genE9ELNS1_11target_archE1100ELNS1_3gpuE3ELNS1_3repE0EEENS1_30default_config_static_selectorELNS0_4arch9wavefront6targetE0EEEvSL_.has_dyn_sized_stack, 0
	.set _ZN7rocprim17ROCPRIM_400000_NS6detail17trampoline_kernelINS0_14default_configENS1_36segmented_radix_sort_config_selectorI6__halflEEZNS1_25segmented_radix_sort_implIS3_Lb1EPKS5_PS5_PKlPlN2at6native12_GLOBAL__N_18offset_tEEE10hipError_tPvRmT1_PNSt15iterator_traitsISL_E10value_typeET2_T3_PNSM_ISR_E10value_typeET4_jRbjT5_SX_jjP12ihipStream_tbEUlT_E_NS1_11comp_targetILNS1_3genE9ELNS1_11target_archE1100ELNS1_3gpuE3ELNS1_3repE0EEENS1_30default_config_static_selectorELNS0_4arch9wavefront6targetE0EEEvSL_.has_recursion, 0
	.set _ZN7rocprim17ROCPRIM_400000_NS6detail17trampoline_kernelINS0_14default_configENS1_36segmented_radix_sort_config_selectorI6__halflEEZNS1_25segmented_radix_sort_implIS3_Lb1EPKS5_PS5_PKlPlN2at6native12_GLOBAL__N_18offset_tEEE10hipError_tPvRmT1_PNSt15iterator_traitsISL_E10value_typeET2_T3_PNSM_ISR_E10value_typeET4_jRbjT5_SX_jjP12ihipStream_tbEUlT_E_NS1_11comp_targetILNS1_3genE9ELNS1_11target_archE1100ELNS1_3gpuE3ELNS1_3repE0EEENS1_30default_config_static_selectorELNS0_4arch9wavefront6targetE0EEEvSL_.has_indirect_call, 0
	.section	.AMDGPU.csdata,"",@progbits
; Kernel info:
; codeLenInByte = 0
; TotalNumSgprs: 0
; NumVgprs: 0
; ScratchSize: 0
; MemoryBound: 0
; FloatMode: 240
; IeeeMode: 1
; LDSByteSize: 0 bytes/workgroup (compile time only)
; SGPRBlocks: 0
; VGPRBlocks: 0
; NumSGPRsForWavesPerEU: 1
; NumVGPRsForWavesPerEU: 1
; NamedBarCnt: 0
; Occupancy: 16
; WaveLimiterHint : 0
; COMPUTE_PGM_RSRC2:SCRATCH_EN: 0
; COMPUTE_PGM_RSRC2:USER_SGPR: 2
; COMPUTE_PGM_RSRC2:TRAP_HANDLER: 0
; COMPUTE_PGM_RSRC2:TGID_X_EN: 1
; COMPUTE_PGM_RSRC2:TGID_Y_EN: 0
; COMPUTE_PGM_RSRC2:TGID_Z_EN: 0
; COMPUTE_PGM_RSRC2:TIDIG_COMP_CNT: 0
	.section	.text._ZN7rocprim17ROCPRIM_400000_NS6detail17trampoline_kernelINS0_14default_configENS1_36segmented_radix_sort_config_selectorI6__halflEEZNS1_25segmented_radix_sort_implIS3_Lb1EPKS5_PS5_PKlPlN2at6native12_GLOBAL__N_18offset_tEEE10hipError_tPvRmT1_PNSt15iterator_traitsISL_E10value_typeET2_T3_PNSM_ISR_E10value_typeET4_jRbjT5_SX_jjP12ihipStream_tbEUlT_E_NS1_11comp_targetILNS1_3genE8ELNS1_11target_archE1030ELNS1_3gpuE2ELNS1_3repE0EEENS1_30default_config_static_selectorELNS0_4arch9wavefront6targetE0EEEvSL_,"axG",@progbits,_ZN7rocprim17ROCPRIM_400000_NS6detail17trampoline_kernelINS0_14default_configENS1_36segmented_radix_sort_config_selectorI6__halflEEZNS1_25segmented_radix_sort_implIS3_Lb1EPKS5_PS5_PKlPlN2at6native12_GLOBAL__N_18offset_tEEE10hipError_tPvRmT1_PNSt15iterator_traitsISL_E10value_typeET2_T3_PNSM_ISR_E10value_typeET4_jRbjT5_SX_jjP12ihipStream_tbEUlT_E_NS1_11comp_targetILNS1_3genE8ELNS1_11target_archE1030ELNS1_3gpuE2ELNS1_3repE0EEENS1_30default_config_static_selectorELNS0_4arch9wavefront6targetE0EEEvSL_,comdat
	.globl	_ZN7rocprim17ROCPRIM_400000_NS6detail17trampoline_kernelINS0_14default_configENS1_36segmented_radix_sort_config_selectorI6__halflEEZNS1_25segmented_radix_sort_implIS3_Lb1EPKS5_PS5_PKlPlN2at6native12_GLOBAL__N_18offset_tEEE10hipError_tPvRmT1_PNSt15iterator_traitsISL_E10value_typeET2_T3_PNSM_ISR_E10value_typeET4_jRbjT5_SX_jjP12ihipStream_tbEUlT_E_NS1_11comp_targetILNS1_3genE8ELNS1_11target_archE1030ELNS1_3gpuE2ELNS1_3repE0EEENS1_30default_config_static_selectorELNS0_4arch9wavefront6targetE0EEEvSL_ ; -- Begin function _ZN7rocprim17ROCPRIM_400000_NS6detail17trampoline_kernelINS0_14default_configENS1_36segmented_radix_sort_config_selectorI6__halflEEZNS1_25segmented_radix_sort_implIS3_Lb1EPKS5_PS5_PKlPlN2at6native12_GLOBAL__N_18offset_tEEE10hipError_tPvRmT1_PNSt15iterator_traitsISL_E10value_typeET2_T3_PNSM_ISR_E10value_typeET4_jRbjT5_SX_jjP12ihipStream_tbEUlT_E_NS1_11comp_targetILNS1_3genE8ELNS1_11target_archE1030ELNS1_3gpuE2ELNS1_3repE0EEENS1_30default_config_static_selectorELNS0_4arch9wavefront6targetE0EEEvSL_
	.p2align	8
	.type	_ZN7rocprim17ROCPRIM_400000_NS6detail17trampoline_kernelINS0_14default_configENS1_36segmented_radix_sort_config_selectorI6__halflEEZNS1_25segmented_radix_sort_implIS3_Lb1EPKS5_PS5_PKlPlN2at6native12_GLOBAL__N_18offset_tEEE10hipError_tPvRmT1_PNSt15iterator_traitsISL_E10value_typeET2_T3_PNSM_ISR_E10value_typeET4_jRbjT5_SX_jjP12ihipStream_tbEUlT_E_NS1_11comp_targetILNS1_3genE8ELNS1_11target_archE1030ELNS1_3gpuE2ELNS1_3repE0EEENS1_30default_config_static_selectorELNS0_4arch9wavefront6targetE0EEEvSL_,@function
_ZN7rocprim17ROCPRIM_400000_NS6detail17trampoline_kernelINS0_14default_configENS1_36segmented_radix_sort_config_selectorI6__halflEEZNS1_25segmented_radix_sort_implIS3_Lb1EPKS5_PS5_PKlPlN2at6native12_GLOBAL__N_18offset_tEEE10hipError_tPvRmT1_PNSt15iterator_traitsISL_E10value_typeET2_T3_PNSM_ISR_E10value_typeET4_jRbjT5_SX_jjP12ihipStream_tbEUlT_E_NS1_11comp_targetILNS1_3genE8ELNS1_11target_archE1030ELNS1_3gpuE2ELNS1_3repE0EEENS1_30default_config_static_selectorELNS0_4arch9wavefront6targetE0EEEvSL_: ; @_ZN7rocprim17ROCPRIM_400000_NS6detail17trampoline_kernelINS0_14default_configENS1_36segmented_radix_sort_config_selectorI6__halflEEZNS1_25segmented_radix_sort_implIS3_Lb1EPKS5_PS5_PKlPlN2at6native12_GLOBAL__N_18offset_tEEE10hipError_tPvRmT1_PNSt15iterator_traitsISL_E10value_typeET2_T3_PNSM_ISR_E10value_typeET4_jRbjT5_SX_jjP12ihipStream_tbEUlT_E_NS1_11comp_targetILNS1_3genE8ELNS1_11target_archE1030ELNS1_3gpuE2ELNS1_3repE0EEENS1_30default_config_static_selectorELNS0_4arch9wavefront6targetE0EEEvSL_
; %bb.0:
	.section	.rodata,"a",@progbits
	.p2align	6, 0x0
	.amdhsa_kernel _ZN7rocprim17ROCPRIM_400000_NS6detail17trampoline_kernelINS0_14default_configENS1_36segmented_radix_sort_config_selectorI6__halflEEZNS1_25segmented_radix_sort_implIS3_Lb1EPKS5_PS5_PKlPlN2at6native12_GLOBAL__N_18offset_tEEE10hipError_tPvRmT1_PNSt15iterator_traitsISL_E10value_typeET2_T3_PNSM_ISR_E10value_typeET4_jRbjT5_SX_jjP12ihipStream_tbEUlT_E_NS1_11comp_targetILNS1_3genE8ELNS1_11target_archE1030ELNS1_3gpuE2ELNS1_3repE0EEENS1_30default_config_static_selectorELNS0_4arch9wavefront6targetE0EEEvSL_
		.amdhsa_group_segment_fixed_size 0
		.amdhsa_private_segment_fixed_size 0
		.amdhsa_kernarg_size 96
		.amdhsa_user_sgpr_count 2
		.amdhsa_user_sgpr_dispatch_ptr 0
		.amdhsa_user_sgpr_queue_ptr 0
		.amdhsa_user_sgpr_kernarg_segment_ptr 1
		.amdhsa_user_sgpr_dispatch_id 0
		.amdhsa_user_sgpr_kernarg_preload_length 0
		.amdhsa_user_sgpr_kernarg_preload_offset 0
		.amdhsa_user_sgpr_private_segment_size 0
		.amdhsa_wavefront_size32 1
		.amdhsa_uses_dynamic_stack 0
		.amdhsa_enable_private_segment 0
		.amdhsa_system_sgpr_workgroup_id_x 1
		.amdhsa_system_sgpr_workgroup_id_y 0
		.amdhsa_system_sgpr_workgroup_id_z 0
		.amdhsa_system_sgpr_workgroup_info 0
		.amdhsa_system_vgpr_workitem_id 0
		.amdhsa_next_free_vgpr 1
		.amdhsa_next_free_sgpr 1
		.amdhsa_named_barrier_count 0
		.amdhsa_reserve_vcc 0
		.amdhsa_float_round_mode_32 0
		.amdhsa_float_round_mode_16_64 0
		.amdhsa_float_denorm_mode_32 3
		.amdhsa_float_denorm_mode_16_64 3
		.amdhsa_fp16_overflow 0
		.amdhsa_memory_ordered 1
		.amdhsa_forward_progress 1
		.amdhsa_inst_pref_size 0
		.amdhsa_round_robin_scheduling 0
		.amdhsa_exception_fp_ieee_invalid_op 0
		.amdhsa_exception_fp_denorm_src 0
		.amdhsa_exception_fp_ieee_div_zero 0
		.amdhsa_exception_fp_ieee_overflow 0
		.amdhsa_exception_fp_ieee_underflow 0
		.amdhsa_exception_fp_ieee_inexact 0
		.amdhsa_exception_int_div_zero 0
	.end_amdhsa_kernel
	.section	.text._ZN7rocprim17ROCPRIM_400000_NS6detail17trampoline_kernelINS0_14default_configENS1_36segmented_radix_sort_config_selectorI6__halflEEZNS1_25segmented_radix_sort_implIS3_Lb1EPKS5_PS5_PKlPlN2at6native12_GLOBAL__N_18offset_tEEE10hipError_tPvRmT1_PNSt15iterator_traitsISL_E10value_typeET2_T3_PNSM_ISR_E10value_typeET4_jRbjT5_SX_jjP12ihipStream_tbEUlT_E_NS1_11comp_targetILNS1_3genE8ELNS1_11target_archE1030ELNS1_3gpuE2ELNS1_3repE0EEENS1_30default_config_static_selectorELNS0_4arch9wavefront6targetE0EEEvSL_,"axG",@progbits,_ZN7rocprim17ROCPRIM_400000_NS6detail17trampoline_kernelINS0_14default_configENS1_36segmented_radix_sort_config_selectorI6__halflEEZNS1_25segmented_radix_sort_implIS3_Lb1EPKS5_PS5_PKlPlN2at6native12_GLOBAL__N_18offset_tEEE10hipError_tPvRmT1_PNSt15iterator_traitsISL_E10value_typeET2_T3_PNSM_ISR_E10value_typeET4_jRbjT5_SX_jjP12ihipStream_tbEUlT_E_NS1_11comp_targetILNS1_3genE8ELNS1_11target_archE1030ELNS1_3gpuE2ELNS1_3repE0EEENS1_30default_config_static_selectorELNS0_4arch9wavefront6targetE0EEEvSL_,comdat
.Lfunc_end1738:
	.size	_ZN7rocprim17ROCPRIM_400000_NS6detail17trampoline_kernelINS0_14default_configENS1_36segmented_radix_sort_config_selectorI6__halflEEZNS1_25segmented_radix_sort_implIS3_Lb1EPKS5_PS5_PKlPlN2at6native12_GLOBAL__N_18offset_tEEE10hipError_tPvRmT1_PNSt15iterator_traitsISL_E10value_typeET2_T3_PNSM_ISR_E10value_typeET4_jRbjT5_SX_jjP12ihipStream_tbEUlT_E_NS1_11comp_targetILNS1_3genE8ELNS1_11target_archE1030ELNS1_3gpuE2ELNS1_3repE0EEENS1_30default_config_static_selectorELNS0_4arch9wavefront6targetE0EEEvSL_, .Lfunc_end1738-_ZN7rocprim17ROCPRIM_400000_NS6detail17trampoline_kernelINS0_14default_configENS1_36segmented_radix_sort_config_selectorI6__halflEEZNS1_25segmented_radix_sort_implIS3_Lb1EPKS5_PS5_PKlPlN2at6native12_GLOBAL__N_18offset_tEEE10hipError_tPvRmT1_PNSt15iterator_traitsISL_E10value_typeET2_T3_PNSM_ISR_E10value_typeET4_jRbjT5_SX_jjP12ihipStream_tbEUlT_E_NS1_11comp_targetILNS1_3genE8ELNS1_11target_archE1030ELNS1_3gpuE2ELNS1_3repE0EEENS1_30default_config_static_selectorELNS0_4arch9wavefront6targetE0EEEvSL_
                                        ; -- End function
	.set _ZN7rocprim17ROCPRIM_400000_NS6detail17trampoline_kernelINS0_14default_configENS1_36segmented_radix_sort_config_selectorI6__halflEEZNS1_25segmented_radix_sort_implIS3_Lb1EPKS5_PS5_PKlPlN2at6native12_GLOBAL__N_18offset_tEEE10hipError_tPvRmT1_PNSt15iterator_traitsISL_E10value_typeET2_T3_PNSM_ISR_E10value_typeET4_jRbjT5_SX_jjP12ihipStream_tbEUlT_E_NS1_11comp_targetILNS1_3genE8ELNS1_11target_archE1030ELNS1_3gpuE2ELNS1_3repE0EEENS1_30default_config_static_selectorELNS0_4arch9wavefront6targetE0EEEvSL_.num_vgpr, 0
	.set _ZN7rocprim17ROCPRIM_400000_NS6detail17trampoline_kernelINS0_14default_configENS1_36segmented_radix_sort_config_selectorI6__halflEEZNS1_25segmented_radix_sort_implIS3_Lb1EPKS5_PS5_PKlPlN2at6native12_GLOBAL__N_18offset_tEEE10hipError_tPvRmT1_PNSt15iterator_traitsISL_E10value_typeET2_T3_PNSM_ISR_E10value_typeET4_jRbjT5_SX_jjP12ihipStream_tbEUlT_E_NS1_11comp_targetILNS1_3genE8ELNS1_11target_archE1030ELNS1_3gpuE2ELNS1_3repE0EEENS1_30default_config_static_selectorELNS0_4arch9wavefront6targetE0EEEvSL_.num_agpr, 0
	.set _ZN7rocprim17ROCPRIM_400000_NS6detail17trampoline_kernelINS0_14default_configENS1_36segmented_radix_sort_config_selectorI6__halflEEZNS1_25segmented_radix_sort_implIS3_Lb1EPKS5_PS5_PKlPlN2at6native12_GLOBAL__N_18offset_tEEE10hipError_tPvRmT1_PNSt15iterator_traitsISL_E10value_typeET2_T3_PNSM_ISR_E10value_typeET4_jRbjT5_SX_jjP12ihipStream_tbEUlT_E_NS1_11comp_targetILNS1_3genE8ELNS1_11target_archE1030ELNS1_3gpuE2ELNS1_3repE0EEENS1_30default_config_static_selectorELNS0_4arch9wavefront6targetE0EEEvSL_.numbered_sgpr, 0
	.set _ZN7rocprim17ROCPRIM_400000_NS6detail17trampoline_kernelINS0_14default_configENS1_36segmented_radix_sort_config_selectorI6__halflEEZNS1_25segmented_radix_sort_implIS3_Lb1EPKS5_PS5_PKlPlN2at6native12_GLOBAL__N_18offset_tEEE10hipError_tPvRmT1_PNSt15iterator_traitsISL_E10value_typeET2_T3_PNSM_ISR_E10value_typeET4_jRbjT5_SX_jjP12ihipStream_tbEUlT_E_NS1_11comp_targetILNS1_3genE8ELNS1_11target_archE1030ELNS1_3gpuE2ELNS1_3repE0EEENS1_30default_config_static_selectorELNS0_4arch9wavefront6targetE0EEEvSL_.num_named_barrier, 0
	.set _ZN7rocprim17ROCPRIM_400000_NS6detail17trampoline_kernelINS0_14default_configENS1_36segmented_radix_sort_config_selectorI6__halflEEZNS1_25segmented_radix_sort_implIS3_Lb1EPKS5_PS5_PKlPlN2at6native12_GLOBAL__N_18offset_tEEE10hipError_tPvRmT1_PNSt15iterator_traitsISL_E10value_typeET2_T3_PNSM_ISR_E10value_typeET4_jRbjT5_SX_jjP12ihipStream_tbEUlT_E_NS1_11comp_targetILNS1_3genE8ELNS1_11target_archE1030ELNS1_3gpuE2ELNS1_3repE0EEENS1_30default_config_static_selectorELNS0_4arch9wavefront6targetE0EEEvSL_.private_seg_size, 0
	.set _ZN7rocprim17ROCPRIM_400000_NS6detail17trampoline_kernelINS0_14default_configENS1_36segmented_radix_sort_config_selectorI6__halflEEZNS1_25segmented_radix_sort_implIS3_Lb1EPKS5_PS5_PKlPlN2at6native12_GLOBAL__N_18offset_tEEE10hipError_tPvRmT1_PNSt15iterator_traitsISL_E10value_typeET2_T3_PNSM_ISR_E10value_typeET4_jRbjT5_SX_jjP12ihipStream_tbEUlT_E_NS1_11comp_targetILNS1_3genE8ELNS1_11target_archE1030ELNS1_3gpuE2ELNS1_3repE0EEENS1_30default_config_static_selectorELNS0_4arch9wavefront6targetE0EEEvSL_.uses_vcc, 0
	.set _ZN7rocprim17ROCPRIM_400000_NS6detail17trampoline_kernelINS0_14default_configENS1_36segmented_radix_sort_config_selectorI6__halflEEZNS1_25segmented_radix_sort_implIS3_Lb1EPKS5_PS5_PKlPlN2at6native12_GLOBAL__N_18offset_tEEE10hipError_tPvRmT1_PNSt15iterator_traitsISL_E10value_typeET2_T3_PNSM_ISR_E10value_typeET4_jRbjT5_SX_jjP12ihipStream_tbEUlT_E_NS1_11comp_targetILNS1_3genE8ELNS1_11target_archE1030ELNS1_3gpuE2ELNS1_3repE0EEENS1_30default_config_static_selectorELNS0_4arch9wavefront6targetE0EEEvSL_.uses_flat_scratch, 0
	.set _ZN7rocprim17ROCPRIM_400000_NS6detail17trampoline_kernelINS0_14default_configENS1_36segmented_radix_sort_config_selectorI6__halflEEZNS1_25segmented_radix_sort_implIS3_Lb1EPKS5_PS5_PKlPlN2at6native12_GLOBAL__N_18offset_tEEE10hipError_tPvRmT1_PNSt15iterator_traitsISL_E10value_typeET2_T3_PNSM_ISR_E10value_typeET4_jRbjT5_SX_jjP12ihipStream_tbEUlT_E_NS1_11comp_targetILNS1_3genE8ELNS1_11target_archE1030ELNS1_3gpuE2ELNS1_3repE0EEENS1_30default_config_static_selectorELNS0_4arch9wavefront6targetE0EEEvSL_.has_dyn_sized_stack, 0
	.set _ZN7rocprim17ROCPRIM_400000_NS6detail17trampoline_kernelINS0_14default_configENS1_36segmented_radix_sort_config_selectorI6__halflEEZNS1_25segmented_radix_sort_implIS3_Lb1EPKS5_PS5_PKlPlN2at6native12_GLOBAL__N_18offset_tEEE10hipError_tPvRmT1_PNSt15iterator_traitsISL_E10value_typeET2_T3_PNSM_ISR_E10value_typeET4_jRbjT5_SX_jjP12ihipStream_tbEUlT_E_NS1_11comp_targetILNS1_3genE8ELNS1_11target_archE1030ELNS1_3gpuE2ELNS1_3repE0EEENS1_30default_config_static_selectorELNS0_4arch9wavefront6targetE0EEEvSL_.has_recursion, 0
	.set _ZN7rocprim17ROCPRIM_400000_NS6detail17trampoline_kernelINS0_14default_configENS1_36segmented_radix_sort_config_selectorI6__halflEEZNS1_25segmented_radix_sort_implIS3_Lb1EPKS5_PS5_PKlPlN2at6native12_GLOBAL__N_18offset_tEEE10hipError_tPvRmT1_PNSt15iterator_traitsISL_E10value_typeET2_T3_PNSM_ISR_E10value_typeET4_jRbjT5_SX_jjP12ihipStream_tbEUlT_E_NS1_11comp_targetILNS1_3genE8ELNS1_11target_archE1030ELNS1_3gpuE2ELNS1_3repE0EEENS1_30default_config_static_selectorELNS0_4arch9wavefront6targetE0EEEvSL_.has_indirect_call, 0
	.section	.AMDGPU.csdata,"",@progbits
; Kernel info:
; codeLenInByte = 0
; TotalNumSgprs: 0
; NumVgprs: 0
; ScratchSize: 0
; MemoryBound: 0
; FloatMode: 240
; IeeeMode: 1
; LDSByteSize: 0 bytes/workgroup (compile time only)
; SGPRBlocks: 0
; VGPRBlocks: 0
; NumSGPRsForWavesPerEU: 1
; NumVGPRsForWavesPerEU: 1
; NamedBarCnt: 0
; Occupancy: 16
; WaveLimiterHint : 0
; COMPUTE_PGM_RSRC2:SCRATCH_EN: 0
; COMPUTE_PGM_RSRC2:USER_SGPR: 2
; COMPUTE_PGM_RSRC2:TRAP_HANDLER: 0
; COMPUTE_PGM_RSRC2:TGID_X_EN: 1
; COMPUTE_PGM_RSRC2:TGID_Y_EN: 0
; COMPUTE_PGM_RSRC2:TGID_Z_EN: 0
; COMPUTE_PGM_RSRC2:TIDIG_COMP_CNT: 0
	.text
	.p2align	2                               ; -- Begin function _ZN7rocprim17ROCPRIM_400000_NS6detail26segmented_warp_sort_helperINS1_20WarpSortHelperConfigILj16ELj8ELj256EEE6__halflLi256ELb1EvE4sortIPKS5_PS5_PKlPlEEvT_T0_T1_T2_jjjjRNS6_12storage_typeE
	.type	_ZN7rocprim17ROCPRIM_400000_NS6detail26segmented_warp_sort_helperINS1_20WarpSortHelperConfigILj16ELj8ELj256EEE6__halflLi256ELb1EvE4sortIPKS5_PS5_PKlPlEEvT_T0_T1_T2_jjjjRNS6_12storage_typeE,@function
_ZN7rocprim17ROCPRIM_400000_NS6detail26segmented_warp_sort_helperINS1_20WarpSortHelperConfigILj16ELj8ELj256EEE6__halflLi256ELb1EvE4sortIPKS5_PS5_PKlPlEEvT_T0_T1_T2_jjjjRNS6_12storage_typeE: ; @_ZN7rocprim17ROCPRIM_400000_NS6detail26segmented_warp_sort_helperINS1_20WarpSortHelperConfigILj16ELj8ELj256EEE6__halflLi256ELb1EvE4sortIPKS5_PS5_PKlPlEEvT_T0_T1_T2_jjjjRNS6_12storage_typeE
; %bb.0:
	s_wait_loadcnt_dscnt 0x0
	s_wait_kmcnt 0x0
	v_mov_b32_e32 v10, v9
	v_mbcnt_lo_u32_b32 v9, -1, 0
	v_dual_mov_b32 v39, 0xffff :: v_dual_mov_b32 v36, 0xffff
	s_delay_alu instid0(VALU_DEP_2) | instskip(NEXT) | instid1(VALU_DEP_1)
	v_dual_lshlrev_b32 v35, 3, v9 :: v_dual_sub_nc_u32 v12, v10, v8
	v_and_b32_e32 v34, 0x78, v35
	v_mov_b32_e32 v9, 0
	s_delay_alu instid0(VALU_DEP_2) | instskip(NEXT) | instid1(VALU_DEP_2)
	v_cmp_lt_u32_e32 vcc_lo, v34, v12
	v_lshl_add_u64 v[14:15], v[8:9], 1, v[0:1]
	v_dual_mov_b32 v1, v9 :: v_dual_lshlrev_b32 v0, 1, v34
	s_delay_alu instid0(VALU_DEP_1)
	v_add_nc_u64_e32 v[10:11], v[14:15], v[0:1]
	s_and_saveexec_b32 s0, vcc_lo
	s_cbranch_execz .LBB1739_2
; %bb.1:
	flat_load_u16 v36, v[10:11]
.LBB1739_2:
	s_wait_xcnt 0x0
	s_or_b32 exec_lo, exec_lo, s0
	v_or_b32_e32 v1, 1, v34
	s_delay_alu instid0(VALU_DEP_1)
	v_cmp_lt_u32_e64 s0, v1, v12
	s_and_saveexec_b32 s1, s0
	s_cbranch_execz .LBB1739_4
; %bb.3:
	flat_load_u16 v39, v[10:11] offset:2
.LBB1739_4:
	s_wait_xcnt 0x0
	s_or_b32 exec_lo, exec_lo, s1
	v_or_b32_e32 v1, 2, v34
	v_dual_mov_b32 v33, 0xffff :: v_dual_mov_b32 v30, 0xffff
	s_delay_alu instid0(VALU_DEP_2)
	v_cmp_lt_u32_e64 s1, v1, v12
	s_and_saveexec_b32 s2, s1
	s_cbranch_execz .LBB1739_6
; %bb.5:
	flat_load_u16 v30, v[10:11] offset:4
.LBB1739_6:
	s_wait_xcnt 0x0
	s_or_b32 exec_lo, exec_lo, s2
	v_or_b32_e32 v1, 3, v34
	s_delay_alu instid0(VALU_DEP_1)
	v_cmp_lt_u32_e64 s2, v1, v12
	s_and_saveexec_b32 s3, s2
	s_cbranch_execz .LBB1739_8
; %bb.7:
	flat_load_u16 v33, v[10:11] offset:6
.LBB1739_8:
	s_wait_xcnt 0x0
	s_or_b32 exec_lo, exec_lo, s3
	v_or_b32_e32 v1, 4, v34
	v_mov_b32_e32 v38, 0xffff
	v_mov_b32_e32 v48, 0xffff
	s_delay_alu instid0(VALU_DEP_3)
	v_cmp_lt_u32_e64 s3, v1, v12
	s_and_saveexec_b32 s4, s3
	s_cbranch_execz .LBB1739_10
; %bb.9:
	flat_load_u16 v48, v[10:11] offset:8
.LBB1739_10:
	s_wait_xcnt 0x0
	s_or_b32 exec_lo, exec_lo, s4
	v_or_b32_e32 v1, 5, v34
	s_delay_alu instid0(VALU_DEP_1)
	v_cmp_lt_u32_e64 s4, v1, v12
	s_and_saveexec_b32 s5, s4
	s_cbranch_execz .LBB1739_12
; %bb.11:
	flat_load_u16 v38, v[10:11] offset:10
.LBB1739_12:
	s_wait_xcnt 0x0
	s_or_b32 exec_lo, exec_lo, s5
	v_or_b32_e32 v1, 6, v34
	v_dual_mov_b32 v37, 0xffff :: v_dual_mov_b32 v32, 0xffff
	s_delay_alu instid0(VALU_DEP_2)
	v_cmp_lt_u32_e64 s5, v1, v12
	s_and_saveexec_b32 s6, s5
	s_cbranch_execz .LBB1739_14
; %bb.13:
	flat_load_u16 v32, v[10:11] offset:12
.LBB1739_14:
	s_wait_xcnt 0x0
	s_or_b32 exec_lo, exec_lo, s6
	v_or_b32_e32 v1, 7, v34
	s_delay_alu instid0(VALU_DEP_1)
	v_cmp_lt_u32_e64 s6, v1, v12
	s_and_saveexec_b32 s7, s6
	s_cbranch_execz .LBB1739_16
; %bb.15:
	flat_load_u16 v37, v[10:11] offset:14
.LBB1739_16:
	s_wait_xcnt 0x0
	s_or_b32 exec_lo, exec_lo, s7
	v_lshl_add_u64 v[10:11], v[8:9], 3, v[4:5]
	v_dual_mov_b32 v5, 0 :: v_dual_lshlrev_b32 v4, 3, v34
	; wave barrier
	s_delay_alu instid0(VALU_DEP_1)
	v_add_nc_u64_e32 v[26:27], v[10:11], v[4:5]
                                        ; implicit-def: $vgpr10_vgpr11
	s_and_saveexec_b32 s7, vcc_lo
	s_cbranch_execnz .LBB1739_261
; %bb.17:
	s_or_b32 exec_lo, exec_lo, s7
                                        ; implicit-def: $vgpr12_vgpr13
	s_and_saveexec_b32 s7, s0
	s_cbranch_execnz .LBB1739_262
.LBB1739_18:
	s_or_b32 exec_lo, exec_lo, s7
                                        ; implicit-def: $vgpr14_vgpr15
	s_and_saveexec_b32 s7, s1
	s_cbranch_execnz .LBB1739_263
.LBB1739_19:
	s_or_b32 exec_lo, exec_lo, s7
                                        ; implicit-def: $vgpr16_vgpr17
	s_and_saveexec_b32 s7, s2
	s_cbranch_execnz .LBB1739_264
.LBB1739_20:
	s_or_b32 exec_lo, exec_lo, s7
                                        ; implicit-def: $vgpr18_vgpr19
	s_and_saveexec_b32 s7, s3
	s_cbranch_execnz .LBB1739_265
.LBB1739_21:
	s_or_b32 exec_lo, exec_lo, s7
                                        ; implicit-def: $vgpr22_vgpr23
	s_and_saveexec_b32 s7, s4
	s_cbranch_execnz .LBB1739_266
.LBB1739_22:
	s_or_b32 exec_lo, exec_lo, s7
                                        ; implicit-def: $vgpr20_vgpr21
	s_and_saveexec_b32 s7, s5
	s_cbranch_execnz .LBB1739_267
.LBB1739_23:
	s_or_b32 exec_lo, exec_lo, s7
                                        ; implicit-def: $vgpr24_vgpr25
	s_and_saveexec_b32 s7, s6
	s_cbranch_execz .LBB1739_25
.LBB1739_24:
	flat_load_b64 v[24:25], v[26:27] offset:56
.LBB1739_25:
	s_wait_xcnt 0x0
	s_or_b32 exec_lo, exec_lo, s7
	; wave barrier
	s_load_b64 s[10:11], s[8:9], 0x0
	s_bfe_u32 s12, ttmp6, 0x4000c
	s_bfe_u32 s14, ttmp6, 0x40010
	s_and_b32 s13, ttmp7, 0xffff
	s_add_co_i32 s12, s12, 1
	s_add_co_i32 s14, s14, 1
	s_and_b32 s7, ttmp6, 15
	s_bfe_u32 s15, ttmp6, 0x40004
	s_mul_i32 s12, ttmp9, s12
	s_mul_i32 s14, s13, s14
	s_getreg_b32 s16, hwreg(HW_REG_IB_STS2, 6, 4)
	s_add_co_i32 s7, s7, s12
	s_add_co_i32 s15, s15, s14
	s_cmp_eq_u32 s16, 0
	v_bfe_u32 v1, v31, 10, 10
	s_cselect_b32 s7, ttmp9, s7
	s_cselect_b32 s12, s13, s15
	v_bfe_u32 v5, v31, 20, 10
	s_wait_kmcnt 0x0
	s_cmp_lt_u32 s7, s10
	s_cselect_b32 s10, 12, 18
	s_cmp_lt_u32 s12, s11
	s_mov_b32 s11, 0
	s_cselect_b32 s12, 14, 20
	s_mov_b32 s13, s11
	s_delay_alu instid0(SALU_CYCLE_1)
	s_add_nc_u64 s[12:13], s[8:9], s[12:13]
	s_add_nc_u64 s[8:9], s[8:9], s[10:11]
	s_clause 0x1
	s_load_u16 s7, s[12:13], 0x0
	s_nop 0
	s_load_u16 s8, s[8:9], 0x0
	s_wait_kmcnt 0x0
	v_mad_u32_u24 v1, v5, s7, v1
	v_and_b32_e32 v5, 0x3ff, v31
	s_delay_alu instid0(VALU_DEP_2) | instskip(SKIP_1) | instid1(VALU_DEP_1)
	v_mul_lo_u32 v1, v1, s8
	s_mov_b32 s8, exec_lo
	v_add_lshl_u32 v1, v1, v5, 3
	s_delay_alu instid0(VALU_DEP_1)
	v_cmpx_gt_u32_e32 0x800, v1
	s_cbranch_execz .LBB1739_83
; %bb.26:
	s_wait_loadcnt_dscnt 0x0
	v_add_f16_e32 v5, 0, v39
	v_add_f16_e32 v26, 0, v36
	s_delay_alu instid0(VALU_DEP_2) | instskip(NEXT) | instid1(VALU_DEP_1)
	v_cmp_lt_i16_e64 s7, -1, v5
	v_cndmask_b32_e64 v27, -1, 0xffff8000, s7
	s_delay_alu instid0(VALU_DEP_3) | instskip(NEXT) | instid1(VALU_DEP_2)
	v_cmp_lt_i16_e64 s7, -1, v26
	v_xor_b32_e32 v27, v27, v5
	s_delay_alu instid0(VALU_DEP_2) | instskip(NEXT) | instid1(VALU_DEP_1)
	v_cndmask_b32_e64 v28, -1, 0xffff8000, s7
	v_dual_mov_b32 v5, v39 :: v_dual_bitop2_b32 v26, v28, v26 bitop3:0x14
	s_delay_alu instid0(VALU_DEP_1)
	v_cmp_gt_u16_e64 s7, v27, v26
	v_mov_b64_e32 v[26:27], v[12:13]
	s_and_saveexec_b32 s9, s7
; %bb.27:
	v_mov_b64_e32 v[26:27], v[10:11]
	v_mov_b64_e32 v[10:11], v[12:13]
	v_dual_mov_b32 v5, v36 :: v_dual_mov_b32 v36, v39
; %bb.28:
	s_or_b32 exec_lo, exec_lo, s9
	v_add_f16_e32 v12, 0, v33
	v_add_f16_e32 v13, 0, v30
	s_mov_b32 s9, exec_lo
	v_mov_b32_e32 v31, v33
	s_delay_alu instid0(VALU_DEP_3) | instskip(NEXT) | instid1(VALU_DEP_1)
	v_cmp_lt_i16_e64 s7, -1, v12
	v_cndmask_b32_e64 v28, -1, 0xffff8000, s7
	v_cmp_lt_i16_e64 s7, -1, v13
	s_delay_alu instid0(VALU_DEP_2) | instskip(NEXT) | instid1(VALU_DEP_2)
	v_xor_b32_e32 v12, v28, v12
	v_cndmask_b32_e64 v29, -1, 0xffff8000, s7
	s_delay_alu instid0(VALU_DEP_1) | instskip(SKIP_1) | instid1(VALU_DEP_2)
	v_xor_b32_e32 v13, v29, v13
	v_mov_b64_e32 v[28:29], v[16:17]
	v_cmpx_gt_u16_e64 v12, v13
; %bb.29:
	v_mov_b64_e32 v[28:29], v[14:15]
	v_mov_b64_e32 v[14:15], v[16:17]
	v_dual_mov_b32 v31, v30 :: v_dual_mov_b32 v30, v33
; %bb.30:
	s_or_b32 exec_lo, exec_lo, s9
	v_add_f16_e32 v12, 0, v38
	v_add_f16_e32 v13, 0, v48
	s_mov_b32 s9, exec_lo
	v_mov_b32_e32 v49, v48
	s_delay_alu instid0(VALU_DEP_3) | instskip(NEXT) | instid1(VALU_DEP_1)
	v_cmp_lt_i16_e64 s7, -1, v12
	v_cndmask_b32_e64 v16, -1, 0xffff8000, s7
	v_cmp_lt_i16_e64 s7, -1, v13
	s_delay_alu instid0(VALU_DEP_2) | instskip(NEXT) | instid1(VALU_DEP_2)
	v_xor_b32_e32 v12, v16, v12
	v_cndmask_b32_e64 v17, -1, 0xffff8000, s7
	s_delay_alu instid0(VALU_DEP_1) | instskip(SKIP_1) | instid1(VALU_DEP_2)
	v_xor_b32_e32 v13, v17, v13
	v_mov_b64_e32 v[16:17], v[22:23]
	v_cmpx_gt_u16_e64 v12, v13
	;; [unrolled: 21-line block ×3, first 2 shown]
; %bb.33:
	v_mov_b64_e32 v[12:13], v[20:21]
	v_mov_b64_e32 v[20:21], v[24:25]
	v_dual_mov_b32 v39, v37 :: v_dual_mov_b32 v37, v32
; %bb.34:
	s_or_b32 exec_lo, exec_lo, s9
	v_add_f16_e32 v22, 0, v30
	v_add_f16_e32 v23, 0, v5
	v_mov_b32_e32 v32, v30
	s_delay_alu instid0(VALU_DEP_3) | instskip(NEXT) | instid1(VALU_DEP_1)
	v_cmp_lt_i16_e64 s7, -1, v22
	v_cndmask_b32_e64 v24, -1, 0xffff8000, s7
	s_delay_alu instid0(VALU_DEP_4) | instskip(NEXT) | instid1(VALU_DEP_2)
	v_cmp_lt_i16_e64 s7, -1, v23
	v_xor_b32_e32 v22, v24, v22
	s_delay_alu instid0(VALU_DEP_2) | instskip(NEXT) | instid1(VALU_DEP_1)
	v_cndmask_b32_e64 v25, -1, 0xffff8000, s7
	v_xor_b32_e32 v23, v25, v23
	s_delay_alu instid0(VALU_DEP_1) | instskip(SKIP_2) | instid1(SALU_CYCLE_1)
	v_cmp_gt_u16_e64 s7, v22, v23
	v_mov_b64_e32 v[22:23], v[14:15]
	s_and_saveexec_b32 s9, s7
	s_xor_b32 s7, exec_lo, s9
; %bb.35:
	v_mov_b64_e32 v[22:23], v[26:27]
	v_mov_b64_e32 v[26:27], v[14:15]
	v_dual_mov_b32 v32, v5 :: v_dual_mov_b32 v5, v30
; %bb.36:
	s_or_b32 exec_lo, exec_lo, s7
	v_add_f16_e32 v14, 0, v49
	v_add_f16_e32 v15, 0, v31
	s_delay_alu instid0(VALU_DEP_2) | instskip(NEXT) | instid1(VALU_DEP_1)
	v_cmp_lt_i16_e64 s7, -1, v14
	v_cndmask_b32_e64 v24, -1, 0xffff8000, s7
	s_delay_alu instid0(VALU_DEP_3) | instskip(NEXT) | instid1(VALU_DEP_2)
	v_cmp_lt_i16_e64 s7, -1, v15
	v_dual_mov_b32 v14, v31 :: v_dual_bitop2_b32 v24, v24, v14 bitop3:0x14
	s_delay_alu instid0(VALU_DEP_2) | instskip(NEXT) | instid1(VALU_DEP_1)
	v_cndmask_b32_e64 v25, -1, 0xffff8000, s7
	v_xor_b32_e32 v15, v25, v15
	s_delay_alu instid0(VALU_DEP_1)
	v_cmp_gt_u16_e64 s7, v24, v15
	v_mov_b64_e32 v[24:25], v[18:19]
	s_and_saveexec_b32 s9, s7
; %bb.37:
	v_mov_b64_e32 v[24:25], v[28:29]
	v_mov_b64_e32 v[28:29], v[18:19]
	v_dual_mov_b32 v14, v49 :: v_dual_mov_b32 v49, v31
; %bb.38:
	s_or_b32 exec_lo, exec_lo, s9
	v_add_f16_e32 v15, 0, v39
	v_add_f16_e32 v18, 0, v38
	s_mov_b32 s9, exec_lo
	v_mov_b32_e32 v48, v38
	s_delay_alu instid0(VALU_DEP_3) | instskip(NEXT) | instid1(VALU_DEP_1)
	v_cmp_lt_i16_e64 s7, -1, v15
	v_cndmask_b32_e64 v19, -1, 0xffff8000, s7
	v_cmp_lt_i16_e64 s7, -1, v18
	s_delay_alu instid0(VALU_DEP_2) | instskip(NEXT) | instid1(VALU_DEP_2)
	v_xor_b32_e32 v15, v19, v15
	v_cndmask_b32_e64 v30, -1, 0xffff8000, s7
	s_delay_alu instid0(VALU_DEP_1) | instskip(SKIP_1) | instid1(VALU_DEP_2)
	v_xor_b32_e32 v30, v30, v18
	v_mov_b64_e32 v[18:19], v[20:21]
	v_cmpx_gt_u16_e64 v15, v30
; %bb.39:
	v_mov_b64_e32 v[18:19], v[16:17]
	v_mov_b64_e32 v[16:17], v[20:21]
	v_dual_mov_b32 v48, v39 :: v_dual_mov_b32 v39, v38
; %bb.40:
	s_or_b32 exec_lo, exec_lo, s9
	v_add_f16_e32 v15, 0, v5
	v_add_f16_e32 v20, 0, v36
	s_mov_b32 s9, exec_lo
	v_mov_b32_e32 v33, v5
	s_delay_alu instid0(VALU_DEP_3) | instskip(NEXT) | instid1(VALU_DEP_1)
	v_cmp_lt_i16_e64 s7, -1, v15
	v_cndmask_b32_e64 v21, -1, 0xffff8000, s7
	v_cmp_lt_i16_e64 s7, -1, v20
	s_delay_alu instid0(VALU_DEP_2) | instskip(NEXT) | instid1(VALU_DEP_2)
	v_xor_b32_e32 v15, v21, v15
	v_cndmask_b32_e64 v30, -1, 0xffff8000, s7
	s_delay_alu instid0(VALU_DEP_1) | instskip(SKIP_1) | instid1(VALU_DEP_2)
	v_xor_b32_e32 v20, v30, v20
	v_mov_b64_e32 v[30:31], v[26:27]
	v_cmpx_gt_u16_e64 v15, v20
; %bb.41:
	v_mov_b64_e32 v[30:31], v[10:11]
	v_mov_b64_e32 v[10:11], v[26:27]
	v_dual_mov_b32 v33, v36 :: v_dual_mov_b32 v36, v5
; %bb.42:
	s_or_b32 exec_lo, exec_lo, s9
	v_add_f16_e32 v5, 0, v14
	v_add_f16_e32 v15, 0, v32
	v_mov_b64_e32 v[26:27], v[28:29]
	s_mov_b32 s9, exec_lo
	v_mov_b32_e32 v51, v14
	v_cmp_lt_i16_e64 s7, -1, v5
	s_delay_alu instid0(VALU_DEP_1) | instskip(SKIP_1) | instid1(VALU_DEP_2)
	v_cndmask_b32_e64 v20, -1, 0xffff8000, s7
	v_cmp_lt_i16_e64 s7, -1, v15
	v_xor_b32_e32 v5, v20, v5
	s_delay_alu instid0(VALU_DEP_2) | instskip(NEXT) | instid1(VALU_DEP_1)
	v_cndmask_b32_e64 v21, -1, 0xffff8000, s7
	v_xor_b32_e32 v15, v21, v15
	s_delay_alu instid0(VALU_DEP_1)
	v_cmpx_gt_u16_e64 v5, v15
; %bb.43:
	v_mov_b64_e32 v[26:27], v[22:23]
	v_mov_b64_e32 v[22:23], v[28:29]
	v_dual_mov_b32 v51, v32 :: v_dual_mov_b32 v32, v14
; %bb.44:
	s_or_b32 exec_lo, exec_lo, s9
	v_add_f16_e32 v5, 0, v48
	v_add_f16_e32 v14, 0, v49
	s_mov_b32 s9, exec_lo
	v_mov_b32_e32 v50, v49
	s_delay_alu instid0(VALU_DEP_3) | instskip(NEXT) | instid1(VALU_DEP_1)
	v_cmp_lt_i16_e64 s7, -1, v5
	v_cndmask_b32_e64 v15, -1, 0xffff8000, s7
	v_cmp_lt_i16_e64 s7, -1, v14
	s_delay_alu instid0(VALU_DEP_2) | instskip(NEXT) | instid1(VALU_DEP_2)
	v_xor_b32_e32 v5, v15, v5
	v_cndmask_b32_e64 v20, -1, 0xffff8000, s7
	s_delay_alu instid0(VALU_DEP_1) | instskip(SKIP_1) | instid1(VALU_DEP_2)
	v_xor_b32_e32 v14, v20, v14
	v_mov_b64_e32 v[20:21], v[16:17]
	v_cmpx_gt_u16_e64 v5, v14
; %bb.45:
	v_mov_b64_e32 v[20:21], v[24:25]
	v_mov_b64_e32 v[24:25], v[16:17]
	v_dual_mov_b32 v50, v48 :: v_dual_mov_b32 v48, v49
; %bb.46:
	s_or_b32 exec_lo, exec_lo, s9
	v_add_f16_e32 v5, 0, v37
	v_add_f16_e32 v14, 0, v39
	s_mov_b32 s9, exec_lo
	v_mov_b32_e32 v38, v39
	s_delay_alu instid0(VALU_DEP_3) | instskip(NEXT) | instid1(VALU_DEP_1)
	v_cmp_lt_i16_e64 s7, -1, v5
	v_cndmask_b32_e64 v15, -1, 0xffff8000, s7
	v_cmp_lt_i16_e64 s7, -1, v14
	s_delay_alu instid0(VALU_DEP_2) | instskip(NEXT) | instid1(VALU_DEP_2)
	v_xor_b32_e32 v5, v15, v5
	v_cndmask_b32_e64 v16, -1, 0xffff8000, s7
	s_delay_alu instid0(VALU_DEP_1) | instskip(SKIP_1) | instid1(VALU_DEP_2)
	v_xor_b32_e32 v16, v16, v14
	v_mov_b64_e32 v[14:15], v[12:13]
	v_cmpx_gt_u16_e64 v5, v16
; %bb.47:
	v_mov_b64_e32 v[14:15], v[18:19]
	v_mov_b64_e32 v[18:19], v[12:13]
	v_dual_mov_b32 v38, v37 :: v_dual_mov_b32 v37, v39
; %bb.48:
	s_or_b32 exec_lo, exec_lo, s9
	v_add_f16_e32 v5, 0, v32
	v_add_f16_e32 v12, 0, v33
	v_mov_b64_e32 v[28:29], v[22:23]
	s_mov_b32 s9, exec_lo
	s_delay_alu instid0(VALU_DEP_3) | instskip(NEXT) | instid1(VALU_DEP_1)
	v_cmp_lt_i16_e64 s7, -1, v5
	v_cndmask_b32_e64 v13, -1, 0xffff8000, s7
	v_cmp_lt_i16_e64 s7, -1, v12
	s_delay_alu instid0(VALU_DEP_2) | instskip(NEXT) | instid1(VALU_DEP_2)
	v_dual_mov_b32 v5, v32 :: v_dual_bitop2_b32 v13, v13, v5 bitop3:0x14
	v_cndmask_b32_e64 v16, -1, 0xffff8000, s7
	s_delay_alu instid0(VALU_DEP_1) | instskip(NEXT) | instid1(VALU_DEP_1)
	v_xor_b32_e32 v12, v16, v12
	v_cmpx_gt_u16_e64 v13, v12
; %bb.49:
	v_mov_b64_e32 v[28:29], v[30:31]
	v_mov_b64_e32 v[30:31], v[22:23]
	v_dual_mov_b32 v5, v33 :: v_dual_mov_b32 v33, v32
; %bb.50:
	s_or_b32 exec_lo, exec_lo, s9
	v_add_f16_e32 v12, 0, v50
	v_add_f16_e32 v13, 0, v51
	s_mov_b32 s9, exec_lo
	v_mov_b32_e32 v22, v51
	s_delay_alu instid0(VALU_DEP_3) | instskip(NEXT) | instid1(VALU_DEP_1)
	v_cmp_lt_i16_e64 s7, -1, v12
	v_cndmask_b32_e64 v16, -1, 0xffff8000, s7
	v_cmp_lt_i16_e64 s7, -1, v13
	s_delay_alu instid0(VALU_DEP_2) | instskip(NEXT) | instid1(VALU_DEP_2)
	v_xor_b32_e32 v12, v16, v12
	v_cndmask_b32_e64 v17, -1, 0xffff8000, s7
	s_delay_alu instid0(VALU_DEP_1) | instskip(SKIP_1) | instid1(VALU_DEP_2)
	v_xor_b32_e32 v13, v17, v13
	v_mov_b64_e32 v[16:17], v[24:25]
	v_cmpx_gt_u16_e64 v12, v13
; %bb.51:
	v_mov_b64_e32 v[16:17], v[26:27]
	v_mov_b64_e32 v[26:27], v[24:25]
	v_dual_mov_b32 v22, v50 :: v_dual_mov_b32 v50, v51
; %bb.52:
	s_or_b32 exec_lo, exec_lo, s9
	v_add_f16_e32 v12, 0, v38
	v_add_f16_e32 v13, 0, v48
	s_mov_b32 s9, exec_lo
	v_mov_b32_e32 v39, v48
	s_delay_alu instid0(VALU_DEP_3) | instskip(NEXT) | instid1(VALU_DEP_1)
	v_cmp_lt_i16_e64 s7, -1, v12
	v_cndmask_b32_e64 v23, -1, 0xffff8000, s7
	v_cmp_lt_i16_e64 s7, -1, v13
	s_delay_alu instid0(VALU_DEP_2) | instskip(NEXT) | instid1(VALU_DEP_2)
	v_xor_b32_e32 v23, v23, v12
	v_cndmask_b32_e64 v24, -1, 0xffff8000, s7
	s_delay_alu instid0(VALU_DEP_1) | instskip(SKIP_1) | instid1(VALU_DEP_2)
	v_xor_b32_e32 v24, v24, v13
	v_mov_b64_e32 v[12:13], v[18:19]
	;; [unrolled: 21-line block ×6, first 2 shown]
	v_cmpx_gt_u16_e64 v20, v21
; %bb.61:
	v_mov_b64_e32 v[18:19], v[12:13]
	v_mov_b64_e32 v[12:13], v[14:15]
	v_dual_mov_b32 v50, v37 :: v_dual_mov_b32 v37, v38
; %bb.62:
	s_or_b32 exec_lo, exec_lo, s9
	v_add_f16_e32 v14, 0, v5
	v_add_f16_e32 v15, 0, v48
	v_mov_b64_e32 v[32:33], v[28:29]
	s_mov_b32 s9, exec_lo
	v_mov_b32_e32 v49, v5
	v_cmp_lt_i16_e64 s7, -1, v14
	s_delay_alu instid0(VALU_DEP_1) | instskip(SKIP_1) | instid1(VALU_DEP_2)
	v_cndmask_b32_e64 v20, -1, 0xffff8000, s7
	v_cmp_lt_i16_e64 s7, -1, v15
	v_xor_b32_e32 v14, v20, v14
	s_delay_alu instid0(VALU_DEP_2) | instskip(NEXT) | instid1(VALU_DEP_1)
	v_cndmask_b32_e64 v21, -1, 0xffff8000, s7
	v_xor_b32_e32 v15, v21, v15
	s_delay_alu instid0(VALU_DEP_1)
	v_cmpx_gt_u16_e64 v14, v15
; %bb.63:
	v_mov_b64_e32 v[32:33], v[24:25]
	v_mov_b64_e32 v[24:25], v[28:29]
	v_dual_mov_b32 v49, v48 :: v_dual_mov_b32 v48, v5
; %bb.64:
	s_or_b32 exec_lo, exec_lo, s9
	v_add_f16_e32 v5, 0, v51
	v_add_f16_e32 v14, 0, v52
	v_mov_b64_e32 v[26:27], v[16:17]
	s_mov_b32 s9, exec_lo
	s_delay_alu instid0(VALU_DEP_3) | instskip(NEXT) | instid1(VALU_DEP_1)
	v_cmp_lt_i16_e64 s7, -1, v5
	v_cndmask_b32_e64 v15, -1, 0xffff8000, s7
	v_cmp_lt_i16_e64 s7, -1, v14
	s_delay_alu instid0(VALU_DEP_2) | instskip(NEXT) | instid1(VALU_DEP_2)
	v_xor_b32_e32 v5, v15, v5
	v_cndmask_b32_e64 v20, -1, 0xffff8000, s7
	s_delay_alu instid0(VALU_DEP_1) | instskip(SKIP_1) | instid1(VALU_DEP_2)
	v_xor_b32_e32 v15, v20, v14
	v_mov_b32_e32 v14, v52
	v_cmpx_gt_u16_e64 v5, v15
; %bb.65:
	v_mov_b64_e32 v[26:27], v[30:31]
	v_mov_b64_e32 v[30:31], v[16:17]
	v_dual_mov_b32 v14, v51 :: v_dual_mov_b32 v51, v52
; %bb.66:
	s_or_b32 exec_lo, exec_lo, s9
	v_add_f16_e32 v5, 0, v50
	v_add_f16_e32 v15, 0, v39
	v_mov_b64_e32 v[20:21], v[12:13]
	s_mov_b32 s9, exec_lo
	v_mov_b32_e32 v38, v39
	v_cmp_lt_i16_e64 s7, -1, v5
	s_delay_alu instid0(VALU_DEP_1) | instskip(SKIP_1) | instid1(VALU_DEP_2)
	v_cndmask_b32_e64 v16, -1, 0xffff8000, s7
	v_cmp_lt_i16_e64 s7, -1, v15
	v_xor_b32_e32 v5, v16, v5
	s_delay_alu instid0(VALU_DEP_2) | instskip(NEXT) | instid1(VALU_DEP_1)
	v_cndmask_b32_e64 v17, -1, 0xffff8000, s7
	v_xor_b32_e32 v15, v17, v15
	s_delay_alu instid0(VALU_DEP_1)
	v_cmpx_gt_u16_e64 v5, v15
; %bb.67:
	v_mov_b64_e32 v[20:21], v[22:23]
	v_mov_b64_e32 v[22:23], v[12:13]
	v_dual_mov_b32 v38, v50 :: v_dual_mov_b32 v50, v39
; %bb.68:
	s_or_b32 exec_lo, exec_lo, s9
	v_add_f16_e32 v5, 0, v48
	v_add_f16_e32 v12, 0, v36
	v_mov_b32_e32 v39, v48
	s_delay_alu instid0(VALU_DEP_3) | instskip(NEXT) | instid1(VALU_DEP_1)
	v_cmp_lt_i16_e64 s7, -1, v5
	v_cndmask_b32_e64 v13, -1, 0xffff8000, s7
	s_delay_alu instid0(VALU_DEP_4) | instskip(NEXT) | instid1(VALU_DEP_2)
	v_cmp_lt_i16_e64 s7, -1, v12
	v_xor_b32_e32 v5, v13, v5
	s_delay_alu instid0(VALU_DEP_2) | instskip(NEXT) | instid1(VALU_DEP_1)
	v_cndmask_b32_e64 v15, -1, 0xffff8000, s7
	v_xor_b32_e32 v12, v15, v12
	s_delay_alu instid0(VALU_DEP_1)
	v_cmp_gt_u16_e64 s7, v5, v12
	v_mov_b64_e32 v[12:13], v[24:25]
	s_and_saveexec_b32 s9, s7
; %bb.69:
	v_mov_b64_e32 v[12:13], v[10:11]
	v_mov_b64_e32 v[10:11], v[24:25]
	v_dual_mov_b32 v39, v36 :: v_dual_mov_b32 v36, v48
; %bb.70:
	s_or_b32 exec_lo, exec_lo, s9
	v_add_f16_e32 v5, 0, v14
	v_add_f16_e32 v15, 0, v49
	s_delay_alu instid0(VALU_DEP_2) | instskip(NEXT) | instid1(VALU_DEP_1)
	v_cmp_lt_i16_e64 s7, -1, v5
	v_cndmask_b32_e64 v16, -1, 0xffff8000, s7
	s_delay_alu instid0(VALU_DEP_3) | instskip(NEXT) | instid1(VALU_DEP_2)
	v_cmp_lt_i16_e64 s7, -1, v15
	v_dual_mov_b32 v5, v14 :: v_dual_bitop2_b32 v16, v16, v5 bitop3:0x14
	s_delay_alu instid0(VALU_DEP_2) | instskip(NEXT) | instid1(VALU_DEP_1)
	v_cndmask_b32_e64 v17, -1, 0xffff8000, s7
	v_xor_b32_e32 v15, v17, v15
	s_delay_alu instid0(VALU_DEP_1)
	v_cmp_gt_u16_e64 s7, v16, v15
	v_mov_b64_e32 v[16:17], v[30:31]
	s_and_saveexec_b32 s9, s7
; %bb.71:
	v_mov_b64_e32 v[16:17], v[32:33]
	v_mov_b64_e32 v[32:33], v[30:31]
	v_dual_mov_b32 v5, v49 :: v_dual_mov_b32 v49, v14
; %bb.72:
	s_or_b32 exec_lo, exec_lo, s9
	v_add_f16_e32 v14, 0, v38
	v_add_f16_e32 v15, 0, v51
	v_mov_b64_e32 v[28:29], v[22:23]
	s_mov_b32 s9, exec_lo
	v_mov_b32_e32 v48, v51
	v_cmp_lt_i16_e64 s7, -1, v14
	s_delay_alu instid0(VALU_DEP_1) | instskip(SKIP_1) | instid1(VALU_DEP_2)
	v_cndmask_b32_e64 v24, -1, 0xffff8000, s7
	v_cmp_lt_i16_e64 s7, -1, v15
	v_xor_b32_e32 v14, v24, v14
	s_delay_alu instid0(VALU_DEP_2) | instskip(NEXT) | instid1(VALU_DEP_1)
	v_cndmask_b32_e64 v25, -1, 0xffff8000, s7
	v_xor_b32_e32 v15, v25, v15
	s_delay_alu instid0(VALU_DEP_1)
	v_cmpx_gt_u16_e64 v14, v15
; %bb.73:
	v_mov_b64_e32 v[28:29], v[26:27]
	v_mov_b64_e32 v[26:27], v[22:23]
	v_dual_mov_b32 v48, v38 :: v_dual_mov_b32 v38, v51
; %bb.74:
	s_or_b32 exec_lo, exec_lo, s9
	v_add_f16_e32 v14, 0, v37
	v_add_f16_e32 v15, 0, v50
	v_mov_b64_e32 v[24:25], v[18:19]
	s_mov_b32 s9, exec_lo
	v_mov_b32_e32 v31, v50
	v_cmp_lt_i16_e64 s7, -1, v14
	s_delay_alu instid0(VALU_DEP_1) | instskip(SKIP_1) | instid1(VALU_DEP_2)
	v_cndmask_b32_e64 v22, -1, 0xffff8000, s7
	v_cmp_lt_i16_e64 s7, -1, v15
	v_xor_b32_e32 v14, v22, v14
	s_delay_alu instid0(VALU_DEP_2) | instskip(NEXT) | instid1(VALU_DEP_1)
	v_cndmask_b32_e64 v23, -1, 0xffff8000, s7
	v_xor_b32_e32 v15, v23, v15
	s_delay_alu instid0(VALU_DEP_1)
	v_cmpx_gt_u16_e64 v14, v15
; %bb.75:
	v_mov_b64_e32 v[24:25], v[20:21]
	v_mov_b64_e32 v[20:21], v[18:19]
	v_dual_mov_b32 v31, v37 :: v_dual_mov_b32 v37, v50
; %bb.76:
	s_or_b32 exec_lo, exec_lo, s9
	v_add_f16_e32 v14, 0, v49
	v_add_f16_e32 v15, 0, v39
	v_mov_b32_e32 v30, v49
	s_delay_alu instid0(VALU_DEP_3) | instskip(NEXT) | instid1(VALU_DEP_1)
	v_cmp_lt_i16_e64 s7, -1, v14
	v_cndmask_b32_e64 v18, -1, 0xffff8000, s7
	s_delay_alu instid0(VALU_DEP_4) | instskip(NEXT) | instid1(VALU_DEP_2)
	v_cmp_lt_i16_e64 s7, -1, v15
	v_xor_b32_e32 v14, v18, v14
	s_delay_alu instid0(VALU_DEP_2) | instskip(NEXT) | instid1(VALU_DEP_1)
	v_cndmask_b32_e64 v19, -1, 0xffff8000, s7
	v_xor_b32_e32 v15, v19, v15
	s_delay_alu instid0(VALU_DEP_1)
	v_cmp_gt_u16_e64 s7, v14, v15
	v_mov_b64_e32 v[14:15], v[32:33]
	s_and_saveexec_b32 s9, s7
; %bb.77:
	v_mov_b64_e32 v[14:15], v[12:13]
	v_mov_b64_e32 v[12:13], v[32:33]
	v_dual_mov_b32 v30, v39 :: v_dual_mov_b32 v39, v49
; %bb.78:
	s_or_b32 exec_lo, exec_lo, s9
	v_add_f16_e32 v18, 0, v48
	v_add_f16_e32 v19, 0, v5
	v_mov_b32_e32 v33, v5
	s_delay_alu instid0(VALU_DEP_3) | instskip(NEXT) | instid1(VALU_DEP_1)
	v_cmp_lt_i16_e64 s7, -1, v18
	v_cndmask_b32_e64 v22, -1, 0xffff8000, s7
	s_delay_alu instid0(VALU_DEP_4) | instskip(NEXT) | instid1(VALU_DEP_2)
	v_cmp_lt_i16_e64 s7, -1, v19
	v_xor_b32_e32 v18, v22, v18
	s_delay_alu instid0(VALU_DEP_2) | instskip(NEXT) | instid1(VALU_DEP_1)
	v_cndmask_b32_e64 v23, -1, 0xffff8000, s7
	v_xor_b32_e32 v19, v23, v19
	s_delay_alu instid0(VALU_DEP_1)
	v_cmp_gt_u16_e64 s7, v18, v19
	v_mov_b64_e32 v[18:19], v[26:27]
	s_and_saveexec_b32 s9, s7
	;; [unrolled: 22-line block ×3, first 2 shown]
; %bb.81:
	v_mov_b64_e32 v[22:23], v[20:21]
	v_mov_b64_e32 v[20:21], v[28:29]
	v_dual_mov_b32 v32, v38 :: v_dual_mov_b32 v38, v31
; %bb.82:
	s_or_b32 exec_lo, exec_lo, s9
.LBB1739_83:
	s_delay_alu instid0(SALU_CYCLE_1) | instskip(SKIP_4) | instid1(VALU_DEP_3)
	s_or_b32 exec_lo, exec_lo, s8
	v_and_b32_e32 v1, 0xffffff00, v1
	v_or_b32_e32 v26, 8, v35
	v_and_b32_e32 v51, 0xf0, v35
	s_mov_b32 s8, exec_lo
	v_sub_nc_u32_e64 v28, 0x800, v1 clamp
	v_lshlrev_b32_e32 v5, 1, v1
	s_delay_alu instid0(VALU_DEP_2) | instskip(NEXT) | instid1(VALU_DEP_2)
	v_min_u32_e32 v29, v28, v26
	v_mad_u32 v1, v1, 6, v5
	v_lshl_or_b32 v26, v35, 1, v5
	s_delay_alu instid0(VALU_DEP_3)
	v_add_min_u32_e64 v31, v29, 8, v28
	v_and_b32_e32 v27, 8, v35
	v_sub_nc_u32_e32 v49, v29, v51
	s_wait_loadcnt_dscnt 0x0
	ds_store_b16 v26, v36
	v_sub_nc_u32_e32 v50, v31, v29
	v_min_u32_e32 v52, v28, v27
	v_lshl_add_u32 v27, v35, 3, v1
	ds_store_b64 v27, v[10:11] offset:4096
	ds_store_b16 v26, v39 offset:2
	ds_store_b64 v27, v[12:13] offset:4104
	ds_store_b16 v26, v30 offset:4
	;; [unrolled: 2-line block ×6, first 2 shown]
	ds_store_b64 v27, v[20:21] offset:4144
	v_min_u32_e32 v53, v52, v49
	v_sub_nc_u32_e64 v49, v52, v50 clamp
	v_lshl_or_b32 v50, v51, 1, v5
	ds_store_b16 v26, v37 offset:14
	ds_store_b64 v27, v[24:25] offset:4152
	; wave barrier
	v_cmpx_lt_u32_e64 v49, v53
	s_cbranch_execz .LBB1739_87
; %bb.84:
	v_dual_lshlrev_b32 v54, 1, v29 :: v_dual_lshlrev_b32 v55, 1, v52
	s_mov_b32 s9, 0
	s_delay_alu instid0(VALU_DEP_1)
	v_add3_u32 v54, v5, v54, v55
.LBB1739_85:                            ; =>This Inner Loop Header: Depth=1
	v_add_nc_u32_e32 v55, v53, v49
	s_delay_alu instid0(VALU_DEP_1) | instskip(NEXT) | instid1(VALU_DEP_1)
	v_dual_lshrrev_b32 v64, 1, v55 :: v_dual_bitop2_b32 v55, -2, v55 bitop3:0x40
	v_not_b32_e32 v65, v64
	s_delay_alu instid0(VALU_DEP_2) | instskip(NEXT) | instid1(VALU_DEP_2)
	v_add_nc_u32_e32 v55, v50, v55
	v_lshl_add_u32 v65, v65, 1, v54
	ds_load_u16 v55, v55
	ds_load_u16 v65, v65
	s_wait_dscnt 0x1
	v_add_f16_e32 v55, 0, v55
	s_wait_dscnt 0x0
	v_add_f16_e32 v65, 0, v65
	s_delay_alu instid0(VALU_DEP_2) | instskip(NEXT) | instid1(VALU_DEP_1)
	v_cmp_lt_i16_e64 s7, -1, v55
	v_cndmask_b32_e64 v66, -1, 0xffff8000, s7
	s_delay_alu instid0(VALU_DEP_3) | instskip(NEXT) | instid1(VALU_DEP_2)
	v_cmp_lt_i16_e64 s7, -1, v65
	v_xor_b32_e32 v55, v66, v55
	s_delay_alu instid0(VALU_DEP_2) | instskip(NEXT) | instid1(VALU_DEP_1)
	v_cndmask_b32_e64 v67, -1, 0xffff8000, s7
	v_dual_add_nc_u32 v66, 1, v64 :: v_dual_bitop2_b32 v65, v67, v65 bitop3:0x14
	s_delay_alu instid0(VALU_DEP_1) | instskip(NEXT) | instid1(VALU_DEP_1)
	v_cmp_gt_u16_e64 s7, v65, v55
	v_dual_cndmask_b32 v53, v53, v64, s7 :: v_dual_cndmask_b32 v49, v66, v49, s7
	s_delay_alu instid0(VALU_DEP_1) | instskip(SKIP_1) | instid1(SALU_CYCLE_1)
	v_cmp_ge_u32_e64 s7, v49, v53
	s_or_b32 s9, s7, s9
	s_and_not1_b32 exec_lo, exec_lo, s9
	s_cbranch_execnz .LBB1739_85
; %bb.86:
	s_or_b32 exec_lo, exec_lo, s9
.LBB1739_87:
	s_delay_alu instid0(SALU_CYCLE_1) | instskip(SKIP_1) | instid1(VALU_DEP_1)
	s_or_b32 exec_lo, exec_lo, s8
	v_add_nc_u32_e32 v52, v29, v52
	v_dual_add_nc_u32 v51, v49, v51 :: v_dual_sub_nc_u32 v52, v52, v49
	s_delay_alu instid0(VALU_DEP_1) | instskip(NEXT) | instid1(VALU_DEP_2)
	v_cmp_le_u32_e64 s7, v51, v29
	v_cmp_le_u32_e64 s8, v52, v31
	s_or_b32 s7, s7, s8
	s_delay_alu instid0(SALU_CYCLE_1)
	s_and_saveexec_b32 s9, s7
	s_cbranch_execz .LBB1739_123
; %bb.88:
	v_cmp_ge_u32_e64 s7, v51, v29
	s_mov_b32 s10, exec_lo
                                        ; implicit-def: $vgpr36
	v_cmpx_lt_u32_e64 v51, v29
; %bb.89:
	v_lshl_add_u32 v10, v49, 1, v50
	ds_load_u16 v36, v10
; %bb.90:
	s_or_b32 exec_lo, exec_lo, s10
	v_cmp_ge_u32_e64 s10, v52, v31
	s_mov_b32 s11, exec_lo
                                        ; implicit-def: $vgpr37
	v_cmpx_lt_u32_e64 v52, v31
; %bb.91:
	v_lshl_add_u32 v10, v52, 1, v5
	ds_load_u16 v37, v10
; %bb.92:
	s_or_b32 exec_lo, exec_lo, s11
	s_nor_b32 s7, s7, s10
	s_delay_alu instid0(SALU_CYCLE_1)
	s_and_saveexec_b32 s8, s7
	s_cbranch_execz .LBB1739_94
; %bb.93:
	s_wait_dscnt 0x0
	v_add_f16_e32 v10, 0, v37
	v_add_f16_e32 v11, 0, v36
	s_and_not1_b32 s10, s10, exec_lo
	s_delay_alu instid0(VALU_DEP_2) | instskip(NEXT) | instid1(VALU_DEP_1)
	v_cmp_lt_i16_e64 s7, -1, v10
	v_cndmask_b32_e64 v12, -1, 0xffff8000, s7
	s_delay_alu instid0(VALU_DEP_3) | instskip(NEXT) | instid1(VALU_DEP_2)
	v_cmp_lt_i16_e64 s7, -1, v11
	v_xor_b32_e32 v10, v12, v10
	s_delay_alu instid0(VALU_DEP_2) | instskip(NEXT) | instid1(VALU_DEP_1)
	v_cndmask_b32_e64 v13, -1, 0xffff8000, s7
	v_xor_b32_e32 v11, v13, v11
	s_delay_alu instid0(VALU_DEP_1) | instskip(SKIP_1) | instid1(SALU_CYCLE_1)
	v_cmp_le_u16_e64 s7, v10, v11
	s_and_b32 s7, s7, exec_lo
	s_or_b32 s10, s10, s7
.LBB1739_94:
	s_or_b32 exec_lo, exec_lo, s8
	v_dual_cndmask_b32 v10, v52, v51, s10 :: v_dual_cndmask_b32 v11, v31, v29, s10
	s_mov_b32 s11, -1
	s_mov_b32 s8, -1
	s_mov_b32 s12, exec_lo
	s_delay_alu instid0(VALU_DEP_1) | instskip(SKIP_1) | instid1(VALU_DEP_2)
	v_add_nc_u32_e32 v12, 1, v10
	v_lshl_add_u32 v10, v10, 3, v1
	v_add_min_u32_e64 v11, v11, -1, v12
	s_delay_alu instid0(VALU_DEP_1)
	v_lshl_add_u32 v11, v11, 1, v5
	ds_load_u16 v13, v11
	ds_load_b64 v[10:11], v10 offset:4096
	s_wait_dscnt 0x1
	v_dual_cndmask_b32 v39, v13, v37, s10 :: v_dual_cndmask_b32 v14, v12, v52, s10
	v_dual_cndmask_b32 v15, v51, v12, s10 :: v_dual_cndmask_b32 v49, v36, v13, s10
	s_delay_alu instid0(VALU_DEP_2)
	v_cmpx_lt_u32_e64 v14, v31
	s_cbranch_execz .LBB1739_98
; %bb.95:
	s_mov_b32 s13, 0
	s_mov_b32 s8, exec_lo
	v_cmpx_lt_u32_e64 v15, v29
	s_cbranch_execz .LBB1739_97
; %bb.96:
	v_add_f16_e32 v12, 0, v39
	v_add_f16_e32 v13, 0, v49
	s_delay_alu instid0(VALU_DEP_2) | instskip(NEXT) | instid1(VALU_DEP_1)
	v_cmp_lt_i16_e64 s7, -1, v12
	v_cndmask_b32_e64 v16, -1, 0xffff8000, s7
	s_delay_alu instid0(VALU_DEP_3) | instskip(NEXT) | instid1(VALU_DEP_2)
	v_cmp_lt_i16_e64 s7, -1, v13
	v_xor_b32_e32 v12, v16, v12
	s_delay_alu instid0(VALU_DEP_2) | instskip(NEXT) | instid1(VALU_DEP_1)
	v_cndmask_b32_e64 v17, -1, 0xffff8000, s7
	v_xor_b32_e32 v13, v17, v13
	s_delay_alu instid0(VALU_DEP_1)
	v_cmp_le_u16_e64 s7, v12, v13
	s_and_b32 s13, s7, exec_lo
.LBB1739_97:
	s_or_b32 exec_lo, exec_lo, s8
	s_delay_alu instid0(SALU_CYCLE_1)
	s_or_not1_b32 s8, s13, exec_lo
.LBB1739_98:
	s_or_b32 exec_lo, exec_lo, s12
	s_delay_alu instid0(VALU_DEP_2) | instskip(SKIP_1) | instid1(VALU_DEP_1)
	v_dual_cndmask_b32 v12, v14, v15, s8 :: v_dual_cndmask_b32 v13, v31, v29, s8
	s_mov_b32 s12, exec_lo
	v_add_nc_u32_e32 v17, 1, v12
	v_lshl_add_u32 v12, v12, 3, v1
	s_delay_alu instid0(VALU_DEP_2) | instskip(NEXT) | instid1(VALU_DEP_1)
	v_add_min_u32_e64 v13, v13, -1, v17
	v_lshl_add_u32 v13, v13, 1, v5
	ds_load_u16 v18, v13
	ds_load_b64 v[12:13], v12 offset:4096
	s_wait_dscnt 0x1
	v_dual_cndmask_b32 v30, v18, v39, s8 :: v_dual_cndmask_b32 v16, v17, v14, s8
	v_dual_cndmask_b32 v17, v15, v17, s8 :: v_dual_cndmask_b32 v50, v49, v18, s8
	s_delay_alu instid0(VALU_DEP_2)
	v_cmpx_lt_u32_e64 v16, v31
	s_cbranch_execz .LBB1739_102
; %bb.99:
	s_mov_b32 s13, 0
	s_mov_b32 s11, exec_lo
	v_cmpx_lt_u32_e64 v17, v29
	s_cbranch_execz .LBB1739_101
; %bb.100:
	v_add_f16_e32 v14, 0, v30
	v_add_f16_e32 v15, 0, v50
	s_delay_alu instid0(VALU_DEP_2) | instskip(NEXT) | instid1(VALU_DEP_1)
	v_cmp_lt_i16_e64 s7, -1, v14
	v_cndmask_b32_e64 v18, -1, 0xffff8000, s7
	s_delay_alu instid0(VALU_DEP_3) | instskip(NEXT) | instid1(VALU_DEP_2)
	v_cmp_lt_i16_e64 s7, -1, v15
	v_xor_b32_e32 v14, v18, v14
	s_delay_alu instid0(VALU_DEP_2) | instskip(NEXT) | instid1(VALU_DEP_1)
	v_cndmask_b32_e64 v19, -1, 0xffff8000, s7
	v_xor_b32_e32 v15, v19, v15
	s_delay_alu instid0(VALU_DEP_1)
	v_cmp_le_u16_e64 s7, v14, v15
	s_and_b32 s13, s7, exec_lo
.LBB1739_101:
	s_or_b32 exec_lo, exec_lo, s11
	s_delay_alu instid0(SALU_CYCLE_1)
	s_or_not1_b32 s11, s13, exec_lo
.LBB1739_102:
	s_or_b32 exec_lo, exec_lo, s12
	s_delay_alu instid0(VALU_DEP_2)
	v_cndmask_b32_e64 v14, v16, v17, s11
	v_cndmask_b32_e64 v15, v31, v29, s11
	s_mov_b32 s13, -1
	s_mov_b32 s12, -1
	s_mov_b32 s14, exec_lo
	v_add_nc_u32_e32 v19, 1, v14
	s_delay_alu instid0(VALU_DEP_1) | instskip(SKIP_2) | instid1(VALU_DEP_3)
	v_add_min_u32_e64 v15, v15, -1, v19
	v_cndmask_b32_e64 v18, v19, v16, s11
	v_lshl_add_u32 v14, v14, 3, v1
	v_lshl_add_u32 v15, v15, 1, v5
	ds_load_u16 v20, v15
	ds_load_b64 v[14:15], v14 offset:4096
	s_wait_dscnt 0x1
	v_dual_cndmask_b32 v19, v17, v19, s11 :: v_dual_cndmask_b32 v33, v20, v30, s11
	v_cndmask_b32_e64 v51, v50, v20, s11
	v_cmpx_lt_u32_e64 v18, v31
	s_cbranch_execz .LBB1739_106
; %bb.103:
	s_mov_b32 s15, 0
	s_mov_b32 s12, exec_lo
	v_cmpx_lt_u32_e64 v19, v29
	s_cbranch_execz .LBB1739_105
; %bb.104:
	v_add_f16_e32 v16, 0, v33
	v_add_f16_e32 v17, 0, v51
	s_delay_alu instid0(VALU_DEP_2) | instskip(NEXT) | instid1(VALU_DEP_1)
	v_cmp_lt_i16_e64 s7, -1, v16
	v_cndmask_b32_e64 v20, -1, 0xffff8000, s7
	s_delay_alu instid0(VALU_DEP_3) | instskip(NEXT) | instid1(VALU_DEP_2)
	v_cmp_lt_i16_e64 s7, -1, v17
	v_xor_b32_e32 v16, v20, v16
	s_delay_alu instid0(VALU_DEP_2) | instskip(NEXT) | instid1(VALU_DEP_1)
	v_cndmask_b32_e64 v21, -1, 0xffff8000, s7
	v_xor_b32_e32 v17, v21, v17
	s_delay_alu instid0(VALU_DEP_1)
	v_cmp_le_u16_e64 s7, v16, v17
	s_and_b32 s15, s7, exec_lo
.LBB1739_105:
	s_or_b32 exec_lo, exec_lo, s12
	s_delay_alu instid0(SALU_CYCLE_1)
	s_or_not1_b32 s12, s15, exec_lo
.LBB1739_106:
	s_or_b32 exec_lo, exec_lo, s14
	v_dual_cndmask_b32 v16, v18, v19, s12 :: v_dual_cndmask_b32 v17, v31, v29, s12
	s_mov_b32 s14, exec_lo
	s_delay_alu instid0(VALU_DEP_1) | instskip(SKIP_1) | instid1(VALU_DEP_2)
	v_add_nc_u32_e32 v21, 1, v16
	v_lshl_add_u32 v16, v16, 3, v1
	v_add_min_u32_e64 v17, v17, -1, v21
	s_delay_alu instid0(VALU_DEP_1)
	v_lshl_add_u32 v17, v17, 1, v5
	ds_load_u16 v22, v17
	ds_load_b64 v[16:17], v16 offset:4096
	s_wait_dscnt 0x1
	v_dual_cndmask_b32 v48, v22, v33, s12 :: v_dual_cndmask_b32 v20, v21, v18, s12
	v_cndmask_b32_e64 v21, v19, v21, s12
	v_cndmask_b32_e64 v52, v51, v22, s12
	s_delay_alu instid0(VALU_DEP_3)
	v_cmpx_lt_u32_e64 v20, v31
	s_cbranch_execz .LBB1739_110
; %bb.107:
	s_mov_b32 s15, 0
	s_mov_b32 s13, exec_lo
	v_cmpx_lt_u32_e64 v21, v29
	s_cbranch_execz .LBB1739_109
; %bb.108:
	v_add_f16_e32 v18, 0, v48
	v_add_f16_e32 v19, 0, v52
	s_delay_alu instid0(VALU_DEP_2) | instskip(NEXT) | instid1(VALU_DEP_1)
	v_cmp_lt_i16_e64 s7, -1, v18
	v_cndmask_b32_e64 v22, -1, 0xffff8000, s7
	s_delay_alu instid0(VALU_DEP_3) | instskip(NEXT) | instid1(VALU_DEP_2)
	v_cmp_lt_i16_e64 s7, -1, v19
	v_xor_b32_e32 v18, v22, v18
	s_delay_alu instid0(VALU_DEP_2) | instskip(NEXT) | instid1(VALU_DEP_1)
	v_cndmask_b32_e64 v23, -1, 0xffff8000, s7
	v_xor_b32_e32 v19, v23, v19
	s_delay_alu instid0(VALU_DEP_1)
	v_cmp_le_u16_e64 s7, v18, v19
	s_and_b32 s15, s7, exec_lo
.LBB1739_109:
	s_or_b32 exec_lo, exec_lo, s13
	s_delay_alu instid0(SALU_CYCLE_1)
	s_or_not1_b32 s13, s15, exec_lo
.LBB1739_110:
	s_or_b32 exec_lo, exec_lo, s14
	v_cndmask_b32_e64 v18, v20, v21, s13
	v_cndmask_b32_e64 v19, v31, v29, s13
	s_mov_b32 s15, -1
	s_mov_b32 s14, -1
	s_mov_b32 s16, exec_lo
	v_add_nc_u32_e32 v22, 1, v18
	s_delay_alu instid0(VALU_DEP_1) | instskip(SKIP_2) | instid1(VALU_DEP_3)
	v_add_min_u32_e64 v19, v19, -1, v22
	v_cndmask_b32_e64 v20, v22, v20, s13
	v_lshl_add_u32 v18, v18, 3, v1
	v_lshl_add_u32 v19, v19, 1, v5
	ds_load_u16 v23, v19
	ds_load_b64 v[18:19], v18 offset:4096
	s_wait_dscnt 0x1
	v_dual_cndmask_b32 v21, v21, v22, s13 :: v_dual_cndmask_b32 v38, v23, v48, s13
	v_cndmask_b32_e64 v53, v52, v23, s13
	v_cmpx_lt_u32_e64 v20, v31
	s_cbranch_execz .LBB1739_114
; %bb.111:
	s_mov_b32 s17, 0
	s_mov_b32 s14, exec_lo
	v_cmpx_lt_u32_e64 v21, v29
	s_cbranch_execz .LBB1739_113
; %bb.112:
	v_add_f16_e32 v22, 0, v38
	v_add_f16_e32 v23, 0, v53
	s_delay_alu instid0(VALU_DEP_2) | instskip(NEXT) | instid1(VALU_DEP_1)
	v_cmp_lt_i16_e64 s7, -1, v22
	v_cndmask_b32_e64 v24, -1, 0xffff8000, s7
	s_delay_alu instid0(VALU_DEP_3) | instskip(NEXT) | instid1(VALU_DEP_2)
	v_cmp_lt_i16_e64 s7, -1, v23
	v_xor_b32_e32 v22, v24, v22
	s_delay_alu instid0(VALU_DEP_2) | instskip(NEXT) | instid1(VALU_DEP_1)
	v_cndmask_b32_e64 v25, -1, 0xffff8000, s7
	v_xor_b32_e32 v23, v25, v23
	s_delay_alu instid0(VALU_DEP_1)
	v_cmp_le_u16_e64 s7, v22, v23
	s_and_b32 s17, s7, exec_lo
.LBB1739_113:
	s_or_b32 exec_lo, exec_lo, s14
	s_delay_alu instid0(SALU_CYCLE_1)
	s_or_not1_b32 s14, s17, exec_lo
.LBB1739_114:
	s_or_b32 exec_lo, exec_lo, s16
	v_cndmask_b32_e64 v22, v20, v21, s14
	v_cndmask_b32_e64 v23, v31, v29, s14
	s_mov_b32 s16, exec_lo
	s_delay_alu instid0(VALU_DEP_2) | instskip(NEXT) | instid1(VALU_DEP_1)
	v_add_nc_u32_e32 v25, 1, v22
	v_add_min_u32_e64 v23, v23, -1, v25
	v_cndmask_b32_e64 v24, v25, v20, s14
	v_lshl_add_u32 v22, v22, 3, v1
	s_delay_alu instid0(VALU_DEP_3)
	v_lshl_add_u32 v23, v23, 1, v5
	ds_load_u16 v54, v23
	ds_load_b64 v[22:23], v22 offset:4096
	s_wait_dscnt 0x1
	v_dual_cndmask_b32 v25, v21, v25, s14 :: v_dual_cndmask_b32 v32, v54, v38, s14
	v_cndmask_b32_e64 v54, v53, v54, s14
	v_cmpx_lt_u32_e64 v24, v31
	s_cbranch_execz .LBB1739_118
; %bb.115:
	s_mov_b32 s17, 0
	s_mov_b32 s15, exec_lo
	v_cmpx_lt_u32_e64 v25, v29
	s_cbranch_execz .LBB1739_117
; %bb.116:
	v_add_f16_e32 v20, 0, v32
	v_add_f16_e32 v21, 0, v54
	s_delay_alu instid0(VALU_DEP_2) | instskip(NEXT) | instid1(VALU_DEP_1)
	v_cmp_lt_i16_e64 s7, -1, v20
	v_cndmask_b32_e64 v55, -1, 0xffff8000, s7
	s_delay_alu instid0(VALU_DEP_3) | instskip(NEXT) | instid1(VALU_DEP_2)
	v_cmp_lt_i16_e64 s7, -1, v21
	v_xor_b32_e32 v20, v55, v20
	s_delay_alu instid0(VALU_DEP_2) | instskip(NEXT) | instid1(VALU_DEP_1)
	v_cndmask_b32_e64 v64, -1, 0xffff8000, s7
	v_xor_b32_e32 v21, v64, v21
	s_delay_alu instid0(VALU_DEP_1)
	v_cmp_le_u16_e64 s7, v20, v21
	s_and_b32 s17, s7, exec_lo
.LBB1739_117:
	s_or_b32 exec_lo, exec_lo, s15
	s_delay_alu instid0(SALU_CYCLE_1)
	s_or_not1_b32 s15, s17, exec_lo
.LBB1739_118:
	s_or_b32 exec_lo, exec_lo, s16
	v_cndmask_b32_e64 v20, v24, v25, s15
	v_cndmask_b32_e64 v21, v31, v29, s15
	s_mov_b32 s17, -1
	s_mov_b32 s16, exec_lo
	s_delay_alu instid0(VALU_DEP_2) | instskip(NEXT) | instid1(VALU_DEP_1)
	v_add_nc_u32_e32 v55, 1, v20
	v_add_min_u32_e64 v21, v21, -1, v55
	v_cndmask_b32_e64 v24, v55, v24, s15
	v_lshl_add_u32 v20, v20, 3, v1
	s_delay_alu instid0(VALU_DEP_3)
	v_lshl_add_u32 v21, v21, 1, v5
	ds_load_u16 v64, v21
	ds_load_b64 v[20:21], v20 offset:4096
	s_wait_dscnt 0x1
	v_dual_cndmask_b32 v25, v25, v55, s15 :: v_dual_cndmask_b32 v55, v64, v32, s15
	v_cndmask_b32_e64 v64, v54, v64, s15
	v_cmpx_lt_u32_e64 v24, v31
	s_cbranch_execz .LBB1739_122
; %bb.119:
	s_mov_b32 s18, 0
	s_mov_b32 s17, exec_lo
	v_cmpx_lt_u32_e64 v25, v29
	s_cbranch_execz .LBB1739_121
; %bb.120:
	v_add_f16_e32 v29, 0, v55
	v_add_f16_e32 v31, 0, v64
	s_delay_alu instid0(VALU_DEP_2) | instskip(NEXT) | instid1(VALU_DEP_1)
	v_cmp_lt_i16_e64 s7, -1, v29
	v_cndmask_b32_e64 v65, -1, 0xffff8000, s7
	s_delay_alu instid0(VALU_DEP_3) | instskip(NEXT) | instid1(VALU_DEP_2)
	v_cmp_lt_i16_e64 s7, -1, v31
	v_xor_b32_e32 v29, v65, v29
	s_delay_alu instid0(VALU_DEP_2) | instskip(NEXT) | instid1(VALU_DEP_1)
	v_cndmask_b32_e64 v66, -1, 0xffff8000, s7
	v_xor_b32_e32 v31, v66, v31
	s_delay_alu instid0(VALU_DEP_1)
	v_cmp_le_u16_e64 s7, v29, v31
	s_and_b32 s18, s7, exec_lo
.LBB1739_121:
	s_or_b32 exec_lo, exec_lo, s17
	s_delay_alu instid0(SALU_CYCLE_1)
	s_or_not1_b32 s17, s18, exec_lo
.LBB1739_122:
	s_or_b32 exec_lo, exec_lo, s16
	v_dual_cndmask_b32 v24, v24, v25, s17 :: v_dual_cndmask_b32 v33, v33, v51, s12
	v_dual_cndmask_b32 v32, v32, v54, s15 :: v_dual_cndmask_b32 v38, v38, v53, s14
	;; [unrolled: 1-line block ×3, first 2 shown]
	s_delay_alu instid0(VALU_DEP_3)
	v_lshl_add_u32 v24, v24, 3, v1
	v_dual_cndmask_b32 v39, v39, v49, s8 :: v_dual_cndmask_b32 v36, v37, v36, s10
	v_cndmask_b32_e64 v37, v55, v64, s17
	ds_load_b64 v[24:25], v24 offset:4096
.LBB1739_123:
	s_or_b32 exec_lo, exec_lo, s9
	v_and_b32_e32 v51, 0xe0, v35
	v_and_b32_e32 v49, 24, v35
	s_mov_b32 s8, exec_lo
	; wave barrier
	s_delay_alu instid0(VALU_DEP_2) | instskip(NEXT) | instid1(VALU_DEP_2)
	v_or_b32_e32 v29, 16, v51
	v_min_u32_e32 v52, v28, v49
	ds_store_b16 v26, v36
	ds_store_b64 v27, v[10:11] offset:4096
	ds_store_b16 v26, v39 offset:2
	ds_store_b64 v27, v[12:13] offset:4104
	ds_store_b16 v26, v30 offset:4
	;; [unrolled: 2-line block ×3, first 2 shown]
	ds_store_b64 v27, v[16:17] offset:4120
	v_min_u32_e32 v29, v28, v29
	ds_store_b16 v26, v48 offset:8
	ds_store_b64 v27, v[18:19] offset:4128
	ds_store_b16 v26, v38 offset:10
	ds_store_b64 v27, v[22:23] offset:4136
	ds_store_b16 v26, v32 offset:12
	s_wait_dscnt 0xe
	ds_store_b64 v27, v[20:21] offset:4144
	ds_store_b16 v26, v37 offset:14
	s_wait_dscnt 0xf
	ds_store_b64 v27, v[24:25] offset:4152
	v_add_min_u32_e64 v31, v29, 16, v28
	; wave barrier
	s_delay_alu instid0(VALU_DEP_1) | instskip(NEXT) | instid1(VALU_DEP_1)
	v_dual_sub_nc_u32 v50, v29, v51 :: v_dual_sub_nc_u32 v49, v31, v29
	v_min_u32_e32 v53, v52, v50
	v_lshl_add_u32 v50, v51, 1, v5
	s_delay_alu instid0(VALU_DEP_3) | instskip(NEXT) | instid1(VALU_DEP_1)
	v_sub_nc_u32_e64 v49, v52, v49 clamp
	v_cmpx_lt_u32_e64 v49, v53
	s_cbranch_execz .LBB1739_127
; %bb.124:
	v_dual_lshlrev_b32 v54, 1, v29 :: v_dual_lshlrev_b32 v55, 1, v52
	s_mov_b32 s9, 0
	s_delay_alu instid0(VALU_DEP_1)
	v_add3_u32 v54, v5, v54, v55
.LBB1739_125:                           ; =>This Inner Loop Header: Depth=1
	v_add_nc_u32_e32 v55, v53, v49
	s_delay_alu instid0(VALU_DEP_1) | instskip(NEXT) | instid1(VALU_DEP_1)
	v_dual_lshrrev_b32 v64, 1, v55 :: v_dual_bitop2_b32 v55, -2, v55 bitop3:0x40
	v_not_b32_e32 v65, v64
	s_delay_alu instid0(VALU_DEP_2) | instskip(NEXT) | instid1(VALU_DEP_2)
	v_add_nc_u32_e32 v55, v50, v55
	v_lshl_add_u32 v65, v65, 1, v54
	ds_load_u16 v55, v55
	ds_load_u16 v65, v65
	s_wait_dscnt 0x1
	v_add_f16_e32 v55, 0, v55
	s_wait_dscnt 0x0
	v_add_f16_e32 v65, 0, v65
	s_delay_alu instid0(VALU_DEP_2) | instskip(NEXT) | instid1(VALU_DEP_1)
	v_cmp_lt_i16_e64 s7, -1, v55
	v_cndmask_b32_e64 v66, -1, 0xffff8000, s7
	s_delay_alu instid0(VALU_DEP_3) | instskip(NEXT) | instid1(VALU_DEP_2)
	v_cmp_lt_i16_e64 s7, -1, v65
	v_xor_b32_e32 v55, v66, v55
	s_delay_alu instid0(VALU_DEP_2) | instskip(NEXT) | instid1(VALU_DEP_1)
	v_cndmask_b32_e64 v67, -1, 0xffff8000, s7
	v_dual_add_nc_u32 v66, 1, v64 :: v_dual_bitop2_b32 v65, v67, v65 bitop3:0x14
	s_delay_alu instid0(VALU_DEP_1) | instskip(NEXT) | instid1(VALU_DEP_1)
	v_cmp_gt_u16_e64 s7, v65, v55
	v_dual_cndmask_b32 v53, v53, v64, s7 :: v_dual_cndmask_b32 v49, v66, v49, s7
	s_delay_alu instid0(VALU_DEP_1) | instskip(SKIP_1) | instid1(SALU_CYCLE_1)
	v_cmp_ge_u32_e64 s7, v49, v53
	s_or_b32 s9, s7, s9
	s_and_not1_b32 exec_lo, exec_lo, s9
	s_cbranch_execnz .LBB1739_125
; %bb.126:
	s_or_b32 exec_lo, exec_lo, s9
.LBB1739_127:
	s_delay_alu instid0(SALU_CYCLE_1) | instskip(SKIP_1) | instid1(VALU_DEP_1)
	s_or_b32 exec_lo, exec_lo, s8
	v_add_nc_u32_e32 v52, v29, v52
	v_dual_add_nc_u32 v51, v49, v51 :: v_dual_sub_nc_u32 v52, v52, v49
	s_delay_alu instid0(VALU_DEP_1) | instskip(NEXT) | instid1(VALU_DEP_2)
	v_cmp_le_u32_e64 s7, v51, v29
	v_cmp_le_u32_e64 s8, v52, v31
	s_or_b32 s7, s7, s8
	s_delay_alu instid0(SALU_CYCLE_1)
	s_and_saveexec_b32 s9, s7
	s_cbranch_execz .LBB1739_163
; %bb.128:
	v_cmp_ge_u32_e64 s7, v51, v29
	s_mov_b32 s10, exec_lo
                                        ; implicit-def: $vgpr36
	v_cmpx_lt_u32_e64 v51, v29
; %bb.129:
	v_lshl_add_u32 v10, v49, 1, v50
	ds_load_u16 v36, v10
; %bb.130:
	s_or_b32 exec_lo, exec_lo, s10
	v_cmp_ge_u32_e64 s10, v52, v31
	s_mov_b32 s11, exec_lo
                                        ; implicit-def: $vgpr37
	v_cmpx_lt_u32_e64 v52, v31
; %bb.131:
	v_lshl_add_u32 v10, v52, 1, v5
	ds_load_u16 v37, v10
; %bb.132:
	s_or_b32 exec_lo, exec_lo, s11
	s_nor_b32 s7, s7, s10
	s_delay_alu instid0(SALU_CYCLE_1)
	s_and_saveexec_b32 s8, s7
	s_cbranch_execz .LBB1739_134
; %bb.133:
	s_wait_dscnt 0x0
	v_add_f16_e32 v10, 0, v37
	v_add_f16_e32 v11, 0, v36
	s_and_not1_b32 s10, s10, exec_lo
	s_delay_alu instid0(VALU_DEP_2) | instskip(NEXT) | instid1(VALU_DEP_1)
	v_cmp_lt_i16_e64 s7, -1, v10
	v_cndmask_b32_e64 v12, -1, 0xffff8000, s7
	s_delay_alu instid0(VALU_DEP_3) | instskip(NEXT) | instid1(VALU_DEP_2)
	v_cmp_lt_i16_e64 s7, -1, v11
	v_xor_b32_e32 v10, v12, v10
	s_delay_alu instid0(VALU_DEP_2) | instskip(NEXT) | instid1(VALU_DEP_1)
	v_cndmask_b32_e64 v13, -1, 0xffff8000, s7
	v_xor_b32_e32 v11, v13, v11
	s_delay_alu instid0(VALU_DEP_1) | instskip(SKIP_1) | instid1(SALU_CYCLE_1)
	v_cmp_le_u16_e64 s7, v10, v11
	s_and_b32 s7, s7, exec_lo
	s_or_b32 s10, s10, s7
.LBB1739_134:
	s_or_b32 exec_lo, exec_lo, s8
	v_dual_cndmask_b32 v10, v52, v51, s10 :: v_dual_cndmask_b32 v11, v31, v29, s10
	s_mov_b32 s11, -1
	s_mov_b32 s8, -1
	s_mov_b32 s12, exec_lo
	s_delay_alu instid0(VALU_DEP_1) | instskip(SKIP_1) | instid1(VALU_DEP_2)
	v_add_nc_u32_e32 v12, 1, v10
	v_lshl_add_u32 v10, v10, 3, v1
	v_add_min_u32_e64 v11, v11, -1, v12
	s_delay_alu instid0(VALU_DEP_1)
	v_lshl_add_u32 v11, v11, 1, v5
	ds_load_u16 v13, v11
	ds_load_b64 v[10:11], v10 offset:4096
	s_wait_dscnt 0x1
	v_dual_cndmask_b32 v39, v13, v37, s10 :: v_dual_cndmask_b32 v14, v12, v52, s10
	v_dual_cndmask_b32 v15, v51, v12, s10 :: v_dual_cndmask_b32 v49, v36, v13, s10
	s_delay_alu instid0(VALU_DEP_2)
	v_cmpx_lt_u32_e64 v14, v31
	s_cbranch_execz .LBB1739_138
; %bb.135:
	s_mov_b32 s13, 0
	s_mov_b32 s8, exec_lo
	v_cmpx_lt_u32_e64 v15, v29
	s_cbranch_execz .LBB1739_137
; %bb.136:
	v_add_f16_e32 v12, 0, v39
	v_add_f16_e32 v13, 0, v49
	s_delay_alu instid0(VALU_DEP_2) | instskip(NEXT) | instid1(VALU_DEP_1)
	v_cmp_lt_i16_e64 s7, -1, v12
	v_cndmask_b32_e64 v16, -1, 0xffff8000, s7
	s_delay_alu instid0(VALU_DEP_3) | instskip(NEXT) | instid1(VALU_DEP_2)
	v_cmp_lt_i16_e64 s7, -1, v13
	v_xor_b32_e32 v12, v16, v12
	s_delay_alu instid0(VALU_DEP_2) | instskip(NEXT) | instid1(VALU_DEP_1)
	v_cndmask_b32_e64 v17, -1, 0xffff8000, s7
	v_xor_b32_e32 v13, v17, v13
	s_delay_alu instid0(VALU_DEP_1)
	v_cmp_le_u16_e64 s7, v12, v13
	s_and_b32 s13, s7, exec_lo
.LBB1739_137:
	s_or_b32 exec_lo, exec_lo, s8
	s_delay_alu instid0(SALU_CYCLE_1)
	s_or_not1_b32 s8, s13, exec_lo
.LBB1739_138:
	s_or_b32 exec_lo, exec_lo, s12
	s_delay_alu instid0(VALU_DEP_2) | instskip(SKIP_1) | instid1(VALU_DEP_1)
	v_dual_cndmask_b32 v12, v14, v15, s8 :: v_dual_cndmask_b32 v13, v31, v29, s8
	s_mov_b32 s12, exec_lo
	v_add_nc_u32_e32 v17, 1, v12
	v_lshl_add_u32 v12, v12, 3, v1
	s_delay_alu instid0(VALU_DEP_2) | instskip(NEXT) | instid1(VALU_DEP_1)
	v_add_min_u32_e64 v13, v13, -1, v17
	v_lshl_add_u32 v13, v13, 1, v5
	ds_load_u16 v18, v13
	ds_load_b64 v[12:13], v12 offset:4096
	s_wait_dscnt 0x1
	v_dual_cndmask_b32 v30, v18, v39, s8 :: v_dual_cndmask_b32 v16, v17, v14, s8
	v_dual_cndmask_b32 v17, v15, v17, s8 :: v_dual_cndmask_b32 v50, v49, v18, s8
	s_delay_alu instid0(VALU_DEP_2)
	v_cmpx_lt_u32_e64 v16, v31
	s_cbranch_execz .LBB1739_142
; %bb.139:
	s_mov_b32 s13, 0
	s_mov_b32 s11, exec_lo
	v_cmpx_lt_u32_e64 v17, v29
	s_cbranch_execz .LBB1739_141
; %bb.140:
	v_add_f16_e32 v14, 0, v30
	v_add_f16_e32 v15, 0, v50
	s_delay_alu instid0(VALU_DEP_2) | instskip(NEXT) | instid1(VALU_DEP_1)
	v_cmp_lt_i16_e64 s7, -1, v14
	v_cndmask_b32_e64 v18, -1, 0xffff8000, s7
	s_delay_alu instid0(VALU_DEP_3) | instskip(NEXT) | instid1(VALU_DEP_2)
	v_cmp_lt_i16_e64 s7, -1, v15
	v_xor_b32_e32 v14, v18, v14
	s_delay_alu instid0(VALU_DEP_2) | instskip(NEXT) | instid1(VALU_DEP_1)
	v_cndmask_b32_e64 v19, -1, 0xffff8000, s7
	v_xor_b32_e32 v15, v19, v15
	s_delay_alu instid0(VALU_DEP_1)
	v_cmp_le_u16_e64 s7, v14, v15
	s_and_b32 s13, s7, exec_lo
.LBB1739_141:
	s_or_b32 exec_lo, exec_lo, s11
	s_delay_alu instid0(SALU_CYCLE_1)
	s_or_not1_b32 s11, s13, exec_lo
.LBB1739_142:
	s_or_b32 exec_lo, exec_lo, s12
	s_delay_alu instid0(VALU_DEP_2)
	v_cndmask_b32_e64 v14, v16, v17, s11
	v_cndmask_b32_e64 v15, v31, v29, s11
	s_mov_b32 s13, -1
	s_mov_b32 s12, -1
	s_mov_b32 s14, exec_lo
	v_add_nc_u32_e32 v19, 1, v14
	s_delay_alu instid0(VALU_DEP_1) | instskip(SKIP_2) | instid1(VALU_DEP_3)
	v_add_min_u32_e64 v15, v15, -1, v19
	v_cndmask_b32_e64 v18, v19, v16, s11
	v_lshl_add_u32 v14, v14, 3, v1
	v_lshl_add_u32 v15, v15, 1, v5
	ds_load_u16 v20, v15
	ds_load_b64 v[14:15], v14 offset:4096
	s_wait_dscnt 0x1
	v_dual_cndmask_b32 v19, v17, v19, s11 :: v_dual_cndmask_b32 v33, v20, v30, s11
	v_cndmask_b32_e64 v51, v50, v20, s11
	v_cmpx_lt_u32_e64 v18, v31
	s_cbranch_execz .LBB1739_146
; %bb.143:
	s_mov_b32 s15, 0
	s_mov_b32 s12, exec_lo
	v_cmpx_lt_u32_e64 v19, v29
	s_cbranch_execz .LBB1739_145
; %bb.144:
	v_add_f16_e32 v16, 0, v33
	v_add_f16_e32 v17, 0, v51
	s_delay_alu instid0(VALU_DEP_2) | instskip(NEXT) | instid1(VALU_DEP_1)
	v_cmp_lt_i16_e64 s7, -1, v16
	v_cndmask_b32_e64 v20, -1, 0xffff8000, s7
	s_delay_alu instid0(VALU_DEP_3) | instskip(NEXT) | instid1(VALU_DEP_2)
	v_cmp_lt_i16_e64 s7, -1, v17
	v_xor_b32_e32 v16, v20, v16
	s_delay_alu instid0(VALU_DEP_2) | instskip(NEXT) | instid1(VALU_DEP_1)
	v_cndmask_b32_e64 v21, -1, 0xffff8000, s7
	v_xor_b32_e32 v17, v21, v17
	s_delay_alu instid0(VALU_DEP_1)
	v_cmp_le_u16_e64 s7, v16, v17
	s_and_b32 s15, s7, exec_lo
.LBB1739_145:
	s_or_b32 exec_lo, exec_lo, s12
	s_delay_alu instid0(SALU_CYCLE_1)
	s_or_not1_b32 s12, s15, exec_lo
.LBB1739_146:
	s_or_b32 exec_lo, exec_lo, s14
	v_dual_cndmask_b32 v16, v18, v19, s12 :: v_dual_cndmask_b32 v17, v31, v29, s12
	s_mov_b32 s14, exec_lo
	s_delay_alu instid0(VALU_DEP_1) | instskip(SKIP_1) | instid1(VALU_DEP_2)
	v_add_nc_u32_e32 v21, 1, v16
	v_lshl_add_u32 v16, v16, 3, v1
	v_add_min_u32_e64 v17, v17, -1, v21
	s_delay_alu instid0(VALU_DEP_1)
	v_lshl_add_u32 v17, v17, 1, v5
	ds_load_u16 v22, v17
	ds_load_b64 v[16:17], v16 offset:4096
	s_wait_dscnt 0x1
	v_dual_cndmask_b32 v48, v22, v33, s12 :: v_dual_cndmask_b32 v20, v21, v18, s12
	v_cndmask_b32_e64 v21, v19, v21, s12
	v_cndmask_b32_e64 v52, v51, v22, s12
	s_delay_alu instid0(VALU_DEP_3)
	v_cmpx_lt_u32_e64 v20, v31
	s_cbranch_execz .LBB1739_150
; %bb.147:
	s_mov_b32 s15, 0
	s_mov_b32 s13, exec_lo
	v_cmpx_lt_u32_e64 v21, v29
	s_cbranch_execz .LBB1739_149
; %bb.148:
	v_add_f16_e32 v18, 0, v48
	v_add_f16_e32 v19, 0, v52
	s_delay_alu instid0(VALU_DEP_2) | instskip(NEXT) | instid1(VALU_DEP_1)
	v_cmp_lt_i16_e64 s7, -1, v18
	v_cndmask_b32_e64 v22, -1, 0xffff8000, s7
	s_delay_alu instid0(VALU_DEP_3) | instskip(NEXT) | instid1(VALU_DEP_2)
	v_cmp_lt_i16_e64 s7, -1, v19
	v_xor_b32_e32 v18, v22, v18
	s_delay_alu instid0(VALU_DEP_2) | instskip(NEXT) | instid1(VALU_DEP_1)
	v_cndmask_b32_e64 v23, -1, 0xffff8000, s7
	v_xor_b32_e32 v19, v23, v19
	s_delay_alu instid0(VALU_DEP_1)
	v_cmp_le_u16_e64 s7, v18, v19
	s_and_b32 s15, s7, exec_lo
.LBB1739_149:
	s_or_b32 exec_lo, exec_lo, s13
	s_delay_alu instid0(SALU_CYCLE_1)
	s_or_not1_b32 s13, s15, exec_lo
.LBB1739_150:
	s_or_b32 exec_lo, exec_lo, s14
	v_cndmask_b32_e64 v18, v20, v21, s13
	v_cndmask_b32_e64 v19, v31, v29, s13
	s_mov_b32 s15, -1
	s_mov_b32 s14, -1
	s_mov_b32 s16, exec_lo
	v_add_nc_u32_e32 v22, 1, v18
	s_delay_alu instid0(VALU_DEP_1) | instskip(SKIP_2) | instid1(VALU_DEP_3)
	v_add_min_u32_e64 v19, v19, -1, v22
	v_cndmask_b32_e64 v20, v22, v20, s13
	v_lshl_add_u32 v18, v18, 3, v1
	v_lshl_add_u32 v19, v19, 1, v5
	ds_load_u16 v23, v19
	ds_load_b64 v[18:19], v18 offset:4096
	s_wait_dscnt 0x1
	v_dual_cndmask_b32 v21, v21, v22, s13 :: v_dual_cndmask_b32 v38, v23, v48, s13
	v_cndmask_b32_e64 v53, v52, v23, s13
	v_cmpx_lt_u32_e64 v20, v31
	s_cbranch_execz .LBB1739_154
; %bb.151:
	s_mov_b32 s17, 0
	s_mov_b32 s14, exec_lo
	v_cmpx_lt_u32_e64 v21, v29
	s_cbranch_execz .LBB1739_153
; %bb.152:
	v_add_f16_e32 v22, 0, v38
	v_add_f16_e32 v23, 0, v53
	s_delay_alu instid0(VALU_DEP_2) | instskip(NEXT) | instid1(VALU_DEP_1)
	v_cmp_lt_i16_e64 s7, -1, v22
	v_cndmask_b32_e64 v24, -1, 0xffff8000, s7
	s_delay_alu instid0(VALU_DEP_3) | instskip(NEXT) | instid1(VALU_DEP_2)
	v_cmp_lt_i16_e64 s7, -1, v23
	v_xor_b32_e32 v22, v24, v22
	s_delay_alu instid0(VALU_DEP_2) | instskip(NEXT) | instid1(VALU_DEP_1)
	v_cndmask_b32_e64 v25, -1, 0xffff8000, s7
	v_xor_b32_e32 v23, v25, v23
	s_delay_alu instid0(VALU_DEP_1)
	v_cmp_le_u16_e64 s7, v22, v23
	s_and_b32 s17, s7, exec_lo
.LBB1739_153:
	s_or_b32 exec_lo, exec_lo, s14
	s_delay_alu instid0(SALU_CYCLE_1)
	s_or_not1_b32 s14, s17, exec_lo
.LBB1739_154:
	s_or_b32 exec_lo, exec_lo, s16
	v_cndmask_b32_e64 v22, v20, v21, s14
	v_cndmask_b32_e64 v23, v31, v29, s14
	s_mov_b32 s16, exec_lo
	s_delay_alu instid0(VALU_DEP_2) | instskip(NEXT) | instid1(VALU_DEP_1)
	v_add_nc_u32_e32 v25, 1, v22
	v_add_min_u32_e64 v23, v23, -1, v25
	v_cndmask_b32_e64 v24, v25, v20, s14
	v_lshl_add_u32 v22, v22, 3, v1
	s_delay_alu instid0(VALU_DEP_3)
	v_lshl_add_u32 v23, v23, 1, v5
	ds_load_u16 v54, v23
	ds_load_b64 v[22:23], v22 offset:4096
	s_wait_dscnt 0x1
	v_dual_cndmask_b32 v25, v21, v25, s14 :: v_dual_cndmask_b32 v32, v54, v38, s14
	v_cndmask_b32_e64 v54, v53, v54, s14
	v_cmpx_lt_u32_e64 v24, v31
	s_cbranch_execz .LBB1739_158
; %bb.155:
	s_mov_b32 s17, 0
	s_mov_b32 s15, exec_lo
	v_cmpx_lt_u32_e64 v25, v29
	s_cbranch_execz .LBB1739_157
; %bb.156:
	v_add_f16_e32 v20, 0, v32
	v_add_f16_e32 v21, 0, v54
	s_delay_alu instid0(VALU_DEP_2) | instskip(NEXT) | instid1(VALU_DEP_1)
	v_cmp_lt_i16_e64 s7, -1, v20
	v_cndmask_b32_e64 v55, -1, 0xffff8000, s7
	s_delay_alu instid0(VALU_DEP_3) | instskip(NEXT) | instid1(VALU_DEP_2)
	v_cmp_lt_i16_e64 s7, -1, v21
	v_xor_b32_e32 v20, v55, v20
	s_delay_alu instid0(VALU_DEP_2) | instskip(NEXT) | instid1(VALU_DEP_1)
	v_cndmask_b32_e64 v64, -1, 0xffff8000, s7
	v_xor_b32_e32 v21, v64, v21
	s_delay_alu instid0(VALU_DEP_1)
	v_cmp_le_u16_e64 s7, v20, v21
	s_and_b32 s17, s7, exec_lo
.LBB1739_157:
	s_or_b32 exec_lo, exec_lo, s15
	s_delay_alu instid0(SALU_CYCLE_1)
	s_or_not1_b32 s15, s17, exec_lo
.LBB1739_158:
	s_or_b32 exec_lo, exec_lo, s16
	v_cndmask_b32_e64 v20, v24, v25, s15
	v_cndmask_b32_e64 v21, v31, v29, s15
	s_mov_b32 s17, -1
	s_mov_b32 s16, exec_lo
	s_delay_alu instid0(VALU_DEP_2) | instskip(NEXT) | instid1(VALU_DEP_1)
	v_add_nc_u32_e32 v55, 1, v20
	v_add_min_u32_e64 v21, v21, -1, v55
	v_cndmask_b32_e64 v24, v55, v24, s15
	v_lshl_add_u32 v20, v20, 3, v1
	s_delay_alu instid0(VALU_DEP_3)
	v_lshl_add_u32 v21, v21, 1, v5
	ds_load_u16 v64, v21
	ds_load_b64 v[20:21], v20 offset:4096
	s_wait_dscnt 0x1
	v_dual_cndmask_b32 v25, v25, v55, s15 :: v_dual_cndmask_b32 v55, v64, v32, s15
	v_cndmask_b32_e64 v64, v54, v64, s15
	v_cmpx_lt_u32_e64 v24, v31
	s_cbranch_execz .LBB1739_162
; %bb.159:
	s_mov_b32 s18, 0
	s_mov_b32 s17, exec_lo
	v_cmpx_lt_u32_e64 v25, v29
	s_cbranch_execz .LBB1739_161
; %bb.160:
	v_add_f16_e32 v29, 0, v55
	v_add_f16_e32 v31, 0, v64
	s_delay_alu instid0(VALU_DEP_2) | instskip(NEXT) | instid1(VALU_DEP_1)
	v_cmp_lt_i16_e64 s7, -1, v29
	v_cndmask_b32_e64 v65, -1, 0xffff8000, s7
	s_delay_alu instid0(VALU_DEP_3) | instskip(NEXT) | instid1(VALU_DEP_2)
	v_cmp_lt_i16_e64 s7, -1, v31
	v_xor_b32_e32 v29, v65, v29
	s_delay_alu instid0(VALU_DEP_2) | instskip(NEXT) | instid1(VALU_DEP_1)
	v_cndmask_b32_e64 v66, -1, 0xffff8000, s7
	v_xor_b32_e32 v31, v66, v31
	s_delay_alu instid0(VALU_DEP_1)
	v_cmp_le_u16_e64 s7, v29, v31
	s_and_b32 s18, s7, exec_lo
.LBB1739_161:
	s_or_b32 exec_lo, exec_lo, s17
	s_delay_alu instid0(SALU_CYCLE_1)
	s_or_not1_b32 s17, s18, exec_lo
.LBB1739_162:
	s_or_b32 exec_lo, exec_lo, s16
	v_dual_cndmask_b32 v24, v24, v25, s17 :: v_dual_cndmask_b32 v33, v33, v51, s12
	v_dual_cndmask_b32 v32, v32, v54, s15 :: v_dual_cndmask_b32 v38, v38, v53, s14
	;; [unrolled: 1-line block ×3, first 2 shown]
	s_delay_alu instid0(VALU_DEP_3)
	v_lshl_add_u32 v24, v24, 3, v1
	v_dual_cndmask_b32 v39, v39, v49, s8 :: v_dual_cndmask_b32 v36, v37, v36, s10
	v_cndmask_b32_e64 v37, v55, v64, s17
	ds_load_b64 v[24:25], v24 offset:4096
.LBB1739_163:
	s_or_b32 exec_lo, exec_lo, s9
	v_and_b32_e32 v51, 0xc0, v35
	v_and_b32_e32 v49, 56, v35
	s_mov_b32 s8, exec_lo
	; wave barrier
	s_delay_alu instid0(VALU_DEP_2) | instskip(NEXT) | instid1(VALU_DEP_2)
	v_or_b32_e32 v29, 32, v51
	v_min_u32_e32 v52, v28, v49
	ds_store_b16 v26, v36
	ds_store_b64 v27, v[10:11] offset:4096
	ds_store_b16 v26, v39 offset:2
	ds_store_b64 v27, v[12:13] offset:4104
	ds_store_b16 v26, v30 offset:4
	;; [unrolled: 2-line block ×3, first 2 shown]
	ds_store_b64 v27, v[16:17] offset:4120
	v_min_u32_e32 v29, v28, v29
	ds_store_b16 v26, v48 offset:8
	ds_store_b64 v27, v[18:19] offset:4128
	ds_store_b16 v26, v38 offset:10
	ds_store_b64 v27, v[22:23] offset:4136
	ds_store_b16 v26, v32 offset:12
	s_wait_dscnt 0xe
	ds_store_b64 v27, v[20:21] offset:4144
	ds_store_b16 v26, v37 offset:14
	s_wait_dscnt 0xf
	ds_store_b64 v27, v[24:25] offset:4152
	v_add_min_u32_e64 v31, v29, 32, v28
	; wave barrier
	s_delay_alu instid0(VALU_DEP_1) | instskip(NEXT) | instid1(VALU_DEP_1)
	v_dual_sub_nc_u32 v50, v29, v51 :: v_dual_sub_nc_u32 v49, v31, v29
	v_min_u32_e32 v53, v52, v50
	v_lshl_add_u32 v50, v51, 1, v5
	s_delay_alu instid0(VALU_DEP_3) | instskip(NEXT) | instid1(VALU_DEP_1)
	v_sub_nc_u32_e64 v49, v52, v49 clamp
	v_cmpx_lt_u32_e64 v49, v53
	s_cbranch_execz .LBB1739_167
; %bb.164:
	v_dual_lshlrev_b32 v54, 1, v29 :: v_dual_lshlrev_b32 v55, 1, v52
	s_mov_b32 s9, 0
	s_delay_alu instid0(VALU_DEP_1)
	v_add3_u32 v54, v5, v54, v55
.LBB1739_165:                           ; =>This Inner Loop Header: Depth=1
	v_add_nc_u32_e32 v55, v53, v49
	s_delay_alu instid0(VALU_DEP_1) | instskip(NEXT) | instid1(VALU_DEP_1)
	v_dual_lshrrev_b32 v64, 1, v55 :: v_dual_bitop2_b32 v55, -2, v55 bitop3:0x40
	v_not_b32_e32 v65, v64
	s_delay_alu instid0(VALU_DEP_2) | instskip(NEXT) | instid1(VALU_DEP_2)
	v_add_nc_u32_e32 v55, v50, v55
	v_lshl_add_u32 v65, v65, 1, v54
	ds_load_u16 v55, v55
	ds_load_u16 v65, v65
	s_wait_dscnt 0x1
	v_add_f16_e32 v55, 0, v55
	s_wait_dscnt 0x0
	v_add_f16_e32 v65, 0, v65
	s_delay_alu instid0(VALU_DEP_2) | instskip(NEXT) | instid1(VALU_DEP_1)
	v_cmp_lt_i16_e64 s7, -1, v55
	v_cndmask_b32_e64 v66, -1, 0xffff8000, s7
	s_delay_alu instid0(VALU_DEP_3) | instskip(NEXT) | instid1(VALU_DEP_2)
	v_cmp_lt_i16_e64 s7, -1, v65
	v_xor_b32_e32 v55, v66, v55
	s_delay_alu instid0(VALU_DEP_2) | instskip(NEXT) | instid1(VALU_DEP_1)
	v_cndmask_b32_e64 v67, -1, 0xffff8000, s7
	v_dual_add_nc_u32 v66, 1, v64 :: v_dual_bitop2_b32 v65, v67, v65 bitop3:0x14
	s_delay_alu instid0(VALU_DEP_1) | instskip(NEXT) | instid1(VALU_DEP_1)
	v_cmp_gt_u16_e64 s7, v65, v55
	v_dual_cndmask_b32 v53, v53, v64, s7 :: v_dual_cndmask_b32 v49, v66, v49, s7
	s_delay_alu instid0(VALU_DEP_1) | instskip(SKIP_1) | instid1(SALU_CYCLE_1)
	v_cmp_ge_u32_e64 s7, v49, v53
	s_or_b32 s9, s7, s9
	s_and_not1_b32 exec_lo, exec_lo, s9
	s_cbranch_execnz .LBB1739_165
; %bb.166:
	s_or_b32 exec_lo, exec_lo, s9
.LBB1739_167:
	s_delay_alu instid0(SALU_CYCLE_1) | instskip(SKIP_1) | instid1(VALU_DEP_1)
	s_or_b32 exec_lo, exec_lo, s8
	v_add_nc_u32_e32 v52, v29, v52
	v_dual_add_nc_u32 v51, v49, v51 :: v_dual_sub_nc_u32 v52, v52, v49
	s_delay_alu instid0(VALU_DEP_1) | instskip(NEXT) | instid1(VALU_DEP_2)
	v_cmp_le_u32_e64 s7, v51, v29
	v_cmp_le_u32_e64 s8, v52, v31
	s_or_b32 s7, s7, s8
	s_delay_alu instid0(SALU_CYCLE_1)
	s_and_saveexec_b32 s9, s7
	s_cbranch_execz .LBB1739_203
; %bb.168:
	v_cmp_ge_u32_e64 s7, v51, v29
	s_mov_b32 s10, exec_lo
                                        ; implicit-def: $vgpr36
	v_cmpx_lt_u32_e64 v51, v29
; %bb.169:
	v_lshl_add_u32 v10, v49, 1, v50
	ds_load_u16 v36, v10
; %bb.170:
	s_or_b32 exec_lo, exec_lo, s10
	v_cmp_ge_u32_e64 s10, v52, v31
	s_mov_b32 s11, exec_lo
                                        ; implicit-def: $vgpr37
	v_cmpx_lt_u32_e64 v52, v31
; %bb.171:
	v_lshl_add_u32 v10, v52, 1, v5
	ds_load_u16 v37, v10
; %bb.172:
	s_or_b32 exec_lo, exec_lo, s11
	s_nor_b32 s7, s7, s10
	s_delay_alu instid0(SALU_CYCLE_1)
	s_and_saveexec_b32 s8, s7
	s_cbranch_execz .LBB1739_174
; %bb.173:
	s_wait_dscnt 0x0
	v_add_f16_e32 v10, 0, v37
	v_add_f16_e32 v11, 0, v36
	s_and_not1_b32 s10, s10, exec_lo
	s_delay_alu instid0(VALU_DEP_2) | instskip(NEXT) | instid1(VALU_DEP_1)
	v_cmp_lt_i16_e64 s7, -1, v10
	v_cndmask_b32_e64 v12, -1, 0xffff8000, s7
	s_delay_alu instid0(VALU_DEP_3) | instskip(NEXT) | instid1(VALU_DEP_2)
	v_cmp_lt_i16_e64 s7, -1, v11
	v_xor_b32_e32 v10, v12, v10
	s_delay_alu instid0(VALU_DEP_2) | instskip(NEXT) | instid1(VALU_DEP_1)
	v_cndmask_b32_e64 v13, -1, 0xffff8000, s7
	v_xor_b32_e32 v11, v13, v11
	s_delay_alu instid0(VALU_DEP_1) | instskip(SKIP_1) | instid1(SALU_CYCLE_1)
	v_cmp_le_u16_e64 s7, v10, v11
	s_and_b32 s7, s7, exec_lo
	s_or_b32 s10, s10, s7
.LBB1739_174:
	s_or_b32 exec_lo, exec_lo, s8
	v_dual_cndmask_b32 v10, v52, v51, s10 :: v_dual_cndmask_b32 v11, v31, v29, s10
	s_mov_b32 s11, -1
	s_mov_b32 s8, -1
	s_mov_b32 s12, exec_lo
	s_delay_alu instid0(VALU_DEP_1) | instskip(SKIP_1) | instid1(VALU_DEP_2)
	v_add_nc_u32_e32 v12, 1, v10
	v_lshl_add_u32 v10, v10, 3, v1
	v_add_min_u32_e64 v11, v11, -1, v12
	s_delay_alu instid0(VALU_DEP_1)
	v_lshl_add_u32 v11, v11, 1, v5
	ds_load_u16 v13, v11
	ds_load_b64 v[10:11], v10 offset:4096
	s_wait_dscnt 0x1
	v_dual_cndmask_b32 v39, v13, v37, s10 :: v_dual_cndmask_b32 v14, v12, v52, s10
	v_dual_cndmask_b32 v15, v51, v12, s10 :: v_dual_cndmask_b32 v49, v36, v13, s10
	s_delay_alu instid0(VALU_DEP_2)
	v_cmpx_lt_u32_e64 v14, v31
	s_cbranch_execz .LBB1739_178
; %bb.175:
	s_mov_b32 s13, 0
	s_mov_b32 s8, exec_lo
	v_cmpx_lt_u32_e64 v15, v29
	s_cbranch_execz .LBB1739_177
; %bb.176:
	v_add_f16_e32 v12, 0, v39
	v_add_f16_e32 v13, 0, v49
	s_delay_alu instid0(VALU_DEP_2) | instskip(NEXT) | instid1(VALU_DEP_1)
	v_cmp_lt_i16_e64 s7, -1, v12
	v_cndmask_b32_e64 v16, -1, 0xffff8000, s7
	s_delay_alu instid0(VALU_DEP_3) | instskip(NEXT) | instid1(VALU_DEP_2)
	v_cmp_lt_i16_e64 s7, -1, v13
	v_xor_b32_e32 v12, v16, v12
	s_delay_alu instid0(VALU_DEP_2) | instskip(NEXT) | instid1(VALU_DEP_1)
	v_cndmask_b32_e64 v17, -1, 0xffff8000, s7
	v_xor_b32_e32 v13, v17, v13
	s_delay_alu instid0(VALU_DEP_1)
	v_cmp_le_u16_e64 s7, v12, v13
	s_and_b32 s13, s7, exec_lo
.LBB1739_177:
	s_or_b32 exec_lo, exec_lo, s8
	s_delay_alu instid0(SALU_CYCLE_1)
	s_or_not1_b32 s8, s13, exec_lo
.LBB1739_178:
	s_or_b32 exec_lo, exec_lo, s12
	s_delay_alu instid0(VALU_DEP_2) | instskip(SKIP_1) | instid1(VALU_DEP_1)
	v_dual_cndmask_b32 v12, v14, v15, s8 :: v_dual_cndmask_b32 v13, v31, v29, s8
	s_mov_b32 s12, exec_lo
	v_add_nc_u32_e32 v17, 1, v12
	v_lshl_add_u32 v12, v12, 3, v1
	s_delay_alu instid0(VALU_DEP_2) | instskip(NEXT) | instid1(VALU_DEP_1)
	v_add_min_u32_e64 v13, v13, -1, v17
	v_lshl_add_u32 v13, v13, 1, v5
	ds_load_u16 v18, v13
	ds_load_b64 v[12:13], v12 offset:4096
	s_wait_dscnt 0x1
	v_dual_cndmask_b32 v30, v18, v39, s8 :: v_dual_cndmask_b32 v16, v17, v14, s8
	v_dual_cndmask_b32 v17, v15, v17, s8 :: v_dual_cndmask_b32 v50, v49, v18, s8
	s_delay_alu instid0(VALU_DEP_2)
	v_cmpx_lt_u32_e64 v16, v31
	s_cbranch_execz .LBB1739_182
; %bb.179:
	s_mov_b32 s13, 0
	s_mov_b32 s11, exec_lo
	v_cmpx_lt_u32_e64 v17, v29
	s_cbranch_execz .LBB1739_181
; %bb.180:
	v_add_f16_e32 v14, 0, v30
	v_add_f16_e32 v15, 0, v50
	s_delay_alu instid0(VALU_DEP_2) | instskip(NEXT) | instid1(VALU_DEP_1)
	v_cmp_lt_i16_e64 s7, -1, v14
	v_cndmask_b32_e64 v18, -1, 0xffff8000, s7
	s_delay_alu instid0(VALU_DEP_3) | instskip(NEXT) | instid1(VALU_DEP_2)
	v_cmp_lt_i16_e64 s7, -1, v15
	v_xor_b32_e32 v14, v18, v14
	s_delay_alu instid0(VALU_DEP_2) | instskip(NEXT) | instid1(VALU_DEP_1)
	v_cndmask_b32_e64 v19, -1, 0xffff8000, s7
	v_xor_b32_e32 v15, v19, v15
	s_delay_alu instid0(VALU_DEP_1)
	v_cmp_le_u16_e64 s7, v14, v15
	s_and_b32 s13, s7, exec_lo
.LBB1739_181:
	s_or_b32 exec_lo, exec_lo, s11
	s_delay_alu instid0(SALU_CYCLE_1)
	s_or_not1_b32 s11, s13, exec_lo
.LBB1739_182:
	s_or_b32 exec_lo, exec_lo, s12
	s_delay_alu instid0(VALU_DEP_2)
	v_cndmask_b32_e64 v14, v16, v17, s11
	v_cndmask_b32_e64 v15, v31, v29, s11
	s_mov_b32 s13, -1
	s_mov_b32 s12, -1
	s_mov_b32 s14, exec_lo
	v_add_nc_u32_e32 v19, 1, v14
	s_delay_alu instid0(VALU_DEP_1) | instskip(SKIP_2) | instid1(VALU_DEP_3)
	v_add_min_u32_e64 v15, v15, -1, v19
	v_cndmask_b32_e64 v18, v19, v16, s11
	v_lshl_add_u32 v14, v14, 3, v1
	v_lshl_add_u32 v15, v15, 1, v5
	ds_load_u16 v20, v15
	ds_load_b64 v[14:15], v14 offset:4096
	s_wait_dscnt 0x1
	v_dual_cndmask_b32 v19, v17, v19, s11 :: v_dual_cndmask_b32 v33, v20, v30, s11
	v_cndmask_b32_e64 v51, v50, v20, s11
	v_cmpx_lt_u32_e64 v18, v31
	s_cbranch_execz .LBB1739_186
; %bb.183:
	s_mov_b32 s15, 0
	s_mov_b32 s12, exec_lo
	v_cmpx_lt_u32_e64 v19, v29
	s_cbranch_execz .LBB1739_185
; %bb.184:
	v_add_f16_e32 v16, 0, v33
	v_add_f16_e32 v17, 0, v51
	s_delay_alu instid0(VALU_DEP_2) | instskip(NEXT) | instid1(VALU_DEP_1)
	v_cmp_lt_i16_e64 s7, -1, v16
	v_cndmask_b32_e64 v20, -1, 0xffff8000, s7
	s_delay_alu instid0(VALU_DEP_3) | instskip(NEXT) | instid1(VALU_DEP_2)
	v_cmp_lt_i16_e64 s7, -1, v17
	v_xor_b32_e32 v16, v20, v16
	s_delay_alu instid0(VALU_DEP_2) | instskip(NEXT) | instid1(VALU_DEP_1)
	v_cndmask_b32_e64 v21, -1, 0xffff8000, s7
	v_xor_b32_e32 v17, v21, v17
	s_delay_alu instid0(VALU_DEP_1)
	v_cmp_le_u16_e64 s7, v16, v17
	s_and_b32 s15, s7, exec_lo
.LBB1739_185:
	s_or_b32 exec_lo, exec_lo, s12
	s_delay_alu instid0(SALU_CYCLE_1)
	s_or_not1_b32 s12, s15, exec_lo
.LBB1739_186:
	s_or_b32 exec_lo, exec_lo, s14
	v_dual_cndmask_b32 v16, v18, v19, s12 :: v_dual_cndmask_b32 v17, v31, v29, s12
	s_mov_b32 s14, exec_lo
	s_delay_alu instid0(VALU_DEP_1) | instskip(SKIP_1) | instid1(VALU_DEP_2)
	v_add_nc_u32_e32 v21, 1, v16
	v_lshl_add_u32 v16, v16, 3, v1
	v_add_min_u32_e64 v17, v17, -1, v21
	s_delay_alu instid0(VALU_DEP_1)
	v_lshl_add_u32 v17, v17, 1, v5
	ds_load_u16 v22, v17
	ds_load_b64 v[16:17], v16 offset:4096
	s_wait_dscnt 0x1
	v_dual_cndmask_b32 v48, v22, v33, s12 :: v_dual_cndmask_b32 v20, v21, v18, s12
	v_cndmask_b32_e64 v21, v19, v21, s12
	v_cndmask_b32_e64 v52, v51, v22, s12
	s_delay_alu instid0(VALU_DEP_3)
	v_cmpx_lt_u32_e64 v20, v31
	s_cbranch_execz .LBB1739_190
; %bb.187:
	s_mov_b32 s15, 0
	s_mov_b32 s13, exec_lo
	v_cmpx_lt_u32_e64 v21, v29
	s_cbranch_execz .LBB1739_189
; %bb.188:
	v_add_f16_e32 v18, 0, v48
	v_add_f16_e32 v19, 0, v52
	s_delay_alu instid0(VALU_DEP_2) | instskip(NEXT) | instid1(VALU_DEP_1)
	v_cmp_lt_i16_e64 s7, -1, v18
	v_cndmask_b32_e64 v22, -1, 0xffff8000, s7
	s_delay_alu instid0(VALU_DEP_3) | instskip(NEXT) | instid1(VALU_DEP_2)
	v_cmp_lt_i16_e64 s7, -1, v19
	v_xor_b32_e32 v18, v22, v18
	s_delay_alu instid0(VALU_DEP_2) | instskip(NEXT) | instid1(VALU_DEP_1)
	v_cndmask_b32_e64 v23, -1, 0xffff8000, s7
	v_xor_b32_e32 v19, v23, v19
	s_delay_alu instid0(VALU_DEP_1)
	v_cmp_le_u16_e64 s7, v18, v19
	s_and_b32 s15, s7, exec_lo
.LBB1739_189:
	s_or_b32 exec_lo, exec_lo, s13
	s_delay_alu instid0(SALU_CYCLE_1)
	s_or_not1_b32 s13, s15, exec_lo
.LBB1739_190:
	s_or_b32 exec_lo, exec_lo, s14
	v_cndmask_b32_e64 v18, v20, v21, s13
	v_cndmask_b32_e64 v19, v31, v29, s13
	s_mov_b32 s15, -1
	s_mov_b32 s14, -1
	s_mov_b32 s16, exec_lo
	v_add_nc_u32_e32 v22, 1, v18
	s_delay_alu instid0(VALU_DEP_1) | instskip(SKIP_2) | instid1(VALU_DEP_3)
	v_add_min_u32_e64 v19, v19, -1, v22
	v_cndmask_b32_e64 v20, v22, v20, s13
	v_lshl_add_u32 v18, v18, 3, v1
	v_lshl_add_u32 v19, v19, 1, v5
	ds_load_u16 v23, v19
	ds_load_b64 v[18:19], v18 offset:4096
	s_wait_dscnt 0x1
	v_dual_cndmask_b32 v21, v21, v22, s13 :: v_dual_cndmask_b32 v38, v23, v48, s13
	v_cndmask_b32_e64 v53, v52, v23, s13
	v_cmpx_lt_u32_e64 v20, v31
	s_cbranch_execz .LBB1739_194
; %bb.191:
	s_mov_b32 s17, 0
	s_mov_b32 s14, exec_lo
	v_cmpx_lt_u32_e64 v21, v29
	s_cbranch_execz .LBB1739_193
; %bb.192:
	v_add_f16_e32 v22, 0, v38
	v_add_f16_e32 v23, 0, v53
	s_delay_alu instid0(VALU_DEP_2) | instskip(NEXT) | instid1(VALU_DEP_1)
	v_cmp_lt_i16_e64 s7, -1, v22
	v_cndmask_b32_e64 v24, -1, 0xffff8000, s7
	s_delay_alu instid0(VALU_DEP_3) | instskip(NEXT) | instid1(VALU_DEP_2)
	v_cmp_lt_i16_e64 s7, -1, v23
	v_xor_b32_e32 v22, v24, v22
	s_delay_alu instid0(VALU_DEP_2) | instskip(NEXT) | instid1(VALU_DEP_1)
	v_cndmask_b32_e64 v25, -1, 0xffff8000, s7
	v_xor_b32_e32 v23, v25, v23
	s_delay_alu instid0(VALU_DEP_1)
	v_cmp_le_u16_e64 s7, v22, v23
	s_and_b32 s17, s7, exec_lo
.LBB1739_193:
	s_or_b32 exec_lo, exec_lo, s14
	s_delay_alu instid0(SALU_CYCLE_1)
	s_or_not1_b32 s14, s17, exec_lo
.LBB1739_194:
	s_or_b32 exec_lo, exec_lo, s16
	v_cndmask_b32_e64 v22, v20, v21, s14
	v_cndmask_b32_e64 v23, v31, v29, s14
	s_mov_b32 s16, exec_lo
	s_delay_alu instid0(VALU_DEP_2) | instskip(NEXT) | instid1(VALU_DEP_1)
	v_add_nc_u32_e32 v25, 1, v22
	v_add_min_u32_e64 v23, v23, -1, v25
	v_cndmask_b32_e64 v24, v25, v20, s14
	v_lshl_add_u32 v22, v22, 3, v1
	s_delay_alu instid0(VALU_DEP_3)
	v_lshl_add_u32 v23, v23, 1, v5
	ds_load_u16 v54, v23
	ds_load_b64 v[22:23], v22 offset:4096
	s_wait_dscnt 0x1
	v_dual_cndmask_b32 v25, v21, v25, s14 :: v_dual_cndmask_b32 v32, v54, v38, s14
	v_cndmask_b32_e64 v54, v53, v54, s14
	v_cmpx_lt_u32_e64 v24, v31
	s_cbranch_execz .LBB1739_198
; %bb.195:
	s_mov_b32 s17, 0
	s_mov_b32 s15, exec_lo
	v_cmpx_lt_u32_e64 v25, v29
	s_cbranch_execz .LBB1739_197
; %bb.196:
	v_add_f16_e32 v20, 0, v32
	v_add_f16_e32 v21, 0, v54
	s_delay_alu instid0(VALU_DEP_2) | instskip(NEXT) | instid1(VALU_DEP_1)
	v_cmp_lt_i16_e64 s7, -1, v20
	v_cndmask_b32_e64 v55, -1, 0xffff8000, s7
	s_delay_alu instid0(VALU_DEP_3) | instskip(NEXT) | instid1(VALU_DEP_2)
	v_cmp_lt_i16_e64 s7, -1, v21
	v_xor_b32_e32 v20, v55, v20
	s_delay_alu instid0(VALU_DEP_2) | instskip(NEXT) | instid1(VALU_DEP_1)
	v_cndmask_b32_e64 v64, -1, 0xffff8000, s7
	v_xor_b32_e32 v21, v64, v21
	s_delay_alu instid0(VALU_DEP_1)
	v_cmp_le_u16_e64 s7, v20, v21
	s_and_b32 s17, s7, exec_lo
.LBB1739_197:
	s_or_b32 exec_lo, exec_lo, s15
	s_delay_alu instid0(SALU_CYCLE_1)
	s_or_not1_b32 s15, s17, exec_lo
.LBB1739_198:
	s_or_b32 exec_lo, exec_lo, s16
	v_cndmask_b32_e64 v20, v24, v25, s15
	v_cndmask_b32_e64 v21, v31, v29, s15
	s_mov_b32 s17, -1
	s_mov_b32 s16, exec_lo
	s_delay_alu instid0(VALU_DEP_2) | instskip(NEXT) | instid1(VALU_DEP_1)
	v_add_nc_u32_e32 v55, 1, v20
	v_add_min_u32_e64 v21, v21, -1, v55
	v_cndmask_b32_e64 v24, v55, v24, s15
	v_lshl_add_u32 v20, v20, 3, v1
	s_delay_alu instid0(VALU_DEP_3)
	v_lshl_add_u32 v21, v21, 1, v5
	ds_load_u16 v64, v21
	ds_load_b64 v[20:21], v20 offset:4096
	s_wait_dscnt 0x1
	v_dual_cndmask_b32 v25, v25, v55, s15 :: v_dual_cndmask_b32 v55, v64, v32, s15
	v_cndmask_b32_e64 v64, v54, v64, s15
	v_cmpx_lt_u32_e64 v24, v31
	s_cbranch_execz .LBB1739_202
; %bb.199:
	s_mov_b32 s18, 0
	s_mov_b32 s17, exec_lo
	v_cmpx_lt_u32_e64 v25, v29
	s_cbranch_execz .LBB1739_201
; %bb.200:
	v_add_f16_e32 v29, 0, v55
	v_add_f16_e32 v31, 0, v64
	s_delay_alu instid0(VALU_DEP_2) | instskip(NEXT) | instid1(VALU_DEP_1)
	v_cmp_lt_i16_e64 s7, -1, v29
	v_cndmask_b32_e64 v65, -1, 0xffff8000, s7
	s_delay_alu instid0(VALU_DEP_3) | instskip(NEXT) | instid1(VALU_DEP_2)
	v_cmp_lt_i16_e64 s7, -1, v31
	v_xor_b32_e32 v29, v65, v29
	s_delay_alu instid0(VALU_DEP_2) | instskip(NEXT) | instid1(VALU_DEP_1)
	v_cndmask_b32_e64 v66, -1, 0xffff8000, s7
	v_xor_b32_e32 v31, v66, v31
	s_delay_alu instid0(VALU_DEP_1)
	v_cmp_le_u16_e64 s7, v29, v31
	s_and_b32 s18, s7, exec_lo
.LBB1739_201:
	s_or_b32 exec_lo, exec_lo, s17
	s_delay_alu instid0(SALU_CYCLE_1)
	s_or_not1_b32 s17, s18, exec_lo
.LBB1739_202:
	s_or_b32 exec_lo, exec_lo, s16
	v_dual_cndmask_b32 v24, v24, v25, s17 :: v_dual_cndmask_b32 v33, v33, v51, s12
	v_dual_cndmask_b32 v32, v32, v54, s15 :: v_dual_cndmask_b32 v38, v38, v53, s14
	v_dual_cndmask_b32 v48, v48, v52, s13 :: v_dual_cndmask_b32 v30, v30, v50, s11
	s_delay_alu instid0(VALU_DEP_3)
	v_lshl_add_u32 v24, v24, 3, v1
	v_dual_cndmask_b32 v39, v39, v49, s8 :: v_dual_cndmask_b32 v36, v37, v36, s10
	v_cndmask_b32_e64 v37, v55, v64, s17
	ds_load_b64 v[24:25], v24 offset:4096
.LBB1739_203:
	s_or_b32 exec_lo, exec_lo, s9
	v_and_b32_e32 v35, 0x80, v35
	v_min_u32_e32 v49, v28, v34
	s_mov_b32 s8, exec_lo
	; wave barrier
	s_delay_alu instid0(VALU_DEP_2)
	v_or_b32_e32 v29, 64, v35
	ds_store_b16 v26, v36
	ds_store_b64 v27, v[10:11] offset:4096
	ds_store_b16 v26, v39 offset:2
	ds_store_b64 v27, v[12:13] offset:4104
	ds_store_b16 v26, v30 offset:4
	;; [unrolled: 2-line block ×5, first 2 shown]
	v_min_u32_e32 v29, v28, v29
	ds_store_b64 v27, v[22:23] offset:4136
	ds_store_b16 v26, v32 offset:12
	s_wait_dscnt 0xe
	ds_store_b64 v27, v[20:21] offset:4144
	ds_store_b16 v26, v37 offset:14
	s_wait_dscnt 0xf
	ds_store_b64 v27, v[24:25] offset:4152
	; wave barrier
	v_add_min_u32_e64 v31, v29, 64, v28
	s_delay_alu instid0(VALU_DEP_1) | instskip(NEXT) | instid1(VALU_DEP_1)
	v_dual_sub_nc_u32 v34, v29, v35 :: v_dual_sub_nc_u32 v28, v31, v29
	v_min_u32_e32 v50, v49, v34
	v_lshl_add_u32 v34, v35, 1, v5
	s_delay_alu instid0(VALU_DEP_3) | instskip(NEXT) | instid1(VALU_DEP_1)
	v_sub_nc_u32_e64 v28, v49, v28 clamp
	v_cmpx_lt_u32_e64 v28, v50
	s_cbranch_execz .LBB1739_207
; %bb.204:
	v_lshlrev_b32_e32 v26, 1, v29
	v_lshlrev_b32_e32 v27, 1, v49
	s_mov_b32 s9, 0
	s_delay_alu instid0(VALU_DEP_1)
	v_add3_u32 v26, v5, v26, v27
.LBB1739_205:                           ; =>This Inner Loop Header: Depth=1
	v_add_nc_u32_e32 v27, v50, v28
	s_delay_alu instid0(VALU_DEP_1) | instskip(NEXT) | instid1(VALU_DEP_1)
	v_dual_lshrrev_b32 v51, 1, v27 :: v_dual_bitop2_b32 v27, -2, v27 bitop3:0x40
	v_not_b32_e32 v52, v51
	s_delay_alu instid0(VALU_DEP_2) | instskip(NEXT) | instid1(VALU_DEP_2)
	v_add_nc_u32_e32 v27, v34, v27
	v_lshl_add_u32 v52, v52, 1, v26
	ds_load_u16 v27, v27
	ds_load_u16 v52, v52
	s_wait_dscnt 0x1
	v_add_f16_e32 v27, 0, v27
	s_wait_dscnt 0x0
	v_add_f16_e32 v52, 0, v52
	s_delay_alu instid0(VALU_DEP_2) | instskip(NEXT) | instid1(VALU_DEP_1)
	v_cmp_lt_i16_e64 s7, -1, v27
	v_cndmask_b32_e64 v53, -1, 0xffff8000, s7
	s_delay_alu instid0(VALU_DEP_3) | instskip(NEXT) | instid1(VALU_DEP_2)
	v_cmp_lt_i16_e64 s7, -1, v52
	v_xor_b32_e32 v27, v53, v27
	s_delay_alu instid0(VALU_DEP_2) | instskip(NEXT) | instid1(VALU_DEP_1)
	v_cndmask_b32_e64 v54, -1, 0xffff8000, s7
	v_dual_add_nc_u32 v53, 1, v51 :: v_dual_bitop2_b32 v52, v54, v52 bitop3:0x14
	s_delay_alu instid0(VALU_DEP_1) | instskip(NEXT) | instid1(VALU_DEP_1)
	v_cmp_gt_u16_e64 s7, v52, v27
	v_dual_cndmask_b32 v50, v50, v51, s7 :: v_dual_cndmask_b32 v28, v53, v28, s7
	s_delay_alu instid0(VALU_DEP_1) | instskip(SKIP_1) | instid1(SALU_CYCLE_1)
	v_cmp_ge_u32_e64 s7, v28, v50
	s_or_b32 s9, s7, s9
	s_and_not1_b32 exec_lo, exec_lo, s9
	s_cbranch_execnz .LBB1739_205
; %bb.206:
	s_or_b32 exec_lo, exec_lo, s9
.LBB1739_207:
	s_delay_alu instid0(SALU_CYCLE_1) | instskip(SKIP_1) | instid1(VALU_DEP_1)
	s_or_b32 exec_lo, exec_lo, s8
	v_dual_add_nc_u32 v26, v29, v49 :: v_dual_add_nc_u32 v35, v28, v35
	v_sub_nc_u32_e32 v49, v26, v28
	s_delay_alu instid0(VALU_DEP_2) | instskip(NEXT) | instid1(VALU_DEP_2)
	v_cmp_le_u32_e64 s7, v35, v29
	v_cmp_le_u32_e64 s8, v49, v31
	s_or_b32 s7, s7, s8
	s_delay_alu instid0(SALU_CYCLE_1)
	s_and_saveexec_b32 s9, s7
	s_cbranch_execz .LBB1739_243
; %bb.208:
	v_cmp_ge_u32_e64 s7, v35, v29
	s_mov_b32 s10, exec_lo
                                        ; implicit-def: $vgpr26
	v_cmpx_lt_u32_e64 v35, v29
; %bb.209:
	v_lshl_add_u32 v10, v28, 1, v34
	ds_load_u16 v26, v10
; %bb.210:
	s_or_b32 exec_lo, exec_lo, s10
	v_cmp_ge_u32_e64 s10, v49, v31
	s_mov_b32 s11, exec_lo
                                        ; implicit-def: $vgpr27
	v_cmpx_lt_u32_e64 v49, v31
; %bb.211:
	v_lshl_add_u32 v10, v49, 1, v5
	ds_load_u16 v27, v10
; %bb.212:
	s_or_b32 exec_lo, exec_lo, s11
	s_nor_b32 s7, s7, s10
	s_delay_alu instid0(SALU_CYCLE_1)
	s_and_saveexec_b32 s8, s7
	s_cbranch_execz .LBB1739_214
; %bb.213:
	s_wait_dscnt 0x0
	v_add_f16_e32 v10, 0, v27
	v_add_f16_e32 v11, 0, v26
	s_and_not1_b32 s10, s10, exec_lo
	s_delay_alu instid0(VALU_DEP_2) | instskip(NEXT) | instid1(VALU_DEP_1)
	v_cmp_lt_i16_e64 s7, -1, v10
	v_cndmask_b32_e64 v12, -1, 0xffff8000, s7
	s_delay_alu instid0(VALU_DEP_3) | instskip(NEXT) | instid1(VALU_DEP_2)
	v_cmp_lt_i16_e64 s7, -1, v11
	v_xor_b32_e32 v10, v12, v10
	s_delay_alu instid0(VALU_DEP_2) | instskip(NEXT) | instid1(VALU_DEP_1)
	v_cndmask_b32_e64 v13, -1, 0xffff8000, s7
	v_xor_b32_e32 v11, v13, v11
	s_delay_alu instid0(VALU_DEP_1) | instskip(SKIP_1) | instid1(SALU_CYCLE_1)
	v_cmp_le_u16_e64 s7, v10, v11
	s_and_b32 s7, s7, exec_lo
	s_or_b32 s10, s10, s7
.LBB1739_214:
	s_or_b32 exec_lo, exec_lo, s8
	v_dual_cndmask_b32 v10, v49, v35, s10 :: v_dual_cndmask_b32 v11, v31, v29, s10
	s_mov_b32 s11, -1
	s_mov_b32 s8, -1
	s_mov_b32 s12, exec_lo
	s_delay_alu instid0(VALU_DEP_1) | instskip(SKIP_1) | instid1(VALU_DEP_2)
	v_add_nc_u32_e32 v12, 1, v10
	v_lshl_add_u32 v10, v10, 3, v1
	v_add_min_u32_e64 v11, v11, -1, v12
	s_delay_alu instid0(VALU_DEP_1)
	v_lshl_add_u32 v11, v11, 1, v5
	ds_load_u16 v13, v11
	ds_load_b64 v[10:11], v10 offset:4096
	s_wait_dscnt 0x1
	v_dual_cndmask_b32 v28, v13, v27, s10 :: v_dual_cndmask_b32 v14, v12, v49, s10
	v_dual_cndmask_b32 v15, v35, v12, s10 :: v_dual_cndmask_b32 v34, v26, v13, s10
	s_delay_alu instid0(VALU_DEP_2)
	v_cmpx_lt_u32_e64 v14, v31
	s_cbranch_execz .LBB1739_218
; %bb.215:
	s_mov_b32 s13, 0
	s_mov_b32 s8, exec_lo
	v_cmpx_lt_u32_e64 v15, v29
	s_cbranch_execz .LBB1739_217
; %bb.216:
	v_add_f16_e32 v12, 0, v28
	v_add_f16_e32 v13, 0, v34
	s_delay_alu instid0(VALU_DEP_2) | instskip(NEXT) | instid1(VALU_DEP_1)
	v_cmp_lt_i16_e64 s7, -1, v12
	v_cndmask_b32_e64 v16, -1, 0xffff8000, s7
	s_delay_alu instid0(VALU_DEP_3) | instskip(NEXT) | instid1(VALU_DEP_2)
	v_cmp_lt_i16_e64 s7, -1, v13
	v_xor_b32_e32 v12, v16, v12
	s_delay_alu instid0(VALU_DEP_2) | instskip(NEXT) | instid1(VALU_DEP_1)
	v_cndmask_b32_e64 v17, -1, 0xffff8000, s7
	v_xor_b32_e32 v13, v17, v13
	s_delay_alu instid0(VALU_DEP_1)
	v_cmp_le_u16_e64 s7, v12, v13
	s_and_b32 s13, s7, exec_lo
.LBB1739_217:
	s_or_b32 exec_lo, exec_lo, s8
	s_delay_alu instid0(SALU_CYCLE_1)
	s_or_not1_b32 s8, s13, exec_lo
.LBB1739_218:
	s_or_b32 exec_lo, exec_lo, s12
	s_delay_alu instid0(VALU_DEP_2) | instskip(SKIP_1) | instid1(VALU_DEP_1)
	v_dual_cndmask_b32 v12, v14, v15, s8 :: v_dual_cndmask_b32 v13, v31, v29, s8
	s_mov_b32 s12, exec_lo
	v_add_nc_u32_e32 v17, 1, v12
	v_lshl_add_u32 v12, v12, 3, v1
	s_delay_alu instid0(VALU_DEP_2) | instskip(NEXT) | instid1(VALU_DEP_1)
	v_add_min_u32_e64 v13, v13, -1, v17
	v_lshl_add_u32 v13, v13, 1, v5
	ds_load_u16 v18, v13
	ds_load_b64 v[12:13], v12 offset:4096
	s_wait_dscnt 0x1
	v_cndmask_b32_e64 v30, v18, v28, s8
	v_cndmask_b32_e64 v35, v34, v18, s8
	v_dual_cndmask_b32 v16, v17, v14, s8 :: v_dual_cndmask_b32 v17, v15, v17, s8
	s_delay_alu instid0(VALU_DEP_1)
	v_cmpx_lt_u32_e64 v16, v31
	s_cbranch_execz .LBB1739_222
; %bb.219:
	s_mov_b32 s13, 0
	s_mov_b32 s11, exec_lo
	v_cmpx_lt_u32_e64 v17, v29
	s_cbranch_execz .LBB1739_221
; %bb.220:
	v_add_f16_e32 v14, 0, v30
	v_add_f16_e32 v15, 0, v35
	s_delay_alu instid0(VALU_DEP_2) | instskip(NEXT) | instid1(VALU_DEP_1)
	v_cmp_lt_i16_e64 s7, -1, v14
	v_cndmask_b32_e64 v18, -1, 0xffff8000, s7
	s_delay_alu instid0(VALU_DEP_3) | instskip(NEXT) | instid1(VALU_DEP_2)
	v_cmp_lt_i16_e64 s7, -1, v15
	v_xor_b32_e32 v14, v18, v14
	s_delay_alu instid0(VALU_DEP_2) | instskip(NEXT) | instid1(VALU_DEP_1)
	v_cndmask_b32_e64 v19, -1, 0xffff8000, s7
	v_xor_b32_e32 v15, v19, v15
	s_delay_alu instid0(VALU_DEP_1)
	v_cmp_le_u16_e64 s7, v14, v15
	s_and_b32 s13, s7, exec_lo
.LBB1739_221:
	s_or_b32 exec_lo, exec_lo, s11
	s_delay_alu instid0(SALU_CYCLE_1)
	s_or_not1_b32 s11, s13, exec_lo
.LBB1739_222:
	s_or_b32 exec_lo, exec_lo, s12
	s_delay_alu instid0(VALU_DEP_2)
	v_cndmask_b32_e64 v14, v16, v17, s11
	v_cndmask_b32_e64 v15, v31, v29, s11
	s_mov_b32 s13, -1
	s_mov_b32 s12, -1
	s_mov_b32 s14, exec_lo
	v_add_nc_u32_e32 v19, 1, v14
	s_delay_alu instid0(VALU_DEP_1) | instskip(SKIP_2) | instid1(VALU_DEP_3)
	v_add_min_u32_e64 v15, v15, -1, v19
	v_cndmask_b32_e64 v18, v19, v16, s11
	v_lshl_add_u32 v14, v14, 3, v1
	v_lshl_add_u32 v15, v15, 1, v5
	ds_load_u16 v20, v15
	ds_load_b64 v[14:15], v14 offset:4096
	s_wait_dscnt 0x1
	v_dual_cndmask_b32 v19, v17, v19, s11 :: v_dual_cndmask_b32 v33, v20, v30, s11
	v_cndmask_b32_e64 v36, v35, v20, s11
	v_cmpx_lt_u32_e64 v18, v31
	s_cbranch_execz .LBB1739_226
; %bb.223:
	s_mov_b32 s15, 0
	s_mov_b32 s12, exec_lo
	v_cmpx_lt_u32_e64 v19, v29
	s_cbranch_execz .LBB1739_225
; %bb.224:
	v_add_f16_e32 v16, 0, v33
	v_add_f16_e32 v17, 0, v36
	s_delay_alu instid0(VALU_DEP_2) | instskip(NEXT) | instid1(VALU_DEP_1)
	v_cmp_lt_i16_e64 s7, -1, v16
	v_cndmask_b32_e64 v20, -1, 0xffff8000, s7
	s_delay_alu instid0(VALU_DEP_3) | instskip(NEXT) | instid1(VALU_DEP_2)
	v_cmp_lt_i16_e64 s7, -1, v17
	v_xor_b32_e32 v16, v20, v16
	s_delay_alu instid0(VALU_DEP_2) | instskip(NEXT) | instid1(VALU_DEP_1)
	v_cndmask_b32_e64 v21, -1, 0xffff8000, s7
	v_xor_b32_e32 v17, v21, v17
	s_delay_alu instid0(VALU_DEP_1)
	v_cmp_le_u16_e64 s7, v16, v17
	s_and_b32 s15, s7, exec_lo
.LBB1739_225:
	s_or_b32 exec_lo, exec_lo, s12
	s_delay_alu instid0(SALU_CYCLE_1)
	s_or_not1_b32 s12, s15, exec_lo
.LBB1739_226:
	s_or_b32 exec_lo, exec_lo, s14
	v_dual_cndmask_b32 v16, v18, v19, s12 :: v_dual_cndmask_b32 v17, v31, v29, s12
	s_mov_b32 s14, exec_lo
	s_delay_alu instid0(VALU_DEP_1) | instskip(SKIP_1) | instid1(VALU_DEP_2)
	v_add_nc_u32_e32 v21, 1, v16
	v_lshl_add_u32 v16, v16, 3, v1
	v_add_min_u32_e64 v17, v17, -1, v21
	s_delay_alu instid0(VALU_DEP_1)
	v_lshl_add_u32 v17, v17, 1, v5
	ds_load_u16 v22, v17
	ds_load_b64 v[16:17], v16 offset:4096
	s_wait_dscnt 0x1
	v_dual_cndmask_b32 v37, v22, v33, s12 :: v_dual_cndmask_b32 v20, v21, v18, s12
	v_dual_cndmask_b32 v21, v19, v21, s12 :: v_dual_cndmask_b32 v39, v36, v22, s12
	s_delay_alu instid0(VALU_DEP_2)
	v_cmpx_lt_u32_e64 v20, v31
	s_cbranch_execz .LBB1739_230
; %bb.227:
	s_mov_b32 s15, 0
	s_mov_b32 s13, exec_lo
	v_cmpx_lt_u32_e64 v21, v29
	s_cbranch_execz .LBB1739_229
; %bb.228:
	v_add_f16_e32 v18, 0, v37
	v_add_f16_e32 v19, 0, v39
	s_delay_alu instid0(VALU_DEP_2) | instskip(NEXT) | instid1(VALU_DEP_1)
	v_cmp_lt_i16_e64 s7, -1, v18
	v_cndmask_b32_e64 v22, -1, 0xffff8000, s7
	s_delay_alu instid0(VALU_DEP_3) | instskip(NEXT) | instid1(VALU_DEP_2)
	v_cmp_lt_i16_e64 s7, -1, v19
	v_xor_b32_e32 v18, v22, v18
	s_delay_alu instid0(VALU_DEP_2) | instskip(NEXT) | instid1(VALU_DEP_1)
	v_cndmask_b32_e64 v23, -1, 0xffff8000, s7
	v_xor_b32_e32 v19, v23, v19
	s_delay_alu instid0(VALU_DEP_1)
	v_cmp_le_u16_e64 s7, v18, v19
	s_and_b32 s15, s7, exec_lo
.LBB1739_229:
	s_or_b32 exec_lo, exec_lo, s13
	s_delay_alu instid0(SALU_CYCLE_1)
	s_or_not1_b32 s13, s15, exec_lo
.LBB1739_230:
	s_or_b32 exec_lo, exec_lo, s14
	s_delay_alu instid0(VALU_DEP_2)
	v_cndmask_b32_e64 v18, v20, v21, s13
	v_cndmask_b32_e64 v19, v31, v29, s13
	s_mov_b32 s15, -1
	s_mov_b32 s14, -1
	s_mov_b32 s16, exec_lo
	v_add_nc_u32_e32 v22, 1, v18
	s_delay_alu instid0(VALU_DEP_1) | instskip(SKIP_2) | instid1(VALU_DEP_3)
	v_add_min_u32_e64 v19, v19, -1, v22
	v_cndmask_b32_e64 v20, v22, v20, s13
	v_lshl_add_u32 v18, v18, 3, v1
	v_lshl_add_u32 v19, v19, 1, v5
	ds_load_u16 v23, v19
	ds_load_b64 v[18:19], v18 offset:4096
	s_wait_dscnt 0x1
	v_dual_cndmask_b32 v21, v21, v22, s13 :: v_dual_cndmask_b32 v38, v23, v37, s13
	v_cndmask_b32_e64 v48, v39, v23, s13
	v_cmpx_lt_u32_e64 v20, v31
	s_cbranch_execz .LBB1739_234
; %bb.231:
	s_mov_b32 s17, 0
	s_mov_b32 s14, exec_lo
	v_cmpx_lt_u32_e64 v21, v29
	s_cbranch_execz .LBB1739_233
; %bb.232:
	v_add_f16_e32 v22, 0, v38
	v_add_f16_e32 v23, 0, v48
	s_delay_alu instid0(VALU_DEP_2) | instskip(NEXT) | instid1(VALU_DEP_1)
	v_cmp_lt_i16_e64 s7, -1, v22
	v_cndmask_b32_e64 v24, -1, 0xffff8000, s7
	s_delay_alu instid0(VALU_DEP_3) | instskip(NEXT) | instid1(VALU_DEP_2)
	v_cmp_lt_i16_e64 s7, -1, v23
	v_xor_b32_e32 v22, v24, v22
	s_delay_alu instid0(VALU_DEP_2) | instskip(NEXT) | instid1(VALU_DEP_1)
	v_cndmask_b32_e64 v25, -1, 0xffff8000, s7
	v_xor_b32_e32 v23, v25, v23
	s_delay_alu instid0(VALU_DEP_1)
	v_cmp_le_u16_e64 s7, v22, v23
	s_and_b32 s17, s7, exec_lo
.LBB1739_233:
	s_or_b32 exec_lo, exec_lo, s14
	s_delay_alu instid0(SALU_CYCLE_1)
	s_or_not1_b32 s14, s17, exec_lo
.LBB1739_234:
	s_or_b32 exec_lo, exec_lo, s16
	v_cndmask_b32_e64 v22, v20, v21, s14
	v_cndmask_b32_e64 v23, v31, v29, s14
	s_mov_b32 s16, exec_lo
	s_delay_alu instid0(VALU_DEP_2) | instskip(NEXT) | instid1(VALU_DEP_1)
	v_add_nc_u32_e32 v25, 1, v22
	v_add_min_u32_e64 v23, v23, -1, v25
	v_cndmask_b32_e64 v24, v25, v20, s14
	v_lshl_add_u32 v22, v22, 3, v1
	v_cndmask_b32_e64 v25, v21, v25, s14
	s_delay_alu instid0(VALU_DEP_4)
	v_lshl_add_u32 v23, v23, 1, v5
	ds_load_u16 v49, v23
	ds_load_b64 v[22:23], v22 offset:4096
	s_wait_dscnt 0x1
	v_dual_cndmask_b32 v32, v49, v38, s14 :: v_dual_cndmask_b32 v49, v48, v49, s14
	v_cmpx_lt_u32_e64 v24, v31
	s_cbranch_execz .LBB1739_238
; %bb.235:
	s_mov_b32 s17, 0
	s_mov_b32 s15, exec_lo
	v_cmpx_lt_u32_e64 v25, v29
	s_cbranch_execz .LBB1739_237
; %bb.236:
	v_add_f16_e32 v20, 0, v32
	v_add_f16_e32 v21, 0, v49
	s_delay_alu instid0(VALU_DEP_2) | instskip(NEXT) | instid1(VALU_DEP_1)
	v_cmp_lt_i16_e64 s7, -1, v20
	v_cndmask_b32_e64 v50, -1, 0xffff8000, s7
	s_delay_alu instid0(VALU_DEP_3) | instskip(NEXT) | instid1(VALU_DEP_2)
	v_cmp_lt_i16_e64 s7, -1, v21
	v_xor_b32_e32 v20, v50, v20
	s_delay_alu instid0(VALU_DEP_2) | instskip(NEXT) | instid1(VALU_DEP_1)
	v_cndmask_b32_e64 v51, -1, 0xffff8000, s7
	v_xor_b32_e32 v21, v51, v21
	s_delay_alu instid0(VALU_DEP_1)
	v_cmp_le_u16_e64 s7, v20, v21
	s_and_b32 s17, s7, exec_lo
.LBB1739_237:
	s_or_b32 exec_lo, exec_lo, s15
	s_delay_alu instid0(SALU_CYCLE_1)
	s_or_not1_b32 s15, s17, exec_lo
.LBB1739_238:
	s_or_b32 exec_lo, exec_lo, s16
	v_cndmask_b32_e64 v20, v24, v25, s15
	v_cndmask_b32_e64 v21, v31, v29, s15
	s_mov_b32 s17, -1
	s_mov_b32 s16, exec_lo
	s_delay_alu instid0(VALU_DEP_2) | instskip(NEXT) | instid1(VALU_DEP_1)
	v_add_nc_u32_e32 v50, 1, v20
	v_add_min_u32_e64 v21, v21, -1, v50
	v_cndmask_b32_e64 v24, v50, v24, s15
	s_delay_alu instid0(VALU_DEP_2)
	v_lshl_add_u32 v5, v21, 1, v5
	ds_load_u16 v51, v5
	v_lshl_add_u32 v5, v20, 3, v1
	v_cndmask_b32_e64 v25, v25, v50, s15
	ds_load_b64 v[20:21], v5 offset:4096
	s_wait_dscnt 0x1
	v_dual_cndmask_b32 v5, v51, v32, s15 :: v_dual_cndmask_b32 v50, v49, v51, s15
	v_cmpx_lt_u32_e64 v24, v31
	s_cbranch_execz .LBB1739_242
; %bb.239:
	s_mov_b32 s18, 0
	s_mov_b32 s17, exec_lo
	v_cmpx_lt_u32_e64 v25, v29
	s_cbranch_execz .LBB1739_241
; %bb.240:
	v_add_f16_e32 v29, 0, v5
	v_add_f16_e32 v31, 0, v50
	s_delay_alu instid0(VALU_DEP_2) | instskip(NEXT) | instid1(VALU_DEP_1)
	v_cmp_lt_i16_e64 s7, -1, v29
	v_cndmask_b32_e64 v51, -1, 0xffff8000, s7
	s_delay_alu instid0(VALU_DEP_3) | instskip(NEXT) | instid1(VALU_DEP_2)
	v_cmp_lt_i16_e64 s7, -1, v31
	v_xor_b32_e32 v29, v51, v29
	s_delay_alu instid0(VALU_DEP_2) | instskip(NEXT) | instid1(VALU_DEP_1)
	v_cndmask_b32_e64 v52, -1, 0xffff8000, s7
	v_xor_b32_e32 v31, v52, v31
	s_delay_alu instid0(VALU_DEP_1)
	v_cmp_le_u16_e64 s7, v29, v31
	s_and_b32 s18, s7, exec_lo
.LBB1739_241:
	s_or_b32 exec_lo, exec_lo, s17
	s_delay_alu instid0(SALU_CYCLE_1)
	s_or_not1_b32 s17, s18, exec_lo
.LBB1739_242:
	s_or_b32 exec_lo, exec_lo, s16
	v_dual_cndmask_b32 v24, v24, v25, s17 :: v_dual_cndmask_b32 v38, v38, v48, s14
	v_dual_cndmask_b32 v32, v32, v49, s15 :: v_dual_cndmask_b32 v48, v37, v39, s13
	;; [unrolled: 1-line block ×3, first 2 shown]
	s_delay_alu instid0(VALU_DEP_3)
	v_lshl_add_u32 v1, v24, 3, v1
	v_cndmask_b32_e64 v39, v28, v34, s8
	v_cndmask_b32_e64 v36, v27, v26, s10
	;; [unrolled: 1-line block ×3, first 2 shown]
	ds_load_b64 v[24:25], v1 offset:4096
.LBB1739_243:
	s_or_b32 exec_lo, exec_lo, s9
	v_lshl_add_u64 v[2:3], v[8:9], 1, v[2:3]
	v_mov_b32_e32 v1, 0
	; wave barrier
	s_wait_storecnt_dscnt 0x0
	s_barrier_signal -1
	s_delay_alu instid0(VALU_DEP_1)
	v_add_nc_u64_e32 v[0:1], v[2:3], v[0:1]
	s_barrier_wait -1
	; wave barrier
	s_and_saveexec_b32 s7, vcc_lo
	s_cbranch_execnz .LBB1739_268
; %bb.244:
	s_or_b32 exec_lo, exec_lo, s7
	s_and_saveexec_b32 s7, s0
	s_cbranch_execnz .LBB1739_269
.LBB1739_245:
	s_or_b32 exec_lo, exec_lo, s7
	s_and_saveexec_b32 s7, s1
	s_cbranch_execnz .LBB1739_270
.LBB1739_246:
	s_or_b32 exec_lo, exec_lo, s7
	s_and_saveexec_b32 s7, s2
	s_cbranch_execnz .LBB1739_271
.LBB1739_247:
	s_or_b32 exec_lo, exec_lo, s7
	s_and_saveexec_b32 s7, s3
	s_cbranch_execnz .LBB1739_272
.LBB1739_248:
	s_or_b32 exec_lo, exec_lo, s7
	s_and_saveexec_b32 s7, s4
	s_cbranch_execnz .LBB1739_273
.LBB1739_249:
	s_or_b32 exec_lo, exec_lo, s7
	s_and_saveexec_b32 s7, s5
	s_cbranch_execnz .LBB1739_274
.LBB1739_250:
	s_or_b32 exec_lo, exec_lo, s7
	s_and_saveexec_b32 s7, s6
	s_cbranch_execz .LBB1739_252
.LBB1739_251:
	flat_store_b16 v[0:1], v37 offset:14
.LBB1739_252:
	s_wait_xcnt 0x0
	s_or_b32 exec_lo, exec_lo, s7
	v_lshl_add_u64 v[0:1], v[8:9], 3, v[6:7]
	v_mov_b32_e32 v5, 0
	; wave barrier
	s_delay_alu instid0(VALU_DEP_1)
	v_add_nc_u64_e32 v[0:1], v[0:1], v[4:5]
	s_and_saveexec_b32 s7, vcc_lo
	s_cbranch_execnz .LBB1739_275
; %bb.253:
	s_or_b32 exec_lo, exec_lo, s7
	s_and_saveexec_b32 s7, s0
	s_cbranch_execnz .LBB1739_276
.LBB1739_254:
	s_or_b32 exec_lo, exec_lo, s7
	s_and_saveexec_b32 s0, s1
	s_cbranch_execnz .LBB1739_277
.LBB1739_255:
	s_or_b32 exec_lo, exec_lo, s0
	s_and_saveexec_b32 s0, s2
	s_cbranch_execnz .LBB1739_278
.LBB1739_256:
	s_or_b32 exec_lo, exec_lo, s0
	s_and_saveexec_b32 s0, s3
	s_cbranch_execnz .LBB1739_279
.LBB1739_257:
	s_or_b32 exec_lo, exec_lo, s0
	s_and_saveexec_b32 s0, s4
	s_cbranch_execnz .LBB1739_280
.LBB1739_258:
	s_or_b32 exec_lo, exec_lo, s0
	s_and_saveexec_b32 s0, s5
	s_cbranch_execnz .LBB1739_281
.LBB1739_259:
	s_or_b32 exec_lo, exec_lo, s0
	s_and_saveexec_b32 s0, s6
	s_cbranch_execnz .LBB1739_282
.LBB1739_260:
	s_or_b32 exec_lo, exec_lo, s0
	s_wait_dscnt 0x0
	s_set_pc_i64 s[30:31]
.LBB1739_261:
	flat_load_b64 v[10:11], v[26:27]
	s_wait_xcnt 0x0
	s_or_b32 exec_lo, exec_lo, s7
                                        ; implicit-def: $vgpr12_vgpr13
	s_and_saveexec_b32 s7, s0
	s_cbranch_execz .LBB1739_18
.LBB1739_262:
	flat_load_b64 v[12:13], v[26:27] offset:8
	s_wait_xcnt 0x0
	s_or_b32 exec_lo, exec_lo, s7
                                        ; implicit-def: $vgpr14_vgpr15
	s_and_saveexec_b32 s7, s1
	s_cbranch_execz .LBB1739_19
.LBB1739_263:
	flat_load_b64 v[14:15], v[26:27] offset:16
	s_wait_xcnt 0x0
	s_or_b32 exec_lo, exec_lo, s7
                                        ; implicit-def: $vgpr16_vgpr17
	s_and_saveexec_b32 s7, s2
	s_cbranch_execz .LBB1739_20
.LBB1739_264:
	flat_load_b64 v[16:17], v[26:27] offset:24
	s_wait_xcnt 0x0
	s_or_b32 exec_lo, exec_lo, s7
                                        ; implicit-def: $vgpr18_vgpr19
	s_and_saveexec_b32 s7, s3
	s_cbranch_execz .LBB1739_21
.LBB1739_265:
	flat_load_b64 v[18:19], v[26:27] offset:32
	s_wait_xcnt 0x0
	s_or_b32 exec_lo, exec_lo, s7
                                        ; implicit-def: $vgpr22_vgpr23
	s_and_saveexec_b32 s7, s4
	s_cbranch_execz .LBB1739_22
.LBB1739_266:
	flat_load_b64 v[22:23], v[26:27] offset:40
	s_wait_xcnt 0x0
	s_or_b32 exec_lo, exec_lo, s7
                                        ; implicit-def: $vgpr20_vgpr21
	s_and_saveexec_b32 s7, s5
	s_cbranch_execz .LBB1739_23
.LBB1739_267:
	flat_load_b64 v[20:21], v[26:27] offset:48
	s_wait_xcnt 0x0
	s_or_b32 exec_lo, exec_lo, s7
                                        ; implicit-def: $vgpr24_vgpr25
	s_and_saveexec_b32 s7, s6
	s_cbranch_execnz .LBB1739_24
	s_branch .LBB1739_25
.LBB1739_268:
	flat_store_b16 v[0:1], v36
	s_wait_xcnt 0x0
	s_or_b32 exec_lo, exec_lo, s7
	s_and_saveexec_b32 s7, s0
	s_cbranch_execz .LBB1739_245
.LBB1739_269:
	flat_store_b16 v[0:1], v39 offset:2
	s_wait_xcnt 0x0
	s_or_b32 exec_lo, exec_lo, s7
	s_and_saveexec_b32 s7, s1
	s_cbranch_execz .LBB1739_246
.LBB1739_270:
	flat_store_b16 v[0:1], v30 offset:4
	s_wait_xcnt 0x0
	s_or_b32 exec_lo, exec_lo, s7
	s_and_saveexec_b32 s7, s2
	s_cbranch_execz .LBB1739_247
.LBB1739_271:
	flat_store_b16 v[0:1], v33 offset:6
	s_wait_xcnt 0x0
	s_or_b32 exec_lo, exec_lo, s7
	s_and_saveexec_b32 s7, s3
	s_cbranch_execz .LBB1739_248
.LBB1739_272:
	flat_store_b16 v[0:1], v48 offset:8
	s_wait_xcnt 0x0
	s_or_b32 exec_lo, exec_lo, s7
	s_and_saveexec_b32 s7, s4
	s_cbranch_execz .LBB1739_249
.LBB1739_273:
	flat_store_b16 v[0:1], v38 offset:10
	s_wait_xcnt 0x0
	s_or_b32 exec_lo, exec_lo, s7
	s_and_saveexec_b32 s7, s5
	s_cbranch_execz .LBB1739_250
.LBB1739_274:
	flat_store_b16 v[0:1], v32 offset:12
	s_wait_xcnt 0x0
	s_or_b32 exec_lo, exec_lo, s7
	s_and_saveexec_b32 s7, s6
	s_cbranch_execnz .LBB1739_251
	s_branch .LBB1739_252
.LBB1739_275:
	flat_store_b64 v[0:1], v[10:11]
	s_wait_xcnt 0x0
	s_or_b32 exec_lo, exec_lo, s7
	s_and_saveexec_b32 s7, s0
	s_cbranch_execz .LBB1739_254
.LBB1739_276:
	flat_store_b64 v[0:1], v[12:13] offset:8
	s_wait_xcnt 0x0
	s_or_b32 exec_lo, exec_lo, s7
	s_and_saveexec_b32 s0, s1
	s_cbranch_execz .LBB1739_255
.LBB1739_277:
	flat_store_b64 v[0:1], v[14:15] offset:16
	s_wait_xcnt 0x0
	s_or_b32 exec_lo, exec_lo, s0
	s_and_saveexec_b32 s0, s2
	s_cbranch_execz .LBB1739_256
.LBB1739_278:
	flat_store_b64 v[0:1], v[16:17] offset:24
	s_wait_xcnt 0x0
	s_or_b32 exec_lo, exec_lo, s0
	s_and_saveexec_b32 s0, s3
	s_cbranch_execz .LBB1739_257
.LBB1739_279:
	flat_store_b64 v[0:1], v[18:19] offset:32
	s_wait_xcnt 0x0
	s_or_b32 exec_lo, exec_lo, s0
	s_and_saveexec_b32 s0, s4
	s_cbranch_execz .LBB1739_258
.LBB1739_280:
	flat_store_b64 v[0:1], v[22:23] offset:40
	s_wait_xcnt 0x0
	s_or_b32 exec_lo, exec_lo, s0
	s_and_saveexec_b32 s0, s5
	s_cbranch_execz .LBB1739_259
.LBB1739_281:
	flat_store_b64 v[0:1], v[20:21] offset:48
	s_wait_xcnt 0x0
	s_or_b32 exec_lo, exec_lo, s0
	s_and_saveexec_b32 s0, s6
	s_cbranch_execz .LBB1739_260
.LBB1739_282:
	flat_store_b64 v[0:1], v[24:25] offset:56
	s_wait_xcnt 0x0
	s_or_b32 exec_lo, exec_lo, s0
	s_wait_dscnt 0x0
	s_set_pc_i64 s[30:31]
.Lfunc_end1739:
	.size	_ZN7rocprim17ROCPRIM_400000_NS6detail26segmented_warp_sort_helperINS1_20WarpSortHelperConfigILj16ELj8ELj256EEE6__halflLi256ELb1EvE4sortIPKS5_PS5_PKlPlEEvT_T0_T1_T2_jjjjRNS6_12storage_typeE, .Lfunc_end1739-_ZN7rocprim17ROCPRIM_400000_NS6detail26segmented_warp_sort_helperINS1_20WarpSortHelperConfigILj16ELj8ELj256EEE6__halflLi256ELb1EvE4sortIPKS5_PS5_PKlPlEEvT_T0_T1_T2_jjjjRNS6_12storage_typeE
                                        ; -- End function
	.set .L_ZN7rocprim17ROCPRIM_400000_NS6detail26segmented_warp_sort_helperINS1_20WarpSortHelperConfigILj16ELj8ELj256EEE6__halflLi256ELb1EvE4sortIPKS5_PS5_PKlPlEEvT_T0_T1_T2_jjjjRNS6_12storage_typeE.num_vgpr, 68
	.set .L_ZN7rocprim17ROCPRIM_400000_NS6detail26segmented_warp_sort_helperINS1_20WarpSortHelperConfigILj16ELj8ELj256EEE6__halflLi256ELb1EvE4sortIPKS5_PS5_PKlPlEEvT_T0_T1_T2_jjjjRNS6_12storage_typeE.num_agpr, 0
	.set .L_ZN7rocprim17ROCPRIM_400000_NS6detail26segmented_warp_sort_helperINS1_20WarpSortHelperConfigILj16ELj8ELj256EEE6__halflLi256ELb1EvE4sortIPKS5_PS5_PKlPlEEvT_T0_T1_T2_jjjjRNS6_12storage_typeE.numbered_sgpr, 32
	.set .L_ZN7rocprim17ROCPRIM_400000_NS6detail26segmented_warp_sort_helperINS1_20WarpSortHelperConfigILj16ELj8ELj256EEE6__halflLi256ELb1EvE4sortIPKS5_PS5_PKlPlEEvT_T0_T1_T2_jjjjRNS6_12storage_typeE.num_named_barrier, 0
	.set .L_ZN7rocprim17ROCPRIM_400000_NS6detail26segmented_warp_sort_helperINS1_20WarpSortHelperConfigILj16ELj8ELj256EEE6__halflLi256ELb1EvE4sortIPKS5_PS5_PKlPlEEvT_T0_T1_T2_jjjjRNS6_12storage_typeE.private_seg_size, 0
	.set .L_ZN7rocprim17ROCPRIM_400000_NS6detail26segmented_warp_sort_helperINS1_20WarpSortHelperConfigILj16ELj8ELj256EEE6__halflLi256ELb1EvE4sortIPKS5_PS5_PKlPlEEvT_T0_T1_T2_jjjjRNS6_12storage_typeE.uses_vcc, 1
	.set .L_ZN7rocprim17ROCPRIM_400000_NS6detail26segmented_warp_sort_helperINS1_20WarpSortHelperConfigILj16ELj8ELj256EEE6__halflLi256ELb1EvE4sortIPKS5_PS5_PKlPlEEvT_T0_T1_T2_jjjjRNS6_12storage_typeE.uses_flat_scratch, 0
	.set .L_ZN7rocprim17ROCPRIM_400000_NS6detail26segmented_warp_sort_helperINS1_20WarpSortHelperConfigILj16ELj8ELj256EEE6__halflLi256ELb1EvE4sortIPKS5_PS5_PKlPlEEvT_T0_T1_T2_jjjjRNS6_12storage_typeE.has_dyn_sized_stack, 0
	.set .L_ZN7rocprim17ROCPRIM_400000_NS6detail26segmented_warp_sort_helperINS1_20WarpSortHelperConfigILj16ELj8ELj256EEE6__halflLi256ELb1EvE4sortIPKS5_PS5_PKlPlEEvT_T0_T1_T2_jjjjRNS6_12storage_typeE.has_recursion, 0
	.set .L_ZN7rocprim17ROCPRIM_400000_NS6detail26segmented_warp_sort_helperINS1_20WarpSortHelperConfigILj16ELj8ELj256EEE6__halflLi256ELb1EvE4sortIPKS5_PS5_PKlPlEEvT_T0_T1_T2_jjjjRNS6_12storage_typeE.has_indirect_call, 0
	.section	.AMDGPU.csdata,"",@progbits
; Function info:
; codeLenInByte = 14696
; TotalNumSgprs: 34
; NumVgprs: 68
; ScratchSize: 0
; MemoryBound: 0
	.section	.text._ZN7rocprim17ROCPRIM_400000_NS6detail17trampoline_kernelINS0_14default_configENS1_36segmented_radix_sort_config_selectorI6__halflEEZNS1_25segmented_radix_sort_implIS3_Lb1EPKS5_PS5_PKlPlN2at6native12_GLOBAL__N_18offset_tEEE10hipError_tPvRmT1_PNSt15iterator_traitsISL_E10value_typeET2_T3_PNSM_ISR_E10value_typeET4_jRbjT5_SX_jjP12ihipStream_tbEUlT_E0_NS1_11comp_targetILNS1_3genE0ELNS1_11target_archE4294967295ELNS1_3gpuE0ELNS1_3repE0EEENS1_60segmented_radix_sort_warp_sort_medium_config_static_selectorELNS0_4arch9wavefront6targetE0EEEvSL_,"axG",@progbits,_ZN7rocprim17ROCPRIM_400000_NS6detail17trampoline_kernelINS0_14default_configENS1_36segmented_radix_sort_config_selectorI6__halflEEZNS1_25segmented_radix_sort_implIS3_Lb1EPKS5_PS5_PKlPlN2at6native12_GLOBAL__N_18offset_tEEE10hipError_tPvRmT1_PNSt15iterator_traitsISL_E10value_typeET2_T3_PNSM_ISR_E10value_typeET4_jRbjT5_SX_jjP12ihipStream_tbEUlT_E0_NS1_11comp_targetILNS1_3genE0ELNS1_11target_archE4294967295ELNS1_3gpuE0ELNS1_3repE0EEENS1_60segmented_radix_sort_warp_sort_medium_config_static_selectorELNS0_4arch9wavefront6targetE0EEEvSL_,comdat
	.globl	_ZN7rocprim17ROCPRIM_400000_NS6detail17trampoline_kernelINS0_14default_configENS1_36segmented_radix_sort_config_selectorI6__halflEEZNS1_25segmented_radix_sort_implIS3_Lb1EPKS5_PS5_PKlPlN2at6native12_GLOBAL__N_18offset_tEEE10hipError_tPvRmT1_PNSt15iterator_traitsISL_E10value_typeET2_T3_PNSM_ISR_E10value_typeET4_jRbjT5_SX_jjP12ihipStream_tbEUlT_E0_NS1_11comp_targetILNS1_3genE0ELNS1_11target_archE4294967295ELNS1_3gpuE0ELNS1_3repE0EEENS1_60segmented_radix_sort_warp_sort_medium_config_static_selectorELNS0_4arch9wavefront6targetE0EEEvSL_ ; -- Begin function _ZN7rocprim17ROCPRIM_400000_NS6detail17trampoline_kernelINS0_14default_configENS1_36segmented_radix_sort_config_selectorI6__halflEEZNS1_25segmented_radix_sort_implIS3_Lb1EPKS5_PS5_PKlPlN2at6native12_GLOBAL__N_18offset_tEEE10hipError_tPvRmT1_PNSt15iterator_traitsISL_E10value_typeET2_T3_PNSM_ISR_E10value_typeET4_jRbjT5_SX_jjP12ihipStream_tbEUlT_E0_NS1_11comp_targetILNS1_3genE0ELNS1_11target_archE4294967295ELNS1_3gpuE0ELNS1_3repE0EEENS1_60segmented_radix_sort_warp_sort_medium_config_static_selectorELNS0_4arch9wavefront6targetE0EEEvSL_
	.p2align	8
	.type	_ZN7rocprim17ROCPRIM_400000_NS6detail17trampoline_kernelINS0_14default_configENS1_36segmented_radix_sort_config_selectorI6__halflEEZNS1_25segmented_radix_sort_implIS3_Lb1EPKS5_PS5_PKlPlN2at6native12_GLOBAL__N_18offset_tEEE10hipError_tPvRmT1_PNSt15iterator_traitsISL_E10value_typeET2_T3_PNSM_ISR_E10value_typeET4_jRbjT5_SX_jjP12ihipStream_tbEUlT_E0_NS1_11comp_targetILNS1_3genE0ELNS1_11target_archE4294967295ELNS1_3gpuE0ELNS1_3repE0EEENS1_60segmented_radix_sort_warp_sort_medium_config_static_selectorELNS0_4arch9wavefront6targetE0EEEvSL_,@function
_ZN7rocprim17ROCPRIM_400000_NS6detail17trampoline_kernelINS0_14default_configENS1_36segmented_radix_sort_config_selectorI6__halflEEZNS1_25segmented_radix_sort_implIS3_Lb1EPKS5_PS5_PKlPlN2at6native12_GLOBAL__N_18offset_tEEE10hipError_tPvRmT1_PNSt15iterator_traitsISL_E10value_typeET2_T3_PNSM_ISR_E10value_typeET4_jRbjT5_SX_jjP12ihipStream_tbEUlT_E0_NS1_11comp_targetILNS1_3genE0ELNS1_11target_archE4294967295ELNS1_3gpuE0ELNS1_3repE0EEENS1_60segmented_radix_sort_warp_sort_medium_config_static_selectorELNS0_4arch9wavefront6targetE0EEEvSL_: ; @_ZN7rocprim17ROCPRIM_400000_NS6detail17trampoline_kernelINS0_14default_configENS1_36segmented_radix_sort_config_selectorI6__halflEEZNS1_25segmented_radix_sort_implIS3_Lb1EPKS5_PS5_PKlPlN2at6native12_GLOBAL__N_18offset_tEEE10hipError_tPvRmT1_PNSt15iterator_traitsISL_E10value_typeET2_T3_PNSM_ISR_E10value_typeET4_jRbjT5_SX_jjP12ihipStream_tbEUlT_E0_NS1_11comp_targetILNS1_3genE0ELNS1_11target_archE4294967295ELNS1_3gpuE0ELNS1_3repE0EEENS1_60segmented_radix_sort_warp_sort_medium_config_static_selectorELNS0_4arch9wavefront6targetE0EEEvSL_
; %bb.0:
	s_load_b32 s4, s[2:3], 0x64
	v_bfe_u32 v1, v0, 10, 10
	v_bfe_u32 v2, v0, 20, 10
	v_and_b32_e32 v3, 0x3ff, v0
	s_and_b32 s6, ttmp6, 15
	s_getreg_b32 s7, hwreg(HW_REG_IB_STS2, 6, 4)
	s_mov_b32 s32, 0
	s_wait_kmcnt 0x0
	s_lshr_b32 s5, s4, 16
	s_and_b32 s4, s4, 0xffff
	v_mad_u32_u24 v1, v2, s5, v1
	s_bfe_u32 s5, ttmp6, 0x4000c
	s_delay_alu instid0(SALU_CYCLE_1) | instskip(NEXT) | instid1(SALU_CYCLE_1)
	s_add_co_i32 s5, s5, 1
	s_mul_i32 s5, ttmp9, s5
	s_delay_alu instid0(VALU_DEP_1) | instskip(SKIP_4) | instid1(VALU_DEP_1)
	v_mad_u32 v1, v1, s4, v3
	s_load_b32 s4, s[2:3], 0x34
	s_add_co_i32 s6, s6, s5
	s_cmp_eq_u32 s7, 0
	s_cselect_b32 s5, ttmp9, s6
	v_lshrrev_b32_e32 v1, 4, v1
	s_delay_alu instid0(VALU_DEP_1) | instskip(SKIP_1) | instid1(VALU_DEP_1)
	v_lshl_add_u32 v1, s5, 4, v1
	s_wait_kmcnt 0x0
	v_cmp_gt_u32_e32 vcc_lo, s4, v1
	s_and_saveexec_b32 s4, vcc_lo
	s_cbranch_execz .LBB1740_6
; %bb.1:
	s_clause 0x1
	s_load_b64 s[8:9], s[2:3], 0x38
	s_load_b128 s[4:7], s[2:3], 0x40
	s_wait_kmcnt 0x0
	global_load_b32 v1, v1, s[8:9] scale_offset
	s_wait_loadcnt 0x0
	v_dual_add_nc_u32 v2, s5, v1 :: v_dual_add_nc_u32 v1, s7, v1
	s_delay_alu instid0(VALU_DEP_1) | instskip(NEXT) | instid1(VALU_DEP_2)
	v_mul_lo_u32 v8, v2, s4
	v_mul_lo_u32 v40, v1, s6
	s_delay_alu instid0(VALU_DEP_1)
	v_cmp_gt_u32_e32 vcc_lo, v40, v8
	s_and_b32 exec_lo, exec_lo, vcc_lo
	s_cbranch_execz .LBB1740_6
; %bb.2:
	s_clause 0x2
	s_load_b32 s4, s[2:3], 0x30
	s_load_b128 s[24:27], s[2:3], 0x20
	s_load_b256 s[36:43], s[2:3], 0x0
	s_add_nc_u64 s[20:21], s[2:3], 0x58
	s_get_pc_i64 s[22:23]
	s_add_nc_u64 s[22:23], s[22:23], _ZN7rocprim17ROCPRIM_400000_NS6detail26segmented_warp_sort_helperINS1_20WarpSortHelperConfigILj16ELj8ELj256EEE6__halflLi256ELb1EvE4sortIPKS5_PS5_PKlPlEEvT_T0_T1_T2_jjjjRNS6_12storage_typeE@rel64+4
	s_wait_kmcnt 0x0
	s_bitcmp0_b32 s4, 0
	s_mov_b32 s4, -1
	s_cbranch_scc0 .LBB1740_4
; %bb.3:
	v_dual_mov_b32 v31, v0 :: v_dual_mov_b32 v41, v0
	v_dual_mov_b32 v0, s36 :: v_dual_mov_b32 v1, s37
	;; [unrolled: 1-line block ×5, first 2 shown]
	v_mov_b32_e32 v9, v40
	s_mov_b64 s[6:7], s[0:1]
	s_mov_b64 s[8:9], s[20:21]
	s_mov_b64 s[24:25], s[0:1]
	s_swap_pc_i64 s[30:31], s[22:23]
	v_mov_b32_e32 v0, v41
	s_mov_b64 s[0:1], s[24:25]
	s_mov_b32 s4, 0
.LBB1740_4:
	s_delay_alu instid0(SALU_CYCLE_1)
	s_and_not1_b32 vcc_lo, exec_lo, s4
	s_cbranch_vccnz .LBB1740_6
; %bb.5:
	v_dual_mov_b32 v31, v0 :: v_dual_mov_b32 v0, s36
	v_dual_mov_b32 v1, s37 :: v_dual_mov_b32 v2, s40
	;; [unrolled: 1-line block ×5, first 2 shown]
	s_mov_b64 s[6:7], s[0:1]
	s_mov_b64 s[8:9], s[20:21]
	s_swap_pc_i64 s[30:31], s[22:23]
.LBB1740_6:
	s_endpgm
	.section	.rodata,"a",@progbits
	.p2align	6, 0x0
	.amdhsa_kernel _ZN7rocprim17ROCPRIM_400000_NS6detail17trampoline_kernelINS0_14default_configENS1_36segmented_radix_sort_config_selectorI6__halflEEZNS1_25segmented_radix_sort_implIS3_Lb1EPKS5_PS5_PKlPlN2at6native12_GLOBAL__N_18offset_tEEE10hipError_tPvRmT1_PNSt15iterator_traitsISL_E10value_typeET2_T3_PNSM_ISR_E10value_typeET4_jRbjT5_SX_jjP12ihipStream_tbEUlT_E0_NS1_11comp_targetILNS1_3genE0ELNS1_11target_archE4294967295ELNS1_3gpuE0ELNS1_3repE0EEENS1_60segmented_radix_sort_warp_sort_medium_config_static_selectorELNS0_4arch9wavefront6targetE0EEEvSL_
		.amdhsa_group_segment_fixed_size 20480
		.amdhsa_private_segment_fixed_size 0
		.amdhsa_kernarg_size 344
		.amdhsa_user_sgpr_count 4
		.amdhsa_user_sgpr_dispatch_ptr 0
		.amdhsa_user_sgpr_queue_ptr 1
		.amdhsa_user_sgpr_kernarg_segment_ptr 1
		.amdhsa_user_sgpr_dispatch_id 0
		.amdhsa_user_sgpr_kernarg_preload_length 0
		.amdhsa_user_sgpr_kernarg_preload_offset 0
		.amdhsa_user_sgpr_private_segment_size 0
		.amdhsa_wavefront_size32 1
		.amdhsa_uses_dynamic_stack 0
		.amdhsa_enable_private_segment 0
		.amdhsa_system_sgpr_workgroup_id_x 1
		.amdhsa_system_sgpr_workgroup_id_y 1
		.amdhsa_system_sgpr_workgroup_id_z 0
		.amdhsa_system_sgpr_workgroup_info 0
		.amdhsa_system_vgpr_workitem_id 2
		.amdhsa_next_free_vgpr 68
		.amdhsa_next_free_sgpr 44
		.amdhsa_named_barrier_count 0
		.amdhsa_reserve_vcc 1
		.amdhsa_float_round_mode_32 0
		.amdhsa_float_round_mode_16_64 0
		.amdhsa_float_denorm_mode_32 3
		.amdhsa_float_denorm_mode_16_64 3
		.amdhsa_fp16_overflow 0
		.amdhsa_memory_ordered 1
		.amdhsa_forward_progress 1
		.amdhsa_inst_pref_size 4
		.amdhsa_round_robin_scheduling 0
		.amdhsa_exception_fp_ieee_invalid_op 0
		.amdhsa_exception_fp_denorm_src 0
		.amdhsa_exception_fp_ieee_div_zero 0
		.amdhsa_exception_fp_ieee_overflow 0
		.amdhsa_exception_fp_ieee_underflow 0
		.amdhsa_exception_fp_ieee_inexact 0
		.amdhsa_exception_int_div_zero 0
	.end_amdhsa_kernel
	.section	.text._ZN7rocprim17ROCPRIM_400000_NS6detail17trampoline_kernelINS0_14default_configENS1_36segmented_radix_sort_config_selectorI6__halflEEZNS1_25segmented_radix_sort_implIS3_Lb1EPKS5_PS5_PKlPlN2at6native12_GLOBAL__N_18offset_tEEE10hipError_tPvRmT1_PNSt15iterator_traitsISL_E10value_typeET2_T3_PNSM_ISR_E10value_typeET4_jRbjT5_SX_jjP12ihipStream_tbEUlT_E0_NS1_11comp_targetILNS1_3genE0ELNS1_11target_archE4294967295ELNS1_3gpuE0ELNS1_3repE0EEENS1_60segmented_radix_sort_warp_sort_medium_config_static_selectorELNS0_4arch9wavefront6targetE0EEEvSL_,"axG",@progbits,_ZN7rocprim17ROCPRIM_400000_NS6detail17trampoline_kernelINS0_14default_configENS1_36segmented_radix_sort_config_selectorI6__halflEEZNS1_25segmented_radix_sort_implIS3_Lb1EPKS5_PS5_PKlPlN2at6native12_GLOBAL__N_18offset_tEEE10hipError_tPvRmT1_PNSt15iterator_traitsISL_E10value_typeET2_T3_PNSM_ISR_E10value_typeET4_jRbjT5_SX_jjP12ihipStream_tbEUlT_E0_NS1_11comp_targetILNS1_3genE0ELNS1_11target_archE4294967295ELNS1_3gpuE0ELNS1_3repE0EEENS1_60segmented_radix_sort_warp_sort_medium_config_static_selectorELNS0_4arch9wavefront6targetE0EEEvSL_,comdat
.Lfunc_end1740:
	.size	_ZN7rocprim17ROCPRIM_400000_NS6detail17trampoline_kernelINS0_14default_configENS1_36segmented_radix_sort_config_selectorI6__halflEEZNS1_25segmented_radix_sort_implIS3_Lb1EPKS5_PS5_PKlPlN2at6native12_GLOBAL__N_18offset_tEEE10hipError_tPvRmT1_PNSt15iterator_traitsISL_E10value_typeET2_T3_PNSM_ISR_E10value_typeET4_jRbjT5_SX_jjP12ihipStream_tbEUlT_E0_NS1_11comp_targetILNS1_3genE0ELNS1_11target_archE4294967295ELNS1_3gpuE0ELNS1_3repE0EEENS1_60segmented_radix_sort_warp_sort_medium_config_static_selectorELNS0_4arch9wavefront6targetE0EEEvSL_, .Lfunc_end1740-_ZN7rocprim17ROCPRIM_400000_NS6detail17trampoline_kernelINS0_14default_configENS1_36segmented_radix_sort_config_selectorI6__halflEEZNS1_25segmented_radix_sort_implIS3_Lb1EPKS5_PS5_PKlPlN2at6native12_GLOBAL__N_18offset_tEEE10hipError_tPvRmT1_PNSt15iterator_traitsISL_E10value_typeET2_T3_PNSM_ISR_E10value_typeET4_jRbjT5_SX_jjP12ihipStream_tbEUlT_E0_NS1_11comp_targetILNS1_3genE0ELNS1_11target_archE4294967295ELNS1_3gpuE0ELNS1_3repE0EEENS1_60segmented_radix_sort_warp_sort_medium_config_static_selectorELNS0_4arch9wavefront6targetE0EEEvSL_
                                        ; -- End function
	.set _ZN7rocprim17ROCPRIM_400000_NS6detail17trampoline_kernelINS0_14default_configENS1_36segmented_radix_sort_config_selectorI6__halflEEZNS1_25segmented_radix_sort_implIS3_Lb1EPKS5_PS5_PKlPlN2at6native12_GLOBAL__N_18offset_tEEE10hipError_tPvRmT1_PNSt15iterator_traitsISL_E10value_typeET2_T3_PNSM_ISR_E10value_typeET4_jRbjT5_SX_jjP12ihipStream_tbEUlT_E0_NS1_11comp_targetILNS1_3genE0ELNS1_11target_archE4294967295ELNS1_3gpuE0ELNS1_3repE0EEENS1_60segmented_radix_sort_warp_sort_medium_config_static_selectorELNS0_4arch9wavefront6targetE0EEEvSL_.num_vgpr, max(42, .L_ZN7rocprim17ROCPRIM_400000_NS6detail26segmented_warp_sort_helperINS1_20WarpSortHelperConfigILj16ELj8ELj256EEE6__halflLi256ELb1EvE4sortIPKS5_PS5_PKlPlEEvT_T0_T1_T2_jjjjRNS6_12storage_typeE.num_vgpr)
	.set _ZN7rocprim17ROCPRIM_400000_NS6detail17trampoline_kernelINS0_14default_configENS1_36segmented_radix_sort_config_selectorI6__halflEEZNS1_25segmented_radix_sort_implIS3_Lb1EPKS5_PS5_PKlPlN2at6native12_GLOBAL__N_18offset_tEEE10hipError_tPvRmT1_PNSt15iterator_traitsISL_E10value_typeET2_T3_PNSM_ISR_E10value_typeET4_jRbjT5_SX_jjP12ihipStream_tbEUlT_E0_NS1_11comp_targetILNS1_3genE0ELNS1_11target_archE4294967295ELNS1_3gpuE0ELNS1_3repE0EEENS1_60segmented_radix_sort_warp_sort_medium_config_static_selectorELNS0_4arch9wavefront6targetE0EEEvSL_.num_agpr, max(0, .L_ZN7rocprim17ROCPRIM_400000_NS6detail26segmented_warp_sort_helperINS1_20WarpSortHelperConfigILj16ELj8ELj256EEE6__halflLi256ELb1EvE4sortIPKS5_PS5_PKlPlEEvT_T0_T1_T2_jjjjRNS6_12storage_typeE.num_agpr)
	.set _ZN7rocprim17ROCPRIM_400000_NS6detail17trampoline_kernelINS0_14default_configENS1_36segmented_radix_sort_config_selectorI6__halflEEZNS1_25segmented_radix_sort_implIS3_Lb1EPKS5_PS5_PKlPlN2at6native12_GLOBAL__N_18offset_tEEE10hipError_tPvRmT1_PNSt15iterator_traitsISL_E10value_typeET2_T3_PNSM_ISR_E10value_typeET4_jRbjT5_SX_jjP12ihipStream_tbEUlT_E0_NS1_11comp_targetILNS1_3genE0ELNS1_11target_archE4294967295ELNS1_3gpuE0ELNS1_3repE0EEENS1_60segmented_radix_sort_warp_sort_medium_config_static_selectorELNS0_4arch9wavefront6targetE0EEEvSL_.numbered_sgpr, max(44, .L_ZN7rocprim17ROCPRIM_400000_NS6detail26segmented_warp_sort_helperINS1_20WarpSortHelperConfigILj16ELj8ELj256EEE6__halflLi256ELb1EvE4sortIPKS5_PS5_PKlPlEEvT_T0_T1_T2_jjjjRNS6_12storage_typeE.numbered_sgpr)
	.set _ZN7rocprim17ROCPRIM_400000_NS6detail17trampoline_kernelINS0_14default_configENS1_36segmented_radix_sort_config_selectorI6__halflEEZNS1_25segmented_radix_sort_implIS3_Lb1EPKS5_PS5_PKlPlN2at6native12_GLOBAL__N_18offset_tEEE10hipError_tPvRmT1_PNSt15iterator_traitsISL_E10value_typeET2_T3_PNSM_ISR_E10value_typeET4_jRbjT5_SX_jjP12ihipStream_tbEUlT_E0_NS1_11comp_targetILNS1_3genE0ELNS1_11target_archE4294967295ELNS1_3gpuE0ELNS1_3repE0EEENS1_60segmented_radix_sort_warp_sort_medium_config_static_selectorELNS0_4arch9wavefront6targetE0EEEvSL_.num_named_barrier, max(0, .L_ZN7rocprim17ROCPRIM_400000_NS6detail26segmented_warp_sort_helperINS1_20WarpSortHelperConfigILj16ELj8ELj256EEE6__halflLi256ELb1EvE4sortIPKS5_PS5_PKlPlEEvT_T0_T1_T2_jjjjRNS6_12storage_typeE.num_named_barrier)
	.set _ZN7rocprim17ROCPRIM_400000_NS6detail17trampoline_kernelINS0_14default_configENS1_36segmented_radix_sort_config_selectorI6__halflEEZNS1_25segmented_radix_sort_implIS3_Lb1EPKS5_PS5_PKlPlN2at6native12_GLOBAL__N_18offset_tEEE10hipError_tPvRmT1_PNSt15iterator_traitsISL_E10value_typeET2_T3_PNSM_ISR_E10value_typeET4_jRbjT5_SX_jjP12ihipStream_tbEUlT_E0_NS1_11comp_targetILNS1_3genE0ELNS1_11target_archE4294967295ELNS1_3gpuE0ELNS1_3repE0EEENS1_60segmented_radix_sort_warp_sort_medium_config_static_selectorELNS0_4arch9wavefront6targetE0EEEvSL_.private_seg_size, 0+max(.L_ZN7rocprim17ROCPRIM_400000_NS6detail26segmented_warp_sort_helperINS1_20WarpSortHelperConfigILj16ELj8ELj256EEE6__halflLi256ELb1EvE4sortIPKS5_PS5_PKlPlEEvT_T0_T1_T2_jjjjRNS6_12storage_typeE.private_seg_size)
	.set _ZN7rocprim17ROCPRIM_400000_NS6detail17trampoline_kernelINS0_14default_configENS1_36segmented_radix_sort_config_selectorI6__halflEEZNS1_25segmented_radix_sort_implIS3_Lb1EPKS5_PS5_PKlPlN2at6native12_GLOBAL__N_18offset_tEEE10hipError_tPvRmT1_PNSt15iterator_traitsISL_E10value_typeET2_T3_PNSM_ISR_E10value_typeET4_jRbjT5_SX_jjP12ihipStream_tbEUlT_E0_NS1_11comp_targetILNS1_3genE0ELNS1_11target_archE4294967295ELNS1_3gpuE0ELNS1_3repE0EEENS1_60segmented_radix_sort_warp_sort_medium_config_static_selectorELNS0_4arch9wavefront6targetE0EEEvSL_.uses_vcc, or(1, .L_ZN7rocprim17ROCPRIM_400000_NS6detail26segmented_warp_sort_helperINS1_20WarpSortHelperConfigILj16ELj8ELj256EEE6__halflLi256ELb1EvE4sortIPKS5_PS5_PKlPlEEvT_T0_T1_T2_jjjjRNS6_12storage_typeE.uses_vcc)
	.set _ZN7rocprim17ROCPRIM_400000_NS6detail17trampoline_kernelINS0_14default_configENS1_36segmented_radix_sort_config_selectorI6__halflEEZNS1_25segmented_radix_sort_implIS3_Lb1EPKS5_PS5_PKlPlN2at6native12_GLOBAL__N_18offset_tEEE10hipError_tPvRmT1_PNSt15iterator_traitsISL_E10value_typeET2_T3_PNSM_ISR_E10value_typeET4_jRbjT5_SX_jjP12ihipStream_tbEUlT_E0_NS1_11comp_targetILNS1_3genE0ELNS1_11target_archE4294967295ELNS1_3gpuE0ELNS1_3repE0EEENS1_60segmented_radix_sort_warp_sort_medium_config_static_selectorELNS0_4arch9wavefront6targetE0EEEvSL_.uses_flat_scratch, or(0, .L_ZN7rocprim17ROCPRIM_400000_NS6detail26segmented_warp_sort_helperINS1_20WarpSortHelperConfigILj16ELj8ELj256EEE6__halflLi256ELb1EvE4sortIPKS5_PS5_PKlPlEEvT_T0_T1_T2_jjjjRNS6_12storage_typeE.uses_flat_scratch)
	.set _ZN7rocprim17ROCPRIM_400000_NS6detail17trampoline_kernelINS0_14default_configENS1_36segmented_radix_sort_config_selectorI6__halflEEZNS1_25segmented_radix_sort_implIS3_Lb1EPKS5_PS5_PKlPlN2at6native12_GLOBAL__N_18offset_tEEE10hipError_tPvRmT1_PNSt15iterator_traitsISL_E10value_typeET2_T3_PNSM_ISR_E10value_typeET4_jRbjT5_SX_jjP12ihipStream_tbEUlT_E0_NS1_11comp_targetILNS1_3genE0ELNS1_11target_archE4294967295ELNS1_3gpuE0ELNS1_3repE0EEENS1_60segmented_radix_sort_warp_sort_medium_config_static_selectorELNS0_4arch9wavefront6targetE0EEEvSL_.has_dyn_sized_stack, or(0, .L_ZN7rocprim17ROCPRIM_400000_NS6detail26segmented_warp_sort_helperINS1_20WarpSortHelperConfigILj16ELj8ELj256EEE6__halflLi256ELb1EvE4sortIPKS5_PS5_PKlPlEEvT_T0_T1_T2_jjjjRNS6_12storage_typeE.has_dyn_sized_stack)
	.set _ZN7rocprim17ROCPRIM_400000_NS6detail17trampoline_kernelINS0_14default_configENS1_36segmented_radix_sort_config_selectorI6__halflEEZNS1_25segmented_radix_sort_implIS3_Lb1EPKS5_PS5_PKlPlN2at6native12_GLOBAL__N_18offset_tEEE10hipError_tPvRmT1_PNSt15iterator_traitsISL_E10value_typeET2_T3_PNSM_ISR_E10value_typeET4_jRbjT5_SX_jjP12ihipStream_tbEUlT_E0_NS1_11comp_targetILNS1_3genE0ELNS1_11target_archE4294967295ELNS1_3gpuE0ELNS1_3repE0EEENS1_60segmented_radix_sort_warp_sort_medium_config_static_selectorELNS0_4arch9wavefront6targetE0EEEvSL_.has_recursion, or(0, .L_ZN7rocprim17ROCPRIM_400000_NS6detail26segmented_warp_sort_helperINS1_20WarpSortHelperConfigILj16ELj8ELj256EEE6__halflLi256ELb1EvE4sortIPKS5_PS5_PKlPlEEvT_T0_T1_T2_jjjjRNS6_12storage_typeE.has_recursion)
	.set _ZN7rocprim17ROCPRIM_400000_NS6detail17trampoline_kernelINS0_14default_configENS1_36segmented_radix_sort_config_selectorI6__halflEEZNS1_25segmented_radix_sort_implIS3_Lb1EPKS5_PS5_PKlPlN2at6native12_GLOBAL__N_18offset_tEEE10hipError_tPvRmT1_PNSt15iterator_traitsISL_E10value_typeET2_T3_PNSM_ISR_E10value_typeET4_jRbjT5_SX_jjP12ihipStream_tbEUlT_E0_NS1_11comp_targetILNS1_3genE0ELNS1_11target_archE4294967295ELNS1_3gpuE0ELNS1_3repE0EEENS1_60segmented_radix_sort_warp_sort_medium_config_static_selectorELNS0_4arch9wavefront6targetE0EEEvSL_.has_indirect_call, or(0, .L_ZN7rocprim17ROCPRIM_400000_NS6detail26segmented_warp_sort_helperINS1_20WarpSortHelperConfigILj16ELj8ELj256EEE6__halflLi256ELb1EvE4sortIPKS5_PS5_PKlPlEEvT_T0_T1_T2_jjjjRNS6_12storage_typeE.has_indirect_call)
	.section	.AMDGPU.csdata,"",@progbits
; Kernel info:
; codeLenInByte = 456
; TotalNumSgprs: 46
; NumVgprs: 68
; ScratchSize: 0
; MemoryBound: 0
; FloatMode: 240
; IeeeMode: 1
; LDSByteSize: 20480 bytes/workgroup (compile time only)
; SGPRBlocks: 0
; VGPRBlocks: 4
; NumSGPRsForWavesPerEU: 46
; NumVGPRsForWavesPerEU: 68
; NamedBarCnt: 0
; Occupancy: 12
; WaveLimiterHint : 0
; COMPUTE_PGM_RSRC2:SCRATCH_EN: 0
; COMPUTE_PGM_RSRC2:USER_SGPR: 4
; COMPUTE_PGM_RSRC2:TRAP_HANDLER: 0
; COMPUTE_PGM_RSRC2:TGID_X_EN: 1
; COMPUTE_PGM_RSRC2:TGID_Y_EN: 1
; COMPUTE_PGM_RSRC2:TGID_Z_EN: 0
; COMPUTE_PGM_RSRC2:TIDIG_COMP_CNT: 2
	.section	.text._ZN7rocprim17ROCPRIM_400000_NS6detail17trampoline_kernelINS0_14default_configENS1_36segmented_radix_sort_config_selectorI6__halflEEZNS1_25segmented_radix_sort_implIS3_Lb1EPKS5_PS5_PKlPlN2at6native12_GLOBAL__N_18offset_tEEE10hipError_tPvRmT1_PNSt15iterator_traitsISL_E10value_typeET2_T3_PNSM_ISR_E10value_typeET4_jRbjT5_SX_jjP12ihipStream_tbEUlT_E0_NS1_11comp_targetILNS1_3genE5ELNS1_11target_archE942ELNS1_3gpuE9ELNS1_3repE0EEENS1_60segmented_radix_sort_warp_sort_medium_config_static_selectorELNS0_4arch9wavefront6targetE0EEEvSL_,"axG",@progbits,_ZN7rocprim17ROCPRIM_400000_NS6detail17trampoline_kernelINS0_14default_configENS1_36segmented_radix_sort_config_selectorI6__halflEEZNS1_25segmented_radix_sort_implIS3_Lb1EPKS5_PS5_PKlPlN2at6native12_GLOBAL__N_18offset_tEEE10hipError_tPvRmT1_PNSt15iterator_traitsISL_E10value_typeET2_T3_PNSM_ISR_E10value_typeET4_jRbjT5_SX_jjP12ihipStream_tbEUlT_E0_NS1_11comp_targetILNS1_3genE5ELNS1_11target_archE942ELNS1_3gpuE9ELNS1_3repE0EEENS1_60segmented_radix_sort_warp_sort_medium_config_static_selectorELNS0_4arch9wavefront6targetE0EEEvSL_,comdat
	.globl	_ZN7rocprim17ROCPRIM_400000_NS6detail17trampoline_kernelINS0_14default_configENS1_36segmented_radix_sort_config_selectorI6__halflEEZNS1_25segmented_radix_sort_implIS3_Lb1EPKS5_PS5_PKlPlN2at6native12_GLOBAL__N_18offset_tEEE10hipError_tPvRmT1_PNSt15iterator_traitsISL_E10value_typeET2_T3_PNSM_ISR_E10value_typeET4_jRbjT5_SX_jjP12ihipStream_tbEUlT_E0_NS1_11comp_targetILNS1_3genE5ELNS1_11target_archE942ELNS1_3gpuE9ELNS1_3repE0EEENS1_60segmented_radix_sort_warp_sort_medium_config_static_selectorELNS0_4arch9wavefront6targetE0EEEvSL_ ; -- Begin function _ZN7rocprim17ROCPRIM_400000_NS6detail17trampoline_kernelINS0_14default_configENS1_36segmented_radix_sort_config_selectorI6__halflEEZNS1_25segmented_radix_sort_implIS3_Lb1EPKS5_PS5_PKlPlN2at6native12_GLOBAL__N_18offset_tEEE10hipError_tPvRmT1_PNSt15iterator_traitsISL_E10value_typeET2_T3_PNSM_ISR_E10value_typeET4_jRbjT5_SX_jjP12ihipStream_tbEUlT_E0_NS1_11comp_targetILNS1_3genE5ELNS1_11target_archE942ELNS1_3gpuE9ELNS1_3repE0EEENS1_60segmented_radix_sort_warp_sort_medium_config_static_selectorELNS0_4arch9wavefront6targetE0EEEvSL_
	.p2align	8
	.type	_ZN7rocprim17ROCPRIM_400000_NS6detail17trampoline_kernelINS0_14default_configENS1_36segmented_radix_sort_config_selectorI6__halflEEZNS1_25segmented_radix_sort_implIS3_Lb1EPKS5_PS5_PKlPlN2at6native12_GLOBAL__N_18offset_tEEE10hipError_tPvRmT1_PNSt15iterator_traitsISL_E10value_typeET2_T3_PNSM_ISR_E10value_typeET4_jRbjT5_SX_jjP12ihipStream_tbEUlT_E0_NS1_11comp_targetILNS1_3genE5ELNS1_11target_archE942ELNS1_3gpuE9ELNS1_3repE0EEENS1_60segmented_radix_sort_warp_sort_medium_config_static_selectorELNS0_4arch9wavefront6targetE0EEEvSL_,@function
_ZN7rocprim17ROCPRIM_400000_NS6detail17trampoline_kernelINS0_14default_configENS1_36segmented_radix_sort_config_selectorI6__halflEEZNS1_25segmented_radix_sort_implIS3_Lb1EPKS5_PS5_PKlPlN2at6native12_GLOBAL__N_18offset_tEEE10hipError_tPvRmT1_PNSt15iterator_traitsISL_E10value_typeET2_T3_PNSM_ISR_E10value_typeET4_jRbjT5_SX_jjP12ihipStream_tbEUlT_E0_NS1_11comp_targetILNS1_3genE5ELNS1_11target_archE942ELNS1_3gpuE9ELNS1_3repE0EEENS1_60segmented_radix_sort_warp_sort_medium_config_static_selectorELNS0_4arch9wavefront6targetE0EEEvSL_: ; @_ZN7rocprim17ROCPRIM_400000_NS6detail17trampoline_kernelINS0_14default_configENS1_36segmented_radix_sort_config_selectorI6__halflEEZNS1_25segmented_radix_sort_implIS3_Lb1EPKS5_PS5_PKlPlN2at6native12_GLOBAL__N_18offset_tEEE10hipError_tPvRmT1_PNSt15iterator_traitsISL_E10value_typeET2_T3_PNSM_ISR_E10value_typeET4_jRbjT5_SX_jjP12ihipStream_tbEUlT_E0_NS1_11comp_targetILNS1_3genE5ELNS1_11target_archE942ELNS1_3gpuE9ELNS1_3repE0EEENS1_60segmented_radix_sort_warp_sort_medium_config_static_selectorELNS0_4arch9wavefront6targetE0EEEvSL_
; %bb.0:
	.section	.rodata,"a",@progbits
	.p2align	6, 0x0
	.amdhsa_kernel _ZN7rocprim17ROCPRIM_400000_NS6detail17trampoline_kernelINS0_14default_configENS1_36segmented_radix_sort_config_selectorI6__halflEEZNS1_25segmented_radix_sort_implIS3_Lb1EPKS5_PS5_PKlPlN2at6native12_GLOBAL__N_18offset_tEEE10hipError_tPvRmT1_PNSt15iterator_traitsISL_E10value_typeET2_T3_PNSM_ISR_E10value_typeET4_jRbjT5_SX_jjP12ihipStream_tbEUlT_E0_NS1_11comp_targetILNS1_3genE5ELNS1_11target_archE942ELNS1_3gpuE9ELNS1_3repE0EEENS1_60segmented_radix_sort_warp_sort_medium_config_static_selectorELNS0_4arch9wavefront6targetE0EEEvSL_
		.amdhsa_group_segment_fixed_size 0
		.amdhsa_private_segment_fixed_size 0
		.amdhsa_kernarg_size 88
		.amdhsa_user_sgpr_count 2
		.amdhsa_user_sgpr_dispatch_ptr 0
		.amdhsa_user_sgpr_queue_ptr 0
		.amdhsa_user_sgpr_kernarg_segment_ptr 1
		.amdhsa_user_sgpr_dispatch_id 0
		.amdhsa_user_sgpr_kernarg_preload_length 0
		.amdhsa_user_sgpr_kernarg_preload_offset 0
		.amdhsa_user_sgpr_private_segment_size 0
		.amdhsa_wavefront_size32 1
		.amdhsa_uses_dynamic_stack 0
		.amdhsa_enable_private_segment 0
		.amdhsa_system_sgpr_workgroup_id_x 1
		.amdhsa_system_sgpr_workgroup_id_y 0
		.amdhsa_system_sgpr_workgroup_id_z 0
		.amdhsa_system_sgpr_workgroup_info 0
		.amdhsa_system_vgpr_workitem_id 0
		.amdhsa_next_free_vgpr 1
		.amdhsa_next_free_sgpr 1
		.amdhsa_named_barrier_count 0
		.amdhsa_reserve_vcc 0
		.amdhsa_float_round_mode_32 0
		.amdhsa_float_round_mode_16_64 0
		.amdhsa_float_denorm_mode_32 3
		.amdhsa_float_denorm_mode_16_64 3
		.amdhsa_fp16_overflow 0
		.amdhsa_memory_ordered 1
		.amdhsa_forward_progress 1
		.amdhsa_inst_pref_size 0
		.amdhsa_round_robin_scheduling 0
		.amdhsa_exception_fp_ieee_invalid_op 0
		.amdhsa_exception_fp_denorm_src 0
		.amdhsa_exception_fp_ieee_div_zero 0
		.amdhsa_exception_fp_ieee_overflow 0
		.amdhsa_exception_fp_ieee_underflow 0
		.amdhsa_exception_fp_ieee_inexact 0
		.amdhsa_exception_int_div_zero 0
	.end_amdhsa_kernel
	.section	.text._ZN7rocprim17ROCPRIM_400000_NS6detail17trampoline_kernelINS0_14default_configENS1_36segmented_radix_sort_config_selectorI6__halflEEZNS1_25segmented_radix_sort_implIS3_Lb1EPKS5_PS5_PKlPlN2at6native12_GLOBAL__N_18offset_tEEE10hipError_tPvRmT1_PNSt15iterator_traitsISL_E10value_typeET2_T3_PNSM_ISR_E10value_typeET4_jRbjT5_SX_jjP12ihipStream_tbEUlT_E0_NS1_11comp_targetILNS1_3genE5ELNS1_11target_archE942ELNS1_3gpuE9ELNS1_3repE0EEENS1_60segmented_radix_sort_warp_sort_medium_config_static_selectorELNS0_4arch9wavefront6targetE0EEEvSL_,"axG",@progbits,_ZN7rocprim17ROCPRIM_400000_NS6detail17trampoline_kernelINS0_14default_configENS1_36segmented_radix_sort_config_selectorI6__halflEEZNS1_25segmented_radix_sort_implIS3_Lb1EPKS5_PS5_PKlPlN2at6native12_GLOBAL__N_18offset_tEEE10hipError_tPvRmT1_PNSt15iterator_traitsISL_E10value_typeET2_T3_PNSM_ISR_E10value_typeET4_jRbjT5_SX_jjP12ihipStream_tbEUlT_E0_NS1_11comp_targetILNS1_3genE5ELNS1_11target_archE942ELNS1_3gpuE9ELNS1_3repE0EEENS1_60segmented_radix_sort_warp_sort_medium_config_static_selectorELNS0_4arch9wavefront6targetE0EEEvSL_,comdat
.Lfunc_end1741:
	.size	_ZN7rocprim17ROCPRIM_400000_NS6detail17trampoline_kernelINS0_14default_configENS1_36segmented_radix_sort_config_selectorI6__halflEEZNS1_25segmented_radix_sort_implIS3_Lb1EPKS5_PS5_PKlPlN2at6native12_GLOBAL__N_18offset_tEEE10hipError_tPvRmT1_PNSt15iterator_traitsISL_E10value_typeET2_T3_PNSM_ISR_E10value_typeET4_jRbjT5_SX_jjP12ihipStream_tbEUlT_E0_NS1_11comp_targetILNS1_3genE5ELNS1_11target_archE942ELNS1_3gpuE9ELNS1_3repE0EEENS1_60segmented_radix_sort_warp_sort_medium_config_static_selectorELNS0_4arch9wavefront6targetE0EEEvSL_, .Lfunc_end1741-_ZN7rocprim17ROCPRIM_400000_NS6detail17trampoline_kernelINS0_14default_configENS1_36segmented_radix_sort_config_selectorI6__halflEEZNS1_25segmented_radix_sort_implIS3_Lb1EPKS5_PS5_PKlPlN2at6native12_GLOBAL__N_18offset_tEEE10hipError_tPvRmT1_PNSt15iterator_traitsISL_E10value_typeET2_T3_PNSM_ISR_E10value_typeET4_jRbjT5_SX_jjP12ihipStream_tbEUlT_E0_NS1_11comp_targetILNS1_3genE5ELNS1_11target_archE942ELNS1_3gpuE9ELNS1_3repE0EEENS1_60segmented_radix_sort_warp_sort_medium_config_static_selectorELNS0_4arch9wavefront6targetE0EEEvSL_
                                        ; -- End function
	.set _ZN7rocprim17ROCPRIM_400000_NS6detail17trampoline_kernelINS0_14default_configENS1_36segmented_radix_sort_config_selectorI6__halflEEZNS1_25segmented_radix_sort_implIS3_Lb1EPKS5_PS5_PKlPlN2at6native12_GLOBAL__N_18offset_tEEE10hipError_tPvRmT1_PNSt15iterator_traitsISL_E10value_typeET2_T3_PNSM_ISR_E10value_typeET4_jRbjT5_SX_jjP12ihipStream_tbEUlT_E0_NS1_11comp_targetILNS1_3genE5ELNS1_11target_archE942ELNS1_3gpuE9ELNS1_3repE0EEENS1_60segmented_radix_sort_warp_sort_medium_config_static_selectorELNS0_4arch9wavefront6targetE0EEEvSL_.num_vgpr, 0
	.set _ZN7rocprim17ROCPRIM_400000_NS6detail17trampoline_kernelINS0_14default_configENS1_36segmented_radix_sort_config_selectorI6__halflEEZNS1_25segmented_radix_sort_implIS3_Lb1EPKS5_PS5_PKlPlN2at6native12_GLOBAL__N_18offset_tEEE10hipError_tPvRmT1_PNSt15iterator_traitsISL_E10value_typeET2_T3_PNSM_ISR_E10value_typeET4_jRbjT5_SX_jjP12ihipStream_tbEUlT_E0_NS1_11comp_targetILNS1_3genE5ELNS1_11target_archE942ELNS1_3gpuE9ELNS1_3repE0EEENS1_60segmented_radix_sort_warp_sort_medium_config_static_selectorELNS0_4arch9wavefront6targetE0EEEvSL_.num_agpr, 0
	.set _ZN7rocprim17ROCPRIM_400000_NS6detail17trampoline_kernelINS0_14default_configENS1_36segmented_radix_sort_config_selectorI6__halflEEZNS1_25segmented_radix_sort_implIS3_Lb1EPKS5_PS5_PKlPlN2at6native12_GLOBAL__N_18offset_tEEE10hipError_tPvRmT1_PNSt15iterator_traitsISL_E10value_typeET2_T3_PNSM_ISR_E10value_typeET4_jRbjT5_SX_jjP12ihipStream_tbEUlT_E0_NS1_11comp_targetILNS1_3genE5ELNS1_11target_archE942ELNS1_3gpuE9ELNS1_3repE0EEENS1_60segmented_radix_sort_warp_sort_medium_config_static_selectorELNS0_4arch9wavefront6targetE0EEEvSL_.numbered_sgpr, 0
	.set _ZN7rocprim17ROCPRIM_400000_NS6detail17trampoline_kernelINS0_14default_configENS1_36segmented_radix_sort_config_selectorI6__halflEEZNS1_25segmented_radix_sort_implIS3_Lb1EPKS5_PS5_PKlPlN2at6native12_GLOBAL__N_18offset_tEEE10hipError_tPvRmT1_PNSt15iterator_traitsISL_E10value_typeET2_T3_PNSM_ISR_E10value_typeET4_jRbjT5_SX_jjP12ihipStream_tbEUlT_E0_NS1_11comp_targetILNS1_3genE5ELNS1_11target_archE942ELNS1_3gpuE9ELNS1_3repE0EEENS1_60segmented_radix_sort_warp_sort_medium_config_static_selectorELNS0_4arch9wavefront6targetE0EEEvSL_.num_named_barrier, 0
	.set _ZN7rocprim17ROCPRIM_400000_NS6detail17trampoline_kernelINS0_14default_configENS1_36segmented_radix_sort_config_selectorI6__halflEEZNS1_25segmented_radix_sort_implIS3_Lb1EPKS5_PS5_PKlPlN2at6native12_GLOBAL__N_18offset_tEEE10hipError_tPvRmT1_PNSt15iterator_traitsISL_E10value_typeET2_T3_PNSM_ISR_E10value_typeET4_jRbjT5_SX_jjP12ihipStream_tbEUlT_E0_NS1_11comp_targetILNS1_3genE5ELNS1_11target_archE942ELNS1_3gpuE9ELNS1_3repE0EEENS1_60segmented_radix_sort_warp_sort_medium_config_static_selectorELNS0_4arch9wavefront6targetE0EEEvSL_.private_seg_size, 0
	.set _ZN7rocprim17ROCPRIM_400000_NS6detail17trampoline_kernelINS0_14default_configENS1_36segmented_radix_sort_config_selectorI6__halflEEZNS1_25segmented_radix_sort_implIS3_Lb1EPKS5_PS5_PKlPlN2at6native12_GLOBAL__N_18offset_tEEE10hipError_tPvRmT1_PNSt15iterator_traitsISL_E10value_typeET2_T3_PNSM_ISR_E10value_typeET4_jRbjT5_SX_jjP12ihipStream_tbEUlT_E0_NS1_11comp_targetILNS1_3genE5ELNS1_11target_archE942ELNS1_3gpuE9ELNS1_3repE0EEENS1_60segmented_radix_sort_warp_sort_medium_config_static_selectorELNS0_4arch9wavefront6targetE0EEEvSL_.uses_vcc, 0
	.set _ZN7rocprim17ROCPRIM_400000_NS6detail17trampoline_kernelINS0_14default_configENS1_36segmented_radix_sort_config_selectorI6__halflEEZNS1_25segmented_radix_sort_implIS3_Lb1EPKS5_PS5_PKlPlN2at6native12_GLOBAL__N_18offset_tEEE10hipError_tPvRmT1_PNSt15iterator_traitsISL_E10value_typeET2_T3_PNSM_ISR_E10value_typeET4_jRbjT5_SX_jjP12ihipStream_tbEUlT_E0_NS1_11comp_targetILNS1_3genE5ELNS1_11target_archE942ELNS1_3gpuE9ELNS1_3repE0EEENS1_60segmented_radix_sort_warp_sort_medium_config_static_selectorELNS0_4arch9wavefront6targetE0EEEvSL_.uses_flat_scratch, 0
	.set _ZN7rocprim17ROCPRIM_400000_NS6detail17trampoline_kernelINS0_14default_configENS1_36segmented_radix_sort_config_selectorI6__halflEEZNS1_25segmented_radix_sort_implIS3_Lb1EPKS5_PS5_PKlPlN2at6native12_GLOBAL__N_18offset_tEEE10hipError_tPvRmT1_PNSt15iterator_traitsISL_E10value_typeET2_T3_PNSM_ISR_E10value_typeET4_jRbjT5_SX_jjP12ihipStream_tbEUlT_E0_NS1_11comp_targetILNS1_3genE5ELNS1_11target_archE942ELNS1_3gpuE9ELNS1_3repE0EEENS1_60segmented_radix_sort_warp_sort_medium_config_static_selectorELNS0_4arch9wavefront6targetE0EEEvSL_.has_dyn_sized_stack, 0
	.set _ZN7rocprim17ROCPRIM_400000_NS6detail17trampoline_kernelINS0_14default_configENS1_36segmented_radix_sort_config_selectorI6__halflEEZNS1_25segmented_radix_sort_implIS3_Lb1EPKS5_PS5_PKlPlN2at6native12_GLOBAL__N_18offset_tEEE10hipError_tPvRmT1_PNSt15iterator_traitsISL_E10value_typeET2_T3_PNSM_ISR_E10value_typeET4_jRbjT5_SX_jjP12ihipStream_tbEUlT_E0_NS1_11comp_targetILNS1_3genE5ELNS1_11target_archE942ELNS1_3gpuE9ELNS1_3repE0EEENS1_60segmented_radix_sort_warp_sort_medium_config_static_selectorELNS0_4arch9wavefront6targetE0EEEvSL_.has_recursion, 0
	.set _ZN7rocprim17ROCPRIM_400000_NS6detail17trampoline_kernelINS0_14default_configENS1_36segmented_radix_sort_config_selectorI6__halflEEZNS1_25segmented_radix_sort_implIS3_Lb1EPKS5_PS5_PKlPlN2at6native12_GLOBAL__N_18offset_tEEE10hipError_tPvRmT1_PNSt15iterator_traitsISL_E10value_typeET2_T3_PNSM_ISR_E10value_typeET4_jRbjT5_SX_jjP12ihipStream_tbEUlT_E0_NS1_11comp_targetILNS1_3genE5ELNS1_11target_archE942ELNS1_3gpuE9ELNS1_3repE0EEENS1_60segmented_radix_sort_warp_sort_medium_config_static_selectorELNS0_4arch9wavefront6targetE0EEEvSL_.has_indirect_call, 0
	.section	.AMDGPU.csdata,"",@progbits
; Kernel info:
; codeLenInByte = 0
; TotalNumSgprs: 0
; NumVgprs: 0
; ScratchSize: 0
; MemoryBound: 0
; FloatMode: 240
; IeeeMode: 1
; LDSByteSize: 0 bytes/workgroup (compile time only)
; SGPRBlocks: 0
; VGPRBlocks: 0
; NumSGPRsForWavesPerEU: 1
; NumVGPRsForWavesPerEU: 1
; NamedBarCnt: 0
; Occupancy: 16
; WaveLimiterHint : 0
; COMPUTE_PGM_RSRC2:SCRATCH_EN: 0
; COMPUTE_PGM_RSRC2:USER_SGPR: 2
; COMPUTE_PGM_RSRC2:TRAP_HANDLER: 0
; COMPUTE_PGM_RSRC2:TGID_X_EN: 1
; COMPUTE_PGM_RSRC2:TGID_Y_EN: 0
; COMPUTE_PGM_RSRC2:TGID_Z_EN: 0
; COMPUTE_PGM_RSRC2:TIDIG_COMP_CNT: 0
	.section	.text._ZN7rocprim17ROCPRIM_400000_NS6detail17trampoline_kernelINS0_14default_configENS1_36segmented_radix_sort_config_selectorI6__halflEEZNS1_25segmented_radix_sort_implIS3_Lb1EPKS5_PS5_PKlPlN2at6native12_GLOBAL__N_18offset_tEEE10hipError_tPvRmT1_PNSt15iterator_traitsISL_E10value_typeET2_T3_PNSM_ISR_E10value_typeET4_jRbjT5_SX_jjP12ihipStream_tbEUlT_E0_NS1_11comp_targetILNS1_3genE4ELNS1_11target_archE910ELNS1_3gpuE8ELNS1_3repE0EEENS1_60segmented_radix_sort_warp_sort_medium_config_static_selectorELNS0_4arch9wavefront6targetE0EEEvSL_,"axG",@progbits,_ZN7rocprim17ROCPRIM_400000_NS6detail17trampoline_kernelINS0_14default_configENS1_36segmented_radix_sort_config_selectorI6__halflEEZNS1_25segmented_radix_sort_implIS3_Lb1EPKS5_PS5_PKlPlN2at6native12_GLOBAL__N_18offset_tEEE10hipError_tPvRmT1_PNSt15iterator_traitsISL_E10value_typeET2_T3_PNSM_ISR_E10value_typeET4_jRbjT5_SX_jjP12ihipStream_tbEUlT_E0_NS1_11comp_targetILNS1_3genE4ELNS1_11target_archE910ELNS1_3gpuE8ELNS1_3repE0EEENS1_60segmented_radix_sort_warp_sort_medium_config_static_selectorELNS0_4arch9wavefront6targetE0EEEvSL_,comdat
	.globl	_ZN7rocprim17ROCPRIM_400000_NS6detail17trampoline_kernelINS0_14default_configENS1_36segmented_radix_sort_config_selectorI6__halflEEZNS1_25segmented_radix_sort_implIS3_Lb1EPKS5_PS5_PKlPlN2at6native12_GLOBAL__N_18offset_tEEE10hipError_tPvRmT1_PNSt15iterator_traitsISL_E10value_typeET2_T3_PNSM_ISR_E10value_typeET4_jRbjT5_SX_jjP12ihipStream_tbEUlT_E0_NS1_11comp_targetILNS1_3genE4ELNS1_11target_archE910ELNS1_3gpuE8ELNS1_3repE0EEENS1_60segmented_radix_sort_warp_sort_medium_config_static_selectorELNS0_4arch9wavefront6targetE0EEEvSL_ ; -- Begin function _ZN7rocprim17ROCPRIM_400000_NS6detail17trampoline_kernelINS0_14default_configENS1_36segmented_radix_sort_config_selectorI6__halflEEZNS1_25segmented_radix_sort_implIS3_Lb1EPKS5_PS5_PKlPlN2at6native12_GLOBAL__N_18offset_tEEE10hipError_tPvRmT1_PNSt15iterator_traitsISL_E10value_typeET2_T3_PNSM_ISR_E10value_typeET4_jRbjT5_SX_jjP12ihipStream_tbEUlT_E0_NS1_11comp_targetILNS1_3genE4ELNS1_11target_archE910ELNS1_3gpuE8ELNS1_3repE0EEENS1_60segmented_radix_sort_warp_sort_medium_config_static_selectorELNS0_4arch9wavefront6targetE0EEEvSL_
	.p2align	8
	.type	_ZN7rocprim17ROCPRIM_400000_NS6detail17trampoline_kernelINS0_14default_configENS1_36segmented_radix_sort_config_selectorI6__halflEEZNS1_25segmented_radix_sort_implIS3_Lb1EPKS5_PS5_PKlPlN2at6native12_GLOBAL__N_18offset_tEEE10hipError_tPvRmT1_PNSt15iterator_traitsISL_E10value_typeET2_T3_PNSM_ISR_E10value_typeET4_jRbjT5_SX_jjP12ihipStream_tbEUlT_E0_NS1_11comp_targetILNS1_3genE4ELNS1_11target_archE910ELNS1_3gpuE8ELNS1_3repE0EEENS1_60segmented_radix_sort_warp_sort_medium_config_static_selectorELNS0_4arch9wavefront6targetE0EEEvSL_,@function
_ZN7rocprim17ROCPRIM_400000_NS6detail17trampoline_kernelINS0_14default_configENS1_36segmented_radix_sort_config_selectorI6__halflEEZNS1_25segmented_radix_sort_implIS3_Lb1EPKS5_PS5_PKlPlN2at6native12_GLOBAL__N_18offset_tEEE10hipError_tPvRmT1_PNSt15iterator_traitsISL_E10value_typeET2_T3_PNSM_ISR_E10value_typeET4_jRbjT5_SX_jjP12ihipStream_tbEUlT_E0_NS1_11comp_targetILNS1_3genE4ELNS1_11target_archE910ELNS1_3gpuE8ELNS1_3repE0EEENS1_60segmented_radix_sort_warp_sort_medium_config_static_selectorELNS0_4arch9wavefront6targetE0EEEvSL_: ; @_ZN7rocprim17ROCPRIM_400000_NS6detail17trampoline_kernelINS0_14default_configENS1_36segmented_radix_sort_config_selectorI6__halflEEZNS1_25segmented_radix_sort_implIS3_Lb1EPKS5_PS5_PKlPlN2at6native12_GLOBAL__N_18offset_tEEE10hipError_tPvRmT1_PNSt15iterator_traitsISL_E10value_typeET2_T3_PNSM_ISR_E10value_typeET4_jRbjT5_SX_jjP12ihipStream_tbEUlT_E0_NS1_11comp_targetILNS1_3genE4ELNS1_11target_archE910ELNS1_3gpuE8ELNS1_3repE0EEENS1_60segmented_radix_sort_warp_sort_medium_config_static_selectorELNS0_4arch9wavefront6targetE0EEEvSL_
; %bb.0:
	.section	.rodata,"a",@progbits
	.p2align	6, 0x0
	.amdhsa_kernel _ZN7rocprim17ROCPRIM_400000_NS6detail17trampoline_kernelINS0_14default_configENS1_36segmented_radix_sort_config_selectorI6__halflEEZNS1_25segmented_radix_sort_implIS3_Lb1EPKS5_PS5_PKlPlN2at6native12_GLOBAL__N_18offset_tEEE10hipError_tPvRmT1_PNSt15iterator_traitsISL_E10value_typeET2_T3_PNSM_ISR_E10value_typeET4_jRbjT5_SX_jjP12ihipStream_tbEUlT_E0_NS1_11comp_targetILNS1_3genE4ELNS1_11target_archE910ELNS1_3gpuE8ELNS1_3repE0EEENS1_60segmented_radix_sort_warp_sort_medium_config_static_selectorELNS0_4arch9wavefront6targetE0EEEvSL_
		.amdhsa_group_segment_fixed_size 0
		.amdhsa_private_segment_fixed_size 0
		.amdhsa_kernarg_size 88
		.amdhsa_user_sgpr_count 2
		.amdhsa_user_sgpr_dispatch_ptr 0
		.amdhsa_user_sgpr_queue_ptr 0
		.amdhsa_user_sgpr_kernarg_segment_ptr 1
		.amdhsa_user_sgpr_dispatch_id 0
		.amdhsa_user_sgpr_kernarg_preload_length 0
		.amdhsa_user_sgpr_kernarg_preload_offset 0
		.amdhsa_user_sgpr_private_segment_size 0
		.amdhsa_wavefront_size32 1
		.amdhsa_uses_dynamic_stack 0
		.amdhsa_enable_private_segment 0
		.amdhsa_system_sgpr_workgroup_id_x 1
		.amdhsa_system_sgpr_workgroup_id_y 0
		.amdhsa_system_sgpr_workgroup_id_z 0
		.amdhsa_system_sgpr_workgroup_info 0
		.amdhsa_system_vgpr_workitem_id 0
		.amdhsa_next_free_vgpr 1
		.amdhsa_next_free_sgpr 1
		.amdhsa_named_barrier_count 0
		.amdhsa_reserve_vcc 0
		.amdhsa_float_round_mode_32 0
		.amdhsa_float_round_mode_16_64 0
		.amdhsa_float_denorm_mode_32 3
		.amdhsa_float_denorm_mode_16_64 3
		.amdhsa_fp16_overflow 0
		.amdhsa_memory_ordered 1
		.amdhsa_forward_progress 1
		.amdhsa_inst_pref_size 0
		.amdhsa_round_robin_scheduling 0
		.amdhsa_exception_fp_ieee_invalid_op 0
		.amdhsa_exception_fp_denorm_src 0
		.amdhsa_exception_fp_ieee_div_zero 0
		.amdhsa_exception_fp_ieee_overflow 0
		.amdhsa_exception_fp_ieee_underflow 0
		.amdhsa_exception_fp_ieee_inexact 0
		.amdhsa_exception_int_div_zero 0
	.end_amdhsa_kernel
	.section	.text._ZN7rocprim17ROCPRIM_400000_NS6detail17trampoline_kernelINS0_14default_configENS1_36segmented_radix_sort_config_selectorI6__halflEEZNS1_25segmented_radix_sort_implIS3_Lb1EPKS5_PS5_PKlPlN2at6native12_GLOBAL__N_18offset_tEEE10hipError_tPvRmT1_PNSt15iterator_traitsISL_E10value_typeET2_T3_PNSM_ISR_E10value_typeET4_jRbjT5_SX_jjP12ihipStream_tbEUlT_E0_NS1_11comp_targetILNS1_3genE4ELNS1_11target_archE910ELNS1_3gpuE8ELNS1_3repE0EEENS1_60segmented_radix_sort_warp_sort_medium_config_static_selectorELNS0_4arch9wavefront6targetE0EEEvSL_,"axG",@progbits,_ZN7rocprim17ROCPRIM_400000_NS6detail17trampoline_kernelINS0_14default_configENS1_36segmented_radix_sort_config_selectorI6__halflEEZNS1_25segmented_radix_sort_implIS3_Lb1EPKS5_PS5_PKlPlN2at6native12_GLOBAL__N_18offset_tEEE10hipError_tPvRmT1_PNSt15iterator_traitsISL_E10value_typeET2_T3_PNSM_ISR_E10value_typeET4_jRbjT5_SX_jjP12ihipStream_tbEUlT_E0_NS1_11comp_targetILNS1_3genE4ELNS1_11target_archE910ELNS1_3gpuE8ELNS1_3repE0EEENS1_60segmented_radix_sort_warp_sort_medium_config_static_selectorELNS0_4arch9wavefront6targetE0EEEvSL_,comdat
.Lfunc_end1742:
	.size	_ZN7rocprim17ROCPRIM_400000_NS6detail17trampoline_kernelINS0_14default_configENS1_36segmented_radix_sort_config_selectorI6__halflEEZNS1_25segmented_radix_sort_implIS3_Lb1EPKS5_PS5_PKlPlN2at6native12_GLOBAL__N_18offset_tEEE10hipError_tPvRmT1_PNSt15iterator_traitsISL_E10value_typeET2_T3_PNSM_ISR_E10value_typeET4_jRbjT5_SX_jjP12ihipStream_tbEUlT_E0_NS1_11comp_targetILNS1_3genE4ELNS1_11target_archE910ELNS1_3gpuE8ELNS1_3repE0EEENS1_60segmented_radix_sort_warp_sort_medium_config_static_selectorELNS0_4arch9wavefront6targetE0EEEvSL_, .Lfunc_end1742-_ZN7rocprim17ROCPRIM_400000_NS6detail17trampoline_kernelINS0_14default_configENS1_36segmented_radix_sort_config_selectorI6__halflEEZNS1_25segmented_radix_sort_implIS3_Lb1EPKS5_PS5_PKlPlN2at6native12_GLOBAL__N_18offset_tEEE10hipError_tPvRmT1_PNSt15iterator_traitsISL_E10value_typeET2_T3_PNSM_ISR_E10value_typeET4_jRbjT5_SX_jjP12ihipStream_tbEUlT_E0_NS1_11comp_targetILNS1_3genE4ELNS1_11target_archE910ELNS1_3gpuE8ELNS1_3repE0EEENS1_60segmented_radix_sort_warp_sort_medium_config_static_selectorELNS0_4arch9wavefront6targetE0EEEvSL_
                                        ; -- End function
	.set _ZN7rocprim17ROCPRIM_400000_NS6detail17trampoline_kernelINS0_14default_configENS1_36segmented_radix_sort_config_selectorI6__halflEEZNS1_25segmented_radix_sort_implIS3_Lb1EPKS5_PS5_PKlPlN2at6native12_GLOBAL__N_18offset_tEEE10hipError_tPvRmT1_PNSt15iterator_traitsISL_E10value_typeET2_T3_PNSM_ISR_E10value_typeET4_jRbjT5_SX_jjP12ihipStream_tbEUlT_E0_NS1_11comp_targetILNS1_3genE4ELNS1_11target_archE910ELNS1_3gpuE8ELNS1_3repE0EEENS1_60segmented_radix_sort_warp_sort_medium_config_static_selectorELNS0_4arch9wavefront6targetE0EEEvSL_.num_vgpr, 0
	.set _ZN7rocprim17ROCPRIM_400000_NS6detail17trampoline_kernelINS0_14default_configENS1_36segmented_radix_sort_config_selectorI6__halflEEZNS1_25segmented_radix_sort_implIS3_Lb1EPKS5_PS5_PKlPlN2at6native12_GLOBAL__N_18offset_tEEE10hipError_tPvRmT1_PNSt15iterator_traitsISL_E10value_typeET2_T3_PNSM_ISR_E10value_typeET4_jRbjT5_SX_jjP12ihipStream_tbEUlT_E0_NS1_11comp_targetILNS1_3genE4ELNS1_11target_archE910ELNS1_3gpuE8ELNS1_3repE0EEENS1_60segmented_radix_sort_warp_sort_medium_config_static_selectorELNS0_4arch9wavefront6targetE0EEEvSL_.num_agpr, 0
	.set _ZN7rocprim17ROCPRIM_400000_NS6detail17trampoline_kernelINS0_14default_configENS1_36segmented_radix_sort_config_selectorI6__halflEEZNS1_25segmented_radix_sort_implIS3_Lb1EPKS5_PS5_PKlPlN2at6native12_GLOBAL__N_18offset_tEEE10hipError_tPvRmT1_PNSt15iterator_traitsISL_E10value_typeET2_T3_PNSM_ISR_E10value_typeET4_jRbjT5_SX_jjP12ihipStream_tbEUlT_E0_NS1_11comp_targetILNS1_3genE4ELNS1_11target_archE910ELNS1_3gpuE8ELNS1_3repE0EEENS1_60segmented_radix_sort_warp_sort_medium_config_static_selectorELNS0_4arch9wavefront6targetE0EEEvSL_.numbered_sgpr, 0
	.set _ZN7rocprim17ROCPRIM_400000_NS6detail17trampoline_kernelINS0_14default_configENS1_36segmented_radix_sort_config_selectorI6__halflEEZNS1_25segmented_radix_sort_implIS3_Lb1EPKS5_PS5_PKlPlN2at6native12_GLOBAL__N_18offset_tEEE10hipError_tPvRmT1_PNSt15iterator_traitsISL_E10value_typeET2_T3_PNSM_ISR_E10value_typeET4_jRbjT5_SX_jjP12ihipStream_tbEUlT_E0_NS1_11comp_targetILNS1_3genE4ELNS1_11target_archE910ELNS1_3gpuE8ELNS1_3repE0EEENS1_60segmented_radix_sort_warp_sort_medium_config_static_selectorELNS0_4arch9wavefront6targetE0EEEvSL_.num_named_barrier, 0
	.set _ZN7rocprim17ROCPRIM_400000_NS6detail17trampoline_kernelINS0_14default_configENS1_36segmented_radix_sort_config_selectorI6__halflEEZNS1_25segmented_radix_sort_implIS3_Lb1EPKS5_PS5_PKlPlN2at6native12_GLOBAL__N_18offset_tEEE10hipError_tPvRmT1_PNSt15iterator_traitsISL_E10value_typeET2_T3_PNSM_ISR_E10value_typeET4_jRbjT5_SX_jjP12ihipStream_tbEUlT_E0_NS1_11comp_targetILNS1_3genE4ELNS1_11target_archE910ELNS1_3gpuE8ELNS1_3repE0EEENS1_60segmented_radix_sort_warp_sort_medium_config_static_selectorELNS0_4arch9wavefront6targetE0EEEvSL_.private_seg_size, 0
	.set _ZN7rocprim17ROCPRIM_400000_NS6detail17trampoline_kernelINS0_14default_configENS1_36segmented_radix_sort_config_selectorI6__halflEEZNS1_25segmented_radix_sort_implIS3_Lb1EPKS5_PS5_PKlPlN2at6native12_GLOBAL__N_18offset_tEEE10hipError_tPvRmT1_PNSt15iterator_traitsISL_E10value_typeET2_T3_PNSM_ISR_E10value_typeET4_jRbjT5_SX_jjP12ihipStream_tbEUlT_E0_NS1_11comp_targetILNS1_3genE4ELNS1_11target_archE910ELNS1_3gpuE8ELNS1_3repE0EEENS1_60segmented_radix_sort_warp_sort_medium_config_static_selectorELNS0_4arch9wavefront6targetE0EEEvSL_.uses_vcc, 0
	.set _ZN7rocprim17ROCPRIM_400000_NS6detail17trampoline_kernelINS0_14default_configENS1_36segmented_radix_sort_config_selectorI6__halflEEZNS1_25segmented_radix_sort_implIS3_Lb1EPKS5_PS5_PKlPlN2at6native12_GLOBAL__N_18offset_tEEE10hipError_tPvRmT1_PNSt15iterator_traitsISL_E10value_typeET2_T3_PNSM_ISR_E10value_typeET4_jRbjT5_SX_jjP12ihipStream_tbEUlT_E0_NS1_11comp_targetILNS1_3genE4ELNS1_11target_archE910ELNS1_3gpuE8ELNS1_3repE0EEENS1_60segmented_radix_sort_warp_sort_medium_config_static_selectorELNS0_4arch9wavefront6targetE0EEEvSL_.uses_flat_scratch, 0
	.set _ZN7rocprim17ROCPRIM_400000_NS6detail17trampoline_kernelINS0_14default_configENS1_36segmented_radix_sort_config_selectorI6__halflEEZNS1_25segmented_radix_sort_implIS3_Lb1EPKS5_PS5_PKlPlN2at6native12_GLOBAL__N_18offset_tEEE10hipError_tPvRmT1_PNSt15iterator_traitsISL_E10value_typeET2_T3_PNSM_ISR_E10value_typeET4_jRbjT5_SX_jjP12ihipStream_tbEUlT_E0_NS1_11comp_targetILNS1_3genE4ELNS1_11target_archE910ELNS1_3gpuE8ELNS1_3repE0EEENS1_60segmented_radix_sort_warp_sort_medium_config_static_selectorELNS0_4arch9wavefront6targetE0EEEvSL_.has_dyn_sized_stack, 0
	.set _ZN7rocprim17ROCPRIM_400000_NS6detail17trampoline_kernelINS0_14default_configENS1_36segmented_radix_sort_config_selectorI6__halflEEZNS1_25segmented_radix_sort_implIS3_Lb1EPKS5_PS5_PKlPlN2at6native12_GLOBAL__N_18offset_tEEE10hipError_tPvRmT1_PNSt15iterator_traitsISL_E10value_typeET2_T3_PNSM_ISR_E10value_typeET4_jRbjT5_SX_jjP12ihipStream_tbEUlT_E0_NS1_11comp_targetILNS1_3genE4ELNS1_11target_archE910ELNS1_3gpuE8ELNS1_3repE0EEENS1_60segmented_radix_sort_warp_sort_medium_config_static_selectorELNS0_4arch9wavefront6targetE0EEEvSL_.has_recursion, 0
	.set _ZN7rocprim17ROCPRIM_400000_NS6detail17trampoline_kernelINS0_14default_configENS1_36segmented_radix_sort_config_selectorI6__halflEEZNS1_25segmented_radix_sort_implIS3_Lb1EPKS5_PS5_PKlPlN2at6native12_GLOBAL__N_18offset_tEEE10hipError_tPvRmT1_PNSt15iterator_traitsISL_E10value_typeET2_T3_PNSM_ISR_E10value_typeET4_jRbjT5_SX_jjP12ihipStream_tbEUlT_E0_NS1_11comp_targetILNS1_3genE4ELNS1_11target_archE910ELNS1_3gpuE8ELNS1_3repE0EEENS1_60segmented_radix_sort_warp_sort_medium_config_static_selectorELNS0_4arch9wavefront6targetE0EEEvSL_.has_indirect_call, 0
	.section	.AMDGPU.csdata,"",@progbits
; Kernel info:
; codeLenInByte = 0
; TotalNumSgprs: 0
; NumVgprs: 0
; ScratchSize: 0
; MemoryBound: 0
; FloatMode: 240
; IeeeMode: 1
; LDSByteSize: 0 bytes/workgroup (compile time only)
; SGPRBlocks: 0
; VGPRBlocks: 0
; NumSGPRsForWavesPerEU: 1
; NumVGPRsForWavesPerEU: 1
; NamedBarCnt: 0
; Occupancy: 16
; WaveLimiterHint : 0
; COMPUTE_PGM_RSRC2:SCRATCH_EN: 0
; COMPUTE_PGM_RSRC2:USER_SGPR: 2
; COMPUTE_PGM_RSRC2:TRAP_HANDLER: 0
; COMPUTE_PGM_RSRC2:TGID_X_EN: 1
; COMPUTE_PGM_RSRC2:TGID_Y_EN: 0
; COMPUTE_PGM_RSRC2:TGID_Z_EN: 0
; COMPUTE_PGM_RSRC2:TIDIG_COMP_CNT: 0
	.section	.text._ZN7rocprim17ROCPRIM_400000_NS6detail17trampoline_kernelINS0_14default_configENS1_36segmented_radix_sort_config_selectorI6__halflEEZNS1_25segmented_radix_sort_implIS3_Lb1EPKS5_PS5_PKlPlN2at6native12_GLOBAL__N_18offset_tEEE10hipError_tPvRmT1_PNSt15iterator_traitsISL_E10value_typeET2_T3_PNSM_ISR_E10value_typeET4_jRbjT5_SX_jjP12ihipStream_tbEUlT_E0_NS1_11comp_targetILNS1_3genE3ELNS1_11target_archE908ELNS1_3gpuE7ELNS1_3repE0EEENS1_60segmented_radix_sort_warp_sort_medium_config_static_selectorELNS0_4arch9wavefront6targetE0EEEvSL_,"axG",@progbits,_ZN7rocprim17ROCPRIM_400000_NS6detail17trampoline_kernelINS0_14default_configENS1_36segmented_radix_sort_config_selectorI6__halflEEZNS1_25segmented_radix_sort_implIS3_Lb1EPKS5_PS5_PKlPlN2at6native12_GLOBAL__N_18offset_tEEE10hipError_tPvRmT1_PNSt15iterator_traitsISL_E10value_typeET2_T3_PNSM_ISR_E10value_typeET4_jRbjT5_SX_jjP12ihipStream_tbEUlT_E0_NS1_11comp_targetILNS1_3genE3ELNS1_11target_archE908ELNS1_3gpuE7ELNS1_3repE0EEENS1_60segmented_radix_sort_warp_sort_medium_config_static_selectorELNS0_4arch9wavefront6targetE0EEEvSL_,comdat
	.globl	_ZN7rocprim17ROCPRIM_400000_NS6detail17trampoline_kernelINS0_14default_configENS1_36segmented_radix_sort_config_selectorI6__halflEEZNS1_25segmented_radix_sort_implIS3_Lb1EPKS5_PS5_PKlPlN2at6native12_GLOBAL__N_18offset_tEEE10hipError_tPvRmT1_PNSt15iterator_traitsISL_E10value_typeET2_T3_PNSM_ISR_E10value_typeET4_jRbjT5_SX_jjP12ihipStream_tbEUlT_E0_NS1_11comp_targetILNS1_3genE3ELNS1_11target_archE908ELNS1_3gpuE7ELNS1_3repE0EEENS1_60segmented_radix_sort_warp_sort_medium_config_static_selectorELNS0_4arch9wavefront6targetE0EEEvSL_ ; -- Begin function _ZN7rocprim17ROCPRIM_400000_NS6detail17trampoline_kernelINS0_14default_configENS1_36segmented_radix_sort_config_selectorI6__halflEEZNS1_25segmented_radix_sort_implIS3_Lb1EPKS5_PS5_PKlPlN2at6native12_GLOBAL__N_18offset_tEEE10hipError_tPvRmT1_PNSt15iterator_traitsISL_E10value_typeET2_T3_PNSM_ISR_E10value_typeET4_jRbjT5_SX_jjP12ihipStream_tbEUlT_E0_NS1_11comp_targetILNS1_3genE3ELNS1_11target_archE908ELNS1_3gpuE7ELNS1_3repE0EEENS1_60segmented_radix_sort_warp_sort_medium_config_static_selectorELNS0_4arch9wavefront6targetE0EEEvSL_
	.p2align	8
	.type	_ZN7rocprim17ROCPRIM_400000_NS6detail17trampoline_kernelINS0_14default_configENS1_36segmented_radix_sort_config_selectorI6__halflEEZNS1_25segmented_radix_sort_implIS3_Lb1EPKS5_PS5_PKlPlN2at6native12_GLOBAL__N_18offset_tEEE10hipError_tPvRmT1_PNSt15iterator_traitsISL_E10value_typeET2_T3_PNSM_ISR_E10value_typeET4_jRbjT5_SX_jjP12ihipStream_tbEUlT_E0_NS1_11comp_targetILNS1_3genE3ELNS1_11target_archE908ELNS1_3gpuE7ELNS1_3repE0EEENS1_60segmented_radix_sort_warp_sort_medium_config_static_selectorELNS0_4arch9wavefront6targetE0EEEvSL_,@function
_ZN7rocprim17ROCPRIM_400000_NS6detail17trampoline_kernelINS0_14default_configENS1_36segmented_radix_sort_config_selectorI6__halflEEZNS1_25segmented_radix_sort_implIS3_Lb1EPKS5_PS5_PKlPlN2at6native12_GLOBAL__N_18offset_tEEE10hipError_tPvRmT1_PNSt15iterator_traitsISL_E10value_typeET2_T3_PNSM_ISR_E10value_typeET4_jRbjT5_SX_jjP12ihipStream_tbEUlT_E0_NS1_11comp_targetILNS1_3genE3ELNS1_11target_archE908ELNS1_3gpuE7ELNS1_3repE0EEENS1_60segmented_radix_sort_warp_sort_medium_config_static_selectorELNS0_4arch9wavefront6targetE0EEEvSL_: ; @_ZN7rocprim17ROCPRIM_400000_NS6detail17trampoline_kernelINS0_14default_configENS1_36segmented_radix_sort_config_selectorI6__halflEEZNS1_25segmented_radix_sort_implIS3_Lb1EPKS5_PS5_PKlPlN2at6native12_GLOBAL__N_18offset_tEEE10hipError_tPvRmT1_PNSt15iterator_traitsISL_E10value_typeET2_T3_PNSM_ISR_E10value_typeET4_jRbjT5_SX_jjP12ihipStream_tbEUlT_E0_NS1_11comp_targetILNS1_3genE3ELNS1_11target_archE908ELNS1_3gpuE7ELNS1_3repE0EEENS1_60segmented_radix_sort_warp_sort_medium_config_static_selectorELNS0_4arch9wavefront6targetE0EEEvSL_
; %bb.0:
	.section	.rodata,"a",@progbits
	.p2align	6, 0x0
	.amdhsa_kernel _ZN7rocprim17ROCPRIM_400000_NS6detail17trampoline_kernelINS0_14default_configENS1_36segmented_radix_sort_config_selectorI6__halflEEZNS1_25segmented_radix_sort_implIS3_Lb1EPKS5_PS5_PKlPlN2at6native12_GLOBAL__N_18offset_tEEE10hipError_tPvRmT1_PNSt15iterator_traitsISL_E10value_typeET2_T3_PNSM_ISR_E10value_typeET4_jRbjT5_SX_jjP12ihipStream_tbEUlT_E0_NS1_11comp_targetILNS1_3genE3ELNS1_11target_archE908ELNS1_3gpuE7ELNS1_3repE0EEENS1_60segmented_radix_sort_warp_sort_medium_config_static_selectorELNS0_4arch9wavefront6targetE0EEEvSL_
		.amdhsa_group_segment_fixed_size 0
		.amdhsa_private_segment_fixed_size 0
		.amdhsa_kernarg_size 88
		.amdhsa_user_sgpr_count 2
		.amdhsa_user_sgpr_dispatch_ptr 0
		.amdhsa_user_sgpr_queue_ptr 0
		.amdhsa_user_sgpr_kernarg_segment_ptr 1
		.amdhsa_user_sgpr_dispatch_id 0
		.amdhsa_user_sgpr_kernarg_preload_length 0
		.amdhsa_user_sgpr_kernarg_preload_offset 0
		.amdhsa_user_sgpr_private_segment_size 0
		.amdhsa_wavefront_size32 1
		.amdhsa_uses_dynamic_stack 0
		.amdhsa_enable_private_segment 0
		.amdhsa_system_sgpr_workgroup_id_x 1
		.amdhsa_system_sgpr_workgroup_id_y 0
		.amdhsa_system_sgpr_workgroup_id_z 0
		.amdhsa_system_sgpr_workgroup_info 0
		.amdhsa_system_vgpr_workitem_id 0
		.amdhsa_next_free_vgpr 1
		.amdhsa_next_free_sgpr 1
		.amdhsa_named_barrier_count 0
		.amdhsa_reserve_vcc 0
		.amdhsa_float_round_mode_32 0
		.amdhsa_float_round_mode_16_64 0
		.amdhsa_float_denorm_mode_32 3
		.amdhsa_float_denorm_mode_16_64 3
		.amdhsa_fp16_overflow 0
		.amdhsa_memory_ordered 1
		.amdhsa_forward_progress 1
		.amdhsa_inst_pref_size 0
		.amdhsa_round_robin_scheduling 0
		.amdhsa_exception_fp_ieee_invalid_op 0
		.amdhsa_exception_fp_denorm_src 0
		.amdhsa_exception_fp_ieee_div_zero 0
		.amdhsa_exception_fp_ieee_overflow 0
		.amdhsa_exception_fp_ieee_underflow 0
		.amdhsa_exception_fp_ieee_inexact 0
		.amdhsa_exception_int_div_zero 0
	.end_amdhsa_kernel
	.section	.text._ZN7rocprim17ROCPRIM_400000_NS6detail17trampoline_kernelINS0_14default_configENS1_36segmented_radix_sort_config_selectorI6__halflEEZNS1_25segmented_radix_sort_implIS3_Lb1EPKS5_PS5_PKlPlN2at6native12_GLOBAL__N_18offset_tEEE10hipError_tPvRmT1_PNSt15iterator_traitsISL_E10value_typeET2_T3_PNSM_ISR_E10value_typeET4_jRbjT5_SX_jjP12ihipStream_tbEUlT_E0_NS1_11comp_targetILNS1_3genE3ELNS1_11target_archE908ELNS1_3gpuE7ELNS1_3repE0EEENS1_60segmented_radix_sort_warp_sort_medium_config_static_selectorELNS0_4arch9wavefront6targetE0EEEvSL_,"axG",@progbits,_ZN7rocprim17ROCPRIM_400000_NS6detail17trampoline_kernelINS0_14default_configENS1_36segmented_radix_sort_config_selectorI6__halflEEZNS1_25segmented_radix_sort_implIS3_Lb1EPKS5_PS5_PKlPlN2at6native12_GLOBAL__N_18offset_tEEE10hipError_tPvRmT1_PNSt15iterator_traitsISL_E10value_typeET2_T3_PNSM_ISR_E10value_typeET4_jRbjT5_SX_jjP12ihipStream_tbEUlT_E0_NS1_11comp_targetILNS1_3genE3ELNS1_11target_archE908ELNS1_3gpuE7ELNS1_3repE0EEENS1_60segmented_radix_sort_warp_sort_medium_config_static_selectorELNS0_4arch9wavefront6targetE0EEEvSL_,comdat
.Lfunc_end1743:
	.size	_ZN7rocprim17ROCPRIM_400000_NS6detail17trampoline_kernelINS0_14default_configENS1_36segmented_radix_sort_config_selectorI6__halflEEZNS1_25segmented_radix_sort_implIS3_Lb1EPKS5_PS5_PKlPlN2at6native12_GLOBAL__N_18offset_tEEE10hipError_tPvRmT1_PNSt15iterator_traitsISL_E10value_typeET2_T3_PNSM_ISR_E10value_typeET4_jRbjT5_SX_jjP12ihipStream_tbEUlT_E0_NS1_11comp_targetILNS1_3genE3ELNS1_11target_archE908ELNS1_3gpuE7ELNS1_3repE0EEENS1_60segmented_radix_sort_warp_sort_medium_config_static_selectorELNS0_4arch9wavefront6targetE0EEEvSL_, .Lfunc_end1743-_ZN7rocprim17ROCPRIM_400000_NS6detail17trampoline_kernelINS0_14default_configENS1_36segmented_radix_sort_config_selectorI6__halflEEZNS1_25segmented_radix_sort_implIS3_Lb1EPKS5_PS5_PKlPlN2at6native12_GLOBAL__N_18offset_tEEE10hipError_tPvRmT1_PNSt15iterator_traitsISL_E10value_typeET2_T3_PNSM_ISR_E10value_typeET4_jRbjT5_SX_jjP12ihipStream_tbEUlT_E0_NS1_11comp_targetILNS1_3genE3ELNS1_11target_archE908ELNS1_3gpuE7ELNS1_3repE0EEENS1_60segmented_radix_sort_warp_sort_medium_config_static_selectorELNS0_4arch9wavefront6targetE0EEEvSL_
                                        ; -- End function
	.set _ZN7rocprim17ROCPRIM_400000_NS6detail17trampoline_kernelINS0_14default_configENS1_36segmented_radix_sort_config_selectorI6__halflEEZNS1_25segmented_radix_sort_implIS3_Lb1EPKS5_PS5_PKlPlN2at6native12_GLOBAL__N_18offset_tEEE10hipError_tPvRmT1_PNSt15iterator_traitsISL_E10value_typeET2_T3_PNSM_ISR_E10value_typeET4_jRbjT5_SX_jjP12ihipStream_tbEUlT_E0_NS1_11comp_targetILNS1_3genE3ELNS1_11target_archE908ELNS1_3gpuE7ELNS1_3repE0EEENS1_60segmented_radix_sort_warp_sort_medium_config_static_selectorELNS0_4arch9wavefront6targetE0EEEvSL_.num_vgpr, 0
	.set _ZN7rocprim17ROCPRIM_400000_NS6detail17trampoline_kernelINS0_14default_configENS1_36segmented_radix_sort_config_selectorI6__halflEEZNS1_25segmented_radix_sort_implIS3_Lb1EPKS5_PS5_PKlPlN2at6native12_GLOBAL__N_18offset_tEEE10hipError_tPvRmT1_PNSt15iterator_traitsISL_E10value_typeET2_T3_PNSM_ISR_E10value_typeET4_jRbjT5_SX_jjP12ihipStream_tbEUlT_E0_NS1_11comp_targetILNS1_3genE3ELNS1_11target_archE908ELNS1_3gpuE7ELNS1_3repE0EEENS1_60segmented_radix_sort_warp_sort_medium_config_static_selectorELNS0_4arch9wavefront6targetE0EEEvSL_.num_agpr, 0
	.set _ZN7rocprim17ROCPRIM_400000_NS6detail17trampoline_kernelINS0_14default_configENS1_36segmented_radix_sort_config_selectorI6__halflEEZNS1_25segmented_radix_sort_implIS3_Lb1EPKS5_PS5_PKlPlN2at6native12_GLOBAL__N_18offset_tEEE10hipError_tPvRmT1_PNSt15iterator_traitsISL_E10value_typeET2_T3_PNSM_ISR_E10value_typeET4_jRbjT5_SX_jjP12ihipStream_tbEUlT_E0_NS1_11comp_targetILNS1_3genE3ELNS1_11target_archE908ELNS1_3gpuE7ELNS1_3repE0EEENS1_60segmented_radix_sort_warp_sort_medium_config_static_selectorELNS0_4arch9wavefront6targetE0EEEvSL_.numbered_sgpr, 0
	.set _ZN7rocprim17ROCPRIM_400000_NS6detail17trampoline_kernelINS0_14default_configENS1_36segmented_radix_sort_config_selectorI6__halflEEZNS1_25segmented_radix_sort_implIS3_Lb1EPKS5_PS5_PKlPlN2at6native12_GLOBAL__N_18offset_tEEE10hipError_tPvRmT1_PNSt15iterator_traitsISL_E10value_typeET2_T3_PNSM_ISR_E10value_typeET4_jRbjT5_SX_jjP12ihipStream_tbEUlT_E0_NS1_11comp_targetILNS1_3genE3ELNS1_11target_archE908ELNS1_3gpuE7ELNS1_3repE0EEENS1_60segmented_radix_sort_warp_sort_medium_config_static_selectorELNS0_4arch9wavefront6targetE0EEEvSL_.num_named_barrier, 0
	.set _ZN7rocprim17ROCPRIM_400000_NS6detail17trampoline_kernelINS0_14default_configENS1_36segmented_radix_sort_config_selectorI6__halflEEZNS1_25segmented_radix_sort_implIS3_Lb1EPKS5_PS5_PKlPlN2at6native12_GLOBAL__N_18offset_tEEE10hipError_tPvRmT1_PNSt15iterator_traitsISL_E10value_typeET2_T3_PNSM_ISR_E10value_typeET4_jRbjT5_SX_jjP12ihipStream_tbEUlT_E0_NS1_11comp_targetILNS1_3genE3ELNS1_11target_archE908ELNS1_3gpuE7ELNS1_3repE0EEENS1_60segmented_radix_sort_warp_sort_medium_config_static_selectorELNS0_4arch9wavefront6targetE0EEEvSL_.private_seg_size, 0
	.set _ZN7rocprim17ROCPRIM_400000_NS6detail17trampoline_kernelINS0_14default_configENS1_36segmented_radix_sort_config_selectorI6__halflEEZNS1_25segmented_radix_sort_implIS3_Lb1EPKS5_PS5_PKlPlN2at6native12_GLOBAL__N_18offset_tEEE10hipError_tPvRmT1_PNSt15iterator_traitsISL_E10value_typeET2_T3_PNSM_ISR_E10value_typeET4_jRbjT5_SX_jjP12ihipStream_tbEUlT_E0_NS1_11comp_targetILNS1_3genE3ELNS1_11target_archE908ELNS1_3gpuE7ELNS1_3repE0EEENS1_60segmented_radix_sort_warp_sort_medium_config_static_selectorELNS0_4arch9wavefront6targetE0EEEvSL_.uses_vcc, 0
	.set _ZN7rocprim17ROCPRIM_400000_NS6detail17trampoline_kernelINS0_14default_configENS1_36segmented_radix_sort_config_selectorI6__halflEEZNS1_25segmented_radix_sort_implIS3_Lb1EPKS5_PS5_PKlPlN2at6native12_GLOBAL__N_18offset_tEEE10hipError_tPvRmT1_PNSt15iterator_traitsISL_E10value_typeET2_T3_PNSM_ISR_E10value_typeET4_jRbjT5_SX_jjP12ihipStream_tbEUlT_E0_NS1_11comp_targetILNS1_3genE3ELNS1_11target_archE908ELNS1_3gpuE7ELNS1_3repE0EEENS1_60segmented_radix_sort_warp_sort_medium_config_static_selectorELNS0_4arch9wavefront6targetE0EEEvSL_.uses_flat_scratch, 0
	.set _ZN7rocprim17ROCPRIM_400000_NS6detail17trampoline_kernelINS0_14default_configENS1_36segmented_radix_sort_config_selectorI6__halflEEZNS1_25segmented_radix_sort_implIS3_Lb1EPKS5_PS5_PKlPlN2at6native12_GLOBAL__N_18offset_tEEE10hipError_tPvRmT1_PNSt15iterator_traitsISL_E10value_typeET2_T3_PNSM_ISR_E10value_typeET4_jRbjT5_SX_jjP12ihipStream_tbEUlT_E0_NS1_11comp_targetILNS1_3genE3ELNS1_11target_archE908ELNS1_3gpuE7ELNS1_3repE0EEENS1_60segmented_radix_sort_warp_sort_medium_config_static_selectorELNS0_4arch9wavefront6targetE0EEEvSL_.has_dyn_sized_stack, 0
	.set _ZN7rocprim17ROCPRIM_400000_NS6detail17trampoline_kernelINS0_14default_configENS1_36segmented_radix_sort_config_selectorI6__halflEEZNS1_25segmented_radix_sort_implIS3_Lb1EPKS5_PS5_PKlPlN2at6native12_GLOBAL__N_18offset_tEEE10hipError_tPvRmT1_PNSt15iterator_traitsISL_E10value_typeET2_T3_PNSM_ISR_E10value_typeET4_jRbjT5_SX_jjP12ihipStream_tbEUlT_E0_NS1_11comp_targetILNS1_3genE3ELNS1_11target_archE908ELNS1_3gpuE7ELNS1_3repE0EEENS1_60segmented_radix_sort_warp_sort_medium_config_static_selectorELNS0_4arch9wavefront6targetE0EEEvSL_.has_recursion, 0
	.set _ZN7rocprim17ROCPRIM_400000_NS6detail17trampoline_kernelINS0_14default_configENS1_36segmented_radix_sort_config_selectorI6__halflEEZNS1_25segmented_radix_sort_implIS3_Lb1EPKS5_PS5_PKlPlN2at6native12_GLOBAL__N_18offset_tEEE10hipError_tPvRmT1_PNSt15iterator_traitsISL_E10value_typeET2_T3_PNSM_ISR_E10value_typeET4_jRbjT5_SX_jjP12ihipStream_tbEUlT_E0_NS1_11comp_targetILNS1_3genE3ELNS1_11target_archE908ELNS1_3gpuE7ELNS1_3repE0EEENS1_60segmented_radix_sort_warp_sort_medium_config_static_selectorELNS0_4arch9wavefront6targetE0EEEvSL_.has_indirect_call, 0
	.section	.AMDGPU.csdata,"",@progbits
; Kernel info:
; codeLenInByte = 0
; TotalNumSgprs: 0
; NumVgprs: 0
; ScratchSize: 0
; MemoryBound: 0
; FloatMode: 240
; IeeeMode: 1
; LDSByteSize: 0 bytes/workgroup (compile time only)
; SGPRBlocks: 0
; VGPRBlocks: 0
; NumSGPRsForWavesPerEU: 1
; NumVGPRsForWavesPerEU: 1
; NamedBarCnt: 0
; Occupancy: 16
; WaveLimiterHint : 0
; COMPUTE_PGM_RSRC2:SCRATCH_EN: 0
; COMPUTE_PGM_RSRC2:USER_SGPR: 2
; COMPUTE_PGM_RSRC2:TRAP_HANDLER: 0
; COMPUTE_PGM_RSRC2:TGID_X_EN: 1
; COMPUTE_PGM_RSRC2:TGID_Y_EN: 0
; COMPUTE_PGM_RSRC2:TGID_Z_EN: 0
; COMPUTE_PGM_RSRC2:TIDIG_COMP_CNT: 0
	.section	.text._ZN7rocprim17ROCPRIM_400000_NS6detail17trampoline_kernelINS0_14default_configENS1_36segmented_radix_sort_config_selectorI6__halflEEZNS1_25segmented_radix_sort_implIS3_Lb1EPKS5_PS5_PKlPlN2at6native12_GLOBAL__N_18offset_tEEE10hipError_tPvRmT1_PNSt15iterator_traitsISL_E10value_typeET2_T3_PNSM_ISR_E10value_typeET4_jRbjT5_SX_jjP12ihipStream_tbEUlT_E0_NS1_11comp_targetILNS1_3genE2ELNS1_11target_archE906ELNS1_3gpuE6ELNS1_3repE0EEENS1_60segmented_radix_sort_warp_sort_medium_config_static_selectorELNS0_4arch9wavefront6targetE0EEEvSL_,"axG",@progbits,_ZN7rocprim17ROCPRIM_400000_NS6detail17trampoline_kernelINS0_14default_configENS1_36segmented_radix_sort_config_selectorI6__halflEEZNS1_25segmented_radix_sort_implIS3_Lb1EPKS5_PS5_PKlPlN2at6native12_GLOBAL__N_18offset_tEEE10hipError_tPvRmT1_PNSt15iterator_traitsISL_E10value_typeET2_T3_PNSM_ISR_E10value_typeET4_jRbjT5_SX_jjP12ihipStream_tbEUlT_E0_NS1_11comp_targetILNS1_3genE2ELNS1_11target_archE906ELNS1_3gpuE6ELNS1_3repE0EEENS1_60segmented_radix_sort_warp_sort_medium_config_static_selectorELNS0_4arch9wavefront6targetE0EEEvSL_,comdat
	.globl	_ZN7rocprim17ROCPRIM_400000_NS6detail17trampoline_kernelINS0_14default_configENS1_36segmented_radix_sort_config_selectorI6__halflEEZNS1_25segmented_radix_sort_implIS3_Lb1EPKS5_PS5_PKlPlN2at6native12_GLOBAL__N_18offset_tEEE10hipError_tPvRmT1_PNSt15iterator_traitsISL_E10value_typeET2_T3_PNSM_ISR_E10value_typeET4_jRbjT5_SX_jjP12ihipStream_tbEUlT_E0_NS1_11comp_targetILNS1_3genE2ELNS1_11target_archE906ELNS1_3gpuE6ELNS1_3repE0EEENS1_60segmented_radix_sort_warp_sort_medium_config_static_selectorELNS0_4arch9wavefront6targetE0EEEvSL_ ; -- Begin function _ZN7rocprim17ROCPRIM_400000_NS6detail17trampoline_kernelINS0_14default_configENS1_36segmented_radix_sort_config_selectorI6__halflEEZNS1_25segmented_radix_sort_implIS3_Lb1EPKS5_PS5_PKlPlN2at6native12_GLOBAL__N_18offset_tEEE10hipError_tPvRmT1_PNSt15iterator_traitsISL_E10value_typeET2_T3_PNSM_ISR_E10value_typeET4_jRbjT5_SX_jjP12ihipStream_tbEUlT_E0_NS1_11comp_targetILNS1_3genE2ELNS1_11target_archE906ELNS1_3gpuE6ELNS1_3repE0EEENS1_60segmented_radix_sort_warp_sort_medium_config_static_selectorELNS0_4arch9wavefront6targetE0EEEvSL_
	.p2align	8
	.type	_ZN7rocprim17ROCPRIM_400000_NS6detail17trampoline_kernelINS0_14default_configENS1_36segmented_radix_sort_config_selectorI6__halflEEZNS1_25segmented_radix_sort_implIS3_Lb1EPKS5_PS5_PKlPlN2at6native12_GLOBAL__N_18offset_tEEE10hipError_tPvRmT1_PNSt15iterator_traitsISL_E10value_typeET2_T3_PNSM_ISR_E10value_typeET4_jRbjT5_SX_jjP12ihipStream_tbEUlT_E0_NS1_11comp_targetILNS1_3genE2ELNS1_11target_archE906ELNS1_3gpuE6ELNS1_3repE0EEENS1_60segmented_radix_sort_warp_sort_medium_config_static_selectorELNS0_4arch9wavefront6targetE0EEEvSL_,@function
_ZN7rocprim17ROCPRIM_400000_NS6detail17trampoline_kernelINS0_14default_configENS1_36segmented_radix_sort_config_selectorI6__halflEEZNS1_25segmented_radix_sort_implIS3_Lb1EPKS5_PS5_PKlPlN2at6native12_GLOBAL__N_18offset_tEEE10hipError_tPvRmT1_PNSt15iterator_traitsISL_E10value_typeET2_T3_PNSM_ISR_E10value_typeET4_jRbjT5_SX_jjP12ihipStream_tbEUlT_E0_NS1_11comp_targetILNS1_3genE2ELNS1_11target_archE906ELNS1_3gpuE6ELNS1_3repE0EEENS1_60segmented_radix_sort_warp_sort_medium_config_static_selectorELNS0_4arch9wavefront6targetE0EEEvSL_: ; @_ZN7rocprim17ROCPRIM_400000_NS6detail17trampoline_kernelINS0_14default_configENS1_36segmented_radix_sort_config_selectorI6__halflEEZNS1_25segmented_radix_sort_implIS3_Lb1EPKS5_PS5_PKlPlN2at6native12_GLOBAL__N_18offset_tEEE10hipError_tPvRmT1_PNSt15iterator_traitsISL_E10value_typeET2_T3_PNSM_ISR_E10value_typeET4_jRbjT5_SX_jjP12ihipStream_tbEUlT_E0_NS1_11comp_targetILNS1_3genE2ELNS1_11target_archE906ELNS1_3gpuE6ELNS1_3repE0EEENS1_60segmented_radix_sort_warp_sort_medium_config_static_selectorELNS0_4arch9wavefront6targetE0EEEvSL_
; %bb.0:
	.section	.rodata,"a",@progbits
	.p2align	6, 0x0
	.amdhsa_kernel _ZN7rocprim17ROCPRIM_400000_NS6detail17trampoline_kernelINS0_14default_configENS1_36segmented_radix_sort_config_selectorI6__halflEEZNS1_25segmented_radix_sort_implIS3_Lb1EPKS5_PS5_PKlPlN2at6native12_GLOBAL__N_18offset_tEEE10hipError_tPvRmT1_PNSt15iterator_traitsISL_E10value_typeET2_T3_PNSM_ISR_E10value_typeET4_jRbjT5_SX_jjP12ihipStream_tbEUlT_E0_NS1_11comp_targetILNS1_3genE2ELNS1_11target_archE906ELNS1_3gpuE6ELNS1_3repE0EEENS1_60segmented_radix_sort_warp_sort_medium_config_static_selectorELNS0_4arch9wavefront6targetE0EEEvSL_
		.amdhsa_group_segment_fixed_size 0
		.amdhsa_private_segment_fixed_size 0
		.amdhsa_kernarg_size 88
		.amdhsa_user_sgpr_count 2
		.amdhsa_user_sgpr_dispatch_ptr 0
		.amdhsa_user_sgpr_queue_ptr 0
		.amdhsa_user_sgpr_kernarg_segment_ptr 1
		.amdhsa_user_sgpr_dispatch_id 0
		.amdhsa_user_sgpr_kernarg_preload_length 0
		.amdhsa_user_sgpr_kernarg_preload_offset 0
		.amdhsa_user_sgpr_private_segment_size 0
		.amdhsa_wavefront_size32 1
		.amdhsa_uses_dynamic_stack 0
		.amdhsa_enable_private_segment 0
		.amdhsa_system_sgpr_workgroup_id_x 1
		.amdhsa_system_sgpr_workgroup_id_y 0
		.amdhsa_system_sgpr_workgroup_id_z 0
		.amdhsa_system_sgpr_workgroup_info 0
		.amdhsa_system_vgpr_workitem_id 0
		.amdhsa_next_free_vgpr 1
		.amdhsa_next_free_sgpr 1
		.amdhsa_named_barrier_count 0
		.amdhsa_reserve_vcc 0
		.amdhsa_float_round_mode_32 0
		.amdhsa_float_round_mode_16_64 0
		.amdhsa_float_denorm_mode_32 3
		.amdhsa_float_denorm_mode_16_64 3
		.amdhsa_fp16_overflow 0
		.amdhsa_memory_ordered 1
		.amdhsa_forward_progress 1
		.amdhsa_inst_pref_size 0
		.amdhsa_round_robin_scheduling 0
		.amdhsa_exception_fp_ieee_invalid_op 0
		.amdhsa_exception_fp_denorm_src 0
		.amdhsa_exception_fp_ieee_div_zero 0
		.amdhsa_exception_fp_ieee_overflow 0
		.amdhsa_exception_fp_ieee_underflow 0
		.amdhsa_exception_fp_ieee_inexact 0
		.amdhsa_exception_int_div_zero 0
	.end_amdhsa_kernel
	.section	.text._ZN7rocprim17ROCPRIM_400000_NS6detail17trampoline_kernelINS0_14default_configENS1_36segmented_radix_sort_config_selectorI6__halflEEZNS1_25segmented_radix_sort_implIS3_Lb1EPKS5_PS5_PKlPlN2at6native12_GLOBAL__N_18offset_tEEE10hipError_tPvRmT1_PNSt15iterator_traitsISL_E10value_typeET2_T3_PNSM_ISR_E10value_typeET4_jRbjT5_SX_jjP12ihipStream_tbEUlT_E0_NS1_11comp_targetILNS1_3genE2ELNS1_11target_archE906ELNS1_3gpuE6ELNS1_3repE0EEENS1_60segmented_radix_sort_warp_sort_medium_config_static_selectorELNS0_4arch9wavefront6targetE0EEEvSL_,"axG",@progbits,_ZN7rocprim17ROCPRIM_400000_NS6detail17trampoline_kernelINS0_14default_configENS1_36segmented_radix_sort_config_selectorI6__halflEEZNS1_25segmented_radix_sort_implIS3_Lb1EPKS5_PS5_PKlPlN2at6native12_GLOBAL__N_18offset_tEEE10hipError_tPvRmT1_PNSt15iterator_traitsISL_E10value_typeET2_T3_PNSM_ISR_E10value_typeET4_jRbjT5_SX_jjP12ihipStream_tbEUlT_E0_NS1_11comp_targetILNS1_3genE2ELNS1_11target_archE906ELNS1_3gpuE6ELNS1_3repE0EEENS1_60segmented_radix_sort_warp_sort_medium_config_static_selectorELNS0_4arch9wavefront6targetE0EEEvSL_,comdat
.Lfunc_end1744:
	.size	_ZN7rocprim17ROCPRIM_400000_NS6detail17trampoline_kernelINS0_14default_configENS1_36segmented_radix_sort_config_selectorI6__halflEEZNS1_25segmented_radix_sort_implIS3_Lb1EPKS5_PS5_PKlPlN2at6native12_GLOBAL__N_18offset_tEEE10hipError_tPvRmT1_PNSt15iterator_traitsISL_E10value_typeET2_T3_PNSM_ISR_E10value_typeET4_jRbjT5_SX_jjP12ihipStream_tbEUlT_E0_NS1_11comp_targetILNS1_3genE2ELNS1_11target_archE906ELNS1_3gpuE6ELNS1_3repE0EEENS1_60segmented_radix_sort_warp_sort_medium_config_static_selectorELNS0_4arch9wavefront6targetE0EEEvSL_, .Lfunc_end1744-_ZN7rocprim17ROCPRIM_400000_NS6detail17trampoline_kernelINS0_14default_configENS1_36segmented_radix_sort_config_selectorI6__halflEEZNS1_25segmented_radix_sort_implIS3_Lb1EPKS5_PS5_PKlPlN2at6native12_GLOBAL__N_18offset_tEEE10hipError_tPvRmT1_PNSt15iterator_traitsISL_E10value_typeET2_T3_PNSM_ISR_E10value_typeET4_jRbjT5_SX_jjP12ihipStream_tbEUlT_E0_NS1_11comp_targetILNS1_3genE2ELNS1_11target_archE906ELNS1_3gpuE6ELNS1_3repE0EEENS1_60segmented_radix_sort_warp_sort_medium_config_static_selectorELNS0_4arch9wavefront6targetE0EEEvSL_
                                        ; -- End function
	.set _ZN7rocprim17ROCPRIM_400000_NS6detail17trampoline_kernelINS0_14default_configENS1_36segmented_radix_sort_config_selectorI6__halflEEZNS1_25segmented_radix_sort_implIS3_Lb1EPKS5_PS5_PKlPlN2at6native12_GLOBAL__N_18offset_tEEE10hipError_tPvRmT1_PNSt15iterator_traitsISL_E10value_typeET2_T3_PNSM_ISR_E10value_typeET4_jRbjT5_SX_jjP12ihipStream_tbEUlT_E0_NS1_11comp_targetILNS1_3genE2ELNS1_11target_archE906ELNS1_3gpuE6ELNS1_3repE0EEENS1_60segmented_radix_sort_warp_sort_medium_config_static_selectorELNS0_4arch9wavefront6targetE0EEEvSL_.num_vgpr, 0
	.set _ZN7rocprim17ROCPRIM_400000_NS6detail17trampoline_kernelINS0_14default_configENS1_36segmented_radix_sort_config_selectorI6__halflEEZNS1_25segmented_radix_sort_implIS3_Lb1EPKS5_PS5_PKlPlN2at6native12_GLOBAL__N_18offset_tEEE10hipError_tPvRmT1_PNSt15iterator_traitsISL_E10value_typeET2_T3_PNSM_ISR_E10value_typeET4_jRbjT5_SX_jjP12ihipStream_tbEUlT_E0_NS1_11comp_targetILNS1_3genE2ELNS1_11target_archE906ELNS1_3gpuE6ELNS1_3repE0EEENS1_60segmented_radix_sort_warp_sort_medium_config_static_selectorELNS0_4arch9wavefront6targetE0EEEvSL_.num_agpr, 0
	.set _ZN7rocprim17ROCPRIM_400000_NS6detail17trampoline_kernelINS0_14default_configENS1_36segmented_radix_sort_config_selectorI6__halflEEZNS1_25segmented_radix_sort_implIS3_Lb1EPKS5_PS5_PKlPlN2at6native12_GLOBAL__N_18offset_tEEE10hipError_tPvRmT1_PNSt15iterator_traitsISL_E10value_typeET2_T3_PNSM_ISR_E10value_typeET4_jRbjT5_SX_jjP12ihipStream_tbEUlT_E0_NS1_11comp_targetILNS1_3genE2ELNS1_11target_archE906ELNS1_3gpuE6ELNS1_3repE0EEENS1_60segmented_radix_sort_warp_sort_medium_config_static_selectorELNS0_4arch9wavefront6targetE0EEEvSL_.numbered_sgpr, 0
	.set _ZN7rocprim17ROCPRIM_400000_NS6detail17trampoline_kernelINS0_14default_configENS1_36segmented_radix_sort_config_selectorI6__halflEEZNS1_25segmented_radix_sort_implIS3_Lb1EPKS5_PS5_PKlPlN2at6native12_GLOBAL__N_18offset_tEEE10hipError_tPvRmT1_PNSt15iterator_traitsISL_E10value_typeET2_T3_PNSM_ISR_E10value_typeET4_jRbjT5_SX_jjP12ihipStream_tbEUlT_E0_NS1_11comp_targetILNS1_3genE2ELNS1_11target_archE906ELNS1_3gpuE6ELNS1_3repE0EEENS1_60segmented_radix_sort_warp_sort_medium_config_static_selectorELNS0_4arch9wavefront6targetE0EEEvSL_.num_named_barrier, 0
	.set _ZN7rocprim17ROCPRIM_400000_NS6detail17trampoline_kernelINS0_14default_configENS1_36segmented_radix_sort_config_selectorI6__halflEEZNS1_25segmented_radix_sort_implIS3_Lb1EPKS5_PS5_PKlPlN2at6native12_GLOBAL__N_18offset_tEEE10hipError_tPvRmT1_PNSt15iterator_traitsISL_E10value_typeET2_T3_PNSM_ISR_E10value_typeET4_jRbjT5_SX_jjP12ihipStream_tbEUlT_E0_NS1_11comp_targetILNS1_3genE2ELNS1_11target_archE906ELNS1_3gpuE6ELNS1_3repE0EEENS1_60segmented_radix_sort_warp_sort_medium_config_static_selectorELNS0_4arch9wavefront6targetE0EEEvSL_.private_seg_size, 0
	.set _ZN7rocprim17ROCPRIM_400000_NS6detail17trampoline_kernelINS0_14default_configENS1_36segmented_radix_sort_config_selectorI6__halflEEZNS1_25segmented_radix_sort_implIS3_Lb1EPKS5_PS5_PKlPlN2at6native12_GLOBAL__N_18offset_tEEE10hipError_tPvRmT1_PNSt15iterator_traitsISL_E10value_typeET2_T3_PNSM_ISR_E10value_typeET4_jRbjT5_SX_jjP12ihipStream_tbEUlT_E0_NS1_11comp_targetILNS1_3genE2ELNS1_11target_archE906ELNS1_3gpuE6ELNS1_3repE0EEENS1_60segmented_radix_sort_warp_sort_medium_config_static_selectorELNS0_4arch9wavefront6targetE0EEEvSL_.uses_vcc, 0
	.set _ZN7rocprim17ROCPRIM_400000_NS6detail17trampoline_kernelINS0_14default_configENS1_36segmented_radix_sort_config_selectorI6__halflEEZNS1_25segmented_radix_sort_implIS3_Lb1EPKS5_PS5_PKlPlN2at6native12_GLOBAL__N_18offset_tEEE10hipError_tPvRmT1_PNSt15iterator_traitsISL_E10value_typeET2_T3_PNSM_ISR_E10value_typeET4_jRbjT5_SX_jjP12ihipStream_tbEUlT_E0_NS1_11comp_targetILNS1_3genE2ELNS1_11target_archE906ELNS1_3gpuE6ELNS1_3repE0EEENS1_60segmented_radix_sort_warp_sort_medium_config_static_selectorELNS0_4arch9wavefront6targetE0EEEvSL_.uses_flat_scratch, 0
	.set _ZN7rocprim17ROCPRIM_400000_NS6detail17trampoline_kernelINS0_14default_configENS1_36segmented_radix_sort_config_selectorI6__halflEEZNS1_25segmented_radix_sort_implIS3_Lb1EPKS5_PS5_PKlPlN2at6native12_GLOBAL__N_18offset_tEEE10hipError_tPvRmT1_PNSt15iterator_traitsISL_E10value_typeET2_T3_PNSM_ISR_E10value_typeET4_jRbjT5_SX_jjP12ihipStream_tbEUlT_E0_NS1_11comp_targetILNS1_3genE2ELNS1_11target_archE906ELNS1_3gpuE6ELNS1_3repE0EEENS1_60segmented_radix_sort_warp_sort_medium_config_static_selectorELNS0_4arch9wavefront6targetE0EEEvSL_.has_dyn_sized_stack, 0
	.set _ZN7rocprim17ROCPRIM_400000_NS6detail17trampoline_kernelINS0_14default_configENS1_36segmented_radix_sort_config_selectorI6__halflEEZNS1_25segmented_radix_sort_implIS3_Lb1EPKS5_PS5_PKlPlN2at6native12_GLOBAL__N_18offset_tEEE10hipError_tPvRmT1_PNSt15iterator_traitsISL_E10value_typeET2_T3_PNSM_ISR_E10value_typeET4_jRbjT5_SX_jjP12ihipStream_tbEUlT_E0_NS1_11comp_targetILNS1_3genE2ELNS1_11target_archE906ELNS1_3gpuE6ELNS1_3repE0EEENS1_60segmented_radix_sort_warp_sort_medium_config_static_selectorELNS0_4arch9wavefront6targetE0EEEvSL_.has_recursion, 0
	.set _ZN7rocprim17ROCPRIM_400000_NS6detail17trampoline_kernelINS0_14default_configENS1_36segmented_radix_sort_config_selectorI6__halflEEZNS1_25segmented_radix_sort_implIS3_Lb1EPKS5_PS5_PKlPlN2at6native12_GLOBAL__N_18offset_tEEE10hipError_tPvRmT1_PNSt15iterator_traitsISL_E10value_typeET2_T3_PNSM_ISR_E10value_typeET4_jRbjT5_SX_jjP12ihipStream_tbEUlT_E0_NS1_11comp_targetILNS1_3genE2ELNS1_11target_archE906ELNS1_3gpuE6ELNS1_3repE0EEENS1_60segmented_radix_sort_warp_sort_medium_config_static_selectorELNS0_4arch9wavefront6targetE0EEEvSL_.has_indirect_call, 0
	.section	.AMDGPU.csdata,"",@progbits
; Kernel info:
; codeLenInByte = 0
; TotalNumSgprs: 0
; NumVgprs: 0
; ScratchSize: 0
; MemoryBound: 0
; FloatMode: 240
; IeeeMode: 1
; LDSByteSize: 0 bytes/workgroup (compile time only)
; SGPRBlocks: 0
; VGPRBlocks: 0
; NumSGPRsForWavesPerEU: 1
; NumVGPRsForWavesPerEU: 1
; NamedBarCnt: 0
; Occupancy: 16
; WaveLimiterHint : 0
; COMPUTE_PGM_RSRC2:SCRATCH_EN: 0
; COMPUTE_PGM_RSRC2:USER_SGPR: 2
; COMPUTE_PGM_RSRC2:TRAP_HANDLER: 0
; COMPUTE_PGM_RSRC2:TGID_X_EN: 1
; COMPUTE_PGM_RSRC2:TGID_Y_EN: 0
; COMPUTE_PGM_RSRC2:TGID_Z_EN: 0
; COMPUTE_PGM_RSRC2:TIDIG_COMP_CNT: 0
	.section	.text._ZN7rocprim17ROCPRIM_400000_NS6detail17trampoline_kernelINS0_14default_configENS1_36segmented_radix_sort_config_selectorI6__halflEEZNS1_25segmented_radix_sort_implIS3_Lb1EPKS5_PS5_PKlPlN2at6native12_GLOBAL__N_18offset_tEEE10hipError_tPvRmT1_PNSt15iterator_traitsISL_E10value_typeET2_T3_PNSM_ISR_E10value_typeET4_jRbjT5_SX_jjP12ihipStream_tbEUlT_E0_NS1_11comp_targetILNS1_3genE10ELNS1_11target_archE1201ELNS1_3gpuE5ELNS1_3repE0EEENS1_60segmented_radix_sort_warp_sort_medium_config_static_selectorELNS0_4arch9wavefront6targetE0EEEvSL_,"axG",@progbits,_ZN7rocprim17ROCPRIM_400000_NS6detail17trampoline_kernelINS0_14default_configENS1_36segmented_radix_sort_config_selectorI6__halflEEZNS1_25segmented_radix_sort_implIS3_Lb1EPKS5_PS5_PKlPlN2at6native12_GLOBAL__N_18offset_tEEE10hipError_tPvRmT1_PNSt15iterator_traitsISL_E10value_typeET2_T3_PNSM_ISR_E10value_typeET4_jRbjT5_SX_jjP12ihipStream_tbEUlT_E0_NS1_11comp_targetILNS1_3genE10ELNS1_11target_archE1201ELNS1_3gpuE5ELNS1_3repE0EEENS1_60segmented_radix_sort_warp_sort_medium_config_static_selectorELNS0_4arch9wavefront6targetE0EEEvSL_,comdat
	.globl	_ZN7rocprim17ROCPRIM_400000_NS6detail17trampoline_kernelINS0_14default_configENS1_36segmented_radix_sort_config_selectorI6__halflEEZNS1_25segmented_radix_sort_implIS3_Lb1EPKS5_PS5_PKlPlN2at6native12_GLOBAL__N_18offset_tEEE10hipError_tPvRmT1_PNSt15iterator_traitsISL_E10value_typeET2_T3_PNSM_ISR_E10value_typeET4_jRbjT5_SX_jjP12ihipStream_tbEUlT_E0_NS1_11comp_targetILNS1_3genE10ELNS1_11target_archE1201ELNS1_3gpuE5ELNS1_3repE0EEENS1_60segmented_radix_sort_warp_sort_medium_config_static_selectorELNS0_4arch9wavefront6targetE0EEEvSL_ ; -- Begin function _ZN7rocprim17ROCPRIM_400000_NS6detail17trampoline_kernelINS0_14default_configENS1_36segmented_radix_sort_config_selectorI6__halflEEZNS1_25segmented_radix_sort_implIS3_Lb1EPKS5_PS5_PKlPlN2at6native12_GLOBAL__N_18offset_tEEE10hipError_tPvRmT1_PNSt15iterator_traitsISL_E10value_typeET2_T3_PNSM_ISR_E10value_typeET4_jRbjT5_SX_jjP12ihipStream_tbEUlT_E0_NS1_11comp_targetILNS1_3genE10ELNS1_11target_archE1201ELNS1_3gpuE5ELNS1_3repE0EEENS1_60segmented_radix_sort_warp_sort_medium_config_static_selectorELNS0_4arch9wavefront6targetE0EEEvSL_
	.p2align	8
	.type	_ZN7rocprim17ROCPRIM_400000_NS6detail17trampoline_kernelINS0_14default_configENS1_36segmented_radix_sort_config_selectorI6__halflEEZNS1_25segmented_radix_sort_implIS3_Lb1EPKS5_PS5_PKlPlN2at6native12_GLOBAL__N_18offset_tEEE10hipError_tPvRmT1_PNSt15iterator_traitsISL_E10value_typeET2_T3_PNSM_ISR_E10value_typeET4_jRbjT5_SX_jjP12ihipStream_tbEUlT_E0_NS1_11comp_targetILNS1_3genE10ELNS1_11target_archE1201ELNS1_3gpuE5ELNS1_3repE0EEENS1_60segmented_radix_sort_warp_sort_medium_config_static_selectorELNS0_4arch9wavefront6targetE0EEEvSL_,@function
_ZN7rocprim17ROCPRIM_400000_NS6detail17trampoline_kernelINS0_14default_configENS1_36segmented_radix_sort_config_selectorI6__halflEEZNS1_25segmented_radix_sort_implIS3_Lb1EPKS5_PS5_PKlPlN2at6native12_GLOBAL__N_18offset_tEEE10hipError_tPvRmT1_PNSt15iterator_traitsISL_E10value_typeET2_T3_PNSM_ISR_E10value_typeET4_jRbjT5_SX_jjP12ihipStream_tbEUlT_E0_NS1_11comp_targetILNS1_3genE10ELNS1_11target_archE1201ELNS1_3gpuE5ELNS1_3repE0EEENS1_60segmented_radix_sort_warp_sort_medium_config_static_selectorELNS0_4arch9wavefront6targetE0EEEvSL_: ; @_ZN7rocprim17ROCPRIM_400000_NS6detail17trampoline_kernelINS0_14default_configENS1_36segmented_radix_sort_config_selectorI6__halflEEZNS1_25segmented_radix_sort_implIS3_Lb1EPKS5_PS5_PKlPlN2at6native12_GLOBAL__N_18offset_tEEE10hipError_tPvRmT1_PNSt15iterator_traitsISL_E10value_typeET2_T3_PNSM_ISR_E10value_typeET4_jRbjT5_SX_jjP12ihipStream_tbEUlT_E0_NS1_11comp_targetILNS1_3genE10ELNS1_11target_archE1201ELNS1_3gpuE5ELNS1_3repE0EEENS1_60segmented_radix_sort_warp_sort_medium_config_static_selectorELNS0_4arch9wavefront6targetE0EEEvSL_
; %bb.0:
	.section	.rodata,"a",@progbits
	.p2align	6, 0x0
	.amdhsa_kernel _ZN7rocprim17ROCPRIM_400000_NS6detail17trampoline_kernelINS0_14default_configENS1_36segmented_radix_sort_config_selectorI6__halflEEZNS1_25segmented_radix_sort_implIS3_Lb1EPKS5_PS5_PKlPlN2at6native12_GLOBAL__N_18offset_tEEE10hipError_tPvRmT1_PNSt15iterator_traitsISL_E10value_typeET2_T3_PNSM_ISR_E10value_typeET4_jRbjT5_SX_jjP12ihipStream_tbEUlT_E0_NS1_11comp_targetILNS1_3genE10ELNS1_11target_archE1201ELNS1_3gpuE5ELNS1_3repE0EEENS1_60segmented_radix_sort_warp_sort_medium_config_static_selectorELNS0_4arch9wavefront6targetE0EEEvSL_
		.amdhsa_group_segment_fixed_size 0
		.amdhsa_private_segment_fixed_size 0
		.amdhsa_kernarg_size 88
		.amdhsa_user_sgpr_count 2
		.amdhsa_user_sgpr_dispatch_ptr 0
		.amdhsa_user_sgpr_queue_ptr 0
		.amdhsa_user_sgpr_kernarg_segment_ptr 1
		.amdhsa_user_sgpr_dispatch_id 0
		.amdhsa_user_sgpr_kernarg_preload_length 0
		.amdhsa_user_sgpr_kernarg_preload_offset 0
		.amdhsa_user_sgpr_private_segment_size 0
		.amdhsa_wavefront_size32 1
		.amdhsa_uses_dynamic_stack 0
		.amdhsa_enable_private_segment 0
		.amdhsa_system_sgpr_workgroup_id_x 1
		.amdhsa_system_sgpr_workgroup_id_y 0
		.amdhsa_system_sgpr_workgroup_id_z 0
		.amdhsa_system_sgpr_workgroup_info 0
		.amdhsa_system_vgpr_workitem_id 0
		.amdhsa_next_free_vgpr 1
		.amdhsa_next_free_sgpr 1
		.amdhsa_named_barrier_count 0
		.amdhsa_reserve_vcc 0
		.amdhsa_float_round_mode_32 0
		.amdhsa_float_round_mode_16_64 0
		.amdhsa_float_denorm_mode_32 3
		.amdhsa_float_denorm_mode_16_64 3
		.amdhsa_fp16_overflow 0
		.amdhsa_memory_ordered 1
		.amdhsa_forward_progress 1
		.amdhsa_inst_pref_size 0
		.amdhsa_round_robin_scheduling 0
		.amdhsa_exception_fp_ieee_invalid_op 0
		.amdhsa_exception_fp_denorm_src 0
		.amdhsa_exception_fp_ieee_div_zero 0
		.amdhsa_exception_fp_ieee_overflow 0
		.amdhsa_exception_fp_ieee_underflow 0
		.amdhsa_exception_fp_ieee_inexact 0
		.amdhsa_exception_int_div_zero 0
	.end_amdhsa_kernel
	.section	.text._ZN7rocprim17ROCPRIM_400000_NS6detail17trampoline_kernelINS0_14default_configENS1_36segmented_radix_sort_config_selectorI6__halflEEZNS1_25segmented_radix_sort_implIS3_Lb1EPKS5_PS5_PKlPlN2at6native12_GLOBAL__N_18offset_tEEE10hipError_tPvRmT1_PNSt15iterator_traitsISL_E10value_typeET2_T3_PNSM_ISR_E10value_typeET4_jRbjT5_SX_jjP12ihipStream_tbEUlT_E0_NS1_11comp_targetILNS1_3genE10ELNS1_11target_archE1201ELNS1_3gpuE5ELNS1_3repE0EEENS1_60segmented_radix_sort_warp_sort_medium_config_static_selectorELNS0_4arch9wavefront6targetE0EEEvSL_,"axG",@progbits,_ZN7rocprim17ROCPRIM_400000_NS6detail17trampoline_kernelINS0_14default_configENS1_36segmented_radix_sort_config_selectorI6__halflEEZNS1_25segmented_radix_sort_implIS3_Lb1EPKS5_PS5_PKlPlN2at6native12_GLOBAL__N_18offset_tEEE10hipError_tPvRmT1_PNSt15iterator_traitsISL_E10value_typeET2_T3_PNSM_ISR_E10value_typeET4_jRbjT5_SX_jjP12ihipStream_tbEUlT_E0_NS1_11comp_targetILNS1_3genE10ELNS1_11target_archE1201ELNS1_3gpuE5ELNS1_3repE0EEENS1_60segmented_radix_sort_warp_sort_medium_config_static_selectorELNS0_4arch9wavefront6targetE0EEEvSL_,comdat
.Lfunc_end1745:
	.size	_ZN7rocprim17ROCPRIM_400000_NS6detail17trampoline_kernelINS0_14default_configENS1_36segmented_radix_sort_config_selectorI6__halflEEZNS1_25segmented_radix_sort_implIS3_Lb1EPKS5_PS5_PKlPlN2at6native12_GLOBAL__N_18offset_tEEE10hipError_tPvRmT1_PNSt15iterator_traitsISL_E10value_typeET2_T3_PNSM_ISR_E10value_typeET4_jRbjT5_SX_jjP12ihipStream_tbEUlT_E0_NS1_11comp_targetILNS1_3genE10ELNS1_11target_archE1201ELNS1_3gpuE5ELNS1_3repE0EEENS1_60segmented_radix_sort_warp_sort_medium_config_static_selectorELNS0_4arch9wavefront6targetE0EEEvSL_, .Lfunc_end1745-_ZN7rocprim17ROCPRIM_400000_NS6detail17trampoline_kernelINS0_14default_configENS1_36segmented_radix_sort_config_selectorI6__halflEEZNS1_25segmented_radix_sort_implIS3_Lb1EPKS5_PS5_PKlPlN2at6native12_GLOBAL__N_18offset_tEEE10hipError_tPvRmT1_PNSt15iterator_traitsISL_E10value_typeET2_T3_PNSM_ISR_E10value_typeET4_jRbjT5_SX_jjP12ihipStream_tbEUlT_E0_NS1_11comp_targetILNS1_3genE10ELNS1_11target_archE1201ELNS1_3gpuE5ELNS1_3repE0EEENS1_60segmented_radix_sort_warp_sort_medium_config_static_selectorELNS0_4arch9wavefront6targetE0EEEvSL_
                                        ; -- End function
	.set _ZN7rocprim17ROCPRIM_400000_NS6detail17trampoline_kernelINS0_14default_configENS1_36segmented_radix_sort_config_selectorI6__halflEEZNS1_25segmented_radix_sort_implIS3_Lb1EPKS5_PS5_PKlPlN2at6native12_GLOBAL__N_18offset_tEEE10hipError_tPvRmT1_PNSt15iterator_traitsISL_E10value_typeET2_T3_PNSM_ISR_E10value_typeET4_jRbjT5_SX_jjP12ihipStream_tbEUlT_E0_NS1_11comp_targetILNS1_3genE10ELNS1_11target_archE1201ELNS1_3gpuE5ELNS1_3repE0EEENS1_60segmented_radix_sort_warp_sort_medium_config_static_selectorELNS0_4arch9wavefront6targetE0EEEvSL_.num_vgpr, 0
	.set _ZN7rocprim17ROCPRIM_400000_NS6detail17trampoline_kernelINS0_14default_configENS1_36segmented_radix_sort_config_selectorI6__halflEEZNS1_25segmented_radix_sort_implIS3_Lb1EPKS5_PS5_PKlPlN2at6native12_GLOBAL__N_18offset_tEEE10hipError_tPvRmT1_PNSt15iterator_traitsISL_E10value_typeET2_T3_PNSM_ISR_E10value_typeET4_jRbjT5_SX_jjP12ihipStream_tbEUlT_E0_NS1_11comp_targetILNS1_3genE10ELNS1_11target_archE1201ELNS1_3gpuE5ELNS1_3repE0EEENS1_60segmented_radix_sort_warp_sort_medium_config_static_selectorELNS0_4arch9wavefront6targetE0EEEvSL_.num_agpr, 0
	.set _ZN7rocprim17ROCPRIM_400000_NS6detail17trampoline_kernelINS0_14default_configENS1_36segmented_radix_sort_config_selectorI6__halflEEZNS1_25segmented_radix_sort_implIS3_Lb1EPKS5_PS5_PKlPlN2at6native12_GLOBAL__N_18offset_tEEE10hipError_tPvRmT1_PNSt15iterator_traitsISL_E10value_typeET2_T3_PNSM_ISR_E10value_typeET4_jRbjT5_SX_jjP12ihipStream_tbEUlT_E0_NS1_11comp_targetILNS1_3genE10ELNS1_11target_archE1201ELNS1_3gpuE5ELNS1_3repE0EEENS1_60segmented_radix_sort_warp_sort_medium_config_static_selectorELNS0_4arch9wavefront6targetE0EEEvSL_.numbered_sgpr, 0
	.set _ZN7rocprim17ROCPRIM_400000_NS6detail17trampoline_kernelINS0_14default_configENS1_36segmented_radix_sort_config_selectorI6__halflEEZNS1_25segmented_radix_sort_implIS3_Lb1EPKS5_PS5_PKlPlN2at6native12_GLOBAL__N_18offset_tEEE10hipError_tPvRmT1_PNSt15iterator_traitsISL_E10value_typeET2_T3_PNSM_ISR_E10value_typeET4_jRbjT5_SX_jjP12ihipStream_tbEUlT_E0_NS1_11comp_targetILNS1_3genE10ELNS1_11target_archE1201ELNS1_3gpuE5ELNS1_3repE0EEENS1_60segmented_radix_sort_warp_sort_medium_config_static_selectorELNS0_4arch9wavefront6targetE0EEEvSL_.num_named_barrier, 0
	.set _ZN7rocprim17ROCPRIM_400000_NS6detail17trampoline_kernelINS0_14default_configENS1_36segmented_radix_sort_config_selectorI6__halflEEZNS1_25segmented_radix_sort_implIS3_Lb1EPKS5_PS5_PKlPlN2at6native12_GLOBAL__N_18offset_tEEE10hipError_tPvRmT1_PNSt15iterator_traitsISL_E10value_typeET2_T3_PNSM_ISR_E10value_typeET4_jRbjT5_SX_jjP12ihipStream_tbEUlT_E0_NS1_11comp_targetILNS1_3genE10ELNS1_11target_archE1201ELNS1_3gpuE5ELNS1_3repE0EEENS1_60segmented_radix_sort_warp_sort_medium_config_static_selectorELNS0_4arch9wavefront6targetE0EEEvSL_.private_seg_size, 0
	.set _ZN7rocprim17ROCPRIM_400000_NS6detail17trampoline_kernelINS0_14default_configENS1_36segmented_radix_sort_config_selectorI6__halflEEZNS1_25segmented_radix_sort_implIS3_Lb1EPKS5_PS5_PKlPlN2at6native12_GLOBAL__N_18offset_tEEE10hipError_tPvRmT1_PNSt15iterator_traitsISL_E10value_typeET2_T3_PNSM_ISR_E10value_typeET4_jRbjT5_SX_jjP12ihipStream_tbEUlT_E0_NS1_11comp_targetILNS1_3genE10ELNS1_11target_archE1201ELNS1_3gpuE5ELNS1_3repE0EEENS1_60segmented_radix_sort_warp_sort_medium_config_static_selectorELNS0_4arch9wavefront6targetE0EEEvSL_.uses_vcc, 0
	.set _ZN7rocprim17ROCPRIM_400000_NS6detail17trampoline_kernelINS0_14default_configENS1_36segmented_radix_sort_config_selectorI6__halflEEZNS1_25segmented_radix_sort_implIS3_Lb1EPKS5_PS5_PKlPlN2at6native12_GLOBAL__N_18offset_tEEE10hipError_tPvRmT1_PNSt15iterator_traitsISL_E10value_typeET2_T3_PNSM_ISR_E10value_typeET4_jRbjT5_SX_jjP12ihipStream_tbEUlT_E0_NS1_11comp_targetILNS1_3genE10ELNS1_11target_archE1201ELNS1_3gpuE5ELNS1_3repE0EEENS1_60segmented_radix_sort_warp_sort_medium_config_static_selectorELNS0_4arch9wavefront6targetE0EEEvSL_.uses_flat_scratch, 0
	.set _ZN7rocprim17ROCPRIM_400000_NS6detail17trampoline_kernelINS0_14default_configENS1_36segmented_radix_sort_config_selectorI6__halflEEZNS1_25segmented_radix_sort_implIS3_Lb1EPKS5_PS5_PKlPlN2at6native12_GLOBAL__N_18offset_tEEE10hipError_tPvRmT1_PNSt15iterator_traitsISL_E10value_typeET2_T3_PNSM_ISR_E10value_typeET4_jRbjT5_SX_jjP12ihipStream_tbEUlT_E0_NS1_11comp_targetILNS1_3genE10ELNS1_11target_archE1201ELNS1_3gpuE5ELNS1_3repE0EEENS1_60segmented_radix_sort_warp_sort_medium_config_static_selectorELNS0_4arch9wavefront6targetE0EEEvSL_.has_dyn_sized_stack, 0
	.set _ZN7rocprim17ROCPRIM_400000_NS6detail17trampoline_kernelINS0_14default_configENS1_36segmented_radix_sort_config_selectorI6__halflEEZNS1_25segmented_radix_sort_implIS3_Lb1EPKS5_PS5_PKlPlN2at6native12_GLOBAL__N_18offset_tEEE10hipError_tPvRmT1_PNSt15iterator_traitsISL_E10value_typeET2_T3_PNSM_ISR_E10value_typeET4_jRbjT5_SX_jjP12ihipStream_tbEUlT_E0_NS1_11comp_targetILNS1_3genE10ELNS1_11target_archE1201ELNS1_3gpuE5ELNS1_3repE0EEENS1_60segmented_radix_sort_warp_sort_medium_config_static_selectorELNS0_4arch9wavefront6targetE0EEEvSL_.has_recursion, 0
	.set _ZN7rocprim17ROCPRIM_400000_NS6detail17trampoline_kernelINS0_14default_configENS1_36segmented_radix_sort_config_selectorI6__halflEEZNS1_25segmented_radix_sort_implIS3_Lb1EPKS5_PS5_PKlPlN2at6native12_GLOBAL__N_18offset_tEEE10hipError_tPvRmT1_PNSt15iterator_traitsISL_E10value_typeET2_T3_PNSM_ISR_E10value_typeET4_jRbjT5_SX_jjP12ihipStream_tbEUlT_E0_NS1_11comp_targetILNS1_3genE10ELNS1_11target_archE1201ELNS1_3gpuE5ELNS1_3repE0EEENS1_60segmented_radix_sort_warp_sort_medium_config_static_selectorELNS0_4arch9wavefront6targetE0EEEvSL_.has_indirect_call, 0
	.section	.AMDGPU.csdata,"",@progbits
; Kernel info:
; codeLenInByte = 0
; TotalNumSgprs: 0
; NumVgprs: 0
; ScratchSize: 0
; MemoryBound: 0
; FloatMode: 240
; IeeeMode: 1
; LDSByteSize: 0 bytes/workgroup (compile time only)
; SGPRBlocks: 0
; VGPRBlocks: 0
; NumSGPRsForWavesPerEU: 1
; NumVGPRsForWavesPerEU: 1
; NamedBarCnt: 0
; Occupancy: 16
; WaveLimiterHint : 0
; COMPUTE_PGM_RSRC2:SCRATCH_EN: 0
; COMPUTE_PGM_RSRC2:USER_SGPR: 2
; COMPUTE_PGM_RSRC2:TRAP_HANDLER: 0
; COMPUTE_PGM_RSRC2:TGID_X_EN: 1
; COMPUTE_PGM_RSRC2:TGID_Y_EN: 0
; COMPUTE_PGM_RSRC2:TGID_Z_EN: 0
; COMPUTE_PGM_RSRC2:TIDIG_COMP_CNT: 0
	.section	.text._ZN7rocprim17ROCPRIM_400000_NS6detail17trampoline_kernelINS0_14default_configENS1_36segmented_radix_sort_config_selectorI6__halflEEZNS1_25segmented_radix_sort_implIS3_Lb1EPKS5_PS5_PKlPlN2at6native12_GLOBAL__N_18offset_tEEE10hipError_tPvRmT1_PNSt15iterator_traitsISL_E10value_typeET2_T3_PNSM_ISR_E10value_typeET4_jRbjT5_SX_jjP12ihipStream_tbEUlT_E0_NS1_11comp_targetILNS1_3genE10ELNS1_11target_archE1200ELNS1_3gpuE4ELNS1_3repE0EEENS1_60segmented_radix_sort_warp_sort_medium_config_static_selectorELNS0_4arch9wavefront6targetE0EEEvSL_,"axG",@progbits,_ZN7rocprim17ROCPRIM_400000_NS6detail17trampoline_kernelINS0_14default_configENS1_36segmented_radix_sort_config_selectorI6__halflEEZNS1_25segmented_radix_sort_implIS3_Lb1EPKS5_PS5_PKlPlN2at6native12_GLOBAL__N_18offset_tEEE10hipError_tPvRmT1_PNSt15iterator_traitsISL_E10value_typeET2_T3_PNSM_ISR_E10value_typeET4_jRbjT5_SX_jjP12ihipStream_tbEUlT_E0_NS1_11comp_targetILNS1_3genE10ELNS1_11target_archE1200ELNS1_3gpuE4ELNS1_3repE0EEENS1_60segmented_radix_sort_warp_sort_medium_config_static_selectorELNS0_4arch9wavefront6targetE0EEEvSL_,comdat
	.globl	_ZN7rocprim17ROCPRIM_400000_NS6detail17trampoline_kernelINS0_14default_configENS1_36segmented_radix_sort_config_selectorI6__halflEEZNS1_25segmented_radix_sort_implIS3_Lb1EPKS5_PS5_PKlPlN2at6native12_GLOBAL__N_18offset_tEEE10hipError_tPvRmT1_PNSt15iterator_traitsISL_E10value_typeET2_T3_PNSM_ISR_E10value_typeET4_jRbjT5_SX_jjP12ihipStream_tbEUlT_E0_NS1_11comp_targetILNS1_3genE10ELNS1_11target_archE1200ELNS1_3gpuE4ELNS1_3repE0EEENS1_60segmented_radix_sort_warp_sort_medium_config_static_selectorELNS0_4arch9wavefront6targetE0EEEvSL_ ; -- Begin function _ZN7rocprim17ROCPRIM_400000_NS6detail17trampoline_kernelINS0_14default_configENS1_36segmented_radix_sort_config_selectorI6__halflEEZNS1_25segmented_radix_sort_implIS3_Lb1EPKS5_PS5_PKlPlN2at6native12_GLOBAL__N_18offset_tEEE10hipError_tPvRmT1_PNSt15iterator_traitsISL_E10value_typeET2_T3_PNSM_ISR_E10value_typeET4_jRbjT5_SX_jjP12ihipStream_tbEUlT_E0_NS1_11comp_targetILNS1_3genE10ELNS1_11target_archE1200ELNS1_3gpuE4ELNS1_3repE0EEENS1_60segmented_radix_sort_warp_sort_medium_config_static_selectorELNS0_4arch9wavefront6targetE0EEEvSL_
	.p2align	8
	.type	_ZN7rocprim17ROCPRIM_400000_NS6detail17trampoline_kernelINS0_14default_configENS1_36segmented_radix_sort_config_selectorI6__halflEEZNS1_25segmented_radix_sort_implIS3_Lb1EPKS5_PS5_PKlPlN2at6native12_GLOBAL__N_18offset_tEEE10hipError_tPvRmT1_PNSt15iterator_traitsISL_E10value_typeET2_T3_PNSM_ISR_E10value_typeET4_jRbjT5_SX_jjP12ihipStream_tbEUlT_E0_NS1_11comp_targetILNS1_3genE10ELNS1_11target_archE1200ELNS1_3gpuE4ELNS1_3repE0EEENS1_60segmented_radix_sort_warp_sort_medium_config_static_selectorELNS0_4arch9wavefront6targetE0EEEvSL_,@function
_ZN7rocprim17ROCPRIM_400000_NS6detail17trampoline_kernelINS0_14default_configENS1_36segmented_radix_sort_config_selectorI6__halflEEZNS1_25segmented_radix_sort_implIS3_Lb1EPKS5_PS5_PKlPlN2at6native12_GLOBAL__N_18offset_tEEE10hipError_tPvRmT1_PNSt15iterator_traitsISL_E10value_typeET2_T3_PNSM_ISR_E10value_typeET4_jRbjT5_SX_jjP12ihipStream_tbEUlT_E0_NS1_11comp_targetILNS1_3genE10ELNS1_11target_archE1200ELNS1_3gpuE4ELNS1_3repE0EEENS1_60segmented_radix_sort_warp_sort_medium_config_static_selectorELNS0_4arch9wavefront6targetE0EEEvSL_: ; @_ZN7rocprim17ROCPRIM_400000_NS6detail17trampoline_kernelINS0_14default_configENS1_36segmented_radix_sort_config_selectorI6__halflEEZNS1_25segmented_radix_sort_implIS3_Lb1EPKS5_PS5_PKlPlN2at6native12_GLOBAL__N_18offset_tEEE10hipError_tPvRmT1_PNSt15iterator_traitsISL_E10value_typeET2_T3_PNSM_ISR_E10value_typeET4_jRbjT5_SX_jjP12ihipStream_tbEUlT_E0_NS1_11comp_targetILNS1_3genE10ELNS1_11target_archE1200ELNS1_3gpuE4ELNS1_3repE0EEENS1_60segmented_radix_sort_warp_sort_medium_config_static_selectorELNS0_4arch9wavefront6targetE0EEEvSL_
; %bb.0:
	.section	.rodata,"a",@progbits
	.p2align	6, 0x0
	.amdhsa_kernel _ZN7rocprim17ROCPRIM_400000_NS6detail17trampoline_kernelINS0_14default_configENS1_36segmented_radix_sort_config_selectorI6__halflEEZNS1_25segmented_radix_sort_implIS3_Lb1EPKS5_PS5_PKlPlN2at6native12_GLOBAL__N_18offset_tEEE10hipError_tPvRmT1_PNSt15iterator_traitsISL_E10value_typeET2_T3_PNSM_ISR_E10value_typeET4_jRbjT5_SX_jjP12ihipStream_tbEUlT_E0_NS1_11comp_targetILNS1_3genE10ELNS1_11target_archE1200ELNS1_3gpuE4ELNS1_3repE0EEENS1_60segmented_radix_sort_warp_sort_medium_config_static_selectorELNS0_4arch9wavefront6targetE0EEEvSL_
		.amdhsa_group_segment_fixed_size 0
		.amdhsa_private_segment_fixed_size 0
		.amdhsa_kernarg_size 88
		.amdhsa_user_sgpr_count 2
		.amdhsa_user_sgpr_dispatch_ptr 0
		.amdhsa_user_sgpr_queue_ptr 0
		.amdhsa_user_sgpr_kernarg_segment_ptr 1
		.amdhsa_user_sgpr_dispatch_id 0
		.amdhsa_user_sgpr_kernarg_preload_length 0
		.amdhsa_user_sgpr_kernarg_preload_offset 0
		.amdhsa_user_sgpr_private_segment_size 0
		.amdhsa_wavefront_size32 1
		.amdhsa_uses_dynamic_stack 0
		.amdhsa_enable_private_segment 0
		.amdhsa_system_sgpr_workgroup_id_x 1
		.amdhsa_system_sgpr_workgroup_id_y 0
		.amdhsa_system_sgpr_workgroup_id_z 0
		.amdhsa_system_sgpr_workgroup_info 0
		.amdhsa_system_vgpr_workitem_id 0
		.amdhsa_next_free_vgpr 1
		.amdhsa_next_free_sgpr 1
		.amdhsa_named_barrier_count 0
		.amdhsa_reserve_vcc 0
		.amdhsa_float_round_mode_32 0
		.amdhsa_float_round_mode_16_64 0
		.amdhsa_float_denorm_mode_32 3
		.amdhsa_float_denorm_mode_16_64 3
		.amdhsa_fp16_overflow 0
		.amdhsa_memory_ordered 1
		.amdhsa_forward_progress 1
		.amdhsa_inst_pref_size 0
		.amdhsa_round_robin_scheduling 0
		.amdhsa_exception_fp_ieee_invalid_op 0
		.amdhsa_exception_fp_denorm_src 0
		.amdhsa_exception_fp_ieee_div_zero 0
		.amdhsa_exception_fp_ieee_overflow 0
		.amdhsa_exception_fp_ieee_underflow 0
		.amdhsa_exception_fp_ieee_inexact 0
		.amdhsa_exception_int_div_zero 0
	.end_amdhsa_kernel
	.section	.text._ZN7rocprim17ROCPRIM_400000_NS6detail17trampoline_kernelINS0_14default_configENS1_36segmented_radix_sort_config_selectorI6__halflEEZNS1_25segmented_radix_sort_implIS3_Lb1EPKS5_PS5_PKlPlN2at6native12_GLOBAL__N_18offset_tEEE10hipError_tPvRmT1_PNSt15iterator_traitsISL_E10value_typeET2_T3_PNSM_ISR_E10value_typeET4_jRbjT5_SX_jjP12ihipStream_tbEUlT_E0_NS1_11comp_targetILNS1_3genE10ELNS1_11target_archE1200ELNS1_3gpuE4ELNS1_3repE0EEENS1_60segmented_radix_sort_warp_sort_medium_config_static_selectorELNS0_4arch9wavefront6targetE0EEEvSL_,"axG",@progbits,_ZN7rocprim17ROCPRIM_400000_NS6detail17trampoline_kernelINS0_14default_configENS1_36segmented_radix_sort_config_selectorI6__halflEEZNS1_25segmented_radix_sort_implIS3_Lb1EPKS5_PS5_PKlPlN2at6native12_GLOBAL__N_18offset_tEEE10hipError_tPvRmT1_PNSt15iterator_traitsISL_E10value_typeET2_T3_PNSM_ISR_E10value_typeET4_jRbjT5_SX_jjP12ihipStream_tbEUlT_E0_NS1_11comp_targetILNS1_3genE10ELNS1_11target_archE1200ELNS1_3gpuE4ELNS1_3repE0EEENS1_60segmented_radix_sort_warp_sort_medium_config_static_selectorELNS0_4arch9wavefront6targetE0EEEvSL_,comdat
.Lfunc_end1746:
	.size	_ZN7rocprim17ROCPRIM_400000_NS6detail17trampoline_kernelINS0_14default_configENS1_36segmented_radix_sort_config_selectorI6__halflEEZNS1_25segmented_radix_sort_implIS3_Lb1EPKS5_PS5_PKlPlN2at6native12_GLOBAL__N_18offset_tEEE10hipError_tPvRmT1_PNSt15iterator_traitsISL_E10value_typeET2_T3_PNSM_ISR_E10value_typeET4_jRbjT5_SX_jjP12ihipStream_tbEUlT_E0_NS1_11comp_targetILNS1_3genE10ELNS1_11target_archE1200ELNS1_3gpuE4ELNS1_3repE0EEENS1_60segmented_radix_sort_warp_sort_medium_config_static_selectorELNS0_4arch9wavefront6targetE0EEEvSL_, .Lfunc_end1746-_ZN7rocprim17ROCPRIM_400000_NS6detail17trampoline_kernelINS0_14default_configENS1_36segmented_radix_sort_config_selectorI6__halflEEZNS1_25segmented_radix_sort_implIS3_Lb1EPKS5_PS5_PKlPlN2at6native12_GLOBAL__N_18offset_tEEE10hipError_tPvRmT1_PNSt15iterator_traitsISL_E10value_typeET2_T3_PNSM_ISR_E10value_typeET4_jRbjT5_SX_jjP12ihipStream_tbEUlT_E0_NS1_11comp_targetILNS1_3genE10ELNS1_11target_archE1200ELNS1_3gpuE4ELNS1_3repE0EEENS1_60segmented_radix_sort_warp_sort_medium_config_static_selectorELNS0_4arch9wavefront6targetE0EEEvSL_
                                        ; -- End function
	.set _ZN7rocprim17ROCPRIM_400000_NS6detail17trampoline_kernelINS0_14default_configENS1_36segmented_radix_sort_config_selectorI6__halflEEZNS1_25segmented_radix_sort_implIS3_Lb1EPKS5_PS5_PKlPlN2at6native12_GLOBAL__N_18offset_tEEE10hipError_tPvRmT1_PNSt15iterator_traitsISL_E10value_typeET2_T3_PNSM_ISR_E10value_typeET4_jRbjT5_SX_jjP12ihipStream_tbEUlT_E0_NS1_11comp_targetILNS1_3genE10ELNS1_11target_archE1200ELNS1_3gpuE4ELNS1_3repE0EEENS1_60segmented_radix_sort_warp_sort_medium_config_static_selectorELNS0_4arch9wavefront6targetE0EEEvSL_.num_vgpr, 0
	.set _ZN7rocprim17ROCPRIM_400000_NS6detail17trampoline_kernelINS0_14default_configENS1_36segmented_radix_sort_config_selectorI6__halflEEZNS1_25segmented_radix_sort_implIS3_Lb1EPKS5_PS5_PKlPlN2at6native12_GLOBAL__N_18offset_tEEE10hipError_tPvRmT1_PNSt15iterator_traitsISL_E10value_typeET2_T3_PNSM_ISR_E10value_typeET4_jRbjT5_SX_jjP12ihipStream_tbEUlT_E0_NS1_11comp_targetILNS1_3genE10ELNS1_11target_archE1200ELNS1_3gpuE4ELNS1_3repE0EEENS1_60segmented_radix_sort_warp_sort_medium_config_static_selectorELNS0_4arch9wavefront6targetE0EEEvSL_.num_agpr, 0
	.set _ZN7rocprim17ROCPRIM_400000_NS6detail17trampoline_kernelINS0_14default_configENS1_36segmented_radix_sort_config_selectorI6__halflEEZNS1_25segmented_radix_sort_implIS3_Lb1EPKS5_PS5_PKlPlN2at6native12_GLOBAL__N_18offset_tEEE10hipError_tPvRmT1_PNSt15iterator_traitsISL_E10value_typeET2_T3_PNSM_ISR_E10value_typeET4_jRbjT5_SX_jjP12ihipStream_tbEUlT_E0_NS1_11comp_targetILNS1_3genE10ELNS1_11target_archE1200ELNS1_3gpuE4ELNS1_3repE0EEENS1_60segmented_radix_sort_warp_sort_medium_config_static_selectorELNS0_4arch9wavefront6targetE0EEEvSL_.numbered_sgpr, 0
	.set _ZN7rocprim17ROCPRIM_400000_NS6detail17trampoline_kernelINS0_14default_configENS1_36segmented_radix_sort_config_selectorI6__halflEEZNS1_25segmented_radix_sort_implIS3_Lb1EPKS5_PS5_PKlPlN2at6native12_GLOBAL__N_18offset_tEEE10hipError_tPvRmT1_PNSt15iterator_traitsISL_E10value_typeET2_T3_PNSM_ISR_E10value_typeET4_jRbjT5_SX_jjP12ihipStream_tbEUlT_E0_NS1_11comp_targetILNS1_3genE10ELNS1_11target_archE1200ELNS1_3gpuE4ELNS1_3repE0EEENS1_60segmented_radix_sort_warp_sort_medium_config_static_selectorELNS0_4arch9wavefront6targetE0EEEvSL_.num_named_barrier, 0
	.set _ZN7rocprim17ROCPRIM_400000_NS6detail17trampoline_kernelINS0_14default_configENS1_36segmented_radix_sort_config_selectorI6__halflEEZNS1_25segmented_radix_sort_implIS3_Lb1EPKS5_PS5_PKlPlN2at6native12_GLOBAL__N_18offset_tEEE10hipError_tPvRmT1_PNSt15iterator_traitsISL_E10value_typeET2_T3_PNSM_ISR_E10value_typeET4_jRbjT5_SX_jjP12ihipStream_tbEUlT_E0_NS1_11comp_targetILNS1_3genE10ELNS1_11target_archE1200ELNS1_3gpuE4ELNS1_3repE0EEENS1_60segmented_radix_sort_warp_sort_medium_config_static_selectorELNS0_4arch9wavefront6targetE0EEEvSL_.private_seg_size, 0
	.set _ZN7rocprim17ROCPRIM_400000_NS6detail17trampoline_kernelINS0_14default_configENS1_36segmented_radix_sort_config_selectorI6__halflEEZNS1_25segmented_radix_sort_implIS3_Lb1EPKS5_PS5_PKlPlN2at6native12_GLOBAL__N_18offset_tEEE10hipError_tPvRmT1_PNSt15iterator_traitsISL_E10value_typeET2_T3_PNSM_ISR_E10value_typeET4_jRbjT5_SX_jjP12ihipStream_tbEUlT_E0_NS1_11comp_targetILNS1_3genE10ELNS1_11target_archE1200ELNS1_3gpuE4ELNS1_3repE0EEENS1_60segmented_radix_sort_warp_sort_medium_config_static_selectorELNS0_4arch9wavefront6targetE0EEEvSL_.uses_vcc, 0
	.set _ZN7rocprim17ROCPRIM_400000_NS6detail17trampoline_kernelINS0_14default_configENS1_36segmented_radix_sort_config_selectorI6__halflEEZNS1_25segmented_radix_sort_implIS3_Lb1EPKS5_PS5_PKlPlN2at6native12_GLOBAL__N_18offset_tEEE10hipError_tPvRmT1_PNSt15iterator_traitsISL_E10value_typeET2_T3_PNSM_ISR_E10value_typeET4_jRbjT5_SX_jjP12ihipStream_tbEUlT_E0_NS1_11comp_targetILNS1_3genE10ELNS1_11target_archE1200ELNS1_3gpuE4ELNS1_3repE0EEENS1_60segmented_radix_sort_warp_sort_medium_config_static_selectorELNS0_4arch9wavefront6targetE0EEEvSL_.uses_flat_scratch, 0
	.set _ZN7rocprim17ROCPRIM_400000_NS6detail17trampoline_kernelINS0_14default_configENS1_36segmented_radix_sort_config_selectorI6__halflEEZNS1_25segmented_radix_sort_implIS3_Lb1EPKS5_PS5_PKlPlN2at6native12_GLOBAL__N_18offset_tEEE10hipError_tPvRmT1_PNSt15iterator_traitsISL_E10value_typeET2_T3_PNSM_ISR_E10value_typeET4_jRbjT5_SX_jjP12ihipStream_tbEUlT_E0_NS1_11comp_targetILNS1_3genE10ELNS1_11target_archE1200ELNS1_3gpuE4ELNS1_3repE0EEENS1_60segmented_radix_sort_warp_sort_medium_config_static_selectorELNS0_4arch9wavefront6targetE0EEEvSL_.has_dyn_sized_stack, 0
	.set _ZN7rocprim17ROCPRIM_400000_NS6detail17trampoline_kernelINS0_14default_configENS1_36segmented_radix_sort_config_selectorI6__halflEEZNS1_25segmented_radix_sort_implIS3_Lb1EPKS5_PS5_PKlPlN2at6native12_GLOBAL__N_18offset_tEEE10hipError_tPvRmT1_PNSt15iterator_traitsISL_E10value_typeET2_T3_PNSM_ISR_E10value_typeET4_jRbjT5_SX_jjP12ihipStream_tbEUlT_E0_NS1_11comp_targetILNS1_3genE10ELNS1_11target_archE1200ELNS1_3gpuE4ELNS1_3repE0EEENS1_60segmented_radix_sort_warp_sort_medium_config_static_selectorELNS0_4arch9wavefront6targetE0EEEvSL_.has_recursion, 0
	.set _ZN7rocprim17ROCPRIM_400000_NS6detail17trampoline_kernelINS0_14default_configENS1_36segmented_radix_sort_config_selectorI6__halflEEZNS1_25segmented_radix_sort_implIS3_Lb1EPKS5_PS5_PKlPlN2at6native12_GLOBAL__N_18offset_tEEE10hipError_tPvRmT1_PNSt15iterator_traitsISL_E10value_typeET2_T3_PNSM_ISR_E10value_typeET4_jRbjT5_SX_jjP12ihipStream_tbEUlT_E0_NS1_11comp_targetILNS1_3genE10ELNS1_11target_archE1200ELNS1_3gpuE4ELNS1_3repE0EEENS1_60segmented_radix_sort_warp_sort_medium_config_static_selectorELNS0_4arch9wavefront6targetE0EEEvSL_.has_indirect_call, 0
	.section	.AMDGPU.csdata,"",@progbits
; Kernel info:
; codeLenInByte = 0
; TotalNumSgprs: 0
; NumVgprs: 0
; ScratchSize: 0
; MemoryBound: 0
; FloatMode: 240
; IeeeMode: 1
; LDSByteSize: 0 bytes/workgroup (compile time only)
; SGPRBlocks: 0
; VGPRBlocks: 0
; NumSGPRsForWavesPerEU: 1
; NumVGPRsForWavesPerEU: 1
; NamedBarCnt: 0
; Occupancy: 16
; WaveLimiterHint : 0
; COMPUTE_PGM_RSRC2:SCRATCH_EN: 0
; COMPUTE_PGM_RSRC2:USER_SGPR: 2
; COMPUTE_PGM_RSRC2:TRAP_HANDLER: 0
; COMPUTE_PGM_RSRC2:TGID_X_EN: 1
; COMPUTE_PGM_RSRC2:TGID_Y_EN: 0
; COMPUTE_PGM_RSRC2:TGID_Z_EN: 0
; COMPUTE_PGM_RSRC2:TIDIG_COMP_CNT: 0
	.section	.text._ZN7rocprim17ROCPRIM_400000_NS6detail17trampoline_kernelINS0_14default_configENS1_36segmented_radix_sort_config_selectorI6__halflEEZNS1_25segmented_radix_sort_implIS3_Lb1EPKS5_PS5_PKlPlN2at6native12_GLOBAL__N_18offset_tEEE10hipError_tPvRmT1_PNSt15iterator_traitsISL_E10value_typeET2_T3_PNSM_ISR_E10value_typeET4_jRbjT5_SX_jjP12ihipStream_tbEUlT_E0_NS1_11comp_targetILNS1_3genE9ELNS1_11target_archE1100ELNS1_3gpuE3ELNS1_3repE0EEENS1_60segmented_radix_sort_warp_sort_medium_config_static_selectorELNS0_4arch9wavefront6targetE0EEEvSL_,"axG",@progbits,_ZN7rocprim17ROCPRIM_400000_NS6detail17trampoline_kernelINS0_14default_configENS1_36segmented_radix_sort_config_selectorI6__halflEEZNS1_25segmented_radix_sort_implIS3_Lb1EPKS5_PS5_PKlPlN2at6native12_GLOBAL__N_18offset_tEEE10hipError_tPvRmT1_PNSt15iterator_traitsISL_E10value_typeET2_T3_PNSM_ISR_E10value_typeET4_jRbjT5_SX_jjP12ihipStream_tbEUlT_E0_NS1_11comp_targetILNS1_3genE9ELNS1_11target_archE1100ELNS1_3gpuE3ELNS1_3repE0EEENS1_60segmented_radix_sort_warp_sort_medium_config_static_selectorELNS0_4arch9wavefront6targetE0EEEvSL_,comdat
	.globl	_ZN7rocprim17ROCPRIM_400000_NS6detail17trampoline_kernelINS0_14default_configENS1_36segmented_radix_sort_config_selectorI6__halflEEZNS1_25segmented_radix_sort_implIS3_Lb1EPKS5_PS5_PKlPlN2at6native12_GLOBAL__N_18offset_tEEE10hipError_tPvRmT1_PNSt15iterator_traitsISL_E10value_typeET2_T3_PNSM_ISR_E10value_typeET4_jRbjT5_SX_jjP12ihipStream_tbEUlT_E0_NS1_11comp_targetILNS1_3genE9ELNS1_11target_archE1100ELNS1_3gpuE3ELNS1_3repE0EEENS1_60segmented_radix_sort_warp_sort_medium_config_static_selectorELNS0_4arch9wavefront6targetE0EEEvSL_ ; -- Begin function _ZN7rocprim17ROCPRIM_400000_NS6detail17trampoline_kernelINS0_14default_configENS1_36segmented_radix_sort_config_selectorI6__halflEEZNS1_25segmented_radix_sort_implIS3_Lb1EPKS5_PS5_PKlPlN2at6native12_GLOBAL__N_18offset_tEEE10hipError_tPvRmT1_PNSt15iterator_traitsISL_E10value_typeET2_T3_PNSM_ISR_E10value_typeET4_jRbjT5_SX_jjP12ihipStream_tbEUlT_E0_NS1_11comp_targetILNS1_3genE9ELNS1_11target_archE1100ELNS1_3gpuE3ELNS1_3repE0EEENS1_60segmented_radix_sort_warp_sort_medium_config_static_selectorELNS0_4arch9wavefront6targetE0EEEvSL_
	.p2align	8
	.type	_ZN7rocprim17ROCPRIM_400000_NS6detail17trampoline_kernelINS0_14default_configENS1_36segmented_radix_sort_config_selectorI6__halflEEZNS1_25segmented_radix_sort_implIS3_Lb1EPKS5_PS5_PKlPlN2at6native12_GLOBAL__N_18offset_tEEE10hipError_tPvRmT1_PNSt15iterator_traitsISL_E10value_typeET2_T3_PNSM_ISR_E10value_typeET4_jRbjT5_SX_jjP12ihipStream_tbEUlT_E0_NS1_11comp_targetILNS1_3genE9ELNS1_11target_archE1100ELNS1_3gpuE3ELNS1_3repE0EEENS1_60segmented_radix_sort_warp_sort_medium_config_static_selectorELNS0_4arch9wavefront6targetE0EEEvSL_,@function
_ZN7rocprim17ROCPRIM_400000_NS6detail17trampoline_kernelINS0_14default_configENS1_36segmented_radix_sort_config_selectorI6__halflEEZNS1_25segmented_radix_sort_implIS3_Lb1EPKS5_PS5_PKlPlN2at6native12_GLOBAL__N_18offset_tEEE10hipError_tPvRmT1_PNSt15iterator_traitsISL_E10value_typeET2_T3_PNSM_ISR_E10value_typeET4_jRbjT5_SX_jjP12ihipStream_tbEUlT_E0_NS1_11comp_targetILNS1_3genE9ELNS1_11target_archE1100ELNS1_3gpuE3ELNS1_3repE0EEENS1_60segmented_radix_sort_warp_sort_medium_config_static_selectorELNS0_4arch9wavefront6targetE0EEEvSL_: ; @_ZN7rocprim17ROCPRIM_400000_NS6detail17trampoline_kernelINS0_14default_configENS1_36segmented_radix_sort_config_selectorI6__halflEEZNS1_25segmented_radix_sort_implIS3_Lb1EPKS5_PS5_PKlPlN2at6native12_GLOBAL__N_18offset_tEEE10hipError_tPvRmT1_PNSt15iterator_traitsISL_E10value_typeET2_T3_PNSM_ISR_E10value_typeET4_jRbjT5_SX_jjP12ihipStream_tbEUlT_E0_NS1_11comp_targetILNS1_3genE9ELNS1_11target_archE1100ELNS1_3gpuE3ELNS1_3repE0EEENS1_60segmented_radix_sort_warp_sort_medium_config_static_selectorELNS0_4arch9wavefront6targetE0EEEvSL_
; %bb.0:
	.section	.rodata,"a",@progbits
	.p2align	6, 0x0
	.amdhsa_kernel _ZN7rocprim17ROCPRIM_400000_NS6detail17trampoline_kernelINS0_14default_configENS1_36segmented_radix_sort_config_selectorI6__halflEEZNS1_25segmented_radix_sort_implIS3_Lb1EPKS5_PS5_PKlPlN2at6native12_GLOBAL__N_18offset_tEEE10hipError_tPvRmT1_PNSt15iterator_traitsISL_E10value_typeET2_T3_PNSM_ISR_E10value_typeET4_jRbjT5_SX_jjP12ihipStream_tbEUlT_E0_NS1_11comp_targetILNS1_3genE9ELNS1_11target_archE1100ELNS1_3gpuE3ELNS1_3repE0EEENS1_60segmented_radix_sort_warp_sort_medium_config_static_selectorELNS0_4arch9wavefront6targetE0EEEvSL_
		.amdhsa_group_segment_fixed_size 0
		.amdhsa_private_segment_fixed_size 0
		.amdhsa_kernarg_size 88
		.amdhsa_user_sgpr_count 2
		.amdhsa_user_sgpr_dispatch_ptr 0
		.amdhsa_user_sgpr_queue_ptr 0
		.amdhsa_user_sgpr_kernarg_segment_ptr 1
		.amdhsa_user_sgpr_dispatch_id 0
		.amdhsa_user_sgpr_kernarg_preload_length 0
		.amdhsa_user_sgpr_kernarg_preload_offset 0
		.amdhsa_user_sgpr_private_segment_size 0
		.amdhsa_wavefront_size32 1
		.amdhsa_uses_dynamic_stack 0
		.amdhsa_enable_private_segment 0
		.amdhsa_system_sgpr_workgroup_id_x 1
		.amdhsa_system_sgpr_workgroup_id_y 0
		.amdhsa_system_sgpr_workgroup_id_z 0
		.amdhsa_system_sgpr_workgroup_info 0
		.amdhsa_system_vgpr_workitem_id 0
		.amdhsa_next_free_vgpr 1
		.amdhsa_next_free_sgpr 1
		.amdhsa_named_barrier_count 0
		.amdhsa_reserve_vcc 0
		.amdhsa_float_round_mode_32 0
		.amdhsa_float_round_mode_16_64 0
		.amdhsa_float_denorm_mode_32 3
		.amdhsa_float_denorm_mode_16_64 3
		.amdhsa_fp16_overflow 0
		.amdhsa_memory_ordered 1
		.amdhsa_forward_progress 1
		.amdhsa_inst_pref_size 0
		.amdhsa_round_robin_scheduling 0
		.amdhsa_exception_fp_ieee_invalid_op 0
		.amdhsa_exception_fp_denorm_src 0
		.amdhsa_exception_fp_ieee_div_zero 0
		.amdhsa_exception_fp_ieee_overflow 0
		.amdhsa_exception_fp_ieee_underflow 0
		.amdhsa_exception_fp_ieee_inexact 0
		.amdhsa_exception_int_div_zero 0
	.end_amdhsa_kernel
	.section	.text._ZN7rocprim17ROCPRIM_400000_NS6detail17trampoline_kernelINS0_14default_configENS1_36segmented_radix_sort_config_selectorI6__halflEEZNS1_25segmented_radix_sort_implIS3_Lb1EPKS5_PS5_PKlPlN2at6native12_GLOBAL__N_18offset_tEEE10hipError_tPvRmT1_PNSt15iterator_traitsISL_E10value_typeET2_T3_PNSM_ISR_E10value_typeET4_jRbjT5_SX_jjP12ihipStream_tbEUlT_E0_NS1_11comp_targetILNS1_3genE9ELNS1_11target_archE1100ELNS1_3gpuE3ELNS1_3repE0EEENS1_60segmented_radix_sort_warp_sort_medium_config_static_selectorELNS0_4arch9wavefront6targetE0EEEvSL_,"axG",@progbits,_ZN7rocprim17ROCPRIM_400000_NS6detail17trampoline_kernelINS0_14default_configENS1_36segmented_radix_sort_config_selectorI6__halflEEZNS1_25segmented_radix_sort_implIS3_Lb1EPKS5_PS5_PKlPlN2at6native12_GLOBAL__N_18offset_tEEE10hipError_tPvRmT1_PNSt15iterator_traitsISL_E10value_typeET2_T3_PNSM_ISR_E10value_typeET4_jRbjT5_SX_jjP12ihipStream_tbEUlT_E0_NS1_11comp_targetILNS1_3genE9ELNS1_11target_archE1100ELNS1_3gpuE3ELNS1_3repE0EEENS1_60segmented_radix_sort_warp_sort_medium_config_static_selectorELNS0_4arch9wavefront6targetE0EEEvSL_,comdat
.Lfunc_end1747:
	.size	_ZN7rocprim17ROCPRIM_400000_NS6detail17trampoline_kernelINS0_14default_configENS1_36segmented_radix_sort_config_selectorI6__halflEEZNS1_25segmented_radix_sort_implIS3_Lb1EPKS5_PS5_PKlPlN2at6native12_GLOBAL__N_18offset_tEEE10hipError_tPvRmT1_PNSt15iterator_traitsISL_E10value_typeET2_T3_PNSM_ISR_E10value_typeET4_jRbjT5_SX_jjP12ihipStream_tbEUlT_E0_NS1_11comp_targetILNS1_3genE9ELNS1_11target_archE1100ELNS1_3gpuE3ELNS1_3repE0EEENS1_60segmented_radix_sort_warp_sort_medium_config_static_selectorELNS0_4arch9wavefront6targetE0EEEvSL_, .Lfunc_end1747-_ZN7rocprim17ROCPRIM_400000_NS6detail17trampoline_kernelINS0_14default_configENS1_36segmented_radix_sort_config_selectorI6__halflEEZNS1_25segmented_radix_sort_implIS3_Lb1EPKS5_PS5_PKlPlN2at6native12_GLOBAL__N_18offset_tEEE10hipError_tPvRmT1_PNSt15iterator_traitsISL_E10value_typeET2_T3_PNSM_ISR_E10value_typeET4_jRbjT5_SX_jjP12ihipStream_tbEUlT_E0_NS1_11comp_targetILNS1_3genE9ELNS1_11target_archE1100ELNS1_3gpuE3ELNS1_3repE0EEENS1_60segmented_radix_sort_warp_sort_medium_config_static_selectorELNS0_4arch9wavefront6targetE0EEEvSL_
                                        ; -- End function
	.set _ZN7rocprim17ROCPRIM_400000_NS6detail17trampoline_kernelINS0_14default_configENS1_36segmented_radix_sort_config_selectorI6__halflEEZNS1_25segmented_radix_sort_implIS3_Lb1EPKS5_PS5_PKlPlN2at6native12_GLOBAL__N_18offset_tEEE10hipError_tPvRmT1_PNSt15iterator_traitsISL_E10value_typeET2_T3_PNSM_ISR_E10value_typeET4_jRbjT5_SX_jjP12ihipStream_tbEUlT_E0_NS1_11comp_targetILNS1_3genE9ELNS1_11target_archE1100ELNS1_3gpuE3ELNS1_3repE0EEENS1_60segmented_radix_sort_warp_sort_medium_config_static_selectorELNS0_4arch9wavefront6targetE0EEEvSL_.num_vgpr, 0
	.set _ZN7rocprim17ROCPRIM_400000_NS6detail17trampoline_kernelINS0_14default_configENS1_36segmented_radix_sort_config_selectorI6__halflEEZNS1_25segmented_radix_sort_implIS3_Lb1EPKS5_PS5_PKlPlN2at6native12_GLOBAL__N_18offset_tEEE10hipError_tPvRmT1_PNSt15iterator_traitsISL_E10value_typeET2_T3_PNSM_ISR_E10value_typeET4_jRbjT5_SX_jjP12ihipStream_tbEUlT_E0_NS1_11comp_targetILNS1_3genE9ELNS1_11target_archE1100ELNS1_3gpuE3ELNS1_3repE0EEENS1_60segmented_radix_sort_warp_sort_medium_config_static_selectorELNS0_4arch9wavefront6targetE0EEEvSL_.num_agpr, 0
	.set _ZN7rocprim17ROCPRIM_400000_NS6detail17trampoline_kernelINS0_14default_configENS1_36segmented_radix_sort_config_selectorI6__halflEEZNS1_25segmented_radix_sort_implIS3_Lb1EPKS5_PS5_PKlPlN2at6native12_GLOBAL__N_18offset_tEEE10hipError_tPvRmT1_PNSt15iterator_traitsISL_E10value_typeET2_T3_PNSM_ISR_E10value_typeET4_jRbjT5_SX_jjP12ihipStream_tbEUlT_E0_NS1_11comp_targetILNS1_3genE9ELNS1_11target_archE1100ELNS1_3gpuE3ELNS1_3repE0EEENS1_60segmented_radix_sort_warp_sort_medium_config_static_selectorELNS0_4arch9wavefront6targetE0EEEvSL_.numbered_sgpr, 0
	.set _ZN7rocprim17ROCPRIM_400000_NS6detail17trampoline_kernelINS0_14default_configENS1_36segmented_radix_sort_config_selectorI6__halflEEZNS1_25segmented_radix_sort_implIS3_Lb1EPKS5_PS5_PKlPlN2at6native12_GLOBAL__N_18offset_tEEE10hipError_tPvRmT1_PNSt15iterator_traitsISL_E10value_typeET2_T3_PNSM_ISR_E10value_typeET4_jRbjT5_SX_jjP12ihipStream_tbEUlT_E0_NS1_11comp_targetILNS1_3genE9ELNS1_11target_archE1100ELNS1_3gpuE3ELNS1_3repE0EEENS1_60segmented_radix_sort_warp_sort_medium_config_static_selectorELNS0_4arch9wavefront6targetE0EEEvSL_.num_named_barrier, 0
	.set _ZN7rocprim17ROCPRIM_400000_NS6detail17trampoline_kernelINS0_14default_configENS1_36segmented_radix_sort_config_selectorI6__halflEEZNS1_25segmented_radix_sort_implIS3_Lb1EPKS5_PS5_PKlPlN2at6native12_GLOBAL__N_18offset_tEEE10hipError_tPvRmT1_PNSt15iterator_traitsISL_E10value_typeET2_T3_PNSM_ISR_E10value_typeET4_jRbjT5_SX_jjP12ihipStream_tbEUlT_E0_NS1_11comp_targetILNS1_3genE9ELNS1_11target_archE1100ELNS1_3gpuE3ELNS1_3repE0EEENS1_60segmented_radix_sort_warp_sort_medium_config_static_selectorELNS0_4arch9wavefront6targetE0EEEvSL_.private_seg_size, 0
	.set _ZN7rocprim17ROCPRIM_400000_NS6detail17trampoline_kernelINS0_14default_configENS1_36segmented_radix_sort_config_selectorI6__halflEEZNS1_25segmented_radix_sort_implIS3_Lb1EPKS5_PS5_PKlPlN2at6native12_GLOBAL__N_18offset_tEEE10hipError_tPvRmT1_PNSt15iterator_traitsISL_E10value_typeET2_T3_PNSM_ISR_E10value_typeET4_jRbjT5_SX_jjP12ihipStream_tbEUlT_E0_NS1_11comp_targetILNS1_3genE9ELNS1_11target_archE1100ELNS1_3gpuE3ELNS1_3repE0EEENS1_60segmented_radix_sort_warp_sort_medium_config_static_selectorELNS0_4arch9wavefront6targetE0EEEvSL_.uses_vcc, 0
	.set _ZN7rocprim17ROCPRIM_400000_NS6detail17trampoline_kernelINS0_14default_configENS1_36segmented_radix_sort_config_selectorI6__halflEEZNS1_25segmented_radix_sort_implIS3_Lb1EPKS5_PS5_PKlPlN2at6native12_GLOBAL__N_18offset_tEEE10hipError_tPvRmT1_PNSt15iterator_traitsISL_E10value_typeET2_T3_PNSM_ISR_E10value_typeET4_jRbjT5_SX_jjP12ihipStream_tbEUlT_E0_NS1_11comp_targetILNS1_3genE9ELNS1_11target_archE1100ELNS1_3gpuE3ELNS1_3repE0EEENS1_60segmented_radix_sort_warp_sort_medium_config_static_selectorELNS0_4arch9wavefront6targetE0EEEvSL_.uses_flat_scratch, 0
	.set _ZN7rocprim17ROCPRIM_400000_NS6detail17trampoline_kernelINS0_14default_configENS1_36segmented_radix_sort_config_selectorI6__halflEEZNS1_25segmented_radix_sort_implIS3_Lb1EPKS5_PS5_PKlPlN2at6native12_GLOBAL__N_18offset_tEEE10hipError_tPvRmT1_PNSt15iterator_traitsISL_E10value_typeET2_T3_PNSM_ISR_E10value_typeET4_jRbjT5_SX_jjP12ihipStream_tbEUlT_E0_NS1_11comp_targetILNS1_3genE9ELNS1_11target_archE1100ELNS1_3gpuE3ELNS1_3repE0EEENS1_60segmented_radix_sort_warp_sort_medium_config_static_selectorELNS0_4arch9wavefront6targetE0EEEvSL_.has_dyn_sized_stack, 0
	.set _ZN7rocprim17ROCPRIM_400000_NS6detail17trampoline_kernelINS0_14default_configENS1_36segmented_radix_sort_config_selectorI6__halflEEZNS1_25segmented_radix_sort_implIS3_Lb1EPKS5_PS5_PKlPlN2at6native12_GLOBAL__N_18offset_tEEE10hipError_tPvRmT1_PNSt15iterator_traitsISL_E10value_typeET2_T3_PNSM_ISR_E10value_typeET4_jRbjT5_SX_jjP12ihipStream_tbEUlT_E0_NS1_11comp_targetILNS1_3genE9ELNS1_11target_archE1100ELNS1_3gpuE3ELNS1_3repE0EEENS1_60segmented_radix_sort_warp_sort_medium_config_static_selectorELNS0_4arch9wavefront6targetE0EEEvSL_.has_recursion, 0
	.set _ZN7rocprim17ROCPRIM_400000_NS6detail17trampoline_kernelINS0_14default_configENS1_36segmented_radix_sort_config_selectorI6__halflEEZNS1_25segmented_radix_sort_implIS3_Lb1EPKS5_PS5_PKlPlN2at6native12_GLOBAL__N_18offset_tEEE10hipError_tPvRmT1_PNSt15iterator_traitsISL_E10value_typeET2_T3_PNSM_ISR_E10value_typeET4_jRbjT5_SX_jjP12ihipStream_tbEUlT_E0_NS1_11comp_targetILNS1_3genE9ELNS1_11target_archE1100ELNS1_3gpuE3ELNS1_3repE0EEENS1_60segmented_radix_sort_warp_sort_medium_config_static_selectorELNS0_4arch9wavefront6targetE0EEEvSL_.has_indirect_call, 0
	.section	.AMDGPU.csdata,"",@progbits
; Kernel info:
; codeLenInByte = 0
; TotalNumSgprs: 0
; NumVgprs: 0
; ScratchSize: 0
; MemoryBound: 0
; FloatMode: 240
; IeeeMode: 1
; LDSByteSize: 0 bytes/workgroup (compile time only)
; SGPRBlocks: 0
; VGPRBlocks: 0
; NumSGPRsForWavesPerEU: 1
; NumVGPRsForWavesPerEU: 1
; NamedBarCnt: 0
; Occupancy: 16
; WaveLimiterHint : 0
; COMPUTE_PGM_RSRC2:SCRATCH_EN: 0
; COMPUTE_PGM_RSRC2:USER_SGPR: 2
; COMPUTE_PGM_RSRC2:TRAP_HANDLER: 0
; COMPUTE_PGM_RSRC2:TGID_X_EN: 1
; COMPUTE_PGM_RSRC2:TGID_Y_EN: 0
; COMPUTE_PGM_RSRC2:TGID_Z_EN: 0
; COMPUTE_PGM_RSRC2:TIDIG_COMP_CNT: 0
	.section	.text._ZN7rocprim17ROCPRIM_400000_NS6detail17trampoline_kernelINS0_14default_configENS1_36segmented_radix_sort_config_selectorI6__halflEEZNS1_25segmented_radix_sort_implIS3_Lb1EPKS5_PS5_PKlPlN2at6native12_GLOBAL__N_18offset_tEEE10hipError_tPvRmT1_PNSt15iterator_traitsISL_E10value_typeET2_T3_PNSM_ISR_E10value_typeET4_jRbjT5_SX_jjP12ihipStream_tbEUlT_E0_NS1_11comp_targetILNS1_3genE8ELNS1_11target_archE1030ELNS1_3gpuE2ELNS1_3repE0EEENS1_60segmented_radix_sort_warp_sort_medium_config_static_selectorELNS0_4arch9wavefront6targetE0EEEvSL_,"axG",@progbits,_ZN7rocprim17ROCPRIM_400000_NS6detail17trampoline_kernelINS0_14default_configENS1_36segmented_radix_sort_config_selectorI6__halflEEZNS1_25segmented_radix_sort_implIS3_Lb1EPKS5_PS5_PKlPlN2at6native12_GLOBAL__N_18offset_tEEE10hipError_tPvRmT1_PNSt15iterator_traitsISL_E10value_typeET2_T3_PNSM_ISR_E10value_typeET4_jRbjT5_SX_jjP12ihipStream_tbEUlT_E0_NS1_11comp_targetILNS1_3genE8ELNS1_11target_archE1030ELNS1_3gpuE2ELNS1_3repE0EEENS1_60segmented_radix_sort_warp_sort_medium_config_static_selectorELNS0_4arch9wavefront6targetE0EEEvSL_,comdat
	.globl	_ZN7rocprim17ROCPRIM_400000_NS6detail17trampoline_kernelINS0_14default_configENS1_36segmented_radix_sort_config_selectorI6__halflEEZNS1_25segmented_radix_sort_implIS3_Lb1EPKS5_PS5_PKlPlN2at6native12_GLOBAL__N_18offset_tEEE10hipError_tPvRmT1_PNSt15iterator_traitsISL_E10value_typeET2_T3_PNSM_ISR_E10value_typeET4_jRbjT5_SX_jjP12ihipStream_tbEUlT_E0_NS1_11comp_targetILNS1_3genE8ELNS1_11target_archE1030ELNS1_3gpuE2ELNS1_3repE0EEENS1_60segmented_radix_sort_warp_sort_medium_config_static_selectorELNS0_4arch9wavefront6targetE0EEEvSL_ ; -- Begin function _ZN7rocprim17ROCPRIM_400000_NS6detail17trampoline_kernelINS0_14default_configENS1_36segmented_radix_sort_config_selectorI6__halflEEZNS1_25segmented_radix_sort_implIS3_Lb1EPKS5_PS5_PKlPlN2at6native12_GLOBAL__N_18offset_tEEE10hipError_tPvRmT1_PNSt15iterator_traitsISL_E10value_typeET2_T3_PNSM_ISR_E10value_typeET4_jRbjT5_SX_jjP12ihipStream_tbEUlT_E0_NS1_11comp_targetILNS1_3genE8ELNS1_11target_archE1030ELNS1_3gpuE2ELNS1_3repE0EEENS1_60segmented_radix_sort_warp_sort_medium_config_static_selectorELNS0_4arch9wavefront6targetE0EEEvSL_
	.p2align	8
	.type	_ZN7rocprim17ROCPRIM_400000_NS6detail17trampoline_kernelINS0_14default_configENS1_36segmented_radix_sort_config_selectorI6__halflEEZNS1_25segmented_radix_sort_implIS3_Lb1EPKS5_PS5_PKlPlN2at6native12_GLOBAL__N_18offset_tEEE10hipError_tPvRmT1_PNSt15iterator_traitsISL_E10value_typeET2_T3_PNSM_ISR_E10value_typeET4_jRbjT5_SX_jjP12ihipStream_tbEUlT_E0_NS1_11comp_targetILNS1_3genE8ELNS1_11target_archE1030ELNS1_3gpuE2ELNS1_3repE0EEENS1_60segmented_radix_sort_warp_sort_medium_config_static_selectorELNS0_4arch9wavefront6targetE0EEEvSL_,@function
_ZN7rocprim17ROCPRIM_400000_NS6detail17trampoline_kernelINS0_14default_configENS1_36segmented_radix_sort_config_selectorI6__halflEEZNS1_25segmented_radix_sort_implIS3_Lb1EPKS5_PS5_PKlPlN2at6native12_GLOBAL__N_18offset_tEEE10hipError_tPvRmT1_PNSt15iterator_traitsISL_E10value_typeET2_T3_PNSM_ISR_E10value_typeET4_jRbjT5_SX_jjP12ihipStream_tbEUlT_E0_NS1_11comp_targetILNS1_3genE8ELNS1_11target_archE1030ELNS1_3gpuE2ELNS1_3repE0EEENS1_60segmented_radix_sort_warp_sort_medium_config_static_selectorELNS0_4arch9wavefront6targetE0EEEvSL_: ; @_ZN7rocprim17ROCPRIM_400000_NS6detail17trampoline_kernelINS0_14default_configENS1_36segmented_radix_sort_config_selectorI6__halflEEZNS1_25segmented_radix_sort_implIS3_Lb1EPKS5_PS5_PKlPlN2at6native12_GLOBAL__N_18offset_tEEE10hipError_tPvRmT1_PNSt15iterator_traitsISL_E10value_typeET2_T3_PNSM_ISR_E10value_typeET4_jRbjT5_SX_jjP12ihipStream_tbEUlT_E0_NS1_11comp_targetILNS1_3genE8ELNS1_11target_archE1030ELNS1_3gpuE2ELNS1_3repE0EEENS1_60segmented_radix_sort_warp_sort_medium_config_static_selectorELNS0_4arch9wavefront6targetE0EEEvSL_
; %bb.0:
	.section	.rodata,"a",@progbits
	.p2align	6, 0x0
	.amdhsa_kernel _ZN7rocprim17ROCPRIM_400000_NS6detail17trampoline_kernelINS0_14default_configENS1_36segmented_radix_sort_config_selectorI6__halflEEZNS1_25segmented_radix_sort_implIS3_Lb1EPKS5_PS5_PKlPlN2at6native12_GLOBAL__N_18offset_tEEE10hipError_tPvRmT1_PNSt15iterator_traitsISL_E10value_typeET2_T3_PNSM_ISR_E10value_typeET4_jRbjT5_SX_jjP12ihipStream_tbEUlT_E0_NS1_11comp_targetILNS1_3genE8ELNS1_11target_archE1030ELNS1_3gpuE2ELNS1_3repE0EEENS1_60segmented_radix_sort_warp_sort_medium_config_static_selectorELNS0_4arch9wavefront6targetE0EEEvSL_
		.amdhsa_group_segment_fixed_size 0
		.amdhsa_private_segment_fixed_size 0
		.amdhsa_kernarg_size 88
		.amdhsa_user_sgpr_count 2
		.amdhsa_user_sgpr_dispatch_ptr 0
		.amdhsa_user_sgpr_queue_ptr 0
		.amdhsa_user_sgpr_kernarg_segment_ptr 1
		.amdhsa_user_sgpr_dispatch_id 0
		.amdhsa_user_sgpr_kernarg_preload_length 0
		.amdhsa_user_sgpr_kernarg_preload_offset 0
		.amdhsa_user_sgpr_private_segment_size 0
		.amdhsa_wavefront_size32 1
		.amdhsa_uses_dynamic_stack 0
		.amdhsa_enable_private_segment 0
		.amdhsa_system_sgpr_workgroup_id_x 1
		.amdhsa_system_sgpr_workgroup_id_y 0
		.amdhsa_system_sgpr_workgroup_id_z 0
		.amdhsa_system_sgpr_workgroup_info 0
		.amdhsa_system_vgpr_workitem_id 0
		.amdhsa_next_free_vgpr 1
		.amdhsa_next_free_sgpr 1
		.amdhsa_named_barrier_count 0
		.amdhsa_reserve_vcc 0
		.amdhsa_float_round_mode_32 0
		.amdhsa_float_round_mode_16_64 0
		.amdhsa_float_denorm_mode_32 3
		.amdhsa_float_denorm_mode_16_64 3
		.amdhsa_fp16_overflow 0
		.amdhsa_memory_ordered 1
		.amdhsa_forward_progress 1
		.amdhsa_inst_pref_size 0
		.amdhsa_round_robin_scheduling 0
		.amdhsa_exception_fp_ieee_invalid_op 0
		.amdhsa_exception_fp_denorm_src 0
		.amdhsa_exception_fp_ieee_div_zero 0
		.amdhsa_exception_fp_ieee_overflow 0
		.amdhsa_exception_fp_ieee_underflow 0
		.amdhsa_exception_fp_ieee_inexact 0
		.amdhsa_exception_int_div_zero 0
	.end_amdhsa_kernel
	.section	.text._ZN7rocprim17ROCPRIM_400000_NS6detail17trampoline_kernelINS0_14default_configENS1_36segmented_radix_sort_config_selectorI6__halflEEZNS1_25segmented_radix_sort_implIS3_Lb1EPKS5_PS5_PKlPlN2at6native12_GLOBAL__N_18offset_tEEE10hipError_tPvRmT1_PNSt15iterator_traitsISL_E10value_typeET2_T3_PNSM_ISR_E10value_typeET4_jRbjT5_SX_jjP12ihipStream_tbEUlT_E0_NS1_11comp_targetILNS1_3genE8ELNS1_11target_archE1030ELNS1_3gpuE2ELNS1_3repE0EEENS1_60segmented_radix_sort_warp_sort_medium_config_static_selectorELNS0_4arch9wavefront6targetE0EEEvSL_,"axG",@progbits,_ZN7rocprim17ROCPRIM_400000_NS6detail17trampoline_kernelINS0_14default_configENS1_36segmented_radix_sort_config_selectorI6__halflEEZNS1_25segmented_radix_sort_implIS3_Lb1EPKS5_PS5_PKlPlN2at6native12_GLOBAL__N_18offset_tEEE10hipError_tPvRmT1_PNSt15iterator_traitsISL_E10value_typeET2_T3_PNSM_ISR_E10value_typeET4_jRbjT5_SX_jjP12ihipStream_tbEUlT_E0_NS1_11comp_targetILNS1_3genE8ELNS1_11target_archE1030ELNS1_3gpuE2ELNS1_3repE0EEENS1_60segmented_radix_sort_warp_sort_medium_config_static_selectorELNS0_4arch9wavefront6targetE0EEEvSL_,comdat
.Lfunc_end1748:
	.size	_ZN7rocprim17ROCPRIM_400000_NS6detail17trampoline_kernelINS0_14default_configENS1_36segmented_radix_sort_config_selectorI6__halflEEZNS1_25segmented_radix_sort_implIS3_Lb1EPKS5_PS5_PKlPlN2at6native12_GLOBAL__N_18offset_tEEE10hipError_tPvRmT1_PNSt15iterator_traitsISL_E10value_typeET2_T3_PNSM_ISR_E10value_typeET4_jRbjT5_SX_jjP12ihipStream_tbEUlT_E0_NS1_11comp_targetILNS1_3genE8ELNS1_11target_archE1030ELNS1_3gpuE2ELNS1_3repE0EEENS1_60segmented_radix_sort_warp_sort_medium_config_static_selectorELNS0_4arch9wavefront6targetE0EEEvSL_, .Lfunc_end1748-_ZN7rocprim17ROCPRIM_400000_NS6detail17trampoline_kernelINS0_14default_configENS1_36segmented_radix_sort_config_selectorI6__halflEEZNS1_25segmented_radix_sort_implIS3_Lb1EPKS5_PS5_PKlPlN2at6native12_GLOBAL__N_18offset_tEEE10hipError_tPvRmT1_PNSt15iterator_traitsISL_E10value_typeET2_T3_PNSM_ISR_E10value_typeET4_jRbjT5_SX_jjP12ihipStream_tbEUlT_E0_NS1_11comp_targetILNS1_3genE8ELNS1_11target_archE1030ELNS1_3gpuE2ELNS1_3repE0EEENS1_60segmented_radix_sort_warp_sort_medium_config_static_selectorELNS0_4arch9wavefront6targetE0EEEvSL_
                                        ; -- End function
	.set _ZN7rocprim17ROCPRIM_400000_NS6detail17trampoline_kernelINS0_14default_configENS1_36segmented_radix_sort_config_selectorI6__halflEEZNS1_25segmented_radix_sort_implIS3_Lb1EPKS5_PS5_PKlPlN2at6native12_GLOBAL__N_18offset_tEEE10hipError_tPvRmT1_PNSt15iterator_traitsISL_E10value_typeET2_T3_PNSM_ISR_E10value_typeET4_jRbjT5_SX_jjP12ihipStream_tbEUlT_E0_NS1_11comp_targetILNS1_3genE8ELNS1_11target_archE1030ELNS1_3gpuE2ELNS1_3repE0EEENS1_60segmented_radix_sort_warp_sort_medium_config_static_selectorELNS0_4arch9wavefront6targetE0EEEvSL_.num_vgpr, 0
	.set _ZN7rocprim17ROCPRIM_400000_NS6detail17trampoline_kernelINS0_14default_configENS1_36segmented_radix_sort_config_selectorI6__halflEEZNS1_25segmented_radix_sort_implIS3_Lb1EPKS5_PS5_PKlPlN2at6native12_GLOBAL__N_18offset_tEEE10hipError_tPvRmT1_PNSt15iterator_traitsISL_E10value_typeET2_T3_PNSM_ISR_E10value_typeET4_jRbjT5_SX_jjP12ihipStream_tbEUlT_E0_NS1_11comp_targetILNS1_3genE8ELNS1_11target_archE1030ELNS1_3gpuE2ELNS1_3repE0EEENS1_60segmented_radix_sort_warp_sort_medium_config_static_selectorELNS0_4arch9wavefront6targetE0EEEvSL_.num_agpr, 0
	.set _ZN7rocprim17ROCPRIM_400000_NS6detail17trampoline_kernelINS0_14default_configENS1_36segmented_radix_sort_config_selectorI6__halflEEZNS1_25segmented_radix_sort_implIS3_Lb1EPKS5_PS5_PKlPlN2at6native12_GLOBAL__N_18offset_tEEE10hipError_tPvRmT1_PNSt15iterator_traitsISL_E10value_typeET2_T3_PNSM_ISR_E10value_typeET4_jRbjT5_SX_jjP12ihipStream_tbEUlT_E0_NS1_11comp_targetILNS1_3genE8ELNS1_11target_archE1030ELNS1_3gpuE2ELNS1_3repE0EEENS1_60segmented_radix_sort_warp_sort_medium_config_static_selectorELNS0_4arch9wavefront6targetE0EEEvSL_.numbered_sgpr, 0
	.set _ZN7rocprim17ROCPRIM_400000_NS6detail17trampoline_kernelINS0_14default_configENS1_36segmented_radix_sort_config_selectorI6__halflEEZNS1_25segmented_radix_sort_implIS3_Lb1EPKS5_PS5_PKlPlN2at6native12_GLOBAL__N_18offset_tEEE10hipError_tPvRmT1_PNSt15iterator_traitsISL_E10value_typeET2_T3_PNSM_ISR_E10value_typeET4_jRbjT5_SX_jjP12ihipStream_tbEUlT_E0_NS1_11comp_targetILNS1_3genE8ELNS1_11target_archE1030ELNS1_3gpuE2ELNS1_3repE0EEENS1_60segmented_radix_sort_warp_sort_medium_config_static_selectorELNS0_4arch9wavefront6targetE0EEEvSL_.num_named_barrier, 0
	.set _ZN7rocprim17ROCPRIM_400000_NS6detail17trampoline_kernelINS0_14default_configENS1_36segmented_radix_sort_config_selectorI6__halflEEZNS1_25segmented_radix_sort_implIS3_Lb1EPKS5_PS5_PKlPlN2at6native12_GLOBAL__N_18offset_tEEE10hipError_tPvRmT1_PNSt15iterator_traitsISL_E10value_typeET2_T3_PNSM_ISR_E10value_typeET4_jRbjT5_SX_jjP12ihipStream_tbEUlT_E0_NS1_11comp_targetILNS1_3genE8ELNS1_11target_archE1030ELNS1_3gpuE2ELNS1_3repE0EEENS1_60segmented_radix_sort_warp_sort_medium_config_static_selectorELNS0_4arch9wavefront6targetE0EEEvSL_.private_seg_size, 0
	.set _ZN7rocprim17ROCPRIM_400000_NS6detail17trampoline_kernelINS0_14default_configENS1_36segmented_radix_sort_config_selectorI6__halflEEZNS1_25segmented_radix_sort_implIS3_Lb1EPKS5_PS5_PKlPlN2at6native12_GLOBAL__N_18offset_tEEE10hipError_tPvRmT1_PNSt15iterator_traitsISL_E10value_typeET2_T3_PNSM_ISR_E10value_typeET4_jRbjT5_SX_jjP12ihipStream_tbEUlT_E0_NS1_11comp_targetILNS1_3genE8ELNS1_11target_archE1030ELNS1_3gpuE2ELNS1_3repE0EEENS1_60segmented_radix_sort_warp_sort_medium_config_static_selectorELNS0_4arch9wavefront6targetE0EEEvSL_.uses_vcc, 0
	.set _ZN7rocprim17ROCPRIM_400000_NS6detail17trampoline_kernelINS0_14default_configENS1_36segmented_radix_sort_config_selectorI6__halflEEZNS1_25segmented_radix_sort_implIS3_Lb1EPKS5_PS5_PKlPlN2at6native12_GLOBAL__N_18offset_tEEE10hipError_tPvRmT1_PNSt15iterator_traitsISL_E10value_typeET2_T3_PNSM_ISR_E10value_typeET4_jRbjT5_SX_jjP12ihipStream_tbEUlT_E0_NS1_11comp_targetILNS1_3genE8ELNS1_11target_archE1030ELNS1_3gpuE2ELNS1_3repE0EEENS1_60segmented_radix_sort_warp_sort_medium_config_static_selectorELNS0_4arch9wavefront6targetE0EEEvSL_.uses_flat_scratch, 0
	.set _ZN7rocprim17ROCPRIM_400000_NS6detail17trampoline_kernelINS0_14default_configENS1_36segmented_radix_sort_config_selectorI6__halflEEZNS1_25segmented_radix_sort_implIS3_Lb1EPKS5_PS5_PKlPlN2at6native12_GLOBAL__N_18offset_tEEE10hipError_tPvRmT1_PNSt15iterator_traitsISL_E10value_typeET2_T3_PNSM_ISR_E10value_typeET4_jRbjT5_SX_jjP12ihipStream_tbEUlT_E0_NS1_11comp_targetILNS1_3genE8ELNS1_11target_archE1030ELNS1_3gpuE2ELNS1_3repE0EEENS1_60segmented_radix_sort_warp_sort_medium_config_static_selectorELNS0_4arch9wavefront6targetE0EEEvSL_.has_dyn_sized_stack, 0
	.set _ZN7rocprim17ROCPRIM_400000_NS6detail17trampoline_kernelINS0_14default_configENS1_36segmented_radix_sort_config_selectorI6__halflEEZNS1_25segmented_radix_sort_implIS3_Lb1EPKS5_PS5_PKlPlN2at6native12_GLOBAL__N_18offset_tEEE10hipError_tPvRmT1_PNSt15iterator_traitsISL_E10value_typeET2_T3_PNSM_ISR_E10value_typeET4_jRbjT5_SX_jjP12ihipStream_tbEUlT_E0_NS1_11comp_targetILNS1_3genE8ELNS1_11target_archE1030ELNS1_3gpuE2ELNS1_3repE0EEENS1_60segmented_radix_sort_warp_sort_medium_config_static_selectorELNS0_4arch9wavefront6targetE0EEEvSL_.has_recursion, 0
	.set _ZN7rocprim17ROCPRIM_400000_NS6detail17trampoline_kernelINS0_14default_configENS1_36segmented_radix_sort_config_selectorI6__halflEEZNS1_25segmented_radix_sort_implIS3_Lb1EPKS5_PS5_PKlPlN2at6native12_GLOBAL__N_18offset_tEEE10hipError_tPvRmT1_PNSt15iterator_traitsISL_E10value_typeET2_T3_PNSM_ISR_E10value_typeET4_jRbjT5_SX_jjP12ihipStream_tbEUlT_E0_NS1_11comp_targetILNS1_3genE8ELNS1_11target_archE1030ELNS1_3gpuE2ELNS1_3repE0EEENS1_60segmented_radix_sort_warp_sort_medium_config_static_selectorELNS0_4arch9wavefront6targetE0EEEvSL_.has_indirect_call, 0
	.section	.AMDGPU.csdata,"",@progbits
; Kernel info:
; codeLenInByte = 0
; TotalNumSgprs: 0
; NumVgprs: 0
; ScratchSize: 0
; MemoryBound: 0
; FloatMode: 240
; IeeeMode: 1
; LDSByteSize: 0 bytes/workgroup (compile time only)
; SGPRBlocks: 0
; VGPRBlocks: 0
; NumSGPRsForWavesPerEU: 1
; NumVGPRsForWavesPerEU: 1
; NamedBarCnt: 0
; Occupancy: 16
; WaveLimiterHint : 0
; COMPUTE_PGM_RSRC2:SCRATCH_EN: 0
; COMPUTE_PGM_RSRC2:USER_SGPR: 2
; COMPUTE_PGM_RSRC2:TRAP_HANDLER: 0
; COMPUTE_PGM_RSRC2:TGID_X_EN: 1
; COMPUTE_PGM_RSRC2:TGID_Y_EN: 0
; COMPUTE_PGM_RSRC2:TGID_Z_EN: 0
; COMPUTE_PGM_RSRC2:TIDIG_COMP_CNT: 0
	.text
	.p2align	2                               ; -- Begin function _ZN7rocprim17ROCPRIM_400000_NS6detail26segmented_warp_sort_helperINS1_20WarpSortHelperConfigILj8ELj4ELj256EEE6__halflLi256ELb1EvE4sortIPKS5_PS5_PKlPlEEvT_SA_T0_T1_SD_T2_bjjjjRNS6_12storage_typeE
	.type	_ZN7rocprim17ROCPRIM_400000_NS6detail26segmented_warp_sort_helperINS1_20WarpSortHelperConfigILj8ELj4ELj256EEE6__halflLi256ELb1EvE4sortIPKS5_PS5_PKlPlEEvT_SA_T0_T1_SD_T2_bjjjjRNS6_12storage_typeE,@function
_ZN7rocprim17ROCPRIM_400000_NS6detail26segmented_warp_sort_helperINS1_20WarpSortHelperConfigILj8ELj4ELj256EEE6__halflLi256ELb1EvE4sortIPKS5_PS5_PKlPlEEvT_SA_T0_T1_SD_T2_bjjjjRNS6_12storage_typeE: ; @_ZN7rocprim17ROCPRIM_400000_NS6detail26segmented_warp_sort_helperINS1_20WarpSortHelperConfigILj8ELj4ELj256EEE6__halflLi256ELb1EvE4sortIPKS5_PS5_PKlPlEEvT_SA_T0_T1_SD_T2_bjjjjRNS6_12storage_typeE
; %bb.0:
	s_wait_loadcnt_dscnt 0x0
	s_wait_kmcnt 0x0
	v_mov_b32_e32 v28, v13
	v_mbcnt_lo_u32_b32 v13, -1, 0
	v_dual_mov_b32 v33, v16 :: v_dual_mov_b32 v32, v15
	v_and_b32_e32 v12, 1, v12
	s_mov_b32 s6, 0
	s_delay_alu instid0(VALU_DEP_3) | instskip(SKIP_1) | instid1(VALU_DEP_3)
	v_dual_mov_b32 v29, 0 :: v_dual_lshlrev_b32 v34, 2, v13
	v_sub_nc_u32_e32 v22, v14, v28
	v_cmp_ne_u32_e64 s0, 1, v12
	s_getreg_b32 s5, hwreg(HW_REG_IB_STS2, 6, 4)
	v_and_b32_e32 v30, 28, v34
	v_lshl_add_u64 v[16:17], v[28:29], 1, v[0:1]
	s_delay_alu instid0(VALU_DEP_2) | instskip(SKIP_1) | instid1(VALU_DEP_2)
	v_dual_mov_b32 v1, v29 :: v_dual_lshlrev_b32 v0, 1, v30
	v_cmp_lt_u32_e32 vcc_lo, v30, v22
	v_add_nc_u64_e32 v[20:21], v[16:17], v[0:1]
                                        ; implicit-def: $vgpr12_vgpr13_vgpr14_vgpr15_vgpr16_vgpr17_vgpr18_vgpr19
	s_and_saveexec_b32 s1, s0
	s_delay_alu instid0(SALU_CYCLE_1)
	s_xor_b32 s7, exec_lo, s1
	s_cbranch_execnz .LBB1749_4
; %bb.1:
	s_and_not1_saveexec_b32 s7, s7
	s_cbranch_execnz .LBB1749_109
.LBB1749_2:
	s_or_b32 exec_lo, exec_lo, s7
	s_and_saveexec_b32 s0, s6
	s_cbranch_execnz .LBB1749_214
.LBB1749_3:
	s_or_b32 exec_lo, exec_lo, s0
	s_wait_dscnt 0x0
	s_set_pc_i64 s[30:31]
.LBB1749_4:
	v_dual_mov_b32 v36, 0xffff :: v_dual_mov_b32 v37, 0xffff
	s_and_saveexec_b32 s0, vcc_lo
	s_cbranch_execz .LBB1749_6
; %bb.5:
	flat_load_u16 v37, v[20:21]
.LBB1749_6:
	s_wait_xcnt 0x0
	s_or_b32 exec_lo, exec_lo, s0
	v_or_b32_e32 v1, 1, v30
	s_delay_alu instid0(VALU_DEP_1)
	v_cmp_lt_u32_e64 s0, v1, v22
	s_and_saveexec_b32 s1, s0
	s_cbranch_execz .LBB1749_8
; %bb.7:
	flat_load_u16 v36, v[20:21] offset:2
.LBB1749_8:
	s_wait_xcnt 0x0
	s_or_b32 exec_lo, exec_lo, s1
	v_or_b32_e32 v1, 2, v30
	v_dual_mov_b32 v35, 0xffff :: v_dual_mov_b32 v38, 0xffff
	s_delay_alu instid0(VALU_DEP_2)
	v_cmp_lt_u32_e64 s1, v1, v22
	s_and_saveexec_b32 s2, s1
	s_cbranch_execz .LBB1749_10
; %bb.9:
	flat_load_u16 v38, v[20:21] offset:4
.LBB1749_10:
	s_wait_xcnt 0x0
	s_or_b32 exec_lo, exec_lo, s2
	v_or_b32_e32 v1, 3, v30
	s_delay_alu instid0(VALU_DEP_1)
	v_cmp_lt_u32_e64 s2, v1, v22
	s_and_saveexec_b32 s3, s2
	s_cbranch_execz .LBB1749_12
; %bb.11:
	flat_load_u16 v35, v[20:21] offset:6
.LBB1749_12:
	s_wait_xcnt 0x0
	s_or_b32 exec_lo, exec_lo, s3
	v_lshl_add_u64 v[6:7], v[28:29], 3, v[6:7]
	v_dual_mov_b32 v5, 0 :: v_dual_lshlrev_b32 v4, 3, v30
	; wave barrier
	s_delay_alu instid0(VALU_DEP_1)
	v_add_nc_u64_e32 v[6:7], v[6:7], v[4:5]
	v_dual_mov_b32 v12, v5 :: v_dual_mov_b32 v13, v5
	v_dual_mov_b32 v14, v5 :: v_dual_mov_b32 v15, v5
	;; [unrolled: 1-line block ×4, first 2 shown]
	s_and_saveexec_b32 s3, vcc_lo
	s_cbranch_execnz .LBB1749_215
; %bb.13:
	s_or_b32 exec_lo, exec_lo, s3
	s_and_saveexec_b32 s3, s0
	s_cbranch_execnz .LBB1749_216
.LBB1749_14:
	s_or_b32 exec_lo, exec_lo, s3
	s_and_saveexec_b32 s3, s1
	s_cbranch_execnz .LBB1749_217
.LBB1749_15:
	s_or_b32 exec_lo, exec_lo, s3
	s_and_saveexec_b32 s3, s2
	s_cbranch_execz .LBB1749_17
.LBB1749_16:
	flat_load_b64 v[18:19], v[6:7] offset:24
.LBB1749_17:
	s_wait_xcnt 0x0
	s_or_b32 exec_lo, exec_lo, s3
	; wave barrier
	s_load_b64 s[10:11], s[8:9], 0x0
	s_bfe_u32 s4, ttmp6, 0x4000c
	s_bfe_u32 s12, ttmp6, 0x40010
	s_and_b32 s6, ttmp7, 0xffff
	s_add_co_i32 s4, s4, 1
	s_add_co_i32 s12, s12, 1
	s_and_b32 s3, ttmp6, 15
	s_bfe_u32 s13, ttmp6, 0x40004
	s_mul_i32 s4, ttmp9, s4
	s_mul_i32 s12, s6, s12
	s_add_co_i32 s3, s3, s4
	s_add_co_i32 s13, s13, s12
	s_cmp_eq_u32 s5, 0
	v_bfe_u32 v1, v31, 10, 10
	s_cselect_b32 s3, ttmp9, s3
	s_cselect_b32 s4, s6, s13
	v_bfe_u32 v5, v31, 20, 10
	s_mov_b32 s6, exec_lo
	s_wait_kmcnt 0x0
	s_cmp_lt_u32 s3, s10
	s_cselect_b32 s10, 12, 18
	s_cmp_lt_u32 s4, s11
	s_mov_b32 s11, 0
	s_cselect_b32 s12, 14, 20
	s_mov_b32 s13, s11
	s_add_nc_u64 s[10:11], s[8:9], s[10:11]
	s_add_nc_u64 s[12:13], s[8:9], s[12:13]
	s_clause 0x1
	s_load_u16 s4, s[10:11], 0x0
	s_load_u16 s3, s[12:13], 0x0
	s_wait_kmcnt 0x0
	v_mad_u32_u24 v1, v5, s3, v1
	v_and_b32_e32 v5, 0x3ff, v31
	s_delay_alu instid0(VALU_DEP_2) | instskip(NEXT) | instid1(VALU_DEP_1)
	v_mul_lo_u32 v1, v1, s4
	v_add_lshl_u32 v1, v1, v5, 2
	s_delay_alu instid0(VALU_DEP_1)
	v_cmpx_gt_u32_e32 0x400, v1
	s_cbranch_execz .LBB1749_27
; %bb.18:
	s_wait_loadcnt_dscnt 0x0
	v_add_f16_e32 v5, 0, v36
	v_add_f16_e32 v6, 0, v37
	;; [unrolled: 1-line block ×4, first 2 shown]
	v_mov_b64_e32 v[24:25], v[16:17]
	v_cmp_lt_i16_e64 s3, -1, v5
	v_mov_b64_e32 v[26:27], v[18:19]
	s_mov_b32 s10, exec_lo
	v_cndmask_b32_e64 v11, -1, 0xffff8000, s3
	v_cmp_lt_i16_e64 s3, -1, v6
	s_delay_alu instid0(VALU_DEP_2) | instskip(NEXT) | instid1(VALU_DEP_2)
	v_xor_b32_e32 v5, v11, v5
	v_cndmask_b32_e64 v20, -1, 0xffff8000, s3
	v_cmp_lt_i16_e64 s3, -1, v10
	s_delay_alu instid0(VALU_DEP_2) | instskip(NEXT) | instid1(VALU_DEP_2)
	v_xor_b32_e32 v6, v20, v6
	v_cndmask_b32_e64 v11, -1, 0xffff8000, s3
	v_cmp_lt_i16_e64 s3, -1, v7
	s_delay_alu instid0(VALU_DEP_1) | instskip(NEXT) | instid1(VALU_DEP_4)
	v_cndmask_b32_e64 v20, -1, 0xffff8000, s3
	v_cmp_gt_u16_e64 s3, v5, v6
	s_delay_alu instid0(VALU_DEP_4) | instskip(NEXT) | instid1(VALU_DEP_2)
	v_dual_mov_b32 v5, v38 :: v_dual_bitop2_b32 v11, v11, v10 bitop3:0x14
	v_dual_cndmask_b32 v23, v15, v13, s3 :: v_dual_bitop2_b32 v6, v20, v7 bitop3:0x14
	v_dual_cndmask_b32 v22, v14, v12, s3 :: v_dual_cndmask_b32 v21, v13, v15, s3
	v_cndmask_b32_e64 v20, v12, v14, s3
	s_delay_alu instid0(VALU_DEP_3)
	v_cmpx_gt_u16_e64 v11, v6
; %bb.19:
	v_mov_b64_e32 v[24:25], v[18:19]
	v_mov_b64_e32 v[26:27], v[16:17]
	v_dual_mov_b32 v7, v10 :: v_dual_mov_b32 v6, v11
	v_dual_mov_b32 v5, v35 :: v_dual_mov_b32 v35, v38
; %bb.20:
	s_or_b32 exec_lo, exec_lo, s10
	v_cndmask_b32_e64 v12, v36, v37, s3
	s_delay_alu instid0(VALU_DEP_1) | instskip(NEXT) | instid1(VALU_DEP_1)
	v_add_f16_e32 v10, 0, v12
	v_cmp_lt_i16_e64 s4, -1, v10
	s_delay_alu instid0(VALU_DEP_1) | instskip(NEXT) | instid1(VALU_DEP_1)
	v_cndmask_b32_e64 v11, -1, 0xffff8000, s4
	v_xor_b32_e32 v13, v11, v10
	v_mov_b32_e32 v11, v7
	s_delay_alu instid0(VALU_DEP_2) | instskip(SKIP_2) | instid1(SALU_CYCLE_1)
	v_cmp_gt_u16_e64 s4, v6, v13
	v_mov_b32_e32 v6, v12
	s_and_saveexec_b32 s10, s4
	s_xor_b32 s4, exec_lo, s10
	s_cbranch_execz .LBB1749_22
; %bb.21:
	v_mov_b64_e32 v[14:15], v[20:21]
	v_mov_b64_e32 v[16:17], v[22:23]
	;; [unrolled: 1-line block ×4, first 2 shown]
	v_dual_mov_b32 v20, v26 :: v_dual_mov_b32 v21, v27
	v_dual_mov_b32 v16, v24 :: v_dual_mov_b32 v17, v25
	;; [unrolled: 1-line block ×3, first 2 shown]
	s_delay_alu instid0(VALU_DEP_3) | instskip(SKIP_1) | instid1(VALU_DEP_4)
	v_mov_b64_e32 v[26:27], v[20:21]
	v_dual_mov_b32 v11, v10 :: v_dual_mov_b32 v6, v5
	v_mov_b64_e32 v[22:23], v[16:17]
	s_delay_alu instid0(VALU_DEP_4)
	v_mov_b64_e32 v[24:25], v[18:19]
	v_mov_b64_e32 v[20:21], v[14:15]
	v_dual_mov_b32 v5, v12 :: v_dual_mov_b32 v10, v7
.LBB1749_22:
	s_or_b32 exec_lo, exec_lo, s4
	s_delay_alu instid0(VALU_DEP_3) | instskip(NEXT) | instid1(VALU_DEP_2)
	v_dual_cndmask_b32 v7, v37, v36, s3 :: v_dual_mov_b32 v16, v24
	v_cmp_lt_i16_e64 s3, -1, v10
	v_add_f16_e32 v14, 0, v35
	s_mov_b32 s10, exec_lo
	v_add_f16_e32 v12, 0, v7
	v_mov_b32_e32 v19, v27
	v_cndmask_b32_e64 v13, -1, 0xffff8000, s3
	s_delay_alu instid0(VALU_DEP_3) | instskip(NEXT) | instid1(VALU_DEP_2)
	v_cmp_lt_i16_e64 s3, -1, v12
	v_xor_b32_e32 v10, v13, v10
	s_delay_alu instid0(VALU_DEP_2) | instskip(SKIP_1) | instid1(VALU_DEP_2)
	v_cndmask_b32_e64 v15, -1, 0xffff8000, s3
	v_cmp_lt_i16_e64 s3, -1, v11
	v_xor_b32_e32 v12, v15, v12
	s_delay_alu instid0(VALU_DEP_2) | instskip(SKIP_1) | instid1(VALU_DEP_2)
	v_cndmask_b32_e64 v17, -1, 0xffff8000, s3
	v_cmp_lt_i16_e64 s3, -1, v14
	v_xor_b32_e32 v11, v17, v11
	s_delay_alu instid0(VALU_DEP_2) | instskip(NEXT) | instid1(VALU_DEP_1)
	v_cndmask_b32_e64 v18, -1, 0xffff8000, s3
	v_dual_mov_b32 v17, v25 :: v_dual_bitop2_b32 v31, v18, v14 bitop3:0x14
	v_mov_b32_e32 v18, v26
	v_cmp_gt_u16_e64 s3, v10, v12
	s_delay_alu instid0(VALU_DEP_1)
	v_dual_mov_b32 v10, v5 :: v_dual_cndmask_b32 v12, v20, v22, s3
	v_dual_cndmask_b32 v15, v23, v21, s3 :: v_dual_cndmask_b32 v14, v22, v20, s3
	v_cndmask_b32_e64 v13, v21, v23, s3
	v_cmpx_gt_u16_e64 v31, v11
; %bb.23:
	v_dual_mov_b32 v16, v26 :: v_dual_mov_b32 v17, v27
	v_dual_mov_b32 v18, v24 :: v_dual_mov_b32 v19, v25
	;; [unrolled: 1-line block ×3, first 2 shown]
	v_mov_b32_e32 v35, v5
; %bb.24:
	s_or_b32 exec_lo, exec_lo, s10
	v_cndmask_b32_e64 v36, v6, v7, s3
	s_delay_alu instid0(VALU_DEP_3) | instskip(SKIP_1) | instid1(VALU_DEP_2)
	v_mov_b32_e32 v38, v10
	s_mov_b32 s10, exec_lo
	v_add_f16_e32 v5, 0, v36
	s_delay_alu instid0(VALU_DEP_1) | instskip(NEXT) | instid1(VALU_DEP_1)
	v_cmp_lt_i16_e64 s4, -1, v5
	v_cndmask_b32_e64 v20, -1, 0xffff8000, s4
	s_delay_alu instid0(VALU_DEP_1) | instskip(NEXT) | instid1(VALU_DEP_1)
	v_xor_b32_e32 v5, v20, v5
	v_cmpx_gt_u16_e64 v11, v5
	s_cbranch_execz .LBB1749_26
; %bb.25:
	v_dual_mov_b32 v20, v12 :: v_dual_mov_b32 v21, v13
	v_dual_mov_b32 v22, v16 :: v_dual_mov_b32 v23, v17
	;; [unrolled: 1-line block ×4, first 2 shown]
	s_delay_alu instid0(VALU_DEP_4) | instskip(NEXT) | instid1(VALU_DEP_4)
	v_mov_b64_e32 v[12:13], v[20:21]
	v_mov_b64_e32 v[14:15], v[22:23]
	s_delay_alu instid0(VALU_DEP_4)
	v_mov_b64_e32 v[16:17], v[24:25]
	v_dual_mov_b32 v38, v36 :: v_dual_mov_b32 v36, v10
	v_mov_b64_e32 v[18:19], v[26:27]
.LBB1749_26:
	s_or_b32 exec_lo, exec_lo, s10
	v_cndmask_b32_e64 v37, v7, v6, s3
.LBB1749_27:
	s_or_b32 exec_lo, exec_lo, s6
	v_and_b32_e32 v20, 0xffffff80, v1
	v_dual_mov_b32 v21, 0 :: v_dual_bitop2_b32 v5, 4, v34 bitop3:0x54
	v_and_b32_e32 v48, 0x78, v34
	s_mov_b32 s4, exec_lo
	s_delay_alu instid0(VALU_DEP_3) | instskip(NEXT) | instid1(VALU_DEP_3)
	v_sub_nc_u32_e64 v1, 0x400, v20 clamp
	v_lshl_add_u64 v[10:11], v[20:21], 1, v[32:33]
	s_delay_alu instid0(VALU_DEP_2) | instskip(NEXT) | instid1(VALU_DEP_2)
	v_min_u32_e32 v33, v1, v5
	v_mad_nc_u64_u32 v[6:7], v20, 6, v[10:11]
	v_lshl_add_u32 v5, v34, 1, v10
	s_delay_alu instid0(VALU_DEP_3)
	v_add_min_u32_e64 v39, v33, 4, v1
	v_and_b32_e32 v7, 4, v34
	s_wait_loadcnt_dscnt 0x0
	ds_store_b16 v5, v37
	v_sub_nc_u32_e32 v20, v39, v33
	v_min_u32_e32 v49, v1, v7
	v_sub_nc_u32_e32 v7, v33, v48
	v_lshl_add_u32 v32, v34, 3, v6
	ds_store_b64 v32, v[12:13] offset:2048
	ds_store_b16 v5, v36 offset:2
	ds_store_b64 v32, v[14:15] offset:2056
	ds_store_b16 v5, v38 offset:4
	;; [unrolled: 2-line block ×3, first 2 shown]
	ds_store_b64 v32, v[18:19] offset:2072
	v_min_u32_e32 v7, v49, v7
	v_sub_nc_u32_e64 v50, v49, v20 clamp
	; wave barrier
	s_delay_alu instid0(VALU_DEP_1)
	v_cmpx_lt_u32_e64 v50, v7
	s_cbranch_execz .LBB1749_31
; %bb.28:
	v_lshlrev_b32_e32 v20, 1, v48
	s_mov_b32 s6, 0
	s_delay_alu instid0(VALU_DEP_1) | instskip(SKIP_1) | instid1(VALU_DEP_1)
	v_add_nc_u64_e32 v[22:23], v[10:11], v[20:21]
	v_lshlrev_b32_e32 v20, 1, v33
	v_add_nc_u64_e32 v[20:21], v[10:11], v[20:21]
.LBB1749_29:                            ; =>This Inner Loop Header: Depth=1
	v_add_nc_u32_e32 v21, v7, v50
	s_delay_alu instid0(VALU_DEP_1) | instskip(NEXT) | instid1(VALU_DEP_1)
	v_dual_lshrrev_b32 v23, 1, v21 :: v_dual_bitop2_b32 v21, -2, v21 bitop3:0x40
	v_xad_u32 v24, v23, -1, v49
	s_delay_alu instid0(VALU_DEP_2) | instskip(NEXT) | instid1(VALU_DEP_2)
	v_add_nc_u32_e32 v21, v22, v21
	v_lshl_add_u32 v24, v24, 1, v20
	ds_load_u16 v21, v21
	ds_load_u16 v24, v24
	s_wait_dscnt 0x1
	v_add_f16_e32 v21, 0, v21
	s_wait_dscnt 0x0
	v_add_f16_e32 v24, 0, v24
	s_delay_alu instid0(VALU_DEP_2) | instskip(NEXT) | instid1(VALU_DEP_1)
	v_cmp_lt_i16_e64 s3, -1, v21
	v_cndmask_b32_e64 v25, -1, 0xffff8000, s3
	s_delay_alu instid0(VALU_DEP_3) | instskip(NEXT) | instid1(VALU_DEP_2)
	v_cmp_lt_i16_e64 s3, -1, v24
	v_xor_b32_e32 v21, v25, v21
	s_delay_alu instid0(VALU_DEP_2) | instskip(NEXT) | instid1(VALU_DEP_1)
	v_cndmask_b32_e64 v26, -1, 0xffff8000, s3
	v_dual_add_nc_u32 v25, 1, v23 :: v_dual_bitop2_b32 v24, v26, v24 bitop3:0x14
	s_delay_alu instid0(VALU_DEP_1) | instskip(NEXT) | instid1(VALU_DEP_1)
	v_cmp_gt_u16_e64 s3, v24, v21
	v_dual_cndmask_b32 v7, v7, v23, s3 :: v_dual_cndmask_b32 v50, v25, v50, s3
	s_delay_alu instid0(VALU_DEP_1) | instskip(SKIP_1) | instid1(SALU_CYCLE_1)
	v_cmp_ge_u32_e64 s3, v50, v7
	s_or_b32 s6, s3, s6
	s_and_not1_b32 exec_lo, exec_lo, s6
	s_cbranch_execnz .LBB1749_29
; %bb.30:
	s_or_b32 exec_lo, exec_lo, s6
.LBB1749_31:
	s_delay_alu instid0(SALU_CYCLE_1) | instskip(SKIP_4) | instid1(VALU_DEP_4)
	s_or_b32 exec_lo, exec_lo, s4
	v_add_nc_u32_e32 v20, v33, v49
	v_dual_add_nc_u32 v26, 6, v5 :: v_dual_add_nc_u32 v22, v50, v48
	v_add_nc_u32_e32 v27, 0x800, v32
	v_dual_add_nc_u32 v7, 2, v5 :: v_dual_add_nc_u32 v25, 4, v5
	v_sub_nc_u32_e32 v23, v20, v50
	s_delay_alu instid0(VALU_DEP_4)
	v_cmp_le_u32_e64 s3, v22, v33
	v_add_nc_u32_e32 v24, 0x808, v32
	v_add_nc_u32_e32 v31, 0x810, v32
	;; [unrolled: 1-line block ×3, first 2 shown]
	v_cmp_le_u32_e64 s4, v23, v39
	s_or_b32 s3, s3, s4
	s_delay_alu instid0(SALU_CYCLE_1)
	s_and_saveexec_b32 s6, s3
	s_cbranch_execz .LBB1749_51
; %bb.32:
	v_cmp_ge_u32_e64 s3, v22, v33
	s_mov_b32 s10, exec_lo
                                        ; implicit-def: $vgpr20
	v_cmpx_lt_u32_e64 v22, v33
; %bb.33:
	v_lshl_add_u32 v12, v22, 1, v10
	ds_load_u16 v20, v12
; %bb.34:
	s_or_b32 exec_lo, exec_lo, s10
	v_cmp_ge_u32_e64 s10, v23, v39
	s_mov_b32 s11, exec_lo
                                        ; implicit-def: $vgpr21
	v_cmpx_lt_u32_e64 v23, v39
; %bb.35:
	v_lshl_add_u32 v12, v23, 1, v10
	ds_load_u16 v21, v12
; %bb.36:
	s_or_b32 exec_lo, exec_lo, s11
	s_nor_b32 s3, s3, s10
	s_delay_alu instid0(SALU_CYCLE_1)
	s_and_saveexec_b32 s4, s3
	s_cbranch_execz .LBB1749_38
; %bb.37:
	s_wait_dscnt 0x0
	v_add_f16_e32 v12, 0, v21
	v_add_f16_e32 v13, 0, v20
	s_and_not1_b32 s10, s10, exec_lo
	s_delay_alu instid0(VALU_DEP_2) | instskip(NEXT) | instid1(VALU_DEP_1)
	v_cmp_lt_i16_e64 s3, -1, v12
	v_cndmask_b32_e64 v14, -1, 0xffff8000, s3
	s_delay_alu instid0(VALU_DEP_3) | instskip(NEXT) | instid1(VALU_DEP_2)
	v_cmp_lt_i16_e64 s3, -1, v13
	v_xor_b32_e32 v12, v14, v12
	s_delay_alu instid0(VALU_DEP_2) | instskip(NEXT) | instid1(VALU_DEP_1)
	v_cndmask_b32_e64 v15, -1, 0xffff8000, s3
	v_xor_b32_e32 v13, v15, v13
	s_delay_alu instid0(VALU_DEP_1) | instskip(SKIP_1) | instid1(SALU_CYCLE_1)
	v_cmp_le_u16_e64 s3, v12, v13
	s_and_b32 s3, s3, exec_lo
	s_or_b32 s10, s10, s3
.LBB1749_38:
	s_or_b32 exec_lo, exec_lo, s4
	v_cndmask_b32_e64 v12, v23, v22, s10
	v_cndmask_b32_e64 v13, v39, v33, s10
	s_mov_b32 s11, -1
	s_mov_b32 s4, -1
	s_mov_b32 s12, exec_lo
	v_add_nc_u32_e32 v14, 1, v12
	s_delay_alu instid0(VALU_DEP_1) | instskip(SKIP_2) | instid1(VALU_DEP_3)
	v_add_min_u32_e64 v13, v13, -1, v14
	v_cndmask_b32_e64 v16, v14, v23, s10
	v_lshl_add_u32 v12, v12, 3, v6
	v_lshl_add_u32 v13, v13, 1, v10
	ds_load_u16 v15, v13
	ds_load_b64 v[12:13], v12 offset:2048
	s_wait_dscnt 0x1
	v_dual_cndmask_b32 v17, v22, v14, s10 :: v_dual_cndmask_b32 v22, v15, v21, s10
	v_cndmask_b32_e64 v23, v20, v15, s10
	v_cmpx_lt_u32_e64 v16, v39
	s_cbranch_execz .LBB1749_42
; %bb.39:
	s_mov_b32 s13, 0
	s_mov_b32 s4, exec_lo
	v_cmpx_lt_u32_e64 v17, v33
	s_cbranch_execz .LBB1749_41
; %bb.40:
	v_add_f16_e32 v14, 0, v22
	v_add_f16_e32 v15, 0, v23
	s_delay_alu instid0(VALU_DEP_2) | instskip(NEXT) | instid1(VALU_DEP_1)
	v_cmp_lt_i16_e64 s3, -1, v14
	v_cndmask_b32_e64 v18, -1, 0xffff8000, s3
	s_delay_alu instid0(VALU_DEP_3) | instskip(NEXT) | instid1(VALU_DEP_2)
	v_cmp_lt_i16_e64 s3, -1, v15
	v_xor_b32_e32 v14, v18, v14
	s_delay_alu instid0(VALU_DEP_2) | instskip(NEXT) | instid1(VALU_DEP_1)
	v_cndmask_b32_e64 v19, -1, 0xffff8000, s3
	v_xor_b32_e32 v15, v19, v15
	s_delay_alu instid0(VALU_DEP_1)
	v_cmp_le_u16_e64 s3, v14, v15
	s_and_b32 s13, s3, exec_lo
.LBB1749_41:
	s_or_b32 exec_lo, exec_lo, s4
	s_delay_alu instid0(SALU_CYCLE_1)
	s_or_not1_b32 s4, s13, exec_lo
.LBB1749_42:
	s_or_b32 exec_lo, exec_lo, s12
	v_cndmask_b32_e64 v14, v16, v17, s4
	v_cndmask_b32_e64 v15, v39, v33, s4
	s_mov_b32 s12, exec_lo
	s_delay_alu instid0(VALU_DEP_2) | instskip(NEXT) | instid1(VALU_DEP_1)
	v_add_nc_u32_e32 v19, 1, v14
	v_add_min_u32_e64 v15, v15, -1, v19
	v_cndmask_b32_e64 v18, v19, v16, s4
	v_lshl_add_u32 v14, v14, 3, v6
	s_delay_alu instid0(VALU_DEP_3)
	v_lshl_add_u32 v15, v15, 1, v10
	ds_load_u16 v36, v15
	ds_load_b64 v[14:15], v14 offset:2048
	s_wait_dscnt 0x1
	v_dual_cndmask_b32 v19, v17, v19, s4 :: v_dual_cndmask_b32 v35, v36, v22, s4
	v_cndmask_b32_e64 v36, v23, v36, s4
	v_cmpx_lt_u32_e64 v18, v39
	s_cbranch_execz .LBB1749_46
; %bb.43:
	s_mov_b32 s13, 0
	s_mov_b32 s11, exec_lo
	v_cmpx_lt_u32_e64 v19, v33
	s_cbranch_execz .LBB1749_45
; %bb.44:
	v_add_f16_e32 v16, 0, v35
	v_add_f16_e32 v17, 0, v36
	s_delay_alu instid0(VALU_DEP_2) | instskip(NEXT) | instid1(VALU_DEP_1)
	v_cmp_lt_i16_e64 s3, -1, v16
	v_cndmask_b32_e64 v37, -1, 0xffff8000, s3
	s_delay_alu instid0(VALU_DEP_3) | instskip(NEXT) | instid1(VALU_DEP_2)
	v_cmp_lt_i16_e64 s3, -1, v17
	v_xor_b32_e32 v16, v37, v16
	s_delay_alu instid0(VALU_DEP_2) | instskip(NEXT) | instid1(VALU_DEP_1)
	v_cndmask_b32_e64 v38, -1, 0xffff8000, s3
	v_xor_b32_e32 v17, v38, v17
	s_delay_alu instid0(VALU_DEP_1)
	v_cmp_le_u16_e64 s3, v16, v17
	s_and_b32 s13, s3, exec_lo
.LBB1749_45:
	s_or_b32 exec_lo, exec_lo, s11
	s_delay_alu instid0(SALU_CYCLE_1)
	s_or_not1_b32 s11, s13, exec_lo
.LBB1749_46:
	s_or_b32 exec_lo, exec_lo, s12
	v_dual_cndmask_b32 v16, v18, v19, s11 :: v_dual_cndmask_b32 v17, v39, v33, s11
	s_mov_b32 s13, -1
	s_mov_b32 s12, exec_lo
	s_delay_alu instid0(VALU_DEP_1) | instskip(SKIP_1) | instid1(VALU_DEP_2)
	v_add_nc_u32_e32 v37, 1, v16
	v_lshl_add_u32 v16, v16, 3, v6
	v_add_min_u32_e64 v17, v17, -1, v37
	s_delay_alu instid0(VALU_DEP_1)
	v_lshl_add_u32 v17, v17, 1, v10
	ds_load_u16 v38, v17
	ds_load_b64 v[16:17], v16 offset:2048
	s_wait_dscnt 0x1
	v_dual_cndmask_b32 v48, v38, v35, s11 :: v_dual_cndmask_b32 v18, v37, v18, s11
	v_dual_cndmask_b32 v19, v19, v37, s11 :: v_dual_cndmask_b32 v49, v36, v38, s11
	s_delay_alu instid0(VALU_DEP_2)
	v_cmpx_lt_u32_e64 v18, v39
	s_cbranch_execz .LBB1749_50
; %bb.47:
	s_mov_b32 s14, 0
	s_mov_b32 s13, exec_lo
	v_cmpx_lt_u32_e64 v19, v33
	s_cbranch_execz .LBB1749_49
; %bb.48:
	v_add_f16_e32 v33, 0, v48
	v_add_f16_e32 v37, 0, v49
	s_delay_alu instid0(VALU_DEP_2) | instskip(NEXT) | instid1(VALU_DEP_1)
	v_cmp_lt_i16_e64 s3, -1, v33
	v_cndmask_b32_e64 v38, -1, 0xffff8000, s3
	s_delay_alu instid0(VALU_DEP_3) | instskip(NEXT) | instid1(VALU_DEP_2)
	v_cmp_lt_i16_e64 s3, -1, v37
	v_xor_b32_e32 v33, v38, v33
	s_delay_alu instid0(VALU_DEP_2) | instskip(NEXT) | instid1(VALU_DEP_1)
	v_cndmask_b32_e64 v39, -1, 0xffff8000, s3
	v_xor_b32_e32 v37, v39, v37
	s_delay_alu instid0(VALU_DEP_1)
	v_cmp_le_u16_e64 s3, v33, v37
	s_and_b32 s14, s3, exec_lo
.LBB1749_49:
	s_or_b32 exec_lo, exec_lo, s13
	s_delay_alu instid0(SALU_CYCLE_1)
	s_or_not1_b32 s13, s14, exec_lo
.LBB1749_50:
	s_or_b32 exec_lo, exec_lo, s12
	s_delay_alu instid0(VALU_DEP_2) | instskip(SKIP_2) | instid1(VALU_DEP_3)
	v_dual_cndmask_b32 v18, v18, v19, s13 :: v_dual_cndmask_b32 v38, v35, v36, s11
	v_dual_cndmask_b32 v36, v22, v23, s4 :: v_dual_cndmask_b32 v37, v21, v20, s10
	v_cndmask_b32_e64 v35, v48, v49, s13
	v_lshl_add_u32 v18, v18, 3, v6
	ds_load_b64 v[18:19], v18 offset:2048
.LBB1749_51:
	s_or_b32 exec_lo, exec_lo, s6
	v_and_b32_e32 v48, 0x70, v34
	s_mov_b32 s4, exec_lo
	; wave barrier
	ds_store_b16 v5, v37
	ds_store_b64 v27, v[12:13]
	v_or_b32_e32 v20, 8, v48
	ds_store_b16 v7, v36
	ds_store_b64 v24, v[14:15]
	ds_store_b16 v25, v38
	s_wait_dscnt 0x6
	ds_store_b64 v31, v[16:17]
	ds_store_b16 v26, v35
	s_wait_dscnt 0x7
	ds_store_b64 v32, v[18:19]
	; wave barrier
	v_min_u32_e32 v33, v1, v20
	v_and_b32_e32 v20, 12, v34
	s_delay_alu instid0(VALU_DEP_2) | instskip(NEXT) | instid1(VALU_DEP_2)
	v_add_min_u32_e64 v39, v33, 8, v1
	v_min_u32_e32 v49, v1, v20
	s_delay_alu instid0(VALU_DEP_2) | instskip(NEXT) | instid1(VALU_DEP_1)
	v_dual_sub_nc_u32 v21, v33, v48 :: v_dual_sub_nc_u32 v20, v39, v33
	v_min_u32_e32 v51, v49, v21
	s_delay_alu instid0(VALU_DEP_2) | instskip(NEXT) | instid1(VALU_DEP_1)
	v_sub_nc_u32_e64 v50, v49, v20 clamp
	v_cmpx_lt_u32_e64 v50, v51
	s_cbranch_execz .LBB1749_55
; %bb.52:
	v_dual_mov_b32 v23, 0 :: v_dual_lshlrev_b32 v22, 1, v48
	s_mov_b32 s6, 0
	s_delay_alu instid0(VALU_DEP_1) | instskip(SKIP_1) | instid1(VALU_DEP_1)
	v_add_nc_u64_e32 v[20:21], v[10:11], v[22:23]
	v_lshlrev_b32_e32 v22, 1, v33
	v_add_nc_u64_e32 v[22:23], v[10:11], v[22:23]
.LBB1749_53:                            ; =>This Inner Loop Header: Depth=1
	v_add_nc_u32_e32 v21, v51, v50
	s_delay_alu instid0(VALU_DEP_1) | instskip(NEXT) | instid1(VALU_DEP_1)
	v_dual_lshrrev_b32 v23, 1, v21 :: v_dual_bitop2_b32 v21, -2, v21 bitop3:0x40
	v_xad_u32 v52, v23, -1, v49
	s_delay_alu instid0(VALU_DEP_2) | instskip(NEXT) | instid1(VALU_DEP_2)
	v_add_nc_u32_e32 v21, v20, v21
	v_lshl_add_u32 v52, v52, 1, v22
	ds_load_u16 v21, v21
	ds_load_u16 v52, v52
	s_wait_dscnt 0x1
	v_add_f16_e32 v21, 0, v21
	s_wait_dscnt 0x0
	v_add_f16_e32 v52, 0, v52
	s_delay_alu instid0(VALU_DEP_2) | instskip(NEXT) | instid1(VALU_DEP_1)
	v_cmp_lt_i16_e64 s3, -1, v21
	v_cndmask_b32_e64 v53, -1, 0xffff8000, s3
	s_delay_alu instid0(VALU_DEP_3) | instskip(NEXT) | instid1(VALU_DEP_2)
	v_cmp_lt_i16_e64 s3, -1, v52
	v_xor_b32_e32 v21, v53, v21
	s_delay_alu instid0(VALU_DEP_2) | instskip(NEXT) | instid1(VALU_DEP_1)
	v_cndmask_b32_e64 v54, -1, 0xffff8000, s3
	v_dual_add_nc_u32 v53, 1, v23 :: v_dual_bitop2_b32 v52, v54, v52 bitop3:0x14
	s_delay_alu instid0(VALU_DEP_1) | instskip(NEXT) | instid1(VALU_DEP_1)
	v_cmp_gt_u16_e64 s3, v52, v21
	v_dual_cndmask_b32 v51, v51, v23, s3 :: v_dual_cndmask_b32 v50, v53, v50, s3
	s_delay_alu instid0(VALU_DEP_1) | instskip(SKIP_1) | instid1(SALU_CYCLE_1)
	v_cmp_ge_u32_e64 s3, v50, v51
	s_or_b32 s6, s3, s6
	s_and_not1_b32 exec_lo, exec_lo, s6
	s_cbranch_execnz .LBB1749_53
; %bb.54:
	s_or_b32 exec_lo, exec_lo, s6
.LBB1749_55:
	s_delay_alu instid0(SALU_CYCLE_1) | instskip(SKIP_1) | instid1(VALU_DEP_1)
	s_or_b32 exec_lo, exec_lo, s4
	v_dual_add_nc_u32 v20, v33, v49 :: v_dual_add_nc_u32 v22, v50, v48
	v_sub_nc_u32_e32 v23, v20, v50
	s_delay_alu instid0(VALU_DEP_2) | instskip(NEXT) | instid1(VALU_DEP_2)
	v_cmp_le_u32_e64 s3, v22, v33
	v_cmp_le_u32_e64 s4, v23, v39
	s_or_b32 s3, s3, s4
	s_delay_alu instid0(SALU_CYCLE_1)
	s_and_saveexec_b32 s6, s3
	s_cbranch_execz .LBB1749_75
; %bb.56:
	v_cmp_ge_u32_e64 s3, v22, v33
	s_mov_b32 s10, exec_lo
                                        ; implicit-def: $vgpr20
	v_cmpx_lt_u32_e64 v22, v33
; %bb.57:
	v_lshl_add_u32 v12, v22, 1, v10
	ds_load_u16 v20, v12
; %bb.58:
	s_or_b32 exec_lo, exec_lo, s10
	v_cmp_ge_u32_e64 s10, v23, v39
	s_mov_b32 s11, exec_lo
                                        ; implicit-def: $vgpr21
	v_cmpx_lt_u32_e64 v23, v39
; %bb.59:
	v_lshl_add_u32 v12, v23, 1, v10
	ds_load_u16 v21, v12
; %bb.60:
	s_or_b32 exec_lo, exec_lo, s11
	s_nor_b32 s3, s3, s10
	s_delay_alu instid0(SALU_CYCLE_1)
	s_and_saveexec_b32 s4, s3
	s_cbranch_execz .LBB1749_62
; %bb.61:
	s_wait_dscnt 0x0
	v_add_f16_e32 v12, 0, v21
	v_add_f16_e32 v13, 0, v20
	s_and_not1_b32 s10, s10, exec_lo
	s_delay_alu instid0(VALU_DEP_2) | instskip(NEXT) | instid1(VALU_DEP_1)
	v_cmp_lt_i16_e64 s3, -1, v12
	v_cndmask_b32_e64 v14, -1, 0xffff8000, s3
	s_delay_alu instid0(VALU_DEP_3) | instskip(NEXT) | instid1(VALU_DEP_2)
	v_cmp_lt_i16_e64 s3, -1, v13
	v_xor_b32_e32 v12, v14, v12
	s_delay_alu instid0(VALU_DEP_2) | instskip(NEXT) | instid1(VALU_DEP_1)
	v_cndmask_b32_e64 v15, -1, 0xffff8000, s3
	v_xor_b32_e32 v13, v15, v13
	s_delay_alu instid0(VALU_DEP_1) | instskip(SKIP_1) | instid1(SALU_CYCLE_1)
	v_cmp_le_u16_e64 s3, v12, v13
	s_and_b32 s3, s3, exec_lo
	s_or_b32 s10, s10, s3
.LBB1749_62:
	s_or_b32 exec_lo, exec_lo, s4
	v_cndmask_b32_e64 v12, v23, v22, s10
	v_cndmask_b32_e64 v13, v39, v33, s10
	s_mov_b32 s11, -1
	s_mov_b32 s4, -1
	s_mov_b32 s12, exec_lo
	v_add_nc_u32_e32 v14, 1, v12
	s_delay_alu instid0(VALU_DEP_1) | instskip(SKIP_2) | instid1(VALU_DEP_3)
	v_add_min_u32_e64 v13, v13, -1, v14
	v_cndmask_b32_e64 v16, v14, v23, s10
	v_lshl_add_u32 v12, v12, 3, v6
	v_lshl_add_u32 v13, v13, 1, v10
	ds_load_u16 v15, v13
	ds_load_b64 v[12:13], v12 offset:2048
	s_wait_dscnt 0x1
	v_dual_cndmask_b32 v17, v22, v14, s10 :: v_dual_cndmask_b32 v22, v15, v21, s10
	v_cndmask_b32_e64 v23, v20, v15, s10
	v_cmpx_lt_u32_e64 v16, v39
	s_cbranch_execz .LBB1749_66
; %bb.63:
	s_mov_b32 s13, 0
	s_mov_b32 s4, exec_lo
	v_cmpx_lt_u32_e64 v17, v33
	s_cbranch_execz .LBB1749_65
; %bb.64:
	v_add_f16_e32 v14, 0, v22
	v_add_f16_e32 v15, 0, v23
	s_delay_alu instid0(VALU_DEP_2) | instskip(NEXT) | instid1(VALU_DEP_1)
	v_cmp_lt_i16_e64 s3, -1, v14
	v_cndmask_b32_e64 v18, -1, 0xffff8000, s3
	s_delay_alu instid0(VALU_DEP_3) | instskip(NEXT) | instid1(VALU_DEP_2)
	v_cmp_lt_i16_e64 s3, -1, v15
	v_xor_b32_e32 v14, v18, v14
	s_delay_alu instid0(VALU_DEP_2) | instskip(NEXT) | instid1(VALU_DEP_1)
	v_cndmask_b32_e64 v19, -1, 0xffff8000, s3
	v_xor_b32_e32 v15, v19, v15
	s_delay_alu instid0(VALU_DEP_1)
	v_cmp_le_u16_e64 s3, v14, v15
	s_and_b32 s13, s3, exec_lo
.LBB1749_65:
	s_or_b32 exec_lo, exec_lo, s4
	s_delay_alu instid0(SALU_CYCLE_1)
	s_or_not1_b32 s4, s13, exec_lo
.LBB1749_66:
	s_or_b32 exec_lo, exec_lo, s12
	v_cndmask_b32_e64 v14, v16, v17, s4
	v_cndmask_b32_e64 v15, v39, v33, s4
	s_mov_b32 s12, exec_lo
	s_delay_alu instid0(VALU_DEP_2) | instskip(NEXT) | instid1(VALU_DEP_1)
	v_add_nc_u32_e32 v19, 1, v14
	v_add_min_u32_e64 v15, v15, -1, v19
	v_cndmask_b32_e64 v18, v19, v16, s4
	v_lshl_add_u32 v14, v14, 3, v6
	s_delay_alu instid0(VALU_DEP_3)
	v_lshl_add_u32 v15, v15, 1, v10
	ds_load_u16 v36, v15
	ds_load_b64 v[14:15], v14 offset:2048
	s_wait_dscnt 0x1
	v_dual_cndmask_b32 v19, v17, v19, s4 :: v_dual_cndmask_b32 v35, v36, v22, s4
	v_cndmask_b32_e64 v36, v23, v36, s4
	v_cmpx_lt_u32_e64 v18, v39
	s_cbranch_execz .LBB1749_70
; %bb.67:
	s_mov_b32 s13, 0
	s_mov_b32 s11, exec_lo
	v_cmpx_lt_u32_e64 v19, v33
	s_cbranch_execz .LBB1749_69
; %bb.68:
	v_add_f16_e32 v16, 0, v35
	v_add_f16_e32 v17, 0, v36
	s_delay_alu instid0(VALU_DEP_2) | instskip(NEXT) | instid1(VALU_DEP_1)
	v_cmp_lt_i16_e64 s3, -1, v16
	v_cndmask_b32_e64 v37, -1, 0xffff8000, s3
	s_delay_alu instid0(VALU_DEP_3) | instskip(NEXT) | instid1(VALU_DEP_2)
	v_cmp_lt_i16_e64 s3, -1, v17
	v_xor_b32_e32 v16, v37, v16
	s_delay_alu instid0(VALU_DEP_2) | instskip(NEXT) | instid1(VALU_DEP_1)
	v_cndmask_b32_e64 v38, -1, 0xffff8000, s3
	v_xor_b32_e32 v17, v38, v17
	s_delay_alu instid0(VALU_DEP_1)
	v_cmp_le_u16_e64 s3, v16, v17
	s_and_b32 s13, s3, exec_lo
.LBB1749_69:
	s_or_b32 exec_lo, exec_lo, s11
	s_delay_alu instid0(SALU_CYCLE_1)
	s_or_not1_b32 s11, s13, exec_lo
.LBB1749_70:
	s_or_b32 exec_lo, exec_lo, s12
	v_dual_cndmask_b32 v16, v18, v19, s11 :: v_dual_cndmask_b32 v17, v39, v33, s11
	s_mov_b32 s13, -1
	s_mov_b32 s12, exec_lo
	s_delay_alu instid0(VALU_DEP_1) | instskip(SKIP_1) | instid1(VALU_DEP_2)
	v_add_nc_u32_e32 v37, 1, v16
	v_lshl_add_u32 v16, v16, 3, v6
	v_add_min_u32_e64 v17, v17, -1, v37
	s_delay_alu instid0(VALU_DEP_1)
	v_lshl_add_u32 v17, v17, 1, v10
	ds_load_u16 v38, v17
	ds_load_b64 v[16:17], v16 offset:2048
	s_wait_dscnt 0x1
	v_dual_cndmask_b32 v48, v38, v35, s11 :: v_dual_cndmask_b32 v18, v37, v18, s11
	v_dual_cndmask_b32 v19, v19, v37, s11 :: v_dual_cndmask_b32 v49, v36, v38, s11
	s_delay_alu instid0(VALU_DEP_2)
	v_cmpx_lt_u32_e64 v18, v39
	s_cbranch_execz .LBB1749_74
; %bb.71:
	s_mov_b32 s14, 0
	s_mov_b32 s13, exec_lo
	v_cmpx_lt_u32_e64 v19, v33
	s_cbranch_execz .LBB1749_73
; %bb.72:
	v_add_f16_e32 v33, 0, v48
	v_add_f16_e32 v37, 0, v49
	s_delay_alu instid0(VALU_DEP_2) | instskip(NEXT) | instid1(VALU_DEP_1)
	v_cmp_lt_i16_e64 s3, -1, v33
	v_cndmask_b32_e64 v38, -1, 0xffff8000, s3
	s_delay_alu instid0(VALU_DEP_3) | instskip(NEXT) | instid1(VALU_DEP_2)
	v_cmp_lt_i16_e64 s3, -1, v37
	v_xor_b32_e32 v33, v38, v33
	s_delay_alu instid0(VALU_DEP_2) | instskip(NEXT) | instid1(VALU_DEP_1)
	v_cndmask_b32_e64 v39, -1, 0xffff8000, s3
	v_xor_b32_e32 v37, v39, v37
	s_delay_alu instid0(VALU_DEP_1)
	v_cmp_le_u16_e64 s3, v33, v37
	s_and_b32 s14, s3, exec_lo
.LBB1749_73:
	s_or_b32 exec_lo, exec_lo, s13
	s_delay_alu instid0(SALU_CYCLE_1)
	s_or_not1_b32 s13, s14, exec_lo
.LBB1749_74:
	s_or_b32 exec_lo, exec_lo, s12
	s_delay_alu instid0(VALU_DEP_2) | instskip(SKIP_2) | instid1(VALU_DEP_3)
	v_dual_cndmask_b32 v18, v18, v19, s13 :: v_dual_cndmask_b32 v38, v35, v36, s11
	v_dual_cndmask_b32 v36, v22, v23, s4 :: v_dual_cndmask_b32 v37, v21, v20, s10
	v_cndmask_b32_e64 v35, v48, v49, s13
	v_lshl_add_u32 v18, v18, 3, v6
	ds_load_b64 v[18:19], v18 offset:2048
.LBB1749_75:
	s_or_b32 exec_lo, exec_lo, s6
	v_and_b32_e32 v39, 0x60, v34
	; wave barrier
	ds_store_b16 v5, v37
	ds_store_b64 v27, v[12:13]
	s_mov_b32 s4, exec_lo
	v_or_b32_e32 v20, 16, v39
	ds_store_b16 v7, v36
	ds_store_b64 v24, v[14:15]
	ds_store_b16 v25, v38
	s_wait_dscnt 0x6
	ds_store_b64 v31, v[16:17]
	ds_store_b16 v26, v35
	s_wait_dscnt 0x7
	ds_store_b64 v32, v[18:19]
	; wave barrier
	v_min_u32_e32 v33, v1, v20
	s_delay_alu instid0(VALU_DEP_1) | instskip(SKIP_1) | instid1(VALU_DEP_2)
	v_add_min_u32_e64 v34, v33, 16, v1
	v_min_u32_e32 v1, v1, v30
	v_dual_sub_nc_u32 v21, v33, v39 :: v_dual_sub_nc_u32 v20, v34, v33
	s_delay_alu instid0(VALU_DEP_1) | instskip(NEXT) | instid1(VALU_DEP_2)
	v_min_u32_e32 v27, v1, v21
	v_sub_nc_u32_e64 v5, v1, v20 clamp
	s_delay_alu instid0(VALU_DEP_1)
	v_cmpx_lt_u32_e64 v5, v27
	s_cbranch_execz .LBB1749_79
; %bb.76:
	v_dual_mov_b32 v23, 0 :: v_dual_lshlrev_b32 v22, 1, v39
	s_mov_b32 s6, 0
	s_delay_alu instid0(VALU_DEP_1) | instskip(SKIP_1) | instid1(VALU_DEP_1)
	v_add_nc_u64_e32 v[20:21], v[10:11], v[22:23]
	v_lshlrev_b32_e32 v22, 1, v33
	v_add_nc_u64_e32 v[22:23], v[10:11], v[22:23]
.LBB1749_77:                            ; =>This Inner Loop Header: Depth=1
	v_add_nc_u32_e32 v7, v27, v5
	s_delay_alu instid0(VALU_DEP_1) | instskip(NEXT) | instid1(VALU_DEP_1)
	v_dual_lshrrev_b32 v11, 1, v7 :: v_dual_bitop2_b32 v7, -2, v7 bitop3:0x40
	v_xad_u32 v21, v11, -1, v1
	s_delay_alu instid0(VALU_DEP_2) | instskip(NEXT) | instid1(VALU_DEP_2)
	v_add_nc_u32_e32 v7, v20, v7
	v_lshl_add_u32 v21, v21, 1, v22
	ds_load_u16 v7, v7
	ds_load_u16 v21, v21
	s_wait_dscnt 0x1
	v_add_f16_e32 v7, 0, v7
	s_wait_dscnt 0x0
	v_add_f16_e32 v21, 0, v21
	s_delay_alu instid0(VALU_DEP_2) | instskip(NEXT) | instid1(VALU_DEP_1)
	v_cmp_lt_i16_e64 s3, -1, v7
	v_cndmask_b32_e64 v23, -1, 0xffff8000, s3
	s_delay_alu instid0(VALU_DEP_3) | instskip(NEXT) | instid1(VALU_DEP_2)
	v_cmp_lt_i16_e64 s3, -1, v21
	v_xor_b32_e32 v7, v23, v7
	s_delay_alu instid0(VALU_DEP_2) | instskip(NEXT) | instid1(VALU_DEP_1)
	v_cndmask_b32_e64 v24, -1, 0xffff8000, s3
	v_dual_add_nc_u32 v23, 1, v11 :: v_dual_bitop2_b32 v21, v24, v21 bitop3:0x14
	s_delay_alu instid0(VALU_DEP_1) | instskip(NEXT) | instid1(VALU_DEP_1)
	v_cmp_gt_u16_e64 s3, v21, v7
	v_cndmask_b32_e64 v27, v27, v11, s3
	s_delay_alu instid0(VALU_DEP_3) | instskip(NEXT) | instid1(VALU_DEP_1)
	v_cndmask_b32_e64 v5, v23, v5, s3
	v_cmp_ge_u32_e64 s3, v5, v27
	s_or_b32 s6, s3, s6
	s_delay_alu instid0(SALU_CYCLE_1)
	s_and_not1_b32 exec_lo, exec_lo, s6
	s_cbranch_execnz .LBB1749_77
; %bb.78:
	s_or_b32 exec_lo, exec_lo, s6
.LBB1749_79:
	s_delay_alu instid0(SALU_CYCLE_1) | instskip(SKIP_2) | instid1(VALU_DEP_2)
	s_or_b32 exec_lo, exec_lo, s4
	v_add_nc_u32_e32 v1, v33, v1
	v_add_nc_u32_e32 v7, v5, v39
	v_sub_nc_u32_e32 v11, v1, v5
	s_delay_alu instid0(VALU_DEP_2) | instskip(NEXT) | instid1(VALU_DEP_2)
	v_cmp_le_u32_e64 s3, v7, v33
	v_cmp_le_u32_e64 s4, v11, v34
	s_or_b32 s3, s3, s4
	s_delay_alu instid0(SALU_CYCLE_1)
	s_and_saveexec_b32 s6, s3
	s_cbranch_execz .LBB1749_99
; %bb.80:
	v_cmp_ge_u32_e64 s3, v7, v33
	s_mov_b32 s10, exec_lo
                                        ; implicit-def: $vgpr1
	v_cmpx_lt_u32_e64 v7, v33
; %bb.81:
	v_lshl_add_u32 v1, v7, 1, v10
	ds_load_u16 v1, v1
; %bb.82:
	s_or_b32 exec_lo, exec_lo, s10
	v_cmp_ge_u32_e64 s10, v11, v34
	s_mov_b32 s11, exec_lo
                                        ; implicit-def: $vgpr5
	v_cmpx_lt_u32_e64 v11, v34
; %bb.83:
	v_lshl_add_u32 v5, v11, 1, v10
	ds_load_u16 v5, v5
; %bb.84:
	s_or_b32 exec_lo, exec_lo, s11
	s_nor_b32 s3, s3, s10
	s_delay_alu instid0(SALU_CYCLE_1)
	s_and_saveexec_b32 s4, s3
	s_cbranch_execz .LBB1749_86
; %bb.85:
	s_wait_dscnt 0x0
	v_add_f16_e32 v12, 0, v5
	v_add_f16_e32 v13, 0, v1
	s_and_not1_b32 s10, s10, exec_lo
	s_delay_alu instid0(VALU_DEP_2) | instskip(NEXT) | instid1(VALU_DEP_1)
	v_cmp_lt_i16_e64 s3, -1, v12
	v_cndmask_b32_e64 v14, -1, 0xffff8000, s3
	s_delay_alu instid0(VALU_DEP_3) | instskip(NEXT) | instid1(VALU_DEP_2)
	v_cmp_lt_i16_e64 s3, -1, v13
	v_xor_b32_e32 v12, v14, v12
	s_delay_alu instid0(VALU_DEP_2) | instskip(NEXT) | instid1(VALU_DEP_1)
	v_cndmask_b32_e64 v15, -1, 0xffff8000, s3
	v_xor_b32_e32 v13, v15, v13
	s_delay_alu instid0(VALU_DEP_1) | instskip(SKIP_1) | instid1(SALU_CYCLE_1)
	v_cmp_le_u16_e64 s3, v12, v13
	s_and_b32 s3, s3, exec_lo
	s_or_b32 s10, s10, s3
.LBB1749_86:
	s_or_b32 exec_lo, exec_lo, s4
	v_dual_cndmask_b32 v12, v11, v7, s10 :: v_dual_cndmask_b32 v13, v34, v33, s10
	s_mov_b32 s11, -1
	s_mov_b32 s4, -1
	s_mov_b32 s12, exec_lo
	s_delay_alu instid0(VALU_DEP_1) | instskip(SKIP_1) | instid1(VALU_DEP_2)
	v_add_nc_u32_e32 v14, 1, v12
	v_lshl_add_u32 v12, v12, 3, v6
	v_add_min_u32_e64 v13, v13, -1, v14
	s_delay_alu instid0(VALU_DEP_1)
	v_lshl_add_u32 v13, v13, 1, v10
	ds_load_u16 v15, v13
	ds_load_b64 v[12:13], v12 offset:2048
	v_cndmask_b32_e64 v17, v7, v14, s10
	s_wait_dscnt 0x1
	v_dual_cndmask_b32 v7, v15, v5, s10 :: v_dual_cndmask_b32 v16, v14, v11, s10
	v_cndmask_b32_e64 v11, v1, v15, s10
	s_delay_alu instid0(VALU_DEP_2)
	v_cmpx_lt_u32_e64 v16, v34
	s_cbranch_execz .LBB1749_90
; %bb.87:
	s_mov_b32 s13, 0
	s_mov_b32 s4, exec_lo
	v_cmpx_lt_u32_e64 v17, v33
	s_cbranch_execz .LBB1749_89
; %bb.88:
	v_add_f16_e32 v14, 0, v7
	v_add_f16_e32 v15, 0, v11
	s_delay_alu instid0(VALU_DEP_2) | instskip(NEXT) | instid1(VALU_DEP_1)
	v_cmp_lt_i16_e64 s3, -1, v14
	v_cndmask_b32_e64 v18, -1, 0xffff8000, s3
	s_delay_alu instid0(VALU_DEP_3) | instskip(NEXT) | instid1(VALU_DEP_2)
	v_cmp_lt_i16_e64 s3, -1, v15
	v_xor_b32_e32 v14, v18, v14
	s_delay_alu instid0(VALU_DEP_2) | instskip(NEXT) | instid1(VALU_DEP_1)
	v_cndmask_b32_e64 v19, -1, 0xffff8000, s3
	v_xor_b32_e32 v15, v19, v15
	s_delay_alu instid0(VALU_DEP_1)
	v_cmp_le_u16_e64 s3, v14, v15
	s_and_b32 s13, s3, exec_lo
.LBB1749_89:
	s_or_b32 exec_lo, exec_lo, s4
	s_delay_alu instid0(SALU_CYCLE_1)
	s_or_not1_b32 s4, s13, exec_lo
.LBB1749_90:
	s_or_b32 exec_lo, exec_lo, s12
	v_cndmask_b32_e64 v14, v16, v17, s4
	v_cndmask_b32_e64 v15, v34, v33, s4
	s_mov_b32 s12, exec_lo
	s_delay_alu instid0(VALU_DEP_2) | instskip(NEXT) | instid1(VALU_DEP_1)
	v_add_nc_u32_e32 v19, 1, v14
	v_add_min_u32_e64 v15, v15, -1, v19
	v_cndmask_b32_e64 v18, v19, v16, s4
	v_lshl_add_u32 v14, v14, 3, v6
	s_delay_alu instid0(VALU_DEP_3)
	v_lshl_add_u32 v15, v15, 1, v10
	ds_load_u16 v21, v15
	ds_load_b64 v[14:15], v14 offset:2048
	v_cndmask_b32_e64 v19, v17, v19, s4
	s_wait_dscnt 0x1
	v_dual_cndmask_b32 v20, v21, v7, s4 :: v_dual_cndmask_b32 v21, v11, v21, s4
	v_cmpx_lt_u32_e64 v18, v34
	s_cbranch_execz .LBB1749_94
; %bb.91:
	s_mov_b32 s13, 0
	s_mov_b32 s11, exec_lo
	v_cmpx_lt_u32_e64 v19, v33
	s_cbranch_execz .LBB1749_93
; %bb.92:
	v_add_f16_e32 v16, 0, v20
	v_add_f16_e32 v17, 0, v21
	s_delay_alu instid0(VALU_DEP_2) | instskip(NEXT) | instid1(VALU_DEP_1)
	v_cmp_lt_i16_e64 s3, -1, v16
	v_cndmask_b32_e64 v22, -1, 0xffff8000, s3
	s_delay_alu instid0(VALU_DEP_3) | instskip(NEXT) | instid1(VALU_DEP_2)
	v_cmp_lt_i16_e64 s3, -1, v17
	v_xor_b32_e32 v16, v22, v16
	s_delay_alu instid0(VALU_DEP_2) | instskip(NEXT) | instid1(VALU_DEP_1)
	v_cndmask_b32_e64 v23, -1, 0xffff8000, s3
	v_xor_b32_e32 v17, v23, v17
	s_delay_alu instid0(VALU_DEP_1)
	v_cmp_le_u16_e64 s3, v16, v17
	s_and_b32 s13, s3, exec_lo
.LBB1749_93:
	s_or_b32 exec_lo, exec_lo, s11
	s_delay_alu instid0(SALU_CYCLE_1)
	s_or_not1_b32 s11, s13, exec_lo
.LBB1749_94:
	s_or_b32 exec_lo, exec_lo, s12
	v_cndmask_b32_e64 v16, v18, v19, s11
	v_cndmask_b32_e64 v17, v34, v33, s11
	s_mov_b32 s13, -1
	s_mov_b32 s12, exec_lo
	s_delay_alu instid0(VALU_DEP_2) | instskip(NEXT) | instid1(VALU_DEP_1)
	v_add_nc_u32_e32 v22, 1, v16
	v_add_min_u32_e64 v17, v17, -1, v22
	v_cndmask_b32_e64 v19, v19, v22, s11
	s_delay_alu instid0(VALU_DEP_2)
	v_lshl_add_u32 v10, v17, 1, v10
	ds_load_u16 v23, v10
	v_lshl_add_u32 v10, v16, 3, v6
	v_cndmask_b32_e64 v18, v22, v18, s11
	ds_load_b64 v[16:17], v10 offset:2048
	s_wait_dscnt 0x1
	v_dual_cndmask_b32 v10, v23, v20, s11 :: v_dual_cndmask_b32 v22, v21, v23, s11
	v_cmpx_lt_u32_e64 v18, v34
	s_cbranch_execz .LBB1749_98
; %bb.95:
	s_mov_b32 s14, 0
	s_mov_b32 s13, exec_lo
	v_cmpx_lt_u32_e64 v19, v33
	s_cbranch_execz .LBB1749_97
; %bb.96:
	v_add_f16_e32 v23, 0, v10
	v_add_f16_e32 v24, 0, v22
	s_delay_alu instid0(VALU_DEP_2) | instskip(NEXT) | instid1(VALU_DEP_1)
	v_cmp_lt_i16_e64 s3, -1, v23
	v_cndmask_b32_e64 v25, -1, 0xffff8000, s3
	s_delay_alu instid0(VALU_DEP_3) | instskip(NEXT) | instid1(VALU_DEP_2)
	v_cmp_lt_i16_e64 s3, -1, v24
	v_xor_b32_e32 v23, v25, v23
	s_delay_alu instid0(VALU_DEP_2) | instskip(NEXT) | instid1(VALU_DEP_1)
	v_cndmask_b32_e64 v26, -1, 0xffff8000, s3
	v_xor_b32_e32 v24, v26, v24
	s_delay_alu instid0(VALU_DEP_1)
	v_cmp_le_u16_e64 s3, v23, v24
	s_and_b32 s14, s3, exec_lo
.LBB1749_97:
	s_or_b32 exec_lo, exec_lo, s13
	s_delay_alu instid0(SALU_CYCLE_1)
	s_or_not1_b32 s13, s14, exec_lo
.LBB1749_98:
	s_or_b32 exec_lo, exec_lo, s12
	v_dual_cndmask_b32 v18, v18, v19, s13 :: v_dual_cndmask_b32 v38, v20, v21, s11
	v_dual_cndmask_b32 v36, v7, v11, s4 :: v_dual_cndmask_b32 v37, v5, v1, s10
	v_cndmask_b32_e64 v35, v10, v22, s13
	s_delay_alu instid0(VALU_DEP_3)
	v_lshl_add_u32 v6, v18, 3, v6
	ds_load_b64 v[18:19], v6 offset:2048
.LBB1749_99:
	s_or_b32 exec_lo, exec_lo, s6
	v_lshl_add_u64 v[2:3], v[28:29], 1, v[2:3]
	v_mov_b32_e32 v1, 0
	; wave barrier
	s_wait_storecnt_dscnt 0x0
	s_barrier_signal -1
	s_delay_alu instid0(VALU_DEP_1)
	v_add_nc_u64_e32 v[0:1], v[2:3], v[0:1]
	s_barrier_wait -1
	; wave barrier
	s_and_saveexec_b32 s3, vcc_lo
	s_cbranch_execnz .LBB1749_218
; %bb.100:
	s_or_b32 exec_lo, exec_lo, s3
	s_and_saveexec_b32 s3, s0
	s_cbranch_execnz .LBB1749_219
.LBB1749_101:
	s_or_b32 exec_lo, exec_lo, s3
	s_and_saveexec_b32 s3, s1
	s_cbranch_execnz .LBB1749_220
.LBB1749_102:
	s_or_b32 exec_lo, exec_lo, s3
	s_and_saveexec_b32 s3, s2
	s_cbranch_execz .LBB1749_104
.LBB1749_103:
	flat_store_b16 v[0:1], v35 offset:6
.LBB1749_104:
	s_wait_xcnt 0x0
	s_or_b32 exec_lo, exec_lo, s3
	v_lshl_add_u64 v[0:1], v[28:29], 3, v[8:9]
	v_mov_b32_e32 v5, 0
	; wave barrier
	s_delay_alu instid0(VALU_DEP_1)
	v_add_nc_u64_e32 v[0:1], v[0:1], v[4:5]
	s_and_saveexec_b32 s3, vcc_lo
	s_cbranch_execnz .LBB1749_221
; %bb.105:
	s_or_b32 exec_lo, exec_lo, s3
	s_and_saveexec_b32 s3, s0
	s_cbranch_execnz .LBB1749_222
.LBB1749_106:
	s_or_b32 exec_lo, exec_lo, s3
	s_and_saveexec_b32 s0, s1
	s_cbranch_execz .LBB1749_108
.LBB1749_107:
	flat_store_b64 v[0:1], v[16:17] offset:16
.LBB1749_108:
	s_wait_xcnt 0x0
	s_or_b32 exec_lo, exec_lo, s0
	s_delay_alu instid0(SALU_CYCLE_1)
	s_and_b32 s6, s2, exec_lo
                                        ; implicit-def: $vgpr22
                                        ; implicit-def: $vgpr34
                                        ; implicit-def: $vgpr20_vgpr21
                                        ; implicit-def: $vgpr4
                                        ; implicit-def: $vgpr10
                                        ; implicit-def: $vgpr0
                                        ; implicit-def: $vgpr31
                                        ; implicit-def: $vgpr6_vgpr7
                                        ; implicit-def: $vgpr32_vgpr33
	s_and_not1_saveexec_b32 s7, s7
	s_cbranch_execz .LBB1749_2
.LBB1749_109:
	v_dual_mov_b32 v36, 0xffff :: v_dual_mov_b32 v37, 0xffff
	s_and_saveexec_b32 s0, vcc_lo
	s_cbranch_execz .LBB1749_111
; %bb.110:
	flat_load_u16 v37, v[20:21]
.LBB1749_111:
	s_wait_xcnt 0x0
	s_or_b32 exec_lo, exec_lo, s0
	v_or_b32_e32 v1, 1, v30
	s_delay_alu instid0(VALU_DEP_1)
	v_cmp_lt_u32_e64 s0, v1, v22
	s_and_saveexec_b32 s1, s0
	s_cbranch_execz .LBB1749_113
; %bb.112:
	flat_load_u16 v36, v[20:21] offset:2
.LBB1749_113:
	s_wait_xcnt 0x0
	s_or_b32 exec_lo, exec_lo, s1
	v_or_b32_e32 v1, 2, v30
	v_dual_mov_b32 v35, 0xffff :: v_dual_mov_b32 v38, 0xffff
	s_delay_alu instid0(VALU_DEP_2)
	v_cmp_lt_u32_e64 s2, v1, v22
	s_and_saveexec_b32 s1, s2
	s_cbranch_execz .LBB1749_115
; %bb.114:
	flat_load_u16 v38, v[20:21] offset:4
.LBB1749_115:
	s_wait_xcnt 0x0
	s_or_b32 exec_lo, exec_lo, s1
	v_or_b32_e32 v1, 3, v30
	s_delay_alu instid0(VALU_DEP_1)
	v_cmp_lt_u32_e64 s1, v1, v22
	s_and_saveexec_b32 s3, s1
	s_cbranch_execz .LBB1749_117
; %bb.116:
	flat_load_u16 v35, v[20:21] offset:6
.LBB1749_117:
	s_wait_xcnt 0x0
	s_or_b32 exec_lo, exec_lo, s3
	v_lshl_add_u64 v[6:7], v[28:29], 3, v[6:7]
	v_dual_mov_b32 v3, 0 :: v_dual_lshlrev_b32 v2, 3, v30
	; wave barrier
	s_delay_alu instid0(VALU_DEP_1)
	v_add_nc_u64_e32 v[6:7], v[6:7], v[2:3]
	v_dual_mov_b32 v12, v3 :: v_dual_mov_b32 v13, v3
	v_dual_mov_b32 v14, v3 :: v_dual_mov_b32 v15, v3
	;; [unrolled: 1-line block ×4, first 2 shown]
	s_and_saveexec_b32 s3, vcc_lo
	s_cbranch_execnz .LBB1749_223
; %bb.118:
	s_or_b32 exec_lo, exec_lo, s3
	s_and_saveexec_b32 s3, s0
	s_cbranch_execnz .LBB1749_224
.LBB1749_119:
	s_or_b32 exec_lo, exec_lo, s3
	s_and_saveexec_b32 s3, s2
	s_cbranch_execnz .LBB1749_225
.LBB1749_120:
	s_or_b32 exec_lo, exec_lo, s3
	s_and_saveexec_b32 s3, s1
	s_cbranch_execz .LBB1749_122
.LBB1749_121:
	flat_load_b64 v[18:19], v[6:7] offset:24
.LBB1749_122:
	s_wait_xcnt 0x0
	s_or_b32 exec_lo, exec_lo, s3
	; wave barrier
	s_load_b64 s[10:11], s[8:9], 0x0
	s_bfe_u32 s4, ttmp6, 0x4000c
	s_bfe_u32 s13, ttmp6, 0x40010
	s_and_b32 s12, ttmp7, 0xffff
	s_add_co_i32 s4, s4, 1
	s_add_co_i32 s13, s13, 1
	s_and_b32 s3, ttmp6, 15
	s_bfe_u32 s14, ttmp6, 0x40004
	s_mul_i32 s4, ttmp9, s4
	s_mul_i32 s13, s12, s13
	s_add_co_i32 s3, s3, s4
	s_add_co_i32 s14, s14, s13
	s_cmp_eq_u32 s5, 0
	v_bfe_u32 v1, v31, 10, 10
	s_cselect_b32 s3, ttmp9, s3
	s_cselect_b32 s5, s12, s14
	v_bfe_u32 v3, v31, 20, 10
	s_wait_kmcnt 0x0
	s_cmp_lt_u32 s3, s10
	s_cselect_b32 s4, 12, 18
	s_cmp_lt_u32 s5, s11
	s_mov_b32 s5, 0
	s_cselect_b32 s10, 14, 20
	s_mov_b32 s11, s5
	s_add_nc_u64 s[4:5], s[8:9], s[4:5]
	s_add_nc_u64 s[10:11], s[8:9], s[10:11]
	s_load_u16 s4, s[4:5], 0x0
	s_wait_xcnt 0x0
	s_mov_b32 s5, exec_lo
	s_load_u16 s3, s[10:11], 0x0
	s_wait_kmcnt 0x0
	v_mad_u32_u24 v1, v3, s3, v1
	v_and_b32_e32 v3, 0x3ff, v31
	s_delay_alu instid0(VALU_DEP_2) | instskip(NEXT) | instid1(VALU_DEP_1)
	v_mul_lo_u32 v1, v1, s4
	v_add_lshl_u32 v1, v1, v3, 2
	s_delay_alu instid0(VALU_DEP_1)
	v_cmpx_gt_u32_e32 0x400, v1
	s_cbranch_execz .LBB1749_132
; %bb.123:
	s_wait_loadcnt_dscnt 0x0
	v_add_f16_e32 v3, 0, v36
	v_add_f16_e32 v6, 0, v37
	v_add_f16_e32 v8, 0, v35
	v_add_f16_e32 v7, 0, v38
	v_mov_b64_e32 v[24:25], v[16:17]
	v_cmp_lt_i16_e64 s3, -1, v3
	v_mov_b64_e32 v[26:27], v[18:19]
	s_mov_b32 s8, exec_lo
	v_cndmask_b32_e64 v9, -1, 0xffff8000, s3
	v_cmp_lt_i16_e64 s3, -1, v6
	s_delay_alu instid0(VALU_DEP_2) | instskip(NEXT) | instid1(VALU_DEP_2)
	v_xor_b32_e32 v3, v9, v3
	v_cndmask_b32_e64 v20, -1, 0xffff8000, s3
	v_cmp_lt_i16_e64 s3, -1, v8
	s_delay_alu instid0(VALU_DEP_2) | instskip(NEXT) | instid1(VALU_DEP_2)
	v_xor_b32_e32 v6, v20, v6
	v_cndmask_b32_e64 v9, -1, 0xffff8000, s3
	v_cmp_lt_i16_e64 s3, -1, v7
	s_delay_alu instid0(VALU_DEP_1) | instskip(NEXT) | instid1(VALU_DEP_4)
	v_cndmask_b32_e64 v20, -1, 0xffff8000, s3
	v_cmp_gt_u16_e64 s3, v3, v6
	s_delay_alu instid0(VALU_DEP_4) | instskip(NEXT) | instid1(VALU_DEP_2)
	v_dual_mov_b32 v3, v38 :: v_dual_bitop2_b32 v9, v9, v8 bitop3:0x14
	v_dual_cndmask_b32 v23, v15, v13, s3 :: v_dual_bitop2_b32 v6, v20, v7 bitop3:0x14
	v_dual_cndmask_b32 v22, v14, v12, s3 :: v_dual_cndmask_b32 v21, v13, v15, s3
	v_cndmask_b32_e64 v20, v12, v14, s3
	s_delay_alu instid0(VALU_DEP_3)
	v_cmpx_gt_u16_e64 v9, v6
; %bb.124:
	v_mov_b64_e32 v[24:25], v[18:19]
	v_mov_b64_e32 v[26:27], v[16:17]
	v_dual_mov_b32 v7, v8 :: v_dual_mov_b32 v6, v9
	v_dual_mov_b32 v3, v35 :: v_dual_mov_b32 v35, v38
; %bb.125:
	s_or_b32 exec_lo, exec_lo, s8
	v_cndmask_b32_e64 v12, v36, v37, s3
	s_delay_alu instid0(VALU_DEP_1) | instskip(NEXT) | instid1(VALU_DEP_1)
	v_add_f16_e32 v8, 0, v12
	v_cmp_lt_i16_e64 s4, -1, v8
	s_delay_alu instid0(VALU_DEP_1) | instskip(NEXT) | instid1(VALU_DEP_1)
	v_cndmask_b32_e64 v9, -1, 0xffff8000, s4
	v_dual_mov_b32 v9, v7 :: v_dual_bitop2_b32 v13, v9, v8 bitop3:0x14
	s_delay_alu instid0(VALU_DEP_1) | instskip(SKIP_2) | instid1(SALU_CYCLE_1)
	v_cmp_gt_u16_e64 s4, v6, v13
	v_mov_b32_e32 v6, v12
	s_and_saveexec_b32 s8, s4
	s_xor_b32 s4, exec_lo, s8
	s_cbranch_execz .LBB1749_127
; %bb.126:
	v_mov_b64_e32 v[14:15], v[20:21]
	v_mov_b64_e32 v[16:17], v[22:23]
	v_mov_b64_e32 v[18:19], v[24:25]
	v_mov_b64_e32 v[20:21], v[26:27]
	v_dual_mov_b32 v20, v26 :: v_dual_mov_b32 v21, v27
	v_dual_mov_b32 v16, v24 :: v_dual_mov_b32 v17, v25
	;; [unrolled: 1-line block ×3, first 2 shown]
	s_delay_alu instid0(VALU_DEP_3) | instskip(SKIP_1) | instid1(VALU_DEP_4)
	v_mov_b64_e32 v[26:27], v[20:21]
	v_dual_mov_b32 v9, v8 :: v_dual_mov_b32 v6, v3
	v_mov_b64_e32 v[22:23], v[16:17]
	s_delay_alu instid0(VALU_DEP_4)
	v_mov_b64_e32 v[24:25], v[18:19]
	v_mov_b64_e32 v[20:21], v[14:15]
	v_dual_mov_b32 v3, v12 :: v_dual_mov_b32 v8, v7
.LBB1749_127:
	s_or_b32 exec_lo, exec_lo, s4
	s_delay_alu instid0(VALU_DEP_3) | instskip(NEXT) | instid1(VALU_DEP_2)
	v_dual_cndmask_b32 v7, v37, v36, s3 :: v_dual_mov_b32 v16, v24
	v_cmp_lt_i16_e64 s3, -1, v8
	v_add_f16_e32 v14, 0, v35
	s_mov_b32 s8, exec_lo
	v_add_f16_e32 v12, 0, v7
	v_mov_b32_e32 v19, v27
	v_cndmask_b32_e64 v13, -1, 0xffff8000, s3
	s_delay_alu instid0(VALU_DEP_3) | instskip(NEXT) | instid1(VALU_DEP_2)
	v_cmp_lt_i16_e64 s3, -1, v12
	v_xor_b32_e32 v8, v13, v8
	s_delay_alu instid0(VALU_DEP_2) | instskip(SKIP_1) | instid1(VALU_DEP_2)
	v_cndmask_b32_e64 v15, -1, 0xffff8000, s3
	v_cmp_lt_i16_e64 s3, -1, v9
	v_xor_b32_e32 v12, v15, v12
	s_delay_alu instid0(VALU_DEP_2) | instskip(SKIP_1) | instid1(VALU_DEP_2)
	v_cndmask_b32_e64 v17, -1, 0xffff8000, s3
	v_cmp_lt_i16_e64 s3, -1, v14
	v_xor_b32_e32 v9, v17, v9
	s_delay_alu instid0(VALU_DEP_2) | instskip(NEXT) | instid1(VALU_DEP_1)
	v_cndmask_b32_e64 v18, -1, 0xffff8000, s3
	v_dual_mov_b32 v17, v25 :: v_dual_bitop2_b32 v31, v18, v14 bitop3:0x14
	v_mov_b32_e32 v18, v26
	v_cmp_gt_u16_e64 s3, v8, v12
	s_delay_alu instid0(VALU_DEP_1)
	v_dual_mov_b32 v8, v3 :: v_dual_cndmask_b32 v12, v20, v22, s3
	v_dual_cndmask_b32 v15, v23, v21, s3 :: v_dual_cndmask_b32 v14, v22, v20, s3
	v_cndmask_b32_e64 v13, v21, v23, s3
	v_cmpx_gt_u16_e64 v31, v9
; %bb.128:
	v_dual_mov_b32 v16, v26 :: v_dual_mov_b32 v17, v27
	v_dual_mov_b32 v18, v24 :: v_dual_mov_b32 v19, v25
	;; [unrolled: 1-line block ×3, first 2 shown]
	v_mov_b32_e32 v35, v3
; %bb.129:
	s_or_b32 exec_lo, exec_lo, s8
	s_delay_alu instid0(VALU_DEP_2) | instskip(SKIP_1) | instid1(VALU_DEP_1)
	v_dual_cndmask_b32 v36, v6, v7, s3 :: v_dual_mov_b32 v38, v8
	s_mov_b32 s8, exec_lo
	v_add_f16_e32 v3, 0, v36
	s_delay_alu instid0(VALU_DEP_1) | instskip(NEXT) | instid1(VALU_DEP_1)
	v_cmp_lt_i16_e64 s4, -1, v3
	v_cndmask_b32_e64 v20, -1, 0xffff8000, s4
	s_delay_alu instid0(VALU_DEP_1) | instskip(NEXT) | instid1(VALU_DEP_1)
	v_xor_b32_e32 v3, v20, v3
	v_cmpx_gt_u16_e64 v9, v3
	s_cbranch_execz .LBB1749_131
; %bb.130:
	v_dual_mov_b32 v20, v12 :: v_dual_mov_b32 v21, v13
	v_dual_mov_b32 v22, v16 :: v_dual_mov_b32 v23, v17
	;; [unrolled: 1-line block ×4, first 2 shown]
	s_delay_alu instid0(VALU_DEP_4) | instskip(NEXT) | instid1(VALU_DEP_4)
	v_mov_b64_e32 v[12:13], v[20:21]
	v_mov_b64_e32 v[14:15], v[22:23]
	s_delay_alu instid0(VALU_DEP_4)
	v_mov_b64_e32 v[16:17], v[24:25]
	v_dual_mov_b32 v38, v36 :: v_dual_mov_b32 v36, v8
	v_mov_b64_e32 v[18:19], v[26:27]
.LBB1749_131:
	s_or_b32 exec_lo, exec_lo, s8
	v_cndmask_b32_e64 v37, v7, v6, s3
.LBB1749_132:
	s_or_b32 exec_lo, exec_lo, s5
	v_and_b32_e32 v20, 0xffffff80, v1
	v_dual_mov_b32 v21, 0 :: v_dual_bitop2_b32 v3, 4, v34 bitop3:0x54
	v_and_b32_e32 v48, 0x78, v34
	s_mov_b32 s4, exec_lo
	s_delay_alu instid0(VALU_DEP_3) | instskip(NEXT) | instid1(VALU_DEP_3)
	v_sub_nc_u32_e64 v1, 0x400, v20 clamp
	v_lshl_add_u64 v[8:9], v[20:21], 1, v[32:33]
	s_delay_alu instid0(VALU_DEP_2) | instskip(NEXT) | instid1(VALU_DEP_2)
	v_min_u32_e32 v33, v1, v3
	v_mad_nc_u64_u32 v[6:7], v20, 6, v[8:9]
	v_lshl_add_u32 v3, v34, 1, v8
	s_delay_alu instid0(VALU_DEP_3)
	v_add_min_u32_e64 v39, v33, 4, v1
	v_and_b32_e32 v7, 4, v34
	s_wait_loadcnt_dscnt 0x0
	ds_store_b16 v3, v37
	v_sub_nc_u32_e32 v20, v39, v33
	v_min_u32_e32 v49, v1, v7
	v_sub_nc_u32_e32 v7, v33, v48
	v_lshl_add_u32 v32, v34, 3, v6
	ds_store_b64 v32, v[12:13] offset:2048
	ds_store_b16 v3, v36 offset:2
	ds_store_b64 v32, v[14:15] offset:2056
	ds_store_b16 v3, v38 offset:4
	;; [unrolled: 2-line block ×3, first 2 shown]
	ds_store_b64 v32, v[18:19] offset:2072
	v_min_u32_e32 v7, v49, v7
	v_sub_nc_u32_e64 v50, v49, v20 clamp
	; wave barrier
	s_delay_alu instid0(VALU_DEP_1)
	v_cmpx_lt_u32_e64 v50, v7
	s_cbranch_execz .LBB1749_136
; %bb.133:
	v_lshlrev_b32_e32 v20, 1, v48
	s_mov_b32 s5, 0
	s_delay_alu instid0(VALU_DEP_1) | instskip(SKIP_1) | instid1(VALU_DEP_1)
	v_add_nc_u64_e32 v[22:23], v[8:9], v[20:21]
	v_lshlrev_b32_e32 v20, 1, v33
	v_add_nc_u64_e32 v[20:21], v[8:9], v[20:21]
.LBB1749_134:                           ; =>This Inner Loop Header: Depth=1
	v_add_nc_u32_e32 v21, v7, v50
	s_delay_alu instid0(VALU_DEP_1) | instskip(NEXT) | instid1(VALU_DEP_1)
	v_dual_lshrrev_b32 v23, 1, v21 :: v_dual_bitop2_b32 v21, -2, v21 bitop3:0x40
	v_xad_u32 v24, v23, -1, v49
	s_delay_alu instid0(VALU_DEP_2) | instskip(NEXT) | instid1(VALU_DEP_2)
	v_add_nc_u32_e32 v21, v22, v21
	v_lshl_add_u32 v24, v24, 1, v20
	ds_load_u16 v21, v21
	ds_load_u16 v24, v24
	s_wait_dscnt 0x1
	v_add_f16_e32 v21, 0, v21
	s_wait_dscnt 0x0
	v_add_f16_e32 v24, 0, v24
	s_delay_alu instid0(VALU_DEP_2) | instskip(NEXT) | instid1(VALU_DEP_1)
	v_cmp_lt_i16_e64 s3, -1, v21
	v_cndmask_b32_e64 v25, -1, 0xffff8000, s3
	s_delay_alu instid0(VALU_DEP_3) | instskip(NEXT) | instid1(VALU_DEP_2)
	v_cmp_lt_i16_e64 s3, -1, v24
	v_xor_b32_e32 v21, v25, v21
	s_delay_alu instid0(VALU_DEP_2) | instskip(NEXT) | instid1(VALU_DEP_1)
	v_cndmask_b32_e64 v26, -1, 0xffff8000, s3
	v_dual_add_nc_u32 v25, 1, v23 :: v_dual_bitop2_b32 v24, v26, v24 bitop3:0x14
	s_delay_alu instid0(VALU_DEP_1) | instskip(NEXT) | instid1(VALU_DEP_1)
	v_cmp_gt_u16_e64 s3, v24, v21
	v_dual_cndmask_b32 v7, v7, v23, s3 :: v_dual_cndmask_b32 v50, v25, v50, s3
	s_delay_alu instid0(VALU_DEP_1) | instskip(SKIP_1) | instid1(SALU_CYCLE_1)
	v_cmp_ge_u32_e64 s3, v50, v7
	s_or_b32 s5, s3, s5
	s_and_not1_b32 exec_lo, exec_lo, s5
	s_cbranch_execnz .LBB1749_134
; %bb.135:
	s_or_b32 exec_lo, exec_lo, s5
.LBB1749_136:
	s_delay_alu instid0(SALU_CYCLE_1) | instskip(SKIP_4) | instid1(VALU_DEP_4)
	s_or_b32 exec_lo, exec_lo, s4
	v_dual_add_nc_u32 v26, 6, v3 :: v_dual_add_nc_u32 v20, v33, v49
	v_add_nc_u32_e32 v22, v50, v48
	v_add_nc_u32_e32 v27, 0x800, v32
	v_dual_add_nc_u32 v7, 2, v3 :: v_dual_add_nc_u32 v25, 4, v3
	v_sub_nc_u32_e32 v23, v20, v50
	s_delay_alu instid0(VALU_DEP_4)
	v_cmp_le_u32_e64 s3, v22, v33
	v_add_nc_u32_e32 v24, 0x808, v32
	v_add_nc_u32_e32 v31, 0x810, v32
	;; [unrolled: 1-line block ×3, first 2 shown]
	v_cmp_le_u32_e64 s4, v23, v39
	s_or_b32 s3, s3, s4
	s_delay_alu instid0(SALU_CYCLE_1)
	s_and_saveexec_b32 s5, s3
	s_cbranch_execz .LBB1749_156
; %bb.137:
	v_cmp_ge_u32_e64 s3, v22, v33
	s_mov_b32 s8, exec_lo
                                        ; implicit-def: $vgpr20
	v_cmpx_lt_u32_e64 v22, v33
; %bb.138:
	v_lshl_add_u32 v12, v22, 1, v8
	ds_load_u16 v20, v12
; %bb.139:
	s_or_b32 exec_lo, exec_lo, s8
	v_cmp_ge_u32_e64 s8, v23, v39
	s_mov_b32 s9, exec_lo
                                        ; implicit-def: $vgpr21
	v_cmpx_lt_u32_e64 v23, v39
; %bb.140:
	v_lshl_add_u32 v12, v23, 1, v8
	ds_load_u16 v21, v12
; %bb.141:
	s_or_b32 exec_lo, exec_lo, s9
	s_nor_b32 s3, s3, s8
	s_delay_alu instid0(SALU_CYCLE_1)
	s_and_saveexec_b32 s4, s3
	s_cbranch_execz .LBB1749_143
; %bb.142:
	s_wait_dscnt 0x0
	v_add_f16_e32 v12, 0, v21
	v_add_f16_e32 v13, 0, v20
	s_and_not1_b32 s8, s8, exec_lo
	s_delay_alu instid0(VALU_DEP_2) | instskip(NEXT) | instid1(VALU_DEP_1)
	v_cmp_lt_i16_e64 s3, -1, v12
	v_cndmask_b32_e64 v14, -1, 0xffff8000, s3
	s_delay_alu instid0(VALU_DEP_3) | instskip(NEXT) | instid1(VALU_DEP_2)
	v_cmp_lt_i16_e64 s3, -1, v13
	v_xor_b32_e32 v12, v14, v12
	s_delay_alu instid0(VALU_DEP_2) | instskip(NEXT) | instid1(VALU_DEP_1)
	v_cndmask_b32_e64 v15, -1, 0xffff8000, s3
	v_xor_b32_e32 v13, v15, v13
	s_delay_alu instid0(VALU_DEP_1) | instskip(SKIP_1) | instid1(SALU_CYCLE_1)
	v_cmp_le_u16_e64 s3, v12, v13
	s_and_b32 s3, s3, exec_lo
	s_or_b32 s8, s8, s3
.LBB1749_143:
	s_or_b32 exec_lo, exec_lo, s4
	v_cndmask_b32_e64 v12, v23, v22, s8
	v_cndmask_b32_e64 v13, v39, v33, s8
	s_mov_b32 s9, -1
	s_mov_b32 s4, -1
	s_mov_b32 s10, exec_lo
	v_add_nc_u32_e32 v14, 1, v12
	s_delay_alu instid0(VALU_DEP_1) | instskip(SKIP_2) | instid1(VALU_DEP_3)
	v_add_min_u32_e64 v13, v13, -1, v14
	v_cndmask_b32_e64 v16, v14, v23, s8
	v_lshl_add_u32 v12, v12, 3, v6
	v_lshl_add_u32 v13, v13, 1, v8
	ds_load_u16 v15, v13
	ds_load_b64 v[12:13], v12 offset:2048
	s_wait_dscnt 0x1
	v_dual_cndmask_b32 v17, v22, v14, s8 :: v_dual_cndmask_b32 v22, v15, v21, s8
	v_cndmask_b32_e64 v23, v20, v15, s8
	v_cmpx_lt_u32_e64 v16, v39
	s_cbranch_execz .LBB1749_147
; %bb.144:
	s_mov_b32 s11, 0
	s_mov_b32 s4, exec_lo
	v_cmpx_lt_u32_e64 v17, v33
	s_cbranch_execz .LBB1749_146
; %bb.145:
	v_add_f16_e32 v14, 0, v22
	v_add_f16_e32 v15, 0, v23
	s_delay_alu instid0(VALU_DEP_2) | instskip(NEXT) | instid1(VALU_DEP_1)
	v_cmp_lt_i16_e64 s3, -1, v14
	v_cndmask_b32_e64 v18, -1, 0xffff8000, s3
	s_delay_alu instid0(VALU_DEP_3) | instskip(NEXT) | instid1(VALU_DEP_2)
	v_cmp_lt_i16_e64 s3, -1, v15
	v_xor_b32_e32 v14, v18, v14
	s_delay_alu instid0(VALU_DEP_2) | instskip(NEXT) | instid1(VALU_DEP_1)
	v_cndmask_b32_e64 v19, -1, 0xffff8000, s3
	v_xor_b32_e32 v15, v19, v15
	s_delay_alu instid0(VALU_DEP_1)
	v_cmp_le_u16_e64 s3, v14, v15
	s_and_b32 s11, s3, exec_lo
.LBB1749_146:
	s_or_b32 exec_lo, exec_lo, s4
	s_delay_alu instid0(SALU_CYCLE_1)
	s_or_not1_b32 s4, s11, exec_lo
.LBB1749_147:
	s_or_b32 exec_lo, exec_lo, s10
	v_cndmask_b32_e64 v14, v16, v17, s4
	v_cndmask_b32_e64 v15, v39, v33, s4
	s_mov_b32 s10, exec_lo
	s_delay_alu instid0(VALU_DEP_2) | instskip(NEXT) | instid1(VALU_DEP_1)
	v_add_nc_u32_e32 v19, 1, v14
	v_add_min_u32_e64 v15, v15, -1, v19
	v_cndmask_b32_e64 v18, v19, v16, s4
	v_lshl_add_u32 v14, v14, 3, v6
	s_delay_alu instid0(VALU_DEP_3)
	v_lshl_add_u32 v15, v15, 1, v8
	ds_load_u16 v36, v15
	ds_load_b64 v[14:15], v14 offset:2048
	s_wait_dscnt 0x1
	v_dual_cndmask_b32 v19, v17, v19, s4 :: v_dual_cndmask_b32 v35, v36, v22, s4
	v_cndmask_b32_e64 v36, v23, v36, s4
	v_cmpx_lt_u32_e64 v18, v39
	s_cbranch_execz .LBB1749_151
; %bb.148:
	s_mov_b32 s11, 0
	s_mov_b32 s9, exec_lo
	v_cmpx_lt_u32_e64 v19, v33
	s_cbranch_execz .LBB1749_150
; %bb.149:
	v_add_f16_e32 v16, 0, v35
	v_add_f16_e32 v17, 0, v36
	s_delay_alu instid0(VALU_DEP_2) | instskip(NEXT) | instid1(VALU_DEP_1)
	v_cmp_lt_i16_e64 s3, -1, v16
	v_cndmask_b32_e64 v37, -1, 0xffff8000, s3
	s_delay_alu instid0(VALU_DEP_3) | instskip(NEXT) | instid1(VALU_DEP_2)
	v_cmp_lt_i16_e64 s3, -1, v17
	v_xor_b32_e32 v16, v37, v16
	s_delay_alu instid0(VALU_DEP_2) | instskip(NEXT) | instid1(VALU_DEP_1)
	v_cndmask_b32_e64 v38, -1, 0xffff8000, s3
	v_xor_b32_e32 v17, v38, v17
	s_delay_alu instid0(VALU_DEP_1)
	v_cmp_le_u16_e64 s3, v16, v17
	s_and_b32 s11, s3, exec_lo
.LBB1749_150:
	s_or_b32 exec_lo, exec_lo, s9
	s_delay_alu instid0(SALU_CYCLE_1)
	s_or_not1_b32 s9, s11, exec_lo
.LBB1749_151:
	s_or_b32 exec_lo, exec_lo, s10
	v_dual_cndmask_b32 v16, v18, v19, s9 :: v_dual_cndmask_b32 v17, v39, v33, s9
	s_mov_b32 s11, -1
	s_mov_b32 s10, exec_lo
	s_delay_alu instid0(VALU_DEP_1) | instskip(SKIP_1) | instid1(VALU_DEP_2)
	v_add_nc_u32_e32 v37, 1, v16
	v_lshl_add_u32 v16, v16, 3, v6
	v_add_min_u32_e64 v17, v17, -1, v37
	s_delay_alu instid0(VALU_DEP_1)
	v_lshl_add_u32 v17, v17, 1, v8
	ds_load_u16 v38, v17
	ds_load_b64 v[16:17], v16 offset:2048
	s_wait_dscnt 0x1
	v_dual_cndmask_b32 v48, v38, v35, s9 :: v_dual_cndmask_b32 v18, v37, v18, s9
	v_dual_cndmask_b32 v19, v19, v37, s9 :: v_dual_cndmask_b32 v49, v36, v38, s9
	s_delay_alu instid0(VALU_DEP_2)
	v_cmpx_lt_u32_e64 v18, v39
	s_cbranch_execz .LBB1749_155
; %bb.152:
	s_mov_b32 s12, 0
	s_mov_b32 s11, exec_lo
	v_cmpx_lt_u32_e64 v19, v33
	s_cbranch_execz .LBB1749_154
; %bb.153:
	v_add_f16_e32 v33, 0, v48
	v_add_f16_e32 v37, 0, v49
	s_delay_alu instid0(VALU_DEP_2) | instskip(NEXT) | instid1(VALU_DEP_1)
	v_cmp_lt_i16_e64 s3, -1, v33
	v_cndmask_b32_e64 v38, -1, 0xffff8000, s3
	s_delay_alu instid0(VALU_DEP_3) | instskip(NEXT) | instid1(VALU_DEP_2)
	v_cmp_lt_i16_e64 s3, -1, v37
	v_xor_b32_e32 v33, v38, v33
	s_delay_alu instid0(VALU_DEP_2) | instskip(NEXT) | instid1(VALU_DEP_1)
	v_cndmask_b32_e64 v39, -1, 0xffff8000, s3
	v_xor_b32_e32 v37, v39, v37
	s_delay_alu instid0(VALU_DEP_1)
	v_cmp_le_u16_e64 s3, v33, v37
	s_and_b32 s12, s3, exec_lo
.LBB1749_154:
	s_or_b32 exec_lo, exec_lo, s11
	s_delay_alu instid0(SALU_CYCLE_1)
	s_or_not1_b32 s11, s12, exec_lo
.LBB1749_155:
	s_or_b32 exec_lo, exec_lo, s10
	s_delay_alu instid0(VALU_DEP_2) | instskip(SKIP_2) | instid1(VALU_DEP_3)
	v_dual_cndmask_b32 v18, v18, v19, s11 :: v_dual_cndmask_b32 v38, v35, v36, s9
	v_dual_cndmask_b32 v36, v22, v23, s4 :: v_dual_cndmask_b32 v37, v21, v20, s8
	v_cndmask_b32_e64 v35, v48, v49, s11
	v_lshl_add_u32 v18, v18, 3, v6
	ds_load_b64 v[18:19], v18 offset:2048
.LBB1749_156:
	s_or_b32 exec_lo, exec_lo, s5
	v_and_b32_e32 v48, 0x70, v34
	s_mov_b32 s4, exec_lo
	; wave barrier
	ds_store_b16 v3, v37
	ds_store_b64 v27, v[12:13]
	v_or_b32_e32 v20, 8, v48
	ds_store_b16 v7, v36
	ds_store_b64 v24, v[14:15]
	ds_store_b16 v25, v38
	s_wait_dscnt 0x6
	ds_store_b64 v31, v[16:17]
	ds_store_b16 v26, v35
	s_wait_dscnt 0x7
	ds_store_b64 v32, v[18:19]
	; wave barrier
	v_min_u32_e32 v33, v1, v20
	v_and_b32_e32 v20, 12, v34
	s_delay_alu instid0(VALU_DEP_2) | instskip(NEXT) | instid1(VALU_DEP_2)
	v_add_min_u32_e64 v39, v33, 8, v1
	v_min_u32_e32 v49, v1, v20
	s_delay_alu instid0(VALU_DEP_2) | instskip(NEXT) | instid1(VALU_DEP_1)
	v_dual_sub_nc_u32 v21, v33, v48 :: v_dual_sub_nc_u32 v20, v39, v33
	v_min_u32_e32 v51, v49, v21
	s_delay_alu instid0(VALU_DEP_2) | instskip(NEXT) | instid1(VALU_DEP_1)
	v_sub_nc_u32_e64 v50, v49, v20 clamp
	v_cmpx_lt_u32_e64 v50, v51
	s_cbranch_execz .LBB1749_160
; %bb.157:
	v_dual_mov_b32 v23, 0 :: v_dual_lshlrev_b32 v22, 1, v48
	s_mov_b32 s5, 0
	s_delay_alu instid0(VALU_DEP_1) | instskip(SKIP_1) | instid1(VALU_DEP_1)
	v_add_nc_u64_e32 v[20:21], v[8:9], v[22:23]
	v_lshlrev_b32_e32 v22, 1, v33
	v_add_nc_u64_e32 v[22:23], v[8:9], v[22:23]
.LBB1749_158:                           ; =>This Inner Loop Header: Depth=1
	v_add_nc_u32_e32 v21, v51, v50
	s_delay_alu instid0(VALU_DEP_1) | instskip(NEXT) | instid1(VALU_DEP_1)
	v_dual_lshrrev_b32 v23, 1, v21 :: v_dual_bitop2_b32 v21, -2, v21 bitop3:0x40
	v_xad_u32 v52, v23, -1, v49
	s_delay_alu instid0(VALU_DEP_2) | instskip(NEXT) | instid1(VALU_DEP_2)
	v_add_nc_u32_e32 v21, v20, v21
	v_lshl_add_u32 v52, v52, 1, v22
	ds_load_u16 v21, v21
	ds_load_u16 v52, v52
	s_wait_dscnt 0x1
	v_add_f16_e32 v21, 0, v21
	s_wait_dscnt 0x0
	v_add_f16_e32 v52, 0, v52
	s_delay_alu instid0(VALU_DEP_2) | instskip(NEXT) | instid1(VALU_DEP_1)
	v_cmp_lt_i16_e64 s3, -1, v21
	v_cndmask_b32_e64 v53, -1, 0xffff8000, s3
	s_delay_alu instid0(VALU_DEP_3) | instskip(NEXT) | instid1(VALU_DEP_2)
	v_cmp_lt_i16_e64 s3, -1, v52
	v_xor_b32_e32 v21, v53, v21
	s_delay_alu instid0(VALU_DEP_2) | instskip(NEXT) | instid1(VALU_DEP_1)
	v_cndmask_b32_e64 v54, -1, 0xffff8000, s3
	v_dual_add_nc_u32 v53, 1, v23 :: v_dual_bitop2_b32 v52, v54, v52 bitop3:0x14
	s_delay_alu instid0(VALU_DEP_1) | instskip(NEXT) | instid1(VALU_DEP_1)
	v_cmp_gt_u16_e64 s3, v52, v21
	v_dual_cndmask_b32 v51, v51, v23, s3 :: v_dual_cndmask_b32 v50, v53, v50, s3
	s_delay_alu instid0(VALU_DEP_1) | instskip(SKIP_1) | instid1(SALU_CYCLE_1)
	v_cmp_ge_u32_e64 s3, v50, v51
	s_or_b32 s5, s3, s5
	s_and_not1_b32 exec_lo, exec_lo, s5
	s_cbranch_execnz .LBB1749_158
; %bb.159:
	s_or_b32 exec_lo, exec_lo, s5
.LBB1749_160:
	s_delay_alu instid0(SALU_CYCLE_1) | instskip(SKIP_1) | instid1(VALU_DEP_1)
	s_or_b32 exec_lo, exec_lo, s4
	v_dual_add_nc_u32 v20, v33, v49 :: v_dual_add_nc_u32 v22, v50, v48
	v_sub_nc_u32_e32 v23, v20, v50
	s_delay_alu instid0(VALU_DEP_2) | instskip(NEXT) | instid1(VALU_DEP_2)
	v_cmp_le_u32_e64 s3, v22, v33
	v_cmp_le_u32_e64 s4, v23, v39
	s_or_b32 s3, s3, s4
	s_delay_alu instid0(SALU_CYCLE_1)
	s_and_saveexec_b32 s5, s3
	s_cbranch_execz .LBB1749_180
; %bb.161:
	v_cmp_ge_u32_e64 s3, v22, v33
	s_mov_b32 s8, exec_lo
                                        ; implicit-def: $vgpr20
	v_cmpx_lt_u32_e64 v22, v33
; %bb.162:
	v_lshl_add_u32 v12, v22, 1, v8
	ds_load_u16 v20, v12
; %bb.163:
	s_or_b32 exec_lo, exec_lo, s8
	v_cmp_ge_u32_e64 s8, v23, v39
	s_mov_b32 s9, exec_lo
                                        ; implicit-def: $vgpr21
	v_cmpx_lt_u32_e64 v23, v39
; %bb.164:
	v_lshl_add_u32 v12, v23, 1, v8
	ds_load_u16 v21, v12
; %bb.165:
	s_or_b32 exec_lo, exec_lo, s9
	s_nor_b32 s3, s3, s8
	s_delay_alu instid0(SALU_CYCLE_1)
	s_and_saveexec_b32 s4, s3
	s_cbranch_execz .LBB1749_167
; %bb.166:
	s_wait_dscnt 0x0
	v_add_f16_e32 v12, 0, v21
	v_add_f16_e32 v13, 0, v20
	s_and_not1_b32 s8, s8, exec_lo
	s_delay_alu instid0(VALU_DEP_2) | instskip(NEXT) | instid1(VALU_DEP_1)
	v_cmp_lt_i16_e64 s3, -1, v12
	v_cndmask_b32_e64 v14, -1, 0xffff8000, s3
	s_delay_alu instid0(VALU_DEP_3) | instskip(NEXT) | instid1(VALU_DEP_2)
	v_cmp_lt_i16_e64 s3, -1, v13
	v_xor_b32_e32 v12, v14, v12
	s_delay_alu instid0(VALU_DEP_2) | instskip(NEXT) | instid1(VALU_DEP_1)
	v_cndmask_b32_e64 v15, -1, 0xffff8000, s3
	v_xor_b32_e32 v13, v15, v13
	s_delay_alu instid0(VALU_DEP_1) | instskip(SKIP_1) | instid1(SALU_CYCLE_1)
	v_cmp_le_u16_e64 s3, v12, v13
	s_and_b32 s3, s3, exec_lo
	s_or_b32 s8, s8, s3
.LBB1749_167:
	s_or_b32 exec_lo, exec_lo, s4
	v_cndmask_b32_e64 v12, v23, v22, s8
	v_cndmask_b32_e64 v13, v39, v33, s8
	s_mov_b32 s9, -1
	s_mov_b32 s4, -1
	s_mov_b32 s10, exec_lo
	v_add_nc_u32_e32 v14, 1, v12
	s_delay_alu instid0(VALU_DEP_1) | instskip(SKIP_2) | instid1(VALU_DEP_3)
	v_add_min_u32_e64 v13, v13, -1, v14
	v_cndmask_b32_e64 v16, v14, v23, s8
	v_lshl_add_u32 v12, v12, 3, v6
	v_lshl_add_u32 v13, v13, 1, v8
	ds_load_u16 v15, v13
	ds_load_b64 v[12:13], v12 offset:2048
	s_wait_dscnt 0x1
	v_dual_cndmask_b32 v17, v22, v14, s8 :: v_dual_cndmask_b32 v22, v15, v21, s8
	v_cndmask_b32_e64 v23, v20, v15, s8
	v_cmpx_lt_u32_e64 v16, v39
	s_cbranch_execz .LBB1749_171
; %bb.168:
	s_mov_b32 s11, 0
	s_mov_b32 s4, exec_lo
	v_cmpx_lt_u32_e64 v17, v33
	s_cbranch_execz .LBB1749_170
; %bb.169:
	v_add_f16_e32 v14, 0, v22
	v_add_f16_e32 v15, 0, v23
	s_delay_alu instid0(VALU_DEP_2) | instskip(NEXT) | instid1(VALU_DEP_1)
	v_cmp_lt_i16_e64 s3, -1, v14
	v_cndmask_b32_e64 v18, -1, 0xffff8000, s3
	s_delay_alu instid0(VALU_DEP_3) | instskip(NEXT) | instid1(VALU_DEP_2)
	v_cmp_lt_i16_e64 s3, -1, v15
	v_xor_b32_e32 v14, v18, v14
	s_delay_alu instid0(VALU_DEP_2) | instskip(NEXT) | instid1(VALU_DEP_1)
	v_cndmask_b32_e64 v19, -1, 0xffff8000, s3
	v_xor_b32_e32 v15, v19, v15
	s_delay_alu instid0(VALU_DEP_1)
	v_cmp_le_u16_e64 s3, v14, v15
	s_and_b32 s11, s3, exec_lo
.LBB1749_170:
	s_or_b32 exec_lo, exec_lo, s4
	s_delay_alu instid0(SALU_CYCLE_1)
	s_or_not1_b32 s4, s11, exec_lo
.LBB1749_171:
	s_or_b32 exec_lo, exec_lo, s10
	v_cndmask_b32_e64 v14, v16, v17, s4
	v_cndmask_b32_e64 v15, v39, v33, s4
	s_mov_b32 s10, exec_lo
	s_delay_alu instid0(VALU_DEP_2) | instskip(NEXT) | instid1(VALU_DEP_1)
	v_add_nc_u32_e32 v19, 1, v14
	v_add_min_u32_e64 v15, v15, -1, v19
	v_cndmask_b32_e64 v18, v19, v16, s4
	v_lshl_add_u32 v14, v14, 3, v6
	s_delay_alu instid0(VALU_DEP_3)
	v_lshl_add_u32 v15, v15, 1, v8
	ds_load_u16 v36, v15
	ds_load_b64 v[14:15], v14 offset:2048
	s_wait_dscnt 0x1
	v_dual_cndmask_b32 v19, v17, v19, s4 :: v_dual_cndmask_b32 v35, v36, v22, s4
	v_cndmask_b32_e64 v36, v23, v36, s4
	v_cmpx_lt_u32_e64 v18, v39
	s_cbranch_execz .LBB1749_175
; %bb.172:
	s_mov_b32 s11, 0
	s_mov_b32 s9, exec_lo
	v_cmpx_lt_u32_e64 v19, v33
	s_cbranch_execz .LBB1749_174
; %bb.173:
	v_add_f16_e32 v16, 0, v35
	v_add_f16_e32 v17, 0, v36
	s_delay_alu instid0(VALU_DEP_2) | instskip(NEXT) | instid1(VALU_DEP_1)
	v_cmp_lt_i16_e64 s3, -1, v16
	v_cndmask_b32_e64 v37, -1, 0xffff8000, s3
	s_delay_alu instid0(VALU_DEP_3) | instskip(NEXT) | instid1(VALU_DEP_2)
	v_cmp_lt_i16_e64 s3, -1, v17
	v_xor_b32_e32 v16, v37, v16
	s_delay_alu instid0(VALU_DEP_2) | instskip(NEXT) | instid1(VALU_DEP_1)
	v_cndmask_b32_e64 v38, -1, 0xffff8000, s3
	v_xor_b32_e32 v17, v38, v17
	s_delay_alu instid0(VALU_DEP_1)
	v_cmp_le_u16_e64 s3, v16, v17
	s_and_b32 s11, s3, exec_lo
.LBB1749_174:
	s_or_b32 exec_lo, exec_lo, s9
	s_delay_alu instid0(SALU_CYCLE_1)
	s_or_not1_b32 s9, s11, exec_lo
.LBB1749_175:
	s_or_b32 exec_lo, exec_lo, s10
	v_dual_cndmask_b32 v16, v18, v19, s9 :: v_dual_cndmask_b32 v17, v39, v33, s9
	s_mov_b32 s11, -1
	s_mov_b32 s10, exec_lo
	s_delay_alu instid0(VALU_DEP_1) | instskip(SKIP_1) | instid1(VALU_DEP_2)
	v_add_nc_u32_e32 v37, 1, v16
	v_lshl_add_u32 v16, v16, 3, v6
	v_add_min_u32_e64 v17, v17, -1, v37
	s_delay_alu instid0(VALU_DEP_1)
	v_lshl_add_u32 v17, v17, 1, v8
	ds_load_u16 v38, v17
	ds_load_b64 v[16:17], v16 offset:2048
	s_wait_dscnt 0x1
	v_dual_cndmask_b32 v48, v38, v35, s9 :: v_dual_cndmask_b32 v18, v37, v18, s9
	v_dual_cndmask_b32 v19, v19, v37, s9 :: v_dual_cndmask_b32 v49, v36, v38, s9
	s_delay_alu instid0(VALU_DEP_2)
	v_cmpx_lt_u32_e64 v18, v39
	s_cbranch_execz .LBB1749_179
; %bb.176:
	s_mov_b32 s12, 0
	s_mov_b32 s11, exec_lo
	v_cmpx_lt_u32_e64 v19, v33
	s_cbranch_execz .LBB1749_178
; %bb.177:
	v_add_f16_e32 v33, 0, v48
	v_add_f16_e32 v37, 0, v49
	s_delay_alu instid0(VALU_DEP_2) | instskip(NEXT) | instid1(VALU_DEP_1)
	v_cmp_lt_i16_e64 s3, -1, v33
	v_cndmask_b32_e64 v38, -1, 0xffff8000, s3
	s_delay_alu instid0(VALU_DEP_3) | instskip(NEXT) | instid1(VALU_DEP_2)
	v_cmp_lt_i16_e64 s3, -1, v37
	v_xor_b32_e32 v33, v38, v33
	s_delay_alu instid0(VALU_DEP_2) | instskip(NEXT) | instid1(VALU_DEP_1)
	v_cndmask_b32_e64 v39, -1, 0xffff8000, s3
	v_xor_b32_e32 v37, v39, v37
	s_delay_alu instid0(VALU_DEP_1)
	v_cmp_le_u16_e64 s3, v33, v37
	s_and_b32 s12, s3, exec_lo
.LBB1749_178:
	s_or_b32 exec_lo, exec_lo, s11
	s_delay_alu instid0(SALU_CYCLE_1)
	s_or_not1_b32 s11, s12, exec_lo
.LBB1749_179:
	s_or_b32 exec_lo, exec_lo, s10
	s_delay_alu instid0(VALU_DEP_2) | instskip(SKIP_2) | instid1(VALU_DEP_3)
	v_dual_cndmask_b32 v18, v18, v19, s11 :: v_dual_cndmask_b32 v38, v35, v36, s9
	v_dual_cndmask_b32 v36, v22, v23, s4 :: v_dual_cndmask_b32 v37, v21, v20, s8
	v_cndmask_b32_e64 v35, v48, v49, s11
	v_lshl_add_u32 v18, v18, 3, v6
	ds_load_b64 v[18:19], v18 offset:2048
.LBB1749_180:
	s_or_b32 exec_lo, exec_lo, s5
	v_and_b32_e32 v39, 0x60, v34
	; wave barrier
	ds_store_b16 v3, v37
	ds_store_b64 v27, v[12:13]
	s_mov_b32 s4, exec_lo
	v_or_b32_e32 v20, 16, v39
	ds_store_b16 v7, v36
	ds_store_b64 v24, v[14:15]
	ds_store_b16 v25, v38
	s_wait_dscnt 0x6
	ds_store_b64 v31, v[16:17]
	ds_store_b16 v26, v35
	s_wait_dscnt 0x7
	ds_store_b64 v32, v[18:19]
	; wave barrier
	v_min_u32_e32 v33, v1, v20
	s_delay_alu instid0(VALU_DEP_1) | instskip(SKIP_1) | instid1(VALU_DEP_2)
	v_add_min_u32_e64 v34, v33, 16, v1
	v_min_u32_e32 v1, v1, v30
	v_dual_sub_nc_u32 v21, v33, v39 :: v_dual_sub_nc_u32 v20, v34, v33
	s_delay_alu instid0(VALU_DEP_1) | instskip(NEXT) | instid1(VALU_DEP_2)
	v_min_u32_e32 v27, v1, v21
	v_sub_nc_u32_e64 v3, v1, v20 clamp
	s_delay_alu instid0(VALU_DEP_1)
	v_cmpx_lt_u32_e64 v3, v27
	s_cbranch_execz .LBB1749_184
; %bb.181:
	v_dual_mov_b32 v23, 0 :: v_dual_lshlrev_b32 v22, 1, v39
	s_mov_b32 s5, 0
	s_delay_alu instid0(VALU_DEP_1) | instskip(SKIP_1) | instid1(VALU_DEP_1)
	v_add_nc_u64_e32 v[20:21], v[8:9], v[22:23]
	v_lshlrev_b32_e32 v22, 1, v33
	v_add_nc_u64_e32 v[22:23], v[8:9], v[22:23]
.LBB1749_182:                           ; =>This Inner Loop Header: Depth=1
	v_add_nc_u32_e32 v7, v27, v3
	s_delay_alu instid0(VALU_DEP_1) | instskip(NEXT) | instid1(VALU_DEP_1)
	v_dual_lshrrev_b32 v9, 1, v7 :: v_dual_bitop2_b32 v7, -2, v7 bitop3:0x40
	v_xad_u32 v21, v9, -1, v1
	s_delay_alu instid0(VALU_DEP_2) | instskip(NEXT) | instid1(VALU_DEP_2)
	v_add_nc_u32_e32 v7, v20, v7
	v_lshl_add_u32 v21, v21, 1, v22
	ds_load_u16 v7, v7
	ds_load_u16 v21, v21
	s_wait_dscnt 0x1
	v_add_f16_e32 v7, 0, v7
	s_wait_dscnt 0x0
	v_add_f16_e32 v21, 0, v21
	s_delay_alu instid0(VALU_DEP_2) | instskip(NEXT) | instid1(VALU_DEP_1)
	v_cmp_lt_i16_e64 s3, -1, v7
	v_cndmask_b32_e64 v23, -1, 0xffff8000, s3
	s_delay_alu instid0(VALU_DEP_3) | instskip(NEXT) | instid1(VALU_DEP_2)
	v_cmp_lt_i16_e64 s3, -1, v21
	v_xor_b32_e32 v7, v23, v7
	s_delay_alu instid0(VALU_DEP_2) | instskip(SKIP_1) | instid1(VALU_DEP_2)
	v_cndmask_b32_e64 v24, -1, 0xffff8000, s3
	v_add_nc_u32_e32 v23, 1, v9
	v_xor_b32_e32 v21, v24, v21
	s_delay_alu instid0(VALU_DEP_1) | instskip(NEXT) | instid1(VALU_DEP_1)
	v_cmp_gt_u16_e64 s3, v21, v7
	v_cndmask_b32_e64 v27, v27, v9, s3
	s_delay_alu instid0(VALU_DEP_4) | instskip(NEXT) | instid1(VALU_DEP_1)
	v_cndmask_b32_e64 v3, v23, v3, s3
	v_cmp_ge_u32_e64 s3, v3, v27
	s_or_b32 s5, s3, s5
	s_delay_alu instid0(SALU_CYCLE_1)
	s_and_not1_b32 exec_lo, exec_lo, s5
	s_cbranch_execnz .LBB1749_182
; %bb.183:
	s_or_b32 exec_lo, exec_lo, s5
.LBB1749_184:
	s_delay_alu instid0(SALU_CYCLE_1) | instskip(SKIP_1) | instid1(VALU_DEP_1)
	s_or_b32 exec_lo, exec_lo, s4
	v_dual_add_nc_u32 v1, v33, v1 :: v_dual_add_nc_u32 v7, v3, v39
	v_sub_nc_u32_e32 v9, v1, v3
	s_delay_alu instid0(VALU_DEP_2) | instskip(NEXT) | instid1(VALU_DEP_2)
	v_cmp_le_u32_e64 s3, v7, v33
	v_cmp_le_u32_e64 s4, v9, v34
	s_or_b32 s3, s3, s4
	s_delay_alu instid0(SALU_CYCLE_1)
	s_and_saveexec_b32 s5, s3
	s_cbranch_execz .LBB1749_204
; %bb.185:
	v_cmp_ge_u32_e64 s3, v7, v33
	s_mov_b32 s8, exec_lo
                                        ; implicit-def: $vgpr1
	v_cmpx_lt_u32_e64 v7, v33
; %bb.186:
	v_lshl_add_u32 v1, v7, 1, v8
	ds_load_u16 v1, v1
; %bb.187:
	s_or_b32 exec_lo, exec_lo, s8
	v_cmp_ge_u32_e64 s8, v9, v34
	s_mov_b32 s9, exec_lo
                                        ; implicit-def: $vgpr3
	v_cmpx_lt_u32_e64 v9, v34
; %bb.188:
	v_lshl_add_u32 v3, v9, 1, v8
	ds_load_u16 v3, v3
; %bb.189:
	s_or_b32 exec_lo, exec_lo, s9
	s_nor_b32 s3, s3, s8
	s_delay_alu instid0(SALU_CYCLE_1)
	s_and_saveexec_b32 s4, s3
	s_cbranch_execz .LBB1749_191
; %bb.190:
	s_wait_dscnt 0x0
	v_add_f16_e32 v12, 0, v3
	v_add_f16_e32 v13, 0, v1
	s_and_not1_b32 s8, s8, exec_lo
	s_delay_alu instid0(VALU_DEP_2) | instskip(NEXT) | instid1(VALU_DEP_1)
	v_cmp_lt_i16_e64 s3, -1, v12
	v_cndmask_b32_e64 v14, -1, 0xffff8000, s3
	s_delay_alu instid0(VALU_DEP_3) | instskip(NEXT) | instid1(VALU_DEP_2)
	v_cmp_lt_i16_e64 s3, -1, v13
	v_xor_b32_e32 v12, v14, v12
	s_delay_alu instid0(VALU_DEP_2) | instskip(NEXT) | instid1(VALU_DEP_1)
	v_cndmask_b32_e64 v15, -1, 0xffff8000, s3
	v_xor_b32_e32 v13, v15, v13
	s_delay_alu instid0(VALU_DEP_1) | instskip(SKIP_1) | instid1(SALU_CYCLE_1)
	v_cmp_le_u16_e64 s3, v12, v13
	s_and_b32 s3, s3, exec_lo
	s_or_b32 s8, s8, s3
.LBB1749_191:
	s_or_b32 exec_lo, exec_lo, s4
	v_dual_cndmask_b32 v12, v9, v7, s8 :: v_dual_cndmask_b32 v13, v34, v33, s8
	s_mov_b32 s9, -1
	s_mov_b32 s4, -1
	s_mov_b32 s10, exec_lo
	s_delay_alu instid0(VALU_DEP_1) | instskip(SKIP_1) | instid1(VALU_DEP_2)
	v_add_nc_u32_e32 v14, 1, v12
	v_lshl_add_u32 v12, v12, 3, v6
	v_add_min_u32_e64 v13, v13, -1, v14
	v_cndmask_b32_e64 v17, v7, v14, s8
	s_delay_alu instid0(VALU_DEP_2)
	v_lshl_add_u32 v13, v13, 1, v8
	ds_load_u16 v15, v13
	ds_load_b64 v[12:13], v12 offset:2048
	s_wait_dscnt 0x1
	v_dual_cndmask_b32 v7, v15, v3, s8 :: v_dual_cndmask_b32 v16, v14, v9, s8
	v_cndmask_b32_e64 v9, v1, v15, s8
	s_delay_alu instid0(VALU_DEP_2)
	v_cmpx_lt_u32_e64 v16, v34
	s_cbranch_execz .LBB1749_195
; %bb.192:
	s_mov_b32 s11, 0
	s_mov_b32 s4, exec_lo
	v_cmpx_lt_u32_e64 v17, v33
	s_cbranch_execz .LBB1749_194
; %bb.193:
	v_add_f16_e32 v14, 0, v7
	v_add_f16_e32 v15, 0, v9
	s_delay_alu instid0(VALU_DEP_2) | instskip(NEXT) | instid1(VALU_DEP_1)
	v_cmp_lt_i16_e64 s3, -1, v14
	v_cndmask_b32_e64 v18, -1, 0xffff8000, s3
	s_delay_alu instid0(VALU_DEP_3) | instskip(NEXT) | instid1(VALU_DEP_2)
	v_cmp_lt_i16_e64 s3, -1, v15
	v_xor_b32_e32 v14, v18, v14
	s_delay_alu instid0(VALU_DEP_2) | instskip(NEXT) | instid1(VALU_DEP_1)
	v_cndmask_b32_e64 v19, -1, 0xffff8000, s3
	v_xor_b32_e32 v15, v19, v15
	s_delay_alu instid0(VALU_DEP_1)
	v_cmp_le_u16_e64 s3, v14, v15
	s_and_b32 s11, s3, exec_lo
.LBB1749_194:
	s_or_b32 exec_lo, exec_lo, s4
	s_delay_alu instid0(SALU_CYCLE_1)
	s_or_not1_b32 s4, s11, exec_lo
.LBB1749_195:
	s_or_b32 exec_lo, exec_lo, s10
	v_cndmask_b32_e64 v14, v16, v17, s4
	v_cndmask_b32_e64 v15, v34, v33, s4
	s_mov_b32 s10, exec_lo
	s_delay_alu instid0(VALU_DEP_2) | instskip(NEXT) | instid1(VALU_DEP_1)
	v_add_nc_u32_e32 v19, 1, v14
	v_add_min_u32_e64 v15, v15, -1, v19
	v_cndmask_b32_e64 v18, v19, v16, s4
	v_lshl_add_u32 v14, v14, 3, v6
	v_cndmask_b32_e64 v19, v17, v19, s4
	s_delay_alu instid0(VALU_DEP_4)
	v_lshl_add_u32 v15, v15, 1, v8
	ds_load_u16 v21, v15
	ds_load_b64 v[14:15], v14 offset:2048
	s_wait_dscnt 0x1
	v_cndmask_b32_e64 v20, v21, v7, s4
	v_cndmask_b32_e64 v21, v9, v21, s4
	v_cmpx_lt_u32_e64 v18, v34
	s_cbranch_execz .LBB1749_199
; %bb.196:
	s_mov_b32 s11, 0
	s_mov_b32 s9, exec_lo
	v_cmpx_lt_u32_e64 v19, v33
	s_cbranch_execz .LBB1749_198
; %bb.197:
	v_add_f16_e32 v16, 0, v20
	v_add_f16_e32 v17, 0, v21
	s_delay_alu instid0(VALU_DEP_2) | instskip(NEXT) | instid1(VALU_DEP_1)
	v_cmp_lt_i16_e64 s3, -1, v16
	v_cndmask_b32_e64 v22, -1, 0xffff8000, s3
	s_delay_alu instid0(VALU_DEP_3) | instskip(NEXT) | instid1(VALU_DEP_2)
	v_cmp_lt_i16_e64 s3, -1, v17
	v_xor_b32_e32 v16, v22, v16
	s_delay_alu instid0(VALU_DEP_2) | instskip(NEXT) | instid1(VALU_DEP_1)
	v_cndmask_b32_e64 v23, -1, 0xffff8000, s3
	v_xor_b32_e32 v17, v23, v17
	s_delay_alu instid0(VALU_DEP_1)
	v_cmp_le_u16_e64 s3, v16, v17
	s_and_b32 s11, s3, exec_lo
.LBB1749_198:
	s_or_b32 exec_lo, exec_lo, s9
	s_delay_alu instid0(SALU_CYCLE_1)
	s_or_not1_b32 s9, s11, exec_lo
.LBB1749_199:
	s_or_b32 exec_lo, exec_lo, s10
	v_cndmask_b32_e64 v16, v18, v19, s9
	v_cndmask_b32_e64 v17, v34, v33, s9
	s_mov_b32 s11, -1
	s_mov_b32 s10, exec_lo
	s_delay_alu instid0(VALU_DEP_2) | instskip(NEXT) | instid1(VALU_DEP_1)
	v_add_nc_u32_e32 v22, 1, v16
	v_add_min_u32_e64 v17, v17, -1, v22
	v_cndmask_b32_e64 v19, v19, v22, s9
	s_delay_alu instid0(VALU_DEP_2)
	v_lshl_add_u32 v8, v17, 1, v8
	ds_load_u16 v23, v8
	v_lshl_add_u32 v8, v16, 3, v6
	v_cndmask_b32_e64 v18, v22, v18, s9
	ds_load_b64 v[16:17], v8 offset:2048
	s_wait_dscnt 0x1
	v_dual_cndmask_b32 v8, v23, v20, s9 :: v_dual_cndmask_b32 v22, v21, v23, s9
	v_cmpx_lt_u32_e64 v18, v34
	s_cbranch_execz .LBB1749_203
; %bb.200:
	s_mov_b32 s12, 0
	s_mov_b32 s11, exec_lo
	v_cmpx_lt_u32_e64 v19, v33
	s_cbranch_execz .LBB1749_202
; %bb.201:
	v_add_f16_e32 v23, 0, v8
	v_add_f16_e32 v24, 0, v22
	s_delay_alu instid0(VALU_DEP_2) | instskip(NEXT) | instid1(VALU_DEP_1)
	v_cmp_lt_i16_e64 s3, -1, v23
	v_cndmask_b32_e64 v25, -1, 0xffff8000, s3
	s_delay_alu instid0(VALU_DEP_3) | instskip(NEXT) | instid1(VALU_DEP_2)
	v_cmp_lt_i16_e64 s3, -1, v24
	v_xor_b32_e32 v23, v25, v23
	s_delay_alu instid0(VALU_DEP_2) | instskip(NEXT) | instid1(VALU_DEP_1)
	v_cndmask_b32_e64 v26, -1, 0xffff8000, s3
	v_xor_b32_e32 v24, v26, v24
	s_delay_alu instid0(VALU_DEP_1)
	v_cmp_le_u16_e64 s3, v23, v24
	s_and_b32 s12, s3, exec_lo
.LBB1749_202:
	s_or_b32 exec_lo, exec_lo, s11
	s_delay_alu instid0(SALU_CYCLE_1)
	s_or_not1_b32 s11, s12, exec_lo
.LBB1749_203:
	s_or_b32 exec_lo, exec_lo, s10
	v_dual_cndmask_b32 v18, v18, v19, s11 :: v_dual_cndmask_b32 v38, v20, v21, s9
	v_dual_cndmask_b32 v36, v7, v9, s4 :: v_dual_cndmask_b32 v35, v8, v22, s11
	v_cndmask_b32_e64 v37, v3, v1, s8
	s_delay_alu instid0(VALU_DEP_3)
	v_lshl_add_u32 v6, v18, 3, v6
	ds_load_b64 v[18:19], v6 offset:2048
.LBB1749_204:
	s_or_b32 exec_lo, exec_lo, s5
	v_lshl_add_u64 v[4:5], v[28:29], 1, v[4:5]
	v_mov_b32_e32 v1, 0
	; wave barrier
	s_wait_storecnt_dscnt 0x0
	s_barrier_signal -1
	s_delay_alu instid0(VALU_DEP_1)
	v_add_nc_u64_e32 v[0:1], v[4:5], v[0:1]
	s_barrier_wait -1
	; wave barrier
	s_and_saveexec_b32 s3, vcc_lo
	s_cbranch_execnz .LBB1749_226
; %bb.205:
	s_or_b32 exec_lo, exec_lo, s3
	s_and_saveexec_b32 s3, s0
	s_cbranch_execnz .LBB1749_227
.LBB1749_206:
	s_or_b32 exec_lo, exec_lo, s3
	s_and_saveexec_b32 s3, s2
	s_cbranch_execnz .LBB1749_228
.LBB1749_207:
	s_or_b32 exec_lo, exec_lo, s3
	s_and_saveexec_b32 s3, s1
	s_cbranch_execz .LBB1749_209
.LBB1749_208:
	flat_store_b16 v[0:1], v35 offset:6
.LBB1749_209:
	s_wait_xcnt 0x0
	s_or_b32 exec_lo, exec_lo, s3
	v_lshl_add_u64 v[0:1], v[28:29], 3, v[10:11]
	v_mov_b32_e32 v3, 0
	; wave barrier
	s_delay_alu instid0(VALU_DEP_1)
	v_add_nc_u64_e32 v[0:1], v[0:1], v[2:3]
	s_and_saveexec_b32 s3, vcc_lo
	s_cbranch_execnz .LBB1749_229
; %bb.210:
	s_or_b32 exec_lo, exec_lo, s3
	s_and_saveexec_b32 s3, s0
	s_cbranch_execnz .LBB1749_230
.LBB1749_211:
	s_or_b32 exec_lo, exec_lo, s3
	s_and_saveexec_b32 s0, s2
	s_cbranch_execz .LBB1749_213
.LBB1749_212:
	flat_store_b64 v[0:1], v[16:17] offset:16
.LBB1749_213:
	s_wait_xcnt 0x0
	s_or_b32 exec_lo, exec_lo, s0
	v_mov_b64_e32 v[8:9], v[10:11]
	s_and_not1_b32 s0, s6, exec_lo
	s_and_b32 s1, s1, exec_lo
	s_delay_alu instid0(SALU_CYCLE_1)
	s_or_b32 s6, s0, s1
	s_or_b32 exec_lo, exec_lo, s7
	s_and_saveexec_b32 s0, s6
	s_cbranch_execz .LBB1749_3
.LBB1749_214:
	v_lshl_add_u64 v[0:1], v[28:29], 3, v[8:9]
	v_dual_mov_b32 v3, 0 :: v_dual_lshlrev_b32 v2, 3, v30
	s_delay_alu instid0(VALU_DEP_1)
	v_add_nc_u64_e32 v[0:1], v[0:1], v[2:3]
	flat_store_b64 v[0:1], v[18:19] offset:24
	s_wait_xcnt 0x0
	s_or_b32 exec_lo, exec_lo, s0
	s_wait_dscnt 0x0
	s_set_pc_i64 s[30:31]
.LBB1749_215:
	flat_load_b64 v[12:13], v[6:7]
	v_dual_mov_b32 v14, v5 :: v_dual_mov_b32 v15, v5
	v_dual_mov_b32 v16, v5 :: v_dual_mov_b32 v17, v5
	;; [unrolled: 1-line block ×3, first 2 shown]
	s_wait_xcnt 0x0
	s_or_b32 exec_lo, exec_lo, s3
	s_and_saveexec_b32 s3, s0
	s_cbranch_execz .LBB1749_14
.LBB1749_216:
	flat_load_b64 v[14:15], v[6:7] offset:8
	s_wait_xcnt 0x0
	s_or_b32 exec_lo, exec_lo, s3
	s_and_saveexec_b32 s3, s1
	s_cbranch_execz .LBB1749_15
.LBB1749_217:
	flat_load_b64 v[16:17], v[6:7] offset:16
	s_wait_xcnt 0x0
	s_or_b32 exec_lo, exec_lo, s3
	s_and_saveexec_b32 s3, s2
	s_cbranch_execnz .LBB1749_16
	s_branch .LBB1749_17
.LBB1749_218:
	flat_store_b16 v[0:1], v37
	s_wait_xcnt 0x0
	s_or_b32 exec_lo, exec_lo, s3
	s_and_saveexec_b32 s3, s0
	s_cbranch_execz .LBB1749_101
.LBB1749_219:
	flat_store_b16 v[0:1], v36 offset:2
	s_wait_xcnt 0x0
	s_or_b32 exec_lo, exec_lo, s3
	s_and_saveexec_b32 s3, s1
	s_cbranch_execz .LBB1749_102
.LBB1749_220:
	flat_store_b16 v[0:1], v38 offset:4
	s_wait_xcnt 0x0
	s_or_b32 exec_lo, exec_lo, s3
	s_and_saveexec_b32 s3, s2
	s_cbranch_execnz .LBB1749_103
	s_branch .LBB1749_104
.LBB1749_221:
	flat_store_b64 v[0:1], v[12:13]
	s_wait_xcnt 0x0
	s_or_b32 exec_lo, exec_lo, s3
	s_and_saveexec_b32 s3, s0
	s_cbranch_execz .LBB1749_106
.LBB1749_222:
	flat_store_b64 v[0:1], v[14:15] offset:8
	s_wait_xcnt 0x0
	s_or_b32 exec_lo, exec_lo, s3
	s_and_saveexec_b32 s0, s1
	s_cbranch_execnz .LBB1749_107
	s_branch .LBB1749_108
.LBB1749_223:
	flat_load_b64 v[12:13], v[6:7]
	v_dual_mov_b32 v14, v3 :: v_dual_mov_b32 v15, v3
	v_dual_mov_b32 v16, v3 :: v_dual_mov_b32 v17, v3
	;; [unrolled: 1-line block ×3, first 2 shown]
	s_wait_xcnt 0x0
	s_or_b32 exec_lo, exec_lo, s3
	s_and_saveexec_b32 s3, s0
	s_cbranch_execz .LBB1749_119
.LBB1749_224:
	flat_load_b64 v[14:15], v[6:7] offset:8
	s_wait_xcnt 0x0
	s_or_b32 exec_lo, exec_lo, s3
	s_and_saveexec_b32 s3, s2
	s_cbranch_execz .LBB1749_120
.LBB1749_225:
	flat_load_b64 v[16:17], v[6:7] offset:16
	s_wait_xcnt 0x0
	s_or_b32 exec_lo, exec_lo, s3
	s_and_saveexec_b32 s3, s1
	s_cbranch_execnz .LBB1749_121
	s_branch .LBB1749_122
.LBB1749_226:
	flat_store_b16 v[0:1], v37
	s_wait_xcnt 0x0
	s_or_b32 exec_lo, exec_lo, s3
	s_and_saveexec_b32 s3, s0
	s_cbranch_execz .LBB1749_206
.LBB1749_227:
	flat_store_b16 v[0:1], v36 offset:2
	s_wait_xcnt 0x0
	s_or_b32 exec_lo, exec_lo, s3
	s_and_saveexec_b32 s3, s2
	s_cbranch_execz .LBB1749_207
.LBB1749_228:
	flat_store_b16 v[0:1], v38 offset:4
	s_wait_xcnt 0x0
	s_or_b32 exec_lo, exec_lo, s3
	s_and_saveexec_b32 s3, s1
	s_cbranch_execnz .LBB1749_208
	s_branch .LBB1749_209
.LBB1749_229:
	flat_store_b64 v[0:1], v[12:13]
	s_wait_xcnt 0x0
	s_or_b32 exec_lo, exec_lo, s3
	s_and_saveexec_b32 s3, s0
	s_cbranch_execz .LBB1749_211
.LBB1749_230:
	flat_store_b64 v[0:1], v[14:15] offset:8
	s_wait_xcnt 0x0
	s_or_b32 exec_lo, exec_lo, s3
	s_and_saveexec_b32 s0, s2
	s_cbranch_execnz .LBB1749_212
	s_branch .LBB1749_213
.Lfunc_end1749:
	.size	_ZN7rocprim17ROCPRIM_400000_NS6detail26segmented_warp_sort_helperINS1_20WarpSortHelperConfigILj8ELj4ELj256EEE6__halflLi256ELb1EvE4sortIPKS5_PS5_PKlPlEEvT_SA_T0_T1_SD_T2_bjjjjRNS6_12storage_typeE, .Lfunc_end1749-_ZN7rocprim17ROCPRIM_400000_NS6detail26segmented_warp_sort_helperINS1_20WarpSortHelperConfigILj8ELj4ELj256EEE6__halflLi256ELb1EvE4sortIPKS5_PS5_PKlPlEEvT_SA_T0_T1_SD_T2_bjjjjRNS6_12storage_typeE
                                        ; -- End function
	.set .L_ZN7rocprim17ROCPRIM_400000_NS6detail26segmented_warp_sort_helperINS1_20WarpSortHelperConfigILj8ELj4ELj256EEE6__halflLi256ELb1EvE4sortIPKS5_PS5_PKlPlEEvT_SA_T0_T1_SD_T2_bjjjjRNS6_12storage_typeE.num_vgpr, 55
	.set .L_ZN7rocprim17ROCPRIM_400000_NS6detail26segmented_warp_sort_helperINS1_20WarpSortHelperConfigILj8ELj4ELj256EEE6__halflLi256ELb1EvE4sortIPKS5_PS5_PKlPlEEvT_SA_T0_T1_SD_T2_bjjjjRNS6_12storage_typeE.num_agpr, 0
	.set .L_ZN7rocprim17ROCPRIM_400000_NS6detail26segmented_warp_sort_helperINS1_20WarpSortHelperConfigILj8ELj4ELj256EEE6__halflLi256ELb1EvE4sortIPKS5_PS5_PKlPlEEvT_SA_T0_T1_SD_T2_bjjjjRNS6_12storage_typeE.numbered_sgpr, 32
	.set .L_ZN7rocprim17ROCPRIM_400000_NS6detail26segmented_warp_sort_helperINS1_20WarpSortHelperConfigILj8ELj4ELj256EEE6__halflLi256ELb1EvE4sortIPKS5_PS5_PKlPlEEvT_SA_T0_T1_SD_T2_bjjjjRNS6_12storage_typeE.num_named_barrier, 0
	.set .L_ZN7rocprim17ROCPRIM_400000_NS6detail26segmented_warp_sort_helperINS1_20WarpSortHelperConfigILj8ELj4ELj256EEE6__halflLi256ELb1EvE4sortIPKS5_PS5_PKlPlEEvT_SA_T0_T1_SD_T2_bjjjjRNS6_12storage_typeE.private_seg_size, 0
	.set .L_ZN7rocprim17ROCPRIM_400000_NS6detail26segmented_warp_sort_helperINS1_20WarpSortHelperConfigILj8ELj4ELj256EEE6__halflLi256ELb1EvE4sortIPKS5_PS5_PKlPlEEvT_SA_T0_T1_SD_T2_bjjjjRNS6_12storage_typeE.uses_vcc, 1
	.set .L_ZN7rocprim17ROCPRIM_400000_NS6detail26segmented_warp_sort_helperINS1_20WarpSortHelperConfigILj8ELj4ELj256EEE6__halflLi256ELb1EvE4sortIPKS5_PS5_PKlPlEEvT_SA_T0_T1_SD_T2_bjjjjRNS6_12storage_typeE.uses_flat_scratch, 0
	.set .L_ZN7rocprim17ROCPRIM_400000_NS6detail26segmented_warp_sort_helperINS1_20WarpSortHelperConfigILj8ELj4ELj256EEE6__halflLi256ELb1EvE4sortIPKS5_PS5_PKlPlEEvT_SA_T0_T1_SD_T2_bjjjjRNS6_12storage_typeE.has_dyn_sized_stack, 0
	.set .L_ZN7rocprim17ROCPRIM_400000_NS6detail26segmented_warp_sort_helperINS1_20WarpSortHelperConfigILj8ELj4ELj256EEE6__halflLi256ELb1EvE4sortIPKS5_PS5_PKlPlEEvT_SA_T0_T1_SD_T2_bjjjjRNS6_12storage_typeE.has_recursion, 0
	.set .L_ZN7rocprim17ROCPRIM_400000_NS6detail26segmented_warp_sort_helperINS1_20WarpSortHelperConfigILj8ELj4ELj256EEE6__halflLi256ELb1EvE4sortIPKS5_PS5_PKlPlEEvT_SA_T0_T1_SD_T2_bjjjjRNS6_12storage_typeE.has_indirect_call, 0
	.section	.AMDGPU.csdata,"",@progbits
; Function info:
; codeLenInByte = 12348
; TotalNumSgprs: 34
; NumVgprs: 55
; ScratchSize: 0
; MemoryBound: 1
	.section	.text._ZN7rocprim17ROCPRIM_400000_NS6detail17trampoline_kernelINS0_14default_configENS1_36segmented_radix_sort_config_selectorI6__halflEEZNS1_25segmented_radix_sort_implIS3_Lb1EPKS5_PS5_PKlPlN2at6native12_GLOBAL__N_18offset_tEEE10hipError_tPvRmT1_PNSt15iterator_traitsISL_E10value_typeET2_T3_PNSM_ISR_E10value_typeET4_jRbjT5_SX_jjP12ihipStream_tbEUlT_E1_NS1_11comp_targetILNS1_3genE0ELNS1_11target_archE4294967295ELNS1_3gpuE0ELNS1_3repE0EEENS1_59segmented_radix_sort_warp_sort_small_config_static_selectorELNS0_4arch9wavefront6targetE0EEEvSL_,"axG",@progbits,_ZN7rocprim17ROCPRIM_400000_NS6detail17trampoline_kernelINS0_14default_configENS1_36segmented_radix_sort_config_selectorI6__halflEEZNS1_25segmented_radix_sort_implIS3_Lb1EPKS5_PS5_PKlPlN2at6native12_GLOBAL__N_18offset_tEEE10hipError_tPvRmT1_PNSt15iterator_traitsISL_E10value_typeET2_T3_PNSM_ISR_E10value_typeET4_jRbjT5_SX_jjP12ihipStream_tbEUlT_E1_NS1_11comp_targetILNS1_3genE0ELNS1_11target_archE4294967295ELNS1_3gpuE0ELNS1_3repE0EEENS1_59segmented_radix_sort_warp_sort_small_config_static_selectorELNS0_4arch9wavefront6targetE0EEEvSL_,comdat
	.globl	_ZN7rocprim17ROCPRIM_400000_NS6detail17trampoline_kernelINS0_14default_configENS1_36segmented_radix_sort_config_selectorI6__halflEEZNS1_25segmented_radix_sort_implIS3_Lb1EPKS5_PS5_PKlPlN2at6native12_GLOBAL__N_18offset_tEEE10hipError_tPvRmT1_PNSt15iterator_traitsISL_E10value_typeET2_T3_PNSM_ISR_E10value_typeET4_jRbjT5_SX_jjP12ihipStream_tbEUlT_E1_NS1_11comp_targetILNS1_3genE0ELNS1_11target_archE4294967295ELNS1_3gpuE0ELNS1_3repE0EEENS1_59segmented_radix_sort_warp_sort_small_config_static_selectorELNS0_4arch9wavefront6targetE0EEEvSL_ ; -- Begin function _ZN7rocprim17ROCPRIM_400000_NS6detail17trampoline_kernelINS0_14default_configENS1_36segmented_radix_sort_config_selectorI6__halflEEZNS1_25segmented_radix_sort_implIS3_Lb1EPKS5_PS5_PKlPlN2at6native12_GLOBAL__N_18offset_tEEE10hipError_tPvRmT1_PNSt15iterator_traitsISL_E10value_typeET2_T3_PNSM_ISR_E10value_typeET4_jRbjT5_SX_jjP12ihipStream_tbEUlT_E1_NS1_11comp_targetILNS1_3genE0ELNS1_11target_archE4294967295ELNS1_3gpuE0ELNS1_3repE0EEENS1_59segmented_radix_sort_warp_sort_small_config_static_selectorELNS0_4arch9wavefront6targetE0EEEvSL_
	.p2align	8
	.type	_ZN7rocprim17ROCPRIM_400000_NS6detail17trampoline_kernelINS0_14default_configENS1_36segmented_radix_sort_config_selectorI6__halflEEZNS1_25segmented_radix_sort_implIS3_Lb1EPKS5_PS5_PKlPlN2at6native12_GLOBAL__N_18offset_tEEE10hipError_tPvRmT1_PNSt15iterator_traitsISL_E10value_typeET2_T3_PNSM_ISR_E10value_typeET4_jRbjT5_SX_jjP12ihipStream_tbEUlT_E1_NS1_11comp_targetILNS1_3genE0ELNS1_11target_archE4294967295ELNS1_3gpuE0ELNS1_3repE0EEENS1_59segmented_radix_sort_warp_sort_small_config_static_selectorELNS0_4arch9wavefront6targetE0EEEvSL_,@function
_ZN7rocprim17ROCPRIM_400000_NS6detail17trampoline_kernelINS0_14default_configENS1_36segmented_radix_sort_config_selectorI6__halflEEZNS1_25segmented_radix_sort_implIS3_Lb1EPKS5_PS5_PKlPlN2at6native12_GLOBAL__N_18offset_tEEE10hipError_tPvRmT1_PNSt15iterator_traitsISL_E10value_typeET2_T3_PNSM_ISR_E10value_typeET4_jRbjT5_SX_jjP12ihipStream_tbEUlT_E1_NS1_11comp_targetILNS1_3genE0ELNS1_11target_archE4294967295ELNS1_3gpuE0ELNS1_3repE0EEENS1_59segmented_radix_sort_warp_sort_small_config_static_selectorELNS0_4arch9wavefront6targetE0EEEvSL_: ; @_ZN7rocprim17ROCPRIM_400000_NS6detail17trampoline_kernelINS0_14default_configENS1_36segmented_radix_sort_config_selectorI6__halflEEZNS1_25segmented_radix_sort_implIS3_Lb1EPKS5_PS5_PKlPlN2at6native12_GLOBAL__N_18offset_tEEE10hipError_tPvRmT1_PNSt15iterator_traitsISL_E10value_typeET2_T3_PNSM_ISR_E10value_typeET4_jRbjT5_SX_jjP12ihipStream_tbEUlT_E1_NS1_11comp_targetILNS1_3genE0ELNS1_11target_archE4294967295ELNS1_3gpuE0ELNS1_3repE0EEENS1_59segmented_radix_sort_warp_sort_small_config_static_selectorELNS0_4arch9wavefront6targetE0EEEvSL_
; %bb.0:
	s_load_b32 s4, s[2:3], 0x64
	v_bfe_u32 v1, v0, 10, 10
	v_bfe_u32 v2, v0, 20, 10
	v_and_b32_e32 v3, 0x3ff, v0
	s_and_b32 s6, ttmp6, 15
	s_getreg_b32 s7, hwreg(HW_REG_IB_STS2, 6, 4)
	s_mov_b32 s32, 0
	s_wait_kmcnt 0x0
	s_lshr_b32 s5, s4, 16
	s_and_b32 s4, s4, 0xffff
	v_mad_u32_u24 v1, v2, s5, v1
	s_bfe_u32 s5, ttmp6, 0x4000c
	s_delay_alu instid0(SALU_CYCLE_1) | instskip(NEXT) | instid1(SALU_CYCLE_1)
	s_add_co_i32 s5, s5, 1
	s_mul_i32 s5, ttmp9, s5
	s_delay_alu instid0(VALU_DEP_1) | instskip(SKIP_4) | instid1(VALU_DEP_1)
	v_mad_u32 v1, v1, s4, v3
	s_load_b32 s4, s[2:3], 0x34
	s_add_co_i32 s6, s6, s5
	s_cmp_eq_u32 s7, 0
	s_cselect_b32 s5, ttmp9, s6
	v_lshrrev_b32_e32 v1, 3, v1
	s_delay_alu instid0(VALU_DEP_1) | instskip(SKIP_1) | instid1(VALU_DEP_1)
	v_lshl_add_u32 v2, s5, 5, v1
	s_wait_kmcnt 0x0
	v_cmp_gt_u32_e32 vcc_lo, s4, v2
	s_and_saveexec_b32 s4, vcc_lo
	s_cbranch_execz .LBB1750_3
; %bb.1:
	s_clause 0x1
	s_load_b64 s[8:9], s[2:3], 0x38
	s_load_b128 s[4:7], s[2:3], 0x40
	v_mov_b32_e32 v3, 0
	s_delay_alu instid0(VALU_DEP_1) | instskip(SKIP_1) | instid1(VALU_DEP_1)
	v_lshlrev_b64_e32 v[2:3], 2, v[2:3]
	s_wait_kmcnt 0x0
	v_sub_nc_u64_e32 v[2:3], s[8:9], v[2:3]
	global_load_b32 v1, v[2:3], off offset:-4
	s_wait_loadcnt 0x0
	v_dual_add_nc_u32 v2, s5, v1 :: v_dual_add_nc_u32 v1, s7, v1
	s_delay_alu instid0(VALU_DEP_1) | instskip(NEXT) | instid1(VALU_DEP_2)
	v_mul_lo_u32 v13, v2, s4
	v_mul_lo_u32 v14, v1, s6
	s_delay_alu instid0(VALU_DEP_1)
	v_cmp_gt_u32_e32 vcc_lo, v14, v13
	s_and_b32 exec_lo, exec_lo, vcc_lo
	s_cbranch_execz .LBB1750_3
; %bb.2:
	s_mov_b64 s[10:11], src_shared_base
	s_clause 0x2
	s_load_b32 s10, s[2:3], 0x30
	s_load_b256 s[12:19], s[2:3], 0x0
	s_load_b128 s[4:7], s[2:3], 0x20
	v_dual_mov_b32 v31, v0 :: v_dual_mov_b32 v15, 0
	v_mov_b32_e32 v16, s11
	s_add_nc_u64 s[8:9], s[2:3], 0x58
	s_wait_xcnt 0x0
	s_get_pc_i64 s[2:3]
	s_add_nc_u64 s[2:3], s[2:3], _ZN7rocprim17ROCPRIM_400000_NS6detail26segmented_warp_sort_helperINS1_20WarpSortHelperConfigILj8ELj4ELj256EEE6__halflLi256ELb1EvE4sortIPKS5_PS5_PKlPlEEvT_SA_T0_T1_SD_T2_bjjjjRNS6_12storage_typeE@rel64+4
	s_wait_kmcnt 0x0
	s_and_b32 s10, s10, 0xff
	v_dual_mov_b32 v0, s12 :: v_dual_mov_b32 v1, s13
	v_dual_mov_b32 v2, s14 :: v_dual_mov_b32 v3, s15
	;; [unrolled: 1-line block ×6, first 2 shown]
	v_mov_b32_e32 v12, s10
	s_mov_b64 s[6:7], s[0:1]
	s_swap_pc_i64 s[30:31], s[2:3]
.LBB1750_3:
	s_endpgm
	.section	.rodata,"a",@progbits
	.p2align	6, 0x0
	.amdhsa_kernel _ZN7rocprim17ROCPRIM_400000_NS6detail17trampoline_kernelINS0_14default_configENS1_36segmented_radix_sort_config_selectorI6__halflEEZNS1_25segmented_radix_sort_implIS3_Lb1EPKS5_PS5_PKlPlN2at6native12_GLOBAL__N_18offset_tEEE10hipError_tPvRmT1_PNSt15iterator_traitsISL_E10value_typeET2_T3_PNSM_ISR_E10value_typeET4_jRbjT5_SX_jjP12ihipStream_tbEUlT_E1_NS1_11comp_targetILNS1_3genE0ELNS1_11target_archE4294967295ELNS1_3gpuE0ELNS1_3repE0EEENS1_59segmented_radix_sort_warp_sort_small_config_static_selectorELNS0_4arch9wavefront6targetE0EEEvSL_
		.amdhsa_group_segment_fixed_size 10240
		.amdhsa_private_segment_fixed_size 0
		.amdhsa_kernarg_size 344
		.amdhsa_user_sgpr_count 4
		.amdhsa_user_sgpr_dispatch_ptr 0
		.amdhsa_user_sgpr_queue_ptr 1
		.amdhsa_user_sgpr_kernarg_segment_ptr 1
		.amdhsa_user_sgpr_dispatch_id 0
		.amdhsa_user_sgpr_kernarg_preload_length 0
		.amdhsa_user_sgpr_kernarg_preload_offset 0
		.amdhsa_user_sgpr_private_segment_size 0
		.amdhsa_wavefront_size32 1
		.amdhsa_uses_dynamic_stack 0
		.amdhsa_enable_private_segment 0
		.amdhsa_system_sgpr_workgroup_id_x 1
		.amdhsa_system_sgpr_workgroup_id_y 1
		.amdhsa_system_sgpr_workgroup_id_z 0
		.amdhsa_system_sgpr_workgroup_info 0
		.amdhsa_system_vgpr_workitem_id 2
		.amdhsa_next_free_vgpr 55
		.amdhsa_next_free_sgpr 33
		.amdhsa_named_barrier_count 0
		.amdhsa_reserve_vcc 1
		.amdhsa_float_round_mode_32 0
		.amdhsa_float_round_mode_16_64 0
		.amdhsa_float_denorm_mode_32 3
		.amdhsa_float_denorm_mode_16_64 3
		.amdhsa_fp16_overflow 0
		.amdhsa_memory_ordered 1
		.amdhsa_forward_progress 1
		.amdhsa_inst_pref_size 4
		.amdhsa_round_robin_scheduling 0
		.amdhsa_exception_fp_ieee_invalid_op 0
		.amdhsa_exception_fp_denorm_src 0
		.amdhsa_exception_fp_ieee_div_zero 0
		.amdhsa_exception_fp_ieee_overflow 0
		.amdhsa_exception_fp_ieee_underflow 0
		.amdhsa_exception_fp_ieee_inexact 0
		.amdhsa_exception_int_div_zero 0
	.end_amdhsa_kernel
	.section	.text._ZN7rocprim17ROCPRIM_400000_NS6detail17trampoline_kernelINS0_14default_configENS1_36segmented_radix_sort_config_selectorI6__halflEEZNS1_25segmented_radix_sort_implIS3_Lb1EPKS5_PS5_PKlPlN2at6native12_GLOBAL__N_18offset_tEEE10hipError_tPvRmT1_PNSt15iterator_traitsISL_E10value_typeET2_T3_PNSM_ISR_E10value_typeET4_jRbjT5_SX_jjP12ihipStream_tbEUlT_E1_NS1_11comp_targetILNS1_3genE0ELNS1_11target_archE4294967295ELNS1_3gpuE0ELNS1_3repE0EEENS1_59segmented_radix_sort_warp_sort_small_config_static_selectorELNS0_4arch9wavefront6targetE0EEEvSL_,"axG",@progbits,_ZN7rocprim17ROCPRIM_400000_NS6detail17trampoline_kernelINS0_14default_configENS1_36segmented_radix_sort_config_selectorI6__halflEEZNS1_25segmented_radix_sort_implIS3_Lb1EPKS5_PS5_PKlPlN2at6native12_GLOBAL__N_18offset_tEEE10hipError_tPvRmT1_PNSt15iterator_traitsISL_E10value_typeET2_T3_PNSM_ISR_E10value_typeET4_jRbjT5_SX_jjP12ihipStream_tbEUlT_E1_NS1_11comp_targetILNS1_3genE0ELNS1_11target_archE4294967295ELNS1_3gpuE0ELNS1_3repE0EEENS1_59segmented_radix_sort_warp_sort_small_config_static_selectorELNS0_4arch9wavefront6targetE0EEEvSL_,comdat
.Lfunc_end1750:
	.size	_ZN7rocprim17ROCPRIM_400000_NS6detail17trampoline_kernelINS0_14default_configENS1_36segmented_radix_sort_config_selectorI6__halflEEZNS1_25segmented_radix_sort_implIS3_Lb1EPKS5_PS5_PKlPlN2at6native12_GLOBAL__N_18offset_tEEE10hipError_tPvRmT1_PNSt15iterator_traitsISL_E10value_typeET2_T3_PNSM_ISR_E10value_typeET4_jRbjT5_SX_jjP12ihipStream_tbEUlT_E1_NS1_11comp_targetILNS1_3genE0ELNS1_11target_archE4294967295ELNS1_3gpuE0ELNS1_3repE0EEENS1_59segmented_radix_sort_warp_sort_small_config_static_selectorELNS0_4arch9wavefront6targetE0EEEvSL_, .Lfunc_end1750-_ZN7rocprim17ROCPRIM_400000_NS6detail17trampoline_kernelINS0_14default_configENS1_36segmented_radix_sort_config_selectorI6__halflEEZNS1_25segmented_radix_sort_implIS3_Lb1EPKS5_PS5_PKlPlN2at6native12_GLOBAL__N_18offset_tEEE10hipError_tPvRmT1_PNSt15iterator_traitsISL_E10value_typeET2_T3_PNSM_ISR_E10value_typeET4_jRbjT5_SX_jjP12ihipStream_tbEUlT_E1_NS1_11comp_targetILNS1_3genE0ELNS1_11target_archE4294967295ELNS1_3gpuE0ELNS1_3repE0EEENS1_59segmented_radix_sort_warp_sort_small_config_static_selectorELNS0_4arch9wavefront6targetE0EEEvSL_
                                        ; -- End function
	.set _ZN7rocprim17ROCPRIM_400000_NS6detail17trampoline_kernelINS0_14default_configENS1_36segmented_radix_sort_config_selectorI6__halflEEZNS1_25segmented_radix_sort_implIS3_Lb1EPKS5_PS5_PKlPlN2at6native12_GLOBAL__N_18offset_tEEE10hipError_tPvRmT1_PNSt15iterator_traitsISL_E10value_typeET2_T3_PNSM_ISR_E10value_typeET4_jRbjT5_SX_jjP12ihipStream_tbEUlT_E1_NS1_11comp_targetILNS1_3genE0ELNS1_11target_archE4294967295ELNS1_3gpuE0ELNS1_3repE0EEENS1_59segmented_radix_sort_warp_sort_small_config_static_selectorELNS0_4arch9wavefront6targetE0EEEvSL_.num_vgpr, max(32, .L_ZN7rocprim17ROCPRIM_400000_NS6detail26segmented_warp_sort_helperINS1_20WarpSortHelperConfigILj8ELj4ELj256EEE6__halflLi256ELb1EvE4sortIPKS5_PS5_PKlPlEEvT_SA_T0_T1_SD_T2_bjjjjRNS6_12storage_typeE.num_vgpr)
	.set _ZN7rocprim17ROCPRIM_400000_NS6detail17trampoline_kernelINS0_14default_configENS1_36segmented_radix_sort_config_selectorI6__halflEEZNS1_25segmented_radix_sort_implIS3_Lb1EPKS5_PS5_PKlPlN2at6native12_GLOBAL__N_18offset_tEEE10hipError_tPvRmT1_PNSt15iterator_traitsISL_E10value_typeET2_T3_PNSM_ISR_E10value_typeET4_jRbjT5_SX_jjP12ihipStream_tbEUlT_E1_NS1_11comp_targetILNS1_3genE0ELNS1_11target_archE4294967295ELNS1_3gpuE0ELNS1_3repE0EEENS1_59segmented_radix_sort_warp_sort_small_config_static_selectorELNS0_4arch9wavefront6targetE0EEEvSL_.num_agpr, max(0, .L_ZN7rocprim17ROCPRIM_400000_NS6detail26segmented_warp_sort_helperINS1_20WarpSortHelperConfigILj8ELj4ELj256EEE6__halflLi256ELb1EvE4sortIPKS5_PS5_PKlPlEEvT_SA_T0_T1_SD_T2_bjjjjRNS6_12storage_typeE.num_agpr)
	.set _ZN7rocprim17ROCPRIM_400000_NS6detail17trampoline_kernelINS0_14default_configENS1_36segmented_radix_sort_config_selectorI6__halflEEZNS1_25segmented_radix_sort_implIS3_Lb1EPKS5_PS5_PKlPlN2at6native12_GLOBAL__N_18offset_tEEE10hipError_tPvRmT1_PNSt15iterator_traitsISL_E10value_typeET2_T3_PNSM_ISR_E10value_typeET4_jRbjT5_SX_jjP12ihipStream_tbEUlT_E1_NS1_11comp_targetILNS1_3genE0ELNS1_11target_archE4294967295ELNS1_3gpuE0ELNS1_3repE0EEENS1_59segmented_radix_sort_warp_sort_small_config_static_selectorELNS0_4arch9wavefront6targetE0EEEvSL_.numbered_sgpr, max(33, .L_ZN7rocprim17ROCPRIM_400000_NS6detail26segmented_warp_sort_helperINS1_20WarpSortHelperConfigILj8ELj4ELj256EEE6__halflLi256ELb1EvE4sortIPKS5_PS5_PKlPlEEvT_SA_T0_T1_SD_T2_bjjjjRNS6_12storage_typeE.numbered_sgpr)
	.set _ZN7rocprim17ROCPRIM_400000_NS6detail17trampoline_kernelINS0_14default_configENS1_36segmented_radix_sort_config_selectorI6__halflEEZNS1_25segmented_radix_sort_implIS3_Lb1EPKS5_PS5_PKlPlN2at6native12_GLOBAL__N_18offset_tEEE10hipError_tPvRmT1_PNSt15iterator_traitsISL_E10value_typeET2_T3_PNSM_ISR_E10value_typeET4_jRbjT5_SX_jjP12ihipStream_tbEUlT_E1_NS1_11comp_targetILNS1_3genE0ELNS1_11target_archE4294967295ELNS1_3gpuE0ELNS1_3repE0EEENS1_59segmented_radix_sort_warp_sort_small_config_static_selectorELNS0_4arch9wavefront6targetE0EEEvSL_.num_named_barrier, max(0, .L_ZN7rocprim17ROCPRIM_400000_NS6detail26segmented_warp_sort_helperINS1_20WarpSortHelperConfigILj8ELj4ELj256EEE6__halflLi256ELb1EvE4sortIPKS5_PS5_PKlPlEEvT_SA_T0_T1_SD_T2_bjjjjRNS6_12storage_typeE.num_named_barrier)
	.set _ZN7rocprim17ROCPRIM_400000_NS6detail17trampoline_kernelINS0_14default_configENS1_36segmented_radix_sort_config_selectorI6__halflEEZNS1_25segmented_radix_sort_implIS3_Lb1EPKS5_PS5_PKlPlN2at6native12_GLOBAL__N_18offset_tEEE10hipError_tPvRmT1_PNSt15iterator_traitsISL_E10value_typeET2_T3_PNSM_ISR_E10value_typeET4_jRbjT5_SX_jjP12ihipStream_tbEUlT_E1_NS1_11comp_targetILNS1_3genE0ELNS1_11target_archE4294967295ELNS1_3gpuE0ELNS1_3repE0EEENS1_59segmented_radix_sort_warp_sort_small_config_static_selectorELNS0_4arch9wavefront6targetE0EEEvSL_.private_seg_size, 0+max(.L_ZN7rocprim17ROCPRIM_400000_NS6detail26segmented_warp_sort_helperINS1_20WarpSortHelperConfigILj8ELj4ELj256EEE6__halflLi256ELb1EvE4sortIPKS5_PS5_PKlPlEEvT_SA_T0_T1_SD_T2_bjjjjRNS6_12storage_typeE.private_seg_size)
	.set _ZN7rocprim17ROCPRIM_400000_NS6detail17trampoline_kernelINS0_14default_configENS1_36segmented_radix_sort_config_selectorI6__halflEEZNS1_25segmented_radix_sort_implIS3_Lb1EPKS5_PS5_PKlPlN2at6native12_GLOBAL__N_18offset_tEEE10hipError_tPvRmT1_PNSt15iterator_traitsISL_E10value_typeET2_T3_PNSM_ISR_E10value_typeET4_jRbjT5_SX_jjP12ihipStream_tbEUlT_E1_NS1_11comp_targetILNS1_3genE0ELNS1_11target_archE4294967295ELNS1_3gpuE0ELNS1_3repE0EEENS1_59segmented_radix_sort_warp_sort_small_config_static_selectorELNS0_4arch9wavefront6targetE0EEEvSL_.uses_vcc, or(1, .L_ZN7rocprim17ROCPRIM_400000_NS6detail26segmented_warp_sort_helperINS1_20WarpSortHelperConfigILj8ELj4ELj256EEE6__halflLi256ELb1EvE4sortIPKS5_PS5_PKlPlEEvT_SA_T0_T1_SD_T2_bjjjjRNS6_12storage_typeE.uses_vcc)
	.set _ZN7rocprim17ROCPRIM_400000_NS6detail17trampoline_kernelINS0_14default_configENS1_36segmented_radix_sort_config_selectorI6__halflEEZNS1_25segmented_radix_sort_implIS3_Lb1EPKS5_PS5_PKlPlN2at6native12_GLOBAL__N_18offset_tEEE10hipError_tPvRmT1_PNSt15iterator_traitsISL_E10value_typeET2_T3_PNSM_ISR_E10value_typeET4_jRbjT5_SX_jjP12ihipStream_tbEUlT_E1_NS1_11comp_targetILNS1_3genE0ELNS1_11target_archE4294967295ELNS1_3gpuE0ELNS1_3repE0EEENS1_59segmented_radix_sort_warp_sort_small_config_static_selectorELNS0_4arch9wavefront6targetE0EEEvSL_.uses_flat_scratch, or(0, .L_ZN7rocprim17ROCPRIM_400000_NS6detail26segmented_warp_sort_helperINS1_20WarpSortHelperConfigILj8ELj4ELj256EEE6__halflLi256ELb1EvE4sortIPKS5_PS5_PKlPlEEvT_SA_T0_T1_SD_T2_bjjjjRNS6_12storage_typeE.uses_flat_scratch)
	.set _ZN7rocprim17ROCPRIM_400000_NS6detail17trampoline_kernelINS0_14default_configENS1_36segmented_radix_sort_config_selectorI6__halflEEZNS1_25segmented_radix_sort_implIS3_Lb1EPKS5_PS5_PKlPlN2at6native12_GLOBAL__N_18offset_tEEE10hipError_tPvRmT1_PNSt15iterator_traitsISL_E10value_typeET2_T3_PNSM_ISR_E10value_typeET4_jRbjT5_SX_jjP12ihipStream_tbEUlT_E1_NS1_11comp_targetILNS1_3genE0ELNS1_11target_archE4294967295ELNS1_3gpuE0ELNS1_3repE0EEENS1_59segmented_radix_sort_warp_sort_small_config_static_selectorELNS0_4arch9wavefront6targetE0EEEvSL_.has_dyn_sized_stack, or(0, .L_ZN7rocprim17ROCPRIM_400000_NS6detail26segmented_warp_sort_helperINS1_20WarpSortHelperConfigILj8ELj4ELj256EEE6__halflLi256ELb1EvE4sortIPKS5_PS5_PKlPlEEvT_SA_T0_T1_SD_T2_bjjjjRNS6_12storage_typeE.has_dyn_sized_stack)
	.set _ZN7rocprim17ROCPRIM_400000_NS6detail17trampoline_kernelINS0_14default_configENS1_36segmented_radix_sort_config_selectorI6__halflEEZNS1_25segmented_radix_sort_implIS3_Lb1EPKS5_PS5_PKlPlN2at6native12_GLOBAL__N_18offset_tEEE10hipError_tPvRmT1_PNSt15iterator_traitsISL_E10value_typeET2_T3_PNSM_ISR_E10value_typeET4_jRbjT5_SX_jjP12ihipStream_tbEUlT_E1_NS1_11comp_targetILNS1_3genE0ELNS1_11target_archE4294967295ELNS1_3gpuE0ELNS1_3repE0EEENS1_59segmented_radix_sort_warp_sort_small_config_static_selectorELNS0_4arch9wavefront6targetE0EEEvSL_.has_recursion, or(0, .L_ZN7rocprim17ROCPRIM_400000_NS6detail26segmented_warp_sort_helperINS1_20WarpSortHelperConfigILj8ELj4ELj256EEE6__halflLi256ELb1EvE4sortIPKS5_PS5_PKlPlEEvT_SA_T0_T1_SD_T2_bjjjjRNS6_12storage_typeE.has_recursion)
	.set _ZN7rocprim17ROCPRIM_400000_NS6detail17trampoline_kernelINS0_14default_configENS1_36segmented_radix_sort_config_selectorI6__halflEEZNS1_25segmented_radix_sort_implIS3_Lb1EPKS5_PS5_PKlPlN2at6native12_GLOBAL__N_18offset_tEEE10hipError_tPvRmT1_PNSt15iterator_traitsISL_E10value_typeET2_T3_PNSM_ISR_E10value_typeET4_jRbjT5_SX_jjP12ihipStream_tbEUlT_E1_NS1_11comp_targetILNS1_3genE0ELNS1_11target_archE4294967295ELNS1_3gpuE0ELNS1_3repE0EEENS1_59segmented_radix_sort_warp_sort_small_config_static_selectorELNS0_4arch9wavefront6targetE0EEEvSL_.has_indirect_call, or(0, .L_ZN7rocprim17ROCPRIM_400000_NS6detail26segmented_warp_sort_helperINS1_20WarpSortHelperConfigILj8ELj4ELj256EEE6__halflLi256ELb1EvE4sortIPKS5_PS5_PKlPlEEvT_SA_T0_T1_SD_T2_bjjjjRNS6_12storage_typeE.has_indirect_call)
	.section	.AMDGPU.csdata,"",@progbits
; Kernel info:
; codeLenInByte = 408
; TotalNumSgprs: 35
; NumVgprs: 55
; ScratchSize: 0
; MemoryBound: 0
; FloatMode: 240
; IeeeMode: 1
; LDSByteSize: 10240 bytes/workgroup (compile time only)
; SGPRBlocks: 0
; VGPRBlocks: 3
; NumSGPRsForWavesPerEU: 35
; NumVGPRsForWavesPerEU: 55
; NamedBarCnt: 0
; Occupancy: 16
; WaveLimiterHint : 0
; COMPUTE_PGM_RSRC2:SCRATCH_EN: 0
; COMPUTE_PGM_RSRC2:USER_SGPR: 4
; COMPUTE_PGM_RSRC2:TRAP_HANDLER: 0
; COMPUTE_PGM_RSRC2:TGID_X_EN: 1
; COMPUTE_PGM_RSRC2:TGID_Y_EN: 1
; COMPUTE_PGM_RSRC2:TGID_Z_EN: 0
; COMPUTE_PGM_RSRC2:TIDIG_COMP_CNT: 2
	.section	.text._ZN7rocprim17ROCPRIM_400000_NS6detail17trampoline_kernelINS0_14default_configENS1_36segmented_radix_sort_config_selectorI6__halflEEZNS1_25segmented_radix_sort_implIS3_Lb1EPKS5_PS5_PKlPlN2at6native12_GLOBAL__N_18offset_tEEE10hipError_tPvRmT1_PNSt15iterator_traitsISL_E10value_typeET2_T3_PNSM_ISR_E10value_typeET4_jRbjT5_SX_jjP12ihipStream_tbEUlT_E1_NS1_11comp_targetILNS1_3genE5ELNS1_11target_archE942ELNS1_3gpuE9ELNS1_3repE0EEENS1_59segmented_radix_sort_warp_sort_small_config_static_selectorELNS0_4arch9wavefront6targetE0EEEvSL_,"axG",@progbits,_ZN7rocprim17ROCPRIM_400000_NS6detail17trampoline_kernelINS0_14default_configENS1_36segmented_radix_sort_config_selectorI6__halflEEZNS1_25segmented_radix_sort_implIS3_Lb1EPKS5_PS5_PKlPlN2at6native12_GLOBAL__N_18offset_tEEE10hipError_tPvRmT1_PNSt15iterator_traitsISL_E10value_typeET2_T3_PNSM_ISR_E10value_typeET4_jRbjT5_SX_jjP12ihipStream_tbEUlT_E1_NS1_11comp_targetILNS1_3genE5ELNS1_11target_archE942ELNS1_3gpuE9ELNS1_3repE0EEENS1_59segmented_radix_sort_warp_sort_small_config_static_selectorELNS0_4arch9wavefront6targetE0EEEvSL_,comdat
	.globl	_ZN7rocprim17ROCPRIM_400000_NS6detail17trampoline_kernelINS0_14default_configENS1_36segmented_radix_sort_config_selectorI6__halflEEZNS1_25segmented_radix_sort_implIS3_Lb1EPKS5_PS5_PKlPlN2at6native12_GLOBAL__N_18offset_tEEE10hipError_tPvRmT1_PNSt15iterator_traitsISL_E10value_typeET2_T3_PNSM_ISR_E10value_typeET4_jRbjT5_SX_jjP12ihipStream_tbEUlT_E1_NS1_11comp_targetILNS1_3genE5ELNS1_11target_archE942ELNS1_3gpuE9ELNS1_3repE0EEENS1_59segmented_radix_sort_warp_sort_small_config_static_selectorELNS0_4arch9wavefront6targetE0EEEvSL_ ; -- Begin function _ZN7rocprim17ROCPRIM_400000_NS6detail17trampoline_kernelINS0_14default_configENS1_36segmented_radix_sort_config_selectorI6__halflEEZNS1_25segmented_radix_sort_implIS3_Lb1EPKS5_PS5_PKlPlN2at6native12_GLOBAL__N_18offset_tEEE10hipError_tPvRmT1_PNSt15iterator_traitsISL_E10value_typeET2_T3_PNSM_ISR_E10value_typeET4_jRbjT5_SX_jjP12ihipStream_tbEUlT_E1_NS1_11comp_targetILNS1_3genE5ELNS1_11target_archE942ELNS1_3gpuE9ELNS1_3repE0EEENS1_59segmented_radix_sort_warp_sort_small_config_static_selectorELNS0_4arch9wavefront6targetE0EEEvSL_
	.p2align	8
	.type	_ZN7rocprim17ROCPRIM_400000_NS6detail17trampoline_kernelINS0_14default_configENS1_36segmented_radix_sort_config_selectorI6__halflEEZNS1_25segmented_radix_sort_implIS3_Lb1EPKS5_PS5_PKlPlN2at6native12_GLOBAL__N_18offset_tEEE10hipError_tPvRmT1_PNSt15iterator_traitsISL_E10value_typeET2_T3_PNSM_ISR_E10value_typeET4_jRbjT5_SX_jjP12ihipStream_tbEUlT_E1_NS1_11comp_targetILNS1_3genE5ELNS1_11target_archE942ELNS1_3gpuE9ELNS1_3repE0EEENS1_59segmented_radix_sort_warp_sort_small_config_static_selectorELNS0_4arch9wavefront6targetE0EEEvSL_,@function
_ZN7rocprim17ROCPRIM_400000_NS6detail17trampoline_kernelINS0_14default_configENS1_36segmented_radix_sort_config_selectorI6__halflEEZNS1_25segmented_radix_sort_implIS3_Lb1EPKS5_PS5_PKlPlN2at6native12_GLOBAL__N_18offset_tEEE10hipError_tPvRmT1_PNSt15iterator_traitsISL_E10value_typeET2_T3_PNSM_ISR_E10value_typeET4_jRbjT5_SX_jjP12ihipStream_tbEUlT_E1_NS1_11comp_targetILNS1_3genE5ELNS1_11target_archE942ELNS1_3gpuE9ELNS1_3repE0EEENS1_59segmented_radix_sort_warp_sort_small_config_static_selectorELNS0_4arch9wavefront6targetE0EEEvSL_: ; @_ZN7rocprim17ROCPRIM_400000_NS6detail17trampoline_kernelINS0_14default_configENS1_36segmented_radix_sort_config_selectorI6__halflEEZNS1_25segmented_radix_sort_implIS3_Lb1EPKS5_PS5_PKlPlN2at6native12_GLOBAL__N_18offset_tEEE10hipError_tPvRmT1_PNSt15iterator_traitsISL_E10value_typeET2_T3_PNSM_ISR_E10value_typeET4_jRbjT5_SX_jjP12ihipStream_tbEUlT_E1_NS1_11comp_targetILNS1_3genE5ELNS1_11target_archE942ELNS1_3gpuE9ELNS1_3repE0EEENS1_59segmented_radix_sort_warp_sort_small_config_static_selectorELNS0_4arch9wavefront6targetE0EEEvSL_
; %bb.0:
	.section	.rodata,"a",@progbits
	.p2align	6, 0x0
	.amdhsa_kernel _ZN7rocprim17ROCPRIM_400000_NS6detail17trampoline_kernelINS0_14default_configENS1_36segmented_radix_sort_config_selectorI6__halflEEZNS1_25segmented_radix_sort_implIS3_Lb1EPKS5_PS5_PKlPlN2at6native12_GLOBAL__N_18offset_tEEE10hipError_tPvRmT1_PNSt15iterator_traitsISL_E10value_typeET2_T3_PNSM_ISR_E10value_typeET4_jRbjT5_SX_jjP12ihipStream_tbEUlT_E1_NS1_11comp_targetILNS1_3genE5ELNS1_11target_archE942ELNS1_3gpuE9ELNS1_3repE0EEENS1_59segmented_radix_sort_warp_sort_small_config_static_selectorELNS0_4arch9wavefront6targetE0EEEvSL_
		.amdhsa_group_segment_fixed_size 0
		.amdhsa_private_segment_fixed_size 0
		.amdhsa_kernarg_size 88
		.amdhsa_user_sgpr_count 2
		.amdhsa_user_sgpr_dispatch_ptr 0
		.amdhsa_user_sgpr_queue_ptr 0
		.amdhsa_user_sgpr_kernarg_segment_ptr 1
		.amdhsa_user_sgpr_dispatch_id 0
		.amdhsa_user_sgpr_kernarg_preload_length 0
		.amdhsa_user_sgpr_kernarg_preload_offset 0
		.amdhsa_user_sgpr_private_segment_size 0
		.amdhsa_wavefront_size32 1
		.amdhsa_uses_dynamic_stack 0
		.amdhsa_enable_private_segment 0
		.amdhsa_system_sgpr_workgroup_id_x 1
		.amdhsa_system_sgpr_workgroup_id_y 0
		.amdhsa_system_sgpr_workgroup_id_z 0
		.amdhsa_system_sgpr_workgroup_info 0
		.amdhsa_system_vgpr_workitem_id 0
		.amdhsa_next_free_vgpr 1
		.amdhsa_next_free_sgpr 1
		.amdhsa_named_barrier_count 0
		.amdhsa_reserve_vcc 0
		.amdhsa_float_round_mode_32 0
		.amdhsa_float_round_mode_16_64 0
		.amdhsa_float_denorm_mode_32 3
		.amdhsa_float_denorm_mode_16_64 3
		.amdhsa_fp16_overflow 0
		.amdhsa_memory_ordered 1
		.amdhsa_forward_progress 1
		.amdhsa_inst_pref_size 0
		.amdhsa_round_robin_scheduling 0
		.amdhsa_exception_fp_ieee_invalid_op 0
		.amdhsa_exception_fp_denorm_src 0
		.amdhsa_exception_fp_ieee_div_zero 0
		.amdhsa_exception_fp_ieee_overflow 0
		.amdhsa_exception_fp_ieee_underflow 0
		.amdhsa_exception_fp_ieee_inexact 0
		.amdhsa_exception_int_div_zero 0
	.end_amdhsa_kernel
	.section	.text._ZN7rocprim17ROCPRIM_400000_NS6detail17trampoline_kernelINS0_14default_configENS1_36segmented_radix_sort_config_selectorI6__halflEEZNS1_25segmented_radix_sort_implIS3_Lb1EPKS5_PS5_PKlPlN2at6native12_GLOBAL__N_18offset_tEEE10hipError_tPvRmT1_PNSt15iterator_traitsISL_E10value_typeET2_T3_PNSM_ISR_E10value_typeET4_jRbjT5_SX_jjP12ihipStream_tbEUlT_E1_NS1_11comp_targetILNS1_3genE5ELNS1_11target_archE942ELNS1_3gpuE9ELNS1_3repE0EEENS1_59segmented_radix_sort_warp_sort_small_config_static_selectorELNS0_4arch9wavefront6targetE0EEEvSL_,"axG",@progbits,_ZN7rocprim17ROCPRIM_400000_NS6detail17trampoline_kernelINS0_14default_configENS1_36segmented_radix_sort_config_selectorI6__halflEEZNS1_25segmented_radix_sort_implIS3_Lb1EPKS5_PS5_PKlPlN2at6native12_GLOBAL__N_18offset_tEEE10hipError_tPvRmT1_PNSt15iterator_traitsISL_E10value_typeET2_T3_PNSM_ISR_E10value_typeET4_jRbjT5_SX_jjP12ihipStream_tbEUlT_E1_NS1_11comp_targetILNS1_3genE5ELNS1_11target_archE942ELNS1_3gpuE9ELNS1_3repE0EEENS1_59segmented_radix_sort_warp_sort_small_config_static_selectorELNS0_4arch9wavefront6targetE0EEEvSL_,comdat
.Lfunc_end1751:
	.size	_ZN7rocprim17ROCPRIM_400000_NS6detail17trampoline_kernelINS0_14default_configENS1_36segmented_radix_sort_config_selectorI6__halflEEZNS1_25segmented_radix_sort_implIS3_Lb1EPKS5_PS5_PKlPlN2at6native12_GLOBAL__N_18offset_tEEE10hipError_tPvRmT1_PNSt15iterator_traitsISL_E10value_typeET2_T3_PNSM_ISR_E10value_typeET4_jRbjT5_SX_jjP12ihipStream_tbEUlT_E1_NS1_11comp_targetILNS1_3genE5ELNS1_11target_archE942ELNS1_3gpuE9ELNS1_3repE0EEENS1_59segmented_radix_sort_warp_sort_small_config_static_selectorELNS0_4arch9wavefront6targetE0EEEvSL_, .Lfunc_end1751-_ZN7rocprim17ROCPRIM_400000_NS6detail17trampoline_kernelINS0_14default_configENS1_36segmented_radix_sort_config_selectorI6__halflEEZNS1_25segmented_radix_sort_implIS3_Lb1EPKS5_PS5_PKlPlN2at6native12_GLOBAL__N_18offset_tEEE10hipError_tPvRmT1_PNSt15iterator_traitsISL_E10value_typeET2_T3_PNSM_ISR_E10value_typeET4_jRbjT5_SX_jjP12ihipStream_tbEUlT_E1_NS1_11comp_targetILNS1_3genE5ELNS1_11target_archE942ELNS1_3gpuE9ELNS1_3repE0EEENS1_59segmented_radix_sort_warp_sort_small_config_static_selectorELNS0_4arch9wavefront6targetE0EEEvSL_
                                        ; -- End function
	.set _ZN7rocprim17ROCPRIM_400000_NS6detail17trampoline_kernelINS0_14default_configENS1_36segmented_radix_sort_config_selectorI6__halflEEZNS1_25segmented_radix_sort_implIS3_Lb1EPKS5_PS5_PKlPlN2at6native12_GLOBAL__N_18offset_tEEE10hipError_tPvRmT1_PNSt15iterator_traitsISL_E10value_typeET2_T3_PNSM_ISR_E10value_typeET4_jRbjT5_SX_jjP12ihipStream_tbEUlT_E1_NS1_11comp_targetILNS1_3genE5ELNS1_11target_archE942ELNS1_3gpuE9ELNS1_3repE0EEENS1_59segmented_radix_sort_warp_sort_small_config_static_selectorELNS0_4arch9wavefront6targetE0EEEvSL_.num_vgpr, 0
	.set _ZN7rocprim17ROCPRIM_400000_NS6detail17trampoline_kernelINS0_14default_configENS1_36segmented_radix_sort_config_selectorI6__halflEEZNS1_25segmented_radix_sort_implIS3_Lb1EPKS5_PS5_PKlPlN2at6native12_GLOBAL__N_18offset_tEEE10hipError_tPvRmT1_PNSt15iterator_traitsISL_E10value_typeET2_T3_PNSM_ISR_E10value_typeET4_jRbjT5_SX_jjP12ihipStream_tbEUlT_E1_NS1_11comp_targetILNS1_3genE5ELNS1_11target_archE942ELNS1_3gpuE9ELNS1_3repE0EEENS1_59segmented_radix_sort_warp_sort_small_config_static_selectorELNS0_4arch9wavefront6targetE0EEEvSL_.num_agpr, 0
	.set _ZN7rocprim17ROCPRIM_400000_NS6detail17trampoline_kernelINS0_14default_configENS1_36segmented_radix_sort_config_selectorI6__halflEEZNS1_25segmented_radix_sort_implIS3_Lb1EPKS5_PS5_PKlPlN2at6native12_GLOBAL__N_18offset_tEEE10hipError_tPvRmT1_PNSt15iterator_traitsISL_E10value_typeET2_T3_PNSM_ISR_E10value_typeET4_jRbjT5_SX_jjP12ihipStream_tbEUlT_E1_NS1_11comp_targetILNS1_3genE5ELNS1_11target_archE942ELNS1_3gpuE9ELNS1_3repE0EEENS1_59segmented_radix_sort_warp_sort_small_config_static_selectorELNS0_4arch9wavefront6targetE0EEEvSL_.numbered_sgpr, 0
	.set _ZN7rocprim17ROCPRIM_400000_NS6detail17trampoline_kernelINS0_14default_configENS1_36segmented_radix_sort_config_selectorI6__halflEEZNS1_25segmented_radix_sort_implIS3_Lb1EPKS5_PS5_PKlPlN2at6native12_GLOBAL__N_18offset_tEEE10hipError_tPvRmT1_PNSt15iterator_traitsISL_E10value_typeET2_T3_PNSM_ISR_E10value_typeET4_jRbjT5_SX_jjP12ihipStream_tbEUlT_E1_NS1_11comp_targetILNS1_3genE5ELNS1_11target_archE942ELNS1_3gpuE9ELNS1_3repE0EEENS1_59segmented_radix_sort_warp_sort_small_config_static_selectorELNS0_4arch9wavefront6targetE0EEEvSL_.num_named_barrier, 0
	.set _ZN7rocprim17ROCPRIM_400000_NS6detail17trampoline_kernelINS0_14default_configENS1_36segmented_radix_sort_config_selectorI6__halflEEZNS1_25segmented_radix_sort_implIS3_Lb1EPKS5_PS5_PKlPlN2at6native12_GLOBAL__N_18offset_tEEE10hipError_tPvRmT1_PNSt15iterator_traitsISL_E10value_typeET2_T3_PNSM_ISR_E10value_typeET4_jRbjT5_SX_jjP12ihipStream_tbEUlT_E1_NS1_11comp_targetILNS1_3genE5ELNS1_11target_archE942ELNS1_3gpuE9ELNS1_3repE0EEENS1_59segmented_radix_sort_warp_sort_small_config_static_selectorELNS0_4arch9wavefront6targetE0EEEvSL_.private_seg_size, 0
	.set _ZN7rocprim17ROCPRIM_400000_NS6detail17trampoline_kernelINS0_14default_configENS1_36segmented_radix_sort_config_selectorI6__halflEEZNS1_25segmented_radix_sort_implIS3_Lb1EPKS5_PS5_PKlPlN2at6native12_GLOBAL__N_18offset_tEEE10hipError_tPvRmT1_PNSt15iterator_traitsISL_E10value_typeET2_T3_PNSM_ISR_E10value_typeET4_jRbjT5_SX_jjP12ihipStream_tbEUlT_E1_NS1_11comp_targetILNS1_3genE5ELNS1_11target_archE942ELNS1_3gpuE9ELNS1_3repE0EEENS1_59segmented_radix_sort_warp_sort_small_config_static_selectorELNS0_4arch9wavefront6targetE0EEEvSL_.uses_vcc, 0
	.set _ZN7rocprim17ROCPRIM_400000_NS6detail17trampoline_kernelINS0_14default_configENS1_36segmented_radix_sort_config_selectorI6__halflEEZNS1_25segmented_radix_sort_implIS3_Lb1EPKS5_PS5_PKlPlN2at6native12_GLOBAL__N_18offset_tEEE10hipError_tPvRmT1_PNSt15iterator_traitsISL_E10value_typeET2_T3_PNSM_ISR_E10value_typeET4_jRbjT5_SX_jjP12ihipStream_tbEUlT_E1_NS1_11comp_targetILNS1_3genE5ELNS1_11target_archE942ELNS1_3gpuE9ELNS1_3repE0EEENS1_59segmented_radix_sort_warp_sort_small_config_static_selectorELNS0_4arch9wavefront6targetE0EEEvSL_.uses_flat_scratch, 0
	.set _ZN7rocprim17ROCPRIM_400000_NS6detail17trampoline_kernelINS0_14default_configENS1_36segmented_radix_sort_config_selectorI6__halflEEZNS1_25segmented_radix_sort_implIS3_Lb1EPKS5_PS5_PKlPlN2at6native12_GLOBAL__N_18offset_tEEE10hipError_tPvRmT1_PNSt15iterator_traitsISL_E10value_typeET2_T3_PNSM_ISR_E10value_typeET4_jRbjT5_SX_jjP12ihipStream_tbEUlT_E1_NS1_11comp_targetILNS1_3genE5ELNS1_11target_archE942ELNS1_3gpuE9ELNS1_3repE0EEENS1_59segmented_radix_sort_warp_sort_small_config_static_selectorELNS0_4arch9wavefront6targetE0EEEvSL_.has_dyn_sized_stack, 0
	.set _ZN7rocprim17ROCPRIM_400000_NS6detail17trampoline_kernelINS0_14default_configENS1_36segmented_radix_sort_config_selectorI6__halflEEZNS1_25segmented_radix_sort_implIS3_Lb1EPKS5_PS5_PKlPlN2at6native12_GLOBAL__N_18offset_tEEE10hipError_tPvRmT1_PNSt15iterator_traitsISL_E10value_typeET2_T3_PNSM_ISR_E10value_typeET4_jRbjT5_SX_jjP12ihipStream_tbEUlT_E1_NS1_11comp_targetILNS1_3genE5ELNS1_11target_archE942ELNS1_3gpuE9ELNS1_3repE0EEENS1_59segmented_radix_sort_warp_sort_small_config_static_selectorELNS0_4arch9wavefront6targetE0EEEvSL_.has_recursion, 0
	.set _ZN7rocprim17ROCPRIM_400000_NS6detail17trampoline_kernelINS0_14default_configENS1_36segmented_radix_sort_config_selectorI6__halflEEZNS1_25segmented_radix_sort_implIS3_Lb1EPKS5_PS5_PKlPlN2at6native12_GLOBAL__N_18offset_tEEE10hipError_tPvRmT1_PNSt15iterator_traitsISL_E10value_typeET2_T3_PNSM_ISR_E10value_typeET4_jRbjT5_SX_jjP12ihipStream_tbEUlT_E1_NS1_11comp_targetILNS1_3genE5ELNS1_11target_archE942ELNS1_3gpuE9ELNS1_3repE0EEENS1_59segmented_radix_sort_warp_sort_small_config_static_selectorELNS0_4arch9wavefront6targetE0EEEvSL_.has_indirect_call, 0
	.section	.AMDGPU.csdata,"",@progbits
; Kernel info:
; codeLenInByte = 0
; TotalNumSgprs: 0
; NumVgprs: 0
; ScratchSize: 0
; MemoryBound: 0
; FloatMode: 240
; IeeeMode: 1
; LDSByteSize: 0 bytes/workgroup (compile time only)
; SGPRBlocks: 0
; VGPRBlocks: 0
; NumSGPRsForWavesPerEU: 1
; NumVGPRsForWavesPerEU: 1
; NamedBarCnt: 0
; Occupancy: 16
; WaveLimiterHint : 0
; COMPUTE_PGM_RSRC2:SCRATCH_EN: 0
; COMPUTE_PGM_RSRC2:USER_SGPR: 2
; COMPUTE_PGM_RSRC2:TRAP_HANDLER: 0
; COMPUTE_PGM_RSRC2:TGID_X_EN: 1
; COMPUTE_PGM_RSRC2:TGID_Y_EN: 0
; COMPUTE_PGM_RSRC2:TGID_Z_EN: 0
; COMPUTE_PGM_RSRC2:TIDIG_COMP_CNT: 0
	.section	.text._ZN7rocprim17ROCPRIM_400000_NS6detail17trampoline_kernelINS0_14default_configENS1_36segmented_radix_sort_config_selectorI6__halflEEZNS1_25segmented_radix_sort_implIS3_Lb1EPKS5_PS5_PKlPlN2at6native12_GLOBAL__N_18offset_tEEE10hipError_tPvRmT1_PNSt15iterator_traitsISL_E10value_typeET2_T3_PNSM_ISR_E10value_typeET4_jRbjT5_SX_jjP12ihipStream_tbEUlT_E1_NS1_11comp_targetILNS1_3genE4ELNS1_11target_archE910ELNS1_3gpuE8ELNS1_3repE0EEENS1_59segmented_radix_sort_warp_sort_small_config_static_selectorELNS0_4arch9wavefront6targetE0EEEvSL_,"axG",@progbits,_ZN7rocprim17ROCPRIM_400000_NS6detail17trampoline_kernelINS0_14default_configENS1_36segmented_radix_sort_config_selectorI6__halflEEZNS1_25segmented_radix_sort_implIS3_Lb1EPKS5_PS5_PKlPlN2at6native12_GLOBAL__N_18offset_tEEE10hipError_tPvRmT1_PNSt15iterator_traitsISL_E10value_typeET2_T3_PNSM_ISR_E10value_typeET4_jRbjT5_SX_jjP12ihipStream_tbEUlT_E1_NS1_11comp_targetILNS1_3genE4ELNS1_11target_archE910ELNS1_3gpuE8ELNS1_3repE0EEENS1_59segmented_radix_sort_warp_sort_small_config_static_selectorELNS0_4arch9wavefront6targetE0EEEvSL_,comdat
	.globl	_ZN7rocprim17ROCPRIM_400000_NS6detail17trampoline_kernelINS0_14default_configENS1_36segmented_radix_sort_config_selectorI6__halflEEZNS1_25segmented_radix_sort_implIS3_Lb1EPKS5_PS5_PKlPlN2at6native12_GLOBAL__N_18offset_tEEE10hipError_tPvRmT1_PNSt15iterator_traitsISL_E10value_typeET2_T3_PNSM_ISR_E10value_typeET4_jRbjT5_SX_jjP12ihipStream_tbEUlT_E1_NS1_11comp_targetILNS1_3genE4ELNS1_11target_archE910ELNS1_3gpuE8ELNS1_3repE0EEENS1_59segmented_radix_sort_warp_sort_small_config_static_selectorELNS0_4arch9wavefront6targetE0EEEvSL_ ; -- Begin function _ZN7rocprim17ROCPRIM_400000_NS6detail17trampoline_kernelINS0_14default_configENS1_36segmented_radix_sort_config_selectorI6__halflEEZNS1_25segmented_radix_sort_implIS3_Lb1EPKS5_PS5_PKlPlN2at6native12_GLOBAL__N_18offset_tEEE10hipError_tPvRmT1_PNSt15iterator_traitsISL_E10value_typeET2_T3_PNSM_ISR_E10value_typeET4_jRbjT5_SX_jjP12ihipStream_tbEUlT_E1_NS1_11comp_targetILNS1_3genE4ELNS1_11target_archE910ELNS1_3gpuE8ELNS1_3repE0EEENS1_59segmented_radix_sort_warp_sort_small_config_static_selectorELNS0_4arch9wavefront6targetE0EEEvSL_
	.p2align	8
	.type	_ZN7rocprim17ROCPRIM_400000_NS6detail17trampoline_kernelINS0_14default_configENS1_36segmented_radix_sort_config_selectorI6__halflEEZNS1_25segmented_radix_sort_implIS3_Lb1EPKS5_PS5_PKlPlN2at6native12_GLOBAL__N_18offset_tEEE10hipError_tPvRmT1_PNSt15iterator_traitsISL_E10value_typeET2_T3_PNSM_ISR_E10value_typeET4_jRbjT5_SX_jjP12ihipStream_tbEUlT_E1_NS1_11comp_targetILNS1_3genE4ELNS1_11target_archE910ELNS1_3gpuE8ELNS1_3repE0EEENS1_59segmented_radix_sort_warp_sort_small_config_static_selectorELNS0_4arch9wavefront6targetE0EEEvSL_,@function
_ZN7rocprim17ROCPRIM_400000_NS6detail17trampoline_kernelINS0_14default_configENS1_36segmented_radix_sort_config_selectorI6__halflEEZNS1_25segmented_radix_sort_implIS3_Lb1EPKS5_PS5_PKlPlN2at6native12_GLOBAL__N_18offset_tEEE10hipError_tPvRmT1_PNSt15iterator_traitsISL_E10value_typeET2_T3_PNSM_ISR_E10value_typeET4_jRbjT5_SX_jjP12ihipStream_tbEUlT_E1_NS1_11comp_targetILNS1_3genE4ELNS1_11target_archE910ELNS1_3gpuE8ELNS1_3repE0EEENS1_59segmented_radix_sort_warp_sort_small_config_static_selectorELNS0_4arch9wavefront6targetE0EEEvSL_: ; @_ZN7rocprim17ROCPRIM_400000_NS6detail17trampoline_kernelINS0_14default_configENS1_36segmented_radix_sort_config_selectorI6__halflEEZNS1_25segmented_radix_sort_implIS3_Lb1EPKS5_PS5_PKlPlN2at6native12_GLOBAL__N_18offset_tEEE10hipError_tPvRmT1_PNSt15iterator_traitsISL_E10value_typeET2_T3_PNSM_ISR_E10value_typeET4_jRbjT5_SX_jjP12ihipStream_tbEUlT_E1_NS1_11comp_targetILNS1_3genE4ELNS1_11target_archE910ELNS1_3gpuE8ELNS1_3repE0EEENS1_59segmented_radix_sort_warp_sort_small_config_static_selectorELNS0_4arch9wavefront6targetE0EEEvSL_
; %bb.0:
	.section	.rodata,"a",@progbits
	.p2align	6, 0x0
	.amdhsa_kernel _ZN7rocprim17ROCPRIM_400000_NS6detail17trampoline_kernelINS0_14default_configENS1_36segmented_radix_sort_config_selectorI6__halflEEZNS1_25segmented_radix_sort_implIS3_Lb1EPKS5_PS5_PKlPlN2at6native12_GLOBAL__N_18offset_tEEE10hipError_tPvRmT1_PNSt15iterator_traitsISL_E10value_typeET2_T3_PNSM_ISR_E10value_typeET4_jRbjT5_SX_jjP12ihipStream_tbEUlT_E1_NS1_11comp_targetILNS1_3genE4ELNS1_11target_archE910ELNS1_3gpuE8ELNS1_3repE0EEENS1_59segmented_radix_sort_warp_sort_small_config_static_selectorELNS0_4arch9wavefront6targetE0EEEvSL_
		.amdhsa_group_segment_fixed_size 0
		.amdhsa_private_segment_fixed_size 0
		.amdhsa_kernarg_size 88
		.amdhsa_user_sgpr_count 2
		.amdhsa_user_sgpr_dispatch_ptr 0
		.amdhsa_user_sgpr_queue_ptr 0
		.amdhsa_user_sgpr_kernarg_segment_ptr 1
		.amdhsa_user_sgpr_dispatch_id 0
		.amdhsa_user_sgpr_kernarg_preload_length 0
		.amdhsa_user_sgpr_kernarg_preload_offset 0
		.amdhsa_user_sgpr_private_segment_size 0
		.amdhsa_wavefront_size32 1
		.amdhsa_uses_dynamic_stack 0
		.amdhsa_enable_private_segment 0
		.amdhsa_system_sgpr_workgroup_id_x 1
		.amdhsa_system_sgpr_workgroup_id_y 0
		.amdhsa_system_sgpr_workgroup_id_z 0
		.amdhsa_system_sgpr_workgroup_info 0
		.amdhsa_system_vgpr_workitem_id 0
		.amdhsa_next_free_vgpr 1
		.amdhsa_next_free_sgpr 1
		.amdhsa_named_barrier_count 0
		.amdhsa_reserve_vcc 0
		.amdhsa_float_round_mode_32 0
		.amdhsa_float_round_mode_16_64 0
		.amdhsa_float_denorm_mode_32 3
		.amdhsa_float_denorm_mode_16_64 3
		.amdhsa_fp16_overflow 0
		.amdhsa_memory_ordered 1
		.amdhsa_forward_progress 1
		.amdhsa_inst_pref_size 0
		.amdhsa_round_robin_scheduling 0
		.amdhsa_exception_fp_ieee_invalid_op 0
		.amdhsa_exception_fp_denorm_src 0
		.amdhsa_exception_fp_ieee_div_zero 0
		.amdhsa_exception_fp_ieee_overflow 0
		.amdhsa_exception_fp_ieee_underflow 0
		.amdhsa_exception_fp_ieee_inexact 0
		.amdhsa_exception_int_div_zero 0
	.end_amdhsa_kernel
	.section	.text._ZN7rocprim17ROCPRIM_400000_NS6detail17trampoline_kernelINS0_14default_configENS1_36segmented_radix_sort_config_selectorI6__halflEEZNS1_25segmented_radix_sort_implIS3_Lb1EPKS5_PS5_PKlPlN2at6native12_GLOBAL__N_18offset_tEEE10hipError_tPvRmT1_PNSt15iterator_traitsISL_E10value_typeET2_T3_PNSM_ISR_E10value_typeET4_jRbjT5_SX_jjP12ihipStream_tbEUlT_E1_NS1_11comp_targetILNS1_3genE4ELNS1_11target_archE910ELNS1_3gpuE8ELNS1_3repE0EEENS1_59segmented_radix_sort_warp_sort_small_config_static_selectorELNS0_4arch9wavefront6targetE0EEEvSL_,"axG",@progbits,_ZN7rocprim17ROCPRIM_400000_NS6detail17trampoline_kernelINS0_14default_configENS1_36segmented_radix_sort_config_selectorI6__halflEEZNS1_25segmented_radix_sort_implIS3_Lb1EPKS5_PS5_PKlPlN2at6native12_GLOBAL__N_18offset_tEEE10hipError_tPvRmT1_PNSt15iterator_traitsISL_E10value_typeET2_T3_PNSM_ISR_E10value_typeET4_jRbjT5_SX_jjP12ihipStream_tbEUlT_E1_NS1_11comp_targetILNS1_3genE4ELNS1_11target_archE910ELNS1_3gpuE8ELNS1_3repE0EEENS1_59segmented_radix_sort_warp_sort_small_config_static_selectorELNS0_4arch9wavefront6targetE0EEEvSL_,comdat
.Lfunc_end1752:
	.size	_ZN7rocprim17ROCPRIM_400000_NS6detail17trampoline_kernelINS0_14default_configENS1_36segmented_radix_sort_config_selectorI6__halflEEZNS1_25segmented_radix_sort_implIS3_Lb1EPKS5_PS5_PKlPlN2at6native12_GLOBAL__N_18offset_tEEE10hipError_tPvRmT1_PNSt15iterator_traitsISL_E10value_typeET2_T3_PNSM_ISR_E10value_typeET4_jRbjT5_SX_jjP12ihipStream_tbEUlT_E1_NS1_11comp_targetILNS1_3genE4ELNS1_11target_archE910ELNS1_3gpuE8ELNS1_3repE0EEENS1_59segmented_radix_sort_warp_sort_small_config_static_selectorELNS0_4arch9wavefront6targetE0EEEvSL_, .Lfunc_end1752-_ZN7rocprim17ROCPRIM_400000_NS6detail17trampoline_kernelINS0_14default_configENS1_36segmented_radix_sort_config_selectorI6__halflEEZNS1_25segmented_radix_sort_implIS3_Lb1EPKS5_PS5_PKlPlN2at6native12_GLOBAL__N_18offset_tEEE10hipError_tPvRmT1_PNSt15iterator_traitsISL_E10value_typeET2_T3_PNSM_ISR_E10value_typeET4_jRbjT5_SX_jjP12ihipStream_tbEUlT_E1_NS1_11comp_targetILNS1_3genE4ELNS1_11target_archE910ELNS1_3gpuE8ELNS1_3repE0EEENS1_59segmented_radix_sort_warp_sort_small_config_static_selectorELNS0_4arch9wavefront6targetE0EEEvSL_
                                        ; -- End function
	.set _ZN7rocprim17ROCPRIM_400000_NS6detail17trampoline_kernelINS0_14default_configENS1_36segmented_radix_sort_config_selectorI6__halflEEZNS1_25segmented_radix_sort_implIS3_Lb1EPKS5_PS5_PKlPlN2at6native12_GLOBAL__N_18offset_tEEE10hipError_tPvRmT1_PNSt15iterator_traitsISL_E10value_typeET2_T3_PNSM_ISR_E10value_typeET4_jRbjT5_SX_jjP12ihipStream_tbEUlT_E1_NS1_11comp_targetILNS1_3genE4ELNS1_11target_archE910ELNS1_3gpuE8ELNS1_3repE0EEENS1_59segmented_radix_sort_warp_sort_small_config_static_selectorELNS0_4arch9wavefront6targetE0EEEvSL_.num_vgpr, 0
	.set _ZN7rocprim17ROCPRIM_400000_NS6detail17trampoline_kernelINS0_14default_configENS1_36segmented_radix_sort_config_selectorI6__halflEEZNS1_25segmented_radix_sort_implIS3_Lb1EPKS5_PS5_PKlPlN2at6native12_GLOBAL__N_18offset_tEEE10hipError_tPvRmT1_PNSt15iterator_traitsISL_E10value_typeET2_T3_PNSM_ISR_E10value_typeET4_jRbjT5_SX_jjP12ihipStream_tbEUlT_E1_NS1_11comp_targetILNS1_3genE4ELNS1_11target_archE910ELNS1_3gpuE8ELNS1_3repE0EEENS1_59segmented_radix_sort_warp_sort_small_config_static_selectorELNS0_4arch9wavefront6targetE0EEEvSL_.num_agpr, 0
	.set _ZN7rocprim17ROCPRIM_400000_NS6detail17trampoline_kernelINS0_14default_configENS1_36segmented_radix_sort_config_selectorI6__halflEEZNS1_25segmented_radix_sort_implIS3_Lb1EPKS5_PS5_PKlPlN2at6native12_GLOBAL__N_18offset_tEEE10hipError_tPvRmT1_PNSt15iterator_traitsISL_E10value_typeET2_T3_PNSM_ISR_E10value_typeET4_jRbjT5_SX_jjP12ihipStream_tbEUlT_E1_NS1_11comp_targetILNS1_3genE4ELNS1_11target_archE910ELNS1_3gpuE8ELNS1_3repE0EEENS1_59segmented_radix_sort_warp_sort_small_config_static_selectorELNS0_4arch9wavefront6targetE0EEEvSL_.numbered_sgpr, 0
	.set _ZN7rocprim17ROCPRIM_400000_NS6detail17trampoline_kernelINS0_14default_configENS1_36segmented_radix_sort_config_selectorI6__halflEEZNS1_25segmented_radix_sort_implIS3_Lb1EPKS5_PS5_PKlPlN2at6native12_GLOBAL__N_18offset_tEEE10hipError_tPvRmT1_PNSt15iterator_traitsISL_E10value_typeET2_T3_PNSM_ISR_E10value_typeET4_jRbjT5_SX_jjP12ihipStream_tbEUlT_E1_NS1_11comp_targetILNS1_3genE4ELNS1_11target_archE910ELNS1_3gpuE8ELNS1_3repE0EEENS1_59segmented_radix_sort_warp_sort_small_config_static_selectorELNS0_4arch9wavefront6targetE0EEEvSL_.num_named_barrier, 0
	.set _ZN7rocprim17ROCPRIM_400000_NS6detail17trampoline_kernelINS0_14default_configENS1_36segmented_radix_sort_config_selectorI6__halflEEZNS1_25segmented_radix_sort_implIS3_Lb1EPKS5_PS5_PKlPlN2at6native12_GLOBAL__N_18offset_tEEE10hipError_tPvRmT1_PNSt15iterator_traitsISL_E10value_typeET2_T3_PNSM_ISR_E10value_typeET4_jRbjT5_SX_jjP12ihipStream_tbEUlT_E1_NS1_11comp_targetILNS1_3genE4ELNS1_11target_archE910ELNS1_3gpuE8ELNS1_3repE0EEENS1_59segmented_radix_sort_warp_sort_small_config_static_selectorELNS0_4arch9wavefront6targetE0EEEvSL_.private_seg_size, 0
	.set _ZN7rocprim17ROCPRIM_400000_NS6detail17trampoline_kernelINS0_14default_configENS1_36segmented_radix_sort_config_selectorI6__halflEEZNS1_25segmented_radix_sort_implIS3_Lb1EPKS5_PS5_PKlPlN2at6native12_GLOBAL__N_18offset_tEEE10hipError_tPvRmT1_PNSt15iterator_traitsISL_E10value_typeET2_T3_PNSM_ISR_E10value_typeET4_jRbjT5_SX_jjP12ihipStream_tbEUlT_E1_NS1_11comp_targetILNS1_3genE4ELNS1_11target_archE910ELNS1_3gpuE8ELNS1_3repE0EEENS1_59segmented_radix_sort_warp_sort_small_config_static_selectorELNS0_4arch9wavefront6targetE0EEEvSL_.uses_vcc, 0
	.set _ZN7rocprim17ROCPRIM_400000_NS6detail17trampoline_kernelINS0_14default_configENS1_36segmented_radix_sort_config_selectorI6__halflEEZNS1_25segmented_radix_sort_implIS3_Lb1EPKS5_PS5_PKlPlN2at6native12_GLOBAL__N_18offset_tEEE10hipError_tPvRmT1_PNSt15iterator_traitsISL_E10value_typeET2_T3_PNSM_ISR_E10value_typeET4_jRbjT5_SX_jjP12ihipStream_tbEUlT_E1_NS1_11comp_targetILNS1_3genE4ELNS1_11target_archE910ELNS1_3gpuE8ELNS1_3repE0EEENS1_59segmented_radix_sort_warp_sort_small_config_static_selectorELNS0_4arch9wavefront6targetE0EEEvSL_.uses_flat_scratch, 0
	.set _ZN7rocprim17ROCPRIM_400000_NS6detail17trampoline_kernelINS0_14default_configENS1_36segmented_radix_sort_config_selectorI6__halflEEZNS1_25segmented_radix_sort_implIS3_Lb1EPKS5_PS5_PKlPlN2at6native12_GLOBAL__N_18offset_tEEE10hipError_tPvRmT1_PNSt15iterator_traitsISL_E10value_typeET2_T3_PNSM_ISR_E10value_typeET4_jRbjT5_SX_jjP12ihipStream_tbEUlT_E1_NS1_11comp_targetILNS1_3genE4ELNS1_11target_archE910ELNS1_3gpuE8ELNS1_3repE0EEENS1_59segmented_radix_sort_warp_sort_small_config_static_selectorELNS0_4arch9wavefront6targetE0EEEvSL_.has_dyn_sized_stack, 0
	.set _ZN7rocprim17ROCPRIM_400000_NS6detail17trampoline_kernelINS0_14default_configENS1_36segmented_radix_sort_config_selectorI6__halflEEZNS1_25segmented_radix_sort_implIS3_Lb1EPKS5_PS5_PKlPlN2at6native12_GLOBAL__N_18offset_tEEE10hipError_tPvRmT1_PNSt15iterator_traitsISL_E10value_typeET2_T3_PNSM_ISR_E10value_typeET4_jRbjT5_SX_jjP12ihipStream_tbEUlT_E1_NS1_11comp_targetILNS1_3genE4ELNS1_11target_archE910ELNS1_3gpuE8ELNS1_3repE0EEENS1_59segmented_radix_sort_warp_sort_small_config_static_selectorELNS0_4arch9wavefront6targetE0EEEvSL_.has_recursion, 0
	.set _ZN7rocprim17ROCPRIM_400000_NS6detail17trampoline_kernelINS0_14default_configENS1_36segmented_radix_sort_config_selectorI6__halflEEZNS1_25segmented_radix_sort_implIS3_Lb1EPKS5_PS5_PKlPlN2at6native12_GLOBAL__N_18offset_tEEE10hipError_tPvRmT1_PNSt15iterator_traitsISL_E10value_typeET2_T3_PNSM_ISR_E10value_typeET4_jRbjT5_SX_jjP12ihipStream_tbEUlT_E1_NS1_11comp_targetILNS1_3genE4ELNS1_11target_archE910ELNS1_3gpuE8ELNS1_3repE0EEENS1_59segmented_radix_sort_warp_sort_small_config_static_selectorELNS0_4arch9wavefront6targetE0EEEvSL_.has_indirect_call, 0
	.section	.AMDGPU.csdata,"",@progbits
; Kernel info:
; codeLenInByte = 0
; TotalNumSgprs: 0
; NumVgprs: 0
; ScratchSize: 0
; MemoryBound: 0
; FloatMode: 240
; IeeeMode: 1
; LDSByteSize: 0 bytes/workgroup (compile time only)
; SGPRBlocks: 0
; VGPRBlocks: 0
; NumSGPRsForWavesPerEU: 1
; NumVGPRsForWavesPerEU: 1
; NamedBarCnt: 0
; Occupancy: 16
; WaveLimiterHint : 0
; COMPUTE_PGM_RSRC2:SCRATCH_EN: 0
; COMPUTE_PGM_RSRC2:USER_SGPR: 2
; COMPUTE_PGM_RSRC2:TRAP_HANDLER: 0
; COMPUTE_PGM_RSRC2:TGID_X_EN: 1
; COMPUTE_PGM_RSRC2:TGID_Y_EN: 0
; COMPUTE_PGM_RSRC2:TGID_Z_EN: 0
; COMPUTE_PGM_RSRC2:TIDIG_COMP_CNT: 0
	.section	.text._ZN7rocprim17ROCPRIM_400000_NS6detail17trampoline_kernelINS0_14default_configENS1_36segmented_radix_sort_config_selectorI6__halflEEZNS1_25segmented_radix_sort_implIS3_Lb1EPKS5_PS5_PKlPlN2at6native12_GLOBAL__N_18offset_tEEE10hipError_tPvRmT1_PNSt15iterator_traitsISL_E10value_typeET2_T3_PNSM_ISR_E10value_typeET4_jRbjT5_SX_jjP12ihipStream_tbEUlT_E1_NS1_11comp_targetILNS1_3genE3ELNS1_11target_archE908ELNS1_3gpuE7ELNS1_3repE0EEENS1_59segmented_radix_sort_warp_sort_small_config_static_selectorELNS0_4arch9wavefront6targetE0EEEvSL_,"axG",@progbits,_ZN7rocprim17ROCPRIM_400000_NS6detail17trampoline_kernelINS0_14default_configENS1_36segmented_radix_sort_config_selectorI6__halflEEZNS1_25segmented_radix_sort_implIS3_Lb1EPKS5_PS5_PKlPlN2at6native12_GLOBAL__N_18offset_tEEE10hipError_tPvRmT1_PNSt15iterator_traitsISL_E10value_typeET2_T3_PNSM_ISR_E10value_typeET4_jRbjT5_SX_jjP12ihipStream_tbEUlT_E1_NS1_11comp_targetILNS1_3genE3ELNS1_11target_archE908ELNS1_3gpuE7ELNS1_3repE0EEENS1_59segmented_radix_sort_warp_sort_small_config_static_selectorELNS0_4arch9wavefront6targetE0EEEvSL_,comdat
	.globl	_ZN7rocprim17ROCPRIM_400000_NS6detail17trampoline_kernelINS0_14default_configENS1_36segmented_radix_sort_config_selectorI6__halflEEZNS1_25segmented_radix_sort_implIS3_Lb1EPKS5_PS5_PKlPlN2at6native12_GLOBAL__N_18offset_tEEE10hipError_tPvRmT1_PNSt15iterator_traitsISL_E10value_typeET2_T3_PNSM_ISR_E10value_typeET4_jRbjT5_SX_jjP12ihipStream_tbEUlT_E1_NS1_11comp_targetILNS1_3genE3ELNS1_11target_archE908ELNS1_3gpuE7ELNS1_3repE0EEENS1_59segmented_radix_sort_warp_sort_small_config_static_selectorELNS0_4arch9wavefront6targetE0EEEvSL_ ; -- Begin function _ZN7rocprim17ROCPRIM_400000_NS6detail17trampoline_kernelINS0_14default_configENS1_36segmented_radix_sort_config_selectorI6__halflEEZNS1_25segmented_radix_sort_implIS3_Lb1EPKS5_PS5_PKlPlN2at6native12_GLOBAL__N_18offset_tEEE10hipError_tPvRmT1_PNSt15iterator_traitsISL_E10value_typeET2_T3_PNSM_ISR_E10value_typeET4_jRbjT5_SX_jjP12ihipStream_tbEUlT_E1_NS1_11comp_targetILNS1_3genE3ELNS1_11target_archE908ELNS1_3gpuE7ELNS1_3repE0EEENS1_59segmented_radix_sort_warp_sort_small_config_static_selectorELNS0_4arch9wavefront6targetE0EEEvSL_
	.p2align	8
	.type	_ZN7rocprim17ROCPRIM_400000_NS6detail17trampoline_kernelINS0_14default_configENS1_36segmented_radix_sort_config_selectorI6__halflEEZNS1_25segmented_radix_sort_implIS3_Lb1EPKS5_PS5_PKlPlN2at6native12_GLOBAL__N_18offset_tEEE10hipError_tPvRmT1_PNSt15iterator_traitsISL_E10value_typeET2_T3_PNSM_ISR_E10value_typeET4_jRbjT5_SX_jjP12ihipStream_tbEUlT_E1_NS1_11comp_targetILNS1_3genE3ELNS1_11target_archE908ELNS1_3gpuE7ELNS1_3repE0EEENS1_59segmented_radix_sort_warp_sort_small_config_static_selectorELNS0_4arch9wavefront6targetE0EEEvSL_,@function
_ZN7rocprim17ROCPRIM_400000_NS6detail17trampoline_kernelINS0_14default_configENS1_36segmented_radix_sort_config_selectorI6__halflEEZNS1_25segmented_radix_sort_implIS3_Lb1EPKS5_PS5_PKlPlN2at6native12_GLOBAL__N_18offset_tEEE10hipError_tPvRmT1_PNSt15iterator_traitsISL_E10value_typeET2_T3_PNSM_ISR_E10value_typeET4_jRbjT5_SX_jjP12ihipStream_tbEUlT_E1_NS1_11comp_targetILNS1_3genE3ELNS1_11target_archE908ELNS1_3gpuE7ELNS1_3repE0EEENS1_59segmented_radix_sort_warp_sort_small_config_static_selectorELNS0_4arch9wavefront6targetE0EEEvSL_: ; @_ZN7rocprim17ROCPRIM_400000_NS6detail17trampoline_kernelINS0_14default_configENS1_36segmented_radix_sort_config_selectorI6__halflEEZNS1_25segmented_radix_sort_implIS3_Lb1EPKS5_PS5_PKlPlN2at6native12_GLOBAL__N_18offset_tEEE10hipError_tPvRmT1_PNSt15iterator_traitsISL_E10value_typeET2_T3_PNSM_ISR_E10value_typeET4_jRbjT5_SX_jjP12ihipStream_tbEUlT_E1_NS1_11comp_targetILNS1_3genE3ELNS1_11target_archE908ELNS1_3gpuE7ELNS1_3repE0EEENS1_59segmented_radix_sort_warp_sort_small_config_static_selectorELNS0_4arch9wavefront6targetE0EEEvSL_
; %bb.0:
	.section	.rodata,"a",@progbits
	.p2align	6, 0x0
	.amdhsa_kernel _ZN7rocprim17ROCPRIM_400000_NS6detail17trampoline_kernelINS0_14default_configENS1_36segmented_radix_sort_config_selectorI6__halflEEZNS1_25segmented_radix_sort_implIS3_Lb1EPKS5_PS5_PKlPlN2at6native12_GLOBAL__N_18offset_tEEE10hipError_tPvRmT1_PNSt15iterator_traitsISL_E10value_typeET2_T3_PNSM_ISR_E10value_typeET4_jRbjT5_SX_jjP12ihipStream_tbEUlT_E1_NS1_11comp_targetILNS1_3genE3ELNS1_11target_archE908ELNS1_3gpuE7ELNS1_3repE0EEENS1_59segmented_radix_sort_warp_sort_small_config_static_selectorELNS0_4arch9wavefront6targetE0EEEvSL_
		.amdhsa_group_segment_fixed_size 0
		.amdhsa_private_segment_fixed_size 0
		.amdhsa_kernarg_size 88
		.amdhsa_user_sgpr_count 2
		.amdhsa_user_sgpr_dispatch_ptr 0
		.amdhsa_user_sgpr_queue_ptr 0
		.amdhsa_user_sgpr_kernarg_segment_ptr 1
		.amdhsa_user_sgpr_dispatch_id 0
		.amdhsa_user_sgpr_kernarg_preload_length 0
		.amdhsa_user_sgpr_kernarg_preload_offset 0
		.amdhsa_user_sgpr_private_segment_size 0
		.amdhsa_wavefront_size32 1
		.amdhsa_uses_dynamic_stack 0
		.amdhsa_enable_private_segment 0
		.amdhsa_system_sgpr_workgroup_id_x 1
		.amdhsa_system_sgpr_workgroup_id_y 0
		.amdhsa_system_sgpr_workgroup_id_z 0
		.amdhsa_system_sgpr_workgroup_info 0
		.amdhsa_system_vgpr_workitem_id 0
		.amdhsa_next_free_vgpr 1
		.amdhsa_next_free_sgpr 1
		.amdhsa_named_barrier_count 0
		.amdhsa_reserve_vcc 0
		.amdhsa_float_round_mode_32 0
		.amdhsa_float_round_mode_16_64 0
		.amdhsa_float_denorm_mode_32 3
		.amdhsa_float_denorm_mode_16_64 3
		.amdhsa_fp16_overflow 0
		.amdhsa_memory_ordered 1
		.amdhsa_forward_progress 1
		.amdhsa_inst_pref_size 0
		.amdhsa_round_robin_scheduling 0
		.amdhsa_exception_fp_ieee_invalid_op 0
		.amdhsa_exception_fp_denorm_src 0
		.amdhsa_exception_fp_ieee_div_zero 0
		.amdhsa_exception_fp_ieee_overflow 0
		.amdhsa_exception_fp_ieee_underflow 0
		.amdhsa_exception_fp_ieee_inexact 0
		.amdhsa_exception_int_div_zero 0
	.end_amdhsa_kernel
	.section	.text._ZN7rocprim17ROCPRIM_400000_NS6detail17trampoline_kernelINS0_14default_configENS1_36segmented_radix_sort_config_selectorI6__halflEEZNS1_25segmented_radix_sort_implIS3_Lb1EPKS5_PS5_PKlPlN2at6native12_GLOBAL__N_18offset_tEEE10hipError_tPvRmT1_PNSt15iterator_traitsISL_E10value_typeET2_T3_PNSM_ISR_E10value_typeET4_jRbjT5_SX_jjP12ihipStream_tbEUlT_E1_NS1_11comp_targetILNS1_3genE3ELNS1_11target_archE908ELNS1_3gpuE7ELNS1_3repE0EEENS1_59segmented_radix_sort_warp_sort_small_config_static_selectorELNS0_4arch9wavefront6targetE0EEEvSL_,"axG",@progbits,_ZN7rocprim17ROCPRIM_400000_NS6detail17trampoline_kernelINS0_14default_configENS1_36segmented_radix_sort_config_selectorI6__halflEEZNS1_25segmented_radix_sort_implIS3_Lb1EPKS5_PS5_PKlPlN2at6native12_GLOBAL__N_18offset_tEEE10hipError_tPvRmT1_PNSt15iterator_traitsISL_E10value_typeET2_T3_PNSM_ISR_E10value_typeET4_jRbjT5_SX_jjP12ihipStream_tbEUlT_E1_NS1_11comp_targetILNS1_3genE3ELNS1_11target_archE908ELNS1_3gpuE7ELNS1_3repE0EEENS1_59segmented_radix_sort_warp_sort_small_config_static_selectorELNS0_4arch9wavefront6targetE0EEEvSL_,comdat
.Lfunc_end1753:
	.size	_ZN7rocprim17ROCPRIM_400000_NS6detail17trampoline_kernelINS0_14default_configENS1_36segmented_radix_sort_config_selectorI6__halflEEZNS1_25segmented_radix_sort_implIS3_Lb1EPKS5_PS5_PKlPlN2at6native12_GLOBAL__N_18offset_tEEE10hipError_tPvRmT1_PNSt15iterator_traitsISL_E10value_typeET2_T3_PNSM_ISR_E10value_typeET4_jRbjT5_SX_jjP12ihipStream_tbEUlT_E1_NS1_11comp_targetILNS1_3genE3ELNS1_11target_archE908ELNS1_3gpuE7ELNS1_3repE0EEENS1_59segmented_radix_sort_warp_sort_small_config_static_selectorELNS0_4arch9wavefront6targetE0EEEvSL_, .Lfunc_end1753-_ZN7rocprim17ROCPRIM_400000_NS6detail17trampoline_kernelINS0_14default_configENS1_36segmented_radix_sort_config_selectorI6__halflEEZNS1_25segmented_radix_sort_implIS3_Lb1EPKS5_PS5_PKlPlN2at6native12_GLOBAL__N_18offset_tEEE10hipError_tPvRmT1_PNSt15iterator_traitsISL_E10value_typeET2_T3_PNSM_ISR_E10value_typeET4_jRbjT5_SX_jjP12ihipStream_tbEUlT_E1_NS1_11comp_targetILNS1_3genE3ELNS1_11target_archE908ELNS1_3gpuE7ELNS1_3repE0EEENS1_59segmented_radix_sort_warp_sort_small_config_static_selectorELNS0_4arch9wavefront6targetE0EEEvSL_
                                        ; -- End function
	.set _ZN7rocprim17ROCPRIM_400000_NS6detail17trampoline_kernelINS0_14default_configENS1_36segmented_radix_sort_config_selectorI6__halflEEZNS1_25segmented_radix_sort_implIS3_Lb1EPKS5_PS5_PKlPlN2at6native12_GLOBAL__N_18offset_tEEE10hipError_tPvRmT1_PNSt15iterator_traitsISL_E10value_typeET2_T3_PNSM_ISR_E10value_typeET4_jRbjT5_SX_jjP12ihipStream_tbEUlT_E1_NS1_11comp_targetILNS1_3genE3ELNS1_11target_archE908ELNS1_3gpuE7ELNS1_3repE0EEENS1_59segmented_radix_sort_warp_sort_small_config_static_selectorELNS0_4arch9wavefront6targetE0EEEvSL_.num_vgpr, 0
	.set _ZN7rocprim17ROCPRIM_400000_NS6detail17trampoline_kernelINS0_14default_configENS1_36segmented_radix_sort_config_selectorI6__halflEEZNS1_25segmented_radix_sort_implIS3_Lb1EPKS5_PS5_PKlPlN2at6native12_GLOBAL__N_18offset_tEEE10hipError_tPvRmT1_PNSt15iterator_traitsISL_E10value_typeET2_T3_PNSM_ISR_E10value_typeET4_jRbjT5_SX_jjP12ihipStream_tbEUlT_E1_NS1_11comp_targetILNS1_3genE3ELNS1_11target_archE908ELNS1_3gpuE7ELNS1_3repE0EEENS1_59segmented_radix_sort_warp_sort_small_config_static_selectorELNS0_4arch9wavefront6targetE0EEEvSL_.num_agpr, 0
	.set _ZN7rocprim17ROCPRIM_400000_NS6detail17trampoline_kernelINS0_14default_configENS1_36segmented_radix_sort_config_selectorI6__halflEEZNS1_25segmented_radix_sort_implIS3_Lb1EPKS5_PS5_PKlPlN2at6native12_GLOBAL__N_18offset_tEEE10hipError_tPvRmT1_PNSt15iterator_traitsISL_E10value_typeET2_T3_PNSM_ISR_E10value_typeET4_jRbjT5_SX_jjP12ihipStream_tbEUlT_E1_NS1_11comp_targetILNS1_3genE3ELNS1_11target_archE908ELNS1_3gpuE7ELNS1_3repE0EEENS1_59segmented_radix_sort_warp_sort_small_config_static_selectorELNS0_4arch9wavefront6targetE0EEEvSL_.numbered_sgpr, 0
	.set _ZN7rocprim17ROCPRIM_400000_NS6detail17trampoline_kernelINS0_14default_configENS1_36segmented_radix_sort_config_selectorI6__halflEEZNS1_25segmented_radix_sort_implIS3_Lb1EPKS5_PS5_PKlPlN2at6native12_GLOBAL__N_18offset_tEEE10hipError_tPvRmT1_PNSt15iterator_traitsISL_E10value_typeET2_T3_PNSM_ISR_E10value_typeET4_jRbjT5_SX_jjP12ihipStream_tbEUlT_E1_NS1_11comp_targetILNS1_3genE3ELNS1_11target_archE908ELNS1_3gpuE7ELNS1_3repE0EEENS1_59segmented_radix_sort_warp_sort_small_config_static_selectorELNS0_4arch9wavefront6targetE0EEEvSL_.num_named_barrier, 0
	.set _ZN7rocprim17ROCPRIM_400000_NS6detail17trampoline_kernelINS0_14default_configENS1_36segmented_radix_sort_config_selectorI6__halflEEZNS1_25segmented_radix_sort_implIS3_Lb1EPKS5_PS5_PKlPlN2at6native12_GLOBAL__N_18offset_tEEE10hipError_tPvRmT1_PNSt15iterator_traitsISL_E10value_typeET2_T3_PNSM_ISR_E10value_typeET4_jRbjT5_SX_jjP12ihipStream_tbEUlT_E1_NS1_11comp_targetILNS1_3genE3ELNS1_11target_archE908ELNS1_3gpuE7ELNS1_3repE0EEENS1_59segmented_radix_sort_warp_sort_small_config_static_selectorELNS0_4arch9wavefront6targetE0EEEvSL_.private_seg_size, 0
	.set _ZN7rocprim17ROCPRIM_400000_NS6detail17trampoline_kernelINS0_14default_configENS1_36segmented_radix_sort_config_selectorI6__halflEEZNS1_25segmented_radix_sort_implIS3_Lb1EPKS5_PS5_PKlPlN2at6native12_GLOBAL__N_18offset_tEEE10hipError_tPvRmT1_PNSt15iterator_traitsISL_E10value_typeET2_T3_PNSM_ISR_E10value_typeET4_jRbjT5_SX_jjP12ihipStream_tbEUlT_E1_NS1_11comp_targetILNS1_3genE3ELNS1_11target_archE908ELNS1_3gpuE7ELNS1_3repE0EEENS1_59segmented_radix_sort_warp_sort_small_config_static_selectorELNS0_4arch9wavefront6targetE0EEEvSL_.uses_vcc, 0
	.set _ZN7rocprim17ROCPRIM_400000_NS6detail17trampoline_kernelINS0_14default_configENS1_36segmented_radix_sort_config_selectorI6__halflEEZNS1_25segmented_radix_sort_implIS3_Lb1EPKS5_PS5_PKlPlN2at6native12_GLOBAL__N_18offset_tEEE10hipError_tPvRmT1_PNSt15iterator_traitsISL_E10value_typeET2_T3_PNSM_ISR_E10value_typeET4_jRbjT5_SX_jjP12ihipStream_tbEUlT_E1_NS1_11comp_targetILNS1_3genE3ELNS1_11target_archE908ELNS1_3gpuE7ELNS1_3repE0EEENS1_59segmented_radix_sort_warp_sort_small_config_static_selectorELNS0_4arch9wavefront6targetE0EEEvSL_.uses_flat_scratch, 0
	.set _ZN7rocprim17ROCPRIM_400000_NS6detail17trampoline_kernelINS0_14default_configENS1_36segmented_radix_sort_config_selectorI6__halflEEZNS1_25segmented_radix_sort_implIS3_Lb1EPKS5_PS5_PKlPlN2at6native12_GLOBAL__N_18offset_tEEE10hipError_tPvRmT1_PNSt15iterator_traitsISL_E10value_typeET2_T3_PNSM_ISR_E10value_typeET4_jRbjT5_SX_jjP12ihipStream_tbEUlT_E1_NS1_11comp_targetILNS1_3genE3ELNS1_11target_archE908ELNS1_3gpuE7ELNS1_3repE0EEENS1_59segmented_radix_sort_warp_sort_small_config_static_selectorELNS0_4arch9wavefront6targetE0EEEvSL_.has_dyn_sized_stack, 0
	.set _ZN7rocprim17ROCPRIM_400000_NS6detail17trampoline_kernelINS0_14default_configENS1_36segmented_radix_sort_config_selectorI6__halflEEZNS1_25segmented_radix_sort_implIS3_Lb1EPKS5_PS5_PKlPlN2at6native12_GLOBAL__N_18offset_tEEE10hipError_tPvRmT1_PNSt15iterator_traitsISL_E10value_typeET2_T3_PNSM_ISR_E10value_typeET4_jRbjT5_SX_jjP12ihipStream_tbEUlT_E1_NS1_11comp_targetILNS1_3genE3ELNS1_11target_archE908ELNS1_3gpuE7ELNS1_3repE0EEENS1_59segmented_radix_sort_warp_sort_small_config_static_selectorELNS0_4arch9wavefront6targetE0EEEvSL_.has_recursion, 0
	.set _ZN7rocprim17ROCPRIM_400000_NS6detail17trampoline_kernelINS0_14default_configENS1_36segmented_radix_sort_config_selectorI6__halflEEZNS1_25segmented_radix_sort_implIS3_Lb1EPKS5_PS5_PKlPlN2at6native12_GLOBAL__N_18offset_tEEE10hipError_tPvRmT1_PNSt15iterator_traitsISL_E10value_typeET2_T3_PNSM_ISR_E10value_typeET4_jRbjT5_SX_jjP12ihipStream_tbEUlT_E1_NS1_11comp_targetILNS1_3genE3ELNS1_11target_archE908ELNS1_3gpuE7ELNS1_3repE0EEENS1_59segmented_radix_sort_warp_sort_small_config_static_selectorELNS0_4arch9wavefront6targetE0EEEvSL_.has_indirect_call, 0
	.section	.AMDGPU.csdata,"",@progbits
; Kernel info:
; codeLenInByte = 0
; TotalNumSgprs: 0
; NumVgprs: 0
; ScratchSize: 0
; MemoryBound: 0
; FloatMode: 240
; IeeeMode: 1
; LDSByteSize: 0 bytes/workgroup (compile time only)
; SGPRBlocks: 0
; VGPRBlocks: 0
; NumSGPRsForWavesPerEU: 1
; NumVGPRsForWavesPerEU: 1
; NamedBarCnt: 0
; Occupancy: 16
; WaveLimiterHint : 0
; COMPUTE_PGM_RSRC2:SCRATCH_EN: 0
; COMPUTE_PGM_RSRC2:USER_SGPR: 2
; COMPUTE_PGM_RSRC2:TRAP_HANDLER: 0
; COMPUTE_PGM_RSRC2:TGID_X_EN: 1
; COMPUTE_PGM_RSRC2:TGID_Y_EN: 0
; COMPUTE_PGM_RSRC2:TGID_Z_EN: 0
; COMPUTE_PGM_RSRC2:TIDIG_COMP_CNT: 0
	.section	.text._ZN7rocprim17ROCPRIM_400000_NS6detail17trampoline_kernelINS0_14default_configENS1_36segmented_radix_sort_config_selectorI6__halflEEZNS1_25segmented_radix_sort_implIS3_Lb1EPKS5_PS5_PKlPlN2at6native12_GLOBAL__N_18offset_tEEE10hipError_tPvRmT1_PNSt15iterator_traitsISL_E10value_typeET2_T3_PNSM_ISR_E10value_typeET4_jRbjT5_SX_jjP12ihipStream_tbEUlT_E1_NS1_11comp_targetILNS1_3genE2ELNS1_11target_archE906ELNS1_3gpuE6ELNS1_3repE0EEENS1_59segmented_radix_sort_warp_sort_small_config_static_selectorELNS0_4arch9wavefront6targetE0EEEvSL_,"axG",@progbits,_ZN7rocprim17ROCPRIM_400000_NS6detail17trampoline_kernelINS0_14default_configENS1_36segmented_radix_sort_config_selectorI6__halflEEZNS1_25segmented_radix_sort_implIS3_Lb1EPKS5_PS5_PKlPlN2at6native12_GLOBAL__N_18offset_tEEE10hipError_tPvRmT1_PNSt15iterator_traitsISL_E10value_typeET2_T3_PNSM_ISR_E10value_typeET4_jRbjT5_SX_jjP12ihipStream_tbEUlT_E1_NS1_11comp_targetILNS1_3genE2ELNS1_11target_archE906ELNS1_3gpuE6ELNS1_3repE0EEENS1_59segmented_radix_sort_warp_sort_small_config_static_selectorELNS0_4arch9wavefront6targetE0EEEvSL_,comdat
	.globl	_ZN7rocprim17ROCPRIM_400000_NS6detail17trampoline_kernelINS0_14default_configENS1_36segmented_radix_sort_config_selectorI6__halflEEZNS1_25segmented_radix_sort_implIS3_Lb1EPKS5_PS5_PKlPlN2at6native12_GLOBAL__N_18offset_tEEE10hipError_tPvRmT1_PNSt15iterator_traitsISL_E10value_typeET2_T3_PNSM_ISR_E10value_typeET4_jRbjT5_SX_jjP12ihipStream_tbEUlT_E1_NS1_11comp_targetILNS1_3genE2ELNS1_11target_archE906ELNS1_3gpuE6ELNS1_3repE0EEENS1_59segmented_radix_sort_warp_sort_small_config_static_selectorELNS0_4arch9wavefront6targetE0EEEvSL_ ; -- Begin function _ZN7rocprim17ROCPRIM_400000_NS6detail17trampoline_kernelINS0_14default_configENS1_36segmented_radix_sort_config_selectorI6__halflEEZNS1_25segmented_radix_sort_implIS3_Lb1EPKS5_PS5_PKlPlN2at6native12_GLOBAL__N_18offset_tEEE10hipError_tPvRmT1_PNSt15iterator_traitsISL_E10value_typeET2_T3_PNSM_ISR_E10value_typeET4_jRbjT5_SX_jjP12ihipStream_tbEUlT_E1_NS1_11comp_targetILNS1_3genE2ELNS1_11target_archE906ELNS1_3gpuE6ELNS1_3repE0EEENS1_59segmented_radix_sort_warp_sort_small_config_static_selectorELNS0_4arch9wavefront6targetE0EEEvSL_
	.p2align	8
	.type	_ZN7rocprim17ROCPRIM_400000_NS6detail17trampoline_kernelINS0_14default_configENS1_36segmented_radix_sort_config_selectorI6__halflEEZNS1_25segmented_radix_sort_implIS3_Lb1EPKS5_PS5_PKlPlN2at6native12_GLOBAL__N_18offset_tEEE10hipError_tPvRmT1_PNSt15iterator_traitsISL_E10value_typeET2_T3_PNSM_ISR_E10value_typeET4_jRbjT5_SX_jjP12ihipStream_tbEUlT_E1_NS1_11comp_targetILNS1_3genE2ELNS1_11target_archE906ELNS1_3gpuE6ELNS1_3repE0EEENS1_59segmented_radix_sort_warp_sort_small_config_static_selectorELNS0_4arch9wavefront6targetE0EEEvSL_,@function
_ZN7rocprim17ROCPRIM_400000_NS6detail17trampoline_kernelINS0_14default_configENS1_36segmented_radix_sort_config_selectorI6__halflEEZNS1_25segmented_radix_sort_implIS3_Lb1EPKS5_PS5_PKlPlN2at6native12_GLOBAL__N_18offset_tEEE10hipError_tPvRmT1_PNSt15iterator_traitsISL_E10value_typeET2_T3_PNSM_ISR_E10value_typeET4_jRbjT5_SX_jjP12ihipStream_tbEUlT_E1_NS1_11comp_targetILNS1_3genE2ELNS1_11target_archE906ELNS1_3gpuE6ELNS1_3repE0EEENS1_59segmented_radix_sort_warp_sort_small_config_static_selectorELNS0_4arch9wavefront6targetE0EEEvSL_: ; @_ZN7rocprim17ROCPRIM_400000_NS6detail17trampoline_kernelINS0_14default_configENS1_36segmented_radix_sort_config_selectorI6__halflEEZNS1_25segmented_radix_sort_implIS3_Lb1EPKS5_PS5_PKlPlN2at6native12_GLOBAL__N_18offset_tEEE10hipError_tPvRmT1_PNSt15iterator_traitsISL_E10value_typeET2_T3_PNSM_ISR_E10value_typeET4_jRbjT5_SX_jjP12ihipStream_tbEUlT_E1_NS1_11comp_targetILNS1_3genE2ELNS1_11target_archE906ELNS1_3gpuE6ELNS1_3repE0EEENS1_59segmented_radix_sort_warp_sort_small_config_static_selectorELNS0_4arch9wavefront6targetE0EEEvSL_
; %bb.0:
	.section	.rodata,"a",@progbits
	.p2align	6, 0x0
	.amdhsa_kernel _ZN7rocprim17ROCPRIM_400000_NS6detail17trampoline_kernelINS0_14default_configENS1_36segmented_radix_sort_config_selectorI6__halflEEZNS1_25segmented_radix_sort_implIS3_Lb1EPKS5_PS5_PKlPlN2at6native12_GLOBAL__N_18offset_tEEE10hipError_tPvRmT1_PNSt15iterator_traitsISL_E10value_typeET2_T3_PNSM_ISR_E10value_typeET4_jRbjT5_SX_jjP12ihipStream_tbEUlT_E1_NS1_11comp_targetILNS1_3genE2ELNS1_11target_archE906ELNS1_3gpuE6ELNS1_3repE0EEENS1_59segmented_radix_sort_warp_sort_small_config_static_selectorELNS0_4arch9wavefront6targetE0EEEvSL_
		.amdhsa_group_segment_fixed_size 0
		.amdhsa_private_segment_fixed_size 0
		.amdhsa_kernarg_size 88
		.amdhsa_user_sgpr_count 2
		.amdhsa_user_sgpr_dispatch_ptr 0
		.amdhsa_user_sgpr_queue_ptr 0
		.amdhsa_user_sgpr_kernarg_segment_ptr 1
		.amdhsa_user_sgpr_dispatch_id 0
		.amdhsa_user_sgpr_kernarg_preload_length 0
		.amdhsa_user_sgpr_kernarg_preload_offset 0
		.amdhsa_user_sgpr_private_segment_size 0
		.amdhsa_wavefront_size32 1
		.amdhsa_uses_dynamic_stack 0
		.amdhsa_enable_private_segment 0
		.amdhsa_system_sgpr_workgroup_id_x 1
		.amdhsa_system_sgpr_workgroup_id_y 0
		.amdhsa_system_sgpr_workgroup_id_z 0
		.amdhsa_system_sgpr_workgroup_info 0
		.amdhsa_system_vgpr_workitem_id 0
		.amdhsa_next_free_vgpr 1
		.amdhsa_next_free_sgpr 1
		.amdhsa_named_barrier_count 0
		.amdhsa_reserve_vcc 0
		.amdhsa_float_round_mode_32 0
		.amdhsa_float_round_mode_16_64 0
		.amdhsa_float_denorm_mode_32 3
		.amdhsa_float_denorm_mode_16_64 3
		.amdhsa_fp16_overflow 0
		.amdhsa_memory_ordered 1
		.amdhsa_forward_progress 1
		.amdhsa_inst_pref_size 0
		.amdhsa_round_robin_scheduling 0
		.amdhsa_exception_fp_ieee_invalid_op 0
		.amdhsa_exception_fp_denorm_src 0
		.amdhsa_exception_fp_ieee_div_zero 0
		.amdhsa_exception_fp_ieee_overflow 0
		.amdhsa_exception_fp_ieee_underflow 0
		.amdhsa_exception_fp_ieee_inexact 0
		.amdhsa_exception_int_div_zero 0
	.end_amdhsa_kernel
	.section	.text._ZN7rocprim17ROCPRIM_400000_NS6detail17trampoline_kernelINS0_14default_configENS1_36segmented_radix_sort_config_selectorI6__halflEEZNS1_25segmented_radix_sort_implIS3_Lb1EPKS5_PS5_PKlPlN2at6native12_GLOBAL__N_18offset_tEEE10hipError_tPvRmT1_PNSt15iterator_traitsISL_E10value_typeET2_T3_PNSM_ISR_E10value_typeET4_jRbjT5_SX_jjP12ihipStream_tbEUlT_E1_NS1_11comp_targetILNS1_3genE2ELNS1_11target_archE906ELNS1_3gpuE6ELNS1_3repE0EEENS1_59segmented_radix_sort_warp_sort_small_config_static_selectorELNS0_4arch9wavefront6targetE0EEEvSL_,"axG",@progbits,_ZN7rocprim17ROCPRIM_400000_NS6detail17trampoline_kernelINS0_14default_configENS1_36segmented_radix_sort_config_selectorI6__halflEEZNS1_25segmented_radix_sort_implIS3_Lb1EPKS5_PS5_PKlPlN2at6native12_GLOBAL__N_18offset_tEEE10hipError_tPvRmT1_PNSt15iterator_traitsISL_E10value_typeET2_T3_PNSM_ISR_E10value_typeET4_jRbjT5_SX_jjP12ihipStream_tbEUlT_E1_NS1_11comp_targetILNS1_3genE2ELNS1_11target_archE906ELNS1_3gpuE6ELNS1_3repE0EEENS1_59segmented_radix_sort_warp_sort_small_config_static_selectorELNS0_4arch9wavefront6targetE0EEEvSL_,comdat
.Lfunc_end1754:
	.size	_ZN7rocprim17ROCPRIM_400000_NS6detail17trampoline_kernelINS0_14default_configENS1_36segmented_radix_sort_config_selectorI6__halflEEZNS1_25segmented_radix_sort_implIS3_Lb1EPKS5_PS5_PKlPlN2at6native12_GLOBAL__N_18offset_tEEE10hipError_tPvRmT1_PNSt15iterator_traitsISL_E10value_typeET2_T3_PNSM_ISR_E10value_typeET4_jRbjT5_SX_jjP12ihipStream_tbEUlT_E1_NS1_11comp_targetILNS1_3genE2ELNS1_11target_archE906ELNS1_3gpuE6ELNS1_3repE0EEENS1_59segmented_radix_sort_warp_sort_small_config_static_selectorELNS0_4arch9wavefront6targetE0EEEvSL_, .Lfunc_end1754-_ZN7rocprim17ROCPRIM_400000_NS6detail17trampoline_kernelINS0_14default_configENS1_36segmented_radix_sort_config_selectorI6__halflEEZNS1_25segmented_radix_sort_implIS3_Lb1EPKS5_PS5_PKlPlN2at6native12_GLOBAL__N_18offset_tEEE10hipError_tPvRmT1_PNSt15iterator_traitsISL_E10value_typeET2_T3_PNSM_ISR_E10value_typeET4_jRbjT5_SX_jjP12ihipStream_tbEUlT_E1_NS1_11comp_targetILNS1_3genE2ELNS1_11target_archE906ELNS1_3gpuE6ELNS1_3repE0EEENS1_59segmented_radix_sort_warp_sort_small_config_static_selectorELNS0_4arch9wavefront6targetE0EEEvSL_
                                        ; -- End function
	.set _ZN7rocprim17ROCPRIM_400000_NS6detail17trampoline_kernelINS0_14default_configENS1_36segmented_radix_sort_config_selectorI6__halflEEZNS1_25segmented_radix_sort_implIS3_Lb1EPKS5_PS5_PKlPlN2at6native12_GLOBAL__N_18offset_tEEE10hipError_tPvRmT1_PNSt15iterator_traitsISL_E10value_typeET2_T3_PNSM_ISR_E10value_typeET4_jRbjT5_SX_jjP12ihipStream_tbEUlT_E1_NS1_11comp_targetILNS1_3genE2ELNS1_11target_archE906ELNS1_3gpuE6ELNS1_3repE0EEENS1_59segmented_radix_sort_warp_sort_small_config_static_selectorELNS0_4arch9wavefront6targetE0EEEvSL_.num_vgpr, 0
	.set _ZN7rocprim17ROCPRIM_400000_NS6detail17trampoline_kernelINS0_14default_configENS1_36segmented_radix_sort_config_selectorI6__halflEEZNS1_25segmented_radix_sort_implIS3_Lb1EPKS5_PS5_PKlPlN2at6native12_GLOBAL__N_18offset_tEEE10hipError_tPvRmT1_PNSt15iterator_traitsISL_E10value_typeET2_T3_PNSM_ISR_E10value_typeET4_jRbjT5_SX_jjP12ihipStream_tbEUlT_E1_NS1_11comp_targetILNS1_3genE2ELNS1_11target_archE906ELNS1_3gpuE6ELNS1_3repE0EEENS1_59segmented_radix_sort_warp_sort_small_config_static_selectorELNS0_4arch9wavefront6targetE0EEEvSL_.num_agpr, 0
	.set _ZN7rocprim17ROCPRIM_400000_NS6detail17trampoline_kernelINS0_14default_configENS1_36segmented_radix_sort_config_selectorI6__halflEEZNS1_25segmented_radix_sort_implIS3_Lb1EPKS5_PS5_PKlPlN2at6native12_GLOBAL__N_18offset_tEEE10hipError_tPvRmT1_PNSt15iterator_traitsISL_E10value_typeET2_T3_PNSM_ISR_E10value_typeET4_jRbjT5_SX_jjP12ihipStream_tbEUlT_E1_NS1_11comp_targetILNS1_3genE2ELNS1_11target_archE906ELNS1_3gpuE6ELNS1_3repE0EEENS1_59segmented_radix_sort_warp_sort_small_config_static_selectorELNS0_4arch9wavefront6targetE0EEEvSL_.numbered_sgpr, 0
	.set _ZN7rocprim17ROCPRIM_400000_NS6detail17trampoline_kernelINS0_14default_configENS1_36segmented_radix_sort_config_selectorI6__halflEEZNS1_25segmented_radix_sort_implIS3_Lb1EPKS5_PS5_PKlPlN2at6native12_GLOBAL__N_18offset_tEEE10hipError_tPvRmT1_PNSt15iterator_traitsISL_E10value_typeET2_T3_PNSM_ISR_E10value_typeET4_jRbjT5_SX_jjP12ihipStream_tbEUlT_E1_NS1_11comp_targetILNS1_3genE2ELNS1_11target_archE906ELNS1_3gpuE6ELNS1_3repE0EEENS1_59segmented_radix_sort_warp_sort_small_config_static_selectorELNS0_4arch9wavefront6targetE0EEEvSL_.num_named_barrier, 0
	.set _ZN7rocprim17ROCPRIM_400000_NS6detail17trampoline_kernelINS0_14default_configENS1_36segmented_radix_sort_config_selectorI6__halflEEZNS1_25segmented_radix_sort_implIS3_Lb1EPKS5_PS5_PKlPlN2at6native12_GLOBAL__N_18offset_tEEE10hipError_tPvRmT1_PNSt15iterator_traitsISL_E10value_typeET2_T3_PNSM_ISR_E10value_typeET4_jRbjT5_SX_jjP12ihipStream_tbEUlT_E1_NS1_11comp_targetILNS1_3genE2ELNS1_11target_archE906ELNS1_3gpuE6ELNS1_3repE0EEENS1_59segmented_radix_sort_warp_sort_small_config_static_selectorELNS0_4arch9wavefront6targetE0EEEvSL_.private_seg_size, 0
	.set _ZN7rocprim17ROCPRIM_400000_NS6detail17trampoline_kernelINS0_14default_configENS1_36segmented_radix_sort_config_selectorI6__halflEEZNS1_25segmented_radix_sort_implIS3_Lb1EPKS5_PS5_PKlPlN2at6native12_GLOBAL__N_18offset_tEEE10hipError_tPvRmT1_PNSt15iterator_traitsISL_E10value_typeET2_T3_PNSM_ISR_E10value_typeET4_jRbjT5_SX_jjP12ihipStream_tbEUlT_E1_NS1_11comp_targetILNS1_3genE2ELNS1_11target_archE906ELNS1_3gpuE6ELNS1_3repE0EEENS1_59segmented_radix_sort_warp_sort_small_config_static_selectorELNS0_4arch9wavefront6targetE0EEEvSL_.uses_vcc, 0
	.set _ZN7rocprim17ROCPRIM_400000_NS6detail17trampoline_kernelINS0_14default_configENS1_36segmented_radix_sort_config_selectorI6__halflEEZNS1_25segmented_radix_sort_implIS3_Lb1EPKS5_PS5_PKlPlN2at6native12_GLOBAL__N_18offset_tEEE10hipError_tPvRmT1_PNSt15iterator_traitsISL_E10value_typeET2_T3_PNSM_ISR_E10value_typeET4_jRbjT5_SX_jjP12ihipStream_tbEUlT_E1_NS1_11comp_targetILNS1_3genE2ELNS1_11target_archE906ELNS1_3gpuE6ELNS1_3repE0EEENS1_59segmented_radix_sort_warp_sort_small_config_static_selectorELNS0_4arch9wavefront6targetE0EEEvSL_.uses_flat_scratch, 0
	.set _ZN7rocprim17ROCPRIM_400000_NS6detail17trampoline_kernelINS0_14default_configENS1_36segmented_radix_sort_config_selectorI6__halflEEZNS1_25segmented_radix_sort_implIS3_Lb1EPKS5_PS5_PKlPlN2at6native12_GLOBAL__N_18offset_tEEE10hipError_tPvRmT1_PNSt15iterator_traitsISL_E10value_typeET2_T3_PNSM_ISR_E10value_typeET4_jRbjT5_SX_jjP12ihipStream_tbEUlT_E1_NS1_11comp_targetILNS1_3genE2ELNS1_11target_archE906ELNS1_3gpuE6ELNS1_3repE0EEENS1_59segmented_radix_sort_warp_sort_small_config_static_selectorELNS0_4arch9wavefront6targetE0EEEvSL_.has_dyn_sized_stack, 0
	.set _ZN7rocprim17ROCPRIM_400000_NS6detail17trampoline_kernelINS0_14default_configENS1_36segmented_radix_sort_config_selectorI6__halflEEZNS1_25segmented_radix_sort_implIS3_Lb1EPKS5_PS5_PKlPlN2at6native12_GLOBAL__N_18offset_tEEE10hipError_tPvRmT1_PNSt15iterator_traitsISL_E10value_typeET2_T3_PNSM_ISR_E10value_typeET4_jRbjT5_SX_jjP12ihipStream_tbEUlT_E1_NS1_11comp_targetILNS1_3genE2ELNS1_11target_archE906ELNS1_3gpuE6ELNS1_3repE0EEENS1_59segmented_radix_sort_warp_sort_small_config_static_selectorELNS0_4arch9wavefront6targetE0EEEvSL_.has_recursion, 0
	.set _ZN7rocprim17ROCPRIM_400000_NS6detail17trampoline_kernelINS0_14default_configENS1_36segmented_radix_sort_config_selectorI6__halflEEZNS1_25segmented_radix_sort_implIS3_Lb1EPKS5_PS5_PKlPlN2at6native12_GLOBAL__N_18offset_tEEE10hipError_tPvRmT1_PNSt15iterator_traitsISL_E10value_typeET2_T3_PNSM_ISR_E10value_typeET4_jRbjT5_SX_jjP12ihipStream_tbEUlT_E1_NS1_11comp_targetILNS1_3genE2ELNS1_11target_archE906ELNS1_3gpuE6ELNS1_3repE0EEENS1_59segmented_radix_sort_warp_sort_small_config_static_selectorELNS0_4arch9wavefront6targetE0EEEvSL_.has_indirect_call, 0
	.section	.AMDGPU.csdata,"",@progbits
; Kernel info:
; codeLenInByte = 0
; TotalNumSgprs: 0
; NumVgprs: 0
; ScratchSize: 0
; MemoryBound: 0
; FloatMode: 240
; IeeeMode: 1
; LDSByteSize: 0 bytes/workgroup (compile time only)
; SGPRBlocks: 0
; VGPRBlocks: 0
; NumSGPRsForWavesPerEU: 1
; NumVGPRsForWavesPerEU: 1
; NamedBarCnt: 0
; Occupancy: 16
; WaveLimiterHint : 0
; COMPUTE_PGM_RSRC2:SCRATCH_EN: 0
; COMPUTE_PGM_RSRC2:USER_SGPR: 2
; COMPUTE_PGM_RSRC2:TRAP_HANDLER: 0
; COMPUTE_PGM_RSRC2:TGID_X_EN: 1
; COMPUTE_PGM_RSRC2:TGID_Y_EN: 0
; COMPUTE_PGM_RSRC2:TGID_Z_EN: 0
; COMPUTE_PGM_RSRC2:TIDIG_COMP_CNT: 0
	.section	.text._ZN7rocprim17ROCPRIM_400000_NS6detail17trampoline_kernelINS0_14default_configENS1_36segmented_radix_sort_config_selectorI6__halflEEZNS1_25segmented_radix_sort_implIS3_Lb1EPKS5_PS5_PKlPlN2at6native12_GLOBAL__N_18offset_tEEE10hipError_tPvRmT1_PNSt15iterator_traitsISL_E10value_typeET2_T3_PNSM_ISR_E10value_typeET4_jRbjT5_SX_jjP12ihipStream_tbEUlT_E1_NS1_11comp_targetILNS1_3genE10ELNS1_11target_archE1201ELNS1_3gpuE5ELNS1_3repE0EEENS1_59segmented_radix_sort_warp_sort_small_config_static_selectorELNS0_4arch9wavefront6targetE0EEEvSL_,"axG",@progbits,_ZN7rocprim17ROCPRIM_400000_NS6detail17trampoline_kernelINS0_14default_configENS1_36segmented_radix_sort_config_selectorI6__halflEEZNS1_25segmented_radix_sort_implIS3_Lb1EPKS5_PS5_PKlPlN2at6native12_GLOBAL__N_18offset_tEEE10hipError_tPvRmT1_PNSt15iterator_traitsISL_E10value_typeET2_T3_PNSM_ISR_E10value_typeET4_jRbjT5_SX_jjP12ihipStream_tbEUlT_E1_NS1_11comp_targetILNS1_3genE10ELNS1_11target_archE1201ELNS1_3gpuE5ELNS1_3repE0EEENS1_59segmented_radix_sort_warp_sort_small_config_static_selectorELNS0_4arch9wavefront6targetE0EEEvSL_,comdat
	.globl	_ZN7rocprim17ROCPRIM_400000_NS6detail17trampoline_kernelINS0_14default_configENS1_36segmented_radix_sort_config_selectorI6__halflEEZNS1_25segmented_radix_sort_implIS3_Lb1EPKS5_PS5_PKlPlN2at6native12_GLOBAL__N_18offset_tEEE10hipError_tPvRmT1_PNSt15iterator_traitsISL_E10value_typeET2_T3_PNSM_ISR_E10value_typeET4_jRbjT5_SX_jjP12ihipStream_tbEUlT_E1_NS1_11comp_targetILNS1_3genE10ELNS1_11target_archE1201ELNS1_3gpuE5ELNS1_3repE0EEENS1_59segmented_radix_sort_warp_sort_small_config_static_selectorELNS0_4arch9wavefront6targetE0EEEvSL_ ; -- Begin function _ZN7rocprim17ROCPRIM_400000_NS6detail17trampoline_kernelINS0_14default_configENS1_36segmented_radix_sort_config_selectorI6__halflEEZNS1_25segmented_radix_sort_implIS3_Lb1EPKS5_PS5_PKlPlN2at6native12_GLOBAL__N_18offset_tEEE10hipError_tPvRmT1_PNSt15iterator_traitsISL_E10value_typeET2_T3_PNSM_ISR_E10value_typeET4_jRbjT5_SX_jjP12ihipStream_tbEUlT_E1_NS1_11comp_targetILNS1_3genE10ELNS1_11target_archE1201ELNS1_3gpuE5ELNS1_3repE0EEENS1_59segmented_radix_sort_warp_sort_small_config_static_selectorELNS0_4arch9wavefront6targetE0EEEvSL_
	.p2align	8
	.type	_ZN7rocprim17ROCPRIM_400000_NS6detail17trampoline_kernelINS0_14default_configENS1_36segmented_radix_sort_config_selectorI6__halflEEZNS1_25segmented_radix_sort_implIS3_Lb1EPKS5_PS5_PKlPlN2at6native12_GLOBAL__N_18offset_tEEE10hipError_tPvRmT1_PNSt15iterator_traitsISL_E10value_typeET2_T3_PNSM_ISR_E10value_typeET4_jRbjT5_SX_jjP12ihipStream_tbEUlT_E1_NS1_11comp_targetILNS1_3genE10ELNS1_11target_archE1201ELNS1_3gpuE5ELNS1_3repE0EEENS1_59segmented_radix_sort_warp_sort_small_config_static_selectorELNS0_4arch9wavefront6targetE0EEEvSL_,@function
_ZN7rocprim17ROCPRIM_400000_NS6detail17trampoline_kernelINS0_14default_configENS1_36segmented_radix_sort_config_selectorI6__halflEEZNS1_25segmented_radix_sort_implIS3_Lb1EPKS5_PS5_PKlPlN2at6native12_GLOBAL__N_18offset_tEEE10hipError_tPvRmT1_PNSt15iterator_traitsISL_E10value_typeET2_T3_PNSM_ISR_E10value_typeET4_jRbjT5_SX_jjP12ihipStream_tbEUlT_E1_NS1_11comp_targetILNS1_3genE10ELNS1_11target_archE1201ELNS1_3gpuE5ELNS1_3repE0EEENS1_59segmented_radix_sort_warp_sort_small_config_static_selectorELNS0_4arch9wavefront6targetE0EEEvSL_: ; @_ZN7rocprim17ROCPRIM_400000_NS6detail17trampoline_kernelINS0_14default_configENS1_36segmented_radix_sort_config_selectorI6__halflEEZNS1_25segmented_radix_sort_implIS3_Lb1EPKS5_PS5_PKlPlN2at6native12_GLOBAL__N_18offset_tEEE10hipError_tPvRmT1_PNSt15iterator_traitsISL_E10value_typeET2_T3_PNSM_ISR_E10value_typeET4_jRbjT5_SX_jjP12ihipStream_tbEUlT_E1_NS1_11comp_targetILNS1_3genE10ELNS1_11target_archE1201ELNS1_3gpuE5ELNS1_3repE0EEENS1_59segmented_radix_sort_warp_sort_small_config_static_selectorELNS0_4arch9wavefront6targetE0EEEvSL_
; %bb.0:
	.section	.rodata,"a",@progbits
	.p2align	6, 0x0
	.amdhsa_kernel _ZN7rocprim17ROCPRIM_400000_NS6detail17trampoline_kernelINS0_14default_configENS1_36segmented_radix_sort_config_selectorI6__halflEEZNS1_25segmented_radix_sort_implIS3_Lb1EPKS5_PS5_PKlPlN2at6native12_GLOBAL__N_18offset_tEEE10hipError_tPvRmT1_PNSt15iterator_traitsISL_E10value_typeET2_T3_PNSM_ISR_E10value_typeET4_jRbjT5_SX_jjP12ihipStream_tbEUlT_E1_NS1_11comp_targetILNS1_3genE10ELNS1_11target_archE1201ELNS1_3gpuE5ELNS1_3repE0EEENS1_59segmented_radix_sort_warp_sort_small_config_static_selectorELNS0_4arch9wavefront6targetE0EEEvSL_
		.amdhsa_group_segment_fixed_size 0
		.amdhsa_private_segment_fixed_size 0
		.amdhsa_kernarg_size 88
		.amdhsa_user_sgpr_count 2
		.amdhsa_user_sgpr_dispatch_ptr 0
		.amdhsa_user_sgpr_queue_ptr 0
		.amdhsa_user_sgpr_kernarg_segment_ptr 1
		.amdhsa_user_sgpr_dispatch_id 0
		.amdhsa_user_sgpr_kernarg_preload_length 0
		.amdhsa_user_sgpr_kernarg_preload_offset 0
		.amdhsa_user_sgpr_private_segment_size 0
		.amdhsa_wavefront_size32 1
		.amdhsa_uses_dynamic_stack 0
		.amdhsa_enable_private_segment 0
		.amdhsa_system_sgpr_workgroup_id_x 1
		.amdhsa_system_sgpr_workgroup_id_y 0
		.amdhsa_system_sgpr_workgroup_id_z 0
		.amdhsa_system_sgpr_workgroup_info 0
		.amdhsa_system_vgpr_workitem_id 0
		.amdhsa_next_free_vgpr 1
		.amdhsa_next_free_sgpr 1
		.amdhsa_named_barrier_count 0
		.amdhsa_reserve_vcc 0
		.amdhsa_float_round_mode_32 0
		.amdhsa_float_round_mode_16_64 0
		.amdhsa_float_denorm_mode_32 3
		.amdhsa_float_denorm_mode_16_64 3
		.amdhsa_fp16_overflow 0
		.amdhsa_memory_ordered 1
		.amdhsa_forward_progress 1
		.amdhsa_inst_pref_size 0
		.amdhsa_round_robin_scheduling 0
		.amdhsa_exception_fp_ieee_invalid_op 0
		.amdhsa_exception_fp_denorm_src 0
		.amdhsa_exception_fp_ieee_div_zero 0
		.amdhsa_exception_fp_ieee_overflow 0
		.amdhsa_exception_fp_ieee_underflow 0
		.amdhsa_exception_fp_ieee_inexact 0
		.amdhsa_exception_int_div_zero 0
	.end_amdhsa_kernel
	.section	.text._ZN7rocprim17ROCPRIM_400000_NS6detail17trampoline_kernelINS0_14default_configENS1_36segmented_radix_sort_config_selectorI6__halflEEZNS1_25segmented_radix_sort_implIS3_Lb1EPKS5_PS5_PKlPlN2at6native12_GLOBAL__N_18offset_tEEE10hipError_tPvRmT1_PNSt15iterator_traitsISL_E10value_typeET2_T3_PNSM_ISR_E10value_typeET4_jRbjT5_SX_jjP12ihipStream_tbEUlT_E1_NS1_11comp_targetILNS1_3genE10ELNS1_11target_archE1201ELNS1_3gpuE5ELNS1_3repE0EEENS1_59segmented_radix_sort_warp_sort_small_config_static_selectorELNS0_4arch9wavefront6targetE0EEEvSL_,"axG",@progbits,_ZN7rocprim17ROCPRIM_400000_NS6detail17trampoline_kernelINS0_14default_configENS1_36segmented_radix_sort_config_selectorI6__halflEEZNS1_25segmented_radix_sort_implIS3_Lb1EPKS5_PS5_PKlPlN2at6native12_GLOBAL__N_18offset_tEEE10hipError_tPvRmT1_PNSt15iterator_traitsISL_E10value_typeET2_T3_PNSM_ISR_E10value_typeET4_jRbjT5_SX_jjP12ihipStream_tbEUlT_E1_NS1_11comp_targetILNS1_3genE10ELNS1_11target_archE1201ELNS1_3gpuE5ELNS1_3repE0EEENS1_59segmented_radix_sort_warp_sort_small_config_static_selectorELNS0_4arch9wavefront6targetE0EEEvSL_,comdat
.Lfunc_end1755:
	.size	_ZN7rocprim17ROCPRIM_400000_NS6detail17trampoline_kernelINS0_14default_configENS1_36segmented_radix_sort_config_selectorI6__halflEEZNS1_25segmented_radix_sort_implIS3_Lb1EPKS5_PS5_PKlPlN2at6native12_GLOBAL__N_18offset_tEEE10hipError_tPvRmT1_PNSt15iterator_traitsISL_E10value_typeET2_T3_PNSM_ISR_E10value_typeET4_jRbjT5_SX_jjP12ihipStream_tbEUlT_E1_NS1_11comp_targetILNS1_3genE10ELNS1_11target_archE1201ELNS1_3gpuE5ELNS1_3repE0EEENS1_59segmented_radix_sort_warp_sort_small_config_static_selectorELNS0_4arch9wavefront6targetE0EEEvSL_, .Lfunc_end1755-_ZN7rocprim17ROCPRIM_400000_NS6detail17trampoline_kernelINS0_14default_configENS1_36segmented_radix_sort_config_selectorI6__halflEEZNS1_25segmented_radix_sort_implIS3_Lb1EPKS5_PS5_PKlPlN2at6native12_GLOBAL__N_18offset_tEEE10hipError_tPvRmT1_PNSt15iterator_traitsISL_E10value_typeET2_T3_PNSM_ISR_E10value_typeET4_jRbjT5_SX_jjP12ihipStream_tbEUlT_E1_NS1_11comp_targetILNS1_3genE10ELNS1_11target_archE1201ELNS1_3gpuE5ELNS1_3repE0EEENS1_59segmented_radix_sort_warp_sort_small_config_static_selectorELNS0_4arch9wavefront6targetE0EEEvSL_
                                        ; -- End function
	.set _ZN7rocprim17ROCPRIM_400000_NS6detail17trampoline_kernelINS0_14default_configENS1_36segmented_radix_sort_config_selectorI6__halflEEZNS1_25segmented_radix_sort_implIS3_Lb1EPKS5_PS5_PKlPlN2at6native12_GLOBAL__N_18offset_tEEE10hipError_tPvRmT1_PNSt15iterator_traitsISL_E10value_typeET2_T3_PNSM_ISR_E10value_typeET4_jRbjT5_SX_jjP12ihipStream_tbEUlT_E1_NS1_11comp_targetILNS1_3genE10ELNS1_11target_archE1201ELNS1_3gpuE5ELNS1_3repE0EEENS1_59segmented_radix_sort_warp_sort_small_config_static_selectorELNS0_4arch9wavefront6targetE0EEEvSL_.num_vgpr, 0
	.set _ZN7rocprim17ROCPRIM_400000_NS6detail17trampoline_kernelINS0_14default_configENS1_36segmented_radix_sort_config_selectorI6__halflEEZNS1_25segmented_radix_sort_implIS3_Lb1EPKS5_PS5_PKlPlN2at6native12_GLOBAL__N_18offset_tEEE10hipError_tPvRmT1_PNSt15iterator_traitsISL_E10value_typeET2_T3_PNSM_ISR_E10value_typeET4_jRbjT5_SX_jjP12ihipStream_tbEUlT_E1_NS1_11comp_targetILNS1_3genE10ELNS1_11target_archE1201ELNS1_3gpuE5ELNS1_3repE0EEENS1_59segmented_radix_sort_warp_sort_small_config_static_selectorELNS0_4arch9wavefront6targetE0EEEvSL_.num_agpr, 0
	.set _ZN7rocprim17ROCPRIM_400000_NS6detail17trampoline_kernelINS0_14default_configENS1_36segmented_radix_sort_config_selectorI6__halflEEZNS1_25segmented_radix_sort_implIS3_Lb1EPKS5_PS5_PKlPlN2at6native12_GLOBAL__N_18offset_tEEE10hipError_tPvRmT1_PNSt15iterator_traitsISL_E10value_typeET2_T3_PNSM_ISR_E10value_typeET4_jRbjT5_SX_jjP12ihipStream_tbEUlT_E1_NS1_11comp_targetILNS1_3genE10ELNS1_11target_archE1201ELNS1_3gpuE5ELNS1_3repE0EEENS1_59segmented_radix_sort_warp_sort_small_config_static_selectorELNS0_4arch9wavefront6targetE0EEEvSL_.numbered_sgpr, 0
	.set _ZN7rocprim17ROCPRIM_400000_NS6detail17trampoline_kernelINS0_14default_configENS1_36segmented_radix_sort_config_selectorI6__halflEEZNS1_25segmented_radix_sort_implIS3_Lb1EPKS5_PS5_PKlPlN2at6native12_GLOBAL__N_18offset_tEEE10hipError_tPvRmT1_PNSt15iterator_traitsISL_E10value_typeET2_T3_PNSM_ISR_E10value_typeET4_jRbjT5_SX_jjP12ihipStream_tbEUlT_E1_NS1_11comp_targetILNS1_3genE10ELNS1_11target_archE1201ELNS1_3gpuE5ELNS1_3repE0EEENS1_59segmented_radix_sort_warp_sort_small_config_static_selectorELNS0_4arch9wavefront6targetE0EEEvSL_.num_named_barrier, 0
	.set _ZN7rocprim17ROCPRIM_400000_NS6detail17trampoline_kernelINS0_14default_configENS1_36segmented_radix_sort_config_selectorI6__halflEEZNS1_25segmented_radix_sort_implIS3_Lb1EPKS5_PS5_PKlPlN2at6native12_GLOBAL__N_18offset_tEEE10hipError_tPvRmT1_PNSt15iterator_traitsISL_E10value_typeET2_T3_PNSM_ISR_E10value_typeET4_jRbjT5_SX_jjP12ihipStream_tbEUlT_E1_NS1_11comp_targetILNS1_3genE10ELNS1_11target_archE1201ELNS1_3gpuE5ELNS1_3repE0EEENS1_59segmented_radix_sort_warp_sort_small_config_static_selectorELNS0_4arch9wavefront6targetE0EEEvSL_.private_seg_size, 0
	.set _ZN7rocprim17ROCPRIM_400000_NS6detail17trampoline_kernelINS0_14default_configENS1_36segmented_radix_sort_config_selectorI6__halflEEZNS1_25segmented_radix_sort_implIS3_Lb1EPKS5_PS5_PKlPlN2at6native12_GLOBAL__N_18offset_tEEE10hipError_tPvRmT1_PNSt15iterator_traitsISL_E10value_typeET2_T3_PNSM_ISR_E10value_typeET4_jRbjT5_SX_jjP12ihipStream_tbEUlT_E1_NS1_11comp_targetILNS1_3genE10ELNS1_11target_archE1201ELNS1_3gpuE5ELNS1_3repE0EEENS1_59segmented_radix_sort_warp_sort_small_config_static_selectorELNS0_4arch9wavefront6targetE0EEEvSL_.uses_vcc, 0
	.set _ZN7rocprim17ROCPRIM_400000_NS6detail17trampoline_kernelINS0_14default_configENS1_36segmented_radix_sort_config_selectorI6__halflEEZNS1_25segmented_radix_sort_implIS3_Lb1EPKS5_PS5_PKlPlN2at6native12_GLOBAL__N_18offset_tEEE10hipError_tPvRmT1_PNSt15iterator_traitsISL_E10value_typeET2_T3_PNSM_ISR_E10value_typeET4_jRbjT5_SX_jjP12ihipStream_tbEUlT_E1_NS1_11comp_targetILNS1_3genE10ELNS1_11target_archE1201ELNS1_3gpuE5ELNS1_3repE0EEENS1_59segmented_radix_sort_warp_sort_small_config_static_selectorELNS0_4arch9wavefront6targetE0EEEvSL_.uses_flat_scratch, 0
	.set _ZN7rocprim17ROCPRIM_400000_NS6detail17trampoline_kernelINS0_14default_configENS1_36segmented_radix_sort_config_selectorI6__halflEEZNS1_25segmented_radix_sort_implIS3_Lb1EPKS5_PS5_PKlPlN2at6native12_GLOBAL__N_18offset_tEEE10hipError_tPvRmT1_PNSt15iterator_traitsISL_E10value_typeET2_T3_PNSM_ISR_E10value_typeET4_jRbjT5_SX_jjP12ihipStream_tbEUlT_E1_NS1_11comp_targetILNS1_3genE10ELNS1_11target_archE1201ELNS1_3gpuE5ELNS1_3repE0EEENS1_59segmented_radix_sort_warp_sort_small_config_static_selectorELNS0_4arch9wavefront6targetE0EEEvSL_.has_dyn_sized_stack, 0
	.set _ZN7rocprim17ROCPRIM_400000_NS6detail17trampoline_kernelINS0_14default_configENS1_36segmented_radix_sort_config_selectorI6__halflEEZNS1_25segmented_radix_sort_implIS3_Lb1EPKS5_PS5_PKlPlN2at6native12_GLOBAL__N_18offset_tEEE10hipError_tPvRmT1_PNSt15iterator_traitsISL_E10value_typeET2_T3_PNSM_ISR_E10value_typeET4_jRbjT5_SX_jjP12ihipStream_tbEUlT_E1_NS1_11comp_targetILNS1_3genE10ELNS1_11target_archE1201ELNS1_3gpuE5ELNS1_3repE0EEENS1_59segmented_radix_sort_warp_sort_small_config_static_selectorELNS0_4arch9wavefront6targetE0EEEvSL_.has_recursion, 0
	.set _ZN7rocprim17ROCPRIM_400000_NS6detail17trampoline_kernelINS0_14default_configENS1_36segmented_radix_sort_config_selectorI6__halflEEZNS1_25segmented_radix_sort_implIS3_Lb1EPKS5_PS5_PKlPlN2at6native12_GLOBAL__N_18offset_tEEE10hipError_tPvRmT1_PNSt15iterator_traitsISL_E10value_typeET2_T3_PNSM_ISR_E10value_typeET4_jRbjT5_SX_jjP12ihipStream_tbEUlT_E1_NS1_11comp_targetILNS1_3genE10ELNS1_11target_archE1201ELNS1_3gpuE5ELNS1_3repE0EEENS1_59segmented_radix_sort_warp_sort_small_config_static_selectorELNS0_4arch9wavefront6targetE0EEEvSL_.has_indirect_call, 0
	.section	.AMDGPU.csdata,"",@progbits
; Kernel info:
; codeLenInByte = 0
; TotalNumSgprs: 0
; NumVgprs: 0
; ScratchSize: 0
; MemoryBound: 0
; FloatMode: 240
; IeeeMode: 1
; LDSByteSize: 0 bytes/workgroup (compile time only)
; SGPRBlocks: 0
; VGPRBlocks: 0
; NumSGPRsForWavesPerEU: 1
; NumVGPRsForWavesPerEU: 1
; NamedBarCnt: 0
; Occupancy: 16
; WaveLimiterHint : 0
; COMPUTE_PGM_RSRC2:SCRATCH_EN: 0
; COMPUTE_PGM_RSRC2:USER_SGPR: 2
; COMPUTE_PGM_RSRC2:TRAP_HANDLER: 0
; COMPUTE_PGM_RSRC2:TGID_X_EN: 1
; COMPUTE_PGM_RSRC2:TGID_Y_EN: 0
; COMPUTE_PGM_RSRC2:TGID_Z_EN: 0
; COMPUTE_PGM_RSRC2:TIDIG_COMP_CNT: 0
	.section	.text._ZN7rocprim17ROCPRIM_400000_NS6detail17trampoline_kernelINS0_14default_configENS1_36segmented_radix_sort_config_selectorI6__halflEEZNS1_25segmented_radix_sort_implIS3_Lb1EPKS5_PS5_PKlPlN2at6native12_GLOBAL__N_18offset_tEEE10hipError_tPvRmT1_PNSt15iterator_traitsISL_E10value_typeET2_T3_PNSM_ISR_E10value_typeET4_jRbjT5_SX_jjP12ihipStream_tbEUlT_E1_NS1_11comp_targetILNS1_3genE10ELNS1_11target_archE1200ELNS1_3gpuE4ELNS1_3repE0EEENS1_59segmented_radix_sort_warp_sort_small_config_static_selectorELNS0_4arch9wavefront6targetE0EEEvSL_,"axG",@progbits,_ZN7rocprim17ROCPRIM_400000_NS6detail17trampoline_kernelINS0_14default_configENS1_36segmented_radix_sort_config_selectorI6__halflEEZNS1_25segmented_radix_sort_implIS3_Lb1EPKS5_PS5_PKlPlN2at6native12_GLOBAL__N_18offset_tEEE10hipError_tPvRmT1_PNSt15iterator_traitsISL_E10value_typeET2_T3_PNSM_ISR_E10value_typeET4_jRbjT5_SX_jjP12ihipStream_tbEUlT_E1_NS1_11comp_targetILNS1_3genE10ELNS1_11target_archE1200ELNS1_3gpuE4ELNS1_3repE0EEENS1_59segmented_radix_sort_warp_sort_small_config_static_selectorELNS0_4arch9wavefront6targetE0EEEvSL_,comdat
	.globl	_ZN7rocprim17ROCPRIM_400000_NS6detail17trampoline_kernelINS0_14default_configENS1_36segmented_radix_sort_config_selectorI6__halflEEZNS1_25segmented_radix_sort_implIS3_Lb1EPKS5_PS5_PKlPlN2at6native12_GLOBAL__N_18offset_tEEE10hipError_tPvRmT1_PNSt15iterator_traitsISL_E10value_typeET2_T3_PNSM_ISR_E10value_typeET4_jRbjT5_SX_jjP12ihipStream_tbEUlT_E1_NS1_11comp_targetILNS1_3genE10ELNS1_11target_archE1200ELNS1_3gpuE4ELNS1_3repE0EEENS1_59segmented_radix_sort_warp_sort_small_config_static_selectorELNS0_4arch9wavefront6targetE0EEEvSL_ ; -- Begin function _ZN7rocprim17ROCPRIM_400000_NS6detail17trampoline_kernelINS0_14default_configENS1_36segmented_radix_sort_config_selectorI6__halflEEZNS1_25segmented_radix_sort_implIS3_Lb1EPKS5_PS5_PKlPlN2at6native12_GLOBAL__N_18offset_tEEE10hipError_tPvRmT1_PNSt15iterator_traitsISL_E10value_typeET2_T3_PNSM_ISR_E10value_typeET4_jRbjT5_SX_jjP12ihipStream_tbEUlT_E1_NS1_11comp_targetILNS1_3genE10ELNS1_11target_archE1200ELNS1_3gpuE4ELNS1_3repE0EEENS1_59segmented_radix_sort_warp_sort_small_config_static_selectorELNS0_4arch9wavefront6targetE0EEEvSL_
	.p2align	8
	.type	_ZN7rocprim17ROCPRIM_400000_NS6detail17trampoline_kernelINS0_14default_configENS1_36segmented_radix_sort_config_selectorI6__halflEEZNS1_25segmented_radix_sort_implIS3_Lb1EPKS5_PS5_PKlPlN2at6native12_GLOBAL__N_18offset_tEEE10hipError_tPvRmT1_PNSt15iterator_traitsISL_E10value_typeET2_T3_PNSM_ISR_E10value_typeET4_jRbjT5_SX_jjP12ihipStream_tbEUlT_E1_NS1_11comp_targetILNS1_3genE10ELNS1_11target_archE1200ELNS1_3gpuE4ELNS1_3repE0EEENS1_59segmented_radix_sort_warp_sort_small_config_static_selectorELNS0_4arch9wavefront6targetE0EEEvSL_,@function
_ZN7rocprim17ROCPRIM_400000_NS6detail17trampoline_kernelINS0_14default_configENS1_36segmented_radix_sort_config_selectorI6__halflEEZNS1_25segmented_radix_sort_implIS3_Lb1EPKS5_PS5_PKlPlN2at6native12_GLOBAL__N_18offset_tEEE10hipError_tPvRmT1_PNSt15iterator_traitsISL_E10value_typeET2_T3_PNSM_ISR_E10value_typeET4_jRbjT5_SX_jjP12ihipStream_tbEUlT_E1_NS1_11comp_targetILNS1_3genE10ELNS1_11target_archE1200ELNS1_3gpuE4ELNS1_3repE0EEENS1_59segmented_radix_sort_warp_sort_small_config_static_selectorELNS0_4arch9wavefront6targetE0EEEvSL_: ; @_ZN7rocprim17ROCPRIM_400000_NS6detail17trampoline_kernelINS0_14default_configENS1_36segmented_radix_sort_config_selectorI6__halflEEZNS1_25segmented_radix_sort_implIS3_Lb1EPKS5_PS5_PKlPlN2at6native12_GLOBAL__N_18offset_tEEE10hipError_tPvRmT1_PNSt15iterator_traitsISL_E10value_typeET2_T3_PNSM_ISR_E10value_typeET4_jRbjT5_SX_jjP12ihipStream_tbEUlT_E1_NS1_11comp_targetILNS1_3genE10ELNS1_11target_archE1200ELNS1_3gpuE4ELNS1_3repE0EEENS1_59segmented_radix_sort_warp_sort_small_config_static_selectorELNS0_4arch9wavefront6targetE0EEEvSL_
; %bb.0:
	.section	.rodata,"a",@progbits
	.p2align	6, 0x0
	.amdhsa_kernel _ZN7rocprim17ROCPRIM_400000_NS6detail17trampoline_kernelINS0_14default_configENS1_36segmented_radix_sort_config_selectorI6__halflEEZNS1_25segmented_radix_sort_implIS3_Lb1EPKS5_PS5_PKlPlN2at6native12_GLOBAL__N_18offset_tEEE10hipError_tPvRmT1_PNSt15iterator_traitsISL_E10value_typeET2_T3_PNSM_ISR_E10value_typeET4_jRbjT5_SX_jjP12ihipStream_tbEUlT_E1_NS1_11comp_targetILNS1_3genE10ELNS1_11target_archE1200ELNS1_3gpuE4ELNS1_3repE0EEENS1_59segmented_radix_sort_warp_sort_small_config_static_selectorELNS0_4arch9wavefront6targetE0EEEvSL_
		.amdhsa_group_segment_fixed_size 0
		.amdhsa_private_segment_fixed_size 0
		.amdhsa_kernarg_size 88
		.amdhsa_user_sgpr_count 2
		.amdhsa_user_sgpr_dispatch_ptr 0
		.amdhsa_user_sgpr_queue_ptr 0
		.amdhsa_user_sgpr_kernarg_segment_ptr 1
		.amdhsa_user_sgpr_dispatch_id 0
		.amdhsa_user_sgpr_kernarg_preload_length 0
		.amdhsa_user_sgpr_kernarg_preload_offset 0
		.amdhsa_user_sgpr_private_segment_size 0
		.amdhsa_wavefront_size32 1
		.amdhsa_uses_dynamic_stack 0
		.amdhsa_enable_private_segment 0
		.amdhsa_system_sgpr_workgroup_id_x 1
		.amdhsa_system_sgpr_workgroup_id_y 0
		.amdhsa_system_sgpr_workgroup_id_z 0
		.amdhsa_system_sgpr_workgroup_info 0
		.amdhsa_system_vgpr_workitem_id 0
		.amdhsa_next_free_vgpr 1
		.amdhsa_next_free_sgpr 1
		.amdhsa_named_barrier_count 0
		.amdhsa_reserve_vcc 0
		.amdhsa_float_round_mode_32 0
		.amdhsa_float_round_mode_16_64 0
		.amdhsa_float_denorm_mode_32 3
		.amdhsa_float_denorm_mode_16_64 3
		.amdhsa_fp16_overflow 0
		.amdhsa_memory_ordered 1
		.amdhsa_forward_progress 1
		.amdhsa_inst_pref_size 0
		.amdhsa_round_robin_scheduling 0
		.amdhsa_exception_fp_ieee_invalid_op 0
		.amdhsa_exception_fp_denorm_src 0
		.amdhsa_exception_fp_ieee_div_zero 0
		.amdhsa_exception_fp_ieee_overflow 0
		.amdhsa_exception_fp_ieee_underflow 0
		.amdhsa_exception_fp_ieee_inexact 0
		.amdhsa_exception_int_div_zero 0
	.end_amdhsa_kernel
	.section	.text._ZN7rocprim17ROCPRIM_400000_NS6detail17trampoline_kernelINS0_14default_configENS1_36segmented_radix_sort_config_selectorI6__halflEEZNS1_25segmented_radix_sort_implIS3_Lb1EPKS5_PS5_PKlPlN2at6native12_GLOBAL__N_18offset_tEEE10hipError_tPvRmT1_PNSt15iterator_traitsISL_E10value_typeET2_T3_PNSM_ISR_E10value_typeET4_jRbjT5_SX_jjP12ihipStream_tbEUlT_E1_NS1_11comp_targetILNS1_3genE10ELNS1_11target_archE1200ELNS1_3gpuE4ELNS1_3repE0EEENS1_59segmented_radix_sort_warp_sort_small_config_static_selectorELNS0_4arch9wavefront6targetE0EEEvSL_,"axG",@progbits,_ZN7rocprim17ROCPRIM_400000_NS6detail17trampoline_kernelINS0_14default_configENS1_36segmented_radix_sort_config_selectorI6__halflEEZNS1_25segmented_radix_sort_implIS3_Lb1EPKS5_PS5_PKlPlN2at6native12_GLOBAL__N_18offset_tEEE10hipError_tPvRmT1_PNSt15iterator_traitsISL_E10value_typeET2_T3_PNSM_ISR_E10value_typeET4_jRbjT5_SX_jjP12ihipStream_tbEUlT_E1_NS1_11comp_targetILNS1_3genE10ELNS1_11target_archE1200ELNS1_3gpuE4ELNS1_3repE0EEENS1_59segmented_radix_sort_warp_sort_small_config_static_selectorELNS0_4arch9wavefront6targetE0EEEvSL_,comdat
.Lfunc_end1756:
	.size	_ZN7rocprim17ROCPRIM_400000_NS6detail17trampoline_kernelINS0_14default_configENS1_36segmented_radix_sort_config_selectorI6__halflEEZNS1_25segmented_radix_sort_implIS3_Lb1EPKS5_PS5_PKlPlN2at6native12_GLOBAL__N_18offset_tEEE10hipError_tPvRmT1_PNSt15iterator_traitsISL_E10value_typeET2_T3_PNSM_ISR_E10value_typeET4_jRbjT5_SX_jjP12ihipStream_tbEUlT_E1_NS1_11comp_targetILNS1_3genE10ELNS1_11target_archE1200ELNS1_3gpuE4ELNS1_3repE0EEENS1_59segmented_radix_sort_warp_sort_small_config_static_selectorELNS0_4arch9wavefront6targetE0EEEvSL_, .Lfunc_end1756-_ZN7rocprim17ROCPRIM_400000_NS6detail17trampoline_kernelINS0_14default_configENS1_36segmented_radix_sort_config_selectorI6__halflEEZNS1_25segmented_radix_sort_implIS3_Lb1EPKS5_PS5_PKlPlN2at6native12_GLOBAL__N_18offset_tEEE10hipError_tPvRmT1_PNSt15iterator_traitsISL_E10value_typeET2_T3_PNSM_ISR_E10value_typeET4_jRbjT5_SX_jjP12ihipStream_tbEUlT_E1_NS1_11comp_targetILNS1_3genE10ELNS1_11target_archE1200ELNS1_3gpuE4ELNS1_3repE0EEENS1_59segmented_radix_sort_warp_sort_small_config_static_selectorELNS0_4arch9wavefront6targetE0EEEvSL_
                                        ; -- End function
	.set _ZN7rocprim17ROCPRIM_400000_NS6detail17trampoline_kernelINS0_14default_configENS1_36segmented_radix_sort_config_selectorI6__halflEEZNS1_25segmented_radix_sort_implIS3_Lb1EPKS5_PS5_PKlPlN2at6native12_GLOBAL__N_18offset_tEEE10hipError_tPvRmT1_PNSt15iterator_traitsISL_E10value_typeET2_T3_PNSM_ISR_E10value_typeET4_jRbjT5_SX_jjP12ihipStream_tbEUlT_E1_NS1_11comp_targetILNS1_3genE10ELNS1_11target_archE1200ELNS1_3gpuE4ELNS1_3repE0EEENS1_59segmented_radix_sort_warp_sort_small_config_static_selectorELNS0_4arch9wavefront6targetE0EEEvSL_.num_vgpr, 0
	.set _ZN7rocprim17ROCPRIM_400000_NS6detail17trampoline_kernelINS0_14default_configENS1_36segmented_radix_sort_config_selectorI6__halflEEZNS1_25segmented_radix_sort_implIS3_Lb1EPKS5_PS5_PKlPlN2at6native12_GLOBAL__N_18offset_tEEE10hipError_tPvRmT1_PNSt15iterator_traitsISL_E10value_typeET2_T3_PNSM_ISR_E10value_typeET4_jRbjT5_SX_jjP12ihipStream_tbEUlT_E1_NS1_11comp_targetILNS1_3genE10ELNS1_11target_archE1200ELNS1_3gpuE4ELNS1_3repE0EEENS1_59segmented_radix_sort_warp_sort_small_config_static_selectorELNS0_4arch9wavefront6targetE0EEEvSL_.num_agpr, 0
	.set _ZN7rocprim17ROCPRIM_400000_NS6detail17trampoline_kernelINS0_14default_configENS1_36segmented_radix_sort_config_selectorI6__halflEEZNS1_25segmented_radix_sort_implIS3_Lb1EPKS5_PS5_PKlPlN2at6native12_GLOBAL__N_18offset_tEEE10hipError_tPvRmT1_PNSt15iterator_traitsISL_E10value_typeET2_T3_PNSM_ISR_E10value_typeET4_jRbjT5_SX_jjP12ihipStream_tbEUlT_E1_NS1_11comp_targetILNS1_3genE10ELNS1_11target_archE1200ELNS1_3gpuE4ELNS1_3repE0EEENS1_59segmented_radix_sort_warp_sort_small_config_static_selectorELNS0_4arch9wavefront6targetE0EEEvSL_.numbered_sgpr, 0
	.set _ZN7rocprim17ROCPRIM_400000_NS6detail17trampoline_kernelINS0_14default_configENS1_36segmented_radix_sort_config_selectorI6__halflEEZNS1_25segmented_radix_sort_implIS3_Lb1EPKS5_PS5_PKlPlN2at6native12_GLOBAL__N_18offset_tEEE10hipError_tPvRmT1_PNSt15iterator_traitsISL_E10value_typeET2_T3_PNSM_ISR_E10value_typeET4_jRbjT5_SX_jjP12ihipStream_tbEUlT_E1_NS1_11comp_targetILNS1_3genE10ELNS1_11target_archE1200ELNS1_3gpuE4ELNS1_3repE0EEENS1_59segmented_radix_sort_warp_sort_small_config_static_selectorELNS0_4arch9wavefront6targetE0EEEvSL_.num_named_barrier, 0
	.set _ZN7rocprim17ROCPRIM_400000_NS6detail17trampoline_kernelINS0_14default_configENS1_36segmented_radix_sort_config_selectorI6__halflEEZNS1_25segmented_radix_sort_implIS3_Lb1EPKS5_PS5_PKlPlN2at6native12_GLOBAL__N_18offset_tEEE10hipError_tPvRmT1_PNSt15iterator_traitsISL_E10value_typeET2_T3_PNSM_ISR_E10value_typeET4_jRbjT5_SX_jjP12ihipStream_tbEUlT_E1_NS1_11comp_targetILNS1_3genE10ELNS1_11target_archE1200ELNS1_3gpuE4ELNS1_3repE0EEENS1_59segmented_radix_sort_warp_sort_small_config_static_selectorELNS0_4arch9wavefront6targetE0EEEvSL_.private_seg_size, 0
	.set _ZN7rocprim17ROCPRIM_400000_NS6detail17trampoline_kernelINS0_14default_configENS1_36segmented_radix_sort_config_selectorI6__halflEEZNS1_25segmented_radix_sort_implIS3_Lb1EPKS5_PS5_PKlPlN2at6native12_GLOBAL__N_18offset_tEEE10hipError_tPvRmT1_PNSt15iterator_traitsISL_E10value_typeET2_T3_PNSM_ISR_E10value_typeET4_jRbjT5_SX_jjP12ihipStream_tbEUlT_E1_NS1_11comp_targetILNS1_3genE10ELNS1_11target_archE1200ELNS1_3gpuE4ELNS1_3repE0EEENS1_59segmented_radix_sort_warp_sort_small_config_static_selectorELNS0_4arch9wavefront6targetE0EEEvSL_.uses_vcc, 0
	.set _ZN7rocprim17ROCPRIM_400000_NS6detail17trampoline_kernelINS0_14default_configENS1_36segmented_radix_sort_config_selectorI6__halflEEZNS1_25segmented_radix_sort_implIS3_Lb1EPKS5_PS5_PKlPlN2at6native12_GLOBAL__N_18offset_tEEE10hipError_tPvRmT1_PNSt15iterator_traitsISL_E10value_typeET2_T3_PNSM_ISR_E10value_typeET4_jRbjT5_SX_jjP12ihipStream_tbEUlT_E1_NS1_11comp_targetILNS1_3genE10ELNS1_11target_archE1200ELNS1_3gpuE4ELNS1_3repE0EEENS1_59segmented_radix_sort_warp_sort_small_config_static_selectorELNS0_4arch9wavefront6targetE0EEEvSL_.uses_flat_scratch, 0
	.set _ZN7rocprim17ROCPRIM_400000_NS6detail17trampoline_kernelINS0_14default_configENS1_36segmented_radix_sort_config_selectorI6__halflEEZNS1_25segmented_radix_sort_implIS3_Lb1EPKS5_PS5_PKlPlN2at6native12_GLOBAL__N_18offset_tEEE10hipError_tPvRmT1_PNSt15iterator_traitsISL_E10value_typeET2_T3_PNSM_ISR_E10value_typeET4_jRbjT5_SX_jjP12ihipStream_tbEUlT_E1_NS1_11comp_targetILNS1_3genE10ELNS1_11target_archE1200ELNS1_3gpuE4ELNS1_3repE0EEENS1_59segmented_radix_sort_warp_sort_small_config_static_selectorELNS0_4arch9wavefront6targetE0EEEvSL_.has_dyn_sized_stack, 0
	.set _ZN7rocprim17ROCPRIM_400000_NS6detail17trampoline_kernelINS0_14default_configENS1_36segmented_radix_sort_config_selectorI6__halflEEZNS1_25segmented_radix_sort_implIS3_Lb1EPKS5_PS5_PKlPlN2at6native12_GLOBAL__N_18offset_tEEE10hipError_tPvRmT1_PNSt15iterator_traitsISL_E10value_typeET2_T3_PNSM_ISR_E10value_typeET4_jRbjT5_SX_jjP12ihipStream_tbEUlT_E1_NS1_11comp_targetILNS1_3genE10ELNS1_11target_archE1200ELNS1_3gpuE4ELNS1_3repE0EEENS1_59segmented_radix_sort_warp_sort_small_config_static_selectorELNS0_4arch9wavefront6targetE0EEEvSL_.has_recursion, 0
	.set _ZN7rocprim17ROCPRIM_400000_NS6detail17trampoline_kernelINS0_14default_configENS1_36segmented_radix_sort_config_selectorI6__halflEEZNS1_25segmented_radix_sort_implIS3_Lb1EPKS5_PS5_PKlPlN2at6native12_GLOBAL__N_18offset_tEEE10hipError_tPvRmT1_PNSt15iterator_traitsISL_E10value_typeET2_T3_PNSM_ISR_E10value_typeET4_jRbjT5_SX_jjP12ihipStream_tbEUlT_E1_NS1_11comp_targetILNS1_3genE10ELNS1_11target_archE1200ELNS1_3gpuE4ELNS1_3repE0EEENS1_59segmented_radix_sort_warp_sort_small_config_static_selectorELNS0_4arch9wavefront6targetE0EEEvSL_.has_indirect_call, 0
	.section	.AMDGPU.csdata,"",@progbits
; Kernel info:
; codeLenInByte = 0
; TotalNumSgprs: 0
; NumVgprs: 0
; ScratchSize: 0
; MemoryBound: 0
; FloatMode: 240
; IeeeMode: 1
; LDSByteSize: 0 bytes/workgroup (compile time only)
; SGPRBlocks: 0
; VGPRBlocks: 0
; NumSGPRsForWavesPerEU: 1
; NumVGPRsForWavesPerEU: 1
; NamedBarCnt: 0
; Occupancy: 16
; WaveLimiterHint : 0
; COMPUTE_PGM_RSRC2:SCRATCH_EN: 0
; COMPUTE_PGM_RSRC2:USER_SGPR: 2
; COMPUTE_PGM_RSRC2:TRAP_HANDLER: 0
; COMPUTE_PGM_RSRC2:TGID_X_EN: 1
; COMPUTE_PGM_RSRC2:TGID_Y_EN: 0
; COMPUTE_PGM_RSRC2:TGID_Z_EN: 0
; COMPUTE_PGM_RSRC2:TIDIG_COMP_CNT: 0
	.section	.text._ZN7rocprim17ROCPRIM_400000_NS6detail17trampoline_kernelINS0_14default_configENS1_36segmented_radix_sort_config_selectorI6__halflEEZNS1_25segmented_radix_sort_implIS3_Lb1EPKS5_PS5_PKlPlN2at6native12_GLOBAL__N_18offset_tEEE10hipError_tPvRmT1_PNSt15iterator_traitsISL_E10value_typeET2_T3_PNSM_ISR_E10value_typeET4_jRbjT5_SX_jjP12ihipStream_tbEUlT_E1_NS1_11comp_targetILNS1_3genE9ELNS1_11target_archE1100ELNS1_3gpuE3ELNS1_3repE0EEENS1_59segmented_radix_sort_warp_sort_small_config_static_selectorELNS0_4arch9wavefront6targetE0EEEvSL_,"axG",@progbits,_ZN7rocprim17ROCPRIM_400000_NS6detail17trampoline_kernelINS0_14default_configENS1_36segmented_radix_sort_config_selectorI6__halflEEZNS1_25segmented_radix_sort_implIS3_Lb1EPKS5_PS5_PKlPlN2at6native12_GLOBAL__N_18offset_tEEE10hipError_tPvRmT1_PNSt15iterator_traitsISL_E10value_typeET2_T3_PNSM_ISR_E10value_typeET4_jRbjT5_SX_jjP12ihipStream_tbEUlT_E1_NS1_11comp_targetILNS1_3genE9ELNS1_11target_archE1100ELNS1_3gpuE3ELNS1_3repE0EEENS1_59segmented_radix_sort_warp_sort_small_config_static_selectorELNS0_4arch9wavefront6targetE0EEEvSL_,comdat
	.globl	_ZN7rocprim17ROCPRIM_400000_NS6detail17trampoline_kernelINS0_14default_configENS1_36segmented_radix_sort_config_selectorI6__halflEEZNS1_25segmented_radix_sort_implIS3_Lb1EPKS5_PS5_PKlPlN2at6native12_GLOBAL__N_18offset_tEEE10hipError_tPvRmT1_PNSt15iterator_traitsISL_E10value_typeET2_T3_PNSM_ISR_E10value_typeET4_jRbjT5_SX_jjP12ihipStream_tbEUlT_E1_NS1_11comp_targetILNS1_3genE9ELNS1_11target_archE1100ELNS1_3gpuE3ELNS1_3repE0EEENS1_59segmented_radix_sort_warp_sort_small_config_static_selectorELNS0_4arch9wavefront6targetE0EEEvSL_ ; -- Begin function _ZN7rocprim17ROCPRIM_400000_NS6detail17trampoline_kernelINS0_14default_configENS1_36segmented_radix_sort_config_selectorI6__halflEEZNS1_25segmented_radix_sort_implIS3_Lb1EPKS5_PS5_PKlPlN2at6native12_GLOBAL__N_18offset_tEEE10hipError_tPvRmT1_PNSt15iterator_traitsISL_E10value_typeET2_T3_PNSM_ISR_E10value_typeET4_jRbjT5_SX_jjP12ihipStream_tbEUlT_E1_NS1_11comp_targetILNS1_3genE9ELNS1_11target_archE1100ELNS1_3gpuE3ELNS1_3repE0EEENS1_59segmented_radix_sort_warp_sort_small_config_static_selectorELNS0_4arch9wavefront6targetE0EEEvSL_
	.p2align	8
	.type	_ZN7rocprim17ROCPRIM_400000_NS6detail17trampoline_kernelINS0_14default_configENS1_36segmented_radix_sort_config_selectorI6__halflEEZNS1_25segmented_radix_sort_implIS3_Lb1EPKS5_PS5_PKlPlN2at6native12_GLOBAL__N_18offset_tEEE10hipError_tPvRmT1_PNSt15iterator_traitsISL_E10value_typeET2_T3_PNSM_ISR_E10value_typeET4_jRbjT5_SX_jjP12ihipStream_tbEUlT_E1_NS1_11comp_targetILNS1_3genE9ELNS1_11target_archE1100ELNS1_3gpuE3ELNS1_3repE0EEENS1_59segmented_radix_sort_warp_sort_small_config_static_selectorELNS0_4arch9wavefront6targetE0EEEvSL_,@function
_ZN7rocprim17ROCPRIM_400000_NS6detail17trampoline_kernelINS0_14default_configENS1_36segmented_radix_sort_config_selectorI6__halflEEZNS1_25segmented_radix_sort_implIS3_Lb1EPKS5_PS5_PKlPlN2at6native12_GLOBAL__N_18offset_tEEE10hipError_tPvRmT1_PNSt15iterator_traitsISL_E10value_typeET2_T3_PNSM_ISR_E10value_typeET4_jRbjT5_SX_jjP12ihipStream_tbEUlT_E1_NS1_11comp_targetILNS1_3genE9ELNS1_11target_archE1100ELNS1_3gpuE3ELNS1_3repE0EEENS1_59segmented_radix_sort_warp_sort_small_config_static_selectorELNS0_4arch9wavefront6targetE0EEEvSL_: ; @_ZN7rocprim17ROCPRIM_400000_NS6detail17trampoline_kernelINS0_14default_configENS1_36segmented_radix_sort_config_selectorI6__halflEEZNS1_25segmented_radix_sort_implIS3_Lb1EPKS5_PS5_PKlPlN2at6native12_GLOBAL__N_18offset_tEEE10hipError_tPvRmT1_PNSt15iterator_traitsISL_E10value_typeET2_T3_PNSM_ISR_E10value_typeET4_jRbjT5_SX_jjP12ihipStream_tbEUlT_E1_NS1_11comp_targetILNS1_3genE9ELNS1_11target_archE1100ELNS1_3gpuE3ELNS1_3repE0EEENS1_59segmented_radix_sort_warp_sort_small_config_static_selectorELNS0_4arch9wavefront6targetE0EEEvSL_
; %bb.0:
	.section	.rodata,"a",@progbits
	.p2align	6, 0x0
	.amdhsa_kernel _ZN7rocprim17ROCPRIM_400000_NS6detail17trampoline_kernelINS0_14default_configENS1_36segmented_radix_sort_config_selectorI6__halflEEZNS1_25segmented_radix_sort_implIS3_Lb1EPKS5_PS5_PKlPlN2at6native12_GLOBAL__N_18offset_tEEE10hipError_tPvRmT1_PNSt15iterator_traitsISL_E10value_typeET2_T3_PNSM_ISR_E10value_typeET4_jRbjT5_SX_jjP12ihipStream_tbEUlT_E1_NS1_11comp_targetILNS1_3genE9ELNS1_11target_archE1100ELNS1_3gpuE3ELNS1_3repE0EEENS1_59segmented_radix_sort_warp_sort_small_config_static_selectorELNS0_4arch9wavefront6targetE0EEEvSL_
		.amdhsa_group_segment_fixed_size 0
		.amdhsa_private_segment_fixed_size 0
		.amdhsa_kernarg_size 88
		.amdhsa_user_sgpr_count 2
		.amdhsa_user_sgpr_dispatch_ptr 0
		.amdhsa_user_sgpr_queue_ptr 0
		.amdhsa_user_sgpr_kernarg_segment_ptr 1
		.amdhsa_user_sgpr_dispatch_id 0
		.amdhsa_user_sgpr_kernarg_preload_length 0
		.amdhsa_user_sgpr_kernarg_preload_offset 0
		.amdhsa_user_sgpr_private_segment_size 0
		.amdhsa_wavefront_size32 1
		.amdhsa_uses_dynamic_stack 0
		.amdhsa_enable_private_segment 0
		.amdhsa_system_sgpr_workgroup_id_x 1
		.amdhsa_system_sgpr_workgroup_id_y 0
		.amdhsa_system_sgpr_workgroup_id_z 0
		.amdhsa_system_sgpr_workgroup_info 0
		.amdhsa_system_vgpr_workitem_id 0
		.amdhsa_next_free_vgpr 1
		.amdhsa_next_free_sgpr 1
		.amdhsa_named_barrier_count 0
		.amdhsa_reserve_vcc 0
		.amdhsa_float_round_mode_32 0
		.amdhsa_float_round_mode_16_64 0
		.amdhsa_float_denorm_mode_32 3
		.amdhsa_float_denorm_mode_16_64 3
		.amdhsa_fp16_overflow 0
		.amdhsa_memory_ordered 1
		.amdhsa_forward_progress 1
		.amdhsa_inst_pref_size 0
		.amdhsa_round_robin_scheduling 0
		.amdhsa_exception_fp_ieee_invalid_op 0
		.amdhsa_exception_fp_denorm_src 0
		.amdhsa_exception_fp_ieee_div_zero 0
		.amdhsa_exception_fp_ieee_overflow 0
		.amdhsa_exception_fp_ieee_underflow 0
		.amdhsa_exception_fp_ieee_inexact 0
		.amdhsa_exception_int_div_zero 0
	.end_amdhsa_kernel
	.section	.text._ZN7rocprim17ROCPRIM_400000_NS6detail17trampoline_kernelINS0_14default_configENS1_36segmented_radix_sort_config_selectorI6__halflEEZNS1_25segmented_radix_sort_implIS3_Lb1EPKS5_PS5_PKlPlN2at6native12_GLOBAL__N_18offset_tEEE10hipError_tPvRmT1_PNSt15iterator_traitsISL_E10value_typeET2_T3_PNSM_ISR_E10value_typeET4_jRbjT5_SX_jjP12ihipStream_tbEUlT_E1_NS1_11comp_targetILNS1_3genE9ELNS1_11target_archE1100ELNS1_3gpuE3ELNS1_3repE0EEENS1_59segmented_radix_sort_warp_sort_small_config_static_selectorELNS0_4arch9wavefront6targetE0EEEvSL_,"axG",@progbits,_ZN7rocprim17ROCPRIM_400000_NS6detail17trampoline_kernelINS0_14default_configENS1_36segmented_radix_sort_config_selectorI6__halflEEZNS1_25segmented_radix_sort_implIS3_Lb1EPKS5_PS5_PKlPlN2at6native12_GLOBAL__N_18offset_tEEE10hipError_tPvRmT1_PNSt15iterator_traitsISL_E10value_typeET2_T3_PNSM_ISR_E10value_typeET4_jRbjT5_SX_jjP12ihipStream_tbEUlT_E1_NS1_11comp_targetILNS1_3genE9ELNS1_11target_archE1100ELNS1_3gpuE3ELNS1_3repE0EEENS1_59segmented_radix_sort_warp_sort_small_config_static_selectorELNS0_4arch9wavefront6targetE0EEEvSL_,comdat
.Lfunc_end1757:
	.size	_ZN7rocprim17ROCPRIM_400000_NS6detail17trampoline_kernelINS0_14default_configENS1_36segmented_radix_sort_config_selectorI6__halflEEZNS1_25segmented_radix_sort_implIS3_Lb1EPKS5_PS5_PKlPlN2at6native12_GLOBAL__N_18offset_tEEE10hipError_tPvRmT1_PNSt15iterator_traitsISL_E10value_typeET2_T3_PNSM_ISR_E10value_typeET4_jRbjT5_SX_jjP12ihipStream_tbEUlT_E1_NS1_11comp_targetILNS1_3genE9ELNS1_11target_archE1100ELNS1_3gpuE3ELNS1_3repE0EEENS1_59segmented_radix_sort_warp_sort_small_config_static_selectorELNS0_4arch9wavefront6targetE0EEEvSL_, .Lfunc_end1757-_ZN7rocprim17ROCPRIM_400000_NS6detail17trampoline_kernelINS0_14default_configENS1_36segmented_radix_sort_config_selectorI6__halflEEZNS1_25segmented_radix_sort_implIS3_Lb1EPKS5_PS5_PKlPlN2at6native12_GLOBAL__N_18offset_tEEE10hipError_tPvRmT1_PNSt15iterator_traitsISL_E10value_typeET2_T3_PNSM_ISR_E10value_typeET4_jRbjT5_SX_jjP12ihipStream_tbEUlT_E1_NS1_11comp_targetILNS1_3genE9ELNS1_11target_archE1100ELNS1_3gpuE3ELNS1_3repE0EEENS1_59segmented_radix_sort_warp_sort_small_config_static_selectorELNS0_4arch9wavefront6targetE0EEEvSL_
                                        ; -- End function
	.set _ZN7rocprim17ROCPRIM_400000_NS6detail17trampoline_kernelINS0_14default_configENS1_36segmented_radix_sort_config_selectorI6__halflEEZNS1_25segmented_radix_sort_implIS3_Lb1EPKS5_PS5_PKlPlN2at6native12_GLOBAL__N_18offset_tEEE10hipError_tPvRmT1_PNSt15iterator_traitsISL_E10value_typeET2_T3_PNSM_ISR_E10value_typeET4_jRbjT5_SX_jjP12ihipStream_tbEUlT_E1_NS1_11comp_targetILNS1_3genE9ELNS1_11target_archE1100ELNS1_3gpuE3ELNS1_3repE0EEENS1_59segmented_radix_sort_warp_sort_small_config_static_selectorELNS0_4arch9wavefront6targetE0EEEvSL_.num_vgpr, 0
	.set _ZN7rocprim17ROCPRIM_400000_NS6detail17trampoline_kernelINS0_14default_configENS1_36segmented_radix_sort_config_selectorI6__halflEEZNS1_25segmented_radix_sort_implIS3_Lb1EPKS5_PS5_PKlPlN2at6native12_GLOBAL__N_18offset_tEEE10hipError_tPvRmT1_PNSt15iterator_traitsISL_E10value_typeET2_T3_PNSM_ISR_E10value_typeET4_jRbjT5_SX_jjP12ihipStream_tbEUlT_E1_NS1_11comp_targetILNS1_3genE9ELNS1_11target_archE1100ELNS1_3gpuE3ELNS1_3repE0EEENS1_59segmented_radix_sort_warp_sort_small_config_static_selectorELNS0_4arch9wavefront6targetE0EEEvSL_.num_agpr, 0
	.set _ZN7rocprim17ROCPRIM_400000_NS6detail17trampoline_kernelINS0_14default_configENS1_36segmented_radix_sort_config_selectorI6__halflEEZNS1_25segmented_radix_sort_implIS3_Lb1EPKS5_PS5_PKlPlN2at6native12_GLOBAL__N_18offset_tEEE10hipError_tPvRmT1_PNSt15iterator_traitsISL_E10value_typeET2_T3_PNSM_ISR_E10value_typeET4_jRbjT5_SX_jjP12ihipStream_tbEUlT_E1_NS1_11comp_targetILNS1_3genE9ELNS1_11target_archE1100ELNS1_3gpuE3ELNS1_3repE0EEENS1_59segmented_radix_sort_warp_sort_small_config_static_selectorELNS0_4arch9wavefront6targetE0EEEvSL_.numbered_sgpr, 0
	.set _ZN7rocprim17ROCPRIM_400000_NS6detail17trampoline_kernelINS0_14default_configENS1_36segmented_radix_sort_config_selectorI6__halflEEZNS1_25segmented_radix_sort_implIS3_Lb1EPKS5_PS5_PKlPlN2at6native12_GLOBAL__N_18offset_tEEE10hipError_tPvRmT1_PNSt15iterator_traitsISL_E10value_typeET2_T3_PNSM_ISR_E10value_typeET4_jRbjT5_SX_jjP12ihipStream_tbEUlT_E1_NS1_11comp_targetILNS1_3genE9ELNS1_11target_archE1100ELNS1_3gpuE3ELNS1_3repE0EEENS1_59segmented_radix_sort_warp_sort_small_config_static_selectorELNS0_4arch9wavefront6targetE0EEEvSL_.num_named_barrier, 0
	.set _ZN7rocprim17ROCPRIM_400000_NS6detail17trampoline_kernelINS0_14default_configENS1_36segmented_radix_sort_config_selectorI6__halflEEZNS1_25segmented_radix_sort_implIS3_Lb1EPKS5_PS5_PKlPlN2at6native12_GLOBAL__N_18offset_tEEE10hipError_tPvRmT1_PNSt15iterator_traitsISL_E10value_typeET2_T3_PNSM_ISR_E10value_typeET4_jRbjT5_SX_jjP12ihipStream_tbEUlT_E1_NS1_11comp_targetILNS1_3genE9ELNS1_11target_archE1100ELNS1_3gpuE3ELNS1_3repE0EEENS1_59segmented_radix_sort_warp_sort_small_config_static_selectorELNS0_4arch9wavefront6targetE0EEEvSL_.private_seg_size, 0
	.set _ZN7rocprim17ROCPRIM_400000_NS6detail17trampoline_kernelINS0_14default_configENS1_36segmented_radix_sort_config_selectorI6__halflEEZNS1_25segmented_radix_sort_implIS3_Lb1EPKS5_PS5_PKlPlN2at6native12_GLOBAL__N_18offset_tEEE10hipError_tPvRmT1_PNSt15iterator_traitsISL_E10value_typeET2_T3_PNSM_ISR_E10value_typeET4_jRbjT5_SX_jjP12ihipStream_tbEUlT_E1_NS1_11comp_targetILNS1_3genE9ELNS1_11target_archE1100ELNS1_3gpuE3ELNS1_3repE0EEENS1_59segmented_radix_sort_warp_sort_small_config_static_selectorELNS0_4arch9wavefront6targetE0EEEvSL_.uses_vcc, 0
	.set _ZN7rocprim17ROCPRIM_400000_NS6detail17trampoline_kernelINS0_14default_configENS1_36segmented_radix_sort_config_selectorI6__halflEEZNS1_25segmented_radix_sort_implIS3_Lb1EPKS5_PS5_PKlPlN2at6native12_GLOBAL__N_18offset_tEEE10hipError_tPvRmT1_PNSt15iterator_traitsISL_E10value_typeET2_T3_PNSM_ISR_E10value_typeET4_jRbjT5_SX_jjP12ihipStream_tbEUlT_E1_NS1_11comp_targetILNS1_3genE9ELNS1_11target_archE1100ELNS1_3gpuE3ELNS1_3repE0EEENS1_59segmented_radix_sort_warp_sort_small_config_static_selectorELNS0_4arch9wavefront6targetE0EEEvSL_.uses_flat_scratch, 0
	.set _ZN7rocprim17ROCPRIM_400000_NS6detail17trampoline_kernelINS0_14default_configENS1_36segmented_radix_sort_config_selectorI6__halflEEZNS1_25segmented_radix_sort_implIS3_Lb1EPKS5_PS5_PKlPlN2at6native12_GLOBAL__N_18offset_tEEE10hipError_tPvRmT1_PNSt15iterator_traitsISL_E10value_typeET2_T3_PNSM_ISR_E10value_typeET4_jRbjT5_SX_jjP12ihipStream_tbEUlT_E1_NS1_11comp_targetILNS1_3genE9ELNS1_11target_archE1100ELNS1_3gpuE3ELNS1_3repE0EEENS1_59segmented_radix_sort_warp_sort_small_config_static_selectorELNS0_4arch9wavefront6targetE0EEEvSL_.has_dyn_sized_stack, 0
	.set _ZN7rocprim17ROCPRIM_400000_NS6detail17trampoline_kernelINS0_14default_configENS1_36segmented_radix_sort_config_selectorI6__halflEEZNS1_25segmented_radix_sort_implIS3_Lb1EPKS5_PS5_PKlPlN2at6native12_GLOBAL__N_18offset_tEEE10hipError_tPvRmT1_PNSt15iterator_traitsISL_E10value_typeET2_T3_PNSM_ISR_E10value_typeET4_jRbjT5_SX_jjP12ihipStream_tbEUlT_E1_NS1_11comp_targetILNS1_3genE9ELNS1_11target_archE1100ELNS1_3gpuE3ELNS1_3repE0EEENS1_59segmented_radix_sort_warp_sort_small_config_static_selectorELNS0_4arch9wavefront6targetE0EEEvSL_.has_recursion, 0
	.set _ZN7rocprim17ROCPRIM_400000_NS6detail17trampoline_kernelINS0_14default_configENS1_36segmented_radix_sort_config_selectorI6__halflEEZNS1_25segmented_radix_sort_implIS3_Lb1EPKS5_PS5_PKlPlN2at6native12_GLOBAL__N_18offset_tEEE10hipError_tPvRmT1_PNSt15iterator_traitsISL_E10value_typeET2_T3_PNSM_ISR_E10value_typeET4_jRbjT5_SX_jjP12ihipStream_tbEUlT_E1_NS1_11comp_targetILNS1_3genE9ELNS1_11target_archE1100ELNS1_3gpuE3ELNS1_3repE0EEENS1_59segmented_radix_sort_warp_sort_small_config_static_selectorELNS0_4arch9wavefront6targetE0EEEvSL_.has_indirect_call, 0
	.section	.AMDGPU.csdata,"",@progbits
; Kernel info:
; codeLenInByte = 0
; TotalNumSgprs: 0
; NumVgprs: 0
; ScratchSize: 0
; MemoryBound: 0
; FloatMode: 240
; IeeeMode: 1
; LDSByteSize: 0 bytes/workgroup (compile time only)
; SGPRBlocks: 0
; VGPRBlocks: 0
; NumSGPRsForWavesPerEU: 1
; NumVGPRsForWavesPerEU: 1
; NamedBarCnt: 0
; Occupancy: 16
; WaveLimiterHint : 0
; COMPUTE_PGM_RSRC2:SCRATCH_EN: 0
; COMPUTE_PGM_RSRC2:USER_SGPR: 2
; COMPUTE_PGM_RSRC2:TRAP_HANDLER: 0
; COMPUTE_PGM_RSRC2:TGID_X_EN: 1
; COMPUTE_PGM_RSRC2:TGID_Y_EN: 0
; COMPUTE_PGM_RSRC2:TGID_Z_EN: 0
; COMPUTE_PGM_RSRC2:TIDIG_COMP_CNT: 0
	.section	.text._ZN7rocprim17ROCPRIM_400000_NS6detail17trampoline_kernelINS0_14default_configENS1_36segmented_radix_sort_config_selectorI6__halflEEZNS1_25segmented_radix_sort_implIS3_Lb1EPKS5_PS5_PKlPlN2at6native12_GLOBAL__N_18offset_tEEE10hipError_tPvRmT1_PNSt15iterator_traitsISL_E10value_typeET2_T3_PNSM_ISR_E10value_typeET4_jRbjT5_SX_jjP12ihipStream_tbEUlT_E1_NS1_11comp_targetILNS1_3genE8ELNS1_11target_archE1030ELNS1_3gpuE2ELNS1_3repE0EEENS1_59segmented_radix_sort_warp_sort_small_config_static_selectorELNS0_4arch9wavefront6targetE0EEEvSL_,"axG",@progbits,_ZN7rocprim17ROCPRIM_400000_NS6detail17trampoline_kernelINS0_14default_configENS1_36segmented_radix_sort_config_selectorI6__halflEEZNS1_25segmented_radix_sort_implIS3_Lb1EPKS5_PS5_PKlPlN2at6native12_GLOBAL__N_18offset_tEEE10hipError_tPvRmT1_PNSt15iterator_traitsISL_E10value_typeET2_T3_PNSM_ISR_E10value_typeET4_jRbjT5_SX_jjP12ihipStream_tbEUlT_E1_NS1_11comp_targetILNS1_3genE8ELNS1_11target_archE1030ELNS1_3gpuE2ELNS1_3repE0EEENS1_59segmented_radix_sort_warp_sort_small_config_static_selectorELNS0_4arch9wavefront6targetE0EEEvSL_,comdat
	.globl	_ZN7rocprim17ROCPRIM_400000_NS6detail17trampoline_kernelINS0_14default_configENS1_36segmented_radix_sort_config_selectorI6__halflEEZNS1_25segmented_radix_sort_implIS3_Lb1EPKS5_PS5_PKlPlN2at6native12_GLOBAL__N_18offset_tEEE10hipError_tPvRmT1_PNSt15iterator_traitsISL_E10value_typeET2_T3_PNSM_ISR_E10value_typeET4_jRbjT5_SX_jjP12ihipStream_tbEUlT_E1_NS1_11comp_targetILNS1_3genE8ELNS1_11target_archE1030ELNS1_3gpuE2ELNS1_3repE0EEENS1_59segmented_radix_sort_warp_sort_small_config_static_selectorELNS0_4arch9wavefront6targetE0EEEvSL_ ; -- Begin function _ZN7rocprim17ROCPRIM_400000_NS6detail17trampoline_kernelINS0_14default_configENS1_36segmented_radix_sort_config_selectorI6__halflEEZNS1_25segmented_radix_sort_implIS3_Lb1EPKS5_PS5_PKlPlN2at6native12_GLOBAL__N_18offset_tEEE10hipError_tPvRmT1_PNSt15iterator_traitsISL_E10value_typeET2_T3_PNSM_ISR_E10value_typeET4_jRbjT5_SX_jjP12ihipStream_tbEUlT_E1_NS1_11comp_targetILNS1_3genE8ELNS1_11target_archE1030ELNS1_3gpuE2ELNS1_3repE0EEENS1_59segmented_radix_sort_warp_sort_small_config_static_selectorELNS0_4arch9wavefront6targetE0EEEvSL_
	.p2align	8
	.type	_ZN7rocprim17ROCPRIM_400000_NS6detail17trampoline_kernelINS0_14default_configENS1_36segmented_radix_sort_config_selectorI6__halflEEZNS1_25segmented_radix_sort_implIS3_Lb1EPKS5_PS5_PKlPlN2at6native12_GLOBAL__N_18offset_tEEE10hipError_tPvRmT1_PNSt15iterator_traitsISL_E10value_typeET2_T3_PNSM_ISR_E10value_typeET4_jRbjT5_SX_jjP12ihipStream_tbEUlT_E1_NS1_11comp_targetILNS1_3genE8ELNS1_11target_archE1030ELNS1_3gpuE2ELNS1_3repE0EEENS1_59segmented_radix_sort_warp_sort_small_config_static_selectorELNS0_4arch9wavefront6targetE0EEEvSL_,@function
_ZN7rocprim17ROCPRIM_400000_NS6detail17trampoline_kernelINS0_14default_configENS1_36segmented_radix_sort_config_selectorI6__halflEEZNS1_25segmented_radix_sort_implIS3_Lb1EPKS5_PS5_PKlPlN2at6native12_GLOBAL__N_18offset_tEEE10hipError_tPvRmT1_PNSt15iterator_traitsISL_E10value_typeET2_T3_PNSM_ISR_E10value_typeET4_jRbjT5_SX_jjP12ihipStream_tbEUlT_E1_NS1_11comp_targetILNS1_3genE8ELNS1_11target_archE1030ELNS1_3gpuE2ELNS1_3repE0EEENS1_59segmented_radix_sort_warp_sort_small_config_static_selectorELNS0_4arch9wavefront6targetE0EEEvSL_: ; @_ZN7rocprim17ROCPRIM_400000_NS6detail17trampoline_kernelINS0_14default_configENS1_36segmented_radix_sort_config_selectorI6__halflEEZNS1_25segmented_radix_sort_implIS3_Lb1EPKS5_PS5_PKlPlN2at6native12_GLOBAL__N_18offset_tEEE10hipError_tPvRmT1_PNSt15iterator_traitsISL_E10value_typeET2_T3_PNSM_ISR_E10value_typeET4_jRbjT5_SX_jjP12ihipStream_tbEUlT_E1_NS1_11comp_targetILNS1_3genE8ELNS1_11target_archE1030ELNS1_3gpuE2ELNS1_3repE0EEENS1_59segmented_radix_sort_warp_sort_small_config_static_selectorELNS0_4arch9wavefront6targetE0EEEvSL_
; %bb.0:
	.section	.rodata,"a",@progbits
	.p2align	6, 0x0
	.amdhsa_kernel _ZN7rocprim17ROCPRIM_400000_NS6detail17trampoline_kernelINS0_14default_configENS1_36segmented_radix_sort_config_selectorI6__halflEEZNS1_25segmented_radix_sort_implIS3_Lb1EPKS5_PS5_PKlPlN2at6native12_GLOBAL__N_18offset_tEEE10hipError_tPvRmT1_PNSt15iterator_traitsISL_E10value_typeET2_T3_PNSM_ISR_E10value_typeET4_jRbjT5_SX_jjP12ihipStream_tbEUlT_E1_NS1_11comp_targetILNS1_3genE8ELNS1_11target_archE1030ELNS1_3gpuE2ELNS1_3repE0EEENS1_59segmented_radix_sort_warp_sort_small_config_static_selectorELNS0_4arch9wavefront6targetE0EEEvSL_
		.amdhsa_group_segment_fixed_size 0
		.amdhsa_private_segment_fixed_size 0
		.amdhsa_kernarg_size 88
		.amdhsa_user_sgpr_count 2
		.amdhsa_user_sgpr_dispatch_ptr 0
		.amdhsa_user_sgpr_queue_ptr 0
		.amdhsa_user_sgpr_kernarg_segment_ptr 1
		.amdhsa_user_sgpr_dispatch_id 0
		.amdhsa_user_sgpr_kernarg_preload_length 0
		.amdhsa_user_sgpr_kernarg_preload_offset 0
		.amdhsa_user_sgpr_private_segment_size 0
		.amdhsa_wavefront_size32 1
		.amdhsa_uses_dynamic_stack 0
		.amdhsa_enable_private_segment 0
		.amdhsa_system_sgpr_workgroup_id_x 1
		.amdhsa_system_sgpr_workgroup_id_y 0
		.amdhsa_system_sgpr_workgroup_id_z 0
		.amdhsa_system_sgpr_workgroup_info 0
		.amdhsa_system_vgpr_workitem_id 0
		.amdhsa_next_free_vgpr 1
		.amdhsa_next_free_sgpr 1
		.amdhsa_named_barrier_count 0
		.amdhsa_reserve_vcc 0
		.amdhsa_float_round_mode_32 0
		.amdhsa_float_round_mode_16_64 0
		.amdhsa_float_denorm_mode_32 3
		.amdhsa_float_denorm_mode_16_64 3
		.amdhsa_fp16_overflow 0
		.amdhsa_memory_ordered 1
		.amdhsa_forward_progress 1
		.amdhsa_inst_pref_size 0
		.amdhsa_round_robin_scheduling 0
		.amdhsa_exception_fp_ieee_invalid_op 0
		.amdhsa_exception_fp_denorm_src 0
		.amdhsa_exception_fp_ieee_div_zero 0
		.amdhsa_exception_fp_ieee_overflow 0
		.amdhsa_exception_fp_ieee_underflow 0
		.amdhsa_exception_fp_ieee_inexact 0
		.amdhsa_exception_int_div_zero 0
	.end_amdhsa_kernel
	.section	.text._ZN7rocprim17ROCPRIM_400000_NS6detail17trampoline_kernelINS0_14default_configENS1_36segmented_radix_sort_config_selectorI6__halflEEZNS1_25segmented_radix_sort_implIS3_Lb1EPKS5_PS5_PKlPlN2at6native12_GLOBAL__N_18offset_tEEE10hipError_tPvRmT1_PNSt15iterator_traitsISL_E10value_typeET2_T3_PNSM_ISR_E10value_typeET4_jRbjT5_SX_jjP12ihipStream_tbEUlT_E1_NS1_11comp_targetILNS1_3genE8ELNS1_11target_archE1030ELNS1_3gpuE2ELNS1_3repE0EEENS1_59segmented_radix_sort_warp_sort_small_config_static_selectorELNS0_4arch9wavefront6targetE0EEEvSL_,"axG",@progbits,_ZN7rocprim17ROCPRIM_400000_NS6detail17trampoline_kernelINS0_14default_configENS1_36segmented_radix_sort_config_selectorI6__halflEEZNS1_25segmented_radix_sort_implIS3_Lb1EPKS5_PS5_PKlPlN2at6native12_GLOBAL__N_18offset_tEEE10hipError_tPvRmT1_PNSt15iterator_traitsISL_E10value_typeET2_T3_PNSM_ISR_E10value_typeET4_jRbjT5_SX_jjP12ihipStream_tbEUlT_E1_NS1_11comp_targetILNS1_3genE8ELNS1_11target_archE1030ELNS1_3gpuE2ELNS1_3repE0EEENS1_59segmented_radix_sort_warp_sort_small_config_static_selectorELNS0_4arch9wavefront6targetE0EEEvSL_,comdat
.Lfunc_end1758:
	.size	_ZN7rocprim17ROCPRIM_400000_NS6detail17trampoline_kernelINS0_14default_configENS1_36segmented_radix_sort_config_selectorI6__halflEEZNS1_25segmented_radix_sort_implIS3_Lb1EPKS5_PS5_PKlPlN2at6native12_GLOBAL__N_18offset_tEEE10hipError_tPvRmT1_PNSt15iterator_traitsISL_E10value_typeET2_T3_PNSM_ISR_E10value_typeET4_jRbjT5_SX_jjP12ihipStream_tbEUlT_E1_NS1_11comp_targetILNS1_3genE8ELNS1_11target_archE1030ELNS1_3gpuE2ELNS1_3repE0EEENS1_59segmented_radix_sort_warp_sort_small_config_static_selectorELNS0_4arch9wavefront6targetE0EEEvSL_, .Lfunc_end1758-_ZN7rocprim17ROCPRIM_400000_NS6detail17trampoline_kernelINS0_14default_configENS1_36segmented_radix_sort_config_selectorI6__halflEEZNS1_25segmented_radix_sort_implIS3_Lb1EPKS5_PS5_PKlPlN2at6native12_GLOBAL__N_18offset_tEEE10hipError_tPvRmT1_PNSt15iterator_traitsISL_E10value_typeET2_T3_PNSM_ISR_E10value_typeET4_jRbjT5_SX_jjP12ihipStream_tbEUlT_E1_NS1_11comp_targetILNS1_3genE8ELNS1_11target_archE1030ELNS1_3gpuE2ELNS1_3repE0EEENS1_59segmented_radix_sort_warp_sort_small_config_static_selectorELNS0_4arch9wavefront6targetE0EEEvSL_
                                        ; -- End function
	.set _ZN7rocprim17ROCPRIM_400000_NS6detail17trampoline_kernelINS0_14default_configENS1_36segmented_radix_sort_config_selectorI6__halflEEZNS1_25segmented_radix_sort_implIS3_Lb1EPKS5_PS5_PKlPlN2at6native12_GLOBAL__N_18offset_tEEE10hipError_tPvRmT1_PNSt15iterator_traitsISL_E10value_typeET2_T3_PNSM_ISR_E10value_typeET4_jRbjT5_SX_jjP12ihipStream_tbEUlT_E1_NS1_11comp_targetILNS1_3genE8ELNS1_11target_archE1030ELNS1_3gpuE2ELNS1_3repE0EEENS1_59segmented_radix_sort_warp_sort_small_config_static_selectorELNS0_4arch9wavefront6targetE0EEEvSL_.num_vgpr, 0
	.set _ZN7rocprim17ROCPRIM_400000_NS6detail17trampoline_kernelINS0_14default_configENS1_36segmented_radix_sort_config_selectorI6__halflEEZNS1_25segmented_radix_sort_implIS3_Lb1EPKS5_PS5_PKlPlN2at6native12_GLOBAL__N_18offset_tEEE10hipError_tPvRmT1_PNSt15iterator_traitsISL_E10value_typeET2_T3_PNSM_ISR_E10value_typeET4_jRbjT5_SX_jjP12ihipStream_tbEUlT_E1_NS1_11comp_targetILNS1_3genE8ELNS1_11target_archE1030ELNS1_3gpuE2ELNS1_3repE0EEENS1_59segmented_radix_sort_warp_sort_small_config_static_selectorELNS0_4arch9wavefront6targetE0EEEvSL_.num_agpr, 0
	.set _ZN7rocprim17ROCPRIM_400000_NS6detail17trampoline_kernelINS0_14default_configENS1_36segmented_radix_sort_config_selectorI6__halflEEZNS1_25segmented_radix_sort_implIS3_Lb1EPKS5_PS5_PKlPlN2at6native12_GLOBAL__N_18offset_tEEE10hipError_tPvRmT1_PNSt15iterator_traitsISL_E10value_typeET2_T3_PNSM_ISR_E10value_typeET4_jRbjT5_SX_jjP12ihipStream_tbEUlT_E1_NS1_11comp_targetILNS1_3genE8ELNS1_11target_archE1030ELNS1_3gpuE2ELNS1_3repE0EEENS1_59segmented_radix_sort_warp_sort_small_config_static_selectorELNS0_4arch9wavefront6targetE0EEEvSL_.numbered_sgpr, 0
	.set _ZN7rocprim17ROCPRIM_400000_NS6detail17trampoline_kernelINS0_14default_configENS1_36segmented_radix_sort_config_selectorI6__halflEEZNS1_25segmented_radix_sort_implIS3_Lb1EPKS5_PS5_PKlPlN2at6native12_GLOBAL__N_18offset_tEEE10hipError_tPvRmT1_PNSt15iterator_traitsISL_E10value_typeET2_T3_PNSM_ISR_E10value_typeET4_jRbjT5_SX_jjP12ihipStream_tbEUlT_E1_NS1_11comp_targetILNS1_3genE8ELNS1_11target_archE1030ELNS1_3gpuE2ELNS1_3repE0EEENS1_59segmented_radix_sort_warp_sort_small_config_static_selectorELNS0_4arch9wavefront6targetE0EEEvSL_.num_named_barrier, 0
	.set _ZN7rocprim17ROCPRIM_400000_NS6detail17trampoline_kernelINS0_14default_configENS1_36segmented_radix_sort_config_selectorI6__halflEEZNS1_25segmented_radix_sort_implIS3_Lb1EPKS5_PS5_PKlPlN2at6native12_GLOBAL__N_18offset_tEEE10hipError_tPvRmT1_PNSt15iterator_traitsISL_E10value_typeET2_T3_PNSM_ISR_E10value_typeET4_jRbjT5_SX_jjP12ihipStream_tbEUlT_E1_NS1_11comp_targetILNS1_3genE8ELNS1_11target_archE1030ELNS1_3gpuE2ELNS1_3repE0EEENS1_59segmented_radix_sort_warp_sort_small_config_static_selectorELNS0_4arch9wavefront6targetE0EEEvSL_.private_seg_size, 0
	.set _ZN7rocprim17ROCPRIM_400000_NS6detail17trampoline_kernelINS0_14default_configENS1_36segmented_radix_sort_config_selectorI6__halflEEZNS1_25segmented_radix_sort_implIS3_Lb1EPKS5_PS5_PKlPlN2at6native12_GLOBAL__N_18offset_tEEE10hipError_tPvRmT1_PNSt15iterator_traitsISL_E10value_typeET2_T3_PNSM_ISR_E10value_typeET4_jRbjT5_SX_jjP12ihipStream_tbEUlT_E1_NS1_11comp_targetILNS1_3genE8ELNS1_11target_archE1030ELNS1_3gpuE2ELNS1_3repE0EEENS1_59segmented_radix_sort_warp_sort_small_config_static_selectorELNS0_4arch9wavefront6targetE0EEEvSL_.uses_vcc, 0
	.set _ZN7rocprim17ROCPRIM_400000_NS6detail17trampoline_kernelINS0_14default_configENS1_36segmented_radix_sort_config_selectorI6__halflEEZNS1_25segmented_radix_sort_implIS3_Lb1EPKS5_PS5_PKlPlN2at6native12_GLOBAL__N_18offset_tEEE10hipError_tPvRmT1_PNSt15iterator_traitsISL_E10value_typeET2_T3_PNSM_ISR_E10value_typeET4_jRbjT5_SX_jjP12ihipStream_tbEUlT_E1_NS1_11comp_targetILNS1_3genE8ELNS1_11target_archE1030ELNS1_3gpuE2ELNS1_3repE0EEENS1_59segmented_radix_sort_warp_sort_small_config_static_selectorELNS0_4arch9wavefront6targetE0EEEvSL_.uses_flat_scratch, 0
	.set _ZN7rocprim17ROCPRIM_400000_NS6detail17trampoline_kernelINS0_14default_configENS1_36segmented_radix_sort_config_selectorI6__halflEEZNS1_25segmented_radix_sort_implIS3_Lb1EPKS5_PS5_PKlPlN2at6native12_GLOBAL__N_18offset_tEEE10hipError_tPvRmT1_PNSt15iterator_traitsISL_E10value_typeET2_T3_PNSM_ISR_E10value_typeET4_jRbjT5_SX_jjP12ihipStream_tbEUlT_E1_NS1_11comp_targetILNS1_3genE8ELNS1_11target_archE1030ELNS1_3gpuE2ELNS1_3repE0EEENS1_59segmented_radix_sort_warp_sort_small_config_static_selectorELNS0_4arch9wavefront6targetE0EEEvSL_.has_dyn_sized_stack, 0
	.set _ZN7rocprim17ROCPRIM_400000_NS6detail17trampoline_kernelINS0_14default_configENS1_36segmented_radix_sort_config_selectorI6__halflEEZNS1_25segmented_radix_sort_implIS3_Lb1EPKS5_PS5_PKlPlN2at6native12_GLOBAL__N_18offset_tEEE10hipError_tPvRmT1_PNSt15iterator_traitsISL_E10value_typeET2_T3_PNSM_ISR_E10value_typeET4_jRbjT5_SX_jjP12ihipStream_tbEUlT_E1_NS1_11comp_targetILNS1_3genE8ELNS1_11target_archE1030ELNS1_3gpuE2ELNS1_3repE0EEENS1_59segmented_radix_sort_warp_sort_small_config_static_selectorELNS0_4arch9wavefront6targetE0EEEvSL_.has_recursion, 0
	.set _ZN7rocprim17ROCPRIM_400000_NS6detail17trampoline_kernelINS0_14default_configENS1_36segmented_radix_sort_config_selectorI6__halflEEZNS1_25segmented_radix_sort_implIS3_Lb1EPKS5_PS5_PKlPlN2at6native12_GLOBAL__N_18offset_tEEE10hipError_tPvRmT1_PNSt15iterator_traitsISL_E10value_typeET2_T3_PNSM_ISR_E10value_typeET4_jRbjT5_SX_jjP12ihipStream_tbEUlT_E1_NS1_11comp_targetILNS1_3genE8ELNS1_11target_archE1030ELNS1_3gpuE2ELNS1_3repE0EEENS1_59segmented_radix_sort_warp_sort_small_config_static_selectorELNS0_4arch9wavefront6targetE0EEEvSL_.has_indirect_call, 0
	.section	.AMDGPU.csdata,"",@progbits
; Kernel info:
; codeLenInByte = 0
; TotalNumSgprs: 0
; NumVgprs: 0
; ScratchSize: 0
; MemoryBound: 0
; FloatMode: 240
; IeeeMode: 1
; LDSByteSize: 0 bytes/workgroup (compile time only)
; SGPRBlocks: 0
; VGPRBlocks: 0
; NumSGPRsForWavesPerEU: 1
; NumVGPRsForWavesPerEU: 1
; NamedBarCnt: 0
; Occupancy: 16
; WaveLimiterHint : 0
; COMPUTE_PGM_RSRC2:SCRATCH_EN: 0
; COMPUTE_PGM_RSRC2:USER_SGPR: 2
; COMPUTE_PGM_RSRC2:TRAP_HANDLER: 0
; COMPUTE_PGM_RSRC2:TGID_X_EN: 1
; COMPUTE_PGM_RSRC2:TGID_Y_EN: 0
; COMPUTE_PGM_RSRC2:TGID_Z_EN: 0
; COMPUTE_PGM_RSRC2:TIDIG_COMP_CNT: 0
	.section	.text._ZN7rocprim17ROCPRIM_400000_NS6detail17trampoline_kernelINS0_14default_configENS1_36segmented_radix_sort_config_selectorI6__halflEEZNS1_25segmented_radix_sort_implIS3_Lb1EPKS5_PS5_PKlPlN2at6native12_GLOBAL__N_18offset_tEEE10hipError_tPvRmT1_PNSt15iterator_traitsISL_E10value_typeET2_T3_PNSM_ISR_E10value_typeET4_jRbjT5_SX_jjP12ihipStream_tbEUlT_E2_NS1_11comp_targetILNS1_3genE0ELNS1_11target_archE4294967295ELNS1_3gpuE0ELNS1_3repE0EEENS1_30default_config_static_selectorELNS0_4arch9wavefront6targetE0EEEvSL_,"axG",@progbits,_ZN7rocprim17ROCPRIM_400000_NS6detail17trampoline_kernelINS0_14default_configENS1_36segmented_radix_sort_config_selectorI6__halflEEZNS1_25segmented_radix_sort_implIS3_Lb1EPKS5_PS5_PKlPlN2at6native12_GLOBAL__N_18offset_tEEE10hipError_tPvRmT1_PNSt15iterator_traitsISL_E10value_typeET2_T3_PNSM_ISR_E10value_typeET4_jRbjT5_SX_jjP12ihipStream_tbEUlT_E2_NS1_11comp_targetILNS1_3genE0ELNS1_11target_archE4294967295ELNS1_3gpuE0ELNS1_3repE0EEENS1_30default_config_static_selectorELNS0_4arch9wavefront6targetE0EEEvSL_,comdat
	.globl	_ZN7rocprim17ROCPRIM_400000_NS6detail17trampoline_kernelINS0_14default_configENS1_36segmented_radix_sort_config_selectorI6__halflEEZNS1_25segmented_radix_sort_implIS3_Lb1EPKS5_PS5_PKlPlN2at6native12_GLOBAL__N_18offset_tEEE10hipError_tPvRmT1_PNSt15iterator_traitsISL_E10value_typeET2_T3_PNSM_ISR_E10value_typeET4_jRbjT5_SX_jjP12ihipStream_tbEUlT_E2_NS1_11comp_targetILNS1_3genE0ELNS1_11target_archE4294967295ELNS1_3gpuE0ELNS1_3repE0EEENS1_30default_config_static_selectorELNS0_4arch9wavefront6targetE0EEEvSL_ ; -- Begin function _ZN7rocprim17ROCPRIM_400000_NS6detail17trampoline_kernelINS0_14default_configENS1_36segmented_radix_sort_config_selectorI6__halflEEZNS1_25segmented_radix_sort_implIS3_Lb1EPKS5_PS5_PKlPlN2at6native12_GLOBAL__N_18offset_tEEE10hipError_tPvRmT1_PNSt15iterator_traitsISL_E10value_typeET2_T3_PNSM_ISR_E10value_typeET4_jRbjT5_SX_jjP12ihipStream_tbEUlT_E2_NS1_11comp_targetILNS1_3genE0ELNS1_11target_archE4294967295ELNS1_3gpuE0ELNS1_3repE0EEENS1_30default_config_static_selectorELNS0_4arch9wavefront6targetE0EEEvSL_
	.p2align	8
	.type	_ZN7rocprim17ROCPRIM_400000_NS6detail17trampoline_kernelINS0_14default_configENS1_36segmented_radix_sort_config_selectorI6__halflEEZNS1_25segmented_radix_sort_implIS3_Lb1EPKS5_PS5_PKlPlN2at6native12_GLOBAL__N_18offset_tEEE10hipError_tPvRmT1_PNSt15iterator_traitsISL_E10value_typeET2_T3_PNSM_ISR_E10value_typeET4_jRbjT5_SX_jjP12ihipStream_tbEUlT_E2_NS1_11comp_targetILNS1_3genE0ELNS1_11target_archE4294967295ELNS1_3gpuE0ELNS1_3repE0EEENS1_30default_config_static_selectorELNS0_4arch9wavefront6targetE0EEEvSL_,@function
_ZN7rocprim17ROCPRIM_400000_NS6detail17trampoline_kernelINS0_14default_configENS1_36segmented_radix_sort_config_selectorI6__halflEEZNS1_25segmented_radix_sort_implIS3_Lb1EPKS5_PS5_PKlPlN2at6native12_GLOBAL__N_18offset_tEEE10hipError_tPvRmT1_PNSt15iterator_traitsISL_E10value_typeET2_T3_PNSM_ISR_E10value_typeET4_jRbjT5_SX_jjP12ihipStream_tbEUlT_E2_NS1_11comp_targetILNS1_3genE0ELNS1_11target_archE4294967295ELNS1_3gpuE0ELNS1_3repE0EEENS1_30default_config_static_selectorELNS0_4arch9wavefront6targetE0EEEvSL_: ; @_ZN7rocprim17ROCPRIM_400000_NS6detail17trampoline_kernelINS0_14default_configENS1_36segmented_radix_sort_config_selectorI6__halflEEZNS1_25segmented_radix_sort_implIS3_Lb1EPKS5_PS5_PKlPlN2at6native12_GLOBAL__N_18offset_tEEE10hipError_tPvRmT1_PNSt15iterator_traitsISL_E10value_typeET2_T3_PNSM_ISR_E10value_typeET4_jRbjT5_SX_jjP12ihipStream_tbEUlT_E2_NS1_11comp_targetILNS1_3genE0ELNS1_11target_archE4294967295ELNS1_3gpuE0ELNS1_3repE0EEENS1_30default_config_static_selectorELNS0_4arch9wavefront6targetE0EEEvSL_
; %bb.0:
	s_load_b128 s[4:7], s[2:3], 0x34
	s_bfe_u32 s8, ttmp6, 0x4000c
	s_and_b32 s9, ttmp6, 15
	s_add_co_i32 s8, s8, 1
	s_getreg_b32 s27, hwreg(HW_REG_IB_STS2, 6, 4)
	s_mul_i32 s8, ttmp9, s8
	s_mov_b32 s32, 0
	s_add_co_i32 s9, s9, s8
	s_cmp_eq_u32 s27, 0
	s_cselect_b32 s33, ttmp9, s9
	s_wait_kmcnt 0x0
	s_add_co_i32 s51, s7, s33
	s_add_co_i32 s54, s5, s33
	s_mul_i32 s51, s51, s6
	s_mul_i32 s54, s54, s4
	s_delay_alu instid0(SALU_CYCLE_1)
	s_cmp_le_u32 s51, s54
	s_cbranch_scc1 .LBB1759_1187
; %bb.1:
	s_clause 0x3
	s_load_b32 s4, s[2:3], 0x30
	s_load_b128 s[44:47], s[2:3], 0x20
	s_load_b96 s[48:50], s[2:3], 0x44
	s_load_b256 s[36:43], s[2:3], 0x0
	s_wait_kmcnt 0x0
	s_bitcmp1_b32 s4, 0
	s_mov_b32 s4, -1
	s_cselect_b32 s55, -1, 0
	s_sub_co_i32 s56, s51, s54
	s_delay_alu instid0(SALU_CYCLE_1)
	s_cmp_lt_u32 s56, 0x1001
	s_cbranch_scc0 .LBB1759_12
; %bb.2:
	s_cmp_lt_u32 s56, 33
	s_cbranch_scc0 .LBB1759_6
; %bb.3:
	s_load_b32 s4, s[2:3], 0x5c
	v_bfe_u32 v1, v0, 10, 10
	v_bfe_u32 v2, v0, 20, 10
	s_mov_b32 s15, exec_lo
	s_wait_kmcnt 0x0
	s_lshr_b32 s5, s4, 16
	s_and_b32 s4, s4, 0xffff
	v_mad_u32_u24 v1, v2, s5, v1
	v_and_b32_e32 v2, 0x3ff, v0
	s_delay_alu instid0(VALU_DEP_1) | instskip(NEXT) | instid1(VALU_DEP_1)
	v_mad_u32 v1, v1, s4, v2
	v_cmpx_gt_u32_e32 8, v1
	s_cbranch_execz .LBB1759_5
; %bb.4:
	s_bitcmp1_b32 s48, 0
	s_mov_b64 s[4:5], src_shared_base
	s_cselect_b32 s4, -1, 0
	v_dual_mov_b32 v31, v0 :: v_dual_mov_b32 v40, v0
	s_xor_b32 s4, s55, s4
	v_dual_mov_b32 v0, s36 :: v_dual_mov_b32 v1, s37
	s_xor_b32 s4, s4, -1
	v_dual_mov_b32 v2, s38 :: v_dual_mov_b32 v3, s39
	v_cndmask_b32_e64 v12, 0, 1, s4
	v_dual_mov_b32 v4, s40 :: v_dual_mov_b32 v5, s41
	v_dual_mov_b32 v6, s42 :: v_dual_mov_b32 v7, s43
	;; [unrolled: 1-line block ×6, first 2 shown]
	s_add_nc_u64 s[8:9], s[2:3], 0x50
	s_get_pc_i64 s[10:11]
	s_add_nc_u64 s[10:11], s[10:11], _ZN7rocprim17ROCPRIM_400000_NS6detail26segmented_warp_sort_helperINS1_20WarpSortHelperConfigILj8ELj4ELj256EEE6__halflLi256ELb1EvE4sortIPKS5_PS5_PKlPlEEvT_SA_T0_T1_SD_T2_bjjjjRNS6_12storage_typeE@rel64+4
	s_mov_b64 s[6:7], s[0:1]
	s_mov_b64 s[16:17], s[2:3]
	;; [unrolled: 1-line block ×3, first 2 shown]
	s_swap_pc_i64 s[30:31], s[10:11]
	v_mov_b32_e32 v0, v40
	s_mov_b64 s[0:1], s[18:19]
	s_mov_b64 s[2:3], s[16:17]
.LBB1759_5:
	s_or_b32 exec_lo, exec_lo, s15
	s_mov_b32 s4, 0
.LBB1759_6:
	s_delay_alu instid0(SALU_CYCLE_1)
	s_and_not1_b32 vcc_lo, exec_lo, s4
	s_cbranch_vccnz .LBB1759_11
; %bb.7:
	v_cndmask_b32_e64 v1, 0, 1, s55
	s_and_b32 s4, s48, 1
	s_get_pc_i64 s[28:29]
	s_add_nc_u64 s[28:29], s[28:29], _ZN7rocprim17ROCPRIM_400000_NS6detail40segmented_radix_sort_single_block_helperI6__halflLj256ELj16ELb1EE4sortIPKS3_PS3_PKlPlEEbT_T0_T1_T2_jjjjRNS4_12storage_typeE@rel64+4
	s_delay_alu instid0(VALU_DEP_1)
	v_cmp_ne_u32_e32 vcc_lo, s4, v1
	s_mov_b32 s4, -1
	s_cbranch_vccnz .LBB1759_9
; %bb.8:
	s_mov_b64 s[4:5], src_shared_base
	v_dual_mov_b32 v31, v0 :: v_dual_mov_b32 v40, v0
	v_dual_mov_b32 v0, s36 :: v_dual_mov_b32 v1, s37
	;; [unrolled: 1-line block ×8, first 2 shown]
	s_add_nc_u64 s[8:9], s[2:3], 0x50
	s_mov_b64 s[6:7], s[0:1]
	s_mov_b64 s[34:35], s[2:3]
	;; [unrolled: 1-line block ×3, first 2 shown]
	s_swap_pc_i64 s[30:31], s[28:29]
	v_mov_b32_e32 v0, v40
	s_mov_b64 s[0:1], s[52:53]
	s_mov_b64 s[2:3], s[34:35]
	s_mov_b32 s4, 0
.LBB1759_9:
	s_delay_alu instid0(SALU_CYCLE_1)
	s_and_not1_b32 vcc_lo, exec_lo, s4
	s_cbranch_vccnz .LBB1759_11
; %bb.10:
	s_mov_b64 s[4:5], src_shared_base
	v_dual_mov_b32 v31, v0 :: v_dual_mov_b32 v40, v0
	v_dual_mov_b32 v0, s36 :: v_dual_mov_b32 v1, s37
	;; [unrolled: 1-line block ×8, first 2 shown]
	s_add_nc_u64 s[8:9], s[2:3], 0x50
	s_mov_b64 s[6:7], s[0:1]
	s_mov_b64 s[34:35], s[2:3]
	s_swap_pc_i64 s[30:31], s[28:29]
	v_mov_b32_e32 v0, v40
	s_mov_b64 s[2:3], s[34:35]
.LBB1759_11:
	s_mov_b32 s4, 0
.LBB1759_12:
	s_delay_alu instid0(SALU_CYCLE_1)
	s_and_not1_b32 vcc_lo, exec_lo, s4
	s_cbranch_vccnz .LBB1759_1187
; %bb.13:
	s_cmp_ge_u32 s49, s50
	s_cbranch_scc1 .LBB1759_1187
; %bb.14:
	v_and_b32_e32 v2, 0x3ff, v0
	v_dual_mov_b32 v5, 0 :: v_dual_bitop2_b32 v1, 3, v0 bitop3:0x40
	v_lshrrev_b32_e32 v8, 3, v0
	v_bfe_u32 v89, v0, 20, 10
	s_delay_alu instid0(VALU_DEP_4) | instskip(NEXT) | instid1(VALU_DEP_4)
	v_dual_lshlrev_b32 v3, 2, v2 :: v_dual_lshlrev_b32 v4, 1, v2
	v_dual_lshlrev_b32 v83, 2, v1 :: v_dual_bitop2_b32 v1, 31, v2 bitop3:0x54
	s_delay_alu instid0(VALU_DEP_4) | instskip(NEXT) | instid1(VALU_DEP_3)
	v_dual_lshlrev_b32 v8, 4, v2 :: v_dual_bitop2_b32 v84, 28, v8 bitop3:0x40
	v_mad_u32_u24 v85, v2, 12, v3
	v_bfe_u32 v90, v0, 10, 10
	v_lshlrev_b32_e32 v0, 5, v2
	v_mbcnt_lo_u32_b32 v95, -1, 0
	v_and_b32_e32 v22, 0xe00, v8
	v_mad_u32_u24 v91, v2, 20, v85
	v_dual_mov_b32 v19, v5 :: v_dual_add_nc_u32 v88, 0x83fc, v84
	s_delay_alu instid0(VALU_DEP_3)
	v_dual_mov_b32 v21, v5 :: v_dual_lshlrev_b32 v18, 3, v22
	v_lshlrev_b32_e32 v20, 1, v22
	s_bfe_u32 s6, ttmp6, 0x40010
	v_sub_nc_u32_e32 v92, v91, v0
	v_dual_lshlrev_b32 v22, 1, v95 :: v_dual_bitop2_b32 v100, v95, v22 bitop3:0x54
	s_add_co_i32 s6, s6, 1
	v_add_nc_u64_e32 v[6:7], s[40:41], v[4:5]
	v_cmp_eq_u32_e64 s1, v2, v1
	s_mul_i32 s6, ttmp7, s6
	s_bfe_u32 s7, ttmp6, 0x40004
	v_add_nc_u64_e32 v[0:1], s[46:47], v[18:19]
	v_add_nc_u64_e32 v[8:9], s[40:41], v[20:21]
	;; [unrolled: 1-line block ×8, first 2 shown]
	v_or_b32_e32 v68, 0x100, v2
	v_or_b32_e32 v69, 0x200, v2
	;; [unrolled: 1-line block ×15, first 2 shown]
	v_cmp_gt_u32_e64 s0, 0x100, v2
	v_or_b32_e32 v86, 0x8400, v84
	v_cmp_gt_u32_e64 s4, 8, v2
	v_dual_mov_b32 v96, 1 :: v_dual_add_nc_u32 v87, 0x8400, v3
	v_cmp_lt_u32_e64 s5, 31, v2
	s_add_nc_u64 s[34:35], s[2:3], 0x50
	s_add_co_i32 s7, s7, s6
	v_cmp_eq_u32_e64 s2, 0, v2
	v_cmp_ne_u32_e64 s3, 0xff, v2
	v_dual_sub_nc_u32 v93, v92, v4 :: v_dual_bitop2_b32 v97, 15, v95 bitop3:0x40
	v_mul_u32_u24_e32 v94, 6, v2
	v_bfe_i32 v98, v95, 4, 1
	v_dual_lshlrev_b32 v4, 3, v95 :: v_dual_bitop2_b32 v99, 16, v95 bitop3:0x40
	v_and_b32_e32 v101, 7, v95
	v_sub_co_u32 v102, s6, v95, 1
	v_or_b32_e32 v103, 32, v100
	v_or_b32_e32 v104, 64, v100
	;; [unrolled: 1-line block ×15, first 2 shown]
	v_add_nc_u32_e32 v118, 0x420, v91
	v_add_nc_u32_e32 v119, 0x428, v91
	;; [unrolled: 1-line block ×4, first 2 shown]
	s_cmp_eq_u32 s27, 0
	s_mov_b32 s43, 0
	s_cselect_b32 s31, ttmp7, s7
	s_mov_b32 s48, s49
	s_branch .LBB1759_17
.LBB1759_15:                            ;   in Loop: Header=BB1759_17 Depth=1
	s_wait_dscnt 0x0
	s_barrier_signal -1
	s_barrier_wait -1
.LBB1759_16:                            ;   in Loop: Header=BB1759_17 Depth=1
	s_add_co_i32 s48, s48, 8
	s_delay_alu instid0(SALU_CYCLE_1)
	s_cmp_ge_u32 s48, s50
	s_cbranch_scc1 .LBB1759_1187
.LBB1759_17:                            ; =>This Loop Header: Depth=1
                                        ;     Child Loop BB1759_21 Depth 2
                                        ;     Child Loop BB1759_101 Depth 2
	;; [unrolled: 1-line block ×8, first 2 shown]
	s_sub_co_i32 s7, s50, s48
	s_xor_b32 s55, s55, -1
	s_min_u32 s7, s7, 8
	ds_store_2addr_stride64_b32 v3, v5, v5 offset1:4
	s_lshl_b32 s7, -1, s7
	ds_store_2addr_stride64_b32 v3, v5, v5 offset0:8 offset1:12
	s_not_b32 s52, s7
	s_cmp_lg_u32 s48, s49
	s_mov_b32 s7, -1
	s_wait_storecnt_dscnt 0x0
	s_cbranch_scc0 .LBB1759_603
; %bb.18:                               ;   in Loop: Header=BB1759_17 Depth=1
	s_and_b32 vcc_lo, exec_lo, s55
	s_cbranch_vccz .LBB1759_310
; %bb.19:                               ;   in Loop: Header=BB1759_17 Depth=1
	s_mov_b32 s7, s56
	s_mov_b32 s42, s54
	s_barrier_signal -1
	s_barrier_wait -1
                                        ; implicit-def: $vgpr23
                                        ; implicit-def: $vgpr24
                                        ; implicit-def: $vgpr25
                                        ; implicit-def: $vgpr26
                                        ; implicit-def: $vgpr27
                                        ; implicit-def: $vgpr28
                                        ; implicit-def: $vgpr29
                                        ; implicit-def: $vgpr30
                                        ; implicit-def: $vgpr31
                                        ; implicit-def: $vgpr32
                                        ; implicit-def: $vgpr33
                                        ; implicit-def: $vgpr34
                                        ; implicit-def: $vgpr35
                                        ; implicit-def: $vgpr36
                                        ; implicit-def: $vgpr37
                                        ; implicit-def: $vgpr38
	s_branch .LBB1759_21
.LBB1759_20:                            ;   in Loop: Header=BB1759_21 Depth=2
	s_or_b32 exec_lo, exec_lo, s8
	s_addk_co_i32 s7, 0xf000
	s_cmp_ge_u32 s10, s51
	s_mov_b32 s42, s10
	s_cbranch_scc1 .LBB1759_89
.LBB1759_21:                            ;   Parent Loop BB1759_17 Depth=1
                                        ; =>  This Inner Loop Header: Depth=2
	s_add_co_i32 s10, s42, 0x1000
	s_mov_b32 s8, -1
	s_cmp_gt_u32 s10, s51
                                        ; implicit-def: $vgpr39
                                        ; implicit-def: $vgpr40
                                        ; implicit-def: $vgpr41
                                        ; implicit-def: $vgpr42
                                        ; implicit-def: $vgpr43
                                        ; implicit-def: $vgpr44
                                        ; implicit-def: $vgpr45
                                        ; implicit-def: $vgpr46
                                        ; implicit-def: $vgpr47
                                        ; implicit-def: $vgpr48
                                        ; implicit-def: $vgpr49
                                        ; implicit-def: $vgpr50
                                        ; implicit-def: $vgpr51
                                        ; implicit-def: $vgpr52
                                        ; implicit-def: $vgpr53
                                        ; implicit-def: $vgpr54
	s_cbranch_scc1 .LBB1759_23
; %bb.22:                               ;   in Loop: Header=BB1759_21 Depth=2
	v_lshl_add_u64 v[54:55], s[42:43], 1, v[6:7]
	s_mov_b32 s8, 0
	s_clause 0xf
	global_load_u16 v39, v[54:55], off
	global_load_u16 v40, v[54:55], off offset:512
	global_load_u16 v41, v[54:55], off offset:1024
	;; [unrolled: 1-line block ×15, first 2 shown]
.LBB1759_23:                            ;   in Loop: Header=BB1759_21 Depth=2
	s_and_not1_b32 vcc_lo, exec_lo, s8
	s_movk_i32 s8, 0x1000
	s_cbranch_vccnz .LBB1759_42
; %bb.24:                               ;   in Loop: Header=BB1759_21 Depth=2
	s_lshl_b64 s[8:9], s[42:43], 1
	s_mov_b32 s11, exec_lo
	s_add_nc_u64 s[8:9], s[40:41], s[8:9]
	s_wait_xcnt 0x0
	v_cmpx_gt_u32_e64 s7, v2
	s_cbranch_execnz .LBB1759_74
; %bb.25:                               ;   in Loop: Header=BB1759_21 Depth=2
	s_or_b32 exec_lo, exec_lo, s11
	s_delay_alu instid0(SALU_CYCLE_1)
	s_mov_b32 s11, exec_lo
	v_cmpx_gt_u32_e64 s7, v68
	s_cbranch_execnz .LBB1759_75
.LBB1759_26:                            ;   in Loop: Header=BB1759_21 Depth=2
	s_or_b32 exec_lo, exec_lo, s11
	s_delay_alu instid0(SALU_CYCLE_1)
	s_mov_b32 s11, exec_lo
	v_cmpx_gt_u32_e64 s7, v69
	s_cbranch_execnz .LBB1759_76
.LBB1759_27:                            ;   in Loop: Header=BB1759_21 Depth=2
	s_or_b32 exec_lo, exec_lo, s11
	s_delay_alu instid0(SALU_CYCLE_1)
	s_mov_b32 s11, exec_lo
	v_cmpx_gt_u32_e64 s7, v70
	s_cbranch_execnz .LBB1759_77
.LBB1759_28:                            ;   in Loop: Header=BB1759_21 Depth=2
	s_or_b32 exec_lo, exec_lo, s11
	s_delay_alu instid0(SALU_CYCLE_1)
	s_mov_b32 s11, exec_lo
	v_cmpx_gt_u32_e64 s7, v71
	s_cbranch_execnz .LBB1759_78
.LBB1759_29:                            ;   in Loop: Header=BB1759_21 Depth=2
	s_or_b32 exec_lo, exec_lo, s11
	s_delay_alu instid0(SALU_CYCLE_1)
	s_mov_b32 s11, exec_lo
	v_cmpx_gt_u32_e64 s7, v72
	s_cbranch_execnz .LBB1759_79
.LBB1759_30:                            ;   in Loop: Header=BB1759_21 Depth=2
	s_or_b32 exec_lo, exec_lo, s11
	s_delay_alu instid0(SALU_CYCLE_1)
	s_mov_b32 s11, exec_lo
	v_cmpx_gt_u32_e64 s7, v73
	s_cbranch_execnz .LBB1759_80
.LBB1759_31:                            ;   in Loop: Header=BB1759_21 Depth=2
	s_or_b32 exec_lo, exec_lo, s11
	s_delay_alu instid0(SALU_CYCLE_1)
	s_mov_b32 s11, exec_lo
	v_cmpx_gt_u32_e64 s7, v74
	s_cbranch_execnz .LBB1759_81
.LBB1759_32:                            ;   in Loop: Header=BB1759_21 Depth=2
	s_or_b32 exec_lo, exec_lo, s11
	s_delay_alu instid0(SALU_CYCLE_1)
	s_mov_b32 s11, exec_lo
	v_cmpx_gt_u32_e64 s7, v75
	s_cbranch_execnz .LBB1759_82
.LBB1759_33:                            ;   in Loop: Header=BB1759_21 Depth=2
	s_or_b32 exec_lo, exec_lo, s11
	s_delay_alu instid0(SALU_CYCLE_1)
	s_mov_b32 s11, exec_lo
	v_cmpx_gt_u32_e64 s7, v76
	s_cbranch_execnz .LBB1759_83
.LBB1759_34:                            ;   in Loop: Header=BB1759_21 Depth=2
	s_or_b32 exec_lo, exec_lo, s11
	s_delay_alu instid0(SALU_CYCLE_1)
	s_mov_b32 s11, exec_lo
	v_cmpx_gt_u32_e64 s7, v77
	s_cbranch_execnz .LBB1759_84
.LBB1759_35:                            ;   in Loop: Header=BB1759_21 Depth=2
	s_or_b32 exec_lo, exec_lo, s11
	s_delay_alu instid0(SALU_CYCLE_1)
	s_mov_b32 s11, exec_lo
	v_cmpx_gt_u32_e64 s7, v78
	s_cbranch_execnz .LBB1759_85
.LBB1759_36:                            ;   in Loop: Header=BB1759_21 Depth=2
	s_or_b32 exec_lo, exec_lo, s11
	s_delay_alu instid0(SALU_CYCLE_1)
	s_mov_b32 s11, exec_lo
	v_cmpx_gt_u32_e64 s7, v79
	s_cbranch_execnz .LBB1759_86
.LBB1759_37:                            ;   in Loop: Header=BB1759_21 Depth=2
	s_or_b32 exec_lo, exec_lo, s11
	s_delay_alu instid0(SALU_CYCLE_1)
	s_mov_b32 s11, exec_lo
	v_cmpx_gt_u32_e64 s7, v80
	s_cbranch_execnz .LBB1759_87
.LBB1759_38:                            ;   in Loop: Header=BB1759_21 Depth=2
	s_or_b32 exec_lo, exec_lo, s11
	s_delay_alu instid0(SALU_CYCLE_1)
	s_mov_b32 s11, exec_lo
	v_cmpx_gt_u32_e64 s7, v81
	s_cbranch_execnz .LBB1759_88
.LBB1759_39:                            ;   in Loop: Header=BB1759_21 Depth=2
	s_or_b32 exec_lo, exec_lo, s11
	s_delay_alu instid0(SALU_CYCLE_1)
	s_mov_b32 s11, exec_lo
	v_cmpx_gt_u32_e64 s7, v82
	s_cbranch_execz .LBB1759_41
.LBB1759_40:                            ;   in Loop: Header=BB1759_21 Depth=2
	global_load_u16 v23, v2, s[8:9] offset:7680 scale_offset
.LBB1759_41:                            ;   in Loop: Header=BB1759_21 Depth=2
	s_wait_xcnt 0x0
	s_or_b32 exec_lo, exec_lo, s11
	s_wait_loadcnt 0x0
	v_dual_mov_b32 v39, v38 :: v_dual_mov_b32 v40, v37
	v_dual_mov_b32 v41, v36 :: v_dual_mov_b32 v42, v35
	;; [unrolled: 1-line block ×8, first 2 shown]
	s_mov_b32 s8, s7
.LBB1759_42:                            ;   in Loop: Header=BB1759_21 Depth=2
	s_wait_loadcnt 0x0
	s_delay_alu instid0(VALU_DEP_1)
	v_dual_mov_b32 v23, v54 :: v_dual_mov_b32 v24, v53
	v_dual_mov_b32 v25, v52 :: v_dual_mov_b32 v26, v51
	;; [unrolled: 1-line block ×8, first 2 shown]
	s_mov_b32 s9, exec_lo
	s_wait_xcnt 0x0
	v_cmpx_gt_u32_e64 s8, v2
	s_cbranch_execnz .LBB1759_58
; %bb.43:                               ;   in Loop: Header=BB1759_21 Depth=2
	s_or_b32 exec_lo, exec_lo, s9
	s_delay_alu instid0(SALU_CYCLE_1)
	s_mov_b32 s9, exec_lo
	v_cmpx_gt_u32_e64 s8, v68
	s_cbranch_execnz .LBB1759_59
.LBB1759_44:                            ;   in Loop: Header=BB1759_21 Depth=2
	s_or_b32 exec_lo, exec_lo, s9
	s_delay_alu instid0(SALU_CYCLE_1)
	s_mov_b32 s9, exec_lo
	v_cmpx_gt_u32_e64 s8, v69
	s_cbranch_execnz .LBB1759_60
.LBB1759_45:                            ;   in Loop: Header=BB1759_21 Depth=2
	s_or_b32 exec_lo, exec_lo, s9
	s_delay_alu instid0(SALU_CYCLE_1)
	s_mov_b32 s9, exec_lo
	v_cmpx_gt_u32_e64 s8, v70
	s_cbranch_execnz .LBB1759_61
.LBB1759_46:                            ;   in Loop: Header=BB1759_21 Depth=2
	s_or_b32 exec_lo, exec_lo, s9
	s_delay_alu instid0(SALU_CYCLE_1)
	s_mov_b32 s9, exec_lo
	v_cmpx_gt_u32_e64 s8, v71
	s_cbranch_execnz .LBB1759_62
.LBB1759_47:                            ;   in Loop: Header=BB1759_21 Depth=2
	s_or_b32 exec_lo, exec_lo, s9
	s_delay_alu instid0(SALU_CYCLE_1)
	s_mov_b32 s9, exec_lo
	v_cmpx_gt_u32_e64 s8, v72
	s_cbranch_execnz .LBB1759_63
.LBB1759_48:                            ;   in Loop: Header=BB1759_21 Depth=2
	s_or_b32 exec_lo, exec_lo, s9
	s_delay_alu instid0(SALU_CYCLE_1)
	s_mov_b32 s9, exec_lo
	v_cmpx_gt_u32_e64 s8, v73
	s_cbranch_execnz .LBB1759_64
.LBB1759_49:                            ;   in Loop: Header=BB1759_21 Depth=2
	s_or_b32 exec_lo, exec_lo, s9
	s_delay_alu instid0(SALU_CYCLE_1)
	s_mov_b32 s9, exec_lo
	v_cmpx_gt_u32_e64 s8, v74
	s_cbranch_execnz .LBB1759_65
.LBB1759_50:                            ;   in Loop: Header=BB1759_21 Depth=2
	s_or_b32 exec_lo, exec_lo, s9
	s_delay_alu instid0(SALU_CYCLE_1)
	s_mov_b32 s9, exec_lo
	v_cmpx_gt_u32_e64 s8, v75
	s_cbranch_execnz .LBB1759_66
.LBB1759_51:                            ;   in Loop: Header=BB1759_21 Depth=2
	s_or_b32 exec_lo, exec_lo, s9
	s_delay_alu instid0(SALU_CYCLE_1)
	s_mov_b32 s9, exec_lo
	v_cmpx_gt_u32_e64 s8, v76
	s_cbranch_execnz .LBB1759_67
.LBB1759_52:                            ;   in Loop: Header=BB1759_21 Depth=2
	s_or_b32 exec_lo, exec_lo, s9
	s_delay_alu instid0(SALU_CYCLE_1)
	s_mov_b32 s9, exec_lo
	v_cmpx_gt_u32_e64 s8, v77
	s_cbranch_execnz .LBB1759_68
.LBB1759_53:                            ;   in Loop: Header=BB1759_21 Depth=2
	s_or_b32 exec_lo, exec_lo, s9
	s_delay_alu instid0(SALU_CYCLE_1)
	s_mov_b32 s9, exec_lo
	v_cmpx_gt_u32_e64 s8, v78
	s_cbranch_execnz .LBB1759_69
.LBB1759_54:                            ;   in Loop: Header=BB1759_21 Depth=2
	s_or_b32 exec_lo, exec_lo, s9
	s_delay_alu instid0(SALU_CYCLE_1)
	s_mov_b32 s9, exec_lo
	v_cmpx_gt_u32_e64 s8, v79
	s_cbranch_execnz .LBB1759_70
.LBB1759_55:                            ;   in Loop: Header=BB1759_21 Depth=2
	s_or_b32 exec_lo, exec_lo, s9
	s_delay_alu instid0(SALU_CYCLE_1)
	s_mov_b32 s9, exec_lo
	v_cmpx_gt_u32_e64 s8, v80
	s_cbranch_execnz .LBB1759_71
.LBB1759_56:                            ;   in Loop: Header=BB1759_21 Depth=2
	s_or_b32 exec_lo, exec_lo, s9
	s_delay_alu instid0(SALU_CYCLE_1)
	s_mov_b32 s9, exec_lo
	v_cmpx_gt_u32_e64 s8, v81
	s_cbranch_execnz .LBB1759_72
.LBB1759_57:                            ;   in Loop: Header=BB1759_21 Depth=2
	s_or_b32 exec_lo, exec_lo, s9
	v_cmp_gt_u32_e32 vcc_lo, s8, v82
	s_and_saveexec_b32 s8, vcc_lo
	s_cbranch_execz .LBB1759_20
	s_branch .LBB1759_73
.LBB1759_58:                            ;   in Loop: Header=BB1759_21 Depth=2
	v_cmp_gt_i16_e32 vcc_lo, 0, v38
	v_cndmask_b32_e64 v39, 0x7fff, 0, vcc_lo
	s_delay_alu instid0(VALU_DEP_1) | instskip(NEXT) | instid1(VALU_DEP_1)
	v_xor_b32_e32 v39, v39, v38
	v_cmp_ne_u16_e32 vcc_lo, 0x8000, v39
	v_cndmask_b32_e32 v39, 0x7fff, v39, vcc_lo
	s_delay_alu instid0(VALU_DEP_1) | instskip(NEXT) | instid1(VALU_DEP_1)
	v_and_b32_e32 v39, 0xffff, v39
	v_lshrrev_b32_e32 v39, s48, v39
	s_delay_alu instid0(VALU_DEP_1) | instskip(NEXT) | instid1(VALU_DEP_1)
	v_and_b32_e32 v39, s52, v39
	v_lshl_or_b32 v39, v39, 4, v83
	ds_add_u32 v39, v96
	s_or_b32 exec_lo, exec_lo, s9
	s_delay_alu instid0(SALU_CYCLE_1)
	s_mov_b32 s9, exec_lo
	v_cmpx_gt_u32_e64 s8, v68
	s_cbranch_execz .LBB1759_44
.LBB1759_59:                            ;   in Loop: Header=BB1759_21 Depth=2
	v_cmp_gt_i16_e32 vcc_lo, 0, v37
	v_cndmask_b32_e64 v39, 0x7fff, 0, vcc_lo
	s_delay_alu instid0(VALU_DEP_1) | instskip(NEXT) | instid1(VALU_DEP_1)
	v_xor_b32_e32 v39, v39, v37
	v_cmp_ne_u16_e32 vcc_lo, 0x8000, v39
	v_cndmask_b32_e32 v39, 0x7fff, v39, vcc_lo
	s_delay_alu instid0(VALU_DEP_1) | instskip(NEXT) | instid1(VALU_DEP_1)
	v_and_b32_e32 v39, 0xffff, v39
	v_lshrrev_b32_e32 v39, s48, v39
	s_delay_alu instid0(VALU_DEP_1) | instskip(NEXT) | instid1(VALU_DEP_1)
	v_and_b32_e32 v39, s52, v39
	v_lshl_or_b32 v39, v39, 4, v83
	ds_add_u32 v39, v96
	s_or_b32 exec_lo, exec_lo, s9
	s_delay_alu instid0(SALU_CYCLE_1)
	s_mov_b32 s9, exec_lo
	v_cmpx_gt_u32_e64 s8, v69
	s_cbranch_execz .LBB1759_45
.LBB1759_60:                            ;   in Loop: Header=BB1759_21 Depth=2
	v_cmp_gt_i16_e32 vcc_lo, 0, v36
	v_cndmask_b32_e64 v39, 0x7fff, 0, vcc_lo
	s_delay_alu instid0(VALU_DEP_1) | instskip(NEXT) | instid1(VALU_DEP_1)
	v_xor_b32_e32 v39, v39, v36
	v_cmp_ne_u16_e32 vcc_lo, 0x8000, v39
	v_cndmask_b32_e32 v39, 0x7fff, v39, vcc_lo
	s_delay_alu instid0(VALU_DEP_1) | instskip(NEXT) | instid1(VALU_DEP_1)
	v_and_b32_e32 v39, 0xffff, v39
	v_lshrrev_b32_e32 v39, s48, v39
	s_delay_alu instid0(VALU_DEP_1) | instskip(NEXT) | instid1(VALU_DEP_1)
	v_and_b32_e32 v39, s52, v39
	v_lshl_or_b32 v39, v39, 4, v83
	ds_add_u32 v39, v96
	s_or_b32 exec_lo, exec_lo, s9
	s_delay_alu instid0(SALU_CYCLE_1)
	s_mov_b32 s9, exec_lo
	v_cmpx_gt_u32_e64 s8, v70
	s_cbranch_execz .LBB1759_46
.LBB1759_61:                            ;   in Loop: Header=BB1759_21 Depth=2
	v_cmp_gt_i16_e32 vcc_lo, 0, v35
	v_cndmask_b32_e64 v39, 0x7fff, 0, vcc_lo
	s_delay_alu instid0(VALU_DEP_1) | instskip(NEXT) | instid1(VALU_DEP_1)
	v_xor_b32_e32 v39, v39, v35
	v_cmp_ne_u16_e32 vcc_lo, 0x8000, v39
	v_cndmask_b32_e32 v39, 0x7fff, v39, vcc_lo
	s_delay_alu instid0(VALU_DEP_1) | instskip(NEXT) | instid1(VALU_DEP_1)
	v_and_b32_e32 v39, 0xffff, v39
	v_lshrrev_b32_e32 v39, s48, v39
	s_delay_alu instid0(VALU_DEP_1) | instskip(NEXT) | instid1(VALU_DEP_1)
	v_and_b32_e32 v39, s52, v39
	v_lshl_or_b32 v39, v39, 4, v83
	ds_add_u32 v39, v96
	s_or_b32 exec_lo, exec_lo, s9
	s_delay_alu instid0(SALU_CYCLE_1)
	s_mov_b32 s9, exec_lo
	v_cmpx_gt_u32_e64 s8, v71
	s_cbranch_execz .LBB1759_47
.LBB1759_62:                            ;   in Loop: Header=BB1759_21 Depth=2
	v_cmp_gt_i16_e32 vcc_lo, 0, v34
	v_cndmask_b32_e64 v39, 0x7fff, 0, vcc_lo
	s_delay_alu instid0(VALU_DEP_1) | instskip(NEXT) | instid1(VALU_DEP_1)
	v_xor_b32_e32 v39, v39, v34
	v_cmp_ne_u16_e32 vcc_lo, 0x8000, v39
	v_cndmask_b32_e32 v39, 0x7fff, v39, vcc_lo
	s_delay_alu instid0(VALU_DEP_1) | instskip(NEXT) | instid1(VALU_DEP_1)
	v_and_b32_e32 v39, 0xffff, v39
	v_lshrrev_b32_e32 v39, s48, v39
	s_delay_alu instid0(VALU_DEP_1) | instskip(NEXT) | instid1(VALU_DEP_1)
	v_and_b32_e32 v39, s52, v39
	v_lshl_or_b32 v39, v39, 4, v83
	ds_add_u32 v39, v96
	s_or_b32 exec_lo, exec_lo, s9
	s_delay_alu instid0(SALU_CYCLE_1)
	s_mov_b32 s9, exec_lo
	v_cmpx_gt_u32_e64 s8, v72
	s_cbranch_execz .LBB1759_48
.LBB1759_63:                            ;   in Loop: Header=BB1759_21 Depth=2
	v_cmp_gt_i16_e32 vcc_lo, 0, v33
	v_cndmask_b32_e64 v39, 0x7fff, 0, vcc_lo
	s_delay_alu instid0(VALU_DEP_1) | instskip(NEXT) | instid1(VALU_DEP_1)
	v_xor_b32_e32 v39, v39, v33
	v_cmp_ne_u16_e32 vcc_lo, 0x8000, v39
	v_cndmask_b32_e32 v39, 0x7fff, v39, vcc_lo
	s_delay_alu instid0(VALU_DEP_1) | instskip(NEXT) | instid1(VALU_DEP_1)
	v_and_b32_e32 v39, 0xffff, v39
	v_lshrrev_b32_e32 v39, s48, v39
	s_delay_alu instid0(VALU_DEP_1) | instskip(NEXT) | instid1(VALU_DEP_1)
	v_and_b32_e32 v39, s52, v39
	v_lshl_or_b32 v39, v39, 4, v83
	ds_add_u32 v39, v96
	s_or_b32 exec_lo, exec_lo, s9
	s_delay_alu instid0(SALU_CYCLE_1)
	s_mov_b32 s9, exec_lo
	v_cmpx_gt_u32_e64 s8, v73
	s_cbranch_execz .LBB1759_49
.LBB1759_64:                            ;   in Loop: Header=BB1759_21 Depth=2
	v_cmp_gt_i16_e32 vcc_lo, 0, v32
	v_cndmask_b32_e64 v39, 0x7fff, 0, vcc_lo
	s_delay_alu instid0(VALU_DEP_1) | instskip(NEXT) | instid1(VALU_DEP_1)
	v_xor_b32_e32 v39, v39, v32
	v_cmp_ne_u16_e32 vcc_lo, 0x8000, v39
	v_cndmask_b32_e32 v39, 0x7fff, v39, vcc_lo
	s_delay_alu instid0(VALU_DEP_1) | instskip(NEXT) | instid1(VALU_DEP_1)
	v_and_b32_e32 v39, 0xffff, v39
	v_lshrrev_b32_e32 v39, s48, v39
	s_delay_alu instid0(VALU_DEP_1) | instskip(NEXT) | instid1(VALU_DEP_1)
	v_and_b32_e32 v39, s52, v39
	v_lshl_or_b32 v39, v39, 4, v83
	ds_add_u32 v39, v96
	s_or_b32 exec_lo, exec_lo, s9
	s_delay_alu instid0(SALU_CYCLE_1)
	s_mov_b32 s9, exec_lo
	v_cmpx_gt_u32_e64 s8, v74
	s_cbranch_execz .LBB1759_50
.LBB1759_65:                            ;   in Loop: Header=BB1759_21 Depth=2
	v_cmp_gt_i16_e32 vcc_lo, 0, v31
	v_cndmask_b32_e64 v39, 0x7fff, 0, vcc_lo
	s_delay_alu instid0(VALU_DEP_1) | instskip(NEXT) | instid1(VALU_DEP_1)
	v_xor_b32_e32 v39, v39, v31
	v_cmp_ne_u16_e32 vcc_lo, 0x8000, v39
	v_cndmask_b32_e32 v39, 0x7fff, v39, vcc_lo
	s_delay_alu instid0(VALU_DEP_1) | instskip(NEXT) | instid1(VALU_DEP_1)
	v_and_b32_e32 v39, 0xffff, v39
	v_lshrrev_b32_e32 v39, s48, v39
	s_delay_alu instid0(VALU_DEP_1) | instskip(NEXT) | instid1(VALU_DEP_1)
	v_and_b32_e32 v39, s52, v39
	v_lshl_or_b32 v39, v39, 4, v83
	ds_add_u32 v39, v96
	s_or_b32 exec_lo, exec_lo, s9
	s_delay_alu instid0(SALU_CYCLE_1)
	s_mov_b32 s9, exec_lo
	v_cmpx_gt_u32_e64 s8, v75
	s_cbranch_execz .LBB1759_51
.LBB1759_66:                            ;   in Loop: Header=BB1759_21 Depth=2
	v_cmp_gt_i16_e32 vcc_lo, 0, v30
	v_cndmask_b32_e64 v39, 0x7fff, 0, vcc_lo
	s_delay_alu instid0(VALU_DEP_1) | instskip(NEXT) | instid1(VALU_DEP_1)
	v_xor_b32_e32 v39, v39, v30
	v_cmp_ne_u16_e32 vcc_lo, 0x8000, v39
	v_cndmask_b32_e32 v39, 0x7fff, v39, vcc_lo
	s_delay_alu instid0(VALU_DEP_1) | instskip(NEXT) | instid1(VALU_DEP_1)
	v_and_b32_e32 v39, 0xffff, v39
	v_lshrrev_b32_e32 v39, s48, v39
	s_delay_alu instid0(VALU_DEP_1) | instskip(NEXT) | instid1(VALU_DEP_1)
	v_and_b32_e32 v39, s52, v39
	v_lshl_or_b32 v39, v39, 4, v83
	ds_add_u32 v39, v96
	s_or_b32 exec_lo, exec_lo, s9
	s_delay_alu instid0(SALU_CYCLE_1)
	s_mov_b32 s9, exec_lo
	v_cmpx_gt_u32_e64 s8, v76
	s_cbranch_execz .LBB1759_52
.LBB1759_67:                            ;   in Loop: Header=BB1759_21 Depth=2
	v_cmp_gt_i16_e32 vcc_lo, 0, v29
	v_cndmask_b32_e64 v39, 0x7fff, 0, vcc_lo
	s_delay_alu instid0(VALU_DEP_1) | instskip(NEXT) | instid1(VALU_DEP_1)
	v_xor_b32_e32 v39, v39, v29
	v_cmp_ne_u16_e32 vcc_lo, 0x8000, v39
	v_cndmask_b32_e32 v39, 0x7fff, v39, vcc_lo
	s_delay_alu instid0(VALU_DEP_1) | instskip(NEXT) | instid1(VALU_DEP_1)
	v_and_b32_e32 v39, 0xffff, v39
	v_lshrrev_b32_e32 v39, s48, v39
	s_delay_alu instid0(VALU_DEP_1) | instskip(NEXT) | instid1(VALU_DEP_1)
	v_and_b32_e32 v39, s52, v39
	v_lshl_or_b32 v39, v39, 4, v83
	ds_add_u32 v39, v96
	s_or_b32 exec_lo, exec_lo, s9
	s_delay_alu instid0(SALU_CYCLE_1)
	s_mov_b32 s9, exec_lo
	v_cmpx_gt_u32_e64 s8, v77
	s_cbranch_execz .LBB1759_53
.LBB1759_68:                            ;   in Loop: Header=BB1759_21 Depth=2
	v_cmp_gt_i16_e32 vcc_lo, 0, v28
	v_cndmask_b32_e64 v39, 0x7fff, 0, vcc_lo
	s_delay_alu instid0(VALU_DEP_1) | instskip(NEXT) | instid1(VALU_DEP_1)
	v_xor_b32_e32 v39, v39, v28
	v_cmp_ne_u16_e32 vcc_lo, 0x8000, v39
	v_cndmask_b32_e32 v39, 0x7fff, v39, vcc_lo
	s_delay_alu instid0(VALU_DEP_1) | instskip(NEXT) | instid1(VALU_DEP_1)
	v_and_b32_e32 v39, 0xffff, v39
	v_lshrrev_b32_e32 v39, s48, v39
	s_delay_alu instid0(VALU_DEP_1) | instskip(NEXT) | instid1(VALU_DEP_1)
	v_and_b32_e32 v39, s52, v39
	v_lshl_or_b32 v39, v39, 4, v83
	ds_add_u32 v39, v96
	s_or_b32 exec_lo, exec_lo, s9
	s_delay_alu instid0(SALU_CYCLE_1)
	s_mov_b32 s9, exec_lo
	v_cmpx_gt_u32_e64 s8, v78
	s_cbranch_execz .LBB1759_54
.LBB1759_69:                            ;   in Loop: Header=BB1759_21 Depth=2
	v_cmp_gt_i16_e32 vcc_lo, 0, v27
	v_cndmask_b32_e64 v39, 0x7fff, 0, vcc_lo
	s_delay_alu instid0(VALU_DEP_1) | instskip(NEXT) | instid1(VALU_DEP_1)
	v_xor_b32_e32 v39, v39, v27
	v_cmp_ne_u16_e32 vcc_lo, 0x8000, v39
	v_cndmask_b32_e32 v39, 0x7fff, v39, vcc_lo
	s_delay_alu instid0(VALU_DEP_1) | instskip(NEXT) | instid1(VALU_DEP_1)
	v_and_b32_e32 v39, 0xffff, v39
	v_lshrrev_b32_e32 v39, s48, v39
	s_delay_alu instid0(VALU_DEP_1) | instskip(NEXT) | instid1(VALU_DEP_1)
	v_and_b32_e32 v39, s52, v39
	v_lshl_or_b32 v39, v39, 4, v83
	ds_add_u32 v39, v96
	s_or_b32 exec_lo, exec_lo, s9
	s_delay_alu instid0(SALU_CYCLE_1)
	s_mov_b32 s9, exec_lo
	v_cmpx_gt_u32_e64 s8, v79
	s_cbranch_execz .LBB1759_55
.LBB1759_70:                            ;   in Loop: Header=BB1759_21 Depth=2
	v_cmp_gt_i16_e32 vcc_lo, 0, v26
	v_cndmask_b32_e64 v39, 0x7fff, 0, vcc_lo
	s_delay_alu instid0(VALU_DEP_1) | instskip(NEXT) | instid1(VALU_DEP_1)
	v_xor_b32_e32 v39, v39, v26
	v_cmp_ne_u16_e32 vcc_lo, 0x8000, v39
	v_cndmask_b32_e32 v39, 0x7fff, v39, vcc_lo
	s_delay_alu instid0(VALU_DEP_1) | instskip(NEXT) | instid1(VALU_DEP_1)
	v_and_b32_e32 v39, 0xffff, v39
	v_lshrrev_b32_e32 v39, s48, v39
	s_delay_alu instid0(VALU_DEP_1) | instskip(NEXT) | instid1(VALU_DEP_1)
	v_and_b32_e32 v39, s52, v39
	v_lshl_or_b32 v39, v39, 4, v83
	ds_add_u32 v39, v96
	s_or_b32 exec_lo, exec_lo, s9
	s_delay_alu instid0(SALU_CYCLE_1)
	s_mov_b32 s9, exec_lo
	v_cmpx_gt_u32_e64 s8, v80
	s_cbranch_execz .LBB1759_56
.LBB1759_71:                            ;   in Loop: Header=BB1759_21 Depth=2
	v_cmp_gt_i16_e32 vcc_lo, 0, v25
	v_cndmask_b32_e64 v39, 0x7fff, 0, vcc_lo
	s_delay_alu instid0(VALU_DEP_1) | instskip(NEXT) | instid1(VALU_DEP_1)
	v_xor_b32_e32 v39, v39, v25
	v_cmp_ne_u16_e32 vcc_lo, 0x8000, v39
	v_cndmask_b32_e32 v39, 0x7fff, v39, vcc_lo
	s_delay_alu instid0(VALU_DEP_1) | instskip(NEXT) | instid1(VALU_DEP_1)
	v_and_b32_e32 v39, 0xffff, v39
	v_lshrrev_b32_e32 v39, s48, v39
	s_delay_alu instid0(VALU_DEP_1) | instskip(NEXT) | instid1(VALU_DEP_1)
	v_and_b32_e32 v39, s52, v39
	v_lshl_or_b32 v39, v39, 4, v83
	ds_add_u32 v39, v96
	s_or_b32 exec_lo, exec_lo, s9
	s_delay_alu instid0(SALU_CYCLE_1)
	s_mov_b32 s9, exec_lo
	v_cmpx_gt_u32_e64 s8, v81
	s_cbranch_execz .LBB1759_57
.LBB1759_72:                            ;   in Loop: Header=BB1759_21 Depth=2
	v_cmp_gt_i16_e32 vcc_lo, 0, v24
	v_cndmask_b32_e64 v39, 0x7fff, 0, vcc_lo
	s_delay_alu instid0(VALU_DEP_1) | instskip(NEXT) | instid1(VALU_DEP_1)
	v_xor_b32_e32 v39, v39, v24
	v_cmp_ne_u16_e32 vcc_lo, 0x8000, v39
	v_cndmask_b32_e32 v39, 0x7fff, v39, vcc_lo
	s_delay_alu instid0(VALU_DEP_1) | instskip(NEXT) | instid1(VALU_DEP_1)
	v_and_b32_e32 v39, 0xffff, v39
	v_lshrrev_b32_e32 v39, s48, v39
	s_delay_alu instid0(VALU_DEP_1) | instskip(NEXT) | instid1(VALU_DEP_1)
	v_and_b32_e32 v39, s52, v39
	v_lshl_or_b32 v39, v39, 4, v83
	ds_add_u32 v39, v96
	s_or_b32 exec_lo, exec_lo, s9
	v_cmp_gt_u32_e32 vcc_lo, s8, v82
	s_and_saveexec_b32 s8, vcc_lo
	s_cbranch_execz .LBB1759_20
.LBB1759_73:                            ;   in Loop: Header=BB1759_21 Depth=2
	v_cmp_gt_i16_e32 vcc_lo, 0, v23
	v_cndmask_b32_e64 v39, 0x7fff, 0, vcc_lo
	s_delay_alu instid0(VALU_DEP_1) | instskip(NEXT) | instid1(VALU_DEP_1)
	v_xor_b32_e32 v39, v39, v23
	v_cmp_ne_u16_e32 vcc_lo, 0x8000, v39
	v_cndmask_b32_e32 v39, 0x7fff, v39, vcc_lo
	s_delay_alu instid0(VALU_DEP_1) | instskip(NEXT) | instid1(VALU_DEP_1)
	v_and_b32_e32 v39, 0xffff, v39
	v_lshrrev_b32_e32 v39, s48, v39
	s_delay_alu instid0(VALU_DEP_1) | instskip(NEXT) | instid1(VALU_DEP_1)
	v_and_b32_e32 v39, s52, v39
	v_lshl_or_b32 v39, v39, 4, v83
	ds_add_u32 v39, v96
	s_branch .LBB1759_20
.LBB1759_74:                            ;   in Loop: Header=BB1759_21 Depth=2
	global_load_u16 v38, v2, s[8:9] scale_offset
	s_wait_xcnt 0x0
	s_or_b32 exec_lo, exec_lo, s11
	s_delay_alu instid0(SALU_CYCLE_1)
	s_mov_b32 s11, exec_lo
	v_cmpx_gt_u32_e64 s7, v68
	s_cbranch_execz .LBB1759_26
.LBB1759_75:                            ;   in Loop: Header=BB1759_21 Depth=2
	global_load_u16 v37, v2, s[8:9] offset:512 scale_offset
	s_wait_xcnt 0x0
	s_or_b32 exec_lo, exec_lo, s11
	s_delay_alu instid0(SALU_CYCLE_1)
	s_mov_b32 s11, exec_lo
	v_cmpx_gt_u32_e64 s7, v69
	s_cbranch_execz .LBB1759_27
.LBB1759_76:                            ;   in Loop: Header=BB1759_21 Depth=2
	global_load_u16 v36, v2, s[8:9] offset:1024 scale_offset
	s_wait_xcnt 0x0
	s_or_b32 exec_lo, exec_lo, s11
	s_delay_alu instid0(SALU_CYCLE_1)
	s_mov_b32 s11, exec_lo
	v_cmpx_gt_u32_e64 s7, v70
	s_cbranch_execz .LBB1759_28
.LBB1759_77:                            ;   in Loop: Header=BB1759_21 Depth=2
	global_load_u16 v35, v2, s[8:9] offset:1536 scale_offset
	s_wait_xcnt 0x0
	s_or_b32 exec_lo, exec_lo, s11
	s_delay_alu instid0(SALU_CYCLE_1)
	s_mov_b32 s11, exec_lo
	v_cmpx_gt_u32_e64 s7, v71
	s_cbranch_execz .LBB1759_29
.LBB1759_78:                            ;   in Loop: Header=BB1759_21 Depth=2
	global_load_u16 v34, v2, s[8:9] offset:2048 scale_offset
	s_wait_xcnt 0x0
	s_or_b32 exec_lo, exec_lo, s11
	s_delay_alu instid0(SALU_CYCLE_1)
	s_mov_b32 s11, exec_lo
	v_cmpx_gt_u32_e64 s7, v72
	s_cbranch_execz .LBB1759_30
.LBB1759_79:                            ;   in Loop: Header=BB1759_21 Depth=2
	global_load_u16 v33, v2, s[8:9] offset:2560 scale_offset
	s_wait_xcnt 0x0
	s_or_b32 exec_lo, exec_lo, s11
	s_delay_alu instid0(SALU_CYCLE_1)
	s_mov_b32 s11, exec_lo
	v_cmpx_gt_u32_e64 s7, v73
	s_cbranch_execz .LBB1759_31
.LBB1759_80:                            ;   in Loop: Header=BB1759_21 Depth=2
	global_load_u16 v32, v2, s[8:9] offset:3072 scale_offset
	s_wait_xcnt 0x0
	s_or_b32 exec_lo, exec_lo, s11
	s_delay_alu instid0(SALU_CYCLE_1)
	s_mov_b32 s11, exec_lo
	v_cmpx_gt_u32_e64 s7, v74
	s_cbranch_execz .LBB1759_32
.LBB1759_81:                            ;   in Loop: Header=BB1759_21 Depth=2
	global_load_u16 v31, v2, s[8:9] offset:3584 scale_offset
	s_wait_xcnt 0x0
	s_or_b32 exec_lo, exec_lo, s11
	s_delay_alu instid0(SALU_CYCLE_1)
	s_mov_b32 s11, exec_lo
	v_cmpx_gt_u32_e64 s7, v75
	s_cbranch_execz .LBB1759_33
.LBB1759_82:                            ;   in Loop: Header=BB1759_21 Depth=2
	global_load_u16 v30, v2, s[8:9] offset:4096 scale_offset
	s_wait_xcnt 0x0
	s_or_b32 exec_lo, exec_lo, s11
	s_delay_alu instid0(SALU_CYCLE_1)
	s_mov_b32 s11, exec_lo
	v_cmpx_gt_u32_e64 s7, v76
	s_cbranch_execz .LBB1759_34
.LBB1759_83:                            ;   in Loop: Header=BB1759_21 Depth=2
	global_load_u16 v29, v2, s[8:9] offset:4608 scale_offset
	s_wait_xcnt 0x0
	s_or_b32 exec_lo, exec_lo, s11
	s_delay_alu instid0(SALU_CYCLE_1)
	s_mov_b32 s11, exec_lo
	v_cmpx_gt_u32_e64 s7, v77
	s_cbranch_execz .LBB1759_35
.LBB1759_84:                            ;   in Loop: Header=BB1759_21 Depth=2
	global_load_u16 v28, v2, s[8:9] offset:5120 scale_offset
	s_wait_xcnt 0x0
	s_or_b32 exec_lo, exec_lo, s11
	s_delay_alu instid0(SALU_CYCLE_1)
	s_mov_b32 s11, exec_lo
	v_cmpx_gt_u32_e64 s7, v78
	s_cbranch_execz .LBB1759_36
.LBB1759_85:                            ;   in Loop: Header=BB1759_21 Depth=2
	global_load_u16 v27, v2, s[8:9] offset:5632 scale_offset
	s_wait_xcnt 0x0
	s_or_b32 exec_lo, exec_lo, s11
	s_delay_alu instid0(SALU_CYCLE_1)
	s_mov_b32 s11, exec_lo
	v_cmpx_gt_u32_e64 s7, v79
	s_cbranch_execz .LBB1759_37
.LBB1759_86:                            ;   in Loop: Header=BB1759_21 Depth=2
	global_load_u16 v26, v2, s[8:9] offset:6144 scale_offset
	s_wait_xcnt 0x0
	s_or_b32 exec_lo, exec_lo, s11
	s_delay_alu instid0(SALU_CYCLE_1)
	s_mov_b32 s11, exec_lo
	v_cmpx_gt_u32_e64 s7, v80
	s_cbranch_execz .LBB1759_38
.LBB1759_87:                            ;   in Loop: Header=BB1759_21 Depth=2
	global_load_u16 v25, v2, s[8:9] offset:6656 scale_offset
	s_wait_xcnt 0x0
	s_or_b32 exec_lo, exec_lo, s11
	s_delay_alu instid0(SALU_CYCLE_1)
	s_mov_b32 s11, exec_lo
	v_cmpx_gt_u32_e64 s7, v81
	s_cbranch_execz .LBB1759_39
.LBB1759_88:                            ;   in Loop: Header=BB1759_21 Depth=2
	global_load_u16 v24, v2, s[8:9] offset:7168 scale_offset
	s_wait_xcnt 0x0
	s_or_b32 exec_lo, exec_lo, s11
	s_delay_alu instid0(SALU_CYCLE_1)
	s_mov_b32 s11, exec_lo
	v_cmpx_gt_u32_e64 s7, v82
	s_cbranch_execnz .LBB1759_40
	s_branch .LBB1759_41
.LBB1759_89:                            ;   in Loop: Header=BB1759_17 Depth=1
	v_mov_b32_e32 v23, 0
	s_wait_dscnt 0x0
	s_barrier_signal -1
	s_barrier_wait -1
	s_and_saveexec_b32 s7, s0
	s_cbranch_execz .LBB1759_91
; %bb.90:                               ;   in Loop: Header=BB1759_17 Depth=1
	ds_load_2addr_b64 v[24:27], v85 offset1:1
	s_wait_dscnt 0x0
	v_add_nc_u32_e32 v23, v25, v24
	s_delay_alu instid0(VALU_DEP_1)
	v_add3_u32 v23, v23, v26, v27
.LBB1759_91:                            ;   in Loop: Header=BB1759_17 Depth=1
	s_or_b32 exec_lo, exec_lo, s7
	s_delay_alu instid0(VALU_DEP_1)
	v_mov_b32_dpp v24, v23 row_shr:1 row_mask:0xf bank_mask:0xf
	v_cmp_eq_u32_e64 s7, 0, v97
	v_cmp_lt_u32_e64 s8, 1, v97
	v_cmp_lt_u32_e64 s9, 3, v97
	;; [unrolled: 1-line block ×3, first 2 shown]
	v_cmp_eq_u32_e64 s11, 0, v99
	v_cndmask_b32_e64 v24, v24, 0, s7
	s_delay_alu instid0(VALU_DEP_1) | instskip(NEXT) | instid1(VALU_DEP_1)
	v_add_nc_u32_e32 v23, v24, v23
	v_mov_b32_dpp v24, v23 row_shr:2 row_mask:0xf bank_mask:0xf
	s_delay_alu instid0(VALU_DEP_1) | instskip(NEXT) | instid1(VALU_DEP_1)
	v_cndmask_b32_e64 v24, 0, v24, s8
	v_add_nc_u32_e32 v23, v23, v24
	s_delay_alu instid0(VALU_DEP_1) | instskip(NEXT) | instid1(VALU_DEP_1)
	v_mov_b32_dpp v24, v23 row_shr:4 row_mask:0xf bank_mask:0xf
	v_cndmask_b32_e64 v24, 0, v24, s9
	s_delay_alu instid0(VALU_DEP_1) | instskip(NEXT) | instid1(VALU_DEP_1)
	v_add_nc_u32_e32 v23, v23, v24
	v_mov_b32_dpp v24, v23 row_shr:8 row_mask:0xf bank_mask:0xf
	s_delay_alu instid0(VALU_DEP_1) | instskip(NEXT) | instid1(VALU_DEP_1)
	v_cndmask_b32_e64 v24, 0, v24, s10
	v_add_nc_u32_e32 v23, v23, v24
	ds_swizzle_b32 v24, v23 offset:swizzle(BROADCAST,32,15)
	s_wait_dscnt 0x0
	v_and_b32_e32 v24, v98, v24
	s_delay_alu instid0(VALU_DEP_1)
	v_add_nc_u32_e32 v23, v23, v24
	s_and_saveexec_b32 s12, s1
; %bb.92:                               ;   in Loop: Header=BB1759_17 Depth=1
	ds_store_b32 v86, v23
; %bb.93:                               ;   in Loop: Header=BB1759_17 Depth=1
	s_or_b32 exec_lo, exec_lo, s12
	s_wait_dscnt 0x0
	s_barrier_signal -1
	s_barrier_wait -1
	s_and_saveexec_b32 s12, s4
	s_cbranch_execz .LBB1759_95
; %bb.94:                               ;   in Loop: Header=BB1759_17 Depth=1
	ds_load_b32 v24, v87
	v_cmp_ne_u32_e32 vcc_lo, 0, v101
	s_wait_dscnt 0x0
	v_mov_b32_dpp v25, v24 row_shr:1 row_mask:0xf bank_mask:0xf
	s_delay_alu instid0(VALU_DEP_1) | instskip(SKIP_1) | instid1(VALU_DEP_2)
	v_cndmask_b32_e32 v25, 0, v25, vcc_lo
	v_cmp_lt_u32_e32 vcc_lo, 1, v101
	v_add_nc_u32_e32 v24, v25, v24
	s_delay_alu instid0(VALU_DEP_1) | instskip(NEXT) | instid1(VALU_DEP_1)
	v_mov_b32_dpp v25, v24 row_shr:2 row_mask:0xf bank_mask:0xf
	v_cndmask_b32_e32 v25, 0, v25, vcc_lo
	v_cmp_lt_u32_e32 vcc_lo, 3, v101
	s_delay_alu instid0(VALU_DEP_2) | instskip(NEXT) | instid1(VALU_DEP_1)
	v_add_nc_u32_e32 v24, v24, v25
	v_mov_b32_dpp v25, v24 row_shr:4 row_mask:0xf bank_mask:0xf
	s_delay_alu instid0(VALU_DEP_1) | instskip(NEXT) | instid1(VALU_DEP_1)
	v_cndmask_b32_e32 v25, 0, v25, vcc_lo
	v_add_nc_u32_e32 v24, v24, v25
	ds_store_b32 v87, v24
.LBB1759_95:                            ;   in Loop: Header=BB1759_17 Depth=1
	s_or_b32 exec_lo, exec_lo, s12
	v_mov_b32_e32 v24, 0
	s_wait_dscnt 0x0
	s_barrier_signal -1
	s_barrier_wait -1
	s_and_saveexec_b32 s12, s5
; %bb.96:                               ;   in Loop: Header=BB1759_17 Depth=1
	ds_load_b32 v24, v88
; %bb.97:                               ;   in Loop: Header=BB1759_17 Depth=1
	s_or_b32 exec_lo, exec_lo, s12
	v_cmp_gt_i32_e32 vcc_lo, 0, v102
	s_wait_dscnt 0x0
	s_barrier_signal -1
	s_barrier_wait -1
	v_cndmask_b32_e32 v25, v102, v95, vcc_lo
	s_delay_alu instid0(VALU_DEP_1)
	v_dual_add_nc_u32 v23, v24, v23 :: v_dual_lshlrev_b32 v122, 2, v25
	ds_bpermute_b32 v23, v122, v23
	s_and_saveexec_b32 s12, s0
	s_cbranch_execz .LBB1759_99
; %bb.98:                               ;   in Loop: Header=BB1759_17 Depth=1
	s_wait_dscnt 0x0
	v_cndmask_b32_e64 v23, v23, v24, s6
	s_delay_alu instid0(VALU_DEP_1)
	v_add_nc_u32_e32 v23, s54, v23
	ds_store_b32 v3, v23
.LBB1759_99:                            ;   in Loop: Header=BB1759_17 Depth=1
	s_or_b32 exec_lo, exec_lo, s12
	s_clause 0x1
	s_load_b32 s12, s[34:35], 0x4
	s_load_b32 s14, s[34:35], 0xc
	s_mov_b32 s53, s56
                                        ; implicit-def: $vgpr30_vgpr31
                                        ; implicit-def: $vgpr32_vgpr33
                                        ; implicit-def: $vgpr34_vgpr35
                                        ; implicit-def: $vgpr36_vgpr37
                                        ; implicit-def: $vgpr38_vgpr39
                                        ; implicit-def: $vgpr40_vgpr41
                                        ; implicit-def: $vgpr42_vgpr43
                                        ; implicit-def: $vgpr44_vgpr45
                                        ; implicit-def: $vgpr46_vgpr47
                                        ; implicit-def: $vgpr48_vgpr49
                                        ; implicit-def: $vgpr50_vgpr51
                                        ; implicit-def: $vgpr52_vgpr53
                                        ; implicit-def: $vgpr54_vgpr55
                                        ; implicit-def: $vgpr56_vgpr57
                                        ; implicit-def: $vgpr58_vgpr59
                                        ; implicit-def: $vgpr123
                                        ; implicit-def: $vgpr124
                                        ; implicit-def: $vgpr125
                                        ; implicit-def: $vgpr126
                                        ; implicit-def: $vgpr127
                                        ; implicit-def: $vgpr128
                                        ; implicit-def: $vgpr129
                                        ; implicit-def: $vgpr130
                                        ; implicit-def: $vgpr131
                                        ; implicit-def: $vgpr132
                                        ; implicit-def: $vgpr133
                                        ; implicit-def: $vgpr134
                                        ; implicit-def: $vgpr135
                                        ; implicit-def: $vgpr136
                                        ; implicit-def: $vgpr137
                                        ; implicit-def: $vgpr138
	s_wait_kmcnt 0x0
	s_cmp_lt_u32 s31, s12
	s_cselect_b32 s42, 14, 20
	s_delay_alu instid0(SALU_CYCLE_1)
	s_add_nc_u64 s[12:13], s[34:35], s[42:43]
	s_mov_b32 s42, s54
	s_load_u16 s12, s[12:13], 0x0
	s_wait_xcnt 0x0
	v_cmp_lt_u32_e64 s13, 1, v101
	s_wait_dscnt 0x0
	s_wait_kmcnt 0x0
	v_mad_u32_u24 v23, v89, s12, v90
	s_and_b32 s12, s14, 0xffff
	v_cmp_lt_u32_e64 s14, 3, v101
	s_delay_alu instid0(VALU_DEP_2) | instskip(SKIP_2) | instid1(VALU_DEP_3)
	v_mad_u32 v24, v23, s12, v2
	v_mov_b32_e32 v23, v5
	v_cmp_eq_u32_e64 s12, 0, v101
	v_lshrrev_b32_e32 v28, 3, v24
	v_add_nc_u64_e32 v[24:25], v[0:1], v[4:5]
	s_delay_alu instid0(VALU_DEP_4) | instskip(NEXT) | instid1(VALU_DEP_3)
	v_add_nc_u64_e32 v[26:27], v[8:9], v[22:23]
	v_and_b32_e32 v23, 0x1ffffffc, v28
                                        ; implicit-def: $vgpr28_vgpr29
	s_branch .LBB1759_101
.LBB1759_100:                           ;   in Loop: Header=BB1759_101 Depth=2
	s_or_b32 exec_lo, exec_lo, s15
	s_addk_co_i32 s53, 0xf000
	s_cmp_lt_u32 s57, s51
	s_mov_b32 s42, s57
	s_cbranch_scc0 .LBB1759_309
.LBB1759_101:                           ;   Parent Loop BB1759_17 Depth=1
                                        ; =>  This Inner Loop Header: Depth=2
	s_add_co_i32 s57, s42, 0x1000
	s_delay_alu instid0(SALU_CYCLE_1)
	s_cmp_gt_u32 s57, s51
	s_cbranch_scc1 .LBB1759_103
; %bb.102:                              ;   in Loop: Header=BB1759_101 Depth=2
	s_delay_alu instid0(VALU_DEP_2)
	v_lshl_add_u64 v[60:61], s[42:43], 1, v[26:27]
	s_mov_b32 s15, -1
	s_clause 0xe
	global_load_u16 v140, v[60:61], off
	global_load_u16 v141, v[60:61], off offset:64
	global_load_u16 v144, v[60:61], off offset:128
	global_load_u16 v148, v[60:61], off offset:192
	global_load_u16 v152, v[60:61], off offset:256
	global_load_u16 v156, v[60:61], off offset:320
	global_load_u16 v160, v[60:61], off offset:384
	global_load_u16 v164, v[60:61], off offset:448
	global_load_u16 v168, v[60:61], off offset:512
	global_load_u16 v67, v[60:61], off offset:576
	global_load_u16 v66, v[60:61], off offset:640
	global_load_u16 v65, v[60:61], off offset:704
	global_load_u16 v64, v[60:61], off offset:768
	global_load_u16 v63, v[60:61], off offset:832
	global_load_u16 v62, v[60:61], off offset:896
	s_movk_i32 s16, 0x1000
	s_cbranch_execz .LBB1759_104
	s_branch .LBB1759_135
.LBB1759_103:                           ;   in Loop: Header=BB1759_101 Depth=2
	s_mov_b32 s15, 0
                                        ; implicit-def: $vgpr140
                                        ; implicit-def: $vgpr141
                                        ; implicit-def: $vgpr144
                                        ; implicit-def: $vgpr148
                                        ; implicit-def: $vgpr152
                                        ; implicit-def: $vgpr156
                                        ; implicit-def: $vgpr160
                                        ; implicit-def: $vgpr164
                                        ; implicit-def: $vgpr168
                                        ; implicit-def: $vgpr67
                                        ; implicit-def: $vgpr66
                                        ; implicit-def: $vgpr65
                                        ; implicit-def: $vgpr64
                                        ; implicit-def: $vgpr63
                                        ; implicit-def: $vgpr62
	s_movk_i32 s16, 0x1000
.LBB1759_104:                           ;   in Loop: Header=BB1759_101 Depth=2
	s_wait_xcnt 0x0
	v_lshl_add_u64 v[60:61], s[42:43], 1, v[26:27]
	s_wait_loadcnt 0xd
	v_dual_mov_b32 v141, -1 :: v_dual_mov_b32 v140, -1
	s_mov_b32 s15, exec_lo
	v_cmpx_gt_u32_e64 s53, v100
	s_cbranch_execz .LBB1759_106
; %bb.105:                              ;   in Loop: Header=BB1759_101 Depth=2
	global_load_u16 v140, v[60:61], off
.LBB1759_106:                           ;   in Loop: Header=BB1759_101 Depth=2
	s_wait_xcnt 0x0
	s_or_b32 exec_lo, exec_lo, s15
	s_delay_alu instid0(SALU_CYCLE_1)
	s_mov_b32 s15, exec_lo
	v_cmpx_gt_u32_e64 s53, v103
	s_cbranch_execz .LBB1759_108
; %bb.107:                              ;   in Loop: Header=BB1759_101 Depth=2
	global_load_u16 v141, v[60:61], off offset:64
.LBB1759_108:                           ;   in Loop: Header=BB1759_101 Depth=2
	s_wait_xcnt 0x0
	s_or_b32 exec_lo, exec_lo, s15
	s_wait_loadcnt 0xb
	v_dual_mov_b32 v148, -1 :: v_dual_mov_b32 v144, -1
	s_mov_b32 s15, exec_lo
	v_cmpx_gt_u32_e64 s53, v104
	s_cbranch_execz .LBB1759_110
; %bb.109:                              ;   in Loop: Header=BB1759_101 Depth=2
	global_load_u16 v144, v[60:61], off offset:128
.LBB1759_110:                           ;   in Loop: Header=BB1759_101 Depth=2
	s_wait_xcnt 0x0
	s_or_b32 exec_lo, exec_lo, s15
	s_delay_alu instid0(SALU_CYCLE_1)
	s_mov_b32 s15, exec_lo
	v_cmpx_gt_u32_e64 s53, v105
	s_cbranch_execz .LBB1759_112
; %bb.111:                              ;   in Loop: Header=BB1759_101 Depth=2
	global_load_u16 v148, v[60:61], off offset:192
.LBB1759_112:                           ;   in Loop: Header=BB1759_101 Depth=2
	s_wait_xcnt 0x0
	s_or_b32 exec_lo, exec_lo, s15
	s_wait_loadcnt 0x9
	v_dual_mov_b32 v156, -1 :: v_dual_mov_b32 v152, -1
	s_mov_b32 s15, exec_lo
	v_cmpx_gt_u32_e64 s53, v106
	s_cbranch_execz .LBB1759_114
; %bb.113:                              ;   in Loop: Header=BB1759_101 Depth=2
	global_load_u16 v152, v[60:61], off offset:256
.LBB1759_114:                           ;   in Loop: Header=BB1759_101 Depth=2
	;; [unrolled: 19-line block ×6, first 2 shown]
	s_wait_xcnt 0x0
	s_or_b32 exec_lo, exec_lo, s15
	s_delay_alu instid0(SALU_CYCLE_1)
	s_mov_b32 s15, exec_lo
	v_cmpx_gt_u32_e64 s53, v115
	s_cbranch_execz .LBB1759_132
; %bb.131:                              ;   in Loop: Header=BB1759_101 Depth=2
	global_load_u16 v63, v[60:61], off offset:832
.LBB1759_132:                           ;   in Loop: Header=BB1759_101 Depth=2
	s_wait_xcnt 0x0
	s_or_b32 exec_lo, exec_lo, s15
	s_wait_loadcnt 0x0
	v_mov_b32_e32 v62, -1
	s_mov_b32 s15, exec_lo
	v_cmpx_gt_u32_e64 s53, v116
	s_cbranch_execz .LBB1759_134
; %bb.133:                              ;   in Loop: Header=BB1759_101 Depth=2
	global_load_u16 v62, v[60:61], off offset:896
.LBB1759_134:                           ;   in Loop: Header=BB1759_101 Depth=2
	s_wait_xcnt 0x0
	s_or_b32 exec_lo, exec_lo, s15
	v_cmp_gt_u32_e64 s15, s53, v117
	s_sub_co_i32 s16, s51, s42
.LBB1759_135:                           ;   in Loop: Header=BB1759_101 Depth=2
	s_wait_xcnt 0x0
	v_dual_mov_b32 v60, -1 :: v_dual_mov_b32 v139, s53
	s_and_saveexec_b32 s17, s15
	s_cbranch_execz .LBB1759_137
; %bb.136:                              ;   in Loop: Header=BB1759_101 Depth=2
	v_lshl_add_u64 v[60:61], s[42:43], 1, v[26:27]
	v_mov_b32_e32 v139, s16
	global_load_u16 v60, v[60:61], off offset:960
.LBB1759_137:                           ;   in Loop: Header=BB1759_101 Depth=2
	s_wait_xcnt 0x0
	s_or_b32 exec_lo, exec_lo, s17
	s_wait_loadcnt 0xe
	v_cmp_gt_i16_e64 vcc_lo, 0, v140
	ds_store_2addr_b32 v121, v5, v5 offset1:1
	ds_store_2addr_b32 v118, v5, v5 offset1:1
	ds_store_2addr_b32 v119, v5, v5 offset1:1
	ds_store_2addr_b32 v120, v5, v5 offset1:1
	ds_store_b32 v91, v5 offset:1088
	s_wait_loadcnt_dscnt 0x0
	s_barrier_signal -1
	v_cndmask_b32_e64 v61, 0x7fff, 0, vcc_lo
	s_barrier_wait -1
	; wave barrier
	s_delay_alu instid0(VALU_DEP_1) | instskip(NEXT) | instid1(VALU_DEP_1)
	v_xor_b32_e32 v140, v61, v140
	v_cmp_ne_u16_e64 vcc_lo, 0x8000, v140
	v_cndmask_b32_e32 v61, 0x7fff, v140, vcc_lo
	s_delay_alu instid0(VALU_DEP_1) | instskip(NEXT) | instid1(VALU_DEP_1)
	v_and_b32_e32 v61, 0xffff, v61
	v_lshrrev_b32_e32 v61, s48, v61
	s_delay_alu instid0(VALU_DEP_1) | instskip(SKIP_1) | instid1(VALU_DEP_2)
	v_bitop3_b32 v142, v61, 1, s52 bitop3:0x80
	v_and_b32_e32 v143, s52, v61
	v_add_co_u32 v61, s15, v142, -1
	s_delay_alu instid0(VALU_DEP_1) | instskip(NEXT) | instid1(VALU_DEP_3)
	v_cndmask_b32_e64 v142, 0, 1, s15
	v_lshlrev_b32_e32 v145, 30, v143
	s_delay_alu instid0(VALU_DEP_2) | instskip(NEXT) | instid1(VALU_DEP_2)
	v_cmp_ne_u32_e32 vcc_lo, 0, v142
	v_not_b32_e32 v142, v145
	s_delay_alu instid0(VALU_DEP_1) | instskip(SKIP_3) | instid1(VALU_DEP_4)
	v_dual_ashrrev_i32 v142, 31, v142 :: v_dual_lshlrev_b32 v146, 29, v143
	v_dual_lshlrev_b32 v147, 28, v143 :: v_dual_lshlrev_b32 v149, 27, v143
	v_lshlrev_b32_e32 v150, 26, v143
	v_cmp_gt_i32_e64 s15, 0, v145
	v_cmp_gt_i32_e64 s16, 0, v146
	v_not_b32_e32 v145, v146
	v_not_b32_e32 v146, v147
	v_dual_lshlrev_b32 v151, 25, v143 :: v_dual_lshlrev_b32 v153, 24, v143
	v_cmp_gt_i32_e64 s17, 0, v147
	v_cmp_gt_i32_e64 s18, 0, v149
	v_not_b32_e32 v147, v149
	v_not_b32_e32 v149, v150
	v_dual_ashrrev_i32 v146, 31, v146 :: v_dual_bitop2_b32 v61, vcc_lo, v61 bitop3:0x14
	v_dual_ashrrev_i32 v145, 31, v145 :: v_dual_bitop2_b32 v142, s15, v142 bitop3:0x14
	v_cmp_gt_i32_e64 s19, 0, v150
	v_cmp_gt_i32_e64 s20, 0, v151
	v_not_b32_e32 v150, v151
	v_not_b32_e32 v151, v153
	v_dual_ashrrev_i32 v147, 31, v147 :: v_dual_ashrrev_i32 v149, 31, v149
	v_xor_b32_e32 v145, s16, v145
	v_xor_b32_e32 v146, s17, v146
	v_bitop3_b32 v61, v61, v142, exec_lo bitop3:0x80
	v_cmp_gt_i32_e64 s21, 0, v153
	v_dual_ashrrev_i32 v142, 31, v150 :: v_dual_ashrrev_i32 v150, 31, v151
	v_xor_b32_e32 v147, s18, v147
	s_delay_alu instid0(VALU_DEP_4) | instskip(SKIP_3) | instid1(VALU_DEP_3)
	v_bitop3_b32 v61, v61, v146, v145 bitop3:0x80
	v_mul_u32_u24_e32 v143, 36, v143
	v_xor_b32_e32 v149, s19, v149
	v_xor_b32_e32 v142, s20, v142
	v_dual_add_nc_u32 v143, v23, v143 :: v_dual_bitop2_b32 v145, s21, v150 bitop3:0x14
	s_delay_alu instid0(VALU_DEP_3) | instskip(NEXT) | instid1(VALU_DEP_1)
	v_bitop3_b32 v61, v61, v149, v147 bitop3:0x80
	v_bitop3_b32 v61, v61, v145, v142 bitop3:0x80
	s_delay_alu instid0(VALU_DEP_1) | instskip(SKIP_1) | instid1(VALU_DEP_2)
	v_mbcnt_lo_u32_b32 v142, v61, 0
	v_cmp_ne_u32_e64 s15, 0, v61
	v_cmp_eq_u32_e32 vcc_lo, 0, v142
	s_and_b32 s16, s15, vcc_lo
	s_delay_alu instid0(SALU_CYCLE_1)
	s_and_saveexec_b32 s15, s16
; %bb.138:                              ;   in Loop: Header=BB1759_101 Depth=2
	v_bcnt_u32_b32 v61, v61, 0
	ds_store_b32 v143, v61 offset:1056
; %bb.139:                              ;   in Loop: Header=BB1759_101 Depth=2
	s_or_b32 exec_lo, exec_lo, s15
	v_cmp_gt_i16_e64 vcc_lo, 0, v141
	; wave barrier
	s_delay_alu instid0(VALU_DEP_1) | instskip(NEXT) | instid1(VALU_DEP_1)
	v_cndmask_b32_e64 v61, 0x7fff, 0, vcc_lo
	v_xor_b32_e32 v141, v61, v141
	s_delay_alu instid0(VALU_DEP_1) | instskip(SKIP_1) | instid1(VALU_DEP_1)
	v_cmp_ne_u16_e64 vcc_lo, 0x8000, v141
	v_cndmask_b32_e32 v61, 0x7fff, v141, vcc_lo
	v_and_b32_e32 v61, 0xffff, v61
	s_delay_alu instid0(VALU_DEP_1) | instskip(NEXT) | instid1(VALU_DEP_1)
	v_lshrrev_b32_e32 v61, s48, v61
	v_and_b32_e32 v147, s52, v61
	s_delay_alu instid0(VALU_DEP_1) | instskip(SKIP_2) | instid1(VALU_DEP_3)
	v_lshlrev_b32_e32 v149, 29, v147
	v_bitop3_b32 v145, v61, 1, s52 bitop3:0x80
	v_lshlrev_b32_e32 v146, 30, v147
	v_cmp_gt_i32_e64 s16, 0, v149
	s_delay_alu instid0(VALU_DEP_3) | instskip(NEXT) | instid1(VALU_DEP_1)
	v_add_co_u32 v61, s15, v145, -1
	v_cndmask_b32_e64 v145, 0, 1, s15
	s_delay_alu instid0(VALU_DEP_4) | instskip(NEXT) | instid1(VALU_DEP_2)
	v_cmp_gt_i32_e64 s15, 0, v146
	v_cmp_ne_u32_e32 vcc_lo, 0, v145
	v_not_b32_e32 v145, v146
	v_not_b32_e32 v146, v149
	s_delay_alu instid0(VALU_DEP_1) | instskip(SKIP_2) | instid1(VALU_DEP_3)
	v_dual_ashrrev_i32 v146, 31, v146 :: v_dual_lshlrev_b32 v150, 28, v147
	v_dual_lshlrev_b32 v151, 27, v147 :: v_dual_lshlrev_b32 v153, 26, v147
	v_dual_lshlrev_b32 v154, 25, v147 :: v_dual_lshlrev_b32 v155, 24, v147
	v_cmp_gt_i32_e64 s17, 0, v150
	v_not_b32_e32 v149, v150
	s_delay_alu instid0(VALU_DEP_4)
	v_not_b32_e32 v150, v151
	v_ashrrev_i32_e32 v145, 31, v145
	v_cmp_gt_i32_e64 s18, 0, v151
	v_cmp_gt_i32_e64 s19, 0, v153
	v_not_b32_e32 v151, v153
	v_cmp_gt_i32_e64 s20, 0, v154
	v_not_b32_e32 v153, v154
	v_not_b32_e32 v154, v155
	s_delay_alu instid0(VALU_DEP_4) | instskip(SKIP_3) | instid1(VALU_DEP_3)
	v_dual_ashrrev_i32 v151, 31, v151 :: v_dual_bitop2_b32 v61, vcc_lo, v61 bitop3:0x14
	v_dual_ashrrev_i32 v149, 31, v149 :: v_dual_bitop2_b32 v146, s16, v146 bitop3:0x14
	v_dual_ashrrev_i32 v150, 31, v150 :: v_dual_bitop2_b32 v145, s15, v145 bitop3:0x14
	v_cmp_gt_i32_e64 s21, 0, v155
	v_xor_b32_e32 v149, s17, v149
	v_xor_b32_e32 v151, s19, v151
	s_delay_alu instid0(VALU_DEP_4) | instskip(SKIP_2) | instid1(VALU_DEP_2)
	v_xor_b32_e32 v150, s18, v150
	v_bitop3_b32 v61, v61, v145, exec_lo bitop3:0x80
	v_dual_ashrrev_i32 v145, 31, v153 :: v_dual_ashrrev_i32 v153, 31, v154
	v_bitop3_b32 v61, v61, v149, v146 bitop3:0x80
	v_mad_u32_u24 v146, v147, 36, v23
	s_delay_alu instid0(VALU_DEP_3) | instskip(NEXT) | instid1(VALU_DEP_4)
	v_xor_b32_e32 v149, s20, v145
	v_xor_b32_e32 v153, s21, v153
	v_mul_u32_u24_e32 v147, 36, v147
	v_bitop3_b32 v61, v61, v151, v150 bitop3:0x80
	ds_load_b32 v145, v146 offset:1056
	; wave barrier
	v_add_nc_u32_e32 v147, v23, v147
	v_bitop3_b32 v61, v61, v153, v149 bitop3:0x80
	s_delay_alu instid0(VALU_DEP_1) | instskip(SKIP_1) | instid1(VALU_DEP_2)
	v_mbcnt_lo_u32_b32 v146, v61, 0
	v_cmp_ne_u32_e64 s15, 0, v61
	v_cmp_eq_u32_e32 vcc_lo, 0, v146
	s_and_b32 s16, s15, vcc_lo
	s_delay_alu instid0(SALU_CYCLE_1)
	s_and_saveexec_b32 s15, s16
	s_cbranch_execz .LBB1759_141
; %bb.140:                              ;   in Loop: Header=BB1759_101 Depth=2
	s_wait_dscnt 0x0
	v_bcnt_u32_b32 v61, v61, v145
	ds_store_b32 v147, v61 offset:1056
.LBB1759_141:                           ;   in Loop: Header=BB1759_101 Depth=2
	s_or_b32 exec_lo, exec_lo, s15
	v_cmp_gt_i16_e64 vcc_lo, 0, v144
	; wave barrier
	s_delay_alu instid0(VALU_DEP_1) | instskip(NEXT) | instid1(VALU_DEP_1)
	v_cndmask_b32_e64 v61, 0x7fff, 0, vcc_lo
	v_xor_b32_e32 v144, v61, v144
	s_delay_alu instid0(VALU_DEP_1) | instskip(SKIP_1) | instid1(VALU_DEP_1)
	v_cmp_ne_u16_e64 vcc_lo, 0x8000, v144
	v_cndmask_b32_e32 v61, 0x7fff, v144, vcc_lo
	v_and_b32_e32 v61, 0xffff, v61
	s_delay_alu instid0(VALU_DEP_1) | instskip(NEXT) | instid1(VALU_DEP_1)
	v_lshrrev_b32_e32 v61, s48, v61
	v_bitop3_b32 v149, v61, 1, s52 bitop3:0x80
	v_and_b32_e32 v151, s52, v61
	s_delay_alu instid0(VALU_DEP_2) | instskip(NEXT) | instid1(VALU_DEP_1)
	v_add_co_u32 v61, s15, v149, -1
	v_cndmask_b32_e64 v149, 0, 1, s15
	s_delay_alu instid0(VALU_DEP_3) | instskip(NEXT) | instid1(VALU_DEP_2)
	v_dual_lshlrev_b32 v150, 30, v151 :: v_dual_lshlrev_b32 v153, 29, v151
	v_cmp_ne_u32_e32 vcc_lo, 0, v149
	s_delay_alu instid0(VALU_DEP_2) | instskip(SKIP_1) | instid1(VALU_DEP_4)
	v_cmp_gt_i32_e64 s15, 0, v150
	v_not_b32_e32 v149, v150
	v_not_b32_e32 v150, v153
	s_delay_alu instid0(VALU_DEP_1) | instskip(SKIP_3) | instid1(VALU_DEP_4)
	v_dual_ashrrev_i32 v150, 31, v150 :: v_dual_lshlrev_b32 v154, 28, v151
	v_dual_lshlrev_b32 v155, 27, v151 :: v_dual_lshlrev_b32 v157, 26, v151
	v_dual_lshlrev_b32 v158, 25, v151 :: v_dual_lshlrev_b32 v159, 24, v151
	v_cmp_gt_i32_e64 s16, 0, v153
	v_cmp_gt_i32_e64 s17, 0, v154
	v_not_b32_e32 v153, v154
	v_not_b32_e32 v154, v155
	v_ashrrev_i32_e32 v149, 31, v149
	v_cmp_gt_i32_e64 s18, 0, v155
	v_cmp_gt_i32_e64 s19, 0, v157
	v_not_b32_e32 v155, v157
	v_cmp_gt_i32_e64 s20, 0, v158
	v_not_b32_e32 v157, v158
	v_not_b32_e32 v158, v159
	s_delay_alu instid0(VALU_DEP_4) | instskip(SKIP_3) | instid1(VALU_DEP_3)
	v_dual_ashrrev_i32 v155, 31, v155 :: v_dual_bitop2_b32 v61, vcc_lo, v61 bitop3:0x14
	v_dual_ashrrev_i32 v153, 31, v153 :: v_dual_bitop2_b32 v150, s16, v150 bitop3:0x14
	v_dual_ashrrev_i32 v154, 31, v154 :: v_dual_bitop2_b32 v149, s15, v149 bitop3:0x14
	v_cmp_gt_i32_e64 s21, 0, v159
	v_xor_b32_e32 v153, s17, v153
	v_xor_b32_e32 v155, s19, v155
	s_delay_alu instid0(VALU_DEP_4) | instskip(SKIP_2) | instid1(VALU_DEP_2)
	v_xor_b32_e32 v154, s18, v154
	v_bitop3_b32 v61, v61, v149, exec_lo bitop3:0x80
	v_dual_ashrrev_i32 v149, 31, v157 :: v_dual_ashrrev_i32 v157, 31, v158
	v_bitop3_b32 v61, v61, v153, v150 bitop3:0x80
	v_mad_u32_u24 v150, v151, 36, v23
	s_delay_alu instid0(VALU_DEP_3) | instskip(NEXT) | instid1(VALU_DEP_4)
	v_xor_b32_e32 v153, s20, v149
	v_xor_b32_e32 v157, s21, v157
	v_mul_u32_u24_e32 v151, 36, v151
	v_bitop3_b32 v61, v61, v155, v154 bitop3:0x80
	ds_load_b32 v149, v150 offset:1056
	; wave barrier
	v_add_nc_u32_e32 v151, v23, v151
	v_bitop3_b32 v61, v61, v157, v153 bitop3:0x80
	s_delay_alu instid0(VALU_DEP_1) | instskip(SKIP_1) | instid1(VALU_DEP_2)
	v_mbcnt_lo_u32_b32 v150, v61, 0
	v_cmp_ne_u32_e64 s15, 0, v61
	v_cmp_eq_u32_e32 vcc_lo, 0, v150
	s_and_b32 s16, s15, vcc_lo
	s_delay_alu instid0(SALU_CYCLE_1)
	s_and_saveexec_b32 s15, s16
	s_cbranch_execz .LBB1759_143
; %bb.142:                              ;   in Loop: Header=BB1759_101 Depth=2
	s_wait_dscnt 0x0
	v_bcnt_u32_b32 v61, v61, v149
	ds_store_b32 v151, v61 offset:1056
.LBB1759_143:                           ;   in Loop: Header=BB1759_101 Depth=2
	s_or_b32 exec_lo, exec_lo, s15
	v_cmp_gt_i16_e64 vcc_lo, 0, v148
	; wave barrier
	s_delay_alu instid0(VALU_DEP_1) | instskip(NEXT) | instid1(VALU_DEP_1)
	v_cndmask_b32_e64 v61, 0x7fff, 0, vcc_lo
	v_xor_b32_e32 v148, v61, v148
	s_delay_alu instid0(VALU_DEP_1) | instskip(SKIP_1) | instid1(VALU_DEP_1)
	v_cmp_ne_u16_e64 vcc_lo, 0x8000, v148
	v_cndmask_b32_e32 v61, 0x7fff, v148, vcc_lo
	v_and_b32_e32 v61, 0xffff, v61
	s_delay_alu instid0(VALU_DEP_1) | instskip(NEXT) | instid1(VALU_DEP_1)
	v_lshrrev_b32_e32 v61, s48, v61
	v_bitop3_b32 v153, v61, 1, s52 bitop3:0x80
	v_and_b32_e32 v155, s52, v61
	s_delay_alu instid0(VALU_DEP_2) | instskip(NEXT) | instid1(VALU_DEP_1)
	v_add_co_u32 v61, s15, v153, -1
	v_cndmask_b32_e64 v153, 0, 1, s15
	s_delay_alu instid0(VALU_DEP_3) | instskip(NEXT) | instid1(VALU_DEP_2)
	v_dual_lshlrev_b32 v154, 30, v155 :: v_dual_lshlrev_b32 v157, 29, v155
	v_cmp_ne_u32_e32 vcc_lo, 0, v153
	s_delay_alu instid0(VALU_DEP_2) | instskip(SKIP_1) | instid1(VALU_DEP_4)
	v_cmp_gt_i32_e64 s15, 0, v154
	v_not_b32_e32 v153, v154
	v_not_b32_e32 v154, v157
	s_delay_alu instid0(VALU_DEP_1) | instskip(SKIP_3) | instid1(VALU_DEP_4)
	v_dual_ashrrev_i32 v154, 31, v154 :: v_dual_lshlrev_b32 v158, 28, v155
	v_dual_lshlrev_b32 v159, 27, v155 :: v_dual_lshlrev_b32 v161, 26, v155
	v_dual_lshlrev_b32 v162, 25, v155 :: v_dual_lshlrev_b32 v163, 24, v155
	v_cmp_gt_i32_e64 s16, 0, v157
	v_cmp_gt_i32_e64 s17, 0, v158
	v_not_b32_e32 v157, v158
	v_not_b32_e32 v158, v159
	v_ashrrev_i32_e32 v153, 31, v153
	v_cmp_gt_i32_e64 s18, 0, v159
	v_cmp_gt_i32_e64 s19, 0, v161
	v_not_b32_e32 v159, v161
	v_cmp_gt_i32_e64 s20, 0, v162
	v_not_b32_e32 v161, v162
	v_not_b32_e32 v162, v163
	s_delay_alu instid0(VALU_DEP_4) | instskip(SKIP_3) | instid1(VALU_DEP_3)
	v_dual_ashrrev_i32 v159, 31, v159 :: v_dual_bitop2_b32 v61, vcc_lo, v61 bitop3:0x14
	v_dual_ashrrev_i32 v157, 31, v157 :: v_dual_bitop2_b32 v154, s16, v154 bitop3:0x14
	v_dual_ashrrev_i32 v158, 31, v158 :: v_dual_bitop2_b32 v153, s15, v153 bitop3:0x14
	v_cmp_gt_i32_e64 s21, 0, v163
	v_xor_b32_e32 v157, s17, v157
	v_xor_b32_e32 v159, s19, v159
	s_delay_alu instid0(VALU_DEP_4) | instskip(SKIP_2) | instid1(VALU_DEP_2)
	v_xor_b32_e32 v158, s18, v158
	v_bitop3_b32 v61, v61, v153, exec_lo bitop3:0x80
	v_dual_ashrrev_i32 v153, 31, v161 :: v_dual_ashrrev_i32 v161, 31, v162
	v_bitop3_b32 v61, v61, v157, v154 bitop3:0x80
	v_mad_u32_u24 v154, v155, 36, v23
	s_delay_alu instid0(VALU_DEP_3) | instskip(NEXT) | instid1(VALU_DEP_4)
	v_xor_b32_e32 v157, s20, v153
	v_xor_b32_e32 v161, s21, v161
	v_mul_u32_u24_e32 v155, 36, v155
	v_bitop3_b32 v61, v61, v159, v158 bitop3:0x80
	ds_load_b32 v153, v154 offset:1056
	; wave barrier
	v_add_nc_u32_e32 v155, v23, v155
	v_bitop3_b32 v61, v61, v161, v157 bitop3:0x80
	s_delay_alu instid0(VALU_DEP_1) | instskip(SKIP_1) | instid1(VALU_DEP_2)
	v_mbcnt_lo_u32_b32 v154, v61, 0
	v_cmp_ne_u32_e64 s15, 0, v61
	v_cmp_eq_u32_e32 vcc_lo, 0, v154
	s_and_b32 s16, s15, vcc_lo
	s_delay_alu instid0(SALU_CYCLE_1)
	s_and_saveexec_b32 s15, s16
	s_cbranch_execz .LBB1759_145
; %bb.144:                              ;   in Loop: Header=BB1759_101 Depth=2
	s_wait_dscnt 0x0
	v_bcnt_u32_b32 v61, v61, v153
	ds_store_b32 v155, v61 offset:1056
.LBB1759_145:                           ;   in Loop: Header=BB1759_101 Depth=2
	s_or_b32 exec_lo, exec_lo, s15
	v_cmp_gt_i16_e64 vcc_lo, 0, v152
	; wave barrier
	s_delay_alu instid0(VALU_DEP_1) | instskip(NEXT) | instid1(VALU_DEP_1)
	v_cndmask_b32_e64 v61, 0x7fff, 0, vcc_lo
	v_xor_b32_e32 v152, v61, v152
	s_delay_alu instid0(VALU_DEP_1) | instskip(SKIP_1) | instid1(VALU_DEP_1)
	v_cmp_ne_u16_e64 vcc_lo, 0x8000, v152
	v_cndmask_b32_e32 v61, 0x7fff, v152, vcc_lo
	v_and_b32_e32 v61, 0xffff, v61
	s_delay_alu instid0(VALU_DEP_1) | instskip(NEXT) | instid1(VALU_DEP_1)
	v_lshrrev_b32_e32 v61, s48, v61
	v_bitop3_b32 v157, v61, 1, s52 bitop3:0x80
	v_and_b32_e32 v159, s52, v61
	s_delay_alu instid0(VALU_DEP_2) | instskip(NEXT) | instid1(VALU_DEP_1)
	v_add_co_u32 v61, s15, v157, -1
	v_cndmask_b32_e64 v157, 0, 1, s15
	s_delay_alu instid0(VALU_DEP_3) | instskip(NEXT) | instid1(VALU_DEP_2)
	v_dual_lshlrev_b32 v158, 30, v159 :: v_dual_lshlrev_b32 v161, 29, v159
	v_cmp_ne_u32_e32 vcc_lo, 0, v157
	s_delay_alu instid0(VALU_DEP_2) | instskip(SKIP_1) | instid1(VALU_DEP_4)
	v_cmp_gt_i32_e64 s15, 0, v158
	v_not_b32_e32 v157, v158
	v_not_b32_e32 v158, v161
	s_delay_alu instid0(VALU_DEP_1) | instskip(SKIP_3) | instid1(VALU_DEP_4)
	v_dual_ashrrev_i32 v158, 31, v158 :: v_dual_lshlrev_b32 v162, 28, v159
	v_dual_lshlrev_b32 v163, 27, v159 :: v_dual_lshlrev_b32 v165, 26, v159
	v_dual_lshlrev_b32 v166, 25, v159 :: v_dual_lshlrev_b32 v167, 24, v159
	v_cmp_gt_i32_e64 s16, 0, v161
	v_cmp_gt_i32_e64 s17, 0, v162
	v_not_b32_e32 v161, v162
	v_not_b32_e32 v162, v163
	v_ashrrev_i32_e32 v157, 31, v157
	v_cmp_gt_i32_e64 s18, 0, v163
	v_cmp_gt_i32_e64 s19, 0, v165
	v_not_b32_e32 v163, v165
	v_cmp_gt_i32_e64 s20, 0, v166
	v_not_b32_e32 v165, v166
	v_not_b32_e32 v166, v167
	s_delay_alu instid0(VALU_DEP_4) | instskip(SKIP_3) | instid1(VALU_DEP_3)
	v_dual_ashrrev_i32 v163, 31, v163 :: v_dual_bitop2_b32 v61, vcc_lo, v61 bitop3:0x14
	v_dual_ashrrev_i32 v161, 31, v161 :: v_dual_bitop2_b32 v158, s16, v158 bitop3:0x14
	v_dual_ashrrev_i32 v162, 31, v162 :: v_dual_bitop2_b32 v157, s15, v157 bitop3:0x14
	v_cmp_gt_i32_e64 s21, 0, v167
	v_xor_b32_e32 v161, s17, v161
	v_xor_b32_e32 v163, s19, v163
	s_delay_alu instid0(VALU_DEP_4) | instskip(SKIP_2) | instid1(VALU_DEP_2)
	v_xor_b32_e32 v162, s18, v162
	v_bitop3_b32 v61, v61, v157, exec_lo bitop3:0x80
	v_dual_ashrrev_i32 v157, 31, v165 :: v_dual_ashrrev_i32 v165, 31, v166
	v_bitop3_b32 v61, v61, v161, v158 bitop3:0x80
	v_mad_u32_u24 v158, v159, 36, v23
	s_delay_alu instid0(VALU_DEP_3) | instskip(NEXT) | instid1(VALU_DEP_4)
	v_xor_b32_e32 v161, s20, v157
	v_xor_b32_e32 v165, s21, v165
	v_mul_u32_u24_e32 v159, 36, v159
	v_bitop3_b32 v61, v61, v163, v162 bitop3:0x80
	ds_load_b32 v157, v158 offset:1056
	; wave barrier
	v_add_nc_u32_e32 v159, v23, v159
	v_bitop3_b32 v61, v61, v165, v161 bitop3:0x80
	s_delay_alu instid0(VALU_DEP_1) | instskip(SKIP_1) | instid1(VALU_DEP_2)
	v_mbcnt_lo_u32_b32 v158, v61, 0
	v_cmp_ne_u32_e64 s15, 0, v61
	v_cmp_eq_u32_e32 vcc_lo, 0, v158
	s_and_b32 s16, s15, vcc_lo
	s_delay_alu instid0(SALU_CYCLE_1)
	s_and_saveexec_b32 s15, s16
	s_cbranch_execz .LBB1759_147
; %bb.146:                              ;   in Loop: Header=BB1759_101 Depth=2
	s_wait_dscnt 0x0
	v_bcnt_u32_b32 v61, v61, v157
	ds_store_b32 v159, v61 offset:1056
.LBB1759_147:                           ;   in Loop: Header=BB1759_101 Depth=2
	s_or_b32 exec_lo, exec_lo, s15
	v_cmp_gt_i16_e64 vcc_lo, 0, v156
	; wave barrier
	s_delay_alu instid0(VALU_DEP_1) | instskip(NEXT) | instid1(VALU_DEP_1)
	v_cndmask_b32_e64 v61, 0x7fff, 0, vcc_lo
	v_xor_b32_e32 v156, v61, v156
	s_delay_alu instid0(VALU_DEP_1) | instskip(SKIP_1) | instid1(VALU_DEP_1)
	v_cmp_ne_u16_e64 vcc_lo, 0x8000, v156
	v_cndmask_b32_e32 v61, 0x7fff, v156, vcc_lo
	v_and_b32_e32 v61, 0xffff, v61
	s_delay_alu instid0(VALU_DEP_1) | instskip(NEXT) | instid1(VALU_DEP_1)
	v_lshrrev_b32_e32 v61, s48, v61
	v_bitop3_b32 v161, v61, 1, s52 bitop3:0x80
	v_and_b32_e32 v163, s52, v61
	s_delay_alu instid0(VALU_DEP_2) | instskip(NEXT) | instid1(VALU_DEP_1)
	v_add_co_u32 v61, s15, v161, -1
	v_cndmask_b32_e64 v161, 0, 1, s15
	s_delay_alu instid0(VALU_DEP_3) | instskip(NEXT) | instid1(VALU_DEP_2)
	v_dual_lshlrev_b32 v162, 30, v163 :: v_dual_lshlrev_b32 v165, 29, v163
	v_cmp_ne_u32_e32 vcc_lo, 0, v161
	s_delay_alu instid0(VALU_DEP_2) | instskip(SKIP_1) | instid1(VALU_DEP_4)
	v_cmp_gt_i32_e64 s15, 0, v162
	v_not_b32_e32 v161, v162
	v_not_b32_e32 v162, v165
	s_delay_alu instid0(VALU_DEP_1) | instskip(SKIP_3) | instid1(VALU_DEP_4)
	v_dual_ashrrev_i32 v162, 31, v162 :: v_dual_lshlrev_b32 v166, 28, v163
	v_dual_lshlrev_b32 v167, 27, v163 :: v_dual_lshlrev_b32 v169, 26, v163
	v_dual_lshlrev_b32 v170, 25, v163 :: v_dual_lshlrev_b32 v171, 24, v163
	v_cmp_gt_i32_e64 s16, 0, v165
	v_cmp_gt_i32_e64 s17, 0, v166
	v_not_b32_e32 v165, v166
	v_not_b32_e32 v166, v167
	v_ashrrev_i32_e32 v161, 31, v161
	v_cmp_gt_i32_e64 s18, 0, v167
	v_cmp_gt_i32_e64 s19, 0, v169
	v_not_b32_e32 v167, v169
	v_cmp_gt_i32_e64 s20, 0, v170
	v_not_b32_e32 v169, v170
	v_not_b32_e32 v170, v171
	s_delay_alu instid0(VALU_DEP_4) | instskip(SKIP_3) | instid1(VALU_DEP_3)
	v_dual_ashrrev_i32 v167, 31, v167 :: v_dual_bitop2_b32 v61, vcc_lo, v61 bitop3:0x14
	v_dual_ashrrev_i32 v165, 31, v165 :: v_dual_bitop2_b32 v162, s16, v162 bitop3:0x14
	v_dual_ashrrev_i32 v166, 31, v166 :: v_dual_bitop2_b32 v161, s15, v161 bitop3:0x14
	v_cmp_gt_i32_e64 s21, 0, v171
	v_xor_b32_e32 v165, s17, v165
	v_xor_b32_e32 v167, s19, v167
	s_delay_alu instid0(VALU_DEP_4) | instskip(SKIP_2) | instid1(VALU_DEP_2)
	v_xor_b32_e32 v166, s18, v166
	v_bitop3_b32 v61, v61, v161, exec_lo bitop3:0x80
	v_dual_ashrrev_i32 v161, 31, v169 :: v_dual_ashrrev_i32 v169, 31, v170
	v_bitop3_b32 v61, v61, v165, v162 bitop3:0x80
	v_mad_u32_u24 v162, v163, 36, v23
	s_delay_alu instid0(VALU_DEP_3) | instskip(NEXT) | instid1(VALU_DEP_4)
	v_xor_b32_e32 v165, s20, v161
	v_xor_b32_e32 v169, s21, v169
	v_mul_u32_u24_e32 v163, 36, v163
	v_bitop3_b32 v61, v61, v167, v166 bitop3:0x80
	ds_load_b32 v161, v162 offset:1056
	; wave barrier
	v_add_nc_u32_e32 v163, v23, v163
	v_bitop3_b32 v61, v61, v169, v165 bitop3:0x80
	s_delay_alu instid0(VALU_DEP_1) | instskip(SKIP_1) | instid1(VALU_DEP_2)
	v_mbcnt_lo_u32_b32 v162, v61, 0
	v_cmp_ne_u32_e64 s15, 0, v61
	v_cmp_eq_u32_e32 vcc_lo, 0, v162
	s_and_b32 s16, s15, vcc_lo
	s_delay_alu instid0(SALU_CYCLE_1)
	s_and_saveexec_b32 s15, s16
	s_cbranch_execz .LBB1759_149
; %bb.148:                              ;   in Loop: Header=BB1759_101 Depth=2
	s_wait_dscnt 0x0
	v_bcnt_u32_b32 v61, v61, v161
	ds_store_b32 v163, v61 offset:1056
.LBB1759_149:                           ;   in Loop: Header=BB1759_101 Depth=2
	s_or_b32 exec_lo, exec_lo, s15
	v_cmp_gt_i16_e64 vcc_lo, 0, v160
	; wave barrier
	s_delay_alu instid0(VALU_DEP_1) | instskip(NEXT) | instid1(VALU_DEP_1)
	v_cndmask_b32_e64 v61, 0x7fff, 0, vcc_lo
	v_xor_b32_e32 v160, v61, v160
	s_delay_alu instid0(VALU_DEP_1) | instskip(SKIP_1) | instid1(VALU_DEP_1)
	v_cmp_ne_u16_e64 vcc_lo, 0x8000, v160
	v_cndmask_b32_e32 v61, 0x7fff, v160, vcc_lo
	v_and_b32_e32 v61, 0xffff, v61
	s_delay_alu instid0(VALU_DEP_1) | instskip(NEXT) | instid1(VALU_DEP_1)
	v_lshrrev_b32_e32 v61, s48, v61
	v_bitop3_b32 v165, v61, 1, s52 bitop3:0x80
	v_and_b32_e32 v167, s52, v61
	s_delay_alu instid0(VALU_DEP_2) | instskip(NEXT) | instid1(VALU_DEP_1)
	v_add_co_u32 v61, s15, v165, -1
	v_cndmask_b32_e64 v165, 0, 1, s15
	s_delay_alu instid0(VALU_DEP_3) | instskip(NEXT) | instid1(VALU_DEP_2)
	v_dual_lshlrev_b32 v166, 30, v167 :: v_dual_lshlrev_b32 v169, 29, v167
	v_cmp_ne_u32_e32 vcc_lo, 0, v165
	s_delay_alu instid0(VALU_DEP_2) | instskip(SKIP_1) | instid1(VALU_DEP_4)
	v_cmp_gt_i32_e64 s15, 0, v166
	v_not_b32_e32 v165, v166
	v_not_b32_e32 v166, v169
	s_delay_alu instid0(VALU_DEP_1) | instskip(SKIP_3) | instid1(VALU_DEP_4)
	v_dual_ashrrev_i32 v166, 31, v166 :: v_dual_lshlrev_b32 v170, 28, v167
	v_dual_lshlrev_b32 v171, 27, v167 :: v_dual_lshlrev_b32 v172, 26, v167
	v_cmp_gt_i32_e64 s16, 0, v169
	v_dual_lshlrev_b32 v173, 25, v167 :: v_dual_lshlrev_b32 v174, 24, v167
	v_cmp_gt_i32_e64 s17, 0, v170
	v_not_b32_e32 v169, v170
	v_not_b32_e32 v170, v171
	v_ashrrev_i32_e32 v165, 31, v165
	v_cmp_gt_i32_e64 s18, 0, v171
	v_not_b32_e32 v171, v172
	v_xor_b32_e32 v61, vcc_lo, v61
	v_dual_ashrrev_i32 v169, 31, v169 :: v_dual_bitop2_b32 v166, s16, v166 bitop3:0x14
	v_dual_ashrrev_i32 v170, 31, v170 :: v_dual_bitop2_b32 v165, s15, v165 bitop3:0x14
	v_cmp_gt_i32_e64 s19, 0, v172
	v_cmp_gt_i32_e64 s20, 0, v173
	v_not_b32_e32 v172, v173
	v_not_b32_e32 v173, v174
	v_dual_ashrrev_i32 v171, 31, v171 :: v_dual_bitop2_b32 v169, s17, v169 bitop3:0x14
	v_bitop3_b32 v61, v61, v165, exec_lo bitop3:0x80
	v_cmp_gt_i32_e64 s21, 0, v174
	s_delay_alu instid0(VALU_DEP_4)
	v_dual_ashrrev_i32 v165, 31, v172 :: v_dual_ashrrev_i32 v172, 31, v173
	v_xor_b32_e32 v170, s18, v170
	v_xor_b32_e32 v171, s19, v171
	v_bitop3_b32 v61, v61, v169, v166 bitop3:0x80
	v_mad_u32_u24 v166, v167, 36, v23
	v_xor_b32_e32 v169, s20, v165
	v_xor_b32_e32 v172, s21, v172
	v_mul_u32_u24_e32 v167, 36, v167
	v_bitop3_b32 v61, v61, v171, v170 bitop3:0x80
	ds_load_b32 v165, v166 offset:1056
	; wave barrier
	v_add_nc_u32_e32 v167, v23, v167
	v_bitop3_b32 v61, v61, v172, v169 bitop3:0x80
	s_delay_alu instid0(VALU_DEP_1) | instskip(SKIP_1) | instid1(VALU_DEP_2)
	v_mbcnt_lo_u32_b32 v166, v61, 0
	v_cmp_ne_u32_e64 s15, 0, v61
	v_cmp_eq_u32_e32 vcc_lo, 0, v166
	s_and_b32 s16, s15, vcc_lo
	s_delay_alu instid0(SALU_CYCLE_1)
	s_and_saveexec_b32 s15, s16
	s_cbranch_execz .LBB1759_151
; %bb.150:                              ;   in Loop: Header=BB1759_101 Depth=2
	s_wait_dscnt 0x0
	v_bcnt_u32_b32 v61, v61, v165
	ds_store_b32 v167, v61 offset:1056
.LBB1759_151:                           ;   in Loop: Header=BB1759_101 Depth=2
	s_or_b32 exec_lo, exec_lo, s15
	v_cmp_gt_i16_e64 vcc_lo, 0, v164
	; wave barrier
	s_delay_alu instid0(VALU_DEP_1) | instskip(NEXT) | instid1(VALU_DEP_1)
	v_cndmask_b32_e64 v61, 0x7fff, 0, vcc_lo
	v_xor_b32_e32 v164, v61, v164
	s_delay_alu instid0(VALU_DEP_1) | instskip(SKIP_1) | instid1(VALU_DEP_1)
	v_cmp_ne_u16_e64 vcc_lo, 0x8000, v164
	v_cndmask_b32_e32 v61, 0x7fff, v164, vcc_lo
	v_and_b32_e32 v61, 0xffff, v61
	s_delay_alu instid0(VALU_DEP_1) | instskip(NEXT) | instid1(VALU_DEP_1)
	v_lshrrev_b32_e32 v61, s48, v61
	v_bitop3_b32 v169, v61, 1, s52 bitop3:0x80
	v_and_b32_e32 v171, s52, v61
	s_delay_alu instid0(VALU_DEP_2) | instskip(NEXT) | instid1(VALU_DEP_1)
	v_add_co_u32 v61, s15, v169, -1
	v_cndmask_b32_e64 v169, 0, 1, s15
	s_delay_alu instid0(VALU_DEP_3) | instskip(NEXT) | instid1(VALU_DEP_2)
	v_dual_lshlrev_b32 v170, 30, v171 :: v_dual_lshlrev_b32 v172, 29, v171
	v_cmp_ne_u32_e32 vcc_lo, 0, v169
	s_delay_alu instid0(VALU_DEP_2) | instskip(SKIP_1) | instid1(VALU_DEP_4)
	v_cmp_gt_i32_e64 s15, 0, v170
	v_not_b32_e32 v169, v170
	v_not_b32_e32 v170, v172
	s_delay_alu instid0(VALU_DEP_1) | instskip(SKIP_3) | instid1(VALU_DEP_4)
	v_dual_ashrrev_i32 v170, 31, v170 :: v_dual_lshlrev_b32 v173, 28, v171
	v_dual_lshlrev_b32 v174, 27, v171 :: v_dual_lshlrev_b32 v175, 26, v171
	v_dual_lshlrev_b32 v176, 25, v171 :: v_dual_lshlrev_b32 v177, 24, v171
	v_cmp_gt_i32_e64 s16, 0, v172
	v_not_b32_e32 v172, v173
	v_ashrrev_i32_e32 v169, 31, v169
	v_cmp_gt_i32_e64 s17, 0, v173
	v_cmp_gt_i32_e64 s18, 0, v174
	v_not_b32_e32 v173, v174
	v_cmp_gt_i32_e64 s19, 0, v175
	v_not_b32_e32 v174, v175
	;; [unrolled: 2-line block ×3, first 2 shown]
	v_not_b32_e32 v176, v177
	s_delay_alu instid0(VALU_DEP_4) | instskip(SKIP_3) | instid1(VALU_DEP_3)
	v_dual_ashrrev_i32 v174, 31, v174 :: v_dual_bitop2_b32 v61, vcc_lo, v61 bitop3:0x14
	v_dual_ashrrev_i32 v172, 31, v172 :: v_dual_bitop2_b32 v169, s15, v169 bitop3:0x14
	v_dual_ashrrev_i32 v173, 31, v173 :: v_dual_bitop2_b32 v170, s16, v170 bitop3:0x14
	v_cmp_gt_i32_e64 s21, 0, v177
	v_xor_b32_e32 v172, s17, v172
	s_delay_alu instid0(VALU_DEP_4) | instskip(SKIP_2) | instid1(VALU_DEP_3)
	v_bitop3_b32 v61, v61, v169, exec_lo bitop3:0x80
	v_dual_ashrrev_i32 v169, 31, v175 :: v_dual_ashrrev_i32 v175, 31, v176
	v_xor_b32_e32 v174, s19, v174
	v_bitop3_b32 v61, v61, v172, v170 bitop3:0x80
	v_mad_u32_u24 v170, v171, 36, v23
	v_mul_u32_u24_e32 v171, 36, v171
	v_xor_b32_e32 v173, s18, v173
	v_xor_b32_e32 v172, s20, v169
	;; [unrolled: 1-line block ×3, first 2 shown]
	ds_load_b32 v169, v170 offset:1056
	v_add_nc_u32_e32 v171, v23, v171
	v_bitop3_b32 v61, v61, v174, v173 bitop3:0x80
	; wave barrier
	s_delay_alu instid0(VALU_DEP_1) | instskip(NEXT) | instid1(VALU_DEP_1)
	v_bitop3_b32 v61, v61, v175, v172 bitop3:0x80
	v_mbcnt_lo_u32_b32 v170, v61, 0
	v_cmp_ne_u32_e64 s15, 0, v61
	s_delay_alu instid0(VALU_DEP_2) | instskip(SKIP_1) | instid1(SALU_CYCLE_1)
	v_cmp_eq_u32_e32 vcc_lo, 0, v170
	s_and_b32 s16, s15, vcc_lo
	s_and_saveexec_b32 s15, s16
	s_cbranch_execz .LBB1759_153
; %bb.152:                              ;   in Loop: Header=BB1759_101 Depth=2
	s_wait_dscnt 0x0
	v_bcnt_u32_b32 v61, v61, v169
	ds_store_b32 v171, v61 offset:1056
.LBB1759_153:                           ;   in Loop: Header=BB1759_101 Depth=2
	s_or_b32 exec_lo, exec_lo, s15
	v_cmp_gt_i16_e64 vcc_lo, 0, v168
	; wave barrier
	s_delay_alu instid0(VALU_DEP_1) | instskip(NEXT) | instid1(VALU_DEP_1)
	v_cndmask_b32_e64 v61, 0x7fff, 0, vcc_lo
	v_xor_b32_e32 v168, v61, v168
	s_delay_alu instid0(VALU_DEP_1) | instskip(SKIP_1) | instid1(VALU_DEP_1)
	v_cmp_ne_u16_e64 vcc_lo, 0x8000, v168
	v_cndmask_b32_e32 v61, 0x7fff, v168, vcc_lo
	v_and_b32_e32 v61, 0xffff, v61
	s_delay_alu instid0(VALU_DEP_1) | instskip(NEXT) | instid1(VALU_DEP_1)
	v_lshrrev_b32_e32 v61, s48, v61
	v_bitop3_b32 v172, v61, 1, s52 bitop3:0x80
	v_and_b32_e32 v175, s52, v61
	s_delay_alu instid0(VALU_DEP_2) | instskip(NEXT) | instid1(VALU_DEP_1)
	v_add_co_u32 v61, s15, v172, -1
	v_cndmask_b32_e64 v172, 0, 1, s15
	s_delay_alu instid0(VALU_DEP_3) | instskip(NEXT) | instid1(VALU_DEP_2)
	v_lshlrev_b32_e32 v173, 30, v175
	v_cmp_ne_u32_e32 vcc_lo, 0, v172
	s_delay_alu instid0(VALU_DEP_2) | instskip(NEXT) | instid1(VALU_DEP_1)
	v_not_b32_e32 v172, v173
	v_dual_ashrrev_i32 v172, 31, v172 :: v_dual_lshlrev_b32 v174, 29, v175
	v_dual_lshlrev_b32 v176, 28, v175 :: v_dual_lshlrev_b32 v177, 27, v175
	v_lshlrev_b32_e32 v178, 26, v175
	v_cmp_gt_i32_e64 s15, 0, v173
	s_delay_alu instid0(VALU_DEP_4)
	v_cmp_gt_i32_e64 s16, 0, v174
	v_not_b32_e32 v173, v174
	v_not_b32_e32 v174, v176
	v_dual_lshlrev_b32 v179, 25, v175 :: v_dual_lshlrev_b32 v180, 24, v175
	v_cmp_gt_i32_e64 s17, 0, v176
	v_cmp_gt_i32_e64 s18, 0, v177
	v_not_b32_e32 v176, v177
	v_not_b32_e32 v177, v178
	v_dual_ashrrev_i32 v174, 31, v174 :: v_dual_bitop2_b32 v61, vcc_lo, v61 bitop3:0x14
	v_dual_ashrrev_i32 v173, 31, v173 :: v_dual_bitop2_b32 v172, s15, v172 bitop3:0x14
	v_cmp_gt_i32_e64 s19, 0, v178
	v_cmp_gt_i32_e64 s20, 0, v179
	v_not_b32_e32 v178, v179
	v_not_b32_e32 v179, v180
	v_dual_ashrrev_i32 v176, 31, v176 :: v_dual_ashrrev_i32 v177, 31, v177
	v_xor_b32_e32 v173, s16, v173
	v_xor_b32_e32 v174, s17, v174
	v_bitop3_b32 v61, v61, v172, exec_lo bitop3:0x80
	v_cmp_gt_i32_e64 s21, 0, v180
	v_dual_ashrrev_i32 v172, 31, v178 :: v_dual_ashrrev_i32 v178, 31, v179
	v_xor_b32_e32 v176, s18, v176
	v_xor_b32_e32 v177, s19, v177
	v_bitop3_b32 v61, v61, v174, v173 bitop3:0x80
	v_mad_u32_u24 v173, v175, 36, v23
	v_xor_b32_e32 v172, s20, v172
	v_xor_b32_e32 v174, s21, v178
	s_delay_alu instid0(VALU_DEP_4) | instskip(SKIP_3) | instid1(VALU_DEP_2)
	v_bitop3_b32 v61, v61, v177, v176 bitop3:0x80
	ds_load_b32 v173, v173 offset:1056
	; wave barrier
	v_bitop3_b32 v61, v61, v174, v172 bitop3:0x80
	v_mul_u32_u24_e32 v172, 36, v175
	v_mbcnt_lo_u32_b32 v174, v61, 0
	v_cmp_ne_u32_e64 s15, 0, v61
	s_delay_alu instid0(VALU_DEP_3) | instskip(NEXT) | instid1(VALU_DEP_3)
	v_add_nc_u32_e32 v175, v23, v172
	v_cmp_eq_u32_e32 vcc_lo, 0, v174
	s_and_b32 s16, s15, vcc_lo
	s_delay_alu instid0(SALU_CYCLE_1)
	s_and_saveexec_b32 s15, s16
	s_cbranch_execz .LBB1759_155
; %bb.154:                              ;   in Loop: Header=BB1759_101 Depth=2
	s_wait_dscnt 0x0
	v_bcnt_u32_b32 v61, v61, v173
	ds_store_b32 v175, v61 offset:1056
.LBB1759_155:                           ;   in Loop: Header=BB1759_101 Depth=2
	s_or_b32 exec_lo, exec_lo, s15
	v_cmp_gt_i16_e32 vcc_lo, 0, v67
	; wave barrier
	v_cndmask_b32_e64 v61, 0x7fff, 0, vcc_lo
	s_delay_alu instid0(VALU_DEP_1) | instskip(NEXT) | instid1(VALU_DEP_1)
	v_xor_b32_e32 v172, v61, v67
	v_cmp_ne_u16_e64 vcc_lo, 0x8000, v172
	v_cndmask_b32_e32 v61, 0x7fff, v172, vcc_lo
	s_delay_alu instid0(VALU_DEP_1) | instskip(NEXT) | instid1(VALU_DEP_1)
	v_and_b32_e32 v61, 0xffff, v61
	v_lshrrev_b32_e32 v61, s48, v61
	s_delay_alu instid0(VALU_DEP_1) | instskip(SKIP_1) | instid1(VALU_DEP_2)
	v_bitop3_b32 v67, v61, 1, s52 bitop3:0x80
	v_and_b32_e32 v176, s52, v61
	v_add_co_u32 v61, s15, v67, -1
	s_delay_alu instid0(VALU_DEP_1) | instskip(NEXT) | instid1(VALU_DEP_3)
	v_cndmask_b32_e64 v67, 0, 1, s15
	v_lshlrev_b32_e32 v177, 30, v176
	s_delay_alu instid0(VALU_DEP_2) | instskip(NEXT) | instid1(VALU_DEP_2)
	v_cmp_ne_u32_e32 vcc_lo, 0, v67
	v_not_b32_e32 v67, v177
	s_delay_alu instid0(VALU_DEP_1) | instskip(SKIP_4) | instid1(VALU_DEP_4)
	v_dual_ashrrev_i32 v67, 31, v67 :: v_dual_bitop2_b32 v61, vcc_lo, v61 bitop3:0x14
	v_dual_lshlrev_b32 v178, 29, v176 :: v_dual_lshlrev_b32 v179, 28, v176
	v_dual_lshlrev_b32 v180, 27, v176 :: v_dual_lshlrev_b32 v181, 26, v176
	v_lshlrev_b32_e32 v182, 25, v176
	v_cmp_gt_i32_e64 s15, 0, v177
	v_cmp_gt_i32_e64 s16, 0, v178
	v_not_b32_e32 v177, v178
	v_not_b32_e32 v178, v179
	v_lshlrev_b32_e32 v183, 24, v176
	v_cmp_gt_i32_e64 s17, 0, v179
	v_cmp_gt_i32_e64 s18, 0, v180
	v_not_b32_e32 v179, v180
	v_not_b32_e32 v180, v181
	v_dual_ashrrev_i32 v177, 31, v177 :: v_dual_bitop2_b32 v67, s15, v67 bitop3:0x14
	v_ashrrev_i32_e32 v178, 31, v178
	v_cmp_gt_i32_e64 s19, 0, v181
	v_cmp_gt_i32_e64 s20, 0, v182
	v_not_b32_e32 v181, v182
	v_not_b32_e32 v182, v183
	v_dual_ashrrev_i32 v179, 31, v179 :: v_dual_ashrrev_i32 v180, 31, v180
	v_xor_b32_e32 v177, s16, v177
	v_xor_b32_e32 v178, s17, v178
	v_bitop3_b32 v61, v61, v67, exec_lo bitop3:0x80
	v_cmp_gt_i32_e64 s21, 0, v183
	v_dual_ashrrev_i32 v67, 31, v181 :: v_dual_ashrrev_i32 v181, 31, v182
	v_xor_b32_e32 v179, s18, v179
	v_xor_b32_e32 v180, s19, v180
	v_bitop3_b32 v61, v61, v178, v177 bitop3:0x80
	v_mad_u32_u24 v177, v176, 36, v23
	v_xor_b32_e32 v67, s20, v67
	v_xor_b32_e32 v178, s21, v181
	s_delay_alu instid0(VALU_DEP_4) | instskip(SKIP_3) | instid1(VALU_DEP_2)
	v_bitop3_b32 v61, v61, v180, v179 bitop3:0x80
	ds_load_b32 v177, v177 offset:1056
	; wave barrier
	v_bitop3_b32 v61, v61, v178, v67 bitop3:0x80
	v_mul_u32_u24_e32 v67, 36, v176
	v_mbcnt_lo_u32_b32 v178, v61, 0
	v_cmp_ne_u32_e64 s15, 0, v61
	s_delay_alu instid0(VALU_DEP_3) | instskip(NEXT) | instid1(VALU_DEP_3)
	v_add_nc_u32_e32 v179, v23, v67
	v_cmp_eq_u32_e32 vcc_lo, 0, v178
	s_and_b32 s16, s15, vcc_lo
	s_delay_alu instid0(SALU_CYCLE_1)
	s_and_saveexec_b32 s15, s16
	s_cbranch_execz .LBB1759_157
; %bb.156:                              ;   in Loop: Header=BB1759_101 Depth=2
	s_wait_dscnt 0x0
	v_bcnt_u32_b32 v61, v61, v177
	ds_store_b32 v179, v61 offset:1056
.LBB1759_157:                           ;   in Loop: Header=BB1759_101 Depth=2
	s_or_b32 exec_lo, exec_lo, s15
	v_cmp_gt_i16_e32 vcc_lo, 0, v66
	; wave barrier
	v_cndmask_b32_e64 v61, 0x7fff, 0, vcc_lo
	s_delay_alu instid0(VALU_DEP_1) | instskip(NEXT) | instid1(VALU_DEP_1)
	v_xor_b32_e32 v176, v61, v66
	v_cmp_ne_u16_e64 vcc_lo, 0x8000, v176
	v_cndmask_b32_e32 v61, 0x7fff, v176, vcc_lo
	s_delay_alu instid0(VALU_DEP_1) | instskip(NEXT) | instid1(VALU_DEP_1)
	v_and_b32_e32 v61, 0xffff, v61
	v_lshrrev_b32_e32 v61, s48, v61
	s_delay_alu instid0(VALU_DEP_1) | instskip(SKIP_1) | instid1(VALU_DEP_2)
	v_bitop3_b32 v66, v61, 1, s52 bitop3:0x80
	v_and_b32_e32 v67, s52, v61
	v_add_co_u32 v61, s15, v66, -1
	s_delay_alu instid0(VALU_DEP_1) | instskip(NEXT) | instid1(VALU_DEP_3)
	v_cndmask_b32_e64 v66, 0, 1, s15
	v_lshlrev_b32_e32 v180, 30, v67
	s_delay_alu instid0(VALU_DEP_2) | instskip(NEXT) | instid1(VALU_DEP_2)
	v_cmp_ne_u32_e32 vcc_lo, 0, v66
	v_not_b32_e32 v66, v180
	v_cmp_gt_i32_e64 s15, 0, v180
	s_delay_alu instid0(VALU_DEP_2) | instskip(SKIP_3) | instid1(VALU_DEP_4)
	v_dual_ashrrev_i32 v66, 31, v66 :: v_dual_lshlrev_b32 v181, 29, v67
	v_dual_lshlrev_b32 v182, 28, v67 :: v_dual_lshlrev_b32 v183, 27, v67
	v_dual_lshlrev_b32 v184, 26, v67 :: v_dual_lshlrev_b32 v185, 25, v67
	v_lshlrev_b32_e32 v186, 24, v67
	v_cmp_gt_i32_e64 s16, 0, v181
	v_not_b32_e32 v180, v181
	v_not_b32_e32 v181, v182
	v_cmp_gt_i32_e64 s17, 0, v182
	v_cmp_gt_i32_e64 s18, 0, v183
	v_not_b32_e32 v182, v183
	v_not_b32_e32 v183, v184
	v_dual_ashrrev_i32 v180, 31, v180 :: v_dual_bitop2_b32 v61, vcc_lo, v61 bitop3:0x14
	v_dual_ashrrev_i32 v181, 31, v181 :: v_dual_bitop2_b32 v66, s15, v66 bitop3:0x14
	v_cmp_gt_i32_e64 s19, 0, v184
	v_cmp_gt_i32_e64 s20, 0, v185
	v_not_b32_e32 v184, v185
	v_not_b32_e32 v185, v186
	v_dual_ashrrev_i32 v182, 31, v182 :: v_dual_ashrrev_i32 v183, 31, v183
	v_xor_b32_e32 v180, s16, v180
	v_xor_b32_e32 v181, s17, v181
	v_bitop3_b32 v61, v61, v66, exec_lo bitop3:0x80
	v_cmp_gt_i32_e64 s21, 0, v186
	v_dual_ashrrev_i32 v66, 31, v184 :: v_dual_ashrrev_i32 v184, 31, v185
	v_xor_b32_e32 v182, s18, v182
	v_xor_b32_e32 v183, s19, v183
	v_bitop3_b32 v61, v61, v181, v180 bitop3:0x80
	v_mad_u32_u24 v180, v67, 36, v23
	v_xor_b32_e32 v66, s20, v66
	v_xor_b32_e32 v184, s21, v184
	s_delay_alu instid0(VALU_DEP_4) | instskip(SKIP_3) | instid1(VALU_DEP_2)
	v_bitop3_b32 v61, v61, v183, v182 bitop3:0x80
	ds_load_b32 v181, v180 offset:1056
	; wave barrier
	v_bitop3_b32 v61, v61, v184, v66 bitop3:0x80
	v_mul_u32_u24_e32 v66, 36, v67
	v_mbcnt_lo_u32_b32 v182, v61, 0
	v_cmp_ne_u32_e64 s15, 0, v61
	s_delay_alu instid0(VALU_DEP_3) | instskip(NEXT) | instid1(VALU_DEP_3)
	v_add_nc_u32_e32 v183, v23, v66
	v_cmp_eq_u32_e32 vcc_lo, 0, v182
	s_and_b32 s16, s15, vcc_lo
	s_delay_alu instid0(SALU_CYCLE_1)
	s_and_saveexec_b32 s15, s16
	s_cbranch_execz .LBB1759_159
; %bb.158:                              ;   in Loop: Header=BB1759_101 Depth=2
	s_wait_dscnt 0x0
	v_bcnt_u32_b32 v61, v61, v181
	ds_store_b32 v183, v61 offset:1056
.LBB1759_159:                           ;   in Loop: Header=BB1759_101 Depth=2
	s_or_b32 exec_lo, exec_lo, s15
	v_cmp_gt_i16_e32 vcc_lo, 0, v65
	; wave barrier
	v_cndmask_b32_e64 v61, 0x7fff, 0, vcc_lo
	s_delay_alu instid0(VALU_DEP_1) | instskip(NEXT) | instid1(VALU_DEP_1)
	v_xor_b32_e32 v180, v61, v65
	v_cmp_ne_u16_e64 vcc_lo, 0x8000, v180
	v_cndmask_b32_e32 v61, 0x7fff, v180, vcc_lo
	s_delay_alu instid0(VALU_DEP_1) | instskip(NEXT) | instid1(VALU_DEP_1)
	v_and_b32_e32 v61, 0xffff, v61
	v_lshrrev_b32_e32 v61, s48, v61
	s_delay_alu instid0(VALU_DEP_1) | instskip(NEXT) | instid1(VALU_DEP_1)
	v_and_b32_e32 v66, s52, v61
	v_lshlrev_b32_e32 v185, 28, v66
	v_bitop3_b32 v65, v61, 1, s52 bitop3:0x80
	v_dual_lshlrev_b32 v67, 30, v66 :: v_dual_lshlrev_b32 v184, 29, v66
	s_delay_alu instid0(VALU_DEP_3) | instskip(NEXT) | instid1(VALU_DEP_3)
	v_cmp_gt_i32_e64 s17, 0, v185
	v_add_co_u32 v61, s15, v65, -1
	s_delay_alu instid0(VALU_DEP_1) | instskip(NEXT) | instid1(VALU_DEP_4)
	v_cndmask_b32_e64 v65, 0, 1, s15
	v_cmp_gt_i32_e64 s15, 0, v67
	v_cmp_gt_i32_e64 s16, 0, v184
	s_delay_alu instid0(VALU_DEP_3) | instskip(SKIP_3) | instid1(VALU_DEP_2)
	v_cmp_ne_u32_e32 vcc_lo, 0, v65
	v_not_b32_e32 v65, v67
	v_not_b32_e32 v67, v184
	;; [unrolled: 1-line block ×3, first 2 shown]
	v_dual_ashrrev_i32 v65, 31, v65 :: v_dual_ashrrev_i32 v67, 31, v67
	v_dual_lshlrev_b32 v186, 27, v66 :: v_dual_lshlrev_b32 v187, 26, v66
	v_dual_lshlrev_b32 v188, 25, v66 :: v_dual_lshlrev_b32 v189, 24, v66
	s_delay_alu instid0(VALU_DEP_4) | instskip(NEXT) | instid1(VALU_DEP_3)
	v_ashrrev_i32_e32 v184, 31, v184
	v_cmp_gt_i32_e64 s18, 0, v186
	v_not_b32_e32 v185, v186
	v_cmp_gt_i32_e64 s19, 0, v187
	v_not_b32_e32 v186, v187
	;; [unrolled: 2-line block ×3, first 2 shown]
	v_not_b32_e32 v188, v189
	s_delay_alu instid0(VALU_DEP_4) | instskip(SKIP_4) | instid1(VALU_DEP_4)
	v_dual_ashrrev_i32 v186, 31, v186 :: v_dual_bitop2_b32 v61, vcc_lo, v61 bitop3:0x14
	v_xor_b32_e32 v65, s15, v65
	v_dual_ashrrev_i32 v185, 31, v185 :: v_dual_bitop2_b32 v67, s16, v67 bitop3:0x14
	v_xor_b32_e32 v184, s17, v184
	v_cmp_gt_i32_e64 s21, 0, v189
	v_bitop3_b32 v61, v61, v65, exec_lo bitop3:0x80
	v_dual_ashrrev_i32 v65, 31, v187 :: v_dual_ashrrev_i32 v187, 31, v188
	v_xor_b32_e32 v185, s18, v185
	v_xor_b32_e32 v186, s19, v186
	s_delay_alu instid0(VALU_DEP_4) | instskip(SKIP_3) | instid1(VALU_DEP_4)
	v_bitop3_b32 v61, v61, v184, v67 bitop3:0x80
	v_mad_u32_u24 v67, v66, 36, v23
	v_xor_b32_e32 v65, s20, v65
	v_xor_b32_e32 v184, s21, v187
	v_bitop3_b32 v61, v61, v186, v185 bitop3:0x80
	ds_load_b32 v185, v67 offset:1056
	; wave barrier
	v_bitop3_b32 v61, v61, v184, v65 bitop3:0x80
	v_mul_u32_u24_e32 v65, 36, v66
	s_delay_alu instid0(VALU_DEP_2) | instskip(SKIP_1) | instid1(VALU_DEP_3)
	v_mbcnt_lo_u32_b32 v186, v61, 0
	v_cmp_ne_u32_e64 s15, 0, v61
	v_add_nc_u32_e32 v187, v23, v65
	s_delay_alu instid0(VALU_DEP_3) | instskip(SKIP_1) | instid1(SALU_CYCLE_1)
	v_cmp_eq_u32_e32 vcc_lo, 0, v186
	s_and_b32 s16, s15, vcc_lo
	s_and_saveexec_b32 s15, s16
	s_cbranch_execz .LBB1759_161
; %bb.160:                              ;   in Loop: Header=BB1759_101 Depth=2
	s_wait_dscnt 0x0
	v_bcnt_u32_b32 v61, v61, v185
	ds_store_b32 v187, v61 offset:1056
.LBB1759_161:                           ;   in Loop: Header=BB1759_101 Depth=2
	s_or_b32 exec_lo, exec_lo, s15
	v_cmp_gt_i16_e32 vcc_lo, 0, v64
	; wave barrier
	v_cndmask_b32_e64 v61, 0x7fff, 0, vcc_lo
	s_delay_alu instid0(VALU_DEP_1) | instskip(NEXT) | instid1(VALU_DEP_1)
	v_xor_b32_e32 v184, v61, v64
	v_cmp_ne_u16_e64 vcc_lo, 0x8000, v184
	v_cndmask_b32_e32 v61, 0x7fff, v184, vcc_lo
	s_delay_alu instid0(VALU_DEP_1) | instskip(NEXT) | instid1(VALU_DEP_1)
	v_and_b32_e32 v61, 0xffff, v61
	v_lshrrev_b32_e32 v61, s48, v61
	s_delay_alu instid0(VALU_DEP_1) | instskip(SKIP_1) | instid1(VALU_DEP_2)
	v_bitop3_b32 v64, v61, 1, s52 bitop3:0x80
	v_and_b32_e32 v65, s52, v61
	v_add_co_u32 v61, s15, v64, -1
	s_delay_alu instid0(VALU_DEP_1) | instskip(NEXT) | instid1(VALU_DEP_3)
	v_cndmask_b32_e64 v64, 0, 1, s15
	v_lshlrev_b32_e32 v66, 30, v65
	s_delay_alu instid0(VALU_DEP_2) | instskip(NEXT) | instid1(VALU_DEP_2)
	v_cmp_ne_u32_e32 vcc_lo, 0, v64
	v_not_b32_e32 v64, v66
	v_cmp_gt_i32_e64 s15, 0, v66
	s_delay_alu instid0(VALU_DEP_2) | instskip(SKIP_3) | instid1(VALU_DEP_4)
	v_dual_ashrrev_i32 v64, 31, v64 :: v_dual_lshlrev_b32 v67, 29, v65
	v_dual_lshlrev_b32 v188, 28, v65 :: v_dual_lshlrev_b32 v189, 27, v65
	v_dual_lshlrev_b32 v190, 26, v65 :: v_dual_lshlrev_b32 v191, 25, v65
	v_lshlrev_b32_e32 v192, 24, v65
	v_cmp_gt_i32_e64 s16, 0, v67
	v_not_b32_e32 v66, v67
	v_not_b32_e32 v67, v188
	v_cmp_gt_i32_e64 s17, 0, v188
	v_cmp_gt_i32_e64 s18, 0, v189
	v_not_b32_e32 v188, v189
	v_not_b32_e32 v189, v190
	v_dual_ashrrev_i32 v66, 31, v66 :: v_dual_bitop2_b32 v61, vcc_lo, v61 bitop3:0x14
	v_dual_ashrrev_i32 v67, 31, v67 :: v_dual_bitop2_b32 v64, s15, v64 bitop3:0x14
	v_cmp_gt_i32_e64 s19, 0, v190
	v_cmp_gt_i32_e64 s20, 0, v191
	v_not_b32_e32 v190, v191
	v_not_b32_e32 v191, v192
	v_dual_ashrrev_i32 v188, 31, v188 :: v_dual_ashrrev_i32 v189, 31, v189
	v_xor_b32_e32 v66, s16, v66
	v_xor_b32_e32 v67, s17, v67
	v_bitop3_b32 v61, v61, v64, exec_lo bitop3:0x80
	v_cmp_gt_i32_e64 s21, 0, v192
	v_dual_ashrrev_i32 v64, 31, v190 :: v_dual_ashrrev_i32 v190, 31, v191
	v_xor_b32_e32 v188, s18, v188
	v_xor_b32_e32 v189, s19, v189
	v_bitop3_b32 v61, v61, v67, v66 bitop3:0x80
	v_mad_u32_u24 v66, v65, 36, v23
	v_xor_b32_e32 v64, s20, v64
	v_xor_b32_e32 v67, s21, v190
	s_delay_alu instid0(VALU_DEP_4) | instskip(SKIP_3) | instid1(VALU_DEP_2)
	v_bitop3_b32 v61, v61, v189, v188 bitop3:0x80
	ds_load_b32 v189, v66 offset:1056
	; wave barrier
	v_bitop3_b32 v61, v61, v67, v64 bitop3:0x80
	v_mul_u32_u24_e32 v64, 36, v65
	v_mbcnt_lo_u32_b32 v190, v61, 0
	v_cmp_ne_u32_e64 s15, 0, v61
	s_delay_alu instid0(VALU_DEP_3) | instskip(NEXT) | instid1(VALU_DEP_3)
	v_add_nc_u32_e32 v191, v23, v64
	v_cmp_eq_u32_e32 vcc_lo, 0, v190
	s_and_b32 s16, s15, vcc_lo
	s_delay_alu instid0(SALU_CYCLE_1)
	s_and_saveexec_b32 s15, s16
	s_cbranch_execz .LBB1759_163
; %bb.162:                              ;   in Loop: Header=BB1759_101 Depth=2
	s_wait_dscnt 0x0
	v_bcnt_u32_b32 v61, v61, v189
	ds_store_b32 v191, v61 offset:1056
.LBB1759_163:                           ;   in Loop: Header=BB1759_101 Depth=2
	s_or_b32 exec_lo, exec_lo, s15
	v_cmp_gt_i16_e32 vcc_lo, 0, v63
	; wave barrier
	v_cndmask_b32_e64 v61, 0x7fff, 0, vcc_lo
	s_delay_alu instid0(VALU_DEP_1) | instskip(NEXT) | instid1(VALU_DEP_1)
	v_xor_b32_e32 v188, v61, v63
	v_cmp_ne_u16_e64 vcc_lo, 0x8000, v188
	v_cndmask_b32_e32 v61, 0x7fff, v188, vcc_lo
	s_delay_alu instid0(VALU_DEP_1) | instskip(NEXT) | instid1(VALU_DEP_1)
	v_and_b32_e32 v61, 0xffff, v61
	v_lshrrev_b32_e32 v61, s48, v61
	s_delay_alu instid0(VALU_DEP_1) | instskip(SKIP_1) | instid1(VALU_DEP_2)
	v_bitop3_b32 v63, v61, 1, s52 bitop3:0x80
	v_and_b32_e32 v64, s52, v61
	v_add_co_u32 v61, s15, v63, -1
	s_delay_alu instid0(VALU_DEP_1) | instskip(NEXT) | instid1(VALU_DEP_3)
	v_cndmask_b32_e64 v63, 0, 1, s15
	v_lshlrev_b32_e32 v65, 30, v64
	s_delay_alu instid0(VALU_DEP_2) | instskip(NEXT) | instid1(VALU_DEP_2)
	v_cmp_ne_u32_e32 vcc_lo, 0, v63
	v_not_b32_e32 v63, v65
	s_delay_alu instid0(VALU_DEP_1) | instskip(SKIP_4) | instid1(VALU_DEP_4)
	v_dual_ashrrev_i32 v63, 31, v63 :: v_dual_bitop2_b32 v61, vcc_lo, v61 bitop3:0x14
	v_dual_lshlrev_b32 v66, 29, v64 :: v_dual_lshlrev_b32 v67, 28, v64
	v_dual_lshlrev_b32 v192, 27, v64 :: v_dual_lshlrev_b32 v193, 26, v64
	v_lshlrev_b32_e32 v194, 25, v64
	v_cmp_gt_i32_e64 s15, 0, v65
	v_cmp_gt_i32_e64 s16, 0, v66
	v_not_b32_e32 v65, v66
	v_not_b32_e32 v66, v67
	v_lshlrev_b32_e32 v195, 24, v64
	v_cmp_gt_i32_e64 s17, 0, v67
	v_cmp_gt_i32_e64 s18, 0, v192
	v_not_b32_e32 v67, v192
	v_not_b32_e32 v192, v193
	v_dual_ashrrev_i32 v65, 31, v65 :: v_dual_bitop2_b32 v63, s15, v63 bitop3:0x14
	v_ashrrev_i32_e32 v66, 31, v66
	v_cmp_gt_i32_e64 s19, 0, v193
	v_cmp_gt_i32_e64 s20, 0, v194
	v_not_b32_e32 v193, v194
	v_not_b32_e32 v194, v195
	v_dual_ashrrev_i32 v67, 31, v67 :: v_dual_ashrrev_i32 v192, 31, v192
	v_xor_b32_e32 v65, s16, v65
	v_xor_b32_e32 v66, s17, v66
	v_bitop3_b32 v61, v61, v63, exec_lo bitop3:0x80
	v_cmp_gt_i32_e64 s21, 0, v195
	v_dual_ashrrev_i32 v63, 31, v193 :: v_dual_ashrrev_i32 v193, 31, v194
	v_xor_b32_e32 v67, s18, v67
	v_xor_b32_e32 v192, s19, v192
	v_bitop3_b32 v61, v61, v66, v65 bitop3:0x80
	v_mad_u32_u24 v65, v64, 36, v23
	v_xor_b32_e32 v63, s20, v63
	v_xor_b32_e32 v66, s21, v193
	s_delay_alu instid0(VALU_DEP_4) | instskip(SKIP_3) | instid1(VALU_DEP_2)
	v_bitop3_b32 v61, v61, v192, v67 bitop3:0x80
	ds_load_b32 v193, v65 offset:1056
	; wave barrier
	v_bitop3_b32 v61, v61, v66, v63 bitop3:0x80
	v_mul_u32_u24_e32 v63, 36, v64
	v_mbcnt_lo_u32_b32 v194, v61, 0
	v_cmp_ne_u32_e64 s15, 0, v61
	s_delay_alu instid0(VALU_DEP_3) | instskip(NEXT) | instid1(VALU_DEP_3)
	v_add_nc_u32_e32 v195, v23, v63
	v_cmp_eq_u32_e32 vcc_lo, 0, v194
	s_and_b32 s16, s15, vcc_lo
	s_delay_alu instid0(SALU_CYCLE_1)
	s_and_saveexec_b32 s15, s16
	s_cbranch_execz .LBB1759_165
; %bb.164:                              ;   in Loop: Header=BB1759_101 Depth=2
	s_wait_dscnt 0x0
	v_bcnt_u32_b32 v61, v61, v193
	ds_store_b32 v195, v61 offset:1056
.LBB1759_165:                           ;   in Loop: Header=BB1759_101 Depth=2
	s_or_b32 exec_lo, exec_lo, s15
	v_cmp_gt_i16_e32 vcc_lo, 0, v62
	; wave barrier
	v_cndmask_b32_e64 v61, 0x7fff, 0, vcc_lo
	s_delay_alu instid0(VALU_DEP_1) | instskip(NEXT) | instid1(VALU_DEP_1)
	v_xor_b32_e32 v192, v61, v62
	v_cmp_ne_u16_e64 vcc_lo, 0x8000, v192
	v_cndmask_b32_e32 v61, 0x7fff, v192, vcc_lo
	s_delay_alu instid0(VALU_DEP_1) | instskip(NEXT) | instid1(VALU_DEP_1)
	v_and_b32_e32 v61, 0xffff, v61
	v_lshrrev_b32_e32 v61, s48, v61
	s_delay_alu instid0(VALU_DEP_1) | instskip(SKIP_1) | instid1(VALU_DEP_2)
	v_bitop3_b32 v62, v61, 1, s52 bitop3:0x80
	v_and_b32_e32 v63, s52, v61
	v_add_co_u32 v61, s15, v62, -1
	s_delay_alu instid0(VALU_DEP_1) | instskip(NEXT) | instid1(VALU_DEP_3)
	v_cndmask_b32_e64 v62, 0, 1, s15
	v_lshlrev_b32_e32 v64, 30, v63
	s_delay_alu instid0(VALU_DEP_2) | instskip(NEXT) | instid1(VALU_DEP_2)
	v_cmp_ne_u32_e32 vcc_lo, 0, v62
	v_not_b32_e32 v62, v64
	v_cmp_gt_i32_e64 s15, 0, v64
	s_delay_alu instid0(VALU_DEP_2) | instskip(SKIP_3) | instid1(VALU_DEP_4)
	v_dual_ashrrev_i32 v62, 31, v62 :: v_dual_lshlrev_b32 v65, 29, v63
	v_dual_lshlrev_b32 v66, 28, v63 :: v_dual_lshlrev_b32 v67, 27, v63
	v_dual_lshlrev_b32 v196, 26, v63 :: v_dual_lshlrev_b32 v197, 25, v63
	v_lshlrev_b32_e32 v198, 24, v63
	v_cmp_gt_i32_e64 s16, 0, v65
	v_not_b32_e32 v64, v65
	v_not_b32_e32 v65, v66
	v_cmp_gt_i32_e64 s17, 0, v66
	v_cmp_gt_i32_e64 s18, 0, v67
	v_not_b32_e32 v66, v67
	v_not_b32_e32 v67, v196
	v_dual_ashrrev_i32 v64, 31, v64 :: v_dual_bitop2_b32 v61, vcc_lo, v61 bitop3:0x14
	v_dual_ashrrev_i32 v65, 31, v65 :: v_dual_bitop2_b32 v62, s15, v62 bitop3:0x14
	v_cmp_gt_i32_e64 s19, 0, v196
	v_cmp_gt_i32_e64 s20, 0, v197
	v_not_b32_e32 v196, v197
	v_not_b32_e32 v197, v198
	v_dual_ashrrev_i32 v66, 31, v66 :: v_dual_ashrrev_i32 v67, 31, v67
	v_xor_b32_e32 v64, s16, v64
	v_xor_b32_e32 v65, s17, v65
	v_bitop3_b32 v61, v61, v62, exec_lo bitop3:0x80
	v_cmp_gt_i32_e64 s21, 0, v198
	v_dual_ashrrev_i32 v62, 31, v196 :: v_dual_ashrrev_i32 v196, 31, v197
	v_xor_b32_e32 v66, s18, v66
	v_xor_b32_e32 v67, s19, v67
	v_bitop3_b32 v61, v61, v65, v64 bitop3:0x80
	v_mad_u32_u24 v64, v63, 36, v23
	v_xor_b32_e32 v62, s20, v62
	v_xor_b32_e32 v65, s21, v196
	s_delay_alu instid0(VALU_DEP_4) | instskip(SKIP_3) | instid1(VALU_DEP_2)
	v_bitop3_b32 v61, v61, v67, v66 bitop3:0x80
	ds_load_b32 v197, v64 offset:1056
	; wave barrier
	v_bitop3_b32 v61, v61, v65, v62 bitop3:0x80
	v_mul_u32_u24_e32 v62, 36, v63
	v_mbcnt_lo_u32_b32 v198, v61, 0
	v_cmp_ne_u32_e64 s15, 0, v61
	s_delay_alu instid0(VALU_DEP_3) | instskip(NEXT) | instid1(VALU_DEP_3)
	v_add_nc_u32_e32 v199, v23, v62
	v_cmp_eq_u32_e32 vcc_lo, 0, v198
	s_and_b32 s16, s15, vcc_lo
	s_delay_alu instid0(SALU_CYCLE_1)
	s_and_saveexec_b32 s15, s16
	s_cbranch_execz .LBB1759_167
; %bb.166:                              ;   in Loop: Header=BB1759_101 Depth=2
	s_wait_dscnt 0x0
	v_bcnt_u32_b32 v61, v61, v197
	ds_store_b32 v199, v61 offset:1056
.LBB1759_167:                           ;   in Loop: Header=BB1759_101 Depth=2
	s_or_b32 exec_lo, exec_lo, s15
	v_cmp_gt_i16_e32 vcc_lo, 0, v60
	; wave barrier
	v_cndmask_b32_e64 v61, 0x7fff, 0, vcc_lo
	s_delay_alu instid0(VALU_DEP_1) | instskip(NEXT) | instid1(VALU_DEP_1)
	v_xor_b32_e32 v196, v61, v60
	v_cmp_ne_u16_e64 vcc_lo, 0x8000, v196
	v_cndmask_b32_e32 v60, 0x7fff, v196, vcc_lo
	s_delay_alu instid0(VALU_DEP_1) | instskip(NEXT) | instid1(VALU_DEP_1)
	v_and_b32_e32 v60, 0xffff, v60
	v_lshrrev_b32_e32 v60, s48, v60
	s_delay_alu instid0(VALU_DEP_1) | instskip(SKIP_1) | instid1(VALU_DEP_2)
	v_bitop3_b32 v61, v60, 1, s52 bitop3:0x80
	v_and_b32_e32 v62, s52, v60
	v_add_co_u32 v60, s15, v61, -1
	s_delay_alu instid0(VALU_DEP_1) | instskip(NEXT) | instid1(VALU_DEP_3)
	v_cndmask_b32_e64 v61, 0, 1, s15
	v_lshlrev_b32_e32 v63, 30, v62
	s_delay_alu instid0(VALU_DEP_2) | instskip(NEXT) | instid1(VALU_DEP_2)
	v_cmp_ne_u32_e32 vcc_lo, 0, v61
	v_not_b32_e32 v61, v63
	v_cmp_gt_i32_e64 s15, 0, v63
	s_delay_alu instid0(VALU_DEP_2) | instskip(SKIP_3) | instid1(VALU_DEP_4)
	v_dual_ashrrev_i32 v61, 31, v61 :: v_dual_lshlrev_b32 v64, 29, v62
	v_dual_lshlrev_b32 v65, 28, v62 :: v_dual_lshlrev_b32 v66, 27, v62
	v_dual_lshlrev_b32 v67, 26, v62 :: v_dual_lshlrev_b32 v200, 25, v62
	v_lshlrev_b32_e32 v201, 24, v62
	v_cmp_gt_i32_e64 s16, 0, v64
	v_not_b32_e32 v63, v64
	v_not_b32_e32 v64, v65
	v_cmp_gt_i32_e64 s17, 0, v65
	v_cmp_gt_i32_e64 s18, 0, v66
	v_not_b32_e32 v65, v66
	v_not_b32_e32 v66, v67
	v_dual_ashrrev_i32 v63, 31, v63 :: v_dual_bitop2_b32 v60, vcc_lo, v60 bitop3:0x14
	v_dual_ashrrev_i32 v64, 31, v64 :: v_dual_bitop2_b32 v61, s15, v61 bitop3:0x14
	v_cmp_gt_i32_e64 s19, 0, v67
	v_cmp_gt_i32_e64 s20, 0, v200
	v_not_b32_e32 v67, v200
	v_not_b32_e32 v200, v201
	v_dual_ashrrev_i32 v65, 31, v65 :: v_dual_ashrrev_i32 v66, 31, v66
	v_xor_b32_e32 v63, s16, v63
	v_xor_b32_e32 v64, s17, v64
	v_bitop3_b32 v60, v60, v61, exec_lo bitop3:0x80
	v_cmp_gt_i32_e64 s21, 0, v201
	v_dual_ashrrev_i32 v61, 31, v67 :: v_dual_ashrrev_i32 v67, 31, v200
	v_xor_b32_e32 v65, s18, v65
	v_xor_b32_e32 v66, s19, v66
	v_bitop3_b32 v60, v60, v64, v63 bitop3:0x80
	v_mad_u32_u24 v63, v62, 36, v23
	v_xor_b32_e32 v61, s20, v61
	v_xor_b32_e32 v64, s21, v67
	s_delay_alu instid0(VALU_DEP_4) | instskip(SKIP_3) | instid1(VALU_DEP_2)
	v_bitop3_b32 v60, v60, v66, v65 bitop3:0x80
	ds_load_b32 v200, v63 offset:1056
	; wave barrier
	v_bitop3_b32 v60, v60, v64, v61 bitop3:0x80
	v_mul_u32_u24_e32 v61, 36, v62
	v_mbcnt_lo_u32_b32 v201, v60, 0
	v_cmp_ne_u32_e64 s15, 0, v60
	s_delay_alu instid0(VALU_DEP_3) | instskip(NEXT) | instid1(VALU_DEP_3)
	v_add_nc_u32_e32 v202, v23, v61
	v_cmp_eq_u32_e32 vcc_lo, 0, v201
	s_and_b32 s16, s15, vcc_lo
	s_delay_alu instid0(SALU_CYCLE_1)
	s_and_saveexec_b32 s15, s16
	s_cbranch_execz .LBB1759_169
; %bb.168:                              ;   in Loop: Header=BB1759_101 Depth=2
	s_wait_dscnt 0x0
	v_bcnt_u32_b32 v60, v60, v200
	ds_store_b32 v202, v60 offset:1056
.LBB1759_169:                           ;   in Loop: Header=BB1759_101 Depth=2
	s_or_b32 exec_lo, exec_lo, s15
	; wave barrier
	s_wait_dscnt 0x0
	s_barrier_signal -1
	s_barrier_wait -1
	ds_load_2addr_b32 v[66:67], v118 offset1:1
	ds_load_2addr_b32 v[64:65], v119 offset1:1
	;; [unrolled: 1-line block ×4, first 2 shown]
	ds_load_b32 v203, v91 offset:1088
	s_wait_dscnt 0x3
	v_add3_u32 v204, v67, v66, v64
	s_wait_dscnt 0x2
	s_delay_alu instid0(VALU_DEP_1) | instskip(SKIP_1) | instid1(VALU_DEP_1)
	v_add3_u32 v204, v204, v65, v62
	s_wait_dscnt 0x1
	v_add3_u32 v204, v204, v63, v60
	s_wait_dscnt 0x0
	s_delay_alu instid0(VALU_DEP_1) | instskip(NEXT) | instid1(VALU_DEP_1)
	v_add3_u32 v203, v204, v61, v203
	v_mov_b32_dpp v204, v203 row_shr:1 row_mask:0xf bank_mask:0xf
	s_delay_alu instid0(VALU_DEP_1) | instskip(NEXT) | instid1(VALU_DEP_1)
	v_cndmask_b32_e64 v204, v204, 0, s7
	v_add_nc_u32_e32 v203, v204, v203
	s_delay_alu instid0(VALU_DEP_1) | instskip(NEXT) | instid1(VALU_DEP_1)
	v_mov_b32_dpp v204, v203 row_shr:2 row_mask:0xf bank_mask:0xf
	v_cndmask_b32_e64 v204, 0, v204, s8
	s_delay_alu instid0(VALU_DEP_1) | instskip(NEXT) | instid1(VALU_DEP_1)
	v_add_nc_u32_e32 v203, v203, v204
	v_mov_b32_dpp v204, v203 row_shr:4 row_mask:0xf bank_mask:0xf
	s_delay_alu instid0(VALU_DEP_1) | instskip(NEXT) | instid1(VALU_DEP_1)
	v_cndmask_b32_e64 v204, 0, v204, s9
	v_add_nc_u32_e32 v203, v203, v204
	s_delay_alu instid0(VALU_DEP_1) | instskip(NEXT) | instid1(VALU_DEP_1)
	v_mov_b32_dpp v204, v203 row_shr:8 row_mask:0xf bank_mask:0xf
	v_cndmask_b32_e64 v204, 0, v204, s10
	s_delay_alu instid0(VALU_DEP_1) | instskip(SKIP_3) | instid1(VALU_DEP_1)
	v_add_nc_u32_e32 v203, v203, v204
	ds_swizzle_b32 v204, v203 offset:swizzle(BROADCAST,32,15)
	s_wait_dscnt 0x0
	v_cndmask_b32_e64 v204, v204, 0, s11
	v_add_nc_u32_e32 v203, v203, v204
	s_and_saveexec_b32 s15, s1
; %bb.170:                              ;   in Loop: Header=BB1759_101 Depth=2
	ds_store_b32 v84, v203 offset:1024
; %bb.171:                              ;   in Loop: Header=BB1759_101 Depth=2
	s_or_b32 exec_lo, exec_lo, s15
	s_wait_dscnt 0x0
	s_barrier_signal -1
	s_barrier_wait -1
	s_and_saveexec_b32 s15, s4
	s_cbranch_execz .LBB1759_173
; %bb.172:                              ;   in Loop: Header=BB1759_101 Depth=2
	ds_load_b32 v204, v92 offset:1024
	s_wait_dscnt 0x0
	v_mov_b32_dpp v205, v204 row_shr:1 row_mask:0xf bank_mask:0xf
	s_delay_alu instid0(VALU_DEP_1) | instskip(NEXT) | instid1(VALU_DEP_1)
	v_cndmask_b32_e64 v205, v205, 0, s12
	v_add_nc_u32_e32 v204, v205, v204
	s_delay_alu instid0(VALU_DEP_1) | instskip(NEXT) | instid1(VALU_DEP_1)
	v_mov_b32_dpp v205, v204 row_shr:2 row_mask:0xf bank_mask:0xf
	v_cndmask_b32_e64 v205, 0, v205, s13
	s_delay_alu instid0(VALU_DEP_1) | instskip(NEXT) | instid1(VALU_DEP_1)
	v_add_nc_u32_e32 v204, v204, v205
	v_mov_b32_dpp v205, v204 row_shr:4 row_mask:0xf bank_mask:0xf
	s_delay_alu instid0(VALU_DEP_1) | instskip(NEXT) | instid1(VALU_DEP_1)
	v_cndmask_b32_e64 v205, 0, v205, s14
	v_add_nc_u32_e32 v204, v204, v205
	ds_store_b32 v92, v204 offset:1024
.LBB1759_173:                           ;   in Loop: Header=BB1759_101 Depth=2
	s_or_b32 exec_lo, exec_lo, s15
	v_mov_b32_e32 v204, 0
	s_wait_dscnt 0x0
	s_barrier_signal -1
	s_barrier_wait -1
	s_and_saveexec_b32 s15, s5
; %bb.174:                              ;   in Loop: Header=BB1759_101 Depth=2
	ds_load_b32 v204, v84 offset:1020
; %bb.175:                              ;   in Loop: Header=BB1759_101 Depth=2
	s_or_b32 exec_lo, exec_lo, s15
	s_wait_dscnt 0x0
	v_add_nc_u32_e32 v203, v204, v203
	ds_bpermute_b32 v203, v122, v203
	s_wait_dscnt 0x0
	v_cndmask_b32_e64 v203, v203, v204, s6
	s_delay_alu instid0(VALU_DEP_1) | instskip(NEXT) | instid1(VALU_DEP_1)
	v_cndmask_b32_e64 v203, v203, 0, s2
	v_add_nc_u32_e32 v66, v203, v66
	s_delay_alu instid0(VALU_DEP_1) | instskip(NEXT) | instid1(VALU_DEP_1)
	v_add_nc_u32_e32 v67, v66, v67
	v_add_nc_u32_e32 v64, v67, v64
	s_delay_alu instid0(VALU_DEP_1) | instskip(NEXT) | instid1(VALU_DEP_1)
	v_add_nc_u32_e32 v65, v64, v65
	;; [unrolled: 3-line block ×3, first 2 shown]
	v_add_nc_u32_e32 v60, v63, v60
	s_delay_alu instid0(VALU_DEP_1)
	v_add_nc_u32_e32 v61, v60, v61
	ds_store_2addr_b32 v121, v63, v60 offset1:1
	ds_store_2addr_b32 v118, v203, v66 offset1:1
	;; [unrolled: 1-line block ×4, first 2 shown]
	ds_store_b32 v91, v61 offset:1088
	s_wait_dscnt 0x0
	s_barrier_signal -1
	s_barrier_wait -1
	ds_load_b32 v63, v143 offset:1056
	ds_load_b32 v65, v147 offset:1056
	;; [unrolled: 1-line block ×17, first 2 shown]
	v_mov_b32_e32 v62, 0x1000
	s_and_saveexec_b32 s15, s3
; %bb.176:                              ;   in Loop: Header=BB1759_101 Depth=2
	ds_load_b32 v62, v91 offset:1092
; %bb.177:                              ;   in Loop: Header=BB1759_101 Depth=2
	s_or_b32 exec_lo, exec_lo, s15
	s_wait_dscnt 0x0
	s_barrier_signal -1
	s_barrier_wait -1
	s_and_saveexec_b32 s15, s0
	s_cbranch_execz .LBB1759_179
; %bb.178:                              ;   in Loop: Header=BB1759_101 Depth=2
	ds_load_b32 v155, v3
	s_wait_dscnt 0x0
	v_sub_nc_u32_e32 v151, v155, v151
	ds_store_b32 v3, v151
.LBB1759_179:                           ;   in Loop: Header=BB1759_101 Depth=2
	s_or_b32 exec_lo, exec_lo, s15
	v_add3_u32 v159, v146, v145, v65
	v_add_nc_u32_e32 v163, v63, v142
	v_add3_u32 v155, v150, v149, v66
	v_add3_u32 v151, v154, v153, v67
	;; [unrolled: 1-line block ×4, first 2 shown]
	v_lshlrev_b32_e32 v60, 1, v159
	v_lshlrev_b32_e32 v153, 1, v163
	v_add3_u32 v150, v158, v157, v143
	v_add3_u32 v147, v166, v165, v203
	;; [unrolled: 1-line block ×4, first 2 shown]
	v_lshlrev_b32_e32 v61, 1, v155
	v_add3_u32 v145, v174, v173, v175
	v_lshlrev_b32_e32 v154, 1, v149
	ds_store_b16 v153, v140 offset:1024
	v_lshlrev_b32_e32 v140, 1, v151
	v_add3_u32 v143, v178, v177, v179
	v_lshlrev_b32_e32 v153, 1, v150
	v_add3_u32 v142, v182, v181, v183
	v_add3_u32 v63, v186, v185, v187
	ds_store_b16 v60, v141 offset:1024
	ds_store_b16 v61, v144 offset:1024
	;; [unrolled: 1-line block ×5, first 2 shown]
	v_dual_lshlrev_b32 v60, 1, v147 :: v_dual_lshlrev_b32 v140, 1, v145
	v_lshlrev_b32_e32 v61, 1, v146
	v_add3_u32 v65, v198, v197, v64
	v_dual_lshlrev_b32 v141, 1, v143 :: v_dual_lshlrev_b32 v144, 1, v142
	v_add3_u32 v64, v201, v200, v167
	ds_store_b16 v60, v160 offset:1024
	ds_store_b16 v61, v164 offset:1024
	;; [unrolled: 1-line block ×5, first 2 shown]
	v_dual_lshlrev_b32 v60, 1, v63 :: v_dual_lshlrev_b32 v140, 1, v66
	v_cmp_lt_u32_e32 vcc_lo, v2, v139
	v_dual_lshlrev_b32 v61, 1, v67 :: v_dual_lshlrev_b32 v141, 1, v65
	v_lshlrev_b32_e32 v144, 1, v64
	ds_store_b16 v60, v180 offset:1024
	ds_store_b16 v61, v184 offset:1024
	;; [unrolled: 1-line block ×5, first 2 shown]
	s_wait_dscnt 0x0
	s_barrier_signal -1
	s_barrier_wait -1
	s_and_saveexec_b32 s16, vcc_lo
	s_cbranch_execnz .LBB1759_248
; %bb.180:                              ;   in Loop: Header=BB1759_101 Depth=2
	s_or_b32 exec_lo, exec_lo, s16
	v_cmp_lt_u32_e64 s15, v68, v139
	s_and_saveexec_b32 s17, s15
	s_cbranch_execnz .LBB1759_249
.LBB1759_181:                           ;   in Loop: Header=BB1759_101 Depth=2
	s_or_b32 exec_lo, exec_lo, s17
	v_cmp_lt_u32_e64 s16, v69, v139
	s_and_saveexec_b32 s18, s16
	s_cbranch_execnz .LBB1759_250
.LBB1759_182:                           ;   in Loop: Header=BB1759_101 Depth=2
	s_or_b32 exec_lo, exec_lo, s18
	v_cmp_lt_u32_e64 s17, v70, v139
	s_and_saveexec_b32 s19, s17
	s_cbranch_execnz .LBB1759_251
.LBB1759_183:                           ;   in Loop: Header=BB1759_101 Depth=2
	s_or_b32 exec_lo, exec_lo, s19
	v_cmp_lt_u32_e64 s18, v71, v139
	s_and_saveexec_b32 s20, s18
	s_cbranch_execnz .LBB1759_252
.LBB1759_184:                           ;   in Loop: Header=BB1759_101 Depth=2
	s_or_b32 exec_lo, exec_lo, s20
	v_cmp_lt_u32_e64 s19, v72, v139
	s_and_saveexec_b32 s21, s19
	s_cbranch_execnz .LBB1759_253
.LBB1759_185:                           ;   in Loop: Header=BB1759_101 Depth=2
	s_or_b32 exec_lo, exec_lo, s21
	v_cmp_lt_u32_e64 s20, v73, v139
	s_and_saveexec_b32 s22, s20
	s_cbranch_execnz .LBB1759_254
.LBB1759_186:                           ;   in Loop: Header=BB1759_101 Depth=2
	s_or_b32 exec_lo, exec_lo, s22
	v_cmp_lt_u32_e64 s21, v74, v139
	s_and_saveexec_b32 s23, s21
	s_cbranch_execnz .LBB1759_255
.LBB1759_187:                           ;   in Loop: Header=BB1759_101 Depth=2
	s_or_b32 exec_lo, exec_lo, s23
	v_cmp_lt_u32_e64 s22, v75, v139
	s_and_saveexec_b32 s24, s22
	s_cbranch_execnz .LBB1759_256
.LBB1759_188:                           ;   in Loop: Header=BB1759_101 Depth=2
	s_or_b32 exec_lo, exec_lo, s24
	v_cmp_lt_u32_e64 s23, v76, v139
	s_and_saveexec_b32 s25, s23
	s_cbranch_execnz .LBB1759_257
.LBB1759_189:                           ;   in Loop: Header=BB1759_101 Depth=2
	s_or_b32 exec_lo, exec_lo, s25
	v_cmp_lt_u32_e64 s24, v77, v139
	s_and_saveexec_b32 s26, s24
	s_cbranch_execnz .LBB1759_258
.LBB1759_190:                           ;   in Loop: Header=BB1759_101 Depth=2
	s_or_b32 exec_lo, exec_lo, s26
	v_cmp_lt_u32_e64 s25, v78, v139
	s_and_saveexec_b32 s27, s25
	s_cbranch_execnz .LBB1759_259
.LBB1759_191:                           ;   in Loop: Header=BB1759_101 Depth=2
	s_or_b32 exec_lo, exec_lo, s27
	v_cmp_lt_u32_e64 s26, v79, v139
	s_and_saveexec_b32 s28, s26
	s_cbranch_execnz .LBB1759_260
.LBB1759_192:                           ;   in Loop: Header=BB1759_101 Depth=2
	s_or_b32 exec_lo, exec_lo, s28
	v_cmp_lt_u32_e64 s27, v80, v139
	s_and_saveexec_b32 s29, s27
	s_cbranch_execnz .LBB1759_261
.LBB1759_193:                           ;   in Loop: Header=BB1759_101 Depth=2
	s_or_b32 exec_lo, exec_lo, s29
	v_cmp_lt_u32_e64 s28, v81, v139
	s_and_saveexec_b32 s30, s28
	s_cbranch_execnz .LBB1759_262
.LBB1759_194:                           ;   in Loop: Header=BB1759_101 Depth=2
	s_or_b32 exec_lo, exec_lo, s30
	v_cmp_lt_u32_e64 s29, v82, v139
	s_and_saveexec_b32 s58, s29
	s_cbranch_execz .LBB1759_196
.LBB1759_195:                           ;   in Loop: Header=BB1759_101 Depth=2
	ds_load_u16 v60, v93 offset:8704
	s_wait_dscnt 0x0
	v_cmp_ne_u16_e64 s30, 0x8000, v60
	s_delay_alu instid0(VALU_DEP_1) | instskip(SKIP_1) | instid1(VALU_DEP_2)
	v_cndmask_b32_e64 v61, 0x7fff, v60, s30
	v_cmp_gt_i16_e64 s30, 0, v60
	v_and_b32_e32 v61, 0xffff, v61
	s_delay_alu instid0(VALU_DEP_2) | instskip(NEXT) | instid1(VALU_DEP_1)
	v_cndmask_b32_e64 v140, 0x7fff, 0, s30
	v_dual_lshrrev_b32 v61, s48, v61 :: v_dual_bitop2_b32 v60, v140, v60 bitop3:0x14
	s_delay_alu instid0(VALU_DEP_1) | instskip(NEXT) | instid1(VALU_DEP_1)
	v_and_b32_e32 v61, s52, v61
	v_lshlrev_b32_e32 v61, 2, v61
	ds_load_b32 v61, v61
	s_wait_dscnt 0x0
	v_add_nc_u32_e32 v61, v61, v82
	global_store_b16 v61, v60, s[38:39] scale_offset
.LBB1759_196:                           ;   in Loop: Header=BB1759_101 Depth=2
	s_wait_xcnt 0x0
	s_or_b32 exec_lo, exec_lo, s58
	v_lshl_add_u64 v[60:61], s[42:43], 3, v[24:25]
	v_cmp_lt_u32_e64 s30, v100, v139
	s_and_saveexec_b32 s42, s30
	s_delay_alu instid0(SALU_CYCLE_1)
	s_xor_b32 s30, exec_lo, s42
	s_cbranch_execnz .LBB1759_263
; %bb.197:                              ;   in Loop: Header=BB1759_101 Depth=2
	s_or_b32 exec_lo, exec_lo, s30
	s_delay_alu instid0(SALU_CYCLE_1)
	s_mov_b32 s42, exec_lo
	v_cmpx_lt_u32_e64 v103, v139
	s_cbranch_execnz .LBB1759_264
.LBB1759_198:                           ;   in Loop: Header=BB1759_101 Depth=2
	s_or_b32 exec_lo, exec_lo, s42
	s_delay_alu instid0(SALU_CYCLE_1)
	s_mov_b32 s42, exec_lo
	v_cmpx_lt_u32_e64 v104, v139
	s_cbranch_execnz .LBB1759_265
.LBB1759_199:                           ;   in Loop: Header=BB1759_101 Depth=2
	s_or_b32 exec_lo, exec_lo, s42
	s_delay_alu instid0(SALU_CYCLE_1)
	s_mov_b32 s42, exec_lo
	v_cmpx_lt_u32_e64 v105, v139
	s_cbranch_execnz .LBB1759_266
.LBB1759_200:                           ;   in Loop: Header=BB1759_101 Depth=2
	s_or_b32 exec_lo, exec_lo, s42
	s_delay_alu instid0(SALU_CYCLE_1)
	s_mov_b32 s42, exec_lo
	v_cmpx_lt_u32_e64 v106, v139
	s_cbranch_execnz .LBB1759_267
.LBB1759_201:                           ;   in Loop: Header=BB1759_101 Depth=2
	s_or_b32 exec_lo, exec_lo, s42
	s_delay_alu instid0(SALU_CYCLE_1)
	s_mov_b32 s42, exec_lo
	v_cmpx_lt_u32_e64 v107, v139
	s_cbranch_execnz .LBB1759_268
.LBB1759_202:                           ;   in Loop: Header=BB1759_101 Depth=2
	s_or_b32 exec_lo, exec_lo, s42
	s_delay_alu instid0(SALU_CYCLE_1)
	s_mov_b32 s42, exec_lo
	v_cmpx_lt_u32_e64 v108, v139
	s_cbranch_execnz .LBB1759_269
.LBB1759_203:                           ;   in Loop: Header=BB1759_101 Depth=2
	s_or_b32 exec_lo, exec_lo, s42
	s_delay_alu instid0(SALU_CYCLE_1)
	s_mov_b32 s42, exec_lo
	v_cmpx_lt_u32_e64 v109, v139
	s_cbranch_execnz .LBB1759_270
.LBB1759_204:                           ;   in Loop: Header=BB1759_101 Depth=2
	s_or_b32 exec_lo, exec_lo, s42
	s_delay_alu instid0(SALU_CYCLE_1)
	s_mov_b32 s42, exec_lo
	v_cmpx_lt_u32_e64 v110, v139
	s_cbranch_execnz .LBB1759_271
.LBB1759_205:                           ;   in Loop: Header=BB1759_101 Depth=2
	s_or_b32 exec_lo, exec_lo, s42
	s_delay_alu instid0(SALU_CYCLE_1)
	s_mov_b32 s42, exec_lo
	v_cmpx_lt_u32_e64 v111, v139
	s_cbranch_execnz .LBB1759_272
.LBB1759_206:                           ;   in Loop: Header=BB1759_101 Depth=2
	s_or_b32 exec_lo, exec_lo, s42
	s_delay_alu instid0(SALU_CYCLE_1)
	s_mov_b32 s42, exec_lo
	v_cmpx_lt_u32_e64 v112, v139
	s_cbranch_execnz .LBB1759_273
.LBB1759_207:                           ;   in Loop: Header=BB1759_101 Depth=2
	s_or_b32 exec_lo, exec_lo, s42
	s_delay_alu instid0(SALU_CYCLE_1)
	s_mov_b32 s42, exec_lo
	v_cmpx_lt_u32_e64 v113, v139
	s_cbranch_execnz .LBB1759_274
.LBB1759_208:                           ;   in Loop: Header=BB1759_101 Depth=2
	s_or_b32 exec_lo, exec_lo, s42
	s_delay_alu instid0(SALU_CYCLE_1)
	s_mov_b32 s42, exec_lo
	v_cmpx_lt_u32_e64 v114, v139
	s_cbranch_execnz .LBB1759_275
.LBB1759_209:                           ;   in Loop: Header=BB1759_101 Depth=2
	s_or_b32 exec_lo, exec_lo, s42
	s_delay_alu instid0(SALU_CYCLE_1)
	s_mov_b32 s42, exec_lo
	v_cmpx_lt_u32_e64 v115, v139
	s_cbranch_execnz .LBB1759_276
.LBB1759_210:                           ;   in Loop: Header=BB1759_101 Depth=2
	s_or_b32 exec_lo, exec_lo, s42
	s_delay_alu instid0(SALU_CYCLE_1)
	s_mov_b32 s42, exec_lo
	v_cmpx_lt_u32_e64 v116, v139
	s_cbranch_execnz .LBB1759_277
.LBB1759_211:                           ;   in Loop: Header=BB1759_101 Depth=2
	s_or_b32 exec_lo, exec_lo, s42
	s_delay_alu instid0(SALU_CYCLE_1)
	s_mov_b32 s42, exec_lo
	v_cmpx_lt_u32_e64 v117, v139
	s_cbranch_execnz .LBB1759_278
.LBB1759_212:                           ;   in Loop: Header=BB1759_101 Depth=2
	s_or_b32 exec_lo, exec_lo, s42
	s_and_saveexec_b32 s42, vcc_lo
	s_cbranch_execnz .LBB1759_279
.LBB1759_213:                           ;   in Loop: Header=BB1759_101 Depth=2
	s_or_b32 exec_lo, exec_lo, s42
	s_and_saveexec_b32 s42, s15
	s_cbranch_execnz .LBB1759_280
.LBB1759_214:                           ;   in Loop: Header=BB1759_101 Depth=2
	s_or_b32 exec_lo, exec_lo, s42
	s_and_saveexec_b32 s42, s16
	s_cbranch_execnz .LBB1759_281
.LBB1759_215:                           ;   in Loop: Header=BB1759_101 Depth=2
	s_or_b32 exec_lo, exec_lo, s42
	s_and_saveexec_b32 s42, s17
	s_cbranch_execnz .LBB1759_282
.LBB1759_216:                           ;   in Loop: Header=BB1759_101 Depth=2
	s_or_b32 exec_lo, exec_lo, s42
	s_and_saveexec_b32 s42, s18
	s_cbranch_execnz .LBB1759_283
.LBB1759_217:                           ;   in Loop: Header=BB1759_101 Depth=2
	s_or_b32 exec_lo, exec_lo, s42
	s_and_saveexec_b32 s42, s19
	s_cbranch_execnz .LBB1759_284
.LBB1759_218:                           ;   in Loop: Header=BB1759_101 Depth=2
	s_or_b32 exec_lo, exec_lo, s42
	s_and_saveexec_b32 s42, s20
	s_cbranch_execnz .LBB1759_285
.LBB1759_219:                           ;   in Loop: Header=BB1759_101 Depth=2
	s_or_b32 exec_lo, exec_lo, s42
	s_and_saveexec_b32 s42, s21
	s_cbranch_execnz .LBB1759_286
.LBB1759_220:                           ;   in Loop: Header=BB1759_101 Depth=2
	s_or_b32 exec_lo, exec_lo, s42
	s_and_saveexec_b32 s42, s22
	s_cbranch_execnz .LBB1759_287
.LBB1759_221:                           ;   in Loop: Header=BB1759_101 Depth=2
	s_or_b32 exec_lo, exec_lo, s42
	s_and_saveexec_b32 s42, s23
	s_cbranch_execnz .LBB1759_288
.LBB1759_222:                           ;   in Loop: Header=BB1759_101 Depth=2
	s_or_b32 exec_lo, exec_lo, s42
	s_and_saveexec_b32 s42, s24
	s_cbranch_execnz .LBB1759_289
.LBB1759_223:                           ;   in Loop: Header=BB1759_101 Depth=2
	s_or_b32 exec_lo, exec_lo, s42
	s_and_saveexec_b32 s42, s25
	s_cbranch_execnz .LBB1759_290
.LBB1759_224:                           ;   in Loop: Header=BB1759_101 Depth=2
	s_or_b32 exec_lo, exec_lo, s42
	s_and_saveexec_b32 s42, s26
	s_cbranch_execnz .LBB1759_291
.LBB1759_225:                           ;   in Loop: Header=BB1759_101 Depth=2
	s_or_b32 exec_lo, exec_lo, s42
	s_and_saveexec_b32 s42, s27
	s_cbranch_execnz .LBB1759_292
.LBB1759_226:                           ;   in Loop: Header=BB1759_101 Depth=2
	s_or_b32 exec_lo, exec_lo, s42
	s_and_saveexec_b32 s42, s28
	s_cbranch_execnz .LBB1759_293
.LBB1759_227:                           ;   in Loop: Header=BB1759_101 Depth=2
	s_or_b32 exec_lo, exec_lo, s42
	s_and_saveexec_b32 s42, s29
	s_cbranch_execz .LBB1759_229
.LBB1759_228:                           ;   in Loop: Header=BB1759_101 Depth=2
	ds_load_u16 v60, v93 offset:8704
	s_wait_dscnt 0x0
	v_cmp_ne_u16_e64 s30, 0x8000, v60
	s_delay_alu instid0(VALU_DEP_1) | instskip(NEXT) | instid1(VALU_DEP_1)
	v_cndmask_b32_e64 v60, 0x7fff, v60, s30
	v_and_b32_e32 v60, 0xffff, v60
	s_delay_alu instid0(VALU_DEP_1) | instskip(NEXT) | instid1(VALU_DEP_1)
	v_lshrrev_b32_e32 v60, s48, v60
	v_and_b32_e32 v123, s52, v60
.LBB1759_229:                           ;   in Loop: Header=BB1759_101 Depth=2
	s_or_b32 exec_lo, exec_lo, s42
	v_dual_lshlrev_b32 v60, 3, v163 :: v_dual_lshlrev_b32 v140, 3, v150
	s_wait_loadcnt 0x0
	s_wait_storecnt 0x0
	s_barrier_signal -1
	s_barrier_wait -1
	ds_store_b64 v60, v[58:59] offset:1024
	v_dual_lshlrev_b32 v60, 3, v159 :: v_dual_lshlrev_b32 v141, 3, v149
	v_lshlrev_b32_e32 v61, 3, v155
	v_lshlrev_b32_e32 v139, 3, v151
	ds_store_b64 v60, v[56:57] offset:1024
	ds_store_b64 v61, v[54:55] offset:1024
	;; [unrolled: 1-line block ×5, first 2 shown]
	v_dual_lshlrev_b32 v60, 3, v147 :: v_dual_lshlrev_b32 v141, 3, v142
	v_dual_lshlrev_b32 v61, 3, v146 :: v_dual_lshlrev_b32 v139, 3, v145
	v_lshlrev_b32_e32 v140, 3, v143
	ds_store_b64 v60, v[46:47] offset:1024
	ds_store_b64 v61, v[44:45] offset:1024
	;; [unrolled: 1-line block ×5, first 2 shown]
	v_dual_lshlrev_b32 v60, 3, v63 :: v_dual_lshlrev_b32 v65, 3, v65
	v_dual_lshlrev_b32 v61, 3, v67 :: v_dual_lshlrev_b32 v64, 3, v64
	v_lshlrev_b32_e32 v63, 3, v66
	ds_store_b64 v60, v[36:37] offset:1024
	ds_store_b64 v61, v[34:35] offset:1024
	;; [unrolled: 1-line block ×5, first 2 shown]
	s_wait_dscnt 0x0
	s_barrier_signal -1
	s_barrier_wait -1
	s_and_saveexec_b32 s30, vcc_lo
	s_cbranch_execnz .LBB1759_294
; %bb.230:                              ;   in Loop: Header=BB1759_101 Depth=2
	s_or_b32 exec_lo, exec_lo, s30
	s_and_saveexec_b32 s30, s15
	s_cbranch_execnz .LBB1759_295
.LBB1759_231:                           ;   in Loop: Header=BB1759_101 Depth=2
	s_or_b32 exec_lo, exec_lo, s30
	s_and_saveexec_b32 s15, s16
	s_cbranch_execnz .LBB1759_296
.LBB1759_232:                           ;   in Loop: Header=BB1759_101 Depth=2
	s_or_b32 exec_lo, exec_lo, s15
	s_and_saveexec_b32 s15, s17
	s_cbranch_execnz .LBB1759_297
.LBB1759_233:                           ;   in Loop: Header=BB1759_101 Depth=2
	s_or_b32 exec_lo, exec_lo, s15
	s_and_saveexec_b32 s15, s18
	s_cbranch_execnz .LBB1759_298
.LBB1759_234:                           ;   in Loop: Header=BB1759_101 Depth=2
	s_or_b32 exec_lo, exec_lo, s15
	s_and_saveexec_b32 s15, s19
	s_cbranch_execnz .LBB1759_299
.LBB1759_235:                           ;   in Loop: Header=BB1759_101 Depth=2
	s_or_b32 exec_lo, exec_lo, s15
	s_and_saveexec_b32 s15, s20
	s_cbranch_execnz .LBB1759_300
.LBB1759_236:                           ;   in Loop: Header=BB1759_101 Depth=2
	s_or_b32 exec_lo, exec_lo, s15
	s_and_saveexec_b32 s15, s21
	s_cbranch_execnz .LBB1759_301
.LBB1759_237:                           ;   in Loop: Header=BB1759_101 Depth=2
	s_or_b32 exec_lo, exec_lo, s15
	s_and_saveexec_b32 s15, s22
	s_cbranch_execnz .LBB1759_302
.LBB1759_238:                           ;   in Loop: Header=BB1759_101 Depth=2
	s_or_b32 exec_lo, exec_lo, s15
	s_and_saveexec_b32 s15, s23
	s_cbranch_execnz .LBB1759_303
.LBB1759_239:                           ;   in Loop: Header=BB1759_101 Depth=2
	s_or_b32 exec_lo, exec_lo, s15
	s_and_saveexec_b32 s15, s24
	s_cbranch_execnz .LBB1759_304
.LBB1759_240:                           ;   in Loop: Header=BB1759_101 Depth=2
	s_or_b32 exec_lo, exec_lo, s15
	s_and_saveexec_b32 s15, s25
	s_cbranch_execnz .LBB1759_305
.LBB1759_241:                           ;   in Loop: Header=BB1759_101 Depth=2
	s_or_b32 exec_lo, exec_lo, s15
	s_and_saveexec_b32 s15, s26
	s_cbranch_execnz .LBB1759_306
.LBB1759_242:                           ;   in Loop: Header=BB1759_101 Depth=2
	s_or_b32 exec_lo, exec_lo, s15
	s_and_saveexec_b32 s15, s27
	s_cbranch_execnz .LBB1759_307
.LBB1759_243:                           ;   in Loop: Header=BB1759_101 Depth=2
	s_or_b32 exec_lo, exec_lo, s15
	s_and_saveexec_b32 s15, s28
	s_cbranch_execnz .LBB1759_308
.LBB1759_244:                           ;   in Loop: Header=BB1759_101 Depth=2
	s_or_b32 exec_lo, exec_lo, s15
	s_and_saveexec_b32 s15, s29
	s_cbranch_execz .LBB1759_246
.LBB1759_245:                           ;   in Loop: Header=BB1759_101 Depth=2
	v_dual_lshlrev_b32 v60, 2, v123 :: v_dual_add_nc_u32 v61, v93, v94
	ds_load_b32 v63, v60
	ds_load_b64 v[60:61], v61 offset:31744
	s_wait_dscnt 0x1
	v_add_nc_u32_e32 v63, v63, v82
	s_wait_dscnt 0x0
	global_store_b64 v63, v[60:61], s[44:45] scale_offset
.LBB1759_246:                           ;   in Loop: Header=BB1759_101 Depth=2
	s_wait_xcnt 0x0
	s_or_b32 exec_lo, exec_lo, s15
	s_wait_storecnt 0x0
	s_barrier_signal -1
	s_barrier_wait -1
	s_and_saveexec_b32 s15, s0
	s_cbranch_execz .LBB1759_100
; %bb.247:                              ;   in Loop: Header=BB1759_101 Depth=2
	ds_load_b32 v60, v3
	s_wait_dscnt 0x0
	v_add_nc_u32_e32 v60, v60, v62
	ds_store_b32 v3, v60
	s_branch .LBB1759_100
.LBB1759_248:                           ;   in Loop: Header=BB1759_101 Depth=2
	ds_load_u16 v60, v93 offset:1024
	s_wait_dscnt 0x0
	v_cmp_ne_u16_e64 s15, 0x8000, v60
	s_delay_alu instid0(VALU_DEP_1) | instskip(SKIP_1) | instid1(VALU_DEP_2)
	v_cndmask_b32_e64 v61, 0x7fff, v60, s15
	v_cmp_gt_i16_e64 s15, 0, v60
	v_and_b32_e32 v61, 0xffff, v61
	s_delay_alu instid0(VALU_DEP_2) | instskip(NEXT) | instid1(VALU_DEP_1)
	v_cndmask_b32_e64 v140, 0x7fff, 0, s15
	v_dual_lshrrev_b32 v61, s48, v61 :: v_dual_bitop2_b32 v60, v140, v60 bitop3:0x14
	s_delay_alu instid0(VALU_DEP_1) | instskip(NEXT) | instid1(VALU_DEP_1)
	v_and_b32_e32 v61, s52, v61
	v_lshlrev_b32_e32 v61, 2, v61
	ds_load_b32 v61, v61
	s_wait_dscnt 0x0
	v_add_nc_u32_e32 v61, v61, v2
	global_store_b16 v61, v60, s[38:39] scale_offset
	s_wait_xcnt 0x0
	s_or_b32 exec_lo, exec_lo, s16
	v_cmp_lt_u32_e64 s15, v68, v139
	s_and_saveexec_b32 s17, s15
	s_cbranch_execz .LBB1759_181
.LBB1759_249:                           ;   in Loop: Header=BB1759_101 Depth=2
	ds_load_u16 v60, v93 offset:1536
	s_wait_dscnt 0x0
	v_cmp_ne_u16_e64 s16, 0x8000, v60
	s_delay_alu instid0(VALU_DEP_1) | instskip(SKIP_1) | instid1(VALU_DEP_2)
	v_cndmask_b32_e64 v61, 0x7fff, v60, s16
	v_cmp_gt_i16_e64 s16, 0, v60
	v_and_b32_e32 v61, 0xffff, v61
	s_delay_alu instid0(VALU_DEP_2) | instskip(NEXT) | instid1(VALU_DEP_1)
	v_cndmask_b32_e64 v140, 0x7fff, 0, s16
	v_dual_lshrrev_b32 v61, s48, v61 :: v_dual_bitop2_b32 v60, v140, v60 bitop3:0x14
	s_delay_alu instid0(VALU_DEP_1) | instskip(NEXT) | instid1(VALU_DEP_1)
	v_and_b32_e32 v61, s52, v61
	v_lshlrev_b32_e32 v61, 2, v61
	ds_load_b32 v61, v61
	s_wait_dscnt 0x0
	v_add_nc_u32_e32 v61, v61, v68
	global_store_b16 v61, v60, s[38:39] scale_offset
	s_wait_xcnt 0x0
	s_or_b32 exec_lo, exec_lo, s17
	v_cmp_lt_u32_e64 s16, v69, v139
	s_and_saveexec_b32 s18, s16
	s_cbranch_execz .LBB1759_182
.LBB1759_250:                           ;   in Loop: Header=BB1759_101 Depth=2
	ds_load_u16 v60, v93 offset:2048
	s_wait_dscnt 0x0
	v_cmp_ne_u16_e64 s17, 0x8000, v60
	s_delay_alu instid0(VALU_DEP_1) | instskip(SKIP_1) | instid1(VALU_DEP_2)
	v_cndmask_b32_e64 v61, 0x7fff, v60, s17
	v_cmp_gt_i16_e64 s17, 0, v60
	v_and_b32_e32 v61, 0xffff, v61
	s_delay_alu instid0(VALU_DEP_2) | instskip(NEXT) | instid1(VALU_DEP_1)
	v_cndmask_b32_e64 v140, 0x7fff, 0, s17
	v_dual_lshrrev_b32 v61, s48, v61 :: v_dual_bitop2_b32 v60, v140, v60 bitop3:0x14
	s_delay_alu instid0(VALU_DEP_1) | instskip(NEXT) | instid1(VALU_DEP_1)
	v_and_b32_e32 v61, s52, v61
	v_lshlrev_b32_e32 v61, 2, v61
	ds_load_b32 v61, v61
	s_wait_dscnt 0x0
	v_add_nc_u32_e32 v61, v61, v69
	global_store_b16 v61, v60, s[38:39] scale_offset
	s_wait_xcnt 0x0
	s_or_b32 exec_lo, exec_lo, s18
	v_cmp_lt_u32_e64 s17, v70, v139
	s_and_saveexec_b32 s19, s17
	s_cbranch_execz .LBB1759_183
.LBB1759_251:                           ;   in Loop: Header=BB1759_101 Depth=2
	ds_load_u16 v60, v93 offset:2560
	s_wait_dscnt 0x0
	v_cmp_ne_u16_e64 s18, 0x8000, v60
	s_delay_alu instid0(VALU_DEP_1) | instskip(SKIP_1) | instid1(VALU_DEP_2)
	v_cndmask_b32_e64 v61, 0x7fff, v60, s18
	v_cmp_gt_i16_e64 s18, 0, v60
	v_and_b32_e32 v61, 0xffff, v61
	s_delay_alu instid0(VALU_DEP_2) | instskip(NEXT) | instid1(VALU_DEP_1)
	v_cndmask_b32_e64 v140, 0x7fff, 0, s18
	v_dual_lshrrev_b32 v61, s48, v61 :: v_dual_bitop2_b32 v60, v140, v60 bitop3:0x14
	s_delay_alu instid0(VALU_DEP_1) | instskip(NEXT) | instid1(VALU_DEP_1)
	v_and_b32_e32 v61, s52, v61
	v_lshlrev_b32_e32 v61, 2, v61
	ds_load_b32 v61, v61
	s_wait_dscnt 0x0
	v_add_nc_u32_e32 v61, v61, v70
	global_store_b16 v61, v60, s[38:39] scale_offset
	s_wait_xcnt 0x0
	s_or_b32 exec_lo, exec_lo, s19
	v_cmp_lt_u32_e64 s18, v71, v139
	s_and_saveexec_b32 s20, s18
	s_cbranch_execz .LBB1759_184
.LBB1759_252:                           ;   in Loop: Header=BB1759_101 Depth=2
	ds_load_u16 v60, v93 offset:3072
	s_wait_dscnt 0x0
	v_cmp_ne_u16_e64 s19, 0x8000, v60
	s_delay_alu instid0(VALU_DEP_1) | instskip(SKIP_1) | instid1(VALU_DEP_2)
	v_cndmask_b32_e64 v61, 0x7fff, v60, s19
	v_cmp_gt_i16_e64 s19, 0, v60
	v_and_b32_e32 v61, 0xffff, v61
	s_delay_alu instid0(VALU_DEP_2) | instskip(NEXT) | instid1(VALU_DEP_1)
	v_cndmask_b32_e64 v140, 0x7fff, 0, s19
	v_dual_lshrrev_b32 v61, s48, v61 :: v_dual_bitop2_b32 v60, v140, v60 bitop3:0x14
	s_delay_alu instid0(VALU_DEP_1) | instskip(NEXT) | instid1(VALU_DEP_1)
	v_and_b32_e32 v61, s52, v61
	v_lshlrev_b32_e32 v61, 2, v61
	ds_load_b32 v61, v61
	s_wait_dscnt 0x0
	v_add_nc_u32_e32 v61, v61, v71
	global_store_b16 v61, v60, s[38:39] scale_offset
	s_wait_xcnt 0x0
	s_or_b32 exec_lo, exec_lo, s20
	v_cmp_lt_u32_e64 s19, v72, v139
	s_and_saveexec_b32 s21, s19
	s_cbranch_execz .LBB1759_185
.LBB1759_253:                           ;   in Loop: Header=BB1759_101 Depth=2
	ds_load_u16 v60, v93 offset:3584
	s_wait_dscnt 0x0
	v_cmp_ne_u16_e64 s20, 0x8000, v60
	s_delay_alu instid0(VALU_DEP_1) | instskip(SKIP_1) | instid1(VALU_DEP_2)
	v_cndmask_b32_e64 v61, 0x7fff, v60, s20
	v_cmp_gt_i16_e64 s20, 0, v60
	v_and_b32_e32 v61, 0xffff, v61
	s_delay_alu instid0(VALU_DEP_2) | instskip(NEXT) | instid1(VALU_DEP_1)
	v_cndmask_b32_e64 v140, 0x7fff, 0, s20
	v_dual_lshrrev_b32 v61, s48, v61 :: v_dual_bitop2_b32 v60, v140, v60 bitop3:0x14
	s_delay_alu instid0(VALU_DEP_1) | instskip(NEXT) | instid1(VALU_DEP_1)
	v_and_b32_e32 v61, s52, v61
	v_lshlrev_b32_e32 v61, 2, v61
	ds_load_b32 v61, v61
	s_wait_dscnt 0x0
	v_add_nc_u32_e32 v61, v61, v72
	global_store_b16 v61, v60, s[38:39] scale_offset
	s_wait_xcnt 0x0
	s_or_b32 exec_lo, exec_lo, s21
	v_cmp_lt_u32_e64 s20, v73, v139
	s_and_saveexec_b32 s22, s20
	s_cbranch_execz .LBB1759_186
.LBB1759_254:                           ;   in Loop: Header=BB1759_101 Depth=2
	ds_load_u16 v60, v93 offset:4096
	s_wait_dscnt 0x0
	v_cmp_ne_u16_e64 s21, 0x8000, v60
	s_delay_alu instid0(VALU_DEP_1) | instskip(SKIP_1) | instid1(VALU_DEP_2)
	v_cndmask_b32_e64 v61, 0x7fff, v60, s21
	v_cmp_gt_i16_e64 s21, 0, v60
	v_and_b32_e32 v61, 0xffff, v61
	s_delay_alu instid0(VALU_DEP_2) | instskip(NEXT) | instid1(VALU_DEP_1)
	v_cndmask_b32_e64 v140, 0x7fff, 0, s21
	v_dual_lshrrev_b32 v61, s48, v61 :: v_dual_bitop2_b32 v60, v140, v60 bitop3:0x14
	s_delay_alu instid0(VALU_DEP_1) | instskip(NEXT) | instid1(VALU_DEP_1)
	v_and_b32_e32 v61, s52, v61
	v_lshlrev_b32_e32 v61, 2, v61
	ds_load_b32 v61, v61
	s_wait_dscnt 0x0
	v_add_nc_u32_e32 v61, v61, v73
	global_store_b16 v61, v60, s[38:39] scale_offset
	s_wait_xcnt 0x0
	s_or_b32 exec_lo, exec_lo, s22
	v_cmp_lt_u32_e64 s21, v74, v139
	s_and_saveexec_b32 s23, s21
	s_cbranch_execz .LBB1759_187
.LBB1759_255:                           ;   in Loop: Header=BB1759_101 Depth=2
	ds_load_u16 v60, v93 offset:4608
	s_wait_dscnt 0x0
	v_cmp_ne_u16_e64 s22, 0x8000, v60
	s_delay_alu instid0(VALU_DEP_1) | instskip(SKIP_1) | instid1(VALU_DEP_2)
	v_cndmask_b32_e64 v61, 0x7fff, v60, s22
	v_cmp_gt_i16_e64 s22, 0, v60
	v_and_b32_e32 v61, 0xffff, v61
	s_delay_alu instid0(VALU_DEP_2) | instskip(NEXT) | instid1(VALU_DEP_1)
	v_cndmask_b32_e64 v140, 0x7fff, 0, s22
	v_dual_lshrrev_b32 v61, s48, v61 :: v_dual_bitop2_b32 v60, v140, v60 bitop3:0x14
	s_delay_alu instid0(VALU_DEP_1) | instskip(NEXT) | instid1(VALU_DEP_1)
	v_and_b32_e32 v61, s52, v61
	v_lshlrev_b32_e32 v61, 2, v61
	ds_load_b32 v61, v61
	s_wait_dscnt 0x0
	v_add_nc_u32_e32 v61, v61, v74
	global_store_b16 v61, v60, s[38:39] scale_offset
	s_wait_xcnt 0x0
	s_or_b32 exec_lo, exec_lo, s23
	v_cmp_lt_u32_e64 s22, v75, v139
	s_and_saveexec_b32 s24, s22
	s_cbranch_execz .LBB1759_188
.LBB1759_256:                           ;   in Loop: Header=BB1759_101 Depth=2
	ds_load_u16 v60, v93 offset:5120
	s_wait_dscnt 0x0
	v_cmp_ne_u16_e64 s23, 0x8000, v60
	s_delay_alu instid0(VALU_DEP_1) | instskip(SKIP_1) | instid1(VALU_DEP_2)
	v_cndmask_b32_e64 v61, 0x7fff, v60, s23
	v_cmp_gt_i16_e64 s23, 0, v60
	v_and_b32_e32 v61, 0xffff, v61
	s_delay_alu instid0(VALU_DEP_2) | instskip(NEXT) | instid1(VALU_DEP_1)
	v_cndmask_b32_e64 v140, 0x7fff, 0, s23
	v_dual_lshrrev_b32 v61, s48, v61 :: v_dual_bitop2_b32 v60, v140, v60 bitop3:0x14
	s_delay_alu instid0(VALU_DEP_1) | instskip(NEXT) | instid1(VALU_DEP_1)
	v_and_b32_e32 v61, s52, v61
	v_lshlrev_b32_e32 v61, 2, v61
	ds_load_b32 v61, v61
	s_wait_dscnt 0x0
	v_add_nc_u32_e32 v61, v61, v75
	global_store_b16 v61, v60, s[38:39] scale_offset
	s_wait_xcnt 0x0
	s_or_b32 exec_lo, exec_lo, s24
	v_cmp_lt_u32_e64 s23, v76, v139
	s_and_saveexec_b32 s25, s23
	s_cbranch_execz .LBB1759_189
.LBB1759_257:                           ;   in Loop: Header=BB1759_101 Depth=2
	ds_load_u16 v60, v93 offset:5632
	s_wait_dscnt 0x0
	v_cmp_ne_u16_e64 s24, 0x8000, v60
	s_delay_alu instid0(VALU_DEP_1) | instskip(SKIP_1) | instid1(VALU_DEP_2)
	v_cndmask_b32_e64 v61, 0x7fff, v60, s24
	v_cmp_gt_i16_e64 s24, 0, v60
	v_and_b32_e32 v61, 0xffff, v61
	s_delay_alu instid0(VALU_DEP_2) | instskip(NEXT) | instid1(VALU_DEP_1)
	v_cndmask_b32_e64 v140, 0x7fff, 0, s24
	v_dual_lshrrev_b32 v61, s48, v61 :: v_dual_bitop2_b32 v60, v140, v60 bitop3:0x14
	s_delay_alu instid0(VALU_DEP_1) | instskip(NEXT) | instid1(VALU_DEP_1)
	v_and_b32_e32 v61, s52, v61
	v_lshlrev_b32_e32 v61, 2, v61
	ds_load_b32 v61, v61
	s_wait_dscnt 0x0
	v_add_nc_u32_e32 v61, v61, v76
	global_store_b16 v61, v60, s[38:39] scale_offset
	s_wait_xcnt 0x0
	s_or_b32 exec_lo, exec_lo, s25
	v_cmp_lt_u32_e64 s24, v77, v139
	s_and_saveexec_b32 s26, s24
	s_cbranch_execz .LBB1759_190
.LBB1759_258:                           ;   in Loop: Header=BB1759_101 Depth=2
	ds_load_u16 v60, v93 offset:6144
	s_wait_dscnt 0x0
	v_cmp_ne_u16_e64 s25, 0x8000, v60
	s_delay_alu instid0(VALU_DEP_1) | instskip(SKIP_1) | instid1(VALU_DEP_2)
	v_cndmask_b32_e64 v61, 0x7fff, v60, s25
	v_cmp_gt_i16_e64 s25, 0, v60
	v_and_b32_e32 v61, 0xffff, v61
	s_delay_alu instid0(VALU_DEP_2) | instskip(NEXT) | instid1(VALU_DEP_1)
	v_cndmask_b32_e64 v140, 0x7fff, 0, s25
	v_dual_lshrrev_b32 v61, s48, v61 :: v_dual_bitop2_b32 v60, v140, v60 bitop3:0x14
	s_delay_alu instid0(VALU_DEP_1) | instskip(NEXT) | instid1(VALU_DEP_1)
	v_and_b32_e32 v61, s52, v61
	v_lshlrev_b32_e32 v61, 2, v61
	ds_load_b32 v61, v61
	s_wait_dscnt 0x0
	v_add_nc_u32_e32 v61, v61, v77
	global_store_b16 v61, v60, s[38:39] scale_offset
	s_wait_xcnt 0x0
	s_or_b32 exec_lo, exec_lo, s26
	v_cmp_lt_u32_e64 s25, v78, v139
	s_and_saveexec_b32 s27, s25
	s_cbranch_execz .LBB1759_191
.LBB1759_259:                           ;   in Loop: Header=BB1759_101 Depth=2
	ds_load_u16 v60, v93 offset:6656
	s_wait_dscnt 0x0
	v_cmp_ne_u16_e64 s26, 0x8000, v60
	s_delay_alu instid0(VALU_DEP_1) | instskip(SKIP_1) | instid1(VALU_DEP_2)
	v_cndmask_b32_e64 v61, 0x7fff, v60, s26
	v_cmp_gt_i16_e64 s26, 0, v60
	v_and_b32_e32 v61, 0xffff, v61
	s_delay_alu instid0(VALU_DEP_2) | instskip(NEXT) | instid1(VALU_DEP_1)
	v_cndmask_b32_e64 v140, 0x7fff, 0, s26
	v_dual_lshrrev_b32 v61, s48, v61 :: v_dual_bitop2_b32 v60, v140, v60 bitop3:0x14
	s_delay_alu instid0(VALU_DEP_1) | instskip(NEXT) | instid1(VALU_DEP_1)
	v_and_b32_e32 v61, s52, v61
	v_lshlrev_b32_e32 v61, 2, v61
	ds_load_b32 v61, v61
	s_wait_dscnt 0x0
	v_add_nc_u32_e32 v61, v61, v78
	global_store_b16 v61, v60, s[38:39] scale_offset
	s_wait_xcnt 0x0
	s_or_b32 exec_lo, exec_lo, s27
	v_cmp_lt_u32_e64 s26, v79, v139
	s_and_saveexec_b32 s28, s26
	s_cbranch_execz .LBB1759_192
.LBB1759_260:                           ;   in Loop: Header=BB1759_101 Depth=2
	ds_load_u16 v60, v93 offset:7168
	s_wait_dscnt 0x0
	v_cmp_ne_u16_e64 s27, 0x8000, v60
	s_delay_alu instid0(VALU_DEP_1) | instskip(SKIP_1) | instid1(VALU_DEP_2)
	v_cndmask_b32_e64 v61, 0x7fff, v60, s27
	v_cmp_gt_i16_e64 s27, 0, v60
	v_and_b32_e32 v61, 0xffff, v61
	s_delay_alu instid0(VALU_DEP_2) | instskip(NEXT) | instid1(VALU_DEP_1)
	v_cndmask_b32_e64 v140, 0x7fff, 0, s27
	v_dual_lshrrev_b32 v61, s48, v61 :: v_dual_bitop2_b32 v60, v140, v60 bitop3:0x14
	s_delay_alu instid0(VALU_DEP_1) | instskip(NEXT) | instid1(VALU_DEP_1)
	v_and_b32_e32 v61, s52, v61
	v_lshlrev_b32_e32 v61, 2, v61
	ds_load_b32 v61, v61
	s_wait_dscnt 0x0
	v_add_nc_u32_e32 v61, v61, v79
	global_store_b16 v61, v60, s[38:39] scale_offset
	s_wait_xcnt 0x0
	s_or_b32 exec_lo, exec_lo, s28
	v_cmp_lt_u32_e64 s27, v80, v139
	s_and_saveexec_b32 s29, s27
	s_cbranch_execz .LBB1759_193
.LBB1759_261:                           ;   in Loop: Header=BB1759_101 Depth=2
	ds_load_u16 v60, v93 offset:7680
	s_wait_dscnt 0x0
	v_cmp_ne_u16_e64 s28, 0x8000, v60
	s_delay_alu instid0(VALU_DEP_1) | instskip(SKIP_1) | instid1(VALU_DEP_2)
	v_cndmask_b32_e64 v61, 0x7fff, v60, s28
	v_cmp_gt_i16_e64 s28, 0, v60
	v_and_b32_e32 v61, 0xffff, v61
	s_delay_alu instid0(VALU_DEP_2) | instskip(NEXT) | instid1(VALU_DEP_1)
	v_cndmask_b32_e64 v140, 0x7fff, 0, s28
	v_dual_lshrrev_b32 v61, s48, v61 :: v_dual_bitop2_b32 v60, v140, v60 bitop3:0x14
	s_delay_alu instid0(VALU_DEP_1) | instskip(NEXT) | instid1(VALU_DEP_1)
	v_and_b32_e32 v61, s52, v61
	v_lshlrev_b32_e32 v61, 2, v61
	ds_load_b32 v61, v61
	s_wait_dscnt 0x0
	v_add_nc_u32_e32 v61, v61, v80
	global_store_b16 v61, v60, s[38:39] scale_offset
	s_wait_xcnt 0x0
	s_or_b32 exec_lo, exec_lo, s29
	v_cmp_lt_u32_e64 s28, v81, v139
	s_and_saveexec_b32 s30, s28
	s_cbranch_execz .LBB1759_194
.LBB1759_262:                           ;   in Loop: Header=BB1759_101 Depth=2
	ds_load_u16 v60, v93 offset:8192
	s_wait_dscnt 0x0
	v_cmp_ne_u16_e64 s29, 0x8000, v60
	s_delay_alu instid0(VALU_DEP_1) | instskip(SKIP_1) | instid1(VALU_DEP_2)
	v_cndmask_b32_e64 v61, 0x7fff, v60, s29
	v_cmp_gt_i16_e64 s29, 0, v60
	v_and_b32_e32 v61, 0xffff, v61
	s_delay_alu instid0(VALU_DEP_2) | instskip(NEXT) | instid1(VALU_DEP_1)
	v_cndmask_b32_e64 v140, 0x7fff, 0, s29
	v_dual_lshrrev_b32 v61, s48, v61 :: v_dual_bitop2_b32 v60, v140, v60 bitop3:0x14
	s_delay_alu instid0(VALU_DEP_1) | instskip(NEXT) | instid1(VALU_DEP_1)
	v_and_b32_e32 v61, s52, v61
	v_lshlrev_b32_e32 v61, 2, v61
	ds_load_b32 v61, v61
	s_wait_dscnt 0x0
	v_add_nc_u32_e32 v61, v61, v81
	global_store_b16 v61, v60, s[38:39] scale_offset
	s_wait_xcnt 0x0
	s_or_b32 exec_lo, exec_lo, s30
	v_cmp_lt_u32_e64 s29, v82, v139
	s_and_saveexec_b32 s58, s29
	s_cbranch_execnz .LBB1759_195
	s_branch .LBB1759_196
.LBB1759_263:                           ;   in Loop: Header=BB1759_101 Depth=2
	global_load_b64 v[58:59], v[60:61], off
	s_wait_xcnt 0x0
	s_or_b32 exec_lo, exec_lo, s30
	s_delay_alu instid0(SALU_CYCLE_1)
	s_mov_b32 s42, exec_lo
	v_cmpx_lt_u32_e64 v103, v139
	s_cbranch_execz .LBB1759_198
.LBB1759_264:                           ;   in Loop: Header=BB1759_101 Depth=2
	global_load_b64 v[56:57], v[60:61], off offset:256
	s_wait_xcnt 0x0
	s_or_b32 exec_lo, exec_lo, s42
	s_delay_alu instid0(SALU_CYCLE_1)
	s_mov_b32 s42, exec_lo
	v_cmpx_lt_u32_e64 v104, v139
	s_cbranch_execz .LBB1759_199
.LBB1759_265:                           ;   in Loop: Header=BB1759_101 Depth=2
	global_load_b64 v[54:55], v[60:61], off offset:512
	s_wait_xcnt 0x0
	s_or_b32 exec_lo, exec_lo, s42
	s_delay_alu instid0(SALU_CYCLE_1)
	s_mov_b32 s42, exec_lo
	v_cmpx_lt_u32_e64 v105, v139
	s_cbranch_execz .LBB1759_200
.LBB1759_266:                           ;   in Loop: Header=BB1759_101 Depth=2
	global_load_b64 v[52:53], v[60:61], off offset:768
	s_wait_xcnt 0x0
	s_or_b32 exec_lo, exec_lo, s42
	s_delay_alu instid0(SALU_CYCLE_1)
	s_mov_b32 s42, exec_lo
	v_cmpx_lt_u32_e64 v106, v139
	s_cbranch_execz .LBB1759_201
.LBB1759_267:                           ;   in Loop: Header=BB1759_101 Depth=2
	global_load_b64 v[50:51], v[60:61], off offset:1024
	s_wait_xcnt 0x0
	s_or_b32 exec_lo, exec_lo, s42
	s_delay_alu instid0(SALU_CYCLE_1)
	s_mov_b32 s42, exec_lo
	v_cmpx_lt_u32_e64 v107, v139
	s_cbranch_execz .LBB1759_202
.LBB1759_268:                           ;   in Loop: Header=BB1759_101 Depth=2
	global_load_b64 v[48:49], v[60:61], off offset:1280
	s_wait_xcnt 0x0
	s_or_b32 exec_lo, exec_lo, s42
	s_delay_alu instid0(SALU_CYCLE_1)
	s_mov_b32 s42, exec_lo
	v_cmpx_lt_u32_e64 v108, v139
	s_cbranch_execz .LBB1759_203
.LBB1759_269:                           ;   in Loop: Header=BB1759_101 Depth=2
	global_load_b64 v[46:47], v[60:61], off offset:1536
	s_wait_xcnt 0x0
	s_or_b32 exec_lo, exec_lo, s42
	s_delay_alu instid0(SALU_CYCLE_1)
	s_mov_b32 s42, exec_lo
	v_cmpx_lt_u32_e64 v109, v139
	s_cbranch_execz .LBB1759_204
.LBB1759_270:                           ;   in Loop: Header=BB1759_101 Depth=2
	global_load_b64 v[44:45], v[60:61], off offset:1792
	s_wait_xcnt 0x0
	s_or_b32 exec_lo, exec_lo, s42
	s_delay_alu instid0(SALU_CYCLE_1)
	s_mov_b32 s42, exec_lo
	v_cmpx_lt_u32_e64 v110, v139
	s_cbranch_execz .LBB1759_205
.LBB1759_271:                           ;   in Loop: Header=BB1759_101 Depth=2
	global_load_b64 v[42:43], v[60:61], off offset:2048
	s_wait_xcnt 0x0
	s_or_b32 exec_lo, exec_lo, s42
	s_delay_alu instid0(SALU_CYCLE_1)
	s_mov_b32 s42, exec_lo
	v_cmpx_lt_u32_e64 v111, v139
	s_cbranch_execz .LBB1759_206
.LBB1759_272:                           ;   in Loop: Header=BB1759_101 Depth=2
	global_load_b64 v[40:41], v[60:61], off offset:2304
	s_wait_xcnt 0x0
	s_or_b32 exec_lo, exec_lo, s42
	s_delay_alu instid0(SALU_CYCLE_1)
	s_mov_b32 s42, exec_lo
	v_cmpx_lt_u32_e64 v112, v139
	s_cbranch_execz .LBB1759_207
.LBB1759_273:                           ;   in Loop: Header=BB1759_101 Depth=2
	global_load_b64 v[38:39], v[60:61], off offset:2560
	s_wait_xcnt 0x0
	s_or_b32 exec_lo, exec_lo, s42
	s_delay_alu instid0(SALU_CYCLE_1)
	s_mov_b32 s42, exec_lo
	v_cmpx_lt_u32_e64 v113, v139
	s_cbranch_execz .LBB1759_208
.LBB1759_274:                           ;   in Loop: Header=BB1759_101 Depth=2
	global_load_b64 v[36:37], v[60:61], off offset:2816
	s_wait_xcnt 0x0
	s_or_b32 exec_lo, exec_lo, s42
	s_delay_alu instid0(SALU_CYCLE_1)
	s_mov_b32 s42, exec_lo
	v_cmpx_lt_u32_e64 v114, v139
	s_cbranch_execz .LBB1759_209
.LBB1759_275:                           ;   in Loop: Header=BB1759_101 Depth=2
	global_load_b64 v[34:35], v[60:61], off offset:3072
	s_wait_xcnt 0x0
	s_or_b32 exec_lo, exec_lo, s42
	s_delay_alu instid0(SALU_CYCLE_1)
	s_mov_b32 s42, exec_lo
	v_cmpx_lt_u32_e64 v115, v139
	s_cbranch_execz .LBB1759_210
.LBB1759_276:                           ;   in Loop: Header=BB1759_101 Depth=2
	global_load_b64 v[32:33], v[60:61], off offset:3328
	s_wait_xcnt 0x0
	s_or_b32 exec_lo, exec_lo, s42
	s_delay_alu instid0(SALU_CYCLE_1)
	s_mov_b32 s42, exec_lo
	v_cmpx_lt_u32_e64 v116, v139
	s_cbranch_execz .LBB1759_211
.LBB1759_277:                           ;   in Loop: Header=BB1759_101 Depth=2
	global_load_b64 v[30:31], v[60:61], off offset:3584
	s_wait_xcnt 0x0
	s_or_b32 exec_lo, exec_lo, s42
	s_delay_alu instid0(SALU_CYCLE_1)
	s_mov_b32 s42, exec_lo
	v_cmpx_lt_u32_e64 v117, v139
	s_cbranch_execz .LBB1759_212
.LBB1759_278:                           ;   in Loop: Header=BB1759_101 Depth=2
	global_load_b64 v[28:29], v[60:61], off offset:3840
	s_wait_xcnt 0x0
	s_or_b32 exec_lo, exec_lo, s42
	s_and_saveexec_b32 s42, vcc_lo
	s_cbranch_execz .LBB1759_213
.LBB1759_279:                           ;   in Loop: Header=BB1759_101 Depth=2
	ds_load_u16 v60, v93 offset:1024
	s_wait_dscnt 0x0
	v_cmp_ne_u16_e64 s30, 0x8000, v60
	s_delay_alu instid0(VALU_DEP_1) | instskip(NEXT) | instid1(VALU_DEP_1)
	v_cndmask_b32_e64 v60, 0x7fff, v60, s30
	v_and_b32_e32 v60, 0xffff, v60
	s_delay_alu instid0(VALU_DEP_1) | instskip(NEXT) | instid1(VALU_DEP_1)
	v_lshrrev_b32_e32 v60, s48, v60
	v_and_b32_e32 v138, s52, v60
	s_or_b32 exec_lo, exec_lo, s42
	s_and_saveexec_b32 s42, s15
	s_cbranch_execz .LBB1759_214
.LBB1759_280:                           ;   in Loop: Header=BB1759_101 Depth=2
	ds_load_u16 v60, v93 offset:1536
	s_wait_dscnt 0x0
	v_cmp_ne_u16_e64 s30, 0x8000, v60
	s_delay_alu instid0(VALU_DEP_1) | instskip(NEXT) | instid1(VALU_DEP_1)
	v_cndmask_b32_e64 v60, 0x7fff, v60, s30
	v_and_b32_e32 v60, 0xffff, v60
	s_delay_alu instid0(VALU_DEP_1) | instskip(NEXT) | instid1(VALU_DEP_1)
	v_lshrrev_b32_e32 v60, s48, v60
	v_and_b32_e32 v137, s52, v60
	s_or_b32 exec_lo, exec_lo, s42
	s_and_saveexec_b32 s42, s16
	s_cbranch_execz .LBB1759_215
.LBB1759_281:                           ;   in Loop: Header=BB1759_101 Depth=2
	ds_load_u16 v60, v93 offset:2048
	s_wait_dscnt 0x0
	v_cmp_ne_u16_e64 s30, 0x8000, v60
	s_delay_alu instid0(VALU_DEP_1) | instskip(NEXT) | instid1(VALU_DEP_1)
	v_cndmask_b32_e64 v60, 0x7fff, v60, s30
	v_and_b32_e32 v60, 0xffff, v60
	s_delay_alu instid0(VALU_DEP_1) | instskip(NEXT) | instid1(VALU_DEP_1)
	v_lshrrev_b32_e32 v60, s48, v60
	v_and_b32_e32 v136, s52, v60
	s_or_b32 exec_lo, exec_lo, s42
	s_and_saveexec_b32 s42, s17
	s_cbranch_execz .LBB1759_216
.LBB1759_282:                           ;   in Loop: Header=BB1759_101 Depth=2
	ds_load_u16 v60, v93 offset:2560
	s_wait_dscnt 0x0
	v_cmp_ne_u16_e64 s30, 0x8000, v60
	s_delay_alu instid0(VALU_DEP_1) | instskip(NEXT) | instid1(VALU_DEP_1)
	v_cndmask_b32_e64 v60, 0x7fff, v60, s30
	v_and_b32_e32 v60, 0xffff, v60
	s_delay_alu instid0(VALU_DEP_1) | instskip(NEXT) | instid1(VALU_DEP_1)
	v_lshrrev_b32_e32 v60, s48, v60
	v_and_b32_e32 v135, s52, v60
	s_or_b32 exec_lo, exec_lo, s42
	s_and_saveexec_b32 s42, s18
	s_cbranch_execz .LBB1759_217
.LBB1759_283:                           ;   in Loop: Header=BB1759_101 Depth=2
	ds_load_u16 v60, v93 offset:3072
	s_wait_dscnt 0x0
	v_cmp_ne_u16_e64 s30, 0x8000, v60
	s_delay_alu instid0(VALU_DEP_1) | instskip(NEXT) | instid1(VALU_DEP_1)
	v_cndmask_b32_e64 v60, 0x7fff, v60, s30
	v_and_b32_e32 v60, 0xffff, v60
	s_delay_alu instid0(VALU_DEP_1) | instskip(NEXT) | instid1(VALU_DEP_1)
	v_lshrrev_b32_e32 v60, s48, v60
	v_and_b32_e32 v134, s52, v60
	s_or_b32 exec_lo, exec_lo, s42
	s_and_saveexec_b32 s42, s19
	s_cbranch_execz .LBB1759_218
.LBB1759_284:                           ;   in Loop: Header=BB1759_101 Depth=2
	ds_load_u16 v60, v93 offset:3584
	s_wait_dscnt 0x0
	v_cmp_ne_u16_e64 s30, 0x8000, v60
	s_delay_alu instid0(VALU_DEP_1) | instskip(NEXT) | instid1(VALU_DEP_1)
	v_cndmask_b32_e64 v60, 0x7fff, v60, s30
	v_and_b32_e32 v60, 0xffff, v60
	s_delay_alu instid0(VALU_DEP_1) | instskip(NEXT) | instid1(VALU_DEP_1)
	v_lshrrev_b32_e32 v60, s48, v60
	v_and_b32_e32 v133, s52, v60
	s_or_b32 exec_lo, exec_lo, s42
	s_and_saveexec_b32 s42, s20
	s_cbranch_execz .LBB1759_219
.LBB1759_285:                           ;   in Loop: Header=BB1759_101 Depth=2
	ds_load_u16 v60, v93 offset:4096
	s_wait_dscnt 0x0
	v_cmp_ne_u16_e64 s30, 0x8000, v60
	s_delay_alu instid0(VALU_DEP_1) | instskip(NEXT) | instid1(VALU_DEP_1)
	v_cndmask_b32_e64 v60, 0x7fff, v60, s30
	v_and_b32_e32 v60, 0xffff, v60
	s_delay_alu instid0(VALU_DEP_1) | instskip(NEXT) | instid1(VALU_DEP_1)
	v_lshrrev_b32_e32 v60, s48, v60
	v_and_b32_e32 v132, s52, v60
	s_or_b32 exec_lo, exec_lo, s42
	s_and_saveexec_b32 s42, s21
	s_cbranch_execz .LBB1759_220
.LBB1759_286:                           ;   in Loop: Header=BB1759_101 Depth=2
	ds_load_u16 v60, v93 offset:4608
	s_wait_dscnt 0x0
	v_cmp_ne_u16_e64 s30, 0x8000, v60
	s_delay_alu instid0(VALU_DEP_1) | instskip(NEXT) | instid1(VALU_DEP_1)
	v_cndmask_b32_e64 v60, 0x7fff, v60, s30
	v_and_b32_e32 v60, 0xffff, v60
	s_delay_alu instid0(VALU_DEP_1) | instskip(NEXT) | instid1(VALU_DEP_1)
	v_lshrrev_b32_e32 v60, s48, v60
	v_and_b32_e32 v131, s52, v60
	s_or_b32 exec_lo, exec_lo, s42
	s_and_saveexec_b32 s42, s22
	s_cbranch_execz .LBB1759_221
.LBB1759_287:                           ;   in Loop: Header=BB1759_101 Depth=2
	ds_load_u16 v60, v93 offset:5120
	s_wait_dscnt 0x0
	v_cmp_ne_u16_e64 s30, 0x8000, v60
	s_delay_alu instid0(VALU_DEP_1) | instskip(NEXT) | instid1(VALU_DEP_1)
	v_cndmask_b32_e64 v60, 0x7fff, v60, s30
	v_and_b32_e32 v60, 0xffff, v60
	s_delay_alu instid0(VALU_DEP_1) | instskip(NEXT) | instid1(VALU_DEP_1)
	v_lshrrev_b32_e32 v60, s48, v60
	v_and_b32_e32 v130, s52, v60
	s_or_b32 exec_lo, exec_lo, s42
	s_and_saveexec_b32 s42, s23
	s_cbranch_execz .LBB1759_222
.LBB1759_288:                           ;   in Loop: Header=BB1759_101 Depth=2
	ds_load_u16 v60, v93 offset:5632
	s_wait_dscnt 0x0
	v_cmp_ne_u16_e64 s30, 0x8000, v60
	s_delay_alu instid0(VALU_DEP_1) | instskip(NEXT) | instid1(VALU_DEP_1)
	v_cndmask_b32_e64 v60, 0x7fff, v60, s30
	v_and_b32_e32 v60, 0xffff, v60
	s_delay_alu instid0(VALU_DEP_1) | instskip(NEXT) | instid1(VALU_DEP_1)
	v_lshrrev_b32_e32 v60, s48, v60
	v_and_b32_e32 v129, s52, v60
	s_or_b32 exec_lo, exec_lo, s42
	s_and_saveexec_b32 s42, s24
	s_cbranch_execz .LBB1759_223
.LBB1759_289:                           ;   in Loop: Header=BB1759_101 Depth=2
	ds_load_u16 v60, v93 offset:6144
	s_wait_dscnt 0x0
	v_cmp_ne_u16_e64 s30, 0x8000, v60
	s_delay_alu instid0(VALU_DEP_1) | instskip(NEXT) | instid1(VALU_DEP_1)
	v_cndmask_b32_e64 v60, 0x7fff, v60, s30
	v_and_b32_e32 v60, 0xffff, v60
	s_delay_alu instid0(VALU_DEP_1) | instskip(NEXT) | instid1(VALU_DEP_1)
	v_lshrrev_b32_e32 v60, s48, v60
	v_and_b32_e32 v128, s52, v60
	s_or_b32 exec_lo, exec_lo, s42
	s_and_saveexec_b32 s42, s25
	s_cbranch_execz .LBB1759_224
.LBB1759_290:                           ;   in Loop: Header=BB1759_101 Depth=2
	ds_load_u16 v60, v93 offset:6656
	s_wait_dscnt 0x0
	v_cmp_ne_u16_e64 s30, 0x8000, v60
	s_delay_alu instid0(VALU_DEP_1) | instskip(NEXT) | instid1(VALU_DEP_1)
	v_cndmask_b32_e64 v60, 0x7fff, v60, s30
	v_and_b32_e32 v60, 0xffff, v60
	s_delay_alu instid0(VALU_DEP_1) | instskip(NEXT) | instid1(VALU_DEP_1)
	v_lshrrev_b32_e32 v60, s48, v60
	v_and_b32_e32 v127, s52, v60
	s_or_b32 exec_lo, exec_lo, s42
	s_and_saveexec_b32 s42, s26
	s_cbranch_execz .LBB1759_225
.LBB1759_291:                           ;   in Loop: Header=BB1759_101 Depth=2
	ds_load_u16 v60, v93 offset:7168
	s_wait_dscnt 0x0
	v_cmp_ne_u16_e64 s30, 0x8000, v60
	s_delay_alu instid0(VALU_DEP_1) | instskip(NEXT) | instid1(VALU_DEP_1)
	v_cndmask_b32_e64 v60, 0x7fff, v60, s30
	v_and_b32_e32 v60, 0xffff, v60
	s_delay_alu instid0(VALU_DEP_1) | instskip(NEXT) | instid1(VALU_DEP_1)
	v_lshrrev_b32_e32 v60, s48, v60
	v_and_b32_e32 v126, s52, v60
	s_or_b32 exec_lo, exec_lo, s42
	s_and_saveexec_b32 s42, s27
	s_cbranch_execz .LBB1759_226
.LBB1759_292:                           ;   in Loop: Header=BB1759_101 Depth=2
	ds_load_u16 v60, v93 offset:7680
	s_wait_dscnt 0x0
	v_cmp_ne_u16_e64 s30, 0x8000, v60
	s_delay_alu instid0(VALU_DEP_1) | instskip(NEXT) | instid1(VALU_DEP_1)
	v_cndmask_b32_e64 v60, 0x7fff, v60, s30
	v_and_b32_e32 v60, 0xffff, v60
	s_delay_alu instid0(VALU_DEP_1) | instskip(NEXT) | instid1(VALU_DEP_1)
	v_lshrrev_b32_e32 v60, s48, v60
	v_and_b32_e32 v125, s52, v60
	s_or_b32 exec_lo, exec_lo, s42
	s_and_saveexec_b32 s42, s28
	s_cbranch_execz .LBB1759_227
.LBB1759_293:                           ;   in Loop: Header=BB1759_101 Depth=2
	ds_load_u16 v60, v93 offset:8192
	s_wait_dscnt 0x0
	v_cmp_ne_u16_e64 s30, 0x8000, v60
	s_delay_alu instid0(VALU_DEP_1) | instskip(NEXT) | instid1(VALU_DEP_1)
	v_cndmask_b32_e64 v60, 0x7fff, v60, s30
	v_and_b32_e32 v60, 0xffff, v60
	s_delay_alu instid0(VALU_DEP_1) | instskip(NEXT) | instid1(VALU_DEP_1)
	v_lshrrev_b32_e32 v60, s48, v60
	v_and_b32_e32 v124, s52, v60
	s_or_b32 exec_lo, exec_lo, s42
	s_and_saveexec_b32 s42, s29
	s_cbranch_execnz .LBB1759_228
	s_branch .LBB1759_229
.LBB1759_294:                           ;   in Loop: Header=BB1759_101 Depth=2
	v_lshlrev_b32_e32 v60, 2, v138
	v_add_nc_u32_e32 v61, v93, v94
	ds_load_b32 v63, v60
	ds_load_b64 v[60:61], v61 offset:1024
	s_wait_dscnt 0x1
	v_add_nc_u32_e32 v63, v63, v2
	s_wait_dscnt 0x0
	global_store_b64 v63, v[60:61], s[44:45] scale_offset
	s_wait_xcnt 0x0
	s_or_b32 exec_lo, exec_lo, s30
	s_and_saveexec_b32 s30, s15
	s_cbranch_execz .LBB1759_231
.LBB1759_295:                           ;   in Loop: Header=BB1759_101 Depth=2
	v_dual_lshlrev_b32 v60, 2, v137 :: v_dual_add_nc_u32 v61, v93, v94
	ds_load_b32 v63, v60
	ds_load_b64 v[60:61], v61 offset:3072
	s_wait_dscnt 0x1
	v_add_nc_u32_e32 v63, v63, v68
	s_wait_dscnt 0x0
	global_store_b64 v63, v[60:61], s[44:45] scale_offset
	s_wait_xcnt 0x0
	s_or_b32 exec_lo, exec_lo, s30
	s_and_saveexec_b32 s15, s16
	s_cbranch_execz .LBB1759_232
.LBB1759_296:                           ;   in Loop: Header=BB1759_101 Depth=2
	v_dual_lshlrev_b32 v60, 2, v136 :: v_dual_add_nc_u32 v61, v93, v94
	ds_load_b32 v63, v60
	ds_load_b64 v[60:61], v61 offset:5120
	s_wait_dscnt 0x1
	v_add_nc_u32_e32 v63, v63, v69
	s_wait_dscnt 0x0
	global_store_b64 v63, v[60:61], s[44:45] scale_offset
	s_wait_xcnt 0x0
	s_or_b32 exec_lo, exec_lo, s15
	s_and_saveexec_b32 s15, s17
	s_cbranch_execz .LBB1759_233
.LBB1759_297:                           ;   in Loop: Header=BB1759_101 Depth=2
	v_dual_lshlrev_b32 v60, 2, v135 :: v_dual_add_nc_u32 v61, v93, v94
	ds_load_b32 v63, v60
	ds_load_b64 v[60:61], v61 offset:7168
	s_wait_dscnt 0x1
	v_add_nc_u32_e32 v63, v63, v70
	s_wait_dscnt 0x0
	global_store_b64 v63, v[60:61], s[44:45] scale_offset
	s_wait_xcnt 0x0
	s_or_b32 exec_lo, exec_lo, s15
	s_and_saveexec_b32 s15, s18
	s_cbranch_execz .LBB1759_234
.LBB1759_298:                           ;   in Loop: Header=BB1759_101 Depth=2
	v_lshlrev_b32_e32 v60, 2, v134
	v_add_nc_u32_e32 v61, v93, v94
	ds_load_b32 v63, v60
	ds_load_b64 v[60:61], v61 offset:9216
	s_wait_dscnt 0x1
	v_add_nc_u32_e32 v63, v63, v71
	s_wait_dscnt 0x0
	global_store_b64 v63, v[60:61], s[44:45] scale_offset
	s_wait_xcnt 0x0
	s_or_b32 exec_lo, exec_lo, s15
	s_and_saveexec_b32 s15, s19
	s_cbranch_execz .LBB1759_235
.LBB1759_299:                           ;   in Loop: Header=BB1759_101 Depth=2
	v_dual_lshlrev_b32 v60, 2, v133 :: v_dual_add_nc_u32 v61, v93, v94
	ds_load_b32 v63, v60
	ds_load_b64 v[60:61], v61 offset:11264
	s_wait_dscnt 0x1
	v_add_nc_u32_e32 v63, v63, v72
	s_wait_dscnt 0x0
	global_store_b64 v63, v[60:61], s[44:45] scale_offset
	s_wait_xcnt 0x0
	s_or_b32 exec_lo, exec_lo, s15
	s_and_saveexec_b32 s15, s20
	s_cbranch_execz .LBB1759_236
.LBB1759_300:                           ;   in Loop: Header=BB1759_101 Depth=2
	v_dual_lshlrev_b32 v60, 2, v132 :: v_dual_add_nc_u32 v61, v93, v94
	ds_load_b32 v63, v60
	ds_load_b64 v[60:61], v61 offset:13312
	s_wait_dscnt 0x1
	v_add_nc_u32_e32 v63, v63, v73
	s_wait_dscnt 0x0
	global_store_b64 v63, v[60:61], s[44:45] scale_offset
	s_wait_xcnt 0x0
	s_or_b32 exec_lo, exec_lo, s15
	s_and_saveexec_b32 s15, s21
	s_cbranch_execz .LBB1759_237
.LBB1759_301:                           ;   in Loop: Header=BB1759_101 Depth=2
	v_dual_lshlrev_b32 v60, 2, v131 :: v_dual_add_nc_u32 v61, v93, v94
	ds_load_b32 v63, v60
	ds_load_b64 v[60:61], v61 offset:15360
	s_wait_dscnt 0x1
	v_add_nc_u32_e32 v63, v63, v74
	s_wait_dscnt 0x0
	global_store_b64 v63, v[60:61], s[44:45] scale_offset
	s_wait_xcnt 0x0
	s_or_b32 exec_lo, exec_lo, s15
	s_and_saveexec_b32 s15, s22
	s_cbranch_execz .LBB1759_238
.LBB1759_302:                           ;   in Loop: Header=BB1759_101 Depth=2
	v_lshlrev_b32_e32 v60, 2, v130
	v_add_nc_u32_e32 v61, v93, v94
	ds_load_b32 v63, v60
	ds_load_b64 v[60:61], v61 offset:17408
	s_wait_dscnt 0x1
	v_add_nc_u32_e32 v63, v63, v75
	s_wait_dscnt 0x0
	global_store_b64 v63, v[60:61], s[44:45] scale_offset
	s_wait_xcnt 0x0
	s_or_b32 exec_lo, exec_lo, s15
	s_and_saveexec_b32 s15, s23
	s_cbranch_execz .LBB1759_239
.LBB1759_303:                           ;   in Loop: Header=BB1759_101 Depth=2
	v_dual_lshlrev_b32 v60, 2, v129 :: v_dual_add_nc_u32 v61, v93, v94
	ds_load_b32 v63, v60
	ds_load_b64 v[60:61], v61 offset:19456
	s_wait_dscnt 0x1
	v_add_nc_u32_e32 v63, v63, v76
	s_wait_dscnt 0x0
	global_store_b64 v63, v[60:61], s[44:45] scale_offset
	s_wait_xcnt 0x0
	s_or_b32 exec_lo, exec_lo, s15
	s_and_saveexec_b32 s15, s24
	s_cbranch_execz .LBB1759_240
.LBB1759_304:                           ;   in Loop: Header=BB1759_101 Depth=2
	v_dual_lshlrev_b32 v60, 2, v128 :: v_dual_add_nc_u32 v61, v93, v94
	ds_load_b32 v63, v60
	ds_load_b64 v[60:61], v61 offset:21504
	s_wait_dscnt 0x1
	v_add_nc_u32_e32 v63, v63, v77
	s_wait_dscnt 0x0
	global_store_b64 v63, v[60:61], s[44:45] scale_offset
	s_wait_xcnt 0x0
	s_or_b32 exec_lo, exec_lo, s15
	s_and_saveexec_b32 s15, s25
	s_cbranch_execz .LBB1759_241
.LBB1759_305:                           ;   in Loop: Header=BB1759_101 Depth=2
	v_dual_lshlrev_b32 v60, 2, v127 :: v_dual_add_nc_u32 v61, v93, v94
	ds_load_b32 v63, v60
	ds_load_b64 v[60:61], v61 offset:23552
	s_wait_dscnt 0x1
	v_add_nc_u32_e32 v63, v63, v78
	s_wait_dscnt 0x0
	global_store_b64 v63, v[60:61], s[44:45] scale_offset
	s_wait_xcnt 0x0
	s_or_b32 exec_lo, exec_lo, s15
	s_and_saveexec_b32 s15, s26
	s_cbranch_execz .LBB1759_242
.LBB1759_306:                           ;   in Loop: Header=BB1759_101 Depth=2
	v_lshlrev_b32_e32 v60, 2, v126
	v_add_nc_u32_e32 v61, v93, v94
	ds_load_b32 v63, v60
	ds_load_b64 v[60:61], v61 offset:25600
	s_wait_dscnt 0x1
	v_add_nc_u32_e32 v63, v63, v79
	s_wait_dscnt 0x0
	global_store_b64 v63, v[60:61], s[44:45] scale_offset
	s_wait_xcnt 0x0
	s_or_b32 exec_lo, exec_lo, s15
	s_and_saveexec_b32 s15, s27
	s_cbranch_execz .LBB1759_243
.LBB1759_307:                           ;   in Loop: Header=BB1759_101 Depth=2
	v_dual_lshlrev_b32 v60, 2, v125 :: v_dual_add_nc_u32 v61, v93, v94
	ds_load_b32 v63, v60
	ds_load_b64 v[60:61], v61 offset:27648
	s_wait_dscnt 0x1
	v_add_nc_u32_e32 v63, v63, v80
	s_wait_dscnt 0x0
	global_store_b64 v63, v[60:61], s[44:45] scale_offset
	s_wait_xcnt 0x0
	s_or_b32 exec_lo, exec_lo, s15
	s_and_saveexec_b32 s15, s28
	s_cbranch_execz .LBB1759_244
.LBB1759_308:                           ;   in Loop: Header=BB1759_101 Depth=2
	v_dual_lshlrev_b32 v60, 2, v124 :: v_dual_add_nc_u32 v61, v93, v94
	ds_load_b32 v63, v60
	ds_load_b64 v[60:61], v61 offset:29696
	s_wait_dscnt 0x1
	v_add_nc_u32_e32 v63, v63, v81
	s_wait_dscnt 0x0
	global_store_b64 v63, v[60:61], s[44:45] scale_offset
	s_wait_xcnt 0x0
	s_or_b32 exec_lo, exec_lo, s15
	s_and_saveexec_b32 s15, s29
	s_cbranch_execnz .LBB1759_245
	s_branch .LBB1759_246
.LBB1759_309:                           ;   in Loop: Header=BB1759_17 Depth=1
	s_wait_dscnt 0x0
	s_barrier_signal -1
	s_mov_b32 s7, 0
	s_barrier_wait -1
.LBB1759_310:                           ;   in Loop: Header=BB1759_17 Depth=1
	s_and_b32 vcc_lo, exec_lo, s7
	s_cbranch_vccz .LBB1759_602
; %bb.311:                              ;   in Loop: Header=BB1759_17 Depth=1
	s_mov_b32 s7, s56
	s_mov_b32 s42, s54
	s_barrier_signal -1
	s_barrier_wait -1
                                        ; implicit-def: $vgpr23
                                        ; implicit-def: $vgpr24
                                        ; implicit-def: $vgpr25
                                        ; implicit-def: $vgpr26
                                        ; implicit-def: $vgpr27
                                        ; implicit-def: $vgpr28
                                        ; implicit-def: $vgpr29
                                        ; implicit-def: $vgpr30
                                        ; implicit-def: $vgpr31
                                        ; implicit-def: $vgpr32
                                        ; implicit-def: $vgpr33
                                        ; implicit-def: $vgpr34
                                        ; implicit-def: $vgpr35
                                        ; implicit-def: $vgpr36
                                        ; implicit-def: $vgpr37
                                        ; implicit-def: $vgpr38
	s_branch .LBB1759_313
.LBB1759_312:                           ;   in Loop: Header=BB1759_313 Depth=2
	s_or_b32 exec_lo, exec_lo, s8
	s_addk_co_i32 s7, 0xf000
	s_cmp_ge_u32 s10, s51
	s_mov_b32 s42, s10
	s_cbranch_scc1 .LBB1759_381
.LBB1759_313:                           ;   Parent Loop BB1759_17 Depth=1
                                        ; =>  This Inner Loop Header: Depth=2
	s_add_co_i32 s10, s42, 0x1000
	s_mov_b32 s8, -1
	s_cmp_gt_u32 s10, s51
                                        ; implicit-def: $vgpr39
                                        ; implicit-def: $vgpr40
                                        ; implicit-def: $vgpr41
                                        ; implicit-def: $vgpr42
                                        ; implicit-def: $vgpr43
                                        ; implicit-def: $vgpr44
                                        ; implicit-def: $vgpr45
                                        ; implicit-def: $vgpr46
                                        ; implicit-def: $vgpr47
                                        ; implicit-def: $vgpr48
                                        ; implicit-def: $vgpr49
                                        ; implicit-def: $vgpr50
                                        ; implicit-def: $vgpr51
                                        ; implicit-def: $vgpr52
                                        ; implicit-def: $vgpr53
                                        ; implicit-def: $vgpr54
	s_cbranch_scc1 .LBB1759_315
; %bb.314:                              ;   in Loop: Header=BB1759_313 Depth=2
	v_lshl_add_u64 v[54:55], s[42:43], 1, v[10:11]
	s_mov_b32 s8, 0
	s_clause 0xf
	global_load_u16 v39, v[54:55], off
	global_load_u16 v40, v[54:55], off offset:512
	global_load_u16 v41, v[54:55], off offset:1024
	;; [unrolled: 1-line block ×15, first 2 shown]
.LBB1759_315:                           ;   in Loop: Header=BB1759_313 Depth=2
	s_and_not1_b32 vcc_lo, exec_lo, s8
	s_movk_i32 s8, 0x1000
	s_cbranch_vccnz .LBB1759_334
; %bb.316:                              ;   in Loop: Header=BB1759_313 Depth=2
	s_lshl_b64 s[8:9], s[42:43], 1
	s_mov_b32 s11, exec_lo
	s_add_nc_u64 s[8:9], s[38:39], s[8:9]
	s_wait_xcnt 0x0
	v_cmpx_gt_u32_e64 s7, v2
	s_cbranch_execnz .LBB1759_366
; %bb.317:                              ;   in Loop: Header=BB1759_313 Depth=2
	s_or_b32 exec_lo, exec_lo, s11
	s_delay_alu instid0(SALU_CYCLE_1)
	s_mov_b32 s11, exec_lo
	v_cmpx_gt_u32_e64 s7, v68
	s_cbranch_execnz .LBB1759_367
.LBB1759_318:                           ;   in Loop: Header=BB1759_313 Depth=2
	s_or_b32 exec_lo, exec_lo, s11
	s_delay_alu instid0(SALU_CYCLE_1)
	s_mov_b32 s11, exec_lo
	v_cmpx_gt_u32_e64 s7, v69
	s_cbranch_execnz .LBB1759_368
.LBB1759_319:                           ;   in Loop: Header=BB1759_313 Depth=2
	s_or_b32 exec_lo, exec_lo, s11
	s_delay_alu instid0(SALU_CYCLE_1)
	s_mov_b32 s11, exec_lo
	v_cmpx_gt_u32_e64 s7, v70
	s_cbranch_execnz .LBB1759_369
.LBB1759_320:                           ;   in Loop: Header=BB1759_313 Depth=2
	s_or_b32 exec_lo, exec_lo, s11
	s_delay_alu instid0(SALU_CYCLE_1)
	s_mov_b32 s11, exec_lo
	v_cmpx_gt_u32_e64 s7, v71
	s_cbranch_execnz .LBB1759_370
.LBB1759_321:                           ;   in Loop: Header=BB1759_313 Depth=2
	s_or_b32 exec_lo, exec_lo, s11
	s_delay_alu instid0(SALU_CYCLE_1)
	s_mov_b32 s11, exec_lo
	v_cmpx_gt_u32_e64 s7, v72
	s_cbranch_execnz .LBB1759_371
.LBB1759_322:                           ;   in Loop: Header=BB1759_313 Depth=2
	s_or_b32 exec_lo, exec_lo, s11
	s_delay_alu instid0(SALU_CYCLE_1)
	s_mov_b32 s11, exec_lo
	v_cmpx_gt_u32_e64 s7, v73
	s_cbranch_execnz .LBB1759_372
.LBB1759_323:                           ;   in Loop: Header=BB1759_313 Depth=2
	s_or_b32 exec_lo, exec_lo, s11
	s_delay_alu instid0(SALU_CYCLE_1)
	s_mov_b32 s11, exec_lo
	v_cmpx_gt_u32_e64 s7, v74
	s_cbranch_execnz .LBB1759_373
.LBB1759_324:                           ;   in Loop: Header=BB1759_313 Depth=2
	s_or_b32 exec_lo, exec_lo, s11
	s_delay_alu instid0(SALU_CYCLE_1)
	s_mov_b32 s11, exec_lo
	v_cmpx_gt_u32_e64 s7, v75
	s_cbranch_execnz .LBB1759_374
.LBB1759_325:                           ;   in Loop: Header=BB1759_313 Depth=2
	s_or_b32 exec_lo, exec_lo, s11
	s_delay_alu instid0(SALU_CYCLE_1)
	s_mov_b32 s11, exec_lo
	v_cmpx_gt_u32_e64 s7, v76
	s_cbranch_execnz .LBB1759_375
.LBB1759_326:                           ;   in Loop: Header=BB1759_313 Depth=2
	s_or_b32 exec_lo, exec_lo, s11
	s_delay_alu instid0(SALU_CYCLE_1)
	s_mov_b32 s11, exec_lo
	v_cmpx_gt_u32_e64 s7, v77
	s_cbranch_execnz .LBB1759_376
.LBB1759_327:                           ;   in Loop: Header=BB1759_313 Depth=2
	s_or_b32 exec_lo, exec_lo, s11
	s_delay_alu instid0(SALU_CYCLE_1)
	s_mov_b32 s11, exec_lo
	v_cmpx_gt_u32_e64 s7, v78
	s_cbranch_execnz .LBB1759_377
.LBB1759_328:                           ;   in Loop: Header=BB1759_313 Depth=2
	s_or_b32 exec_lo, exec_lo, s11
	s_delay_alu instid0(SALU_CYCLE_1)
	s_mov_b32 s11, exec_lo
	v_cmpx_gt_u32_e64 s7, v79
	s_cbranch_execnz .LBB1759_378
.LBB1759_329:                           ;   in Loop: Header=BB1759_313 Depth=2
	s_or_b32 exec_lo, exec_lo, s11
	s_delay_alu instid0(SALU_CYCLE_1)
	s_mov_b32 s11, exec_lo
	v_cmpx_gt_u32_e64 s7, v80
	s_cbranch_execnz .LBB1759_379
.LBB1759_330:                           ;   in Loop: Header=BB1759_313 Depth=2
	s_or_b32 exec_lo, exec_lo, s11
	s_delay_alu instid0(SALU_CYCLE_1)
	s_mov_b32 s11, exec_lo
	v_cmpx_gt_u32_e64 s7, v81
	s_cbranch_execnz .LBB1759_380
.LBB1759_331:                           ;   in Loop: Header=BB1759_313 Depth=2
	s_or_b32 exec_lo, exec_lo, s11
	s_delay_alu instid0(SALU_CYCLE_1)
	s_mov_b32 s11, exec_lo
	v_cmpx_gt_u32_e64 s7, v82
	s_cbranch_execz .LBB1759_333
.LBB1759_332:                           ;   in Loop: Header=BB1759_313 Depth=2
	global_load_u16 v23, v2, s[8:9] offset:7680 scale_offset
.LBB1759_333:                           ;   in Loop: Header=BB1759_313 Depth=2
	s_wait_xcnt 0x0
	s_or_b32 exec_lo, exec_lo, s11
	s_wait_loadcnt 0x0
	v_dual_mov_b32 v39, v38 :: v_dual_mov_b32 v40, v37
	v_dual_mov_b32 v41, v36 :: v_dual_mov_b32 v42, v35
	;; [unrolled: 1-line block ×8, first 2 shown]
	s_mov_b32 s8, s7
.LBB1759_334:                           ;   in Loop: Header=BB1759_313 Depth=2
	s_wait_loadcnt 0x0
	s_delay_alu instid0(VALU_DEP_1)
	v_dual_mov_b32 v23, v54 :: v_dual_mov_b32 v24, v53
	v_dual_mov_b32 v25, v52 :: v_dual_mov_b32 v26, v51
	;; [unrolled: 1-line block ×8, first 2 shown]
	s_mov_b32 s9, exec_lo
	s_wait_xcnt 0x0
	v_cmpx_gt_u32_e64 s8, v2
	s_cbranch_execnz .LBB1759_350
; %bb.335:                              ;   in Loop: Header=BB1759_313 Depth=2
	s_or_b32 exec_lo, exec_lo, s9
	s_delay_alu instid0(SALU_CYCLE_1)
	s_mov_b32 s9, exec_lo
	v_cmpx_gt_u32_e64 s8, v68
	s_cbranch_execnz .LBB1759_351
.LBB1759_336:                           ;   in Loop: Header=BB1759_313 Depth=2
	s_or_b32 exec_lo, exec_lo, s9
	s_delay_alu instid0(SALU_CYCLE_1)
	s_mov_b32 s9, exec_lo
	v_cmpx_gt_u32_e64 s8, v69
	s_cbranch_execnz .LBB1759_352
.LBB1759_337:                           ;   in Loop: Header=BB1759_313 Depth=2
	s_or_b32 exec_lo, exec_lo, s9
	s_delay_alu instid0(SALU_CYCLE_1)
	s_mov_b32 s9, exec_lo
	v_cmpx_gt_u32_e64 s8, v70
	s_cbranch_execnz .LBB1759_353
.LBB1759_338:                           ;   in Loop: Header=BB1759_313 Depth=2
	s_or_b32 exec_lo, exec_lo, s9
	s_delay_alu instid0(SALU_CYCLE_1)
	s_mov_b32 s9, exec_lo
	v_cmpx_gt_u32_e64 s8, v71
	s_cbranch_execnz .LBB1759_354
.LBB1759_339:                           ;   in Loop: Header=BB1759_313 Depth=2
	s_or_b32 exec_lo, exec_lo, s9
	s_delay_alu instid0(SALU_CYCLE_1)
	s_mov_b32 s9, exec_lo
	v_cmpx_gt_u32_e64 s8, v72
	s_cbranch_execnz .LBB1759_355
.LBB1759_340:                           ;   in Loop: Header=BB1759_313 Depth=2
	s_or_b32 exec_lo, exec_lo, s9
	s_delay_alu instid0(SALU_CYCLE_1)
	s_mov_b32 s9, exec_lo
	v_cmpx_gt_u32_e64 s8, v73
	s_cbranch_execnz .LBB1759_356
.LBB1759_341:                           ;   in Loop: Header=BB1759_313 Depth=2
	s_or_b32 exec_lo, exec_lo, s9
	s_delay_alu instid0(SALU_CYCLE_1)
	s_mov_b32 s9, exec_lo
	v_cmpx_gt_u32_e64 s8, v74
	s_cbranch_execnz .LBB1759_357
.LBB1759_342:                           ;   in Loop: Header=BB1759_313 Depth=2
	s_or_b32 exec_lo, exec_lo, s9
	s_delay_alu instid0(SALU_CYCLE_1)
	s_mov_b32 s9, exec_lo
	v_cmpx_gt_u32_e64 s8, v75
	s_cbranch_execnz .LBB1759_358
.LBB1759_343:                           ;   in Loop: Header=BB1759_313 Depth=2
	s_or_b32 exec_lo, exec_lo, s9
	s_delay_alu instid0(SALU_CYCLE_1)
	s_mov_b32 s9, exec_lo
	v_cmpx_gt_u32_e64 s8, v76
	s_cbranch_execnz .LBB1759_359
.LBB1759_344:                           ;   in Loop: Header=BB1759_313 Depth=2
	s_or_b32 exec_lo, exec_lo, s9
	s_delay_alu instid0(SALU_CYCLE_1)
	s_mov_b32 s9, exec_lo
	v_cmpx_gt_u32_e64 s8, v77
	s_cbranch_execnz .LBB1759_360
.LBB1759_345:                           ;   in Loop: Header=BB1759_313 Depth=2
	s_or_b32 exec_lo, exec_lo, s9
	s_delay_alu instid0(SALU_CYCLE_1)
	s_mov_b32 s9, exec_lo
	v_cmpx_gt_u32_e64 s8, v78
	s_cbranch_execnz .LBB1759_361
.LBB1759_346:                           ;   in Loop: Header=BB1759_313 Depth=2
	s_or_b32 exec_lo, exec_lo, s9
	s_delay_alu instid0(SALU_CYCLE_1)
	s_mov_b32 s9, exec_lo
	v_cmpx_gt_u32_e64 s8, v79
	s_cbranch_execnz .LBB1759_362
.LBB1759_347:                           ;   in Loop: Header=BB1759_313 Depth=2
	s_or_b32 exec_lo, exec_lo, s9
	s_delay_alu instid0(SALU_CYCLE_1)
	s_mov_b32 s9, exec_lo
	v_cmpx_gt_u32_e64 s8, v80
	s_cbranch_execnz .LBB1759_363
.LBB1759_348:                           ;   in Loop: Header=BB1759_313 Depth=2
	s_or_b32 exec_lo, exec_lo, s9
	s_delay_alu instid0(SALU_CYCLE_1)
	s_mov_b32 s9, exec_lo
	v_cmpx_gt_u32_e64 s8, v81
	s_cbranch_execnz .LBB1759_364
.LBB1759_349:                           ;   in Loop: Header=BB1759_313 Depth=2
	s_or_b32 exec_lo, exec_lo, s9
	v_cmp_gt_u32_e32 vcc_lo, s8, v82
	s_and_saveexec_b32 s8, vcc_lo
	s_cbranch_execz .LBB1759_312
	s_branch .LBB1759_365
.LBB1759_350:                           ;   in Loop: Header=BB1759_313 Depth=2
	v_cmp_gt_i16_e32 vcc_lo, 0, v38
	v_cndmask_b32_e64 v39, 0x7fff, 0, vcc_lo
	s_delay_alu instid0(VALU_DEP_1) | instskip(NEXT) | instid1(VALU_DEP_1)
	v_xor_b32_e32 v39, v39, v38
	v_cmp_ne_u16_e32 vcc_lo, 0x8000, v39
	v_cndmask_b32_e32 v39, 0x7fff, v39, vcc_lo
	s_delay_alu instid0(VALU_DEP_1) | instskip(NEXT) | instid1(VALU_DEP_1)
	v_and_b32_e32 v39, 0xffff, v39
	v_lshrrev_b32_e32 v39, s48, v39
	s_delay_alu instid0(VALU_DEP_1) | instskip(NEXT) | instid1(VALU_DEP_1)
	v_and_b32_e32 v39, s52, v39
	v_lshl_or_b32 v39, v39, 4, v83
	ds_add_u32 v39, v96
	s_or_b32 exec_lo, exec_lo, s9
	s_delay_alu instid0(SALU_CYCLE_1)
	s_mov_b32 s9, exec_lo
	v_cmpx_gt_u32_e64 s8, v68
	s_cbranch_execz .LBB1759_336
.LBB1759_351:                           ;   in Loop: Header=BB1759_313 Depth=2
	v_cmp_gt_i16_e32 vcc_lo, 0, v37
	v_cndmask_b32_e64 v39, 0x7fff, 0, vcc_lo
	s_delay_alu instid0(VALU_DEP_1) | instskip(NEXT) | instid1(VALU_DEP_1)
	v_xor_b32_e32 v39, v39, v37
	v_cmp_ne_u16_e32 vcc_lo, 0x8000, v39
	v_cndmask_b32_e32 v39, 0x7fff, v39, vcc_lo
	s_delay_alu instid0(VALU_DEP_1) | instskip(NEXT) | instid1(VALU_DEP_1)
	v_and_b32_e32 v39, 0xffff, v39
	v_lshrrev_b32_e32 v39, s48, v39
	s_delay_alu instid0(VALU_DEP_1) | instskip(NEXT) | instid1(VALU_DEP_1)
	v_and_b32_e32 v39, s52, v39
	v_lshl_or_b32 v39, v39, 4, v83
	ds_add_u32 v39, v96
	s_or_b32 exec_lo, exec_lo, s9
	s_delay_alu instid0(SALU_CYCLE_1)
	s_mov_b32 s9, exec_lo
	v_cmpx_gt_u32_e64 s8, v69
	s_cbranch_execz .LBB1759_337
.LBB1759_352:                           ;   in Loop: Header=BB1759_313 Depth=2
	v_cmp_gt_i16_e32 vcc_lo, 0, v36
	v_cndmask_b32_e64 v39, 0x7fff, 0, vcc_lo
	s_delay_alu instid0(VALU_DEP_1) | instskip(NEXT) | instid1(VALU_DEP_1)
	v_xor_b32_e32 v39, v39, v36
	v_cmp_ne_u16_e32 vcc_lo, 0x8000, v39
	v_cndmask_b32_e32 v39, 0x7fff, v39, vcc_lo
	s_delay_alu instid0(VALU_DEP_1) | instskip(NEXT) | instid1(VALU_DEP_1)
	v_and_b32_e32 v39, 0xffff, v39
	v_lshrrev_b32_e32 v39, s48, v39
	s_delay_alu instid0(VALU_DEP_1) | instskip(NEXT) | instid1(VALU_DEP_1)
	v_and_b32_e32 v39, s52, v39
	v_lshl_or_b32 v39, v39, 4, v83
	ds_add_u32 v39, v96
	s_or_b32 exec_lo, exec_lo, s9
	s_delay_alu instid0(SALU_CYCLE_1)
	s_mov_b32 s9, exec_lo
	v_cmpx_gt_u32_e64 s8, v70
	s_cbranch_execz .LBB1759_338
.LBB1759_353:                           ;   in Loop: Header=BB1759_313 Depth=2
	v_cmp_gt_i16_e32 vcc_lo, 0, v35
	v_cndmask_b32_e64 v39, 0x7fff, 0, vcc_lo
	s_delay_alu instid0(VALU_DEP_1) | instskip(NEXT) | instid1(VALU_DEP_1)
	v_xor_b32_e32 v39, v39, v35
	v_cmp_ne_u16_e32 vcc_lo, 0x8000, v39
	v_cndmask_b32_e32 v39, 0x7fff, v39, vcc_lo
	s_delay_alu instid0(VALU_DEP_1) | instskip(NEXT) | instid1(VALU_DEP_1)
	v_and_b32_e32 v39, 0xffff, v39
	v_lshrrev_b32_e32 v39, s48, v39
	s_delay_alu instid0(VALU_DEP_1) | instskip(NEXT) | instid1(VALU_DEP_1)
	v_and_b32_e32 v39, s52, v39
	v_lshl_or_b32 v39, v39, 4, v83
	ds_add_u32 v39, v96
	s_or_b32 exec_lo, exec_lo, s9
	s_delay_alu instid0(SALU_CYCLE_1)
	s_mov_b32 s9, exec_lo
	v_cmpx_gt_u32_e64 s8, v71
	s_cbranch_execz .LBB1759_339
.LBB1759_354:                           ;   in Loop: Header=BB1759_313 Depth=2
	v_cmp_gt_i16_e32 vcc_lo, 0, v34
	v_cndmask_b32_e64 v39, 0x7fff, 0, vcc_lo
	s_delay_alu instid0(VALU_DEP_1) | instskip(NEXT) | instid1(VALU_DEP_1)
	v_xor_b32_e32 v39, v39, v34
	v_cmp_ne_u16_e32 vcc_lo, 0x8000, v39
	v_cndmask_b32_e32 v39, 0x7fff, v39, vcc_lo
	s_delay_alu instid0(VALU_DEP_1) | instskip(NEXT) | instid1(VALU_DEP_1)
	v_and_b32_e32 v39, 0xffff, v39
	v_lshrrev_b32_e32 v39, s48, v39
	s_delay_alu instid0(VALU_DEP_1) | instskip(NEXT) | instid1(VALU_DEP_1)
	v_and_b32_e32 v39, s52, v39
	v_lshl_or_b32 v39, v39, 4, v83
	ds_add_u32 v39, v96
	s_or_b32 exec_lo, exec_lo, s9
	s_delay_alu instid0(SALU_CYCLE_1)
	s_mov_b32 s9, exec_lo
	v_cmpx_gt_u32_e64 s8, v72
	s_cbranch_execz .LBB1759_340
.LBB1759_355:                           ;   in Loop: Header=BB1759_313 Depth=2
	v_cmp_gt_i16_e32 vcc_lo, 0, v33
	v_cndmask_b32_e64 v39, 0x7fff, 0, vcc_lo
	s_delay_alu instid0(VALU_DEP_1) | instskip(NEXT) | instid1(VALU_DEP_1)
	v_xor_b32_e32 v39, v39, v33
	v_cmp_ne_u16_e32 vcc_lo, 0x8000, v39
	v_cndmask_b32_e32 v39, 0x7fff, v39, vcc_lo
	s_delay_alu instid0(VALU_DEP_1) | instskip(NEXT) | instid1(VALU_DEP_1)
	v_and_b32_e32 v39, 0xffff, v39
	v_lshrrev_b32_e32 v39, s48, v39
	s_delay_alu instid0(VALU_DEP_1) | instskip(NEXT) | instid1(VALU_DEP_1)
	v_and_b32_e32 v39, s52, v39
	v_lshl_or_b32 v39, v39, 4, v83
	ds_add_u32 v39, v96
	s_or_b32 exec_lo, exec_lo, s9
	s_delay_alu instid0(SALU_CYCLE_1)
	s_mov_b32 s9, exec_lo
	v_cmpx_gt_u32_e64 s8, v73
	s_cbranch_execz .LBB1759_341
.LBB1759_356:                           ;   in Loop: Header=BB1759_313 Depth=2
	v_cmp_gt_i16_e32 vcc_lo, 0, v32
	v_cndmask_b32_e64 v39, 0x7fff, 0, vcc_lo
	s_delay_alu instid0(VALU_DEP_1) | instskip(NEXT) | instid1(VALU_DEP_1)
	v_xor_b32_e32 v39, v39, v32
	v_cmp_ne_u16_e32 vcc_lo, 0x8000, v39
	v_cndmask_b32_e32 v39, 0x7fff, v39, vcc_lo
	s_delay_alu instid0(VALU_DEP_1) | instskip(NEXT) | instid1(VALU_DEP_1)
	v_and_b32_e32 v39, 0xffff, v39
	v_lshrrev_b32_e32 v39, s48, v39
	s_delay_alu instid0(VALU_DEP_1) | instskip(NEXT) | instid1(VALU_DEP_1)
	v_and_b32_e32 v39, s52, v39
	v_lshl_or_b32 v39, v39, 4, v83
	ds_add_u32 v39, v96
	s_or_b32 exec_lo, exec_lo, s9
	s_delay_alu instid0(SALU_CYCLE_1)
	s_mov_b32 s9, exec_lo
	v_cmpx_gt_u32_e64 s8, v74
	s_cbranch_execz .LBB1759_342
.LBB1759_357:                           ;   in Loop: Header=BB1759_313 Depth=2
	v_cmp_gt_i16_e32 vcc_lo, 0, v31
	v_cndmask_b32_e64 v39, 0x7fff, 0, vcc_lo
	s_delay_alu instid0(VALU_DEP_1) | instskip(NEXT) | instid1(VALU_DEP_1)
	v_xor_b32_e32 v39, v39, v31
	v_cmp_ne_u16_e32 vcc_lo, 0x8000, v39
	v_cndmask_b32_e32 v39, 0x7fff, v39, vcc_lo
	s_delay_alu instid0(VALU_DEP_1) | instskip(NEXT) | instid1(VALU_DEP_1)
	v_and_b32_e32 v39, 0xffff, v39
	v_lshrrev_b32_e32 v39, s48, v39
	s_delay_alu instid0(VALU_DEP_1) | instskip(NEXT) | instid1(VALU_DEP_1)
	v_and_b32_e32 v39, s52, v39
	v_lshl_or_b32 v39, v39, 4, v83
	ds_add_u32 v39, v96
	s_or_b32 exec_lo, exec_lo, s9
	s_delay_alu instid0(SALU_CYCLE_1)
	s_mov_b32 s9, exec_lo
	v_cmpx_gt_u32_e64 s8, v75
	s_cbranch_execz .LBB1759_343
.LBB1759_358:                           ;   in Loop: Header=BB1759_313 Depth=2
	v_cmp_gt_i16_e32 vcc_lo, 0, v30
	v_cndmask_b32_e64 v39, 0x7fff, 0, vcc_lo
	s_delay_alu instid0(VALU_DEP_1) | instskip(NEXT) | instid1(VALU_DEP_1)
	v_xor_b32_e32 v39, v39, v30
	v_cmp_ne_u16_e32 vcc_lo, 0x8000, v39
	v_cndmask_b32_e32 v39, 0x7fff, v39, vcc_lo
	s_delay_alu instid0(VALU_DEP_1) | instskip(NEXT) | instid1(VALU_DEP_1)
	v_and_b32_e32 v39, 0xffff, v39
	v_lshrrev_b32_e32 v39, s48, v39
	s_delay_alu instid0(VALU_DEP_1) | instskip(NEXT) | instid1(VALU_DEP_1)
	v_and_b32_e32 v39, s52, v39
	v_lshl_or_b32 v39, v39, 4, v83
	ds_add_u32 v39, v96
	s_or_b32 exec_lo, exec_lo, s9
	s_delay_alu instid0(SALU_CYCLE_1)
	s_mov_b32 s9, exec_lo
	v_cmpx_gt_u32_e64 s8, v76
	s_cbranch_execz .LBB1759_344
.LBB1759_359:                           ;   in Loop: Header=BB1759_313 Depth=2
	v_cmp_gt_i16_e32 vcc_lo, 0, v29
	v_cndmask_b32_e64 v39, 0x7fff, 0, vcc_lo
	s_delay_alu instid0(VALU_DEP_1) | instskip(NEXT) | instid1(VALU_DEP_1)
	v_xor_b32_e32 v39, v39, v29
	v_cmp_ne_u16_e32 vcc_lo, 0x8000, v39
	v_cndmask_b32_e32 v39, 0x7fff, v39, vcc_lo
	s_delay_alu instid0(VALU_DEP_1) | instskip(NEXT) | instid1(VALU_DEP_1)
	v_and_b32_e32 v39, 0xffff, v39
	v_lshrrev_b32_e32 v39, s48, v39
	s_delay_alu instid0(VALU_DEP_1) | instskip(NEXT) | instid1(VALU_DEP_1)
	v_and_b32_e32 v39, s52, v39
	v_lshl_or_b32 v39, v39, 4, v83
	ds_add_u32 v39, v96
	s_or_b32 exec_lo, exec_lo, s9
	s_delay_alu instid0(SALU_CYCLE_1)
	s_mov_b32 s9, exec_lo
	v_cmpx_gt_u32_e64 s8, v77
	s_cbranch_execz .LBB1759_345
.LBB1759_360:                           ;   in Loop: Header=BB1759_313 Depth=2
	v_cmp_gt_i16_e32 vcc_lo, 0, v28
	v_cndmask_b32_e64 v39, 0x7fff, 0, vcc_lo
	s_delay_alu instid0(VALU_DEP_1) | instskip(NEXT) | instid1(VALU_DEP_1)
	v_xor_b32_e32 v39, v39, v28
	v_cmp_ne_u16_e32 vcc_lo, 0x8000, v39
	v_cndmask_b32_e32 v39, 0x7fff, v39, vcc_lo
	s_delay_alu instid0(VALU_DEP_1) | instskip(NEXT) | instid1(VALU_DEP_1)
	v_and_b32_e32 v39, 0xffff, v39
	v_lshrrev_b32_e32 v39, s48, v39
	s_delay_alu instid0(VALU_DEP_1) | instskip(NEXT) | instid1(VALU_DEP_1)
	v_and_b32_e32 v39, s52, v39
	v_lshl_or_b32 v39, v39, 4, v83
	ds_add_u32 v39, v96
	s_or_b32 exec_lo, exec_lo, s9
	s_delay_alu instid0(SALU_CYCLE_1)
	s_mov_b32 s9, exec_lo
	v_cmpx_gt_u32_e64 s8, v78
	s_cbranch_execz .LBB1759_346
.LBB1759_361:                           ;   in Loop: Header=BB1759_313 Depth=2
	v_cmp_gt_i16_e32 vcc_lo, 0, v27
	v_cndmask_b32_e64 v39, 0x7fff, 0, vcc_lo
	s_delay_alu instid0(VALU_DEP_1) | instskip(NEXT) | instid1(VALU_DEP_1)
	v_xor_b32_e32 v39, v39, v27
	v_cmp_ne_u16_e32 vcc_lo, 0x8000, v39
	v_cndmask_b32_e32 v39, 0x7fff, v39, vcc_lo
	s_delay_alu instid0(VALU_DEP_1) | instskip(NEXT) | instid1(VALU_DEP_1)
	v_and_b32_e32 v39, 0xffff, v39
	v_lshrrev_b32_e32 v39, s48, v39
	s_delay_alu instid0(VALU_DEP_1) | instskip(NEXT) | instid1(VALU_DEP_1)
	v_and_b32_e32 v39, s52, v39
	v_lshl_or_b32 v39, v39, 4, v83
	ds_add_u32 v39, v96
	s_or_b32 exec_lo, exec_lo, s9
	s_delay_alu instid0(SALU_CYCLE_1)
	s_mov_b32 s9, exec_lo
	v_cmpx_gt_u32_e64 s8, v79
	s_cbranch_execz .LBB1759_347
.LBB1759_362:                           ;   in Loop: Header=BB1759_313 Depth=2
	v_cmp_gt_i16_e32 vcc_lo, 0, v26
	v_cndmask_b32_e64 v39, 0x7fff, 0, vcc_lo
	s_delay_alu instid0(VALU_DEP_1) | instskip(NEXT) | instid1(VALU_DEP_1)
	v_xor_b32_e32 v39, v39, v26
	v_cmp_ne_u16_e32 vcc_lo, 0x8000, v39
	v_cndmask_b32_e32 v39, 0x7fff, v39, vcc_lo
	s_delay_alu instid0(VALU_DEP_1) | instskip(NEXT) | instid1(VALU_DEP_1)
	v_and_b32_e32 v39, 0xffff, v39
	v_lshrrev_b32_e32 v39, s48, v39
	s_delay_alu instid0(VALU_DEP_1) | instskip(NEXT) | instid1(VALU_DEP_1)
	v_and_b32_e32 v39, s52, v39
	v_lshl_or_b32 v39, v39, 4, v83
	ds_add_u32 v39, v96
	s_or_b32 exec_lo, exec_lo, s9
	s_delay_alu instid0(SALU_CYCLE_1)
	s_mov_b32 s9, exec_lo
	v_cmpx_gt_u32_e64 s8, v80
	s_cbranch_execz .LBB1759_348
.LBB1759_363:                           ;   in Loop: Header=BB1759_313 Depth=2
	v_cmp_gt_i16_e32 vcc_lo, 0, v25
	v_cndmask_b32_e64 v39, 0x7fff, 0, vcc_lo
	s_delay_alu instid0(VALU_DEP_1) | instskip(NEXT) | instid1(VALU_DEP_1)
	v_xor_b32_e32 v39, v39, v25
	v_cmp_ne_u16_e32 vcc_lo, 0x8000, v39
	v_cndmask_b32_e32 v39, 0x7fff, v39, vcc_lo
	s_delay_alu instid0(VALU_DEP_1) | instskip(NEXT) | instid1(VALU_DEP_1)
	v_and_b32_e32 v39, 0xffff, v39
	v_lshrrev_b32_e32 v39, s48, v39
	s_delay_alu instid0(VALU_DEP_1) | instskip(NEXT) | instid1(VALU_DEP_1)
	v_and_b32_e32 v39, s52, v39
	v_lshl_or_b32 v39, v39, 4, v83
	ds_add_u32 v39, v96
	s_or_b32 exec_lo, exec_lo, s9
	s_delay_alu instid0(SALU_CYCLE_1)
	s_mov_b32 s9, exec_lo
	v_cmpx_gt_u32_e64 s8, v81
	s_cbranch_execz .LBB1759_349
.LBB1759_364:                           ;   in Loop: Header=BB1759_313 Depth=2
	v_cmp_gt_i16_e32 vcc_lo, 0, v24
	v_cndmask_b32_e64 v39, 0x7fff, 0, vcc_lo
	s_delay_alu instid0(VALU_DEP_1) | instskip(NEXT) | instid1(VALU_DEP_1)
	v_xor_b32_e32 v39, v39, v24
	v_cmp_ne_u16_e32 vcc_lo, 0x8000, v39
	v_cndmask_b32_e32 v39, 0x7fff, v39, vcc_lo
	s_delay_alu instid0(VALU_DEP_1) | instskip(NEXT) | instid1(VALU_DEP_1)
	v_and_b32_e32 v39, 0xffff, v39
	v_lshrrev_b32_e32 v39, s48, v39
	s_delay_alu instid0(VALU_DEP_1) | instskip(NEXT) | instid1(VALU_DEP_1)
	v_and_b32_e32 v39, s52, v39
	v_lshl_or_b32 v39, v39, 4, v83
	ds_add_u32 v39, v96
	s_or_b32 exec_lo, exec_lo, s9
	v_cmp_gt_u32_e32 vcc_lo, s8, v82
	s_and_saveexec_b32 s8, vcc_lo
	s_cbranch_execz .LBB1759_312
.LBB1759_365:                           ;   in Loop: Header=BB1759_313 Depth=2
	v_cmp_gt_i16_e32 vcc_lo, 0, v23
	v_cndmask_b32_e64 v39, 0x7fff, 0, vcc_lo
	s_delay_alu instid0(VALU_DEP_1) | instskip(NEXT) | instid1(VALU_DEP_1)
	v_xor_b32_e32 v39, v39, v23
	v_cmp_ne_u16_e32 vcc_lo, 0x8000, v39
	v_cndmask_b32_e32 v39, 0x7fff, v39, vcc_lo
	s_delay_alu instid0(VALU_DEP_1) | instskip(NEXT) | instid1(VALU_DEP_1)
	v_and_b32_e32 v39, 0xffff, v39
	v_lshrrev_b32_e32 v39, s48, v39
	s_delay_alu instid0(VALU_DEP_1) | instskip(NEXT) | instid1(VALU_DEP_1)
	v_and_b32_e32 v39, s52, v39
	v_lshl_or_b32 v39, v39, 4, v83
	ds_add_u32 v39, v96
	s_branch .LBB1759_312
.LBB1759_366:                           ;   in Loop: Header=BB1759_313 Depth=2
	global_load_u16 v38, v2, s[8:9] scale_offset
	s_wait_xcnt 0x0
	s_or_b32 exec_lo, exec_lo, s11
	s_delay_alu instid0(SALU_CYCLE_1)
	s_mov_b32 s11, exec_lo
	v_cmpx_gt_u32_e64 s7, v68
	s_cbranch_execz .LBB1759_318
.LBB1759_367:                           ;   in Loop: Header=BB1759_313 Depth=2
	global_load_u16 v37, v2, s[8:9] offset:512 scale_offset
	s_wait_xcnt 0x0
	s_or_b32 exec_lo, exec_lo, s11
	s_delay_alu instid0(SALU_CYCLE_1)
	s_mov_b32 s11, exec_lo
	v_cmpx_gt_u32_e64 s7, v69
	s_cbranch_execz .LBB1759_319
.LBB1759_368:                           ;   in Loop: Header=BB1759_313 Depth=2
	global_load_u16 v36, v2, s[8:9] offset:1024 scale_offset
	s_wait_xcnt 0x0
	s_or_b32 exec_lo, exec_lo, s11
	s_delay_alu instid0(SALU_CYCLE_1)
	s_mov_b32 s11, exec_lo
	v_cmpx_gt_u32_e64 s7, v70
	s_cbranch_execz .LBB1759_320
.LBB1759_369:                           ;   in Loop: Header=BB1759_313 Depth=2
	global_load_u16 v35, v2, s[8:9] offset:1536 scale_offset
	s_wait_xcnt 0x0
	s_or_b32 exec_lo, exec_lo, s11
	s_delay_alu instid0(SALU_CYCLE_1)
	s_mov_b32 s11, exec_lo
	v_cmpx_gt_u32_e64 s7, v71
	s_cbranch_execz .LBB1759_321
.LBB1759_370:                           ;   in Loop: Header=BB1759_313 Depth=2
	global_load_u16 v34, v2, s[8:9] offset:2048 scale_offset
	s_wait_xcnt 0x0
	s_or_b32 exec_lo, exec_lo, s11
	s_delay_alu instid0(SALU_CYCLE_1)
	s_mov_b32 s11, exec_lo
	v_cmpx_gt_u32_e64 s7, v72
	s_cbranch_execz .LBB1759_322
.LBB1759_371:                           ;   in Loop: Header=BB1759_313 Depth=2
	global_load_u16 v33, v2, s[8:9] offset:2560 scale_offset
	s_wait_xcnt 0x0
	s_or_b32 exec_lo, exec_lo, s11
	s_delay_alu instid0(SALU_CYCLE_1)
	s_mov_b32 s11, exec_lo
	v_cmpx_gt_u32_e64 s7, v73
	s_cbranch_execz .LBB1759_323
.LBB1759_372:                           ;   in Loop: Header=BB1759_313 Depth=2
	global_load_u16 v32, v2, s[8:9] offset:3072 scale_offset
	s_wait_xcnt 0x0
	s_or_b32 exec_lo, exec_lo, s11
	s_delay_alu instid0(SALU_CYCLE_1)
	s_mov_b32 s11, exec_lo
	v_cmpx_gt_u32_e64 s7, v74
	s_cbranch_execz .LBB1759_324
.LBB1759_373:                           ;   in Loop: Header=BB1759_313 Depth=2
	global_load_u16 v31, v2, s[8:9] offset:3584 scale_offset
	s_wait_xcnt 0x0
	s_or_b32 exec_lo, exec_lo, s11
	s_delay_alu instid0(SALU_CYCLE_1)
	s_mov_b32 s11, exec_lo
	v_cmpx_gt_u32_e64 s7, v75
	s_cbranch_execz .LBB1759_325
.LBB1759_374:                           ;   in Loop: Header=BB1759_313 Depth=2
	global_load_u16 v30, v2, s[8:9] offset:4096 scale_offset
	s_wait_xcnt 0x0
	s_or_b32 exec_lo, exec_lo, s11
	s_delay_alu instid0(SALU_CYCLE_1)
	s_mov_b32 s11, exec_lo
	v_cmpx_gt_u32_e64 s7, v76
	s_cbranch_execz .LBB1759_326
.LBB1759_375:                           ;   in Loop: Header=BB1759_313 Depth=2
	global_load_u16 v29, v2, s[8:9] offset:4608 scale_offset
	s_wait_xcnt 0x0
	s_or_b32 exec_lo, exec_lo, s11
	s_delay_alu instid0(SALU_CYCLE_1)
	s_mov_b32 s11, exec_lo
	v_cmpx_gt_u32_e64 s7, v77
	s_cbranch_execz .LBB1759_327
.LBB1759_376:                           ;   in Loop: Header=BB1759_313 Depth=2
	global_load_u16 v28, v2, s[8:9] offset:5120 scale_offset
	s_wait_xcnt 0x0
	s_or_b32 exec_lo, exec_lo, s11
	s_delay_alu instid0(SALU_CYCLE_1)
	s_mov_b32 s11, exec_lo
	v_cmpx_gt_u32_e64 s7, v78
	s_cbranch_execz .LBB1759_328
.LBB1759_377:                           ;   in Loop: Header=BB1759_313 Depth=2
	global_load_u16 v27, v2, s[8:9] offset:5632 scale_offset
	s_wait_xcnt 0x0
	s_or_b32 exec_lo, exec_lo, s11
	s_delay_alu instid0(SALU_CYCLE_1)
	s_mov_b32 s11, exec_lo
	v_cmpx_gt_u32_e64 s7, v79
	s_cbranch_execz .LBB1759_329
.LBB1759_378:                           ;   in Loop: Header=BB1759_313 Depth=2
	global_load_u16 v26, v2, s[8:9] offset:6144 scale_offset
	s_wait_xcnt 0x0
	s_or_b32 exec_lo, exec_lo, s11
	s_delay_alu instid0(SALU_CYCLE_1)
	s_mov_b32 s11, exec_lo
	v_cmpx_gt_u32_e64 s7, v80
	s_cbranch_execz .LBB1759_330
.LBB1759_379:                           ;   in Loop: Header=BB1759_313 Depth=2
	global_load_u16 v25, v2, s[8:9] offset:6656 scale_offset
	s_wait_xcnt 0x0
	s_or_b32 exec_lo, exec_lo, s11
	s_delay_alu instid0(SALU_CYCLE_1)
	s_mov_b32 s11, exec_lo
	v_cmpx_gt_u32_e64 s7, v81
	s_cbranch_execz .LBB1759_331
.LBB1759_380:                           ;   in Loop: Header=BB1759_313 Depth=2
	global_load_u16 v24, v2, s[8:9] offset:7168 scale_offset
	s_wait_xcnt 0x0
	s_or_b32 exec_lo, exec_lo, s11
	s_delay_alu instid0(SALU_CYCLE_1)
	s_mov_b32 s11, exec_lo
	v_cmpx_gt_u32_e64 s7, v82
	s_cbranch_execnz .LBB1759_332
	s_branch .LBB1759_333
.LBB1759_381:                           ;   in Loop: Header=BB1759_17 Depth=1
	v_mov_b32_e32 v23, 0
	s_wait_dscnt 0x0
	s_barrier_signal -1
	s_barrier_wait -1
	s_and_saveexec_b32 s7, s0
	s_cbranch_execz .LBB1759_383
; %bb.382:                              ;   in Loop: Header=BB1759_17 Depth=1
	ds_load_2addr_b64 v[24:27], v85 offset1:1
	s_wait_dscnt 0x0
	v_add_nc_u32_e32 v23, v25, v24
	s_delay_alu instid0(VALU_DEP_1)
	v_add3_u32 v23, v23, v26, v27
.LBB1759_383:                           ;   in Loop: Header=BB1759_17 Depth=1
	s_or_b32 exec_lo, exec_lo, s7
	s_delay_alu instid0(VALU_DEP_1)
	v_mov_b32_dpp v24, v23 row_shr:1 row_mask:0xf bank_mask:0xf
	v_cmp_eq_u32_e64 s7, 0, v97
	v_cmp_lt_u32_e64 s8, 1, v97
	v_cmp_lt_u32_e64 s9, 3, v97
	;; [unrolled: 1-line block ×3, first 2 shown]
	v_cmp_eq_u32_e64 s11, 0, v99
	v_cndmask_b32_e64 v24, v24, 0, s7
	s_delay_alu instid0(VALU_DEP_1) | instskip(NEXT) | instid1(VALU_DEP_1)
	v_add_nc_u32_e32 v23, v24, v23
	v_mov_b32_dpp v24, v23 row_shr:2 row_mask:0xf bank_mask:0xf
	s_delay_alu instid0(VALU_DEP_1) | instskip(NEXT) | instid1(VALU_DEP_1)
	v_cndmask_b32_e64 v24, 0, v24, s8
	v_add_nc_u32_e32 v23, v23, v24
	s_delay_alu instid0(VALU_DEP_1) | instskip(NEXT) | instid1(VALU_DEP_1)
	v_mov_b32_dpp v24, v23 row_shr:4 row_mask:0xf bank_mask:0xf
	v_cndmask_b32_e64 v24, 0, v24, s9
	s_delay_alu instid0(VALU_DEP_1) | instskip(NEXT) | instid1(VALU_DEP_1)
	v_add_nc_u32_e32 v23, v23, v24
	v_mov_b32_dpp v24, v23 row_shr:8 row_mask:0xf bank_mask:0xf
	s_delay_alu instid0(VALU_DEP_1) | instskip(NEXT) | instid1(VALU_DEP_1)
	v_cndmask_b32_e64 v24, 0, v24, s10
	v_add_nc_u32_e32 v23, v23, v24
	ds_swizzle_b32 v24, v23 offset:swizzle(BROADCAST,32,15)
	s_wait_dscnt 0x0
	v_and_b32_e32 v24, v98, v24
	s_delay_alu instid0(VALU_DEP_1)
	v_add_nc_u32_e32 v23, v23, v24
	s_and_saveexec_b32 s12, s1
; %bb.384:                              ;   in Loop: Header=BB1759_17 Depth=1
	ds_store_b32 v86, v23
; %bb.385:                              ;   in Loop: Header=BB1759_17 Depth=1
	s_or_b32 exec_lo, exec_lo, s12
	s_wait_dscnt 0x0
	s_barrier_signal -1
	s_barrier_wait -1
	s_and_saveexec_b32 s12, s4
	s_cbranch_execz .LBB1759_387
; %bb.386:                              ;   in Loop: Header=BB1759_17 Depth=1
	ds_load_b32 v24, v87
	v_cmp_ne_u32_e32 vcc_lo, 0, v101
	s_wait_dscnt 0x0
	v_mov_b32_dpp v25, v24 row_shr:1 row_mask:0xf bank_mask:0xf
	s_delay_alu instid0(VALU_DEP_1) | instskip(SKIP_1) | instid1(VALU_DEP_2)
	v_cndmask_b32_e32 v25, 0, v25, vcc_lo
	v_cmp_lt_u32_e32 vcc_lo, 1, v101
	v_add_nc_u32_e32 v24, v25, v24
	s_delay_alu instid0(VALU_DEP_1) | instskip(NEXT) | instid1(VALU_DEP_1)
	v_mov_b32_dpp v25, v24 row_shr:2 row_mask:0xf bank_mask:0xf
	v_cndmask_b32_e32 v25, 0, v25, vcc_lo
	v_cmp_lt_u32_e32 vcc_lo, 3, v101
	s_delay_alu instid0(VALU_DEP_2) | instskip(NEXT) | instid1(VALU_DEP_1)
	v_add_nc_u32_e32 v24, v24, v25
	v_mov_b32_dpp v25, v24 row_shr:4 row_mask:0xf bank_mask:0xf
	s_delay_alu instid0(VALU_DEP_1) | instskip(NEXT) | instid1(VALU_DEP_1)
	v_cndmask_b32_e32 v25, 0, v25, vcc_lo
	v_add_nc_u32_e32 v24, v24, v25
	ds_store_b32 v87, v24
.LBB1759_387:                           ;   in Loop: Header=BB1759_17 Depth=1
	s_or_b32 exec_lo, exec_lo, s12
	v_mov_b32_e32 v24, 0
	s_wait_dscnt 0x0
	s_barrier_signal -1
	s_barrier_wait -1
	s_and_saveexec_b32 s12, s5
; %bb.388:                              ;   in Loop: Header=BB1759_17 Depth=1
	ds_load_b32 v24, v88
; %bb.389:                              ;   in Loop: Header=BB1759_17 Depth=1
	s_or_b32 exec_lo, exec_lo, s12
	v_cmp_gt_i32_e32 vcc_lo, 0, v102
	s_wait_dscnt 0x0
	s_barrier_signal -1
	s_barrier_wait -1
	v_cndmask_b32_e32 v25, v102, v95, vcc_lo
	s_delay_alu instid0(VALU_DEP_1)
	v_dual_add_nc_u32 v23, v24, v23 :: v_dual_lshlrev_b32 v122, 2, v25
	ds_bpermute_b32 v23, v122, v23
	s_and_saveexec_b32 s12, s0
	s_cbranch_execz .LBB1759_391
; %bb.390:                              ;   in Loop: Header=BB1759_17 Depth=1
	s_wait_dscnt 0x0
	v_cndmask_b32_e64 v23, v23, v24, s6
	s_delay_alu instid0(VALU_DEP_1)
	v_add_nc_u32_e32 v23, s54, v23
	ds_store_b32 v3, v23
.LBB1759_391:                           ;   in Loop: Header=BB1759_17 Depth=1
	s_or_b32 exec_lo, exec_lo, s12
	s_load_b64 s[12:13], s[34:35], 0x0
	s_mov_b32 s53, s56
                                        ; implicit-def: $vgpr30_vgpr31
                                        ; implicit-def: $vgpr32_vgpr33
                                        ; implicit-def: $vgpr34_vgpr35
                                        ; implicit-def: $vgpr36_vgpr37
                                        ; implicit-def: $vgpr38_vgpr39
                                        ; implicit-def: $vgpr40_vgpr41
                                        ; implicit-def: $vgpr42_vgpr43
                                        ; implicit-def: $vgpr44_vgpr45
                                        ; implicit-def: $vgpr46_vgpr47
                                        ; implicit-def: $vgpr48_vgpr49
                                        ; implicit-def: $vgpr50_vgpr51
                                        ; implicit-def: $vgpr52_vgpr53
                                        ; implicit-def: $vgpr54_vgpr55
                                        ; implicit-def: $vgpr56_vgpr57
                                        ; implicit-def: $vgpr58_vgpr59
                                        ; implicit-def: $vgpr123
                                        ; implicit-def: $vgpr124
                                        ; implicit-def: $vgpr125
                                        ; implicit-def: $vgpr126
                                        ; implicit-def: $vgpr127
                                        ; implicit-def: $vgpr128
                                        ; implicit-def: $vgpr129
                                        ; implicit-def: $vgpr130
                                        ; implicit-def: $vgpr131
                                        ; implicit-def: $vgpr132
                                        ; implicit-def: $vgpr133
                                        ; implicit-def: $vgpr134
                                        ; implicit-def: $vgpr135
                                        ; implicit-def: $vgpr136
                                        ; implicit-def: $vgpr137
                                        ; implicit-def: $vgpr138
	s_wait_kmcnt 0x0
	s_cmp_lt_u32 s33, s12
	s_cselect_b32 s42, 12, 18
	s_cmp_lt_u32 s31, s13
	s_mov_b32 s13, s43
	s_cselect_b32 s12, 14, 20
	s_delay_alu instid0(SALU_CYCLE_1)
	s_add_nc_u64 s[12:13], s[34:35], s[12:13]
	s_load_u16 s14, s[12:13], 0x0
	s_wait_xcnt 0x0
	s_add_nc_u64 s[12:13], s[34:35], s[42:43]
	s_mov_b32 s42, s54
	s_load_u16 s12, s[12:13], 0x0
	s_wait_xcnt 0x0
	v_cmp_lt_u32_e64 s13, 1, v101
	s_wait_dscnt 0x0
	s_wait_kmcnt 0x0
	v_mad_u32_u24 v23, v89, s14, v90
	v_cmp_lt_u32_e64 s14, 3, v101
	s_delay_alu instid0(VALU_DEP_2) | instskip(SKIP_2) | instid1(VALU_DEP_3)
	v_mad_u32 v24, v23, s12, v2
	v_mov_b32_e32 v23, v5
	v_cmp_eq_u32_e64 s12, 0, v101
	v_lshrrev_b32_e32 v28, 3, v24
	v_add_nc_u64_e32 v[24:25], v[12:13], v[4:5]
	s_delay_alu instid0(VALU_DEP_4) | instskip(NEXT) | instid1(VALU_DEP_3)
	v_add_nc_u64_e32 v[26:27], v[14:15], v[22:23]
	v_and_b32_e32 v23, 0x1ffffffc, v28
                                        ; implicit-def: $vgpr28_vgpr29
	s_branch .LBB1759_393
.LBB1759_392:                           ;   in Loop: Header=BB1759_393 Depth=2
	s_or_b32 exec_lo, exec_lo, s15
	s_addk_co_i32 s53, 0xf000
	s_cmp_lt_u32 s57, s51
	s_mov_b32 s42, s57
	s_cbranch_scc0 .LBB1759_601
.LBB1759_393:                           ;   Parent Loop BB1759_17 Depth=1
                                        ; =>  This Inner Loop Header: Depth=2
	s_add_co_i32 s57, s42, 0x1000
	s_delay_alu instid0(SALU_CYCLE_1)
	s_cmp_gt_u32 s57, s51
	s_cbranch_scc1 .LBB1759_395
; %bb.394:                              ;   in Loop: Header=BB1759_393 Depth=2
	s_delay_alu instid0(VALU_DEP_2)
	v_lshl_add_u64 v[60:61], s[42:43], 1, v[26:27]
	s_mov_b32 s15, -1
	s_clause 0xe
	global_load_u16 v140, v[60:61], off
	global_load_u16 v141, v[60:61], off offset:64
	global_load_u16 v144, v[60:61], off offset:128
	;; [unrolled: 1-line block ×14, first 2 shown]
	s_movk_i32 s16, 0x1000
	s_cbranch_execz .LBB1759_396
	s_branch .LBB1759_427
.LBB1759_395:                           ;   in Loop: Header=BB1759_393 Depth=2
	s_mov_b32 s15, 0
                                        ; implicit-def: $vgpr140
                                        ; implicit-def: $vgpr141
                                        ; implicit-def: $vgpr144
                                        ; implicit-def: $vgpr148
                                        ; implicit-def: $vgpr152
                                        ; implicit-def: $vgpr156
                                        ; implicit-def: $vgpr160
                                        ; implicit-def: $vgpr164
                                        ; implicit-def: $vgpr168
                                        ; implicit-def: $vgpr67
                                        ; implicit-def: $vgpr66
                                        ; implicit-def: $vgpr65
                                        ; implicit-def: $vgpr64
                                        ; implicit-def: $vgpr63
                                        ; implicit-def: $vgpr62
	s_movk_i32 s16, 0x1000
.LBB1759_396:                           ;   in Loop: Header=BB1759_393 Depth=2
	s_wait_xcnt 0x0
	v_lshl_add_u64 v[60:61], s[42:43], 1, v[26:27]
	s_wait_loadcnt 0xd
	v_dual_mov_b32 v141, -1 :: v_dual_mov_b32 v140, -1
	s_mov_b32 s15, exec_lo
	v_cmpx_gt_u32_e64 s53, v100
	s_cbranch_execz .LBB1759_398
; %bb.397:                              ;   in Loop: Header=BB1759_393 Depth=2
	global_load_u16 v140, v[60:61], off
.LBB1759_398:                           ;   in Loop: Header=BB1759_393 Depth=2
	s_wait_xcnt 0x0
	s_or_b32 exec_lo, exec_lo, s15
	s_delay_alu instid0(SALU_CYCLE_1)
	s_mov_b32 s15, exec_lo
	v_cmpx_gt_u32_e64 s53, v103
	s_cbranch_execz .LBB1759_400
; %bb.399:                              ;   in Loop: Header=BB1759_393 Depth=2
	global_load_u16 v141, v[60:61], off offset:64
.LBB1759_400:                           ;   in Loop: Header=BB1759_393 Depth=2
	s_wait_xcnt 0x0
	s_or_b32 exec_lo, exec_lo, s15
	s_wait_loadcnt 0xb
	v_dual_mov_b32 v148, -1 :: v_dual_mov_b32 v144, -1
	s_mov_b32 s15, exec_lo
	v_cmpx_gt_u32_e64 s53, v104
	s_cbranch_execz .LBB1759_402
; %bb.401:                              ;   in Loop: Header=BB1759_393 Depth=2
	global_load_u16 v144, v[60:61], off offset:128
.LBB1759_402:                           ;   in Loop: Header=BB1759_393 Depth=2
	s_wait_xcnt 0x0
	s_or_b32 exec_lo, exec_lo, s15
	s_delay_alu instid0(SALU_CYCLE_1)
	s_mov_b32 s15, exec_lo
	v_cmpx_gt_u32_e64 s53, v105
	s_cbranch_execz .LBB1759_404
; %bb.403:                              ;   in Loop: Header=BB1759_393 Depth=2
	global_load_u16 v148, v[60:61], off offset:192
.LBB1759_404:                           ;   in Loop: Header=BB1759_393 Depth=2
	s_wait_xcnt 0x0
	s_or_b32 exec_lo, exec_lo, s15
	s_wait_loadcnt 0x9
	v_dual_mov_b32 v156, -1 :: v_dual_mov_b32 v152, -1
	s_mov_b32 s15, exec_lo
	v_cmpx_gt_u32_e64 s53, v106
	s_cbranch_execz .LBB1759_406
; %bb.405:                              ;   in Loop: Header=BB1759_393 Depth=2
	global_load_u16 v152, v[60:61], off offset:256
.LBB1759_406:                           ;   in Loop: Header=BB1759_393 Depth=2
	;; [unrolled: 19-line block ×6, first 2 shown]
	s_wait_xcnt 0x0
	s_or_b32 exec_lo, exec_lo, s15
	s_delay_alu instid0(SALU_CYCLE_1)
	s_mov_b32 s15, exec_lo
	v_cmpx_gt_u32_e64 s53, v115
	s_cbranch_execz .LBB1759_424
; %bb.423:                              ;   in Loop: Header=BB1759_393 Depth=2
	global_load_u16 v63, v[60:61], off offset:832
.LBB1759_424:                           ;   in Loop: Header=BB1759_393 Depth=2
	s_wait_xcnt 0x0
	s_or_b32 exec_lo, exec_lo, s15
	s_wait_loadcnt 0x0
	v_mov_b32_e32 v62, -1
	s_mov_b32 s15, exec_lo
	v_cmpx_gt_u32_e64 s53, v116
	s_cbranch_execz .LBB1759_426
; %bb.425:                              ;   in Loop: Header=BB1759_393 Depth=2
	global_load_u16 v62, v[60:61], off offset:896
.LBB1759_426:                           ;   in Loop: Header=BB1759_393 Depth=2
	s_wait_xcnt 0x0
	s_or_b32 exec_lo, exec_lo, s15
	v_cmp_gt_u32_e64 s15, s53, v117
	s_sub_co_i32 s16, s51, s42
.LBB1759_427:                           ;   in Loop: Header=BB1759_393 Depth=2
	s_wait_xcnt 0x0
	v_dual_mov_b32 v60, -1 :: v_dual_mov_b32 v139, s53
	s_and_saveexec_b32 s17, s15
	s_cbranch_execz .LBB1759_429
; %bb.428:                              ;   in Loop: Header=BB1759_393 Depth=2
	v_lshl_add_u64 v[60:61], s[42:43], 1, v[26:27]
	v_mov_b32_e32 v139, s16
	global_load_u16 v60, v[60:61], off offset:960
.LBB1759_429:                           ;   in Loop: Header=BB1759_393 Depth=2
	s_wait_xcnt 0x0
	s_or_b32 exec_lo, exec_lo, s17
	s_wait_loadcnt 0xe
	v_cmp_gt_i16_e64 vcc_lo, 0, v140
	ds_store_2addr_b32 v121, v5, v5 offset1:1
	ds_store_2addr_b32 v118, v5, v5 offset1:1
	;; [unrolled: 1-line block ×4, first 2 shown]
	ds_store_b32 v91, v5 offset:1088
	s_wait_loadcnt_dscnt 0x0
	s_barrier_signal -1
	v_cndmask_b32_e64 v61, 0x7fff, 0, vcc_lo
	s_barrier_wait -1
	; wave barrier
	s_delay_alu instid0(VALU_DEP_1) | instskip(NEXT) | instid1(VALU_DEP_1)
	v_xor_b32_e32 v140, v61, v140
	v_cmp_ne_u16_e64 vcc_lo, 0x8000, v140
	v_cndmask_b32_e32 v61, 0x7fff, v140, vcc_lo
	s_delay_alu instid0(VALU_DEP_1) | instskip(NEXT) | instid1(VALU_DEP_1)
	v_and_b32_e32 v61, 0xffff, v61
	v_lshrrev_b32_e32 v61, s48, v61
	s_delay_alu instid0(VALU_DEP_1) | instskip(SKIP_1) | instid1(VALU_DEP_2)
	v_bitop3_b32 v142, v61, 1, s52 bitop3:0x80
	v_and_b32_e32 v143, s52, v61
	v_add_co_u32 v61, s15, v142, -1
	s_delay_alu instid0(VALU_DEP_1) | instskip(NEXT) | instid1(VALU_DEP_3)
	v_cndmask_b32_e64 v142, 0, 1, s15
	v_lshlrev_b32_e32 v145, 30, v143
	s_delay_alu instid0(VALU_DEP_2) | instskip(NEXT) | instid1(VALU_DEP_2)
	v_cmp_ne_u32_e32 vcc_lo, 0, v142
	v_not_b32_e32 v142, v145
	s_delay_alu instid0(VALU_DEP_1) | instskip(SKIP_3) | instid1(VALU_DEP_4)
	v_dual_ashrrev_i32 v142, 31, v142 :: v_dual_lshlrev_b32 v146, 29, v143
	v_dual_lshlrev_b32 v147, 28, v143 :: v_dual_lshlrev_b32 v149, 27, v143
	v_lshlrev_b32_e32 v150, 26, v143
	v_cmp_gt_i32_e64 s15, 0, v145
	v_cmp_gt_i32_e64 s16, 0, v146
	v_not_b32_e32 v145, v146
	v_not_b32_e32 v146, v147
	v_dual_lshlrev_b32 v151, 25, v143 :: v_dual_lshlrev_b32 v153, 24, v143
	v_cmp_gt_i32_e64 s17, 0, v147
	v_cmp_gt_i32_e64 s18, 0, v149
	v_not_b32_e32 v147, v149
	v_not_b32_e32 v149, v150
	v_dual_ashrrev_i32 v146, 31, v146 :: v_dual_bitop2_b32 v61, vcc_lo, v61 bitop3:0x14
	v_dual_ashrrev_i32 v145, 31, v145 :: v_dual_bitop2_b32 v142, s15, v142 bitop3:0x14
	v_cmp_gt_i32_e64 s19, 0, v150
	v_cmp_gt_i32_e64 s20, 0, v151
	v_not_b32_e32 v150, v151
	v_not_b32_e32 v151, v153
	v_dual_ashrrev_i32 v147, 31, v147 :: v_dual_ashrrev_i32 v149, 31, v149
	v_xor_b32_e32 v145, s16, v145
	v_xor_b32_e32 v146, s17, v146
	v_bitop3_b32 v61, v61, v142, exec_lo bitop3:0x80
	v_cmp_gt_i32_e64 s21, 0, v153
	v_dual_ashrrev_i32 v142, 31, v150 :: v_dual_ashrrev_i32 v150, 31, v151
	v_xor_b32_e32 v147, s18, v147
	s_delay_alu instid0(VALU_DEP_4) | instskip(SKIP_3) | instid1(VALU_DEP_3)
	v_bitop3_b32 v61, v61, v146, v145 bitop3:0x80
	v_mul_u32_u24_e32 v143, 36, v143
	v_xor_b32_e32 v149, s19, v149
	v_xor_b32_e32 v142, s20, v142
	v_dual_add_nc_u32 v143, v23, v143 :: v_dual_bitop2_b32 v145, s21, v150 bitop3:0x14
	s_delay_alu instid0(VALU_DEP_3) | instskip(NEXT) | instid1(VALU_DEP_1)
	v_bitop3_b32 v61, v61, v149, v147 bitop3:0x80
	v_bitop3_b32 v61, v61, v145, v142 bitop3:0x80
	s_delay_alu instid0(VALU_DEP_1) | instskip(SKIP_1) | instid1(VALU_DEP_2)
	v_mbcnt_lo_u32_b32 v142, v61, 0
	v_cmp_ne_u32_e64 s15, 0, v61
	v_cmp_eq_u32_e32 vcc_lo, 0, v142
	s_and_b32 s16, s15, vcc_lo
	s_delay_alu instid0(SALU_CYCLE_1)
	s_and_saveexec_b32 s15, s16
; %bb.430:                              ;   in Loop: Header=BB1759_393 Depth=2
	v_bcnt_u32_b32 v61, v61, 0
	ds_store_b32 v143, v61 offset:1056
; %bb.431:                              ;   in Loop: Header=BB1759_393 Depth=2
	s_or_b32 exec_lo, exec_lo, s15
	v_cmp_gt_i16_e64 vcc_lo, 0, v141
	; wave barrier
	s_delay_alu instid0(VALU_DEP_1) | instskip(NEXT) | instid1(VALU_DEP_1)
	v_cndmask_b32_e64 v61, 0x7fff, 0, vcc_lo
	v_xor_b32_e32 v141, v61, v141
	s_delay_alu instid0(VALU_DEP_1) | instskip(SKIP_1) | instid1(VALU_DEP_1)
	v_cmp_ne_u16_e64 vcc_lo, 0x8000, v141
	v_cndmask_b32_e32 v61, 0x7fff, v141, vcc_lo
	v_and_b32_e32 v61, 0xffff, v61
	s_delay_alu instid0(VALU_DEP_1) | instskip(NEXT) | instid1(VALU_DEP_1)
	v_lshrrev_b32_e32 v61, s48, v61
	v_and_b32_e32 v147, s52, v61
	s_delay_alu instid0(VALU_DEP_1) | instskip(SKIP_2) | instid1(VALU_DEP_3)
	v_lshlrev_b32_e32 v149, 29, v147
	v_bitop3_b32 v145, v61, 1, s52 bitop3:0x80
	v_lshlrev_b32_e32 v146, 30, v147
	v_cmp_gt_i32_e64 s16, 0, v149
	s_delay_alu instid0(VALU_DEP_3) | instskip(NEXT) | instid1(VALU_DEP_1)
	v_add_co_u32 v61, s15, v145, -1
	v_cndmask_b32_e64 v145, 0, 1, s15
	s_delay_alu instid0(VALU_DEP_4) | instskip(NEXT) | instid1(VALU_DEP_2)
	v_cmp_gt_i32_e64 s15, 0, v146
	v_cmp_ne_u32_e32 vcc_lo, 0, v145
	v_not_b32_e32 v145, v146
	v_not_b32_e32 v146, v149
	s_delay_alu instid0(VALU_DEP_1) | instskip(SKIP_2) | instid1(VALU_DEP_3)
	v_dual_ashrrev_i32 v146, 31, v146 :: v_dual_lshlrev_b32 v150, 28, v147
	v_dual_lshlrev_b32 v151, 27, v147 :: v_dual_lshlrev_b32 v153, 26, v147
	v_dual_lshlrev_b32 v154, 25, v147 :: v_dual_lshlrev_b32 v155, 24, v147
	v_cmp_gt_i32_e64 s17, 0, v150
	v_not_b32_e32 v149, v150
	s_delay_alu instid0(VALU_DEP_4)
	v_not_b32_e32 v150, v151
	v_ashrrev_i32_e32 v145, 31, v145
	v_cmp_gt_i32_e64 s18, 0, v151
	v_cmp_gt_i32_e64 s19, 0, v153
	v_not_b32_e32 v151, v153
	v_cmp_gt_i32_e64 s20, 0, v154
	v_not_b32_e32 v153, v154
	v_not_b32_e32 v154, v155
	s_delay_alu instid0(VALU_DEP_4) | instskip(SKIP_3) | instid1(VALU_DEP_3)
	v_dual_ashrrev_i32 v151, 31, v151 :: v_dual_bitop2_b32 v61, vcc_lo, v61 bitop3:0x14
	v_dual_ashrrev_i32 v149, 31, v149 :: v_dual_bitop2_b32 v146, s16, v146 bitop3:0x14
	v_dual_ashrrev_i32 v150, 31, v150 :: v_dual_bitop2_b32 v145, s15, v145 bitop3:0x14
	v_cmp_gt_i32_e64 s21, 0, v155
	v_xor_b32_e32 v149, s17, v149
	v_xor_b32_e32 v151, s19, v151
	s_delay_alu instid0(VALU_DEP_4) | instskip(SKIP_2) | instid1(VALU_DEP_2)
	v_xor_b32_e32 v150, s18, v150
	v_bitop3_b32 v61, v61, v145, exec_lo bitop3:0x80
	v_dual_ashrrev_i32 v145, 31, v153 :: v_dual_ashrrev_i32 v153, 31, v154
	v_bitop3_b32 v61, v61, v149, v146 bitop3:0x80
	v_mad_u32_u24 v146, v147, 36, v23
	s_delay_alu instid0(VALU_DEP_3) | instskip(NEXT) | instid1(VALU_DEP_4)
	v_xor_b32_e32 v149, s20, v145
	v_xor_b32_e32 v153, s21, v153
	v_mul_u32_u24_e32 v147, 36, v147
	v_bitop3_b32 v61, v61, v151, v150 bitop3:0x80
	ds_load_b32 v145, v146 offset:1056
	; wave barrier
	v_add_nc_u32_e32 v147, v23, v147
	v_bitop3_b32 v61, v61, v153, v149 bitop3:0x80
	s_delay_alu instid0(VALU_DEP_1) | instskip(SKIP_1) | instid1(VALU_DEP_2)
	v_mbcnt_lo_u32_b32 v146, v61, 0
	v_cmp_ne_u32_e64 s15, 0, v61
	v_cmp_eq_u32_e32 vcc_lo, 0, v146
	s_and_b32 s16, s15, vcc_lo
	s_delay_alu instid0(SALU_CYCLE_1)
	s_and_saveexec_b32 s15, s16
	s_cbranch_execz .LBB1759_433
; %bb.432:                              ;   in Loop: Header=BB1759_393 Depth=2
	s_wait_dscnt 0x0
	v_bcnt_u32_b32 v61, v61, v145
	ds_store_b32 v147, v61 offset:1056
.LBB1759_433:                           ;   in Loop: Header=BB1759_393 Depth=2
	s_or_b32 exec_lo, exec_lo, s15
	v_cmp_gt_i16_e64 vcc_lo, 0, v144
	; wave barrier
	s_delay_alu instid0(VALU_DEP_1) | instskip(NEXT) | instid1(VALU_DEP_1)
	v_cndmask_b32_e64 v61, 0x7fff, 0, vcc_lo
	v_xor_b32_e32 v144, v61, v144
	s_delay_alu instid0(VALU_DEP_1) | instskip(SKIP_1) | instid1(VALU_DEP_1)
	v_cmp_ne_u16_e64 vcc_lo, 0x8000, v144
	v_cndmask_b32_e32 v61, 0x7fff, v144, vcc_lo
	v_and_b32_e32 v61, 0xffff, v61
	s_delay_alu instid0(VALU_DEP_1) | instskip(NEXT) | instid1(VALU_DEP_1)
	v_lshrrev_b32_e32 v61, s48, v61
	v_bitop3_b32 v149, v61, 1, s52 bitop3:0x80
	v_and_b32_e32 v151, s52, v61
	s_delay_alu instid0(VALU_DEP_2) | instskip(NEXT) | instid1(VALU_DEP_1)
	v_add_co_u32 v61, s15, v149, -1
	v_cndmask_b32_e64 v149, 0, 1, s15
	s_delay_alu instid0(VALU_DEP_3) | instskip(NEXT) | instid1(VALU_DEP_2)
	v_dual_lshlrev_b32 v150, 30, v151 :: v_dual_lshlrev_b32 v153, 29, v151
	v_cmp_ne_u32_e32 vcc_lo, 0, v149
	s_delay_alu instid0(VALU_DEP_2) | instskip(SKIP_1) | instid1(VALU_DEP_4)
	v_cmp_gt_i32_e64 s15, 0, v150
	v_not_b32_e32 v149, v150
	v_not_b32_e32 v150, v153
	s_delay_alu instid0(VALU_DEP_1) | instskip(SKIP_3) | instid1(VALU_DEP_4)
	v_dual_ashrrev_i32 v150, 31, v150 :: v_dual_lshlrev_b32 v154, 28, v151
	v_dual_lshlrev_b32 v155, 27, v151 :: v_dual_lshlrev_b32 v157, 26, v151
	v_dual_lshlrev_b32 v158, 25, v151 :: v_dual_lshlrev_b32 v159, 24, v151
	v_cmp_gt_i32_e64 s16, 0, v153
	v_cmp_gt_i32_e64 s17, 0, v154
	v_not_b32_e32 v153, v154
	v_not_b32_e32 v154, v155
	v_ashrrev_i32_e32 v149, 31, v149
	v_cmp_gt_i32_e64 s18, 0, v155
	v_cmp_gt_i32_e64 s19, 0, v157
	v_not_b32_e32 v155, v157
	v_cmp_gt_i32_e64 s20, 0, v158
	v_not_b32_e32 v157, v158
	v_not_b32_e32 v158, v159
	s_delay_alu instid0(VALU_DEP_4) | instskip(SKIP_3) | instid1(VALU_DEP_3)
	v_dual_ashrrev_i32 v155, 31, v155 :: v_dual_bitop2_b32 v61, vcc_lo, v61 bitop3:0x14
	v_dual_ashrrev_i32 v153, 31, v153 :: v_dual_bitop2_b32 v150, s16, v150 bitop3:0x14
	v_dual_ashrrev_i32 v154, 31, v154 :: v_dual_bitop2_b32 v149, s15, v149 bitop3:0x14
	v_cmp_gt_i32_e64 s21, 0, v159
	v_xor_b32_e32 v153, s17, v153
	v_xor_b32_e32 v155, s19, v155
	s_delay_alu instid0(VALU_DEP_4) | instskip(SKIP_2) | instid1(VALU_DEP_2)
	v_xor_b32_e32 v154, s18, v154
	v_bitop3_b32 v61, v61, v149, exec_lo bitop3:0x80
	v_dual_ashrrev_i32 v149, 31, v157 :: v_dual_ashrrev_i32 v157, 31, v158
	v_bitop3_b32 v61, v61, v153, v150 bitop3:0x80
	v_mad_u32_u24 v150, v151, 36, v23
	s_delay_alu instid0(VALU_DEP_3) | instskip(NEXT) | instid1(VALU_DEP_4)
	v_xor_b32_e32 v153, s20, v149
	v_xor_b32_e32 v157, s21, v157
	v_mul_u32_u24_e32 v151, 36, v151
	v_bitop3_b32 v61, v61, v155, v154 bitop3:0x80
	ds_load_b32 v149, v150 offset:1056
	; wave barrier
	v_add_nc_u32_e32 v151, v23, v151
	v_bitop3_b32 v61, v61, v157, v153 bitop3:0x80
	s_delay_alu instid0(VALU_DEP_1) | instskip(SKIP_1) | instid1(VALU_DEP_2)
	v_mbcnt_lo_u32_b32 v150, v61, 0
	v_cmp_ne_u32_e64 s15, 0, v61
	v_cmp_eq_u32_e32 vcc_lo, 0, v150
	s_and_b32 s16, s15, vcc_lo
	s_delay_alu instid0(SALU_CYCLE_1)
	s_and_saveexec_b32 s15, s16
	s_cbranch_execz .LBB1759_435
; %bb.434:                              ;   in Loop: Header=BB1759_393 Depth=2
	s_wait_dscnt 0x0
	v_bcnt_u32_b32 v61, v61, v149
	ds_store_b32 v151, v61 offset:1056
.LBB1759_435:                           ;   in Loop: Header=BB1759_393 Depth=2
	s_or_b32 exec_lo, exec_lo, s15
	v_cmp_gt_i16_e64 vcc_lo, 0, v148
	; wave barrier
	s_delay_alu instid0(VALU_DEP_1) | instskip(NEXT) | instid1(VALU_DEP_1)
	v_cndmask_b32_e64 v61, 0x7fff, 0, vcc_lo
	v_xor_b32_e32 v148, v61, v148
	s_delay_alu instid0(VALU_DEP_1) | instskip(SKIP_1) | instid1(VALU_DEP_1)
	v_cmp_ne_u16_e64 vcc_lo, 0x8000, v148
	v_cndmask_b32_e32 v61, 0x7fff, v148, vcc_lo
	v_and_b32_e32 v61, 0xffff, v61
	s_delay_alu instid0(VALU_DEP_1) | instskip(NEXT) | instid1(VALU_DEP_1)
	v_lshrrev_b32_e32 v61, s48, v61
	v_bitop3_b32 v153, v61, 1, s52 bitop3:0x80
	v_and_b32_e32 v155, s52, v61
	s_delay_alu instid0(VALU_DEP_2) | instskip(NEXT) | instid1(VALU_DEP_1)
	v_add_co_u32 v61, s15, v153, -1
	v_cndmask_b32_e64 v153, 0, 1, s15
	s_delay_alu instid0(VALU_DEP_3) | instskip(NEXT) | instid1(VALU_DEP_2)
	v_dual_lshlrev_b32 v154, 30, v155 :: v_dual_lshlrev_b32 v157, 29, v155
	v_cmp_ne_u32_e32 vcc_lo, 0, v153
	s_delay_alu instid0(VALU_DEP_2) | instskip(SKIP_1) | instid1(VALU_DEP_4)
	v_cmp_gt_i32_e64 s15, 0, v154
	v_not_b32_e32 v153, v154
	v_not_b32_e32 v154, v157
	s_delay_alu instid0(VALU_DEP_1) | instskip(SKIP_3) | instid1(VALU_DEP_4)
	v_dual_ashrrev_i32 v154, 31, v154 :: v_dual_lshlrev_b32 v158, 28, v155
	v_dual_lshlrev_b32 v159, 27, v155 :: v_dual_lshlrev_b32 v161, 26, v155
	v_dual_lshlrev_b32 v162, 25, v155 :: v_dual_lshlrev_b32 v163, 24, v155
	v_cmp_gt_i32_e64 s16, 0, v157
	v_cmp_gt_i32_e64 s17, 0, v158
	v_not_b32_e32 v157, v158
	v_not_b32_e32 v158, v159
	v_ashrrev_i32_e32 v153, 31, v153
	v_cmp_gt_i32_e64 s18, 0, v159
	v_cmp_gt_i32_e64 s19, 0, v161
	v_not_b32_e32 v159, v161
	v_cmp_gt_i32_e64 s20, 0, v162
	v_not_b32_e32 v161, v162
	v_not_b32_e32 v162, v163
	s_delay_alu instid0(VALU_DEP_4) | instskip(SKIP_3) | instid1(VALU_DEP_3)
	v_dual_ashrrev_i32 v159, 31, v159 :: v_dual_bitop2_b32 v61, vcc_lo, v61 bitop3:0x14
	v_dual_ashrrev_i32 v157, 31, v157 :: v_dual_bitop2_b32 v154, s16, v154 bitop3:0x14
	v_dual_ashrrev_i32 v158, 31, v158 :: v_dual_bitop2_b32 v153, s15, v153 bitop3:0x14
	v_cmp_gt_i32_e64 s21, 0, v163
	v_xor_b32_e32 v157, s17, v157
	v_xor_b32_e32 v159, s19, v159
	s_delay_alu instid0(VALU_DEP_4) | instskip(SKIP_2) | instid1(VALU_DEP_2)
	v_xor_b32_e32 v158, s18, v158
	v_bitop3_b32 v61, v61, v153, exec_lo bitop3:0x80
	v_dual_ashrrev_i32 v153, 31, v161 :: v_dual_ashrrev_i32 v161, 31, v162
	v_bitop3_b32 v61, v61, v157, v154 bitop3:0x80
	v_mad_u32_u24 v154, v155, 36, v23
	s_delay_alu instid0(VALU_DEP_3) | instskip(NEXT) | instid1(VALU_DEP_4)
	v_xor_b32_e32 v157, s20, v153
	v_xor_b32_e32 v161, s21, v161
	v_mul_u32_u24_e32 v155, 36, v155
	v_bitop3_b32 v61, v61, v159, v158 bitop3:0x80
	ds_load_b32 v153, v154 offset:1056
	; wave barrier
	v_add_nc_u32_e32 v155, v23, v155
	v_bitop3_b32 v61, v61, v161, v157 bitop3:0x80
	s_delay_alu instid0(VALU_DEP_1) | instskip(SKIP_1) | instid1(VALU_DEP_2)
	v_mbcnt_lo_u32_b32 v154, v61, 0
	v_cmp_ne_u32_e64 s15, 0, v61
	v_cmp_eq_u32_e32 vcc_lo, 0, v154
	s_and_b32 s16, s15, vcc_lo
	s_delay_alu instid0(SALU_CYCLE_1)
	s_and_saveexec_b32 s15, s16
	s_cbranch_execz .LBB1759_437
; %bb.436:                              ;   in Loop: Header=BB1759_393 Depth=2
	s_wait_dscnt 0x0
	v_bcnt_u32_b32 v61, v61, v153
	ds_store_b32 v155, v61 offset:1056
.LBB1759_437:                           ;   in Loop: Header=BB1759_393 Depth=2
	s_or_b32 exec_lo, exec_lo, s15
	v_cmp_gt_i16_e64 vcc_lo, 0, v152
	; wave barrier
	s_delay_alu instid0(VALU_DEP_1) | instskip(NEXT) | instid1(VALU_DEP_1)
	v_cndmask_b32_e64 v61, 0x7fff, 0, vcc_lo
	v_xor_b32_e32 v152, v61, v152
	s_delay_alu instid0(VALU_DEP_1) | instskip(SKIP_1) | instid1(VALU_DEP_1)
	v_cmp_ne_u16_e64 vcc_lo, 0x8000, v152
	v_cndmask_b32_e32 v61, 0x7fff, v152, vcc_lo
	v_and_b32_e32 v61, 0xffff, v61
	s_delay_alu instid0(VALU_DEP_1) | instskip(NEXT) | instid1(VALU_DEP_1)
	v_lshrrev_b32_e32 v61, s48, v61
	v_bitop3_b32 v157, v61, 1, s52 bitop3:0x80
	v_and_b32_e32 v159, s52, v61
	s_delay_alu instid0(VALU_DEP_2) | instskip(NEXT) | instid1(VALU_DEP_1)
	v_add_co_u32 v61, s15, v157, -1
	v_cndmask_b32_e64 v157, 0, 1, s15
	s_delay_alu instid0(VALU_DEP_3) | instskip(NEXT) | instid1(VALU_DEP_2)
	v_dual_lshlrev_b32 v158, 30, v159 :: v_dual_lshlrev_b32 v161, 29, v159
	v_cmp_ne_u32_e32 vcc_lo, 0, v157
	s_delay_alu instid0(VALU_DEP_2) | instskip(SKIP_1) | instid1(VALU_DEP_4)
	v_cmp_gt_i32_e64 s15, 0, v158
	v_not_b32_e32 v157, v158
	v_not_b32_e32 v158, v161
	s_delay_alu instid0(VALU_DEP_1) | instskip(SKIP_3) | instid1(VALU_DEP_4)
	v_dual_ashrrev_i32 v158, 31, v158 :: v_dual_lshlrev_b32 v162, 28, v159
	v_dual_lshlrev_b32 v163, 27, v159 :: v_dual_lshlrev_b32 v165, 26, v159
	v_dual_lshlrev_b32 v166, 25, v159 :: v_dual_lshlrev_b32 v167, 24, v159
	v_cmp_gt_i32_e64 s16, 0, v161
	v_cmp_gt_i32_e64 s17, 0, v162
	v_not_b32_e32 v161, v162
	v_not_b32_e32 v162, v163
	v_ashrrev_i32_e32 v157, 31, v157
	v_cmp_gt_i32_e64 s18, 0, v163
	v_cmp_gt_i32_e64 s19, 0, v165
	v_not_b32_e32 v163, v165
	v_cmp_gt_i32_e64 s20, 0, v166
	v_not_b32_e32 v165, v166
	v_not_b32_e32 v166, v167
	s_delay_alu instid0(VALU_DEP_4) | instskip(SKIP_3) | instid1(VALU_DEP_3)
	v_dual_ashrrev_i32 v163, 31, v163 :: v_dual_bitop2_b32 v61, vcc_lo, v61 bitop3:0x14
	v_dual_ashrrev_i32 v161, 31, v161 :: v_dual_bitop2_b32 v158, s16, v158 bitop3:0x14
	v_dual_ashrrev_i32 v162, 31, v162 :: v_dual_bitop2_b32 v157, s15, v157 bitop3:0x14
	v_cmp_gt_i32_e64 s21, 0, v167
	v_xor_b32_e32 v161, s17, v161
	v_xor_b32_e32 v163, s19, v163
	s_delay_alu instid0(VALU_DEP_4) | instskip(SKIP_2) | instid1(VALU_DEP_2)
	v_xor_b32_e32 v162, s18, v162
	v_bitop3_b32 v61, v61, v157, exec_lo bitop3:0x80
	v_dual_ashrrev_i32 v157, 31, v165 :: v_dual_ashrrev_i32 v165, 31, v166
	v_bitop3_b32 v61, v61, v161, v158 bitop3:0x80
	v_mad_u32_u24 v158, v159, 36, v23
	s_delay_alu instid0(VALU_DEP_3) | instskip(NEXT) | instid1(VALU_DEP_4)
	v_xor_b32_e32 v161, s20, v157
	v_xor_b32_e32 v165, s21, v165
	v_mul_u32_u24_e32 v159, 36, v159
	v_bitop3_b32 v61, v61, v163, v162 bitop3:0x80
	ds_load_b32 v157, v158 offset:1056
	; wave barrier
	v_add_nc_u32_e32 v159, v23, v159
	v_bitop3_b32 v61, v61, v165, v161 bitop3:0x80
	s_delay_alu instid0(VALU_DEP_1) | instskip(SKIP_1) | instid1(VALU_DEP_2)
	v_mbcnt_lo_u32_b32 v158, v61, 0
	v_cmp_ne_u32_e64 s15, 0, v61
	v_cmp_eq_u32_e32 vcc_lo, 0, v158
	s_and_b32 s16, s15, vcc_lo
	s_delay_alu instid0(SALU_CYCLE_1)
	s_and_saveexec_b32 s15, s16
	s_cbranch_execz .LBB1759_439
; %bb.438:                              ;   in Loop: Header=BB1759_393 Depth=2
	s_wait_dscnt 0x0
	v_bcnt_u32_b32 v61, v61, v157
	ds_store_b32 v159, v61 offset:1056
.LBB1759_439:                           ;   in Loop: Header=BB1759_393 Depth=2
	s_or_b32 exec_lo, exec_lo, s15
	v_cmp_gt_i16_e64 vcc_lo, 0, v156
	; wave barrier
	s_delay_alu instid0(VALU_DEP_1) | instskip(NEXT) | instid1(VALU_DEP_1)
	v_cndmask_b32_e64 v61, 0x7fff, 0, vcc_lo
	v_xor_b32_e32 v156, v61, v156
	s_delay_alu instid0(VALU_DEP_1) | instskip(SKIP_1) | instid1(VALU_DEP_1)
	v_cmp_ne_u16_e64 vcc_lo, 0x8000, v156
	v_cndmask_b32_e32 v61, 0x7fff, v156, vcc_lo
	v_and_b32_e32 v61, 0xffff, v61
	s_delay_alu instid0(VALU_DEP_1) | instskip(NEXT) | instid1(VALU_DEP_1)
	v_lshrrev_b32_e32 v61, s48, v61
	v_bitop3_b32 v161, v61, 1, s52 bitop3:0x80
	v_and_b32_e32 v163, s52, v61
	s_delay_alu instid0(VALU_DEP_2) | instskip(NEXT) | instid1(VALU_DEP_1)
	v_add_co_u32 v61, s15, v161, -1
	v_cndmask_b32_e64 v161, 0, 1, s15
	s_delay_alu instid0(VALU_DEP_3) | instskip(NEXT) | instid1(VALU_DEP_2)
	v_dual_lshlrev_b32 v162, 30, v163 :: v_dual_lshlrev_b32 v165, 29, v163
	v_cmp_ne_u32_e32 vcc_lo, 0, v161
	s_delay_alu instid0(VALU_DEP_2) | instskip(SKIP_1) | instid1(VALU_DEP_4)
	v_cmp_gt_i32_e64 s15, 0, v162
	v_not_b32_e32 v161, v162
	v_not_b32_e32 v162, v165
	s_delay_alu instid0(VALU_DEP_1) | instskip(SKIP_3) | instid1(VALU_DEP_4)
	v_dual_ashrrev_i32 v162, 31, v162 :: v_dual_lshlrev_b32 v166, 28, v163
	v_dual_lshlrev_b32 v167, 27, v163 :: v_dual_lshlrev_b32 v169, 26, v163
	v_dual_lshlrev_b32 v170, 25, v163 :: v_dual_lshlrev_b32 v171, 24, v163
	v_cmp_gt_i32_e64 s16, 0, v165
	v_cmp_gt_i32_e64 s17, 0, v166
	v_not_b32_e32 v165, v166
	v_not_b32_e32 v166, v167
	v_ashrrev_i32_e32 v161, 31, v161
	v_cmp_gt_i32_e64 s18, 0, v167
	v_cmp_gt_i32_e64 s19, 0, v169
	v_not_b32_e32 v167, v169
	v_cmp_gt_i32_e64 s20, 0, v170
	v_not_b32_e32 v169, v170
	v_not_b32_e32 v170, v171
	s_delay_alu instid0(VALU_DEP_4) | instskip(SKIP_3) | instid1(VALU_DEP_3)
	v_dual_ashrrev_i32 v167, 31, v167 :: v_dual_bitop2_b32 v61, vcc_lo, v61 bitop3:0x14
	v_dual_ashrrev_i32 v165, 31, v165 :: v_dual_bitop2_b32 v162, s16, v162 bitop3:0x14
	v_dual_ashrrev_i32 v166, 31, v166 :: v_dual_bitop2_b32 v161, s15, v161 bitop3:0x14
	v_cmp_gt_i32_e64 s21, 0, v171
	v_xor_b32_e32 v165, s17, v165
	v_xor_b32_e32 v167, s19, v167
	s_delay_alu instid0(VALU_DEP_4) | instskip(SKIP_2) | instid1(VALU_DEP_2)
	v_xor_b32_e32 v166, s18, v166
	v_bitop3_b32 v61, v61, v161, exec_lo bitop3:0x80
	v_dual_ashrrev_i32 v161, 31, v169 :: v_dual_ashrrev_i32 v169, 31, v170
	v_bitop3_b32 v61, v61, v165, v162 bitop3:0x80
	v_mad_u32_u24 v162, v163, 36, v23
	s_delay_alu instid0(VALU_DEP_3) | instskip(NEXT) | instid1(VALU_DEP_4)
	v_xor_b32_e32 v165, s20, v161
	v_xor_b32_e32 v169, s21, v169
	v_mul_u32_u24_e32 v163, 36, v163
	v_bitop3_b32 v61, v61, v167, v166 bitop3:0x80
	ds_load_b32 v161, v162 offset:1056
	; wave barrier
	v_add_nc_u32_e32 v163, v23, v163
	v_bitop3_b32 v61, v61, v169, v165 bitop3:0x80
	s_delay_alu instid0(VALU_DEP_1) | instskip(SKIP_1) | instid1(VALU_DEP_2)
	v_mbcnt_lo_u32_b32 v162, v61, 0
	v_cmp_ne_u32_e64 s15, 0, v61
	v_cmp_eq_u32_e32 vcc_lo, 0, v162
	s_and_b32 s16, s15, vcc_lo
	s_delay_alu instid0(SALU_CYCLE_1)
	s_and_saveexec_b32 s15, s16
	s_cbranch_execz .LBB1759_441
; %bb.440:                              ;   in Loop: Header=BB1759_393 Depth=2
	s_wait_dscnt 0x0
	v_bcnt_u32_b32 v61, v61, v161
	ds_store_b32 v163, v61 offset:1056
.LBB1759_441:                           ;   in Loop: Header=BB1759_393 Depth=2
	s_or_b32 exec_lo, exec_lo, s15
	v_cmp_gt_i16_e64 vcc_lo, 0, v160
	; wave barrier
	s_delay_alu instid0(VALU_DEP_1) | instskip(NEXT) | instid1(VALU_DEP_1)
	v_cndmask_b32_e64 v61, 0x7fff, 0, vcc_lo
	v_xor_b32_e32 v160, v61, v160
	s_delay_alu instid0(VALU_DEP_1) | instskip(SKIP_1) | instid1(VALU_DEP_1)
	v_cmp_ne_u16_e64 vcc_lo, 0x8000, v160
	v_cndmask_b32_e32 v61, 0x7fff, v160, vcc_lo
	v_and_b32_e32 v61, 0xffff, v61
	s_delay_alu instid0(VALU_DEP_1) | instskip(NEXT) | instid1(VALU_DEP_1)
	v_lshrrev_b32_e32 v61, s48, v61
	v_bitop3_b32 v165, v61, 1, s52 bitop3:0x80
	v_and_b32_e32 v167, s52, v61
	s_delay_alu instid0(VALU_DEP_2) | instskip(NEXT) | instid1(VALU_DEP_1)
	v_add_co_u32 v61, s15, v165, -1
	v_cndmask_b32_e64 v165, 0, 1, s15
	s_delay_alu instid0(VALU_DEP_3) | instskip(NEXT) | instid1(VALU_DEP_2)
	v_dual_lshlrev_b32 v166, 30, v167 :: v_dual_lshlrev_b32 v169, 29, v167
	v_cmp_ne_u32_e32 vcc_lo, 0, v165
	s_delay_alu instid0(VALU_DEP_2) | instskip(SKIP_1) | instid1(VALU_DEP_4)
	v_cmp_gt_i32_e64 s15, 0, v166
	v_not_b32_e32 v165, v166
	v_not_b32_e32 v166, v169
	s_delay_alu instid0(VALU_DEP_1) | instskip(SKIP_3) | instid1(VALU_DEP_4)
	v_dual_ashrrev_i32 v166, 31, v166 :: v_dual_lshlrev_b32 v170, 28, v167
	v_dual_lshlrev_b32 v171, 27, v167 :: v_dual_lshlrev_b32 v172, 26, v167
	v_cmp_gt_i32_e64 s16, 0, v169
	v_dual_lshlrev_b32 v173, 25, v167 :: v_dual_lshlrev_b32 v174, 24, v167
	v_cmp_gt_i32_e64 s17, 0, v170
	v_not_b32_e32 v169, v170
	v_not_b32_e32 v170, v171
	v_ashrrev_i32_e32 v165, 31, v165
	v_cmp_gt_i32_e64 s18, 0, v171
	v_not_b32_e32 v171, v172
	v_xor_b32_e32 v61, vcc_lo, v61
	v_dual_ashrrev_i32 v169, 31, v169 :: v_dual_bitop2_b32 v166, s16, v166 bitop3:0x14
	v_dual_ashrrev_i32 v170, 31, v170 :: v_dual_bitop2_b32 v165, s15, v165 bitop3:0x14
	v_cmp_gt_i32_e64 s19, 0, v172
	v_cmp_gt_i32_e64 s20, 0, v173
	v_not_b32_e32 v172, v173
	v_not_b32_e32 v173, v174
	v_dual_ashrrev_i32 v171, 31, v171 :: v_dual_bitop2_b32 v169, s17, v169 bitop3:0x14
	v_bitop3_b32 v61, v61, v165, exec_lo bitop3:0x80
	v_cmp_gt_i32_e64 s21, 0, v174
	s_delay_alu instid0(VALU_DEP_4)
	v_dual_ashrrev_i32 v165, 31, v172 :: v_dual_ashrrev_i32 v172, 31, v173
	v_xor_b32_e32 v170, s18, v170
	v_xor_b32_e32 v171, s19, v171
	v_bitop3_b32 v61, v61, v169, v166 bitop3:0x80
	v_mad_u32_u24 v166, v167, 36, v23
	v_xor_b32_e32 v169, s20, v165
	v_xor_b32_e32 v172, s21, v172
	v_mul_u32_u24_e32 v167, 36, v167
	v_bitop3_b32 v61, v61, v171, v170 bitop3:0x80
	ds_load_b32 v165, v166 offset:1056
	; wave barrier
	v_add_nc_u32_e32 v167, v23, v167
	v_bitop3_b32 v61, v61, v172, v169 bitop3:0x80
	s_delay_alu instid0(VALU_DEP_1) | instskip(SKIP_1) | instid1(VALU_DEP_2)
	v_mbcnt_lo_u32_b32 v166, v61, 0
	v_cmp_ne_u32_e64 s15, 0, v61
	v_cmp_eq_u32_e32 vcc_lo, 0, v166
	s_and_b32 s16, s15, vcc_lo
	s_delay_alu instid0(SALU_CYCLE_1)
	s_and_saveexec_b32 s15, s16
	s_cbranch_execz .LBB1759_443
; %bb.442:                              ;   in Loop: Header=BB1759_393 Depth=2
	s_wait_dscnt 0x0
	v_bcnt_u32_b32 v61, v61, v165
	ds_store_b32 v167, v61 offset:1056
.LBB1759_443:                           ;   in Loop: Header=BB1759_393 Depth=2
	s_or_b32 exec_lo, exec_lo, s15
	v_cmp_gt_i16_e64 vcc_lo, 0, v164
	; wave barrier
	s_delay_alu instid0(VALU_DEP_1) | instskip(NEXT) | instid1(VALU_DEP_1)
	v_cndmask_b32_e64 v61, 0x7fff, 0, vcc_lo
	v_xor_b32_e32 v164, v61, v164
	s_delay_alu instid0(VALU_DEP_1) | instskip(SKIP_1) | instid1(VALU_DEP_1)
	v_cmp_ne_u16_e64 vcc_lo, 0x8000, v164
	v_cndmask_b32_e32 v61, 0x7fff, v164, vcc_lo
	v_and_b32_e32 v61, 0xffff, v61
	s_delay_alu instid0(VALU_DEP_1) | instskip(NEXT) | instid1(VALU_DEP_1)
	v_lshrrev_b32_e32 v61, s48, v61
	v_bitop3_b32 v169, v61, 1, s52 bitop3:0x80
	v_and_b32_e32 v171, s52, v61
	s_delay_alu instid0(VALU_DEP_2) | instskip(NEXT) | instid1(VALU_DEP_1)
	v_add_co_u32 v61, s15, v169, -1
	v_cndmask_b32_e64 v169, 0, 1, s15
	s_delay_alu instid0(VALU_DEP_3) | instskip(NEXT) | instid1(VALU_DEP_2)
	v_dual_lshlrev_b32 v170, 30, v171 :: v_dual_lshlrev_b32 v172, 29, v171
	v_cmp_ne_u32_e32 vcc_lo, 0, v169
	s_delay_alu instid0(VALU_DEP_2) | instskip(SKIP_1) | instid1(VALU_DEP_4)
	v_cmp_gt_i32_e64 s15, 0, v170
	v_not_b32_e32 v169, v170
	v_not_b32_e32 v170, v172
	s_delay_alu instid0(VALU_DEP_1) | instskip(SKIP_3) | instid1(VALU_DEP_4)
	v_dual_ashrrev_i32 v170, 31, v170 :: v_dual_lshlrev_b32 v173, 28, v171
	v_dual_lshlrev_b32 v174, 27, v171 :: v_dual_lshlrev_b32 v175, 26, v171
	v_dual_lshlrev_b32 v176, 25, v171 :: v_dual_lshlrev_b32 v177, 24, v171
	v_cmp_gt_i32_e64 s16, 0, v172
	v_not_b32_e32 v172, v173
	v_ashrrev_i32_e32 v169, 31, v169
	v_cmp_gt_i32_e64 s17, 0, v173
	v_cmp_gt_i32_e64 s18, 0, v174
	v_not_b32_e32 v173, v174
	v_cmp_gt_i32_e64 s19, 0, v175
	v_not_b32_e32 v174, v175
	;; [unrolled: 2-line block ×3, first 2 shown]
	v_not_b32_e32 v176, v177
	s_delay_alu instid0(VALU_DEP_4) | instskip(SKIP_3) | instid1(VALU_DEP_3)
	v_dual_ashrrev_i32 v174, 31, v174 :: v_dual_bitop2_b32 v61, vcc_lo, v61 bitop3:0x14
	v_dual_ashrrev_i32 v172, 31, v172 :: v_dual_bitop2_b32 v169, s15, v169 bitop3:0x14
	v_dual_ashrrev_i32 v173, 31, v173 :: v_dual_bitop2_b32 v170, s16, v170 bitop3:0x14
	v_cmp_gt_i32_e64 s21, 0, v177
	v_xor_b32_e32 v172, s17, v172
	s_delay_alu instid0(VALU_DEP_4) | instskip(SKIP_2) | instid1(VALU_DEP_3)
	v_bitop3_b32 v61, v61, v169, exec_lo bitop3:0x80
	v_dual_ashrrev_i32 v169, 31, v175 :: v_dual_ashrrev_i32 v175, 31, v176
	v_xor_b32_e32 v174, s19, v174
	v_bitop3_b32 v61, v61, v172, v170 bitop3:0x80
	v_mad_u32_u24 v170, v171, 36, v23
	v_mul_u32_u24_e32 v171, 36, v171
	v_xor_b32_e32 v173, s18, v173
	v_xor_b32_e32 v172, s20, v169
	;; [unrolled: 1-line block ×3, first 2 shown]
	ds_load_b32 v169, v170 offset:1056
	v_add_nc_u32_e32 v171, v23, v171
	v_bitop3_b32 v61, v61, v174, v173 bitop3:0x80
	; wave barrier
	s_delay_alu instid0(VALU_DEP_1) | instskip(NEXT) | instid1(VALU_DEP_1)
	v_bitop3_b32 v61, v61, v175, v172 bitop3:0x80
	v_mbcnt_lo_u32_b32 v170, v61, 0
	v_cmp_ne_u32_e64 s15, 0, v61
	s_delay_alu instid0(VALU_DEP_2) | instskip(SKIP_1) | instid1(SALU_CYCLE_1)
	v_cmp_eq_u32_e32 vcc_lo, 0, v170
	s_and_b32 s16, s15, vcc_lo
	s_and_saveexec_b32 s15, s16
	s_cbranch_execz .LBB1759_445
; %bb.444:                              ;   in Loop: Header=BB1759_393 Depth=2
	s_wait_dscnt 0x0
	v_bcnt_u32_b32 v61, v61, v169
	ds_store_b32 v171, v61 offset:1056
.LBB1759_445:                           ;   in Loop: Header=BB1759_393 Depth=2
	s_or_b32 exec_lo, exec_lo, s15
	v_cmp_gt_i16_e64 vcc_lo, 0, v168
	; wave barrier
	s_delay_alu instid0(VALU_DEP_1) | instskip(NEXT) | instid1(VALU_DEP_1)
	v_cndmask_b32_e64 v61, 0x7fff, 0, vcc_lo
	v_xor_b32_e32 v168, v61, v168
	s_delay_alu instid0(VALU_DEP_1) | instskip(SKIP_1) | instid1(VALU_DEP_1)
	v_cmp_ne_u16_e64 vcc_lo, 0x8000, v168
	v_cndmask_b32_e32 v61, 0x7fff, v168, vcc_lo
	v_and_b32_e32 v61, 0xffff, v61
	s_delay_alu instid0(VALU_DEP_1) | instskip(NEXT) | instid1(VALU_DEP_1)
	v_lshrrev_b32_e32 v61, s48, v61
	v_bitop3_b32 v172, v61, 1, s52 bitop3:0x80
	v_and_b32_e32 v175, s52, v61
	s_delay_alu instid0(VALU_DEP_2) | instskip(NEXT) | instid1(VALU_DEP_1)
	v_add_co_u32 v61, s15, v172, -1
	v_cndmask_b32_e64 v172, 0, 1, s15
	s_delay_alu instid0(VALU_DEP_3) | instskip(NEXT) | instid1(VALU_DEP_2)
	v_lshlrev_b32_e32 v173, 30, v175
	v_cmp_ne_u32_e32 vcc_lo, 0, v172
	s_delay_alu instid0(VALU_DEP_2) | instskip(NEXT) | instid1(VALU_DEP_1)
	v_not_b32_e32 v172, v173
	v_dual_ashrrev_i32 v172, 31, v172 :: v_dual_lshlrev_b32 v174, 29, v175
	v_dual_lshlrev_b32 v176, 28, v175 :: v_dual_lshlrev_b32 v177, 27, v175
	v_lshlrev_b32_e32 v178, 26, v175
	v_cmp_gt_i32_e64 s15, 0, v173
	s_delay_alu instid0(VALU_DEP_4)
	v_cmp_gt_i32_e64 s16, 0, v174
	v_not_b32_e32 v173, v174
	v_not_b32_e32 v174, v176
	v_dual_lshlrev_b32 v179, 25, v175 :: v_dual_lshlrev_b32 v180, 24, v175
	v_cmp_gt_i32_e64 s17, 0, v176
	v_cmp_gt_i32_e64 s18, 0, v177
	v_not_b32_e32 v176, v177
	v_not_b32_e32 v177, v178
	v_dual_ashrrev_i32 v174, 31, v174 :: v_dual_bitop2_b32 v61, vcc_lo, v61 bitop3:0x14
	v_dual_ashrrev_i32 v173, 31, v173 :: v_dual_bitop2_b32 v172, s15, v172 bitop3:0x14
	v_cmp_gt_i32_e64 s19, 0, v178
	v_cmp_gt_i32_e64 s20, 0, v179
	v_not_b32_e32 v178, v179
	v_not_b32_e32 v179, v180
	v_dual_ashrrev_i32 v176, 31, v176 :: v_dual_ashrrev_i32 v177, 31, v177
	v_xor_b32_e32 v173, s16, v173
	v_xor_b32_e32 v174, s17, v174
	v_bitop3_b32 v61, v61, v172, exec_lo bitop3:0x80
	v_cmp_gt_i32_e64 s21, 0, v180
	v_dual_ashrrev_i32 v172, 31, v178 :: v_dual_ashrrev_i32 v178, 31, v179
	v_xor_b32_e32 v176, s18, v176
	v_xor_b32_e32 v177, s19, v177
	v_bitop3_b32 v61, v61, v174, v173 bitop3:0x80
	v_mad_u32_u24 v173, v175, 36, v23
	v_xor_b32_e32 v172, s20, v172
	v_xor_b32_e32 v174, s21, v178
	s_delay_alu instid0(VALU_DEP_4) | instskip(SKIP_3) | instid1(VALU_DEP_2)
	v_bitop3_b32 v61, v61, v177, v176 bitop3:0x80
	ds_load_b32 v173, v173 offset:1056
	; wave barrier
	v_bitop3_b32 v61, v61, v174, v172 bitop3:0x80
	v_mul_u32_u24_e32 v172, 36, v175
	v_mbcnt_lo_u32_b32 v174, v61, 0
	v_cmp_ne_u32_e64 s15, 0, v61
	s_delay_alu instid0(VALU_DEP_3) | instskip(NEXT) | instid1(VALU_DEP_3)
	v_add_nc_u32_e32 v175, v23, v172
	v_cmp_eq_u32_e32 vcc_lo, 0, v174
	s_and_b32 s16, s15, vcc_lo
	s_delay_alu instid0(SALU_CYCLE_1)
	s_and_saveexec_b32 s15, s16
	s_cbranch_execz .LBB1759_447
; %bb.446:                              ;   in Loop: Header=BB1759_393 Depth=2
	s_wait_dscnt 0x0
	v_bcnt_u32_b32 v61, v61, v173
	ds_store_b32 v175, v61 offset:1056
.LBB1759_447:                           ;   in Loop: Header=BB1759_393 Depth=2
	s_or_b32 exec_lo, exec_lo, s15
	v_cmp_gt_i16_e32 vcc_lo, 0, v67
	; wave barrier
	v_cndmask_b32_e64 v61, 0x7fff, 0, vcc_lo
	s_delay_alu instid0(VALU_DEP_1) | instskip(NEXT) | instid1(VALU_DEP_1)
	v_xor_b32_e32 v172, v61, v67
	v_cmp_ne_u16_e64 vcc_lo, 0x8000, v172
	v_cndmask_b32_e32 v61, 0x7fff, v172, vcc_lo
	s_delay_alu instid0(VALU_DEP_1) | instskip(NEXT) | instid1(VALU_DEP_1)
	v_and_b32_e32 v61, 0xffff, v61
	v_lshrrev_b32_e32 v61, s48, v61
	s_delay_alu instid0(VALU_DEP_1) | instskip(SKIP_1) | instid1(VALU_DEP_2)
	v_bitop3_b32 v67, v61, 1, s52 bitop3:0x80
	v_and_b32_e32 v176, s52, v61
	v_add_co_u32 v61, s15, v67, -1
	s_delay_alu instid0(VALU_DEP_1) | instskip(NEXT) | instid1(VALU_DEP_3)
	v_cndmask_b32_e64 v67, 0, 1, s15
	v_lshlrev_b32_e32 v177, 30, v176
	s_delay_alu instid0(VALU_DEP_2) | instskip(NEXT) | instid1(VALU_DEP_2)
	v_cmp_ne_u32_e32 vcc_lo, 0, v67
	v_not_b32_e32 v67, v177
	s_delay_alu instid0(VALU_DEP_1) | instskip(SKIP_4) | instid1(VALU_DEP_4)
	v_dual_ashrrev_i32 v67, 31, v67 :: v_dual_bitop2_b32 v61, vcc_lo, v61 bitop3:0x14
	v_dual_lshlrev_b32 v178, 29, v176 :: v_dual_lshlrev_b32 v179, 28, v176
	v_dual_lshlrev_b32 v180, 27, v176 :: v_dual_lshlrev_b32 v181, 26, v176
	v_lshlrev_b32_e32 v182, 25, v176
	v_cmp_gt_i32_e64 s15, 0, v177
	v_cmp_gt_i32_e64 s16, 0, v178
	v_not_b32_e32 v177, v178
	v_not_b32_e32 v178, v179
	v_lshlrev_b32_e32 v183, 24, v176
	v_cmp_gt_i32_e64 s17, 0, v179
	v_cmp_gt_i32_e64 s18, 0, v180
	v_not_b32_e32 v179, v180
	v_not_b32_e32 v180, v181
	v_dual_ashrrev_i32 v177, 31, v177 :: v_dual_bitop2_b32 v67, s15, v67 bitop3:0x14
	v_ashrrev_i32_e32 v178, 31, v178
	v_cmp_gt_i32_e64 s19, 0, v181
	v_cmp_gt_i32_e64 s20, 0, v182
	v_not_b32_e32 v181, v182
	v_not_b32_e32 v182, v183
	v_dual_ashrrev_i32 v179, 31, v179 :: v_dual_ashrrev_i32 v180, 31, v180
	v_xor_b32_e32 v177, s16, v177
	v_xor_b32_e32 v178, s17, v178
	v_bitop3_b32 v61, v61, v67, exec_lo bitop3:0x80
	v_cmp_gt_i32_e64 s21, 0, v183
	v_dual_ashrrev_i32 v67, 31, v181 :: v_dual_ashrrev_i32 v181, 31, v182
	v_xor_b32_e32 v179, s18, v179
	v_xor_b32_e32 v180, s19, v180
	v_bitop3_b32 v61, v61, v178, v177 bitop3:0x80
	v_mad_u32_u24 v177, v176, 36, v23
	v_xor_b32_e32 v67, s20, v67
	v_xor_b32_e32 v178, s21, v181
	s_delay_alu instid0(VALU_DEP_4) | instskip(SKIP_3) | instid1(VALU_DEP_2)
	v_bitop3_b32 v61, v61, v180, v179 bitop3:0x80
	ds_load_b32 v177, v177 offset:1056
	; wave barrier
	v_bitop3_b32 v61, v61, v178, v67 bitop3:0x80
	v_mul_u32_u24_e32 v67, 36, v176
	v_mbcnt_lo_u32_b32 v178, v61, 0
	v_cmp_ne_u32_e64 s15, 0, v61
	s_delay_alu instid0(VALU_DEP_3) | instskip(NEXT) | instid1(VALU_DEP_3)
	v_add_nc_u32_e32 v179, v23, v67
	v_cmp_eq_u32_e32 vcc_lo, 0, v178
	s_and_b32 s16, s15, vcc_lo
	s_delay_alu instid0(SALU_CYCLE_1)
	s_and_saveexec_b32 s15, s16
	s_cbranch_execz .LBB1759_449
; %bb.448:                              ;   in Loop: Header=BB1759_393 Depth=2
	s_wait_dscnt 0x0
	v_bcnt_u32_b32 v61, v61, v177
	ds_store_b32 v179, v61 offset:1056
.LBB1759_449:                           ;   in Loop: Header=BB1759_393 Depth=2
	s_or_b32 exec_lo, exec_lo, s15
	v_cmp_gt_i16_e32 vcc_lo, 0, v66
	; wave barrier
	v_cndmask_b32_e64 v61, 0x7fff, 0, vcc_lo
	s_delay_alu instid0(VALU_DEP_1) | instskip(NEXT) | instid1(VALU_DEP_1)
	v_xor_b32_e32 v176, v61, v66
	v_cmp_ne_u16_e64 vcc_lo, 0x8000, v176
	v_cndmask_b32_e32 v61, 0x7fff, v176, vcc_lo
	s_delay_alu instid0(VALU_DEP_1) | instskip(NEXT) | instid1(VALU_DEP_1)
	v_and_b32_e32 v61, 0xffff, v61
	v_lshrrev_b32_e32 v61, s48, v61
	s_delay_alu instid0(VALU_DEP_1) | instskip(SKIP_1) | instid1(VALU_DEP_2)
	v_bitop3_b32 v66, v61, 1, s52 bitop3:0x80
	v_and_b32_e32 v67, s52, v61
	v_add_co_u32 v61, s15, v66, -1
	s_delay_alu instid0(VALU_DEP_1) | instskip(NEXT) | instid1(VALU_DEP_3)
	v_cndmask_b32_e64 v66, 0, 1, s15
	v_lshlrev_b32_e32 v180, 30, v67
	s_delay_alu instid0(VALU_DEP_2) | instskip(NEXT) | instid1(VALU_DEP_2)
	v_cmp_ne_u32_e32 vcc_lo, 0, v66
	v_not_b32_e32 v66, v180
	v_cmp_gt_i32_e64 s15, 0, v180
	s_delay_alu instid0(VALU_DEP_2) | instskip(SKIP_3) | instid1(VALU_DEP_4)
	v_dual_ashrrev_i32 v66, 31, v66 :: v_dual_lshlrev_b32 v181, 29, v67
	v_dual_lshlrev_b32 v182, 28, v67 :: v_dual_lshlrev_b32 v183, 27, v67
	v_dual_lshlrev_b32 v184, 26, v67 :: v_dual_lshlrev_b32 v185, 25, v67
	v_lshlrev_b32_e32 v186, 24, v67
	v_cmp_gt_i32_e64 s16, 0, v181
	v_not_b32_e32 v180, v181
	v_not_b32_e32 v181, v182
	v_cmp_gt_i32_e64 s17, 0, v182
	v_cmp_gt_i32_e64 s18, 0, v183
	v_not_b32_e32 v182, v183
	v_not_b32_e32 v183, v184
	v_dual_ashrrev_i32 v180, 31, v180 :: v_dual_bitop2_b32 v61, vcc_lo, v61 bitop3:0x14
	v_dual_ashrrev_i32 v181, 31, v181 :: v_dual_bitop2_b32 v66, s15, v66 bitop3:0x14
	v_cmp_gt_i32_e64 s19, 0, v184
	v_cmp_gt_i32_e64 s20, 0, v185
	v_not_b32_e32 v184, v185
	v_not_b32_e32 v185, v186
	v_dual_ashrrev_i32 v182, 31, v182 :: v_dual_ashrrev_i32 v183, 31, v183
	v_xor_b32_e32 v180, s16, v180
	v_xor_b32_e32 v181, s17, v181
	v_bitop3_b32 v61, v61, v66, exec_lo bitop3:0x80
	v_cmp_gt_i32_e64 s21, 0, v186
	v_dual_ashrrev_i32 v66, 31, v184 :: v_dual_ashrrev_i32 v184, 31, v185
	v_xor_b32_e32 v182, s18, v182
	v_xor_b32_e32 v183, s19, v183
	v_bitop3_b32 v61, v61, v181, v180 bitop3:0x80
	v_mad_u32_u24 v180, v67, 36, v23
	v_xor_b32_e32 v66, s20, v66
	v_xor_b32_e32 v184, s21, v184
	s_delay_alu instid0(VALU_DEP_4) | instskip(SKIP_3) | instid1(VALU_DEP_2)
	v_bitop3_b32 v61, v61, v183, v182 bitop3:0x80
	ds_load_b32 v181, v180 offset:1056
	; wave barrier
	v_bitop3_b32 v61, v61, v184, v66 bitop3:0x80
	v_mul_u32_u24_e32 v66, 36, v67
	v_mbcnt_lo_u32_b32 v182, v61, 0
	v_cmp_ne_u32_e64 s15, 0, v61
	s_delay_alu instid0(VALU_DEP_3) | instskip(NEXT) | instid1(VALU_DEP_3)
	v_add_nc_u32_e32 v183, v23, v66
	v_cmp_eq_u32_e32 vcc_lo, 0, v182
	s_and_b32 s16, s15, vcc_lo
	s_delay_alu instid0(SALU_CYCLE_1)
	s_and_saveexec_b32 s15, s16
	s_cbranch_execz .LBB1759_451
; %bb.450:                              ;   in Loop: Header=BB1759_393 Depth=2
	s_wait_dscnt 0x0
	v_bcnt_u32_b32 v61, v61, v181
	ds_store_b32 v183, v61 offset:1056
.LBB1759_451:                           ;   in Loop: Header=BB1759_393 Depth=2
	s_or_b32 exec_lo, exec_lo, s15
	v_cmp_gt_i16_e32 vcc_lo, 0, v65
	; wave barrier
	v_cndmask_b32_e64 v61, 0x7fff, 0, vcc_lo
	s_delay_alu instid0(VALU_DEP_1) | instskip(NEXT) | instid1(VALU_DEP_1)
	v_xor_b32_e32 v180, v61, v65
	v_cmp_ne_u16_e64 vcc_lo, 0x8000, v180
	v_cndmask_b32_e32 v61, 0x7fff, v180, vcc_lo
	s_delay_alu instid0(VALU_DEP_1) | instskip(NEXT) | instid1(VALU_DEP_1)
	v_and_b32_e32 v61, 0xffff, v61
	v_lshrrev_b32_e32 v61, s48, v61
	s_delay_alu instid0(VALU_DEP_1) | instskip(NEXT) | instid1(VALU_DEP_1)
	v_and_b32_e32 v66, s52, v61
	v_lshlrev_b32_e32 v185, 28, v66
	v_bitop3_b32 v65, v61, 1, s52 bitop3:0x80
	v_dual_lshlrev_b32 v67, 30, v66 :: v_dual_lshlrev_b32 v184, 29, v66
	s_delay_alu instid0(VALU_DEP_3) | instskip(NEXT) | instid1(VALU_DEP_3)
	v_cmp_gt_i32_e64 s17, 0, v185
	v_add_co_u32 v61, s15, v65, -1
	s_delay_alu instid0(VALU_DEP_1) | instskip(NEXT) | instid1(VALU_DEP_4)
	v_cndmask_b32_e64 v65, 0, 1, s15
	v_cmp_gt_i32_e64 s15, 0, v67
	v_cmp_gt_i32_e64 s16, 0, v184
	s_delay_alu instid0(VALU_DEP_3) | instskip(SKIP_3) | instid1(VALU_DEP_2)
	v_cmp_ne_u32_e32 vcc_lo, 0, v65
	v_not_b32_e32 v65, v67
	v_not_b32_e32 v67, v184
	;; [unrolled: 1-line block ×3, first 2 shown]
	v_dual_ashrrev_i32 v65, 31, v65 :: v_dual_ashrrev_i32 v67, 31, v67
	v_dual_lshlrev_b32 v186, 27, v66 :: v_dual_lshlrev_b32 v187, 26, v66
	v_dual_lshlrev_b32 v188, 25, v66 :: v_dual_lshlrev_b32 v189, 24, v66
	s_delay_alu instid0(VALU_DEP_4) | instskip(NEXT) | instid1(VALU_DEP_3)
	v_ashrrev_i32_e32 v184, 31, v184
	v_cmp_gt_i32_e64 s18, 0, v186
	v_not_b32_e32 v185, v186
	v_cmp_gt_i32_e64 s19, 0, v187
	v_not_b32_e32 v186, v187
	;; [unrolled: 2-line block ×3, first 2 shown]
	v_not_b32_e32 v188, v189
	s_delay_alu instid0(VALU_DEP_4) | instskip(SKIP_4) | instid1(VALU_DEP_4)
	v_dual_ashrrev_i32 v186, 31, v186 :: v_dual_bitop2_b32 v61, vcc_lo, v61 bitop3:0x14
	v_xor_b32_e32 v65, s15, v65
	v_dual_ashrrev_i32 v185, 31, v185 :: v_dual_bitop2_b32 v67, s16, v67 bitop3:0x14
	v_xor_b32_e32 v184, s17, v184
	v_cmp_gt_i32_e64 s21, 0, v189
	v_bitop3_b32 v61, v61, v65, exec_lo bitop3:0x80
	v_dual_ashrrev_i32 v65, 31, v187 :: v_dual_ashrrev_i32 v187, 31, v188
	v_xor_b32_e32 v185, s18, v185
	v_xor_b32_e32 v186, s19, v186
	s_delay_alu instid0(VALU_DEP_4) | instskip(SKIP_3) | instid1(VALU_DEP_4)
	v_bitop3_b32 v61, v61, v184, v67 bitop3:0x80
	v_mad_u32_u24 v67, v66, 36, v23
	v_xor_b32_e32 v65, s20, v65
	v_xor_b32_e32 v184, s21, v187
	v_bitop3_b32 v61, v61, v186, v185 bitop3:0x80
	ds_load_b32 v185, v67 offset:1056
	; wave barrier
	v_bitop3_b32 v61, v61, v184, v65 bitop3:0x80
	v_mul_u32_u24_e32 v65, 36, v66
	s_delay_alu instid0(VALU_DEP_2) | instskip(SKIP_1) | instid1(VALU_DEP_3)
	v_mbcnt_lo_u32_b32 v186, v61, 0
	v_cmp_ne_u32_e64 s15, 0, v61
	v_add_nc_u32_e32 v187, v23, v65
	s_delay_alu instid0(VALU_DEP_3) | instskip(SKIP_1) | instid1(SALU_CYCLE_1)
	v_cmp_eq_u32_e32 vcc_lo, 0, v186
	s_and_b32 s16, s15, vcc_lo
	s_and_saveexec_b32 s15, s16
	s_cbranch_execz .LBB1759_453
; %bb.452:                              ;   in Loop: Header=BB1759_393 Depth=2
	s_wait_dscnt 0x0
	v_bcnt_u32_b32 v61, v61, v185
	ds_store_b32 v187, v61 offset:1056
.LBB1759_453:                           ;   in Loop: Header=BB1759_393 Depth=2
	s_or_b32 exec_lo, exec_lo, s15
	v_cmp_gt_i16_e32 vcc_lo, 0, v64
	; wave barrier
	v_cndmask_b32_e64 v61, 0x7fff, 0, vcc_lo
	s_delay_alu instid0(VALU_DEP_1) | instskip(NEXT) | instid1(VALU_DEP_1)
	v_xor_b32_e32 v184, v61, v64
	v_cmp_ne_u16_e64 vcc_lo, 0x8000, v184
	v_cndmask_b32_e32 v61, 0x7fff, v184, vcc_lo
	s_delay_alu instid0(VALU_DEP_1) | instskip(NEXT) | instid1(VALU_DEP_1)
	v_and_b32_e32 v61, 0xffff, v61
	v_lshrrev_b32_e32 v61, s48, v61
	s_delay_alu instid0(VALU_DEP_1) | instskip(SKIP_1) | instid1(VALU_DEP_2)
	v_bitop3_b32 v64, v61, 1, s52 bitop3:0x80
	v_and_b32_e32 v65, s52, v61
	v_add_co_u32 v61, s15, v64, -1
	s_delay_alu instid0(VALU_DEP_1) | instskip(NEXT) | instid1(VALU_DEP_3)
	v_cndmask_b32_e64 v64, 0, 1, s15
	v_lshlrev_b32_e32 v66, 30, v65
	s_delay_alu instid0(VALU_DEP_2) | instskip(NEXT) | instid1(VALU_DEP_2)
	v_cmp_ne_u32_e32 vcc_lo, 0, v64
	v_not_b32_e32 v64, v66
	v_cmp_gt_i32_e64 s15, 0, v66
	s_delay_alu instid0(VALU_DEP_2) | instskip(SKIP_3) | instid1(VALU_DEP_4)
	v_dual_ashrrev_i32 v64, 31, v64 :: v_dual_lshlrev_b32 v67, 29, v65
	v_dual_lshlrev_b32 v188, 28, v65 :: v_dual_lshlrev_b32 v189, 27, v65
	v_dual_lshlrev_b32 v190, 26, v65 :: v_dual_lshlrev_b32 v191, 25, v65
	v_lshlrev_b32_e32 v192, 24, v65
	v_cmp_gt_i32_e64 s16, 0, v67
	v_not_b32_e32 v66, v67
	v_not_b32_e32 v67, v188
	v_cmp_gt_i32_e64 s17, 0, v188
	v_cmp_gt_i32_e64 s18, 0, v189
	v_not_b32_e32 v188, v189
	v_not_b32_e32 v189, v190
	v_dual_ashrrev_i32 v66, 31, v66 :: v_dual_bitop2_b32 v61, vcc_lo, v61 bitop3:0x14
	v_dual_ashrrev_i32 v67, 31, v67 :: v_dual_bitop2_b32 v64, s15, v64 bitop3:0x14
	v_cmp_gt_i32_e64 s19, 0, v190
	v_cmp_gt_i32_e64 s20, 0, v191
	v_not_b32_e32 v190, v191
	v_not_b32_e32 v191, v192
	v_dual_ashrrev_i32 v188, 31, v188 :: v_dual_ashrrev_i32 v189, 31, v189
	v_xor_b32_e32 v66, s16, v66
	v_xor_b32_e32 v67, s17, v67
	v_bitop3_b32 v61, v61, v64, exec_lo bitop3:0x80
	v_cmp_gt_i32_e64 s21, 0, v192
	v_dual_ashrrev_i32 v64, 31, v190 :: v_dual_ashrrev_i32 v190, 31, v191
	v_xor_b32_e32 v188, s18, v188
	v_xor_b32_e32 v189, s19, v189
	v_bitop3_b32 v61, v61, v67, v66 bitop3:0x80
	v_mad_u32_u24 v66, v65, 36, v23
	v_xor_b32_e32 v64, s20, v64
	v_xor_b32_e32 v67, s21, v190
	s_delay_alu instid0(VALU_DEP_4) | instskip(SKIP_3) | instid1(VALU_DEP_2)
	v_bitop3_b32 v61, v61, v189, v188 bitop3:0x80
	ds_load_b32 v189, v66 offset:1056
	; wave barrier
	v_bitop3_b32 v61, v61, v67, v64 bitop3:0x80
	v_mul_u32_u24_e32 v64, 36, v65
	v_mbcnt_lo_u32_b32 v190, v61, 0
	v_cmp_ne_u32_e64 s15, 0, v61
	s_delay_alu instid0(VALU_DEP_3) | instskip(NEXT) | instid1(VALU_DEP_3)
	v_add_nc_u32_e32 v191, v23, v64
	v_cmp_eq_u32_e32 vcc_lo, 0, v190
	s_and_b32 s16, s15, vcc_lo
	s_delay_alu instid0(SALU_CYCLE_1)
	s_and_saveexec_b32 s15, s16
	s_cbranch_execz .LBB1759_455
; %bb.454:                              ;   in Loop: Header=BB1759_393 Depth=2
	s_wait_dscnt 0x0
	v_bcnt_u32_b32 v61, v61, v189
	ds_store_b32 v191, v61 offset:1056
.LBB1759_455:                           ;   in Loop: Header=BB1759_393 Depth=2
	s_or_b32 exec_lo, exec_lo, s15
	v_cmp_gt_i16_e32 vcc_lo, 0, v63
	; wave barrier
	v_cndmask_b32_e64 v61, 0x7fff, 0, vcc_lo
	s_delay_alu instid0(VALU_DEP_1) | instskip(NEXT) | instid1(VALU_DEP_1)
	v_xor_b32_e32 v188, v61, v63
	v_cmp_ne_u16_e64 vcc_lo, 0x8000, v188
	v_cndmask_b32_e32 v61, 0x7fff, v188, vcc_lo
	s_delay_alu instid0(VALU_DEP_1) | instskip(NEXT) | instid1(VALU_DEP_1)
	v_and_b32_e32 v61, 0xffff, v61
	v_lshrrev_b32_e32 v61, s48, v61
	s_delay_alu instid0(VALU_DEP_1) | instskip(SKIP_1) | instid1(VALU_DEP_2)
	v_bitop3_b32 v63, v61, 1, s52 bitop3:0x80
	v_and_b32_e32 v64, s52, v61
	v_add_co_u32 v61, s15, v63, -1
	s_delay_alu instid0(VALU_DEP_1) | instskip(NEXT) | instid1(VALU_DEP_3)
	v_cndmask_b32_e64 v63, 0, 1, s15
	v_lshlrev_b32_e32 v65, 30, v64
	s_delay_alu instid0(VALU_DEP_2) | instskip(NEXT) | instid1(VALU_DEP_2)
	v_cmp_ne_u32_e32 vcc_lo, 0, v63
	v_not_b32_e32 v63, v65
	s_delay_alu instid0(VALU_DEP_1) | instskip(SKIP_4) | instid1(VALU_DEP_4)
	v_dual_ashrrev_i32 v63, 31, v63 :: v_dual_bitop2_b32 v61, vcc_lo, v61 bitop3:0x14
	v_dual_lshlrev_b32 v66, 29, v64 :: v_dual_lshlrev_b32 v67, 28, v64
	v_dual_lshlrev_b32 v192, 27, v64 :: v_dual_lshlrev_b32 v193, 26, v64
	v_lshlrev_b32_e32 v194, 25, v64
	v_cmp_gt_i32_e64 s15, 0, v65
	v_cmp_gt_i32_e64 s16, 0, v66
	v_not_b32_e32 v65, v66
	v_not_b32_e32 v66, v67
	v_lshlrev_b32_e32 v195, 24, v64
	v_cmp_gt_i32_e64 s17, 0, v67
	v_cmp_gt_i32_e64 s18, 0, v192
	v_not_b32_e32 v67, v192
	v_not_b32_e32 v192, v193
	v_dual_ashrrev_i32 v65, 31, v65 :: v_dual_bitop2_b32 v63, s15, v63 bitop3:0x14
	v_ashrrev_i32_e32 v66, 31, v66
	v_cmp_gt_i32_e64 s19, 0, v193
	v_cmp_gt_i32_e64 s20, 0, v194
	v_not_b32_e32 v193, v194
	v_not_b32_e32 v194, v195
	v_dual_ashrrev_i32 v67, 31, v67 :: v_dual_ashrrev_i32 v192, 31, v192
	v_xor_b32_e32 v65, s16, v65
	v_xor_b32_e32 v66, s17, v66
	v_bitop3_b32 v61, v61, v63, exec_lo bitop3:0x80
	v_cmp_gt_i32_e64 s21, 0, v195
	v_dual_ashrrev_i32 v63, 31, v193 :: v_dual_ashrrev_i32 v193, 31, v194
	v_xor_b32_e32 v67, s18, v67
	v_xor_b32_e32 v192, s19, v192
	v_bitop3_b32 v61, v61, v66, v65 bitop3:0x80
	v_mad_u32_u24 v65, v64, 36, v23
	v_xor_b32_e32 v63, s20, v63
	v_xor_b32_e32 v66, s21, v193
	s_delay_alu instid0(VALU_DEP_4) | instskip(SKIP_3) | instid1(VALU_DEP_2)
	v_bitop3_b32 v61, v61, v192, v67 bitop3:0x80
	ds_load_b32 v193, v65 offset:1056
	; wave barrier
	v_bitop3_b32 v61, v61, v66, v63 bitop3:0x80
	v_mul_u32_u24_e32 v63, 36, v64
	v_mbcnt_lo_u32_b32 v194, v61, 0
	v_cmp_ne_u32_e64 s15, 0, v61
	s_delay_alu instid0(VALU_DEP_3) | instskip(NEXT) | instid1(VALU_DEP_3)
	v_add_nc_u32_e32 v195, v23, v63
	v_cmp_eq_u32_e32 vcc_lo, 0, v194
	s_and_b32 s16, s15, vcc_lo
	s_delay_alu instid0(SALU_CYCLE_1)
	s_and_saveexec_b32 s15, s16
	s_cbranch_execz .LBB1759_457
; %bb.456:                              ;   in Loop: Header=BB1759_393 Depth=2
	s_wait_dscnt 0x0
	v_bcnt_u32_b32 v61, v61, v193
	ds_store_b32 v195, v61 offset:1056
.LBB1759_457:                           ;   in Loop: Header=BB1759_393 Depth=2
	s_or_b32 exec_lo, exec_lo, s15
	v_cmp_gt_i16_e32 vcc_lo, 0, v62
	; wave barrier
	v_cndmask_b32_e64 v61, 0x7fff, 0, vcc_lo
	s_delay_alu instid0(VALU_DEP_1) | instskip(NEXT) | instid1(VALU_DEP_1)
	v_xor_b32_e32 v192, v61, v62
	v_cmp_ne_u16_e64 vcc_lo, 0x8000, v192
	v_cndmask_b32_e32 v61, 0x7fff, v192, vcc_lo
	s_delay_alu instid0(VALU_DEP_1) | instskip(NEXT) | instid1(VALU_DEP_1)
	v_and_b32_e32 v61, 0xffff, v61
	v_lshrrev_b32_e32 v61, s48, v61
	s_delay_alu instid0(VALU_DEP_1) | instskip(SKIP_1) | instid1(VALU_DEP_2)
	v_bitop3_b32 v62, v61, 1, s52 bitop3:0x80
	v_and_b32_e32 v63, s52, v61
	v_add_co_u32 v61, s15, v62, -1
	s_delay_alu instid0(VALU_DEP_1) | instskip(NEXT) | instid1(VALU_DEP_3)
	v_cndmask_b32_e64 v62, 0, 1, s15
	v_lshlrev_b32_e32 v64, 30, v63
	s_delay_alu instid0(VALU_DEP_2) | instskip(NEXT) | instid1(VALU_DEP_2)
	v_cmp_ne_u32_e32 vcc_lo, 0, v62
	v_not_b32_e32 v62, v64
	v_cmp_gt_i32_e64 s15, 0, v64
	s_delay_alu instid0(VALU_DEP_2) | instskip(SKIP_3) | instid1(VALU_DEP_4)
	v_dual_ashrrev_i32 v62, 31, v62 :: v_dual_lshlrev_b32 v65, 29, v63
	v_dual_lshlrev_b32 v66, 28, v63 :: v_dual_lshlrev_b32 v67, 27, v63
	v_dual_lshlrev_b32 v196, 26, v63 :: v_dual_lshlrev_b32 v197, 25, v63
	v_lshlrev_b32_e32 v198, 24, v63
	v_cmp_gt_i32_e64 s16, 0, v65
	v_not_b32_e32 v64, v65
	v_not_b32_e32 v65, v66
	v_cmp_gt_i32_e64 s17, 0, v66
	v_cmp_gt_i32_e64 s18, 0, v67
	v_not_b32_e32 v66, v67
	v_not_b32_e32 v67, v196
	v_dual_ashrrev_i32 v64, 31, v64 :: v_dual_bitop2_b32 v61, vcc_lo, v61 bitop3:0x14
	v_dual_ashrrev_i32 v65, 31, v65 :: v_dual_bitop2_b32 v62, s15, v62 bitop3:0x14
	v_cmp_gt_i32_e64 s19, 0, v196
	v_cmp_gt_i32_e64 s20, 0, v197
	v_not_b32_e32 v196, v197
	v_not_b32_e32 v197, v198
	v_dual_ashrrev_i32 v66, 31, v66 :: v_dual_ashrrev_i32 v67, 31, v67
	v_xor_b32_e32 v64, s16, v64
	v_xor_b32_e32 v65, s17, v65
	v_bitop3_b32 v61, v61, v62, exec_lo bitop3:0x80
	v_cmp_gt_i32_e64 s21, 0, v198
	v_dual_ashrrev_i32 v62, 31, v196 :: v_dual_ashrrev_i32 v196, 31, v197
	v_xor_b32_e32 v66, s18, v66
	v_xor_b32_e32 v67, s19, v67
	v_bitop3_b32 v61, v61, v65, v64 bitop3:0x80
	v_mad_u32_u24 v64, v63, 36, v23
	v_xor_b32_e32 v62, s20, v62
	v_xor_b32_e32 v65, s21, v196
	s_delay_alu instid0(VALU_DEP_4) | instskip(SKIP_3) | instid1(VALU_DEP_2)
	v_bitop3_b32 v61, v61, v67, v66 bitop3:0x80
	ds_load_b32 v197, v64 offset:1056
	; wave barrier
	v_bitop3_b32 v61, v61, v65, v62 bitop3:0x80
	v_mul_u32_u24_e32 v62, 36, v63
	v_mbcnt_lo_u32_b32 v198, v61, 0
	v_cmp_ne_u32_e64 s15, 0, v61
	s_delay_alu instid0(VALU_DEP_3) | instskip(NEXT) | instid1(VALU_DEP_3)
	v_add_nc_u32_e32 v199, v23, v62
	v_cmp_eq_u32_e32 vcc_lo, 0, v198
	s_and_b32 s16, s15, vcc_lo
	s_delay_alu instid0(SALU_CYCLE_1)
	s_and_saveexec_b32 s15, s16
	s_cbranch_execz .LBB1759_459
; %bb.458:                              ;   in Loop: Header=BB1759_393 Depth=2
	s_wait_dscnt 0x0
	v_bcnt_u32_b32 v61, v61, v197
	ds_store_b32 v199, v61 offset:1056
.LBB1759_459:                           ;   in Loop: Header=BB1759_393 Depth=2
	s_or_b32 exec_lo, exec_lo, s15
	v_cmp_gt_i16_e32 vcc_lo, 0, v60
	; wave barrier
	v_cndmask_b32_e64 v61, 0x7fff, 0, vcc_lo
	s_delay_alu instid0(VALU_DEP_1) | instskip(NEXT) | instid1(VALU_DEP_1)
	v_xor_b32_e32 v196, v61, v60
	v_cmp_ne_u16_e64 vcc_lo, 0x8000, v196
	v_cndmask_b32_e32 v60, 0x7fff, v196, vcc_lo
	s_delay_alu instid0(VALU_DEP_1) | instskip(NEXT) | instid1(VALU_DEP_1)
	v_and_b32_e32 v60, 0xffff, v60
	v_lshrrev_b32_e32 v60, s48, v60
	s_delay_alu instid0(VALU_DEP_1) | instskip(SKIP_1) | instid1(VALU_DEP_2)
	v_bitop3_b32 v61, v60, 1, s52 bitop3:0x80
	v_and_b32_e32 v62, s52, v60
	v_add_co_u32 v60, s15, v61, -1
	s_delay_alu instid0(VALU_DEP_1) | instskip(NEXT) | instid1(VALU_DEP_3)
	v_cndmask_b32_e64 v61, 0, 1, s15
	v_lshlrev_b32_e32 v63, 30, v62
	s_delay_alu instid0(VALU_DEP_2) | instskip(NEXT) | instid1(VALU_DEP_2)
	v_cmp_ne_u32_e32 vcc_lo, 0, v61
	v_not_b32_e32 v61, v63
	v_cmp_gt_i32_e64 s15, 0, v63
	s_delay_alu instid0(VALU_DEP_2) | instskip(SKIP_3) | instid1(VALU_DEP_4)
	v_dual_ashrrev_i32 v61, 31, v61 :: v_dual_lshlrev_b32 v64, 29, v62
	v_dual_lshlrev_b32 v65, 28, v62 :: v_dual_lshlrev_b32 v66, 27, v62
	v_dual_lshlrev_b32 v67, 26, v62 :: v_dual_lshlrev_b32 v200, 25, v62
	v_lshlrev_b32_e32 v201, 24, v62
	v_cmp_gt_i32_e64 s16, 0, v64
	v_not_b32_e32 v63, v64
	v_not_b32_e32 v64, v65
	v_cmp_gt_i32_e64 s17, 0, v65
	v_cmp_gt_i32_e64 s18, 0, v66
	v_not_b32_e32 v65, v66
	v_not_b32_e32 v66, v67
	v_dual_ashrrev_i32 v63, 31, v63 :: v_dual_bitop2_b32 v60, vcc_lo, v60 bitop3:0x14
	v_dual_ashrrev_i32 v64, 31, v64 :: v_dual_bitop2_b32 v61, s15, v61 bitop3:0x14
	v_cmp_gt_i32_e64 s19, 0, v67
	v_cmp_gt_i32_e64 s20, 0, v200
	v_not_b32_e32 v67, v200
	v_not_b32_e32 v200, v201
	v_dual_ashrrev_i32 v65, 31, v65 :: v_dual_ashrrev_i32 v66, 31, v66
	v_xor_b32_e32 v63, s16, v63
	v_xor_b32_e32 v64, s17, v64
	v_bitop3_b32 v60, v60, v61, exec_lo bitop3:0x80
	v_cmp_gt_i32_e64 s21, 0, v201
	v_dual_ashrrev_i32 v61, 31, v67 :: v_dual_ashrrev_i32 v67, 31, v200
	v_xor_b32_e32 v65, s18, v65
	v_xor_b32_e32 v66, s19, v66
	v_bitop3_b32 v60, v60, v64, v63 bitop3:0x80
	v_mad_u32_u24 v63, v62, 36, v23
	v_xor_b32_e32 v61, s20, v61
	v_xor_b32_e32 v64, s21, v67
	s_delay_alu instid0(VALU_DEP_4) | instskip(SKIP_3) | instid1(VALU_DEP_2)
	v_bitop3_b32 v60, v60, v66, v65 bitop3:0x80
	ds_load_b32 v200, v63 offset:1056
	; wave barrier
	v_bitop3_b32 v60, v60, v64, v61 bitop3:0x80
	v_mul_u32_u24_e32 v61, 36, v62
	v_mbcnt_lo_u32_b32 v201, v60, 0
	v_cmp_ne_u32_e64 s15, 0, v60
	s_delay_alu instid0(VALU_DEP_3) | instskip(NEXT) | instid1(VALU_DEP_3)
	v_add_nc_u32_e32 v202, v23, v61
	v_cmp_eq_u32_e32 vcc_lo, 0, v201
	s_and_b32 s16, s15, vcc_lo
	s_delay_alu instid0(SALU_CYCLE_1)
	s_and_saveexec_b32 s15, s16
	s_cbranch_execz .LBB1759_461
; %bb.460:                              ;   in Loop: Header=BB1759_393 Depth=2
	s_wait_dscnt 0x0
	v_bcnt_u32_b32 v60, v60, v200
	ds_store_b32 v202, v60 offset:1056
.LBB1759_461:                           ;   in Loop: Header=BB1759_393 Depth=2
	s_or_b32 exec_lo, exec_lo, s15
	; wave barrier
	s_wait_dscnt 0x0
	s_barrier_signal -1
	s_barrier_wait -1
	ds_load_2addr_b32 v[66:67], v118 offset1:1
	ds_load_2addr_b32 v[64:65], v119 offset1:1
	;; [unrolled: 1-line block ×4, first 2 shown]
	ds_load_b32 v203, v91 offset:1088
	s_wait_dscnt 0x3
	v_add3_u32 v204, v67, v66, v64
	s_wait_dscnt 0x2
	s_delay_alu instid0(VALU_DEP_1) | instskip(SKIP_1) | instid1(VALU_DEP_1)
	v_add3_u32 v204, v204, v65, v62
	s_wait_dscnt 0x1
	v_add3_u32 v204, v204, v63, v60
	s_wait_dscnt 0x0
	s_delay_alu instid0(VALU_DEP_1) | instskip(NEXT) | instid1(VALU_DEP_1)
	v_add3_u32 v203, v204, v61, v203
	v_mov_b32_dpp v204, v203 row_shr:1 row_mask:0xf bank_mask:0xf
	s_delay_alu instid0(VALU_DEP_1) | instskip(NEXT) | instid1(VALU_DEP_1)
	v_cndmask_b32_e64 v204, v204, 0, s7
	v_add_nc_u32_e32 v203, v204, v203
	s_delay_alu instid0(VALU_DEP_1) | instskip(NEXT) | instid1(VALU_DEP_1)
	v_mov_b32_dpp v204, v203 row_shr:2 row_mask:0xf bank_mask:0xf
	v_cndmask_b32_e64 v204, 0, v204, s8
	s_delay_alu instid0(VALU_DEP_1) | instskip(NEXT) | instid1(VALU_DEP_1)
	v_add_nc_u32_e32 v203, v203, v204
	v_mov_b32_dpp v204, v203 row_shr:4 row_mask:0xf bank_mask:0xf
	s_delay_alu instid0(VALU_DEP_1) | instskip(NEXT) | instid1(VALU_DEP_1)
	v_cndmask_b32_e64 v204, 0, v204, s9
	v_add_nc_u32_e32 v203, v203, v204
	s_delay_alu instid0(VALU_DEP_1) | instskip(NEXT) | instid1(VALU_DEP_1)
	v_mov_b32_dpp v204, v203 row_shr:8 row_mask:0xf bank_mask:0xf
	v_cndmask_b32_e64 v204, 0, v204, s10
	s_delay_alu instid0(VALU_DEP_1) | instskip(SKIP_3) | instid1(VALU_DEP_1)
	v_add_nc_u32_e32 v203, v203, v204
	ds_swizzle_b32 v204, v203 offset:swizzle(BROADCAST,32,15)
	s_wait_dscnt 0x0
	v_cndmask_b32_e64 v204, v204, 0, s11
	v_add_nc_u32_e32 v203, v203, v204
	s_and_saveexec_b32 s15, s1
; %bb.462:                              ;   in Loop: Header=BB1759_393 Depth=2
	ds_store_b32 v84, v203 offset:1024
; %bb.463:                              ;   in Loop: Header=BB1759_393 Depth=2
	s_or_b32 exec_lo, exec_lo, s15
	s_wait_dscnt 0x0
	s_barrier_signal -1
	s_barrier_wait -1
	s_and_saveexec_b32 s15, s4
	s_cbranch_execz .LBB1759_465
; %bb.464:                              ;   in Loop: Header=BB1759_393 Depth=2
	ds_load_b32 v204, v92 offset:1024
	s_wait_dscnt 0x0
	v_mov_b32_dpp v205, v204 row_shr:1 row_mask:0xf bank_mask:0xf
	s_delay_alu instid0(VALU_DEP_1) | instskip(NEXT) | instid1(VALU_DEP_1)
	v_cndmask_b32_e64 v205, v205, 0, s12
	v_add_nc_u32_e32 v204, v205, v204
	s_delay_alu instid0(VALU_DEP_1) | instskip(NEXT) | instid1(VALU_DEP_1)
	v_mov_b32_dpp v205, v204 row_shr:2 row_mask:0xf bank_mask:0xf
	v_cndmask_b32_e64 v205, 0, v205, s13
	s_delay_alu instid0(VALU_DEP_1) | instskip(NEXT) | instid1(VALU_DEP_1)
	v_add_nc_u32_e32 v204, v204, v205
	v_mov_b32_dpp v205, v204 row_shr:4 row_mask:0xf bank_mask:0xf
	s_delay_alu instid0(VALU_DEP_1) | instskip(NEXT) | instid1(VALU_DEP_1)
	v_cndmask_b32_e64 v205, 0, v205, s14
	v_add_nc_u32_e32 v204, v204, v205
	ds_store_b32 v92, v204 offset:1024
.LBB1759_465:                           ;   in Loop: Header=BB1759_393 Depth=2
	s_or_b32 exec_lo, exec_lo, s15
	v_mov_b32_e32 v204, 0
	s_wait_dscnt 0x0
	s_barrier_signal -1
	s_barrier_wait -1
	s_and_saveexec_b32 s15, s5
; %bb.466:                              ;   in Loop: Header=BB1759_393 Depth=2
	ds_load_b32 v204, v84 offset:1020
; %bb.467:                              ;   in Loop: Header=BB1759_393 Depth=2
	s_or_b32 exec_lo, exec_lo, s15
	s_wait_dscnt 0x0
	v_add_nc_u32_e32 v203, v204, v203
	ds_bpermute_b32 v203, v122, v203
	s_wait_dscnt 0x0
	v_cndmask_b32_e64 v203, v203, v204, s6
	s_delay_alu instid0(VALU_DEP_1) | instskip(NEXT) | instid1(VALU_DEP_1)
	v_cndmask_b32_e64 v203, v203, 0, s2
	v_add_nc_u32_e32 v66, v203, v66
	s_delay_alu instid0(VALU_DEP_1) | instskip(NEXT) | instid1(VALU_DEP_1)
	v_add_nc_u32_e32 v67, v66, v67
	v_add_nc_u32_e32 v64, v67, v64
	s_delay_alu instid0(VALU_DEP_1) | instskip(NEXT) | instid1(VALU_DEP_1)
	v_add_nc_u32_e32 v65, v64, v65
	;; [unrolled: 3-line block ×3, first 2 shown]
	v_add_nc_u32_e32 v60, v63, v60
	s_delay_alu instid0(VALU_DEP_1)
	v_add_nc_u32_e32 v61, v60, v61
	ds_store_2addr_b32 v121, v63, v60 offset1:1
	ds_store_2addr_b32 v118, v203, v66 offset1:1
	;; [unrolled: 1-line block ×4, first 2 shown]
	ds_store_b32 v91, v61 offset:1088
	s_wait_dscnt 0x0
	s_barrier_signal -1
	s_barrier_wait -1
	ds_load_b32 v63, v143 offset:1056
	ds_load_b32 v65, v147 offset:1056
	;; [unrolled: 1-line block ×17, first 2 shown]
	v_mov_b32_e32 v62, 0x1000
	s_and_saveexec_b32 s15, s3
; %bb.468:                              ;   in Loop: Header=BB1759_393 Depth=2
	ds_load_b32 v62, v91 offset:1092
; %bb.469:                              ;   in Loop: Header=BB1759_393 Depth=2
	s_or_b32 exec_lo, exec_lo, s15
	s_wait_dscnt 0x0
	s_barrier_signal -1
	s_barrier_wait -1
	s_and_saveexec_b32 s15, s0
	s_cbranch_execz .LBB1759_471
; %bb.470:                              ;   in Loop: Header=BB1759_393 Depth=2
	ds_load_b32 v155, v3
	s_wait_dscnt 0x0
	v_sub_nc_u32_e32 v151, v155, v151
	ds_store_b32 v3, v151
.LBB1759_471:                           ;   in Loop: Header=BB1759_393 Depth=2
	s_or_b32 exec_lo, exec_lo, s15
	v_add3_u32 v159, v146, v145, v65
	v_add_nc_u32_e32 v163, v63, v142
	v_add3_u32 v155, v150, v149, v66
	v_add3_u32 v151, v154, v153, v67
	;; [unrolled: 1-line block ×4, first 2 shown]
	v_lshlrev_b32_e32 v60, 1, v159
	v_lshlrev_b32_e32 v153, 1, v163
	v_add3_u32 v150, v158, v157, v143
	v_add3_u32 v147, v166, v165, v203
	;; [unrolled: 1-line block ×4, first 2 shown]
	v_lshlrev_b32_e32 v61, 1, v155
	v_add3_u32 v145, v174, v173, v175
	v_lshlrev_b32_e32 v154, 1, v149
	ds_store_b16 v153, v140 offset:1024
	v_lshlrev_b32_e32 v140, 1, v151
	v_add3_u32 v143, v178, v177, v179
	v_lshlrev_b32_e32 v153, 1, v150
	v_add3_u32 v142, v182, v181, v183
	v_add3_u32 v63, v186, v185, v187
	ds_store_b16 v60, v141 offset:1024
	ds_store_b16 v61, v144 offset:1024
	;; [unrolled: 1-line block ×5, first 2 shown]
	v_dual_lshlrev_b32 v60, 1, v147 :: v_dual_lshlrev_b32 v140, 1, v145
	v_lshlrev_b32_e32 v61, 1, v146
	v_add3_u32 v65, v198, v197, v64
	v_dual_lshlrev_b32 v141, 1, v143 :: v_dual_lshlrev_b32 v144, 1, v142
	v_add3_u32 v64, v201, v200, v167
	ds_store_b16 v60, v160 offset:1024
	ds_store_b16 v61, v164 offset:1024
	;; [unrolled: 1-line block ×5, first 2 shown]
	v_dual_lshlrev_b32 v60, 1, v63 :: v_dual_lshlrev_b32 v140, 1, v66
	v_cmp_lt_u32_e32 vcc_lo, v2, v139
	v_dual_lshlrev_b32 v61, 1, v67 :: v_dual_lshlrev_b32 v141, 1, v65
	v_lshlrev_b32_e32 v144, 1, v64
	ds_store_b16 v60, v180 offset:1024
	ds_store_b16 v61, v184 offset:1024
	ds_store_b16 v140, v188 offset:1024
	ds_store_b16 v141, v192 offset:1024
	ds_store_b16 v144, v196 offset:1024
	s_wait_dscnt 0x0
	s_barrier_signal -1
	s_barrier_wait -1
	s_and_saveexec_b32 s16, vcc_lo
	s_cbranch_execnz .LBB1759_540
; %bb.472:                              ;   in Loop: Header=BB1759_393 Depth=2
	s_or_b32 exec_lo, exec_lo, s16
	v_cmp_lt_u32_e64 s15, v68, v139
	s_and_saveexec_b32 s17, s15
	s_cbranch_execnz .LBB1759_541
.LBB1759_473:                           ;   in Loop: Header=BB1759_393 Depth=2
	s_or_b32 exec_lo, exec_lo, s17
	v_cmp_lt_u32_e64 s16, v69, v139
	s_and_saveexec_b32 s18, s16
	s_cbranch_execnz .LBB1759_542
.LBB1759_474:                           ;   in Loop: Header=BB1759_393 Depth=2
	s_or_b32 exec_lo, exec_lo, s18
	v_cmp_lt_u32_e64 s17, v70, v139
	s_and_saveexec_b32 s19, s17
	s_cbranch_execnz .LBB1759_543
.LBB1759_475:                           ;   in Loop: Header=BB1759_393 Depth=2
	s_or_b32 exec_lo, exec_lo, s19
	v_cmp_lt_u32_e64 s18, v71, v139
	s_and_saveexec_b32 s20, s18
	s_cbranch_execnz .LBB1759_544
.LBB1759_476:                           ;   in Loop: Header=BB1759_393 Depth=2
	s_or_b32 exec_lo, exec_lo, s20
	v_cmp_lt_u32_e64 s19, v72, v139
	s_and_saveexec_b32 s21, s19
	s_cbranch_execnz .LBB1759_545
.LBB1759_477:                           ;   in Loop: Header=BB1759_393 Depth=2
	s_or_b32 exec_lo, exec_lo, s21
	v_cmp_lt_u32_e64 s20, v73, v139
	s_and_saveexec_b32 s22, s20
	s_cbranch_execnz .LBB1759_546
.LBB1759_478:                           ;   in Loop: Header=BB1759_393 Depth=2
	s_or_b32 exec_lo, exec_lo, s22
	v_cmp_lt_u32_e64 s21, v74, v139
	s_and_saveexec_b32 s23, s21
	s_cbranch_execnz .LBB1759_547
.LBB1759_479:                           ;   in Loop: Header=BB1759_393 Depth=2
	s_or_b32 exec_lo, exec_lo, s23
	v_cmp_lt_u32_e64 s22, v75, v139
	s_and_saveexec_b32 s24, s22
	s_cbranch_execnz .LBB1759_548
.LBB1759_480:                           ;   in Loop: Header=BB1759_393 Depth=2
	s_or_b32 exec_lo, exec_lo, s24
	v_cmp_lt_u32_e64 s23, v76, v139
	s_and_saveexec_b32 s25, s23
	s_cbranch_execnz .LBB1759_549
.LBB1759_481:                           ;   in Loop: Header=BB1759_393 Depth=2
	s_or_b32 exec_lo, exec_lo, s25
	v_cmp_lt_u32_e64 s24, v77, v139
	s_and_saveexec_b32 s26, s24
	s_cbranch_execnz .LBB1759_550
.LBB1759_482:                           ;   in Loop: Header=BB1759_393 Depth=2
	s_or_b32 exec_lo, exec_lo, s26
	v_cmp_lt_u32_e64 s25, v78, v139
	s_and_saveexec_b32 s27, s25
	s_cbranch_execnz .LBB1759_551
.LBB1759_483:                           ;   in Loop: Header=BB1759_393 Depth=2
	s_or_b32 exec_lo, exec_lo, s27
	v_cmp_lt_u32_e64 s26, v79, v139
	s_and_saveexec_b32 s28, s26
	s_cbranch_execnz .LBB1759_552
.LBB1759_484:                           ;   in Loop: Header=BB1759_393 Depth=2
	s_or_b32 exec_lo, exec_lo, s28
	v_cmp_lt_u32_e64 s27, v80, v139
	s_and_saveexec_b32 s29, s27
	s_cbranch_execnz .LBB1759_553
.LBB1759_485:                           ;   in Loop: Header=BB1759_393 Depth=2
	s_or_b32 exec_lo, exec_lo, s29
	v_cmp_lt_u32_e64 s28, v81, v139
	s_and_saveexec_b32 s30, s28
	s_cbranch_execnz .LBB1759_554
.LBB1759_486:                           ;   in Loop: Header=BB1759_393 Depth=2
	s_or_b32 exec_lo, exec_lo, s30
	v_cmp_lt_u32_e64 s29, v82, v139
	s_and_saveexec_b32 s58, s29
	s_cbranch_execz .LBB1759_488
.LBB1759_487:                           ;   in Loop: Header=BB1759_393 Depth=2
	ds_load_u16 v60, v93 offset:8704
	s_wait_dscnt 0x0
	v_cmp_ne_u16_e64 s30, 0x8000, v60
	s_delay_alu instid0(VALU_DEP_1) | instskip(SKIP_1) | instid1(VALU_DEP_2)
	v_cndmask_b32_e64 v61, 0x7fff, v60, s30
	v_cmp_gt_i16_e64 s30, 0, v60
	v_and_b32_e32 v61, 0xffff, v61
	s_delay_alu instid0(VALU_DEP_2) | instskip(NEXT) | instid1(VALU_DEP_1)
	v_cndmask_b32_e64 v140, 0x7fff, 0, s30
	v_dual_lshrrev_b32 v61, s48, v61 :: v_dual_bitop2_b32 v60, v140, v60 bitop3:0x14
	s_delay_alu instid0(VALU_DEP_1) | instskip(NEXT) | instid1(VALU_DEP_1)
	v_and_b32_e32 v61, s52, v61
	v_lshlrev_b32_e32 v61, 2, v61
	ds_load_b32 v61, v61
	s_wait_dscnt 0x0
	v_add_nc_u32_e32 v61, v61, v82
	global_store_b16 v61, v60, s[40:41] scale_offset
.LBB1759_488:                           ;   in Loop: Header=BB1759_393 Depth=2
	s_wait_xcnt 0x0
	s_or_b32 exec_lo, exec_lo, s58
	v_lshl_add_u64 v[60:61], s[42:43], 3, v[24:25]
	v_cmp_lt_u32_e64 s30, v100, v139
	s_and_saveexec_b32 s42, s30
	s_delay_alu instid0(SALU_CYCLE_1)
	s_xor_b32 s30, exec_lo, s42
	s_cbranch_execnz .LBB1759_555
; %bb.489:                              ;   in Loop: Header=BB1759_393 Depth=2
	s_or_b32 exec_lo, exec_lo, s30
	s_delay_alu instid0(SALU_CYCLE_1)
	s_mov_b32 s42, exec_lo
	v_cmpx_lt_u32_e64 v103, v139
	s_cbranch_execnz .LBB1759_556
.LBB1759_490:                           ;   in Loop: Header=BB1759_393 Depth=2
	s_or_b32 exec_lo, exec_lo, s42
	s_delay_alu instid0(SALU_CYCLE_1)
	s_mov_b32 s42, exec_lo
	v_cmpx_lt_u32_e64 v104, v139
	s_cbranch_execnz .LBB1759_557
.LBB1759_491:                           ;   in Loop: Header=BB1759_393 Depth=2
	s_or_b32 exec_lo, exec_lo, s42
	s_delay_alu instid0(SALU_CYCLE_1)
	s_mov_b32 s42, exec_lo
	v_cmpx_lt_u32_e64 v105, v139
	s_cbranch_execnz .LBB1759_558
.LBB1759_492:                           ;   in Loop: Header=BB1759_393 Depth=2
	s_or_b32 exec_lo, exec_lo, s42
	s_delay_alu instid0(SALU_CYCLE_1)
	s_mov_b32 s42, exec_lo
	v_cmpx_lt_u32_e64 v106, v139
	s_cbranch_execnz .LBB1759_559
.LBB1759_493:                           ;   in Loop: Header=BB1759_393 Depth=2
	s_or_b32 exec_lo, exec_lo, s42
	s_delay_alu instid0(SALU_CYCLE_1)
	s_mov_b32 s42, exec_lo
	v_cmpx_lt_u32_e64 v107, v139
	s_cbranch_execnz .LBB1759_560
.LBB1759_494:                           ;   in Loop: Header=BB1759_393 Depth=2
	s_or_b32 exec_lo, exec_lo, s42
	s_delay_alu instid0(SALU_CYCLE_1)
	s_mov_b32 s42, exec_lo
	v_cmpx_lt_u32_e64 v108, v139
	s_cbranch_execnz .LBB1759_561
.LBB1759_495:                           ;   in Loop: Header=BB1759_393 Depth=2
	s_or_b32 exec_lo, exec_lo, s42
	s_delay_alu instid0(SALU_CYCLE_1)
	s_mov_b32 s42, exec_lo
	v_cmpx_lt_u32_e64 v109, v139
	s_cbranch_execnz .LBB1759_562
.LBB1759_496:                           ;   in Loop: Header=BB1759_393 Depth=2
	s_or_b32 exec_lo, exec_lo, s42
	s_delay_alu instid0(SALU_CYCLE_1)
	s_mov_b32 s42, exec_lo
	v_cmpx_lt_u32_e64 v110, v139
	s_cbranch_execnz .LBB1759_563
.LBB1759_497:                           ;   in Loop: Header=BB1759_393 Depth=2
	s_or_b32 exec_lo, exec_lo, s42
	s_delay_alu instid0(SALU_CYCLE_1)
	s_mov_b32 s42, exec_lo
	v_cmpx_lt_u32_e64 v111, v139
	s_cbranch_execnz .LBB1759_564
.LBB1759_498:                           ;   in Loop: Header=BB1759_393 Depth=2
	s_or_b32 exec_lo, exec_lo, s42
	s_delay_alu instid0(SALU_CYCLE_1)
	s_mov_b32 s42, exec_lo
	v_cmpx_lt_u32_e64 v112, v139
	s_cbranch_execnz .LBB1759_565
.LBB1759_499:                           ;   in Loop: Header=BB1759_393 Depth=2
	s_or_b32 exec_lo, exec_lo, s42
	s_delay_alu instid0(SALU_CYCLE_1)
	s_mov_b32 s42, exec_lo
	v_cmpx_lt_u32_e64 v113, v139
	s_cbranch_execnz .LBB1759_566
.LBB1759_500:                           ;   in Loop: Header=BB1759_393 Depth=2
	s_or_b32 exec_lo, exec_lo, s42
	s_delay_alu instid0(SALU_CYCLE_1)
	s_mov_b32 s42, exec_lo
	v_cmpx_lt_u32_e64 v114, v139
	s_cbranch_execnz .LBB1759_567
.LBB1759_501:                           ;   in Loop: Header=BB1759_393 Depth=2
	s_or_b32 exec_lo, exec_lo, s42
	s_delay_alu instid0(SALU_CYCLE_1)
	s_mov_b32 s42, exec_lo
	v_cmpx_lt_u32_e64 v115, v139
	s_cbranch_execnz .LBB1759_568
.LBB1759_502:                           ;   in Loop: Header=BB1759_393 Depth=2
	s_or_b32 exec_lo, exec_lo, s42
	s_delay_alu instid0(SALU_CYCLE_1)
	s_mov_b32 s42, exec_lo
	v_cmpx_lt_u32_e64 v116, v139
	s_cbranch_execnz .LBB1759_569
.LBB1759_503:                           ;   in Loop: Header=BB1759_393 Depth=2
	s_or_b32 exec_lo, exec_lo, s42
	s_delay_alu instid0(SALU_CYCLE_1)
	s_mov_b32 s42, exec_lo
	v_cmpx_lt_u32_e64 v117, v139
	s_cbranch_execnz .LBB1759_570
.LBB1759_504:                           ;   in Loop: Header=BB1759_393 Depth=2
	s_or_b32 exec_lo, exec_lo, s42
	s_and_saveexec_b32 s42, vcc_lo
	s_cbranch_execnz .LBB1759_571
.LBB1759_505:                           ;   in Loop: Header=BB1759_393 Depth=2
	s_or_b32 exec_lo, exec_lo, s42
	s_and_saveexec_b32 s42, s15
	s_cbranch_execnz .LBB1759_572
.LBB1759_506:                           ;   in Loop: Header=BB1759_393 Depth=2
	s_or_b32 exec_lo, exec_lo, s42
	s_and_saveexec_b32 s42, s16
	s_cbranch_execnz .LBB1759_573
.LBB1759_507:                           ;   in Loop: Header=BB1759_393 Depth=2
	s_or_b32 exec_lo, exec_lo, s42
	s_and_saveexec_b32 s42, s17
	s_cbranch_execnz .LBB1759_574
.LBB1759_508:                           ;   in Loop: Header=BB1759_393 Depth=2
	s_or_b32 exec_lo, exec_lo, s42
	s_and_saveexec_b32 s42, s18
	s_cbranch_execnz .LBB1759_575
.LBB1759_509:                           ;   in Loop: Header=BB1759_393 Depth=2
	s_or_b32 exec_lo, exec_lo, s42
	s_and_saveexec_b32 s42, s19
	s_cbranch_execnz .LBB1759_576
.LBB1759_510:                           ;   in Loop: Header=BB1759_393 Depth=2
	s_or_b32 exec_lo, exec_lo, s42
	s_and_saveexec_b32 s42, s20
	s_cbranch_execnz .LBB1759_577
.LBB1759_511:                           ;   in Loop: Header=BB1759_393 Depth=2
	s_or_b32 exec_lo, exec_lo, s42
	s_and_saveexec_b32 s42, s21
	s_cbranch_execnz .LBB1759_578
.LBB1759_512:                           ;   in Loop: Header=BB1759_393 Depth=2
	s_or_b32 exec_lo, exec_lo, s42
	s_and_saveexec_b32 s42, s22
	s_cbranch_execnz .LBB1759_579
.LBB1759_513:                           ;   in Loop: Header=BB1759_393 Depth=2
	s_or_b32 exec_lo, exec_lo, s42
	s_and_saveexec_b32 s42, s23
	s_cbranch_execnz .LBB1759_580
.LBB1759_514:                           ;   in Loop: Header=BB1759_393 Depth=2
	s_or_b32 exec_lo, exec_lo, s42
	s_and_saveexec_b32 s42, s24
	s_cbranch_execnz .LBB1759_581
.LBB1759_515:                           ;   in Loop: Header=BB1759_393 Depth=2
	s_or_b32 exec_lo, exec_lo, s42
	s_and_saveexec_b32 s42, s25
	s_cbranch_execnz .LBB1759_582
.LBB1759_516:                           ;   in Loop: Header=BB1759_393 Depth=2
	s_or_b32 exec_lo, exec_lo, s42
	s_and_saveexec_b32 s42, s26
	s_cbranch_execnz .LBB1759_583
.LBB1759_517:                           ;   in Loop: Header=BB1759_393 Depth=2
	s_or_b32 exec_lo, exec_lo, s42
	s_and_saveexec_b32 s42, s27
	s_cbranch_execnz .LBB1759_584
.LBB1759_518:                           ;   in Loop: Header=BB1759_393 Depth=2
	s_or_b32 exec_lo, exec_lo, s42
	s_and_saveexec_b32 s42, s28
	s_cbranch_execnz .LBB1759_585
.LBB1759_519:                           ;   in Loop: Header=BB1759_393 Depth=2
	s_or_b32 exec_lo, exec_lo, s42
	s_and_saveexec_b32 s42, s29
	s_cbranch_execz .LBB1759_521
.LBB1759_520:                           ;   in Loop: Header=BB1759_393 Depth=2
	ds_load_u16 v60, v93 offset:8704
	s_wait_dscnt 0x0
	v_cmp_ne_u16_e64 s30, 0x8000, v60
	s_delay_alu instid0(VALU_DEP_1) | instskip(NEXT) | instid1(VALU_DEP_1)
	v_cndmask_b32_e64 v60, 0x7fff, v60, s30
	v_and_b32_e32 v60, 0xffff, v60
	s_delay_alu instid0(VALU_DEP_1) | instskip(NEXT) | instid1(VALU_DEP_1)
	v_lshrrev_b32_e32 v60, s48, v60
	v_and_b32_e32 v123, s52, v60
.LBB1759_521:                           ;   in Loop: Header=BB1759_393 Depth=2
	s_or_b32 exec_lo, exec_lo, s42
	v_dual_lshlrev_b32 v60, 3, v163 :: v_dual_lshlrev_b32 v140, 3, v150
	s_wait_loadcnt 0x0
	s_wait_storecnt 0x0
	s_barrier_signal -1
	s_barrier_wait -1
	ds_store_b64 v60, v[58:59] offset:1024
	v_dual_lshlrev_b32 v60, 3, v159 :: v_dual_lshlrev_b32 v141, 3, v149
	v_lshlrev_b32_e32 v61, 3, v155
	v_lshlrev_b32_e32 v139, 3, v151
	ds_store_b64 v60, v[56:57] offset:1024
	ds_store_b64 v61, v[54:55] offset:1024
	ds_store_b64 v139, v[52:53] offset:1024
	ds_store_b64 v140, v[50:51] offset:1024
	ds_store_b64 v141, v[48:49] offset:1024
	v_dual_lshlrev_b32 v60, 3, v147 :: v_dual_lshlrev_b32 v141, 3, v142
	v_dual_lshlrev_b32 v61, 3, v146 :: v_dual_lshlrev_b32 v139, 3, v145
	v_lshlrev_b32_e32 v140, 3, v143
	ds_store_b64 v60, v[46:47] offset:1024
	ds_store_b64 v61, v[44:45] offset:1024
	;; [unrolled: 1-line block ×5, first 2 shown]
	v_dual_lshlrev_b32 v60, 3, v63 :: v_dual_lshlrev_b32 v65, 3, v65
	v_dual_lshlrev_b32 v61, 3, v67 :: v_dual_lshlrev_b32 v64, 3, v64
	v_lshlrev_b32_e32 v63, 3, v66
	ds_store_b64 v60, v[36:37] offset:1024
	ds_store_b64 v61, v[34:35] offset:1024
	;; [unrolled: 1-line block ×5, first 2 shown]
	s_wait_dscnt 0x0
	s_barrier_signal -1
	s_barrier_wait -1
	s_and_saveexec_b32 s30, vcc_lo
	s_cbranch_execnz .LBB1759_586
; %bb.522:                              ;   in Loop: Header=BB1759_393 Depth=2
	s_or_b32 exec_lo, exec_lo, s30
	s_and_saveexec_b32 s30, s15
	s_cbranch_execnz .LBB1759_587
.LBB1759_523:                           ;   in Loop: Header=BB1759_393 Depth=2
	s_or_b32 exec_lo, exec_lo, s30
	s_and_saveexec_b32 s15, s16
	s_cbranch_execnz .LBB1759_588
.LBB1759_524:                           ;   in Loop: Header=BB1759_393 Depth=2
	s_or_b32 exec_lo, exec_lo, s15
	s_and_saveexec_b32 s15, s17
	s_cbranch_execnz .LBB1759_589
.LBB1759_525:                           ;   in Loop: Header=BB1759_393 Depth=2
	s_or_b32 exec_lo, exec_lo, s15
	s_and_saveexec_b32 s15, s18
	s_cbranch_execnz .LBB1759_590
.LBB1759_526:                           ;   in Loop: Header=BB1759_393 Depth=2
	s_or_b32 exec_lo, exec_lo, s15
	s_and_saveexec_b32 s15, s19
	s_cbranch_execnz .LBB1759_591
.LBB1759_527:                           ;   in Loop: Header=BB1759_393 Depth=2
	s_or_b32 exec_lo, exec_lo, s15
	s_and_saveexec_b32 s15, s20
	s_cbranch_execnz .LBB1759_592
.LBB1759_528:                           ;   in Loop: Header=BB1759_393 Depth=2
	s_or_b32 exec_lo, exec_lo, s15
	s_and_saveexec_b32 s15, s21
	s_cbranch_execnz .LBB1759_593
.LBB1759_529:                           ;   in Loop: Header=BB1759_393 Depth=2
	s_or_b32 exec_lo, exec_lo, s15
	s_and_saveexec_b32 s15, s22
	s_cbranch_execnz .LBB1759_594
.LBB1759_530:                           ;   in Loop: Header=BB1759_393 Depth=2
	s_or_b32 exec_lo, exec_lo, s15
	s_and_saveexec_b32 s15, s23
	s_cbranch_execnz .LBB1759_595
.LBB1759_531:                           ;   in Loop: Header=BB1759_393 Depth=2
	s_or_b32 exec_lo, exec_lo, s15
	s_and_saveexec_b32 s15, s24
	s_cbranch_execnz .LBB1759_596
.LBB1759_532:                           ;   in Loop: Header=BB1759_393 Depth=2
	s_or_b32 exec_lo, exec_lo, s15
	s_and_saveexec_b32 s15, s25
	s_cbranch_execnz .LBB1759_597
.LBB1759_533:                           ;   in Loop: Header=BB1759_393 Depth=2
	s_or_b32 exec_lo, exec_lo, s15
	s_and_saveexec_b32 s15, s26
	s_cbranch_execnz .LBB1759_598
.LBB1759_534:                           ;   in Loop: Header=BB1759_393 Depth=2
	s_or_b32 exec_lo, exec_lo, s15
	s_and_saveexec_b32 s15, s27
	s_cbranch_execnz .LBB1759_599
.LBB1759_535:                           ;   in Loop: Header=BB1759_393 Depth=2
	s_or_b32 exec_lo, exec_lo, s15
	s_and_saveexec_b32 s15, s28
	s_cbranch_execnz .LBB1759_600
.LBB1759_536:                           ;   in Loop: Header=BB1759_393 Depth=2
	s_or_b32 exec_lo, exec_lo, s15
	s_and_saveexec_b32 s15, s29
	s_cbranch_execz .LBB1759_538
.LBB1759_537:                           ;   in Loop: Header=BB1759_393 Depth=2
	v_dual_lshlrev_b32 v60, 2, v123 :: v_dual_add_nc_u32 v61, v93, v94
	ds_load_b32 v63, v60
	ds_load_b64 v[60:61], v61 offset:31744
	s_wait_dscnt 0x1
	v_add_nc_u32_e32 v63, v63, v82
	s_wait_dscnt 0x0
	global_store_b64 v63, v[60:61], s[46:47] scale_offset
.LBB1759_538:                           ;   in Loop: Header=BB1759_393 Depth=2
	s_wait_xcnt 0x0
	s_or_b32 exec_lo, exec_lo, s15
	s_wait_storecnt 0x0
	s_barrier_signal -1
	s_barrier_wait -1
	s_and_saveexec_b32 s15, s0
	s_cbranch_execz .LBB1759_392
; %bb.539:                              ;   in Loop: Header=BB1759_393 Depth=2
	ds_load_b32 v60, v3
	s_wait_dscnt 0x0
	v_add_nc_u32_e32 v60, v60, v62
	ds_store_b32 v3, v60
	s_branch .LBB1759_392
.LBB1759_540:                           ;   in Loop: Header=BB1759_393 Depth=2
	ds_load_u16 v60, v93 offset:1024
	s_wait_dscnt 0x0
	v_cmp_ne_u16_e64 s15, 0x8000, v60
	s_delay_alu instid0(VALU_DEP_1) | instskip(SKIP_1) | instid1(VALU_DEP_2)
	v_cndmask_b32_e64 v61, 0x7fff, v60, s15
	v_cmp_gt_i16_e64 s15, 0, v60
	v_and_b32_e32 v61, 0xffff, v61
	s_delay_alu instid0(VALU_DEP_2) | instskip(NEXT) | instid1(VALU_DEP_1)
	v_cndmask_b32_e64 v140, 0x7fff, 0, s15
	v_dual_lshrrev_b32 v61, s48, v61 :: v_dual_bitop2_b32 v60, v140, v60 bitop3:0x14
	s_delay_alu instid0(VALU_DEP_1) | instskip(NEXT) | instid1(VALU_DEP_1)
	v_and_b32_e32 v61, s52, v61
	v_lshlrev_b32_e32 v61, 2, v61
	ds_load_b32 v61, v61
	s_wait_dscnt 0x0
	v_add_nc_u32_e32 v61, v61, v2
	global_store_b16 v61, v60, s[40:41] scale_offset
	s_wait_xcnt 0x0
	s_or_b32 exec_lo, exec_lo, s16
	v_cmp_lt_u32_e64 s15, v68, v139
	s_and_saveexec_b32 s17, s15
	s_cbranch_execz .LBB1759_473
.LBB1759_541:                           ;   in Loop: Header=BB1759_393 Depth=2
	ds_load_u16 v60, v93 offset:1536
	s_wait_dscnt 0x0
	v_cmp_ne_u16_e64 s16, 0x8000, v60
	s_delay_alu instid0(VALU_DEP_1) | instskip(SKIP_1) | instid1(VALU_DEP_2)
	v_cndmask_b32_e64 v61, 0x7fff, v60, s16
	v_cmp_gt_i16_e64 s16, 0, v60
	v_and_b32_e32 v61, 0xffff, v61
	s_delay_alu instid0(VALU_DEP_2) | instskip(NEXT) | instid1(VALU_DEP_1)
	v_cndmask_b32_e64 v140, 0x7fff, 0, s16
	v_dual_lshrrev_b32 v61, s48, v61 :: v_dual_bitop2_b32 v60, v140, v60 bitop3:0x14
	s_delay_alu instid0(VALU_DEP_1) | instskip(NEXT) | instid1(VALU_DEP_1)
	v_and_b32_e32 v61, s52, v61
	v_lshlrev_b32_e32 v61, 2, v61
	ds_load_b32 v61, v61
	s_wait_dscnt 0x0
	v_add_nc_u32_e32 v61, v61, v68
	global_store_b16 v61, v60, s[40:41] scale_offset
	s_wait_xcnt 0x0
	s_or_b32 exec_lo, exec_lo, s17
	v_cmp_lt_u32_e64 s16, v69, v139
	s_and_saveexec_b32 s18, s16
	s_cbranch_execz .LBB1759_474
.LBB1759_542:                           ;   in Loop: Header=BB1759_393 Depth=2
	ds_load_u16 v60, v93 offset:2048
	s_wait_dscnt 0x0
	v_cmp_ne_u16_e64 s17, 0x8000, v60
	s_delay_alu instid0(VALU_DEP_1) | instskip(SKIP_1) | instid1(VALU_DEP_2)
	v_cndmask_b32_e64 v61, 0x7fff, v60, s17
	v_cmp_gt_i16_e64 s17, 0, v60
	v_and_b32_e32 v61, 0xffff, v61
	s_delay_alu instid0(VALU_DEP_2) | instskip(NEXT) | instid1(VALU_DEP_1)
	v_cndmask_b32_e64 v140, 0x7fff, 0, s17
	v_dual_lshrrev_b32 v61, s48, v61 :: v_dual_bitop2_b32 v60, v140, v60 bitop3:0x14
	s_delay_alu instid0(VALU_DEP_1) | instskip(NEXT) | instid1(VALU_DEP_1)
	v_and_b32_e32 v61, s52, v61
	v_lshlrev_b32_e32 v61, 2, v61
	ds_load_b32 v61, v61
	s_wait_dscnt 0x0
	v_add_nc_u32_e32 v61, v61, v69
	global_store_b16 v61, v60, s[40:41] scale_offset
	s_wait_xcnt 0x0
	s_or_b32 exec_lo, exec_lo, s18
	v_cmp_lt_u32_e64 s17, v70, v139
	s_and_saveexec_b32 s19, s17
	s_cbranch_execz .LBB1759_475
.LBB1759_543:                           ;   in Loop: Header=BB1759_393 Depth=2
	ds_load_u16 v60, v93 offset:2560
	s_wait_dscnt 0x0
	v_cmp_ne_u16_e64 s18, 0x8000, v60
	s_delay_alu instid0(VALU_DEP_1) | instskip(SKIP_1) | instid1(VALU_DEP_2)
	v_cndmask_b32_e64 v61, 0x7fff, v60, s18
	v_cmp_gt_i16_e64 s18, 0, v60
	v_and_b32_e32 v61, 0xffff, v61
	s_delay_alu instid0(VALU_DEP_2) | instskip(NEXT) | instid1(VALU_DEP_1)
	v_cndmask_b32_e64 v140, 0x7fff, 0, s18
	v_dual_lshrrev_b32 v61, s48, v61 :: v_dual_bitop2_b32 v60, v140, v60 bitop3:0x14
	s_delay_alu instid0(VALU_DEP_1) | instskip(NEXT) | instid1(VALU_DEP_1)
	v_and_b32_e32 v61, s52, v61
	v_lshlrev_b32_e32 v61, 2, v61
	ds_load_b32 v61, v61
	s_wait_dscnt 0x0
	v_add_nc_u32_e32 v61, v61, v70
	global_store_b16 v61, v60, s[40:41] scale_offset
	s_wait_xcnt 0x0
	s_or_b32 exec_lo, exec_lo, s19
	v_cmp_lt_u32_e64 s18, v71, v139
	s_and_saveexec_b32 s20, s18
	s_cbranch_execz .LBB1759_476
.LBB1759_544:                           ;   in Loop: Header=BB1759_393 Depth=2
	ds_load_u16 v60, v93 offset:3072
	s_wait_dscnt 0x0
	v_cmp_ne_u16_e64 s19, 0x8000, v60
	s_delay_alu instid0(VALU_DEP_1) | instskip(SKIP_1) | instid1(VALU_DEP_2)
	v_cndmask_b32_e64 v61, 0x7fff, v60, s19
	v_cmp_gt_i16_e64 s19, 0, v60
	v_and_b32_e32 v61, 0xffff, v61
	s_delay_alu instid0(VALU_DEP_2) | instskip(NEXT) | instid1(VALU_DEP_1)
	v_cndmask_b32_e64 v140, 0x7fff, 0, s19
	v_dual_lshrrev_b32 v61, s48, v61 :: v_dual_bitop2_b32 v60, v140, v60 bitop3:0x14
	s_delay_alu instid0(VALU_DEP_1) | instskip(NEXT) | instid1(VALU_DEP_1)
	v_and_b32_e32 v61, s52, v61
	v_lshlrev_b32_e32 v61, 2, v61
	ds_load_b32 v61, v61
	s_wait_dscnt 0x0
	v_add_nc_u32_e32 v61, v61, v71
	global_store_b16 v61, v60, s[40:41] scale_offset
	s_wait_xcnt 0x0
	s_or_b32 exec_lo, exec_lo, s20
	v_cmp_lt_u32_e64 s19, v72, v139
	s_and_saveexec_b32 s21, s19
	s_cbranch_execz .LBB1759_477
.LBB1759_545:                           ;   in Loop: Header=BB1759_393 Depth=2
	ds_load_u16 v60, v93 offset:3584
	s_wait_dscnt 0x0
	v_cmp_ne_u16_e64 s20, 0x8000, v60
	s_delay_alu instid0(VALU_DEP_1) | instskip(SKIP_1) | instid1(VALU_DEP_2)
	v_cndmask_b32_e64 v61, 0x7fff, v60, s20
	v_cmp_gt_i16_e64 s20, 0, v60
	v_and_b32_e32 v61, 0xffff, v61
	s_delay_alu instid0(VALU_DEP_2) | instskip(NEXT) | instid1(VALU_DEP_1)
	v_cndmask_b32_e64 v140, 0x7fff, 0, s20
	v_dual_lshrrev_b32 v61, s48, v61 :: v_dual_bitop2_b32 v60, v140, v60 bitop3:0x14
	s_delay_alu instid0(VALU_DEP_1) | instskip(NEXT) | instid1(VALU_DEP_1)
	v_and_b32_e32 v61, s52, v61
	v_lshlrev_b32_e32 v61, 2, v61
	ds_load_b32 v61, v61
	s_wait_dscnt 0x0
	v_add_nc_u32_e32 v61, v61, v72
	global_store_b16 v61, v60, s[40:41] scale_offset
	s_wait_xcnt 0x0
	s_or_b32 exec_lo, exec_lo, s21
	v_cmp_lt_u32_e64 s20, v73, v139
	s_and_saveexec_b32 s22, s20
	s_cbranch_execz .LBB1759_478
.LBB1759_546:                           ;   in Loop: Header=BB1759_393 Depth=2
	ds_load_u16 v60, v93 offset:4096
	s_wait_dscnt 0x0
	v_cmp_ne_u16_e64 s21, 0x8000, v60
	s_delay_alu instid0(VALU_DEP_1) | instskip(SKIP_1) | instid1(VALU_DEP_2)
	v_cndmask_b32_e64 v61, 0x7fff, v60, s21
	v_cmp_gt_i16_e64 s21, 0, v60
	v_and_b32_e32 v61, 0xffff, v61
	s_delay_alu instid0(VALU_DEP_2) | instskip(NEXT) | instid1(VALU_DEP_1)
	v_cndmask_b32_e64 v140, 0x7fff, 0, s21
	v_dual_lshrrev_b32 v61, s48, v61 :: v_dual_bitop2_b32 v60, v140, v60 bitop3:0x14
	s_delay_alu instid0(VALU_DEP_1) | instskip(NEXT) | instid1(VALU_DEP_1)
	v_and_b32_e32 v61, s52, v61
	v_lshlrev_b32_e32 v61, 2, v61
	ds_load_b32 v61, v61
	s_wait_dscnt 0x0
	v_add_nc_u32_e32 v61, v61, v73
	global_store_b16 v61, v60, s[40:41] scale_offset
	s_wait_xcnt 0x0
	s_or_b32 exec_lo, exec_lo, s22
	v_cmp_lt_u32_e64 s21, v74, v139
	s_and_saveexec_b32 s23, s21
	s_cbranch_execz .LBB1759_479
.LBB1759_547:                           ;   in Loop: Header=BB1759_393 Depth=2
	ds_load_u16 v60, v93 offset:4608
	s_wait_dscnt 0x0
	v_cmp_ne_u16_e64 s22, 0x8000, v60
	s_delay_alu instid0(VALU_DEP_1) | instskip(SKIP_1) | instid1(VALU_DEP_2)
	v_cndmask_b32_e64 v61, 0x7fff, v60, s22
	v_cmp_gt_i16_e64 s22, 0, v60
	v_and_b32_e32 v61, 0xffff, v61
	s_delay_alu instid0(VALU_DEP_2) | instskip(NEXT) | instid1(VALU_DEP_1)
	v_cndmask_b32_e64 v140, 0x7fff, 0, s22
	v_dual_lshrrev_b32 v61, s48, v61 :: v_dual_bitop2_b32 v60, v140, v60 bitop3:0x14
	s_delay_alu instid0(VALU_DEP_1) | instskip(NEXT) | instid1(VALU_DEP_1)
	v_and_b32_e32 v61, s52, v61
	v_lshlrev_b32_e32 v61, 2, v61
	ds_load_b32 v61, v61
	s_wait_dscnt 0x0
	v_add_nc_u32_e32 v61, v61, v74
	global_store_b16 v61, v60, s[40:41] scale_offset
	s_wait_xcnt 0x0
	s_or_b32 exec_lo, exec_lo, s23
	v_cmp_lt_u32_e64 s22, v75, v139
	s_and_saveexec_b32 s24, s22
	s_cbranch_execz .LBB1759_480
.LBB1759_548:                           ;   in Loop: Header=BB1759_393 Depth=2
	ds_load_u16 v60, v93 offset:5120
	s_wait_dscnt 0x0
	v_cmp_ne_u16_e64 s23, 0x8000, v60
	s_delay_alu instid0(VALU_DEP_1) | instskip(SKIP_1) | instid1(VALU_DEP_2)
	v_cndmask_b32_e64 v61, 0x7fff, v60, s23
	v_cmp_gt_i16_e64 s23, 0, v60
	v_and_b32_e32 v61, 0xffff, v61
	s_delay_alu instid0(VALU_DEP_2) | instskip(NEXT) | instid1(VALU_DEP_1)
	v_cndmask_b32_e64 v140, 0x7fff, 0, s23
	v_dual_lshrrev_b32 v61, s48, v61 :: v_dual_bitop2_b32 v60, v140, v60 bitop3:0x14
	s_delay_alu instid0(VALU_DEP_1) | instskip(NEXT) | instid1(VALU_DEP_1)
	v_and_b32_e32 v61, s52, v61
	v_lshlrev_b32_e32 v61, 2, v61
	ds_load_b32 v61, v61
	s_wait_dscnt 0x0
	v_add_nc_u32_e32 v61, v61, v75
	global_store_b16 v61, v60, s[40:41] scale_offset
	s_wait_xcnt 0x0
	s_or_b32 exec_lo, exec_lo, s24
	v_cmp_lt_u32_e64 s23, v76, v139
	s_and_saveexec_b32 s25, s23
	s_cbranch_execz .LBB1759_481
.LBB1759_549:                           ;   in Loop: Header=BB1759_393 Depth=2
	ds_load_u16 v60, v93 offset:5632
	s_wait_dscnt 0x0
	v_cmp_ne_u16_e64 s24, 0x8000, v60
	s_delay_alu instid0(VALU_DEP_1) | instskip(SKIP_1) | instid1(VALU_DEP_2)
	v_cndmask_b32_e64 v61, 0x7fff, v60, s24
	v_cmp_gt_i16_e64 s24, 0, v60
	v_and_b32_e32 v61, 0xffff, v61
	s_delay_alu instid0(VALU_DEP_2) | instskip(NEXT) | instid1(VALU_DEP_1)
	v_cndmask_b32_e64 v140, 0x7fff, 0, s24
	v_dual_lshrrev_b32 v61, s48, v61 :: v_dual_bitop2_b32 v60, v140, v60 bitop3:0x14
	s_delay_alu instid0(VALU_DEP_1) | instskip(NEXT) | instid1(VALU_DEP_1)
	v_and_b32_e32 v61, s52, v61
	v_lshlrev_b32_e32 v61, 2, v61
	ds_load_b32 v61, v61
	s_wait_dscnt 0x0
	v_add_nc_u32_e32 v61, v61, v76
	global_store_b16 v61, v60, s[40:41] scale_offset
	s_wait_xcnt 0x0
	s_or_b32 exec_lo, exec_lo, s25
	v_cmp_lt_u32_e64 s24, v77, v139
	s_and_saveexec_b32 s26, s24
	s_cbranch_execz .LBB1759_482
.LBB1759_550:                           ;   in Loop: Header=BB1759_393 Depth=2
	ds_load_u16 v60, v93 offset:6144
	s_wait_dscnt 0x0
	v_cmp_ne_u16_e64 s25, 0x8000, v60
	s_delay_alu instid0(VALU_DEP_1) | instskip(SKIP_1) | instid1(VALU_DEP_2)
	v_cndmask_b32_e64 v61, 0x7fff, v60, s25
	v_cmp_gt_i16_e64 s25, 0, v60
	v_and_b32_e32 v61, 0xffff, v61
	s_delay_alu instid0(VALU_DEP_2) | instskip(NEXT) | instid1(VALU_DEP_1)
	v_cndmask_b32_e64 v140, 0x7fff, 0, s25
	v_dual_lshrrev_b32 v61, s48, v61 :: v_dual_bitop2_b32 v60, v140, v60 bitop3:0x14
	s_delay_alu instid0(VALU_DEP_1) | instskip(NEXT) | instid1(VALU_DEP_1)
	v_and_b32_e32 v61, s52, v61
	v_lshlrev_b32_e32 v61, 2, v61
	ds_load_b32 v61, v61
	s_wait_dscnt 0x0
	v_add_nc_u32_e32 v61, v61, v77
	global_store_b16 v61, v60, s[40:41] scale_offset
	s_wait_xcnt 0x0
	s_or_b32 exec_lo, exec_lo, s26
	v_cmp_lt_u32_e64 s25, v78, v139
	s_and_saveexec_b32 s27, s25
	s_cbranch_execz .LBB1759_483
.LBB1759_551:                           ;   in Loop: Header=BB1759_393 Depth=2
	ds_load_u16 v60, v93 offset:6656
	s_wait_dscnt 0x0
	v_cmp_ne_u16_e64 s26, 0x8000, v60
	s_delay_alu instid0(VALU_DEP_1) | instskip(SKIP_1) | instid1(VALU_DEP_2)
	v_cndmask_b32_e64 v61, 0x7fff, v60, s26
	v_cmp_gt_i16_e64 s26, 0, v60
	v_and_b32_e32 v61, 0xffff, v61
	s_delay_alu instid0(VALU_DEP_2) | instskip(NEXT) | instid1(VALU_DEP_1)
	v_cndmask_b32_e64 v140, 0x7fff, 0, s26
	v_dual_lshrrev_b32 v61, s48, v61 :: v_dual_bitop2_b32 v60, v140, v60 bitop3:0x14
	s_delay_alu instid0(VALU_DEP_1) | instskip(NEXT) | instid1(VALU_DEP_1)
	v_and_b32_e32 v61, s52, v61
	v_lshlrev_b32_e32 v61, 2, v61
	ds_load_b32 v61, v61
	s_wait_dscnt 0x0
	v_add_nc_u32_e32 v61, v61, v78
	global_store_b16 v61, v60, s[40:41] scale_offset
	s_wait_xcnt 0x0
	s_or_b32 exec_lo, exec_lo, s27
	v_cmp_lt_u32_e64 s26, v79, v139
	s_and_saveexec_b32 s28, s26
	s_cbranch_execz .LBB1759_484
.LBB1759_552:                           ;   in Loop: Header=BB1759_393 Depth=2
	ds_load_u16 v60, v93 offset:7168
	s_wait_dscnt 0x0
	v_cmp_ne_u16_e64 s27, 0x8000, v60
	s_delay_alu instid0(VALU_DEP_1) | instskip(SKIP_1) | instid1(VALU_DEP_2)
	v_cndmask_b32_e64 v61, 0x7fff, v60, s27
	v_cmp_gt_i16_e64 s27, 0, v60
	v_and_b32_e32 v61, 0xffff, v61
	s_delay_alu instid0(VALU_DEP_2) | instskip(NEXT) | instid1(VALU_DEP_1)
	v_cndmask_b32_e64 v140, 0x7fff, 0, s27
	v_dual_lshrrev_b32 v61, s48, v61 :: v_dual_bitop2_b32 v60, v140, v60 bitop3:0x14
	s_delay_alu instid0(VALU_DEP_1) | instskip(NEXT) | instid1(VALU_DEP_1)
	v_and_b32_e32 v61, s52, v61
	v_lshlrev_b32_e32 v61, 2, v61
	ds_load_b32 v61, v61
	s_wait_dscnt 0x0
	v_add_nc_u32_e32 v61, v61, v79
	global_store_b16 v61, v60, s[40:41] scale_offset
	s_wait_xcnt 0x0
	s_or_b32 exec_lo, exec_lo, s28
	v_cmp_lt_u32_e64 s27, v80, v139
	s_and_saveexec_b32 s29, s27
	s_cbranch_execz .LBB1759_485
.LBB1759_553:                           ;   in Loop: Header=BB1759_393 Depth=2
	ds_load_u16 v60, v93 offset:7680
	s_wait_dscnt 0x0
	v_cmp_ne_u16_e64 s28, 0x8000, v60
	s_delay_alu instid0(VALU_DEP_1) | instskip(SKIP_1) | instid1(VALU_DEP_2)
	v_cndmask_b32_e64 v61, 0x7fff, v60, s28
	v_cmp_gt_i16_e64 s28, 0, v60
	v_and_b32_e32 v61, 0xffff, v61
	s_delay_alu instid0(VALU_DEP_2) | instskip(NEXT) | instid1(VALU_DEP_1)
	v_cndmask_b32_e64 v140, 0x7fff, 0, s28
	v_dual_lshrrev_b32 v61, s48, v61 :: v_dual_bitop2_b32 v60, v140, v60 bitop3:0x14
	s_delay_alu instid0(VALU_DEP_1) | instskip(NEXT) | instid1(VALU_DEP_1)
	v_and_b32_e32 v61, s52, v61
	v_lshlrev_b32_e32 v61, 2, v61
	ds_load_b32 v61, v61
	s_wait_dscnt 0x0
	v_add_nc_u32_e32 v61, v61, v80
	global_store_b16 v61, v60, s[40:41] scale_offset
	s_wait_xcnt 0x0
	s_or_b32 exec_lo, exec_lo, s29
	v_cmp_lt_u32_e64 s28, v81, v139
	s_and_saveexec_b32 s30, s28
	s_cbranch_execz .LBB1759_486
.LBB1759_554:                           ;   in Loop: Header=BB1759_393 Depth=2
	ds_load_u16 v60, v93 offset:8192
	s_wait_dscnt 0x0
	v_cmp_ne_u16_e64 s29, 0x8000, v60
	s_delay_alu instid0(VALU_DEP_1) | instskip(SKIP_1) | instid1(VALU_DEP_2)
	v_cndmask_b32_e64 v61, 0x7fff, v60, s29
	v_cmp_gt_i16_e64 s29, 0, v60
	v_and_b32_e32 v61, 0xffff, v61
	s_delay_alu instid0(VALU_DEP_2) | instskip(NEXT) | instid1(VALU_DEP_1)
	v_cndmask_b32_e64 v140, 0x7fff, 0, s29
	v_dual_lshrrev_b32 v61, s48, v61 :: v_dual_bitop2_b32 v60, v140, v60 bitop3:0x14
	s_delay_alu instid0(VALU_DEP_1) | instskip(NEXT) | instid1(VALU_DEP_1)
	v_and_b32_e32 v61, s52, v61
	v_lshlrev_b32_e32 v61, 2, v61
	ds_load_b32 v61, v61
	s_wait_dscnt 0x0
	v_add_nc_u32_e32 v61, v61, v81
	global_store_b16 v61, v60, s[40:41] scale_offset
	s_wait_xcnt 0x0
	s_or_b32 exec_lo, exec_lo, s30
	v_cmp_lt_u32_e64 s29, v82, v139
	s_and_saveexec_b32 s58, s29
	s_cbranch_execnz .LBB1759_487
	s_branch .LBB1759_488
.LBB1759_555:                           ;   in Loop: Header=BB1759_393 Depth=2
	global_load_b64 v[58:59], v[60:61], off
	s_wait_xcnt 0x0
	s_or_b32 exec_lo, exec_lo, s30
	s_delay_alu instid0(SALU_CYCLE_1)
	s_mov_b32 s42, exec_lo
	v_cmpx_lt_u32_e64 v103, v139
	s_cbranch_execz .LBB1759_490
.LBB1759_556:                           ;   in Loop: Header=BB1759_393 Depth=2
	global_load_b64 v[56:57], v[60:61], off offset:256
	s_wait_xcnt 0x0
	s_or_b32 exec_lo, exec_lo, s42
	s_delay_alu instid0(SALU_CYCLE_1)
	s_mov_b32 s42, exec_lo
	v_cmpx_lt_u32_e64 v104, v139
	s_cbranch_execz .LBB1759_491
.LBB1759_557:                           ;   in Loop: Header=BB1759_393 Depth=2
	global_load_b64 v[54:55], v[60:61], off offset:512
	s_wait_xcnt 0x0
	s_or_b32 exec_lo, exec_lo, s42
	s_delay_alu instid0(SALU_CYCLE_1)
	s_mov_b32 s42, exec_lo
	v_cmpx_lt_u32_e64 v105, v139
	s_cbranch_execz .LBB1759_492
.LBB1759_558:                           ;   in Loop: Header=BB1759_393 Depth=2
	global_load_b64 v[52:53], v[60:61], off offset:768
	s_wait_xcnt 0x0
	s_or_b32 exec_lo, exec_lo, s42
	s_delay_alu instid0(SALU_CYCLE_1)
	s_mov_b32 s42, exec_lo
	v_cmpx_lt_u32_e64 v106, v139
	s_cbranch_execz .LBB1759_493
.LBB1759_559:                           ;   in Loop: Header=BB1759_393 Depth=2
	global_load_b64 v[50:51], v[60:61], off offset:1024
	s_wait_xcnt 0x0
	s_or_b32 exec_lo, exec_lo, s42
	s_delay_alu instid0(SALU_CYCLE_1)
	s_mov_b32 s42, exec_lo
	v_cmpx_lt_u32_e64 v107, v139
	s_cbranch_execz .LBB1759_494
.LBB1759_560:                           ;   in Loop: Header=BB1759_393 Depth=2
	global_load_b64 v[48:49], v[60:61], off offset:1280
	s_wait_xcnt 0x0
	s_or_b32 exec_lo, exec_lo, s42
	s_delay_alu instid0(SALU_CYCLE_1)
	s_mov_b32 s42, exec_lo
	v_cmpx_lt_u32_e64 v108, v139
	s_cbranch_execz .LBB1759_495
.LBB1759_561:                           ;   in Loop: Header=BB1759_393 Depth=2
	global_load_b64 v[46:47], v[60:61], off offset:1536
	s_wait_xcnt 0x0
	s_or_b32 exec_lo, exec_lo, s42
	s_delay_alu instid0(SALU_CYCLE_1)
	s_mov_b32 s42, exec_lo
	v_cmpx_lt_u32_e64 v109, v139
	s_cbranch_execz .LBB1759_496
.LBB1759_562:                           ;   in Loop: Header=BB1759_393 Depth=2
	global_load_b64 v[44:45], v[60:61], off offset:1792
	s_wait_xcnt 0x0
	s_or_b32 exec_lo, exec_lo, s42
	s_delay_alu instid0(SALU_CYCLE_1)
	s_mov_b32 s42, exec_lo
	v_cmpx_lt_u32_e64 v110, v139
	s_cbranch_execz .LBB1759_497
.LBB1759_563:                           ;   in Loop: Header=BB1759_393 Depth=2
	global_load_b64 v[42:43], v[60:61], off offset:2048
	s_wait_xcnt 0x0
	s_or_b32 exec_lo, exec_lo, s42
	s_delay_alu instid0(SALU_CYCLE_1)
	s_mov_b32 s42, exec_lo
	v_cmpx_lt_u32_e64 v111, v139
	s_cbranch_execz .LBB1759_498
.LBB1759_564:                           ;   in Loop: Header=BB1759_393 Depth=2
	global_load_b64 v[40:41], v[60:61], off offset:2304
	s_wait_xcnt 0x0
	s_or_b32 exec_lo, exec_lo, s42
	s_delay_alu instid0(SALU_CYCLE_1)
	s_mov_b32 s42, exec_lo
	v_cmpx_lt_u32_e64 v112, v139
	s_cbranch_execz .LBB1759_499
.LBB1759_565:                           ;   in Loop: Header=BB1759_393 Depth=2
	global_load_b64 v[38:39], v[60:61], off offset:2560
	s_wait_xcnt 0x0
	s_or_b32 exec_lo, exec_lo, s42
	s_delay_alu instid0(SALU_CYCLE_1)
	s_mov_b32 s42, exec_lo
	v_cmpx_lt_u32_e64 v113, v139
	s_cbranch_execz .LBB1759_500
.LBB1759_566:                           ;   in Loop: Header=BB1759_393 Depth=2
	global_load_b64 v[36:37], v[60:61], off offset:2816
	s_wait_xcnt 0x0
	s_or_b32 exec_lo, exec_lo, s42
	s_delay_alu instid0(SALU_CYCLE_1)
	s_mov_b32 s42, exec_lo
	v_cmpx_lt_u32_e64 v114, v139
	s_cbranch_execz .LBB1759_501
.LBB1759_567:                           ;   in Loop: Header=BB1759_393 Depth=2
	global_load_b64 v[34:35], v[60:61], off offset:3072
	s_wait_xcnt 0x0
	s_or_b32 exec_lo, exec_lo, s42
	s_delay_alu instid0(SALU_CYCLE_1)
	s_mov_b32 s42, exec_lo
	v_cmpx_lt_u32_e64 v115, v139
	s_cbranch_execz .LBB1759_502
.LBB1759_568:                           ;   in Loop: Header=BB1759_393 Depth=2
	global_load_b64 v[32:33], v[60:61], off offset:3328
	s_wait_xcnt 0x0
	s_or_b32 exec_lo, exec_lo, s42
	s_delay_alu instid0(SALU_CYCLE_1)
	s_mov_b32 s42, exec_lo
	v_cmpx_lt_u32_e64 v116, v139
	s_cbranch_execz .LBB1759_503
.LBB1759_569:                           ;   in Loop: Header=BB1759_393 Depth=2
	global_load_b64 v[30:31], v[60:61], off offset:3584
	s_wait_xcnt 0x0
	s_or_b32 exec_lo, exec_lo, s42
	s_delay_alu instid0(SALU_CYCLE_1)
	s_mov_b32 s42, exec_lo
	v_cmpx_lt_u32_e64 v117, v139
	s_cbranch_execz .LBB1759_504
.LBB1759_570:                           ;   in Loop: Header=BB1759_393 Depth=2
	global_load_b64 v[28:29], v[60:61], off offset:3840
	s_wait_xcnt 0x0
	s_or_b32 exec_lo, exec_lo, s42
	s_and_saveexec_b32 s42, vcc_lo
	s_cbranch_execz .LBB1759_505
.LBB1759_571:                           ;   in Loop: Header=BB1759_393 Depth=2
	ds_load_u16 v60, v93 offset:1024
	s_wait_dscnt 0x0
	v_cmp_ne_u16_e64 s30, 0x8000, v60
	s_delay_alu instid0(VALU_DEP_1) | instskip(NEXT) | instid1(VALU_DEP_1)
	v_cndmask_b32_e64 v60, 0x7fff, v60, s30
	v_and_b32_e32 v60, 0xffff, v60
	s_delay_alu instid0(VALU_DEP_1) | instskip(NEXT) | instid1(VALU_DEP_1)
	v_lshrrev_b32_e32 v60, s48, v60
	v_and_b32_e32 v138, s52, v60
	s_or_b32 exec_lo, exec_lo, s42
	s_and_saveexec_b32 s42, s15
	s_cbranch_execz .LBB1759_506
.LBB1759_572:                           ;   in Loop: Header=BB1759_393 Depth=2
	ds_load_u16 v60, v93 offset:1536
	s_wait_dscnt 0x0
	v_cmp_ne_u16_e64 s30, 0x8000, v60
	s_delay_alu instid0(VALU_DEP_1) | instskip(NEXT) | instid1(VALU_DEP_1)
	v_cndmask_b32_e64 v60, 0x7fff, v60, s30
	v_and_b32_e32 v60, 0xffff, v60
	s_delay_alu instid0(VALU_DEP_1) | instskip(NEXT) | instid1(VALU_DEP_1)
	v_lshrrev_b32_e32 v60, s48, v60
	v_and_b32_e32 v137, s52, v60
	s_or_b32 exec_lo, exec_lo, s42
	s_and_saveexec_b32 s42, s16
	s_cbranch_execz .LBB1759_507
.LBB1759_573:                           ;   in Loop: Header=BB1759_393 Depth=2
	ds_load_u16 v60, v93 offset:2048
	s_wait_dscnt 0x0
	v_cmp_ne_u16_e64 s30, 0x8000, v60
	s_delay_alu instid0(VALU_DEP_1) | instskip(NEXT) | instid1(VALU_DEP_1)
	v_cndmask_b32_e64 v60, 0x7fff, v60, s30
	v_and_b32_e32 v60, 0xffff, v60
	s_delay_alu instid0(VALU_DEP_1) | instskip(NEXT) | instid1(VALU_DEP_1)
	v_lshrrev_b32_e32 v60, s48, v60
	v_and_b32_e32 v136, s52, v60
	s_or_b32 exec_lo, exec_lo, s42
	s_and_saveexec_b32 s42, s17
	s_cbranch_execz .LBB1759_508
.LBB1759_574:                           ;   in Loop: Header=BB1759_393 Depth=2
	ds_load_u16 v60, v93 offset:2560
	s_wait_dscnt 0x0
	v_cmp_ne_u16_e64 s30, 0x8000, v60
	s_delay_alu instid0(VALU_DEP_1) | instskip(NEXT) | instid1(VALU_DEP_1)
	v_cndmask_b32_e64 v60, 0x7fff, v60, s30
	v_and_b32_e32 v60, 0xffff, v60
	s_delay_alu instid0(VALU_DEP_1) | instskip(NEXT) | instid1(VALU_DEP_1)
	v_lshrrev_b32_e32 v60, s48, v60
	v_and_b32_e32 v135, s52, v60
	s_or_b32 exec_lo, exec_lo, s42
	s_and_saveexec_b32 s42, s18
	s_cbranch_execz .LBB1759_509
.LBB1759_575:                           ;   in Loop: Header=BB1759_393 Depth=2
	ds_load_u16 v60, v93 offset:3072
	s_wait_dscnt 0x0
	v_cmp_ne_u16_e64 s30, 0x8000, v60
	s_delay_alu instid0(VALU_DEP_1) | instskip(NEXT) | instid1(VALU_DEP_1)
	v_cndmask_b32_e64 v60, 0x7fff, v60, s30
	v_and_b32_e32 v60, 0xffff, v60
	s_delay_alu instid0(VALU_DEP_1) | instskip(NEXT) | instid1(VALU_DEP_1)
	v_lshrrev_b32_e32 v60, s48, v60
	v_and_b32_e32 v134, s52, v60
	s_or_b32 exec_lo, exec_lo, s42
	s_and_saveexec_b32 s42, s19
	s_cbranch_execz .LBB1759_510
.LBB1759_576:                           ;   in Loop: Header=BB1759_393 Depth=2
	ds_load_u16 v60, v93 offset:3584
	s_wait_dscnt 0x0
	v_cmp_ne_u16_e64 s30, 0x8000, v60
	s_delay_alu instid0(VALU_DEP_1) | instskip(NEXT) | instid1(VALU_DEP_1)
	v_cndmask_b32_e64 v60, 0x7fff, v60, s30
	v_and_b32_e32 v60, 0xffff, v60
	s_delay_alu instid0(VALU_DEP_1) | instskip(NEXT) | instid1(VALU_DEP_1)
	v_lshrrev_b32_e32 v60, s48, v60
	v_and_b32_e32 v133, s52, v60
	s_or_b32 exec_lo, exec_lo, s42
	s_and_saveexec_b32 s42, s20
	s_cbranch_execz .LBB1759_511
.LBB1759_577:                           ;   in Loop: Header=BB1759_393 Depth=2
	ds_load_u16 v60, v93 offset:4096
	s_wait_dscnt 0x0
	v_cmp_ne_u16_e64 s30, 0x8000, v60
	s_delay_alu instid0(VALU_DEP_1) | instskip(NEXT) | instid1(VALU_DEP_1)
	v_cndmask_b32_e64 v60, 0x7fff, v60, s30
	v_and_b32_e32 v60, 0xffff, v60
	s_delay_alu instid0(VALU_DEP_1) | instskip(NEXT) | instid1(VALU_DEP_1)
	v_lshrrev_b32_e32 v60, s48, v60
	v_and_b32_e32 v132, s52, v60
	s_or_b32 exec_lo, exec_lo, s42
	s_and_saveexec_b32 s42, s21
	s_cbranch_execz .LBB1759_512
.LBB1759_578:                           ;   in Loop: Header=BB1759_393 Depth=2
	ds_load_u16 v60, v93 offset:4608
	s_wait_dscnt 0x0
	v_cmp_ne_u16_e64 s30, 0x8000, v60
	s_delay_alu instid0(VALU_DEP_1) | instskip(NEXT) | instid1(VALU_DEP_1)
	v_cndmask_b32_e64 v60, 0x7fff, v60, s30
	v_and_b32_e32 v60, 0xffff, v60
	s_delay_alu instid0(VALU_DEP_1) | instskip(NEXT) | instid1(VALU_DEP_1)
	v_lshrrev_b32_e32 v60, s48, v60
	v_and_b32_e32 v131, s52, v60
	s_or_b32 exec_lo, exec_lo, s42
	s_and_saveexec_b32 s42, s22
	s_cbranch_execz .LBB1759_513
.LBB1759_579:                           ;   in Loop: Header=BB1759_393 Depth=2
	ds_load_u16 v60, v93 offset:5120
	s_wait_dscnt 0x0
	v_cmp_ne_u16_e64 s30, 0x8000, v60
	s_delay_alu instid0(VALU_DEP_1) | instskip(NEXT) | instid1(VALU_DEP_1)
	v_cndmask_b32_e64 v60, 0x7fff, v60, s30
	v_and_b32_e32 v60, 0xffff, v60
	s_delay_alu instid0(VALU_DEP_1) | instskip(NEXT) | instid1(VALU_DEP_1)
	v_lshrrev_b32_e32 v60, s48, v60
	v_and_b32_e32 v130, s52, v60
	s_or_b32 exec_lo, exec_lo, s42
	s_and_saveexec_b32 s42, s23
	s_cbranch_execz .LBB1759_514
.LBB1759_580:                           ;   in Loop: Header=BB1759_393 Depth=2
	ds_load_u16 v60, v93 offset:5632
	s_wait_dscnt 0x0
	v_cmp_ne_u16_e64 s30, 0x8000, v60
	s_delay_alu instid0(VALU_DEP_1) | instskip(NEXT) | instid1(VALU_DEP_1)
	v_cndmask_b32_e64 v60, 0x7fff, v60, s30
	v_and_b32_e32 v60, 0xffff, v60
	s_delay_alu instid0(VALU_DEP_1) | instskip(NEXT) | instid1(VALU_DEP_1)
	v_lshrrev_b32_e32 v60, s48, v60
	v_and_b32_e32 v129, s52, v60
	s_or_b32 exec_lo, exec_lo, s42
	s_and_saveexec_b32 s42, s24
	s_cbranch_execz .LBB1759_515
.LBB1759_581:                           ;   in Loop: Header=BB1759_393 Depth=2
	ds_load_u16 v60, v93 offset:6144
	s_wait_dscnt 0x0
	v_cmp_ne_u16_e64 s30, 0x8000, v60
	s_delay_alu instid0(VALU_DEP_1) | instskip(NEXT) | instid1(VALU_DEP_1)
	v_cndmask_b32_e64 v60, 0x7fff, v60, s30
	v_and_b32_e32 v60, 0xffff, v60
	s_delay_alu instid0(VALU_DEP_1) | instskip(NEXT) | instid1(VALU_DEP_1)
	v_lshrrev_b32_e32 v60, s48, v60
	v_and_b32_e32 v128, s52, v60
	s_or_b32 exec_lo, exec_lo, s42
	s_and_saveexec_b32 s42, s25
	s_cbranch_execz .LBB1759_516
.LBB1759_582:                           ;   in Loop: Header=BB1759_393 Depth=2
	ds_load_u16 v60, v93 offset:6656
	s_wait_dscnt 0x0
	v_cmp_ne_u16_e64 s30, 0x8000, v60
	s_delay_alu instid0(VALU_DEP_1) | instskip(NEXT) | instid1(VALU_DEP_1)
	v_cndmask_b32_e64 v60, 0x7fff, v60, s30
	v_and_b32_e32 v60, 0xffff, v60
	s_delay_alu instid0(VALU_DEP_1) | instskip(NEXT) | instid1(VALU_DEP_1)
	v_lshrrev_b32_e32 v60, s48, v60
	v_and_b32_e32 v127, s52, v60
	s_or_b32 exec_lo, exec_lo, s42
	s_and_saveexec_b32 s42, s26
	s_cbranch_execz .LBB1759_517
.LBB1759_583:                           ;   in Loop: Header=BB1759_393 Depth=2
	ds_load_u16 v60, v93 offset:7168
	s_wait_dscnt 0x0
	v_cmp_ne_u16_e64 s30, 0x8000, v60
	s_delay_alu instid0(VALU_DEP_1) | instskip(NEXT) | instid1(VALU_DEP_1)
	v_cndmask_b32_e64 v60, 0x7fff, v60, s30
	v_and_b32_e32 v60, 0xffff, v60
	s_delay_alu instid0(VALU_DEP_1) | instskip(NEXT) | instid1(VALU_DEP_1)
	v_lshrrev_b32_e32 v60, s48, v60
	v_and_b32_e32 v126, s52, v60
	s_or_b32 exec_lo, exec_lo, s42
	s_and_saveexec_b32 s42, s27
	s_cbranch_execz .LBB1759_518
.LBB1759_584:                           ;   in Loop: Header=BB1759_393 Depth=2
	ds_load_u16 v60, v93 offset:7680
	s_wait_dscnt 0x0
	v_cmp_ne_u16_e64 s30, 0x8000, v60
	s_delay_alu instid0(VALU_DEP_1) | instskip(NEXT) | instid1(VALU_DEP_1)
	v_cndmask_b32_e64 v60, 0x7fff, v60, s30
	v_and_b32_e32 v60, 0xffff, v60
	s_delay_alu instid0(VALU_DEP_1) | instskip(NEXT) | instid1(VALU_DEP_1)
	v_lshrrev_b32_e32 v60, s48, v60
	v_and_b32_e32 v125, s52, v60
	s_or_b32 exec_lo, exec_lo, s42
	s_and_saveexec_b32 s42, s28
	s_cbranch_execz .LBB1759_519
.LBB1759_585:                           ;   in Loop: Header=BB1759_393 Depth=2
	ds_load_u16 v60, v93 offset:8192
	s_wait_dscnt 0x0
	v_cmp_ne_u16_e64 s30, 0x8000, v60
	s_delay_alu instid0(VALU_DEP_1) | instskip(NEXT) | instid1(VALU_DEP_1)
	v_cndmask_b32_e64 v60, 0x7fff, v60, s30
	v_and_b32_e32 v60, 0xffff, v60
	s_delay_alu instid0(VALU_DEP_1) | instskip(NEXT) | instid1(VALU_DEP_1)
	v_lshrrev_b32_e32 v60, s48, v60
	v_and_b32_e32 v124, s52, v60
	s_or_b32 exec_lo, exec_lo, s42
	s_and_saveexec_b32 s42, s29
	s_cbranch_execnz .LBB1759_520
	s_branch .LBB1759_521
.LBB1759_586:                           ;   in Loop: Header=BB1759_393 Depth=2
	v_lshlrev_b32_e32 v60, 2, v138
	v_add_nc_u32_e32 v61, v93, v94
	ds_load_b32 v63, v60
	ds_load_b64 v[60:61], v61 offset:1024
	s_wait_dscnt 0x1
	v_add_nc_u32_e32 v63, v63, v2
	s_wait_dscnt 0x0
	global_store_b64 v63, v[60:61], s[46:47] scale_offset
	s_wait_xcnt 0x0
	s_or_b32 exec_lo, exec_lo, s30
	s_and_saveexec_b32 s30, s15
	s_cbranch_execz .LBB1759_523
.LBB1759_587:                           ;   in Loop: Header=BB1759_393 Depth=2
	v_dual_lshlrev_b32 v60, 2, v137 :: v_dual_add_nc_u32 v61, v93, v94
	ds_load_b32 v63, v60
	ds_load_b64 v[60:61], v61 offset:3072
	s_wait_dscnt 0x1
	v_add_nc_u32_e32 v63, v63, v68
	s_wait_dscnt 0x0
	global_store_b64 v63, v[60:61], s[46:47] scale_offset
	s_wait_xcnt 0x0
	s_or_b32 exec_lo, exec_lo, s30
	s_and_saveexec_b32 s15, s16
	s_cbranch_execz .LBB1759_524
.LBB1759_588:                           ;   in Loop: Header=BB1759_393 Depth=2
	v_dual_lshlrev_b32 v60, 2, v136 :: v_dual_add_nc_u32 v61, v93, v94
	ds_load_b32 v63, v60
	ds_load_b64 v[60:61], v61 offset:5120
	s_wait_dscnt 0x1
	v_add_nc_u32_e32 v63, v63, v69
	s_wait_dscnt 0x0
	global_store_b64 v63, v[60:61], s[46:47] scale_offset
	s_wait_xcnt 0x0
	s_or_b32 exec_lo, exec_lo, s15
	s_and_saveexec_b32 s15, s17
	s_cbranch_execz .LBB1759_525
.LBB1759_589:                           ;   in Loop: Header=BB1759_393 Depth=2
	v_dual_lshlrev_b32 v60, 2, v135 :: v_dual_add_nc_u32 v61, v93, v94
	ds_load_b32 v63, v60
	ds_load_b64 v[60:61], v61 offset:7168
	s_wait_dscnt 0x1
	v_add_nc_u32_e32 v63, v63, v70
	s_wait_dscnt 0x0
	global_store_b64 v63, v[60:61], s[46:47] scale_offset
	s_wait_xcnt 0x0
	s_or_b32 exec_lo, exec_lo, s15
	s_and_saveexec_b32 s15, s18
	s_cbranch_execz .LBB1759_526
.LBB1759_590:                           ;   in Loop: Header=BB1759_393 Depth=2
	v_lshlrev_b32_e32 v60, 2, v134
	v_add_nc_u32_e32 v61, v93, v94
	ds_load_b32 v63, v60
	ds_load_b64 v[60:61], v61 offset:9216
	s_wait_dscnt 0x1
	v_add_nc_u32_e32 v63, v63, v71
	s_wait_dscnt 0x0
	global_store_b64 v63, v[60:61], s[46:47] scale_offset
	s_wait_xcnt 0x0
	s_or_b32 exec_lo, exec_lo, s15
	s_and_saveexec_b32 s15, s19
	s_cbranch_execz .LBB1759_527
.LBB1759_591:                           ;   in Loop: Header=BB1759_393 Depth=2
	v_dual_lshlrev_b32 v60, 2, v133 :: v_dual_add_nc_u32 v61, v93, v94
	ds_load_b32 v63, v60
	ds_load_b64 v[60:61], v61 offset:11264
	s_wait_dscnt 0x1
	v_add_nc_u32_e32 v63, v63, v72
	s_wait_dscnt 0x0
	global_store_b64 v63, v[60:61], s[46:47] scale_offset
	s_wait_xcnt 0x0
	s_or_b32 exec_lo, exec_lo, s15
	s_and_saveexec_b32 s15, s20
	s_cbranch_execz .LBB1759_528
.LBB1759_592:                           ;   in Loop: Header=BB1759_393 Depth=2
	v_dual_lshlrev_b32 v60, 2, v132 :: v_dual_add_nc_u32 v61, v93, v94
	ds_load_b32 v63, v60
	ds_load_b64 v[60:61], v61 offset:13312
	s_wait_dscnt 0x1
	v_add_nc_u32_e32 v63, v63, v73
	s_wait_dscnt 0x0
	global_store_b64 v63, v[60:61], s[46:47] scale_offset
	s_wait_xcnt 0x0
	s_or_b32 exec_lo, exec_lo, s15
	s_and_saveexec_b32 s15, s21
	s_cbranch_execz .LBB1759_529
.LBB1759_593:                           ;   in Loop: Header=BB1759_393 Depth=2
	v_dual_lshlrev_b32 v60, 2, v131 :: v_dual_add_nc_u32 v61, v93, v94
	ds_load_b32 v63, v60
	ds_load_b64 v[60:61], v61 offset:15360
	s_wait_dscnt 0x1
	v_add_nc_u32_e32 v63, v63, v74
	s_wait_dscnt 0x0
	global_store_b64 v63, v[60:61], s[46:47] scale_offset
	s_wait_xcnt 0x0
	s_or_b32 exec_lo, exec_lo, s15
	s_and_saveexec_b32 s15, s22
	s_cbranch_execz .LBB1759_530
.LBB1759_594:                           ;   in Loop: Header=BB1759_393 Depth=2
	v_lshlrev_b32_e32 v60, 2, v130
	v_add_nc_u32_e32 v61, v93, v94
	ds_load_b32 v63, v60
	ds_load_b64 v[60:61], v61 offset:17408
	s_wait_dscnt 0x1
	v_add_nc_u32_e32 v63, v63, v75
	s_wait_dscnt 0x0
	global_store_b64 v63, v[60:61], s[46:47] scale_offset
	s_wait_xcnt 0x0
	s_or_b32 exec_lo, exec_lo, s15
	s_and_saveexec_b32 s15, s23
	s_cbranch_execz .LBB1759_531
.LBB1759_595:                           ;   in Loop: Header=BB1759_393 Depth=2
	v_dual_lshlrev_b32 v60, 2, v129 :: v_dual_add_nc_u32 v61, v93, v94
	ds_load_b32 v63, v60
	ds_load_b64 v[60:61], v61 offset:19456
	s_wait_dscnt 0x1
	v_add_nc_u32_e32 v63, v63, v76
	s_wait_dscnt 0x0
	global_store_b64 v63, v[60:61], s[46:47] scale_offset
	s_wait_xcnt 0x0
	s_or_b32 exec_lo, exec_lo, s15
	s_and_saveexec_b32 s15, s24
	s_cbranch_execz .LBB1759_532
.LBB1759_596:                           ;   in Loop: Header=BB1759_393 Depth=2
	v_dual_lshlrev_b32 v60, 2, v128 :: v_dual_add_nc_u32 v61, v93, v94
	ds_load_b32 v63, v60
	ds_load_b64 v[60:61], v61 offset:21504
	s_wait_dscnt 0x1
	v_add_nc_u32_e32 v63, v63, v77
	s_wait_dscnt 0x0
	global_store_b64 v63, v[60:61], s[46:47] scale_offset
	s_wait_xcnt 0x0
	s_or_b32 exec_lo, exec_lo, s15
	s_and_saveexec_b32 s15, s25
	s_cbranch_execz .LBB1759_533
.LBB1759_597:                           ;   in Loop: Header=BB1759_393 Depth=2
	v_dual_lshlrev_b32 v60, 2, v127 :: v_dual_add_nc_u32 v61, v93, v94
	ds_load_b32 v63, v60
	ds_load_b64 v[60:61], v61 offset:23552
	s_wait_dscnt 0x1
	v_add_nc_u32_e32 v63, v63, v78
	s_wait_dscnt 0x0
	global_store_b64 v63, v[60:61], s[46:47] scale_offset
	s_wait_xcnt 0x0
	s_or_b32 exec_lo, exec_lo, s15
	s_and_saveexec_b32 s15, s26
	s_cbranch_execz .LBB1759_534
.LBB1759_598:                           ;   in Loop: Header=BB1759_393 Depth=2
	v_lshlrev_b32_e32 v60, 2, v126
	v_add_nc_u32_e32 v61, v93, v94
	ds_load_b32 v63, v60
	ds_load_b64 v[60:61], v61 offset:25600
	s_wait_dscnt 0x1
	v_add_nc_u32_e32 v63, v63, v79
	s_wait_dscnt 0x0
	global_store_b64 v63, v[60:61], s[46:47] scale_offset
	s_wait_xcnt 0x0
	s_or_b32 exec_lo, exec_lo, s15
	s_and_saveexec_b32 s15, s27
	s_cbranch_execz .LBB1759_535
.LBB1759_599:                           ;   in Loop: Header=BB1759_393 Depth=2
	v_dual_lshlrev_b32 v60, 2, v125 :: v_dual_add_nc_u32 v61, v93, v94
	ds_load_b32 v63, v60
	ds_load_b64 v[60:61], v61 offset:27648
	s_wait_dscnt 0x1
	v_add_nc_u32_e32 v63, v63, v80
	s_wait_dscnt 0x0
	global_store_b64 v63, v[60:61], s[46:47] scale_offset
	s_wait_xcnt 0x0
	s_or_b32 exec_lo, exec_lo, s15
	s_and_saveexec_b32 s15, s28
	s_cbranch_execz .LBB1759_536
.LBB1759_600:                           ;   in Loop: Header=BB1759_393 Depth=2
	v_dual_lshlrev_b32 v60, 2, v124 :: v_dual_add_nc_u32 v61, v93, v94
	ds_load_b32 v63, v60
	ds_load_b64 v[60:61], v61 offset:29696
	s_wait_dscnt 0x1
	v_add_nc_u32_e32 v63, v63, v81
	s_wait_dscnt 0x0
	global_store_b64 v63, v[60:61], s[46:47] scale_offset
	s_wait_xcnt 0x0
	s_or_b32 exec_lo, exec_lo, s15
	s_and_saveexec_b32 s15, s29
	s_cbranch_execnz .LBB1759_537
	s_branch .LBB1759_538
.LBB1759_601:                           ;   in Loop: Header=BB1759_17 Depth=1
	s_wait_dscnt 0x0
	s_barrier_signal -1
	s_barrier_wait -1
.LBB1759_602:                           ;   in Loop: Header=BB1759_17 Depth=1
	s_mov_b32 s7, 0
.LBB1759_603:                           ;   in Loop: Header=BB1759_17 Depth=1
	s_delay_alu instid0(SALU_CYCLE_1)
	s_and_not1_b32 vcc_lo, exec_lo, s7
	s_cbranch_vccnz .LBB1759_16
; %bb.604:                              ;   in Loop: Header=BB1759_17 Depth=1
	s_and_b32 vcc_lo, exec_lo, s55
	s_mov_b32 s7, -1
	s_cbranch_vccz .LBB1759_896
; %bb.605:                              ;   in Loop: Header=BB1759_17 Depth=1
	s_mov_b32 s7, s56
	s_mov_b32 s42, s54
	s_barrier_signal -1
	s_barrier_wait -1
                                        ; implicit-def: $vgpr23
                                        ; implicit-def: $vgpr24
                                        ; implicit-def: $vgpr25
                                        ; implicit-def: $vgpr26
                                        ; implicit-def: $vgpr27
                                        ; implicit-def: $vgpr28
                                        ; implicit-def: $vgpr29
                                        ; implicit-def: $vgpr30
                                        ; implicit-def: $vgpr31
                                        ; implicit-def: $vgpr32
                                        ; implicit-def: $vgpr33
                                        ; implicit-def: $vgpr34
                                        ; implicit-def: $vgpr35
                                        ; implicit-def: $vgpr36
                                        ; implicit-def: $vgpr37
                                        ; implicit-def: $vgpr38
	s_branch .LBB1759_607
.LBB1759_606:                           ;   in Loop: Header=BB1759_607 Depth=2
	s_or_b32 exec_lo, exec_lo, s8
	s_addk_co_i32 s7, 0xf000
	s_cmp_ge_u32 s10, s51
	s_mov_b32 s42, s10
	s_cbranch_scc1 .LBB1759_675
.LBB1759_607:                           ;   Parent Loop BB1759_17 Depth=1
                                        ; =>  This Inner Loop Header: Depth=2
	s_add_co_i32 s10, s42, 0x1000
	s_mov_b32 s8, -1
	s_cmp_gt_u32 s10, s51
                                        ; implicit-def: $vgpr39
                                        ; implicit-def: $vgpr40
                                        ; implicit-def: $vgpr41
                                        ; implicit-def: $vgpr42
                                        ; implicit-def: $vgpr43
                                        ; implicit-def: $vgpr44
                                        ; implicit-def: $vgpr45
                                        ; implicit-def: $vgpr46
                                        ; implicit-def: $vgpr47
                                        ; implicit-def: $vgpr48
                                        ; implicit-def: $vgpr49
                                        ; implicit-def: $vgpr50
                                        ; implicit-def: $vgpr51
                                        ; implicit-def: $vgpr52
                                        ; implicit-def: $vgpr53
                                        ; implicit-def: $vgpr54
	s_cbranch_scc1 .LBB1759_609
; %bb.608:                              ;   in Loop: Header=BB1759_607 Depth=2
	v_lshl_add_u64 v[54:55], s[42:43], 1, v[16:17]
	s_mov_b32 s8, 0
	s_clause 0xf
	global_load_u16 v39, v[54:55], off
	global_load_u16 v40, v[54:55], off offset:512
	global_load_u16 v41, v[54:55], off offset:1024
	;; [unrolled: 1-line block ×15, first 2 shown]
.LBB1759_609:                           ;   in Loop: Header=BB1759_607 Depth=2
	s_and_not1_b32 vcc_lo, exec_lo, s8
	s_movk_i32 s8, 0x1000
	s_cbranch_vccnz .LBB1759_628
; %bb.610:                              ;   in Loop: Header=BB1759_607 Depth=2
	s_lshl_b64 s[8:9], s[42:43], 1
	s_mov_b32 s11, exec_lo
	s_add_nc_u64 s[8:9], s[36:37], s[8:9]
	s_wait_xcnt 0x0
	v_cmpx_gt_u32_e64 s7, v2
	s_cbranch_execnz .LBB1759_660
; %bb.611:                              ;   in Loop: Header=BB1759_607 Depth=2
	s_or_b32 exec_lo, exec_lo, s11
	s_delay_alu instid0(SALU_CYCLE_1)
	s_mov_b32 s11, exec_lo
	v_cmpx_gt_u32_e64 s7, v68
	s_cbranch_execnz .LBB1759_661
.LBB1759_612:                           ;   in Loop: Header=BB1759_607 Depth=2
	s_or_b32 exec_lo, exec_lo, s11
	s_delay_alu instid0(SALU_CYCLE_1)
	s_mov_b32 s11, exec_lo
	v_cmpx_gt_u32_e64 s7, v69
	s_cbranch_execnz .LBB1759_662
.LBB1759_613:                           ;   in Loop: Header=BB1759_607 Depth=2
	s_or_b32 exec_lo, exec_lo, s11
	s_delay_alu instid0(SALU_CYCLE_1)
	s_mov_b32 s11, exec_lo
	v_cmpx_gt_u32_e64 s7, v70
	s_cbranch_execnz .LBB1759_663
.LBB1759_614:                           ;   in Loop: Header=BB1759_607 Depth=2
	s_or_b32 exec_lo, exec_lo, s11
	s_delay_alu instid0(SALU_CYCLE_1)
	s_mov_b32 s11, exec_lo
	v_cmpx_gt_u32_e64 s7, v71
	s_cbranch_execnz .LBB1759_664
.LBB1759_615:                           ;   in Loop: Header=BB1759_607 Depth=2
	s_or_b32 exec_lo, exec_lo, s11
	s_delay_alu instid0(SALU_CYCLE_1)
	s_mov_b32 s11, exec_lo
	v_cmpx_gt_u32_e64 s7, v72
	s_cbranch_execnz .LBB1759_665
.LBB1759_616:                           ;   in Loop: Header=BB1759_607 Depth=2
	s_or_b32 exec_lo, exec_lo, s11
	s_delay_alu instid0(SALU_CYCLE_1)
	s_mov_b32 s11, exec_lo
	v_cmpx_gt_u32_e64 s7, v73
	s_cbranch_execnz .LBB1759_666
.LBB1759_617:                           ;   in Loop: Header=BB1759_607 Depth=2
	s_or_b32 exec_lo, exec_lo, s11
	s_delay_alu instid0(SALU_CYCLE_1)
	s_mov_b32 s11, exec_lo
	v_cmpx_gt_u32_e64 s7, v74
	s_cbranch_execnz .LBB1759_667
.LBB1759_618:                           ;   in Loop: Header=BB1759_607 Depth=2
	s_or_b32 exec_lo, exec_lo, s11
	s_delay_alu instid0(SALU_CYCLE_1)
	s_mov_b32 s11, exec_lo
	v_cmpx_gt_u32_e64 s7, v75
	s_cbranch_execnz .LBB1759_668
.LBB1759_619:                           ;   in Loop: Header=BB1759_607 Depth=2
	s_or_b32 exec_lo, exec_lo, s11
	s_delay_alu instid0(SALU_CYCLE_1)
	s_mov_b32 s11, exec_lo
	v_cmpx_gt_u32_e64 s7, v76
	s_cbranch_execnz .LBB1759_669
.LBB1759_620:                           ;   in Loop: Header=BB1759_607 Depth=2
	s_or_b32 exec_lo, exec_lo, s11
	s_delay_alu instid0(SALU_CYCLE_1)
	s_mov_b32 s11, exec_lo
	v_cmpx_gt_u32_e64 s7, v77
	s_cbranch_execnz .LBB1759_670
.LBB1759_621:                           ;   in Loop: Header=BB1759_607 Depth=2
	s_or_b32 exec_lo, exec_lo, s11
	s_delay_alu instid0(SALU_CYCLE_1)
	s_mov_b32 s11, exec_lo
	v_cmpx_gt_u32_e64 s7, v78
	s_cbranch_execnz .LBB1759_671
.LBB1759_622:                           ;   in Loop: Header=BB1759_607 Depth=2
	s_or_b32 exec_lo, exec_lo, s11
	s_delay_alu instid0(SALU_CYCLE_1)
	s_mov_b32 s11, exec_lo
	v_cmpx_gt_u32_e64 s7, v79
	s_cbranch_execnz .LBB1759_672
.LBB1759_623:                           ;   in Loop: Header=BB1759_607 Depth=2
	s_or_b32 exec_lo, exec_lo, s11
	s_delay_alu instid0(SALU_CYCLE_1)
	s_mov_b32 s11, exec_lo
	v_cmpx_gt_u32_e64 s7, v80
	s_cbranch_execnz .LBB1759_673
.LBB1759_624:                           ;   in Loop: Header=BB1759_607 Depth=2
	s_or_b32 exec_lo, exec_lo, s11
	s_delay_alu instid0(SALU_CYCLE_1)
	s_mov_b32 s11, exec_lo
	v_cmpx_gt_u32_e64 s7, v81
	s_cbranch_execnz .LBB1759_674
.LBB1759_625:                           ;   in Loop: Header=BB1759_607 Depth=2
	s_or_b32 exec_lo, exec_lo, s11
	s_delay_alu instid0(SALU_CYCLE_1)
	s_mov_b32 s11, exec_lo
	v_cmpx_gt_u32_e64 s7, v82
	s_cbranch_execz .LBB1759_627
.LBB1759_626:                           ;   in Loop: Header=BB1759_607 Depth=2
	global_load_u16 v23, v2, s[8:9] offset:7680 scale_offset
.LBB1759_627:                           ;   in Loop: Header=BB1759_607 Depth=2
	s_wait_xcnt 0x0
	s_or_b32 exec_lo, exec_lo, s11
	s_wait_loadcnt 0x0
	v_dual_mov_b32 v39, v38 :: v_dual_mov_b32 v40, v37
	v_dual_mov_b32 v41, v36 :: v_dual_mov_b32 v42, v35
	;; [unrolled: 1-line block ×8, first 2 shown]
	s_mov_b32 s8, s7
.LBB1759_628:                           ;   in Loop: Header=BB1759_607 Depth=2
	s_wait_loadcnt 0x0
	s_delay_alu instid0(VALU_DEP_1)
	v_dual_mov_b32 v23, v54 :: v_dual_mov_b32 v24, v53
	v_dual_mov_b32 v25, v52 :: v_dual_mov_b32 v26, v51
	;; [unrolled: 1-line block ×8, first 2 shown]
	s_mov_b32 s9, exec_lo
	s_wait_xcnt 0x0
	v_cmpx_gt_u32_e64 s8, v2
	s_cbranch_execnz .LBB1759_644
; %bb.629:                              ;   in Loop: Header=BB1759_607 Depth=2
	s_or_b32 exec_lo, exec_lo, s9
	s_delay_alu instid0(SALU_CYCLE_1)
	s_mov_b32 s9, exec_lo
	v_cmpx_gt_u32_e64 s8, v68
	s_cbranch_execnz .LBB1759_645
.LBB1759_630:                           ;   in Loop: Header=BB1759_607 Depth=2
	s_or_b32 exec_lo, exec_lo, s9
	s_delay_alu instid0(SALU_CYCLE_1)
	s_mov_b32 s9, exec_lo
	v_cmpx_gt_u32_e64 s8, v69
	s_cbranch_execnz .LBB1759_646
.LBB1759_631:                           ;   in Loop: Header=BB1759_607 Depth=2
	s_or_b32 exec_lo, exec_lo, s9
	s_delay_alu instid0(SALU_CYCLE_1)
	s_mov_b32 s9, exec_lo
	v_cmpx_gt_u32_e64 s8, v70
	s_cbranch_execnz .LBB1759_647
.LBB1759_632:                           ;   in Loop: Header=BB1759_607 Depth=2
	s_or_b32 exec_lo, exec_lo, s9
	s_delay_alu instid0(SALU_CYCLE_1)
	s_mov_b32 s9, exec_lo
	v_cmpx_gt_u32_e64 s8, v71
	s_cbranch_execnz .LBB1759_648
.LBB1759_633:                           ;   in Loop: Header=BB1759_607 Depth=2
	s_or_b32 exec_lo, exec_lo, s9
	s_delay_alu instid0(SALU_CYCLE_1)
	s_mov_b32 s9, exec_lo
	v_cmpx_gt_u32_e64 s8, v72
	s_cbranch_execnz .LBB1759_649
.LBB1759_634:                           ;   in Loop: Header=BB1759_607 Depth=2
	s_or_b32 exec_lo, exec_lo, s9
	s_delay_alu instid0(SALU_CYCLE_1)
	s_mov_b32 s9, exec_lo
	v_cmpx_gt_u32_e64 s8, v73
	s_cbranch_execnz .LBB1759_650
.LBB1759_635:                           ;   in Loop: Header=BB1759_607 Depth=2
	s_or_b32 exec_lo, exec_lo, s9
	s_delay_alu instid0(SALU_CYCLE_1)
	s_mov_b32 s9, exec_lo
	v_cmpx_gt_u32_e64 s8, v74
	s_cbranch_execnz .LBB1759_651
.LBB1759_636:                           ;   in Loop: Header=BB1759_607 Depth=2
	s_or_b32 exec_lo, exec_lo, s9
	s_delay_alu instid0(SALU_CYCLE_1)
	s_mov_b32 s9, exec_lo
	v_cmpx_gt_u32_e64 s8, v75
	s_cbranch_execnz .LBB1759_652
.LBB1759_637:                           ;   in Loop: Header=BB1759_607 Depth=2
	s_or_b32 exec_lo, exec_lo, s9
	s_delay_alu instid0(SALU_CYCLE_1)
	s_mov_b32 s9, exec_lo
	v_cmpx_gt_u32_e64 s8, v76
	s_cbranch_execnz .LBB1759_653
.LBB1759_638:                           ;   in Loop: Header=BB1759_607 Depth=2
	s_or_b32 exec_lo, exec_lo, s9
	s_delay_alu instid0(SALU_CYCLE_1)
	s_mov_b32 s9, exec_lo
	v_cmpx_gt_u32_e64 s8, v77
	s_cbranch_execnz .LBB1759_654
.LBB1759_639:                           ;   in Loop: Header=BB1759_607 Depth=2
	s_or_b32 exec_lo, exec_lo, s9
	s_delay_alu instid0(SALU_CYCLE_1)
	s_mov_b32 s9, exec_lo
	v_cmpx_gt_u32_e64 s8, v78
	s_cbranch_execnz .LBB1759_655
.LBB1759_640:                           ;   in Loop: Header=BB1759_607 Depth=2
	s_or_b32 exec_lo, exec_lo, s9
	s_delay_alu instid0(SALU_CYCLE_1)
	s_mov_b32 s9, exec_lo
	v_cmpx_gt_u32_e64 s8, v79
	s_cbranch_execnz .LBB1759_656
.LBB1759_641:                           ;   in Loop: Header=BB1759_607 Depth=2
	s_or_b32 exec_lo, exec_lo, s9
	s_delay_alu instid0(SALU_CYCLE_1)
	s_mov_b32 s9, exec_lo
	v_cmpx_gt_u32_e64 s8, v80
	s_cbranch_execnz .LBB1759_657
.LBB1759_642:                           ;   in Loop: Header=BB1759_607 Depth=2
	s_or_b32 exec_lo, exec_lo, s9
	s_delay_alu instid0(SALU_CYCLE_1)
	s_mov_b32 s9, exec_lo
	v_cmpx_gt_u32_e64 s8, v81
	s_cbranch_execnz .LBB1759_658
.LBB1759_643:                           ;   in Loop: Header=BB1759_607 Depth=2
	s_or_b32 exec_lo, exec_lo, s9
	v_cmp_gt_u32_e32 vcc_lo, s8, v82
	s_and_saveexec_b32 s8, vcc_lo
	s_cbranch_execz .LBB1759_606
	s_branch .LBB1759_659
.LBB1759_644:                           ;   in Loop: Header=BB1759_607 Depth=2
	v_cmp_gt_i16_e32 vcc_lo, 0, v38
	v_cndmask_b32_e64 v39, 0x7fff, 0, vcc_lo
	s_delay_alu instid0(VALU_DEP_1) | instskip(NEXT) | instid1(VALU_DEP_1)
	v_xor_b32_e32 v39, v39, v38
	v_cmp_ne_u16_e32 vcc_lo, 0x8000, v39
	v_cndmask_b32_e32 v39, 0x7fff, v39, vcc_lo
	s_delay_alu instid0(VALU_DEP_1) | instskip(NEXT) | instid1(VALU_DEP_1)
	v_and_b32_e32 v39, 0xffff, v39
	v_lshrrev_b32_e32 v39, s49, v39
	s_delay_alu instid0(VALU_DEP_1) | instskip(NEXT) | instid1(VALU_DEP_1)
	v_and_b32_e32 v39, s52, v39
	v_lshl_or_b32 v39, v39, 4, v83
	ds_add_u32 v39, v96
	s_or_b32 exec_lo, exec_lo, s9
	s_delay_alu instid0(SALU_CYCLE_1)
	s_mov_b32 s9, exec_lo
	v_cmpx_gt_u32_e64 s8, v68
	s_cbranch_execz .LBB1759_630
.LBB1759_645:                           ;   in Loop: Header=BB1759_607 Depth=2
	v_cmp_gt_i16_e32 vcc_lo, 0, v37
	v_cndmask_b32_e64 v39, 0x7fff, 0, vcc_lo
	s_delay_alu instid0(VALU_DEP_1) | instskip(NEXT) | instid1(VALU_DEP_1)
	v_xor_b32_e32 v39, v39, v37
	v_cmp_ne_u16_e32 vcc_lo, 0x8000, v39
	v_cndmask_b32_e32 v39, 0x7fff, v39, vcc_lo
	s_delay_alu instid0(VALU_DEP_1) | instskip(NEXT) | instid1(VALU_DEP_1)
	v_and_b32_e32 v39, 0xffff, v39
	v_lshrrev_b32_e32 v39, s49, v39
	s_delay_alu instid0(VALU_DEP_1) | instskip(NEXT) | instid1(VALU_DEP_1)
	v_and_b32_e32 v39, s52, v39
	v_lshl_or_b32 v39, v39, 4, v83
	ds_add_u32 v39, v96
	s_or_b32 exec_lo, exec_lo, s9
	s_delay_alu instid0(SALU_CYCLE_1)
	s_mov_b32 s9, exec_lo
	v_cmpx_gt_u32_e64 s8, v69
	s_cbranch_execz .LBB1759_631
.LBB1759_646:                           ;   in Loop: Header=BB1759_607 Depth=2
	v_cmp_gt_i16_e32 vcc_lo, 0, v36
	v_cndmask_b32_e64 v39, 0x7fff, 0, vcc_lo
	s_delay_alu instid0(VALU_DEP_1) | instskip(NEXT) | instid1(VALU_DEP_1)
	v_xor_b32_e32 v39, v39, v36
	v_cmp_ne_u16_e32 vcc_lo, 0x8000, v39
	v_cndmask_b32_e32 v39, 0x7fff, v39, vcc_lo
	s_delay_alu instid0(VALU_DEP_1) | instskip(NEXT) | instid1(VALU_DEP_1)
	v_and_b32_e32 v39, 0xffff, v39
	v_lshrrev_b32_e32 v39, s49, v39
	s_delay_alu instid0(VALU_DEP_1) | instskip(NEXT) | instid1(VALU_DEP_1)
	v_and_b32_e32 v39, s52, v39
	v_lshl_or_b32 v39, v39, 4, v83
	ds_add_u32 v39, v96
	s_or_b32 exec_lo, exec_lo, s9
	s_delay_alu instid0(SALU_CYCLE_1)
	s_mov_b32 s9, exec_lo
	v_cmpx_gt_u32_e64 s8, v70
	s_cbranch_execz .LBB1759_632
.LBB1759_647:                           ;   in Loop: Header=BB1759_607 Depth=2
	v_cmp_gt_i16_e32 vcc_lo, 0, v35
	v_cndmask_b32_e64 v39, 0x7fff, 0, vcc_lo
	s_delay_alu instid0(VALU_DEP_1) | instskip(NEXT) | instid1(VALU_DEP_1)
	v_xor_b32_e32 v39, v39, v35
	v_cmp_ne_u16_e32 vcc_lo, 0x8000, v39
	v_cndmask_b32_e32 v39, 0x7fff, v39, vcc_lo
	s_delay_alu instid0(VALU_DEP_1) | instskip(NEXT) | instid1(VALU_DEP_1)
	v_and_b32_e32 v39, 0xffff, v39
	v_lshrrev_b32_e32 v39, s49, v39
	s_delay_alu instid0(VALU_DEP_1) | instskip(NEXT) | instid1(VALU_DEP_1)
	v_and_b32_e32 v39, s52, v39
	v_lshl_or_b32 v39, v39, 4, v83
	ds_add_u32 v39, v96
	s_or_b32 exec_lo, exec_lo, s9
	s_delay_alu instid0(SALU_CYCLE_1)
	s_mov_b32 s9, exec_lo
	v_cmpx_gt_u32_e64 s8, v71
	s_cbranch_execz .LBB1759_633
.LBB1759_648:                           ;   in Loop: Header=BB1759_607 Depth=2
	v_cmp_gt_i16_e32 vcc_lo, 0, v34
	v_cndmask_b32_e64 v39, 0x7fff, 0, vcc_lo
	s_delay_alu instid0(VALU_DEP_1) | instskip(NEXT) | instid1(VALU_DEP_1)
	v_xor_b32_e32 v39, v39, v34
	v_cmp_ne_u16_e32 vcc_lo, 0x8000, v39
	v_cndmask_b32_e32 v39, 0x7fff, v39, vcc_lo
	s_delay_alu instid0(VALU_DEP_1) | instskip(NEXT) | instid1(VALU_DEP_1)
	v_and_b32_e32 v39, 0xffff, v39
	v_lshrrev_b32_e32 v39, s49, v39
	s_delay_alu instid0(VALU_DEP_1) | instskip(NEXT) | instid1(VALU_DEP_1)
	v_and_b32_e32 v39, s52, v39
	v_lshl_or_b32 v39, v39, 4, v83
	ds_add_u32 v39, v96
	s_or_b32 exec_lo, exec_lo, s9
	s_delay_alu instid0(SALU_CYCLE_1)
	s_mov_b32 s9, exec_lo
	v_cmpx_gt_u32_e64 s8, v72
	s_cbranch_execz .LBB1759_634
.LBB1759_649:                           ;   in Loop: Header=BB1759_607 Depth=2
	v_cmp_gt_i16_e32 vcc_lo, 0, v33
	v_cndmask_b32_e64 v39, 0x7fff, 0, vcc_lo
	s_delay_alu instid0(VALU_DEP_1) | instskip(NEXT) | instid1(VALU_DEP_1)
	v_xor_b32_e32 v39, v39, v33
	v_cmp_ne_u16_e32 vcc_lo, 0x8000, v39
	v_cndmask_b32_e32 v39, 0x7fff, v39, vcc_lo
	s_delay_alu instid0(VALU_DEP_1) | instskip(NEXT) | instid1(VALU_DEP_1)
	v_and_b32_e32 v39, 0xffff, v39
	v_lshrrev_b32_e32 v39, s49, v39
	s_delay_alu instid0(VALU_DEP_1) | instskip(NEXT) | instid1(VALU_DEP_1)
	v_and_b32_e32 v39, s52, v39
	v_lshl_or_b32 v39, v39, 4, v83
	ds_add_u32 v39, v96
	s_or_b32 exec_lo, exec_lo, s9
	s_delay_alu instid0(SALU_CYCLE_1)
	s_mov_b32 s9, exec_lo
	v_cmpx_gt_u32_e64 s8, v73
	s_cbranch_execz .LBB1759_635
.LBB1759_650:                           ;   in Loop: Header=BB1759_607 Depth=2
	v_cmp_gt_i16_e32 vcc_lo, 0, v32
	v_cndmask_b32_e64 v39, 0x7fff, 0, vcc_lo
	s_delay_alu instid0(VALU_DEP_1) | instskip(NEXT) | instid1(VALU_DEP_1)
	v_xor_b32_e32 v39, v39, v32
	v_cmp_ne_u16_e32 vcc_lo, 0x8000, v39
	v_cndmask_b32_e32 v39, 0x7fff, v39, vcc_lo
	s_delay_alu instid0(VALU_DEP_1) | instskip(NEXT) | instid1(VALU_DEP_1)
	v_and_b32_e32 v39, 0xffff, v39
	v_lshrrev_b32_e32 v39, s49, v39
	s_delay_alu instid0(VALU_DEP_1) | instskip(NEXT) | instid1(VALU_DEP_1)
	v_and_b32_e32 v39, s52, v39
	v_lshl_or_b32 v39, v39, 4, v83
	ds_add_u32 v39, v96
	s_or_b32 exec_lo, exec_lo, s9
	s_delay_alu instid0(SALU_CYCLE_1)
	s_mov_b32 s9, exec_lo
	v_cmpx_gt_u32_e64 s8, v74
	s_cbranch_execz .LBB1759_636
.LBB1759_651:                           ;   in Loop: Header=BB1759_607 Depth=2
	v_cmp_gt_i16_e32 vcc_lo, 0, v31
	v_cndmask_b32_e64 v39, 0x7fff, 0, vcc_lo
	s_delay_alu instid0(VALU_DEP_1) | instskip(NEXT) | instid1(VALU_DEP_1)
	v_xor_b32_e32 v39, v39, v31
	v_cmp_ne_u16_e32 vcc_lo, 0x8000, v39
	v_cndmask_b32_e32 v39, 0x7fff, v39, vcc_lo
	s_delay_alu instid0(VALU_DEP_1) | instskip(NEXT) | instid1(VALU_DEP_1)
	v_and_b32_e32 v39, 0xffff, v39
	v_lshrrev_b32_e32 v39, s49, v39
	s_delay_alu instid0(VALU_DEP_1) | instskip(NEXT) | instid1(VALU_DEP_1)
	v_and_b32_e32 v39, s52, v39
	v_lshl_or_b32 v39, v39, 4, v83
	ds_add_u32 v39, v96
	s_or_b32 exec_lo, exec_lo, s9
	s_delay_alu instid0(SALU_CYCLE_1)
	s_mov_b32 s9, exec_lo
	v_cmpx_gt_u32_e64 s8, v75
	s_cbranch_execz .LBB1759_637
.LBB1759_652:                           ;   in Loop: Header=BB1759_607 Depth=2
	v_cmp_gt_i16_e32 vcc_lo, 0, v30
	v_cndmask_b32_e64 v39, 0x7fff, 0, vcc_lo
	s_delay_alu instid0(VALU_DEP_1) | instskip(NEXT) | instid1(VALU_DEP_1)
	v_xor_b32_e32 v39, v39, v30
	v_cmp_ne_u16_e32 vcc_lo, 0x8000, v39
	v_cndmask_b32_e32 v39, 0x7fff, v39, vcc_lo
	s_delay_alu instid0(VALU_DEP_1) | instskip(NEXT) | instid1(VALU_DEP_1)
	v_and_b32_e32 v39, 0xffff, v39
	v_lshrrev_b32_e32 v39, s49, v39
	s_delay_alu instid0(VALU_DEP_1) | instskip(NEXT) | instid1(VALU_DEP_1)
	v_and_b32_e32 v39, s52, v39
	v_lshl_or_b32 v39, v39, 4, v83
	ds_add_u32 v39, v96
	s_or_b32 exec_lo, exec_lo, s9
	s_delay_alu instid0(SALU_CYCLE_1)
	s_mov_b32 s9, exec_lo
	v_cmpx_gt_u32_e64 s8, v76
	s_cbranch_execz .LBB1759_638
.LBB1759_653:                           ;   in Loop: Header=BB1759_607 Depth=2
	v_cmp_gt_i16_e32 vcc_lo, 0, v29
	v_cndmask_b32_e64 v39, 0x7fff, 0, vcc_lo
	s_delay_alu instid0(VALU_DEP_1) | instskip(NEXT) | instid1(VALU_DEP_1)
	v_xor_b32_e32 v39, v39, v29
	v_cmp_ne_u16_e32 vcc_lo, 0x8000, v39
	v_cndmask_b32_e32 v39, 0x7fff, v39, vcc_lo
	s_delay_alu instid0(VALU_DEP_1) | instskip(NEXT) | instid1(VALU_DEP_1)
	v_and_b32_e32 v39, 0xffff, v39
	v_lshrrev_b32_e32 v39, s49, v39
	s_delay_alu instid0(VALU_DEP_1) | instskip(NEXT) | instid1(VALU_DEP_1)
	v_and_b32_e32 v39, s52, v39
	v_lshl_or_b32 v39, v39, 4, v83
	ds_add_u32 v39, v96
	s_or_b32 exec_lo, exec_lo, s9
	s_delay_alu instid0(SALU_CYCLE_1)
	s_mov_b32 s9, exec_lo
	v_cmpx_gt_u32_e64 s8, v77
	s_cbranch_execz .LBB1759_639
.LBB1759_654:                           ;   in Loop: Header=BB1759_607 Depth=2
	v_cmp_gt_i16_e32 vcc_lo, 0, v28
	v_cndmask_b32_e64 v39, 0x7fff, 0, vcc_lo
	s_delay_alu instid0(VALU_DEP_1) | instskip(NEXT) | instid1(VALU_DEP_1)
	v_xor_b32_e32 v39, v39, v28
	v_cmp_ne_u16_e32 vcc_lo, 0x8000, v39
	v_cndmask_b32_e32 v39, 0x7fff, v39, vcc_lo
	s_delay_alu instid0(VALU_DEP_1) | instskip(NEXT) | instid1(VALU_DEP_1)
	v_and_b32_e32 v39, 0xffff, v39
	v_lshrrev_b32_e32 v39, s49, v39
	s_delay_alu instid0(VALU_DEP_1) | instskip(NEXT) | instid1(VALU_DEP_1)
	v_and_b32_e32 v39, s52, v39
	v_lshl_or_b32 v39, v39, 4, v83
	ds_add_u32 v39, v96
	s_or_b32 exec_lo, exec_lo, s9
	s_delay_alu instid0(SALU_CYCLE_1)
	s_mov_b32 s9, exec_lo
	v_cmpx_gt_u32_e64 s8, v78
	s_cbranch_execz .LBB1759_640
.LBB1759_655:                           ;   in Loop: Header=BB1759_607 Depth=2
	v_cmp_gt_i16_e32 vcc_lo, 0, v27
	v_cndmask_b32_e64 v39, 0x7fff, 0, vcc_lo
	s_delay_alu instid0(VALU_DEP_1) | instskip(NEXT) | instid1(VALU_DEP_1)
	v_xor_b32_e32 v39, v39, v27
	v_cmp_ne_u16_e32 vcc_lo, 0x8000, v39
	v_cndmask_b32_e32 v39, 0x7fff, v39, vcc_lo
	s_delay_alu instid0(VALU_DEP_1) | instskip(NEXT) | instid1(VALU_DEP_1)
	v_and_b32_e32 v39, 0xffff, v39
	v_lshrrev_b32_e32 v39, s49, v39
	s_delay_alu instid0(VALU_DEP_1) | instskip(NEXT) | instid1(VALU_DEP_1)
	v_and_b32_e32 v39, s52, v39
	v_lshl_or_b32 v39, v39, 4, v83
	ds_add_u32 v39, v96
	s_or_b32 exec_lo, exec_lo, s9
	s_delay_alu instid0(SALU_CYCLE_1)
	s_mov_b32 s9, exec_lo
	v_cmpx_gt_u32_e64 s8, v79
	s_cbranch_execz .LBB1759_641
.LBB1759_656:                           ;   in Loop: Header=BB1759_607 Depth=2
	v_cmp_gt_i16_e32 vcc_lo, 0, v26
	v_cndmask_b32_e64 v39, 0x7fff, 0, vcc_lo
	s_delay_alu instid0(VALU_DEP_1) | instskip(NEXT) | instid1(VALU_DEP_1)
	v_xor_b32_e32 v39, v39, v26
	v_cmp_ne_u16_e32 vcc_lo, 0x8000, v39
	v_cndmask_b32_e32 v39, 0x7fff, v39, vcc_lo
	s_delay_alu instid0(VALU_DEP_1) | instskip(NEXT) | instid1(VALU_DEP_1)
	v_and_b32_e32 v39, 0xffff, v39
	v_lshrrev_b32_e32 v39, s49, v39
	s_delay_alu instid0(VALU_DEP_1) | instskip(NEXT) | instid1(VALU_DEP_1)
	v_and_b32_e32 v39, s52, v39
	v_lshl_or_b32 v39, v39, 4, v83
	ds_add_u32 v39, v96
	s_or_b32 exec_lo, exec_lo, s9
	s_delay_alu instid0(SALU_CYCLE_1)
	s_mov_b32 s9, exec_lo
	v_cmpx_gt_u32_e64 s8, v80
	s_cbranch_execz .LBB1759_642
.LBB1759_657:                           ;   in Loop: Header=BB1759_607 Depth=2
	v_cmp_gt_i16_e32 vcc_lo, 0, v25
	v_cndmask_b32_e64 v39, 0x7fff, 0, vcc_lo
	s_delay_alu instid0(VALU_DEP_1) | instskip(NEXT) | instid1(VALU_DEP_1)
	v_xor_b32_e32 v39, v39, v25
	v_cmp_ne_u16_e32 vcc_lo, 0x8000, v39
	v_cndmask_b32_e32 v39, 0x7fff, v39, vcc_lo
	s_delay_alu instid0(VALU_DEP_1) | instskip(NEXT) | instid1(VALU_DEP_1)
	v_and_b32_e32 v39, 0xffff, v39
	v_lshrrev_b32_e32 v39, s49, v39
	s_delay_alu instid0(VALU_DEP_1) | instskip(NEXT) | instid1(VALU_DEP_1)
	v_and_b32_e32 v39, s52, v39
	v_lshl_or_b32 v39, v39, 4, v83
	ds_add_u32 v39, v96
	s_or_b32 exec_lo, exec_lo, s9
	s_delay_alu instid0(SALU_CYCLE_1)
	s_mov_b32 s9, exec_lo
	v_cmpx_gt_u32_e64 s8, v81
	s_cbranch_execz .LBB1759_643
.LBB1759_658:                           ;   in Loop: Header=BB1759_607 Depth=2
	v_cmp_gt_i16_e32 vcc_lo, 0, v24
	v_cndmask_b32_e64 v39, 0x7fff, 0, vcc_lo
	s_delay_alu instid0(VALU_DEP_1) | instskip(NEXT) | instid1(VALU_DEP_1)
	v_xor_b32_e32 v39, v39, v24
	v_cmp_ne_u16_e32 vcc_lo, 0x8000, v39
	v_cndmask_b32_e32 v39, 0x7fff, v39, vcc_lo
	s_delay_alu instid0(VALU_DEP_1) | instskip(NEXT) | instid1(VALU_DEP_1)
	v_and_b32_e32 v39, 0xffff, v39
	v_lshrrev_b32_e32 v39, s49, v39
	s_delay_alu instid0(VALU_DEP_1) | instskip(NEXT) | instid1(VALU_DEP_1)
	v_and_b32_e32 v39, s52, v39
	v_lshl_or_b32 v39, v39, 4, v83
	ds_add_u32 v39, v96
	s_or_b32 exec_lo, exec_lo, s9
	v_cmp_gt_u32_e32 vcc_lo, s8, v82
	s_and_saveexec_b32 s8, vcc_lo
	s_cbranch_execz .LBB1759_606
.LBB1759_659:                           ;   in Loop: Header=BB1759_607 Depth=2
	v_cmp_gt_i16_e32 vcc_lo, 0, v23
	v_cndmask_b32_e64 v39, 0x7fff, 0, vcc_lo
	s_delay_alu instid0(VALU_DEP_1) | instskip(NEXT) | instid1(VALU_DEP_1)
	v_xor_b32_e32 v39, v39, v23
	v_cmp_ne_u16_e32 vcc_lo, 0x8000, v39
	v_cndmask_b32_e32 v39, 0x7fff, v39, vcc_lo
	s_delay_alu instid0(VALU_DEP_1) | instskip(NEXT) | instid1(VALU_DEP_1)
	v_and_b32_e32 v39, 0xffff, v39
	v_lshrrev_b32_e32 v39, s49, v39
	s_delay_alu instid0(VALU_DEP_1) | instskip(NEXT) | instid1(VALU_DEP_1)
	v_and_b32_e32 v39, s52, v39
	v_lshl_or_b32 v39, v39, 4, v83
	ds_add_u32 v39, v96
	s_branch .LBB1759_606
.LBB1759_660:                           ;   in Loop: Header=BB1759_607 Depth=2
	global_load_u16 v38, v2, s[8:9] scale_offset
	s_wait_xcnt 0x0
	s_or_b32 exec_lo, exec_lo, s11
	s_delay_alu instid0(SALU_CYCLE_1)
	s_mov_b32 s11, exec_lo
	v_cmpx_gt_u32_e64 s7, v68
	s_cbranch_execz .LBB1759_612
.LBB1759_661:                           ;   in Loop: Header=BB1759_607 Depth=2
	global_load_u16 v37, v2, s[8:9] offset:512 scale_offset
	s_wait_xcnt 0x0
	s_or_b32 exec_lo, exec_lo, s11
	s_delay_alu instid0(SALU_CYCLE_1)
	s_mov_b32 s11, exec_lo
	v_cmpx_gt_u32_e64 s7, v69
	s_cbranch_execz .LBB1759_613
.LBB1759_662:                           ;   in Loop: Header=BB1759_607 Depth=2
	global_load_u16 v36, v2, s[8:9] offset:1024 scale_offset
	s_wait_xcnt 0x0
	s_or_b32 exec_lo, exec_lo, s11
	s_delay_alu instid0(SALU_CYCLE_1)
	s_mov_b32 s11, exec_lo
	v_cmpx_gt_u32_e64 s7, v70
	s_cbranch_execz .LBB1759_614
.LBB1759_663:                           ;   in Loop: Header=BB1759_607 Depth=2
	global_load_u16 v35, v2, s[8:9] offset:1536 scale_offset
	s_wait_xcnt 0x0
	s_or_b32 exec_lo, exec_lo, s11
	s_delay_alu instid0(SALU_CYCLE_1)
	s_mov_b32 s11, exec_lo
	v_cmpx_gt_u32_e64 s7, v71
	s_cbranch_execz .LBB1759_615
.LBB1759_664:                           ;   in Loop: Header=BB1759_607 Depth=2
	global_load_u16 v34, v2, s[8:9] offset:2048 scale_offset
	s_wait_xcnt 0x0
	s_or_b32 exec_lo, exec_lo, s11
	s_delay_alu instid0(SALU_CYCLE_1)
	s_mov_b32 s11, exec_lo
	v_cmpx_gt_u32_e64 s7, v72
	s_cbranch_execz .LBB1759_616
.LBB1759_665:                           ;   in Loop: Header=BB1759_607 Depth=2
	global_load_u16 v33, v2, s[8:9] offset:2560 scale_offset
	s_wait_xcnt 0x0
	s_or_b32 exec_lo, exec_lo, s11
	s_delay_alu instid0(SALU_CYCLE_1)
	s_mov_b32 s11, exec_lo
	v_cmpx_gt_u32_e64 s7, v73
	s_cbranch_execz .LBB1759_617
.LBB1759_666:                           ;   in Loop: Header=BB1759_607 Depth=2
	global_load_u16 v32, v2, s[8:9] offset:3072 scale_offset
	s_wait_xcnt 0x0
	s_or_b32 exec_lo, exec_lo, s11
	s_delay_alu instid0(SALU_CYCLE_1)
	s_mov_b32 s11, exec_lo
	v_cmpx_gt_u32_e64 s7, v74
	s_cbranch_execz .LBB1759_618
.LBB1759_667:                           ;   in Loop: Header=BB1759_607 Depth=2
	global_load_u16 v31, v2, s[8:9] offset:3584 scale_offset
	s_wait_xcnt 0x0
	s_or_b32 exec_lo, exec_lo, s11
	s_delay_alu instid0(SALU_CYCLE_1)
	s_mov_b32 s11, exec_lo
	v_cmpx_gt_u32_e64 s7, v75
	s_cbranch_execz .LBB1759_619
.LBB1759_668:                           ;   in Loop: Header=BB1759_607 Depth=2
	global_load_u16 v30, v2, s[8:9] offset:4096 scale_offset
	s_wait_xcnt 0x0
	s_or_b32 exec_lo, exec_lo, s11
	s_delay_alu instid0(SALU_CYCLE_1)
	s_mov_b32 s11, exec_lo
	v_cmpx_gt_u32_e64 s7, v76
	s_cbranch_execz .LBB1759_620
.LBB1759_669:                           ;   in Loop: Header=BB1759_607 Depth=2
	global_load_u16 v29, v2, s[8:9] offset:4608 scale_offset
	s_wait_xcnt 0x0
	s_or_b32 exec_lo, exec_lo, s11
	s_delay_alu instid0(SALU_CYCLE_1)
	s_mov_b32 s11, exec_lo
	v_cmpx_gt_u32_e64 s7, v77
	s_cbranch_execz .LBB1759_621
.LBB1759_670:                           ;   in Loop: Header=BB1759_607 Depth=2
	global_load_u16 v28, v2, s[8:9] offset:5120 scale_offset
	s_wait_xcnt 0x0
	s_or_b32 exec_lo, exec_lo, s11
	s_delay_alu instid0(SALU_CYCLE_1)
	s_mov_b32 s11, exec_lo
	v_cmpx_gt_u32_e64 s7, v78
	s_cbranch_execz .LBB1759_622
.LBB1759_671:                           ;   in Loop: Header=BB1759_607 Depth=2
	global_load_u16 v27, v2, s[8:9] offset:5632 scale_offset
	s_wait_xcnt 0x0
	s_or_b32 exec_lo, exec_lo, s11
	s_delay_alu instid0(SALU_CYCLE_1)
	s_mov_b32 s11, exec_lo
	v_cmpx_gt_u32_e64 s7, v79
	s_cbranch_execz .LBB1759_623
.LBB1759_672:                           ;   in Loop: Header=BB1759_607 Depth=2
	global_load_u16 v26, v2, s[8:9] offset:6144 scale_offset
	s_wait_xcnt 0x0
	s_or_b32 exec_lo, exec_lo, s11
	s_delay_alu instid0(SALU_CYCLE_1)
	s_mov_b32 s11, exec_lo
	v_cmpx_gt_u32_e64 s7, v80
	s_cbranch_execz .LBB1759_624
.LBB1759_673:                           ;   in Loop: Header=BB1759_607 Depth=2
	global_load_u16 v25, v2, s[8:9] offset:6656 scale_offset
	s_wait_xcnt 0x0
	s_or_b32 exec_lo, exec_lo, s11
	s_delay_alu instid0(SALU_CYCLE_1)
	s_mov_b32 s11, exec_lo
	v_cmpx_gt_u32_e64 s7, v81
	s_cbranch_execz .LBB1759_625
.LBB1759_674:                           ;   in Loop: Header=BB1759_607 Depth=2
	global_load_u16 v24, v2, s[8:9] offset:7168 scale_offset
	s_wait_xcnt 0x0
	s_or_b32 exec_lo, exec_lo, s11
	s_delay_alu instid0(SALU_CYCLE_1)
	s_mov_b32 s11, exec_lo
	v_cmpx_gt_u32_e64 s7, v82
	s_cbranch_execnz .LBB1759_626
	s_branch .LBB1759_627
.LBB1759_675:                           ;   in Loop: Header=BB1759_17 Depth=1
	v_mov_b32_e32 v23, 0
	s_wait_dscnt 0x0
	s_barrier_signal -1
	s_barrier_wait -1
	s_and_saveexec_b32 s7, s0
	s_cbranch_execz .LBB1759_677
; %bb.676:                              ;   in Loop: Header=BB1759_17 Depth=1
	ds_load_2addr_b64 v[24:27], v85 offset1:1
	s_wait_dscnt 0x0
	v_add_nc_u32_e32 v23, v25, v24
	s_delay_alu instid0(VALU_DEP_1)
	v_add3_u32 v23, v23, v26, v27
.LBB1759_677:                           ;   in Loop: Header=BB1759_17 Depth=1
	s_or_b32 exec_lo, exec_lo, s7
	s_delay_alu instid0(VALU_DEP_1)
	v_mov_b32_dpp v24, v23 row_shr:1 row_mask:0xf bank_mask:0xf
	v_cmp_eq_u32_e64 s7, 0, v97
	v_cmp_lt_u32_e64 s8, 1, v97
	v_cmp_lt_u32_e64 s9, 3, v97
	;; [unrolled: 1-line block ×3, first 2 shown]
	v_cmp_eq_u32_e64 s11, 0, v99
	v_cndmask_b32_e64 v24, v24, 0, s7
	s_delay_alu instid0(VALU_DEP_1) | instskip(NEXT) | instid1(VALU_DEP_1)
	v_add_nc_u32_e32 v23, v24, v23
	v_mov_b32_dpp v24, v23 row_shr:2 row_mask:0xf bank_mask:0xf
	s_delay_alu instid0(VALU_DEP_1) | instskip(NEXT) | instid1(VALU_DEP_1)
	v_cndmask_b32_e64 v24, 0, v24, s8
	v_add_nc_u32_e32 v23, v23, v24
	s_delay_alu instid0(VALU_DEP_1) | instskip(NEXT) | instid1(VALU_DEP_1)
	v_mov_b32_dpp v24, v23 row_shr:4 row_mask:0xf bank_mask:0xf
	v_cndmask_b32_e64 v24, 0, v24, s9
	s_delay_alu instid0(VALU_DEP_1) | instskip(NEXT) | instid1(VALU_DEP_1)
	v_add_nc_u32_e32 v23, v23, v24
	v_mov_b32_dpp v24, v23 row_shr:8 row_mask:0xf bank_mask:0xf
	s_delay_alu instid0(VALU_DEP_1) | instskip(NEXT) | instid1(VALU_DEP_1)
	v_cndmask_b32_e64 v24, 0, v24, s10
	v_add_nc_u32_e32 v23, v23, v24
	ds_swizzle_b32 v24, v23 offset:swizzle(BROADCAST,32,15)
	s_wait_dscnt 0x0
	v_and_b32_e32 v24, v98, v24
	s_delay_alu instid0(VALU_DEP_1)
	v_add_nc_u32_e32 v23, v23, v24
	s_and_saveexec_b32 s12, s1
; %bb.678:                              ;   in Loop: Header=BB1759_17 Depth=1
	ds_store_b32 v86, v23
; %bb.679:                              ;   in Loop: Header=BB1759_17 Depth=1
	s_or_b32 exec_lo, exec_lo, s12
	s_wait_dscnt 0x0
	s_barrier_signal -1
	s_barrier_wait -1
	s_and_saveexec_b32 s12, s4
	s_cbranch_execz .LBB1759_681
; %bb.680:                              ;   in Loop: Header=BB1759_17 Depth=1
	ds_load_b32 v24, v87
	v_cmp_ne_u32_e32 vcc_lo, 0, v101
	s_wait_dscnt 0x0
	v_mov_b32_dpp v25, v24 row_shr:1 row_mask:0xf bank_mask:0xf
	s_delay_alu instid0(VALU_DEP_1) | instskip(SKIP_1) | instid1(VALU_DEP_2)
	v_cndmask_b32_e32 v25, 0, v25, vcc_lo
	v_cmp_lt_u32_e32 vcc_lo, 1, v101
	v_add_nc_u32_e32 v24, v25, v24
	s_delay_alu instid0(VALU_DEP_1) | instskip(NEXT) | instid1(VALU_DEP_1)
	v_mov_b32_dpp v25, v24 row_shr:2 row_mask:0xf bank_mask:0xf
	v_cndmask_b32_e32 v25, 0, v25, vcc_lo
	v_cmp_lt_u32_e32 vcc_lo, 3, v101
	s_delay_alu instid0(VALU_DEP_2) | instskip(NEXT) | instid1(VALU_DEP_1)
	v_add_nc_u32_e32 v24, v24, v25
	v_mov_b32_dpp v25, v24 row_shr:4 row_mask:0xf bank_mask:0xf
	s_delay_alu instid0(VALU_DEP_1) | instskip(NEXT) | instid1(VALU_DEP_1)
	v_cndmask_b32_e32 v25, 0, v25, vcc_lo
	v_add_nc_u32_e32 v24, v24, v25
	ds_store_b32 v87, v24
.LBB1759_681:                           ;   in Loop: Header=BB1759_17 Depth=1
	s_or_b32 exec_lo, exec_lo, s12
	v_mov_b32_e32 v24, 0
	s_wait_dscnt 0x0
	s_barrier_signal -1
	s_barrier_wait -1
	s_and_saveexec_b32 s12, s5
; %bb.682:                              ;   in Loop: Header=BB1759_17 Depth=1
	ds_load_b32 v24, v88
; %bb.683:                              ;   in Loop: Header=BB1759_17 Depth=1
	s_or_b32 exec_lo, exec_lo, s12
	v_cmp_gt_i32_e32 vcc_lo, 0, v102
	s_wait_dscnt 0x0
	s_barrier_signal -1
	s_barrier_wait -1
	v_cndmask_b32_e32 v25, v102, v95, vcc_lo
	s_delay_alu instid0(VALU_DEP_1)
	v_dual_add_nc_u32 v23, v24, v23 :: v_dual_lshlrev_b32 v122, 2, v25
	ds_bpermute_b32 v23, v122, v23
	s_and_saveexec_b32 s12, s0
	s_cbranch_execz .LBB1759_685
; %bb.684:                              ;   in Loop: Header=BB1759_17 Depth=1
	s_wait_dscnt 0x0
	v_cndmask_b32_e64 v23, v23, v24, s6
	s_delay_alu instid0(VALU_DEP_1)
	v_add_nc_u32_e32 v23, s54, v23
	ds_store_b32 v3, v23
.LBB1759_685:                           ;   in Loop: Header=BB1759_17 Depth=1
	s_or_b32 exec_lo, exec_lo, s12
	s_load_b64 s[12:13], s[34:35], 0x0
	s_mov_b32 s53, s56
                                        ; implicit-def: $vgpr30_vgpr31
                                        ; implicit-def: $vgpr32_vgpr33
                                        ; implicit-def: $vgpr34_vgpr35
                                        ; implicit-def: $vgpr36_vgpr37
                                        ; implicit-def: $vgpr38_vgpr39
                                        ; implicit-def: $vgpr40_vgpr41
                                        ; implicit-def: $vgpr42_vgpr43
                                        ; implicit-def: $vgpr44_vgpr45
                                        ; implicit-def: $vgpr46_vgpr47
                                        ; implicit-def: $vgpr48_vgpr49
                                        ; implicit-def: $vgpr50_vgpr51
                                        ; implicit-def: $vgpr52_vgpr53
                                        ; implicit-def: $vgpr54_vgpr55
                                        ; implicit-def: $vgpr56_vgpr57
                                        ; implicit-def: $vgpr58_vgpr59
                                        ; implicit-def: $vgpr123
                                        ; implicit-def: $vgpr124
                                        ; implicit-def: $vgpr125
                                        ; implicit-def: $vgpr126
                                        ; implicit-def: $vgpr127
                                        ; implicit-def: $vgpr128
                                        ; implicit-def: $vgpr129
                                        ; implicit-def: $vgpr130
                                        ; implicit-def: $vgpr131
                                        ; implicit-def: $vgpr132
                                        ; implicit-def: $vgpr133
                                        ; implicit-def: $vgpr134
                                        ; implicit-def: $vgpr135
                                        ; implicit-def: $vgpr136
                                        ; implicit-def: $vgpr137
                                        ; implicit-def: $vgpr138
	s_wait_kmcnt 0x0
	s_cmp_lt_u32 s33, s12
	s_cselect_b32 s42, 12, 18
	s_cmp_lt_u32 s31, s13
	s_mov_b32 s13, s43
	s_cselect_b32 s12, 14, 20
	s_delay_alu instid0(SALU_CYCLE_1)
	s_add_nc_u64 s[12:13], s[34:35], s[12:13]
	s_load_u16 s14, s[12:13], 0x0
	s_wait_xcnt 0x0
	s_add_nc_u64 s[12:13], s[34:35], s[42:43]
	s_mov_b32 s42, s54
	s_load_u16 s12, s[12:13], 0x0
	s_wait_xcnt 0x0
	v_cmp_lt_u32_e64 s13, 1, v101
	s_wait_dscnt 0x0
	s_wait_kmcnt 0x0
	v_mad_u32_u24 v23, v89, s14, v90
	v_cmp_lt_u32_e64 s14, 3, v101
	s_delay_alu instid0(VALU_DEP_2) | instskip(SKIP_2) | instid1(VALU_DEP_3)
	v_mad_u32 v24, v23, s12, v2
	v_mov_b32_e32 v23, v5
	v_cmp_eq_u32_e64 s12, 0, v101
	v_lshrrev_b32_e32 v28, 3, v24
	v_add_nc_u64_e32 v[24:25], v[18:19], v[4:5]
	s_delay_alu instid0(VALU_DEP_4) | instskip(NEXT) | instid1(VALU_DEP_3)
	v_add_nc_u64_e32 v[26:27], v[20:21], v[22:23]
	v_and_b32_e32 v23, 0x1ffffffc, v28
                                        ; implicit-def: $vgpr28_vgpr29
	s_branch .LBB1759_687
.LBB1759_686:                           ;   in Loop: Header=BB1759_687 Depth=2
	s_or_b32 exec_lo, exec_lo, s15
	s_addk_co_i32 s53, 0xf000
	s_cmp_lt_u32 s57, s51
	s_mov_b32 s42, s57
	s_cbranch_scc0 .LBB1759_895
.LBB1759_687:                           ;   Parent Loop BB1759_17 Depth=1
                                        ; =>  This Inner Loop Header: Depth=2
	s_add_co_i32 s57, s42, 0x1000
	s_delay_alu instid0(SALU_CYCLE_1)
	s_cmp_gt_u32 s57, s51
	s_cbranch_scc1 .LBB1759_689
; %bb.688:                              ;   in Loop: Header=BB1759_687 Depth=2
	s_delay_alu instid0(VALU_DEP_2)
	v_lshl_add_u64 v[60:61], s[42:43], 1, v[26:27]
	s_mov_b32 s15, -1
	s_clause 0xe
	global_load_u16 v140, v[60:61], off
	global_load_u16 v141, v[60:61], off offset:64
	global_load_u16 v144, v[60:61], off offset:128
	;; [unrolled: 1-line block ×14, first 2 shown]
	s_movk_i32 s16, 0x1000
	s_cbranch_execz .LBB1759_690
	s_branch .LBB1759_721
.LBB1759_689:                           ;   in Loop: Header=BB1759_687 Depth=2
	s_mov_b32 s15, 0
                                        ; implicit-def: $vgpr140
                                        ; implicit-def: $vgpr141
                                        ; implicit-def: $vgpr144
                                        ; implicit-def: $vgpr148
                                        ; implicit-def: $vgpr152
                                        ; implicit-def: $vgpr156
                                        ; implicit-def: $vgpr160
                                        ; implicit-def: $vgpr164
                                        ; implicit-def: $vgpr168
                                        ; implicit-def: $vgpr67
                                        ; implicit-def: $vgpr66
                                        ; implicit-def: $vgpr65
                                        ; implicit-def: $vgpr64
                                        ; implicit-def: $vgpr63
                                        ; implicit-def: $vgpr62
	s_movk_i32 s16, 0x1000
.LBB1759_690:                           ;   in Loop: Header=BB1759_687 Depth=2
	s_wait_xcnt 0x0
	v_lshl_add_u64 v[60:61], s[42:43], 1, v[26:27]
	s_wait_loadcnt 0xd
	v_dual_mov_b32 v141, -1 :: v_dual_mov_b32 v140, -1
	s_mov_b32 s15, exec_lo
	v_cmpx_gt_u32_e64 s53, v100
	s_cbranch_execz .LBB1759_692
; %bb.691:                              ;   in Loop: Header=BB1759_687 Depth=2
	global_load_u16 v140, v[60:61], off
.LBB1759_692:                           ;   in Loop: Header=BB1759_687 Depth=2
	s_wait_xcnt 0x0
	s_or_b32 exec_lo, exec_lo, s15
	s_delay_alu instid0(SALU_CYCLE_1)
	s_mov_b32 s15, exec_lo
	v_cmpx_gt_u32_e64 s53, v103
	s_cbranch_execz .LBB1759_694
; %bb.693:                              ;   in Loop: Header=BB1759_687 Depth=2
	global_load_u16 v141, v[60:61], off offset:64
.LBB1759_694:                           ;   in Loop: Header=BB1759_687 Depth=2
	s_wait_xcnt 0x0
	s_or_b32 exec_lo, exec_lo, s15
	s_wait_loadcnt 0xb
	v_dual_mov_b32 v148, -1 :: v_dual_mov_b32 v144, -1
	s_mov_b32 s15, exec_lo
	v_cmpx_gt_u32_e64 s53, v104
	s_cbranch_execz .LBB1759_696
; %bb.695:                              ;   in Loop: Header=BB1759_687 Depth=2
	global_load_u16 v144, v[60:61], off offset:128
.LBB1759_696:                           ;   in Loop: Header=BB1759_687 Depth=2
	s_wait_xcnt 0x0
	s_or_b32 exec_lo, exec_lo, s15
	s_delay_alu instid0(SALU_CYCLE_1)
	s_mov_b32 s15, exec_lo
	v_cmpx_gt_u32_e64 s53, v105
	s_cbranch_execz .LBB1759_698
; %bb.697:                              ;   in Loop: Header=BB1759_687 Depth=2
	global_load_u16 v148, v[60:61], off offset:192
.LBB1759_698:                           ;   in Loop: Header=BB1759_687 Depth=2
	s_wait_xcnt 0x0
	s_or_b32 exec_lo, exec_lo, s15
	s_wait_loadcnt 0x9
	v_dual_mov_b32 v156, -1 :: v_dual_mov_b32 v152, -1
	s_mov_b32 s15, exec_lo
	v_cmpx_gt_u32_e64 s53, v106
	s_cbranch_execz .LBB1759_700
; %bb.699:                              ;   in Loop: Header=BB1759_687 Depth=2
	global_load_u16 v152, v[60:61], off offset:256
.LBB1759_700:                           ;   in Loop: Header=BB1759_687 Depth=2
	;; [unrolled: 19-line block ×6, first 2 shown]
	s_wait_xcnt 0x0
	s_or_b32 exec_lo, exec_lo, s15
	s_delay_alu instid0(SALU_CYCLE_1)
	s_mov_b32 s15, exec_lo
	v_cmpx_gt_u32_e64 s53, v115
	s_cbranch_execz .LBB1759_718
; %bb.717:                              ;   in Loop: Header=BB1759_687 Depth=2
	global_load_u16 v63, v[60:61], off offset:832
.LBB1759_718:                           ;   in Loop: Header=BB1759_687 Depth=2
	s_wait_xcnt 0x0
	s_or_b32 exec_lo, exec_lo, s15
	s_wait_loadcnt 0x0
	v_mov_b32_e32 v62, -1
	s_mov_b32 s15, exec_lo
	v_cmpx_gt_u32_e64 s53, v116
	s_cbranch_execz .LBB1759_720
; %bb.719:                              ;   in Loop: Header=BB1759_687 Depth=2
	global_load_u16 v62, v[60:61], off offset:896
.LBB1759_720:                           ;   in Loop: Header=BB1759_687 Depth=2
	s_wait_xcnt 0x0
	s_or_b32 exec_lo, exec_lo, s15
	v_cmp_gt_u32_e64 s15, s53, v117
	s_sub_co_i32 s16, s51, s42
.LBB1759_721:                           ;   in Loop: Header=BB1759_687 Depth=2
	s_wait_xcnt 0x0
	v_dual_mov_b32 v60, -1 :: v_dual_mov_b32 v139, s53
	s_and_saveexec_b32 s17, s15
	s_cbranch_execz .LBB1759_723
; %bb.722:                              ;   in Loop: Header=BB1759_687 Depth=2
	v_lshl_add_u64 v[60:61], s[42:43], 1, v[26:27]
	v_mov_b32_e32 v139, s16
	global_load_u16 v60, v[60:61], off offset:960
.LBB1759_723:                           ;   in Loop: Header=BB1759_687 Depth=2
	s_wait_xcnt 0x0
	s_or_b32 exec_lo, exec_lo, s17
	s_wait_loadcnt 0xe
	v_cmp_gt_i16_e64 vcc_lo, 0, v140
	ds_store_2addr_b32 v121, v5, v5 offset1:1
	ds_store_2addr_b32 v118, v5, v5 offset1:1
	;; [unrolled: 1-line block ×4, first 2 shown]
	ds_store_b32 v91, v5 offset:1088
	s_wait_loadcnt_dscnt 0x0
	s_barrier_signal -1
	v_cndmask_b32_e64 v61, 0x7fff, 0, vcc_lo
	s_barrier_wait -1
	; wave barrier
	s_delay_alu instid0(VALU_DEP_1) | instskip(NEXT) | instid1(VALU_DEP_1)
	v_xor_b32_e32 v140, v61, v140
	v_cmp_ne_u16_e64 vcc_lo, 0x8000, v140
	v_cndmask_b32_e32 v61, 0x7fff, v140, vcc_lo
	s_delay_alu instid0(VALU_DEP_1) | instskip(NEXT) | instid1(VALU_DEP_1)
	v_and_b32_e32 v61, 0xffff, v61
	v_lshrrev_b32_e32 v61, s49, v61
	s_delay_alu instid0(VALU_DEP_1) | instskip(SKIP_1) | instid1(VALU_DEP_2)
	v_bitop3_b32 v142, v61, 1, s52 bitop3:0x80
	v_and_b32_e32 v143, s52, v61
	v_add_co_u32 v61, s15, v142, -1
	s_delay_alu instid0(VALU_DEP_1) | instskip(NEXT) | instid1(VALU_DEP_3)
	v_cndmask_b32_e64 v142, 0, 1, s15
	v_lshlrev_b32_e32 v145, 30, v143
	s_delay_alu instid0(VALU_DEP_2) | instskip(NEXT) | instid1(VALU_DEP_2)
	v_cmp_ne_u32_e32 vcc_lo, 0, v142
	v_not_b32_e32 v142, v145
	s_delay_alu instid0(VALU_DEP_1) | instskip(SKIP_3) | instid1(VALU_DEP_4)
	v_dual_ashrrev_i32 v142, 31, v142 :: v_dual_lshlrev_b32 v146, 29, v143
	v_dual_lshlrev_b32 v147, 28, v143 :: v_dual_lshlrev_b32 v149, 27, v143
	v_lshlrev_b32_e32 v150, 26, v143
	v_cmp_gt_i32_e64 s15, 0, v145
	v_cmp_gt_i32_e64 s16, 0, v146
	v_not_b32_e32 v145, v146
	v_not_b32_e32 v146, v147
	v_dual_lshlrev_b32 v151, 25, v143 :: v_dual_lshlrev_b32 v153, 24, v143
	v_cmp_gt_i32_e64 s17, 0, v147
	v_cmp_gt_i32_e64 s18, 0, v149
	v_not_b32_e32 v147, v149
	v_not_b32_e32 v149, v150
	v_dual_ashrrev_i32 v146, 31, v146 :: v_dual_bitop2_b32 v61, vcc_lo, v61 bitop3:0x14
	v_dual_ashrrev_i32 v145, 31, v145 :: v_dual_bitop2_b32 v142, s15, v142 bitop3:0x14
	v_cmp_gt_i32_e64 s19, 0, v150
	v_cmp_gt_i32_e64 s20, 0, v151
	v_not_b32_e32 v150, v151
	v_not_b32_e32 v151, v153
	v_dual_ashrrev_i32 v147, 31, v147 :: v_dual_ashrrev_i32 v149, 31, v149
	v_xor_b32_e32 v145, s16, v145
	v_xor_b32_e32 v146, s17, v146
	v_bitop3_b32 v61, v61, v142, exec_lo bitop3:0x80
	v_cmp_gt_i32_e64 s21, 0, v153
	v_dual_ashrrev_i32 v142, 31, v150 :: v_dual_ashrrev_i32 v150, 31, v151
	v_xor_b32_e32 v147, s18, v147
	s_delay_alu instid0(VALU_DEP_4) | instskip(SKIP_3) | instid1(VALU_DEP_3)
	v_bitop3_b32 v61, v61, v146, v145 bitop3:0x80
	v_mul_u32_u24_e32 v143, 36, v143
	v_xor_b32_e32 v149, s19, v149
	v_xor_b32_e32 v142, s20, v142
	v_dual_add_nc_u32 v143, v23, v143 :: v_dual_bitop2_b32 v145, s21, v150 bitop3:0x14
	s_delay_alu instid0(VALU_DEP_3) | instskip(NEXT) | instid1(VALU_DEP_1)
	v_bitop3_b32 v61, v61, v149, v147 bitop3:0x80
	v_bitop3_b32 v61, v61, v145, v142 bitop3:0x80
	s_delay_alu instid0(VALU_DEP_1) | instskip(SKIP_1) | instid1(VALU_DEP_2)
	v_mbcnt_lo_u32_b32 v142, v61, 0
	v_cmp_ne_u32_e64 s15, 0, v61
	v_cmp_eq_u32_e32 vcc_lo, 0, v142
	s_and_b32 s16, s15, vcc_lo
	s_delay_alu instid0(SALU_CYCLE_1)
	s_and_saveexec_b32 s15, s16
; %bb.724:                              ;   in Loop: Header=BB1759_687 Depth=2
	v_bcnt_u32_b32 v61, v61, 0
	ds_store_b32 v143, v61 offset:1056
; %bb.725:                              ;   in Loop: Header=BB1759_687 Depth=2
	s_or_b32 exec_lo, exec_lo, s15
	v_cmp_gt_i16_e64 vcc_lo, 0, v141
	; wave barrier
	s_delay_alu instid0(VALU_DEP_1) | instskip(NEXT) | instid1(VALU_DEP_1)
	v_cndmask_b32_e64 v61, 0x7fff, 0, vcc_lo
	v_xor_b32_e32 v141, v61, v141
	s_delay_alu instid0(VALU_DEP_1) | instskip(SKIP_1) | instid1(VALU_DEP_1)
	v_cmp_ne_u16_e64 vcc_lo, 0x8000, v141
	v_cndmask_b32_e32 v61, 0x7fff, v141, vcc_lo
	v_and_b32_e32 v61, 0xffff, v61
	s_delay_alu instid0(VALU_DEP_1) | instskip(NEXT) | instid1(VALU_DEP_1)
	v_lshrrev_b32_e32 v61, s49, v61
	v_and_b32_e32 v147, s52, v61
	s_delay_alu instid0(VALU_DEP_1) | instskip(SKIP_2) | instid1(VALU_DEP_3)
	v_lshlrev_b32_e32 v149, 29, v147
	v_bitop3_b32 v145, v61, 1, s52 bitop3:0x80
	v_lshlrev_b32_e32 v146, 30, v147
	v_cmp_gt_i32_e64 s16, 0, v149
	s_delay_alu instid0(VALU_DEP_3) | instskip(NEXT) | instid1(VALU_DEP_1)
	v_add_co_u32 v61, s15, v145, -1
	v_cndmask_b32_e64 v145, 0, 1, s15
	s_delay_alu instid0(VALU_DEP_4) | instskip(NEXT) | instid1(VALU_DEP_2)
	v_cmp_gt_i32_e64 s15, 0, v146
	v_cmp_ne_u32_e32 vcc_lo, 0, v145
	v_not_b32_e32 v145, v146
	v_not_b32_e32 v146, v149
	s_delay_alu instid0(VALU_DEP_1) | instskip(SKIP_2) | instid1(VALU_DEP_3)
	v_dual_ashrrev_i32 v146, 31, v146 :: v_dual_lshlrev_b32 v150, 28, v147
	v_dual_lshlrev_b32 v151, 27, v147 :: v_dual_lshlrev_b32 v153, 26, v147
	v_dual_lshlrev_b32 v154, 25, v147 :: v_dual_lshlrev_b32 v155, 24, v147
	v_cmp_gt_i32_e64 s17, 0, v150
	v_not_b32_e32 v149, v150
	s_delay_alu instid0(VALU_DEP_4)
	v_not_b32_e32 v150, v151
	v_ashrrev_i32_e32 v145, 31, v145
	v_cmp_gt_i32_e64 s18, 0, v151
	v_cmp_gt_i32_e64 s19, 0, v153
	v_not_b32_e32 v151, v153
	v_cmp_gt_i32_e64 s20, 0, v154
	v_not_b32_e32 v153, v154
	v_not_b32_e32 v154, v155
	s_delay_alu instid0(VALU_DEP_4) | instskip(SKIP_3) | instid1(VALU_DEP_3)
	v_dual_ashrrev_i32 v151, 31, v151 :: v_dual_bitop2_b32 v61, vcc_lo, v61 bitop3:0x14
	v_dual_ashrrev_i32 v149, 31, v149 :: v_dual_bitop2_b32 v146, s16, v146 bitop3:0x14
	v_dual_ashrrev_i32 v150, 31, v150 :: v_dual_bitop2_b32 v145, s15, v145 bitop3:0x14
	v_cmp_gt_i32_e64 s21, 0, v155
	v_xor_b32_e32 v149, s17, v149
	v_xor_b32_e32 v151, s19, v151
	s_delay_alu instid0(VALU_DEP_4) | instskip(SKIP_2) | instid1(VALU_DEP_2)
	v_xor_b32_e32 v150, s18, v150
	v_bitop3_b32 v61, v61, v145, exec_lo bitop3:0x80
	v_dual_ashrrev_i32 v145, 31, v153 :: v_dual_ashrrev_i32 v153, 31, v154
	v_bitop3_b32 v61, v61, v149, v146 bitop3:0x80
	v_mad_u32_u24 v146, v147, 36, v23
	s_delay_alu instid0(VALU_DEP_3) | instskip(NEXT) | instid1(VALU_DEP_4)
	v_xor_b32_e32 v149, s20, v145
	v_xor_b32_e32 v153, s21, v153
	v_mul_u32_u24_e32 v147, 36, v147
	v_bitop3_b32 v61, v61, v151, v150 bitop3:0x80
	ds_load_b32 v145, v146 offset:1056
	; wave barrier
	v_add_nc_u32_e32 v147, v23, v147
	v_bitop3_b32 v61, v61, v153, v149 bitop3:0x80
	s_delay_alu instid0(VALU_DEP_1) | instskip(SKIP_1) | instid1(VALU_DEP_2)
	v_mbcnt_lo_u32_b32 v146, v61, 0
	v_cmp_ne_u32_e64 s15, 0, v61
	v_cmp_eq_u32_e32 vcc_lo, 0, v146
	s_and_b32 s16, s15, vcc_lo
	s_delay_alu instid0(SALU_CYCLE_1)
	s_and_saveexec_b32 s15, s16
	s_cbranch_execz .LBB1759_727
; %bb.726:                              ;   in Loop: Header=BB1759_687 Depth=2
	s_wait_dscnt 0x0
	v_bcnt_u32_b32 v61, v61, v145
	ds_store_b32 v147, v61 offset:1056
.LBB1759_727:                           ;   in Loop: Header=BB1759_687 Depth=2
	s_or_b32 exec_lo, exec_lo, s15
	v_cmp_gt_i16_e64 vcc_lo, 0, v144
	; wave barrier
	s_delay_alu instid0(VALU_DEP_1) | instskip(NEXT) | instid1(VALU_DEP_1)
	v_cndmask_b32_e64 v61, 0x7fff, 0, vcc_lo
	v_xor_b32_e32 v144, v61, v144
	s_delay_alu instid0(VALU_DEP_1) | instskip(SKIP_1) | instid1(VALU_DEP_1)
	v_cmp_ne_u16_e64 vcc_lo, 0x8000, v144
	v_cndmask_b32_e32 v61, 0x7fff, v144, vcc_lo
	v_and_b32_e32 v61, 0xffff, v61
	s_delay_alu instid0(VALU_DEP_1) | instskip(NEXT) | instid1(VALU_DEP_1)
	v_lshrrev_b32_e32 v61, s49, v61
	v_bitop3_b32 v149, v61, 1, s52 bitop3:0x80
	v_and_b32_e32 v151, s52, v61
	s_delay_alu instid0(VALU_DEP_2) | instskip(NEXT) | instid1(VALU_DEP_1)
	v_add_co_u32 v61, s15, v149, -1
	v_cndmask_b32_e64 v149, 0, 1, s15
	s_delay_alu instid0(VALU_DEP_3) | instskip(NEXT) | instid1(VALU_DEP_2)
	v_dual_lshlrev_b32 v150, 30, v151 :: v_dual_lshlrev_b32 v153, 29, v151
	v_cmp_ne_u32_e32 vcc_lo, 0, v149
	s_delay_alu instid0(VALU_DEP_2) | instskip(SKIP_1) | instid1(VALU_DEP_4)
	v_cmp_gt_i32_e64 s15, 0, v150
	v_not_b32_e32 v149, v150
	v_not_b32_e32 v150, v153
	s_delay_alu instid0(VALU_DEP_1) | instskip(SKIP_3) | instid1(VALU_DEP_4)
	v_dual_ashrrev_i32 v150, 31, v150 :: v_dual_lshlrev_b32 v154, 28, v151
	v_dual_lshlrev_b32 v155, 27, v151 :: v_dual_lshlrev_b32 v157, 26, v151
	v_dual_lshlrev_b32 v158, 25, v151 :: v_dual_lshlrev_b32 v159, 24, v151
	v_cmp_gt_i32_e64 s16, 0, v153
	v_cmp_gt_i32_e64 s17, 0, v154
	v_not_b32_e32 v153, v154
	v_not_b32_e32 v154, v155
	v_ashrrev_i32_e32 v149, 31, v149
	v_cmp_gt_i32_e64 s18, 0, v155
	v_cmp_gt_i32_e64 s19, 0, v157
	v_not_b32_e32 v155, v157
	v_cmp_gt_i32_e64 s20, 0, v158
	v_not_b32_e32 v157, v158
	v_not_b32_e32 v158, v159
	s_delay_alu instid0(VALU_DEP_4) | instskip(SKIP_3) | instid1(VALU_DEP_3)
	v_dual_ashrrev_i32 v155, 31, v155 :: v_dual_bitop2_b32 v61, vcc_lo, v61 bitop3:0x14
	v_dual_ashrrev_i32 v153, 31, v153 :: v_dual_bitop2_b32 v150, s16, v150 bitop3:0x14
	v_dual_ashrrev_i32 v154, 31, v154 :: v_dual_bitop2_b32 v149, s15, v149 bitop3:0x14
	v_cmp_gt_i32_e64 s21, 0, v159
	v_xor_b32_e32 v153, s17, v153
	v_xor_b32_e32 v155, s19, v155
	s_delay_alu instid0(VALU_DEP_4) | instskip(SKIP_2) | instid1(VALU_DEP_2)
	v_xor_b32_e32 v154, s18, v154
	v_bitop3_b32 v61, v61, v149, exec_lo bitop3:0x80
	v_dual_ashrrev_i32 v149, 31, v157 :: v_dual_ashrrev_i32 v157, 31, v158
	v_bitop3_b32 v61, v61, v153, v150 bitop3:0x80
	v_mad_u32_u24 v150, v151, 36, v23
	s_delay_alu instid0(VALU_DEP_3) | instskip(NEXT) | instid1(VALU_DEP_4)
	v_xor_b32_e32 v153, s20, v149
	v_xor_b32_e32 v157, s21, v157
	v_mul_u32_u24_e32 v151, 36, v151
	v_bitop3_b32 v61, v61, v155, v154 bitop3:0x80
	ds_load_b32 v149, v150 offset:1056
	; wave barrier
	v_add_nc_u32_e32 v151, v23, v151
	v_bitop3_b32 v61, v61, v157, v153 bitop3:0x80
	s_delay_alu instid0(VALU_DEP_1) | instskip(SKIP_1) | instid1(VALU_DEP_2)
	v_mbcnt_lo_u32_b32 v150, v61, 0
	v_cmp_ne_u32_e64 s15, 0, v61
	v_cmp_eq_u32_e32 vcc_lo, 0, v150
	s_and_b32 s16, s15, vcc_lo
	s_delay_alu instid0(SALU_CYCLE_1)
	s_and_saveexec_b32 s15, s16
	s_cbranch_execz .LBB1759_729
; %bb.728:                              ;   in Loop: Header=BB1759_687 Depth=2
	s_wait_dscnt 0x0
	v_bcnt_u32_b32 v61, v61, v149
	ds_store_b32 v151, v61 offset:1056
.LBB1759_729:                           ;   in Loop: Header=BB1759_687 Depth=2
	s_or_b32 exec_lo, exec_lo, s15
	v_cmp_gt_i16_e64 vcc_lo, 0, v148
	; wave barrier
	s_delay_alu instid0(VALU_DEP_1) | instskip(NEXT) | instid1(VALU_DEP_1)
	v_cndmask_b32_e64 v61, 0x7fff, 0, vcc_lo
	v_xor_b32_e32 v148, v61, v148
	s_delay_alu instid0(VALU_DEP_1) | instskip(SKIP_1) | instid1(VALU_DEP_1)
	v_cmp_ne_u16_e64 vcc_lo, 0x8000, v148
	v_cndmask_b32_e32 v61, 0x7fff, v148, vcc_lo
	v_and_b32_e32 v61, 0xffff, v61
	s_delay_alu instid0(VALU_DEP_1) | instskip(NEXT) | instid1(VALU_DEP_1)
	v_lshrrev_b32_e32 v61, s49, v61
	v_bitop3_b32 v153, v61, 1, s52 bitop3:0x80
	v_and_b32_e32 v155, s52, v61
	s_delay_alu instid0(VALU_DEP_2) | instskip(NEXT) | instid1(VALU_DEP_1)
	v_add_co_u32 v61, s15, v153, -1
	v_cndmask_b32_e64 v153, 0, 1, s15
	s_delay_alu instid0(VALU_DEP_3) | instskip(NEXT) | instid1(VALU_DEP_2)
	v_dual_lshlrev_b32 v154, 30, v155 :: v_dual_lshlrev_b32 v157, 29, v155
	v_cmp_ne_u32_e32 vcc_lo, 0, v153
	s_delay_alu instid0(VALU_DEP_2) | instskip(SKIP_1) | instid1(VALU_DEP_4)
	v_cmp_gt_i32_e64 s15, 0, v154
	v_not_b32_e32 v153, v154
	v_not_b32_e32 v154, v157
	s_delay_alu instid0(VALU_DEP_1) | instskip(SKIP_3) | instid1(VALU_DEP_4)
	v_dual_ashrrev_i32 v154, 31, v154 :: v_dual_lshlrev_b32 v158, 28, v155
	v_dual_lshlrev_b32 v159, 27, v155 :: v_dual_lshlrev_b32 v161, 26, v155
	v_dual_lshlrev_b32 v162, 25, v155 :: v_dual_lshlrev_b32 v163, 24, v155
	v_cmp_gt_i32_e64 s16, 0, v157
	v_cmp_gt_i32_e64 s17, 0, v158
	v_not_b32_e32 v157, v158
	v_not_b32_e32 v158, v159
	v_ashrrev_i32_e32 v153, 31, v153
	v_cmp_gt_i32_e64 s18, 0, v159
	v_cmp_gt_i32_e64 s19, 0, v161
	v_not_b32_e32 v159, v161
	v_cmp_gt_i32_e64 s20, 0, v162
	v_not_b32_e32 v161, v162
	v_not_b32_e32 v162, v163
	s_delay_alu instid0(VALU_DEP_4) | instskip(SKIP_3) | instid1(VALU_DEP_3)
	v_dual_ashrrev_i32 v159, 31, v159 :: v_dual_bitop2_b32 v61, vcc_lo, v61 bitop3:0x14
	v_dual_ashrrev_i32 v157, 31, v157 :: v_dual_bitop2_b32 v154, s16, v154 bitop3:0x14
	v_dual_ashrrev_i32 v158, 31, v158 :: v_dual_bitop2_b32 v153, s15, v153 bitop3:0x14
	v_cmp_gt_i32_e64 s21, 0, v163
	v_xor_b32_e32 v157, s17, v157
	v_xor_b32_e32 v159, s19, v159
	s_delay_alu instid0(VALU_DEP_4) | instskip(SKIP_2) | instid1(VALU_DEP_2)
	v_xor_b32_e32 v158, s18, v158
	v_bitop3_b32 v61, v61, v153, exec_lo bitop3:0x80
	v_dual_ashrrev_i32 v153, 31, v161 :: v_dual_ashrrev_i32 v161, 31, v162
	v_bitop3_b32 v61, v61, v157, v154 bitop3:0x80
	v_mad_u32_u24 v154, v155, 36, v23
	s_delay_alu instid0(VALU_DEP_3) | instskip(NEXT) | instid1(VALU_DEP_4)
	v_xor_b32_e32 v157, s20, v153
	v_xor_b32_e32 v161, s21, v161
	v_mul_u32_u24_e32 v155, 36, v155
	v_bitop3_b32 v61, v61, v159, v158 bitop3:0x80
	ds_load_b32 v153, v154 offset:1056
	; wave barrier
	v_add_nc_u32_e32 v155, v23, v155
	v_bitop3_b32 v61, v61, v161, v157 bitop3:0x80
	s_delay_alu instid0(VALU_DEP_1) | instskip(SKIP_1) | instid1(VALU_DEP_2)
	v_mbcnt_lo_u32_b32 v154, v61, 0
	v_cmp_ne_u32_e64 s15, 0, v61
	v_cmp_eq_u32_e32 vcc_lo, 0, v154
	s_and_b32 s16, s15, vcc_lo
	s_delay_alu instid0(SALU_CYCLE_1)
	s_and_saveexec_b32 s15, s16
	s_cbranch_execz .LBB1759_731
; %bb.730:                              ;   in Loop: Header=BB1759_687 Depth=2
	s_wait_dscnt 0x0
	v_bcnt_u32_b32 v61, v61, v153
	ds_store_b32 v155, v61 offset:1056
.LBB1759_731:                           ;   in Loop: Header=BB1759_687 Depth=2
	s_or_b32 exec_lo, exec_lo, s15
	v_cmp_gt_i16_e64 vcc_lo, 0, v152
	; wave barrier
	s_delay_alu instid0(VALU_DEP_1) | instskip(NEXT) | instid1(VALU_DEP_1)
	v_cndmask_b32_e64 v61, 0x7fff, 0, vcc_lo
	v_xor_b32_e32 v152, v61, v152
	s_delay_alu instid0(VALU_DEP_1) | instskip(SKIP_1) | instid1(VALU_DEP_1)
	v_cmp_ne_u16_e64 vcc_lo, 0x8000, v152
	v_cndmask_b32_e32 v61, 0x7fff, v152, vcc_lo
	v_and_b32_e32 v61, 0xffff, v61
	s_delay_alu instid0(VALU_DEP_1) | instskip(NEXT) | instid1(VALU_DEP_1)
	v_lshrrev_b32_e32 v61, s49, v61
	v_bitop3_b32 v157, v61, 1, s52 bitop3:0x80
	v_and_b32_e32 v159, s52, v61
	s_delay_alu instid0(VALU_DEP_2) | instskip(NEXT) | instid1(VALU_DEP_1)
	v_add_co_u32 v61, s15, v157, -1
	v_cndmask_b32_e64 v157, 0, 1, s15
	s_delay_alu instid0(VALU_DEP_3) | instskip(NEXT) | instid1(VALU_DEP_2)
	v_dual_lshlrev_b32 v158, 30, v159 :: v_dual_lshlrev_b32 v161, 29, v159
	v_cmp_ne_u32_e32 vcc_lo, 0, v157
	s_delay_alu instid0(VALU_DEP_2) | instskip(SKIP_1) | instid1(VALU_DEP_4)
	v_cmp_gt_i32_e64 s15, 0, v158
	v_not_b32_e32 v157, v158
	v_not_b32_e32 v158, v161
	s_delay_alu instid0(VALU_DEP_1) | instskip(SKIP_3) | instid1(VALU_DEP_4)
	v_dual_ashrrev_i32 v158, 31, v158 :: v_dual_lshlrev_b32 v162, 28, v159
	v_dual_lshlrev_b32 v163, 27, v159 :: v_dual_lshlrev_b32 v165, 26, v159
	v_dual_lshlrev_b32 v166, 25, v159 :: v_dual_lshlrev_b32 v167, 24, v159
	v_cmp_gt_i32_e64 s16, 0, v161
	v_cmp_gt_i32_e64 s17, 0, v162
	v_not_b32_e32 v161, v162
	v_not_b32_e32 v162, v163
	v_ashrrev_i32_e32 v157, 31, v157
	v_cmp_gt_i32_e64 s18, 0, v163
	v_cmp_gt_i32_e64 s19, 0, v165
	v_not_b32_e32 v163, v165
	v_cmp_gt_i32_e64 s20, 0, v166
	v_not_b32_e32 v165, v166
	v_not_b32_e32 v166, v167
	s_delay_alu instid0(VALU_DEP_4) | instskip(SKIP_3) | instid1(VALU_DEP_3)
	v_dual_ashrrev_i32 v163, 31, v163 :: v_dual_bitop2_b32 v61, vcc_lo, v61 bitop3:0x14
	v_dual_ashrrev_i32 v161, 31, v161 :: v_dual_bitop2_b32 v158, s16, v158 bitop3:0x14
	v_dual_ashrrev_i32 v162, 31, v162 :: v_dual_bitop2_b32 v157, s15, v157 bitop3:0x14
	v_cmp_gt_i32_e64 s21, 0, v167
	v_xor_b32_e32 v161, s17, v161
	v_xor_b32_e32 v163, s19, v163
	s_delay_alu instid0(VALU_DEP_4) | instskip(SKIP_2) | instid1(VALU_DEP_2)
	v_xor_b32_e32 v162, s18, v162
	v_bitop3_b32 v61, v61, v157, exec_lo bitop3:0x80
	v_dual_ashrrev_i32 v157, 31, v165 :: v_dual_ashrrev_i32 v165, 31, v166
	v_bitop3_b32 v61, v61, v161, v158 bitop3:0x80
	v_mad_u32_u24 v158, v159, 36, v23
	s_delay_alu instid0(VALU_DEP_3) | instskip(NEXT) | instid1(VALU_DEP_4)
	v_xor_b32_e32 v161, s20, v157
	v_xor_b32_e32 v165, s21, v165
	v_mul_u32_u24_e32 v159, 36, v159
	v_bitop3_b32 v61, v61, v163, v162 bitop3:0x80
	ds_load_b32 v157, v158 offset:1056
	; wave barrier
	v_add_nc_u32_e32 v159, v23, v159
	v_bitop3_b32 v61, v61, v165, v161 bitop3:0x80
	s_delay_alu instid0(VALU_DEP_1) | instskip(SKIP_1) | instid1(VALU_DEP_2)
	v_mbcnt_lo_u32_b32 v158, v61, 0
	v_cmp_ne_u32_e64 s15, 0, v61
	v_cmp_eq_u32_e32 vcc_lo, 0, v158
	s_and_b32 s16, s15, vcc_lo
	s_delay_alu instid0(SALU_CYCLE_1)
	s_and_saveexec_b32 s15, s16
	s_cbranch_execz .LBB1759_733
; %bb.732:                              ;   in Loop: Header=BB1759_687 Depth=2
	s_wait_dscnt 0x0
	v_bcnt_u32_b32 v61, v61, v157
	ds_store_b32 v159, v61 offset:1056
.LBB1759_733:                           ;   in Loop: Header=BB1759_687 Depth=2
	s_or_b32 exec_lo, exec_lo, s15
	v_cmp_gt_i16_e64 vcc_lo, 0, v156
	; wave barrier
	s_delay_alu instid0(VALU_DEP_1) | instskip(NEXT) | instid1(VALU_DEP_1)
	v_cndmask_b32_e64 v61, 0x7fff, 0, vcc_lo
	v_xor_b32_e32 v156, v61, v156
	s_delay_alu instid0(VALU_DEP_1) | instskip(SKIP_1) | instid1(VALU_DEP_1)
	v_cmp_ne_u16_e64 vcc_lo, 0x8000, v156
	v_cndmask_b32_e32 v61, 0x7fff, v156, vcc_lo
	v_and_b32_e32 v61, 0xffff, v61
	s_delay_alu instid0(VALU_DEP_1) | instskip(NEXT) | instid1(VALU_DEP_1)
	v_lshrrev_b32_e32 v61, s49, v61
	v_bitop3_b32 v161, v61, 1, s52 bitop3:0x80
	v_and_b32_e32 v163, s52, v61
	s_delay_alu instid0(VALU_DEP_2) | instskip(NEXT) | instid1(VALU_DEP_1)
	v_add_co_u32 v61, s15, v161, -1
	v_cndmask_b32_e64 v161, 0, 1, s15
	s_delay_alu instid0(VALU_DEP_3) | instskip(NEXT) | instid1(VALU_DEP_2)
	v_dual_lshlrev_b32 v162, 30, v163 :: v_dual_lshlrev_b32 v165, 29, v163
	v_cmp_ne_u32_e32 vcc_lo, 0, v161
	s_delay_alu instid0(VALU_DEP_2) | instskip(SKIP_1) | instid1(VALU_DEP_4)
	v_cmp_gt_i32_e64 s15, 0, v162
	v_not_b32_e32 v161, v162
	v_not_b32_e32 v162, v165
	s_delay_alu instid0(VALU_DEP_1) | instskip(SKIP_3) | instid1(VALU_DEP_4)
	v_dual_ashrrev_i32 v162, 31, v162 :: v_dual_lshlrev_b32 v166, 28, v163
	v_dual_lshlrev_b32 v167, 27, v163 :: v_dual_lshlrev_b32 v169, 26, v163
	v_dual_lshlrev_b32 v170, 25, v163 :: v_dual_lshlrev_b32 v171, 24, v163
	v_cmp_gt_i32_e64 s16, 0, v165
	v_cmp_gt_i32_e64 s17, 0, v166
	v_not_b32_e32 v165, v166
	v_not_b32_e32 v166, v167
	v_ashrrev_i32_e32 v161, 31, v161
	v_cmp_gt_i32_e64 s18, 0, v167
	v_cmp_gt_i32_e64 s19, 0, v169
	v_not_b32_e32 v167, v169
	v_cmp_gt_i32_e64 s20, 0, v170
	v_not_b32_e32 v169, v170
	v_not_b32_e32 v170, v171
	s_delay_alu instid0(VALU_DEP_4) | instskip(SKIP_3) | instid1(VALU_DEP_3)
	v_dual_ashrrev_i32 v167, 31, v167 :: v_dual_bitop2_b32 v61, vcc_lo, v61 bitop3:0x14
	v_dual_ashrrev_i32 v165, 31, v165 :: v_dual_bitop2_b32 v162, s16, v162 bitop3:0x14
	v_dual_ashrrev_i32 v166, 31, v166 :: v_dual_bitop2_b32 v161, s15, v161 bitop3:0x14
	v_cmp_gt_i32_e64 s21, 0, v171
	v_xor_b32_e32 v165, s17, v165
	v_xor_b32_e32 v167, s19, v167
	s_delay_alu instid0(VALU_DEP_4) | instskip(SKIP_2) | instid1(VALU_DEP_2)
	v_xor_b32_e32 v166, s18, v166
	v_bitop3_b32 v61, v61, v161, exec_lo bitop3:0x80
	v_dual_ashrrev_i32 v161, 31, v169 :: v_dual_ashrrev_i32 v169, 31, v170
	v_bitop3_b32 v61, v61, v165, v162 bitop3:0x80
	v_mad_u32_u24 v162, v163, 36, v23
	s_delay_alu instid0(VALU_DEP_3) | instskip(NEXT) | instid1(VALU_DEP_4)
	v_xor_b32_e32 v165, s20, v161
	v_xor_b32_e32 v169, s21, v169
	v_mul_u32_u24_e32 v163, 36, v163
	v_bitop3_b32 v61, v61, v167, v166 bitop3:0x80
	ds_load_b32 v161, v162 offset:1056
	; wave barrier
	v_add_nc_u32_e32 v163, v23, v163
	v_bitop3_b32 v61, v61, v169, v165 bitop3:0x80
	s_delay_alu instid0(VALU_DEP_1) | instskip(SKIP_1) | instid1(VALU_DEP_2)
	v_mbcnt_lo_u32_b32 v162, v61, 0
	v_cmp_ne_u32_e64 s15, 0, v61
	v_cmp_eq_u32_e32 vcc_lo, 0, v162
	s_and_b32 s16, s15, vcc_lo
	s_delay_alu instid0(SALU_CYCLE_1)
	s_and_saveexec_b32 s15, s16
	s_cbranch_execz .LBB1759_735
; %bb.734:                              ;   in Loop: Header=BB1759_687 Depth=2
	s_wait_dscnt 0x0
	v_bcnt_u32_b32 v61, v61, v161
	ds_store_b32 v163, v61 offset:1056
.LBB1759_735:                           ;   in Loop: Header=BB1759_687 Depth=2
	s_or_b32 exec_lo, exec_lo, s15
	v_cmp_gt_i16_e64 vcc_lo, 0, v160
	; wave barrier
	s_delay_alu instid0(VALU_DEP_1) | instskip(NEXT) | instid1(VALU_DEP_1)
	v_cndmask_b32_e64 v61, 0x7fff, 0, vcc_lo
	v_xor_b32_e32 v160, v61, v160
	s_delay_alu instid0(VALU_DEP_1) | instskip(SKIP_1) | instid1(VALU_DEP_1)
	v_cmp_ne_u16_e64 vcc_lo, 0x8000, v160
	v_cndmask_b32_e32 v61, 0x7fff, v160, vcc_lo
	v_and_b32_e32 v61, 0xffff, v61
	s_delay_alu instid0(VALU_DEP_1) | instskip(NEXT) | instid1(VALU_DEP_1)
	v_lshrrev_b32_e32 v61, s49, v61
	v_bitop3_b32 v165, v61, 1, s52 bitop3:0x80
	v_and_b32_e32 v167, s52, v61
	s_delay_alu instid0(VALU_DEP_2) | instskip(NEXT) | instid1(VALU_DEP_1)
	v_add_co_u32 v61, s15, v165, -1
	v_cndmask_b32_e64 v165, 0, 1, s15
	s_delay_alu instid0(VALU_DEP_3) | instskip(NEXT) | instid1(VALU_DEP_2)
	v_dual_lshlrev_b32 v166, 30, v167 :: v_dual_lshlrev_b32 v169, 29, v167
	v_cmp_ne_u32_e32 vcc_lo, 0, v165
	s_delay_alu instid0(VALU_DEP_2) | instskip(SKIP_1) | instid1(VALU_DEP_4)
	v_cmp_gt_i32_e64 s15, 0, v166
	v_not_b32_e32 v165, v166
	v_not_b32_e32 v166, v169
	s_delay_alu instid0(VALU_DEP_1) | instskip(SKIP_3) | instid1(VALU_DEP_4)
	v_dual_ashrrev_i32 v166, 31, v166 :: v_dual_lshlrev_b32 v170, 28, v167
	v_dual_lshlrev_b32 v171, 27, v167 :: v_dual_lshlrev_b32 v172, 26, v167
	v_cmp_gt_i32_e64 s16, 0, v169
	v_dual_lshlrev_b32 v173, 25, v167 :: v_dual_lshlrev_b32 v174, 24, v167
	v_cmp_gt_i32_e64 s17, 0, v170
	v_not_b32_e32 v169, v170
	v_not_b32_e32 v170, v171
	v_ashrrev_i32_e32 v165, 31, v165
	v_cmp_gt_i32_e64 s18, 0, v171
	v_not_b32_e32 v171, v172
	v_xor_b32_e32 v61, vcc_lo, v61
	v_dual_ashrrev_i32 v169, 31, v169 :: v_dual_bitop2_b32 v166, s16, v166 bitop3:0x14
	v_dual_ashrrev_i32 v170, 31, v170 :: v_dual_bitop2_b32 v165, s15, v165 bitop3:0x14
	v_cmp_gt_i32_e64 s19, 0, v172
	v_cmp_gt_i32_e64 s20, 0, v173
	v_not_b32_e32 v172, v173
	v_not_b32_e32 v173, v174
	v_dual_ashrrev_i32 v171, 31, v171 :: v_dual_bitop2_b32 v169, s17, v169 bitop3:0x14
	v_bitop3_b32 v61, v61, v165, exec_lo bitop3:0x80
	v_cmp_gt_i32_e64 s21, 0, v174
	s_delay_alu instid0(VALU_DEP_4)
	v_dual_ashrrev_i32 v165, 31, v172 :: v_dual_ashrrev_i32 v172, 31, v173
	v_xor_b32_e32 v170, s18, v170
	v_xor_b32_e32 v171, s19, v171
	v_bitop3_b32 v61, v61, v169, v166 bitop3:0x80
	v_mad_u32_u24 v166, v167, 36, v23
	v_xor_b32_e32 v169, s20, v165
	v_xor_b32_e32 v172, s21, v172
	v_mul_u32_u24_e32 v167, 36, v167
	v_bitop3_b32 v61, v61, v171, v170 bitop3:0x80
	ds_load_b32 v165, v166 offset:1056
	; wave barrier
	v_add_nc_u32_e32 v167, v23, v167
	v_bitop3_b32 v61, v61, v172, v169 bitop3:0x80
	s_delay_alu instid0(VALU_DEP_1) | instskip(SKIP_1) | instid1(VALU_DEP_2)
	v_mbcnt_lo_u32_b32 v166, v61, 0
	v_cmp_ne_u32_e64 s15, 0, v61
	v_cmp_eq_u32_e32 vcc_lo, 0, v166
	s_and_b32 s16, s15, vcc_lo
	s_delay_alu instid0(SALU_CYCLE_1)
	s_and_saveexec_b32 s15, s16
	s_cbranch_execz .LBB1759_737
; %bb.736:                              ;   in Loop: Header=BB1759_687 Depth=2
	s_wait_dscnt 0x0
	v_bcnt_u32_b32 v61, v61, v165
	ds_store_b32 v167, v61 offset:1056
.LBB1759_737:                           ;   in Loop: Header=BB1759_687 Depth=2
	s_or_b32 exec_lo, exec_lo, s15
	v_cmp_gt_i16_e64 vcc_lo, 0, v164
	; wave barrier
	s_delay_alu instid0(VALU_DEP_1) | instskip(NEXT) | instid1(VALU_DEP_1)
	v_cndmask_b32_e64 v61, 0x7fff, 0, vcc_lo
	v_xor_b32_e32 v164, v61, v164
	s_delay_alu instid0(VALU_DEP_1) | instskip(SKIP_1) | instid1(VALU_DEP_1)
	v_cmp_ne_u16_e64 vcc_lo, 0x8000, v164
	v_cndmask_b32_e32 v61, 0x7fff, v164, vcc_lo
	v_and_b32_e32 v61, 0xffff, v61
	s_delay_alu instid0(VALU_DEP_1) | instskip(NEXT) | instid1(VALU_DEP_1)
	v_lshrrev_b32_e32 v61, s49, v61
	v_bitop3_b32 v169, v61, 1, s52 bitop3:0x80
	v_and_b32_e32 v171, s52, v61
	s_delay_alu instid0(VALU_DEP_2) | instskip(NEXT) | instid1(VALU_DEP_1)
	v_add_co_u32 v61, s15, v169, -1
	v_cndmask_b32_e64 v169, 0, 1, s15
	s_delay_alu instid0(VALU_DEP_3) | instskip(NEXT) | instid1(VALU_DEP_2)
	v_dual_lshlrev_b32 v170, 30, v171 :: v_dual_lshlrev_b32 v172, 29, v171
	v_cmp_ne_u32_e32 vcc_lo, 0, v169
	s_delay_alu instid0(VALU_DEP_2) | instskip(SKIP_1) | instid1(VALU_DEP_4)
	v_cmp_gt_i32_e64 s15, 0, v170
	v_not_b32_e32 v169, v170
	v_not_b32_e32 v170, v172
	s_delay_alu instid0(VALU_DEP_1) | instskip(SKIP_3) | instid1(VALU_DEP_4)
	v_dual_ashrrev_i32 v170, 31, v170 :: v_dual_lshlrev_b32 v173, 28, v171
	v_dual_lshlrev_b32 v174, 27, v171 :: v_dual_lshlrev_b32 v175, 26, v171
	v_dual_lshlrev_b32 v176, 25, v171 :: v_dual_lshlrev_b32 v177, 24, v171
	v_cmp_gt_i32_e64 s16, 0, v172
	v_not_b32_e32 v172, v173
	v_ashrrev_i32_e32 v169, 31, v169
	v_cmp_gt_i32_e64 s17, 0, v173
	v_cmp_gt_i32_e64 s18, 0, v174
	v_not_b32_e32 v173, v174
	v_cmp_gt_i32_e64 s19, 0, v175
	v_not_b32_e32 v174, v175
	;; [unrolled: 2-line block ×3, first 2 shown]
	v_not_b32_e32 v176, v177
	s_delay_alu instid0(VALU_DEP_4) | instskip(SKIP_3) | instid1(VALU_DEP_3)
	v_dual_ashrrev_i32 v174, 31, v174 :: v_dual_bitop2_b32 v61, vcc_lo, v61 bitop3:0x14
	v_dual_ashrrev_i32 v172, 31, v172 :: v_dual_bitop2_b32 v169, s15, v169 bitop3:0x14
	v_dual_ashrrev_i32 v173, 31, v173 :: v_dual_bitop2_b32 v170, s16, v170 bitop3:0x14
	v_cmp_gt_i32_e64 s21, 0, v177
	v_xor_b32_e32 v172, s17, v172
	s_delay_alu instid0(VALU_DEP_4) | instskip(SKIP_2) | instid1(VALU_DEP_3)
	v_bitop3_b32 v61, v61, v169, exec_lo bitop3:0x80
	v_dual_ashrrev_i32 v169, 31, v175 :: v_dual_ashrrev_i32 v175, 31, v176
	v_xor_b32_e32 v174, s19, v174
	v_bitop3_b32 v61, v61, v172, v170 bitop3:0x80
	v_mad_u32_u24 v170, v171, 36, v23
	v_mul_u32_u24_e32 v171, 36, v171
	v_xor_b32_e32 v173, s18, v173
	v_xor_b32_e32 v172, s20, v169
	v_xor_b32_e32 v175, s21, v175
	ds_load_b32 v169, v170 offset:1056
	v_add_nc_u32_e32 v171, v23, v171
	v_bitop3_b32 v61, v61, v174, v173 bitop3:0x80
	; wave barrier
	s_delay_alu instid0(VALU_DEP_1) | instskip(NEXT) | instid1(VALU_DEP_1)
	v_bitop3_b32 v61, v61, v175, v172 bitop3:0x80
	v_mbcnt_lo_u32_b32 v170, v61, 0
	v_cmp_ne_u32_e64 s15, 0, v61
	s_delay_alu instid0(VALU_DEP_2) | instskip(SKIP_1) | instid1(SALU_CYCLE_1)
	v_cmp_eq_u32_e32 vcc_lo, 0, v170
	s_and_b32 s16, s15, vcc_lo
	s_and_saveexec_b32 s15, s16
	s_cbranch_execz .LBB1759_739
; %bb.738:                              ;   in Loop: Header=BB1759_687 Depth=2
	s_wait_dscnt 0x0
	v_bcnt_u32_b32 v61, v61, v169
	ds_store_b32 v171, v61 offset:1056
.LBB1759_739:                           ;   in Loop: Header=BB1759_687 Depth=2
	s_or_b32 exec_lo, exec_lo, s15
	v_cmp_gt_i16_e64 vcc_lo, 0, v168
	; wave barrier
	s_delay_alu instid0(VALU_DEP_1) | instskip(NEXT) | instid1(VALU_DEP_1)
	v_cndmask_b32_e64 v61, 0x7fff, 0, vcc_lo
	v_xor_b32_e32 v168, v61, v168
	s_delay_alu instid0(VALU_DEP_1) | instskip(SKIP_1) | instid1(VALU_DEP_1)
	v_cmp_ne_u16_e64 vcc_lo, 0x8000, v168
	v_cndmask_b32_e32 v61, 0x7fff, v168, vcc_lo
	v_and_b32_e32 v61, 0xffff, v61
	s_delay_alu instid0(VALU_DEP_1) | instskip(NEXT) | instid1(VALU_DEP_1)
	v_lshrrev_b32_e32 v61, s49, v61
	v_bitop3_b32 v172, v61, 1, s52 bitop3:0x80
	v_and_b32_e32 v175, s52, v61
	s_delay_alu instid0(VALU_DEP_2) | instskip(NEXT) | instid1(VALU_DEP_1)
	v_add_co_u32 v61, s15, v172, -1
	v_cndmask_b32_e64 v172, 0, 1, s15
	s_delay_alu instid0(VALU_DEP_3) | instskip(NEXT) | instid1(VALU_DEP_2)
	v_lshlrev_b32_e32 v173, 30, v175
	v_cmp_ne_u32_e32 vcc_lo, 0, v172
	s_delay_alu instid0(VALU_DEP_2) | instskip(NEXT) | instid1(VALU_DEP_1)
	v_not_b32_e32 v172, v173
	v_dual_ashrrev_i32 v172, 31, v172 :: v_dual_lshlrev_b32 v174, 29, v175
	v_dual_lshlrev_b32 v176, 28, v175 :: v_dual_lshlrev_b32 v177, 27, v175
	v_lshlrev_b32_e32 v178, 26, v175
	v_cmp_gt_i32_e64 s15, 0, v173
	s_delay_alu instid0(VALU_DEP_4)
	v_cmp_gt_i32_e64 s16, 0, v174
	v_not_b32_e32 v173, v174
	v_not_b32_e32 v174, v176
	v_dual_lshlrev_b32 v179, 25, v175 :: v_dual_lshlrev_b32 v180, 24, v175
	v_cmp_gt_i32_e64 s17, 0, v176
	v_cmp_gt_i32_e64 s18, 0, v177
	v_not_b32_e32 v176, v177
	v_not_b32_e32 v177, v178
	v_dual_ashrrev_i32 v174, 31, v174 :: v_dual_bitop2_b32 v61, vcc_lo, v61 bitop3:0x14
	v_dual_ashrrev_i32 v173, 31, v173 :: v_dual_bitop2_b32 v172, s15, v172 bitop3:0x14
	v_cmp_gt_i32_e64 s19, 0, v178
	v_cmp_gt_i32_e64 s20, 0, v179
	v_not_b32_e32 v178, v179
	v_not_b32_e32 v179, v180
	v_dual_ashrrev_i32 v176, 31, v176 :: v_dual_ashrrev_i32 v177, 31, v177
	v_xor_b32_e32 v173, s16, v173
	v_xor_b32_e32 v174, s17, v174
	v_bitop3_b32 v61, v61, v172, exec_lo bitop3:0x80
	v_cmp_gt_i32_e64 s21, 0, v180
	v_dual_ashrrev_i32 v172, 31, v178 :: v_dual_ashrrev_i32 v178, 31, v179
	v_xor_b32_e32 v176, s18, v176
	v_xor_b32_e32 v177, s19, v177
	v_bitop3_b32 v61, v61, v174, v173 bitop3:0x80
	v_mad_u32_u24 v173, v175, 36, v23
	v_xor_b32_e32 v172, s20, v172
	v_xor_b32_e32 v174, s21, v178
	s_delay_alu instid0(VALU_DEP_4) | instskip(SKIP_3) | instid1(VALU_DEP_2)
	v_bitop3_b32 v61, v61, v177, v176 bitop3:0x80
	ds_load_b32 v173, v173 offset:1056
	; wave barrier
	v_bitop3_b32 v61, v61, v174, v172 bitop3:0x80
	v_mul_u32_u24_e32 v172, 36, v175
	v_mbcnt_lo_u32_b32 v174, v61, 0
	v_cmp_ne_u32_e64 s15, 0, v61
	s_delay_alu instid0(VALU_DEP_3) | instskip(NEXT) | instid1(VALU_DEP_3)
	v_add_nc_u32_e32 v175, v23, v172
	v_cmp_eq_u32_e32 vcc_lo, 0, v174
	s_and_b32 s16, s15, vcc_lo
	s_delay_alu instid0(SALU_CYCLE_1)
	s_and_saveexec_b32 s15, s16
	s_cbranch_execz .LBB1759_741
; %bb.740:                              ;   in Loop: Header=BB1759_687 Depth=2
	s_wait_dscnt 0x0
	v_bcnt_u32_b32 v61, v61, v173
	ds_store_b32 v175, v61 offset:1056
.LBB1759_741:                           ;   in Loop: Header=BB1759_687 Depth=2
	s_or_b32 exec_lo, exec_lo, s15
	v_cmp_gt_i16_e32 vcc_lo, 0, v67
	; wave barrier
	v_cndmask_b32_e64 v61, 0x7fff, 0, vcc_lo
	s_delay_alu instid0(VALU_DEP_1) | instskip(NEXT) | instid1(VALU_DEP_1)
	v_xor_b32_e32 v172, v61, v67
	v_cmp_ne_u16_e64 vcc_lo, 0x8000, v172
	v_cndmask_b32_e32 v61, 0x7fff, v172, vcc_lo
	s_delay_alu instid0(VALU_DEP_1) | instskip(NEXT) | instid1(VALU_DEP_1)
	v_and_b32_e32 v61, 0xffff, v61
	v_lshrrev_b32_e32 v61, s49, v61
	s_delay_alu instid0(VALU_DEP_1) | instskip(SKIP_1) | instid1(VALU_DEP_2)
	v_bitop3_b32 v67, v61, 1, s52 bitop3:0x80
	v_and_b32_e32 v176, s52, v61
	v_add_co_u32 v61, s15, v67, -1
	s_delay_alu instid0(VALU_DEP_1) | instskip(NEXT) | instid1(VALU_DEP_3)
	v_cndmask_b32_e64 v67, 0, 1, s15
	v_lshlrev_b32_e32 v177, 30, v176
	s_delay_alu instid0(VALU_DEP_2) | instskip(NEXT) | instid1(VALU_DEP_2)
	v_cmp_ne_u32_e32 vcc_lo, 0, v67
	v_not_b32_e32 v67, v177
	s_delay_alu instid0(VALU_DEP_1) | instskip(SKIP_4) | instid1(VALU_DEP_4)
	v_dual_ashrrev_i32 v67, 31, v67 :: v_dual_bitop2_b32 v61, vcc_lo, v61 bitop3:0x14
	v_dual_lshlrev_b32 v178, 29, v176 :: v_dual_lshlrev_b32 v179, 28, v176
	v_dual_lshlrev_b32 v180, 27, v176 :: v_dual_lshlrev_b32 v181, 26, v176
	v_lshlrev_b32_e32 v182, 25, v176
	v_cmp_gt_i32_e64 s15, 0, v177
	v_cmp_gt_i32_e64 s16, 0, v178
	v_not_b32_e32 v177, v178
	v_not_b32_e32 v178, v179
	v_lshlrev_b32_e32 v183, 24, v176
	v_cmp_gt_i32_e64 s17, 0, v179
	v_cmp_gt_i32_e64 s18, 0, v180
	v_not_b32_e32 v179, v180
	v_not_b32_e32 v180, v181
	v_dual_ashrrev_i32 v177, 31, v177 :: v_dual_bitop2_b32 v67, s15, v67 bitop3:0x14
	v_ashrrev_i32_e32 v178, 31, v178
	v_cmp_gt_i32_e64 s19, 0, v181
	v_cmp_gt_i32_e64 s20, 0, v182
	v_not_b32_e32 v181, v182
	v_not_b32_e32 v182, v183
	v_dual_ashrrev_i32 v179, 31, v179 :: v_dual_ashrrev_i32 v180, 31, v180
	v_xor_b32_e32 v177, s16, v177
	v_xor_b32_e32 v178, s17, v178
	v_bitop3_b32 v61, v61, v67, exec_lo bitop3:0x80
	v_cmp_gt_i32_e64 s21, 0, v183
	v_dual_ashrrev_i32 v67, 31, v181 :: v_dual_ashrrev_i32 v181, 31, v182
	v_xor_b32_e32 v179, s18, v179
	v_xor_b32_e32 v180, s19, v180
	v_bitop3_b32 v61, v61, v178, v177 bitop3:0x80
	v_mad_u32_u24 v177, v176, 36, v23
	v_xor_b32_e32 v67, s20, v67
	v_xor_b32_e32 v178, s21, v181
	s_delay_alu instid0(VALU_DEP_4) | instskip(SKIP_3) | instid1(VALU_DEP_2)
	v_bitop3_b32 v61, v61, v180, v179 bitop3:0x80
	ds_load_b32 v177, v177 offset:1056
	; wave barrier
	v_bitop3_b32 v61, v61, v178, v67 bitop3:0x80
	v_mul_u32_u24_e32 v67, 36, v176
	v_mbcnt_lo_u32_b32 v178, v61, 0
	v_cmp_ne_u32_e64 s15, 0, v61
	s_delay_alu instid0(VALU_DEP_3) | instskip(NEXT) | instid1(VALU_DEP_3)
	v_add_nc_u32_e32 v179, v23, v67
	v_cmp_eq_u32_e32 vcc_lo, 0, v178
	s_and_b32 s16, s15, vcc_lo
	s_delay_alu instid0(SALU_CYCLE_1)
	s_and_saveexec_b32 s15, s16
	s_cbranch_execz .LBB1759_743
; %bb.742:                              ;   in Loop: Header=BB1759_687 Depth=2
	s_wait_dscnt 0x0
	v_bcnt_u32_b32 v61, v61, v177
	ds_store_b32 v179, v61 offset:1056
.LBB1759_743:                           ;   in Loop: Header=BB1759_687 Depth=2
	s_or_b32 exec_lo, exec_lo, s15
	v_cmp_gt_i16_e32 vcc_lo, 0, v66
	; wave barrier
	v_cndmask_b32_e64 v61, 0x7fff, 0, vcc_lo
	s_delay_alu instid0(VALU_DEP_1) | instskip(NEXT) | instid1(VALU_DEP_1)
	v_xor_b32_e32 v176, v61, v66
	v_cmp_ne_u16_e64 vcc_lo, 0x8000, v176
	v_cndmask_b32_e32 v61, 0x7fff, v176, vcc_lo
	s_delay_alu instid0(VALU_DEP_1) | instskip(NEXT) | instid1(VALU_DEP_1)
	v_and_b32_e32 v61, 0xffff, v61
	v_lshrrev_b32_e32 v61, s49, v61
	s_delay_alu instid0(VALU_DEP_1) | instskip(SKIP_1) | instid1(VALU_DEP_2)
	v_bitop3_b32 v66, v61, 1, s52 bitop3:0x80
	v_and_b32_e32 v67, s52, v61
	v_add_co_u32 v61, s15, v66, -1
	s_delay_alu instid0(VALU_DEP_1) | instskip(NEXT) | instid1(VALU_DEP_3)
	v_cndmask_b32_e64 v66, 0, 1, s15
	v_lshlrev_b32_e32 v180, 30, v67
	s_delay_alu instid0(VALU_DEP_2) | instskip(NEXT) | instid1(VALU_DEP_2)
	v_cmp_ne_u32_e32 vcc_lo, 0, v66
	v_not_b32_e32 v66, v180
	v_cmp_gt_i32_e64 s15, 0, v180
	s_delay_alu instid0(VALU_DEP_2) | instskip(SKIP_3) | instid1(VALU_DEP_4)
	v_dual_ashrrev_i32 v66, 31, v66 :: v_dual_lshlrev_b32 v181, 29, v67
	v_dual_lshlrev_b32 v182, 28, v67 :: v_dual_lshlrev_b32 v183, 27, v67
	v_dual_lshlrev_b32 v184, 26, v67 :: v_dual_lshlrev_b32 v185, 25, v67
	v_lshlrev_b32_e32 v186, 24, v67
	v_cmp_gt_i32_e64 s16, 0, v181
	v_not_b32_e32 v180, v181
	v_not_b32_e32 v181, v182
	v_cmp_gt_i32_e64 s17, 0, v182
	v_cmp_gt_i32_e64 s18, 0, v183
	v_not_b32_e32 v182, v183
	v_not_b32_e32 v183, v184
	v_dual_ashrrev_i32 v180, 31, v180 :: v_dual_bitop2_b32 v61, vcc_lo, v61 bitop3:0x14
	v_dual_ashrrev_i32 v181, 31, v181 :: v_dual_bitop2_b32 v66, s15, v66 bitop3:0x14
	v_cmp_gt_i32_e64 s19, 0, v184
	v_cmp_gt_i32_e64 s20, 0, v185
	v_not_b32_e32 v184, v185
	v_not_b32_e32 v185, v186
	v_dual_ashrrev_i32 v182, 31, v182 :: v_dual_ashrrev_i32 v183, 31, v183
	v_xor_b32_e32 v180, s16, v180
	v_xor_b32_e32 v181, s17, v181
	v_bitop3_b32 v61, v61, v66, exec_lo bitop3:0x80
	v_cmp_gt_i32_e64 s21, 0, v186
	v_dual_ashrrev_i32 v66, 31, v184 :: v_dual_ashrrev_i32 v184, 31, v185
	v_xor_b32_e32 v182, s18, v182
	v_xor_b32_e32 v183, s19, v183
	v_bitop3_b32 v61, v61, v181, v180 bitop3:0x80
	v_mad_u32_u24 v180, v67, 36, v23
	v_xor_b32_e32 v66, s20, v66
	v_xor_b32_e32 v184, s21, v184
	s_delay_alu instid0(VALU_DEP_4) | instskip(SKIP_3) | instid1(VALU_DEP_2)
	v_bitop3_b32 v61, v61, v183, v182 bitop3:0x80
	ds_load_b32 v181, v180 offset:1056
	; wave barrier
	v_bitop3_b32 v61, v61, v184, v66 bitop3:0x80
	v_mul_u32_u24_e32 v66, 36, v67
	v_mbcnt_lo_u32_b32 v182, v61, 0
	v_cmp_ne_u32_e64 s15, 0, v61
	s_delay_alu instid0(VALU_DEP_3) | instskip(NEXT) | instid1(VALU_DEP_3)
	v_add_nc_u32_e32 v183, v23, v66
	v_cmp_eq_u32_e32 vcc_lo, 0, v182
	s_and_b32 s16, s15, vcc_lo
	s_delay_alu instid0(SALU_CYCLE_1)
	s_and_saveexec_b32 s15, s16
	s_cbranch_execz .LBB1759_745
; %bb.744:                              ;   in Loop: Header=BB1759_687 Depth=2
	s_wait_dscnt 0x0
	v_bcnt_u32_b32 v61, v61, v181
	ds_store_b32 v183, v61 offset:1056
.LBB1759_745:                           ;   in Loop: Header=BB1759_687 Depth=2
	s_or_b32 exec_lo, exec_lo, s15
	v_cmp_gt_i16_e32 vcc_lo, 0, v65
	; wave barrier
	v_cndmask_b32_e64 v61, 0x7fff, 0, vcc_lo
	s_delay_alu instid0(VALU_DEP_1) | instskip(NEXT) | instid1(VALU_DEP_1)
	v_xor_b32_e32 v180, v61, v65
	v_cmp_ne_u16_e64 vcc_lo, 0x8000, v180
	v_cndmask_b32_e32 v61, 0x7fff, v180, vcc_lo
	s_delay_alu instid0(VALU_DEP_1) | instskip(NEXT) | instid1(VALU_DEP_1)
	v_and_b32_e32 v61, 0xffff, v61
	v_lshrrev_b32_e32 v61, s49, v61
	s_delay_alu instid0(VALU_DEP_1) | instskip(NEXT) | instid1(VALU_DEP_1)
	v_and_b32_e32 v66, s52, v61
	v_lshlrev_b32_e32 v185, 28, v66
	v_bitop3_b32 v65, v61, 1, s52 bitop3:0x80
	v_dual_lshlrev_b32 v67, 30, v66 :: v_dual_lshlrev_b32 v184, 29, v66
	s_delay_alu instid0(VALU_DEP_3) | instskip(NEXT) | instid1(VALU_DEP_3)
	v_cmp_gt_i32_e64 s17, 0, v185
	v_add_co_u32 v61, s15, v65, -1
	s_delay_alu instid0(VALU_DEP_1) | instskip(NEXT) | instid1(VALU_DEP_4)
	v_cndmask_b32_e64 v65, 0, 1, s15
	v_cmp_gt_i32_e64 s15, 0, v67
	v_cmp_gt_i32_e64 s16, 0, v184
	s_delay_alu instid0(VALU_DEP_3) | instskip(SKIP_3) | instid1(VALU_DEP_2)
	v_cmp_ne_u32_e32 vcc_lo, 0, v65
	v_not_b32_e32 v65, v67
	v_not_b32_e32 v67, v184
	;; [unrolled: 1-line block ×3, first 2 shown]
	v_dual_ashrrev_i32 v65, 31, v65 :: v_dual_ashrrev_i32 v67, 31, v67
	v_dual_lshlrev_b32 v186, 27, v66 :: v_dual_lshlrev_b32 v187, 26, v66
	v_dual_lshlrev_b32 v188, 25, v66 :: v_dual_lshlrev_b32 v189, 24, v66
	s_delay_alu instid0(VALU_DEP_4) | instskip(NEXT) | instid1(VALU_DEP_3)
	v_ashrrev_i32_e32 v184, 31, v184
	v_cmp_gt_i32_e64 s18, 0, v186
	v_not_b32_e32 v185, v186
	v_cmp_gt_i32_e64 s19, 0, v187
	v_not_b32_e32 v186, v187
	;; [unrolled: 2-line block ×3, first 2 shown]
	v_not_b32_e32 v188, v189
	s_delay_alu instid0(VALU_DEP_4) | instskip(SKIP_4) | instid1(VALU_DEP_4)
	v_dual_ashrrev_i32 v186, 31, v186 :: v_dual_bitop2_b32 v61, vcc_lo, v61 bitop3:0x14
	v_xor_b32_e32 v65, s15, v65
	v_dual_ashrrev_i32 v185, 31, v185 :: v_dual_bitop2_b32 v67, s16, v67 bitop3:0x14
	v_xor_b32_e32 v184, s17, v184
	v_cmp_gt_i32_e64 s21, 0, v189
	v_bitop3_b32 v61, v61, v65, exec_lo bitop3:0x80
	v_dual_ashrrev_i32 v65, 31, v187 :: v_dual_ashrrev_i32 v187, 31, v188
	v_xor_b32_e32 v185, s18, v185
	v_xor_b32_e32 v186, s19, v186
	s_delay_alu instid0(VALU_DEP_4) | instskip(SKIP_3) | instid1(VALU_DEP_4)
	v_bitop3_b32 v61, v61, v184, v67 bitop3:0x80
	v_mad_u32_u24 v67, v66, 36, v23
	v_xor_b32_e32 v65, s20, v65
	v_xor_b32_e32 v184, s21, v187
	v_bitop3_b32 v61, v61, v186, v185 bitop3:0x80
	ds_load_b32 v185, v67 offset:1056
	; wave barrier
	v_bitop3_b32 v61, v61, v184, v65 bitop3:0x80
	v_mul_u32_u24_e32 v65, 36, v66
	s_delay_alu instid0(VALU_DEP_2) | instskip(SKIP_1) | instid1(VALU_DEP_3)
	v_mbcnt_lo_u32_b32 v186, v61, 0
	v_cmp_ne_u32_e64 s15, 0, v61
	v_add_nc_u32_e32 v187, v23, v65
	s_delay_alu instid0(VALU_DEP_3) | instskip(SKIP_1) | instid1(SALU_CYCLE_1)
	v_cmp_eq_u32_e32 vcc_lo, 0, v186
	s_and_b32 s16, s15, vcc_lo
	s_and_saveexec_b32 s15, s16
	s_cbranch_execz .LBB1759_747
; %bb.746:                              ;   in Loop: Header=BB1759_687 Depth=2
	s_wait_dscnt 0x0
	v_bcnt_u32_b32 v61, v61, v185
	ds_store_b32 v187, v61 offset:1056
.LBB1759_747:                           ;   in Loop: Header=BB1759_687 Depth=2
	s_or_b32 exec_lo, exec_lo, s15
	v_cmp_gt_i16_e32 vcc_lo, 0, v64
	; wave barrier
	v_cndmask_b32_e64 v61, 0x7fff, 0, vcc_lo
	s_delay_alu instid0(VALU_DEP_1) | instskip(NEXT) | instid1(VALU_DEP_1)
	v_xor_b32_e32 v184, v61, v64
	v_cmp_ne_u16_e64 vcc_lo, 0x8000, v184
	v_cndmask_b32_e32 v61, 0x7fff, v184, vcc_lo
	s_delay_alu instid0(VALU_DEP_1) | instskip(NEXT) | instid1(VALU_DEP_1)
	v_and_b32_e32 v61, 0xffff, v61
	v_lshrrev_b32_e32 v61, s49, v61
	s_delay_alu instid0(VALU_DEP_1) | instskip(SKIP_1) | instid1(VALU_DEP_2)
	v_bitop3_b32 v64, v61, 1, s52 bitop3:0x80
	v_and_b32_e32 v65, s52, v61
	v_add_co_u32 v61, s15, v64, -1
	s_delay_alu instid0(VALU_DEP_1) | instskip(NEXT) | instid1(VALU_DEP_3)
	v_cndmask_b32_e64 v64, 0, 1, s15
	v_lshlrev_b32_e32 v66, 30, v65
	s_delay_alu instid0(VALU_DEP_2) | instskip(NEXT) | instid1(VALU_DEP_2)
	v_cmp_ne_u32_e32 vcc_lo, 0, v64
	v_not_b32_e32 v64, v66
	v_cmp_gt_i32_e64 s15, 0, v66
	s_delay_alu instid0(VALU_DEP_2) | instskip(SKIP_3) | instid1(VALU_DEP_4)
	v_dual_ashrrev_i32 v64, 31, v64 :: v_dual_lshlrev_b32 v67, 29, v65
	v_dual_lshlrev_b32 v188, 28, v65 :: v_dual_lshlrev_b32 v189, 27, v65
	v_dual_lshlrev_b32 v190, 26, v65 :: v_dual_lshlrev_b32 v191, 25, v65
	v_lshlrev_b32_e32 v192, 24, v65
	v_cmp_gt_i32_e64 s16, 0, v67
	v_not_b32_e32 v66, v67
	v_not_b32_e32 v67, v188
	v_cmp_gt_i32_e64 s17, 0, v188
	v_cmp_gt_i32_e64 s18, 0, v189
	v_not_b32_e32 v188, v189
	v_not_b32_e32 v189, v190
	v_dual_ashrrev_i32 v66, 31, v66 :: v_dual_bitop2_b32 v61, vcc_lo, v61 bitop3:0x14
	v_dual_ashrrev_i32 v67, 31, v67 :: v_dual_bitop2_b32 v64, s15, v64 bitop3:0x14
	v_cmp_gt_i32_e64 s19, 0, v190
	v_cmp_gt_i32_e64 s20, 0, v191
	v_not_b32_e32 v190, v191
	v_not_b32_e32 v191, v192
	v_dual_ashrrev_i32 v188, 31, v188 :: v_dual_ashrrev_i32 v189, 31, v189
	v_xor_b32_e32 v66, s16, v66
	v_xor_b32_e32 v67, s17, v67
	v_bitop3_b32 v61, v61, v64, exec_lo bitop3:0x80
	v_cmp_gt_i32_e64 s21, 0, v192
	v_dual_ashrrev_i32 v64, 31, v190 :: v_dual_ashrrev_i32 v190, 31, v191
	v_xor_b32_e32 v188, s18, v188
	v_xor_b32_e32 v189, s19, v189
	v_bitop3_b32 v61, v61, v67, v66 bitop3:0x80
	v_mad_u32_u24 v66, v65, 36, v23
	v_xor_b32_e32 v64, s20, v64
	v_xor_b32_e32 v67, s21, v190
	s_delay_alu instid0(VALU_DEP_4) | instskip(SKIP_3) | instid1(VALU_DEP_2)
	v_bitop3_b32 v61, v61, v189, v188 bitop3:0x80
	ds_load_b32 v189, v66 offset:1056
	; wave barrier
	v_bitop3_b32 v61, v61, v67, v64 bitop3:0x80
	v_mul_u32_u24_e32 v64, 36, v65
	v_mbcnt_lo_u32_b32 v190, v61, 0
	v_cmp_ne_u32_e64 s15, 0, v61
	s_delay_alu instid0(VALU_DEP_3) | instskip(NEXT) | instid1(VALU_DEP_3)
	v_add_nc_u32_e32 v191, v23, v64
	v_cmp_eq_u32_e32 vcc_lo, 0, v190
	s_and_b32 s16, s15, vcc_lo
	s_delay_alu instid0(SALU_CYCLE_1)
	s_and_saveexec_b32 s15, s16
	s_cbranch_execz .LBB1759_749
; %bb.748:                              ;   in Loop: Header=BB1759_687 Depth=2
	s_wait_dscnt 0x0
	v_bcnt_u32_b32 v61, v61, v189
	ds_store_b32 v191, v61 offset:1056
.LBB1759_749:                           ;   in Loop: Header=BB1759_687 Depth=2
	s_or_b32 exec_lo, exec_lo, s15
	v_cmp_gt_i16_e32 vcc_lo, 0, v63
	; wave barrier
	v_cndmask_b32_e64 v61, 0x7fff, 0, vcc_lo
	s_delay_alu instid0(VALU_DEP_1) | instskip(NEXT) | instid1(VALU_DEP_1)
	v_xor_b32_e32 v188, v61, v63
	v_cmp_ne_u16_e64 vcc_lo, 0x8000, v188
	v_cndmask_b32_e32 v61, 0x7fff, v188, vcc_lo
	s_delay_alu instid0(VALU_DEP_1) | instskip(NEXT) | instid1(VALU_DEP_1)
	v_and_b32_e32 v61, 0xffff, v61
	v_lshrrev_b32_e32 v61, s49, v61
	s_delay_alu instid0(VALU_DEP_1) | instskip(SKIP_1) | instid1(VALU_DEP_2)
	v_bitop3_b32 v63, v61, 1, s52 bitop3:0x80
	v_and_b32_e32 v64, s52, v61
	v_add_co_u32 v61, s15, v63, -1
	s_delay_alu instid0(VALU_DEP_1) | instskip(NEXT) | instid1(VALU_DEP_3)
	v_cndmask_b32_e64 v63, 0, 1, s15
	v_lshlrev_b32_e32 v65, 30, v64
	s_delay_alu instid0(VALU_DEP_2) | instskip(NEXT) | instid1(VALU_DEP_2)
	v_cmp_ne_u32_e32 vcc_lo, 0, v63
	v_not_b32_e32 v63, v65
	s_delay_alu instid0(VALU_DEP_1) | instskip(SKIP_4) | instid1(VALU_DEP_4)
	v_dual_ashrrev_i32 v63, 31, v63 :: v_dual_bitop2_b32 v61, vcc_lo, v61 bitop3:0x14
	v_dual_lshlrev_b32 v66, 29, v64 :: v_dual_lshlrev_b32 v67, 28, v64
	v_dual_lshlrev_b32 v192, 27, v64 :: v_dual_lshlrev_b32 v193, 26, v64
	v_lshlrev_b32_e32 v194, 25, v64
	v_cmp_gt_i32_e64 s15, 0, v65
	v_cmp_gt_i32_e64 s16, 0, v66
	v_not_b32_e32 v65, v66
	v_not_b32_e32 v66, v67
	v_lshlrev_b32_e32 v195, 24, v64
	v_cmp_gt_i32_e64 s17, 0, v67
	v_cmp_gt_i32_e64 s18, 0, v192
	v_not_b32_e32 v67, v192
	v_not_b32_e32 v192, v193
	v_dual_ashrrev_i32 v65, 31, v65 :: v_dual_bitop2_b32 v63, s15, v63 bitop3:0x14
	v_ashrrev_i32_e32 v66, 31, v66
	v_cmp_gt_i32_e64 s19, 0, v193
	v_cmp_gt_i32_e64 s20, 0, v194
	v_not_b32_e32 v193, v194
	v_not_b32_e32 v194, v195
	v_dual_ashrrev_i32 v67, 31, v67 :: v_dual_ashrrev_i32 v192, 31, v192
	v_xor_b32_e32 v65, s16, v65
	v_xor_b32_e32 v66, s17, v66
	v_bitop3_b32 v61, v61, v63, exec_lo bitop3:0x80
	v_cmp_gt_i32_e64 s21, 0, v195
	v_dual_ashrrev_i32 v63, 31, v193 :: v_dual_ashrrev_i32 v193, 31, v194
	v_xor_b32_e32 v67, s18, v67
	v_xor_b32_e32 v192, s19, v192
	v_bitop3_b32 v61, v61, v66, v65 bitop3:0x80
	v_mad_u32_u24 v65, v64, 36, v23
	v_xor_b32_e32 v63, s20, v63
	v_xor_b32_e32 v66, s21, v193
	s_delay_alu instid0(VALU_DEP_4) | instskip(SKIP_3) | instid1(VALU_DEP_2)
	v_bitop3_b32 v61, v61, v192, v67 bitop3:0x80
	ds_load_b32 v193, v65 offset:1056
	; wave barrier
	v_bitop3_b32 v61, v61, v66, v63 bitop3:0x80
	v_mul_u32_u24_e32 v63, 36, v64
	v_mbcnt_lo_u32_b32 v194, v61, 0
	v_cmp_ne_u32_e64 s15, 0, v61
	s_delay_alu instid0(VALU_DEP_3) | instskip(NEXT) | instid1(VALU_DEP_3)
	v_add_nc_u32_e32 v195, v23, v63
	v_cmp_eq_u32_e32 vcc_lo, 0, v194
	s_and_b32 s16, s15, vcc_lo
	s_delay_alu instid0(SALU_CYCLE_1)
	s_and_saveexec_b32 s15, s16
	s_cbranch_execz .LBB1759_751
; %bb.750:                              ;   in Loop: Header=BB1759_687 Depth=2
	s_wait_dscnt 0x0
	v_bcnt_u32_b32 v61, v61, v193
	ds_store_b32 v195, v61 offset:1056
.LBB1759_751:                           ;   in Loop: Header=BB1759_687 Depth=2
	s_or_b32 exec_lo, exec_lo, s15
	v_cmp_gt_i16_e32 vcc_lo, 0, v62
	; wave barrier
	v_cndmask_b32_e64 v61, 0x7fff, 0, vcc_lo
	s_delay_alu instid0(VALU_DEP_1) | instskip(NEXT) | instid1(VALU_DEP_1)
	v_xor_b32_e32 v192, v61, v62
	v_cmp_ne_u16_e64 vcc_lo, 0x8000, v192
	v_cndmask_b32_e32 v61, 0x7fff, v192, vcc_lo
	s_delay_alu instid0(VALU_DEP_1) | instskip(NEXT) | instid1(VALU_DEP_1)
	v_and_b32_e32 v61, 0xffff, v61
	v_lshrrev_b32_e32 v61, s49, v61
	s_delay_alu instid0(VALU_DEP_1) | instskip(SKIP_1) | instid1(VALU_DEP_2)
	v_bitop3_b32 v62, v61, 1, s52 bitop3:0x80
	v_and_b32_e32 v63, s52, v61
	v_add_co_u32 v61, s15, v62, -1
	s_delay_alu instid0(VALU_DEP_1) | instskip(NEXT) | instid1(VALU_DEP_3)
	v_cndmask_b32_e64 v62, 0, 1, s15
	v_lshlrev_b32_e32 v64, 30, v63
	s_delay_alu instid0(VALU_DEP_2) | instskip(NEXT) | instid1(VALU_DEP_2)
	v_cmp_ne_u32_e32 vcc_lo, 0, v62
	v_not_b32_e32 v62, v64
	v_cmp_gt_i32_e64 s15, 0, v64
	s_delay_alu instid0(VALU_DEP_2) | instskip(SKIP_3) | instid1(VALU_DEP_4)
	v_dual_ashrrev_i32 v62, 31, v62 :: v_dual_lshlrev_b32 v65, 29, v63
	v_dual_lshlrev_b32 v66, 28, v63 :: v_dual_lshlrev_b32 v67, 27, v63
	v_dual_lshlrev_b32 v196, 26, v63 :: v_dual_lshlrev_b32 v197, 25, v63
	v_lshlrev_b32_e32 v198, 24, v63
	v_cmp_gt_i32_e64 s16, 0, v65
	v_not_b32_e32 v64, v65
	v_not_b32_e32 v65, v66
	v_cmp_gt_i32_e64 s17, 0, v66
	v_cmp_gt_i32_e64 s18, 0, v67
	v_not_b32_e32 v66, v67
	v_not_b32_e32 v67, v196
	v_dual_ashrrev_i32 v64, 31, v64 :: v_dual_bitop2_b32 v61, vcc_lo, v61 bitop3:0x14
	v_dual_ashrrev_i32 v65, 31, v65 :: v_dual_bitop2_b32 v62, s15, v62 bitop3:0x14
	v_cmp_gt_i32_e64 s19, 0, v196
	v_cmp_gt_i32_e64 s20, 0, v197
	v_not_b32_e32 v196, v197
	v_not_b32_e32 v197, v198
	v_dual_ashrrev_i32 v66, 31, v66 :: v_dual_ashrrev_i32 v67, 31, v67
	v_xor_b32_e32 v64, s16, v64
	v_xor_b32_e32 v65, s17, v65
	v_bitop3_b32 v61, v61, v62, exec_lo bitop3:0x80
	v_cmp_gt_i32_e64 s21, 0, v198
	v_dual_ashrrev_i32 v62, 31, v196 :: v_dual_ashrrev_i32 v196, 31, v197
	v_xor_b32_e32 v66, s18, v66
	v_xor_b32_e32 v67, s19, v67
	v_bitop3_b32 v61, v61, v65, v64 bitop3:0x80
	v_mad_u32_u24 v64, v63, 36, v23
	v_xor_b32_e32 v62, s20, v62
	v_xor_b32_e32 v65, s21, v196
	s_delay_alu instid0(VALU_DEP_4) | instskip(SKIP_3) | instid1(VALU_DEP_2)
	v_bitop3_b32 v61, v61, v67, v66 bitop3:0x80
	ds_load_b32 v197, v64 offset:1056
	; wave barrier
	v_bitop3_b32 v61, v61, v65, v62 bitop3:0x80
	v_mul_u32_u24_e32 v62, 36, v63
	v_mbcnt_lo_u32_b32 v198, v61, 0
	v_cmp_ne_u32_e64 s15, 0, v61
	s_delay_alu instid0(VALU_DEP_3) | instskip(NEXT) | instid1(VALU_DEP_3)
	v_add_nc_u32_e32 v199, v23, v62
	v_cmp_eq_u32_e32 vcc_lo, 0, v198
	s_and_b32 s16, s15, vcc_lo
	s_delay_alu instid0(SALU_CYCLE_1)
	s_and_saveexec_b32 s15, s16
	s_cbranch_execz .LBB1759_753
; %bb.752:                              ;   in Loop: Header=BB1759_687 Depth=2
	s_wait_dscnt 0x0
	v_bcnt_u32_b32 v61, v61, v197
	ds_store_b32 v199, v61 offset:1056
.LBB1759_753:                           ;   in Loop: Header=BB1759_687 Depth=2
	s_or_b32 exec_lo, exec_lo, s15
	v_cmp_gt_i16_e32 vcc_lo, 0, v60
	; wave barrier
	v_cndmask_b32_e64 v61, 0x7fff, 0, vcc_lo
	s_delay_alu instid0(VALU_DEP_1) | instskip(NEXT) | instid1(VALU_DEP_1)
	v_xor_b32_e32 v196, v61, v60
	v_cmp_ne_u16_e64 vcc_lo, 0x8000, v196
	v_cndmask_b32_e32 v60, 0x7fff, v196, vcc_lo
	s_delay_alu instid0(VALU_DEP_1) | instskip(NEXT) | instid1(VALU_DEP_1)
	v_and_b32_e32 v60, 0xffff, v60
	v_lshrrev_b32_e32 v60, s49, v60
	s_delay_alu instid0(VALU_DEP_1) | instskip(SKIP_1) | instid1(VALU_DEP_2)
	v_bitop3_b32 v61, v60, 1, s52 bitop3:0x80
	v_and_b32_e32 v62, s52, v60
	v_add_co_u32 v60, s15, v61, -1
	s_delay_alu instid0(VALU_DEP_1) | instskip(NEXT) | instid1(VALU_DEP_3)
	v_cndmask_b32_e64 v61, 0, 1, s15
	v_lshlrev_b32_e32 v63, 30, v62
	s_delay_alu instid0(VALU_DEP_2) | instskip(NEXT) | instid1(VALU_DEP_2)
	v_cmp_ne_u32_e32 vcc_lo, 0, v61
	v_not_b32_e32 v61, v63
	v_cmp_gt_i32_e64 s15, 0, v63
	s_delay_alu instid0(VALU_DEP_2) | instskip(SKIP_3) | instid1(VALU_DEP_4)
	v_dual_ashrrev_i32 v61, 31, v61 :: v_dual_lshlrev_b32 v64, 29, v62
	v_dual_lshlrev_b32 v65, 28, v62 :: v_dual_lshlrev_b32 v66, 27, v62
	v_dual_lshlrev_b32 v67, 26, v62 :: v_dual_lshlrev_b32 v200, 25, v62
	v_lshlrev_b32_e32 v201, 24, v62
	v_cmp_gt_i32_e64 s16, 0, v64
	v_not_b32_e32 v63, v64
	v_not_b32_e32 v64, v65
	v_cmp_gt_i32_e64 s17, 0, v65
	v_cmp_gt_i32_e64 s18, 0, v66
	v_not_b32_e32 v65, v66
	v_not_b32_e32 v66, v67
	v_dual_ashrrev_i32 v63, 31, v63 :: v_dual_bitop2_b32 v60, vcc_lo, v60 bitop3:0x14
	v_dual_ashrrev_i32 v64, 31, v64 :: v_dual_bitop2_b32 v61, s15, v61 bitop3:0x14
	v_cmp_gt_i32_e64 s19, 0, v67
	v_cmp_gt_i32_e64 s20, 0, v200
	v_not_b32_e32 v67, v200
	v_not_b32_e32 v200, v201
	v_dual_ashrrev_i32 v65, 31, v65 :: v_dual_ashrrev_i32 v66, 31, v66
	v_xor_b32_e32 v63, s16, v63
	v_xor_b32_e32 v64, s17, v64
	v_bitop3_b32 v60, v60, v61, exec_lo bitop3:0x80
	v_cmp_gt_i32_e64 s21, 0, v201
	v_dual_ashrrev_i32 v61, 31, v67 :: v_dual_ashrrev_i32 v67, 31, v200
	v_xor_b32_e32 v65, s18, v65
	v_xor_b32_e32 v66, s19, v66
	v_bitop3_b32 v60, v60, v64, v63 bitop3:0x80
	v_mad_u32_u24 v63, v62, 36, v23
	v_xor_b32_e32 v61, s20, v61
	v_xor_b32_e32 v64, s21, v67
	s_delay_alu instid0(VALU_DEP_4) | instskip(SKIP_3) | instid1(VALU_DEP_2)
	v_bitop3_b32 v60, v60, v66, v65 bitop3:0x80
	ds_load_b32 v200, v63 offset:1056
	; wave barrier
	v_bitop3_b32 v60, v60, v64, v61 bitop3:0x80
	v_mul_u32_u24_e32 v61, 36, v62
	v_mbcnt_lo_u32_b32 v201, v60, 0
	v_cmp_ne_u32_e64 s15, 0, v60
	s_delay_alu instid0(VALU_DEP_3) | instskip(NEXT) | instid1(VALU_DEP_3)
	v_add_nc_u32_e32 v202, v23, v61
	v_cmp_eq_u32_e32 vcc_lo, 0, v201
	s_and_b32 s16, s15, vcc_lo
	s_delay_alu instid0(SALU_CYCLE_1)
	s_and_saveexec_b32 s15, s16
	s_cbranch_execz .LBB1759_755
; %bb.754:                              ;   in Loop: Header=BB1759_687 Depth=2
	s_wait_dscnt 0x0
	v_bcnt_u32_b32 v60, v60, v200
	ds_store_b32 v202, v60 offset:1056
.LBB1759_755:                           ;   in Loop: Header=BB1759_687 Depth=2
	s_or_b32 exec_lo, exec_lo, s15
	; wave barrier
	s_wait_dscnt 0x0
	s_barrier_signal -1
	s_barrier_wait -1
	ds_load_2addr_b32 v[66:67], v118 offset1:1
	ds_load_2addr_b32 v[64:65], v119 offset1:1
	;; [unrolled: 1-line block ×4, first 2 shown]
	ds_load_b32 v203, v91 offset:1088
	s_wait_dscnt 0x3
	v_add3_u32 v204, v67, v66, v64
	s_wait_dscnt 0x2
	s_delay_alu instid0(VALU_DEP_1) | instskip(SKIP_1) | instid1(VALU_DEP_1)
	v_add3_u32 v204, v204, v65, v62
	s_wait_dscnt 0x1
	v_add3_u32 v204, v204, v63, v60
	s_wait_dscnt 0x0
	s_delay_alu instid0(VALU_DEP_1) | instskip(NEXT) | instid1(VALU_DEP_1)
	v_add3_u32 v203, v204, v61, v203
	v_mov_b32_dpp v204, v203 row_shr:1 row_mask:0xf bank_mask:0xf
	s_delay_alu instid0(VALU_DEP_1) | instskip(NEXT) | instid1(VALU_DEP_1)
	v_cndmask_b32_e64 v204, v204, 0, s7
	v_add_nc_u32_e32 v203, v204, v203
	s_delay_alu instid0(VALU_DEP_1) | instskip(NEXT) | instid1(VALU_DEP_1)
	v_mov_b32_dpp v204, v203 row_shr:2 row_mask:0xf bank_mask:0xf
	v_cndmask_b32_e64 v204, 0, v204, s8
	s_delay_alu instid0(VALU_DEP_1) | instskip(NEXT) | instid1(VALU_DEP_1)
	v_add_nc_u32_e32 v203, v203, v204
	v_mov_b32_dpp v204, v203 row_shr:4 row_mask:0xf bank_mask:0xf
	s_delay_alu instid0(VALU_DEP_1) | instskip(NEXT) | instid1(VALU_DEP_1)
	v_cndmask_b32_e64 v204, 0, v204, s9
	v_add_nc_u32_e32 v203, v203, v204
	s_delay_alu instid0(VALU_DEP_1) | instskip(NEXT) | instid1(VALU_DEP_1)
	v_mov_b32_dpp v204, v203 row_shr:8 row_mask:0xf bank_mask:0xf
	v_cndmask_b32_e64 v204, 0, v204, s10
	s_delay_alu instid0(VALU_DEP_1) | instskip(SKIP_3) | instid1(VALU_DEP_1)
	v_add_nc_u32_e32 v203, v203, v204
	ds_swizzle_b32 v204, v203 offset:swizzle(BROADCAST,32,15)
	s_wait_dscnt 0x0
	v_cndmask_b32_e64 v204, v204, 0, s11
	v_add_nc_u32_e32 v203, v203, v204
	s_and_saveexec_b32 s15, s1
; %bb.756:                              ;   in Loop: Header=BB1759_687 Depth=2
	ds_store_b32 v84, v203 offset:1024
; %bb.757:                              ;   in Loop: Header=BB1759_687 Depth=2
	s_or_b32 exec_lo, exec_lo, s15
	s_wait_dscnt 0x0
	s_barrier_signal -1
	s_barrier_wait -1
	s_and_saveexec_b32 s15, s4
	s_cbranch_execz .LBB1759_759
; %bb.758:                              ;   in Loop: Header=BB1759_687 Depth=2
	ds_load_b32 v204, v92 offset:1024
	s_wait_dscnt 0x0
	v_mov_b32_dpp v205, v204 row_shr:1 row_mask:0xf bank_mask:0xf
	s_delay_alu instid0(VALU_DEP_1) | instskip(NEXT) | instid1(VALU_DEP_1)
	v_cndmask_b32_e64 v205, v205, 0, s12
	v_add_nc_u32_e32 v204, v205, v204
	s_delay_alu instid0(VALU_DEP_1) | instskip(NEXT) | instid1(VALU_DEP_1)
	v_mov_b32_dpp v205, v204 row_shr:2 row_mask:0xf bank_mask:0xf
	v_cndmask_b32_e64 v205, 0, v205, s13
	s_delay_alu instid0(VALU_DEP_1) | instskip(NEXT) | instid1(VALU_DEP_1)
	v_add_nc_u32_e32 v204, v204, v205
	v_mov_b32_dpp v205, v204 row_shr:4 row_mask:0xf bank_mask:0xf
	s_delay_alu instid0(VALU_DEP_1) | instskip(NEXT) | instid1(VALU_DEP_1)
	v_cndmask_b32_e64 v205, 0, v205, s14
	v_add_nc_u32_e32 v204, v204, v205
	ds_store_b32 v92, v204 offset:1024
.LBB1759_759:                           ;   in Loop: Header=BB1759_687 Depth=2
	s_or_b32 exec_lo, exec_lo, s15
	v_mov_b32_e32 v204, 0
	s_wait_dscnt 0x0
	s_barrier_signal -1
	s_barrier_wait -1
	s_and_saveexec_b32 s15, s5
; %bb.760:                              ;   in Loop: Header=BB1759_687 Depth=2
	ds_load_b32 v204, v84 offset:1020
; %bb.761:                              ;   in Loop: Header=BB1759_687 Depth=2
	s_or_b32 exec_lo, exec_lo, s15
	s_wait_dscnt 0x0
	v_add_nc_u32_e32 v203, v204, v203
	ds_bpermute_b32 v203, v122, v203
	s_wait_dscnt 0x0
	v_cndmask_b32_e64 v203, v203, v204, s6
	s_delay_alu instid0(VALU_DEP_1) | instskip(NEXT) | instid1(VALU_DEP_1)
	v_cndmask_b32_e64 v203, v203, 0, s2
	v_add_nc_u32_e32 v66, v203, v66
	s_delay_alu instid0(VALU_DEP_1) | instskip(NEXT) | instid1(VALU_DEP_1)
	v_add_nc_u32_e32 v67, v66, v67
	v_add_nc_u32_e32 v64, v67, v64
	s_delay_alu instid0(VALU_DEP_1) | instskip(NEXT) | instid1(VALU_DEP_1)
	v_add_nc_u32_e32 v65, v64, v65
	;; [unrolled: 3-line block ×3, first 2 shown]
	v_add_nc_u32_e32 v60, v63, v60
	s_delay_alu instid0(VALU_DEP_1)
	v_add_nc_u32_e32 v61, v60, v61
	ds_store_2addr_b32 v121, v63, v60 offset1:1
	ds_store_2addr_b32 v118, v203, v66 offset1:1
	;; [unrolled: 1-line block ×4, first 2 shown]
	ds_store_b32 v91, v61 offset:1088
	s_wait_dscnt 0x0
	s_barrier_signal -1
	s_barrier_wait -1
	ds_load_b32 v63, v143 offset:1056
	ds_load_b32 v65, v147 offset:1056
	;; [unrolled: 1-line block ×17, first 2 shown]
	v_mov_b32_e32 v62, 0x1000
	s_and_saveexec_b32 s15, s3
; %bb.762:                              ;   in Loop: Header=BB1759_687 Depth=2
	ds_load_b32 v62, v91 offset:1092
; %bb.763:                              ;   in Loop: Header=BB1759_687 Depth=2
	s_or_b32 exec_lo, exec_lo, s15
	s_wait_dscnt 0x0
	s_barrier_signal -1
	s_barrier_wait -1
	s_and_saveexec_b32 s15, s0
	s_cbranch_execz .LBB1759_765
; %bb.764:                              ;   in Loop: Header=BB1759_687 Depth=2
	ds_load_b32 v155, v3
	s_wait_dscnt 0x0
	v_sub_nc_u32_e32 v151, v155, v151
	ds_store_b32 v3, v151
.LBB1759_765:                           ;   in Loop: Header=BB1759_687 Depth=2
	s_or_b32 exec_lo, exec_lo, s15
	v_add3_u32 v159, v146, v145, v65
	v_add_nc_u32_e32 v163, v63, v142
	v_add3_u32 v155, v150, v149, v66
	v_add3_u32 v151, v154, v153, v67
	;; [unrolled: 1-line block ×4, first 2 shown]
	v_lshlrev_b32_e32 v60, 1, v159
	v_lshlrev_b32_e32 v153, 1, v163
	v_add3_u32 v150, v158, v157, v143
	v_add3_u32 v147, v166, v165, v203
	;; [unrolled: 1-line block ×4, first 2 shown]
	v_lshlrev_b32_e32 v61, 1, v155
	v_add3_u32 v145, v174, v173, v175
	v_lshlrev_b32_e32 v154, 1, v149
	ds_store_b16 v153, v140 offset:1024
	v_lshlrev_b32_e32 v140, 1, v151
	v_add3_u32 v143, v178, v177, v179
	v_lshlrev_b32_e32 v153, 1, v150
	v_add3_u32 v142, v182, v181, v183
	v_add3_u32 v63, v186, v185, v187
	ds_store_b16 v60, v141 offset:1024
	ds_store_b16 v61, v144 offset:1024
	;; [unrolled: 1-line block ×5, first 2 shown]
	v_dual_lshlrev_b32 v60, 1, v147 :: v_dual_lshlrev_b32 v140, 1, v145
	v_lshlrev_b32_e32 v61, 1, v146
	v_add3_u32 v65, v198, v197, v64
	v_dual_lshlrev_b32 v141, 1, v143 :: v_dual_lshlrev_b32 v144, 1, v142
	v_add3_u32 v64, v201, v200, v167
	ds_store_b16 v60, v160 offset:1024
	ds_store_b16 v61, v164 offset:1024
	ds_store_b16 v140, v168 offset:1024
	ds_store_b16 v141, v172 offset:1024
	ds_store_b16 v144, v176 offset:1024
	v_dual_lshlrev_b32 v60, 1, v63 :: v_dual_lshlrev_b32 v140, 1, v66
	v_cmp_lt_u32_e32 vcc_lo, v2, v139
	v_dual_lshlrev_b32 v61, 1, v67 :: v_dual_lshlrev_b32 v141, 1, v65
	v_lshlrev_b32_e32 v144, 1, v64
	ds_store_b16 v60, v180 offset:1024
	ds_store_b16 v61, v184 offset:1024
	;; [unrolled: 1-line block ×5, first 2 shown]
	s_wait_dscnt 0x0
	s_barrier_signal -1
	s_barrier_wait -1
	s_and_saveexec_b32 s16, vcc_lo
	s_cbranch_execnz .LBB1759_834
; %bb.766:                              ;   in Loop: Header=BB1759_687 Depth=2
	s_or_b32 exec_lo, exec_lo, s16
	v_cmp_lt_u32_e64 s15, v68, v139
	s_and_saveexec_b32 s17, s15
	s_cbranch_execnz .LBB1759_835
.LBB1759_767:                           ;   in Loop: Header=BB1759_687 Depth=2
	s_or_b32 exec_lo, exec_lo, s17
	v_cmp_lt_u32_e64 s16, v69, v139
	s_and_saveexec_b32 s18, s16
	s_cbranch_execnz .LBB1759_836
.LBB1759_768:                           ;   in Loop: Header=BB1759_687 Depth=2
	s_or_b32 exec_lo, exec_lo, s18
	v_cmp_lt_u32_e64 s17, v70, v139
	s_and_saveexec_b32 s19, s17
	s_cbranch_execnz .LBB1759_837
.LBB1759_769:                           ;   in Loop: Header=BB1759_687 Depth=2
	s_or_b32 exec_lo, exec_lo, s19
	v_cmp_lt_u32_e64 s18, v71, v139
	s_and_saveexec_b32 s20, s18
	s_cbranch_execnz .LBB1759_838
.LBB1759_770:                           ;   in Loop: Header=BB1759_687 Depth=2
	s_or_b32 exec_lo, exec_lo, s20
	v_cmp_lt_u32_e64 s19, v72, v139
	s_and_saveexec_b32 s21, s19
	s_cbranch_execnz .LBB1759_839
.LBB1759_771:                           ;   in Loop: Header=BB1759_687 Depth=2
	s_or_b32 exec_lo, exec_lo, s21
	v_cmp_lt_u32_e64 s20, v73, v139
	s_and_saveexec_b32 s22, s20
	s_cbranch_execnz .LBB1759_840
.LBB1759_772:                           ;   in Loop: Header=BB1759_687 Depth=2
	s_or_b32 exec_lo, exec_lo, s22
	v_cmp_lt_u32_e64 s21, v74, v139
	s_and_saveexec_b32 s23, s21
	s_cbranch_execnz .LBB1759_841
.LBB1759_773:                           ;   in Loop: Header=BB1759_687 Depth=2
	s_or_b32 exec_lo, exec_lo, s23
	v_cmp_lt_u32_e64 s22, v75, v139
	s_and_saveexec_b32 s24, s22
	s_cbranch_execnz .LBB1759_842
.LBB1759_774:                           ;   in Loop: Header=BB1759_687 Depth=2
	s_or_b32 exec_lo, exec_lo, s24
	v_cmp_lt_u32_e64 s23, v76, v139
	s_and_saveexec_b32 s25, s23
	s_cbranch_execnz .LBB1759_843
.LBB1759_775:                           ;   in Loop: Header=BB1759_687 Depth=2
	s_or_b32 exec_lo, exec_lo, s25
	v_cmp_lt_u32_e64 s24, v77, v139
	s_and_saveexec_b32 s26, s24
	s_cbranch_execnz .LBB1759_844
.LBB1759_776:                           ;   in Loop: Header=BB1759_687 Depth=2
	s_or_b32 exec_lo, exec_lo, s26
	v_cmp_lt_u32_e64 s25, v78, v139
	s_and_saveexec_b32 s27, s25
	s_cbranch_execnz .LBB1759_845
.LBB1759_777:                           ;   in Loop: Header=BB1759_687 Depth=2
	s_or_b32 exec_lo, exec_lo, s27
	v_cmp_lt_u32_e64 s26, v79, v139
	s_and_saveexec_b32 s28, s26
	s_cbranch_execnz .LBB1759_846
.LBB1759_778:                           ;   in Loop: Header=BB1759_687 Depth=2
	s_or_b32 exec_lo, exec_lo, s28
	v_cmp_lt_u32_e64 s27, v80, v139
	s_and_saveexec_b32 s29, s27
	s_cbranch_execnz .LBB1759_847
.LBB1759_779:                           ;   in Loop: Header=BB1759_687 Depth=2
	s_or_b32 exec_lo, exec_lo, s29
	v_cmp_lt_u32_e64 s28, v81, v139
	s_and_saveexec_b32 s30, s28
	s_cbranch_execnz .LBB1759_848
.LBB1759_780:                           ;   in Loop: Header=BB1759_687 Depth=2
	s_or_b32 exec_lo, exec_lo, s30
	v_cmp_lt_u32_e64 s29, v82, v139
	s_and_saveexec_b32 s58, s29
	s_cbranch_execz .LBB1759_782
.LBB1759_781:                           ;   in Loop: Header=BB1759_687 Depth=2
	ds_load_u16 v60, v93 offset:8704
	s_wait_dscnt 0x0
	v_cmp_ne_u16_e64 s30, 0x8000, v60
	s_delay_alu instid0(VALU_DEP_1) | instskip(SKIP_1) | instid1(VALU_DEP_2)
	v_cndmask_b32_e64 v61, 0x7fff, v60, s30
	v_cmp_gt_i16_e64 s30, 0, v60
	v_and_b32_e32 v61, 0xffff, v61
	s_delay_alu instid0(VALU_DEP_2) | instskip(NEXT) | instid1(VALU_DEP_1)
	v_cndmask_b32_e64 v140, 0x7fff, 0, s30
	v_dual_lshrrev_b32 v61, s49, v61 :: v_dual_bitop2_b32 v60, v140, v60 bitop3:0x14
	s_delay_alu instid0(VALU_DEP_1) | instskip(NEXT) | instid1(VALU_DEP_1)
	v_and_b32_e32 v61, s52, v61
	v_lshlrev_b32_e32 v61, 2, v61
	ds_load_b32 v61, v61
	s_wait_dscnt 0x0
	v_add_nc_u32_e32 v61, v61, v82
	global_store_b16 v61, v60, s[38:39] scale_offset
.LBB1759_782:                           ;   in Loop: Header=BB1759_687 Depth=2
	s_wait_xcnt 0x0
	s_or_b32 exec_lo, exec_lo, s58
	v_lshl_add_u64 v[60:61], s[42:43], 3, v[24:25]
	v_cmp_lt_u32_e64 s30, v100, v139
	s_and_saveexec_b32 s42, s30
	s_delay_alu instid0(SALU_CYCLE_1)
	s_xor_b32 s30, exec_lo, s42
	s_cbranch_execnz .LBB1759_849
; %bb.783:                              ;   in Loop: Header=BB1759_687 Depth=2
	s_or_b32 exec_lo, exec_lo, s30
	s_delay_alu instid0(SALU_CYCLE_1)
	s_mov_b32 s42, exec_lo
	v_cmpx_lt_u32_e64 v103, v139
	s_cbranch_execnz .LBB1759_850
.LBB1759_784:                           ;   in Loop: Header=BB1759_687 Depth=2
	s_or_b32 exec_lo, exec_lo, s42
	s_delay_alu instid0(SALU_CYCLE_1)
	s_mov_b32 s42, exec_lo
	v_cmpx_lt_u32_e64 v104, v139
	s_cbranch_execnz .LBB1759_851
.LBB1759_785:                           ;   in Loop: Header=BB1759_687 Depth=2
	s_or_b32 exec_lo, exec_lo, s42
	s_delay_alu instid0(SALU_CYCLE_1)
	s_mov_b32 s42, exec_lo
	v_cmpx_lt_u32_e64 v105, v139
	s_cbranch_execnz .LBB1759_852
.LBB1759_786:                           ;   in Loop: Header=BB1759_687 Depth=2
	s_or_b32 exec_lo, exec_lo, s42
	s_delay_alu instid0(SALU_CYCLE_1)
	s_mov_b32 s42, exec_lo
	v_cmpx_lt_u32_e64 v106, v139
	s_cbranch_execnz .LBB1759_853
.LBB1759_787:                           ;   in Loop: Header=BB1759_687 Depth=2
	s_or_b32 exec_lo, exec_lo, s42
	s_delay_alu instid0(SALU_CYCLE_1)
	s_mov_b32 s42, exec_lo
	v_cmpx_lt_u32_e64 v107, v139
	s_cbranch_execnz .LBB1759_854
.LBB1759_788:                           ;   in Loop: Header=BB1759_687 Depth=2
	s_or_b32 exec_lo, exec_lo, s42
	s_delay_alu instid0(SALU_CYCLE_1)
	s_mov_b32 s42, exec_lo
	v_cmpx_lt_u32_e64 v108, v139
	s_cbranch_execnz .LBB1759_855
.LBB1759_789:                           ;   in Loop: Header=BB1759_687 Depth=2
	s_or_b32 exec_lo, exec_lo, s42
	s_delay_alu instid0(SALU_CYCLE_1)
	s_mov_b32 s42, exec_lo
	v_cmpx_lt_u32_e64 v109, v139
	s_cbranch_execnz .LBB1759_856
.LBB1759_790:                           ;   in Loop: Header=BB1759_687 Depth=2
	s_or_b32 exec_lo, exec_lo, s42
	s_delay_alu instid0(SALU_CYCLE_1)
	s_mov_b32 s42, exec_lo
	v_cmpx_lt_u32_e64 v110, v139
	s_cbranch_execnz .LBB1759_857
.LBB1759_791:                           ;   in Loop: Header=BB1759_687 Depth=2
	s_or_b32 exec_lo, exec_lo, s42
	s_delay_alu instid0(SALU_CYCLE_1)
	s_mov_b32 s42, exec_lo
	v_cmpx_lt_u32_e64 v111, v139
	s_cbranch_execnz .LBB1759_858
.LBB1759_792:                           ;   in Loop: Header=BB1759_687 Depth=2
	s_or_b32 exec_lo, exec_lo, s42
	s_delay_alu instid0(SALU_CYCLE_1)
	s_mov_b32 s42, exec_lo
	v_cmpx_lt_u32_e64 v112, v139
	s_cbranch_execnz .LBB1759_859
.LBB1759_793:                           ;   in Loop: Header=BB1759_687 Depth=2
	s_or_b32 exec_lo, exec_lo, s42
	s_delay_alu instid0(SALU_CYCLE_1)
	s_mov_b32 s42, exec_lo
	v_cmpx_lt_u32_e64 v113, v139
	s_cbranch_execnz .LBB1759_860
.LBB1759_794:                           ;   in Loop: Header=BB1759_687 Depth=2
	s_or_b32 exec_lo, exec_lo, s42
	s_delay_alu instid0(SALU_CYCLE_1)
	s_mov_b32 s42, exec_lo
	v_cmpx_lt_u32_e64 v114, v139
	s_cbranch_execnz .LBB1759_861
.LBB1759_795:                           ;   in Loop: Header=BB1759_687 Depth=2
	s_or_b32 exec_lo, exec_lo, s42
	s_delay_alu instid0(SALU_CYCLE_1)
	s_mov_b32 s42, exec_lo
	v_cmpx_lt_u32_e64 v115, v139
	s_cbranch_execnz .LBB1759_862
.LBB1759_796:                           ;   in Loop: Header=BB1759_687 Depth=2
	s_or_b32 exec_lo, exec_lo, s42
	s_delay_alu instid0(SALU_CYCLE_1)
	s_mov_b32 s42, exec_lo
	v_cmpx_lt_u32_e64 v116, v139
	s_cbranch_execnz .LBB1759_863
.LBB1759_797:                           ;   in Loop: Header=BB1759_687 Depth=2
	s_or_b32 exec_lo, exec_lo, s42
	s_delay_alu instid0(SALU_CYCLE_1)
	s_mov_b32 s42, exec_lo
	v_cmpx_lt_u32_e64 v117, v139
	s_cbranch_execnz .LBB1759_864
.LBB1759_798:                           ;   in Loop: Header=BB1759_687 Depth=2
	s_or_b32 exec_lo, exec_lo, s42
	s_and_saveexec_b32 s42, vcc_lo
	s_cbranch_execnz .LBB1759_865
.LBB1759_799:                           ;   in Loop: Header=BB1759_687 Depth=2
	s_or_b32 exec_lo, exec_lo, s42
	s_and_saveexec_b32 s42, s15
	s_cbranch_execnz .LBB1759_866
.LBB1759_800:                           ;   in Loop: Header=BB1759_687 Depth=2
	s_or_b32 exec_lo, exec_lo, s42
	s_and_saveexec_b32 s42, s16
	s_cbranch_execnz .LBB1759_867
.LBB1759_801:                           ;   in Loop: Header=BB1759_687 Depth=2
	s_or_b32 exec_lo, exec_lo, s42
	s_and_saveexec_b32 s42, s17
	s_cbranch_execnz .LBB1759_868
.LBB1759_802:                           ;   in Loop: Header=BB1759_687 Depth=2
	s_or_b32 exec_lo, exec_lo, s42
	s_and_saveexec_b32 s42, s18
	s_cbranch_execnz .LBB1759_869
.LBB1759_803:                           ;   in Loop: Header=BB1759_687 Depth=2
	s_or_b32 exec_lo, exec_lo, s42
	s_and_saveexec_b32 s42, s19
	s_cbranch_execnz .LBB1759_870
.LBB1759_804:                           ;   in Loop: Header=BB1759_687 Depth=2
	s_or_b32 exec_lo, exec_lo, s42
	s_and_saveexec_b32 s42, s20
	s_cbranch_execnz .LBB1759_871
.LBB1759_805:                           ;   in Loop: Header=BB1759_687 Depth=2
	s_or_b32 exec_lo, exec_lo, s42
	s_and_saveexec_b32 s42, s21
	s_cbranch_execnz .LBB1759_872
.LBB1759_806:                           ;   in Loop: Header=BB1759_687 Depth=2
	s_or_b32 exec_lo, exec_lo, s42
	s_and_saveexec_b32 s42, s22
	s_cbranch_execnz .LBB1759_873
.LBB1759_807:                           ;   in Loop: Header=BB1759_687 Depth=2
	s_or_b32 exec_lo, exec_lo, s42
	s_and_saveexec_b32 s42, s23
	s_cbranch_execnz .LBB1759_874
.LBB1759_808:                           ;   in Loop: Header=BB1759_687 Depth=2
	s_or_b32 exec_lo, exec_lo, s42
	s_and_saveexec_b32 s42, s24
	s_cbranch_execnz .LBB1759_875
.LBB1759_809:                           ;   in Loop: Header=BB1759_687 Depth=2
	s_or_b32 exec_lo, exec_lo, s42
	s_and_saveexec_b32 s42, s25
	s_cbranch_execnz .LBB1759_876
.LBB1759_810:                           ;   in Loop: Header=BB1759_687 Depth=2
	s_or_b32 exec_lo, exec_lo, s42
	s_and_saveexec_b32 s42, s26
	s_cbranch_execnz .LBB1759_877
.LBB1759_811:                           ;   in Loop: Header=BB1759_687 Depth=2
	s_or_b32 exec_lo, exec_lo, s42
	s_and_saveexec_b32 s42, s27
	s_cbranch_execnz .LBB1759_878
.LBB1759_812:                           ;   in Loop: Header=BB1759_687 Depth=2
	s_or_b32 exec_lo, exec_lo, s42
	s_and_saveexec_b32 s42, s28
	s_cbranch_execnz .LBB1759_879
.LBB1759_813:                           ;   in Loop: Header=BB1759_687 Depth=2
	s_or_b32 exec_lo, exec_lo, s42
	s_and_saveexec_b32 s42, s29
	s_cbranch_execz .LBB1759_815
.LBB1759_814:                           ;   in Loop: Header=BB1759_687 Depth=2
	ds_load_u16 v60, v93 offset:8704
	s_wait_dscnt 0x0
	v_cmp_ne_u16_e64 s30, 0x8000, v60
	s_delay_alu instid0(VALU_DEP_1) | instskip(NEXT) | instid1(VALU_DEP_1)
	v_cndmask_b32_e64 v60, 0x7fff, v60, s30
	v_and_b32_e32 v60, 0xffff, v60
	s_delay_alu instid0(VALU_DEP_1) | instskip(NEXT) | instid1(VALU_DEP_1)
	v_lshrrev_b32_e32 v60, s49, v60
	v_and_b32_e32 v123, s52, v60
.LBB1759_815:                           ;   in Loop: Header=BB1759_687 Depth=2
	s_or_b32 exec_lo, exec_lo, s42
	v_dual_lshlrev_b32 v60, 3, v163 :: v_dual_lshlrev_b32 v140, 3, v150
	s_wait_loadcnt 0x0
	s_wait_storecnt 0x0
	s_barrier_signal -1
	s_barrier_wait -1
	ds_store_b64 v60, v[58:59] offset:1024
	v_dual_lshlrev_b32 v60, 3, v159 :: v_dual_lshlrev_b32 v141, 3, v149
	v_lshlrev_b32_e32 v61, 3, v155
	v_lshlrev_b32_e32 v139, 3, v151
	ds_store_b64 v60, v[56:57] offset:1024
	ds_store_b64 v61, v[54:55] offset:1024
	;; [unrolled: 1-line block ×5, first 2 shown]
	v_dual_lshlrev_b32 v60, 3, v147 :: v_dual_lshlrev_b32 v141, 3, v142
	v_dual_lshlrev_b32 v61, 3, v146 :: v_dual_lshlrev_b32 v139, 3, v145
	v_lshlrev_b32_e32 v140, 3, v143
	ds_store_b64 v60, v[46:47] offset:1024
	ds_store_b64 v61, v[44:45] offset:1024
	;; [unrolled: 1-line block ×5, first 2 shown]
	v_dual_lshlrev_b32 v60, 3, v63 :: v_dual_lshlrev_b32 v65, 3, v65
	v_dual_lshlrev_b32 v61, 3, v67 :: v_dual_lshlrev_b32 v64, 3, v64
	v_lshlrev_b32_e32 v63, 3, v66
	ds_store_b64 v60, v[36:37] offset:1024
	ds_store_b64 v61, v[34:35] offset:1024
	;; [unrolled: 1-line block ×5, first 2 shown]
	s_wait_dscnt 0x0
	s_barrier_signal -1
	s_barrier_wait -1
	s_and_saveexec_b32 s30, vcc_lo
	s_cbranch_execnz .LBB1759_880
; %bb.816:                              ;   in Loop: Header=BB1759_687 Depth=2
	s_or_b32 exec_lo, exec_lo, s30
	s_and_saveexec_b32 s30, s15
	s_cbranch_execnz .LBB1759_881
.LBB1759_817:                           ;   in Loop: Header=BB1759_687 Depth=2
	s_or_b32 exec_lo, exec_lo, s30
	s_and_saveexec_b32 s15, s16
	s_cbranch_execnz .LBB1759_882
.LBB1759_818:                           ;   in Loop: Header=BB1759_687 Depth=2
	s_or_b32 exec_lo, exec_lo, s15
	s_and_saveexec_b32 s15, s17
	s_cbranch_execnz .LBB1759_883
.LBB1759_819:                           ;   in Loop: Header=BB1759_687 Depth=2
	s_or_b32 exec_lo, exec_lo, s15
	s_and_saveexec_b32 s15, s18
	s_cbranch_execnz .LBB1759_884
.LBB1759_820:                           ;   in Loop: Header=BB1759_687 Depth=2
	s_or_b32 exec_lo, exec_lo, s15
	s_and_saveexec_b32 s15, s19
	s_cbranch_execnz .LBB1759_885
.LBB1759_821:                           ;   in Loop: Header=BB1759_687 Depth=2
	s_or_b32 exec_lo, exec_lo, s15
	s_and_saveexec_b32 s15, s20
	s_cbranch_execnz .LBB1759_886
.LBB1759_822:                           ;   in Loop: Header=BB1759_687 Depth=2
	s_or_b32 exec_lo, exec_lo, s15
	s_and_saveexec_b32 s15, s21
	s_cbranch_execnz .LBB1759_887
.LBB1759_823:                           ;   in Loop: Header=BB1759_687 Depth=2
	s_or_b32 exec_lo, exec_lo, s15
	s_and_saveexec_b32 s15, s22
	s_cbranch_execnz .LBB1759_888
.LBB1759_824:                           ;   in Loop: Header=BB1759_687 Depth=2
	s_or_b32 exec_lo, exec_lo, s15
	s_and_saveexec_b32 s15, s23
	s_cbranch_execnz .LBB1759_889
.LBB1759_825:                           ;   in Loop: Header=BB1759_687 Depth=2
	s_or_b32 exec_lo, exec_lo, s15
	s_and_saveexec_b32 s15, s24
	s_cbranch_execnz .LBB1759_890
.LBB1759_826:                           ;   in Loop: Header=BB1759_687 Depth=2
	s_or_b32 exec_lo, exec_lo, s15
	s_and_saveexec_b32 s15, s25
	s_cbranch_execnz .LBB1759_891
.LBB1759_827:                           ;   in Loop: Header=BB1759_687 Depth=2
	s_or_b32 exec_lo, exec_lo, s15
	s_and_saveexec_b32 s15, s26
	s_cbranch_execnz .LBB1759_892
.LBB1759_828:                           ;   in Loop: Header=BB1759_687 Depth=2
	s_or_b32 exec_lo, exec_lo, s15
	s_and_saveexec_b32 s15, s27
	s_cbranch_execnz .LBB1759_893
.LBB1759_829:                           ;   in Loop: Header=BB1759_687 Depth=2
	s_or_b32 exec_lo, exec_lo, s15
	s_and_saveexec_b32 s15, s28
	s_cbranch_execnz .LBB1759_894
.LBB1759_830:                           ;   in Loop: Header=BB1759_687 Depth=2
	s_or_b32 exec_lo, exec_lo, s15
	s_and_saveexec_b32 s15, s29
	s_cbranch_execz .LBB1759_832
.LBB1759_831:                           ;   in Loop: Header=BB1759_687 Depth=2
	v_dual_lshlrev_b32 v60, 2, v123 :: v_dual_add_nc_u32 v61, v93, v94
	ds_load_b32 v63, v60
	ds_load_b64 v[60:61], v61 offset:31744
	s_wait_dscnt 0x1
	v_add_nc_u32_e32 v63, v63, v82
	s_wait_dscnt 0x0
	global_store_b64 v63, v[60:61], s[44:45] scale_offset
.LBB1759_832:                           ;   in Loop: Header=BB1759_687 Depth=2
	s_wait_xcnt 0x0
	s_or_b32 exec_lo, exec_lo, s15
	s_wait_storecnt 0x0
	s_barrier_signal -1
	s_barrier_wait -1
	s_and_saveexec_b32 s15, s0
	s_cbranch_execz .LBB1759_686
; %bb.833:                              ;   in Loop: Header=BB1759_687 Depth=2
	ds_load_b32 v60, v3
	s_wait_dscnt 0x0
	v_add_nc_u32_e32 v60, v60, v62
	ds_store_b32 v3, v60
	s_branch .LBB1759_686
.LBB1759_834:                           ;   in Loop: Header=BB1759_687 Depth=2
	ds_load_u16 v60, v93 offset:1024
	s_wait_dscnt 0x0
	v_cmp_ne_u16_e64 s15, 0x8000, v60
	s_delay_alu instid0(VALU_DEP_1) | instskip(SKIP_1) | instid1(VALU_DEP_2)
	v_cndmask_b32_e64 v61, 0x7fff, v60, s15
	v_cmp_gt_i16_e64 s15, 0, v60
	v_and_b32_e32 v61, 0xffff, v61
	s_delay_alu instid0(VALU_DEP_2) | instskip(NEXT) | instid1(VALU_DEP_1)
	v_cndmask_b32_e64 v140, 0x7fff, 0, s15
	v_dual_lshrrev_b32 v61, s49, v61 :: v_dual_bitop2_b32 v60, v140, v60 bitop3:0x14
	s_delay_alu instid0(VALU_DEP_1) | instskip(NEXT) | instid1(VALU_DEP_1)
	v_and_b32_e32 v61, s52, v61
	v_lshlrev_b32_e32 v61, 2, v61
	ds_load_b32 v61, v61
	s_wait_dscnt 0x0
	v_add_nc_u32_e32 v61, v61, v2
	global_store_b16 v61, v60, s[38:39] scale_offset
	s_wait_xcnt 0x0
	s_or_b32 exec_lo, exec_lo, s16
	v_cmp_lt_u32_e64 s15, v68, v139
	s_and_saveexec_b32 s17, s15
	s_cbranch_execz .LBB1759_767
.LBB1759_835:                           ;   in Loop: Header=BB1759_687 Depth=2
	ds_load_u16 v60, v93 offset:1536
	s_wait_dscnt 0x0
	v_cmp_ne_u16_e64 s16, 0x8000, v60
	s_delay_alu instid0(VALU_DEP_1) | instskip(SKIP_1) | instid1(VALU_DEP_2)
	v_cndmask_b32_e64 v61, 0x7fff, v60, s16
	v_cmp_gt_i16_e64 s16, 0, v60
	v_and_b32_e32 v61, 0xffff, v61
	s_delay_alu instid0(VALU_DEP_2) | instskip(NEXT) | instid1(VALU_DEP_1)
	v_cndmask_b32_e64 v140, 0x7fff, 0, s16
	v_dual_lshrrev_b32 v61, s49, v61 :: v_dual_bitop2_b32 v60, v140, v60 bitop3:0x14
	s_delay_alu instid0(VALU_DEP_1) | instskip(NEXT) | instid1(VALU_DEP_1)
	v_and_b32_e32 v61, s52, v61
	v_lshlrev_b32_e32 v61, 2, v61
	ds_load_b32 v61, v61
	s_wait_dscnt 0x0
	v_add_nc_u32_e32 v61, v61, v68
	global_store_b16 v61, v60, s[38:39] scale_offset
	s_wait_xcnt 0x0
	s_or_b32 exec_lo, exec_lo, s17
	v_cmp_lt_u32_e64 s16, v69, v139
	s_and_saveexec_b32 s18, s16
	s_cbranch_execz .LBB1759_768
.LBB1759_836:                           ;   in Loop: Header=BB1759_687 Depth=2
	ds_load_u16 v60, v93 offset:2048
	s_wait_dscnt 0x0
	v_cmp_ne_u16_e64 s17, 0x8000, v60
	s_delay_alu instid0(VALU_DEP_1) | instskip(SKIP_1) | instid1(VALU_DEP_2)
	v_cndmask_b32_e64 v61, 0x7fff, v60, s17
	v_cmp_gt_i16_e64 s17, 0, v60
	v_and_b32_e32 v61, 0xffff, v61
	s_delay_alu instid0(VALU_DEP_2) | instskip(NEXT) | instid1(VALU_DEP_1)
	v_cndmask_b32_e64 v140, 0x7fff, 0, s17
	v_dual_lshrrev_b32 v61, s49, v61 :: v_dual_bitop2_b32 v60, v140, v60 bitop3:0x14
	s_delay_alu instid0(VALU_DEP_1) | instskip(NEXT) | instid1(VALU_DEP_1)
	v_and_b32_e32 v61, s52, v61
	v_lshlrev_b32_e32 v61, 2, v61
	ds_load_b32 v61, v61
	s_wait_dscnt 0x0
	v_add_nc_u32_e32 v61, v61, v69
	global_store_b16 v61, v60, s[38:39] scale_offset
	s_wait_xcnt 0x0
	s_or_b32 exec_lo, exec_lo, s18
	v_cmp_lt_u32_e64 s17, v70, v139
	s_and_saveexec_b32 s19, s17
	s_cbranch_execz .LBB1759_769
.LBB1759_837:                           ;   in Loop: Header=BB1759_687 Depth=2
	ds_load_u16 v60, v93 offset:2560
	s_wait_dscnt 0x0
	v_cmp_ne_u16_e64 s18, 0x8000, v60
	s_delay_alu instid0(VALU_DEP_1) | instskip(SKIP_1) | instid1(VALU_DEP_2)
	v_cndmask_b32_e64 v61, 0x7fff, v60, s18
	v_cmp_gt_i16_e64 s18, 0, v60
	v_and_b32_e32 v61, 0xffff, v61
	s_delay_alu instid0(VALU_DEP_2) | instskip(NEXT) | instid1(VALU_DEP_1)
	v_cndmask_b32_e64 v140, 0x7fff, 0, s18
	v_dual_lshrrev_b32 v61, s49, v61 :: v_dual_bitop2_b32 v60, v140, v60 bitop3:0x14
	s_delay_alu instid0(VALU_DEP_1) | instskip(NEXT) | instid1(VALU_DEP_1)
	v_and_b32_e32 v61, s52, v61
	v_lshlrev_b32_e32 v61, 2, v61
	ds_load_b32 v61, v61
	s_wait_dscnt 0x0
	v_add_nc_u32_e32 v61, v61, v70
	global_store_b16 v61, v60, s[38:39] scale_offset
	s_wait_xcnt 0x0
	s_or_b32 exec_lo, exec_lo, s19
	v_cmp_lt_u32_e64 s18, v71, v139
	s_and_saveexec_b32 s20, s18
	s_cbranch_execz .LBB1759_770
.LBB1759_838:                           ;   in Loop: Header=BB1759_687 Depth=2
	ds_load_u16 v60, v93 offset:3072
	s_wait_dscnt 0x0
	v_cmp_ne_u16_e64 s19, 0x8000, v60
	s_delay_alu instid0(VALU_DEP_1) | instskip(SKIP_1) | instid1(VALU_DEP_2)
	v_cndmask_b32_e64 v61, 0x7fff, v60, s19
	v_cmp_gt_i16_e64 s19, 0, v60
	v_and_b32_e32 v61, 0xffff, v61
	s_delay_alu instid0(VALU_DEP_2) | instskip(NEXT) | instid1(VALU_DEP_1)
	v_cndmask_b32_e64 v140, 0x7fff, 0, s19
	v_dual_lshrrev_b32 v61, s49, v61 :: v_dual_bitop2_b32 v60, v140, v60 bitop3:0x14
	s_delay_alu instid0(VALU_DEP_1) | instskip(NEXT) | instid1(VALU_DEP_1)
	v_and_b32_e32 v61, s52, v61
	v_lshlrev_b32_e32 v61, 2, v61
	ds_load_b32 v61, v61
	s_wait_dscnt 0x0
	v_add_nc_u32_e32 v61, v61, v71
	global_store_b16 v61, v60, s[38:39] scale_offset
	s_wait_xcnt 0x0
	s_or_b32 exec_lo, exec_lo, s20
	v_cmp_lt_u32_e64 s19, v72, v139
	s_and_saveexec_b32 s21, s19
	s_cbranch_execz .LBB1759_771
.LBB1759_839:                           ;   in Loop: Header=BB1759_687 Depth=2
	ds_load_u16 v60, v93 offset:3584
	s_wait_dscnt 0x0
	v_cmp_ne_u16_e64 s20, 0x8000, v60
	s_delay_alu instid0(VALU_DEP_1) | instskip(SKIP_1) | instid1(VALU_DEP_2)
	v_cndmask_b32_e64 v61, 0x7fff, v60, s20
	v_cmp_gt_i16_e64 s20, 0, v60
	v_and_b32_e32 v61, 0xffff, v61
	s_delay_alu instid0(VALU_DEP_2) | instskip(NEXT) | instid1(VALU_DEP_1)
	v_cndmask_b32_e64 v140, 0x7fff, 0, s20
	v_dual_lshrrev_b32 v61, s49, v61 :: v_dual_bitop2_b32 v60, v140, v60 bitop3:0x14
	s_delay_alu instid0(VALU_DEP_1) | instskip(NEXT) | instid1(VALU_DEP_1)
	v_and_b32_e32 v61, s52, v61
	v_lshlrev_b32_e32 v61, 2, v61
	ds_load_b32 v61, v61
	s_wait_dscnt 0x0
	v_add_nc_u32_e32 v61, v61, v72
	global_store_b16 v61, v60, s[38:39] scale_offset
	s_wait_xcnt 0x0
	s_or_b32 exec_lo, exec_lo, s21
	v_cmp_lt_u32_e64 s20, v73, v139
	s_and_saveexec_b32 s22, s20
	s_cbranch_execz .LBB1759_772
.LBB1759_840:                           ;   in Loop: Header=BB1759_687 Depth=2
	ds_load_u16 v60, v93 offset:4096
	s_wait_dscnt 0x0
	v_cmp_ne_u16_e64 s21, 0x8000, v60
	s_delay_alu instid0(VALU_DEP_1) | instskip(SKIP_1) | instid1(VALU_DEP_2)
	v_cndmask_b32_e64 v61, 0x7fff, v60, s21
	v_cmp_gt_i16_e64 s21, 0, v60
	v_and_b32_e32 v61, 0xffff, v61
	s_delay_alu instid0(VALU_DEP_2) | instskip(NEXT) | instid1(VALU_DEP_1)
	v_cndmask_b32_e64 v140, 0x7fff, 0, s21
	v_dual_lshrrev_b32 v61, s49, v61 :: v_dual_bitop2_b32 v60, v140, v60 bitop3:0x14
	s_delay_alu instid0(VALU_DEP_1) | instskip(NEXT) | instid1(VALU_DEP_1)
	v_and_b32_e32 v61, s52, v61
	v_lshlrev_b32_e32 v61, 2, v61
	ds_load_b32 v61, v61
	s_wait_dscnt 0x0
	v_add_nc_u32_e32 v61, v61, v73
	global_store_b16 v61, v60, s[38:39] scale_offset
	s_wait_xcnt 0x0
	s_or_b32 exec_lo, exec_lo, s22
	v_cmp_lt_u32_e64 s21, v74, v139
	s_and_saveexec_b32 s23, s21
	s_cbranch_execz .LBB1759_773
.LBB1759_841:                           ;   in Loop: Header=BB1759_687 Depth=2
	ds_load_u16 v60, v93 offset:4608
	s_wait_dscnt 0x0
	v_cmp_ne_u16_e64 s22, 0x8000, v60
	s_delay_alu instid0(VALU_DEP_1) | instskip(SKIP_1) | instid1(VALU_DEP_2)
	v_cndmask_b32_e64 v61, 0x7fff, v60, s22
	v_cmp_gt_i16_e64 s22, 0, v60
	v_and_b32_e32 v61, 0xffff, v61
	s_delay_alu instid0(VALU_DEP_2) | instskip(NEXT) | instid1(VALU_DEP_1)
	v_cndmask_b32_e64 v140, 0x7fff, 0, s22
	v_dual_lshrrev_b32 v61, s49, v61 :: v_dual_bitop2_b32 v60, v140, v60 bitop3:0x14
	s_delay_alu instid0(VALU_DEP_1) | instskip(NEXT) | instid1(VALU_DEP_1)
	v_and_b32_e32 v61, s52, v61
	v_lshlrev_b32_e32 v61, 2, v61
	ds_load_b32 v61, v61
	s_wait_dscnt 0x0
	v_add_nc_u32_e32 v61, v61, v74
	global_store_b16 v61, v60, s[38:39] scale_offset
	s_wait_xcnt 0x0
	s_or_b32 exec_lo, exec_lo, s23
	v_cmp_lt_u32_e64 s22, v75, v139
	s_and_saveexec_b32 s24, s22
	s_cbranch_execz .LBB1759_774
.LBB1759_842:                           ;   in Loop: Header=BB1759_687 Depth=2
	ds_load_u16 v60, v93 offset:5120
	s_wait_dscnt 0x0
	v_cmp_ne_u16_e64 s23, 0x8000, v60
	s_delay_alu instid0(VALU_DEP_1) | instskip(SKIP_1) | instid1(VALU_DEP_2)
	v_cndmask_b32_e64 v61, 0x7fff, v60, s23
	v_cmp_gt_i16_e64 s23, 0, v60
	v_and_b32_e32 v61, 0xffff, v61
	s_delay_alu instid0(VALU_DEP_2) | instskip(NEXT) | instid1(VALU_DEP_1)
	v_cndmask_b32_e64 v140, 0x7fff, 0, s23
	v_dual_lshrrev_b32 v61, s49, v61 :: v_dual_bitop2_b32 v60, v140, v60 bitop3:0x14
	s_delay_alu instid0(VALU_DEP_1) | instskip(NEXT) | instid1(VALU_DEP_1)
	v_and_b32_e32 v61, s52, v61
	v_lshlrev_b32_e32 v61, 2, v61
	ds_load_b32 v61, v61
	s_wait_dscnt 0x0
	v_add_nc_u32_e32 v61, v61, v75
	global_store_b16 v61, v60, s[38:39] scale_offset
	s_wait_xcnt 0x0
	s_or_b32 exec_lo, exec_lo, s24
	v_cmp_lt_u32_e64 s23, v76, v139
	s_and_saveexec_b32 s25, s23
	s_cbranch_execz .LBB1759_775
.LBB1759_843:                           ;   in Loop: Header=BB1759_687 Depth=2
	ds_load_u16 v60, v93 offset:5632
	s_wait_dscnt 0x0
	v_cmp_ne_u16_e64 s24, 0x8000, v60
	s_delay_alu instid0(VALU_DEP_1) | instskip(SKIP_1) | instid1(VALU_DEP_2)
	v_cndmask_b32_e64 v61, 0x7fff, v60, s24
	v_cmp_gt_i16_e64 s24, 0, v60
	v_and_b32_e32 v61, 0xffff, v61
	s_delay_alu instid0(VALU_DEP_2) | instskip(NEXT) | instid1(VALU_DEP_1)
	v_cndmask_b32_e64 v140, 0x7fff, 0, s24
	v_dual_lshrrev_b32 v61, s49, v61 :: v_dual_bitop2_b32 v60, v140, v60 bitop3:0x14
	s_delay_alu instid0(VALU_DEP_1) | instskip(NEXT) | instid1(VALU_DEP_1)
	v_and_b32_e32 v61, s52, v61
	v_lshlrev_b32_e32 v61, 2, v61
	ds_load_b32 v61, v61
	s_wait_dscnt 0x0
	v_add_nc_u32_e32 v61, v61, v76
	global_store_b16 v61, v60, s[38:39] scale_offset
	s_wait_xcnt 0x0
	s_or_b32 exec_lo, exec_lo, s25
	v_cmp_lt_u32_e64 s24, v77, v139
	s_and_saveexec_b32 s26, s24
	s_cbranch_execz .LBB1759_776
.LBB1759_844:                           ;   in Loop: Header=BB1759_687 Depth=2
	ds_load_u16 v60, v93 offset:6144
	s_wait_dscnt 0x0
	v_cmp_ne_u16_e64 s25, 0x8000, v60
	s_delay_alu instid0(VALU_DEP_1) | instskip(SKIP_1) | instid1(VALU_DEP_2)
	v_cndmask_b32_e64 v61, 0x7fff, v60, s25
	v_cmp_gt_i16_e64 s25, 0, v60
	v_and_b32_e32 v61, 0xffff, v61
	s_delay_alu instid0(VALU_DEP_2) | instskip(NEXT) | instid1(VALU_DEP_1)
	v_cndmask_b32_e64 v140, 0x7fff, 0, s25
	v_dual_lshrrev_b32 v61, s49, v61 :: v_dual_bitop2_b32 v60, v140, v60 bitop3:0x14
	s_delay_alu instid0(VALU_DEP_1) | instskip(NEXT) | instid1(VALU_DEP_1)
	v_and_b32_e32 v61, s52, v61
	v_lshlrev_b32_e32 v61, 2, v61
	ds_load_b32 v61, v61
	s_wait_dscnt 0x0
	v_add_nc_u32_e32 v61, v61, v77
	global_store_b16 v61, v60, s[38:39] scale_offset
	s_wait_xcnt 0x0
	s_or_b32 exec_lo, exec_lo, s26
	v_cmp_lt_u32_e64 s25, v78, v139
	s_and_saveexec_b32 s27, s25
	s_cbranch_execz .LBB1759_777
.LBB1759_845:                           ;   in Loop: Header=BB1759_687 Depth=2
	ds_load_u16 v60, v93 offset:6656
	s_wait_dscnt 0x0
	v_cmp_ne_u16_e64 s26, 0x8000, v60
	s_delay_alu instid0(VALU_DEP_1) | instskip(SKIP_1) | instid1(VALU_DEP_2)
	v_cndmask_b32_e64 v61, 0x7fff, v60, s26
	v_cmp_gt_i16_e64 s26, 0, v60
	v_and_b32_e32 v61, 0xffff, v61
	s_delay_alu instid0(VALU_DEP_2) | instskip(NEXT) | instid1(VALU_DEP_1)
	v_cndmask_b32_e64 v140, 0x7fff, 0, s26
	v_dual_lshrrev_b32 v61, s49, v61 :: v_dual_bitop2_b32 v60, v140, v60 bitop3:0x14
	s_delay_alu instid0(VALU_DEP_1) | instskip(NEXT) | instid1(VALU_DEP_1)
	v_and_b32_e32 v61, s52, v61
	v_lshlrev_b32_e32 v61, 2, v61
	ds_load_b32 v61, v61
	s_wait_dscnt 0x0
	v_add_nc_u32_e32 v61, v61, v78
	global_store_b16 v61, v60, s[38:39] scale_offset
	s_wait_xcnt 0x0
	s_or_b32 exec_lo, exec_lo, s27
	v_cmp_lt_u32_e64 s26, v79, v139
	s_and_saveexec_b32 s28, s26
	s_cbranch_execz .LBB1759_778
.LBB1759_846:                           ;   in Loop: Header=BB1759_687 Depth=2
	ds_load_u16 v60, v93 offset:7168
	s_wait_dscnt 0x0
	v_cmp_ne_u16_e64 s27, 0x8000, v60
	s_delay_alu instid0(VALU_DEP_1) | instskip(SKIP_1) | instid1(VALU_DEP_2)
	v_cndmask_b32_e64 v61, 0x7fff, v60, s27
	v_cmp_gt_i16_e64 s27, 0, v60
	v_and_b32_e32 v61, 0xffff, v61
	s_delay_alu instid0(VALU_DEP_2) | instskip(NEXT) | instid1(VALU_DEP_1)
	v_cndmask_b32_e64 v140, 0x7fff, 0, s27
	v_dual_lshrrev_b32 v61, s49, v61 :: v_dual_bitop2_b32 v60, v140, v60 bitop3:0x14
	s_delay_alu instid0(VALU_DEP_1) | instskip(NEXT) | instid1(VALU_DEP_1)
	v_and_b32_e32 v61, s52, v61
	v_lshlrev_b32_e32 v61, 2, v61
	ds_load_b32 v61, v61
	s_wait_dscnt 0x0
	v_add_nc_u32_e32 v61, v61, v79
	global_store_b16 v61, v60, s[38:39] scale_offset
	s_wait_xcnt 0x0
	s_or_b32 exec_lo, exec_lo, s28
	v_cmp_lt_u32_e64 s27, v80, v139
	s_and_saveexec_b32 s29, s27
	s_cbranch_execz .LBB1759_779
.LBB1759_847:                           ;   in Loop: Header=BB1759_687 Depth=2
	ds_load_u16 v60, v93 offset:7680
	s_wait_dscnt 0x0
	v_cmp_ne_u16_e64 s28, 0x8000, v60
	s_delay_alu instid0(VALU_DEP_1) | instskip(SKIP_1) | instid1(VALU_DEP_2)
	v_cndmask_b32_e64 v61, 0x7fff, v60, s28
	v_cmp_gt_i16_e64 s28, 0, v60
	v_and_b32_e32 v61, 0xffff, v61
	s_delay_alu instid0(VALU_DEP_2) | instskip(NEXT) | instid1(VALU_DEP_1)
	v_cndmask_b32_e64 v140, 0x7fff, 0, s28
	v_dual_lshrrev_b32 v61, s49, v61 :: v_dual_bitop2_b32 v60, v140, v60 bitop3:0x14
	s_delay_alu instid0(VALU_DEP_1) | instskip(NEXT) | instid1(VALU_DEP_1)
	v_and_b32_e32 v61, s52, v61
	v_lshlrev_b32_e32 v61, 2, v61
	ds_load_b32 v61, v61
	s_wait_dscnt 0x0
	v_add_nc_u32_e32 v61, v61, v80
	global_store_b16 v61, v60, s[38:39] scale_offset
	s_wait_xcnt 0x0
	s_or_b32 exec_lo, exec_lo, s29
	v_cmp_lt_u32_e64 s28, v81, v139
	s_and_saveexec_b32 s30, s28
	s_cbranch_execz .LBB1759_780
.LBB1759_848:                           ;   in Loop: Header=BB1759_687 Depth=2
	ds_load_u16 v60, v93 offset:8192
	s_wait_dscnt 0x0
	v_cmp_ne_u16_e64 s29, 0x8000, v60
	s_delay_alu instid0(VALU_DEP_1) | instskip(SKIP_1) | instid1(VALU_DEP_2)
	v_cndmask_b32_e64 v61, 0x7fff, v60, s29
	v_cmp_gt_i16_e64 s29, 0, v60
	v_and_b32_e32 v61, 0xffff, v61
	s_delay_alu instid0(VALU_DEP_2) | instskip(NEXT) | instid1(VALU_DEP_1)
	v_cndmask_b32_e64 v140, 0x7fff, 0, s29
	v_dual_lshrrev_b32 v61, s49, v61 :: v_dual_bitop2_b32 v60, v140, v60 bitop3:0x14
	s_delay_alu instid0(VALU_DEP_1) | instskip(NEXT) | instid1(VALU_DEP_1)
	v_and_b32_e32 v61, s52, v61
	v_lshlrev_b32_e32 v61, 2, v61
	ds_load_b32 v61, v61
	s_wait_dscnt 0x0
	v_add_nc_u32_e32 v61, v61, v81
	global_store_b16 v61, v60, s[38:39] scale_offset
	s_wait_xcnt 0x0
	s_or_b32 exec_lo, exec_lo, s30
	v_cmp_lt_u32_e64 s29, v82, v139
	s_and_saveexec_b32 s58, s29
	s_cbranch_execnz .LBB1759_781
	s_branch .LBB1759_782
.LBB1759_849:                           ;   in Loop: Header=BB1759_687 Depth=2
	global_load_b64 v[58:59], v[60:61], off
	s_wait_xcnt 0x0
	s_or_b32 exec_lo, exec_lo, s30
	s_delay_alu instid0(SALU_CYCLE_1)
	s_mov_b32 s42, exec_lo
	v_cmpx_lt_u32_e64 v103, v139
	s_cbranch_execz .LBB1759_784
.LBB1759_850:                           ;   in Loop: Header=BB1759_687 Depth=2
	global_load_b64 v[56:57], v[60:61], off offset:256
	s_wait_xcnt 0x0
	s_or_b32 exec_lo, exec_lo, s42
	s_delay_alu instid0(SALU_CYCLE_1)
	s_mov_b32 s42, exec_lo
	v_cmpx_lt_u32_e64 v104, v139
	s_cbranch_execz .LBB1759_785
.LBB1759_851:                           ;   in Loop: Header=BB1759_687 Depth=2
	global_load_b64 v[54:55], v[60:61], off offset:512
	s_wait_xcnt 0x0
	s_or_b32 exec_lo, exec_lo, s42
	s_delay_alu instid0(SALU_CYCLE_1)
	s_mov_b32 s42, exec_lo
	v_cmpx_lt_u32_e64 v105, v139
	s_cbranch_execz .LBB1759_786
.LBB1759_852:                           ;   in Loop: Header=BB1759_687 Depth=2
	global_load_b64 v[52:53], v[60:61], off offset:768
	s_wait_xcnt 0x0
	s_or_b32 exec_lo, exec_lo, s42
	s_delay_alu instid0(SALU_CYCLE_1)
	s_mov_b32 s42, exec_lo
	v_cmpx_lt_u32_e64 v106, v139
	s_cbranch_execz .LBB1759_787
.LBB1759_853:                           ;   in Loop: Header=BB1759_687 Depth=2
	global_load_b64 v[50:51], v[60:61], off offset:1024
	s_wait_xcnt 0x0
	s_or_b32 exec_lo, exec_lo, s42
	s_delay_alu instid0(SALU_CYCLE_1)
	s_mov_b32 s42, exec_lo
	v_cmpx_lt_u32_e64 v107, v139
	s_cbranch_execz .LBB1759_788
.LBB1759_854:                           ;   in Loop: Header=BB1759_687 Depth=2
	global_load_b64 v[48:49], v[60:61], off offset:1280
	s_wait_xcnt 0x0
	s_or_b32 exec_lo, exec_lo, s42
	s_delay_alu instid0(SALU_CYCLE_1)
	s_mov_b32 s42, exec_lo
	v_cmpx_lt_u32_e64 v108, v139
	s_cbranch_execz .LBB1759_789
.LBB1759_855:                           ;   in Loop: Header=BB1759_687 Depth=2
	global_load_b64 v[46:47], v[60:61], off offset:1536
	s_wait_xcnt 0x0
	s_or_b32 exec_lo, exec_lo, s42
	s_delay_alu instid0(SALU_CYCLE_1)
	s_mov_b32 s42, exec_lo
	v_cmpx_lt_u32_e64 v109, v139
	s_cbranch_execz .LBB1759_790
.LBB1759_856:                           ;   in Loop: Header=BB1759_687 Depth=2
	global_load_b64 v[44:45], v[60:61], off offset:1792
	s_wait_xcnt 0x0
	s_or_b32 exec_lo, exec_lo, s42
	s_delay_alu instid0(SALU_CYCLE_1)
	s_mov_b32 s42, exec_lo
	v_cmpx_lt_u32_e64 v110, v139
	s_cbranch_execz .LBB1759_791
.LBB1759_857:                           ;   in Loop: Header=BB1759_687 Depth=2
	global_load_b64 v[42:43], v[60:61], off offset:2048
	s_wait_xcnt 0x0
	s_or_b32 exec_lo, exec_lo, s42
	s_delay_alu instid0(SALU_CYCLE_1)
	s_mov_b32 s42, exec_lo
	v_cmpx_lt_u32_e64 v111, v139
	s_cbranch_execz .LBB1759_792
.LBB1759_858:                           ;   in Loop: Header=BB1759_687 Depth=2
	global_load_b64 v[40:41], v[60:61], off offset:2304
	s_wait_xcnt 0x0
	s_or_b32 exec_lo, exec_lo, s42
	s_delay_alu instid0(SALU_CYCLE_1)
	s_mov_b32 s42, exec_lo
	v_cmpx_lt_u32_e64 v112, v139
	s_cbranch_execz .LBB1759_793
.LBB1759_859:                           ;   in Loop: Header=BB1759_687 Depth=2
	global_load_b64 v[38:39], v[60:61], off offset:2560
	s_wait_xcnt 0x0
	s_or_b32 exec_lo, exec_lo, s42
	s_delay_alu instid0(SALU_CYCLE_1)
	s_mov_b32 s42, exec_lo
	v_cmpx_lt_u32_e64 v113, v139
	s_cbranch_execz .LBB1759_794
.LBB1759_860:                           ;   in Loop: Header=BB1759_687 Depth=2
	global_load_b64 v[36:37], v[60:61], off offset:2816
	s_wait_xcnt 0x0
	s_or_b32 exec_lo, exec_lo, s42
	s_delay_alu instid0(SALU_CYCLE_1)
	s_mov_b32 s42, exec_lo
	v_cmpx_lt_u32_e64 v114, v139
	s_cbranch_execz .LBB1759_795
.LBB1759_861:                           ;   in Loop: Header=BB1759_687 Depth=2
	global_load_b64 v[34:35], v[60:61], off offset:3072
	s_wait_xcnt 0x0
	s_or_b32 exec_lo, exec_lo, s42
	s_delay_alu instid0(SALU_CYCLE_1)
	s_mov_b32 s42, exec_lo
	v_cmpx_lt_u32_e64 v115, v139
	s_cbranch_execz .LBB1759_796
.LBB1759_862:                           ;   in Loop: Header=BB1759_687 Depth=2
	global_load_b64 v[32:33], v[60:61], off offset:3328
	s_wait_xcnt 0x0
	s_or_b32 exec_lo, exec_lo, s42
	s_delay_alu instid0(SALU_CYCLE_1)
	s_mov_b32 s42, exec_lo
	v_cmpx_lt_u32_e64 v116, v139
	s_cbranch_execz .LBB1759_797
.LBB1759_863:                           ;   in Loop: Header=BB1759_687 Depth=2
	global_load_b64 v[30:31], v[60:61], off offset:3584
	s_wait_xcnt 0x0
	s_or_b32 exec_lo, exec_lo, s42
	s_delay_alu instid0(SALU_CYCLE_1)
	s_mov_b32 s42, exec_lo
	v_cmpx_lt_u32_e64 v117, v139
	s_cbranch_execz .LBB1759_798
.LBB1759_864:                           ;   in Loop: Header=BB1759_687 Depth=2
	global_load_b64 v[28:29], v[60:61], off offset:3840
	s_wait_xcnt 0x0
	s_or_b32 exec_lo, exec_lo, s42
	s_and_saveexec_b32 s42, vcc_lo
	s_cbranch_execz .LBB1759_799
.LBB1759_865:                           ;   in Loop: Header=BB1759_687 Depth=2
	ds_load_u16 v60, v93 offset:1024
	s_wait_dscnt 0x0
	v_cmp_ne_u16_e64 s30, 0x8000, v60
	s_delay_alu instid0(VALU_DEP_1) | instskip(NEXT) | instid1(VALU_DEP_1)
	v_cndmask_b32_e64 v60, 0x7fff, v60, s30
	v_and_b32_e32 v60, 0xffff, v60
	s_delay_alu instid0(VALU_DEP_1) | instskip(NEXT) | instid1(VALU_DEP_1)
	v_lshrrev_b32_e32 v60, s49, v60
	v_and_b32_e32 v138, s52, v60
	s_or_b32 exec_lo, exec_lo, s42
	s_and_saveexec_b32 s42, s15
	s_cbranch_execz .LBB1759_800
.LBB1759_866:                           ;   in Loop: Header=BB1759_687 Depth=2
	ds_load_u16 v60, v93 offset:1536
	s_wait_dscnt 0x0
	v_cmp_ne_u16_e64 s30, 0x8000, v60
	s_delay_alu instid0(VALU_DEP_1) | instskip(NEXT) | instid1(VALU_DEP_1)
	v_cndmask_b32_e64 v60, 0x7fff, v60, s30
	v_and_b32_e32 v60, 0xffff, v60
	s_delay_alu instid0(VALU_DEP_1) | instskip(NEXT) | instid1(VALU_DEP_1)
	v_lshrrev_b32_e32 v60, s49, v60
	v_and_b32_e32 v137, s52, v60
	s_or_b32 exec_lo, exec_lo, s42
	s_and_saveexec_b32 s42, s16
	s_cbranch_execz .LBB1759_801
.LBB1759_867:                           ;   in Loop: Header=BB1759_687 Depth=2
	ds_load_u16 v60, v93 offset:2048
	s_wait_dscnt 0x0
	v_cmp_ne_u16_e64 s30, 0x8000, v60
	s_delay_alu instid0(VALU_DEP_1) | instskip(NEXT) | instid1(VALU_DEP_1)
	v_cndmask_b32_e64 v60, 0x7fff, v60, s30
	v_and_b32_e32 v60, 0xffff, v60
	s_delay_alu instid0(VALU_DEP_1) | instskip(NEXT) | instid1(VALU_DEP_1)
	v_lshrrev_b32_e32 v60, s49, v60
	v_and_b32_e32 v136, s52, v60
	s_or_b32 exec_lo, exec_lo, s42
	s_and_saveexec_b32 s42, s17
	s_cbranch_execz .LBB1759_802
.LBB1759_868:                           ;   in Loop: Header=BB1759_687 Depth=2
	ds_load_u16 v60, v93 offset:2560
	s_wait_dscnt 0x0
	v_cmp_ne_u16_e64 s30, 0x8000, v60
	s_delay_alu instid0(VALU_DEP_1) | instskip(NEXT) | instid1(VALU_DEP_1)
	v_cndmask_b32_e64 v60, 0x7fff, v60, s30
	v_and_b32_e32 v60, 0xffff, v60
	s_delay_alu instid0(VALU_DEP_1) | instskip(NEXT) | instid1(VALU_DEP_1)
	v_lshrrev_b32_e32 v60, s49, v60
	v_and_b32_e32 v135, s52, v60
	s_or_b32 exec_lo, exec_lo, s42
	s_and_saveexec_b32 s42, s18
	s_cbranch_execz .LBB1759_803
.LBB1759_869:                           ;   in Loop: Header=BB1759_687 Depth=2
	ds_load_u16 v60, v93 offset:3072
	s_wait_dscnt 0x0
	v_cmp_ne_u16_e64 s30, 0x8000, v60
	s_delay_alu instid0(VALU_DEP_1) | instskip(NEXT) | instid1(VALU_DEP_1)
	v_cndmask_b32_e64 v60, 0x7fff, v60, s30
	v_and_b32_e32 v60, 0xffff, v60
	s_delay_alu instid0(VALU_DEP_1) | instskip(NEXT) | instid1(VALU_DEP_1)
	v_lshrrev_b32_e32 v60, s49, v60
	v_and_b32_e32 v134, s52, v60
	s_or_b32 exec_lo, exec_lo, s42
	s_and_saveexec_b32 s42, s19
	s_cbranch_execz .LBB1759_804
.LBB1759_870:                           ;   in Loop: Header=BB1759_687 Depth=2
	ds_load_u16 v60, v93 offset:3584
	s_wait_dscnt 0x0
	v_cmp_ne_u16_e64 s30, 0x8000, v60
	s_delay_alu instid0(VALU_DEP_1) | instskip(NEXT) | instid1(VALU_DEP_1)
	v_cndmask_b32_e64 v60, 0x7fff, v60, s30
	v_and_b32_e32 v60, 0xffff, v60
	s_delay_alu instid0(VALU_DEP_1) | instskip(NEXT) | instid1(VALU_DEP_1)
	v_lshrrev_b32_e32 v60, s49, v60
	v_and_b32_e32 v133, s52, v60
	s_or_b32 exec_lo, exec_lo, s42
	s_and_saveexec_b32 s42, s20
	s_cbranch_execz .LBB1759_805
.LBB1759_871:                           ;   in Loop: Header=BB1759_687 Depth=2
	ds_load_u16 v60, v93 offset:4096
	s_wait_dscnt 0x0
	v_cmp_ne_u16_e64 s30, 0x8000, v60
	s_delay_alu instid0(VALU_DEP_1) | instskip(NEXT) | instid1(VALU_DEP_1)
	v_cndmask_b32_e64 v60, 0x7fff, v60, s30
	v_and_b32_e32 v60, 0xffff, v60
	s_delay_alu instid0(VALU_DEP_1) | instskip(NEXT) | instid1(VALU_DEP_1)
	v_lshrrev_b32_e32 v60, s49, v60
	v_and_b32_e32 v132, s52, v60
	s_or_b32 exec_lo, exec_lo, s42
	s_and_saveexec_b32 s42, s21
	s_cbranch_execz .LBB1759_806
.LBB1759_872:                           ;   in Loop: Header=BB1759_687 Depth=2
	ds_load_u16 v60, v93 offset:4608
	s_wait_dscnt 0x0
	v_cmp_ne_u16_e64 s30, 0x8000, v60
	s_delay_alu instid0(VALU_DEP_1) | instskip(NEXT) | instid1(VALU_DEP_1)
	v_cndmask_b32_e64 v60, 0x7fff, v60, s30
	v_and_b32_e32 v60, 0xffff, v60
	s_delay_alu instid0(VALU_DEP_1) | instskip(NEXT) | instid1(VALU_DEP_1)
	v_lshrrev_b32_e32 v60, s49, v60
	v_and_b32_e32 v131, s52, v60
	s_or_b32 exec_lo, exec_lo, s42
	s_and_saveexec_b32 s42, s22
	s_cbranch_execz .LBB1759_807
.LBB1759_873:                           ;   in Loop: Header=BB1759_687 Depth=2
	ds_load_u16 v60, v93 offset:5120
	s_wait_dscnt 0x0
	v_cmp_ne_u16_e64 s30, 0x8000, v60
	s_delay_alu instid0(VALU_DEP_1) | instskip(NEXT) | instid1(VALU_DEP_1)
	v_cndmask_b32_e64 v60, 0x7fff, v60, s30
	v_and_b32_e32 v60, 0xffff, v60
	s_delay_alu instid0(VALU_DEP_1) | instskip(NEXT) | instid1(VALU_DEP_1)
	v_lshrrev_b32_e32 v60, s49, v60
	v_and_b32_e32 v130, s52, v60
	s_or_b32 exec_lo, exec_lo, s42
	s_and_saveexec_b32 s42, s23
	s_cbranch_execz .LBB1759_808
.LBB1759_874:                           ;   in Loop: Header=BB1759_687 Depth=2
	ds_load_u16 v60, v93 offset:5632
	s_wait_dscnt 0x0
	v_cmp_ne_u16_e64 s30, 0x8000, v60
	s_delay_alu instid0(VALU_DEP_1) | instskip(NEXT) | instid1(VALU_DEP_1)
	v_cndmask_b32_e64 v60, 0x7fff, v60, s30
	v_and_b32_e32 v60, 0xffff, v60
	s_delay_alu instid0(VALU_DEP_1) | instskip(NEXT) | instid1(VALU_DEP_1)
	v_lshrrev_b32_e32 v60, s49, v60
	v_and_b32_e32 v129, s52, v60
	s_or_b32 exec_lo, exec_lo, s42
	s_and_saveexec_b32 s42, s24
	s_cbranch_execz .LBB1759_809
.LBB1759_875:                           ;   in Loop: Header=BB1759_687 Depth=2
	ds_load_u16 v60, v93 offset:6144
	s_wait_dscnt 0x0
	v_cmp_ne_u16_e64 s30, 0x8000, v60
	s_delay_alu instid0(VALU_DEP_1) | instskip(NEXT) | instid1(VALU_DEP_1)
	v_cndmask_b32_e64 v60, 0x7fff, v60, s30
	v_and_b32_e32 v60, 0xffff, v60
	s_delay_alu instid0(VALU_DEP_1) | instskip(NEXT) | instid1(VALU_DEP_1)
	v_lshrrev_b32_e32 v60, s49, v60
	v_and_b32_e32 v128, s52, v60
	s_or_b32 exec_lo, exec_lo, s42
	s_and_saveexec_b32 s42, s25
	s_cbranch_execz .LBB1759_810
.LBB1759_876:                           ;   in Loop: Header=BB1759_687 Depth=2
	ds_load_u16 v60, v93 offset:6656
	s_wait_dscnt 0x0
	v_cmp_ne_u16_e64 s30, 0x8000, v60
	s_delay_alu instid0(VALU_DEP_1) | instskip(NEXT) | instid1(VALU_DEP_1)
	v_cndmask_b32_e64 v60, 0x7fff, v60, s30
	v_and_b32_e32 v60, 0xffff, v60
	s_delay_alu instid0(VALU_DEP_1) | instskip(NEXT) | instid1(VALU_DEP_1)
	v_lshrrev_b32_e32 v60, s49, v60
	v_and_b32_e32 v127, s52, v60
	s_or_b32 exec_lo, exec_lo, s42
	s_and_saveexec_b32 s42, s26
	s_cbranch_execz .LBB1759_811
.LBB1759_877:                           ;   in Loop: Header=BB1759_687 Depth=2
	ds_load_u16 v60, v93 offset:7168
	s_wait_dscnt 0x0
	v_cmp_ne_u16_e64 s30, 0x8000, v60
	s_delay_alu instid0(VALU_DEP_1) | instskip(NEXT) | instid1(VALU_DEP_1)
	v_cndmask_b32_e64 v60, 0x7fff, v60, s30
	v_and_b32_e32 v60, 0xffff, v60
	s_delay_alu instid0(VALU_DEP_1) | instskip(NEXT) | instid1(VALU_DEP_1)
	v_lshrrev_b32_e32 v60, s49, v60
	v_and_b32_e32 v126, s52, v60
	s_or_b32 exec_lo, exec_lo, s42
	s_and_saveexec_b32 s42, s27
	s_cbranch_execz .LBB1759_812
.LBB1759_878:                           ;   in Loop: Header=BB1759_687 Depth=2
	ds_load_u16 v60, v93 offset:7680
	s_wait_dscnt 0x0
	v_cmp_ne_u16_e64 s30, 0x8000, v60
	s_delay_alu instid0(VALU_DEP_1) | instskip(NEXT) | instid1(VALU_DEP_1)
	v_cndmask_b32_e64 v60, 0x7fff, v60, s30
	v_and_b32_e32 v60, 0xffff, v60
	s_delay_alu instid0(VALU_DEP_1) | instskip(NEXT) | instid1(VALU_DEP_1)
	v_lshrrev_b32_e32 v60, s49, v60
	v_and_b32_e32 v125, s52, v60
	s_or_b32 exec_lo, exec_lo, s42
	s_and_saveexec_b32 s42, s28
	s_cbranch_execz .LBB1759_813
.LBB1759_879:                           ;   in Loop: Header=BB1759_687 Depth=2
	ds_load_u16 v60, v93 offset:8192
	s_wait_dscnt 0x0
	v_cmp_ne_u16_e64 s30, 0x8000, v60
	s_delay_alu instid0(VALU_DEP_1) | instskip(NEXT) | instid1(VALU_DEP_1)
	v_cndmask_b32_e64 v60, 0x7fff, v60, s30
	v_and_b32_e32 v60, 0xffff, v60
	s_delay_alu instid0(VALU_DEP_1) | instskip(NEXT) | instid1(VALU_DEP_1)
	v_lshrrev_b32_e32 v60, s49, v60
	v_and_b32_e32 v124, s52, v60
	s_or_b32 exec_lo, exec_lo, s42
	s_and_saveexec_b32 s42, s29
	s_cbranch_execnz .LBB1759_814
	s_branch .LBB1759_815
.LBB1759_880:                           ;   in Loop: Header=BB1759_687 Depth=2
	v_lshlrev_b32_e32 v60, 2, v138
	v_add_nc_u32_e32 v61, v93, v94
	ds_load_b32 v63, v60
	ds_load_b64 v[60:61], v61 offset:1024
	s_wait_dscnt 0x1
	v_add_nc_u32_e32 v63, v63, v2
	s_wait_dscnt 0x0
	global_store_b64 v63, v[60:61], s[44:45] scale_offset
	s_wait_xcnt 0x0
	s_or_b32 exec_lo, exec_lo, s30
	s_and_saveexec_b32 s30, s15
	s_cbranch_execz .LBB1759_817
.LBB1759_881:                           ;   in Loop: Header=BB1759_687 Depth=2
	v_dual_lshlrev_b32 v60, 2, v137 :: v_dual_add_nc_u32 v61, v93, v94
	ds_load_b32 v63, v60
	ds_load_b64 v[60:61], v61 offset:3072
	s_wait_dscnt 0x1
	v_add_nc_u32_e32 v63, v63, v68
	s_wait_dscnt 0x0
	global_store_b64 v63, v[60:61], s[44:45] scale_offset
	s_wait_xcnt 0x0
	s_or_b32 exec_lo, exec_lo, s30
	s_and_saveexec_b32 s15, s16
	s_cbranch_execz .LBB1759_818
.LBB1759_882:                           ;   in Loop: Header=BB1759_687 Depth=2
	v_dual_lshlrev_b32 v60, 2, v136 :: v_dual_add_nc_u32 v61, v93, v94
	ds_load_b32 v63, v60
	ds_load_b64 v[60:61], v61 offset:5120
	s_wait_dscnt 0x1
	v_add_nc_u32_e32 v63, v63, v69
	s_wait_dscnt 0x0
	global_store_b64 v63, v[60:61], s[44:45] scale_offset
	s_wait_xcnt 0x0
	s_or_b32 exec_lo, exec_lo, s15
	s_and_saveexec_b32 s15, s17
	s_cbranch_execz .LBB1759_819
.LBB1759_883:                           ;   in Loop: Header=BB1759_687 Depth=2
	v_dual_lshlrev_b32 v60, 2, v135 :: v_dual_add_nc_u32 v61, v93, v94
	ds_load_b32 v63, v60
	ds_load_b64 v[60:61], v61 offset:7168
	s_wait_dscnt 0x1
	v_add_nc_u32_e32 v63, v63, v70
	s_wait_dscnt 0x0
	global_store_b64 v63, v[60:61], s[44:45] scale_offset
	s_wait_xcnt 0x0
	s_or_b32 exec_lo, exec_lo, s15
	s_and_saveexec_b32 s15, s18
	s_cbranch_execz .LBB1759_820
.LBB1759_884:                           ;   in Loop: Header=BB1759_687 Depth=2
	v_lshlrev_b32_e32 v60, 2, v134
	v_add_nc_u32_e32 v61, v93, v94
	ds_load_b32 v63, v60
	ds_load_b64 v[60:61], v61 offset:9216
	s_wait_dscnt 0x1
	v_add_nc_u32_e32 v63, v63, v71
	s_wait_dscnt 0x0
	global_store_b64 v63, v[60:61], s[44:45] scale_offset
	s_wait_xcnt 0x0
	s_or_b32 exec_lo, exec_lo, s15
	s_and_saveexec_b32 s15, s19
	s_cbranch_execz .LBB1759_821
.LBB1759_885:                           ;   in Loop: Header=BB1759_687 Depth=2
	v_dual_lshlrev_b32 v60, 2, v133 :: v_dual_add_nc_u32 v61, v93, v94
	ds_load_b32 v63, v60
	ds_load_b64 v[60:61], v61 offset:11264
	s_wait_dscnt 0x1
	v_add_nc_u32_e32 v63, v63, v72
	s_wait_dscnt 0x0
	global_store_b64 v63, v[60:61], s[44:45] scale_offset
	s_wait_xcnt 0x0
	s_or_b32 exec_lo, exec_lo, s15
	s_and_saveexec_b32 s15, s20
	s_cbranch_execz .LBB1759_822
.LBB1759_886:                           ;   in Loop: Header=BB1759_687 Depth=2
	v_dual_lshlrev_b32 v60, 2, v132 :: v_dual_add_nc_u32 v61, v93, v94
	ds_load_b32 v63, v60
	ds_load_b64 v[60:61], v61 offset:13312
	s_wait_dscnt 0x1
	v_add_nc_u32_e32 v63, v63, v73
	s_wait_dscnt 0x0
	global_store_b64 v63, v[60:61], s[44:45] scale_offset
	s_wait_xcnt 0x0
	s_or_b32 exec_lo, exec_lo, s15
	s_and_saveexec_b32 s15, s21
	s_cbranch_execz .LBB1759_823
.LBB1759_887:                           ;   in Loop: Header=BB1759_687 Depth=2
	v_dual_lshlrev_b32 v60, 2, v131 :: v_dual_add_nc_u32 v61, v93, v94
	ds_load_b32 v63, v60
	ds_load_b64 v[60:61], v61 offset:15360
	s_wait_dscnt 0x1
	v_add_nc_u32_e32 v63, v63, v74
	s_wait_dscnt 0x0
	global_store_b64 v63, v[60:61], s[44:45] scale_offset
	s_wait_xcnt 0x0
	s_or_b32 exec_lo, exec_lo, s15
	s_and_saveexec_b32 s15, s22
	s_cbranch_execz .LBB1759_824
.LBB1759_888:                           ;   in Loop: Header=BB1759_687 Depth=2
	v_lshlrev_b32_e32 v60, 2, v130
	v_add_nc_u32_e32 v61, v93, v94
	ds_load_b32 v63, v60
	ds_load_b64 v[60:61], v61 offset:17408
	s_wait_dscnt 0x1
	v_add_nc_u32_e32 v63, v63, v75
	s_wait_dscnt 0x0
	global_store_b64 v63, v[60:61], s[44:45] scale_offset
	s_wait_xcnt 0x0
	s_or_b32 exec_lo, exec_lo, s15
	s_and_saveexec_b32 s15, s23
	s_cbranch_execz .LBB1759_825
.LBB1759_889:                           ;   in Loop: Header=BB1759_687 Depth=2
	v_dual_lshlrev_b32 v60, 2, v129 :: v_dual_add_nc_u32 v61, v93, v94
	ds_load_b32 v63, v60
	ds_load_b64 v[60:61], v61 offset:19456
	s_wait_dscnt 0x1
	v_add_nc_u32_e32 v63, v63, v76
	s_wait_dscnt 0x0
	global_store_b64 v63, v[60:61], s[44:45] scale_offset
	s_wait_xcnt 0x0
	s_or_b32 exec_lo, exec_lo, s15
	s_and_saveexec_b32 s15, s24
	s_cbranch_execz .LBB1759_826
.LBB1759_890:                           ;   in Loop: Header=BB1759_687 Depth=2
	v_dual_lshlrev_b32 v60, 2, v128 :: v_dual_add_nc_u32 v61, v93, v94
	ds_load_b32 v63, v60
	ds_load_b64 v[60:61], v61 offset:21504
	s_wait_dscnt 0x1
	v_add_nc_u32_e32 v63, v63, v77
	s_wait_dscnt 0x0
	global_store_b64 v63, v[60:61], s[44:45] scale_offset
	s_wait_xcnt 0x0
	s_or_b32 exec_lo, exec_lo, s15
	s_and_saveexec_b32 s15, s25
	s_cbranch_execz .LBB1759_827
.LBB1759_891:                           ;   in Loop: Header=BB1759_687 Depth=2
	v_dual_lshlrev_b32 v60, 2, v127 :: v_dual_add_nc_u32 v61, v93, v94
	ds_load_b32 v63, v60
	ds_load_b64 v[60:61], v61 offset:23552
	s_wait_dscnt 0x1
	v_add_nc_u32_e32 v63, v63, v78
	s_wait_dscnt 0x0
	global_store_b64 v63, v[60:61], s[44:45] scale_offset
	s_wait_xcnt 0x0
	s_or_b32 exec_lo, exec_lo, s15
	s_and_saveexec_b32 s15, s26
	s_cbranch_execz .LBB1759_828
.LBB1759_892:                           ;   in Loop: Header=BB1759_687 Depth=2
	v_lshlrev_b32_e32 v60, 2, v126
	v_add_nc_u32_e32 v61, v93, v94
	ds_load_b32 v63, v60
	ds_load_b64 v[60:61], v61 offset:25600
	s_wait_dscnt 0x1
	v_add_nc_u32_e32 v63, v63, v79
	s_wait_dscnt 0x0
	global_store_b64 v63, v[60:61], s[44:45] scale_offset
	s_wait_xcnt 0x0
	s_or_b32 exec_lo, exec_lo, s15
	s_and_saveexec_b32 s15, s27
	s_cbranch_execz .LBB1759_829
.LBB1759_893:                           ;   in Loop: Header=BB1759_687 Depth=2
	v_dual_lshlrev_b32 v60, 2, v125 :: v_dual_add_nc_u32 v61, v93, v94
	ds_load_b32 v63, v60
	ds_load_b64 v[60:61], v61 offset:27648
	s_wait_dscnt 0x1
	v_add_nc_u32_e32 v63, v63, v80
	s_wait_dscnt 0x0
	global_store_b64 v63, v[60:61], s[44:45] scale_offset
	s_wait_xcnt 0x0
	s_or_b32 exec_lo, exec_lo, s15
	s_and_saveexec_b32 s15, s28
	s_cbranch_execz .LBB1759_830
.LBB1759_894:                           ;   in Loop: Header=BB1759_687 Depth=2
	v_dual_lshlrev_b32 v60, 2, v124 :: v_dual_add_nc_u32 v61, v93, v94
	ds_load_b32 v63, v60
	ds_load_b64 v[60:61], v61 offset:29696
	s_wait_dscnt 0x1
	v_add_nc_u32_e32 v63, v63, v81
	s_wait_dscnt 0x0
	global_store_b64 v63, v[60:61], s[44:45] scale_offset
	s_wait_xcnt 0x0
	s_or_b32 exec_lo, exec_lo, s15
	s_and_saveexec_b32 s15, s29
	s_cbranch_execnz .LBB1759_831
	s_branch .LBB1759_832
.LBB1759_895:                           ;   in Loop: Header=BB1759_17 Depth=1
	s_wait_dscnt 0x0
	s_barrier_signal -1
	s_mov_b32 s7, 0
	s_barrier_wait -1
.LBB1759_896:                           ;   in Loop: Header=BB1759_17 Depth=1
	s_and_b32 vcc_lo, exec_lo, s7
	s_cbranch_vccz .LBB1759_16
; %bb.897:                              ;   in Loop: Header=BB1759_17 Depth=1
	s_mov_b32 s7, s56
	s_mov_b32 s42, s54
	s_barrier_signal -1
	s_barrier_wait -1
                                        ; implicit-def: $vgpr23
                                        ; implicit-def: $vgpr24
                                        ; implicit-def: $vgpr25
                                        ; implicit-def: $vgpr26
                                        ; implicit-def: $vgpr27
                                        ; implicit-def: $vgpr28
                                        ; implicit-def: $vgpr29
                                        ; implicit-def: $vgpr30
                                        ; implicit-def: $vgpr31
                                        ; implicit-def: $vgpr32
                                        ; implicit-def: $vgpr33
                                        ; implicit-def: $vgpr34
                                        ; implicit-def: $vgpr35
                                        ; implicit-def: $vgpr36
                                        ; implicit-def: $vgpr37
                                        ; implicit-def: $vgpr38
	s_branch .LBB1759_899
.LBB1759_898:                           ;   in Loop: Header=BB1759_899 Depth=2
	s_or_b32 exec_lo, exec_lo, s8
	s_addk_co_i32 s7, 0xf000
	s_cmp_ge_u32 s10, s51
	s_mov_b32 s42, s10
	s_cbranch_scc1 .LBB1759_967
.LBB1759_899:                           ;   Parent Loop BB1759_17 Depth=1
                                        ; =>  This Inner Loop Header: Depth=2
	s_add_co_i32 s10, s42, 0x1000
	s_mov_b32 s8, -1
	s_cmp_gt_u32 s10, s51
                                        ; implicit-def: $vgpr39
                                        ; implicit-def: $vgpr40
                                        ; implicit-def: $vgpr41
                                        ; implicit-def: $vgpr42
                                        ; implicit-def: $vgpr43
                                        ; implicit-def: $vgpr44
                                        ; implicit-def: $vgpr45
                                        ; implicit-def: $vgpr46
                                        ; implicit-def: $vgpr47
                                        ; implicit-def: $vgpr48
                                        ; implicit-def: $vgpr49
                                        ; implicit-def: $vgpr50
                                        ; implicit-def: $vgpr51
                                        ; implicit-def: $vgpr52
                                        ; implicit-def: $vgpr53
                                        ; implicit-def: $vgpr54
	s_cbranch_scc1 .LBB1759_901
; %bb.900:                              ;   in Loop: Header=BB1759_899 Depth=2
	v_lshl_add_u64 v[54:55], s[42:43], 1, v[16:17]
	s_mov_b32 s8, 0
	s_clause 0xf
	global_load_u16 v39, v[54:55], off
	global_load_u16 v40, v[54:55], off offset:512
	global_load_u16 v41, v[54:55], off offset:1024
	;; [unrolled: 1-line block ×15, first 2 shown]
.LBB1759_901:                           ;   in Loop: Header=BB1759_899 Depth=2
	s_and_not1_b32 vcc_lo, exec_lo, s8
	s_movk_i32 s8, 0x1000
	s_cbranch_vccnz .LBB1759_920
; %bb.902:                              ;   in Loop: Header=BB1759_899 Depth=2
	s_lshl_b64 s[8:9], s[42:43], 1
	s_mov_b32 s11, exec_lo
	s_add_nc_u64 s[8:9], s[36:37], s[8:9]
	s_wait_xcnt 0x0
	v_cmpx_gt_u32_e64 s7, v2
	s_cbranch_execnz .LBB1759_952
; %bb.903:                              ;   in Loop: Header=BB1759_899 Depth=2
	s_or_b32 exec_lo, exec_lo, s11
	s_delay_alu instid0(SALU_CYCLE_1)
	s_mov_b32 s11, exec_lo
	v_cmpx_gt_u32_e64 s7, v68
	s_cbranch_execnz .LBB1759_953
.LBB1759_904:                           ;   in Loop: Header=BB1759_899 Depth=2
	s_or_b32 exec_lo, exec_lo, s11
	s_delay_alu instid0(SALU_CYCLE_1)
	s_mov_b32 s11, exec_lo
	v_cmpx_gt_u32_e64 s7, v69
	s_cbranch_execnz .LBB1759_954
.LBB1759_905:                           ;   in Loop: Header=BB1759_899 Depth=2
	s_or_b32 exec_lo, exec_lo, s11
	s_delay_alu instid0(SALU_CYCLE_1)
	s_mov_b32 s11, exec_lo
	v_cmpx_gt_u32_e64 s7, v70
	s_cbranch_execnz .LBB1759_955
.LBB1759_906:                           ;   in Loop: Header=BB1759_899 Depth=2
	s_or_b32 exec_lo, exec_lo, s11
	s_delay_alu instid0(SALU_CYCLE_1)
	s_mov_b32 s11, exec_lo
	v_cmpx_gt_u32_e64 s7, v71
	s_cbranch_execnz .LBB1759_956
.LBB1759_907:                           ;   in Loop: Header=BB1759_899 Depth=2
	s_or_b32 exec_lo, exec_lo, s11
	s_delay_alu instid0(SALU_CYCLE_1)
	s_mov_b32 s11, exec_lo
	v_cmpx_gt_u32_e64 s7, v72
	s_cbranch_execnz .LBB1759_957
.LBB1759_908:                           ;   in Loop: Header=BB1759_899 Depth=2
	s_or_b32 exec_lo, exec_lo, s11
	s_delay_alu instid0(SALU_CYCLE_1)
	s_mov_b32 s11, exec_lo
	v_cmpx_gt_u32_e64 s7, v73
	s_cbranch_execnz .LBB1759_958
.LBB1759_909:                           ;   in Loop: Header=BB1759_899 Depth=2
	s_or_b32 exec_lo, exec_lo, s11
	s_delay_alu instid0(SALU_CYCLE_1)
	s_mov_b32 s11, exec_lo
	v_cmpx_gt_u32_e64 s7, v74
	s_cbranch_execnz .LBB1759_959
.LBB1759_910:                           ;   in Loop: Header=BB1759_899 Depth=2
	s_or_b32 exec_lo, exec_lo, s11
	s_delay_alu instid0(SALU_CYCLE_1)
	s_mov_b32 s11, exec_lo
	v_cmpx_gt_u32_e64 s7, v75
	s_cbranch_execnz .LBB1759_960
.LBB1759_911:                           ;   in Loop: Header=BB1759_899 Depth=2
	s_or_b32 exec_lo, exec_lo, s11
	s_delay_alu instid0(SALU_CYCLE_1)
	s_mov_b32 s11, exec_lo
	v_cmpx_gt_u32_e64 s7, v76
	s_cbranch_execnz .LBB1759_961
.LBB1759_912:                           ;   in Loop: Header=BB1759_899 Depth=2
	s_or_b32 exec_lo, exec_lo, s11
	s_delay_alu instid0(SALU_CYCLE_1)
	s_mov_b32 s11, exec_lo
	v_cmpx_gt_u32_e64 s7, v77
	s_cbranch_execnz .LBB1759_962
.LBB1759_913:                           ;   in Loop: Header=BB1759_899 Depth=2
	s_or_b32 exec_lo, exec_lo, s11
	s_delay_alu instid0(SALU_CYCLE_1)
	s_mov_b32 s11, exec_lo
	v_cmpx_gt_u32_e64 s7, v78
	s_cbranch_execnz .LBB1759_963
.LBB1759_914:                           ;   in Loop: Header=BB1759_899 Depth=2
	s_or_b32 exec_lo, exec_lo, s11
	s_delay_alu instid0(SALU_CYCLE_1)
	s_mov_b32 s11, exec_lo
	v_cmpx_gt_u32_e64 s7, v79
	s_cbranch_execnz .LBB1759_964
.LBB1759_915:                           ;   in Loop: Header=BB1759_899 Depth=2
	s_or_b32 exec_lo, exec_lo, s11
	s_delay_alu instid0(SALU_CYCLE_1)
	s_mov_b32 s11, exec_lo
	v_cmpx_gt_u32_e64 s7, v80
	s_cbranch_execnz .LBB1759_965
.LBB1759_916:                           ;   in Loop: Header=BB1759_899 Depth=2
	s_or_b32 exec_lo, exec_lo, s11
	s_delay_alu instid0(SALU_CYCLE_1)
	s_mov_b32 s11, exec_lo
	v_cmpx_gt_u32_e64 s7, v81
	s_cbranch_execnz .LBB1759_966
.LBB1759_917:                           ;   in Loop: Header=BB1759_899 Depth=2
	s_or_b32 exec_lo, exec_lo, s11
	s_delay_alu instid0(SALU_CYCLE_1)
	s_mov_b32 s11, exec_lo
	v_cmpx_gt_u32_e64 s7, v82
	s_cbranch_execz .LBB1759_919
.LBB1759_918:                           ;   in Loop: Header=BB1759_899 Depth=2
	global_load_u16 v23, v2, s[8:9] offset:7680 scale_offset
.LBB1759_919:                           ;   in Loop: Header=BB1759_899 Depth=2
	s_wait_xcnt 0x0
	s_or_b32 exec_lo, exec_lo, s11
	s_wait_loadcnt 0x0
	v_dual_mov_b32 v39, v38 :: v_dual_mov_b32 v40, v37
	v_dual_mov_b32 v41, v36 :: v_dual_mov_b32 v42, v35
	;; [unrolled: 1-line block ×8, first 2 shown]
	s_mov_b32 s8, s7
.LBB1759_920:                           ;   in Loop: Header=BB1759_899 Depth=2
	s_wait_loadcnt 0x0
	s_delay_alu instid0(VALU_DEP_1)
	v_dual_mov_b32 v23, v54 :: v_dual_mov_b32 v24, v53
	v_dual_mov_b32 v25, v52 :: v_dual_mov_b32 v26, v51
	;; [unrolled: 1-line block ×8, first 2 shown]
	s_mov_b32 s9, exec_lo
	s_wait_xcnt 0x0
	v_cmpx_gt_u32_e64 s8, v2
	s_cbranch_execnz .LBB1759_936
; %bb.921:                              ;   in Loop: Header=BB1759_899 Depth=2
	s_or_b32 exec_lo, exec_lo, s9
	s_delay_alu instid0(SALU_CYCLE_1)
	s_mov_b32 s9, exec_lo
	v_cmpx_gt_u32_e64 s8, v68
	s_cbranch_execnz .LBB1759_937
.LBB1759_922:                           ;   in Loop: Header=BB1759_899 Depth=2
	s_or_b32 exec_lo, exec_lo, s9
	s_delay_alu instid0(SALU_CYCLE_1)
	s_mov_b32 s9, exec_lo
	v_cmpx_gt_u32_e64 s8, v69
	s_cbranch_execnz .LBB1759_938
.LBB1759_923:                           ;   in Loop: Header=BB1759_899 Depth=2
	s_or_b32 exec_lo, exec_lo, s9
	s_delay_alu instid0(SALU_CYCLE_1)
	s_mov_b32 s9, exec_lo
	v_cmpx_gt_u32_e64 s8, v70
	s_cbranch_execnz .LBB1759_939
.LBB1759_924:                           ;   in Loop: Header=BB1759_899 Depth=2
	s_or_b32 exec_lo, exec_lo, s9
	s_delay_alu instid0(SALU_CYCLE_1)
	s_mov_b32 s9, exec_lo
	v_cmpx_gt_u32_e64 s8, v71
	s_cbranch_execnz .LBB1759_940
.LBB1759_925:                           ;   in Loop: Header=BB1759_899 Depth=2
	s_or_b32 exec_lo, exec_lo, s9
	s_delay_alu instid0(SALU_CYCLE_1)
	s_mov_b32 s9, exec_lo
	v_cmpx_gt_u32_e64 s8, v72
	s_cbranch_execnz .LBB1759_941
.LBB1759_926:                           ;   in Loop: Header=BB1759_899 Depth=2
	s_or_b32 exec_lo, exec_lo, s9
	s_delay_alu instid0(SALU_CYCLE_1)
	s_mov_b32 s9, exec_lo
	v_cmpx_gt_u32_e64 s8, v73
	s_cbranch_execnz .LBB1759_942
.LBB1759_927:                           ;   in Loop: Header=BB1759_899 Depth=2
	s_or_b32 exec_lo, exec_lo, s9
	s_delay_alu instid0(SALU_CYCLE_1)
	s_mov_b32 s9, exec_lo
	v_cmpx_gt_u32_e64 s8, v74
	s_cbranch_execnz .LBB1759_943
.LBB1759_928:                           ;   in Loop: Header=BB1759_899 Depth=2
	s_or_b32 exec_lo, exec_lo, s9
	s_delay_alu instid0(SALU_CYCLE_1)
	s_mov_b32 s9, exec_lo
	v_cmpx_gt_u32_e64 s8, v75
	s_cbranch_execnz .LBB1759_944
.LBB1759_929:                           ;   in Loop: Header=BB1759_899 Depth=2
	s_or_b32 exec_lo, exec_lo, s9
	s_delay_alu instid0(SALU_CYCLE_1)
	s_mov_b32 s9, exec_lo
	v_cmpx_gt_u32_e64 s8, v76
	s_cbranch_execnz .LBB1759_945
.LBB1759_930:                           ;   in Loop: Header=BB1759_899 Depth=2
	s_or_b32 exec_lo, exec_lo, s9
	s_delay_alu instid0(SALU_CYCLE_1)
	s_mov_b32 s9, exec_lo
	v_cmpx_gt_u32_e64 s8, v77
	s_cbranch_execnz .LBB1759_946
.LBB1759_931:                           ;   in Loop: Header=BB1759_899 Depth=2
	s_or_b32 exec_lo, exec_lo, s9
	s_delay_alu instid0(SALU_CYCLE_1)
	s_mov_b32 s9, exec_lo
	v_cmpx_gt_u32_e64 s8, v78
	s_cbranch_execnz .LBB1759_947
.LBB1759_932:                           ;   in Loop: Header=BB1759_899 Depth=2
	s_or_b32 exec_lo, exec_lo, s9
	s_delay_alu instid0(SALU_CYCLE_1)
	s_mov_b32 s9, exec_lo
	v_cmpx_gt_u32_e64 s8, v79
	s_cbranch_execnz .LBB1759_948
.LBB1759_933:                           ;   in Loop: Header=BB1759_899 Depth=2
	s_or_b32 exec_lo, exec_lo, s9
	s_delay_alu instid0(SALU_CYCLE_1)
	s_mov_b32 s9, exec_lo
	v_cmpx_gt_u32_e64 s8, v80
	s_cbranch_execnz .LBB1759_949
.LBB1759_934:                           ;   in Loop: Header=BB1759_899 Depth=2
	s_or_b32 exec_lo, exec_lo, s9
	s_delay_alu instid0(SALU_CYCLE_1)
	s_mov_b32 s9, exec_lo
	v_cmpx_gt_u32_e64 s8, v81
	s_cbranch_execnz .LBB1759_950
.LBB1759_935:                           ;   in Loop: Header=BB1759_899 Depth=2
	s_or_b32 exec_lo, exec_lo, s9
	v_cmp_gt_u32_e32 vcc_lo, s8, v82
	s_and_saveexec_b32 s8, vcc_lo
	s_cbranch_execz .LBB1759_898
	s_branch .LBB1759_951
.LBB1759_936:                           ;   in Loop: Header=BB1759_899 Depth=2
	v_cmp_gt_i16_e32 vcc_lo, 0, v38
	v_cndmask_b32_e64 v39, 0x7fff, 0, vcc_lo
	s_delay_alu instid0(VALU_DEP_1) | instskip(NEXT) | instid1(VALU_DEP_1)
	v_xor_b32_e32 v39, v39, v38
	v_cmp_ne_u16_e32 vcc_lo, 0x8000, v39
	v_cndmask_b32_e32 v39, 0x7fff, v39, vcc_lo
	s_delay_alu instid0(VALU_DEP_1) | instskip(NEXT) | instid1(VALU_DEP_1)
	v_and_b32_e32 v39, 0xffff, v39
	v_lshrrev_b32_e32 v39, s49, v39
	s_delay_alu instid0(VALU_DEP_1) | instskip(NEXT) | instid1(VALU_DEP_1)
	v_and_b32_e32 v39, s52, v39
	v_lshl_or_b32 v39, v39, 4, v83
	ds_add_u32 v39, v96
	s_or_b32 exec_lo, exec_lo, s9
	s_delay_alu instid0(SALU_CYCLE_1)
	s_mov_b32 s9, exec_lo
	v_cmpx_gt_u32_e64 s8, v68
	s_cbranch_execz .LBB1759_922
.LBB1759_937:                           ;   in Loop: Header=BB1759_899 Depth=2
	v_cmp_gt_i16_e32 vcc_lo, 0, v37
	v_cndmask_b32_e64 v39, 0x7fff, 0, vcc_lo
	s_delay_alu instid0(VALU_DEP_1) | instskip(NEXT) | instid1(VALU_DEP_1)
	v_xor_b32_e32 v39, v39, v37
	v_cmp_ne_u16_e32 vcc_lo, 0x8000, v39
	v_cndmask_b32_e32 v39, 0x7fff, v39, vcc_lo
	s_delay_alu instid0(VALU_DEP_1) | instskip(NEXT) | instid1(VALU_DEP_1)
	v_and_b32_e32 v39, 0xffff, v39
	v_lshrrev_b32_e32 v39, s49, v39
	s_delay_alu instid0(VALU_DEP_1) | instskip(NEXT) | instid1(VALU_DEP_1)
	v_and_b32_e32 v39, s52, v39
	v_lshl_or_b32 v39, v39, 4, v83
	ds_add_u32 v39, v96
	s_or_b32 exec_lo, exec_lo, s9
	s_delay_alu instid0(SALU_CYCLE_1)
	s_mov_b32 s9, exec_lo
	v_cmpx_gt_u32_e64 s8, v69
	s_cbranch_execz .LBB1759_923
.LBB1759_938:                           ;   in Loop: Header=BB1759_899 Depth=2
	v_cmp_gt_i16_e32 vcc_lo, 0, v36
	v_cndmask_b32_e64 v39, 0x7fff, 0, vcc_lo
	s_delay_alu instid0(VALU_DEP_1) | instskip(NEXT) | instid1(VALU_DEP_1)
	v_xor_b32_e32 v39, v39, v36
	v_cmp_ne_u16_e32 vcc_lo, 0x8000, v39
	v_cndmask_b32_e32 v39, 0x7fff, v39, vcc_lo
	s_delay_alu instid0(VALU_DEP_1) | instskip(NEXT) | instid1(VALU_DEP_1)
	v_and_b32_e32 v39, 0xffff, v39
	v_lshrrev_b32_e32 v39, s49, v39
	s_delay_alu instid0(VALU_DEP_1) | instskip(NEXT) | instid1(VALU_DEP_1)
	v_and_b32_e32 v39, s52, v39
	v_lshl_or_b32 v39, v39, 4, v83
	ds_add_u32 v39, v96
	s_or_b32 exec_lo, exec_lo, s9
	s_delay_alu instid0(SALU_CYCLE_1)
	s_mov_b32 s9, exec_lo
	v_cmpx_gt_u32_e64 s8, v70
	s_cbranch_execz .LBB1759_924
.LBB1759_939:                           ;   in Loop: Header=BB1759_899 Depth=2
	v_cmp_gt_i16_e32 vcc_lo, 0, v35
	v_cndmask_b32_e64 v39, 0x7fff, 0, vcc_lo
	s_delay_alu instid0(VALU_DEP_1) | instskip(NEXT) | instid1(VALU_DEP_1)
	v_xor_b32_e32 v39, v39, v35
	v_cmp_ne_u16_e32 vcc_lo, 0x8000, v39
	v_cndmask_b32_e32 v39, 0x7fff, v39, vcc_lo
	s_delay_alu instid0(VALU_DEP_1) | instskip(NEXT) | instid1(VALU_DEP_1)
	v_and_b32_e32 v39, 0xffff, v39
	v_lshrrev_b32_e32 v39, s49, v39
	s_delay_alu instid0(VALU_DEP_1) | instskip(NEXT) | instid1(VALU_DEP_1)
	v_and_b32_e32 v39, s52, v39
	v_lshl_or_b32 v39, v39, 4, v83
	ds_add_u32 v39, v96
	s_or_b32 exec_lo, exec_lo, s9
	s_delay_alu instid0(SALU_CYCLE_1)
	s_mov_b32 s9, exec_lo
	v_cmpx_gt_u32_e64 s8, v71
	s_cbranch_execz .LBB1759_925
.LBB1759_940:                           ;   in Loop: Header=BB1759_899 Depth=2
	v_cmp_gt_i16_e32 vcc_lo, 0, v34
	v_cndmask_b32_e64 v39, 0x7fff, 0, vcc_lo
	s_delay_alu instid0(VALU_DEP_1) | instskip(NEXT) | instid1(VALU_DEP_1)
	v_xor_b32_e32 v39, v39, v34
	v_cmp_ne_u16_e32 vcc_lo, 0x8000, v39
	v_cndmask_b32_e32 v39, 0x7fff, v39, vcc_lo
	s_delay_alu instid0(VALU_DEP_1) | instskip(NEXT) | instid1(VALU_DEP_1)
	v_and_b32_e32 v39, 0xffff, v39
	v_lshrrev_b32_e32 v39, s49, v39
	s_delay_alu instid0(VALU_DEP_1) | instskip(NEXT) | instid1(VALU_DEP_1)
	v_and_b32_e32 v39, s52, v39
	v_lshl_or_b32 v39, v39, 4, v83
	ds_add_u32 v39, v96
	s_or_b32 exec_lo, exec_lo, s9
	s_delay_alu instid0(SALU_CYCLE_1)
	s_mov_b32 s9, exec_lo
	v_cmpx_gt_u32_e64 s8, v72
	s_cbranch_execz .LBB1759_926
.LBB1759_941:                           ;   in Loop: Header=BB1759_899 Depth=2
	v_cmp_gt_i16_e32 vcc_lo, 0, v33
	v_cndmask_b32_e64 v39, 0x7fff, 0, vcc_lo
	s_delay_alu instid0(VALU_DEP_1) | instskip(NEXT) | instid1(VALU_DEP_1)
	v_xor_b32_e32 v39, v39, v33
	v_cmp_ne_u16_e32 vcc_lo, 0x8000, v39
	v_cndmask_b32_e32 v39, 0x7fff, v39, vcc_lo
	s_delay_alu instid0(VALU_DEP_1) | instskip(NEXT) | instid1(VALU_DEP_1)
	v_and_b32_e32 v39, 0xffff, v39
	v_lshrrev_b32_e32 v39, s49, v39
	s_delay_alu instid0(VALU_DEP_1) | instskip(NEXT) | instid1(VALU_DEP_1)
	v_and_b32_e32 v39, s52, v39
	v_lshl_or_b32 v39, v39, 4, v83
	ds_add_u32 v39, v96
	s_or_b32 exec_lo, exec_lo, s9
	s_delay_alu instid0(SALU_CYCLE_1)
	s_mov_b32 s9, exec_lo
	v_cmpx_gt_u32_e64 s8, v73
	s_cbranch_execz .LBB1759_927
.LBB1759_942:                           ;   in Loop: Header=BB1759_899 Depth=2
	v_cmp_gt_i16_e32 vcc_lo, 0, v32
	v_cndmask_b32_e64 v39, 0x7fff, 0, vcc_lo
	s_delay_alu instid0(VALU_DEP_1) | instskip(NEXT) | instid1(VALU_DEP_1)
	v_xor_b32_e32 v39, v39, v32
	v_cmp_ne_u16_e32 vcc_lo, 0x8000, v39
	v_cndmask_b32_e32 v39, 0x7fff, v39, vcc_lo
	s_delay_alu instid0(VALU_DEP_1) | instskip(NEXT) | instid1(VALU_DEP_1)
	v_and_b32_e32 v39, 0xffff, v39
	v_lshrrev_b32_e32 v39, s49, v39
	s_delay_alu instid0(VALU_DEP_1) | instskip(NEXT) | instid1(VALU_DEP_1)
	v_and_b32_e32 v39, s52, v39
	v_lshl_or_b32 v39, v39, 4, v83
	ds_add_u32 v39, v96
	s_or_b32 exec_lo, exec_lo, s9
	s_delay_alu instid0(SALU_CYCLE_1)
	s_mov_b32 s9, exec_lo
	v_cmpx_gt_u32_e64 s8, v74
	s_cbranch_execz .LBB1759_928
.LBB1759_943:                           ;   in Loop: Header=BB1759_899 Depth=2
	v_cmp_gt_i16_e32 vcc_lo, 0, v31
	v_cndmask_b32_e64 v39, 0x7fff, 0, vcc_lo
	s_delay_alu instid0(VALU_DEP_1) | instskip(NEXT) | instid1(VALU_DEP_1)
	v_xor_b32_e32 v39, v39, v31
	v_cmp_ne_u16_e32 vcc_lo, 0x8000, v39
	v_cndmask_b32_e32 v39, 0x7fff, v39, vcc_lo
	s_delay_alu instid0(VALU_DEP_1) | instskip(NEXT) | instid1(VALU_DEP_1)
	v_and_b32_e32 v39, 0xffff, v39
	v_lshrrev_b32_e32 v39, s49, v39
	s_delay_alu instid0(VALU_DEP_1) | instskip(NEXT) | instid1(VALU_DEP_1)
	v_and_b32_e32 v39, s52, v39
	v_lshl_or_b32 v39, v39, 4, v83
	ds_add_u32 v39, v96
	s_or_b32 exec_lo, exec_lo, s9
	s_delay_alu instid0(SALU_CYCLE_1)
	s_mov_b32 s9, exec_lo
	v_cmpx_gt_u32_e64 s8, v75
	s_cbranch_execz .LBB1759_929
.LBB1759_944:                           ;   in Loop: Header=BB1759_899 Depth=2
	v_cmp_gt_i16_e32 vcc_lo, 0, v30
	v_cndmask_b32_e64 v39, 0x7fff, 0, vcc_lo
	s_delay_alu instid0(VALU_DEP_1) | instskip(NEXT) | instid1(VALU_DEP_1)
	v_xor_b32_e32 v39, v39, v30
	v_cmp_ne_u16_e32 vcc_lo, 0x8000, v39
	v_cndmask_b32_e32 v39, 0x7fff, v39, vcc_lo
	s_delay_alu instid0(VALU_DEP_1) | instskip(NEXT) | instid1(VALU_DEP_1)
	v_and_b32_e32 v39, 0xffff, v39
	v_lshrrev_b32_e32 v39, s49, v39
	s_delay_alu instid0(VALU_DEP_1) | instskip(NEXT) | instid1(VALU_DEP_1)
	v_and_b32_e32 v39, s52, v39
	v_lshl_or_b32 v39, v39, 4, v83
	ds_add_u32 v39, v96
	s_or_b32 exec_lo, exec_lo, s9
	s_delay_alu instid0(SALU_CYCLE_1)
	s_mov_b32 s9, exec_lo
	v_cmpx_gt_u32_e64 s8, v76
	s_cbranch_execz .LBB1759_930
.LBB1759_945:                           ;   in Loop: Header=BB1759_899 Depth=2
	v_cmp_gt_i16_e32 vcc_lo, 0, v29
	v_cndmask_b32_e64 v39, 0x7fff, 0, vcc_lo
	s_delay_alu instid0(VALU_DEP_1) | instskip(NEXT) | instid1(VALU_DEP_1)
	v_xor_b32_e32 v39, v39, v29
	v_cmp_ne_u16_e32 vcc_lo, 0x8000, v39
	v_cndmask_b32_e32 v39, 0x7fff, v39, vcc_lo
	s_delay_alu instid0(VALU_DEP_1) | instskip(NEXT) | instid1(VALU_DEP_1)
	v_and_b32_e32 v39, 0xffff, v39
	v_lshrrev_b32_e32 v39, s49, v39
	s_delay_alu instid0(VALU_DEP_1) | instskip(NEXT) | instid1(VALU_DEP_1)
	v_and_b32_e32 v39, s52, v39
	v_lshl_or_b32 v39, v39, 4, v83
	ds_add_u32 v39, v96
	s_or_b32 exec_lo, exec_lo, s9
	s_delay_alu instid0(SALU_CYCLE_1)
	s_mov_b32 s9, exec_lo
	v_cmpx_gt_u32_e64 s8, v77
	s_cbranch_execz .LBB1759_931
.LBB1759_946:                           ;   in Loop: Header=BB1759_899 Depth=2
	v_cmp_gt_i16_e32 vcc_lo, 0, v28
	v_cndmask_b32_e64 v39, 0x7fff, 0, vcc_lo
	s_delay_alu instid0(VALU_DEP_1) | instskip(NEXT) | instid1(VALU_DEP_1)
	v_xor_b32_e32 v39, v39, v28
	v_cmp_ne_u16_e32 vcc_lo, 0x8000, v39
	v_cndmask_b32_e32 v39, 0x7fff, v39, vcc_lo
	s_delay_alu instid0(VALU_DEP_1) | instskip(NEXT) | instid1(VALU_DEP_1)
	v_and_b32_e32 v39, 0xffff, v39
	v_lshrrev_b32_e32 v39, s49, v39
	s_delay_alu instid0(VALU_DEP_1) | instskip(NEXT) | instid1(VALU_DEP_1)
	v_and_b32_e32 v39, s52, v39
	v_lshl_or_b32 v39, v39, 4, v83
	ds_add_u32 v39, v96
	s_or_b32 exec_lo, exec_lo, s9
	s_delay_alu instid0(SALU_CYCLE_1)
	s_mov_b32 s9, exec_lo
	v_cmpx_gt_u32_e64 s8, v78
	s_cbranch_execz .LBB1759_932
.LBB1759_947:                           ;   in Loop: Header=BB1759_899 Depth=2
	v_cmp_gt_i16_e32 vcc_lo, 0, v27
	v_cndmask_b32_e64 v39, 0x7fff, 0, vcc_lo
	s_delay_alu instid0(VALU_DEP_1) | instskip(NEXT) | instid1(VALU_DEP_1)
	v_xor_b32_e32 v39, v39, v27
	v_cmp_ne_u16_e32 vcc_lo, 0x8000, v39
	v_cndmask_b32_e32 v39, 0x7fff, v39, vcc_lo
	s_delay_alu instid0(VALU_DEP_1) | instskip(NEXT) | instid1(VALU_DEP_1)
	v_and_b32_e32 v39, 0xffff, v39
	v_lshrrev_b32_e32 v39, s49, v39
	s_delay_alu instid0(VALU_DEP_1) | instskip(NEXT) | instid1(VALU_DEP_1)
	v_and_b32_e32 v39, s52, v39
	v_lshl_or_b32 v39, v39, 4, v83
	ds_add_u32 v39, v96
	s_or_b32 exec_lo, exec_lo, s9
	s_delay_alu instid0(SALU_CYCLE_1)
	s_mov_b32 s9, exec_lo
	v_cmpx_gt_u32_e64 s8, v79
	s_cbranch_execz .LBB1759_933
.LBB1759_948:                           ;   in Loop: Header=BB1759_899 Depth=2
	v_cmp_gt_i16_e32 vcc_lo, 0, v26
	v_cndmask_b32_e64 v39, 0x7fff, 0, vcc_lo
	s_delay_alu instid0(VALU_DEP_1) | instskip(NEXT) | instid1(VALU_DEP_1)
	v_xor_b32_e32 v39, v39, v26
	v_cmp_ne_u16_e32 vcc_lo, 0x8000, v39
	v_cndmask_b32_e32 v39, 0x7fff, v39, vcc_lo
	s_delay_alu instid0(VALU_DEP_1) | instskip(NEXT) | instid1(VALU_DEP_1)
	v_and_b32_e32 v39, 0xffff, v39
	v_lshrrev_b32_e32 v39, s49, v39
	s_delay_alu instid0(VALU_DEP_1) | instskip(NEXT) | instid1(VALU_DEP_1)
	v_and_b32_e32 v39, s52, v39
	v_lshl_or_b32 v39, v39, 4, v83
	ds_add_u32 v39, v96
	s_or_b32 exec_lo, exec_lo, s9
	s_delay_alu instid0(SALU_CYCLE_1)
	s_mov_b32 s9, exec_lo
	v_cmpx_gt_u32_e64 s8, v80
	s_cbranch_execz .LBB1759_934
.LBB1759_949:                           ;   in Loop: Header=BB1759_899 Depth=2
	v_cmp_gt_i16_e32 vcc_lo, 0, v25
	v_cndmask_b32_e64 v39, 0x7fff, 0, vcc_lo
	s_delay_alu instid0(VALU_DEP_1) | instskip(NEXT) | instid1(VALU_DEP_1)
	v_xor_b32_e32 v39, v39, v25
	v_cmp_ne_u16_e32 vcc_lo, 0x8000, v39
	v_cndmask_b32_e32 v39, 0x7fff, v39, vcc_lo
	s_delay_alu instid0(VALU_DEP_1) | instskip(NEXT) | instid1(VALU_DEP_1)
	v_and_b32_e32 v39, 0xffff, v39
	v_lshrrev_b32_e32 v39, s49, v39
	s_delay_alu instid0(VALU_DEP_1) | instskip(NEXT) | instid1(VALU_DEP_1)
	v_and_b32_e32 v39, s52, v39
	v_lshl_or_b32 v39, v39, 4, v83
	ds_add_u32 v39, v96
	s_or_b32 exec_lo, exec_lo, s9
	s_delay_alu instid0(SALU_CYCLE_1)
	s_mov_b32 s9, exec_lo
	v_cmpx_gt_u32_e64 s8, v81
	s_cbranch_execz .LBB1759_935
.LBB1759_950:                           ;   in Loop: Header=BB1759_899 Depth=2
	v_cmp_gt_i16_e32 vcc_lo, 0, v24
	v_cndmask_b32_e64 v39, 0x7fff, 0, vcc_lo
	s_delay_alu instid0(VALU_DEP_1) | instskip(NEXT) | instid1(VALU_DEP_1)
	v_xor_b32_e32 v39, v39, v24
	v_cmp_ne_u16_e32 vcc_lo, 0x8000, v39
	v_cndmask_b32_e32 v39, 0x7fff, v39, vcc_lo
	s_delay_alu instid0(VALU_DEP_1) | instskip(NEXT) | instid1(VALU_DEP_1)
	v_and_b32_e32 v39, 0xffff, v39
	v_lshrrev_b32_e32 v39, s49, v39
	s_delay_alu instid0(VALU_DEP_1) | instskip(NEXT) | instid1(VALU_DEP_1)
	v_and_b32_e32 v39, s52, v39
	v_lshl_or_b32 v39, v39, 4, v83
	ds_add_u32 v39, v96
	s_or_b32 exec_lo, exec_lo, s9
	v_cmp_gt_u32_e32 vcc_lo, s8, v82
	s_and_saveexec_b32 s8, vcc_lo
	s_cbranch_execz .LBB1759_898
.LBB1759_951:                           ;   in Loop: Header=BB1759_899 Depth=2
	v_cmp_gt_i16_e32 vcc_lo, 0, v23
	v_cndmask_b32_e64 v39, 0x7fff, 0, vcc_lo
	s_delay_alu instid0(VALU_DEP_1) | instskip(NEXT) | instid1(VALU_DEP_1)
	v_xor_b32_e32 v39, v39, v23
	v_cmp_ne_u16_e32 vcc_lo, 0x8000, v39
	v_cndmask_b32_e32 v39, 0x7fff, v39, vcc_lo
	s_delay_alu instid0(VALU_DEP_1) | instskip(NEXT) | instid1(VALU_DEP_1)
	v_and_b32_e32 v39, 0xffff, v39
	v_lshrrev_b32_e32 v39, s49, v39
	s_delay_alu instid0(VALU_DEP_1) | instskip(NEXT) | instid1(VALU_DEP_1)
	v_and_b32_e32 v39, s52, v39
	v_lshl_or_b32 v39, v39, 4, v83
	ds_add_u32 v39, v96
	s_branch .LBB1759_898
.LBB1759_952:                           ;   in Loop: Header=BB1759_899 Depth=2
	global_load_u16 v38, v2, s[8:9] scale_offset
	s_wait_xcnt 0x0
	s_or_b32 exec_lo, exec_lo, s11
	s_delay_alu instid0(SALU_CYCLE_1)
	s_mov_b32 s11, exec_lo
	v_cmpx_gt_u32_e64 s7, v68
	s_cbranch_execz .LBB1759_904
.LBB1759_953:                           ;   in Loop: Header=BB1759_899 Depth=2
	global_load_u16 v37, v2, s[8:9] offset:512 scale_offset
	s_wait_xcnt 0x0
	s_or_b32 exec_lo, exec_lo, s11
	s_delay_alu instid0(SALU_CYCLE_1)
	s_mov_b32 s11, exec_lo
	v_cmpx_gt_u32_e64 s7, v69
	s_cbranch_execz .LBB1759_905
.LBB1759_954:                           ;   in Loop: Header=BB1759_899 Depth=2
	global_load_u16 v36, v2, s[8:9] offset:1024 scale_offset
	s_wait_xcnt 0x0
	s_or_b32 exec_lo, exec_lo, s11
	s_delay_alu instid0(SALU_CYCLE_1)
	s_mov_b32 s11, exec_lo
	v_cmpx_gt_u32_e64 s7, v70
	s_cbranch_execz .LBB1759_906
.LBB1759_955:                           ;   in Loop: Header=BB1759_899 Depth=2
	global_load_u16 v35, v2, s[8:9] offset:1536 scale_offset
	s_wait_xcnt 0x0
	s_or_b32 exec_lo, exec_lo, s11
	s_delay_alu instid0(SALU_CYCLE_1)
	s_mov_b32 s11, exec_lo
	v_cmpx_gt_u32_e64 s7, v71
	s_cbranch_execz .LBB1759_907
.LBB1759_956:                           ;   in Loop: Header=BB1759_899 Depth=2
	global_load_u16 v34, v2, s[8:9] offset:2048 scale_offset
	s_wait_xcnt 0x0
	s_or_b32 exec_lo, exec_lo, s11
	s_delay_alu instid0(SALU_CYCLE_1)
	s_mov_b32 s11, exec_lo
	v_cmpx_gt_u32_e64 s7, v72
	s_cbranch_execz .LBB1759_908
.LBB1759_957:                           ;   in Loop: Header=BB1759_899 Depth=2
	global_load_u16 v33, v2, s[8:9] offset:2560 scale_offset
	s_wait_xcnt 0x0
	s_or_b32 exec_lo, exec_lo, s11
	s_delay_alu instid0(SALU_CYCLE_1)
	s_mov_b32 s11, exec_lo
	v_cmpx_gt_u32_e64 s7, v73
	s_cbranch_execz .LBB1759_909
.LBB1759_958:                           ;   in Loop: Header=BB1759_899 Depth=2
	global_load_u16 v32, v2, s[8:9] offset:3072 scale_offset
	s_wait_xcnt 0x0
	s_or_b32 exec_lo, exec_lo, s11
	s_delay_alu instid0(SALU_CYCLE_1)
	s_mov_b32 s11, exec_lo
	v_cmpx_gt_u32_e64 s7, v74
	s_cbranch_execz .LBB1759_910
.LBB1759_959:                           ;   in Loop: Header=BB1759_899 Depth=2
	global_load_u16 v31, v2, s[8:9] offset:3584 scale_offset
	s_wait_xcnt 0x0
	s_or_b32 exec_lo, exec_lo, s11
	s_delay_alu instid0(SALU_CYCLE_1)
	s_mov_b32 s11, exec_lo
	v_cmpx_gt_u32_e64 s7, v75
	s_cbranch_execz .LBB1759_911
.LBB1759_960:                           ;   in Loop: Header=BB1759_899 Depth=2
	global_load_u16 v30, v2, s[8:9] offset:4096 scale_offset
	s_wait_xcnt 0x0
	s_or_b32 exec_lo, exec_lo, s11
	s_delay_alu instid0(SALU_CYCLE_1)
	s_mov_b32 s11, exec_lo
	v_cmpx_gt_u32_e64 s7, v76
	s_cbranch_execz .LBB1759_912
.LBB1759_961:                           ;   in Loop: Header=BB1759_899 Depth=2
	global_load_u16 v29, v2, s[8:9] offset:4608 scale_offset
	s_wait_xcnt 0x0
	s_or_b32 exec_lo, exec_lo, s11
	s_delay_alu instid0(SALU_CYCLE_1)
	s_mov_b32 s11, exec_lo
	v_cmpx_gt_u32_e64 s7, v77
	s_cbranch_execz .LBB1759_913
.LBB1759_962:                           ;   in Loop: Header=BB1759_899 Depth=2
	global_load_u16 v28, v2, s[8:9] offset:5120 scale_offset
	s_wait_xcnt 0x0
	s_or_b32 exec_lo, exec_lo, s11
	s_delay_alu instid0(SALU_CYCLE_1)
	s_mov_b32 s11, exec_lo
	v_cmpx_gt_u32_e64 s7, v78
	s_cbranch_execz .LBB1759_914
.LBB1759_963:                           ;   in Loop: Header=BB1759_899 Depth=2
	global_load_u16 v27, v2, s[8:9] offset:5632 scale_offset
	s_wait_xcnt 0x0
	s_or_b32 exec_lo, exec_lo, s11
	s_delay_alu instid0(SALU_CYCLE_1)
	s_mov_b32 s11, exec_lo
	v_cmpx_gt_u32_e64 s7, v79
	s_cbranch_execz .LBB1759_915
.LBB1759_964:                           ;   in Loop: Header=BB1759_899 Depth=2
	global_load_u16 v26, v2, s[8:9] offset:6144 scale_offset
	s_wait_xcnt 0x0
	s_or_b32 exec_lo, exec_lo, s11
	s_delay_alu instid0(SALU_CYCLE_1)
	s_mov_b32 s11, exec_lo
	v_cmpx_gt_u32_e64 s7, v80
	s_cbranch_execz .LBB1759_916
.LBB1759_965:                           ;   in Loop: Header=BB1759_899 Depth=2
	global_load_u16 v25, v2, s[8:9] offset:6656 scale_offset
	s_wait_xcnt 0x0
	s_or_b32 exec_lo, exec_lo, s11
	s_delay_alu instid0(SALU_CYCLE_1)
	s_mov_b32 s11, exec_lo
	v_cmpx_gt_u32_e64 s7, v81
	s_cbranch_execz .LBB1759_917
.LBB1759_966:                           ;   in Loop: Header=BB1759_899 Depth=2
	global_load_u16 v24, v2, s[8:9] offset:7168 scale_offset
	s_wait_xcnt 0x0
	s_or_b32 exec_lo, exec_lo, s11
	s_delay_alu instid0(SALU_CYCLE_1)
	s_mov_b32 s11, exec_lo
	v_cmpx_gt_u32_e64 s7, v82
	s_cbranch_execnz .LBB1759_918
	s_branch .LBB1759_919
.LBB1759_967:                           ;   in Loop: Header=BB1759_17 Depth=1
	v_mov_b32_e32 v23, 0
	s_wait_dscnt 0x0
	s_barrier_signal -1
	s_barrier_wait -1
	s_and_saveexec_b32 s7, s0
	s_cbranch_execz .LBB1759_969
; %bb.968:                              ;   in Loop: Header=BB1759_17 Depth=1
	ds_load_2addr_b64 v[24:27], v85 offset1:1
	s_wait_dscnt 0x0
	v_add_nc_u32_e32 v23, v25, v24
	s_delay_alu instid0(VALU_DEP_1)
	v_add3_u32 v23, v23, v26, v27
.LBB1759_969:                           ;   in Loop: Header=BB1759_17 Depth=1
	s_or_b32 exec_lo, exec_lo, s7
	s_delay_alu instid0(VALU_DEP_1)
	v_mov_b32_dpp v24, v23 row_shr:1 row_mask:0xf bank_mask:0xf
	v_cmp_eq_u32_e64 s7, 0, v97
	v_cmp_lt_u32_e64 s8, 1, v97
	v_cmp_lt_u32_e64 s9, 3, v97
	;; [unrolled: 1-line block ×3, first 2 shown]
	v_cmp_eq_u32_e64 s11, 0, v99
	v_cndmask_b32_e64 v24, v24, 0, s7
	s_delay_alu instid0(VALU_DEP_1) | instskip(NEXT) | instid1(VALU_DEP_1)
	v_add_nc_u32_e32 v23, v24, v23
	v_mov_b32_dpp v24, v23 row_shr:2 row_mask:0xf bank_mask:0xf
	s_delay_alu instid0(VALU_DEP_1) | instskip(NEXT) | instid1(VALU_DEP_1)
	v_cndmask_b32_e64 v24, 0, v24, s8
	v_add_nc_u32_e32 v23, v23, v24
	s_delay_alu instid0(VALU_DEP_1) | instskip(NEXT) | instid1(VALU_DEP_1)
	v_mov_b32_dpp v24, v23 row_shr:4 row_mask:0xf bank_mask:0xf
	v_cndmask_b32_e64 v24, 0, v24, s9
	s_delay_alu instid0(VALU_DEP_1) | instskip(NEXT) | instid1(VALU_DEP_1)
	v_add_nc_u32_e32 v23, v23, v24
	v_mov_b32_dpp v24, v23 row_shr:8 row_mask:0xf bank_mask:0xf
	s_delay_alu instid0(VALU_DEP_1) | instskip(NEXT) | instid1(VALU_DEP_1)
	v_cndmask_b32_e64 v24, 0, v24, s10
	v_add_nc_u32_e32 v23, v23, v24
	ds_swizzle_b32 v24, v23 offset:swizzle(BROADCAST,32,15)
	s_wait_dscnt 0x0
	v_and_b32_e32 v24, v98, v24
	s_delay_alu instid0(VALU_DEP_1)
	v_add_nc_u32_e32 v23, v23, v24
	s_and_saveexec_b32 s12, s1
; %bb.970:                              ;   in Loop: Header=BB1759_17 Depth=1
	ds_store_b32 v86, v23
; %bb.971:                              ;   in Loop: Header=BB1759_17 Depth=1
	s_or_b32 exec_lo, exec_lo, s12
	s_wait_dscnt 0x0
	s_barrier_signal -1
	s_barrier_wait -1
	s_and_saveexec_b32 s12, s4
	s_cbranch_execz .LBB1759_973
; %bb.972:                              ;   in Loop: Header=BB1759_17 Depth=1
	ds_load_b32 v24, v87
	v_cmp_ne_u32_e32 vcc_lo, 0, v101
	s_wait_dscnt 0x0
	v_mov_b32_dpp v25, v24 row_shr:1 row_mask:0xf bank_mask:0xf
	s_delay_alu instid0(VALU_DEP_1) | instskip(SKIP_1) | instid1(VALU_DEP_2)
	v_cndmask_b32_e32 v25, 0, v25, vcc_lo
	v_cmp_lt_u32_e32 vcc_lo, 1, v101
	v_add_nc_u32_e32 v24, v25, v24
	s_delay_alu instid0(VALU_DEP_1) | instskip(NEXT) | instid1(VALU_DEP_1)
	v_mov_b32_dpp v25, v24 row_shr:2 row_mask:0xf bank_mask:0xf
	v_cndmask_b32_e32 v25, 0, v25, vcc_lo
	v_cmp_lt_u32_e32 vcc_lo, 3, v101
	s_delay_alu instid0(VALU_DEP_2) | instskip(NEXT) | instid1(VALU_DEP_1)
	v_add_nc_u32_e32 v24, v24, v25
	v_mov_b32_dpp v25, v24 row_shr:4 row_mask:0xf bank_mask:0xf
	s_delay_alu instid0(VALU_DEP_1) | instskip(NEXT) | instid1(VALU_DEP_1)
	v_cndmask_b32_e32 v25, 0, v25, vcc_lo
	v_add_nc_u32_e32 v24, v24, v25
	ds_store_b32 v87, v24
.LBB1759_973:                           ;   in Loop: Header=BB1759_17 Depth=1
	s_or_b32 exec_lo, exec_lo, s12
	v_mov_b32_e32 v24, 0
	s_wait_dscnt 0x0
	s_barrier_signal -1
	s_barrier_wait -1
	s_and_saveexec_b32 s12, s5
; %bb.974:                              ;   in Loop: Header=BB1759_17 Depth=1
	ds_load_b32 v24, v88
; %bb.975:                              ;   in Loop: Header=BB1759_17 Depth=1
	s_or_b32 exec_lo, exec_lo, s12
	v_cmp_gt_i32_e32 vcc_lo, 0, v102
	s_wait_dscnt 0x0
	s_barrier_signal -1
	s_barrier_wait -1
	v_cndmask_b32_e32 v25, v102, v95, vcc_lo
	s_delay_alu instid0(VALU_DEP_1)
	v_dual_add_nc_u32 v23, v24, v23 :: v_dual_lshlrev_b32 v122, 2, v25
	ds_bpermute_b32 v23, v122, v23
	s_and_saveexec_b32 s12, s0
	s_cbranch_execz .LBB1759_977
; %bb.976:                              ;   in Loop: Header=BB1759_17 Depth=1
	s_wait_dscnt 0x0
	v_cndmask_b32_e64 v23, v23, v24, s6
	s_delay_alu instid0(VALU_DEP_1)
	v_add_nc_u32_e32 v23, s54, v23
	ds_store_b32 v3, v23
.LBB1759_977:                           ;   in Loop: Header=BB1759_17 Depth=1
	s_or_b32 exec_lo, exec_lo, s12
	s_load_b64 s[12:13], s[34:35], 0x0
	s_mov_b32 s53, s56
                                        ; implicit-def: $vgpr30_vgpr31
                                        ; implicit-def: $vgpr32_vgpr33
                                        ; implicit-def: $vgpr34_vgpr35
                                        ; implicit-def: $vgpr36_vgpr37
                                        ; implicit-def: $vgpr38_vgpr39
                                        ; implicit-def: $vgpr40_vgpr41
                                        ; implicit-def: $vgpr42_vgpr43
                                        ; implicit-def: $vgpr44_vgpr45
                                        ; implicit-def: $vgpr46_vgpr47
                                        ; implicit-def: $vgpr48_vgpr49
                                        ; implicit-def: $vgpr50_vgpr51
                                        ; implicit-def: $vgpr52_vgpr53
                                        ; implicit-def: $vgpr54_vgpr55
                                        ; implicit-def: $vgpr56_vgpr57
                                        ; implicit-def: $vgpr58_vgpr59
                                        ; implicit-def: $vgpr123
                                        ; implicit-def: $vgpr124
                                        ; implicit-def: $vgpr125
                                        ; implicit-def: $vgpr126
                                        ; implicit-def: $vgpr127
                                        ; implicit-def: $vgpr128
                                        ; implicit-def: $vgpr129
                                        ; implicit-def: $vgpr130
                                        ; implicit-def: $vgpr131
                                        ; implicit-def: $vgpr132
                                        ; implicit-def: $vgpr133
                                        ; implicit-def: $vgpr134
                                        ; implicit-def: $vgpr135
                                        ; implicit-def: $vgpr136
                                        ; implicit-def: $vgpr137
                                        ; implicit-def: $vgpr138
	s_wait_kmcnt 0x0
	s_cmp_lt_u32 s33, s12
	s_cselect_b32 s42, 12, 18
	s_cmp_lt_u32 s31, s13
	s_mov_b32 s13, s43
	s_cselect_b32 s12, 14, 20
	s_delay_alu instid0(SALU_CYCLE_1)
	s_add_nc_u64 s[12:13], s[34:35], s[12:13]
	s_load_u16 s14, s[12:13], 0x0
	s_wait_xcnt 0x0
	s_add_nc_u64 s[12:13], s[34:35], s[42:43]
	s_mov_b32 s42, s54
	s_load_u16 s12, s[12:13], 0x0
	s_wait_xcnt 0x0
	v_cmp_lt_u32_e64 s13, 1, v101
	s_wait_dscnt 0x0
	s_wait_kmcnt 0x0
	v_mad_u32_u24 v23, v89, s14, v90
	v_cmp_lt_u32_e64 s14, 3, v101
	s_delay_alu instid0(VALU_DEP_2) | instskip(SKIP_2) | instid1(VALU_DEP_3)
	v_mad_u32 v24, v23, s12, v2
	v_mov_b32_e32 v23, v5
	v_cmp_eq_u32_e64 s12, 0, v101
	v_lshrrev_b32_e32 v28, 3, v24
	v_add_nc_u64_e32 v[24:25], v[18:19], v[4:5]
	s_delay_alu instid0(VALU_DEP_4) | instskip(NEXT) | instid1(VALU_DEP_3)
	v_add_nc_u64_e32 v[26:27], v[20:21], v[22:23]
	v_and_b32_e32 v23, 0x1ffffffc, v28
                                        ; implicit-def: $vgpr28_vgpr29
	s_branch .LBB1759_979
.LBB1759_978:                           ;   in Loop: Header=BB1759_979 Depth=2
	s_or_b32 exec_lo, exec_lo, s15
	s_addk_co_i32 s53, 0xf000
	s_cmp_lt_u32 s57, s51
	s_mov_b32 s42, s57
	s_cbranch_scc0 .LBB1759_15
.LBB1759_979:                           ;   Parent Loop BB1759_17 Depth=1
                                        ; =>  This Inner Loop Header: Depth=2
	s_add_co_i32 s57, s42, 0x1000
	s_delay_alu instid0(SALU_CYCLE_1)
	s_cmp_gt_u32 s57, s51
	s_cbranch_scc1 .LBB1759_981
; %bb.980:                              ;   in Loop: Header=BB1759_979 Depth=2
	s_delay_alu instid0(VALU_DEP_2)
	v_lshl_add_u64 v[60:61], s[42:43], 1, v[26:27]
	s_mov_b32 s15, -1
	s_clause 0xe
	global_load_u16 v140, v[60:61], off
	global_load_u16 v141, v[60:61], off offset:64
	global_load_u16 v144, v[60:61], off offset:128
	;; [unrolled: 1-line block ×14, first 2 shown]
	s_movk_i32 s16, 0x1000
	s_cbranch_execz .LBB1759_982
	s_branch .LBB1759_1013
.LBB1759_981:                           ;   in Loop: Header=BB1759_979 Depth=2
	s_mov_b32 s15, 0
                                        ; implicit-def: $vgpr140
                                        ; implicit-def: $vgpr141
                                        ; implicit-def: $vgpr144
                                        ; implicit-def: $vgpr148
                                        ; implicit-def: $vgpr152
                                        ; implicit-def: $vgpr156
                                        ; implicit-def: $vgpr160
                                        ; implicit-def: $vgpr164
                                        ; implicit-def: $vgpr168
                                        ; implicit-def: $vgpr67
                                        ; implicit-def: $vgpr66
                                        ; implicit-def: $vgpr65
                                        ; implicit-def: $vgpr64
                                        ; implicit-def: $vgpr63
                                        ; implicit-def: $vgpr62
	s_movk_i32 s16, 0x1000
.LBB1759_982:                           ;   in Loop: Header=BB1759_979 Depth=2
	s_wait_xcnt 0x0
	v_lshl_add_u64 v[60:61], s[42:43], 1, v[26:27]
	s_wait_loadcnt 0xd
	v_dual_mov_b32 v141, -1 :: v_dual_mov_b32 v140, -1
	s_mov_b32 s15, exec_lo
	v_cmpx_gt_u32_e64 s53, v100
	s_cbranch_execz .LBB1759_984
; %bb.983:                              ;   in Loop: Header=BB1759_979 Depth=2
	global_load_u16 v140, v[60:61], off
.LBB1759_984:                           ;   in Loop: Header=BB1759_979 Depth=2
	s_wait_xcnt 0x0
	s_or_b32 exec_lo, exec_lo, s15
	s_delay_alu instid0(SALU_CYCLE_1)
	s_mov_b32 s15, exec_lo
	v_cmpx_gt_u32_e64 s53, v103
	s_cbranch_execz .LBB1759_986
; %bb.985:                              ;   in Loop: Header=BB1759_979 Depth=2
	global_load_u16 v141, v[60:61], off offset:64
.LBB1759_986:                           ;   in Loop: Header=BB1759_979 Depth=2
	s_wait_xcnt 0x0
	s_or_b32 exec_lo, exec_lo, s15
	s_wait_loadcnt 0xb
	v_dual_mov_b32 v148, -1 :: v_dual_mov_b32 v144, -1
	s_mov_b32 s15, exec_lo
	v_cmpx_gt_u32_e64 s53, v104
	s_cbranch_execz .LBB1759_988
; %bb.987:                              ;   in Loop: Header=BB1759_979 Depth=2
	global_load_u16 v144, v[60:61], off offset:128
.LBB1759_988:                           ;   in Loop: Header=BB1759_979 Depth=2
	s_wait_xcnt 0x0
	s_or_b32 exec_lo, exec_lo, s15
	s_delay_alu instid0(SALU_CYCLE_1)
	s_mov_b32 s15, exec_lo
	v_cmpx_gt_u32_e64 s53, v105
	s_cbranch_execz .LBB1759_990
; %bb.989:                              ;   in Loop: Header=BB1759_979 Depth=2
	global_load_u16 v148, v[60:61], off offset:192
.LBB1759_990:                           ;   in Loop: Header=BB1759_979 Depth=2
	s_wait_xcnt 0x0
	s_or_b32 exec_lo, exec_lo, s15
	s_wait_loadcnt 0x9
	v_dual_mov_b32 v156, -1 :: v_dual_mov_b32 v152, -1
	s_mov_b32 s15, exec_lo
	v_cmpx_gt_u32_e64 s53, v106
	s_cbranch_execz .LBB1759_992
; %bb.991:                              ;   in Loop: Header=BB1759_979 Depth=2
	global_load_u16 v152, v[60:61], off offset:256
.LBB1759_992:                           ;   in Loop: Header=BB1759_979 Depth=2
	;; [unrolled: 19-line block ×3, first 2 shown]
	s_wait_xcnt 0x0
	s_or_b32 exec_lo, exec_lo, s15
	s_delay_alu instid0(SALU_CYCLE_1)
	s_mov_b32 s15, exec_lo
	v_cmpx_gt_u32_e64 s53, v109
	s_cbranch_execz .LBB1759_998
; %bb.997:                              ;   in Loop: Header=BB1759_979 Depth=2
	global_load_u16 v164, v[60:61], off offset:448
.LBB1759_998:                           ;   in Loop: Header=BB1759_979 Depth=2
	s_wait_xcnt 0x0
	s_or_b32 exec_lo, exec_lo, s15
	s_wait_loadcnt 0x5
	v_dual_mov_b32 v67, -1 :: v_dual_mov_b32 v168, -1
	s_mov_b32 s15, exec_lo
	v_cmpx_gt_u32_e64 s53, v110
	s_cbranch_execz .LBB1759_1000
; %bb.999:                              ;   in Loop: Header=BB1759_979 Depth=2
	global_load_u16 v168, v[60:61], off offset:512
.LBB1759_1000:                          ;   in Loop: Header=BB1759_979 Depth=2
	s_wait_xcnt 0x0
	s_or_b32 exec_lo, exec_lo, s15
	s_delay_alu instid0(SALU_CYCLE_1)
	s_mov_b32 s15, exec_lo
	v_cmpx_gt_u32_e64 s53, v111
	s_cbranch_execz .LBB1759_1002
; %bb.1001:                             ;   in Loop: Header=BB1759_979 Depth=2
	global_load_u16 v67, v[60:61], off offset:576
.LBB1759_1002:                          ;   in Loop: Header=BB1759_979 Depth=2
	s_wait_xcnt 0x0
	s_or_b32 exec_lo, exec_lo, s15
	s_wait_loadcnt 0x3
	v_dual_mov_b32 v65, -1 :: v_dual_mov_b32 v66, -1
	s_mov_b32 s15, exec_lo
	v_cmpx_gt_u32_e64 s53, v112
	s_cbranch_execz .LBB1759_1004
; %bb.1003:                             ;   in Loop: Header=BB1759_979 Depth=2
	global_load_u16 v66, v[60:61], off offset:640
.LBB1759_1004:                          ;   in Loop: Header=BB1759_979 Depth=2
	s_wait_xcnt 0x0
	s_or_b32 exec_lo, exec_lo, s15
	s_delay_alu instid0(SALU_CYCLE_1)
	s_mov_b32 s15, exec_lo
	v_cmpx_gt_u32_e64 s53, v113
	s_cbranch_execz .LBB1759_1006
; %bb.1005:                             ;   in Loop: Header=BB1759_979 Depth=2
	global_load_u16 v65, v[60:61], off offset:704
.LBB1759_1006:                          ;   in Loop: Header=BB1759_979 Depth=2
	s_wait_xcnt 0x0
	s_or_b32 exec_lo, exec_lo, s15
	s_wait_loadcnt 0x1
	v_dual_mov_b32 v63, -1 :: v_dual_mov_b32 v64, -1
	s_mov_b32 s15, exec_lo
	v_cmpx_gt_u32_e64 s53, v114
	s_cbranch_execz .LBB1759_1008
; %bb.1007:                             ;   in Loop: Header=BB1759_979 Depth=2
	global_load_u16 v64, v[60:61], off offset:768
.LBB1759_1008:                          ;   in Loop: Header=BB1759_979 Depth=2
	s_wait_xcnt 0x0
	s_or_b32 exec_lo, exec_lo, s15
	s_delay_alu instid0(SALU_CYCLE_1)
	s_mov_b32 s15, exec_lo
	v_cmpx_gt_u32_e64 s53, v115
	s_cbranch_execz .LBB1759_1010
; %bb.1009:                             ;   in Loop: Header=BB1759_979 Depth=2
	global_load_u16 v63, v[60:61], off offset:832
.LBB1759_1010:                          ;   in Loop: Header=BB1759_979 Depth=2
	s_wait_xcnt 0x0
	s_or_b32 exec_lo, exec_lo, s15
	s_wait_loadcnt 0x0
	v_mov_b32_e32 v62, -1
	s_mov_b32 s15, exec_lo
	v_cmpx_gt_u32_e64 s53, v116
	s_cbranch_execz .LBB1759_1012
; %bb.1011:                             ;   in Loop: Header=BB1759_979 Depth=2
	global_load_u16 v62, v[60:61], off offset:896
.LBB1759_1012:                          ;   in Loop: Header=BB1759_979 Depth=2
	s_wait_xcnt 0x0
	s_or_b32 exec_lo, exec_lo, s15
	v_cmp_gt_u32_e64 s15, s53, v117
	s_sub_co_i32 s16, s51, s42
.LBB1759_1013:                          ;   in Loop: Header=BB1759_979 Depth=2
	s_wait_xcnt 0x0
	v_dual_mov_b32 v60, -1 :: v_dual_mov_b32 v139, s53
	s_and_saveexec_b32 s17, s15
	s_cbranch_execz .LBB1759_1015
; %bb.1014:                             ;   in Loop: Header=BB1759_979 Depth=2
	v_lshl_add_u64 v[60:61], s[42:43], 1, v[26:27]
	v_mov_b32_e32 v139, s16
	global_load_u16 v60, v[60:61], off offset:960
.LBB1759_1015:                          ;   in Loop: Header=BB1759_979 Depth=2
	s_wait_xcnt 0x0
	s_or_b32 exec_lo, exec_lo, s17
	s_wait_loadcnt 0xe
	v_cmp_gt_i16_e64 vcc_lo, 0, v140
	ds_store_2addr_b32 v121, v5, v5 offset1:1
	ds_store_2addr_b32 v118, v5, v5 offset1:1
	;; [unrolled: 1-line block ×4, first 2 shown]
	ds_store_b32 v91, v5 offset:1088
	s_wait_loadcnt_dscnt 0x0
	s_barrier_signal -1
	v_cndmask_b32_e64 v61, 0x7fff, 0, vcc_lo
	s_barrier_wait -1
	; wave barrier
	s_delay_alu instid0(VALU_DEP_1) | instskip(NEXT) | instid1(VALU_DEP_1)
	v_xor_b32_e32 v140, v61, v140
	v_cmp_ne_u16_e64 vcc_lo, 0x8000, v140
	v_cndmask_b32_e32 v61, 0x7fff, v140, vcc_lo
	s_delay_alu instid0(VALU_DEP_1) | instskip(NEXT) | instid1(VALU_DEP_1)
	v_and_b32_e32 v61, 0xffff, v61
	v_lshrrev_b32_e32 v61, s49, v61
	s_delay_alu instid0(VALU_DEP_1) | instskip(SKIP_1) | instid1(VALU_DEP_2)
	v_bitop3_b32 v142, v61, 1, s52 bitop3:0x80
	v_and_b32_e32 v143, s52, v61
	v_add_co_u32 v61, s15, v142, -1
	s_delay_alu instid0(VALU_DEP_1) | instskip(NEXT) | instid1(VALU_DEP_3)
	v_cndmask_b32_e64 v142, 0, 1, s15
	v_lshlrev_b32_e32 v145, 30, v143
	s_delay_alu instid0(VALU_DEP_2) | instskip(NEXT) | instid1(VALU_DEP_2)
	v_cmp_ne_u32_e32 vcc_lo, 0, v142
	v_not_b32_e32 v142, v145
	s_delay_alu instid0(VALU_DEP_1) | instskip(SKIP_3) | instid1(VALU_DEP_4)
	v_dual_ashrrev_i32 v142, 31, v142 :: v_dual_lshlrev_b32 v146, 29, v143
	v_dual_lshlrev_b32 v147, 28, v143 :: v_dual_lshlrev_b32 v149, 27, v143
	v_lshlrev_b32_e32 v150, 26, v143
	v_cmp_gt_i32_e64 s15, 0, v145
	v_cmp_gt_i32_e64 s16, 0, v146
	v_not_b32_e32 v145, v146
	v_not_b32_e32 v146, v147
	v_dual_lshlrev_b32 v151, 25, v143 :: v_dual_lshlrev_b32 v153, 24, v143
	v_cmp_gt_i32_e64 s17, 0, v147
	v_cmp_gt_i32_e64 s18, 0, v149
	v_not_b32_e32 v147, v149
	v_not_b32_e32 v149, v150
	v_dual_ashrrev_i32 v146, 31, v146 :: v_dual_bitop2_b32 v61, vcc_lo, v61 bitop3:0x14
	v_dual_ashrrev_i32 v145, 31, v145 :: v_dual_bitop2_b32 v142, s15, v142 bitop3:0x14
	v_cmp_gt_i32_e64 s19, 0, v150
	v_cmp_gt_i32_e64 s20, 0, v151
	v_not_b32_e32 v150, v151
	v_not_b32_e32 v151, v153
	v_dual_ashrrev_i32 v147, 31, v147 :: v_dual_ashrrev_i32 v149, 31, v149
	v_xor_b32_e32 v145, s16, v145
	v_xor_b32_e32 v146, s17, v146
	v_bitop3_b32 v61, v61, v142, exec_lo bitop3:0x80
	v_cmp_gt_i32_e64 s21, 0, v153
	v_dual_ashrrev_i32 v142, 31, v150 :: v_dual_ashrrev_i32 v150, 31, v151
	v_xor_b32_e32 v147, s18, v147
	s_delay_alu instid0(VALU_DEP_4) | instskip(SKIP_3) | instid1(VALU_DEP_3)
	v_bitop3_b32 v61, v61, v146, v145 bitop3:0x80
	v_mul_u32_u24_e32 v143, 36, v143
	v_xor_b32_e32 v149, s19, v149
	v_xor_b32_e32 v142, s20, v142
	v_dual_add_nc_u32 v143, v23, v143 :: v_dual_bitop2_b32 v145, s21, v150 bitop3:0x14
	s_delay_alu instid0(VALU_DEP_3) | instskip(NEXT) | instid1(VALU_DEP_1)
	v_bitop3_b32 v61, v61, v149, v147 bitop3:0x80
	v_bitop3_b32 v61, v61, v145, v142 bitop3:0x80
	s_delay_alu instid0(VALU_DEP_1) | instskip(SKIP_1) | instid1(VALU_DEP_2)
	v_mbcnt_lo_u32_b32 v142, v61, 0
	v_cmp_ne_u32_e64 s15, 0, v61
	v_cmp_eq_u32_e32 vcc_lo, 0, v142
	s_and_b32 s16, s15, vcc_lo
	s_delay_alu instid0(SALU_CYCLE_1)
	s_and_saveexec_b32 s15, s16
; %bb.1016:                             ;   in Loop: Header=BB1759_979 Depth=2
	v_bcnt_u32_b32 v61, v61, 0
	ds_store_b32 v143, v61 offset:1056
; %bb.1017:                             ;   in Loop: Header=BB1759_979 Depth=2
	s_or_b32 exec_lo, exec_lo, s15
	v_cmp_gt_i16_e64 vcc_lo, 0, v141
	; wave barrier
	s_delay_alu instid0(VALU_DEP_1) | instskip(NEXT) | instid1(VALU_DEP_1)
	v_cndmask_b32_e64 v61, 0x7fff, 0, vcc_lo
	v_xor_b32_e32 v141, v61, v141
	s_delay_alu instid0(VALU_DEP_1) | instskip(SKIP_1) | instid1(VALU_DEP_1)
	v_cmp_ne_u16_e64 vcc_lo, 0x8000, v141
	v_cndmask_b32_e32 v61, 0x7fff, v141, vcc_lo
	v_and_b32_e32 v61, 0xffff, v61
	s_delay_alu instid0(VALU_DEP_1) | instskip(NEXT) | instid1(VALU_DEP_1)
	v_lshrrev_b32_e32 v61, s49, v61
	v_and_b32_e32 v147, s52, v61
	s_delay_alu instid0(VALU_DEP_1) | instskip(SKIP_2) | instid1(VALU_DEP_3)
	v_lshlrev_b32_e32 v149, 29, v147
	v_bitop3_b32 v145, v61, 1, s52 bitop3:0x80
	v_lshlrev_b32_e32 v146, 30, v147
	v_cmp_gt_i32_e64 s16, 0, v149
	s_delay_alu instid0(VALU_DEP_3) | instskip(NEXT) | instid1(VALU_DEP_1)
	v_add_co_u32 v61, s15, v145, -1
	v_cndmask_b32_e64 v145, 0, 1, s15
	s_delay_alu instid0(VALU_DEP_4) | instskip(NEXT) | instid1(VALU_DEP_2)
	v_cmp_gt_i32_e64 s15, 0, v146
	v_cmp_ne_u32_e32 vcc_lo, 0, v145
	v_not_b32_e32 v145, v146
	v_not_b32_e32 v146, v149
	s_delay_alu instid0(VALU_DEP_1) | instskip(SKIP_2) | instid1(VALU_DEP_3)
	v_dual_ashrrev_i32 v146, 31, v146 :: v_dual_lshlrev_b32 v150, 28, v147
	v_dual_lshlrev_b32 v151, 27, v147 :: v_dual_lshlrev_b32 v153, 26, v147
	v_dual_lshlrev_b32 v154, 25, v147 :: v_dual_lshlrev_b32 v155, 24, v147
	v_cmp_gt_i32_e64 s17, 0, v150
	v_not_b32_e32 v149, v150
	s_delay_alu instid0(VALU_DEP_4)
	v_not_b32_e32 v150, v151
	v_ashrrev_i32_e32 v145, 31, v145
	v_cmp_gt_i32_e64 s18, 0, v151
	v_cmp_gt_i32_e64 s19, 0, v153
	v_not_b32_e32 v151, v153
	v_cmp_gt_i32_e64 s20, 0, v154
	v_not_b32_e32 v153, v154
	v_not_b32_e32 v154, v155
	s_delay_alu instid0(VALU_DEP_4) | instskip(SKIP_3) | instid1(VALU_DEP_3)
	v_dual_ashrrev_i32 v151, 31, v151 :: v_dual_bitop2_b32 v61, vcc_lo, v61 bitop3:0x14
	v_dual_ashrrev_i32 v149, 31, v149 :: v_dual_bitop2_b32 v146, s16, v146 bitop3:0x14
	v_dual_ashrrev_i32 v150, 31, v150 :: v_dual_bitop2_b32 v145, s15, v145 bitop3:0x14
	v_cmp_gt_i32_e64 s21, 0, v155
	v_xor_b32_e32 v149, s17, v149
	v_xor_b32_e32 v151, s19, v151
	s_delay_alu instid0(VALU_DEP_4) | instskip(SKIP_2) | instid1(VALU_DEP_2)
	v_xor_b32_e32 v150, s18, v150
	v_bitop3_b32 v61, v61, v145, exec_lo bitop3:0x80
	v_dual_ashrrev_i32 v145, 31, v153 :: v_dual_ashrrev_i32 v153, 31, v154
	v_bitop3_b32 v61, v61, v149, v146 bitop3:0x80
	v_mad_u32_u24 v146, v147, 36, v23
	s_delay_alu instid0(VALU_DEP_3) | instskip(NEXT) | instid1(VALU_DEP_4)
	v_xor_b32_e32 v149, s20, v145
	v_xor_b32_e32 v153, s21, v153
	v_mul_u32_u24_e32 v147, 36, v147
	v_bitop3_b32 v61, v61, v151, v150 bitop3:0x80
	ds_load_b32 v145, v146 offset:1056
	; wave barrier
	v_add_nc_u32_e32 v147, v23, v147
	v_bitop3_b32 v61, v61, v153, v149 bitop3:0x80
	s_delay_alu instid0(VALU_DEP_1) | instskip(SKIP_1) | instid1(VALU_DEP_2)
	v_mbcnt_lo_u32_b32 v146, v61, 0
	v_cmp_ne_u32_e64 s15, 0, v61
	v_cmp_eq_u32_e32 vcc_lo, 0, v146
	s_and_b32 s16, s15, vcc_lo
	s_delay_alu instid0(SALU_CYCLE_1)
	s_and_saveexec_b32 s15, s16
	s_cbranch_execz .LBB1759_1019
; %bb.1018:                             ;   in Loop: Header=BB1759_979 Depth=2
	s_wait_dscnt 0x0
	v_bcnt_u32_b32 v61, v61, v145
	ds_store_b32 v147, v61 offset:1056
.LBB1759_1019:                          ;   in Loop: Header=BB1759_979 Depth=2
	s_or_b32 exec_lo, exec_lo, s15
	v_cmp_gt_i16_e64 vcc_lo, 0, v144
	; wave barrier
	s_delay_alu instid0(VALU_DEP_1) | instskip(NEXT) | instid1(VALU_DEP_1)
	v_cndmask_b32_e64 v61, 0x7fff, 0, vcc_lo
	v_xor_b32_e32 v144, v61, v144
	s_delay_alu instid0(VALU_DEP_1) | instskip(SKIP_1) | instid1(VALU_DEP_1)
	v_cmp_ne_u16_e64 vcc_lo, 0x8000, v144
	v_cndmask_b32_e32 v61, 0x7fff, v144, vcc_lo
	v_and_b32_e32 v61, 0xffff, v61
	s_delay_alu instid0(VALU_DEP_1) | instskip(NEXT) | instid1(VALU_DEP_1)
	v_lshrrev_b32_e32 v61, s49, v61
	v_bitop3_b32 v149, v61, 1, s52 bitop3:0x80
	v_and_b32_e32 v151, s52, v61
	s_delay_alu instid0(VALU_DEP_2) | instskip(NEXT) | instid1(VALU_DEP_1)
	v_add_co_u32 v61, s15, v149, -1
	v_cndmask_b32_e64 v149, 0, 1, s15
	s_delay_alu instid0(VALU_DEP_3) | instskip(NEXT) | instid1(VALU_DEP_2)
	v_dual_lshlrev_b32 v150, 30, v151 :: v_dual_lshlrev_b32 v153, 29, v151
	v_cmp_ne_u32_e32 vcc_lo, 0, v149
	s_delay_alu instid0(VALU_DEP_2) | instskip(SKIP_1) | instid1(VALU_DEP_4)
	v_cmp_gt_i32_e64 s15, 0, v150
	v_not_b32_e32 v149, v150
	v_not_b32_e32 v150, v153
	s_delay_alu instid0(VALU_DEP_1) | instskip(SKIP_3) | instid1(VALU_DEP_4)
	v_dual_ashrrev_i32 v150, 31, v150 :: v_dual_lshlrev_b32 v154, 28, v151
	v_dual_lshlrev_b32 v155, 27, v151 :: v_dual_lshlrev_b32 v157, 26, v151
	v_dual_lshlrev_b32 v158, 25, v151 :: v_dual_lshlrev_b32 v159, 24, v151
	v_cmp_gt_i32_e64 s16, 0, v153
	v_cmp_gt_i32_e64 s17, 0, v154
	v_not_b32_e32 v153, v154
	v_not_b32_e32 v154, v155
	v_ashrrev_i32_e32 v149, 31, v149
	v_cmp_gt_i32_e64 s18, 0, v155
	v_cmp_gt_i32_e64 s19, 0, v157
	v_not_b32_e32 v155, v157
	v_cmp_gt_i32_e64 s20, 0, v158
	v_not_b32_e32 v157, v158
	v_not_b32_e32 v158, v159
	s_delay_alu instid0(VALU_DEP_4) | instskip(SKIP_3) | instid1(VALU_DEP_3)
	v_dual_ashrrev_i32 v155, 31, v155 :: v_dual_bitop2_b32 v61, vcc_lo, v61 bitop3:0x14
	v_dual_ashrrev_i32 v153, 31, v153 :: v_dual_bitop2_b32 v150, s16, v150 bitop3:0x14
	v_dual_ashrrev_i32 v154, 31, v154 :: v_dual_bitop2_b32 v149, s15, v149 bitop3:0x14
	v_cmp_gt_i32_e64 s21, 0, v159
	v_xor_b32_e32 v153, s17, v153
	v_xor_b32_e32 v155, s19, v155
	s_delay_alu instid0(VALU_DEP_4) | instskip(SKIP_2) | instid1(VALU_DEP_2)
	v_xor_b32_e32 v154, s18, v154
	v_bitop3_b32 v61, v61, v149, exec_lo bitop3:0x80
	v_dual_ashrrev_i32 v149, 31, v157 :: v_dual_ashrrev_i32 v157, 31, v158
	v_bitop3_b32 v61, v61, v153, v150 bitop3:0x80
	v_mad_u32_u24 v150, v151, 36, v23
	s_delay_alu instid0(VALU_DEP_3) | instskip(NEXT) | instid1(VALU_DEP_4)
	v_xor_b32_e32 v153, s20, v149
	v_xor_b32_e32 v157, s21, v157
	v_mul_u32_u24_e32 v151, 36, v151
	v_bitop3_b32 v61, v61, v155, v154 bitop3:0x80
	ds_load_b32 v149, v150 offset:1056
	; wave barrier
	v_add_nc_u32_e32 v151, v23, v151
	v_bitop3_b32 v61, v61, v157, v153 bitop3:0x80
	s_delay_alu instid0(VALU_DEP_1) | instskip(SKIP_1) | instid1(VALU_DEP_2)
	v_mbcnt_lo_u32_b32 v150, v61, 0
	v_cmp_ne_u32_e64 s15, 0, v61
	v_cmp_eq_u32_e32 vcc_lo, 0, v150
	s_and_b32 s16, s15, vcc_lo
	s_delay_alu instid0(SALU_CYCLE_1)
	s_and_saveexec_b32 s15, s16
	s_cbranch_execz .LBB1759_1021
; %bb.1020:                             ;   in Loop: Header=BB1759_979 Depth=2
	s_wait_dscnt 0x0
	v_bcnt_u32_b32 v61, v61, v149
	ds_store_b32 v151, v61 offset:1056
.LBB1759_1021:                          ;   in Loop: Header=BB1759_979 Depth=2
	s_or_b32 exec_lo, exec_lo, s15
	v_cmp_gt_i16_e64 vcc_lo, 0, v148
	; wave barrier
	s_delay_alu instid0(VALU_DEP_1) | instskip(NEXT) | instid1(VALU_DEP_1)
	v_cndmask_b32_e64 v61, 0x7fff, 0, vcc_lo
	v_xor_b32_e32 v148, v61, v148
	s_delay_alu instid0(VALU_DEP_1) | instskip(SKIP_1) | instid1(VALU_DEP_1)
	v_cmp_ne_u16_e64 vcc_lo, 0x8000, v148
	v_cndmask_b32_e32 v61, 0x7fff, v148, vcc_lo
	v_and_b32_e32 v61, 0xffff, v61
	s_delay_alu instid0(VALU_DEP_1) | instskip(NEXT) | instid1(VALU_DEP_1)
	v_lshrrev_b32_e32 v61, s49, v61
	v_bitop3_b32 v153, v61, 1, s52 bitop3:0x80
	v_and_b32_e32 v155, s52, v61
	s_delay_alu instid0(VALU_DEP_2) | instskip(NEXT) | instid1(VALU_DEP_1)
	v_add_co_u32 v61, s15, v153, -1
	v_cndmask_b32_e64 v153, 0, 1, s15
	s_delay_alu instid0(VALU_DEP_3) | instskip(NEXT) | instid1(VALU_DEP_2)
	v_dual_lshlrev_b32 v154, 30, v155 :: v_dual_lshlrev_b32 v157, 29, v155
	v_cmp_ne_u32_e32 vcc_lo, 0, v153
	s_delay_alu instid0(VALU_DEP_2) | instskip(SKIP_1) | instid1(VALU_DEP_4)
	v_cmp_gt_i32_e64 s15, 0, v154
	v_not_b32_e32 v153, v154
	v_not_b32_e32 v154, v157
	s_delay_alu instid0(VALU_DEP_1) | instskip(SKIP_3) | instid1(VALU_DEP_4)
	v_dual_ashrrev_i32 v154, 31, v154 :: v_dual_lshlrev_b32 v158, 28, v155
	v_dual_lshlrev_b32 v159, 27, v155 :: v_dual_lshlrev_b32 v161, 26, v155
	v_dual_lshlrev_b32 v162, 25, v155 :: v_dual_lshlrev_b32 v163, 24, v155
	v_cmp_gt_i32_e64 s16, 0, v157
	v_cmp_gt_i32_e64 s17, 0, v158
	v_not_b32_e32 v157, v158
	v_not_b32_e32 v158, v159
	v_ashrrev_i32_e32 v153, 31, v153
	v_cmp_gt_i32_e64 s18, 0, v159
	v_cmp_gt_i32_e64 s19, 0, v161
	v_not_b32_e32 v159, v161
	v_cmp_gt_i32_e64 s20, 0, v162
	v_not_b32_e32 v161, v162
	v_not_b32_e32 v162, v163
	s_delay_alu instid0(VALU_DEP_4) | instskip(SKIP_3) | instid1(VALU_DEP_3)
	v_dual_ashrrev_i32 v159, 31, v159 :: v_dual_bitop2_b32 v61, vcc_lo, v61 bitop3:0x14
	v_dual_ashrrev_i32 v157, 31, v157 :: v_dual_bitop2_b32 v154, s16, v154 bitop3:0x14
	v_dual_ashrrev_i32 v158, 31, v158 :: v_dual_bitop2_b32 v153, s15, v153 bitop3:0x14
	v_cmp_gt_i32_e64 s21, 0, v163
	v_xor_b32_e32 v157, s17, v157
	v_xor_b32_e32 v159, s19, v159
	s_delay_alu instid0(VALU_DEP_4) | instskip(SKIP_2) | instid1(VALU_DEP_2)
	v_xor_b32_e32 v158, s18, v158
	v_bitop3_b32 v61, v61, v153, exec_lo bitop3:0x80
	v_dual_ashrrev_i32 v153, 31, v161 :: v_dual_ashrrev_i32 v161, 31, v162
	v_bitop3_b32 v61, v61, v157, v154 bitop3:0x80
	v_mad_u32_u24 v154, v155, 36, v23
	s_delay_alu instid0(VALU_DEP_3) | instskip(NEXT) | instid1(VALU_DEP_4)
	v_xor_b32_e32 v157, s20, v153
	v_xor_b32_e32 v161, s21, v161
	v_mul_u32_u24_e32 v155, 36, v155
	v_bitop3_b32 v61, v61, v159, v158 bitop3:0x80
	ds_load_b32 v153, v154 offset:1056
	; wave barrier
	v_add_nc_u32_e32 v155, v23, v155
	v_bitop3_b32 v61, v61, v161, v157 bitop3:0x80
	s_delay_alu instid0(VALU_DEP_1) | instskip(SKIP_1) | instid1(VALU_DEP_2)
	v_mbcnt_lo_u32_b32 v154, v61, 0
	v_cmp_ne_u32_e64 s15, 0, v61
	v_cmp_eq_u32_e32 vcc_lo, 0, v154
	s_and_b32 s16, s15, vcc_lo
	s_delay_alu instid0(SALU_CYCLE_1)
	s_and_saveexec_b32 s15, s16
	s_cbranch_execz .LBB1759_1023
; %bb.1022:                             ;   in Loop: Header=BB1759_979 Depth=2
	s_wait_dscnt 0x0
	v_bcnt_u32_b32 v61, v61, v153
	ds_store_b32 v155, v61 offset:1056
.LBB1759_1023:                          ;   in Loop: Header=BB1759_979 Depth=2
	s_or_b32 exec_lo, exec_lo, s15
	v_cmp_gt_i16_e64 vcc_lo, 0, v152
	; wave barrier
	s_delay_alu instid0(VALU_DEP_1) | instskip(NEXT) | instid1(VALU_DEP_1)
	v_cndmask_b32_e64 v61, 0x7fff, 0, vcc_lo
	v_xor_b32_e32 v152, v61, v152
	s_delay_alu instid0(VALU_DEP_1) | instskip(SKIP_1) | instid1(VALU_DEP_1)
	v_cmp_ne_u16_e64 vcc_lo, 0x8000, v152
	v_cndmask_b32_e32 v61, 0x7fff, v152, vcc_lo
	v_and_b32_e32 v61, 0xffff, v61
	s_delay_alu instid0(VALU_DEP_1) | instskip(NEXT) | instid1(VALU_DEP_1)
	v_lshrrev_b32_e32 v61, s49, v61
	v_bitop3_b32 v157, v61, 1, s52 bitop3:0x80
	v_and_b32_e32 v159, s52, v61
	s_delay_alu instid0(VALU_DEP_2) | instskip(NEXT) | instid1(VALU_DEP_1)
	v_add_co_u32 v61, s15, v157, -1
	v_cndmask_b32_e64 v157, 0, 1, s15
	s_delay_alu instid0(VALU_DEP_3) | instskip(NEXT) | instid1(VALU_DEP_2)
	v_dual_lshlrev_b32 v158, 30, v159 :: v_dual_lshlrev_b32 v161, 29, v159
	v_cmp_ne_u32_e32 vcc_lo, 0, v157
	s_delay_alu instid0(VALU_DEP_2) | instskip(SKIP_1) | instid1(VALU_DEP_4)
	v_cmp_gt_i32_e64 s15, 0, v158
	v_not_b32_e32 v157, v158
	v_not_b32_e32 v158, v161
	s_delay_alu instid0(VALU_DEP_1) | instskip(SKIP_3) | instid1(VALU_DEP_4)
	v_dual_ashrrev_i32 v158, 31, v158 :: v_dual_lshlrev_b32 v162, 28, v159
	v_dual_lshlrev_b32 v163, 27, v159 :: v_dual_lshlrev_b32 v165, 26, v159
	v_dual_lshlrev_b32 v166, 25, v159 :: v_dual_lshlrev_b32 v167, 24, v159
	v_cmp_gt_i32_e64 s16, 0, v161
	v_cmp_gt_i32_e64 s17, 0, v162
	v_not_b32_e32 v161, v162
	v_not_b32_e32 v162, v163
	v_ashrrev_i32_e32 v157, 31, v157
	v_cmp_gt_i32_e64 s18, 0, v163
	v_cmp_gt_i32_e64 s19, 0, v165
	v_not_b32_e32 v163, v165
	v_cmp_gt_i32_e64 s20, 0, v166
	v_not_b32_e32 v165, v166
	v_not_b32_e32 v166, v167
	s_delay_alu instid0(VALU_DEP_4) | instskip(SKIP_3) | instid1(VALU_DEP_3)
	v_dual_ashrrev_i32 v163, 31, v163 :: v_dual_bitop2_b32 v61, vcc_lo, v61 bitop3:0x14
	v_dual_ashrrev_i32 v161, 31, v161 :: v_dual_bitop2_b32 v158, s16, v158 bitop3:0x14
	v_dual_ashrrev_i32 v162, 31, v162 :: v_dual_bitop2_b32 v157, s15, v157 bitop3:0x14
	v_cmp_gt_i32_e64 s21, 0, v167
	v_xor_b32_e32 v161, s17, v161
	v_xor_b32_e32 v163, s19, v163
	s_delay_alu instid0(VALU_DEP_4) | instskip(SKIP_2) | instid1(VALU_DEP_2)
	v_xor_b32_e32 v162, s18, v162
	v_bitop3_b32 v61, v61, v157, exec_lo bitop3:0x80
	v_dual_ashrrev_i32 v157, 31, v165 :: v_dual_ashrrev_i32 v165, 31, v166
	v_bitop3_b32 v61, v61, v161, v158 bitop3:0x80
	v_mad_u32_u24 v158, v159, 36, v23
	s_delay_alu instid0(VALU_DEP_3) | instskip(NEXT) | instid1(VALU_DEP_4)
	v_xor_b32_e32 v161, s20, v157
	v_xor_b32_e32 v165, s21, v165
	v_mul_u32_u24_e32 v159, 36, v159
	v_bitop3_b32 v61, v61, v163, v162 bitop3:0x80
	ds_load_b32 v157, v158 offset:1056
	; wave barrier
	v_add_nc_u32_e32 v159, v23, v159
	v_bitop3_b32 v61, v61, v165, v161 bitop3:0x80
	s_delay_alu instid0(VALU_DEP_1) | instskip(SKIP_1) | instid1(VALU_DEP_2)
	v_mbcnt_lo_u32_b32 v158, v61, 0
	v_cmp_ne_u32_e64 s15, 0, v61
	v_cmp_eq_u32_e32 vcc_lo, 0, v158
	s_and_b32 s16, s15, vcc_lo
	s_delay_alu instid0(SALU_CYCLE_1)
	s_and_saveexec_b32 s15, s16
	s_cbranch_execz .LBB1759_1025
; %bb.1024:                             ;   in Loop: Header=BB1759_979 Depth=2
	s_wait_dscnt 0x0
	v_bcnt_u32_b32 v61, v61, v157
	ds_store_b32 v159, v61 offset:1056
.LBB1759_1025:                          ;   in Loop: Header=BB1759_979 Depth=2
	s_or_b32 exec_lo, exec_lo, s15
	v_cmp_gt_i16_e64 vcc_lo, 0, v156
	; wave barrier
	s_delay_alu instid0(VALU_DEP_1) | instskip(NEXT) | instid1(VALU_DEP_1)
	v_cndmask_b32_e64 v61, 0x7fff, 0, vcc_lo
	v_xor_b32_e32 v156, v61, v156
	s_delay_alu instid0(VALU_DEP_1) | instskip(SKIP_1) | instid1(VALU_DEP_1)
	v_cmp_ne_u16_e64 vcc_lo, 0x8000, v156
	v_cndmask_b32_e32 v61, 0x7fff, v156, vcc_lo
	v_and_b32_e32 v61, 0xffff, v61
	s_delay_alu instid0(VALU_DEP_1) | instskip(NEXT) | instid1(VALU_DEP_1)
	v_lshrrev_b32_e32 v61, s49, v61
	v_bitop3_b32 v161, v61, 1, s52 bitop3:0x80
	v_and_b32_e32 v163, s52, v61
	s_delay_alu instid0(VALU_DEP_2) | instskip(NEXT) | instid1(VALU_DEP_1)
	v_add_co_u32 v61, s15, v161, -1
	v_cndmask_b32_e64 v161, 0, 1, s15
	s_delay_alu instid0(VALU_DEP_3) | instskip(NEXT) | instid1(VALU_DEP_2)
	v_dual_lshlrev_b32 v162, 30, v163 :: v_dual_lshlrev_b32 v165, 29, v163
	v_cmp_ne_u32_e32 vcc_lo, 0, v161
	s_delay_alu instid0(VALU_DEP_2) | instskip(SKIP_1) | instid1(VALU_DEP_4)
	v_cmp_gt_i32_e64 s15, 0, v162
	v_not_b32_e32 v161, v162
	v_not_b32_e32 v162, v165
	s_delay_alu instid0(VALU_DEP_1) | instskip(SKIP_3) | instid1(VALU_DEP_4)
	v_dual_ashrrev_i32 v162, 31, v162 :: v_dual_lshlrev_b32 v166, 28, v163
	v_dual_lshlrev_b32 v167, 27, v163 :: v_dual_lshlrev_b32 v169, 26, v163
	v_dual_lshlrev_b32 v170, 25, v163 :: v_dual_lshlrev_b32 v171, 24, v163
	v_cmp_gt_i32_e64 s16, 0, v165
	v_cmp_gt_i32_e64 s17, 0, v166
	v_not_b32_e32 v165, v166
	v_not_b32_e32 v166, v167
	v_ashrrev_i32_e32 v161, 31, v161
	v_cmp_gt_i32_e64 s18, 0, v167
	v_cmp_gt_i32_e64 s19, 0, v169
	v_not_b32_e32 v167, v169
	v_cmp_gt_i32_e64 s20, 0, v170
	v_not_b32_e32 v169, v170
	v_not_b32_e32 v170, v171
	s_delay_alu instid0(VALU_DEP_4) | instskip(SKIP_3) | instid1(VALU_DEP_3)
	v_dual_ashrrev_i32 v167, 31, v167 :: v_dual_bitop2_b32 v61, vcc_lo, v61 bitop3:0x14
	v_dual_ashrrev_i32 v165, 31, v165 :: v_dual_bitop2_b32 v162, s16, v162 bitop3:0x14
	v_dual_ashrrev_i32 v166, 31, v166 :: v_dual_bitop2_b32 v161, s15, v161 bitop3:0x14
	v_cmp_gt_i32_e64 s21, 0, v171
	v_xor_b32_e32 v165, s17, v165
	v_xor_b32_e32 v167, s19, v167
	s_delay_alu instid0(VALU_DEP_4) | instskip(SKIP_2) | instid1(VALU_DEP_2)
	v_xor_b32_e32 v166, s18, v166
	v_bitop3_b32 v61, v61, v161, exec_lo bitop3:0x80
	v_dual_ashrrev_i32 v161, 31, v169 :: v_dual_ashrrev_i32 v169, 31, v170
	v_bitop3_b32 v61, v61, v165, v162 bitop3:0x80
	v_mad_u32_u24 v162, v163, 36, v23
	s_delay_alu instid0(VALU_DEP_3) | instskip(NEXT) | instid1(VALU_DEP_4)
	v_xor_b32_e32 v165, s20, v161
	v_xor_b32_e32 v169, s21, v169
	v_mul_u32_u24_e32 v163, 36, v163
	v_bitop3_b32 v61, v61, v167, v166 bitop3:0x80
	ds_load_b32 v161, v162 offset:1056
	; wave barrier
	v_add_nc_u32_e32 v163, v23, v163
	v_bitop3_b32 v61, v61, v169, v165 bitop3:0x80
	s_delay_alu instid0(VALU_DEP_1) | instskip(SKIP_1) | instid1(VALU_DEP_2)
	v_mbcnt_lo_u32_b32 v162, v61, 0
	v_cmp_ne_u32_e64 s15, 0, v61
	v_cmp_eq_u32_e32 vcc_lo, 0, v162
	s_and_b32 s16, s15, vcc_lo
	s_delay_alu instid0(SALU_CYCLE_1)
	s_and_saveexec_b32 s15, s16
	s_cbranch_execz .LBB1759_1027
; %bb.1026:                             ;   in Loop: Header=BB1759_979 Depth=2
	s_wait_dscnt 0x0
	v_bcnt_u32_b32 v61, v61, v161
	ds_store_b32 v163, v61 offset:1056
.LBB1759_1027:                          ;   in Loop: Header=BB1759_979 Depth=2
	s_or_b32 exec_lo, exec_lo, s15
	v_cmp_gt_i16_e64 vcc_lo, 0, v160
	; wave barrier
	s_delay_alu instid0(VALU_DEP_1) | instskip(NEXT) | instid1(VALU_DEP_1)
	v_cndmask_b32_e64 v61, 0x7fff, 0, vcc_lo
	v_xor_b32_e32 v160, v61, v160
	s_delay_alu instid0(VALU_DEP_1) | instskip(SKIP_1) | instid1(VALU_DEP_1)
	v_cmp_ne_u16_e64 vcc_lo, 0x8000, v160
	v_cndmask_b32_e32 v61, 0x7fff, v160, vcc_lo
	v_and_b32_e32 v61, 0xffff, v61
	s_delay_alu instid0(VALU_DEP_1) | instskip(NEXT) | instid1(VALU_DEP_1)
	v_lshrrev_b32_e32 v61, s49, v61
	v_bitop3_b32 v165, v61, 1, s52 bitop3:0x80
	v_and_b32_e32 v167, s52, v61
	s_delay_alu instid0(VALU_DEP_2) | instskip(NEXT) | instid1(VALU_DEP_1)
	v_add_co_u32 v61, s15, v165, -1
	v_cndmask_b32_e64 v165, 0, 1, s15
	s_delay_alu instid0(VALU_DEP_3) | instskip(NEXT) | instid1(VALU_DEP_2)
	v_dual_lshlrev_b32 v166, 30, v167 :: v_dual_lshlrev_b32 v169, 29, v167
	v_cmp_ne_u32_e32 vcc_lo, 0, v165
	s_delay_alu instid0(VALU_DEP_2) | instskip(SKIP_1) | instid1(VALU_DEP_4)
	v_cmp_gt_i32_e64 s15, 0, v166
	v_not_b32_e32 v165, v166
	v_not_b32_e32 v166, v169
	s_delay_alu instid0(VALU_DEP_1) | instskip(SKIP_3) | instid1(VALU_DEP_4)
	v_dual_ashrrev_i32 v166, 31, v166 :: v_dual_lshlrev_b32 v170, 28, v167
	v_dual_lshlrev_b32 v171, 27, v167 :: v_dual_lshlrev_b32 v172, 26, v167
	v_cmp_gt_i32_e64 s16, 0, v169
	v_dual_lshlrev_b32 v173, 25, v167 :: v_dual_lshlrev_b32 v174, 24, v167
	v_cmp_gt_i32_e64 s17, 0, v170
	v_not_b32_e32 v169, v170
	v_not_b32_e32 v170, v171
	v_ashrrev_i32_e32 v165, 31, v165
	v_cmp_gt_i32_e64 s18, 0, v171
	v_not_b32_e32 v171, v172
	v_xor_b32_e32 v61, vcc_lo, v61
	v_dual_ashrrev_i32 v169, 31, v169 :: v_dual_bitop2_b32 v166, s16, v166 bitop3:0x14
	v_dual_ashrrev_i32 v170, 31, v170 :: v_dual_bitop2_b32 v165, s15, v165 bitop3:0x14
	v_cmp_gt_i32_e64 s19, 0, v172
	v_cmp_gt_i32_e64 s20, 0, v173
	v_not_b32_e32 v172, v173
	v_not_b32_e32 v173, v174
	v_dual_ashrrev_i32 v171, 31, v171 :: v_dual_bitop2_b32 v169, s17, v169 bitop3:0x14
	v_bitop3_b32 v61, v61, v165, exec_lo bitop3:0x80
	v_cmp_gt_i32_e64 s21, 0, v174
	s_delay_alu instid0(VALU_DEP_4)
	v_dual_ashrrev_i32 v165, 31, v172 :: v_dual_ashrrev_i32 v172, 31, v173
	v_xor_b32_e32 v170, s18, v170
	v_xor_b32_e32 v171, s19, v171
	v_bitop3_b32 v61, v61, v169, v166 bitop3:0x80
	v_mad_u32_u24 v166, v167, 36, v23
	v_xor_b32_e32 v169, s20, v165
	v_xor_b32_e32 v172, s21, v172
	v_mul_u32_u24_e32 v167, 36, v167
	v_bitop3_b32 v61, v61, v171, v170 bitop3:0x80
	ds_load_b32 v165, v166 offset:1056
	; wave barrier
	v_add_nc_u32_e32 v167, v23, v167
	v_bitop3_b32 v61, v61, v172, v169 bitop3:0x80
	s_delay_alu instid0(VALU_DEP_1) | instskip(SKIP_1) | instid1(VALU_DEP_2)
	v_mbcnt_lo_u32_b32 v166, v61, 0
	v_cmp_ne_u32_e64 s15, 0, v61
	v_cmp_eq_u32_e32 vcc_lo, 0, v166
	s_and_b32 s16, s15, vcc_lo
	s_delay_alu instid0(SALU_CYCLE_1)
	s_and_saveexec_b32 s15, s16
	s_cbranch_execz .LBB1759_1029
; %bb.1028:                             ;   in Loop: Header=BB1759_979 Depth=2
	s_wait_dscnt 0x0
	v_bcnt_u32_b32 v61, v61, v165
	ds_store_b32 v167, v61 offset:1056
.LBB1759_1029:                          ;   in Loop: Header=BB1759_979 Depth=2
	s_or_b32 exec_lo, exec_lo, s15
	v_cmp_gt_i16_e64 vcc_lo, 0, v164
	; wave barrier
	s_delay_alu instid0(VALU_DEP_1) | instskip(NEXT) | instid1(VALU_DEP_1)
	v_cndmask_b32_e64 v61, 0x7fff, 0, vcc_lo
	v_xor_b32_e32 v164, v61, v164
	s_delay_alu instid0(VALU_DEP_1) | instskip(SKIP_1) | instid1(VALU_DEP_1)
	v_cmp_ne_u16_e64 vcc_lo, 0x8000, v164
	v_cndmask_b32_e32 v61, 0x7fff, v164, vcc_lo
	v_and_b32_e32 v61, 0xffff, v61
	s_delay_alu instid0(VALU_DEP_1) | instskip(NEXT) | instid1(VALU_DEP_1)
	v_lshrrev_b32_e32 v61, s49, v61
	v_bitop3_b32 v169, v61, 1, s52 bitop3:0x80
	v_and_b32_e32 v171, s52, v61
	s_delay_alu instid0(VALU_DEP_2) | instskip(NEXT) | instid1(VALU_DEP_1)
	v_add_co_u32 v61, s15, v169, -1
	v_cndmask_b32_e64 v169, 0, 1, s15
	s_delay_alu instid0(VALU_DEP_3) | instskip(NEXT) | instid1(VALU_DEP_2)
	v_dual_lshlrev_b32 v170, 30, v171 :: v_dual_lshlrev_b32 v172, 29, v171
	v_cmp_ne_u32_e32 vcc_lo, 0, v169
	s_delay_alu instid0(VALU_DEP_2) | instskip(SKIP_1) | instid1(VALU_DEP_4)
	v_cmp_gt_i32_e64 s15, 0, v170
	v_not_b32_e32 v169, v170
	v_not_b32_e32 v170, v172
	s_delay_alu instid0(VALU_DEP_1) | instskip(SKIP_3) | instid1(VALU_DEP_4)
	v_dual_ashrrev_i32 v170, 31, v170 :: v_dual_lshlrev_b32 v173, 28, v171
	v_dual_lshlrev_b32 v174, 27, v171 :: v_dual_lshlrev_b32 v175, 26, v171
	v_dual_lshlrev_b32 v176, 25, v171 :: v_dual_lshlrev_b32 v177, 24, v171
	v_cmp_gt_i32_e64 s16, 0, v172
	v_not_b32_e32 v172, v173
	v_ashrrev_i32_e32 v169, 31, v169
	v_cmp_gt_i32_e64 s17, 0, v173
	v_cmp_gt_i32_e64 s18, 0, v174
	v_not_b32_e32 v173, v174
	v_cmp_gt_i32_e64 s19, 0, v175
	v_not_b32_e32 v174, v175
	;; [unrolled: 2-line block ×3, first 2 shown]
	v_not_b32_e32 v176, v177
	s_delay_alu instid0(VALU_DEP_4) | instskip(SKIP_3) | instid1(VALU_DEP_3)
	v_dual_ashrrev_i32 v174, 31, v174 :: v_dual_bitop2_b32 v61, vcc_lo, v61 bitop3:0x14
	v_dual_ashrrev_i32 v172, 31, v172 :: v_dual_bitop2_b32 v169, s15, v169 bitop3:0x14
	v_dual_ashrrev_i32 v173, 31, v173 :: v_dual_bitop2_b32 v170, s16, v170 bitop3:0x14
	v_cmp_gt_i32_e64 s21, 0, v177
	v_xor_b32_e32 v172, s17, v172
	s_delay_alu instid0(VALU_DEP_4) | instskip(SKIP_2) | instid1(VALU_DEP_3)
	v_bitop3_b32 v61, v61, v169, exec_lo bitop3:0x80
	v_dual_ashrrev_i32 v169, 31, v175 :: v_dual_ashrrev_i32 v175, 31, v176
	v_xor_b32_e32 v174, s19, v174
	v_bitop3_b32 v61, v61, v172, v170 bitop3:0x80
	v_mad_u32_u24 v170, v171, 36, v23
	v_mul_u32_u24_e32 v171, 36, v171
	v_xor_b32_e32 v173, s18, v173
	v_xor_b32_e32 v172, s20, v169
	;; [unrolled: 1-line block ×3, first 2 shown]
	ds_load_b32 v169, v170 offset:1056
	v_add_nc_u32_e32 v171, v23, v171
	v_bitop3_b32 v61, v61, v174, v173 bitop3:0x80
	; wave barrier
	s_delay_alu instid0(VALU_DEP_1) | instskip(NEXT) | instid1(VALU_DEP_1)
	v_bitop3_b32 v61, v61, v175, v172 bitop3:0x80
	v_mbcnt_lo_u32_b32 v170, v61, 0
	v_cmp_ne_u32_e64 s15, 0, v61
	s_delay_alu instid0(VALU_DEP_2) | instskip(SKIP_1) | instid1(SALU_CYCLE_1)
	v_cmp_eq_u32_e32 vcc_lo, 0, v170
	s_and_b32 s16, s15, vcc_lo
	s_and_saveexec_b32 s15, s16
	s_cbranch_execz .LBB1759_1031
; %bb.1030:                             ;   in Loop: Header=BB1759_979 Depth=2
	s_wait_dscnt 0x0
	v_bcnt_u32_b32 v61, v61, v169
	ds_store_b32 v171, v61 offset:1056
.LBB1759_1031:                          ;   in Loop: Header=BB1759_979 Depth=2
	s_or_b32 exec_lo, exec_lo, s15
	v_cmp_gt_i16_e64 vcc_lo, 0, v168
	; wave barrier
	s_delay_alu instid0(VALU_DEP_1) | instskip(NEXT) | instid1(VALU_DEP_1)
	v_cndmask_b32_e64 v61, 0x7fff, 0, vcc_lo
	v_xor_b32_e32 v168, v61, v168
	s_delay_alu instid0(VALU_DEP_1) | instskip(SKIP_1) | instid1(VALU_DEP_1)
	v_cmp_ne_u16_e64 vcc_lo, 0x8000, v168
	v_cndmask_b32_e32 v61, 0x7fff, v168, vcc_lo
	v_and_b32_e32 v61, 0xffff, v61
	s_delay_alu instid0(VALU_DEP_1) | instskip(NEXT) | instid1(VALU_DEP_1)
	v_lshrrev_b32_e32 v61, s49, v61
	v_bitop3_b32 v172, v61, 1, s52 bitop3:0x80
	v_and_b32_e32 v175, s52, v61
	s_delay_alu instid0(VALU_DEP_2) | instskip(NEXT) | instid1(VALU_DEP_1)
	v_add_co_u32 v61, s15, v172, -1
	v_cndmask_b32_e64 v172, 0, 1, s15
	s_delay_alu instid0(VALU_DEP_3) | instskip(NEXT) | instid1(VALU_DEP_2)
	v_lshlrev_b32_e32 v173, 30, v175
	v_cmp_ne_u32_e32 vcc_lo, 0, v172
	s_delay_alu instid0(VALU_DEP_2) | instskip(NEXT) | instid1(VALU_DEP_1)
	v_not_b32_e32 v172, v173
	v_dual_ashrrev_i32 v172, 31, v172 :: v_dual_lshlrev_b32 v174, 29, v175
	v_dual_lshlrev_b32 v176, 28, v175 :: v_dual_lshlrev_b32 v177, 27, v175
	v_lshlrev_b32_e32 v178, 26, v175
	v_cmp_gt_i32_e64 s15, 0, v173
	s_delay_alu instid0(VALU_DEP_4)
	v_cmp_gt_i32_e64 s16, 0, v174
	v_not_b32_e32 v173, v174
	v_not_b32_e32 v174, v176
	v_dual_lshlrev_b32 v179, 25, v175 :: v_dual_lshlrev_b32 v180, 24, v175
	v_cmp_gt_i32_e64 s17, 0, v176
	v_cmp_gt_i32_e64 s18, 0, v177
	v_not_b32_e32 v176, v177
	v_not_b32_e32 v177, v178
	v_dual_ashrrev_i32 v174, 31, v174 :: v_dual_bitop2_b32 v61, vcc_lo, v61 bitop3:0x14
	v_dual_ashrrev_i32 v173, 31, v173 :: v_dual_bitop2_b32 v172, s15, v172 bitop3:0x14
	v_cmp_gt_i32_e64 s19, 0, v178
	v_cmp_gt_i32_e64 s20, 0, v179
	v_not_b32_e32 v178, v179
	v_not_b32_e32 v179, v180
	v_dual_ashrrev_i32 v176, 31, v176 :: v_dual_ashrrev_i32 v177, 31, v177
	v_xor_b32_e32 v173, s16, v173
	v_xor_b32_e32 v174, s17, v174
	v_bitop3_b32 v61, v61, v172, exec_lo bitop3:0x80
	v_cmp_gt_i32_e64 s21, 0, v180
	v_dual_ashrrev_i32 v172, 31, v178 :: v_dual_ashrrev_i32 v178, 31, v179
	v_xor_b32_e32 v176, s18, v176
	v_xor_b32_e32 v177, s19, v177
	v_bitop3_b32 v61, v61, v174, v173 bitop3:0x80
	v_mad_u32_u24 v173, v175, 36, v23
	v_xor_b32_e32 v172, s20, v172
	v_xor_b32_e32 v174, s21, v178
	s_delay_alu instid0(VALU_DEP_4) | instskip(SKIP_3) | instid1(VALU_DEP_2)
	v_bitop3_b32 v61, v61, v177, v176 bitop3:0x80
	ds_load_b32 v173, v173 offset:1056
	; wave barrier
	v_bitop3_b32 v61, v61, v174, v172 bitop3:0x80
	v_mul_u32_u24_e32 v172, 36, v175
	v_mbcnt_lo_u32_b32 v174, v61, 0
	v_cmp_ne_u32_e64 s15, 0, v61
	s_delay_alu instid0(VALU_DEP_3) | instskip(NEXT) | instid1(VALU_DEP_3)
	v_add_nc_u32_e32 v175, v23, v172
	v_cmp_eq_u32_e32 vcc_lo, 0, v174
	s_and_b32 s16, s15, vcc_lo
	s_delay_alu instid0(SALU_CYCLE_1)
	s_and_saveexec_b32 s15, s16
	s_cbranch_execz .LBB1759_1033
; %bb.1032:                             ;   in Loop: Header=BB1759_979 Depth=2
	s_wait_dscnt 0x0
	v_bcnt_u32_b32 v61, v61, v173
	ds_store_b32 v175, v61 offset:1056
.LBB1759_1033:                          ;   in Loop: Header=BB1759_979 Depth=2
	s_or_b32 exec_lo, exec_lo, s15
	v_cmp_gt_i16_e32 vcc_lo, 0, v67
	; wave barrier
	v_cndmask_b32_e64 v61, 0x7fff, 0, vcc_lo
	s_delay_alu instid0(VALU_DEP_1) | instskip(NEXT) | instid1(VALU_DEP_1)
	v_xor_b32_e32 v172, v61, v67
	v_cmp_ne_u16_e64 vcc_lo, 0x8000, v172
	v_cndmask_b32_e32 v61, 0x7fff, v172, vcc_lo
	s_delay_alu instid0(VALU_DEP_1) | instskip(NEXT) | instid1(VALU_DEP_1)
	v_and_b32_e32 v61, 0xffff, v61
	v_lshrrev_b32_e32 v61, s49, v61
	s_delay_alu instid0(VALU_DEP_1) | instskip(SKIP_1) | instid1(VALU_DEP_2)
	v_bitop3_b32 v67, v61, 1, s52 bitop3:0x80
	v_and_b32_e32 v176, s52, v61
	v_add_co_u32 v61, s15, v67, -1
	s_delay_alu instid0(VALU_DEP_1) | instskip(NEXT) | instid1(VALU_DEP_3)
	v_cndmask_b32_e64 v67, 0, 1, s15
	v_lshlrev_b32_e32 v177, 30, v176
	s_delay_alu instid0(VALU_DEP_2) | instskip(NEXT) | instid1(VALU_DEP_2)
	v_cmp_ne_u32_e32 vcc_lo, 0, v67
	v_not_b32_e32 v67, v177
	s_delay_alu instid0(VALU_DEP_1) | instskip(SKIP_4) | instid1(VALU_DEP_4)
	v_dual_ashrrev_i32 v67, 31, v67 :: v_dual_bitop2_b32 v61, vcc_lo, v61 bitop3:0x14
	v_dual_lshlrev_b32 v178, 29, v176 :: v_dual_lshlrev_b32 v179, 28, v176
	v_dual_lshlrev_b32 v180, 27, v176 :: v_dual_lshlrev_b32 v181, 26, v176
	v_lshlrev_b32_e32 v182, 25, v176
	v_cmp_gt_i32_e64 s15, 0, v177
	v_cmp_gt_i32_e64 s16, 0, v178
	v_not_b32_e32 v177, v178
	v_not_b32_e32 v178, v179
	v_lshlrev_b32_e32 v183, 24, v176
	v_cmp_gt_i32_e64 s17, 0, v179
	v_cmp_gt_i32_e64 s18, 0, v180
	v_not_b32_e32 v179, v180
	v_not_b32_e32 v180, v181
	v_dual_ashrrev_i32 v177, 31, v177 :: v_dual_bitop2_b32 v67, s15, v67 bitop3:0x14
	v_ashrrev_i32_e32 v178, 31, v178
	v_cmp_gt_i32_e64 s19, 0, v181
	v_cmp_gt_i32_e64 s20, 0, v182
	v_not_b32_e32 v181, v182
	v_not_b32_e32 v182, v183
	v_dual_ashrrev_i32 v179, 31, v179 :: v_dual_ashrrev_i32 v180, 31, v180
	v_xor_b32_e32 v177, s16, v177
	v_xor_b32_e32 v178, s17, v178
	v_bitop3_b32 v61, v61, v67, exec_lo bitop3:0x80
	v_cmp_gt_i32_e64 s21, 0, v183
	v_dual_ashrrev_i32 v67, 31, v181 :: v_dual_ashrrev_i32 v181, 31, v182
	v_xor_b32_e32 v179, s18, v179
	v_xor_b32_e32 v180, s19, v180
	v_bitop3_b32 v61, v61, v178, v177 bitop3:0x80
	v_mad_u32_u24 v177, v176, 36, v23
	v_xor_b32_e32 v67, s20, v67
	v_xor_b32_e32 v178, s21, v181
	s_delay_alu instid0(VALU_DEP_4) | instskip(SKIP_3) | instid1(VALU_DEP_2)
	v_bitop3_b32 v61, v61, v180, v179 bitop3:0x80
	ds_load_b32 v177, v177 offset:1056
	; wave barrier
	v_bitop3_b32 v61, v61, v178, v67 bitop3:0x80
	v_mul_u32_u24_e32 v67, 36, v176
	v_mbcnt_lo_u32_b32 v178, v61, 0
	v_cmp_ne_u32_e64 s15, 0, v61
	s_delay_alu instid0(VALU_DEP_3) | instskip(NEXT) | instid1(VALU_DEP_3)
	v_add_nc_u32_e32 v179, v23, v67
	v_cmp_eq_u32_e32 vcc_lo, 0, v178
	s_and_b32 s16, s15, vcc_lo
	s_delay_alu instid0(SALU_CYCLE_1)
	s_and_saveexec_b32 s15, s16
	s_cbranch_execz .LBB1759_1035
; %bb.1034:                             ;   in Loop: Header=BB1759_979 Depth=2
	s_wait_dscnt 0x0
	v_bcnt_u32_b32 v61, v61, v177
	ds_store_b32 v179, v61 offset:1056
.LBB1759_1035:                          ;   in Loop: Header=BB1759_979 Depth=2
	s_or_b32 exec_lo, exec_lo, s15
	v_cmp_gt_i16_e32 vcc_lo, 0, v66
	; wave barrier
	v_cndmask_b32_e64 v61, 0x7fff, 0, vcc_lo
	s_delay_alu instid0(VALU_DEP_1) | instskip(NEXT) | instid1(VALU_DEP_1)
	v_xor_b32_e32 v176, v61, v66
	v_cmp_ne_u16_e64 vcc_lo, 0x8000, v176
	v_cndmask_b32_e32 v61, 0x7fff, v176, vcc_lo
	s_delay_alu instid0(VALU_DEP_1) | instskip(NEXT) | instid1(VALU_DEP_1)
	v_and_b32_e32 v61, 0xffff, v61
	v_lshrrev_b32_e32 v61, s49, v61
	s_delay_alu instid0(VALU_DEP_1) | instskip(SKIP_1) | instid1(VALU_DEP_2)
	v_bitop3_b32 v66, v61, 1, s52 bitop3:0x80
	v_and_b32_e32 v67, s52, v61
	v_add_co_u32 v61, s15, v66, -1
	s_delay_alu instid0(VALU_DEP_1) | instskip(NEXT) | instid1(VALU_DEP_3)
	v_cndmask_b32_e64 v66, 0, 1, s15
	v_lshlrev_b32_e32 v180, 30, v67
	s_delay_alu instid0(VALU_DEP_2) | instskip(NEXT) | instid1(VALU_DEP_2)
	v_cmp_ne_u32_e32 vcc_lo, 0, v66
	v_not_b32_e32 v66, v180
	v_cmp_gt_i32_e64 s15, 0, v180
	s_delay_alu instid0(VALU_DEP_2) | instskip(SKIP_3) | instid1(VALU_DEP_4)
	v_dual_ashrrev_i32 v66, 31, v66 :: v_dual_lshlrev_b32 v181, 29, v67
	v_dual_lshlrev_b32 v182, 28, v67 :: v_dual_lshlrev_b32 v183, 27, v67
	v_dual_lshlrev_b32 v184, 26, v67 :: v_dual_lshlrev_b32 v185, 25, v67
	v_lshlrev_b32_e32 v186, 24, v67
	v_cmp_gt_i32_e64 s16, 0, v181
	v_not_b32_e32 v180, v181
	v_not_b32_e32 v181, v182
	v_cmp_gt_i32_e64 s17, 0, v182
	v_cmp_gt_i32_e64 s18, 0, v183
	v_not_b32_e32 v182, v183
	v_not_b32_e32 v183, v184
	v_dual_ashrrev_i32 v180, 31, v180 :: v_dual_bitop2_b32 v61, vcc_lo, v61 bitop3:0x14
	v_dual_ashrrev_i32 v181, 31, v181 :: v_dual_bitop2_b32 v66, s15, v66 bitop3:0x14
	v_cmp_gt_i32_e64 s19, 0, v184
	v_cmp_gt_i32_e64 s20, 0, v185
	v_not_b32_e32 v184, v185
	v_not_b32_e32 v185, v186
	v_dual_ashrrev_i32 v182, 31, v182 :: v_dual_ashrrev_i32 v183, 31, v183
	v_xor_b32_e32 v180, s16, v180
	v_xor_b32_e32 v181, s17, v181
	v_bitop3_b32 v61, v61, v66, exec_lo bitop3:0x80
	v_cmp_gt_i32_e64 s21, 0, v186
	v_dual_ashrrev_i32 v66, 31, v184 :: v_dual_ashrrev_i32 v184, 31, v185
	v_xor_b32_e32 v182, s18, v182
	v_xor_b32_e32 v183, s19, v183
	v_bitop3_b32 v61, v61, v181, v180 bitop3:0x80
	v_mad_u32_u24 v180, v67, 36, v23
	v_xor_b32_e32 v66, s20, v66
	v_xor_b32_e32 v184, s21, v184
	s_delay_alu instid0(VALU_DEP_4) | instskip(SKIP_3) | instid1(VALU_DEP_2)
	v_bitop3_b32 v61, v61, v183, v182 bitop3:0x80
	ds_load_b32 v181, v180 offset:1056
	; wave barrier
	v_bitop3_b32 v61, v61, v184, v66 bitop3:0x80
	v_mul_u32_u24_e32 v66, 36, v67
	v_mbcnt_lo_u32_b32 v182, v61, 0
	v_cmp_ne_u32_e64 s15, 0, v61
	s_delay_alu instid0(VALU_DEP_3) | instskip(NEXT) | instid1(VALU_DEP_3)
	v_add_nc_u32_e32 v183, v23, v66
	v_cmp_eq_u32_e32 vcc_lo, 0, v182
	s_and_b32 s16, s15, vcc_lo
	s_delay_alu instid0(SALU_CYCLE_1)
	s_and_saveexec_b32 s15, s16
	s_cbranch_execz .LBB1759_1037
; %bb.1036:                             ;   in Loop: Header=BB1759_979 Depth=2
	s_wait_dscnt 0x0
	v_bcnt_u32_b32 v61, v61, v181
	ds_store_b32 v183, v61 offset:1056
.LBB1759_1037:                          ;   in Loop: Header=BB1759_979 Depth=2
	s_or_b32 exec_lo, exec_lo, s15
	v_cmp_gt_i16_e32 vcc_lo, 0, v65
	; wave barrier
	v_cndmask_b32_e64 v61, 0x7fff, 0, vcc_lo
	s_delay_alu instid0(VALU_DEP_1) | instskip(NEXT) | instid1(VALU_DEP_1)
	v_xor_b32_e32 v180, v61, v65
	v_cmp_ne_u16_e64 vcc_lo, 0x8000, v180
	v_cndmask_b32_e32 v61, 0x7fff, v180, vcc_lo
	s_delay_alu instid0(VALU_DEP_1) | instskip(NEXT) | instid1(VALU_DEP_1)
	v_and_b32_e32 v61, 0xffff, v61
	v_lshrrev_b32_e32 v61, s49, v61
	s_delay_alu instid0(VALU_DEP_1) | instskip(NEXT) | instid1(VALU_DEP_1)
	v_and_b32_e32 v66, s52, v61
	v_lshlrev_b32_e32 v185, 28, v66
	v_bitop3_b32 v65, v61, 1, s52 bitop3:0x80
	v_dual_lshlrev_b32 v67, 30, v66 :: v_dual_lshlrev_b32 v184, 29, v66
	s_delay_alu instid0(VALU_DEP_3) | instskip(NEXT) | instid1(VALU_DEP_3)
	v_cmp_gt_i32_e64 s17, 0, v185
	v_add_co_u32 v61, s15, v65, -1
	s_delay_alu instid0(VALU_DEP_1) | instskip(NEXT) | instid1(VALU_DEP_4)
	v_cndmask_b32_e64 v65, 0, 1, s15
	v_cmp_gt_i32_e64 s15, 0, v67
	v_cmp_gt_i32_e64 s16, 0, v184
	s_delay_alu instid0(VALU_DEP_3) | instskip(SKIP_3) | instid1(VALU_DEP_2)
	v_cmp_ne_u32_e32 vcc_lo, 0, v65
	v_not_b32_e32 v65, v67
	v_not_b32_e32 v67, v184
	;; [unrolled: 1-line block ×3, first 2 shown]
	v_dual_ashrrev_i32 v65, 31, v65 :: v_dual_ashrrev_i32 v67, 31, v67
	v_dual_lshlrev_b32 v186, 27, v66 :: v_dual_lshlrev_b32 v187, 26, v66
	v_dual_lshlrev_b32 v188, 25, v66 :: v_dual_lshlrev_b32 v189, 24, v66
	s_delay_alu instid0(VALU_DEP_4) | instskip(NEXT) | instid1(VALU_DEP_3)
	v_ashrrev_i32_e32 v184, 31, v184
	v_cmp_gt_i32_e64 s18, 0, v186
	v_not_b32_e32 v185, v186
	v_cmp_gt_i32_e64 s19, 0, v187
	v_not_b32_e32 v186, v187
	v_cmp_gt_i32_e64 s20, 0, v188
	v_not_b32_e32 v187, v188
	v_not_b32_e32 v188, v189
	s_delay_alu instid0(VALU_DEP_4) | instskip(SKIP_4) | instid1(VALU_DEP_4)
	v_dual_ashrrev_i32 v186, 31, v186 :: v_dual_bitop2_b32 v61, vcc_lo, v61 bitop3:0x14
	v_xor_b32_e32 v65, s15, v65
	v_dual_ashrrev_i32 v185, 31, v185 :: v_dual_bitop2_b32 v67, s16, v67 bitop3:0x14
	v_xor_b32_e32 v184, s17, v184
	v_cmp_gt_i32_e64 s21, 0, v189
	v_bitop3_b32 v61, v61, v65, exec_lo bitop3:0x80
	v_dual_ashrrev_i32 v65, 31, v187 :: v_dual_ashrrev_i32 v187, 31, v188
	v_xor_b32_e32 v185, s18, v185
	v_xor_b32_e32 v186, s19, v186
	s_delay_alu instid0(VALU_DEP_4) | instskip(SKIP_3) | instid1(VALU_DEP_4)
	v_bitop3_b32 v61, v61, v184, v67 bitop3:0x80
	v_mad_u32_u24 v67, v66, 36, v23
	v_xor_b32_e32 v65, s20, v65
	v_xor_b32_e32 v184, s21, v187
	v_bitop3_b32 v61, v61, v186, v185 bitop3:0x80
	ds_load_b32 v185, v67 offset:1056
	; wave barrier
	v_bitop3_b32 v61, v61, v184, v65 bitop3:0x80
	v_mul_u32_u24_e32 v65, 36, v66
	s_delay_alu instid0(VALU_DEP_2) | instskip(SKIP_1) | instid1(VALU_DEP_3)
	v_mbcnt_lo_u32_b32 v186, v61, 0
	v_cmp_ne_u32_e64 s15, 0, v61
	v_add_nc_u32_e32 v187, v23, v65
	s_delay_alu instid0(VALU_DEP_3) | instskip(SKIP_1) | instid1(SALU_CYCLE_1)
	v_cmp_eq_u32_e32 vcc_lo, 0, v186
	s_and_b32 s16, s15, vcc_lo
	s_and_saveexec_b32 s15, s16
	s_cbranch_execz .LBB1759_1039
; %bb.1038:                             ;   in Loop: Header=BB1759_979 Depth=2
	s_wait_dscnt 0x0
	v_bcnt_u32_b32 v61, v61, v185
	ds_store_b32 v187, v61 offset:1056
.LBB1759_1039:                          ;   in Loop: Header=BB1759_979 Depth=2
	s_or_b32 exec_lo, exec_lo, s15
	v_cmp_gt_i16_e32 vcc_lo, 0, v64
	; wave barrier
	v_cndmask_b32_e64 v61, 0x7fff, 0, vcc_lo
	s_delay_alu instid0(VALU_DEP_1) | instskip(NEXT) | instid1(VALU_DEP_1)
	v_xor_b32_e32 v184, v61, v64
	v_cmp_ne_u16_e64 vcc_lo, 0x8000, v184
	v_cndmask_b32_e32 v61, 0x7fff, v184, vcc_lo
	s_delay_alu instid0(VALU_DEP_1) | instskip(NEXT) | instid1(VALU_DEP_1)
	v_and_b32_e32 v61, 0xffff, v61
	v_lshrrev_b32_e32 v61, s49, v61
	s_delay_alu instid0(VALU_DEP_1) | instskip(SKIP_1) | instid1(VALU_DEP_2)
	v_bitop3_b32 v64, v61, 1, s52 bitop3:0x80
	v_and_b32_e32 v65, s52, v61
	v_add_co_u32 v61, s15, v64, -1
	s_delay_alu instid0(VALU_DEP_2) | instskip(SKIP_1) | instid1(VALU_DEP_2)
	v_lshlrev_b32_e32 v64, 30, v65
	v_cndmask_b32_e64 v192, 0, 1, s15
	v_cmp_gt_i32_e32 vcc_lo, 0, v64
	v_not_b32_e32 v64, v64
	s_delay_alu instid0(VALU_DEP_3) | instskip(NEXT) | instid1(VALU_DEP_2)
	v_cmp_ne_u32_e64 s21, 0, v192
	v_dual_ashrrev_i32 v64, 31, v64 :: v_dual_lshlrev_b32 v66, 29, v65
	v_dual_lshlrev_b32 v67, 28, v65 :: v_dual_lshlrev_b32 v188, 27, v65
	v_dual_lshlrev_b32 v189, 26, v65 :: v_dual_lshlrev_b32 v190, 25, v65
	v_lshlrev_b32_e32 v191, 24, v65
	s_delay_alu instid0(VALU_DEP_4)
	v_cmp_gt_i32_e64 s15, 0, v66
	v_not_b32_e32 v66, v66
	v_cmp_gt_i32_e64 s16, 0, v67
	v_not_b32_e32 v67, v67
	;; [unrolled: 2-line block ×4, first 2 shown]
	v_dual_ashrrev_i32 v66, 31, v66 :: v_dual_ashrrev_i32 v67, 31, v67
	s_delay_alu instid0(VALU_DEP_4) | instskip(NEXT) | instid1(VALU_DEP_3)
	v_dual_ashrrev_i32 v188, 31, v188 :: v_dual_bitop2_b32 v61, s21, v61 bitop3:0x14
	v_dual_ashrrev_i32 v189, 31, v189 :: v_dual_bitop2_b32 v64, vcc_lo, v64 bitop3:0x14
	v_cmp_gt_i32_e64 s19, 0, v190
	v_not_b32_e32 v190, v190
	v_cmp_gt_i32_e64 s20, 0, v191
	v_not_b32_e32 v191, v191
	v_xor_b32_e32 v66, s15, v66
	v_xor_b32_e32 v67, s16, v67
	v_bitop3_b32 v61, v61, v64, exec_lo bitop3:0x80
	s_delay_alu instid0(VALU_DEP_4) | instskip(SKIP_2) | instid1(VALU_DEP_4)
	v_dual_ashrrev_i32 v64, 31, v190 :: v_dual_ashrrev_i32 v190, 31, v191
	v_xor_b32_e32 v188, s17, v188
	v_xor_b32_e32 v189, s18, v189
	v_bitop3_b32 v61, v61, v67, v66 bitop3:0x80
	v_mad_u32_u24 v66, v65, 36, v23
	v_xor_b32_e32 v64, s19, v64
	v_xor_b32_e32 v67, s20, v190
	s_delay_alu instid0(VALU_DEP_4) | instskip(SKIP_3) | instid1(VALU_DEP_2)
	v_bitop3_b32 v61, v61, v189, v188 bitop3:0x80
	ds_load_b32 v189, v66 offset:1056
	; wave barrier
	v_bitop3_b32 v61, v61, v67, v64 bitop3:0x80
	v_mul_u32_u24_e32 v64, 36, v65
	v_mbcnt_lo_u32_b32 v190, v61, 0
	v_cmp_ne_u32_e64 s15, 0, v61
	s_delay_alu instid0(VALU_DEP_3) | instskip(NEXT) | instid1(VALU_DEP_3)
	v_add_nc_u32_e32 v191, v23, v64
	v_cmp_eq_u32_e32 vcc_lo, 0, v190
	s_and_b32 s16, s15, vcc_lo
	s_delay_alu instid0(SALU_CYCLE_1)
	s_and_saveexec_b32 s15, s16
	s_cbranch_execz .LBB1759_1041
; %bb.1040:                             ;   in Loop: Header=BB1759_979 Depth=2
	s_wait_dscnt 0x0
	v_bcnt_u32_b32 v61, v61, v189
	ds_store_b32 v191, v61 offset:1056
.LBB1759_1041:                          ;   in Loop: Header=BB1759_979 Depth=2
	s_or_b32 exec_lo, exec_lo, s15
	v_cmp_gt_i16_e32 vcc_lo, 0, v63
	; wave barrier
	v_cndmask_b32_e64 v61, 0x7fff, 0, vcc_lo
	s_delay_alu instid0(VALU_DEP_1) | instskip(NEXT) | instid1(VALU_DEP_1)
	v_xor_b32_e32 v188, v61, v63
	v_cmp_ne_u16_e64 vcc_lo, 0x8000, v188
	v_cndmask_b32_e32 v61, 0x7fff, v188, vcc_lo
	s_delay_alu instid0(VALU_DEP_1) | instskip(NEXT) | instid1(VALU_DEP_1)
	v_and_b32_e32 v61, 0xffff, v61
	v_lshrrev_b32_e32 v61, s49, v61
	s_delay_alu instid0(VALU_DEP_1) | instskip(SKIP_1) | instid1(VALU_DEP_2)
	v_bitop3_b32 v63, v61, 1, s52 bitop3:0x80
	v_and_b32_e32 v64, s52, v61
	v_add_co_u32 v61, s15, v63, -1
	s_delay_alu instid0(VALU_DEP_1) | instskip(NEXT) | instid1(VALU_DEP_3)
	v_cndmask_b32_e64 v63, 0, 1, s15
	v_lshlrev_b32_e32 v65, 30, v64
	s_delay_alu instid0(VALU_DEP_2) | instskip(NEXT) | instid1(VALU_DEP_2)
	v_cmp_ne_u32_e32 vcc_lo, 0, v63
	v_not_b32_e32 v63, v65
	s_delay_alu instid0(VALU_DEP_1) | instskip(SKIP_4) | instid1(VALU_DEP_4)
	v_dual_ashrrev_i32 v63, 31, v63 :: v_dual_bitop2_b32 v61, vcc_lo, v61 bitop3:0x14
	v_dual_lshlrev_b32 v66, 29, v64 :: v_dual_lshlrev_b32 v67, 28, v64
	v_dual_lshlrev_b32 v192, 27, v64 :: v_dual_lshlrev_b32 v193, 26, v64
	v_lshlrev_b32_e32 v194, 25, v64
	v_cmp_gt_i32_e64 s15, 0, v65
	v_cmp_gt_i32_e64 s16, 0, v66
	v_not_b32_e32 v65, v66
	v_not_b32_e32 v66, v67
	v_lshlrev_b32_e32 v195, 24, v64
	v_cmp_gt_i32_e64 s17, 0, v67
	v_cmp_gt_i32_e64 s18, 0, v192
	v_not_b32_e32 v67, v192
	v_not_b32_e32 v192, v193
	v_dual_ashrrev_i32 v65, 31, v65 :: v_dual_bitop2_b32 v63, s15, v63 bitop3:0x14
	v_ashrrev_i32_e32 v66, 31, v66
	v_cmp_gt_i32_e64 s19, 0, v193
	v_cmp_gt_i32_e64 s20, 0, v194
	v_not_b32_e32 v193, v194
	v_not_b32_e32 v194, v195
	v_dual_ashrrev_i32 v67, 31, v67 :: v_dual_ashrrev_i32 v192, 31, v192
	v_xor_b32_e32 v65, s16, v65
	v_xor_b32_e32 v66, s17, v66
	v_bitop3_b32 v61, v61, v63, exec_lo bitop3:0x80
	v_cmp_gt_i32_e64 s21, 0, v195
	v_dual_ashrrev_i32 v63, 31, v193 :: v_dual_ashrrev_i32 v193, 31, v194
	v_xor_b32_e32 v67, s18, v67
	v_xor_b32_e32 v192, s19, v192
	v_bitop3_b32 v61, v61, v66, v65 bitop3:0x80
	v_mad_u32_u24 v65, v64, 36, v23
	v_xor_b32_e32 v63, s20, v63
	v_xor_b32_e32 v66, s21, v193
	s_delay_alu instid0(VALU_DEP_4) | instskip(SKIP_3) | instid1(VALU_DEP_2)
	v_bitop3_b32 v61, v61, v192, v67 bitop3:0x80
	ds_load_b32 v193, v65 offset:1056
	; wave barrier
	v_bitop3_b32 v61, v61, v66, v63 bitop3:0x80
	v_mul_u32_u24_e32 v63, 36, v64
	v_mbcnt_lo_u32_b32 v194, v61, 0
	v_cmp_ne_u32_e64 s15, 0, v61
	s_delay_alu instid0(VALU_DEP_3) | instskip(NEXT) | instid1(VALU_DEP_3)
	v_add_nc_u32_e32 v195, v23, v63
	v_cmp_eq_u32_e32 vcc_lo, 0, v194
	s_and_b32 s16, s15, vcc_lo
	s_delay_alu instid0(SALU_CYCLE_1)
	s_and_saveexec_b32 s15, s16
	s_cbranch_execz .LBB1759_1043
; %bb.1042:                             ;   in Loop: Header=BB1759_979 Depth=2
	s_wait_dscnt 0x0
	v_bcnt_u32_b32 v61, v61, v193
	ds_store_b32 v195, v61 offset:1056
.LBB1759_1043:                          ;   in Loop: Header=BB1759_979 Depth=2
	s_or_b32 exec_lo, exec_lo, s15
	v_cmp_gt_i16_e32 vcc_lo, 0, v62
	; wave barrier
	v_cndmask_b32_e64 v61, 0x7fff, 0, vcc_lo
	s_delay_alu instid0(VALU_DEP_1) | instskip(NEXT) | instid1(VALU_DEP_1)
	v_xor_b32_e32 v192, v61, v62
	v_cmp_ne_u16_e64 vcc_lo, 0x8000, v192
	v_cndmask_b32_e32 v61, 0x7fff, v192, vcc_lo
	s_delay_alu instid0(VALU_DEP_1) | instskip(NEXT) | instid1(VALU_DEP_1)
	v_and_b32_e32 v61, 0xffff, v61
	v_lshrrev_b32_e32 v61, s49, v61
	s_delay_alu instid0(VALU_DEP_1) | instskip(SKIP_1) | instid1(VALU_DEP_2)
	v_bitop3_b32 v62, v61, 1, s52 bitop3:0x80
	v_and_b32_e32 v63, s52, v61
	v_add_co_u32 v61, s15, v62, -1
	s_delay_alu instid0(VALU_DEP_1) | instskip(NEXT) | instid1(VALU_DEP_3)
	v_cndmask_b32_e64 v62, 0, 1, s15
	v_lshlrev_b32_e32 v64, 30, v63
	s_delay_alu instid0(VALU_DEP_2) | instskip(NEXT) | instid1(VALU_DEP_2)
	v_cmp_ne_u32_e32 vcc_lo, 0, v62
	v_not_b32_e32 v62, v64
	v_cmp_gt_i32_e64 s15, 0, v64
	s_delay_alu instid0(VALU_DEP_2) | instskip(SKIP_3) | instid1(VALU_DEP_4)
	v_dual_ashrrev_i32 v62, 31, v62 :: v_dual_lshlrev_b32 v65, 29, v63
	v_dual_lshlrev_b32 v66, 28, v63 :: v_dual_lshlrev_b32 v67, 27, v63
	v_dual_lshlrev_b32 v196, 26, v63 :: v_dual_lshlrev_b32 v197, 25, v63
	v_lshlrev_b32_e32 v198, 24, v63
	v_cmp_gt_i32_e64 s16, 0, v65
	v_not_b32_e32 v64, v65
	v_not_b32_e32 v65, v66
	v_cmp_gt_i32_e64 s17, 0, v66
	v_cmp_gt_i32_e64 s18, 0, v67
	v_not_b32_e32 v66, v67
	v_not_b32_e32 v67, v196
	v_dual_ashrrev_i32 v64, 31, v64 :: v_dual_bitop2_b32 v61, vcc_lo, v61 bitop3:0x14
	v_dual_ashrrev_i32 v65, 31, v65 :: v_dual_bitop2_b32 v62, s15, v62 bitop3:0x14
	v_cmp_gt_i32_e64 s19, 0, v196
	v_cmp_gt_i32_e64 s20, 0, v197
	v_not_b32_e32 v196, v197
	v_not_b32_e32 v197, v198
	v_dual_ashrrev_i32 v66, 31, v66 :: v_dual_ashrrev_i32 v67, 31, v67
	v_xor_b32_e32 v64, s16, v64
	v_xor_b32_e32 v65, s17, v65
	v_bitop3_b32 v61, v61, v62, exec_lo bitop3:0x80
	v_cmp_gt_i32_e64 s21, 0, v198
	v_dual_ashrrev_i32 v62, 31, v196 :: v_dual_ashrrev_i32 v196, 31, v197
	v_xor_b32_e32 v66, s18, v66
	v_xor_b32_e32 v67, s19, v67
	v_bitop3_b32 v61, v61, v65, v64 bitop3:0x80
	v_mad_u32_u24 v64, v63, 36, v23
	v_xor_b32_e32 v62, s20, v62
	v_xor_b32_e32 v65, s21, v196
	s_delay_alu instid0(VALU_DEP_4) | instskip(SKIP_3) | instid1(VALU_DEP_2)
	v_bitop3_b32 v61, v61, v67, v66 bitop3:0x80
	ds_load_b32 v197, v64 offset:1056
	; wave barrier
	v_bitop3_b32 v61, v61, v65, v62 bitop3:0x80
	v_mul_u32_u24_e32 v62, 36, v63
	v_mbcnt_lo_u32_b32 v198, v61, 0
	v_cmp_ne_u32_e64 s15, 0, v61
	s_delay_alu instid0(VALU_DEP_3) | instskip(NEXT) | instid1(VALU_DEP_3)
	v_add_nc_u32_e32 v199, v23, v62
	v_cmp_eq_u32_e32 vcc_lo, 0, v198
	s_and_b32 s16, s15, vcc_lo
	s_delay_alu instid0(SALU_CYCLE_1)
	s_and_saveexec_b32 s15, s16
	s_cbranch_execz .LBB1759_1045
; %bb.1044:                             ;   in Loop: Header=BB1759_979 Depth=2
	s_wait_dscnt 0x0
	v_bcnt_u32_b32 v61, v61, v197
	ds_store_b32 v199, v61 offset:1056
.LBB1759_1045:                          ;   in Loop: Header=BB1759_979 Depth=2
	s_or_b32 exec_lo, exec_lo, s15
	v_cmp_gt_i16_e32 vcc_lo, 0, v60
	; wave barrier
	v_cndmask_b32_e64 v61, 0x7fff, 0, vcc_lo
	s_delay_alu instid0(VALU_DEP_1) | instskip(NEXT) | instid1(VALU_DEP_1)
	v_xor_b32_e32 v196, v61, v60
	v_cmp_ne_u16_e64 vcc_lo, 0x8000, v196
	v_cndmask_b32_e32 v60, 0x7fff, v196, vcc_lo
	s_delay_alu instid0(VALU_DEP_1) | instskip(NEXT) | instid1(VALU_DEP_1)
	v_and_b32_e32 v60, 0xffff, v60
	v_lshrrev_b32_e32 v60, s49, v60
	s_delay_alu instid0(VALU_DEP_1) | instskip(SKIP_1) | instid1(VALU_DEP_2)
	v_bitop3_b32 v61, v60, 1, s52 bitop3:0x80
	v_and_b32_e32 v62, s52, v60
	v_add_co_u32 v60, s15, v61, -1
	s_delay_alu instid0(VALU_DEP_1) | instskip(NEXT) | instid1(VALU_DEP_3)
	v_cndmask_b32_e64 v61, 0, 1, s15
	v_lshlrev_b32_e32 v63, 30, v62
	s_delay_alu instid0(VALU_DEP_2) | instskip(NEXT) | instid1(VALU_DEP_2)
	v_cmp_ne_u32_e32 vcc_lo, 0, v61
	v_not_b32_e32 v61, v63
	v_cmp_gt_i32_e64 s15, 0, v63
	s_delay_alu instid0(VALU_DEP_2) | instskip(SKIP_3) | instid1(VALU_DEP_4)
	v_dual_ashrrev_i32 v61, 31, v61 :: v_dual_lshlrev_b32 v64, 29, v62
	v_dual_lshlrev_b32 v65, 28, v62 :: v_dual_lshlrev_b32 v66, 27, v62
	v_dual_lshlrev_b32 v67, 26, v62 :: v_dual_lshlrev_b32 v200, 25, v62
	v_lshlrev_b32_e32 v201, 24, v62
	v_cmp_gt_i32_e64 s16, 0, v64
	v_not_b32_e32 v63, v64
	v_not_b32_e32 v64, v65
	v_cmp_gt_i32_e64 s17, 0, v65
	v_cmp_gt_i32_e64 s18, 0, v66
	v_not_b32_e32 v65, v66
	v_not_b32_e32 v66, v67
	v_dual_ashrrev_i32 v63, 31, v63 :: v_dual_bitop2_b32 v60, vcc_lo, v60 bitop3:0x14
	v_dual_ashrrev_i32 v64, 31, v64 :: v_dual_bitop2_b32 v61, s15, v61 bitop3:0x14
	v_cmp_gt_i32_e64 s19, 0, v67
	v_cmp_gt_i32_e64 s20, 0, v200
	v_not_b32_e32 v67, v200
	v_not_b32_e32 v200, v201
	v_dual_ashrrev_i32 v65, 31, v65 :: v_dual_ashrrev_i32 v66, 31, v66
	v_xor_b32_e32 v63, s16, v63
	v_xor_b32_e32 v64, s17, v64
	v_bitop3_b32 v60, v60, v61, exec_lo bitop3:0x80
	v_cmp_gt_i32_e64 s21, 0, v201
	v_dual_ashrrev_i32 v61, 31, v67 :: v_dual_ashrrev_i32 v67, 31, v200
	v_xor_b32_e32 v65, s18, v65
	v_xor_b32_e32 v66, s19, v66
	v_bitop3_b32 v60, v60, v64, v63 bitop3:0x80
	v_mad_u32_u24 v63, v62, 36, v23
	v_xor_b32_e32 v61, s20, v61
	v_xor_b32_e32 v64, s21, v67
	s_delay_alu instid0(VALU_DEP_4) | instskip(SKIP_3) | instid1(VALU_DEP_2)
	v_bitop3_b32 v60, v60, v66, v65 bitop3:0x80
	ds_load_b32 v200, v63 offset:1056
	; wave barrier
	v_bitop3_b32 v60, v60, v64, v61 bitop3:0x80
	v_mul_u32_u24_e32 v61, 36, v62
	v_mbcnt_lo_u32_b32 v201, v60, 0
	v_cmp_ne_u32_e64 s15, 0, v60
	s_delay_alu instid0(VALU_DEP_3) | instskip(NEXT) | instid1(VALU_DEP_3)
	v_add_nc_u32_e32 v202, v23, v61
	v_cmp_eq_u32_e32 vcc_lo, 0, v201
	s_and_b32 s16, s15, vcc_lo
	s_delay_alu instid0(SALU_CYCLE_1)
	s_and_saveexec_b32 s15, s16
	s_cbranch_execz .LBB1759_1047
; %bb.1046:                             ;   in Loop: Header=BB1759_979 Depth=2
	s_wait_dscnt 0x0
	v_bcnt_u32_b32 v60, v60, v200
	ds_store_b32 v202, v60 offset:1056
.LBB1759_1047:                          ;   in Loop: Header=BB1759_979 Depth=2
	s_or_b32 exec_lo, exec_lo, s15
	; wave barrier
	s_wait_dscnt 0x0
	s_barrier_signal -1
	s_barrier_wait -1
	ds_load_2addr_b32 v[66:67], v118 offset1:1
	ds_load_2addr_b32 v[64:65], v119 offset1:1
	;; [unrolled: 1-line block ×4, first 2 shown]
	ds_load_b32 v203, v91 offset:1088
	s_wait_dscnt 0x3
	v_add3_u32 v204, v67, v66, v64
	s_wait_dscnt 0x2
	s_delay_alu instid0(VALU_DEP_1) | instskip(SKIP_1) | instid1(VALU_DEP_1)
	v_add3_u32 v204, v204, v65, v62
	s_wait_dscnt 0x1
	v_add3_u32 v204, v204, v63, v60
	s_wait_dscnt 0x0
	s_delay_alu instid0(VALU_DEP_1) | instskip(NEXT) | instid1(VALU_DEP_1)
	v_add3_u32 v203, v204, v61, v203
	v_mov_b32_dpp v204, v203 row_shr:1 row_mask:0xf bank_mask:0xf
	s_delay_alu instid0(VALU_DEP_1) | instskip(NEXT) | instid1(VALU_DEP_1)
	v_cndmask_b32_e64 v204, v204, 0, s7
	v_add_nc_u32_e32 v203, v204, v203
	s_delay_alu instid0(VALU_DEP_1) | instskip(NEXT) | instid1(VALU_DEP_1)
	v_mov_b32_dpp v204, v203 row_shr:2 row_mask:0xf bank_mask:0xf
	v_cndmask_b32_e64 v204, 0, v204, s8
	s_delay_alu instid0(VALU_DEP_1) | instskip(NEXT) | instid1(VALU_DEP_1)
	v_add_nc_u32_e32 v203, v203, v204
	v_mov_b32_dpp v204, v203 row_shr:4 row_mask:0xf bank_mask:0xf
	s_delay_alu instid0(VALU_DEP_1) | instskip(NEXT) | instid1(VALU_DEP_1)
	v_cndmask_b32_e64 v204, 0, v204, s9
	v_add_nc_u32_e32 v203, v203, v204
	s_delay_alu instid0(VALU_DEP_1) | instskip(NEXT) | instid1(VALU_DEP_1)
	v_mov_b32_dpp v204, v203 row_shr:8 row_mask:0xf bank_mask:0xf
	v_cndmask_b32_e64 v204, 0, v204, s10
	s_delay_alu instid0(VALU_DEP_1) | instskip(SKIP_3) | instid1(VALU_DEP_1)
	v_add_nc_u32_e32 v203, v203, v204
	ds_swizzle_b32 v204, v203 offset:swizzle(BROADCAST,32,15)
	s_wait_dscnt 0x0
	v_cndmask_b32_e64 v204, v204, 0, s11
	v_add_nc_u32_e32 v203, v203, v204
	s_and_saveexec_b32 s15, s1
; %bb.1048:                             ;   in Loop: Header=BB1759_979 Depth=2
	ds_store_b32 v84, v203 offset:1024
; %bb.1049:                             ;   in Loop: Header=BB1759_979 Depth=2
	s_or_b32 exec_lo, exec_lo, s15
	s_wait_dscnt 0x0
	s_barrier_signal -1
	s_barrier_wait -1
	s_and_saveexec_b32 s15, s4
	s_cbranch_execz .LBB1759_1051
; %bb.1050:                             ;   in Loop: Header=BB1759_979 Depth=2
	ds_load_b32 v204, v92 offset:1024
	s_wait_dscnt 0x0
	v_mov_b32_dpp v205, v204 row_shr:1 row_mask:0xf bank_mask:0xf
	s_delay_alu instid0(VALU_DEP_1) | instskip(NEXT) | instid1(VALU_DEP_1)
	v_cndmask_b32_e64 v205, v205, 0, s12
	v_add_nc_u32_e32 v204, v205, v204
	s_delay_alu instid0(VALU_DEP_1) | instskip(NEXT) | instid1(VALU_DEP_1)
	v_mov_b32_dpp v205, v204 row_shr:2 row_mask:0xf bank_mask:0xf
	v_cndmask_b32_e64 v205, 0, v205, s13
	s_delay_alu instid0(VALU_DEP_1) | instskip(NEXT) | instid1(VALU_DEP_1)
	v_add_nc_u32_e32 v204, v204, v205
	v_mov_b32_dpp v205, v204 row_shr:4 row_mask:0xf bank_mask:0xf
	s_delay_alu instid0(VALU_DEP_1) | instskip(NEXT) | instid1(VALU_DEP_1)
	v_cndmask_b32_e64 v205, 0, v205, s14
	v_add_nc_u32_e32 v204, v204, v205
	ds_store_b32 v92, v204 offset:1024
.LBB1759_1051:                          ;   in Loop: Header=BB1759_979 Depth=2
	s_or_b32 exec_lo, exec_lo, s15
	v_mov_b32_e32 v204, 0
	s_wait_dscnt 0x0
	s_barrier_signal -1
	s_barrier_wait -1
	s_and_saveexec_b32 s15, s5
; %bb.1052:                             ;   in Loop: Header=BB1759_979 Depth=2
	ds_load_b32 v204, v84 offset:1020
; %bb.1053:                             ;   in Loop: Header=BB1759_979 Depth=2
	s_or_b32 exec_lo, exec_lo, s15
	s_wait_dscnt 0x0
	v_add_nc_u32_e32 v203, v204, v203
	ds_bpermute_b32 v203, v122, v203
	s_wait_dscnt 0x0
	v_cndmask_b32_e64 v203, v203, v204, s6
	s_delay_alu instid0(VALU_DEP_1) | instskip(NEXT) | instid1(VALU_DEP_1)
	v_cndmask_b32_e64 v203, v203, 0, s2
	v_add_nc_u32_e32 v66, v203, v66
	s_delay_alu instid0(VALU_DEP_1) | instskip(NEXT) | instid1(VALU_DEP_1)
	v_add_nc_u32_e32 v67, v66, v67
	v_add_nc_u32_e32 v64, v67, v64
	s_delay_alu instid0(VALU_DEP_1) | instskip(NEXT) | instid1(VALU_DEP_1)
	v_add_nc_u32_e32 v65, v64, v65
	;; [unrolled: 3-line block ×3, first 2 shown]
	v_add_nc_u32_e32 v60, v63, v60
	s_delay_alu instid0(VALU_DEP_1)
	v_add_nc_u32_e32 v61, v60, v61
	ds_store_2addr_b32 v121, v63, v60 offset1:1
	ds_store_2addr_b32 v118, v203, v66 offset1:1
	;; [unrolled: 1-line block ×4, first 2 shown]
	ds_store_b32 v91, v61 offset:1088
	s_wait_dscnt 0x0
	s_barrier_signal -1
	s_barrier_wait -1
	ds_load_b32 v63, v143 offset:1056
	ds_load_b32 v65, v147 offset:1056
	;; [unrolled: 1-line block ×17, first 2 shown]
	v_mov_b32_e32 v62, 0x1000
	s_and_saveexec_b32 s15, s3
; %bb.1054:                             ;   in Loop: Header=BB1759_979 Depth=2
	ds_load_b32 v62, v91 offset:1092
; %bb.1055:                             ;   in Loop: Header=BB1759_979 Depth=2
	s_or_b32 exec_lo, exec_lo, s15
	s_wait_dscnt 0x0
	s_barrier_signal -1
	s_barrier_wait -1
	s_and_saveexec_b32 s15, s0
	s_cbranch_execz .LBB1759_1057
; %bb.1056:                             ;   in Loop: Header=BB1759_979 Depth=2
	ds_load_b32 v155, v3
	s_wait_dscnt 0x0
	v_sub_nc_u32_e32 v151, v155, v151
	ds_store_b32 v3, v151
.LBB1759_1057:                          ;   in Loop: Header=BB1759_979 Depth=2
	s_or_b32 exec_lo, exec_lo, s15
	v_add3_u32 v159, v146, v145, v65
	v_add_nc_u32_e32 v163, v63, v142
	v_add3_u32 v155, v150, v149, v66
	v_add3_u32 v151, v154, v153, v67
	;; [unrolled: 1-line block ×4, first 2 shown]
	v_lshlrev_b32_e32 v60, 1, v159
	v_lshlrev_b32_e32 v153, 1, v163
	v_add3_u32 v150, v158, v157, v143
	v_add3_u32 v147, v166, v165, v203
	;; [unrolled: 1-line block ×4, first 2 shown]
	v_lshlrev_b32_e32 v61, 1, v155
	v_add3_u32 v145, v174, v173, v175
	v_lshlrev_b32_e32 v154, 1, v149
	ds_store_b16 v153, v140 offset:1024
	v_lshlrev_b32_e32 v140, 1, v151
	v_add3_u32 v143, v178, v177, v179
	v_lshlrev_b32_e32 v153, 1, v150
	v_add3_u32 v142, v182, v181, v183
	v_add3_u32 v63, v186, v185, v187
	ds_store_b16 v60, v141 offset:1024
	ds_store_b16 v61, v144 offset:1024
	;; [unrolled: 1-line block ×5, first 2 shown]
	v_dual_lshlrev_b32 v60, 1, v147 :: v_dual_lshlrev_b32 v140, 1, v145
	v_lshlrev_b32_e32 v61, 1, v146
	v_add3_u32 v65, v198, v197, v64
	v_dual_lshlrev_b32 v141, 1, v143 :: v_dual_lshlrev_b32 v144, 1, v142
	v_add3_u32 v64, v201, v200, v167
	ds_store_b16 v60, v160 offset:1024
	ds_store_b16 v61, v164 offset:1024
	;; [unrolled: 1-line block ×5, first 2 shown]
	v_dual_lshlrev_b32 v60, 1, v63 :: v_dual_lshlrev_b32 v140, 1, v66
	v_cmp_lt_u32_e32 vcc_lo, v2, v139
	v_dual_lshlrev_b32 v61, 1, v67 :: v_dual_lshlrev_b32 v141, 1, v65
	v_lshlrev_b32_e32 v144, 1, v64
	ds_store_b16 v60, v180 offset:1024
	ds_store_b16 v61, v184 offset:1024
	;; [unrolled: 1-line block ×5, first 2 shown]
	s_wait_dscnt 0x0
	s_barrier_signal -1
	s_barrier_wait -1
	s_and_saveexec_b32 s16, vcc_lo
	s_cbranch_execnz .LBB1759_1126
; %bb.1058:                             ;   in Loop: Header=BB1759_979 Depth=2
	s_or_b32 exec_lo, exec_lo, s16
	v_cmp_lt_u32_e64 s15, v68, v139
	s_and_saveexec_b32 s17, s15
	s_cbranch_execnz .LBB1759_1127
.LBB1759_1059:                          ;   in Loop: Header=BB1759_979 Depth=2
	s_or_b32 exec_lo, exec_lo, s17
	v_cmp_lt_u32_e64 s16, v69, v139
	s_and_saveexec_b32 s18, s16
	s_cbranch_execnz .LBB1759_1128
.LBB1759_1060:                          ;   in Loop: Header=BB1759_979 Depth=2
	s_or_b32 exec_lo, exec_lo, s18
	v_cmp_lt_u32_e64 s17, v70, v139
	s_and_saveexec_b32 s19, s17
	s_cbranch_execnz .LBB1759_1129
.LBB1759_1061:                          ;   in Loop: Header=BB1759_979 Depth=2
	s_or_b32 exec_lo, exec_lo, s19
	v_cmp_lt_u32_e64 s18, v71, v139
	s_and_saveexec_b32 s20, s18
	s_cbranch_execnz .LBB1759_1130
.LBB1759_1062:                          ;   in Loop: Header=BB1759_979 Depth=2
	s_or_b32 exec_lo, exec_lo, s20
	v_cmp_lt_u32_e64 s19, v72, v139
	s_and_saveexec_b32 s21, s19
	s_cbranch_execnz .LBB1759_1131
.LBB1759_1063:                          ;   in Loop: Header=BB1759_979 Depth=2
	s_or_b32 exec_lo, exec_lo, s21
	v_cmp_lt_u32_e64 s20, v73, v139
	s_and_saveexec_b32 s22, s20
	s_cbranch_execnz .LBB1759_1132
.LBB1759_1064:                          ;   in Loop: Header=BB1759_979 Depth=2
	s_or_b32 exec_lo, exec_lo, s22
	v_cmp_lt_u32_e64 s21, v74, v139
	s_and_saveexec_b32 s23, s21
	s_cbranch_execnz .LBB1759_1133
.LBB1759_1065:                          ;   in Loop: Header=BB1759_979 Depth=2
	s_or_b32 exec_lo, exec_lo, s23
	v_cmp_lt_u32_e64 s22, v75, v139
	s_and_saveexec_b32 s24, s22
	s_cbranch_execnz .LBB1759_1134
.LBB1759_1066:                          ;   in Loop: Header=BB1759_979 Depth=2
	s_or_b32 exec_lo, exec_lo, s24
	v_cmp_lt_u32_e64 s23, v76, v139
	s_and_saveexec_b32 s25, s23
	s_cbranch_execnz .LBB1759_1135
.LBB1759_1067:                          ;   in Loop: Header=BB1759_979 Depth=2
	s_or_b32 exec_lo, exec_lo, s25
	v_cmp_lt_u32_e64 s24, v77, v139
	s_and_saveexec_b32 s26, s24
	s_cbranch_execnz .LBB1759_1136
.LBB1759_1068:                          ;   in Loop: Header=BB1759_979 Depth=2
	s_or_b32 exec_lo, exec_lo, s26
	v_cmp_lt_u32_e64 s25, v78, v139
	s_and_saveexec_b32 s27, s25
	s_cbranch_execnz .LBB1759_1137
.LBB1759_1069:                          ;   in Loop: Header=BB1759_979 Depth=2
	s_or_b32 exec_lo, exec_lo, s27
	v_cmp_lt_u32_e64 s26, v79, v139
	s_and_saveexec_b32 s28, s26
	s_cbranch_execnz .LBB1759_1138
.LBB1759_1070:                          ;   in Loop: Header=BB1759_979 Depth=2
	s_or_b32 exec_lo, exec_lo, s28
	v_cmp_lt_u32_e64 s27, v80, v139
	s_and_saveexec_b32 s29, s27
	s_cbranch_execnz .LBB1759_1139
.LBB1759_1071:                          ;   in Loop: Header=BB1759_979 Depth=2
	s_or_b32 exec_lo, exec_lo, s29
	v_cmp_lt_u32_e64 s28, v81, v139
	s_and_saveexec_b32 s30, s28
	s_cbranch_execnz .LBB1759_1140
.LBB1759_1072:                          ;   in Loop: Header=BB1759_979 Depth=2
	s_or_b32 exec_lo, exec_lo, s30
	v_cmp_lt_u32_e64 s29, v82, v139
	s_and_saveexec_b32 s58, s29
	s_cbranch_execz .LBB1759_1074
.LBB1759_1073:                          ;   in Loop: Header=BB1759_979 Depth=2
	ds_load_u16 v60, v93 offset:8704
	s_wait_dscnt 0x0
	v_cmp_ne_u16_e64 s30, 0x8000, v60
	s_delay_alu instid0(VALU_DEP_1) | instskip(SKIP_1) | instid1(VALU_DEP_2)
	v_cndmask_b32_e64 v61, 0x7fff, v60, s30
	v_cmp_gt_i16_e64 s30, 0, v60
	v_and_b32_e32 v61, 0xffff, v61
	s_delay_alu instid0(VALU_DEP_2) | instskip(NEXT) | instid1(VALU_DEP_1)
	v_cndmask_b32_e64 v140, 0x7fff, 0, s30
	v_dual_lshrrev_b32 v61, s49, v61 :: v_dual_bitop2_b32 v60, v140, v60 bitop3:0x14
	s_delay_alu instid0(VALU_DEP_1) | instskip(NEXT) | instid1(VALU_DEP_1)
	v_and_b32_e32 v61, s52, v61
	v_lshlrev_b32_e32 v61, 2, v61
	ds_load_b32 v61, v61
	s_wait_dscnt 0x0
	v_add_nc_u32_e32 v61, v61, v82
	global_store_b16 v61, v60, s[40:41] scale_offset
.LBB1759_1074:                          ;   in Loop: Header=BB1759_979 Depth=2
	s_wait_xcnt 0x0
	s_or_b32 exec_lo, exec_lo, s58
	v_lshl_add_u64 v[60:61], s[42:43], 3, v[24:25]
	v_cmp_lt_u32_e64 s30, v100, v139
	s_and_saveexec_b32 s42, s30
	s_delay_alu instid0(SALU_CYCLE_1)
	s_xor_b32 s30, exec_lo, s42
	s_cbranch_execnz .LBB1759_1141
; %bb.1075:                             ;   in Loop: Header=BB1759_979 Depth=2
	s_or_b32 exec_lo, exec_lo, s30
	s_delay_alu instid0(SALU_CYCLE_1)
	s_mov_b32 s42, exec_lo
	v_cmpx_lt_u32_e64 v103, v139
	s_cbranch_execnz .LBB1759_1142
.LBB1759_1076:                          ;   in Loop: Header=BB1759_979 Depth=2
	s_or_b32 exec_lo, exec_lo, s42
	s_delay_alu instid0(SALU_CYCLE_1)
	s_mov_b32 s42, exec_lo
	v_cmpx_lt_u32_e64 v104, v139
	s_cbranch_execnz .LBB1759_1143
.LBB1759_1077:                          ;   in Loop: Header=BB1759_979 Depth=2
	s_or_b32 exec_lo, exec_lo, s42
	s_delay_alu instid0(SALU_CYCLE_1)
	s_mov_b32 s42, exec_lo
	v_cmpx_lt_u32_e64 v105, v139
	s_cbranch_execnz .LBB1759_1144
.LBB1759_1078:                          ;   in Loop: Header=BB1759_979 Depth=2
	s_or_b32 exec_lo, exec_lo, s42
	s_delay_alu instid0(SALU_CYCLE_1)
	s_mov_b32 s42, exec_lo
	v_cmpx_lt_u32_e64 v106, v139
	s_cbranch_execnz .LBB1759_1145
.LBB1759_1079:                          ;   in Loop: Header=BB1759_979 Depth=2
	s_or_b32 exec_lo, exec_lo, s42
	s_delay_alu instid0(SALU_CYCLE_1)
	s_mov_b32 s42, exec_lo
	v_cmpx_lt_u32_e64 v107, v139
	s_cbranch_execnz .LBB1759_1146
.LBB1759_1080:                          ;   in Loop: Header=BB1759_979 Depth=2
	s_or_b32 exec_lo, exec_lo, s42
	s_delay_alu instid0(SALU_CYCLE_1)
	s_mov_b32 s42, exec_lo
	v_cmpx_lt_u32_e64 v108, v139
	s_cbranch_execnz .LBB1759_1147
.LBB1759_1081:                          ;   in Loop: Header=BB1759_979 Depth=2
	s_or_b32 exec_lo, exec_lo, s42
	s_delay_alu instid0(SALU_CYCLE_1)
	s_mov_b32 s42, exec_lo
	v_cmpx_lt_u32_e64 v109, v139
	s_cbranch_execnz .LBB1759_1148
.LBB1759_1082:                          ;   in Loop: Header=BB1759_979 Depth=2
	s_or_b32 exec_lo, exec_lo, s42
	s_delay_alu instid0(SALU_CYCLE_1)
	s_mov_b32 s42, exec_lo
	v_cmpx_lt_u32_e64 v110, v139
	s_cbranch_execnz .LBB1759_1149
.LBB1759_1083:                          ;   in Loop: Header=BB1759_979 Depth=2
	s_or_b32 exec_lo, exec_lo, s42
	s_delay_alu instid0(SALU_CYCLE_1)
	s_mov_b32 s42, exec_lo
	v_cmpx_lt_u32_e64 v111, v139
	s_cbranch_execnz .LBB1759_1150
.LBB1759_1084:                          ;   in Loop: Header=BB1759_979 Depth=2
	s_or_b32 exec_lo, exec_lo, s42
	s_delay_alu instid0(SALU_CYCLE_1)
	s_mov_b32 s42, exec_lo
	v_cmpx_lt_u32_e64 v112, v139
	s_cbranch_execnz .LBB1759_1151
.LBB1759_1085:                          ;   in Loop: Header=BB1759_979 Depth=2
	s_or_b32 exec_lo, exec_lo, s42
	s_delay_alu instid0(SALU_CYCLE_1)
	s_mov_b32 s42, exec_lo
	v_cmpx_lt_u32_e64 v113, v139
	s_cbranch_execnz .LBB1759_1152
.LBB1759_1086:                          ;   in Loop: Header=BB1759_979 Depth=2
	s_or_b32 exec_lo, exec_lo, s42
	s_delay_alu instid0(SALU_CYCLE_1)
	s_mov_b32 s42, exec_lo
	v_cmpx_lt_u32_e64 v114, v139
	s_cbranch_execnz .LBB1759_1153
.LBB1759_1087:                          ;   in Loop: Header=BB1759_979 Depth=2
	s_or_b32 exec_lo, exec_lo, s42
	s_delay_alu instid0(SALU_CYCLE_1)
	s_mov_b32 s42, exec_lo
	v_cmpx_lt_u32_e64 v115, v139
	s_cbranch_execnz .LBB1759_1154
.LBB1759_1088:                          ;   in Loop: Header=BB1759_979 Depth=2
	s_or_b32 exec_lo, exec_lo, s42
	s_delay_alu instid0(SALU_CYCLE_1)
	s_mov_b32 s42, exec_lo
	v_cmpx_lt_u32_e64 v116, v139
	s_cbranch_execnz .LBB1759_1155
.LBB1759_1089:                          ;   in Loop: Header=BB1759_979 Depth=2
	s_or_b32 exec_lo, exec_lo, s42
	s_delay_alu instid0(SALU_CYCLE_1)
	s_mov_b32 s42, exec_lo
	v_cmpx_lt_u32_e64 v117, v139
	s_cbranch_execnz .LBB1759_1156
.LBB1759_1090:                          ;   in Loop: Header=BB1759_979 Depth=2
	s_or_b32 exec_lo, exec_lo, s42
	s_and_saveexec_b32 s42, vcc_lo
	s_cbranch_execnz .LBB1759_1157
.LBB1759_1091:                          ;   in Loop: Header=BB1759_979 Depth=2
	s_or_b32 exec_lo, exec_lo, s42
	s_and_saveexec_b32 s42, s15
	s_cbranch_execnz .LBB1759_1158
.LBB1759_1092:                          ;   in Loop: Header=BB1759_979 Depth=2
	s_or_b32 exec_lo, exec_lo, s42
	s_and_saveexec_b32 s42, s16
	s_cbranch_execnz .LBB1759_1159
.LBB1759_1093:                          ;   in Loop: Header=BB1759_979 Depth=2
	s_or_b32 exec_lo, exec_lo, s42
	s_and_saveexec_b32 s42, s17
	s_cbranch_execnz .LBB1759_1160
.LBB1759_1094:                          ;   in Loop: Header=BB1759_979 Depth=2
	s_or_b32 exec_lo, exec_lo, s42
	s_and_saveexec_b32 s42, s18
	s_cbranch_execnz .LBB1759_1161
.LBB1759_1095:                          ;   in Loop: Header=BB1759_979 Depth=2
	s_or_b32 exec_lo, exec_lo, s42
	s_and_saveexec_b32 s42, s19
	s_cbranch_execnz .LBB1759_1162
.LBB1759_1096:                          ;   in Loop: Header=BB1759_979 Depth=2
	s_or_b32 exec_lo, exec_lo, s42
	s_and_saveexec_b32 s42, s20
	s_cbranch_execnz .LBB1759_1163
.LBB1759_1097:                          ;   in Loop: Header=BB1759_979 Depth=2
	s_or_b32 exec_lo, exec_lo, s42
	s_and_saveexec_b32 s42, s21
	s_cbranch_execnz .LBB1759_1164
.LBB1759_1098:                          ;   in Loop: Header=BB1759_979 Depth=2
	s_or_b32 exec_lo, exec_lo, s42
	s_and_saveexec_b32 s42, s22
	s_cbranch_execnz .LBB1759_1165
.LBB1759_1099:                          ;   in Loop: Header=BB1759_979 Depth=2
	s_or_b32 exec_lo, exec_lo, s42
	s_and_saveexec_b32 s42, s23
	s_cbranch_execnz .LBB1759_1166
.LBB1759_1100:                          ;   in Loop: Header=BB1759_979 Depth=2
	s_or_b32 exec_lo, exec_lo, s42
	s_and_saveexec_b32 s42, s24
	s_cbranch_execnz .LBB1759_1167
.LBB1759_1101:                          ;   in Loop: Header=BB1759_979 Depth=2
	s_or_b32 exec_lo, exec_lo, s42
	s_and_saveexec_b32 s42, s25
	s_cbranch_execnz .LBB1759_1168
.LBB1759_1102:                          ;   in Loop: Header=BB1759_979 Depth=2
	s_or_b32 exec_lo, exec_lo, s42
	s_and_saveexec_b32 s42, s26
	s_cbranch_execnz .LBB1759_1169
.LBB1759_1103:                          ;   in Loop: Header=BB1759_979 Depth=2
	s_or_b32 exec_lo, exec_lo, s42
	s_and_saveexec_b32 s42, s27
	s_cbranch_execnz .LBB1759_1170
.LBB1759_1104:                          ;   in Loop: Header=BB1759_979 Depth=2
	s_or_b32 exec_lo, exec_lo, s42
	s_and_saveexec_b32 s42, s28
	s_cbranch_execnz .LBB1759_1171
.LBB1759_1105:                          ;   in Loop: Header=BB1759_979 Depth=2
	s_or_b32 exec_lo, exec_lo, s42
	s_and_saveexec_b32 s42, s29
	s_cbranch_execz .LBB1759_1107
.LBB1759_1106:                          ;   in Loop: Header=BB1759_979 Depth=2
	ds_load_u16 v60, v93 offset:8704
	s_wait_dscnt 0x0
	v_cmp_ne_u16_e64 s30, 0x8000, v60
	s_delay_alu instid0(VALU_DEP_1) | instskip(NEXT) | instid1(VALU_DEP_1)
	v_cndmask_b32_e64 v60, 0x7fff, v60, s30
	v_and_b32_e32 v60, 0xffff, v60
	s_delay_alu instid0(VALU_DEP_1) | instskip(NEXT) | instid1(VALU_DEP_1)
	v_lshrrev_b32_e32 v60, s49, v60
	v_and_b32_e32 v123, s52, v60
.LBB1759_1107:                          ;   in Loop: Header=BB1759_979 Depth=2
	s_or_b32 exec_lo, exec_lo, s42
	v_dual_lshlrev_b32 v60, 3, v163 :: v_dual_lshlrev_b32 v140, 3, v150
	s_wait_loadcnt 0x0
	s_wait_storecnt 0x0
	s_barrier_signal -1
	s_barrier_wait -1
	ds_store_b64 v60, v[58:59] offset:1024
	v_dual_lshlrev_b32 v60, 3, v159 :: v_dual_lshlrev_b32 v141, 3, v149
	v_lshlrev_b32_e32 v61, 3, v155
	v_lshlrev_b32_e32 v139, 3, v151
	ds_store_b64 v60, v[56:57] offset:1024
	ds_store_b64 v61, v[54:55] offset:1024
	;; [unrolled: 1-line block ×5, first 2 shown]
	v_dual_lshlrev_b32 v60, 3, v147 :: v_dual_lshlrev_b32 v141, 3, v142
	v_dual_lshlrev_b32 v61, 3, v146 :: v_dual_lshlrev_b32 v139, 3, v145
	v_lshlrev_b32_e32 v140, 3, v143
	ds_store_b64 v60, v[46:47] offset:1024
	ds_store_b64 v61, v[44:45] offset:1024
	;; [unrolled: 1-line block ×5, first 2 shown]
	v_dual_lshlrev_b32 v60, 3, v63 :: v_dual_lshlrev_b32 v65, 3, v65
	v_dual_lshlrev_b32 v61, 3, v67 :: v_dual_lshlrev_b32 v64, 3, v64
	v_lshlrev_b32_e32 v63, 3, v66
	ds_store_b64 v60, v[36:37] offset:1024
	ds_store_b64 v61, v[34:35] offset:1024
	ds_store_b64 v63, v[32:33] offset:1024
	ds_store_b64 v65, v[30:31] offset:1024
	ds_store_b64 v64, v[28:29] offset:1024
	v_add_nc_u32_e32 v60, v93, v94
	s_wait_dscnt 0x0
	s_barrier_signal -1
	s_barrier_wait -1
	s_and_saveexec_b32 s30, vcc_lo
	s_cbranch_execnz .LBB1759_1172
; %bb.1108:                             ;   in Loop: Header=BB1759_979 Depth=2
	s_or_b32 exec_lo, exec_lo, s30
	s_and_saveexec_b32 s30, s15
	s_cbranch_execnz .LBB1759_1173
.LBB1759_1109:                          ;   in Loop: Header=BB1759_979 Depth=2
	s_or_b32 exec_lo, exec_lo, s30
	s_and_saveexec_b32 s15, s16
	s_cbranch_execnz .LBB1759_1174
.LBB1759_1110:                          ;   in Loop: Header=BB1759_979 Depth=2
	s_or_b32 exec_lo, exec_lo, s15
	s_and_saveexec_b32 s15, s17
	s_cbranch_execnz .LBB1759_1175
.LBB1759_1111:                          ;   in Loop: Header=BB1759_979 Depth=2
	s_or_b32 exec_lo, exec_lo, s15
	s_and_saveexec_b32 s15, s18
	s_cbranch_execnz .LBB1759_1176
.LBB1759_1112:                          ;   in Loop: Header=BB1759_979 Depth=2
	s_or_b32 exec_lo, exec_lo, s15
	s_and_saveexec_b32 s15, s19
	s_cbranch_execnz .LBB1759_1177
.LBB1759_1113:                          ;   in Loop: Header=BB1759_979 Depth=2
	s_or_b32 exec_lo, exec_lo, s15
	s_and_saveexec_b32 s15, s20
	s_cbranch_execnz .LBB1759_1178
.LBB1759_1114:                          ;   in Loop: Header=BB1759_979 Depth=2
	s_or_b32 exec_lo, exec_lo, s15
	s_and_saveexec_b32 s15, s21
	s_cbranch_execnz .LBB1759_1179
.LBB1759_1115:                          ;   in Loop: Header=BB1759_979 Depth=2
	s_or_b32 exec_lo, exec_lo, s15
	s_and_saveexec_b32 s15, s22
	s_cbranch_execnz .LBB1759_1180
.LBB1759_1116:                          ;   in Loop: Header=BB1759_979 Depth=2
	s_or_b32 exec_lo, exec_lo, s15
	s_and_saveexec_b32 s15, s23
	s_cbranch_execnz .LBB1759_1181
.LBB1759_1117:                          ;   in Loop: Header=BB1759_979 Depth=2
	s_or_b32 exec_lo, exec_lo, s15
	s_and_saveexec_b32 s15, s24
	s_cbranch_execnz .LBB1759_1182
.LBB1759_1118:                          ;   in Loop: Header=BB1759_979 Depth=2
	s_or_b32 exec_lo, exec_lo, s15
	s_and_saveexec_b32 s15, s25
	s_cbranch_execnz .LBB1759_1183
.LBB1759_1119:                          ;   in Loop: Header=BB1759_979 Depth=2
	s_or_b32 exec_lo, exec_lo, s15
	s_and_saveexec_b32 s15, s26
	s_cbranch_execnz .LBB1759_1184
.LBB1759_1120:                          ;   in Loop: Header=BB1759_979 Depth=2
	s_or_b32 exec_lo, exec_lo, s15
	s_and_saveexec_b32 s15, s27
	s_cbranch_execnz .LBB1759_1185
.LBB1759_1121:                          ;   in Loop: Header=BB1759_979 Depth=2
	s_or_b32 exec_lo, exec_lo, s15
	s_and_saveexec_b32 s15, s28
	s_cbranch_execnz .LBB1759_1186
.LBB1759_1122:                          ;   in Loop: Header=BB1759_979 Depth=2
	s_or_b32 exec_lo, exec_lo, s15
	s_and_saveexec_b32 s15, s29
	s_cbranch_execz .LBB1759_1124
.LBB1759_1123:                          ;   in Loop: Header=BB1759_979 Depth=2
	v_lshlrev_b32_e32 v61, 2, v123
	ds_load_b32 v63, v61
	ds_load_b64 v[60:61], v60 offset:31744
	s_wait_dscnt 0x1
	v_add_nc_u32_e32 v63, v63, v82
	s_wait_dscnt 0x0
	global_store_b64 v63, v[60:61], s[46:47] scale_offset
.LBB1759_1124:                          ;   in Loop: Header=BB1759_979 Depth=2
	s_wait_xcnt 0x0
	s_or_b32 exec_lo, exec_lo, s15
	s_wait_storecnt 0x0
	s_barrier_signal -1
	s_barrier_wait -1
	s_and_saveexec_b32 s15, s0
	s_cbranch_execz .LBB1759_978
; %bb.1125:                             ;   in Loop: Header=BB1759_979 Depth=2
	ds_load_b32 v60, v3
	s_wait_dscnt 0x0
	v_add_nc_u32_e32 v60, v60, v62
	ds_store_b32 v3, v60
	s_branch .LBB1759_978
.LBB1759_1126:                          ;   in Loop: Header=BB1759_979 Depth=2
	ds_load_u16 v60, v93 offset:1024
	s_wait_dscnt 0x0
	v_cmp_ne_u16_e64 s15, 0x8000, v60
	s_delay_alu instid0(VALU_DEP_1) | instskip(SKIP_1) | instid1(VALU_DEP_2)
	v_cndmask_b32_e64 v61, 0x7fff, v60, s15
	v_cmp_gt_i16_e64 s15, 0, v60
	v_and_b32_e32 v61, 0xffff, v61
	s_delay_alu instid0(VALU_DEP_2) | instskip(NEXT) | instid1(VALU_DEP_1)
	v_cndmask_b32_e64 v140, 0x7fff, 0, s15
	v_dual_lshrrev_b32 v61, s49, v61 :: v_dual_bitop2_b32 v60, v140, v60 bitop3:0x14
	s_delay_alu instid0(VALU_DEP_1) | instskip(NEXT) | instid1(VALU_DEP_1)
	v_and_b32_e32 v61, s52, v61
	v_lshlrev_b32_e32 v61, 2, v61
	ds_load_b32 v61, v61
	s_wait_dscnt 0x0
	v_add_nc_u32_e32 v61, v61, v2
	global_store_b16 v61, v60, s[40:41] scale_offset
	s_wait_xcnt 0x0
	s_or_b32 exec_lo, exec_lo, s16
	v_cmp_lt_u32_e64 s15, v68, v139
	s_and_saveexec_b32 s17, s15
	s_cbranch_execz .LBB1759_1059
.LBB1759_1127:                          ;   in Loop: Header=BB1759_979 Depth=2
	ds_load_u16 v60, v93 offset:1536
	s_wait_dscnt 0x0
	v_cmp_ne_u16_e64 s16, 0x8000, v60
	s_delay_alu instid0(VALU_DEP_1) | instskip(SKIP_1) | instid1(VALU_DEP_2)
	v_cndmask_b32_e64 v61, 0x7fff, v60, s16
	v_cmp_gt_i16_e64 s16, 0, v60
	v_and_b32_e32 v61, 0xffff, v61
	s_delay_alu instid0(VALU_DEP_2) | instskip(NEXT) | instid1(VALU_DEP_1)
	v_cndmask_b32_e64 v140, 0x7fff, 0, s16
	v_dual_lshrrev_b32 v61, s49, v61 :: v_dual_bitop2_b32 v60, v140, v60 bitop3:0x14
	s_delay_alu instid0(VALU_DEP_1) | instskip(NEXT) | instid1(VALU_DEP_1)
	v_and_b32_e32 v61, s52, v61
	v_lshlrev_b32_e32 v61, 2, v61
	ds_load_b32 v61, v61
	s_wait_dscnt 0x0
	v_add_nc_u32_e32 v61, v61, v68
	global_store_b16 v61, v60, s[40:41] scale_offset
	s_wait_xcnt 0x0
	s_or_b32 exec_lo, exec_lo, s17
	v_cmp_lt_u32_e64 s16, v69, v139
	s_and_saveexec_b32 s18, s16
	s_cbranch_execz .LBB1759_1060
.LBB1759_1128:                          ;   in Loop: Header=BB1759_979 Depth=2
	ds_load_u16 v60, v93 offset:2048
	s_wait_dscnt 0x0
	v_cmp_ne_u16_e64 s17, 0x8000, v60
	s_delay_alu instid0(VALU_DEP_1) | instskip(SKIP_1) | instid1(VALU_DEP_2)
	v_cndmask_b32_e64 v61, 0x7fff, v60, s17
	v_cmp_gt_i16_e64 s17, 0, v60
	v_and_b32_e32 v61, 0xffff, v61
	s_delay_alu instid0(VALU_DEP_2) | instskip(NEXT) | instid1(VALU_DEP_1)
	v_cndmask_b32_e64 v140, 0x7fff, 0, s17
	v_dual_lshrrev_b32 v61, s49, v61 :: v_dual_bitop2_b32 v60, v140, v60 bitop3:0x14
	s_delay_alu instid0(VALU_DEP_1) | instskip(NEXT) | instid1(VALU_DEP_1)
	v_and_b32_e32 v61, s52, v61
	v_lshlrev_b32_e32 v61, 2, v61
	ds_load_b32 v61, v61
	s_wait_dscnt 0x0
	v_add_nc_u32_e32 v61, v61, v69
	global_store_b16 v61, v60, s[40:41] scale_offset
	s_wait_xcnt 0x0
	s_or_b32 exec_lo, exec_lo, s18
	v_cmp_lt_u32_e64 s17, v70, v139
	s_and_saveexec_b32 s19, s17
	s_cbranch_execz .LBB1759_1061
.LBB1759_1129:                          ;   in Loop: Header=BB1759_979 Depth=2
	ds_load_u16 v60, v93 offset:2560
	s_wait_dscnt 0x0
	v_cmp_ne_u16_e64 s18, 0x8000, v60
	s_delay_alu instid0(VALU_DEP_1) | instskip(SKIP_1) | instid1(VALU_DEP_2)
	v_cndmask_b32_e64 v61, 0x7fff, v60, s18
	v_cmp_gt_i16_e64 s18, 0, v60
	v_and_b32_e32 v61, 0xffff, v61
	s_delay_alu instid0(VALU_DEP_2) | instskip(NEXT) | instid1(VALU_DEP_1)
	v_cndmask_b32_e64 v140, 0x7fff, 0, s18
	v_dual_lshrrev_b32 v61, s49, v61 :: v_dual_bitop2_b32 v60, v140, v60 bitop3:0x14
	s_delay_alu instid0(VALU_DEP_1) | instskip(NEXT) | instid1(VALU_DEP_1)
	v_and_b32_e32 v61, s52, v61
	v_lshlrev_b32_e32 v61, 2, v61
	ds_load_b32 v61, v61
	s_wait_dscnt 0x0
	v_add_nc_u32_e32 v61, v61, v70
	global_store_b16 v61, v60, s[40:41] scale_offset
	s_wait_xcnt 0x0
	s_or_b32 exec_lo, exec_lo, s19
	v_cmp_lt_u32_e64 s18, v71, v139
	s_and_saveexec_b32 s20, s18
	s_cbranch_execz .LBB1759_1062
.LBB1759_1130:                          ;   in Loop: Header=BB1759_979 Depth=2
	ds_load_u16 v60, v93 offset:3072
	s_wait_dscnt 0x0
	v_cmp_ne_u16_e64 s19, 0x8000, v60
	s_delay_alu instid0(VALU_DEP_1) | instskip(SKIP_1) | instid1(VALU_DEP_2)
	v_cndmask_b32_e64 v61, 0x7fff, v60, s19
	v_cmp_gt_i16_e64 s19, 0, v60
	v_and_b32_e32 v61, 0xffff, v61
	s_delay_alu instid0(VALU_DEP_2) | instskip(NEXT) | instid1(VALU_DEP_1)
	v_cndmask_b32_e64 v140, 0x7fff, 0, s19
	v_dual_lshrrev_b32 v61, s49, v61 :: v_dual_bitop2_b32 v60, v140, v60 bitop3:0x14
	s_delay_alu instid0(VALU_DEP_1) | instskip(NEXT) | instid1(VALU_DEP_1)
	v_and_b32_e32 v61, s52, v61
	v_lshlrev_b32_e32 v61, 2, v61
	ds_load_b32 v61, v61
	s_wait_dscnt 0x0
	v_add_nc_u32_e32 v61, v61, v71
	global_store_b16 v61, v60, s[40:41] scale_offset
	s_wait_xcnt 0x0
	s_or_b32 exec_lo, exec_lo, s20
	v_cmp_lt_u32_e64 s19, v72, v139
	s_and_saveexec_b32 s21, s19
	s_cbranch_execz .LBB1759_1063
.LBB1759_1131:                          ;   in Loop: Header=BB1759_979 Depth=2
	ds_load_u16 v60, v93 offset:3584
	s_wait_dscnt 0x0
	v_cmp_ne_u16_e64 s20, 0x8000, v60
	s_delay_alu instid0(VALU_DEP_1) | instskip(SKIP_1) | instid1(VALU_DEP_2)
	v_cndmask_b32_e64 v61, 0x7fff, v60, s20
	v_cmp_gt_i16_e64 s20, 0, v60
	v_and_b32_e32 v61, 0xffff, v61
	s_delay_alu instid0(VALU_DEP_2) | instskip(NEXT) | instid1(VALU_DEP_1)
	v_cndmask_b32_e64 v140, 0x7fff, 0, s20
	v_dual_lshrrev_b32 v61, s49, v61 :: v_dual_bitop2_b32 v60, v140, v60 bitop3:0x14
	s_delay_alu instid0(VALU_DEP_1) | instskip(NEXT) | instid1(VALU_DEP_1)
	v_and_b32_e32 v61, s52, v61
	v_lshlrev_b32_e32 v61, 2, v61
	ds_load_b32 v61, v61
	s_wait_dscnt 0x0
	v_add_nc_u32_e32 v61, v61, v72
	global_store_b16 v61, v60, s[40:41] scale_offset
	s_wait_xcnt 0x0
	s_or_b32 exec_lo, exec_lo, s21
	v_cmp_lt_u32_e64 s20, v73, v139
	s_and_saveexec_b32 s22, s20
	s_cbranch_execz .LBB1759_1064
.LBB1759_1132:                          ;   in Loop: Header=BB1759_979 Depth=2
	ds_load_u16 v60, v93 offset:4096
	s_wait_dscnt 0x0
	v_cmp_ne_u16_e64 s21, 0x8000, v60
	s_delay_alu instid0(VALU_DEP_1) | instskip(SKIP_1) | instid1(VALU_DEP_2)
	v_cndmask_b32_e64 v61, 0x7fff, v60, s21
	v_cmp_gt_i16_e64 s21, 0, v60
	v_and_b32_e32 v61, 0xffff, v61
	s_delay_alu instid0(VALU_DEP_2) | instskip(NEXT) | instid1(VALU_DEP_1)
	v_cndmask_b32_e64 v140, 0x7fff, 0, s21
	v_dual_lshrrev_b32 v61, s49, v61 :: v_dual_bitop2_b32 v60, v140, v60 bitop3:0x14
	s_delay_alu instid0(VALU_DEP_1) | instskip(NEXT) | instid1(VALU_DEP_1)
	v_and_b32_e32 v61, s52, v61
	v_lshlrev_b32_e32 v61, 2, v61
	ds_load_b32 v61, v61
	s_wait_dscnt 0x0
	v_add_nc_u32_e32 v61, v61, v73
	global_store_b16 v61, v60, s[40:41] scale_offset
	s_wait_xcnt 0x0
	s_or_b32 exec_lo, exec_lo, s22
	v_cmp_lt_u32_e64 s21, v74, v139
	s_and_saveexec_b32 s23, s21
	s_cbranch_execz .LBB1759_1065
.LBB1759_1133:                          ;   in Loop: Header=BB1759_979 Depth=2
	ds_load_u16 v60, v93 offset:4608
	s_wait_dscnt 0x0
	v_cmp_ne_u16_e64 s22, 0x8000, v60
	s_delay_alu instid0(VALU_DEP_1) | instskip(SKIP_1) | instid1(VALU_DEP_2)
	v_cndmask_b32_e64 v61, 0x7fff, v60, s22
	v_cmp_gt_i16_e64 s22, 0, v60
	v_and_b32_e32 v61, 0xffff, v61
	s_delay_alu instid0(VALU_DEP_2) | instskip(NEXT) | instid1(VALU_DEP_1)
	v_cndmask_b32_e64 v140, 0x7fff, 0, s22
	v_dual_lshrrev_b32 v61, s49, v61 :: v_dual_bitop2_b32 v60, v140, v60 bitop3:0x14
	s_delay_alu instid0(VALU_DEP_1) | instskip(NEXT) | instid1(VALU_DEP_1)
	v_and_b32_e32 v61, s52, v61
	v_lshlrev_b32_e32 v61, 2, v61
	ds_load_b32 v61, v61
	s_wait_dscnt 0x0
	v_add_nc_u32_e32 v61, v61, v74
	global_store_b16 v61, v60, s[40:41] scale_offset
	s_wait_xcnt 0x0
	s_or_b32 exec_lo, exec_lo, s23
	v_cmp_lt_u32_e64 s22, v75, v139
	s_and_saveexec_b32 s24, s22
	s_cbranch_execz .LBB1759_1066
.LBB1759_1134:                          ;   in Loop: Header=BB1759_979 Depth=2
	ds_load_u16 v60, v93 offset:5120
	s_wait_dscnt 0x0
	v_cmp_ne_u16_e64 s23, 0x8000, v60
	s_delay_alu instid0(VALU_DEP_1) | instskip(SKIP_1) | instid1(VALU_DEP_2)
	v_cndmask_b32_e64 v61, 0x7fff, v60, s23
	v_cmp_gt_i16_e64 s23, 0, v60
	v_and_b32_e32 v61, 0xffff, v61
	s_delay_alu instid0(VALU_DEP_2) | instskip(NEXT) | instid1(VALU_DEP_1)
	v_cndmask_b32_e64 v140, 0x7fff, 0, s23
	v_dual_lshrrev_b32 v61, s49, v61 :: v_dual_bitop2_b32 v60, v140, v60 bitop3:0x14
	s_delay_alu instid0(VALU_DEP_1) | instskip(NEXT) | instid1(VALU_DEP_1)
	v_and_b32_e32 v61, s52, v61
	v_lshlrev_b32_e32 v61, 2, v61
	ds_load_b32 v61, v61
	s_wait_dscnt 0x0
	v_add_nc_u32_e32 v61, v61, v75
	global_store_b16 v61, v60, s[40:41] scale_offset
	s_wait_xcnt 0x0
	s_or_b32 exec_lo, exec_lo, s24
	v_cmp_lt_u32_e64 s23, v76, v139
	s_and_saveexec_b32 s25, s23
	s_cbranch_execz .LBB1759_1067
.LBB1759_1135:                          ;   in Loop: Header=BB1759_979 Depth=2
	ds_load_u16 v60, v93 offset:5632
	s_wait_dscnt 0x0
	v_cmp_ne_u16_e64 s24, 0x8000, v60
	s_delay_alu instid0(VALU_DEP_1) | instskip(SKIP_1) | instid1(VALU_DEP_2)
	v_cndmask_b32_e64 v61, 0x7fff, v60, s24
	v_cmp_gt_i16_e64 s24, 0, v60
	v_and_b32_e32 v61, 0xffff, v61
	s_delay_alu instid0(VALU_DEP_2) | instskip(NEXT) | instid1(VALU_DEP_1)
	v_cndmask_b32_e64 v140, 0x7fff, 0, s24
	v_dual_lshrrev_b32 v61, s49, v61 :: v_dual_bitop2_b32 v60, v140, v60 bitop3:0x14
	s_delay_alu instid0(VALU_DEP_1) | instskip(NEXT) | instid1(VALU_DEP_1)
	v_and_b32_e32 v61, s52, v61
	v_lshlrev_b32_e32 v61, 2, v61
	ds_load_b32 v61, v61
	s_wait_dscnt 0x0
	v_add_nc_u32_e32 v61, v61, v76
	global_store_b16 v61, v60, s[40:41] scale_offset
	s_wait_xcnt 0x0
	s_or_b32 exec_lo, exec_lo, s25
	v_cmp_lt_u32_e64 s24, v77, v139
	s_and_saveexec_b32 s26, s24
	s_cbranch_execz .LBB1759_1068
.LBB1759_1136:                          ;   in Loop: Header=BB1759_979 Depth=2
	ds_load_u16 v60, v93 offset:6144
	s_wait_dscnt 0x0
	v_cmp_ne_u16_e64 s25, 0x8000, v60
	s_delay_alu instid0(VALU_DEP_1) | instskip(SKIP_1) | instid1(VALU_DEP_2)
	v_cndmask_b32_e64 v61, 0x7fff, v60, s25
	v_cmp_gt_i16_e64 s25, 0, v60
	v_and_b32_e32 v61, 0xffff, v61
	s_delay_alu instid0(VALU_DEP_2) | instskip(NEXT) | instid1(VALU_DEP_1)
	v_cndmask_b32_e64 v140, 0x7fff, 0, s25
	v_dual_lshrrev_b32 v61, s49, v61 :: v_dual_bitop2_b32 v60, v140, v60 bitop3:0x14
	s_delay_alu instid0(VALU_DEP_1) | instskip(NEXT) | instid1(VALU_DEP_1)
	v_and_b32_e32 v61, s52, v61
	v_lshlrev_b32_e32 v61, 2, v61
	ds_load_b32 v61, v61
	s_wait_dscnt 0x0
	v_add_nc_u32_e32 v61, v61, v77
	global_store_b16 v61, v60, s[40:41] scale_offset
	s_wait_xcnt 0x0
	s_or_b32 exec_lo, exec_lo, s26
	v_cmp_lt_u32_e64 s25, v78, v139
	s_and_saveexec_b32 s27, s25
	s_cbranch_execz .LBB1759_1069
.LBB1759_1137:                          ;   in Loop: Header=BB1759_979 Depth=2
	ds_load_u16 v60, v93 offset:6656
	s_wait_dscnt 0x0
	v_cmp_ne_u16_e64 s26, 0x8000, v60
	s_delay_alu instid0(VALU_DEP_1) | instskip(SKIP_1) | instid1(VALU_DEP_2)
	v_cndmask_b32_e64 v61, 0x7fff, v60, s26
	v_cmp_gt_i16_e64 s26, 0, v60
	v_and_b32_e32 v61, 0xffff, v61
	s_delay_alu instid0(VALU_DEP_2) | instskip(NEXT) | instid1(VALU_DEP_1)
	v_cndmask_b32_e64 v140, 0x7fff, 0, s26
	v_dual_lshrrev_b32 v61, s49, v61 :: v_dual_bitop2_b32 v60, v140, v60 bitop3:0x14
	s_delay_alu instid0(VALU_DEP_1) | instskip(NEXT) | instid1(VALU_DEP_1)
	v_and_b32_e32 v61, s52, v61
	v_lshlrev_b32_e32 v61, 2, v61
	ds_load_b32 v61, v61
	s_wait_dscnt 0x0
	v_add_nc_u32_e32 v61, v61, v78
	global_store_b16 v61, v60, s[40:41] scale_offset
	s_wait_xcnt 0x0
	s_or_b32 exec_lo, exec_lo, s27
	v_cmp_lt_u32_e64 s26, v79, v139
	s_and_saveexec_b32 s28, s26
	s_cbranch_execz .LBB1759_1070
.LBB1759_1138:                          ;   in Loop: Header=BB1759_979 Depth=2
	ds_load_u16 v60, v93 offset:7168
	s_wait_dscnt 0x0
	v_cmp_ne_u16_e64 s27, 0x8000, v60
	s_delay_alu instid0(VALU_DEP_1) | instskip(SKIP_1) | instid1(VALU_DEP_2)
	v_cndmask_b32_e64 v61, 0x7fff, v60, s27
	v_cmp_gt_i16_e64 s27, 0, v60
	v_and_b32_e32 v61, 0xffff, v61
	s_delay_alu instid0(VALU_DEP_2) | instskip(NEXT) | instid1(VALU_DEP_1)
	v_cndmask_b32_e64 v140, 0x7fff, 0, s27
	v_dual_lshrrev_b32 v61, s49, v61 :: v_dual_bitop2_b32 v60, v140, v60 bitop3:0x14
	s_delay_alu instid0(VALU_DEP_1) | instskip(NEXT) | instid1(VALU_DEP_1)
	v_and_b32_e32 v61, s52, v61
	v_lshlrev_b32_e32 v61, 2, v61
	ds_load_b32 v61, v61
	s_wait_dscnt 0x0
	v_add_nc_u32_e32 v61, v61, v79
	global_store_b16 v61, v60, s[40:41] scale_offset
	s_wait_xcnt 0x0
	s_or_b32 exec_lo, exec_lo, s28
	v_cmp_lt_u32_e64 s27, v80, v139
	s_and_saveexec_b32 s29, s27
	s_cbranch_execz .LBB1759_1071
.LBB1759_1139:                          ;   in Loop: Header=BB1759_979 Depth=2
	ds_load_u16 v60, v93 offset:7680
	s_wait_dscnt 0x0
	v_cmp_ne_u16_e64 s28, 0x8000, v60
	s_delay_alu instid0(VALU_DEP_1) | instskip(SKIP_1) | instid1(VALU_DEP_2)
	v_cndmask_b32_e64 v61, 0x7fff, v60, s28
	v_cmp_gt_i16_e64 s28, 0, v60
	v_and_b32_e32 v61, 0xffff, v61
	s_delay_alu instid0(VALU_DEP_2) | instskip(NEXT) | instid1(VALU_DEP_1)
	v_cndmask_b32_e64 v140, 0x7fff, 0, s28
	v_dual_lshrrev_b32 v61, s49, v61 :: v_dual_bitop2_b32 v60, v140, v60 bitop3:0x14
	s_delay_alu instid0(VALU_DEP_1) | instskip(NEXT) | instid1(VALU_DEP_1)
	v_and_b32_e32 v61, s52, v61
	v_lshlrev_b32_e32 v61, 2, v61
	ds_load_b32 v61, v61
	s_wait_dscnt 0x0
	v_add_nc_u32_e32 v61, v61, v80
	global_store_b16 v61, v60, s[40:41] scale_offset
	s_wait_xcnt 0x0
	s_or_b32 exec_lo, exec_lo, s29
	v_cmp_lt_u32_e64 s28, v81, v139
	s_and_saveexec_b32 s30, s28
	s_cbranch_execz .LBB1759_1072
.LBB1759_1140:                          ;   in Loop: Header=BB1759_979 Depth=2
	ds_load_u16 v60, v93 offset:8192
	s_wait_dscnt 0x0
	v_cmp_ne_u16_e64 s29, 0x8000, v60
	s_delay_alu instid0(VALU_DEP_1) | instskip(SKIP_1) | instid1(VALU_DEP_2)
	v_cndmask_b32_e64 v61, 0x7fff, v60, s29
	v_cmp_gt_i16_e64 s29, 0, v60
	v_and_b32_e32 v61, 0xffff, v61
	s_delay_alu instid0(VALU_DEP_2) | instskip(NEXT) | instid1(VALU_DEP_1)
	v_cndmask_b32_e64 v140, 0x7fff, 0, s29
	v_dual_lshrrev_b32 v61, s49, v61 :: v_dual_bitop2_b32 v60, v140, v60 bitop3:0x14
	s_delay_alu instid0(VALU_DEP_1) | instskip(NEXT) | instid1(VALU_DEP_1)
	v_and_b32_e32 v61, s52, v61
	v_lshlrev_b32_e32 v61, 2, v61
	ds_load_b32 v61, v61
	s_wait_dscnt 0x0
	v_add_nc_u32_e32 v61, v61, v81
	global_store_b16 v61, v60, s[40:41] scale_offset
	s_wait_xcnt 0x0
	s_or_b32 exec_lo, exec_lo, s30
	v_cmp_lt_u32_e64 s29, v82, v139
	s_and_saveexec_b32 s58, s29
	s_cbranch_execnz .LBB1759_1073
	s_branch .LBB1759_1074
.LBB1759_1141:                          ;   in Loop: Header=BB1759_979 Depth=2
	global_load_b64 v[58:59], v[60:61], off
	s_wait_xcnt 0x0
	s_or_b32 exec_lo, exec_lo, s30
	s_delay_alu instid0(SALU_CYCLE_1)
	s_mov_b32 s42, exec_lo
	v_cmpx_lt_u32_e64 v103, v139
	s_cbranch_execz .LBB1759_1076
.LBB1759_1142:                          ;   in Loop: Header=BB1759_979 Depth=2
	global_load_b64 v[56:57], v[60:61], off offset:256
	s_wait_xcnt 0x0
	s_or_b32 exec_lo, exec_lo, s42
	s_delay_alu instid0(SALU_CYCLE_1)
	s_mov_b32 s42, exec_lo
	v_cmpx_lt_u32_e64 v104, v139
	s_cbranch_execz .LBB1759_1077
.LBB1759_1143:                          ;   in Loop: Header=BB1759_979 Depth=2
	global_load_b64 v[54:55], v[60:61], off offset:512
	s_wait_xcnt 0x0
	s_or_b32 exec_lo, exec_lo, s42
	s_delay_alu instid0(SALU_CYCLE_1)
	s_mov_b32 s42, exec_lo
	v_cmpx_lt_u32_e64 v105, v139
	s_cbranch_execz .LBB1759_1078
.LBB1759_1144:                          ;   in Loop: Header=BB1759_979 Depth=2
	global_load_b64 v[52:53], v[60:61], off offset:768
	s_wait_xcnt 0x0
	s_or_b32 exec_lo, exec_lo, s42
	s_delay_alu instid0(SALU_CYCLE_1)
	s_mov_b32 s42, exec_lo
	v_cmpx_lt_u32_e64 v106, v139
	s_cbranch_execz .LBB1759_1079
.LBB1759_1145:                          ;   in Loop: Header=BB1759_979 Depth=2
	global_load_b64 v[50:51], v[60:61], off offset:1024
	s_wait_xcnt 0x0
	s_or_b32 exec_lo, exec_lo, s42
	s_delay_alu instid0(SALU_CYCLE_1)
	s_mov_b32 s42, exec_lo
	v_cmpx_lt_u32_e64 v107, v139
	s_cbranch_execz .LBB1759_1080
.LBB1759_1146:                          ;   in Loop: Header=BB1759_979 Depth=2
	global_load_b64 v[48:49], v[60:61], off offset:1280
	s_wait_xcnt 0x0
	s_or_b32 exec_lo, exec_lo, s42
	s_delay_alu instid0(SALU_CYCLE_1)
	s_mov_b32 s42, exec_lo
	v_cmpx_lt_u32_e64 v108, v139
	s_cbranch_execz .LBB1759_1081
.LBB1759_1147:                          ;   in Loop: Header=BB1759_979 Depth=2
	global_load_b64 v[46:47], v[60:61], off offset:1536
	s_wait_xcnt 0x0
	s_or_b32 exec_lo, exec_lo, s42
	s_delay_alu instid0(SALU_CYCLE_1)
	s_mov_b32 s42, exec_lo
	v_cmpx_lt_u32_e64 v109, v139
	s_cbranch_execz .LBB1759_1082
.LBB1759_1148:                          ;   in Loop: Header=BB1759_979 Depth=2
	global_load_b64 v[44:45], v[60:61], off offset:1792
	s_wait_xcnt 0x0
	s_or_b32 exec_lo, exec_lo, s42
	s_delay_alu instid0(SALU_CYCLE_1)
	s_mov_b32 s42, exec_lo
	v_cmpx_lt_u32_e64 v110, v139
	s_cbranch_execz .LBB1759_1083
.LBB1759_1149:                          ;   in Loop: Header=BB1759_979 Depth=2
	global_load_b64 v[42:43], v[60:61], off offset:2048
	s_wait_xcnt 0x0
	s_or_b32 exec_lo, exec_lo, s42
	s_delay_alu instid0(SALU_CYCLE_1)
	s_mov_b32 s42, exec_lo
	v_cmpx_lt_u32_e64 v111, v139
	s_cbranch_execz .LBB1759_1084
.LBB1759_1150:                          ;   in Loop: Header=BB1759_979 Depth=2
	global_load_b64 v[40:41], v[60:61], off offset:2304
	s_wait_xcnt 0x0
	s_or_b32 exec_lo, exec_lo, s42
	s_delay_alu instid0(SALU_CYCLE_1)
	s_mov_b32 s42, exec_lo
	v_cmpx_lt_u32_e64 v112, v139
	s_cbranch_execz .LBB1759_1085
.LBB1759_1151:                          ;   in Loop: Header=BB1759_979 Depth=2
	global_load_b64 v[38:39], v[60:61], off offset:2560
	s_wait_xcnt 0x0
	s_or_b32 exec_lo, exec_lo, s42
	s_delay_alu instid0(SALU_CYCLE_1)
	s_mov_b32 s42, exec_lo
	v_cmpx_lt_u32_e64 v113, v139
	s_cbranch_execz .LBB1759_1086
.LBB1759_1152:                          ;   in Loop: Header=BB1759_979 Depth=2
	global_load_b64 v[36:37], v[60:61], off offset:2816
	s_wait_xcnt 0x0
	s_or_b32 exec_lo, exec_lo, s42
	s_delay_alu instid0(SALU_CYCLE_1)
	s_mov_b32 s42, exec_lo
	v_cmpx_lt_u32_e64 v114, v139
	s_cbranch_execz .LBB1759_1087
.LBB1759_1153:                          ;   in Loop: Header=BB1759_979 Depth=2
	global_load_b64 v[34:35], v[60:61], off offset:3072
	s_wait_xcnt 0x0
	s_or_b32 exec_lo, exec_lo, s42
	s_delay_alu instid0(SALU_CYCLE_1)
	s_mov_b32 s42, exec_lo
	v_cmpx_lt_u32_e64 v115, v139
	s_cbranch_execz .LBB1759_1088
.LBB1759_1154:                          ;   in Loop: Header=BB1759_979 Depth=2
	global_load_b64 v[32:33], v[60:61], off offset:3328
	s_wait_xcnt 0x0
	s_or_b32 exec_lo, exec_lo, s42
	s_delay_alu instid0(SALU_CYCLE_1)
	s_mov_b32 s42, exec_lo
	v_cmpx_lt_u32_e64 v116, v139
	s_cbranch_execz .LBB1759_1089
.LBB1759_1155:                          ;   in Loop: Header=BB1759_979 Depth=2
	global_load_b64 v[30:31], v[60:61], off offset:3584
	s_wait_xcnt 0x0
	s_or_b32 exec_lo, exec_lo, s42
	s_delay_alu instid0(SALU_CYCLE_1)
	s_mov_b32 s42, exec_lo
	v_cmpx_lt_u32_e64 v117, v139
	s_cbranch_execz .LBB1759_1090
.LBB1759_1156:                          ;   in Loop: Header=BB1759_979 Depth=2
	global_load_b64 v[28:29], v[60:61], off offset:3840
	s_wait_xcnt 0x0
	s_or_b32 exec_lo, exec_lo, s42
	s_and_saveexec_b32 s42, vcc_lo
	s_cbranch_execz .LBB1759_1091
.LBB1759_1157:                          ;   in Loop: Header=BB1759_979 Depth=2
	ds_load_u16 v60, v93 offset:1024
	s_wait_dscnt 0x0
	v_cmp_ne_u16_e64 s30, 0x8000, v60
	s_delay_alu instid0(VALU_DEP_1) | instskip(NEXT) | instid1(VALU_DEP_1)
	v_cndmask_b32_e64 v60, 0x7fff, v60, s30
	v_and_b32_e32 v60, 0xffff, v60
	s_delay_alu instid0(VALU_DEP_1) | instskip(NEXT) | instid1(VALU_DEP_1)
	v_lshrrev_b32_e32 v60, s49, v60
	v_and_b32_e32 v138, s52, v60
	s_or_b32 exec_lo, exec_lo, s42
	s_and_saveexec_b32 s42, s15
	s_cbranch_execz .LBB1759_1092
.LBB1759_1158:                          ;   in Loop: Header=BB1759_979 Depth=2
	ds_load_u16 v60, v93 offset:1536
	s_wait_dscnt 0x0
	v_cmp_ne_u16_e64 s30, 0x8000, v60
	s_delay_alu instid0(VALU_DEP_1) | instskip(NEXT) | instid1(VALU_DEP_1)
	v_cndmask_b32_e64 v60, 0x7fff, v60, s30
	v_and_b32_e32 v60, 0xffff, v60
	s_delay_alu instid0(VALU_DEP_1) | instskip(NEXT) | instid1(VALU_DEP_1)
	v_lshrrev_b32_e32 v60, s49, v60
	v_and_b32_e32 v137, s52, v60
	s_or_b32 exec_lo, exec_lo, s42
	s_and_saveexec_b32 s42, s16
	s_cbranch_execz .LBB1759_1093
.LBB1759_1159:                          ;   in Loop: Header=BB1759_979 Depth=2
	ds_load_u16 v60, v93 offset:2048
	s_wait_dscnt 0x0
	v_cmp_ne_u16_e64 s30, 0x8000, v60
	s_delay_alu instid0(VALU_DEP_1) | instskip(NEXT) | instid1(VALU_DEP_1)
	v_cndmask_b32_e64 v60, 0x7fff, v60, s30
	v_and_b32_e32 v60, 0xffff, v60
	s_delay_alu instid0(VALU_DEP_1) | instskip(NEXT) | instid1(VALU_DEP_1)
	v_lshrrev_b32_e32 v60, s49, v60
	v_and_b32_e32 v136, s52, v60
	s_or_b32 exec_lo, exec_lo, s42
	s_and_saveexec_b32 s42, s17
	s_cbranch_execz .LBB1759_1094
.LBB1759_1160:                          ;   in Loop: Header=BB1759_979 Depth=2
	ds_load_u16 v60, v93 offset:2560
	s_wait_dscnt 0x0
	v_cmp_ne_u16_e64 s30, 0x8000, v60
	s_delay_alu instid0(VALU_DEP_1) | instskip(NEXT) | instid1(VALU_DEP_1)
	v_cndmask_b32_e64 v60, 0x7fff, v60, s30
	v_and_b32_e32 v60, 0xffff, v60
	s_delay_alu instid0(VALU_DEP_1) | instskip(NEXT) | instid1(VALU_DEP_1)
	v_lshrrev_b32_e32 v60, s49, v60
	v_and_b32_e32 v135, s52, v60
	s_or_b32 exec_lo, exec_lo, s42
	s_and_saveexec_b32 s42, s18
	s_cbranch_execz .LBB1759_1095
.LBB1759_1161:                          ;   in Loop: Header=BB1759_979 Depth=2
	ds_load_u16 v60, v93 offset:3072
	s_wait_dscnt 0x0
	v_cmp_ne_u16_e64 s30, 0x8000, v60
	s_delay_alu instid0(VALU_DEP_1) | instskip(NEXT) | instid1(VALU_DEP_1)
	v_cndmask_b32_e64 v60, 0x7fff, v60, s30
	v_and_b32_e32 v60, 0xffff, v60
	s_delay_alu instid0(VALU_DEP_1) | instskip(NEXT) | instid1(VALU_DEP_1)
	v_lshrrev_b32_e32 v60, s49, v60
	v_and_b32_e32 v134, s52, v60
	s_or_b32 exec_lo, exec_lo, s42
	s_and_saveexec_b32 s42, s19
	s_cbranch_execz .LBB1759_1096
.LBB1759_1162:                          ;   in Loop: Header=BB1759_979 Depth=2
	ds_load_u16 v60, v93 offset:3584
	s_wait_dscnt 0x0
	v_cmp_ne_u16_e64 s30, 0x8000, v60
	s_delay_alu instid0(VALU_DEP_1) | instskip(NEXT) | instid1(VALU_DEP_1)
	v_cndmask_b32_e64 v60, 0x7fff, v60, s30
	v_and_b32_e32 v60, 0xffff, v60
	s_delay_alu instid0(VALU_DEP_1) | instskip(NEXT) | instid1(VALU_DEP_1)
	v_lshrrev_b32_e32 v60, s49, v60
	v_and_b32_e32 v133, s52, v60
	s_or_b32 exec_lo, exec_lo, s42
	s_and_saveexec_b32 s42, s20
	s_cbranch_execz .LBB1759_1097
.LBB1759_1163:                          ;   in Loop: Header=BB1759_979 Depth=2
	ds_load_u16 v60, v93 offset:4096
	s_wait_dscnt 0x0
	v_cmp_ne_u16_e64 s30, 0x8000, v60
	s_delay_alu instid0(VALU_DEP_1) | instskip(NEXT) | instid1(VALU_DEP_1)
	v_cndmask_b32_e64 v60, 0x7fff, v60, s30
	v_and_b32_e32 v60, 0xffff, v60
	s_delay_alu instid0(VALU_DEP_1) | instskip(NEXT) | instid1(VALU_DEP_1)
	v_lshrrev_b32_e32 v60, s49, v60
	v_and_b32_e32 v132, s52, v60
	s_or_b32 exec_lo, exec_lo, s42
	s_and_saveexec_b32 s42, s21
	s_cbranch_execz .LBB1759_1098
.LBB1759_1164:                          ;   in Loop: Header=BB1759_979 Depth=2
	ds_load_u16 v60, v93 offset:4608
	s_wait_dscnt 0x0
	v_cmp_ne_u16_e64 s30, 0x8000, v60
	s_delay_alu instid0(VALU_DEP_1) | instskip(NEXT) | instid1(VALU_DEP_1)
	v_cndmask_b32_e64 v60, 0x7fff, v60, s30
	v_and_b32_e32 v60, 0xffff, v60
	s_delay_alu instid0(VALU_DEP_1) | instskip(NEXT) | instid1(VALU_DEP_1)
	v_lshrrev_b32_e32 v60, s49, v60
	v_and_b32_e32 v131, s52, v60
	s_or_b32 exec_lo, exec_lo, s42
	s_and_saveexec_b32 s42, s22
	s_cbranch_execz .LBB1759_1099
.LBB1759_1165:                          ;   in Loop: Header=BB1759_979 Depth=2
	ds_load_u16 v60, v93 offset:5120
	s_wait_dscnt 0x0
	v_cmp_ne_u16_e64 s30, 0x8000, v60
	s_delay_alu instid0(VALU_DEP_1) | instskip(NEXT) | instid1(VALU_DEP_1)
	v_cndmask_b32_e64 v60, 0x7fff, v60, s30
	v_and_b32_e32 v60, 0xffff, v60
	s_delay_alu instid0(VALU_DEP_1) | instskip(NEXT) | instid1(VALU_DEP_1)
	v_lshrrev_b32_e32 v60, s49, v60
	v_and_b32_e32 v130, s52, v60
	s_or_b32 exec_lo, exec_lo, s42
	s_and_saveexec_b32 s42, s23
	s_cbranch_execz .LBB1759_1100
.LBB1759_1166:                          ;   in Loop: Header=BB1759_979 Depth=2
	ds_load_u16 v60, v93 offset:5632
	s_wait_dscnt 0x0
	v_cmp_ne_u16_e64 s30, 0x8000, v60
	s_delay_alu instid0(VALU_DEP_1) | instskip(NEXT) | instid1(VALU_DEP_1)
	v_cndmask_b32_e64 v60, 0x7fff, v60, s30
	v_and_b32_e32 v60, 0xffff, v60
	s_delay_alu instid0(VALU_DEP_1) | instskip(NEXT) | instid1(VALU_DEP_1)
	v_lshrrev_b32_e32 v60, s49, v60
	v_and_b32_e32 v129, s52, v60
	s_or_b32 exec_lo, exec_lo, s42
	s_and_saveexec_b32 s42, s24
	s_cbranch_execz .LBB1759_1101
.LBB1759_1167:                          ;   in Loop: Header=BB1759_979 Depth=2
	ds_load_u16 v60, v93 offset:6144
	s_wait_dscnt 0x0
	v_cmp_ne_u16_e64 s30, 0x8000, v60
	s_delay_alu instid0(VALU_DEP_1) | instskip(NEXT) | instid1(VALU_DEP_1)
	v_cndmask_b32_e64 v60, 0x7fff, v60, s30
	v_and_b32_e32 v60, 0xffff, v60
	s_delay_alu instid0(VALU_DEP_1) | instskip(NEXT) | instid1(VALU_DEP_1)
	v_lshrrev_b32_e32 v60, s49, v60
	v_and_b32_e32 v128, s52, v60
	s_or_b32 exec_lo, exec_lo, s42
	s_and_saveexec_b32 s42, s25
	s_cbranch_execz .LBB1759_1102
.LBB1759_1168:                          ;   in Loop: Header=BB1759_979 Depth=2
	ds_load_u16 v60, v93 offset:6656
	s_wait_dscnt 0x0
	v_cmp_ne_u16_e64 s30, 0x8000, v60
	s_delay_alu instid0(VALU_DEP_1) | instskip(NEXT) | instid1(VALU_DEP_1)
	v_cndmask_b32_e64 v60, 0x7fff, v60, s30
	v_and_b32_e32 v60, 0xffff, v60
	s_delay_alu instid0(VALU_DEP_1) | instskip(NEXT) | instid1(VALU_DEP_1)
	v_lshrrev_b32_e32 v60, s49, v60
	v_and_b32_e32 v127, s52, v60
	s_or_b32 exec_lo, exec_lo, s42
	s_and_saveexec_b32 s42, s26
	s_cbranch_execz .LBB1759_1103
.LBB1759_1169:                          ;   in Loop: Header=BB1759_979 Depth=2
	ds_load_u16 v60, v93 offset:7168
	s_wait_dscnt 0x0
	v_cmp_ne_u16_e64 s30, 0x8000, v60
	s_delay_alu instid0(VALU_DEP_1) | instskip(NEXT) | instid1(VALU_DEP_1)
	v_cndmask_b32_e64 v60, 0x7fff, v60, s30
	v_and_b32_e32 v60, 0xffff, v60
	s_delay_alu instid0(VALU_DEP_1) | instskip(NEXT) | instid1(VALU_DEP_1)
	v_lshrrev_b32_e32 v60, s49, v60
	v_and_b32_e32 v126, s52, v60
	s_or_b32 exec_lo, exec_lo, s42
	s_and_saveexec_b32 s42, s27
	s_cbranch_execz .LBB1759_1104
.LBB1759_1170:                          ;   in Loop: Header=BB1759_979 Depth=2
	ds_load_u16 v60, v93 offset:7680
	s_wait_dscnt 0x0
	v_cmp_ne_u16_e64 s30, 0x8000, v60
	s_delay_alu instid0(VALU_DEP_1) | instskip(NEXT) | instid1(VALU_DEP_1)
	v_cndmask_b32_e64 v60, 0x7fff, v60, s30
	v_and_b32_e32 v60, 0xffff, v60
	s_delay_alu instid0(VALU_DEP_1) | instskip(NEXT) | instid1(VALU_DEP_1)
	v_lshrrev_b32_e32 v60, s49, v60
	v_and_b32_e32 v125, s52, v60
	s_or_b32 exec_lo, exec_lo, s42
	s_and_saveexec_b32 s42, s28
	s_cbranch_execz .LBB1759_1105
.LBB1759_1171:                          ;   in Loop: Header=BB1759_979 Depth=2
	ds_load_u16 v60, v93 offset:8192
	s_wait_dscnt 0x0
	v_cmp_ne_u16_e64 s30, 0x8000, v60
	s_delay_alu instid0(VALU_DEP_1) | instskip(NEXT) | instid1(VALU_DEP_1)
	v_cndmask_b32_e64 v60, 0x7fff, v60, s30
	v_and_b32_e32 v60, 0xffff, v60
	s_delay_alu instid0(VALU_DEP_1) | instskip(NEXT) | instid1(VALU_DEP_1)
	v_lshrrev_b32_e32 v60, s49, v60
	v_and_b32_e32 v124, s52, v60
	s_or_b32 exec_lo, exec_lo, s42
	s_and_saveexec_b32 s42, s29
	s_cbranch_execnz .LBB1759_1106
	s_branch .LBB1759_1107
.LBB1759_1172:                          ;   in Loop: Header=BB1759_979 Depth=2
	v_lshlrev_b32_e32 v61, 2, v138
	ds_load_b32 v61, v61
	ds_load_b64 v[64:65], v60 offset:1024
	s_wait_dscnt 0x1
	v_add_nc_u32_e32 v61, v61, v2
	s_wait_dscnt 0x0
	global_store_b64 v61, v[64:65], s[46:47] scale_offset
	s_wait_xcnt 0x0
	s_or_b32 exec_lo, exec_lo, s30
	s_and_saveexec_b32 s30, s15
	s_cbranch_execz .LBB1759_1109
.LBB1759_1173:                          ;   in Loop: Header=BB1759_979 Depth=2
	v_lshlrev_b32_e32 v61, 2, v137
	ds_load_b32 v61, v61
	ds_load_b64 v[64:65], v60 offset:3072
	s_wait_dscnt 0x1
	v_add_nc_u32_e32 v61, v61, v68
	s_wait_dscnt 0x0
	global_store_b64 v61, v[64:65], s[46:47] scale_offset
	s_wait_xcnt 0x0
	s_or_b32 exec_lo, exec_lo, s30
	s_and_saveexec_b32 s15, s16
	s_cbranch_execz .LBB1759_1110
.LBB1759_1174:                          ;   in Loop: Header=BB1759_979 Depth=2
	v_lshlrev_b32_e32 v61, 2, v136
	ds_load_b32 v61, v61
	ds_load_b64 v[64:65], v60 offset:5120
	s_wait_dscnt 0x1
	v_add_nc_u32_e32 v61, v61, v69
	s_wait_dscnt 0x0
	global_store_b64 v61, v[64:65], s[46:47] scale_offset
	s_wait_xcnt 0x0
	s_or_b32 exec_lo, exec_lo, s15
	s_and_saveexec_b32 s15, s17
	s_cbranch_execz .LBB1759_1111
.LBB1759_1175:                          ;   in Loop: Header=BB1759_979 Depth=2
	v_lshlrev_b32_e32 v61, 2, v135
	ds_load_b32 v61, v61
	ds_load_b64 v[64:65], v60 offset:7168
	s_wait_dscnt 0x1
	v_add_nc_u32_e32 v61, v61, v70
	s_wait_dscnt 0x0
	global_store_b64 v61, v[64:65], s[46:47] scale_offset
	s_wait_xcnt 0x0
	s_or_b32 exec_lo, exec_lo, s15
	s_and_saveexec_b32 s15, s18
	s_cbranch_execz .LBB1759_1112
.LBB1759_1176:                          ;   in Loop: Header=BB1759_979 Depth=2
	v_lshlrev_b32_e32 v61, 2, v134
	ds_load_b32 v61, v61
	ds_load_b64 v[64:65], v60 offset:9216
	s_wait_dscnt 0x1
	v_add_nc_u32_e32 v61, v61, v71
	s_wait_dscnt 0x0
	global_store_b64 v61, v[64:65], s[46:47] scale_offset
	s_wait_xcnt 0x0
	s_or_b32 exec_lo, exec_lo, s15
	s_and_saveexec_b32 s15, s19
	s_cbranch_execz .LBB1759_1113
.LBB1759_1177:                          ;   in Loop: Header=BB1759_979 Depth=2
	v_lshlrev_b32_e32 v61, 2, v133
	ds_load_b32 v61, v61
	ds_load_b64 v[64:65], v60 offset:11264
	s_wait_dscnt 0x1
	v_add_nc_u32_e32 v61, v61, v72
	s_wait_dscnt 0x0
	global_store_b64 v61, v[64:65], s[46:47] scale_offset
	s_wait_xcnt 0x0
	s_or_b32 exec_lo, exec_lo, s15
	s_and_saveexec_b32 s15, s20
	s_cbranch_execz .LBB1759_1114
.LBB1759_1178:                          ;   in Loop: Header=BB1759_979 Depth=2
	v_lshlrev_b32_e32 v61, 2, v132
	ds_load_b32 v61, v61
	ds_load_b64 v[64:65], v60 offset:13312
	s_wait_dscnt 0x1
	v_add_nc_u32_e32 v61, v61, v73
	s_wait_dscnt 0x0
	global_store_b64 v61, v[64:65], s[46:47] scale_offset
	s_wait_xcnt 0x0
	s_or_b32 exec_lo, exec_lo, s15
	s_and_saveexec_b32 s15, s21
	s_cbranch_execz .LBB1759_1115
.LBB1759_1179:                          ;   in Loop: Header=BB1759_979 Depth=2
	v_lshlrev_b32_e32 v61, 2, v131
	ds_load_b32 v61, v61
	ds_load_b64 v[64:65], v60 offset:15360
	s_wait_dscnt 0x1
	v_add_nc_u32_e32 v61, v61, v74
	s_wait_dscnt 0x0
	global_store_b64 v61, v[64:65], s[46:47] scale_offset
	s_wait_xcnt 0x0
	s_or_b32 exec_lo, exec_lo, s15
	s_and_saveexec_b32 s15, s22
	s_cbranch_execz .LBB1759_1116
.LBB1759_1180:                          ;   in Loop: Header=BB1759_979 Depth=2
	v_lshlrev_b32_e32 v61, 2, v130
	ds_load_b32 v61, v61
	ds_load_b64 v[64:65], v60 offset:17408
	s_wait_dscnt 0x1
	v_add_nc_u32_e32 v61, v61, v75
	s_wait_dscnt 0x0
	global_store_b64 v61, v[64:65], s[46:47] scale_offset
	s_wait_xcnt 0x0
	s_or_b32 exec_lo, exec_lo, s15
	s_and_saveexec_b32 s15, s23
	s_cbranch_execz .LBB1759_1117
.LBB1759_1181:                          ;   in Loop: Header=BB1759_979 Depth=2
	v_lshlrev_b32_e32 v61, 2, v129
	ds_load_b32 v61, v61
	ds_load_b64 v[64:65], v60 offset:19456
	s_wait_dscnt 0x1
	v_add_nc_u32_e32 v61, v61, v76
	s_wait_dscnt 0x0
	global_store_b64 v61, v[64:65], s[46:47] scale_offset
	s_wait_xcnt 0x0
	s_or_b32 exec_lo, exec_lo, s15
	s_and_saveexec_b32 s15, s24
	s_cbranch_execz .LBB1759_1118
.LBB1759_1182:                          ;   in Loop: Header=BB1759_979 Depth=2
	v_lshlrev_b32_e32 v61, 2, v128
	ds_load_b32 v61, v61
	ds_load_b64 v[64:65], v60 offset:21504
	s_wait_dscnt 0x1
	v_add_nc_u32_e32 v61, v61, v77
	s_wait_dscnt 0x0
	global_store_b64 v61, v[64:65], s[46:47] scale_offset
	s_wait_xcnt 0x0
	s_or_b32 exec_lo, exec_lo, s15
	s_and_saveexec_b32 s15, s25
	s_cbranch_execz .LBB1759_1119
.LBB1759_1183:                          ;   in Loop: Header=BB1759_979 Depth=2
	v_lshlrev_b32_e32 v61, 2, v127
	ds_load_b32 v61, v61
	ds_load_b64 v[64:65], v60 offset:23552
	s_wait_dscnt 0x1
	v_add_nc_u32_e32 v61, v61, v78
	s_wait_dscnt 0x0
	global_store_b64 v61, v[64:65], s[46:47] scale_offset
	s_wait_xcnt 0x0
	s_or_b32 exec_lo, exec_lo, s15
	s_and_saveexec_b32 s15, s26
	s_cbranch_execz .LBB1759_1120
.LBB1759_1184:                          ;   in Loop: Header=BB1759_979 Depth=2
	v_lshlrev_b32_e32 v61, 2, v126
	ds_load_b32 v61, v61
	ds_load_b64 v[64:65], v60 offset:25600
	s_wait_dscnt 0x1
	v_add_nc_u32_e32 v61, v61, v79
	s_wait_dscnt 0x0
	global_store_b64 v61, v[64:65], s[46:47] scale_offset
	s_wait_xcnt 0x0
	s_or_b32 exec_lo, exec_lo, s15
	s_and_saveexec_b32 s15, s27
	s_cbranch_execz .LBB1759_1121
.LBB1759_1185:                          ;   in Loop: Header=BB1759_979 Depth=2
	v_lshlrev_b32_e32 v61, 2, v125
	ds_load_b32 v61, v61
	ds_load_b64 v[64:65], v60 offset:27648
	s_wait_dscnt 0x1
	v_add_nc_u32_e32 v61, v61, v80
	s_wait_dscnt 0x0
	global_store_b64 v61, v[64:65], s[46:47] scale_offset
	s_wait_xcnt 0x0
	s_or_b32 exec_lo, exec_lo, s15
	s_and_saveexec_b32 s15, s28
	s_cbranch_execz .LBB1759_1122
.LBB1759_1186:                          ;   in Loop: Header=BB1759_979 Depth=2
	v_lshlrev_b32_e32 v61, 2, v124
	ds_load_b32 v61, v61
	ds_load_b64 v[64:65], v60 offset:29696
	s_wait_dscnt 0x1
	v_add_nc_u32_e32 v61, v61, v81
	s_wait_dscnt 0x0
	global_store_b64 v61, v[64:65], s[46:47] scale_offset
	s_wait_xcnt 0x0
	s_or_b32 exec_lo, exec_lo, s15
	s_and_saveexec_b32 s15, s29
	s_cbranch_execnz .LBB1759_1123
	s_branch .LBB1759_1124
.LBB1759_1187:
	s_endpgm
	.section	.rodata,"a",@progbits
	.p2align	6, 0x0
	.amdhsa_kernel _ZN7rocprim17ROCPRIM_400000_NS6detail17trampoline_kernelINS0_14default_configENS1_36segmented_radix_sort_config_selectorI6__halflEEZNS1_25segmented_radix_sort_implIS3_Lb1EPKS5_PS5_PKlPlN2at6native12_GLOBAL__N_18offset_tEEE10hipError_tPvRmT1_PNSt15iterator_traitsISL_E10value_typeET2_T3_PNSM_ISR_E10value_typeET4_jRbjT5_SX_jjP12ihipStream_tbEUlT_E2_NS1_11comp_targetILNS1_3genE0ELNS1_11target_archE4294967295ELNS1_3gpuE0ELNS1_3repE0EEENS1_30default_config_static_selectorELNS0_4arch9wavefront6targetE0EEEvSL_
		.amdhsa_group_segment_fixed_size 33824
		.amdhsa_private_segment_fixed_size 0
		.amdhsa_kernarg_size 336
		.amdhsa_user_sgpr_count 4
		.amdhsa_user_sgpr_dispatch_ptr 0
		.amdhsa_user_sgpr_queue_ptr 1
		.amdhsa_user_sgpr_kernarg_segment_ptr 1
		.amdhsa_user_sgpr_dispatch_id 0
		.amdhsa_user_sgpr_kernarg_preload_length 0
		.amdhsa_user_sgpr_kernarg_preload_offset 0
		.amdhsa_user_sgpr_private_segment_size 0
		.amdhsa_wavefront_size32 1
		.amdhsa_uses_dynamic_stack 0
		.amdhsa_enable_private_segment 0
		.amdhsa_system_sgpr_workgroup_id_x 1
		.amdhsa_system_sgpr_workgroup_id_y 1
		.amdhsa_system_sgpr_workgroup_id_z 0
		.amdhsa_system_sgpr_workgroup_info 0
		.amdhsa_system_vgpr_workitem_id 2
		.amdhsa_next_free_vgpr 304
		.amdhsa_next_free_sgpr 59
		.amdhsa_named_barrier_count 0
		.amdhsa_reserve_vcc 1
		.amdhsa_float_round_mode_32 0
		.amdhsa_float_round_mode_16_64 0
		.amdhsa_float_denorm_mode_32 3
		.amdhsa_float_denorm_mode_16_64 3
		.amdhsa_fp16_overflow 0
		.amdhsa_memory_ordered 1
		.amdhsa_forward_progress 1
		.amdhsa_inst_pref_size 255
		.amdhsa_round_robin_scheduling 0
		.amdhsa_exception_fp_ieee_invalid_op 0
		.amdhsa_exception_fp_denorm_src 0
		.amdhsa_exception_fp_ieee_div_zero 0
		.amdhsa_exception_fp_ieee_overflow 0
		.amdhsa_exception_fp_ieee_underflow 0
		.amdhsa_exception_fp_ieee_inexact 0
		.amdhsa_exception_int_div_zero 0
	.end_amdhsa_kernel
	.section	.text._ZN7rocprim17ROCPRIM_400000_NS6detail17trampoline_kernelINS0_14default_configENS1_36segmented_radix_sort_config_selectorI6__halflEEZNS1_25segmented_radix_sort_implIS3_Lb1EPKS5_PS5_PKlPlN2at6native12_GLOBAL__N_18offset_tEEE10hipError_tPvRmT1_PNSt15iterator_traitsISL_E10value_typeET2_T3_PNSM_ISR_E10value_typeET4_jRbjT5_SX_jjP12ihipStream_tbEUlT_E2_NS1_11comp_targetILNS1_3genE0ELNS1_11target_archE4294967295ELNS1_3gpuE0ELNS1_3repE0EEENS1_30default_config_static_selectorELNS0_4arch9wavefront6targetE0EEEvSL_,"axG",@progbits,_ZN7rocprim17ROCPRIM_400000_NS6detail17trampoline_kernelINS0_14default_configENS1_36segmented_radix_sort_config_selectorI6__halflEEZNS1_25segmented_radix_sort_implIS3_Lb1EPKS5_PS5_PKlPlN2at6native12_GLOBAL__N_18offset_tEEE10hipError_tPvRmT1_PNSt15iterator_traitsISL_E10value_typeET2_T3_PNSM_ISR_E10value_typeET4_jRbjT5_SX_jjP12ihipStream_tbEUlT_E2_NS1_11comp_targetILNS1_3genE0ELNS1_11target_archE4294967295ELNS1_3gpuE0ELNS1_3repE0EEENS1_30default_config_static_selectorELNS0_4arch9wavefront6targetE0EEEvSL_,comdat
.Lfunc_end1759:
	.size	_ZN7rocprim17ROCPRIM_400000_NS6detail17trampoline_kernelINS0_14default_configENS1_36segmented_radix_sort_config_selectorI6__halflEEZNS1_25segmented_radix_sort_implIS3_Lb1EPKS5_PS5_PKlPlN2at6native12_GLOBAL__N_18offset_tEEE10hipError_tPvRmT1_PNSt15iterator_traitsISL_E10value_typeET2_T3_PNSM_ISR_E10value_typeET4_jRbjT5_SX_jjP12ihipStream_tbEUlT_E2_NS1_11comp_targetILNS1_3genE0ELNS1_11target_archE4294967295ELNS1_3gpuE0ELNS1_3repE0EEENS1_30default_config_static_selectorELNS0_4arch9wavefront6targetE0EEEvSL_, .Lfunc_end1759-_ZN7rocprim17ROCPRIM_400000_NS6detail17trampoline_kernelINS0_14default_configENS1_36segmented_radix_sort_config_selectorI6__halflEEZNS1_25segmented_radix_sort_implIS3_Lb1EPKS5_PS5_PKlPlN2at6native12_GLOBAL__N_18offset_tEEE10hipError_tPvRmT1_PNSt15iterator_traitsISL_E10value_typeET2_T3_PNSM_ISR_E10value_typeET4_jRbjT5_SX_jjP12ihipStream_tbEUlT_E2_NS1_11comp_targetILNS1_3genE0ELNS1_11target_archE4294967295ELNS1_3gpuE0ELNS1_3repE0EEENS1_30default_config_static_selectorELNS0_4arch9wavefront6targetE0EEEvSL_
                                        ; -- End function
	.set _ZN7rocprim17ROCPRIM_400000_NS6detail17trampoline_kernelINS0_14default_configENS1_36segmented_radix_sort_config_selectorI6__halflEEZNS1_25segmented_radix_sort_implIS3_Lb1EPKS5_PS5_PKlPlN2at6native12_GLOBAL__N_18offset_tEEE10hipError_tPvRmT1_PNSt15iterator_traitsISL_E10value_typeET2_T3_PNSM_ISR_E10value_typeET4_jRbjT5_SX_jjP12ihipStream_tbEUlT_E2_NS1_11comp_targetILNS1_3genE0ELNS1_11target_archE4294967295ELNS1_3gpuE0ELNS1_3repE0EEENS1_30default_config_static_selectorELNS0_4arch9wavefront6targetE0EEEvSL_.num_vgpr, max(206, .L_ZN7rocprim17ROCPRIM_400000_NS6detail26segmented_warp_sort_helperINS1_20WarpSortHelperConfigILj8ELj4ELj256EEE6__halflLi256ELb1EvE4sortIPKS5_PS5_PKlPlEEvT_SA_T0_T1_SD_T2_bjjjjRNS6_12storage_typeE.num_vgpr, .L_ZN7rocprim17ROCPRIM_400000_NS6detail40segmented_radix_sort_single_block_helperI6__halflLj256ELj16ELb1EE4sortIPKS3_PS3_PKlPlEEbT_T0_T1_T2_jjjjRNS4_12storage_typeE.num_vgpr)
	.set _ZN7rocprim17ROCPRIM_400000_NS6detail17trampoline_kernelINS0_14default_configENS1_36segmented_radix_sort_config_selectorI6__halflEEZNS1_25segmented_radix_sort_implIS3_Lb1EPKS5_PS5_PKlPlN2at6native12_GLOBAL__N_18offset_tEEE10hipError_tPvRmT1_PNSt15iterator_traitsISL_E10value_typeET2_T3_PNSM_ISR_E10value_typeET4_jRbjT5_SX_jjP12ihipStream_tbEUlT_E2_NS1_11comp_targetILNS1_3genE0ELNS1_11target_archE4294967295ELNS1_3gpuE0ELNS1_3repE0EEENS1_30default_config_static_selectorELNS0_4arch9wavefront6targetE0EEEvSL_.num_agpr, max(0, .L_ZN7rocprim17ROCPRIM_400000_NS6detail26segmented_warp_sort_helperINS1_20WarpSortHelperConfigILj8ELj4ELj256EEE6__halflLi256ELb1EvE4sortIPKS5_PS5_PKlPlEEvT_SA_T0_T1_SD_T2_bjjjjRNS6_12storage_typeE.num_agpr, .L_ZN7rocprim17ROCPRIM_400000_NS6detail40segmented_radix_sort_single_block_helperI6__halflLj256ELj16ELb1EE4sortIPKS3_PS3_PKlPlEEbT_T0_T1_T2_jjjjRNS4_12storage_typeE.num_agpr)
	.set _ZN7rocprim17ROCPRIM_400000_NS6detail17trampoline_kernelINS0_14default_configENS1_36segmented_radix_sort_config_selectorI6__halflEEZNS1_25segmented_radix_sort_implIS3_Lb1EPKS5_PS5_PKlPlN2at6native12_GLOBAL__N_18offset_tEEE10hipError_tPvRmT1_PNSt15iterator_traitsISL_E10value_typeET2_T3_PNSM_ISR_E10value_typeET4_jRbjT5_SX_jjP12ihipStream_tbEUlT_E2_NS1_11comp_targetILNS1_3genE0ELNS1_11target_archE4294967295ELNS1_3gpuE0ELNS1_3repE0EEENS1_30default_config_static_selectorELNS0_4arch9wavefront6targetE0EEEvSL_.numbered_sgpr, max(59, .L_ZN7rocprim17ROCPRIM_400000_NS6detail26segmented_warp_sort_helperINS1_20WarpSortHelperConfigILj8ELj4ELj256EEE6__halflLi256ELb1EvE4sortIPKS5_PS5_PKlPlEEvT_SA_T0_T1_SD_T2_bjjjjRNS6_12storage_typeE.numbered_sgpr, .L_ZN7rocprim17ROCPRIM_400000_NS6detail40segmented_radix_sort_single_block_helperI6__halflLj256ELj16ELb1EE4sortIPKS3_PS3_PKlPlEEbT_T0_T1_T2_jjjjRNS4_12storage_typeE.numbered_sgpr)
	.set _ZN7rocprim17ROCPRIM_400000_NS6detail17trampoline_kernelINS0_14default_configENS1_36segmented_radix_sort_config_selectorI6__halflEEZNS1_25segmented_radix_sort_implIS3_Lb1EPKS5_PS5_PKlPlN2at6native12_GLOBAL__N_18offset_tEEE10hipError_tPvRmT1_PNSt15iterator_traitsISL_E10value_typeET2_T3_PNSM_ISR_E10value_typeET4_jRbjT5_SX_jjP12ihipStream_tbEUlT_E2_NS1_11comp_targetILNS1_3genE0ELNS1_11target_archE4294967295ELNS1_3gpuE0ELNS1_3repE0EEENS1_30default_config_static_selectorELNS0_4arch9wavefront6targetE0EEEvSL_.num_named_barrier, max(0, .L_ZN7rocprim17ROCPRIM_400000_NS6detail26segmented_warp_sort_helperINS1_20WarpSortHelperConfigILj8ELj4ELj256EEE6__halflLi256ELb1EvE4sortIPKS5_PS5_PKlPlEEvT_SA_T0_T1_SD_T2_bjjjjRNS6_12storage_typeE.num_named_barrier, .L_ZN7rocprim17ROCPRIM_400000_NS6detail40segmented_radix_sort_single_block_helperI6__halflLj256ELj16ELb1EE4sortIPKS3_PS3_PKlPlEEbT_T0_T1_T2_jjjjRNS4_12storage_typeE.num_named_barrier)
	.set _ZN7rocprim17ROCPRIM_400000_NS6detail17trampoline_kernelINS0_14default_configENS1_36segmented_radix_sort_config_selectorI6__halflEEZNS1_25segmented_radix_sort_implIS3_Lb1EPKS5_PS5_PKlPlN2at6native12_GLOBAL__N_18offset_tEEE10hipError_tPvRmT1_PNSt15iterator_traitsISL_E10value_typeET2_T3_PNSM_ISR_E10value_typeET4_jRbjT5_SX_jjP12ihipStream_tbEUlT_E2_NS1_11comp_targetILNS1_3genE0ELNS1_11target_archE4294967295ELNS1_3gpuE0ELNS1_3repE0EEENS1_30default_config_static_selectorELNS0_4arch9wavefront6targetE0EEEvSL_.private_seg_size, 0+max(.L_ZN7rocprim17ROCPRIM_400000_NS6detail26segmented_warp_sort_helperINS1_20WarpSortHelperConfigILj8ELj4ELj256EEE6__halflLi256ELb1EvE4sortIPKS5_PS5_PKlPlEEvT_SA_T0_T1_SD_T2_bjjjjRNS6_12storage_typeE.private_seg_size, .L_ZN7rocprim17ROCPRIM_400000_NS6detail40segmented_radix_sort_single_block_helperI6__halflLj256ELj16ELb1EE4sortIPKS3_PS3_PKlPlEEbT_T0_T1_T2_jjjjRNS4_12storage_typeE.private_seg_size)
	.set _ZN7rocprim17ROCPRIM_400000_NS6detail17trampoline_kernelINS0_14default_configENS1_36segmented_radix_sort_config_selectorI6__halflEEZNS1_25segmented_radix_sort_implIS3_Lb1EPKS5_PS5_PKlPlN2at6native12_GLOBAL__N_18offset_tEEE10hipError_tPvRmT1_PNSt15iterator_traitsISL_E10value_typeET2_T3_PNSM_ISR_E10value_typeET4_jRbjT5_SX_jjP12ihipStream_tbEUlT_E2_NS1_11comp_targetILNS1_3genE0ELNS1_11target_archE4294967295ELNS1_3gpuE0ELNS1_3repE0EEENS1_30default_config_static_selectorELNS0_4arch9wavefront6targetE0EEEvSL_.uses_vcc, or(1, .L_ZN7rocprim17ROCPRIM_400000_NS6detail26segmented_warp_sort_helperINS1_20WarpSortHelperConfigILj8ELj4ELj256EEE6__halflLi256ELb1EvE4sortIPKS5_PS5_PKlPlEEvT_SA_T0_T1_SD_T2_bjjjjRNS6_12storage_typeE.uses_vcc, .L_ZN7rocprim17ROCPRIM_400000_NS6detail40segmented_radix_sort_single_block_helperI6__halflLj256ELj16ELb1EE4sortIPKS3_PS3_PKlPlEEbT_T0_T1_T2_jjjjRNS4_12storage_typeE.uses_vcc)
	.set _ZN7rocprim17ROCPRIM_400000_NS6detail17trampoline_kernelINS0_14default_configENS1_36segmented_radix_sort_config_selectorI6__halflEEZNS1_25segmented_radix_sort_implIS3_Lb1EPKS5_PS5_PKlPlN2at6native12_GLOBAL__N_18offset_tEEE10hipError_tPvRmT1_PNSt15iterator_traitsISL_E10value_typeET2_T3_PNSM_ISR_E10value_typeET4_jRbjT5_SX_jjP12ihipStream_tbEUlT_E2_NS1_11comp_targetILNS1_3genE0ELNS1_11target_archE4294967295ELNS1_3gpuE0ELNS1_3repE0EEENS1_30default_config_static_selectorELNS0_4arch9wavefront6targetE0EEEvSL_.uses_flat_scratch, or(0, .L_ZN7rocprim17ROCPRIM_400000_NS6detail26segmented_warp_sort_helperINS1_20WarpSortHelperConfigILj8ELj4ELj256EEE6__halflLi256ELb1EvE4sortIPKS5_PS5_PKlPlEEvT_SA_T0_T1_SD_T2_bjjjjRNS6_12storage_typeE.uses_flat_scratch, .L_ZN7rocprim17ROCPRIM_400000_NS6detail40segmented_radix_sort_single_block_helperI6__halflLj256ELj16ELb1EE4sortIPKS3_PS3_PKlPlEEbT_T0_T1_T2_jjjjRNS4_12storage_typeE.uses_flat_scratch)
	.set _ZN7rocprim17ROCPRIM_400000_NS6detail17trampoline_kernelINS0_14default_configENS1_36segmented_radix_sort_config_selectorI6__halflEEZNS1_25segmented_radix_sort_implIS3_Lb1EPKS5_PS5_PKlPlN2at6native12_GLOBAL__N_18offset_tEEE10hipError_tPvRmT1_PNSt15iterator_traitsISL_E10value_typeET2_T3_PNSM_ISR_E10value_typeET4_jRbjT5_SX_jjP12ihipStream_tbEUlT_E2_NS1_11comp_targetILNS1_3genE0ELNS1_11target_archE4294967295ELNS1_3gpuE0ELNS1_3repE0EEENS1_30default_config_static_selectorELNS0_4arch9wavefront6targetE0EEEvSL_.has_dyn_sized_stack, or(0, .L_ZN7rocprim17ROCPRIM_400000_NS6detail26segmented_warp_sort_helperINS1_20WarpSortHelperConfigILj8ELj4ELj256EEE6__halflLi256ELb1EvE4sortIPKS5_PS5_PKlPlEEvT_SA_T0_T1_SD_T2_bjjjjRNS6_12storage_typeE.has_dyn_sized_stack, .L_ZN7rocprim17ROCPRIM_400000_NS6detail40segmented_radix_sort_single_block_helperI6__halflLj256ELj16ELb1EE4sortIPKS3_PS3_PKlPlEEbT_T0_T1_T2_jjjjRNS4_12storage_typeE.has_dyn_sized_stack)
	.set _ZN7rocprim17ROCPRIM_400000_NS6detail17trampoline_kernelINS0_14default_configENS1_36segmented_radix_sort_config_selectorI6__halflEEZNS1_25segmented_radix_sort_implIS3_Lb1EPKS5_PS5_PKlPlN2at6native12_GLOBAL__N_18offset_tEEE10hipError_tPvRmT1_PNSt15iterator_traitsISL_E10value_typeET2_T3_PNSM_ISR_E10value_typeET4_jRbjT5_SX_jjP12ihipStream_tbEUlT_E2_NS1_11comp_targetILNS1_3genE0ELNS1_11target_archE4294967295ELNS1_3gpuE0ELNS1_3repE0EEENS1_30default_config_static_selectorELNS0_4arch9wavefront6targetE0EEEvSL_.has_recursion, or(0, .L_ZN7rocprim17ROCPRIM_400000_NS6detail26segmented_warp_sort_helperINS1_20WarpSortHelperConfigILj8ELj4ELj256EEE6__halflLi256ELb1EvE4sortIPKS5_PS5_PKlPlEEvT_SA_T0_T1_SD_T2_bjjjjRNS6_12storage_typeE.has_recursion, .L_ZN7rocprim17ROCPRIM_400000_NS6detail40segmented_radix_sort_single_block_helperI6__halflLj256ELj16ELb1EE4sortIPKS3_PS3_PKlPlEEbT_T0_T1_T2_jjjjRNS4_12storage_typeE.has_recursion)
	.set _ZN7rocprim17ROCPRIM_400000_NS6detail17trampoline_kernelINS0_14default_configENS1_36segmented_radix_sort_config_selectorI6__halflEEZNS1_25segmented_radix_sort_implIS3_Lb1EPKS5_PS5_PKlPlN2at6native12_GLOBAL__N_18offset_tEEE10hipError_tPvRmT1_PNSt15iterator_traitsISL_E10value_typeET2_T3_PNSM_ISR_E10value_typeET4_jRbjT5_SX_jjP12ihipStream_tbEUlT_E2_NS1_11comp_targetILNS1_3genE0ELNS1_11target_archE4294967295ELNS1_3gpuE0ELNS1_3repE0EEENS1_30default_config_static_selectorELNS0_4arch9wavefront6targetE0EEEvSL_.has_indirect_call, or(0, .L_ZN7rocprim17ROCPRIM_400000_NS6detail26segmented_warp_sort_helperINS1_20WarpSortHelperConfigILj8ELj4ELj256EEE6__halflLi256ELb1EvE4sortIPKS5_PS5_PKlPlEEvT_SA_T0_T1_SD_T2_bjjjjRNS6_12storage_typeE.has_indirect_call, .L_ZN7rocprim17ROCPRIM_400000_NS6detail40segmented_radix_sort_single_block_helperI6__halflLj256ELj16ELb1EE4sortIPKS3_PS3_PKlPlEEbT_T0_T1_T2_jjjjRNS4_12storage_typeE.has_indirect_call)
	.section	.AMDGPU.csdata,"",@progbits
; Kernel info:
; codeLenInByte = 80836
; TotalNumSgprs: 61
; NumVgprs: 304
; ScratchSize: 0
; MemoryBound: 0
; FloatMode: 240
; IeeeMode: 1
; LDSByteSize: 33824 bytes/workgroup (compile time only)
; SGPRBlocks: 0
; VGPRBlocks: 18
; NumSGPRsForWavesPerEU: 61
; NumVGPRsForWavesPerEU: 304
; NamedBarCnt: 0
; Occupancy: 3
; WaveLimiterHint : 1
; COMPUTE_PGM_RSRC2:SCRATCH_EN: 0
; COMPUTE_PGM_RSRC2:USER_SGPR: 4
; COMPUTE_PGM_RSRC2:TRAP_HANDLER: 0
; COMPUTE_PGM_RSRC2:TGID_X_EN: 1
; COMPUTE_PGM_RSRC2:TGID_Y_EN: 1
; COMPUTE_PGM_RSRC2:TGID_Z_EN: 0
; COMPUTE_PGM_RSRC2:TIDIG_COMP_CNT: 2
	.section	.text._ZN7rocprim17ROCPRIM_400000_NS6detail17trampoline_kernelINS0_14default_configENS1_36segmented_radix_sort_config_selectorI6__halflEEZNS1_25segmented_radix_sort_implIS3_Lb1EPKS5_PS5_PKlPlN2at6native12_GLOBAL__N_18offset_tEEE10hipError_tPvRmT1_PNSt15iterator_traitsISL_E10value_typeET2_T3_PNSM_ISR_E10value_typeET4_jRbjT5_SX_jjP12ihipStream_tbEUlT_E2_NS1_11comp_targetILNS1_3genE5ELNS1_11target_archE942ELNS1_3gpuE9ELNS1_3repE0EEENS1_30default_config_static_selectorELNS0_4arch9wavefront6targetE0EEEvSL_,"axG",@progbits,_ZN7rocprim17ROCPRIM_400000_NS6detail17trampoline_kernelINS0_14default_configENS1_36segmented_radix_sort_config_selectorI6__halflEEZNS1_25segmented_radix_sort_implIS3_Lb1EPKS5_PS5_PKlPlN2at6native12_GLOBAL__N_18offset_tEEE10hipError_tPvRmT1_PNSt15iterator_traitsISL_E10value_typeET2_T3_PNSM_ISR_E10value_typeET4_jRbjT5_SX_jjP12ihipStream_tbEUlT_E2_NS1_11comp_targetILNS1_3genE5ELNS1_11target_archE942ELNS1_3gpuE9ELNS1_3repE0EEENS1_30default_config_static_selectorELNS0_4arch9wavefront6targetE0EEEvSL_,comdat
	.globl	_ZN7rocprim17ROCPRIM_400000_NS6detail17trampoline_kernelINS0_14default_configENS1_36segmented_radix_sort_config_selectorI6__halflEEZNS1_25segmented_radix_sort_implIS3_Lb1EPKS5_PS5_PKlPlN2at6native12_GLOBAL__N_18offset_tEEE10hipError_tPvRmT1_PNSt15iterator_traitsISL_E10value_typeET2_T3_PNSM_ISR_E10value_typeET4_jRbjT5_SX_jjP12ihipStream_tbEUlT_E2_NS1_11comp_targetILNS1_3genE5ELNS1_11target_archE942ELNS1_3gpuE9ELNS1_3repE0EEENS1_30default_config_static_selectorELNS0_4arch9wavefront6targetE0EEEvSL_ ; -- Begin function _ZN7rocprim17ROCPRIM_400000_NS6detail17trampoline_kernelINS0_14default_configENS1_36segmented_radix_sort_config_selectorI6__halflEEZNS1_25segmented_radix_sort_implIS3_Lb1EPKS5_PS5_PKlPlN2at6native12_GLOBAL__N_18offset_tEEE10hipError_tPvRmT1_PNSt15iterator_traitsISL_E10value_typeET2_T3_PNSM_ISR_E10value_typeET4_jRbjT5_SX_jjP12ihipStream_tbEUlT_E2_NS1_11comp_targetILNS1_3genE5ELNS1_11target_archE942ELNS1_3gpuE9ELNS1_3repE0EEENS1_30default_config_static_selectorELNS0_4arch9wavefront6targetE0EEEvSL_
	.p2align	8
	.type	_ZN7rocprim17ROCPRIM_400000_NS6detail17trampoline_kernelINS0_14default_configENS1_36segmented_radix_sort_config_selectorI6__halflEEZNS1_25segmented_radix_sort_implIS3_Lb1EPKS5_PS5_PKlPlN2at6native12_GLOBAL__N_18offset_tEEE10hipError_tPvRmT1_PNSt15iterator_traitsISL_E10value_typeET2_T3_PNSM_ISR_E10value_typeET4_jRbjT5_SX_jjP12ihipStream_tbEUlT_E2_NS1_11comp_targetILNS1_3genE5ELNS1_11target_archE942ELNS1_3gpuE9ELNS1_3repE0EEENS1_30default_config_static_selectorELNS0_4arch9wavefront6targetE0EEEvSL_,@function
_ZN7rocprim17ROCPRIM_400000_NS6detail17trampoline_kernelINS0_14default_configENS1_36segmented_radix_sort_config_selectorI6__halflEEZNS1_25segmented_radix_sort_implIS3_Lb1EPKS5_PS5_PKlPlN2at6native12_GLOBAL__N_18offset_tEEE10hipError_tPvRmT1_PNSt15iterator_traitsISL_E10value_typeET2_T3_PNSM_ISR_E10value_typeET4_jRbjT5_SX_jjP12ihipStream_tbEUlT_E2_NS1_11comp_targetILNS1_3genE5ELNS1_11target_archE942ELNS1_3gpuE9ELNS1_3repE0EEENS1_30default_config_static_selectorELNS0_4arch9wavefront6targetE0EEEvSL_: ; @_ZN7rocprim17ROCPRIM_400000_NS6detail17trampoline_kernelINS0_14default_configENS1_36segmented_radix_sort_config_selectorI6__halflEEZNS1_25segmented_radix_sort_implIS3_Lb1EPKS5_PS5_PKlPlN2at6native12_GLOBAL__N_18offset_tEEE10hipError_tPvRmT1_PNSt15iterator_traitsISL_E10value_typeET2_T3_PNSM_ISR_E10value_typeET4_jRbjT5_SX_jjP12ihipStream_tbEUlT_E2_NS1_11comp_targetILNS1_3genE5ELNS1_11target_archE942ELNS1_3gpuE9ELNS1_3repE0EEENS1_30default_config_static_selectorELNS0_4arch9wavefront6targetE0EEEvSL_
; %bb.0:
	.section	.rodata,"a",@progbits
	.p2align	6, 0x0
	.amdhsa_kernel _ZN7rocprim17ROCPRIM_400000_NS6detail17trampoline_kernelINS0_14default_configENS1_36segmented_radix_sort_config_selectorI6__halflEEZNS1_25segmented_radix_sort_implIS3_Lb1EPKS5_PS5_PKlPlN2at6native12_GLOBAL__N_18offset_tEEE10hipError_tPvRmT1_PNSt15iterator_traitsISL_E10value_typeET2_T3_PNSM_ISR_E10value_typeET4_jRbjT5_SX_jjP12ihipStream_tbEUlT_E2_NS1_11comp_targetILNS1_3genE5ELNS1_11target_archE942ELNS1_3gpuE9ELNS1_3repE0EEENS1_30default_config_static_selectorELNS0_4arch9wavefront6targetE0EEEvSL_
		.amdhsa_group_segment_fixed_size 0
		.amdhsa_private_segment_fixed_size 0
		.amdhsa_kernarg_size 80
		.amdhsa_user_sgpr_count 2
		.amdhsa_user_sgpr_dispatch_ptr 0
		.amdhsa_user_sgpr_queue_ptr 0
		.amdhsa_user_sgpr_kernarg_segment_ptr 1
		.amdhsa_user_sgpr_dispatch_id 0
		.amdhsa_user_sgpr_kernarg_preload_length 0
		.amdhsa_user_sgpr_kernarg_preload_offset 0
		.amdhsa_user_sgpr_private_segment_size 0
		.amdhsa_wavefront_size32 1
		.amdhsa_uses_dynamic_stack 0
		.amdhsa_enable_private_segment 0
		.amdhsa_system_sgpr_workgroup_id_x 1
		.amdhsa_system_sgpr_workgroup_id_y 0
		.amdhsa_system_sgpr_workgroup_id_z 0
		.amdhsa_system_sgpr_workgroup_info 0
		.amdhsa_system_vgpr_workitem_id 0
		.amdhsa_next_free_vgpr 1
		.amdhsa_next_free_sgpr 1
		.amdhsa_named_barrier_count 0
		.amdhsa_reserve_vcc 0
		.amdhsa_float_round_mode_32 0
		.amdhsa_float_round_mode_16_64 0
		.amdhsa_float_denorm_mode_32 3
		.amdhsa_float_denorm_mode_16_64 3
		.amdhsa_fp16_overflow 0
		.amdhsa_memory_ordered 1
		.amdhsa_forward_progress 1
		.amdhsa_inst_pref_size 0
		.amdhsa_round_robin_scheduling 0
		.amdhsa_exception_fp_ieee_invalid_op 0
		.amdhsa_exception_fp_denorm_src 0
		.amdhsa_exception_fp_ieee_div_zero 0
		.amdhsa_exception_fp_ieee_overflow 0
		.amdhsa_exception_fp_ieee_underflow 0
		.amdhsa_exception_fp_ieee_inexact 0
		.amdhsa_exception_int_div_zero 0
	.end_amdhsa_kernel
	.section	.text._ZN7rocprim17ROCPRIM_400000_NS6detail17trampoline_kernelINS0_14default_configENS1_36segmented_radix_sort_config_selectorI6__halflEEZNS1_25segmented_radix_sort_implIS3_Lb1EPKS5_PS5_PKlPlN2at6native12_GLOBAL__N_18offset_tEEE10hipError_tPvRmT1_PNSt15iterator_traitsISL_E10value_typeET2_T3_PNSM_ISR_E10value_typeET4_jRbjT5_SX_jjP12ihipStream_tbEUlT_E2_NS1_11comp_targetILNS1_3genE5ELNS1_11target_archE942ELNS1_3gpuE9ELNS1_3repE0EEENS1_30default_config_static_selectorELNS0_4arch9wavefront6targetE0EEEvSL_,"axG",@progbits,_ZN7rocprim17ROCPRIM_400000_NS6detail17trampoline_kernelINS0_14default_configENS1_36segmented_radix_sort_config_selectorI6__halflEEZNS1_25segmented_radix_sort_implIS3_Lb1EPKS5_PS5_PKlPlN2at6native12_GLOBAL__N_18offset_tEEE10hipError_tPvRmT1_PNSt15iterator_traitsISL_E10value_typeET2_T3_PNSM_ISR_E10value_typeET4_jRbjT5_SX_jjP12ihipStream_tbEUlT_E2_NS1_11comp_targetILNS1_3genE5ELNS1_11target_archE942ELNS1_3gpuE9ELNS1_3repE0EEENS1_30default_config_static_selectorELNS0_4arch9wavefront6targetE0EEEvSL_,comdat
.Lfunc_end1760:
	.size	_ZN7rocprim17ROCPRIM_400000_NS6detail17trampoline_kernelINS0_14default_configENS1_36segmented_radix_sort_config_selectorI6__halflEEZNS1_25segmented_radix_sort_implIS3_Lb1EPKS5_PS5_PKlPlN2at6native12_GLOBAL__N_18offset_tEEE10hipError_tPvRmT1_PNSt15iterator_traitsISL_E10value_typeET2_T3_PNSM_ISR_E10value_typeET4_jRbjT5_SX_jjP12ihipStream_tbEUlT_E2_NS1_11comp_targetILNS1_3genE5ELNS1_11target_archE942ELNS1_3gpuE9ELNS1_3repE0EEENS1_30default_config_static_selectorELNS0_4arch9wavefront6targetE0EEEvSL_, .Lfunc_end1760-_ZN7rocprim17ROCPRIM_400000_NS6detail17trampoline_kernelINS0_14default_configENS1_36segmented_radix_sort_config_selectorI6__halflEEZNS1_25segmented_radix_sort_implIS3_Lb1EPKS5_PS5_PKlPlN2at6native12_GLOBAL__N_18offset_tEEE10hipError_tPvRmT1_PNSt15iterator_traitsISL_E10value_typeET2_T3_PNSM_ISR_E10value_typeET4_jRbjT5_SX_jjP12ihipStream_tbEUlT_E2_NS1_11comp_targetILNS1_3genE5ELNS1_11target_archE942ELNS1_3gpuE9ELNS1_3repE0EEENS1_30default_config_static_selectorELNS0_4arch9wavefront6targetE0EEEvSL_
                                        ; -- End function
	.set _ZN7rocprim17ROCPRIM_400000_NS6detail17trampoline_kernelINS0_14default_configENS1_36segmented_radix_sort_config_selectorI6__halflEEZNS1_25segmented_radix_sort_implIS3_Lb1EPKS5_PS5_PKlPlN2at6native12_GLOBAL__N_18offset_tEEE10hipError_tPvRmT1_PNSt15iterator_traitsISL_E10value_typeET2_T3_PNSM_ISR_E10value_typeET4_jRbjT5_SX_jjP12ihipStream_tbEUlT_E2_NS1_11comp_targetILNS1_3genE5ELNS1_11target_archE942ELNS1_3gpuE9ELNS1_3repE0EEENS1_30default_config_static_selectorELNS0_4arch9wavefront6targetE0EEEvSL_.num_vgpr, 0
	.set _ZN7rocprim17ROCPRIM_400000_NS6detail17trampoline_kernelINS0_14default_configENS1_36segmented_radix_sort_config_selectorI6__halflEEZNS1_25segmented_radix_sort_implIS3_Lb1EPKS5_PS5_PKlPlN2at6native12_GLOBAL__N_18offset_tEEE10hipError_tPvRmT1_PNSt15iterator_traitsISL_E10value_typeET2_T3_PNSM_ISR_E10value_typeET4_jRbjT5_SX_jjP12ihipStream_tbEUlT_E2_NS1_11comp_targetILNS1_3genE5ELNS1_11target_archE942ELNS1_3gpuE9ELNS1_3repE0EEENS1_30default_config_static_selectorELNS0_4arch9wavefront6targetE0EEEvSL_.num_agpr, 0
	.set _ZN7rocprim17ROCPRIM_400000_NS6detail17trampoline_kernelINS0_14default_configENS1_36segmented_radix_sort_config_selectorI6__halflEEZNS1_25segmented_radix_sort_implIS3_Lb1EPKS5_PS5_PKlPlN2at6native12_GLOBAL__N_18offset_tEEE10hipError_tPvRmT1_PNSt15iterator_traitsISL_E10value_typeET2_T3_PNSM_ISR_E10value_typeET4_jRbjT5_SX_jjP12ihipStream_tbEUlT_E2_NS1_11comp_targetILNS1_3genE5ELNS1_11target_archE942ELNS1_3gpuE9ELNS1_3repE0EEENS1_30default_config_static_selectorELNS0_4arch9wavefront6targetE0EEEvSL_.numbered_sgpr, 0
	.set _ZN7rocprim17ROCPRIM_400000_NS6detail17trampoline_kernelINS0_14default_configENS1_36segmented_radix_sort_config_selectorI6__halflEEZNS1_25segmented_radix_sort_implIS3_Lb1EPKS5_PS5_PKlPlN2at6native12_GLOBAL__N_18offset_tEEE10hipError_tPvRmT1_PNSt15iterator_traitsISL_E10value_typeET2_T3_PNSM_ISR_E10value_typeET4_jRbjT5_SX_jjP12ihipStream_tbEUlT_E2_NS1_11comp_targetILNS1_3genE5ELNS1_11target_archE942ELNS1_3gpuE9ELNS1_3repE0EEENS1_30default_config_static_selectorELNS0_4arch9wavefront6targetE0EEEvSL_.num_named_barrier, 0
	.set _ZN7rocprim17ROCPRIM_400000_NS6detail17trampoline_kernelINS0_14default_configENS1_36segmented_radix_sort_config_selectorI6__halflEEZNS1_25segmented_radix_sort_implIS3_Lb1EPKS5_PS5_PKlPlN2at6native12_GLOBAL__N_18offset_tEEE10hipError_tPvRmT1_PNSt15iterator_traitsISL_E10value_typeET2_T3_PNSM_ISR_E10value_typeET4_jRbjT5_SX_jjP12ihipStream_tbEUlT_E2_NS1_11comp_targetILNS1_3genE5ELNS1_11target_archE942ELNS1_3gpuE9ELNS1_3repE0EEENS1_30default_config_static_selectorELNS0_4arch9wavefront6targetE0EEEvSL_.private_seg_size, 0
	.set _ZN7rocprim17ROCPRIM_400000_NS6detail17trampoline_kernelINS0_14default_configENS1_36segmented_radix_sort_config_selectorI6__halflEEZNS1_25segmented_radix_sort_implIS3_Lb1EPKS5_PS5_PKlPlN2at6native12_GLOBAL__N_18offset_tEEE10hipError_tPvRmT1_PNSt15iterator_traitsISL_E10value_typeET2_T3_PNSM_ISR_E10value_typeET4_jRbjT5_SX_jjP12ihipStream_tbEUlT_E2_NS1_11comp_targetILNS1_3genE5ELNS1_11target_archE942ELNS1_3gpuE9ELNS1_3repE0EEENS1_30default_config_static_selectorELNS0_4arch9wavefront6targetE0EEEvSL_.uses_vcc, 0
	.set _ZN7rocprim17ROCPRIM_400000_NS6detail17trampoline_kernelINS0_14default_configENS1_36segmented_radix_sort_config_selectorI6__halflEEZNS1_25segmented_radix_sort_implIS3_Lb1EPKS5_PS5_PKlPlN2at6native12_GLOBAL__N_18offset_tEEE10hipError_tPvRmT1_PNSt15iterator_traitsISL_E10value_typeET2_T3_PNSM_ISR_E10value_typeET4_jRbjT5_SX_jjP12ihipStream_tbEUlT_E2_NS1_11comp_targetILNS1_3genE5ELNS1_11target_archE942ELNS1_3gpuE9ELNS1_3repE0EEENS1_30default_config_static_selectorELNS0_4arch9wavefront6targetE0EEEvSL_.uses_flat_scratch, 0
	.set _ZN7rocprim17ROCPRIM_400000_NS6detail17trampoline_kernelINS0_14default_configENS1_36segmented_radix_sort_config_selectorI6__halflEEZNS1_25segmented_radix_sort_implIS3_Lb1EPKS5_PS5_PKlPlN2at6native12_GLOBAL__N_18offset_tEEE10hipError_tPvRmT1_PNSt15iterator_traitsISL_E10value_typeET2_T3_PNSM_ISR_E10value_typeET4_jRbjT5_SX_jjP12ihipStream_tbEUlT_E2_NS1_11comp_targetILNS1_3genE5ELNS1_11target_archE942ELNS1_3gpuE9ELNS1_3repE0EEENS1_30default_config_static_selectorELNS0_4arch9wavefront6targetE0EEEvSL_.has_dyn_sized_stack, 0
	.set _ZN7rocprim17ROCPRIM_400000_NS6detail17trampoline_kernelINS0_14default_configENS1_36segmented_radix_sort_config_selectorI6__halflEEZNS1_25segmented_radix_sort_implIS3_Lb1EPKS5_PS5_PKlPlN2at6native12_GLOBAL__N_18offset_tEEE10hipError_tPvRmT1_PNSt15iterator_traitsISL_E10value_typeET2_T3_PNSM_ISR_E10value_typeET4_jRbjT5_SX_jjP12ihipStream_tbEUlT_E2_NS1_11comp_targetILNS1_3genE5ELNS1_11target_archE942ELNS1_3gpuE9ELNS1_3repE0EEENS1_30default_config_static_selectorELNS0_4arch9wavefront6targetE0EEEvSL_.has_recursion, 0
	.set _ZN7rocprim17ROCPRIM_400000_NS6detail17trampoline_kernelINS0_14default_configENS1_36segmented_radix_sort_config_selectorI6__halflEEZNS1_25segmented_radix_sort_implIS3_Lb1EPKS5_PS5_PKlPlN2at6native12_GLOBAL__N_18offset_tEEE10hipError_tPvRmT1_PNSt15iterator_traitsISL_E10value_typeET2_T3_PNSM_ISR_E10value_typeET4_jRbjT5_SX_jjP12ihipStream_tbEUlT_E2_NS1_11comp_targetILNS1_3genE5ELNS1_11target_archE942ELNS1_3gpuE9ELNS1_3repE0EEENS1_30default_config_static_selectorELNS0_4arch9wavefront6targetE0EEEvSL_.has_indirect_call, 0
	.section	.AMDGPU.csdata,"",@progbits
; Kernel info:
; codeLenInByte = 0
; TotalNumSgprs: 0
; NumVgprs: 0
; ScratchSize: 0
; MemoryBound: 0
; FloatMode: 240
; IeeeMode: 1
; LDSByteSize: 0 bytes/workgroup (compile time only)
; SGPRBlocks: 0
; VGPRBlocks: 0
; NumSGPRsForWavesPerEU: 1
; NumVGPRsForWavesPerEU: 1
; NamedBarCnt: 0
; Occupancy: 16
; WaveLimiterHint : 0
; COMPUTE_PGM_RSRC2:SCRATCH_EN: 0
; COMPUTE_PGM_RSRC2:USER_SGPR: 2
; COMPUTE_PGM_RSRC2:TRAP_HANDLER: 0
; COMPUTE_PGM_RSRC2:TGID_X_EN: 1
; COMPUTE_PGM_RSRC2:TGID_Y_EN: 0
; COMPUTE_PGM_RSRC2:TGID_Z_EN: 0
; COMPUTE_PGM_RSRC2:TIDIG_COMP_CNT: 0
	.section	.text._ZN7rocprim17ROCPRIM_400000_NS6detail17trampoline_kernelINS0_14default_configENS1_36segmented_radix_sort_config_selectorI6__halflEEZNS1_25segmented_radix_sort_implIS3_Lb1EPKS5_PS5_PKlPlN2at6native12_GLOBAL__N_18offset_tEEE10hipError_tPvRmT1_PNSt15iterator_traitsISL_E10value_typeET2_T3_PNSM_ISR_E10value_typeET4_jRbjT5_SX_jjP12ihipStream_tbEUlT_E2_NS1_11comp_targetILNS1_3genE4ELNS1_11target_archE910ELNS1_3gpuE8ELNS1_3repE0EEENS1_30default_config_static_selectorELNS0_4arch9wavefront6targetE0EEEvSL_,"axG",@progbits,_ZN7rocprim17ROCPRIM_400000_NS6detail17trampoline_kernelINS0_14default_configENS1_36segmented_radix_sort_config_selectorI6__halflEEZNS1_25segmented_radix_sort_implIS3_Lb1EPKS5_PS5_PKlPlN2at6native12_GLOBAL__N_18offset_tEEE10hipError_tPvRmT1_PNSt15iterator_traitsISL_E10value_typeET2_T3_PNSM_ISR_E10value_typeET4_jRbjT5_SX_jjP12ihipStream_tbEUlT_E2_NS1_11comp_targetILNS1_3genE4ELNS1_11target_archE910ELNS1_3gpuE8ELNS1_3repE0EEENS1_30default_config_static_selectorELNS0_4arch9wavefront6targetE0EEEvSL_,comdat
	.globl	_ZN7rocprim17ROCPRIM_400000_NS6detail17trampoline_kernelINS0_14default_configENS1_36segmented_radix_sort_config_selectorI6__halflEEZNS1_25segmented_radix_sort_implIS3_Lb1EPKS5_PS5_PKlPlN2at6native12_GLOBAL__N_18offset_tEEE10hipError_tPvRmT1_PNSt15iterator_traitsISL_E10value_typeET2_T3_PNSM_ISR_E10value_typeET4_jRbjT5_SX_jjP12ihipStream_tbEUlT_E2_NS1_11comp_targetILNS1_3genE4ELNS1_11target_archE910ELNS1_3gpuE8ELNS1_3repE0EEENS1_30default_config_static_selectorELNS0_4arch9wavefront6targetE0EEEvSL_ ; -- Begin function _ZN7rocprim17ROCPRIM_400000_NS6detail17trampoline_kernelINS0_14default_configENS1_36segmented_radix_sort_config_selectorI6__halflEEZNS1_25segmented_radix_sort_implIS3_Lb1EPKS5_PS5_PKlPlN2at6native12_GLOBAL__N_18offset_tEEE10hipError_tPvRmT1_PNSt15iterator_traitsISL_E10value_typeET2_T3_PNSM_ISR_E10value_typeET4_jRbjT5_SX_jjP12ihipStream_tbEUlT_E2_NS1_11comp_targetILNS1_3genE4ELNS1_11target_archE910ELNS1_3gpuE8ELNS1_3repE0EEENS1_30default_config_static_selectorELNS0_4arch9wavefront6targetE0EEEvSL_
	.p2align	8
	.type	_ZN7rocprim17ROCPRIM_400000_NS6detail17trampoline_kernelINS0_14default_configENS1_36segmented_radix_sort_config_selectorI6__halflEEZNS1_25segmented_radix_sort_implIS3_Lb1EPKS5_PS5_PKlPlN2at6native12_GLOBAL__N_18offset_tEEE10hipError_tPvRmT1_PNSt15iterator_traitsISL_E10value_typeET2_T3_PNSM_ISR_E10value_typeET4_jRbjT5_SX_jjP12ihipStream_tbEUlT_E2_NS1_11comp_targetILNS1_3genE4ELNS1_11target_archE910ELNS1_3gpuE8ELNS1_3repE0EEENS1_30default_config_static_selectorELNS0_4arch9wavefront6targetE0EEEvSL_,@function
_ZN7rocprim17ROCPRIM_400000_NS6detail17trampoline_kernelINS0_14default_configENS1_36segmented_radix_sort_config_selectorI6__halflEEZNS1_25segmented_radix_sort_implIS3_Lb1EPKS5_PS5_PKlPlN2at6native12_GLOBAL__N_18offset_tEEE10hipError_tPvRmT1_PNSt15iterator_traitsISL_E10value_typeET2_T3_PNSM_ISR_E10value_typeET4_jRbjT5_SX_jjP12ihipStream_tbEUlT_E2_NS1_11comp_targetILNS1_3genE4ELNS1_11target_archE910ELNS1_3gpuE8ELNS1_3repE0EEENS1_30default_config_static_selectorELNS0_4arch9wavefront6targetE0EEEvSL_: ; @_ZN7rocprim17ROCPRIM_400000_NS6detail17trampoline_kernelINS0_14default_configENS1_36segmented_radix_sort_config_selectorI6__halflEEZNS1_25segmented_radix_sort_implIS3_Lb1EPKS5_PS5_PKlPlN2at6native12_GLOBAL__N_18offset_tEEE10hipError_tPvRmT1_PNSt15iterator_traitsISL_E10value_typeET2_T3_PNSM_ISR_E10value_typeET4_jRbjT5_SX_jjP12ihipStream_tbEUlT_E2_NS1_11comp_targetILNS1_3genE4ELNS1_11target_archE910ELNS1_3gpuE8ELNS1_3repE0EEENS1_30default_config_static_selectorELNS0_4arch9wavefront6targetE0EEEvSL_
; %bb.0:
	.section	.rodata,"a",@progbits
	.p2align	6, 0x0
	.amdhsa_kernel _ZN7rocprim17ROCPRIM_400000_NS6detail17trampoline_kernelINS0_14default_configENS1_36segmented_radix_sort_config_selectorI6__halflEEZNS1_25segmented_radix_sort_implIS3_Lb1EPKS5_PS5_PKlPlN2at6native12_GLOBAL__N_18offset_tEEE10hipError_tPvRmT1_PNSt15iterator_traitsISL_E10value_typeET2_T3_PNSM_ISR_E10value_typeET4_jRbjT5_SX_jjP12ihipStream_tbEUlT_E2_NS1_11comp_targetILNS1_3genE4ELNS1_11target_archE910ELNS1_3gpuE8ELNS1_3repE0EEENS1_30default_config_static_selectorELNS0_4arch9wavefront6targetE0EEEvSL_
		.amdhsa_group_segment_fixed_size 0
		.amdhsa_private_segment_fixed_size 0
		.amdhsa_kernarg_size 80
		.amdhsa_user_sgpr_count 2
		.amdhsa_user_sgpr_dispatch_ptr 0
		.amdhsa_user_sgpr_queue_ptr 0
		.amdhsa_user_sgpr_kernarg_segment_ptr 1
		.amdhsa_user_sgpr_dispatch_id 0
		.amdhsa_user_sgpr_kernarg_preload_length 0
		.amdhsa_user_sgpr_kernarg_preload_offset 0
		.amdhsa_user_sgpr_private_segment_size 0
		.amdhsa_wavefront_size32 1
		.amdhsa_uses_dynamic_stack 0
		.amdhsa_enable_private_segment 0
		.amdhsa_system_sgpr_workgroup_id_x 1
		.amdhsa_system_sgpr_workgroup_id_y 0
		.amdhsa_system_sgpr_workgroup_id_z 0
		.amdhsa_system_sgpr_workgroup_info 0
		.amdhsa_system_vgpr_workitem_id 0
		.amdhsa_next_free_vgpr 1
		.amdhsa_next_free_sgpr 1
		.amdhsa_named_barrier_count 0
		.amdhsa_reserve_vcc 0
		.amdhsa_float_round_mode_32 0
		.amdhsa_float_round_mode_16_64 0
		.amdhsa_float_denorm_mode_32 3
		.amdhsa_float_denorm_mode_16_64 3
		.amdhsa_fp16_overflow 0
		.amdhsa_memory_ordered 1
		.amdhsa_forward_progress 1
		.amdhsa_inst_pref_size 0
		.amdhsa_round_robin_scheduling 0
		.amdhsa_exception_fp_ieee_invalid_op 0
		.amdhsa_exception_fp_denorm_src 0
		.amdhsa_exception_fp_ieee_div_zero 0
		.amdhsa_exception_fp_ieee_overflow 0
		.amdhsa_exception_fp_ieee_underflow 0
		.amdhsa_exception_fp_ieee_inexact 0
		.amdhsa_exception_int_div_zero 0
	.end_amdhsa_kernel
	.section	.text._ZN7rocprim17ROCPRIM_400000_NS6detail17trampoline_kernelINS0_14default_configENS1_36segmented_radix_sort_config_selectorI6__halflEEZNS1_25segmented_radix_sort_implIS3_Lb1EPKS5_PS5_PKlPlN2at6native12_GLOBAL__N_18offset_tEEE10hipError_tPvRmT1_PNSt15iterator_traitsISL_E10value_typeET2_T3_PNSM_ISR_E10value_typeET4_jRbjT5_SX_jjP12ihipStream_tbEUlT_E2_NS1_11comp_targetILNS1_3genE4ELNS1_11target_archE910ELNS1_3gpuE8ELNS1_3repE0EEENS1_30default_config_static_selectorELNS0_4arch9wavefront6targetE0EEEvSL_,"axG",@progbits,_ZN7rocprim17ROCPRIM_400000_NS6detail17trampoline_kernelINS0_14default_configENS1_36segmented_radix_sort_config_selectorI6__halflEEZNS1_25segmented_radix_sort_implIS3_Lb1EPKS5_PS5_PKlPlN2at6native12_GLOBAL__N_18offset_tEEE10hipError_tPvRmT1_PNSt15iterator_traitsISL_E10value_typeET2_T3_PNSM_ISR_E10value_typeET4_jRbjT5_SX_jjP12ihipStream_tbEUlT_E2_NS1_11comp_targetILNS1_3genE4ELNS1_11target_archE910ELNS1_3gpuE8ELNS1_3repE0EEENS1_30default_config_static_selectorELNS0_4arch9wavefront6targetE0EEEvSL_,comdat
.Lfunc_end1761:
	.size	_ZN7rocprim17ROCPRIM_400000_NS6detail17trampoline_kernelINS0_14default_configENS1_36segmented_radix_sort_config_selectorI6__halflEEZNS1_25segmented_radix_sort_implIS3_Lb1EPKS5_PS5_PKlPlN2at6native12_GLOBAL__N_18offset_tEEE10hipError_tPvRmT1_PNSt15iterator_traitsISL_E10value_typeET2_T3_PNSM_ISR_E10value_typeET4_jRbjT5_SX_jjP12ihipStream_tbEUlT_E2_NS1_11comp_targetILNS1_3genE4ELNS1_11target_archE910ELNS1_3gpuE8ELNS1_3repE0EEENS1_30default_config_static_selectorELNS0_4arch9wavefront6targetE0EEEvSL_, .Lfunc_end1761-_ZN7rocprim17ROCPRIM_400000_NS6detail17trampoline_kernelINS0_14default_configENS1_36segmented_radix_sort_config_selectorI6__halflEEZNS1_25segmented_radix_sort_implIS3_Lb1EPKS5_PS5_PKlPlN2at6native12_GLOBAL__N_18offset_tEEE10hipError_tPvRmT1_PNSt15iterator_traitsISL_E10value_typeET2_T3_PNSM_ISR_E10value_typeET4_jRbjT5_SX_jjP12ihipStream_tbEUlT_E2_NS1_11comp_targetILNS1_3genE4ELNS1_11target_archE910ELNS1_3gpuE8ELNS1_3repE0EEENS1_30default_config_static_selectorELNS0_4arch9wavefront6targetE0EEEvSL_
                                        ; -- End function
	.set _ZN7rocprim17ROCPRIM_400000_NS6detail17trampoline_kernelINS0_14default_configENS1_36segmented_radix_sort_config_selectorI6__halflEEZNS1_25segmented_radix_sort_implIS3_Lb1EPKS5_PS5_PKlPlN2at6native12_GLOBAL__N_18offset_tEEE10hipError_tPvRmT1_PNSt15iterator_traitsISL_E10value_typeET2_T3_PNSM_ISR_E10value_typeET4_jRbjT5_SX_jjP12ihipStream_tbEUlT_E2_NS1_11comp_targetILNS1_3genE4ELNS1_11target_archE910ELNS1_3gpuE8ELNS1_3repE0EEENS1_30default_config_static_selectorELNS0_4arch9wavefront6targetE0EEEvSL_.num_vgpr, 0
	.set _ZN7rocprim17ROCPRIM_400000_NS6detail17trampoline_kernelINS0_14default_configENS1_36segmented_radix_sort_config_selectorI6__halflEEZNS1_25segmented_radix_sort_implIS3_Lb1EPKS5_PS5_PKlPlN2at6native12_GLOBAL__N_18offset_tEEE10hipError_tPvRmT1_PNSt15iterator_traitsISL_E10value_typeET2_T3_PNSM_ISR_E10value_typeET4_jRbjT5_SX_jjP12ihipStream_tbEUlT_E2_NS1_11comp_targetILNS1_3genE4ELNS1_11target_archE910ELNS1_3gpuE8ELNS1_3repE0EEENS1_30default_config_static_selectorELNS0_4arch9wavefront6targetE0EEEvSL_.num_agpr, 0
	.set _ZN7rocprim17ROCPRIM_400000_NS6detail17trampoline_kernelINS0_14default_configENS1_36segmented_radix_sort_config_selectorI6__halflEEZNS1_25segmented_radix_sort_implIS3_Lb1EPKS5_PS5_PKlPlN2at6native12_GLOBAL__N_18offset_tEEE10hipError_tPvRmT1_PNSt15iterator_traitsISL_E10value_typeET2_T3_PNSM_ISR_E10value_typeET4_jRbjT5_SX_jjP12ihipStream_tbEUlT_E2_NS1_11comp_targetILNS1_3genE4ELNS1_11target_archE910ELNS1_3gpuE8ELNS1_3repE0EEENS1_30default_config_static_selectorELNS0_4arch9wavefront6targetE0EEEvSL_.numbered_sgpr, 0
	.set _ZN7rocprim17ROCPRIM_400000_NS6detail17trampoline_kernelINS0_14default_configENS1_36segmented_radix_sort_config_selectorI6__halflEEZNS1_25segmented_radix_sort_implIS3_Lb1EPKS5_PS5_PKlPlN2at6native12_GLOBAL__N_18offset_tEEE10hipError_tPvRmT1_PNSt15iterator_traitsISL_E10value_typeET2_T3_PNSM_ISR_E10value_typeET4_jRbjT5_SX_jjP12ihipStream_tbEUlT_E2_NS1_11comp_targetILNS1_3genE4ELNS1_11target_archE910ELNS1_3gpuE8ELNS1_3repE0EEENS1_30default_config_static_selectorELNS0_4arch9wavefront6targetE0EEEvSL_.num_named_barrier, 0
	.set _ZN7rocprim17ROCPRIM_400000_NS6detail17trampoline_kernelINS0_14default_configENS1_36segmented_radix_sort_config_selectorI6__halflEEZNS1_25segmented_radix_sort_implIS3_Lb1EPKS5_PS5_PKlPlN2at6native12_GLOBAL__N_18offset_tEEE10hipError_tPvRmT1_PNSt15iterator_traitsISL_E10value_typeET2_T3_PNSM_ISR_E10value_typeET4_jRbjT5_SX_jjP12ihipStream_tbEUlT_E2_NS1_11comp_targetILNS1_3genE4ELNS1_11target_archE910ELNS1_3gpuE8ELNS1_3repE0EEENS1_30default_config_static_selectorELNS0_4arch9wavefront6targetE0EEEvSL_.private_seg_size, 0
	.set _ZN7rocprim17ROCPRIM_400000_NS6detail17trampoline_kernelINS0_14default_configENS1_36segmented_radix_sort_config_selectorI6__halflEEZNS1_25segmented_radix_sort_implIS3_Lb1EPKS5_PS5_PKlPlN2at6native12_GLOBAL__N_18offset_tEEE10hipError_tPvRmT1_PNSt15iterator_traitsISL_E10value_typeET2_T3_PNSM_ISR_E10value_typeET4_jRbjT5_SX_jjP12ihipStream_tbEUlT_E2_NS1_11comp_targetILNS1_3genE4ELNS1_11target_archE910ELNS1_3gpuE8ELNS1_3repE0EEENS1_30default_config_static_selectorELNS0_4arch9wavefront6targetE0EEEvSL_.uses_vcc, 0
	.set _ZN7rocprim17ROCPRIM_400000_NS6detail17trampoline_kernelINS0_14default_configENS1_36segmented_radix_sort_config_selectorI6__halflEEZNS1_25segmented_radix_sort_implIS3_Lb1EPKS5_PS5_PKlPlN2at6native12_GLOBAL__N_18offset_tEEE10hipError_tPvRmT1_PNSt15iterator_traitsISL_E10value_typeET2_T3_PNSM_ISR_E10value_typeET4_jRbjT5_SX_jjP12ihipStream_tbEUlT_E2_NS1_11comp_targetILNS1_3genE4ELNS1_11target_archE910ELNS1_3gpuE8ELNS1_3repE0EEENS1_30default_config_static_selectorELNS0_4arch9wavefront6targetE0EEEvSL_.uses_flat_scratch, 0
	.set _ZN7rocprim17ROCPRIM_400000_NS6detail17trampoline_kernelINS0_14default_configENS1_36segmented_radix_sort_config_selectorI6__halflEEZNS1_25segmented_radix_sort_implIS3_Lb1EPKS5_PS5_PKlPlN2at6native12_GLOBAL__N_18offset_tEEE10hipError_tPvRmT1_PNSt15iterator_traitsISL_E10value_typeET2_T3_PNSM_ISR_E10value_typeET4_jRbjT5_SX_jjP12ihipStream_tbEUlT_E2_NS1_11comp_targetILNS1_3genE4ELNS1_11target_archE910ELNS1_3gpuE8ELNS1_3repE0EEENS1_30default_config_static_selectorELNS0_4arch9wavefront6targetE0EEEvSL_.has_dyn_sized_stack, 0
	.set _ZN7rocprim17ROCPRIM_400000_NS6detail17trampoline_kernelINS0_14default_configENS1_36segmented_radix_sort_config_selectorI6__halflEEZNS1_25segmented_radix_sort_implIS3_Lb1EPKS5_PS5_PKlPlN2at6native12_GLOBAL__N_18offset_tEEE10hipError_tPvRmT1_PNSt15iterator_traitsISL_E10value_typeET2_T3_PNSM_ISR_E10value_typeET4_jRbjT5_SX_jjP12ihipStream_tbEUlT_E2_NS1_11comp_targetILNS1_3genE4ELNS1_11target_archE910ELNS1_3gpuE8ELNS1_3repE0EEENS1_30default_config_static_selectorELNS0_4arch9wavefront6targetE0EEEvSL_.has_recursion, 0
	.set _ZN7rocprim17ROCPRIM_400000_NS6detail17trampoline_kernelINS0_14default_configENS1_36segmented_radix_sort_config_selectorI6__halflEEZNS1_25segmented_radix_sort_implIS3_Lb1EPKS5_PS5_PKlPlN2at6native12_GLOBAL__N_18offset_tEEE10hipError_tPvRmT1_PNSt15iterator_traitsISL_E10value_typeET2_T3_PNSM_ISR_E10value_typeET4_jRbjT5_SX_jjP12ihipStream_tbEUlT_E2_NS1_11comp_targetILNS1_3genE4ELNS1_11target_archE910ELNS1_3gpuE8ELNS1_3repE0EEENS1_30default_config_static_selectorELNS0_4arch9wavefront6targetE0EEEvSL_.has_indirect_call, 0
	.section	.AMDGPU.csdata,"",@progbits
; Kernel info:
; codeLenInByte = 0
; TotalNumSgprs: 0
; NumVgprs: 0
; ScratchSize: 0
; MemoryBound: 0
; FloatMode: 240
; IeeeMode: 1
; LDSByteSize: 0 bytes/workgroup (compile time only)
; SGPRBlocks: 0
; VGPRBlocks: 0
; NumSGPRsForWavesPerEU: 1
; NumVGPRsForWavesPerEU: 1
; NamedBarCnt: 0
; Occupancy: 16
; WaveLimiterHint : 0
; COMPUTE_PGM_RSRC2:SCRATCH_EN: 0
; COMPUTE_PGM_RSRC2:USER_SGPR: 2
; COMPUTE_PGM_RSRC2:TRAP_HANDLER: 0
; COMPUTE_PGM_RSRC2:TGID_X_EN: 1
; COMPUTE_PGM_RSRC2:TGID_Y_EN: 0
; COMPUTE_PGM_RSRC2:TGID_Z_EN: 0
; COMPUTE_PGM_RSRC2:TIDIG_COMP_CNT: 0
	.section	.text._ZN7rocprim17ROCPRIM_400000_NS6detail17trampoline_kernelINS0_14default_configENS1_36segmented_radix_sort_config_selectorI6__halflEEZNS1_25segmented_radix_sort_implIS3_Lb1EPKS5_PS5_PKlPlN2at6native12_GLOBAL__N_18offset_tEEE10hipError_tPvRmT1_PNSt15iterator_traitsISL_E10value_typeET2_T3_PNSM_ISR_E10value_typeET4_jRbjT5_SX_jjP12ihipStream_tbEUlT_E2_NS1_11comp_targetILNS1_3genE3ELNS1_11target_archE908ELNS1_3gpuE7ELNS1_3repE0EEENS1_30default_config_static_selectorELNS0_4arch9wavefront6targetE0EEEvSL_,"axG",@progbits,_ZN7rocprim17ROCPRIM_400000_NS6detail17trampoline_kernelINS0_14default_configENS1_36segmented_radix_sort_config_selectorI6__halflEEZNS1_25segmented_radix_sort_implIS3_Lb1EPKS5_PS5_PKlPlN2at6native12_GLOBAL__N_18offset_tEEE10hipError_tPvRmT1_PNSt15iterator_traitsISL_E10value_typeET2_T3_PNSM_ISR_E10value_typeET4_jRbjT5_SX_jjP12ihipStream_tbEUlT_E2_NS1_11comp_targetILNS1_3genE3ELNS1_11target_archE908ELNS1_3gpuE7ELNS1_3repE0EEENS1_30default_config_static_selectorELNS0_4arch9wavefront6targetE0EEEvSL_,comdat
	.globl	_ZN7rocprim17ROCPRIM_400000_NS6detail17trampoline_kernelINS0_14default_configENS1_36segmented_radix_sort_config_selectorI6__halflEEZNS1_25segmented_radix_sort_implIS3_Lb1EPKS5_PS5_PKlPlN2at6native12_GLOBAL__N_18offset_tEEE10hipError_tPvRmT1_PNSt15iterator_traitsISL_E10value_typeET2_T3_PNSM_ISR_E10value_typeET4_jRbjT5_SX_jjP12ihipStream_tbEUlT_E2_NS1_11comp_targetILNS1_3genE3ELNS1_11target_archE908ELNS1_3gpuE7ELNS1_3repE0EEENS1_30default_config_static_selectorELNS0_4arch9wavefront6targetE0EEEvSL_ ; -- Begin function _ZN7rocprim17ROCPRIM_400000_NS6detail17trampoline_kernelINS0_14default_configENS1_36segmented_radix_sort_config_selectorI6__halflEEZNS1_25segmented_radix_sort_implIS3_Lb1EPKS5_PS5_PKlPlN2at6native12_GLOBAL__N_18offset_tEEE10hipError_tPvRmT1_PNSt15iterator_traitsISL_E10value_typeET2_T3_PNSM_ISR_E10value_typeET4_jRbjT5_SX_jjP12ihipStream_tbEUlT_E2_NS1_11comp_targetILNS1_3genE3ELNS1_11target_archE908ELNS1_3gpuE7ELNS1_3repE0EEENS1_30default_config_static_selectorELNS0_4arch9wavefront6targetE0EEEvSL_
	.p2align	8
	.type	_ZN7rocprim17ROCPRIM_400000_NS6detail17trampoline_kernelINS0_14default_configENS1_36segmented_radix_sort_config_selectorI6__halflEEZNS1_25segmented_radix_sort_implIS3_Lb1EPKS5_PS5_PKlPlN2at6native12_GLOBAL__N_18offset_tEEE10hipError_tPvRmT1_PNSt15iterator_traitsISL_E10value_typeET2_T3_PNSM_ISR_E10value_typeET4_jRbjT5_SX_jjP12ihipStream_tbEUlT_E2_NS1_11comp_targetILNS1_3genE3ELNS1_11target_archE908ELNS1_3gpuE7ELNS1_3repE0EEENS1_30default_config_static_selectorELNS0_4arch9wavefront6targetE0EEEvSL_,@function
_ZN7rocprim17ROCPRIM_400000_NS6detail17trampoline_kernelINS0_14default_configENS1_36segmented_radix_sort_config_selectorI6__halflEEZNS1_25segmented_radix_sort_implIS3_Lb1EPKS5_PS5_PKlPlN2at6native12_GLOBAL__N_18offset_tEEE10hipError_tPvRmT1_PNSt15iterator_traitsISL_E10value_typeET2_T3_PNSM_ISR_E10value_typeET4_jRbjT5_SX_jjP12ihipStream_tbEUlT_E2_NS1_11comp_targetILNS1_3genE3ELNS1_11target_archE908ELNS1_3gpuE7ELNS1_3repE0EEENS1_30default_config_static_selectorELNS0_4arch9wavefront6targetE0EEEvSL_: ; @_ZN7rocprim17ROCPRIM_400000_NS6detail17trampoline_kernelINS0_14default_configENS1_36segmented_radix_sort_config_selectorI6__halflEEZNS1_25segmented_radix_sort_implIS3_Lb1EPKS5_PS5_PKlPlN2at6native12_GLOBAL__N_18offset_tEEE10hipError_tPvRmT1_PNSt15iterator_traitsISL_E10value_typeET2_T3_PNSM_ISR_E10value_typeET4_jRbjT5_SX_jjP12ihipStream_tbEUlT_E2_NS1_11comp_targetILNS1_3genE3ELNS1_11target_archE908ELNS1_3gpuE7ELNS1_3repE0EEENS1_30default_config_static_selectorELNS0_4arch9wavefront6targetE0EEEvSL_
; %bb.0:
	.section	.rodata,"a",@progbits
	.p2align	6, 0x0
	.amdhsa_kernel _ZN7rocprim17ROCPRIM_400000_NS6detail17trampoline_kernelINS0_14default_configENS1_36segmented_radix_sort_config_selectorI6__halflEEZNS1_25segmented_radix_sort_implIS3_Lb1EPKS5_PS5_PKlPlN2at6native12_GLOBAL__N_18offset_tEEE10hipError_tPvRmT1_PNSt15iterator_traitsISL_E10value_typeET2_T3_PNSM_ISR_E10value_typeET4_jRbjT5_SX_jjP12ihipStream_tbEUlT_E2_NS1_11comp_targetILNS1_3genE3ELNS1_11target_archE908ELNS1_3gpuE7ELNS1_3repE0EEENS1_30default_config_static_selectorELNS0_4arch9wavefront6targetE0EEEvSL_
		.amdhsa_group_segment_fixed_size 0
		.amdhsa_private_segment_fixed_size 0
		.amdhsa_kernarg_size 80
		.amdhsa_user_sgpr_count 2
		.amdhsa_user_sgpr_dispatch_ptr 0
		.amdhsa_user_sgpr_queue_ptr 0
		.amdhsa_user_sgpr_kernarg_segment_ptr 1
		.amdhsa_user_sgpr_dispatch_id 0
		.amdhsa_user_sgpr_kernarg_preload_length 0
		.amdhsa_user_sgpr_kernarg_preload_offset 0
		.amdhsa_user_sgpr_private_segment_size 0
		.amdhsa_wavefront_size32 1
		.amdhsa_uses_dynamic_stack 0
		.amdhsa_enable_private_segment 0
		.amdhsa_system_sgpr_workgroup_id_x 1
		.amdhsa_system_sgpr_workgroup_id_y 0
		.amdhsa_system_sgpr_workgroup_id_z 0
		.amdhsa_system_sgpr_workgroup_info 0
		.amdhsa_system_vgpr_workitem_id 0
		.amdhsa_next_free_vgpr 1
		.amdhsa_next_free_sgpr 1
		.amdhsa_named_barrier_count 0
		.amdhsa_reserve_vcc 0
		.amdhsa_float_round_mode_32 0
		.amdhsa_float_round_mode_16_64 0
		.amdhsa_float_denorm_mode_32 3
		.amdhsa_float_denorm_mode_16_64 3
		.amdhsa_fp16_overflow 0
		.amdhsa_memory_ordered 1
		.amdhsa_forward_progress 1
		.amdhsa_inst_pref_size 0
		.amdhsa_round_robin_scheduling 0
		.amdhsa_exception_fp_ieee_invalid_op 0
		.amdhsa_exception_fp_denorm_src 0
		.amdhsa_exception_fp_ieee_div_zero 0
		.amdhsa_exception_fp_ieee_overflow 0
		.amdhsa_exception_fp_ieee_underflow 0
		.amdhsa_exception_fp_ieee_inexact 0
		.amdhsa_exception_int_div_zero 0
	.end_amdhsa_kernel
	.section	.text._ZN7rocprim17ROCPRIM_400000_NS6detail17trampoline_kernelINS0_14default_configENS1_36segmented_radix_sort_config_selectorI6__halflEEZNS1_25segmented_radix_sort_implIS3_Lb1EPKS5_PS5_PKlPlN2at6native12_GLOBAL__N_18offset_tEEE10hipError_tPvRmT1_PNSt15iterator_traitsISL_E10value_typeET2_T3_PNSM_ISR_E10value_typeET4_jRbjT5_SX_jjP12ihipStream_tbEUlT_E2_NS1_11comp_targetILNS1_3genE3ELNS1_11target_archE908ELNS1_3gpuE7ELNS1_3repE0EEENS1_30default_config_static_selectorELNS0_4arch9wavefront6targetE0EEEvSL_,"axG",@progbits,_ZN7rocprim17ROCPRIM_400000_NS6detail17trampoline_kernelINS0_14default_configENS1_36segmented_radix_sort_config_selectorI6__halflEEZNS1_25segmented_radix_sort_implIS3_Lb1EPKS5_PS5_PKlPlN2at6native12_GLOBAL__N_18offset_tEEE10hipError_tPvRmT1_PNSt15iterator_traitsISL_E10value_typeET2_T3_PNSM_ISR_E10value_typeET4_jRbjT5_SX_jjP12ihipStream_tbEUlT_E2_NS1_11comp_targetILNS1_3genE3ELNS1_11target_archE908ELNS1_3gpuE7ELNS1_3repE0EEENS1_30default_config_static_selectorELNS0_4arch9wavefront6targetE0EEEvSL_,comdat
.Lfunc_end1762:
	.size	_ZN7rocprim17ROCPRIM_400000_NS6detail17trampoline_kernelINS0_14default_configENS1_36segmented_radix_sort_config_selectorI6__halflEEZNS1_25segmented_radix_sort_implIS3_Lb1EPKS5_PS5_PKlPlN2at6native12_GLOBAL__N_18offset_tEEE10hipError_tPvRmT1_PNSt15iterator_traitsISL_E10value_typeET2_T3_PNSM_ISR_E10value_typeET4_jRbjT5_SX_jjP12ihipStream_tbEUlT_E2_NS1_11comp_targetILNS1_3genE3ELNS1_11target_archE908ELNS1_3gpuE7ELNS1_3repE0EEENS1_30default_config_static_selectorELNS0_4arch9wavefront6targetE0EEEvSL_, .Lfunc_end1762-_ZN7rocprim17ROCPRIM_400000_NS6detail17trampoline_kernelINS0_14default_configENS1_36segmented_radix_sort_config_selectorI6__halflEEZNS1_25segmented_radix_sort_implIS3_Lb1EPKS5_PS5_PKlPlN2at6native12_GLOBAL__N_18offset_tEEE10hipError_tPvRmT1_PNSt15iterator_traitsISL_E10value_typeET2_T3_PNSM_ISR_E10value_typeET4_jRbjT5_SX_jjP12ihipStream_tbEUlT_E2_NS1_11comp_targetILNS1_3genE3ELNS1_11target_archE908ELNS1_3gpuE7ELNS1_3repE0EEENS1_30default_config_static_selectorELNS0_4arch9wavefront6targetE0EEEvSL_
                                        ; -- End function
	.set _ZN7rocprim17ROCPRIM_400000_NS6detail17trampoline_kernelINS0_14default_configENS1_36segmented_radix_sort_config_selectorI6__halflEEZNS1_25segmented_radix_sort_implIS3_Lb1EPKS5_PS5_PKlPlN2at6native12_GLOBAL__N_18offset_tEEE10hipError_tPvRmT1_PNSt15iterator_traitsISL_E10value_typeET2_T3_PNSM_ISR_E10value_typeET4_jRbjT5_SX_jjP12ihipStream_tbEUlT_E2_NS1_11comp_targetILNS1_3genE3ELNS1_11target_archE908ELNS1_3gpuE7ELNS1_3repE0EEENS1_30default_config_static_selectorELNS0_4arch9wavefront6targetE0EEEvSL_.num_vgpr, 0
	.set _ZN7rocprim17ROCPRIM_400000_NS6detail17trampoline_kernelINS0_14default_configENS1_36segmented_radix_sort_config_selectorI6__halflEEZNS1_25segmented_radix_sort_implIS3_Lb1EPKS5_PS5_PKlPlN2at6native12_GLOBAL__N_18offset_tEEE10hipError_tPvRmT1_PNSt15iterator_traitsISL_E10value_typeET2_T3_PNSM_ISR_E10value_typeET4_jRbjT5_SX_jjP12ihipStream_tbEUlT_E2_NS1_11comp_targetILNS1_3genE3ELNS1_11target_archE908ELNS1_3gpuE7ELNS1_3repE0EEENS1_30default_config_static_selectorELNS0_4arch9wavefront6targetE0EEEvSL_.num_agpr, 0
	.set _ZN7rocprim17ROCPRIM_400000_NS6detail17trampoline_kernelINS0_14default_configENS1_36segmented_radix_sort_config_selectorI6__halflEEZNS1_25segmented_radix_sort_implIS3_Lb1EPKS5_PS5_PKlPlN2at6native12_GLOBAL__N_18offset_tEEE10hipError_tPvRmT1_PNSt15iterator_traitsISL_E10value_typeET2_T3_PNSM_ISR_E10value_typeET4_jRbjT5_SX_jjP12ihipStream_tbEUlT_E2_NS1_11comp_targetILNS1_3genE3ELNS1_11target_archE908ELNS1_3gpuE7ELNS1_3repE0EEENS1_30default_config_static_selectorELNS0_4arch9wavefront6targetE0EEEvSL_.numbered_sgpr, 0
	.set _ZN7rocprim17ROCPRIM_400000_NS6detail17trampoline_kernelINS0_14default_configENS1_36segmented_radix_sort_config_selectorI6__halflEEZNS1_25segmented_radix_sort_implIS3_Lb1EPKS5_PS5_PKlPlN2at6native12_GLOBAL__N_18offset_tEEE10hipError_tPvRmT1_PNSt15iterator_traitsISL_E10value_typeET2_T3_PNSM_ISR_E10value_typeET4_jRbjT5_SX_jjP12ihipStream_tbEUlT_E2_NS1_11comp_targetILNS1_3genE3ELNS1_11target_archE908ELNS1_3gpuE7ELNS1_3repE0EEENS1_30default_config_static_selectorELNS0_4arch9wavefront6targetE0EEEvSL_.num_named_barrier, 0
	.set _ZN7rocprim17ROCPRIM_400000_NS6detail17trampoline_kernelINS0_14default_configENS1_36segmented_radix_sort_config_selectorI6__halflEEZNS1_25segmented_radix_sort_implIS3_Lb1EPKS5_PS5_PKlPlN2at6native12_GLOBAL__N_18offset_tEEE10hipError_tPvRmT1_PNSt15iterator_traitsISL_E10value_typeET2_T3_PNSM_ISR_E10value_typeET4_jRbjT5_SX_jjP12ihipStream_tbEUlT_E2_NS1_11comp_targetILNS1_3genE3ELNS1_11target_archE908ELNS1_3gpuE7ELNS1_3repE0EEENS1_30default_config_static_selectorELNS0_4arch9wavefront6targetE0EEEvSL_.private_seg_size, 0
	.set _ZN7rocprim17ROCPRIM_400000_NS6detail17trampoline_kernelINS0_14default_configENS1_36segmented_radix_sort_config_selectorI6__halflEEZNS1_25segmented_radix_sort_implIS3_Lb1EPKS5_PS5_PKlPlN2at6native12_GLOBAL__N_18offset_tEEE10hipError_tPvRmT1_PNSt15iterator_traitsISL_E10value_typeET2_T3_PNSM_ISR_E10value_typeET4_jRbjT5_SX_jjP12ihipStream_tbEUlT_E2_NS1_11comp_targetILNS1_3genE3ELNS1_11target_archE908ELNS1_3gpuE7ELNS1_3repE0EEENS1_30default_config_static_selectorELNS0_4arch9wavefront6targetE0EEEvSL_.uses_vcc, 0
	.set _ZN7rocprim17ROCPRIM_400000_NS6detail17trampoline_kernelINS0_14default_configENS1_36segmented_radix_sort_config_selectorI6__halflEEZNS1_25segmented_radix_sort_implIS3_Lb1EPKS5_PS5_PKlPlN2at6native12_GLOBAL__N_18offset_tEEE10hipError_tPvRmT1_PNSt15iterator_traitsISL_E10value_typeET2_T3_PNSM_ISR_E10value_typeET4_jRbjT5_SX_jjP12ihipStream_tbEUlT_E2_NS1_11comp_targetILNS1_3genE3ELNS1_11target_archE908ELNS1_3gpuE7ELNS1_3repE0EEENS1_30default_config_static_selectorELNS0_4arch9wavefront6targetE0EEEvSL_.uses_flat_scratch, 0
	.set _ZN7rocprim17ROCPRIM_400000_NS6detail17trampoline_kernelINS0_14default_configENS1_36segmented_radix_sort_config_selectorI6__halflEEZNS1_25segmented_radix_sort_implIS3_Lb1EPKS5_PS5_PKlPlN2at6native12_GLOBAL__N_18offset_tEEE10hipError_tPvRmT1_PNSt15iterator_traitsISL_E10value_typeET2_T3_PNSM_ISR_E10value_typeET4_jRbjT5_SX_jjP12ihipStream_tbEUlT_E2_NS1_11comp_targetILNS1_3genE3ELNS1_11target_archE908ELNS1_3gpuE7ELNS1_3repE0EEENS1_30default_config_static_selectorELNS0_4arch9wavefront6targetE0EEEvSL_.has_dyn_sized_stack, 0
	.set _ZN7rocprim17ROCPRIM_400000_NS6detail17trampoline_kernelINS0_14default_configENS1_36segmented_radix_sort_config_selectorI6__halflEEZNS1_25segmented_radix_sort_implIS3_Lb1EPKS5_PS5_PKlPlN2at6native12_GLOBAL__N_18offset_tEEE10hipError_tPvRmT1_PNSt15iterator_traitsISL_E10value_typeET2_T3_PNSM_ISR_E10value_typeET4_jRbjT5_SX_jjP12ihipStream_tbEUlT_E2_NS1_11comp_targetILNS1_3genE3ELNS1_11target_archE908ELNS1_3gpuE7ELNS1_3repE0EEENS1_30default_config_static_selectorELNS0_4arch9wavefront6targetE0EEEvSL_.has_recursion, 0
	.set _ZN7rocprim17ROCPRIM_400000_NS6detail17trampoline_kernelINS0_14default_configENS1_36segmented_radix_sort_config_selectorI6__halflEEZNS1_25segmented_radix_sort_implIS3_Lb1EPKS5_PS5_PKlPlN2at6native12_GLOBAL__N_18offset_tEEE10hipError_tPvRmT1_PNSt15iterator_traitsISL_E10value_typeET2_T3_PNSM_ISR_E10value_typeET4_jRbjT5_SX_jjP12ihipStream_tbEUlT_E2_NS1_11comp_targetILNS1_3genE3ELNS1_11target_archE908ELNS1_3gpuE7ELNS1_3repE0EEENS1_30default_config_static_selectorELNS0_4arch9wavefront6targetE0EEEvSL_.has_indirect_call, 0
	.section	.AMDGPU.csdata,"",@progbits
; Kernel info:
; codeLenInByte = 0
; TotalNumSgprs: 0
; NumVgprs: 0
; ScratchSize: 0
; MemoryBound: 0
; FloatMode: 240
; IeeeMode: 1
; LDSByteSize: 0 bytes/workgroup (compile time only)
; SGPRBlocks: 0
; VGPRBlocks: 0
; NumSGPRsForWavesPerEU: 1
; NumVGPRsForWavesPerEU: 1
; NamedBarCnt: 0
; Occupancy: 16
; WaveLimiterHint : 0
; COMPUTE_PGM_RSRC2:SCRATCH_EN: 0
; COMPUTE_PGM_RSRC2:USER_SGPR: 2
; COMPUTE_PGM_RSRC2:TRAP_HANDLER: 0
; COMPUTE_PGM_RSRC2:TGID_X_EN: 1
; COMPUTE_PGM_RSRC2:TGID_Y_EN: 0
; COMPUTE_PGM_RSRC2:TGID_Z_EN: 0
; COMPUTE_PGM_RSRC2:TIDIG_COMP_CNT: 0
	.section	.text._ZN7rocprim17ROCPRIM_400000_NS6detail17trampoline_kernelINS0_14default_configENS1_36segmented_radix_sort_config_selectorI6__halflEEZNS1_25segmented_radix_sort_implIS3_Lb1EPKS5_PS5_PKlPlN2at6native12_GLOBAL__N_18offset_tEEE10hipError_tPvRmT1_PNSt15iterator_traitsISL_E10value_typeET2_T3_PNSM_ISR_E10value_typeET4_jRbjT5_SX_jjP12ihipStream_tbEUlT_E2_NS1_11comp_targetILNS1_3genE2ELNS1_11target_archE906ELNS1_3gpuE6ELNS1_3repE0EEENS1_30default_config_static_selectorELNS0_4arch9wavefront6targetE0EEEvSL_,"axG",@progbits,_ZN7rocprim17ROCPRIM_400000_NS6detail17trampoline_kernelINS0_14default_configENS1_36segmented_radix_sort_config_selectorI6__halflEEZNS1_25segmented_radix_sort_implIS3_Lb1EPKS5_PS5_PKlPlN2at6native12_GLOBAL__N_18offset_tEEE10hipError_tPvRmT1_PNSt15iterator_traitsISL_E10value_typeET2_T3_PNSM_ISR_E10value_typeET4_jRbjT5_SX_jjP12ihipStream_tbEUlT_E2_NS1_11comp_targetILNS1_3genE2ELNS1_11target_archE906ELNS1_3gpuE6ELNS1_3repE0EEENS1_30default_config_static_selectorELNS0_4arch9wavefront6targetE0EEEvSL_,comdat
	.globl	_ZN7rocprim17ROCPRIM_400000_NS6detail17trampoline_kernelINS0_14default_configENS1_36segmented_radix_sort_config_selectorI6__halflEEZNS1_25segmented_radix_sort_implIS3_Lb1EPKS5_PS5_PKlPlN2at6native12_GLOBAL__N_18offset_tEEE10hipError_tPvRmT1_PNSt15iterator_traitsISL_E10value_typeET2_T3_PNSM_ISR_E10value_typeET4_jRbjT5_SX_jjP12ihipStream_tbEUlT_E2_NS1_11comp_targetILNS1_3genE2ELNS1_11target_archE906ELNS1_3gpuE6ELNS1_3repE0EEENS1_30default_config_static_selectorELNS0_4arch9wavefront6targetE0EEEvSL_ ; -- Begin function _ZN7rocprim17ROCPRIM_400000_NS6detail17trampoline_kernelINS0_14default_configENS1_36segmented_radix_sort_config_selectorI6__halflEEZNS1_25segmented_radix_sort_implIS3_Lb1EPKS5_PS5_PKlPlN2at6native12_GLOBAL__N_18offset_tEEE10hipError_tPvRmT1_PNSt15iterator_traitsISL_E10value_typeET2_T3_PNSM_ISR_E10value_typeET4_jRbjT5_SX_jjP12ihipStream_tbEUlT_E2_NS1_11comp_targetILNS1_3genE2ELNS1_11target_archE906ELNS1_3gpuE6ELNS1_3repE0EEENS1_30default_config_static_selectorELNS0_4arch9wavefront6targetE0EEEvSL_
	.p2align	8
	.type	_ZN7rocprim17ROCPRIM_400000_NS6detail17trampoline_kernelINS0_14default_configENS1_36segmented_radix_sort_config_selectorI6__halflEEZNS1_25segmented_radix_sort_implIS3_Lb1EPKS5_PS5_PKlPlN2at6native12_GLOBAL__N_18offset_tEEE10hipError_tPvRmT1_PNSt15iterator_traitsISL_E10value_typeET2_T3_PNSM_ISR_E10value_typeET4_jRbjT5_SX_jjP12ihipStream_tbEUlT_E2_NS1_11comp_targetILNS1_3genE2ELNS1_11target_archE906ELNS1_3gpuE6ELNS1_3repE0EEENS1_30default_config_static_selectorELNS0_4arch9wavefront6targetE0EEEvSL_,@function
_ZN7rocprim17ROCPRIM_400000_NS6detail17trampoline_kernelINS0_14default_configENS1_36segmented_radix_sort_config_selectorI6__halflEEZNS1_25segmented_radix_sort_implIS3_Lb1EPKS5_PS5_PKlPlN2at6native12_GLOBAL__N_18offset_tEEE10hipError_tPvRmT1_PNSt15iterator_traitsISL_E10value_typeET2_T3_PNSM_ISR_E10value_typeET4_jRbjT5_SX_jjP12ihipStream_tbEUlT_E2_NS1_11comp_targetILNS1_3genE2ELNS1_11target_archE906ELNS1_3gpuE6ELNS1_3repE0EEENS1_30default_config_static_selectorELNS0_4arch9wavefront6targetE0EEEvSL_: ; @_ZN7rocprim17ROCPRIM_400000_NS6detail17trampoline_kernelINS0_14default_configENS1_36segmented_radix_sort_config_selectorI6__halflEEZNS1_25segmented_radix_sort_implIS3_Lb1EPKS5_PS5_PKlPlN2at6native12_GLOBAL__N_18offset_tEEE10hipError_tPvRmT1_PNSt15iterator_traitsISL_E10value_typeET2_T3_PNSM_ISR_E10value_typeET4_jRbjT5_SX_jjP12ihipStream_tbEUlT_E2_NS1_11comp_targetILNS1_3genE2ELNS1_11target_archE906ELNS1_3gpuE6ELNS1_3repE0EEENS1_30default_config_static_selectorELNS0_4arch9wavefront6targetE0EEEvSL_
; %bb.0:
	.section	.rodata,"a",@progbits
	.p2align	6, 0x0
	.amdhsa_kernel _ZN7rocprim17ROCPRIM_400000_NS6detail17trampoline_kernelINS0_14default_configENS1_36segmented_radix_sort_config_selectorI6__halflEEZNS1_25segmented_radix_sort_implIS3_Lb1EPKS5_PS5_PKlPlN2at6native12_GLOBAL__N_18offset_tEEE10hipError_tPvRmT1_PNSt15iterator_traitsISL_E10value_typeET2_T3_PNSM_ISR_E10value_typeET4_jRbjT5_SX_jjP12ihipStream_tbEUlT_E2_NS1_11comp_targetILNS1_3genE2ELNS1_11target_archE906ELNS1_3gpuE6ELNS1_3repE0EEENS1_30default_config_static_selectorELNS0_4arch9wavefront6targetE0EEEvSL_
		.amdhsa_group_segment_fixed_size 0
		.amdhsa_private_segment_fixed_size 0
		.amdhsa_kernarg_size 80
		.amdhsa_user_sgpr_count 2
		.amdhsa_user_sgpr_dispatch_ptr 0
		.amdhsa_user_sgpr_queue_ptr 0
		.amdhsa_user_sgpr_kernarg_segment_ptr 1
		.amdhsa_user_sgpr_dispatch_id 0
		.amdhsa_user_sgpr_kernarg_preload_length 0
		.amdhsa_user_sgpr_kernarg_preload_offset 0
		.amdhsa_user_sgpr_private_segment_size 0
		.amdhsa_wavefront_size32 1
		.amdhsa_uses_dynamic_stack 0
		.amdhsa_enable_private_segment 0
		.amdhsa_system_sgpr_workgroup_id_x 1
		.amdhsa_system_sgpr_workgroup_id_y 0
		.amdhsa_system_sgpr_workgroup_id_z 0
		.amdhsa_system_sgpr_workgroup_info 0
		.amdhsa_system_vgpr_workitem_id 0
		.amdhsa_next_free_vgpr 1
		.amdhsa_next_free_sgpr 1
		.amdhsa_named_barrier_count 0
		.amdhsa_reserve_vcc 0
		.amdhsa_float_round_mode_32 0
		.amdhsa_float_round_mode_16_64 0
		.amdhsa_float_denorm_mode_32 3
		.amdhsa_float_denorm_mode_16_64 3
		.amdhsa_fp16_overflow 0
		.amdhsa_memory_ordered 1
		.amdhsa_forward_progress 1
		.amdhsa_inst_pref_size 0
		.amdhsa_round_robin_scheduling 0
		.amdhsa_exception_fp_ieee_invalid_op 0
		.amdhsa_exception_fp_denorm_src 0
		.amdhsa_exception_fp_ieee_div_zero 0
		.amdhsa_exception_fp_ieee_overflow 0
		.amdhsa_exception_fp_ieee_underflow 0
		.amdhsa_exception_fp_ieee_inexact 0
		.amdhsa_exception_int_div_zero 0
	.end_amdhsa_kernel
	.section	.text._ZN7rocprim17ROCPRIM_400000_NS6detail17trampoline_kernelINS0_14default_configENS1_36segmented_radix_sort_config_selectorI6__halflEEZNS1_25segmented_radix_sort_implIS3_Lb1EPKS5_PS5_PKlPlN2at6native12_GLOBAL__N_18offset_tEEE10hipError_tPvRmT1_PNSt15iterator_traitsISL_E10value_typeET2_T3_PNSM_ISR_E10value_typeET4_jRbjT5_SX_jjP12ihipStream_tbEUlT_E2_NS1_11comp_targetILNS1_3genE2ELNS1_11target_archE906ELNS1_3gpuE6ELNS1_3repE0EEENS1_30default_config_static_selectorELNS0_4arch9wavefront6targetE0EEEvSL_,"axG",@progbits,_ZN7rocprim17ROCPRIM_400000_NS6detail17trampoline_kernelINS0_14default_configENS1_36segmented_radix_sort_config_selectorI6__halflEEZNS1_25segmented_radix_sort_implIS3_Lb1EPKS5_PS5_PKlPlN2at6native12_GLOBAL__N_18offset_tEEE10hipError_tPvRmT1_PNSt15iterator_traitsISL_E10value_typeET2_T3_PNSM_ISR_E10value_typeET4_jRbjT5_SX_jjP12ihipStream_tbEUlT_E2_NS1_11comp_targetILNS1_3genE2ELNS1_11target_archE906ELNS1_3gpuE6ELNS1_3repE0EEENS1_30default_config_static_selectorELNS0_4arch9wavefront6targetE0EEEvSL_,comdat
.Lfunc_end1763:
	.size	_ZN7rocprim17ROCPRIM_400000_NS6detail17trampoline_kernelINS0_14default_configENS1_36segmented_radix_sort_config_selectorI6__halflEEZNS1_25segmented_radix_sort_implIS3_Lb1EPKS5_PS5_PKlPlN2at6native12_GLOBAL__N_18offset_tEEE10hipError_tPvRmT1_PNSt15iterator_traitsISL_E10value_typeET2_T3_PNSM_ISR_E10value_typeET4_jRbjT5_SX_jjP12ihipStream_tbEUlT_E2_NS1_11comp_targetILNS1_3genE2ELNS1_11target_archE906ELNS1_3gpuE6ELNS1_3repE0EEENS1_30default_config_static_selectorELNS0_4arch9wavefront6targetE0EEEvSL_, .Lfunc_end1763-_ZN7rocprim17ROCPRIM_400000_NS6detail17trampoline_kernelINS0_14default_configENS1_36segmented_radix_sort_config_selectorI6__halflEEZNS1_25segmented_radix_sort_implIS3_Lb1EPKS5_PS5_PKlPlN2at6native12_GLOBAL__N_18offset_tEEE10hipError_tPvRmT1_PNSt15iterator_traitsISL_E10value_typeET2_T3_PNSM_ISR_E10value_typeET4_jRbjT5_SX_jjP12ihipStream_tbEUlT_E2_NS1_11comp_targetILNS1_3genE2ELNS1_11target_archE906ELNS1_3gpuE6ELNS1_3repE0EEENS1_30default_config_static_selectorELNS0_4arch9wavefront6targetE0EEEvSL_
                                        ; -- End function
	.set _ZN7rocprim17ROCPRIM_400000_NS6detail17trampoline_kernelINS0_14default_configENS1_36segmented_radix_sort_config_selectorI6__halflEEZNS1_25segmented_radix_sort_implIS3_Lb1EPKS5_PS5_PKlPlN2at6native12_GLOBAL__N_18offset_tEEE10hipError_tPvRmT1_PNSt15iterator_traitsISL_E10value_typeET2_T3_PNSM_ISR_E10value_typeET4_jRbjT5_SX_jjP12ihipStream_tbEUlT_E2_NS1_11comp_targetILNS1_3genE2ELNS1_11target_archE906ELNS1_3gpuE6ELNS1_3repE0EEENS1_30default_config_static_selectorELNS0_4arch9wavefront6targetE0EEEvSL_.num_vgpr, 0
	.set _ZN7rocprim17ROCPRIM_400000_NS6detail17trampoline_kernelINS0_14default_configENS1_36segmented_radix_sort_config_selectorI6__halflEEZNS1_25segmented_radix_sort_implIS3_Lb1EPKS5_PS5_PKlPlN2at6native12_GLOBAL__N_18offset_tEEE10hipError_tPvRmT1_PNSt15iterator_traitsISL_E10value_typeET2_T3_PNSM_ISR_E10value_typeET4_jRbjT5_SX_jjP12ihipStream_tbEUlT_E2_NS1_11comp_targetILNS1_3genE2ELNS1_11target_archE906ELNS1_3gpuE6ELNS1_3repE0EEENS1_30default_config_static_selectorELNS0_4arch9wavefront6targetE0EEEvSL_.num_agpr, 0
	.set _ZN7rocprim17ROCPRIM_400000_NS6detail17trampoline_kernelINS0_14default_configENS1_36segmented_radix_sort_config_selectorI6__halflEEZNS1_25segmented_radix_sort_implIS3_Lb1EPKS5_PS5_PKlPlN2at6native12_GLOBAL__N_18offset_tEEE10hipError_tPvRmT1_PNSt15iterator_traitsISL_E10value_typeET2_T3_PNSM_ISR_E10value_typeET4_jRbjT5_SX_jjP12ihipStream_tbEUlT_E2_NS1_11comp_targetILNS1_3genE2ELNS1_11target_archE906ELNS1_3gpuE6ELNS1_3repE0EEENS1_30default_config_static_selectorELNS0_4arch9wavefront6targetE0EEEvSL_.numbered_sgpr, 0
	.set _ZN7rocprim17ROCPRIM_400000_NS6detail17trampoline_kernelINS0_14default_configENS1_36segmented_radix_sort_config_selectorI6__halflEEZNS1_25segmented_radix_sort_implIS3_Lb1EPKS5_PS5_PKlPlN2at6native12_GLOBAL__N_18offset_tEEE10hipError_tPvRmT1_PNSt15iterator_traitsISL_E10value_typeET2_T3_PNSM_ISR_E10value_typeET4_jRbjT5_SX_jjP12ihipStream_tbEUlT_E2_NS1_11comp_targetILNS1_3genE2ELNS1_11target_archE906ELNS1_3gpuE6ELNS1_3repE0EEENS1_30default_config_static_selectorELNS0_4arch9wavefront6targetE0EEEvSL_.num_named_barrier, 0
	.set _ZN7rocprim17ROCPRIM_400000_NS6detail17trampoline_kernelINS0_14default_configENS1_36segmented_radix_sort_config_selectorI6__halflEEZNS1_25segmented_radix_sort_implIS3_Lb1EPKS5_PS5_PKlPlN2at6native12_GLOBAL__N_18offset_tEEE10hipError_tPvRmT1_PNSt15iterator_traitsISL_E10value_typeET2_T3_PNSM_ISR_E10value_typeET4_jRbjT5_SX_jjP12ihipStream_tbEUlT_E2_NS1_11comp_targetILNS1_3genE2ELNS1_11target_archE906ELNS1_3gpuE6ELNS1_3repE0EEENS1_30default_config_static_selectorELNS0_4arch9wavefront6targetE0EEEvSL_.private_seg_size, 0
	.set _ZN7rocprim17ROCPRIM_400000_NS6detail17trampoline_kernelINS0_14default_configENS1_36segmented_radix_sort_config_selectorI6__halflEEZNS1_25segmented_radix_sort_implIS3_Lb1EPKS5_PS5_PKlPlN2at6native12_GLOBAL__N_18offset_tEEE10hipError_tPvRmT1_PNSt15iterator_traitsISL_E10value_typeET2_T3_PNSM_ISR_E10value_typeET4_jRbjT5_SX_jjP12ihipStream_tbEUlT_E2_NS1_11comp_targetILNS1_3genE2ELNS1_11target_archE906ELNS1_3gpuE6ELNS1_3repE0EEENS1_30default_config_static_selectorELNS0_4arch9wavefront6targetE0EEEvSL_.uses_vcc, 0
	.set _ZN7rocprim17ROCPRIM_400000_NS6detail17trampoline_kernelINS0_14default_configENS1_36segmented_radix_sort_config_selectorI6__halflEEZNS1_25segmented_radix_sort_implIS3_Lb1EPKS5_PS5_PKlPlN2at6native12_GLOBAL__N_18offset_tEEE10hipError_tPvRmT1_PNSt15iterator_traitsISL_E10value_typeET2_T3_PNSM_ISR_E10value_typeET4_jRbjT5_SX_jjP12ihipStream_tbEUlT_E2_NS1_11comp_targetILNS1_3genE2ELNS1_11target_archE906ELNS1_3gpuE6ELNS1_3repE0EEENS1_30default_config_static_selectorELNS0_4arch9wavefront6targetE0EEEvSL_.uses_flat_scratch, 0
	.set _ZN7rocprim17ROCPRIM_400000_NS6detail17trampoline_kernelINS0_14default_configENS1_36segmented_radix_sort_config_selectorI6__halflEEZNS1_25segmented_radix_sort_implIS3_Lb1EPKS5_PS5_PKlPlN2at6native12_GLOBAL__N_18offset_tEEE10hipError_tPvRmT1_PNSt15iterator_traitsISL_E10value_typeET2_T3_PNSM_ISR_E10value_typeET4_jRbjT5_SX_jjP12ihipStream_tbEUlT_E2_NS1_11comp_targetILNS1_3genE2ELNS1_11target_archE906ELNS1_3gpuE6ELNS1_3repE0EEENS1_30default_config_static_selectorELNS0_4arch9wavefront6targetE0EEEvSL_.has_dyn_sized_stack, 0
	.set _ZN7rocprim17ROCPRIM_400000_NS6detail17trampoline_kernelINS0_14default_configENS1_36segmented_radix_sort_config_selectorI6__halflEEZNS1_25segmented_radix_sort_implIS3_Lb1EPKS5_PS5_PKlPlN2at6native12_GLOBAL__N_18offset_tEEE10hipError_tPvRmT1_PNSt15iterator_traitsISL_E10value_typeET2_T3_PNSM_ISR_E10value_typeET4_jRbjT5_SX_jjP12ihipStream_tbEUlT_E2_NS1_11comp_targetILNS1_3genE2ELNS1_11target_archE906ELNS1_3gpuE6ELNS1_3repE0EEENS1_30default_config_static_selectorELNS0_4arch9wavefront6targetE0EEEvSL_.has_recursion, 0
	.set _ZN7rocprim17ROCPRIM_400000_NS6detail17trampoline_kernelINS0_14default_configENS1_36segmented_radix_sort_config_selectorI6__halflEEZNS1_25segmented_radix_sort_implIS3_Lb1EPKS5_PS5_PKlPlN2at6native12_GLOBAL__N_18offset_tEEE10hipError_tPvRmT1_PNSt15iterator_traitsISL_E10value_typeET2_T3_PNSM_ISR_E10value_typeET4_jRbjT5_SX_jjP12ihipStream_tbEUlT_E2_NS1_11comp_targetILNS1_3genE2ELNS1_11target_archE906ELNS1_3gpuE6ELNS1_3repE0EEENS1_30default_config_static_selectorELNS0_4arch9wavefront6targetE0EEEvSL_.has_indirect_call, 0
	.section	.AMDGPU.csdata,"",@progbits
; Kernel info:
; codeLenInByte = 0
; TotalNumSgprs: 0
; NumVgprs: 0
; ScratchSize: 0
; MemoryBound: 0
; FloatMode: 240
; IeeeMode: 1
; LDSByteSize: 0 bytes/workgroup (compile time only)
; SGPRBlocks: 0
; VGPRBlocks: 0
; NumSGPRsForWavesPerEU: 1
; NumVGPRsForWavesPerEU: 1
; NamedBarCnt: 0
; Occupancy: 16
; WaveLimiterHint : 0
; COMPUTE_PGM_RSRC2:SCRATCH_EN: 0
; COMPUTE_PGM_RSRC2:USER_SGPR: 2
; COMPUTE_PGM_RSRC2:TRAP_HANDLER: 0
; COMPUTE_PGM_RSRC2:TGID_X_EN: 1
; COMPUTE_PGM_RSRC2:TGID_Y_EN: 0
; COMPUTE_PGM_RSRC2:TGID_Z_EN: 0
; COMPUTE_PGM_RSRC2:TIDIG_COMP_CNT: 0
	.section	.text._ZN7rocprim17ROCPRIM_400000_NS6detail17trampoline_kernelINS0_14default_configENS1_36segmented_radix_sort_config_selectorI6__halflEEZNS1_25segmented_radix_sort_implIS3_Lb1EPKS5_PS5_PKlPlN2at6native12_GLOBAL__N_18offset_tEEE10hipError_tPvRmT1_PNSt15iterator_traitsISL_E10value_typeET2_T3_PNSM_ISR_E10value_typeET4_jRbjT5_SX_jjP12ihipStream_tbEUlT_E2_NS1_11comp_targetILNS1_3genE10ELNS1_11target_archE1201ELNS1_3gpuE5ELNS1_3repE0EEENS1_30default_config_static_selectorELNS0_4arch9wavefront6targetE0EEEvSL_,"axG",@progbits,_ZN7rocprim17ROCPRIM_400000_NS6detail17trampoline_kernelINS0_14default_configENS1_36segmented_radix_sort_config_selectorI6__halflEEZNS1_25segmented_radix_sort_implIS3_Lb1EPKS5_PS5_PKlPlN2at6native12_GLOBAL__N_18offset_tEEE10hipError_tPvRmT1_PNSt15iterator_traitsISL_E10value_typeET2_T3_PNSM_ISR_E10value_typeET4_jRbjT5_SX_jjP12ihipStream_tbEUlT_E2_NS1_11comp_targetILNS1_3genE10ELNS1_11target_archE1201ELNS1_3gpuE5ELNS1_3repE0EEENS1_30default_config_static_selectorELNS0_4arch9wavefront6targetE0EEEvSL_,comdat
	.globl	_ZN7rocprim17ROCPRIM_400000_NS6detail17trampoline_kernelINS0_14default_configENS1_36segmented_radix_sort_config_selectorI6__halflEEZNS1_25segmented_radix_sort_implIS3_Lb1EPKS5_PS5_PKlPlN2at6native12_GLOBAL__N_18offset_tEEE10hipError_tPvRmT1_PNSt15iterator_traitsISL_E10value_typeET2_T3_PNSM_ISR_E10value_typeET4_jRbjT5_SX_jjP12ihipStream_tbEUlT_E2_NS1_11comp_targetILNS1_3genE10ELNS1_11target_archE1201ELNS1_3gpuE5ELNS1_3repE0EEENS1_30default_config_static_selectorELNS0_4arch9wavefront6targetE0EEEvSL_ ; -- Begin function _ZN7rocprim17ROCPRIM_400000_NS6detail17trampoline_kernelINS0_14default_configENS1_36segmented_radix_sort_config_selectorI6__halflEEZNS1_25segmented_radix_sort_implIS3_Lb1EPKS5_PS5_PKlPlN2at6native12_GLOBAL__N_18offset_tEEE10hipError_tPvRmT1_PNSt15iterator_traitsISL_E10value_typeET2_T3_PNSM_ISR_E10value_typeET4_jRbjT5_SX_jjP12ihipStream_tbEUlT_E2_NS1_11comp_targetILNS1_3genE10ELNS1_11target_archE1201ELNS1_3gpuE5ELNS1_3repE0EEENS1_30default_config_static_selectorELNS0_4arch9wavefront6targetE0EEEvSL_
	.p2align	8
	.type	_ZN7rocprim17ROCPRIM_400000_NS6detail17trampoline_kernelINS0_14default_configENS1_36segmented_radix_sort_config_selectorI6__halflEEZNS1_25segmented_radix_sort_implIS3_Lb1EPKS5_PS5_PKlPlN2at6native12_GLOBAL__N_18offset_tEEE10hipError_tPvRmT1_PNSt15iterator_traitsISL_E10value_typeET2_T3_PNSM_ISR_E10value_typeET4_jRbjT5_SX_jjP12ihipStream_tbEUlT_E2_NS1_11comp_targetILNS1_3genE10ELNS1_11target_archE1201ELNS1_3gpuE5ELNS1_3repE0EEENS1_30default_config_static_selectorELNS0_4arch9wavefront6targetE0EEEvSL_,@function
_ZN7rocprim17ROCPRIM_400000_NS6detail17trampoline_kernelINS0_14default_configENS1_36segmented_radix_sort_config_selectorI6__halflEEZNS1_25segmented_radix_sort_implIS3_Lb1EPKS5_PS5_PKlPlN2at6native12_GLOBAL__N_18offset_tEEE10hipError_tPvRmT1_PNSt15iterator_traitsISL_E10value_typeET2_T3_PNSM_ISR_E10value_typeET4_jRbjT5_SX_jjP12ihipStream_tbEUlT_E2_NS1_11comp_targetILNS1_3genE10ELNS1_11target_archE1201ELNS1_3gpuE5ELNS1_3repE0EEENS1_30default_config_static_selectorELNS0_4arch9wavefront6targetE0EEEvSL_: ; @_ZN7rocprim17ROCPRIM_400000_NS6detail17trampoline_kernelINS0_14default_configENS1_36segmented_radix_sort_config_selectorI6__halflEEZNS1_25segmented_radix_sort_implIS3_Lb1EPKS5_PS5_PKlPlN2at6native12_GLOBAL__N_18offset_tEEE10hipError_tPvRmT1_PNSt15iterator_traitsISL_E10value_typeET2_T3_PNSM_ISR_E10value_typeET4_jRbjT5_SX_jjP12ihipStream_tbEUlT_E2_NS1_11comp_targetILNS1_3genE10ELNS1_11target_archE1201ELNS1_3gpuE5ELNS1_3repE0EEENS1_30default_config_static_selectorELNS0_4arch9wavefront6targetE0EEEvSL_
; %bb.0:
	.section	.rodata,"a",@progbits
	.p2align	6, 0x0
	.amdhsa_kernel _ZN7rocprim17ROCPRIM_400000_NS6detail17trampoline_kernelINS0_14default_configENS1_36segmented_radix_sort_config_selectorI6__halflEEZNS1_25segmented_radix_sort_implIS3_Lb1EPKS5_PS5_PKlPlN2at6native12_GLOBAL__N_18offset_tEEE10hipError_tPvRmT1_PNSt15iterator_traitsISL_E10value_typeET2_T3_PNSM_ISR_E10value_typeET4_jRbjT5_SX_jjP12ihipStream_tbEUlT_E2_NS1_11comp_targetILNS1_3genE10ELNS1_11target_archE1201ELNS1_3gpuE5ELNS1_3repE0EEENS1_30default_config_static_selectorELNS0_4arch9wavefront6targetE0EEEvSL_
		.amdhsa_group_segment_fixed_size 0
		.amdhsa_private_segment_fixed_size 0
		.amdhsa_kernarg_size 80
		.amdhsa_user_sgpr_count 2
		.amdhsa_user_sgpr_dispatch_ptr 0
		.amdhsa_user_sgpr_queue_ptr 0
		.amdhsa_user_sgpr_kernarg_segment_ptr 1
		.amdhsa_user_sgpr_dispatch_id 0
		.amdhsa_user_sgpr_kernarg_preload_length 0
		.amdhsa_user_sgpr_kernarg_preload_offset 0
		.amdhsa_user_sgpr_private_segment_size 0
		.amdhsa_wavefront_size32 1
		.amdhsa_uses_dynamic_stack 0
		.amdhsa_enable_private_segment 0
		.amdhsa_system_sgpr_workgroup_id_x 1
		.amdhsa_system_sgpr_workgroup_id_y 0
		.amdhsa_system_sgpr_workgroup_id_z 0
		.amdhsa_system_sgpr_workgroup_info 0
		.amdhsa_system_vgpr_workitem_id 0
		.amdhsa_next_free_vgpr 1
		.amdhsa_next_free_sgpr 1
		.amdhsa_named_barrier_count 0
		.amdhsa_reserve_vcc 0
		.amdhsa_float_round_mode_32 0
		.amdhsa_float_round_mode_16_64 0
		.amdhsa_float_denorm_mode_32 3
		.amdhsa_float_denorm_mode_16_64 3
		.amdhsa_fp16_overflow 0
		.amdhsa_memory_ordered 1
		.amdhsa_forward_progress 1
		.amdhsa_inst_pref_size 0
		.amdhsa_round_robin_scheduling 0
		.amdhsa_exception_fp_ieee_invalid_op 0
		.amdhsa_exception_fp_denorm_src 0
		.amdhsa_exception_fp_ieee_div_zero 0
		.amdhsa_exception_fp_ieee_overflow 0
		.amdhsa_exception_fp_ieee_underflow 0
		.amdhsa_exception_fp_ieee_inexact 0
		.amdhsa_exception_int_div_zero 0
	.end_amdhsa_kernel
	.section	.text._ZN7rocprim17ROCPRIM_400000_NS6detail17trampoline_kernelINS0_14default_configENS1_36segmented_radix_sort_config_selectorI6__halflEEZNS1_25segmented_radix_sort_implIS3_Lb1EPKS5_PS5_PKlPlN2at6native12_GLOBAL__N_18offset_tEEE10hipError_tPvRmT1_PNSt15iterator_traitsISL_E10value_typeET2_T3_PNSM_ISR_E10value_typeET4_jRbjT5_SX_jjP12ihipStream_tbEUlT_E2_NS1_11comp_targetILNS1_3genE10ELNS1_11target_archE1201ELNS1_3gpuE5ELNS1_3repE0EEENS1_30default_config_static_selectorELNS0_4arch9wavefront6targetE0EEEvSL_,"axG",@progbits,_ZN7rocprim17ROCPRIM_400000_NS6detail17trampoline_kernelINS0_14default_configENS1_36segmented_radix_sort_config_selectorI6__halflEEZNS1_25segmented_radix_sort_implIS3_Lb1EPKS5_PS5_PKlPlN2at6native12_GLOBAL__N_18offset_tEEE10hipError_tPvRmT1_PNSt15iterator_traitsISL_E10value_typeET2_T3_PNSM_ISR_E10value_typeET4_jRbjT5_SX_jjP12ihipStream_tbEUlT_E2_NS1_11comp_targetILNS1_3genE10ELNS1_11target_archE1201ELNS1_3gpuE5ELNS1_3repE0EEENS1_30default_config_static_selectorELNS0_4arch9wavefront6targetE0EEEvSL_,comdat
.Lfunc_end1764:
	.size	_ZN7rocprim17ROCPRIM_400000_NS6detail17trampoline_kernelINS0_14default_configENS1_36segmented_radix_sort_config_selectorI6__halflEEZNS1_25segmented_radix_sort_implIS3_Lb1EPKS5_PS5_PKlPlN2at6native12_GLOBAL__N_18offset_tEEE10hipError_tPvRmT1_PNSt15iterator_traitsISL_E10value_typeET2_T3_PNSM_ISR_E10value_typeET4_jRbjT5_SX_jjP12ihipStream_tbEUlT_E2_NS1_11comp_targetILNS1_3genE10ELNS1_11target_archE1201ELNS1_3gpuE5ELNS1_3repE0EEENS1_30default_config_static_selectorELNS0_4arch9wavefront6targetE0EEEvSL_, .Lfunc_end1764-_ZN7rocprim17ROCPRIM_400000_NS6detail17trampoline_kernelINS0_14default_configENS1_36segmented_radix_sort_config_selectorI6__halflEEZNS1_25segmented_radix_sort_implIS3_Lb1EPKS5_PS5_PKlPlN2at6native12_GLOBAL__N_18offset_tEEE10hipError_tPvRmT1_PNSt15iterator_traitsISL_E10value_typeET2_T3_PNSM_ISR_E10value_typeET4_jRbjT5_SX_jjP12ihipStream_tbEUlT_E2_NS1_11comp_targetILNS1_3genE10ELNS1_11target_archE1201ELNS1_3gpuE5ELNS1_3repE0EEENS1_30default_config_static_selectorELNS0_4arch9wavefront6targetE0EEEvSL_
                                        ; -- End function
	.set _ZN7rocprim17ROCPRIM_400000_NS6detail17trampoline_kernelINS0_14default_configENS1_36segmented_radix_sort_config_selectorI6__halflEEZNS1_25segmented_radix_sort_implIS3_Lb1EPKS5_PS5_PKlPlN2at6native12_GLOBAL__N_18offset_tEEE10hipError_tPvRmT1_PNSt15iterator_traitsISL_E10value_typeET2_T3_PNSM_ISR_E10value_typeET4_jRbjT5_SX_jjP12ihipStream_tbEUlT_E2_NS1_11comp_targetILNS1_3genE10ELNS1_11target_archE1201ELNS1_3gpuE5ELNS1_3repE0EEENS1_30default_config_static_selectorELNS0_4arch9wavefront6targetE0EEEvSL_.num_vgpr, 0
	.set _ZN7rocprim17ROCPRIM_400000_NS6detail17trampoline_kernelINS0_14default_configENS1_36segmented_radix_sort_config_selectorI6__halflEEZNS1_25segmented_radix_sort_implIS3_Lb1EPKS5_PS5_PKlPlN2at6native12_GLOBAL__N_18offset_tEEE10hipError_tPvRmT1_PNSt15iterator_traitsISL_E10value_typeET2_T3_PNSM_ISR_E10value_typeET4_jRbjT5_SX_jjP12ihipStream_tbEUlT_E2_NS1_11comp_targetILNS1_3genE10ELNS1_11target_archE1201ELNS1_3gpuE5ELNS1_3repE0EEENS1_30default_config_static_selectorELNS0_4arch9wavefront6targetE0EEEvSL_.num_agpr, 0
	.set _ZN7rocprim17ROCPRIM_400000_NS6detail17trampoline_kernelINS0_14default_configENS1_36segmented_radix_sort_config_selectorI6__halflEEZNS1_25segmented_radix_sort_implIS3_Lb1EPKS5_PS5_PKlPlN2at6native12_GLOBAL__N_18offset_tEEE10hipError_tPvRmT1_PNSt15iterator_traitsISL_E10value_typeET2_T3_PNSM_ISR_E10value_typeET4_jRbjT5_SX_jjP12ihipStream_tbEUlT_E2_NS1_11comp_targetILNS1_3genE10ELNS1_11target_archE1201ELNS1_3gpuE5ELNS1_3repE0EEENS1_30default_config_static_selectorELNS0_4arch9wavefront6targetE0EEEvSL_.numbered_sgpr, 0
	.set _ZN7rocprim17ROCPRIM_400000_NS6detail17trampoline_kernelINS0_14default_configENS1_36segmented_radix_sort_config_selectorI6__halflEEZNS1_25segmented_radix_sort_implIS3_Lb1EPKS5_PS5_PKlPlN2at6native12_GLOBAL__N_18offset_tEEE10hipError_tPvRmT1_PNSt15iterator_traitsISL_E10value_typeET2_T3_PNSM_ISR_E10value_typeET4_jRbjT5_SX_jjP12ihipStream_tbEUlT_E2_NS1_11comp_targetILNS1_3genE10ELNS1_11target_archE1201ELNS1_3gpuE5ELNS1_3repE0EEENS1_30default_config_static_selectorELNS0_4arch9wavefront6targetE0EEEvSL_.num_named_barrier, 0
	.set _ZN7rocprim17ROCPRIM_400000_NS6detail17trampoline_kernelINS0_14default_configENS1_36segmented_radix_sort_config_selectorI6__halflEEZNS1_25segmented_radix_sort_implIS3_Lb1EPKS5_PS5_PKlPlN2at6native12_GLOBAL__N_18offset_tEEE10hipError_tPvRmT1_PNSt15iterator_traitsISL_E10value_typeET2_T3_PNSM_ISR_E10value_typeET4_jRbjT5_SX_jjP12ihipStream_tbEUlT_E2_NS1_11comp_targetILNS1_3genE10ELNS1_11target_archE1201ELNS1_3gpuE5ELNS1_3repE0EEENS1_30default_config_static_selectorELNS0_4arch9wavefront6targetE0EEEvSL_.private_seg_size, 0
	.set _ZN7rocprim17ROCPRIM_400000_NS6detail17trampoline_kernelINS0_14default_configENS1_36segmented_radix_sort_config_selectorI6__halflEEZNS1_25segmented_radix_sort_implIS3_Lb1EPKS5_PS5_PKlPlN2at6native12_GLOBAL__N_18offset_tEEE10hipError_tPvRmT1_PNSt15iterator_traitsISL_E10value_typeET2_T3_PNSM_ISR_E10value_typeET4_jRbjT5_SX_jjP12ihipStream_tbEUlT_E2_NS1_11comp_targetILNS1_3genE10ELNS1_11target_archE1201ELNS1_3gpuE5ELNS1_3repE0EEENS1_30default_config_static_selectorELNS0_4arch9wavefront6targetE0EEEvSL_.uses_vcc, 0
	.set _ZN7rocprim17ROCPRIM_400000_NS6detail17trampoline_kernelINS0_14default_configENS1_36segmented_radix_sort_config_selectorI6__halflEEZNS1_25segmented_radix_sort_implIS3_Lb1EPKS5_PS5_PKlPlN2at6native12_GLOBAL__N_18offset_tEEE10hipError_tPvRmT1_PNSt15iterator_traitsISL_E10value_typeET2_T3_PNSM_ISR_E10value_typeET4_jRbjT5_SX_jjP12ihipStream_tbEUlT_E2_NS1_11comp_targetILNS1_3genE10ELNS1_11target_archE1201ELNS1_3gpuE5ELNS1_3repE0EEENS1_30default_config_static_selectorELNS0_4arch9wavefront6targetE0EEEvSL_.uses_flat_scratch, 0
	.set _ZN7rocprim17ROCPRIM_400000_NS6detail17trampoline_kernelINS0_14default_configENS1_36segmented_radix_sort_config_selectorI6__halflEEZNS1_25segmented_radix_sort_implIS3_Lb1EPKS5_PS5_PKlPlN2at6native12_GLOBAL__N_18offset_tEEE10hipError_tPvRmT1_PNSt15iterator_traitsISL_E10value_typeET2_T3_PNSM_ISR_E10value_typeET4_jRbjT5_SX_jjP12ihipStream_tbEUlT_E2_NS1_11comp_targetILNS1_3genE10ELNS1_11target_archE1201ELNS1_3gpuE5ELNS1_3repE0EEENS1_30default_config_static_selectorELNS0_4arch9wavefront6targetE0EEEvSL_.has_dyn_sized_stack, 0
	.set _ZN7rocprim17ROCPRIM_400000_NS6detail17trampoline_kernelINS0_14default_configENS1_36segmented_radix_sort_config_selectorI6__halflEEZNS1_25segmented_radix_sort_implIS3_Lb1EPKS5_PS5_PKlPlN2at6native12_GLOBAL__N_18offset_tEEE10hipError_tPvRmT1_PNSt15iterator_traitsISL_E10value_typeET2_T3_PNSM_ISR_E10value_typeET4_jRbjT5_SX_jjP12ihipStream_tbEUlT_E2_NS1_11comp_targetILNS1_3genE10ELNS1_11target_archE1201ELNS1_3gpuE5ELNS1_3repE0EEENS1_30default_config_static_selectorELNS0_4arch9wavefront6targetE0EEEvSL_.has_recursion, 0
	.set _ZN7rocprim17ROCPRIM_400000_NS6detail17trampoline_kernelINS0_14default_configENS1_36segmented_radix_sort_config_selectorI6__halflEEZNS1_25segmented_radix_sort_implIS3_Lb1EPKS5_PS5_PKlPlN2at6native12_GLOBAL__N_18offset_tEEE10hipError_tPvRmT1_PNSt15iterator_traitsISL_E10value_typeET2_T3_PNSM_ISR_E10value_typeET4_jRbjT5_SX_jjP12ihipStream_tbEUlT_E2_NS1_11comp_targetILNS1_3genE10ELNS1_11target_archE1201ELNS1_3gpuE5ELNS1_3repE0EEENS1_30default_config_static_selectorELNS0_4arch9wavefront6targetE0EEEvSL_.has_indirect_call, 0
	.section	.AMDGPU.csdata,"",@progbits
; Kernel info:
; codeLenInByte = 0
; TotalNumSgprs: 0
; NumVgprs: 0
; ScratchSize: 0
; MemoryBound: 0
; FloatMode: 240
; IeeeMode: 1
; LDSByteSize: 0 bytes/workgroup (compile time only)
; SGPRBlocks: 0
; VGPRBlocks: 0
; NumSGPRsForWavesPerEU: 1
; NumVGPRsForWavesPerEU: 1
; NamedBarCnt: 0
; Occupancy: 16
; WaveLimiterHint : 0
; COMPUTE_PGM_RSRC2:SCRATCH_EN: 0
; COMPUTE_PGM_RSRC2:USER_SGPR: 2
; COMPUTE_PGM_RSRC2:TRAP_HANDLER: 0
; COMPUTE_PGM_RSRC2:TGID_X_EN: 1
; COMPUTE_PGM_RSRC2:TGID_Y_EN: 0
; COMPUTE_PGM_RSRC2:TGID_Z_EN: 0
; COMPUTE_PGM_RSRC2:TIDIG_COMP_CNT: 0
	.section	.text._ZN7rocprim17ROCPRIM_400000_NS6detail17trampoline_kernelINS0_14default_configENS1_36segmented_radix_sort_config_selectorI6__halflEEZNS1_25segmented_radix_sort_implIS3_Lb1EPKS5_PS5_PKlPlN2at6native12_GLOBAL__N_18offset_tEEE10hipError_tPvRmT1_PNSt15iterator_traitsISL_E10value_typeET2_T3_PNSM_ISR_E10value_typeET4_jRbjT5_SX_jjP12ihipStream_tbEUlT_E2_NS1_11comp_targetILNS1_3genE10ELNS1_11target_archE1200ELNS1_3gpuE4ELNS1_3repE0EEENS1_30default_config_static_selectorELNS0_4arch9wavefront6targetE0EEEvSL_,"axG",@progbits,_ZN7rocprim17ROCPRIM_400000_NS6detail17trampoline_kernelINS0_14default_configENS1_36segmented_radix_sort_config_selectorI6__halflEEZNS1_25segmented_radix_sort_implIS3_Lb1EPKS5_PS5_PKlPlN2at6native12_GLOBAL__N_18offset_tEEE10hipError_tPvRmT1_PNSt15iterator_traitsISL_E10value_typeET2_T3_PNSM_ISR_E10value_typeET4_jRbjT5_SX_jjP12ihipStream_tbEUlT_E2_NS1_11comp_targetILNS1_3genE10ELNS1_11target_archE1200ELNS1_3gpuE4ELNS1_3repE0EEENS1_30default_config_static_selectorELNS0_4arch9wavefront6targetE0EEEvSL_,comdat
	.globl	_ZN7rocprim17ROCPRIM_400000_NS6detail17trampoline_kernelINS0_14default_configENS1_36segmented_radix_sort_config_selectorI6__halflEEZNS1_25segmented_radix_sort_implIS3_Lb1EPKS5_PS5_PKlPlN2at6native12_GLOBAL__N_18offset_tEEE10hipError_tPvRmT1_PNSt15iterator_traitsISL_E10value_typeET2_T3_PNSM_ISR_E10value_typeET4_jRbjT5_SX_jjP12ihipStream_tbEUlT_E2_NS1_11comp_targetILNS1_3genE10ELNS1_11target_archE1200ELNS1_3gpuE4ELNS1_3repE0EEENS1_30default_config_static_selectorELNS0_4arch9wavefront6targetE0EEEvSL_ ; -- Begin function _ZN7rocprim17ROCPRIM_400000_NS6detail17trampoline_kernelINS0_14default_configENS1_36segmented_radix_sort_config_selectorI6__halflEEZNS1_25segmented_radix_sort_implIS3_Lb1EPKS5_PS5_PKlPlN2at6native12_GLOBAL__N_18offset_tEEE10hipError_tPvRmT1_PNSt15iterator_traitsISL_E10value_typeET2_T3_PNSM_ISR_E10value_typeET4_jRbjT5_SX_jjP12ihipStream_tbEUlT_E2_NS1_11comp_targetILNS1_3genE10ELNS1_11target_archE1200ELNS1_3gpuE4ELNS1_3repE0EEENS1_30default_config_static_selectorELNS0_4arch9wavefront6targetE0EEEvSL_
	.p2align	8
	.type	_ZN7rocprim17ROCPRIM_400000_NS6detail17trampoline_kernelINS0_14default_configENS1_36segmented_radix_sort_config_selectorI6__halflEEZNS1_25segmented_radix_sort_implIS3_Lb1EPKS5_PS5_PKlPlN2at6native12_GLOBAL__N_18offset_tEEE10hipError_tPvRmT1_PNSt15iterator_traitsISL_E10value_typeET2_T3_PNSM_ISR_E10value_typeET4_jRbjT5_SX_jjP12ihipStream_tbEUlT_E2_NS1_11comp_targetILNS1_3genE10ELNS1_11target_archE1200ELNS1_3gpuE4ELNS1_3repE0EEENS1_30default_config_static_selectorELNS0_4arch9wavefront6targetE0EEEvSL_,@function
_ZN7rocprim17ROCPRIM_400000_NS6detail17trampoline_kernelINS0_14default_configENS1_36segmented_radix_sort_config_selectorI6__halflEEZNS1_25segmented_radix_sort_implIS3_Lb1EPKS5_PS5_PKlPlN2at6native12_GLOBAL__N_18offset_tEEE10hipError_tPvRmT1_PNSt15iterator_traitsISL_E10value_typeET2_T3_PNSM_ISR_E10value_typeET4_jRbjT5_SX_jjP12ihipStream_tbEUlT_E2_NS1_11comp_targetILNS1_3genE10ELNS1_11target_archE1200ELNS1_3gpuE4ELNS1_3repE0EEENS1_30default_config_static_selectorELNS0_4arch9wavefront6targetE0EEEvSL_: ; @_ZN7rocprim17ROCPRIM_400000_NS6detail17trampoline_kernelINS0_14default_configENS1_36segmented_radix_sort_config_selectorI6__halflEEZNS1_25segmented_radix_sort_implIS3_Lb1EPKS5_PS5_PKlPlN2at6native12_GLOBAL__N_18offset_tEEE10hipError_tPvRmT1_PNSt15iterator_traitsISL_E10value_typeET2_T3_PNSM_ISR_E10value_typeET4_jRbjT5_SX_jjP12ihipStream_tbEUlT_E2_NS1_11comp_targetILNS1_3genE10ELNS1_11target_archE1200ELNS1_3gpuE4ELNS1_3repE0EEENS1_30default_config_static_selectorELNS0_4arch9wavefront6targetE0EEEvSL_
; %bb.0:
	.section	.rodata,"a",@progbits
	.p2align	6, 0x0
	.amdhsa_kernel _ZN7rocprim17ROCPRIM_400000_NS6detail17trampoline_kernelINS0_14default_configENS1_36segmented_radix_sort_config_selectorI6__halflEEZNS1_25segmented_radix_sort_implIS3_Lb1EPKS5_PS5_PKlPlN2at6native12_GLOBAL__N_18offset_tEEE10hipError_tPvRmT1_PNSt15iterator_traitsISL_E10value_typeET2_T3_PNSM_ISR_E10value_typeET4_jRbjT5_SX_jjP12ihipStream_tbEUlT_E2_NS1_11comp_targetILNS1_3genE10ELNS1_11target_archE1200ELNS1_3gpuE4ELNS1_3repE0EEENS1_30default_config_static_selectorELNS0_4arch9wavefront6targetE0EEEvSL_
		.amdhsa_group_segment_fixed_size 0
		.amdhsa_private_segment_fixed_size 0
		.amdhsa_kernarg_size 80
		.amdhsa_user_sgpr_count 2
		.amdhsa_user_sgpr_dispatch_ptr 0
		.amdhsa_user_sgpr_queue_ptr 0
		.amdhsa_user_sgpr_kernarg_segment_ptr 1
		.amdhsa_user_sgpr_dispatch_id 0
		.amdhsa_user_sgpr_kernarg_preload_length 0
		.amdhsa_user_sgpr_kernarg_preload_offset 0
		.amdhsa_user_sgpr_private_segment_size 0
		.amdhsa_wavefront_size32 1
		.amdhsa_uses_dynamic_stack 0
		.amdhsa_enable_private_segment 0
		.amdhsa_system_sgpr_workgroup_id_x 1
		.amdhsa_system_sgpr_workgroup_id_y 0
		.amdhsa_system_sgpr_workgroup_id_z 0
		.amdhsa_system_sgpr_workgroup_info 0
		.amdhsa_system_vgpr_workitem_id 0
		.amdhsa_next_free_vgpr 1
		.amdhsa_next_free_sgpr 1
		.amdhsa_named_barrier_count 0
		.amdhsa_reserve_vcc 0
		.amdhsa_float_round_mode_32 0
		.amdhsa_float_round_mode_16_64 0
		.amdhsa_float_denorm_mode_32 3
		.amdhsa_float_denorm_mode_16_64 3
		.amdhsa_fp16_overflow 0
		.amdhsa_memory_ordered 1
		.amdhsa_forward_progress 1
		.amdhsa_inst_pref_size 0
		.amdhsa_round_robin_scheduling 0
		.amdhsa_exception_fp_ieee_invalid_op 0
		.amdhsa_exception_fp_denorm_src 0
		.amdhsa_exception_fp_ieee_div_zero 0
		.amdhsa_exception_fp_ieee_overflow 0
		.amdhsa_exception_fp_ieee_underflow 0
		.amdhsa_exception_fp_ieee_inexact 0
		.amdhsa_exception_int_div_zero 0
	.end_amdhsa_kernel
	.section	.text._ZN7rocprim17ROCPRIM_400000_NS6detail17trampoline_kernelINS0_14default_configENS1_36segmented_radix_sort_config_selectorI6__halflEEZNS1_25segmented_radix_sort_implIS3_Lb1EPKS5_PS5_PKlPlN2at6native12_GLOBAL__N_18offset_tEEE10hipError_tPvRmT1_PNSt15iterator_traitsISL_E10value_typeET2_T3_PNSM_ISR_E10value_typeET4_jRbjT5_SX_jjP12ihipStream_tbEUlT_E2_NS1_11comp_targetILNS1_3genE10ELNS1_11target_archE1200ELNS1_3gpuE4ELNS1_3repE0EEENS1_30default_config_static_selectorELNS0_4arch9wavefront6targetE0EEEvSL_,"axG",@progbits,_ZN7rocprim17ROCPRIM_400000_NS6detail17trampoline_kernelINS0_14default_configENS1_36segmented_radix_sort_config_selectorI6__halflEEZNS1_25segmented_radix_sort_implIS3_Lb1EPKS5_PS5_PKlPlN2at6native12_GLOBAL__N_18offset_tEEE10hipError_tPvRmT1_PNSt15iterator_traitsISL_E10value_typeET2_T3_PNSM_ISR_E10value_typeET4_jRbjT5_SX_jjP12ihipStream_tbEUlT_E2_NS1_11comp_targetILNS1_3genE10ELNS1_11target_archE1200ELNS1_3gpuE4ELNS1_3repE0EEENS1_30default_config_static_selectorELNS0_4arch9wavefront6targetE0EEEvSL_,comdat
.Lfunc_end1765:
	.size	_ZN7rocprim17ROCPRIM_400000_NS6detail17trampoline_kernelINS0_14default_configENS1_36segmented_radix_sort_config_selectorI6__halflEEZNS1_25segmented_radix_sort_implIS3_Lb1EPKS5_PS5_PKlPlN2at6native12_GLOBAL__N_18offset_tEEE10hipError_tPvRmT1_PNSt15iterator_traitsISL_E10value_typeET2_T3_PNSM_ISR_E10value_typeET4_jRbjT5_SX_jjP12ihipStream_tbEUlT_E2_NS1_11comp_targetILNS1_3genE10ELNS1_11target_archE1200ELNS1_3gpuE4ELNS1_3repE0EEENS1_30default_config_static_selectorELNS0_4arch9wavefront6targetE0EEEvSL_, .Lfunc_end1765-_ZN7rocprim17ROCPRIM_400000_NS6detail17trampoline_kernelINS0_14default_configENS1_36segmented_radix_sort_config_selectorI6__halflEEZNS1_25segmented_radix_sort_implIS3_Lb1EPKS5_PS5_PKlPlN2at6native12_GLOBAL__N_18offset_tEEE10hipError_tPvRmT1_PNSt15iterator_traitsISL_E10value_typeET2_T3_PNSM_ISR_E10value_typeET4_jRbjT5_SX_jjP12ihipStream_tbEUlT_E2_NS1_11comp_targetILNS1_3genE10ELNS1_11target_archE1200ELNS1_3gpuE4ELNS1_3repE0EEENS1_30default_config_static_selectorELNS0_4arch9wavefront6targetE0EEEvSL_
                                        ; -- End function
	.set _ZN7rocprim17ROCPRIM_400000_NS6detail17trampoline_kernelINS0_14default_configENS1_36segmented_radix_sort_config_selectorI6__halflEEZNS1_25segmented_radix_sort_implIS3_Lb1EPKS5_PS5_PKlPlN2at6native12_GLOBAL__N_18offset_tEEE10hipError_tPvRmT1_PNSt15iterator_traitsISL_E10value_typeET2_T3_PNSM_ISR_E10value_typeET4_jRbjT5_SX_jjP12ihipStream_tbEUlT_E2_NS1_11comp_targetILNS1_3genE10ELNS1_11target_archE1200ELNS1_3gpuE4ELNS1_3repE0EEENS1_30default_config_static_selectorELNS0_4arch9wavefront6targetE0EEEvSL_.num_vgpr, 0
	.set _ZN7rocprim17ROCPRIM_400000_NS6detail17trampoline_kernelINS0_14default_configENS1_36segmented_radix_sort_config_selectorI6__halflEEZNS1_25segmented_radix_sort_implIS3_Lb1EPKS5_PS5_PKlPlN2at6native12_GLOBAL__N_18offset_tEEE10hipError_tPvRmT1_PNSt15iterator_traitsISL_E10value_typeET2_T3_PNSM_ISR_E10value_typeET4_jRbjT5_SX_jjP12ihipStream_tbEUlT_E2_NS1_11comp_targetILNS1_3genE10ELNS1_11target_archE1200ELNS1_3gpuE4ELNS1_3repE0EEENS1_30default_config_static_selectorELNS0_4arch9wavefront6targetE0EEEvSL_.num_agpr, 0
	.set _ZN7rocprim17ROCPRIM_400000_NS6detail17trampoline_kernelINS0_14default_configENS1_36segmented_radix_sort_config_selectorI6__halflEEZNS1_25segmented_radix_sort_implIS3_Lb1EPKS5_PS5_PKlPlN2at6native12_GLOBAL__N_18offset_tEEE10hipError_tPvRmT1_PNSt15iterator_traitsISL_E10value_typeET2_T3_PNSM_ISR_E10value_typeET4_jRbjT5_SX_jjP12ihipStream_tbEUlT_E2_NS1_11comp_targetILNS1_3genE10ELNS1_11target_archE1200ELNS1_3gpuE4ELNS1_3repE0EEENS1_30default_config_static_selectorELNS0_4arch9wavefront6targetE0EEEvSL_.numbered_sgpr, 0
	.set _ZN7rocprim17ROCPRIM_400000_NS6detail17trampoline_kernelINS0_14default_configENS1_36segmented_radix_sort_config_selectorI6__halflEEZNS1_25segmented_radix_sort_implIS3_Lb1EPKS5_PS5_PKlPlN2at6native12_GLOBAL__N_18offset_tEEE10hipError_tPvRmT1_PNSt15iterator_traitsISL_E10value_typeET2_T3_PNSM_ISR_E10value_typeET4_jRbjT5_SX_jjP12ihipStream_tbEUlT_E2_NS1_11comp_targetILNS1_3genE10ELNS1_11target_archE1200ELNS1_3gpuE4ELNS1_3repE0EEENS1_30default_config_static_selectorELNS0_4arch9wavefront6targetE0EEEvSL_.num_named_barrier, 0
	.set _ZN7rocprim17ROCPRIM_400000_NS6detail17trampoline_kernelINS0_14default_configENS1_36segmented_radix_sort_config_selectorI6__halflEEZNS1_25segmented_radix_sort_implIS3_Lb1EPKS5_PS5_PKlPlN2at6native12_GLOBAL__N_18offset_tEEE10hipError_tPvRmT1_PNSt15iterator_traitsISL_E10value_typeET2_T3_PNSM_ISR_E10value_typeET4_jRbjT5_SX_jjP12ihipStream_tbEUlT_E2_NS1_11comp_targetILNS1_3genE10ELNS1_11target_archE1200ELNS1_3gpuE4ELNS1_3repE0EEENS1_30default_config_static_selectorELNS0_4arch9wavefront6targetE0EEEvSL_.private_seg_size, 0
	.set _ZN7rocprim17ROCPRIM_400000_NS6detail17trampoline_kernelINS0_14default_configENS1_36segmented_radix_sort_config_selectorI6__halflEEZNS1_25segmented_radix_sort_implIS3_Lb1EPKS5_PS5_PKlPlN2at6native12_GLOBAL__N_18offset_tEEE10hipError_tPvRmT1_PNSt15iterator_traitsISL_E10value_typeET2_T3_PNSM_ISR_E10value_typeET4_jRbjT5_SX_jjP12ihipStream_tbEUlT_E2_NS1_11comp_targetILNS1_3genE10ELNS1_11target_archE1200ELNS1_3gpuE4ELNS1_3repE0EEENS1_30default_config_static_selectorELNS0_4arch9wavefront6targetE0EEEvSL_.uses_vcc, 0
	.set _ZN7rocprim17ROCPRIM_400000_NS6detail17trampoline_kernelINS0_14default_configENS1_36segmented_radix_sort_config_selectorI6__halflEEZNS1_25segmented_radix_sort_implIS3_Lb1EPKS5_PS5_PKlPlN2at6native12_GLOBAL__N_18offset_tEEE10hipError_tPvRmT1_PNSt15iterator_traitsISL_E10value_typeET2_T3_PNSM_ISR_E10value_typeET4_jRbjT5_SX_jjP12ihipStream_tbEUlT_E2_NS1_11comp_targetILNS1_3genE10ELNS1_11target_archE1200ELNS1_3gpuE4ELNS1_3repE0EEENS1_30default_config_static_selectorELNS0_4arch9wavefront6targetE0EEEvSL_.uses_flat_scratch, 0
	.set _ZN7rocprim17ROCPRIM_400000_NS6detail17trampoline_kernelINS0_14default_configENS1_36segmented_radix_sort_config_selectorI6__halflEEZNS1_25segmented_radix_sort_implIS3_Lb1EPKS5_PS5_PKlPlN2at6native12_GLOBAL__N_18offset_tEEE10hipError_tPvRmT1_PNSt15iterator_traitsISL_E10value_typeET2_T3_PNSM_ISR_E10value_typeET4_jRbjT5_SX_jjP12ihipStream_tbEUlT_E2_NS1_11comp_targetILNS1_3genE10ELNS1_11target_archE1200ELNS1_3gpuE4ELNS1_3repE0EEENS1_30default_config_static_selectorELNS0_4arch9wavefront6targetE0EEEvSL_.has_dyn_sized_stack, 0
	.set _ZN7rocprim17ROCPRIM_400000_NS6detail17trampoline_kernelINS0_14default_configENS1_36segmented_radix_sort_config_selectorI6__halflEEZNS1_25segmented_radix_sort_implIS3_Lb1EPKS5_PS5_PKlPlN2at6native12_GLOBAL__N_18offset_tEEE10hipError_tPvRmT1_PNSt15iterator_traitsISL_E10value_typeET2_T3_PNSM_ISR_E10value_typeET4_jRbjT5_SX_jjP12ihipStream_tbEUlT_E2_NS1_11comp_targetILNS1_3genE10ELNS1_11target_archE1200ELNS1_3gpuE4ELNS1_3repE0EEENS1_30default_config_static_selectorELNS0_4arch9wavefront6targetE0EEEvSL_.has_recursion, 0
	.set _ZN7rocprim17ROCPRIM_400000_NS6detail17trampoline_kernelINS0_14default_configENS1_36segmented_radix_sort_config_selectorI6__halflEEZNS1_25segmented_radix_sort_implIS3_Lb1EPKS5_PS5_PKlPlN2at6native12_GLOBAL__N_18offset_tEEE10hipError_tPvRmT1_PNSt15iterator_traitsISL_E10value_typeET2_T3_PNSM_ISR_E10value_typeET4_jRbjT5_SX_jjP12ihipStream_tbEUlT_E2_NS1_11comp_targetILNS1_3genE10ELNS1_11target_archE1200ELNS1_3gpuE4ELNS1_3repE0EEENS1_30default_config_static_selectorELNS0_4arch9wavefront6targetE0EEEvSL_.has_indirect_call, 0
	.section	.AMDGPU.csdata,"",@progbits
; Kernel info:
; codeLenInByte = 0
; TotalNumSgprs: 0
; NumVgprs: 0
; ScratchSize: 0
; MemoryBound: 0
; FloatMode: 240
; IeeeMode: 1
; LDSByteSize: 0 bytes/workgroup (compile time only)
; SGPRBlocks: 0
; VGPRBlocks: 0
; NumSGPRsForWavesPerEU: 1
; NumVGPRsForWavesPerEU: 1
; NamedBarCnt: 0
; Occupancy: 16
; WaveLimiterHint : 0
; COMPUTE_PGM_RSRC2:SCRATCH_EN: 0
; COMPUTE_PGM_RSRC2:USER_SGPR: 2
; COMPUTE_PGM_RSRC2:TRAP_HANDLER: 0
; COMPUTE_PGM_RSRC2:TGID_X_EN: 1
; COMPUTE_PGM_RSRC2:TGID_Y_EN: 0
; COMPUTE_PGM_RSRC2:TGID_Z_EN: 0
; COMPUTE_PGM_RSRC2:TIDIG_COMP_CNT: 0
	.section	.text._ZN7rocprim17ROCPRIM_400000_NS6detail17trampoline_kernelINS0_14default_configENS1_36segmented_radix_sort_config_selectorI6__halflEEZNS1_25segmented_radix_sort_implIS3_Lb1EPKS5_PS5_PKlPlN2at6native12_GLOBAL__N_18offset_tEEE10hipError_tPvRmT1_PNSt15iterator_traitsISL_E10value_typeET2_T3_PNSM_ISR_E10value_typeET4_jRbjT5_SX_jjP12ihipStream_tbEUlT_E2_NS1_11comp_targetILNS1_3genE9ELNS1_11target_archE1100ELNS1_3gpuE3ELNS1_3repE0EEENS1_30default_config_static_selectorELNS0_4arch9wavefront6targetE0EEEvSL_,"axG",@progbits,_ZN7rocprim17ROCPRIM_400000_NS6detail17trampoline_kernelINS0_14default_configENS1_36segmented_radix_sort_config_selectorI6__halflEEZNS1_25segmented_radix_sort_implIS3_Lb1EPKS5_PS5_PKlPlN2at6native12_GLOBAL__N_18offset_tEEE10hipError_tPvRmT1_PNSt15iterator_traitsISL_E10value_typeET2_T3_PNSM_ISR_E10value_typeET4_jRbjT5_SX_jjP12ihipStream_tbEUlT_E2_NS1_11comp_targetILNS1_3genE9ELNS1_11target_archE1100ELNS1_3gpuE3ELNS1_3repE0EEENS1_30default_config_static_selectorELNS0_4arch9wavefront6targetE0EEEvSL_,comdat
	.globl	_ZN7rocprim17ROCPRIM_400000_NS6detail17trampoline_kernelINS0_14default_configENS1_36segmented_radix_sort_config_selectorI6__halflEEZNS1_25segmented_radix_sort_implIS3_Lb1EPKS5_PS5_PKlPlN2at6native12_GLOBAL__N_18offset_tEEE10hipError_tPvRmT1_PNSt15iterator_traitsISL_E10value_typeET2_T3_PNSM_ISR_E10value_typeET4_jRbjT5_SX_jjP12ihipStream_tbEUlT_E2_NS1_11comp_targetILNS1_3genE9ELNS1_11target_archE1100ELNS1_3gpuE3ELNS1_3repE0EEENS1_30default_config_static_selectorELNS0_4arch9wavefront6targetE0EEEvSL_ ; -- Begin function _ZN7rocprim17ROCPRIM_400000_NS6detail17trampoline_kernelINS0_14default_configENS1_36segmented_radix_sort_config_selectorI6__halflEEZNS1_25segmented_radix_sort_implIS3_Lb1EPKS5_PS5_PKlPlN2at6native12_GLOBAL__N_18offset_tEEE10hipError_tPvRmT1_PNSt15iterator_traitsISL_E10value_typeET2_T3_PNSM_ISR_E10value_typeET4_jRbjT5_SX_jjP12ihipStream_tbEUlT_E2_NS1_11comp_targetILNS1_3genE9ELNS1_11target_archE1100ELNS1_3gpuE3ELNS1_3repE0EEENS1_30default_config_static_selectorELNS0_4arch9wavefront6targetE0EEEvSL_
	.p2align	8
	.type	_ZN7rocprim17ROCPRIM_400000_NS6detail17trampoline_kernelINS0_14default_configENS1_36segmented_radix_sort_config_selectorI6__halflEEZNS1_25segmented_radix_sort_implIS3_Lb1EPKS5_PS5_PKlPlN2at6native12_GLOBAL__N_18offset_tEEE10hipError_tPvRmT1_PNSt15iterator_traitsISL_E10value_typeET2_T3_PNSM_ISR_E10value_typeET4_jRbjT5_SX_jjP12ihipStream_tbEUlT_E2_NS1_11comp_targetILNS1_3genE9ELNS1_11target_archE1100ELNS1_3gpuE3ELNS1_3repE0EEENS1_30default_config_static_selectorELNS0_4arch9wavefront6targetE0EEEvSL_,@function
_ZN7rocprim17ROCPRIM_400000_NS6detail17trampoline_kernelINS0_14default_configENS1_36segmented_radix_sort_config_selectorI6__halflEEZNS1_25segmented_radix_sort_implIS3_Lb1EPKS5_PS5_PKlPlN2at6native12_GLOBAL__N_18offset_tEEE10hipError_tPvRmT1_PNSt15iterator_traitsISL_E10value_typeET2_T3_PNSM_ISR_E10value_typeET4_jRbjT5_SX_jjP12ihipStream_tbEUlT_E2_NS1_11comp_targetILNS1_3genE9ELNS1_11target_archE1100ELNS1_3gpuE3ELNS1_3repE0EEENS1_30default_config_static_selectorELNS0_4arch9wavefront6targetE0EEEvSL_: ; @_ZN7rocprim17ROCPRIM_400000_NS6detail17trampoline_kernelINS0_14default_configENS1_36segmented_radix_sort_config_selectorI6__halflEEZNS1_25segmented_radix_sort_implIS3_Lb1EPKS5_PS5_PKlPlN2at6native12_GLOBAL__N_18offset_tEEE10hipError_tPvRmT1_PNSt15iterator_traitsISL_E10value_typeET2_T3_PNSM_ISR_E10value_typeET4_jRbjT5_SX_jjP12ihipStream_tbEUlT_E2_NS1_11comp_targetILNS1_3genE9ELNS1_11target_archE1100ELNS1_3gpuE3ELNS1_3repE0EEENS1_30default_config_static_selectorELNS0_4arch9wavefront6targetE0EEEvSL_
; %bb.0:
	.section	.rodata,"a",@progbits
	.p2align	6, 0x0
	.amdhsa_kernel _ZN7rocprim17ROCPRIM_400000_NS6detail17trampoline_kernelINS0_14default_configENS1_36segmented_radix_sort_config_selectorI6__halflEEZNS1_25segmented_radix_sort_implIS3_Lb1EPKS5_PS5_PKlPlN2at6native12_GLOBAL__N_18offset_tEEE10hipError_tPvRmT1_PNSt15iterator_traitsISL_E10value_typeET2_T3_PNSM_ISR_E10value_typeET4_jRbjT5_SX_jjP12ihipStream_tbEUlT_E2_NS1_11comp_targetILNS1_3genE9ELNS1_11target_archE1100ELNS1_3gpuE3ELNS1_3repE0EEENS1_30default_config_static_selectorELNS0_4arch9wavefront6targetE0EEEvSL_
		.amdhsa_group_segment_fixed_size 0
		.amdhsa_private_segment_fixed_size 0
		.amdhsa_kernarg_size 80
		.amdhsa_user_sgpr_count 2
		.amdhsa_user_sgpr_dispatch_ptr 0
		.amdhsa_user_sgpr_queue_ptr 0
		.amdhsa_user_sgpr_kernarg_segment_ptr 1
		.amdhsa_user_sgpr_dispatch_id 0
		.amdhsa_user_sgpr_kernarg_preload_length 0
		.amdhsa_user_sgpr_kernarg_preload_offset 0
		.amdhsa_user_sgpr_private_segment_size 0
		.amdhsa_wavefront_size32 1
		.amdhsa_uses_dynamic_stack 0
		.amdhsa_enable_private_segment 0
		.amdhsa_system_sgpr_workgroup_id_x 1
		.amdhsa_system_sgpr_workgroup_id_y 0
		.amdhsa_system_sgpr_workgroup_id_z 0
		.amdhsa_system_sgpr_workgroup_info 0
		.amdhsa_system_vgpr_workitem_id 0
		.amdhsa_next_free_vgpr 1
		.amdhsa_next_free_sgpr 1
		.amdhsa_named_barrier_count 0
		.amdhsa_reserve_vcc 0
		.amdhsa_float_round_mode_32 0
		.amdhsa_float_round_mode_16_64 0
		.amdhsa_float_denorm_mode_32 3
		.amdhsa_float_denorm_mode_16_64 3
		.amdhsa_fp16_overflow 0
		.amdhsa_memory_ordered 1
		.amdhsa_forward_progress 1
		.amdhsa_inst_pref_size 0
		.amdhsa_round_robin_scheduling 0
		.amdhsa_exception_fp_ieee_invalid_op 0
		.amdhsa_exception_fp_denorm_src 0
		.amdhsa_exception_fp_ieee_div_zero 0
		.amdhsa_exception_fp_ieee_overflow 0
		.amdhsa_exception_fp_ieee_underflow 0
		.amdhsa_exception_fp_ieee_inexact 0
		.amdhsa_exception_int_div_zero 0
	.end_amdhsa_kernel
	.section	.text._ZN7rocprim17ROCPRIM_400000_NS6detail17trampoline_kernelINS0_14default_configENS1_36segmented_radix_sort_config_selectorI6__halflEEZNS1_25segmented_radix_sort_implIS3_Lb1EPKS5_PS5_PKlPlN2at6native12_GLOBAL__N_18offset_tEEE10hipError_tPvRmT1_PNSt15iterator_traitsISL_E10value_typeET2_T3_PNSM_ISR_E10value_typeET4_jRbjT5_SX_jjP12ihipStream_tbEUlT_E2_NS1_11comp_targetILNS1_3genE9ELNS1_11target_archE1100ELNS1_3gpuE3ELNS1_3repE0EEENS1_30default_config_static_selectorELNS0_4arch9wavefront6targetE0EEEvSL_,"axG",@progbits,_ZN7rocprim17ROCPRIM_400000_NS6detail17trampoline_kernelINS0_14default_configENS1_36segmented_radix_sort_config_selectorI6__halflEEZNS1_25segmented_radix_sort_implIS3_Lb1EPKS5_PS5_PKlPlN2at6native12_GLOBAL__N_18offset_tEEE10hipError_tPvRmT1_PNSt15iterator_traitsISL_E10value_typeET2_T3_PNSM_ISR_E10value_typeET4_jRbjT5_SX_jjP12ihipStream_tbEUlT_E2_NS1_11comp_targetILNS1_3genE9ELNS1_11target_archE1100ELNS1_3gpuE3ELNS1_3repE0EEENS1_30default_config_static_selectorELNS0_4arch9wavefront6targetE0EEEvSL_,comdat
.Lfunc_end1766:
	.size	_ZN7rocprim17ROCPRIM_400000_NS6detail17trampoline_kernelINS0_14default_configENS1_36segmented_radix_sort_config_selectorI6__halflEEZNS1_25segmented_radix_sort_implIS3_Lb1EPKS5_PS5_PKlPlN2at6native12_GLOBAL__N_18offset_tEEE10hipError_tPvRmT1_PNSt15iterator_traitsISL_E10value_typeET2_T3_PNSM_ISR_E10value_typeET4_jRbjT5_SX_jjP12ihipStream_tbEUlT_E2_NS1_11comp_targetILNS1_3genE9ELNS1_11target_archE1100ELNS1_3gpuE3ELNS1_3repE0EEENS1_30default_config_static_selectorELNS0_4arch9wavefront6targetE0EEEvSL_, .Lfunc_end1766-_ZN7rocprim17ROCPRIM_400000_NS6detail17trampoline_kernelINS0_14default_configENS1_36segmented_radix_sort_config_selectorI6__halflEEZNS1_25segmented_radix_sort_implIS3_Lb1EPKS5_PS5_PKlPlN2at6native12_GLOBAL__N_18offset_tEEE10hipError_tPvRmT1_PNSt15iterator_traitsISL_E10value_typeET2_T3_PNSM_ISR_E10value_typeET4_jRbjT5_SX_jjP12ihipStream_tbEUlT_E2_NS1_11comp_targetILNS1_3genE9ELNS1_11target_archE1100ELNS1_3gpuE3ELNS1_3repE0EEENS1_30default_config_static_selectorELNS0_4arch9wavefront6targetE0EEEvSL_
                                        ; -- End function
	.set _ZN7rocprim17ROCPRIM_400000_NS6detail17trampoline_kernelINS0_14default_configENS1_36segmented_radix_sort_config_selectorI6__halflEEZNS1_25segmented_radix_sort_implIS3_Lb1EPKS5_PS5_PKlPlN2at6native12_GLOBAL__N_18offset_tEEE10hipError_tPvRmT1_PNSt15iterator_traitsISL_E10value_typeET2_T3_PNSM_ISR_E10value_typeET4_jRbjT5_SX_jjP12ihipStream_tbEUlT_E2_NS1_11comp_targetILNS1_3genE9ELNS1_11target_archE1100ELNS1_3gpuE3ELNS1_3repE0EEENS1_30default_config_static_selectorELNS0_4arch9wavefront6targetE0EEEvSL_.num_vgpr, 0
	.set _ZN7rocprim17ROCPRIM_400000_NS6detail17trampoline_kernelINS0_14default_configENS1_36segmented_radix_sort_config_selectorI6__halflEEZNS1_25segmented_radix_sort_implIS3_Lb1EPKS5_PS5_PKlPlN2at6native12_GLOBAL__N_18offset_tEEE10hipError_tPvRmT1_PNSt15iterator_traitsISL_E10value_typeET2_T3_PNSM_ISR_E10value_typeET4_jRbjT5_SX_jjP12ihipStream_tbEUlT_E2_NS1_11comp_targetILNS1_3genE9ELNS1_11target_archE1100ELNS1_3gpuE3ELNS1_3repE0EEENS1_30default_config_static_selectorELNS0_4arch9wavefront6targetE0EEEvSL_.num_agpr, 0
	.set _ZN7rocprim17ROCPRIM_400000_NS6detail17trampoline_kernelINS0_14default_configENS1_36segmented_radix_sort_config_selectorI6__halflEEZNS1_25segmented_radix_sort_implIS3_Lb1EPKS5_PS5_PKlPlN2at6native12_GLOBAL__N_18offset_tEEE10hipError_tPvRmT1_PNSt15iterator_traitsISL_E10value_typeET2_T3_PNSM_ISR_E10value_typeET4_jRbjT5_SX_jjP12ihipStream_tbEUlT_E2_NS1_11comp_targetILNS1_3genE9ELNS1_11target_archE1100ELNS1_3gpuE3ELNS1_3repE0EEENS1_30default_config_static_selectorELNS0_4arch9wavefront6targetE0EEEvSL_.numbered_sgpr, 0
	.set _ZN7rocprim17ROCPRIM_400000_NS6detail17trampoline_kernelINS0_14default_configENS1_36segmented_radix_sort_config_selectorI6__halflEEZNS1_25segmented_radix_sort_implIS3_Lb1EPKS5_PS5_PKlPlN2at6native12_GLOBAL__N_18offset_tEEE10hipError_tPvRmT1_PNSt15iterator_traitsISL_E10value_typeET2_T3_PNSM_ISR_E10value_typeET4_jRbjT5_SX_jjP12ihipStream_tbEUlT_E2_NS1_11comp_targetILNS1_3genE9ELNS1_11target_archE1100ELNS1_3gpuE3ELNS1_3repE0EEENS1_30default_config_static_selectorELNS0_4arch9wavefront6targetE0EEEvSL_.num_named_barrier, 0
	.set _ZN7rocprim17ROCPRIM_400000_NS6detail17trampoline_kernelINS0_14default_configENS1_36segmented_radix_sort_config_selectorI6__halflEEZNS1_25segmented_radix_sort_implIS3_Lb1EPKS5_PS5_PKlPlN2at6native12_GLOBAL__N_18offset_tEEE10hipError_tPvRmT1_PNSt15iterator_traitsISL_E10value_typeET2_T3_PNSM_ISR_E10value_typeET4_jRbjT5_SX_jjP12ihipStream_tbEUlT_E2_NS1_11comp_targetILNS1_3genE9ELNS1_11target_archE1100ELNS1_3gpuE3ELNS1_3repE0EEENS1_30default_config_static_selectorELNS0_4arch9wavefront6targetE0EEEvSL_.private_seg_size, 0
	.set _ZN7rocprim17ROCPRIM_400000_NS6detail17trampoline_kernelINS0_14default_configENS1_36segmented_radix_sort_config_selectorI6__halflEEZNS1_25segmented_radix_sort_implIS3_Lb1EPKS5_PS5_PKlPlN2at6native12_GLOBAL__N_18offset_tEEE10hipError_tPvRmT1_PNSt15iterator_traitsISL_E10value_typeET2_T3_PNSM_ISR_E10value_typeET4_jRbjT5_SX_jjP12ihipStream_tbEUlT_E2_NS1_11comp_targetILNS1_3genE9ELNS1_11target_archE1100ELNS1_3gpuE3ELNS1_3repE0EEENS1_30default_config_static_selectorELNS0_4arch9wavefront6targetE0EEEvSL_.uses_vcc, 0
	.set _ZN7rocprim17ROCPRIM_400000_NS6detail17trampoline_kernelINS0_14default_configENS1_36segmented_radix_sort_config_selectorI6__halflEEZNS1_25segmented_radix_sort_implIS3_Lb1EPKS5_PS5_PKlPlN2at6native12_GLOBAL__N_18offset_tEEE10hipError_tPvRmT1_PNSt15iterator_traitsISL_E10value_typeET2_T3_PNSM_ISR_E10value_typeET4_jRbjT5_SX_jjP12ihipStream_tbEUlT_E2_NS1_11comp_targetILNS1_3genE9ELNS1_11target_archE1100ELNS1_3gpuE3ELNS1_3repE0EEENS1_30default_config_static_selectorELNS0_4arch9wavefront6targetE0EEEvSL_.uses_flat_scratch, 0
	.set _ZN7rocprim17ROCPRIM_400000_NS6detail17trampoline_kernelINS0_14default_configENS1_36segmented_radix_sort_config_selectorI6__halflEEZNS1_25segmented_radix_sort_implIS3_Lb1EPKS5_PS5_PKlPlN2at6native12_GLOBAL__N_18offset_tEEE10hipError_tPvRmT1_PNSt15iterator_traitsISL_E10value_typeET2_T3_PNSM_ISR_E10value_typeET4_jRbjT5_SX_jjP12ihipStream_tbEUlT_E2_NS1_11comp_targetILNS1_3genE9ELNS1_11target_archE1100ELNS1_3gpuE3ELNS1_3repE0EEENS1_30default_config_static_selectorELNS0_4arch9wavefront6targetE0EEEvSL_.has_dyn_sized_stack, 0
	.set _ZN7rocprim17ROCPRIM_400000_NS6detail17trampoline_kernelINS0_14default_configENS1_36segmented_radix_sort_config_selectorI6__halflEEZNS1_25segmented_radix_sort_implIS3_Lb1EPKS5_PS5_PKlPlN2at6native12_GLOBAL__N_18offset_tEEE10hipError_tPvRmT1_PNSt15iterator_traitsISL_E10value_typeET2_T3_PNSM_ISR_E10value_typeET4_jRbjT5_SX_jjP12ihipStream_tbEUlT_E2_NS1_11comp_targetILNS1_3genE9ELNS1_11target_archE1100ELNS1_3gpuE3ELNS1_3repE0EEENS1_30default_config_static_selectorELNS0_4arch9wavefront6targetE0EEEvSL_.has_recursion, 0
	.set _ZN7rocprim17ROCPRIM_400000_NS6detail17trampoline_kernelINS0_14default_configENS1_36segmented_radix_sort_config_selectorI6__halflEEZNS1_25segmented_radix_sort_implIS3_Lb1EPKS5_PS5_PKlPlN2at6native12_GLOBAL__N_18offset_tEEE10hipError_tPvRmT1_PNSt15iterator_traitsISL_E10value_typeET2_T3_PNSM_ISR_E10value_typeET4_jRbjT5_SX_jjP12ihipStream_tbEUlT_E2_NS1_11comp_targetILNS1_3genE9ELNS1_11target_archE1100ELNS1_3gpuE3ELNS1_3repE0EEENS1_30default_config_static_selectorELNS0_4arch9wavefront6targetE0EEEvSL_.has_indirect_call, 0
	.section	.AMDGPU.csdata,"",@progbits
; Kernel info:
; codeLenInByte = 0
; TotalNumSgprs: 0
; NumVgprs: 0
; ScratchSize: 0
; MemoryBound: 0
; FloatMode: 240
; IeeeMode: 1
; LDSByteSize: 0 bytes/workgroup (compile time only)
; SGPRBlocks: 0
; VGPRBlocks: 0
; NumSGPRsForWavesPerEU: 1
; NumVGPRsForWavesPerEU: 1
; NamedBarCnt: 0
; Occupancy: 16
; WaveLimiterHint : 0
; COMPUTE_PGM_RSRC2:SCRATCH_EN: 0
; COMPUTE_PGM_RSRC2:USER_SGPR: 2
; COMPUTE_PGM_RSRC2:TRAP_HANDLER: 0
; COMPUTE_PGM_RSRC2:TGID_X_EN: 1
; COMPUTE_PGM_RSRC2:TGID_Y_EN: 0
; COMPUTE_PGM_RSRC2:TGID_Z_EN: 0
; COMPUTE_PGM_RSRC2:TIDIG_COMP_CNT: 0
	.section	.text._ZN7rocprim17ROCPRIM_400000_NS6detail17trampoline_kernelINS0_14default_configENS1_36segmented_radix_sort_config_selectorI6__halflEEZNS1_25segmented_radix_sort_implIS3_Lb1EPKS5_PS5_PKlPlN2at6native12_GLOBAL__N_18offset_tEEE10hipError_tPvRmT1_PNSt15iterator_traitsISL_E10value_typeET2_T3_PNSM_ISR_E10value_typeET4_jRbjT5_SX_jjP12ihipStream_tbEUlT_E2_NS1_11comp_targetILNS1_3genE8ELNS1_11target_archE1030ELNS1_3gpuE2ELNS1_3repE0EEENS1_30default_config_static_selectorELNS0_4arch9wavefront6targetE0EEEvSL_,"axG",@progbits,_ZN7rocprim17ROCPRIM_400000_NS6detail17trampoline_kernelINS0_14default_configENS1_36segmented_radix_sort_config_selectorI6__halflEEZNS1_25segmented_radix_sort_implIS3_Lb1EPKS5_PS5_PKlPlN2at6native12_GLOBAL__N_18offset_tEEE10hipError_tPvRmT1_PNSt15iterator_traitsISL_E10value_typeET2_T3_PNSM_ISR_E10value_typeET4_jRbjT5_SX_jjP12ihipStream_tbEUlT_E2_NS1_11comp_targetILNS1_3genE8ELNS1_11target_archE1030ELNS1_3gpuE2ELNS1_3repE0EEENS1_30default_config_static_selectorELNS0_4arch9wavefront6targetE0EEEvSL_,comdat
	.globl	_ZN7rocprim17ROCPRIM_400000_NS6detail17trampoline_kernelINS0_14default_configENS1_36segmented_radix_sort_config_selectorI6__halflEEZNS1_25segmented_radix_sort_implIS3_Lb1EPKS5_PS5_PKlPlN2at6native12_GLOBAL__N_18offset_tEEE10hipError_tPvRmT1_PNSt15iterator_traitsISL_E10value_typeET2_T3_PNSM_ISR_E10value_typeET4_jRbjT5_SX_jjP12ihipStream_tbEUlT_E2_NS1_11comp_targetILNS1_3genE8ELNS1_11target_archE1030ELNS1_3gpuE2ELNS1_3repE0EEENS1_30default_config_static_selectorELNS0_4arch9wavefront6targetE0EEEvSL_ ; -- Begin function _ZN7rocprim17ROCPRIM_400000_NS6detail17trampoline_kernelINS0_14default_configENS1_36segmented_radix_sort_config_selectorI6__halflEEZNS1_25segmented_radix_sort_implIS3_Lb1EPKS5_PS5_PKlPlN2at6native12_GLOBAL__N_18offset_tEEE10hipError_tPvRmT1_PNSt15iterator_traitsISL_E10value_typeET2_T3_PNSM_ISR_E10value_typeET4_jRbjT5_SX_jjP12ihipStream_tbEUlT_E2_NS1_11comp_targetILNS1_3genE8ELNS1_11target_archE1030ELNS1_3gpuE2ELNS1_3repE0EEENS1_30default_config_static_selectorELNS0_4arch9wavefront6targetE0EEEvSL_
	.p2align	8
	.type	_ZN7rocprim17ROCPRIM_400000_NS6detail17trampoline_kernelINS0_14default_configENS1_36segmented_radix_sort_config_selectorI6__halflEEZNS1_25segmented_radix_sort_implIS3_Lb1EPKS5_PS5_PKlPlN2at6native12_GLOBAL__N_18offset_tEEE10hipError_tPvRmT1_PNSt15iterator_traitsISL_E10value_typeET2_T3_PNSM_ISR_E10value_typeET4_jRbjT5_SX_jjP12ihipStream_tbEUlT_E2_NS1_11comp_targetILNS1_3genE8ELNS1_11target_archE1030ELNS1_3gpuE2ELNS1_3repE0EEENS1_30default_config_static_selectorELNS0_4arch9wavefront6targetE0EEEvSL_,@function
_ZN7rocprim17ROCPRIM_400000_NS6detail17trampoline_kernelINS0_14default_configENS1_36segmented_radix_sort_config_selectorI6__halflEEZNS1_25segmented_radix_sort_implIS3_Lb1EPKS5_PS5_PKlPlN2at6native12_GLOBAL__N_18offset_tEEE10hipError_tPvRmT1_PNSt15iterator_traitsISL_E10value_typeET2_T3_PNSM_ISR_E10value_typeET4_jRbjT5_SX_jjP12ihipStream_tbEUlT_E2_NS1_11comp_targetILNS1_3genE8ELNS1_11target_archE1030ELNS1_3gpuE2ELNS1_3repE0EEENS1_30default_config_static_selectorELNS0_4arch9wavefront6targetE0EEEvSL_: ; @_ZN7rocprim17ROCPRIM_400000_NS6detail17trampoline_kernelINS0_14default_configENS1_36segmented_radix_sort_config_selectorI6__halflEEZNS1_25segmented_radix_sort_implIS3_Lb1EPKS5_PS5_PKlPlN2at6native12_GLOBAL__N_18offset_tEEE10hipError_tPvRmT1_PNSt15iterator_traitsISL_E10value_typeET2_T3_PNSM_ISR_E10value_typeET4_jRbjT5_SX_jjP12ihipStream_tbEUlT_E2_NS1_11comp_targetILNS1_3genE8ELNS1_11target_archE1030ELNS1_3gpuE2ELNS1_3repE0EEENS1_30default_config_static_selectorELNS0_4arch9wavefront6targetE0EEEvSL_
; %bb.0:
	.section	.rodata,"a",@progbits
	.p2align	6, 0x0
	.amdhsa_kernel _ZN7rocprim17ROCPRIM_400000_NS6detail17trampoline_kernelINS0_14default_configENS1_36segmented_radix_sort_config_selectorI6__halflEEZNS1_25segmented_radix_sort_implIS3_Lb1EPKS5_PS5_PKlPlN2at6native12_GLOBAL__N_18offset_tEEE10hipError_tPvRmT1_PNSt15iterator_traitsISL_E10value_typeET2_T3_PNSM_ISR_E10value_typeET4_jRbjT5_SX_jjP12ihipStream_tbEUlT_E2_NS1_11comp_targetILNS1_3genE8ELNS1_11target_archE1030ELNS1_3gpuE2ELNS1_3repE0EEENS1_30default_config_static_selectorELNS0_4arch9wavefront6targetE0EEEvSL_
		.amdhsa_group_segment_fixed_size 0
		.amdhsa_private_segment_fixed_size 0
		.amdhsa_kernarg_size 80
		.amdhsa_user_sgpr_count 2
		.amdhsa_user_sgpr_dispatch_ptr 0
		.amdhsa_user_sgpr_queue_ptr 0
		.amdhsa_user_sgpr_kernarg_segment_ptr 1
		.amdhsa_user_sgpr_dispatch_id 0
		.amdhsa_user_sgpr_kernarg_preload_length 0
		.amdhsa_user_sgpr_kernarg_preload_offset 0
		.amdhsa_user_sgpr_private_segment_size 0
		.amdhsa_wavefront_size32 1
		.amdhsa_uses_dynamic_stack 0
		.amdhsa_enable_private_segment 0
		.amdhsa_system_sgpr_workgroup_id_x 1
		.amdhsa_system_sgpr_workgroup_id_y 0
		.amdhsa_system_sgpr_workgroup_id_z 0
		.amdhsa_system_sgpr_workgroup_info 0
		.amdhsa_system_vgpr_workitem_id 0
		.amdhsa_next_free_vgpr 1
		.amdhsa_next_free_sgpr 1
		.amdhsa_named_barrier_count 0
		.amdhsa_reserve_vcc 0
		.amdhsa_float_round_mode_32 0
		.amdhsa_float_round_mode_16_64 0
		.amdhsa_float_denorm_mode_32 3
		.amdhsa_float_denorm_mode_16_64 3
		.amdhsa_fp16_overflow 0
		.amdhsa_memory_ordered 1
		.amdhsa_forward_progress 1
		.amdhsa_inst_pref_size 0
		.amdhsa_round_robin_scheduling 0
		.amdhsa_exception_fp_ieee_invalid_op 0
		.amdhsa_exception_fp_denorm_src 0
		.amdhsa_exception_fp_ieee_div_zero 0
		.amdhsa_exception_fp_ieee_overflow 0
		.amdhsa_exception_fp_ieee_underflow 0
		.amdhsa_exception_fp_ieee_inexact 0
		.amdhsa_exception_int_div_zero 0
	.end_amdhsa_kernel
	.section	.text._ZN7rocprim17ROCPRIM_400000_NS6detail17trampoline_kernelINS0_14default_configENS1_36segmented_radix_sort_config_selectorI6__halflEEZNS1_25segmented_radix_sort_implIS3_Lb1EPKS5_PS5_PKlPlN2at6native12_GLOBAL__N_18offset_tEEE10hipError_tPvRmT1_PNSt15iterator_traitsISL_E10value_typeET2_T3_PNSM_ISR_E10value_typeET4_jRbjT5_SX_jjP12ihipStream_tbEUlT_E2_NS1_11comp_targetILNS1_3genE8ELNS1_11target_archE1030ELNS1_3gpuE2ELNS1_3repE0EEENS1_30default_config_static_selectorELNS0_4arch9wavefront6targetE0EEEvSL_,"axG",@progbits,_ZN7rocprim17ROCPRIM_400000_NS6detail17trampoline_kernelINS0_14default_configENS1_36segmented_radix_sort_config_selectorI6__halflEEZNS1_25segmented_radix_sort_implIS3_Lb1EPKS5_PS5_PKlPlN2at6native12_GLOBAL__N_18offset_tEEE10hipError_tPvRmT1_PNSt15iterator_traitsISL_E10value_typeET2_T3_PNSM_ISR_E10value_typeET4_jRbjT5_SX_jjP12ihipStream_tbEUlT_E2_NS1_11comp_targetILNS1_3genE8ELNS1_11target_archE1030ELNS1_3gpuE2ELNS1_3repE0EEENS1_30default_config_static_selectorELNS0_4arch9wavefront6targetE0EEEvSL_,comdat
.Lfunc_end1767:
	.size	_ZN7rocprim17ROCPRIM_400000_NS6detail17trampoline_kernelINS0_14default_configENS1_36segmented_radix_sort_config_selectorI6__halflEEZNS1_25segmented_radix_sort_implIS3_Lb1EPKS5_PS5_PKlPlN2at6native12_GLOBAL__N_18offset_tEEE10hipError_tPvRmT1_PNSt15iterator_traitsISL_E10value_typeET2_T3_PNSM_ISR_E10value_typeET4_jRbjT5_SX_jjP12ihipStream_tbEUlT_E2_NS1_11comp_targetILNS1_3genE8ELNS1_11target_archE1030ELNS1_3gpuE2ELNS1_3repE0EEENS1_30default_config_static_selectorELNS0_4arch9wavefront6targetE0EEEvSL_, .Lfunc_end1767-_ZN7rocprim17ROCPRIM_400000_NS6detail17trampoline_kernelINS0_14default_configENS1_36segmented_radix_sort_config_selectorI6__halflEEZNS1_25segmented_radix_sort_implIS3_Lb1EPKS5_PS5_PKlPlN2at6native12_GLOBAL__N_18offset_tEEE10hipError_tPvRmT1_PNSt15iterator_traitsISL_E10value_typeET2_T3_PNSM_ISR_E10value_typeET4_jRbjT5_SX_jjP12ihipStream_tbEUlT_E2_NS1_11comp_targetILNS1_3genE8ELNS1_11target_archE1030ELNS1_3gpuE2ELNS1_3repE0EEENS1_30default_config_static_selectorELNS0_4arch9wavefront6targetE0EEEvSL_
                                        ; -- End function
	.set _ZN7rocprim17ROCPRIM_400000_NS6detail17trampoline_kernelINS0_14default_configENS1_36segmented_radix_sort_config_selectorI6__halflEEZNS1_25segmented_radix_sort_implIS3_Lb1EPKS5_PS5_PKlPlN2at6native12_GLOBAL__N_18offset_tEEE10hipError_tPvRmT1_PNSt15iterator_traitsISL_E10value_typeET2_T3_PNSM_ISR_E10value_typeET4_jRbjT5_SX_jjP12ihipStream_tbEUlT_E2_NS1_11comp_targetILNS1_3genE8ELNS1_11target_archE1030ELNS1_3gpuE2ELNS1_3repE0EEENS1_30default_config_static_selectorELNS0_4arch9wavefront6targetE0EEEvSL_.num_vgpr, 0
	.set _ZN7rocprim17ROCPRIM_400000_NS6detail17trampoline_kernelINS0_14default_configENS1_36segmented_radix_sort_config_selectorI6__halflEEZNS1_25segmented_radix_sort_implIS3_Lb1EPKS5_PS5_PKlPlN2at6native12_GLOBAL__N_18offset_tEEE10hipError_tPvRmT1_PNSt15iterator_traitsISL_E10value_typeET2_T3_PNSM_ISR_E10value_typeET4_jRbjT5_SX_jjP12ihipStream_tbEUlT_E2_NS1_11comp_targetILNS1_3genE8ELNS1_11target_archE1030ELNS1_3gpuE2ELNS1_3repE0EEENS1_30default_config_static_selectorELNS0_4arch9wavefront6targetE0EEEvSL_.num_agpr, 0
	.set _ZN7rocprim17ROCPRIM_400000_NS6detail17trampoline_kernelINS0_14default_configENS1_36segmented_radix_sort_config_selectorI6__halflEEZNS1_25segmented_radix_sort_implIS3_Lb1EPKS5_PS5_PKlPlN2at6native12_GLOBAL__N_18offset_tEEE10hipError_tPvRmT1_PNSt15iterator_traitsISL_E10value_typeET2_T3_PNSM_ISR_E10value_typeET4_jRbjT5_SX_jjP12ihipStream_tbEUlT_E2_NS1_11comp_targetILNS1_3genE8ELNS1_11target_archE1030ELNS1_3gpuE2ELNS1_3repE0EEENS1_30default_config_static_selectorELNS0_4arch9wavefront6targetE0EEEvSL_.numbered_sgpr, 0
	.set _ZN7rocprim17ROCPRIM_400000_NS6detail17trampoline_kernelINS0_14default_configENS1_36segmented_radix_sort_config_selectorI6__halflEEZNS1_25segmented_radix_sort_implIS3_Lb1EPKS5_PS5_PKlPlN2at6native12_GLOBAL__N_18offset_tEEE10hipError_tPvRmT1_PNSt15iterator_traitsISL_E10value_typeET2_T3_PNSM_ISR_E10value_typeET4_jRbjT5_SX_jjP12ihipStream_tbEUlT_E2_NS1_11comp_targetILNS1_3genE8ELNS1_11target_archE1030ELNS1_3gpuE2ELNS1_3repE0EEENS1_30default_config_static_selectorELNS0_4arch9wavefront6targetE0EEEvSL_.num_named_barrier, 0
	.set _ZN7rocprim17ROCPRIM_400000_NS6detail17trampoline_kernelINS0_14default_configENS1_36segmented_radix_sort_config_selectorI6__halflEEZNS1_25segmented_radix_sort_implIS3_Lb1EPKS5_PS5_PKlPlN2at6native12_GLOBAL__N_18offset_tEEE10hipError_tPvRmT1_PNSt15iterator_traitsISL_E10value_typeET2_T3_PNSM_ISR_E10value_typeET4_jRbjT5_SX_jjP12ihipStream_tbEUlT_E2_NS1_11comp_targetILNS1_3genE8ELNS1_11target_archE1030ELNS1_3gpuE2ELNS1_3repE0EEENS1_30default_config_static_selectorELNS0_4arch9wavefront6targetE0EEEvSL_.private_seg_size, 0
	.set _ZN7rocprim17ROCPRIM_400000_NS6detail17trampoline_kernelINS0_14default_configENS1_36segmented_radix_sort_config_selectorI6__halflEEZNS1_25segmented_radix_sort_implIS3_Lb1EPKS5_PS5_PKlPlN2at6native12_GLOBAL__N_18offset_tEEE10hipError_tPvRmT1_PNSt15iterator_traitsISL_E10value_typeET2_T3_PNSM_ISR_E10value_typeET4_jRbjT5_SX_jjP12ihipStream_tbEUlT_E2_NS1_11comp_targetILNS1_3genE8ELNS1_11target_archE1030ELNS1_3gpuE2ELNS1_3repE0EEENS1_30default_config_static_selectorELNS0_4arch9wavefront6targetE0EEEvSL_.uses_vcc, 0
	.set _ZN7rocprim17ROCPRIM_400000_NS6detail17trampoline_kernelINS0_14default_configENS1_36segmented_radix_sort_config_selectorI6__halflEEZNS1_25segmented_radix_sort_implIS3_Lb1EPKS5_PS5_PKlPlN2at6native12_GLOBAL__N_18offset_tEEE10hipError_tPvRmT1_PNSt15iterator_traitsISL_E10value_typeET2_T3_PNSM_ISR_E10value_typeET4_jRbjT5_SX_jjP12ihipStream_tbEUlT_E2_NS1_11comp_targetILNS1_3genE8ELNS1_11target_archE1030ELNS1_3gpuE2ELNS1_3repE0EEENS1_30default_config_static_selectorELNS0_4arch9wavefront6targetE0EEEvSL_.uses_flat_scratch, 0
	.set _ZN7rocprim17ROCPRIM_400000_NS6detail17trampoline_kernelINS0_14default_configENS1_36segmented_radix_sort_config_selectorI6__halflEEZNS1_25segmented_radix_sort_implIS3_Lb1EPKS5_PS5_PKlPlN2at6native12_GLOBAL__N_18offset_tEEE10hipError_tPvRmT1_PNSt15iterator_traitsISL_E10value_typeET2_T3_PNSM_ISR_E10value_typeET4_jRbjT5_SX_jjP12ihipStream_tbEUlT_E2_NS1_11comp_targetILNS1_3genE8ELNS1_11target_archE1030ELNS1_3gpuE2ELNS1_3repE0EEENS1_30default_config_static_selectorELNS0_4arch9wavefront6targetE0EEEvSL_.has_dyn_sized_stack, 0
	.set _ZN7rocprim17ROCPRIM_400000_NS6detail17trampoline_kernelINS0_14default_configENS1_36segmented_radix_sort_config_selectorI6__halflEEZNS1_25segmented_radix_sort_implIS3_Lb1EPKS5_PS5_PKlPlN2at6native12_GLOBAL__N_18offset_tEEE10hipError_tPvRmT1_PNSt15iterator_traitsISL_E10value_typeET2_T3_PNSM_ISR_E10value_typeET4_jRbjT5_SX_jjP12ihipStream_tbEUlT_E2_NS1_11comp_targetILNS1_3genE8ELNS1_11target_archE1030ELNS1_3gpuE2ELNS1_3repE0EEENS1_30default_config_static_selectorELNS0_4arch9wavefront6targetE0EEEvSL_.has_recursion, 0
	.set _ZN7rocprim17ROCPRIM_400000_NS6detail17trampoline_kernelINS0_14default_configENS1_36segmented_radix_sort_config_selectorI6__halflEEZNS1_25segmented_radix_sort_implIS3_Lb1EPKS5_PS5_PKlPlN2at6native12_GLOBAL__N_18offset_tEEE10hipError_tPvRmT1_PNSt15iterator_traitsISL_E10value_typeET2_T3_PNSM_ISR_E10value_typeET4_jRbjT5_SX_jjP12ihipStream_tbEUlT_E2_NS1_11comp_targetILNS1_3genE8ELNS1_11target_archE1030ELNS1_3gpuE2ELNS1_3repE0EEENS1_30default_config_static_selectorELNS0_4arch9wavefront6targetE0EEEvSL_.has_indirect_call, 0
	.section	.AMDGPU.csdata,"",@progbits
; Kernel info:
; codeLenInByte = 0
; TotalNumSgprs: 0
; NumVgprs: 0
; ScratchSize: 0
; MemoryBound: 0
; FloatMode: 240
; IeeeMode: 1
; LDSByteSize: 0 bytes/workgroup (compile time only)
; SGPRBlocks: 0
; VGPRBlocks: 0
; NumSGPRsForWavesPerEU: 1
; NumVGPRsForWavesPerEU: 1
; NamedBarCnt: 0
; Occupancy: 16
; WaveLimiterHint : 0
; COMPUTE_PGM_RSRC2:SCRATCH_EN: 0
; COMPUTE_PGM_RSRC2:USER_SGPR: 2
; COMPUTE_PGM_RSRC2:TRAP_HANDLER: 0
; COMPUTE_PGM_RSRC2:TGID_X_EN: 1
; COMPUTE_PGM_RSRC2:TGID_Y_EN: 0
; COMPUTE_PGM_RSRC2:TGID_Z_EN: 0
; COMPUTE_PGM_RSRC2:TIDIG_COMP_CNT: 0
	.section	.text._ZN7rocprim17ROCPRIM_400000_NS6detail17trampoline_kernelINS0_13select_configILj256ELj13ELNS0_17block_load_methodE3ELS4_3ELS4_3ELNS0_20block_scan_algorithmE0ELj4294967295EEENS1_25partition_config_selectorILNS1_17partition_subalgoE4EjNS0_10empty_typeEbEEZZNS1_14partition_implILS8_4ELb0ES6_15HIP_vector_typeIjLj2EENS0_17counting_iteratorIjlEEPS9_SG_NS0_5tupleIJPjSI_NS0_16reverse_iteratorISI_EEEEENSH_IJSG_SG_SG_EEES9_SI_JZNS1_25segmented_radix_sort_implINS0_14default_configELb0EPK6__halfPSP_PKlPlN2at6native12_GLOBAL__N_18offset_tEEE10hipError_tPvRmT1_PNSt15iterator_traitsIS13_E10value_typeET2_T3_PNS14_IS19_E10value_typeET4_jRbjT5_S1F_jjP12ihipStream_tbEUljE_ZNSN_ISO_Lb0ESR_SS_SU_SV_SZ_EES10_S11_S12_S13_S17_S18_S19_S1C_S1D_jS1E_jS1F_S1F_jjS1H_bEUljE0_EEES10_S11_S12_S19_S1D_S1F_T6_T7_T9_mT8_S1H_bDpT10_ENKUlT_T0_E_clISt17integral_constantIbLb0EES1V_EEDaS1Q_S1R_EUlS1Q_E_NS1_11comp_targetILNS1_3genE0ELNS1_11target_archE4294967295ELNS1_3gpuE0ELNS1_3repE0EEENS1_30default_config_static_selectorELNS0_4arch9wavefront6targetE0EEEvS13_,"axG",@progbits,_ZN7rocprim17ROCPRIM_400000_NS6detail17trampoline_kernelINS0_13select_configILj256ELj13ELNS0_17block_load_methodE3ELS4_3ELS4_3ELNS0_20block_scan_algorithmE0ELj4294967295EEENS1_25partition_config_selectorILNS1_17partition_subalgoE4EjNS0_10empty_typeEbEEZZNS1_14partition_implILS8_4ELb0ES6_15HIP_vector_typeIjLj2EENS0_17counting_iteratorIjlEEPS9_SG_NS0_5tupleIJPjSI_NS0_16reverse_iteratorISI_EEEEENSH_IJSG_SG_SG_EEES9_SI_JZNS1_25segmented_radix_sort_implINS0_14default_configELb0EPK6__halfPSP_PKlPlN2at6native12_GLOBAL__N_18offset_tEEE10hipError_tPvRmT1_PNSt15iterator_traitsIS13_E10value_typeET2_T3_PNS14_IS19_E10value_typeET4_jRbjT5_S1F_jjP12ihipStream_tbEUljE_ZNSN_ISO_Lb0ESR_SS_SU_SV_SZ_EES10_S11_S12_S13_S17_S18_S19_S1C_S1D_jS1E_jS1F_S1F_jjS1H_bEUljE0_EEES10_S11_S12_S19_S1D_S1F_T6_T7_T9_mT8_S1H_bDpT10_ENKUlT_T0_E_clISt17integral_constantIbLb0EES1V_EEDaS1Q_S1R_EUlS1Q_E_NS1_11comp_targetILNS1_3genE0ELNS1_11target_archE4294967295ELNS1_3gpuE0ELNS1_3repE0EEENS1_30default_config_static_selectorELNS0_4arch9wavefront6targetE0EEEvS13_,comdat
	.globl	_ZN7rocprim17ROCPRIM_400000_NS6detail17trampoline_kernelINS0_13select_configILj256ELj13ELNS0_17block_load_methodE3ELS4_3ELS4_3ELNS0_20block_scan_algorithmE0ELj4294967295EEENS1_25partition_config_selectorILNS1_17partition_subalgoE4EjNS0_10empty_typeEbEEZZNS1_14partition_implILS8_4ELb0ES6_15HIP_vector_typeIjLj2EENS0_17counting_iteratorIjlEEPS9_SG_NS0_5tupleIJPjSI_NS0_16reverse_iteratorISI_EEEEENSH_IJSG_SG_SG_EEES9_SI_JZNS1_25segmented_radix_sort_implINS0_14default_configELb0EPK6__halfPSP_PKlPlN2at6native12_GLOBAL__N_18offset_tEEE10hipError_tPvRmT1_PNSt15iterator_traitsIS13_E10value_typeET2_T3_PNS14_IS19_E10value_typeET4_jRbjT5_S1F_jjP12ihipStream_tbEUljE_ZNSN_ISO_Lb0ESR_SS_SU_SV_SZ_EES10_S11_S12_S13_S17_S18_S19_S1C_S1D_jS1E_jS1F_S1F_jjS1H_bEUljE0_EEES10_S11_S12_S19_S1D_S1F_T6_T7_T9_mT8_S1H_bDpT10_ENKUlT_T0_E_clISt17integral_constantIbLb0EES1V_EEDaS1Q_S1R_EUlS1Q_E_NS1_11comp_targetILNS1_3genE0ELNS1_11target_archE4294967295ELNS1_3gpuE0ELNS1_3repE0EEENS1_30default_config_static_selectorELNS0_4arch9wavefront6targetE0EEEvS13_ ; -- Begin function _ZN7rocprim17ROCPRIM_400000_NS6detail17trampoline_kernelINS0_13select_configILj256ELj13ELNS0_17block_load_methodE3ELS4_3ELS4_3ELNS0_20block_scan_algorithmE0ELj4294967295EEENS1_25partition_config_selectorILNS1_17partition_subalgoE4EjNS0_10empty_typeEbEEZZNS1_14partition_implILS8_4ELb0ES6_15HIP_vector_typeIjLj2EENS0_17counting_iteratorIjlEEPS9_SG_NS0_5tupleIJPjSI_NS0_16reverse_iteratorISI_EEEEENSH_IJSG_SG_SG_EEES9_SI_JZNS1_25segmented_radix_sort_implINS0_14default_configELb0EPK6__halfPSP_PKlPlN2at6native12_GLOBAL__N_18offset_tEEE10hipError_tPvRmT1_PNSt15iterator_traitsIS13_E10value_typeET2_T3_PNS14_IS19_E10value_typeET4_jRbjT5_S1F_jjP12ihipStream_tbEUljE_ZNSN_ISO_Lb0ESR_SS_SU_SV_SZ_EES10_S11_S12_S13_S17_S18_S19_S1C_S1D_jS1E_jS1F_S1F_jjS1H_bEUljE0_EEES10_S11_S12_S19_S1D_S1F_T6_T7_T9_mT8_S1H_bDpT10_ENKUlT_T0_E_clISt17integral_constantIbLb0EES1V_EEDaS1Q_S1R_EUlS1Q_E_NS1_11comp_targetILNS1_3genE0ELNS1_11target_archE4294967295ELNS1_3gpuE0ELNS1_3repE0EEENS1_30default_config_static_selectorELNS0_4arch9wavefront6targetE0EEEvS13_
	.p2align	8
	.type	_ZN7rocprim17ROCPRIM_400000_NS6detail17trampoline_kernelINS0_13select_configILj256ELj13ELNS0_17block_load_methodE3ELS4_3ELS4_3ELNS0_20block_scan_algorithmE0ELj4294967295EEENS1_25partition_config_selectorILNS1_17partition_subalgoE4EjNS0_10empty_typeEbEEZZNS1_14partition_implILS8_4ELb0ES6_15HIP_vector_typeIjLj2EENS0_17counting_iteratorIjlEEPS9_SG_NS0_5tupleIJPjSI_NS0_16reverse_iteratorISI_EEEEENSH_IJSG_SG_SG_EEES9_SI_JZNS1_25segmented_radix_sort_implINS0_14default_configELb0EPK6__halfPSP_PKlPlN2at6native12_GLOBAL__N_18offset_tEEE10hipError_tPvRmT1_PNSt15iterator_traitsIS13_E10value_typeET2_T3_PNS14_IS19_E10value_typeET4_jRbjT5_S1F_jjP12ihipStream_tbEUljE_ZNSN_ISO_Lb0ESR_SS_SU_SV_SZ_EES10_S11_S12_S13_S17_S18_S19_S1C_S1D_jS1E_jS1F_S1F_jjS1H_bEUljE0_EEES10_S11_S12_S19_S1D_S1F_T6_T7_T9_mT8_S1H_bDpT10_ENKUlT_T0_E_clISt17integral_constantIbLb0EES1V_EEDaS1Q_S1R_EUlS1Q_E_NS1_11comp_targetILNS1_3genE0ELNS1_11target_archE4294967295ELNS1_3gpuE0ELNS1_3repE0EEENS1_30default_config_static_selectorELNS0_4arch9wavefront6targetE0EEEvS13_,@function
_ZN7rocprim17ROCPRIM_400000_NS6detail17trampoline_kernelINS0_13select_configILj256ELj13ELNS0_17block_load_methodE3ELS4_3ELS4_3ELNS0_20block_scan_algorithmE0ELj4294967295EEENS1_25partition_config_selectorILNS1_17partition_subalgoE4EjNS0_10empty_typeEbEEZZNS1_14partition_implILS8_4ELb0ES6_15HIP_vector_typeIjLj2EENS0_17counting_iteratorIjlEEPS9_SG_NS0_5tupleIJPjSI_NS0_16reverse_iteratorISI_EEEEENSH_IJSG_SG_SG_EEES9_SI_JZNS1_25segmented_radix_sort_implINS0_14default_configELb0EPK6__halfPSP_PKlPlN2at6native12_GLOBAL__N_18offset_tEEE10hipError_tPvRmT1_PNSt15iterator_traitsIS13_E10value_typeET2_T3_PNS14_IS19_E10value_typeET4_jRbjT5_S1F_jjP12ihipStream_tbEUljE_ZNSN_ISO_Lb0ESR_SS_SU_SV_SZ_EES10_S11_S12_S13_S17_S18_S19_S1C_S1D_jS1E_jS1F_S1F_jjS1H_bEUljE0_EEES10_S11_S12_S19_S1D_S1F_T6_T7_T9_mT8_S1H_bDpT10_ENKUlT_T0_E_clISt17integral_constantIbLb0EES1V_EEDaS1Q_S1R_EUlS1Q_E_NS1_11comp_targetILNS1_3genE0ELNS1_11target_archE4294967295ELNS1_3gpuE0ELNS1_3repE0EEENS1_30default_config_static_selectorELNS0_4arch9wavefront6targetE0EEEvS13_: ; @_ZN7rocprim17ROCPRIM_400000_NS6detail17trampoline_kernelINS0_13select_configILj256ELj13ELNS0_17block_load_methodE3ELS4_3ELS4_3ELNS0_20block_scan_algorithmE0ELj4294967295EEENS1_25partition_config_selectorILNS1_17partition_subalgoE4EjNS0_10empty_typeEbEEZZNS1_14partition_implILS8_4ELb0ES6_15HIP_vector_typeIjLj2EENS0_17counting_iteratorIjlEEPS9_SG_NS0_5tupleIJPjSI_NS0_16reverse_iteratorISI_EEEEENSH_IJSG_SG_SG_EEES9_SI_JZNS1_25segmented_radix_sort_implINS0_14default_configELb0EPK6__halfPSP_PKlPlN2at6native12_GLOBAL__N_18offset_tEEE10hipError_tPvRmT1_PNSt15iterator_traitsIS13_E10value_typeET2_T3_PNS14_IS19_E10value_typeET4_jRbjT5_S1F_jjP12ihipStream_tbEUljE_ZNSN_ISO_Lb0ESR_SS_SU_SV_SZ_EES10_S11_S12_S13_S17_S18_S19_S1C_S1D_jS1E_jS1F_S1F_jjS1H_bEUljE0_EEES10_S11_S12_S19_S1D_S1F_T6_T7_T9_mT8_S1H_bDpT10_ENKUlT_T0_E_clISt17integral_constantIbLb0EES1V_EEDaS1Q_S1R_EUlS1Q_E_NS1_11comp_targetILNS1_3genE0ELNS1_11target_archE4294967295ELNS1_3gpuE0ELNS1_3repE0EEENS1_30default_config_static_selectorELNS0_4arch9wavefront6targetE0EEEvS13_
; %bb.0:
	s_clause 0x4
	s_load_b128 s[24:27], s[0:1], 0x58
	s_load_b32 s4, s[0:1], 0x80
	s_load_b64 s[34:35], s[0:1], 0x10
	s_load_b64 s[2:3], s[0:1], 0x68
	s_load_b32 s8, s[0:1], 0x8
	s_bfe_u32 s5, ttmp6, 0x4000c
	s_and_b32 s6, ttmp6, 15
	s_add_co_i32 s5, s5, 1
	s_getreg_b32 s7, hwreg(HW_REG_IB_STS2, 6, 4)
	s_mul_i32 s5, ttmp9, s5
	s_load_b64 s[42:43], s[0:1], 0xa8
	s_add_co_i32 s6, s6, s5
	s_cmp_eq_u32 s7, 0
	s_load_b256 s[16:23], s[0:1], 0x88
	s_cselect_b32 s33, ttmp9, s6
	s_mov_b32 s5, 0
	s_mul_i32 s40, s33, 0xd00
	s_wait_kmcnt 0x0
	s_add_co_i32 s9, s4, -1
	s_mulk_i32 s4, 0xd00
	s_load_b128 s[28:31], s[26:27], 0x0
	s_cmp_eq_u32 s33, s9
	s_add_nc_u64 s[6:7], s[34:35], s[4:5]
	s_cselect_b32 s15, -1, 0
	s_cmp_lg_u32 s33, s9
	v_cmp_gt_u64_e64 s3, s[2:3], s[6:7]
	s_cselect_b32 s5, -1, 0
	s_add_co_i32 s6, s8, s40
	s_delay_alu instid0(SALU_CYCLE_1) | instskip(NEXT) | instid1(SALU_CYCLE_1)
	s_add_co_i32 s6, s6, s34
	v_add_nc_u32_e32 v1, s6, v0
	s_or_b32 s3, s5, s3
	s_mov_b32 s5, -1
	s_and_b32 vcc_lo, exec_lo, s3
	s_delay_alu instid0(VALU_DEP_1)
	v_add_nc_u32_e32 v2, 0x100, v1
	v_add_nc_u32_e32 v3, 0x200, v1
	;; [unrolled: 1-line block ×12, first 2 shown]
	s_cbranch_vccz .LBB1768_2
; %bb.1:
	v_lshlrev_b32_e32 v14, 2, v0
	s_mov_b32 s5, 0
	ds_store_2addr_stride64_b32 v14, v1, v2 offset1:4
	ds_store_2addr_stride64_b32 v14, v3, v4 offset0:8 offset1:12
	ds_store_2addr_stride64_b32 v14, v5, v6 offset0:16 offset1:20
	;; [unrolled: 1-line block ×5, first 2 shown]
	ds_store_b32 v14, v13 offset:12288
	s_wait_dscnt 0x0
	s_barrier_signal -1
	s_barrier_wait -1
.LBB1768_2:
	s_and_not1_b32 vcc_lo, exec_lo, s5
	s_add_co_i32 s4, s4, s34
	s_cbranch_vccnz .LBB1768_4
; %bb.3:
	v_lshlrev_b32_e32 v14, 2, v0
	ds_store_2addr_stride64_b32 v14, v1, v2 offset1:4
	ds_store_2addr_stride64_b32 v14, v3, v4 offset0:8 offset1:12
	ds_store_2addr_stride64_b32 v14, v5, v6 offset0:16 offset1:20
	;; [unrolled: 1-line block ×5, first 2 shown]
	ds_store_b32 v14, v13 offset:12288
	s_wait_dscnt 0x0
	s_barrier_signal -1
	s_barrier_wait -1
.LBB1768_4:
	v_mul_u32_u24_e32 v30, 13, v0
	s_load_b128 s[36:39], s[0:1], 0x28
	s_wait_xcnt 0x0
	s_load_b64 s[26:27], s[0:1], 0x38
	v_cndmask_b32_e64 v29, 0, 1, s3
	s_sub_co_i32 s41, s2, s4
	v_lshlrev_b32_e32 v1, 2, v30
	s_and_not1_b32 vcc_lo, exec_lo, s3
	ds_load_b32 v28, v1 offset:48
	ds_load_2addr_b32 v[10:11], v1 offset0:10 offset1:11
	ds_load_2addr_b32 v[12:13], v1 offset0:8 offset1:9
	;; [unrolled: 1-line block ×4, first 2 shown]
	ds_load_2addr_b32 v[20:21], v1 offset1:1
	ds_load_2addr_b32 v[18:19], v1 offset0:2 offset1:3
	s_wait_dscnt 0x0
	s_barrier_signal -1
	s_barrier_wait -1
	s_cbranch_vccnz .LBB1768_32
; %bb.5:
	v_dual_add_nc_u32 v1, s17, v20 :: v_dual_add_nc_u32 v2, s19, v20
	s_mov_b32 s45, 0
	s_mov_b32 s44, 0
	s_mov_b32 s3, exec_lo
	s_delay_alu instid0(VALU_DEP_1) | instskip(SKIP_1) | instid1(VALU_DEP_1)
	v_mul_lo_u32 v1, v1, s16
	v_mul_lo_u32 v2, v2, s18
	v_sub_nc_u32_e32 v1, v1, v2
	s_delay_alu instid0(VALU_DEP_1)
	v_cmp_lt_u32_e32 vcc_lo, s20, v1
	v_cmpx_ge_u32_e64 s20, v1
	s_cbranch_execz .LBB1768_7
; %bb.6:
	v_dual_add_nc_u32 v1, s22, v20 :: v_dual_add_nc_u32 v2, s42, v20
	s_delay_alu instid0(VALU_DEP_1) | instskip(NEXT) | instid1(VALU_DEP_2)
	v_mul_lo_u32 v1, v1, s21
	v_mul_lo_u32 v2, v2, s23
	s_delay_alu instid0(VALU_DEP_1) | instskip(NEXT) | instid1(VALU_DEP_1)
	v_sub_nc_u32_e32 v1, v1, v2
	v_cmp_lt_u32_e64 s2, s43, v1
	s_and_b32 s44, s2, exec_lo
.LBB1768_7:
	s_or_b32 exec_lo, exec_lo, s3
	v_dual_add_nc_u32 v1, s17, v21 :: v_dual_add_nc_u32 v2, s19, v21
	s_mov_b32 s4, exec_lo
	s_delay_alu instid0(VALU_DEP_1) | instskip(NEXT) | instid1(VALU_DEP_2)
	v_mul_lo_u32 v1, v1, s16
	v_mul_lo_u32 v2, v2, s18
	s_delay_alu instid0(VALU_DEP_1) | instskip(NEXT) | instid1(VALU_DEP_1)
	v_sub_nc_u32_e32 v1, v1, v2
	v_cmp_lt_u32_e64 s2, s20, v1
	v_cmpx_ge_u32_e64 s20, v1
	s_cbranch_execz .LBB1768_9
; %bb.8:
	v_dual_add_nc_u32 v1, s22, v21 :: v_dual_add_nc_u32 v2, s42, v21
	s_delay_alu instid0(VALU_DEP_1) | instskip(NEXT) | instid1(VALU_DEP_2)
	v_mul_lo_u32 v1, v1, s21
	v_mul_lo_u32 v2, v2, s23
	s_delay_alu instid0(VALU_DEP_1) | instskip(NEXT) | instid1(VALU_DEP_1)
	v_sub_nc_u32_e32 v1, v1, v2
	v_cmp_lt_u32_e64 s3, s43, v1
	s_and_b32 s45, s3, exec_lo
.LBB1768_9:
	s_or_b32 exec_lo, exec_lo, s4
	v_dual_add_nc_u32 v1, s17, v18 :: v_dual_add_nc_u32 v2, s19, v18
	s_mov_b32 s47, 0
	s_mov_b32 s46, 0
	s_mov_b32 s5, exec_lo
	s_delay_alu instid0(VALU_DEP_1) | instskip(SKIP_1) | instid1(VALU_DEP_1)
	v_mul_lo_u32 v1, v1, s16
	v_mul_lo_u32 v2, v2, s18
	v_sub_nc_u32_e32 v1, v1, v2
	s_delay_alu instid0(VALU_DEP_1)
	v_cmp_lt_u32_e64 s3, s20, v1
	v_cmpx_ge_u32_e64 s20, v1
	s_cbranch_execz .LBB1768_11
; %bb.10:
	v_dual_add_nc_u32 v1, s22, v18 :: v_dual_add_nc_u32 v2, s42, v18
	s_delay_alu instid0(VALU_DEP_1) | instskip(NEXT) | instid1(VALU_DEP_2)
	v_mul_lo_u32 v1, v1, s21
	v_mul_lo_u32 v2, v2, s23
	s_delay_alu instid0(VALU_DEP_1) | instskip(NEXT) | instid1(VALU_DEP_1)
	v_sub_nc_u32_e32 v1, v1, v2
	v_cmp_lt_u32_e64 s4, s43, v1
	s_and_b32 s46, s4, exec_lo
.LBB1768_11:
	s_or_b32 exec_lo, exec_lo, s5
	v_dual_add_nc_u32 v1, s17, v19 :: v_dual_add_nc_u32 v2, s19, v19
	s_mov_b32 s6, exec_lo
	s_delay_alu instid0(VALU_DEP_1) | instskip(NEXT) | instid1(VALU_DEP_2)
	v_mul_lo_u32 v1, v1, s16
	v_mul_lo_u32 v2, v2, s18
	s_delay_alu instid0(VALU_DEP_1) | instskip(NEXT) | instid1(VALU_DEP_1)
	v_sub_nc_u32_e32 v1, v1, v2
	v_cmp_lt_u32_e64 s4, s20, v1
	v_cmpx_ge_u32_e64 s20, v1
	s_cbranch_execz .LBB1768_13
; %bb.12:
	v_dual_add_nc_u32 v1, s22, v19 :: v_dual_add_nc_u32 v2, s42, v19
	s_delay_alu instid0(VALU_DEP_1) | instskip(NEXT) | instid1(VALU_DEP_2)
	v_mul_lo_u32 v1, v1, s21
	v_mul_lo_u32 v2, v2, s23
	s_delay_alu instid0(VALU_DEP_1) | instskip(NEXT) | instid1(VALU_DEP_1)
	v_sub_nc_u32_e32 v1, v1, v2
	v_cmp_lt_u32_e64 s5, s43, v1
	s_and_b32 s47, s5, exec_lo
.LBB1768_13:
	s_or_b32 exec_lo, exec_lo, s6
	v_dual_add_nc_u32 v1, s17, v16 :: v_dual_add_nc_u32 v2, s19, v16
	s_mov_b32 s49, 0
	s_mov_b32 s48, 0
	s_mov_b32 s7, exec_lo
	s_delay_alu instid0(VALU_DEP_1) | instskip(SKIP_1) | instid1(VALU_DEP_1)
	v_mul_lo_u32 v1, v1, s16
	v_mul_lo_u32 v2, v2, s18
	v_sub_nc_u32_e32 v1, v1, v2
	s_delay_alu instid0(VALU_DEP_1)
	v_cmp_lt_u32_e64 s5, s20, v1
	;; [unrolled: 44-line block ×6, first 2 shown]
	v_cmpx_ge_u32_e64 s20, v1
	s_cbranch_execz .LBB1768_31
; %bb.30:
	v_dual_add_nc_u32 v1, s22, v28 :: v_dual_add_nc_u32 v2, s42, v28
	s_delay_alu instid0(VALU_DEP_1) | instskip(NEXT) | instid1(VALU_DEP_2)
	v_mul_lo_u32 v1, v1, s21
	v_mul_lo_u32 v2, v2, s23
	s_delay_alu instid0(VALU_DEP_1) | instskip(NEXT) | instid1(VALU_DEP_1)
	v_sub_nc_u32_e32 v1, v1, v2
	v_cmp_lt_u32_e64 s14, s43, v1
	s_and_b32 s57, s14, exec_lo
.LBB1768_31:
	s_or_b32 exec_lo, exec_lo, s58
	v_cndmask_b32_e64 v2, 0, 1, s2
	v_cndmask_b32_e64 v4, 0, 1, s4
	v_cndmask_b32_e64 v1, 0, 1, vcc_lo
	v_cndmask_b32_e64 v3, 0, 1, s3
	v_cndmask_b32_e64 v6, 0, 1, s6
	v_lshlrev_b16 v2, 8, v2
	v_lshlrev_b16 v4, 8, v4
	v_cndmask_b32_e64 v8, 0, 1, s8
	v_cndmask_b32_e64 v22, 0, 1, s10
	v_cndmask_b32_e64 v25, 0, 1, s13
	v_or_b32_e32 v1, v1, v2
	v_or_b32_e32 v2, v3, v4
	v_cndmask_b32_e64 v4, 0, 1, s46
	v_cndmask_b32_e64 v5, 0, 1, s5
	;; [unrolled: 1-line block ×4, first 2 shown]
	v_lshlrev_b32_e32 v2, 16, v2
	v_and_b32_e32 v1, 0xffff, v1
	v_cndmask_b32_e64 v33, 0, 1, s50
	v_cndmask_b32_e64 v36, 0, 1, s48
	;; [unrolled: 1-line block ×4, first 2 shown]
	v_or_b32_e32 v31, v1, v2
	v_lshlrev_b16 v1, 8, v6
	v_lshlrev_b16 v2, 8, v8
	;; [unrolled: 1-line block ×5, first 2 shown]
	v_cndmask_b32_e64 v7, 0, 1, s7
	v_cndmask_b32_e64 v24, 0, 1, s56
	;; [unrolled: 1-line block ×6, first 2 shown]
	v_lshlrev_b16 v22, 8, v39
	v_or_b32_e32 v4, v37, v4
	v_or_b32_e32 v1, v5, v1
	;; [unrolled: 1-line block ×4, first 2 shown]
	v_lshlrev_b16 v8, 8, v36
	v_lshlrev_b16 v9, 8, v33
	v_cndmask_b32_e64 v26, 0, 1, s54
	v_cndmask_b32_e64 v32, 0, 1, s51
	v_lshlrev_b16 v23, 8, v24
	v_or_b32_e32 v3, v3, v8
	v_or_b32_e32 v8, v35, v9
	;; [unrolled: 1-line block ×4, first 2 shown]
	v_lshlrev_b16 v22, 8, v27
	v_and_b32_e32 v5, 0xffff, v5
	v_lshlrev_b32_e32 v4, 16, v4
	v_and_b32_e32 v1, 0xffff, v1
	v_and_b32_e32 v7, 0xffff, v7
	v_or_b32_e32 v9, v32, v22
	v_or_b32_e32 v22, v26, v23
	v_and_b32_e32 v3, 0xffff, v3
	v_dual_lshlrev_b32 v8, 16, v8 :: v_dual_lshlrev_b32 v2, 16, v2
	s_delay_alu instid0(VALU_DEP_4) | instskip(NEXT) | instid1(VALU_DEP_4)
	v_and_b32_e32 v9, 0xffff, v9
	v_lshlrev_b32_e32 v22, 16, v22
	v_lshlrev_b32_e32 v6, 16, v6
	v_cndmask_b32_e64 v34, 0, 1, s55
	v_cndmask_b32_e64 v38, 0, 1, s57
	v_or_b32_e32 v33, v1, v2
	v_or_b32_e32 v37, v7, v4
	;; [unrolled: 1-line block ×5, first 2 shown]
	s_load_b64 s[4:5], s[0:1], 0x78
	s_and_b32 vcc_lo, exec_lo, s52
	s_add_co_i32 s6, s41, 0xd00
	s_cbranch_vccnz .LBB1768_33
	s_branch .LBB1768_110
.LBB1768_32:
                                        ; implicit-def: $vgpr38
                                        ; implicit-def: $vgpr34
                                        ; implicit-def: $vgpr35
                                        ; implicit-def: $vgpr32
                                        ; implicit-def: $vgpr37
                                        ; implicit-def: $vgpr36
                                        ; implicit-def: $vgpr33
                                        ; implicit-def: $vgpr31
	s_load_b64 s[4:5], s[0:1], 0x78
	s_add_co_i32 s6, s41, 0xd00
	s_cbranch_execz .LBB1768_110
.LBB1768_33:
	v_dual_mov_b32 v2, 0 :: v_dual_mov_b32 v1, 0
	s_wait_xcnt 0x0
	s_mov_b32 s1, exec_lo
	v_cmpx_gt_u32_e64 s6, v30
	s_cbranch_execz .LBB1768_37
; %bb.34:
	v_dual_add_nc_u32 v1, s17, v20 :: v_dual_add_nc_u32 v2, s19, v20
	s_mov_b32 s3, 0
	s_mov_b32 s2, exec_lo
	s_delay_alu instid0(VALU_DEP_1) | instskip(NEXT) | instid1(VALU_DEP_2)
	v_mul_lo_u32 v1, v1, s16
	v_mul_lo_u32 v2, v2, s18
	s_delay_alu instid0(VALU_DEP_1) | instskip(NEXT) | instid1(VALU_DEP_1)
	v_sub_nc_u32_e32 v1, v1, v2
	v_cmp_lt_u32_e32 vcc_lo, s20, v1
	v_cmpx_ge_u32_e64 s20, v1
	s_cbranch_execz .LBB1768_36
; %bb.35:
	v_dual_add_nc_u32 v1, s22, v20 :: v_dual_add_nc_u32 v2, s42, v20
	s_delay_alu instid0(VALU_DEP_1) | instskip(NEXT) | instid1(VALU_DEP_2)
	v_mul_lo_u32 v1, v1, s21
	v_mul_lo_u32 v2, v2, s23
	s_delay_alu instid0(VALU_DEP_1) | instskip(NEXT) | instid1(VALU_DEP_1)
	v_sub_nc_u32_e32 v1, v1, v2
	v_cmp_lt_u32_e64 s0, s43, v1
	s_and_b32 s3, s0, exec_lo
.LBB1768_36:
	s_or_b32 exec_lo, exec_lo, s2
	v_cndmask_b32_e64 v2, 0, 1, s3
	v_cndmask_b32_e64 v1, 0, 1, vcc_lo
.LBB1768_37:
	s_or_b32 exec_lo, exec_lo, s1
	s_delay_alu instid0(VALU_DEP_2) | instskip(SKIP_2) | instid1(VALU_DEP_3)
	v_lshlrev_b16 v2, 8, v2
	v_add_nc_u32_e32 v3, 1, v30
	v_lshlrev_b16 v9, 8, 0
                                        ; implicit-def: $vgpr5
                                        ; implicit-def: $vgpr7
                                        ; implicit-def: $vgpr4
                                        ; implicit-def: $vgpr8
	v_and_b32_e32 v6, 0xffff, v2
	s_delay_alu instid0(VALU_DEP_3) | instskip(NEXT) | instid1(VALU_DEP_2)
	v_cmp_le_u32_e32 vcc_lo, s6, v3
                                        ; implicit-def: $vgpr3
                                        ; implicit-def: $vgpr2
	v_lshrrev_b32_e32 v22, 8, v6
	s_and_saveexec_b32 s0, vcc_lo
	s_delay_alu instid0(SALU_CYCLE_1)
	s_xor_b32 s0, exec_lo, s0
	s_cbranch_execz .LBB1768_39
; %bb.38:
	s_delay_alu instid0(VALU_DEP_1) | instskip(SKIP_3) | instid1(VALU_DEP_4)
	v_lshlrev_b16 v2, 8, v22
	v_bitop3_b16 v3, 0, v9, 0xff bitop3:0xec
	v_and_b32_e32 v8, 0xff, v1
                                        ; implicit-def: $vgpr1
                                        ; implicit-def: $vgpr9
                                        ; implicit-def: $vgpr22
	v_mov_b32_e32 v5, 0
	v_bitop3_b16 v6, v6, v2, 0xff bitop3:0xec
	v_mov_b32_e32 v2, 0
	v_and_b32_e32 v4, 0xffff, v3
	v_and_b32_e32 v3, 0xffff, v3
	s_delay_alu instid0(VALU_DEP_4)
	v_and_b32_e32 v7, 0xffff, v6
                                        ; implicit-def: $vgpr6
.LBB1768_39:
	s_and_not1_saveexec_b32 s1, s0
	s_cbranch_execz .LBB1768_43
; %bb.40:
	v_dual_add_nc_u32 v2, s17, v21 :: v_dual_add_nc_u32 v3, s19, v21
	s_mov_b32 s2, 0
	s_mov_b32 s3, exec_lo
	s_delay_alu instid0(VALU_DEP_1) | instskip(NEXT) | instid1(VALU_DEP_2)
	v_mul_lo_u32 v2, v2, s16
	v_mul_lo_u32 v3, v3, s18
	s_delay_alu instid0(VALU_DEP_1) | instskip(NEXT) | instid1(VALU_DEP_1)
	v_sub_nc_u32_e32 v2, v2, v3
	v_cmp_lt_u32_e32 vcc_lo, s20, v2
	v_cmpx_ge_u32_e64 s20, v2
	s_cbranch_execz .LBB1768_42
; %bb.41:
	v_dual_add_nc_u32 v2, s22, v21 :: v_dual_add_nc_u32 v3, s42, v21
	s_delay_alu instid0(VALU_DEP_1) | instskip(NEXT) | instid1(VALU_DEP_2)
	v_mul_lo_u32 v2, v2, s21
	v_mul_lo_u32 v3, v3, s23
	s_delay_alu instid0(VALU_DEP_1) | instskip(NEXT) | instid1(VALU_DEP_1)
	v_sub_nc_u32_e32 v2, v2, v3
	v_cmp_lt_u32_e64 s0, s43, v2
	s_and_b32 s2, s0, exec_lo
.LBB1768_42:
	s_or_b32 exec_lo, exec_lo, s3
	v_cndmask_b32_e64 v2, 0, 1, vcc_lo
	v_lshlrev_b16 v3, 8, v22
	v_cndmask_b32_e64 v7, 0, 1, s2
	v_mov_b32_e32 v5, 0
	s_delay_alu instid0(VALU_DEP_4) | instskip(NEXT) | instid1(VALU_DEP_4)
	v_lshlrev_b16 v2, 8, v2
	v_bitop3_b16 v3, v6, v3, 0xff bitop3:0xec
	v_bitop3_b16 v6, 0, v9, 0xff bitop3:0xec
	s_delay_alu instid0(VALU_DEP_3) | instskip(NEXT) | instid1(VALU_DEP_3)
	v_bitop3_b16 v1, v1, v2, 0xff bitop3:0xec
	v_and_b32_e32 v3, 0xffff, v3
	v_mov_b32_e32 v2, 0
	s_delay_alu instid0(VALU_DEP_4) | instskip(NEXT) | instid1(VALU_DEP_4)
	v_and_b32_e32 v4, 0xffff, v6
	v_and_b32_e32 v8, 0xffff, v1
	s_delay_alu instid0(VALU_DEP_4)
	v_lshl_or_b32 v7, v7, 16, v3
	v_and_b32_e32 v3, 0xffff, v6
.LBB1768_43:
	s_or_b32 exec_lo, exec_lo, s1
	s_delay_alu instid0(VALU_DEP_3) | instskip(NEXT) | instid1(VALU_DEP_1)
	v_dual_add_nc_u32 v1, 2, v30 :: v_dual_lshrrev_b32 v9, 8, v8
                                        ; implicit-def: $vgpr6
	v_cmp_le_u32_e32 vcc_lo, s6, v1
                                        ; implicit-def: $vgpr1
	s_and_saveexec_b32 s0, vcc_lo
	s_delay_alu instid0(SALU_CYCLE_1)
	s_xor_b32 s0, exec_lo, s0
	s_cbranch_execz .LBB1768_45
; %bb.44:
	v_lshlrev_b16 v1, 8, v9
	v_and_b32_e32 v9, 0xff0000, v7
	v_perm_b32 v4, v4, v4, 0x3060504
	s_delay_alu instid0(VALU_DEP_3) | instskip(NEXT) | instid1(VALU_DEP_1)
	v_bitop3_b16 v1, v8, v1, 0xff bitop3:0xec
	v_and_b32_e32 v1, 0xffff, v1
	s_delay_alu instid0(VALU_DEP_1)
	v_and_or_b32 v6, 0xff000000, v8, v1
	v_perm_b32 v1, v7, v9, 0x3020504
                                        ; implicit-def: $vgpr9
                                        ; implicit-def: $vgpr8
                                        ; implicit-def: $vgpr7
.LBB1768_45:
	s_and_not1_saveexec_b32 s1, s0
	s_cbranch_execz .LBB1768_49
; %bb.46:
	v_dual_add_nc_u32 v1, s17, v18 :: v_dual_add_nc_u32 v6, s19, v18
	s_mov_b32 s2, 0
	s_mov_b32 s3, exec_lo
	s_delay_alu instid0(VALU_DEP_1) | instskip(NEXT) | instid1(VALU_DEP_2)
	v_mul_lo_u32 v1, v1, s16
	v_mul_lo_u32 v6, v6, s18
	s_delay_alu instid0(VALU_DEP_1) | instskip(NEXT) | instid1(VALU_DEP_1)
	v_sub_nc_u32_e32 v1, v1, v6
	v_cmp_lt_u32_e32 vcc_lo, s20, v1
	v_cmpx_ge_u32_e64 s20, v1
	s_cbranch_execz .LBB1768_48
; %bb.47:
	v_dual_add_nc_u32 v1, s22, v18 :: v_dual_add_nc_u32 v6, s42, v18
	s_delay_alu instid0(VALU_DEP_1) | instskip(NEXT) | instid1(VALU_DEP_2)
	v_mul_lo_u32 v1, v1, s21
	v_mul_lo_u32 v6, v6, s23
	s_delay_alu instid0(VALU_DEP_1) | instskip(NEXT) | instid1(VALU_DEP_1)
	v_sub_nc_u32_e32 v1, v1, v6
	v_cmp_lt_u32_e64 s0, s43, v1
	s_and_b32 s2, s0, exec_lo
.LBB1768_48:
	s_or_b32 exec_lo, exec_lo, s3
	v_dual_lshrrev_b32 v1, 24, v8 :: v_dual_lshrrev_b32 v23, 8, v7
	v_cndmask_b32_e64 v6, 0, 1, s2
	v_cndmask_b32_e64 v22, 0, 1, vcc_lo
	v_lshlrev_b16 v9, 8, v9
	s_delay_alu instid0(VALU_DEP_4)
	v_lshlrev_b16 v1, 8, v1
	v_lshrrev_b32_e32 v24, 16, v7
	v_lshlrev_b16 v6, 8, v6
	v_lshlrev_b16 v23, 8, v23
	v_bitop3_b16 v8, v8, v9, 0xff bitop3:0xec
	v_or_b32_e32 v1, v22, v1
	s_delay_alu instid0(VALU_DEP_4) | instskip(NEXT) | instid1(VALU_DEP_4)
	v_bitop3_b16 v6, v24, v6, 0xff bitop3:0xec
	v_bitop3_b16 v7, v7, v23, 0xff bitop3:0xec
	s_delay_alu instid0(VALU_DEP_4) | instskip(NEXT) | instid1(VALU_DEP_3)
	v_and_b32_e32 v8, 0xffff, v8
	v_dual_lshlrev_b32 v1, 16, v1 :: v_dual_lshlrev_b32 v9, 16, v6
	s_delay_alu instid0(VALU_DEP_3) | instskip(NEXT) | instid1(VALU_DEP_2)
	v_and_b32_e32 v7, 0xffff, v7
	v_or_b32_e32 v6, v8, v1
	s_delay_alu instid0(VALU_DEP_2)
	v_or_b32_e32 v1, v7, v9
.LBB1768_49:
	s_or_b32 exec_lo, exec_lo, s1
	v_dual_add_nc_u32 v8, 3, v30 :: v_dual_lshrrev_b32 v9, 24, v5
	v_lshrrev_b32_e32 v7, 16, v5
                                        ; implicit-def: $vgpr31
	s_delay_alu instid0(VALU_DEP_2) | instskip(SKIP_2) | instid1(SALU_CYCLE_1)
	v_cmp_le_u32_e32 vcc_lo, s6, v8
	v_lshrrev_b32_e32 v8, 8, v5
                                        ; implicit-def: $vgpr5
	s_and_saveexec_b32 s0, vcc_lo
	s_xor_b32 s0, exec_lo, s0
	s_cbranch_execz .LBB1768_51
; %bb.50:
	v_lshlrev_b16 v5, 8, v9
	v_lshlrev_b16 v8, 8, v8
	v_perm_b32 v4, v4, v4, 0x3060504
	v_perm_b32 v3, v3, v3, 0x3060504
                                        ; implicit-def: $vgpr9
	s_delay_alu instid0(VALU_DEP_4) | instskip(SKIP_2) | instid1(VALU_DEP_3)
	v_bitop3_b16 v5, v7, v5, 0xff bitop3:0xec
	v_and_b32_e32 v7, 0xff0000, v6
	v_and_b32_e32 v8, 0xffff, v8
	v_lshlrev_b32_e32 v5, 16, v5
	s_delay_alu instid0(VALU_DEP_3) | instskip(NEXT) | instid1(VALU_DEP_2)
	v_perm_b32 v31, v6, v7, 0x3020504
                                        ; implicit-def: $vgpr6
                                        ; implicit-def: $vgpr7
	v_or_b32_e32 v5, v8, v5
                                        ; implicit-def: $vgpr8
.LBB1768_51:
	s_and_not1_saveexec_b32 s1, s0
	s_cbranch_execz .LBB1768_55
; %bb.52:
	v_dual_add_nc_u32 v5, s17, v19 :: v_dual_add_nc_u32 v22, s19, v19
	s_mov_b32 s2, 0
	s_mov_b32 s3, exec_lo
	s_delay_alu instid0(VALU_DEP_1) | instskip(NEXT) | instid1(VALU_DEP_2)
	v_mul_lo_u32 v5, v5, s16
	v_mul_lo_u32 v22, v22, s18
	s_delay_alu instid0(VALU_DEP_1) | instskip(NEXT) | instid1(VALU_DEP_1)
	v_sub_nc_u32_e32 v5, v5, v22
	v_cmp_lt_u32_e32 vcc_lo, s20, v5
	v_cmpx_ge_u32_e64 s20, v5
	s_cbranch_execz .LBB1768_54
; %bb.53:
	v_dual_add_nc_u32 v5, s22, v19 :: v_dual_add_nc_u32 v22, s42, v19
	s_delay_alu instid0(VALU_DEP_1) | instskip(NEXT) | instid1(VALU_DEP_2)
	v_mul_lo_u32 v5, v5, s21
	v_mul_lo_u32 v22, v22, s23
	s_delay_alu instid0(VALU_DEP_1) | instskip(NEXT) | instid1(VALU_DEP_1)
	v_sub_nc_u32_e32 v5, v5, v22
	v_cmp_lt_u32_e64 s0, s43, v5
	s_and_b32 s2, s0, exec_lo
.LBB1768_54:
	s_or_b32 exec_lo, exec_lo, s3
	v_cndmask_b32_e64 v5, 0, 1, vcc_lo
	v_dual_lshrrev_b32 v22, 8, v6 :: v_dual_lshrrev_b32 v24, 16, v6
	v_cndmask_b32_e64 v23, 0, 1, s2
	v_lshlrev_b16 v9, 8, v9
	s_delay_alu instid0(VALU_DEP_4) | instskip(NEXT) | instid1(VALU_DEP_4)
	v_lshlrev_b16 v5, 8, v5
	v_lshlrev_b16 v22, 8, v22
	v_lshlrev_b16 v8, 8, v8
	s_delay_alu instid0(VALU_DEP_4) | instskip(NEXT) | instid1(VALU_DEP_4)
	v_bitop3_b16 v7, v7, v9, 0xff bitop3:0xec
	v_bitop3_b16 v5, v24, v5, 0xff bitop3:0xec
	s_delay_alu instid0(VALU_DEP_4) | instskip(NEXT) | instid1(VALU_DEP_3)
	v_bitop3_b16 v6, v6, v22, 0xff bitop3:0xec
	v_dual_lshlrev_b32 v7, 16, v7 :: v_dual_bitop2_b32 v8, v23, v8 bitop3:0x54
	s_delay_alu instid0(VALU_DEP_3) | instskip(NEXT) | instid1(VALU_DEP_3)
	v_lshlrev_b32_e32 v5, 16, v5
	v_and_b32_e32 v6, 0xffff, v6
	s_delay_alu instid0(VALU_DEP_3) | instskip(NEXT) | instid1(VALU_DEP_2)
	v_and_b32_e32 v8, 0xffff, v8
	v_or_b32_e32 v31, v6, v5
	s_delay_alu instid0(VALU_DEP_2)
	v_or_b32_e32 v5, v8, v7
.LBB1768_55:
	s_or_b32 exec_lo, exec_lo, s1
	v_dual_add_nc_u32 v6, 4, v30 :: v_dual_lshrrev_b32 v22, 8, v4
	v_dual_lshrrev_b32 v7, 16, v4 :: v_dual_lshrrev_b32 v23, 24, v4
	s_delay_alu instid0(VALU_DEP_3) | instskip(NEXT) | instid1(VALU_DEP_3)
	v_dual_lshrrev_b32 v9, 24, v5 :: v_dual_lshrrev_b32 v8, 16, v5
	v_cmp_le_u32_e32 vcc_lo, s6, v6
                                        ; implicit-def: $vgpr4
                                        ; implicit-def: $vgpr6
	s_and_saveexec_b32 s0, vcc_lo
	s_delay_alu instid0(SALU_CYCLE_1)
	s_xor_b32 s0, exec_lo, s0
	s_cbranch_execz .LBB1768_57
; %bb.56:
	v_lshlrev_b16 v4, 8, v23
	v_lshlrev_b16 v6, 8, v22
	;; [unrolled: 1-line block ×3, first 2 shown]
	v_perm_b32 v3, v3, v3, 0x3060504
                                        ; implicit-def: $vgpr22
                                        ; implicit-def: $vgpr23
	s_delay_alu instid0(VALU_DEP_4) | instskip(NEXT) | instid1(VALU_DEP_4)
	v_bitop3_b16 v4, v7, v4, 0xff bitop3:0xec
	v_and_b32_e32 v6, 0xffff, v6
	s_delay_alu instid0(VALU_DEP_4) | instskip(NEXT) | instid1(VALU_DEP_3)
	v_bitop3_b16 v7, v8, v9, 0xff bitop3:0xec
                                        ; implicit-def: $vgpr9
	v_lshlrev_b32_e32 v8, 16, v4
	s_delay_alu instid0(VALU_DEP_2) | instskip(NEXT) | instid1(VALU_DEP_2)
	v_perm_b32 v4, v7, v5, 0x5040c00
                                        ; implicit-def: $vgpr5
                                        ; implicit-def: $vgpr7
	v_or_b32_e32 v6, v6, v8
                                        ; implicit-def: $vgpr8
.LBB1768_57:
	s_and_not1_saveexec_b32 s1, s0
	s_cbranch_execz .LBB1768_61
; %bb.58:
	v_dual_add_nc_u32 v4, s17, v16 :: v_dual_add_nc_u32 v6, s19, v16
	s_mov_b32 s2, 0
	s_mov_b32 s3, exec_lo
	s_delay_alu instid0(VALU_DEP_1) | instskip(NEXT) | instid1(VALU_DEP_2)
	v_mul_lo_u32 v4, v4, s16
	v_mul_lo_u32 v6, v6, s18
	s_delay_alu instid0(VALU_DEP_1) | instskip(NEXT) | instid1(VALU_DEP_1)
	v_sub_nc_u32_e32 v4, v4, v6
	v_cmp_lt_u32_e32 vcc_lo, s20, v4
	v_cmpx_ge_u32_e64 s20, v4
	s_cbranch_execz .LBB1768_60
; %bb.59:
	v_dual_add_nc_u32 v4, s22, v16 :: v_dual_add_nc_u32 v6, s42, v16
	s_delay_alu instid0(VALU_DEP_1) | instskip(NEXT) | instid1(VALU_DEP_2)
	v_mul_lo_u32 v4, v4, s21
	v_mul_lo_u32 v6, v6, s23
	s_delay_alu instid0(VALU_DEP_1) | instskip(NEXT) | instid1(VALU_DEP_1)
	v_sub_nc_u32_e32 v4, v4, v6
	v_cmp_lt_u32_e64 s0, s43, v4
	s_and_b32 s2, s0, exec_lo
.LBB1768_60:
	s_or_b32 exec_lo, exec_lo, s3
	v_cndmask_b32_e64 v4, 0, 1, s2
	v_cndmask_b32_e64 v6, 0, 1, vcc_lo
	v_lshlrev_b16 v23, 8, v23
	v_lshlrev_b16 v22, 8, v22
	v_lshlrev_b16 v9, 8, v9
	v_lshlrev_b16 v4, 8, v4
	s_delay_alu instid0(VALU_DEP_4) | instskip(NEXT) | instid1(VALU_DEP_4)
	v_bitop3_b16 v7, v7, v23, 0xff bitop3:0xec
	v_or_b32_e32 v6, v6, v22
	s_delay_alu instid0(VALU_DEP_4) | instskip(NEXT) | instid1(VALU_DEP_4)
	v_bitop3_b16 v8, v8, v9, 0xff bitop3:0xec
	v_bitop3_b16 v4, v5, v4, 0xff bitop3:0xec
	s_delay_alu instid0(VALU_DEP_4) | instskip(NEXT) | instid1(VALU_DEP_4)
	v_lshlrev_b32_e32 v5, 16, v7
	v_and_b32_e32 v6, 0xffff, v6
	s_delay_alu instid0(VALU_DEP_4) | instskip(NEXT) | instid1(VALU_DEP_4)
	v_lshlrev_b32_e32 v7, 16, v8
	v_and_b32_e32 v4, 0xffff, v4
	s_delay_alu instid0(VALU_DEP_3) | instskip(NEXT) | instid1(VALU_DEP_2)
	v_or_b32_e32 v6, v6, v5
	v_or_b32_e32 v4, v4, v7
.LBB1768_61:
	s_or_b32 exec_lo, exec_lo, s1
	s_delay_alu instid0(VALU_DEP_1) | instskip(NEXT) | instid1(VALU_DEP_2)
	v_dual_add_nc_u32 v5, 5, v30 :: v_dual_lshrrev_b32 v22, 8, v4
	v_dual_lshrrev_b32 v8, 16, v6 :: v_dual_lshrrev_b32 v9, 24, v6
                                        ; implicit-def: $vgpr7
	s_delay_alu instid0(VALU_DEP_2) | instskip(SKIP_1) | instid1(SALU_CYCLE_1)
	v_cmp_le_u32_e32 vcc_lo, s6, v5
                                        ; implicit-def: $vgpr5
	s_and_saveexec_b32 s0, vcc_lo
	s_xor_b32 s0, exec_lo, s0
	s_cbranch_execz .LBB1768_63
; %bb.62:
	v_lshlrev_b16 v5, 8, v22
	v_lshlrev_b16 v7, 8, v9
	v_perm_b32 v3, v3, v3, 0x3060504
                                        ; implicit-def: $vgpr9
                                        ; implicit-def: $vgpr22
	s_delay_alu instid0(VALU_DEP_3) | instskip(NEXT) | instid1(VALU_DEP_3)
	v_bitop3_b16 v5, v4, v5, 0xff bitop3:0xec
	v_bitop3_b16 v7, v8, v7, 0xff bitop3:0xec
                                        ; implicit-def: $vgpr8
	s_delay_alu instid0(VALU_DEP_2) | instskip(NEXT) | instid1(VALU_DEP_2)
	v_and_b32_e32 v5, 0xffff, v5
	v_perm_b32 v7, v7, v6, 0x5040c00
                                        ; implicit-def: $vgpr6
	s_delay_alu instid0(VALU_DEP_2)
	v_and_or_b32 v5, 0xff000000, v4, v5
                                        ; implicit-def: $vgpr4
.LBB1768_63:
	s_and_not1_saveexec_b32 s1, s0
	s_cbranch_execz .LBB1768_67
; %bb.64:
	v_dual_add_nc_u32 v5, s17, v17 :: v_dual_add_nc_u32 v7, s19, v17
	s_mov_b32 s2, 0
	s_mov_b32 s3, exec_lo
	s_delay_alu instid0(VALU_DEP_1) | instskip(NEXT) | instid1(VALU_DEP_2)
	v_mul_lo_u32 v5, v5, s16
	v_mul_lo_u32 v7, v7, s18
	s_delay_alu instid0(VALU_DEP_1) | instskip(NEXT) | instid1(VALU_DEP_1)
	v_sub_nc_u32_e32 v5, v5, v7
	v_cmp_lt_u32_e32 vcc_lo, s20, v5
	v_cmpx_ge_u32_e64 s20, v5
	s_cbranch_execz .LBB1768_66
; %bb.65:
	v_dual_add_nc_u32 v5, s22, v17 :: v_dual_add_nc_u32 v7, s42, v17
	s_delay_alu instid0(VALU_DEP_1) | instskip(NEXT) | instid1(VALU_DEP_2)
	v_mul_lo_u32 v5, v5, s21
	v_mul_lo_u32 v7, v7, s23
	s_delay_alu instid0(VALU_DEP_1) | instskip(NEXT) | instid1(VALU_DEP_1)
	v_sub_nc_u32_e32 v5, v5, v7
	v_cmp_lt_u32_e64 s0, s43, v5
	s_and_b32 s2, s0, exec_lo
.LBB1768_66:
	s_or_b32 exec_lo, exec_lo, s3
	v_cndmask_b32_e64 v5, 0, 1, vcc_lo
	v_lshrrev_b32_e32 v7, 24, v4
	v_cndmask_b32_e64 v23, 0, 1, s2
	v_lshlrev_b16 v9, 8, v9
	v_lshlrev_b16 v22, 8, v22
	;; [unrolled: 1-line block ×4, first 2 shown]
	s_delay_alu instid0(VALU_DEP_4) | instskip(NEXT) | instid1(VALU_DEP_4)
	v_bitop3_b16 v8, v8, v9, 0xff bitop3:0xec
	v_bitop3_b16 v4, v4, v22, 0xff bitop3:0xec
	s_delay_alu instid0(VALU_DEP_4) | instskip(NEXT) | instid1(VALU_DEP_3)
	v_bitop3_b16 v5, v6, v5, 0xff bitop3:0xec
	v_dual_lshlrev_b32 v7, 16, v8 :: v_dual_bitop2_b32 v6, v23, v7 bitop3:0x54
	s_delay_alu instid0(VALU_DEP_3) | instskip(NEXT) | instid1(VALU_DEP_3)
	v_and_b32_e32 v4, 0xffff, v4
	v_and_b32_e32 v5, 0xffff, v5
	s_delay_alu instid0(VALU_DEP_1) | instskip(NEXT) | instid1(VALU_DEP_1)
	v_dual_lshlrev_b32 v6, 16, v6 :: v_dual_bitop2_b32 v7, v5, v7 bitop3:0x54
	v_or_b32_e32 v5, v4, v6
.LBB1768_67:
	s_or_b32 exec_lo, exec_lo, s1
	s_delay_alu instid0(VALU_DEP_2) | instskip(NEXT) | instid1(VALU_DEP_1)
	v_dual_add_nc_u32 v4, 6, v30 :: v_dual_lshrrev_b32 v6, 8, v7
                                        ; implicit-def: $vgpr32
	v_cmp_le_u32_e32 vcc_lo, s6, v4
                                        ; implicit-def: $vgpr4
	s_and_saveexec_b32 s0, vcc_lo
	s_delay_alu instid0(SALU_CYCLE_1)
	s_xor_b32 s0, exec_lo, s0
	s_cbranch_execz .LBB1768_69
; %bb.68:
	v_lshlrev_b16 v4, 8, v6
	v_and_b32_e32 v6, 0xff0000, v5
	v_perm_b32 v3, v3, v3, 0x3060504
	s_delay_alu instid0(VALU_DEP_3) | instskip(NEXT) | instid1(VALU_DEP_3)
	v_bitop3_b16 v4, v7, v4, 0xff bitop3:0xec
	v_perm_b32 v32, v5, v6, 0x3020504
                                        ; implicit-def: $vgpr6
                                        ; implicit-def: $vgpr5
	s_delay_alu instid0(VALU_DEP_2) | instskip(NEXT) | instid1(VALU_DEP_1)
	v_and_b32_e32 v4, 0xffff, v4
	v_and_or_b32 v4, 0xff000000, v7, v4
                                        ; implicit-def: $vgpr7
.LBB1768_69:
	s_and_not1_saveexec_b32 s1, s0
	s_cbranch_execz .LBB1768_73
; %bb.70:
	v_dual_add_nc_u32 v4, s17, v14 :: v_dual_add_nc_u32 v8, s19, v14
	s_mov_b32 s2, 0
	s_mov_b32 s3, exec_lo
	s_delay_alu instid0(VALU_DEP_1) | instskip(NEXT) | instid1(VALU_DEP_2)
	v_mul_lo_u32 v4, v4, s16
	v_mul_lo_u32 v8, v8, s18
	s_delay_alu instid0(VALU_DEP_1) | instskip(NEXT) | instid1(VALU_DEP_1)
	v_sub_nc_u32_e32 v4, v4, v8
	v_cmp_lt_u32_e32 vcc_lo, s20, v4
	v_cmpx_ge_u32_e64 s20, v4
	s_cbranch_execz .LBB1768_72
; %bb.71:
	v_dual_add_nc_u32 v4, s22, v14 :: v_dual_add_nc_u32 v8, s42, v14
	s_delay_alu instid0(VALU_DEP_1) | instskip(NEXT) | instid1(VALU_DEP_2)
	v_mul_lo_u32 v4, v4, s21
	v_mul_lo_u32 v8, v8, s23
	s_delay_alu instid0(VALU_DEP_1) | instskip(NEXT) | instid1(VALU_DEP_1)
	v_sub_nc_u32_e32 v4, v4, v8
	v_cmp_lt_u32_e64 s0, s43, v4
	s_and_b32 s2, s0, exec_lo
.LBB1768_72:
	s_or_b32 exec_lo, exec_lo, s3
	v_dual_lshrrev_b32 v4, 24, v7 :: v_dual_lshrrev_b32 v22, 8, v5
	v_cndmask_b32_e64 v8, 0, 1, s2
	v_cndmask_b32_e64 v9, 0, 1, vcc_lo
	v_lshlrev_b16 v6, 8, v6
	s_delay_alu instid0(VALU_DEP_4)
	v_lshlrev_b16 v4, 8, v4
	v_lshrrev_b32_e32 v23, 16, v5
	v_lshlrev_b16 v8, 8, v8
	v_lshlrev_b16 v22, 8, v22
	v_bitop3_b16 v6, v7, v6, 0xff bitop3:0xec
	v_or_b32_e32 v4, v9, v4
	s_delay_alu instid0(VALU_DEP_4) | instskip(NEXT) | instid1(VALU_DEP_4)
	v_bitop3_b16 v7, v23, v8, 0xff bitop3:0xec
	v_bitop3_b16 v5, v5, v22, 0xff bitop3:0xec
	s_delay_alu instid0(VALU_DEP_4) | instskip(NEXT) | instid1(VALU_DEP_3)
	v_and_b32_e32 v6, 0xffff, v6
	v_dual_lshlrev_b32 v4, 16, v4 :: v_dual_lshlrev_b32 v7, 16, v7
	s_delay_alu instid0(VALU_DEP_3) | instskip(NEXT) | instid1(VALU_DEP_2)
	v_and_b32_e32 v5, 0xffff, v5
	v_or_b32_e32 v4, v6, v4
	s_delay_alu instid0(VALU_DEP_2)
	v_or_b32_e32 v32, v5, v7
.LBB1768_73:
	s_or_b32 exec_lo, exec_lo, s1
	v_dual_add_nc_u32 v7, 7, v30 :: v_dual_lshrrev_b32 v5, 8, v3
	v_lshrrev_b32_e32 v6, 16, v3
                                        ; implicit-def: $vgpr33
	s_delay_alu instid0(VALU_DEP_2) | instskip(SKIP_2) | instid1(SALU_CYCLE_1)
	v_cmp_le_u32_e32 vcc_lo, s6, v7
	v_lshrrev_b32_e32 v7, 24, v3
                                        ; implicit-def: $vgpr3
	s_and_saveexec_b32 s0, vcc_lo
	s_xor_b32 s0, exec_lo, s0
	s_cbranch_execz .LBB1768_75
; %bb.74:
	s_delay_alu instid0(VALU_DEP_1) | instskip(SKIP_1) | instid1(VALU_DEP_2)
	v_lshlrev_b16 v3, 8, v7
	v_lshlrev_b16 v5, 8, v5
                                        ; implicit-def: $vgpr7
	v_bitop3_b16 v3, v6, v3, 0xff bitop3:0xec
	v_and_b32_e32 v6, 0xff0000, v4
	s_delay_alu instid0(VALU_DEP_3) | instskip(NEXT) | instid1(VALU_DEP_3)
	v_and_b32_e32 v5, 0xffff, v5
	v_lshlrev_b32_e32 v3, 16, v3
	s_delay_alu instid0(VALU_DEP_3) | instskip(NEXT) | instid1(VALU_DEP_2)
	v_perm_b32 v33, v4, v6, 0x3020504
                                        ; implicit-def: $vgpr4
                                        ; implicit-def: $vgpr6
	v_or_b32_e32 v3, v5, v3
                                        ; implicit-def: $vgpr5
.LBB1768_75:
	s_and_not1_saveexec_b32 s1, s0
	s_cbranch_execz .LBB1768_79
; %bb.76:
	v_dual_add_nc_u32 v3, s17, v15 :: v_dual_add_nc_u32 v8, s19, v15
	s_mov_b32 s2, 0
	s_mov_b32 s3, exec_lo
	s_delay_alu instid0(VALU_DEP_1) | instskip(NEXT) | instid1(VALU_DEP_2)
	v_mul_lo_u32 v3, v3, s16
	v_mul_lo_u32 v8, v8, s18
	s_delay_alu instid0(VALU_DEP_1) | instskip(NEXT) | instid1(VALU_DEP_1)
	v_sub_nc_u32_e32 v3, v3, v8
	v_cmp_lt_u32_e32 vcc_lo, s20, v3
	v_cmpx_ge_u32_e64 s20, v3
	s_cbranch_execz .LBB1768_78
; %bb.77:
	v_dual_add_nc_u32 v3, s22, v15 :: v_dual_add_nc_u32 v8, s42, v15
	s_delay_alu instid0(VALU_DEP_1) | instskip(NEXT) | instid1(VALU_DEP_2)
	v_mul_lo_u32 v3, v3, s21
	v_mul_lo_u32 v8, v8, s23
	s_delay_alu instid0(VALU_DEP_1) | instskip(NEXT) | instid1(VALU_DEP_1)
	v_sub_nc_u32_e32 v3, v3, v8
	v_cmp_lt_u32_e64 s0, s43, v3
	s_and_b32 s2, s0, exec_lo
.LBB1768_78:
	s_or_b32 exec_lo, exec_lo, s3
	v_cndmask_b32_e64 v3, 0, 1, vcc_lo
	v_dual_lshrrev_b32 v8, 8, v4 :: v_dual_lshrrev_b32 v22, 16, v4
	v_cndmask_b32_e64 v9, 0, 1, s2
	v_lshlrev_b16 v7, 8, v7
	s_delay_alu instid0(VALU_DEP_4) | instskip(NEXT) | instid1(VALU_DEP_4)
	v_lshlrev_b16 v3, 8, v3
	v_lshlrev_b16 v8, 8, v8
	;; [unrolled: 1-line block ×3, first 2 shown]
	s_delay_alu instid0(VALU_DEP_4) | instskip(NEXT) | instid1(VALU_DEP_4)
	v_bitop3_b16 v6, v6, v7, 0xff bitop3:0xec
	v_bitop3_b16 v3, v22, v3, 0xff bitop3:0xec
	s_delay_alu instid0(VALU_DEP_4) | instskip(NEXT) | instid1(VALU_DEP_3)
	v_bitop3_b16 v4, v4, v8, 0xff bitop3:0xec
	v_dual_lshlrev_b32 v6, 16, v6 :: v_dual_bitop2_b32 v5, v9, v5 bitop3:0x54
	s_delay_alu instid0(VALU_DEP_3) | instskip(NEXT) | instid1(VALU_DEP_3)
	v_lshlrev_b32_e32 v3, 16, v3
	v_and_b32_e32 v4, 0xffff, v4
	s_delay_alu instid0(VALU_DEP_3) | instskip(NEXT) | instid1(VALU_DEP_2)
	v_and_b32_e32 v5, 0xffff, v5
	v_or_b32_e32 v33, v4, v3
	s_delay_alu instid0(VALU_DEP_2)
	v_or_b32_e32 v3, v5, v6
.LBB1768_79:
	s_or_b32 exec_lo, exec_lo, s1
	s_delay_alu instid0(VALU_DEP_1) | instskip(SKIP_2) | instid1(VALU_DEP_3)
	v_dual_add_nc_u32 v4, 8, v30 :: v_dual_lshrrev_b32 v5, 16, v3
	v_dual_lshrrev_b32 v6, 24, v3 :: v_dual_lshrrev_b32 v9, 24, v2
	v_dual_lshrrev_b32 v7, 16, v2 :: v_dual_lshrrev_b32 v8, 8, v2
	v_cmp_le_u32_e32 vcc_lo, s6, v4
                                        ; implicit-def: $vgpr2
                                        ; implicit-def: $vgpr4
	s_and_saveexec_b32 s0, vcc_lo
	s_delay_alu instid0(SALU_CYCLE_1)
	s_xor_b32 s0, exec_lo, s0
	s_cbranch_execz .LBB1768_81
; %bb.80:
	v_lshlrev_b16 v2, 8, v9
	v_lshlrev_b16 v4, 8, v8
	;; [unrolled: 1-line block ×3, first 2 shown]
	v_perm_b32 v1, v1, v1, 0x3060504
                                        ; implicit-def: $vgpr9
                                        ; implicit-def: $vgpr8
	s_delay_alu instid0(VALU_DEP_4) | instskip(NEXT) | instid1(VALU_DEP_4)
	v_bitop3_b16 v2, v7, v2, 0xff bitop3:0xec
	v_and_b32_e32 v4, 0xffff, v4
	s_delay_alu instid0(VALU_DEP_4) | instskip(NEXT) | instid1(VALU_DEP_3)
	v_bitop3_b16 v5, v5, v6, 0xff bitop3:0xec
                                        ; implicit-def: $vgpr6
                                        ; implicit-def: $vgpr7
	v_lshlrev_b32_e32 v2, 16, v2
	s_delay_alu instid0(VALU_DEP_1) | instskip(NEXT) | instid1(VALU_DEP_3)
	v_or_b32_e32 v4, v4, v2
	v_perm_b32 v2, v5, v3, 0x5040c00
                                        ; implicit-def: $vgpr3
                                        ; implicit-def: $vgpr5
.LBB1768_81:
	s_and_not1_saveexec_b32 s1, s0
	s_cbranch_execz .LBB1768_85
; %bb.82:
	v_dual_add_nc_u32 v2, s17, v12 :: v_dual_add_nc_u32 v4, s19, v12
	s_mov_b32 s2, 0
	s_mov_b32 s3, exec_lo
	s_delay_alu instid0(VALU_DEP_1) | instskip(NEXT) | instid1(VALU_DEP_2)
	v_mul_lo_u32 v2, v2, s16
	v_mul_lo_u32 v4, v4, s18
	s_delay_alu instid0(VALU_DEP_1) | instskip(NEXT) | instid1(VALU_DEP_1)
	v_sub_nc_u32_e32 v2, v2, v4
	v_cmp_lt_u32_e32 vcc_lo, s20, v2
	v_cmpx_ge_u32_e64 s20, v2
	s_cbranch_execz .LBB1768_84
; %bb.83:
	v_dual_add_nc_u32 v2, s22, v12 :: v_dual_add_nc_u32 v4, s42, v12
	s_delay_alu instid0(VALU_DEP_1) | instskip(NEXT) | instid1(VALU_DEP_2)
	v_mul_lo_u32 v2, v2, s21
	v_mul_lo_u32 v4, v4, s23
	s_delay_alu instid0(VALU_DEP_1) | instskip(NEXT) | instid1(VALU_DEP_1)
	v_sub_nc_u32_e32 v2, v2, v4
	v_cmp_lt_u32_e64 s0, s43, v2
	s_and_b32 s2, s0, exec_lo
.LBB1768_84:
	s_or_b32 exec_lo, exec_lo, s3
	v_cndmask_b32_e64 v2, 0, 1, s2
	v_cndmask_b32_e64 v4, 0, 1, vcc_lo
	v_lshlrev_b16 v9, 8, v9
	v_lshlrev_b16 v8, 8, v8
	;; [unrolled: 1-line block ×4, first 2 shown]
	s_delay_alu instid0(VALU_DEP_4) | instskip(NEXT) | instid1(VALU_DEP_4)
	v_bitop3_b16 v7, v7, v9, 0xff bitop3:0xec
	v_or_b32_e32 v4, v4, v8
	s_delay_alu instid0(VALU_DEP_4) | instskip(NEXT) | instid1(VALU_DEP_4)
	v_bitop3_b16 v5, v5, v6, 0xff bitop3:0xec
	v_bitop3_b16 v2, v3, v2, 0xff bitop3:0xec
	s_delay_alu instid0(VALU_DEP_4) | instskip(NEXT) | instid1(VALU_DEP_4)
	v_lshlrev_b32_e32 v3, 16, v7
	v_and_b32_e32 v4, 0xffff, v4
	s_delay_alu instid0(VALU_DEP_4) | instskip(NEXT) | instid1(VALU_DEP_4)
	v_lshlrev_b32_e32 v5, 16, v5
	v_and_b32_e32 v2, 0xffff, v2
	s_delay_alu instid0(VALU_DEP_3) | instskip(NEXT) | instid1(VALU_DEP_2)
	v_or_b32_e32 v4, v4, v3
	v_or_b32_e32 v2, v2, v5
.LBB1768_85:
	s_or_b32 exec_lo, exec_lo, s1
	s_delay_alu instid0(VALU_DEP_2) | instskip(NEXT) | instid1(VALU_DEP_2)
	v_dual_add_nc_u32 v3, 9, v30 :: v_dual_lshrrev_b32 v8, 24, v4
	v_dual_lshrrev_b32 v7, 8, v2 :: v_dual_lshrrev_b32 v6, 16, v4
                                        ; implicit-def: $vgpr5
	s_delay_alu instid0(VALU_DEP_2) | instskip(SKIP_1) | instid1(SALU_CYCLE_1)
	v_cmp_le_u32_e32 vcc_lo, s6, v3
                                        ; implicit-def: $vgpr3
	s_and_saveexec_b32 s0, vcc_lo
	s_xor_b32 s0, exec_lo, s0
	s_cbranch_execz .LBB1768_87
; %bb.86:
	v_lshlrev_b16 v3, 8, v7
	v_lshlrev_b16 v5, 8, v8
	v_perm_b32 v1, v1, v1, 0x3060504
                                        ; implicit-def: $vgpr7
                                        ; implicit-def: $vgpr8
	s_delay_alu instid0(VALU_DEP_3) | instskip(NEXT) | instid1(VALU_DEP_3)
	v_bitop3_b16 v3, v2, v3, 0xff bitop3:0xec
	v_bitop3_b16 v5, v6, v5, 0xff bitop3:0xec
                                        ; implicit-def: $vgpr6
	s_delay_alu instid0(VALU_DEP_2) | instskip(NEXT) | instid1(VALU_DEP_2)
	v_and_b32_e32 v3, 0xffff, v3
	v_perm_b32 v5, v5, v4, 0x5040c00
                                        ; implicit-def: $vgpr4
	s_delay_alu instid0(VALU_DEP_2)
	v_and_or_b32 v3, 0xff000000, v2, v3
                                        ; implicit-def: $vgpr2
.LBB1768_87:
	s_and_not1_saveexec_b32 s1, s0
	s_cbranch_execz .LBB1768_91
; %bb.88:
	v_dual_add_nc_u32 v3, s17, v13 :: v_dual_add_nc_u32 v5, s19, v13
	s_mov_b32 s2, 0
	s_mov_b32 s3, exec_lo
	s_delay_alu instid0(VALU_DEP_1) | instskip(NEXT) | instid1(VALU_DEP_2)
	v_mul_lo_u32 v3, v3, s16
	v_mul_lo_u32 v5, v5, s18
	s_delay_alu instid0(VALU_DEP_1) | instskip(NEXT) | instid1(VALU_DEP_1)
	v_sub_nc_u32_e32 v3, v3, v5
	v_cmp_lt_u32_e32 vcc_lo, s20, v3
	v_cmpx_ge_u32_e64 s20, v3
	s_cbranch_execz .LBB1768_90
; %bb.89:
	v_dual_add_nc_u32 v3, s22, v13 :: v_dual_add_nc_u32 v5, s42, v13
	s_delay_alu instid0(VALU_DEP_1) | instskip(NEXT) | instid1(VALU_DEP_2)
	v_mul_lo_u32 v3, v3, s21
	v_mul_lo_u32 v5, v5, s23
	s_delay_alu instid0(VALU_DEP_1) | instskip(NEXT) | instid1(VALU_DEP_1)
	v_sub_nc_u32_e32 v3, v3, v5
	v_cmp_lt_u32_e64 s0, s43, v3
	s_and_b32 s2, s0, exec_lo
.LBB1768_90:
	s_or_b32 exec_lo, exec_lo, s3
	v_cndmask_b32_e64 v3, 0, 1, vcc_lo
	v_lshrrev_b32_e32 v5, 24, v2
	v_cndmask_b32_e64 v9, 0, 1, s2
	v_lshlrev_b16 v8, 8, v8
	v_lshlrev_b16 v7, 8, v7
	;; [unrolled: 1-line block ×4, first 2 shown]
	s_delay_alu instid0(VALU_DEP_4) | instskip(NEXT) | instid1(VALU_DEP_4)
	v_bitop3_b16 v6, v6, v8, 0xff bitop3:0xec
	v_bitop3_b16 v2, v2, v7, 0xff bitop3:0xec
	s_delay_alu instid0(VALU_DEP_4) | instskip(NEXT) | instid1(VALU_DEP_3)
	v_bitop3_b16 v3, v4, v3, 0xff bitop3:0xec
	v_dual_lshlrev_b32 v5, 16, v6 :: v_dual_bitop2_b32 v4, v9, v5 bitop3:0x54
	s_delay_alu instid0(VALU_DEP_3) | instskip(NEXT) | instid1(VALU_DEP_3)
	v_and_b32_e32 v2, 0xffff, v2
	v_and_b32_e32 v3, 0xffff, v3
	s_delay_alu instid0(VALU_DEP_1) | instskip(NEXT) | instid1(VALU_DEP_1)
	v_dual_lshlrev_b32 v4, 16, v4 :: v_dual_bitop2_b32 v5, v3, v5 bitop3:0x54
	v_or_b32_e32 v3, v2, v4
.LBB1768_91:
	s_or_b32 exec_lo, exec_lo, s1
	s_delay_alu instid0(VALU_DEP_2) | instskip(NEXT) | instid1(VALU_DEP_1)
	v_dual_add_nc_u32 v2, 10, v30 :: v_dual_lshrrev_b32 v4, 8, v5
                                        ; implicit-def: $vgpr35
	v_cmp_le_u32_e32 vcc_lo, s6, v2
                                        ; implicit-def: $vgpr2
	s_and_saveexec_b32 s0, vcc_lo
	s_delay_alu instid0(SALU_CYCLE_1)
	s_xor_b32 s0, exec_lo, s0
	s_cbranch_execz .LBB1768_93
; %bb.92:
	v_lshlrev_b16 v2, 8, v4
	v_and_b32_e32 v4, 0xff0000, v3
	v_perm_b32 v1, v1, v1, 0x3060504
	s_delay_alu instid0(VALU_DEP_3) | instskip(NEXT) | instid1(VALU_DEP_3)
	v_bitop3_b16 v2, v5, v2, 0xff bitop3:0xec
	v_perm_b32 v35, v3, v4, 0x3020504
                                        ; implicit-def: $vgpr4
                                        ; implicit-def: $vgpr3
	s_delay_alu instid0(VALU_DEP_2) | instskip(NEXT) | instid1(VALU_DEP_1)
	v_and_b32_e32 v2, 0xffff, v2
	v_and_or_b32 v2, 0xff000000, v5, v2
                                        ; implicit-def: $vgpr5
.LBB1768_93:
	s_and_not1_saveexec_b32 s1, s0
	s_cbranch_execz .LBB1768_97
; %bb.94:
	v_dual_add_nc_u32 v2, s17, v10 :: v_dual_add_nc_u32 v6, s19, v10
	s_mov_b32 s2, 0
	s_mov_b32 s3, exec_lo
	s_delay_alu instid0(VALU_DEP_1) | instskip(NEXT) | instid1(VALU_DEP_2)
	v_mul_lo_u32 v2, v2, s16
	v_mul_lo_u32 v6, v6, s18
	s_delay_alu instid0(VALU_DEP_1) | instskip(NEXT) | instid1(VALU_DEP_1)
	v_sub_nc_u32_e32 v2, v2, v6
	v_cmp_lt_u32_e32 vcc_lo, s20, v2
	v_cmpx_ge_u32_e64 s20, v2
	s_cbranch_execz .LBB1768_96
; %bb.95:
	v_dual_add_nc_u32 v2, s22, v10 :: v_dual_add_nc_u32 v6, s42, v10
	s_delay_alu instid0(VALU_DEP_1) | instskip(NEXT) | instid1(VALU_DEP_2)
	v_mul_lo_u32 v2, v2, s21
	v_mul_lo_u32 v6, v6, s23
	s_delay_alu instid0(VALU_DEP_1) | instskip(NEXT) | instid1(VALU_DEP_1)
	v_sub_nc_u32_e32 v2, v2, v6
	v_cmp_lt_u32_e64 s0, s43, v2
	s_and_b32 s2, s0, exec_lo
.LBB1768_96:
	s_or_b32 exec_lo, exec_lo, s3
	v_dual_lshrrev_b32 v2, 24, v5 :: v_dual_lshrrev_b32 v8, 8, v3
	v_cndmask_b32_e64 v6, 0, 1, s2
	v_cndmask_b32_e64 v7, 0, 1, vcc_lo
	v_lshlrev_b16 v4, 8, v4
	s_delay_alu instid0(VALU_DEP_4)
	v_lshlrev_b16 v2, 8, v2
	v_lshrrev_b32_e32 v9, 16, v3
	v_lshlrev_b16 v6, 8, v6
	v_lshlrev_b16 v8, 8, v8
	v_bitop3_b16 v4, v5, v4, 0xff bitop3:0xec
	v_or_b32_e32 v2, v7, v2
	s_delay_alu instid0(VALU_DEP_4) | instskip(NEXT) | instid1(VALU_DEP_4)
	v_bitop3_b16 v5, v9, v6, 0xff bitop3:0xec
	v_bitop3_b16 v3, v3, v8, 0xff bitop3:0xec
	s_delay_alu instid0(VALU_DEP_4) | instskip(NEXT) | instid1(VALU_DEP_3)
	v_and_b32_e32 v4, 0xffff, v4
	v_dual_lshlrev_b32 v2, 16, v2 :: v_dual_lshlrev_b32 v5, 16, v5
	s_delay_alu instid0(VALU_DEP_3) | instskip(NEXT) | instid1(VALU_DEP_2)
	v_and_b32_e32 v3, 0xffff, v3
	v_or_b32_e32 v2, v4, v2
	s_delay_alu instid0(VALU_DEP_2)
	v_or_b32_e32 v35, v3, v5
.LBB1768_97:
	s_or_b32 exec_lo, exec_lo, s1
	v_dual_mov_b32 v34, 0 :: v_dual_add_nc_u32 v3, 11, v30
	s_mov_b32 s0, exec_lo
                                        ; implicit-def: $vgpr36
	s_delay_alu instid0(VALU_DEP_1)
	v_cmpx_le_u32_e64 s6, v3
	s_xor_b32 s0, exec_lo, s0
; %bb.98:
	v_and_b32_e32 v3, 0xff0000, v2
	v_perm_b32 v1, v1, v1, 0x3060504
	s_delay_alu instid0(VALU_DEP_2)
	v_perm_b32 v36, v2, v3, 0x3020504
                                        ; implicit-def: $vgpr2
; %bb.99:
	s_and_not1_saveexec_b32 s1, s0
	s_cbranch_execz .LBB1768_103
; %bb.100:
	v_dual_add_nc_u32 v3, s17, v11 :: v_dual_add_nc_u32 v4, s19, v11
	s_mov_b32 s2, 0
	s_mov_b32 s3, exec_lo
	s_delay_alu instid0(VALU_DEP_1) | instskip(NEXT) | instid1(VALU_DEP_2)
	v_mul_lo_u32 v3, v3, s16
	v_mul_lo_u32 v4, v4, s18
	s_delay_alu instid0(VALU_DEP_1) | instskip(NEXT) | instid1(VALU_DEP_1)
	v_sub_nc_u32_e32 v3, v3, v4
	v_cmp_lt_u32_e32 vcc_lo, s20, v3
	v_cmpx_ge_u32_e64 s20, v3
	s_cbranch_execz .LBB1768_102
; %bb.101:
	v_dual_add_nc_u32 v3, s22, v11 :: v_dual_add_nc_u32 v4, s42, v11
	s_delay_alu instid0(VALU_DEP_1) | instskip(NEXT) | instid1(VALU_DEP_2)
	v_mul_lo_u32 v3, v3, s21
	v_mul_lo_u32 v4, v4, s23
	s_delay_alu instid0(VALU_DEP_1) | instskip(NEXT) | instid1(VALU_DEP_1)
	v_sub_nc_u32_e32 v3, v3, v4
	v_cmp_lt_u32_e64 s0, s43, v3
	s_and_b32 s2, s0, exec_lo
.LBB1768_102:
	s_or_b32 exec_lo, exec_lo, s3
	v_cndmask_b32_e64 v3, 0, 1, vcc_lo
	v_dual_lshrrev_b32 v4, 8, v2 :: v_dual_lshrrev_b32 v5, 16, v2
	v_cndmask_b32_e64 v34, 0, 1, s2
	s_delay_alu instid0(VALU_DEP_3) | instskip(NEXT) | instid1(VALU_DEP_3)
	v_lshlrev_b16 v3, 8, v3
	v_lshlrev_b16 v4, 8, v4
	s_delay_alu instid0(VALU_DEP_2) | instskip(NEXT) | instid1(VALU_DEP_2)
	v_bitop3_b16 v3, v5, v3, 0xff bitop3:0xec
	v_bitop3_b16 v2, v2, v4, 0xff bitop3:0xec
	s_delay_alu instid0(VALU_DEP_2) | instskip(NEXT) | instid1(VALU_DEP_2)
	v_lshlrev_b32_e32 v3, 16, v3
	v_and_b32_e32 v2, 0xffff, v2
	s_delay_alu instid0(VALU_DEP_1)
	v_or_b32_e32 v36, v2, v3
.LBB1768_103:
	s_or_b32 exec_lo, exec_lo, s1
	v_dual_add_nc_u32 v4, 12, v30 :: v_dual_lshrrev_b32 v2, 8, v1
	v_dual_lshrrev_b32 v3, 16, v1 :: v_dual_lshrrev_b32 v1, 24, v1
	s_mov_b32 s0, exec_lo
                                        ; implicit-def: $vgpr37
	s_delay_alu instid0(VALU_DEP_2)
	v_cmpx_le_u32_e64 s6, v4
	s_xor_b32 s0, exec_lo, s0
; %bb.104:
	s_delay_alu instid0(VALU_DEP_2) | instskip(SKIP_1) | instid1(VALU_DEP_2)
	v_lshlrev_b16 v1, 8, v1
	v_lshlrev_b16 v2, 8, v2
	v_bitop3_b16 v1, v3, v1, 0xff bitop3:0xec
	s_delay_alu instid0(VALU_DEP_2) | instskip(NEXT) | instid1(VALU_DEP_2)
	v_and_b32_e32 v2, 0xffff, v2
                                        ; implicit-def: $vgpr3
	v_lshlrev_b32_e32 v1, 16, v1
	s_delay_alu instid0(VALU_DEP_1)
	v_or_b32_e32 v37, v2, v1
                                        ; implicit-def: $vgpr1
                                        ; implicit-def: $vgpr2
; %bb.105:
	s_or_saveexec_b32 s1, s0
	v_mov_b32_e32 v38, 0
	s_xor_b32 exec_lo, exec_lo, s1
	s_cbranch_execz .LBB1768_109
; %bb.106:
	v_dual_add_nc_u32 v4, s19, v28 :: v_dual_add_nc_u32 v5, s17, v28
	s_mov_b32 s2, 0
	s_mov_b32 s3, exec_lo
	s_delay_alu instid0(VALU_DEP_1) | instskip(NEXT) | instid1(VALU_DEP_2)
	v_mul_lo_u32 v4, v4, s18
	v_mul_lo_u32 v5, v5, s16
	s_delay_alu instid0(VALU_DEP_1) | instskip(NEXT) | instid1(VALU_DEP_1)
	v_sub_nc_u32_e32 v4, v5, v4
	v_cmp_lt_u32_e32 vcc_lo, s20, v4
	v_cmpx_ge_u32_e64 s20, v4
	s_cbranch_execz .LBB1768_108
; %bb.107:
	v_dual_add_nc_u32 v4, s42, v28 :: v_dual_add_nc_u32 v5, s22, v28
	s_delay_alu instid0(VALU_DEP_1) | instskip(NEXT) | instid1(VALU_DEP_2)
	v_mul_lo_u32 v4, v4, s23
	v_mul_lo_u32 v5, v5, s21
	s_delay_alu instid0(VALU_DEP_1) | instskip(NEXT) | instid1(VALU_DEP_1)
	v_sub_nc_u32_e32 v4, v5, v4
	v_cmp_lt_u32_e64 s0, s43, v4
	s_and_b32 s2, s0, exec_lo
.LBB1768_108:
	s_or_b32 exec_lo, exec_lo, s3
	v_cndmask_b32_e64 v4, 0, 1, vcc_lo
	v_lshlrev_b16 v1, 8, v1
	v_lshlrev_b16 v2, 8, v2
	v_cndmask_b32_e64 v38, 0, 1, s2
	s_delay_alu instid0(VALU_DEP_3) | instskip(NEXT) | instid1(VALU_DEP_1)
	v_bitop3_b16 v1, v3, v1, 0xff bitop3:0xec
	v_dual_lshlrev_b32 v1, 16, v1 :: v_dual_bitop2_b32 v2, v4, v2 bitop3:0x54
	s_delay_alu instid0(VALU_DEP_1) | instskip(NEXT) | instid1(VALU_DEP_1)
	v_and_b32_e32 v2, 0xffff, v2
	v_or_b32_e32 v37, v2, v1
.LBB1768_109:
	s_or_b32 exec_lo, exec_lo, s1
.LBB1768_110:
	v_and_b32_e32 v61, 0xff, v31
	s_delay_alu instid0(VALU_DEP_2)
	v_bfe_u32 v62, v37, 8, 8
	v_bfe_u32 v59, v31, 8, 8
	;; [unrolled: 1-line block ×4, first 2 shown]
	v_dual_lshrrev_b32 v44, 24, v37 :: v_dual_lshrrev_b32 v43, 24, v31
	v_and_b32_e32 v57, 0xff, v32
	v_and_b32_e32 v55, 0xff, v33
	v_bfe_u32 v56, v32, 8, 8
	v_add3_u32 v1, v59, v61, v58
	v_add3_u32 v2, v60, v62, v44
	v_bfe_u32 v53, v33, 8, 8
	v_bfe_u32 v54, v32, 16, 8
	;; [unrolled: 1-line block ×3, first 2 shown]
	v_dual_lshrrev_b32 v42, 24, v32 :: v_dual_lshrrev_b32 v41, 24, v33
	v_add3_u32 v1, v1, v43, v55
	v_add3_u32 v2, v2, v57, v56
	v_and_b32_e32 v52, 0xff, v35
	v_and_b32_e32 v48, 0xff, v36
	v_bfe_u32 v50, v35, 8, 8
	v_add3_u32 v1, v1, v53, v51
	v_add3_u32 v2, v2, v54, v42
	v_bfe_u32 v47, v36, 8, 8
	v_bfe_u32 v49, v35, 16, 8
	;; [unrolled: 1-line block ×3, first 2 shown]
	v_dual_lshrrev_b32 v40, 24, v35 :: v_dual_lshrrev_b32 v39, 24, v36
	v_add3_u32 v1, v1, v41, v48
	v_add3_u32 v2, v2, v52, v50
	v_mbcnt_lo_u32_b32 v63, -1, 0
	v_and_b32_e32 v45, 0xff, v34
	v_and_b32_e32 v3, 0xff, v37
	;; [unrolled: 1-line block ×3, first 2 shown]
	v_add3_u32 v1, v1, v47, v46
	v_add3_u32 v2, v2, v49, v40
	v_dual_lshrrev_b32 v64, 5, v0 :: v_dual_bitop2_b32 v65, 15, v63 bitop3:0x40
	v_and_b32_e32 v67, 16, v63
	s_delay_alu instid0(VALU_DEP_4) | instskip(NEXT) | instid1(VALU_DEP_4)
	v_add3_u32 v68, v1, v39, v3
	v_add3_u32 v69, v2, v45, v4
	s_wait_xcnt 0x0
	v_cmp_eq_u32_e64 s1, 0, v65
	v_cmp_lt_u32_e64 s0, 1, v65
	v_cmp_lt_u32_e64 s2, 3, v65
	v_or_b32_e32 v66, 31, v0
	s_cmp_lg_u32 s33, 0
	s_mov_b32 s3, -1
	v_cmp_lt_u32_e32 vcc_lo, 7, v65
	s_cbranch_scc0 .LBB1768_131
; %bb.111:
	v_mov_b32_dpp v1, v69 row_shr:1 row_mask:0xf bank_mask:0xf
	v_mov_b32_dpp v2, v68 row_shr:1 row_mask:0xf bank_mask:0xf
	s_mov_b32 s3, exec_lo
	s_delay_alu instid0(VALU_DEP_1) | instskip(NEXT) | instid1(VALU_DEP_1)
	v_dual_add_nc_u32 v1, v1, v69 :: v_dual_add_nc_u32 v2, v2, v68
	v_dual_cndmask_b32 v1, v1, v69, s1 :: v_dual_cndmask_b32 v2, v2, v68, s1
	s_delay_alu instid0(VALU_DEP_1) | instskip(NEXT) | instid1(VALU_DEP_2)
	v_mov_b32_dpp v3, v1 row_shr:2 row_mask:0xf bank_mask:0xf
	v_mov_b32_dpp v4, v2 row_shr:2 row_mask:0xf bank_mask:0xf
	s_delay_alu instid0(VALU_DEP_1) | instskip(NEXT) | instid1(VALU_DEP_1)
	v_dual_add_nc_u32 v3, v1, v3 :: v_dual_add_nc_u32 v4, v2, v4
	v_dual_cndmask_b32 v1, v1, v3, s0 :: v_dual_cndmask_b32 v2, v2, v4, s0
	s_delay_alu instid0(VALU_DEP_1) | instskip(NEXT) | instid1(VALU_DEP_2)
	v_mov_b32_dpp v3, v1 row_shr:4 row_mask:0xf bank_mask:0xf
	v_mov_b32_dpp v4, v2 row_shr:4 row_mask:0xf bank_mask:0xf
	;; [unrolled: 6-line block ×3, first 2 shown]
	s_delay_alu instid0(VALU_DEP_1) | instskip(NEXT) | instid1(VALU_DEP_1)
	v_dual_add_nc_u32 v3, v1, v3 :: v_dual_add_nc_u32 v4, v2, v4
	v_dual_cndmask_b32 v1, v1, v3 :: v_dual_cndmask_b32 v2, v2, v4
	v_cmp_eq_u32_e32 vcc_lo, 0, v67
	ds_swizzle_b32 v3, v1 offset:swizzle(BROADCAST,32,15)
	ds_swizzle_b32 v4, v2 offset:swizzle(BROADCAST,32,15)
	s_wait_dscnt 0x0
	v_dual_add_nc_u32 v3, v1, v3 :: v_dual_add_nc_u32 v4, v2, v4
	v_cmpx_eq_u32_e64 v0, v66
; %bb.112:
	s_delay_alu instid0(VALU_DEP_2) | instskip(NEXT) | instid1(VALU_DEP_3)
	v_dual_lshlrev_b32 v5, 3, v64 :: v_dual_cndmask_b32 v7, v3, v1, vcc_lo
	v_cndmask_b32_e32 v6, v4, v2, vcc_lo
	ds_store_b64 v5, v[6:7]
; %bb.113:
	s_or_b32 exec_lo, exec_lo, s3
	s_delay_alu instid0(SALU_CYCLE_1)
	s_mov_b32 s3, exec_lo
	s_wait_dscnt 0x0
	s_barrier_signal -1
	s_barrier_wait -1
	v_cmpx_gt_u32_e32 8, v0
	s_cbranch_execz .LBB1768_115
; %bb.114:
	v_dual_lshlrev_b32 v5, 3, v0 :: v_dual_bitop2_b32 v22, 7, v63 bitop3:0x40
	ds_load_b64 v[6:7], v5
	v_cmp_eq_u32_e64 s2, 0, v22
	s_wait_dscnt 0x0
	v_mov_b32_dpp v8, v6 row_shr:1 row_mask:0xf bank_mask:0xf
	v_mov_b32_dpp v9, v7 row_shr:1 row_mask:0xf bank_mask:0xf
	s_delay_alu instid0(VALU_DEP_1) | instskip(NEXT) | instid1(VALU_DEP_1)
	v_dual_add_nc_u32 v8, v8, v6 :: v_dual_add_nc_u32 v9, v9, v7
	v_dual_cndmask_b32 v6, v8, v6, s2 :: v_dual_cndmask_b32 v7, v9, v7, s2
	v_cmp_lt_u32_e64 s2, 1, v22
	s_delay_alu instid0(VALU_DEP_2) | instskip(NEXT) | instid1(VALU_DEP_3)
	v_mov_b32_dpp v8, v6 row_shr:2 row_mask:0xf bank_mask:0xf
	v_mov_b32_dpp v9, v7 row_shr:2 row_mask:0xf bank_mask:0xf
	s_delay_alu instid0(VALU_DEP_1) | instskip(NEXT) | instid1(VALU_DEP_1)
	v_dual_add_nc_u32 v8, v6, v8 :: v_dual_add_nc_u32 v9, v7, v9
	v_dual_cndmask_b32 v6, v6, v8, s2 :: v_dual_cndmask_b32 v7, v7, v9, s2
	v_cmp_lt_u32_e64 s2, 3, v22
	s_delay_alu instid0(VALU_DEP_2) | instskip(NEXT) | instid1(VALU_DEP_3)
	v_mov_b32_dpp v8, v6 row_shr:4 row_mask:0xf bank_mask:0xf
	v_mov_b32_dpp v9, v7 row_shr:4 row_mask:0xf bank_mask:0xf
	s_delay_alu instid0(VALU_DEP_1) | instskip(NEXT) | instid1(VALU_DEP_1)
	v_dual_cndmask_b32 v8, 0, v8, s2 :: v_dual_cndmask_b32 v9, 0, v9, s2
	v_dual_add_nc_u32 v6, v8, v6 :: v_dual_add_nc_u32 v7, v9, v7
	ds_store_b64 v5, v[6:7]
.LBB1768_115:
	s_or_b32 exec_lo, exec_lo, s3
	v_dual_cndmask_b32 v1, v3, v1 :: v_dual_cndmask_b32 v2, v4, v2
	s_mov_b32 s3, exec_lo
	v_cmp_gt_u32_e32 vcc_lo, 32, v0
	s_wait_dscnt 0x0
	s_barrier_signal -1
	s_barrier_wait -1
                                        ; implicit-def: $vgpr22
	v_cmpx_lt_u32_e32 31, v0
	s_cbranch_execz .LBB1768_117
; %bb.116:
	v_lshl_add_u32 v3, v64, 3, -8
	ds_load_b64 v[22:23], v3
	s_wait_dscnt 0x0
	v_dual_add_nc_u32 v1, v23, v1 :: v_dual_add_nc_u32 v2, v22, v2
.LBB1768_117:
	s_or_b32 exec_lo, exec_lo, s3
	v_sub_co_u32 v3, s2, v63, 1
	s_delay_alu instid0(VALU_DEP_1) | instskip(NEXT) | instid1(VALU_DEP_1)
	v_cmp_gt_i32_e64 s3, 0, v3
	v_cndmask_b32_e64 v3, v3, v63, s3
	s_delay_alu instid0(VALU_DEP_1)
	v_lshlrev_b32_e32 v3, 2, v3
	ds_bpermute_b32 v70, v3, v2
	ds_bpermute_b32 v1, v3, v1
	s_and_saveexec_b32 s3, vcc_lo
	s_cbranch_execz .LBB1768_136
; %bb.118:
	v_mov_b32_e32 v5, 0
	ds_load_b64 v[2:3], v5 offset:56
	s_and_saveexec_b32 s7, s2
	s_cbranch_execz .LBB1768_120
; %bb.119:
	s_add_co_i32 s8, s33, 32
	s_mov_b32 s9, 0
	v_mov_b32_e32 v4, 1
	s_lshl_b64 s[8:9], s[8:9], 4
	s_wait_kmcnt 0x0
	s_add_nc_u64 s[8:9], s[4:5], s[8:9]
	s_delay_alu instid0(SALU_CYCLE_1)
	v_mov_b64_e32 v[6:7], s[8:9]
	s_wait_dscnt 0x0
	;;#ASMSTART
	global_store_b128 v[6:7], v[2:5] off scope:SCOPE_DEV	
s_wait_storecnt 0x0
	;;#ASMEND
.LBB1768_120:
	s_or_b32 exec_lo, exec_lo, s7
	v_xad_u32 v24, v63, -1, s33
	s_mov_b32 s8, 0
	s_mov_b32 s7, exec_lo
	s_delay_alu instid0(VALU_DEP_1) | instskip(SKIP_1) | instid1(VALU_DEP_1)
	v_add_nc_u32_e32 v4, 32, v24
	s_wait_kmcnt 0x0
	v_lshl_add_u64 v[4:5], v[4:5], 4, s[4:5]
	;;#ASMSTART
	global_load_b128 v[6:9], v[4:5] off scope:SCOPE_DEV	
s_wait_loadcnt 0x0
	;;#ASMEND
	v_and_b32_e32 v9, 0xff, v8
	s_delay_alu instid0(VALU_DEP_1)
	v_cmpx_eq_u16_e32 0, v9
	s_cbranch_execz .LBB1768_123
.LBB1768_121:                           ; =>This Inner Loop Header: Depth=1
	;;#ASMSTART
	global_load_b128 v[6:9], v[4:5] off scope:SCOPE_DEV	
s_wait_loadcnt 0x0
	;;#ASMEND
	v_and_b32_e32 v9, 0xff, v8
	s_delay_alu instid0(VALU_DEP_1) | instskip(SKIP_1) | instid1(SALU_CYCLE_1)
	v_cmp_ne_u16_e32 vcc_lo, 0, v9
	s_or_b32 s8, vcc_lo, s8
	s_and_not1_b32 exec_lo, exec_lo, s8
	s_cbranch_execnz .LBB1768_121
; %bb.122:
	s_or_b32 exec_lo, exec_lo, s8
.LBB1768_123:
	s_delay_alu instid0(SALU_CYCLE_1)
	s_or_b32 exec_lo, exec_lo, s7
	v_cmp_ne_u32_e32 vcc_lo, 31, v63
	v_lshlrev_b32_e64 v72, v63, -1
	v_lshl_or_b32 v79, v63, 2, 64
	v_dual_add_nc_u32 v76, 4, v63 :: v_dual_add_nc_u32 v80, 16, v63
	v_add_co_ci_u32_e64 v4, null, 0, v63, vcc_lo
	s_delay_alu instid0(VALU_DEP_1)
	v_lshlrev_b32_e32 v71, 2, v4
	v_and_b32_e32 v4, 0xff, v8
	ds_bpermute_b32 v5, v71, v7
	v_cmp_eq_u16_e32 vcc_lo, 2, v4
	s_wait_dscnt 0x0
	v_add_nc_u32_e32 v5, v5, v7
	ds_bpermute_b32 v4, v71, v6
	v_and_b32_e32 v9, vcc_lo, v72
	v_cmp_gt_u32_e32 vcc_lo, 30, v63
	v_cndmask_b32_e64 v25, 0, 2, vcc_lo
	s_delay_alu instid0(VALU_DEP_1) | instskip(SKIP_3) | instid1(VALU_DEP_1)
	v_add_lshl_u32 v73, v25, v63, 2
	s_wait_dscnt 0x0
	v_add_nc_u32_e32 v4, v4, v6
	v_or_b32_e32 v9, 0x80000000, v9
	v_ctz_i32_b32_e32 v9, v9
	s_delay_alu instid0(VALU_DEP_1) | instskip(NEXT) | instid1(VALU_DEP_4)
	v_cmp_lt_u32_e32 vcc_lo, v63, v9
	v_dual_cndmask_b32 v5, v7, v5 :: v_dual_cndmask_b32 v4, v6, v4
	v_cmp_gt_u32_e32 vcc_lo, 28, v63
	ds_bpermute_b32 v6, v73, v5
	ds_bpermute_b32 v7, v73, v4
	v_add_nc_u32_e32 v74, 2, v63
	v_cndmask_b32_e64 v25, 0, 4, vcc_lo
	s_delay_alu instid0(VALU_DEP_1) | instskip(SKIP_4) | instid1(VALU_DEP_2)
	v_add_lshl_u32 v75, v25, v63, 2
	s_wait_dscnt 0x1
	v_add_nc_u32_e32 v6, v5, v6
	v_cmp_gt_u32_e32 vcc_lo, v74, v9
	s_wait_dscnt 0x0
	v_dual_add_nc_u32 v7, v4, v7 :: v_dual_cndmask_b32 v5, v6, v5, vcc_lo
	s_delay_alu instid0(VALU_DEP_1)
	v_cndmask_b32_e32 v4, v7, v4, vcc_lo
	v_cmp_gt_u32_e32 vcc_lo, 24, v63
	ds_bpermute_b32 v6, v75, v5
	ds_bpermute_b32 v7, v75, v4
	v_cndmask_b32_e64 v25, 0, 8, vcc_lo
	v_cmp_gt_u32_e32 vcc_lo, v76, v9
	s_delay_alu instid0(VALU_DEP_2) | instskip(SKIP_3) | instid1(VALU_DEP_1)
	v_add_lshl_u32 v77, v25, v63, 2
	s_wait_dscnt 0x1
	v_dual_mov_b32 v25, 0 :: v_dual_add_nc_u32 v6, v5, v6
	s_wait_dscnt 0x0
	v_dual_add_nc_u32 v7, v4, v7 :: v_dual_cndmask_b32 v5, v6, v5, vcc_lo
	s_delay_alu instid0(VALU_DEP_1) | instskip(SKIP_4) | instid1(VALU_DEP_1)
	v_cndmask_b32_e32 v4, v7, v4, vcc_lo
	ds_bpermute_b32 v6, v77, v5
	ds_bpermute_b32 v7, v77, v4
	s_wait_dscnt 0x1
	v_dual_add_nc_u32 v78, 8, v63 :: v_dual_add_nc_u32 v6, v5, v6
	v_cmp_gt_u32_e32 vcc_lo, v78, v9
	s_wait_dscnt 0x0
	s_delay_alu instid0(VALU_DEP_2) | instskip(NEXT) | instid1(VALU_DEP_1)
	v_dual_add_nc_u32 v7, v4, v7 :: v_dual_cndmask_b32 v5, v6, v5, vcc_lo
	v_cndmask_b32_e32 v4, v7, v4, vcc_lo
	v_cmp_le_u32_e32 vcc_lo, v80, v9
	ds_bpermute_b32 v7, v79, v5
	ds_bpermute_b32 v6, v79, v4
	s_wait_dscnt 0x0
	v_dual_cndmask_b32 v7, 0, v7 :: v_dual_cndmask_b32 v6, 0, v6
	s_delay_alu instid0(VALU_DEP_1)
	v_dual_add_nc_u32 v7, v7, v5 :: v_dual_add_nc_u32 v6, v6, v4
	s_branch .LBB1768_127
.LBB1768_124:                           ;   in Loop: Header=BB1768_127 Depth=1
	s_or_b32 exec_lo, exec_lo, s8
.LBB1768_125:                           ;   in Loop: Header=BB1768_127 Depth=1
	s_delay_alu instid0(SALU_CYCLE_1)
	s_or_b32 exec_lo, exec_lo, s7
	ds_bpermute_b32 v9, v71, v6
	ds_bpermute_b32 v26, v71, v7
	v_and_b32_e32 v27, 0xff, v8
	v_subrev_nc_u32_e32 v24, 32, v24
	s_mov_b32 s7, 0
	s_delay_alu instid0(VALU_DEP_2) | instskip(SKIP_1) | instid1(VALU_DEP_1)
	v_cmp_eq_u16_e32 vcc_lo, 2, v27
	v_and_or_b32 v27, vcc_lo, v72, 0x80000000
	v_ctz_i32_b32_e32 v27, v27
	s_wait_dscnt 0x0
	v_dual_add_nc_u32 v9, v9, v6 :: v_dual_add_nc_u32 v26, v26, v7
	s_delay_alu instid0(VALU_DEP_2) | instskip(NEXT) | instid1(VALU_DEP_2)
	v_cmp_lt_u32_e32 vcc_lo, v63, v27
	v_dual_cndmask_b32 v7, v7, v26 :: v_dual_cndmask_b32 v6, v6, v9
	v_cmp_gt_u32_e32 vcc_lo, v74, v27
	ds_bpermute_b32 v26, v73, v7
	ds_bpermute_b32 v9, v73, v6
	s_wait_dscnt 0x0
	v_dual_add_nc_u32 v26, v7, v26 :: v_dual_add_nc_u32 v9, v6, v9
	s_delay_alu instid0(VALU_DEP_1)
	v_dual_cndmask_b32 v7, v26, v7 :: v_dual_cndmask_b32 v6, v9, v6
	v_cmp_gt_u32_e32 vcc_lo, v76, v27
	ds_bpermute_b32 v26, v75, v7
	ds_bpermute_b32 v9, v75, v6
	s_wait_dscnt 0x0
	v_dual_add_nc_u32 v26, v7, v26 :: v_dual_add_nc_u32 v9, v6, v9
	s_delay_alu instid0(VALU_DEP_1)
	;; [unrolled: 7-line block ×3, first 2 shown]
	v_dual_cndmask_b32 v7, v26, v7 :: v_dual_cndmask_b32 v6, v9, v6
	v_cmp_le_u32_e32 vcc_lo, v80, v27
	ds_bpermute_b32 v26, v79, v7
	ds_bpermute_b32 v9, v79, v6
	s_wait_dscnt 0x0
	v_dual_cndmask_b32 v26, 0, v26 :: v_dual_cndmask_b32 v9, 0, v9
	s_delay_alu instid0(VALU_DEP_1) | instskip(NEXT) | instid1(VALU_DEP_2)
	v_add3_u32 v7, v7, v5, v26
	v_add3_u32 v6, v6, v4, v9
.LBB1768_126:                           ;   in Loop: Header=BB1768_127 Depth=1
	s_and_b32 vcc_lo, exec_lo, s7
	s_cbranch_vccnz .LBB1768_132
.LBB1768_127:                           ; =>This Loop Header: Depth=1
                                        ;     Child Loop BB1768_130 Depth 2
	v_and_b32_e32 v4, 0xff, v8
	s_mov_b32 s7, -1
                                        ; implicit-def: $vgpr8
	s_delay_alu instid0(VALU_DEP_1)
	v_cmp_ne_u16_e32 vcc_lo, 2, v4
	v_mov_b64_e32 v[4:5], v[6:7]
                                        ; implicit-def: $vgpr6_vgpr7
	s_cmp_lg_u32 vcc_lo, exec_lo
	s_cbranch_scc1 .LBB1768_126
; %bb.128:                              ;   in Loop: Header=BB1768_127 Depth=1
	v_lshl_add_u64 v[26:27], v[24:25], 4, s[4:5]
	;;#ASMSTART
	global_load_b128 v[6:9], v[26:27] off scope:SCOPE_DEV	
s_wait_loadcnt 0x0
	;;#ASMEND
	v_and_b32_e32 v9, 0xff, v8
	s_mov_b32 s7, exec_lo
	s_delay_alu instid0(VALU_DEP_1)
	v_cmpx_eq_u16_e32 0, v9
	s_cbranch_execz .LBB1768_125
; %bb.129:                              ;   in Loop: Header=BB1768_127 Depth=1
	s_mov_b32 s8, 0
.LBB1768_130:                           ;   Parent Loop BB1768_127 Depth=1
                                        ; =>  This Inner Loop Header: Depth=2
	;;#ASMSTART
	global_load_b128 v[6:9], v[26:27] off scope:SCOPE_DEV	
s_wait_loadcnt 0x0
	;;#ASMEND
	v_and_b32_e32 v9, 0xff, v8
	s_delay_alu instid0(VALU_DEP_1) | instskip(SKIP_1) | instid1(SALU_CYCLE_1)
	v_cmp_ne_u16_e32 vcc_lo, 0, v9
	s_or_b32 s8, vcc_lo, s8
	s_and_not1_b32 exec_lo, exec_lo, s8
	s_cbranch_execnz .LBB1768_130
	s_branch .LBB1768_124
.LBB1768_131:
                                        ; implicit-def: $vgpr1
                                        ; implicit-def: $vgpr4
                                        ; implicit-def: $vgpr6
                                        ; implicit-def: $vgpr8
                                        ; implicit-def: $vgpr22
	s_and_b32 vcc_lo, exec_lo, s3
	s_cbranch_vccnz .LBB1768_137
	s_branch .LBB1768_146
.LBB1768_132:
	s_and_saveexec_b32 s7, s2
	s_cbranch_execz .LBB1768_134
; %bb.133:
	s_add_co_i32 s8, s33, 32
	s_mov_b32 s9, 0
	v_dual_mov_b32 v8, 2 :: v_dual_mov_b32 v9, 0
	s_lshl_b64 s[8:9], s[8:9], 4
	v_dual_add_nc_u32 v7, v5, v3 :: v_dual_add_nc_u32 v6, v4, v2
	s_add_nc_u64 s[8:9], s[4:5], s[8:9]
	s_delay_alu instid0(SALU_CYCLE_1)
	v_mov_b64_e32 v[24:25], s[8:9]
	;;#ASMSTART
	global_store_b128 v[24:25], v[6:9] off scope:SCOPE_DEV	
s_wait_storecnt 0x0
	;;#ASMEND
	ds_store_b128 v9, v[2:5] offset:13312
.LBB1768_134:
	s_or_b32 exec_lo, exec_lo, s7
	v_cmp_eq_u32_e32 vcc_lo, 0, v0
	s_and_b32 exec_lo, exec_lo, vcc_lo
; %bb.135:
	v_mov_b32_e32 v2, 0
	ds_store_b64 v2, v[4:5] offset:56
.LBB1768_136:
	s_or_b32 exec_lo, exec_lo, s3
	s_wait_dscnt 0x0
	v_dual_mov_b32 v2, 0 :: v_dual_cndmask_b32 v1, v1, v23, s2
	s_barrier_signal -1
	s_barrier_wait -1
	ds_load_b64 v[8:9], v2 offset:56
	s_wait_dscnt 0x0
	s_barrier_signal -1
	s_barrier_wait -1
	ds_load_b128 v[2:5], v2 offset:13312
	v_cndmask_b32_e64 v6, v70, v22, s2
	v_cmp_eq_u32_e32 vcc_lo, 0, v0
	s_delay_alu instid0(VALU_DEP_2) | instskip(SKIP_2) | instid1(VALU_DEP_2)
	v_dual_add_nc_u32 v1, v9, v1 :: v_dual_add_nc_u32 v7, v8, v6
	s_wait_dscnt 0x0
	v_mov_b32_e32 v6, v5
	v_dual_cndmask_b32 v1, v1, v9 :: v_dual_cndmask_b32 v22, v7, v8
	v_mov_b32_e32 v8, v3
	s_branch .LBB1768_146
.LBB1768_137:
	v_mov_b32_dpp v1, v68 row_shr:1 row_mask:0xf bank_mask:0xf
	v_mov_b32_dpp v2, v69 row_shr:1 row_mask:0xf bank_mask:0xf
	v_cmp_lt_u32_e32 vcc_lo, 3, v65
	s_delay_alu instid0(VALU_DEP_2) | instskip(NEXT) | instid1(VALU_DEP_1)
	v_dual_add_nc_u32 v1, v1, v68 :: v_dual_add_nc_u32 v2, v2, v69
	v_dual_cndmask_b32 v1, v1, v68, s1 :: v_dual_cndmask_b32 v2, v2, v69, s1
	s_mov_b32 s1, exec_lo
	s_delay_alu instid0(VALU_DEP_1) | instskip(NEXT) | instid1(VALU_DEP_2)
	v_mov_b32_dpp v3, v1 row_shr:2 row_mask:0xf bank_mask:0xf
	v_mov_b32_dpp v4, v2 row_shr:2 row_mask:0xf bank_mask:0xf
	s_delay_alu instid0(VALU_DEP_1) | instskip(NEXT) | instid1(VALU_DEP_1)
	v_dual_add_nc_u32 v3, v1, v3 :: v_dual_add_nc_u32 v4, v2, v4
	v_dual_cndmask_b32 v1, v1, v3, s0 :: v_dual_cndmask_b32 v2, v2, v4, s0
	s_delay_alu instid0(VALU_DEP_1) | instskip(NEXT) | instid1(VALU_DEP_2)
	v_mov_b32_dpp v3, v1 row_shr:4 row_mask:0xf bank_mask:0xf
	v_mov_b32_dpp v4, v2 row_shr:4 row_mask:0xf bank_mask:0xf
	s_delay_alu instid0(VALU_DEP_1) | instskip(NEXT) | instid1(VALU_DEP_1)
	v_dual_add_nc_u32 v3, v1, v3 :: v_dual_add_nc_u32 v4, v2, v4
	v_dual_cndmask_b32 v3, v1, v3 :: v_dual_cndmask_b32 v2, v2, v4
	v_cmp_lt_u32_e32 vcc_lo, 7, v65
	s_delay_alu instid0(VALU_DEP_2) | instskip(NEXT) | instid1(VALU_DEP_3)
	v_mov_b32_dpp v1, v3 row_shr:8 row_mask:0xf bank_mask:0xf
	v_mov_b32_dpp v4, v2 row_shr:8 row_mask:0xf bank_mask:0xf
	s_delay_alu instid0(VALU_DEP_1) | instskip(NEXT) | instid1(VALU_DEP_1)
	v_dual_add_nc_u32 v5, v3, v1 :: v_dual_add_nc_u32 v1, v2, v4
	v_cndmask_b32_e32 v1, v2, v1, vcc_lo
	s_delay_alu instid0(VALU_DEP_2)
	v_cndmask_b32_e32 v2, v3, v5, vcc_lo
	v_cmp_eq_u32_e32 vcc_lo, 0, v67
	ds_swizzle_b32 v4, v2 offset:swizzle(BROADCAST,32,15)
	s_wait_dscnt 0x0
	v_add_nc_u32_e32 v4, v2, v4
	ds_swizzle_b32 v3, v1 offset:swizzle(BROADCAST,32,15)
	s_wait_dscnt 0x0
	v_add_nc_u32_e32 v3, v1, v3
	v_cmpx_eq_u32_e64 v0, v66
; %bb.138:
	s_delay_alu instid0(VALU_DEP_2)
	v_dual_cndmask_b32 v6, v4, v2 :: v_dual_cndmask_b32 v7, v3, v1
	v_lshlrev_b32_e32 v5, 3, v64
	ds_store_b64 v5, v[6:7]
; %bb.139:
	s_or_b32 exec_lo, exec_lo, s1
	s_delay_alu instid0(SALU_CYCLE_1)
	s_mov_b32 s1, exec_lo
	s_wait_dscnt 0x0
	s_barrier_signal -1
	s_barrier_wait -1
	v_cmpx_gt_u32_e32 8, v0
	s_cbranch_execz .LBB1768_141
; %bb.140:
	v_dual_lshlrev_b32 v5, 3, v0 :: v_dual_bitop2_b32 v22, 7, v63 bitop3:0x40
	ds_load_b64 v[6:7], v5
	v_cmp_eq_u32_e64 s0, 0, v22
	s_wait_dscnt 0x0
	v_mov_b32_dpp v8, v6 row_shr:1 row_mask:0xf bank_mask:0xf
	v_mov_b32_dpp v9, v7 row_shr:1 row_mask:0xf bank_mask:0xf
	s_delay_alu instid0(VALU_DEP_1) | instskip(NEXT) | instid1(VALU_DEP_1)
	v_dual_add_nc_u32 v8, v8, v6 :: v_dual_add_nc_u32 v9, v9, v7
	v_dual_cndmask_b32 v6, v8, v6, s0 :: v_dual_cndmask_b32 v7, v9, v7, s0
	v_cmp_lt_u32_e64 s0, 1, v22
	s_delay_alu instid0(VALU_DEP_2) | instskip(NEXT) | instid1(VALU_DEP_3)
	v_mov_b32_dpp v8, v6 row_shr:2 row_mask:0xf bank_mask:0xf
	v_mov_b32_dpp v9, v7 row_shr:2 row_mask:0xf bank_mask:0xf
	s_delay_alu instid0(VALU_DEP_1) | instskip(NEXT) | instid1(VALU_DEP_1)
	v_dual_add_nc_u32 v8, v6, v8 :: v_dual_add_nc_u32 v9, v7, v9
	v_dual_cndmask_b32 v6, v6, v8, s0 :: v_dual_cndmask_b32 v7, v7, v9, s0
	v_cmp_lt_u32_e64 s0, 3, v22
	s_delay_alu instid0(VALU_DEP_2) | instskip(NEXT) | instid1(VALU_DEP_3)
	v_mov_b32_dpp v8, v6 row_shr:4 row_mask:0xf bank_mask:0xf
	v_mov_b32_dpp v9, v7 row_shr:4 row_mask:0xf bank_mask:0xf
	s_delay_alu instid0(VALU_DEP_1) | instskip(NEXT) | instid1(VALU_DEP_1)
	v_dual_cndmask_b32 v8, 0, v8, s0 :: v_dual_cndmask_b32 v9, 0, v9, s0
	v_dual_add_nc_u32 v6, v8, v6 :: v_dual_add_nc_u32 v7, v9, v7
	ds_store_b64 v5, v[6:7]
.LBB1768_141:
	s_or_b32 exec_lo, exec_lo, s1
	v_dual_mov_b32 v5, 0 :: v_dual_mov_b32 v6, 0
	v_mov_b32_e32 v7, 0
	s_mov_b32 s1, exec_lo
	s_wait_dscnt 0x0
	s_barrier_signal -1
	s_barrier_wait -1
	v_cmpx_lt_u32_e32 31, v0
; %bb.142:
	v_lshl_add_u32 v6, v64, 3, -8
	ds_load_b64 v[6:7], v6
; %bb.143:
	s_or_b32 exec_lo, exec_lo, s1
	v_sub_co_u32 v8, s0, v63, 1
	v_dual_cndmask_b32 v2, v4, v2 :: v_dual_cndmask_b32 v1, v3, v1
	v_cmp_eq_u32_e32 vcc_lo, 0, v0
	s_delay_alu instid0(VALU_DEP_3) | instskip(SKIP_1) | instid1(VALU_DEP_1)
	v_cmp_gt_i32_e64 s1, 0, v8
	s_wait_dscnt 0x0
	v_dual_add_nc_u32 v2, v6, v2 :: v_dual_cndmask_b32 v4, v8, v63, s1
	s_delay_alu instid0(VALU_DEP_1)
	v_dual_lshlrev_b32 v3, 2, v4 :: v_dual_add_nc_u32 v4, v7, v1
	ds_bpermute_b32 v1, v3, v2
	ds_bpermute_b32 v8, v3, v4
	ds_load_b64 v[2:3], v5 offset:56
	s_and_saveexec_b32 s1, vcc_lo
	s_cbranch_execz .LBB1768_145
; %bb.144:
	s_wait_kmcnt 0x0
	s_add_nc_u64 s[2:3], s[4:5], 0x200
	v_dual_mov_b32 v4, 2 :: v_dual_mov_b32 v5, 0
	v_mov_b64_e32 v[22:23], s[2:3]
	s_wait_dscnt 0x0
	;;#ASMSTART
	global_store_b128 v[22:23], v[2:5] off scope:SCOPE_DEV	
s_wait_storecnt 0x0
	;;#ASMEND
.LBB1768_145:
	s_or_b32 exec_lo, exec_lo, s1
	s_wait_dscnt 0x1
	v_dual_cndmask_b32 v5, v8, v7, s0 :: v_dual_cndmask_b32 v7, v1, v6, s0
	v_dual_mov_b32 v6, 0 :: v_dual_mov_b32 v4, 0
	s_wait_dscnt 0x0
	v_mov_b32_e32 v8, v3
	s_delay_alu instid0(VALU_DEP_3)
	v_cndmask_b32_e64 v1, v5, 0, vcc_lo
	v_cndmask_b32_e64 v22, v7, 0, vcc_lo
	s_barrier_signal -1
	s_barrier_wait -1
.LBB1768_146:
	s_delay_alu instid0(VALU_DEP_1) | instskip(SKIP_1) | instid1(VALU_DEP_2)
	v_dual_add_nc_u32 v62, v1, v62 :: v_dual_add_nc_u32 v70, v22, v61
	v_dual_mov_b32 v5, 0 :: v_dual_lshrrev_b32 v68, 16, v37
	v_dual_lshrrev_b32 v3, 8, v37 :: v_dual_add_nc_u32 v71, v62, v60
	s_delay_alu instid0(VALU_DEP_3) | instskip(SKIP_1) | instid1(VALU_DEP_3)
	v_dual_add_nc_u32 v59, v70, v59 :: v_dual_lshlrev_b32 v60, 1, v2
	v_dual_sub_nc_u32 v72, v22, v4 :: v_dual_sub_nc_u32 v1, v1, v6
	v_dual_add_nc_u32 v73, v71, v44 :: v_dual_bitop2_b32 v74, 1, v31 bitop3:0x40
	s_delay_alu instid0(VALU_DEP_3) | instskip(NEXT) | instid1(VALU_DEP_3)
	v_dual_add_nc_u32 v58, v59, v58 :: v_dual_bitop2_b32 v75, 1, v3 bitop3:0x40
	v_dual_add_nc_u32 v1, v1, v2 :: v_dual_sub_nc_u32 v70, v70, v4
	s_delay_alu instid0(VALU_DEP_2)
	v_dual_add_nc_u32 v57, v73, v57 :: v_dual_add_nc_u32 v76, v58, v43
	v_mov_b32_e32 v61, v5
	s_wait_kmcnt 0x0
	v_add_nc_u64_e32 v[22:23], s[28:29], v[4:5]
	v_dual_mov_b32 v3, v5 :: v_dual_mov_b32 v7, v5
	v_dual_add_nc_u32 v55, v76, v55 :: v_dual_add_nc_u32 v56, v57, v56
	v_cmp_eq_u32_e32 vcc_lo, 1, v75
	v_dual_lshrrev_b32 v69, 8, v31 :: v_dual_lshrrev_b32 v67, 16, v31
	s_delay_alu instid0(VALU_DEP_3) | instskip(NEXT) | instid1(VALU_DEP_4)
	v_dual_add_nc_u32 v53, v55, v53 :: v_dual_mov_b32 v9, v5
	v_add_nc_u32_e32 v54, v56, v54
	v_add3_u32 v5, v60, v8, v30
	s_delay_alu instid0(VALU_DEP_3) | instskip(NEXT) | instid1(VALU_DEP_3)
	v_dual_sub_nc_u32 v62, v62, v6 :: v_dual_add_nc_u32 v51, v53, v51
	v_dual_add_nc_u32 v78, v72, v1 :: v_dual_add_nc_u32 v77, v54, v42
	s_delay_alu instid0(VALU_DEP_2) | instskip(NEXT) | instid1(VALU_DEP_2)
	v_dual_sub_nc_u32 v59, v59, v4 :: v_dual_add_nc_u32 v62, v62, v2
	v_dual_add_nc_u32 v79, v51, v41 :: v_dual_sub_nc_u32 v78, v5, v78
	s_delay_alu instid0(VALU_DEP_3) | instskip(SKIP_1) | instid1(VALU_DEP_3)
	v_add_nc_u32_e32 v52, v77, v52
	v_dual_sub_nc_u32 v73, v73, v6 :: v_dual_sub_nc_u32 v58, v58, v4
	v_add_nc_u32_e32 v48, v79, v48
	s_delay_alu instid0(VALU_DEP_4) | instskip(SKIP_2) | instid1(VALU_DEP_4)
	v_dual_sub_nc_u32 v71, v71, v6 :: v_dual_cndmask_b32 v1, v78, v1, vcc_lo
	v_cmp_eq_u32_e32 vcc_lo, 1, v74
	v_add_nc_u32_e32 v50, v52, v50
	v_dual_add_nc_u32 v80, v62, v70 :: v_dual_add_nc_u32 v47, v48, v47
	v_dual_lshrrev_b32 v66, 8, v32 :: v_dual_lshrrev_b32 v65, 16, v32
	v_dual_cndmask_b32 v1, v1, v72, vcc_lo :: v_dual_add_nc_u32 v71, v71, v2
	s_delay_alu instid0(VALU_DEP_3) | instskip(NEXT) | instid1(VALU_DEP_4)
	v_dual_add_nc_u32 v49, v50, v49 :: v_dual_add_nc_u32 v46, v47, v46
	v_sub_nc_u32_e32 v74, v5, v80
	s_delay_alu instid0(VALU_DEP_3) | instskip(NEXT) | instid1(VALU_DEP_3)
	v_dual_add_nc_u32 v75, v71, v59 :: v_dual_bitop2_b32 v68, 1, v68 bitop3:0x40
	v_dual_add_nc_u32 v72, v49, v40 :: v_dual_bitop2_b32 v69, 1, v69 bitop3:0x40
	s_delay_alu instid0(VALU_DEP_3) | instskip(NEXT) | instid1(VALU_DEP_3)
	v_add_nc_u32_e32 v74, 1, v74
	v_cmp_eq_u32_e32 vcc_lo, 1, v68
	s_delay_alu instid0(VALU_DEP_3) | instskip(SKIP_1) | instid1(VALU_DEP_4)
	v_dual_sub_nc_u32 v75, v5, v75 :: v_dual_add_nc_u32 v45, v72, v45
	v_dual_add_nc_u32 v68, v73, v2 :: v_dual_bitop2_b32 v44, 1, v44 bitop3:0x40
	v_cndmask_b32_e32 v62, v74, v62, vcc_lo
	v_cmp_eq_u32_e32 vcc_lo, 1, v69
	s_delay_alu instid0(VALU_DEP_3)
	v_dual_add_nc_u32 v73, 2, v75 :: v_dual_add_nc_u32 v69, v58, v68
	v_dual_lshlrev_b32 v1, 2, v1 :: v_dual_bitop2_b32 v67, 1, v67 bitop3:0x40
	v_add_nc_u32_e32 v78, v46, v39
	v_cndmask_b32_e32 v62, v62, v70, vcc_lo
	v_cmp_eq_u32_e32 vcc_lo, 1, v44
	v_dual_sub_nc_u32 v57, v57, v6 :: v_dual_bitop2_b32 v43, 1, v43 bitop3:0x40
	ds_store_b32 v1, v20
	v_dual_lshlrev_b32 v20, 2, v62 :: v_dual_cndmask_b32 v44, v73, v71, vcc_lo
	v_cmp_eq_u32_e32 vcc_lo, 1, v67
	v_sub_nc_u32_e32 v1, v5, v69
	v_dual_lshrrev_b32 v63, 16, v33 :: v_dual_lshrrev_b32 v64, 8, v33
	ds_store_b32 v20, v21
	v_dual_cndmask_b32 v44, v44, v59, vcc_lo :: v_dual_bitop2_b32 v32, 1, v32 bitop3:0x40
	v_dual_add_nc_u32 v1, 3, v1 :: v_dual_add_nc_u32 v57, v57, v2
	v_dual_sub_nc_u32 v54, v54, v6 :: v_dual_lshrrev_b32 v25, 16, v35
	v_lshrrev_b32_e32 v27, 8, v35
	s_delay_alu instid0(VALU_DEP_4)
	v_cmp_eq_u32_e32 vcc_lo, 1, v32
	v_sub_nc_u32_e32 v56, v56, v6
	v_sub_nc_u32_e32 v32, v76, v4
	v_dual_lshrrev_b32 v26, 8, v36 :: v_dual_lshrrev_b32 v24, 16, v36
	v_cndmask_b32_e32 v1, v1, v68, vcc_lo
	v_cmp_eq_u32_e32 vcc_lo, 1, v43
	v_dual_sub_nc_u32 v55, v55, v4 :: v_dual_add_nc_u32 v56, v56, v2
	v_dual_add_nc_u32 v43, v32, v57 :: v_dual_lshlrev_b32 v21, 2, v44
	s_delay_alu instid0(VALU_DEP_4) | instskip(NEXT) | instid1(VALU_DEP_2)
	v_dual_cndmask_b32 v1, v1, v58, vcc_lo :: v_dual_bitop2_b32 v58, 1, v65 bitop3:0x40
	v_dual_add_nc_u32 v20, v55, v56 :: v_dual_sub_nc_u32 v43, v5, v43
	s_delay_alu instid0(VALU_DEP_2) | instskip(NEXT) | instid1(VALU_DEP_2)
	v_dual_lshlrev_b32 v1, 2, v1 :: v_dual_bitop2_b32 v44, 1, v66 bitop3:0x40
	v_dual_sub_nc_u32 v20, v5, v20 :: v_dual_bitop2_b32 v33, 1, v33 bitop3:0x40
	s_delay_alu instid0(VALU_DEP_3) | instskip(NEXT) | instid1(VALU_DEP_3)
	v_add_nc_u32_e32 v43, 4, v43
	v_cmp_eq_u32_e32 vcc_lo, 1, v44
	v_dual_sub_nc_u32 v53, v53, v4 :: v_dual_add_nc_u32 v54, v54, v2
	s_delay_alu instid0(VALU_DEP_4)
	v_add_nc_u32_e32 v20, 5, v20
	ds_store_b32 v21, v18
	v_cndmask_b32_e32 v43, v43, v57, vcc_lo
	v_cmp_eq_u32_e32 vcc_lo, 1, v58
	v_and_b32_e32 v44, 1, v64
	ds_store_b32 v1, v19
	v_and_b32_e32 v21, 1, v63
	v_sub_nc_u64_e32 v[30:31], s[30:31], v[2:3]
	v_dual_cndmask_b32 v20, v20, v56, vcc_lo :: v_dual_add_nc_u32 v56, v53, v54
	v_cmp_eq_u32_e32 vcc_lo, 1, v33
	v_sub_nc_u32_e32 v33, v52, v6
	s_mov_b32 s41, 0
	s_delay_alu instid0(VALU_DEP_3)
	v_dual_sub_nc_u32 v18, v5, v56 :: v_dual_bitop2_b32 v27, 1, v27 bitop3:0x40
	v_cndmask_b32_e32 v32, v43, v32, vcc_lo
	v_cmp_eq_u32_e32 vcc_lo, 1, v44
	v_add_nc_u64_e32 v[30:31], v[30:31], v[6:7]
	s_add_nc_u64 s[0:1], s[34:35], s[40:41]
	v_dual_add_nc_u32 v18, 6, v18 :: v_dual_cndmask_b32 v20, v20, v55, vcc_lo
	v_dual_lshlrev_b32 v1, 2, v32 :: v_dual_sub_nc_u32 v32, v77, v6
	s_delay_alu instid0(VALU_DEP_2)
	v_dual_lshlrev_b32 v19, 2, v20 :: v_dual_bitop2_b32 v20, 1, v42 bitop3:0x40
	v_sub_nc_u32_e32 v42, v79, v4
	ds_store_b32 v1, v16
	ds_store_b32 v19, v17
	v_cmp_eq_u32_e32 vcc_lo, 1, v20
	v_dual_sub_nc_u32 v20, v51, v4 :: v_dual_add_nc_u32 v32, v32, v2
	v_dual_add_nc_u32 v33, v33, v2 :: v_dual_bitop2_b32 v19, 1, v35 bitop3:0x40
	v_cndmask_b32_e32 v18, v18, v54, vcc_lo
	v_cmp_eq_u32_e32 vcc_lo, 1, v21
	s_delay_alu instid0(VALU_DEP_4) | instskip(NEXT) | instid1(VALU_DEP_3)
	v_add_nc_u32_e32 v21, v20, v32
	v_dual_cndmask_b32 v18, v18, v53 :: v_dual_sub_nc_u32 v35, v48, v4
	v_add_nc_u32_e32 v1, v42, v33
	s_delay_alu instid0(VALU_DEP_3) | instskip(SKIP_1) | instid1(VALU_DEP_4)
	v_dual_sub_nc_u32 v17, v5, v21 :: v_dual_sub_nc_u32 v21, v50, v6
	v_cmp_eq_u32_e32 vcc_lo, 1, v19
	v_dual_lshlrev_b32 v16, 2, v18 :: v_dual_bitop2_b32 v18, 1, v41 bitop3:0x40
	s_delay_alu instid0(VALU_DEP_4) | instskip(NEXT) | instid1(VALU_DEP_4)
	v_sub_nc_u32_e32 v1, v5, v1
	v_dual_add_nc_u32 v17, 7, v17 :: v_dual_add_nc_u32 v21, v21, v2
	ds_store_b32 v16, v14
	v_dual_add_nc_u32 v1, 8, v1 :: v_dual_cndmask_b32 v17, v17, v32, vcc_lo
	v_cmp_eq_u32_e32 vcc_lo, 1, v27
	v_dual_add_nc_u32 v27, v35, v21 :: v_dual_bitop2_b32 v19, 1, v36 bitop3:0x40
	s_delay_alu instid0(VALU_DEP_3) | instskip(SKIP_1) | instid1(VALU_DEP_3)
	v_cndmask_b32_e32 v1, v1, v33, vcc_lo
	v_cmp_eq_u32_e32 vcc_lo, 1, v18
	v_dual_sub_nc_u32 v14, v5, v27 :: v_dual_bitop2_b32 v18, 1, v25 bitop3:0x40
	v_cndmask_b32_e32 v17, v17, v20, vcc_lo
	v_cmp_eq_u32_e32 vcc_lo, 1, v19
	v_dual_sub_nc_u32 v19, v47, v4 :: v_dual_cndmask_b32 v1, v1, v42, vcc_lo
	s_delay_alu instid0(VALU_DEP_4) | instskip(NEXT) | instid1(VALU_DEP_2)
	v_cmp_eq_u32_e32 vcc_lo, 1, v18
	v_lshlrev_b32_e32 v1, 2, v1
	v_dual_lshlrev_b32 v16, 2, v17 :: v_dual_sub_nc_u32 v17, v49, v6
	ds_store_b32 v16, v15
	v_add_nc_u32_e32 v17, v17, v2
	v_add_nc_u32_e32 v14, 9, v14
	ds_store_b32 v1, v12
	v_dual_sub_nc_u32 v16, v45, v6 :: v_dual_add_nc_u32 v15, v19, v17
	v_dual_cndmask_b32 v14, v14, v21, vcc_lo :: v_dual_bitop2_b32 v20, 1, v26 bitop3:0x40
	v_sub_nc_u32_e32 v12, v72, v6
	s_delay_alu instid0(VALU_DEP_3) | instskip(NEXT) | instid1(VALU_DEP_3)
	v_add_nc_u32_e32 v16, v16, v2
	v_cmp_eq_u32_e32 vcc_lo, 1, v20
	v_sub_nc_u32_e32 v20, v78, v4
	v_cndmask_b32_e32 v1, v14, v35, vcc_lo
	v_dual_sub_nc_u32 v14, v5, v15 :: v_dual_bitop2_b32 v15, 1, v40 bitop3:0x40
	v_dual_sub_nc_u32 v18, v46, v4 :: v_dual_add_nc_u32 v12, v12, v2
	s_delay_alu instid0(VALU_DEP_2) | instskip(NEXT) | instid1(VALU_DEP_3)
	v_dual_add_nc_u32 v14, 10, v14 :: v_dual_bitop2_b32 v4, 1, v24 bitop3:0x40
	v_cmp_eq_u32_e32 vcc_lo, 1, v15
	v_add_nc_u32_e32 v15, v20, v16
	s_delay_alu instid0(VALU_DEP_4) | instskip(NEXT) | instid1(VALU_DEP_4)
	v_dual_add_nc_u32 v21, v18, v12 :: v_dual_lshlrev_b32 v1, 2, v1
	v_cndmask_b32_e32 v14, v14, v17, vcc_lo
	v_cmp_eq_u32_e32 vcc_lo, 1, v4
	s_delay_alu instid0(VALU_DEP_3) | instskip(SKIP_4) | instid1(VALU_DEP_3)
	v_dual_sub_nc_u32 v17, v5, v21 :: v_dual_sub_nc_u32 v4, v5, v15
	ds_store_b32 v1, v13
	v_dual_cndmask_b32 v14, v14, v19, vcc_lo :: v_dual_bitop2_b32 v19, 1, v34 bitop3:0x40
	v_dual_add_nc_u32 v17, 11, v17 :: v_dual_bitop2_b32 v15, 1, v39 bitop3:0x40
	v_dual_add_nc_u32 v24, 12, v4 :: v_dual_bitop2_b32 v21, 1, v38 bitop3:0x40
	v_cmp_eq_u32_e32 vcc_lo, 1, v19
	v_add_nc_u64_e32 v[4:5], v[8:9], v[60:61]
	s_delay_alu instid0(VALU_DEP_4) | instskip(SKIP_2) | instid1(VALU_DEP_4)
	v_dual_lshlrev_b32 v14, 2, v14 :: v_dual_cndmask_b32 v12, v17, v12, vcc_lo
	v_and_b32_e32 v17, 1, v37
	v_cmp_eq_u32_e32 vcc_lo, 1, v21
	v_add_nc_u64_e32 v[4:5], v[4:5], v[30:31]
	ds_store_b32 v14, v10
	v_cndmask_b32_e32 v16, v24, v16, vcc_lo
	v_cmp_eq_u32_e32 vcc_lo, 1, v15
	v_add_nc_u64_e32 v[4:5], v[4:5], v[22:23]
	v_cndmask_b32_e32 v12, v12, v18, vcc_lo
	v_cmp_eq_u32_e32 vcc_lo, 1, v17
	v_cndmask_b32_e32 v15, v16, v20, vcc_lo
	v_cmp_ne_u32_e32 vcc_lo, 1, v29
	s_delay_alu instid0(VALU_DEP_2)
	v_dual_lshlrev_b32 v10, 2, v15 :: v_dual_lshlrev_b32 v1, 2, v12
	v_lshlrev_b64_e32 v[12:13], 2, v[30:31]
	v_lshlrev_b64_e32 v[14:15], 2, v[22:23]
	s_and_b32 vcc_lo, exec_lo, vcc_lo
	ds_store_b32 v1, v11
	ds_store_b32 v10, v28
	v_sub_nc_u64_e32 v[10:11], s[0:1], v[4:5]
	v_add_nc_u64_e32 v[4:5], s[38:39], v[12:13]
	v_add_nc_u64_e32 v[12:13], s[36:37], v[14:15]
	v_add_nc_u32_e32 v14, v2, v8
	s_mov_b32 s0, -1
	s_wait_dscnt 0x0
	s_barrier_signal -1
	s_barrier_wait -1
	s_cbranch_vccz .LBB1768_150
; %bb.147:
	s_and_b32 vcc_lo, exec_lo, s0
	s_cbranch_vccnz .LBB1768_255
.LBB1768_148:
	v_cmp_eq_u32_e32 vcc_lo, 0, v0
	s_and_b32 s0, vcc_lo, s15
	s_delay_alu instid0(SALU_CYCLE_1)
	s_and_saveexec_b32 s1, s0
	s_cbranch_execnz .LBB1768_373
.LBB1768_149:
	s_sendmsg sendmsg(MSG_DEALLOC_VGPRS)
	s_endpgm
.LBB1768_150:
	s_mov_b32 s0, exec_lo
	v_cmpx_ge_u32_e64 v0, v2
	s_xor_b32 s0, exec_lo, s0
	s_cbranch_execz .LBB1768_156
; %bb.151:
	v_mov_b32_e32 v1, 0
	s_mov_b32 s1, exec_lo
	v_cmpx_ge_u32_e64 v0, v14
	s_xor_b32 s1, exec_lo, s1
	s_cbranch_execz .LBB1768_153
; %bb.152:
	v_lshlrev_b32_e32 v15, 2, v0
	v_add_nc_u64_e32 v[16:17], v[10:11], v[0:1]
	ds_load_b32 v1, v15
	v_lshlrev_b64_e32 v[16:17], 2, v[16:17]
	s_delay_alu instid0(VALU_DEP_1)
	v_sub_nc_u64_e32 v[16:17], s[26:27], v[16:17]
	s_wait_dscnt 0x0
	global_store_b32 v[16:17], v1, off offset:-4
.LBB1768_153:
	s_wait_xcnt 0x0
	s_and_not1_saveexec_b32 s1, s1
	s_cbranch_execz .LBB1768_155
; %bb.154:
	v_lshlrev_b32_e32 v1, 2, v0
	v_readfirstlane_b32 s2, v4
	v_readfirstlane_b32 s3, v5
	ds_load_b32 v1, v1
	s_wait_dscnt 0x0
	global_store_b32 v0, v1, s[2:3] scale_offset
.LBB1768_155:
	s_wait_xcnt 0x0
	s_or_b32 exec_lo, exec_lo, s1
.LBB1768_156:
	s_and_not1_saveexec_b32 s0, s0
	s_cbranch_execz .LBB1768_158
; %bb.157:
	v_lshlrev_b32_e32 v1, 2, v0
	v_readfirstlane_b32 s2, v12
	v_readfirstlane_b32 s3, v13
	ds_load_b32 v1, v1
	s_wait_dscnt 0x0
	global_store_b32 v0, v1, s[2:3] scale_offset
.LBB1768_158:
	s_wait_xcnt 0x0
	s_or_b32 exec_lo, exec_lo, s0
	v_or_b32_e32 v1, 0x100, v0
	s_mov_b32 s0, exec_lo
	s_delay_alu instid0(VALU_DEP_1)
	v_cmpx_ge_u32_e64 v1, v2
	s_xor_b32 s0, exec_lo, s0
	s_cbranch_execz .LBB1768_164
; %bb.159:
	s_mov_b32 s1, exec_lo
	v_cmpx_ge_u32_e64 v1, v14
	s_xor_b32 s1, exec_lo, s1
	s_cbranch_execz .LBB1768_161
; %bb.160:
	v_dual_mov_b32 v1, 0 :: v_dual_lshlrev_b32 v15, 2, v0
	s_delay_alu instid0(VALU_DEP_1) | instskip(SKIP_2) | instid1(VALU_DEP_1)
	v_add_nc_u64_e32 v[16:17], v[10:11], v[0:1]
	ds_load_b32 v1, v15 offset:1024
	v_lshlrev_b64_e32 v[16:17], 2, v[16:17]
	v_sub_nc_u64_e32 v[16:17], s[26:27], v[16:17]
	s_wait_dscnt 0x0
	global_store_b32 v[16:17], v1, off offset:-1028
.LBB1768_161:
	s_wait_xcnt 0x0
	s_and_not1_saveexec_b32 s1, s1
	s_cbranch_execz .LBB1768_163
; %bb.162:
	v_lshlrev_b32_e32 v1, 2, v0
	v_readfirstlane_b32 s2, v4
	v_readfirstlane_b32 s3, v5
	ds_load_b32 v1, v1 offset:1024
	s_wait_dscnt 0x0
	global_store_b32 v0, v1, s[2:3] offset:1024 scale_offset
.LBB1768_163:
	s_wait_xcnt 0x0
	s_or_b32 exec_lo, exec_lo, s1
.LBB1768_164:
	s_and_not1_saveexec_b32 s0, s0
	s_cbranch_execz .LBB1768_166
; %bb.165:
	v_lshlrev_b32_e32 v1, 2, v0
	v_readfirstlane_b32 s2, v12
	v_readfirstlane_b32 s3, v13
	ds_load_b32 v1, v1 offset:1024
	s_wait_dscnt 0x0
	global_store_b32 v0, v1, s[2:3] offset:1024 scale_offset
.LBB1768_166:
	s_wait_xcnt 0x0
	s_or_b32 exec_lo, exec_lo, s0
	v_or_b32_e32 v1, 0x200, v0
	s_mov_b32 s0, exec_lo
	s_delay_alu instid0(VALU_DEP_1)
	v_cmpx_ge_u32_e64 v1, v2
	s_xor_b32 s0, exec_lo, s0
	s_cbranch_execz .LBB1768_172
; %bb.167:
	s_mov_b32 s1, exec_lo
	v_cmpx_ge_u32_e64 v1, v14
	s_xor_b32 s1, exec_lo, s1
	s_cbranch_execz .LBB1768_169
; %bb.168:
	v_dual_mov_b32 v1, 0 :: v_dual_lshlrev_b32 v15, 2, v0
	s_delay_alu instid0(VALU_DEP_1) | instskip(SKIP_2) | instid1(VALU_DEP_1)
	v_add_nc_u64_e32 v[16:17], v[10:11], v[0:1]
	ds_load_b32 v1, v15 offset:2048
	v_lshlrev_b64_e32 v[16:17], 2, v[16:17]
	v_sub_nc_u64_e32 v[16:17], s[26:27], v[16:17]
	s_wait_dscnt 0x0
	global_store_b32 v[16:17], v1, off offset:-2052
.LBB1768_169:
	s_wait_xcnt 0x0
	s_and_not1_saveexec_b32 s1, s1
	s_cbranch_execz .LBB1768_171
; %bb.170:
	v_lshlrev_b32_e32 v1, 2, v0
	v_readfirstlane_b32 s2, v4
	v_readfirstlane_b32 s3, v5
	ds_load_b32 v1, v1 offset:2048
	s_wait_dscnt 0x0
	global_store_b32 v0, v1, s[2:3] offset:2048 scale_offset
.LBB1768_171:
	s_wait_xcnt 0x0
	s_or_b32 exec_lo, exec_lo, s1
.LBB1768_172:
	s_and_not1_saveexec_b32 s0, s0
	s_cbranch_execz .LBB1768_174
; %bb.173:
	v_lshlrev_b32_e32 v1, 2, v0
	v_readfirstlane_b32 s2, v12
	v_readfirstlane_b32 s3, v13
	ds_load_b32 v1, v1 offset:2048
	s_wait_dscnt 0x0
	global_store_b32 v0, v1, s[2:3] offset:2048 scale_offset
.LBB1768_174:
	;; [unrolled: 47-line block ×12, first 2 shown]
	s_wait_xcnt 0x0
	s_or_b32 exec_lo, exec_lo, s0
	s_branch .LBB1768_148
.LBB1768_255:
	s_mov_b32 s0, exec_lo
	v_cmpx_gt_u32_e64 s6, v0
	s_cbranch_execz .LBB1768_264
; %bb.256:
	s_mov_b32 s1, exec_lo
	v_cmpx_ge_u32_e64 v0, v2
	s_xor_b32 s1, exec_lo, s1
	s_cbranch_execz .LBB1768_262
; %bb.257:
	v_mov_b32_e32 v1, 0
	s_mov_b32 s2, exec_lo
	v_cmpx_ge_u32_e64 v0, v14
	s_xor_b32 s2, exec_lo, s2
	s_cbranch_execz .LBB1768_259
; %bb.258:
	v_lshlrev_b32_e32 v15, 2, v0
	v_add_nc_u64_e32 v[16:17], v[10:11], v[0:1]
	ds_load_b32 v1, v15
	v_lshlrev_b64_e32 v[16:17], 2, v[16:17]
	s_delay_alu instid0(VALU_DEP_1)
	v_sub_nc_u64_e32 v[16:17], s[26:27], v[16:17]
	s_wait_dscnt 0x0
	global_store_b32 v[16:17], v1, off offset:-4
.LBB1768_259:
	s_wait_xcnt 0x0
	s_and_not1_saveexec_b32 s2, s2
	s_cbranch_execz .LBB1768_261
; %bb.260:
	v_lshlrev_b32_e32 v1, 2, v0
	v_readfirstlane_b32 s4, v4
	v_readfirstlane_b32 s5, v5
	ds_load_b32 v1, v1
	s_wait_dscnt 0x0
	global_store_b32 v0, v1, s[4:5] scale_offset
.LBB1768_261:
	s_wait_xcnt 0x0
	s_or_b32 exec_lo, exec_lo, s2
.LBB1768_262:
	s_and_not1_saveexec_b32 s1, s1
	s_cbranch_execz .LBB1768_264
; %bb.263:
	v_lshlrev_b32_e32 v1, 2, v0
	v_readfirstlane_b32 s2, v12
	v_readfirstlane_b32 s3, v13
	ds_load_b32 v1, v1
	s_wait_dscnt 0x0
	global_store_b32 v0, v1, s[2:3] scale_offset
.LBB1768_264:
	s_wait_xcnt 0x0
	s_or_b32 exec_lo, exec_lo, s0
	v_or_b32_e32 v1, 0x100, v0
	s_mov_b32 s0, exec_lo
	s_delay_alu instid0(VALU_DEP_1)
	v_cmpx_gt_u32_e64 s6, v1
	s_cbranch_execz .LBB1768_273
; %bb.265:
	s_mov_b32 s1, exec_lo
	v_cmpx_ge_u32_e64 v1, v2
	s_xor_b32 s1, exec_lo, s1
	s_cbranch_execz .LBB1768_271
; %bb.266:
	s_mov_b32 s2, exec_lo
	v_cmpx_ge_u32_e64 v1, v14
	s_xor_b32 s2, exec_lo, s2
	s_cbranch_execz .LBB1768_268
; %bb.267:
	v_dual_mov_b32 v1, 0 :: v_dual_lshlrev_b32 v15, 2, v0
	s_delay_alu instid0(VALU_DEP_1) | instskip(SKIP_2) | instid1(VALU_DEP_1)
	v_add_nc_u64_e32 v[16:17], v[10:11], v[0:1]
	ds_load_b32 v1, v15 offset:1024
	v_lshlrev_b64_e32 v[16:17], 2, v[16:17]
	v_sub_nc_u64_e32 v[16:17], s[26:27], v[16:17]
	s_wait_dscnt 0x0
	global_store_b32 v[16:17], v1, off offset:-1028
.LBB1768_268:
	s_wait_xcnt 0x0
	s_and_not1_saveexec_b32 s2, s2
	s_cbranch_execz .LBB1768_270
; %bb.269:
	v_lshlrev_b32_e32 v1, 2, v0
	v_readfirstlane_b32 s4, v4
	v_readfirstlane_b32 s5, v5
	ds_load_b32 v1, v1 offset:1024
	s_wait_dscnt 0x0
	global_store_b32 v0, v1, s[4:5] offset:1024 scale_offset
.LBB1768_270:
	s_wait_xcnt 0x0
	s_or_b32 exec_lo, exec_lo, s2
.LBB1768_271:
	s_and_not1_saveexec_b32 s1, s1
	s_cbranch_execz .LBB1768_273
; %bb.272:
	v_lshlrev_b32_e32 v1, 2, v0
	v_readfirstlane_b32 s2, v12
	v_readfirstlane_b32 s3, v13
	ds_load_b32 v1, v1 offset:1024
	s_wait_dscnt 0x0
	global_store_b32 v0, v1, s[2:3] offset:1024 scale_offset
.LBB1768_273:
	s_wait_xcnt 0x0
	s_or_b32 exec_lo, exec_lo, s0
	v_or_b32_e32 v1, 0x200, v0
	s_mov_b32 s0, exec_lo
	s_delay_alu instid0(VALU_DEP_1)
	v_cmpx_gt_u32_e64 s6, v1
	s_cbranch_execz .LBB1768_282
; %bb.274:
	s_mov_b32 s1, exec_lo
	v_cmpx_ge_u32_e64 v1, v2
	s_xor_b32 s1, exec_lo, s1
	s_cbranch_execz .LBB1768_280
; %bb.275:
	s_mov_b32 s2, exec_lo
	v_cmpx_ge_u32_e64 v1, v14
	s_xor_b32 s2, exec_lo, s2
	s_cbranch_execz .LBB1768_277
; %bb.276:
	v_dual_mov_b32 v1, 0 :: v_dual_lshlrev_b32 v15, 2, v0
	s_delay_alu instid0(VALU_DEP_1) | instskip(SKIP_2) | instid1(VALU_DEP_1)
	v_add_nc_u64_e32 v[16:17], v[10:11], v[0:1]
	ds_load_b32 v1, v15 offset:2048
	v_lshlrev_b64_e32 v[16:17], 2, v[16:17]
	v_sub_nc_u64_e32 v[16:17], s[26:27], v[16:17]
	s_wait_dscnt 0x0
	global_store_b32 v[16:17], v1, off offset:-2052
.LBB1768_277:
	s_wait_xcnt 0x0
	s_and_not1_saveexec_b32 s2, s2
	s_cbranch_execz .LBB1768_279
; %bb.278:
	v_lshlrev_b32_e32 v1, 2, v0
	v_readfirstlane_b32 s4, v4
	v_readfirstlane_b32 s5, v5
	ds_load_b32 v1, v1 offset:2048
	s_wait_dscnt 0x0
	global_store_b32 v0, v1, s[4:5] offset:2048 scale_offset
.LBB1768_279:
	s_wait_xcnt 0x0
	s_or_b32 exec_lo, exec_lo, s2
.LBB1768_280:
	s_and_not1_saveexec_b32 s1, s1
	s_cbranch_execz .LBB1768_282
; %bb.281:
	v_lshlrev_b32_e32 v1, 2, v0
	v_readfirstlane_b32 s2, v12
	v_readfirstlane_b32 s3, v13
	ds_load_b32 v1, v1 offset:2048
	s_wait_dscnt 0x0
	global_store_b32 v0, v1, s[2:3] offset:2048 scale_offset
.LBB1768_282:
	s_wait_xcnt 0x0
	s_or_b32 exec_lo, exec_lo, s0
	v_or_b32_e32 v1, 0x300, v0
	s_mov_b32 s0, exec_lo
	s_delay_alu instid0(VALU_DEP_1)
	v_cmpx_gt_u32_e64 s6, v1
	s_cbranch_execz .LBB1768_291
; %bb.283:
	s_mov_b32 s1, exec_lo
	v_cmpx_ge_u32_e64 v1, v2
	s_xor_b32 s1, exec_lo, s1
	s_cbranch_execz .LBB1768_289
; %bb.284:
	s_mov_b32 s2, exec_lo
	v_cmpx_ge_u32_e64 v1, v14
	s_xor_b32 s2, exec_lo, s2
	s_cbranch_execz .LBB1768_286
; %bb.285:
	v_dual_mov_b32 v1, 0 :: v_dual_lshlrev_b32 v15, 2, v0
	s_delay_alu instid0(VALU_DEP_1) | instskip(SKIP_2) | instid1(VALU_DEP_1)
	v_add_nc_u64_e32 v[16:17], v[10:11], v[0:1]
	ds_load_b32 v1, v15 offset:3072
	v_lshlrev_b64_e32 v[16:17], 2, v[16:17]
	v_sub_nc_u64_e32 v[16:17], s[26:27], v[16:17]
	s_wait_dscnt 0x0
	global_store_b32 v[16:17], v1, off offset:-3076
.LBB1768_286:
	s_wait_xcnt 0x0
	s_and_not1_saveexec_b32 s2, s2
	s_cbranch_execz .LBB1768_288
; %bb.287:
	v_lshlrev_b32_e32 v1, 2, v0
	v_readfirstlane_b32 s4, v4
	v_readfirstlane_b32 s5, v5
	ds_load_b32 v1, v1 offset:3072
	s_wait_dscnt 0x0
	global_store_b32 v0, v1, s[4:5] offset:3072 scale_offset
.LBB1768_288:
	s_wait_xcnt 0x0
	s_or_b32 exec_lo, exec_lo, s2
.LBB1768_289:
	s_and_not1_saveexec_b32 s1, s1
	s_cbranch_execz .LBB1768_291
; %bb.290:
	v_lshlrev_b32_e32 v1, 2, v0
	v_readfirstlane_b32 s2, v12
	v_readfirstlane_b32 s3, v13
	ds_load_b32 v1, v1 offset:3072
	s_wait_dscnt 0x0
	global_store_b32 v0, v1, s[2:3] offset:3072 scale_offset
.LBB1768_291:
	s_wait_xcnt 0x0
	s_or_b32 exec_lo, exec_lo, s0
	v_or_b32_e32 v1, 0x400, v0
	s_mov_b32 s0, exec_lo
	s_delay_alu instid0(VALU_DEP_1)
	v_cmpx_gt_u32_e64 s6, v1
	s_cbranch_execz .LBB1768_300
; %bb.292:
	s_mov_b32 s1, exec_lo
	v_cmpx_ge_u32_e64 v1, v2
	s_xor_b32 s1, exec_lo, s1
	s_cbranch_execz .LBB1768_298
; %bb.293:
	s_mov_b32 s2, exec_lo
	v_cmpx_ge_u32_e64 v1, v14
	s_xor_b32 s2, exec_lo, s2
	s_cbranch_execz .LBB1768_295
; %bb.294:
	v_dual_mov_b32 v1, 0 :: v_dual_lshlrev_b32 v15, 2, v0
	s_delay_alu instid0(VALU_DEP_1) | instskip(SKIP_2) | instid1(VALU_DEP_1)
	v_add_nc_u64_e32 v[16:17], v[10:11], v[0:1]
	ds_load_b32 v1, v15 offset:4096
	v_lshlrev_b64_e32 v[16:17], 2, v[16:17]
	v_sub_nc_u64_e32 v[16:17], s[26:27], v[16:17]
	s_wait_dscnt 0x0
	global_store_b32 v[16:17], v1, off offset:-4100
.LBB1768_295:
	s_wait_xcnt 0x0
	s_and_not1_saveexec_b32 s2, s2
	s_cbranch_execz .LBB1768_297
; %bb.296:
	v_lshlrev_b32_e32 v1, 2, v0
	v_readfirstlane_b32 s4, v4
	v_readfirstlane_b32 s5, v5
	ds_load_b32 v1, v1 offset:4096
	s_wait_dscnt 0x0
	global_store_b32 v0, v1, s[4:5] offset:4096 scale_offset
.LBB1768_297:
	s_wait_xcnt 0x0
	s_or_b32 exec_lo, exec_lo, s2
.LBB1768_298:
	s_and_not1_saveexec_b32 s1, s1
	s_cbranch_execz .LBB1768_300
; %bb.299:
	v_lshlrev_b32_e32 v1, 2, v0
	v_readfirstlane_b32 s2, v12
	v_readfirstlane_b32 s3, v13
	ds_load_b32 v1, v1 offset:4096
	s_wait_dscnt 0x0
	global_store_b32 v0, v1, s[2:3] offset:4096 scale_offset
.LBB1768_300:
	s_wait_xcnt 0x0
	s_or_b32 exec_lo, exec_lo, s0
	v_or_b32_e32 v1, 0x500, v0
	s_mov_b32 s0, exec_lo
	s_delay_alu instid0(VALU_DEP_1)
	v_cmpx_gt_u32_e64 s6, v1
	s_cbranch_execz .LBB1768_309
; %bb.301:
	s_mov_b32 s1, exec_lo
	v_cmpx_ge_u32_e64 v1, v2
	s_xor_b32 s1, exec_lo, s1
	s_cbranch_execz .LBB1768_307
; %bb.302:
	s_mov_b32 s2, exec_lo
	v_cmpx_ge_u32_e64 v1, v14
	s_xor_b32 s2, exec_lo, s2
	s_cbranch_execz .LBB1768_304
; %bb.303:
	v_dual_mov_b32 v1, 0 :: v_dual_lshlrev_b32 v15, 2, v0
	s_delay_alu instid0(VALU_DEP_1) | instskip(SKIP_2) | instid1(VALU_DEP_1)
	v_add_nc_u64_e32 v[16:17], v[10:11], v[0:1]
	ds_load_b32 v1, v15 offset:5120
	v_lshlrev_b64_e32 v[16:17], 2, v[16:17]
	v_sub_nc_u64_e32 v[16:17], s[26:27], v[16:17]
	s_wait_dscnt 0x0
	global_store_b32 v[16:17], v1, off offset:-5124
.LBB1768_304:
	s_wait_xcnt 0x0
	s_and_not1_saveexec_b32 s2, s2
	s_cbranch_execz .LBB1768_306
; %bb.305:
	v_lshlrev_b32_e32 v1, 2, v0
	v_readfirstlane_b32 s4, v4
	v_readfirstlane_b32 s5, v5
	ds_load_b32 v1, v1 offset:5120
	s_wait_dscnt 0x0
	global_store_b32 v0, v1, s[4:5] offset:5120 scale_offset
.LBB1768_306:
	s_wait_xcnt 0x0
	s_or_b32 exec_lo, exec_lo, s2
.LBB1768_307:
	s_and_not1_saveexec_b32 s1, s1
	s_cbranch_execz .LBB1768_309
; %bb.308:
	v_lshlrev_b32_e32 v1, 2, v0
	v_readfirstlane_b32 s2, v12
	v_readfirstlane_b32 s3, v13
	ds_load_b32 v1, v1 offset:5120
	s_wait_dscnt 0x0
	global_store_b32 v0, v1, s[2:3] offset:5120 scale_offset
.LBB1768_309:
	s_wait_xcnt 0x0
	s_or_b32 exec_lo, exec_lo, s0
	v_or_b32_e32 v1, 0x600, v0
	s_mov_b32 s0, exec_lo
	s_delay_alu instid0(VALU_DEP_1)
	v_cmpx_gt_u32_e64 s6, v1
	s_cbranch_execz .LBB1768_318
; %bb.310:
	s_mov_b32 s1, exec_lo
	v_cmpx_ge_u32_e64 v1, v2
	s_xor_b32 s1, exec_lo, s1
	s_cbranch_execz .LBB1768_316
; %bb.311:
	s_mov_b32 s2, exec_lo
	v_cmpx_ge_u32_e64 v1, v14
	s_xor_b32 s2, exec_lo, s2
	s_cbranch_execz .LBB1768_313
; %bb.312:
	v_dual_mov_b32 v1, 0 :: v_dual_lshlrev_b32 v15, 2, v0
	s_delay_alu instid0(VALU_DEP_1) | instskip(SKIP_2) | instid1(VALU_DEP_1)
	v_add_nc_u64_e32 v[16:17], v[10:11], v[0:1]
	ds_load_b32 v1, v15 offset:6144
	v_lshlrev_b64_e32 v[16:17], 2, v[16:17]
	v_sub_nc_u64_e32 v[16:17], s[26:27], v[16:17]
	s_wait_dscnt 0x0
	global_store_b32 v[16:17], v1, off offset:-6148
.LBB1768_313:
	s_wait_xcnt 0x0
	s_and_not1_saveexec_b32 s2, s2
	s_cbranch_execz .LBB1768_315
; %bb.314:
	v_lshlrev_b32_e32 v1, 2, v0
	v_readfirstlane_b32 s4, v4
	v_readfirstlane_b32 s5, v5
	ds_load_b32 v1, v1 offset:6144
	s_wait_dscnt 0x0
	global_store_b32 v0, v1, s[4:5] offset:6144 scale_offset
.LBB1768_315:
	s_wait_xcnt 0x0
	s_or_b32 exec_lo, exec_lo, s2
.LBB1768_316:
	s_and_not1_saveexec_b32 s1, s1
	s_cbranch_execz .LBB1768_318
; %bb.317:
	v_lshlrev_b32_e32 v1, 2, v0
	v_readfirstlane_b32 s2, v12
	v_readfirstlane_b32 s3, v13
	ds_load_b32 v1, v1 offset:6144
	s_wait_dscnt 0x0
	global_store_b32 v0, v1, s[2:3] offset:6144 scale_offset
.LBB1768_318:
	s_wait_xcnt 0x0
	s_or_b32 exec_lo, exec_lo, s0
	v_or_b32_e32 v1, 0x700, v0
	s_mov_b32 s0, exec_lo
	s_delay_alu instid0(VALU_DEP_1)
	v_cmpx_gt_u32_e64 s6, v1
	s_cbranch_execz .LBB1768_327
; %bb.319:
	s_mov_b32 s1, exec_lo
	v_cmpx_ge_u32_e64 v1, v2
	s_xor_b32 s1, exec_lo, s1
	s_cbranch_execz .LBB1768_325
; %bb.320:
	s_mov_b32 s2, exec_lo
	v_cmpx_ge_u32_e64 v1, v14
	s_xor_b32 s2, exec_lo, s2
	s_cbranch_execz .LBB1768_322
; %bb.321:
	v_dual_mov_b32 v1, 0 :: v_dual_lshlrev_b32 v15, 2, v0
	s_delay_alu instid0(VALU_DEP_1) | instskip(SKIP_2) | instid1(VALU_DEP_1)
	v_add_nc_u64_e32 v[16:17], v[10:11], v[0:1]
	ds_load_b32 v1, v15 offset:7168
	v_lshlrev_b64_e32 v[16:17], 2, v[16:17]
	v_sub_nc_u64_e32 v[16:17], s[26:27], v[16:17]
	s_wait_dscnt 0x0
	global_store_b32 v[16:17], v1, off offset:-7172
.LBB1768_322:
	s_wait_xcnt 0x0
	s_and_not1_saveexec_b32 s2, s2
	s_cbranch_execz .LBB1768_324
; %bb.323:
	v_lshlrev_b32_e32 v1, 2, v0
	v_readfirstlane_b32 s4, v4
	v_readfirstlane_b32 s5, v5
	ds_load_b32 v1, v1 offset:7168
	s_wait_dscnt 0x0
	global_store_b32 v0, v1, s[4:5] offset:7168 scale_offset
.LBB1768_324:
	s_wait_xcnt 0x0
	s_or_b32 exec_lo, exec_lo, s2
.LBB1768_325:
	s_and_not1_saveexec_b32 s1, s1
	s_cbranch_execz .LBB1768_327
; %bb.326:
	v_lshlrev_b32_e32 v1, 2, v0
	v_readfirstlane_b32 s2, v12
	v_readfirstlane_b32 s3, v13
	ds_load_b32 v1, v1 offset:7168
	s_wait_dscnt 0x0
	global_store_b32 v0, v1, s[2:3] offset:7168 scale_offset
.LBB1768_327:
	s_wait_xcnt 0x0
	s_or_b32 exec_lo, exec_lo, s0
	v_or_b32_e32 v1, 0x800, v0
	s_mov_b32 s0, exec_lo
	s_delay_alu instid0(VALU_DEP_1)
	v_cmpx_gt_u32_e64 s6, v1
	s_cbranch_execz .LBB1768_336
; %bb.328:
	s_mov_b32 s1, exec_lo
	v_cmpx_ge_u32_e64 v1, v2
	s_xor_b32 s1, exec_lo, s1
	s_cbranch_execz .LBB1768_334
; %bb.329:
	s_mov_b32 s2, exec_lo
	v_cmpx_ge_u32_e64 v1, v14
	s_xor_b32 s2, exec_lo, s2
	s_cbranch_execz .LBB1768_331
; %bb.330:
	v_dual_mov_b32 v1, 0 :: v_dual_lshlrev_b32 v15, 2, v0
	s_delay_alu instid0(VALU_DEP_1) | instskip(SKIP_2) | instid1(VALU_DEP_1)
	v_add_nc_u64_e32 v[16:17], v[10:11], v[0:1]
	ds_load_b32 v1, v15 offset:8192
	v_lshlrev_b64_e32 v[16:17], 2, v[16:17]
	v_sub_nc_u64_e32 v[16:17], s[26:27], v[16:17]
	s_wait_dscnt 0x0
	global_store_b32 v[16:17], v1, off offset:-8196
.LBB1768_331:
	s_wait_xcnt 0x0
	s_and_not1_saveexec_b32 s2, s2
	s_cbranch_execz .LBB1768_333
; %bb.332:
	v_lshlrev_b32_e32 v1, 2, v0
	v_readfirstlane_b32 s4, v4
	v_readfirstlane_b32 s5, v5
	ds_load_b32 v1, v1 offset:8192
	s_wait_dscnt 0x0
	global_store_b32 v0, v1, s[4:5] offset:8192 scale_offset
.LBB1768_333:
	s_wait_xcnt 0x0
	s_or_b32 exec_lo, exec_lo, s2
.LBB1768_334:
	s_and_not1_saveexec_b32 s1, s1
	s_cbranch_execz .LBB1768_336
; %bb.335:
	v_lshlrev_b32_e32 v1, 2, v0
	v_readfirstlane_b32 s2, v12
	v_readfirstlane_b32 s3, v13
	ds_load_b32 v1, v1 offset:8192
	s_wait_dscnt 0x0
	global_store_b32 v0, v1, s[2:3] offset:8192 scale_offset
.LBB1768_336:
	s_wait_xcnt 0x0
	s_or_b32 exec_lo, exec_lo, s0
	v_or_b32_e32 v1, 0x900, v0
	s_mov_b32 s0, exec_lo
	s_delay_alu instid0(VALU_DEP_1)
	v_cmpx_gt_u32_e64 s6, v1
	s_cbranch_execz .LBB1768_345
; %bb.337:
	s_mov_b32 s1, exec_lo
	v_cmpx_ge_u32_e64 v1, v2
	s_xor_b32 s1, exec_lo, s1
	s_cbranch_execz .LBB1768_343
; %bb.338:
	s_mov_b32 s2, exec_lo
	v_cmpx_ge_u32_e64 v1, v14
	s_xor_b32 s2, exec_lo, s2
	s_cbranch_execz .LBB1768_340
; %bb.339:
	v_dual_mov_b32 v1, 0 :: v_dual_lshlrev_b32 v15, 2, v0
	s_delay_alu instid0(VALU_DEP_1) | instskip(SKIP_2) | instid1(VALU_DEP_1)
	v_add_nc_u64_e32 v[16:17], v[10:11], v[0:1]
	ds_load_b32 v1, v15 offset:9216
	v_lshlrev_b64_e32 v[16:17], 2, v[16:17]
	v_sub_nc_u64_e32 v[16:17], s[26:27], v[16:17]
	s_wait_dscnt 0x0
	global_store_b32 v[16:17], v1, off offset:-9220
.LBB1768_340:
	s_wait_xcnt 0x0
	s_and_not1_saveexec_b32 s2, s2
	s_cbranch_execz .LBB1768_342
; %bb.341:
	v_lshlrev_b32_e32 v1, 2, v0
	v_readfirstlane_b32 s4, v4
	v_readfirstlane_b32 s5, v5
	ds_load_b32 v1, v1 offset:9216
	s_wait_dscnt 0x0
	global_store_b32 v0, v1, s[4:5] offset:9216 scale_offset
.LBB1768_342:
	s_wait_xcnt 0x0
	s_or_b32 exec_lo, exec_lo, s2
.LBB1768_343:
	s_and_not1_saveexec_b32 s1, s1
	s_cbranch_execz .LBB1768_345
; %bb.344:
	v_lshlrev_b32_e32 v1, 2, v0
	v_readfirstlane_b32 s2, v12
	v_readfirstlane_b32 s3, v13
	ds_load_b32 v1, v1 offset:9216
	s_wait_dscnt 0x0
	global_store_b32 v0, v1, s[2:3] offset:9216 scale_offset
.LBB1768_345:
	s_wait_xcnt 0x0
	s_or_b32 exec_lo, exec_lo, s0
	v_or_b32_e32 v1, 0xa00, v0
	s_mov_b32 s0, exec_lo
	s_delay_alu instid0(VALU_DEP_1)
	v_cmpx_gt_u32_e64 s6, v1
	s_cbranch_execz .LBB1768_354
; %bb.346:
	s_mov_b32 s1, exec_lo
	v_cmpx_ge_u32_e64 v1, v2
	s_xor_b32 s1, exec_lo, s1
	s_cbranch_execz .LBB1768_352
; %bb.347:
	s_mov_b32 s2, exec_lo
	v_cmpx_ge_u32_e64 v1, v14
	s_xor_b32 s2, exec_lo, s2
	s_cbranch_execz .LBB1768_349
; %bb.348:
	v_dual_mov_b32 v1, 0 :: v_dual_lshlrev_b32 v15, 2, v0
	s_delay_alu instid0(VALU_DEP_1) | instskip(SKIP_2) | instid1(VALU_DEP_1)
	v_add_nc_u64_e32 v[16:17], v[10:11], v[0:1]
	ds_load_b32 v1, v15 offset:10240
	v_lshlrev_b64_e32 v[16:17], 2, v[16:17]
	v_sub_nc_u64_e32 v[16:17], s[26:27], v[16:17]
	s_wait_dscnt 0x0
	global_store_b32 v[16:17], v1, off offset:-10244
.LBB1768_349:
	s_wait_xcnt 0x0
	s_and_not1_saveexec_b32 s2, s2
	s_cbranch_execz .LBB1768_351
; %bb.350:
	v_lshlrev_b32_e32 v1, 2, v0
	v_readfirstlane_b32 s4, v4
	v_readfirstlane_b32 s5, v5
	ds_load_b32 v1, v1 offset:10240
	s_wait_dscnt 0x0
	global_store_b32 v0, v1, s[4:5] offset:10240 scale_offset
.LBB1768_351:
	s_wait_xcnt 0x0
	s_or_b32 exec_lo, exec_lo, s2
.LBB1768_352:
	s_and_not1_saveexec_b32 s1, s1
	s_cbranch_execz .LBB1768_354
; %bb.353:
	v_lshlrev_b32_e32 v1, 2, v0
	v_readfirstlane_b32 s2, v12
	v_readfirstlane_b32 s3, v13
	ds_load_b32 v1, v1 offset:10240
	s_wait_dscnt 0x0
	global_store_b32 v0, v1, s[2:3] offset:10240 scale_offset
.LBB1768_354:
	s_wait_xcnt 0x0
	s_or_b32 exec_lo, exec_lo, s0
	v_or_b32_e32 v1, 0xb00, v0
	s_mov_b32 s0, exec_lo
	s_delay_alu instid0(VALU_DEP_1)
	v_cmpx_gt_u32_e64 s6, v1
	s_cbranch_execz .LBB1768_363
; %bb.355:
	s_mov_b32 s1, exec_lo
	v_cmpx_ge_u32_e64 v1, v2
	s_xor_b32 s1, exec_lo, s1
	s_cbranch_execz .LBB1768_361
; %bb.356:
	s_mov_b32 s2, exec_lo
	v_cmpx_ge_u32_e64 v1, v14
	s_xor_b32 s2, exec_lo, s2
	s_cbranch_execz .LBB1768_358
; %bb.357:
	v_dual_mov_b32 v1, 0 :: v_dual_lshlrev_b32 v15, 2, v0
	s_delay_alu instid0(VALU_DEP_1) | instskip(SKIP_2) | instid1(VALU_DEP_1)
	v_add_nc_u64_e32 v[16:17], v[10:11], v[0:1]
	ds_load_b32 v1, v15 offset:11264
	v_lshlrev_b64_e32 v[16:17], 2, v[16:17]
	v_sub_nc_u64_e32 v[16:17], s[26:27], v[16:17]
	s_wait_dscnt 0x0
	global_store_b32 v[16:17], v1, off offset:-11268
.LBB1768_358:
	s_wait_xcnt 0x0
	s_and_not1_saveexec_b32 s2, s2
	s_cbranch_execz .LBB1768_360
; %bb.359:
	v_lshlrev_b32_e32 v1, 2, v0
	v_readfirstlane_b32 s4, v4
	v_readfirstlane_b32 s5, v5
	ds_load_b32 v1, v1 offset:11264
	s_wait_dscnt 0x0
	global_store_b32 v0, v1, s[4:5] offset:11264 scale_offset
.LBB1768_360:
	s_wait_xcnt 0x0
	s_or_b32 exec_lo, exec_lo, s2
.LBB1768_361:
	s_and_not1_saveexec_b32 s1, s1
	s_cbranch_execz .LBB1768_363
; %bb.362:
	v_lshlrev_b32_e32 v1, 2, v0
	v_readfirstlane_b32 s2, v12
	v_readfirstlane_b32 s3, v13
	ds_load_b32 v1, v1 offset:11264
	s_wait_dscnt 0x0
	global_store_b32 v0, v1, s[2:3] offset:11264 scale_offset
.LBB1768_363:
	s_wait_xcnt 0x0
	s_or_b32 exec_lo, exec_lo, s0
	v_or_b32_e32 v1, 0xc00, v0
	s_mov_b32 s0, exec_lo
	s_delay_alu instid0(VALU_DEP_1)
	v_cmpx_gt_u32_e64 s6, v1
	s_cbranch_execz .LBB1768_372
; %bb.364:
	s_mov_b32 s1, exec_lo
	v_cmpx_ge_u32_e64 v1, v2
	s_xor_b32 s1, exec_lo, s1
	s_cbranch_execz .LBB1768_370
; %bb.365:
	s_mov_b32 s2, exec_lo
	v_cmpx_ge_u32_e64 v1, v14
	s_xor_b32 s2, exec_lo, s2
	s_cbranch_execz .LBB1768_367
; %bb.366:
	v_dual_mov_b32 v1, 0 :: v_dual_lshlrev_b32 v12, 2, v0
	s_delay_alu instid0(VALU_DEP_1) | instskip(SKIP_2) | instid1(VALU_DEP_1)
	v_add_nc_u64_e32 v[4:5], v[10:11], v[0:1]
	ds_load_b32 v1, v12 offset:12288
	v_lshlrev_b64_e32 v[4:5], 2, v[4:5]
	v_sub_nc_u64_e32 v[4:5], s[26:27], v[4:5]
	s_wait_dscnt 0x0
	global_store_b32 v[4:5], v1, off offset:-12292
                                        ; implicit-def: $vgpr4_vgpr5
.LBB1768_367:
	s_wait_xcnt 0x0
	s_and_not1_saveexec_b32 s2, s2
	s_cbranch_execz .LBB1768_369
; %bb.368:
	v_lshlrev_b32_e32 v1, 2, v0
	v_readfirstlane_b32 s4, v4
	v_readfirstlane_b32 s5, v5
	ds_load_b32 v1, v1 offset:12288
	s_wait_dscnt 0x0
	global_store_b32 v0, v1, s[4:5] offset:12288 scale_offset
.LBB1768_369:
	s_wait_xcnt 0x0
	s_or_b32 exec_lo, exec_lo, s2
                                        ; implicit-def: $vgpr12_vgpr13
.LBB1768_370:
	s_and_not1_saveexec_b32 s1, s1
	s_cbranch_execz .LBB1768_372
; %bb.371:
	v_lshlrev_b32_e32 v1, 2, v0
	v_readfirstlane_b32 s2, v12
	v_readfirstlane_b32 s3, v13
	ds_load_b32 v1, v1 offset:12288
	s_wait_dscnt 0x0
	global_store_b32 v0, v1, s[2:3] offset:12288 scale_offset
.LBB1768_372:
	s_wait_xcnt 0x0
	s_or_b32 exec_lo, exec_lo, s0
	v_cmp_eq_u32_e32 vcc_lo, 0, v0
	s_and_b32 s0, vcc_lo, s15
	s_delay_alu instid0(SALU_CYCLE_1)
	s_and_saveexec_b32 s1, s0
	s_cbranch_execz .LBB1768_149
.LBB1768_373:
	v_add_nc_u64_e32 v[0:1], s[30:31], v[8:9]
	v_add_nc_u64_e32 v[2:3], v[22:23], v[2:3]
	s_delay_alu instid0(VALU_DEP_2)
	v_add_nc_u64_e32 v[4:5], v[0:1], v[6:7]
	v_mov_b32_e32 v0, 0
	global_store_b128 v0, v[2:5], s[24:25]
	s_sendmsg sendmsg(MSG_DEALLOC_VGPRS)
	s_endpgm
	.section	.rodata,"a",@progbits
	.p2align	6, 0x0
	.amdhsa_kernel _ZN7rocprim17ROCPRIM_400000_NS6detail17trampoline_kernelINS0_13select_configILj256ELj13ELNS0_17block_load_methodE3ELS4_3ELS4_3ELNS0_20block_scan_algorithmE0ELj4294967295EEENS1_25partition_config_selectorILNS1_17partition_subalgoE4EjNS0_10empty_typeEbEEZZNS1_14partition_implILS8_4ELb0ES6_15HIP_vector_typeIjLj2EENS0_17counting_iteratorIjlEEPS9_SG_NS0_5tupleIJPjSI_NS0_16reverse_iteratorISI_EEEEENSH_IJSG_SG_SG_EEES9_SI_JZNS1_25segmented_radix_sort_implINS0_14default_configELb0EPK6__halfPSP_PKlPlN2at6native12_GLOBAL__N_18offset_tEEE10hipError_tPvRmT1_PNSt15iterator_traitsIS13_E10value_typeET2_T3_PNS14_IS19_E10value_typeET4_jRbjT5_S1F_jjP12ihipStream_tbEUljE_ZNSN_ISO_Lb0ESR_SS_SU_SV_SZ_EES10_S11_S12_S13_S17_S18_S19_S1C_S1D_jS1E_jS1F_S1F_jjS1H_bEUljE0_EEES10_S11_S12_S19_S1D_S1F_T6_T7_T9_mT8_S1H_bDpT10_ENKUlT_T0_E_clISt17integral_constantIbLb0EES1V_EEDaS1Q_S1R_EUlS1Q_E_NS1_11comp_targetILNS1_3genE0ELNS1_11target_archE4294967295ELNS1_3gpuE0ELNS1_3repE0EEENS1_30default_config_static_selectorELNS0_4arch9wavefront6targetE0EEEvS13_
		.amdhsa_group_segment_fixed_size 13328
		.amdhsa_private_segment_fixed_size 0
		.amdhsa_kernarg_size 176
		.amdhsa_user_sgpr_count 2
		.amdhsa_user_sgpr_dispatch_ptr 0
		.amdhsa_user_sgpr_queue_ptr 0
		.amdhsa_user_sgpr_kernarg_segment_ptr 1
		.amdhsa_user_sgpr_dispatch_id 0
		.amdhsa_user_sgpr_kernarg_preload_length 0
		.amdhsa_user_sgpr_kernarg_preload_offset 0
		.amdhsa_user_sgpr_private_segment_size 0
		.amdhsa_wavefront_size32 1
		.amdhsa_uses_dynamic_stack 0
		.amdhsa_enable_private_segment 0
		.amdhsa_system_sgpr_workgroup_id_x 1
		.amdhsa_system_sgpr_workgroup_id_y 0
		.amdhsa_system_sgpr_workgroup_id_z 0
		.amdhsa_system_sgpr_workgroup_info 0
		.amdhsa_system_vgpr_workitem_id 0
		.amdhsa_next_free_vgpr 81
		.amdhsa_next_free_sgpr 59
		.amdhsa_named_barrier_count 0
		.amdhsa_reserve_vcc 1
		.amdhsa_float_round_mode_32 0
		.amdhsa_float_round_mode_16_64 0
		.amdhsa_float_denorm_mode_32 3
		.amdhsa_float_denorm_mode_16_64 3
		.amdhsa_fp16_overflow 0
		.amdhsa_memory_ordered 1
		.amdhsa_forward_progress 1
		.amdhsa_inst_pref_size 139
		.amdhsa_round_robin_scheduling 0
		.amdhsa_exception_fp_ieee_invalid_op 0
		.amdhsa_exception_fp_denorm_src 0
		.amdhsa_exception_fp_ieee_div_zero 0
		.amdhsa_exception_fp_ieee_overflow 0
		.amdhsa_exception_fp_ieee_underflow 0
		.amdhsa_exception_fp_ieee_inexact 0
		.amdhsa_exception_int_div_zero 0
	.end_amdhsa_kernel
	.section	.text._ZN7rocprim17ROCPRIM_400000_NS6detail17trampoline_kernelINS0_13select_configILj256ELj13ELNS0_17block_load_methodE3ELS4_3ELS4_3ELNS0_20block_scan_algorithmE0ELj4294967295EEENS1_25partition_config_selectorILNS1_17partition_subalgoE4EjNS0_10empty_typeEbEEZZNS1_14partition_implILS8_4ELb0ES6_15HIP_vector_typeIjLj2EENS0_17counting_iteratorIjlEEPS9_SG_NS0_5tupleIJPjSI_NS0_16reverse_iteratorISI_EEEEENSH_IJSG_SG_SG_EEES9_SI_JZNS1_25segmented_radix_sort_implINS0_14default_configELb0EPK6__halfPSP_PKlPlN2at6native12_GLOBAL__N_18offset_tEEE10hipError_tPvRmT1_PNSt15iterator_traitsIS13_E10value_typeET2_T3_PNS14_IS19_E10value_typeET4_jRbjT5_S1F_jjP12ihipStream_tbEUljE_ZNSN_ISO_Lb0ESR_SS_SU_SV_SZ_EES10_S11_S12_S13_S17_S18_S19_S1C_S1D_jS1E_jS1F_S1F_jjS1H_bEUljE0_EEES10_S11_S12_S19_S1D_S1F_T6_T7_T9_mT8_S1H_bDpT10_ENKUlT_T0_E_clISt17integral_constantIbLb0EES1V_EEDaS1Q_S1R_EUlS1Q_E_NS1_11comp_targetILNS1_3genE0ELNS1_11target_archE4294967295ELNS1_3gpuE0ELNS1_3repE0EEENS1_30default_config_static_selectorELNS0_4arch9wavefront6targetE0EEEvS13_,"axG",@progbits,_ZN7rocprim17ROCPRIM_400000_NS6detail17trampoline_kernelINS0_13select_configILj256ELj13ELNS0_17block_load_methodE3ELS4_3ELS4_3ELNS0_20block_scan_algorithmE0ELj4294967295EEENS1_25partition_config_selectorILNS1_17partition_subalgoE4EjNS0_10empty_typeEbEEZZNS1_14partition_implILS8_4ELb0ES6_15HIP_vector_typeIjLj2EENS0_17counting_iteratorIjlEEPS9_SG_NS0_5tupleIJPjSI_NS0_16reverse_iteratorISI_EEEEENSH_IJSG_SG_SG_EEES9_SI_JZNS1_25segmented_radix_sort_implINS0_14default_configELb0EPK6__halfPSP_PKlPlN2at6native12_GLOBAL__N_18offset_tEEE10hipError_tPvRmT1_PNSt15iterator_traitsIS13_E10value_typeET2_T3_PNS14_IS19_E10value_typeET4_jRbjT5_S1F_jjP12ihipStream_tbEUljE_ZNSN_ISO_Lb0ESR_SS_SU_SV_SZ_EES10_S11_S12_S13_S17_S18_S19_S1C_S1D_jS1E_jS1F_S1F_jjS1H_bEUljE0_EEES10_S11_S12_S19_S1D_S1F_T6_T7_T9_mT8_S1H_bDpT10_ENKUlT_T0_E_clISt17integral_constantIbLb0EES1V_EEDaS1Q_S1R_EUlS1Q_E_NS1_11comp_targetILNS1_3genE0ELNS1_11target_archE4294967295ELNS1_3gpuE0ELNS1_3repE0EEENS1_30default_config_static_selectorELNS0_4arch9wavefront6targetE0EEEvS13_,comdat
.Lfunc_end1768:
	.size	_ZN7rocprim17ROCPRIM_400000_NS6detail17trampoline_kernelINS0_13select_configILj256ELj13ELNS0_17block_load_methodE3ELS4_3ELS4_3ELNS0_20block_scan_algorithmE0ELj4294967295EEENS1_25partition_config_selectorILNS1_17partition_subalgoE4EjNS0_10empty_typeEbEEZZNS1_14partition_implILS8_4ELb0ES6_15HIP_vector_typeIjLj2EENS0_17counting_iteratorIjlEEPS9_SG_NS0_5tupleIJPjSI_NS0_16reverse_iteratorISI_EEEEENSH_IJSG_SG_SG_EEES9_SI_JZNS1_25segmented_radix_sort_implINS0_14default_configELb0EPK6__halfPSP_PKlPlN2at6native12_GLOBAL__N_18offset_tEEE10hipError_tPvRmT1_PNSt15iterator_traitsIS13_E10value_typeET2_T3_PNS14_IS19_E10value_typeET4_jRbjT5_S1F_jjP12ihipStream_tbEUljE_ZNSN_ISO_Lb0ESR_SS_SU_SV_SZ_EES10_S11_S12_S13_S17_S18_S19_S1C_S1D_jS1E_jS1F_S1F_jjS1H_bEUljE0_EEES10_S11_S12_S19_S1D_S1F_T6_T7_T9_mT8_S1H_bDpT10_ENKUlT_T0_E_clISt17integral_constantIbLb0EES1V_EEDaS1Q_S1R_EUlS1Q_E_NS1_11comp_targetILNS1_3genE0ELNS1_11target_archE4294967295ELNS1_3gpuE0ELNS1_3repE0EEENS1_30default_config_static_selectorELNS0_4arch9wavefront6targetE0EEEvS13_, .Lfunc_end1768-_ZN7rocprim17ROCPRIM_400000_NS6detail17trampoline_kernelINS0_13select_configILj256ELj13ELNS0_17block_load_methodE3ELS4_3ELS4_3ELNS0_20block_scan_algorithmE0ELj4294967295EEENS1_25partition_config_selectorILNS1_17partition_subalgoE4EjNS0_10empty_typeEbEEZZNS1_14partition_implILS8_4ELb0ES6_15HIP_vector_typeIjLj2EENS0_17counting_iteratorIjlEEPS9_SG_NS0_5tupleIJPjSI_NS0_16reverse_iteratorISI_EEEEENSH_IJSG_SG_SG_EEES9_SI_JZNS1_25segmented_radix_sort_implINS0_14default_configELb0EPK6__halfPSP_PKlPlN2at6native12_GLOBAL__N_18offset_tEEE10hipError_tPvRmT1_PNSt15iterator_traitsIS13_E10value_typeET2_T3_PNS14_IS19_E10value_typeET4_jRbjT5_S1F_jjP12ihipStream_tbEUljE_ZNSN_ISO_Lb0ESR_SS_SU_SV_SZ_EES10_S11_S12_S13_S17_S18_S19_S1C_S1D_jS1E_jS1F_S1F_jjS1H_bEUljE0_EEES10_S11_S12_S19_S1D_S1F_T6_T7_T9_mT8_S1H_bDpT10_ENKUlT_T0_E_clISt17integral_constantIbLb0EES1V_EEDaS1Q_S1R_EUlS1Q_E_NS1_11comp_targetILNS1_3genE0ELNS1_11target_archE4294967295ELNS1_3gpuE0ELNS1_3repE0EEENS1_30default_config_static_selectorELNS0_4arch9wavefront6targetE0EEEvS13_
                                        ; -- End function
	.set _ZN7rocprim17ROCPRIM_400000_NS6detail17trampoline_kernelINS0_13select_configILj256ELj13ELNS0_17block_load_methodE3ELS4_3ELS4_3ELNS0_20block_scan_algorithmE0ELj4294967295EEENS1_25partition_config_selectorILNS1_17partition_subalgoE4EjNS0_10empty_typeEbEEZZNS1_14partition_implILS8_4ELb0ES6_15HIP_vector_typeIjLj2EENS0_17counting_iteratorIjlEEPS9_SG_NS0_5tupleIJPjSI_NS0_16reverse_iteratorISI_EEEEENSH_IJSG_SG_SG_EEES9_SI_JZNS1_25segmented_radix_sort_implINS0_14default_configELb0EPK6__halfPSP_PKlPlN2at6native12_GLOBAL__N_18offset_tEEE10hipError_tPvRmT1_PNSt15iterator_traitsIS13_E10value_typeET2_T3_PNS14_IS19_E10value_typeET4_jRbjT5_S1F_jjP12ihipStream_tbEUljE_ZNSN_ISO_Lb0ESR_SS_SU_SV_SZ_EES10_S11_S12_S13_S17_S18_S19_S1C_S1D_jS1E_jS1F_S1F_jjS1H_bEUljE0_EEES10_S11_S12_S19_S1D_S1F_T6_T7_T9_mT8_S1H_bDpT10_ENKUlT_T0_E_clISt17integral_constantIbLb0EES1V_EEDaS1Q_S1R_EUlS1Q_E_NS1_11comp_targetILNS1_3genE0ELNS1_11target_archE4294967295ELNS1_3gpuE0ELNS1_3repE0EEENS1_30default_config_static_selectorELNS0_4arch9wavefront6targetE0EEEvS13_.num_vgpr, 81
	.set _ZN7rocprim17ROCPRIM_400000_NS6detail17trampoline_kernelINS0_13select_configILj256ELj13ELNS0_17block_load_methodE3ELS4_3ELS4_3ELNS0_20block_scan_algorithmE0ELj4294967295EEENS1_25partition_config_selectorILNS1_17partition_subalgoE4EjNS0_10empty_typeEbEEZZNS1_14partition_implILS8_4ELb0ES6_15HIP_vector_typeIjLj2EENS0_17counting_iteratorIjlEEPS9_SG_NS0_5tupleIJPjSI_NS0_16reverse_iteratorISI_EEEEENSH_IJSG_SG_SG_EEES9_SI_JZNS1_25segmented_radix_sort_implINS0_14default_configELb0EPK6__halfPSP_PKlPlN2at6native12_GLOBAL__N_18offset_tEEE10hipError_tPvRmT1_PNSt15iterator_traitsIS13_E10value_typeET2_T3_PNS14_IS19_E10value_typeET4_jRbjT5_S1F_jjP12ihipStream_tbEUljE_ZNSN_ISO_Lb0ESR_SS_SU_SV_SZ_EES10_S11_S12_S13_S17_S18_S19_S1C_S1D_jS1E_jS1F_S1F_jjS1H_bEUljE0_EEES10_S11_S12_S19_S1D_S1F_T6_T7_T9_mT8_S1H_bDpT10_ENKUlT_T0_E_clISt17integral_constantIbLb0EES1V_EEDaS1Q_S1R_EUlS1Q_E_NS1_11comp_targetILNS1_3genE0ELNS1_11target_archE4294967295ELNS1_3gpuE0ELNS1_3repE0EEENS1_30default_config_static_selectorELNS0_4arch9wavefront6targetE0EEEvS13_.num_agpr, 0
	.set _ZN7rocprim17ROCPRIM_400000_NS6detail17trampoline_kernelINS0_13select_configILj256ELj13ELNS0_17block_load_methodE3ELS4_3ELS4_3ELNS0_20block_scan_algorithmE0ELj4294967295EEENS1_25partition_config_selectorILNS1_17partition_subalgoE4EjNS0_10empty_typeEbEEZZNS1_14partition_implILS8_4ELb0ES6_15HIP_vector_typeIjLj2EENS0_17counting_iteratorIjlEEPS9_SG_NS0_5tupleIJPjSI_NS0_16reverse_iteratorISI_EEEEENSH_IJSG_SG_SG_EEES9_SI_JZNS1_25segmented_radix_sort_implINS0_14default_configELb0EPK6__halfPSP_PKlPlN2at6native12_GLOBAL__N_18offset_tEEE10hipError_tPvRmT1_PNSt15iterator_traitsIS13_E10value_typeET2_T3_PNS14_IS19_E10value_typeET4_jRbjT5_S1F_jjP12ihipStream_tbEUljE_ZNSN_ISO_Lb0ESR_SS_SU_SV_SZ_EES10_S11_S12_S13_S17_S18_S19_S1C_S1D_jS1E_jS1F_S1F_jjS1H_bEUljE0_EEES10_S11_S12_S19_S1D_S1F_T6_T7_T9_mT8_S1H_bDpT10_ENKUlT_T0_E_clISt17integral_constantIbLb0EES1V_EEDaS1Q_S1R_EUlS1Q_E_NS1_11comp_targetILNS1_3genE0ELNS1_11target_archE4294967295ELNS1_3gpuE0ELNS1_3repE0EEENS1_30default_config_static_selectorELNS0_4arch9wavefront6targetE0EEEvS13_.numbered_sgpr, 59
	.set _ZN7rocprim17ROCPRIM_400000_NS6detail17trampoline_kernelINS0_13select_configILj256ELj13ELNS0_17block_load_methodE3ELS4_3ELS4_3ELNS0_20block_scan_algorithmE0ELj4294967295EEENS1_25partition_config_selectorILNS1_17partition_subalgoE4EjNS0_10empty_typeEbEEZZNS1_14partition_implILS8_4ELb0ES6_15HIP_vector_typeIjLj2EENS0_17counting_iteratorIjlEEPS9_SG_NS0_5tupleIJPjSI_NS0_16reverse_iteratorISI_EEEEENSH_IJSG_SG_SG_EEES9_SI_JZNS1_25segmented_radix_sort_implINS0_14default_configELb0EPK6__halfPSP_PKlPlN2at6native12_GLOBAL__N_18offset_tEEE10hipError_tPvRmT1_PNSt15iterator_traitsIS13_E10value_typeET2_T3_PNS14_IS19_E10value_typeET4_jRbjT5_S1F_jjP12ihipStream_tbEUljE_ZNSN_ISO_Lb0ESR_SS_SU_SV_SZ_EES10_S11_S12_S13_S17_S18_S19_S1C_S1D_jS1E_jS1F_S1F_jjS1H_bEUljE0_EEES10_S11_S12_S19_S1D_S1F_T6_T7_T9_mT8_S1H_bDpT10_ENKUlT_T0_E_clISt17integral_constantIbLb0EES1V_EEDaS1Q_S1R_EUlS1Q_E_NS1_11comp_targetILNS1_3genE0ELNS1_11target_archE4294967295ELNS1_3gpuE0ELNS1_3repE0EEENS1_30default_config_static_selectorELNS0_4arch9wavefront6targetE0EEEvS13_.num_named_barrier, 0
	.set _ZN7rocprim17ROCPRIM_400000_NS6detail17trampoline_kernelINS0_13select_configILj256ELj13ELNS0_17block_load_methodE3ELS4_3ELS4_3ELNS0_20block_scan_algorithmE0ELj4294967295EEENS1_25partition_config_selectorILNS1_17partition_subalgoE4EjNS0_10empty_typeEbEEZZNS1_14partition_implILS8_4ELb0ES6_15HIP_vector_typeIjLj2EENS0_17counting_iteratorIjlEEPS9_SG_NS0_5tupleIJPjSI_NS0_16reverse_iteratorISI_EEEEENSH_IJSG_SG_SG_EEES9_SI_JZNS1_25segmented_radix_sort_implINS0_14default_configELb0EPK6__halfPSP_PKlPlN2at6native12_GLOBAL__N_18offset_tEEE10hipError_tPvRmT1_PNSt15iterator_traitsIS13_E10value_typeET2_T3_PNS14_IS19_E10value_typeET4_jRbjT5_S1F_jjP12ihipStream_tbEUljE_ZNSN_ISO_Lb0ESR_SS_SU_SV_SZ_EES10_S11_S12_S13_S17_S18_S19_S1C_S1D_jS1E_jS1F_S1F_jjS1H_bEUljE0_EEES10_S11_S12_S19_S1D_S1F_T6_T7_T9_mT8_S1H_bDpT10_ENKUlT_T0_E_clISt17integral_constantIbLb0EES1V_EEDaS1Q_S1R_EUlS1Q_E_NS1_11comp_targetILNS1_3genE0ELNS1_11target_archE4294967295ELNS1_3gpuE0ELNS1_3repE0EEENS1_30default_config_static_selectorELNS0_4arch9wavefront6targetE0EEEvS13_.private_seg_size, 0
	.set _ZN7rocprim17ROCPRIM_400000_NS6detail17trampoline_kernelINS0_13select_configILj256ELj13ELNS0_17block_load_methodE3ELS4_3ELS4_3ELNS0_20block_scan_algorithmE0ELj4294967295EEENS1_25partition_config_selectorILNS1_17partition_subalgoE4EjNS0_10empty_typeEbEEZZNS1_14partition_implILS8_4ELb0ES6_15HIP_vector_typeIjLj2EENS0_17counting_iteratorIjlEEPS9_SG_NS0_5tupleIJPjSI_NS0_16reverse_iteratorISI_EEEEENSH_IJSG_SG_SG_EEES9_SI_JZNS1_25segmented_radix_sort_implINS0_14default_configELb0EPK6__halfPSP_PKlPlN2at6native12_GLOBAL__N_18offset_tEEE10hipError_tPvRmT1_PNSt15iterator_traitsIS13_E10value_typeET2_T3_PNS14_IS19_E10value_typeET4_jRbjT5_S1F_jjP12ihipStream_tbEUljE_ZNSN_ISO_Lb0ESR_SS_SU_SV_SZ_EES10_S11_S12_S13_S17_S18_S19_S1C_S1D_jS1E_jS1F_S1F_jjS1H_bEUljE0_EEES10_S11_S12_S19_S1D_S1F_T6_T7_T9_mT8_S1H_bDpT10_ENKUlT_T0_E_clISt17integral_constantIbLb0EES1V_EEDaS1Q_S1R_EUlS1Q_E_NS1_11comp_targetILNS1_3genE0ELNS1_11target_archE4294967295ELNS1_3gpuE0ELNS1_3repE0EEENS1_30default_config_static_selectorELNS0_4arch9wavefront6targetE0EEEvS13_.uses_vcc, 1
	.set _ZN7rocprim17ROCPRIM_400000_NS6detail17trampoline_kernelINS0_13select_configILj256ELj13ELNS0_17block_load_methodE3ELS4_3ELS4_3ELNS0_20block_scan_algorithmE0ELj4294967295EEENS1_25partition_config_selectorILNS1_17partition_subalgoE4EjNS0_10empty_typeEbEEZZNS1_14partition_implILS8_4ELb0ES6_15HIP_vector_typeIjLj2EENS0_17counting_iteratorIjlEEPS9_SG_NS0_5tupleIJPjSI_NS0_16reverse_iteratorISI_EEEEENSH_IJSG_SG_SG_EEES9_SI_JZNS1_25segmented_radix_sort_implINS0_14default_configELb0EPK6__halfPSP_PKlPlN2at6native12_GLOBAL__N_18offset_tEEE10hipError_tPvRmT1_PNSt15iterator_traitsIS13_E10value_typeET2_T3_PNS14_IS19_E10value_typeET4_jRbjT5_S1F_jjP12ihipStream_tbEUljE_ZNSN_ISO_Lb0ESR_SS_SU_SV_SZ_EES10_S11_S12_S13_S17_S18_S19_S1C_S1D_jS1E_jS1F_S1F_jjS1H_bEUljE0_EEES10_S11_S12_S19_S1D_S1F_T6_T7_T9_mT8_S1H_bDpT10_ENKUlT_T0_E_clISt17integral_constantIbLb0EES1V_EEDaS1Q_S1R_EUlS1Q_E_NS1_11comp_targetILNS1_3genE0ELNS1_11target_archE4294967295ELNS1_3gpuE0ELNS1_3repE0EEENS1_30default_config_static_selectorELNS0_4arch9wavefront6targetE0EEEvS13_.uses_flat_scratch, 0
	.set _ZN7rocprim17ROCPRIM_400000_NS6detail17trampoline_kernelINS0_13select_configILj256ELj13ELNS0_17block_load_methodE3ELS4_3ELS4_3ELNS0_20block_scan_algorithmE0ELj4294967295EEENS1_25partition_config_selectorILNS1_17partition_subalgoE4EjNS0_10empty_typeEbEEZZNS1_14partition_implILS8_4ELb0ES6_15HIP_vector_typeIjLj2EENS0_17counting_iteratorIjlEEPS9_SG_NS0_5tupleIJPjSI_NS0_16reverse_iteratorISI_EEEEENSH_IJSG_SG_SG_EEES9_SI_JZNS1_25segmented_radix_sort_implINS0_14default_configELb0EPK6__halfPSP_PKlPlN2at6native12_GLOBAL__N_18offset_tEEE10hipError_tPvRmT1_PNSt15iterator_traitsIS13_E10value_typeET2_T3_PNS14_IS19_E10value_typeET4_jRbjT5_S1F_jjP12ihipStream_tbEUljE_ZNSN_ISO_Lb0ESR_SS_SU_SV_SZ_EES10_S11_S12_S13_S17_S18_S19_S1C_S1D_jS1E_jS1F_S1F_jjS1H_bEUljE0_EEES10_S11_S12_S19_S1D_S1F_T6_T7_T9_mT8_S1H_bDpT10_ENKUlT_T0_E_clISt17integral_constantIbLb0EES1V_EEDaS1Q_S1R_EUlS1Q_E_NS1_11comp_targetILNS1_3genE0ELNS1_11target_archE4294967295ELNS1_3gpuE0ELNS1_3repE0EEENS1_30default_config_static_selectorELNS0_4arch9wavefront6targetE0EEEvS13_.has_dyn_sized_stack, 0
	.set _ZN7rocprim17ROCPRIM_400000_NS6detail17trampoline_kernelINS0_13select_configILj256ELj13ELNS0_17block_load_methodE3ELS4_3ELS4_3ELNS0_20block_scan_algorithmE0ELj4294967295EEENS1_25partition_config_selectorILNS1_17partition_subalgoE4EjNS0_10empty_typeEbEEZZNS1_14partition_implILS8_4ELb0ES6_15HIP_vector_typeIjLj2EENS0_17counting_iteratorIjlEEPS9_SG_NS0_5tupleIJPjSI_NS0_16reverse_iteratorISI_EEEEENSH_IJSG_SG_SG_EEES9_SI_JZNS1_25segmented_radix_sort_implINS0_14default_configELb0EPK6__halfPSP_PKlPlN2at6native12_GLOBAL__N_18offset_tEEE10hipError_tPvRmT1_PNSt15iterator_traitsIS13_E10value_typeET2_T3_PNS14_IS19_E10value_typeET4_jRbjT5_S1F_jjP12ihipStream_tbEUljE_ZNSN_ISO_Lb0ESR_SS_SU_SV_SZ_EES10_S11_S12_S13_S17_S18_S19_S1C_S1D_jS1E_jS1F_S1F_jjS1H_bEUljE0_EEES10_S11_S12_S19_S1D_S1F_T6_T7_T9_mT8_S1H_bDpT10_ENKUlT_T0_E_clISt17integral_constantIbLb0EES1V_EEDaS1Q_S1R_EUlS1Q_E_NS1_11comp_targetILNS1_3genE0ELNS1_11target_archE4294967295ELNS1_3gpuE0ELNS1_3repE0EEENS1_30default_config_static_selectorELNS0_4arch9wavefront6targetE0EEEvS13_.has_recursion, 0
	.set _ZN7rocprim17ROCPRIM_400000_NS6detail17trampoline_kernelINS0_13select_configILj256ELj13ELNS0_17block_load_methodE3ELS4_3ELS4_3ELNS0_20block_scan_algorithmE0ELj4294967295EEENS1_25partition_config_selectorILNS1_17partition_subalgoE4EjNS0_10empty_typeEbEEZZNS1_14partition_implILS8_4ELb0ES6_15HIP_vector_typeIjLj2EENS0_17counting_iteratorIjlEEPS9_SG_NS0_5tupleIJPjSI_NS0_16reverse_iteratorISI_EEEEENSH_IJSG_SG_SG_EEES9_SI_JZNS1_25segmented_radix_sort_implINS0_14default_configELb0EPK6__halfPSP_PKlPlN2at6native12_GLOBAL__N_18offset_tEEE10hipError_tPvRmT1_PNSt15iterator_traitsIS13_E10value_typeET2_T3_PNS14_IS19_E10value_typeET4_jRbjT5_S1F_jjP12ihipStream_tbEUljE_ZNSN_ISO_Lb0ESR_SS_SU_SV_SZ_EES10_S11_S12_S13_S17_S18_S19_S1C_S1D_jS1E_jS1F_S1F_jjS1H_bEUljE0_EEES10_S11_S12_S19_S1D_S1F_T6_T7_T9_mT8_S1H_bDpT10_ENKUlT_T0_E_clISt17integral_constantIbLb0EES1V_EEDaS1Q_S1R_EUlS1Q_E_NS1_11comp_targetILNS1_3genE0ELNS1_11target_archE4294967295ELNS1_3gpuE0ELNS1_3repE0EEENS1_30default_config_static_selectorELNS0_4arch9wavefront6targetE0EEEvS13_.has_indirect_call, 0
	.section	.AMDGPU.csdata,"",@progbits
; Kernel info:
; codeLenInByte = 17784
; TotalNumSgprs: 61
; NumVgprs: 81
; ScratchSize: 0
; MemoryBound: 0
; FloatMode: 240
; IeeeMode: 1
; LDSByteSize: 13328 bytes/workgroup (compile time only)
; SGPRBlocks: 0
; VGPRBlocks: 5
; NumSGPRsForWavesPerEU: 61
; NumVGPRsForWavesPerEU: 81
; NamedBarCnt: 0
; Occupancy: 10
; WaveLimiterHint : 1
; COMPUTE_PGM_RSRC2:SCRATCH_EN: 0
; COMPUTE_PGM_RSRC2:USER_SGPR: 2
; COMPUTE_PGM_RSRC2:TRAP_HANDLER: 0
; COMPUTE_PGM_RSRC2:TGID_X_EN: 1
; COMPUTE_PGM_RSRC2:TGID_Y_EN: 0
; COMPUTE_PGM_RSRC2:TGID_Z_EN: 0
; COMPUTE_PGM_RSRC2:TIDIG_COMP_CNT: 0
	.section	.text._ZN7rocprim17ROCPRIM_400000_NS6detail17trampoline_kernelINS0_13select_configILj256ELj13ELNS0_17block_load_methodE3ELS4_3ELS4_3ELNS0_20block_scan_algorithmE0ELj4294967295EEENS1_25partition_config_selectorILNS1_17partition_subalgoE4EjNS0_10empty_typeEbEEZZNS1_14partition_implILS8_4ELb0ES6_15HIP_vector_typeIjLj2EENS0_17counting_iteratorIjlEEPS9_SG_NS0_5tupleIJPjSI_NS0_16reverse_iteratorISI_EEEEENSH_IJSG_SG_SG_EEES9_SI_JZNS1_25segmented_radix_sort_implINS0_14default_configELb0EPK6__halfPSP_PKlPlN2at6native12_GLOBAL__N_18offset_tEEE10hipError_tPvRmT1_PNSt15iterator_traitsIS13_E10value_typeET2_T3_PNS14_IS19_E10value_typeET4_jRbjT5_S1F_jjP12ihipStream_tbEUljE_ZNSN_ISO_Lb0ESR_SS_SU_SV_SZ_EES10_S11_S12_S13_S17_S18_S19_S1C_S1D_jS1E_jS1F_S1F_jjS1H_bEUljE0_EEES10_S11_S12_S19_S1D_S1F_T6_T7_T9_mT8_S1H_bDpT10_ENKUlT_T0_E_clISt17integral_constantIbLb0EES1V_EEDaS1Q_S1R_EUlS1Q_E_NS1_11comp_targetILNS1_3genE5ELNS1_11target_archE942ELNS1_3gpuE9ELNS1_3repE0EEENS1_30default_config_static_selectorELNS0_4arch9wavefront6targetE0EEEvS13_,"axG",@progbits,_ZN7rocprim17ROCPRIM_400000_NS6detail17trampoline_kernelINS0_13select_configILj256ELj13ELNS0_17block_load_methodE3ELS4_3ELS4_3ELNS0_20block_scan_algorithmE0ELj4294967295EEENS1_25partition_config_selectorILNS1_17partition_subalgoE4EjNS0_10empty_typeEbEEZZNS1_14partition_implILS8_4ELb0ES6_15HIP_vector_typeIjLj2EENS0_17counting_iteratorIjlEEPS9_SG_NS0_5tupleIJPjSI_NS0_16reverse_iteratorISI_EEEEENSH_IJSG_SG_SG_EEES9_SI_JZNS1_25segmented_radix_sort_implINS0_14default_configELb0EPK6__halfPSP_PKlPlN2at6native12_GLOBAL__N_18offset_tEEE10hipError_tPvRmT1_PNSt15iterator_traitsIS13_E10value_typeET2_T3_PNS14_IS19_E10value_typeET4_jRbjT5_S1F_jjP12ihipStream_tbEUljE_ZNSN_ISO_Lb0ESR_SS_SU_SV_SZ_EES10_S11_S12_S13_S17_S18_S19_S1C_S1D_jS1E_jS1F_S1F_jjS1H_bEUljE0_EEES10_S11_S12_S19_S1D_S1F_T6_T7_T9_mT8_S1H_bDpT10_ENKUlT_T0_E_clISt17integral_constantIbLb0EES1V_EEDaS1Q_S1R_EUlS1Q_E_NS1_11comp_targetILNS1_3genE5ELNS1_11target_archE942ELNS1_3gpuE9ELNS1_3repE0EEENS1_30default_config_static_selectorELNS0_4arch9wavefront6targetE0EEEvS13_,comdat
	.globl	_ZN7rocprim17ROCPRIM_400000_NS6detail17trampoline_kernelINS0_13select_configILj256ELj13ELNS0_17block_load_methodE3ELS4_3ELS4_3ELNS0_20block_scan_algorithmE0ELj4294967295EEENS1_25partition_config_selectorILNS1_17partition_subalgoE4EjNS0_10empty_typeEbEEZZNS1_14partition_implILS8_4ELb0ES6_15HIP_vector_typeIjLj2EENS0_17counting_iteratorIjlEEPS9_SG_NS0_5tupleIJPjSI_NS0_16reverse_iteratorISI_EEEEENSH_IJSG_SG_SG_EEES9_SI_JZNS1_25segmented_radix_sort_implINS0_14default_configELb0EPK6__halfPSP_PKlPlN2at6native12_GLOBAL__N_18offset_tEEE10hipError_tPvRmT1_PNSt15iterator_traitsIS13_E10value_typeET2_T3_PNS14_IS19_E10value_typeET4_jRbjT5_S1F_jjP12ihipStream_tbEUljE_ZNSN_ISO_Lb0ESR_SS_SU_SV_SZ_EES10_S11_S12_S13_S17_S18_S19_S1C_S1D_jS1E_jS1F_S1F_jjS1H_bEUljE0_EEES10_S11_S12_S19_S1D_S1F_T6_T7_T9_mT8_S1H_bDpT10_ENKUlT_T0_E_clISt17integral_constantIbLb0EES1V_EEDaS1Q_S1R_EUlS1Q_E_NS1_11comp_targetILNS1_3genE5ELNS1_11target_archE942ELNS1_3gpuE9ELNS1_3repE0EEENS1_30default_config_static_selectorELNS0_4arch9wavefront6targetE0EEEvS13_ ; -- Begin function _ZN7rocprim17ROCPRIM_400000_NS6detail17trampoline_kernelINS0_13select_configILj256ELj13ELNS0_17block_load_methodE3ELS4_3ELS4_3ELNS0_20block_scan_algorithmE0ELj4294967295EEENS1_25partition_config_selectorILNS1_17partition_subalgoE4EjNS0_10empty_typeEbEEZZNS1_14partition_implILS8_4ELb0ES6_15HIP_vector_typeIjLj2EENS0_17counting_iteratorIjlEEPS9_SG_NS0_5tupleIJPjSI_NS0_16reverse_iteratorISI_EEEEENSH_IJSG_SG_SG_EEES9_SI_JZNS1_25segmented_radix_sort_implINS0_14default_configELb0EPK6__halfPSP_PKlPlN2at6native12_GLOBAL__N_18offset_tEEE10hipError_tPvRmT1_PNSt15iterator_traitsIS13_E10value_typeET2_T3_PNS14_IS19_E10value_typeET4_jRbjT5_S1F_jjP12ihipStream_tbEUljE_ZNSN_ISO_Lb0ESR_SS_SU_SV_SZ_EES10_S11_S12_S13_S17_S18_S19_S1C_S1D_jS1E_jS1F_S1F_jjS1H_bEUljE0_EEES10_S11_S12_S19_S1D_S1F_T6_T7_T9_mT8_S1H_bDpT10_ENKUlT_T0_E_clISt17integral_constantIbLb0EES1V_EEDaS1Q_S1R_EUlS1Q_E_NS1_11comp_targetILNS1_3genE5ELNS1_11target_archE942ELNS1_3gpuE9ELNS1_3repE0EEENS1_30default_config_static_selectorELNS0_4arch9wavefront6targetE0EEEvS13_
	.p2align	8
	.type	_ZN7rocprim17ROCPRIM_400000_NS6detail17trampoline_kernelINS0_13select_configILj256ELj13ELNS0_17block_load_methodE3ELS4_3ELS4_3ELNS0_20block_scan_algorithmE0ELj4294967295EEENS1_25partition_config_selectorILNS1_17partition_subalgoE4EjNS0_10empty_typeEbEEZZNS1_14partition_implILS8_4ELb0ES6_15HIP_vector_typeIjLj2EENS0_17counting_iteratorIjlEEPS9_SG_NS0_5tupleIJPjSI_NS0_16reverse_iteratorISI_EEEEENSH_IJSG_SG_SG_EEES9_SI_JZNS1_25segmented_radix_sort_implINS0_14default_configELb0EPK6__halfPSP_PKlPlN2at6native12_GLOBAL__N_18offset_tEEE10hipError_tPvRmT1_PNSt15iterator_traitsIS13_E10value_typeET2_T3_PNS14_IS19_E10value_typeET4_jRbjT5_S1F_jjP12ihipStream_tbEUljE_ZNSN_ISO_Lb0ESR_SS_SU_SV_SZ_EES10_S11_S12_S13_S17_S18_S19_S1C_S1D_jS1E_jS1F_S1F_jjS1H_bEUljE0_EEES10_S11_S12_S19_S1D_S1F_T6_T7_T9_mT8_S1H_bDpT10_ENKUlT_T0_E_clISt17integral_constantIbLb0EES1V_EEDaS1Q_S1R_EUlS1Q_E_NS1_11comp_targetILNS1_3genE5ELNS1_11target_archE942ELNS1_3gpuE9ELNS1_3repE0EEENS1_30default_config_static_selectorELNS0_4arch9wavefront6targetE0EEEvS13_,@function
_ZN7rocprim17ROCPRIM_400000_NS6detail17trampoline_kernelINS0_13select_configILj256ELj13ELNS0_17block_load_methodE3ELS4_3ELS4_3ELNS0_20block_scan_algorithmE0ELj4294967295EEENS1_25partition_config_selectorILNS1_17partition_subalgoE4EjNS0_10empty_typeEbEEZZNS1_14partition_implILS8_4ELb0ES6_15HIP_vector_typeIjLj2EENS0_17counting_iteratorIjlEEPS9_SG_NS0_5tupleIJPjSI_NS0_16reverse_iteratorISI_EEEEENSH_IJSG_SG_SG_EEES9_SI_JZNS1_25segmented_radix_sort_implINS0_14default_configELb0EPK6__halfPSP_PKlPlN2at6native12_GLOBAL__N_18offset_tEEE10hipError_tPvRmT1_PNSt15iterator_traitsIS13_E10value_typeET2_T3_PNS14_IS19_E10value_typeET4_jRbjT5_S1F_jjP12ihipStream_tbEUljE_ZNSN_ISO_Lb0ESR_SS_SU_SV_SZ_EES10_S11_S12_S13_S17_S18_S19_S1C_S1D_jS1E_jS1F_S1F_jjS1H_bEUljE0_EEES10_S11_S12_S19_S1D_S1F_T6_T7_T9_mT8_S1H_bDpT10_ENKUlT_T0_E_clISt17integral_constantIbLb0EES1V_EEDaS1Q_S1R_EUlS1Q_E_NS1_11comp_targetILNS1_3genE5ELNS1_11target_archE942ELNS1_3gpuE9ELNS1_3repE0EEENS1_30default_config_static_selectorELNS0_4arch9wavefront6targetE0EEEvS13_: ; @_ZN7rocprim17ROCPRIM_400000_NS6detail17trampoline_kernelINS0_13select_configILj256ELj13ELNS0_17block_load_methodE3ELS4_3ELS4_3ELNS0_20block_scan_algorithmE0ELj4294967295EEENS1_25partition_config_selectorILNS1_17partition_subalgoE4EjNS0_10empty_typeEbEEZZNS1_14partition_implILS8_4ELb0ES6_15HIP_vector_typeIjLj2EENS0_17counting_iteratorIjlEEPS9_SG_NS0_5tupleIJPjSI_NS0_16reverse_iteratorISI_EEEEENSH_IJSG_SG_SG_EEES9_SI_JZNS1_25segmented_radix_sort_implINS0_14default_configELb0EPK6__halfPSP_PKlPlN2at6native12_GLOBAL__N_18offset_tEEE10hipError_tPvRmT1_PNSt15iterator_traitsIS13_E10value_typeET2_T3_PNS14_IS19_E10value_typeET4_jRbjT5_S1F_jjP12ihipStream_tbEUljE_ZNSN_ISO_Lb0ESR_SS_SU_SV_SZ_EES10_S11_S12_S13_S17_S18_S19_S1C_S1D_jS1E_jS1F_S1F_jjS1H_bEUljE0_EEES10_S11_S12_S19_S1D_S1F_T6_T7_T9_mT8_S1H_bDpT10_ENKUlT_T0_E_clISt17integral_constantIbLb0EES1V_EEDaS1Q_S1R_EUlS1Q_E_NS1_11comp_targetILNS1_3genE5ELNS1_11target_archE942ELNS1_3gpuE9ELNS1_3repE0EEENS1_30default_config_static_selectorELNS0_4arch9wavefront6targetE0EEEvS13_
; %bb.0:
	.section	.rodata,"a",@progbits
	.p2align	6, 0x0
	.amdhsa_kernel _ZN7rocprim17ROCPRIM_400000_NS6detail17trampoline_kernelINS0_13select_configILj256ELj13ELNS0_17block_load_methodE3ELS4_3ELS4_3ELNS0_20block_scan_algorithmE0ELj4294967295EEENS1_25partition_config_selectorILNS1_17partition_subalgoE4EjNS0_10empty_typeEbEEZZNS1_14partition_implILS8_4ELb0ES6_15HIP_vector_typeIjLj2EENS0_17counting_iteratorIjlEEPS9_SG_NS0_5tupleIJPjSI_NS0_16reverse_iteratorISI_EEEEENSH_IJSG_SG_SG_EEES9_SI_JZNS1_25segmented_radix_sort_implINS0_14default_configELb0EPK6__halfPSP_PKlPlN2at6native12_GLOBAL__N_18offset_tEEE10hipError_tPvRmT1_PNSt15iterator_traitsIS13_E10value_typeET2_T3_PNS14_IS19_E10value_typeET4_jRbjT5_S1F_jjP12ihipStream_tbEUljE_ZNSN_ISO_Lb0ESR_SS_SU_SV_SZ_EES10_S11_S12_S13_S17_S18_S19_S1C_S1D_jS1E_jS1F_S1F_jjS1H_bEUljE0_EEES10_S11_S12_S19_S1D_S1F_T6_T7_T9_mT8_S1H_bDpT10_ENKUlT_T0_E_clISt17integral_constantIbLb0EES1V_EEDaS1Q_S1R_EUlS1Q_E_NS1_11comp_targetILNS1_3genE5ELNS1_11target_archE942ELNS1_3gpuE9ELNS1_3repE0EEENS1_30default_config_static_selectorELNS0_4arch9wavefront6targetE0EEEvS13_
		.amdhsa_group_segment_fixed_size 0
		.amdhsa_private_segment_fixed_size 0
		.amdhsa_kernarg_size 176
		.amdhsa_user_sgpr_count 2
		.amdhsa_user_sgpr_dispatch_ptr 0
		.amdhsa_user_sgpr_queue_ptr 0
		.amdhsa_user_sgpr_kernarg_segment_ptr 1
		.amdhsa_user_sgpr_dispatch_id 0
		.amdhsa_user_sgpr_kernarg_preload_length 0
		.amdhsa_user_sgpr_kernarg_preload_offset 0
		.amdhsa_user_sgpr_private_segment_size 0
		.amdhsa_wavefront_size32 1
		.amdhsa_uses_dynamic_stack 0
		.amdhsa_enable_private_segment 0
		.amdhsa_system_sgpr_workgroup_id_x 1
		.amdhsa_system_sgpr_workgroup_id_y 0
		.amdhsa_system_sgpr_workgroup_id_z 0
		.amdhsa_system_sgpr_workgroup_info 0
		.amdhsa_system_vgpr_workitem_id 0
		.amdhsa_next_free_vgpr 1
		.amdhsa_next_free_sgpr 1
		.amdhsa_named_barrier_count 0
		.amdhsa_reserve_vcc 0
		.amdhsa_float_round_mode_32 0
		.amdhsa_float_round_mode_16_64 0
		.amdhsa_float_denorm_mode_32 3
		.amdhsa_float_denorm_mode_16_64 3
		.amdhsa_fp16_overflow 0
		.amdhsa_memory_ordered 1
		.amdhsa_forward_progress 1
		.amdhsa_inst_pref_size 0
		.amdhsa_round_robin_scheduling 0
		.amdhsa_exception_fp_ieee_invalid_op 0
		.amdhsa_exception_fp_denorm_src 0
		.amdhsa_exception_fp_ieee_div_zero 0
		.amdhsa_exception_fp_ieee_overflow 0
		.amdhsa_exception_fp_ieee_underflow 0
		.amdhsa_exception_fp_ieee_inexact 0
		.amdhsa_exception_int_div_zero 0
	.end_amdhsa_kernel
	.section	.text._ZN7rocprim17ROCPRIM_400000_NS6detail17trampoline_kernelINS0_13select_configILj256ELj13ELNS0_17block_load_methodE3ELS4_3ELS4_3ELNS0_20block_scan_algorithmE0ELj4294967295EEENS1_25partition_config_selectorILNS1_17partition_subalgoE4EjNS0_10empty_typeEbEEZZNS1_14partition_implILS8_4ELb0ES6_15HIP_vector_typeIjLj2EENS0_17counting_iteratorIjlEEPS9_SG_NS0_5tupleIJPjSI_NS0_16reverse_iteratorISI_EEEEENSH_IJSG_SG_SG_EEES9_SI_JZNS1_25segmented_radix_sort_implINS0_14default_configELb0EPK6__halfPSP_PKlPlN2at6native12_GLOBAL__N_18offset_tEEE10hipError_tPvRmT1_PNSt15iterator_traitsIS13_E10value_typeET2_T3_PNS14_IS19_E10value_typeET4_jRbjT5_S1F_jjP12ihipStream_tbEUljE_ZNSN_ISO_Lb0ESR_SS_SU_SV_SZ_EES10_S11_S12_S13_S17_S18_S19_S1C_S1D_jS1E_jS1F_S1F_jjS1H_bEUljE0_EEES10_S11_S12_S19_S1D_S1F_T6_T7_T9_mT8_S1H_bDpT10_ENKUlT_T0_E_clISt17integral_constantIbLb0EES1V_EEDaS1Q_S1R_EUlS1Q_E_NS1_11comp_targetILNS1_3genE5ELNS1_11target_archE942ELNS1_3gpuE9ELNS1_3repE0EEENS1_30default_config_static_selectorELNS0_4arch9wavefront6targetE0EEEvS13_,"axG",@progbits,_ZN7rocprim17ROCPRIM_400000_NS6detail17trampoline_kernelINS0_13select_configILj256ELj13ELNS0_17block_load_methodE3ELS4_3ELS4_3ELNS0_20block_scan_algorithmE0ELj4294967295EEENS1_25partition_config_selectorILNS1_17partition_subalgoE4EjNS0_10empty_typeEbEEZZNS1_14partition_implILS8_4ELb0ES6_15HIP_vector_typeIjLj2EENS0_17counting_iteratorIjlEEPS9_SG_NS0_5tupleIJPjSI_NS0_16reverse_iteratorISI_EEEEENSH_IJSG_SG_SG_EEES9_SI_JZNS1_25segmented_radix_sort_implINS0_14default_configELb0EPK6__halfPSP_PKlPlN2at6native12_GLOBAL__N_18offset_tEEE10hipError_tPvRmT1_PNSt15iterator_traitsIS13_E10value_typeET2_T3_PNS14_IS19_E10value_typeET4_jRbjT5_S1F_jjP12ihipStream_tbEUljE_ZNSN_ISO_Lb0ESR_SS_SU_SV_SZ_EES10_S11_S12_S13_S17_S18_S19_S1C_S1D_jS1E_jS1F_S1F_jjS1H_bEUljE0_EEES10_S11_S12_S19_S1D_S1F_T6_T7_T9_mT8_S1H_bDpT10_ENKUlT_T0_E_clISt17integral_constantIbLb0EES1V_EEDaS1Q_S1R_EUlS1Q_E_NS1_11comp_targetILNS1_3genE5ELNS1_11target_archE942ELNS1_3gpuE9ELNS1_3repE0EEENS1_30default_config_static_selectorELNS0_4arch9wavefront6targetE0EEEvS13_,comdat
.Lfunc_end1769:
	.size	_ZN7rocprim17ROCPRIM_400000_NS6detail17trampoline_kernelINS0_13select_configILj256ELj13ELNS0_17block_load_methodE3ELS4_3ELS4_3ELNS0_20block_scan_algorithmE0ELj4294967295EEENS1_25partition_config_selectorILNS1_17partition_subalgoE4EjNS0_10empty_typeEbEEZZNS1_14partition_implILS8_4ELb0ES6_15HIP_vector_typeIjLj2EENS0_17counting_iteratorIjlEEPS9_SG_NS0_5tupleIJPjSI_NS0_16reverse_iteratorISI_EEEEENSH_IJSG_SG_SG_EEES9_SI_JZNS1_25segmented_radix_sort_implINS0_14default_configELb0EPK6__halfPSP_PKlPlN2at6native12_GLOBAL__N_18offset_tEEE10hipError_tPvRmT1_PNSt15iterator_traitsIS13_E10value_typeET2_T3_PNS14_IS19_E10value_typeET4_jRbjT5_S1F_jjP12ihipStream_tbEUljE_ZNSN_ISO_Lb0ESR_SS_SU_SV_SZ_EES10_S11_S12_S13_S17_S18_S19_S1C_S1D_jS1E_jS1F_S1F_jjS1H_bEUljE0_EEES10_S11_S12_S19_S1D_S1F_T6_T7_T9_mT8_S1H_bDpT10_ENKUlT_T0_E_clISt17integral_constantIbLb0EES1V_EEDaS1Q_S1R_EUlS1Q_E_NS1_11comp_targetILNS1_3genE5ELNS1_11target_archE942ELNS1_3gpuE9ELNS1_3repE0EEENS1_30default_config_static_selectorELNS0_4arch9wavefront6targetE0EEEvS13_, .Lfunc_end1769-_ZN7rocprim17ROCPRIM_400000_NS6detail17trampoline_kernelINS0_13select_configILj256ELj13ELNS0_17block_load_methodE3ELS4_3ELS4_3ELNS0_20block_scan_algorithmE0ELj4294967295EEENS1_25partition_config_selectorILNS1_17partition_subalgoE4EjNS0_10empty_typeEbEEZZNS1_14partition_implILS8_4ELb0ES6_15HIP_vector_typeIjLj2EENS0_17counting_iteratorIjlEEPS9_SG_NS0_5tupleIJPjSI_NS0_16reverse_iteratorISI_EEEEENSH_IJSG_SG_SG_EEES9_SI_JZNS1_25segmented_radix_sort_implINS0_14default_configELb0EPK6__halfPSP_PKlPlN2at6native12_GLOBAL__N_18offset_tEEE10hipError_tPvRmT1_PNSt15iterator_traitsIS13_E10value_typeET2_T3_PNS14_IS19_E10value_typeET4_jRbjT5_S1F_jjP12ihipStream_tbEUljE_ZNSN_ISO_Lb0ESR_SS_SU_SV_SZ_EES10_S11_S12_S13_S17_S18_S19_S1C_S1D_jS1E_jS1F_S1F_jjS1H_bEUljE0_EEES10_S11_S12_S19_S1D_S1F_T6_T7_T9_mT8_S1H_bDpT10_ENKUlT_T0_E_clISt17integral_constantIbLb0EES1V_EEDaS1Q_S1R_EUlS1Q_E_NS1_11comp_targetILNS1_3genE5ELNS1_11target_archE942ELNS1_3gpuE9ELNS1_3repE0EEENS1_30default_config_static_selectorELNS0_4arch9wavefront6targetE0EEEvS13_
                                        ; -- End function
	.set _ZN7rocprim17ROCPRIM_400000_NS6detail17trampoline_kernelINS0_13select_configILj256ELj13ELNS0_17block_load_methodE3ELS4_3ELS4_3ELNS0_20block_scan_algorithmE0ELj4294967295EEENS1_25partition_config_selectorILNS1_17partition_subalgoE4EjNS0_10empty_typeEbEEZZNS1_14partition_implILS8_4ELb0ES6_15HIP_vector_typeIjLj2EENS0_17counting_iteratorIjlEEPS9_SG_NS0_5tupleIJPjSI_NS0_16reverse_iteratorISI_EEEEENSH_IJSG_SG_SG_EEES9_SI_JZNS1_25segmented_radix_sort_implINS0_14default_configELb0EPK6__halfPSP_PKlPlN2at6native12_GLOBAL__N_18offset_tEEE10hipError_tPvRmT1_PNSt15iterator_traitsIS13_E10value_typeET2_T3_PNS14_IS19_E10value_typeET4_jRbjT5_S1F_jjP12ihipStream_tbEUljE_ZNSN_ISO_Lb0ESR_SS_SU_SV_SZ_EES10_S11_S12_S13_S17_S18_S19_S1C_S1D_jS1E_jS1F_S1F_jjS1H_bEUljE0_EEES10_S11_S12_S19_S1D_S1F_T6_T7_T9_mT8_S1H_bDpT10_ENKUlT_T0_E_clISt17integral_constantIbLb0EES1V_EEDaS1Q_S1R_EUlS1Q_E_NS1_11comp_targetILNS1_3genE5ELNS1_11target_archE942ELNS1_3gpuE9ELNS1_3repE0EEENS1_30default_config_static_selectorELNS0_4arch9wavefront6targetE0EEEvS13_.num_vgpr, 0
	.set _ZN7rocprim17ROCPRIM_400000_NS6detail17trampoline_kernelINS0_13select_configILj256ELj13ELNS0_17block_load_methodE3ELS4_3ELS4_3ELNS0_20block_scan_algorithmE0ELj4294967295EEENS1_25partition_config_selectorILNS1_17partition_subalgoE4EjNS0_10empty_typeEbEEZZNS1_14partition_implILS8_4ELb0ES6_15HIP_vector_typeIjLj2EENS0_17counting_iteratorIjlEEPS9_SG_NS0_5tupleIJPjSI_NS0_16reverse_iteratorISI_EEEEENSH_IJSG_SG_SG_EEES9_SI_JZNS1_25segmented_radix_sort_implINS0_14default_configELb0EPK6__halfPSP_PKlPlN2at6native12_GLOBAL__N_18offset_tEEE10hipError_tPvRmT1_PNSt15iterator_traitsIS13_E10value_typeET2_T3_PNS14_IS19_E10value_typeET4_jRbjT5_S1F_jjP12ihipStream_tbEUljE_ZNSN_ISO_Lb0ESR_SS_SU_SV_SZ_EES10_S11_S12_S13_S17_S18_S19_S1C_S1D_jS1E_jS1F_S1F_jjS1H_bEUljE0_EEES10_S11_S12_S19_S1D_S1F_T6_T7_T9_mT8_S1H_bDpT10_ENKUlT_T0_E_clISt17integral_constantIbLb0EES1V_EEDaS1Q_S1R_EUlS1Q_E_NS1_11comp_targetILNS1_3genE5ELNS1_11target_archE942ELNS1_3gpuE9ELNS1_3repE0EEENS1_30default_config_static_selectorELNS0_4arch9wavefront6targetE0EEEvS13_.num_agpr, 0
	.set _ZN7rocprim17ROCPRIM_400000_NS6detail17trampoline_kernelINS0_13select_configILj256ELj13ELNS0_17block_load_methodE3ELS4_3ELS4_3ELNS0_20block_scan_algorithmE0ELj4294967295EEENS1_25partition_config_selectorILNS1_17partition_subalgoE4EjNS0_10empty_typeEbEEZZNS1_14partition_implILS8_4ELb0ES6_15HIP_vector_typeIjLj2EENS0_17counting_iteratorIjlEEPS9_SG_NS0_5tupleIJPjSI_NS0_16reverse_iteratorISI_EEEEENSH_IJSG_SG_SG_EEES9_SI_JZNS1_25segmented_radix_sort_implINS0_14default_configELb0EPK6__halfPSP_PKlPlN2at6native12_GLOBAL__N_18offset_tEEE10hipError_tPvRmT1_PNSt15iterator_traitsIS13_E10value_typeET2_T3_PNS14_IS19_E10value_typeET4_jRbjT5_S1F_jjP12ihipStream_tbEUljE_ZNSN_ISO_Lb0ESR_SS_SU_SV_SZ_EES10_S11_S12_S13_S17_S18_S19_S1C_S1D_jS1E_jS1F_S1F_jjS1H_bEUljE0_EEES10_S11_S12_S19_S1D_S1F_T6_T7_T9_mT8_S1H_bDpT10_ENKUlT_T0_E_clISt17integral_constantIbLb0EES1V_EEDaS1Q_S1R_EUlS1Q_E_NS1_11comp_targetILNS1_3genE5ELNS1_11target_archE942ELNS1_3gpuE9ELNS1_3repE0EEENS1_30default_config_static_selectorELNS0_4arch9wavefront6targetE0EEEvS13_.numbered_sgpr, 0
	.set _ZN7rocprim17ROCPRIM_400000_NS6detail17trampoline_kernelINS0_13select_configILj256ELj13ELNS0_17block_load_methodE3ELS4_3ELS4_3ELNS0_20block_scan_algorithmE0ELj4294967295EEENS1_25partition_config_selectorILNS1_17partition_subalgoE4EjNS0_10empty_typeEbEEZZNS1_14partition_implILS8_4ELb0ES6_15HIP_vector_typeIjLj2EENS0_17counting_iteratorIjlEEPS9_SG_NS0_5tupleIJPjSI_NS0_16reverse_iteratorISI_EEEEENSH_IJSG_SG_SG_EEES9_SI_JZNS1_25segmented_radix_sort_implINS0_14default_configELb0EPK6__halfPSP_PKlPlN2at6native12_GLOBAL__N_18offset_tEEE10hipError_tPvRmT1_PNSt15iterator_traitsIS13_E10value_typeET2_T3_PNS14_IS19_E10value_typeET4_jRbjT5_S1F_jjP12ihipStream_tbEUljE_ZNSN_ISO_Lb0ESR_SS_SU_SV_SZ_EES10_S11_S12_S13_S17_S18_S19_S1C_S1D_jS1E_jS1F_S1F_jjS1H_bEUljE0_EEES10_S11_S12_S19_S1D_S1F_T6_T7_T9_mT8_S1H_bDpT10_ENKUlT_T0_E_clISt17integral_constantIbLb0EES1V_EEDaS1Q_S1R_EUlS1Q_E_NS1_11comp_targetILNS1_3genE5ELNS1_11target_archE942ELNS1_3gpuE9ELNS1_3repE0EEENS1_30default_config_static_selectorELNS0_4arch9wavefront6targetE0EEEvS13_.num_named_barrier, 0
	.set _ZN7rocprim17ROCPRIM_400000_NS6detail17trampoline_kernelINS0_13select_configILj256ELj13ELNS0_17block_load_methodE3ELS4_3ELS4_3ELNS0_20block_scan_algorithmE0ELj4294967295EEENS1_25partition_config_selectorILNS1_17partition_subalgoE4EjNS0_10empty_typeEbEEZZNS1_14partition_implILS8_4ELb0ES6_15HIP_vector_typeIjLj2EENS0_17counting_iteratorIjlEEPS9_SG_NS0_5tupleIJPjSI_NS0_16reverse_iteratorISI_EEEEENSH_IJSG_SG_SG_EEES9_SI_JZNS1_25segmented_radix_sort_implINS0_14default_configELb0EPK6__halfPSP_PKlPlN2at6native12_GLOBAL__N_18offset_tEEE10hipError_tPvRmT1_PNSt15iterator_traitsIS13_E10value_typeET2_T3_PNS14_IS19_E10value_typeET4_jRbjT5_S1F_jjP12ihipStream_tbEUljE_ZNSN_ISO_Lb0ESR_SS_SU_SV_SZ_EES10_S11_S12_S13_S17_S18_S19_S1C_S1D_jS1E_jS1F_S1F_jjS1H_bEUljE0_EEES10_S11_S12_S19_S1D_S1F_T6_T7_T9_mT8_S1H_bDpT10_ENKUlT_T0_E_clISt17integral_constantIbLb0EES1V_EEDaS1Q_S1R_EUlS1Q_E_NS1_11comp_targetILNS1_3genE5ELNS1_11target_archE942ELNS1_3gpuE9ELNS1_3repE0EEENS1_30default_config_static_selectorELNS0_4arch9wavefront6targetE0EEEvS13_.private_seg_size, 0
	.set _ZN7rocprim17ROCPRIM_400000_NS6detail17trampoline_kernelINS0_13select_configILj256ELj13ELNS0_17block_load_methodE3ELS4_3ELS4_3ELNS0_20block_scan_algorithmE0ELj4294967295EEENS1_25partition_config_selectorILNS1_17partition_subalgoE4EjNS0_10empty_typeEbEEZZNS1_14partition_implILS8_4ELb0ES6_15HIP_vector_typeIjLj2EENS0_17counting_iteratorIjlEEPS9_SG_NS0_5tupleIJPjSI_NS0_16reverse_iteratorISI_EEEEENSH_IJSG_SG_SG_EEES9_SI_JZNS1_25segmented_radix_sort_implINS0_14default_configELb0EPK6__halfPSP_PKlPlN2at6native12_GLOBAL__N_18offset_tEEE10hipError_tPvRmT1_PNSt15iterator_traitsIS13_E10value_typeET2_T3_PNS14_IS19_E10value_typeET4_jRbjT5_S1F_jjP12ihipStream_tbEUljE_ZNSN_ISO_Lb0ESR_SS_SU_SV_SZ_EES10_S11_S12_S13_S17_S18_S19_S1C_S1D_jS1E_jS1F_S1F_jjS1H_bEUljE0_EEES10_S11_S12_S19_S1D_S1F_T6_T7_T9_mT8_S1H_bDpT10_ENKUlT_T0_E_clISt17integral_constantIbLb0EES1V_EEDaS1Q_S1R_EUlS1Q_E_NS1_11comp_targetILNS1_3genE5ELNS1_11target_archE942ELNS1_3gpuE9ELNS1_3repE0EEENS1_30default_config_static_selectorELNS0_4arch9wavefront6targetE0EEEvS13_.uses_vcc, 0
	.set _ZN7rocprim17ROCPRIM_400000_NS6detail17trampoline_kernelINS0_13select_configILj256ELj13ELNS0_17block_load_methodE3ELS4_3ELS4_3ELNS0_20block_scan_algorithmE0ELj4294967295EEENS1_25partition_config_selectorILNS1_17partition_subalgoE4EjNS0_10empty_typeEbEEZZNS1_14partition_implILS8_4ELb0ES6_15HIP_vector_typeIjLj2EENS0_17counting_iteratorIjlEEPS9_SG_NS0_5tupleIJPjSI_NS0_16reverse_iteratorISI_EEEEENSH_IJSG_SG_SG_EEES9_SI_JZNS1_25segmented_radix_sort_implINS0_14default_configELb0EPK6__halfPSP_PKlPlN2at6native12_GLOBAL__N_18offset_tEEE10hipError_tPvRmT1_PNSt15iterator_traitsIS13_E10value_typeET2_T3_PNS14_IS19_E10value_typeET4_jRbjT5_S1F_jjP12ihipStream_tbEUljE_ZNSN_ISO_Lb0ESR_SS_SU_SV_SZ_EES10_S11_S12_S13_S17_S18_S19_S1C_S1D_jS1E_jS1F_S1F_jjS1H_bEUljE0_EEES10_S11_S12_S19_S1D_S1F_T6_T7_T9_mT8_S1H_bDpT10_ENKUlT_T0_E_clISt17integral_constantIbLb0EES1V_EEDaS1Q_S1R_EUlS1Q_E_NS1_11comp_targetILNS1_3genE5ELNS1_11target_archE942ELNS1_3gpuE9ELNS1_3repE0EEENS1_30default_config_static_selectorELNS0_4arch9wavefront6targetE0EEEvS13_.uses_flat_scratch, 0
	.set _ZN7rocprim17ROCPRIM_400000_NS6detail17trampoline_kernelINS0_13select_configILj256ELj13ELNS0_17block_load_methodE3ELS4_3ELS4_3ELNS0_20block_scan_algorithmE0ELj4294967295EEENS1_25partition_config_selectorILNS1_17partition_subalgoE4EjNS0_10empty_typeEbEEZZNS1_14partition_implILS8_4ELb0ES6_15HIP_vector_typeIjLj2EENS0_17counting_iteratorIjlEEPS9_SG_NS0_5tupleIJPjSI_NS0_16reverse_iteratorISI_EEEEENSH_IJSG_SG_SG_EEES9_SI_JZNS1_25segmented_radix_sort_implINS0_14default_configELb0EPK6__halfPSP_PKlPlN2at6native12_GLOBAL__N_18offset_tEEE10hipError_tPvRmT1_PNSt15iterator_traitsIS13_E10value_typeET2_T3_PNS14_IS19_E10value_typeET4_jRbjT5_S1F_jjP12ihipStream_tbEUljE_ZNSN_ISO_Lb0ESR_SS_SU_SV_SZ_EES10_S11_S12_S13_S17_S18_S19_S1C_S1D_jS1E_jS1F_S1F_jjS1H_bEUljE0_EEES10_S11_S12_S19_S1D_S1F_T6_T7_T9_mT8_S1H_bDpT10_ENKUlT_T0_E_clISt17integral_constantIbLb0EES1V_EEDaS1Q_S1R_EUlS1Q_E_NS1_11comp_targetILNS1_3genE5ELNS1_11target_archE942ELNS1_3gpuE9ELNS1_3repE0EEENS1_30default_config_static_selectorELNS0_4arch9wavefront6targetE0EEEvS13_.has_dyn_sized_stack, 0
	.set _ZN7rocprim17ROCPRIM_400000_NS6detail17trampoline_kernelINS0_13select_configILj256ELj13ELNS0_17block_load_methodE3ELS4_3ELS4_3ELNS0_20block_scan_algorithmE0ELj4294967295EEENS1_25partition_config_selectorILNS1_17partition_subalgoE4EjNS0_10empty_typeEbEEZZNS1_14partition_implILS8_4ELb0ES6_15HIP_vector_typeIjLj2EENS0_17counting_iteratorIjlEEPS9_SG_NS0_5tupleIJPjSI_NS0_16reverse_iteratorISI_EEEEENSH_IJSG_SG_SG_EEES9_SI_JZNS1_25segmented_radix_sort_implINS0_14default_configELb0EPK6__halfPSP_PKlPlN2at6native12_GLOBAL__N_18offset_tEEE10hipError_tPvRmT1_PNSt15iterator_traitsIS13_E10value_typeET2_T3_PNS14_IS19_E10value_typeET4_jRbjT5_S1F_jjP12ihipStream_tbEUljE_ZNSN_ISO_Lb0ESR_SS_SU_SV_SZ_EES10_S11_S12_S13_S17_S18_S19_S1C_S1D_jS1E_jS1F_S1F_jjS1H_bEUljE0_EEES10_S11_S12_S19_S1D_S1F_T6_T7_T9_mT8_S1H_bDpT10_ENKUlT_T0_E_clISt17integral_constantIbLb0EES1V_EEDaS1Q_S1R_EUlS1Q_E_NS1_11comp_targetILNS1_3genE5ELNS1_11target_archE942ELNS1_3gpuE9ELNS1_3repE0EEENS1_30default_config_static_selectorELNS0_4arch9wavefront6targetE0EEEvS13_.has_recursion, 0
	.set _ZN7rocprim17ROCPRIM_400000_NS6detail17trampoline_kernelINS0_13select_configILj256ELj13ELNS0_17block_load_methodE3ELS4_3ELS4_3ELNS0_20block_scan_algorithmE0ELj4294967295EEENS1_25partition_config_selectorILNS1_17partition_subalgoE4EjNS0_10empty_typeEbEEZZNS1_14partition_implILS8_4ELb0ES6_15HIP_vector_typeIjLj2EENS0_17counting_iteratorIjlEEPS9_SG_NS0_5tupleIJPjSI_NS0_16reverse_iteratorISI_EEEEENSH_IJSG_SG_SG_EEES9_SI_JZNS1_25segmented_radix_sort_implINS0_14default_configELb0EPK6__halfPSP_PKlPlN2at6native12_GLOBAL__N_18offset_tEEE10hipError_tPvRmT1_PNSt15iterator_traitsIS13_E10value_typeET2_T3_PNS14_IS19_E10value_typeET4_jRbjT5_S1F_jjP12ihipStream_tbEUljE_ZNSN_ISO_Lb0ESR_SS_SU_SV_SZ_EES10_S11_S12_S13_S17_S18_S19_S1C_S1D_jS1E_jS1F_S1F_jjS1H_bEUljE0_EEES10_S11_S12_S19_S1D_S1F_T6_T7_T9_mT8_S1H_bDpT10_ENKUlT_T0_E_clISt17integral_constantIbLb0EES1V_EEDaS1Q_S1R_EUlS1Q_E_NS1_11comp_targetILNS1_3genE5ELNS1_11target_archE942ELNS1_3gpuE9ELNS1_3repE0EEENS1_30default_config_static_selectorELNS0_4arch9wavefront6targetE0EEEvS13_.has_indirect_call, 0
	.section	.AMDGPU.csdata,"",@progbits
; Kernel info:
; codeLenInByte = 0
; TotalNumSgprs: 0
; NumVgprs: 0
; ScratchSize: 0
; MemoryBound: 0
; FloatMode: 240
; IeeeMode: 1
; LDSByteSize: 0 bytes/workgroup (compile time only)
; SGPRBlocks: 0
; VGPRBlocks: 0
; NumSGPRsForWavesPerEU: 1
; NumVGPRsForWavesPerEU: 1
; NamedBarCnt: 0
; Occupancy: 16
; WaveLimiterHint : 0
; COMPUTE_PGM_RSRC2:SCRATCH_EN: 0
; COMPUTE_PGM_RSRC2:USER_SGPR: 2
; COMPUTE_PGM_RSRC2:TRAP_HANDLER: 0
; COMPUTE_PGM_RSRC2:TGID_X_EN: 1
; COMPUTE_PGM_RSRC2:TGID_Y_EN: 0
; COMPUTE_PGM_RSRC2:TGID_Z_EN: 0
; COMPUTE_PGM_RSRC2:TIDIG_COMP_CNT: 0
	.section	.text._ZN7rocprim17ROCPRIM_400000_NS6detail17trampoline_kernelINS0_13select_configILj256ELj13ELNS0_17block_load_methodE3ELS4_3ELS4_3ELNS0_20block_scan_algorithmE0ELj4294967295EEENS1_25partition_config_selectorILNS1_17partition_subalgoE4EjNS0_10empty_typeEbEEZZNS1_14partition_implILS8_4ELb0ES6_15HIP_vector_typeIjLj2EENS0_17counting_iteratorIjlEEPS9_SG_NS0_5tupleIJPjSI_NS0_16reverse_iteratorISI_EEEEENSH_IJSG_SG_SG_EEES9_SI_JZNS1_25segmented_radix_sort_implINS0_14default_configELb0EPK6__halfPSP_PKlPlN2at6native12_GLOBAL__N_18offset_tEEE10hipError_tPvRmT1_PNSt15iterator_traitsIS13_E10value_typeET2_T3_PNS14_IS19_E10value_typeET4_jRbjT5_S1F_jjP12ihipStream_tbEUljE_ZNSN_ISO_Lb0ESR_SS_SU_SV_SZ_EES10_S11_S12_S13_S17_S18_S19_S1C_S1D_jS1E_jS1F_S1F_jjS1H_bEUljE0_EEES10_S11_S12_S19_S1D_S1F_T6_T7_T9_mT8_S1H_bDpT10_ENKUlT_T0_E_clISt17integral_constantIbLb0EES1V_EEDaS1Q_S1R_EUlS1Q_E_NS1_11comp_targetILNS1_3genE4ELNS1_11target_archE910ELNS1_3gpuE8ELNS1_3repE0EEENS1_30default_config_static_selectorELNS0_4arch9wavefront6targetE0EEEvS13_,"axG",@progbits,_ZN7rocprim17ROCPRIM_400000_NS6detail17trampoline_kernelINS0_13select_configILj256ELj13ELNS0_17block_load_methodE3ELS4_3ELS4_3ELNS0_20block_scan_algorithmE0ELj4294967295EEENS1_25partition_config_selectorILNS1_17partition_subalgoE4EjNS0_10empty_typeEbEEZZNS1_14partition_implILS8_4ELb0ES6_15HIP_vector_typeIjLj2EENS0_17counting_iteratorIjlEEPS9_SG_NS0_5tupleIJPjSI_NS0_16reverse_iteratorISI_EEEEENSH_IJSG_SG_SG_EEES9_SI_JZNS1_25segmented_radix_sort_implINS0_14default_configELb0EPK6__halfPSP_PKlPlN2at6native12_GLOBAL__N_18offset_tEEE10hipError_tPvRmT1_PNSt15iterator_traitsIS13_E10value_typeET2_T3_PNS14_IS19_E10value_typeET4_jRbjT5_S1F_jjP12ihipStream_tbEUljE_ZNSN_ISO_Lb0ESR_SS_SU_SV_SZ_EES10_S11_S12_S13_S17_S18_S19_S1C_S1D_jS1E_jS1F_S1F_jjS1H_bEUljE0_EEES10_S11_S12_S19_S1D_S1F_T6_T7_T9_mT8_S1H_bDpT10_ENKUlT_T0_E_clISt17integral_constantIbLb0EES1V_EEDaS1Q_S1R_EUlS1Q_E_NS1_11comp_targetILNS1_3genE4ELNS1_11target_archE910ELNS1_3gpuE8ELNS1_3repE0EEENS1_30default_config_static_selectorELNS0_4arch9wavefront6targetE0EEEvS13_,comdat
	.globl	_ZN7rocprim17ROCPRIM_400000_NS6detail17trampoline_kernelINS0_13select_configILj256ELj13ELNS0_17block_load_methodE3ELS4_3ELS4_3ELNS0_20block_scan_algorithmE0ELj4294967295EEENS1_25partition_config_selectorILNS1_17partition_subalgoE4EjNS0_10empty_typeEbEEZZNS1_14partition_implILS8_4ELb0ES6_15HIP_vector_typeIjLj2EENS0_17counting_iteratorIjlEEPS9_SG_NS0_5tupleIJPjSI_NS0_16reverse_iteratorISI_EEEEENSH_IJSG_SG_SG_EEES9_SI_JZNS1_25segmented_radix_sort_implINS0_14default_configELb0EPK6__halfPSP_PKlPlN2at6native12_GLOBAL__N_18offset_tEEE10hipError_tPvRmT1_PNSt15iterator_traitsIS13_E10value_typeET2_T3_PNS14_IS19_E10value_typeET4_jRbjT5_S1F_jjP12ihipStream_tbEUljE_ZNSN_ISO_Lb0ESR_SS_SU_SV_SZ_EES10_S11_S12_S13_S17_S18_S19_S1C_S1D_jS1E_jS1F_S1F_jjS1H_bEUljE0_EEES10_S11_S12_S19_S1D_S1F_T6_T7_T9_mT8_S1H_bDpT10_ENKUlT_T0_E_clISt17integral_constantIbLb0EES1V_EEDaS1Q_S1R_EUlS1Q_E_NS1_11comp_targetILNS1_3genE4ELNS1_11target_archE910ELNS1_3gpuE8ELNS1_3repE0EEENS1_30default_config_static_selectorELNS0_4arch9wavefront6targetE0EEEvS13_ ; -- Begin function _ZN7rocprim17ROCPRIM_400000_NS6detail17trampoline_kernelINS0_13select_configILj256ELj13ELNS0_17block_load_methodE3ELS4_3ELS4_3ELNS0_20block_scan_algorithmE0ELj4294967295EEENS1_25partition_config_selectorILNS1_17partition_subalgoE4EjNS0_10empty_typeEbEEZZNS1_14partition_implILS8_4ELb0ES6_15HIP_vector_typeIjLj2EENS0_17counting_iteratorIjlEEPS9_SG_NS0_5tupleIJPjSI_NS0_16reverse_iteratorISI_EEEEENSH_IJSG_SG_SG_EEES9_SI_JZNS1_25segmented_radix_sort_implINS0_14default_configELb0EPK6__halfPSP_PKlPlN2at6native12_GLOBAL__N_18offset_tEEE10hipError_tPvRmT1_PNSt15iterator_traitsIS13_E10value_typeET2_T3_PNS14_IS19_E10value_typeET4_jRbjT5_S1F_jjP12ihipStream_tbEUljE_ZNSN_ISO_Lb0ESR_SS_SU_SV_SZ_EES10_S11_S12_S13_S17_S18_S19_S1C_S1D_jS1E_jS1F_S1F_jjS1H_bEUljE0_EEES10_S11_S12_S19_S1D_S1F_T6_T7_T9_mT8_S1H_bDpT10_ENKUlT_T0_E_clISt17integral_constantIbLb0EES1V_EEDaS1Q_S1R_EUlS1Q_E_NS1_11comp_targetILNS1_3genE4ELNS1_11target_archE910ELNS1_3gpuE8ELNS1_3repE0EEENS1_30default_config_static_selectorELNS0_4arch9wavefront6targetE0EEEvS13_
	.p2align	8
	.type	_ZN7rocprim17ROCPRIM_400000_NS6detail17trampoline_kernelINS0_13select_configILj256ELj13ELNS0_17block_load_methodE3ELS4_3ELS4_3ELNS0_20block_scan_algorithmE0ELj4294967295EEENS1_25partition_config_selectorILNS1_17partition_subalgoE4EjNS0_10empty_typeEbEEZZNS1_14partition_implILS8_4ELb0ES6_15HIP_vector_typeIjLj2EENS0_17counting_iteratorIjlEEPS9_SG_NS0_5tupleIJPjSI_NS0_16reverse_iteratorISI_EEEEENSH_IJSG_SG_SG_EEES9_SI_JZNS1_25segmented_radix_sort_implINS0_14default_configELb0EPK6__halfPSP_PKlPlN2at6native12_GLOBAL__N_18offset_tEEE10hipError_tPvRmT1_PNSt15iterator_traitsIS13_E10value_typeET2_T3_PNS14_IS19_E10value_typeET4_jRbjT5_S1F_jjP12ihipStream_tbEUljE_ZNSN_ISO_Lb0ESR_SS_SU_SV_SZ_EES10_S11_S12_S13_S17_S18_S19_S1C_S1D_jS1E_jS1F_S1F_jjS1H_bEUljE0_EEES10_S11_S12_S19_S1D_S1F_T6_T7_T9_mT8_S1H_bDpT10_ENKUlT_T0_E_clISt17integral_constantIbLb0EES1V_EEDaS1Q_S1R_EUlS1Q_E_NS1_11comp_targetILNS1_3genE4ELNS1_11target_archE910ELNS1_3gpuE8ELNS1_3repE0EEENS1_30default_config_static_selectorELNS0_4arch9wavefront6targetE0EEEvS13_,@function
_ZN7rocprim17ROCPRIM_400000_NS6detail17trampoline_kernelINS0_13select_configILj256ELj13ELNS0_17block_load_methodE3ELS4_3ELS4_3ELNS0_20block_scan_algorithmE0ELj4294967295EEENS1_25partition_config_selectorILNS1_17partition_subalgoE4EjNS0_10empty_typeEbEEZZNS1_14partition_implILS8_4ELb0ES6_15HIP_vector_typeIjLj2EENS0_17counting_iteratorIjlEEPS9_SG_NS0_5tupleIJPjSI_NS0_16reverse_iteratorISI_EEEEENSH_IJSG_SG_SG_EEES9_SI_JZNS1_25segmented_radix_sort_implINS0_14default_configELb0EPK6__halfPSP_PKlPlN2at6native12_GLOBAL__N_18offset_tEEE10hipError_tPvRmT1_PNSt15iterator_traitsIS13_E10value_typeET2_T3_PNS14_IS19_E10value_typeET4_jRbjT5_S1F_jjP12ihipStream_tbEUljE_ZNSN_ISO_Lb0ESR_SS_SU_SV_SZ_EES10_S11_S12_S13_S17_S18_S19_S1C_S1D_jS1E_jS1F_S1F_jjS1H_bEUljE0_EEES10_S11_S12_S19_S1D_S1F_T6_T7_T9_mT8_S1H_bDpT10_ENKUlT_T0_E_clISt17integral_constantIbLb0EES1V_EEDaS1Q_S1R_EUlS1Q_E_NS1_11comp_targetILNS1_3genE4ELNS1_11target_archE910ELNS1_3gpuE8ELNS1_3repE0EEENS1_30default_config_static_selectorELNS0_4arch9wavefront6targetE0EEEvS13_: ; @_ZN7rocprim17ROCPRIM_400000_NS6detail17trampoline_kernelINS0_13select_configILj256ELj13ELNS0_17block_load_methodE3ELS4_3ELS4_3ELNS0_20block_scan_algorithmE0ELj4294967295EEENS1_25partition_config_selectorILNS1_17partition_subalgoE4EjNS0_10empty_typeEbEEZZNS1_14partition_implILS8_4ELb0ES6_15HIP_vector_typeIjLj2EENS0_17counting_iteratorIjlEEPS9_SG_NS0_5tupleIJPjSI_NS0_16reverse_iteratorISI_EEEEENSH_IJSG_SG_SG_EEES9_SI_JZNS1_25segmented_radix_sort_implINS0_14default_configELb0EPK6__halfPSP_PKlPlN2at6native12_GLOBAL__N_18offset_tEEE10hipError_tPvRmT1_PNSt15iterator_traitsIS13_E10value_typeET2_T3_PNS14_IS19_E10value_typeET4_jRbjT5_S1F_jjP12ihipStream_tbEUljE_ZNSN_ISO_Lb0ESR_SS_SU_SV_SZ_EES10_S11_S12_S13_S17_S18_S19_S1C_S1D_jS1E_jS1F_S1F_jjS1H_bEUljE0_EEES10_S11_S12_S19_S1D_S1F_T6_T7_T9_mT8_S1H_bDpT10_ENKUlT_T0_E_clISt17integral_constantIbLb0EES1V_EEDaS1Q_S1R_EUlS1Q_E_NS1_11comp_targetILNS1_3genE4ELNS1_11target_archE910ELNS1_3gpuE8ELNS1_3repE0EEENS1_30default_config_static_selectorELNS0_4arch9wavefront6targetE0EEEvS13_
; %bb.0:
	.section	.rodata,"a",@progbits
	.p2align	6, 0x0
	.amdhsa_kernel _ZN7rocprim17ROCPRIM_400000_NS6detail17trampoline_kernelINS0_13select_configILj256ELj13ELNS0_17block_load_methodE3ELS4_3ELS4_3ELNS0_20block_scan_algorithmE0ELj4294967295EEENS1_25partition_config_selectorILNS1_17partition_subalgoE4EjNS0_10empty_typeEbEEZZNS1_14partition_implILS8_4ELb0ES6_15HIP_vector_typeIjLj2EENS0_17counting_iteratorIjlEEPS9_SG_NS0_5tupleIJPjSI_NS0_16reverse_iteratorISI_EEEEENSH_IJSG_SG_SG_EEES9_SI_JZNS1_25segmented_radix_sort_implINS0_14default_configELb0EPK6__halfPSP_PKlPlN2at6native12_GLOBAL__N_18offset_tEEE10hipError_tPvRmT1_PNSt15iterator_traitsIS13_E10value_typeET2_T3_PNS14_IS19_E10value_typeET4_jRbjT5_S1F_jjP12ihipStream_tbEUljE_ZNSN_ISO_Lb0ESR_SS_SU_SV_SZ_EES10_S11_S12_S13_S17_S18_S19_S1C_S1D_jS1E_jS1F_S1F_jjS1H_bEUljE0_EEES10_S11_S12_S19_S1D_S1F_T6_T7_T9_mT8_S1H_bDpT10_ENKUlT_T0_E_clISt17integral_constantIbLb0EES1V_EEDaS1Q_S1R_EUlS1Q_E_NS1_11comp_targetILNS1_3genE4ELNS1_11target_archE910ELNS1_3gpuE8ELNS1_3repE0EEENS1_30default_config_static_selectorELNS0_4arch9wavefront6targetE0EEEvS13_
		.amdhsa_group_segment_fixed_size 0
		.amdhsa_private_segment_fixed_size 0
		.amdhsa_kernarg_size 176
		.amdhsa_user_sgpr_count 2
		.amdhsa_user_sgpr_dispatch_ptr 0
		.amdhsa_user_sgpr_queue_ptr 0
		.amdhsa_user_sgpr_kernarg_segment_ptr 1
		.amdhsa_user_sgpr_dispatch_id 0
		.amdhsa_user_sgpr_kernarg_preload_length 0
		.amdhsa_user_sgpr_kernarg_preload_offset 0
		.amdhsa_user_sgpr_private_segment_size 0
		.amdhsa_wavefront_size32 1
		.amdhsa_uses_dynamic_stack 0
		.amdhsa_enable_private_segment 0
		.amdhsa_system_sgpr_workgroup_id_x 1
		.amdhsa_system_sgpr_workgroup_id_y 0
		.amdhsa_system_sgpr_workgroup_id_z 0
		.amdhsa_system_sgpr_workgroup_info 0
		.amdhsa_system_vgpr_workitem_id 0
		.amdhsa_next_free_vgpr 1
		.amdhsa_next_free_sgpr 1
		.amdhsa_named_barrier_count 0
		.amdhsa_reserve_vcc 0
		.amdhsa_float_round_mode_32 0
		.amdhsa_float_round_mode_16_64 0
		.amdhsa_float_denorm_mode_32 3
		.amdhsa_float_denorm_mode_16_64 3
		.amdhsa_fp16_overflow 0
		.amdhsa_memory_ordered 1
		.amdhsa_forward_progress 1
		.amdhsa_inst_pref_size 0
		.amdhsa_round_robin_scheduling 0
		.amdhsa_exception_fp_ieee_invalid_op 0
		.amdhsa_exception_fp_denorm_src 0
		.amdhsa_exception_fp_ieee_div_zero 0
		.amdhsa_exception_fp_ieee_overflow 0
		.amdhsa_exception_fp_ieee_underflow 0
		.amdhsa_exception_fp_ieee_inexact 0
		.amdhsa_exception_int_div_zero 0
	.end_amdhsa_kernel
	.section	.text._ZN7rocprim17ROCPRIM_400000_NS6detail17trampoline_kernelINS0_13select_configILj256ELj13ELNS0_17block_load_methodE3ELS4_3ELS4_3ELNS0_20block_scan_algorithmE0ELj4294967295EEENS1_25partition_config_selectorILNS1_17partition_subalgoE4EjNS0_10empty_typeEbEEZZNS1_14partition_implILS8_4ELb0ES6_15HIP_vector_typeIjLj2EENS0_17counting_iteratorIjlEEPS9_SG_NS0_5tupleIJPjSI_NS0_16reverse_iteratorISI_EEEEENSH_IJSG_SG_SG_EEES9_SI_JZNS1_25segmented_radix_sort_implINS0_14default_configELb0EPK6__halfPSP_PKlPlN2at6native12_GLOBAL__N_18offset_tEEE10hipError_tPvRmT1_PNSt15iterator_traitsIS13_E10value_typeET2_T3_PNS14_IS19_E10value_typeET4_jRbjT5_S1F_jjP12ihipStream_tbEUljE_ZNSN_ISO_Lb0ESR_SS_SU_SV_SZ_EES10_S11_S12_S13_S17_S18_S19_S1C_S1D_jS1E_jS1F_S1F_jjS1H_bEUljE0_EEES10_S11_S12_S19_S1D_S1F_T6_T7_T9_mT8_S1H_bDpT10_ENKUlT_T0_E_clISt17integral_constantIbLb0EES1V_EEDaS1Q_S1R_EUlS1Q_E_NS1_11comp_targetILNS1_3genE4ELNS1_11target_archE910ELNS1_3gpuE8ELNS1_3repE0EEENS1_30default_config_static_selectorELNS0_4arch9wavefront6targetE0EEEvS13_,"axG",@progbits,_ZN7rocprim17ROCPRIM_400000_NS6detail17trampoline_kernelINS0_13select_configILj256ELj13ELNS0_17block_load_methodE3ELS4_3ELS4_3ELNS0_20block_scan_algorithmE0ELj4294967295EEENS1_25partition_config_selectorILNS1_17partition_subalgoE4EjNS0_10empty_typeEbEEZZNS1_14partition_implILS8_4ELb0ES6_15HIP_vector_typeIjLj2EENS0_17counting_iteratorIjlEEPS9_SG_NS0_5tupleIJPjSI_NS0_16reverse_iteratorISI_EEEEENSH_IJSG_SG_SG_EEES9_SI_JZNS1_25segmented_radix_sort_implINS0_14default_configELb0EPK6__halfPSP_PKlPlN2at6native12_GLOBAL__N_18offset_tEEE10hipError_tPvRmT1_PNSt15iterator_traitsIS13_E10value_typeET2_T3_PNS14_IS19_E10value_typeET4_jRbjT5_S1F_jjP12ihipStream_tbEUljE_ZNSN_ISO_Lb0ESR_SS_SU_SV_SZ_EES10_S11_S12_S13_S17_S18_S19_S1C_S1D_jS1E_jS1F_S1F_jjS1H_bEUljE0_EEES10_S11_S12_S19_S1D_S1F_T6_T7_T9_mT8_S1H_bDpT10_ENKUlT_T0_E_clISt17integral_constantIbLb0EES1V_EEDaS1Q_S1R_EUlS1Q_E_NS1_11comp_targetILNS1_3genE4ELNS1_11target_archE910ELNS1_3gpuE8ELNS1_3repE0EEENS1_30default_config_static_selectorELNS0_4arch9wavefront6targetE0EEEvS13_,comdat
.Lfunc_end1770:
	.size	_ZN7rocprim17ROCPRIM_400000_NS6detail17trampoline_kernelINS0_13select_configILj256ELj13ELNS0_17block_load_methodE3ELS4_3ELS4_3ELNS0_20block_scan_algorithmE0ELj4294967295EEENS1_25partition_config_selectorILNS1_17partition_subalgoE4EjNS0_10empty_typeEbEEZZNS1_14partition_implILS8_4ELb0ES6_15HIP_vector_typeIjLj2EENS0_17counting_iteratorIjlEEPS9_SG_NS0_5tupleIJPjSI_NS0_16reverse_iteratorISI_EEEEENSH_IJSG_SG_SG_EEES9_SI_JZNS1_25segmented_radix_sort_implINS0_14default_configELb0EPK6__halfPSP_PKlPlN2at6native12_GLOBAL__N_18offset_tEEE10hipError_tPvRmT1_PNSt15iterator_traitsIS13_E10value_typeET2_T3_PNS14_IS19_E10value_typeET4_jRbjT5_S1F_jjP12ihipStream_tbEUljE_ZNSN_ISO_Lb0ESR_SS_SU_SV_SZ_EES10_S11_S12_S13_S17_S18_S19_S1C_S1D_jS1E_jS1F_S1F_jjS1H_bEUljE0_EEES10_S11_S12_S19_S1D_S1F_T6_T7_T9_mT8_S1H_bDpT10_ENKUlT_T0_E_clISt17integral_constantIbLb0EES1V_EEDaS1Q_S1R_EUlS1Q_E_NS1_11comp_targetILNS1_3genE4ELNS1_11target_archE910ELNS1_3gpuE8ELNS1_3repE0EEENS1_30default_config_static_selectorELNS0_4arch9wavefront6targetE0EEEvS13_, .Lfunc_end1770-_ZN7rocprim17ROCPRIM_400000_NS6detail17trampoline_kernelINS0_13select_configILj256ELj13ELNS0_17block_load_methodE3ELS4_3ELS4_3ELNS0_20block_scan_algorithmE0ELj4294967295EEENS1_25partition_config_selectorILNS1_17partition_subalgoE4EjNS0_10empty_typeEbEEZZNS1_14partition_implILS8_4ELb0ES6_15HIP_vector_typeIjLj2EENS0_17counting_iteratorIjlEEPS9_SG_NS0_5tupleIJPjSI_NS0_16reverse_iteratorISI_EEEEENSH_IJSG_SG_SG_EEES9_SI_JZNS1_25segmented_radix_sort_implINS0_14default_configELb0EPK6__halfPSP_PKlPlN2at6native12_GLOBAL__N_18offset_tEEE10hipError_tPvRmT1_PNSt15iterator_traitsIS13_E10value_typeET2_T3_PNS14_IS19_E10value_typeET4_jRbjT5_S1F_jjP12ihipStream_tbEUljE_ZNSN_ISO_Lb0ESR_SS_SU_SV_SZ_EES10_S11_S12_S13_S17_S18_S19_S1C_S1D_jS1E_jS1F_S1F_jjS1H_bEUljE0_EEES10_S11_S12_S19_S1D_S1F_T6_T7_T9_mT8_S1H_bDpT10_ENKUlT_T0_E_clISt17integral_constantIbLb0EES1V_EEDaS1Q_S1R_EUlS1Q_E_NS1_11comp_targetILNS1_3genE4ELNS1_11target_archE910ELNS1_3gpuE8ELNS1_3repE0EEENS1_30default_config_static_selectorELNS0_4arch9wavefront6targetE0EEEvS13_
                                        ; -- End function
	.set _ZN7rocprim17ROCPRIM_400000_NS6detail17trampoline_kernelINS0_13select_configILj256ELj13ELNS0_17block_load_methodE3ELS4_3ELS4_3ELNS0_20block_scan_algorithmE0ELj4294967295EEENS1_25partition_config_selectorILNS1_17partition_subalgoE4EjNS0_10empty_typeEbEEZZNS1_14partition_implILS8_4ELb0ES6_15HIP_vector_typeIjLj2EENS0_17counting_iteratorIjlEEPS9_SG_NS0_5tupleIJPjSI_NS0_16reverse_iteratorISI_EEEEENSH_IJSG_SG_SG_EEES9_SI_JZNS1_25segmented_radix_sort_implINS0_14default_configELb0EPK6__halfPSP_PKlPlN2at6native12_GLOBAL__N_18offset_tEEE10hipError_tPvRmT1_PNSt15iterator_traitsIS13_E10value_typeET2_T3_PNS14_IS19_E10value_typeET4_jRbjT5_S1F_jjP12ihipStream_tbEUljE_ZNSN_ISO_Lb0ESR_SS_SU_SV_SZ_EES10_S11_S12_S13_S17_S18_S19_S1C_S1D_jS1E_jS1F_S1F_jjS1H_bEUljE0_EEES10_S11_S12_S19_S1D_S1F_T6_T7_T9_mT8_S1H_bDpT10_ENKUlT_T0_E_clISt17integral_constantIbLb0EES1V_EEDaS1Q_S1R_EUlS1Q_E_NS1_11comp_targetILNS1_3genE4ELNS1_11target_archE910ELNS1_3gpuE8ELNS1_3repE0EEENS1_30default_config_static_selectorELNS0_4arch9wavefront6targetE0EEEvS13_.num_vgpr, 0
	.set _ZN7rocprim17ROCPRIM_400000_NS6detail17trampoline_kernelINS0_13select_configILj256ELj13ELNS0_17block_load_methodE3ELS4_3ELS4_3ELNS0_20block_scan_algorithmE0ELj4294967295EEENS1_25partition_config_selectorILNS1_17partition_subalgoE4EjNS0_10empty_typeEbEEZZNS1_14partition_implILS8_4ELb0ES6_15HIP_vector_typeIjLj2EENS0_17counting_iteratorIjlEEPS9_SG_NS0_5tupleIJPjSI_NS0_16reverse_iteratorISI_EEEEENSH_IJSG_SG_SG_EEES9_SI_JZNS1_25segmented_radix_sort_implINS0_14default_configELb0EPK6__halfPSP_PKlPlN2at6native12_GLOBAL__N_18offset_tEEE10hipError_tPvRmT1_PNSt15iterator_traitsIS13_E10value_typeET2_T3_PNS14_IS19_E10value_typeET4_jRbjT5_S1F_jjP12ihipStream_tbEUljE_ZNSN_ISO_Lb0ESR_SS_SU_SV_SZ_EES10_S11_S12_S13_S17_S18_S19_S1C_S1D_jS1E_jS1F_S1F_jjS1H_bEUljE0_EEES10_S11_S12_S19_S1D_S1F_T6_T7_T9_mT8_S1H_bDpT10_ENKUlT_T0_E_clISt17integral_constantIbLb0EES1V_EEDaS1Q_S1R_EUlS1Q_E_NS1_11comp_targetILNS1_3genE4ELNS1_11target_archE910ELNS1_3gpuE8ELNS1_3repE0EEENS1_30default_config_static_selectorELNS0_4arch9wavefront6targetE0EEEvS13_.num_agpr, 0
	.set _ZN7rocprim17ROCPRIM_400000_NS6detail17trampoline_kernelINS0_13select_configILj256ELj13ELNS0_17block_load_methodE3ELS4_3ELS4_3ELNS0_20block_scan_algorithmE0ELj4294967295EEENS1_25partition_config_selectorILNS1_17partition_subalgoE4EjNS0_10empty_typeEbEEZZNS1_14partition_implILS8_4ELb0ES6_15HIP_vector_typeIjLj2EENS0_17counting_iteratorIjlEEPS9_SG_NS0_5tupleIJPjSI_NS0_16reverse_iteratorISI_EEEEENSH_IJSG_SG_SG_EEES9_SI_JZNS1_25segmented_radix_sort_implINS0_14default_configELb0EPK6__halfPSP_PKlPlN2at6native12_GLOBAL__N_18offset_tEEE10hipError_tPvRmT1_PNSt15iterator_traitsIS13_E10value_typeET2_T3_PNS14_IS19_E10value_typeET4_jRbjT5_S1F_jjP12ihipStream_tbEUljE_ZNSN_ISO_Lb0ESR_SS_SU_SV_SZ_EES10_S11_S12_S13_S17_S18_S19_S1C_S1D_jS1E_jS1F_S1F_jjS1H_bEUljE0_EEES10_S11_S12_S19_S1D_S1F_T6_T7_T9_mT8_S1H_bDpT10_ENKUlT_T0_E_clISt17integral_constantIbLb0EES1V_EEDaS1Q_S1R_EUlS1Q_E_NS1_11comp_targetILNS1_3genE4ELNS1_11target_archE910ELNS1_3gpuE8ELNS1_3repE0EEENS1_30default_config_static_selectorELNS0_4arch9wavefront6targetE0EEEvS13_.numbered_sgpr, 0
	.set _ZN7rocprim17ROCPRIM_400000_NS6detail17trampoline_kernelINS0_13select_configILj256ELj13ELNS0_17block_load_methodE3ELS4_3ELS4_3ELNS0_20block_scan_algorithmE0ELj4294967295EEENS1_25partition_config_selectorILNS1_17partition_subalgoE4EjNS0_10empty_typeEbEEZZNS1_14partition_implILS8_4ELb0ES6_15HIP_vector_typeIjLj2EENS0_17counting_iteratorIjlEEPS9_SG_NS0_5tupleIJPjSI_NS0_16reverse_iteratorISI_EEEEENSH_IJSG_SG_SG_EEES9_SI_JZNS1_25segmented_radix_sort_implINS0_14default_configELb0EPK6__halfPSP_PKlPlN2at6native12_GLOBAL__N_18offset_tEEE10hipError_tPvRmT1_PNSt15iterator_traitsIS13_E10value_typeET2_T3_PNS14_IS19_E10value_typeET4_jRbjT5_S1F_jjP12ihipStream_tbEUljE_ZNSN_ISO_Lb0ESR_SS_SU_SV_SZ_EES10_S11_S12_S13_S17_S18_S19_S1C_S1D_jS1E_jS1F_S1F_jjS1H_bEUljE0_EEES10_S11_S12_S19_S1D_S1F_T6_T7_T9_mT8_S1H_bDpT10_ENKUlT_T0_E_clISt17integral_constantIbLb0EES1V_EEDaS1Q_S1R_EUlS1Q_E_NS1_11comp_targetILNS1_3genE4ELNS1_11target_archE910ELNS1_3gpuE8ELNS1_3repE0EEENS1_30default_config_static_selectorELNS0_4arch9wavefront6targetE0EEEvS13_.num_named_barrier, 0
	.set _ZN7rocprim17ROCPRIM_400000_NS6detail17trampoline_kernelINS0_13select_configILj256ELj13ELNS0_17block_load_methodE3ELS4_3ELS4_3ELNS0_20block_scan_algorithmE0ELj4294967295EEENS1_25partition_config_selectorILNS1_17partition_subalgoE4EjNS0_10empty_typeEbEEZZNS1_14partition_implILS8_4ELb0ES6_15HIP_vector_typeIjLj2EENS0_17counting_iteratorIjlEEPS9_SG_NS0_5tupleIJPjSI_NS0_16reverse_iteratorISI_EEEEENSH_IJSG_SG_SG_EEES9_SI_JZNS1_25segmented_radix_sort_implINS0_14default_configELb0EPK6__halfPSP_PKlPlN2at6native12_GLOBAL__N_18offset_tEEE10hipError_tPvRmT1_PNSt15iterator_traitsIS13_E10value_typeET2_T3_PNS14_IS19_E10value_typeET4_jRbjT5_S1F_jjP12ihipStream_tbEUljE_ZNSN_ISO_Lb0ESR_SS_SU_SV_SZ_EES10_S11_S12_S13_S17_S18_S19_S1C_S1D_jS1E_jS1F_S1F_jjS1H_bEUljE0_EEES10_S11_S12_S19_S1D_S1F_T6_T7_T9_mT8_S1H_bDpT10_ENKUlT_T0_E_clISt17integral_constantIbLb0EES1V_EEDaS1Q_S1R_EUlS1Q_E_NS1_11comp_targetILNS1_3genE4ELNS1_11target_archE910ELNS1_3gpuE8ELNS1_3repE0EEENS1_30default_config_static_selectorELNS0_4arch9wavefront6targetE0EEEvS13_.private_seg_size, 0
	.set _ZN7rocprim17ROCPRIM_400000_NS6detail17trampoline_kernelINS0_13select_configILj256ELj13ELNS0_17block_load_methodE3ELS4_3ELS4_3ELNS0_20block_scan_algorithmE0ELj4294967295EEENS1_25partition_config_selectorILNS1_17partition_subalgoE4EjNS0_10empty_typeEbEEZZNS1_14partition_implILS8_4ELb0ES6_15HIP_vector_typeIjLj2EENS0_17counting_iteratorIjlEEPS9_SG_NS0_5tupleIJPjSI_NS0_16reverse_iteratorISI_EEEEENSH_IJSG_SG_SG_EEES9_SI_JZNS1_25segmented_radix_sort_implINS0_14default_configELb0EPK6__halfPSP_PKlPlN2at6native12_GLOBAL__N_18offset_tEEE10hipError_tPvRmT1_PNSt15iterator_traitsIS13_E10value_typeET2_T3_PNS14_IS19_E10value_typeET4_jRbjT5_S1F_jjP12ihipStream_tbEUljE_ZNSN_ISO_Lb0ESR_SS_SU_SV_SZ_EES10_S11_S12_S13_S17_S18_S19_S1C_S1D_jS1E_jS1F_S1F_jjS1H_bEUljE0_EEES10_S11_S12_S19_S1D_S1F_T6_T7_T9_mT8_S1H_bDpT10_ENKUlT_T0_E_clISt17integral_constantIbLb0EES1V_EEDaS1Q_S1R_EUlS1Q_E_NS1_11comp_targetILNS1_3genE4ELNS1_11target_archE910ELNS1_3gpuE8ELNS1_3repE0EEENS1_30default_config_static_selectorELNS0_4arch9wavefront6targetE0EEEvS13_.uses_vcc, 0
	.set _ZN7rocprim17ROCPRIM_400000_NS6detail17trampoline_kernelINS0_13select_configILj256ELj13ELNS0_17block_load_methodE3ELS4_3ELS4_3ELNS0_20block_scan_algorithmE0ELj4294967295EEENS1_25partition_config_selectorILNS1_17partition_subalgoE4EjNS0_10empty_typeEbEEZZNS1_14partition_implILS8_4ELb0ES6_15HIP_vector_typeIjLj2EENS0_17counting_iteratorIjlEEPS9_SG_NS0_5tupleIJPjSI_NS0_16reverse_iteratorISI_EEEEENSH_IJSG_SG_SG_EEES9_SI_JZNS1_25segmented_radix_sort_implINS0_14default_configELb0EPK6__halfPSP_PKlPlN2at6native12_GLOBAL__N_18offset_tEEE10hipError_tPvRmT1_PNSt15iterator_traitsIS13_E10value_typeET2_T3_PNS14_IS19_E10value_typeET4_jRbjT5_S1F_jjP12ihipStream_tbEUljE_ZNSN_ISO_Lb0ESR_SS_SU_SV_SZ_EES10_S11_S12_S13_S17_S18_S19_S1C_S1D_jS1E_jS1F_S1F_jjS1H_bEUljE0_EEES10_S11_S12_S19_S1D_S1F_T6_T7_T9_mT8_S1H_bDpT10_ENKUlT_T0_E_clISt17integral_constantIbLb0EES1V_EEDaS1Q_S1R_EUlS1Q_E_NS1_11comp_targetILNS1_3genE4ELNS1_11target_archE910ELNS1_3gpuE8ELNS1_3repE0EEENS1_30default_config_static_selectorELNS0_4arch9wavefront6targetE0EEEvS13_.uses_flat_scratch, 0
	.set _ZN7rocprim17ROCPRIM_400000_NS6detail17trampoline_kernelINS0_13select_configILj256ELj13ELNS0_17block_load_methodE3ELS4_3ELS4_3ELNS0_20block_scan_algorithmE0ELj4294967295EEENS1_25partition_config_selectorILNS1_17partition_subalgoE4EjNS0_10empty_typeEbEEZZNS1_14partition_implILS8_4ELb0ES6_15HIP_vector_typeIjLj2EENS0_17counting_iteratorIjlEEPS9_SG_NS0_5tupleIJPjSI_NS0_16reverse_iteratorISI_EEEEENSH_IJSG_SG_SG_EEES9_SI_JZNS1_25segmented_radix_sort_implINS0_14default_configELb0EPK6__halfPSP_PKlPlN2at6native12_GLOBAL__N_18offset_tEEE10hipError_tPvRmT1_PNSt15iterator_traitsIS13_E10value_typeET2_T3_PNS14_IS19_E10value_typeET4_jRbjT5_S1F_jjP12ihipStream_tbEUljE_ZNSN_ISO_Lb0ESR_SS_SU_SV_SZ_EES10_S11_S12_S13_S17_S18_S19_S1C_S1D_jS1E_jS1F_S1F_jjS1H_bEUljE0_EEES10_S11_S12_S19_S1D_S1F_T6_T7_T9_mT8_S1H_bDpT10_ENKUlT_T0_E_clISt17integral_constantIbLb0EES1V_EEDaS1Q_S1R_EUlS1Q_E_NS1_11comp_targetILNS1_3genE4ELNS1_11target_archE910ELNS1_3gpuE8ELNS1_3repE0EEENS1_30default_config_static_selectorELNS0_4arch9wavefront6targetE0EEEvS13_.has_dyn_sized_stack, 0
	.set _ZN7rocprim17ROCPRIM_400000_NS6detail17trampoline_kernelINS0_13select_configILj256ELj13ELNS0_17block_load_methodE3ELS4_3ELS4_3ELNS0_20block_scan_algorithmE0ELj4294967295EEENS1_25partition_config_selectorILNS1_17partition_subalgoE4EjNS0_10empty_typeEbEEZZNS1_14partition_implILS8_4ELb0ES6_15HIP_vector_typeIjLj2EENS0_17counting_iteratorIjlEEPS9_SG_NS0_5tupleIJPjSI_NS0_16reverse_iteratorISI_EEEEENSH_IJSG_SG_SG_EEES9_SI_JZNS1_25segmented_radix_sort_implINS0_14default_configELb0EPK6__halfPSP_PKlPlN2at6native12_GLOBAL__N_18offset_tEEE10hipError_tPvRmT1_PNSt15iterator_traitsIS13_E10value_typeET2_T3_PNS14_IS19_E10value_typeET4_jRbjT5_S1F_jjP12ihipStream_tbEUljE_ZNSN_ISO_Lb0ESR_SS_SU_SV_SZ_EES10_S11_S12_S13_S17_S18_S19_S1C_S1D_jS1E_jS1F_S1F_jjS1H_bEUljE0_EEES10_S11_S12_S19_S1D_S1F_T6_T7_T9_mT8_S1H_bDpT10_ENKUlT_T0_E_clISt17integral_constantIbLb0EES1V_EEDaS1Q_S1R_EUlS1Q_E_NS1_11comp_targetILNS1_3genE4ELNS1_11target_archE910ELNS1_3gpuE8ELNS1_3repE0EEENS1_30default_config_static_selectorELNS0_4arch9wavefront6targetE0EEEvS13_.has_recursion, 0
	.set _ZN7rocprim17ROCPRIM_400000_NS6detail17trampoline_kernelINS0_13select_configILj256ELj13ELNS0_17block_load_methodE3ELS4_3ELS4_3ELNS0_20block_scan_algorithmE0ELj4294967295EEENS1_25partition_config_selectorILNS1_17partition_subalgoE4EjNS0_10empty_typeEbEEZZNS1_14partition_implILS8_4ELb0ES6_15HIP_vector_typeIjLj2EENS0_17counting_iteratorIjlEEPS9_SG_NS0_5tupleIJPjSI_NS0_16reverse_iteratorISI_EEEEENSH_IJSG_SG_SG_EEES9_SI_JZNS1_25segmented_radix_sort_implINS0_14default_configELb0EPK6__halfPSP_PKlPlN2at6native12_GLOBAL__N_18offset_tEEE10hipError_tPvRmT1_PNSt15iterator_traitsIS13_E10value_typeET2_T3_PNS14_IS19_E10value_typeET4_jRbjT5_S1F_jjP12ihipStream_tbEUljE_ZNSN_ISO_Lb0ESR_SS_SU_SV_SZ_EES10_S11_S12_S13_S17_S18_S19_S1C_S1D_jS1E_jS1F_S1F_jjS1H_bEUljE0_EEES10_S11_S12_S19_S1D_S1F_T6_T7_T9_mT8_S1H_bDpT10_ENKUlT_T0_E_clISt17integral_constantIbLb0EES1V_EEDaS1Q_S1R_EUlS1Q_E_NS1_11comp_targetILNS1_3genE4ELNS1_11target_archE910ELNS1_3gpuE8ELNS1_3repE0EEENS1_30default_config_static_selectorELNS0_4arch9wavefront6targetE0EEEvS13_.has_indirect_call, 0
	.section	.AMDGPU.csdata,"",@progbits
; Kernel info:
; codeLenInByte = 0
; TotalNumSgprs: 0
; NumVgprs: 0
; ScratchSize: 0
; MemoryBound: 0
; FloatMode: 240
; IeeeMode: 1
; LDSByteSize: 0 bytes/workgroup (compile time only)
; SGPRBlocks: 0
; VGPRBlocks: 0
; NumSGPRsForWavesPerEU: 1
; NumVGPRsForWavesPerEU: 1
; NamedBarCnt: 0
; Occupancy: 16
; WaveLimiterHint : 0
; COMPUTE_PGM_RSRC2:SCRATCH_EN: 0
; COMPUTE_PGM_RSRC2:USER_SGPR: 2
; COMPUTE_PGM_RSRC2:TRAP_HANDLER: 0
; COMPUTE_PGM_RSRC2:TGID_X_EN: 1
; COMPUTE_PGM_RSRC2:TGID_Y_EN: 0
; COMPUTE_PGM_RSRC2:TGID_Z_EN: 0
; COMPUTE_PGM_RSRC2:TIDIG_COMP_CNT: 0
	.section	.text._ZN7rocprim17ROCPRIM_400000_NS6detail17trampoline_kernelINS0_13select_configILj256ELj13ELNS0_17block_load_methodE3ELS4_3ELS4_3ELNS0_20block_scan_algorithmE0ELj4294967295EEENS1_25partition_config_selectorILNS1_17partition_subalgoE4EjNS0_10empty_typeEbEEZZNS1_14partition_implILS8_4ELb0ES6_15HIP_vector_typeIjLj2EENS0_17counting_iteratorIjlEEPS9_SG_NS0_5tupleIJPjSI_NS0_16reverse_iteratorISI_EEEEENSH_IJSG_SG_SG_EEES9_SI_JZNS1_25segmented_radix_sort_implINS0_14default_configELb0EPK6__halfPSP_PKlPlN2at6native12_GLOBAL__N_18offset_tEEE10hipError_tPvRmT1_PNSt15iterator_traitsIS13_E10value_typeET2_T3_PNS14_IS19_E10value_typeET4_jRbjT5_S1F_jjP12ihipStream_tbEUljE_ZNSN_ISO_Lb0ESR_SS_SU_SV_SZ_EES10_S11_S12_S13_S17_S18_S19_S1C_S1D_jS1E_jS1F_S1F_jjS1H_bEUljE0_EEES10_S11_S12_S19_S1D_S1F_T6_T7_T9_mT8_S1H_bDpT10_ENKUlT_T0_E_clISt17integral_constantIbLb0EES1V_EEDaS1Q_S1R_EUlS1Q_E_NS1_11comp_targetILNS1_3genE3ELNS1_11target_archE908ELNS1_3gpuE7ELNS1_3repE0EEENS1_30default_config_static_selectorELNS0_4arch9wavefront6targetE0EEEvS13_,"axG",@progbits,_ZN7rocprim17ROCPRIM_400000_NS6detail17trampoline_kernelINS0_13select_configILj256ELj13ELNS0_17block_load_methodE3ELS4_3ELS4_3ELNS0_20block_scan_algorithmE0ELj4294967295EEENS1_25partition_config_selectorILNS1_17partition_subalgoE4EjNS0_10empty_typeEbEEZZNS1_14partition_implILS8_4ELb0ES6_15HIP_vector_typeIjLj2EENS0_17counting_iteratorIjlEEPS9_SG_NS0_5tupleIJPjSI_NS0_16reverse_iteratorISI_EEEEENSH_IJSG_SG_SG_EEES9_SI_JZNS1_25segmented_radix_sort_implINS0_14default_configELb0EPK6__halfPSP_PKlPlN2at6native12_GLOBAL__N_18offset_tEEE10hipError_tPvRmT1_PNSt15iterator_traitsIS13_E10value_typeET2_T3_PNS14_IS19_E10value_typeET4_jRbjT5_S1F_jjP12ihipStream_tbEUljE_ZNSN_ISO_Lb0ESR_SS_SU_SV_SZ_EES10_S11_S12_S13_S17_S18_S19_S1C_S1D_jS1E_jS1F_S1F_jjS1H_bEUljE0_EEES10_S11_S12_S19_S1D_S1F_T6_T7_T9_mT8_S1H_bDpT10_ENKUlT_T0_E_clISt17integral_constantIbLb0EES1V_EEDaS1Q_S1R_EUlS1Q_E_NS1_11comp_targetILNS1_3genE3ELNS1_11target_archE908ELNS1_3gpuE7ELNS1_3repE0EEENS1_30default_config_static_selectorELNS0_4arch9wavefront6targetE0EEEvS13_,comdat
	.globl	_ZN7rocprim17ROCPRIM_400000_NS6detail17trampoline_kernelINS0_13select_configILj256ELj13ELNS0_17block_load_methodE3ELS4_3ELS4_3ELNS0_20block_scan_algorithmE0ELj4294967295EEENS1_25partition_config_selectorILNS1_17partition_subalgoE4EjNS0_10empty_typeEbEEZZNS1_14partition_implILS8_4ELb0ES6_15HIP_vector_typeIjLj2EENS0_17counting_iteratorIjlEEPS9_SG_NS0_5tupleIJPjSI_NS0_16reverse_iteratorISI_EEEEENSH_IJSG_SG_SG_EEES9_SI_JZNS1_25segmented_radix_sort_implINS0_14default_configELb0EPK6__halfPSP_PKlPlN2at6native12_GLOBAL__N_18offset_tEEE10hipError_tPvRmT1_PNSt15iterator_traitsIS13_E10value_typeET2_T3_PNS14_IS19_E10value_typeET4_jRbjT5_S1F_jjP12ihipStream_tbEUljE_ZNSN_ISO_Lb0ESR_SS_SU_SV_SZ_EES10_S11_S12_S13_S17_S18_S19_S1C_S1D_jS1E_jS1F_S1F_jjS1H_bEUljE0_EEES10_S11_S12_S19_S1D_S1F_T6_T7_T9_mT8_S1H_bDpT10_ENKUlT_T0_E_clISt17integral_constantIbLb0EES1V_EEDaS1Q_S1R_EUlS1Q_E_NS1_11comp_targetILNS1_3genE3ELNS1_11target_archE908ELNS1_3gpuE7ELNS1_3repE0EEENS1_30default_config_static_selectorELNS0_4arch9wavefront6targetE0EEEvS13_ ; -- Begin function _ZN7rocprim17ROCPRIM_400000_NS6detail17trampoline_kernelINS0_13select_configILj256ELj13ELNS0_17block_load_methodE3ELS4_3ELS4_3ELNS0_20block_scan_algorithmE0ELj4294967295EEENS1_25partition_config_selectorILNS1_17partition_subalgoE4EjNS0_10empty_typeEbEEZZNS1_14partition_implILS8_4ELb0ES6_15HIP_vector_typeIjLj2EENS0_17counting_iteratorIjlEEPS9_SG_NS0_5tupleIJPjSI_NS0_16reverse_iteratorISI_EEEEENSH_IJSG_SG_SG_EEES9_SI_JZNS1_25segmented_radix_sort_implINS0_14default_configELb0EPK6__halfPSP_PKlPlN2at6native12_GLOBAL__N_18offset_tEEE10hipError_tPvRmT1_PNSt15iterator_traitsIS13_E10value_typeET2_T3_PNS14_IS19_E10value_typeET4_jRbjT5_S1F_jjP12ihipStream_tbEUljE_ZNSN_ISO_Lb0ESR_SS_SU_SV_SZ_EES10_S11_S12_S13_S17_S18_S19_S1C_S1D_jS1E_jS1F_S1F_jjS1H_bEUljE0_EEES10_S11_S12_S19_S1D_S1F_T6_T7_T9_mT8_S1H_bDpT10_ENKUlT_T0_E_clISt17integral_constantIbLb0EES1V_EEDaS1Q_S1R_EUlS1Q_E_NS1_11comp_targetILNS1_3genE3ELNS1_11target_archE908ELNS1_3gpuE7ELNS1_3repE0EEENS1_30default_config_static_selectorELNS0_4arch9wavefront6targetE0EEEvS13_
	.p2align	8
	.type	_ZN7rocprim17ROCPRIM_400000_NS6detail17trampoline_kernelINS0_13select_configILj256ELj13ELNS0_17block_load_methodE3ELS4_3ELS4_3ELNS0_20block_scan_algorithmE0ELj4294967295EEENS1_25partition_config_selectorILNS1_17partition_subalgoE4EjNS0_10empty_typeEbEEZZNS1_14partition_implILS8_4ELb0ES6_15HIP_vector_typeIjLj2EENS0_17counting_iteratorIjlEEPS9_SG_NS0_5tupleIJPjSI_NS0_16reverse_iteratorISI_EEEEENSH_IJSG_SG_SG_EEES9_SI_JZNS1_25segmented_radix_sort_implINS0_14default_configELb0EPK6__halfPSP_PKlPlN2at6native12_GLOBAL__N_18offset_tEEE10hipError_tPvRmT1_PNSt15iterator_traitsIS13_E10value_typeET2_T3_PNS14_IS19_E10value_typeET4_jRbjT5_S1F_jjP12ihipStream_tbEUljE_ZNSN_ISO_Lb0ESR_SS_SU_SV_SZ_EES10_S11_S12_S13_S17_S18_S19_S1C_S1D_jS1E_jS1F_S1F_jjS1H_bEUljE0_EEES10_S11_S12_S19_S1D_S1F_T6_T7_T9_mT8_S1H_bDpT10_ENKUlT_T0_E_clISt17integral_constantIbLb0EES1V_EEDaS1Q_S1R_EUlS1Q_E_NS1_11comp_targetILNS1_3genE3ELNS1_11target_archE908ELNS1_3gpuE7ELNS1_3repE0EEENS1_30default_config_static_selectorELNS0_4arch9wavefront6targetE0EEEvS13_,@function
_ZN7rocprim17ROCPRIM_400000_NS6detail17trampoline_kernelINS0_13select_configILj256ELj13ELNS0_17block_load_methodE3ELS4_3ELS4_3ELNS0_20block_scan_algorithmE0ELj4294967295EEENS1_25partition_config_selectorILNS1_17partition_subalgoE4EjNS0_10empty_typeEbEEZZNS1_14partition_implILS8_4ELb0ES6_15HIP_vector_typeIjLj2EENS0_17counting_iteratorIjlEEPS9_SG_NS0_5tupleIJPjSI_NS0_16reverse_iteratorISI_EEEEENSH_IJSG_SG_SG_EEES9_SI_JZNS1_25segmented_radix_sort_implINS0_14default_configELb0EPK6__halfPSP_PKlPlN2at6native12_GLOBAL__N_18offset_tEEE10hipError_tPvRmT1_PNSt15iterator_traitsIS13_E10value_typeET2_T3_PNS14_IS19_E10value_typeET4_jRbjT5_S1F_jjP12ihipStream_tbEUljE_ZNSN_ISO_Lb0ESR_SS_SU_SV_SZ_EES10_S11_S12_S13_S17_S18_S19_S1C_S1D_jS1E_jS1F_S1F_jjS1H_bEUljE0_EEES10_S11_S12_S19_S1D_S1F_T6_T7_T9_mT8_S1H_bDpT10_ENKUlT_T0_E_clISt17integral_constantIbLb0EES1V_EEDaS1Q_S1R_EUlS1Q_E_NS1_11comp_targetILNS1_3genE3ELNS1_11target_archE908ELNS1_3gpuE7ELNS1_3repE0EEENS1_30default_config_static_selectorELNS0_4arch9wavefront6targetE0EEEvS13_: ; @_ZN7rocprim17ROCPRIM_400000_NS6detail17trampoline_kernelINS0_13select_configILj256ELj13ELNS0_17block_load_methodE3ELS4_3ELS4_3ELNS0_20block_scan_algorithmE0ELj4294967295EEENS1_25partition_config_selectorILNS1_17partition_subalgoE4EjNS0_10empty_typeEbEEZZNS1_14partition_implILS8_4ELb0ES6_15HIP_vector_typeIjLj2EENS0_17counting_iteratorIjlEEPS9_SG_NS0_5tupleIJPjSI_NS0_16reverse_iteratorISI_EEEEENSH_IJSG_SG_SG_EEES9_SI_JZNS1_25segmented_radix_sort_implINS0_14default_configELb0EPK6__halfPSP_PKlPlN2at6native12_GLOBAL__N_18offset_tEEE10hipError_tPvRmT1_PNSt15iterator_traitsIS13_E10value_typeET2_T3_PNS14_IS19_E10value_typeET4_jRbjT5_S1F_jjP12ihipStream_tbEUljE_ZNSN_ISO_Lb0ESR_SS_SU_SV_SZ_EES10_S11_S12_S13_S17_S18_S19_S1C_S1D_jS1E_jS1F_S1F_jjS1H_bEUljE0_EEES10_S11_S12_S19_S1D_S1F_T6_T7_T9_mT8_S1H_bDpT10_ENKUlT_T0_E_clISt17integral_constantIbLb0EES1V_EEDaS1Q_S1R_EUlS1Q_E_NS1_11comp_targetILNS1_3genE3ELNS1_11target_archE908ELNS1_3gpuE7ELNS1_3repE0EEENS1_30default_config_static_selectorELNS0_4arch9wavefront6targetE0EEEvS13_
; %bb.0:
	.section	.rodata,"a",@progbits
	.p2align	6, 0x0
	.amdhsa_kernel _ZN7rocprim17ROCPRIM_400000_NS6detail17trampoline_kernelINS0_13select_configILj256ELj13ELNS0_17block_load_methodE3ELS4_3ELS4_3ELNS0_20block_scan_algorithmE0ELj4294967295EEENS1_25partition_config_selectorILNS1_17partition_subalgoE4EjNS0_10empty_typeEbEEZZNS1_14partition_implILS8_4ELb0ES6_15HIP_vector_typeIjLj2EENS0_17counting_iteratorIjlEEPS9_SG_NS0_5tupleIJPjSI_NS0_16reverse_iteratorISI_EEEEENSH_IJSG_SG_SG_EEES9_SI_JZNS1_25segmented_radix_sort_implINS0_14default_configELb0EPK6__halfPSP_PKlPlN2at6native12_GLOBAL__N_18offset_tEEE10hipError_tPvRmT1_PNSt15iterator_traitsIS13_E10value_typeET2_T3_PNS14_IS19_E10value_typeET4_jRbjT5_S1F_jjP12ihipStream_tbEUljE_ZNSN_ISO_Lb0ESR_SS_SU_SV_SZ_EES10_S11_S12_S13_S17_S18_S19_S1C_S1D_jS1E_jS1F_S1F_jjS1H_bEUljE0_EEES10_S11_S12_S19_S1D_S1F_T6_T7_T9_mT8_S1H_bDpT10_ENKUlT_T0_E_clISt17integral_constantIbLb0EES1V_EEDaS1Q_S1R_EUlS1Q_E_NS1_11comp_targetILNS1_3genE3ELNS1_11target_archE908ELNS1_3gpuE7ELNS1_3repE0EEENS1_30default_config_static_selectorELNS0_4arch9wavefront6targetE0EEEvS13_
		.amdhsa_group_segment_fixed_size 0
		.amdhsa_private_segment_fixed_size 0
		.amdhsa_kernarg_size 176
		.amdhsa_user_sgpr_count 2
		.amdhsa_user_sgpr_dispatch_ptr 0
		.amdhsa_user_sgpr_queue_ptr 0
		.amdhsa_user_sgpr_kernarg_segment_ptr 1
		.amdhsa_user_sgpr_dispatch_id 0
		.amdhsa_user_sgpr_kernarg_preload_length 0
		.amdhsa_user_sgpr_kernarg_preload_offset 0
		.amdhsa_user_sgpr_private_segment_size 0
		.amdhsa_wavefront_size32 1
		.amdhsa_uses_dynamic_stack 0
		.amdhsa_enable_private_segment 0
		.amdhsa_system_sgpr_workgroup_id_x 1
		.amdhsa_system_sgpr_workgroup_id_y 0
		.amdhsa_system_sgpr_workgroup_id_z 0
		.amdhsa_system_sgpr_workgroup_info 0
		.amdhsa_system_vgpr_workitem_id 0
		.amdhsa_next_free_vgpr 1
		.amdhsa_next_free_sgpr 1
		.amdhsa_named_barrier_count 0
		.amdhsa_reserve_vcc 0
		.amdhsa_float_round_mode_32 0
		.amdhsa_float_round_mode_16_64 0
		.amdhsa_float_denorm_mode_32 3
		.amdhsa_float_denorm_mode_16_64 3
		.amdhsa_fp16_overflow 0
		.amdhsa_memory_ordered 1
		.amdhsa_forward_progress 1
		.amdhsa_inst_pref_size 0
		.amdhsa_round_robin_scheduling 0
		.amdhsa_exception_fp_ieee_invalid_op 0
		.amdhsa_exception_fp_denorm_src 0
		.amdhsa_exception_fp_ieee_div_zero 0
		.amdhsa_exception_fp_ieee_overflow 0
		.amdhsa_exception_fp_ieee_underflow 0
		.amdhsa_exception_fp_ieee_inexact 0
		.amdhsa_exception_int_div_zero 0
	.end_amdhsa_kernel
	.section	.text._ZN7rocprim17ROCPRIM_400000_NS6detail17trampoline_kernelINS0_13select_configILj256ELj13ELNS0_17block_load_methodE3ELS4_3ELS4_3ELNS0_20block_scan_algorithmE0ELj4294967295EEENS1_25partition_config_selectorILNS1_17partition_subalgoE4EjNS0_10empty_typeEbEEZZNS1_14partition_implILS8_4ELb0ES6_15HIP_vector_typeIjLj2EENS0_17counting_iteratorIjlEEPS9_SG_NS0_5tupleIJPjSI_NS0_16reverse_iteratorISI_EEEEENSH_IJSG_SG_SG_EEES9_SI_JZNS1_25segmented_radix_sort_implINS0_14default_configELb0EPK6__halfPSP_PKlPlN2at6native12_GLOBAL__N_18offset_tEEE10hipError_tPvRmT1_PNSt15iterator_traitsIS13_E10value_typeET2_T3_PNS14_IS19_E10value_typeET4_jRbjT5_S1F_jjP12ihipStream_tbEUljE_ZNSN_ISO_Lb0ESR_SS_SU_SV_SZ_EES10_S11_S12_S13_S17_S18_S19_S1C_S1D_jS1E_jS1F_S1F_jjS1H_bEUljE0_EEES10_S11_S12_S19_S1D_S1F_T6_T7_T9_mT8_S1H_bDpT10_ENKUlT_T0_E_clISt17integral_constantIbLb0EES1V_EEDaS1Q_S1R_EUlS1Q_E_NS1_11comp_targetILNS1_3genE3ELNS1_11target_archE908ELNS1_3gpuE7ELNS1_3repE0EEENS1_30default_config_static_selectorELNS0_4arch9wavefront6targetE0EEEvS13_,"axG",@progbits,_ZN7rocprim17ROCPRIM_400000_NS6detail17trampoline_kernelINS0_13select_configILj256ELj13ELNS0_17block_load_methodE3ELS4_3ELS4_3ELNS0_20block_scan_algorithmE0ELj4294967295EEENS1_25partition_config_selectorILNS1_17partition_subalgoE4EjNS0_10empty_typeEbEEZZNS1_14partition_implILS8_4ELb0ES6_15HIP_vector_typeIjLj2EENS0_17counting_iteratorIjlEEPS9_SG_NS0_5tupleIJPjSI_NS0_16reverse_iteratorISI_EEEEENSH_IJSG_SG_SG_EEES9_SI_JZNS1_25segmented_radix_sort_implINS0_14default_configELb0EPK6__halfPSP_PKlPlN2at6native12_GLOBAL__N_18offset_tEEE10hipError_tPvRmT1_PNSt15iterator_traitsIS13_E10value_typeET2_T3_PNS14_IS19_E10value_typeET4_jRbjT5_S1F_jjP12ihipStream_tbEUljE_ZNSN_ISO_Lb0ESR_SS_SU_SV_SZ_EES10_S11_S12_S13_S17_S18_S19_S1C_S1D_jS1E_jS1F_S1F_jjS1H_bEUljE0_EEES10_S11_S12_S19_S1D_S1F_T6_T7_T9_mT8_S1H_bDpT10_ENKUlT_T0_E_clISt17integral_constantIbLb0EES1V_EEDaS1Q_S1R_EUlS1Q_E_NS1_11comp_targetILNS1_3genE3ELNS1_11target_archE908ELNS1_3gpuE7ELNS1_3repE0EEENS1_30default_config_static_selectorELNS0_4arch9wavefront6targetE0EEEvS13_,comdat
.Lfunc_end1771:
	.size	_ZN7rocprim17ROCPRIM_400000_NS6detail17trampoline_kernelINS0_13select_configILj256ELj13ELNS0_17block_load_methodE3ELS4_3ELS4_3ELNS0_20block_scan_algorithmE0ELj4294967295EEENS1_25partition_config_selectorILNS1_17partition_subalgoE4EjNS0_10empty_typeEbEEZZNS1_14partition_implILS8_4ELb0ES6_15HIP_vector_typeIjLj2EENS0_17counting_iteratorIjlEEPS9_SG_NS0_5tupleIJPjSI_NS0_16reverse_iteratorISI_EEEEENSH_IJSG_SG_SG_EEES9_SI_JZNS1_25segmented_radix_sort_implINS0_14default_configELb0EPK6__halfPSP_PKlPlN2at6native12_GLOBAL__N_18offset_tEEE10hipError_tPvRmT1_PNSt15iterator_traitsIS13_E10value_typeET2_T3_PNS14_IS19_E10value_typeET4_jRbjT5_S1F_jjP12ihipStream_tbEUljE_ZNSN_ISO_Lb0ESR_SS_SU_SV_SZ_EES10_S11_S12_S13_S17_S18_S19_S1C_S1D_jS1E_jS1F_S1F_jjS1H_bEUljE0_EEES10_S11_S12_S19_S1D_S1F_T6_T7_T9_mT8_S1H_bDpT10_ENKUlT_T0_E_clISt17integral_constantIbLb0EES1V_EEDaS1Q_S1R_EUlS1Q_E_NS1_11comp_targetILNS1_3genE3ELNS1_11target_archE908ELNS1_3gpuE7ELNS1_3repE0EEENS1_30default_config_static_selectorELNS0_4arch9wavefront6targetE0EEEvS13_, .Lfunc_end1771-_ZN7rocprim17ROCPRIM_400000_NS6detail17trampoline_kernelINS0_13select_configILj256ELj13ELNS0_17block_load_methodE3ELS4_3ELS4_3ELNS0_20block_scan_algorithmE0ELj4294967295EEENS1_25partition_config_selectorILNS1_17partition_subalgoE4EjNS0_10empty_typeEbEEZZNS1_14partition_implILS8_4ELb0ES6_15HIP_vector_typeIjLj2EENS0_17counting_iteratorIjlEEPS9_SG_NS0_5tupleIJPjSI_NS0_16reverse_iteratorISI_EEEEENSH_IJSG_SG_SG_EEES9_SI_JZNS1_25segmented_radix_sort_implINS0_14default_configELb0EPK6__halfPSP_PKlPlN2at6native12_GLOBAL__N_18offset_tEEE10hipError_tPvRmT1_PNSt15iterator_traitsIS13_E10value_typeET2_T3_PNS14_IS19_E10value_typeET4_jRbjT5_S1F_jjP12ihipStream_tbEUljE_ZNSN_ISO_Lb0ESR_SS_SU_SV_SZ_EES10_S11_S12_S13_S17_S18_S19_S1C_S1D_jS1E_jS1F_S1F_jjS1H_bEUljE0_EEES10_S11_S12_S19_S1D_S1F_T6_T7_T9_mT8_S1H_bDpT10_ENKUlT_T0_E_clISt17integral_constantIbLb0EES1V_EEDaS1Q_S1R_EUlS1Q_E_NS1_11comp_targetILNS1_3genE3ELNS1_11target_archE908ELNS1_3gpuE7ELNS1_3repE0EEENS1_30default_config_static_selectorELNS0_4arch9wavefront6targetE0EEEvS13_
                                        ; -- End function
	.set _ZN7rocprim17ROCPRIM_400000_NS6detail17trampoline_kernelINS0_13select_configILj256ELj13ELNS0_17block_load_methodE3ELS4_3ELS4_3ELNS0_20block_scan_algorithmE0ELj4294967295EEENS1_25partition_config_selectorILNS1_17partition_subalgoE4EjNS0_10empty_typeEbEEZZNS1_14partition_implILS8_4ELb0ES6_15HIP_vector_typeIjLj2EENS0_17counting_iteratorIjlEEPS9_SG_NS0_5tupleIJPjSI_NS0_16reverse_iteratorISI_EEEEENSH_IJSG_SG_SG_EEES9_SI_JZNS1_25segmented_radix_sort_implINS0_14default_configELb0EPK6__halfPSP_PKlPlN2at6native12_GLOBAL__N_18offset_tEEE10hipError_tPvRmT1_PNSt15iterator_traitsIS13_E10value_typeET2_T3_PNS14_IS19_E10value_typeET4_jRbjT5_S1F_jjP12ihipStream_tbEUljE_ZNSN_ISO_Lb0ESR_SS_SU_SV_SZ_EES10_S11_S12_S13_S17_S18_S19_S1C_S1D_jS1E_jS1F_S1F_jjS1H_bEUljE0_EEES10_S11_S12_S19_S1D_S1F_T6_T7_T9_mT8_S1H_bDpT10_ENKUlT_T0_E_clISt17integral_constantIbLb0EES1V_EEDaS1Q_S1R_EUlS1Q_E_NS1_11comp_targetILNS1_3genE3ELNS1_11target_archE908ELNS1_3gpuE7ELNS1_3repE0EEENS1_30default_config_static_selectorELNS0_4arch9wavefront6targetE0EEEvS13_.num_vgpr, 0
	.set _ZN7rocprim17ROCPRIM_400000_NS6detail17trampoline_kernelINS0_13select_configILj256ELj13ELNS0_17block_load_methodE3ELS4_3ELS4_3ELNS0_20block_scan_algorithmE0ELj4294967295EEENS1_25partition_config_selectorILNS1_17partition_subalgoE4EjNS0_10empty_typeEbEEZZNS1_14partition_implILS8_4ELb0ES6_15HIP_vector_typeIjLj2EENS0_17counting_iteratorIjlEEPS9_SG_NS0_5tupleIJPjSI_NS0_16reverse_iteratorISI_EEEEENSH_IJSG_SG_SG_EEES9_SI_JZNS1_25segmented_radix_sort_implINS0_14default_configELb0EPK6__halfPSP_PKlPlN2at6native12_GLOBAL__N_18offset_tEEE10hipError_tPvRmT1_PNSt15iterator_traitsIS13_E10value_typeET2_T3_PNS14_IS19_E10value_typeET4_jRbjT5_S1F_jjP12ihipStream_tbEUljE_ZNSN_ISO_Lb0ESR_SS_SU_SV_SZ_EES10_S11_S12_S13_S17_S18_S19_S1C_S1D_jS1E_jS1F_S1F_jjS1H_bEUljE0_EEES10_S11_S12_S19_S1D_S1F_T6_T7_T9_mT8_S1H_bDpT10_ENKUlT_T0_E_clISt17integral_constantIbLb0EES1V_EEDaS1Q_S1R_EUlS1Q_E_NS1_11comp_targetILNS1_3genE3ELNS1_11target_archE908ELNS1_3gpuE7ELNS1_3repE0EEENS1_30default_config_static_selectorELNS0_4arch9wavefront6targetE0EEEvS13_.num_agpr, 0
	.set _ZN7rocprim17ROCPRIM_400000_NS6detail17trampoline_kernelINS0_13select_configILj256ELj13ELNS0_17block_load_methodE3ELS4_3ELS4_3ELNS0_20block_scan_algorithmE0ELj4294967295EEENS1_25partition_config_selectorILNS1_17partition_subalgoE4EjNS0_10empty_typeEbEEZZNS1_14partition_implILS8_4ELb0ES6_15HIP_vector_typeIjLj2EENS0_17counting_iteratorIjlEEPS9_SG_NS0_5tupleIJPjSI_NS0_16reverse_iteratorISI_EEEEENSH_IJSG_SG_SG_EEES9_SI_JZNS1_25segmented_radix_sort_implINS0_14default_configELb0EPK6__halfPSP_PKlPlN2at6native12_GLOBAL__N_18offset_tEEE10hipError_tPvRmT1_PNSt15iterator_traitsIS13_E10value_typeET2_T3_PNS14_IS19_E10value_typeET4_jRbjT5_S1F_jjP12ihipStream_tbEUljE_ZNSN_ISO_Lb0ESR_SS_SU_SV_SZ_EES10_S11_S12_S13_S17_S18_S19_S1C_S1D_jS1E_jS1F_S1F_jjS1H_bEUljE0_EEES10_S11_S12_S19_S1D_S1F_T6_T7_T9_mT8_S1H_bDpT10_ENKUlT_T0_E_clISt17integral_constantIbLb0EES1V_EEDaS1Q_S1R_EUlS1Q_E_NS1_11comp_targetILNS1_3genE3ELNS1_11target_archE908ELNS1_3gpuE7ELNS1_3repE0EEENS1_30default_config_static_selectorELNS0_4arch9wavefront6targetE0EEEvS13_.numbered_sgpr, 0
	.set _ZN7rocprim17ROCPRIM_400000_NS6detail17trampoline_kernelINS0_13select_configILj256ELj13ELNS0_17block_load_methodE3ELS4_3ELS4_3ELNS0_20block_scan_algorithmE0ELj4294967295EEENS1_25partition_config_selectorILNS1_17partition_subalgoE4EjNS0_10empty_typeEbEEZZNS1_14partition_implILS8_4ELb0ES6_15HIP_vector_typeIjLj2EENS0_17counting_iteratorIjlEEPS9_SG_NS0_5tupleIJPjSI_NS0_16reverse_iteratorISI_EEEEENSH_IJSG_SG_SG_EEES9_SI_JZNS1_25segmented_radix_sort_implINS0_14default_configELb0EPK6__halfPSP_PKlPlN2at6native12_GLOBAL__N_18offset_tEEE10hipError_tPvRmT1_PNSt15iterator_traitsIS13_E10value_typeET2_T3_PNS14_IS19_E10value_typeET4_jRbjT5_S1F_jjP12ihipStream_tbEUljE_ZNSN_ISO_Lb0ESR_SS_SU_SV_SZ_EES10_S11_S12_S13_S17_S18_S19_S1C_S1D_jS1E_jS1F_S1F_jjS1H_bEUljE0_EEES10_S11_S12_S19_S1D_S1F_T6_T7_T9_mT8_S1H_bDpT10_ENKUlT_T0_E_clISt17integral_constantIbLb0EES1V_EEDaS1Q_S1R_EUlS1Q_E_NS1_11comp_targetILNS1_3genE3ELNS1_11target_archE908ELNS1_3gpuE7ELNS1_3repE0EEENS1_30default_config_static_selectorELNS0_4arch9wavefront6targetE0EEEvS13_.num_named_barrier, 0
	.set _ZN7rocprim17ROCPRIM_400000_NS6detail17trampoline_kernelINS0_13select_configILj256ELj13ELNS0_17block_load_methodE3ELS4_3ELS4_3ELNS0_20block_scan_algorithmE0ELj4294967295EEENS1_25partition_config_selectorILNS1_17partition_subalgoE4EjNS0_10empty_typeEbEEZZNS1_14partition_implILS8_4ELb0ES6_15HIP_vector_typeIjLj2EENS0_17counting_iteratorIjlEEPS9_SG_NS0_5tupleIJPjSI_NS0_16reverse_iteratorISI_EEEEENSH_IJSG_SG_SG_EEES9_SI_JZNS1_25segmented_radix_sort_implINS0_14default_configELb0EPK6__halfPSP_PKlPlN2at6native12_GLOBAL__N_18offset_tEEE10hipError_tPvRmT1_PNSt15iterator_traitsIS13_E10value_typeET2_T3_PNS14_IS19_E10value_typeET4_jRbjT5_S1F_jjP12ihipStream_tbEUljE_ZNSN_ISO_Lb0ESR_SS_SU_SV_SZ_EES10_S11_S12_S13_S17_S18_S19_S1C_S1D_jS1E_jS1F_S1F_jjS1H_bEUljE0_EEES10_S11_S12_S19_S1D_S1F_T6_T7_T9_mT8_S1H_bDpT10_ENKUlT_T0_E_clISt17integral_constantIbLb0EES1V_EEDaS1Q_S1R_EUlS1Q_E_NS1_11comp_targetILNS1_3genE3ELNS1_11target_archE908ELNS1_3gpuE7ELNS1_3repE0EEENS1_30default_config_static_selectorELNS0_4arch9wavefront6targetE0EEEvS13_.private_seg_size, 0
	.set _ZN7rocprim17ROCPRIM_400000_NS6detail17trampoline_kernelINS0_13select_configILj256ELj13ELNS0_17block_load_methodE3ELS4_3ELS4_3ELNS0_20block_scan_algorithmE0ELj4294967295EEENS1_25partition_config_selectorILNS1_17partition_subalgoE4EjNS0_10empty_typeEbEEZZNS1_14partition_implILS8_4ELb0ES6_15HIP_vector_typeIjLj2EENS0_17counting_iteratorIjlEEPS9_SG_NS0_5tupleIJPjSI_NS0_16reverse_iteratorISI_EEEEENSH_IJSG_SG_SG_EEES9_SI_JZNS1_25segmented_radix_sort_implINS0_14default_configELb0EPK6__halfPSP_PKlPlN2at6native12_GLOBAL__N_18offset_tEEE10hipError_tPvRmT1_PNSt15iterator_traitsIS13_E10value_typeET2_T3_PNS14_IS19_E10value_typeET4_jRbjT5_S1F_jjP12ihipStream_tbEUljE_ZNSN_ISO_Lb0ESR_SS_SU_SV_SZ_EES10_S11_S12_S13_S17_S18_S19_S1C_S1D_jS1E_jS1F_S1F_jjS1H_bEUljE0_EEES10_S11_S12_S19_S1D_S1F_T6_T7_T9_mT8_S1H_bDpT10_ENKUlT_T0_E_clISt17integral_constantIbLb0EES1V_EEDaS1Q_S1R_EUlS1Q_E_NS1_11comp_targetILNS1_3genE3ELNS1_11target_archE908ELNS1_3gpuE7ELNS1_3repE0EEENS1_30default_config_static_selectorELNS0_4arch9wavefront6targetE0EEEvS13_.uses_vcc, 0
	.set _ZN7rocprim17ROCPRIM_400000_NS6detail17trampoline_kernelINS0_13select_configILj256ELj13ELNS0_17block_load_methodE3ELS4_3ELS4_3ELNS0_20block_scan_algorithmE0ELj4294967295EEENS1_25partition_config_selectorILNS1_17partition_subalgoE4EjNS0_10empty_typeEbEEZZNS1_14partition_implILS8_4ELb0ES6_15HIP_vector_typeIjLj2EENS0_17counting_iteratorIjlEEPS9_SG_NS0_5tupleIJPjSI_NS0_16reverse_iteratorISI_EEEEENSH_IJSG_SG_SG_EEES9_SI_JZNS1_25segmented_radix_sort_implINS0_14default_configELb0EPK6__halfPSP_PKlPlN2at6native12_GLOBAL__N_18offset_tEEE10hipError_tPvRmT1_PNSt15iterator_traitsIS13_E10value_typeET2_T3_PNS14_IS19_E10value_typeET4_jRbjT5_S1F_jjP12ihipStream_tbEUljE_ZNSN_ISO_Lb0ESR_SS_SU_SV_SZ_EES10_S11_S12_S13_S17_S18_S19_S1C_S1D_jS1E_jS1F_S1F_jjS1H_bEUljE0_EEES10_S11_S12_S19_S1D_S1F_T6_T7_T9_mT8_S1H_bDpT10_ENKUlT_T0_E_clISt17integral_constantIbLb0EES1V_EEDaS1Q_S1R_EUlS1Q_E_NS1_11comp_targetILNS1_3genE3ELNS1_11target_archE908ELNS1_3gpuE7ELNS1_3repE0EEENS1_30default_config_static_selectorELNS0_4arch9wavefront6targetE0EEEvS13_.uses_flat_scratch, 0
	.set _ZN7rocprim17ROCPRIM_400000_NS6detail17trampoline_kernelINS0_13select_configILj256ELj13ELNS0_17block_load_methodE3ELS4_3ELS4_3ELNS0_20block_scan_algorithmE0ELj4294967295EEENS1_25partition_config_selectorILNS1_17partition_subalgoE4EjNS0_10empty_typeEbEEZZNS1_14partition_implILS8_4ELb0ES6_15HIP_vector_typeIjLj2EENS0_17counting_iteratorIjlEEPS9_SG_NS0_5tupleIJPjSI_NS0_16reverse_iteratorISI_EEEEENSH_IJSG_SG_SG_EEES9_SI_JZNS1_25segmented_radix_sort_implINS0_14default_configELb0EPK6__halfPSP_PKlPlN2at6native12_GLOBAL__N_18offset_tEEE10hipError_tPvRmT1_PNSt15iterator_traitsIS13_E10value_typeET2_T3_PNS14_IS19_E10value_typeET4_jRbjT5_S1F_jjP12ihipStream_tbEUljE_ZNSN_ISO_Lb0ESR_SS_SU_SV_SZ_EES10_S11_S12_S13_S17_S18_S19_S1C_S1D_jS1E_jS1F_S1F_jjS1H_bEUljE0_EEES10_S11_S12_S19_S1D_S1F_T6_T7_T9_mT8_S1H_bDpT10_ENKUlT_T0_E_clISt17integral_constantIbLb0EES1V_EEDaS1Q_S1R_EUlS1Q_E_NS1_11comp_targetILNS1_3genE3ELNS1_11target_archE908ELNS1_3gpuE7ELNS1_3repE0EEENS1_30default_config_static_selectorELNS0_4arch9wavefront6targetE0EEEvS13_.has_dyn_sized_stack, 0
	.set _ZN7rocprim17ROCPRIM_400000_NS6detail17trampoline_kernelINS0_13select_configILj256ELj13ELNS0_17block_load_methodE3ELS4_3ELS4_3ELNS0_20block_scan_algorithmE0ELj4294967295EEENS1_25partition_config_selectorILNS1_17partition_subalgoE4EjNS0_10empty_typeEbEEZZNS1_14partition_implILS8_4ELb0ES6_15HIP_vector_typeIjLj2EENS0_17counting_iteratorIjlEEPS9_SG_NS0_5tupleIJPjSI_NS0_16reverse_iteratorISI_EEEEENSH_IJSG_SG_SG_EEES9_SI_JZNS1_25segmented_radix_sort_implINS0_14default_configELb0EPK6__halfPSP_PKlPlN2at6native12_GLOBAL__N_18offset_tEEE10hipError_tPvRmT1_PNSt15iterator_traitsIS13_E10value_typeET2_T3_PNS14_IS19_E10value_typeET4_jRbjT5_S1F_jjP12ihipStream_tbEUljE_ZNSN_ISO_Lb0ESR_SS_SU_SV_SZ_EES10_S11_S12_S13_S17_S18_S19_S1C_S1D_jS1E_jS1F_S1F_jjS1H_bEUljE0_EEES10_S11_S12_S19_S1D_S1F_T6_T7_T9_mT8_S1H_bDpT10_ENKUlT_T0_E_clISt17integral_constantIbLb0EES1V_EEDaS1Q_S1R_EUlS1Q_E_NS1_11comp_targetILNS1_3genE3ELNS1_11target_archE908ELNS1_3gpuE7ELNS1_3repE0EEENS1_30default_config_static_selectorELNS0_4arch9wavefront6targetE0EEEvS13_.has_recursion, 0
	.set _ZN7rocprim17ROCPRIM_400000_NS6detail17trampoline_kernelINS0_13select_configILj256ELj13ELNS0_17block_load_methodE3ELS4_3ELS4_3ELNS0_20block_scan_algorithmE0ELj4294967295EEENS1_25partition_config_selectorILNS1_17partition_subalgoE4EjNS0_10empty_typeEbEEZZNS1_14partition_implILS8_4ELb0ES6_15HIP_vector_typeIjLj2EENS0_17counting_iteratorIjlEEPS9_SG_NS0_5tupleIJPjSI_NS0_16reverse_iteratorISI_EEEEENSH_IJSG_SG_SG_EEES9_SI_JZNS1_25segmented_radix_sort_implINS0_14default_configELb0EPK6__halfPSP_PKlPlN2at6native12_GLOBAL__N_18offset_tEEE10hipError_tPvRmT1_PNSt15iterator_traitsIS13_E10value_typeET2_T3_PNS14_IS19_E10value_typeET4_jRbjT5_S1F_jjP12ihipStream_tbEUljE_ZNSN_ISO_Lb0ESR_SS_SU_SV_SZ_EES10_S11_S12_S13_S17_S18_S19_S1C_S1D_jS1E_jS1F_S1F_jjS1H_bEUljE0_EEES10_S11_S12_S19_S1D_S1F_T6_T7_T9_mT8_S1H_bDpT10_ENKUlT_T0_E_clISt17integral_constantIbLb0EES1V_EEDaS1Q_S1R_EUlS1Q_E_NS1_11comp_targetILNS1_3genE3ELNS1_11target_archE908ELNS1_3gpuE7ELNS1_3repE0EEENS1_30default_config_static_selectorELNS0_4arch9wavefront6targetE0EEEvS13_.has_indirect_call, 0
	.section	.AMDGPU.csdata,"",@progbits
; Kernel info:
; codeLenInByte = 0
; TotalNumSgprs: 0
; NumVgprs: 0
; ScratchSize: 0
; MemoryBound: 0
; FloatMode: 240
; IeeeMode: 1
; LDSByteSize: 0 bytes/workgroup (compile time only)
; SGPRBlocks: 0
; VGPRBlocks: 0
; NumSGPRsForWavesPerEU: 1
; NumVGPRsForWavesPerEU: 1
; NamedBarCnt: 0
; Occupancy: 16
; WaveLimiterHint : 0
; COMPUTE_PGM_RSRC2:SCRATCH_EN: 0
; COMPUTE_PGM_RSRC2:USER_SGPR: 2
; COMPUTE_PGM_RSRC2:TRAP_HANDLER: 0
; COMPUTE_PGM_RSRC2:TGID_X_EN: 1
; COMPUTE_PGM_RSRC2:TGID_Y_EN: 0
; COMPUTE_PGM_RSRC2:TGID_Z_EN: 0
; COMPUTE_PGM_RSRC2:TIDIG_COMP_CNT: 0
	.section	.text._ZN7rocprim17ROCPRIM_400000_NS6detail17trampoline_kernelINS0_13select_configILj256ELj13ELNS0_17block_load_methodE3ELS4_3ELS4_3ELNS0_20block_scan_algorithmE0ELj4294967295EEENS1_25partition_config_selectorILNS1_17partition_subalgoE4EjNS0_10empty_typeEbEEZZNS1_14partition_implILS8_4ELb0ES6_15HIP_vector_typeIjLj2EENS0_17counting_iteratorIjlEEPS9_SG_NS0_5tupleIJPjSI_NS0_16reverse_iteratorISI_EEEEENSH_IJSG_SG_SG_EEES9_SI_JZNS1_25segmented_radix_sort_implINS0_14default_configELb0EPK6__halfPSP_PKlPlN2at6native12_GLOBAL__N_18offset_tEEE10hipError_tPvRmT1_PNSt15iterator_traitsIS13_E10value_typeET2_T3_PNS14_IS19_E10value_typeET4_jRbjT5_S1F_jjP12ihipStream_tbEUljE_ZNSN_ISO_Lb0ESR_SS_SU_SV_SZ_EES10_S11_S12_S13_S17_S18_S19_S1C_S1D_jS1E_jS1F_S1F_jjS1H_bEUljE0_EEES10_S11_S12_S19_S1D_S1F_T6_T7_T9_mT8_S1H_bDpT10_ENKUlT_T0_E_clISt17integral_constantIbLb0EES1V_EEDaS1Q_S1R_EUlS1Q_E_NS1_11comp_targetILNS1_3genE2ELNS1_11target_archE906ELNS1_3gpuE6ELNS1_3repE0EEENS1_30default_config_static_selectorELNS0_4arch9wavefront6targetE0EEEvS13_,"axG",@progbits,_ZN7rocprim17ROCPRIM_400000_NS6detail17trampoline_kernelINS0_13select_configILj256ELj13ELNS0_17block_load_methodE3ELS4_3ELS4_3ELNS0_20block_scan_algorithmE0ELj4294967295EEENS1_25partition_config_selectorILNS1_17partition_subalgoE4EjNS0_10empty_typeEbEEZZNS1_14partition_implILS8_4ELb0ES6_15HIP_vector_typeIjLj2EENS0_17counting_iteratorIjlEEPS9_SG_NS0_5tupleIJPjSI_NS0_16reverse_iteratorISI_EEEEENSH_IJSG_SG_SG_EEES9_SI_JZNS1_25segmented_radix_sort_implINS0_14default_configELb0EPK6__halfPSP_PKlPlN2at6native12_GLOBAL__N_18offset_tEEE10hipError_tPvRmT1_PNSt15iterator_traitsIS13_E10value_typeET2_T3_PNS14_IS19_E10value_typeET4_jRbjT5_S1F_jjP12ihipStream_tbEUljE_ZNSN_ISO_Lb0ESR_SS_SU_SV_SZ_EES10_S11_S12_S13_S17_S18_S19_S1C_S1D_jS1E_jS1F_S1F_jjS1H_bEUljE0_EEES10_S11_S12_S19_S1D_S1F_T6_T7_T9_mT8_S1H_bDpT10_ENKUlT_T0_E_clISt17integral_constantIbLb0EES1V_EEDaS1Q_S1R_EUlS1Q_E_NS1_11comp_targetILNS1_3genE2ELNS1_11target_archE906ELNS1_3gpuE6ELNS1_3repE0EEENS1_30default_config_static_selectorELNS0_4arch9wavefront6targetE0EEEvS13_,comdat
	.globl	_ZN7rocprim17ROCPRIM_400000_NS6detail17trampoline_kernelINS0_13select_configILj256ELj13ELNS0_17block_load_methodE3ELS4_3ELS4_3ELNS0_20block_scan_algorithmE0ELj4294967295EEENS1_25partition_config_selectorILNS1_17partition_subalgoE4EjNS0_10empty_typeEbEEZZNS1_14partition_implILS8_4ELb0ES6_15HIP_vector_typeIjLj2EENS0_17counting_iteratorIjlEEPS9_SG_NS0_5tupleIJPjSI_NS0_16reverse_iteratorISI_EEEEENSH_IJSG_SG_SG_EEES9_SI_JZNS1_25segmented_radix_sort_implINS0_14default_configELb0EPK6__halfPSP_PKlPlN2at6native12_GLOBAL__N_18offset_tEEE10hipError_tPvRmT1_PNSt15iterator_traitsIS13_E10value_typeET2_T3_PNS14_IS19_E10value_typeET4_jRbjT5_S1F_jjP12ihipStream_tbEUljE_ZNSN_ISO_Lb0ESR_SS_SU_SV_SZ_EES10_S11_S12_S13_S17_S18_S19_S1C_S1D_jS1E_jS1F_S1F_jjS1H_bEUljE0_EEES10_S11_S12_S19_S1D_S1F_T6_T7_T9_mT8_S1H_bDpT10_ENKUlT_T0_E_clISt17integral_constantIbLb0EES1V_EEDaS1Q_S1R_EUlS1Q_E_NS1_11comp_targetILNS1_3genE2ELNS1_11target_archE906ELNS1_3gpuE6ELNS1_3repE0EEENS1_30default_config_static_selectorELNS0_4arch9wavefront6targetE0EEEvS13_ ; -- Begin function _ZN7rocprim17ROCPRIM_400000_NS6detail17trampoline_kernelINS0_13select_configILj256ELj13ELNS0_17block_load_methodE3ELS4_3ELS4_3ELNS0_20block_scan_algorithmE0ELj4294967295EEENS1_25partition_config_selectorILNS1_17partition_subalgoE4EjNS0_10empty_typeEbEEZZNS1_14partition_implILS8_4ELb0ES6_15HIP_vector_typeIjLj2EENS0_17counting_iteratorIjlEEPS9_SG_NS0_5tupleIJPjSI_NS0_16reverse_iteratorISI_EEEEENSH_IJSG_SG_SG_EEES9_SI_JZNS1_25segmented_radix_sort_implINS0_14default_configELb0EPK6__halfPSP_PKlPlN2at6native12_GLOBAL__N_18offset_tEEE10hipError_tPvRmT1_PNSt15iterator_traitsIS13_E10value_typeET2_T3_PNS14_IS19_E10value_typeET4_jRbjT5_S1F_jjP12ihipStream_tbEUljE_ZNSN_ISO_Lb0ESR_SS_SU_SV_SZ_EES10_S11_S12_S13_S17_S18_S19_S1C_S1D_jS1E_jS1F_S1F_jjS1H_bEUljE0_EEES10_S11_S12_S19_S1D_S1F_T6_T7_T9_mT8_S1H_bDpT10_ENKUlT_T0_E_clISt17integral_constantIbLb0EES1V_EEDaS1Q_S1R_EUlS1Q_E_NS1_11comp_targetILNS1_3genE2ELNS1_11target_archE906ELNS1_3gpuE6ELNS1_3repE0EEENS1_30default_config_static_selectorELNS0_4arch9wavefront6targetE0EEEvS13_
	.p2align	8
	.type	_ZN7rocprim17ROCPRIM_400000_NS6detail17trampoline_kernelINS0_13select_configILj256ELj13ELNS0_17block_load_methodE3ELS4_3ELS4_3ELNS0_20block_scan_algorithmE0ELj4294967295EEENS1_25partition_config_selectorILNS1_17partition_subalgoE4EjNS0_10empty_typeEbEEZZNS1_14partition_implILS8_4ELb0ES6_15HIP_vector_typeIjLj2EENS0_17counting_iteratorIjlEEPS9_SG_NS0_5tupleIJPjSI_NS0_16reverse_iteratorISI_EEEEENSH_IJSG_SG_SG_EEES9_SI_JZNS1_25segmented_radix_sort_implINS0_14default_configELb0EPK6__halfPSP_PKlPlN2at6native12_GLOBAL__N_18offset_tEEE10hipError_tPvRmT1_PNSt15iterator_traitsIS13_E10value_typeET2_T3_PNS14_IS19_E10value_typeET4_jRbjT5_S1F_jjP12ihipStream_tbEUljE_ZNSN_ISO_Lb0ESR_SS_SU_SV_SZ_EES10_S11_S12_S13_S17_S18_S19_S1C_S1D_jS1E_jS1F_S1F_jjS1H_bEUljE0_EEES10_S11_S12_S19_S1D_S1F_T6_T7_T9_mT8_S1H_bDpT10_ENKUlT_T0_E_clISt17integral_constantIbLb0EES1V_EEDaS1Q_S1R_EUlS1Q_E_NS1_11comp_targetILNS1_3genE2ELNS1_11target_archE906ELNS1_3gpuE6ELNS1_3repE0EEENS1_30default_config_static_selectorELNS0_4arch9wavefront6targetE0EEEvS13_,@function
_ZN7rocprim17ROCPRIM_400000_NS6detail17trampoline_kernelINS0_13select_configILj256ELj13ELNS0_17block_load_methodE3ELS4_3ELS4_3ELNS0_20block_scan_algorithmE0ELj4294967295EEENS1_25partition_config_selectorILNS1_17partition_subalgoE4EjNS0_10empty_typeEbEEZZNS1_14partition_implILS8_4ELb0ES6_15HIP_vector_typeIjLj2EENS0_17counting_iteratorIjlEEPS9_SG_NS0_5tupleIJPjSI_NS0_16reverse_iteratorISI_EEEEENSH_IJSG_SG_SG_EEES9_SI_JZNS1_25segmented_radix_sort_implINS0_14default_configELb0EPK6__halfPSP_PKlPlN2at6native12_GLOBAL__N_18offset_tEEE10hipError_tPvRmT1_PNSt15iterator_traitsIS13_E10value_typeET2_T3_PNS14_IS19_E10value_typeET4_jRbjT5_S1F_jjP12ihipStream_tbEUljE_ZNSN_ISO_Lb0ESR_SS_SU_SV_SZ_EES10_S11_S12_S13_S17_S18_S19_S1C_S1D_jS1E_jS1F_S1F_jjS1H_bEUljE0_EEES10_S11_S12_S19_S1D_S1F_T6_T7_T9_mT8_S1H_bDpT10_ENKUlT_T0_E_clISt17integral_constantIbLb0EES1V_EEDaS1Q_S1R_EUlS1Q_E_NS1_11comp_targetILNS1_3genE2ELNS1_11target_archE906ELNS1_3gpuE6ELNS1_3repE0EEENS1_30default_config_static_selectorELNS0_4arch9wavefront6targetE0EEEvS13_: ; @_ZN7rocprim17ROCPRIM_400000_NS6detail17trampoline_kernelINS0_13select_configILj256ELj13ELNS0_17block_load_methodE3ELS4_3ELS4_3ELNS0_20block_scan_algorithmE0ELj4294967295EEENS1_25partition_config_selectorILNS1_17partition_subalgoE4EjNS0_10empty_typeEbEEZZNS1_14partition_implILS8_4ELb0ES6_15HIP_vector_typeIjLj2EENS0_17counting_iteratorIjlEEPS9_SG_NS0_5tupleIJPjSI_NS0_16reverse_iteratorISI_EEEEENSH_IJSG_SG_SG_EEES9_SI_JZNS1_25segmented_radix_sort_implINS0_14default_configELb0EPK6__halfPSP_PKlPlN2at6native12_GLOBAL__N_18offset_tEEE10hipError_tPvRmT1_PNSt15iterator_traitsIS13_E10value_typeET2_T3_PNS14_IS19_E10value_typeET4_jRbjT5_S1F_jjP12ihipStream_tbEUljE_ZNSN_ISO_Lb0ESR_SS_SU_SV_SZ_EES10_S11_S12_S13_S17_S18_S19_S1C_S1D_jS1E_jS1F_S1F_jjS1H_bEUljE0_EEES10_S11_S12_S19_S1D_S1F_T6_T7_T9_mT8_S1H_bDpT10_ENKUlT_T0_E_clISt17integral_constantIbLb0EES1V_EEDaS1Q_S1R_EUlS1Q_E_NS1_11comp_targetILNS1_3genE2ELNS1_11target_archE906ELNS1_3gpuE6ELNS1_3repE0EEENS1_30default_config_static_selectorELNS0_4arch9wavefront6targetE0EEEvS13_
; %bb.0:
	.section	.rodata,"a",@progbits
	.p2align	6, 0x0
	.amdhsa_kernel _ZN7rocprim17ROCPRIM_400000_NS6detail17trampoline_kernelINS0_13select_configILj256ELj13ELNS0_17block_load_methodE3ELS4_3ELS4_3ELNS0_20block_scan_algorithmE0ELj4294967295EEENS1_25partition_config_selectorILNS1_17partition_subalgoE4EjNS0_10empty_typeEbEEZZNS1_14partition_implILS8_4ELb0ES6_15HIP_vector_typeIjLj2EENS0_17counting_iteratorIjlEEPS9_SG_NS0_5tupleIJPjSI_NS0_16reverse_iteratorISI_EEEEENSH_IJSG_SG_SG_EEES9_SI_JZNS1_25segmented_radix_sort_implINS0_14default_configELb0EPK6__halfPSP_PKlPlN2at6native12_GLOBAL__N_18offset_tEEE10hipError_tPvRmT1_PNSt15iterator_traitsIS13_E10value_typeET2_T3_PNS14_IS19_E10value_typeET4_jRbjT5_S1F_jjP12ihipStream_tbEUljE_ZNSN_ISO_Lb0ESR_SS_SU_SV_SZ_EES10_S11_S12_S13_S17_S18_S19_S1C_S1D_jS1E_jS1F_S1F_jjS1H_bEUljE0_EEES10_S11_S12_S19_S1D_S1F_T6_T7_T9_mT8_S1H_bDpT10_ENKUlT_T0_E_clISt17integral_constantIbLb0EES1V_EEDaS1Q_S1R_EUlS1Q_E_NS1_11comp_targetILNS1_3genE2ELNS1_11target_archE906ELNS1_3gpuE6ELNS1_3repE0EEENS1_30default_config_static_selectorELNS0_4arch9wavefront6targetE0EEEvS13_
		.amdhsa_group_segment_fixed_size 0
		.amdhsa_private_segment_fixed_size 0
		.amdhsa_kernarg_size 176
		.amdhsa_user_sgpr_count 2
		.amdhsa_user_sgpr_dispatch_ptr 0
		.amdhsa_user_sgpr_queue_ptr 0
		.amdhsa_user_sgpr_kernarg_segment_ptr 1
		.amdhsa_user_sgpr_dispatch_id 0
		.amdhsa_user_sgpr_kernarg_preload_length 0
		.amdhsa_user_sgpr_kernarg_preload_offset 0
		.amdhsa_user_sgpr_private_segment_size 0
		.amdhsa_wavefront_size32 1
		.amdhsa_uses_dynamic_stack 0
		.amdhsa_enable_private_segment 0
		.amdhsa_system_sgpr_workgroup_id_x 1
		.amdhsa_system_sgpr_workgroup_id_y 0
		.amdhsa_system_sgpr_workgroup_id_z 0
		.amdhsa_system_sgpr_workgroup_info 0
		.amdhsa_system_vgpr_workitem_id 0
		.amdhsa_next_free_vgpr 1
		.amdhsa_next_free_sgpr 1
		.amdhsa_named_barrier_count 0
		.amdhsa_reserve_vcc 0
		.amdhsa_float_round_mode_32 0
		.amdhsa_float_round_mode_16_64 0
		.amdhsa_float_denorm_mode_32 3
		.amdhsa_float_denorm_mode_16_64 3
		.amdhsa_fp16_overflow 0
		.amdhsa_memory_ordered 1
		.amdhsa_forward_progress 1
		.amdhsa_inst_pref_size 0
		.amdhsa_round_robin_scheduling 0
		.amdhsa_exception_fp_ieee_invalid_op 0
		.amdhsa_exception_fp_denorm_src 0
		.amdhsa_exception_fp_ieee_div_zero 0
		.amdhsa_exception_fp_ieee_overflow 0
		.amdhsa_exception_fp_ieee_underflow 0
		.amdhsa_exception_fp_ieee_inexact 0
		.amdhsa_exception_int_div_zero 0
	.end_amdhsa_kernel
	.section	.text._ZN7rocprim17ROCPRIM_400000_NS6detail17trampoline_kernelINS0_13select_configILj256ELj13ELNS0_17block_load_methodE3ELS4_3ELS4_3ELNS0_20block_scan_algorithmE0ELj4294967295EEENS1_25partition_config_selectorILNS1_17partition_subalgoE4EjNS0_10empty_typeEbEEZZNS1_14partition_implILS8_4ELb0ES6_15HIP_vector_typeIjLj2EENS0_17counting_iteratorIjlEEPS9_SG_NS0_5tupleIJPjSI_NS0_16reverse_iteratorISI_EEEEENSH_IJSG_SG_SG_EEES9_SI_JZNS1_25segmented_radix_sort_implINS0_14default_configELb0EPK6__halfPSP_PKlPlN2at6native12_GLOBAL__N_18offset_tEEE10hipError_tPvRmT1_PNSt15iterator_traitsIS13_E10value_typeET2_T3_PNS14_IS19_E10value_typeET4_jRbjT5_S1F_jjP12ihipStream_tbEUljE_ZNSN_ISO_Lb0ESR_SS_SU_SV_SZ_EES10_S11_S12_S13_S17_S18_S19_S1C_S1D_jS1E_jS1F_S1F_jjS1H_bEUljE0_EEES10_S11_S12_S19_S1D_S1F_T6_T7_T9_mT8_S1H_bDpT10_ENKUlT_T0_E_clISt17integral_constantIbLb0EES1V_EEDaS1Q_S1R_EUlS1Q_E_NS1_11comp_targetILNS1_3genE2ELNS1_11target_archE906ELNS1_3gpuE6ELNS1_3repE0EEENS1_30default_config_static_selectorELNS0_4arch9wavefront6targetE0EEEvS13_,"axG",@progbits,_ZN7rocprim17ROCPRIM_400000_NS6detail17trampoline_kernelINS0_13select_configILj256ELj13ELNS0_17block_load_methodE3ELS4_3ELS4_3ELNS0_20block_scan_algorithmE0ELj4294967295EEENS1_25partition_config_selectorILNS1_17partition_subalgoE4EjNS0_10empty_typeEbEEZZNS1_14partition_implILS8_4ELb0ES6_15HIP_vector_typeIjLj2EENS0_17counting_iteratorIjlEEPS9_SG_NS0_5tupleIJPjSI_NS0_16reverse_iteratorISI_EEEEENSH_IJSG_SG_SG_EEES9_SI_JZNS1_25segmented_radix_sort_implINS0_14default_configELb0EPK6__halfPSP_PKlPlN2at6native12_GLOBAL__N_18offset_tEEE10hipError_tPvRmT1_PNSt15iterator_traitsIS13_E10value_typeET2_T3_PNS14_IS19_E10value_typeET4_jRbjT5_S1F_jjP12ihipStream_tbEUljE_ZNSN_ISO_Lb0ESR_SS_SU_SV_SZ_EES10_S11_S12_S13_S17_S18_S19_S1C_S1D_jS1E_jS1F_S1F_jjS1H_bEUljE0_EEES10_S11_S12_S19_S1D_S1F_T6_T7_T9_mT8_S1H_bDpT10_ENKUlT_T0_E_clISt17integral_constantIbLb0EES1V_EEDaS1Q_S1R_EUlS1Q_E_NS1_11comp_targetILNS1_3genE2ELNS1_11target_archE906ELNS1_3gpuE6ELNS1_3repE0EEENS1_30default_config_static_selectorELNS0_4arch9wavefront6targetE0EEEvS13_,comdat
.Lfunc_end1772:
	.size	_ZN7rocprim17ROCPRIM_400000_NS6detail17trampoline_kernelINS0_13select_configILj256ELj13ELNS0_17block_load_methodE3ELS4_3ELS4_3ELNS0_20block_scan_algorithmE0ELj4294967295EEENS1_25partition_config_selectorILNS1_17partition_subalgoE4EjNS0_10empty_typeEbEEZZNS1_14partition_implILS8_4ELb0ES6_15HIP_vector_typeIjLj2EENS0_17counting_iteratorIjlEEPS9_SG_NS0_5tupleIJPjSI_NS0_16reverse_iteratorISI_EEEEENSH_IJSG_SG_SG_EEES9_SI_JZNS1_25segmented_radix_sort_implINS0_14default_configELb0EPK6__halfPSP_PKlPlN2at6native12_GLOBAL__N_18offset_tEEE10hipError_tPvRmT1_PNSt15iterator_traitsIS13_E10value_typeET2_T3_PNS14_IS19_E10value_typeET4_jRbjT5_S1F_jjP12ihipStream_tbEUljE_ZNSN_ISO_Lb0ESR_SS_SU_SV_SZ_EES10_S11_S12_S13_S17_S18_S19_S1C_S1D_jS1E_jS1F_S1F_jjS1H_bEUljE0_EEES10_S11_S12_S19_S1D_S1F_T6_T7_T9_mT8_S1H_bDpT10_ENKUlT_T0_E_clISt17integral_constantIbLb0EES1V_EEDaS1Q_S1R_EUlS1Q_E_NS1_11comp_targetILNS1_3genE2ELNS1_11target_archE906ELNS1_3gpuE6ELNS1_3repE0EEENS1_30default_config_static_selectorELNS0_4arch9wavefront6targetE0EEEvS13_, .Lfunc_end1772-_ZN7rocprim17ROCPRIM_400000_NS6detail17trampoline_kernelINS0_13select_configILj256ELj13ELNS0_17block_load_methodE3ELS4_3ELS4_3ELNS0_20block_scan_algorithmE0ELj4294967295EEENS1_25partition_config_selectorILNS1_17partition_subalgoE4EjNS0_10empty_typeEbEEZZNS1_14partition_implILS8_4ELb0ES6_15HIP_vector_typeIjLj2EENS0_17counting_iteratorIjlEEPS9_SG_NS0_5tupleIJPjSI_NS0_16reverse_iteratorISI_EEEEENSH_IJSG_SG_SG_EEES9_SI_JZNS1_25segmented_radix_sort_implINS0_14default_configELb0EPK6__halfPSP_PKlPlN2at6native12_GLOBAL__N_18offset_tEEE10hipError_tPvRmT1_PNSt15iterator_traitsIS13_E10value_typeET2_T3_PNS14_IS19_E10value_typeET4_jRbjT5_S1F_jjP12ihipStream_tbEUljE_ZNSN_ISO_Lb0ESR_SS_SU_SV_SZ_EES10_S11_S12_S13_S17_S18_S19_S1C_S1D_jS1E_jS1F_S1F_jjS1H_bEUljE0_EEES10_S11_S12_S19_S1D_S1F_T6_T7_T9_mT8_S1H_bDpT10_ENKUlT_T0_E_clISt17integral_constantIbLb0EES1V_EEDaS1Q_S1R_EUlS1Q_E_NS1_11comp_targetILNS1_3genE2ELNS1_11target_archE906ELNS1_3gpuE6ELNS1_3repE0EEENS1_30default_config_static_selectorELNS0_4arch9wavefront6targetE0EEEvS13_
                                        ; -- End function
	.set _ZN7rocprim17ROCPRIM_400000_NS6detail17trampoline_kernelINS0_13select_configILj256ELj13ELNS0_17block_load_methodE3ELS4_3ELS4_3ELNS0_20block_scan_algorithmE0ELj4294967295EEENS1_25partition_config_selectorILNS1_17partition_subalgoE4EjNS0_10empty_typeEbEEZZNS1_14partition_implILS8_4ELb0ES6_15HIP_vector_typeIjLj2EENS0_17counting_iteratorIjlEEPS9_SG_NS0_5tupleIJPjSI_NS0_16reverse_iteratorISI_EEEEENSH_IJSG_SG_SG_EEES9_SI_JZNS1_25segmented_radix_sort_implINS0_14default_configELb0EPK6__halfPSP_PKlPlN2at6native12_GLOBAL__N_18offset_tEEE10hipError_tPvRmT1_PNSt15iterator_traitsIS13_E10value_typeET2_T3_PNS14_IS19_E10value_typeET4_jRbjT5_S1F_jjP12ihipStream_tbEUljE_ZNSN_ISO_Lb0ESR_SS_SU_SV_SZ_EES10_S11_S12_S13_S17_S18_S19_S1C_S1D_jS1E_jS1F_S1F_jjS1H_bEUljE0_EEES10_S11_S12_S19_S1D_S1F_T6_T7_T9_mT8_S1H_bDpT10_ENKUlT_T0_E_clISt17integral_constantIbLb0EES1V_EEDaS1Q_S1R_EUlS1Q_E_NS1_11comp_targetILNS1_3genE2ELNS1_11target_archE906ELNS1_3gpuE6ELNS1_3repE0EEENS1_30default_config_static_selectorELNS0_4arch9wavefront6targetE0EEEvS13_.num_vgpr, 0
	.set _ZN7rocprim17ROCPRIM_400000_NS6detail17trampoline_kernelINS0_13select_configILj256ELj13ELNS0_17block_load_methodE3ELS4_3ELS4_3ELNS0_20block_scan_algorithmE0ELj4294967295EEENS1_25partition_config_selectorILNS1_17partition_subalgoE4EjNS0_10empty_typeEbEEZZNS1_14partition_implILS8_4ELb0ES6_15HIP_vector_typeIjLj2EENS0_17counting_iteratorIjlEEPS9_SG_NS0_5tupleIJPjSI_NS0_16reverse_iteratorISI_EEEEENSH_IJSG_SG_SG_EEES9_SI_JZNS1_25segmented_radix_sort_implINS0_14default_configELb0EPK6__halfPSP_PKlPlN2at6native12_GLOBAL__N_18offset_tEEE10hipError_tPvRmT1_PNSt15iterator_traitsIS13_E10value_typeET2_T3_PNS14_IS19_E10value_typeET4_jRbjT5_S1F_jjP12ihipStream_tbEUljE_ZNSN_ISO_Lb0ESR_SS_SU_SV_SZ_EES10_S11_S12_S13_S17_S18_S19_S1C_S1D_jS1E_jS1F_S1F_jjS1H_bEUljE0_EEES10_S11_S12_S19_S1D_S1F_T6_T7_T9_mT8_S1H_bDpT10_ENKUlT_T0_E_clISt17integral_constantIbLb0EES1V_EEDaS1Q_S1R_EUlS1Q_E_NS1_11comp_targetILNS1_3genE2ELNS1_11target_archE906ELNS1_3gpuE6ELNS1_3repE0EEENS1_30default_config_static_selectorELNS0_4arch9wavefront6targetE0EEEvS13_.num_agpr, 0
	.set _ZN7rocprim17ROCPRIM_400000_NS6detail17trampoline_kernelINS0_13select_configILj256ELj13ELNS0_17block_load_methodE3ELS4_3ELS4_3ELNS0_20block_scan_algorithmE0ELj4294967295EEENS1_25partition_config_selectorILNS1_17partition_subalgoE4EjNS0_10empty_typeEbEEZZNS1_14partition_implILS8_4ELb0ES6_15HIP_vector_typeIjLj2EENS0_17counting_iteratorIjlEEPS9_SG_NS0_5tupleIJPjSI_NS0_16reverse_iteratorISI_EEEEENSH_IJSG_SG_SG_EEES9_SI_JZNS1_25segmented_radix_sort_implINS0_14default_configELb0EPK6__halfPSP_PKlPlN2at6native12_GLOBAL__N_18offset_tEEE10hipError_tPvRmT1_PNSt15iterator_traitsIS13_E10value_typeET2_T3_PNS14_IS19_E10value_typeET4_jRbjT5_S1F_jjP12ihipStream_tbEUljE_ZNSN_ISO_Lb0ESR_SS_SU_SV_SZ_EES10_S11_S12_S13_S17_S18_S19_S1C_S1D_jS1E_jS1F_S1F_jjS1H_bEUljE0_EEES10_S11_S12_S19_S1D_S1F_T6_T7_T9_mT8_S1H_bDpT10_ENKUlT_T0_E_clISt17integral_constantIbLb0EES1V_EEDaS1Q_S1R_EUlS1Q_E_NS1_11comp_targetILNS1_3genE2ELNS1_11target_archE906ELNS1_3gpuE6ELNS1_3repE0EEENS1_30default_config_static_selectorELNS0_4arch9wavefront6targetE0EEEvS13_.numbered_sgpr, 0
	.set _ZN7rocprim17ROCPRIM_400000_NS6detail17trampoline_kernelINS0_13select_configILj256ELj13ELNS0_17block_load_methodE3ELS4_3ELS4_3ELNS0_20block_scan_algorithmE0ELj4294967295EEENS1_25partition_config_selectorILNS1_17partition_subalgoE4EjNS0_10empty_typeEbEEZZNS1_14partition_implILS8_4ELb0ES6_15HIP_vector_typeIjLj2EENS0_17counting_iteratorIjlEEPS9_SG_NS0_5tupleIJPjSI_NS0_16reverse_iteratorISI_EEEEENSH_IJSG_SG_SG_EEES9_SI_JZNS1_25segmented_radix_sort_implINS0_14default_configELb0EPK6__halfPSP_PKlPlN2at6native12_GLOBAL__N_18offset_tEEE10hipError_tPvRmT1_PNSt15iterator_traitsIS13_E10value_typeET2_T3_PNS14_IS19_E10value_typeET4_jRbjT5_S1F_jjP12ihipStream_tbEUljE_ZNSN_ISO_Lb0ESR_SS_SU_SV_SZ_EES10_S11_S12_S13_S17_S18_S19_S1C_S1D_jS1E_jS1F_S1F_jjS1H_bEUljE0_EEES10_S11_S12_S19_S1D_S1F_T6_T7_T9_mT8_S1H_bDpT10_ENKUlT_T0_E_clISt17integral_constantIbLb0EES1V_EEDaS1Q_S1R_EUlS1Q_E_NS1_11comp_targetILNS1_3genE2ELNS1_11target_archE906ELNS1_3gpuE6ELNS1_3repE0EEENS1_30default_config_static_selectorELNS0_4arch9wavefront6targetE0EEEvS13_.num_named_barrier, 0
	.set _ZN7rocprim17ROCPRIM_400000_NS6detail17trampoline_kernelINS0_13select_configILj256ELj13ELNS0_17block_load_methodE3ELS4_3ELS4_3ELNS0_20block_scan_algorithmE0ELj4294967295EEENS1_25partition_config_selectorILNS1_17partition_subalgoE4EjNS0_10empty_typeEbEEZZNS1_14partition_implILS8_4ELb0ES6_15HIP_vector_typeIjLj2EENS0_17counting_iteratorIjlEEPS9_SG_NS0_5tupleIJPjSI_NS0_16reverse_iteratorISI_EEEEENSH_IJSG_SG_SG_EEES9_SI_JZNS1_25segmented_radix_sort_implINS0_14default_configELb0EPK6__halfPSP_PKlPlN2at6native12_GLOBAL__N_18offset_tEEE10hipError_tPvRmT1_PNSt15iterator_traitsIS13_E10value_typeET2_T3_PNS14_IS19_E10value_typeET4_jRbjT5_S1F_jjP12ihipStream_tbEUljE_ZNSN_ISO_Lb0ESR_SS_SU_SV_SZ_EES10_S11_S12_S13_S17_S18_S19_S1C_S1D_jS1E_jS1F_S1F_jjS1H_bEUljE0_EEES10_S11_S12_S19_S1D_S1F_T6_T7_T9_mT8_S1H_bDpT10_ENKUlT_T0_E_clISt17integral_constantIbLb0EES1V_EEDaS1Q_S1R_EUlS1Q_E_NS1_11comp_targetILNS1_3genE2ELNS1_11target_archE906ELNS1_3gpuE6ELNS1_3repE0EEENS1_30default_config_static_selectorELNS0_4arch9wavefront6targetE0EEEvS13_.private_seg_size, 0
	.set _ZN7rocprim17ROCPRIM_400000_NS6detail17trampoline_kernelINS0_13select_configILj256ELj13ELNS0_17block_load_methodE3ELS4_3ELS4_3ELNS0_20block_scan_algorithmE0ELj4294967295EEENS1_25partition_config_selectorILNS1_17partition_subalgoE4EjNS0_10empty_typeEbEEZZNS1_14partition_implILS8_4ELb0ES6_15HIP_vector_typeIjLj2EENS0_17counting_iteratorIjlEEPS9_SG_NS0_5tupleIJPjSI_NS0_16reverse_iteratorISI_EEEEENSH_IJSG_SG_SG_EEES9_SI_JZNS1_25segmented_radix_sort_implINS0_14default_configELb0EPK6__halfPSP_PKlPlN2at6native12_GLOBAL__N_18offset_tEEE10hipError_tPvRmT1_PNSt15iterator_traitsIS13_E10value_typeET2_T3_PNS14_IS19_E10value_typeET4_jRbjT5_S1F_jjP12ihipStream_tbEUljE_ZNSN_ISO_Lb0ESR_SS_SU_SV_SZ_EES10_S11_S12_S13_S17_S18_S19_S1C_S1D_jS1E_jS1F_S1F_jjS1H_bEUljE0_EEES10_S11_S12_S19_S1D_S1F_T6_T7_T9_mT8_S1H_bDpT10_ENKUlT_T0_E_clISt17integral_constantIbLb0EES1V_EEDaS1Q_S1R_EUlS1Q_E_NS1_11comp_targetILNS1_3genE2ELNS1_11target_archE906ELNS1_3gpuE6ELNS1_3repE0EEENS1_30default_config_static_selectorELNS0_4arch9wavefront6targetE0EEEvS13_.uses_vcc, 0
	.set _ZN7rocprim17ROCPRIM_400000_NS6detail17trampoline_kernelINS0_13select_configILj256ELj13ELNS0_17block_load_methodE3ELS4_3ELS4_3ELNS0_20block_scan_algorithmE0ELj4294967295EEENS1_25partition_config_selectorILNS1_17partition_subalgoE4EjNS0_10empty_typeEbEEZZNS1_14partition_implILS8_4ELb0ES6_15HIP_vector_typeIjLj2EENS0_17counting_iteratorIjlEEPS9_SG_NS0_5tupleIJPjSI_NS0_16reverse_iteratorISI_EEEEENSH_IJSG_SG_SG_EEES9_SI_JZNS1_25segmented_radix_sort_implINS0_14default_configELb0EPK6__halfPSP_PKlPlN2at6native12_GLOBAL__N_18offset_tEEE10hipError_tPvRmT1_PNSt15iterator_traitsIS13_E10value_typeET2_T3_PNS14_IS19_E10value_typeET4_jRbjT5_S1F_jjP12ihipStream_tbEUljE_ZNSN_ISO_Lb0ESR_SS_SU_SV_SZ_EES10_S11_S12_S13_S17_S18_S19_S1C_S1D_jS1E_jS1F_S1F_jjS1H_bEUljE0_EEES10_S11_S12_S19_S1D_S1F_T6_T7_T9_mT8_S1H_bDpT10_ENKUlT_T0_E_clISt17integral_constantIbLb0EES1V_EEDaS1Q_S1R_EUlS1Q_E_NS1_11comp_targetILNS1_3genE2ELNS1_11target_archE906ELNS1_3gpuE6ELNS1_3repE0EEENS1_30default_config_static_selectorELNS0_4arch9wavefront6targetE0EEEvS13_.uses_flat_scratch, 0
	.set _ZN7rocprim17ROCPRIM_400000_NS6detail17trampoline_kernelINS0_13select_configILj256ELj13ELNS0_17block_load_methodE3ELS4_3ELS4_3ELNS0_20block_scan_algorithmE0ELj4294967295EEENS1_25partition_config_selectorILNS1_17partition_subalgoE4EjNS0_10empty_typeEbEEZZNS1_14partition_implILS8_4ELb0ES6_15HIP_vector_typeIjLj2EENS0_17counting_iteratorIjlEEPS9_SG_NS0_5tupleIJPjSI_NS0_16reverse_iteratorISI_EEEEENSH_IJSG_SG_SG_EEES9_SI_JZNS1_25segmented_radix_sort_implINS0_14default_configELb0EPK6__halfPSP_PKlPlN2at6native12_GLOBAL__N_18offset_tEEE10hipError_tPvRmT1_PNSt15iterator_traitsIS13_E10value_typeET2_T3_PNS14_IS19_E10value_typeET4_jRbjT5_S1F_jjP12ihipStream_tbEUljE_ZNSN_ISO_Lb0ESR_SS_SU_SV_SZ_EES10_S11_S12_S13_S17_S18_S19_S1C_S1D_jS1E_jS1F_S1F_jjS1H_bEUljE0_EEES10_S11_S12_S19_S1D_S1F_T6_T7_T9_mT8_S1H_bDpT10_ENKUlT_T0_E_clISt17integral_constantIbLb0EES1V_EEDaS1Q_S1R_EUlS1Q_E_NS1_11comp_targetILNS1_3genE2ELNS1_11target_archE906ELNS1_3gpuE6ELNS1_3repE0EEENS1_30default_config_static_selectorELNS0_4arch9wavefront6targetE0EEEvS13_.has_dyn_sized_stack, 0
	.set _ZN7rocprim17ROCPRIM_400000_NS6detail17trampoline_kernelINS0_13select_configILj256ELj13ELNS0_17block_load_methodE3ELS4_3ELS4_3ELNS0_20block_scan_algorithmE0ELj4294967295EEENS1_25partition_config_selectorILNS1_17partition_subalgoE4EjNS0_10empty_typeEbEEZZNS1_14partition_implILS8_4ELb0ES6_15HIP_vector_typeIjLj2EENS0_17counting_iteratorIjlEEPS9_SG_NS0_5tupleIJPjSI_NS0_16reverse_iteratorISI_EEEEENSH_IJSG_SG_SG_EEES9_SI_JZNS1_25segmented_radix_sort_implINS0_14default_configELb0EPK6__halfPSP_PKlPlN2at6native12_GLOBAL__N_18offset_tEEE10hipError_tPvRmT1_PNSt15iterator_traitsIS13_E10value_typeET2_T3_PNS14_IS19_E10value_typeET4_jRbjT5_S1F_jjP12ihipStream_tbEUljE_ZNSN_ISO_Lb0ESR_SS_SU_SV_SZ_EES10_S11_S12_S13_S17_S18_S19_S1C_S1D_jS1E_jS1F_S1F_jjS1H_bEUljE0_EEES10_S11_S12_S19_S1D_S1F_T6_T7_T9_mT8_S1H_bDpT10_ENKUlT_T0_E_clISt17integral_constantIbLb0EES1V_EEDaS1Q_S1R_EUlS1Q_E_NS1_11comp_targetILNS1_3genE2ELNS1_11target_archE906ELNS1_3gpuE6ELNS1_3repE0EEENS1_30default_config_static_selectorELNS0_4arch9wavefront6targetE0EEEvS13_.has_recursion, 0
	.set _ZN7rocprim17ROCPRIM_400000_NS6detail17trampoline_kernelINS0_13select_configILj256ELj13ELNS0_17block_load_methodE3ELS4_3ELS4_3ELNS0_20block_scan_algorithmE0ELj4294967295EEENS1_25partition_config_selectorILNS1_17partition_subalgoE4EjNS0_10empty_typeEbEEZZNS1_14partition_implILS8_4ELb0ES6_15HIP_vector_typeIjLj2EENS0_17counting_iteratorIjlEEPS9_SG_NS0_5tupleIJPjSI_NS0_16reverse_iteratorISI_EEEEENSH_IJSG_SG_SG_EEES9_SI_JZNS1_25segmented_radix_sort_implINS0_14default_configELb0EPK6__halfPSP_PKlPlN2at6native12_GLOBAL__N_18offset_tEEE10hipError_tPvRmT1_PNSt15iterator_traitsIS13_E10value_typeET2_T3_PNS14_IS19_E10value_typeET4_jRbjT5_S1F_jjP12ihipStream_tbEUljE_ZNSN_ISO_Lb0ESR_SS_SU_SV_SZ_EES10_S11_S12_S13_S17_S18_S19_S1C_S1D_jS1E_jS1F_S1F_jjS1H_bEUljE0_EEES10_S11_S12_S19_S1D_S1F_T6_T7_T9_mT8_S1H_bDpT10_ENKUlT_T0_E_clISt17integral_constantIbLb0EES1V_EEDaS1Q_S1R_EUlS1Q_E_NS1_11comp_targetILNS1_3genE2ELNS1_11target_archE906ELNS1_3gpuE6ELNS1_3repE0EEENS1_30default_config_static_selectorELNS0_4arch9wavefront6targetE0EEEvS13_.has_indirect_call, 0
	.section	.AMDGPU.csdata,"",@progbits
; Kernel info:
; codeLenInByte = 0
; TotalNumSgprs: 0
; NumVgprs: 0
; ScratchSize: 0
; MemoryBound: 0
; FloatMode: 240
; IeeeMode: 1
; LDSByteSize: 0 bytes/workgroup (compile time only)
; SGPRBlocks: 0
; VGPRBlocks: 0
; NumSGPRsForWavesPerEU: 1
; NumVGPRsForWavesPerEU: 1
; NamedBarCnt: 0
; Occupancy: 16
; WaveLimiterHint : 0
; COMPUTE_PGM_RSRC2:SCRATCH_EN: 0
; COMPUTE_PGM_RSRC2:USER_SGPR: 2
; COMPUTE_PGM_RSRC2:TRAP_HANDLER: 0
; COMPUTE_PGM_RSRC2:TGID_X_EN: 1
; COMPUTE_PGM_RSRC2:TGID_Y_EN: 0
; COMPUTE_PGM_RSRC2:TGID_Z_EN: 0
; COMPUTE_PGM_RSRC2:TIDIG_COMP_CNT: 0
	.section	.text._ZN7rocprim17ROCPRIM_400000_NS6detail17trampoline_kernelINS0_13select_configILj256ELj13ELNS0_17block_load_methodE3ELS4_3ELS4_3ELNS0_20block_scan_algorithmE0ELj4294967295EEENS1_25partition_config_selectorILNS1_17partition_subalgoE4EjNS0_10empty_typeEbEEZZNS1_14partition_implILS8_4ELb0ES6_15HIP_vector_typeIjLj2EENS0_17counting_iteratorIjlEEPS9_SG_NS0_5tupleIJPjSI_NS0_16reverse_iteratorISI_EEEEENSH_IJSG_SG_SG_EEES9_SI_JZNS1_25segmented_radix_sort_implINS0_14default_configELb0EPK6__halfPSP_PKlPlN2at6native12_GLOBAL__N_18offset_tEEE10hipError_tPvRmT1_PNSt15iterator_traitsIS13_E10value_typeET2_T3_PNS14_IS19_E10value_typeET4_jRbjT5_S1F_jjP12ihipStream_tbEUljE_ZNSN_ISO_Lb0ESR_SS_SU_SV_SZ_EES10_S11_S12_S13_S17_S18_S19_S1C_S1D_jS1E_jS1F_S1F_jjS1H_bEUljE0_EEES10_S11_S12_S19_S1D_S1F_T6_T7_T9_mT8_S1H_bDpT10_ENKUlT_T0_E_clISt17integral_constantIbLb0EES1V_EEDaS1Q_S1R_EUlS1Q_E_NS1_11comp_targetILNS1_3genE10ELNS1_11target_archE1200ELNS1_3gpuE4ELNS1_3repE0EEENS1_30default_config_static_selectorELNS0_4arch9wavefront6targetE0EEEvS13_,"axG",@progbits,_ZN7rocprim17ROCPRIM_400000_NS6detail17trampoline_kernelINS0_13select_configILj256ELj13ELNS0_17block_load_methodE3ELS4_3ELS4_3ELNS0_20block_scan_algorithmE0ELj4294967295EEENS1_25partition_config_selectorILNS1_17partition_subalgoE4EjNS0_10empty_typeEbEEZZNS1_14partition_implILS8_4ELb0ES6_15HIP_vector_typeIjLj2EENS0_17counting_iteratorIjlEEPS9_SG_NS0_5tupleIJPjSI_NS0_16reverse_iteratorISI_EEEEENSH_IJSG_SG_SG_EEES9_SI_JZNS1_25segmented_radix_sort_implINS0_14default_configELb0EPK6__halfPSP_PKlPlN2at6native12_GLOBAL__N_18offset_tEEE10hipError_tPvRmT1_PNSt15iterator_traitsIS13_E10value_typeET2_T3_PNS14_IS19_E10value_typeET4_jRbjT5_S1F_jjP12ihipStream_tbEUljE_ZNSN_ISO_Lb0ESR_SS_SU_SV_SZ_EES10_S11_S12_S13_S17_S18_S19_S1C_S1D_jS1E_jS1F_S1F_jjS1H_bEUljE0_EEES10_S11_S12_S19_S1D_S1F_T6_T7_T9_mT8_S1H_bDpT10_ENKUlT_T0_E_clISt17integral_constantIbLb0EES1V_EEDaS1Q_S1R_EUlS1Q_E_NS1_11comp_targetILNS1_3genE10ELNS1_11target_archE1200ELNS1_3gpuE4ELNS1_3repE0EEENS1_30default_config_static_selectorELNS0_4arch9wavefront6targetE0EEEvS13_,comdat
	.globl	_ZN7rocprim17ROCPRIM_400000_NS6detail17trampoline_kernelINS0_13select_configILj256ELj13ELNS0_17block_load_methodE3ELS4_3ELS4_3ELNS0_20block_scan_algorithmE0ELj4294967295EEENS1_25partition_config_selectorILNS1_17partition_subalgoE4EjNS0_10empty_typeEbEEZZNS1_14partition_implILS8_4ELb0ES6_15HIP_vector_typeIjLj2EENS0_17counting_iteratorIjlEEPS9_SG_NS0_5tupleIJPjSI_NS0_16reverse_iteratorISI_EEEEENSH_IJSG_SG_SG_EEES9_SI_JZNS1_25segmented_radix_sort_implINS0_14default_configELb0EPK6__halfPSP_PKlPlN2at6native12_GLOBAL__N_18offset_tEEE10hipError_tPvRmT1_PNSt15iterator_traitsIS13_E10value_typeET2_T3_PNS14_IS19_E10value_typeET4_jRbjT5_S1F_jjP12ihipStream_tbEUljE_ZNSN_ISO_Lb0ESR_SS_SU_SV_SZ_EES10_S11_S12_S13_S17_S18_S19_S1C_S1D_jS1E_jS1F_S1F_jjS1H_bEUljE0_EEES10_S11_S12_S19_S1D_S1F_T6_T7_T9_mT8_S1H_bDpT10_ENKUlT_T0_E_clISt17integral_constantIbLb0EES1V_EEDaS1Q_S1R_EUlS1Q_E_NS1_11comp_targetILNS1_3genE10ELNS1_11target_archE1200ELNS1_3gpuE4ELNS1_3repE0EEENS1_30default_config_static_selectorELNS0_4arch9wavefront6targetE0EEEvS13_ ; -- Begin function _ZN7rocprim17ROCPRIM_400000_NS6detail17trampoline_kernelINS0_13select_configILj256ELj13ELNS0_17block_load_methodE3ELS4_3ELS4_3ELNS0_20block_scan_algorithmE0ELj4294967295EEENS1_25partition_config_selectorILNS1_17partition_subalgoE4EjNS0_10empty_typeEbEEZZNS1_14partition_implILS8_4ELb0ES6_15HIP_vector_typeIjLj2EENS0_17counting_iteratorIjlEEPS9_SG_NS0_5tupleIJPjSI_NS0_16reverse_iteratorISI_EEEEENSH_IJSG_SG_SG_EEES9_SI_JZNS1_25segmented_radix_sort_implINS0_14default_configELb0EPK6__halfPSP_PKlPlN2at6native12_GLOBAL__N_18offset_tEEE10hipError_tPvRmT1_PNSt15iterator_traitsIS13_E10value_typeET2_T3_PNS14_IS19_E10value_typeET4_jRbjT5_S1F_jjP12ihipStream_tbEUljE_ZNSN_ISO_Lb0ESR_SS_SU_SV_SZ_EES10_S11_S12_S13_S17_S18_S19_S1C_S1D_jS1E_jS1F_S1F_jjS1H_bEUljE0_EEES10_S11_S12_S19_S1D_S1F_T6_T7_T9_mT8_S1H_bDpT10_ENKUlT_T0_E_clISt17integral_constantIbLb0EES1V_EEDaS1Q_S1R_EUlS1Q_E_NS1_11comp_targetILNS1_3genE10ELNS1_11target_archE1200ELNS1_3gpuE4ELNS1_3repE0EEENS1_30default_config_static_selectorELNS0_4arch9wavefront6targetE0EEEvS13_
	.p2align	8
	.type	_ZN7rocprim17ROCPRIM_400000_NS6detail17trampoline_kernelINS0_13select_configILj256ELj13ELNS0_17block_load_methodE3ELS4_3ELS4_3ELNS0_20block_scan_algorithmE0ELj4294967295EEENS1_25partition_config_selectorILNS1_17partition_subalgoE4EjNS0_10empty_typeEbEEZZNS1_14partition_implILS8_4ELb0ES6_15HIP_vector_typeIjLj2EENS0_17counting_iteratorIjlEEPS9_SG_NS0_5tupleIJPjSI_NS0_16reverse_iteratorISI_EEEEENSH_IJSG_SG_SG_EEES9_SI_JZNS1_25segmented_radix_sort_implINS0_14default_configELb0EPK6__halfPSP_PKlPlN2at6native12_GLOBAL__N_18offset_tEEE10hipError_tPvRmT1_PNSt15iterator_traitsIS13_E10value_typeET2_T3_PNS14_IS19_E10value_typeET4_jRbjT5_S1F_jjP12ihipStream_tbEUljE_ZNSN_ISO_Lb0ESR_SS_SU_SV_SZ_EES10_S11_S12_S13_S17_S18_S19_S1C_S1D_jS1E_jS1F_S1F_jjS1H_bEUljE0_EEES10_S11_S12_S19_S1D_S1F_T6_T7_T9_mT8_S1H_bDpT10_ENKUlT_T0_E_clISt17integral_constantIbLb0EES1V_EEDaS1Q_S1R_EUlS1Q_E_NS1_11comp_targetILNS1_3genE10ELNS1_11target_archE1200ELNS1_3gpuE4ELNS1_3repE0EEENS1_30default_config_static_selectorELNS0_4arch9wavefront6targetE0EEEvS13_,@function
_ZN7rocprim17ROCPRIM_400000_NS6detail17trampoline_kernelINS0_13select_configILj256ELj13ELNS0_17block_load_methodE3ELS4_3ELS4_3ELNS0_20block_scan_algorithmE0ELj4294967295EEENS1_25partition_config_selectorILNS1_17partition_subalgoE4EjNS0_10empty_typeEbEEZZNS1_14partition_implILS8_4ELb0ES6_15HIP_vector_typeIjLj2EENS0_17counting_iteratorIjlEEPS9_SG_NS0_5tupleIJPjSI_NS0_16reverse_iteratorISI_EEEEENSH_IJSG_SG_SG_EEES9_SI_JZNS1_25segmented_radix_sort_implINS0_14default_configELb0EPK6__halfPSP_PKlPlN2at6native12_GLOBAL__N_18offset_tEEE10hipError_tPvRmT1_PNSt15iterator_traitsIS13_E10value_typeET2_T3_PNS14_IS19_E10value_typeET4_jRbjT5_S1F_jjP12ihipStream_tbEUljE_ZNSN_ISO_Lb0ESR_SS_SU_SV_SZ_EES10_S11_S12_S13_S17_S18_S19_S1C_S1D_jS1E_jS1F_S1F_jjS1H_bEUljE0_EEES10_S11_S12_S19_S1D_S1F_T6_T7_T9_mT8_S1H_bDpT10_ENKUlT_T0_E_clISt17integral_constantIbLb0EES1V_EEDaS1Q_S1R_EUlS1Q_E_NS1_11comp_targetILNS1_3genE10ELNS1_11target_archE1200ELNS1_3gpuE4ELNS1_3repE0EEENS1_30default_config_static_selectorELNS0_4arch9wavefront6targetE0EEEvS13_: ; @_ZN7rocprim17ROCPRIM_400000_NS6detail17trampoline_kernelINS0_13select_configILj256ELj13ELNS0_17block_load_methodE3ELS4_3ELS4_3ELNS0_20block_scan_algorithmE0ELj4294967295EEENS1_25partition_config_selectorILNS1_17partition_subalgoE4EjNS0_10empty_typeEbEEZZNS1_14partition_implILS8_4ELb0ES6_15HIP_vector_typeIjLj2EENS0_17counting_iteratorIjlEEPS9_SG_NS0_5tupleIJPjSI_NS0_16reverse_iteratorISI_EEEEENSH_IJSG_SG_SG_EEES9_SI_JZNS1_25segmented_radix_sort_implINS0_14default_configELb0EPK6__halfPSP_PKlPlN2at6native12_GLOBAL__N_18offset_tEEE10hipError_tPvRmT1_PNSt15iterator_traitsIS13_E10value_typeET2_T3_PNS14_IS19_E10value_typeET4_jRbjT5_S1F_jjP12ihipStream_tbEUljE_ZNSN_ISO_Lb0ESR_SS_SU_SV_SZ_EES10_S11_S12_S13_S17_S18_S19_S1C_S1D_jS1E_jS1F_S1F_jjS1H_bEUljE0_EEES10_S11_S12_S19_S1D_S1F_T6_T7_T9_mT8_S1H_bDpT10_ENKUlT_T0_E_clISt17integral_constantIbLb0EES1V_EEDaS1Q_S1R_EUlS1Q_E_NS1_11comp_targetILNS1_3genE10ELNS1_11target_archE1200ELNS1_3gpuE4ELNS1_3repE0EEENS1_30default_config_static_selectorELNS0_4arch9wavefront6targetE0EEEvS13_
; %bb.0:
	.section	.rodata,"a",@progbits
	.p2align	6, 0x0
	.amdhsa_kernel _ZN7rocprim17ROCPRIM_400000_NS6detail17trampoline_kernelINS0_13select_configILj256ELj13ELNS0_17block_load_methodE3ELS4_3ELS4_3ELNS0_20block_scan_algorithmE0ELj4294967295EEENS1_25partition_config_selectorILNS1_17partition_subalgoE4EjNS0_10empty_typeEbEEZZNS1_14partition_implILS8_4ELb0ES6_15HIP_vector_typeIjLj2EENS0_17counting_iteratorIjlEEPS9_SG_NS0_5tupleIJPjSI_NS0_16reverse_iteratorISI_EEEEENSH_IJSG_SG_SG_EEES9_SI_JZNS1_25segmented_radix_sort_implINS0_14default_configELb0EPK6__halfPSP_PKlPlN2at6native12_GLOBAL__N_18offset_tEEE10hipError_tPvRmT1_PNSt15iterator_traitsIS13_E10value_typeET2_T3_PNS14_IS19_E10value_typeET4_jRbjT5_S1F_jjP12ihipStream_tbEUljE_ZNSN_ISO_Lb0ESR_SS_SU_SV_SZ_EES10_S11_S12_S13_S17_S18_S19_S1C_S1D_jS1E_jS1F_S1F_jjS1H_bEUljE0_EEES10_S11_S12_S19_S1D_S1F_T6_T7_T9_mT8_S1H_bDpT10_ENKUlT_T0_E_clISt17integral_constantIbLb0EES1V_EEDaS1Q_S1R_EUlS1Q_E_NS1_11comp_targetILNS1_3genE10ELNS1_11target_archE1200ELNS1_3gpuE4ELNS1_3repE0EEENS1_30default_config_static_selectorELNS0_4arch9wavefront6targetE0EEEvS13_
		.amdhsa_group_segment_fixed_size 0
		.amdhsa_private_segment_fixed_size 0
		.amdhsa_kernarg_size 176
		.amdhsa_user_sgpr_count 2
		.amdhsa_user_sgpr_dispatch_ptr 0
		.amdhsa_user_sgpr_queue_ptr 0
		.amdhsa_user_sgpr_kernarg_segment_ptr 1
		.amdhsa_user_sgpr_dispatch_id 0
		.amdhsa_user_sgpr_kernarg_preload_length 0
		.amdhsa_user_sgpr_kernarg_preload_offset 0
		.amdhsa_user_sgpr_private_segment_size 0
		.amdhsa_wavefront_size32 1
		.amdhsa_uses_dynamic_stack 0
		.amdhsa_enable_private_segment 0
		.amdhsa_system_sgpr_workgroup_id_x 1
		.amdhsa_system_sgpr_workgroup_id_y 0
		.amdhsa_system_sgpr_workgroup_id_z 0
		.amdhsa_system_sgpr_workgroup_info 0
		.amdhsa_system_vgpr_workitem_id 0
		.amdhsa_next_free_vgpr 1
		.amdhsa_next_free_sgpr 1
		.amdhsa_named_barrier_count 0
		.amdhsa_reserve_vcc 0
		.amdhsa_float_round_mode_32 0
		.amdhsa_float_round_mode_16_64 0
		.amdhsa_float_denorm_mode_32 3
		.amdhsa_float_denorm_mode_16_64 3
		.amdhsa_fp16_overflow 0
		.amdhsa_memory_ordered 1
		.amdhsa_forward_progress 1
		.amdhsa_inst_pref_size 0
		.amdhsa_round_robin_scheduling 0
		.amdhsa_exception_fp_ieee_invalid_op 0
		.amdhsa_exception_fp_denorm_src 0
		.amdhsa_exception_fp_ieee_div_zero 0
		.amdhsa_exception_fp_ieee_overflow 0
		.amdhsa_exception_fp_ieee_underflow 0
		.amdhsa_exception_fp_ieee_inexact 0
		.amdhsa_exception_int_div_zero 0
	.end_amdhsa_kernel
	.section	.text._ZN7rocprim17ROCPRIM_400000_NS6detail17trampoline_kernelINS0_13select_configILj256ELj13ELNS0_17block_load_methodE3ELS4_3ELS4_3ELNS0_20block_scan_algorithmE0ELj4294967295EEENS1_25partition_config_selectorILNS1_17partition_subalgoE4EjNS0_10empty_typeEbEEZZNS1_14partition_implILS8_4ELb0ES6_15HIP_vector_typeIjLj2EENS0_17counting_iteratorIjlEEPS9_SG_NS0_5tupleIJPjSI_NS0_16reverse_iteratorISI_EEEEENSH_IJSG_SG_SG_EEES9_SI_JZNS1_25segmented_radix_sort_implINS0_14default_configELb0EPK6__halfPSP_PKlPlN2at6native12_GLOBAL__N_18offset_tEEE10hipError_tPvRmT1_PNSt15iterator_traitsIS13_E10value_typeET2_T3_PNS14_IS19_E10value_typeET4_jRbjT5_S1F_jjP12ihipStream_tbEUljE_ZNSN_ISO_Lb0ESR_SS_SU_SV_SZ_EES10_S11_S12_S13_S17_S18_S19_S1C_S1D_jS1E_jS1F_S1F_jjS1H_bEUljE0_EEES10_S11_S12_S19_S1D_S1F_T6_T7_T9_mT8_S1H_bDpT10_ENKUlT_T0_E_clISt17integral_constantIbLb0EES1V_EEDaS1Q_S1R_EUlS1Q_E_NS1_11comp_targetILNS1_3genE10ELNS1_11target_archE1200ELNS1_3gpuE4ELNS1_3repE0EEENS1_30default_config_static_selectorELNS0_4arch9wavefront6targetE0EEEvS13_,"axG",@progbits,_ZN7rocprim17ROCPRIM_400000_NS6detail17trampoline_kernelINS0_13select_configILj256ELj13ELNS0_17block_load_methodE3ELS4_3ELS4_3ELNS0_20block_scan_algorithmE0ELj4294967295EEENS1_25partition_config_selectorILNS1_17partition_subalgoE4EjNS0_10empty_typeEbEEZZNS1_14partition_implILS8_4ELb0ES6_15HIP_vector_typeIjLj2EENS0_17counting_iteratorIjlEEPS9_SG_NS0_5tupleIJPjSI_NS0_16reverse_iteratorISI_EEEEENSH_IJSG_SG_SG_EEES9_SI_JZNS1_25segmented_radix_sort_implINS0_14default_configELb0EPK6__halfPSP_PKlPlN2at6native12_GLOBAL__N_18offset_tEEE10hipError_tPvRmT1_PNSt15iterator_traitsIS13_E10value_typeET2_T3_PNS14_IS19_E10value_typeET4_jRbjT5_S1F_jjP12ihipStream_tbEUljE_ZNSN_ISO_Lb0ESR_SS_SU_SV_SZ_EES10_S11_S12_S13_S17_S18_S19_S1C_S1D_jS1E_jS1F_S1F_jjS1H_bEUljE0_EEES10_S11_S12_S19_S1D_S1F_T6_T7_T9_mT8_S1H_bDpT10_ENKUlT_T0_E_clISt17integral_constantIbLb0EES1V_EEDaS1Q_S1R_EUlS1Q_E_NS1_11comp_targetILNS1_3genE10ELNS1_11target_archE1200ELNS1_3gpuE4ELNS1_3repE0EEENS1_30default_config_static_selectorELNS0_4arch9wavefront6targetE0EEEvS13_,comdat
.Lfunc_end1773:
	.size	_ZN7rocprim17ROCPRIM_400000_NS6detail17trampoline_kernelINS0_13select_configILj256ELj13ELNS0_17block_load_methodE3ELS4_3ELS4_3ELNS0_20block_scan_algorithmE0ELj4294967295EEENS1_25partition_config_selectorILNS1_17partition_subalgoE4EjNS0_10empty_typeEbEEZZNS1_14partition_implILS8_4ELb0ES6_15HIP_vector_typeIjLj2EENS0_17counting_iteratorIjlEEPS9_SG_NS0_5tupleIJPjSI_NS0_16reverse_iteratorISI_EEEEENSH_IJSG_SG_SG_EEES9_SI_JZNS1_25segmented_radix_sort_implINS0_14default_configELb0EPK6__halfPSP_PKlPlN2at6native12_GLOBAL__N_18offset_tEEE10hipError_tPvRmT1_PNSt15iterator_traitsIS13_E10value_typeET2_T3_PNS14_IS19_E10value_typeET4_jRbjT5_S1F_jjP12ihipStream_tbEUljE_ZNSN_ISO_Lb0ESR_SS_SU_SV_SZ_EES10_S11_S12_S13_S17_S18_S19_S1C_S1D_jS1E_jS1F_S1F_jjS1H_bEUljE0_EEES10_S11_S12_S19_S1D_S1F_T6_T7_T9_mT8_S1H_bDpT10_ENKUlT_T0_E_clISt17integral_constantIbLb0EES1V_EEDaS1Q_S1R_EUlS1Q_E_NS1_11comp_targetILNS1_3genE10ELNS1_11target_archE1200ELNS1_3gpuE4ELNS1_3repE0EEENS1_30default_config_static_selectorELNS0_4arch9wavefront6targetE0EEEvS13_, .Lfunc_end1773-_ZN7rocprim17ROCPRIM_400000_NS6detail17trampoline_kernelINS0_13select_configILj256ELj13ELNS0_17block_load_methodE3ELS4_3ELS4_3ELNS0_20block_scan_algorithmE0ELj4294967295EEENS1_25partition_config_selectorILNS1_17partition_subalgoE4EjNS0_10empty_typeEbEEZZNS1_14partition_implILS8_4ELb0ES6_15HIP_vector_typeIjLj2EENS0_17counting_iteratorIjlEEPS9_SG_NS0_5tupleIJPjSI_NS0_16reverse_iteratorISI_EEEEENSH_IJSG_SG_SG_EEES9_SI_JZNS1_25segmented_radix_sort_implINS0_14default_configELb0EPK6__halfPSP_PKlPlN2at6native12_GLOBAL__N_18offset_tEEE10hipError_tPvRmT1_PNSt15iterator_traitsIS13_E10value_typeET2_T3_PNS14_IS19_E10value_typeET4_jRbjT5_S1F_jjP12ihipStream_tbEUljE_ZNSN_ISO_Lb0ESR_SS_SU_SV_SZ_EES10_S11_S12_S13_S17_S18_S19_S1C_S1D_jS1E_jS1F_S1F_jjS1H_bEUljE0_EEES10_S11_S12_S19_S1D_S1F_T6_T7_T9_mT8_S1H_bDpT10_ENKUlT_T0_E_clISt17integral_constantIbLb0EES1V_EEDaS1Q_S1R_EUlS1Q_E_NS1_11comp_targetILNS1_3genE10ELNS1_11target_archE1200ELNS1_3gpuE4ELNS1_3repE0EEENS1_30default_config_static_selectorELNS0_4arch9wavefront6targetE0EEEvS13_
                                        ; -- End function
	.set _ZN7rocprim17ROCPRIM_400000_NS6detail17trampoline_kernelINS0_13select_configILj256ELj13ELNS0_17block_load_methodE3ELS4_3ELS4_3ELNS0_20block_scan_algorithmE0ELj4294967295EEENS1_25partition_config_selectorILNS1_17partition_subalgoE4EjNS0_10empty_typeEbEEZZNS1_14partition_implILS8_4ELb0ES6_15HIP_vector_typeIjLj2EENS0_17counting_iteratorIjlEEPS9_SG_NS0_5tupleIJPjSI_NS0_16reverse_iteratorISI_EEEEENSH_IJSG_SG_SG_EEES9_SI_JZNS1_25segmented_radix_sort_implINS0_14default_configELb0EPK6__halfPSP_PKlPlN2at6native12_GLOBAL__N_18offset_tEEE10hipError_tPvRmT1_PNSt15iterator_traitsIS13_E10value_typeET2_T3_PNS14_IS19_E10value_typeET4_jRbjT5_S1F_jjP12ihipStream_tbEUljE_ZNSN_ISO_Lb0ESR_SS_SU_SV_SZ_EES10_S11_S12_S13_S17_S18_S19_S1C_S1D_jS1E_jS1F_S1F_jjS1H_bEUljE0_EEES10_S11_S12_S19_S1D_S1F_T6_T7_T9_mT8_S1H_bDpT10_ENKUlT_T0_E_clISt17integral_constantIbLb0EES1V_EEDaS1Q_S1R_EUlS1Q_E_NS1_11comp_targetILNS1_3genE10ELNS1_11target_archE1200ELNS1_3gpuE4ELNS1_3repE0EEENS1_30default_config_static_selectorELNS0_4arch9wavefront6targetE0EEEvS13_.num_vgpr, 0
	.set _ZN7rocprim17ROCPRIM_400000_NS6detail17trampoline_kernelINS0_13select_configILj256ELj13ELNS0_17block_load_methodE3ELS4_3ELS4_3ELNS0_20block_scan_algorithmE0ELj4294967295EEENS1_25partition_config_selectorILNS1_17partition_subalgoE4EjNS0_10empty_typeEbEEZZNS1_14partition_implILS8_4ELb0ES6_15HIP_vector_typeIjLj2EENS0_17counting_iteratorIjlEEPS9_SG_NS0_5tupleIJPjSI_NS0_16reverse_iteratorISI_EEEEENSH_IJSG_SG_SG_EEES9_SI_JZNS1_25segmented_radix_sort_implINS0_14default_configELb0EPK6__halfPSP_PKlPlN2at6native12_GLOBAL__N_18offset_tEEE10hipError_tPvRmT1_PNSt15iterator_traitsIS13_E10value_typeET2_T3_PNS14_IS19_E10value_typeET4_jRbjT5_S1F_jjP12ihipStream_tbEUljE_ZNSN_ISO_Lb0ESR_SS_SU_SV_SZ_EES10_S11_S12_S13_S17_S18_S19_S1C_S1D_jS1E_jS1F_S1F_jjS1H_bEUljE0_EEES10_S11_S12_S19_S1D_S1F_T6_T7_T9_mT8_S1H_bDpT10_ENKUlT_T0_E_clISt17integral_constantIbLb0EES1V_EEDaS1Q_S1R_EUlS1Q_E_NS1_11comp_targetILNS1_3genE10ELNS1_11target_archE1200ELNS1_3gpuE4ELNS1_3repE0EEENS1_30default_config_static_selectorELNS0_4arch9wavefront6targetE0EEEvS13_.num_agpr, 0
	.set _ZN7rocprim17ROCPRIM_400000_NS6detail17trampoline_kernelINS0_13select_configILj256ELj13ELNS0_17block_load_methodE3ELS4_3ELS4_3ELNS0_20block_scan_algorithmE0ELj4294967295EEENS1_25partition_config_selectorILNS1_17partition_subalgoE4EjNS0_10empty_typeEbEEZZNS1_14partition_implILS8_4ELb0ES6_15HIP_vector_typeIjLj2EENS0_17counting_iteratorIjlEEPS9_SG_NS0_5tupleIJPjSI_NS0_16reverse_iteratorISI_EEEEENSH_IJSG_SG_SG_EEES9_SI_JZNS1_25segmented_radix_sort_implINS0_14default_configELb0EPK6__halfPSP_PKlPlN2at6native12_GLOBAL__N_18offset_tEEE10hipError_tPvRmT1_PNSt15iterator_traitsIS13_E10value_typeET2_T3_PNS14_IS19_E10value_typeET4_jRbjT5_S1F_jjP12ihipStream_tbEUljE_ZNSN_ISO_Lb0ESR_SS_SU_SV_SZ_EES10_S11_S12_S13_S17_S18_S19_S1C_S1D_jS1E_jS1F_S1F_jjS1H_bEUljE0_EEES10_S11_S12_S19_S1D_S1F_T6_T7_T9_mT8_S1H_bDpT10_ENKUlT_T0_E_clISt17integral_constantIbLb0EES1V_EEDaS1Q_S1R_EUlS1Q_E_NS1_11comp_targetILNS1_3genE10ELNS1_11target_archE1200ELNS1_3gpuE4ELNS1_3repE0EEENS1_30default_config_static_selectorELNS0_4arch9wavefront6targetE0EEEvS13_.numbered_sgpr, 0
	.set _ZN7rocprim17ROCPRIM_400000_NS6detail17trampoline_kernelINS0_13select_configILj256ELj13ELNS0_17block_load_methodE3ELS4_3ELS4_3ELNS0_20block_scan_algorithmE0ELj4294967295EEENS1_25partition_config_selectorILNS1_17partition_subalgoE4EjNS0_10empty_typeEbEEZZNS1_14partition_implILS8_4ELb0ES6_15HIP_vector_typeIjLj2EENS0_17counting_iteratorIjlEEPS9_SG_NS0_5tupleIJPjSI_NS0_16reverse_iteratorISI_EEEEENSH_IJSG_SG_SG_EEES9_SI_JZNS1_25segmented_radix_sort_implINS0_14default_configELb0EPK6__halfPSP_PKlPlN2at6native12_GLOBAL__N_18offset_tEEE10hipError_tPvRmT1_PNSt15iterator_traitsIS13_E10value_typeET2_T3_PNS14_IS19_E10value_typeET4_jRbjT5_S1F_jjP12ihipStream_tbEUljE_ZNSN_ISO_Lb0ESR_SS_SU_SV_SZ_EES10_S11_S12_S13_S17_S18_S19_S1C_S1D_jS1E_jS1F_S1F_jjS1H_bEUljE0_EEES10_S11_S12_S19_S1D_S1F_T6_T7_T9_mT8_S1H_bDpT10_ENKUlT_T0_E_clISt17integral_constantIbLb0EES1V_EEDaS1Q_S1R_EUlS1Q_E_NS1_11comp_targetILNS1_3genE10ELNS1_11target_archE1200ELNS1_3gpuE4ELNS1_3repE0EEENS1_30default_config_static_selectorELNS0_4arch9wavefront6targetE0EEEvS13_.num_named_barrier, 0
	.set _ZN7rocprim17ROCPRIM_400000_NS6detail17trampoline_kernelINS0_13select_configILj256ELj13ELNS0_17block_load_methodE3ELS4_3ELS4_3ELNS0_20block_scan_algorithmE0ELj4294967295EEENS1_25partition_config_selectorILNS1_17partition_subalgoE4EjNS0_10empty_typeEbEEZZNS1_14partition_implILS8_4ELb0ES6_15HIP_vector_typeIjLj2EENS0_17counting_iteratorIjlEEPS9_SG_NS0_5tupleIJPjSI_NS0_16reverse_iteratorISI_EEEEENSH_IJSG_SG_SG_EEES9_SI_JZNS1_25segmented_radix_sort_implINS0_14default_configELb0EPK6__halfPSP_PKlPlN2at6native12_GLOBAL__N_18offset_tEEE10hipError_tPvRmT1_PNSt15iterator_traitsIS13_E10value_typeET2_T3_PNS14_IS19_E10value_typeET4_jRbjT5_S1F_jjP12ihipStream_tbEUljE_ZNSN_ISO_Lb0ESR_SS_SU_SV_SZ_EES10_S11_S12_S13_S17_S18_S19_S1C_S1D_jS1E_jS1F_S1F_jjS1H_bEUljE0_EEES10_S11_S12_S19_S1D_S1F_T6_T7_T9_mT8_S1H_bDpT10_ENKUlT_T0_E_clISt17integral_constantIbLb0EES1V_EEDaS1Q_S1R_EUlS1Q_E_NS1_11comp_targetILNS1_3genE10ELNS1_11target_archE1200ELNS1_3gpuE4ELNS1_3repE0EEENS1_30default_config_static_selectorELNS0_4arch9wavefront6targetE0EEEvS13_.private_seg_size, 0
	.set _ZN7rocprim17ROCPRIM_400000_NS6detail17trampoline_kernelINS0_13select_configILj256ELj13ELNS0_17block_load_methodE3ELS4_3ELS4_3ELNS0_20block_scan_algorithmE0ELj4294967295EEENS1_25partition_config_selectorILNS1_17partition_subalgoE4EjNS0_10empty_typeEbEEZZNS1_14partition_implILS8_4ELb0ES6_15HIP_vector_typeIjLj2EENS0_17counting_iteratorIjlEEPS9_SG_NS0_5tupleIJPjSI_NS0_16reverse_iteratorISI_EEEEENSH_IJSG_SG_SG_EEES9_SI_JZNS1_25segmented_radix_sort_implINS0_14default_configELb0EPK6__halfPSP_PKlPlN2at6native12_GLOBAL__N_18offset_tEEE10hipError_tPvRmT1_PNSt15iterator_traitsIS13_E10value_typeET2_T3_PNS14_IS19_E10value_typeET4_jRbjT5_S1F_jjP12ihipStream_tbEUljE_ZNSN_ISO_Lb0ESR_SS_SU_SV_SZ_EES10_S11_S12_S13_S17_S18_S19_S1C_S1D_jS1E_jS1F_S1F_jjS1H_bEUljE0_EEES10_S11_S12_S19_S1D_S1F_T6_T7_T9_mT8_S1H_bDpT10_ENKUlT_T0_E_clISt17integral_constantIbLb0EES1V_EEDaS1Q_S1R_EUlS1Q_E_NS1_11comp_targetILNS1_3genE10ELNS1_11target_archE1200ELNS1_3gpuE4ELNS1_3repE0EEENS1_30default_config_static_selectorELNS0_4arch9wavefront6targetE0EEEvS13_.uses_vcc, 0
	.set _ZN7rocprim17ROCPRIM_400000_NS6detail17trampoline_kernelINS0_13select_configILj256ELj13ELNS0_17block_load_methodE3ELS4_3ELS4_3ELNS0_20block_scan_algorithmE0ELj4294967295EEENS1_25partition_config_selectorILNS1_17partition_subalgoE4EjNS0_10empty_typeEbEEZZNS1_14partition_implILS8_4ELb0ES6_15HIP_vector_typeIjLj2EENS0_17counting_iteratorIjlEEPS9_SG_NS0_5tupleIJPjSI_NS0_16reverse_iteratorISI_EEEEENSH_IJSG_SG_SG_EEES9_SI_JZNS1_25segmented_radix_sort_implINS0_14default_configELb0EPK6__halfPSP_PKlPlN2at6native12_GLOBAL__N_18offset_tEEE10hipError_tPvRmT1_PNSt15iterator_traitsIS13_E10value_typeET2_T3_PNS14_IS19_E10value_typeET4_jRbjT5_S1F_jjP12ihipStream_tbEUljE_ZNSN_ISO_Lb0ESR_SS_SU_SV_SZ_EES10_S11_S12_S13_S17_S18_S19_S1C_S1D_jS1E_jS1F_S1F_jjS1H_bEUljE0_EEES10_S11_S12_S19_S1D_S1F_T6_T7_T9_mT8_S1H_bDpT10_ENKUlT_T0_E_clISt17integral_constantIbLb0EES1V_EEDaS1Q_S1R_EUlS1Q_E_NS1_11comp_targetILNS1_3genE10ELNS1_11target_archE1200ELNS1_3gpuE4ELNS1_3repE0EEENS1_30default_config_static_selectorELNS0_4arch9wavefront6targetE0EEEvS13_.uses_flat_scratch, 0
	.set _ZN7rocprim17ROCPRIM_400000_NS6detail17trampoline_kernelINS0_13select_configILj256ELj13ELNS0_17block_load_methodE3ELS4_3ELS4_3ELNS0_20block_scan_algorithmE0ELj4294967295EEENS1_25partition_config_selectorILNS1_17partition_subalgoE4EjNS0_10empty_typeEbEEZZNS1_14partition_implILS8_4ELb0ES6_15HIP_vector_typeIjLj2EENS0_17counting_iteratorIjlEEPS9_SG_NS0_5tupleIJPjSI_NS0_16reverse_iteratorISI_EEEEENSH_IJSG_SG_SG_EEES9_SI_JZNS1_25segmented_radix_sort_implINS0_14default_configELb0EPK6__halfPSP_PKlPlN2at6native12_GLOBAL__N_18offset_tEEE10hipError_tPvRmT1_PNSt15iterator_traitsIS13_E10value_typeET2_T3_PNS14_IS19_E10value_typeET4_jRbjT5_S1F_jjP12ihipStream_tbEUljE_ZNSN_ISO_Lb0ESR_SS_SU_SV_SZ_EES10_S11_S12_S13_S17_S18_S19_S1C_S1D_jS1E_jS1F_S1F_jjS1H_bEUljE0_EEES10_S11_S12_S19_S1D_S1F_T6_T7_T9_mT8_S1H_bDpT10_ENKUlT_T0_E_clISt17integral_constantIbLb0EES1V_EEDaS1Q_S1R_EUlS1Q_E_NS1_11comp_targetILNS1_3genE10ELNS1_11target_archE1200ELNS1_3gpuE4ELNS1_3repE0EEENS1_30default_config_static_selectorELNS0_4arch9wavefront6targetE0EEEvS13_.has_dyn_sized_stack, 0
	.set _ZN7rocprim17ROCPRIM_400000_NS6detail17trampoline_kernelINS0_13select_configILj256ELj13ELNS0_17block_load_methodE3ELS4_3ELS4_3ELNS0_20block_scan_algorithmE0ELj4294967295EEENS1_25partition_config_selectorILNS1_17partition_subalgoE4EjNS0_10empty_typeEbEEZZNS1_14partition_implILS8_4ELb0ES6_15HIP_vector_typeIjLj2EENS0_17counting_iteratorIjlEEPS9_SG_NS0_5tupleIJPjSI_NS0_16reverse_iteratorISI_EEEEENSH_IJSG_SG_SG_EEES9_SI_JZNS1_25segmented_radix_sort_implINS0_14default_configELb0EPK6__halfPSP_PKlPlN2at6native12_GLOBAL__N_18offset_tEEE10hipError_tPvRmT1_PNSt15iterator_traitsIS13_E10value_typeET2_T3_PNS14_IS19_E10value_typeET4_jRbjT5_S1F_jjP12ihipStream_tbEUljE_ZNSN_ISO_Lb0ESR_SS_SU_SV_SZ_EES10_S11_S12_S13_S17_S18_S19_S1C_S1D_jS1E_jS1F_S1F_jjS1H_bEUljE0_EEES10_S11_S12_S19_S1D_S1F_T6_T7_T9_mT8_S1H_bDpT10_ENKUlT_T0_E_clISt17integral_constantIbLb0EES1V_EEDaS1Q_S1R_EUlS1Q_E_NS1_11comp_targetILNS1_3genE10ELNS1_11target_archE1200ELNS1_3gpuE4ELNS1_3repE0EEENS1_30default_config_static_selectorELNS0_4arch9wavefront6targetE0EEEvS13_.has_recursion, 0
	.set _ZN7rocprim17ROCPRIM_400000_NS6detail17trampoline_kernelINS0_13select_configILj256ELj13ELNS0_17block_load_methodE3ELS4_3ELS4_3ELNS0_20block_scan_algorithmE0ELj4294967295EEENS1_25partition_config_selectorILNS1_17partition_subalgoE4EjNS0_10empty_typeEbEEZZNS1_14partition_implILS8_4ELb0ES6_15HIP_vector_typeIjLj2EENS0_17counting_iteratorIjlEEPS9_SG_NS0_5tupleIJPjSI_NS0_16reverse_iteratorISI_EEEEENSH_IJSG_SG_SG_EEES9_SI_JZNS1_25segmented_radix_sort_implINS0_14default_configELb0EPK6__halfPSP_PKlPlN2at6native12_GLOBAL__N_18offset_tEEE10hipError_tPvRmT1_PNSt15iterator_traitsIS13_E10value_typeET2_T3_PNS14_IS19_E10value_typeET4_jRbjT5_S1F_jjP12ihipStream_tbEUljE_ZNSN_ISO_Lb0ESR_SS_SU_SV_SZ_EES10_S11_S12_S13_S17_S18_S19_S1C_S1D_jS1E_jS1F_S1F_jjS1H_bEUljE0_EEES10_S11_S12_S19_S1D_S1F_T6_T7_T9_mT8_S1H_bDpT10_ENKUlT_T0_E_clISt17integral_constantIbLb0EES1V_EEDaS1Q_S1R_EUlS1Q_E_NS1_11comp_targetILNS1_3genE10ELNS1_11target_archE1200ELNS1_3gpuE4ELNS1_3repE0EEENS1_30default_config_static_selectorELNS0_4arch9wavefront6targetE0EEEvS13_.has_indirect_call, 0
	.section	.AMDGPU.csdata,"",@progbits
; Kernel info:
; codeLenInByte = 0
; TotalNumSgprs: 0
; NumVgprs: 0
; ScratchSize: 0
; MemoryBound: 0
; FloatMode: 240
; IeeeMode: 1
; LDSByteSize: 0 bytes/workgroup (compile time only)
; SGPRBlocks: 0
; VGPRBlocks: 0
; NumSGPRsForWavesPerEU: 1
; NumVGPRsForWavesPerEU: 1
; NamedBarCnt: 0
; Occupancy: 16
; WaveLimiterHint : 0
; COMPUTE_PGM_RSRC2:SCRATCH_EN: 0
; COMPUTE_PGM_RSRC2:USER_SGPR: 2
; COMPUTE_PGM_RSRC2:TRAP_HANDLER: 0
; COMPUTE_PGM_RSRC2:TGID_X_EN: 1
; COMPUTE_PGM_RSRC2:TGID_Y_EN: 0
; COMPUTE_PGM_RSRC2:TGID_Z_EN: 0
; COMPUTE_PGM_RSRC2:TIDIG_COMP_CNT: 0
	.section	.text._ZN7rocprim17ROCPRIM_400000_NS6detail17trampoline_kernelINS0_13select_configILj256ELj13ELNS0_17block_load_methodE3ELS4_3ELS4_3ELNS0_20block_scan_algorithmE0ELj4294967295EEENS1_25partition_config_selectorILNS1_17partition_subalgoE4EjNS0_10empty_typeEbEEZZNS1_14partition_implILS8_4ELb0ES6_15HIP_vector_typeIjLj2EENS0_17counting_iteratorIjlEEPS9_SG_NS0_5tupleIJPjSI_NS0_16reverse_iteratorISI_EEEEENSH_IJSG_SG_SG_EEES9_SI_JZNS1_25segmented_radix_sort_implINS0_14default_configELb0EPK6__halfPSP_PKlPlN2at6native12_GLOBAL__N_18offset_tEEE10hipError_tPvRmT1_PNSt15iterator_traitsIS13_E10value_typeET2_T3_PNS14_IS19_E10value_typeET4_jRbjT5_S1F_jjP12ihipStream_tbEUljE_ZNSN_ISO_Lb0ESR_SS_SU_SV_SZ_EES10_S11_S12_S13_S17_S18_S19_S1C_S1D_jS1E_jS1F_S1F_jjS1H_bEUljE0_EEES10_S11_S12_S19_S1D_S1F_T6_T7_T9_mT8_S1H_bDpT10_ENKUlT_T0_E_clISt17integral_constantIbLb0EES1V_EEDaS1Q_S1R_EUlS1Q_E_NS1_11comp_targetILNS1_3genE9ELNS1_11target_archE1100ELNS1_3gpuE3ELNS1_3repE0EEENS1_30default_config_static_selectorELNS0_4arch9wavefront6targetE0EEEvS13_,"axG",@progbits,_ZN7rocprim17ROCPRIM_400000_NS6detail17trampoline_kernelINS0_13select_configILj256ELj13ELNS0_17block_load_methodE3ELS4_3ELS4_3ELNS0_20block_scan_algorithmE0ELj4294967295EEENS1_25partition_config_selectorILNS1_17partition_subalgoE4EjNS0_10empty_typeEbEEZZNS1_14partition_implILS8_4ELb0ES6_15HIP_vector_typeIjLj2EENS0_17counting_iteratorIjlEEPS9_SG_NS0_5tupleIJPjSI_NS0_16reverse_iteratorISI_EEEEENSH_IJSG_SG_SG_EEES9_SI_JZNS1_25segmented_radix_sort_implINS0_14default_configELb0EPK6__halfPSP_PKlPlN2at6native12_GLOBAL__N_18offset_tEEE10hipError_tPvRmT1_PNSt15iterator_traitsIS13_E10value_typeET2_T3_PNS14_IS19_E10value_typeET4_jRbjT5_S1F_jjP12ihipStream_tbEUljE_ZNSN_ISO_Lb0ESR_SS_SU_SV_SZ_EES10_S11_S12_S13_S17_S18_S19_S1C_S1D_jS1E_jS1F_S1F_jjS1H_bEUljE0_EEES10_S11_S12_S19_S1D_S1F_T6_T7_T9_mT8_S1H_bDpT10_ENKUlT_T0_E_clISt17integral_constantIbLb0EES1V_EEDaS1Q_S1R_EUlS1Q_E_NS1_11comp_targetILNS1_3genE9ELNS1_11target_archE1100ELNS1_3gpuE3ELNS1_3repE0EEENS1_30default_config_static_selectorELNS0_4arch9wavefront6targetE0EEEvS13_,comdat
	.globl	_ZN7rocprim17ROCPRIM_400000_NS6detail17trampoline_kernelINS0_13select_configILj256ELj13ELNS0_17block_load_methodE3ELS4_3ELS4_3ELNS0_20block_scan_algorithmE0ELj4294967295EEENS1_25partition_config_selectorILNS1_17partition_subalgoE4EjNS0_10empty_typeEbEEZZNS1_14partition_implILS8_4ELb0ES6_15HIP_vector_typeIjLj2EENS0_17counting_iteratorIjlEEPS9_SG_NS0_5tupleIJPjSI_NS0_16reverse_iteratorISI_EEEEENSH_IJSG_SG_SG_EEES9_SI_JZNS1_25segmented_radix_sort_implINS0_14default_configELb0EPK6__halfPSP_PKlPlN2at6native12_GLOBAL__N_18offset_tEEE10hipError_tPvRmT1_PNSt15iterator_traitsIS13_E10value_typeET2_T3_PNS14_IS19_E10value_typeET4_jRbjT5_S1F_jjP12ihipStream_tbEUljE_ZNSN_ISO_Lb0ESR_SS_SU_SV_SZ_EES10_S11_S12_S13_S17_S18_S19_S1C_S1D_jS1E_jS1F_S1F_jjS1H_bEUljE0_EEES10_S11_S12_S19_S1D_S1F_T6_T7_T9_mT8_S1H_bDpT10_ENKUlT_T0_E_clISt17integral_constantIbLb0EES1V_EEDaS1Q_S1R_EUlS1Q_E_NS1_11comp_targetILNS1_3genE9ELNS1_11target_archE1100ELNS1_3gpuE3ELNS1_3repE0EEENS1_30default_config_static_selectorELNS0_4arch9wavefront6targetE0EEEvS13_ ; -- Begin function _ZN7rocprim17ROCPRIM_400000_NS6detail17trampoline_kernelINS0_13select_configILj256ELj13ELNS0_17block_load_methodE3ELS4_3ELS4_3ELNS0_20block_scan_algorithmE0ELj4294967295EEENS1_25partition_config_selectorILNS1_17partition_subalgoE4EjNS0_10empty_typeEbEEZZNS1_14partition_implILS8_4ELb0ES6_15HIP_vector_typeIjLj2EENS0_17counting_iteratorIjlEEPS9_SG_NS0_5tupleIJPjSI_NS0_16reverse_iteratorISI_EEEEENSH_IJSG_SG_SG_EEES9_SI_JZNS1_25segmented_radix_sort_implINS0_14default_configELb0EPK6__halfPSP_PKlPlN2at6native12_GLOBAL__N_18offset_tEEE10hipError_tPvRmT1_PNSt15iterator_traitsIS13_E10value_typeET2_T3_PNS14_IS19_E10value_typeET4_jRbjT5_S1F_jjP12ihipStream_tbEUljE_ZNSN_ISO_Lb0ESR_SS_SU_SV_SZ_EES10_S11_S12_S13_S17_S18_S19_S1C_S1D_jS1E_jS1F_S1F_jjS1H_bEUljE0_EEES10_S11_S12_S19_S1D_S1F_T6_T7_T9_mT8_S1H_bDpT10_ENKUlT_T0_E_clISt17integral_constantIbLb0EES1V_EEDaS1Q_S1R_EUlS1Q_E_NS1_11comp_targetILNS1_3genE9ELNS1_11target_archE1100ELNS1_3gpuE3ELNS1_3repE0EEENS1_30default_config_static_selectorELNS0_4arch9wavefront6targetE0EEEvS13_
	.p2align	8
	.type	_ZN7rocprim17ROCPRIM_400000_NS6detail17trampoline_kernelINS0_13select_configILj256ELj13ELNS0_17block_load_methodE3ELS4_3ELS4_3ELNS0_20block_scan_algorithmE0ELj4294967295EEENS1_25partition_config_selectorILNS1_17partition_subalgoE4EjNS0_10empty_typeEbEEZZNS1_14partition_implILS8_4ELb0ES6_15HIP_vector_typeIjLj2EENS0_17counting_iteratorIjlEEPS9_SG_NS0_5tupleIJPjSI_NS0_16reverse_iteratorISI_EEEEENSH_IJSG_SG_SG_EEES9_SI_JZNS1_25segmented_radix_sort_implINS0_14default_configELb0EPK6__halfPSP_PKlPlN2at6native12_GLOBAL__N_18offset_tEEE10hipError_tPvRmT1_PNSt15iterator_traitsIS13_E10value_typeET2_T3_PNS14_IS19_E10value_typeET4_jRbjT5_S1F_jjP12ihipStream_tbEUljE_ZNSN_ISO_Lb0ESR_SS_SU_SV_SZ_EES10_S11_S12_S13_S17_S18_S19_S1C_S1D_jS1E_jS1F_S1F_jjS1H_bEUljE0_EEES10_S11_S12_S19_S1D_S1F_T6_T7_T9_mT8_S1H_bDpT10_ENKUlT_T0_E_clISt17integral_constantIbLb0EES1V_EEDaS1Q_S1R_EUlS1Q_E_NS1_11comp_targetILNS1_3genE9ELNS1_11target_archE1100ELNS1_3gpuE3ELNS1_3repE0EEENS1_30default_config_static_selectorELNS0_4arch9wavefront6targetE0EEEvS13_,@function
_ZN7rocprim17ROCPRIM_400000_NS6detail17trampoline_kernelINS0_13select_configILj256ELj13ELNS0_17block_load_methodE3ELS4_3ELS4_3ELNS0_20block_scan_algorithmE0ELj4294967295EEENS1_25partition_config_selectorILNS1_17partition_subalgoE4EjNS0_10empty_typeEbEEZZNS1_14partition_implILS8_4ELb0ES6_15HIP_vector_typeIjLj2EENS0_17counting_iteratorIjlEEPS9_SG_NS0_5tupleIJPjSI_NS0_16reverse_iteratorISI_EEEEENSH_IJSG_SG_SG_EEES9_SI_JZNS1_25segmented_radix_sort_implINS0_14default_configELb0EPK6__halfPSP_PKlPlN2at6native12_GLOBAL__N_18offset_tEEE10hipError_tPvRmT1_PNSt15iterator_traitsIS13_E10value_typeET2_T3_PNS14_IS19_E10value_typeET4_jRbjT5_S1F_jjP12ihipStream_tbEUljE_ZNSN_ISO_Lb0ESR_SS_SU_SV_SZ_EES10_S11_S12_S13_S17_S18_S19_S1C_S1D_jS1E_jS1F_S1F_jjS1H_bEUljE0_EEES10_S11_S12_S19_S1D_S1F_T6_T7_T9_mT8_S1H_bDpT10_ENKUlT_T0_E_clISt17integral_constantIbLb0EES1V_EEDaS1Q_S1R_EUlS1Q_E_NS1_11comp_targetILNS1_3genE9ELNS1_11target_archE1100ELNS1_3gpuE3ELNS1_3repE0EEENS1_30default_config_static_selectorELNS0_4arch9wavefront6targetE0EEEvS13_: ; @_ZN7rocprim17ROCPRIM_400000_NS6detail17trampoline_kernelINS0_13select_configILj256ELj13ELNS0_17block_load_methodE3ELS4_3ELS4_3ELNS0_20block_scan_algorithmE0ELj4294967295EEENS1_25partition_config_selectorILNS1_17partition_subalgoE4EjNS0_10empty_typeEbEEZZNS1_14partition_implILS8_4ELb0ES6_15HIP_vector_typeIjLj2EENS0_17counting_iteratorIjlEEPS9_SG_NS0_5tupleIJPjSI_NS0_16reverse_iteratorISI_EEEEENSH_IJSG_SG_SG_EEES9_SI_JZNS1_25segmented_radix_sort_implINS0_14default_configELb0EPK6__halfPSP_PKlPlN2at6native12_GLOBAL__N_18offset_tEEE10hipError_tPvRmT1_PNSt15iterator_traitsIS13_E10value_typeET2_T3_PNS14_IS19_E10value_typeET4_jRbjT5_S1F_jjP12ihipStream_tbEUljE_ZNSN_ISO_Lb0ESR_SS_SU_SV_SZ_EES10_S11_S12_S13_S17_S18_S19_S1C_S1D_jS1E_jS1F_S1F_jjS1H_bEUljE0_EEES10_S11_S12_S19_S1D_S1F_T6_T7_T9_mT8_S1H_bDpT10_ENKUlT_T0_E_clISt17integral_constantIbLb0EES1V_EEDaS1Q_S1R_EUlS1Q_E_NS1_11comp_targetILNS1_3genE9ELNS1_11target_archE1100ELNS1_3gpuE3ELNS1_3repE0EEENS1_30default_config_static_selectorELNS0_4arch9wavefront6targetE0EEEvS13_
; %bb.0:
	.section	.rodata,"a",@progbits
	.p2align	6, 0x0
	.amdhsa_kernel _ZN7rocprim17ROCPRIM_400000_NS6detail17trampoline_kernelINS0_13select_configILj256ELj13ELNS0_17block_load_methodE3ELS4_3ELS4_3ELNS0_20block_scan_algorithmE0ELj4294967295EEENS1_25partition_config_selectorILNS1_17partition_subalgoE4EjNS0_10empty_typeEbEEZZNS1_14partition_implILS8_4ELb0ES6_15HIP_vector_typeIjLj2EENS0_17counting_iteratorIjlEEPS9_SG_NS0_5tupleIJPjSI_NS0_16reverse_iteratorISI_EEEEENSH_IJSG_SG_SG_EEES9_SI_JZNS1_25segmented_radix_sort_implINS0_14default_configELb0EPK6__halfPSP_PKlPlN2at6native12_GLOBAL__N_18offset_tEEE10hipError_tPvRmT1_PNSt15iterator_traitsIS13_E10value_typeET2_T3_PNS14_IS19_E10value_typeET4_jRbjT5_S1F_jjP12ihipStream_tbEUljE_ZNSN_ISO_Lb0ESR_SS_SU_SV_SZ_EES10_S11_S12_S13_S17_S18_S19_S1C_S1D_jS1E_jS1F_S1F_jjS1H_bEUljE0_EEES10_S11_S12_S19_S1D_S1F_T6_T7_T9_mT8_S1H_bDpT10_ENKUlT_T0_E_clISt17integral_constantIbLb0EES1V_EEDaS1Q_S1R_EUlS1Q_E_NS1_11comp_targetILNS1_3genE9ELNS1_11target_archE1100ELNS1_3gpuE3ELNS1_3repE0EEENS1_30default_config_static_selectorELNS0_4arch9wavefront6targetE0EEEvS13_
		.amdhsa_group_segment_fixed_size 0
		.amdhsa_private_segment_fixed_size 0
		.amdhsa_kernarg_size 176
		.amdhsa_user_sgpr_count 2
		.amdhsa_user_sgpr_dispatch_ptr 0
		.amdhsa_user_sgpr_queue_ptr 0
		.amdhsa_user_sgpr_kernarg_segment_ptr 1
		.amdhsa_user_sgpr_dispatch_id 0
		.amdhsa_user_sgpr_kernarg_preload_length 0
		.amdhsa_user_sgpr_kernarg_preload_offset 0
		.amdhsa_user_sgpr_private_segment_size 0
		.amdhsa_wavefront_size32 1
		.amdhsa_uses_dynamic_stack 0
		.amdhsa_enable_private_segment 0
		.amdhsa_system_sgpr_workgroup_id_x 1
		.amdhsa_system_sgpr_workgroup_id_y 0
		.amdhsa_system_sgpr_workgroup_id_z 0
		.amdhsa_system_sgpr_workgroup_info 0
		.amdhsa_system_vgpr_workitem_id 0
		.amdhsa_next_free_vgpr 1
		.amdhsa_next_free_sgpr 1
		.amdhsa_named_barrier_count 0
		.amdhsa_reserve_vcc 0
		.amdhsa_float_round_mode_32 0
		.amdhsa_float_round_mode_16_64 0
		.amdhsa_float_denorm_mode_32 3
		.amdhsa_float_denorm_mode_16_64 3
		.amdhsa_fp16_overflow 0
		.amdhsa_memory_ordered 1
		.amdhsa_forward_progress 1
		.amdhsa_inst_pref_size 0
		.amdhsa_round_robin_scheduling 0
		.amdhsa_exception_fp_ieee_invalid_op 0
		.amdhsa_exception_fp_denorm_src 0
		.amdhsa_exception_fp_ieee_div_zero 0
		.amdhsa_exception_fp_ieee_overflow 0
		.amdhsa_exception_fp_ieee_underflow 0
		.amdhsa_exception_fp_ieee_inexact 0
		.amdhsa_exception_int_div_zero 0
	.end_amdhsa_kernel
	.section	.text._ZN7rocprim17ROCPRIM_400000_NS6detail17trampoline_kernelINS0_13select_configILj256ELj13ELNS0_17block_load_methodE3ELS4_3ELS4_3ELNS0_20block_scan_algorithmE0ELj4294967295EEENS1_25partition_config_selectorILNS1_17partition_subalgoE4EjNS0_10empty_typeEbEEZZNS1_14partition_implILS8_4ELb0ES6_15HIP_vector_typeIjLj2EENS0_17counting_iteratorIjlEEPS9_SG_NS0_5tupleIJPjSI_NS0_16reverse_iteratorISI_EEEEENSH_IJSG_SG_SG_EEES9_SI_JZNS1_25segmented_radix_sort_implINS0_14default_configELb0EPK6__halfPSP_PKlPlN2at6native12_GLOBAL__N_18offset_tEEE10hipError_tPvRmT1_PNSt15iterator_traitsIS13_E10value_typeET2_T3_PNS14_IS19_E10value_typeET4_jRbjT5_S1F_jjP12ihipStream_tbEUljE_ZNSN_ISO_Lb0ESR_SS_SU_SV_SZ_EES10_S11_S12_S13_S17_S18_S19_S1C_S1D_jS1E_jS1F_S1F_jjS1H_bEUljE0_EEES10_S11_S12_S19_S1D_S1F_T6_T7_T9_mT8_S1H_bDpT10_ENKUlT_T0_E_clISt17integral_constantIbLb0EES1V_EEDaS1Q_S1R_EUlS1Q_E_NS1_11comp_targetILNS1_3genE9ELNS1_11target_archE1100ELNS1_3gpuE3ELNS1_3repE0EEENS1_30default_config_static_selectorELNS0_4arch9wavefront6targetE0EEEvS13_,"axG",@progbits,_ZN7rocprim17ROCPRIM_400000_NS6detail17trampoline_kernelINS0_13select_configILj256ELj13ELNS0_17block_load_methodE3ELS4_3ELS4_3ELNS0_20block_scan_algorithmE0ELj4294967295EEENS1_25partition_config_selectorILNS1_17partition_subalgoE4EjNS0_10empty_typeEbEEZZNS1_14partition_implILS8_4ELb0ES6_15HIP_vector_typeIjLj2EENS0_17counting_iteratorIjlEEPS9_SG_NS0_5tupleIJPjSI_NS0_16reverse_iteratorISI_EEEEENSH_IJSG_SG_SG_EEES9_SI_JZNS1_25segmented_radix_sort_implINS0_14default_configELb0EPK6__halfPSP_PKlPlN2at6native12_GLOBAL__N_18offset_tEEE10hipError_tPvRmT1_PNSt15iterator_traitsIS13_E10value_typeET2_T3_PNS14_IS19_E10value_typeET4_jRbjT5_S1F_jjP12ihipStream_tbEUljE_ZNSN_ISO_Lb0ESR_SS_SU_SV_SZ_EES10_S11_S12_S13_S17_S18_S19_S1C_S1D_jS1E_jS1F_S1F_jjS1H_bEUljE0_EEES10_S11_S12_S19_S1D_S1F_T6_T7_T9_mT8_S1H_bDpT10_ENKUlT_T0_E_clISt17integral_constantIbLb0EES1V_EEDaS1Q_S1R_EUlS1Q_E_NS1_11comp_targetILNS1_3genE9ELNS1_11target_archE1100ELNS1_3gpuE3ELNS1_3repE0EEENS1_30default_config_static_selectorELNS0_4arch9wavefront6targetE0EEEvS13_,comdat
.Lfunc_end1774:
	.size	_ZN7rocprim17ROCPRIM_400000_NS6detail17trampoline_kernelINS0_13select_configILj256ELj13ELNS0_17block_load_methodE3ELS4_3ELS4_3ELNS0_20block_scan_algorithmE0ELj4294967295EEENS1_25partition_config_selectorILNS1_17partition_subalgoE4EjNS0_10empty_typeEbEEZZNS1_14partition_implILS8_4ELb0ES6_15HIP_vector_typeIjLj2EENS0_17counting_iteratorIjlEEPS9_SG_NS0_5tupleIJPjSI_NS0_16reverse_iteratorISI_EEEEENSH_IJSG_SG_SG_EEES9_SI_JZNS1_25segmented_radix_sort_implINS0_14default_configELb0EPK6__halfPSP_PKlPlN2at6native12_GLOBAL__N_18offset_tEEE10hipError_tPvRmT1_PNSt15iterator_traitsIS13_E10value_typeET2_T3_PNS14_IS19_E10value_typeET4_jRbjT5_S1F_jjP12ihipStream_tbEUljE_ZNSN_ISO_Lb0ESR_SS_SU_SV_SZ_EES10_S11_S12_S13_S17_S18_S19_S1C_S1D_jS1E_jS1F_S1F_jjS1H_bEUljE0_EEES10_S11_S12_S19_S1D_S1F_T6_T7_T9_mT8_S1H_bDpT10_ENKUlT_T0_E_clISt17integral_constantIbLb0EES1V_EEDaS1Q_S1R_EUlS1Q_E_NS1_11comp_targetILNS1_3genE9ELNS1_11target_archE1100ELNS1_3gpuE3ELNS1_3repE0EEENS1_30default_config_static_selectorELNS0_4arch9wavefront6targetE0EEEvS13_, .Lfunc_end1774-_ZN7rocprim17ROCPRIM_400000_NS6detail17trampoline_kernelINS0_13select_configILj256ELj13ELNS0_17block_load_methodE3ELS4_3ELS4_3ELNS0_20block_scan_algorithmE0ELj4294967295EEENS1_25partition_config_selectorILNS1_17partition_subalgoE4EjNS0_10empty_typeEbEEZZNS1_14partition_implILS8_4ELb0ES6_15HIP_vector_typeIjLj2EENS0_17counting_iteratorIjlEEPS9_SG_NS0_5tupleIJPjSI_NS0_16reverse_iteratorISI_EEEEENSH_IJSG_SG_SG_EEES9_SI_JZNS1_25segmented_radix_sort_implINS0_14default_configELb0EPK6__halfPSP_PKlPlN2at6native12_GLOBAL__N_18offset_tEEE10hipError_tPvRmT1_PNSt15iterator_traitsIS13_E10value_typeET2_T3_PNS14_IS19_E10value_typeET4_jRbjT5_S1F_jjP12ihipStream_tbEUljE_ZNSN_ISO_Lb0ESR_SS_SU_SV_SZ_EES10_S11_S12_S13_S17_S18_S19_S1C_S1D_jS1E_jS1F_S1F_jjS1H_bEUljE0_EEES10_S11_S12_S19_S1D_S1F_T6_T7_T9_mT8_S1H_bDpT10_ENKUlT_T0_E_clISt17integral_constantIbLb0EES1V_EEDaS1Q_S1R_EUlS1Q_E_NS1_11comp_targetILNS1_3genE9ELNS1_11target_archE1100ELNS1_3gpuE3ELNS1_3repE0EEENS1_30default_config_static_selectorELNS0_4arch9wavefront6targetE0EEEvS13_
                                        ; -- End function
	.set _ZN7rocprim17ROCPRIM_400000_NS6detail17trampoline_kernelINS0_13select_configILj256ELj13ELNS0_17block_load_methodE3ELS4_3ELS4_3ELNS0_20block_scan_algorithmE0ELj4294967295EEENS1_25partition_config_selectorILNS1_17partition_subalgoE4EjNS0_10empty_typeEbEEZZNS1_14partition_implILS8_4ELb0ES6_15HIP_vector_typeIjLj2EENS0_17counting_iteratorIjlEEPS9_SG_NS0_5tupleIJPjSI_NS0_16reverse_iteratorISI_EEEEENSH_IJSG_SG_SG_EEES9_SI_JZNS1_25segmented_radix_sort_implINS0_14default_configELb0EPK6__halfPSP_PKlPlN2at6native12_GLOBAL__N_18offset_tEEE10hipError_tPvRmT1_PNSt15iterator_traitsIS13_E10value_typeET2_T3_PNS14_IS19_E10value_typeET4_jRbjT5_S1F_jjP12ihipStream_tbEUljE_ZNSN_ISO_Lb0ESR_SS_SU_SV_SZ_EES10_S11_S12_S13_S17_S18_S19_S1C_S1D_jS1E_jS1F_S1F_jjS1H_bEUljE0_EEES10_S11_S12_S19_S1D_S1F_T6_T7_T9_mT8_S1H_bDpT10_ENKUlT_T0_E_clISt17integral_constantIbLb0EES1V_EEDaS1Q_S1R_EUlS1Q_E_NS1_11comp_targetILNS1_3genE9ELNS1_11target_archE1100ELNS1_3gpuE3ELNS1_3repE0EEENS1_30default_config_static_selectorELNS0_4arch9wavefront6targetE0EEEvS13_.num_vgpr, 0
	.set _ZN7rocprim17ROCPRIM_400000_NS6detail17trampoline_kernelINS0_13select_configILj256ELj13ELNS0_17block_load_methodE3ELS4_3ELS4_3ELNS0_20block_scan_algorithmE0ELj4294967295EEENS1_25partition_config_selectorILNS1_17partition_subalgoE4EjNS0_10empty_typeEbEEZZNS1_14partition_implILS8_4ELb0ES6_15HIP_vector_typeIjLj2EENS0_17counting_iteratorIjlEEPS9_SG_NS0_5tupleIJPjSI_NS0_16reverse_iteratorISI_EEEEENSH_IJSG_SG_SG_EEES9_SI_JZNS1_25segmented_radix_sort_implINS0_14default_configELb0EPK6__halfPSP_PKlPlN2at6native12_GLOBAL__N_18offset_tEEE10hipError_tPvRmT1_PNSt15iterator_traitsIS13_E10value_typeET2_T3_PNS14_IS19_E10value_typeET4_jRbjT5_S1F_jjP12ihipStream_tbEUljE_ZNSN_ISO_Lb0ESR_SS_SU_SV_SZ_EES10_S11_S12_S13_S17_S18_S19_S1C_S1D_jS1E_jS1F_S1F_jjS1H_bEUljE0_EEES10_S11_S12_S19_S1D_S1F_T6_T7_T9_mT8_S1H_bDpT10_ENKUlT_T0_E_clISt17integral_constantIbLb0EES1V_EEDaS1Q_S1R_EUlS1Q_E_NS1_11comp_targetILNS1_3genE9ELNS1_11target_archE1100ELNS1_3gpuE3ELNS1_3repE0EEENS1_30default_config_static_selectorELNS0_4arch9wavefront6targetE0EEEvS13_.num_agpr, 0
	.set _ZN7rocprim17ROCPRIM_400000_NS6detail17trampoline_kernelINS0_13select_configILj256ELj13ELNS0_17block_load_methodE3ELS4_3ELS4_3ELNS0_20block_scan_algorithmE0ELj4294967295EEENS1_25partition_config_selectorILNS1_17partition_subalgoE4EjNS0_10empty_typeEbEEZZNS1_14partition_implILS8_4ELb0ES6_15HIP_vector_typeIjLj2EENS0_17counting_iteratorIjlEEPS9_SG_NS0_5tupleIJPjSI_NS0_16reverse_iteratorISI_EEEEENSH_IJSG_SG_SG_EEES9_SI_JZNS1_25segmented_radix_sort_implINS0_14default_configELb0EPK6__halfPSP_PKlPlN2at6native12_GLOBAL__N_18offset_tEEE10hipError_tPvRmT1_PNSt15iterator_traitsIS13_E10value_typeET2_T3_PNS14_IS19_E10value_typeET4_jRbjT5_S1F_jjP12ihipStream_tbEUljE_ZNSN_ISO_Lb0ESR_SS_SU_SV_SZ_EES10_S11_S12_S13_S17_S18_S19_S1C_S1D_jS1E_jS1F_S1F_jjS1H_bEUljE0_EEES10_S11_S12_S19_S1D_S1F_T6_T7_T9_mT8_S1H_bDpT10_ENKUlT_T0_E_clISt17integral_constantIbLb0EES1V_EEDaS1Q_S1R_EUlS1Q_E_NS1_11comp_targetILNS1_3genE9ELNS1_11target_archE1100ELNS1_3gpuE3ELNS1_3repE0EEENS1_30default_config_static_selectorELNS0_4arch9wavefront6targetE0EEEvS13_.numbered_sgpr, 0
	.set _ZN7rocprim17ROCPRIM_400000_NS6detail17trampoline_kernelINS0_13select_configILj256ELj13ELNS0_17block_load_methodE3ELS4_3ELS4_3ELNS0_20block_scan_algorithmE0ELj4294967295EEENS1_25partition_config_selectorILNS1_17partition_subalgoE4EjNS0_10empty_typeEbEEZZNS1_14partition_implILS8_4ELb0ES6_15HIP_vector_typeIjLj2EENS0_17counting_iteratorIjlEEPS9_SG_NS0_5tupleIJPjSI_NS0_16reverse_iteratorISI_EEEEENSH_IJSG_SG_SG_EEES9_SI_JZNS1_25segmented_radix_sort_implINS0_14default_configELb0EPK6__halfPSP_PKlPlN2at6native12_GLOBAL__N_18offset_tEEE10hipError_tPvRmT1_PNSt15iterator_traitsIS13_E10value_typeET2_T3_PNS14_IS19_E10value_typeET4_jRbjT5_S1F_jjP12ihipStream_tbEUljE_ZNSN_ISO_Lb0ESR_SS_SU_SV_SZ_EES10_S11_S12_S13_S17_S18_S19_S1C_S1D_jS1E_jS1F_S1F_jjS1H_bEUljE0_EEES10_S11_S12_S19_S1D_S1F_T6_T7_T9_mT8_S1H_bDpT10_ENKUlT_T0_E_clISt17integral_constantIbLb0EES1V_EEDaS1Q_S1R_EUlS1Q_E_NS1_11comp_targetILNS1_3genE9ELNS1_11target_archE1100ELNS1_3gpuE3ELNS1_3repE0EEENS1_30default_config_static_selectorELNS0_4arch9wavefront6targetE0EEEvS13_.num_named_barrier, 0
	.set _ZN7rocprim17ROCPRIM_400000_NS6detail17trampoline_kernelINS0_13select_configILj256ELj13ELNS0_17block_load_methodE3ELS4_3ELS4_3ELNS0_20block_scan_algorithmE0ELj4294967295EEENS1_25partition_config_selectorILNS1_17partition_subalgoE4EjNS0_10empty_typeEbEEZZNS1_14partition_implILS8_4ELb0ES6_15HIP_vector_typeIjLj2EENS0_17counting_iteratorIjlEEPS9_SG_NS0_5tupleIJPjSI_NS0_16reverse_iteratorISI_EEEEENSH_IJSG_SG_SG_EEES9_SI_JZNS1_25segmented_radix_sort_implINS0_14default_configELb0EPK6__halfPSP_PKlPlN2at6native12_GLOBAL__N_18offset_tEEE10hipError_tPvRmT1_PNSt15iterator_traitsIS13_E10value_typeET2_T3_PNS14_IS19_E10value_typeET4_jRbjT5_S1F_jjP12ihipStream_tbEUljE_ZNSN_ISO_Lb0ESR_SS_SU_SV_SZ_EES10_S11_S12_S13_S17_S18_S19_S1C_S1D_jS1E_jS1F_S1F_jjS1H_bEUljE0_EEES10_S11_S12_S19_S1D_S1F_T6_T7_T9_mT8_S1H_bDpT10_ENKUlT_T0_E_clISt17integral_constantIbLb0EES1V_EEDaS1Q_S1R_EUlS1Q_E_NS1_11comp_targetILNS1_3genE9ELNS1_11target_archE1100ELNS1_3gpuE3ELNS1_3repE0EEENS1_30default_config_static_selectorELNS0_4arch9wavefront6targetE0EEEvS13_.private_seg_size, 0
	.set _ZN7rocprim17ROCPRIM_400000_NS6detail17trampoline_kernelINS0_13select_configILj256ELj13ELNS0_17block_load_methodE3ELS4_3ELS4_3ELNS0_20block_scan_algorithmE0ELj4294967295EEENS1_25partition_config_selectorILNS1_17partition_subalgoE4EjNS0_10empty_typeEbEEZZNS1_14partition_implILS8_4ELb0ES6_15HIP_vector_typeIjLj2EENS0_17counting_iteratorIjlEEPS9_SG_NS0_5tupleIJPjSI_NS0_16reverse_iteratorISI_EEEEENSH_IJSG_SG_SG_EEES9_SI_JZNS1_25segmented_radix_sort_implINS0_14default_configELb0EPK6__halfPSP_PKlPlN2at6native12_GLOBAL__N_18offset_tEEE10hipError_tPvRmT1_PNSt15iterator_traitsIS13_E10value_typeET2_T3_PNS14_IS19_E10value_typeET4_jRbjT5_S1F_jjP12ihipStream_tbEUljE_ZNSN_ISO_Lb0ESR_SS_SU_SV_SZ_EES10_S11_S12_S13_S17_S18_S19_S1C_S1D_jS1E_jS1F_S1F_jjS1H_bEUljE0_EEES10_S11_S12_S19_S1D_S1F_T6_T7_T9_mT8_S1H_bDpT10_ENKUlT_T0_E_clISt17integral_constantIbLb0EES1V_EEDaS1Q_S1R_EUlS1Q_E_NS1_11comp_targetILNS1_3genE9ELNS1_11target_archE1100ELNS1_3gpuE3ELNS1_3repE0EEENS1_30default_config_static_selectorELNS0_4arch9wavefront6targetE0EEEvS13_.uses_vcc, 0
	.set _ZN7rocprim17ROCPRIM_400000_NS6detail17trampoline_kernelINS0_13select_configILj256ELj13ELNS0_17block_load_methodE3ELS4_3ELS4_3ELNS0_20block_scan_algorithmE0ELj4294967295EEENS1_25partition_config_selectorILNS1_17partition_subalgoE4EjNS0_10empty_typeEbEEZZNS1_14partition_implILS8_4ELb0ES6_15HIP_vector_typeIjLj2EENS0_17counting_iteratorIjlEEPS9_SG_NS0_5tupleIJPjSI_NS0_16reverse_iteratorISI_EEEEENSH_IJSG_SG_SG_EEES9_SI_JZNS1_25segmented_radix_sort_implINS0_14default_configELb0EPK6__halfPSP_PKlPlN2at6native12_GLOBAL__N_18offset_tEEE10hipError_tPvRmT1_PNSt15iterator_traitsIS13_E10value_typeET2_T3_PNS14_IS19_E10value_typeET4_jRbjT5_S1F_jjP12ihipStream_tbEUljE_ZNSN_ISO_Lb0ESR_SS_SU_SV_SZ_EES10_S11_S12_S13_S17_S18_S19_S1C_S1D_jS1E_jS1F_S1F_jjS1H_bEUljE0_EEES10_S11_S12_S19_S1D_S1F_T6_T7_T9_mT8_S1H_bDpT10_ENKUlT_T0_E_clISt17integral_constantIbLb0EES1V_EEDaS1Q_S1R_EUlS1Q_E_NS1_11comp_targetILNS1_3genE9ELNS1_11target_archE1100ELNS1_3gpuE3ELNS1_3repE0EEENS1_30default_config_static_selectorELNS0_4arch9wavefront6targetE0EEEvS13_.uses_flat_scratch, 0
	.set _ZN7rocprim17ROCPRIM_400000_NS6detail17trampoline_kernelINS0_13select_configILj256ELj13ELNS0_17block_load_methodE3ELS4_3ELS4_3ELNS0_20block_scan_algorithmE0ELj4294967295EEENS1_25partition_config_selectorILNS1_17partition_subalgoE4EjNS0_10empty_typeEbEEZZNS1_14partition_implILS8_4ELb0ES6_15HIP_vector_typeIjLj2EENS0_17counting_iteratorIjlEEPS9_SG_NS0_5tupleIJPjSI_NS0_16reverse_iteratorISI_EEEEENSH_IJSG_SG_SG_EEES9_SI_JZNS1_25segmented_radix_sort_implINS0_14default_configELb0EPK6__halfPSP_PKlPlN2at6native12_GLOBAL__N_18offset_tEEE10hipError_tPvRmT1_PNSt15iterator_traitsIS13_E10value_typeET2_T3_PNS14_IS19_E10value_typeET4_jRbjT5_S1F_jjP12ihipStream_tbEUljE_ZNSN_ISO_Lb0ESR_SS_SU_SV_SZ_EES10_S11_S12_S13_S17_S18_S19_S1C_S1D_jS1E_jS1F_S1F_jjS1H_bEUljE0_EEES10_S11_S12_S19_S1D_S1F_T6_T7_T9_mT8_S1H_bDpT10_ENKUlT_T0_E_clISt17integral_constantIbLb0EES1V_EEDaS1Q_S1R_EUlS1Q_E_NS1_11comp_targetILNS1_3genE9ELNS1_11target_archE1100ELNS1_3gpuE3ELNS1_3repE0EEENS1_30default_config_static_selectorELNS0_4arch9wavefront6targetE0EEEvS13_.has_dyn_sized_stack, 0
	.set _ZN7rocprim17ROCPRIM_400000_NS6detail17trampoline_kernelINS0_13select_configILj256ELj13ELNS0_17block_load_methodE3ELS4_3ELS4_3ELNS0_20block_scan_algorithmE0ELj4294967295EEENS1_25partition_config_selectorILNS1_17partition_subalgoE4EjNS0_10empty_typeEbEEZZNS1_14partition_implILS8_4ELb0ES6_15HIP_vector_typeIjLj2EENS0_17counting_iteratorIjlEEPS9_SG_NS0_5tupleIJPjSI_NS0_16reverse_iteratorISI_EEEEENSH_IJSG_SG_SG_EEES9_SI_JZNS1_25segmented_radix_sort_implINS0_14default_configELb0EPK6__halfPSP_PKlPlN2at6native12_GLOBAL__N_18offset_tEEE10hipError_tPvRmT1_PNSt15iterator_traitsIS13_E10value_typeET2_T3_PNS14_IS19_E10value_typeET4_jRbjT5_S1F_jjP12ihipStream_tbEUljE_ZNSN_ISO_Lb0ESR_SS_SU_SV_SZ_EES10_S11_S12_S13_S17_S18_S19_S1C_S1D_jS1E_jS1F_S1F_jjS1H_bEUljE0_EEES10_S11_S12_S19_S1D_S1F_T6_T7_T9_mT8_S1H_bDpT10_ENKUlT_T0_E_clISt17integral_constantIbLb0EES1V_EEDaS1Q_S1R_EUlS1Q_E_NS1_11comp_targetILNS1_3genE9ELNS1_11target_archE1100ELNS1_3gpuE3ELNS1_3repE0EEENS1_30default_config_static_selectorELNS0_4arch9wavefront6targetE0EEEvS13_.has_recursion, 0
	.set _ZN7rocprim17ROCPRIM_400000_NS6detail17trampoline_kernelINS0_13select_configILj256ELj13ELNS0_17block_load_methodE3ELS4_3ELS4_3ELNS0_20block_scan_algorithmE0ELj4294967295EEENS1_25partition_config_selectorILNS1_17partition_subalgoE4EjNS0_10empty_typeEbEEZZNS1_14partition_implILS8_4ELb0ES6_15HIP_vector_typeIjLj2EENS0_17counting_iteratorIjlEEPS9_SG_NS0_5tupleIJPjSI_NS0_16reverse_iteratorISI_EEEEENSH_IJSG_SG_SG_EEES9_SI_JZNS1_25segmented_radix_sort_implINS0_14default_configELb0EPK6__halfPSP_PKlPlN2at6native12_GLOBAL__N_18offset_tEEE10hipError_tPvRmT1_PNSt15iterator_traitsIS13_E10value_typeET2_T3_PNS14_IS19_E10value_typeET4_jRbjT5_S1F_jjP12ihipStream_tbEUljE_ZNSN_ISO_Lb0ESR_SS_SU_SV_SZ_EES10_S11_S12_S13_S17_S18_S19_S1C_S1D_jS1E_jS1F_S1F_jjS1H_bEUljE0_EEES10_S11_S12_S19_S1D_S1F_T6_T7_T9_mT8_S1H_bDpT10_ENKUlT_T0_E_clISt17integral_constantIbLb0EES1V_EEDaS1Q_S1R_EUlS1Q_E_NS1_11comp_targetILNS1_3genE9ELNS1_11target_archE1100ELNS1_3gpuE3ELNS1_3repE0EEENS1_30default_config_static_selectorELNS0_4arch9wavefront6targetE0EEEvS13_.has_indirect_call, 0
	.section	.AMDGPU.csdata,"",@progbits
; Kernel info:
; codeLenInByte = 0
; TotalNumSgprs: 0
; NumVgprs: 0
; ScratchSize: 0
; MemoryBound: 0
; FloatMode: 240
; IeeeMode: 1
; LDSByteSize: 0 bytes/workgroup (compile time only)
; SGPRBlocks: 0
; VGPRBlocks: 0
; NumSGPRsForWavesPerEU: 1
; NumVGPRsForWavesPerEU: 1
; NamedBarCnt: 0
; Occupancy: 16
; WaveLimiterHint : 0
; COMPUTE_PGM_RSRC2:SCRATCH_EN: 0
; COMPUTE_PGM_RSRC2:USER_SGPR: 2
; COMPUTE_PGM_RSRC2:TRAP_HANDLER: 0
; COMPUTE_PGM_RSRC2:TGID_X_EN: 1
; COMPUTE_PGM_RSRC2:TGID_Y_EN: 0
; COMPUTE_PGM_RSRC2:TGID_Z_EN: 0
; COMPUTE_PGM_RSRC2:TIDIG_COMP_CNT: 0
	.section	.text._ZN7rocprim17ROCPRIM_400000_NS6detail17trampoline_kernelINS0_13select_configILj256ELj13ELNS0_17block_load_methodE3ELS4_3ELS4_3ELNS0_20block_scan_algorithmE0ELj4294967295EEENS1_25partition_config_selectorILNS1_17partition_subalgoE4EjNS0_10empty_typeEbEEZZNS1_14partition_implILS8_4ELb0ES6_15HIP_vector_typeIjLj2EENS0_17counting_iteratorIjlEEPS9_SG_NS0_5tupleIJPjSI_NS0_16reverse_iteratorISI_EEEEENSH_IJSG_SG_SG_EEES9_SI_JZNS1_25segmented_radix_sort_implINS0_14default_configELb0EPK6__halfPSP_PKlPlN2at6native12_GLOBAL__N_18offset_tEEE10hipError_tPvRmT1_PNSt15iterator_traitsIS13_E10value_typeET2_T3_PNS14_IS19_E10value_typeET4_jRbjT5_S1F_jjP12ihipStream_tbEUljE_ZNSN_ISO_Lb0ESR_SS_SU_SV_SZ_EES10_S11_S12_S13_S17_S18_S19_S1C_S1D_jS1E_jS1F_S1F_jjS1H_bEUljE0_EEES10_S11_S12_S19_S1D_S1F_T6_T7_T9_mT8_S1H_bDpT10_ENKUlT_T0_E_clISt17integral_constantIbLb0EES1V_EEDaS1Q_S1R_EUlS1Q_E_NS1_11comp_targetILNS1_3genE8ELNS1_11target_archE1030ELNS1_3gpuE2ELNS1_3repE0EEENS1_30default_config_static_selectorELNS0_4arch9wavefront6targetE0EEEvS13_,"axG",@progbits,_ZN7rocprim17ROCPRIM_400000_NS6detail17trampoline_kernelINS0_13select_configILj256ELj13ELNS0_17block_load_methodE3ELS4_3ELS4_3ELNS0_20block_scan_algorithmE0ELj4294967295EEENS1_25partition_config_selectorILNS1_17partition_subalgoE4EjNS0_10empty_typeEbEEZZNS1_14partition_implILS8_4ELb0ES6_15HIP_vector_typeIjLj2EENS0_17counting_iteratorIjlEEPS9_SG_NS0_5tupleIJPjSI_NS0_16reverse_iteratorISI_EEEEENSH_IJSG_SG_SG_EEES9_SI_JZNS1_25segmented_radix_sort_implINS0_14default_configELb0EPK6__halfPSP_PKlPlN2at6native12_GLOBAL__N_18offset_tEEE10hipError_tPvRmT1_PNSt15iterator_traitsIS13_E10value_typeET2_T3_PNS14_IS19_E10value_typeET4_jRbjT5_S1F_jjP12ihipStream_tbEUljE_ZNSN_ISO_Lb0ESR_SS_SU_SV_SZ_EES10_S11_S12_S13_S17_S18_S19_S1C_S1D_jS1E_jS1F_S1F_jjS1H_bEUljE0_EEES10_S11_S12_S19_S1D_S1F_T6_T7_T9_mT8_S1H_bDpT10_ENKUlT_T0_E_clISt17integral_constantIbLb0EES1V_EEDaS1Q_S1R_EUlS1Q_E_NS1_11comp_targetILNS1_3genE8ELNS1_11target_archE1030ELNS1_3gpuE2ELNS1_3repE0EEENS1_30default_config_static_selectorELNS0_4arch9wavefront6targetE0EEEvS13_,comdat
	.globl	_ZN7rocprim17ROCPRIM_400000_NS6detail17trampoline_kernelINS0_13select_configILj256ELj13ELNS0_17block_load_methodE3ELS4_3ELS4_3ELNS0_20block_scan_algorithmE0ELj4294967295EEENS1_25partition_config_selectorILNS1_17partition_subalgoE4EjNS0_10empty_typeEbEEZZNS1_14partition_implILS8_4ELb0ES6_15HIP_vector_typeIjLj2EENS0_17counting_iteratorIjlEEPS9_SG_NS0_5tupleIJPjSI_NS0_16reverse_iteratorISI_EEEEENSH_IJSG_SG_SG_EEES9_SI_JZNS1_25segmented_radix_sort_implINS0_14default_configELb0EPK6__halfPSP_PKlPlN2at6native12_GLOBAL__N_18offset_tEEE10hipError_tPvRmT1_PNSt15iterator_traitsIS13_E10value_typeET2_T3_PNS14_IS19_E10value_typeET4_jRbjT5_S1F_jjP12ihipStream_tbEUljE_ZNSN_ISO_Lb0ESR_SS_SU_SV_SZ_EES10_S11_S12_S13_S17_S18_S19_S1C_S1D_jS1E_jS1F_S1F_jjS1H_bEUljE0_EEES10_S11_S12_S19_S1D_S1F_T6_T7_T9_mT8_S1H_bDpT10_ENKUlT_T0_E_clISt17integral_constantIbLb0EES1V_EEDaS1Q_S1R_EUlS1Q_E_NS1_11comp_targetILNS1_3genE8ELNS1_11target_archE1030ELNS1_3gpuE2ELNS1_3repE0EEENS1_30default_config_static_selectorELNS0_4arch9wavefront6targetE0EEEvS13_ ; -- Begin function _ZN7rocprim17ROCPRIM_400000_NS6detail17trampoline_kernelINS0_13select_configILj256ELj13ELNS0_17block_load_methodE3ELS4_3ELS4_3ELNS0_20block_scan_algorithmE0ELj4294967295EEENS1_25partition_config_selectorILNS1_17partition_subalgoE4EjNS0_10empty_typeEbEEZZNS1_14partition_implILS8_4ELb0ES6_15HIP_vector_typeIjLj2EENS0_17counting_iteratorIjlEEPS9_SG_NS0_5tupleIJPjSI_NS0_16reverse_iteratorISI_EEEEENSH_IJSG_SG_SG_EEES9_SI_JZNS1_25segmented_radix_sort_implINS0_14default_configELb0EPK6__halfPSP_PKlPlN2at6native12_GLOBAL__N_18offset_tEEE10hipError_tPvRmT1_PNSt15iterator_traitsIS13_E10value_typeET2_T3_PNS14_IS19_E10value_typeET4_jRbjT5_S1F_jjP12ihipStream_tbEUljE_ZNSN_ISO_Lb0ESR_SS_SU_SV_SZ_EES10_S11_S12_S13_S17_S18_S19_S1C_S1D_jS1E_jS1F_S1F_jjS1H_bEUljE0_EEES10_S11_S12_S19_S1D_S1F_T6_T7_T9_mT8_S1H_bDpT10_ENKUlT_T0_E_clISt17integral_constantIbLb0EES1V_EEDaS1Q_S1R_EUlS1Q_E_NS1_11comp_targetILNS1_3genE8ELNS1_11target_archE1030ELNS1_3gpuE2ELNS1_3repE0EEENS1_30default_config_static_selectorELNS0_4arch9wavefront6targetE0EEEvS13_
	.p2align	8
	.type	_ZN7rocprim17ROCPRIM_400000_NS6detail17trampoline_kernelINS0_13select_configILj256ELj13ELNS0_17block_load_methodE3ELS4_3ELS4_3ELNS0_20block_scan_algorithmE0ELj4294967295EEENS1_25partition_config_selectorILNS1_17partition_subalgoE4EjNS0_10empty_typeEbEEZZNS1_14partition_implILS8_4ELb0ES6_15HIP_vector_typeIjLj2EENS0_17counting_iteratorIjlEEPS9_SG_NS0_5tupleIJPjSI_NS0_16reverse_iteratorISI_EEEEENSH_IJSG_SG_SG_EEES9_SI_JZNS1_25segmented_radix_sort_implINS0_14default_configELb0EPK6__halfPSP_PKlPlN2at6native12_GLOBAL__N_18offset_tEEE10hipError_tPvRmT1_PNSt15iterator_traitsIS13_E10value_typeET2_T3_PNS14_IS19_E10value_typeET4_jRbjT5_S1F_jjP12ihipStream_tbEUljE_ZNSN_ISO_Lb0ESR_SS_SU_SV_SZ_EES10_S11_S12_S13_S17_S18_S19_S1C_S1D_jS1E_jS1F_S1F_jjS1H_bEUljE0_EEES10_S11_S12_S19_S1D_S1F_T6_T7_T9_mT8_S1H_bDpT10_ENKUlT_T0_E_clISt17integral_constantIbLb0EES1V_EEDaS1Q_S1R_EUlS1Q_E_NS1_11comp_targetILNS1_3genE8ELNS1_11target_archE1030ELNS1_3gpuE2ELNS1_3repE0EEENS1_30default_config_static_selectorELNS0_4arch9wavefront6targetE0EEEvS13_,@function
_ZN7rocprim17ROCPRIM_400000_NS6detail17trampoline_kernelINS0_13select_configILj256ELj13ELNS0_17block_load_methodE3ELS4_3ELS4_3ELNS0_20block_scan_algorithmE0ELj4294967295EEENS1_25partition_config_selectorILNS1_17partition_subalgoE4EjNS0_10empty_typeEbEEZZNS1_14partition_implILS8_4ELb0ES6_15HIP_vector_typeIjLj2EENS0_17counting_iteratorIjlEEPS9_SG_NS0_5tupleIJPjSI_NS0_16reverse_iteratorISI_EEEEENSH_IJSG_SG_SG_EEES9_SI_JZNS1_25segmented_radix_sort_implINS0_14default_configELb0EPK6__halfPSP_PKlPlN2at6native12_GLOBAL__N_18offset_tEEE10hipError_tPvRmT1_PNSt15iterator_traitsIS13_E10value_typeET2_T3_PNS14_IS19_E10value_typeET4_jRbjT5_S1F_jjP12ihipStream_tbEUljE_ZNSN_ISO_Lb0ESR_SS_SU_SV_SZ_EES10_S11_S12_S13_S17_S18_S19_S1C_S1D_jS1E_jS1F_S1F_jjS1H_bEUljE0_EEES10_S11_S12_S19_S1D_S1F_T6_T7_T9_mT8_S1H_bDpT10_ENKUlT_T0_E_clISt17integral_constantIbLb0EES1V_EEDaS1Q_S1R_EUlS1Q_E_NS1_11comp_targetILNS1_3genE8ELNS1_11target_archE1030ELNS1_3gpuE2ELNS1_3repE0EEENS1_30default_config_static_selectorELNS0_4arch9wavefront6targetE0EEEvS13_: ; @_ZN7rocprim17ROCPRIM_400000_NS6detail17trampoline_kernelINS0_13select_configILj256ELj13ELNS0_17block_load_methodE3ELS4_3ELS4_3ELNS0_20block_scan_algorithmE0ELj4294967295EEENS1_25partition_config_selectorILNS1_17partition_subalgoE4EjNS0_10empty_typeEbEEZZNS1_14partition_implILS8_4ELb0ES6_15HIP_vector_typeIjLj2EENS0_17counting_iteratorIjlEEPS9_SG_NS0_5tupleIJPjSI_NS0_16reverse_iteratorISI_EEEEENSH_IJSG_SG_SG_EEES9_SI_JZNS1_25segmented_radix_sort_implINS0_14default_configELb0EPK6__halfPSP_PKlPlN2at6native12_GLOBAL__N_18offset_tEEE10hipError_tPvRmT1_PNSt15iterator_traitsIS13_E10value_typeET2_T3_PNS14_IS19_E10value_typeET4_jRbjT5_S1F_jjP12ihipStream_tbEUljE_ZNSN_ISO_Lb0ESR_SS_SU_SV_SZ_EES10_S11_S12_S13_S17_S18_S19_S1C_S1D_jS1E_jS1F_S1F_jjS1H_bEUljE0_EEES10_S11_S12_S19_S1D_S1F_T6_T7_T9_mT8_S1H_bDpT10_ENKUlT_T0_E_clISt17integral_constantIbLb0EES1V_EEDaS1Q_S1R_EUlS1Q_E_NS1_11comp_targetILNS1_3genE8ELNS1_11target_archE1030ELNS1_3gpuE2ELNS1_3repE0EEENS1_30default_config_static_selectorELNS0_4arch9wavefront6targetE0EEEvS13_
; %bb.0:
	.section	.rodata,"a",@progbits
	.p2align	6, 0x0
	.amdhsa_kernel _ZN7rocprim17ROCPRIM_400000_NS6detail17trampoline_kernelINS0_13select_configILj256ELj13ELNS0_17block_load_methodE3ELS4_3ELS4_3ELNS0_20block_scan_algorithmE0ELj4294967295EEENS1_25partition_config_selectorILNS1_17partition_subalgoE4EjNS0_10empty_typeEbEEZZNS1_14partition_implILS8_4ELb0ES6_15HIP_vector_typeIjLj2EENS0_17counting_iteratorIjlEEPS9_SG_NS0_5tupleIJPjSI_NS0_16reverse_iteratorISI_EEEEENSH_IJSG_SG_SG_EEES9_SI_JZNS1_25segmented_radix_sort_implINS0_14default_configELb0EPK6__halfPSP_PKlPlN2at6native12_GLOBAL__N_18offset_tEEE10hipError_tPvRmT1_PNSt15iterator_traitsIS13_E10value_typeET2_T3_PNS14_IS19_E10value_typeET4_jRbjT5_S1F_jjP12ihipStream_tbEUljE_ZNSN_ISO_Lb0ESR_SS_SU_SV_SZ_EES10_S11_S12_S13_S17_S18_S19_S1C_S1D_jS1E_jS1F_S1F_jjS1H_bEUljE0_EEES10_S11_S12_S19_S1D_S1F_T6_T7_T9_mT8_S1H_bDpT10_ENKUlT_T0_E_clISt17integral_constantIbLb0EES1V_EEDaS1Q_S1R_EUlS1Q_E_NS1_11comp_targetILNS1_3genE8ELNS1_11target_archE1030ELNS1_3gpuE2ELNS1_3repE0EEENS1_30default_config_static_selectorELNS0_4arch9wavefront6targetE0EEEvS13_
		.amdhsa_group_segment_fixed_size 0
		.amdhsa_private_segment_fixed_size 0
		.amdhsa_kernarg_size 176
		.amdhsa_user_sgpr_count 2
		.amdhsa_user_sgpr_dispatch_ptr 0
		.amdhsa_user_sgpr_queue_ptr 0
		.amdhsa_user_sgpr_kernarg_segment_ptr 1
		.amdhsa_user_sgpr_dispatch_id 0
		.amdhsa_user_sgpr_kernarg_preload_length 0
		.amdhsa_user_sgpr_kernarg_preload_offset 0
		.amdhsa_user_sgpr_private_segment_size 0
		.amdhsa_wavefront_size32 1
		.amdhsa_uses_dynamic_stack 0
		.amdhsa_enable_private_segment 0
		.amdhsa_system_sgpr_workgroup_id_x 1
		.amdhsa_system_sgpr_workgroup_id_y 0
		.amdhsa_system_sgpr_workgroup_id_z 0
		.amdhsa_system_sgpr_workgroup_info 0
		.amdhsa_system_vgpr_workitem_id 0
		.amdhsa_next_free_vgpr 1
		.amdhsa_next_free_sgpr 1
		.amdhsa_named_barrier_count 0
		.amdhsa_reserve_vcc 0
		.amdhsa_float_round_mode_32 0
		.amdhsa_float_round_mode_16_64 0
		.amdhsa_float_denorm_mode_32 3
		.amdhsa_float_denorm_mode_16_64 3
		.amdhsa_fp16_overflow 0
		.amdhsa_memory_ordered 1
		.amdhsa_forward_progress 1
		.amdhsa_inst_pref_size 0
		.amdhsa_round_robin_scheduling 0
		.amdhsa_exception_fp_ieee_invalid_op 0
		.amdhsa_exception_fp_denorm_src 0
		.amdhsa_exception_fp_ieee_div_zero 0
		.amdhsa_exception_fp_ieee_overflow 0
		.amdhsa_exception_fp_ieee_underflow 0
		.amdhsa_exception_fp_ieee_inexact 0
		.amdhsa_exception_int_div_zero 0
	.end_amdhsa_kernel
	.section	.text._ZN7rocprim17ROCPRIM_400000_NS6detail17trampoline_kernelINS0_13select_configILj256ELj13ELNS0_17block_load_methodE3ELS4_3ELS4_3ELNS0_20block_scan_algorithmE0ELj4294967295EEENS1_25partition_config_selectorILNS1_17partition_subalgoE4EjNS0_10empty_typeEbEEZZNS1_14partition_implILS8_4ELb0ES6_15HIP_vector_typeIjLj2EENS0_17counting_iteratorIjlEEPS9_SG_NS0_5tupleIJPjSI_NS0_16reverse_iteratorISI_EEEEENSH_IJSG_SG_SG_EEES9_SI_JZNS1_25segmented_radix_sort_implINS0_14default_configELb0EPK6__halfPSP_PKlPlN2at6native12_GLOBAL__N_18offset_tEEE10hipError_tPvRmT1_PNSt15iterator_traitsIS13_E10value_typeET2_T3_PNS14_IS19_E10value_typeET4_jRbjT5_S1F_jjP12ihipStream_tbEUljE_ZNSN_ISO_Lb0ESR_SS_SU_SV_SZ_EES10_S11_S12_S13_S17_S18_S19_S1C_S1D_jS1E_jS1F_S1F_jjS1H_bEUljE0_EEES10_S11_S12_S19_S1D_S1F_T6_T7_T9_mT8_S1H_bDpT10_ENKUlT_T0_E_clISt17integral_constantIbLb0EES1V_EEDaS1Q_S1R_EUlS1Q_E_NS1_11comp_targetILNS1_3genE8ELNS1_11target_archE1030ELNS1_3gpuE2ELNS1_3repE0EEENS1_30default_config_static_selectorELNS0_4arch9wavefront6targetE0EEEvS13_,"axG",@progbits,_ZN7rocprim17ROCPRIM_400000_NS6detail17trampoline_kernelINS0_13select_configILj256ELj13ELNS0_17block_load_methodE3ELS4_3ELS4_3ELNS0_20block_scan_algorithmE0ELj4294967295EEENS1_25partition_config_selectorILNS1_17partition_subalgoE4EjNS0_10empty_typeEbEEZZNS1_14partition_implILS8_4ELb0ES6_15HIP_vector_typeIjLj2EENS0_17counting_iteratorIjlEEPS9_SG_NS0_5tupleIJPjSI_NS0_16reverse_iteratorISI_EEEEENSH_IJSG_SG_SG_EEES9_SI_JZNS1_25segmented_radix_sort_implINS0_14default_configELb0EPK6__halfPSP_PKlPlN2at6native12_GLOBAL__N_18offset_tEEE10hipError_tPvRmT1_PNSt15iterator_traitsIS13_E10value_typeET2_T3_PNS14_IS19_E10value_typeET4_jRbjT5_S1F_jjP12ihipStream_tbEUljE_ZNSN_ISO_Lb0ESR_SS_SU_SV_SZ_EES10_S11_S12_S13_S17_S18_S19_S1C_S1D_jS1E_jS1F_S1F_jjS1H_bEUljE0_EEES10_S11_S12_S19_S1D_S1F_T6_T7_T9_mT8_S1H_bDpT10_ENKUlT_T0_E_clISt17integral_constantIbLb0EES1V_EEDaS1Q_S1R_EUlS1Q_E_NS1_11comp_targetILNS1_3genE8ELNS1_11target_archE1030ELNS1_3gpuE2ELNS1_3repE0EEENS1_30default_config_static_selectorELNS0_4arch9wavefront6targetE0EEEvS13_,comdat
.Lfunc_end1775:
	.size	_ZN7rocprim17ROCPRIM_400000_NS6detail17trampoline_kernelINS0_13select_configILj256ELj13ELNS0_17block_load_methodE3ELS4_3ELS4_3ELNS0_20block_scan_algorithmE0ELj4294967295EEENS1_25partition_config_selectorILNS1_17partition_subalgoE4EjNS0_10empty_typeEbEEZZNS1_14partition_implILS8_4ELb0ES6_15HIP_vector_typeIjLj2EENS0_17counting_iteratorIjlEEPS9_SG_NS0_5tupleIJPjSI_NS0_16reverse_iteratorISI_EEEEENSH_IJSG_SG_SG_EEES9_SI_JZNS1_25segmented_radix_sort_implINS0_14default_configELb0EPK6__halfPSP_PKlPlN2at6native12_GLOBAL__N_18offset_tEEE10hipError_tPvRmT1_PNSt15iterator_traitsIS13_E10value_typeET2_T3_PNS14_IS19_E10value_typeET4_jRbjT5_S1F_jjP12ihipStream_tbEUljE_ZNSN_ISO_Lb0ESR_SS_SU_SV_SZ_EES10_S11_S12_S13_S17_S18_S19_S1C_S1D_jS1E_jS1F_S1F_jjS1H_bEUljE0_EEES10_S11_S12_S19_S1D_S1F_T6_T7_T9_mT8_S1H_bDpT10_ENKUlT_T0_E_clISt17integral_constantIbLb0EES1V_EEDaS1Q_S1R_EUlS1Q_E_NS1_11comp_targetILNS1_3genE8ELNS1_11target_archE1030ELNS1_3gpuE2ELNS1_3repE0EEENS1_30default_config_static_selectorELNS0_4arch9wavefront6targetE0EEEvS13_, .Lfunc_end1775-_ZN7rocprim17ROCPRIM_400000_NS6detail17trampoline_kernelINS0_13select_configILj256ELj13ELNS0_17block_load_methodE3ELS4_3ELS4_3ELNS0_20block_scan_algorithmE0ELj4294967295EEENS1_25partition_config_selectorILNS1_17partition_subalgoE4EjNS0_10empty_typeEbEEZZNS1_14partition_implILS8_4ELb0ES6_15HIP_vector_typeIjLj2EENS0_17counting_iteratorIjlEEPS9_SG_NS0_5tupleIJPjSI_NS0_16reverse_iteratorISI_EEEEENSH_IJSG_SG_SG_EEES9_SI_JZNS1_25segmented_radix_sort_implINS0_14default_configELb0EPK6__halfPSP_PKlPlN2at6native12_GLOBAL__N_18offset_tEEE10hipError_tPvRmT1_PNSt15iterator_traitsIS13_E10value_typeET2_T3_PNS14_IS19_E10value_typeET4_jRbjT5_S1F_jjP12ihipStream_tbEUljE_ZNSN_ISO_Lb0ESR_SS_SU_SV_SZ_EES10_S11_S12_S13_S17_S18_S19_S1C_S1D_jS1E_jS1F_S1F_jjS1H_bEUljE0_EEES10_S11_S12_S19_S1D_S1F_T6_T7_T9_mT8_S1H_bDpT10_ENKUlT_T0_E_clISt17integral_constantIbLb0EES1V_EEDaS1Q_S1R_EUlS1Q_E_NS1_11comp_targetILNS1_3genE8ELNS1_11target_archE1030ELNS1_3gpuE2ELNS1_3repE0EEENS1_30default_config_static_selectorELNS0_4arch9wavefront6targetE0EEEvS13_
                                        ; -- End function
	.set _ZN7rocprim17ROCPRIM_400000_NS6detail17trampoline_kernelINS0_13select_configILj256ELj13ELNS0_17block_load_methodE3ELS4_3ELS4_3ELNS0_20block_scan_algorithmE0ELj4294967295EEENS1_25partition_config_selectorILNS1_17partition_subalgoE4EjNS0_10empty_typeEbEEZZNS1_14partition_implILS8_4ELb0ES6_15HIP_vector_typeIjLj2EENS0_17counting_iteratorIjlEEPS9_SG_NS0_5tupleIJPjSI_NS0_16reverse_iteratorISI_EEEEENSH_IJSG_SG_SG_EEES9_SI_JZNS1_25segmented_radix_sort_implINS0_14default_configELb0EPK6__halfPSP_PKlPlN2at6native12_GLOBAL__N_18offset_tEEE10hipError_tPvRmT1_PNSt15iterator_traitsIS13_E10value_typeET2_T3_PNS14_IS19_E10value_typeET4_jRbjT5_S1F_jjP12ihipStream_tbEUljE_ZNSN_ISO_Lb0ESR_SS_SU_SV_SZ_EES10_S11_S12_S13_S17_S18_S19_S1C_S1D_jS1E_jS1F_S1F_jjS1H_bEUljE0_EEES10_S11_S12_S19_S1D_S1F_T6_T7_T9_mT8_S1H_bDpT10_ENKUlT_T0_E_clISt17integral_constantIbLb0EES1V_EEDaS1Q_S1R_EUlS1Q_E_NS1_11comp_targetILNS1_3genE8ELNS1_11target_archE1030ELNS1_3gpuE2ELNS1_3repE0EEENS1_30default_config_static_selectorELNS0_4arch9wavefront6targetE0EEEvS13_.num_vgpr, 0
	.set _ZN7rocprim17ROCPRIM_400000_NS6detail17trampoline_kernelINS0_13select_configILj256ELj13ELNS0_17block_load_methodE3ELS4_3ELS4_3ELNS0_20block_scan_algorithmE0ELj4294967295EEENS1_25partition_config_selectorILNS1_17partition_subalgoE4EjNS0_10empty_typeEbEEZZNS1_14partition_implILS8_4ELb0ES6_15HIP_vector_typeIjLj2EENS0_17counting_iteratorIjlEEPS9_SG_NS0_5tupleIJPjSI_NS0_16reverse_iteratorISI_EEEEENSH_IJSG_SG_SG_EEES9_SI_JZNS1_25segmented_radix_sort_implINS0_14default_configELb0EPK6__halfPSP_PKlPlN2at6native12_GLOBAL__N_18offset_tEEE10hipError_tPvRmT1_PNSt15iterator_traitsIS13_E10value_typeET2_T3_PNS14_IS19_E10value_typeET4_jRbjT5_S1F_jjP12ihipStream_tbEUljE_ZNSN_ISO_Lb0ESR_SS_SU_SV_SZ_EES10_S11_S12_S13_S17_S18_S19_S1C_S1D_jS1E_jS1F_S1F_jjS1H_bEUljE0_EEES10_S11_S12_S19_S1D_S1F_T6_T7_T9_mT8_S1H_bDpT10_ENKUlT_T0_E_clISt17integral_constantIbLb0EES1V_EEDaS1Q_S1R_EUlS1Q_E_NS1_11comp_targetILNS1_3genE8ELNS1_11target_archE1030ELNS1_3gpuE2ELNS1_3repE0EEENS1_30default_config_static_selectorELNS0_4arch9wavefront6targetE0EEEvS13_.num_agpr, 0
	.set _ZN7rocprim17ROCPRIM_400000_NS6detail17trampoline_kernelINS0_13select_configILj256ELj13ELNS0_17block_load_methodE3ELS4_3ELS4_3ELNS0_20block_scan_algorithmE0ELj4294967295EEENS1_25partition_config_selectorILNS1_17partition_subalgoE4EjNS0_10empty_typeEbEEZZNS1_14partition_implILS8_4ELb0ES6_15HIP_vector_typeIjLj2EENS0_17counting_iteratorIjlEEPS9_SG_NS0_5tupleIJPjSI_NS0_16reverse_iteratorISI_EEEEENSH_IJSG_SG_SG_EEES9_SI_JZNS1_25segmented_radix_sort_implINS0_14default_configELb0EPK6__halfPSP_PKlPlN2at6native12_GLOBAL__N_18offset_tEEE10hipError_tPvRmT1_PNSt15iterator_traitsIS13_E10value_typeET2_T3_PNS14_IS19_E10value_typeET4_jRbjT5_S1F_jjP12ihipStream_tbEUljE_ZNSN_ISO_Lb0ESR_SS_SU_SV_SZ_EES10_S11_S12_S13_S17_S18_S19_S1C_S1D_jS1E_jS1F_S1F_jjS1H_bEUljE0_EEES10_S11_S12_S19_S1D_S1F_T6_T7_T9_mT8_S1H_bDpT10_ENKUlT_T0_E_clISt17integral_constantIbLb0EES1V_EEDaS1Q_S1R_EUlS1Q_E_NS1_11comp_targetILNS1_3genE8ELNS1_11target_archE1030ELNS1_3gpuE2ELNS1_3repE0EEENS1_30default_config_static_selectorELNS0_4arch9wavefront6targetE0EEEvS13_.numbered_sgpr, 0
	.set _ZN7rocprim17ROCPRIM_400000_NS6detail17trampoline_kernelINS0_13select_configILj256ELj13ELNS0_17block_load_methodE3ELS4_3ELS4_3ELNS0_20block_scan_algorithmE0ELj4294967295EEENS1_25partition_config_selectorILNS1_17partition_subalgoE4EjNS0_10empty_typeEbEEZZNS1_14partition_implILS8_4ELb0ES6_15HIP_vector_typeIjLj2EENS0_17counting_iteratorIjlEEPS9_SG_NS0_5tupleIJPjSI_NS0_16reverse_iteratorISI_EEEEENSH_IJSG_SG_SG_EEES9_SI_JZNS1_25segmented_radix_sort_implINS0_14default_configELb0EPK6__halfPSP_PKlPlN2at6native12_GLOBAL__N_18offset_tEEE10hipError_tPvRmT1_PNSt15iterator_traitsIS13_E10value_typeET2_T3_PNS14_IS19_E10value_typeET4_jRbjT5_S1F_jjP12ihipStream_tbEUljE_ZNSN_ISO_Lb0ESR_SS_SU_SV_SZ_EES10_S11_S12_S13_S17_S18_S19_S1C_S1D_jS1E_jS1F_S1F_jjS1H_bEUljE0_EEES10_S11_S12_S19_S1D_S1F_T6_T7_T9_mT8_S1H_bDpT10_ENKUlT_T0_E_clISt17integral_constantIbLb0EES1V_EEDaS1Q_S1R_EUlS1Q_E_NS1_11comp_targetILNS1_3genE8ELNS1_11target_archE1030ELNS1_3gpuE2ELNS1_3repE0EEENS1_30default_config_static_selectorELNS0_4arch9wavefront6targetE0EEEvS13_.num_named_barrier, 0
	.set _ZN7rocprim17ROCPRIM_400000_NS6detail17trampoline_kernelINS0_13select_configILj256ELj13ELNS0_17block_load_methodE3ELS4_3ELS4_3ELNS0_20block_scan_algorithmE0ELj4294967295EEENS1_25partition_config_selectorILNS1_17partition_subalgoE4EjNS0_10empty_typeEbEEZZNS1_14partition_implILS8_4ELb0ES6_15HIP_vector_typeIjLj2EENS0_17counting_iteratorIjlEEPS9_SG_NS0_5tupleIJPjSI_NS0_16reverse_iteratorISI_EEEEENSH_IJSG_SG_SG_EEES9_SI_JZNS1_25segmented_radix_sort_implINS0_14default_configELb0EPK6__halfPSP_PKlPlN2at6native12_GLOBAL__N_18offset_tEEE10hipError_tPvRmT1_PNSt15iterator_traitsIS13_E10value_typeET2_T3_PNS14_IS19_E10value_typeET4_jRbjT5_S1F_jjP12ihipStream_tbEUljE_ZNSN_ISO_Lb0ESR_SS_SU_SV_SZ_EES10_S11_S12_S13_S17_S18_S19_S1C_S1D_jS1E_jS1F_S1F_jjS1H_bEUljE0_EEES10_S11_S12_S19_S1D_S1F_T6_T7_T9_mT8_S1H_bDpT10_ENKUlT_T0_E_clISt17integral_constantIbLb0EES1V_EEDaS1Q_S1R_EUlS1Q_E_NS1_11comp_targetILNS1_3genE8ELNS1_11target_archE1030ELNS1_3gpuE2ELNS1_3repE0EEENS1_30default_config_static_selectorELNS0_4arch9wavefront6targetE0EEEvS13_.private_seg_size, 0
	.set _ZN7rocprim17ROCPRIM_400000_NS6detail17trampoline_kernelINS0_13select_configILj256ELj13ELNS0_17block_load_methodE3ELS4_3ELS4_3ELNS0_20block_scan_algorithmE0ELj4294967295EEENS1_25partition_config_selectorILNS1_17partition_subalgoE4EjNS0_10empty_typeEbEEZZNS1_14partition_implILS8_4ELb0ES6_15HIP_vector_typeIjLj2EENS0_17counting_iteratorIjlEEPS9_SG_NS0_5tupleIJPjSI_NS0_16reverse_iteratorISI_EEEEENSH_IJSG_SG_SG_EEES9_SI_JZNS1_25segmented_radix_sort_implINS0_14default_configELb0EPK6__halfPSP_PKlPlN2at6native12_GLOBAL__N_18offset_tEEE10hipError_tPvRmT1_PNSt15iterator_traitsIS13_E10value_typeET2_T3_PNS14_IS19_E10value_typeET4_jRbjT5_S1F_jjP12ihipStream_tbEUljE_ZNSN_ISO_Lb0ESR_SS_SU_SV_SZ_EES10_S11_S12_S13_S17_S18_S19_S1C_S1D_jS1E_jS1F_S1F_jjS1H_bEUljE0_EEES10_S11_S12_S19_S1D_S1F_T6_T7_T9_mT8_S1H_bDpT10_ENKUlT_T0_E_clISt17integral_constantIbLb0EES1V_EEDaS1Q_S1R_EUlS1Q_E_NS1_11comp_targetILNS1_3genE8ELNS1_11target_archE1030ELNS1_3gpuE2ELNS1_3repE0EEENS1_30default_config_static_selectorELNS0_4arch9wavefront6targetE0EEEvS13_.uses_vcc, 0
	.set _ZN7rocprim17ROCPRIM_400000_NS6detail17trampoline_kernelINS0_13select_configILj256ELj13ELNS0_17block_load_methodE3ELS4_3ELS4_3ELNS0_20block_scan_algorithmE0ELj4294967295EEENS1_25partition_config_selectorILNS1_17partition_subalgoE4EjNS0_10empty_typeEbEEZZNS1_14partition_implILS8_4ELb0ES6_15HIP_vector_typeIjLj2EENS0_17counting_iteratorIjlEEPS9_SG_NS0_5tupleIJPjSI_NS0_16reverse_iteratorISI_EEEEENSH_IJSG_SG_SG_EEES9_SI_JZNS1_25segmented_radix_sort_implINS0_14default_configELb0EPK6__halfPSP_PKlPlN2at6native12_GLOBAL__N_18offset_tEEE10hipError_tPvRmT1_PNSt15iterator_traitsIS13_E10value_typeET2_T3_PNS14_IS19_E10value_typeET4_jRbjT5_S1F_jjP12ihipStream_tbEUljE_ZNSN_ISO_Lb0ESR_SS_SU_SV_SZ_EES10_S11_S12_S13_S17_S18_S19_S1C_S1D_jS1E_jS1F_S1F_jjS1H_bEUljE0_EEES10_S11_S12_S19_S1D_S1F_T6_T7_T9_mT8_S1H_bDpT10_ENKUlT_T0_E_clISt17integral_constantIbLb0EES1V_EEDaS1Q_S1R_EUlS1Q_E_NS1_11comp_targetILNS1_3genE8ELNS1_11target_archE1030ELNS1_3gpuE2ELNS1_3repE0EEENS1_30default_config_static_selectorELNS0_4arch9wavefront6targetE0EEEvS13_.uses_flat_scratch, 0
	.set _ZN7rocprim17ROCPRIM_400000_NS6detail17trampoline_kernelINS0_13select_configILj256ELj13ELNS0_17block_load_methodE3ELS4_3ELS4_3ELNS0_20block_scan_algorithmE0ELj4294967295EEENS1_25partition_config_selectorILNS1_17partition_subalgoE4EjNS0_10empty_typeEbEEZZNS1_14partition_implILS8_4ELb0ES6_15HIP_vector_typeIjLj2EENS0_17counting_iteratorIjlEEPS9_SG_NS0_5tupleIJPjSI_NS0_16reverse_iteratorISI_EEEEENSH_IJSG_SG_SG_EEES9_SI_JZNS1_25segmented_radix_sort_implINS0_14default_configELb0EPK6__halfPSP_PKlPlN2at6native12_GLOBAL__N_18offset_tEEE10hipError_tPvRmT1_PNSt15iterator_traitsIS13_E10value_typeET2_T3_PNS14_IS19_E10value_typeET4_jRbjT5_S1F_jjP12ihipStream_tbEUljE_ZNSN_ISO_Lb0ESR_SS_SU_SV_SZ_EES10_S11_S12_S13_S17_S18_S19_S1C_S1D_jS1E_jS1F_S1F_jjS1H_bEUljE0_EEES10_S11_S12_S19_S1D_S1F_T6_T7_T9_mT8_S1H_bDpT10_ENKUlT_T0_E_clISt17integral_constantIbLb0EES1V_EEDaS1Q_S1R_EUlS1Q_E_NS1_11comp_targetILNS1_3genE8ELNS1_11target_archE1030ELNS1_3gpuE2ELNS1_3repE0EEENS1_30default_config_static_selectorELNS0_4arch9wavefront6targetE0EEEvS13_.has_dyn_sized_stack, 0
	.set _ZN7rocprim17ROCPRIM_400000_NS6detail17trampoline_kernelINS0_13select_configILj256ELj13ELNS0_17block_load_methodE3ELS4_3ELS4_3ELNS0_20block_scan_algorithmE0ELj4294967295EEENS1_25partition_config_selectorILNS1_17partition_subalgoE4EjNS0_10empty_typeEbEEZZNS1_14partition_implILS8_4ELb0ES6_15HIP_vector_typeIjLj2EENS0_17counting_iteratorIjlEEPS9_SG_NS0_5tupleIJPjSI_NS0_16reverse_iteratorISI_EEEEENSH_IJSG_SG_SG_EEES9_SI_JZNS1_25segmented_radix_sort_implINS0_14default_configELb0EPK6__halfPSP_PKlPlN2at6native12_GLOBAL__N_18offset_tEEE10hipError_tPvRmT1_PNSt15iterator_traitsIS13_E10value_typeET2_T3_PNS14_IS19_E10value_typeET4_jRbjT5_S1F_jjP12ihipStream_tbEUljE_ZNSN_ISO_Lb0ESR_SS_SU_SV_SZ_EES10_S11_S12_S13_S17_S18_S19_S1C_S1D_jS1E_jS1F_S1F_jjS1H_bEUljE0_EEES10_S11_S12_S19_S1D_S1F_T6_T7_T9_mT8_S1H_bDpT10_ENKUlT_T0_E_clISt17integral_constantIbLb0EES1V_EEDaS1Q_S1R_EUlS1Q_E_NS1_11comp_targetILNS1_3genE8ELNS1_11target_archE1030ELNS1_3gpuE2ELNS1_3repE0EEENS1_30default_config_static_selectorELNS0_4arch9wavefront6targetE0EEEvS13_.has_recursion, 0
	.set _ZN7rocprim17ROCPRIM_400000_NS6detail17trampoline_kernelINS0_13select_configILj256ELj13ELNS0_17block_load_methodE3ELS4_3ELS4_3ELNS0_20block_scan_algorithmE0ELj4294967295EEENS1_25partition_config_selectorILNS1_17partition_subalgoE4EjNS0_10empty_typeEbEEZZNS1_14partition_implILS8_4ELb0ES6_15HIP_vector_typeIjLj2EENS0_17counting_iteratorIjlEEPS9_SG_NS0_5tupleIJPjSI_NS0_16reverse_iteratorISI_EEEEENSH_IJSG_SG_SG_EEES9_SI_JZNS1_25segmented_radix_sort_implINS0_14default_configELb0EPK6__halfPSP_PKlPlN2at6native12_GLOBAL__N_18offset_tEEE10hipError_tPvRmT1_PNSt15iterator_traitsIS13_E10value_typeET2_T3_PNS14_IS19_E10value_typeET4_jRbjT5_S1F_jjP12ihipStream_tbEUljE_ZNSN_ISO_Lb0ESR_SS_SU_SV_SZ_EES10_S11_S12_S13_S17_S18_S19_S1C_S1D_jS1E_jS1F_S1F_jjS1H_bEUljE0_EEES10_S11_S12_S19_S1D_S1F_T6_T7_T9_mT8_S1H_bDpT10_ENKUlT_T0_E_clISt17integral_constantIbLb0EES1V_EEDaS1Q_S1R_EUlS1Q_E_NS1_11comp_targetILNS1_3genE8ELNS1_11target_archE1030ELNS1_3gpuE2ELNS1_3repE0EEENS1_30default_config_static_selectorELNS0_4arch9wavefront6targetE0EEEvS13_.has_indirect_call, 0
	.section	.AMDGPU.csdata,"",@progbits
; Kernel info:
; codeLenInByte = 0
; TotalNumSgprs: 0
; NumVgprs: 0
; ScratchSize: 0
; MemoryBound: 0
; FloatMode: 240
; IeeeMode: 1
; LDSByteSize: 0 bytes/workgroup (compile time only)
; SGPRBlocks: 0
; VGPRBlocks: 0
; NumSGPRsForWavesPerEU: 1
; NumVGPRsForWavesPerEU: 1
; NamedBarCnt: 0
; Occupancy: 16
; WaveLimiterHint : 0
; COMPUTE_PGM_RSRC2:SCRATCH_EN: 0
; COMPUTE_PGM_RSRC2:USER_SGPR: 2
; COMPUTE_PGM_RSRC2:TRAP_HANDLER: 0
; COMPUTE_PGM_RSRC2:TGID_X_EN: 1
; COMPUTE_PGM_RSRC2:TGID_Y_EN: 0
; COMPUTE_PGM_RSRC2:TGID_Z_EN: 0
; COMPUTE_PGM_RSRC2:TIDIG_COMP_CNT: 0
	.section	.text._ZN7rocprim17ROCPRIM_400000_NS6detail17trampoline_kernelINS0_13select_configILj256ELj13ELNS0_17block_load_methodE3ELS4_3ELS4_3ELNS0_20block_scan_algorithmE0ELj4294967295EEENS1_25partition_config_selectorILNS1_17partition_subalgoE4EjNS0_10empty_typeEbEEZZNS1_14partition_implILS8_4ELb0ES6_15HIP_vector_typeIjLj2EENS0_17counting_iteratorIjlEEPS9_SG_NS0_5tupleIJPjSI_NS0_16reverse_iteratorISI_EEEEENSH_IJSG_SG_SG_EEES9_SI_JZNS1_25segmented_radix_sort_implINS0_14default_configELb0EPK6__halfPSP_PKlPlN2at6native12_GLOBAL__N_18offset_tEEE10hipError_tPvRmT1_PNSt15iterator_traitsIS13_E10value_typeET2_T3_PNS14_IS19_E10value_typeET4_jRbjT5_S1F_jjP12ihipStream_tbEUljE_ZNSN_ISO_Lb0ESR_SS_SU_SV_SZ_EES10_S11_S12_S13_S17_S18_S19_S1C_S1D_jS1E_jS1F_S1F_jjS1H_bEUljE0_EEES10_S11_S12_S19_S1D_S1F_T6_T7_T9_mT8_S1H_bDpT10_ENKUlT_T0_E_clISt17integral_constantIbLb1EES1V_EEDaS1Q_S1R_EUlS1Q_E_NS1_11comp_targetILNS1_3genE0ELNS1_11target_archE4294967295ELNS1_3gpuE0ELNS1_3repE0EEENS1_30default_config_static_selectorELNS0_4arch9wavefront6targetE0EEEvS13_,"axG",@progbits,_ZN7rocprim17ROCPRIM_400000_NS6detail17trampoline_kernelINS0_13select_configILj256ELj13ELNS0_17block_load_methodE3ELS4_3ELS4_3ELNS0_20block_scan_algorithmE0ELj4294967295EEENS1_25partition_config_selectorILNS1_17partition_subalgoE4EjNS0_10empty_typeEbEEZZNS1_14partition_implILS8_4ELb0ES6_15HIP_vector_typeIjLj2EENS0_17counting_iteratorIjlEEPS9_SG_NS0_5tupleIJPjSI_NS0_16reverse_iteratorISI_EEEEENSH_IJSG_SG_SG_EEES9_SI_JZNS1_25segmented_radix_sort_implINS0_14default_configELb0EPK6__halfPSP_PKlPlN2at6native12_GLOBAL__N_18offset_tEEE10hipError_tPvRmT1_PNSt15iterator_traitsIS13_E10value_typeET2_T3_PNS14_IS19_E10value_typeET4_jRbjT5_S1F_jjP12ihipStream_tbEUljE_ZNSN_ISO_Lb0ESR_SS_SU_SV_SZ_EES10_S11_S12_S13_S17_S18_S19_S1C_S1D_jS1E_jS1F_S1F_jjS1H_bEUljE0_EEES10_S11_S12_S19_S1D_S1F_T6_T7_T9_mT8_S1H_bDpT10_ENKUlT_T0_E_clISt17integral_constantIbLb1EES1V_EEDaS1Q_S1R_EUlS1Q_E_NS1_11comp_targetILNS1_3genE0ELNS1_11target_archE4294967295ELNS1_3gpuE0ELNS1_3repE0EEENS1_30default_config_static_selectorELNS0_4arch9wavefront6targetE0EEEvS13_,comdat
	.globl	_ZN7rocprim17ROCPRIM_400000_NS6detail17trampoline_kernelINS0_13select_configILj256ELj13ELNS0_17block_load_methodE3ELS4_3ELS4_3ELNS0_20block_scan_algorithmE0ELj4294967295EEENS1_25partition_config_selectorILNS1_17partition_subalgoE4EjNS0_10empty_typeEbEEZZNS1_14partition_implILS8_4ELb0ES6_15HIP_vector_typeIjLj2EENS0_17counting_iteratorIjlEEPS9_SG_NS0_5tupleIJPjSI_NS0_16reverse_iteratorISI_EEEEENSH_IJSG_SG_SG_EEES9_SI_JZNS1_25segmented_radix_sort_implINS0_14default_configELb0EPK6__halfPSP_PKlPlN2at6native12_GLOBAL__N_18offset_tEEE10hipError_tPvRmT1_PNSt15iterator_traitsIS13_E10value_typeET2_T3_PNS14_IS19_E10value_typeET4_jRbjT5_S1F_jjP12ihipStream_tbEUljE_ZNSN_ISO_Lb0ESR_SS_SU_SV_SZ_EES10_S11_S12_S13_S17_S18_S19_S1C_S1D_jS1E_jS1F_S1F_jjS1H_bEUljE0_EEES10_S11_S12_S19_S1D_S1F_T6_T7_T9_mT8_S1H_bDpT10_ENKUlT_T0_E_clISt17integral_constantIbLb1EES1V_EEDaS1Q_S1R_EUlS1Q_E_NS1_11comp_targetILNS1_3genE0ELNS1_11target_archE4294967295ELNS1_3gpuE0ELNS1_3repE0EEENS1_30default_config_static_selectorELNS0_4arch9wavefront6targetE0EEEvS13_ ; -- Begin function _ZN7rocprim17ROCPRIM_400000_NS6detail17trampoline_kernelINS0_13select_configILj256ELj13ELNS0_17block_load_methodE3ELS4_3ELS4_3ELNS0_20block_scan_algorithmE0ELj4294967295EEENS1_25partition_config_selectorILNS1_17partition_subalgoE4EjNS0_10empty_typeEbEEZZNS1_14partition_implILS8_4ELb0ES6_15HIP_vector_typeIjLj2EENS0_17counting_iteratorIjlEEPS9_SG_NS0_5tupleIJPjSI_NS0_16reverse_iteratorISI_EEEEENSH_IJSG_SG_SG_EEES9_SI_JZNS1_25segmented_radix_sort_implINS0_14default_configELb0EPK6__halfPSP_PKlPlN2at6native12_GLOBAL__N_18offset_tEEE10hipError_tPvRmT1_PNSt15iterator_traitsIS13_E10value_typeET2_T3_PNS14_IS19_E10value_typeET4_jRbjT5_S1F_jjP12ihipStream_tbEUljE_ZNSN_ISO_Lb0ESR_SS_SU_SV_SZ_EES10_S11_S12_S13_S17_S18_S19_S1C_S1D_jS1E_jS1F_S1F_jjS1H_bEUljE0_EEES10_S11_S12_S19_S1D_S1F_T6_T7_T9_mT8_S1H_bDpT10_ENKUlT_T0_E_clISt17integral_constantIbLb1EES1V_EEDaS1Q_S1R_EUlS1Q_E_NS1_11comp_targetILNS1_3genE0ELNS1_11target_archE4294967295ELNS1_3gpuE0ELNS1_3repE0EEENS1_30default_config_static_selectorELNS0_4arch9wavefront6targetE0EEEvS13_
	.p2align	8
	.type	_ZN7rocprim17ROCPRIM_400000_NS6detail17trampoline_kernelINS0_13select_configILj256ELj13ELNS0_17block_load_methodE3ELS4_3ELS4_3ELNS0_20block_scan_algorithmE0ELj4294967295EEENS1_25partition_config_selectorILNS1_17partition_subalgoE4EjNS0_10empty_typeEbEEZZNS1_14partition_implILS8_4ELb0ES6_15HIP_vector_typeIjLj2EENS0_17counting_iteratorIjlEEPS9_SG_NS0_5tupleIJPjSI_NS0_16reverse_iteratorISI_EEEEENSH_IJSG_SG_SG_EEES9_SI_JZNS1_25segmented_radix_sort_implINS0_14default_configELb0EPK6__halfPSP_PKlPlN2at6native12_GLOBAL__N_18offset_tEEE10hipError_tPvRmT1_PNSt15iterator_traitsIS13_E10value_typeET2_T3_PNS14_IS19_E10value_typeET4_jRbjT5_S1F_jjP12ihipStream_tbEUljE_ZNSN_ISO_Lb0ESR_SS_SU_SV_SZ_EES10_S11_S12_S13_S17_S18_S19_S1C_S1D_jS1E_jS1F_S1F_jjS1H_bEUljE0_EEES10_S11_S12_S19_S1D_S1F_T6_T7_T9_mT8_S1H_bDpT10_ENKUlT_T0_E_clISt17integral_constantIbLb1EES1V_EEDaS1Q_S1R_EUlS1Q_E_NS1_11comp_targetILNS1_3genE0ELNS1_11target_archE4294967295ELNS1_3gpuE0ELNS1_3repE0EEENS1_30default_config_static_selectorELNS0_4arch9wavefront6targetE0EEEvS13_,@function
_ZN7rocprim17ROCPRIM_400000_NS6detail17trampoline_kernelINS0_13select_configILj256ELj13ELNS0_17block_load_methodE3ELS4_3ELS4_3ELNS0_20block_scan_algorithmE0ELj4294967295EEENS1_25partition_config_selectorILNS1_17partition_subalgoE4EjNS0_10empty_typeEbEEZZNS1_14partition_implILS8_4ELb0ES6_15HIP_vector_typeIjLj2EENS0_17counting_iteratorIjlEEPS9_SG_NS0_5tupleIJPjSI_NS0_16reverse_iteratorISI_EEEEENSH_IJSG_SG_SG_EEES9_SI_JZNS1_25segmented_radix_sort_implINS0_14default_configELb0EPK6__halfPSP_PKlPlN2at6native12_GLOBAL__N_18offset_tEEE10hipError_tPvRmT1_PNSt15iterator_traitsIS13_E10value_typeET2_T3_PNS14_IS19_E10value_typeET4_jRbjT5_S1F_jjP12ihipStream_tbEUljE_ZNSN_ISO_Lb0ESR_SS_SU_SV_SZ_EES10_S11_S12_S13_S17_S18_S19_S1C_S1D_jS1E_jS1F_S1F_jjS1H_bEUljE0_EEES10_S11_S12_S19_S1D_S1F_T6_T7_T9_mT8_S1H_bDpT10_ENKUlT_T0_E_clISt17integral_constantIbLb1EES1V_EEDaS1Q_S1R_EUlS1Q_E_NS1_11comp_targetILNS1_3genE0ELNS1_11target_archE4294967295ELNS1_3gpuE0ELNS1_3repE0EEENS1_30default_config_static_selectorELNS0_4arch9wavefront6targetE0EEEvS13_: ; @_ZN7rocprim17ROCPRIM_400000_NS6detail17trampoline_kernelINS0_13select_configILj256ELj13ELNS0_17block_load_methodE3ELS4_3ELS4_3ELNS0_20block_scan_algorithmE0ELj4294967295EEENS1_25partition_config_selectorILNS1_17partition_subalgoE4EjNS0_10empty_typeEbEEZZNS1_14partition_implILS8_4ELb0ES6_15HIP_vector_typeIjLj2EENS0_17counting_iteratorIjlEEPS9_SG_NS0_5tupleIJPjSI_NS0_16reverse_iteratorISI_EEEEENSH_IJSG_SG_SG_EEES9_SI_JZNS1_25segmented_radix_sort_implINS0_14default_configELb0EPK6__halfPSP_PKlPlN2at6native12_GLOBAL__N_18offset_tEEE10hipError_tPvRmT1_PNSt15iterator_traitsIS13_E10value_typeET2_T3_PNS14_IS19_E10value_typeET4_jRbjT5_S1F_jjP12ihipStream_tbEUljE_ZNSN_ISO_Lb0ESR_SS_SU_SV_SZ_EES10_S11_S12_S13_S17_S18_S19_S1C_S1D_jS1E_jS1F_S1F_jjS1H_bEUljE0_EEES10_S11_S12_S19_S1D_S1F_T6_T7_T9_mT8_S1H_bDpT10_ENKUlT_T0_E_clISt17integral_constantIbLb1EES1V_EEDaS1Q_S1R_EUlS1Q_E_NS1_11comp_targetILNS1_3genE0ELNS1_11target_archE4294967295ELNS1_3gpuE0ELNS1_3repE0EEENS1_30default_config_static_selectorELNS0_4arch9wavefront6targetE0EEEvS13_
; %bb.0:
	s_endpgm
	.section	.rodata,"a",@progbits
	.p2align	6, 0x0
	.amdhsa_kernel _ZN7rocprim17ROCPRIM_400000_NS6detail17trampoline_kernelINS0_13select_configILj256ELj13ELNS0_17block_load_methodE3ELS4_3ELS4_3ELNS0_20block_scan_algorithmE0ELj4294967295EEENS1_25partition_config_selectorILNS1_17partition_subalgoE4EjNS0_10empty_typeEbEEZZNS1_14partition_implILS8_4ELb0ES6_15HIP_vector_typeIjLj2EENS0_17counting_iteratorIjlEEPS9_SG_NS0_5tupleIJPjSI_NS0_16reverse_iteratorISI_EEEEENSH_IJSG_SG_SG_EEES9_SI_JZNS1_25segmented_radix_sort_implINS0_14default_configELb0EPK6__halfPSP_PKlPlN2at6native12_GLOBAL__N_18offset_tEEE10hipError_tPvRmT1_PNSt15iterator_traitsIS13_E10value_typeET2_T3_PNS14_IS19_E10value_typeET4_jRbjT5_S1F_jjP12ihipStream_tbEUljE_ZNSN_ISO_Lb0ESR_SS_SU_SV_SZ_EES10_S11_S12_S13_S17_S18_S19_S1C_S1D_jS1E_jS1F_S1F_jjS1H_bEUljE0_EEES10_S11_S12_S19_S1D_S1F_T6_T7_T9_mT8_S1H_bDpT10_ENKUlT_T0_E_clISt17integral_constantIbLb1EES1V_EEDaS1Q_S1R_EUlS1Q_E_NS1_11comp_targetILNS1_3genE0ELNS1_11target_archE4294967295ELNS1_3gpuE0ELNS1_3repE0EEENS1_30default_config_static_selectorELNS0_4arch9wavefront6targetE0EEEvS13_
		.amdhsa_group_segment_fixed_size 0
		.amdhsa_private_segment_fixed_size 0
		.amdhsa_kernarg_size 184
		.amdhsa_user_sgpr_count 2
		.amdhsa_user_sgpr_dispatch_ptr 0
		.amdhsa_user_sgpr_queue_ptr 0
		.amdhsa_user_sgpr_kernarg_segment_ptr 1
		.amdhsa_user_sgpr_dispatch_id 0
		.amdhsa_user_sgpr_kernarg_preload_length 0
		.amdhsa_user_sgpr_kernarg_preload_offset 0
		.amdhsa_user_sgpr_private_segment_size 0
		.amdhsa_wavefront_size32 1
		.amdhsa_uses_dynamic_stack 0
		.amdhsa_enable_private_segment 0
		.amdhsa_system_sgpr_workgroup_id_x 1
		.amdhsa_system_sgpr_workgroup_id_y 0
		.amdhsa_system_sgpr_workgroup_id_z 0
		.amdhsa_system_sgpr_workgroup_info 0
		.amdhsa_system_vgpr_workitem_id 0
		.amdhsa_next_free_vgpr 1
		.amdhsa_next_free_sgpr 1
		.amdhsa_named_barrier_count 0
		.amdhsa_reserve_vcc 0
		.amdhsa_float_round_mode_32 0
		.amdhsa_float_round_mode_16_64 0
		.amdhsa_float_denorm_mode_32 3
		.amdhsa_float_denorm_mode_16_64 3
		.amdhsa_fp16_overflow 0
		.amdhsa_memory_ordered 1
		.amdhsa_forward_progress 1
		.amdhsa_inst_pref_size 1
		.amdhsa_round_robin_scheduling 0
		.amdhsa_exception_fp_ieee_invalid_op 0
		.amdhsa_exception_fp_denorm_src 0
		.amdhsa_exception_fp_ieee_div_zero 0
		.amdhsa_exception_fp_ieee_overflow 0
		.amdhsa_exception_fp_ieee_underflow 0
		.amdhsa_exception_fp_ieee_inexact 0
		.amdhsa_exception_int_div_zero 0
	.end_amdhsa_kernel
	.section	.text._ZN7rocprim17ROCPRIM_400000_NS6detail17trampoline_kernelINS0_13select_configILj256ELj13ELNS0_17block_load_methodE3ELS4_3ELS4_3ELNS0_20block_scan_algorithmE0ELj4294967295EEENS1_25partition_config_selectorILNS1_17partition_subalgoE4EjNS0_10empty_typeEbEEZZNS1_14partition_implILS8_4ELb0ES6_15HIP_vector_typeIjLj2EENS0_17counting_iteratorIjlEEPS9_SG_NS0_5tupleIJPjSI_NS0_16reverse_iteratorISI_EEEEENSH_IJSG_SG_SG_EEES9_SI_JZNS1_25segmented_radix_sort_implINS0_14default_configELb0EPK6__halfPSP_PKlPlN2at6native12_GLOBAL__N_18offset_tEEE10hipError_tPvRmT1_PNSt15iterator_traitsIS13_E10value_typeET2_T3_PNS14_IS19_E10value_typeET4_jRbjT5_S1F_jjP12ihipStream_tbEUljE_ZNSN_ISO_Lb0ESR_SS_SU_SV_SZ_EES10_S11_S12_S13_S17_S18_S19_S1C_S1D_jS1E_jS1F_S1F_jjS1H_bEUljE0_EEES10_S11_S12_S19_S1D_S1F_T6_T7_T9_mT8_S1H_bDpT10_ENKUlT_T0_E_clISt17integral_constantIbLb1EES1V_EEDaS1Q_S1R_EUlS1Q_E_NS1_11comp_targetILNS1_3genE0ELNS1_11target_archE4294967295ELNS1_3gpuE0ELNS1_3repE0EEENS1_30default_config_static_selectorELNS0_4arch9wavefront6targetE0EEEvS13_,"axG",@progbits,_ZN7rocprim17ROCPRIM_400000_NS6detail17trampoline_kernelINS0_13select_configILj256ELj13ELNS0_17block_load_methodE3ELS4_3ELS4_3ELNS0_20block_scan_algorithmE0ELj4294967295EEENS1_25partition_config_selectorILNS1_17partition_subalgoE4EjNS0_10empty_typeEbEEZZNS1_14partition_implILS8_4ELb0ES6_15HIP_vector_typeIjLj2EENS0_17counting_iteratorIjlEEPS9_SG_NS0_5tupleIJPjSI_NS0_16reverse_iteratorISI_EEEEENSH_IJSG_SG_SG_EEES9_SI_JZNS1_25segmented_radix_sort_implINS0_14default_configELb0EPK6__halfPSP_PKlPlN2at6native12_GLOBAL__N_18offset_tEEE10hipError_tPvRmT1_PNSt15iterator_traitsIS13_E10value_typeET2_T3_PNS14_IS19_E10value_typeET4_jRbjT5_S1F_jjP12ihipStream_tbEUljE_ZNSN_ISO_Lb0ESR_SS_SU_SV_SZ_EES10_S11_S12_S13_S17_S18_S19_S1C_S1D_jS1E_jS1F_S1F_jjS1H_bEUljE0_EEES10_S11_S12_S19_S1D_S1F_T6_T7_T9_mT8_S1H_bDpT10_ENKUlT_T0_E_clISt17integral_constantIbLb1EES1V_EEDaS1Q_S1R_EUlS1Q_E_NS1_11comp_targetILNS1_3genE0ELNS1_11target_archE4294967295ELNS1_3gpuE0ELNS1_3repE0EEENS1_30default_config_static_selectorELNS0_4arch9wavefront6targetE0EEEvS13_,comdat
.Lfunc_end1776:
	.size	_ZN7rocprim17ROCPRIM_400000_NS6detail17trampoline_kernelINS0_13select_configILj256ELj13ELNS0_17block_load_methodE3ELS4_3ELS4_3ELNS0_20block_scan_algorithmE0ELj4294967295EEENS1_25partition_config_selectorILNS1_17partition_subalgoE4EjNS0_10empty_typeEbEEZZNS1_14partition_implILS8_4ELb0ES6_15HIP_vector_typeIjLj2EENS0_17counting_iteratorIjlEEPS9_SG_NS0_5tupleIJPjSI_NS0_16reverse_iteratorISI_EEEEENSH_IJSG_SG_SG_EEES9_SI_JZNS1_25segmented_radix_sort_implINS0_14default_configELb0EPK6__halfPSP_PKlPlN2at6native12_GLOBAL__N_18offset_tEEE10hipError_tPvRmT1_PNSt15iterator_traitsIS13_E10value_typeET2_T3_PNS14_IS19_E10value_typeET4_jRbjT5_S1F_jjP12ihipStream_tbEUljE_ZNSN_ISO_Lb0ESR_SS_SU_SV_SZ_EES10_S11_S12_S13_S17_S18_S19_S1C_S1D_jS1E_jS1F_S1F_jjS1H_bEUljE0_EEES10_S11_S12_S19_S1D_S1F_T6_T7_T9_mT8_S1H_bDpT10_ENKUlT_T0_E_clISt17integral_constantIbLb1EES1V_EEDaS1Q_S1R_EUlS1Q_E_NS1_11comp_targetILNS1_3genE0ELNS1_11target_archE4294967295ELNS1_3gpuE0ELNS1_3repE0EEENS1_30default_config_static_selectorELNS0_4arch9wavefront6targetE0EEEvS13_, .Lfunc_end1776-_ZN7rocprim17ROCPRIM_400000_NS6detail17trampoline_kernelINS0_13select_configILj256ELj13ELNS0_17block_load_methodE3ELS4_3ELS4_3ELNS0_20block_scan_algorithmE0ELj4294967295EEENS1_25partition_config_selectorILNS1_17partition_subalgoE4EjNS0_10empty_typeEbEEZZNS1_14partition_implILS8_4ELb0ES6_15HIP_vector_typeIjLj2EENS0_17counting_iteratorIjlEEPS9_SG_NS0_5tupleIJPjSI_NS0_16reverse_iteratorISI_EEEEENSH_IJSG_SG_SG_EEES9_SI_JZNS1_25segmented_radix_sort_implINS0_14default_configELb0EPK6__halfPSP_PKlPlN2at6native12_GLOBAL__N_18offset_tEEE10hipError_tPvRmT1_PNSt15iterator_traitsIS13_E10value_typeET2_T3_PNS14_IS19_E10value_typeET4_jRbjT5_S1F_jjP12ihipStream_tbEUljE_ZNSN_ISO_Lb0ESR_SS_SU_SV_SZ_EES10_S11_S12_S13_S17_S18_S19_S1C_S1D_jS1E_jS1F_S1F_jjS1H_bEUljE0_EEES10_S11_S12_S19_S1D_S1F_T6_T7_T9_mT8_S1H_bDpT10_ENKUlT_T0_E_clISt17integral_constantIbLb1EES1V_EEDaS1Q_S1R_EUlS1Q_E_NS1_11comp_targetILNS1_3genE0ELNS1_11target_archE4294967295ELNS1_3gpuE0ELNS1_3repE0EEENS1_30default_config_static_selectorELNS0_4arch9wavefront6targetE0EEEvS13_
                                        ; -- End function
	.set _ZN7rocprim17ROCPRIM_400000_NS6detail17trampoline_kernelINS0_13select_configILj256ELj13ELNS0_17block_load_methodE3ELS4_3ELS4_3ELNS0_20block_scan_algorithmE0ELj4294967295EEENS1_25partition_config_selectorILNS1_17partition_subalgoE4EjNS0_10empty_typeEbEEZZNS1_14partition_implILS8_4ELb0ES6_15HIP_vector_typeIjLj2EENS0_17counting_iteratorIjlEEPS9_SG_NS0_5tupleIJPjSI_NS0_16reverse_iteratorISI_EEEEENSH_IJSG_SG_SG_EEES9_SI_JZNS1_25segmented_radix_sort_implINS0_14default_configELb0EPK6__halfPSP_PKlPlN2at6native12_GLOBAL__N_18offset_tEEE10hipError_tPvRmT1_PNSt15iterator_traitsIS13_E10value_typeET2_T3_PNS14_IS19_E10value_typeET4_jRbjT5_S1F_jjP12ihipStream_tbEUljE_ZNSN_ISO_Lb0ESR_SS_SU_SV_SZ_EES10_S11_S12_S13_S17_S18_S19_S1C_S1D_jS1E_jS1F_S1F_jjS1H_bEUljE0_EEES10_S11_S12_S19_S1D_S1F_T6_T7_T9_mT8_S1H_bDpT10_ENKUlT_T0_E_clISt17integral_constantIbLb1EES1V_EEDaS1Q_S1R_EUlS1Q_E_NS1_11comp_targetILNS1_3genE0ELNS1_11target_archE4294967295ELNS1_3gpuE0ELNS1_3repE0EEENS1_30default_config_static_selectorELNS0_4arch9wavefront6targetE0EEEvS13_.num_vgpr, 0
	.set _ZN7rocprim17ROCPRIM_400000_NS6detail17trampoline_kernelINS0_13select_configILj256ELj13ELNS0_17block_load_methodE3ELS4_3ELS4_3ELNS0_20block_scan_algorithmE0ELj4294967295EEENS1_25partition_config_selectorILNS1_17partition_subalgoE4EjNS0_10empty_typeEbEEZZNS1_14partition_implILS8_4ELb0ES6_15HIP_vector_typeIjLj2EENS0_17counting_iteratorIjlEEPS9_SG_NS0_5tupleIJPjSI_NS0_16reverse_iteratorISI_EEEEENSH_IJSG_SG_SG_EEES9_SI_JZNS1_25segmented_radix_sort_implINS0_14default_configELb0EPK6__halfPSP_PKlPlN2at6native12_GLOBAL__N_18offset_tEEE10hipError_tPvRmT1_PNSt15iterator_traitsIS13_E10value_typeET2_T3_PNS14_IS19_E10value_typeET4_jRbjT5_S1F_jjP12ihipStream_tbEUljE_ZNSN_ISO_Lb0ESR_SS_SU_SV_SZ_EES10_S11_S12_S13_S17_S18_S19_S1C_S1D_jS1E_jS1F_S1F_jjS1H_bEUljE0_EEES10_S11_S12_S19_S1D_S1F_T6_T7_T9_mT8_S1H_bDpT10_ENKUlT_T0_E_clISt17integral_constantIbLb1EES1V_EEDaS1Q_S1R_EUlS1Q_E_NS1_11comp_targetILNS1_3genE0ELNS1_11target_archE4294967295ELNS1_3gpuE0ELNS1_3repE0EEENS1_30default_config_static_selectorELNS0_4arch9wavefront6targetE0EEEvS13_.num_agpr, 0
	.set _ZN7rocprim17ROCPRIM_400000_NS6detail17trampoline_kernelINS0_13select_configILj256ELj13ELNS0_17block_load_methodE3ELS4_3ELS4_3ELNS0_20block_scan_algorithmE0ELj4294967295EEENS1_25partition_config_selectorILNS1_17partition_subalgoE4EjNS0_10empty_typeEbEEZZNS1_14partition_implILS8_4ELb0ES6_15HIP_vector_typeIjLj2EENS0_17counting_iteratorIjlEEPS9_SG_NS0_5tupleIJPjSI_NS0_16reverse_iteratorISI_EEEEENSH_IJSG_SG_SG_EEES9_SI_JZNS1_25segmented_radix_sort_implINS0_14default_configELb0EPK6__halfPSP_PKlPlN2at6native12_GLOBAL__N_18offset_tEEE10hipError_tPvRmT1_PNSt15iterator_traitsIS13_E10value_typeET2_T3_PNS14_IS19_E10value_typeET4_jRbjT5_S1F_jjP12ihipStream_tbEUljE_ZNSN_ISO_Lb0ESR_SS_SU_SV_SZ_EES10_S11_S12_S13_S17_S18_S19_S1C_S1D_jS1E_jS1F_S1F_jjS1H_bEUljE0_EEES10_S11_S12_S19_S1D_S1F_T6_T7_T9_mT8_S1H_bDpT10_ENKUlT_T0_E_clISt17integral_constantIbLb1EES1V_EEDaS1Q_S1R_EUlS1Q_E_NS1_11comp_targetILNS1_3genE0ELNS1_11target_archE4294967295ELNS1_3gpuE0ELNS1_3repE0EEENS1_30default_config_static_selectorELNS0_4arch9wavefront6targetE0EEEvS13_.numbered_sgpr, 0
	.set _ZN7rocprim17ROCPRIM_400000_NS6detail17trampoline_kernelINS0_13select_configILj256ELj13ELNS0_17block_load_methodE3ELS4_3ELS4_3ELNS0_20block_scan_algorithmE0ELj4294967295EEENS1_25partition_config_selectorILNS1_17partition_subalgoE4EjNS0_10empty_typeEbEEZZNS1_14partition_implILS8_4ELb0ES6_15HIP_vector_typeIjLj2EENS0_17counting_iteratorIjlEEPS9_SG_NS0_5tupleIJPjSI_NS0_16reverse_iteratorISI_EEEEENSH_IJSG_SG_SG_EEES9_SI_JZNS1_25segmented_radix_sort_implINS0_14default_configELb0EPK6__halfPSP_PKlPlN2at6native12_GLOBAL__N_18offset_tEEE10hipError_tPvRmT1_PNSt15iterator_traitsIS13_E10value_typeET2_T3_PNS14_IS19_E10value_typeET4_jRbjT5_S1F_jjP12ihipStream_tbEUljE_ZNSN_ISO_Lb0ESR_SS_SU_SV_SZ_EES10_S11_S12_S13_S17_S18_S19_S1C_S1D_jS1E_jS1F_S1F_jjS1H_bEUljE0_EEES10_S11_S12_S19_S1D_S1F_T6_T7_T9_mT8_S1H_bDpT10_ENKUlT_T0_E_clISt17integral_constantIbLb1EES1V_EEDaS1Q_S1R_EUlS1Q_E_NS1_11comp_targetILNS1_3genE0ELNS1_11target_archE4294967295ELNS1_3gpuE0ELNS1_3repE0EEENS1_30default_config_static_selectorELNS0_4arch9wavefront6targetE0EEEvS13_.num_named_barrier, 0
	.set _ZN7rocprim17ROCPRIM_400000_NS6detail17trampoline_kernelINS0_13select_configILj256ELj13ELNS0_17block_load_methodE3ELS4_3ELS4_3ELNS0_20block_scan_algorithmE0ELj4294967295EEENS1_25partition_config_selectorILNS1_17partition_subalgoE4EjNS0_10empty_typeEbEEZZNS1_14partition_implILS8_4ELb0ES6_15HIP_vector_typeIjLj2EENS0_17counting_iteratorIjlEEPS9_SG_NS0_5tupleIJPjSI_NS0_16reverse_iteratorISI_EEEEENSH_IJSG_SG_SG_EEES9_SI_JZNS1_25segmented_radix_sort_implINS0_14default_configELb0EPK6__halfPSP_PKlPlN2at6native12_GLOBAL__N_18offset_tEEE10hipError_tPvRmT1_PNSt15iterator_traitsIS13_E10value_typeET2_T3_PNS14_IS19_E10value_typeET4_jRbjT5_S1F_jjP12ihipStream_tbEUljE_ZNSN_ISO_Lb0ESR_SS_SU_SV_SZ_EES10_S11_S12_S13_S17_S18_S19_S1C_S1D_jS1E_jS1F_S1F_jjS1H_bEUljE0_EEES10_S11_S12_S19_S1D_S1F_T6_T7_T9_mT8_S1H_bDpT10_ENKUlT_T0_E_clISt17integral_constantIbLb1EES1V_EEDaS1Q_S1R_EUlS1Q_E_NS1_11comp_targetILNS1_3genE0ELNS1_11target_archE4294967295ELNS1_3gpuE0ELNS1_3repE0EEENS1_30default_config_static_selectorELNS0_4arch9wavefront6targetE0EEEvS13_.private_seg_size, 0
	.set _ZN7rocprim17ROCPRIM_400000_NS6detail17trampoline_kernelINS0_13select_configILj256ELj13ELNS0_17block_load_methodE3ELS4_3ELS4_3ELNS0_20block_scan_algorithmE0ELj4294967295EEENS1_25partition_config_selectorILNS1_17partition_subalgoE4EjNS0_10empty_typeEbEEZZNS1_14partition_implILS8_4ELb0ES6_15HIP_vector_typeIjLj2EENS0_17counting_iteratorIjlEEPS9_SG_NS0_5tupleIJPjSI_NS0_16reverse_iteratorISI_EEEEENSH_IJSG_SG_SG_EEES9_SI_JZNS1_25segmented_radix_sort_implINS0_14default_configELb0EPK6__halfPSP_PKlPlN2at6native12_GLOBAL__N_18offset_tEEE10hipError_tPvRmT1_PNSt15iterator_traitsIS13_E10value_typeET2_T3_PNS14_IS19_E10value_typeET4_jRbjT5_S1F_jjP12ihipStream_tbEUljE_ZNSN_ISO_Lb0ESR_SS_SU_SV_SZ_EES10_S11_S12_S13_S17_S18_S19_S1C_S1D_jS1E_jS1F_S1F_jjS1H_bEUljE0_EEES10_S11_S12_S19_S1D_S1F_T6_T7_T9_mT8_S1H_bDpT10_ENKUlT_T0_E_clISt17integral_constantIbLb1EES1V_EEDaS1Q_S1R_EUlS1Q_E_NS1_11comp_targetILNS1_3genE0ELNS1_11target_archE4294967295ELNS1_3gpuE0ELNS1_3repE0EEENS1_30default_config_static_selectorELNS0_4arch9wavefront6targetE0EEEvS13_.uses_vcc, 0
	.set _ZN7rocprim17ROCPRIM_400000_NS6detail17trampoline_kernelINS0_13select_configILj256ELj13ELNS0_17block_load_methodE3ELS4_3ELS4_3ELNS0_20block_scan_algorithmE0ELj4294967295EEENS1_25partition_config_selectorILNS1_17partition_subalgoE4EjNS0_10empty_typeEbEEZZNS1_14partition_implILS8_4ELb0ES6_15HIP_vector_typeIjLj2EENS0_17counting_iteratorIjlEEPS9_SG_NS0_5tupleIJPjSI_NS0_16reverse_iteratorISI_EEEEENSH_IJSG_SG_SG_EEES9_SI_JZNS1_25segmented_radix_sort_implINS0_14default_configELb0EPK6__halfPSP_PKlPlN2at6native12_GLOBAL__N_18offset_tEEE10hipError_tPvRmT1_PNSt15iterator_traitsIS13_E10value_typeET2_T3_PNS14_IS19_E10value_typeET4_jRbjT5_S1F_jjP12ihipStream_tbEUljE_ZNSN_ISO_Lb0ESR_SS_SU_SV_SZ_EES10_S11_S12_S13_S17_S18_S19_S1C_S1D_jS1E_jS1F_S1F_jjS1H_bEUljE0_EEES10_S11_S12_S19_S1D_S1F_T6_T7_T9_mT8_S1H_bDpT10_ENKUlT_T0_E_clISt17integral_constantIbLb1EES1V_EEDaS1Q_S1R_EUlS1Q_E_NS1_11comp_targetILNS1_3genE0ELNS1_11target_archE4294967295ELNS1_3gpuE0ELNS1_3repE0EEENS1_30default_config_static_selectorELNS0_4arch9wavefront6targetE0EEEvS13_.uses_flat_scratch, 0
	.set _ZN7rocprim17ROCPRIM_400000_NS6detail17trampoline_kernelINS0_13select_configILj256ELj13ELNS0_17block_load_methodE3ELS4_3ELS4_3ELNS0_20block_scan_algorithmE0ELj4294967295EEENS1_25partition_config_selectorILNS1_17partition_subalgoE4EjNS0_10empty_typeEbEEZZNS1_14partition_implILS8_4ELb0ES6_15HIP_vector_typeIjLj2EENS0_17counting_iteratorIjlEEPS9_SG_NS0_5tupleIJPjSI_NS0_16reverse_iteratorISI_EEEEENSH_IJSG_SG_SG_EEES9_SI_JZNS1_25segmented_radix_sort_implINS0_14default_configELb0EPK6__halfPSP_PKlPlN2at6native12_GLOBAL__N_18offset_tEEE10hipError_tPvRmT1_PNSt15iterator_traitsIS13_E10value_typeET2_T3_PNS14_IS19_E10value_typeET4_jRbjT5_S1F_jjP12ihipStream_tbEUljE_ZNSN_ISO_Lb0ESR_SS_SU_SV_SZ_EES10_S11_S12_S13_S17_S18_S19_S1C_S1D_jS1E_jS1F_S1F_jjS1H_bEUljE0_EEES10_S11_S12_S19_S1D_S1F_T6_T7_T9_mT8_S1H_bDpT10_ENKUlT_T0_E_clISt17integral_constantIbLb1EES1V_EEDaS1Q_S1R_EUlS1Q_E_NS1_11comp_targetILNS1_3genE0ELNS1_11target_archE4294967295ELNS1_3gpuE0ELNS1_3repE0EEENS1_30default_config_static_selectorELNS0_4arch9wavefront6targetE0EEEvS13_.has_dyn_sized_stack, 0
	.set _ZN7rocprim17ROCPRIM_400000_NS6detail17trampoline_kernelINS0_13select_configILj256ELj13ELNS0_17block_load_methodE3ELS4_3ELS4_3ELNS0_20block_scan_algorithmE0ELj4294967295EEENS1_25partition_config_selectorILNS1_17partition_subalgoE4EjNS0_10empty_typeEbEEZZNS1_14partition_implILS8_4ELb0ES6_15HIP_vector_typeIjLj2EENS0_17counting_iteratorIjlEEPS9_SG_NS0_5tupleIJPjSI_NS0_16reverse_iteratorISI_EEEEENSH_IJSG_SG_SG_EEES9_SI_JZNS1_25segmented_radix_sort_implINS0_14default_configELb0EPK6__halfPSP_PKlPlN2at6native12_GLOBAL__N_18offset_tEEE10hipError_tPvRmT1_PNSt15iterator_traitsIS13_E10value_typeET2_T3_PNS14_IS19_E10value_typeET4_jRbjT5_S1F_jjP12ihipStream_tbEUljE_ZNSN_ISO_Lb0ESR_SS_SU_SV_SZ_EES10_S11_S12_S13_S17_S18_S19_S1C_S1D_jS1E_jS1F_S1F_jjS1H_bEUljE0_EEES10_S11_S12_S19_S1D_S1F_T6_T7_T9_mT8_S1H_bDpT10_ENKUlT_T0_E_clISt17integral_constantIbLb1EES1V_EEDaS1Q_S1R_EUlS1Q_E_NS1_11comp_targetILNS1_3genE0ELNS1_11target_archE4294967295ELNS1_3gpuE0ELNS1_3repE0EEENS1_30default_config_static_selectorELNS0_4arch9wavefront6targetE0EEEvS13_.has_recursion, 0
	.set _ZN7rocprim17ROCPRIM_400000_NS6detail17trampoline_kernelINS0_13select_configILj256ELj13ELNS0_17block_load_methodE3ELS4_3ELS4_3ELNS0_20block_scan_algorithmE0ELj4294967295EEENS1_25partition_config_selectorILNS1_17partition_subalgoE4EjNS0_10empty_typeEbEEZZNS1_14partition_implILS8_4ELb0ES6_15HIP_vector_typeIjLj2EENS0_17counting_iteratorIjlEEPS9_SG_NS0_5tupleIJPjSI_NS0_16reverse_iteratorISI_EEEEENSH_IJSG_SG_SG_EEES9_SI_JZNS1_25segmented_radix_sort_implINS0_14default_configELb0EPK6__halfPSP_PKlPlN2at6native12_GLOBAL__N_18offset_tEEE10hipError_tPvRmT1_PNSt15iterator_traitsIS13_E10value_typeET2_T3_PNS14_IS19_E10value_typeET4_jRbjT5_S1F_jjP12ihipStream_tbEUljE_ZNSN_ISO_Lb0ESR_SS_SU_SV_SZ_EES10_S11_S12_S13_S17_S18_S19_S1C_S1D_jS1E_jS1F_S1F_jjS1H_bEUljE0_EEES10_S11_S12_S19_S1D_S1F_T6_T7_T9_mT8_S1H_bDpT10_ENKUlT_T0_E_clISt17integral_constantIbLb1EES1V_EEDaS1Q_S1R_EUlS1Q_E_NS1_11comp_targetILNS1_3genE0ELNS1_11target_archE4294967295ELNS1_3gpuE0ELNS1_3repE0EEENS1_30default_config_static_selectorELNS0_4arch9wavefront6targetE0EEEvS13_.has_indirect_call, 0
	.section	.AMDGPU.csdata,"",@progbits
; Kernel info:
; codeLenInByte = 4
; TotalNumSgprs: 0
; NumVgprs: 0
; ScratchSize: 0
; MemoryBound: 0
; FloatMode: 240
; IeeeMode: 1
; LDSByteSize: 0 bytes/workgroup (compile time only)
; SGPRBlocks: 0
; VGPRBlocks: 0
; NumSGPRsForWavesPerEU: 1
; NumVGPRsForWavesPerEU: 1
; NamedBarCnt: 0
; Occupancy: 16
; WaveLimiterHint : 0
; COMPUTE_PGM_RSRC2:SCRATCH_EN: 0
; COMPUTE_PGM_RSRC2:USER_SGPR: 2
; COMPUTE_PGM_RSRC2:TRAP_HANDLER: 0
; COMPUTE_PGM_RSRC2:TGID_X_EN: 1
; COMPUTE_PGM_RSRC2:TGID_Y_EN: 0
; COMPUTE_PGM_RSRC2:TGID_Z_EN: 0
; COMPUTE_PGM_RSRC2:TIDIG_COMP_CNT: 0
	.section	.text._ZN7rocprim17ROCPRIM_400000_NS6detail17trampoline_kernelINS0_13select_configILj256ELj13ELNS0_17block_load_methodE3ELS4_3ELS4_3ELNS0_20block_scan_algorithmE0ELj4294967295EEENS1_25partition_config_selectorILNS1_17partition_subalgoE4EjNS0_10empty_typeEbEEZZNS1_14partition_implILS8_4ELb0ES6_15HIP_vector_typeIjLj2EENS0_17counting_iteratorIjlEEPS9_SG_NS0_5tupleIJPjSI_NS0_16reverse_iteratorISI_EEEEENSH_IJSG_SG_SG_EEES9_SI_JZNS1_25segmented_radix_sort_implINS0_14default_configELb0EPK6__halfPSP_PKlPlN2at6native12_GLOBAL__N_18offset_tEEE10hipError_tPvRmT1_PNSt15iterator_traitsIS13_E10value_typeET2_T3_PNS14_IS19_E10value_typeET4_jRbjT5_S1F_jjP12ihipStream_tbEUljE_ZNSN_ISO_Lb0ESR_SS_SU_SV_SZ_EES10_S11_S12_S13_S17_S18_S19_S1C_S1D_jS1E_jS1F_S1F_jjS1H_bEUljE0_EEES10_S11_S12_S19_S1D_S1F_T6_T7_T9_mT8_S1H_bDpT10_ENKUlT_T0_E_clISt17integral_constantIbLb1EES1V_EEDaS1Q_S1R_EUlS1Q_E_NS1_11comp_targetILNS1_3genE5ELNS1_11target_archE942ELNS1_3gpuE9ELNS1_3repE0EEENS1_30default_config_static_selectorELNS0_4arch9wavefront6targetE0EEEvS13_,"axG",@progbits,_ZN7rocprim17ROCPRIM_400000_NS6detail17trampoline_kernelINS0_13select_configILj256ELj13ELNS0_17block_load_methodE3ELS4_3ELS4_3ELNS0_20block_scan_algorithmE0ELj4294967295EEENS1_25partition_config_selectorILNS1_17partition_subalgoE4EjNS0_10empty_typeEbEEZZNS1_14partition_implILS8_4ELb0ES6_15HIP_vector_typeIjLj2EENS0_17counting_iteratorIjlEEPS9_SG_NS0_5tupleIJPjSI_NS0_16reverse_iteratorISI_EEEEENSH_IJSG_SG_SG_EEES9_SI_JZNS1_25segmented_radix_sort_implINS0_14default_configELb0EPK6__halfPSP_PKlPlN2at6native12_GLOBAL__N_18offset_tEEE10hipError_tPvRmT1_PNSt15iterator_traitsIS13_E10value_typeET2_T3_PNS14_IS19_E10value_typeET4_jRbjT5_S1F_jjP12ihipStream_tbEUljE_ZNSN_ISO_Lb0ESR_SS_SU_SV_SZ_EES10_S11_S12_S13_S17_S18_S19_S1C_S1D_jS1E_jS1F_S1F_jjS1H_bEUljE0_EEES10_S11_S12_S19_S1D_S1F_T6_T7_T9_mT8_S1H_bDpT10_ENKUlT_T0_E_clISt17integral_constantIbLb1EES1V_EEDaS1Q_S1R_EUlS1Q_E_NS1_11comp_targetILNS1_3genE5ELNS1_11target_archE942ELNS1_3gpuE9ELNS1_3repE0EEENS1_30default_config_static_selectorELNS0_4arch9wavefront6targetE0EEEvS13_,comdat
	.globl	_ZN7rocprim17ROCPRIM_400000_NS6detail17trampoline_kernelINS0_13select_configILj256ELj13ELNS0_17block_load_methodE3ELS4_3ELS4_3ELNS0_20block_scan_algorithmE0ELj4294967295EEENS1_25partition_config_selectorILNS1_17partition_subalgoE4EjNS0_10empty_typeEbEEZZNS1_14partition_implILS8_4ELb0ES6_15HIP_vector_typeIjLj2EENS0_17counting_iteratorIjlEEPS9_SG_NS0_5tupleIJPjSI_NS0_16reverse_iteratorISI_EEEEENSH_IJSG_SG_SG_EEES9_SI_JZNS1_25segmented_radix_sort_implINS0_14default_configELb0EPK6__halfPSP_PKlPlN2at6native12_GLOBAL__N_18offset_tEEE10hipError_tPvRmT1_PNSt15iterator_traitsIS13_E10value_typeET2_T3_PNS14_IS19_E10value_typeET4_jRbjT5_S1F_jjP12ihipStream_tbEUljE_ZNSN_ISO_Lb0ESR_SS_SU_SV_SZ_EES10_S11_S12_S13_S17_S18_S19_S1C_S1D_jS1E_jS1F_S1F_jjS1H_bEUljE0_EEES10_S11_S12_S19_S1D_S1F_T6_T7_T9_mT8_S1H_bDpT10_ENKUlT_T0_E_clISt17integral_constantIbLb1EES1V_EEDaS1Q_S1R_EUlS1Q_E_NS1_11comp_targetILNS1_3genE5ELNS1_11target_archE942ELNS1_3gpuE9ELNS1_3repE0EEENS1_30default_config_static_selectorELNS0_4arch9wavefront6targetE0EEEvS13_ ; -- Begin function _ZN7rocprim17ROCPRIM_400000_NS6detail17trampoline_kernelINS0_13select_configILj256ELj13ELNS0_17block_load_methodE3ELS4_3ELS4_3ELNS0_20block_scan_algorithmE0ELj4294967295EEENS1_25partition_config_selectorILNS1_17partition_subalgoE4EjNS0_10empty_typeEbEEZZNS1_14partition_implILS8_4ELb0ES6_15HIP_vector_typeIjLj2EENS0_17counting_iteratorIjlEEPS9_SG_NS0_5tupleIJPjSI_NS0_16reverse_iteratorISI_EEEEENSH_IJSG_SG_SG_EEES9_SI_JZNS1_25segmented_radix_sort_implINS0_14default_configELb0EPK6__halfPSP_PKlPlN2at6native12_GLOBAL__N_18offset_tEEE10hipError_tPvRmT1_PNSt15iterator_traitsIS13_E10value_typeET2_T3_PNS14_IS19_E10value_typeET4_jRbjT5_S1F_jjP12ihipStream_tbEUljE_ZNSN_ISO_Lb0ESR_SS_SU_SV_SZ_EES10_S11_S12_S13_S17_S18_S19_S1C_S1D_jS1E_jS1F_S1F_jjS1H_bEUljE0_EEES10_S11_S12_S19_S1D_S1F_T6_T7_T9_mT8_S1H_bDpT10_ENKUlT_T0_E_clISt17integral_constantIbLb1EES1V_EEDaS1Q_S1R_EUlS1Q_E_NS1_11comp_targetILNS1_3genE5ELNS1_11target_archE942ELNS1_3gpuE9ELNS1_3repE0EEENS1_30default_config_static_selectorELNS0_4arch9wavefront6targetE0EEEvS13_
	.p2align	8
	.type	_ZN7rocprim17ROCPRIM_400000_NS6detail17trampoline_kernelINS0_13select_configILj256ELj13ELNS0_17block_load_methodE3ELS4_3ELS4_3ELNS0_20block_scan_algorithmE0ELj4294967295EEENS1_25partition_config_selectorILNS1_17partition_subalgoE4EjNS0_10empty_typeEbEEZZNS1_14partition_implILS8_4ELb0ES6_15HIP_vector_typeIjLj2EENS0_17counting_iteratorIjlEEPS9_SG_NS0_5tupleIJPjSI_NS0_16reverse_iteratorISI_EEEEENSH_IJSG_SG_SG_EEES9_SI_JZNS1_25segmented_radix_sort_implINS0_14default_configELb0EPK6__halfPSP_PKlPlN2at6native12_GLOBAL__N_18offset_tEEE10hipError_tPvRmT1_PNSt15iterator_traitsIS13_E10value_typeET2_T3_PNS14_IS19_E10value_typeET4_jRbjT5_S1F_jjP12ihipStream_tbEUljE_ZNSN_ISO_Lb0ESR_SS_SU_SV_SZ_EES10_S11_S12_S13_S17_S18_S19_S1C_S1D_jS1E_jS1F_S1F_jjS1H_bEUljE0_EEES10_S11_S12_S19_S1D_S1F_T6_T7_T9_mT8_S1H_bDpT10_ENKUlT_T0_E_clISt17integral_constantIbLb1EES1V_EEDaS1Q_S1R_EUlS1Q_E_NS1_11comp_targetILNS1_3genE5ELNS1_11target_archE942ELNS1_3gpuE9ELNS1_3repE0EEENS1_30default_config_static_selectorELNS0_4arch9wavefront6targetE0EEEvS13_,@function
_ZN7rocprim17ROCPRIM_400000_NS6detail17trampoline_kernelINS0_13select_configILj256ELj13ELNS0_17block_load_methodE3ELS4_3ELS4_3ELNS0_20block_scan_algorithmE0ELj4294967295EEENS1_25partition_config_selectorILNS1_17partition_subalgoE4EjNS0_10empty_typeEbEEZZNS1_14partition_implILS8_4ELb0ES6_15HIP_vector_typeIjLj2EENS0_17counting_iteratorIjlEEPS9_SG_NS0_5tupleIJPjSI_NS0_16reverse_iteratorISI_EEEEENSH_IJSG_SG_SG_EEES9_SI_JZNS1_25segmented_radix_sort_implINS0_14default_configELb0EPK6__halfPSP_PKlPlN2at6native12_GLOBAL__N_18offset_tEEE10hipError_tPvRmT1_PNSt15iterator_traitsIS13_E10value_typeET2_T3_PNS14_IS19_E10value_typeET4_jRbjT5_S1F_jjP12ihipStream_tbEUljE_ZNSN_ISO_Lb0ESR_SS_SU_SV_SZ_EES10_S11_S12_S13_S17_S18_S19_S1C_S1D_jS1E_jS1F_S1F_jjS1H_bEUljE0_EEES10_S11_S12_S19_S1D_S1F_T6_T7_T9_mT8_S1H_bDpT10_ENKUlT_T0_E_clISt17integral_constantIbLb1EES1V_EEDaS1Q_S1R_EUlS1Q_E_NS1_11comp_targetILNS1_3genE5ELNS1_11target_archE942ELNS1_3gpuE9ELNS1_3repE0EEENS1_30default_config_static_selectorELNS0_4arch9wavefront6targetE0EEEvS13_: ; @_ZN7rocprim17ROCPRIM_400000_NS6detail17trampoline_kernelINS0_13select_configILj256ELj13ELNS0_17block_load_methodE3ELS4_3ELS4_3ELNS0_20block_scan_algorithmE0ELj4294967295EEENS1_25partition_config_selectorILNS1_17partition_subalgoE4EjNS0_10empty_typeEbEEZZNS1_14partition_implILS8_4ELb0ES6_15HIP_vector_typeIjLj2EENS0_17counting_iteratorIjlEEPS9_SG_NS0_5tupleIJPjSI_NS0_16reverse_iteratorISI_EEEEENSH_IJSG_SG_SG_EEES9_SI_JZNS1_25segmented_radix_sort_implINS0_14default_configELb0EPK6__halfPSP_PKlPlN2at6native12_GLOBAL__N_18offset_tEEE10hipError_tPvRmT1_PNSt15iterator_traitsIS13_E10value_typeET2_T3_PNS14_IS19_E10value_typeET4_jRbjT5_S1F_jjP12ihipStream_tbEUljE_ZNSN_ISO_Lb0ESR_SS_SU_SV_SZ_EES10_S11_S12_S13_S17_S18_S19_S1C_S1D_jS1E_jS1F_S1F_jjS1H_bEUljE0_EEES10_S11_S12_S19_S1D_S1F_T6_T7_T9_mT8_S1H_bDpT10_ENKUlT_T0_E_clISt17integral_constantIbLb1EES1V_EEDaS1Q_S1R_EUlS1Q_E_NS1_11comp_targetILNS1_3genE5ELNS1_11target_archE942ELNS1_3gpuE9ELNS1_3repE0EEENS1_30default_config_static_selectorELNS0_4arch9wavefront6targetE0EEEvS13_
; %bb.0:
	.section	.rodata,"a",@progbits
	.p2align	6, 0x0
	.amdhsa_kernel _ZN7rocprim17ROCPRIM_400000_NS6detail17trampoline_kernelINS0_13select_configILj256ELj13ELNS0_17block_load_methodE3ELS4_3ELS4_3ELNS0_20block_scan_algorithmE0ELj4294967295EEENS1_25partition_config_selectorILNS1_17partition_subalgoE4EjNS0_10empty_typeEbEEZZNS1_14partition_implILS8_4ELb0ES6_15HIP_vector_typeIjLj2EENS0_17counting_iteratorIjlEEPS9_SG_NS0_5tupleIJPjSI_NS0_16reverse_iteratorISI_EEEEENSH_IJSG_SG_SG_EEES9_SI_JZNS1_25segmented_radix_sort_implINS0_14default_configELb0EPK6__halfPSP_PKlPlN2at6native12_GLOBAL__N_18offset_tEEE10hipError_tPvRmT1_PNSt15iterator_traitsIS13_E10value_typeET2_T3_PNS14_IS19_E10value_typeET4_jRbjT5_S1F_jjP12ihipStream_tbEUljE_ZNSN_ISO_Lb0ESR_SS_SU_SV_SZ_EES10_S11_S12_S13_S17_S18_S19_S1C_S1D_jS1E_jS1F_S1F_jjS1H_bEUljE0_EEES10_S11_S12_S19_S1D_S1F_T6_T7_T9_mT8_S1H_bDpT10_ENKUlT_T0_E_clISt17integral_constantIbLb1EES1V_EEDaS1Q_S1R_EUlS1Q_E_NS1_11comp_targetILNS1_3genE5ELNS1_11target_archE942ELNS1_3gpuE9ELNS1_3repE0EEENS1_30default_config_static_selectorELNS0_4arch9wavefront6targetE0EEEvS13_
		.amdhsa_group_segment_fixed_size 0
		.amdhsa_private_segment_fixed_size 0
		.amdhsa_kernarg_size 184
		.amdhsa_user_sgpr_count 2
		.amdhsa_user_sgpr_dispatch_ptr 0
		.amdhsa_user_sgpr_queue_ptr 0
		.amdhsa_user_sgpr_kernarg_segment_ptr 1
		.amdhsa_user_sgpr_dispatch_id 0
		.amdhsa_user_sgpr_kernarg_preload_length 0
		.amdhsa_user_sgpr_kernarg_preload_offset 0
		.amdhsa_user_sgpr_private_segment_size 0
		.amdhsa_wavefront_size32 1
		.amdhsa_uses_dynamic_stack 0
		.amdhsa_enable_private_segment 0
		.amdhsa_system_sgpr_workgroup_id_x 1
		.amdhsa_system_sgpr_workgroup_id_y 0
		.amdhsa_system_sgpr_workgroup_id_z 0
		.amdhsa_system_sgpr_workgroup_info 0
		.amdhsa_system_vgpr_workitem_id 0
		.amdhsa_next_free_vgpr 1
		.amdhsa_next_free_sgpr 1
		.amdhsa_named_barrier_count 0
		.amdhsa_reserve_vcc 0
		.amdhsa_float_round_mode_32 0
		.amdhsa_float_round_mode_16_64 0
		.amdhsa_float_denorm_mode_32 3
		.amdhsa_float_denorm_mode_16_64 3
		.amdhsa_fp16_overflow 0
		.amdhsa_memory_ordered 1
		.amdhsa_forward_progress 1
		.amdhsa_inst_pref_size 0
		.amdhsa_round_robin_scheduling 0
		.amdhsa_exception_fp_ieee_invalid_op 0
		.amdhsa_exception_fp_denorm_src 0
		.amdhsa_exception_fp_ieee_div_zero 0
		.amdhsa_exception_fp_ieee_overflow 0
		.amdhsa_exception_fp_ieee_underflow 0
		.amdhsa_exception_fp_ieee_inexact 0
		.amdhsa_exception_int_div_zero 0
	.end_amdhsa_kernel
	.section	.text._ZN7rocprim17ROCPRIM_400000_NS6detail17trampoline_kernelINS0_13select_configILj256ELj13ELNS0_17block_load_methodE3ELS4_3ELS4_3ELNS0_20block_scan_algorithmE0ELj4294967295EEENS1_25partition_config_selectorILNS1_17partition_subalgoE4EjNS0_10empty_typeEbEEZZNS1_14partition_implILS8_4ELb0ES6_15HIP_vector_typeIjLj2EENS0_17counting_iteratorIjlEEPS9_SG_NS0_5tupleIJPjSI_NS0_16reverse_iteratorISI_EEEEENSH_IJSG_SG_SG_EEES9_SI_JZNS1_25segmented_radix_sort_implINS0_14default_configELb0EPK6__halfPSP_PKlPlN2at6native12_GLOBAL__N_18offset_tEEE10hipError_tPvRmT1_PNSt15iterator_traitsIS13_E10value_typeET2_T3_PNS14_IS19_E10value_typeET4_jRbjT5_S1F_jjP12ihipStream_tbEUljE_ZNSN_ISO_Lb0ESR_SS_SU_SV_SZ_EES10_S11_S12_S13_S17_S18_S19_S1C_S1D_jS1E_jS1F_S1F_jjS1H_bEUljE0_EEES10_S11_S12_S19_S1D_S1F_T6_T7_T9_mT8_S1H_bDpT10_ENKUlT_T0_E_clISt17integral_constantIbLb1EES1V_EEDaS1Q_S1R_EUlS1Q_E_NS1_11comp_targetILNS1_3genE5ELNS1_11target_archE942ELNS1_3gpuE9ELNS1_3repE0EEENS1_30default_config_static_selectorELNS0_4arch9wavefront6targetE0EEEvS13_,"axG",@progbits,_ZN7rocprim17ROCPRIM_400000_NS6detail17trampoline_kernelINS0_13select_configILj256ELj13ELNS0_17block_load_methodE3ELS4_3ELS4_3ELNS0_20block_scan_algorithmE0ELj4294967295EEENS1_25partition_config_selectorILNS1_17partition_subalgoE4EjNS0_10empty_typeEbEEZZNS1_14partition_implILS8_4ELb0ES6_15HIP_vector_typeIjLj2EENS0_17counting_iteratorIjlEEPS9_SG_NS0_5tupleIJPjSI_NS0_16reverse_iteratorISI_EEEEENSH_IJSG_SG_SG_EEES9_SI_JZNS1_25segmented_radix_sort_implINS0_14default_configELb0EPK6__halfPSP_PKlPlN2at6native12_GLOBAL__N_18offset_tEEE10hipError_tPvRmT1_PNSt15iterator_traitsIS13_E10value_typeET2_T3_PNS14_IS19_E10value_typeET4_jRbjT5_S1F_jjP12ihipStream_tbEUljE_ZNSN_ISO_Lb0ESR_SS_SU_SV_SZ_EES10_S11_S12_S13_S17_S18_S19_S1C_S1D_jS1E_jS1F_S1F_jjS1H_bEUljE0_EEES10_S11_S12_S19_S1D_S1F_T6_T7_T9_mT8_S1H_bDpT10_ENKUlT_T0_E_clISt17integral_constantIbLb1EES1V_EEDaS1Q_S1R_EUlS1Q_E_NS1_11comp_targetILNS1_3genE5ELNS1_11target_archE942ELNS1_3gpuE9ELNS1_3repE0EEENS1_30default_config_static_selectorELNS0_4arch9wavefront6targetE0EEEvS13_,comdat
.Lfunc_end1777:
	.size	_ZN7rocprim17ROCPRIM_400000_NS6detail17trampoline_kernelINS0_13select_configILj256ELj13ELNS0_17block_load_methodE3ELS4_3ELS4_3ELNS0_20block_scan_algorithmE0ELj4294967295EEENS1_25partition_config_selectorILNS1_17partition_subalgoE4EjNS0_10empty_typeEbEEZZNS1_14partition_implILS8_4ELb0ES6_15HIP_vector_typeIjLj2EENS0_17counting_iteratorIjlEEPS9_SG_NS0_5tupleIJPjSI_NS0_16reverse_iteratorISI_EEEEENSH_IJSG_SG_SG_EEES9_SI_JZNS1_25segmented_radix_sort_implINS0_14default_configELb0EPK6__halfPSP_PKlPlN2at6native12_GLOBAL__N_18offset_tEEE10hipError_tPvRmT1_PNSt15iterator_traitsIS13_E10value_typeET2_T3_PNS14_IS19_E10value_typeET4_jRbjT5_S1F_jjP12ihipStream_tbEUljE_ZNSN_ISO_Lb0ESR_SS_SU_SV_SZ_EES10_S11_S12_S13_S17_S18_S19_S1C_S1D_jS1E_jS1F_S1F_jjS1H_bEUljE0_EEES10_S11_S12_S19_S1D_S1F_T6_T7_T9_mT8_S1H_bDpT10_ENKUlT_T0_E_clISt17integral_constantIbLb1EES1V_EEDaS1Q_S1R_EUlS1Q_E_NS1_11comp_targetILNS1_3genE5ELNS1_11target_archE942ELNS1_3gpuE9ELNS1_3repE0EEENS1_30default_config_static_selectorELNS0_4arch9wavefront6targetE0EEEvS13_, .Lfunc_end1777-_ZN7rocprim17ROCPRIM_400000_NS6detail17trampoline_kernelINS0_13select_configILj256ELj13ELNS0_17block_load_methodE3ELS4_3ELS4_3ELNS0_20block_scan_algorithmE0ELj4294967295EEENS1_25partition_config_selectorILNS1_17partition_subalgoE4EjNS0_10empty_typeEbEEZZNS1_14partition_implILS8_4ELb0ES6_15HIP_vector_typeIjLj2EENS0_17counting_iteratorIjlEEPS9_SG_NS0_5tupleIJPjSI_NS0_16reverse_iteratorISI_EEEEENSH_IJSG_SG_SG_EEES9_SI_JZNS1_25segmented_radix_sort_implINS0_14default_configELb0EPK6__halfPSP_PKlPlN2at6native12_GLOBAL__N_18offset_tEEE10hipError_tPvRmT1_PNSt15iterator_traitsIS13_E10value_typeET2_T3_PNS14_IS19_E10value_typeET4_jRbjT5_S1F_jjP12ihipStream_tbEUljE_ZNSN_ISO_Lb0ESR_SS_SU_SV_SZ_EES10_S11_S12_S13_S17_S18_S19_S1C_S1D_jS1E_jS1F_S1F_jjS1H_bEUljE0_EEES10_S11_S12_S19_S1D_S1F_T6_T7_T9_mT8_S1H_bDpT10_ENKUlT_T0_E_clISt17integral_constantIbLb1EES1V_EEDaS1Q_S1R_EUlS1Q_E_NS1_11comp_targetILNS1_3genE5ELNS1_11target_archE942ELNS1_3gpuE9ELNS1_3repE0EEENS1_30default_config_static_selectorELNS0_4arch9wavefront6targetE0EEEvS13_
                                        ; -- End function
	.set _ZN7rocprim17ROCPRIM_400000_NS6detail17trampoline_kernelINS0_13select_configILj256ELj13ELNS0_17block_load_methodE3ELS4_3ELS4_3ELNS0_20block_scan_algorithmE0ELj4294967295EEENS1_25partition_config_selectorILNS1_17partition_subalgoE4EjNS0_10empty_typeEbEEZZNS1_14partition_implILS8_4ELb0ES6_15HIP_vector_typeIjLj2EENS0_17counting_iteratorIjlEEPS9_SG_NS0_5tupleIJPjSI_NS0_16reverse_iteratorISI_EEEEENSH_IJSG_SG_SG_EEES9_SI_JZNS1_25segmented_radix_sort_implINS0_14default_configELb0EPK6__halfPSP_PKlPlN2at6native12_GLOBAL__N_18offset_tEEE10hipError_tPvRmT1_PNSt15iterator_traitsIS13_E10value_typeET2_T3_PNS14_IS19_E10value_typeET4_jRbjT5_S1F_jjP12ihipStream_tbEUljE_ZNSN_ISO_Lb0ESR_SS_SU_SV_SZ_EES10_S11_S12_S13_S17_S18_S19_S1C_S1D_jS1E_jS1F_S1F_jjS1H_bEUljE0_EEES10_S11_S12_S19_S1D_S1F_T6_T7_T9_mT8_S1H_bDpT10_ENKUlT_T0_E_clISt17integral_constantIbLb1EES1V_EEDaS1Q_S1R_EUlS1Q_E_NS1_11comp_targetILNS1_3genE5ELNS1_11target_archE942ELNS1_3gpuE9ELNS1_3repE0EEENS1_30default_config_static_selectorELNS0_4arch9wavefront6targetE0EEEvS13_.num_vgpr, 0
	.set _ZN7rocprim17ROCPRIM_400000_NS6detail17trampoline_kernelINS0_13select_configILj256ELj13ELNS0_17block_load_methodE3ELS4_3ELS4_3ELNS0_20block_scan_algorithmE0ELj4294967295EEENS1_25partition_config_selectorILNS1_17partition_subalgoE4EjNS0_10empty_typeEbEEZZNS1_14partition_implILS8_4ELb0ES6_15HIP_vector_typeIjLj2EENS0_17counting_iteratorIjlEEPS9_SG_NS0_5tupleIJPjSI_NS0_16reverse_iteratorISI_EEEEENSH_IJSG_SG_SG_EEES9_SI_JZNS1_25segmented_radix_sort_implINS0_14default_configELb0EPK6__halfPSP_PKlPlN2at6native12_GLOBAL__N_18offset_tEEE10hipError_tPvRmT1_PNSt15iterator_traitsIS13_E10value_typeET2_T3_PNS14_IS19_E10value_typeET4_jRbjT5_S1F_jjP12ihipStream_tbEUljE_ZNSN_ISO_Lb0ESR_SS_SU_SV_SZ_EES10_S11_S12_S13_S17_S18_S19_S1C_S1D_jS1E_jS1F_S1F_jjS1H_bEUljE0_EEES10_S11_S12_S19_S1D_S1F_T6_T7_T9_mT8_S1H_bDpT10_ENKUlT_T0_E_clISt17integral_constantIbLb1EES1V_EEDaS1Q_S1R_EUlS1Q_E_NS1_11comp_targetILNS1_3genE5ELNS1_11target_archE942ELNS1_3gpuE9ELNS1_3repE0EEENS1_30default_config_static_selectorELNS0_4arch9wavefront6targetE0EEEvS13_.num_agpr, 0
	.set _ZN7rocprim17ROCPRIM_400000_NS6detail17trampoline_kernelINS0_13select_configILj256ELj13ELNS0_17block_load_methodE3ELS4_3ELS4_3ELNS0_20block_scan_algorithmE0ELj4294967295EEENS1_25partition_config_selectorILNS1_17partition_subalgoE4EjNS0_10empty_typeEbEEZZNS1_14partition_implILS8_4ELb0ES6_15HIP_vector_typeIjLj2EENS0_17counting_iteratorIjlEEPS9_SG_NS0_5tupleIJPjSI_NS0_16reverse_iteratorISI_EEEEENSH_IJSG_SG_SG_EEES9_SI_JZNS1_25segmented_radix_sort_implINS0_14default_configELb0EPK6__halfPSP_PKlPlN2at6native12_GLOBAL__N_18offset_tEEE10hipError_tPvRmT1_PNSt15iterator_traitsIS13_E10value_typeET2_T3_PNS14_IS19_E10value_typeET4_jRbjT5_S1F_jjP12ihipStream_tbEUljE_ZNSN_ISO_Lb0ESR_SS_SU_SV_SZ_EES10_S11_S12_S13_S17_S18_S19_S1C_S1D_jS1E_jS1F_S1F_jjS1H_bEUljE0_EEES10_S11_S12_S19_S1D_S1F_T6_T7_T9_mT8_S1H_bDpT10_ENKUlT_T0_E_clISt17integral_constantIbLb1EES1V_EEDaS1Q_S1R_EUlS1Q_E_NS1_11comp_targetILNS1_3genE5ELNS1_11target_archE942ELNS1_3gpuE9ELNS1_3repE0EEENS1_30default_config_static_selectorELNS0_4arch9wavefront6targetE0EEEvS13_.numbered_sgpr, 0
	.set _ZN7rocprim17ROCPRIM_400000_NS6detail17trampoline_kernelINS0_13select_configILj256ELj13ELNS0_17block_load_methodE3ELS4_3ELS4_3ELNS0_20block_scan_algorithmE0ELj4294967295EEENS1_25partition_config_selectorILNS1_17partition_subalgoE4EjNS0_10empty_typeEbEEZZNS1_14partition_implILS8_4ELb0ES6_15HIP_vector_typeIjLj2EENS0_17counting_iteratorIjlEEPS9_SG_NS0_5tupleIJPjSI_NS0_16reverse_iteratorISI_EEEEENSH_IJSG_SG_SG_EEES9_SI_JZNS1_25segmented_radix_sort_implINS0_14default_configELb0EPK6__halfPSP_PKlPlN2at6native12_GLOBAL__N_18offset_tEEE10hipError_tPvRmT1_PNSt15iterator_traitsIS13_E10value_typeET2_T3_PNS14_IS19_E10value_typeET4_jRbjT5_S1F_jjP12ihipStream_tbEUljE_ZNSN_ISO_Lb0ESR_SS_SU_SV_SZ_EES10_S11_S12_S13_S17_S18_S19_S1C_S1D_jS1E_jS1F_S1F_jjS1H_bEUljE0_EEES10_S11_S12_S19_S1D_S1F_T6_T7_T9_mT8_S1H_bDpT10_ENKUlT_T0_E_clISt17integral_constantIbLb1EES1V_EEDaS1Q_S1R_EUlS1Q_E_NS1_11comp_targetILNS1_3genE5ELNS1_11target_archE942ELNS1_3gpuE9ELNS1_3repE0EEENS1_30default_config_static_selectorELNS0_4arch9wavefront6targetE0EEEvS13_.num_named_barrier, 0
	.set _ZN7rocprim17ROCPRIM_400000_NS6detail17trampoline_kernelINS0_13select_configILj256ELj13ELNS0_17block_load_methodE3ELS4_3ELS4_3ELNS0_20block_scan_algorithmE0ELj4294967295EEENS1_25partition_config_selectorILNS1_17partition_subalgoE4EjNS0_10empty_typeEbEEZZNS1_14partition_implILS8_4ELb0ES6_15HIP_vector_typeIjLj2EENS0_17counting_iteratorIjlEEPS9_SG_NS0_5tupleIJPjSI_NS0_16reverse_iteratorISI_EEEEENSH_IJSG_SG_SG_EEES9_SI_JZNS1_25segmented_radix_sort_implINS0_14default_configELb0EPK6__halfPSP_PKlPlN2at6native12_GLOBAL__N_18offset_tEEE10hipError_tPvRmT1_PNSt15iterator_traitsIS13_E10value_typeET2_T3_PNS14_IS19_E10value_typeET4_jRbjT5_S1F_jjP12ihipStream_tbEUljE_ZNSN_ISO_Lb0ESR_SS_SU_SV_SZ_EES10_S11_S12_S13_S17_S18_S19_S1C_S1D_jS1E_jS1F_S1F_jjS1H_bEUljE0_EEES10_S11_S12_S19_S1D_S1F_T6_T7_T9_mT8_S1H_bDpT10_ENKUlT_T0_E_clISt17integral_constantIbLb1EES1V_EEDaS1Q_S1R_EUlS1Q_E_NS1_11comp_targetILNS1_3genE5ELNS1_11target_archE942ELNS1_3gpuE9ELNS1_3repE0EEENS1_30default_config_static_selectorELNS0_4arch9wavefront6targetE0EEEvS13_.private_seg_size, 0
	.set _ZN7rocprim17ROCPRIM_400000_NS6detail17trampoline_kernelINS0_13select_configILj256ELj13ELNS0_17block_load_methodE3ELS4_3ELS4_3ELNS0_20block_scan_algorithmE0ELj4294967295EEENS1_25partition_config_selectorILNS1_17partition_subalgoE4EjNS0_10empty_typeEbEEZZNS1_14partition_implILS8_4ELb0ES6_15HIP_vector_typeIjLj2EENS0_17counting_iteratorIjlEEPS9_SG_NS0_5tupleIJPjSI_NS0_16reverse_iteratorISI_EEEEENSH_IJSG_SG_SG_EEES9_SI_JZNS1_25segmented_radix_sort_implINS0_14default_configELb0EPK6__halfPSP_PKlPlN2at6native12_GLOBAL__N_18offset_tEEE10hipError_tPvRmT1_PNSt15iterator_traitsIS13_E10value_typeET2_T3_PNS14_IS19_E10value_typeET4_jRbjT5_S1F_jjP12ihipStream_tbEUljE_ZNSN_ISO_Lb0ESR_SS_SU_SV_SZ_EES10_S11_S12_S13_S17_S18_S19_S1C_S1D_jS1E_jS1F_S1F_jjS1H_bEUljE0_EEES10_S11_S12_S19_S1D_S1F_T6_T7_T9_mT8_S1H_bDpT10_ENKUlT_T0_E_clISt17integral_constantIbLb1EES1V_EEDaS1Q_S1R_EUlS1Q_E_NS1_11comp_targetILNS1_3genE5ELNS1_11target_archE942ELNS1_3gpuE9ELNS1_3repE0EEENS1_30default_config_static_selectorELNS0_4arch9wavefront6targetE0EEEvS13_.uses_vcc, 0
	.set _ZN7rocprim17ROCPRIM_400000_NS6detail17trampoline_kernelINS0_13select_configILj256ELj13ELNS0_17block_load_methodE3ELS4_3ELS4_3ELNS0_20block_scan_algorithmE0ELj4294967295EEENS1_25partition_config_selectorILNS1_17partition_subalgoE4EjNS0_10empty_typeEbEEZZNS1_14partition_implILS8_4ELb0ES6_15HIP_vector_typeIjLj2EENS0_17counting_iteratorIjlEEPS9_SG_NS0_5tupleIJPjSI_NS0_16reverse_iteratorISI_EEEEENSH_IJSG_SG_SG_EEES9_SI_JZNS1_25segmented_radix_sort_implINS0_14default_configELb0EPK6__halfPSP_PKlPlN2at6native12_GLOBAL__N_18offset_tEEE10hipError_tPvRmT1_PNSt15iterator_traitsIS13_E10value_typeET2_T3_PNS14_IS19_E10value_typeET4_jRbjT5_S1F_jjP12ihipStream_tbEUljE_ZNSN_ISO_Lb0ESR_SS_SU_SV_SZ_EES10_S11_S12_S13_S17_S18_S19_S1C_S1D_jS1E_jS1F_S1F_jjS1H_bEUljE0_EEES10_S11_S12_S19_S1D_S1F_T6_T7_T9_mT8_S1H_bDpT10_ENKUlT_T0_E_clISt17integral_constantIbLb1EES1V_EEDaS1Q_S1R_EUlS1Q_E_NS1_11comp_targetILNS1_3genE5ELNS1_11target_archE942ELNS1_3gpuE9ELNS1_3repE0EEENS1_30default_config_static_selectorELNS0_4arch9wavefront6targetE0EEEvS13_.uses_flat_scratch, 0
	.set _ZN7rocprim17ROCPRIM_400000_NS6detail17trampoline_kernelINS0_13select_configILj256ELj13ELNS0_17block_load_methodE3ELS4_3ELS4_3ELNS0_20block_scan_algorithmE0ELj4294967295EEENS1_25partition_config_selectorILNS1_17partition_subalgoE4EjNS0_10empty_typeEbEEZZNS1_14partition_implILS8_4ELb0ES6_15HIP_vector_typeIjLj2EENS0_17counting_iteratorIjlEEPS9_SG_NS0_5tupleIJPjSI_NS0_16reverse_iteratorISI_EEEEENSH_IJSG_SG_SG_EEES9_SI_JZNS1_25segmented_radix_sort_implINS0_14default_configELb0EPK6__halfPSP_PKlPlN2at6native12_GLOBAL__N_18offset_tEEE10hipError_tPvRmT1_PNSt15iterator_traitsIS13_E10value_typeET2_T3_PNS14_IS19_E10value_typeET4_jRbjT5_S1F_jjP12ihipStream_tbEUljE_ZNSN_ISO_Lb0ESR_SS_SU_SV_SZ_EES10_S11_S12_S13_S17_S18_S19_S1C_S1D_jS1E_jS1F_S1F_jjS1H_bEUljE0_EEES10_S11_S12_S19_S1D_S1F_T6_T7_T9_mT8_S1H_bDpT10_ENKUlT_T0_E_clISt17integral_constantIbLb1EES1V_EEDaS1Q_S1R_EUlS1Q_E_NS1_11comp_targetILNS1_3genE5ELNS1_11target_archE942ELNS1_3gpuE9ELNS1_3repE0EEENS1_30default_config_static_selectorELNS0_4arch9wavefront6targetE0EEEvS13_.has_dyn_sized_stack, 0
	.set _ZN7rocprim17ROCPRIM_400000_NS6detail17trampoline_kernelINS0_13select_configILj256ELj13ELNS0_17block_load_methodE3ELS4_3ELS4_3ELNS0_20block_scan_algorithmE0ELj4294967295EEENS1_25partition_config_selectorILNS1_17partition_subalgoE4EjNS0_10empty_typeEbEEZZNS1_14partition_implILS8_4ELb0ES6_15HIP_vector_typeIjLj2EENS0_17counting_iteratorIjlEEPS9_SG_NS0_5tupleIJPjSI_NS0_16reverse_iteratorISI_EEEEENSH_IJSG_SG_SG_EEES9_SI_JZNS1_25segmented_radix_sort_implINS0_14default_configELb0EPK6__halfPSP_PKlPlN2at6native12_GLOBAL__N_18offset_tEEE10hipError_tPvRmT1_PNSt15iterator_traitsIS13_E10value_typeET2_T3_PNS14_IS19_E10value_typeET4_jRbjT5_S1F_jjP12ihipStream_tbEUljE_ZNSN_ISO_Lb0ESR_SS_SU_SV_SZ_EES10_S11_S12_S13_S17_S18_S19_S1C_S1D_jS1E_jS1F_S1F_jjS1H_bEUljE0_EEES10_S11_S12_S19_S1D_S1F_T6_T7_T9_mT8_S1H_bDpT10_ENKUlT_T0_E_clISt17integral_constantIbLb1EES1V_EEDaS1Q_S1R_EUlS1Q_E_NS1_11comp_targetILNS1_3genE5ELNS1_11target_archE942ELNS1_3gpuE9ELNS1_3repE0EEENS1_30default_config_static_selectorELNS0_4arch9wavefront6targetE0EEEvS13_.has_recursion, 0
	.set _ZN7rocprim17ROCPRIM_400000_NS6detail17trampoline_kernelINS0_13select_configILj256ELj13ELNS0_17block_load_methodE3ELS4_3ELS4_3ELNS0_20block_scan_algorithmE0ELj4294967295EEENS1_25partition_config_selectorILNS1_17partition_subalgoE4EjNS0_10empty_typeEbEEZZNS1_14partition_implILS8_4ELb0ES6_15HIP_vector_typeIjLj2EENS0_17counting_iteratorIjlEEPS9_SG_NS0_5tupleIJPjSI_NS0_16reverse_iteratorISI_EEEEENSH_IJSG_SG_SG_EEES9_SI_JZNS1_25segmented_radix_sort_implINS0_14default_configELb0EPK6__halfPSP_PKlPlN2at6native12_GLOBAL__N_18offset_tEEE10hipError_tPvRmT1_PNSt15iterator_traitsIS13_E10value_typeET2_T3_PNS14_IS19_E10value_typeET4_jRbjT5_S1F_jjP12ihipStream_tbEUljE_ZNSN_ISO_Lb0ESR_SS_SU_SV_SZ_EES10_S11_S12_S13_S17_S18_S19_S1C_S1D_jS1E_jS1F_S1F_jjS1H_bEUljE0_EEES10_S11_S12_S19_S1D_S1F_T6_T7_T9_mT8_S1H_bDpT10_ENKUlT_T0_E_clISt17integral_constantIbLb1EES1V_EEDaS1Q_S1R_EUlS1Q_E_NS1_11comp_targetILNS1_3genE5ELNS1_11target_archE942ELNS1_3gpuE9ELNS1_3repE0EEENS1_30default_config_static_selectorELNS0_4arch9wavefront6targetE0EEEvS13_.has_indirect_call, 0
	.section	.AMDGPU.csdata,"",@progbits
; Kernel info:
; codeLenInByte = 0
; TotalNumSgprs: 0
; NumVgprs: 0
; ScratchSize: 0
; MemoryBound: 0
; FloatMode: 240
; IeeeMode: 1
; LDSByteSize: 0 bytes/workgroup (compile time only)
; SGPRBlocks: 0
; VGPRBlocks: 0
; NumSGPRsForWavesPerEU: 1
; NumVGPRsForWavesPerEU: 1
; NamedBarCnt: 0
; Occupancy: 16
; WaveLimiterHint : 0
; COMPUTE_PGM_RSRC2:SCRATCH_EN: 0
; COMPUTE_PGM_RSRC2:USER_SGPR: 2
; COMPUTE_PGM_RSRC2:TRAP_HANDLER: 0
; COMPUTE_PGM_RSRC2:TGID_X_EN: 1
; COMPUTE_PGM_RSRC2:TGID_Y_EN: 0
; COMPUTE_PGM_RSRC2:TGID_Z_EN: 0
; COMPUTE_PGM_RSRC2:TIDIG_COMP_CNT: 0
	.section	.text._ZN7rocprim17ROCPRIM_400000_NS6detail17trampoline_kernelINS0_13select_configILj256ELj13ELNS0_17block_load_methodE3ELS4_3ELS4_3ELNS0_20block_scan_algorithmE0ELj4294967295EEENS1_25partition_config_selectorILNS1_17partition_subalgoE4EjNS0_10empty_typeEbEEZZNS1_14partition_implILS8_4ELb0ES6_15HIP_vector_typeIjLj2EENS0_17counting_iteratorIjlEEPS9_SG_NS0_5tupleIJPjSI_NS0_16reverse_iteratorISI_EEEEENSH_IJSG_SG_SG_EEES9_SI_JZNS1_25segmented_radix_sort_implINS0_14default_configELb0EPK6__halfPSP_PKlPlN2at6native12_GLOBAL__N_18offset_tEEE10hipError_tPvRmT1_PNSt15iterator_traitsIS13_E10value_typeET2_T3_PNS14_IS19_E10value_typeET4_jRbjT5_S1F_jjP12ihipStream_tbEUljE_ZNSN_ISO_Lb0ESR_SS_SU_SV_SZ_EES10_S11_S12_S13_S17_S18_S19_S1C_S1D_jS1E_jS1F_S1F_jjS1H_bEUljE0_EEES10_S11_S12_S19_S1D_S1F_T6_T7_T9_mT8_S1H_bDpT10_ENKUlT_T0_E_clISt17integral_constantIbLb1EES1V_EEDaS1Q_S1R_EUlS1Q_E_NS1_11comp_targetILNS1_3genE4ELNS1_11target_archE910ELNS1_3gpuE8ELNS1_3repE0EEENS1_30default_config_static_selectorELNS0_4arch9wavefront6targetE0EEEvS13_,"axG",@progbits,_ZN7rocprim17ROCPRIM_400000_NS6detail17trampoline_kernelINS0_13select_configILj256ELj13ELNS0_17block_load_methodE3ELS4_3ELS4_3ELNS0_20block_scan_algorithmE0ELj4294967295EEENS1_25partition_config_selectorILNS1_17partition_subalgoE4EjNS0_10empty_typeEbEEZZNS1_14partition_implILS8_4ELb0ES6_15HIP_vector_typeIjLj2EENS0_17counting_iteratorIjlEEPS9_SG_NS0_5tupleIJPjSI_NS0_16reverse_iteratorISI_EEEEENSH_IJSG_SG_SG_EEES9_SI_JZNS1_25segmented_radix_sort_implINS0_14default_configELb0EPK6__halfPSP_PKlPlN2at6native12_GLOBAL__N_18offset_tEEE10hipError_tPvRmT1_PNSt15iterator_traitsIS13_E10value_typeET2_T3_PNS14_IS19_E10value_typeET4_jRbjT5_S1F_jjP12ihipStream_tbEUljE_ZNSN_ISO_Lb0ESR_SS_SU_SV_SZ_EES10_S11_S12_S13_S17_S18_S19_S1C_S1D_jS1E_jS1F_S1F_jjS1H_bEUljE0_EEES10_S11_S12_S19_S1D_S1F_T6_T7_T9_mT8_S1H_bDpT10_ENKUlT_T0_E_clISt17integral_constantIbLb1EES1V_EEDaS1Q_S1R_EUlS1Q_E_NS1_11comp_targetILNS1_3genE4ELNS1_11target_archE910ELNS1_3gpuE8ELNS1_3repE0EEENS1_30default_config_static_selectorELNS0_4arch9wavefront6targetE0EEEvS13_,comdat
	.globl	_ZN7rocprim17ROCPRIM_400000_NS6detail17trampoline_kernelINS0_13select_configILj256ELj13ELNS0_17block_load_methodE3ELS4_3ELS4_3ELNS0_20block_scan_algorithmE0ELj4294967295EEENS1_25partition_config_selectorILNS1_17partition_subalgoE4EjNS0_10empty_typeEbEEZZNS1_14partition_implILS8_4ELb0ES6_15HIP_vector_typeIjLj2EENS0_17counting_iteratorIjlEEPS9_SG_NS0_5tupleIJPjSI_NS0_16reverse_iteratorISI_EEEEENSH_IJSG_SG_SG_EEES9_SI_JZNS1_25segmented_radix_sort_implINS0_14default_configELb0EPK6__halfPSP_PKlPlN2at6native12_GLOBAL__N_18offset_tEEE10hipError_tPvRmT1_PNSt15iterator_traitsIS13_E10value_typeET2_T3_PNS14_IS19_E10value_typeET4_jRbjT5_S1F_jjP12ihipStream_tbEUljE_ZNSN_ISO_Lb0ESR_SS_SU_SV_SZ_EES10_S11_S12_S13_S17_S18_S19_S1C_S1D_jS1E_jS1F_S1F_jjS1H_bEUljE0_EEES10_S11_S12_S19_S1D_S1F_T6_T7_T9_mT8_S1H_bDpT10_ENKUlT_T0_E_clISt17integral_constantIbLb1EES1V_EEDaS1Q_S1R_EUlS1Q_E_NS1_11comp_targetILNS1_3genE4ELNS1_11target_archE910ELNS1_3gpuE8ELNS1_3repE0EEENS1_30default_config_static_selectorELNS0_4arch9wavefront6targetE0EEEvS13_ ; -- Begin function _ZN7rocprim17ROCPRIM_400000_NS6detail17trampoline_kernelINS0_13select_configILj256ELj13ELNS0_17block_load_methodE3ELS4_3ELS4_3ELNS0_20block_scan_algorithmE0ELj4294967295EEENS1_25partition_config_selectorILNS1_17partition_subalgoE4EjNS0_10empty_typeEbEEZZNS1_14partition_implILS8_4ELb0ES6_15HIP_vector_typeIjLj2EENS0_17counting_iteratorIjlEEPS9_SG_NS0_5tupleIJPjSI_NS0_16reverse_iteratorISI_EEEEENSH_IJSG_SG_SG_EEES9_SI_JZNS1_25segmented_radix_sort_implINS0_14default_configELb0EPK6__halfPSP_PKlPlN2at6native12_GLOBAL__N_18offset_tEEE10hipError_tPvRmT1_PNSt15iterator_traitsIS13_E10value_typeET2_T3_PNS14_IS19_E10value_typeET4_jRbjT5_S1F_jjP12ihipStream_tbEUljE_ZNSN_ISO_Lb0ESR_SS_SU_SV_SZ_EES10_S11_S12_S13_S17_S18_S19_S1C_S1D_jS1E_jS1F_S1F_jjS1H_bEUljE0_EEES10_S11_S12_S19_S1D_S1F_T6_T7_T9_mT8_S1H_bDpT10_ENKUlT_T0_E_clISt17integral_constantIbLb1EES1V_EEDaS1Q_S1R_EUlS1Q_E_NS1_11comp_targetILNS1_3genE4ELNS1_11target_archE910ELNS1_3gpuE8ELNS1_3repE0EEENS1_30default_config_static_selectorELNS0_4arch9wavefront6targetE0EEEvS13_
	.p2align	8
	.type	_ZN7rocprim17ROCPRIM_400000_NS6detail17trampoline_kernelINS0_13select_configILj256ELj13ELNS0_17block_load_methodE3ELS4_3ELS4_3ELNS0_20block_scan_algorithmE0ELj4294967295EEENS1_25partition_config_selectorILNS1_17partition_subalgoE4EjNS0_10empty_typeEbEEZZNS1_14partition_implILS8_4ELb0ES6_15HIP_vector_typeIjLj2EENS0_17counting_iteratorIjlEEPS9_SG_NS0_5tupleIJPjSI_NS0_16reverse_iteratorISI_EEEEENSH_IJSG_SG_SG_EEES9_SI_JZNS1_25segmented_radix_sort_implINS0_14default_configELb0EPK6__halfPSP_PKlPlN2at6native12_GLOBAL__N_18offset_tEEE10hipError_tPvRmT1_PNSt15iterator_traitsIS13_E10value_typeET2_T3_PNS14_IS19_E10value_typeET4_jRbjT5_S1F_jjP12ihipStream_tbEUljE_ZNSN_ISO_Lb0ESR_SS_SU_SV_SZ_EES10_S11_S12_S13_S17_S18_S19_S1C_S1D_jS1E_jS1F_S1F_jjS1H_bEUljE0_EEES10_S11_S12_S19_S1D_S1F_T6_T7_T9_mT8_S1H_bDpT10_ENKUlT_T0_E_clISt17integral_constantIbLb1EES1V_EEDaS1Q_S1R_EUlS1Q_E_NS1_11comp_targetILNS1_3genE4ELNS1_11target_archE910ELNS1_3gpuE8ELNS1_3repE0EEENS1_30default_config_static_selectorELNS0_4arch9wavefront6targetE0EEEvS13_,@function
_ZN7rocprim17ROCPRIM_400000_NS6detail17trampoline_kernelINS0_13select_configILj256ELj13ELNS0_17block_load_methodE3ELS4_3ELS4_3ELNS0_20block_scan_algorithmE0ELj4294967295EEENS1_25partition_config_selectorILNS1_17partition_subalgoE4EjNS0_10empty_typeEbEEZZNS1_14partition_implILS8_4ELb0ES6_15HIP_vector_typeIjLj2EENS0_17counting_iteratorIjlEEPS9_SG_NS0_5tupleIJPjSI_NS0_16reverse_iteratorISI_EEEEENSH_IJSG_SG_SG_EEES9_SI_JZNS1_25segmented_radix_sort_implINS0_14default_configELb0EPK6__halfPSP_PKlPlN2at6native12_GLOBAL__N_18offset_tEEE10hipError_tPvRmT1_PNSt15iterator_traitsIS13_E10value_typeET2_T3_PNS14_IS19_E10value_typeET4_jRbjT5_S1F_jjP12ihipStream_tbEUljE_ZNSN_ISO_Lb0ESR_SS_SU_SV_SZ_EES10_S11_S12_S13_S17_S18_S19_S1C_S1D_jS1E_jS1F_S1F_jjS1H_bEUljE0_EEES10_S11_S12_S19_S1D_S1F_T6_T7_T9_mT8_S1H_bDpT10_ENKUlT_T0_E_clISt17integral_constantIbLb1EES1V_EEDaS1Q_S1R_EUlS1Q_E_NS1_11comp_targetILNS1_3genE4ELNS1_11target_archE910ELNS1_3gpuE8ELNS1_3repE0EEENS1_30default_config_static_selectorELNS0_4arch9wavefront6targetE0EEEvS13_: ; @_ZN7rocprim17ROCPRIM_400000_NS6detail17trampoline_kernelINS0_13select_configILj256ELj13ELNS0_17block_load_methodE3ELS4_3ELS4_3ELNS0_20block_scan_algorithmE0ELj4294967295EEENS1_25partition_config_selectorILNS1_17partition_subalgoE4EjNS0_10empty_typeEbEEZZNS1_14partition_implILS8_4ELb0ES6_15HIP_vector_typeIjLj2EENS0_17counting_iteratorIjlEEPS9_SG_NS0_5tupleIJPjSI_NS0_16reverse_iteratorISI_EEEEENSH_IJSG_SG_SG_EEES9_SI_JZNS1_25segmented_radix_sort_implINS0_14default_configELb0EPK6__halfPSP_PKlPlN2at6native12_GLOBAL__N_18offset_tEEE10hipError_tPvRmT1_PNSt15iterator_traitsIS13_E10value_typeET2_T3_PNS14_IS19_E10value_typeET4_jRbjT5_S1F_jjP12ihipStream_tbEUljE_ZNSN_ISO_Lb0ESR_SS_SU_SV_SZ_EES10_S11_S12_S13_S17_S18_S19_S1C_S1D_jS1E_jS1F_S1F_jjS1H_bEUljE0_EEES10_S11_S12_S19_S1D_S1F_T6_T7_T9_mT8_S1H_bDpT10_ENKUlT_T0_E_clISt17integral_constantIbLb1EES1V_EEDaS1Q_S1R_EUlS1Q_E_NS1_11comp_targetILNS1_3genE4ELNS1_11target_archE910ELNS1_3gpuE8ELNS1_3repE0EEENS1_30default_config_static_selectorELNS0_4arch9wavefront6targetE0EEEvS13_
; %bb.0:
	.section	.rodata,"a",@progbits
	.p2align	6, 0x0
	.amdhsa_kernel _ZN7rocprim17ROCPRIM_400000_NS6detail17trampoline_kernelINS0_13select_configILj256ELj13ELNS0_17block_load_methodE3ELS4_3ELS4_3ELNS0_20block_scan_algorithmE0ELj4294967295EEENS1_25partition_config_selectorILNS1_17partition_subalgoE4EjNS0_10empty_typeEbEEZZNS1_14partition_implILS8_4ELb0ES6_15HIP_vector_typeIjLj2EENS0_17counting_iteratorIjlEEPS9_SG_NS0_5tupleIJPjSI_NS0_16reverse_iteratorISI_EEEEENSH_IJSG_SG_SG_EEES9_SI_JZNS1_25segmented_radix_sort_implINS0_14default_configELb0EPK6__halfPSP_PKlPlN2at6native12_GLOBAL__N_18offset_tEEE10hipError_tPvRmT1_PNSt15iterator_traitsIS13_E10value_typeET2_T3_PNS14_IS19_E10value_typeET4_jRbjT5_S1F_jjP12ihipStream_tbEUljE_ZNSN_ISO_Lb0ESR_SS_SU_SV_SZ_EES10_S11_S12_S13_S17_S18_S19_S1C_S1D_jS1E_jS1F_S1F_jjS1H_bEUljE0_EEES10_S11_S12_S19_S1D_S1F_T6_T7_T9_mT8_S1H_bDpT10_ENKUlT_T0_E_clISt17integral_constantIbLb1EES1V_EEDaS1Q_S1R_EUlS1Q_E_NS1_11comp_targetILNS1_3genE4ELNS1_11target_archE910ELNS1_3gpuE8ELNS1_3repE0EEENS1_30default_config_static_selectorELNS0_4arch9wavefront6targetE0EEEvS13_
		.amdhsa_group_segment_fixed_size 0
		.amdhsa_private_segment_fixed_size 0
		.amdhsa_kernarg_size 184
		.amdhsa_user_sgpr_count 2
		.amdhsa_user_sgpr_dispatch_ptr 0
		.amdhsa_user_sgpr_queue_ptr 0
		.amdhsa_user_sgpr_kernarg_segment_ptr 1
		.amdhsa_user_sgpr_dispatch_id 0
		.amdhsa_user_sgpr_kernarg_preload_length 0
		.amdhsa_user_sgpr_kernarg_preload_offset 0
		.amdhsa_user_sgpr_private_segment_size 0
		.amdhsa_wavefront_size32 1
		.amdhsa_uses_dynamic_stack 0
		.amdhsa_enable_private_segment 0
		.amdhsa_system_sgpr_workgroup_id_x 1
		.amdhsa_system_sgpr_workgroup_id_y 0
		.amdhsa_system_sgpr_workgroup_id_z 0
		.amdhsa_system_sgpr_workgroup_info 0
		.amdhsa_system_vgpr_workitem_id 0
		.amdhsa_next_free_vgpr 1
		.amdhsa_next_free_sgpr 1
		.amdhsa_named_barrier_count 0
		.amdhsa_reserve_vcc 0
		.amdhsa_float_round_mode_32 0
		.amdhsa_float_round_mode_16_64 0
		.amdhsa_float_denorm_mode_32 3
		.amdhsa_float_denorm_mode_16_64 3
		.amdhsa_fp16_overflow 0
		.amdhsa_memory_ordered 1
		.amdhsa_forward_progress 1
		.amdhsa_inst_pref_size 0
		.amdhsa_round_robin_scheduling 0
		.amdhsa_exception_fp_ieee_invalid_op 0
		.amdhsa_exception_fp_denorm_src 0
		.amdhsa_exception_fp_ieee_div_zero 0
		.amdhsa_exception_fp_ieee_overflow 0
		.amdhsa_exception_fp_ieee_underflow 0
		.amdhsa_exception_fp_ieee_inexact 0
		.amdhsa_exception_int_div_zero 0
	.end_amdhsa_kernel
	.section	.text._ZN7rocprim17ROCPRIM_400000_NS6detail17trampoline_kernelINS0_13select_configILj256ELj13ELNS0_17block_load_methodE3ELS4_3ELS4_3ELNS0_20block_scan_algorithmE0ELj4294967295EEENS1_25partition_config_selectorILNS1_17partition_subalgoE4EjNS0_10empty_typeEbEEZZNS1_14partition_implILS8_4ELb0ES6_15HIP_vector_typeIjLj2EENS0_17counting_iteratorIjlEEPS9_SG_NS0_5tupleIJPjSI_NS0_16reverse_iteratorISI_EEEEENSH_IJSG_SG_SG_EEES9_SI_JZNS1_25segmented_radix_sort_implINS0_14default_configELb0EPK6__halfPSP_PKlPlN2at6native12_GLOBAL__N_18offset_tEEE10hipError_tPvRmT1_PNSt15iterator_traitsIS13_E10value_typeET2_T3_PNS14_IS19_E10value_typeET4_jRbjT5_S1F_jjP12ihipStream_tbEUljE_ZNSN_ISO_Lb0ESR_SS_SU_SV_SZ_EES10_S11_S12_S13_S17_S18_S19_S1C_S1D_jS1E_jS1F_S1F_jjS1H_bEUljE0_EEES10_S11_S12_S19_S1D_S1F_T6_T7_T9_mT8_S1H_bDpT10_ENKUlT_T0_E_clISt17integral_constantIbLb1EES1V_EEDaS1Q_S1R_EUlS1Q_E_NS1_11comp_targetILNS1_3genE4ELNS1_11target_archE910ELNS1_3gpuE8ELNS1_3repE0EEENS1_30default_config_static_selectorELNS0_4arch9wavefront6targetE0EEEvS13_,"axG",@progbits,_ZN7rocprim17ROCPRIM_400000_NS6detail17trampoline_kernelINS0_13select_configILj256ELj13ELNS0_17block_load_methodE3ELS4_3ELS4_3ELNS0_20block_scan_algorithmE0ELj4294967295EEENS1_25partition_config_selectorILNS1_17partition_subalgoE4EjNS0_10empty_typeEbEEZZNS1_14partition_implILS8_4ELb0ES6_15HIP_vector_typeIjLj2EENS0_17counting_iteratorIjlEEPS9_SG_NS0_5tupleIJPjSI_NS0_16reverse_iteratorISI_EEEEENSH_IJSG_SG_SG_EEES9_SI_JZNS1_25segmented_radix_sort_implINS0_14default_configELb0EPK6__halfPSP_PKlPlN2at6native12_GLOBAL__N_18offset_tEEE10hipError_tPvRmT1_PNSt15iterator_traitsIS13_E10value_typeET2_T3_PNS14_IS19_E10value_typeET4_jRbjT5_S1F_jjP12ihipStream_tbEUljE_ZNSN_ISO_Lb0ESR_SS_SU_SV_SZ_EES10_S11_S12_S13_S17_S18_S19_S1C_S1D_jS1E_jS1F_S1F_jjS1H_bEUljE0_EEES10_S11_S12_S19_S1D_S1F_T6_T7_T9_mT8_S1H_bDpT10_ENKUlT_T0_E_clISt17integral_constantIbLb1EES1V_EEDaS1Q_S1R_EUlS1Q_E_NS1_11comp_targetILNS1_3genE4ELNS1_11target_archE910ELNS1_3gpuE8ELNS1_3repE0EEENS1_30default_config_static_selectorELNS0_4arch9wavefront6targetE0EEEvS13_,comdat
.Lfunc_end1778:
	.size	_ZN7rocprim17ROCPRIM_400000_NS6detail17trampoline_kernelINS0_13select_configILj256ELj13ELNS0_17block_load_methodE3ELS4_3ELS4_3ELNS0_20block_scan_algorithmE0ELj4294967295EEENS1_25partition_config_selectorILNS1_17partition_subalgoE4EjNS0_10empty_typeEbEEZZNS1_14partition_implILS8_4ELb0ES6_15HIP_vector_typeIjLj2EENS0_17counting_iteratorIjlEEPS9_SG_NS0_5tupleIJPjSI_NS0_16reverse_iteratorISI_EEEEENSH_IJSG_SG_SG_EEES9_SI_JZNS1_25segmented_radix_sort_implINS0_14default_configELb0EPK6__halfPSP_PKlPlN2at6native12_GLOBAL__N_18offset_tEEE10hipError_tPvRmT1_PNSt15iterator_traitsIS13_E10value_typeET2_T3_PNS14_IS19_E10value_typeET4_jRbjT5_S1F_jjP12ihipStream_tbEUljE_ZNSN_ISO_Lb0ESR_SS_SU_SV_SZ_EES10_S11_S12_S13_S17_S18_S19_S1C_S1D_jS1E_jS1F_S1F_jjS1H_bEUljE0_EEES10_S11_S12_S19_S1D_S1F_T6_T7_T9_mT8_S1H_bDpT10_ENKUlT_T0_E_clISt17integral_constantIbLb1EES1V_EEDaS1Q_S1R_EUlS1Q_E_NS1_11comp_targetILNS1_3genE4ELNS1_11target_archE910ELNS1_3gpuE8ELNS1_3repE0EEENS1_30default_config_static_selectorELNS0_4arch9wavefront6targetE0EEEvS13_, .Lfunc_end1778-_ZN7rocprim17ROCPRIM_400000_NS6detail17trampoline_kernelINS0_13select_configILj256ELj13ELNS0_17block_load_methodE3ELS4_3ELS4_3ELNS0_20block_scan_algorithmE0ELj4294967295EEENS1_25partition_config_selectorILNS1_17partition_subalgoE4EjNS0_10empty_typeEbEEZZNS1_14partition_implILS8_4ELb0ES6_15HIP_vector_typeIjLj2EENS0_17counting_iteratorIjlEEPS9_SG_NS0_5tupleIJPjSI_NS0_16reverse_iteratorISI_EEEEENSH_IJSG_SG_SG_EEES9_SI_JZNS1_25segmented_radix_sort_implINS0_14default_configELb0EPK6__halfPSP_PKlPlN2at6native12_GLOBAL__N_18offset_tEEE10hipError_tPvRmT1_PNSt15iterator_traitsIS13_E10value_typeET2_T3_PNS14_IS19_E10value_typeET4_jRbjT5_S1F_jjP12ihipStream_tbEUljE_ZNSN_ISO_Lb0ESR_SS_SU_SV_SZ_EES10_S11_S12_S13_S17_S18_S19_S1C_S1D_jS1E_jS1F_S1F_jjS1H_bEUljE0_EEES10_S11_S12_S19_S1D_S1F_T6_T7_T9_mT8_S1H_bDpT10_ENKUlT_T0_E_clISt17integral_constantIbLb1EES1V_EEDaS1Q_S1R_EUlS1Q_E_NS1_11comp_targetILNS1_3genE4ELNS1_11target_archE910ELNS1_3gpuE8ELNS1_3repE0EEENS1_30default_config_static_selectorELNS0_4arch9wavefront6targetE0EEEvS13_
                                        ; -- End function
	.set _ZN7rocprim17ROCPRIM_400000_NS6detail17trampoline_kernelINS0_13select_configILj256ELj13ELNS0_17block_load_methodE3ELS4_3ELS4_3ELNS0_20block_scan_algorithmE0ELj4294967295EEENS1_25partition_config_selectorILNS1_17partition_subalgoE4EjNS0_10empty_typeEbEEZZNS1_14partition_implILS8_4ELb0ES6_15HIP_vector_typeIjLj2EENS0_17counting_iteratorIjlEEPS9_SG_NS0_5tupleIJPjSI_NS0_16reverse_iteratorISI_EEEEENSH_IJSG_SG_SG_EEES9_SI_JZNS1_25segmented_radix_sort_implINS0_14default_configELb0EPK6__halfPSP_PKlPlN2at6native12_GLOBAL__N_18offset_tEEE10hipError_tPvRmT1_PNSt15iterator_traitsIS13_E10value_typeET2_T3_PNS14_IS19_E10value_typeET4_jRbjT5_S1F_jjP12ihipStream_tbEUljE_ZNSN_ISO_Lb0ESR_SS_SU_SV_SZ_EES10_S11_S12_S13_S17_S18_S19_S1C_S1D_jS1E_jS1F_S1F_jjS1H_bEUljE0_EEES10_S11_S12_S19_S1D_S1F_T6_T7_T9_mT8_S1H_bDpT10_ENKUlT_T0_E_clISt17integral_constantIbLb1EES1V_EEDaS1Q_S1R_EUlS1Q_E_NS1_11comp_targetILNS1_3genE4ELNS1_11target_archE910ELNS1_3gpuE8ELNS1_3repE0EEENS1_30default_config_static_selectorELNS0_4arch9wavefront6targetE0EEEvS13_.num_vgpr, 0
	.set _ZN7rocprim17ROCPRIM_400000_NS6detail17trampoline_kernelINS0_13select_configILj256ELj13ELNS0_17block_load_methodE3ELS4_3ELS4_3ELNS0_20block_scan_algorithmE0ELj4294967295EEENS1_25partition_config_selectorILNS1_17partition_subalgoE4EjNS0_10empty_typeEbEEZZNS1_14partition_implILS8_4ELb0ES6_15HIP_vector_typeIjLj2EENS0_17counting_iteratorIjlEEPS9_SG_NS0_5tupleIJPjSI_NS0_16reverse_iteratorISI_EEEEENSH_IJSG_SG_SG_EEES9_SI_JZNS1_25segmented_radix_sort_implINS0_14default_configELb0EPK6__halfPSP_PKlPlN2at6native12_GLOBAL__N_18offset_tEEE10hipError_tPvRmT1_PNSt15iterator_traitsIS13_E10value_typeET2_T3_PNS14_IS19_E10value_typeET4_jRbjT5_S1F_jjP12ihipStream_tbEUljE_ZNSN_ISO_Lb0ESR_SS_SU_SV_SZ_EES10_S11_S12_S13_S17_S18_S19_S1C_S1D_jS1E_jS1F_S1F_jjS1H_bEUljE0_EEES10_S11_S12_S19_S1D_S1F_T6_T7_T9_mT8_S1H_bDpT10_ENKUlT_T0_E_clISt17integral_constantIbLb1EES1V_EEDaS1Q_S1R_EUlS1Q_E_NS1_11comp_targetILNS1_3genE4ELNS1_11target_archE910ELNS1_3gpuE8ELNS1_3repE0EEENS1_30default_config_static_selectorELNS0_4arch9wavefront6targetE0EEEvS13_.num_agpr, 0
	.set _ZN7rocprim17ROCPRIM_400000_NS6detail17trampoline_kernelINS0_13select_configILj256ELj13ELNS0_17block_load_methodE3ELS4_3ELS4_3ELNS0_20block_scan_algorithmE0ELj4294967295EEENS1_25partition_config_selectorILNS1_17partition_subalgoE4EjNS0_10empty_typeEbEEZZNS1_14partition_implILS8_4ELb0ES6_15HIP_vector_typeIjLj2EENS0_17counting_iteratorIjlEEPS9_SG_NS0_5tupleIJPjSI_NS0_16reverse_iteratorISI_EEEEENSH_IJSG_SG_SG_EEES9_SI_JZNS1_25segmented_radix_sort_implINS0_14default_configELb0EPK6__halfPSP_PKlPlN2at6native12_GLOBAL__N_18offset_tEEE10hipError_tPvRmT1_PNSt15iterator_traitsIS13_E10value_typeET2_T3_PNS14_IS19_E10value_typeET4_jRbjT5_S1F_jjP12ihipStream_tbEUljE_ZNSN_ISO_Lb0ESR_SS_SU_SV_SZ_EES10_S11_S12_S13_S17_S18_S19_S1C_S1D_jS1E_jS1F_S1F_jjS1H_bEUljE0_EEES10_S11_S12_S19_S1D_S1F_T6_T7_T9_mT8_S1H_bDpT10_ENKUlT_T0_E_clISt17integral_constantIbLb1EES1V_EEDaS1Q_S1R_EUlS1Q_E_NS1_11comp_targetILNS1_3genE4ELNS1_11target_archE910ELNS1_3gpuE8ELNS1_3repE0EEENS1_30default_config_static_selectorELNS0_4arch9wavefront6targetE0EEEvS13_.numbered_sgpr, 0
	.set _ZN7rocprim17ROCPRIM_400000_NS6detail17trampoline_kernelINS0_13select_configILj256ELj13ELNS0_17block_load_methodE3ELS4_3ELS4_3ELNS0_20block_scan_algorithmE0ELj4294967295EEENS1_25partition_config_selectorILNS1_17partition_subalgoE4EjNS0_10empty_typeEbEEZZNS1_14partition_implILS8_4ELb0ES6_15HIP_vector_typeIjLj2EENS0_17counting_iteratorIjlEEPS9_SG_NS0_5tupleIJPjSI_NS0_16reverse_iteratorISI_EEEEENSH_IJSG_SG_SG_EEES9_SI_JZNS1_25segmented_radix_sort_implINS0_14default_configELb0EPK6__halfPSP_PKlPlN2at6native12_GLOBAL__N_18offset_tEEE10hipError_tPvRmT1_PNSt15iterator_traitsIS13_E10value_typeET2_T3_PNS14_IS19_E10value_typeET4_jRbjT5_S1F_jjP12ihipStream_tbEUljE_ZNSN_ISO_Lb0ESR_SS_SU_SV_SZ_EES10_S11_S12_S13_S17_S18_S19_S1C_S1D_jS1E_jS1F_S1F_jjS1H_bEUljE0_EEES10_S11_S12_S19_S1D_S1F_T6_T7_T9_mT8_S1H_bDpT10_ENKUlT_T0_E_clISt17integral_constantIbLb1EES1V_EEDaS1Q_S1R_EUlS1Q_E_NS1_11comp_targetILNS1_3genE4ELNS1_11target_archE910ELNS1_3gpuE8ELNS1_3repE0EEENS1_30default_config_static_selectorELNS0_4arch9wavefront6targetE0EEEvS13_.num_named_barrier, 0
	.set _ZN7rocprim17ROCPRIM_400000_NS6detail17trampoline_kernelINS0_13select_configILj256ELj13ELNS0_17block_load_methodE3ELS4_3ELS4_3ELNS0_20block_scan_algorithmE0ELj4294967295EEENS1_25partition_config_selectorILNS1_17partition_subalgoE4EjNS0_10empty_typeEbEEZZNS1_14partition_implILS8_4ELb0ES6_15HIP_vector_typeIjLj2EENS0_17counting_iteratorIjlEEPS9_SG_NS0_5tupleIJPjSI_NS0_16reverse_iteratorISI_EEEEENSH_IJSG_SG_SG_EEES9_SI_JZNS1_25segmented_radix_sort_implINS0_14default_configELb0EPK6__halfPSP_PKlPlN2at6native12_GLOBAL__N_18offset_tEEE10hipError_tPvRmT1_PNSt15iterator_traitsIS13_E10value_typeET2_T3_PNS14_IS19_E10value_typeET4_jRbjT5_S1F_jjP12ihipStream_tbEUljE_ZNSN_ISO_Lb0ESR_SS_SU_SV_SZ_EES10_S11_S12_S13_S17_S18_S19_S1C_S1D_jS1E_jS1F_S1F_jjS1H_bEUljE0_EEES10_S11_S12_S19_S1D_S1F_T6_T7_T9_mT8_S1H_bDpT10_ENKUlT_T0_E_clISt17integral_constantIbLb1EES1V_EEDaS1Q_S1R_EUlS1Q_E_NS1_11comp_targetILNS1_3genE4ELNS1_11target_archE910ELNS1_3gpuE8ELNS1_3repE0EEENS1_30default_config_static_selectorELNS0_4arch9wavefront6targetE0EEEvS13_.private_seg_size, 0
	.set _ZN7rocprim17ROCPRIM_400000_NS6detail17trampoline_kernelINS0_13select_configILj256ELj13ELNS0_17block_load_methodE3ELS4_3ELS4_3ELNS0_20block_scan_algorithmE0ELj4294967295EEENS1_25partition_config_selectorILNS1_17partition_subalgoE4EjNS0_10empty_typeEbEEZZNS1_14partition_implILS8_4ELb0ES6_15HIP_vector_typeIjLj2EENS0_17counting_iteratorIjlEEPS9_SG_NS0_5tupleIJPjSI_NS0_16reverse_iteratorISI_EEEEENSH_IJSG_SG_SG_EEES9_SI_JZNS1_25segmented_radix_sort_implINS0_14default_configELb0EPK6__halfPSP_PKlPlN2at6native12_GLOBAL__N_18offset_tEEE10hipError_tPvRmT1_PNSt15iterator_traitsIS13_E10value_typeET2_T3_PNS14_IS19_E10value_typeET4_jRbjT5_S1F_jjP12ihipStream_tbEUljE_ZNSN_ISO_Lb0ESR_SS_SU_SV_SZ_EES10_S11_S12_S13_S17_S18_S19_S1C_S1D_jS1E_jS1F_S1F_jjS1H_bEUljE0_EEES10_S11_S12_S19_S1D_S1F_T6_T7_T9_mT8_S1H_bDpT10_ENKUlT_T0_E_clISt17integral_constantIbLb1EES1V_EEDaS1Q_S1R_EUlS1Q_E_NS1_11comp_targetILNS1_3genE4ELNS1_11target_archE910ELNS1_3gpuE8ELNS1_3repE0EEENS1_30default_config_static_selectorELNS0_4arch9wavefront6targetE0EEEvS13_.uses_vcc, 0
	.set _ZN7rocprim17ROCPRIM_400000_NS6detail17trampoline_kernelINS0_13select_configILj256ELj13ELNS0_17block_load_methodE3ELS4_3ELS4_3ELNS0_20block_scan_algorithmE0ELj4294967295EEENS1_25partition_config_selectorILNS1_17partition_subalgoE4EjNS0_10empty_typeEbEEZZNS1_14partition_implILS8_4ELb0ES6_15HIP_vector_typeIjLj2EENS0_17counting_iteratorIjlEEPS9_SG_NS0_5tupleIJPjSI_NS0_16reverse_iteratorISI_EEEEENSH_IJSG_SG_SG_EEES9_SI_JZNS1_25segmented_radix_sort_implINS0_14default_configELb0EPK6__halfPSP_PKlPlN2at6native12_GLOBAL__N_18offset_tEEE10hipError_tPvRmT1_PNSt15iterator_traitsIS13_E10value_typeET2_T3_PNS14_IS19_E10value_typeET4_jRbjT5_S1F_jjP12ihipStream_tbEUljE_ZNSN_ISO_Lb0ESR_SS_SU_SV_SZ_EES10_S11_S12_S13_S17_S18_S19_S1C_S1D_jS1E_jS1F_S1F_jjS1H_bEUljE0_EEES10_S11_S12_S19_S1D_S1F_T6_T7_T9_mT8_S1H_bDpT10_ENKUlT_T0_E_clISt17integral_constantIbLb1EES1V_EEDaS1Q_S1R_EUlS1Q_E_NS1_11comp_targetILNS1_3genE4ELNS1_11target_archE910ELNS1_3gpuE8ELNS1_3repE0EEENS1_30default_config_static_selectorELNS0_4arch9wavefront6targetE0EEEvS13_.uses_flat_scratch, 0
	.set _ZN7rocprim17ROCPRIM_400000_NS6detail17trampoline_kernelINS0_13select_configILj256ELj13ELNS0_17block_load_methodE3ELS4_3ELS4_3ELNS0_20block_scan_algorithmE0ELj4294967295EEENS1_25partition_config_selectorILNS1_17partition_subalgoE4EjNS0_10empty_typeEbEEZZNS1_14partition_implILS8_4ELb0ES6_15HIP_vector_typeIjLj2EENS0_17counting_iteratorIjlEEPS9_SG_NS0_5tupleIJPjSI_NS0_16reverse_iteratorISI_EEEEENSH_IJSG_SG_SG_EEES9_SI_JZNS1_25segmented_radix_sort_implINS0_14default_configELb0EPK6__halfPSP_PKlPlN2at6native12_GLOBAL__N_18offset_tEEE10hipError_tPvRmT1_PNSt15iterator_traitsIS13_E10value_typeET2_T3_PNS14_IS19_E10value_typeET4_jRbjT5_S1F_jjP12ihipStream_tbEUljE_ZNSN_ISO_Lb0ESR_SS_SU_SV_SZ_EES10_S11_S12_S13_S17_S18_S19_S1C_S1D_jS1E_jS1F_S1F_jjS1H_bEUljE0_EEES10_S11_S12_S19_S1D_S1F_T6_T7_T9_mT8_S1H_bDpT10_ENKUlT_T0_E_clISt17integral_constantIbLb1EES1V_EEDaS1Q_S1R_EUlS1Q_E_NS1_11comp_targetILNS1_3genE4ELNS1_11target_archE910ELNS1_3gpuE8ELNS1_3repE0EEENS1_30default_config_static_selectorELNS0_4arch9wavefront6targetE0EEEvS13_.has_dyn_sized_stack, 0
	.set _ZN7rocprim17ROCPRIM_400000_NS6detail17trampoline_kernelINS0_13select_configILj256ELj13ELNS0_17block_load_methodE3ELS4_3ELS4_3ELNS0_20block_scan_algorithmE0ELj4294967295EEENS1_25partition_config_selectorILNS1_17partition_subalgoE4EjNS0_10empty_typeEbEEZZNS1_14partition_implILS8_4ELb0ES6_15HIP_vector_typeIjLj2EENS0_17counting_iteratorIjlEEPS9_SG_NS0_5tupleIJPjSI_NS0_16reverse_iteratorISI_EEEEENSH_IJSG_SG_SG_EEES9_SI_JZNS1_25segmented_radix_sort_implINS0_14default_configELb0EPK6__halfPSP_PKlPlN2at6native12_GLOBAL__N_18offset_tEEE10hipError_tPvRmT1_PNSt15iterator_traitsIS13_E10value_typeET2_T3_PNS14_IS19_E10value_typeET4_jRbjT5_S1F_jjP12ihipStream_tbEUljE_ZNSN_ISO_Lb0ESR_SS_SU_SV_SZ_EES10_S11_S12_S13_S17_S18_S19_S1C_S1D_jS1E_jS1F_S1F_jjS1H_bEUljE0_EEES10_S11_S12_S19_S1D_S1F_T6_T7_T9_mT8_S1H_bDpT10_ENKUlT_T0_E_clISt17integral_constantIbLb1EES1V_EEDaS1Q_S1R_EUlS1Q_E_NS1_11comp_targetILNS1_3genE4ELNS1_11target_archE910ELNS1_3gpuE8ELNS1_3repE0EEENS1_30default_config_static_selectorELNS0_4arch9wavefront6targetE0EEEvS13_.has_recursion, 0
	.set _ZN7rocprim17ROCPRIM_400000_NS6detail17trampoline_kernelINS0_13select_configILj256ELj13ELNS0_17block_load_methodE3ELS4_3ELS4_3ELNS0_20block_scan_algorithmE0ELj4294967295EEENS1_25partition_config_selectorILNS1_17partition_subalgoE4EjNS0_10empty_typeEbEEZZNS1_14partition_implILS8_4ELb0ES6_15HIP_vector_typeIjLj2EENS0_17counting_iteratorIjlEEPS9_SG_NS0_5tupleIJPjSI_NS0_16reverse_iteratorISI_EEEEENSH_IJSG_SG_SG_EEES9_SI_JZNS1_25segmented_radix_sort_implINS0_14default_configELb0EPK6__halfPSP_PKlPlN2at6native12_GLOBAL__N_18offset_tEEE10hipError_tPvRmT1_PNSt15iterator_traitsIS13_E10value_typeET2_T3_PNS14_IS19_E10value_typeET4_jRbjT5_S1F_jjP12ihipStream_tbEUljE_ZNSN_ISO_Lb0ESR_SS_SU_SV_SZ_EES10_S11_S12_S13_S17_S18_S19_S1C_S1D_jS1E_jS1F_S1F_jjS1H_bEUljE0_EEES10_S11_S12_S19_S1D_S1F_T6_T7_T9_mT8_S1H_bDpT10_ENKUlT_T0_E_clISt17integral_constantIbLb1EES1V_EEDaS1Q_S1R_EUlS1Q_E_NS1_11comp_targetILNS1_3genE4ELNS1_11target_archE910ELNS1_3gpuE8ELNS1_3repE0EEENS1_30default_config_static_selectorELNS0_4arch9wavefront6targetE0EEEvS13_.has_indirect_call, 0
	.section	.AMDGPU.csdata,"",@progbits
; Kernel info:
; codeLenInByte = 0
; TotalNumSgprs: 0
; NumVgprs: 0
; ScratchSize: 0
; MemoryBound: 0
; FloatMode: 240
; IeeeMode: 1
; LDSByteSize: 0 bytes/workgroup (compile time only)
; SGPRBlocks: 0
; VGPRBlocks: 0
; NumSGPRsForWavesPerEU: 1
; NumVGPRsForWavesPerEU: 1
; NamedBarCnt: 0
; Occupancy: 16
; WaveLimiterHint : 0
; COMPUTE_PGM_RSRC2:SCRATCH_EN: 0
; COMPUTE_PGM_RSRC2:USER_SGPR: 2
; COMPUTE_PGM_RSRC2:TRAP_HANDLER: 0
; COMPUTE_PGM_RSRC2:TGID_X_EN: 1
; COMPUTE_PGM_RSRC2:TGID_Y_EN: 0
; COMPUTE_PGM_RSRC2:TGID_Z_EN: 0
; COMPUTE_PGM_RSRC2:TIDIG_COMP_CNT: 0
	.section	.text._ZN7rocprim17ROCPRIM_400000_NS6detail17trampoline_kernelINS0_13select_configILj256ELj13ELNS0_17block_load_methodE3ELS4_3ELS4_3ELNS0_20block_scan_algorithmE0ELj4294967295EEENS1_25partition_config_selectorILNS1_17partition_subalgoE4EjNS0_10empty_typeEbEEZZNS1_14partition_implILS8_4ELb0ES6_15HIP_vector_typeIjLj2EENS0_17counting_iteratorIjlEEPS9_SG_NS0_5tupleIJPjSI_NS0_16reverse_iteratorISI_EEEEENSH_IJSG_SG_SG_EEES9_SI_JZNS1_25segmented_radix_sort_implINS0_14default_configELb0EPK6__halfPSP_PKlPlN2at6native12_GLOBAL__N_18offset_tEEE10hipError_tPvRmT1_PNSt15iterator_traitsIS13_E10value_typeET2_T3_PNS14_IS19_E10value_typeET4_jRbjT5_S1F_jjP12ihipStream_tbEUljE_ZNSN_ISO_Lb0ESR_SS_SU_SV_SZ_EES10_S11_S12_S13_S17_S18_S19_S1C_S1D_jS1E_jS1F_S1F_jjS1H_bEUljE0_EEES10_S11_S12_S19_S1D_S1F_T6_T7_T9_mT8_S1H_bDpT10_ENKUlT_T0_E_clISt17integral_constantIbLb1EES1V_EEDaS1Q_S1R_EUlS1Q_E_NS1_11comp_targetILNS1_3genE3ELNS1_11target_archE908ELNS1_3gpuE7ELNS1_3repE0EEENS1_30default_config_static_selectorELNS0_4arch9wavefront6targetE0EEEvS13_,"axG",@progbits,_ZN7rocprim17ROCPRIM_400000_NS6detail17trampoline_kernelINS0_13select_configILj256ELj13ELNS0_17block_load_methodE3ELS4_3ELS4_3ELNS0_20block_scan_algorithmE0ELj4294967295EEENS1_25partition_config_selectorILNS1_17partition_subalgoE4EjNS0_10empty_typeEbEEZZNS1_14partition_implILS8_4ELb0ES6_15HIP_vector_typeIjLj2EENS0_17counting_iteratorIjlEEPS9_SG_NS0_5tupleIJPjSI_NS0_16reverse_iteratorISI_EEEEENSH_IJSG_SG_SG_EEES9_SI_JZNS1_25segmented_radix_sort_implINS0_14default_configELb0EPK6__halfPSP_PKlPlN2at6native12_GLOBAL__N_18offset_tEEE10hipError_tPvRmT1_PNSt15iterator_traitsIS13_E10value_typeET2_T3_PNS14_IS19_E10value_typeET4_jRbjT5_S1F_jjP12ihipStream_tbEUljE_ZNSN_ISO_Lb0ESR_SS_SU_SV_SZ_EES10_S11_S12_S13_S17_S18_S19_S1C_S1D_jS1E_jS1F_S1F_jjS1H_bEUljE0_EEES10_S11_S12_S19_S1D_S1F_T6_T7_T9_mT8_S1H_bDpT10_ENKUlT_T0_E_clISt17integral_constantIbLb1EES1V_EEDaS1Q_S1R_EUlS1Q_E_NS1_11comp_targetILNS1_3genE3ELNS1_11target_archE908ELNS1_3gpuE7ELNS1_3repE0EEENS1_30default_config_static_selectorELNS0_4arch9wavefront6targetE0EEEvS13_,comdat
	.globl	_ZN7rocprim17ROCPRIM_400000_NS6detail17trampoline_kernelINS0_13select_configILj256ELj13ELNS0_17block_load_methodE3ELS4_3ELS4_3ELNS0_20block_scan_algorithmE0ELj4294967295EEENS1_25partition_config_selectorILNS1_17partition_subalgoE4EjNS0_10empty_typeEbEEZZNS1_14partition_implILS8_4ELb0ES6_15HIP_vector_typeIjLj2EENS0_17counting_iteratorIjlEEPS9_SG_NS0_5tupleIJPjSI_NS0_16reverse_iteratorISI_EEEEENSH_IJSG_SG_SG_EEES9_SI_JZNS1_25segmented_radix_sort_implINS0_14default_configELb0EPK6__halfPSP_PKlPlN2at6native12_GLOBAL__N_18offset_tEEE10hipError_tPvRmT1_PNSt15iterator_traitsIS13_E10value_typeET2_T3_PNS14_IS19_E10value_typeET4_jRbjT5_S1F_jjP12ihipStream_tbEUljE_ZNSN_ISO_Lb0ESR_SS_SU_SV_SZ_EES10_S11_S12_S13_S17_S18_S19_S1C_S1D_jS1E_jS1F_S1F_jjS1H_bEUljE0_EEES10_S11_S12_S19_S1D_S1F_T6_T7_T9_mT8_S1H_bDpT10_ENKUlT_T0_E_clISt17integral_constantIbLb1EES1V_EEDaS1Q_S1R_EUlS1Q_E_NS1_11comp_targetILNS1_3genE3ELNS1_11target_archE908ELNS1_3gpuE7ELNS1_3repE0EEENS1_30default_config_static_selectorELNS0_4arch9wavefront6targetE0EEEvS13_ ; -- Begin function _ZN7rocprim17ROCPRIM_400000_NS6detail17trampoline_kernelINS0_13select_configILj256ELj13ELNS0_17block_load_methodE3ELS4_3ELS4_3ELNS0_20block_scan_algorithmE0ELj4294967295EEENS1_25partition_config_selectorILNS1_17partition_subalgoE4EjNS0_10empty_typeEbEEZZNS1_14partition_implILS8_4ELb0ES6_15HIP_vector_typeIjLj2EENS0_17counting_iteratorIjlEEPS9_SG_NS0_5tupleIJPjSI_NS0_16reverse_iteratorISI_EEEEENSH_IJSG_SG_SG_EEES9_SI_JZNS1_25segmented_radix_sort_implINS0_14default_configELb0EPK6__halfPSP_PKlPlN2at6native12_GLOBAL__N_18offset_tEEE10hipError_tPvRmT1_PNSt15iterator_traitsIS13_E10value_typeET2_T3_PNS14_IS19_E10value_typeET4_jRbjT5_S1F_jjP12ihipStream_tbEUljE_ZNSN_ISO_Lb0ESR_SS_SU_SV_SZ_EES10_S11_S12_S13_S17_S18_S19_S1C_S1D_jS1E_jS1F_S1F_jjS1H_bEUljE0_EEES10_S11_S12_S19_S1D_S1F_T6_T7_T9_mT8_S1H_bDpT10_ENKUlT_T0_E_clISt17integral_constantIbLb1EES1V_EEDaS1Q_S1R_EUlS1Q_E_NS1_11comp_targetILNS1_3genE3ELNS1_11target_archE908ELNS1_3gpuE7ELNS1_3repE0EEENS1_30default_config_static_selectorELNS0_4arch9wavefront6targetE0EEEvS13_
	.p2align	8
	.type	_ZN7rocprim17ROCPRIM_400000_NS6detail17trampoline_kernelINS0_13select_configILj256ELj13ELNS0_17block_load_methodE3ELS4_3ELS4_3ELNS0_20block_scan_algorithmE0ELj4294967295EEENS1_25partition_config_selectorILNS1_17partition_subalgoE4EjNS0_10empty_typeEbEEZZNS1_14partition_implILS8_4ELb0ES6_15HIP_vector_typeIjLj2EENS0_17counting_iteratorIjlEEPS9_SG_NS0_5tupleIJPjSI_NS0_16reverse_iteratorISI_EEEEENSH_IJSG_SG_SG_EEES9_SI_JZNS1_25segmented_radix_sort_implINS0_14default_configELb0EPK6__halfPSP_PKlPlN2at6native12_GLOBAL__N_18offset_tEEE10hipError_tPvRmT1_PNSt15iterator_traitsIS13_E10value_typeET2_T3_PNS14_IS19_E10value_typeET4_jRbjT5_S1F_jjP12ihipStream_tbEUljE_ZNSN_ISO_Lb0ESR_SS_SU_SV_SZ_EES10_S11_S12_S13_S17_S18_S19_S1C_S1D_jS1E_jS1F_S1F_jjS1H_bEUljE0_EEES10_S11_S12_S19_S1D_S1F_T6_T7_T9_mT8_S1H_bDpT10_ENKUlT_T0_E_clISt17integral_constantIbLb1EES1V_EEDaS1Q_S1R_EUlS1Q_E_NS1_11comp_targetILNS1_3genE3ELNS1_11target_archE908ELNS1_3gpuE7ELNS1_3repE0EEENS1_30default_config_static_selectorELNS0_4arch9wavefront6targetE0EEEvS13_,@function
_ZN7rocprim17ROCPRIM_400000_NS6detail17trampoline_kernelINS0_13select_configILj256ELj13ELNS0_17block_load_methodE3ELS4_3ELS4_3ELNS0_20block_scan_algorithmE0ELj4294967295EEENS1_25partition_config_selectorILNS1_17partition_subalgoE4EjNS0_10empty_typeEbEEZZNS1_14partition_implILS8_4ELb0ES6_15HIP_vector_typeIjLj2EENS0_17counting_iteratorIjlEEPS9_SG_NS0_5tupleIJPjSI_NS0_16reverse_iteratorISI_EEEEENSH_IJSG_SG_SG_EEES9_SI_JZNS1_25segmented_radix_sort_implINS0_14default_configELb0EPK6__halfPSP_PKlPlN2at6native12_GLOBAL__N_18offset_tEEE10hipError_tPvRmT1_PNSt15iterator_traitsIS13_E10value_typeET2_T3_PNS14_IS19_E10value_typeET4_jRbjT5_S1F_jjP12ihipStream_tbEUljE_ZNSN_ISO_Lb0ESR_SS_SU_SV_SZ_EES10_S11_S12_S13_S17_S18_S19_S1C_S1D_jS1E_jS1F_S1F_jjS1H_bEUljE0_EEES10_S11_S12_S19_S1D_S1F_T6_T7_T9_mT8_S1H_bDpT10_ENKUlT_T0_E_clISt17integral_constantIbLb1EES1V_EEDaS1Q_S1R_EUlS1Q_E_NS1_11comp_targetILNS1_3genE3ELNS1_11target_archE908ELNS1_3gpuE7ELNS1_3repE0EEENS1_30default_config_static_selectorELNS0_4arch9wavefront6targetE0EEEvS13_: ; @_ZN7rocprim17ROCPRIM_400000_NS6detail17trampoline_kernelINS0_13select_configILj256ELj13ELNS0_17block_load_methodE3ELS4_3ELS4_3ELNS0_20block_scan_algorithmE0ELj4294967295EEENS1_25partition_config_selectorILNS1_17partition_subalgoE4EjNS0_10empty_typeEbEEZZNS1_14partition_implILS8_4ELb0ES6_15HIP_vector_typeIjLj2EENS0_17counting_iteratorIjlEEPS9_SG_NS0_5tupleIJPjSI_NS0_16reverse_iteratorISI_EEEEENSH_IJSG_SG_SG_EEES9_SI_JZNS1_25segmented_radix_sort_implINS0_14default_configELb0EPK6__halfPSP_PKlPlN2at6native12_GLOBAL__N_18offset_tEEE10hipError_tPvRmT1_PNSt15iterator_traitsIS13_E10value_typeET2_T3_PNS14_IS19_E10value_typeET4_jRbjT5_S1F_jjP12ihipStream_tbEUljE_ZNSN_ISO_Lb0ESR_SS_SU_SV_SZ_EES10_S11_S12_S13_S17_S18_S19_S1C_S1D_jS1E_jS1F_S1F_jjS1H_bEUljE0_EEES10_S11_S12_S19_S1D_S1F_T6_T7_T9_mT8_S1H_bDpT10_ENKUlT_T0_E_clISt17integral_constantIbLb1EES1V_EEDaS1Q_S1R_EUlS1Q_E_NS1_11comp_targetILNS1_3genE3ELNS1_11target_archE908ELNS1_3gpuE7ELNS1_3repE0EEENS1_30default_config_static_selectorELNS0_4arch9wavefront6targetE0EEEvS13_
; %bb.0:
	.section	.rodata,"a",@progbits
	.p2align	6, 0x0
	.amdhsa_kernel _ZN7rocprim17ROCPRIM_400000_NS6detail17trampoline_kernelINS0_13select_configILj256ELj13ELNS0_17block_load_methodE3ELS4_3ELS4_3ELNS0_20block_scan_algorithmE0ELj4294967295EEENS1_25partition_config_selectorILNS1_17partition_subalgoE4EjNS0_10empty_typeEbEEZZNS1_14partition_implILS8_4ELb0ES6_15HIP_vector_typeIjLj2EENS0_17counting_iteratorIjlEEPS9_SG_NS0_5tupleIJPjSI_NS0_16reverse_iteratorISI_EEEEENSH_IJSG_SG_SG_EEES9_SI_JZNS1_25segmented_radix_sort_implINS0_14default_configELb0EPK6__halfPSP_PKlPlN2at6native12_GLOBAL__N_18offset_tEEE10hipError_tPvRmT1_PNSt15iterator_traitsIS13_E10value_typeET2_T3_PNS14_IS19_E10value_typeET4_jRbjT5_S1F_jjP12ihipStream_tbEUljE_ZNSN_ISO_Lb0ESR_SS_SU_SV_SZ_EES10_S11_S12_S13_S17_S18_S19_S1C_S1D_jS1E_jS1F_S1F_jjS1H_bEUljE0_EEES10_S11_S12_S19_S1D_S1F_T6_T7_T9_mT8_S1H_bDpT10_ENKUlT_T0_E_clISt17integral_constantIbLb1EES1V_EEDaS1Q_S1R_EUlS1Q_E_NS1_11comp_targetILNS1_3genE3ELNS1_11target_archE908ELNS1_3gpuE7ELNS1_3repE0EEENS1_30default_config_static_selectorELNS0_4arch9wavefront6targetE0EEEvS13_
		.amdhsa_group_segment_fixed_size 0
		.amdhsa_private_segment_fixed_size 0
		.amdhsa_kernarg_size 184
		.amdhsa_user_sgpr_count 2
		.amdhsa_user_sgpr_dispatch_ptr 0
		.amdhsa_user_sgpr_queue_ptr 0
		.amdhsa_user_sgpr_kernarg_segment_ptr 1
		.amdhsa_user_sgpr_dispatch_id 0
		.amdhsa_user_sgpr_kernarg_preload_length 0
		.amdhsa_user_sgpr_kernarg_preload_offset 0
		.amdhsa_user_sgpr_private_segment_size 0
		.amdhsa_wavefront_size32 1
		.amdhsa_uses_dynamic_stack 0
		.amdhsa_enable_private_segment 0
		.amdhsa_system_sgpr_workgroup_id_x 1
		.amdhsa_system_sgpr_workgroup_id_y 0
		.amdhsa_system_sgpr_workgroup_id_z 0
		.amdhsa_system_sgpr_workgroup_info 0
		.amdhsa_system_vgpr_workitem_id 0
		.amdhsa_next_free_vgpr 1
		.amdhsa_next_free_sgpr 1
		.amdhsa_named_barrier_count 0
		.amdhsa_reserve_vcc 0
		.amdhsa_float_round_mode_32 0
		.amdhsa_float_round_mode_16_64 0
		.amdhsa_float_denorm_mode_32 3
		.amdhsa_float_denorm_mode_16_64 3
		.amdhsa_fp16_overflow 0
		.amdhsa_memory_ordered 1
		.amdhsa_forward_progress 1
		.amdhsa_inst_pref_size 0
		.amdhsa_round_robin_scheduling 0
		.amdhsa_exception_fp_ieee_invalid_op 0
		.amdhsa_exception_fp_denorm_src 0
		.amdhsa_exception_fp_ieee_div_zero 0
		.amdhsa_exception_fp_ieee_overflow 0
		.amdhsa_exception_fp_ieee_underflow 0
		.amdhsa_exception_fp_ieee_inexact 0
		.amdhsa_exception_int_div_zero 0
	.end_amdhsa_kernel
	.section	.text._ZN7rocprim17ROCPRIM_400000_NS6detail17trampoline_kernelINS0_13select_configILj256ELj13ELNS0_17block_load_methodE3ELS4_3ELS4_3ELNS0_20block_scan_algorithmE0ELj4294967295EEENS1_25partition_config_selectorILNS1_17partition_subalgoE4EjNS0_10empty_typeEbEEZZNS1_14partition_implILS8_4ELb0ES6_15HIP_vector_typeIjLj2EENS0_17counting_iteratorIjlEEPS9_SG_NS0_5tupleIJPjSI_NS0_16reverse_iteratorISI_EEEEENSH_IJSG_SG_SG_EEES9_SI_JZNS1_25segmented_radix_sort_implINS0_14default_configELb0EPK6__halfPSP_PKlPlN2at6native12_GLOBAL__N_18offset_tEEE10hipError_tPvRmT1_PNSt15iterator_traitsIS13_E10value_typeET2_T3_PNS14_IS19_E10value_typeET4_jRbjT5_S1F_jjP12ihipStream_tbEUljE_ZNSN_ISO_Lb0ESR_SS_SU_SV_SZ_EES10_S11_S12_S13_S17_S18_S19_S1C_S1D_jS1E_jS1F_S1F_jjS1H_bEUljE0_EEES10_S11_S12_S19_S1D_S1F_T6_T7_T9_mT8_S1H_bDpT10_ENKUlT_T0_E_clISt17integral_constantIbLb1EES1V_EEDaS1Q_S1R_EUlS1Q_E_NS1_11comp_targetILNS1_3genE3ELNS1_11target_archE908ELNS1_3gpuE7ELNS1_3repE0EEENS1_30default_config_static_selectorELNS0_4arch9wavefront6targetE0EEEvS13_,"axG",@progbits,_ZN7rocprim17ROCPRIM_400000_NS6detail17trampoline_kernelINS0_13select_configILj256ELj13ELNS0_17block_load_methodE3ELS4_3ELS4_3ELNS0_20block_scan_algorithmE0ELj4294967295EEENS1_25partition_config_selectorILNS1_17partition_subalgoE4EjNS0_10empty_typeEbEEZZNS1_14partition_implILS8_4ELb0ES6_15HIP_vector_typeIjLj2EENS0_17counting_iteratorIjlEEPS9_SG_NS0_5tupleIJPjSI_NS0_16reverse_iteratorISI_EEEEENSH_IJSG_SG_SG_EEES9_SI_JZNS1_25segmented_radix_sort_implINS0_14default_configELb0EPK6__halfPSP_PKlPlN2at6native12_GLOBAL__N_18offset_tEEE10hipError_tPvRmT1_PNSt15iterator_traitsIS13_E10value_typeET2_T3_PNS14_IS19_E10value_typeET4_jRbjT5_S1F_jjP12ihipStream_tbEUljE_ZNSN_ISO_Lb0ESR_SS_SU_SV_SZ_EES10_S11_S12_S13_S17_S18_S19_S1C_S1D_jS1E_jS1F_S1F_jjS1H_bEUljE0_EEES10_S11_S12_S19_S1D_S1F_T6_T7_T9_mT8_S1H_bDpT10_ENKUlT_T0_E_clISt17integral_constantIbLb1EES1V_EEDaS1Q_S1R_EUlS1Q_E_NS1_11comp_targetILNS1_3genE3ELNS1_11target_archE908ELNS1_3gpuE7ELNS1_3repE0EEENS1_30default_config_static_selectorELNS0_4arch9wavefront6targetE0EEEvS13_,comdat
.Lfunc_end1779:
	.size	_ZN7rocprim17ROCPRIM_400000_NS6detail17trampoline_kernelINS0_13select_configILj256ELj13ELNS0_17block_load_methodE3ELS4_3ELS4_3ELNS0_20block_scan_algorithmE0ELj4294967295EEENS1_25partition_config_selectorILNS1_17partition_subalgoE4EjNS0_10empty_typeEbEEZZNS1_14partition_implILS8_4ELb0ES6_15HIP_vector_typeIjLj2EENS0_17counting_iteratorIjlEEPS9_SG_NS0_5tupleIJPjSI_NS0_16reverse_iteratorISI_EEEEENSH_IJSG_SG_SG_EEES9_SI_JZNS1_25segmented_radix_sort_implINS0_14default_configELb0EPK6__halfPSP_PKlPlN2at6native12_GLOBAL__N_18offset_tEEE10hipError_tPvRmT1_PNSt15iterator_traitsIS13_E10value_typeET2_T3_PNS14_IS19_E10value_typeET4_jRbjT5_S1F_jjP12ihipStream_tbEUljE_ZNSN_ISO_Lb0ESR_SS_SU_SV_SZ_EES10_S11_S12_S13_S17_S18_S19_S1C_S1D_jS1E_jS1F_S1F_jjS1H_bEUljE0_EEES10_S11_S12_S19_S1D_S1F_T6_T7_T9_mT8_S1H_bDpT10_ENKUlT_T0_E_clISt17integral_constantIbLb1EES1V_EEDaS1Q_S1R_EUlS1Q_E_NS1_11comp_targetILNS1_3genE3ELNS1_11target_archE908ELNS1_3gpuE7ELNS1_3repE0EEENS1_30default_config_static_selectorELNS0_4arch9wavefront6targetE0EEEvS13_, .Lfunc_end1779-_ZN7rocprim17ROCPRIM_400000_NS6detail17trampoline_kernelINS0_13select_configILj256ELj13ELNS0_17block_load_methodE3ELS4_3ELS4_3ELNS0_20block_scan_algorithmE0ELj4294967295EEENS1_25partition_config_selectorILNS1_17partition_subalgoE4EjNS0_10empty_typeEbEEZZNS1_14partition_implILS8_4ELb0ES6_15HIP_vector_typeIjLj2EENS0_17counting_iteratorIjlEEPS9_SG_NS0_5tupleIJPjSI_NS0_16reverse_iteratorISI_EEEEENSH_IJSG_SG_SG_EEES9_SI_JZNS1_25segmented_radix_sort_implINS0_14default_configELb0EPK6__halfPSP_PKlPlN2at6native12_GLOBAL__N_18offset_tEEE10hipError_tPvRmT1_PNSt15iterator_traitsIS13_E10value_typeET2_T3_PNS14_IS19_E10value_typeET4_jRbjT5_S1F_jjP12ihipStream_tbEUljE_ZNSN_ISO_Lb0ESR_SS_SU_SV_SZ_EES10_S11_S12_S13_S17_S18_S19_S1C_S1D_jS1E_jS1F_S1F_jjS1H_bEUljE0_EEES10_S11_S12_S19_S1D_S1F_T6_T7_T9_mT8_S1H_bDpT10_ENKUlT_T0_E_clISt17integral_constantIbLb1EES1V_EEDaS1Q_S1R_EUlS1Q_E_NS1_11comp_targetILNS1_3genE3ELNS1_11target_archE908ELNS1_3gpuE7ELNS1_3repE0EEENS1_30default_config_static_selectorELNS0_4arch9wavefront6targetE0EEEvS13_
                                        ; -- End function
	.set _ZN7rocprim17ROCPRIM_400000_NS6detail17trampoline_kernelINS0_13select_configILj256ELj13ELNS0_17block_load_methodE3ELS4_3ELS4_3ELNS0_20block_scan_algorithmE0ELj4294967295EEENS1_25partition_config_selectorILNS1_17partition_subalgoE4EjNS0_10empty_typeEbEEZZNS1_14partition_implILS8_4ELb0ES6_15HIP_vector_typeIjLj2EENS0_17counting_iteratorIjlEEPS9_SG_NS0_5tupleIJPjSI_NS0_16reverse_iteratorISI_EEEEENSH_IJSG_SG_SG_EEES9_SI_JZNS1_25segmented_radix_sort_implINS0_14default_configELb0EPK6__halfPSP_PKlPlN2at6native12_GLOBAL__N_18offset_tEEE10hipError_tPvRmT1_PNSt15iterator_traitsIS13_E10value_typeET2_T3_PNS14_IS19_E10value_typeET4_jRbjT5_S1F_jjP12ihipStream_tbEUljE_ZNSN_ISO_Lb0ESR_SS_SU_SV_SZ_EES10_S11_S12_S13_S17_S18_S19_S1C_S1D_jS1E_jS1F_S1F_jjS1H_bEUljE0_EEES10_S11_S12_S19_S1D_S1F_T6_T7_T9_mT8_S1H_bDpT10_ENKUlT_T0_E_clISt17integral_constantIbLb1EES1V_EEDaS1Q_S1R_EUlS1Q_E_NS1_11comp_targetILNS1_3genE3ELNS1_11target_archE908ELNS1_3gpuE7ELNS1_3repE0EEENS1_30default_config_static_selectorELNS0_4arch9wavefront6targetE0EEEvS13_.num_vgpr, 0
	.set _ZN7rocprim17ROCPRIM_400000_NS6detail17trampoline_kernelINS0_13select_configILj256ELj13ELNS0_17block_load_methodE3ELS4_3ELS4_3ELNS0_20block_scan_algorithmE0ELj4294967295EEENS1_25partition_config_selectorILNS1_17partition_subalgoE4EjNS0_10empty_typeEbEEZZNS1_14partition_implILS8_4ELb0ES6_15HIP_vector_typeIjLj2EENS0_17counting_iteratorIjlEEPS9_SG_NS0_5tupleIJPjSI_NS0_16reverse_iteratorISI_EEEEENSH_IJSG_SG_SG_EEES9_SI_JZNS1_25segmented_radix_sort_implINS0_14default_configELb0EPK6__halfPSP_PKlPlN2at6native12_GLOBAL__N_18offset_tEEE10hipError_tPvRmT1_PNSt15iterator_traitsIS13_E10value_typeET2_T3_PNS14_IS19_E10value_typeET4_jRbjT5_S1F_jjP12ihipStream_tbEUljE_ZNSN_ISO_Lb0ESR_SS_SU_SV_SZ_EES10_S11_S12_S13_S17_S18_S19_S1C_S1D_jS1E_jS1F_S1F_jjS1H_bEUljE0_EEES10_S11_S12_S19_S1D_S1F_T6_T7_T9_mT8_S1H_bDpT10_ENKUlT_T0_E_clISt17integral_constantIbLb1EES1V_EEDaS1Q_S1R_EUlS1Q_E_NS1_11comp_targetILNS1_3genE3ELNS1_11target_archE908ELNS1_3gpuE7ELNS1_3repE0EEENS1_30default_config_static_selectorELNS0_4arch9wavefront6targetE0EEEvS13_.num_agpr, 0
	.set _ZN7rocprim17ROCPRIM_400000_NS6detail17trampoline_kernelINS0_13select_configILj256ELj13ELNS0_17block_load_methodE3ELS4_3ELS4_3ELNS0_20block_scan_algorithmE0ELj4294967295EEENS1_25partition_config_selectorILNS1_17partition_subalgoE4EjNS0_10empty_typeEbEEZZNS1_14partition_implILS8_4ELb0ES6_15HIP_vector_typeIjLj2EENS0_17counting_iteratorIjlEEPS9_SG_NS0_5tupleIJPjSI_NS0_16reverse_iteratorISI_EEEEENSH_IJSG_SG_SG_EEES9_SI_JZNS1_25segmented_radix_sort_implINS0_14default_configELb0EPK6__halfPSP_PKlPlN2at6native12_GLOBAL__N_18offset_tEEE10hipError_tPvRmT1_PNSt15iterator_traitsIS13_E10value_typeET2_T3_PNS14_IS19_E10value_typeET4_jRbjT5_S1F_jjP12ihipStream_tbEUljE_ZNSN_ISO_Lb0ESR_SS_SU_SV_SZ_EES10_S11_S12_S13_S17_S18_S19_S1C_S1D_jS1E_jS1F_S1F_jjS1H_bEUljE0_EEES10_S11_S12_S19_S1D_S1F_T6_T7_T9_mT8_S1H_bDpT10_ENKUlT_T0_E_clISt17integral_constantIbLb1EES1V_EEDaS1Q_S1R_EUlS1Q_E_NS1_11comp_targetILNS1_3genE3ELNS1_11target_archE908ELNS1_3gpuE7ELNS1_3repE0EEENS1_30default_config_static_selectorELNS0_4arch9wavefront6targetE0EEEvS13_.numbered_sgpr, 0
	.set _ZN7rocprim17ROCPRIM_400000_NS6detail17trampoline_kernelINS0_13select_configILj256ELj13ELNS0_17block_load_methodE3ELS4_3ELS4_3ELNS0_20block_scan_algorithmE0ELj4294967295EEENS1_25partition_config_selectorILNS1_17partition_subalgoE4EjNS0_10empty_typeEbEEZZNS1_14partition_implILS8_4ELb0ES6_15HIP_vector_typeIjLj2EENS0_17counting_iteratorIjlEEPS9_SG_NS0_5tupleIJPjSI_NS0_16reverse_iteratorISI_EEEEENSH_IJSG_SG_SG_EEES9_SI_JZNS1_25segmented_radix_sort_implINS0_14default_configELb0EPK6__halfPSP_PKlPlN2at6native12_GLOBAL__N_18offset_tEEE10hipError_tPvRmT1_PNSt15iterator_traitsIS13_E10value_typeET2_T3_PNS14_IS19_E10value_typeET4_jRbjT5_S1F_jjP12ihipStream_tbEUljE_ZNSN_ISO_Lb0ESR_SS_SU_SV_SZ_EES10_S11_S12_S13_S17_S18_S19_S1C_S1D_jS1E_jS1F_S1F_jjS1H_bEUljE0_EEES10_S11_S12_S19_S1D_S1F_T6_T7_T9_mT8_S1H_bDpT10_ENKUlT_T0_E_clISt17integral_constantIbLb1EES1V_EEDaS1Q_S1R_EUlS1Q_E_NS1_11comp_targetILNS1_3genE3ELNS1_11target_archE908ELNS1_3gpuE7ELNS1_3repE0EEENS1_30default_config_static_selectorELNS0_4arch9wavefront6targetE0EEEvS13_.num_named_barrier, 0
	.set _ZN7rocprim17ROCPRIM_400000_NS6detail17trampoline_kernelINS0_13select_configILj256ELj13ELNS0_17block_load_methodE3ELS4_3ELS4_3ELNS0_20block_scan_algorithmE0ELj4294967295EEENS1_25partition_config_selectorILNS1_17partition_subalgoE4EjNS0_10empty_typeEbEEZZNS1_14partition_implILS8_4ELb0ES6_15HIP_vector_typeIjLj2EENS0_17counting_iteratorIjlEEPS9_SG_NS0_5tupleIJPjSI_NS0_16reverse_iteratorISI_EEEEENSH_IJSG_SG_SG_EEES9_SI_JZNS1_25segmented_radix_sort_implINS0_14default_configELb0EPK6__halfPSP_PKlPlN2at6native12_GLOBAL__N_18offset_tEEE10hipError_tPvRmT1_PNSt15iterator_traitsIS13_E10value_typeET2_T3_PNS14_IS19_E10value_typeET4_jRbjT5_S1F_jjP12ihipStream_tbEUljE_ZNSN_ISO_Lb0ESR_SS_SU_SV_SZ_EES10_S11_S12_S13_S17_S18_S19_S1C_S1D_jS1E_jS1F_S1F_jjS1H_bEUljE0_EEES10_S11_S12_S19_S1D_S1F_T6_T7_T9_mT8_S1H_bDpT10_ENKUlT_T0_E_clISt17integral_constantIbLb1EES1V_EEDaS1Q_S1R_EUlS1Q_E_NS1_11comp_targetILNS1_3genE3ELNS1_11target_archE908ELNS1_3gpuE7ELNS1_3repE0EEENS1_30default_config_static_selectorELNS0_4arch9wavefront6targetE0EEEvS13_.private_seg_size, 0
	.set _ZN7rocprim17ROCPRIM_400000_NS6detail17trampoline_kernelINS0_13select_configILj256ELj13ELNS0_17block_load_methodE3ELS4_3ELS4_3ELNS0_20block_scan_algorithmE0ELj4294967295EEENS1_25partition_config_selectorILNS1_17partition_subalgoE4EjNS0_10empty_typeEbEEZZNS1_14partition_implILS8_4ELb0ES6_15HIP_vector_typeIjLj2EENS0_17counting_iteratorIjlEEPS9_SG_NS0_5tupleIJPjSI_NS0_16reverse_iteratorISI_EEEEENSH_IJSG_SG_SG_EEES9_SI_JZNS1_25segmented_radix_sort_implINS0_14default_configELb0EPK6__halfPSP_PKlPlN2at6native12_GLOBAL__N_18offset_tEEE10hipError_tPvRmT1_PNSt15iterator_traitsIS13_E10value_typeET2_T3_PNS14_IS19_E10value_typeET4_jRbjT5_S1F_jjP12ihipStream_tbEUljE_ZNSN_ISO_Lb0ESR_SS_SU_SV_SZ_EES10_S11_S12_S13_S17_S18_S19_S1C_S1D_jS1E_jS1F_S1F_jjS1H_bEUljE0_EEES10_S11_S12_S19_S1D_S1F_T6_T7_T9_mT8_S1H_bDpT10_ENKUlT_T0_E_clISt17integral_constantIbLb1EES1V_EEDaS1Q_S1R_EUlS1Q_E_NS1_11comp_targetILNS1_3genE3ELNS1_11target_archE908ELNS1_3gpuE7ELNS1_3repE0EEENS1_30default_config_static_selectorELNS0_4arch9wavefront6targetE0EEEvS13_.uses_vcc, 0
	.set _ZN7rocprim17ROCPRIM_400000_NS6detail17trampoline_kernelINS0_13select_configILj256ELj13ELNS0_17block_load_methodE3ELS4_3ELS4_3ELNS0_20block_scan_algorithmE0ELj4294967295EEENS1_25partition_config_selectorILNS1_17partition_subalgoE4EjNS0_10empty_typeEbEEZZNS1_14partition_implILS8_4ELb0ES6_15HIP_vector_typeIjLj2EENS0_17counting_iteratorIjlEEPS9_SG_NS0_5tupleIJPjSI_NS0_16reverse_iteratorISI_EEEEENSH_IJSG_SG_SG_EEES9_SI_JZNS1_25segmented_radix_sort_implINS0_14default_configELb0EPK6__halfPSP_PKlPlN2at6native12_GLOBAL__N_18offset_tEEE10hipError_tPvRmT1_PNSt15iterator_traitsIS13_E10value_typeET2_T3_PNS14_IS19_E10value_typeET4_jRbjT5_S1F_jjP12ihipStream_tbEUljE_ZNSN_ISO_Lb0ESR_SS_SU_SV_SZ_EES10_S11_S12_S13_S17_S18_S19_S1C_S1D_jS1E_jS1F_S1F_jjS1H_bEUljE0_EEES10_S11_S12_S19_S1D_S1F_T6_T7_T9_mT8_S1H_bDpT10_ENKUlT_T0_E_clISt17integral_constantIbLb1EES1V_EEDaS1Q_S1R_EUlS1Q_E_NS1_11comp_targetILNS1_3genE3ELNS1_11target_archE908ELNS1_3gpuE7ELNS1_3repE0EEENS1_30default_config_static_selectorELNS0_4arch9wavefront6targetE0EEEvS13_.uses_flat_scratch, 0
	.set _ZN7rocprim17ROCPRIM_400000_NS6detail17trampoline_kernelINS0_13select_configILj256ELj13ELNS0_17block_load_methodE3ELS4_3ELS4_3ELNS0_20block_scan_algorithmE0ELj4294967295EEENS1_25partition_config_selectorILNS1_17partition_subalgoE4EjNS0_10empty_typeEbEEZZNS1_14partition_implILS8_4ELb0ES6_15HIP_vector_typeIjLj2EENS0_17counting_iteratorIjlEEPS9_SG_NS0_5tupleIJPjSI_NS0_16reverse_iteratorISI_EEEEENSH_IJSG_SG_SG_EEES9_SI_JZNS1_25segmented_radix_sort_implINS0_14default_configELb0EPK6__halfPSP_PKlPlN2at6native12_GLOBAL__N_18offset_tEEE10hipError_tPvRmT1_PNSt15iterator_traitsIS13_E10value_typeET2_T3_PNS14_IS19_E10value_typeET4_jRbjT5_S1F_jjP12ihipStream_tbEUljE_ZNSN_ISO_Lb0ESR_SS_SU_SV_SZ_EES10_S11_S12_S13_S17_S18_S19_S1C_S1D_jS1E_jS1F_S1F_jjS1H_bEUljE0_EEES10_S11_S12_S19_S1D_S1F_T6_T7_T9_mT8_S1H_bDpT10_ENKUlT_T0_E_clISt17integral_constantIbLb1EES1V_EEDaS1Q_S1R_EUlS1Q_E_NS1_11comp_targetILNS1_3genE3ELNS1_11target_archE908ELNS1_3gpuE7ELNS1_3repE0EEENS1_30default_config_static_selectorELNS0_4arch9wavefront6targetE0EEEvS13_.has_dyn_sized_stack, 0
	.set _ZN7rocprim17ROCPRIM_400000_NS6detail17trampoline_kernelINS0_13select_configILj256ELj13ELNS0_17block_load_methodE3ELS4_3ELS4_3ELNS0_20block_scan_algorithmE0ELj4294967295EEENS1_25partition_config_selectorILNS1_17partition_subalgoE4EjNS0_10empty_typeEbEEZZNS1_14partition_implILS8_4ELb0ES6_15HIP_vector_typeIjLj2EENS0_17counting_iteratorIjlEEPS9_SG_NS0_5tupleIJPjSI_NS0_16reverse_iteratorISI_EEEEENSH_IJSG_SG_SG_EEES9_SI_JZNS1_25segmented_radix_sort_implINS0_14default_configELb0EPK6__halfPSP_PKlPlN2at6native12_GLOBAL__N_18offset_tEEE10hipError_tPvRmT1_PNSt15iterator_traitsIS13_E10value_typeET2_T3_PNS14_IS19_E10value_typeET4_jRbjT5_S1F_jjP12ihipStream_tbEUljE_ZNSN_ISO_Lb0ESR_SS_SU_SV_SZ_EES10_S11_S12_S13_S17_S18_S19_S1C_S1D_jS1E_jS1F_S1F_jjS1H_bEUljE0_EEES10_S11_S12_S19_S1D_S1F_T6_T7_T9_mT8_S1H_bDpT10_ENKUlT_T0_E_clISt17integral_constantIbLb1EES1V_EEDaS1Q_S1R_EUlS1Q_E_NS1_11comp_targetILNS1_3genE3ELNS1_11target_archE908ELNS1_3gpuE7ELNS1_3repE0EEENS1_30default_config_static_selectorELNS0_4arch9wavefront6targetE0EEEvS13_.has_recursion, 0
	.set _ZN7rocprim17ROCPRIM_400000_NS6detail17trampoline_kernelINS0_13select_configILj256ELj13ELNS0_17block_load_methodE3ELS4_3ELS4_3ELNS0_20block_scan_algorithmE0ELj4294967295EEENS1_25partition_config_selectorILNS1_17partition_subalgoE4EjNS0_10empty_typeEbEEZZNS1_14partition_implILS8_4ELb0ES6_15HIP_vector_typeIjLj2EENS0_17counting_iteratorIjlEEPS9_SG_NS0_5tupleIJPjSI_NS0_16reverse_iteratorISI_EEEEENSH_IJSG_SG_SG_EEES9_SI_JZNS1_25segmented_radix_sort_implINS0_14default_configELb0EPK6__halfPSP_PKlPlN2at6native12_GLOBAL__N_18offset_tEEE10hipError_tPvRmT1_PNSt15iterator_traitsIS13_E10value_typeET2_T3_PNS14_IS19_E10value_typeET4_jRbjT5_S1F_jjP12ihipStream_tbEUljE_ZNSN_ISO_Lb0ESR_SS_SU_SV_SZ_EES10_S11_S12_S13_S17_S18_S19_S1C_S1D_jS1E_jS1F_S1F_jjS1H_bEUljE0_EEES10_S11_S12_S19_S1D_S1F_T6_T7_T9_mT8_S1H_bDpT10_ENKUlT_T0_E_clISt17integral_constantIbLb1EES1V_EEDaS1Q_S1R_EUlS1Q_E_NS1_11comp_targetILNS1_3genE3ELNS1_11target_archE908ELNS1_3gpuE7ELNS1_3repE0EEENS1_30default_config_static_selectorELNS0_4arch9wavefront6targetE0EEEvS13_.has_indirect_call, 0
	.section	.AMDGPU.csdata,"",@progbits
; Kernel info:
; codeLenInByte = 0
; TotalNumSgprs: 0
; NumVgprs: 0
; ScratchSize: 0
; MemoryBound: 0
; FloatMode: 240
; IeeeMode: 1
; LDSByteSize: 0 bytes/workgroup (compile time only)
; SGPRBlocks: 0
; VGPRBlocks: 0
; NumSGPRsForWavesPerEU: 1
; NumVGPRsForWavesPerEU: 1
; NamedBarCnt: 0
; Occupancy: 16
; WaveLimiterHint : 0
; COMPUTE_PGM_RSRC2:SCRATCH_EN: 0
; COMPUTE_PGM_RSRC2:USER_SGPR: 2
; COMPUTE_PGM_RSRC2:TRAP_HANDLER: 0
; COMPUTE_PGM_RSRC2:TGID_X_EN: 1
; COMPUTE_PGM_RSRC2:TGID_Y_EN: 0
; COMPUTE_PGM_RSRC2:TGID_Z_EN: 0
; COMPUTE_PGM_RSRC2:TIDIG_COMP_CNT: 0
	.section	.text._ZN7rocprim17ROCPRIM_400000_NS6detail17trampoline_kernelINS0_13select_configILj256ELj13ELNS0_17block_load_methodE3ELS4_3ELS4_3ELNS0_20block_scan_algorithmE0ELj4294967295EEENS1_25partition_config_selectorILNS1_17partition_subalgoE4EjNS0_10empty_typeEbEEZZNS1_14partition_implILS8_4ELb0ES6_15HIP_vector_typeIjLj2EENS0_17counting_iteratorIjlEEPS9_SG_NS0_5tupleIJPjSI_NS0_16reverse_iteratorISI_EEEEENSH_IJSG_SG_SG_EEES9_SI_JZNS1_25segmented_radix_sort_implINS0_14default_configELb0EPK6__halfPSP_PKlPlN2at6native12_GLOBAL__N_18offset_tEEE10hipError_tPvRmT1_PNSt15iterator_traitsIS13_E10value_typeET2_T3_PNS14_IS19_E10value_typeET4_jRbjT5_S1F_jjP12ihipStream_tbEUljE_ZNSN_ISO_Lb0ESR_SS_SU_SV_SZ_EES10_S11_S12_S13_S17_S18_S19_S1C_S1D_jS1E_jS1F_S1F_jjS1H_bEUljE0_EEES10_S11_S12_S19_S1D_S1F_T6_T7_T9_mT8_S1H_bDpT10_ENKUlT_T0_E_clISt17integral_constantIbLb1EES1V_EEDaS1Q_S1R_EUlS1Q_E_NS1_11comp_targetILNS1_3genE2ELNS1_11target_archE906ELNS1_3gpuE6ELNS1_3repE0EEENS1_30default_config_static_selectorELNS0_4arch9wavefront6targetE0EEEvS13_,"axG",@progbits,_ZN7rocprim17ROCPRIM_400000_NS6detail17trampoline_kernelINS0_13select_configILj256ELj13ELNS0_17block_load_methodE3ELS4_3ELS4_3ELNS0_20block_scan_algorithmE0ELj4294967295EEENS1_25partition_config_selectorILNS1_17partition_subalgoE4EjNS0_10empty_typeEbEEZZNS1_14partition_implILS8_4ELb0ES6_15HIP_vector_typeIjLj2EENS0_17counting_iteratorIjlEEPS9_SG_NS0_5tupleIJPjSI_NS0_16reverse_iteratorISI_EEEEENSH_IJSG_SG_SG_EEES9_SI_JZNS1_25segmented_radix_sort_implINS0_14default_configELb0EPK6__halfPSP_PKlPlN2at6native12_GLOBAL__N_18offset_tEEE10hipError_tPvRmT1_PNSt15iterator_traitsIS13_E10value_typeET2_T3_PNS14_IS19_E10value_typeET4_jRbjT5_S1F_jjP12ihipStream_tbEUljE_ZNSN_ISO_Lb0ESR_SS_SU_SV_SZ_EES10_S11_S12_S13_S17_S18_S19_S1C_S1D_jS1E_jS1F_S1F_jjS1H_bEUljE0_EEES10_S11_S12_S19_S1D_S1F_T6_T7_T9_mT8_S1H_bDpT10_ENKUlT_T0_E_clISt17integral_constantIbLb1EES1V_EEDaS1Q_S1R_EUlS1Q_E_NS1_11comp_targetILNS1_3genE2ELNS1_11target_archE906ELNS1_3gpuE6ELNS1_3repE0EEENS1_30default_config_static_selectorELNS0_4arch9wavefront6targetE0EEEvS13_,comdat
	.globl	_ZN7rocprim17ROCPRIM_400000_NS6detail17trampoline_kernelINS0_13select_configILj256ELj13ELNS0_17block_load_methodE3ELS4_3ELS4_3ELNS0_20block_scan_algorithmE0ELj4294967295EEENS1_25partition_config_selectorILNS1_17partition_subalgoE4EjNS0_10empty_typeEbEEZZNS1_14partition_implILS8_4ELb0ES6_15HIP_vector_typeIjLj2EENS0_17counting_iteratorIjlEEPS9_SG_NS0_5tupleIJPjSI_NS0_16reverse_iteratorISI_EEEEENSH_IJSG_SG_SG_EEES9_SI_JZNS1_25segmented_radix_sort_implINS0_14default_configELb0EPK6__halfPSP_PKlPlN2at6native12_GLOBAL__N_18offset_tEEE10hipError_tPvRmT1_PNSt15iterator_traitsIS13_E10value_typeET2_T3_PNS14_IS19_E10value_typeET4_jRbjT5_S1F_jjP12ihipStream_tbEUljE_ZNSN_ISO_Lb0ESR_SS_SU_SV_SZ_EES10_S11_S12_S13_S17_S18_S19_S1C_S1D_jS1E_jS1F_S1F_jjS1H_bEUljE0_EEES10_S11_S12_S19_S1D_S1F_T6_T7_T9_mT8_S1H_bDpT10_ENKUlT_T0_E_clISt17integral_constantIbLb1EES1V_EEDaS1Q_S1R_EUlS1Q_E_NS1_11comp_targetILNS1_3genE2ELNS1_11target_archE906ELNS1_3gpuE6ELNS1_3repE0EEENS1_30default_config_static_selectorELNS0_4arch9wavefront6targetE0EEEvS13_ ; -- Begin function _ZN7rocprim17ROCPRIM_400000_NS6detail17trampoline_kernelINS0_13select_configILj256ELj13ELNS0_17block_load_methodE3ELS4_3ELS4_3ELNS0_20block_scan_algorithmE0ELj4294967295EEENS1_25partition_config_selectorILNS1_17partition_subalgoE4EjNS0_10empty_typeEbEEZZNS1_14partition_implILS8_4ELb0ES6_15HIP_vector_typeIjLj2EENS0_17counting_iteratorIjlEEPS9_SG_NS0_5tupleIJPjSI_NS0_16reverse_iteratorISI_EEEEENSH_IJSG_SG_SG_EEES9_SI_JZNS1_25segmented_radix_sort_implINS0_14default_configELb0EPK6__halfPSP_PKlPlN2at6native12_GLOBAL__N_18offset_tEEE10hipError_tPvRmT1_PNSt15iterator_traitsIS13_E10value_typeET2_T3_PNS14_IS19_E10value_typeET4_jRbjT5_S1F_jjP12ihipStream_tbEUljE_ZNSN_ISO_Lb0ESR_SS_SU_SV_SZ_EES10_S11_S12_S13_S17_S18_S19_S1C_S1D_jS1E_jS1F_S1F_jjS1H_bEUljE0_EEES10_S11_S12_S19_S1D_S1F_T6_T7_T9_mT8_S1H_bDpT10_ENKUlT_T0_E_clISt17integral_constantIbLb1EES1V_EEDaS1Q_S1R_EUlS1Q_E_NS1_11comp_targetILNS1_3genE2ELNS1_11target_archE906ELNS1_3gpuE6ELNS1_3repE0EEENS1_30default_config_static_selectorELNS0_4arch9wavefront6targetE0EEEvS13_
	.p2align	8
	.type	_ZN7rocprim17ROCPRIM_400000_NS6detail17trampoline_kernelINS0_13select_configILj256ELj13ELNS0_17block_load_methodE3ELS4_3ELS4_3ELNS0_20block_scan_algorithmE0ELj4294967295EEENS1_25partition_config_selectorILNS1_17partition_subalgoE4EjNS0_10empty_typeEbEEZZNS1_14partition_implILS8_4ELb0ES6_15HIP_vector_typeIjLj2EENS0_17counting_iteratorIjlEEPS9_SG_NS0_5tupleIJPjSI_NS0_16reverse_iteratorISI_EEEEENSH_IJSG_SG_SG_EEES9_SI_JZNS1_25segmented_radix_sort_implINS0_14default_configELb0EPK6__halfPSP_PKlPlN2at6native12_GLOBAL__N_18offset_tEEE10hipError_tPvRmT1_PNSt15iterator_traitsIS13_E10value_typeET2_T3_PNS14_IS19_E10value_typeET4_jRbjT5_S1F_jjP12ihipStream_tbEUljE_ZNSN_ISO_Lb0ESR_SS_SU_SV_SZ_EES10_S11_S12_S13_S17_S18_S19_S1C_S1D_jS1E_jS1F_S1F_jjS1H_bEUljE0_EEES10_S11_S12_S19_S1D_S1F_T6_T7_T9_mT8_S1H_bDpT10_ENKUlT_T0_E_clISt17integral_constantIbLb1EES1V_EEDaS1Q_S1R_EUlS1Q_E_NS1_11comp_targetILNS1_3genE2ELNS1_11target_archE906ELNS1_3gpuE6ELNS1_3repE0EEENS1_30default_config_static_selectorELNS0_4arch9wavefront6targetE0EEEvS13_,@function
_ZN7rocprim17ROCPRIM_400000_NS6detail17trampoline_kernelINS0_13select_configILj256ELj13ELNS0_17block_load_methodE3ELS4_3ELS4_3ELNS0_20block_scan_algorithmE0ELj4294967295EEENS1_25partition_config_selectorILNS1_17partition_subalgoE4EjNS0_10empty_typeEbEEZZNS1_14partition_implILS8_4ELb0ES6_15HIP_vector_typeIjLj2EENS0_17counting_iteratorIjlEEPS9_SG_NS0_5tupleIJPjSI_NS0_16reverse_iteratorISI_EEEEENSH_IJSG_SG_SG_EEES9_SI_JZNS1_25segmented_radix_sort_implINS0_14default_configELb0EPK6__halfPSP_PKlPlN2at6native12_GLOBAL__N_18offset_tEEE10hipError_tPvRmT1_PNSt15iterator_traitsIS13_E10value_typeET2_T3_PNS14_IS19_E10value_typeET4_jRbjT5_S1F_jjP12ihipStream_tbEUljE_ZNSN_ISO_Lb0ESR_SS_SU_SV_SZ_EES10_S11_S12_S13_S17_S18_S19_S1C_S1D_jS1E_jS1F_S1F_jjS1H_bEUljE0_EEES10_S11_S12_S19_S1D_S1F_T6_T7_T9_mT8_S1H_bDpT10_ENKUlT_T0_E_clISt17integral_constantIbLb1EES1V_EEDaS1Q_S1R_EUlS1Q_E_NS1_11comp_targetILNS1_3genE2ELNS1_11target_archE906ELNS1_3gpuE6ELNS1_3repE0EEENS1_30default_config_static_selectorELNS0_4arch9wavefront6targetE0EEEvS13_: ; @_ZN7rocprim17ROCPRIM_400000_NS6detail17trampoline_kernelINS0_13select_configILj256ELj13ELNS0_17block_load_methodE3ELS4_3ELS4_3ELNS0_20block_scan_algorithmE0ELj4294967295EEENS1_25partition_config_selectorILNS1_17partition_subalgoE4EjNS0_10empty_typeEbEEZZNS1_14partition_implILS8_4ELb0ES6_15HIP_vector_typeIjLj2EENS0_17counting_iteratorIjlEEPS9_SG_NS0_5tupleIJPjSI_NS0_16reverse_iteratorISI_EEEEENSH_IJSG_SG_SG_EEES9_SI_JZNS1_25segmented_radix_sort_implINS0_14default_configELb0EPK6__halfPSP_PKlPlN2at6native12_GLOBAL__N_18offset_tEEE10hipError_tPvRmT1_PNSt15iterator_traitsIS13_E10value_typeET2_T3_PNS14_IS19_E10value_typeET4_jRbjT5_S1F_jjP12ihipStream_tbEUljE_ZNSN_ISO_Lb0ESR_SS_SU_SV_SZ_EES10_S11_S12_S13_S17_S18_S19_S1C_S1D_jS1E_jS1F_S1F_jjS1H_bEUljE0_EEES10_S11_S12_S19_S1D_S1F_T6_T7_T9_mT8_S1H_bDpT10_ENKUlT_T0_E_clISt17integral_constantIbLb1EES1V_EEDaS1Q_S1R_EUlS1Q_E_NS1_11comp_targetILNS1_3genE2ELNS1_11target_archE906ELNS1_3gpuE6ELNS1_3repE0EEENS1_30default_config_static_selectorELNS0_4arch9wavefront6targetE0EEEvS13_
; %bb.0:
	.section	.rodata,"a",@progbits
	.p2align	6, 0x0
	.amdhsa_kernel _ZN7rocprim17ROCPRIM_400000_NS6detail17trampoline_kernelINS0_13select_configILj256ELj13ELNS0_17block_load_methodE3ELS4_3ELS4_3ELNS0_20block_scan_algorithmE0ELj4294967295EEENS1_25partition_config_selectorILNS1_17partition_subalgoE4EjNS0_10empty_typeEbEEZZNS1_14partition_implILS8_4ELb0ES6_15HIP_vector_typeIjLj2EENS0_17counting_iteratorIjlEEPS9_SG_NS0_5tupleIJPjSI_NS0_16reverse_iteratorISI_EEEEENSH_IJSG_SG_SG_EEES9_SI_JZNS1_25segmented_radix_sort_implINS0_14default_configELb0EPK6__halfPSP_PKlPlN2at6native12_GLOBAL__N_18offset_tEEE10hipError_tPvRmT1_PNSt15iterator_traitsIS13_E10value_typeET2_T3_PNS14_IS19_E10value_typeET4_jRbjT5_S1F_jjP12ihipStream_tbEUljE_ZNSN_ISO_Lb0ESR_SS_SU_SV_SZ_EES10_S11_S12_S13_S17_S18_S19_S1C_S1D_jS1E_jS1F_S1F_jjS1H_bEUljE0_EEES10_S11_S12_S19_S1D_S1F_T6_T7_T9_mT8_S1H_bDpT10_ENKUlT_T0_E_clISt17integral_constantIbLb1EES1V_EEDaS1Q_S1R_EUlS1Q_E_NS1_11comp_targetILNS1_3genE2ELNS1_11target_archE906ELNS1_3gpuE6ELNS1_3repE0EEENS1_30default_config_static_selectorELNS0_4arch9wavefront6targetE0EEEvS13_
		.amdhsa_group_segment_fixed_size 0
		.amdhsa_private_segment_fixed_size 0
		.amdhsa_kernarg_size 184
		.amdhsa_user_sgpr_count 2
		.amdhsa_user_sgpr_dispatch_ptr 0
		.amdhsa_user_sgpr_queue_ptr 0
		.amdhsa_user_sgpr_kernarg_segment_ptr 1
		.amdhsa_user_sgpr_dispatch_id 0
		.amdhsa_user_sgpr_kernarg_preload_length 0
		.amdhsa_user_sgpr_kernarg_preload_offset 0
		.amdhsa_user_sgpr_private_segment_size 0
		.amdhsa_wavefront_size32 1
		.amdhsa_uses_dynamic_stack 0
		.amdhsa_enable_private_segment 0
		.amdhsa_system_sgpr_workgroup_id_x 1
		.amdhsa_system_sgpr_workgroup_id_y 0
		.amdhsa_system_sgpr_workgroup_id_z 0
		.amdhsa_system_sgpr_workgroup_info 0
		.amdhsa_system_vgpr_workitem_id 0
		.amdhsa_next_free_vgpr 1
		.amdhsa_next_free_sgpr 1
		.amdhsa_named_barrier_count 0
		.amdhsa_reserve_vcc 0
		.amdhsa_float_round_mode_32 0
		.amdhsa_float_round_mode_16_64 0
		.amdhsa_float_denorm_mode_32 3
		.amdhsa_float_denorm_mode_16_64 3
		.amdhsa_fp16_overflow 0
		.amdhsa_memory_ordered 1
		.amdhsa_forward_progress 1
		.amdhsa_inst_pref_size 0
		.amdhsa_round_robin_scheduling 0
		.amdhsa_exception_fp_ieee_invalid_op 0
		.amdhsa_exception_fp_denorm_src 0
		.amdhsa_exception_fp_ieee_div_zero 0
		.amdhsa_exception_fp_ieee_overflow 0
		.amdhsa_exception_fp_ieee_underflow 0
		.amdhsa_exception_fp_ieee_inexact 0
		.amdhsa_exception_int_div_zero 0
	.end_amdhsa_kernel
	.section	.text._ZN7rocprim17ROCPRIM_400000_NS6detail17trampoline_kernelINS0_13select_configILj256ELj13ELNS0_17block_load_methodE3ELS4_3ELS4_3ELNS0_20block_scan_algorithmE0ELj4294967295EEENS1_25partition_config_selectorILNS1_17partition_subalgoE4EjNS0_10empty_typeEbEEZZNS1_14partition_implILS8_4ELb0ES6_15HIP_vector_typeIjLj2EENS0_17counting_iteratorIjlEEPS9_SG_NS0_5tupleIJPjSI_NS0_16reverse_iteratorISI_EEEEENSH_IJSG_SG_SG_EEES9_SI_JZNS1_25segmented_radix_sort_implINS0_14default_configELb0EPK6__halfPSP_PKlPlN2at6native12_GLOBAL__N_18offset_tEEE10hipError_tPvRmT1_PNSt15iterator_traitsIS13_E10value_typeET2_T3_PNS14_IS19_E10value_typeET4_jRbjT5_S1F_jjP12ihipStream_tbEUljE_ZNSN_ISO_Lb0ESR_SS_SU_SV_SZ_EES10_S11_S12_S13_S17_S18_S19_S1C_S1D_jS1E_jS1F_S1F_jjS1H_bEUljE0_EEES10_S11_S12_S19_S1D_S1F_T6_T7_T9_mT8_S1H_bDpT10_ENKUlT_T0_E_clISt17integral_constantIbLb1EES1V_EEDaS1Q_S1R_EUlS1Q_E_NS1_11comp_targetILNS1_3genE2ELNS1_11target_archE906ELNS1_3gpuE6ELNS1_3repE0EEENS1_30default_config_static_selectorELNS0_4arch9wavefront6targetE0EEEvS13_,"axG",@progbits,_ZN7rocprim17ROCPRIM_400000_NS6detail17trampoline_kernelINS0_13select_configILj256ELj13ELNS0_17block_load_methodE3ELS4_3ELS4_3ELNS0_20block_scan_algorithmE0ELj4294967295EEENS1_25partition_config_selectorILNS1_17partition_subalgoE4EjNS0_10empty_typeEbEEZZNS1_14partition_implILS8_4ELb0ES6_15HIP_vector_typeIjLj2EENS0_17counting_iteratorIjlEEPS9_SG_NS0_5tupleIJPjSI_NS0_16reverse_iteratorISI_EEEEENSH_IJSG_SG_SG_EEES9_SI_JZNS1_25segmented_radix_sort_implINS0_14default_configELb0EPK6__halfPSP_PKlPlN2at6native12_GLOBAL__N_18offset_tEEE10hipError_tPvRmT1_PNSt15iterator_traitsIS13_E10value_typeET2_T3_PNS14_IS19_E10value_typeET4_jRbjT5_S1F_jjP12ihipStream_tbEUljE_ZNSN_ISO_Lb0ESR_SS_SU_SV_SZ_EES10_S11_S12_S13_S17_S18_S19_S1C_S1D_jS1E_jS1F_S1F_jjS1H_bEUljE0_EEES10_S11_S12_S19_S1D_S1F_T6_T7_T9_mT8_S1H_bDpT10_ENKUlT_T0_E_clISt17integral_constantIbLb1EES1V_EEDaS1Q_S1R_EUlS1Q_E_NS1_11comp_targetILNS1_3genE2ELNS1_11target_archE906ELNS1_3gpuE6ELNS1_3repE0EEENS1_30default_config_static_selectorELNS0_4arch9wavefront6targetE0EEEvS13_,comdat
.Lfunc_end1780:
	.size	_ZN7rocprim17ROCPRIM_400000_NS6detail17trampoline_kernelINS0_13select_configILj256ELj13ELNS0_17block_load_methodE3ELS4_3ELS4_3ELNS0_20block_scan_algorithmE0ELj4294967295EEENS1_25partition_config_selectorILNS1_17partition_subalgoE4EjNS0_10empty_typeEbEEZZNS1_14partition_implILS8_4ELb0ES6_15HIP_vector_typeIjLj2EENS0_17counting_iteratorIjlEEPS9_SG_NS0_5tupleIJPjSI_NS0_16reverse_iteratorISI_EEEEENSH_IJSG_SG_SG_EEES9_SI_JZNS1_25segmented_radix_sort_implINS0_14default_configELb0EPK6__halfPSP_PKlPlN2at6native12_GLOBAL__N_18offset_tEEE10hipError_tPvRmT1_PNSt15iterator_traitsIS13_E10value_typeET2_T3_PNS14_IS19_E10value_typeET4_jRbjT5_S1F_jjP12ihipStream_tbEUljE_ZNSN_ISO_Lb0ESR_SS_SU_SV_SZ_EES10_S11_S12_S13_S17_S18_S19_S1C_S1D_jS1E_jS1F_S1F_jjS1H_bEUljE0_EEES10_S11_S12_S19_S1D_S1F_T6_T7_T9_mT8_S1H_bDpT10_ENKUlT_T0_E_clISt17integral_constantIbLb1EES1V_EEDaS1Q_S1R_EUlS1Q_E_NS1_11comp_targetILNS1_3genE2ELNS1_11target_archE906ELNS1_3gpuE6ELNS1_3repE0EEENS1_30default_config_static_selectorELNS0_4arch9wavefront6targetE0EEEvS13_, .Lfunc_end1780-_ZN7rocprim17ROCPRIM_400000_NS6detail17trampoline_kernelINS0_13select_configILj256ELj13ELNS0_17block_load_methodE3ELS4_3ELS4_3ELNS0_20block_scan_algorithmE0ELj4294967295EEENS1_25partition_config_selectorILNS1_17partition_subalgoE4EjNS0_10empty_typeEbEEZZNS1_14partition_implILS8_4ELb0ES6_15HIP_vector_typeIjLj2EENS0_17counting_iteratorIjlEEPS9_SG_NS0_5tupleIJPjSI_NS0_16reverse_iteratorISI_EEEEENSH_IJSG_SG_SG_EEES9_SI_JZNS1_25segmented_radix_sort_implINS0_14default_configELb0EPK6__halfPSP_PKlPlN2at6native12_GLOBAL__N_18offset_tEEE10hipError_tPvRmT1_PNSt15iterator_traitsIS13_E10value_typeET2_T3_PNS14_IS19_E10value_typeET4_jRbjT5_S1F_jjP12ihipStream_tbEUljE_ZNSN_ISO_Lb0ESR_SS_SU_SV_SZ_EES10_S11_S12_S13_S17_S18_S19_S1C_S1D_jS1E_jS1F_S1F_jjS1H_bEUljE0_EEES10_S11_S12_S19_S1D_S1F_T6_T7_T9_mT8_S1H_bDpT10_ENKUlT_T0_E_clISt17integral_constantIbLb1EES1V_EEDaS1Q_S1R_EUlS1Q_E_NS1_11comp_targetILNS1_3genE2ELNS1_11target_archE906ELNS1_3gpuE6ELNS1_3repE0EEENS1_30default_config_static_selectorELNS0_4arch9wavefront6targetE0EEEvS13_
                                        ; -- End function
	.set _ZN7rocprim17ROCPRIM_400000_NS6detail17trampoline_kernelINS0_13select_configILj256ELj13ELNS0_17block_load_methodE3ELS4_3ELS4_3ELNS0_20block_scan_algorithmE0ELj4294967295EEENS1_25partition_config_selectorILNS1_17partition_subalgoE4EjNS0_10empty_typeEbEEZZNS1_14partition_implILS8_4ELb0ES6_15HIP_vector_typeIjLj2EENS0_17counting_iteratorIjlEEPS9_SG_NS0_5tupleIJPjSI_NS0_16reverse_iteratorISI_EEEEENSH_IJSG_SG_SG_EEES9_SI_JZNS1_25segmented_radix_sort_implINS0_14default_configELb0EPK6__halfPSP_PKlPlN2at6native12_GLOBAL__N_18offset_tEEE10hipError_tPvRmT1_PNSt15iterator_traitsIS13_E10value_typeET2_T3_PNS14_IS19_E10value_typeET4_jRbjT5_S1F_jjP12ihipStream_tbEUljE_ZNSN_ISO_Lb0ESR_SS_SU_SV_SZ_EES10_S11_S12_S13_S17_S18_S19_S1C_S1D_jS1E_jS1F_S1F_jjS1H_bEUljE0_EEES10_S11_S12_S19_S1D_S1F_T6_T7_T9_mT8_S1H_bDpT10_ENKUlT_T0_E_clISt17integral_constantIbLb1EES1V_EEDaS1Q_S1R_EUlS1Q_E_NS1_11comp_targetILNS1_3genE2ELNS1_11target_archE906ELNS1_3gpuE6ELNS1_3repE0EEENS1_30default_config_static_selectorELNS0_4arch9wavefront6targetE0EEEvS13_.num_vgpr, 0
	.set _ZN7rocprim17ROCPRIM_400000_NS6detail17trampoline_kernelINS0_13select_configILj256ELj13ELNS0_17block_load_methodE3ELS4_3ELS4_3ELNS0_20block_scan_algorithmE0ELj4294967295EEENS1_25partition_config_selectorILNS1_17partition_subalgoE4EjNS0_10empty_typeEbEEZZNS1_14partition_implILS8_4ELb0ES6_15HIP_vector_typeIjLj2EENS0_17counting_iteratorIjlEEPS9_SG_NS0_5tupleIJPjSI_NS0_16reverse_iteratorISI_EEEEENSH_IJSG_SG_SG_EEES9_SI_JZNS1_25segmented_radix_sort_implINS0_14default_configELb0EPK6__halfPSP_PKlPlN2at6native12_GLOBAL__N_18offset_tEEE10hipError_tPvRmT1_PNSt15iterator_traitsIS13_E10value_typeET2_T3_PNS14_IS19_E10value_typeET4_jRbjT5_S1F_jjP12ihipStream_tbEUljE_ZNSN_ISO_Lb0ESR_SS_SU_SV_SZ_EES10_S11_S12_S13_S17_S18_S19_S1C_S1D_jS1E_jS1F_S1F_jjS1H_bEUljE0_EEES10_S11_S12_S19_S1D_S1F_T6_T7_T9_mT8_S1H_bDpT10_ENKUlT_T0_E_clISt17integral_constantIbLb1EES1V_EEDaS1Q_S1R_EUlS1Q_E_NS1_11comp_targetILNS1_3genE2ELNS1_11target_archE906ELNS1_3gpuE6ELNS1_3repE0EEENS1_30default_config_static_selectorELNS0_4arch9wavefront6targetE0EEEvS13_.num_agpr, 0
	.set _ZN7rocprim17ROCPRIM_400000_NS6detail17trampoline_kernelINS0_13select_configILj256ELj13ELNS0_17block_load_methodE3ELS4_3ELS4_3ELNS0_20block_scan_algorithmE0ELj4294967295EEENS1_25partition_config_selectorILNS1_17partition_subalgoE4EjNS0_10empty_typeEbEEZZNS1_14partition_implILS8_4ELb0ES6_15HIP_vector_typeIjLj2EENS0_17counting_iteratorIjlEEPS9_SG_NS0_5tupleIJPjSI_NS0_16reverse_iteratorISI_EEEEENSH_IJSG_SG_SG_EEES9_SI_JZNS1_25segmented_radix_sort_implINS0_14default_configELb0EPK6__halfPSP_PKlPlN2at6native12_GLOBAL__N_18offset_tEEE10hipError_tPvRmT1_PNSt15iterator_traitsIS13_E10value_typeET2_T3_PNS14_IS19_E10value_typeET4_jRbjT5_S1F_jjP12ihipStream_tbEUljE_ZNSN_ISO_Lb0ESR_SS_SU_SV_SZ_EES10_S11_S12_S13_S17_S18_S19_S1C_S1D_jS1E_jS1F_S1F_jjS1H_bEUljE0_EEES10_S11_S12_S19_S1D_S1F_T6_T7_T9_mT8_S1H_bDpT10_ENKUlT_T0_E_clISt17integral_constantIbLb1EES1V_EEDaS1Q_S1R_EUlS1Q_E_NS1_11comp_targetILNS1_3genE2ELNS1_11target_archE906ELNS1_3gpuE6ELNS1_3repE0EEENS1_30default_config_static_selectorELNS0_4arch9wavefront6targetE0EEEvS13_.numbered_sgpr, 0
	.set _ZN7rocprim17ROCPRIM_400000_NS6detail17trampoline_kernelINS0_13select_configILj256ELj13ELNS0_17block_load_methodE3ELS4_3ELS4_3ELNS0_20block_scan_algorithmE0ELj4294967295EEENS1_25partition_config_selectorILNS1_17partition_subalgoE4EjNS0_10empty_typeEbEEZZNS1_14partition_implILS8_4ELb0ES6_15HIP_vector_typeIjLj2EENS0_17counting_iteratorIjlEEPS9_SG_NS0_5tupleIJPjSI_NS0_16reverse_iteratorISI_EEEEENSH_IJSG_SG_SG_EEES9_SI_JZNS1_25segmented_radix_sort_implINS0_14default_configELb0EPK6__halfPSP_PKlPlN2at6native12_GLOBAL__N_18offset_tEEE10hipError_tPvRmT1_PNSt15iterator_traitsIS13_E10value_typeET2_T3_PNS14_IS19_E10value_typeET4_jRbjT5_S1F_jjP12ihipStream_tbEUljE_ZNSN_ISO_Lb0ESR_SS_SU_SV_SZ_EES10_S11_S12_S13_S17_S18_S19_S1C_S1D_jS1E_jS1F_S1F_jjS1H_bEUljE0_EEES10_S11_S12_S19_S1D_S1F_T6_T7_T9_mT8_S1H_bDpT10_ENKUlT_T0_E_clISt17integral_constantIbLb1EES1V_EEDaS1Q_S1R_EUlS1Q_E_NS1_11comp_targetILNS1_3genE2ELNS1_11target_archE906ELNS1_3gpuE6ELNS1_3repE0EEENS1_30default_config_static_selectorELNS0_4arch9wavefront6targetE0EEEvS13_.num_named_barrier, 0
	.set _ZN7rocprim17ROCPRIM_400000_NS6detail17trampoline_kernelINS0_13select_configILj256ELj13ELNS0_17block_load_methodE3ELS4_3ELS4_3ELNS0_20block_scan_algorithmE0ELj4294967295EEENS1_25partition_config_selectorILNS1_17partition_subalgoE4EjNS0_10empty_typeEbEEZZNS1_14partition_implILS8_4ELb0ES6_15HIP_vector_typeIjLj2EENS0_17counting_iteratorIjlEEPS9_SG_NS0_5tupleIJPjSI_NS0_16reverse_iteratorISI_EEEEENSH_IJSG_SG_SG_EEES9_SI_JZNS1_25segmented_radix_sort_implINS0_14default_configELb0EPK6__halfPSP_PKlPlN2at6native12_GLOBAL__N_18offset_tEEE10hipError_tPvRmT1_PNSt15iterator_traitsIS13_E10value_typeET2_T3_PNS14_IS19_E10value_typeET4_jRbjT5_S1F_jjP12ihipStream_tbEUljE_ZNSN_ISO_Lb0ESR_SS_SU_SV_SZ_EES10_S11_S12_S13_S17_S18_S19_S1C_S1D_jS1E_jS1F_S1F_jjS1H_bEUljE0_EEES10_S11_S12_S19_S1D_S1F_T6_T7_T9_mT8_S1H_bDpT10_ENKUlT_T0_E_clISt17integral_constantIbLb1EES1V_EEDaS1Q_S1R_EUlS1Q_E_NS1_11comp_targetILNS1_3genE2ELNS1_11target_archE906ELNS1_3gpuE6ELNS1_3repE0EEENS1_30default_config_static_selectorELNS0_4arch9wavefront6targetE0EEEvS13_.private_seg_size, 0
	.set _ZN7rocprim17ROCPRIM_400000_NS6detail17trampoline_kernelINS0_13select_configILj256ELj13ELNS0_17block_load_methodE3ELS4_3ELS4_3ELNS0_20block_scan_algorithmE0ELj4294967295EEENS1_25partition_config_selectorILNS1_17partition_subalgoE4EjNS0_10empty_typeEbEEZZNS1_14partition_implILS8_4ELb0ES6_15HIP_vector_typeIjLj2EENS0_17counting_iteratorIjlEEPS9_SG_NS0_5tupleIJPjSI_NS0_16reverse_iteratorISI_EEEEENSH_IJSG_SG_SG_EEES9_SI_JZNS1_25segmented_radix_sort_implINS0_14default_configELb0EPK6__halfPSP_PKlPlN2at6native12_GLOBAL__N_18offset_tEEE10hipError_tPvRmT1_PNSt15iterator_traitsIS13_E10value_typeET2_T3_PNS14_IS19_E10value_typeET4_jRbjT5_S1F_jjP12ihipStream_tbEUljE_ZNSN_ISO_Lb0ESR_SS_SU_SV_SZ_EES10_S11_S12_S13_S17_S18_S19_S1C_S1D_jS1E_jS1F_S1F_jjS1H_bEUljE0_EEES10_S11_S12_S19_S1D_S1F_T6_T7_T9_mT8_S1H_bDpT10_ENKUlT_T0_E_clISt17integral_constantIbLb1EES1V_EEDaS1Q_S1R_EUlS1Q_E_NS1_11comp_targetILNS1_3genE2ELNS1_11target_archE906ELNS1_3gpuE6ELNS1_3repE0EEENS1_30default_config_static_selectorELNS0_4arch9wavefront6targetE0EEEvS13_.uses_vcc, 0
	.set _ZN7rocprim17ROCPRIM_400000_NS6detail17trampoline_kernelINS0_13select_configILj256ELj13ELNS0_17block_load_methodE3ELS4_3ELS4_3ELNS0_20block_scan_algorithmE0ELj4294967295EEENS1_25partition_config_selectorILNS1_17partition_subalgoE4EjNS0_10empty_typeEbEEZZNS1_14partition_implILS8_4ELb0ES6_15HIP_vector_typeIjLj2EENS0_17counting_iteratorIjlEEPS9_SG_NS0_5tupleIJPjSI_NS0_16reverse_iteratorISI_EEEEENSH_IJSG_SG_SG_EEES9_SI_JZNS1_25segmented_radix_sort_implINS0_14default_configELb0EPK6__halfPSP_PKlPlN2at6native12_GLOBAL__N_18offset_tEEE10hipError_tPvRmT1_PNSt15iterator_traitsIS13_E10value_typeET2_T3_PNS14_IS19_E10value_typeET4_jRbjT5_S1F_jjP12ihipStream_tbEUljE_ZNSN_ISO_Lb0ESR_SS_SU_SV_SZ_EES10_S11_S12_S13_S17_S18_S19_S1C_S1D_jS1E_jS1F_S1F_jjS1H_bEUljE0_EEES10_S11_S12_S19_S1D_S1F_T6_T7_T9_mT8_S1H_bDpT10_ENKUlT_T0_E_clISt17integral_constantIbLb1EES1V_EEDaS1Q_S1R_EUlS1Q_E_NS1_11comp_targetILNS1_3genE2ELNS1_11target_archE906ELNS1_3gpuE6ELNS1_3repE0EEENS1_30default_config_static_selectorELNS0_4arch9wavefront6targetE0EEEvS13_.uses_flat_scratch, 0
	.set _ZN7rocprim17ROCPRIM_400000_NS6detail17trampoline_kernelINS0_13select_configILj256ELj13ELNS0_17block_load_methodE3ELS4_3ELS4_3ELNS0_20block_scan_algorithmE0ELj4294967295EEENS1_25partition_config_selectorILNS1_17partition_subalgoE4EjNS0_10empty_typeEbEEZZNS1_14partition_implILS8_4ELb0ES6_15HIP_vector_typeIjLj2EENS0_17counting_iteratorIjlEEPS9_SG_NS0_5tupleIJPjSI_NS0_16reverse_iteratorISI_EEEEENSH_IJSG_SG_SG_EEES9_SI_JZNS1_25segmented_radix_sort_implINS0_14default_configELb0EPK6__halfPSP_PKlPlN2at6native12_GLOBAL__N_18offset_tEEE10hipError_tPvRmT1_PNSt15iterator_traitsIS13_E10value_typeET2_T3_PNS14_IS19_E10value_typeET4_jRbjT5_S1F_jjP12ihipStream_tbEUljE_ZNSN_ISO_Lb0ESR_SS_SU_SV_SZ_EES10_S11_S12_S13_S17_S18_S19_S1C_S1D_jS1E_jS1F_S1F_jjS1H_bEUljE0_EEES10_S11_S12_S19_S1D_S1F_T6_T7_T9_mT8_S1H_bDpT10_ENKUlT_T0_E_clISt17integral_constantIbLb1EES1V_EEDaS1Q_S1R_EUlS1Q_E_NS1_11comp_targetILNS1_3genE2ELNS1_11target_archE906ELNS1_3gpuE6ELNS1_3repE0EEENS1_30default_config_static_selectorELNS0_4arch9wavefront6targetE0EEEvS13_.has_dyn_sized_stack, 0
	.set _ZN7rocprim17ROCPRIM_400000_NS6detail17trampoline_kernelINS0_13select_configILj256ELj13ELNS0_17block_load_methodE3ELS4_3ELS4_3ELNS0_20block_scan_algorithmE0ELj4294967295EEENS1_25partition_config_selectorILNS1_17partition_subalgoE4EjNS0_10empty_typeEbEEZZNS1_14partition_implILS8_4ELb0ES6_15HIP_vector_typeIjLj2EENS0_17counting_iteratorIjlEEPS9_SG_NS0_5tupleIJPjSI_NS0_16reverse_iteratorISI_EEEEENSH_IJSG_SG_SG_EEES9_SI_JZNS1_25segmented_radix_sort_implINS0_14default_configELb0EPK6__halfPSP_PKlPlN2at6native12_GLOBAL__N_18offset_tEEE10hipError_tPvRmT1_PNSt15iterator_traitsIS13_E10value_typeET2_T3_PNS14_IS19_E10value_typeET4_jRbjT5_S1F_jjP12ihipStream_tbEUljE_ZNSN_ISO_Lb0ESR_SS_SU_SV_SZ_EES10_S11_S12_S13_S17_S18_S19_S1C_S1D_jS1E_jS1F_S1F_jjS1H_bEUljE0_EEES10_S11_S12_S19_S1D_S1F_T6_T7_T9_mT8_S1H_bDpT10_ENKUlT_T0_E_clISt17integral_constantIbLb1EES1V_EEDaS1Q_S1R_EUlS1Q_E_NS1_11comp_targetILNS1_3genE2ELNS1_11target_archE906ELNS1_3gpuE6ELNS1_3repE0EEENS1_30default_config_static_selectorELNS0_4arch9wavefront6targetE0EEEvS13_.has_recursion, 0
	.set _ZN7rocprim17ROCPRIM_400000_NS6detail17trampoline_kernelINS0_13select_configILj256ELj13ELNS0_17block_load_methodE3ELS4_3ELS4_3ELNS0_20block_scan_algorithmE0ELj4294967295EEENS1_25partition_config_selectorILNS1_17partition_subalgoE4EjNS0_10empty_typeEbEEZZNS1_14partition_implILS8_4ELb0ES6_15HIP_vector_typeIjLj2EENS0_17counting_iteratorIjlEEPS9_SG_NS0_5tupleIJPjSI_NS0_16reverse_iteratorISI_EEEEENSH_IJSG_SG_SG_EEES9_SI_JZNS1_25segmented_radix_sort_implINS0_14default_configELb0EPK6__halfPSP_PKlPlN2at6native12_GLOBAL__N_18offset_tEEE10hipError_tPvRmT1_PNSt15iterator_traitsIS13_E10value_typeET2_T3_PNS14_IS19_E10value_typeET4_jRbjT5_S1F_jjP12ihipStream_tbEUljE_ZNSN_ISO_Lb0ESR_SS_SU_SV_SZ_EES10_S11_S12_S13_S17_S18_S19_S1C_S1D_jS1E_jS1F_S1F_jjS1H_bEUljE0_EEES10_S11_S12_S19_S1D_S1F_T6_T7_T9_mT8_S1H_bDpT10_ENKUlT_T0_E_clISt17integral_constantIbLb1EES1V_EEDaS1Q_S1R_EUlS1Q_E_NS1_11comp_targetILNS1_3genE2ELNS1_11target_archE906ELNS1_3gpuE6ELNS1_3repE0EEENS1_30default_config_static_selectorELNS0_4arch9wavefront6targetE0EEEvS13_.has_indirect_call, 0
	.section	.AMDGPU.csdata,"",@progbits
; Kernel info:
; codeLenInByte = 0
; TotalNumSgprs: 0
; NumVgprs: 0
; ScratchSize: 0
; MemoryBound: 0
; FloatMode: 240
; IeeeMode: 1
; LDSByteSize: 0 bytes/workgroup (compile time only)
; SGPRBlocks: 0
; VGPRBlocks: 0
; NumSGPRsForWavesPerEU: 1
; NumVGPRsForWavesPerEU: 1
; NamedBarCnt: 0
; Occupancy: 16
; WaveLimiterHint : 0
; COMPUTE_PGM_RSRC2:SCRATCH_EN: 0
; COMPUTE_PGM_RSRC2:USER_SGPR: 2
; COMPUTE_PGM_RSRC2:TRAP_HANDLER: 0
; COMPUTE_PGM_RSRC2:TGID_X_EN: 1
; COMPUTE_PGM_RSRC2:TGID_Y_EN: 0
; COMPUTE_PGM_RSRC2:TGID_Z_EN: 0
; COMPUTE_PGM_RSRC2:TIDIG_COMP_CNT: 0
	.section	.text._ZN7rocprim17ROCPRIM_400000_NS6detail17trampoline_kernelINS0_13select_configILj256ELj13ELNS0_17block_load_methodE3ELS4_3ELS4_3ELNS0_20block_scan_algorithmE0ELj4294967295EEENS1_25partition_config_selectorILNS1_17partition_subalgoE4EjNS0_10empty_typeEbEEZZNS1_14partition_implILS8_4ELb0ES6_15HIP_vector_typeIjLj2EENS0_17counting_iteratorIjlEEPS9_SG_NS0_5tupleIJPjSI_NS0_16reverse_iteratorISI_EEEEENSH_IJSG_SG_SG_EEES9_SI_JZNS1_25segmented_radix_sort_implINS0_14default_configELb0EPK6__halfPSP_PKlPlN2at6native12_GLOBAL__N_18offset_tEEE10hipError_tPvRmT1_PNSt15iterator_traitsIS13_E10value_typeET2_T3_PNS14_IS19_E10value_typeET4_jRbjT5_S1F_jjP12ihipStream_tbEUljE_ZNSN_ISO_Lb0ESR_SS_SU_SV_SZ_EES10_S11_S12_S13_S17_S18_S19_S1C_S1D_jS1E_jS1F_S1F_jjS1H_bEUljE0_EEES10_S11_S12_S19_S1D_S1F_T6_T7_T9_mT8_S1H_bDpT10_ENKUlT_T0_E_clISt17integral_constantIbLb1EES1V_EEDaS1Q_S1R_EUlS1Q_E_NS1_11comp_targetILNS1_3genE10ELNS1_11target_archE1200ELNS1_3gpuE4ELNS1_3repE0EEENS1_30default_config_static_selectorELNS0_4arch9wavefront6targetE0EEEvS13_,"axG",@progbits,_ZN7rocprim17ROCPRIM_400000_NS6detail17trampoline_kernelINS0_13select_configILj256ELj13ELNS0_17block_load_methodE3ELS4_3ELS4_3ELNS0_20block_scan_algorithmE0ELj4294967295EEENS1_25partition_config_selectorILNS1_17partition_subalgoE4EjNS0_10empty_typeEbEEZZNS1_14partition_implILS8_4ELb0ES6_15HIP_vector_typeIjLj2EENS0_17counting_iteratorIjlEEPS9_SG_NS0_5tupleIJPjSI_NS0_16reverse_iteratorISI_EEEEENSH_IJSG_SG_SG_EEES9_SI_JZNS1_25segmented_radix_sort_implINS0_14default_configELb0EPK6__halfPSP_PKlPlN2at6native12_GLOBAL__N_18offset_tEEE10hipError_tPvRmT1_PNSt15iterator_traitsIS13_E10value_typeET2_T3_PNS14_IS19_E10value_typeET4_jRbjT5_S1F_jjP12ihipStream_tbEUljE_ZNSN_ISO_Lb0ESR_SS_SU_SV_SZ_EES10_S11_S12_S13_S17_S18_S19_S1C_S1D_jS1E_jS1F_S1F_jjS1H_bEUljE0_EEES10_S11_S12_S19_S1D_S1F_T6_T7_T9_mT8_S1H_bDpT10_ENKUlT_T0_E_clISt17integral_constantIbLb1EES1V_EEDaS1Q_S1R_EUlS1Q_E_NS1_11comp_targetILNS1_3genE10ELNS1_11target_archE1200ELNS1_3gpuE4ELNS1_3repE0EEENS1_30default_config_static_selectorELNS0_4arch9wavefront6targetE0EEEvS13_,comdat
	.globl	_ZN7rocprim17ROCPRIM_400000_NS6detail17trampoline_kernelINS0_13select_configILj256ELj13ELNS0_17block_load_methodE3ELS4_3ELS4_3ELNS0_20block_scan_algorithmE0ELj4294967295EEENS1_25partition_config_selectorILNS1_17partition_subalgoE4EjNS0_10empty_typeEbEEZZNS1_14partition_implILS8_4ELb0ES6_15HIP_vector_typeIjLj2EENS0_17counting_iteratorIjlEEPS9_SG_NS0_5tupleIJPjSI_NS0_16reverse_iteratorISI_EEEEENSH_IJSG_SG_SG_EEES9_SI_JZNS1_25segmented_radix_sort_implINS0_14default_configELb0EPK6__halfPSP_PKlPlN2at6native12_GLOBAL__N_18offset_tEEE10hipError_tPvRmT1_PNSt15iterator_traitsIS13_E10value_typeET2_T3_PNS14_IS19_E10value_typeET4_jRbjT5_S1F_jjP12ihipStream_tbEUljE_ZNSN_ISO_Lb0ESR_SS_SU_SV_SZ_EES10_S11_S12_S13_S17_S18_S19_S1C_S1D_jS1E_jS1F_S1F_jjS1H_bEUljE0_EEES10_S11_S12_S19_S1D_S1F_T6_T7_T9_mT8_S1H_bDpT10_ENKUlT_T0_E_clISt17integral_constantIbLb1EES1V_EEDaS1Q_S1R_EUlS1Q_E_NS1_11comp_targetILNS1_3genE10ELNS1_11target_archE1200ELNS1_3gpuE4ELNS1_3repE0EEENS1_30default_config_static_selectorELNS0_4arch9wavefront6targetE0EEEvS13_ ; -- Begin function _ZN7rocprim17ROCPRIM_400000_NS6detail17trampoline_kernelINS0_13select_configILj256ELj13ELNS0_17block_load_methodE3ELS4_3ELS4_3ELNS0_20block_scan_algorithmE0ELj4294967295EEENS1_25partition_config_selectorILNS1_17partition_subalgoE4EjNS0_10empty_typeEbEEZZNS1_14partition_implILS8_4ELb0ES6_15HIP_vector_typeIjLj2EENS0_17counting_iteratorIjlEEPS9_SG_NS0_5tupleIJPjSI_NS0_16reverse_iteratorISI_EEEEENSH_IJSG_SG_SG_EEES9_SI_JZNS1_25segmented_radix_sort_implINS0_14default_configELb0EPK6__halfPSP_PKlPlN2at6native12_GLOBAL__N_18offset_tEEE10hipError_tPvRmT1_PNSt15iterator_traitsIS13_E10value_typeET2_T3_PNS14_IS19_E10value_typeET4_jRbjT5_S1F_jjP12ihipStream_tbEUljE_ZNSN_ISO_Lb0ESR_SS_SU_SV_SZ_EES10_S11_S12_S13_S17_S18_S19_S1C_S1D_jS1E_jS1F_S1F_jjS1H_bEUljE0_EEES10_S11_S12_S19_S1D_S1F_T6_T7_T9_mT8_S1H_bDpT10_ENKUlT_T0_E_clISt17integral_constantIbLb1EES1V_EEDaS1Q_S1R_EUlS1Q_E_NS1_11comp_targetILNS1_3genE10ELNS1_11target_archE1200ELNS1_3gpuE4ELNS1_3repE0EEENS1_30default_config_static_selectorELNS0_4arch9wavefront6targetE0EEEvS13_
	.p2align	8
	.type	_ZN7rocprim17ROCPRIM_400000_NS6detail17trampoline_kernelINS0_13select_configILj256ELj13ELNS0_17block_load_methodE3ELS4_3ELS4_3ELNS0_20block_scan_algorithmE0ELj4294967295EEENS1_25partition_config_selectorILNS1_17partition_subalgoE4EjNS0_10empty_typeEbEEZZNS1_14partition_implILS8_4ELb0ES6_15HIP_vector_typeIjLj2EENS0_17counting_iteratorIjlEEPS9_SG_NS0_5tupleIJPjSI_NS0_16reverse_iteratorISI_EEEEENSH_IJSG_SG_SG_EEES9_SI_JZNS1_25segmented_radix_sort_implINS0_14default_configELb0EPK6__halfPSP_PKlPlN2at6native12_GLOBAL__N_18offset_tEEE10hipError_tPvRmT1_PNSt15iterator_traitsIS13_E10value_typeET2_T3_PNS14_IS19_E10value_typeET4_jRbjT5_S1F_jjP12ihipStream_tbEUljE_ZNSN_ISO_Lb0ESR_SS_SU_SV_SZ_EES10_S11_S12_S13_S17_S18_S19_S1C_S1D_jS1E_jS1F_S1F_jjS1H_bEUljE0_EEES10_S11_S12_S19_S1D_S1F_T6_T7_T9_mT8_S1H_bDpT10_ENKUlT_T0_E_clISt17integral_constantIbLb1EES1V_EEDaS1Q_S1R_EUlS1Q_E_NS1_11comp_targetILNS1_3genE10ELNS1_11target_archE1200ELNS1_3gpuE4ELNS1_3repE0EEENS1_30default_config_static_selectorELNS0_4arch9wavefront6targetE0EEEvS13_,@function
_ZN7rocprim17ROCPRIM_400000_NS6detail17trampoline_kernelINS0_13select_configILj256ELj13ELNS0_17block_load_methodE3ELS4_3ELS4_3ELNS0_20block_scan_algorithmE0ELj4294967295EEENS1_25partition_config_selectorILNS1_17partition_subalgoE4EjNS0_10empty_typeEbEEZZNS1_14partition_implILS8_4ELb0ES6_15HIP_vector_typeIjLj2EENS0_17counting_iteratorIjlEEPS9_SG_NS0_5tupleIJPjSI_NS0_16reverse_iteratorISI_EEEEENSH_IJSG_SG_SG_EEES9_SI_JZNS1_25segmented_radix_sort_implINS0_14default_configELb0EPK6__halfPSP_PKlPlN2at6native12_GLOBAL__N_18offset_tEEE10hipError_tPvRmT1_PNSt15iterator_traitsIS13_E10value_typeET2_T3_PNS14_IS19_E10value_typeET4_jRbjT5_S1F_jjP12ihipStream_tbEUljE_ZNSN_ISO_Lb0ESR_SS_SU_SV_SZ_EES10_S11_S12_S13_S17_S18_S19_S1C_S1D_jS1E_jS1F_S1F_jjS1H_bEUljE0_EEES10_S11_S12_S19_S1D_S1F_T6_T7_T9_mT8_S1H_bDpT10_ENKUlT_T0_E_clISt17integral_constantIbLb1EES1V_EEDaS1Q_S1R_EUlS1Q_E_NS1_11comp_targetILNS1_3genE10ELNS1_11target_archE1200ELNS1_3gpuE4ELNS1_3repE0EEENS1_30default_config_static_selectorELNS0_4arch9wavefront6targetE0EEEvS13_: ; @_ZN7rocprim17ROCPRIM_400000_NS6detail17trampoline_kernelINS0_13select_configILj256ELj13ELNS0_17block_load_methodE3ELS4_3ELS4_3ELNS0_20block_scan_algorithmE0ELj4294967295EEENS1_25partition_config_selectorILNS1_17partition_subalgoE4EjNS0_10empty_typeEbEEZZNS1_14partition_implILS8_4ELb0ES6_15HIP_vector_typeIjLj2EENS0_17counting_iteratorIjlEEPS9_SG_NS0_5tupleIJPjSI_NS0_16reverse_iteratorISI_EEEEENSH_IJSG_SG_SG_EEES9_SI_JZNS1_25segmented_radix_sort_implINS0_14default_configELb0EPK6__halfPSP_PKlPlN2at6native12_GLOBAL__N_18offset_tEEE10hipError_tPvRmT1_PNSt15iterator_traitsIS13_E10value_typeET2_T3_PNS14_IS19_E10value_typeET4_jRbjT5_S1F_jjP12ihipStream_tbEUljE_ZNSN_ISO_Lb0ESR_SS_SU_SV_SZ_EES10_S11_S12_S13_S17_S18_S19_S1C_S1D_jS1E_jS1F_S1F_jjS1H_bEUljE0_EEES10_S11_S12_S19_S1D_S1F_T6_T7_T9_mT8_S1H_bDpT10_ENKUlT_T0_E_clISt17integral_constantIbLb1EES1V_EEDaS1Q_S1R_EUlS1Q_E_NS1_11comp_targetILNS1_3genE10ELNS1_11target_archE1200ELNS1_3gpuE4ELNS1_3repE0EEENS1_30default_config_static_selectorELNS0_4arch9wavefront6targetE0EEEvS13_
; %bb.0:
	.section	.rodata,"a",@progbits
	.p2align	6, 0x0
	.amdhsa_kernel _ZN7rocprim17ROCPRIM_400000_NS6detail17trampoline_kernelINS0_13select_configILj256ELj13ELNS0_17block_load_methodE3ELS4_3ELS4_3ELNS0_20block_scan_algorithmE0ELj4294967295EEENS1_25partition_config_selectorILNS1_17partition_subalgoE4EjNS0_10empty_typeEbEEZZNS1_14partition_implILS8_4ELb0ES6_15HIP_vector_typeIjLj2EENS0_17counting_iteratorIjlEEPS9_SG_NS0_5tupleIJPjSI_NS0_16reverse_iteratorISI_EEEEENSH_IJSG_SG_SG_EEES9_SI_JZNS1_25segmented_radix_sort_implINS0_14default_configELb0EPK6__halfPSP_PKlPlN2at6native12_GLOBAL__N_18offset_tEEE10hipError_tPvRmT1_PNSt15iterator_traitsIS13_E10value_typeET2_T3_PNS14_IS19_E10value_typeET4_jRbjT5_S1F_jjP12ihipStream_tbEUljE_ZNSN_ISO_Lb0ESR_SS_SU_SV_SZ_EES10_S11_S12_S13_S17_S18_S19_S1C_S1D_jS1E_jS1F_S1F_jjS1H_bEUljE0_EEES10_S11_S12_S19_S1D_S1F_T6_T7_T9_mT8_S1H_bDpT10_ENKUlT_T0_E_clISt17integral_constantIbLb1EES1V_EEDaS1Q_S1R_EUlS1Q_E_NS1_11comp_targetILNS1_3genE10ELNS1_11target_archE1200ELNS1_3gpuE4ELNS1_3repE0EEENS1_30default_config_static_selectorELNS0_4arch9wavefront6targetE0EEEvS13_
		.amdhsa_group_segment_fixed_size 0
		.amdhsa_private_segment_fixed_size 0
		.amdhsa_kernarg_size 184
		.amdhsa_user_sgpr_count 2
		.amdhsa_user_sgpr_dispatch_ptr 0
		.amdhsa_user_sgpr_queue_ptr 0
		.amdhsa_user_sgpr_kernarg_segment_ptr 1
		.amdhsa_user_sgpr_dispatch_id 0
		.amdhsa_user_sgpr_kernarg_preload_length 0
		.amdhsa_user_sgpr_kernarg_preload_offset 0
		.amdhsa_user_sgpr_private_segment_size 0
		.amdhsa_wavefront_size32 1
		.amdhsa_uses_dynamic_stack 0
		.amdhsa_enable_private_segment 0
		.amdhsa_system_sgpr_workgroup_id_x 1
		.amdhsa_system_sgpr_workgroup_id_y 0
		.amdhsa_system_sgpr_workgroup_id_z 0
		.amdhsa_system_sgpr_workgroup_info 0
		.amdhsa_system_vgpr_workitem_id 0
		.amdhsa_next_free_vgpr 1
		.amdhsa_next_free_sgpr 1
		.amdhsa_named_barrier_count 0
		.amdhsa_reserve_vcc 0
		.amdhsa_float_round_mode_32 0
		.amdhsa_float_round_mode_16_64 0
		.amdhsa_float_denorm_mode_32 3
		.amdhsa_float_denorm_mode_16_64 3
		.amdhsa_fp16_overflow 0
		.amdhsa_memory_ordered 1
		.amdhsa_forward_progress 1
		.amdhsa_inst_pref_size 0
		.amdhsa_round_robin_scheduling 0
		.amdhsa_exception_fp_ieee_invalid_op 0
		.amdhsa_exception_fp_denorm_src 0
		.amdhsa_exception_fp_ieee_div_zero 0
		.amdhsa_exception_fp_ieee_overflow 0
		.amdhsa_exception_fp_ieee_underflow 0
		.amdhsa_exception_fp_ieee_inexact 0
		.amdhsa_exception_int_div_zero 0
	.end_amdhsa_kernel
	.section	.text._ZN7rocprim17ROCPRIM_400000_NS6detail17trampoline_kernelINS0_13select_configILj256ELj13ELNS0_17block_load_methodE3ELS4_3ELS4_3ELNS0_20block_scan_algorithmE0ELj4294967295EEENS1_25partition_config_selectorILNS1_17partition_subalgoE4EjNS0_10empty_typeEbEEZZNS1_14partition_implILS8_4ELb0ES6_15HIP_vector_typeIjLj2EENS0_17counting_iteratorIjlEEPS9_SG_NS0_5tupleIJPjSI_NS0_16reverse_iteratorISI_EEEEENSH_IJSG_SG_SG_EEES9_SI_JZNS1_25segmented_radix_sort_implINS0_14default_configELb0EPK6__halfPSP_PKlPlN2at6native12_GLOBAL__N_18offset_tEEE10hipError_tPvRmT1_PNSt15iterator_traitsIS13_E10value_typeET2_T3_PNS14_IS19_E10value_typeET4_jRbjT5_S1F_jjP12ihipStream_tbEUljE_ZNSN_ISO_Lb0ESR_SS_SU_SV_SZ_EES10_S11_S12_S13_S17_S18_S19_S1C_S1D_jS1E_jS1F_S1F_jjS1H_bEUljE0_EEES10_S11_S12_S19_S1D_S1F_T6_T7_T9_mT8_S1H_bDpT10_ENKUlT_T0_E_clISt17integral_constantIbLb1EES1V_EEDaS1Q_S1R_EUlS1Q_E_NS1_11comp_targetILNS1_3genE10ELNS1_11target_archE1200ELNS1_3gpuE4ELNS1_3repE0EEENS1_30default_config_static_selectorELNS0_4arch9wavefront6targetE0EEEvS13_,"axG",@progbits,_ZN7rocprim17ROCPRIM_400000_NS6detail17trampoline_kernelINS0_13select_configILj256ELj13ELNS0_17block_load_methodE3ELS4_3ELS4_3ELNS0_20block_scan_algorithmE0ELj4294967295EEENS1_25partition_config_selectorILNS1_17partition_subalgoE4EjNS0_10empty_typeEbEEZZNS1_14partition_implILS8_4ELb0ES6_15HIP_vector_typeIjLj2EENS0_17counting_iteratorIjlEEPS9_SG_NS0_5tupleIJPjSI_NS0_16reverse_iteratorISI_EEEEENSH_IJSG_SG_SG_EEES9_SI_JZNS1_25segmented_radix_sort_implINS0_14default_configELb0EPK6__halfPSP_PKlPlN2at6native12_GLOBAL__N_18offset_tEEE10hipError_tPvRmT1_PNSt15iterator_traitsIS13_E10value_typeET2_T3_PNS14_IS19_E10value_typeET4_jRbjT5_S1F_jjP12ihipStream_tbEUljE_ZNSN_ISO_Lb0ESR_SS_SU_SV_SZ_EES10_S11_S12_S13_S17_S18_S19_S1C_S1D_jS1E_jS1F_S1F_jjS1H_bEUljE0_EEES10_S11_S12_S19_S1D_S1F_T6_T7_T9_mT8_S1H_bDpT10_ENKUlT_T0_E_clISt17integral_constantIbLb1EES1V_EEDaS1Q_S1R_EUlS1Q_E_NS1_11comp_targetILNS1_3genE10ELNS1_11target_archE1200ELNS1_3gpuE4ELNS1_3repE0EEENS1_30default_config_static_selectorELNS0_4arch9wavefront6targetE0EEEvS13_,comdat
.Lfunc_end1781:
	.size	_ZN7rocprim17ROCPRIM_400000_NS6detail17trampoline_kernelINS0_13select_configILj256ELj13ELNS0_17block_load_methodE3ELS4_3ELS4_3ELNS0_20block_scan_algorithmE0ELj4294967295EEENS1_25partition_config_selectorILNS1_17partition_subalgoE4EjNS0_10empty_typeEbEEZZNS1_14partition_implILS8_4ELb0ES6_15HIP_vector_typeIjLj2EENS0_17counting_iteratorIjlEEPS9_SG_NS0_5tupleIJPjSI_NS0_16reverse_iteratorISI_EEEEENSH_IJSG_SG_SG_EEES9_SI_JZNS1_25segmented_radix_sort_implINS0_14default_configELb0EPK6__halfPSP_PKlPlN2at6native12_GLOBAL__N_18offset_tEEE10hipError_tPvRmT1_PNSt15iterator_traitsIS13_E10value_typeET2_T3_PNS14_IS19_E10value_typeET4_jRbjT5_S1F_jjP12ihipStream_tbEUljE_ZNSN_ISO_Lb0ESR_SS_SU_SV_SZ_EES10_S11_S12_S13_S17_S18_S19_S1C_S1D_jS1E_jS1F_S1F_jjS1H_bEUljE0_EEES10_S11_S12_S19_S1D_S1F_T6_T7_T9_mT8_S1H_bDpT10_ENKUlT_T0_E_clISt17integral_constantIbLb1EES1V_EEDaS1Q_S1R_EUlS1Q_E_NS1_11comp_targetILNS1_3genE10ELNS1_11target_archE1200ELNS1_3gpuE4ELNS1_3repE0EEENS1_30default_config_static_selectorELNS0_4arch9wavefront6targetE0EEEvS13_, .Lfunc_end1781-_ZN7rocprim17ROCPRIM_400000_NS6detail17trampoline_kernelINS0_13select_configILj256ELj13ELNS0_17block_load_methodE3ELS4_3ELS4_3ELNS0_20block_scan_algorithmE0ELj4294967295EEENS1_25partition_config_selectorILNS1_17partition_subalgoE4EjNS0_10empty_typeEbEEZZNS1_14partition_implILS8_4ELb0ES6_15HIP_vector_typeIjLj2EENS0_17counting_iteratorIjlEEPS9_SG_NS0_5tupleIJPjSI_NS0_16reverse_iteratorISI_EEEEENSH_IJSG_SG_SG_EEES9_SI_JZNS1_25segmented_radix_sort_implINS0_14default_configELb0EPK6__halfPSP_PKlPlN2at6native12_GLOBAL__N_18offset_tEEE10hipError_tPvRmT1_PNSt15iterator_traitsIS13_E10value_typeET2_T3_PNS14_IS19_E10value_typeET4_jRbjT5_S1F_jjP12ihipStream_tbEUljE_ZNSN_ISO_Lb0ESR_SS_SU_SV_SZ_EES10_S11_S12_S13_S17_S18_S19_S1C_S1D_jS1E_jS1F_S1F_jjS1H_bEUljE0_EEES10_S11_S12_S19_S1D_S1F_T6_T7_T9_mT8_S1H_bDpT10_ENKUlT_T0_E_clISt17integral_constantIbLb1EES1V_EEDaS1Q_S1R_EUlS1Q_E_NS1_11comp_targetILNS1_3genE10ELNS1_11target_archE1200ELNS1_3gpuE4ELNS1_3repE0EEENS1_30default_config_static_selectorELNS0_4arch9wavefront6targetE0EEEvS13_
                                        ; -- End function
	.set _ZN7rocprim17ROCPRIM_400000_NS6detail17trampoline_kernelINS0_13select_configILj256ELj13ELNS0_17block_load_methodE3ELS4_3ELS4_3ELNS0_20block_scan_algorithmE0ELj4294967295EEENS1_25partition_config_selectorILNS1_17partition_subalgoE4EjNS0_10empty_typeEbEEZZNS1_14partition_implILS8_4ELb0ES6_15HIP_vector_typeIjLj2EENS0_17counting_iteratorIjlEEPS9_SG_NS0_5tupleIJPjSI_NS0_16reverse_iteratorISI_EEEEENSH_IJSG_SG_SG_EEES9_SI_JZNS1_25segmented_radix_sort_implINS0_14default_configELb0EPK6__halfPSP_PKlPlN2at6native12_GLOBAL__N_18offset_tEEE10hipError_tPvRmT1_PNSt15iterator_traitsIS13_E10value_typeET2_T3_PNS14_IS19_E10value_typeET4_jRbjT5_S1F_jjP12ihipStream_tbEUljE_ZNSN_ISO_Lb0ESR_SS_SU_SV_SZ_EES10_S11_S12_S13_S17_S18_S19_S1C_S1D_jS1E_jS1F_S1F_jjS1H_bEUljE0_EEES10_S11_S12_S19_S1D_S1F_T6_T7_T9_mT8_S1H_bDpT10_ENKUlT_T0_E_clISt17integral_constantIbLb1EES1V_EEDaS1Q_S1R_EUlS1Q_E_NS1_11comp_targetILNS1_3genE10ELNS1_11target_archE1200ELNS1_3gpuE4ELNS1_3repE0EEENS1_30default_config_static_selectorELNS0_4arch9wavefront6targetE0EEEvS13_.num_vgpr, 0
	.set _ZN7rocprim17ROCPRIM_400000_NS6detail17trampoline_kernelINS0_13select_configILj256ELj13ELNS0_17block_load_methodE3ELS4_3ELS4_3ELNS0_20block_scan_algorithmE0ELj4294967295EEENS1_25partition_config_selectorILNS1_17partition_subalgoE4EjNS0_10empty_typeEbEEZZNS1_14partition_implILS8_4ELb0ES6_15HIP_vector_typeIjLj2EENS0_17counting_iteratorIjlEEPS9_SG_NS0_5tupleIJPjSI_NS0_16reverse_iteratorISI_EEEEENSH_IJSG_SG_SG_EEES9_SI_JZNS1_25segmented_radix_sort_implINS0_14default_configELb0EPK6__halfPSP_PKlPlN2at6native12_GLOBAL__N_18offset_tEEE10hipError_tPvRmT1_PNSt15iterator_traitsIS13_E10value_typeET2_T3_PNS14_IS19_E10value_typeET4_jRbjT5_S1F_jjP12ihipStream_tbEUljE_ZNSN_ISO_Lb0ESR_SS_SU_SV_SZ_EES10_S11_S12_S13_S17_S18_S19_S1C_S1D_jS1E_jS1F_S1F_jjS1H_bEUljE0_EEES10_S11_S12_S19_S1D_S1F_T6_T7_T9_mT8_S1H_bDpT10_ENKUlT_T0_E_clISt17integral_constantIbLb1EES1V_EEDaS1Q_S1R_EUlS1Q_E_NS1_11comp_targetILNS1_3genE10ELNS1_11target_archE1200ELNS1_3gpuE4ELNS1_3repE0EEENS1_30default_config_static_selectorELNS0_4arch9wavefront6targetE0EEEvS13_.num_agpr, 0
	.set _ZN7rocprim17ROCPRIM_400000_NS6detail17trampoline_kernelINS0_13select_configILj256ELj13ELNS0_17block_load_methodE3ELS4_3ELS4_3ELNS0_20block_scan_algorithmE0ELj4294967295EEENS1_25partition_config_selectorILNS1_17partition_subalgoE4EjNS0_10empty_typeEbEEZZNS1_14partition_implILS8_4ELb0ES6_15HIP_vector_typeIjLj2EENS0_17counting_iteratorIjlEEPS9_SG_NS0_5tupleIJPjSI_NS0_16reverse_iteratorISI_EEEEENSH_IJSG_SG_SG_EEES9_SI_JZNS1_25segmented_radix_sort_implINS0_14default_configELb0EPK6__halfPSP_PKlPlN2at6native12_GLOBAL__N_18offset_tEEE10hipError_tPvRmT1_PNSt15iterator_traitsIS13_E10value_typeET2_T3_PNS14_IS19_E10value_typeET4_jRbjT5_S1F_jjP12ihipStream_tbEUljE_ZNSN_ISO_Lb0ESR_SS_SU_SV_SZ_EES10_S11_S12_S13_S17_S18_S19_S1C_S1D_jS1E_jS1F_S1F_jjS1H_bEUljE0_EEES10_S11_S12_S19_S1D_S1F_T6_T7_T9_mT8_S1H_bDpT10_ENKUlT_T0_E_clISt17integral_constantIbLb1EES1V_EEDaS1Q_S1R_EUlS1Q_E_NS1_11comp_targetILNS1_3genE10ELNS1_11target_archE1200ELNS1_3gpuE4ELNS1_3repE0EEENS1_30default_config_static_selectorELNS0_4arch9wavefront6targetE0EEEvS13_.numbered_sgpr, 0
	.set _ZN7rocprim17ROCPRIM_400000_NS6detail17trampoline_kernelINS0_13select_configILj256ELj13ELNS0_17block_load_methodE3ELS4_3ELS4_3ELNS0_20block_scan_algorithmE0ELj4294967295EEENS1_25partition_config_selectorILNS1_17partition_subalgoE4EjNS0_10empty_typeEbEEZZNS1_14partition_implILS8_4ELb0ES6_15HIP_vector_typeIjLj2EENS0_17counting_iteratorIjlEEPS9_SG_NS0_5tupleIJPjSI_NS0_16reverse_iteratorISI_EEEEENSH_IJSG_SG_SG_EEES9_SI_JZNS1_25segmented_radix_sort_implINS0_14default_configELb0EPK6__halfPSP_PKlPlN2at6native12_GLOBAL__N_18offset_tEEE10hipError_tPvRmT1_PNSt15iterator_traitsIS13_E10value_typeET2_T3_PNS14_IS19_E10value_typeET4_jRbjT5_S1F_jjP12ihipStream_tbEUljE_ZNSN_ISO_Lb0ESR_SS_SU_SV_SZ_EES10_S11_S12_S13_S17_S18_S19_S1C_S1D_jS1E_jS1F_S1F_jjS1H_bEUljE0_EEES10_S11_S12_S19_S1D_S1F_T6_T7_T9_mT8_S1H_bDpT10_ENKUlT_T0_E_clISt17integral_constantIbLb1EES1V_EEDaS1Q_S1R_EUlS1Q_E_NS1_11comp_targetILNS1_3genE10ELNS1_11target_archE1200ELNS1_3gpuE4ELNS1_3repE0EEENS1_30default_config_static_selectorELNS0_4arch9wavefront6targetE0EEEvS13_.num_named_barrier, 0
	.set _ZN7rocprim17ROCPRIM_400000_NS6detail17trampoline_kernelINS0_13select_configILj256ELj13ELNS0_17block_load_methodE3ELS4_3ELS4_3ELNS0_20block_scan_algorithmE0ELj4294967295EEENS1_25partition_config_selectorILNS1_17partition_subalgoE4EjNS0_10empty_typeEbEEZZNS1_14partition_implILS8_4ELb0ES6_15HIP_vector_typeIjLj2EENS0_17counting_iteratorIjlEEPS9_SG_NS0_5tupleIJPjSI_NS0_16reverse_iteratorISI_EEEEENSH_IJSG_SG_SG_EEES9_SI_JZNS1_25segmented_radix_sort_implINS0_14default_configELb0EPK6__halfPSP_PKlPlN2at6native12_GLOBAL__N_18offset_tEEE10hipError_tPvRmT1_PNSt15iterator_traitsIS13_E10value_typeET2_T3_PNS14_IS19_E10value_typeET4_jRbjT5_S1F_jjP12ihipStream_tbEUljE_ZNSN_ISO_Lb0ESR_SS_SU_SV_SZ_EES10_S11_S12_S13_S17_S18_S19_S1C_S1D_jS1E_jS1F_S1F_jjS1H_bEUljE0_EEES10_S11_S12_S19_S1D_S1F_T6_T7_T9_mT8_S1H_bDpT10_ENKUlT_T0_E_clISt17integral_constantIbLb1EES1V_EEDaS1Q_S1R_EUlS1Q_E_NS1_11comp_targetILNS1_3genE10ELNS1_11target_archE1200ELNS1_3gpuE4ELNS1_3repE0EEENS1_30default_config_static_selectorELNS0_4arch9wavefront6targetE0EEEvS13_.private_seg_size, 0
	.set _ZN7rocprim17ROCPRIM_400000_NS6detail17trampoline_kernelINS0_13select_configILj256ELj13ELNS0_17block_load_methodE3ELS4_3ELS4_3ELNS0_20block_scan_algorithmE0ELj4294967295EEENS1_25partition_config_selectorILNS1_17partition_subalgoE4EjNS0_10empty_typeEbEEZZNS1_14partition_implILS8_4ELb0ES6_15HIP_vector_typeIjLj2EENS0_17counting_iteratorIjlEEPS9_SG_NS0_5tupleIJPjSI_NS0_16reverse_iteratorISI_EEEEENSH_IJSG_SG_SG_EEES9_SI_JZNS1_25segmented_radix_sort_implINS0_14default_configELb0EPK6__halfPSP_PKlPlN2at6native12_GLOBAL__N_18offset_tEEE10hipError_tPvRmT1_PNSt15iterator_traitsIS13_E10value_typeET2_T3_PNS14_IS19_E10value_typeET4_jRbjT5_S1F_jjP12ihipStream_tbEUljE_ZNSN_ISO_Lb0ESR_SS_SU_SV_SZ_EES10_S11_S12_S13_S17_S18_S19_S1C_S1D_jS1E_jS1F_S1F_jjS1H_bEUljE0_EEES10_S11_S12_S19_S1D_S1F_T6_T7_T9_mT8_S1H_bDpT10_ENKUlT_T0_E_clISt17integral_constantIbLb1EES1V_EEDaS1Q_S1R_EUlS1Q_E_NS1_11comp_targetILNS1_3genE10ELNS1_11target_archE1200ELNS1_3gpuE4ELNS1_3repE0EEENS1_30default_config_static_selectorELNS0_4arch9wavefront6targetE0EEEvS13_.uses_vcc, 0
	.set _ZN7rocprim17ROCPRIM_400000_NS6detail17trampoline_kernelINS0_13select_configILj256ELj13ELNS0_17block_load_methodE3ELS4_3ELS4_3ELNS0_20block_scan_algorithmE0ELj4294967295EEENS1_25partition_config_selectorILNS1_17partition_subalgoE4EjNS0_10empty_typeEbEEZZNS1_14partition_implILS8_4ELb0ES6_15HIP_vector_typeIjLj2EENS0_17counting_iteratorIjlEEPS9_SG_NS0_5tupleIJPjSI_NS0_16reverse_iteratorISI_EEEEENSH_IJSG_SG_SG_EEES9_SI_JZNS1_25segmented_radix_sort_implINS0_14default_configELb0EPK6__halfPSP_PKlPlN2at6native12_GLOBAL__N_18offset_tEEE10hipError_tPvRmT1_PNSt15iterator_traitsIS13_E10value_typeET2_T3_PNS14_IS19_E10value_typeET4_jRbjT5_S1F_jjP12ihipStream_tbEUljE_ZNSN_ISO_Lb0ESR_SS_SU_SV_SZ_EES10_S11_S12_S13_S17_S18_S19_S1C_S1D_jS1E_jS1F_S1F_jjS1H_bEUljE0_EEES10_S11_S12_S19_S1D_S1F_T6_T7_T9_mT8_S1H_bDpT10_ENKUlT_T0_E_clISt17integral_constantIbLb1EES1V_EEDaS1Q_S1R_EUlS1Q_E_NS1_11comp_targetILNS1_3genE10ELNS1_11target_archE1200ELNS1_3gpuE4ELNS1_3repE0EEENS1_30default_config_static_selectorELNS0_4arch9wavefront6targetE0EEEvS13_.uses_flat_scratch, 0
	.set _ZN7rocprim17ROCPRIM_400000_NS6detail17trampoline_kernelINS0_13select_configILj256ELj13ELNS0_17block_load_methodE3ELS4_3ELS4_3ELNS0_20block_scan_algorithmE0ELj4294967295EEENS1_25partition_config_selectorILNS1_17partition_subalgoE4EjNS0_10empty_typeEbEEZZNS1_14partition_implILS8_4ELb0ES6_15HIP_vector_typeIjLj2EENS0_17counting_iteratorIjlEEPS9_SG_NS0_5tupleIJPjSI_NS0_16reverse_iteratorISI_EEEEENSH_IJSG_SG_SG_EEES9_SI_JZNS1_25segmented_radix_sort_implINS0_14default_configELb0EPK6__halfPSP_PKlPlN2at6native12_GLOBAL__N_18offset_tEEE10hipError_tPvRmT1_PNSt15iterator_traitsIS13_E10value_typeET2_T3_PNS14_IS19_E10value_typeET4_jRbjT5_S1F_jjP12ihipStream_tbEUljE_ZNSN_ISO_Lb0ESR_SS_SU_SV_SZ_EES10_S11_S12_S13_S17_S18_S19_S1C_S1D_jS1E_jS1F_S1F_jjS1H_bEUljE0_EEES10_S11_S12_S19_S1D_S1F_T6_T7_T9_mT8_S1H_bDpT10_ENKUlT_T0_E_clISt17integral_constantIbLb1EES1V_EEDaS1Q_S1R_EUlS1Q_E_NS1_11comp_targetILNS1_3genE10ELNS1_11target_archE1200ELNS1_3gpuE4ELNS1_3repE0EEENS1_30default_config_static_selectorELNS0_4arch9wavefront6targetE0EEEvS13_.has_dyn_sized_stack, 0
	.set _ZN7rocprim17ROCPRIM_400000_NS6detail17trampoline_kernelINS0_13select_configILj256ELj13ELNS0_17block_load_methodE3ELS4_3ELS4_3ELNS0_20block_scan_algorithmE0ELj4294967295EEENS1_25partition_config_selectorILNS1_17partition_subalgoE4EjNS0_10empty_typeEbEEZZNS1_14partition_implILS8_4ELb0ES6_15HIP_vector_typeIjLj2EENS0_17counting_iteratorIjlEEPS9_SG_NS0_5tupleIJPjSI_NS0_16reverse_iteratorISI_EEEEENSH_IJSG_SG_SG_EEES9_SI_JZNS1_25segmented_radix_sort_implINS0_14default_configELb0EPK6__halfPSP_PKlPlN2at6native12_GLOBAL__N_18offset_tEEE10hipError_tPvRmT1_PNSt15iterator_traitsIS13_E10value_typeET2_T3_PNS14_IS19_E10value_typeET4_jRbjT5_S1F_jjP12ihipStream_tbEUljE_ZNSN_ISO_Lb0ESR_SS_SU_SV_SZ_EES10_S11_S12_S13_S17_S18_S19_S1C_S1D_jS1E_jS1F_S1F_jjS1H_bEUljE0_EEES10_S11_S12_S19_S1D_S1F_T6_T7_T9_mT8_S1H_bDpT10_ENKUlT_T0_E_clISt17integral_constantIbLb1EES1V_EEDaS1Q_S1R_EUlS1Q_E_NS1_11comp_targetILNS1_3genE10ELNS1_11target_archE1200ELNS1_3gpuE4ELNS1_3repE0EEENS1_30default_config_static_selectorELNS0_4arch9wavefront6targetE0EEEvS13_.has_recursion, 0
	.set _ZN7rocprim17ROCPRIM_400000_NS6detail17trampoline_kernelINS0_13select_configILj256ELj13ELNS0_17block_load_methodE3ELS4_3ELS4_3ELNS0_20block_scan_algorithmE0ELj4294967295EEENS1_25partition_config_selectorILNS1_17partition_subalgoE4EjNS0_10empty_typeEbEEZZNS1_14partition_implILS8_4ELb0ES6_15HIP_vector_typeIjLj2EENS0_17counting_iteratorIjlEEPS9_SG_NS0_5tupleIJPjSI_NS0_16reverse_iteratorISI_EEEEENSH_IJSG_SG_SG_EEES9_SI_JZNS1_25segmented_radix_sort_implINS0_14default_configELb0EPK6__halfPSP_PKlPlN2at6native12_GLOBAL__N_18offset_tEEE10hipError_tPvRmT1_PNSt15iterator_traitsIS13_E10value_typeET2_T3_PNS14_IS19_E10value_typeET4_jRbjT5_S1F_jjP12ihipStream_tbEUljE_ZNSN_ISO_Lb0ESR_SS_SU_SV_SZ_EES10_S11_S12_S13_S17_S18_S19_S1C_S1D_jS1E_jS1F_S1F_jjS1H_bEUljE0_EEES10_S11_S12_S19_S1D_S1F_T6_T7_T9_mT8_S1H_bDpT10_ENKUlT_T0_E_clISt17integral_constantIbLb1EES1V_EEDaS1Q_S1R_EUlS1Q_E_NS1_11comp_targetILNS1_3genE10ELNS1_11target_archE1200ELNS1_3gpuE4ELNS1_3repE0EEENS1_30default_config_static_selectorELNS0_4arch9wavefront6targetE0EEEvS13_.has_indirect_call, 0
	.section	.AMDGPU.csdata,"",@progbits
; Kernel info:
; codeLenInByte = 0
; TotalNumSgprs: 0
; NumVgprs: 0
; ScratchSize: 0
; MemoryBound: 0
; FloatMode: 240
; IeeeMode: 1
; LDSByteSize: 0 bytes/workgroup (compile time only)
; SGPRBlocks: 0
; VGPRBlocks: 0
; NumSGPRsForWavesPerEU: 1
; NumVGPRsForWavesPerEU: 1
; NamedBarCnt: 0
; Occupancy: 16
; WaveLimiterHint : 0
; COMPUTE_PGM_RSRC2:SCRATCH_EN: 0
; COMPUTE_PGM_RSRC2:USER_SGPR: 2
; COMPUTE_PGM_RSRC2:TRAP_HANDLER: 0
; COMPUTE_PGM_RSRC2:TGID_X_EN: 1
; COMPUTE_PGM_RSRC2:TGID_Y_EN: 0
; COMPUTE_PGM_RSRC2:TGID_Z_EN: 0
; COMPUTE_PGM_RSRC2:TIDIG_COMP_CNT: 0
	.section	.text._ZN7rocprim17ROCPRIM_400000_NS6detail17trampoline_kernelINS0_13select_configILj256ELj13ELNS0_17block_load_methodE3ELS4_3ELS4_3ELNS0_20block_scan_algorithmE0ELj4294967295EEENS1_25partition_config_selectorILNS1_17partition_subalgoE4EjNS0_10empty_typeEbEEZZNS1_14partition_implILS8_4ELb0ES6_15HIP_vector_typeIjLj2EENS0_17counting_iteratorIjlEEPS9_SG_NS0_5tupleIJPjSI_NS0_16reverse_iteratorISI_EEEEENSH_IJSG_SG_SG_EEES9_SI_JZNS1_25segmented_radix_sort_implINS0_14default_configELb0EPK6__halfPSP_PKlPlN2at6native12_GLOBAL__N_18offset_tEEE10hipError_tPvRmT1_PNSt15iterator_traitsIS13_E10value_typeET2_T3_PNS14_IS19_E10value_typeET4_jRbjT5_S1F_jjP12ihipStream_tbEUljE_ZNSN_ISO_Lb0ESR_SS_SU_SV_SZ_EES10_S11_S12_S13_S17_S18_S19_S1C_S1D_jS1E_jS1F_S1F_jjS1H_bEUljE0_EEES10_S11_S12_S19_S1D_S1F_T6_T7_T9_mT8_S1H_bDpT10_ENKUlT_T0_E_clISt17integral_constantIbLb1EES1V_EEDaS1Q_S1R_EUlS1Q_E_NS1_11comp_targetILNS1_3genE9ELNS1_11target_archE1100ELNS1_3gpuE3ELNS1_3repE0EEENS1_30default_config_static_selectorELNS0_4arch9wavefront6targetE0EEEvS13_,"axG",@progbits,_ZN7rocprim17ROCPRIM_400000_NS6detail17trampoline_kernelINS0_13select_configILj256ELj13ELNS0_17block_load_methodE3ELS4_3ELS4_3ELNS0_20block_scan_algorithmE0ELj4294967295EEENS1_25partition_config_selectorILNS1_17partition_subalgoE4EjNS0_10empty_typeEbEEZZNS1_14partition_implILS8_4ELb0ES6_15HIP_vector_typeIjLj2EENS0_17counting_iteratorIjlEEPS9_SG_NS0_5tupleIJPjSI_NS0_16reverse_iteratorISI_EEEEENSH_IJSG_SG_SG_EEES9_SI_JZNS1_25segmented_radix_sort_implINS0_14default_configELb0EPK6__halfPSP_PKlPlN2at6native12_GLOBAL__N_18offset_tEEE10hipError_tPvRmT1_PNSt15iterator_traitsIS13_E10value_typeET2_T3_PNS14_IS19_E10value_typeET4_jRbjT5_S1F_jjP12ihipStream_tbEUljE_ZNSN_ISO_Lb0ESR_SS_SU_SV_SZ_EES10_S11_S12_S13_S17_S18_S19_S1C_S1D_jS1E_jS1F_S1F_jjS1H_bEUljE0_EEES10_S11_S12_S19_S1D_S1F_T6_T7_T9_mT8_S1H_bDpT10_ENKUlT_T0_E_clISt17integral_constantIbLb1EES1V_EEDaS1Q_S1R_EUlS1Q_E_NS1_11comp_targetILNS1_3genE9ELNS1_11target_archE1100ELNS1_3gpuE3ELNS1_3repE0EEENS1_30default_config_static_selectorELNS0_4arch9wavefront6targetE0EEEvS13_,comdat
	.globl	_ZN7rocprim17ROCPRIM_400000_NS6detail17trampoline_kernelINS0_13select_configILj256ELj13ELNS0_17block_load_methodE3ELS4_3ELS4_3ELNS0_20block_scan_algorithmE0ELj4294967295EEENS1_25partition_config_selectorILNS1_17partition_subalgoE4EjNS0_10empty_typeEbEEZZNS1_14partition_implILS8_4ELb0ES6_15HIP_vector_typeIjLj2EENS0_17counting_iteratorIjlEEPS9_SG_NS0_5tupleIJPjSI_NS0_16reverse_iteratorISI_EEEEENSH_IJSG_SG_SG_EEES9_SI_JZNS1_25segmented_radix_sort_implINS0_14default_configELb0EPK6__halfPSP_PKlPlN2at6native12_GLOBAL__N_18offset_tEEE10hipError_tPvRmT1_PNSt15iterator_traitsIS13_E10value_typeET2_T3_PNS14_IS19_E10value_typeET4_jRbjT5_S1F_jjP12ihipStream_tbEUljE_ZNSN_ISO_Lb0ESR_SS_SU_SV_SZ_EES10_S11_S12_S13_S17_S18_S19_S1C_S1D_jS1E_jS1F_S1F_jjS1H_bEUljE0_EEES10_S11_S12_S19_S1D_S1F_T6_T7_T9_mT8_S1H_bDpT10_ENKUlT_T0_E_clISt17integral_constantIbLb1EES1V_EEDaS1Q_S1R_EUlS1Q_E_NS1_11comp_targetILNS1_3genE9ELNS1_11target_archE1100ELNS1_3gpuE3ELNS1_3repE0EEENS1_30default_config_static_selectorELNS0_4arch9wavefront6targetE0EEEvS13_ ; -- Begin function _ZN7rocprim17ROCPRIM_400000_NS6detail17trampoline_kernelINS0_13select_configILj256ELj13ELNS0_17block_load_methodE3ELS4_3ELS4_3ELNS0_20block_scan_algorithmE0ELj4294967295EEENS1_25partition_config_selectorILNS1_17partition_subalgoE4EjNS0_10empty_typeEbEEZZNS1_14partition_implILS8_4ELb0ES6_15HIP_vector_typeIjLj2EENS0_17counting_iteratorIjlEEPS9_SG_NS0_5tupleIJPjSI_NS0_16reverse_iteratorISI_EEEEENSH_IJSG_SG_SG_EEES9_SI_JZNS1_25segmented_radix_sort_implINS0_14default_configELb0EPK6__halfPSP_PKlPlN2at6native12_GLOBAL__N_18offset_tEEE10hipError_tPvRmT1_PNSt15iterator_traitsIS13_E10value_typeET2_T3_PNS14_IS19_E10value_typeET4_jRbjT5_S1F_jjP12ihipStream_tbEUljE_ZNSN_ISO_Lb0ESR_SS_SU_SV_SZ_EES10_S11_S12_S13_S17_S18_S19_S1C_S1D_jS1E_jS1F_S1F_jjS1H_bEUljE0_EEES10_S11_S12_S19_S1D_S1F_T6_T7_T9_mT8_S1H_bDpT10_ENKUlT_T0_E_clISt17integral_constantIbLb1EES1V_EEDaS1Q_S1R_EUlS1Q_E_NS1_11comp_targetILNS1_3genE9ELNS1_11target_archE1100ELNS1_3gpuE3ELNS1_3repE0EEENS1_30default_config_static_selectorELNS0_4arch9wavefront6targetE0EEEvS13_
	.p2align	8
	.type	_ZN7rocprim17ROCPRIM_400000_NS6detail17trampoline_kernelINS0_13select_configILj256ELj13ELNS0_17block_load_methodE3ELS4_3ELS4_3ELNS0_20block_scan_algorithmE0ELj4294967295EEENS1_25partition_config_selectorILNS1_17partition_subalgoE4EjNS0_10empty_typeEbEEZZNS1_14partition_implILS8_4ELb0ES6_15HIP_vector_typeIjLj2EENS0_17counting_iteratorIjlEEPS9_SG_NS0_5tupleIJPjSI_NS0_16reverse_iteratorISI_EEEEENSH_IJSG_SG_SG_EEES9_SI_JZNS1_25segmented_radix_sort_implINS0_14default_configELb0EPK6__halfPSP_PKlPlN2at6native12_GLOBAL__N_18offset_tEEE10hipError_tPvRmT1_PNSt15iterator_traitsIS13_E10value_typeET2_T3_PNS14_IS19_E10value_typeET4_jRbjT5_S1F_jjP12ihipStream_tbEUljE_ZNSN_ISO_Lb0ESR_SS_SU_SV_SZ_EES10_S11_S12_S13_S17_S18_S19_S1C_S1D_jS1E_jS1F_S1F_jjS1H_bEUljE0_EEES10_S11_S12_S19_S1D_S1F_T6_T7_T9_mT8_S1H_bDpT10_ENKUlT_T0_E_clISt17integral_constantIbLb1EES1V_EEDaS1Q_S1R_EUlS1Q_E_NS1_11comp_targetILNS1_3genE9ELNS1_11target_archE1100ELNS1_3gpuE3ELNS1_3repE0EEENS1_30default_config_static_selectorELNS0_4arch9wavefront6targetE0EEEvS13_,@function
_ZN7rocprim17ROCPRIM_400000_NS6detail17trampoline_kernelINS0_13select_configILj256ELj13ELNS0_17block_load_methodE3ELS4_3ELS4_3ELNS0_20block_scan_algorithmE0ELj4294967295EEENS1_25partition_config_selectorILNS1_17partition_subalgoE4EjNS0_10empty_typeEbEEZZNS1_14partition_implILS8_4ELb0ES6_15HIP_vector_typeIjLj2EENS0_17counting_iteratorIjlEEPS9_SG_NS0_5tupleIJPjSI_NS0_16reverse_iteratorISI_EEEEENSH_IJSG_SG_SG_EEES9_SI_JZNS1_25segmented_radix_sort_implINS0_14default_configELb0EPK6__halfPSP_PKlPlN2at6native12_GLOBAL__N_18offset_tEEE10hipError_tPvRmT1_PNSt15iterator_traitsIS13_E10value_typeET2_T3_PNS14_IS19_E10value_typeET4_jRbjT5_S1F_jjP12ihipStream_tbEUljE_ZNSN_ISO_Lb0ESR_SS_SU_SV_SZ_EES10_S11_S12_S13_S17_S18_S19_S1C_S1D_jS1E_jS1F_S1F_jjS1H_bEUljE0_EEES10_S11_S12_S19_S1D_S1F_T6_T7_T9_mT8_S1H_bDpT10_ENKUlT_T0_E_clISt17integral_constantIbLb1EES1V_EEDaS1Q_S1R_EUlS1Q_E_NS1_11comp_targetILNS1_3genE9ELNS1_11target_archE1100ELNS1_3gpuE3ELNS1_3repE0EEENS1_30default_config_static_selectorELNS0_4arch9wavefront6targetE0EEEvS13_: ; @_ZN7rocprim17ROCPRIM_400000_NS6detail17trampoline_kernelINS0_13select_configILj256ELj13ELNS0_17block_load_methodE3ELS4_3ELS4_3ELNS0_20block_scan_algorithmE0ELj4294967295EEENS1_25partition_config_selectorILNS1_17partition_subalgoE4EjNS0_10empty_typeEbEEZZNS1_14partition_implILS8_4ELb0ES6_15HIP_vector_typeIjLj2EENS0_17counting_iteratorIjlEEPS9_SG_NS0_5tupleIJPjSI_NS0_16reverse_iteratorISI_EEEEENSH_IJSG_SG_SG_EEES9_SI_JZNS1_25segmented_radix_sort_implINS0_14default_configELb0EPK6__halfPSP_PKlPlN2at6native12_GLOBAL__N_18offset_tEEE10hipError_tPvRmT1_PNSt15iterator_traitsIS13_E10value_typeET2_T3_PNS14_IS19_E10value_typeET4_jRbjT5_S1F_jjP12ihipStream_tbEUljE_ZNSN_ISO_Lb0ESR_SS_SU_SV_SZ_EES10_S11_S12_S13_S17_S18_S19_S1C_S1D_jS1E_jS1F_S1F_jjS1H_bEUljE0_EEES10_S11_S12_S19_S1D_S1F_T6_T7_T9_mT8_S1H_bDpT10_ENKUlT_T0_E_clISt17integral_constantIbLb1EES1V_EEDaS1Q_S1R_EUlS1Q_E_NS1_11comp_targetILNS1_3genE9ELNS1_11target_archE1100ELNS1_3gpuE3ELNS1_3repE0EEENS1_30default_config_static_selectorELNS0_4arch9wavefront6targetE0EEEvS13_
; %bb.0:
	.section	.rodata,"a",@progbits
	.p2align	6, 0x0
	.amdhsa_kernel _ZN7rocprim17ROCPRIM_400000_NS6detail17trampoline_kernelINS0_13select_configILj256ELj13ELNS0_17block_load_methodE3ELS4_3ELS4_3ELNS0_20block_scan_algorithmE0ELj4294967295EEENS1_25partition_config_selectorILNS1_17partition_subalgoE4EjNS0_10empty_typeEbEEZZNS1_14partition_implILS8_4ELb0ES6_15HIP_vector_typeIjLj2EENS0_17counting_iteratorIjlEEPS9_SG_NS0_5tupleIJPjSI_NS0_16reverse_iteratorISI_EEEEENSH_IJSG_SG_SG_EEES9_SI_JZNS1_25segmented_radix_sort_implINS0_14default_configELb0EPK6__halfPSP_PKlPlN2at6native12_GLOBAL__N_18offset_tEEE10hipError_tPvRmT1_PNSt15iterator_traitsIS13_E10value_typeET2_T3_PNS14_IS19_E10value_typeET4_jRbjT5_S1F_jjP12ihipStream_tbEUljE_ZNSN_ISO_Lb0ESR_SS_SU_SV_SZ_EES10_S11_S12_S13_S17_S18_S19_S1C_S1D_jS1E_jS1F_S1F_jjS1H_bEUljE0_EEES10_S11_S12_S19_S1D_S1F_T6_T7_T9_mT8_S1H_bDpT10_ENKUlT_T0_E_clISt17integral_constantIbLb1EES1V_EEDaS1Q_S1R_EUlS1Q_E_NS1_11comp_targetILNS1_3genE9ELNS1_11target_archE1100ELNS1_3gpuE3ELNS1_3repE0EEENS1_30default_config_static_selectorELNS0_4arch9wavefront6targetE0EEEvS13_
		.amdhsa_group_segment_fixed_size 0
		.amdhsa_private_segment_fixed_size 0
		.amdhsa_kernarg_size 184
		.amdhsa_user_sgpr_count 2
		.amdhsa_user_sgpr_dispatch_ptr 0
		.amdhsa_user_sgpr_queue_ptr 0
		.amdhsa_user_sgpr_kernarg_segment_ptr 1
		.amdhsa_user_sgpr_dispatch_id 0
		.amdhsa_user_sgpr_kernarg_preload_length 0
		.amdhsa_user_sgpr_kernarg_preload_offset 0
		.amdhsa_user_sgpr_private_segment_size 0
		.amdhsa_wavefront_size32 1
		.amdhsa_uses_dynamic_stack 0
		.amdhsa_enable_private_segment 0
		.amdhsa_system_sgpr_workgroup_id_x 1
		.amdhsa_system_sgpr_workgroup_id_y 0
		.amdhsa_system_sgpr_workgroup_id_z 0
		.amdhsa_system_sgpr_workgroup_info 0
		.amdhsa_system_vgpr_workitem_id 0
		.amdhsa_next_free_vgpr 1
		.amdhsa_next_free_sgpr 1
		.amdhsa_named_barrier_count 0
		.amdhsa_reserve_vcc 0
		.amdhsa_float_round_mode_32 0
		.amdhsa_float_round_mode_16_64 0
		.amdhsa_float_denorm_mode_32 3
		.amdhsa_float_denorm_mode_16_64 3
		.amdhsa_fp16_overflow 0
		.amdhsa_memory_ordered 1
		.amdhsa_forward_progress 1
		.amdhsa_inst_pref_size 0
		.amdhsa_round_robin_scheduling 0
		.amdhsa_exception_fp_ieee_invalid_op 0
		.amdhsa_exception_fp_denorm_src 0
		.amdhsa_exception_fp_ieee_div_zero 0
		.amdhsa_exception_fp_ieee_overflow 0
		.amdhsa_exception_fp_ieee_underflow 0
		.amdhsa_exception_fp_ieee_inexact 0
		.amdhsa_exception_int_div_zero 0
	.end_amdhsa_kernel
	.section	.text._ZN7rocprim17ROCPRIM_400000_NS6detail17trampoline_kernelINS0_13select_configILj256ELj13ELNS0_17block_load_methodE3ELS4_3ELS4_3ELNS0_20block_scan_algorithmE0ELj4294967295EEENS1_25partition_config_selectorILNS1_17partition_subalgoE4EjNS0_10empty_typeEbEEZZNS1_14partition_implILS8_4ELb0ES6_15HIP_vector_typeIjLj2EENS0_17counting_iteratorIjlEEPS9_SG_NS0_5tupleIJPjSI_NS0_16reverse_iteratorISI_EEEEENSH_IJSG_SG_SG_EEES9_SI_JZNS1_25segmented_radix_sort_implINS0_14default_configELb0EPK6__halfPSP_PKlPlN2at6native12_GLOBAL__N_18offset_tEEE10hipError_tPvRmT1_PNSt15iterator_traitsIS13_E10value_typeET2_T3_PNS14_IS19_E10value_typeET4_jRbjT5_S1F_jjP12ihipStream_tbEUljE_ZNSN_ISO_Lb0ESR_SS_SU_SV_SZ_EES10_S11_S12_S13_S17_S18_S19_S1C_S1D_jS1E_jS1F_S1F_jjS1H_bEUljE0_EEES10_S11_S12_S19_S1D_S1F_T6_T7_T9_mT8_S1H_bDpT10_ENKUlT_T0_E_clISt17integral_constantIbLb1EES1V_EEDaS1Q_S1R_EUlS1Q_E_NS1_11comp_targetILNS1_3genE9ELNS1_11target_archE1100ELNS1_3gpuE3ELNS1_3repE0EEENS1_30default_config_static_selectorELNS0_4arch9wavefront6targetE0EEEvS13_,"axG",@progbits,_ZN7rocprim17ROCPRIM_400000_NS6detail17trampoline_kernelINS0_13select_configILj256ELj13ELNS0_17block_load_methodE3ELS4_3ELS4_3ELNS0_20block_scan_algorithmE0ELj4294967295EEENS1_25partition_config_selectorILNS1_17partition_subalgoE4EjNS0_10empty_typeEbEEZZNS1_14partition_implILS8_4ELb0ES6_15HIP_vector_typeIjLj2EENS0_17counting_iteratorIjlEEPS9_SG_NS0_5tupleIJPjSI_NS0_16reverse_iteratorISI_EEEEENSH_IJSG_SG_SG_EEES9_SI_JZNS1_25segmented_radix_sort_implINS0_14default_configELb0EPK6__halfPSP_PKlPlN2at6native12_GLOBAL__N_18offset_tEEE10hipError_tPvRmT1_PNSt15iterator_traitsIS13_E10value_typeET2_T3_PNS14_IS19_E10value_typeET4_jRbjT5_S1F_jjP12ihipStream_tbEUljE_ZNSN_ISO_Lb0ESR_SS_SU_SV_SZ_EES10_S11_S12_S13_S17_S18_S19_S1C_S1D_jS1E_jS1F_S1F_jjS1H_bEUljE0_EEES10_S11_S12_S19_S1D_S1F_T6_T7_T9_mT8_S1H_bDpT10_ENKUlT_T0_E_clISt17integral_constantIbLb1EES1V_EEDaS1Q_S1R_EUlS1Q_E_NS1_11comp_targetILNS1_3genE9ELNS1_11target_archE1100ELNS1_3gpuE3ELNS1_3repE0EEENS1_30default_config_static_selectorELNS0_4arch9wavefront6targetE0EEEvS13_,comdat
.Lfunc_end1782:
	.size	_ZN7rocprim17ROCPRIM_400000_NS6detail17trampoline_kernelINS0_13select_configILj256ELj13ELNS0_17block_load_methodE3ELS4_3ELS4_3ELNS0_20block_scan_algorithmE0ELj4294967295EEENS1_25partition_config_selectorILNS1_17partition_subalgoE4EjNS0_10empty_typeEbEEZZNS1_14partition_implILS8_4ELb0ES6_15HIP_vector_typeIjLj2EENS0_17counting_iteratorIjlEEPS9_SG_NS0_5tupleIJPjSI_NS0_16reverse_iteratorISI_EEEEENSH_IJSG_SG_SG_EEES9_SI_JZNS1_25segmented_radix_sort_implINS0_14default_configELb0EPK6__halfPSP_PKlPlN2at6native12_GLOBAL__N_18offset_tEEE10hipError_tPvRmT1_PNSt15iterator_traitsIS13_E10value_typeET2_T3_PNS14_IS19_E10value_typeET4_jRbjT5_S1F_jjP12ihipStream_tbEUljE_ZNSN_ISO_Lb0ESR_SS_SU_SV_SZ_EES10_S11_S12_S13_S17_S18_S19_S1C_S1D_jS1E_jS1F_S1F_jjS1H_bEUljE0_EEES10_S11_S12_S19_S1D_S1F_T6_T7_T9_mT8_S1H_bDpT10_ENKUlT_T0_E_clISt17integral_constantIbLb1EES1V_EEDaS1Q_S1R_EUlS1Q_E_NS1_11comp_targetILNS1_3genE9ELNS1_11target_archE1100ELNS1_3gpuE3ELNS1_3repE0EEENS1_30default_config_static_selectorELNS0_4arch9wavefront6targetE0EEEvS13_, .Lfunc_end1782-_ZN7rocprim17ROCPRIM_400000_NS6detail17trampoline_kernelINS0_13select_configILj256ELj13ELNS0_17block_load_methodE3ELS4_3ELS4_3ELNS0_20block_scan_algorithmE0ELj4294967295EEENS1_25partition_config_selectorILNS1_17partition_subalgoE4EjNS0_10empty_typeEbEEZZNS1_14partition_implILS8_4ELb0ES6_15HIP_vector_typeIjLj2EENS0_17counting_iteratorIjlEEPS9_SG_NS0_5tupleIJPjSI_NS0_16reverse_iteratorISI_EEEEENSH_IJSG_SG_SG_EEES9_SI_JZNS1_25segmented_radix_sort_implINS0_14default_configELb0EPK6__halfPSP_PKlPlN2at6native12_GLOBAL__N_18offset_tEEE10hipError_tPvRmT1_PNSt15iterator_traitsIS13_E10value_typeET2_T3_PNS14_IS19_E10value_typeET4_jRbjT5_S1F_jjP12ihipStream_tbEUljE_ZNSN_ISO_Lb0ESR_SS_SU_SV_SZ_EES10_S11_S12_S13_S17_S18_S19_S1C_S1D_jS1E_jS1F_S1F_jjS1H_bEUljE0_EEES10_S11_S12_S19_S1D_S1F_T6_T7_T9_mT8_S1H_bDpT10_ENKUlT_T0_E_clISt17integral_constantIbLb1EES1V_EEDaS1Q_S1R_EUlS1Q_E_NS1_11comp_targetILNS1_3genE9ELNS1_11target_archE1100ELNS1_3gpuE3ELNS1_3repE0EEENS1_30default_config_static_selectorELNS0_4arch9wavefront6targetE0EEEvS13_
                                        ; -- End function
	.set _ZN7rocprim17ROCPRIM_400000_NS6detail17trampoline_kernelINS0_13select_configILj256ELj13ELNS0_17block_load_methodE3ELS4_3ELS4_3ELNS0_20block_scan_algorithmE0ELj4294967295EEENS1_25partition_config_selectorILNS1_17partition_subalgoE4EjNS0_10empty_typeEbEEZZNS1_14partition_implILS8_4ELb0ES6_15HIP_vector_typeIjLj2EENS0_17counting_iteratorIjlEEPS9_SG_NS0_5tupleIJPjSI_NS0_16reverse_iteratorISI_EEEEENSH_IJSG_SG_SG_EEES9_SI_JZNS1_25segmented_radix_sort_implINS0_14default_configELb0EPK6__halfPSP_PKlPlN2at6native12_GLOBAL__N_18offset_tEEE10hipError_tPvRmT1_PNSt15iterator_traitsIS13_E10value_typeET2_T3_PNS14_IS19_E10value_typeET4_jRbjT5_S1F_jjP12ihipStream_tbEUljE_ZNSN_ISO_Lb0ESR_SS_SU_SV_SZ_EES10_S11_S12_S13_S17_S18_S19_S1C_S1D_jS1E_jS1F_S1F_jjS1H_bEUljE0_EEES10_S11_S12_S19_S1D_S1F_T6_T7_T9_mT8_S1H_bDpT10_ENKUlT_T0_E_clISt17integral_constantIbLb1EES1V_EEDaS1Q_S1R_EUlS1Q_E_NS1_11comp_targetILNS1_3genE9ELNS1_11target_archE1100ELNS1_3gpuE3ELNS1_3repE0EEENS1_30default_config_static_selectorELNS0_4arch9wavefront6targetE0EEEvS13_.num_vgpr, 0
	.set _ZN7rocprim17ROCPRIM_400000_NS6detail17trampoline_kernelINS0_13select_configILj256ELj13ELNS0_17block_load_methodE3ELS4_3ELS4_3ELNS0_20block_scan_algorithmE0ELj4294967295EEENS1_25partition_config_selectorILNS1_17partition_subalgoE4EjNS0_10empty_typeEbEEZZNS1_14partition_implILS8_4ELb0ES6_15HIP_vector_typeIjLj2EENS0_17counting_iteratorIjlEEPS9_SG_NS0_5tupleIJPjSI_NS0_16reverse_iteratorISI_EEEEENSH_IJSG_SG_SG_EEES9_SI_JZNS1_25segmented_radix_sort_implINS0_14default_configELb0EPK6__halfPSP_PKlPlN2at6native12_GLOBAL__N_18offset_tEEE10hipError_tPvRmT1_PNSt15iterator_traitsIS13_E10value_typeET2_T3_PNS14_IS19_E10value_typeET4_jRbjT5_S1F_jjP12ihipStream_tbEUljE_ZNSN_ISO_Lb0ESR_SS_SU_SV_SZ_EES10_S11_S12_S13_S17_S18_S19_S1C_S1D_jS1E_jS1F_S1F_jjS1H_bEUljE0_EEES10_S11_S12_S19_S1D_S1F_T6_T7_T9_mT8_S1H_bDpT10_ENKUlT_T0_E_clISt17integral_constantIbLb1EES1V_EEDaS1Q_S1R_EUlS1Q_E_NS1_11comp_targetILNS1_3genE9ELNS1_11target_archE1100ELNS1_3gpuE3ELNS1_3repE0EEENS1_30default_config_static_selectorELNS0_4arch9wavefront6targetE0EEEvS13_.num_agpr, 0
	.set _ZN7rocprim17ROCPRIM_400000_NS6detail17trampoline_kernelINS0_13select_configILj256ELj13ELNS0_17block_load_methodE3ELS4_3ELS4_3ELNS0_20block_scan_algorithmE0ELj4294967295EEENS1_25partition_config_selectorILNS1_17partition_subalgoE4EjNS0_10empty_typeEbEEZZNS1_14partition_implILS8_4ELb0ES6_15HIP_vector_typeIjLj2EENS0_17counting_iteratorIjlEEPS9_SG_NS0_5tupleIJPjSI_NS0_16reverse_iteratorISI_EEEEENSH_IJSG_SG_SG_EEES9_SI_JZNS1_25segmented_radix_sort_implINS0_14default_configELb0EPK6__halfPSP_PKlPlN2at6native12_GLOBAL__N_18offset_tEEE10hipError_tPvRmT1_PNSt15iterator_traitsIS13_E10value_typeET2_T3_PNS14_IS19_E10value_typeET4_jRbjT5_S1F_jjP12ihipStream_tbEUljE_ZNSN_ISO_Lb0ESR_SS_SU_SV_SZ_EES10_S11_S12_S13_S17_S18_S19_S1C_S1D_jS1E_jS1F_S1F_jjS1H_bEUljE0_EEES10_S11_S12_S19_S1D_S1F_T6_T7_T9_mT8_S1H_bDpT10_ENKUlT_T0_E_clISt17integral_constantIbLb1EES1V_EEDaS1Q_S1R_EUlS1Q_E_NS1_11comp_targetILNS1_3genE9ELNS1_11target_archE1100ELNS1_3gpuE3ELNS1_3repE0EEENS1_30default_config_static_selectorELNS0_4arch9wavefront6targetE0EEEvS13_.numbered_sgpr, 0
	.set _ZN7rocprim17ROCPRIM_400000_NS6detail17trampoline_kernelINS0_13select_configILj256ELj13ELNS0_17block_load_methodE3ELS4_3ELS4_3ELNS0_20block_scan_algorithmE0ELj4294967295EEENS1_25partition_config_selectorILNS1_17partition_subalgoE4EjNS0_10empty_typeEbEEZZNS1_14partition_implILS8_4ELb0ES6_15HIP_vector_typeIjLj2EENS0_17counting_iteratorIjlEEPS9_SG_NS0_5tupleIJPjSI_NS0_16reverse_iteratorISI_EEEEENSH_IJSG_SG_SG_EEES9_SI_JZNS1_25segmented_radix_sort_implINS0_14default_configELb0EPK6__halfPSP_PKlPlN2at6native12_GLOBAL__N_18offset_tEEE10hipError_tPvRmT1_PNSt15iterator_traitsIS13_E10value_typeET2_T3_PNS14_IS19_E10value_typeET4_jRbjT5_S1F_jjP12ihipStream_tbEUljE_ZNSN_ISO_Lb0ESR_SS_SU_SV_SZ_EES10_S11_S12_S13_S17_S18_S19_S1C_S1D_jS1E_jS1F_S1F_jjS1H_bEUljE0_EEES10_S11_S12_S19_S1D_S1F_T6_T7_T9_mT8_S1H_bDpT10_ENKUlT_T0_E_clISt17integral_constantIbLb1EES1V_EEDaS1Q_S1R_EUlS1Q_E_NS1_11comp_targetILNS1_3genE9ELNS1_11target_archE1100ELNS1_3gpuE3ELNS1_3repE0EEENS1_30default_config_static_selectorELNS0_4arch9wavefront6targetE0EEEvS13_.num_named_barrier, 0
	.set _ZN7rocprim17ROCPRIM_400000_NS6detail17trampoline_kernelINS0_13select_configILj256ELj13ELNS0_17block_load_methodE3ELS4_3ELS4_3ELNS0_20block_scan_algorithmE0ELj4294967295EEENS1_25partition_config_selectorILNS1_17partition_subalgoE4EjNS0_10empty_typeEbEEZZNS1_14partition_implILS8_4ELb0ES6_15HIP_vector_typeIjLj2EENS0_17counting_iteratorIjlEEPS9_SG_NS0_5tupleIJPjSI_NS0_16reverse_iteratorISI_EEEEENSH_IJSG_SG_SG_EEES9_SI_JZNS1_25segmented_radix_sort_implINS0_14default_configELb0EPK6__halfPSP_PKlPlN2at6native12_GLOBAL__N_18offset_tEEE10hipError_tPvRmT1_PNSt15iterator_traitsIS13_E10value_typeET2_T3_PNS14_IS19_E10value_typeET4_jRbjT5_S1F_jjP12ihipStream_tbEUljE_ZNSN_ISO_Lb0ESR_SS_SU_SV_SZ_EES10_S11_S12_S13_S17_S18_S19_S1C_S1D_jS1E_jS1F_S1F_jjS1H_bEUljE0_EEES10_S11_S12_S19_S1D_S1F_T6_T7_T9_mT8_S1H_bDpT10_ENKUlT_T0_E_clISt17integral_constantIbLb1EES1V_EEDaS1Q_S1R_EUlS1Q_E_NS1_11comp_targetILNS1_3genE9ELNS1_11target_archE1100ELNS1_3gpuE3ELNS1_3repE0EEENS1_30default_config_static_selectorELNS0_4arch9wavefront6targetE0EEEvS13_.private_seg_size, 0
	.set _ZN7rocprim17ROCPRIM_400000_NS6detail17trampoline_kernelINS0_13select_configILj256ELj13ELNS0_17block_load_methodE3ELS4_3ELS4_3ELNS0_20block_scan_algorithmE0ELj4294967295EEENS1_25partition_config_selectorILNS1_17partition_subalgoE4EjNS0_10empty_typeEbEEZZNS1_14partition_implILS8_4ELb0ES6_15HIP_vector_typeIjLj2EENS0_17counting_iteratorIjlEEPS9_SG_NS0_5tupleIJPjSI_NS0_16reverse_iteratorISI_EEEEENSH_IJSG_SG_SG_EEES9_SI_JZNS1_25segmented_radix_sort_implINS0_14default_configELb0EPK6__halfPSP_PKlPlN2at6native12_GLOBAL__N_18offset_tEEE10hipError_tPvRmT1_PNSt15iterator_traitsIS13_E10value_typeET2_T3_PNS14_IS19_E10value_typeET4_jRbjT5_S1F_jjP12ihipStream_tbEUljE_ZNSN_ISO_Lb0ESR_SS_SU_SV_SZ_EES10_S11_S12_S13_S17_S18_S19_S1C_S1D_jS1E_jS1F_S1F_jjS1H_bEUljE0_EEES10_S11_S12_S19_S1D_S1F_T6_T7_T9_mT8_S1H_bDpT10_ENKUlT_T0_E_clISt17integral_constantIbLb1EES1V_EEDaS1Q_S1R_EUlS1Q_E_NS1_11comp_targetILNS1_3genE9ELNS1_11target_archE1100ELNS1_3gpuE3ELNS1_3repE0EEENS1_30default_config_static_selectorELNS0_4arch9wavefront6targetE0EEEvS13_.uses_vcc, 0
	.set _ZN7rocprim17ROCPRIM_400000_NS6detail17trampoline_kernelINS0_13select_configILj256ELj13ELNS0_17block_load_methodE3ELS4_3ELS4_3ELNS0_20block_scan_algorithmE0ELj4294967295EEENS1_25partition_config_selectorILNS1_17partition_subalgoE4EjNS0_10empty_typeEbEEZZNS1_14partition_implILS8_4ELb0ES6_15HIP_vector_typeIjLj2EENS0_17counting_iteratorIjlEEPS9_SG_NS0_5tupleIJPjSI_NS0_16reverse_iteratorISI_EEEEENSH_IJSG_SG_SG_EEES9_SI_JZNS1_25segmented_radix_sort_implINS0_14default_configELb0EPK6__halfPSP_PKlPlN2at6native12_GLOBAL__N_18offset_tEEE10hipError_tPvRmT1_PNSt15iterator_traitsIS13_E10value_typeET2_T3_PNS14_IS19_E10value_typeET4_jRbjT5_S1F_jjP12ihipStream_tbEUljE_ZNSN_ISO_Lb0ESR_SS_SU_SV_SZ_EES10_S11_S12_S13_S17_S18_S19_S1C_S1D_jS1E_jS1F_S1F_jjS1H_bEUljE0_EEES10_S11_S12_S19_S1D_S1F_T6_T7_T9_mT8_S1H_bDpT10_ENKUlT_T0_E_clISt17integral_constantIbLb1EES1V_EEDaS1Q_S1R_EUlS1Q_E_NS1_11comp_targetILNS1_3genE9ELNS1_11target_archE1100ELNS1_3gpuE3ELNS1_3repE0EEENS1_30default_config_static_selectorELNS0_4arch9wavefront6targetE0EEEvS13_.uses_flat_scratch, 0
	.set _ZN7rocprim17ROCPRIM_400000_NS6detail17trampoline_kernelINS0_13select_configILj256ELj13ELNS0_17block_load_methodE3ELS4_3ELS4_3ELNS0_20block_scan_algorithmE0ELj4294967295EEENS1_25partition_config_selectorILNS1_17partition_subalgoE4EjNS0_10empty_typeEbEEZZNS1_14partition_implILS8_4ELb0ES6_15HIP_vector_typeIjLj2EENS0_17counting_iteratorIjlEEPS9_SG_NS0_5tupleIJPjSI_NS0_16reverse_iteratorISI_EEEEENSH_IJSG_SG_SG_EEES9_SI_JZNS1_25segmented_radix_sort_implINS0_14default_configELb0EPK6__halfPSP_PKlPlN2at6native12_GLOBAL__N_18offset_tEEE10hipError_tPvRmT1_PNSt15iterator_traitsIS13_E10value_typeET2_T3_PNS14_IS19_E10value_typeET4_jRbjT5_S1F_jjP12ihipStream_tbEUljE_ZNSN_ISO_Lb0ESR_SS_SU_SV_SZ_EES10_S11_S12_S13_S17_S18_S19_S1C_S1D_jS1E_jS1F_S1F_jjS1H_bEUljE0_EEES10_S11_S12_S19_S1D_S1F_T6_T7_T9_mT8_S1H_bDpT10_ENKUlT_T0_E_clISt17integral_constantIbLb1EES1V_EEDaS1Q_S1R_EUlS1Q_E_NS1_11comp_targetILNS1_3genE9ELNS1_11target_archE1100ELNS1_3gpuE3ELNS1_3repE0EEENS1_30default_config_static_selectorELNS0_4arch9wavefront6targetE0EEEvS13_.has_dyn_sized_stack, 0
	.set _ZN7rocprim17ROCPRIM_400000_NS6detail17trampoline_kernelINS0_13select_configILj256ELj13ELNS0_17block_load_methodE3ELS4_3ELS4_3ELNS0_20block_scan_algorithmE0ELj4294967295EEENS1_25partition_config_selectorILNS1_17partition_subalgoE4EjNS0_10empty_typeEbEEZZNS1_14partition_implILS8_4ELb0ES6_15HIP_vector_typeIjLj2EENS0_17counting_iteratorIjlEEPS9_SG_NS0_5tupleIJPjSI_NS0_16reverse_iteratorISI_EEEEENSH_IJSG_SG_SG_EEES9_SI_JZNS1_25segmented_radix_sort_implINS0_14default_configELb0EPK6__halfPSP_PKlPlN2at6native12_GLOBAL__N_18offset_tEEE10hipError_tPvRmT1_PNSt15iterator_traitsIS13_E10value_typeET2_T3_PNS14_IS19_E10value_typeET4_jRbjT5_S1F_jjP12ihipStream_tbEUljE_ZNSN_ISO_Lb0ESR_SS_SU_SV_SZ_EES10_S11_S12_S13_S17_S18_S19_S1C_S1D_jS1E_jS1F_S1F_jjS1H_bEUljE0_EEES10_S11_S12_S19_S1D_S1F_T6_T7_T9_mT8_S1H_bDpT10_ENKUlT_T0_E_clISt17integral_constantIbLb1EES1V_EEDaS1Q_S1R_EUlS1Q_E_NS1_11comp_targetILNS1_3genE9ELNS1_11target_archE1100ELNS1_3gpuE3ELNS1_3repE0EEENS1_30default_config_static_selectorELNS0_4arch9wavefront6targetE0EEEvS13_.has_recursion, 0
	.set _ZN7rocprim17ROCPRIM_400000_NS6detail17trampoline_kernelINS0_13select_configILj256ELj13ELNS0_17block_load_methodE3ELS4_3ELS4_3ELNS0_20block_scan_algorithmE0ELj4294967295EEENS1_25partition_config_selectorILNS1_17partition_subalgoE4EjNS0_10empty_typeEbEEZZNS1_14partition_implILS8_4ELb0ES6_15HIP_vector_typeIjLj2EENS0_17counting_iteratorIjlEEPS9_SG_NS0_5tupleIJPjSI_NS0_16reverse_iteratorISI_EEEEENSH_IJSG_SG_SG_EEES9_SI_JZNS1_25segmented_radix_sort_implINS0_14default_configELb0EPK6__halfPSP_PKlPlN2at6native12_GLOBAL__N_18offset_tEEE10hipError_tPvRmT1_PNSt15iterator_traitsIS13_E10value_typeET2_T3_PNS14_IS19_E10value_typeET4_jRbjT5_S1F_jjP12ihipStream_tbEUljE_ZNSN_ISO_Lb0ESR_SS_SU_SV_SZ_EES10_S11_S12_S13_S17_S18_S19_S1C_S1D_jS1E_jS1F_S1F_jjS1H_bEUljE0_EEES10_S11_S12_S19_S1D_S1F_T6_T7_T9_mT8_S1H_bDpT10_ENKUlT_T0_E_clISt17integral_constantIbLb1EES1V_EEDaS1Q_S1R_EUlS1Q_E_NS1_11comp_targetILNS1_3genE9ELNS1_11target_archE1100ELNS1_3gpuE3ELNS1_3repE0EEENS1_30default_config_static_selectorELNS0_4arch9wavefront6targetE0EEEvS13_.has_indirect_call, 0
	.section	.AMDGPU.csdata,"",@progbits
; Kernel info:
; codeLenInByte = 0
; TotalNumSgprs: 0
; NumVgprs: 0
; ScratchSize: 0
; MemoryBound: 0
; FloatMode: 240
; IeeeMode: 1
; LDSByteSize: 0 bytes/workgroup (compile time only)
; SGPRBlocks: 0
; VGPRBlocks: 0
; NumSGPRsForWavesPerEU: 1
; NumVGPRsForWavesPerEU: 1
; NamedBarCnt: 0
; Occupancy: 16
; WaveLimiterHint : 0
; COMPUTE_PGM_RSRC2:SCRATCH_EN: 0
; COMPUTE_PGM_RSRC2:USER_SGPR: 2
; COMPUTE_PGM_RSRC2:TRAP_HANDLER: 0
; COMPUTE_PGM_RSRC2:TGID_X_EN: 1
; COMPUTE_PGM_RSRC2:TGID_Y_EN: 0
; COMPUTE_PGM_RSRC2:TGID_Z_EN: 0
; COMPUTE_PGM_RSRC2:TIDIG_COMP_CNT: 0
	.section	.text._ZN7rocprim17ROCPRIM_400000_NS6detail17trampoline_kernelINS0_13select_configILj256ELj13ELNS0_17block_load_methodE3ELS4_3ELS4_3ELNS0_20block_scan_algorithmE0ELj4294967295EEENS1_25partition_config_selectorILNS1_17partition_subalgoE4EjNS0_10empty_typeEbEEZZNS1_14partition_implILS8_4ELb0ES6_15HIP_vector_typeIjLj2EENS0_17counting_iteratorIjlEEPS9_SG_NS0_5tupleIJPjSI_NS0_16reverse_iteratorISI_EEEEENSH_IJSG_SG_SG_EEES9_SI_JZNS1_25segmented_radix_sort_implINS0_14default_configELb0EPK6__halfPSP_PKlPlN2at6native12_GLOBAL__N_18offset_tEEE10hipError_tPvRmT1_PNSt15iterator_traitsIS13_E10value_typeET2_T3_PNS14_IS19_E10value_typeET4_jRbjT5_S1F_jjP12ihipStream_tbEUljE_ZNSN_ISO_Lb0ESR_SS_SU_SV_SZ_EES10_S11_S12_S13_S17_S18_S19_S1C_S1D_jS1E_jS1F_S1F_jjS1H_bEUljE0_EEES10_S11_S12_S19_S1D_S1F_T6_T7_T9_mT8_S1H_bDpT10_ENKUlT_T0_E_clISt17integral_constantIbLb1EES1V_EEDaS1Q_S1R_EUlS1Q_E_NS1_11comp_targetILNS1_3genE8ELNS1_11target_archE1030ELNS1_3gpuE2ELNS1_3repE0EEENS1_30default_config_static_selectorELNS0_4arch9wavefront6targetE0EEEvS13_,"axG",@progbits,_ZN7rocprim17ROCPRIM_400000_NS6detail17trampoline_kernelINS0_13select_configILj256ELj13ELNS0_17block_load_methodE3ELS4_3ELS4_3ELNS0_20block_scan_algorithmE0ELj4294967295EEENS1_25partition_config_selectorILNS1_17partition_subalgoE4EjNS0_10empty_typeEbEEZZNS1_14partition_implILS8_4ELb0ES6_15HIP_vector_typeIjLj2EENS0_17counting_iteratorIjlEEPS9_SG_NS0_5tupleIJPjSI_NS0_16reverse_iteratorISI_EEEEENSH_IJSG_SG_SG_EEES9_SI_JZNS1_25segmented_radix_sort_implINS0_14default_configELb0EPK6__halfPSP_PKlPlN2at6native12_GLOBAL__N_18offset_tEEE10hipError_tPvRmT1_PNSt15iterator_traitsIS13_E10value_typeET2_T3_PNS14_IS19_E10value_typeET4_jRbjT5_S1F_jjP12ihipStream_tbEUljE_ZNSN_ISO_Lb0ESR_SS_SU_SV_SZ_EES10_S11_S12_S13_S17_S18_S19_S1C_S1D_jS1E_jS1F_S1F_jjS1H_bEUljE0_EEES10_S11_S12_S19_S1D_S1F_T6_T7_T9_mT8_S1H_bDpT10_ENKUlT_T0_E_clISt17integral_constantIbLb1EES1V_EEDaS1Q_S1R_EUlS1Q_E_NS1_11comp_targetILNS1_3genE8ELNS1_11target_archE1030ELNS1_3gpuE2ELNS1_3repE0EEENS1_30default_config_static_selectorELNS0_4arch9wavefront6targetE0EEEvS13_,comdat
	.globl	_ZN7rocprim17ROCPRIM_400000_NS6detail17trampoline_kernelINS0_13select_configILj256ELj13ELNS0_17block_load_methodE3ELS4_3ELS4_3ELNS0_20block_scan_algorithmE0ELj4294967295EEENS1_25partition_config_selectorILNS1_17partition_subalgoE4EjNS0_10empty_typeEbEEZZNS1_14partition_implILS8_4ELb0ES6_15HIP_vector_typeIjLj2EENS0_17counting_iteratorIjlEEPS9_SG_NS0_5tupleIJPjSI_NS0_16reverse_iteratorISI_EEEEENSH_IJSG_SG_SG_EEES9_SI_JZNS1_25segmented_radix_sort_implINS0_14default_configELb0EPK6__halfPSP_PKlPlN2at6native12_GLOBAL__N_18offset_tEEE10hipError_tPvRmT1_PNSt15iterator_traitsIS13_E10value_typeET2_T3_PNS14_IS19_E10value_typeET4_jRbjT5_S1F_jjP12ihipStream_tbEUljE_ZNSN_ISO_Lb0ESR_SS_SU_SV_SZ_EES10_S11_S12_S13_S17_S18_S19_S1C_S1D_jS1E_jS1F_S1F_jjS1H_bEUljE0_EEES10_S11_S12_S19_S1D_S1F_T6_T7_T9_mT8_S1H_bDpT10_ENKUlT_T0_E_clISt17integral_constantIbLb1EES1V_EEDaS1Q_S1R_EUlS1Q_E_NS1_11comp_targetILNS1_3genE8ELNS1_11target_archE1030ELNS1_3gpuE2ELNS1_3repE0EEENS1_30default_config_static_selectorELNS0_4arch9wavefront6targetE0EEEvS13_ ; -- Begin function _ZN7rocprim17ROCPRIM_400000_NS6detail17trampoline_kernelINS0_13select_configILj256ELj13ELNS0_17block_load_methodE3ELS4_3ELS4_3ELNS0_20block_scan_algorithmE0ELj4294967295EEENS1_25partition_config_selectorILNS1_17partition_subalgoE4EjNS0_10empty_typeEbEEZZNS1_14partition_implILS8_4ELb0ES6_15HIP_vector_typeIjLj2EENS0_17counting_iteratorIjlEEPS9_SG_NS0_5tupleIJPjSI_NS0_16reverse_iteratorISI_EEEEENSH_IJSG_SG_SG_EEES9_SI_JZNS1_25segmented_radix_sort_implINS0_14default_configELb0EPK6__halfPSP_PKlPlN2at6native12_GLOBAL__N_18offset_tEEE10hipError_tPvRmT1_PNSt15iterator_traitsIS13_E10value_typeET2_T3_PNS14_IS19_E10value_typeET4_jRbjT5_S1F_jjP12ihipStream_tbEUljE_ZNSN_ISO_Lb0ESR_SS_SU_SV_SZ_EES10_S11_S12_S13_S17_S18_S19_S1C_S1D_jS1E_jS1F_S1F_jjS1H_bEUljE0_EEES10_S11_S12_S19_S1D_S1F_T6_T7_T9_mT8_S1H_bDpT10_ENKUlT_T0_E_clISt17integral_constantIbLb1EES1V_EEDaS1Q_S1R_EUlS1Q_E_NS1_11comp_targetILNS1_3genE8ELNS1_11target_archE1030ELNS1_3gpuE2ELNS1_3repE0EEENS1_30default_config_static_selectorELNS0_4arch9wavefront6targetE0EEEvS13_
	.p2align	8
	.type	_ZN7rocprim17ROCPRIM_400000_NS6detail17trampoline_kernelINS0_13select_configILj256ELj13ELNS0_17block_load_methodE3ELS4_3ELS4_3ELNS0_20block_scan_algorithmE0ELj4294967295EEENS1_25partition_config_selectorILNS1_17partition_subalgoE4EjNS0_10empty_typeEbEEZZNS1_14partition_implILS8_4ELb0ES6_15HIP_vector_typeIjLj2EENS0_17counting_iteratorIjlEEPS9_SG_NS0_5tupleIJPjSI_NS0_16reverse_iteratorISI_EEEEENSH_IJSG_SG_SG_EEES9_SI_JZNS1_25segmented_radix_sort_implINS0_14default_configELb0EPK6__halfPSP_PKlPlN2at6native12_GLOBAL__N_18offset_tEEE10hipError_tPvRmT1_PNSt15iterator_traitsIS13_E10value_typeET2_T3_PNS14_IS19_E10value_typeET4_jRbjT5_S1F_jjP12ihipStream_tbEUljE_ZNSN_ISO_Lb0ESR_SS_SU_SV_SZ_EES10_S11_S12_S13_S17_S18_S19_S1C_S1D_jS1E_jS1F_S1F_jjS1H_bEUljE0_EEES10_S11_S12_S19_S1D_S1F_T6_T7_T9_mT8_S1H_bDpT10_ENKUlT_T0_E_clISt17integral_constantIbLb1EES1V_EEDaS1Q_S1R_EUlS1Q_E_NS1_11comp_targetILNS1_3genE8ELNS1_11target_archE1030ELNS1_3gpuE2ELNS1_3repE0EEENS1_30default_config_static_selectorELNS0_4arch9wavefront6targetE0EEEvS13_,@function
_ZN7rocprim17ROCPRIM_400000_NS6detail17trampoline_kernelINS0_13select_configILj256ELj13ELNS0_17block_load_methodE3ELS4_3ELS4_3ELNS0_20block_scan_algorithmE0ELj4294967295EEENS1_25partition_config_selectorILNS1_17partition_subalgoE4EjNS0_10empty_typeEbEEZZNS1_14partition_implILS8_4ELb0ES6_15HIP_vector_typeIjLj2EENS0_17counting_iteratorIjlEEPS9_SG_NS0_5tupleIJPjSI_NS0_16reverse_iteratorISI_EEEEENSH_IJSG_SG_SG_EEES9_SI_JZNS1_25segmented_radix_sort_implINS0_14default_configELb0EPK6__halfPSP_PKlPlN2at6native12_GLOBAL__N_18offset_tEEE10hipError_tPvRmT1_PNSt15iterator_traitsIS13_E10value_typeET2_T3_PNS14_IS19_E10value_typeET4_jRbjT5_S1F_jjP12ihipStream_tbEUljE_ZNSN_ISO_Lb0ESR_SS_SU_SV_SZ_EES10_S11_S12_S13_S17_S18_S19_S1C_S1D_jS1E_jS1F_S1F_jjS1H_bEUljE0_EEES10_S11_S12_S19_S1D_S1F_T6_T7_T9_mT8_S1H_bDpT10_ENKUlT_T0_E_clISt17integral_constantIbLb1EES1V_EEDaS1Q_S1R_EUlS1Q_E_NS1_11comp_targetILNS1_3genE8ELNS1_11target_archE1030ELNS1_3gpuE2ELNS1_3repE0EEENS1_30default_config_static_selectorELNS0_4arch9wavefront6targetE0EEEvS13_: ; @_ZN7rocprim17ROCPRIM_400000_NS6detail17trampoline_kernelINS0_13select_configILj256ELj13ELNS0_17block_load_methodE3ELS4_3ELS4_3ELNS0_20block_scan_algorithmE0ELj4294967295EEENS1_25partition_config_selectorILNS1_17partition_subalgoE4EjNS0_10empty_typeEbEEZZNS1_14partition_implILS8_4ELb0ES6_15HIP_vector_typeIjLj2EENS0_17counting_iteratorIjlEEPS9_SG_NS0_5tupleIJPjSI_NS0_16reverse_iteratorISI_EEEEENSH_IJSG_SG_SG_EEES9_SI_JZNS1_25segmented_radix_sort_implINS0_14default_configELb0EPK6__halfPSP_PKlPlN2at6native12_GLOBAL__N_18offset_tEEE10hipError_tPvRmT1_PNSt15iterator_traitsIS13_E10value_typeET2_T3_PNS14_IS19_E10value_typeET4_jRbjT5_S1F_jjP12ihipStream_tbEUljE_ZNSN_ISO_Lb0ESR_SS_SU_SV_SZ_EES10_S11_S12_S13_S17_S18_S19_S1C_S1D_jS1E_jS1F_S1F_jjS1H_bEUljE0_EEES10_S11_S12_S19_S1D_S1F_T6_T7_T9_mT8_S1H_bDpT10_ENKUlT_T0_E_clISt17integral_constantIbLb1EES1V_EEDaS1Q_S1R_EUlS1Q_E_NS1_11comp_targetILNS1_3genE8ELNS1_11target_archE1030ELNS1_3gpuE2ELNS1_3repE0EEENS1_30default_config_static_selectorELNS0_4arch9wavefront6targetE0EEEvS13_
; %bb.0:
	.section	.rodata,"a",@progbits
	.p2align	6, 0x0
	.amdhsa_kernel _ZN7rocprim17ROCPRIM_400000_NS6detail17trampoline_kernelINS0_13select_configILj256ELj13ELNS0_17block_load_methodE3ELS4_3ELS4_3ELNS0_20block_scan_algorithmE0ELj4294967295EEENS1_25partition_config_selectorILNS1_17partition_subalgoE4EjNS0_10empty_typeEbEEZZNS1_14partition_implILS8_4ELb0ES6_15HIP_vector_typeIjLj2EENS0_17counting_iteratorIjlEEPS9_SG_NS0_5tupleIJPjSI_NS0_16reverse_iteratorISI_EEEEENSH_IJSG_SG_SG_EEES9_SI_JZNS1_25segmented_radix_sort_implINS0_14default_configELb0EPK6__halfPSP_PKlPlN2at6native12_GLOBAL__N_18offset_tEEE10hipError_tPvRmT1_PNSt15iterator_traitsIS13_E10value_typeET2_T3_PNS14_IS19_E10value_typeET4_jRbjT5_S1F_jjP12ihipStream_tbEUljE_ZNSN_ISO_Lb0ESR_SS_SU_SV_SZ_EES10_S11_S12_S13_S17_S18_S19_S1C_S1D_jS1E_jS1F_S1F_jjS1H_bEUljE0_EEES10_S11_S12_S19_S1D_S1F_T6_T7_T9_mT8_S1H_bDpT10_ENKUlT_T0_E_clISt17integral_constantIbLb1EES1V_EEDaS1Q_S1R_EUlS1Q_E_NS1_11comp_targetILNS1_3genE8ELNS1_11target_archE1030ELNS1_3gpuE2ELNS1_3repE0EEENS1_30default_config_static_selectorELNS0_4arch9wavefront6targetE0EEEvS13_
		.amdhsa_group_segment_fixed_size 0
		.amdhsa_private_segment_fixed_size 0
		.amdhsa_kernarg_size 184
		.amdhsa_user_sgpr_count 2
		.amdhsa_user_sgpr_dispatch_ptr 0
		.amdhsa_user_sgpr_queue_ptr 0
		.amdhsa_user_sgpr_kernarg_segment_ptr 1
		.amdhsa_user_sgpr_dispatch_id 0
		.amdhsa_user_sgpr_kernarg_preload_length 0
		.amdhsa_user_sgpr_kernarg_preload_offset 0
		.amdhsa_user_sgpr_private_segment_size 0
		.amdhsa_wavefront_size32 1
		.amdhsa_uses_dynamic_stack 0
		.amdhsa_enable_private_segment 0
		.amdhsa_system_sgpr_workgroup_id_x 1
		.amdhsa_system_sgpr_workgroup_id_y 0
		.amdhsa_system_sgpr_workgroup_id_z 0
		.amdhsa_system_sgpr_workgroup_info 0
		.amdhsa_system_vgpr_workitem_id 0
		.amdhsa_next_free_vgpr 1
		.amdhsa_next_free_sgpr 1
		.amdhsa_named_barrier_count 0
		.amdhsa_reserve_vcc 0
		.amdhsa_float_round_mode_32 0
		.amdhsa_float_round_mode_16_64 0
		.amdhsa_float_denorm_mode_32 3
		.amdhsa_float_denorm_mode_16_64 3
		.amdhsa_fp16_overflow 0
		.amdhsa_memory_ordered 1
		.amdhsa_forward_progress 1
		.amdhsa_inst_pref_size 0
		.amdhsa_round_robin_scheduling 0
		.amdhsa_exception_fp_ieee_invalid_op 0
		.amdhsa_exception_fp_denorm_src 0
		.amdhsa_exception_fp_ieee_div_zero 0
		.amdhsa_exception_fp_ieee_overflow 0
		.amdhsa_exception_fp_ieee_underflow 0
		.amdhsa_exception_fp_ieee_inexact 0
		.amdhsa_exception_int_div_zero 0
	.end_amdhsa_kernel
	.section	.text._ZN7rocprim17ROCPRIM_400000_NS6detail17trampoline_kernelINS0_13select_configILj256ELj13ELNS0_17block_load_methodE3ELS4_3ELS4_3ELNS0_20block_scan_algorithmE0ELj4294967295EEENS1_25partition_config_selectorILNS1_17partition_subalgoE4EjNS0_10empty_typeEbEEZZNS1_14partition_implILS8_4ELb0ES6_15HIP_vector_typeIjLj2EENS0_17counting_iteratorIjlEEPS9_SG_NS0_5tupleIJPjSI_NS0_16reverse_iteratorISI_EEEEENSH_IJSG_SG_SG_EEES9_SI_JZNS1_25segmented_radix_sort_implINS0_14default_configELb0EPK6__halfPSP_PKlPlN2at6native12_GLOBAL__N_18offset_tEEE10hipError_tPvRmT1_PNSt15iterator_traitsIS13_E10value_typeET2_T3_PNS14_IS19_E10value_typeET4_jRbjT5_S1F_jjP12ihipStream_tbEUljE_ZNSN_ISO_Lb0ESR_SS_SU_SV_SZ_EES10_S11_S12_S13_S17_S18_S19_S1C_S1D_jS1E_jS1F_S1F_jjS1H_bEUljE0_EEES10_S11_S12_S19_S1D_S1F_T6_T7_T9_mT8_S1H_bDpT10_ENKUlT_T0_E_clISt17integral_constantIbLb1EES1V_EEDaS1Q_S1R_EUlS1Q_E_NS1_11comp_targetILNS1_3genE8ELNS1_11target_archE1030ELNS1_3gpuE2ELNS1_3repE0EEENS1_30default_config_static_selectorELNS0_4arch9wavefront6targetE0EEEvS13_,"axG",@progbits,_ZN7rocprim17ROCPRIM_400000_NS6detail17trampoline_kernelINS0_13select_configILj256ELj13ELNS0_17block_load_methodE3ELS4_3ELS4_3ELNS0_20block_scan_algorithmE0ELj4294967295EEENS1_25partition_config_selectorILNS1_17partition_subalgoE4EjNS0_10empty_typeEbEEZZNS1_14partition_implILS8_4ELb0ES6_15HIP_vector_typeIjLj2EENS0_17counting_iteratorIjlEEPS9_SG_NS0_5tupleIJPjSI_NS0_16reverse_iteratorISI_EEEEENSH_IJSG_SG_SG_EEES9_SI_JZNS1_25segmented_radix_sort_implINS0_14default_configELb0EPK6__halfPSP_PKlPlN2at6native12_GLOBAL__N_18offset_tEEE10hipError_tPvRmT1_PNSt15iterator_traitsIS13_E10value_typeET2_T3_PNS14_IS19_E10value_typeET4_jRbjT5_S1F_jjP12ihipStream_tbEUljE_ZNSN_ISO_Lb0ESR_SS_SU_SV_SZ_EES10_S11_S12_S13_S17_S18_S19_S1C_S1D_jS1E_jS1F_S1F_jjS1H_bEUljE0_EEES10_S11_S12_S19_S1D_S1F_T6_T7_T9_mT8_S1H_bDpT10_ENKUlT_T0_E_clISt17integral_constantIbLb1EES1V_EEDaS1Q_S1R_EUlS1Q_E_NS1_11comp_targetILNS1_3genE8ELNS1_11target_archE1030ELNS1_3gpuE2ELNS1_3repE0EEENS1_30default_config_static_selectorELNS0_4arch9wavefront6targetE0EEEvS13_,comdat
.Lfunc_end1783:
	.size	_ZN7rocprim17ROCPRIM_400000_NS6detail17trampoline_kernelINS0_13select_configILj256ELj13ELNS0_17block_load_methodE3ELS4_3ELS4_3ELNS0_20block_scan_algorithmE0ELj4294967295EEENS1_25partition_config_selectorILNS1_17partition_subalgoE4EjNS0_10empty_typeEbEEZZNS1_14partition_implILS8_4ELb0ES6_15HIP_vector_typeIjLj2EENS0_17counting_iteratorIjlEEPS9_SG_NS0_5tupleIJPjSI_NS0_16reverse_iteratorISI_EEEEENSH_IJSG_SG_SG_EEES9_SI_JZNS1_25segmented_radix_sort_implINS0_14default_configELb0EPK6__halfPSP_PKlPlN2at6native12_GLOBAL__N_18offset_tEEE10hipError_tPvRmT1_PNSt15iterator_traitsIS13_E10value_typeET2_T3_PNS14_IS19_E10value_typeET4_jRbjT5_S1F_jjP12ihipStream_tbEUljE_ZNSN_ISO_Lb0ESR_SS_SU_SV_SZ_EES10_S11_S12_S13_S17_S18_S19_S1C_S1D_jS1E_jS1F_S1F_jjS1H_bEUljE0_EEES10_S11_S12_S19_S1D_S1F_T6_T7_T9_mT8_S1H_bDpT10_ENKUlT_T0_E_clISt17integral_constantIbLb1EES1V_EEDaS1Q_S1R_EUlS1Q_E_NS1_11comp_targetILNS1_3genE8ELNS1_11target_archE1030ELNS1_3gpuE2ELNS1_3repE0EEENS1_30default_config_static_selectorELNS0_4arch9wavefront6targetE0EEEvS13_, .Lfunc_end1783-_ZN7rocprim17ROCPRIM_400000_NS6detail17trampoline_kernelINS0_13select_configILj256ELj13ELNS0_17block_load_methodE3ELS4_3ELS4_3ELNS0_20block_scan_algorithmE0ELj4294967295EEENS1_25partition_config_selectorILNS1_17partition_subalgoE4EjNS0_10empty_typeEbEEZZNS1_14partition_implILS8_4ELb0ES6_15HIP_vector_typeIjLj2EENS0_17counting_iteratorIjlEEPS9_SG_NS0_5tupleIJPjSI_NS0_16reverse_iteratorISI_EEEEENSH_IJSG_SG_SG_EEES9_SI_JZNS1_25segmented_radix_sort_implINS0_14default_configELb0EPK6__halfPSP_PKlPlN2at6native12_GLOBAL__N_18offset_tEEE10hipError_tPvRmT1_PNSt15iterator_traitsIS13_E10value_typeET2_T3_PNS14_IS19_E10value_typeET4_jRbjT5_S1F_jjP12ihipStream_tbEUljE_ZNSN_ISO_Lb0ESR_SS_SU_SV_SZ_EES10_S11_S12_S13_S17_S18_S19_S1C_S1D_jS1E_jS1F_S1F_jjS1H_bEUljE0_EEES10_S11_S12_S19_S1D_S1F_T6_T7_T9_mT8_S1H_bDpT10_ENKUlT_T0_E_clISt17integral_constantIbLb1EES1V_EEDaS1Q_S1R_EUlS1Q_E_NS1_11comp_targetILNS1_3genE8ELNS1_11target_archE1030ELNS1_3gpuE2ELNS1_3repE0EEENS1_30default_config_static_selectorELNS0_4arch9wavefront6targetE0EEEvS13_
                                        ; -- End function
	.set _ZN7rocprim17ROCPRIM_400000_NS6detail17trampoline_kernelINS0_13select_configILj256ELj13ELNS0_17block_load_methodE3ELS4_3ELS4_3ELNS0_20block_scan_algorithmE0ELj4294967295EEENS1_25partition_config_selectorILNS1_17partition_subalgoE4EjNS0_10empty_typeEbEEZZNS1_14partition_implILS8_4ELb0ES6_15HIP_vector_typeIjLj2EENS0_17counting_iteratorIjlEEPS9_SG_NS0_5tupleIJPjSI_NS0_16reverse_iteratorISI_EEEEENSH_IJSG_SG_SG_EEES9_SI_JZNS1_25segmented_radix_sort_implINS0_14default_configELb0EPK6__halfPSP_PKlPlN2at6native12_GLOBAL__N_18offset_tEEE10hipError_tPvRmT1_PNSt15iterator_traitsIS13_E10value_typeET2_T3_PNS14_IS19_E10value_typeET4_jRbjT5_S1F_jjP12ihipStream_tbEUljE_ZNSN_ISO_Lb0ESR_SS_SU_SV_SZ_EES10_S11_S12_S13_S17_S18_S19_S1C_S1D_jS1E_jS1F_S1F_jjS1H_bEUljE0_EEES10_S11_S12_S19_S1D_S1F_T6_T7_T9_mT8_S1H_bDpT10_ENKUlT_T0_E_clISt17integral_constantIbLb1EES1V_EEDaS1Q_S1R_EUlS1Q_E_NS1_11comp_targetILNS1_3genE8ELNS1_11target_archE1030ELNS1_3gpuE2ELNS1_3repE0EEENS1_30default_config_static_selectorELNS0_4arch9wavefront6targetE0EEEvS13_.num_vgpr, 0
	.set _ZN7rocprim17ROCPRIM_400000_NS6detail17trampoline_kernelINS0_13select_configILj256ELj13ELNS0_17block_load_methodE3ELS4_3ELS4_3ELNS0_20block_scan_algorithmE0ELj4294967295EEENS1_25partition_config_selectorILNS1_17partition_subalgoE4EjNS0_10empty_typeEbEEZZNS1_14partition_implILS8_4ELb0ES6_15HIP_vector_typeIjLj2EENS0_17counting_iteratorIjlEEPS9_SG_NS0_5tupleIJPjSI_NS0_16reverse_iteratorISI_EEEEENSH_IJSG_SG_SG_EEES9_SI_JZNS1_25segmented_radix_sort_implINS0_14default_configELb0EPK6__halfPSP_PKlPlN2at6native12_GLOBAL__N_18offset_tEEE10hipError_tPvRmT1_PNSt15iterator_traitsIS13_E10value_typeET2_T3_PNS14_IS19_E10value_typeET4_jRbjT5_S1F_jjP12ihipStream_tbEUljE_ZNSN_ISO_Lb0ESR_SS_SU_SV_SZ_EES10_S11_S12_S13_S17_S18_S19_S1C_S1D_jS1E_jS1F_S1F_jjS1H_bEUljE0_EEES10_S11_S12_S19_S1D_S1F_T6_T7_T9_mT8_S1H_bDpT10_ENKUlT_T0_E_clISt17integral_constantIbLb1EES1V_EEDaS1Q_S1R_EUlS1Q_E_NS1_11comp_targetILNS1_3genE8ELNS1_11target_archE1030ELNS1_3gpuE2ELNS1_3repE0EEENS1_30default_config_static_selectorELNS0_4arch9wavefront6targetE0EEEvS13_.num_agpr, 0
	.set _ZN7rocprim17ROCPRIM_400000_NS6detail17trampoline_kernelINS0_13select_configILj256ELj13ELNS0_17block_load_methodE3ELS4_3ELS4_3ELNS0_20block_scan_algorithmE0ELj4294967295EEENS1_25partition_config_selectorILNS1_17partition_subalgoE4EjNS0_10empty_typeEbEEZZNS1_14partition_implILS8_4ELb0ES6_15HIP_vector_typeIjLj2EENS0_17counting_iteratorIjlEEPS9_SG_NS0_5tupleIJPjSI_NS0_16reverse_iteratorISI_EEEEENSH_IJSG_SG_SG_EEES9_SI_JZNS1_25segmented_radix_sort_implINS0_14default_configELb0EPK6__halfPSP_PKlPlN2at6native12_GLOBAL__N_18offset_tEEE10hipError_tPvRmT1_PNSt15iterator_traitsIS13_E10value_typeET2_T3_PNS14_IS19_E10value_typeET4_jRbjT5_S1F_jjP12ihipStream_tbEUljE_ZNSN_ISO_Lb0ESR_SS_SU_SV_SZ_EES10_S11_S12_S13_S17_S18_S19_S1C_S1D_jS1E_jS1F_S1F_jjS1H_bEUljE0_EEES10_S11_S12_S19_S1D_S1F_T6_T7_T9_mT8_S1H_bDpT10_ENKUlT_T0_E_clISt17integral_constantIbLb1EES1V_EEDaS1Q_S1R_EUlS1Q_E_NS1_11comp_targetILNS1_3genE8ELNS1_11target_archE1030ELNS1_3gpuE2ELNS1_3repE0EEENS1_30default_config_static_selectorELNS0_4arch9wavefront6targetE0EEEvS13_.numbered_sgpr, 0
	.set _ZN7rocprim17ROCPRIM_400000_NS6detail17trampoline_kernelINS0_13select_configILj256ELj13ELNS0_17block_load_methodE3ELS4_3ELS4_3ELNS0_20block_scan_algorithmE0ELj4294967295EEENS1_25partition_config_selectorILNS1_17partition_subalgoE4EjNS0_10empty_typeEbEEZZNS1_14partition_implILS8_4ELb0ES6_15HIP_vector_typeIjLj2EENS0_17counting_iteratorIjlEEPS9_SG_NS0_5tupleIJPjSI_NS0_16reverse_iteratorISI_EEEEENSH_IJSG_SG_SG_EEES9_SI_JZNS1_25segmented_radix_sort_implINS0_14default_configELb0EPK6__halfPSP_PKlPlN2at6native12_GLOBAL__N_18offset_tEEE10hipError_tPvRmT1_PNSt15iterator_traitsIS13_E10value_typeET2_T3_PNS14_IS19_E10value_typeET4_jRbjT5_S1F_jjP12ihipStream_tbEUljE_ZNSN_ISO_Lb0ESR_SS_SU_SV_SZ_EES10_S11_S12_S13_S17_S18_S19_S1C_S1D_jS1E_jS1F_S1F_jjS1H_bEUljE0_EEES10_S11_S12_S19_S1D_S1F_T6_T7_T9_mT8_S1H_bDpT10_ENKUlT_T0_E_clISt17integral_constantIbLb1EES1V_EEDaS1Q_S1R_EUlS1Q_E_NS1_11comp_targetILNS1_3genE8ELNS1_11target_archE1030ELNS1_3gpuE2ELNS1_3repE0EEENS1_30default_config_static_selectorELNS0_4arch9wavefront6targetE0EEEvS13_.num_named_barrier, 0
	.set _ZN7rocprim17ROCPRIM_400000_NS6detail17trampoline_kernelINS0_13select_configILj256ELj13ELNS0_17block_load_methodE3ELS4_3ELS4_3ELNS0_20block_scan_algorithmE0ELj4294967295EEENS1_25partition_config_selectorILNS1_17partition_subalgoE4EjNS0_10empty_typeEbEEZZNS1_14partition_implILS8_4ELb0ES6_15HIP_vector_typeIjLj2EENS0_17counting_iteratorIjlEEPS9_SG_NS0_5tupleIJPjSI_NS0_16reverse_iteratorISI_EEEEENSH_IJSG_SG_SG_EEES9_SI_JZNS1_25segmented_radix_sort_implINS0_14default_configELb0EPK6__halfPSP_PKlPlN2at6native12_GLOBAL__N_18offset_tEEE10hipError_tPvRmT1_PNSt15iterator_traitsIS13_E10value_typeET2_T3_PNS14_IS19_E10value_typeET4_jRbjT5_S1F_jjP12ihipStream_tbEUljE_ZNSN_ISO_Lb0ESR_SS_SU_SV_SZ_EES10_S11_S12_S13_S17_S18_S19_S1C_S1D_jS1E_jS1F_S1F_jjS1H_bEUljE0_EEES10_S11_S12_S19_S1D_S1F_T6_T7_T9_mT8_S1H_bDpT10_ENKUlT_T0_E_clISt17integral_constantIbLb1EES1V_EEDaS1Q_S1R_EUlS1Q_E_NS1_11comp_targetILNS1_3genE8ELNS1_11target_archE1030ELNS1_3gpuE2ELNS1_3repE0EEENS1_30default_config_static_selectorELNS0_4arch9wavefront6targetE0EEEvS13_.private_seg_size, 0
	.set _ZN7rocprim17ROCPRIM_400000_NS6detail17trampoline_kernelINS0_13select_configILj256ELj13ELNS0_17block_load_methodE3ELS4_3ELS4_3ELNS0_20block_scan_algorithmE0ELj4294967295EEENS1_25partition_config_selectorILNS1_17partition_subalgoE4EjNS0_10empty_typeEbEEZZNS1_14partition_implILS8_4ELb0ES6_15HIP_vector_typeIjLj2EENS0_17counting_iteratorIjlEEPS9_SG_NS0_5tupleIJPjSI_NS0_16reverse_iteratorISI_EEEEENSH_IJSG_SG_SG_EEES9_SI_JZNS1_25segmented_radix_sort_implINS0_14default_configELb0EPK6__halfPSP_PKlPlN2at6native12_GLOBAL__N_18offset_tEEE10hipError_tPvRmT1_PNSt15iterator_traitsIS13_E10value_typeET2_T3_PNS14_IS19_E10value_typeET4_jRbjT5_S1F_jjP12ihipStream_tbEUljE_ZNSN_ISO_Lb0ESR_SS_SU_SV_SZ_EES10_S11_S12_S13_S17_S18_S19_S1C_S1D_jS1E_jS1F_S1F_jjS1H_bEUljE0_EEES10_S11_S12_S19_S1D_S1F_T6_T7_T9_mT8_S1H_bDpT10_ENKUlT_T0_E_clISt17integral_constantIbLb1EES1V_EEDaS1Q_S1R_EUlS1Q_E_NS1_11comp_targetILNS1_3genE8ELNS1_11target_archE1030ELNS1_3gpuE2ELNS1_3repE0EEENS1_30default_config_static_selectorELNS0_4arch9wavefront6targetE0EEEvS13_.uses_vcc, 0
	.set _ZN7rocprim17ROCPRIM_400000_NS6detail17trampoline_kernelINS0_13select_configILj256ELj13ELNS0_17block_load_methodE3ELS4_3ELS4_3ELNS0_20block_scan_algorithmE0ELj4294967295EEENS1_25partition_config_selectorILNS1_17partition_subalgoE4EjNS0_10empty_typeEbEEZZNS1_14partition_implILS8_4ELb0ES6_15HIP_vector_typeIjLj2EENS0_17counting_iteratorIjlEEPS9_SG_NS0_5tupleIJPjSI_NS0_16reverse_iteratorISI_EEEEENSH_IJSG_SG_SG_EEES9_SI_JZNS1_25segmented_radix_sort_implINS0_14default_configELb0EPK6__halfPSP_PKlPlN2at6native12_GLOBAL__N_18offset_tEEE10hipError_tPvRmT1_PNSt15iterator_traitsIS13_E10value_typeET2_T3_PNS14_IS19_E10value_typeET4_jRbjT5_S1F_jjP12ihipStream_tbEUljE_ZNSN_ISO_Lb0ESR_SS_SU_SV_SZ_EES10_S11_S12_S13_S17_S18_S19_S1C_S1D_jS1E_jS1F_S1F_jjS1H_bEUljE0_EEES10_S11_S12_S19_S1D_S1F_T6_T7_T9_mT8_S1H_bDpT10_ENKUlT_T0_E_clISt17integral_constantIbLb1EES1V_EEDaS1Q_S1R_EUlS1Q_E_NS1_11comp_targetILNS1_3genE8ELNS1_11target_archE1030ELNS1_3gpuE2ELNS1_3repE0EEENS1_30default_config_static_selectorELNS0_4arch9wavefront6targetE0EEEvS13_.uses_flat_scratch, 0
	.set _ZN7rocprim17ROCPRIM_400000_NS6detail17trampoline_kernelINS0_13select_configILj256ELj13ELNS0_17block_load_methodE3ELS4_3ELS4_3ELNS0_20block_scan_algorithmE0ELj4294967295EEENS1_25partition_config_selectorILNS1_17partition_subalgoE4EjNS0_10empty_typeEbEEZZNS1_14partition_implILS8_4ELb0ES6_15HIP_vector_typeIjLj2EENS0_17counting_iteratorIjlEEPS9_SG_NS0_5tupleIJPjSI_NS0_16reverse_iteratorISI_EEEEENSH_IJSG_SG_SG_EEES9_SI_JZNS1_25segmented_radix_sort_implINS0_14default_configELb0EPK6__halfPSP_PKlPlN2at6native12_GLOBAL__N_18offset_tEEE10hipError_tPvRmT1_PNSt15iterator_traitsIS13_E10value_typeET2_T3_PNS14_IS19_E10value_typeET4_jRbjT5_S1F_jjP12ihipStream_tbEUljE_ZNSN_ISO_Lb0ESR_SS_SU_SV_SZ_EES10_S11_S12_S13_S17_S18_S19_S1C_S1D_jS1E_jS1F_S1F_jjS1H_bEUljE0_EEES10_S11_S12_S19_S1D_S1F_T6_T7_T9_mT8_S1H_bDpT10_ENKUlT_T0_E_clISt17integral_constantIbLb1EES1V_EEDaS1Q_S1R_EUlS1Q_E_NS1_11comp_targetILNS1_3genE8ELNS1_11target_archE1030ELNS1_3gpuE2ELNS1_3repE0EEENS1_30default_config_static_selectorELNS0_4arch9wavefront6targetE0EEEvS13_.has_dyn_sized_stack, 0
	.set _ZN7rocprim17ROCPRIM_400000_NS6detail17trampoline_kernelINS0_13select_configILj256ELj13ELNS0_17block_load_methodE3ELS4_3ELS4_3ELNS0_20block_scan_algorithmE0ELj4294967295EEENS1_25partition_config_selectorILNS1_17partition_subalgoE4EjNS0_10empty_typeEbEEZZNS1_14partition_implILS8_4ELb0ES6_15HIP_vector_typeIjLj2EENS0_17counting_iteratorIjlEEPS9_SG_NS0_5tupleIJPjSI_NS0_16reverse_iteratorISI_EEEEENSH_IJSG_SG_SG_EEES9_SI_JZNS1_25segmented_radix_sort_implINS0_14default_configELb0EPK6__halfPSP_PKlPlN2at6native12_GLOBAL__N_18offset_tEEE10hipError_tPvRmT1_PNSt15iterator_traitsIS13_E10value_typeET2_T3_PNS14_IS19_E10value_typeET4_jRbjT5_S1F_jjP12ihipStream_tbEUljE_ZNSN_ISO_Lb0ESR_SS_SU_SV_SZ_EES10_S11_S12_S13_S17_S18_S19_S1C_S1D_jS1E_jS1F_S1F_jjS1H_bEUljE0_EEES10_S11_S12_S19_S1D_S1F_T6_T7_T9_mT8_S1H_bDpT10_ENKUlT_T0_E_clISt17integral_constantIbLb1EES1V_EEDaS1Q_S1R_EUlS1Q_E_NS1_11comp_targetILNS1_3genE8ELNS1_11target_archE1030ELNS1_3gpuE2ELNS1_3repE0EEENS1_30default_config_static_selectorELNS0_4arch9wavefront6targetE0EEEvS13_.has_recursion, 0
	.set _ZN7rocprim17ROCPRIM_400000_NS6detail17trampoline_kernelINS0_13select_configILj256ELj13ELNS0_17block_load_methodE3ELS4_3ELS4_3ELNS0_20block_scan_algorithmE0ELj4294967295EEENS1_25partition_config_selectorILNS1_17partition_subalgoE4EjNS0_10empty_typeEbEEZZNS1_14partition_implILS8_4ELb0ES6_15HIP_vector_typeIjLj2EENS0_17counting_iteratorIjlEEPS9_SG_NS0_5tupleIJPjSI_NS0_16reverse_iteratorISI_EEEEENSH_IJSG_SG_SG_EEES9_SI_JZNS1_25segmented_radix_sort_implINS0_14default_configELb0EPK6__halfPSP_PKlPlN2at6native12_GLOBAL__N_18offset_tEEE10hipError_tPvRmT1_PNSt15iterator_traitsIS13_E10value_typeET2_T3_PNS14_IS19_E10value_typeET4_jRbjT5_S1F_jjP12ihipStream_tbEUljE_ZNSN_ISO_Lb0ESR_SS_SU_SV_SZ_EES10_S11_S12_S13_S17_S18_S19_S1C_S1D_jS1E_jS1F_S1F_jjS1H_bEUljE0_EEES10_S11_S12_S19_S1D_S1F_T6_T7_T9_mT8_S1H_bDpT10_ENKUlT_T0_E_clISt17integral_constantIbLb1EES1V_EEDaS1Q_S1R_EUlS1Q_E_NS1_11comp_targetILNS1_3genE8ELNS1_11target_archE1030ELNS1_3gpuE2ELNS1_3repE0EEENS1_30default_config_static_selectorELNS0_4arch9wavefront6targetE0EEEvS13_.has_indirect_call, 0
	.section	.AMDGPU.csdata,"",@progbits
; Kernel info:
; codeLenInByte = 0
; TotalNumSgprs: 0
; NumVgprs: 0
; ScratchSize: 0
; MemoryBound: 0
; FloatMode: 240
; IeeeMode: 1
; LDSByteSize: 0 bytes/workgroup (compile time only)
; SGPRBlocks: 0
; VGPRBlocks: 0
; NumSGPRsForWavesPerEU: 1
; NumVGPRsForWavesPerEU: 1
; NamedBarCnt: 0
; Occupancy: 16
; WaveLimiterHint : 0
; COMPUTE_PGM_RSRC2:SCRATCH_EN: 0
; COMPUTE_PGM_RSRC2:USER_SGPR: 2
; COMPUTE_PGM_RSRC2:TRAP_HANDLER: 0
; COMPUTE_PGM_RSRC2:TGID_X_EN: 1
; COMPUTE_PGM_RSRC2:TGID_Y_EN: 0
; COMPUTE_PGM_RSRC2:TGID_Z_EN: 0
; COMPUTE_PGM_RSRC2:TIDIG_COMP_CNT: 0
	.section	.text._ZN7rocprim17ROCPRIM_400000_NS6detail17trampoline_kernelINS0_13select_configILj256ELj13ELNS0_17block_load_methodE3ELS4_3ELS4_3ELNS0_20block_scan_algorithmE0ELj4294967295EEENS1_25partition_config_selectorILNS1_17partition_subalgoE4EjNS0_10empty_typeEbEEZZNS1_14partition_implILS8_4ELb0ES6_15HIP_vector_typeIjLj2EENS0_17counting_iteratorIjlEEPS9_SG_NS0_5tupleIJPjSI_NS0_16reverse_iteratorISI_EEEEENSH_IJSG_SG_SG_EEES9_SI_JZNS1_25segmented_radix_sort_implINS0_14default_configELb0EPK6__halfPSP_PKlPlN2at6native12_GLOBAL__N_18offset_tEEE10hipError_tPvRmT1_PNSt15iterator_traitsIS13_E10value_typeET2_T3_PNS14_IS19_E10value_typeET4_jRbjT5_S1F_jjP12ihipStream_tbEUljE_ZNSN_ISO_Lb0ESR_SS_SU_SV_SZ_EES10_S11_S12_S13_S17_S18_S19_S1C_S1D_jS1E_jS1F_S1F_jjS1H_bEUljE0_EEES10_S11_S12_S19_S1D_S1F_T6_T7_T9_mT8_S1H_bDpT10_ENKUlT_T0_E_clISt17integral_constantIbLb1EES1U_IbLb0EEEEDaS1Q_S1R_EUlS1Q_E_NS1_11comp_targetILNS1_3genE0ELNS1_11target_archE4294967295ELNS1_3gpuE0ELNS1_3repE0EEENS1_30default_config_static_selectorELNS0_4arch9wavefront6targetE0EEEvS13_,"axG",@progbits,_ZN7rocprim17ROCPRIM_400000_NS6detail17trampoline_kernelINS0_13select_configILj256ELj13ELNS0_17block_load_methodE3ELS4_3ELS4_3ELNS0_20block_scan_algorithmE0ELj4294967295EEENS1_25partition_config_selectorILNS1_17partition_subalgoE4EjNS0_10empty_typeEbEEZZNS1_14partition_implILS8_4ELb0ES6_15HIP_vector_typeIjLj2EENS0_17counting_iteratorIjlEEPS9_SG_NS0_5tupleIJPjSI_NS0_16reverse_iteratorISI_EEEEENSH_IJSG_SG_SG_EEES9_SI_JZNS1_25segmented_radix_sort_implINS0_14default_configELb0EPK6__halfPSP_PKlPlN2at6native12_GLOBAL__N_18offset_tEEE10hipError_tPvRmT1_PNSt15iterator_traitsIS13_E10value_typeET2_T3_PNS14_IS19_E10value_typeET4_jRbjT5_S1F_jjP12ihipStream_tbEUljE_ZNSN_ISO_Lb0ESR_SS_SU_SV_SZ_EES10_S11_S12_S13_S17_S18_S19_S1C_S1D_jS1E_jS1F_S1F_jjS1H_bEUljE0_EEES10_S11_S12_S19_S1D_S1F_T6_T7_T9_mT8_S1H_bDpT10_ENKUlT_T0_E_clISt17integral_constantIbLb1EES1U_IbLb0EEEEDaS1Q_S1R_EUlS1Q_E_NS1_11comp_targetILNS1_3genE0ELNS1_11target_archE4294967295ELNS1_3gpuE0ELNS1_3repE0EEENS1_30default_config_static_selectorELNS0_4arch9wavefront6targetE0EEEvS13_,comdat
	.globl	_ZN7rocprim17ROCPRIM_400000_NS6detail17trampoline_kernelINS0_13select_configILj256ELj13ELNS0_17block_load_methodE3ELS4_3ELS4_3ELNS0_20block_scan_algorithmE0ELj4294967295EEENS1_25partition_config_selectorILNS1_17partition_subalgoE4EjNS0_10empty_typeEbEEZZNS1_14partition_implILS8_4ELb0ES6_15HIP_vector_typeIjLj2EENS0_17counting_iteratorIjlEEPS9_SG_NS0_5tupleIJPjSI_NS0_16reverse_iteratorISI_EEEEENSH_IJSG_SG_SG_EEES9_SI_JZNS1_25segmented_radix_sort_implINS0_14default_configELb0EPK6__halfPSP_PKlPlN2at6native12_GLOBAL__N_18offset_tEEE10hipError_tPvRmT1_PNSt15iterator_traitsIS13_E10value_typeET2_T3_PNS14_IS19_E10value_typeET4_jRbjT5_S1F_jjP12ihipStream_tbEUljE_ZNSN_ISO_Lb0ESR_SS_SU_SV_SZ_EES10_S11_S12_S13_S17_S18_S19_S1C_S1D_jS1E_jS1F_S1F_jjS1H_bEUljE0_EEES10_S11_S12_S19_S1D_S1F_T6_T7_T9_mT8_S1H_bDpT10_ENKUlT_T0_E_clISt17integral_constantIbLb1EES1U_IbLb0EEEEDaS1Q_S1R_EUlS1Q_E_NS1_11comp_targetILNS1_3genE0ELNS1_11target_archE4294967295ELNS1_3gpuE0ELNS1_3repE0EEENS1_30default_config_static_selectorELNS0_4arch9wavefront6targetE0EEEvS13_ ; -- Begin function _ZN7rocprim17ROCPRIM_400000_NS6detail17trampoline_kernelINS0_13select_configILj256ELj13ELNS0_17block_load_methodE3ELS4_3ELS4_3ELNS0_20block_scan_algorithmE0ELj4294967295EEENS1_25partition_config_selectorILNS1_17partition_subalgoE4EjNS0_10empty_typeEbEEZZNS1_14partition_implILS8_4ELb0ES6_15HIP_vector_typeIjLj2EENS0_17counting_iteratorIjlEEPS9_SG_NS0_5tupleIJPjSI_NS0_16reverse_iteratorISI_EEEEENSH_IJSG_SG_SG_EEES9_SI_JZNS1_25segmented_radix_sort_implINS0_14default_configELb0EPK6__halfPSP_PKlPlN2at6native12_GLOBAL__N_18offset_tEEE10hipError_tPvRmT1_PNSt15iterator_traitsIS13_E10value_typeET2_T3_PNS14_IS19_E10value_typeET4_jRbjT5_S1F_jjP12ihipStream_tbEUljE_ZNSN_ISO_Lb0ESR_SS_SU_SV_SZ_EES10_S11_S12_S13_S17_S18_S19_S1C_S1D_jS1E_jS1F_S1F_jjS1H_bEUljE0_EEES10_S11_S12_S19_S1D_S1F_T6_T7_T9_mT8_S1H_bDpT10_ENKUlT_T0_E_clISt17integral_constantIbLb1EES1U_IbLb0EEEEDaS1Q_S1R_EUlS1Q_E_NS1_11comp_targetILNS1_3genE0ELNS1_11target_archE4294967295ELNS1_3gpuE0ELNS1_3repE0EEENS1_30default_config_static_selectorELNS0_4arch9wavefront6targetE0EEEvS13_
	.p2align	8
	.type	_ZN7rocprim17ROCPRIM_400000_NS6detail17trampoline_kernelINS0_13select_configILj256ELj13ELNS0_17block_load_methodE3ELS4_3ELS4_3ELNS0_20block_scan_algorithmE0ELj4294967295EEENS1_25partition_config_selectorILNS1_17partition_subalgoE4EjNS0_10empty_typeEbEEZZNS1_14partition_implILS8_4ELb0ES6_15HIP_vector_typeIjLj2EENS0_17counting_iteratorIjlEEPS9_SG_NS0_5tupleIJPjSI_NS0_16reverse_iteratorISI_EEEEENSH_IJSG_SG_SG_EEES9_SI_JZNS1_25segmented_radix_sort_implINS0_14default_configELb0EPK6__halfPSP_PKlPlN2at6native12_GLOBAL__N_18offset_tEEE10hipError_tPvRmT1_PNSt15iterator_traitsIS13_E10value_typeET2_T3_PNS14_IS19_E10value_typeET4_jRbjT5_S1F_jjP12ihipStream_tbEUljE_ZNSN_ISO_Lb0ESR_SS_SU_SV_SZ_EES10_S11_S12_S13_S17_S18_S19_S1C_S1D_jS1E_jS1F_S1F_jjS1H_bEUljE0_EEES10_S11_S12_S19_S1D_S1F_T6_T7_T9_mT8_S1H_bDpT10_ENKUlT_T0_E_clISt17integral_constantIbLb1EES1U_IbLb0EEEEDaS1Q_S1R_EUlS1Q_E_NS1_11comp_targetILNS1_3genE0ELNS1_11target_archE4294967295ELNS1_3gpuE0ELNS1_3repE0EEENS1_30default_config_static_selectorELNS0_4arch9wavefront6targetE0EEEvS13_,@function
_ZN7rocprim17ROCPRIM_400000_NS6detail17trampoline_kernelINS0_13select_configILj256ELj13ELNS0_17block_load_methodE3ELS4_3ELS4_3ELNS0_20block_scan_algorithmE0ELj4294967295EEENS1_25partition_config_selectorILNS1_17partition_subalgoE4EjNS0_10empty_typeEbEEZZNS1_14partition_implILS8_4ELb0ES6_15HIP_vector_typeIjLj2EENS0_17counting_iteratorIjlEEPS9_SG_NS0_5tupleIJPjSI_NS0_16reverse_iteratorISI_EEEEENSH_IJSG_SG_SG_EEES9_SI_JZNS1_25segmented_radix_sort_implINS0_14default_configELb0EPK6__halfPSP_PKlPlN2at6native12_GLOBAL__N_18offset_tEEE10hipError_tPvRmT1_PNSt15iterator_traitsIS13_E10value_typeET2_T3_PNS14_IS19_E10value_typeET4_jRbjT5_S1F_jjP12ihipStream_tbEUljE_ZNSN_ISO_Lb0ESR_SS_SU_SV_SZ_EES10_S11_S12_S13_S17_S18_S19_S1C_S1D_jS1E_jS1F_S1F_jjS1H_bEUljE0_EEES10_S11_S12_S19_S1D_S1F_T6_T7_T9_mT8_S1H_bDpT10_ENKUlT_T0_E_clISt17integral_constantIbLb1EES1U_IbLb0EEEEDaS1Q_S1R_EUlS1Q_E_NS1_11comp_targetILNS1_3genE0ELNS1_11target_archE4294967295ELNS1_3gpuE0ELNS1_3repE0EEENS1_30default_config_static_selectorELNS0_4arch9wavefront6targetE0EEEvS13_: ; @_ZN7rocprim17ROCPRIM_400000_NS6detail17trampoline_kernelINS0_13select_configILj256ELj13ELNS0_17block_load_methodE3ELS4_3ELS4_3ELNS0_20block_scan_algorithmE0ELj4294967295EEENS1_25partition_config_selectorILNS1_17partition_subalgoE4EjNS0_10empty_typeEbEEZZNS1_14partition_implILS8_4ELb0ES6_15HIP_vector_typeIjLj2EENS0_17counting_iteratorIjlEEPS9_SG_NS0_5tupleIJPjSI_NS0_16reverse_iteratorISI_EEEEENSH_IJSG_SG_SG_EEES9_SI_JZNS1_25segmented_radix_sort_implINS0_14default_configELb0EPK6__halfPSP_PKlPlN2at6native12_GLOBAL__N_18offset_tEEE10hipError_tPvRmT1_PNSt15iterator_traitsIS13_E10value_typeET2_T3_PNS14_IS19_E10value_typeET4_jRbjT5_S1F_jjP12ihipStream_tbEUljE_ZNSN_ISO_Lb0ESR_SS_SU_SV_SZ_EES10_S11_S12_S13_S17_S18_S19_S1C_S1D_jS1E_jS1F_S1F_jjS1H_bEUljE0_EEES10_S11_S12_S19_S1D_S1F_T6_T7_T9_mT8_S1H_bDpT10_ENKUlT_T0_E_clISt17integral_constantIbLb1EES1U_IbLb0EEEEDaS1Q_S1R_EUlS1Q_E_NS1_11comp_targetILNS1_3genE0ELNS1_11target_archE4294967295ELNS1_3gpuE0ELNS1_3repE0EEENS1_30default_config_static_selectorELNS0_4arch9wavefront6targetE0EEEvS13_
; %bb.0:
	s_endpgm
	.section	.rodata,"a",@progbits
	.p2align	6, 0x0
	.amdhsa_kernel _ZN7rocprim17ROCPRIM_400000_NS6detail17trampoline_kernelINS0_13select_configILj256ELj13ELNS0_17block_load_methodE3ELS4_3ELS4_3ELNS0_20block_scan_algorithmE0ELj4294967295EEENS1_25partition_config_selectorILNS1_17partition_subalgoE4EjNS0_10empty_typeEbEEZZNS1_14partition_implILS8_4ELb0ES6_15HIP_vector_typeIjLj2EENS0_17counting_iteratorIjlEEPS9_SG_NS0_5tupleIJPjSI_NS0_16reverse_iteratorISI_EEEEENSH_IJSG_SG_SG_EEES9_SI_JZNS1_25segmented_radix_sort_implINS0_14default_configELb0EPK6__halfPSP_PKlPlN2at6native12_GLOBAL__N_18offset_tEEE10hipError_tPvRmT1_PNSt15iterator_traitsIS13_E10value_typeET2_T3_PNS14_IS19_E10value_typeET4_jRbjT5_S1F_jjP12ihipStream_tbEUljE_ZNSN_ISO_Lb0ESR_SS_SU_SV_SZ_EES10_S11_S12_S13_S17_S18_S19_S1C_S1D_jS1E_jS1F_S1F_jjS1H_bEUljE0_EEES10_S11_S12_S19_S1D_S1F_T6_T7_T9_mT8_S1H_bDpT10_ENKUlT_T0_E_clISt17integral_constantIbLb1EES1U_IbLb0EEEEDaS1Q_S1R_EUlS1Q_E_NS1_11comp_targetILNS1_3genE0ELNS1_11target_archE4294967295ELNS1_3gpuE0ELNS1_3repE0EEENS1_30default_config_static_selectorELNS0_4arch9wavefront6targetE0EEEvS13_
		.amdhsa_group_segment_fixed_size 0
		.amdhsa_private_segment_fixed_size 0
		.amdhsa_kernarg_size 176
		.amdhsa_user_sgpr_count 2
		.amdhsa_user_sgpr_dispatch_ptr 0
		.amdhsa_user_sgpr_queue_ptr 0
		.amdhsa_user_sgpr_kernarg_segment_ptr 1
		.amdhsa_user_sgpr_dispatch_id 0
		.amdhsa_user_sgpr_kernarg_preload_length 0
		.amdhsa_user_sgpr_kernarg_preload_offset 0
		.amdhsa_user_sgpr_private_segment_size 0
		.amdhsa_wavefront_size32 1
		.amdhsa_uses_dynamic_stack 0
		.amdhsa_enable_private_segment 0
		.amdhsa_system_sgpr_workgroup_id_x 1
		.amdhsa_system_sgpr_workgroup_id_y 0
		.amdhsa_system_sgpr_workgroup_id_z 0
		.amdhsa_system_sgpr_workgroup_info 0
		.amdhsa_system_vgpr_workitem_id 0
		.amdhsa_next_free_vgpr 1
		.amdhsa_next_free_sgpr 1
		.amdhsa_named_barrier_count 0
		.amdhsa_reserve_vcc 0
		.amdhsa_float_round_mode_32 0
		.amdhsa_float_round_mode_16_64 0
		.amdhsa_float_denorm_mode_32 3
		.amdhsa_float_denorm_mode_16_64 3
		.amdhsa_fp16_overflow 0
		.amdhsa_memory_ordered 1
		.amdhsa_forward_progress 1
		.amdhsa_inst_pref_size 1
		.amdhsa_round_robin_scheduling 0
		.amdhsa_exception_fp_ieee_invalid_op 0
		.amdhsa_exception_fp_denorm_src 0
		.amdhsa_exception_fp_ieee_div_zero 0
		.amdhsa_exception_fp_ieee_overflow 0
		.amdhsa_exception_fp_ieee_underflow 0
		.amdhsa_exception_fp_ieee_inexact 0
		.amdhsa_exception_int_div_zero 0
	.end_amdhsa_kernel
	.section	.text._ZN7rocprim17ROCPRIM_400000_NS6detail17trampoline_kernelINS0_13select_configILj256ELj13ELNS0_17block_load_methodE3ELS4_3ELS4_3ELNS0_20block_scan_algorithmE0ELj4294967295EEENS1_25partition_config_selectorILNS1_17partition_subalgoE4EjNS0_10empty_typeEbEEZZNS1_14partition_implILS8_4ELb0ES6_15HIP_vector_typeIjLj2EENS0_17counting_iteratorIjlEEPS9_SG_NS0_5tupleIJPjSI_NS0_16reverse_iteratorISI_EEEEENSH_IJSG_SG_SG_EEES9_SI_JZNS1_25segmented_radix_sort_implINS0_14default_configELb0EPK6__halfPSP_PKlPlN2at6native12_GLOBAL__N_18offset_tEEE10hipError_tPvRmT1_PNSt15iterator_traitsIS13_E10value_typeET2_T3_PNS14_IS19_E10value_typeET4_jRbjT5_S1F_jjP12ihipStream_tbEUljE_ZNSN_ISO_Lb0ESR_SS_SU_SV_SZ_EES10_S11_S12_S13_S17_S18_S19_S1C_S1D_jS1E_jS1F_S1F_jjS1H_bEUljE0_EEES10_S11_S12_S19_S1D_S1F_T6_T7_T9_mT8_S1H_bDpT10_ENKUlT_T0_E_clISt17integral_constantIbLb1EES1U_IbLb0EEEEDaS1Q_S1R_EUlS1Q_E_NS1_11comp_targetILNS1_3genE0ELNS1_11target_archE4294967295ELNS1_3gpuE0ELNS1_3repE0EEENS1_30default_config_static_selectorELNS0_4arch9wavefront6targetE0EEEvS13_,"axG",@progbits,_ZN7rocprim17ROCPRIM_400000_NS6detail17trampoline_kernelINS0_13select_configILj256ELj13ELNS0_17block_load_methodE3ELS4_3ELS4_3ELNS0_20block_scan_algorithmE0ELj4294967295EEENS1_25partition_config_selectorILNS1_17partition_subalgoE4EjNS0_10empty_typeEbEEZZNS1_14partition_implILS8_4ELb0ES6_15HIP_vector_typeIjLj2EENS0_17counting_iteratorIjlEEPS9_SG_NS0_5tupleIJPjSI_NS0_16reverse_iteratorISI_EEEEENSH_IJSG_SG_SG_EEES9_SI_JZNS1_25segmented_radix_sort_implINS0_14default_configELb0EPK6__halfPSP_PKlPlN2at6native12_GLOBAL__N_18offset_tEEE10hipError_tPvRmT1_PNSt15iterator_traitsIS13_E10value_typeET2_T3_PNS14_IS19_E10value_typeET4_jRbjT5_S1F_jjP12ihipStream_tbEUljE_ZNSN_ISO_Lb0ESR_SS_SU_SV_SZ_EES10_S11_S12_S13_S17_S18_S19_S1C_S1D_jS1E_jS1F_S1F_jjS1H_bEUljE0_EEES10_S11_S12_S19_S1D_S1F_T6_T7_T9_mT8_S1H_bDpT10_ENKUlT_T0_E_clISt17integral_constantIbLb1EES1U_IbLb0EEEEDaS1Q_S1R_EUlS1Q_E_NS1_11comp_targetILNS1_3genE0ELNS1_11target_archE4294967295ELNS1_3gpuE0ELNS1_3repE0EEENS1_30default_config_static_selectorELNS0_4arch9wavefront6targetE0EEEvS13_,comdat
.Lfunc_end1784:
	.size	_ZN7rocprim17ROCPRIM_400000_NS6detail17trampoline_kernelINS0_13select_configILj256ELj13ELNS0_17block_load_methodE3ELS4_3ELS4_3ELNS0_20block_scan_algorithmE0ELj4294967295EEENS1_25partition_config_selectorILNS1_17partition_subalgoE4EjNS0_10empty_typeEbEEZZNS1_14partition_implILS8_4ELb0ES6_15HIP_vector_typeIjLj2EENS0_17counting_iteratorIjlEEPS9_SG_NS0_5tupleIJPjSI_NS0_16reverse_iteratorISI_EEEEENSH_IJSG_SG_SG_EEES9_SI_JZNS1_25segmented_radix_sort_implINS0_14default_configELb0EPK6__halfPSP_PKlPlN2at6native12_GLOBAL__N_18offset_tEEE10hipError_tPvRmT1_PNSt15iterator_traitsIS13_E10value_typeET2_T3_PNS14_IS19_E10value_typeET4_jRbjT5_S1F_jjP12ihipStream_tbEUljE_ZNSN_ISO_Lb0ESR_SS_SU_SV_SZ_EES10_S11_S12_S13_S17_S18_S19_S1C_S1D_jS1E_jS1F_S1F_jjS1H_bEUljE0_EEES10_S11_S12_S19_S1D_S1F_T6_T7_T9_mT8_S1H_bDpT10_ENKUlT_T0_E_clISt17integral_constantIbLb1EES1U_IbLb0EEEEDaS1Q_S1R_EUlS1Q_E_NS1_11comp_targetILNS1_3genE0ELNS1_11target_archE4294967295ELNS1_3gpuE0ELNS1_3repE0EEENS1_30default_config_static_selectorELNS0_4arch9wavefront6targetE0EEEvS13_, .Lfunc_end1784-_ZN7rocprim17ROCPRIM_400000_NS6detail17trampoline_kernelINS0_13select_configILj256ELj13ELNS0_17block_load_methodE3ELS4_3ELS4_3ELNS0_20block_scan_algorithmE0ELj4294967295EEENS1_25partition_config_selectorILNS1_17partition_subalgoE4EjNS0_10empty_typeEbEEZZNS1_14partition_implILS8_4ELb0ES6_15HIP_vector_typeIjLj2EENS0_17counting_iteratorIjlEEPS9_SG_NS0_5tupleIJPjSI_NS0_16reverse_iteratorISI_EEEEENSH_IJSG_SG_SG_EEES9_SI_JZNS1_25segmented_radix_sort_implINS0_14default_configELb0EPK6__halfPSP_PKlPlN2at6native12_GLOBAL__N_18offset_tEEE10hipError_tPvRmT1_PNSt15iterator_traitsIS13_E10value_typeET2_T3_PNS14_IS19_E10value_typeET4_jRbjT5_S1F_jjP12ihipStream_tbEUljE_ZNSN_ISO_Lb0ESR_SS_SU_SV_SZ_EES10_S11_S12_S13_S17_S18_S19_S1C_S1D_jS1E_jS1F_S1F_jjS1H_bEUljE0_EEES10_S11_S12_S19_S1D_S1F_T6_T7_T9_mT8_S1H_bDpT10_ENKUlT_T0_E_clISt17integral_constantIbLb1EES1U_IbLb0EEEEDaS1Q_S1R_EUlS1Q_E_NS1_11comp_targetILNS1_3genE0ELNS1_11target_archE4294967295ELNS1_3gpuE0ELNS1_3repE0EEENS1_30default_config_static_selectorELNS0_4arch9wavefront6targetE0EEEvS13_
                                        ; -- End function
	.set _ZN7rocprim17ROCPRIM_400000_NS6detail17trampoline_kernelINS0_13select_configILj256ELj13ELNS0_17block_load_methodE3ELS4_3ELS4_3ELNS0_20block_scan_algorithmE0ELj4294967295EEENS1_25partition_config_selectorILNS1_17partition_subalgoE4EjNS0_10empty_typeEbEEZZNS1_14partition_implILS8_4ELb0ES6_15HIP_vector_typeIjLj2EENS0_17counting_iteratorIjlEEPS9_SG_NS0_5tupleIJPjSI_NS0_16reverse_iteratorISI_EEEEENSH_IJSG_SG_SG_EEES9_SI_JZNS1_25segmented_radix_sort_implINS0_14default_configELb0EPK6__halfPSP_PKlPlN2at6native12_GLOBAL__N_18offset_tEEE10hipError_tPvRmT1_PNSt15iterator_traitsIS13_E10value_typeET2_T3_PNS14_IS19_E10value_typeET4_jRbjT5_S1F_jjP12ihipStream_tbEUljE_ZNSN_ISO_Lb0ESR_SS_SU_SV_SZ_EES10_S11_S12_S13_S17_S18_S19_S1C_S1D_jS1E_jS1F_S1F_jjS1H_bEUljE0_EEES10_S11_S12_S19_S1D_S1F_T6_T7_T9_mT8_S1H_bDpT10_ENKUlT_T0_E_clISt17integral_constantIbLb1EES1U_IbLb0EEEEDaS1Q_S1R_EUlS1Q_E_NS1_11comp_targetILNS1_3genE0ELNS1_11target_archE4294967295ELNS1_3gpuE0ELNS1_3repE0EEENS1_30default_config_static_selectorELNS0_4arch9wavefront6targetE0EEEvS13_.num_vgpr, 0
	.set _ZN7rocprim17ROCPRIM_400000_NS6detail17trampoline_kernelINS0_13select_configILj256ELj13ELNS0_17block_load_methodE3ELS4_3ELS4_3ELNS0_20block_scan_algorithmE0ELj4294967295EEENS1_25partition_config_selectorILNS1_17partition_subalgoE4EjNS0_10empty_typeEbEEZZNS1_14partition_implILS8_4ELb0ES6_15HIP_vector_typeIjLj2EENS0_17counting_iteratorIjlEEPS9_SG_NS0_5tupleIJPjSI_NS0_16reverse_iteratorISI_EEEEENSH_IJSG_SG_SG_EEES9_SI_JZNS1_25segmented_radix_sort_implINS0_14default_configELb0EPK6__halfPSP_PKlPlN2at6native12_GLOBAL__N_18offset_tEEE10hipError_tPvRmT1_PNSt15iterator_traitsIS13_E10value_typeET2_T3_PNS14_IS19_E10value_typeET4_jRbjT5_S1F_jjP12ihipStream_tbEUljE_ZNSN_ISO_Lb0ESR_SS_SU_SV_SZ_EES10_S11_S12_S13_S17_S18_S19_S1C_S1D_jS1E_jS1F_S1F_jjS1H_bEUljE0_EEES10_S11_S12_S19_S1D_S1F_T6_T7_T9_mT8_S1H_bDpT10_ENKUlT_T0_E_clISt17integral_constantIbLb1EES1U_IbLb0EEEEDaS1Q_S1R_EUlS1Q_E_NS1_11comp_targetILNS1_3genE0ELNS1_11target_archE4294967295ELNS1_3gpuE0ELNS1_3repE0EEENS1_30default_config_static_selectorELNS0_4arch9wavefront6targetE0EEEvS13_.num_agpr, 0
	.set _ZN7rocprim17ROCPRIM_400000_NS6detail17trampoline_kernelINS0_13select_configILj256ELj13ELNS0_17block_load_methodE3ELS4_3ELS4_3ELNS0_20block_scan_algorithmE0ELj4294967295EEENS1_25partition_config_selectorILNS1_17partition_subalgoE4EjNS0_10empty_typeEbEEZZNS1_14partition_implILS8_4ELb0ES6_15HIP_vector_typeIjLj2EENS0_17counting_iteratorIjlEEPS9_SG_NS0_5tupleIJPjSI_NS0_16reverse_iteratorISI_EEEEENSH_IJSG_SG_SG_EEES9_SI_JZNS1_25segmented_radix_sort_implINS0_14default_configELb0EPK6__halfPSP_PKlPlN2at6native12_GLOBAL__N_18offset_tEEE10hipError_tPvRmT1_PNSt15iterator_traitsIS13_E10value_typeET2_T3_PNS14_IS19_E10value_typeET4_jRbjT5_S1F_jjP12ihipStream_tbEUljE_ZNSN_ISO_Lb0ESR_SS_SU_SV_SZ_EES10_S11_S12_S13_S17_S18_S19_S1C_S1D_jS1E_jS1F_S1F_jjS1H_bEUljE0_EEES10_S11_S12_S19_S1D_S1F_T6_T7_T9_mT8_S1H_bDpT10_ENKUlT_T0_E_clISt17integral_constantIbLb1EES1U_IbLb0EEEEDaS1Q_S1R_EUlS1Q_E_NS1_11comp_targetILNS1_3genE0ELNS1_11target_archE4294967295ELNS1_3gpuE0ELNS1_3repE0EEENS1_30default_config_static_selectorELNS0_4arch9wavefront6targetE0EEEvS13_.numbered_sgpr, 0
	.set _ZN7rocprim17ROCPRIM_400000_NS6detail17trampoline_kernelINS0_13select_configILj256ELj13ELNS0_17block_load_methodE3ELS4_3ELS4_3ELNS0_20block_scan_algorithmE0ELj4294967295EEENS1_25partition_config_selectorILNS1_17partition_subalgoE4EjNS0_10empty_typeEbEEZZNS1_14partition_implILS8_4ELb0ES6_15HIP_vector_typeIjLj2EENS0_17counting_iteratorIjlEEPS9_SG_NS0_5tupleIJPjSI_NS0_16reverse_iteratorISI_EEEEENSH_IJSG_SG_SG_EEES9_SI_JZNS1_25segmented_radix_sort_implINS0_14default_configELb0EPK6__halfPSP_PKlPlN2at6native12_GLOBAL__N_18offset_tEEE10hipError_tPvRmT1_PNSt15iterator_traitsIS13_E10value_typeET2_T3_PNS14_IS19_E10value_typeET4_jRbjT5_S1F_jjP12ihipStream_tbEUljE_ZNSN_ISO_Lb0ESR_SS_SU_SV_SZ_EES10_S11_S12_S13_S17_S18_S19_S1C_S1D_jS1E_jS1F_S1F_jjS1H_bEUljE0_EEES10_S11_S12_S19_S1D_S1F_T6_T7_T9_mT8_S1H_bDpT10_ENKUlT_T0_E_clISt17integral_constantIbLb1EES1U_IbLb0EEEEDaS1Q_S1R_EUlS1Q_E_NS1_11comp_targetILNS1_3genE0ELNS1_11target_archE4294967295ELNS1_3gpuE0ELNS1_3repE0EEENS1_30default_config_static_selectorELNS0_4arch9wavefront6targetE0EEEvS13_.num_named_barrier, 0
	.set _ZN7rocprim17ROCPRIM_400000_NS6detail17trampoline_kernelINS0_13select_configILj256ELj13ELNS0_17block_load_methodE3ELS4_3ELS4_3ELNS0_20block_scan_algorithmE0ELj4294967295EEENS1_25partition_config_selectorILNS1_17partition_subalgoE4EjNS0_10empty_typeEbEEZZNS1_14partition_implILS8_4ELb0ES6_15HIP_vector_typeIjLj2EENS0_17counting_iteratorIjlEEPS9_SG_NS0_5tupleIJPjSI_NS0_16reverse_iteratorISI_EEEEENSH_IJSG_SG_SG_EEES9_SI_JZNS1_25segmented_radix_sort_implINS0_14default_configELb0EPK6__halfPSP_PKlPlN2at6native12_GLOBAL__N_18offset_tEEE10hipError_tPvRmT1_PNSt15iterator_traitsIS13_E10value_typeET2_T3_PNS14_IS19_E10value_typeET4_jRbjT5_S1F_jjP12ihipStream_tbEUljE_ZNSN_ISO_Lb0ESR_SS_SU_SV_SZ_EES10_S11_S12_S13_S17_S18_S19_S1C_S1D_jS1E_jS1F_S1F_jjS1H_bEUljE0_EEES10_S11_S12_S19_S1D_S1F_T6_T7_T9_mT8_S1H_bDpT10_ENKUlT_T0_E_clISt17integral_constantIbLb1EES1U_IbLb0EEEEDaS1Q_S1R_EUlS1Q_E_NS1_11comp_targetILNS1_3genE0ELNS1_11target_archE4294967295ELNS1_3gpuE0ELNS1_3repE0EEENS1_30default_config_static_selectorELNS0_4arch9wavefront6targetE0EEEvS13_.private_seg_size, 0
	.set _ZN7rocprim17ROCPRIM_400000_NS6detail17trampoline_kernelINS0_13select_configILj256ELj13ELNS0_17block_load_methodE3ELS4_3ELS4_3ELNS0_20block_scan_algorithmE0ELj4294967295EEENS1_25partition_config_selectorILNS1_17partition_subalgoE4EjNS0_10empty_typeEbEEZZNS1_14partition_implILS8_4ELb0ES6_15HIP_vector_typeIjLj2EENS0_17counting_iteratorIjlEEPS9_SG_NS0_5tupleIJPjSI_NS0_16reverse_iteratorISI_EEEEENSH_IJSG_SG_SG_EEES9_SI_JZNS1_25segmented_radix_sort_implINS0_14default_configELb0EPK6__halfPSP_PKlPlN2at6native12_GLOBAL__N_18offset_tEEE10hipError_tPvRmT1_PNSt15iterator_traitsIS13_E10value_typeET2_T3_PNS14_IS19_E10value_typeET4_jRbjT5_S1F_jjP12ihipStream_tbEUljE_ZNSN_ISO_Lb0ESR_SS_SU_SV_SZ_EES10_S11_S12_S13_S17_S18_S19_S1C_S1D_jS1E_jS1F_S1F_jjS1H_bEUljE0_EEES10_S11_S12_S19_S1D_S1F_T6_T7_T9_mT8_S1H_bDpT10_ENKUlT_T0_E_clISt17integral_constantIbLb1EES1U_IbLb0EEEEDaS1Q_S1R_EUlS1Q_E_NS1_11comp_targetILNS1_3genE0ELNS1_11target_archE4294967295ELNS1_3gpuE0ELNS1_3repE0EEENS1_30default_config_static_selectorELNS0_4arch9wavefront6targetE0EEEvS13_.uses_vcc, 0
	.set _ZN7rocprim17ROCPRIM_400000_NS6detail17trampoline_kernelINS0_13select_configILj256ELj13ELNS0_17block_load_methodE3ELS4_3ELS4_3ELNS0_20block_scan_algorithmE0ELj4294967295EEENS1_25partition_config_selectorILNS1_17partition_subalgoE4EjNS0_10empty_typeEbEEZZNS1_14partition_implILS8_4ELb0ES6_15HIP_vector_typeIjLj2EENS0_17counting_iteratorIjlEEPS9_SG_NS0_5tupleIJPjSI_NS0_16reverse_iteratorISI_EEEEENSH_IJSG_SG_SG_EEES9_SI_JZNS1_25segmented_radix_sort_implINS0_14default_configELb0EPK6__halfPSP_PKlPlN2at6native12_GLOBAL__N_18offset_tEEE10hipError_tPvRmT1_PNSt15iterator_traitsIS13_E10value_typeET2_T3_PNS14_IS19_E10value_typeET4_jRbjT5_S1F_jjP12ihipStream_tbEUljE_ZNSN_ISO_Lb0ESR_SS_SU_SV_SZ_EES10_S11_S12_S13_S17_S18_S19_S1C_S1D_jS1E_jS1F_S1F_jjS1H_bEUljE0_EEES10_S11_S12_S19_S1D_S1F_T6_T7_T9_mT8_S1H_bDpT10_ENKUlT_T0_E_clISt17integral_constantIbLb1EES1U_IbLb0EEEEDaS1Q_S1R_EUlS1Q_E_NS1_11comp_targetILNS1_3genE0ELNS1_11target_archE4294967295ELNS1_3gpuE0ELNS1_3repE0EEENS1_30default_config_static_selectorELNS0_4arch9wavefront6targetE0EEEvS13_.uses_flat_scratch, 0
	.set _ZN7rocprim17ROCPRIM_400000_NS6detail17trampoline_kernelINS0_13select_configILj256ELj13ELNS0_17block_load_methodE3ELS4_3ELS4_3ELNS0_20block_scan_algorithmE0ELj4294967295EEENS1_25partition_config_selectorILNS1_17partition_subalgoE4EjNS0_10empty_typeEbEEZZNS1_14partition_implILS8_4ELb0ES6_15HIP_vector_typeIjLj2EENS0_17counting_iteratorIjlEEPS9_SG_NS0_5tupleIJPjSI_NS0_16reverse_iteratorISI_EEEEENSH_IJSG_SG_SG_EEES9_SI_JZNS1_25segmented_radix_sort_implINS0_14default_configELb0EPK6__halfPSP_PKlPlN2at6native12_GLOBAL__N_18offset_tEEE10hipError_tPvRmT1_PNSt15iterator_traitsIS13_E10value_typeET2_T3_PNS14_IS19_E10value_typeET4_jRbjT5_S1F_jjP12ihipStream_tbEUljE_ZNSN_ISO_Lb0ESR_SS_SU_SV_SZ_EES10_S11_S12_S13_S17_S18_S19_S1C_S1D_jS1E_jS1F_S1F_jjS1H_bEUljE0_EEES10_S11_S12_S19_S1D_S1F_T6_T7_T9_mT8_S1H_bDpT10_ENKUlT_T0_E_clISt17integral_constantIbLb1EES1U_IbLb0EEEEDaS1Q_S1R_EUlS1Q_E_NS1_11comp_targetILNS1_3genE0ELNS1_11target_archE4294967295ELNS1_3gpuE0ELNS1_3repE0EEENS1_30default_config_static_selectorELNS0_4arch9wavefront6targetE0EEEvS13_.has_dyn_sized_stack, 0
	.set _ZN7rocprim17ROCPRIM_400000_NS6detail17trampoline_kernelINS0_13select_configILj256ELj13ELNS0_17block_load_methodE3ELS4_3ELS4_3ELNS0_20block_scan_algorithmE0ELj4294967295EEENS1_25partition_config_selectorILNS1_17partition_subalgoE4EjNS0_10empty_typeEbEEZZNS1_14partition_implILS8_4ELb0ES6_15HIP_vector_typeIjLj2EENS0_17counting_iteratorIjlEEPS9_SG_NS0_5tupleIJPjSI_NS0_16reverse_iteratorISI_EEEEENSH_IJSG_SG_SG_EEES9_SI_JZNS1_25segmented_radix_sort_implINS0_14default_configELb0EPK6__halfPSP_PKlPlN2at6native12_GLOBAL__N_18offset_tEEE10hipError_tPvRmT1_PNSt15iterator_traitsIS13_E10value_typeET2_T3_PNS14_IS19_E10value_typeET4_jRbjT5_S1F_jjP12ihipStream_tbEUljE_ZNSN_ISO_Lb0ESR_SS_SU_SV_SZ_EES10_S11_S12_S13_S17_S18_S19_S1C_S1D_jS1E_jS1F_S1F_jjS1H_bEUljE0_EEES10_S11_S12_S19_S1D_S1F_T6_T7_T9_mT8_S1H_bDpT10_ENKUlT_T0_E_clISt17integral_constantIbLb1EES1U_IbLb0EEEEDaS1Q_S1R_EUlS1Q_E_NS1_11comp_targetILNS1_3genE0ELNS1_11target_archE4294967295ELNS1_3gpuE0ELNS1_3repE0EEENS1_30default_config_static_selectorELNS0_4arch9wavefront6targetE0EEEvS13_.has_recursion, 0
	.set _ZN7rocprim17ROCPRIM_400000_NS6detail17trampoline_kernelINS0_13select_configILj256ELj13ELNS0_17block_load_methodE3ELS4_3ELS4_3ELNS0_20block_scan_algorithmE0ELj4294967295EEENS1_25partition_config_selectorILNS1_17partition_subalgoE4EjNS0_10empty_typeEbEEZZNS1_14partition_implILS8_4ELb0ES6_15HIP_vector_typeIjLj2EENS0_17counting_iteratorIjlEEPS9_SG_NS0_5tupleIJPjSI_NS0_16reverse_iteratorISI_EEEEENSH_IJSG_SG_SG_EEES9_SI_JZNS1_25segmented_radix_sort_implINS0_14default_configELb0EPK6__halfPSP_PKlPlN2at6native12_GLOBAL__N_18offset_tEEE10hipError_tPvRmT1_PNSt15iterator_traitsIS13_E10value_typeET2_T3_PNS14_IS19_E10value_typeET4_jRbjT5_S1F_jjP12ihipStream_tbEUljE_ZNSN_ISO_Lb0ESR_SS_SU_SV_SZ_EES10_S11_S12_S13_S17_S18_S19_S1C_S1D_jS1E_jS1F_S1F_jjS1H_bEUljE0_EEES10_S11_S12_S19_S1D_S1F_T6_T7_T9_mT8_S1H_bDpT10_ENKUlT_T0_E_clISt17integral_constantIbLb1EES1U_IbLb0EEEEDaS1Q_S1R_EUlS1Q_E_NS1_11comp_targetILNS1_3genE0ELNS1_11target_archE4294967295ELNS1_3gpuE0ELNS1_3repE0EEENS1_30default_config_static_selectorELNS0_4arch9wavefront6targetE0EEEvS13_.has_indirect_call, 0
	.section	.AMDGPU.csdata,"",@progbits
; Kernel info:
; codeLenInByte = 4
; TotalNumSgprs: 0
; NumVgprs: 0
; ScratchSize: 0
; MemoryBound: 0
; FloatMode: 240
; IeeeMode: 1
; LDSByteSize: 0 bytes/workgroup (compile time only)
; SGPRBlocks: 0
; VGPRBlocks: 0
; NumSGPRsForWavesPerEU: 1
; NumVGPRsForWavesPerEU: 1
; NamedBarCnt: 0
; Occupancy: 16
; WaveLimiterHint : 0
; COMPUTE_PGM_RSRC2:SCRATCH_EN: 0
; COMPUTE_PGM_RSRC2:USER_SGPR: 2
; COMPUTE_PGM_RSRC2:TRAP_HANDLER: 0
; COMPUTE_PGM_RSRC2:TGID_X_EN: 1
; COMPUTE_PGM_RSRC2:TGID_Y_EN: 0
; COMPUTE_PGM_RSRC2:TGID_Z_EN: 0
; COMPUTE_PGM_RSRC2:TIDIG_COMP_CNT: 0
	.section	.text._ZN7rocprim17ROCPRIM_400000_NS6detail17trampoline_kernelINS0_13select_configILj256ELj13ELNS0_17block_load_methodE3ELS4_3ELS4_3ELNS0_20block_scan_algorithmE0ELj4294967295EEENS1_25partition_config_selectorILNS1_17partition_subalgoE4EjNS0_10empty_typeEbEEZZNS1_14partition_implILS8_4ELb0ES6_15HIP_vector_typeIjLj2EENS0_17counting_iteratorIjlEEPS9_SG_NS0_5tupleIJPjSI_NS0_16reverse_iteratorISI_EEEEENSH_IJSG_SG_SG_EEES9_SI_JZNS1_25segmented_radix_sort_implINS0_14default_configELb0EPK6__halfPSP_PKlPlN2at6native12_GLOBAL__N_18offset_tEEE10hipError_tPvRmT1_PNSt15iterator_traitsIS13_E10value_typeET2_T3_PNS14_IS19_E10value_typeET4_jRbjT5_S1F_jjP12ihipStream_tbEUljE_ZNSN_ISO_Lb0ESR_SS_SU_SV_SZ_EES10_S11_S12_S13_S17_S18_S19_S1C_S1D_jS1E_jS1F_S1F_jjS1H_bEUljE0_EEES10_S11_S12_S19_S1D_S1F_T6_T7_T9_mT8_S1H_bDpT10_ENKUlT_T0_E_clISt17integral_constantIbLb1EES1U_IbLb0EEEEDaS1Q_S1R_EUlS1Q_E_NS1_11comp_targetILNS1_3genE5ELNS1_11target_archE942ELNS1_3gpuE9ELNS1_3repE0EEENS1_30default_config_static_selectorELNS0_4arch9wavefront6targetE0EEEvS13_,"axG",@progbits,_ZN7rocprim17ROCPRIM_400000_NS6detail17trampoline_kernelINS0_13select_configILj256ELj13ELNS0_17block_load_methodE3ELS4_3ELS4_3ELNS0_20block_scan_algorithmE0ELj4294967295EEENS1_25partition_config_selectorILNS1_17partition_subalgoE4EjNS0_10empty_typeEbEEZZNS1_14partition_implILS8_4ELb0ES6_15HIP_vector_typeIjLj2EENS0_17counting_iteratorIjlEEPS9_SG_NS0_5tupleIJPjSI_NS0_16reverse_iteratorISI_EEEEENSH_IJSG_SG_SG_EEES9_SI_JZNS1_25segmented_radix_sort_implINS0_14default_configELb0EPK6__halfPSP_PKlPlN2at6native12_GLOBAL__N_18offset_tEEE10hipError_tPvRmT1_PNSt15iterator_traitsIS13_E10value_typeET2_T3_PNS14_IS19_E10value_typeET4_jRbjT5_S1F_jjP12ihipStream_tbEUljE_ZNSN_ISO_Lb0ESR_SS_SU_SV_SZ_EES10_S11_S12_S13_S17_S18_S19_S1C_S1D_jS1E_jS1F_S1F_jjS1H_bEUljE0_EEES10_S11_S12_S19_S1D_S1F_T6_T7_T9_mT8_S1H_bDpT10_ENKUlT_T0_E_clISt17integral_constantIbLb1EES1U_IbLb0EEEEDaS1Q_S1R_EUlS1Q_E_NS1_11comp_targetILNS1_3genE5ELNS1_11target_archE942ELNS1_3gpuE9ELNS1_3repE0EEENS1_30default_config_static_selectorELNS0_4arch9wavefront6targetE0EEEvS13_,comdat
	.globl	_ZN7rocprim17ROCPRIM_400000_NS6detail17trampoline_kernelINS0_13select_configILj256ELj13ELNS0_17block_load_methodE3ELS4_3ELS4_3ELNS0_20block_scan_algorithmE0ELj4294967295EEENS1_25partition_config_selectorILNS1_17partition_subalgoE4EjNS0_10empty_typeEbEEZZNS1_14partition_implILS8_4ELb0ES6_15HIP_vector_typeIjLj2EENS0_17counting_iteratorIjlEEPS9_SG_NS0_5tupleIJPjSI_NS0_16reverse_iteratorISI_EEEEENSH_IJSG_SG_SG_EEES9_SI_JZNS1_25segmented_radix_sort_implINS0_14default_configELb0EPK6__halfPSP_PKlPlN2at6native12_GLOBAL__N_18offset_tEEE10hipError_tPvRmT1_PNSt15iterator_traitsIS13_E10value_typeET2_T3_PNS14_IS19_E10value_typeET4_jRbjT5_S1F_jjP12ihipStream_tbEUljE_ZNSN_ISO_Lb0ESR_SS_SU_SV_SZ_EES10_S11_S12_S13_S17_S18_S19_S1C_S1D_jS1E_jS1F_S1F_jjS1H_bEUljE0_EEES10_S11_S12_S19_S1D_S1F_T6_T7_T9_mT8_S1H_bDpT10_ENKUlT_T0_E_clISt17integral_constantIbLb1EES1U_IbLb0EEEEDaS1Q_S1R_EUlS1Q_E_NS1_11comp_targetILNS1_3genE5ELNS1_11target_archE942ELNS1_3gpuE9ELNS1_3repE0EEENS1_30default_config_static_selectorELNS0_4arch9wavefront6targetE0EEEvS13_ ; -- Begin function _ZN7rocprim17ROCPRIM_400000_NS6detail17trampoline_kernelINS0_13select_configILj256ELj13ELNS0_17block_load_methodE3ELS4_3ELS4_3ELNS0_20block_scan_algorithmE0ELj4294967295EEENS1_25partition_config_selectorILNS1_17partition_subalgoE4EjNS0_10empty_typeEbEEZZNS1_14partition_implILS8_4ELb0ES6_15HIP_vector_typeIjLj2EENS0_17counting_iteratorIjlEEPS9_SG_NS0_5tupleIJPjSI_NS0_16reverse_iteratorISI_EEEEENSH_IJSG_SG_SG_EEES9_SI_JZNS1_25segmented_radix_sort_implINS0_14default_configELb0EPK6__halfPSP_PKlPlN2at6native12_GLOBAL__N_18offset_tEEE10hipError_tPvRmT1_PNSt15iterator_traitsIS13_E10value_typeET2_T3_PNS14_IS19_E10value_typeET4_jRbjT5_S1F_jjP12ihipStream_tbEUljE_ZNSN_ISO_Lb0ESR_SS_SU_SV_SZ_EES10_S11_S12_S13_S17_S18_S19_S1C_S1D_jS1E_jS1F_S1F_jjS1H_bEUljE0_EEES10_S11_S12_S19_S1D_S1F_T6_T7_T9_mT8_S1H_bDpT10_ENKUlT_T0_E_clISt17integral_constantIbLb1EES1U_IbLb0EEEEDaS1Q_S1R_EUlS1Q_E_NS1_11comp_targetILNS1_3genE5ELNS1_11target_archE942ELNS1_3gpuE9ELNS1_3repE0EEENS1_30default_config_static_selectorELNS0_4arch9wavefront6targetE0EEEvS13_
	.p2align	8
	.type	_ZN7rocprim17ROCPRIM_400000_NS6detail17trampoline_kernelINS0_13select_configILj256ELj13ELNS0_17block_load_methodE3ELS4_3ELS4_3ELNS0_20block_scan_algorithmE0ELj4294967295EEENS1_25partition_config_selectorILNS1_17partition_subalgoE4EjNS0_10empty_typeEbEEZZNS1_14partition_implILS8_4ELb0ES6_15HIP_vector_typeIjLj2EENS0_17counting_iteratorIjlEEPS9_SG_NS0_5tupleIJPjSI_NS0_16reverse_iteratorISI_EEEEENSH_IJSG_SG_SG_EEES9_SI_JZNS1_25segmented_radix_sort_implINS0_14default_configELb0EPK6__halfPSP_PKlPlN2at6native12_GLOBAL__N_18offset_tEEE10hipError_tPvRmT1_PNSt15iterator_traitsIS13_E10value_typeET2_T3_PNS14_IS19_E10value_typeET4_jRbjT5_S1F_jjP12ihipStream_tbEUljE_ZNSN_ISO_Lb0ESR_SS_SU_SV_SZ_EES10_S11_S12_S13_S17_S18_S19_S1C_S1D_jS1E_jS1F_S1F_jjS1H_bEUljE0_EEES10_S11_S12_S19_S1D_S1F_T6_T7_T9_mT8_S1H_bDpT10_ENKUlT_T0_E_clISt17integral_constantIbLb1EES1U_IbLb0EEEEDaS1Q_S1R_EUlS1Q_E_NS1_11comp_targetILNS1_3genE5ELNS1_11target_archE942ELNS1_3gpuE9ELNS1_3repE0EEENS1_30default_config_static_selectorELNS0_4arch9wavefront6targetE0EEEvS13_,@function
_ZN7rocprim17ROCPRIM_400000_NS6detail17trampoline_kernelINS0_13select_configILj256ELj13ELNS0_17block_load_methodE3ELS4_3ELS4_3ELNS0_20block_scan_algorithmE0ELj4294967295EEENS1_25partition_config_selectorILNS1_17partition_subalgoE4EjNS0_10empty_typeEbEEZZNS1_14partition_implILS8_4ELb0ES6_15HIP_vector_typeIjLj2EENS0_17counting_iteratorIjlEEPS9_SG_NS0_5tupleIJPjSI_NS0_16reverse_iteratorISI_EEEEENSH_IJSG_SG_SG_EEES9_SI_JZNS1_25segmented_radix_sort_implINS0_14default_configELb0EPK6__halfPSP_PKlPlN2at6native12_GLOBAL__N_18offset_tEEE10hipError_tPvRmT1_PNSt15iterator_traitsIS13_E10value_typeET2_T3_PNS14_IS19_E10value_typeET4_jRbjT5_S1F_jjP12ihipStream_tbEUljE_ZNSN_ISO_Lb0ESR_SS_SU_SV_SZ_EES10_S11_S12_S13_S17_S18_S19_S1C_S1D_jS1E_jS1F_S1F_jjS1H_bEUljE0_EEES10_S11_S12_S19_S1D_S1F_T6_T7_T9_mT8_S1H_bDpT10_ENKUlT_T0_E_clISt17integral_constantIbLb1EES1U_IbLb0EEEEDaS1Q_S1R_EUlS1Q_E_NS1_11comp_targetILNS1_3genE5ELNS1_11target_archE942ELNS1_3gpuE9ELNS1_3repE0EEENS1_30default_config_static_selectorELNS0_4arch9wavefront6targetE0EEEvS13_: ; @_ZN7rocprim17ROCPRIM_400000_NS6detail17trampoline_kernelINS0_13select_configILj256ELj13ELNS0_17block_load_methodE3ELS4_3ELS4_3ELNS0_20block_scan_algorithmE0ELj4294967295EEENS1_25partition_config_selectorILNS1_17partition_subalgoE4EjNS0_10empty_typeEbEEZZNS1_14partition_implILS8_4ELb0ES6_15HIP_vector_typeIjLj2EENS0_17counting_iteratorIjlEEPS9_SG_NS0_5tupleIJPjSI_NS0_16reverse_iteratorISI_EEEEENSH_IJSG_SG_SG_EEES9_SI_JZNS1_25segmented_radix_sort_implINS0_14default_configELb0EPK6__halfPSP_PKlPlN2at6native12_GLOBAL__N_18offset_tEEE10hipError_tPvRmT1_PNSt15iterator_traitsIS13_E10value_typeET2_T3_PNS14_IS19_E10value_typeET4_jRbjT5_S1F_jjP12ihipStream_tbEUljE_ZNSN_ISO_Lb0ESR_SS_SU_SV_SZ_EES10_S11_S12_S13_S17_S18_S19_S1C_S1D_jS1E_jS1F_S1F_jjS1H_bEUljE0_EEES10_S11_S12_S19_S1D_S1F_T6_T7_T9_mT8_S1H_bDpT10_ENKUlT_T0_E_clISt17integral_constantIbLb1EES1U_IbLb0EEEEDaS1Q_S1R_EUlS1Q_E_NS1_11comp_targetILNS1_3genE5ELNS1_11target_archE942ELNS1_3gpuE9ELNS1_3repE0EEENS1_30default_config_static_selectorELNS0_4arch9wavefront6targetE0EEEvS13_
; %bb.0:
	.section	.rodata,"a",@progbits
	.p2align	6, 0x0
	.amdhsa_kernel _ZN7rocprim17ROCPRIM_400000_NS6detail17trampoline_kernelINS0_13select_configILj256ELj13ELNS0_17block_load_methodE3ELS4_3ELS4_3ELNS0_20block_scan_algorithmE0ELj4294967295EEENS1_25partition_config_selectorILNS1_17partition_subalgoE4EjNS0_10empty_typeEbEEZZNS1_14partition_implILS8_4ELb0ES6_15HIP_vector_typeIjLj2EENS0_17counting_iteratorIjlEEPS9_SG_NS0_5tupleIJPjSI_NS0_16reverse_iteratorISI_EEEEENSH_IJSG_SG_SG_EEES9_SI_JZNS1_25segmented_radix_sort_implINS0_14default_configELb0EPK6__halfPSP_PKlPlN2at6native12_GLOBAL__N_18offset_tEEE10hipError_tPvRmT1_PNSt15iterator_traitsIS13_E10value_typeET2_T3_PNS14_IS19_E10value_typeET4_jRbjT5_S1F_jjP12ihipStream_tbEUljE_ZNSN_ISO_Lb0ESR_SS_SU_SV_SZ_EES10_S11_S12_S13_S17_S18_S19_S1C_S1D_jS1E_jS1F_S1F_jjS1H_bEUljE0_EEES10_S11_S12_S19_S1D_S1F_T6_T7_T9_mT8_S1H_bDpT10_ENKUlT_T0_E_clISt17integral_constantIbLb1EES1U_IbLb0EEEEDaS1Q_S1R_EUlS1Q_E_NS1_11comp_targetILNS1_3genE5ELNS1_11target_archE942ELNS1_3gpuE9ELNS1_3repE0EEENS1_30default_config_static_selectorELNS0_4arch9wavefront6targetE0EEEvS13_
		.amdhsa_group_segment_fixed_size 0
		.amdhsa_private_segment_fixed_size 0
		.amdhsa_kernarg_size 176
		.amdhsa_user_sgpr_count 2
		.amdhsa_user_sgpr_dispatch_ptr 0
		.amdhsa_user_sgpr_queue_ptr 0
		.amdhsa_user_sgpr_kernarg_segment_ptr 1
		.amdhsa_user_sgpr_dispatch_id 0
		.amdhsa_user_sgpr_kernarg_preload_length 0
		.amdhsa_user_sgpr_kernarg_preload_offset 0
		.amdhsa_user_sgpr_private_segment_size 0
		.amdhsa_wavefront_size32 1
		.amdhsa_uses_dynamic_stack 0
		.amdhsa_enable_private_segment 0
		.amdhsa_system_sgpr_workgroup_id_x 1
		.amdhsa_system_sgpr_workgroup_id_y 0
		.amdhsa_system_sgpr_workgroup_id_z 0
		.amdhsa_system_sgpr_workgroup_info 0
		.amdhsa_system_vgpr_workitem_id 0
		.amdhsa_next_free_vgpr 1
		.amdhsa_next_free_sgpr 1
		.amdhsa_named_barrier_count 0
		.amdhsa_reserve_vcc 0
		.amdhsa_float_round_mode_32 0
		.amdhsa_float_round_mode_16_64 0
		.amdhsa_float_denorm_mode_32 3
		.amdhsa_float_denorm_mode_16_64 3
		.amdhsa_fp16_overflow 0
		.amdhsa_memory_ordered 1
		.amdhsa_forward_progress 1
		.amdhsa_inst_pref_size 0
		.amdhsa_round_robin_scheduling 0
		.amdhsa_exception_fp_ieee_invalid_op 0
		.amdhsa_exception_fp_denorm_src 0
		.amdhsa_exception_fp_ieee_div_zero 0
		.amdhsa_exception_fp_ieee_overflow 0
		.amdhsa_exception_fp_ieee_underflow 0
		.amdhsa_exception_fp_ieee_inexact 0
		.amdhsa_exception_int_div_zero 0
	.end_amdhsa_kernel
	.section	.text._ZN7rocprim17ROCPRIM_400000_NS6detail17trampoline_kernelINS0_13select_configILj256ELj13ELNS0_17block_load_methodE3ELS4_3ELS4_3ELNS0_20block_scan_algorithmE0ELj4294967295EEENS1_25partition_config_selectorILNS1_17partition_subalgoE4EjNS0_10empty_typeEbEEZZNS1_14partition_implILS8_4ELb0ES6_15HIP_vector_typeIjLj2EENS0_17counting_iteratorIjlEEPS9_SG_NS0_5tupleIJPjSI_NS0_16reverse_iteratorISI_EEEEENSH_IJSG_SG_SG_EEES9_SI_JZNS1_25segmented_radix_sort_implINS0_14default_configELb0EPK6__halfPSP_PKlPlN2at6native12_GLOBAL__N_18offset_tEEE10hipError_tPvRmT1_PNSt15iterator_traitsIS13_E10value_typeET2_T3_PNS14_IS19_E10value_typeET4_jRbjT5_S1F_jjP12ihipStream_tbEUljE_ZNSN_ISO_Lb0ESR_SS_SU_SV_SZ_EES10_S11_S12_S13_S17_S18_S19_S1C_S1D_jS1E_jS1F_S1F_jjS1H_bEUljE0_EEES10_S11_S12_S19_S1D_S1F_T6_T7_T9_mT8_S1H_bDpT10_ENKUlT_T0_E_clISt17integral_constantIbLb1EES1U_IbLb0EEEEDaS1Q_S1R_EUlS1Q_E_NS1_11comp_targetILNS1_3genE5ELNS1_11target_archE942ELNS1_3gpuE9ELNS1_3repE0EEENS1_30default_config_static_selectorELNS0_4arch9wavefront6targetE0EEEvS13_,"axG",@progbits,_ZN7rocprim17ROCPRIM_400000_NS6detail17trampoline_kernelINS0_13select_configILj256ELj13ELNS0_17block_load_methodE3ELS4_3ELS4_3ELNS0_20block_scan_algorithmE0ELj4294967295EEENS1_25partition_config_selectorILNS1_17partition_subalgoE4EjNS0_10empty_typeEbEEZZNS1_14partition_implILS8_4ELb0ES6_15HIP_vector_typeIjLj2EENS0_17counting_iteratorIjlEEPS9_SG_NS0_5tupleIJPjSI_NS0_16reverse_iteratorISI_EEEEENSH_IJSG_SG_SG_EEES9_SI_JZNS1_25segmented_radix_sort_implINS0_14default_configELb0EPK6__halfPSP_PKlPlN2at6native12_GLOBAL__N_18offset_tEEE10hipError_tPvRmT1_PNSt15iterator_traitsIS13_E10value_typeET2_T3_PNS14_IS19_E10value_typeET4_jRbjT5_S1F_jjP12ihipStream_tbEUljE_ZNSN_ISO_Lb0ESR_SS_SU_SV_SZ_EES10_S11_S12_S13_S17_S18_S19_S1C_S1D_jS1E_jS1F_S1F_jjS1H_bEUljE0_EEES10_S11_S12_S19_S1D_S1F_T6_T7_T9_mT8_S1H_bDpT10_ENKUlT_T0_E_clISt17integral_constantIbLb1EES1U_IbLb0EEEEDaS1Q_S1R_EUlS1Q_E_NS1_11comp_targetILNS1_3genE5ELNS1_11target_archE942ELNS1_3gpuE9ELNS1_3repE0EEENS1_30default_config_static_selectorELNS0_4arch9wavefront6targetE0EEEvS13_,comdat
.Lfunc_end1785:
	.size	_ZN7rocprim17ROCPRIM_400000_NS6detail17trampoline_kernelINS0_13select_configILj256ELj13ELNS0_17block_load_methodE3ELS4_3ELS4_3ELNS0_20block_scan_algorithmE0ELj4294967295EEENS1_25partition_config_selectorILNS1_17partition_subalgoE4EjNS0_10empty_typeEbEEZZNS1_14partition_implILS8_4ELb0ES6_15HIP_vector_typeIjLj2EENS0_17counting_iteratorIjlEEPS9_SG_NS0_5tupleIJPjSI_NS0_16reverse_iteratorISI_EEEEENSH_IJSG_SG_SG_EEES9_SI_JZNS1_25segmented_radix_sort_implINS0_14default_configELb0EPK6__halfPSP_PKlPlN2at6native12_GLOBAL__N_18offset_tEEE10hipError_tPvRmT1_PNSt15iterator_traitsIS13_E10value_typeET2_T3_PNS14_IS19_E10value_typeET4_jRbjT5_S1F_jjP12ihipStream_tbEUljE_ZNSN_ISO_Lb0ESR_SS_SU_SV_SZ_EES10_S11_S12_S13_S17_S18_S19_S1C_S1D_jS1E_jS1F_S1F_jjS1H_bEUljE0_EEES10_S11_S12_S19_S1D_S1F_T6_T7_T9_mT8_S1H_bDpT10_ENKUlT_T0_E_clISt17integral_constantIbLb1EES1U_IbLb0EEEEDaS1Q_S1R_EUlS1Q_E_NS1_11comp_targetILNS1_3genE5ELNS1_11target_archE942ELNS1_3gpuE9ELNS1_3repE0EEENS1_30default_config_static_selectorELNS0_4arch9wavefront6targetE0EEEvS13_, .Lfunc_end1785-_ZN7rocprim17ROCPRIM_400000_NS6detail17trampoline_kernelINS0_13select_configILj256ELj13ELNS0_17block_load_methodE3ELS4_3ELS4_3ELNS0_20block_scan_algorithmE0ELj4294967295EEENS1_25partition_config_selectorILNS1_17partition_subalgoE4EjNS0_10empty_typeEbEEZZNS1_14partition_implILS8_4ELb0ES6_15HIP_vector_typeIjLj2EENS0_17counting_iteratorIjlEEPS9_SG_NS0_5tupleIJPjSI_NS0_16reverse_iteratorISI_EEEEENSH_IJSG_SG_SG_EEES9_SI_JZNS1_25segmented_radix_sort_implINS0_14default_configELb0EPK6__halfPSP_PKlPlN2at6native12_GLOBAL__N_18offset_tEEE10hipError_tPvRmT1_PNSt15iterator_traitsIS13_E10value_typeET2_T3_PNS14_IS19_E10value_typeET4_jRbjT5_S1F_jjP12ihipStream_tbEUljE_ZNSN_ISO_Lb0ESR_SS_SU_SV_SZ_EES10_S11_S12_S13_S17_S18_S19_S1C_S1D_jS1E_jS1F_S1F_jjS1H_bEUljE0_EEES10_S11_S12_S19_S1D_S1F_T6_T7_T9_mT8_S1H_bDpT10_ENKUlT_T0_E_clISt17integral_constantIbLb1EES1U_IbLb0EEEEDaS1Q_S1R_EUlS1Q_E_NS1_11comp_targetILNS1_3genE5ELNS1_11target_archE942ELNS1_3gpuE9ELNS1_3repE0EEENS1_30default_config_static_selectorELNS0_4arch9wavefront6targetE0EEEvS13_
                                        ; -- End function
	.set _ZN7rocprim17ROCPRIM_400000_NS6detail17trampoline_kernelINS0_13select_configILj256ELj13ELNS0_17block_load_methodE3ELS4_3ELS4_3ELNS0_20block_scan_algorithmE0ELj4294967295EEENS1_25partition_config_selectorILNS1_17partition_subalgoE4EjNS0_10empty_typeEbEEZZNS1_14partition_implILS8_4ELb0ES6_15HIP_vector_typeIjLj2EENS0_17counting_iteratorIjlEEPS9_SG_NS0_5tupleIJPjSI_NS0_16reverse_iteratorISI_EEEEENSH_IJSG_SG_SG_EEES9_SI_JZNS1_25segmented_radix_sort_implINS0_14default_configELb0EPK6__halfPSP_PKlPlN2at6native12_GLOBAL__N_18offset_tEEE10hipError_tPvRmT1_PNSt15iterator_traitsIS13_E10value_typeET2_T3_PNS14_IS19_E10value_typeET4_jRbjT5_S1F_jjP12ihipStream_tbEUljE_ZNSN_ISO_Lb0ESR_SS_SU_SV_SZ_EES10_S11_S12_S13_S17_S18_S19_S1C_S1D_jS1E_jS1F_S1F_jjS1H_bEUljE0_EEES10_S11_S12_S19_S1D_S1F_T6_T7_T9_mT8_S1H_bDpT10_ENKUlT_T0_E_clISt17integral_constantIbLb1EES1U_IbLb0EEEEDaS1Q_S1R_EUlS1Q_E_NS1_11comp_targetILNS1_3genE5ELNS1_11target_archE942ELNS1_3gpuE9ELNS1_3repE0EEENS1_30default_config_static_selectorELNS0_4arch9wavefront6targetE0EEEvS13_.num_vgpr, 0
	.set _ZN7rocprim17ROCPRIM_400000_NS6detail17trampoline_kernelINS0_13select_configILj256ELj13ELNS0_17block_load_methodE3ELS4_3ELS4_3ELNS0_20block_scan_algorithmE0ELj4294967295EEENS1_25partition_config_selectorILNS1_17partition_subalgoE4EjNS0_10empty_typeEbEEZZNS1_14partition_implILS8_4ELb0ES6_15HIP_vector_typeIjLj2EENS0_17counting_iteratorIjlEEPS9_SG_NS0_5tupleIJPjSI_NS0_16reverse_iteratorISI_EEEEENSH_IJSG_SG_SG_EEES9_SI_JZNS1_25segmented_radix_sort_implINS0_14default_configELb0EPK6__halfPSP_PKlPlN2at6native12_GLOBAL__N_18offset_tEEE10hipError_tPvRmT1_PNSt15iterator_traitsIS13_E10value_typeET2_T3_PNS14_IS19_E10value_typeET4_jRbjT5_S1F_jjP12ihipStream_tbEUljE_ZNSN_ISO_Lb0ESR_SS_SU_SV_SZ_EES10_S11_S12_S13_S17_S18_S19_S1C_S1D_jS1E_jS1F_S1F_jjS1H_bEUljE0_EEES10_S11_S12_S19_S1D_S1F_T6_T7_T9_mT8_S1H_bDpT10_ENKUlT_T0_E_clISt17integral_constantIbLb1EES1U_IbLb0EEEEDaS1Q_S1R_EUlS1Q_E_NS1_11comp_targetILNS1_3genE5ELNS1_11target_archE942ELNS1_3gpuE9ELNS1_3repE0EEENS1_30default_config_static_selectorELNS0_4arch9wavefront6targetE0EEEvS13_.num_agpr, 0
	.set _ZN7rocprim17ROCPRIM_400000_NS6detail17trampoline_kernelINS0_13select_configILj256ELj13ELNS0_17block_load_methodE3ELS4_3ELS4_3ELNS0_20block_scan_algorithmE0ELj4294967295EEENS1_25partition_config_selectorILNS1_17partition_subalgoE4EjNS0_10empty_typeEbEEZZNS1_14partition_implILS8_4ELb0ES6_15HIP_vector_typeIjLj2EENS0_17counting_iteratorIjlEEPS9_SG_NS0_5tupleIJPjSI_NS0_16reverse_iteratorISI_EEEEENSH_IJSG_SG_SG_EEES9_SI_JZNS1_25segmented_radix_sort_implINS0_14default_configELb0EPK6__halfPSP_PKlPlN2at6native12_GLOBAL__N_18offset_tEEE10hipError_tPvRmT1_PNSt15iterator_traitsIS13_E10value_typeET2_T3_PNS14_IS19_E10value_typeET4_jRbjT5_S1F_jjP12ihipStream_tbEUljE_ZNSN_ISO_Lb0ESR_SS_SU_SV_SZ_EES10_S11_S12_S13_S17_S18_S19_S1C_S1D_jS1E_jS1F_S1F_jjS1H_bEUljE0_EEES10_S11_S12_S19_S1D_S1F_T6_T7_T9_mT8_S1H_bDpT10_ENKUlT_T0_E_clISt17integral_constantIbLb1EES1U_IbLb0EEEEDaS1Q_S1R_EUlS1Q_E_NS1_11comp_targetILNS1_3genE5ELNS1_11target_archE942ELNS1_3gpuE9ELNS1_3repE0EEENS1_30default_config_static_selectorELNS0_4arch9wavefront6targetE0EEEvS13_.numbered_sgpr, 0
	.set _ZN7rocprim17ROCPRIM_400000_NS6detail17trampoline_kernelINS0_13select_configILj256ELj13ELNS0_17block_load_methodE3ELS4_3ELS4_3ELNS0_20block_scan_algorithmE0ELj4294967295EEENS1_25partition_config_selectorILNS1_17partition_subalgoE4EjNS0_10empty_typeEbEEZZNS1_14partition_implILS8_4ELb0ES6_15HIP_vector_typeIjLj2EENS0_17counting_iteratorIjlEEPS9_SG_NS0_5tupleIJPjSI_NS0_16reverse_iteratorISI_EEEEENSH_IJSG_SG_SG_EEES9_SI_JZNS1_25segmented_radix_sort_implINS0_14default_configELb0EPK6__halfPSP_PKlPlN2at6native12_GLOBAL__N_18offset_tEEE10hipError_tPvRmT1_PNSt15iterator_traitsIS13_E10value_typeET2_T3_PNS14_IS19_E10value_typeET4_jRbjT5_S1F_jjP12ihipStream_tbEUljE_ZNSN_ISO_Lb0ESR_SS_SU_SV_SZ_EES10_S11_S12_S13_S17_S18_S19_S1C_S1D_jS1E_jS1F_S1F_jjS1H_bEUljE0_EEES10_S11_S12_S19_S1D_S1F_T6_T7_T9_mT8_S1H_bDpT10_ENKUlT_T0_E_clISt17integral_constantIbLb1EES1U_IbLb0EEEEDaS1Q_S1R_EUlS1Q_E_NS1_11comp_targetILNS1_3genE5ELNS1_11target_archE942ELNS1_3gpuE9ELNS1_3repE0EEENS1_30default_config_static_selectorELNS0_4arch9wavefront6targetE0EEEvS13_.num_named_barrier, 0
	.set _ZN7rocprim17ROCPRIM_400000_NS6detail17trampoline_kernelINS0_13select_configILj256ELj13ELNS0_17block_load_methodE3ELS4_3ELS4_3ELNS0_20block_scan_algorithmE0ELj4294967295EEENS1_25partition_config_selectorILNS1_17partition_subalgoE4EjNS0_10empty_typeEbEEZZNS1_14partition_implILS8_4ELb0ES6_15HIP_vector_typeIjLj2EENS0_17counting_iteratorIjlEEPS9_SG_NS0_5tupleIJPjSI_NS0_16reverse_iteratorISI_EEEEENSH_IJSG_SG_SG_EEES9_SI_JZNS1_25segmented_radix_sort_implINS0_14default_configELb0EPK6__halfPSP_PKlPlN2at6native12_GLOBAL__N_18offset_tEEE10hipError_tPvRmT1_PNSt15iterator_traitsIS13_E10value_typeET2_T3_PNS14_IS19_E10value_typeET4_jRbjT5_S1F_jjP12ihipStream_tbEUljE_ZNSN_ISO_Lb0ESR_SS_SU_SV_SZ_EES10_S11_S12_S13_S17_S18_S19_S1C_S1D_jS1E_jS1F_S1F_jjS1H_bEUljE0_EEES10_S11_S12_S19_S1D_S1F_T6_T7_T9_mT8_S1H_bDpT10_ENKUlT_T0_E_clISt17integral_constantIbLb1EES1U_IbLb0EEEEDaS1Q_S1R_EUlS1Q_E_NS1_11comp_targetILNS1_3genE5ELNS1_11target_archE942ELNS1_3gpuE9ELNS1_3repE0EEENS1_30default_config_static_selectorELNS0_4arch9wavefront6targetE0EEEvS13_.private_seg_size, 0
	.set _ZN7rocprim17ROCPRIM_400000_NS6detail17trampoline_kernelINS0_13select_configILj256ELj13ELNS0_17block_load_methodE3ELS4_3ELS4_3ELNS0_20block_scan_algorithmE0ELj4294967295EEENS1_25partition_config_selectorILNS1_17partition_subalgoE4EjNS0_10empty_typeEbEEZZNS1_14partition_implILS8_4ELb0ES6_15HIP_vector_typeIjLj2EENS0_17counting_iteratorIjlEEPS9_SG_NS0_5tupleIJPjSI_NS0_16reverse_iteratorISI_EEEEENSH_IJSG_SG_SG_EEES9_SI_JZNS1_25segmented_radix_sort_implINS0_14default_configELb0EPK6__halfPSP_PKlPlN2at6native12_GLOBAL__N_18offset_tEEE10hipError_tPvRmT1_PNSt15iterator_traitsIS13_E10value_typeET2_T3_PNS14_IS19_E10value_typeET4_jRbjT5_S1F_jjP12ihipStream_tbEUljE_ZNSN_ISO_Lb0ESR_SS_SU_SV_SZ_EES10_S11_S12_S13_S17_S18_S19_S1C_S1D_jS1E_jS1F_S1F_jjS1H_bEUljE0_EEES10_S11_S12_S19_S1D_S1F_T6_T7_T9_mT8_S1H_bDpT10_ENKUlT_T0_E_clISt17integral_constantIbLb1EES1U_IbLb0EEEEDaS1Q_S1R_EUlS1Q_E_NS1_11comp_targetILNS1_3genE5ELNS1_11target_archE942ELNS1_3gpuE9ELNS1_3repE0EEENS1_30default_config_static_selectorELNS0_4arch9wavefront6targetE0EEEvS13_.uses_vcc, 0
	.set _ZN7rocprim17ROCPRIM_400000_NS6detail17trampoline_kernelINS0_13select_configILj256ELj13ELNS0_17block_load_methodE3ELS4_3ELS4_3ELNS0_20block_scan_algorithmE0ELj4294967295EEENS1_25partition_config_selectorILNS1_17partition_subalgoE4EjNS0_10empty_typeEbEEZZNS1_14partition_implILS8_4ELb0ES6_15HIP_vector_typeIjLj2EENS0_17counting_iteratorIjlEEPS9_SG_NS0_5tupleIJPjSI_NS0_16reverse_iteratorISI_EEEEENSH_IJSG_SG_SG_EEES9_SI_JZNS1_25segmented_radix_sort_implINS0_14default_configELb0EPK6__halfPSP_PKlPlN2at6native12_GLOBAL__N_18offset_tEEE10hipError_tPvRmT1_PNSt15iterator_traitsIS13_E10value_typeET2_T3_PNS14_IS19_E10value_typeET4_jRbjT5_S1F_jjP12ihipStream_tbEUljE_ZNSN_ISO_Lb0ESR_SS_SU_SV_SZ_EES10_S11_S12_S13_S17_S18_S19_S1C_S1D_jS1E_jS1F_S1F_jjS1H_bEUljE0_EEES10_S11_S12_S19_S1D_S1F_T6_T7_T9_mT8_S1H_bDpT10_ENKUlT_T0_E_clISt17integral_constantIbLb1EES1U_IbLb0EEEEDaS1Q_S1R_EUlS1Q_E_NS1_11comp_targetILNS1_3genE5ELNS1_11target_archE942ELNS1_3gpuE9ELNS1_3repE0EEENS1_30default_config_static_selectorELNS0_4arch9wavefront6targetE0EEEvS13_.uses_flat_scratch, 0
	.set _ZN7rocprim17ROCPRIM_400000_NS6detail17trampoline_kernelINS0_13select_configILj256ELj13ELNS0_17block_load_methodE3ELS4_3ELS4_3ELNS0_20block_scan_algorithmE0ELj4294967295EEENS1_25partition_config_selectorILNS1_17partition_subalgoE4EjNS0_10empty_typeEbEEZZNS1_14partition_implILS8_4ELb0ES6_15HIP_vector_typeIjLj2EENS0_17counting_iteratorIjlEEPS9_SG_NS0_5tupleIJPjSI_NS0_16reverse_iteratorISI_EEEEENSH_IJSG_SG_SG_EEES9_SI_JZNS1_25segmented_radix_sort_implINS0_14default_configELb0EPK6__halfPSP_PKlPlN2at6native12_GLOBAL__N_18offset_tEEE10hipError_tPvRmT1_PNSt15iterator_traitsIS13_E10value_typeET2_T3_PNS14_IS19_E10value_typeET4_jRbjT5_S1F_jjP12ihipStream_tbEUljE_ZNSN_ISO_Lb0ESR_SS_SU_SV_SZ_EES10_S11_S12_S13_S17_S18_S19_S1C_S1D_jS1E_jS1F_S1F_jjS1H_bEUljE0_EEES10_S11_S12_S19_S1D_S1F_T6_T7_T9_mT8_S1H_bDpT10_ENKUlT_T0_E_clISt17integral_constantIbLb1EES1U_IbLb0EEEEDaS1Q_S1R_EUlS1Q_E_NS1_11comp_targetILNS1_3genE5ELNS1_11target_archE942ELNS1_3gpuE9ELNS1_3repE0EEENS1_30default_config_static_selectorELNS0_4arch9wavefront6targetE0EEEvS13_.has_dyn_sized_stack, 0
	.set _ZN7rocprim17ROCPRIM_400000_NS6detail17trampoline_kernelINS0_13select_configILj256ELj13ELNS0_17block_load_methodE3ELS4_3ELS4_3ELNS0_20block_scan_algorithmE0ELj4294967295EEENS1_25partition_config_selectorILNS1_17partition_subalgoE4EjNS0_10empty_typeEbEEZZNS1_14partition_implILS8_4ELb0ES6_15HIP_vector_typeIjLj2EENS0_17counting_iteratorIjlEEPS9_SG_NS0_5tupleIJPjSI_NS0_16reverse_iteratorISI_EEEEENSH_IJSG_SG_SG_EEES9_SI_JZNS1_25segmented_radix_sort_implINS0_14default_configELb0EPK6__halfPSP_PKlPlN2at6native12_GLOBAL__N_18offset_tEEE10hipError_tPvRmT1_PNSt15iterator_traitsIS13_E10value_typeET2_T3_PNS14_IS19_E10value_typeET4_jRbjT5_S1F_jjP12ihipStream_tbEUljE_ZNSN_ISO_Lb0ESR_SS_SU_SV_SZ_EES10_S11_S12_S13_S17_S18_S19_S1C_S1D_jS1E_jS1F_S1F_jjS1H_bEUljE0_EEES10_S11_S12_S19_S1D_S1F_T6_T7_T9_mT8_S1H_bDpT10_ENKUlT_T0_E_clISt17integral_constantIbLb1EES1U_IbLb0EEEEDaS1Q_S1R_EUlS1Q_E_NS1_11comp_targetILNS1_3genE5ELNS1_11target_archE942ELNS1_3gpuE9ELNS1_3repE0EEENS1_30default_config_static_selectorELNS0_4arch9wavefront6targetE0EEEvS13_.has_recursion, 0
	.set _ZN7rocprim17ROCPRIM_400000_NS6detail17trampoline_kernelINS0_13select_configILj256ELj13ELNS0_17block_load_methodE3ELS4_3ELS4_3ELNS0_20block_scan_algorithmE0ELj4294967295EEENS1_25partition_config_selectorILNS1_17partition_subalgoE4EjNS0_10empty_typeEbEEZZNS1_14partition_implILS8_4ELb0ES6_15HIP_vector_typeIjLj2EENS0_17counting_iteratorIjlEEPS9_SG_NS0_5tupleIJPjSI_NS0_16reverse_iteratorISI_EEEEENSH_IJSG_SG_SG_EEES9_SI_JZNS1_25segmented_radix_sort_implINS0_14default_configELb0EPK6__halfPSP_PKlPlN2at6native12_GLOBAL__N_18offset_tEEE10hipError_tPvRmT1_PNSt15iterator_traitsIS13_E10value_typeET2_T3_PNS14_IS19_E10value_typeET4_jRbjT5_S1F_jjP12ihipStream_tbEUljE_ZNSN_ISO_Lb0ESR_SS_SU_SV_SZ_EES10_S11_S12_S13_S17_S18_S19_S1C_S1D_jS1E_jS1F_S1F_jjS1H_bEUljE0_EEES10_S11_S12_S19_S1D_S1F_T6_T7_T9_mT8_S1H_bDpT10_ENKUlT_T0_E_clISt17integral_constantIbLb1EES1U_IbLb0EEEEDaS1Q_S1R_EUlS1Q_E_NS1_11comp_targetILNS1_3genE5ELNS1_11target_archE942ELNS1_3gpuE9ELNS1_3repE0EEENS1_30default_config_static_selectorELNS0_4arch9wavefront6targetE0EEEvS13_.has_indirect_call, 0
	.section	.AMDGPU.csdata,"",@progbits
; Kernel info:
; codeLenInByte = 0
; TotalNumSgprs: 0
; NumVgprs: 0
; ScratchSize: 0
; MemoryBound: 0
; FloatMode: 240
; IeeeMode: 1
; LDSByteSize: 0 bytes/workgroup (compile time only)
; SGPRBlocks: 0
; VGPRBlocks: 0
; NumSGPRsForWavesPerEU: 1
; NumVGPRsForWavesPerEU: 1
; NamedBarCnt: 0
; Occupancy: 16
; WaveLimiterHint : 0
; COMPUTE_PGM_RSRC2:SCRATCH_EN: 0
; COMPUTE_PGM_RSRC2:USER_SGPR: 2
; COMPUTE_PGM_RSRC2:TRAP_HANDLER: 0
; COMPUTE_PGM_RSRC2:TGID_X_EN: 1
; COMPUTE_PGM_RSRC2:TGID_Y_EN: 0
; COMPUTE_PGM_RSRC2:TGID_Z_EN: 0
; COMPUTE_PGM_RSRC2:TIDIG_COMP_CNT: 0
	.section	.text._ZN7rocprim17ROCPRIM_400000_NS6detail17trampoline_kernelINS0_13select_configILj256ELj13ELNS0_17block_load_methodE3ELS4_3ELS4_3ELNS0_20block_scan_algorithmE0ELj4294967295EEENS1_25partition_config_selectorILNS1_17partition_subalgoE4EjNS0_10empty_typeEbEEZZNS1_14partition_implILS8_4ELb0ES6_15HIP_vector_typeIjLj2EENS0_17counting_iteratorIjlEEPS9_SG_NS0_5tupleIJPjSI_NS0_16reverse_iteratorISI_EEEEENSH_IJSG_SG_SG_EEES9_SI_JZNS1_25segmented_radix_sort_implINS0_14default_configELb0EPK6__halfPSP_PKlPlN2at6native12_GLOBAL__N_18offset_tEEE10hipError_tPvRmT1_PNSt15iterator_traitsIS13_E10value_typeET2_T3_PNS14_IS19_E10value_typeET4_jRbjT5_S1F_jjP12ihipStream_tbEUljE_ZNSN_ISO_Lb0ESR_SS_SU_SV_SZ_EES10_S11_S12_S13_S17_S18_S19_S1C_S1D_jS1E_jS1F_S1F_jjS1H_bEUljE0_EEES10_S11_S12_S19_S1D_S1F_T6_T7_T9_mT8_S1H_bDpT10_ENKUlT_T0_E_clISt17integral_constantIbLb1EES1U_IbLb0EEEEDaS1Q_S1R_EUlS1Q_E_NS1_11comp_targetILNS1_3genE4ELNS1_11target_archE910ELNS1_3gpuE8ELNS1_3repE0EEENS1_30default_config_static_selectorELNS0_4arch9wavefront6targetE0EEEvS13_,"axG",@progbits,_ZN7rocprim17ROCPRIM_400000_NS6detail17trampoline_kernelINS0_13select_configILj256ELj13ELNS0_17block_load_methodE3ELS4_3ELS4_3ELNS0_20block_scan_algorithmE0ELj4294967295EEENS1_25partition_config_selectorILNS1_17partition_subalgoE4EjNS0_10empty_typeEbEEZZNS1_14partition_implILS8_4ELb0ES6_15HIP_vector_typeIjLj2EENS0_17counting_iteratorIjlEEPS9_SG_NS0_5tupleIJPjSI_NS0_16reverse_iteratorISI_EEEEENSH_IJSG_SG_SG_EEES9_SI_JZNS1_25segmented_radix_sort_implINS0_14default_configELb0EPK6__halfPSP_PKlPlN2at6native12_GLOBAL__N_18offset_tEEE10hipError_tPvRmT1_PNSt15iterator_traitsIS13_E10value_typeET2_T3_PNS14_IS19_E10value_typeET4_jRbjT5_S1F_jjP12ihipStream_tbEUljE_ZNSN_ISO_Lb0ESR_SS_SU_SV_SZ_EES10_S11_S12_S13_S17_S18_S19_S1C_S1D_jS1E_jS1F_S1F_jjS1H_bEUljE0_EEES10_S11_S12_S19_S1D_S1F_T6_T7_T9_mT8_S1H_bDpT10_ENKUlT_T0_E_clISt17integral_constantIbLb1EES1U_IbLb0EEEEDaS1Q_S1R_EUlS1Q_E_NS1_11comp_targetILNS1_3genE4ELNS1_11target_archE910ELNS1_3gpuE8ELNS1_3repE0EEENS1_30default_config_static_selectorELNS0_4arch9wavefront6targetE0EEEvS13_,comdat
	.globl	_ZN7rocprim17ROCPRIM_400000_NS6detail17trampoline_kernelINS0_13select_configILj256ELj13ELNS0_17block_load_methodE3ELS4_3ELS4_3ELNS0_20block_scan_algorithmE0ELj4294967295EEENS1_25partition_config_selectorILNS1_17partition_subalgoE4EjNS0_10empty_typeEbEEZZNS1_14partition_implILS8_4ELb0ES6_15HIP_vector_typeIjLj2EENS0_17counting_iteratorIjlEEPS9_SG_NS0_5tupleIJPjSI_NS0_16reverse_iteratorISI_EEEEENSH_IJSG_SG_SG_EEES9_SI_JZNS1_25segmented_radix_sort_implINS0_14default_configELb0EPK6__halfPSP_PKlPlN2at6native12_GLOBAL__N_18offset_tEEE10hipError_tPvRmT1_PNSt15iterator_traitsIS13_E10value_typeET2_T3_PNS14_IS19_E10value_typeET4_jRbjT5_S1F_jjP12ihipStream_tbEUljE_ZNSN_ISO_Lb0ESR_SS_SU_SV_SZ_EES10_S11_S12_S13_S17_S18_S19_S1C_S1D_jS1E_jS1F_S1F_jjS1H_bEUljE0_EEES10_S11_S12_S19_S1D_S1F_T6_T7_T9_mT8_S1H_bDpT10_ENKUlT_T0_E_clISt17integral_constantIbLb1EES1U_IbLb0EEEEDaS1Q_S1R_EUlS1Q_E_NS1_11comp_targetILNS1_3genE4ELNS1_11target_archE910ELNS1_3gpuE8ELNS1_3repE0EEENS1_30default_config_static_selectorELNS0_4arch9wavefront6targetE0EEEvS13_ ; -- Begin function _ZN7rocprim17ROCPRIM_400000_NS6detail17trampoline_kernelINS0_13select_configILj256ELj13ELNS0_17block_load_methodE3ELS4_3ELS4_3ELNS0_20block_scan_algorithmE0ELj4294967295EEENS1_25partition_config_selectorILNS1_17partition_subalgoE4EjNS0_10empty_typeEbEEZZNS1_14partition_implILS8_4ELb0ES6_15HIP_vector_typeIjLj2EENS0_17counting_iteratorIjlEEPS9_SG_NS0_5tupleIJPjSI_NS0_16reverse_iteratorISI_EEEEENSH_IJSG_SG_SG_EEES9_SI_JZNS1_25segmented_radix_sort_implINS0_14default_configELb0EPK6__halfPSP_PKlPlN2at6native12_GLOBAL__N_18offset_tEEE10hipError_tPvRmT1_PNSt15iterator_traitsIS13_E10value_typeET2_T3_PNS14_IS19_E10value_typeET4_jRbjT5_S1F_jjP12ihipStream_tbEUljE_ZNSN_ISO_Lb0ESR_SS_SU_SV_SZ_EES10_S11_S12_S13_S17_S18_S19_S1C_S1D_jS1E_jS1F_S1F_jjS1H_bEUljE0_EEES10_S11_S12_S19_S1D_S1F_T6_T7_T9_mT8_S1H_bDpT10_ENKUlT_T0_E_clISt17integral_constantIbLb1EES1U_IbLb0EEEEDaS1Q_S1R_EUlS1Q_E_NS1_11comp_targetILNS1_3genE4ELNS1_11target_archE910ELNS1_3gpuE8ELNS1_3repE0EEENS1_30default_config_static_selectorELNS0_4arch9wavefront6targetE0EEEvS13_
	.p2align	8
	.type	_ZN7rocprim17ROCPRIM_400000_NS6detail17trampoline_kernelINS0_13select_configILj256ELj13ELNS0_17block_load_methodE3ELS4_3ELS4_3ELNS0_20block_scan_algorithmE0ELj4294967295EEENS1_25partition_config_selectorILNS1_17partition_subalgoE4EjNS0_10empty_typeEbEEZZNS1_14partition_implILS8_4ELb0ES6_15HIP_vector_typeIjLj2EENS0_17counting_iteratorIjlEEPS9_SG_NS0_5tupleIJPjSI_NS0_16reverse_iteratorISI_EEEEENSH_IJSG_SG_SG_EEES9_SI_JZNS1_25segmented_radix_sort_implINS0_14default_configELb0EPK6__halfPSP_PKlPlN2at6native12_GLOBAL__N_18offset_tEEE10hipError_tPvRmT1_PNSt15iterator_traitsIS13_E10value_typeET2_T3_PNS14_IS19_E10value_typeET4_jRbjT5_S1F_jjP12ihipStream_tbEUljE_ZNSN_ISO_Lb0ESR_SS_SU_SV_SZ_EES10_S11_S12_S13_S17_S18_S19_S1C_S1D_jS1E_jS1F_S1F_jjS1H_bEUljE0_EEES10_S11_S12_S19_S1D_S1F_T6_T7_T9_mT8_S1H_bDpT10_ENKUlT_T0_E_clISt17integral_constantIbLb1EES1U_IbLb0EEEEDaS1Q_S1R_EUlS1Q_E_NS1_11comp_targetILNS1_3genE4ELNS1_11target_archE910ELNS1_3gpuE8ELNS1_3repE0EEENS1_30default_config_static_selectorELNS0_4arch9wavefront6targetE0EEEvS13_,@function
_ZN7rocprim17ROCPRIM_400000_NS6detail17trampoline_kernelINS0_13select_configILj256ELj13ELNS0_17block_load_methodE3ELS4_3ELS4_3ELNS0_20block_scan_algorithmE0ELj4294967295EEENS1_25partition_config_selectorILNS1_17partition_subalgoE4EjNS0_10empty_typeEbEEZZNS1_14partition_implILS8_4ELb0ES6_15HIP_vector_typeIjLj2EENS0_17counting_iteratorIjlEEPS9_SG_NS0_5tupleIJPjSI_NS0_16reverse_iteratorISI_EEEEENSH_IJSG_SG_SG_EEES9_SI_JZNS1_25segmented_radix_sort_implINS0_14default_configELb0EPK6__halfPSP_PKlPlN2at6native12_GLOBAL__N_18offset_tEEE10hipError_tPvRmT1_PNSt15iterator_traitsIS13_E10value_typeET2_T3_PNS14_IS19_E10value_typeET4_jRbjT5_S1F_jjP12ihipStream_tbEUljE_ZNSN_ISO_Lb0ESR_SS_SU_SV_SZ_EES10_S11_S12_S13_S17_S18_S19_S1C_S1D_jS1E_jS1F_S1F_jjS1H_bEUljE0_EEES10_S11_S12_S19_S1D_S1F_T6_T7_T9_mT8_S1H_bDpT10_ENKUlT_T0_E_clISt17integral_constantIbLb1EES1U_IbLb0EEEEDaS1Q_S1R_EUlS1Q_E_NS1_11comp_targetILNS1_3genE4ELNS1_11target_archE910ELNS1_3gpuE8ELNS1_3repE0EEENS1_30default_config_static_selectorELNS0_4arch9wavefront6targetE0EEEvS13_: ; @_ZN7rocprim17ROCPRIM_400000_NS6detail17trampoline_kernelINS0_13select_configILj256ELj13ELNS0_17block_load_methodE3ELS4_3ELS4_3ELNS0_20block_scan_algorithmE0ELj4294967295EEENS1_25partition_config_selectorILNS1_17partition_subalgoE4EjNS0_10empty_typeEbEEZZNS1_14partition_implILS8_4ELb0ES6_15HIP_vector_typeIjLj2EENS0_17counting_iteratorIjlEEPS9_SG_NS0_5tupleIJPjSI_NS0_16reverse_iteratorISI_EEEEENSH_IJSG_SG_SG_EEES9_SI_JZNS1_25segmented_radix_sort_implINS0_14default_configELb0EPK6__halfPSP_PKlPlN2at6native12_GLOBAL__N_18offset_tEEE10hipError_tPvRmT1_PNSt15iterator_traitsIS13_E10value_typeET2_T3_PNS14_IS19_E10value_typeET4_jRbjT5_S1F_jjP12ihipStream_tbEUljE_ZNSN_ISO_Lb0ESR_SS_SU_SV_SZ_EES10_S11_S12_S13_S17_S18_S19_S1C_S1D_jS1E_jS1F_S1F_jjS1H_bEUljE0_EEES10_S11_S12_S19_S1D_S1F_T6_T7_T9_mT8_S1H_bDpT10_ENKUlT_T0_E_clISt17integral_constantIbLb1EES1U_IbLb0EEEEDaS1Q_S1R_EUlS1Q_E_NS1_11comp_targetILNS1_3genE4ELNS1_11target_archE910ELNS1_3gpuE8ELNS1_3repE0EEENS1_30default_config_static_selectorELNS0_4arch9wavefront6targetE0EEEvS13_
; %bb.0:
	.section	.rodata,"a",@progbits
	.p2align	6, 0x0
	.amdhsa_kernel _ZN7rocprim17ROCPRIM_400000_NS6detail17trampoline_kernelINS0_13select_configILj256ELj13ELNS0_17block_load_methodE3ELS4_3ELS4_3ELNS0_20block_scan_algorithmE0ELj4294967295EEENS1_25partition_config_selectorILNS1_17partition_subalgoE4EjNS0_10empty_typeEbEEZZNS1_14partition_implILS8_4ELb0ES6_15HIP_vector_typeIjLj2EENS0_17counting_iteratorIjlEEPS9_SG_NS0_5tupleIJPjSI_NS0_16reverse_iteratorISI_EEEEENSH_IJSG_SG_SG_EEES9_SI_JZNS1_25segmented_radix_sort_implINS0_14default_configELb0EPK6__halfPSP_PKlPlN2at6native12_GLOBAL__N_18offset_tEEE10hipError_tPvRmT1_PNSt15iterator_traitsIS13_E10value_typeET2_T3_PNS14_IS19_E10value_typeET4_jRbjT5_S1F_jjP12ihipStream_tbEUljE_ZNSN_ISO_Lb0ESR_SS_SU_SV_SZ_EES10_S11_S12_S13_S17_S18_S19_S1C_S1D_jS1E_jS1F_S1F_jjS1H_bEUljE0_EEES10_S11_S12_S19_S1D_S1F_T6_T7_T9_mT8_S1H_bDpT10_ENKUlT_T0_E_clISt17integral_constantIbLb1EES1U_IbLb0EEEEDaS1Q_S1R_EUlS1Q_E_NS1_11comp_targetILNS1_3genE4ELNS1_11target_archE910ELNS1_3gpuE8ELNS1_3repE0EEENS1_30default_config_static_selectorELNS0_4arch9wavefront6targetE0EEEvS13_
		.amdhsa_group_segment_fixed_size 0
		.amdhsa_private_segment_fixed_size 0
		.amdhsa_kernarg_size 176
		.amdhsa_user_sgpr_count 2
		.amdhsa_user_sgpr_dispatch_ptr 0
		.amdhsa_user_sgpr_queue_ptr 0
		.amdhsa_user_sgpr_kernarg_segment_ptr 1
		.amdhsa_user_sgpr_dispatch_id 0
		.amdhsa_user_sgpr_kernarg_preload_length 0
		.amdhsa_user_sgpr_kernarg_preload_offset 0
		.amdhsa_user_sgpr_private_segment_size 0
		.amdhsa_wavefront_size32 1
		.amdhsa_uses_dynamic_stack 0
		.amdhsa_enable_private_segment 0
		.amdhsa_system_sgpr_workgroup_id_x 1
		.amdhsa_system_sgpr_workgroup_id_y 0
		.amdhsa_system_sgpr_workgroup_id_z 0
		.amdhsa_system_sgpr_workgroup_info 0
		.amdhsa_system_vgpr_workitem_id 0
		.amdhsa_next_free_vgpr 1
		.amdhsa_next_free_sgpr 1
		.amdhsa_named_barrier_count 0
		.amdhsa_reserve_vcc 0
		.amdhsa_float_round_mode_32 0
		.amdhsa_float_round_mode_16_64 0
		.amdhsa_float_denorm_mode_32 3
		.amdhsa_float_denorm_mode_16_64 3
		.amdhsa_fp16_overflow 0
		.amdhsa_memory_ordered 1
		.amdhsa_forward_progress 1
		.amdhsa_inst_pref_size 0
		.amdhsa_round_robin_scheduling 0
		.amdhsa_exception_fp_ieee_invalid_op 0
		.amdhsa_exception_fp_denorm_src 0
		.amdhsa_exception_fp_ieee_div_zero 0
		.amdhsa_exception_fp_ieee_overflow 0
		.amdhsa_exception_fp_ieee_underflow 0
		.amdhsa_exception_fp_ieee_inexact 0
		.amdhsa_exception_int_div_zero 0
	.end_amdhsa_kernel
	.section	.text._ZN7rocprim17ROCPRIM_400000_NS6detail17trampoline_kernelINS0_13select_configILj256ELj13ELNS0_17block_load_methodE3ELS4_3ELS4_3ELNS0_20block_scan_algorithmE0ELj4294967295EEENS1_25partition_config_selectorILNS1_17partition_subalgoE4EjNS0_10empty_typeEbEEZZNS1_14partition_implILS8_4ELb0ES6_15HIP_vector_typeIjLj2EENS0_17counting_iteratorIjlEEPS9_SG_NS0_5tupleIJPjSI_NS0_16reverse_iteratorISI_EEEEENSH_IJSG_SG_SG_EEES9_SI_JZNS1_25segmented_radix_sort_implINS0_14default_configELb0EPK6__halfPSP_PKlPlN2at6native12_GLOBAL__N_18offset_tEEE10hipError_tPvRmT1_PNSt15iterator_traitsIS13_E10value_typeET2_T3_PNS14_IS19_E10value_typeET4_jRbjT5_S1F_jjP12ihipStream_tbEUljE_ZNSN_ISO_Lb0ESR_SS_SU_SV_SZ_EES10_S11_S12_S13_S17_S18_S19_S1C_S1D_jS1E_jS1F_S1F_jjS1H_bEUljE0_EEES10_S11_S12_S19_S1D_S1F_T6_T7_T9_mT8_S1H_bDpT10_ENKUlT_T0_E_clISt17integral_constantIbLb1EES1U_IbLb0EEEEDaS1Q_S1R_EUlS1Q_E_NS1_11comp_targetILNS1_3genE4ELNS1_11target_archE910ELNS1_3gpuE8ELNS1_3repE0EEENS1_30default_config_static_selectorELNS0_4arch9wavefront6targetE0EEEvS13_,"axG",@progbits,_ZN7rocprim17ROCPRIM_400000_NS6detail17trampoline_kernelINS0_13select_configILj256ELj13ELNS0_17block_load_methodE3ELS4_3ELS4_3ELNS0_20block_scan_algorithmE0ELj4294967295EEENS1_25partition_config_selectorILNS1_17partition_subalgoE4EjNS0_10empty_typeEbEEZZNS1_14partition_implILS8_4ELb0ES6_15HIP_vector_typeIjLj2EENS0_17counting_iteratorIjlEEPS9_SG_NS0_5tupleIJPjSI_NS0_16reverse_iteratorISI_EEEEENSH_IJSG_SG_SG_EEES9_SI_JZNS1_25segmented_radix_sort_implINS0_14default_configELb0EPK6__halfPSP_PKlPlN2at6native12_GLOBAL__N_18offset_tEEE10hipError_tPvRmT1_PNSt15iterator_traitsIS13_E10value_typeET2_T3_PNS14_IS19_E10value_typeET4_jRbjT5_S1F_jjP12ihipStream_tbEUljE_ZNSN_ISO_Lb0ESR_SS_SU_SV_SZ_EES10_S11_S12_S13_S17_S18_S19_S1C_S1D_jS1E_jS1F_S1F_jjS1H_bEUljE0_EEES10_S11_S12_S19_S1D_S1F_T6_T7_T9_mT8_S1H_bDpT10_ENKUlT_T0_E_clISt17integral_constantIbLb1EES1U_IbLb0EEEEDaS1Q_S1R_EUlS1Q_E_NS1_11comp_targetILNS1_3genE4ELNS1_11target_archE910ELNS1_3gpuE8ELNS1_3repE0EEENS1_30default_config_static_selectorELNS0_4arch9wavefront6targetE0EEEvS13_,comdat
.Lfunc_end1786:
	.size	_ZN7rocprim17ROCPRIM_400000_NS6detail17trampoline_kernelINS0_13select_configILj256ELj13ELNS0_17block_load_methodE3ELS4_3ELS4_3ELNS0_20block_scan_algorithmE0ELj4294967295EEENS1_25partition_config_selectorILNS1_17partition_subalgoE4EjNS0_10empty_typeEbEEZZNS1_14partition_implILS8_4ELb0ES6_15HIP_vector_typeIjLj2EENS0_17counting_iteratorIjlEEPS9_SG_NS0_5tupleIJPjSI_NS0_16reverse_iteratorISI_EEEEENSH_IJSG_SG_SG_EEES9_SI_JZNS1_25segmented_radix_sort_implINS0_14default_configELb0EPK6__halfPSP_PKlPlN2at6native12_GLOBAL__N_18offset_tEEE10hipError_tPvRmT1_PNSt15iterator_traitsIS13_E10value_typeET2_T3_PNS14_IS19_E10value_typeET4_jRbjT5_S1F_jjP12ihipStream_tbEUljE_ZNSN_ISO_Lb0ESR_SS_SU_SV_SZ_EES10_S11_S12_S13_S17_S18_S19_S1C_S1D_jS1E_jS1F_S1F_jjS1H_bEUljE0_EEES10_S11_S12_S19_S1D_S1F_T6_T7_T9_mT8_S1H_bDpT10_ENKUlT_T0_E_clISt17integral_constantIbLb1EES1U_IbLb0EEEEDaS1Q_S1R_EUlS1Q_E_NS1_11comp_targetILNS1_3genE4ELNS1_11target_archE910ELNS1_3gpuE8ELNS1_3repE0EEENS1_30default_config_static_selectorELNS0_4arch9wavefront6targetE0EEEvS13_, .Lfunc_end1786-_ZN7rocprim17ROCPRIM_400000_NS6detail17trampoline_kernelINS0_13select_configILj256ELj13ELNS0_17block_load_methodE3ELS4_3ELS4_3ELNS0_20block_scan_algorithmE0ELj4294967295EEENS1_25partition_config_selectorILNS1_17partition_subalgoE4EjNS0_10empty_typeEbEEZZNS1_14partition_implILS8_4ELb0ES6_15HIP_vector_typeIjLj2EENS0_17counting_iteratorIjlEEPS9_SG_NS0_5tupleIJPjSI_NS0_16reverse_iteratorISI_EEEEENSH_IJSG_SG_SG_EEES9_SI_JZNS1_25segmented_radix_sort_implINS0_14default_configELb0EPK6__halfPSP_PKlPlN2at6native12_GLOBAL__N_18offset_tEEE10hipError_tPvRmT1_PNSt15iterator_traitsIS13_E10value_typeET2_T3_PNS14_IS19_E10value_typeET4_jRbjT5_S1F_jjP12ihipStream_tbEUljE_ZNSN_ISO_Lb0ESR_SS_SU_SV_SZ_EES10_S11_S12_S13_S17_S18_S19_S1C_S1D_jS1E_jS1F_S1F_jjS1H_bEUljE0_EEES10_S11_S12_S19_S1D_S1F_T6_T7_T9_mT8_S1H_bDpT10_ENKUlT_T0_E_clISt17integral_constantIbLb1EES1U_IbLb0EEEEDaS1Q_S1R_EUlS1Q_E_NS1_11comp_targetILNS1_3genE4ELNS1_11target_archE910ELNS1_3gpuE8ELNS1_3repE0EEENS1_30default_config_static_selectorELNS0_4arch9wavefront6targetE0EEEvS13_
                                        ; -- End function
	.set _ZN7rocprim17ROCPRIM_400000_NS6detail17trampoline_kernelINS0_13select_configILj256ELj13ELNS0_17block_load_methodE3ELS4_3ELS4_3ELNS0_20block_scan_algorithmE0ELj4294967295EEENS1_25partition_config_selectorILNS1_17partition_subalgoE4EjNS0_10empty_typeEbEEZZNS1_14partition_implILS8_4ELb0ES6_15HIP_vector_typeIjLj2EENS0_17counting_iteratorIjlEEPS9_SG_NS0_5tupleIJPjSI_NS0_16reverse_iteratorISI_EEEEENSH_IJSG_SG_SG_EEES9_SI_JZNS1_25segmented_radix_sort_implINS0_14default_configELb0EPK6__halfPSP_PKlPlN2at6native12_GLOBAL__N_18offset_tEEE10hipError_tPvRmT1_PNSt15iterator_traitsIS13_E10value_typeET2_T3_PNS14_IS19_E10value_typeET4_jRbjT5_S1F_jjP12ihipStream_tbEUljE_ZNSN_ISO_Lb0ESR_SS_SU_SV_SZ_EES10_S11_S12_S13_S17_S18_S19_S1C_S1D_jS1E_jS1F_S1F_jjS1H_bEUljE0_EEES10_S11_S12_S19_S1D_S1F_T6_T7_T9_mT8_S1H_bDpT10_ENKUlT_T0_E_clISt17integral_constantIbLb1EES1U_IbLb0EEEEDaS1Q_S1R_EUlS1Q_E_NS1_11comp_targetILNS1_3genE4ELNS1_11target_archE910ELNS1_3gpuE8ELNS1_3repE0EEENS1_30default_config_static_selectorELNS0_4arch9wavefront6targetE0EEEvS13_.num_vgpr, 0
	.set _ZN7rocprim17ROCPRIM_400000_NS6detail17trampoline_kernelINS0_13select_configILj256ELj13ELNS0_17block_load_methodE3ELS4_3ELS4_3ELNS0_20block_scan_algorithmE0ELj4294967295EEENS1_25partition_config_selectorILNS1_17partition_subalgoE4EjNS0_10empty_typeEbEEZZNS1_14partition_implILS8_4ELb0ES6_15HIP_vector_typeIjLj2EENS0_17counting_iteratorIjlEEPS9_SG_NS0_5tupleIJPjSI_NS0_16reverse_iteratorISI_EEEEENSH_IJSG_SG_SG_EEES9_SI_JZNS1_25segmented_radix_sort_implINS0_14default_configELb0EPK6__halfPSP_PKlPlN2at6native12_GLOBAL__N_18offset_tEEE10hipError_tPvRmT1_PNSt15iterator_traitsIS13_E10value_typeET2_T3_PNS14_IS19_E10value_typeET4_jRbjT5_S1F_jjP12ihipStream_tbEUljE_ZNSN_ISO_Lb0ESR_SS_SU_SV_SZ_EES10_S11_S12_S13_S17_S18_S19_S1C_S1D_jS1E_jS1F_S1F_jjS1H_bEUljE0_EEES10_S11_S12_S19_S1D_S1F_T6_T7_T9_mT8_S1H_bDpT10_ENKUlT_T0_E_clISt17integral_constantIbLb1EES1U_IbLb0EEEEDaS1Q_S1R_EUlS1Q_E_NS1_11comp_targetILNS1_3genE4ELNS1_11target_archE910ELNS1_3gpuE8ELNS1_3repE0EEENS1_30default_config_static_selectorELNS0_4arch9wavefront6targetE0EEEvS13_.num_agpr, 0
	.set _ZN7rocprim17ROCPRIM_400000_NS6detail17trampoline_kernelINS0_13select_configILj256ELj13ELNS0_17block_load_methodE3ELS4_3ELS4_3ELNS0_20block_scan_algorithmE0ELj4294967295EEENS1_25partition_config_selectorILNS1_17partition_subalgoE4EjNS0_10empty_typeEbEEZZNS1_14partition_implILS8_4ELb0ES6_15HIP_vector_typeIjLj2EENS0_17counting_iteratorIjlEEPS9_SG_NS0_5tupleIJPjSI_NS0_16reverse_iteratorISI_EEEEENSH_IJSG_SG_SG_EEES9_SI_JZNS1_25segmented_radix_sort_implINS0_14default_configELb0EPK6__halfPSP_PKlPlN2at6native12_GLOBAL__N_18offset_tEEE10hipError_tPvRmT1_PNSt15iterator_traitsIS13_E10value_typeET2_T3_PNS14_IS19_E10value_typeET4_jRbjT5_S1F_jjP12ihipStream_tbEUljE_ZNSN_ISO_Lb0ESR_SS_SU_SV_SZ_EES10_S11_S12_S13_S17_S18_S19_S1C_S1D_jS1E_jS1F_S1F_jjS1H_bEUljE0_EEES10_S11_S12_S19_S1D_S1F_T6_T7_T9_mT8_S1H_bDpT10_ENKUlT_T0_E_clISt17integral_constantIbLb1EES1U_IbLb0EEEEDaS1Q_S1R_EUlS1Q_E_NS1_11comp_targetILNS1_3genE4ELNS1_11target_archE910ELNS1_3gpuE8ELNS1_3repE0EEENS1_30default_config_static_selectorELNS0_4arch9wavefront6targetE0EEEvS13_.numbered_sgpr, 0
	.set _ZN7rocprim17ROCPRIM_400000_NS6detail17trampoline_kernelINS0_13select_configILj256ELj13ELNS0_17block_load_methodE3ELS4_3ELS4_3ELNS0_20block_scan_algorithmE0ELj4294967295EEENS1_25partition_config_selectorILNS1_17partition_subalgoE4EjNS0_10empty_typeEbEEZZNS1_14partition_implILS8_4ELb0ES6_15HIP_vector_typeIjLj2EENS0_17counting_iteratorIjlEEPS9_SG_NS0_5tupleIJPjSI_NS0_16reverse_iteratorISI_EEEEENSH_IJSG_SG_SG_EEES9_SI_JZNS1_25segmented_radix_sort_implINS0_14default_configELb0EPK6__halfPSP_PKlPlN2at6native12_GLOBAL__N_18offset_tEEE10hipError_tPvRmT1_PNSt15iterator_traitsIS13_E10value_typeET2_T3_PNS14_IS19_E10value_typeET4_jRbjT5_S1F_jjP12ihipStream_tbEUljE_ZNSN_ISO_Lb0ESR_SS_SU_SV_SZ_EES10_S11_S12_S13_S17_S18_S19_S1C_S1D_jS1E_jS1F_S1F_jjS1H_bEUljE0_EEES10_S11_S12_S19_S1D_S1F_T6_T7_T9_mT8_S1H_bDpT10_ENKUlT_T0_E_clISt17integral_constantIbLb1EES1U_IbLb0EEEEDaS1Q_S1R_EUlS1Q_E_NS1_11comp_targetILNS1_3genE4ELNS1_11target_archE910ELNS1_3gpuE8ELNS1_3repE0EEENS1_30default_config_static_selectorELNS0_4arch9wavefront6targetE0EEEvS13_.num_named_barrier, 0
	.set _ZN7rocprim17ROCPRIM_400000_NS6detail17trampoline_kernelINS0_13select_configILj256ELj13ELNS0_17block_load_methodE3ELS4_3ELS4_3ELNS0_20block_scan_algorithmE0ELj4294967295EEENS1_25partition_config_selectorILNS1_17partition_subalgoE4EjNS0_10empty_typeEbEEZZNS1_14partition_implILS8_4ELb0ES6_15HIP_vector_typeIjLj2EENS0_17counting_iteratorIjlEEPS9_SG_NS0_5tupleIJPjSI_NS0_16reverse_iteratorISI_EEEEENSH_IJSG_SG_SG_EEES9_SI_JZNS1_25segmented_radix_sort_implINS0_14default_configELb0EPK6__halfPSP_PKlPlN2at6native12_GLOBAL__N_18offset_tEEE10hipError_tPvRmT1_PNSt15iterator_traitsIS13_E10value_typeET2_T3_PNS14_IS19_E10value_typeET4_jRbjT5_S1F_jjP12ihipStream_tbEUljE_ZNSN_ISO_Lb0ESR_SS_SU_SV_SZ_EES10_S11_S12_S13_S17_S18_S19_S1C_S1D_jS1E_jS1F_S1F_jjS1H_bEUljE0_EEES10_S11_S12_S19_S1D_S1F_T6_T7_T9_mT8_S1H_bDpT10_ENKUlT_T0_E_clISt17integral_constantIbLb1EES1U_IbLb0EEEEDaS1Q_S1R_EUlS1Q_E_NS1_11comp_targetILNS1_3genE4ELNS1_11target_archE910ELNS1_3gpuE8ELNS1_3repE0EEENS1_30default_config_static_selectorELNS0_4arch9wavefront6targetE0EEEvS13_.private_seg_size, 0
	.set _ZN7rocprim17ROCPRIM_400000_NS6detail17trampoline_kernelINS0_13select_configILj256ELj13ELNS0_17block_load_methodE3ELS4_3ELS4_3ELNS0_20block_scan_algorithmE0ELj4294967295EEENS1_25partition_config_selectorILNS1_17partition_subalgoE4EjNS0_10empty_typeEbEEZZNS1_14partition_implILS8_4ELb0ES6_15HIP_vector_typeIjLj2EENS0_17counting_iteratorIjlEEPS9_SG_NS0_5tupleIJPjSI_NS0_16reverse_iteratorISI_EEEEENSH_IJSG_SG_SG_EEES9_SI_JZNS1_25segmented_radix_sort_implINS0_14default_configELb0EPK6__halfPSP_PKlPlN2at6native12_GLOBAL__N_18offset_tEEE10hipError_tPvRmT1_PNSt15iterator_traitsIS13_E10value_typeET2_T3_PNS14_IS19_E10value_typeET4_jRbjT5_S1F_jjP12ihipStream_tbEUljE_ZNSN_ISO_Lb0ESR_SS_SU_SV_SZ_EES10_S11_S12_S13_S17_S18_S19_S1C_S1D_jS1E_jS1F_S1F_jjS1H_bEUljE0_EEES10_S11_S12_S19_S1D_S1F_T6_T7_T9_mT8_S1H_bDpT10_ENKUlT_T0_E_clISt17integral_constantIbLb1EES1U_IbLb0EEEEDaS1Q_S1R_EUlS1Q_E_NS1_11comp_targetILNS1_3genE4ELNS1_11target_archE910ELNS1_3gpuE8ELNS1_3repE0EEENS1_30default_config_static_selectorELNS0_4arch9wavefront6targetE0EEEvS13_.uses_vcc, 0
	.set _ZN7rocprim17ROCPRIM_400000_NS6detail17trampoline_kernelINS0_13select_configILj256ELj13ELNS0_17block_load_methodE3ELS4_3ELS4_3ELNS0_20block_scan_algorithmE0ELj4294967295EEENS1_25partition_config_selectorILNS1_17partition_subalgoE4EjNS0_10empty_typeEbEEZZNS1_14partition_implILS8_4ELb0ES6_15HIP_vector_typeIjLj2EENS0_17counting_iteratorIjlEEPS9_SG_NS0_5tupleIJPjSI_NS0_16reverse_iteratorISI_EEEEENSH_IJSG_SG_SG_EEES9_SI_JZNS1_25segmented_radix_sort_implINS0_14default_configELb0EPK6__halfPSP_PKlPlN2at6native12_GLOBAL__N_18offset_tEEE10hipError_tPvRmT1_PNSt15iterator_traitsIS13_E10value_typeET2_T3_PNS14_IS19_E10value_typeET4_jRbjT5_S1F_jjP12ihipStream_tbEUljE_ZNSN_ISO_Lb0ESR_SS_SU_SV_SZ_EES10_S11_S12_S13_S17_S18_S19_S1C_S1D_jS1E_jS1F_S1F_jjS1H_bEUljE0_EEES10_S11_S12_S19_S1D_S1F_T6_T7_T9_mT8_S1H_bDpT10_ENKUlT_T0_E_clISt17integral_constantIbLb1EES1U_IbLb0EEEEDaS1Q_S1R_EUlS1Q_E_NS1_11comp_targetILNS1_3genE4ELNS1_11target_archE910ELNS1_3gpuE8ELNS1_3repE0EEENS1_30default_config_static_selectorELNS0_4arch9wavefront6targetE0EEEvS13_.uses_flat_scratch, 0
	.set _ZN7rocprim17ROCPRIM_400000_NS6detail17trampoline_kernelINS0_13select_configILj256ELj13ELNS0_17block_load_methodE3ELS4_3ELS4_3ELNS0_20block_scan_algorithmE0ELj4294967295EEENS1_25partition_config_selectorILNS1_17partition_subalgoE4EjNS0_10empty_typeEbEEZZNS1_14partition_implILS8_4ELb0ES6_15HIP_vector_typeIjLj2EENS0_17counting_iteratorIjlEEPS9_SG_NS0_5tupleIJPjSI_NS0_16reverse_iteratorISI_EEEEENSH_IJSG_SG_SG_EEES9_SI_JZNS1_25segmented_radix_sort_implINS0_14default_configELb0EPK6__halfPSP_PKlPlN2at6native12_GLOBAL__N_18offset_tEEE10hipError_tPvRmT1_PNSt15iterator_traitsIS13_E10value_typeET2_T3_PNS14_IS19_E10value_typeET4_jRbjT5_S1F_jjP12ihipStream_tbEUljE_ZNSN_ISO_Lb0ESR_SS_SU_SV_SZ_EES10_S11_S12_S13_S17_S18_S19_S1C_S1D_jS1E_jS1F_S1F_jjS1H_bEUljE0_EEES10_S11_S12_S19_S1D_S1F_T6_T7_T9_mT8_S1H_bDpT10_ENKUlT_T0_E_clISt17integral_constantIbLb1EES1U_IbLb0EEEEDaS1Q_S1R_EUlS1Q_E_NS1_11comp_targetILNS1_3genE4ELNS1_11target_archE910ELNS1_3gpuE8ELNS1_3repE0EEENS1_30default_config_static_selectorELNS0_4arch9wavefront6targetE0EEEvS13_.has_dyn_sized_stack, 0
	.set _ZN7rocprim17ROCPRIM_400000_NS6detail17trampoline_kernelINS0_13select_configILj256ELj13ELNS0_17block_load_methodE3ELS4_3ELS4_3ELNS0_20block_scan_algorithmE0ELj4294967295EEENS1_25partition_config_selectorILNS1_17partition_subalgoE4EjNS0_10empty_typeEbEEZZNS1_14partition_implILS8_4ELb0ES6_15HIP_vector_typeIjLj2EENS0_17counting_iteratorIjlEEPS9_SG_NS0_5tupleIJPjSI_NS0_16reverse_iteratorISI_EEEEENSH_IJSG_SG_SG_EEES9_SI_JZNS1_25segmented_radix_sort_implINS0_14default_configELb0EPK6__halfPSP_PKlPlN2at6native12_GLOBAL__N_18offset_tEEE10hipError_tPvRmT1_PNSt15iterator_traitsIS13_E10value_typeET2_T3_PNS14_IS19_E10value_typeET4_jRbjT5_S1F_jjP12ihipStream_tbEUljE_ZNSN_ISO_Lb0ESR_SS_SU_SV_SZ_EES10_S11_S12_S13_S17_S18_S19_S1C_S1D_jS1E_jS1F_S1F_jjS1H_bEUljE0_EEES10_S11_S12_S19_S1D_S1F_T6_T7_T9_mT8_S1H_bDpT10_ENKUlT_T0_E_clISt17integral_constantIbLb1EES1U_IbLb0EEEEDaS1Q_S1R_EUlS1Q_E_NS1_11comp_targetILNS1_3genE4ELNS1_11target_archE910ELNS1_3gpuE8ELNS1_3repE0EEENS1_30default_config_static_selectorELNS0_4arch9wavefront6targetE0EEEvS13_.has_recursion, 0
	.set _ZN7rocprim17ROCPRIM_400000_NS6detail17trampoline_kernelINS0_13select_configILj256ELj13ELNS0_17block_load_methodE3ELS4_3ELS4_3ELNS0_20block_scan_algorithmE0ELj4294967295EEENS1_25partition_config_selectorILNS1_17partition_subalgoE4EjNS0_10empty_typeEbEEZZNS1_14partition_implILS8_4ELb0ES6_15HIP_vector_typeIjLj2EENS0_17counting_iteratorIjlEEPS9_SG_NS0_5tupleIJPjSI_NS0_16reverse_iteratorISI_EEEEENSH_IJSG_SG_SG_EEES9_SI_JZNS1_25segmented_radix_sort_implINS0_14default_configELb0EPK6__halfPSP_PKlPlN2at6native12_GLOBAL__N_18offset_tEEE10hipError_tPvRmT1_PNSt15iterator_traitsIS13_E10value_typeET2_T3_PNS14_IS19_E10value_typeET4_jRbjT5_S1F_jjP12ihipStream_tbEUljE_ZNSN_ISO_Lb0ESR_SS_SU_SV_SZ_EES10_S11_S12_S13_S17_S18_S19_S1C_S1D_jS1E_jS1F_S1F_jjS1H_bEUljE0_EEES10_S11_S12_S19_S1D_S1F_T6_T7_T9_mT8_S1H_bDpT10_ENKUlT_T0_E_clISt17integral_constantIbLb1EES1U_IbLb0EEEEDaS1Q_S1R_EUlS1Q_E_NS1_11comp_targetILNS1_3genE4ELNS1_11target_archE910ELNS1_3gpuE8ELNS1_3repE0EEENS1_30default_config_static_selectorELNS0_4arch9wavefront6targetE0EEEvS13_.has_indirect_call, 0
	.section	.AMDGPU.csdata,"",@progbits
; Kernel info:
; codeLenInByte = 0
; TotalNumSgprs: 0
; NumVgprs: 0
; ScratchSize: 0
; MemoryBound: 0
; FloatMode: 240
; IeeeMode: 1
; LDSByteSize: 0 bytes/workgroup (compile time only)
; SGPRBlocks: 0
; VGPRBlocks: 0
; NumSGPRsForWavesPerEU: 1
; NumVGPRsForWavesPerEU: 1
; NamedBarCnt: 0
; Occupancy: 16
; WaveLimiterHint : 0
; COMPUTE_PGM_RSRC2:SCRATCH_EN: 0
; COMPUTE_PGM_RSRC2:USER_SGPR: 2
; COMPUTE_PGM_RSRC2:TRAP_HANDLER: 0
; COMPUTE_PGM_RSRC2:TGID_X_EN: 1
; COMPUTE_PGM_RSRC2:TGID_Y_EN: 0
; COMPUTE_PGM_RSRC2:TGID_Z_EN: 0
; COMPUTE_PGM_RSRC2:TIDIG_COMP_CNT: 0
	.section	.text._ZN7rocprim17ROCPRIM_400000_NS6detail17trampoline_kernelINS0_13select_configILj256ELj13ELNS0_17block_load_methodE3ELS4_3ELS4_3ELNS0_20block_scan_algorithmE0ELj4294967295EEENS1_25partition_config_selectorILNS1_17partition_subalgoE4EjNS0_10empty_typeEbEEZZNS1_14partition_implILS8_4ELb0ES6_15HIP_vector_typeIjLj2EENS0_17counting_iteratorIjlEEPS9_SG_NS0_5tupleIJPjSI_NS0_16reverse_iteratorISI_EEEEENSH_IJSG_SG_SG_EEES9_SI_JZNS1_25segmented_radix_sort_implINS0_14default_configELb0EPK6__halfPSP_PKlPlN2at6native12_GLOBAL__N_18offset_tEEE10hipError_tPvRmT1_PNSt15iterator_traitsIS13_E10value_typeET2_T3_PNS14_IS19_E10value_typeET4_jRbjT5_S1F_jjP12ihipStream_tbEUljE_ZNSN_ISO_Lb0ESR_SS_SU_SV_SZ_EES10_S11_S12_S13_S17_S18_S19_S1C_S1D_jS1E_jS1F_S1F_jjS1H_bEUljE0_EEES10_S11_S12_S19_S1D_S1F_T6_T7_T9_mT8_S1H_bDpT10_ENKUlT_T0_E_clISt17integral_constantIbLb1EES1U_IbLb0EEEEDaS1Q_S1R_EUlS1Q_E_NS1_11comp_targetILNS1_3genE3ELNS1_11target_archE908ELNS1_3gpuE7ELNS1_3repE0EEENS1_30default_config_static_selectorELNS0_4arch9wavefront6targetE0EEEvS13_,"axG",@progbits,_ZN7rocprim17ROCPRIM_400000_NS6detail17trampoline_kernelINS0_13select_configILj256ELj13ELNS0_17block_load_methodE3ELS4_3ELS4_3ELNS0_20block_scan_algorithmE0ELj4294967295EEENS1_25partition_config_selectorILNS1_17partition_subalgoE4EjNS0_10empty_typeEbEEZZNS1_14partition_implILS8_4ELb0ES6_15HIP_vector_typeIjLj2EENS0_17counting_iteratorIjlEEPS9_SG_NS0_5tupleIJPjSI_NS0_16reverse_iteratorISI_EEEEENSH_IJSG_SG_SG_EEES9_SI_JZNS1_25segmented_radix_sort_implINS0_14default_configELb0EPK6__halfPSP_PKlPlN2at6native12_GLOBAL__N_18offset_tEEE10hipError_tPvRmT1_PNSt15iterator_traitsIS13_E10value_typeET2_T3_PNS14_IS19_E10value_typeET4_jRbjT5_S1F_jjP12ihipStream_tbEUljE_ZNSN_ISO_Lb0ESR_SS_SU_SV_SZ_EES10_S11_S12_S13_S17_S18_S19_S1C_S1D_jS1E_jS1F_S1F_jjS1H_bEUljE0_EEES10_S11_S12_S19_S1D_S1F_T6_T7_T9_mT8_S1H_bDpT10_ENKUlT_T0_E_clISt17integral_constantIbLb1EES1U_IbLb0EEEEDaS1Q_S1R_EUlS1Q_E_NS1_11comp_targetILNS1_3genE3ELNS1_11target_archE908ELNS1_3gpuE7ELNS1_3repE0EEENS1_30default_config_static_selectorELNS0_4arch9wavefront6targetE0EEEvS13_,comdat
	.globl	_ZN7rocprim17ROCPRIM_400000_NS6detail17trampoline_kernelINS0_13select_configILj256ELj13ELNS0_17block_load_methodE3ELS4_3ELS4_3ELNS0_20block_scan_algorithmE0ELj4294967295EEENS1_25partition_config_selectorILNS1_17partition_subalgoE4EjNS0_10empty_typeEbEEZZNS1_14partition_implILS8_4ELb0ES6_15HIP_vector_typeIjLj2EENS0_17counting_iteratorIjlEEPS9_SG_NS0_5tupleIJPjSI_NS0_16reverse_iteratorISI_EEEEENSH_IJSG_SG_SG_EEES9_SI_JZNS1_25segmented_radix_sort_implINS0_14default_configELb0EPK6__halfPSP_PKlPlN2at6native12_GLOBAL__N_18offset_tEEE10hipError_tPvRmT1_PNSt15iterator_traitsIS13_E10value_typeET2_T3_PNS14_IS19_E10value_typeET4_jRbjT5_S1F_jjP12ihipStream_tbEUljE_ZNSN_ISO_Lb0ESR_SS_SU_SV_SZ_EES10_S11_S12_S13_S17_S18_S19_S1C_S1D_jS1E_jS1F_S1F_jjS1H_bEUljE0_EEES10_S11_S12_S19_S1D_S1F_T6_T7_T9_mT8_S1H_bDpT10_ENKUlT_T0_E_clISt17integral_constantIbLb1EES1U_IbLb0EEEEDaS1Q_S1R_EUlS1Q_E_NS1_11comp_targetILNS1_3genE3ELNS1_11target_archE908ELNS1_3gpuE7ELNS1_3repE0EEENS1_30default_config_static_selectorELNS0_4arch9wavefront6targetE0EEEvS13_ ; -- Begin function _ZN7rocprim17ROCPRIM_400000_NS6detail17trampoline_kernelINS0_13select_configILj256ELj13ELNS0_17block_load_methodE3ELS4_3ELS4_3ELNS0_20block_scan_algorithmE0ELj4294967295EEENS1_25partition_config_selectorILNS1_17partition_subalgoE4EjNS0_10empty_typeEbEEZZNS1_14partition_implILS8_4ELb0ES6_15HIP_vector_typeIjLj2EENS0_17counting_iteratorIjlEEPS9_SG_NS0_5tupleIJPjSI_NS0_16reverse_iteratorISI_EEEEENSH_IJSG_SG_SG_EEES9_SI_JZNS1_25segmented_radix_sort_implINS0_14default_configELb0EPK6__halfPSP_PKlPlN2at6native12_GLOBAL__N_18offset_tEEE10hipError_tPvRmT1_PNSt15iterator_traitsIS13_E10value_typeET2_T3_PNS14_IS19_E10value_typeET4_jRbjT5_S1F_jjP12ihipStream_tbEUljE_ZNSN_ISO_Lb0ESR_SS_SU_SV_SZ_EES10_S11_S12_S13_S17_S18_S19_S1C_S1D_jS1E_jS1F_S1F_jjS1H_bEUljE0_EEES10_S11_S12_S19_S1D_S1F_T6_T7_T9_mT8_S1H_bDpT10_ENKUlT_T0_E_clISt17integral_constantIbLb1EES1U_IbLb0EEEEDaS1Q_S1R_EUlS1Q_E_NS1_11comp_targetILNS1_3genE3ELNS1_11target_archE908ELNS1_3gpuE7ELNS1_3repE0EEENS1_30default_config_static_selectorELNS0_4arch9wavefront6targetE0EEEvS13_
	.p2align	8
	.type	_ZN7rocprim17ROCPRIM_400000_NS6detail17trampoline_kernelINS0_13select_configILj256ELj13ELNS0_17block_load_methodE3ELS4_3ELS4_3ELNS0_20block_scan_algorithmE0ELj4294967295EEENS1_25partition_config_selectorILNS1_17partition_subalgoE4EjNS0_10empty_typeEbEEZZNS1_14partition_implILS8_4ELb0ES6_15HIP_vector_typeIjLj2EENS0_17counting_iteratorIjlEEPS9_SG_NS0_5tupleIJPjSI_NS0_16reverse_iteratorISI_EEEEENSH_IJSG_SG_SG_EEES9_SI_JZNS1_25segmented_radix_sort_implINS0_14default_configELb0EPK6__halfPSP_PKlPlN2at6native12_GLOBAL__N_18offset_tEEE10hipError_tPvRmT1_PNSt15iterator_traitsIS13_E10value_typeET2_T3_PNS14_IS19_E10value_typeET4_jRbjT5_S1F_jjP12ihipStream_tbEUljE_ZNSN_ISO_Lb0ESR_SS_SU_SV_SZ_EES10_S11_S12_S13_S17_S18_S19_S1C_S1D_jS1E_jS1F_S1F_jjS1H_bEUljE0_EEES10_S11_S12_S19_S1D_S1F_T6_T7_T9_mT8_S1H_bDpT10_ENKUlT_T0_E_clISt17integral_constantIbLb1EES1U_IbLb0EEEEDaS1Q_S1R_EUlS1Q_E_NS1_11comp_targetILNS1_3genE3ELNS1_11target_archE908ELNS1_3gpuE7ELNS1_3repE0EEENS1_30default_config_static_selectorELNS0_4arch9wavefront6targetE0EEEvS13_,@function
_ZN7rocprim17ROCPRIM_400000_NS6detail17trampoline_kernelINS0_13select_configILj256ELj13ELNS0_17block_load_methodE3ELS4_3ELS4_3ELNS0_20block_scan_algorithmE0ELj4294967295EEENS1_25partition_config_selectorILNS1_17partition_subalgoE4EjNS0_10empty_typeEbEEZZNS1_14partition_implILS8_4ELb0ES6_15HIP_vector_typeIjLj2EENS0_17counting_iteratorIjlEEPS9_SG_NS0_5tupleIJPjSI_NS0_16reverse_iteratorISI_EEEEENSH_IJSG_SG_SG_EEES9_SI_JZNS1_25segmented_radix_sort_implINS0_14default_configELb0EPK6__halfPSP_PKlPlN2at6native12_GLOBAL__N_18offset_tEEE10hipError_tPvRmT1_PNSt15iterator_traitsIS13_E10value_typeET2_T3_PNS14_IS19_E10value_typeET4_jRbjT5_S1F_jjP12ihipStream_tbEUljE_ZNSN_ISO_Lb0ESR_SS_SU_SV_SZ_EES10_S11_S12_S13_S17_S18_S19_S1C_S1D_jS1E_jS1F_S1F_jjS1H_bEUljE0_EEES10_S11_S12_S19_S1D_S1F_T6_T7_T9_mT8_S1H_bDpT10_ENKUlT_T0_E_clISt17integral_constantIbLb1EES1U_IbLb0EEEEDaS1Q_S1R_EUlS1Q_E_NS1_11comp_targetILNS1_3genE3ELNS1_11target_archE908ELNS1_3gpuE7ELNS1_3repE0EEENS1_30default_config_static_selectorELNS0_4arch9wavefront6targetE0EEEvS13_: ; @_ZN7rocprim17ROCPRIM_400000_NS6detail17trampoline_kernelINS0_13select_configILj256ELj13ELNS0_17block_load_methodE3ELS4_3ELS4_3ELNS0_20block_scan_algorithmE0ELj4294967295EEENS1_25partition_config_selectorILNS1_17partition_subalgoE4EjNS0_10empty_typeEbEEZZNS1_14partition_implILS8_4ELb0ES6_15HIP_vector_typeIjLj2EENS0_17counting_iteratorIjlEEPS9_SG_NS0_5tupleIJPjSI_NS0_16reverse_iteratorISI_EEEEENSH_IJSG_SG_SG_EEES9_SI_JZNS1_25segmented_radix_sort_implINS0_14default_configELb0EPK6__halfPSP_PKlPlN2at6native12_GLOBAL__N_18offset_tEEE10hipError_tPvRmT1_PNSt15iterator_traitsIS13_E10value_typeET2_T3_PNS14_IS19_E10value_typeET4_jRbjT5_S1F_jjP12ihipStream_tbEUljE_ZNSN_ISO_Lb0ESR_SS_SU_SV_SZ_EES10_S11_S12_S13_S17_S18_S19_S1C_S1D_jS1E_jS1F_S1F_jjS1H_bEUljE0_EEES10_S11_S12_S19_S1D_S1F_T6_T7_T9_mT8_S1H_bDpT10_ENKUlT_T0_E_clISt17integral_constantIbLb1EES1U_IbLb0EEEEDaS1Q_S1R_EUlS1Q_E_NS1_11comp_targetILNS1_3genE3ELNS1_11target_archE908ELNS1_3gpuE7ELNS1_3repE0EEENS1_30default_config_static_selectorELNS0_4arch9wavefront6targetE0EEEvS13_
; %bb.0:
	.section	.rodata,"a",@progbits
	.p2align	6, 0x0
	.amdhsa_kernel _ZN7rocprim17ROCPRIM_400000_NS6detail17trampoline_kernelINS0_13select_configILj256ELj13ELNS0_17block_load_methodE3ELS4_3ELS4_3ELNS0_20block_scan_algorithmE0ELj4294967295EEENS1_25partition_config_selectorILNS1_17partition_subalgoE4EjNS0_10empty_typeEbEEZZNS1_14partition_implILS8_4ELb0ES6_15HIP_vector_typeIjLj2EENS0_17counting_iteratorIjlEEPS9_SG_NS0_5tupleIJPjSI_NS0_16reverse_iteratorISI_EEEEENSH_IJSG_SG_SG_EEES9_SI_JZNS1_25segmented_radix_sort_implINS0_14default_configELb0EPK6__halfPSP_PKlPlN2at6native12_GLOBAL__N_18offset_tEEE10hipError_tPvRmT1_PNSt15iterator_traitsIS13_E10value_typeET2_T3_PNS14_IS19_E10value_typeET4_jRbjT5_S1F_jjP12ihipStream_tbEUljE_ZNSN_ISO_Lb0ESR_SS_SU_SV_SZ_EES10_S11_S12_S13_S17_S18_S19_S1C_S1D_jS1E_jS1F_S1F_jjS1H_bEUljE0_EEES10_S11_S12_S19_S1D_S1F_T6_T7_T9_mT8_S1H_bDpT10_ENKUlT_T0_E_clISt17integral_constantIbLb1EES1U_IbLb0EEEEDaS1Q_S1R_EUlS1Q_E_NS1_11comp_targetILNS1_3genE3ELNS1_11target_archE908ELNS1_3gpuE7ELNS1_3repE0EEENS1_30default_config_static_selectorELNS0_4arch9wavefront6targetE0EEEvS13_
		.amdhsa_group_segment_fixed_size 0
		.amdhsa_private_segment_fixed_size 0
		.amdhsa_kernarg_size 176
		.amdhsa_user_sgpr_count 2
		.amdhsa_user_sgpr_dispatch_ptr 0
		.amdhsa_user_sgpr_queue_ptr 0
		.amdhsa_user_sgpr_kernarg_segment_ptr 1
		.amdhsa_user_sgpr_dispatch_id 0
		.amdhsa_user_sgpr_kernarg_preload_length 0
		.amdhsa_user_sgpr_kernarg_preload_offset 0
		.amdhsa_user_sgpr_private_segment_size 0
		.amdhsa_wavefront_size32 1
		.amdhsa_uses_dynamic_stack 0
		.amdhsa_enable_private_segment 0
		.amdhsa_system_sgpr_workgroup_id_x 1
		.amdhsa_system_sgpr_workgroup_id_y 0
		.amdhsa_system_sgpr_workgroup_id_z 0
		.amdhsa_system_sgpr_workgroup_info 0
		.amdhsa_system_vgpr_workitem_id 0
		.amdhsa_next_free_vgpr 1
		.amdhsa_next_free_sgpr 1
		.amdhsa_named_barrier_count 0
		.amdhsa_reserve_vcc 0
		.amdhsa_float_round_mode_32 0
		.amdhsa_float_round_mode_16_64 0
		.amdhsa_float_denorm_mode_32 3
		.amdhsa_float_denorm_mode_16_64 3
		.amdhsa_fp16_overflow 0
		.amdhsa_memory_ordered 1
		.amdhsa_forward_progress 1
		.amdhsa_inst_pref_size 0
		.amdhsa_round_robin_scheduling 0
		.amdhsa_exception_fp_ieee_invalid_op 0
		.amdhsa_exception_fp_denorm_src 0
		.amdhsa_exception_fp_ieee_div_zero 0
		.amdhsa_exception_fp_ieee_overflow 0
		.amdhsa_exception_fp_ieee_underflow 0
		.amdhsa_exception_fp_ieee_inexact 0
		.amdhsa_exception_int_div_zero 0
	.end_amdhsa_kernel
	.section	.text._ZN7rocprim17ROCPRIM_400000_NS6detail17trampoline_kernelINS0_13select_configILj256ELj13ELNS0_17block_load_methodE3ELS4_3ELS4_3ELNS0_20block_scan_algorithmE0ELj4294967295EEENS1_25partition_config_selectorILNS1_17partition_subalgoE4EjNS0_10empty_typeEbEEZZNS1_14partition_implILS8_4ELb0ES6_15HIP_vector_typeIjLj2EENS0_17counting_iteratorIjlEEPS9_SG_NS0_5tupleIJPjSI_NS0_16reverse_iteratorISI_EEEEENSH_IJSG_SG_SG_EEES9_SI_JZNS1_25segmented_radix_sort_implINS0_14default_configELb0EPK6__halfPSP_PKlPlN2at6native12_GLOBAL__N_18offset_tEEE10hipError_tPvRmT1_PNSt15iterator_traitsIS13_E10value_typeET2_T3_PNS14_IS19_E10value_typeET4_jRbjT5_S1F_jjP12ihipStream_tbEUljE_ZNSN_ISO_Lb0ESR_SS_SU_SV_SZ_EES10_S11_S12_S13_S17_S18_S19_S1C_S1D_jS1E_jS1F_S1F_jjS1H_bEUljE0_EEES10_S11_S12_S19_S1D_S1F_T6_T7_T9_mT8_S1H_bDpT10_ENKUlT_T0_E_clISt17integral_constantIbLb1EES1U_IbLb0EEEEDaS1Q_S1R_EUlS1Q_E_NS1_11comp_targetILNS1_3genE3ELNS1_11target_archE908ELNS1_3gpuE7ELNS1_3repE0EEENS1_30default_config_static_selectorELNS0_4arch9wavefront6targetE0EEEvS13_,"axG",@progbits,_ZN7rocprim17ROCPRIM_400000_NS6detail17trampoline_kernelINS0_13select_configILj256ELj13ELNS0_17block_load_methodE3ELS4_3ELS4_3ELNS0_20block_scan_algorithmE0ELj4294967295EEENS1_25partition_config_selectorILNS1_17partition_subalgoE4EjNS0_10empty_typeEbEEZZNS1_14partition_implILS8_4ELb0ES6_15HIP_vector_typeIjLj2EENS0_17counting_iteratorIjlEEPS9_SG_NS0_5tupleIJPjSI_NS0_16reverse_iteratorISI_EEEEENSH_IJSG_SG_SG_EEES9_SI_JZNS1_25segmented_radix_sort_implINS0_14default_configELb0EPK6__halfPSP_PKlPlN2at6native12_GLOBAL__N_18offset_tEEE10hipError_tPvRmT1_PNSt15iterator_traitsIS13_E10value_typeET2_T3_PNS14_IS19_E10value_typeET4_jRbjT5_S1F_jjP12ihipStream_tbEUljE_ZNSN_ISO_Lb0ESR_SS_SU_SV_SZ_EES10_S11_S12_S13_S17_S18_S19_S1C_S1D_jS1E_jS1F_S1F_jjS1H_bEUljE0_EEES10_S11_S12_S19_S1D_S1F_T6_T7_T9_mT8_S1H_bDpT10_ENKUlT_T0_E_clISt17integral_constantIbLb1EES1U_IbLb0EEEEDaS1Q_S1R_EUlS1Q_E_NS1_11comp_targetILNS1_3genE3ELNS1_11target_archE908ELNS1_3gpuE7ELNS1_3repE0EEENS1_30default_config_static_selectorELNS0_4arch9wavefront6targetE0EEEvS13_,comdat
.Lfunc_end1787:
	.size	_ZN7rocprim17ROCPRIM_400000_NS6detail17trampoline_kernelINS0_13select_configILj256ELj13ELNS0_17block_load_methodE3ELS4_3ELS4_3ELNS0_20block_scan_algorithmE0ELj4294967295EEENS1_25partition_config_selectorILNS1_17partition_subalgoE4EjNS0_10empty_typeEbEEZZNS1_14partition_implILS8_4ELb0ES6_15HIP_vector_typeIjLj2EENS0_17counting_iteratorIjlEEPS9_SG_NS0_5tupleIJPjSI_NS0_16reverse_iteratorISI_EEEEENSH_IJSG_SG_SG_EEES9_SI_JZNS1_25segmented_radix_sort_implINS0_14default_configELb0EPK6__halfPSP_PKlPlN2at6native12_GLOBAL__N_18offset_tEEE10hipError_tPvRmT1_PNSt15iterator_traitsIS13_E10value_typeET2_T3_PNS14_IS19_E10value_typeET4_jRbjT5_S1F_jjP12ihipStream_tbEUljE_ZNSN_ISO_Lb0ESR_SS_SU_SV_SZ_EES10_S11_S12_S13_S17_S18_S19_S1C_S1D_jS1E_jS1F_S1F_jjS1H_bEUljE0_EEES10_S11_S12_S19_S1D_S1F_T6_T7_T9_mT8_S1H_bDpT10_ENKUlT_T0_E_clISt17integral_constantIbLb1EES1U_IbLb0EEEEDaS1Q_S1R_EUlS1Q_E_NS1_11comp_targetILNS1_3genE3ELNS1_11target_archE908ELNS1_3gpuE7ELNS1_3repE0EEENS1_30default_config_static_selectorELNS0_4arch9wavefront6targetE0EEEvS13_, .Lfunc_end1787-_ZN7rocprim17ROCPRIM_400000_NS6detail17trampoline_kernelINS0_13select_configILj256ELj13ELNS0_17block_load_methodE3ELS4_3ELS4_3ELNS0_20block_scan_algorithmE0ELj4294967295EEENS1_25partition_config_selectorILNS1_17partition_subalgoE4EjNS0_10empty_typeEbEEZZNS1_14partition_implILS8_4ELb0ES6_15HIP_vector_typeIjLj2EENS0_17counting_iteratorIjlEEPS9_SG_NS0_5tupleIJPjSI_NS0_16reverse_iteratorISI_EEEEENSH_IJSG_SG_SG_EEES9_SI_JZNS1_25segmented_radix_sort_implINS0_14default_configELb0EPK6__halfPSP_PKlPlN2at6native12_GLOBAL__N_18offset_tEEE10hipError_tPvRmT1_PNSt15iterator_traitsIS13_E10value_typeET2_T3_PNS14_IS19_E10value_typeET4_jRbjT5_S1F_jjP12ihipStream_tbEUljE_ZNSN_ISO_Lb0ESR_SS_SU_SV_SZ_EES10_S11_S12_S13_S17_S18_S19_S1C_S1D_jS1E_jS1F_S1F_jjS1H_bEUljE0_EEES10_S11_S12_S19_S1D_S1F_T6_T7_T9_mT8_S1H_bDpT10_ENKUlT_T0_E_clISt17integral_constantIbLb1EES1U_IbLb0EEEEDaS1Q_S1R_EUlS1Q_E_NS1_11comp_targetILNS1_3genE3ELNS1_11target_archE908ELNS1_3gpuE7ELNS1_3repE0EEENS1_30default_config_static_selectorELNS0_4arch9wavefront6targetE0EEEvS13_
                                        ; -- End function
	.set _ZN7rocprim17ROCPRIM_400000_NS6detail17trampoline_kernelINS0_13select_configILj256ELj13ELNS0_17block_load_methodE3ELS4_3ELS4_3ELNS0_20block_scan_algorithmE0ELj4294967295EEENS1_25partition_config_selectorILNS1_17partition_subalgoE4EjNS0_10empty_typeEbEEZZNS1_14partition_implILS8_4ELb0ES6_15HIP_vector_typeIjLj2EENS0_17counting_iteratorIjlEEPS9_SG_NS0_5tupleIJPjSI_NS0_16reverse_iteratorISI_EEEEENSH_IJSG_SG_SG_EEES9_SI_JZNS1_25segmented_radix_sort_implINS0_14default_configELb0EPK6__halfPSP_PKlPlN2at6native12_GLOBAL__N_18offset_tEEE10hipError_tPvRmT1_PNSt15iterator_traitsIS13_E10value_typeET2_T3_PNS14_IS19_E10value_typeET4_jRbjT5_S1F_jjP12ihipStream_tbEUljE_ZNSN_ISO_Lb0ESR_SS_SU_SV_SZ_EES10_S11_S12_S13_S17_S18_S19_S1C_S1D_jS1E_jS1F_S1F_jjS1H_bEUljE0_EEES10_S11_S12_S19_S1D_S1F_T6_T7_T9_mT8_S1H_bDpT10_ENKUlT_T0_E_clISt17integral_constantIbLb1EES1U_IbLb0EEEEDaS1Q_S1R_EUlS1Q_E_NS1_11comp_targetILNS1_3genE3ELNS1_11target_archE908ELNS1_3gpuE7ELNS1_3repE0EEENS1_30default_config_static_selectorELNS0_4arch9wavefront6targetE0EEEvS13_.num_vgpr, 0
	.set _ZN7rocprim17ROCPRIM_400000_NS6detail17trampoline_kernelINS0_13select_configILj256ELj13ELNS0_17block_load_methodE3ELS4_3ELS4_3ELNS0_20block_scan_algorithmE0ELj4294967295EEENS1_25partition_config_selectorILNS1_17partition_subalgoE4EjNS0_10empty_typeEbEEZZNS1_14partition_implILS8_4ELb0ES6_15HIP_vector_typeIjLj2EENS0_17counting_iteratorIjlEEPS9_SG_NS0_5tupleIJPjSI_NS0_16reverse_iteratorISI_EEEEENSH_IJSG_SG_SG_EEES9_SI_JZNS1_25segmented_radix_sort_implINS0_14default_configELb0EPK6__halfPSP_PKlPlN2at6native12_GLOBAL__N_18offset_tEEE10hipError_tPvRmT1_PNSt15iterator_traitsIS13_E10value_typeET2_T3_PNS14_IS19_E10value_typeET4_jRbjT5_S1F_jjP12ihipStream_tbEUljE_ZNSN_ISO_Lb0ESR_SS_SU_SV_SZ_EES10_S11_S12_S13_S17_S18_S19_S1C_S1D_jS1E_jS1F_S1F_jjS1H_bEUljE0_EEES10_S11_S12_S19_S1D_S1F_T6_T7_T9_mT8_S1H_bDpT10_ENKUlT_T0_E_clISt17integral_constantIbLb1EES1U_IbLb0EEEEDaS1Q_S1R_EUlS1Q_E_NS1_11comp_targetILNS1_3genE3ELNS1_11target_archE908ELNS1_3gpuE7ELNS1_3repE0EEENS1_30default_config_static_selectorELNS0_4arch9wavefront6targetE0EEEvS13_.num_agpr, 0
	.set _ZN7rocprim17ROCPRIM_400000_NS6detail17trampoline_kernelINS0_13select_configILj256ELj13ELNS0_17block_load_methodE3ELS4_3ELS4_3ELNS0_20block_scan_algorithmE0ELj4294967295EEENS1_25partition_config_selectorILNS1_17partition_subalgoE4EjNS0_10empty_typeEbEEZZNS1_14partition_implILS8_4ELb0ES6_15HIP_vector_typeIjLj2EENS0_17counting_iteratorIjlEEPS9_SG_NS0_5tupleIJPjSI_NS0_16reverse_iteratorISI_EEEEENSH_IJSG_SG_SG_EEES9_SI_JZNS1_25segmented_radix_sort_implINS0_14default_configELb0EPK6__halfPSP_PKlPlN2at6native12_GLOBAL__N_18offset_tEEE10hipError_tPvRmT1_PNSt15iterator_traitsIS13_E10value_typeET2_T3_PNS14_IS19_E10value_typeET4_jRbjT5_S1F_jjP12ihipStream_tbEUljE_ZNSN_ISO_Lb0ESR_SS_SU_SV_SZ_EES10_S11_S12_S13_S17_S18_S19_S1C_S1D_jS1E_jS1F_S1F_jjS1H_bEUljE0_EEES10_S11_S12_S19_S1D_S1F_T6_T7_T9_mT8_S1H_bDpT10_ENKUlT_T0_E_clISt17integral_constantIbLb1EES1U_IbLb0EEEEDaS1Q_S1R_EUlS1Q_E_NS1_11comp_targetILNS1_3genE3ELNS1_11target_archE908ELNS1_3gpuE7ELNS1_3repE0EEENS1_30default_config_static_selectorELNS0_4arch9wavefront6targetE0EEEvS13_.numbered_sgpr, 0
	.set _ZN7rocprim17ROCPRIM_400000_NS6detail17trampoline_kernelINS0_13select_configILj256ELj13ELNS0_17block_load_methodE3ELS4_3ELS4_3ELNS0_20block_scan_algorithmE0ELj4294967295EEENS1_25partition_config_selectorILNS1_17partition_subalgoE4EjNS0_10empty_typeEbEEZZNS1_14partition_implILS8_4ELb0ES6_15HIP_vector_typeIjLj2EENS0_17counting_iteratorIjlEEPS9_SG_NS0_5tupleIJPjSI_NS0_16reverse_iteratorISI_EEEEENSH_IJSG_SG_SG_EEES9_SI_JZNS1_25segmented_radix_sort_implINS0_14default_configELb0EPK6__halfPSP_PKlPlN2at6native12_GLOBAL__N_18offset_tEEE10hipError_tPvRmT1_PNSt15iterator_traitsIS13_E10value_typeET2_T3_PNS14_IS19_E10value_typeET4_jRbjT5_S1F_jjP12ihipStream_tbEUljE_ZNSN_ISO_Lb0ESR_SS_SU_SV_SZ_EES10_S11_S12_S13_S17_S18_S19_S1C_S1D_jS1E_jS1F_S1F_jjS1H_bEUljE0_EEES10_S11_S12_S19_S1D_S1F_T6_T7_T9_mT8_S1H_bDpT10_ENKUlT_T0_E_clISt17integral_constantIbLb1EES1U_IbLb0EEEEDaS1Q_S1R_EUlS1Q_E_NS1_11comp_targetILNS1_3genE3ELNS1_11target_archE908ELNS1_3gpuE7ELNS1_3repE0EEENS1_30default_config_static_selectorELNS0_4arch9wavefront6targetE0EEEvS13_.num_named_barrier, 0
	.set _ZN7rocprim17ROCPRIM_400000_NS6detail17trampoline_kernelINS0_13select_configILj256ELj13ELNS0_17block_load_methodE3ELS4_3ELS4_3ELNS0_20block_scan_algorithmE0ELj4294967295EEENS1_25partition_config_selectorILNS1_17partition_subalgoE4EjNS0_10empty_typeEbEEZZNS1_14partition_implILS8_4ELb0ES6_15HIP_vector_typeIjLj2EENS0_17counting_iteratorIjlEEPS9_SG_NS0_5tupleIJPjSI_NS0_16reverse_iteratorISI_EEEEENSH_IJSG_SG_SG_EEES9_SI_JZNS1_25segmented_radix_sort_implINS0_14default_configELb0EPK6__halfPSP_PKlPlN2at6native12_GLOBAL__N_18offset_tEEE10hipError_tPvRmT1_PNSt15iterator_traitsIS13_E10value_typeET2_T3_PNS14_IS19_E10value_typeET4_jRbjT5_S1F_jjP12ihipStream_tbEUljE_ZNSN_ISO_Lb0ESR_SS_SU_SV_SZ_EES10_S11_S12_S13_S17_S18_S19_S1C_S1D_jS1E_jS1F_S1F_jjS1H_bEUljE0_EEES10_S11_S12_S19_S1D_S1F_T6_T7_T9_mT8_S1H_bDpT10_ENKUlT_T0_E_clISt17integral_constantIbLb1EES1U_IbLb0EEEEDaS1Q_S1R_EUlS1Q_E_NS1_11comp_targetILNS1_3genE3ELNS1_11target_archE908ELNS1_3gpuE7ELNS1_3repE0EEENS1_30default_config_static_selectorELNS0_4arch9wavefront6targetE0EEEvS13_.private_seg_size, 0
	.set _ZN7rocprim17ROCPRIM_400000_NS6detail17trampoline_kernelINS0_13select_configILj256ELj13ELNS0_17block_load_methodE3ELS4_3ELS4_3ELNS0_20block_scan_algorithmE0ELj4294967295EEENS1_25partition_config_selectorILNS1_17partition_subalgoE4EjNS0_10empty_typeEbEEZZNS1_14partition_implILS8_4ELb0ES6_15HIP_vector_typeIjLj2EENS0_17counting_iteratorIjlEEPS9_SG_NS0_5tupleIJPjSI_NS0_16reverse_iteratorISI_EEEEENSH_IJSG_SG_SG_EEES9_SI_JZNS1_25segmented_radix_sort_implINS0_14default_configELb0EPK6__halfPSP_PKlPlN2at6native12_GLOBAL__N_18offset_tEEE10hipError_tPvRmT1_PNSt15iterator_traitsIS13_E10value_typeET2_T3_PNS14_IS19_E10value_typeET4_jRbjT5_S1F_jjP12ihipStream_tbEUljE_ZNSN_ISO_Lb0ESR_SS_SU_SV_SZ_EES10_S11_S12_S13_S17_S18_S19_S1C_S1D_jS1E_jS1F_S1F_jjS1H_bEUljE0_EEES10_S11_S12_S19_S1D_S1F_T6_T7_T9_mT8_S1H_bDpT10_ENKUlT_T0_E_clISt17integral_constantIbLb1EES1U_IbLb0EEEEDaS1Q_S1R_EUlS1Q_E_NS1_11comp_targetILNS1_3genE3ELNS1_11target_archE908ELNS1_3gpuE7ELNS1_3repE0EEENS1_30default_config_static_selectorELNS0_4arch9wavefront6targetE0EEEvS13_.uses_vcc, 0
	.set _ZN7rocprim17ROCPRIM_400000_NS6detail17trampoline_kernelINS0_13select_configILj256ELj13ELNS0_17block_load_methodE3ELS4_3ELS4_3ELNS0_20block_scan_algorithmE0ELj4294967295EEENS1_25partition_config_selectorILNS1_17partition_subalgoE4EjNS0_10empty_typeEbEEZZNS1_14partition_implILS8_4ELb0ES6_15HIP_vector_typeIjLj2EENS0_17counting_iteratorIjlEEPS9_SG_NS0_5tupleIJPjSI_NS0_16reverse_iteratorISI_EEEEENSH_IJSG_SG_SG_EEES9_SI_JZNS1_25segmented_radix_sort_implINS0_14default_configELb0EPK6__halfPSP_PKlPlN2at6native12_GLOBAL__N_18offset_tEEE10hipError_tPvRmT1_PNSt15iterator_traitsIS13_E10value_typeET2_T3_PNS14_IS19_E10value_typeET4_jRbjT5_S1F_jjP12ihipStream_tbEUljE_ZNSN_ISO_Lb0ESR_SS_SU_SV_SZ_EES10_S11_S12_S13_S17_S18_S19_S1C_S1D_jS1E_jS1F_S1F_jjS1H_bEUljE0_EEES10_S11_S12_S19_S1D_S1F_T6_T7_T9_mT8_S1H_bDpT10_ENKUlT_T0_E_clISt17integral_constantIbLb1EES1U_IbLb0EEEEDaS1Q_S1R_EUlS1Q_E_NS1_11comp_targetILNS1_3genE3ELNS1_11target_archE908ELNS1_3gpuE7ELNS1_3repE0EEENS1_30default_config_static_selectorELNS0_4arch9wavefront6targetE0EEEvS13_.uses_flat_scratch, 0
	.set _ZN7rocprim17ROCPRIM_400000_NS6detail17trampoline_kernelINS0_13select_configILj256ELj13ELNS0_17block_load_methodE3ELS4_3ELS4_3ELNS0_20block_scan_algorithmE0ELj4294967295EEENS1_25partition_config_selectorILNS1_17partition_subalgoE4EjNS0_10empty_typeEbEEZZNS1_14partition_implILS8_4ELb0ES6_15HIP_vector_typeIjLj2EENS0_17counting_iteratorIjlEEPS9_SG_NS0_5tupleIJPjSI_NS0_16reverse_iteratorISI_EEEEENSH_IJSG_SG_SG_EEES9_SI_JZNS1_25segmented_radix_sort_implINS0_14default_configELb0EPK6__halfPSP_PKlPlN2at6native12_GLOBAL__N_18offset_tEEE10hipError_tPvRmT1_PNSt15iterator_traitsIS13_E10value_typeET2_T3_PNS14_IS19_E10value_typeET4_jRbjT5_S1F_jjP12ihipStream_tbEUljE_ZNSN_ISO_Lb0ESR_SS_SU_SV_SZ_EES10_S11_S12_S13_S17_S18_S19_S1C_S1D_jS1E_jS1F_S1F_jjS1H_bEUljE0_EEES10_S11_S12_S19_S1D_S1F_T6_T7_T9_mT8_S1H_bDpT10_ENKUlT_T0_E_clISt17integral_constantIbLb1EES1U_IbLb0EEEEDaS1Q_S1R_EUlS1Q_E_NS1_11comp_targetILNS1_3genE3ELNS1_11target_archE908ELNS1_3gpuE7ELNS1_3repE0EEENS1_30default_config_static_selectorELNS0_4arch9wavefront6targetE0EEEvS13_.has_dyn_sized_stack, 0
	.set _ZN7rocprim17ROCPRIM_400000_NS6detail17trampoline_kernelINS0_13select_configILj256ELj13ELNS0_17block_load_methodE3ELS4_3ELS4_3ELNS0_20block_scan_algorithmE0ELj4294967295EEENS1_25partition_config_selectorILNS1_17partition_subalgoE4EjNS0_10empty_typeEbEEZZNS1_14partition_implILS8_4ELb0ES6_15HIP_vector_typeIjLj2EENS0_17counting_iteratorIjlEEPS9_SG_NS0_5tupleIJPjSI_NS0_16reverse_iteratorISI_EEEEENSH_IJSG_SG_SG_EEES9_SI_JZNS1_25segmented_radix_sort_implINS0_14default_configELb0EPK6__halfPSP_PKlPlN2at6native12_GLOBAL__N_18offset_tEEE10hipError_tPvRmT1_PNSt15iterator_traitsIS13_E10value_typeET2_T3_PNS14_IS19_E10value_typeET4_jRbjT5_S1F_jjP12ihipStream_tbEUljE_ZNSN_ISO_Lb0ESR_SS_SU_SV_SZ_EES10_S11_S12_S13_S17_S18_S19_S1C_S1D_jS1E_jS1F_S1F_jjS1H_bEUljE0_EEES10_S11_S12_S19_S1D_S1F_T6_T7_T9_mT8_S1H_bDpT10_ENKUlT_T0_E_clISt17integral_constantIbLb1EES1U_IbLb0EEEEDaS1Q_S1R_EUlS1Q_E_NS1_11comp_targetILNS1_3genE3ELNS1_11target_archE908ELNS1_3gpuE7ELNS1_3repE0EEENS1_30default_config_static_selectorELNS0_4arch9wavefront6targetE0EEEvS13_.has_recursion, 0
	.set _ZN7rocprim17ROCPRIM_400000_NS6detail17trampoline_kernelINS0_13select_configILj256ELj13ELNS0_17block_load_methodE3ELS4_3ELS4_3ELNS0_20block_scan_algorithmE0ELj4294967295EEENS1_25partition_config_selectorILNS1_17partition_subalgoE4EjNS0_10empty_typeEbEEZZNS1_14partition_implILS8_4ELb0ES6_15HIP_vector_typeIjLj2EENS0_17counting_iteratorIjlEEPS9_SG_NS0_5tupleIJPjSI_NS0_16reverse_iteratorISI_EEEEENSH_IJSG_SG_SG_EEES9_SI_JZNS1_25segmented_radix_sort_implINS0_14default_configELb0EPK6__halfPSP_PKlPlN2at6native12_GLOBAL__N_18offset_tEEE10hipError_tPvRmT1_PNSt15iterator_traitsIS13_E10value_typeET2_T3_PNS14_IS19_E10value_typeET4_jRbjT5_S1F_jjP12ihipStream_tbEUljE_ZNSN_ISO_Lb0ESR_SS_SU_SV_SZ_EES10_S11_S12_S13_S17_S18_S19_S1C_S1D_jS1E_jS1F_S1F_jjS1H_bEUljE0_EEES10_S11_S12_S19_S1D_S1F_T6_T7_T9_mT8_S1H_bDpT10_ENKUlT_T0_E_clISt17integral_constantIbLb1EES1U_IbLb0EEEEDaS1Q_S1R_EUlS1Q_E_NS1_11comp_targetILNS1_3genE3ELNS1_11target_archE908ELNS1_3gpuE7ELNS1_3repE0EEENS1_30default_config_static_selectorELNS0_4arch9wavefront6targetE0EEEvS13_.has_indirect_call, 0
	.section	.AMDGPU.csdata,"",@progbits
; Kernel info:
; codeLenInByte = 0
; TotalNumSgprs: 0
; NumVgprs: 0
; ScratchSize: 0
; MemoryBound: 0
; FloatMode: 240
; IeeeMode: 1
; LDSByteSize: 0 bytes/workgroup (compile time only)
; SGPRBlocks: 0
; VGPRBlocks: 0
; NumSGPRsForWavesPerEU: 1
; NumVGPRsForWavesPerEU: 1
; NamedBarCnt: 0
; Occupancy: 16
; WaveLimiterHint : 0
; COMPUTE_PGM_RSRC2:SCRATCH_EN: 0
; COMPUTE_PGM_RSRC2:USER_SGPR: 2
; COMPUTE_PGM_RSRC2:TRAP_HANDLER: 0
; COMPUTE_PGM_RSRC2:TGID_X_EN: 1
; COMPUTE_PGM_RSRC2:TGID_Y_EN: 0
; COMPUTE_PGM_RSRC2:TGID_Z_EN: 0
; COMPUTE_PGM_RSRC2:TIDIG_COMP_CNT: 0
	.section	.text._ZN7rocprim17ROCPRIM_400000_NS6detail17trampoline_kernelINS0_13select_configILj256ELj13ELNS0_17block_load_methodE3ELS4_3ELS4_3ELNS0_20block_scan_algorithmE0ELj4294967295EEENS1_25partition_config_selectorILNS1_17partition_subalgoE4EjNS0_10empty_typeEbEEZZNS1_14partition_implILS8_4ELb0ES6_15HIP_vector_typeIjLj2EENS0_17counting_iteratorIjlEEPS9_SG_NS0_5tupleIJPjSI_NS0_16reverse_iteratorISI_EEEEENSH_IJSG_SG_SG_EEES9_SI_JZNS1_25segmented_radix_sort_implINS0_14default_configELb0EPK6__halfPSP_PKlPlN2at6native12_GLOBAL__N_18offset_tEEE10hipError_tPvRmT1_PNSt15iterator_traitsIS13_E10value_typeET2_T3_PNS14_IS19_E10value_typeET4_jRbjT5_S1F_jjP12ihipStream_tbEUljE_ZNSN_ISO_Lb0ESR_SS_SU_SV_SZ_EES10_S11_S12_S13_S17_S18_S19_S1C_S1D_jS1E_jS1F_S1F_jjS1H_bEUljE0_EEES10_S11_S12_S19_S1D_S1F_T6_T7_T9_mT8_S1H_bDpT10_ENKUlT_T0_E_clISt17integral_constantIbLb1EES1U_IbLb0EEEEDaS1Q_S1R_EUlS1Q_E_NS1_11comp_targetILNS1_3genE2ELNS1_11target_archE906ELNS1_3gpuE6ELNS1_3repE0EEENS1_30default_config_static_selectorELNS0_4arch9wavefront6targetE0EEEvS13_,"axG",@progbits,_ZN7rocprim17ROCPRIM_400000_NS6detail17trampoline_kernelINS0_13select_configILj256ELj13ELNS0_17block_load_methodE3ELS4_3ELS4_3ELNS0_20block_scan_algorithmE0ELj4294967295EEENS1_25partition_config_selectorILNS1_17partition_subalgoE4EjNS0_10empty_typeEbEEZZNS1_14partition_implILS8_4ELb0ES6_15HIP_vector_typeIjLj2EENS0_17counting_iteratorIjlEEPS9_SG_NS0_5tupleIJPjSI_NS0_16reverse_iteratorISI_EEEEENSH_IJSG_SG_SG_EEES9_SI_JZNS1_25segmented_radix_sort_implINS0_14default_configELb0EPK6__halfPSP_PKlPlN2at6native12_GLOBAL__N_18offset_tEEE10hipError_tPvRmT1_PNSt15iterator_traitsIS13_E10value_typeET2_T3_PNS14_IS19_E10value_typeET4_jRbjT5_S1F_jjP12ihipStream_tbEUljE_ZNSN_ISO_Lb0ESR_SS_SU_SV_SZ_EES10_S11_S12_S13_S17_S18_S19_S1C_S1D_jS1E_jS1F_S1F_jjS1H_bEUljE0_EEES10_S11_S12_S19_S1D_S1F_T6_T7_T9_mT8_S1H_bDpT10_ENKUlT_T0_E_clISt17integral_constantIbLb1EES1U_IbLb0EEEEDaS1Q_S1R_EUlS1Q_E_NS1_11comp_targetILNS1_3genE2ELNS1_11target_archE906ELNS1_3gpuE6ELNS1_3repE0EEENS1_30default_config_static_selectorELNS0_4arch9wavefront6targetE0EEEvS13_,comdat
	.globl	_ZN7rocprim17ROCPRIM_400000_NS6detail17trampoline_kernelINS0_13select_configILj256ELj13ELNS0_17block_load_methodE3ELS4_3ELS4_3ELNS0_20block_scan_algorithmE0ELj4294967295EEENS1_25partition_config_selectorILNS1_17partition_subalgoE4EjNS0_10empty_typeEbEEZZNS1_14partition_implILS8_4ELb0ES6_15HIP_vector_typeIjLj2EENS0_17counting_iteratorIjlEEPS9_SG_NS0_5tupleIJPjSI_NS0_16reverse_iteratorISI_EEEEENSH_IJSG_SG_SG_EEES9_SI_JZNS1_25segmented_radix_sort_implINS0_14default_configELb0EPK6__halfPSP_PKlPlN2at6native12_GLOBAL__N_18offset_tEEE10hipError_tPvRmT1_PNSt15iterator_traitsIS13_E10value_typeET2_T3_PNS14_IS19_E10value_typeET4_jRbjT5_S1F_jjP12ihipStream_tbEUljE_ZNSN_ISO_Lb0ESR_SS_SU_SV_SZ_EES10_S11_S12_S13_S17_S18_S19_S1C_S1D_jS1E_jS1F_S1F_jjS1H_bEUljE0_EEES10_S11_S12_S19_S1D_S1F_T6_T7_T9_mT8_S1H_bDpT10_ENKUlT_T0_E_clISt17integral_constantIbLb1EES1U_IbLb0EEEEDaS1Q_S1R_EUlS1Q_E_NS1_11comp_targetILNS1_3genE2ELNS1_11target_archE906ELNS1_3gpuE6ELNS1_3repE0EEENS1_30default_config_static_selectorELNS0_4arch9wavefront6targetE0EEEvS13_ ; -- Begin function _ZN7rocprim17ROCPRIM_400000_NS6detail17trampoline_kernelINS0_13select_configILj256ELj13ELNS0_17block_load_methodE3ELS4_3ELS4_3ELNS0_20block_scan_algorithmE0ELj4294967295EEENS1_25partition_config_selectorILNS1_17partition_subalgoE4EjNS0_10empty_typeEbEEZZNS1_14partition_implILS8_4ELb0ES6_15HIP_vector_typeIjLj2EENS0_17counting_iteratorIjlEEPS9_SG_NS0_5tupleIJPjSI_NS0_16reverse_iteratorISI_EEEEENSH_IJSG_SG_SG_EEES9_SI_JZNS1_25segmented_radix_sort_implINS0_14default_configELb0EPK6__halfPSP_PKlPlN2at6native12_GLOBAL__N_18offset_tEEE10hipError_tPvRmT1_PNSt15iterator_traitsIS13_E10value_typeET2_T3_PNS14_IS19_E10value_typeET4_jRbjT5_S1F_jjP12ihipStream_tbEUljE_ZNSN_ISO_Lb0ESR_SS_SU_SV_SZ_EES10_S11_S12_S13_S17_S18_S19_S1C_S1D_jS1E_jS1F_S1F_jjS1H_bEUljE0_EEES10_S11_S12_S19_S1D_S1F_T6_T7_T9_mT8_S1H_bDpT10_ENKUlT_T0_E_clISt17integral_constantIbLb1EES1U_IbLb0EEEEDaS1Q_S1R_EUlS1Q_E_NS1_11comp_targetILNS1_3genE2ELNS1_11target_archE906ELNS1_3gpuE6ELNS1_3repE0EEENS1_30default_config_static_selectorELNS0_4arch9wavefront6targetE0EEEvS13_
	.p2align	8
	.type	_ZN7rocprim17ROCPRIM_400000_NS6detail17trampoline_kernelINS0_13select_configILj256ELj13ELNS0_17block_load_methodE3ELS4_3ELS4_3ELNS0_20block_scan_algorithmE0ELj4294967295EEENS1_25partition_config_selectorILNS1_17partition_subalgoE4EjNS0_10empty_typeEbEEZZNS1_14partition_implILS8_4ELb0ES6_15HIP_vector_typeIjLj2EENS0_17counting_iteratorIjlEEPS9_SG_NS0_5tupleIJPjSI_NS0_16reverse_iteratorISI_EEEEENSH_IJSG_SG_SG_EEES9_SI_JZNS1_25segmented_radix_sort_implINS0_14default_configELb0EPK6__halfPSP_PKlPlN2at6native12_GLOBAL__N_18offset_tEEE10hipError_tPvRmT1_PNSt15iterator_traitsIS13_E10value_typeET2_T3_PNS14_IS19_E10value_typeET4_jRbjT5_S1F_jjP12ihipStream_tbEUljE_ZNSN_ISO_Lb0ESR_SS_SU_SV_SZ_EES10_S11_S12_S13_S17_S18_S19_S1C_S1D_jS1E_jS1F_S1F_jjS1H_bEUljE0_EEES10_S11_S12_S19_S1D_S1F_T6_T7_T9_mT8_S1H_bDpT10_ENKUlT_T0_E_clISt17integral_constantIbLb1EES1U_IbLb0EEEEDaS1Q_S1R_EUlS1Q_E_NS1_11comp_targetILNS1_3genE2ELNS1_11target_archE906ELNS1_3gpuE6ELNS1_3repE0EEENS1_30default_config_static_selectorELNS0_4arch9wavefront6targetE0EEEvS13_,@function
_ZN7rocprim17ROCPRIM_400000_NS6detail17trampoline_kernelINS0_13select_configILj256ELj13ELNS0_17block_load_methodE3ELS4_3ELS4_3ELNS0_20block_scan_algorithmE0ELj4294967295EEENS1_25partition_config_selectorILNS1_17partition_subalgoE4EjNS0_10empty_typeEbEEZZNS1_14partition_implILS8_4ELb0ES6_15HIP_vector_typeIjLj2EENS0_17counting_iteratorIjlEEPS9_SG_NS0_5tupleIJPjSI_NS0_16reverse_iteratorISI_EEEEENSH_IJSG_SG_SG_EEES9_SI_JZNS1_25segmented_radix_sort_implINS0_14default_configELb0EPK6__halfPSP_PKlPlN2at6native12_GLOBAL__N_18offset_tEEE10hipError_tPvRmT1_PNSt15iterator_traitsIS13_E10value_typeET2_T3_PNS14_IS19_E10value_typeET4_jRbjT5_S1F_jjP12ihipStream_tbEUljE_ZNSN_ISO_Lb0ESR_SS_SU_SV_SZ_EES10_S11_S12_S13_S17_S18_S19_S1C_S1D_jS1E_jS1F_S1F_jjS1H_bEUljE0_EEES10_S11_S12_S19_S1D_S1F_T6_T7_T9_mT8_S1H_bDpT10_ENKUlT_T0_E_clISt17integral_constantIbLb1EES1U_IbLb0EEEEDaS1Q_S1R_EUlS1Q_E_NS1_11comp_targetILNS1_3genE2ELNS1_11target_archE906ELNS1_3gpuE6ELNS1_3repE0EEENS1_30default_config_static_selectorELNS0_4arch9wavefront6targetE0EEEvS13_: ; @_ZN7rocprim17ROCPRIM_400000_NS6detail17trampoline_kernelINS0_13select_configILj256ELj13ELNS0_17block_load_methodE3ELS4_3ELS4_3ELNS0_20block_scan_algorithmE0ELj4294967295EEENS1_25partition_config_selectorILNS1_17partition_subalgoE4EjNS0_10empty_typeEbEEZZNS1_14partition_implILS8_4ELb0ES6_15HIP_vector_typeIjLj2EENS0_17counting_iteratorIjlEEPS9_SG_NS0_5tupleIJPjSI_NS0_16reverse_iteratorISI_EEEEENSH_IJSG_SG_SG_EEES9_SI_JZNS1_25segmented_radix_sort_implINS0_14default_configELb0EPK6__halfPSP_PKlPlN2at6native12_GLOBAL__N_18offset_tEEE10hipError_tPvRmT1_PNSt15iterator_traitsIS13_E10value_typeET2_T3_PNS14_IS19_E10value_typeET4_jRbjT5_S1F_jjP12ihipStream_tbEUljE_ZNSN_ISO_Lb0ESR_SS_SU_SV_SZ_EES10_S11_S12_S13_S17_S18_S19_S1C_S1D_jS1E_jS1F_S1F_jjS1H_bEUljE0_EEES10_S11_S12_S19_S1D_S1F_T6_T7_T9_mT8_S1H_bDpT10_ENKUlT_T0_E_clISt17integral_constantIbLb1EES1U_IbLb0EEEEDaS1Q_S1R_EUlS1Q_E_NS1_11comp_targetILNS1_3genE2ELNS1_11target_archE906ELNS1_3gpuE6ELNS1_3repE0EEENS1_30default_config_static_selectorELNS0_4arch9wavefront6targetE0EEEvS13_
; %bb.0:
	.section	.rodata,"a",@progbits
	.p2align	6, 0x0
	.amdhsa_kernel _ZN7rocprim17ROCPRIM_400000_NS6detail17trampoline_kernelINS0_13select_configILj256ELj13ELNS0_17block_load_methodE3ELS4_3ELS4_3ELNS0_20block_scan_algorithmE0ELj4294967295EEENS1_25partition_config_selectorILNS1_17partition_subalgoE4EjNS0_10empty_typeEbEEZZNS1_14partition_implILS8_4ELb0ES6_15HIP_vector_typeIjLj2EENS0_17counting_iteratorIjlEEPS9_SG_NS0_5tupleIJPjSI_NS0_16reverse_iteratorISI_EEEEENSH_IJSG_SG_SG_EEES9_SI_JZNS1_25segmented_radix_sort_implINS0_14default_configELb0EPK6__halfPSP_PKlPlN2at6native12_GLOBAL__N_18offset_tEEE10hipError_tPvRmT1_PNSt15iterator_traitsIS13_E10value_typeET2_T3_PNS14_IS19_E10value_typeET4_jRbjT5_S1F_jjP12ihipStream_tbEUljE_ZNSN_ISO_Lb0ESR_SS_SU_SV_SZ_EES10_S11_S12_S13_S17_S18_S19_S1C_S1D_jS1E_jS1F_S1F_jjS1H_bEUljE0_EEES10_S11_S12_S19_S1D_S1F_T6_T7_T9_mT8_S1H_bDpT10_ENKUlT_T0_E_clISt17integral_constantIbLb1EES1U_IbLb0EEEEDaS1Q_S1R_EUlS1Q_E_NS1_11comp_targetILNS1_3genE2ELNS1_11target_archE906ELNS1_3gpuE6ELNS1_3repE0EEENS1_30default_config_static_selectorELNS0_4arch9wavefront6targetE0EEEvS13_
		.amdhsa_group_segment_fixed_size 0
		.amdhsa_private_segment_fixed_size 0
		.amdhsa_kernarg_size 176
		.amdhsa_user_sgpr_count 2
		.amdhsa_user_sgpr_dispatch_ptr 0
		.amdhsa_user_sgpr_queue_ptr 0
		.amdhsa_user_sgpr_kernarg_segment_ptr 1
		.amdhsa_user_sgpr_dispatch_id 0
		.amdhsa_user_sgpr_kernarg_preload_length 0
		.amdhsa_user_sgpr_kernarg_preload_offset 0
		.amdhsa_user_sgpr_private_segment_size 0
		.amdhsa_wavefront_size32 1
		.amdhsa_uses_dynamic_stack 0
		.amdhsa_enable_private_segment 0
		.amdhsa_system_sgpr_workgroup_id_x 1
		.amdhsa_system_sgpr_workgroup_id_y 0
		.amdhsa_system_sgpr_workgroup_id_z 0
		.amdhsa_system_sgpr_workgroup_info 0
		.amdhsa_system_vgpr_workitem_id 0
		.amdhsa_next_free_vgpr 1
		.amdhsa_next_free_sgpr 1
		.amdhsa_named_barrier_count 0
		.amdhsa_reserve_vcc 0
		.amdhsa_float_round_mode_32 0
		.amdhsa_float_round_mode_16_64 0
		.amdhsa_float_denorm_mode_32 3
		.amdhsa_float_denorm_mode_16_64 3
		.amdhsa_fp16_overflow 0
		.amdhsa_memory_ordered 1
		.amdhsa_forward_progress 1
		.amdhsa_inst_pref_size 0
		.amdhsa_round_robin_scheduling 0
		.amdhsa_exception_fp_ieee_invalid_op 0
		.amdhsa_exception_fp_denorm_src 0
		.amdhsa_exception_fp_ieee_div_zero 0
		.amdhsa_exception_fp_ieee_overflow 0
		.amdhsa_exception_fp_ieee_underflow 0
		.amdhsa_exception_fp_ieee_inexact 0
		.amdhsa_exception_int_div_zero 0
	.end_amdhsa_kernel
	.section	.text._ZN7rocprim17ROCPRIM_400000_NS6detail17trampoline_kernelINS0_13select_configILj256ELj13ELNS0_17block_load_methodE3ELS4_3ELS4_3ELNS0_20block_scan_algorithmE0ELj4294967295EEENS1_25partition_config_selectorILNS1_17partition_subalgoE4EjNS0_10empty_typeEbEEZZNS1_14partition_implILS8_4ELb0ES6_15HIP_vector_typeIjLj2EENS0_17counting_iteratorIjlEEPS9_SG_NS0_5tupleIJPjSI_NS0_16reverse_iteratorISI_EEEEENSH_IJSG_SG_SG_EEES9_SI_JZNS1_25segmented_radix_sort_implINS0_14default_configELb0EPK6__halfPSP_PKlPlN2at6native12_GLOBAL__N_18offset_tEEE10hipError_tPvRmT1_PNSt15iterator_traitsIS13_E10value_typeET2_T3_PNS14_IS19_E10value_typeET4_jRbjT5_S1F_jjP12ihipStream_tbEUljE_ZNSN_ISO_Lb0ESR_SS_SU_SV_SZ_EES10_S11_S12_S13_S17_S18_S19_S1C_S1D_jS1E_jS1F_S1F_jjS1H_bEUljE0_EEES10_S11_S12_S19_S1D_S1F_T6_T7_T9_mT8_S1H_bDpT10_ENKUlT_T0_E_clISt17integral_constantIbLb1EES1U_IbLb0EEEEDaS1Q_S1R_EUlS1Q_E_NS1_11comp_targetILNS1_3genE2ELNS1_11target_archE906ELNS1_3gpuE6ELNS1_3repE0EEENS1_30default_config_static_selectorELNS0_4arch9wavefront6targetE0EEEvS13_,"axG",@progbits,_ZN7rocprim17ROCPRIM_400000_NS6detail17trampoline_kernelINS0_13select_configILj256ELj13ELNS0_17block_load_methodE3ELS4_3ELS4_3ELNS0_20block_scan_algorithmE0ELj4294967295EEENS1_25partition_config_selectorILNS1_17partition_subalgoE4EjNS0_10empty_typeEbEEZZNS1_14partition_implILS8_4ELb0ES6_15HIP_vector_typeIjLj2EENS0_17counting_iteratorIjlEEPS9_SG_NS0_5tupleIJPjSI_NS0_16reverse_iteratorISI_EEEEENSH_IJSG_SG_SG_EEES9_SI_JZNS1_25segmented_radix_sort_implINS0_14default_configELb0EPK6__halfPSP_PKlPlN2at6native12_GLOBAL__N_18offset_tEEE10hipError_tPvRmT1_PNSt15iterator_traitsIS13_E10value_typeET2_T3_PNS14_IS19_E10value_typeET4_jRbjT5_S1F_jjP12ihipStream_tbEUljE_ZNSN_ISO_Lb0ESR_SS_SU_SV_SZ_EES10_S11_S12_S13_S17_S18_S19_S1C_S1D_jS1E_jS1F_S1F_jjS1H_bEUljE0_EEES10_S11_S12_S19_S1D_S1F_T6_T7_T9_mT8_S1H_bDpT10_ENKUlT_T0_E_clISt17integral_constantIbLb1EES1U_IbLb0EEEEDaS1Q_S1R_EUlS1Q_E_NS1_11comp_targetILNS1_3genE2ELNS1_11target_archE906ELNS1_3gpuE6ELNS1_3repE0EEENS1_30default_config_static_selectorELNS0_4arch9wavefront6targetE0EEEvS13_,comdat
.Lfunc_end1788:
	.size	_ZN7rocprim17ROCPRIM_400000_NS6detail17trampoline_kernelINS0_13select_configILj256ELj13ELNS0_17block_load_methodE3ELS4_3ELS4_3ELNS0_20block_scan_algorithmE0ELj4294967295EEENS1_25partition_config_selectorILNS1_17partition_subalgoE4EjNS0_10empty_typeEbEEZZNS1_14partition_implILS8_4ELb0ES6_15HIP_vector_typeIjLj2EENS0_17counting_iteratorIjlEEPS9_SG_NS0_5tupleIJPjSI_NS0_16reverse_iteratorISI_EEEEENSH_IJSG_SG_SG_EEES9_SI_JZNS1_25segmented_radix_sort_implINS0_14default_configELb0EPK6__halfPSP_PKlPlN2at6native12_GLOBAL__N_18offset_tEEE10hipError_tPvRmT1_PNSt15iterator_traitsIS13_E10value_typeET2_T3_PNS14_IS19_E10value_typeET4_jRbjT5_S1F_jjP12ihipStream_tbEUljE_ZNSN_ISO_Lb0ESR_SS_SU_SV_SZ_EES10_S11_S12_S13_S17_S18_S19_S1C_S1D_jS1E_jS1F_S1F_jjS1H_bEUljE0_EEES10_S11_S12_S19_S1D_S1F_T6_T7_T9_mT8_S1H_bDpT10_ENKUlT_T0_E_clISt17integral_constantIbLb1EES1U_IbLb0EEEEDaS1Q_S1R_EUlS1Q_E_NS1_11comp_targetILNS1_3genE2ELNS1_11target_archE906ELNS1_3gpuE6ELNS1_3repE0EEENS1_30default_config_static_selectorELNS0_4arch9wavefront6targetE0EEEvS13_, .Lfunc_end1788-_ZN7rocprim17ROCPRIM_400000_NS6detail17trampoline_kernelINS0_13select_configILj256ELj13ELNS0_17block_load_methodE3ELS4_3ELS4_3ELNS0_20block_scan_algorithmE0ELj4294967295EEENS1_25partition_config_selectorILNS1_17partition_subalgoE4EjNS0_10empty_typeEbEEZZNS1_14partition_implILS8_4ELb0ES6_15HIP_vector_typeIjLj2EENS0_17counting_iteratorIjlEEPS9_SG_NS0_5tupleIJPjSI_NS0_16reverse_iteratorISI_EEEEENSH_IJSG_SG_SG_EEES9_SI_JZNS1_25segmented_radix_sort_implINS0_14default_configELb0EPK6__halfPSP_PKlPlN2at6native12_GLOBAL__N_18offset_tEEE10hipError_tPvRmT1_PNSt15iterator_traitsIS13_E10value_typeET2_T3_PNS14_IS19_E10value_typeET4_jRbjT5_S1F_jjP12ihipStream_tbEUljE_ZNSN_ISO_Lb0ESR_SS_SU_SV_SZ_EES10_S11_S12_S13_S17_S18_S19_S1C_S1D_jS1E_jS1F_S1F_jjS1H_bEUljE0_EEES10_S11_S12_S19_S1D_S1F_T6_T7_T9_mT8_S1H_bDpT10_ENKUlT_T0_E_clISt17integral_constantIbLb1EES1U_IbLb0EEEEDaS1Q_S1R_EUlS1Q_E_NS1_11comp_targetILNS1_3genE2ELNS1_11target_archE906ELNS1_3gpuE6ELNS1_3repE0EEENS1_30default_config_static_selectorELNS0_4arch9wavefront6targetE0EEEvS13_
                                        ; -- End function
	.set _ZN7rocprim17ROCPRIM_400000_NS6detail17trampoline_kernelINS0_13select_configILj256ELj13ELNS0_17block_load_methodE3ELS4_3ELS4_3ELNS0_20block_scan_algorithmE0ELj4294967295EEENS1_25partition_config_selectorILNS1_17partition_subalgoE4EjNS0_10empty_typeEbEEZZNS1_14partition_implILS8_4ELb0ES6_15HIP_vector_typeIjLj2EENS0_17counting_iteratorIjlEEPS9_SG_NS0_5tupleIJPjSI_NS0_16reverse_iteratorISI_EEEEENSH_IJSG_SG_SG_EEES9_SI_JZNS1_25segmented_radix_sort_implINS0_14default_configELb0EPK6__halfPSP_PKlPlN2at6native12_GLOBAL__N_18offset_tEEE10hipError_tPvRmT1_PNSt15iterator_traitsIS13_E10value_typeET2_T3_PNS14_IS19_E10value_typeET4_jRbjT5_S1F_jjP12ihipStream_tbEUljE_ZNSN_ISO_Lb0ESR_SS_SU_SV_SZ_EES10_S11_S12_S13_S17_S18_S19_S1C_S1D_jS1E_jS1F_S1F_jjS1H_bEUljE0_EEES10_S11_S12_S19_S1D_S1F_T6_T7_T9_mT8_S1H_bDpT10_ENKUlT_T0_E_clISt17integral_constantIbLb1EES1U_IbLb0EEEEDaS1Q_S1R_EUlS1Q_E_NS1_11comp_targetILNS1_3genE2ELNS1_11target_archE906ELNS1_3gpuE6ELNS1_3repE0EEENS1_30default_config_static_selectorELNS0_4arch9wavefront6targetE0EEEvS13_.num_vgpr, 0
	.set _ZN7rocprim17ROCPRIM_400000_NS6detail17trampoline_kernelINS0_13select_configILj256ELj13ELNS0_17block_load_methodE3ELS4_3ELS4_3ELNS0_20block_scan_algorithmE0ELj4294967295EEENS1_25partition_config_selectorILNS1_17partition_subalgoE4EjNS0_10empty_typeEbEEZZNS1_14partition_implILS8_4ELb0ES6_15HIP_vector_typeIjLj2EENS0_17counting_iteratorIjlEEPS9_SG_NS0_5tupleIJPjSI_NS0_16reverse_iteratorISI_EEEEENSH_IJSG_SG_SG_EEES9_SI_JZNS1_25segmented_radix_sort_implINS0_14default_configELb0EPK6__halfPSP_PKlPlN2at6native12_GLOBAL__N_18offset_tEEE10hipError_tPvRmT1_PNSt15iterator_traitsIS13_E10value_typeET2_T3_PNS14_IS19_E10value_typeET4_jRbjT5_S1F_jjP12ihipStream_tbEUljE_ZNSN_ISO_Lb0ESR_SS_SU_SV_SZ_EES10_S11_S12_S13_S17_S18_S19_S1C_S1D_jS1E_jS1F_S1F_jjS1H_bEUljE0_EEES10_S11_S12_S19_S1D_S1F_T6_T7_T9_mT8_S1H_bDpT10_ENKUlT_T0_E_clISt17integral_constantIbLb1EES1U_IbLb0EEEEDaS1Q_S1R_EUlS1Q_E_NS1_11comp_targetILNS1_3genE2ELNS1_11target_archE906ELNS1_3gpuE6ELNS1_3repE0EEENS1_30default_config_static_selectorELNS0_4arch9wavefront6targetE0EEEvS13_.num_agpr, 0
	.set _ZN7rocprim17ROCPRIM_400000_NS6detail17trampoline_kernelINS0_13select_configILj256ELj13ELNS0_17block_load_methodE3ELS4_3ELS4_3ELNS0_20block_scan_algorithmE0ELj4294967295EEENS1_25partition_config_selectorILNS1_17partition_subalgoE4EjNS0_10empty_typeEbEEZZNS1_14partition_implILS8_4ELb0ES6_15HIP_vector_typeIjLj2EENS0_17counting_iteratorIjlEEPS9_SG_NS0_5tupleIJPjSI_NS0_16reverse_iteratorISI_EEEEENSH_IJSG_SG_SG_EEES9_SI_JZNS1_25segmented_radix_sort_implINS0_14default_configELb0EPK6__halfPSP_PKlPlN2at6native12_GLOBAL__N_18offset_tEEE10hipError_tPvRmT1_PNSt15iterator_traitsIS13_E10value_typeET2_T3_PNS14_IS19_E10value_typeET4_jRbjT5_S1F_jjP12ihipStream_tbEUljE_ZNSN_ISO_Lb0ESR_SS_SU_SV_SZ_EES10_S11_S12_S13_S17_S18_S19_S1C_S1D_jS1E_jS1F_S1F_jjS1H_bEUljE0_EEES10_S11_S12_S19_S1D_S1F_T6_T7_T9_mT8_S1H_bDpT10_ENKUlT_T0_E_clISt17integral_constantIbLb1EES1U_IbLb0EEEEDaS1Q_S1R_EUlS1Q_E_NS1_11comp_targetILNS1_3genE2ELNS1_11target_archE906ELNS1_3gpuE6ELNS1_3repE0EEENS1_30default_config_static_selectorELNS0_4arch9wavefront6targetE0EEEvS13_.numbered_sgpr, 0
	.set _ZN7rocprim17ROCPRIM_400000_NS6detail17trampoline_kernelINS0_13select_configILj256ELj13ELNS0_17block_load_methodE3ELS4_3ELS4_3ELNS0_20block_scan_algorithmE0ELj4294967295EEENS1_25partition_config_selectorILNS1_17partition_subalgoE4EjNS0_10empty_typeEbEEZZNS1_14partition_implILS8_4ELb0ES6_15HIP_vector_typeIjLj2EENS0_17counting_iteratorIjlEEPS9_SG_NS0_5tupleIJPjSI_NS0_16reverse_iteratorISI_EEEEENSH_IJSG_SG_SG_EEES9_SI_JZNS1_25segmented_radix_sort_implINS0_14default_configELb0EPK6__halfPSP_PKlPlN2at6native12_GLOBAL__N_18offset_tEEE10hipError_tPvRmT1_PNSt15iterator_traitsIS13_E10value_typeET2_T3_PNS14_IS19_E10value_typeET4_jRbjT5_S1F_jjP12ihipStream_tbEUljE_ZNSN_ISO_Lb0ESR_SS_SU_SV_SZ_EES10_S11_S12_S13_S17_S18_S19_S1C_S1D_jS1E_jS1F_S1F_jjS1H_bEUljE0_EEES10_S11_S12_S19_S1D_S1F_T6_T7_T9_mT8_S1H_bDpT10_ENKUlT_T0_E_clISt17integral_constantIbLb1EES1U_IbLb0EEEEDaS1Q_S1R_EUlS1Q_E_NS1_11comp_targetILNS1_3genE2ELNS1_11target_archE906ELNS1_3gpuE6ELNS1_3repE0EEENS1_30default_config_static_selectorELNS0_4arch9wavefront6targetE0EEEvS13_.num_named_barrier, 0
	.set _ZN7rocprim17ROCPRIM_400000_NS6detail17trampoline_kernelINS0_13select_configILj256ELj13ELNS0_17block_load_methodE3ELS4_3ELS4_3ELNS0_20block_scan_algorithmE0ELj4294967295EEENS1_25partition_config_selectorILNS1_17partition_subalgoE4EjNS0_10empty_typeEbEEZZNS1_14partition_implILS8_4ELb0ES6_15HIP_vector_typeIjLj2EENS0_17counting_iteratorIjlEEPS9_SG_NS0_5tupleIJPjSI_NS0_16reverse_iteratorISI_EEEEENSH_IJSG_SG_SG_EEES9_SI_JZNS1_25segmented_radix_sort_implINS0_14default_configELb0EPK6__halfPSP_PKlPlN2at6native12_GLOBAL__N_18offset_tEEE10hipError_tPvRmT1_PNSt15iterator_traitsIS13_E10value_typeET2_T3_PNS14_IS19_E10value_typeET4_jRbjT5_S1F_jjP12ihipStream_tbEUljE_ZNSN_ISO_Lb0ESR_SS_SU_SV_SZ_EES10_S11_S12_S13_S17_S18_S19_S1C_S1D_jS1E_jS1F_S1F_jjS1H_bEUljE0_EEES10_S11_S12_S19_S1D_S1F_T6_T7_T9_mT8_S1H_bDpT10_ENKUlT_T0_E_clISt17integral_constantIbLb1EES1U_IbLb0EEEEDaS1Q_S1R_EUlS1Q_E_NS1_11comp_targetILNS1_3genE2ELNS1_11target_archE906ELNS1_3gpuE6ELNS1_3repE0EEENS1_30default_config_static_selectorELNS0_4arch9wavefront6targetE0EEEvS13_.private_seg_size, 0
	.set _ZN7rocprim17ROCPRIM_400000_NS6detail17trampoline_kernelINS0_13select_configILj256ELj13ELNS0_17block_load_methodE3ELS4_3ELS4_3ELNS0_20block_scan_algorithmE0ELj4294967295EEENS1_25partition_config_selectorILNS1_17partition_subalgoE4EjNS0_10empty_typeEbEEZZNS1_14partition_implILS8_4ELb0ES6_15HIP_vector_typeIjLj2EENS0_17counting_iteratorIjlEEPS9_SG_NS0_5tupleIJPjSI_NS0_16reverse_iteratorISI_EEEEENSH_IJSG_SG_SG_EEES9_SI_JZNS1_25segmented_radix_sort_implINS0_14default_configELb0EPK6__halfPSP_PKlPlN2at6native12_GLOBAL__N_18offset_tEEE10hipError_tPvRmT1_PNSt15iterator_traitsIS13_E10value_typeET2_T3_PNS14_IS19_E10value_typeET4_jRbjT5_S1F_jjP12ihipStream_tbEUljE_ZNSN_ISO_Lb0ESR_SS_SU_SV_SZ_EES10_S11_S12_S13_S17_S18_S19_S1C_S1D_jS1E_jS1F_S1F_jjS1H_bEUljE0_EEES10_S11_S12_S19_S1D_S1F_T6_T7_T9_mT8_S1H_bDpT10_ENKUlT_T0_E_clISt17integral_constantIbLb1EES1U_IbLb0EEEEDaS1Q_S1R_EUlS1Q_E_NS1_11comp_targetILNS1_3genE2ELNS1_11target_archE906ELNS1_3gpuE6ELNS1_3repE0EEENS1_30default_config_static_selectorELNS0_4arch9wavefront6targetE0EEEvS13_.uses_vcc, 0
	.set _ZN7rocprim17ROCPRIM_400000_NS6detail17trampoline_kernelINS0_13select_configILj256ELj13ELNS0_17block_load_methodE3ELS4_3ELS4_3ELNS0_20block_scan_algorithmE0ELj4294967295EEENS1_25partition_config_selectorILNS1_17partition_subalgoE4EjNS0_10empty_typeEbEEZZNS1_14partition_implILS8_4ELb0ES6_15HIP_vector_typeIjLj2EENS0_17counting_iteratorIjlEEPS9_SG_NS0_5tupleIJPjSI_NS0_16reverse_iteratorISI_EEEEENSH_IJSG_SG_SG_EEES9_SI_JZNS1_25segmented_radix_sort_implINS0_14default_configELb0EPK6__halfPSP_PKlPlN2at6native12_GLOBAL__N_18offset_tEEE10hipError_tPvRmT1_PNSt15iterator_traitsIS13_E10value_typeET2_T3_PNS14_IS19_E10value_typeET4_jRbjT5_S1F_jjP12ihipStream_tbEUljE_ZNSN_ISO_Lb0ESR_SS_SU_SV_SZ_EES10_S11_S12_S13_S17_S18_S19_S1C_S1D_jS1E_jS1F_S1F_jjS1H_bEUljE0_EEES10_S11_S12_S19_S1D_S1F_T6_T7_T9_mT8_S1H_bDpT10_ENKUlT_T0_E_clISt17integral_constantIbLb1EES1U_IbLb0EEEEDaS1Q_S1R_EUlS1Q_E_NS1_11comp_targetILNS1_3genE2ELNS1_11target_archE906ELNS1_3gpuE6ELNS1_3repE0EEENS1_30default_config_static_selectorELNS0_4arch9wavefront6targetE0EEEvS13_.uses_flat_scratch, 0
	.set _ZN7rocprim17ROCPRIM_400000_NS6detail17trampoline_kernelINS0_13select_configILj256ELj13ELNS0_17block_load_methodE3ELS4_3ELS4_3ELNS0_20block_scan_algorithmE0ELj4294967295EEENS1_25partition_config_selectorILNS1_17partition_subalgoE4EjNS0_10empty_typeEbEEZZNS1_14partition_implILS8_4ELb0ES6_15HIP_vector_typeIjLj2EENS0_17counting_iteratorIjlEEPS9_SG_NS0_5tupleIJPjSI_NS0_16reverse_iteratorISI_EEEEENSH_IJSG_SG_SG_EEES9_SI_JZNS1_25segmented_radix_sort_implINS0_14default_configELb0EPK6__halfPSP_PKlPlN2at6native12_GLOBAL__N_18offset_tEEE10hipError_tPvRmT1_PNSt15iterator_traitsIS13_E10value_typeET2_T3_PNS14_IS19_E10value_typeET4_jRbjT5_S1F_jjP12ihipStream_tbEUljE_ZNSN_ISO_Lb0ESR_SS_SU_SV_SZ_EES10_S11_S12_S13_S17_S18_S19_S1C_S1D_jS1E_jS1F_S1F_jjS1H_bEUljE0_EEES10_S11_S12_S19_S1D_S1F_T6_T7_T9_mT8_S1H_bDpT10_ENKUlT_T0_E_clISt17integral_constantIbLb1EES1U_IbLb0EEEEDaS1Q_S1R_EUlS1Q_E_NS1_11comp_targetILNS1_3genE2ELNS1_11target_archE906ELNS1_3gpuE6ELNS1_3repE0EEENS1_30default_config_static_selectorELNS0_4arch9wavefront6targetE0EEEvS13_.has_dyn_sized_stack, 0
	.set _ZN7rocprim17ROCPRIM_400000_NS6detail17trampoline_kernelINS0_13select_configILj256ELj13ELNS0_17block_load_methodE3ELS4_3ELS4_3ELNS0_20block_scan_algorithmE0ELj4294967295EEENS1_25partition_config_selectorILNS1_17partition_subalgoE4EjNS0_10empty_typeEbEEZZNS1_14partition_implILS8_4ELb0ES6_15HIP_vector_typeIjLj2EENS0_17counting_iteratorIjlEEPS9_SG_NS0_5tupleIJPjSI_NS0_16reverse_iteratorISI_EEEEENSH_IJSG_SG_SG_EEES9_SI_JZNS1_25segmented_radix_sort_implINS0_14default_configELb0EPK6__halfPSP_PKlPlN2at6native12_GLOBAL__N_18offset_tEEE10hipError_tPvRmT1_PNSt15iterator_traitsIS13_E10value_typeET2_T3_PNS14_IS19_E10value_typeET4_jRbjT5_S1F_jjP12ihipStream_tbEUljE_ZNSN_ISO_Lb0ESR_SS_SU_SV_SZ_EES10_S11_S12_S13_S17_S18_S19_S1C_S1D_jS1E_jS1F_S1F_jjS1H_bEUljE0_EEES10_S11_S12_S19_S1D_S1F_T6_T7_T9_mT8_S1H_bDpT10_ENKUlT_T0_E_clISt17integral_constantIbLb1EES1U_IbLb0EEEEDaS1Q_S1R_EUlS1Q_E_NS1_11comp_targetILNS1_3genE2ELNS1_11target_archE906ELNS1_3gpuE6ELNS1_3repE0EEENS1_30default_config_static_selectorELNS0_4arch9wavefront6targetE0EEEvS13_.has_recursion, 0
	.set _ZN7rocprim17ROCPRIM_400000_NS6detail17trampoline_kernelINS0_13select_configILj256ELj13ELNS0_17block_load_methodE3ELS4_3ELS4_3ELNS0_20block_scan_algorithmE0ELj4294967295EEENS1_25partition_config_selectorILNS1_17partition_subalgoE4EjNS0_10empty_typeEbEEZZNS1_14partition_implILS8_4ELb0ES6_15HIP_vector_typeIjLj2EENS0_17counting_iteratorIjlEEPS9_SG_NS0_5tupleIJPjSI_NS0_16reverse_iteratorISI_EEEEENSH_IJSG_SG_SG_EEES9_SI_JZNS1_25segmented_radix_sort_implINS0_14default_configELb0EPK6__halfPSP_PKlPlN2at6native12_GLOBAL__N_18offset_tEEE10hipError_tPvRmT1_PNSt15iterator_traitsIS13_E10value_typeET2_T3_PNS14_IS19_E10value_typeET4_jRbjT5_S1F_jjP12ihipStream_tbEUljE_ZNSN_ISO_Lb0ESR_SS_SU_SV_SZ_EES10_S11_S12_S13_S17_S18_S19_S1C_S1D_jS1E_jS1F_S1F_jjS1H_bEUljE0_EEES10_S11_S12_S19_S1D_S1F_T6_T7_T9_mT8_S1H_bDpT10_ENKUlT_T0_E_clISt17integral_constantIbLb1EES1U_IbLb0EEEEDaS1Q_S1R_EUlS1Q_E_NS1_11comp_targetILNS1_3genE2ELNS1_11target_archE906ELNS1_3gpuE6ELNS1_3repE0EEENS1_30default_config_static_selectorELNS0_4arch9wavefront6targetE0EEEvS13_.has_indirect_call, 0
	.section	.AMDGPU.csdata,"",@progbits
; Kernel info:
; codeLenInByte = 0
; TotalNumSgprs: 0
; NumVgprs: 0
; ScratchSize: 0
; MemoryBound: 0
; FloatMode: 240
; IeeeMode: 1
; LDSByteSize: 0 bytes/workgroup (compile time only)
; SGPRBlocks: 0
; VGPRBlocks: 0
; NumSGPRsForWavesPerEU: 1
; NumVGPRsForWavesPerEU: 1
; NamedBarCnt: 0
; Occupancy: 16
; WaveLimiterHint : 0
; COMPUTE_PGM_RSRC2:SCRATCH_EN: 0
; COMPUTE_PGM_RSRC2:USER_SGPR: 2
; COMPUTE_PGM_RSRC2:TRAP_HANDLER: 0
; COMPUTE_PGM_RSRC2:TGID_X_EN: 1
; COMPUTE_PGM_RSRC2:TGID_Y_EN: 0
; COMPUTE_PGM_RSRC2:TGID_Z_EN: 0
; COMPUTE_PGM_RSRC2:TIDIG_COMP_CNT: 0
	.section	.text._ZN7rocprim17ROCPRIM_400000_NS6detail17trampoline_kernelINS0_13select_configILj256ELj13ELNS0_17block_load_methodE3ELS4_3ELS4_3ELNS0_20block_scan_algorithmE0ELj4294967295EEENS1_25partition_config_selectorILNS1_17partition_subalgoE4EjNS0_10empty_typeEbEEZZNS1_14partition_implILS8_4ELb0ES6_15HIP_vector_typeIjLj2EENS0_17counting_iteratorIjlEEPS9_SG_NS0_5tupleIJPjSI_NS0_16reverse_iteratorISI_EEEEENSH_IJSG_SG_SG_EEES9_SI_JZNS1_25segmented_radix_sort_implINS0_14default_configELb0EPK6__halfPSP_PKlPlN2at6native12_GLOBAL__N_18offset_tEEE10hipError_tPvRmT1_PNSt15iterator_traitsIS13_E10value_typeET2_T3_PNS14_IS19_E10value_typeET4_jRbjT5_S1F_jjP12ihipStream_tbEUljE_ZNSN_ISO_Lb0ESR_SS_SU_SV_SZ_EES10_S11_S12_S13_S17_S18_S19_S1C_S1D_jS1E_jS1F_S1F_jjS1H_bEUljE0_EEES10_S11_S12_S19_S1D_S1F_T6_T7_T9_mT8_S1H_bDpT10_ENKUlT_T0_E_clISt17integral_constantIbLb1EES1U_IbLb0EEEEDaS1Q_S1R_EUlS1Q_E_NS1_11comp_targetILNS1_3genE10ELNS1_11target_archE1200ELNS1_3gpuE4ELNS1_3repE0EEENS1_30default_config_static_selectorELNS0_4arch9wavefront6targetE0EEEvS13_,"axG",@progbits,_ZN7rocprim17ROCPRIM_400000_NS6detail17trampoline_kernelINS0_13select_configILj256ELj13ELNS0_17block_load_methodE3ELS4_3ELS4_3ELNS0_20block_scan_algorithmE0ELj4294967295EEENS1_25partition_config_selectorILNS1_17partition_subalgoE4EjNS0_10empty_typeEbEEZZNS1_14partition_implILS8_4ELb0ES6_15HIP_vector_typeIjLj2EENS0_17counting_iteratorIjlEEPS9_SG_NS0_5tupleIJPjSI_NS0_16reverse_iteratorISI_EEEEENSH_IJSG_SG_SG_EEES9_SI_JZNS1_25segmented_radix_sort_implINS0_14default_configELb0EPK6__halfPSP_PKlPlN2at6native12_GLOBAL__N_18offset_tEEE10hipError_tPvRmT1_PNSt15iterator_traitsIS13_E10value_typeET2_T3_PNS14_IS19_E10value_typeET4_jRbjT5_S1F_jjP12ihipStream_tbEUljE_ZNSN_ISO_Lb0ESR_SS_SU_SV_SZ_EES10_S11_S12_S13_S17_S18_S19_S1C_S1D_jS1E_jS1F_S1F_jjS1H_bEUljE0_EEES10_S11_S12_S19_S1D_S1F_T6_T7_T9_mT8_S1H_bDpT10_ENKUlT_T0_E_clISt17integral_constantIbLb1EES1U_IbLb0EEEEDaS1Q_S1R_EUlS1Q_E_NS1_11comp_targetILNS1_3genE10ELNS1_11target_archE1200ELNS1_3gpuE4ELNS1_3repE0EEENS1_30default_config_static_selectorELNS0_4arch9wavefront6targetE0EEEvS13_,comdat
	.globl	_ZN7rocprim17ROCPRIM_400000_NS6detail17trampoline_kernelINS0_13select_configILj256ELj13ELNS0_17block_load_methodE3ELS4_3ELS4_3ELNS0_20block_scan_algorithmE0ELj4294967295EEENS1_25partition_config_selectorILNS1_17partition_subalgoE4EjNS0_10empty_typeEbEEZZNS1_14partition_implILS8_4ELb0ES6_15HIP_vector_typeIjLj2EENS0_17counting_iteratorIjlEEPS9_SG_NS0_5tupleIJPjSI_NS0_16reverse_iteratorISI_EEEEENSH_IJSG_SG_SG_EEES9_SI_JZNS1_25segmented_radix_sort_implINS0_14default_configELb0EPK6__halfPSP_PKlPlN2at6native12_GLOBAL__N_18offset_tEEE10hipError_tPvRmT1_PNSt15iterator_traitsIS13_E10value_typeET2_T3_PNS14_IS19_E10value_typeET4_jRbjT5_S1F_jjP12ihipStream_tbEUljE_ZNSN_ISO_Lb0ESR_SS_SU_SV_SZ_EES10_S11_S12_S13_S17_S18_S19_S1C_S1D_jS1E_jS1F_S1F_jjS1H_bEUljE0_EEES10_S11_S12_S19_S1D_S1F_T6_T7_T9_mT8_S1H_bDpT10_ENKUlT_T0_E_clISt17integral_constantIbLb1EES1U_IbLb0EEEEDaS1Q_S1R_EUlS1Q_E_NS1_11comp_targetILNS1_3genE10ELNS1_11target_archE1200ELNS1_3gpuE4ELNS1_3repE0EEENS1_30default_config_static_selectorELNS0_4arch9wavefront6targetE0EEEvS13_ ; -- Begin function _ZN7rocprim17ROCPRIM_400000_NS6detail17trampoline_kernelINS0_13select_configILj256ELj13ELNS0_17block_load_methodE3ELS4_3ELS4_3ELNS0_20block_scan_algorithmE0ELj4294967295EEENS1_25partition_config_selectorILNS1_17partition_subalgoE4EjNS0_10empty_typeEbEEZZNS1_14partition_implILS8_4ELb0ES6_15HIP_vector_typeIjLj2EENS0_17counting_iteratorIjlEEPS9_SG_NS0_5tupleIJPjSI_NS0_16reverse_iteratorISI_EEEEENSH_IJSG_SG_SG_EEES9_SI_JZNS1_25segmented_radix_sort_implINS0_14default_configELb0EPK6__halfPSP_PKlPlN2at6native12_GLOBAL__N_18offset_tEEE10hipError_tPvRmT1_PNSt15iterator_traitsIS13_E10value_typeET2_T3_PNS14_IS19_E10value_typeET4_jRbjT5_S1F_jjP12ihipStream_tbEUljE_ZNSN_ISO_Lb0ESR_SS_SU_SV_SZ_EES10_S11_S12_S13_S17_S18_S19_S1C_S1D_jS1E_jS1F_S1F_jjS1H_bEUljE0_EEES10_S11_S12_S19_S1D_S1F_T6_T7_T9_mT8_S1H_bDpT10_ENKUlT_T0_E_clISt17integral_constantIbLb1EES1U_IbLb0EEEEDaS1Q_S1R_EUlS1Q_E_NS1_11comp_targetILNS1_3genE10ELNS1_11target_archE1200ELNS1_3gpuE4ELNS1_3repE0EEENS1_30default_config_static_selectorELNS0_4arch9wavefront6targetE0EEEvS13_
	.p2align	8
	.type	_ZN7rocprim17ROCPRIM_400000_NS6detail17trampoline_kernelINS0_13select_configILj256ELj13ELNS0_17block_load_methodE3ELS4_3ELS4_3ELNS0_20block_scan_algorithmE0ELj4294967295EEENS1_25partition_config_selectorILNS1_17partition_subalgoE4EjNS0_10empty_typeEbEEZZNS1_14partition_implILS8_4ELb0ES6_15HIP_vector_typeIjLj2EENS0_17counting_iteratorIjlEEPS9_SG_NS0_5tupleIJPjSI_NS0_16reverse_iteratorISI_EEEEENSH_IJSG_SG_SG_EEES9_SI_JZNS1_25segmented_radix_sort_implINS0_14default_configELb0EPK6__halfPSP_PKlPlN2at6native12_GLOBAL__N_18offset_tEEE10hipError_tPvRmT1_PNSt15iterator_traitsIS13_E10value_typeET2_T3_PNS14_IS19_E10value_typeET4_jRbjT5_S1F_jjP12ihipStream_tbEUljE_ZNSN_ISO_Lb0ESR_SS_SU_SV_SZ_EES10_S11_S12_S13_S17_S18_S19_S1C_S1D_jS1E_jS1F_S1F_jjS1H_bEUljE0_EEES10_S11_S12_S19_S1D_S1F_T6_T7_T9_mT8_S1H_bDpT10_ENKUlT_T0_E_clISt17integral_constantIbLb1EES1U_IbLb0EEEEDaS1Q_S1R_EUlS1Q_E_NS1_11comp_targetILNS1_3genE10ELNS1_11target_archE1200ELNS1_3gpuE4ELNS1_3repE0EEENS1_30default_config_static_selectorELNS0_4arch9wavefront6targetE0EEEvS13_,@function
_ZN7rocprim17ROCPRIM_400000_NS6detail17trampoline_kernelINS0_13select_configILj256ELj13ELNS0_17block_load_methodE3ELS4_3ELS4_3ELNS0_20block_scan_algorithmE0ELj4294967295EEENS1_25partition_config_selectorILNS1_17partition_subalgoE4EjNS0_10empty_typeEbEEZZNS1_14partition_implILS8_4ELb0ES6_15HIP_vector_typeIjLj2EENS0_17counting_iteratorIjlEEPS9_SG_NS0_5tupleIJPjSI_NS0_16reverse_iteratorISI_EEEEENSH_IJSG_SG_SG_EEES9_SI_JZNS1_25segmented_radix_sort_implINS0_14default_configELb0EPK6__halfPSP_PKlPlN2at6native12_GLOBAL__N_18offset_tEEE10hipError_tPvRmT1_PNSt15iterator_traitsIS13_E10value_typeET2_T3_PNS14_IS19_E10value_typeET4_jRbjT5_S1F_jjP12ihipStream_tbEUljE_ZNSN_ISO_Lb0ESR_SS_SU_SV_SZ_EES10_S11_S12_S13_S17_S18_S19_S1C_S1D_jS1E_jS1F_S1F_jjS1H_bEUljE0_EEES10_S11_S12_S19_S1D_S1F_T6_T7_T9_mT8_S1H_bDpT10_ENKUlT_T0_E_clISt17integral_constantIbLb1EES1U_IbLb0EEEEDaS1Q_S1R_EUlS1Q_E_NS1_11comp_targetILNS1_3genE10ELNS1_11target_archE1200ELNS1_3gpuE4ELNS1_3repE0EEENS1_30default_config_static_selectorELNS0_4arch9wavefront6targetE0EEEvS13_: ; @_ZN7rocprim17ROCPRIM_400000_NS6detail17trampoline_kernelINS0_13select_configILj256ELj13ELNS0_17block_load_methodE3ELS4_3ELS4_3ELNS0_20block_scan_algorithmE0ELj4294967295EEENS1_25partition_config_selectorILNS1_17partition_subalgoE4EjNS0_10empty_typeEbEEZZNS1_14partition_implILS8_4ELb0ES6_15HIP_vector_typeIjLj2EENS0_17counting_iteratorIjlEEPS9_SG_NS0_5tupleIJPjSI_NS0_16reverse_iteratorISI_EEEEENSH_IJSG_SG_SG_EEES9_SI_JZNS1_25segmented_radix_sort_implINS0_14default_configELb0EPK6__halfPSP_PKlPlN2at6native12_GLOBAL__N_18offset_tEEE10hipError_tPvRmT1_PNSt15iterator_traitsIS13_E10value_typeET2_T3_PNS14_IS19_E10value_typeET4_jRbjT5_S1F_jjP12ihipStream_tbEUljE_ZNSN_ISO_Lb0ESR_SS_SU_SV_SZ_EES10_S11_S12_S13_S17_S18_S19_S1C_S1D_jS1E_jS1F_S1F_jjS1H_bEUljE0_EEES10_S11_S12_S19_S1D_S1F_T6_T7_T9_mT8_S1H_bDpT10_ENKUlT_T0_E_clISt17integral_constantIbLb1EES1U_IbLb0EEEEDaS1Q_S1R_EUlS1Q_E_NS1_11comp_targetILNS1_3genE10ELNS1_11target_archE1200ELNS1_3gpuE4ELNS1_3repE0EEENS1_30default_config_static_selectorELNS0_4arch9wavefront6targetE0EEEvS13_
; %bb.0:
	.section	.rodata,"a",@progbits
	.p2align	6, 0x0
	.amdhsa_kernel _ZN7rocprim17ROCPRIM_400000_NS6detail17trampoline_kernelINS0_13select_configILj256ELj13ELNS0_17block_load_methodE3ELS4_3ELS4_3ELNS0_20block_scan_algorithmE0ELj4294967295EEENS1_25partition_config_selectorILNS1_17partition_subalgoE4EjNS0_10empty_typeEbEEZZNS1_14partition_implILS8_4ELb0ES6_15HIP_vector_typeIjLj2EENS0_17counting_iteratorIjlEEPS9_SG_NS0_5tupleIJPjSI_NS0_16reverse_iteratorISI_EEEEENSH_IJSG_SG_SG_EEES9_SI_JZNS1_25segmented_radix_sort_implINS0_14default_configELb0EPK6__halfPSP_PKlPlN2at6native12_GLOBAL__N_18offset_tEEE10hipError_tPvRmT1_PNSt15iterator_traitsIS13_E10value_typeET2_T3_PNS14_IS19_E10value_typeET4_jRbjT5_S1F_jjP12ihipStream_tbEUljE_ZNSN_ISO_Lb0ESR_SS_SU_SV_SZ_EES10_S11_S12_S13_S17_S18_S19_S1C_S1D_jS1E_jS1F_S1F_jjS1H_bEUljE0_EEES10_S11_S12_S19_S1D_S1F_T6_T7_T9_mT8_S1H_bDpT10_ENKUlT_T0_E_clISt17integral_constantIbLb1EES1U_IbLb0EEEEDaS1Q_S1R_EUlS1Q_E_NS1_11comp_targetILNS1_3genE10ELNS1_11target_archE1200ELNS1_3gpuE4ELNS1_3repE0EEENS1_30default_config_static_selectorELNS0_4arch9wavefront6targetE0EEEvS13_
		.amdhsa_group_segment_fixed_size 0
		.amdhsa_private_segment_fixed_size 0
		.amdhsa_kernarg_size 176
		.amdhsa_user_sgpr_count 2
		.amdhsa_user_sgpr_dispatch_ptr 0
		.amdhsa_user_sgpr_queue_ptr 0
		.amdhsa_user_sgpr_kernarg_segment_ptr 1
		.amdhsa_user_sgpr_dispatch_id 0
		.amdhsa_user_sgpr_kernarg_preload_length 0
		.amdhsa_user_sgpr_kernarg_preload_offset 0
		.amdhsa_user_sgpr_private_segment_size 0
		.amdhsa_wavefront_size32 1
		.amdhsa_uses_dynamic_stack 0
		.amdhsa_enable_private_segment 0
		.amdhsa_system_sgpr_workgroup_id_x 1
		.amdhsa_system_sgpr_workgroup_id_y 0
		.amdhsa_system_sgpr_workgroup_id_z 0
		.amdhsa_system_sgpr_workgroup_info 0
		.amdhsa_system_vgpr_workitem_id 0
		.amdhsa_next_free_vgpr 1
		.amdhsa_next_free_sgpr 1
		.amdhsa_named_barrier_count 0
		.amdhsa_reserve_vcc 0
		.amdhsa_float_round_mode_32 0
		.amdhsa_float_round_mode_16_64 0
		.amdhsa_float_denorm_mode_32 3
		.amdhsa_float_denorm_mode_16_64 3
		.amdhsa_fp16_overflow 0
		.amdhsa_memory_ordered 1
		.amdhsa_forward_progress 1
		.amdhsa_inst_pref_size 0
		.amdhsa_round_robin_scheduling 0
		.amdhsa_exception_fp_ieee_invalid_op 0
		.amdhsa_exception_fp_denorm_src 0
		.amdhsa_exception_fp_ieee_div_zero 0
		.amdhsa_exception_fp_ieee_overflow 0
		.amdhsa_exception_fp_ieee_underflow 0
		.amdhsa_exception_fp_ieee_inexact 0
		.amdhsa_exception_int_div_zero 0
	.end_amdhsa_kernel
	.section	.text._ZN7rocprim17ROCPRIM_400000_NS6detail17trampoline_kernelINS0_13select_configILj256ELj13ELNS0_17block_load_methodE3ELS4_3ELS4_3ELNS0_20block_scan_algorithmE0ELj4294967295EEENS1_25partition_config_selectorILNS1_17partition_subalgoE4EjNS0_10empty_typeEbEEZZNS1_14partition_implILS8_4ELb0ES6_15HIP_vector_typeIjLj2EENS0_17counting_iteratorIjlEEPS9_SG_NS0_5tupleIJPjSI_NS0_16reverse_iteratorISI_EEEEENSH_IJSG_SG_SG_EEES9_SI_JZNS1_25segmented_radix_sort_implINS0_14default_configELb0EPK6__halfPSP_PKlPlN2at6native12_GLOBAL__N_18offset_tEEE10hipError_tPvRmT1_PNSt15iterator_traitsIS13_E10value_typeET2_T3_PNS14_IS19_E10value_typeET4_jRbjT5_S1F_jjP12ihipStream_tbEUljE_ZNSN_ISO_Lb0ESR_SS_SU_SV_SZ_EES10_S11_S12_S13_S17_S18_S19_S1C_S1D_jS1E_jS1F_S1F_jjS1H_bEUljE0_EEES10_S11_S12_S19_S1D_S1F_T6_T7_T9_mT8_S1H_bDpT10_ENKUlT_T0_E_clISt17integral_constantIbLb1EES1U_IbLb0EEEEDaS1Q_S1R_EUlS1Q_E_NS1_11comp_targetILNS1_3genE10ELNS1_11target_archE1200ELNS1_3gpuE4ELNS1_3repE0EEENS1_30default_config_static_selectorELNS0_4arch9wavefront6targetE0EEEvS13_,"axG",@progbits,_ZN7rocprim17ROCPRIM_400000_NS6detail17trampoline_kernelINS0_13select_configILj256ELj13ELNS0_17block_load_methodE3ELS4_3ELS4_3ELNS0_20block_scan_algorithmE0ELj4294967295EEENS1_25partition_config_selectorILNS1_17partition_subalgoE4EjNS0_10empty_typeEbEEZZNS1_14partition_implILS8_4ELb0ES6_15HIP_vector_typeIjLj2EENS0_17counting_iteratorIjlEEPS9_SG_NS0_5tupleIJPjSI_NS0_16reverse_iteratorISI_EEEEENSH_IJSG_SG_SG_EEES9_SI_JZNS1_25segmented_radix_sort_implINS0_14default_configELb0EPK6__halfPSP_PKlPlN2at6native12_GLOBAL__N_18offset_tEEE10hipError_tPvRmT1_PNSt15iterator_traitsIS13_E10value_typeET2_T3_PNS14_IS19_E10value_typeET4_jRbjT5_S1F_jjP12ihipStream_tbEUljE_ZNSN_ISO_Lb0ESR_SS_SU_SV_SZ_EES10_S11_S12_S13_S17_S18_S19_S1C_S1D_jS1E_jS1F_S1F_jjS1H_bEUljE0_EEES10_S11_S12_S19_S1D_S1F_T6_T7_T9_mT8_S1H_bDpT10_ENKUlT_T0_E_clISt17integral_constantIbLb1EES1U_IbLb0EEEEDaS1Q_S1R_EUlS1Q_E_NS1_11comp_targetILNS1_3genE10ELNS1_11target_archE1200ELNS1_3gpuE4ELNS1_3repE0EEENS1_30default_config_static_selectorELNS0_4arch9wavefront6targetE0EEEvS13_,comdat
.Lfunc_end1789:
	.size	_ZN7rocprim17ROCPRIM_400000_NS6detail17trampoline_kernelINS0_13select_configILj256ELj13ELNS0_17block_load_methodE3ELS4_3ELS4_3ELNS0_20block_scan_algorithmE0ELj4294967295EEENS1_25partition_config_selectorILNS1_17partition_subalgoE4EjNS0_10empty_typeEbEEZZNS1_14partition_implILS8_4ELb0ES6_15HIP_vector_typeIjLj2EENS0_17counting_iteratorIjlEEPS9_SG_NS0_5tupleIJPjSI_NS0_16reverse_iteratorISI_EEEEENSH_IJSG_SG_SG_EEES9_SI_JZNS1_25segmented_radix_sort_implINS0_14default_configELb0EPK6__halfPSP_PKlPlN2at6native12_GLOBAL__N_18offset_tEEE10hipError_tPvRmT1_PNSt15iterator_traitsIS13_E10value_typeET2_T3_PNS14_IS19_E10value_typeET4_jRbjT5_S1F_jjP12ihipStream_tbEUljE_ZNSN_ISO_Lb0ESR_SS_SU_SV_SZ_EES10_S11_S12_S13_S17_S18_S19_S1C_S1D_jS1E_jS1F_S1F_jjS1H_bEUljE0_EEES10_S11_S12_S19_S1D_S1F_T6_T7_T9_mT8_S1H_bDpT10_ENKUlT_T0_E_clISt17integral_constantIbLb1EES1U_IbLb0EEEEDaS1Q_S1R_EUlS1Q_E_NS1_11comp_targetILNS1_3genE10ELNS1_11target_archE1200ELNS1_3gpuE4ELNS1_3repE0EEENS1_30default_config_static_selectorELNS0_4arch9wavefront6targetE0EEEvS13_, .Lfunc_end1789-_ZN7rocprim17ROCPRIM_400000_NS6detail17trampoline_kernelINS0_13select_configILj256ELj13ELNS0_17block_load_methodE3ELS4_3ELS4_3ELNS0_20block_scan_algorithmE0ELj4294967295EEENS1_25partition_config_selectorILNS1_17partition_subalgoE4EjNS0_10empty_typeEbEEZZNS1_14partition_implILS8_4ELb0ES6_15HIP_vector_typeIjLj2EENS0_17counting_iteratorIjlEEPS9_SG_NS0_5tupleIJPjSI_NS0_16reverse_iteratorISI_EEEEENSH_IJSG_SG_SG_EEES9_SI_JZNS1_25segmented_radix_sort_implINS0_14default_configELb0EPK6__halfPSP_PKlPlN2at6native12_GLOBAL__N_18offset_tEEE10hipError_tPvRmT1_PNSt15iterator_traitsIS13_E10value_typeET2_T3_PNS14_IS19_E10value_typeET4_jRbjT5_S1F_jjP12ihipStream_tbEUljE_ZNSN_ISO_Lb0ESR_SS_SU_SV_SZ_EES10_S11_S12_S13_S17_S18_S19_S1C_S1D_jS1E_jS1F_S1F_jjS1H_bEUljE0_EEES10_S11_S12_S19_S1D_S1F_T6_T7_T9_mT8_S1H_bDpT10_ENKUlT_T0_E_clISt17integral_constantIbLb1EES1U_IbLb0EEEEDaS1Q_S1R_EUlS1Q_E_NS1_11comp_targetILNS1_3genE10ELNS1_11target_archE1200ELNS1_3gpuE4ELNS1_3repE0EEENS1_30default_config_static_selectorELNS0_4arch9wavefront6targetE0EEEvS13_
                                        ; -- End function
	.set _ZN7rocprim17ROCPRIM_400000_NS6detail17trampoline_kernelINS0_13select_configILj256ELj13ELNS0_17block_load_methodE3ELS4_3ELS4_3ELNS0_20block_scan_algorithmE0ELj4294967295EEENS1_25partition_config_selectorILNS1_17partition_subalgoE4EjNS0_10empty_typeEbEEZZNS1_14partition_implILS8_4ELb0ES6_15HIP_vector_typeIjLj2EENS0_17counting_iteratorIjlEEPS9_SG_NS0_5tupleIJPjSI_NS0_16reverse_iteratorISI_EEEEENSH_IJSG_SG_SG_EEES9_SI_JZNS1_25segmented_radix_sort_implINS0_14default_configELb0EPK6__halfPSP_PKlPlN2at6native12_GLOBAL__N_18offset_tEEE10hipError_tPvRmT1_PNSt15iterator_traitsIS13_E10value_typeET2_T3_PNS14_IS19_E10value_typeET4_jRbjT5_S1F_jjP12ihipStream_tbEUljE_ZNSN_ISO_Lb0ESR_SS_SU_SV_SZ_EES10_S11_S12_S13_S17_S18_S19_S1C_S1D_jS1E_jS1F_S1F_jjS1H_bEUljE0_EEES10_S11_S12_S19_S1D_S1F_T6_T7_T9_mT8_S1H_bDpT10_ENKUlT_T0_E_clISt17integral_constantIbLb1EES1U_IbLb0EEEEDaS1Q_S1R_EUlS1Q_E_NS1_11comp_targetILNS1_3genE10ELNS1_11target_archE1200ELNS1_3gpuE4ELNS1_3repE0EEENS1_30default_config_static_selectorELNS0_4arch9wavefront6targetE0EEEvS13_.num_vgpr, 0
	.set _ZN7rocprim17ROCPRIM_400000_NS6detail17trampoline_kernelINS0_13select_configILj256ELj13ELNS0_17block_load_methodE3ELS4_3ELS4_3ELNS0_20block_scan_algorithmE0ELj4294967295EEENS1_25partition_config_selectorILNS1_17partition_subalgoE4EjNS0_10empty_typeEbEEZZNS1_14partition_implILS8_4ELb0ES6_15HIP_vector_typeIjLj2EENS0_17counting_iteratorIjlEEPS9_SG_NS0_5tupleIJPjSI_NS0_16reverse_iteratorISI_EEEEENSH_IJSG_SG_SG_EEES9_SI_JZNS1_25segmented_radix_sort_implINS0_14default_configELb0EPK6__halfPSP_PKlPlN2at6native12_GLOBAL__N_18offset_tEEE10hipError_tPvRmT1_PNSt15iterator_traitsIS13_E10value_typeET2_T3_PNS14_IS19_E10value_typeET4_jRbjT5_S1F_jjP12ihipStream_tbEUljE_ZNSN_ISO_Lb0ESR_SS_SU_SV_SZ_EES10_S11_S12_S13_S17_S18_S19_S1C_S1D_jS1E_jS1F_S1F_jjS1H_bEUljE0_EEES10_S11_S12_S19_S1D_S1F_T6_T7_T9_mT8_S1H_bDpT10_ENKUlT_T0_E_clISt17integral_constantIbLb1EES1U_IbLb0EEEEDaS1Q_S1R_EUlS1Q_E_NS1_11comp_targetILNS1_3genE10ELNS1_11target_archE1200ELNS1_3gpuE4ELNS1_3repE0EEENS1_30default_config_static_selectorELNS0_4arch9wavefront6targetE0EEEvS13_.num_agpr, 0
	.set _ZN7rocprim17ROCPRIM_400000_NS6detail17trampoline_kernelINS0_13select_configILj256ELj13ELNS0_17block_load_methodE3ELS4_3ELS4_3ELNS0_20block_scan_algorithmE0ELj4294967295EEENS1_25partition_config_selectorILNS1_17partition_subalgoE4EjNS0_10empty_typeEbEEZZNS1_14partition_implILS8_4ELb0ES6_15HIP_vector_typeIjLj2EENS0_17counting_iteratorIjlEEPS9_SG_NS0_5tupleIJPjSI_NS0_16reverse_iteratorISI_EEEEENSH_IJSG_SG_SG_EEES9_SI_JZNS1_25segmented_radix_sort_implINS0_14default_configELb0EPK6__halfPSP_PKlPlN2at6native12_GLOBAL__N_18offset_tEEE10hipError_tPvRmT1_PNSt15iterator_traitsIS13_E10value_typeET2_T3_PNS14_IS19_E10value_typeET4_jRbjT5_S1F_jjP12ihipStream_tbEUljE_ZNSN_ISO_Lb0ESR_SS_SU_SV_SZ_EES10_S11_S12_S13_S17_S18_S19_S1C_S1D_jS1E_jS1F_S1F_jjS1H_bEUljE0_EEES10_S11_S12_S19_S1D_S1F_T6_T7_T9_mT8_S1H_bDpT10_ENKUlT_T0_E_clISt17integral_constantIbLb1EES1U_IbLb0EEEEDaS1Q_S1R_EUlS1Q_E_NS1_11comp_targetILNS1_3genE10ELNS1_11target_archE1200ELNS1_3gpuE4ELNS1_3repE0EEENS1_30default_config_static_selectorELNS0_4arch9wavefront6targetE0EEEvS13_.numbered_sgpr, 0
	.set _ZN7rocprim17ROCPRIM_400000_NS6detail17trampoline_kernelINS0_13select_configILj256ELj13ELNS0_17block_load_methodE3ELS4_3ELS4_3ELNS0_20block_scan_algorithmE0ELj4294967295EEENS1_25partition_config_selectorILNS1_17partition_subalgoE4EjNS0_10empty_typeEbEEZZNS1_14partition_implILS8_4ELb0ES6_15HIP_vector_typeIjLj2EENS0_17counting_iteratorIjlEEPS9_SG_NS0_5tupleIJPjSI_NS0_16reverse_iteratorISI_EEEEENSH_IJSG_SG_SG_EEES9_SI_JZNS1_25segmented_radix_sort_implINS0_14default_configELb0EPK6__halfPSP_PKlPlN2at6native12_GLOBAL__N_18offset_tEEE10hipError_tPvRmT1_PNSt15iterator_traitsIS13_E10value_typeET2_T3_PNS14_IS19_E10value_typeET4_jRbjT5_S1F_jjP12ihipStream_tbEUljE_ZNSN_ISO_Lb0ESR_SS_SU_SV_SZ_EES10_S11_S12_S13_S17_S18_S19_S1C_S1D_jS1E_jS1F_S1F_jjS1H_bEUljE0_EEES10_S11_S12_S19_S1D_S1F_T6_T7_T9_mT8_S1H_bDpT10_ENKUlT_T0_E_clISt17integral_constantIbLb1EES1U_IbLb0EEEEDaS1Q_S1R_EUlS1Q_E_NS1_11comp_targetILNS1_3genE10ELNS1_11target_archE1200ELNS1_3gpuE4ELNS1_3repE0EEENS1_30default_config_static_selectorELNS0_4arch9wavefront6targetE0EEEvS13_.num_named_barrier, 0
	.set _ZN7rocprim17ROCPRIM_400000_NS6detail17trampoline_kernelINS0_13select_configILj256ELj13ELNS0_17block_load_methodE3ELS4_3ELS4_3ELNS0_20block_scan_algorithmE0ELj4294967295EEENS1_25partition_config_selectorILNS1_17partition_subalgoE4EjNS0_10empty_typeEbEEZZNS1_14partition_implILS8_4ELb0ES6_15HIP_vector_typeIjLj2EENS0_17counting_iteratorIjlEEPS9_SG_NS0_5tupleIJPjSI_NS0_16reverse_iteratorISI_EEEEENSH_IJSG_SG_SG_EEES9_SI_JZNS1_25segmented_radix_sort_implINS0_14default_configELb0EPK6__halfPSP_PKlPlN2at6native12_GLOBAL__N_18offset_tEEE10hipError_tPvRmT1_PNSt15iterator_traitsIS13_E10value_typeET2_T3_PNS14_IS19_E10value_typeET4_jRbjT5_S1F_jjP12ihipStream_tbEUljE_ZNSN_ISO_Lb0ESR_SS_SU_SV_SZ_EES10_S11_S12_S13_S17_S18_S19_S1C_S1D_jS1E_jS1F_S1F_jjS1H_bEUljE0_EEES10_S11_S12_S19_S1D_S1F_T6_T7_T9_mT8_S1H_bDpT10_ENKUlT_T0_E_clISt17integral_constantIbLb1EES1U_IbLb0EEEEDaS1Q_S1R_EUlS1Q_E_NS1_11comp_targetILNS1_3genE10ELNS1_11target_archE1200ELNS1_3gpuE4ELNS1_3repE0EEENS1_30default_config_static_selectorELNS0_4arch9wavefront6targetE0EEEvS13_.private_seg_size, 0
	.set _ZN7rocprim17ROCPRIM_400000_NS6detail17trampoline_kernelINS0_13select_configILj256ELj13ELNS0_17block_load_methodE3ELS4_3ELS4_3ELNS0_20block_scan_algorithmE0ELj4294967295EEENS1_25partition_config_selectorILNS1_17partition_subalgoE4EjNS0_10empty_typeEbEEZZNS1_14partition_implILS8_4ELb0ES6_15HIP_vector_typeIjLj2EENS0_17counting_iteratorIjlEEPS9_SG_NS0_5tupleIJPjSI_NS0_16reverse_iteratorISI_EEEEENSH_IJSG_SG_SG_EEES9_SI_JZNS1_25segmented_radix_sort_implINS0_14default_configELb0EPK6__halfPSP_PKlPlN2at6native12_GLOBAL__N_18offset_tEEE10hipError_tPvRmT1_PNSt15iterator_traitsIS13_E10value_typeET2_T3_PNS14_IS19_E10value_typeET4_jRbjT5_S1F_jjP12ihipStream_tbEUljE_ZNSN_ISO_Lb0ESR_SS_SU_SV_SZ_EES10_S11_S12_S13_S17_S18_S19_S1C_S1D_jS1E_jS1F_S1F_jjS1H_bEUljE0_EEES10_S11_S12_S19_S1D_S1F_T6_T7_T9_mT8_S1H_bDpT10_ENKUlT_T0_E_clISt17integral_constantIbLb1EES1U_IbLb0EEEEDaS1Q_S1R_EUlS1Q_E_NS1_11comp_targetILNS1_3genE10ELNS1_11target_archE1200ELNS1_3gpuE4ELNS1_3repE0EEENS1_30default_config_static_selectorELNS0_4arch9wavefront6targetE0EEEvS13_.uses_vcc, 0
	.set _ZN7rocprim17ROCPRIM_400000_NS6detail17trampoline_kernelINS0_13select_configILj256ELj13ELNS0_17block_load_methodE3ELS4_3ELS4_3ELNS0_20block_scan_algorithmE0ELj4294967295EEENS1_25partition_config_selectorILNS1_17partition_subalgoE4EjNS0_10empty_typeEbEEZZNS1_14partition_implILS8_4ELb0ES6_15HIP_vector_typeIjLj2EENS0_17counting_iteratorIjlEEPS9_SG_NS0_5tupleIJPjSI_NS0_16reverse_iteratorISI_EEEEENSH_IJSG_SG_SG_EEES9_SI_JZNS1_25segmented_radix_sort_implINS0_14default_configELb0EPK6__halfPSP_PKlPlN2at6native12_GLOBAL__N_18offset_tEEE10hipError_tPvRmT1_PNSt15iterator_traitsIS13_E10value_typeET2_T3_PNS14_IS19_E10value_typeET4_jRbjT5_S1F_jjP12ihipStream_tbEUljE_ZNSN_ISO_Lb0ESR_SS_SU_SV_SZ_EES10_S11_S12_S13_S17_S18_S19_S1C_S1D_jS1E_jS1F_S1F_jjS1H_bEUljE0_EEES10_S11_S12_S19_S1D_S1F_T6_T7_T9_mT8_S1H_bDpT10_ENKUlT_T0_E_clISt17integral_constantIbLb1EES1U_IbLb0EEEEDaS1Q_S1R_EUlS1Q_E_NS1_11comp_targetILNS1_3genE10ELNS1_11target_archE1200ELNS1_3gpuE4ELNS1_3repE0EEENS1_30default_config_static_selectorELNS0_4arch9wavefront6targetE0EEEvS13_.uses_flat_scratch, 0
	.set _ZN7rocprim17ROCPRIM_400000_NS6detail17trampoline_kernelINS0_13select_configILj256ELj13ELNS0_17block_load_methodE3ELS4_3ELS4_3ELNS0_20block_scan_algorithmE0ELj4294967295EEENS1_25partition_config_selectorILNS1_17partition_subalgoE4EjNS0_10empty_typeEbEEZZNS1_14partition_implILS8_4ELb0ES6_15HIP_vector_typeIjLj2EENS0_17counting_iteratorIjlEEPS9_SG_NS0_5tupleIJPjSI_NS0_16reverse_iteratorISI_EEEEENSH_IJSG_SG_SG_EEES9_SI_JZNS1_25segmented_radix_sort_implINS0_14default_configELb0EPK6__halfPSP_PKlPlN2at6native12_GLOBAL__N_18offset_tEEE10hipError_tPvRmT1_PNSt15iterator_traitsIS13_E10value_typeET2_T3_PNS14_IS19_E10value_typeET4_jRbjT5_S1F_jjP12ihipStream_tbEUljE_ZNSN_ISO_Lb0ESR_SS_SU_SV_SZ_EES10_S11_S12_S13_S17_S18_S19_S1C_S1D_jS1E_jS1F_S1F_jjS1H_bEUljE0_EEES10_S11_S12_S19_S1D_S1F_T6_T7_T9_mT8_S1H_bDpT10_ENKUlT_T0_E_clISt17integral_constantIbLb1EES1U_IbLb0EEEEDaS1Q_S1R_EUlS1Q_E_NS1_11comp_targetILNS1_3genE10ELNS1_11target_archE1200ELNS1_3gpuE4ELNS1_3repE0EEENS1_30default_config_static_selectorELNS0_4arch9wavefront6targetE0EEEvS13_.has_dyn_sized_stack, 0
	.set _ZN7rocprim17ROCPRIM_400000_NS6detail17trampoline_kernelINS0_13select_configILj256ELj13ELNS0_17block_load_methodE3ELS4_3ELS4_3ELNS0_20block_scan_algorithmE0ELj4294967295EEENS1_25partition_config_selectorILNS1_17partition_subalgoE4EjNS0_10empty_typeEbEEZZNS1_14partition_implILS8_4ELb0ES6_15HIP_vector_typeIjLj2EENS0_17counting_iteratorIjlEEPS9_SG_NS0_5tupleIJPjSI_NS0_16reverse_iteratorISI_EEEEENSH_IJSG_SG_SG_EEES9_SI_JZNS1_25segmented_radix_sort_implINS0_14default_configELb0EPK6__halfPSP_PKlPlN2at6native12_GLOBAL__N_18offset_tEEE10hipError_tPvRmT1_PNSt15iterator_traitsIS13_E10value_typeET2_T3_PNS14_IS19_E10value_typeET4_jRbjT5_S1F_jjP12ihipStream_tbEUljE_ZNSN_ISO_Lb0ESR_SS_SU_SV_SZ_EES10_S11_S12_S13_S17_S18_S19_S1C_S1D_jS1E_jS1F_S1F_jjS1H_bEUljE0_EEES10_S11_S12_S19_S1D_S1F_T6_T7_T9_mT8_S1H_bDpT10_ENKUlT_T0_E_clISt17integral_constantIbLb1EES1U_IbLb0EEEEDaS1Q_S1R_EUlS1Q_E_NS1_11comp_targetILNS1_3genE10ELNS1_11target_archE1200ELNS1_3gpuE4ELNS1_3repE0EEENS1_30default_config_static_selectorELNS0_4arch9wavefront6targetE0EEEvS13_.has_recursion, 0
	.set _ZN7rocprim17ROCPRIM_400000_NS6detail17trampoline_kernelINS0_13select_configILj256ELj13ELNS0_17block_load_methodE3ELS4_3ELS4_3ELNS0_20block_scan_algorithmE0ELj4294967295EEENS1_25partition_config_selectorILNS1_17partition_subalgoE4EjNS0_10empty_typeEbEEZZNS1_14partition_implILS8_4ELb0ES6_15HIP_vector_typeIjLj2EENS0_17counting_iteratorIjlEEPS9_SG_NS0_5tupleIJPjSI_NS0_16reverse_iteratorISI_EEEEENSH_IJSG_SG_SG_EEES9_SI_JZNS1_25segmented_radix_sort_implINS0_14default_configELb0EPK6__halfPSP_PKlPlN2at6native12_GLOBAL__N_18offset_tEEE10hipError_tPvRmT1_PNSt15iterator_traitsIS13_E10value_typeET2_T3_PNS14_IS19_E10value_typeET4_jRbjT5_S1F_jjP12ihipStream_tbEUljE_ZNSN_ISO_Lb0ESR_SS_SU_SV_SZ_EES10_S11_S12_S13_S17_S18_S19_S1C_S1D_jS1E_jS1F_S1F_jjS1H_bEUljE0_EEES10_S11_S12_S19_S1D_S1F_T6_T7_T9_mT8_S1H_bDpT10_ENKUlT_T0_E_clISt17integral_constantIbLb1EES1U_IbLb0EEEEDaS1Q_S1R_EUlS1Q_E_NS1_11comp_targetILNS1_3genE10ELNS1_11target_archE1200ELNS1_3gpuE4ELNS1_3repE0EEENS1_30default_config_static_selectorELNS0_4arch9wavefront6targetE0EEEvS13_.has_indirect_call, 0
	.section	.AMDGPU.csdata,"",@progbits
; Kernel info:
; codeLenInByte = 0
; TotalNumSgprs: 0
; NumVgprs: 0
; ScratchSize: 0
; MemoryBound: 0
; FloatMode: 240
; IeeeMode: 1
; LDSByteSize: 0 bytes/workgroup (compile time only)
; SGPRBlocks: 0
; VGPRBlocks: 0
; NumSGPRsForWavesPerEU: 1
; NumVGPRsForWavesPerEU: 1
; NamedBarCnt: 0
; Occupancy: 16
; WaveLimiterHint : 0
; COMPUTE_PGM_RSRC2:SCRATCH_EN: 0
; COMPUTE_PGM_RSRC2:USER_SGPR: 2
; COMPUTE_PGM_RSRC2:TRAP_HANDLER: 0
; COMPUTE_PGM_RSRC2:TGID_X_EN: 1
; COMPUTE_PGM_RSRC2:TGID_Y_EN: 0
; COMPUTE_PGM_RSRC2:TGID_Z_EN: 0
; COMPUTE_PGM_RSRC2:TIDIG_COMP_CNT: 0
	.section	.text._ZN7rocprim17ROCPRIM_400000_NS6detail17trampoline_kernelINS0_13select_configILj256ELj13ELNS0_17block_load_methodE3ELS4_3ELS4_3ELNS0_20block_scan_algorithmE0ELj4294967295EEENS1_25partition_config_selectorILNS1_17partition_subalgoE4EjNS0_10empty_typeEbEEZZNS1_14partition_implILS8_4ELb0ES6_15HIP_vector_typeIjLj2EENS0_17counting_iteratorIjlEEPS9_SG_NS0_5tupleIJPjSI_NS0_16reverse_iteratorISI_EEEEENSH_IJSG_SG_SG_EEES9_SI_JZNS1_25segmented_radix_sort_implINS0_14default_configELb0EPK6__halfPSP_PKlPlN2at6native12_GLOBAL__N_18offset_tEEE10hipError_tPvRmT1_PNSt15iterator_traitsIS13_E10value_typeET2_T3_PNS14_IS19_E10value_typeET4_jRbjT5_S1F_jjP12ihipStream_tbEUljE_ZNSN_ISO_Lb0ESR_SS_SU_SV_SZ_EES10_S11_S12_S13_S17_S18_S19_S1C_S1D_jS1E_jS1F_S1F_jjS1H_bEUljE0_EEES10_S11_S12_S19_S1D_S1F_T6_T7_T9_mT8_S1H_bDpT10_ENKUlT_T0_E_clISt17integral_constantIbLb1EES1U_IbLb0EEEEDaS1Q_S1R_EUlS1Q_E_NS1_11comp_targetILNS1_3genE9ELNS1_11target_archE1100ELNS1_3gpuE3ELNS1_3repE0EEENS1_30default_config_static_selectorELNS0_4arch9wavefront6targetE0EEEvS13_,"axG",@progbits,_ZN7rocprim17ROCPRIM_400000_NS6detail17trampoline_kernelINS0_13select_configILj256ELj13ELNS0_17block_load_methodE3ELS4_3ELS4_3ELNS0_20block_scan_algorithmE0ELj4294967295EEENS1_25partition_config_selectorILNS1_17partition_subalgoE4EjNS0_10empty_typeEbEEZZNS1_14partition_implILS8_4ELb0ES6_15HIP_vector_typeIjLj2EENS0_17counting_iteratorIjlEEPS9_SG_NS0_5tupleIJPjSI_NS0_16reverse_iteratorISI_EEEEENSH_IJSG_SG_SG_EEES9_SI_JZNS1_25segmented_radix_sort_implINS0_14default_configELb0EPK6__halfPSP_PKlPlN2at6native12_GLOBAL__N_18offset_tEEE10hipError_tPvRmT1_PNSt15iterator_traitsIS13_E10value_typeET2_T3_PNS14_IS19_E10value_typeET4_jRbjT5_S1F_jjP12ihipStream_tbEUljE_ZNSN_ISO_Lb0ESR_SS_SU_SV_SZ_EES10_S11_S12_S13_S17_S18_S19_S1C_S1D_jS1E_jS1F_S1F_jjS1H_bEUljE0_EEES10_S11_S12_S19_S1D_S1F_T6_T7_T9_mT8_S1H_bDpT10_ENKUlT_T0_E_clISt17integral_constantIbLb1EES1U_IbLb0EEEEDaS1Q_S1R_EUlS1Q_E_NS1_11comp_targetILNS1_3genE9ELNS1_11target_archE1100ELNS1_3gpuE3ELNS1_3repE0EEENS1_30default_config_static_selectorELNS0_4arch9wavefront6targetE0EEEvS13_,comdat
	.globl	_ZN7rocprim17ROCPRIM_400000_NS6detail17trampoline_kernelINS0_13select_configILj256ELj13ELNS0_17block_load_methodE3ELS4_3ELS4_3ELNS0_20block_scan_algorithmE0ELj4294967295EEENS1_25partition_config_selectorILNS1_17partition_subalgoE4EjNS0_10empty_typeEbEEZZNS1_14partition_implILS8_4ELb0ES6_15HIP_vector_typeIjLj2EENS0_17counting_iteratorIjlEEPS9_SG_NS0_5tupleIJPjSI_NS0_16reverse_iteratorISI_EEEEENSH_IJSG_SG_SG_EEES9_SI_JZNS1_25segmented_radix_sort_implINS0_14default_configELb0EPK6__halfPSP_PKlPlN2at6native12_GLOBAL__N_18offset_tEEE10hipError_tPvRmT1_PNSt15iterator_traitsIS13_E10value_typeET2_T3_PNS14_IS19_E10value_typeET4_jRbjT5_S1F_jjP12ihipStream_tbEUljE_ZNSN_ISO_Lb0ESR_SS_SU_SV_SZ_EES10_S11_S12_S13_S17_S18_S19_S1C_S1D_jS1E_jS1F_S1F_jjS1H_bEUljE0_EEES10_S11_S12_S19_S1D_S1F_T6_T7_T9_mT8_S1H_bDpT10_ENKUlT_T0_E_clISt17integral_constantIbLb1EES1U_IbLb0EEEEDaS1Q_S1R_EUlS1Q_E_NS1_11comp_targetILNS1_3genE9ELNS1_11target_archE1100ELNS1_3gpuE3ELNS1_3repE0EEENS1_30default_config_static_selectorELNS0_4arch9wavefront6targetE0EEEvS13_ ; -- Begin function _ZN7rocprim17ROCPRIM_400000_NS6detail17trampoline_kernelINS0_13select_configILj256ELj13ELNS0_17block_load_methodE3ELS4_3ELS4_3ELNS0_20block_scan_algorithmE0ELj4294967295EEENS1_25partition_config_selectorILNS1_17partition_subalgoE4EjNS0_10empty_typeEbEEZZNS1_14partition_implILS8_4ELb0ES6_15HIP_vector_typeIjLj2EENS0_17counting_iteratorIjlEEPS9_SG_NS0_5tupleIJPjSI_NS0_16reverse_iteratorISI_EEEEENSH_IJSG_SG_SG_EEES9_SI_JZNS1_25segmented_radix_sort_implINS0_14default_configELb0EPK6__halfPSP_PKlPlN2at6native12_GLOBAL__N_18offset_tEEE10hipError_tPvRmT1_PNSt15iterator_traitsIS13_E10value_typeET2_T3_PNS14_IS19_E10value_typeET4_jRbjT5_S1F_jjP12ihipStream_tbEUljE_ZNSN_ISO_Lb0ESR_SS_SU_SV_SZ_EES10_S11_S12_S13_S17_S18_S19_S1C_S1D_jS1E_jS1F_S1F_jjS1H_bEUljE0_EEES10_S11_S12_S19_S1D_S1F_T6_T7_T9_mT8_S1H_bDpT10_ENKUlT_T0_E_clISt17integral_constantIbLb1EES1U_IbLb0EEEEDaS1Q_S1R_EUlS1Q_E_NS1_11comp_targetILNS1_3genE9ELNS1_11target_archE1100ELNS1_3gpuE3ELNS1_3repE0EEENS1_30default_config_static_selectorELNS0_4arch9wavefront6targetE0EEEvS13_
	.p2align	8
	.type	_ZN7rocprim17ROCPRIM_400000_NS6detail17trampoline_kernelINS0_13select_configILj256ELj13ELNS0_17block_load_methodE3ELS4_3ELS4_3ELNS0_20block_scan_algorithmE0ELj4294967295EEENS1_25partition_config_selectorILNS1_17partition_subalgoE4EjNS0_10empty_typeEbEEZZNS1_14partition_implILS8_4ELb0ES6_15HIP_vector_typeIjLj2EENS0_17counting_iteratorIjlEEPS9_SG_NS0_5tupleIJPjSI_NS0_16reverse_iteratorISI_EEEEENSH_IJSG_SG_SG_EEES9_SI_JZNS1_25segmented_radix_sort_implINS0_14default_configELb0EPK6__halfPSP_PKlPlN2at6native12_GLOBAL__N_18offset_tEEE10hipError_tPvRmT1_PNSt15iterator_traitsIS13_E10value_typeET2_T3_PNS14_IS19_E10value_typeET4_jRbjT5_S1F_jjP12ihipStream_tbEUljE_ZNSN_ISO_Lb0ESR_SS_SU_SV_SZ_EES10_S11_S12_S13_S17_S18_S19_S1C_S1D_jS1E_jS1F_S1F_jjS1H_bEUljE0_EEES10_S11_S12_S19_S1D_S1F_T6_T7_T9_mT8_S1H_bDpT10_ENKUlT_T0_E_clISt17integral_constantIbLb1EES1U_IbLb0EEEEDaS1Q_S1R_EUlS1Q_E_NS1_11comp_targetILNS1_3genE9ELNS1_11target_archE1100ELNS1_3gpuE3ELNS1_3repE0EEENS1_30default_config_static_selectorELNS0_4arch9wavefront6targetE0EEEvS13_,@function
_ZN7rocprim17ROCPRIM_400000_NS6detail17trampoline_kernelINS0_13select_configILj256ELj13ELNS0_17block_load_methodE3ELS4_3ELS4_3ELNS0_20block_scan_algorithmE0ELj4294967295EEENS1_25partition_config_selectorILNS1_17partition_subalgoE4EjNS0_10empty_typeEbEEZZNS1_14partition_implILS8_4ELb0ES6_15HIP_vector_typeIjLj2EENS0_17counting_iteratorIjlEEPS9_SG_NS0_5tupleIJPjSI_NS0_16reverse_iteratorISI_EEEEENSH_IJSG_SG_SG_EEES9_SI_JZNS1_25segmented_radix_sort_implINS0_14default_configELb0EPK6__halfPSP_PKlPlN2at6native12_GLOBAL__N_18offset_tEEE10hipError_tPvRmT1_PNSt15iterator_traitsIS13_E10value_typeET2_T3_PNS14_IS19_E10value_typeET4_jRbjT5_S1F_jjP12ihipStream_tbEUljE_ZNSN_ISO_Lb0ESR_SS_SU_SV_SZ_EES10_S11_S12_S13_S17_S18_S19_S1C_S1D_jS1E_jS1F_S1F_jjS1H_bEUljE0_EEES10_S11_S12_S19_S1D_S1F_T6_T7_T9_mT8_S1H_bDpT10_ENKUlT_T0_E_clISt17integral_constantIbLb1EES1U_IbLb0EEEEDaS1Q_S1R_EUlS1Q_E_NS1_11comp_targetILNS1_3genE9ELNS1_11target_archE1100ELNS1_3gpuE3ELNS1_3repE0EEENS1_30default_config_static_selectorELNS0_4arch9wavefront6targetE0EEEvS13_: ; @_ZN7rocprim17ROCPRIM_400000_NS6detail17trampoline_kernelINS0_13select_configILj256ELj13ELNS0_17block_load_methodE3ELS4_3ELS4_3ELNS0_20block_scan_algorithmE0ELj4294967295EEENS1_25partition_config_selectorILNS1_17partition_subalgoE4EjNS0_10empty_typeEbEEZZNS1_14partition_implILS8_4ELb0ES6_15HIP_vector_typeIjLj2EENS0_17counting_iteratorIjlEEPS9_SG_NS0_5tupleIJPjSI_NS0_16reverse_iteratorISI_EEEEENSH_IJSG_SG_SG_EEES9_SI_JZNS1_25segmented_radix_sort_implINS0_14default_configELb0EPK6__halfPSP_PKlPlN2at6native12_GLOBAL__N_18offset_tEEE10hipError_tPvRmT1_PNSt15iterator_traitsIS13_E10value_typeET2_T3_PNS14_IS19_E10value_typeET4_jRbjT5_S1F_jjP12ihipStream_tbEUljE_ZNSN_ISO_Lb0ESR_SS_SU_SV_SZ_EES10_S11_S12_S13_S17_S18_S19_S1C_S1D_jS1E_jS1F_S1F_jjS1H_bEUljE0_EEES10_S11_S12_S19_S1D_S1F_T6_T7_T9_mT8_S1H_bDpT10_ENKUlT_T0_E_clISt17integral_constantIbLb1EES1U_IbLb0EEEEDaS1Q_S1R_EUlS1Q_E_NS1_11comp_targetILNS1_3genE9ELNS1_11target_archE1100ELNS1_3gpuE3ELNS1_3repE0EEENS1_30default_config_static_selectorELNS0_4arch9wavefront6targetE0EEEvS13_
; %bb.0:
	.section	.rodata,"a",@progbits
	.p2align	6, 0x0
	.amdhsa_kernel _ZN7rocprim17ROCPRIM_400000_NS6detail17trampoline_kernelINS0_13select_configILj256ELj13ELNS0_17block_load_methodE3ELS4_3ELS4_3ELNS0_20block_scan_algorithmE0ELj4294967295EEENS1_25partition_config_selectorILNS1_17partition_subalgoE4EjNS0_10empty_typeEbEEZZNS1_14partition_implILS8_4ELb0ES6_15HIP_vector_typeIjLj2EENS0_17counting_iteratorIjlEEPS9_SG_NS0_5tupleIJPjSI_NS0_16reverse_iteratorISI_EEEEENSH_IJSG_SG_SG_EEES9_SI_JZNS1_25segmented_radix_sort_implINS0_14default_configELb0EPK6__halfPSP_PKlPlN2at6native12_GLOBAL__N_18offset_tEEE10hipError_tPvRmT1_PNSt15iterator_traitsIS13_E10value_typeET2_T3_PNS14_IS19_E10value_typeET4_jRbjT5_S1F_jjP12ihipStream_tbEUljE_ZNSN_ISO_Lb0ESR_SS_SU_SV_SZ_EES10_S11_S12_S13_S17_S18_S19_S1C_S1D_jS1E_jS1F_S1F_jjS1H_bEUljE0_EEES10_S11_S12_S19_S1D_S1F_T6_T7_T9_mT8_S1H_bDpT10_ENKUlT_T0_E_clISt17integral_constantIbLb1EES1U_IbLb0EEEEDaS1Q_S1R_EUlS1Q_E_NS1_11comp_targetILNS1_3genE9ELNS1_11target_archE1100ELNS1_3gpuE3ELNS1_3repE0EEENS1_30default_config_static_selectorELNS0_4arch9wavefront6targetE0EEEvS13_
		.amdhsa_group_segment_fixed_size 0
		.amdhsa_private_segment_fixed_size 0
		.amdhsa_kernarg_size 176
		.amdhsa_user_sgpr_count 2
		.amdhsa_user_sgpr_dispatch_ptr 0
		.amdhsa_user_sgpr_queue_ptr 0
		.amdhsa_user_sgpr_kernarg_segment_ptr 1
		.amdhsa_user_sgpr_dispatch_id 0
		.amdhsa_user_sgpr_kernarg_preload_length 0
		.amdhsa_user_sgpr_kernarg_preload_offset 0
		.amdhsa_user_sgpr_private_segment_size 0
		.amdhsa_wavefront_size32 1
		.amdhsa_uses_dynamic_stack 0
		.amdhsa_enable_private_segment 0
		.amdhsa_system_sgpr_workgroup_id_x 1
		.amdhsa_system_sgpr_workgroup_id_y 0
		.amdhsa_system_sgpr_workgroup_id_z 0
		.amdhsa_system_sgpr_workgroup_info 0
		.amdhsa_system_vgpr_workitem_id 0
		.amdhsa_next_free_vgpr 1
		.amdhsa_next_free_sgpr 1
		.amdhsa_named_barrier_count 0
		.amdhsa_reserve_vcc 0
		.amdhsa_float_round_mode_32 0
		.amdhsa_float_round_mode_16_64 0
		.amdhsa_float_denorm_mode_32 3
		.amdhsa_float_denorm_mode_16_64 3
		.amdhsa_fp16_overflow 0
		.amdhsa_memory_ordered 1
		.amdhsa_forward_progress 1
		.amdhsa_inst_pref_size 0
		.amdhsa_round_robin_scheduling 0
		.amdhsa_exception_fp_ieee_invalid_op 0
		.amdhsa_exception_fp_denorm_src 0
		.amdhsa_exception_fp_ieee_div_zero 0
		.amdhsa_exception_fp_ieee_overflow 0
		.amdhsa_exception_fp_ieee_underflow 0
		.amdhsa_exception_fp_ieee_inexact 0
		.amdhsa_exception_int_div_zero 0
	.end_amdhsa_kernel
	.section	.text._ZN7rocprim17ROCPRIM_400000_NS6detail17trampoline_kernelINS0_13select_configILj256ELj13ELNS0_17block_load_methodE3ELS4_3ELS4_3ELNS0_20block_scan_algorithmE0ELj4294967295EEENS1_25partition_config_selectorILNS1_17partition_subalgoE4EjNS0_10empty_typeEbEEZZNS1_14partition_implILS8_4ELb0ES6_15HIP_vector_typeIjLj2EENS0_17counting_iteratorIjlEEPS9_SG_NS0_5tupleIJPjSI_NS0_16reverse_iteratorISI_EEEEENSH_IJSG_SG_SG_EEES9_SI_JZNS1_25segmented_radix_sort_implINS0_14default_configELb0EPK6__halfPSP_PKlPlN2at6native12_GLOBAL__N_18offset_tEEE10hipError_tPvRmT1_PNSt15iterator_traitsIS13_E10value_typeET2_T3_PNS14_IS19_E10value_typeET4_jRbjT5_S1F_jjP12ihipStream_tbEUljE_ZNSN_ISO_Lb0ESR_SS_SU_SV_SZ_EES10_S11_S12_S13_S17_S18_S19_S1C_S1D_jS1E_jS1F_S1F_jjS1H_bEUljE0_EEES10_S11_S12_S19_S1D_S1F_T6_T7_T9_mT8_S1H_bDpT10_ENKUlT_T0_E_clISt17integral_constantIbLb1EES1U_IbLb0EEEEDaS1Q_S1R_EUlS1Q_E_NS1_11comp_targetILNS1_3genE9ELNS1_11target_archE1100ELNS1_3gpuE3ELNS1_3repE0EEENS1_30default_config_static_selectorELNS0_4arch9wavefront6targetE0EEEvS13_,"axG",@progbits,_ZN7rocprim17ROCPRIM_400000_NS6detail17trampoline_kernelINS0_13select_configILj256ELj13ELNS0_17block_load_methodE3ELS4_3ELS4_3ELNS0_20block_scan_algorithmE0ELj4294967295EEENS1_25partition_config_selectorILNS1_17partition_subalgoE4EjNS0_10empty_typeEbEEZZNS1_14partition_implILS8_4ELb0ES6_15HIP_vector_typeIjLj2EENS0_17counting_iteratorIjlEEPS9_SG_NS0_5tupleIJPjSI_NS0_16reverse_iteratorISI_EEEEENSH_IJSG_SG_SG_EEES9_SI_JZNS1_25segmented_radix_sort_implINS0_14default_configELb0EPK6__halfPSP_PKlPlN2at6native12_GLOBAL__N_18offset_tEEE10hipError_tPvRmT1_PNSt15iterator_traitsIS13_E10value_typeET2_T3_PNS14_IS19_E10value_typeET4_jRbjT5_S1F_jjP12ihipStream_tbEUljE_ZNSN_ISO_Lb0ESR_SS_SU_SV_SZ_EES10_S11_S12_S13_S17_S18_S19_S1C_S1D_jS1E_jS1F_S1F_jjS1H_bEUljE0_EEES10_S11_S12_S19_S1D_S1F_T6_T7_T9_mT8_S1H_bDpT10_ENKUlT_T0_E_clISt17integral_constantIbLb1EES1U_IbLb0EEEEDaS1Q_S1R_EUlS1Q_E_NS1_11comp_targetILNS1_3genE9ELNS1_11target_archE1100ELNS1_3gpuE3ELNS1_3repE0EEENS1_30default_config_static_selectorELNS0_4arch9wavefront6targetE0EEEvS13_,comdat
.Lfunc_end1790:
	.size	_ZN7rocprim17ROCPRIM_400000_NS6detail17trampoline_kernelINS0_13select_configILj256ELj13ELNS0_17block_load_methodE3ELS4_3ELS4_3ELNS0_20block_scan_algorithmE0ELj4294967295EEENS1_25partition_config_selectorILNS1_17partition_subalgoE4EjNS0_10empty_typeEbEEZZNS1_14partition_implILS8_4ELb0ES6_15HIP_vector_typeIjLj2EENS0_17counting_iteratorIjlEEPS9_SG_NS0_5tupleIJPjSI_NS0_16reverse_iteratorISI_EEEEENSH_IJSG_SG_SG_EEES9_SI_JZNS1_25segmented_radix_sort_implINS0_14default_configELb0EPK6__halfPSP_PKlPlN2at6native12_GLOBAL__N_18offset_tEEE10hipError_tPvRmT1_PNSt15iterator_traitsIS13_E10value_typeET2_T3_PNS14_IS19_E10value_typeET4_jRbjT5_S1F_jjP12ihipStream_tbEUljE_ZNSN_ISO_Lb0ESR_SS_SU_SV_SZ_EES10_S11_S12_S13_S17_S18_S19_S1C_S1D_jS1E_jS1F_S1F_jjS1H_bEUljE0_EEES10_S11_S12_S19_S1D_S1F_T6_T7_T9_mT8_S1H_bDpT10_ENKUlT_T0_E_clISt17integral_constantIbLb1EES1U_IbLb0EEEEDaS1Q_S1R_EUlS1Q_E_NS1_11comp_targetILNS1_3genE9ELNS1_11target_archE1100ELNS1_3gpuE3ELNS1_3repE0EEENS1_30default_config_static_selectorELNS0_4arch9wavefront6targetE0EEEvS13_, .Lfunc_end1790-_ZN7rocprim17ROCPRIM_400000_NS6detail17trampoline_kernelINS0_13select_configILj256ELj13ELNS0_17block_load_methodE3ELS4_3ELS4_3ELNS0_20block_scan_algorithmE0ELj4294967295EEENS1_25partition_config_selectorILNS1_17partition_subalgoE4EjNS0_10empty_typeEbEEZZNS1_14partition_implILS8_4ELb0ES6_15HIP_vector_typeIjLj2EENS0_17counting_iteratorIjlEEPS9_SG_NS0_5tupleIJPjSI_NS0_16reverse_iteratorISI_EEEEENSH_IJSG_SG_SG_EEES9_SI_JZNS1_25segmented_radix_sort_implINS0_14default_configELb0EPK6__halfPSP_PKlPlN2at6native12_GLOBAL__N_18offset_tEEE10hipError_tPvRmT1_PNSt15iterator_traitsIS13_E10value_typeET2_T3_PNS14_IS19_E10value_typeET4_jRbjT5_S1F_jjP12ihipStream_tbEUljE_ZNSN_ISO_Lb0ESR_SS_SU_SV_SZ_EES10_S11_S12_S13_S17_S18_S19_S1C_S1D_jS1E_jS1F_S1F_jjS1H_bEUljE0_EEES10_S11_S12_S19_S1D_S1F_T6_T7_T9_mT8_S1H_bDpT10_ENKUlT_T0_E_clISt17integral_constantIbLb1EES1U_IbLb0EEEEDaS1Q_S1R_EUlS1Q_E_NS1_11comp_targetILNS1_3genE9ELNS1_11target_archE1100ELNS1_3gpuE3ELNS1_3repE0EEENS1_30default_config_static_selectorELNS0_4arch9wavefront6targetE0EEEvS13_
                                        ; -- End function
	.set _ZN7rocprim17ROCPRIM_400000_NS6detail17trampoline_kernelINS0_13select_configILj256ELj13ELNS0_17block_load_methodE3ELS4_3ELS4_3ELNS0_20block_scan_algorithmE0ELj4294967295EEENS1_25partition_config_selectorILNS1_17partition_subalgoE4EjNS0_10empty_typeEbEEZZNS1_14partition_implILS8_4ELb0ES6_15HIP_vector_typeIjLj2EENS0_17counting_iteratorIjlEEPS9_SG_NS0_5tupleIJPjSI_NS0_16reverse_iteratorISI_EEEEENSH_IJSG_SG_SG_EEES9_SI_JZNS1_25segmented_radix_sort_implINS0_14default_configELb0EPK6__halfPSP_PKlPlN2at6native12_GLOBAL__N_18offset_tEEE10hipError_tPvRmT1_PNSt15iterator_traitsIS13_E10value_typeET2_T3_PNS14_IS19_E10value_typeET4_jRbjT5_S1F_jjP12ihipStream_tbEUljE_ZNSN_ISO_Lb0ESR_SS_SU_SV_SZ_EES10_S11_S12_S13_S17_S18_S19_S1C_S1D_jS1E_jS1F_S1F_jjS1H_bEUljE0_EEES10_S11_S12_S19_S1D_S1F_T6_T7_T9_mT8_S1H_bDpT10_ENKUlT_T0_E_clISt17integral_constantIbLb1EES1U_IbLb0EEEEDaS1Q_S1R_EUlS1Q_E_NS1_11comp_targetILNS1_3genE9ELNS1_11target_archE1100ELNS1_3gpuE3ELNS1_3repE0EEENS1_30default_config_static_selectorELNS0_4arch9wavefront6targetE0EEEvS13_.num_vgpr, 0
	.set _ZN7rocprim17ROCPRIM_400000_NS6detail17trampoline_kernelINS0_13select_configILj256ELj13ELNS0_17block_load_methodE3ELS4_3ELS4_3ELNS0_20block_scan_algorithmE0ELj4294967295EEENS1_25partition_config_selectorILNS1_17partition_subalgoE4EjNS0_10empty_typeEbEEZZNS1_14partition_implILS8_4ELb0ES6_15HIP_vector_typeIjLj2EENS0_17counting_iteratorIjlEEPS9_SG_NS0_5tupleIJPjSI_NS0_16reverse_iteratorISI_EEEEENSH_IJSG_SG_SG_EEES9_SI_JZNS1_25segmented_radix_sort_implINS0_14default_configELb0EPK6__halfPSP_PKlPlN2at6native12_GLOBAL__N_18offset_tEEE10hipError_tPvRmT1_PNSt15iterator_traitsIS13_E10value_typeET2_T3_PNS14_IS19_E10value_typeET4_jRbjT5_S1F_jjP12ihipStream_tbEUljE_ZNSN_ISO_Lb0ESR_SS_SU_SV_SZ_EES10_S11_S12_S13_S17_S18_S19_S1C_S1D_jS1E_jS1F_S1F_jjS1H_bEUljE0_EEES10_S11_S12_S19_S1D_S1F_T6_T7_T9_mT8_S1H_bDpT10_ENKUlT_T0_E_clISt17integral_constantIbLb1EES1U_IbLb0EEEEDaS1Q_S1R_EUlS1Q_E_NS1_11comp_targetILNS1_3genE9ELNS1_11target_archE1100ELNS1_3gpuE3ELNS1_3repE0EEENS1_30default_config_static_selectorELNS0_4arch9wavefront6targetE0EEEvS13_.num_agpr, 0
	.set _ZN7rocprim17ROCPRIM_400000_NS6detail17trampoline_kernelINS0_13select_configILj256ELj13ELNS0_17block_load_methodE3ELS4_3ELS4_3ELNS0_20block_scan_algorithmE0ELj4294967295EEENS1_25partition_config_selectorILNS1_17partition_subalgoE4EjNS0_10empty_typeEbEEZZNS1_14partition_implILS8_4ELb0ES6_15HIP_vector_typeIjLj2EENS0_17counting_iteratorIjlEEPS9_SG_NS0_5tupleIJPjSI_NS0_16reverse_iteratorISI_EEEEENSH_IJSG_SG_SG_EEES9_SI_JZNS1_25segmented_radix_sort_implINS0_14default_configELb0EPK6__halfPSP_PKlPlN2at6native12_GLOBAL__N_18offset_tEEE10hipError_tPvRmT1_PNSt15iterator_traitsIS13_E10value_typeET2_T3_PNS14_IS19_E10value_typeET4_jRbjT5_S1F_jjP12ihipStream_tbEUljE_ZNSN_ISO_Lb0ESR_SS_SU_SV_SZ_EES10_S11_S12_S13_S17_S18_S19_S1C_S1D_jS1E_jS1F_S1F_jjS1H_bEUljE0_EEES10_S11_S12_S19_S1D_S1F_T6_T7_T9_mT8_S1H_bDpT10_ENKUlT_T0_E_clISt17integral_constantIbLb1EES1U_IbLb0EEEEDaS1Q_S1R_EUlS1Q_E_NS1_11comp_targetILNS1_3genE9ELNS1_11target_archE1100ELNS1_3gpuE3ELNS1_3repE0EEENS1_30default_config_static_selectorELNS0_4arch9wavefront6targetE0EEEvS13_.numbered_sgpr, 0
	.set _ZN7rocprim17ROCPRIM_400000_NS6detail17trampoline_kernelINS0_13select_configILj256ELj13ELNS0_17block_load_methodE3ELS4_3ELS4_3ELNS0_20block_scan_algorithmE0ELj4294967295EEENS1_25partition_config_selectorILNS1_17partition_subalgoE4EjNS0_10empty_typeEbEEZZNS1_14partition_implILS8_4ELb0ES6_15HIP_vector_typeIjLj2EENS0_17counting_iteratorIjlEEPS9_SG_NS0_5tupleIJPjSI_NS0_16reverse_iteratorISI_EEEEENSH_IJSG_SG_SG_EEES9_SI_JZNS1_25segmented_radix_sort_implINS0_14default_configELb0EPK6__halfPSP_PKlPlN2at6native12_GLOBAL__N_18offset_tEEE10hipError_tPvRmT1_PNSt15iterator_traitsIS13_E10value_typeET2_T3_PNS14_IS19_E10value_typeET4_jRbjT5_S1F_jjP12ihipStream_tbEUljE_ZNSN_ISO_Lb0ESR_SS_SU_SV_SZ_EES10_S11_S12_S13_S17_S18_S19_S1C_S1D_jS1E_jS1F_S1F_jjS1H_bEUljE0_EEES10_S11_S12_S19_S1D_S1F_T6_T7_T9_mT8_S1H_bDpT10_ENKUlT_T0_E_clISt17integral_constantIbLb1EES1U_IbLb0EEEEDaS1Q_S1R_EUlS1Q_E_NS1_11comp_targetILNS1_3genE9ELNS1_11target_archE1100ELNS1_3gpuE3ELNS1_3repE0EEENS1_30default_config_static_selectorELNS0_4arch9wavefront6targetE0EEEvS13_.num_named_barrier, 0
	.set _ZN7rocprim17ROCPRIM_400000_NS6detail17trampoline_kernelINS0_13select_configILj256ELj13ELNS0_17block_load_methodE3ELS4_3ELS4_3ELNS0_20block_scan_algorithmE0ELj4294967295EEENS1_25partition_config_selectorILNS1_17partition_subalgoE4EjNS0_10empty_typeEbEEZZNS1_14partition_implILS8_4ELb0ES6_15HIP_vector_typeIjLj2EENS0_17counting_iteratorIjlEEPS9_SG_NS0_5tupleIJPjSI_NS0_16reverse_iteratorISI_EEEEENSH_IJSG_SG_SG_EEES9_SI_JZNS1_25segmented_radix_sort_implINS0_14default_configELb0EPK6__halfPSP_PKlPlN2at6native12_GLOBAL__N_18offset_tEEE10hipError_tPvRmT1_PNSt15iterator_traitsIS13_E10value_typeET2_T3_PNS14_IS19_E10value_typeET4_jRbjT5_S1F_jjP12ihipStream_tbEUljE_ZNSN_ISO_Lb0ESR_SS_SU_SV_SZ_EES10_S11_S12_S13_S17_S18_S19_S1C_S1D_jS1E_jS1F_S1F_jjS1H_bEUljE0_EEES10_S11_S12_S19_S1D_S1F_T6_T7_T9_mT8_S1H_bDpT10_ENKUlT_T0_E_clISt17integral_constantIbLb1EES1U_IbLb0EEEEDaS1Q_S1R_EUlS1Q_E_NS1_11comp_targetILNS1_3genE9ELNS1_11target_archE1100ELNS1_3gpuE3ELNS1_3repE0EEENS1_30default_config_static_selectorELNS0_4arch9wavefront6targetE0EEEvS13_.private_seg_size, 0
	.set _ZN7rocprim17ROCPRIM_400000_NS6detail17trampoline_kernelINS0_13select_configILj256ELj13ELNS0_17block_load_methodE3ELS4_3ELS4_3ELNS0_20block_scan_algorithmE0ELj4294967295EEENS1_25partition_config_selectorILNS1_17partition_subalgoE4EjNS0_10empty_typeEbEEZZNS1_14partition_implILS8_4ELb0ES6_15HIP_vector_typeIjLj2EENS0_17counting_iteratorIjlEEPS9_SG_NS0_5tupleIJPjSI_NS0_16reverse_iteratorISI_EEEEENSH_IJSG_SG_SG_EEES9_SI_JZNS1_25segmented_radix_sort_implINS0_14default_configELb0EPK6__halfPSP_PKlPlN2at6native12_GLOBAL__N_18offset_tEEE10hipError_tPvRmT1_PNSt15iterator_traitsIS13_E10value_typeET2_T3_PNS14_IS19_E10value_typeET4_jRbjT5_S1F_jjP12ihipStream_tbEUljE_ZNSN_ISO_Lb0ESR_SS_SU_SV_SZ_EES10_S11_S12_S13_S17_S18_S19_S1C_S1D_jS1E_jS1F_S1F_jjS1H_bEUljE0_EEES10_S11_S12_S19_S1D_S1F_T6_T7_T9_mT8_S1H_bDpT10_ENKUlT_T0_E_clISt17integral_constantIbLb1EES1U_IbLb0EEEEDaS1Q_S1R_EUlS1Q_E_NS1_11comp_targetILNS1_3genE9ELNS1_11target_archE1100ELNS1_3gpuE3ELNS1_3repE0EEENS1_30default_config_static_selectorELNS0_4arch9wavefront6targetE0EEEvS13_.uses_vcc, 0
	.set _ZN7rocprim17ROCPRIM_400000_NS6detail17trampoline_kernelINS0_13select_configILj256ELj13ELNS0_17block_load_methodE3ELS4_3ELS4_3ELNS0_20block_scan_algorithmE0ELj4294967295EEENS1_25partition_config_selectorILNS1_17partition_subalgoE4EjNS0_10empty_typeEbEEZZNS1_14partition_implILS8_4ELb0ES6_15HIP_vector_typeIjLj2EENS0_17counting_iteratorIjlEEPS9_SG_NS0_5tupleIJPjSI_NS0_16reverse_iteratorISI_EEEEENSH_IJSG_SG_SG_EEES9_SI_JZNS1_25segmented_radix_sort_implINS0_14default_configELb0EPK6__halfPSP_PKlPlN2at6native12_GLOBAL__N_18offset_tEEE10hipError_tPvRmT1_PNSt15iterator_traitsIS13_E10value_typeET2_T3_PNS14_IS19_E10value_typeET4_jRbjT5_S1F_jjP12ihipStream_tbEUljE_ZNSN_ISO_Lb0ESR_SS_SU_SV_SZ_EES10_S11_S12_S13_S17_S18_S19_S1C_S1D_jS1E_jS1F_S1F_jjS1H_bEUljE0_EEES10_S11_S12_S19_S1D_S1F_T6_T7_T9_mT8_S1H_bDpT10_ENKUlT_T0_E_clISt17integral_constantIbLb1EES1U_IbLb0EEEEDaS1Q_S1R_EUlS1Q_E_NS1_11comp_targetILNS1_3genE9ELNS1_11target_archE1100ELNS1_3gpuE3ELNS1_3repE0EEENS1_30default_config_static_selectorELNS0_4arch9wavefront6targetE0EEEvS13_.uses_flat_scratch, 0
	.set _ZN7rocprim17ROCPRIM_400000_NS6detail17trampoline_kernelINS0_13select_configILj256ELj13ELNS0_17block_load_methodE3ELS4_3ELS4_3ELNS0_20block_scan_algorithmE0ELj4294967295EEENS1_25partition_config_selectorILNS1_17partition_subalgoE4EjNS0_10empty_typeEbEEZZNS1_14partition_implILS8_4ELb0ES6_15HIP_vector_typeIjLj2EENS0_17counting_iteratorIjlEEPS9_SG_NS0_5tupleIJPjSI_NS0_16reverse_iteratorISI_EEEEENSH_IJSG_SG_SG_EEES9_SI_JZNS1_25segmented_radix_sort_implINS0_14default_configELb0EPK6__halfPSP_PKlPlN2at6native12_GLOBAL__N_18offset_tEEE10hipError_tPvRmT1_PNSt15iterator_traitsIS13_E10value_typeET2_T3_PNS14_IS19_E10value_typeET4_jRbjT5_S1F_jjP12ihipStream_tbEUljE_ZNSN_ISO_Lb0ESR_SS_SU_SV_SZ_EES10_S11_S12_S13_S17_S18_S19_S1C_S1D_jS1E_jS1F_S1F_jjS1H_bEUljE0_EEES10_S11_S12_S19_S1D_S1F_T6_T7_T9_mT8_S1H_bDpT10_ENKUlT_T0_E_clISt17integral_constantIbLb1EES1U_IbLb0EEEEDaS1Q_S1R_EUlS1Q_E_NS1_11comp_targetILNS1_3genE9ELNS1_11target_archE1100ELNS1_3gpuE3ELNS1_3repE0EEENS1_30default_config_static_selectorELNS0_4arch9wavefront6targetE0EEEvS13_.has_dyn_sized_stack, 0
	.set _ZN7rocprim17ROCPRIM_400000_NS6detail17trampoline_kernelINS0_13select_configILj256ELj13ELNS0_17block_load_methodE3ELS4_3ELS4_3ELNS0_20block_scan_algorithmE0ELj4294967295EEENS1_25partition_config_selectorILNS1_17partition_subalgoE4EjNS0_10empty_typeEbEEZZNS1_14partition_implILS8_4ELb0ES6_15HIP_vector_typeIjLj2EENS0_17counting_iteratorIjlEEPS9_SG_NS0_5tupleIJPjSI_NS0_16reverse_iteratorISI_EEEEENSH_IJSG_SG_SG_EEES9_SI_JZNS1_25segmented_radix_sort_implINS0_14default_configELb0EPK6__halfPSP_PKlPlN2at6native12_GLOBAL__N_18offset_tEEE10hipError_tPvRmT1_PNSt15iterator_traitsIS13_E10value_typeET2_T3_PNS14_IS19_E10value_typeET4_jRbjT5_S1F_jjP12ihipStream_tbEUljE_ZNSN_ISO_Lb0ESR_SS_SU_SV_SZ_EES10_S11_S12_S13_S17_S18_S19_S1C_S1D_jS1E_jS1F_S1F_jjS1H_bEUljE0_EEES10_S11_S12_S19_S1D_S1F_T6_T7_T9_mT8_S1H_bDpT10_ENKUlT_T0_E_clISt17integral_constantIbLb1EES1U_IbLb0EEEEDaS1Q_S1R_EUlS1Q_E_NS1_11comp_targetILNS1_3genE9ELNS1_11target_archE1100ELNS1_3gpuE3ELNS1_3repE0EEENS1_30default_config_static_selectorELNS0_4arch9wavefront6targetE0EEEvS13_.has_recursion, 0
	.set _ZN7rocprim17ROCPRIM_400000_NS6detail17trampoline_kernelINS0_13select_configILj256ELj13ELNS0_17block_load_methodE3ELS4_3ELS4_3ELNS0_20block_scan_algorithmE0ELj4294967295EEENS1_25partition_config_selectorILNS1_17partition_subalgoE4EjNS0_10empty_typeEbEEZZNS1_14partition_implILS8_4ELb0ES6_15HIP_vector_typeIjLj2EENS0_17counting_iteratorIjlEEPS9_SG_NS0_5tupleIJPjSI_NS0_16reverse_iteratorISI_EEEEENSH_IJSG_SG_SG_EEES9_SI_JZNS1_25segmented_radix_sort_implINS0_14default_configELb0EPK6__halfPSP_PKlPlN2at6native12_GLOBAL__N_18offset_tEEE10hipError_tPvRmT1_PNSt15iterator_traitsIS13_E10value_typeET2_T3_PNS14_IS19_E10value_typeET4_jRbjT5_S1F_jjP12ihipStream_tbEUljE_ZNSN_ISO_Lb0ESR_SS_SU_SV_SZ_EES10_S11_S12_S13_S17_S18_S19_S1C_S1D_jS1E_jS1F_S1F_jjS1H_bEUljE0_EEES10_S11_S12_S19_S1D_S1F_T6_T7_T9_mT8_S1H_bDpT10_ENKUlT_T0_E_clISt17integral_constantIbLb1EES1U_IbLb0EEEEDaS1Q_S1R_EUlS1Q_E_NS1_11comp_targetILNS1_3genE9ELNS1_11target_archE1100ELNS1_3gpuE3ELNS1_3repE0EEENS1_30default_config_static_selectorELNS0_4arch9wavefront6targetE0EEEvS13_.has_indirect_call, 0
	.section	.AMDGPU.csdata,"",@progbits
; Kernel info:
; codeLenInByte = 0
; TotalNumSgprs: 0
; NumVgprs: 0
; ScratchSize: 0
; MemoryBound: 0
; FloatMode: 240
; IeeeMode: 1
; LDSByteSize: 0 bytes/workgroup (compile time only)
; SGPRBlocks: 0
; VGPRBlocks: 0
; NumSGPRsForWavesPerEU: 1
; NumVGPRsForWavesPerEU: 1
; NamedBarCnt: 0
; Occupancy: 16
; WaveLimiterHint : 0
; COMPUTE_PGM_RSRC2:SCRATCH_EN: 0
; COMPUTE_PGM_RSRC2:USER_SGPR: 2
; COMPUTE_PGM_RSRC2:TRAP_HANDLER: 0
; COMPUTE_PGM_RSRC2:TGID_X_EN: 1
; COMPUTE_PGM_RSRC2:TGID_Y_EN: 0
; COMPUTE_PGM_RSRC2:TGID_Z_EN: 0
; COMPUTE_PGM_RSRC2:TIDIG_COMP_CNT: 0
	.section	.text._ZN7rocprim17ROCPRIM_400000_NS6detail17trampoline_kernelINS0_13select_configILj256ELj13ELNS0_17block_load_methodE3ELS4_3ELS4_3ELNS0_20block_scan_algorithmE0ELj4294967295EEENS1_25partition_config_selectorILNS1_17partition_subalgoE4EjNS0_10empty_typeEbEEZZNS1_14partition_implILS8_4ELb0ES6_15HIP_vector_typeIjLj2EENS0_17counting_iteratorIjlEEPS9_SG_NS0_5tupleIJPjSI_NS0_16reverse_iteratorISI_EEEEENSH_IJSG_SG_SG_EEES9_SI_JZNS1_25segmented_radix_sort_implINS0_14default_configELb0EPK6__halfPSP_PKlPlN2at6native12_GLOBAL__N_18offset_tEEE10hipError_tPvRmT1_PNSt15iterator_traitsIS13_E10value_typeET2_T3_PNS14_IS19_E10value_typeET4_jRbjT5_S1F_jjP12ihipStream_tbEUljE_ZNSN_ISO_Lb0ESR_SS_SU_SV_SZ_EES10_S11_S12_S13_S17_S18_S19_S1C_S1D_jS1E_jS1F_S1F_jjS1H_bEUljE0_EEES10_S11_S12_S19_S1D_S1F_T6_T7_T9_mT8_S1H_bDpT10_ENKUlT_T0_E_clISt17integral_constantIbLb1EES1U_IbLb0EEEEDaS1Q_S1R_EUlS1Q_E_NS1_11comp_targetILNS1_3genE8ELNS1_11target_archE1030ELNS1_3gpuE2ELNS1_3repE0EEENS1_30default_config_static_selectorELNS0_4arch9wavefront6targetE0EEEvS13_,"axG",@progbits,_ZN7rocprim17ROCPRIM_400000_NS6detail17trampoline_kernelINS0_13select_configILj256ELj13ELNS0_17block_load_methodE3ELS4_3ELS4_3ELNS0_20block_scan_algorithmE0ELj4294967295EEENS1_25partition_config_selectorILNS1_17partition_subalgoE4EjNS0_10empty_typeEbEEZZNS1_14partition_implILS8_4ELb0ES6_15HIP_vector_typeIjLj2EENS0_17counting_iteratorIjlEEPS9_SG_NS0_5tupleIJPjSI_NS0_16reverse_iteratorISI_EEEEENSH_IJSG_SG_SG_EEES9_SI_JZNS1_25segmented_radix_sort_implINS0_14default_configELb0EPK6__halfPSP_PKlPlN2at6native12_GLOBAL__N_18offset_tEEE10hipError_tPvRmT1_PNSt15iterator_traitsIS13_E10value_typeET2_T3_PNS14_IS19_E10value_typeET4_jRbjT5_S1F_jjP12ihipStream_tbEUljE_ZNSN_ISO_Lb0ESR_SS_SU_SV_SZ_EES10_S11_S12_S13_S17_S18_S19_S1C_S1D_jS1E_jS1F_S1F_jjS1H_bEUljE0_EEES10_S11_S12_S19_S1D_S1F_T6_T7_T9_mT8_S1H_bDpT10_ENKUlT_T0_E_clISt17integral_constantIbLb1EES1U_IbLb0EEEEDaS1Q_S1R_EUlS1Q_E_NS1_11comp_targetILNS1_3genE8ELNS1_11target_archE1030ELNS1_3gpuE2ELNS1_3repE0EEENS1_30default_config_static_selectorELNS0_4arch9wavefront6targetE0EEEvS13_,comdat
	.globl	_ZN7rocprim17ROCPRIM_400000_NS6detail17trampoline_kernelINS0_13select_configILj256ELj13ELNS0_17block_load_methodE3ELS4_3ELS4_3ELNS0_20block_scan_algorithmE0ELj4294967295EEENS1_25partition_config_selectorILNS1_17partition_subalgoE4EjNS0_10empty_typeEbEEZZNS1_14partition_implILS8_4ELb0ES6_15HIP_vector_typeIjLj2EENS0_17counting_iteratorIjlEEPS9_SG_NS0_5tupleIJPjSI_NS0_16reverse_iteratorISI_EEEEENSH_IJSG_SG_SG_EEES9_SI_JZNS1_25segmented_radix_sort_implINS0_14default_configELb0EPK6__halfPSP_PKlPlN2at6native12_GLOBAL__N_18offset_tEEE10hipError_tPvRmT1_PNSt15iterator_traitsIS13_E10value_typeET2_T3_PNS14_IS19_E10value_typeET4_jRbjT5_S1F_jjP12ihipStream_tbEUljE_ZNSN_ISO_Lb0ESR_SS_SU_SV_SZ_EES10_S11_S12_S13_S17_S18_S19_S1C_S1D_jS1E_jS1F_S1F_jjS1H_bEUljE0_EEES10_S11_S12_S19_S1D_S1F_T6_T7_T9_mT8_S1H_bDpT10_ENKUlT_T0_E_clISt17integral_constantIbLb1EES1U_IbLb0EEEEDaS1Q_S1R_EUlS1Q_E_NS1_11comp_targetILNS1_3genE8ELNS1_11target_archE1030ELNS1_3gpuE2ELNS1_3repE0EEENS1_30default_config_static_selectorELNS0_4arch9wavefront6targetE0EEEvS13_ ; -- Begin function _ZN7rocprim17ROCPRIM_400000_NS6detail17trampoline_kernelINS0_13select_configILj256ELj13ELNS0_17block_load_methodE3ELS4_3ELS4_3ELNS0_20block_scan_algorithmE0ELj4294967295EEENS1_25partition_config_selectorILNS1_17partition_subalgoE4EjNS0_10empty_typeEbEEZZNS1_14partition_implILS8_4ELb0ES6_15HIP_vector_typeIjLj2EENS0_17counting_iteratorIjlEEPS9_SG_NS0_5tupleIJPjSI_NS0_16reverse_iteratorISI_EEEEENSH_IJSG_SG_SG_EEES9_SI_JZNS1_25segmented_radix_sort_implINS0_14default_configELb0EPK6__halfPSP_PKlPlN2at6native12_GLOBAL__N_18offset_tEEE10hipError_tPvRmT1_PNSt15iterator_traitsIS13_E10value_typeET2_T3_PNS14_IS19_E10value_typeET4_jRbjT5_S1F_jjP12ihipStream_tbEUljE_ZNSN_ISO_Lb0ESR_SS_SU_SV_SZ_EES10_S11_S12_S13_S17_S18_S19_S1C_S1D_jS1E_jS1F_S1F_jjS1H_bEUljE0_EEES10_S11_S12_S19_S1D_S1F_T6_T7_T9_mT8_S1H_bDpT10_ENKUlT_T0_E_clISt17integral_constantIbLb1EES1U_IbLb0EEEEDaS1Q_S1R_EUlS1Q_E_NS1_11comp_targetILNS1_3genE8ELNS1_11target_archE1030ELNS1_3gpuE2ELNS1_3repE0EEENS1_30default_config_static_selectorELNS0_4arch9wavefront6targetE0EEEvS13_
	.p2align	8
	.type	_ZN7rocprim17ROCPRIM_400000_NS6detail17trampoline_kernelINS0_13select_configILj256ELj13ELNS0_17block_load_methodE3ELS4_3ELS4_3ELNS0_20block_scan_algorithmE0ELj4294967295EEENS1_25partition_config_selectorILNS1_17partition_subalgoE4EjNS0_10empty_typeEbEEZZNS1_14partition_implILS8_4ELb0ES6_15HIP_vector_typeIjLj2EENS0_17counting_iteratorIjlEEPS9_SG_NS0_5tupleIJPjSI_NS0_16reverse_iteratorISI_EEEEENSH_IJSG_SG_SG_EEES9_SI_JZNS1_25segmented_radix_sort_implINS0_14default_configELb0EPK6__halfPSP_PKlPlN2at6native12_GLOBAL__N_18offset_tEEE10hipError_tPvRmT1_PNSt15iterator_traitsIS13_E10value_typeET2_T3_PNS14_IS19_E10value_typeET4_jRbjT5_S1F_jjP12ihipStream_tbEUljE_ZNSN_ISO_Lb0ESR_SS_SU_SV_SZ_EES10_S11_S12_S13_S17_S18_S19_S1C_S1D_jS1E_jS1F_S1F_jjS1H_bEUljE0_EEES10_S11_S12_S19_S1D_S1F_T6_T7_T9_mT8_S1H_bDpT10_ENKUlT_T0_E_clISt17integral_constantIbLb1EES1U_IbLb0EEEEDaS1Q_S1R_EUlS1Q_E_NS1_11comp_targetILNS1_3genE8ELNS1_11target_archE1030ELNS1_3gpuE2ELNS1_3repE0EEENS1_30default_config_static_selectorELNS0_4arch9wavefront6targetE0EEEvS13_,@function
_ZN7rocprim17ROCPRIM_400000_NS6detail17trampoline_kernelINS0_13select_configILj256ELj13ELNS0_17block_load_methodE3ELS4_3ELS4_3ELNS0_20block_scan_algorithmE0ELj4294967295EEENS1_25partition_config_selectorILNS1_17partition_subalgoE4EjNS0_10empty_typeEbEEZZNS1_14partition_implILS8_4ELb0ES6_15HIP_vector_typeIjLj2EENS0_17counting_iteratorIjlEEPS9_SG_NS0_5tupleIJPjSI_NS0_16reverse_iteratorISI_EEEEENSH_IJSG_SG_SG_EEES9_SI_JZNS1_25segmented_radix_sort_implINS0_14default_configELb0EPK6__halfPSP_PKlPlN2at6native12_GLOBAL__N_18offset_tEEE10hipError_tPvRmT1_PNSt15iterator_traitsIS13_E10value_typeET2_T3_PNS14_IS19_E10value_typeET4_jRbjT5_S1F_jjP12ihipStream_tbEUljE_ZNSN_ISO_Lb0ESR_SS_SU_SV_SZ_EES10_S11_S12_S13_S17_S18_S19_S1C_S1D_jS1E_jS1F_S1F_jjS1H_bEUljE0_EEES10_S11_S12_S19_S1D_S1F_T6_T7_T9_mT8_S1H_bDpT10_ENKUlT_T0_E_clISt17integral_constantIbLb1EES1U_IbLb0EEEEDaS1Q_S1R_EUlS1Q_E_NS1_11comp_targetILNS1_3genE8ELNS1_11target_archE1030ELNS1_3gpuE2ELNS1_3repE0EEENS1_30default_config_static_selectorELNS0_4arch9wavefront6targetE0EEEvS13_: ; @_ZN7rocprim17ROCPRIM_400000_NS6detail17trampoline_kernelINS0_13select_configILj256ELj13ELNS0_17block_load_methodE3ELS4_3ELS4_3ELNS0_20block_scan_algorithmE0ELj4294967295EEENS1_25partition_config_selectorILNS1_17partition_subalgoE4EjNS0_10empty_typeEbEEZZNS1_14partition_implILS8_4ELb0ES6_15HIP_vector_typeIjLj2EENS0_17counting_iteratorIjlEEPS9_SG_NS0_5tupleIJPjSI_NS0_16reverse_iteratorISI_EEEEENSH_IJSG_SG_SG_EEES9_SI_JZNS1_25segmented_radix_sort_implINS0_14default_configELb0EPK6__halfPSP_PKlPlN2at6native12_GLOBAL__N_18offset_tEEE10hipError_tPvRmT1_PNSt15iterator_traitsIS13_E10value_typeET2_T3_PNS14_IS19_E10value_typeET4_jRbjT5_S1F_jjP12ihipStream_tbEUljE_ZNSN_ISO_Lb0ESR_SS_SU_SV_SZ_EES10_S11_S12_S13_S17_S18_S19_S1C_S1D_jS1E_jS1F_S1F_jjS1H_bEUljE0_EEES10_S11_S12_S19_S1D_S1F_T6_T7_T9_mT8_S1H_bDpT10_ENKUlT_T0_E_clISt17integral_constantIbLb1EES1U_IbLb0EEEEDaS1Q_S1R_EUlS1Q_E_NS1_11comp_targetILNS1_3genE8ELNS1_11target_archE1030ELNS1_3gpuE2ELNS1_3repE0EEENS1_30default_config_static_selectorELNS0_4arch9wavefront6targetE0EEEvS13_
; %bb.0:
	.section	.rodata,"a",@progbits
	.p2align	6, 0x0
	.amdhsa_kernel _ZN7rocprim17ROCPRIM_400000_NS6detail17trampoline_kernelINS0_13select_configILj256ELj13ELNS0_17block_load_methodE3ELS4_3ELS4_3ELNS0_20block_scan_algorithmE0ELj4294967295EEENS1_25partition_config_selectorILNS1_17partition_subalgoE4EjNS0_10empty_typeEbEEZZNS1_14partition_implILS8_4ELb0ES6_15HIP_vector_typeIjLj2EENS0_17counting_iteratorIjlEEPS9_SG_NS0_5tupleIJPjSI_NS0_16reverse_iteratorISI_EEEEENSH_IJSG_SG_SG_EEES9_SI_JZNS1_25segmented_radix_sort_implINS0_14default_configELb0EPK6__halfPSP_PKlPlN2at6native12_GLOBAL__N_18offset_tEEE10hipError_tPvRmT1_PNSt15iterator_traitsIS13_E10value_typeET2_T3_PNS14_IS19_E10value_typeET4_jRbjT5_S1F_jjP12ihipStream_tbEUljE_ZNSN_ISO_Lb0ESR_SS_SU_SV_SZ_EES10_S11_S12_S13_S17_S18_S19_S1C_S1D_jS1E_jS1F_S1F_jjS1H_bEUljE0_EEES10_S11_S12_S19_S1D_S1F_T6_T7_T9_mT8_S1H_bDpT10_ENKUlT_T0_E_clISt17integral_constantIbLb1EES1U_IbLb0EEEEDaS1Q_S1R_EUlS1Q_E_NS1_11comp_targetILNS1_3genE8ELNS1_11target_archE1030ELNS1_3gpuE2ELNS1_3repE0EEENS1_30default_config_static_selectorELNS0_4arch9wavefront6targetE0EEEvS13_
		.amdhsa_group_segment_fixed_size 0
		.amdhsa_private_segment_fixed_size 0
		.amdhsa_kernarg_size 176
		.amdhsa_user_sgpr_count 2
		.amdhsa_user_sgpr_dispatch_ptr 0
		.amdhsa_user_sgpr_queue_ptr 0
		.amdhsa_user_sgpr_kernarg_segment_ptr 1
		.amdhsa_user_sgpr_dispatch_id 0
		.amdhsa_user_sgpr_kernarg_preload_length 0
		.amdhsa_user_sgpr_kernarg_preload_offset 0
		.amdhsa_user_sgpr_private_segment_size 0
		.amdhsa_wavefront_size32 1
		.amdhsa_uses_dynamic_stack 0
		.amdhsa_enable_private_segment 0
		.amdhsa_system_sgpr_workgroup_id_x 1
		.amdhsa_system_sgpr_workgroup_id_y 0
		.amdhsa_system_sgpr_workgroup_id_z 0
		.amdhsa_system_sgpr_workgroup_info 0
		.amdhsa_system_vgpr_workitem_id 0
		.amdhsa_next_free_vgpr 1
		.amdhsa_next_free_sgpr 1
		.amdhsa_named_barrier_count 0
		.amdhsa_reserve_vcc 0
		.amdhsa_float_round_mode_32 0
		.amdhsa_float_round_mode_16_64 0
		.amdhsa_float_denorm_mode_32 3
		.amdhsa_float_denorm_mode_16_64 3
		.amdhsa_fp16_overflow 0
		.amdhsa_memory_ordered 1
		.amdhsa_forward_progress 1
		.amdhsa_inst_pref_size 0
		.amdhsa_round_robin_scheduling 0
		.amdhsa_exception_fp_ieee_invalid_op 0
		.amdhsa_exception_fp_denorm_src 0
		.amdhsa_exception_fp_ieee_div_zero 0
		.amdhsa_exception_fp_ieee_overflow 0
		.amdhsa_exception_fp_ieee_underflow 0
		.amdhsa_exception_fp_ieee_inexact 0
		.amdhsa_exception_int_div_zero 0
	.end_amdhsa_kernel
	.section	.text._ZN7rocprim17ROCPRIM_400000_NS6detail17trampoline_kernelINS0_13select_configILj256ELj13ELNS0_17block_load_methodE3ELS4_3ELS4_3ELNS0_20block_scan_algorithmE0ELj4294967295EEENS1_25partition_config_selectorILNS1_17partition_subalgoE4EjNS0_10empty_typeEbEEZZNS1_14partition_implILS8_4ELb0ES6_15HIP_vector_typeIjLj2EENS0_17counting_iteratorIjlEEPS9_SG_NS0_5tupleIJPjSI_NS0_16reverse_iteratorISI_EEEEENSH_IJSG_SG_SG_EEES9_SI_JZNS1_25segmented_radix_sort_implINS0_14default_configELb0EPK6__halfPSP_PKlPlN2at6native12_GLOBAL__N_18offset_tEEE10hipError_tPvRmT1_PNSt15iterator_traitsIS13_E10value_typeET2_T3_PNS14_IS19_E10value_typeET4_jRbjT5_S1F_jjP12ihipStream_tbEUljE_ZNSN_ISO_Lb0ESR_SS_SU_SV_SZ_EES10_S11_S12_S13_S17_S18_S19_S1C_S1D_jS1E_jS1F_S1F_jjS1H_bEUljE0_EEES10_S11_S12_S19_S1D_S1F_T6_T7_T9_mT8_S1H_bDpT10_ENKUlT_T0_E_clISt17integral_constantIbLb1EES1U_IbLb0EEEEDaS1Q_S1R_EUlS1Q_E_NS1_11comp_targetILNS1_3genE8ELNS1_11target_archE1030ELNS1_3gpuE2ELNS1_3repE0EEENS1_30default_config_static_selectorELNS0_4arch9wavefront6targetE0EEEvS13_,"axG",@progbits,_ZN7rocprim17ROCPRIM_400000_NS6detail17trampoline_kernelINS0_13select_configILj256ELj13ELNS0_17block_load_methodE3ELS4_3ELS4_3ELNS0_20block_scan_algorithmE0ELj4294967295EEENS1_25partition_config_selectorILNS1_17partition_subalgoE4EjNS0_10empty_typeEbEEZZNS1_14partition_implILS8_4ELb0ES6_15HIP_vector_typeIjLj2EENS0_17counting_iteratorIjlEEPS9_SG_NS0_5tupleIJPjSI_NS0_16reverse_iteratorISI_EEEEENSH_IJSG_SG_SG_EEES9_SI_JZNS1_25segmented_radix_sort_implINS0_14default_configELb0EPK6__halfPSP_PKlPlN2at6native12_GLOBAL__N_18offset_tEEE10hipError_tPvRmT1_PNSt15iterator_traitsIS13_E10value_typeET2_T3_PNS14_IS19_E10value_typeET4_jRbjT5_S1F_jjP12ihipStream_tbEUljE_ZNSN_ISO_Lb0ESR_SS_SU_SV_SZ_EES10_S11_S12_S13_S17_S18_S19_S1C_S1D_jS1E_jS1F_S1F_jjS1H_bEUljE0_EEES10_S11_S12_S19_S1D_S1F_T6_T7_T9_mT8_S1H_bDpT10_ENKUlT_T0_E_clISt17integral_constantIbLb1EES1U_IbLb0EEEEDaS1Q_S1R_EUlS1Q_E_NS1_11comp_targetILNS1_3genE8ELNS1_11target_archE1030ELNS1_3gpuE2ELNS1_3repE0EEENS1_30default_config_static_selectorELNS0_4arch9wavefront6targetE0EEEvS13_,comdat
.Lfunc_end1791:
	.size	_ZN7rocprim17ROCPRIM_400000_NS6detail17trampoline_kernelINS0_13select_configILj256ELj13ELNS0_17block_load_methodE3ELS4_3ELS4_3ELNS0_20block_scan_algorithmE0ELj4294967295EEENS1_25partition_config_selectorILNS1_17partition_subalgoE4EjNS0_10empty_typeEbEEZZNS1_14partition_implILS8_4ELb0ES6_15HIP_vector_typeIjLj2EENS0_17counting_iteratorIjlEEPS9_SG_NS0_5tupleIJPjSI_NS0_16reverse_iteratorISI_EEEEENSH_IJSG_SG_SG_EEES9_SI_JZNS1_25segmented_radix_sort_implINS0_14default_configELb0EPK6__halfPSP_PKlPlN2at6native12_GLOBAL__N_18offset_tEEE10hipError_tPvRmT1_PNSt15iterator_traitsIS13_E10value_typeET2_T3_PNS14_IS19_E10value_typeET4_jRbjT5_S1F_jjP12ihipStream_tbEUljE_ZNSN_ISO_Lb0ESR_SS_SU_SV_SZ_EES10_S11_S12_S13_S17_S18_S19_S1C_S1D_jS1E_jS1F_S1F_jjS1H_bEUljE0_EEES10_S11_S12_S19_S1D_S1F_T6_T7_T9_mT8_S1H_bDpT10_ENKUlT_T0_E_clISt17integral_constantIbLb1EES1U_IbLb0EEEEDaS1Q_S1R_EUlS1Q_E_NS1_11comp_targetILNS1_3genE8ELNS1_11target_archE1030ELNS1_3gpuE2ELNS1_3repE0EEENS1_30default_config_static_selectorELNS0_4arch9wavefront6targetE0EEEvS13_, .Lfunc_end1791-_ZN7rocprim17ROCPRIM_400000_NS6detail17trampoline_kernelINS0_13select_configILj256ELj13ELNS0_17block_load_methodE3ELS4_3ELS4_3ELNS0_20block_scan_algorithmE0ELj4294967295EEENS1_25partition_config_selectorILNS1_17partition_subalgoE4EjNS0_10empty_typeEbEEZZNS1_14partition_implILS8_4ELb0ES6_15HIP_vector_typeIjLj2EENS0_17counting_iteratorIjlEEPS9_SG_NS0_5tupleIJPjSI_NS0_16reverse_iteratorISI_EEEEENSH_IJSG_SG_SG_EEES9_SI_JZNS1_25segmented_radix_sort_implINS0_14default_configELb0EPK6__halfPSP_PKlPlN2at6native12_GLOBAL__N_18offset_tEEE10hipError_tPvRmT1_PNSt15iterator_traitsIS13_E10value_typeET2_T3_PNS14_IS19_E10value_typeET4_jRbjT5_S1F_jjP12ihipStream_tbEUljE_ZNSN_ISO_Lb0ESR_SS_SU_SV_SZ_EES10_S11_S12_S13_S17_S18_S19_S1C_S1D_jS1E_jS1F_S1F_jjS1H_bEUljE0_EEES10_S11_S12_S19_S1D_S1F_T6_T7_T9_mT8_S1H_bDpT10_ENKUlT_T0_E_clISt17integral_constantIbLb1EES1U_IbLb0EEEEDaS1Q_S1R_EUlS1Q_E_NS1_11comp_targetILNS1_3genE8ELNS1_11target_archE1030ELNS1_3gpuE2ELNS1_3repE0EEENS1_30default_config_static_selectorELNS0_4arch9wavefront6targetE0EEEvS13_
                                        ; -- End function
	.set _ZN7rocprim17ROCPRIM_400000_NS6detail17trampoline_kernelINS0_13select_configILj256ELj13ELNS0_17block_load_methodE3ELS4_3ELS4_3ELNS0_20block_scan_algorithmE0ELj4294967295EEENS1_25partition_config_selectorILNS1_17partition_subalgoE4EjNS0_10empty_typeEbEEZZNS1_14partition_implILS8_4ELb0ES6_15HIP_vector_typeIjLj2EENS0_17counting_iteratorIjlEEPS9_SG_NS0_5tupleIJPjSI_NS0_16reverse_iteratorISI_EEEEENSH_IJSG_SG_SG_EEES9_SI_JZNS1_25segmented_radix_sort_implINS0_14default_configELb0EPK6__halfPSP_PKlPlN2at6native12_GLOBAL__N_18offset_tEEE10hipError_tPvRmT1_PNSt15iterator_traitsIS13_E10value_typeET2_T3_PNS14_IS19_E10value_typeET4_jRbjT5_S1F_jjP12ihipStream_tbEUljE_ZNSN_ISO_Lb0ESR_SS_SU_SV_SZ_EES10_S11_S12_S13_S17_S18_S19_S1C_S1D_jS1E_jS1F_S1F_jjS1H_bEUljE0_EEES10_S11_S12_S19_S1D_S1F_T6_T7_T9_mT8_S1H_bDpT10_ENKUlT_T0_E_clISt17integral_constantIbLb1EES1U_IbLb0EEEEDaS1Q_S1R_EUlS1Q_E_NS1_11comp_targetILNS1_3genE8ELNS1_11target_archE1030ELNS1_3gpuE2ELNS1_3repE0EEENS1_30default_config_static_selectorELNS0_4arch9wavefront6targetE0EEEvS13_.num_vgpr, 0
	.set _ZN7rocprim17ROCPRIM_400000_NS6detail17trampoline_kernelINS0_13select_configILj256ELj13ELNS0_17block_load_methodE3ELS4_3ELS4_3ELNS0_20block_scan_algorithmE0ELj4294967295EEENS1_25partition_config_selectorILNS1_17partition_subalgoE4EjNS0_10empty_typeEbEEZZNS1_14partition_implILS8_4ELb0ES6_15HIP_vector_typeIjLj2EENS0_17counting_iteratorIjlEEPS9_SG_NS0_5tupleIJPjSI_NS0_16reverse_iteratorISI_EEEEENSH_IJSG_SG_SG_EEES9_SI_JZNS1_25segmented_radix_sort_implINS0_14default_configELb0EPK6__halfPSP_PKlPlN2at6native12_GLOBAL__N_18offset_tEEE10hipError_tPvRmT1_PNSt15iterator_traitsIS13_E10value_typeET2_T3_PNS14_IS19_E10value_typeET4_jRbjT5_S1F_jjP12ihipStream_tbEUljE_ZNSN_ISO_Lb0ESR_SS_SU_SV_SZ_EES10_S11_S12_S13_S17_S18_S19_S1C_S1D_jS1E_jS1F_S1F_jjS1H_bEUljE0_EEES10_S11_S12_S19_S1D_S1F_T6_T7_T9_mT8_S1H_bDpT10_ENKUlT_T0_E_clISt17integral_constantIbLb1EES1U_IbLb0EEEEDaS1Q_S1R_EUlS1Q_E_NS1_11comp_targetILNS1_3genE8ELNS1_11target_archE1030ELNS1_3gpuE2ELNS1_3repE0EEENS1_30default_config_static_selectorELNS0_4arch9wavefront6targetE0EEEvS13_.num_agpr, 0
	.set _ZN7rocprim17ROCPRIM_400000_NS6detail17trampoline_kernelINS0_13select_configILj256ELj13ELNS0_17block_load_methodE3ELS4_3ELS4_3ELNS0_20block_scan_algorithmE0ELj4294967295EEENS1_25partition_config_selectorILNS1_17partition_subalgoE4EjNS0_10empty_typeEbEEZZNS1_14partition_implILS8_4ELb0ES6_15HIP_vector_typeIjLj2EENS0_17counting_iteratorIjlEEPS9_SG_NS0_5tupleIJPjSI_NS0_16reverse_iteratorISI_EEEEENSH_IJSG_SG_SG_EEES9_SI_JZNS1_25segmented_radix_sort_implINS0_14default_configELb0EPK6__halfPSP_PKlPlN2at6native12_GLOBAL__N_18offset_tEEE10hipError_tPvRmT1_PNSt15iterator_traitsIS13_E10value_typeET2_T3_PNS14_IS19_E10value_typeET4_jRbjT5_S1F_jjP12ihipStream_tbEUljE_ZNSN_ISO_Lb0ESR_SS_SU_SV_SZ_EES10_S11_S12_S13_S17_S18_S19_S1C_S1D_jS1E_jS1F_S1F_jjS1H_bEUljE0_EEES10_S11_S12_S19_S1D_S1F_T6_T7_T9_mT8_S1H_bDpT10_ENKUlT_T0_E_clISt17integral_constantIbLb1EES1U_IbLb0EEEEDaS1Q_S1R_EUlS1Q_E_NS1_11comp_targetILNS1_3genE8ELNS1_11target_archE1030ELNS1_3gpuE2ELNS1_3repE0EEENS1_30default_config_static_selectorELNS0_4arch9wavefront6targetE0EEEvS13_.numbered_sgpr, 0
	.set _ZN7rocprim17ROCPRIM_400000_NS6detail17trampoline_kernelINS0_13select_configILj256ELj13ELNS0_17block_load_methodE3ELS4_3ELS4_3ELNS0_20block_scan_algorithmE0ELj4294967295EEENS1_25partition_config_selectorILNS1_17partition_subalgoE4EjNS0_10empty_typeEbEEZZNS1_14partition_implILS8_4ELb0ES6_15HIP_vector_typeIjLj2EENS0_17counting_iteratorIjlEEPS9_SG_NS0_5tupleIJPjSI_NS0_16reverse_iteratorISI_EEEEENSH_IJSG_SG_SG_EEES9_SI_JZNS1_25segmented_radix_sort_implINS0_14default_configELb0EPK6__halfPSP_PKlPlN2at6native12_GLOBAL__N_18offset_tEEE10hipError_tPvRmT1_PNSt15iterator_traitsIS13_E10value_typeET2_T3_PNS14_IS19_E10value_typeET4_jRbjT5_S1F_jjP12ihipStream_tbEUljE_ZNSN_ISO_Lb0ESR_SS_SU_SV_SZ_EES10_S11_S12_S13_S17_S18_S19_S1C_S1D_jS1E_jS1F_S1F_jjS1H_bEUljE0_EEES10_S11_S12_S19_S1D_S1F_T6_T7_T9_mT8_S1H_bDpT10_ENKUlT_T0_E_clISt17integral_constantIbLb1EES1U_IbLb0EEEEDaS1Q_S1R_EUlS1Q_E_NS1_11comp_targetILNS1_3genE8ELNS1_11target_archE1030ELNS1_3gpuE2ELNS1_3repE0EEENS1_30default_config_static_selectorELNS0_4arch9wavefront6targetE0EEEvS13_.num_named_barrier, 0
	.set _ZN7rocprim17ROCPRIM_400000_NS6detail17trampoline_kernelINS0_13select_configILj256ELj13ELNS0_17block_load_methodE3ELS4_3ELS4_3ELNS0_20block_scan_algorithmE0ELj4294967295EEENS1_25partition_config_selectorILNS1_17partition_subalgoE4EjNS0_10empty_typeEbEEZZNS1_14partition_implILS8_4ELb0ES6_15HIP_vector_typeIjLj2EENS0_17counting_iteratorIjlEEPS9_SG_NS0_5tupleIJPjSI_NS0_16reverse_iteratorISI_EEEEENSH_IJSG_SG_SG_EEES9_SI_JZNS1_25segmented_radix_sort_implINS0_14default_configELb0EPK6__halfPSP_PKlPlN2at6native12_GLOBAL__N_18offset_tEEE10hipError_tPvRmT1_PNSt15iterator_traitsIS13_E10value_typeET2_T3_PNS14_IS19_E10value_typeET4_jRbjT5_S1F_jjP12ihipStream_tbEUljE_ZNSN_ISO_Lb0ESR_SS_SU_SV_SZ_EES10_S11_S12_S13_S17_S18_S19_S1C_S1D_jS1E_jS1F_S1F_jjS1H_bEUljE0_EEES10_S11_S12_S19_S1D_S1F_T6_T7_T9_mT8_S1H_bDpT10_ENKUlT_T0_E_clISt17integral_constantIbLb1EES1U_IbLb0EEEEDaS1Q_S1R_EUlS1Q_E_NS1_11comp_targetILNS1_3genE8ELNS1_11target_archE1030ELNS1_3gpuE2ELNS1_3repE0EEENS1_30default_config_static_selectorELNS0_4arch9wavefront6targetE0EEEvS13_.private_seg_size, 0
	.set _ZN7rocprim17ROCPRIM_400000_NS6detail17trampoline_kernelINS0_13select_configILj256ELj13ELNS0_17block_load_methodE3ELS4_3ELS4_3ELNS0_20block_scan_algorithmE0ELj4294967295EEENS1_25partition_config_selectorILNS1_17partition_subalgoE4EjNS0_10empty_typeEbEEZZNS1_14partition_implILS8_4ELb0ES6_15HIP_vector_typeIjLj2EENS0_17counting_iteratorIjlEEPS9_SG_NS0_5tupleIJPjSI_NS0_16reverse_iteratorISI_EEEEENSH_IJSG_SG_SG_EEES9_SI_JZNS1_25segmented_radix_sort_implINS0_14default_configELb0EPK6__halfPSP_PKlPlN2at6native12_GLOBAL__N_18offset_tEEE10hipError_tPvRmT1_PNSt15iterator_traitsIS13_E10value_typeET2_T3_PNS14_IS19_E10value_typeET4_jRbjT5_S1F_jjP12ihipStream_tbEUljE_ZNSN_ISO_Lb0ESR_SS_SU_SV_SZ_EES10_S11_S12_S13_S17_S18_S19_S1C_S1D_jS1E_jS1F_S1F_jjS1H_bEUljE0_EEES10_S11_S12_S19_S1D_S1F_T6_T7_T9_mT8_S1H_bDpT10_ENKUlT_T0_E_clISt17integral_constantIbLb1EES1U_IbLb0EEEEDaS1Q_S1R_EUlS1Q_E_NS1_11comp_targetILNS1_3genE8ELNS1_11target_archE1030ELNS1_3gpuE2ELNS1_3repE0EEENS1_30default_config_static_selectorELNS0_4arch9wavefront6targetE0EEEvS13_.uses_vcc, 0
	.set _ZN7rocprim17ROCPRIM_400000_NS6detail17trampoline_kernelINS0_13select_configILj256ELj13ELNS0_17block_load_methodE3ELS4_3ELS4_3ELNS0_20block_scan_algorithmE0ELj4294967295EEENS1_25partition_config_selectorILNS1_17partition_subalgoE4EjNS0_10empty_typeEbEEZZNS1_14partition_implILS8_4ELb0ES6_15HIP_vector_typeIjLj2EENS0_17counting_iteratorIjlEEPS9_SG_NS0_5tupleIJPjSI_NS0_16reverse_iteratorISI_EEEEENSH_IJSG_SG_SG_EEES9_SI_JZNS1_25segmented_radix_sort_implINS0_14default_configELb0EPK6__halfPSP_PKlPlN2at6native12_GLOBAL__N_18offset_tEEE10hipError_tPvRmT1_PNSt15iterator_traitsIS13_E10value_typeET2_T3_PNS14_IS19_E10value_typeET4_jRbjT5_S1F_jjP12ihipStream_tbEUljE_ZNSN_ISO_Lb0ESR_SS_SU_SV_SZ_EES10_S11_S12_S13_S17_S18_S19_S1C_S1D_jS1E_jS1F_S1F_jjS1H_bEUljE0_EEES10_S11_S12_S19_S1D_S1F_T6_T7_T9_mT8_S1H_bDpT10_ENKUlT_T0_E_clISt17integral_constantIbLb1EES1U_IbLb0EEEEDaS1Q_S1R_EUlS1Q_E_NS1_11comp_targetILNS1_3genE8ELNS1_11target_archE1030ELNS1_3gpuE2ELNS1_3repE0EEENS1_30default_config_static_selectorELNS0_4arch9wavefront6targetE0EEEvS13_.uses_flat_scratch, 0
	.set _ZN7rocprim17ROCPRIM_400000_NS6detail17trampoline_kernelINS0_13select_configILj256ELj13ELNS0_17block_load_methodE3ELS4_3ELS4_3ELNS0_20block_scan_algorithmE0ELj4294967295EEENS1_25partition_config_selectorILNS1_17partition_subalgoE4EjNS0_10empty_typeEbEEZZNS1_14partition_implILS8_4ELb0ES6_15HIP_vector_typeIjLj2EENS0_17counting_iteratorIjlEEPS9_SG_NS0_5tupleIJPjSI_NS0_16reverse_iteratorISI_EEEEENSH_IJSG_SG_SG_EEES9_SI_JZNS1_25segmented_radix_sort_implINS0_14default_configELb0EPK6__halfPSP_PKlPlN2at6native12_GLOBAL__N_18offset_tEEE10hipError_tPvRmT1_PNSt15iterator_traitsIS13_E10value_typeET2_T3_PNS14_IS19_E10value_typeET4_jRbjT5_S1F_jjP12ihipStream_tbEUljE_ZNSN_ISO_Lb0ESR_SS_SU_SV_SZ_EES10_S11_S12_S13_S17_S18_S19_S1C_S1D_jS1E_jS1F_S1F_jjS1H_bEUljE0_EEES10_S11_S12_S19_S1D_S1F_T6_T7_T9_mT8_S1H_bDpT10_ENKUlT_T0_E_clISt17integral_constantIbLb1EES1U_IbLb0EEEEDaS1Q_S1R_EUlS1Q_E_NS1_11comp_targetILNS1_3genE8ELNS1_11target_archE1030ELNS1_3gpuE2ELNS1_3repE0EEENS1_30default_config_static_selectorELNS0_4arch9wavefront6targetE0EEEvS13_.has_dyn_sized_stack, 0
	.set _ZN7rocprim17ROCPRIM_400000_NS6detail17trampoline_kernelINS0_13select_configILj256ELj13ELNS0_17block_load_methodE3ELS4_3ELS4_3ELNS0_20block_scan_algorithmE0ELj4294967295EEENS1_25partition_config_selectorILNS1_17partition_subalgoE4EjNS0_10empty_typeEbEEZZNS1_14partition_implILS8_4ELb0ES6_15HIP_vector_typeIjLj2EENS0_17counting_iteratorIjlEEPS9_SG_NS0_5tupleIJPjSI_NS0_16reverse_iteratorISI_EEEEENSH_IJSG_SG_SG_EEES9_SI_JZNS1_25segmented_radix_sort_implINS0_14default_configELb0EPK6__halfPSP_PKlPlN2at6native12_GLOBAL__N_18offset_tEEE10hipError_tPvRmT1_PNSt15iterator_traitsIS13_E10value_typeET2_T3_PNS14_IS19_E10value_typeET4_jRbjT5_S1F_jjP12ihipStream_tbEUljE_ZNSN_ISO_Lb0ESR_SS_SU_SV_SZ_EES10_S11_S12_S13_S17_S18_S19_S1C_S1D_jS1E_jS1F_S1F_jjS1H_bEUljE0_EEES10_S11_S12_S19_S1D_S1F_T6_T7_T9_mT8_S1H_bDpT10_ENKUlT_T0_E_clISt17integral_constantIbLb1EES1U_IbLb0EEEEDaS1Q_S1R_EUlS1Q_E_NS1_11comp_targetILNS1_3genE8ELNS1_11target_archE1030ELNS1_3gpuE2ELNS1_3repE0EEENS1_30default_config_static_selectorELNS0_4arch9wavefront6targetE0EEEvS13_.has_recursion, 0
	.set _ZN7rocprim17ROCPRIM_400000_NS6detail17trampoline_kernelINS0_13select_configILj256ELj13ELNS0_17block_load_methodE3ELS4_3ELS4_3ELNS0_20block_scan_algorithmE0ELj4294967295EEENS1_25partition_config_selectorILNS1_17partition_subalgoE4EjNS0_10empty_typeEbEEZZNS1_14partition_implILS8_4ELb0ES6_15HIP_vector_typeIjLj2EENS0_17counting_iteratorIjlEEPS9_SG_NS0_5tupleIJPjSI_NS0_16reverse_iteratorISI_EEEEENSH_IJSG_SG_SG_EEES9_SI_JZNS1_25segmented_radix_sort_implINS0_14default_configELb0EPK6__halfPSP_PKlPlN2at6native12_GLOBAL__N_18offset_tEEE10hipError_tPvRmT1_PNSt15iterator_traitsIS13_E10value_typeET2_T3_PNS14_IS19_E10value_typeET4_jRbjT5_S1F_jjP12ihipStream_tbEUljE_ZNSN_ISO_Lb0ESR_SS_SU_SV_SZ_EES10_S11_S12_S13_S17_S18_S19_S1C_S1D_jS1E_jS1F_S1F_jjS1H_bEUljE0_EEES10_S11_S12_S19_S1D_S1F_T6_T7_T9_mT8_S1H_bDpT10_ENKUlT_T0_E_clISt17integral_constantIbLb1EES1U_IbLb0EEEEDaS1Q_S1R_EUlS1Q_E_NS1_11comp_targetILNS1_3genE8ELNS1_11target_archE1030ELNS1_3gpuE2ELNS1_3repE0EEENS1_30default_config_static_selectorELNS0_4arch9wavefront6targetE0EEEvS13_.has_indirect_call, 0
	.section	.AMDGPU.csdata,"",@progbits
; Kernel info:
; codeLenInByte = 0
; TotalNumSgprs: 0
; NumVgprs: 0
; ScratchSize: 0
; MemoryBound: 0
; FloatMode: 240
; IeeeMode: 1
; LDSByteSize: 0 bytes/workgroup (compile time only)
; SGPRBlocks: 0
; VGPRBlocks: 0
; NumSGPRsForWavesPerEU: 1
; NumVGPRsForWavesPerEU: 1
; NamedBarCnt: 0
; Occupancy: 16
; WaveLimiterHint : 0
; COMPUTE_PGM_RSRC2:SCRATCH_EN: 0
; COMPUTE_PGM_RSRC2:USER_SGPR: 2
; COMPUTE_PGM_RSRC2:TRAP_HANDLER: 0
; COMPUTE_PGM_RSRC2:TGID_X_EN: 1
; COMPUTE_PGM_RSRC2:TGID_Y_EN: 0
; COMPUTE_PGM_RSRC2:TGID_Z_EN: 0
; COMPUTE_PGM_RSRC2:TIDIG_COMP_CNT: 0
	.section	.text._ZN7rocprim17ROCPRIM_400000_NS6detail17trampoline_kernelINS0_13select_configILj256ELj13ELNS0_17block_load_methodE3ELS4_3ELS4_3ELNS0_20block_scan_algorithmE0ELj4294967295EEENS1_25partition_config_selectorILNS1_17partition_subalgoE4EjNS0_10empty_typeEbEEZZNS1_14partition_implILS8_4ELb0ES6_15HIP_vector_typeIjLj2EENS0_17counting_iteratorIjlEEPS9_SG_NS0_5tupleIJPjSI_NS0_16reverse_iteratorISI_EEEEENSH_IJSG_SG_SG_EEES9_SI_JZNS1_25segmented_radix_sort_implINS0_14default_configELb0EPK6__halfPSP_PKlPlN2at6native12_GLOBAL__N_18offset_tEEE10hipError_tPvRmT1_PNSt15iterator_traitsIS13_E10value_typeET2_T3_PNS14_IS19_E10value_typeET4_jRbjT5_S1F_jjP12ihipStream_tbEUljE_ZNSN_ISO_Lb0ESR_SS_SU_SV_SZ_EES10_S11_S12_S13_S17_S18_S19_S1C_S1D_jS1E_jS1F_S1F_jjS1H_bEUljE0_EEES10_S11_S12_S19_S1D_S1F_T6_T7_T9_mT8_S1H_bDpT10_ENKUlT_T0_E_clISt17integral_constantIbLb0EES1U_IbLb1EEEEDaS1Q_S1R_EUlS1Q_E_NS1_11comp_targetILNS1_3genE0ELNS1_11target_archE4294967295ELNS1_3gpuE0ELNS1_3repE0EEENS1_30default_config_static_selectorELNS0_4arch9wavefront6targetE0EEEvS13_,"axG",@progbits,_ZN7rocprim17ROCPRIM_400000_NS6detail17trampoline_kernelINS0_13select_configILj256ELj13ELNS0_17block_load_methodE3ELS4_3ELS4_3ELNS0_20block_scan_algorithmE0ELj4294967295EEENS1_25partition_config_selectorILNS1_17partition_subalgoE4EjNS0_10empty_typeEbEEZZNS1_14partition_implILS8_4ELb0ES6_15HIP_vector_typeIjLj2EENS0_17counting_iteratorIjlEEPS9_SG_NS0_5tupleIJPjSI_NS0_16reverse_iteratorISI_EEEEENSH_IJSG_SG_SG_EEES9_SI_JZNS1_25segmented_radix_sort_implINS0_14default_configELb0EPK6__halfPSP_PKlPlN2at6native12_GLOBAL__N_18offset_tEEE10hipError_tPvRmT1_PNSt15iterator_traitsIS13_E10value_typeET2_T3_PNS14_IS19_E10value_typeET4_jRbjT5_S1F_jjP12ihipStream_tbEUljE_ZNSN_ISO_Lb0ESR_SS_SU_SV_SZ_EES10_S11_S12_S13_S17_S18_S19_S1C_S1D_jS1E_jS1F_S1F_jjS1H_bEUljE0_EEES10_S11_S12_S19_S1D_S1F_T6_T7_T9_mT8_S1H_bDpT10_ENKUlT_T0_E_clISt17integral_constantIbLb0EES1U_IbLb1EEEEDaS1Q_S1R_EUlS1Q_E_NS1_11comp_targetILNS1_3genE0ELNS1_11target_archE4294967295ELNS1_3gpuE0ELNS1_3repE0EEENS1_30default_config_static_selectorELNS0_4arch9wavefront6targetE0EEEvS13_,comdat
	.globl	_ZN7rocprim17ROCPRIM_400000_NS6detail17trampoline_kernelINS0_13select_configILj256ELj13ELNS0_17block_load_methodE3ELS4_3ELS4_3ELNS0_20block_scan_algorithmE0ELj4294967295EEENS1_25partition_config_selectorILNS1_17partition_subalgoE4EjNS0_10empty_typeEbEEZZNS1_14partition_implILS8_4ELb0ES6_15HIP_vector_typeIjLj2EENS0_17counting_iteratorIjlEEPS9_SG_NS0_5tupleIJPjSI_NS0_16reverse_iteratorISI_EEEEENSH_IJSG_SG_SG_EEES9_SI_JZNS1_25segmented_radix_sort_implINS0_14default_configELb0EPK6__halfPSP_PKlPlN2at6native12_GLOBAL__N_18offset_tEEE10hipError_tPvRmT1_PNSt15iterator_traitsIS13_E10value_typeET2_T3_PNS14_IS19_E10value_typeET4_jRbjT5_S1F_jjP12ihipStream_tbEUljE_ZNSN_ISO_Lb0ESR_SS_SU_SV_SZ_EES10_S11_S12_S13_S17_S18_S19_S1C_S1D_jS1E_jS1F_S1F_jjS1H_bEUljE0_EEES10_S11_S12_S19_S1D_S1F_T6_T7_T9_mT8_S1H_bDpT10_ENKUlT_T0_E_clISt17integral_constantIbLb0EES1U_IbLb1EEEEDaS1Q_S1R_EUlS1Q_E_NS1_11comp_targetILNS1_3genE0ELNS1_11target_archE4294967295ELNS1_3gpuE0ELNS1_3repE0EEENS1_30default_config_static_selectorELNS0_4arch9wavefront6targetE0EEEvS13_ ; -- Begin function _ZN7rocprim17ROCPRIM_400000_NS6detail17trampoline_kernelINS0_13select_configILj256ELj13ELNS0_17block_load_methodE3ELS4_3ELS4_3ELNS0_20block_scan_algorithmE0ELj4294967295EEENS1_25partition_config_selectorILNS1_17partition_subalgoE4EjNS0_10empty_typeEbEEZZNS1_14partition_implILS8_4ELb0ES6_15HIP_vector_typeIjLj2EENS0_17counting_iteratorIjlEEPS9_SG_NS0_5tupleIJPjSI_NS0_16reverse_iteratorISI_EEEEENSH_IJSG_SG_SG_EEES9_SI_JZNS1_25segmented_radix_sort_implINS0_14default_configELb0EPK6__halfPSP_PKlPlN2at6native12_GLOBAL__N_18offset_tEEE10hipError_tPvRmT1_PNSt15iterator_traitsIS13_E10value_typeET2_T3_PNS14_IS19_E10value_typeET4_jRbjT5_S1F_jjP12ihipStream_tbEUljE_ZNSN_ISO_Lb0ESR_SS_SU_SV_SZ_EES10_S11_S12_S13_S17_S18_S19_S1C_S1D_jS1E_jS1F_S1F_jjS1H_bEUljE0_EEES10_S11_S12_S19_S1D_S1F_T6_T7_T9_mT8_S1H_bDpT10_ENKUlT_T0_E_clISt17integral_constantIbLb0EES1U_IbLb1EEEEDaS1Q_S1R_EUlS1Q_E_NS1_11comp_targetILNS1_3genE0ELNS1_11target_archE4294967295ELNS1_3gpuE0ELNS1_3repE0EEENS1_30default_config_static_selectorELNS0_4arch9wavefront6targetE0EEEvS13_
	.p2align	8
	.type	_ZN7rocprim17ROCPRIM_400000_NS6detail17trampoline_kernelINS0_13select_configILj256ELj13ELNS0_17block_load_methodE3ELS4_3ELS4_3ELNS0_20block_scan_algorithmE0ELj4294967295EEENS1_25partition_config_selectorILNS1_17partition_subalgoE4EjNS0_10empty_typeEbEEZZNS1_14partition_implILS8_4ELb0ES6_15HIP_vector_typeIjLj2EENS0_17counting_iteratorIjlEEPS9_SG_NS0_5tupleIJPjSI_NS0_16reverse_iteratorISI_EEEEENSH_IJSG_SG_SG_EEES9_SI_JZNS1_25segmented_radix_sort_implINS0_14default_configELb0EPK6__halfPSP_PKlPlN2at6native12_GLOBAL__N_18offset_tEEE10hipError_tPvRmT1_PNSt15iterator_traitsIS13_E10value_typeET2_T3_PNS14_IS19_E10value_typeET4_jRbjT5_S1F_jjP12ihipStream_tbEUljE_ZNSN_ISO_Lb0ESR_SS_SU_SV_SZ_EES10_S11_S12_S13_S17_S18_S19_S1C_S1D_jS1E_jS1F_S1F_jjS1H_bEUljE0_EEES10_S11_S12_S19_S1D_S1F_T6_T7_T9_mT8_S1H_bDpT10_ENKUlT_T0_E_clISt17integral_constantIbLb0EES1U_IbLb1EEEEDaS1Q_S1R_EUlS1Q_E_NS1_11comp_targetILNS1_3genE0ELNS1_11target_archE4294967295ELNS1_3gpuE0ELNS1_3repE0EEENS1_30default_config_static_selectorELNS0_4arch9wavefront6targetE0EEEvS13_,@function
_ZN7rocprim17ROCPRIM_400000_NS6detail17trampoline_kernelINS0_13select_configILj256ELj13ELNS0_17block_load_methodE3ELS4_3ELS4_3ELNS0_20block_scan_algorithmE0ELj4294967295EEENS1_25partition_config_selectorILNS1_17partition_subalgoE4EjNS0_10empty_typeEbEEZZNS1_14partition_implILS8_4ELb0ES6_15HIP_vector_typeIjLj2EENS0_17counting_iteratorIjlEEPS9_SG_NS0_5tupleIJPjSI_NS0_16reverse_iteratorISI_EEEEENSH_IJSG_SG_SG_EEES9_SI_JZNS1_25segmented_radix_sort_implINS0_14default_configELb0EPK6__halfPSP_PKlPlN2at6native12_GLOBAL__N_18offset_tEEE10hipError_tPvRmT1_PNSt15iterator_traitsIS13_E10value_typeET2_T3_PNS14_IS19_E10value_typeET4_jRbjT5_S1F_jjP12ihipStream_tbEUljE_ZNSN_ISO_Lb0ESR_SS_SU_SV_SZ_EES10_S11_S12_S13_S17_S18_S19_S1C_S1D_jS1E_jS1F_S1F_jjS1H_bEUljE0_EEES10_S11_S12_S19_S1D_S1F_T6_T7_T9_mT8_S1H_bDpT10_ENKUlT_T0_E_clISt17integral_constantIbLb0EES1U_IbLb1EEEEDaS1Q_S1R_EUlS1Q_E_NS1_11comp_targetILNS1_3genE0ELNS1_11target_archE4294967295ELNS1_3gpuE0ELNS1_3repE0EEENS1_30default_config_static_selectorELNS0_4arch9wavefront6targetE0EEEvS13_: ; @_ZN7rocprim17ROCPRIM_400000_NS6detail17trampoline_kernelINS0_13select_configILj256ELj13ELNS0_17block_load_methodE3ELS4_3ELS4_3ELNS0_20block_scan_algorithmE0ELj4294967295EEENS1_25partition_config_selectorILNS1_17partition_subalgoE4EjNS0_10empty_typeEbEEZZNS1_14partition_implILS8_4ELb0ES6_15HIP_vector_typeIjLj2EENS0_17counting_iteratorIjlEEPS9_SG_NS0_5tupleIJPjSI_NS0_16reverse_iteratorISI_EEEEENSH_IJSG_SG_SG_EEES9_SI_JZNS1_25segmented_radix_sort_implINS0_14default_configELb0EPK6__halfPSP_PKlPlN2at6native12_GLOBAL__N_18offset_tEEE10hipError_tPvRmT1_PNSt15iterator_traitsIS13_E10value_typeET2_T3_PNS14_IS19_E10value_typeET4_jRbjT5_S1F_jjP12ihipStream_tbEUljE_ZNSN_ISO_Lb0ESR_SS_SU_SV_SZ_EES10_S11_S12_S13_S17_S18_S19_S1C_S1D_jS1E_jS1F_S1F_jjS1H_bEUljE0_EEES10_S11_S12_S19_S1D_S1F_T6_T7_T9_mT8_S1H_bDpT10_ENKUlT_T0_E_clISt17integral_constantIbLb0EES1U_IbLb1EEEEDaS1Q_S1R_EUlS1Q_E_NS1_11comp_targetILNS1_3genE0ELNS1_11target_archE4294967295ELNS1_3gpuE0ELNS1_3repE0EEENS1_30default_config_static_selectorELNS0_4arch9wavefront6targetE0EEEvS13_
; %bb.0:
	s_clause 0x7
	s_load_b64 s[34:35], s[0:1], 0x10
	s_load_b128 s[28:31], s[0:1], 0x28
	s_load_b64 s[14:15], s[0:1], 0x38
	s_load_b128 s[24:27], s[0:1], 0x58
	s_load_b64 s[4:5], s[0:1], 0x68
	s_load_b64 s[36:37], s[0:1], 0x78
	;; [unrolled: 1-line block ×3, first 2 shown]
	s_load_b256 s[16:23], s[0:1], 0x90
	v_cmp_eq_u32_e64 s2, 0, v0
	s_and_saveexec_b32 s3, s2
	s_cbranch_execz .LBB1792_4
; %bb.1:
	s_mov_b32 s7, exec_lo
	s_mov_b32 s6, exec_lo
	v_mbcnt_lo_u32_b32 v1, s7, 0
                                        ; implicit-def: $vgpr2
	s_delay_alu instid0(VALU_DEP_1)
	v_cmpx_eq_u32_e32 0, v1
	s_cbranch_execz .LBB1792_3
; %bb.2:
	s_load_b64 s[8:9], s[0:1], 0x88
	s_bcnt1_i32_b32 s7, s7
	s_delay_alu instid0(SALU_CYCLE_1)
	v_dual_mov_b32 v2, 0 :: v_dual_mov_b32 v3, s7
	s_wait_xcnt 0x0
	s_wait_kmcnt 0x0
	global_atomic_add_u32 v2, v2, v3, s[8:9] th:TH_ATOMIC_RETURN scope:SCOPE_DEV
.LBB1792_3:
	s_wait_xcnt 0x0
	s_or_b32 exec_lo, exec_lo, s6
	s_wait_loadcnt 0x0
	v_readfirstlane_b32 s6, v2
	s_delay_alu instid0(VALU_DEP_1)
	v_dual_mov_b32 v2, 0 :: v_dual_add_nc_u32 v1, s6, v1
	ds_store_b32 v2, v1
.LBB1792_4:
	s_or_b32 exec_lo, exec_lo, s3
	v_mov_b32_e32 v1, 0
	s_clause 0x1
	s_load_b32 s3, s[0:1], 0x8
	s_load_b32 s6, s[0:1], 0x80
	s_wait_dscnt 0x0
	s_barrier_signal -1
	s_barrier_wait -1
	ds_load_b32 v6, v1
	s_wait_dscnt 0x0
	s_barrier_signal -1
	s_barrier_wait -1
	s_wait_kmcnt 0x0
	global_load_b128 v[2:5], v1, s[26:27]
	s_mov_b32 s1, 0
	s_add_co_i32 s3, s3, s34
	s_mul_i32 s0, s6, 0xd00
	s_add_co_i32 s6, s6, -1
	s_add_nc_u64 s[8:9], s[34:35], s[0:1]
	s_delay_alu instid0(SALU_CYCLE_1)
	v_cmp_gt_u64_e64 s1, s[4:5], s[8:9]
	v_mul_lo_u32 v14, 0xd00, v6
	s_wait_xcnt 0x0
	v_readfirstlane_b32 s27, v6
	v_cmp_ne_u32_e32 vcc_lo, s6, v6
	s_cmp_eq_u32 s27, s6
	s_cselect_b32 s26, -1, 0
	s_or_b32 s1, s1, vcc_lo
	v_add3_u32 v1, v14, s3, v0
	s_and_b32 vcc_lo, exec_lo, s1
	s_mov_b32 s3, -1
	s_delay_alu instid0(VALU_DEP_1)
	v_add_nc_u32_e32 v6, 0x100, v1
	v_add_nc_u32_e32 v7, 0x200, v1
	;; [unrolled: 1-line block ×12, first 2 shown]
	s_cbranch_vccz .LBB1792_6
; %bb.5:
	v_lshlrev_b32_e32 v19, 2, v0
	s_mov_b32 s3, 0
	ds_store_2addr_stride64_b32 v19, v1, v6 offset1:4
	ds_store_2addr_stride64_b32 v19, v7, v8 offset0:8 offset1:12
	ds_store_2addr_stride64_b32 v19, v9, v10 offset0:16 offset1:20
	;; [unrolled: 1-line block ×5, first 2 shown]
	ds_store_b32 v19, v18 offset:12288
	s_wait_loadcnt_dscnt 0x0
	s_barrier_signal -1
	s_barrier_wait -1
.LBB1792_6:
	s_and_not1_b32 vcc_lo, exec_lo, s3
	s_add_co_i32 s0, s0, s34
	s_cbranch_vccnz .LBB1792_8
; %bb.7:
	v_lshlrev_b32_e32 v19, 2, v0
	ds_store_2addr_stride64_b32 v19, v1, v6 offset1:4
	ds_store_2addr_stride64_b32 v19, v7, v8 offset0:8 offset1:12
	ds_store_2addr_stride64_b32 v19, v9, v10 offset0:16 offset1:20
	;; [unrolled: 1-line block ×5, first 2 shown]
	ds_store_b32 v19, v18 offset:12288
	s_wait_loadcnt_dscnt 0x0
	s_barrier_signal -1
	s_barrier_wait -1
.LBB1792_8:
	v_mul_u32_u24_e32 v15, 13, v0
	s_wait_loadcnt 0x0
	v_cndmask_b32_e64 v35, 0, 1, s1
	s_sub_co_i32 s33, s4, s0
	s_and_not1_b32 vcc_lo, exec_lo, s1
	v_lshlrev_b32_e32 v1, 2, v15
	ds_load_b32 v34, v1 offset:48
	ds_load_2addr_b32 v[16:17], v1 offset0:10 offset1:11
	ds_load_2addr_b32 v[18:19], v1 offset0:8 offset1:9
	ds_load_2addr_b32 v[20:21], v1 offset0:6 offset1:7
	ds_load_2addr_b32 v[22:23], v1 offset0:4 offset1:5
	ds_load_2addr_b32 v[26:27], v1 offset1:1
	ds_load_2addr_b32 v[24:25], v1 offset0:2 offset1:3
	s_wait_dscnt 0x0
	s_barrier_signal -1
	s_barrier_wait -1
	s_cbranch_vccnz .LBB1792_36
; %bb.9:
	v_dual_add_nc_u32 v1, s17, v26 :: v_dual_add_nc_u32 v6, s19, v26
	s_mov_b32 s41, 0
	s_mov_b32 s40, 0
	s_mov_b32 s1, exec_lo
	s_delay_alu instid0(VALU_DEP_1) | instskip(SKIP_1) | instid1(VALU_DEP_1)
	v_mul_lo_u32 v1, v1, s16
	v_mul_lo_u32 v6, v6, s18
	v_sub_nc_u32_e32 v1, v1, v6
	s_delay_alu instid0(VALU_DEP_1)
	v_cmp_lt_u32_e32 vcc_lo, s20, v1
	v_cmpx_ge_u32_e64 s20, v1
	s_cbranch_execz .LBB1792_11
; %bb.10:
	v_dual_add_nc_u32 v1, s22, v26 :: v_dual_add_nc_u32 v6, s38, v26
	s_delay_alu instid0(VALU_DEP_1) | instskip(NEXT) | instid1(VALU_DEP_2)
	v_mul_lo_u32 v1, v1, s21
	v_mul_lo_u32 v6, v6, s23
	s_delay_alu instid0(VALU_DEP_1) | instskip(NEXT) | instid1(VALU_DEP_1)
	v_sub_nc_u32_e32 v1, v1, v6
	v_cmp_lt_u32_e64 s0, s39, v1
	s_and_b32 s40, s0, exec_lo
.LBB1792_11:
	s_or_b32 exec_lo, exec_lo, s1
	v_dual_add_nc_u32 v1, s17, v27 :: v_dual_add_nc_u32 v6, s19, v27
	s_mov_b32 s3, exec_lo
	s_delay_alu instid0(VALU_DEP_1) | instskip(NEXT) | instid1(VALU_DEP_2)
	v_mul_lo_u32 v1, v1, s16
	v_mul_lo_u32 v6, v6, s18
	s_delay_alu instid0(VALU_DEP_1) | instskip(NEXT) | instid1(VALU_DEP_1)
	v_sub_nc_u32_e32 v1, v1, v6
	v_cmp_lt_u32_e64 s0, s20, v1
	v_cmpx_ge_u32_e64 s20, v1
	s_cbranch_execz .LBB1792_13
; %bb.12:
	v_dual_add_nc_u32 v1, s22, v27 :: v_dual_add_nc_u32 v6, s38, v27
	s_delay_alu instid0(VALU_DEP_1) | instskip(NEXT) | instid1(VALU_DEP_2)
	v_mul_lo_u32 v1, v1, s21
	v_mul_lo_u32 v6, v6, s23
	s_delay_alu instid0(VALU_DEP_1) | instskip(NEXT) | instid1(VALU_DEP_1)
	v_sub_nc_u32_e32 v1, v1, v6
	v_cmp_lt_u32_e64 s1, s39, v1
	s_and_b32 s41, s1, exec_lo
.LBB1792_13:
	s_or_b32 exec_lo, exec_lo, s3
	v_dual_add_nc_u32 v1, s17, v24 :: v_dual_add_nc_u32 v6, s19, v24
	s_mov_b32 s43, 0
	s_mov_b32 s42, 0
	s_mov_b32 s4, exec_lo
	s_delay_alu instid0(VALU_DEP_1) | instskip(SKIP_1) | instid1(VALU_DEP_1)
	v_mul_lo_u32 v1, v1, s16
	v_mul_lo_u32 v6, v6, s18
	v_sub_nc_u32_e32 v1, v1, v6
	s_delay_alu instid0(VALU_DEP_1)
	v_cmp_lt_u32_e64 s1, s20, v1
	v_cmpx_ge_u32_e64 s20, v1
	s_cbranch_execz .LBB1792_15
; %bb.14:
	v_dual_add_nc_u32 v1, s22, v24 :: v_dual_add_nc_u32 v6, s38, v24
	s_delay_alu instid0(VALU_DEP_1) | instskip(NEXT) | instid1(VALU_DEP_2)
	v_mul_lo_u32 v1, v1, s21
	v_mul_lo_u32 v6, v6, s23
	s_delay_alu instid0(VALU_DEP_1) | instskip(NEXT) | instid1(VALU_DEP_1)
	v_sub_nc_u32_e32 v1, v1, v6
	v_cmp_lt_u32_e64 s3, s39, v1
	s_and_b32 s42, s3, exec_lo
.LBB1792_15:
	s_or_b32 exec_lo, exec_lo, s4
	v_dual_add_nc_u32 v1, s17, v25 :: v_dual_add_nc_u32 v6, s19, v25
	s_mov_b32 s5, exec_lo
	s_delay_alu instid0(VALU_DEP_1) | instskip(NEXT) | instid1(VALU_DEP_2)
	v_mul_lo_u32 v1, v1, s16
	v_mul_lo_u32 v6, v6, s18
	s_delay_alu instid0(VALU_DEP_1) | instskip(NEXT) | instid1(VALU_DEP_1)
	v_sub_nc_u32_e32 v1, v1, v6
	v_cmp_lt_u32_e64 s3, s20, v1
	v_cmpx_ge_u32_e64 s20, v1
	s_cbranch_execz .LBB1792_17
; %bb.16:
	v_dual_add_nc_u32 v1, s22, v25 :: v_dual_add_nc_u32 v6, s38, v25
	s_delay_alu instid0(VALU_DEP_1) | instskip(NEXT) | instid1(VALU_DEP_2)
	v_mul_lo_u32 v1, v1, s21
	v_mul_lo_u32 v6, v6, s23
	s_delay_alu instid0(VALU_DEP_1) | instskip(NEXT) | instid1(VALU_DEP_1)
	v_sub_nc_u32_e32 v1, v1, v6
	v_cmp_lt_u32_e64 s4, s39, v1
	s_and_b32 s43, s4, exec_lo
.LBB1792_17:
	s_or_b32 exec_lo, exec_lo, s5
	v_dual_add_nc_u32 v1, s17, v22 :: v_dual_add_nc_u32 v6, s19, v22
	s_mov_b32 s45, 0
	s_mov_b32 s44, 0
	s_mov_b32 s6, exec_lo
	s_delay_alu instid0(VALU_DEP_1) | instskip(SKIP_1) | instid1(VALU_DEP_1)
	v_mul_lo_u32 v1, v1, s16
	v_mul_lo_u32 v6, v6, s18
	v_sub_nc_u32_e32 v1, v1, v6
	s_delay_alu instid0(VALU_DEP_1)
	v_cmp_lt_u32_e64 s4, s20, v1
	v_cmpx_ge_u32_e64 s20, v1
	s_cbranch_execz .LBB1792_19
; %bb.18:
	v_dual_add_nc_u32 v1, s22, v22 :: v_dual_add_nc_u32 v6, s38, v22
	s_delay_alu instid0(VALU_DEP_1) | instskip(NEXT) | instid1(VALU_DEP_2)
	v_mul_lo_u32 v1, v1, s21
	v_mul_lo_u32 v6, v6, s23
	s_delay_alu instid0(VALU_DEP_1) | instskip(NEXT) | instid1(VALU_DEP_1)
	v_sub_nc_u32_e32 v1, v1, v6
	v_cmp_lt_u32_e64 s5, s39, v1
	s_and_b32 s44, s5, exec_lo
.LBB1792_19:
	s_or_b32 exec_lo, exec_lo, s6
	v_dual_add_nc_u32 v1, s17, v23 :: v_dual_add_nc_u32 v6, s19, v23
	s_mov_b32 s7, exec_lo
	s_delay_alu instid0(VALU_DEP_1) | instskip(NEXT) | instid1(VALU_DEP_2)
	v_mul_lo_u32 v1, v1, s16
	v_mul_lo_u32 v6, v6, s18
	s_delay_alu instid0(VALU_DEP_1) | instskip(NEXT) | instid1(VALU_DEP_1)
	v_sub_nc_u32_e32 v1, v1, v6
	v_cmp_lt_u32_e64 s5, s20, v1
	v_cmpx_ge_u32_e64 s20, v1
	s_cbranch_execz .LBB1792_21
; %bb.20:
	v_dual_add_nc_u32 v1, s22, v23 :: v_dual_add_nc_u32 v6, s38, v23
	s_delay_alu instid0(VALU_DEP_1) | instskip(NEXT) | instid1(VALU_DEP_2)
	v_mul_lo_u32 v1, v1, s21
	v_mul_lo_u32 v6, v6, s23
	s_delay_alu instid0(VALU_DEP_1) | instskip(NEXT) | instid1(VALU_DEP_1)
	v_sub_nc_u32_e32 v1, v1, v6
	v_cmp_lt_u32_e64 s6, s39, v1
	s_and_b32 s45, s6, exec_lo
.LBB1792_21:
	s_or_b32 exec_lo, exec_lo, s7
	v_dual_add_nc_u32 v1, s17, v20 :: v_dual_add_nc_u32 v6, s19, v20
	s_mov_b32 s47, 0
	s_mov_b32 s46, 0
	s_mov_b32 s8, exec_lo
	s_delay_alu instid0(VALU_DEP_1) | instskip(SKIP_1) | instid1(VALU_DEP_1)
	v_mul_lo_u32 v1, v1, s16
	v_mul_lo_u32 v6, v6, s18
	v_sub_nc_u32_e32 v1, v1, v6
	s_delay_alu instid0(VALU_DEP_1)
	v_cmp_lt_u32_e64 s6, s20, v1
	v_cmpx_ge_u32_e64 s20, v1
	s_cbranch_execz .LBB1792_23
; %bb.22:
	v_dual_add_nc_u32 v1, s22, v20 :: v_dual_add_nc_u32 v6, s38, v20
	s_delay_alu instid0(VALU_DEP_1) | instskip(NEXT) | instid1(VALU_DEP_2)
	v_mul_lo_u32 v1, v1, s21
	v_mul_lo_u32 v6, v6, s23
	s_delay_alu instid0(VALU_DEP_1) | instskip(NEXT) | instid1(VALU_DEP_1)
	v_sub_nc_u32_e32 v1, v1, v6
	v_cmp_lt_u32_e64 s7, s39, v1
	s_and_b32 s46, s7, exec_lo
.LBB1792_23:
	s_or_b32 exec_lo, exec_lo, s8
	v_dual_add_nc_u32 v1, s17, v21 :: v_dual_add_nc_u32 v6, s19, v21
	s_mov_b32 s9, exec_lo
	s_delay_alu instid0(VALU_DEP_1) | instskip(NEXT) | instid1(VALU_DEP_2)
	v_mul_lo_u32 v1, v1, s16
	v_mul_lo_u32 v6, v6, s18
	s_delay_alu instid0(VALU_DEP_1) | instskip(NEXT) | instid1(VALU_DEP_1)
	v_sub_nc_u32_e32 v1, v1, v6
	v_cmp_lt_u32_e64 s7, s20, v1
	v_cmpx_ge_u32_e64 s20, v1
	s_cbranch_execz .LBB1792_25
; %bb.24:
	v_dual_add_nc_u32 v1, s22, v21 :: v_dual_add_nc_u32 v6, s38, v21
	s_delay_alu instid0(VALU_DEP_1) | instskip(NEXT) | instid1(VALU_DEP_2)
	v_mul_lo_u32 v1, v1, s21
	v_mul_lo_u32 v6, v6, s23
	s_delay_alu instid0(VALU_DEP_1) | instskip(NEXT) | instid1(VALU_DEP_1)
	v_sub_nc_u32_e32 v1, v1, v6
	v_cmp_lt_u32_e64 s8, s39, v1
	s_and_b32 s47, s8, exec_lo
.LBB1792_25:
	s_or_b32 exec_lo, exec_lo, s9
	v_dual_add_nc_u32 v1, s17, v18 :: v_dual_add_nc_u32 v6, s19, v18
	s_mov_b32 s50, 0
	s_mov_b32 s49, 0
	s_mov_b32 s10, exec_lo
	s_delay_alu instid0(VALU_DEP_1) | instskip(SKIP_1) | instid1(VALU_DEP_1)
	v_mul_lo_u32 v1, v1, s16
	v_mul_lo_u32 v6, v6, s18
	v_sub_nc_u32_e32 v1, v1, v6
	s_delay_alu instid0(VALU_DEP_1)
	v_cmp_lt_u32_e64 s8, s20, v1
	v_cmpx_ge_u32_e64 s20, v1
	s_cbranch_execz .LBB1792_27
; %bb.26:
	v_dual_add_nc_u32 v1, s22, v18 :: v_dual_add_nc_u32 v6, s38, v18
	s_delay_alu instid0(VALU_DEP_1) | instskip(NEXT) | instid1(VALU_DEP_2)
	v_mul_lo_u32 v1, v1, s21
	v_mul_lo_u32 v6, v6, s23
	s_delay_alu instid0(VALU_DEP_1) | instskip(NEXT) | instid1(VALU_DEP_1)
	v_sub_nc_u32_e32 v1, v1, v6
	v_cmp_lt_u32_e64 s9, s39, v1
	s_and_b32 s49, s9, exec_lo
.LBB1792_27:
	s_or_b32 exec_lo, exec_lo, s10
	v_dual_add_nc_u32 v1, s17, v19 :: v_dual_add_nc_u32 v6, s19, v19
	s_mov_b32 s11, exec_lo
	s_delay_alu instid0(VALU_DEP_1) | instskip(NEXT) | instid1(VALU_DEP_2)
	v_mul_lo_u32 v1, v1, s16
	v_mul_lo_u32 v6, v6, s18
	s_delay_alu instid0(VALU_DEP_1) | instskip(NEXT) | instid1(VALU_DEP_1)
	v_sub_nc_u32_e32 v1, v1, v6
	v_cmp_lt_u32_e64 s9, s20, v1
	v_cmpx_ge_u32_e64 s20, v1
	s_cbranch_execz .LBB1792_29
; %bb.28:
	v_dual_add_nc_u32 v1, s22, v19 :: v_dual_add_nc_u32 v6, s38, v19
	s_delay_alu instid0(VALU_DEP_1) | instskip(NEXT) | instid1(VALU_DEP_2)
	v_mul_lo_u32 v1, v1, s21
	v_mul_lo_u32 v6, v6, s23
	s_delay_alu instid0(VALU_DEP_1) | instskip(NEXT) | instid1(VALU_DEP_1)
	v_sub_nc_u32_e32 v1, v1, v6
	v_cmp_lt_u32_e64 s10, s39, v1
	s_and_b32 s50, s10, exec_lo
.LBB1792_29:
	s_or_b32 exec_lo, exec_lo, s11
	v_dual_add_nc_u32 v1, s17, v16 :: v_dual_add_nc_u32 v6, s19, v16
	s_mov_b32 s51, 0
	s_mov_b32 s52, 0
	s_mov_b32 s12, exec_lo
	s_delay_alu instid0(VALU_DEP_1) | instskip(SKIP_1) | instid1(VALU_DEP_1)
	v_mul_lo_u32 v1, v1, s16
	v_mul_lo_u32 v6, v6, s18
	v_sub_nc_u32_e32 v1, v1, v6
	s_delay_alu instid0(VALU_DEP_1)
	v_cmp_lt_u32_e64 s10, s20, v1
	v_cmpx_ge_u32_e64 s20, v1
	s_cbranch_execz .LBB1792_31
; %bb.30:
	v_dual_add_nc_u32 v1, s22, v16 :: v_dual_add_nc_u32 v6, s38, v16
	s_delay_alu instid0(VALU_DEP_1) | instskip(NEXT) | instid1(VALU_DEP_2)
	v_mul_lo_u32 v1, v1, s21
	v_mul_lo_u32 v6, v6, s23
	s_delay_alu instid0(VALU_DEP_1) | instskip(NEXT) | instid1(VALU_DEP_1)
	v_sub_nc_u32_e32 v1, v1, v6
	v_cmp_lt_u32_e64 s11, s39, v1
	s_and_b32 s52, s11, exec_lo
.LBB1792_31:
	s_or_b32 exec_lo, exec_lo, s12
	v_dual_add_nc_u32 v1, s17, v17 :: v_dual_add_nc_u32 v6, s19, v17
	s_mov_b32 s13, exec_lo
	s_delay_alu instid0(VALU_DEP_1) | instskip(NEXT) | instid1(VALU_DEP_2)
	v_mul_lo_u32 v1, v1, s16
	v_mul_lo_u32 v6, v6, s18
	s_delay_alu instid0(VALU_DEP_1) | instskip(NEXT) | instid1(VALU_DEP_1)
	v_sub_nc_u32_e32 v1, v1, v6
	v_cmp_lt_u32_e64 s12, s20, v1
	v_cmpx_ge_u32_e64 s20, v1
	s_cbranch_execz .LBB1792_33
; %bb.32:
	v_dual_add_nc_u32 v1, s22, v17 :: v_dual_add_nc_u32 v6, s38, v17
	s_delay_alu instid0(VALU_DEP_1) | instskip(NEXT) | instid1(VALU_DEP_2)
	v_mul_lo_u32 v1, v1, s21
	v_mul_lo_u32 v6, v6, s23
	s_delay_alu instid0(VALU_DEP_1) | instskip(NEXT) | instid1(VALU_DEP_1)
	v_sub_nc_u32_e32 v1, v1, v6
	v_cmp_lt_u32_e64 s11, s39, v1
	s_and_b32 s51, s11, exec_lo
.LBB1792_33:
	s_or_b32 exec_lo, exec_lo, s13
	v_dual_add_nc_u32 v1, s17, v34 :: v_dual_add_nc_u32 v6, s19, v34
	s_mov_b32 s48, 0
	s_mov_b32 s53, 0
	s_mov_b32 s54, exec_lo
	s_delay_alu instid0(VALU_DEP_1) | instskip(SKIP_1) | instid1(VALU_DEP_1)
	v_mul_lo_u32 v1, v1, s16
	v_mul_lo_u32 v6, v6, s18
	v_sub_nc_u32_e32 v1, v1, v6
	s_delay_alu instid0(VALU_DEP_1)
	v_cmp_lt_u32_e64 s11, s20, v1
	v_cmpx_ge_u32_e64 s20, v1
	s_cbranch_execz .LBB1792_35
; %bb.34:
	v_dual_add_nc_u32 v1, s22, v34 :: v_dual_add_nc_u32 v6, s38, v34
	s_delay_alu instid0(VALU_DEP_1) | instskip(NEXT) | instid1(VALU_DEP_2)
	v_mul_lo_u32 v1, v1, s21
	v_mul_lo_u32 v6, v6, s23
	s_delay_alu instid0(VALU_DEP_1) | instskip(NEXT) | instid1(VALU_DEP_1)
	v_sub_nc_u32_e32 v1, v1, v6
	v_cmp_lt_u32_e64 s13, s39, v1
	s_and_b32 s53, s13, exec_lo
.LBB1792_35:
	s_or_b32 exec_lo, exec_lo, s54
	v_cndmask_b32_e64 v6, 0, 1, s0
	v_cndmask_b32_e64 v8, 0, 1, s3
	v_cndmask_b32_e64 v1, 0, 1, vcc_lo
	v_cndmask_b32_e64 v7, 0, 1, s1
	v_cndmask_b32_e64 v10, 0, 1, s5
	v_lshlrev_b16 v6, 8, v6
	v_lshlrev_b16 v8, 8, v8
	v_cndmask_b32_e64 v12, 0, 1, s7
	v_cndmask_b32_e64 v28, 0, 1, s9
	;; [unrolled: 1-line block ×3, first 2 shown]
	v_or_b32_e32 v1, v1, v6
	v_or_b32_e32 v6, v7, v8
	v_cndmask_b32_e64 v8, 0, 1, s42
	v_cndmask_b32_e64 v9, 0, 1, s4
	;; [unrolled: 1-line block ×4, first 2 shown]
	v_lshlrev_b32_e32 v6, 16, v6
	v_and_b32_e32 v1, 0xffff, v1
	v_cndmask_b32_e64 v38, 0, 1, s46
	v_cndmask_b32_e64 v41, 0, 1, s44
	;; [unrolled: 1-line block ×4, first 2 shown]
	v_or_b32_e32 v36, v1, v6
	v_lshlrev_b16 v1, 8, v10
	v_lshlrev_b16 v6, 8, v12
	;; [unrolled: 1-line block ×5, first 2 shown]
	v_cndmask_b32_e64 v11, 0, 1, s6
	v_cndmask_b32_e64 v30, 0, 1, s52
	;; [unrolled: 1-line block ×6, first 2 shown]
	v_lshlrev_b16 v28, 8, v44
	v_or_b32_e32 v8, v42, v8
	v_or_b32_e32 v1, v9, v1
	;; [unrolled: 1-line block ×4, first 2 shown]
	v_lshlrev_b16 v12, 8, v41
	v_lshlrev_b16 v13, 8, v38
	v_cndmask_b32_e64 v32, 0, 1, s50
	v_cndmask_b32_e64 v37, 0, 1, s47
	v_lshlrev_b16 v29, 8, v30
	v_or_b32_e32 v7, v7, v12
	v_or_b32_e32 v12, v40, v13
	;; [unrolled: 1-line block ×4, first 2 shown]
	v_lshlrev_b16 v28, 8, v33
	v_dual_lshlrev_b32 v10, 16, v10 :: v_dual_lshlrev_b32 v8, 16, v8
	v_and_b32_e32 v1, 0xffff, v1
	s_delay_alu instid0(VALU_DEP_4) | instskip(NEXT) | instid1(VALU_DEP_4)
	v_and_b32_e32 v11, 0xffff, v11
	v_or_b32_e32 v13, v37, v28
	v_or_b32_e32 v28, v32, v29
	v_and_b32_e32 v7, 0xffff, v7
	v_dual_lshlrev_b32 v12, 16, v12 :: v_dual_lshlrev_b32 v6, 16, v6
	s_delay_alu instid0(VALU_DEP_4) | instskip(NEXT) | instid1(VALU_DEP_4)
	v_and_b32_e32 v13, 0xffff, v13
	v_lshlrev_b32_e32 v28, 16, v28
	v_and_b32_e32 v9, 0xffff, v9
	v_cndmask_b32_e64 v39, 0, 1, s51
	v_cndmask_b32_e64 v43, 0, 1, s53
	v_or_b32_e32 v38, v1, v6
	v_or_b32_e32 v42, v11, v8
	;; [unrolled: 1-line block ×5, first 2 shown]
	s_and_b32 vcc_lo, exec_lo, s48
	s_add_co_i32 s5, s33, 0xd00
	s_cbranch_vccnz .LBB1792_37
	s_branch .LBB1792_114
.LBB1792_36:
                                        ; implicit-def: $vgpr43
                                        ; implicit-def: $vgpr39
                                        ; implicit-def: $vgpr40
                                        ; implicit-def: $vgpr37
                                        ; implicit-def: $vgpr42
                                        ; implicit-def: $vgpr41
                                        ; implicit-def: $vgpr38
                                        ; implicit-def: $vgpr36
	s_add_co_i32 s5, s33, 0xd00
	s_cbranch_execz .LBB1792_114
.LBB1792_37:
	v_dual_mov_b32 v6, 0 :: v_dual_mov_b32 v1, 0
	s_mov_b32 s1, exec_lo
	v_cmpx_gt_u32_e64 s5, v15
	s_cbranch_execz .LBB1792_41
; %bb.38:
	v_dual_add_nc_u32 v1, s17, v26 :: v_dual_add_nc_u32 v6, s19, v26
	s_mov_b32 s4, 0
	s_mov_b32 s3, exec_lo
	s_delay_alu instid0(VALU_DEP_1) | instskip(NEXT) | instid1(VALU_DEP_2)
	v_mul_lo_u32 v1, v1, s16
	v_mul_lo_u32 v6, v6, s18
	s_delay_alu instid0(VALU_DEP_1) | instskip(NEXT) | instid1(VALU_DEP_1)
	v_sub_nc_u32_e32 v1, v1, v6
	v_cmp_lt_u32_e32 vcc_lo, s20, v1
	v_cmpx_ge_u32_e64 s20, v1
	s_cbranch_execz .LBB1792_40
; %bb.39:
	v_dual_add_nc_u32 v1, s22, v26 :: v_dual_add_nc_u32 v6, s38, v26
	s_delay_alu instid0(VALU_DEP_1) | instskip(NEXT) | instid1(VALU_DEP_2)
	v_mul_lo_u32 v1, v1, s21
	v_mul_lo_u32 v6, v6, s23
	s_delay_alu instid0(VALU_DEP_1) | instskip(NEXT) | instid1(VALU_DEP_1)
	v_sub_nc_u32_e32 v1, v1, v6
	v_cmp_lt_u32_e64 s0, s39, v1
	s_and_b32 s4, s0, exec_lo
.LBB1792_40:
	s_or_b32 exec_lo, exec_lo, s3
	v_cndmask_b32_e64 v6, 0, 1, s4
	v_cndmask_b32_e64 v1, 0, 1, vcc_lo
.LBB1792_41:
	s_or_b32 exec_lo, exec_lo, s1
	s_delay_alu instid0(VALU_DEP_2) | instskip(SKIP_1) | instid1(VALU_DEP_2)
	v_lshlrev_b16 v6, 8, v6
	v_lshlrev_b16 v13, 8, 0
                                        ; implicit-def: $vgpr9
                                        ; implicit-def: $vgpr11
                                        ; implicit-def: $vgpr8
                                        ; implicit-def: $vgpr12
	v_and_b32_e32 v10, 0xffff, v6
	v_add_nc_u32_e32 v7, 1, v15
                                        ; implicit-def: $vgpr6
	s_delay_alu instid0(VALU_DEP_2) | instskip(NEXT) | instid1(VALU_DEP_2)
	v_lshrrev_b32_e32 v28, 8, v10
	v_cmp_le_u32_e32 vcc_lo, s5, v7
                                        ; implicit-def: $vgpr7
	s_and_saveexec_b32 s0, vcc_lo
	s_delay_alu instid0(SALU_CYCLE_1)
	s_xor_b32 s0, exec_lo, s0
	s_cbranch_execz .LBB1792_43
; %bb.42:
	v_lshlrev_b16 v6, 8, v28
	v_bitop3_b16 v7, 0, v13, 0xff bitop3:0xec
	v_and_b32_e32 v12, 0xff, v1
                                        ; implicit-def: $vgpr1
                                        ; implicit-def: $vgpr13
                                        ; implicit-def: $vgpr28
	v_mov_b32_e32 v9, 0
	s_delay_alu instid0(VALU_DEP_4) | instskip(SKIP_3) | instid1(VALU_DEP_4)
	v_bitop3_b16 v10, v10, v6, 0xff bitop3:0xec
	v_mov_b32_e32 v6, 0
	v_and_b32_e32 v8, 0xffff, v7
	v_and_b32_e32 v7, 0xffff, v7
	;; [unrolled: 1-line block ×3, first 2 shown]
                                        ; implicit-def: $vgpr10
.LBB1792_43:
	s_and_not1_saveexec_b32 s1, s0
	s_cbranch_execz .LBB1792_47
; %bb.44:
	v_dual_add_nc_u32 v6, s17, v27 :: v_dual_add_nc_u32 v7, s19, v27
	s_mov_b32 s3, 0
	s_mov_b32 s4, exec_lo
	s_delay_alu instid0(VALU_DEP_1) | instskip(NEXT) | instid1(VALU_DEP_2)
	v_mul_lo_u32 v6, v6, s16
	v_mul_lo_u32 v7, v7, s18
	s_delay_alu instid0(VALU_DEP_1) | instskip(NEXT) | instid1(VALU_DEP_1)
	v_sub_nc_u32_e32 v6, v6, v7
	v_cmp_lt_u32_e32 vcc_lo, s20, v6
	v_cmpx_ge_u32_e64 s20, v6
	s_cbranch_execz .LBB1792_46
; %bb.45:
	v_dual_add_nc_u32 v6, s22, v27 :: v_dual_add_nc_u32 v7, s38, v27
	s_delay_alu instid0(VALU_DEP_1) | instskip(NEXT) | instid1(VALU_DEP_2)
	v_mul_lo_u32 v6, v6, s21
	v_mul_lo_u32 v7, v7, s23
	s_delay_alu instid0(VALU_DEP_1) | instskip(NEXT) | instid1(VALU_DEP_1)
	v_sub_nc_u32_e32 v6, v6, v7
	v_cmp_lt_u32_e64 s0, s39, v6
	s_and_b32 s3, s0, exec_lo
.LBB1792_46:
	s_or_b32 exec_lo, exec_lo, s4
	v_cndmask_b32_e64 v6, 0, 1, vcc_lo
	v_lshlrev_b16 v7, 8, v28
	v_cndmask_b32_e64 v11, 0, 1, s3
	v_mov_b32_e32 v9, 0
	s_delay_alu instid0(VALU_DEP_4) | instskip(NEXT) | instid1(VALU_DEP_4)
	v_lshlrev_b16 v6, 8, v6
	v_bitop3_b16 v7, v10, v7, 0xff bitop3:0xec
	v_bitop3_b16 v10, 0, v13, 0xff bitop3:0xec
	s_delay_alu instid0(VALU_DEP_3) | instskip(NEXT) | instid1(VALU_DEP_3)
	v_bitop3_b16 v1, v1, v6, 0xff bitop3:0xec
	v_and_b32_e32 v7, 0xffff, v7
	v_mov_b32_e32 v6, 0
	s_delay_alu instid0(VALU_DEP_4) | instskip(NEXT) | instid1(VALU_DEP_4)
	v_and_b32_e32 v8, 0xffff, v10
	v_and_b32_e32 v12, 0xffff, v1
	s_delay_alu instid0(VALU_DEP_4)
	v_lshl_or_b32 v11, v11, 16, v7
	v_and_b32_e32 v7, 0xffff, v10
.LBB1792_47:
	s_or_b32 exec_lo, exec_lo, s1
	s_delay_alu instid0(VALU_DEP_3) | instskip(NEXT) | instid1(VALU_DEP_1)
	v_dual_add_nc_u32 v1, 2, v15 :: v_dual_lshrrev_b32 v13, 8, v12
                                        ; implicit-def: $vgpr10
	v_cmp_le_u32_e32 vcc_lo, s5, v1
                                        ; implicit-def: $vgpr1
	s_and_saveexec_b32 s0, vcc_lo
	s_delay_alu instid0(SALU_CYCLE_1)
	s_xor_b32 s0, exec_lo, s0
	s_cbranch_execz .LBB1792_49
; %bb.48:
	v_lshlrev_b16 v1, 8, v13
	v_and_b32_e32 v13, 0xff0000, v11
	v_perm_b32 v8, v8, v8, 0x3060504
	s_delay_alu instid0(VALU_DEP_3) | instskip(NEXT) | instid1(VALU_DEP_1)
	v_bitop3_b16 v1, v12, v1, 0xff bitop3:0xec
	v_and_b32_e32 v1, 0xffff, v1
	s_delay_alu instid0(VALU_DEP_1)
	v_and_or_b32 v10, 0xff000000, v12, v1
	v_perm_b32 v1, v11, v13, 0x3020504
                                        ; implicit-def: $vgpr13
                                        ; implicit-def: $vgpr12
                                        ; implicit-def: $vgpr11
.LBB1792_49:
	s_and_not1_saveexec_b32 s1, s0
	s_cbranch_execz .LBB1792_53
; %bb.50:
	v_dual_add_nc_u32 v1, s17, v24 :: v_dual_add_nc_u32 v10, s19, v24
	s_mov_b32 s3, 0
	s_mov_b32 s4, exec_lo
	s_delay_alu instid0(VALU_DEP_1) | instskip(NEXT) | instid1(VALU_DEP_2)
	v_mul_lo_u32 v1, v1, s16
	v_mul_lo_u32 v10, v10, s18
	s_delay_alu instid0(VALU_DEP_1) | instskip(NEXT) | instid1(VALU_DEP_1)
	v_sub_nc_u32_e32 v1, v1, v10
	v_cmp_lt_u32_e32 vcc_lo, s20, v1
	v_cmpx_ge_u32_e64 s20, v1
	s_cbranch_execz .LBB1792_52
; %bb.51:
	v_dual_add_nc_u32 v1, s22, v24 :: v_dual_add_nc_u32 v10, s38, v24
	s_delay_alu instid0(VALU_DEP_1) | instskip(NEXT) | instid1(VALU_DEP_2)
	v_mul_lo_u32 v1, v1, s21
	v_mul_lo_u32 v10, v10, s23
	s_delay_alu instid0(VALU_DEP_1) | instskip(NEXT) | instid1(VALU_DEP_1)
	v_sub_nc_u32_e32 v1, v1, v10
	v_cmp_lt_u32_e64 s0, s39, v1
	s_and_b32 s3, s0, exec_lo
.LBB1792_52:
	s_or_b32 exec_lo, exec_lo, s4
	v_dual_lshrrev_b32 v1, 24, v12 :: v_dual_lshrrev_b32 v29, 8, v11
	v_cndmask_b32_e64 v10, 0, 1, s3
	v_cndmask_b32_e64 v28, 0, 1, vcc_lo
	v_lshlrev_b16 v13, 8, v13
	s_delay_alu instid0(VALU_DEP_4)
	v_lshlrev_b16 v1, 8, v1
	v_lshrrev_b32_e32 v30, 16, v11
	v_lshlrev_b16 v10, 8, v10
	v_lshlrev_b16 v29, 8, v29
	v_bitop3_b16 v12, v12, v13, 0xff bitop3:0xec
	v_or_b32_e32 v1, v28, v1
	s_delay_alu instid0(VALU_DEP_4) | instskip(NEXT) | instid1(VALU_DEP_4)
	v_bitop3_b16 v10, v30, v10, 0xff bitop3:0xec
	v_bitop3_b16 v11, v11, v29, 0xff bitop3:0xec
	s_delay_alu instid0(VALU_DEP_4) | instskip(NEXT) | instid1(VALU_DEP_3)
	v_and_b32_e32 v12, 0xffff, v12
	v_dual_lshlrev_b32 v1, 16, v1 :: v_dual_lshlrev_b32 v13, 16, v10
	s_delay_alu instid0(VALU_DEP_3) | instskip(NEXT) | instid1(VALU_DEP_2)
	v_and_b32_e32 v11, 0xffff, v11
	v_or_b32_e32 v10, v12, v1
	s_delay_alu instid0(VALU_DEP_2)
	v_or_b32_e32 v1, v11, v13
.LBB1792_53:
	s_or_b32 exec_lo, exec_lo, s1
	v_dual_add_nc_u32 v12, 3, v15 :: v_dual_lshrrev_b32 v13, 24, v9
	v_lshrrev_b32_e32 v11, 16, v9
                                        ; implicit-def: $vgpr36
	s_delay_alu instid0(VALU_DEP_2) | instskip(SKIP_2) | instid1(SALU_CYCLE_1)
	v_cmp_le_u32_e32 vcc_lo, s5, v12
	v_lshrrev_b32_e32 v12, 8, v9
                                        ; implicit-def: $vgpr9
	s_and_saveexec_b32 s0, vcc_lo
	s_xor_b32 s0, exec_lo, s0
	s_cbranch_execz .LBB1792_55
; %bb.54:
	v_lshlrev_b16 v9, 8, v13
	v_lshlrev_b16 v12, 8, v12
	v_perm_b32 v8, v8, v8, 0x3060504
	v_perm_b32 v7, v7, v7, 0x3060504
                                        ; implicit-def: $vgpr13
	s_delay_alu instid0(VALU_DEP_4) | instskip(SKIP_2) | instid1(VALU_DEP_3)
	v_bitop3_b16 v9, v11, v9, 0xff bitop3:0xec
	v_and_b32_e32 v11, 0xff0000, v10
	v_and_b32_e32 v12, 0xffff, v12
	v_lshlrev_b32_e32 v9, 16, v9
	s_delay_alu instid0(VALU_DEP_3) | instskip(NEXT) | instid1(VALU_DEP_2)
	v_perm_b32 v36, v10, v11, 0x3020504
                                        ; implicit-def: $vgpr10
                                        ; implicit-def: $vgpr11
	v_or_b32_e32 v9, v12, v9
                                        ; implicit-def: $vgpr12
.LBB1792_55:
	s_and_not1_saveexec_b32 s1, s0
	s_cbranch_execz .LBB1792_59
; %bb.56:
	v_dual_add_nc_u32 v9, s17, v25 :: v_dual_add_nc_u32 v28, s19, v25
	s_mov_b32 s3, 0
	s_mov_b32 s4, exec_lo
	s_delay_alu instid0(VALU_DEP_1) | instskip(NEXT) | instid1(VALU_DEP_2)
	v_mul_lo_u32 v9, v9, s16
	v_mul_lo_u32 v28, v28, s18
	s_delay_alu instid0(VALU_DEP_1) | instskip(NEXT) | instid1(VALU_DEP_1)
	v_sub_nc_u32_e32 v9, v9, v28
	v_cmp_lt_u32_e32 vcc_lo, s20, v9
	v_cmpx_ge_u32_e64 s20, v9
	s_cbranch_execz .LBB1792_58
; %bb.57:
	v_dual_add_nc_u32 v9, s22, v25 :: v_dual_add_nc_u32 v28, s38, v25
	s_delay_alu instid0(VALU_DEP_1) | instskip(NEXT) | instid1(VALU_DEP_2)
	v_mul_lo_u32 v9, v9, s21
	v_mul_lo_u32 v28, v28, s23
	s_delay_alu instid0(VALU_DEP_1) | instskip(NEXT) | instid1(VALU_DEP_1)
	v_sub_nc_u32_e32 v9, v9, v28
	v_cmp_lt_u32_e64 s0, s39, v9
	s_and_b32 s3, s0, exec_lo
.LBB1792_58:
	s_or_b32 exec_lo, exec_lo, s4
	v_cndmask_b32_e64 v9, 0, 1, vcc_lo
	v_dual_lshrrev_b32 v28, 8, v10 :: v_dual_lshrrev_b32 v30, 16, v10
	v_cndmask_b32_e64 v29, 0, 1, s3
	v_lshlrev_b16 v13, 8, v13
	s_delay_alu instid0(VALU_DEP_4) | instskip(NEXT) | instid1(VALU_DEP_4)
	v_lshlrev_b16 v9, 8, v9
	v_lshlrev_b16 v28, 8, v28
	;; [unrolled: 1-line block ×3, first 2 shown]
	s_delay_alu instid0(VALU_DEP_4) | instskip(NEXT) | instid1(VALU_DEP_4)
	v_bitop3_b16 v11, v11, v13, 0xff bitop3:0xec
	v_bitop3_b16 v9, v30, v9, 0xff bitop3:0xec
	s_delay_alu instid0(VALU_DEP_4) | instskip(NEXT) | instid1(VALU_DEP_3)
	v_bitop3_b16 v10, v10, v28, 0xff bitop3:0xec
	v_dual_lshlrev_b32 v11, 16, v11 :: v_dual_bitop2_b32 v12, v29, v12 bitop3:0x54
	s_delay_alu instid0(VALU_DEP_3) | instskip(NEXT) | instid1(VALU_DEP_3)
	v_lshlrev_b32_e32 v9, 16, v9
	v_and_b32_e32 v10, 0xffff, v10
	s_delay_alu instid0(VALU_DEP_3) | instskip(NEXT) | instid1(VALU_DEP_2)
	v_and_b32_e32 v12, 0xffff, v12
	v_or_b32_e32 v36, v10, v9
	s_delay_alu instid0(VALU_DEP_2)
	v_or_b32_e32 v9, v12, v11
.LBB1792_59:
	s_or_b32 exec_lo, exec_lo, s1
	v_dual_add_nc_u32 v10, 4, v15 :: v_dual_lshrrev_b32 v28, 8, v8
	v_dual_lshrrev_b32 v11, 16, v8 :: v_dual_lshrrev_b32 v29, 24, v8
	s_delay_alu instid0(VALU_DEP_3) | instskip(NEXT) | instid1(VALU_DEP_3)
	v_dual_lshrrev_b32 v13, 24, v9 :: v_dual_lshrrev_b32 v12, 16, v9
	v_cmp_le_u32_e32 vcc_lo, s5, v10
                                        ; implicit-def: $vgpr8
                                        ; implicit-def: $vgpr10
	s_and_saveexec_b32 s0, vcc_lo
	s_delay_alu instid0(SALU_CYCLE_1)
	s_xor_b32 s0, exec_lo, s0
	s_cbranch_execz .LBB1792_61
; %bb.60:
	v_lshlrev_b16 v8, 8, v29
	v_lshlrev_b16 v10, 8, v28
	;; [unrolled: 1-line block ×3, first 2 shown]
	v_perm_b32 v7, v7, v7, 0x3060504
                                        ; implicit-def: $vgpr28
                                        ; implicit-def: $vgpr29
	s_delay_alu instid0(VALU_DEP_4) | instskip(NEXT) | instid1(VALU_DEP_4)
	v_bitop3_b16 v8, v11, v8, 0xff bitop3:0xec
	v_and_b32_e32 v10, 0xffff, v10
	s_delay_alu instid0(VALU_DEP_4) | instskip(NEXT) | instid1(VALU_DEP_3)
	v_bitop3_b16 v11, v12, v13, 0xff bitop3:0xec
                                        ; implicit-def: $vgpr13
	v_lshlrev_b32_e32 v12, 16, v8
	s_delay_alu instid0(VALU_DEP_2) | instskip(NEXT) | instid1(VALU_DEP_2)
	v_perm_b32 v8, v11, v9, 0x5040c00
                                        ; implicit-def: $vgpr9
                                        ; implicit-def: $vgpr11
	v_or_b32_e32 v10, v10, v12
                                        ; implicit-def: $vgpr12
.LBB1792_61:
	s_and_not1_saveexec_b32 s1, s0
	s_cbranch_execz .LBB1792_65
; %bb.62:
	v_dual_add_nc_u32 v8, s17, v22 :: v_dual_add_nc_u32 v10, s19, v22
	s_mov_b32 s3, 0
	s_mov_b32 s4, exec_lo
	s_delay_alu instid0(VALU_DEP_1) | instskip(NEXT) | instid1(VALU_DEP_2)
	v_mul_lo_u32 v8, v8, s16
	v_mul_lo_u32 v10, v10, s18
	s_delay_alu instid0(VALU_DEP_1) | instskip(NEXT) | instid1(VALU_DEP_1)
	v_sub_nc_u32_e32 v8, v8, v10
	v_cmp_lt_u32_e32 vcc_lo, s20, v8
	v_cmpx_ge_u32_e64 s20, v8
	s_cbranch_execz .LBB1792_64
; %bb.63:
	v_dual_add_nc_u32 v8, s22, v22 :: v_dual_add_nc_u32 v10, s38, v22
	s_delay_alu instid0(VALU_DEP_1) | instskip(NEXT) | instid1(VALU_DEP_2)
	v_mul_lo_u32 v8, v8, s21
	v_mul_lo_u32 v10, v10, s23
	s_delay_alu instid0(VALU_DEP_1) | instskip(NEXT) | instid1(VALU_DEP_1)
	v_sub_nc_u32_e32 v8, v8, v10
	v_cmp_lt_u32_e64 s0, s39, v8
	s_and_b32 s3, s0, exec_lo
.LBB1792_64:
	s_or_b32 exec_lo, exec_lo, s4
	v_cndmask_b32_e64 v8, 0, 1, s3
	v_cndmask_b32_e64 v10, 0, 1, vcc_lo
	v_lshlrev_b16 v29, 8, v29
	v_lshlrev_b16 v28, 8, v28
	;; [unrolled: 1-line block ×4, first 2 shown]
	s_delay_alu instid0(VALU_DEP_4) | instskip(NEXT) | instid1(VALU_DEP_4)
	v_bitop3_b16 v11, v11, v29, 0xff bitop3:0xec
	v_or_b32_e32 v10, v10, v28
	s_delay_alu instid0(VALU_DEP_4) | instskip(NEXT) | instid1(VALU_DEP_4)
	v_bitop3_b16 v12, v12, v13, 0xff bitop3:0xec
	v_bitop3_b16 v8, v9, v8, 0xff bitop3:0xec
	s_delay_alu instid0(VALU_DEP_4) | instskip(NEXT) | instid1(VALU_DEP_4)
	v_lshlrev_b32_e32 v9, 16, v11
	v_and_b32_e32 v10, 0xffff, v10
	s_delay_alu instid0(VALU_DEP_4) | instskip(NEXT) | instid1(VALU_DEP_4)
	v_lshlrev_b32_e32 v11, 16, v12
	v_and_b32_e32 v8, 0xffff, v8
	s_delay_alu instid0(VALU_DEP_3) | instskip(NEXT) | instid1(VALU_DEP_2)
	v_or_b32_e32 v10, v10, v9
	v_or_b32_e32 v8, v8, v11
.LBB1792_65:
	s_or_b32 exec_lo, exec_lo, s1
	s_delay_alu instid0(VALU_DEP_1) | instskip(NEXT) | instid1(VALU_DEP_2)
	v_dual_add_nc_u32 v9, 5, v15 :: v_dual_lshrrev_b32 v12, 16, v10
	v_dual_lshrrev_b32 v13, 24, v10 :: v_dual_lshrrev_b32 v28, 8, v8
                                        ; implicit-def: $vgpr11
	s_delay_alu instid0(VALU_DEP_2) | instskip(SKIP_1) | instid1(SALU_CYCLE_1)
	v_cmp_le_u32_e32 vcc_lo, s5, v9
                                        ; implicit-def: $vgpr9
	s_and_saveexec_b32 s0, vcc_lo
	s_xor_b32 s0, exec_lo, s0
	s_cbranch_execz .LBB1792_67
; %bb.66:
	v_lshlrev_b16 v9, 8, v28
	v_lshlrev_b16 v11, 8, v13
	v_perm_b32 v7, v7, v7, 0x3060504
                                        ; implicit-def: $vgpr13
                                        ; implicit-def: $vgpr28
	s_delay_alu instid0(VALU_DEP_3) | instskip(NEXT) | instid1(VALU_DEP_3)
	v_bitop3_b16 v9, v8, v9, 0xff bitop3:0xec
	v_bitop3_b16 v11, v12, v11, 0xff bitop3:0xec
                                        ; implicit-def: $vgpr12
	s_delay_alu instid0(VALU_DEP_2) | instskip(NEXT) | instid1(VALU_DEP_2)
	v_and_b32_e32 v9, 0xffff, v9
	v_perm_b32 v11, v11, v10, 0x5040c00
                                        ; implicit-def: $vgpr10
	s_delay_alu instid0(VALU_DEP_2)
	v_and_or_b32 v9, 0xff000000, v8, v9
                                        ; implicit-def: $vgpr8
.LBB1792_67:
	s_and_not1_saveexec_b32 s1, s0
	s_cbranch_execz .LBB1792_71
; %bb.68:
	v_dual_add_nc_u32 v9, s17, v23 :: v_dual_add_nc_u32 v11, s19, v23
	s_mov_b32 s3, 0
	s_mov_b32 s4, exec_lo
	s_delay_alu instid0(VALU_DEP_1) | instskip(NEXT) | instid1(VALU_DEP_2)
	v_mul_lo_u32 v9, v9, s16
	v_mul_lo_u32 v11, v11, s18
	s_delay_alu instid0(VALU_DEP_1) | instskip(NEXT) | instid1(VALU_DEP_1)
	v_sub_nc_u32_e32 v9, v9, v11
	v_cmp_lt_u32_e32 vcc_lo, s20, v9
	v_cmpx_ge_u32_e64 s20, v9
	s_cbranch_execz .LBB1792_70
; %bb.69:
	v_dual_add_nc_u32 v9, s22, v23 :: v_dual_add_nc_u32 v11, s38, v23
	s_delay_alu instid0(VALU_DEP_1) | instskip(NEXT) | instid1(VALU_DEP_2)
	v_mul_lo_u32 v9, v9, s21
	v_mul_lo_u32 v11, v11, s23
	s_delay_alu instid0(VALU_DEP_1) | instskip(NEXT) | instid1(VALU_DEP_1)
	v_sub_nc_u32_e32 v9, v9, v11
	v_cmp_lt_u32_e64 s0, s39, v9
	s_and_b32 s3, s0, exec_lo
.LBB1792_70:
	s_or_b32 exec_lo, exec_lo, s4
	v_cndmask_b32_e64 v9, 0, 1, vcc_lo
	v_lshrrev_b32_e32 v11, 24, v8
	v_cndmask_b32_e64 v29, 0, 1, s3
	v_lshlrev_b16 v13, 8, v13
	v_lshlrev_b16 v28, 8, v28
	;; [unrolled: 1-line block ×4, first 2 shown]
	s_delay_alu instid0(VALU_DEP_4) | instskip(NEXT) | instid1(VALU_DEP_4)
	v_bitop3_b16 v12, v12, v13, 0xff bitop3:0xec
	v_bitop3_b16 v8, v8, v28, 0xff bitop3:0xec
	s_delay_alu instid0(VALU_DEP_4) | instskip(NEXT) | instid1(VALU_DEP_3)
	v_bitop3_b16 v9, v10, v9, 0xff bitop3:0xec
	v_dual_lshlrev_b32 v11, 16, v12 :: v_dual_bitop2_b32 v10, v29, v11 bitop3:0x54
	s_delay_alu instid0(VALU_DEP_3) | instskip(NEXT) | instid1(VALU_DEP_3)
	v_and_b32_e32 v8, 0xffff, v8
	v_and_b32_e32 v9, 0xffff, v9
	s_delay_alu instid0(VALU_DEP_1) | instskip(NEXT) | instid1(VALU_DEP_1)
	v_dual_lshlrev_b32 v10, 16, v10 :: v_dual_bitop2_b32 v11, v9, v11 bitop3:0x54
	v_or_b32_e32 v9, v8, v10
.LBB1792_71:
	s_or_b32 exec_lo, exec_lo, s1
	v_add_nc_u32_e32 v8, 6, v15
	s_delay_alu instid0(VALU_DEP_3) | instskip(NEXT) | instid1(VALU_DEP_2)
	v_lshrrev_b32_e32 v10, 8, v11
                                        ; implicit-def: $vgpr37
	v_cmp_le_u32_e32 vcc_lo, s5, v8
                                        ; implicit-def: $vgpr8
	s_and_saveexec_b32 s0, vcc_lo
	s_delay_alu instid0(SALU_CYCLE_1)
	s_xor_b32 s0, exec_lo, s0
	s_cbranch_execz .LBB1792_73
; %bb.72:
	v_lshlrev_b16 v8, 8, v10
	v_and_b32_e32 v10, 0xff0000, v9
	v_perm_b32 v7, v7, v7, 0x3060504
	s_delay_alu instid0(VALU_DEP_3) | instskip(NEXT) | instid1(VALU_DEP_3)
	v_bitop3_b16 v8, v11, v8, 0xff bitop3:0xec
	v_perm_b32 v37, v9, v10, 0x3020504
                                        ; implicit-def: $vgpr10
                                        ; implicit-def: $vgpr9
	s_delay_alu instid0(VALU_DEP_2) | instskip(NEXT) | instid1(VALU_DEP_1)
	v_and_b32_e32 v8, 0xffff, v8
	v_and_or_b32 v8, 0xff000000, v11, v8
                                        ; implicit-def: $vgpr11
.LBB1792_73:
	s_and_not1_saveexec_b32 s1, s0
	s_cbranch_execz .LBB1792_77
; %bb.74:
	v_dual_add_nc_u32 v8, s17, v20 :: v_dual_add_nc_u32 v12, s19, v20
	s_mov_b32 s3, 0
	s_mov_b32 s4, exec_lo
	s_delay_alu instid0(VALU_DEP_1) | instskip(NEXT) | instid1(VALU_DEP_2)
	v_mul_lo_u32 v8, v8, s16
	v_mul_lo_u32 v12, v12, s18
	s_delay_alu instid0(VALU_DEP_1) | instskip(NEXT) | instid1(VALU_DEP_1)
	v_sub_nc_u32_e32 v8, v8, v12
	v_cmp_lt_u32_e32 vcc_lo, s20, v8
	v_cmpx_ge_u32_e64 s20, v8
	s_cbranch_execz .LBB1792_76
; %bb.75:
	v_dual_add_nc_u32 v8, s22, v20 :: v_dual_add_nc_u32 v12, s38, v20
	s_delay_alu instid0(VALU_DEP_1) | instskip(NEXT) | instid1(VALU_DEP_2)
	v_mul_lo_u32 v8, v8, s21
	v_mul_lo_u32 v12, v12, s23
	s_delay_alu instid0(VALU_DEP_1) | instskip(NEXT) | instid1(VALU_DEP_1)
	v_sub_nc_u32_e32 v8, v8, v12
	v_cmp_lt_u32_e64 s0, s39, v8
	s_and_b32 s3, s0, exec_lo
.LBB1792_76:
	s_or_b32 exec_lo, exec_lo, s4
	v_dual_lshrrev_b32 v8, 24, v11 :: v_dual_lshrrev_b32 v28, 8, v9
	v_cndmask_b32_e64 v12, 0, 1, s3
	v_cndmask_b32_e64 v13, 0, 1, vcc_lo
	v_lshlrev_b16 v10, 8, v10
	s_delay_alu instid0(VALU_DEP_4)
	v_lshlrev_b16 v8, 8, v8
	v_lshrrev_b32_e32 v29, 16, v9
	v_lshlrev_b16 v12, 8, v12
	v_lshlrev_b16 v28, 8, v28
	v_bitop3_b16 v10, v11, v10, 0xff bitop3:0xec
	v_or_b32_e32 v8, v13, v8
	s_delay_alu instid0(VALU_DEP_4) | instskip(NEXT) | instid1(VALU_DEP_4)
	v_bitop3_b16 v11, v29, v12, 0xff bitop3:0xec
	v_bitop3_b16 v9, v9, v28, 0xff bitop3:0xec
	s_delay_alu instid0(VALU_DEP_4) | instskip(NEXT) | instid1(VALU_DEP_3)
	v_and_b32_e32 v10, 0xffff, v10
	v_dual_lshlrev_b32 v8, 16, v8 :: v_dual_lshlrev_b32 v11, 16, v11
	s_delay_alu instid0(VALU_DEP_3) | instskip(NEXT) | instid1(VALU_DEP_2)
	v_and_b32_e32 v9, 0xffff, v9
	v_or_b32_e32 v8, v10, v8
	s_delay_alu instid0(VALU_DEP_2)
	v_or_b32_e32 v37, v9, v11
.LBB1792_77:
	s_or_b32 exec_lo, exec_lo, s1
	v_add_nc_u32_e32 v11, 7, v15
	v_dual_lshrrev_b32 v9, 8, v7 :: v_dual_lshrrev_b32 v10, 16, v7
                                        ; implicit-def: $vgpr38
	s_delay_alu instid0(VALU_DEP_2) | instskip(SKIP_2) | instid1(SALU_CYCLE_1)
	v_cmp_le_u32_e32 vcc_lo, s5, v11
	v_lshrrev_b32_e32 v11, 24, v7
                                        ; implicit-def: $vgpr7
	s_and_saveexec_b32 s0, vcc_lo
	s_xor_b32 s0, exec_lo, s0
	s_cbranch_execz .LBB1792_79
; %bb.78:
	s_delay_alu instid0(VALU_DEP_1) | instskip(SKIP_1) | instid1(VALU_DEP_2)
	v_lshlrev_b16 v7, 8, v11
	v_lshlrev_b16 v9, 8, v9
                                        ; implicit-def: $vgpr11
	v_bitop3_b16 v7, v10, v7, 0xff bitop3:0xec
	v_and_b32_e32 v10, 0xff0000, v8
	s_delay_alu instid0(VALU_DEP_3) | instskip(NEXT) | instid1(VALU_DEP_3)
	v_and_b32_e32 v9, 0xffff, v9
	v_lshlrev_b32_e32 v7, 16, v7
	s_delay_alu instid0(VALU_DEP_3) | instskip(NEXT) | instid1(VALU_DEP_2)
	v_perm_b32 v38, v8, v10, 0x3020504
                                        ; implicit-def: $vgpr8
                                        ; implicit-def: $vgpr10
	v_or_b32_e32 v7, v9, v7
                                        ; implicit-def: $vgpr9
.LBB1792_79:
	s_and_not1_saveexec_b32 s1, s0
	s_cbranch_execz .LBB1792_83
; %bb.80:
	v_dual_add_nc_u32 v7, s17, v21 :: v_dual_add_nc_u32 v12, s19, v21
	s_mov_b32 s3, 0
	s_mov_b32 s4, exec_lo
	s_delay_alu instid0(VALU_DEP_1) | instskip(NEXT) | instid1(VALU_DEP_2)
	v_mul_lo_u32 v7, v7, s16
	v_mul_lo_u32 v12, v12, s18
	s_delay_alu instid0(VALU_DEP_1) | instskip(NEXT) | instid1(VALU_DEP_1)
	v_sub_nc_u32_e32 v7, v7, v12
	v_cmp_lt_u32_e32 vcc_lo, s20, v7
	v_cmpx_ge_u32_e64 s20, v7
	s_cbranch_execz .LBB1792_82
; %bb.81:
	v_dual_add_nc_u32 v7, s22, v21 :: v_dual_add_nc_u32 v12, s38, v21
	s_delay_alu instid0(VALU_DEP_1) | instskip(NEXT) | instid1(VALU_DEP_2)
	v_mul_lo_u32 v7, v7, s21
	v_mul_lo_u32 v12, v12, s23
	s_delay_alu instid0(VALU_DEP_1) | instskip(NEXT) | instid1(VALU_DEP_1)
	v_sub_nc_u32_e32 v7, v7, v12
	v_cmp_lt_u32_e64 s0, s39, v7
	s_and_b32 s3, s0, exec_lo
.LBB1792_82:
	s_or_b32 exec_lo, exec_lo, s4
	v_cndmask_b32_e64 v7, 0, 1, vcc_lo
	v_dual_lshrrev_b32 v12, 8, v8 :: v_dual_lshrrev_b32 v28, 16, v8
	v_cndmask_b32_e64 v13, 0, 1, s3
	v_lshlrev_b16 v11, 8, v11
	s_delay_alu instid0(VALU_DEP_4) | instskip(NEXT) | instid1(VALU_DEP_4)
	v_lshlrev_b16 v7, 8, v7
	v_lshlrev_b16 v12, 8, v12
	v_lshlrev_b16 v9, 8, v9
	s_delay_alu instid0(VALU_DEP_4) | instskip(NEXT) | instid1(VALU_DEP_4)
	v_bitop3_b16 v10, v10, v11, 0xff bitop3:0xec
	v_bitop3_b16 v7, v28, v7, 0xff bitop3:0xec
	s_delay_alu instid0(VALU_DEP_4) | instskip(NEXT) | instid1(VALU_DEP_3)
	v_bitop3_b16 v8, v8, v12, 0xff bitop3:0xec
	v_dual_lshlrev_b32 v10, 16, v10 :: v_dual_bitop2_b32 v9, v13, v9 bitop3:0x54
	s_delay_alu instid0(VALU_DEP_3) | instskip(NEXT) | instid1(VALU_DEP_3)
	v_lshlrev_b32_e32 v7, 16, v7
	v_and_b32_e32 v8, 0xffff, v8
	s_delay_alu instid0(VALU_DEP_3) | instskip(NEXT) | instid1(VALU_DEP_2)
	v_and_b32_e32 v9, 0xffff, v9
	v_or_b32_e32 v38, v8, v7
	s_delay_alu instid0(VALU_DEP_2)
	v_or_b32_e32 v7, v9, v10
.LBB1792_83:
	s_or_b32 exec_lo, exec_lo, s1
	v_dual_add_nc_u32 v8, 8, v15 :: v_dual_lshrrev_b32 v13, 24, v6
	s_delay_alu instid0(VALU_DEP_2) | instskip(SKIP_1) | instid1(VALU_DEP_3)
	v_dual_lshrrev_b32 v9, 16, v7 :: v_dual_lshrrev_b32 v10, 24, v7
	v_dual_lshrrev_b32 v11, 16, v6 :: v_dual_lshrrev_b32 v12, 8, v6
	v_cmp_le_u32_e32 vcc_lo, s5, v8
                                        ; implicit-def: $vgpr6
                                        ; implicit-def: $vgpr8
	s_and_saveexec_b32 s0, vcc_lo
	s_delay_alu instid0(SALU_CYCLE_1)
	s_xor_b32 s0, exec_lo, s0
	s_cbranch_execz .LBB1792_85
; %bb.84:
	v_lshlrev_b16 v6, 8, v13
	v_lshlrev_b16 v8, 8, v12
	;; [unrolled: 1-line block ×3, first 2 shown]
	v_perm_b32 v1, v1, v1, 0x3060504
                                        ; implicit-def: $vgpr13
                                        ; implicit-def: $vgpr12
	s_delay_alu instid0(VALU_DEP_4) | instskip(NEXT) | instid1(VALU_DEP_4)
	v_bitop3_b16 v6, v11, v6, 0xff bitop3:0xec
	v_and_b32_e32 v8, 0xffff, v8
	s_delay_alu instid0(VALU_DEP_4) | instskip(NEXT) | instid1(VALU_DEP_3)
	v_bitop3_b16 v9, v9, v10, 0xff bitop3:0xec
                                        ; implicit-def: $vgpr10
                                        ; implicit-def: $vgpr11
	v_lshlrev_b32_e32 v6, 16, v6
	s_delay_alu instid0(VALU_DEP_1) | instskip(NEXT) | instid1(VALU_DEP_3)
	v_or_b32_e32 v8, v8, v6
	v_perm_b32 v6, v9, v7, 0x5040c00
                                        ; implicit-def: $vgpr7
                                        ; implicit-def: $vgpr9
.LBB1792_85:
	s_and_not1_saveexec_b32 s1, s0
	s_cbranch_execz .LBB1792_89
; %bb.86:
	v_dual_add_nc_u32 v6, s17, v18 :: v_dual_add_nc_u32 v8, s19, v18
	s_mov_b32 s3, 0
	s_mov_b32 s4, exec_lo
	s_delay_alu instid0(VALU_DEP_1) | instskip(NEXT) | instid1(VALU_DEP_2)
	v_mul_lo_u32 v6, v6, s16
	v_mul_lo_u32 v8, v8, s18
	s_delay_alu instid0(VALU_DEP_1) | instskip(NEXT) | instid1(VALU_DEP_1)
	v_sub_nc_u32_e32 v6, v6, v8
	v_cmp_lt_u32_e32 vcc_lo, s20, v6
	v_cmpx_ge_u32_e64 s20, v6
	s_cbranch_execz .LBB1792_88
; %bb.87:
	v_dual_add_nc_u32 v6, s22, v18 :: v_dual_add_nc_u32 v8, s38, v18
	s_delay_alu instid0(VALU_DEP_1) | instskip(NEXT) | instid1(VALU_DEP_2)
	v_mul_lo_u32 v6, v6, s21
	v_mul_lo_u32 v8, v8, s23
	s_delay_alu instid0(VALU_DEP_1) | instskip(NEXT) | instid1(VALU_DEP_1)
	v_sub_nc_u32_e32 v6, v6, v8
	v_cmp_lt_u32_e64 s0, s39, v6
	s_and_b32 s3, s0, exec_lo
.LBB1792_88:
	s_or_b32 exec_lo, exec_lo, s4
	v_cndmask_b32_e64 v6, 0, 1, s3
	v_cndmask_b32_e64 v8, 0, 1, vcc_lo
	v_lshlrev_b16 v13, 8, v13
	v_lshlrev_b16 v12, 8, v12
	;; [unrolled: 1-line block ×4, first 2 shown]
	s_delay_alu instid0(VALU_DEP_4) | instskip(NEXT) | instid1(VALU_DEP_4)
	v_bitop3_b16 v11, v11, v13, 0xff bitop3:0xec
	v_or_b32_e32 v8, v8, v12
	s_delay_alu instid0(VALU_DEP_4) | instskip(NEXT) | instid1(VALU_DEP_4)
	v_bitop3_b16 v9, v9, v10, 0xff bitop3:0xec
	v_bitop3_b16 v6, v7, v6, 0xff bitop3:0xec
	s_delay_alu instid0(VALU_DEP_4) | instskip(NEXT) | instid1(VALU_DEP_4)
	v_lshlrev_b32_e32 v7, 16, v11
	v_and_b32_e32 v8, 0xffff, v8
	s_delay_alu instid0(VALU_DEP_4) | instskip(NEXT) | instid1(VALU_DEP_4)
	v_lshlrev_b32_e32 v9, 16, v9
	v_and_b32_e32 v6, 0xffff, v6
	s_delay_alu instid0(VALU_DEP_3) | instskip(NEXT) | instid1(VALU_DEP_2)
	v_or_b32_e32 v8, v8, v7
	v_or_b32_e32 v6, v6, v9
.LBB1792_89:
	s_or_b32 exec_lo, exec_lo, s1
	s_delay_alu instid0(VALU_DEP_1) | instskip(NEXT) | instid1(VALU_DEP_3)
	v_dual_add_nc_u32 v7, 9, v15 :: v_dual_lshrrev_b32 v11, 8, v6
	v_dual_lshrrev_b32 v12, 24, v8 :: v_dual_lshrrev_b32 v10, 16, v8
                                        ; implicit-def: $vgpr9
	s_delay_alu instid0(VALU_DEP_2) | instskip(SKIP_1) | instid1(SALU_CYCLE_1)
	v_cmp_le_u32_e32 vcc_lo, s5, v7
                                        ; implicit-def: $vgpr7
	s_and_saveexec_b32 s0, vcc_lo
	s_xor_b32 s0, exec_lo, s0
	s_cbranch_execz .LBB1792_91
; %bb.90:
	v_lshlrev_b16 v7, 8, v11
	v_lshlrev_b16 v9, 8, v12
	v_perm_b32 v1, v1, v1, 0x3060504
                                        ; implicit-def: $vgpr11
                                        ; implicit-def: $vgpr12
	s_delay_alu instid0(VALU_DEP_3) | instskip(NEXT) | instid1(VALU_DEP_3)
	v_bitop3_b16 v7, v6, v7, 0xff bitop3:0xec
	v_bitop3_b16 v9, v10, v9, 0xff bitop3:0xec
                                        ; implicit-def: $vgpr10
	s_delay_alu instid0(VALU_DEP_2) | instskip(NEXT) | instid1(VALU_DEP_2)
	v_and_b32_e32 v7, 0xffff, v7
	v_perm_b32 v9, v9, v8, 0x5040c00
                                        ; implicit-def: $vgpr8
	s_delay_alu instid0(VALU_DEP_2)
	v_and_or_b32 v7, 0xff000000, v6, v7
                                        ; implicit-def: $vgpr6
.LBB1792_91:
	s_and_not1_saveexec_b32 s1, s0
	s_cbranch_execz .LBB1792_95
; %bb.92:
	v_dual_add_nc_u32 v7, s17, v19 :: v_dual_add_nc_u32 v9, s19, v19
	s_mov_b32 s3, 0
	s_mov_b32 s4, exec_lo
	s_delay_alu instid0(VALU_DEP_1) | instskip(NEXT) | instid1(VALU_DEP_2)
	v_mul_lo_u32 v7, v7, s16
	v_mul_lo_u32 v9, v9, s18
	s_delay_alu instid0(VALU_DEP_1) | instskip(NEXT) | instid1(VALU_DEP_1)
	v_sub_nc_u32_e32 v7, v7, v9
	v_cmp_lt_u32_e32 vcc_lo, s20, v7
	v_cmpx_ge_u32_e64 s20, v7
	s_cbranch_execz .LBB1792_94
; %bb.93:
	v_dual_add_nc_u32 v7, s22, v19 :: v_dual_add_nc_u32 v9, s38, v19
	s_delay_alu instid0(VALU_DEP_1) | instskip(NEXT) | instid1(VALU_DEP_2)
	v_mul_lo_u32 v7, v7, s21
	v_mul_lo_u32 v9, v9, s23
	s_delay_alu instid0(VALU_DEP_1) | instskip(NEXT) | instid1(VALU_DEP_1)
	v_sub_nc_u32_e32 v7, v7, v9
	v_cmp_lt_u32_e64 s0, s39, v7
	s_and_b32 s3, s0, exec_lo
.LBB1792_94:
	s_or_b32 exec_lo, exec_lo, s4
	v_cndmask_b32_e64 v7, 0, 1, vcc_lo
	v_lshrrev_b32_e32 v9, 24, v6
	v_cndmask_b32_e64 v13, 0, 1, s3
	v_lshlrev_b16 v12, 8, v12
	v_lshlrev_b16 v11, 8, v11
	;; [unrolled: 1-line block ×4, first 2 shown]
	s_delay_alu instid0(VALU_DEP_4) | instskip(NEXT) | instid1(VALU_DEP_4)
	v_bitop3_b16 v10, v10, v12, 0xff bitop3:0xec
	v_bitop3_b16 v6, v6, v11, 0xff bitop3:0xec
	s_delay_alu instid0(VALU_DEP_4) | instskip(NEXT) | instid1(VALU_DEP_3)
	v_bitop3_b16 v7, v8, v7, 0xff bitop3:0xec
	v_dual_lshlrev_b32 v9, 16, v10 :: v_dual_bitop2_b32 v8, v13, v9 bitop3:0x54
	s_delay_alu instid0(VALU_DEP_3) | instskip(NEXT) | instid1(VALU_DEP_3)
	v_and_b32_e32 v6, 0xffff, v6
	v_and_b32_e32 v7, 0xffff, v7
	s_delay_alu instid0(VALU_DEP_1) | instskip(NEXT) | instid1(VALU_DEP_1)
	v_dual_lshlrev_b32 v8, 16, v8 :: v_dual_bitop2_b32 v9, v7, v9 bitop3:0x54
	v_or_b32_e32 v7, v6, v8
.LBB1792_95:
	s_or_b32 exec_lo, exec_lo, s1
	s_delay_alu instid0(VALU_DEP_2) | instskip(NEXT) | instid1(VALU_DEP_1)
	v_dual_add_nc_u32 v6, 10, v15 :: v_dual_lshrrev_b32 v8, 8, v9
                                        ; implicit-def: $vgpr40
	v_cmp_le_u32_e32 vcc_lo, s5, v6
                                        ; implicit-def: $vgpr6
	s_and_saveexec_b32 s0, vcc_lo
	s_delay_alu instid0(SALU_CYCLE_1)
	s_xor_b32 s0, exec_lo, s0
	s_cbranch_execz .LBB1792_97
; %bb.96:
	v_lshlrev_b16 v6, 8, v8
	v_and_b32_e32 v8, 0xff0000, v7
	v_perm_b32 v1, v1, v1, 0x3060504
	s_delay_alu instid0(VALU_DEP_3) | instskip(NEXT) | instid1(VALU_DEP_3)
	v_bitop3_b16 v6, v9, v6, 0xff bitop3:0xec
	v_perm_b32 v40, v7, v8, 0x3020504
                                        ; implicit-def: $vgpr8
                                        ; implicit-def: $vgpr7
	s_delay_alu instid0(VALU_DEP_2) | instskip(NEXT) | instid1(VALU_DEP_1)
	v_and_b32_e32 v6, 0xffff, v6
	v_and_or_b32 v6, 0xff000000, v9, v6
                                        ; implicit-def: $vgpr9
.LBB1792_97:
	s_and_not1_saveexec_b32 s1, s0
	s_cbranch_execz .LBB1792_101
; %bb.98:
	v_dual_add_nc_u32 v6, s17, v16 :: v_dual_add_nc_u32 v10, s19, v16
	s_mov_b32 s3, 0
	s_mov_b32 s4, exec_lo
	s_delay_alu instid0(VALU_DEP_1) | instskip(NEXT) | instid1(VALU_DEP_2)
	v_mul_lo_u32 v6, v6, s16
	v_mul_lo_u32 v10, v10, s18
	s_delay_alu instid0(VALU_DEP_1) | instskip(NEXT) | instid1(VALU_DEP_1)
	v_sub_nc_u32_e32 v6, v6, v10
	v_cmp_lt_u32_e32 vcc_lo, s20, v6
	v_cmpx_ge_u32_e64 s20, v6
	s_cbranch_execz .LBB1792_100
; %bb.99:
	v_dual_add_nc_u32 v6, s22, v16 :: v_dual_add_nc_u32 v10, s38, v16
	s_delay_alu instid0(VALU_DEP_1) | instskip(NEXT) | instid1(VALU_DEP_2)
	v_mul_lo_u32 v6, v6, s21
	v_mul_lo_u32 v10, v10, s23
	s_delay_alu instid0(VALU_DEP_1) | instskip(NEXT) | instid1(VALU_DEP_1)
	v_sub_nc_u32_e32 v6, v6, v10
	v_cmp_lt_u32_e64 s0, s39, v6
	s_and_b32 s3, s0, exec_lo
.LBB1792_100:
	s_or_b32 exec_lo, exec_lo, s4
	v_dual_lshrrev_b32 v6, 24, v9 :: v_dual_lshrrev_b32 v12, 8, v7
	v_cndmask_b32_e64 v10, 0, 1, s3
	v_cndmask_b32_e64 v11, 0, 1, vcc_lo
	v_lshlrev_b16 v8, 8, v8
	s_delay_alu instid0(VALU_DEP_4)
	v_lshlrev_b16 v6, 8, v6
	v_lshrrev_b32_e32 v13, 16, v7
	v_lshlrev_b16 v10, 8, v10
	v_lshlrev_b16 v12, 8, v12
	v_bitop3_b16 v8, v9, v8, 0xff bitop3:0xec
	v_or_b32_e32 v6, v11, v6
	s_delay_alu instid0(VALU_DEP_4) | instskip(NEXT) | instid1(VALU_DEP_4)
	v_bitop3_b16 v9, v13, v10, 0xff bitop3:0xec
	v_bitop3_b16 v7, v7, v12, 0xff bitop3:0xec
	s_delay_alu instid0(VALU_DEP_4) | instskip(NEXT) | instid1(VALU_DEP_3)
	v_and_b32_e32 v8, 0xffff, v8
	v_dual_lshlrev_b32 v6, 16, v6 :: v_dual_lshlrev_b32 v9, 16, v9
	s_delay_alu instid0(VALU_DEP_3) | instskip(NEXT) | instid1(VALU_DEP_2)
	v_and_b32_e32 v7, 0xffff, v7
	v_or_b32_e32 v6, v8, v6
	s_delay_alu instid0(VALU_DEP_2)
	v_or_b32_e32 v40, v7, v9
.LBB1792_101:
	s_or_b32 exec_lo, exec_lo, s1
	v_dual_add_nc_u32 v7, 11, v15 :: v_dual_mov_b32 v39, 0
	s_mov_b32 s0, exec_lo
                                        ; implicit-def: $vgpr41
	s_delay_alu instid0(VALU_DEP_1)
	v_cmpx_le_u32_e64 s5, v7
	s_xor_b32 s0, exec_lo, s0
; %bb.102:
	v_and_b32_e32 v7, 0xff0000, v6
	v_perm_b32 v1, v1, v1, 0x3060504
	s_delay_alu instid0(VALU_DEP_2)
	v_perm_b32 v41, v6, v7, 0x3020504
                                        ; implicit-def: $vgpr6
; %bb.103:
	s_and_not1_saveexec_b32 s1, s0
	s_cbranch_execz .LBB1792_107
; %bb.104:
	v_dual_add_nc_u32 v7, s17, v17 :: v_dual_add_nc_u32 v8, s19, v17
	s_mov_b32 s3, 0
	s_mov_b32 s4, exec_lo
	s_delay_alu instid0(VALU_DEP_1) | instskip(NEXT) | instid1(VALU_DEP_2)
	v_mul_lo_u32 v7, v7, s16
	v_mul_lo_u32 v8, v8, s18
	s_delay_alu instid0(VALU_DEP_1) | instskip(NEXT) | instid1(VALU_DEP_1)
	v_sub_nc_u32_e32 v7, v7, v8
	v_cmp_lt_u32_e32 vcc_lo, s20, v7
	v_cmpx_ge_u32_e64 s20, v7
	s_cbranch_execz .LBB1792_106
; %bb.105:
	v_dual_add_nc_u32 v7, s22, v17 :: v_dual_add_nc_u32 v8, s38, v17
	s_delay_alu instid0(VALU_DEP_1) | instskip(NEXT) | instid1(VALU_DEP_2)
	v_mul_lo_u32 v7, v7, s21
	v_mul_lo_u32 v8, v8, s23
	s_delay_alu instid0(VALU_DEP_1) | instskip(NEXT) | instid1(VALU_DEP_1)
	v_sub_nc_u32_e32 v7, v7, v8
	v_cmp_lt_u32_e64 s0, s39, v7
	s_and_b32 s3, s0, exec_lo
.LBB1792_106:
	s_or_b32 exec_lo, exec_lo, s4
	v_cndmask_b32_e64 v7, 0, 1, vcc_lo
	v_dual_lshrrev_b32 v8, 8, v6 :: v_dual_lshrrev_b32 v9, 16, v6
	v_cndmask_b32_e64 v39, 0, 1, s3
	s_delay_alu instid0(VALU_DEP_3) | instskip(NEXT) | instid1(VALU_DEP_3)
	v_lshlrev_b16 v7, 8, v7
	v_lshlrev_b16 v8, 8, v8
	s_delay_alu instid0(VALU_DEP_2) | instskip(NEXT) | instid1(VALU_DEP_2)
	v_bitop3_b16 v7, v9, v7, 0xff bitop3:0xec
	v_bitop3_b16 v6, v6, v8, 0xff bitop3:0xec
	s_delay_alu instid0(VALU_DEP_2) | instskip(NEXT) | instid1(VALU_DEP_2)
	v_lshlrev_b32_e32 v7, 16, v7
	v_and_b32_e32 v6, 0xffff, v6
	s_delay_alu instid0(VALU_DEP_1)
	v_or_b32_e32 v41, v6, v7
.LBB1792_107:
	s_or_b32 exec_lo, exec_lo, s1
	v_dual_add_nc_u32 v8, 12, v15 :: v_dual_lshrrev_b32 v6, 8, v1
	v_dual_lshrrev_b32 v7, 16, v1 :: v_dual_lshrrev_b32 v1, 24, v1
	s_mov_b32 s0, exec_lo
                                        ; implicit-def: $vgpr42
	s_delay_alu instid0(VALU_DEP_2)
	v_cmpx_le_u32_e64 s5, v8
	s_xor_b32 s0, exec_lo, s0
; %bb.108:
	s_delay_alu instid0(VALU_DEP_2) | instskip(SKIP_1) | instid1(VALU_DEP_2)
	v_lshlrev_b16 v1, 8, v1
	v_lshlrev_b16 v6, 8, v6
	v_bitop3_b16 v1, v7, v1, 0xff bitop3:0xec
	s_delay_alu instid0(VALU_DEP_2) | instskip(NEXT) | instid1(VALU_DEP_2)
	v_and_b32_e32 v6, 0xffff, v6
                                        ; implicit-def: $vgpr7
	v_lshlrev_b32_e32 v1, 16, v1
	s_delay_alu instid0(VALU_DEP_1)
	v_or_b32_e32 v42, v6, v1
                                        ; implicit-def: $vgpr1
                                        ; implicit-def: $vgpr6
; %bb.109:
	s_or_saveexec_b32 s1, s0
	v_mov_b32_e32 v43, 0
	s_xor_b32 exec_lo, exec_lo, s1
	s_cbranch_execz .LBB1792_113
; %bb.110:
	v_dual_add_nc_u32 v8, s19, v34 :: v_dual_add_nc_u32 v9, s17, v34
	s_mov_b32 s3, 0
	s_mov_b32 s4, exec_lo
	s_delay_alu instid0(VALU_DEP_1) | instskip(NEXT) | instid1(VALU_DEP_2)
	v_mul_lo_u32 v8, v8, s18
	v_mul_lo_u32 v9, v9, s16
	s_delay_alu instid0(VALU_DEP_1) | instskip(NEXT) | instid1(VALU_DEP_1)
	v_sub_nc_u32_e32 v8, v9, v8
	v_cmp_lt_u32_e32 vcc_lo, s20, v8
	v_cmpx_ge_u32_e64 s20, v8
	s_cbranch_execz .LBB1792_112
; %bb.111:
	v_dual_add_nc_u32 v8, s38, v34 :: v_dual_add_nc_u32 v9, s22, v34
	s_delay_alu instid0(VALU_DEP_1) | instskip(NEXT) | instid1(VALU_DEP_2)
	v_mul_lo_u32 v8, v8, s23
	v_mul_lo_u32 v9, v9, s21
	s_delay_alu instid0(VALU_DEP_1) | instskip(NEXT) | instid1(VALU_DEP_1)
	v_sub_nc_u32_e32 v8, v9, v8
	v_cmp_lt_u32_e64 s0, s39, v8
	s_and_b32 s3, s0, exec_lo
.LBB1792_112:
	s_or_b32 exec_lo, exec_lo, s4
	v_cndmask_b32_e64 v8, 0, 1, vcc_lo
	v_lshlrev_b16 v1, 8, v1
	v_lshlrev_b16 v6, 8, v6
	v_cndmask_b32_e64 v43, 0, 1, s3
	s_delay_alu instid0(VALU_DEP_3) | instskip(NEXT) | instid1(VALU_DEP_1)
	v_bitop3_b16 v1, v7, v1, 0xff bitop3:0xec
	v_dual_lshlrev_b32 v1, 16, v1 :: v_dual_bitop2_b32 v6, v8, v6 bitop3:0x54
	s_delay_alu instid0(VALU_DEP_1) | instskip(NEXT) | instid1(VALU_DEP_1)
	v_and_b32_e32 v6, 0xffff, v6
	v_or_b32_e32 v42, v6, v1
.LBB1792_113:
	s_or_b32 exec_lo, exec_lo, s1
.LBB1792_114:
	v_and_b32_e32 v66, 0xff, v36
	s_delay_alu instid0(VALU_DEP_2)
	v_bfe_u32 v67, v42, 8, 8
	v_bfe_u32 v64, v36, 8, 8
	;; [unrolled: 1-line block ×4, first 2 shown]
	v_dual_lshrrev_b32 v49, 24, v42 :: v_dual_lshrrev_b32 v48, 24, v36
	v_and_b32_e32 v62, 0xff, v37
	v_and_b32_e32 v60, 0xff, v38
	v_bfe_u32 v61, v37, 8, 8
	v_add3_u32 v1, v64, v66, v63
	v_add3_u32 v6, v65, v67, v49
	v_bfe_u32 v58, v38, 8, 8
	v_bfe_u32 v59, v37, 16, 8
	;; [unrolled: 1-line block ×3, first 2 shown]
	v_dual_lshrrev_b32 v47, 24, v37 :: v_dual_lshrrev_b32 v46, 24, v38
	v_add3_u32 v1, v1, v48, v60
	v_add3_u32 v6, v6, v62, v61
	v_and_b32_e32 v57, 0xff, v40
	v_and_b32_e32 v53, 0xff, v41
	v_bfe_u32 v55, v40, 8, 8
	v_add3_u32 v1, v1, v58, v56
	v_add3_u32 v6, v6, v59, v47
	v_bfe_u32 v52, v41, 8, 8
	v_bfe_u32 v54, v40, 16, 8
	;; [unrolled: 1-line block ×3, first 2 shown]
	v_dual_lshrrev_b32 v45, 24, v40 :: v_dual_lshrrev_b32 v44, 24, v41
	v_add3_u32 v1, v1, v46, v53
	v_add3_u32 v6, v6, v57, v55
	v_mbcnt_lo_u32_b32 v68, -1, 0
	v_and_b32_e32 v50, 0xff, v39
	v_and_b32_e32 v7, 0xff, v42
	;; [unrolled: 1-line block ×3, first 2 shown]
	v_add3_u32 v1, v1, v52, v51
	v_add3_u32 v6, v6, v54, v45
	v_and_b32_e32 v70, 15, v68
	v_and_b32_e32 v72, 16, v68
	v_dual_lshrrev_b32 v69, 5, v0 :: v_dual_bitop2_b32 v71, 31, v0 bitop3:0x54
	v_add3_u32 v73, v1, v44, v7
	v_add3_u32 v74, v6, v50, v8
	v_cmp_eq_u32_e64 s1, 0, v70
	v_cmp_lt_u32_e64 s0, 1, v70
	v_cmp_lt_u32_e64 s3, 3, v70
	s_cmp_lg_u32 s27, 0
	s_mov_b32 s4, -1
	v_cmp_lt_u32_e32 vcc_lo, 7, v70
	s_cbranch_scc0 .LBB1792_135
; %bb.115:
	v_mov_b32_dpp v1, v74 row_shr:1 row_mask:0xf bank_mask:0xf
	v_mov_b32_dpp v6, v73 row_shr:1 row_mask:0xf bank_mask:0xf
	s_mov_b32 s4, exec_lo
	s_delay_alu instid0(VALU_DEP_1) | instskip(NEXT) | instid1(VALU_DEP_1)
	v_dual_add_nc_u32 v1, v1, v74 :: v_dual_add_nc_u32 v6, v6, v73
	v_dual_cndmask_b32 v1, v1, v74, s1 :: v_dual_cndmask_b32 v6, v6, v73, s1
	s_delay_alu instid0(VALU_DEP_1) | instskip(NEXT) | instid1(VALU_DEP_2)
	v_mov_b32_dpp v7, v1 row_shr:2 row_mask:0xf bank_mask:0xf
	v_mov_b32_dpp v8, v6 row_shr:2 row_mask:0xf bank_mask:0xf
	s_delay_alu instid0(VALU_DEP_1) | instskip(NEXT) | instid1(VALU_DEP_1)
	v_dual_add_nc_u32 v7, v1, v7 :: v_dual_add_nc_u32 v8, v6, v8
	v_dual_cndmask_b32 v1, v1, v7, s0 :: v_dual_cndmask_b32 v6, v6, v8, s0
	s_delay_alu instid0(VALU_DEP_1) | instskip(NEXT) | instid1(VALU_DEP_2)
	v_mov_b32_dpp v7, v1 row_shr:4 row_mask:0xf bank_mask:0xf
	v_mov_b32_dpp v8, v6 row_shr:4 row_mask:0xf bank_mask:0xf
	;; [unrolled: 6-line block ×3, first 2 shown]
	s_delay_alu instid0(VALU_DEP_1) | instskip(NEXT) | instid1(VALU_DEP_1)
	v_dual_add_nc_u32 v7, v1, v7 :: v_dual_add_nc_u32 v8, v6, v8
	v_dual_cndmask_b32 v1, v1, v7 :: v_dual_cndmask_b32 v6, v6, v8
	v_cmp_eq_u32_e32 vcc_lo, 0, v72
	ds_swizzle_b32 v7, v1 offset:swizzle(BROADCAST,32,15)
	ds_swizzle_b32 v8, v6 offset:swizzle(BROADCAST,32,15)
	s_wait_dscnt 0x0
	v_dual_add_nc_u32 v7, v1, v7 :: v_dual_add_nc_u32 v8, v6, v8
	v_cmpx_eq_u32_e64 v0, v71
; %bb.116:
	s_delay_alu instid0(VALU_DEP_2) | instskip(NEXT) | instid1(VALU_DEP_3)
	v_dual_cndmask_b32 v10, v8, v6 :: v_dual_lshlrev_b32 v9, 3, v69
	v_cndmask_b32_e32 v11, v7, v1, vcc_lo
	ds_store_b64 v9, v[10:11]
; %bb.117:
	s_or_b32 exec_lo, exec_lo, s4
	s_delay_alu instid0(SALU_CYCLE_1)
	s_mov_b32 s4, exec_lo
	s_wait_dscnt 0x0
	s_barrier_signal -1
	s_barrier_wait -1
	v_cmpx_gt_u32_e32 8, v0
	s_cbranch_execz .LBB1792_119
; %bb.118:
	v_lshlrev_b32_e32 v9, 3, v0
	ds_load_b64 v[10:11], v9
	s_wait_dscnt 0x0
	v_mov_b32_dpp v12, v10 row_shr:1 row_mask:0xf bank_mask:0xf
	v_mov_b32_dpp v13, v11 row_shr:1 row_mask:0xf bank_mask:0xf
	s_delay_alu instid0(VALU_DEP_2) | instskip(NEXT) | instid1(VALU_DEP_2)
	v_dual_add_nc_u32 v12, v12, v10 :: v_dual_bitop2_b32 v28, 7, v68 bitop3:0x40
	v_add_nc_u32_e32 v13, v13, v11
	s_delay_alu instid0(VALU_DEP_2) | instskip(NEXT) | instid1(VALU_DEP_1)
	v_cmp_eq_u32_e64 s3, 0, v28
	v_dual_cndmask_b32 v11, v13, v11, s3 :: v_dual_cndmask_b32 v10, v12, v10, s3
	v_cmp_lt_u32_e64 s3, 1, v28
	s_delay_alu instid0(VALU_DEP_2) | instskip(NEXT) | instid1(VALU_DEP_3)
	v_mov_b32_dpp v13, v11 row_shr:2 row_mask:0xf bank_mask:0xf
	v_mov_b32_dpp v12, v10 row_shr:2 row_mask:0xf bank_mask:0xf
	s_delay_alu instid0(VALU_DEP_1) | instskip(NEXT) | instid1(VALU_DEP_1)
	v_dual_add_nc_u32 v13, v11, v13 :: v_dual_add_nc_u32 v12, v10, v12
	v_dual_cndmask_b32 v11, v11, v13, s3 :: v_dual_cndmask_b32 v10, v10, v12, s3
	v_cmp_lt_u32_e64 s3, 3, v28
	s_delay_alu instid0(VALU_DEP_2) | instskip(NEXT) | instid1(VALU_DEP_3)
	v_mov_b32_dpp v13, v11 row_shr:4 row_mask:0xf bank_mask:0xf
	v_mov_b32_dpp v12, v10 row_shr:4 row_mask:0xf bank_mask:0xf
	s_delay_alu instid0(VALU_DEP_1) | instskip(NEXT) | instid1(VALU_DEP_1)
	v_dual_cndmask_b32 v13, 0, v13, s3 :: v_dual_cndmask_b32 v12, 0, v12, s3
	v_dual_add_nc_u32 v11, v13, v11 :: v_dual_add_nc_u32 v10, v12, v10
	ds_store_b64 v9, v[10:11]
.LBB1792_119:
	s_or_b32 exec_lo, exec_lo, s4
	v_dual_cndmask_b32 v1, v7, v1 :: v_dual_cndmask_b32 v6, v8, v6
	s_mov_b32 s4, exec_lo
	v_cmp_gt_u32_e32 vcc_lo, 32, v0
	s_wait_dscnt 0x0
	s_barrier_signal -1
	s_barrier_wait -1
                                        ; implicit-def: $vgpr28
	v_cmpx_lt_u32_e32 31, v0
	s_cbranch_execz .LBB1792_121
; %bb.120:
	v_lshl_add_u32 v7, v69, 3, -8
	ds_load_b64 v[28:29], v7
	s_wait_dscnt 0x0
	v_dual_add_nc_u32 v1, v29, v1 :: v_dual_add_nc_u32 v6, v28, v6
.LBB1792_121:
	s_or_b32 exec_lo, exec_lo, s4
	v_sub_co_u32 v7, s3, v68, 1
	s_delay_alu instid0(VALU_DEP_1) | instskip(NEXT) | instid1(VALU_DEP_1)
	v_cmp_gt_i32_e64 s4, 0, v7
	v_cndmask_b32_e64 v7, v7, v68, s4
	s_delay_alu instid0(VALU_DEP_1)
	v_lshlrev_b32_e32 v7, 2, v7
	ds_bpermute_b32 v75, v7, v6
	ds_bpermute_b32 v1, v7, v1
	s_and_saveexec_b32 s4, vcc_lo
	s_cbranch_execz .LBB1792_140
; %bb.122:
	v_mov_b32_e32 v9, 0
	ds_load_b64 v[6:7], v9 offset:56
	s_and_saveexec_b32 s6, s3
	s_cbranch_execz .LBB1792_124
; %bb.123:
	s_add_co_i32 s8, s27, 32
	s_mov_b32 s9, 0
	v_mov_b32_e32 v8, 1
	s_lshl_b64 s[8:9], s[8:9], 4
	s_delay_alu instid0(SALU_CYCLE_1) | instskip(NEXT) | instid1(SALU_CYCLE_1)
	s_add_nc_u64 s[8:9], s[36:37], s[8:9]
	v_mov_b64_e32 v[10:11], s[8:9]
	s_wait_dscnt 0x0
	;;#ASMSTART
	global_store_b128 v[10:11], v[6:9] off scope:SCOPE_DEV	
s_wait_storecnt 0x0
	;;#ASMEND
.LBB1792_124:
	s_or_b32 exec_lo, exec_lo, s6
	v_xad_u32 v30, v68, -1, s27
	s_mov_b32 s7, 0
	s_mov_b32 s6, exec_lo
	s_delay_alu instid0(VALU_DEP_1) | instskip(NEXT) | instid1(VALU_DEP_1)
	v_add_nc_u32_e32 v8, 32, v30
	v_lshl_add_u64 v[8:9], v[8:9], 4, s[36:37]
	;;#ASMSTART
	global_load_b128 v[10:13], v[8:9] off scope:SCOPE_DEV	
s_wait_loadcnt 0x0
	;;#ASMEND
	v_and_b32_e32 v13, 0xff, v12
	s_delay_alu instid0(VALU_DEP_1)
	v_cmpx_eq_u16_e32 0, v13
	s_cbranch_execz .LBB1792_127
.LBB1792_125:                           ; =>This Inner Loop Header: Depth=1
	;;#ASMSTART
	global_load_b128 v[10:13], v[8:9] off scope:SCOPE_DEV	
s_wait_loadcnt 0x0
	;;#ASMEND
	v_and_b32_e32 v13, 0xff, v12
	s_delay_alu instid0(VALU_DEP_1) | instskip(SKIP_1) | instid1(SALU_CYCLE_1)
	v_cmp_ne_u16_e32 vcc_lo, 0, v13
	s_or_b32 s7, vcc_lo, s7
	s_and_not1_b32 exec_lo, exec_lo, s7
	s_cbranch_execnz .LBB1792_125
; %bb.126:
	s_or_b32 exec_lo, exec_lo, s7
.LBB1792_127:
	s_delay_alu instid0(SALU_CYCLE_1) | instskip(SKIP_4) | instid1(VALU_DEP_1)
	s_or_b32 exec_lo, exec_lo, s6
	v_cmp_ne_u32_e32 vcc_lo, 31, v68
	v_lshlrev_b32_e64 v77, v68, -1
	v_lshl_or_b32 v84, v68, 2, 64
	v_add_co_ci_u32_e64 v8, null, 0, v68, vcc_lo
	v_lshlrev_b32_e32 v76, 2, v8
	v_and_b32_e32 v8, 0xff, v12
	s_delay_alu instid0(VALU_DEP_1)
	v_cmp_eq_u16_e32 vcc_lo, 2, v8
	v_and_b32_e32 v13, vcc_lo, v77
	ds_bpermute_b32 v9, v76, v11
	ds_bpermute_b32 v8, v76, v10
	v_cmp_gt_u32_e32 vcc_lo, 30, v68
	v_or_b32_e32 v13, 0x80000000, v13
	v_cndmask_b32_e64 v31, 0, 2, vcc_lo
	s_delay_alu instid0(VALU_DEP_2) | instskip(NEXT) | instid1(VALU_DEP_2)
	v_ctz_i32_b32_e32 v13, v13
	v_add_lshl_u32 v78, v31, v68, 2
	s_delay_alu instid0(VALU_DEP_2) | instskip(SKIP_2) | instid1(VALU_DEP_1)
	v_cmp_lt_u32_e32 vcc_lo, v68, v13
	s_wait_dscnt 0x0
	v_dual_add_nc_u32 v9, v9, v11 :: v_dual_add_nc_u32 v8, v8, v10
	v_dual_cndmask_b32 v9, v11, v9 :: v_dual_cndmask_b32 v8, v10, v8
	v_cmp_gt_u32_e32 vcc_lo, 28, v68
	ds_bpermute_b32 v10, v78, v9
	ds_bpermute_b32 v11, v78, v8
	v_add_nc_u32_e32 v79, 2, v68
	v_cndmask_b32_e64 v31, 0, 4, vcc_lo
	s_delay_alu instid0(VALU_DEP_1) | instskip(SKIP_4) | instid1(VALU_DEP_2)
	v_add_lshl_u32 v80, v31, v68, 2
	s_wait_dscnt 0x1
	v_add_nc_u32_e32 v10, v9, v10
	v_cmp_gt_u32_e32 vcc_lo, v79, v13
	s_wait_dscnt 0x0
	v_dual_add_nc_u32 v11, v8, v11 :: v_dual_cndmask_b32 v9, v10, v9, vcc_lo
	ds_bpermute_b32 v10, v80, v9
	v_cndmask_b32_e32 v8, v11, v8, vcc_lo
	v_cmp_gt_u32_e32 vcc_lo, 24, v68
	v_cndmask_b32_e64 v31, 0, 8, vcc_lo
	s_delay_alu instid0(VALU_DEP_1)
	v_add_lshl_u32 v82, v31, v68, 2
	s_wait_dscnt 0x0
	v_dual_mov_b32 v31, 0 :: v_dual_add_nc_u32 v10, v9, v10
	ds_bpermute_b32 v11, v80, v8
	s_wait_dscnt 0x0
	v_dual_add_nc_u32 v81, 4, v68 :: v_dual_add_nc_u32 v11, v8, v11
	s_delay_alu instid0(VALU_DEP_1) | instskip(NEXT) | instid1(VALU_DEP_2)
	v_cmp_gt_u32_e32 vcc_lo, v81, v13
	v_dual_cndmask_b32 v9, v10, v9 :: v_dual_cndmask_b32 v8, v11, v8
	ds_bpermute_b32 v10, v82, v9
	ds_bpermute_b32 v11, v82, v8
	s_wait_dscnt 0x1
	v_dual_add_nc_u32 v83, 8, v68 :: v_dual_add_nc_u32 v10, v9, v10
	s_delay_alu instid0(VALU_DEP_1) | instskip(SKIP_1) | instid1(VALU_DEP_2)
	v_cmp_gt_u32_e32 vcc_lo, v83, v13
	s_wait_dscnt 0x0
	v_dual_add_nc_u32 v11, v8, v11 :: v_dual_cndmask_b32 v9, v10, v9, vcc_lo
	s_delay_alu instid0(VALU_DEP_1) | instskip(SKIP_3) | instid1(VALU_DEP_1)
	v_cndmask_b32_e32 v8, v11, v8, vcc_lo
	ds_bpermute_b32 v11, v84, v9
	ds_bpermute_b32 v10, v84, v8
	v_add_nc_u32_e32 v85, 16, v68
	v_cmp_le_u32_e32 vcc_lo, v85, v13
	s_wait_dscnt 0x0
	v_dual_cndmask_b32 v11, 0, v11 :: v_dual_cndmask_b32 v10, 0, v10
	s_delay_alu instid0(VALU_DEP_1)
	v_dual_add_nc_u32 v11, v11, v9 :: v_dual_add_nc_u32 v10, v10, v8
	s_branch .LBB1792_131
.LBB1792_128:                           ;   in Loop: Header=BB1792_131 Depth=1
	s_or_b32 exec_lo, exec_lo, s7
.LBB1792_129:                           ;   in Loop: Header=BB1792_131 Depth=1
	s_delay_alu instid0(SALU_CYCLE_1)
	s_or_b32 exec_lo, exec_lo, s6
	ds_bpermute_b32 v13, v76, v10
	ds_bpermute_b32 v32, v76, v11
	v_and_b32_e32 v33, 0xff, v12
	v_subrev_nc_u32_e32 v30, 32, v30
	s_mov_b32 s6, 0
	s_delay_alu instid0(VALU_DEP_2) | instskip(SKIP_1) | instid1(VALU_DEP_1)
	v_cmp_eq_u16_e32 vcc_lo, 2, v33
	v_and_or_b32 v33, vcc_lo, v77, 0x80000000
	v_ctz_i32_b32_e32 v33, v33
	s_wait_dscnt 0x0
	v_dual_add_nc_u32 v13, v13, v10 :: v_dual_add_nc_u32 v32, v32, v11
	s_delay_alu instid0(VALU_DEP_2) | instskip(NEXT) | instid1(VALU_DEP_2)
	v_cmp_lt_u32_e32 vcc_lo, v68, v33
	v_dual_cndmask_b32 v11, v11, v32 :: v_dual_cndmask_b32 v10, v10, v13
	v_cmp_gt_u32_e32 vcc_lo, v79, v33
	ds_bpermute_b32 v32, v78, v11
	ds_bpermute_b32 v13, v78, v10
	s_wait_dscnt 0x0
	v_dual_add_nc_u32 v32, v11, v32 :: v_dual_add_nc_u32 v13, v10, v13
	s_delay_alu instid0(VALU_DEP_1)
	v_dual_cndmask_b32 v11, v32, v11 :: v_dual_cndmask_b32 v10, v13, v10
	v_cmp_gt_u32_e32 vcc_lo, v81, v33
	ds_bpermute_b32 v32, v80, v11
	ds_bpermute_b32 v13, v80, v10
	s_wait_dscnt 0x0
	v_dual_add_nc_u32 v32, v11, v32 :: v_dual_add_nc_u32 v13, v10, v13
	s_delay_alu instid0(VALU_DEP_1)
	;; [unrolled: 7-line block ×3, first 2 shown]
	v_dual_cndmask_b32 v11, v32, v11 :: v_dual_cndmask_b32 v10, v13, v10
	v_cmp_le_u32_e32 vcc_lo, v85, v33
	ds_bpermute_b32 v32, v84, v11
	ds_bpermute_b32 v13, v84, v10
	s_wait_dscnt 0x0
	v_dual_cndmask_b32 v32, 0, v32 :: v_dual_cndmask_b32 v13, 0, v13
	s_delay_alu instid0(VALU_DEP_1) | instskip(NEXT) | instid1(VALU_DEP_2)
	v_add3_u32 v11, v11, v9, v32
	v_add3_u32 v10, v10, v8, v13
.LBB1792_130:                           ;   in Loop: Header=BB1792_131 Depth=1
	s_and_b32 vcc_lo, exec_lo, s6
	s_cbranch_vccnz .LBB1792_136
.LBB1792_131:                           ; =>This Loop Header: Depth=1
                                        ;     Child Loop BB1792_134 Depth 2
	v_and_b32_e32 v8, 0xff, v12
	s_mov_b32 s6, -1
                                        ; implicit-def: $vgpr12
	s_delay_alu instid0(VALU_DEP_1)
	v_cmp_ne_u16_e32 vcc_lo, 2, v8
	v_mov_b64_e32 v[8:9], v[10:11]
                                        ; implicit-def: $vgpr10_vgpr11
	s_cmp_lg_u32 vcc_lo, exec_lo
	s_cbranch_scc1 .LBB1792_130
; %bb.132:                              ;   in Loop: Header=BB1792_131 Depth=1
	v_lshl_add_u64 v[32:33], v[30:31], 4, s[36:37]
	;;#ASMSTART
	global_load_b128 v[10:13], v[32:33] off scope:SCOPE_DEV	
s_wait_loadcnt 0x0
	;;#ASMEND
	v_and_b32_e32 v13, 0xff, v12
	s_mov_b32 s6, exec_lo
	s_delay_alu instid0(VALU_DEP_1)
	v_cmpx_eq_u16_e32 0, v13
	s_cbranch_execz .LBB1792_129
; %bb.133:                              ;   in Loop: Header=BB1792_131 Depth=1
	s_mov_b32 s7, 0
.LBB1792_134:                           ;   Parent Loop BB1792_131 Depth=1
                                        ; =>  This Inner Loop Header: Depth=2
	;;#ASMSTART
	global_load_b128 v[10:13], v[32:33] off scope:SCOPE_DEV	
s_wait_loadcnt 0x0
	;;#ASMEND
	v_and_b32_e32 v13, 0xff, v12
	s_delay_alu instid0(VALU_DEP_1) | instskip(SKIP_1) | instid1(SALU_CYCLE_1)
	v_cmp_ne_u16_e32 vcc_lo, 0, v13
	s_or_b32 s7, vcc_lo, s7
	s_and_not1_b32 exec_lo, exec_lo, s7
	s_cbranch_execnz .LBB1792_134
	s_branch .LBB1792_128
.LBB1792_135:
                                        ; implicit-def: $vgpr1
                                        ; implicit-def: $vgpr8
                                        ; implicit-def: $vgpr10
                                        ; implicit-def: $vgpr12
                                        ; implicit-def: $vgpr28
	s_and_b32 vcc_lo, exec_lo, s4
	s_cbranch_vccnz .LBB1792_141
	s_branch .LBB1792_150
.LBB1792_136:
	s_and_saveexec_b32 s6, s3
	s_cbranch_execz .LBB1792_138
; %bb.137:
	s_add_co_i32 s8, s27, 32
	s_mov_b32 s9, 0
	v_dual_mov_b32 v12, 2 :: v_dual_mov_b32 v13, 0
	s_lshl_b64 s[8:9], s[8:9], 4
	v_dual_add_nc_u32 v11, v9, v7 :: v_dual_add_nc_u32 v10, v8, v6
	s_add_nc_u64 s[8:9], s[36:37], s[8:9]
	s_delay_alu instid0(SALU_CYCLE_1)
	v_mov_b64_e32 v[30:31], s[8:9]
	;;#ASMSTART
	global_store_b128 v[30:31], v[10:13] off scope:SCOPE_DEV	
s_wait_storecnt 0x0
	;;#ASMEND
	ds_store_b128 v13, v[6:9] offset:13312
.LBB1792_138:
	s_or_b32 exec_lo, exec_lo, s6
	s_delay_alu instid0(SALU_CYCLE_1)
	s_and_b32 exec_lo, exec_lo, s2
; %bb.139:
	v_mov_b32_e32 v6, 0
	ds_store_b64 v6, v[8:9] offset:56
.LBB1792_140:
	s_or_b32 exec_lo, exec_lo, s4
	s_wait_dscnt 0x0
	v_dual_mov_b32 v6, 0 :: v_dual_cndmask_b32 v1, v1, v29, s3
	s_barrier_signal -1
	s_barrier_wait -1
	ds_load_b64 v[12:13], v6 offset:56
	s_wait_dscnt 0x0
	s_barrier_signal -1
	s_barrier_wait -1
	ds_load_b128 v[6:9], v6 offset:13312
	v_cndmask_b32_e64 v10, v75, v28, s3
	s_delay_alu instid0(VALU_DEP_1) | instskip(SKIP_2) | instid1(VALU_DEP_2)
	v_dual_add_nc_u32 v1, v13, v1 :: v_dual_add_nc_u32 v11, v12, v10
	s_wait_dscnt 0x0
	v_mov_b32_e32 v10, v9
	v_dual_cndmask_b32 v1, v1, v13, s2 :: v_dual_cndmask_b32 v28, v11, v12, s2
	v_mov_b32_e32 v12, v7
	s_branch .LBB1792_150
.LBB1792_141:
	v_mov_b32_dpp v1, v73 row_shr:1 row_mask:0xf bank_mask:0xf
	v_mov_b32_dpp v6, v74 row_shr:1 row_mask:0xf bank_mask:0xf
	v_cmp_lt_u32_e32 vcc_lo, 3, v70
	s_delay_alu instid0(VALU_DEP_2) | instskip(NEXT) | instid1(VALU_DEP_1)
	v_dual_add_nc_u32 v1, v1, v73 :: v_dual_add_nc_u32 v6, v6, v74
	v_dual_cndmask_b32 v1, v1, v73, s1 :: v_dual_cndmask_b32 v6, v6, v74, s1
	s_mov_b32 s1, exec_lo
	s_delay_alu instid0(VALU_DEP_1) | instskip(NEXT) | instid1(VALU_DEP_2)
	v_mov_b32_dpp v7, v1 row_shr:2 row_mask:0xf bank_mask:0xf
	v_mov_b32_dpp v8, v6 row_shr:2 row_mask:0xf bank_mask:0xf
	s_delay_alu instid0(VALU_DEP_1) | instskip(NEXT) | instid1(VALU_DEP_1)
	v_dual_add_nc_u32 v7, v1, v7 :: v_dual_add_nc_u32 v8, v6, v8
	v_dual_cndmask_b32 v1, v1, v7, s0 :: v_dual_cndmask_b32 v6, v6, v8, s0
	s_delay_alu instid0(VALU_DEP_1) | instskip(NEXT) | instid1(VALU_DEP_2)
	v_mov_b32_dpp v7, v1 row_shr:4 row_mask:0xf bank_mask:0xf
	v_mov_b32_dpp v8, v6 row_shr:4 row_mask:0xf bank_mask:0xf
	s_delay_alu instid0(VALU_DEP_1) | instskip(NEXT) | instid1(VALU_DEP_1)
	v_dual_add_nc_u32 v7, v1, v7 :: v_dual_add_nc_u32 v8, v6, v8
	v_dual_cndmask_b32 v7, v1, v7 :: v_dual_cndmask_b32 v6, v6, v8
	v_cmp_lt_u32_e32 vcc_lo, 7, v70
	s_delay_alu instid0(VALU_DEP_2) | instskip(NEXT) | instid1(VALU_DEP_3)
	v_mov_b32_dpp v1, v7 row_shr:8 row_mask:0xf bank_mask:0xf
	v_mov_b32_dpp v8, v6 row_shr:8 row_mask:0xf bank_mask:0xf
	s_delay_alu instid0(VALU_DEP_1) | instskip(NEXT) | instid1(VALU_DEP_1)
	v_dual_add_nc_u32 v9, v7, v1 :: v_dual_add_nc_u32 v1, v6, v8
	v_cndmask_b32_e32 v1, v6, v1, vcc_lo
	s_delay_alu instid0(VALU_DEP_2)
	v_cndmask_b32_e32 v6, v7, v9, vcc_lo
	v_cmp_eq_u32_e32 vcc_lo, 0, v72
	ds_swizzle_b32 v8, v6 offset:swizzle(BROADCAST,32,15)
	s_wait_dscnt 0x0
	v_add_nc_u32_e32 v8, v6, v8
	ds_swizzle_b32 v7, v1 offset:swizzle(BROADCAST,32,15)
	s_wait_dscnt 0x0
	v_add_nc_u32_e32 v7, v1, v7
	v_cmpx_eq_u32_e64 v0, v71
; %bb.142:
	s_delay_alu instid0(VALU_DEP_2)
	v_dual_cndmask_b32 v10, v8, v6 :: v_dual_cndmask_b32 v11, v7, v1
	v_lshlrev_b32_e32 v9, 3, v69
	ds_store_b64 v9, v[10:11]
; %bb.143:
	s_or_b32 exec_lo, exec_lo, s1
	s_delay_alu instid0(SALU_CYCLE_1)
	s_mov_b32 s1, exec_lo
	s_wait_dscnt 0x0
	s_barrier_signal -1
	s_barrier_wait -1
	v_cmpx_gt_u32_e32 8, v0
	s_cbranch_execz .LBB1792_145
; %bb.144:
	v_lshlrev_b32_e32 v9, 3, v0
	ds_load_b64 v[10:11], v9
	s_wait_dscnt 0x0
	v_mov_b32_dpp v12, v10 row_shr:1 row_mask:0xf bank_mask:0xf
	v_mov_b32_dpp v13, v11 row_shr:1 row_mask:0xf bank_mask:0xf
	s_delay_alu instid0(VALU_DEP_2) | instskip(NEXT) | instid1(VALU_DEP_2)
	v_dual_add_nc_u32 v12, v12, v10 :: v_dual_bitop2_b32 v28, 7, v68 bitop3:0x40
	v_add_nc_u32_e32 v13, v13, v11
	s_delay_alu instid0(VALU_DEP_2) | instskip(NEXT) | instid1(VALU_DEP_1)
	v_cmp_eq_u32_e64 s0, 0, v28
	v_dual_cndmask_b32 v11, v13, v11, s0 :: v_dual_cndmask_b32 v10, v12, v10, s0
	v_cmp_lt_u32_e64 s0, 1, v28
	s_delay_alu instid0(VALU_DEP_2) | instskip(NEXT) | instid1(VALU_DEP_3)
	v_mov_b32_dpp v13, v11 row_shr:2 row_mask:0xf bank_mask:0xf
	v_mov_b32_dpp v12, v10 row_shr:2 row_mask:0xf bank_mask:0xf
	s_delay_alu instid0(VALU_DEP_1) | instskip(NEXT) | instid1(VALU_DEP_1)
	v_dual_add_nc_u32 v13, v11, v13 :: v_dual_add_nc_u32 v12, v10, v12
	v_dual_cndmask_b32 v11, v11, v13, s0 :: v_dual_cndmask_b32 v10, v10, v12, s0
	v_cmp_lt_u32_e64 s0, 3, v28
	s_delay_alu instid0(VALU_DEP_2) | instskip(NEXT) | instid1(VALU_DEP_3)
	v_mov_b32_dpp v13, v11 row_shr:4 row_mask:0xf bank_mask:0xf
	v_mov_b32_dpp v12, v10 row_shr:4 row_mask:0xf bank_mask:0xf
	s_delay_alu instid0(VALU_DEP_1) | instskip(NEXT) | instid1(VALU_DEP_1)
	v_dual_cndmask_b32 v13, 0, v13, s0 :: v_dual_cndmask_b32 v12, 0, v12, s0
	v_dual_add_nc_u32 v11, v13, v11 :: v_dual_add_nc_u32 v10, v12, v10
	ds_store_b64 v9, v[10:11]
.LBB1792_145:
	s_or_b32 exec_lo, exec_lo, s1
	v_dual_mov_b32 v9, 0 :: v_dual_mov_b32 v10, 0
	v_mov_b32_e32 v11, 0
	s_mov_b32 s1, exec_lo
	s_wait_dscnt 0x0
	s_barrier_signal -1
	s_barrier_wait -1
	v_cmpx_lt_u32_e32 31, v0
; %bb.146:
	v_lshl_add_u32 v10, v69, 3, -8
	ds_load_b64 v[10:11], v10
; %bb.147:
	s_or_b32 exec_lo, exec_lo, s1
	v_sub_co_u32 v12, s0, v68, 1
	v_dual_cndmask_b32 v6, v8, v6 :: v_dual_cndmask_b32 v1, v7, v1
	s_delay_alu instid0(VALU_DEP_2) | instskip(SKIP_1) | instid1(VALU_DEP_1)
	v_cmp_gt_i32_e64 s1, 0, v12
	s_wait_dscnt 0x0
	v_dual_add_nc_u32 v6, v10, v6 :: v_dual_cndmask_b32 v8, v12, v68, s1
	s_delay_alu instid0(VALU_DEP_1)
	v_dual_lshlrev_b32 v7, 2, v8 :: v_dual_add_nc_u32 v8, v11, v1
	ds_bpermute_b32 v1, v7, v6
	ds_bpermute_b32 v12, v7, v8
	ds_load_b64 v[6:7], v9 offset:56
	s_and_saveexec_b32 s1, s2
	s_cbranch_execz .LBB1792_149
; %bb.148:
	s_add_nc_u64 s[6:7], s[36:37], 0x200
	v_dual_mov_b32 v8, 2 :: v_dual_mov_b32 v9, 0
	v_mov_b64_e32 v[28:29], s[6:7]
	s_wait_dscnt 0x0
	;;#ASMSTART
	global_store_b128 v[28:29], v[6:9] off scope:SCOPE_DEV	
s_wait_storecnt 0x0
	;;#ASMEND
.LBB1792_149:
	s_or_b32 exec_lo, exec_lo, s1
	s_wait_dscnt 0x1
	v_dual_cndmask_b32 v9, v12, v11, s0 :: v_dual_cndmask_b32 v11, v1, v10, s0
	v_dual_mov_b32 v10, 0 :: v_dual_mov_b32 v8, 0
	s_wait_dscnt 0x0
	v_mov_b32_e32 v12, v7
	s_delay_alu instid0(VALU_DEP_3)
	v_cndmask_b32_e64 v1, v9, 0, s2
	v_cndmask_b32_e64 v28, v11, 0, s2
	s_barrier_signal -1
	s_barrier_wait -1
.LBB1792_150:
	s_delay_alu instid0(VALU_DEP_1) | instskip(SKIP_2) | instid1(VALU_DEP_3)
	v_dual_add_nc_u32 v74, v1, v67 :: v_dual_add_nc_u32 v75, v28, v66
	v_dual_lshrrev_b32 v72, 16, v42 :: v_dual_lshrrev_b32 v7, 8, v42
	v_dual_lshrrev_b32 v73, 8, v36 :: v_dual_lshrrev_b32 v71, 16, v36
	v_dual_add_nc_u32 v65, v74, v65 :: v_dual_add_nc_u32 v64, v75, v64
	v_dual_mov_b32 v9, 0 :: v_dual_lshlrev_b32 v66, 1, v6
	s_delay_alu instid0(VALU_DEP_2) | instskip(NEXT) | instid1(VALU_DEP_3)
	v_dual_add_nc_u32 v76, v65, v49 :: v_dual_bitop2_b32 v36, 1, v36 bitop3:0x40
	v_add_nc_u32_e32 v63, v64, v63
	v_dual_sub_nc_u32 v28, v28, v8 :: v_dual_sub_nc_u32 v1, v1, v10
	s_delay_alu instid0(VALU_DEP_3) | instskip(NEXT) | instid1(VALU_DEP_3)
	v_dual_add_nc_u32 v62, v76, v62 :: v_dual_bitop2_b32 v77, 1, v7 bitop3:0x40
	v_dual_mov_b32 v7, v9 :: v_dual_add_nc_u32 v78, v63, v48
	v_mov_b32_e32 v11, v9
	s_delay_alu instid0(VALU_DEP_3) | instskip(SKIP_1) | instid1(VALU_DEP_4)
	v_dual_add_nc_u32 v1, v1, v6 :: v_dual_add_nc_u32 v61, v62, v61
	v_add3_u32 v15, v66, v12, v15
	v_add_nc_u32_e32 v60, v78, v60
	s_delay_alu instid0(VALU_DEP_3) | instskip(NEXT) | instid1(VALU_DEP_4)
	v_dual_sub_nc_u32 v74, v74, v10 :: v_dual_add_nc_u32 v81, v28, v1
	v_dual_add_nc_u32 v79, v61, v59 :: v_dual_sub_nc_u32 v75, v75, v8
	s_delay_alu instid0(VALU_DEP_3) | instskip(SKIP_1) | instid1(VALU_DEP_4)
	v_add_nc_u32_e32 v80, v60, v58
	v_cmp_eq_u32_e32 vcc_lo, 1, v77
	v_dual_add_nc_u32 v74, v74, v6 :: v_dual_sub_nc_u32 v64, v64, v8
	s_delay_alu instid0(VALU_DEP_3) | instskip(SKIP_2) | instid1(VALU_DEP_3)
	v_dual_add_nc_u32 v82, v79, v47 :: v_dual_add_nc_u32 v56, v80, v56
	v_dual_sub_nc_u32 v81, v15, v81 :: v_dual_sub_nc_u32 v65, v65, v10
	v_sub_nc_u64_e32 v[58:59], v[4:5], v[6:7]
	v_dual_add_nc_u32 v57, v82, v57 :: v_dual_add_nc_u32 v83, v56, v46
	s_delay_alu instid0(VALU_DEP_3) | instskip(SKIP_1) | instid1(VALU_DEP_3)
	v_dual_cndmask_b32 v1, v81, v1, vcc_lo :: v_dual_add_nc_u32 v81, v74, v75
	v_cmp_eq_u32_e32 vcc_lo, 1, v36
	v_dual_add_nc_u32 v55, v57, v55 :: v_dual_add_nc_u32 v77, v83, v53
	v_and_b32_e32 v72, 1, v72
	v_dual_sub_nc_u32 v63, v63, v8 :: v_dual_bitop2_b32 v49, 1, v49 bitop3:0x40
	s_delay_alu instid0(VALU_DEP_3) | instskip(NEXT) | instid1(VALU_DEP_4)
	v_dual_cndmask_b32 v1, v1, v28 :: v_dual_add_nc_u32 v28, v55, v54
	v_add_nc_u32_e32 v36, v77, v52
	v_add_nc_u32_e32 v54, v65, v6
	v_add_nc_u64_e32 v[52:53], v[58:59], v[10:11]
	s_delay_alu instid0(VALU_DEP_4)
	v_lshlrev_b32_e32 v1, 2, v1
	v_add_nc_u32_e32 v58, v28, v45
	v_dual_add_nc_u32 v51, v36, v51 :: v_dual_sub_nc_u32 v59, v15, v81
	v_add_nc_u32_e32 v65, v54, v64
	ds_store_b32 v1, v26
	v_dual_add_nc_u32 v1, v58, v50 :: v_dual_add_nc_u32 v26, v51, v44
	v_dual_sub_nc_u32 v73, v76, v10 :: v_dual_bitop2_b32 v50, 1, v73 bitop3:0x40
	v_dual_sub_nc_u32 v65, v15, v65 :: v_dual_add_nc_u32 v59, 1, v59
	v_cmp_eq_u32_e32 vcc_lo, 1, v72
	s_delay_alu instid0(VALU_DEP_3) | instskip(NEXT) | instid1(VALU_DEP_3)
	v_dual_add_nc_u32 v73, v73, v6 :: v_dual_bitop2_b32 v71, 1, v71 bitop3:0x40
	v_add_nc_u32_e32 v65, 2, v65
	v_dual_lshrrev_b32 v70, 8, v37 :: v_dual_lshrrev_b32 v69, 16, v37
	v_cndmask_b32_e32 v59, v59, v74, vcc_lo
	v_cmp_eq_u32_e32 vcc_lo, 1, v49
	v_dual_add_nc_u32 v72, v63, v73 :: v_dual_lshrrev_b32 v33, 16, v38
	v_dual_lshrrev_b32 v68, 8, v38 :: v_dual_lshrrev_b32 v31, 16, v40
	v_dual_cndmask_b32 v49, v65, v54 :: v_dual_lshrrev_b32 v32, 8, v40
	v_cmp_eq_u32_e32 vcc_lo, 1, v50
	s_delay_alu instid0(VALU_DEP_4)
	v_dual_sub_nc_u32 v54, v15, v72 :: v_dual_lshrrev_b32 v30, 8, v41
	v_dual_lshrrev_b32 v29, 16, v41 :: v_dual_sub_nc_u32 v1, v1, v10
	v_cndmask_b32_e32 v50, v59, v75, vcc_lo
	v_cmp_eq_u32_e32 vcc_lo, 1, v71
	v_dual_sub_nc_u32 v59, v62, v10 :: v_dual_bitop2_b32 v37, 1, v37 bitop3:0x40
	v_dual_add_nc_u32 v54, 3, v54 :: v_dual_bitop2_b32 v48, 1, v48 bitop3:0x40
	v_cndmask_b32_e32 v49, v49, v64, vcc_lo
	v_dual_sub_nc_u32 v62, v78, v8 :: v_dual_lshlrev_b32 v50, 2, v50
	s_delay_alu instid0(VALU_DEP_4) | instskip(SKIP_1) | instid1(VALU_DEP_4)
	v_add_nc_u32_e32 v59, v59, v6
	v_cmp_eq_u32_e32 vcc_lo, 1, v37
	v_lshlrev_b32_e32 v49, 2, v49
	v_add_nc_u64_e32 v[2:3], v[2:3], v[8:9]
	ds_store_b32 v50, v27
	v_dual_sub_nc_u32 v27, v61, v10 :: v_dual_cndmask_b32 v37, v54, v73, vcc_lo
	v_add_nc_u32_e32 v54, v62, v59
	v_cmp_eq_u32_e32 vcc_lo, 1, v48
	ds_store_b32 v49, v24
	v_dual_sub_nc_u32 v48, v60, v8 :: v_dual_sub_nc_u32 v50, v79, v10
	v_dual_cndmask_b32 v37, v37, v63 :: v_dual_sub_nc_u32 v24, v15, v54
	v_dual_add_nc_u32 v27, v27, v6 :: v_dual_mov_b32 v67, v9
	s_delay_alu instid0(VALU_DEP_2) | instskip(NEXT) | instid1(VALU_DEP_3)
	v_dual_mov_b32 v13, v9 :: v_dual_add_nc_u32 v24, 4, v24
	v_dual_lshlrev_b32 v37, 2, v37 :: v_dual_bitop2_b32 v49, 1, v70 bitop3:0x40
	s_delay_alu instid0(VALU_DEP_3)
	v_add_nc_u32_e32 v54, v48, v27
	s_mov_b32 s0, -1
	v_and_b32_e32 v40, 1, v40
	ds_store_b32 v37, v25
	v_cmp_eq_u32_e32 vcc_lo, 1, v49
	v_dual_sub_nc_u32 v49, v80, v8 :: v_dual_bitop2_b32 v38, 1, v38 bitop3:0x40
	v_dual_add_nc_u32 v50, v50, v6 :: v_dual_bitop2_b32 v37, 1, v69 bitop3:0x40
	v_cndmask_b32_e32 v24, v24, v59, vcc_lo
	s_delay_alu instid0(VALU_DEP_3) | instskip(SKIP_1) | instid1(VALU_DEP_3)
	v_cmp_eq_u32_e32 vcc_lo, 1, v38
	v_and_b32_e32 v32, 1, v32
	v_dual_cndmask_b32 v24, v24, v62, vcc_lo :: v_dual_bitop2_b32 v31, 1, v31 bitop3:0x40
	v_sub_nc_u32_e32 v54, v15, v54
	v_cmp_eq_u32_e32 vcc_lo, 1, v37
	s_delay_alu instid0(VALU_DEP_3) | instskip(NEXT) | instid1(VALU_DEP_3)
	v_dual_sub_nc_u32 v37, v57, v10 :: v_dual_lshlrev_b32 v24, 2, v24
	v_add_nc_u32_e32 v38, 5, v54
	v_dual_add_nc_u32 v25, v49, v50 :: v_dual_bitop2_b32 v54, 1, v68 bitop3:0x40
	ds_store_b32 v24, v22
	v_dual_cndmask_b32 v27, v38, v27, vcc_lo :: v_dual_sub_nc_u32 v25, v15, v25
	v_and_b32_e32 v22, 1, v47
	v_cmp_eq_u32_e32 vcc_lo, 1, v54
	v_dual_sub_nc_u32 v38, v55, v10 :: v_dual_sub_nc_u32 v47, v77, v8
	s_delay_alu instid0(VALU_DEP_4) | instskip(SKIP_3) | instid1(VALU_DEP_3)
	v_dual_cndmask_b32 v25, v27, v48 :: v_dual_add_nc_u32 v24, 6, v25
	v_sub_nc_u32_e32 v27, v82, v10
	v_cmp_eq_u32_e32 vcc_lo, 1, v22
	v_and_b32_e32 v33, 1, v33
	v_dual_lshlrev_b32 v25, 2, v25 :: v_dual_add_nc_u32 v27, v27, v6
	v_cndmask_b32_e32 v22, v24, v50, vcc_lo
	v_sub_nc_u32_e32 v24, v56, v8
	s_delay_alu instid0(VALU_DEP_4)
	v_cmp_eq_u32_e32 vcc_lo, 1, v33
	ds_store_b32 v25, v23
	v_dual_sub_nc_u32 v23, v83, v8 :: v_dual_add_nc_u32 v25, v37, v6
	v_dual_cndmask_b32 v22, v22, v49 :: v_dual_add_nc_u32 v33, v24, v27
	v_and_b32_e32 v37, 1, v46
	v_cmp_eq_u32_e32 vcc_lo, 1, v40
	s_delay_alu instid0(VALU_DEP_4) | instskip(NEXT) | instid1(VALU_DEP_4)
	v_add_nc_u32_e32 v46, v23, v25
	v_dual_sub_nc_u32 v33, v15, v33 :: v_dual_lshlrev_b32 v22, 2, v22
	s_delay_alu instid0(VALU_DEP_1)
	v_dual_sub_nc_u32 v46, v15, v46 :: v_dual_add_nc_u32 v33, 7, v33
	v_add_nc_u32_e32 v38, v38, v6
	ds_store_b32 v22, v20
	v_dual_cndmask_b32 v27, v33, v27, vcc_lo :: v_dual_bitop2_b32 v22, 1, v45 bitop3:0x40
	v_cmp_eq_u32_e32 vcc_lo, 1, v37
	v_add_nc_u32_e32 v33, v47, v38
	s_delay_alu instid0(VALU_DEP_3) | instskip(SKIP_2) | instid1(VALU_DEP_3)
	v_dual_add_nc_u32 v40, 8, v46 :: v_dual_cndmask_b32 v24, v27, v24, vcc_lo
	v_and_b32_e32 v27, 1, v41
	v_cmp_eq_u32_e32 vcc_lo, 1, v32
	v_dual_sub_nc_u32 v33, v15, v33 :: v_dual_lshlrev_b32 v24, 2, v24
	s_delay_alu instid0(VALU_DEP_4) | instskip(NEXT) | instid1(VALU_DEP_4)
	v_cndmask_b32_e32 v25, v40, v25, vcc_lo
	v_cmp_eq_u32_e32 vcc_lo, 1, v27
	s_delay_alu instid0(VALU_DEP_3) | instskip(NEXT) | instid1(VALU_DEP_3)
	v_dual_add_nc_u32 v32, 9, v33 :: v_dual_bitop2_b32 v27, 1, v30 bitop3:0x40
	v_dual_cndmask_b32 v23, v25, v23 :: v_dual_sub_nc_u32 v30, v36, v8
	v_sub_nc_u32_e32 v25, v28, v10
	v_cmp_eq_u32_e32 vcc_lo, 1, v31
	s_delay_alu instid0(VALU_DEP_2)
	v_dual_lshlrev_b32 v23, 2, v23 :: v_dual_add_nc_u32 v25, v25, v6
	v_cndmask_b32_e32 v28, v32, v38, vcc_lo
	v_cmp_eq_u32_e32 vcc_lo, 1, v27
	ds_store_b32 v24, v21
	ds_store_b32 v23, v18
	v_sub_nc_u32_e32 v21, v58, v10
	v_dual_add_nc_u32 v20, v30, v25 :: v_dual_sub_nc_u32 v23, v51, v8
	v_dual_cndmask_b32 v27, v28, v47 :: v_dual_sub_nc_u32 v8, v26, v8
	s_delay_alu instid0(VALU_DEP_2) | instskip(NEXT) | instid1(VALU_DEP_2)
	v_dual_add_nc_u32 v1, v1, v6 :: v_dual_sub_nc_u32 v20, v15, v20
	v_dual_add_nc_u32 v21, v21, v6 :: v_dual_lshlrev_b32 v18, 2, v27
	v_cmp_eq_u32_e32 vcc_lo, 1, v22
	s_delay_alu instid0(VALU_DEP_3) | instskip(SKIP_3) | instid1(VALU_DEP_1)
	v_dual_add_nc_u32 v22, v8, v1 :: v_dual_add_nc_u32 v20, 10, v20
	ds_store_b32 v18, v19
	v_cndmask_b32_e32 v20, v20, v25, vcc_lo
	v_add_nc_u32_e32 v26, v23, v21
	v_dual_sub_nc_u32 v18, v15, v26 :: v_dual_bitop2_b32 v24, 1, v29 bitop3:0x40
	s_delay_alu instid0(VALU_DEP_1) | instskip(SKIP_1) | instid1(VALU_DEP_3)
	v_cmp_eq_u32_e32 vcc_lo, 1, v24
	v_dual_sub_nc_u32 v15, v15, v22 :: v_dual_bitop2_b32 v24, 1, v39 bitop3:0x40
	v_dual_add_nc_u32 v25, 11, v18 :: v_dual_bitop2_b32 v22, 1, v44 bitop3:0x40
	v_cndmask_b32_e32 v20, v20, v30, vcc_lo
	s_delay_alu instid0(VALU_DEP_3) | instskip(SKIP_4) | instid1(VALU_DEP_4)
	v_cmp_eq_u32_e32 vcc_lo, 1, v24
	v_and_b32_e32 v26, 1, v43
	v_dual_add_nc_u32 v15, 12, v15 :: v_dual_bitop2_b32 v24, 1, v42 bitop3:0x40
	v_add_nc_u64_e32 v[18:19], v[12:13], v[66:67]
	v_cndmask_b32_e32 v21, v25, v21, vcc_lo
	v_cmp_eq_u32_e32 vcc_lo, 1, v26
	s_delay_alu instid0(VALU_DEP_4)
	v_dual_cndmask_b32 v1, v15, v1 :: v_dual_lshlrev_b32 v20, 2, v20
	v_cmp_eq_u32_e32 vcc_lo, 1, v22
	v_add_nc_u64_e32 v[18:19], v[18:19], v[52:53]
	v_mov_b32_e32 v15, v9
	ds_store_b32 v20, v16
	v_cndmask_b32_e32 v21, v21, v23, vcc_lo
	v_cmp_eq_u32_e32 vcc_lo, 1, v24
	s_delay_alu instid0(VALU_DEP_2)
	v_dual_cndmask_b32 v1, v1, v8 :: v_dual_lshlrev_b32 v22, 2, v21
	v_add_nc_u64_e32 v[8:9], s[34:35], v[14:15]
	v_add_nc_u64_e32 v[14:15], v[18:19], v[2:3]
	v_lshlrev_b64_e32 v[18:19], 2, v[52:53]
	v_lshlrev_b64_e32 v[20:21], 2, v[2:3]
	v_lshlrev_b32_e32 v1, 2, v1
	v_cmp_ne_u32_e32 vcc_lo, 1, v35
	v_sub_nc_u64_e32 v[14:15], v[8:9], v[14:15]
	v_add_nc_u64_e32 v[8:9], s[30:31], v[18:19]
	v_add_nc_u32_e32 v18, v6, v12
	ds_store_b32 v22, v17
	ds_store_b32 v1, v34
	v_add_nc_u64_e32 v[16:17], s[28:29], v[20:21]
	s_wait_dscnt 0x0
	s_barrier_signal -1
	s_barrier_wait -1
	s_cbranch_vccz .LBB1792_154
; %bb.151:
	s_and_b32 vcc_lo, exec_lo, s0
	s_cbranch_vccnz .LBB1792_259
.LBB1792_152:
	s_and_b32 s0, s2, s26
	s_delay_alu instid0(SALU_CYCLE_1)
	s_and_saveexec_b32 s1, s0
	s_cbranch_execnz .LBB1792_377
.LBB1792_153:
	s_sendmsg sendmsg(MSG_DEALLOC_VGPRS)
	s_endpgm
.LBB1792_154:
	s_mov_b32 s0, exec_lo
	v_cmpx_ge_u32_e64 v0, v6
	s_xor_b32 s0, exec_lo, s0
	s_cbranch_execz .LBB1792_160
; %bb.155:
	v_mov_b32_e32 v1, 0
	s_mov_b32 s1, exec_lo
	v_cmpx_ge_u32_e64 v0, v18
	s_xor_b32 s1, exec_lo, s1
	s_cbranch_execz .LBB1792_157
; %bb.156:
	v_lshlrev_b32_e32 v19, 2, v0
	v_add_nc_u64_e32 v[20:21], v[14:15], v[0:1]
	ds_load_b32 v1, v19
	v_lshlrev_b64_e32 v[20:21], 2, v[20:21]
	s_delay_alu instid0(VALU_DEP_1)
	v_sub_nc_u64_e32 v[20:21], s[14:15], v[20:21]
	s_wait_dscnt 0x0
	global_store_b32 v[20:21], v1, off offset:-4
.LBB1792_157:
	s_wait_xcnt 0x0
	s_and_not1_saveexec_b32 s1, s1
	s_cbranch_execz .LBB1792_159
; %bb.158:
	v_lshlrev_b32_e32 v1, 2, v0
	v_readfirstlane_b32 s6, v8
	v_readfirstlane_b32 s7, v9
	ds_load_b32 v1, v1
	s_wait_dscnt 0x0
	global_store_b32 v0, v1, s[6:7] scale_offset
.LBB1792_159:
	s_wait_xcnt 0x0
	s_or_b32 exec_lo, exec_lo, s1
.LBB1792_160:
	s_and_not1_saveexec_b32 s0, s0
	s_cbranch_execz .LBB1792_162
; %bb.161:
	v_lshlrev_b32_e32 v1, 2, v0
	v_readfirstlane_b32 s6, v16
	v_readfirstlane_b32 s7, v17
	ds_load_b32 v1, v1
	s_wait_dscnt 0x0
	global_store_b32 v0, v1, s[6:7] scale_offset
.LBB1792_162:
	s_wait_xcnt 0x0
	s_or_b32 exec_lo, exec_lo, s0
	v_or_b32_e32 v1, 0x100, v0
	s_mov_b32 s0, exec_lo
	s_delay_alu instid0(VALU_DEP_1)
	v_cmpx_ge_u32_e64 v1, v6
	s_xor_b32 s0, exec_lo, s0
	s_cbranch_execz .LBB1792_168
; %bb.163:
	s_mov_b32 s1, exec_lo
	v_cmpx_ge_u32_e64 v1, v18
	s_xor_b32 s1, exec_lo, s1
	s_cbranch_execz .LBB1792_165
; %bb.164:
	v_dual_mov_b32 v1, 0 :: v_dual_lshlrev_b32 v19, 2, v0
	s_delay_alu instid0(VALU_DEP_1) | instskip(SKIP_2) | instid1(VALU_DEP_1)
	v_add_nc_u64_e32 v[20:21], v[14:15], v[0:1]
	ds_load_b32 v1, v19 offset:1024
	v_lshlrev_b64_e32 v[20:21], 2, v[20:21]
	v_sub_nc_u64_e32 v[20:21], s[14:15], v[20:21]
	s_wait_dscnt 0x0
	global_store_b32 v[20:21], v1, off offset:-1028
.LBB1792_165:
	s_wait_xcnt 0x0
	s_and_not1_saveexec_b32 s1, s1
	s_cbranch_execz .LBB1792_167
; %bb.166:
	v_lshlrev_b32_e32 v1, 2, v0
	v_readfirstlane_b32 s6, v8
	v_readfirstlane_b32 s7, v9
	ds_load_b32 v1, v1 offset:1024
	s_wait_dscnt 0x0
	global_store_b32 v0, v1, s[6:7] offset:1024 scale_offset
.LBB1792_167:
	s_wait_xcnt 0x0
	s_or_b32 exec_lo, exec_lo, s1
.LBB1792_168:
	s_and_not1_saveexec_b32 s0, s0
	s_cbranch_execz .LBB1792_170
; %bb.169:
	v_lshlrev_b32_e32 v1, 2, v0
	v_readfirstlane_b32 s6, v16
	v_readfirstlane_b32 s7, v17
	ds_load_b32 v1, v1 offset:1024
	s_wait_dscnt 0x0
	global_store_b32 v0, v1, s[6:7] offset:1024 scale_offset
.LBB1792_170:
	s_wait_xcnt 0x0
	s_or_b32 exec_lo, exec_lo, s0
	v_or_b32_e32 v1, 0x200, v0
	s_mov_b32 s0, exec_lo
	s_delay_alu instid0(VALU_DEP_1)
	v_cmpx_ge_u32_e64 v1, v6
	s_xor_b32 s0, exec_lo, s0
	s_cbranch_execz .LBB1792_176
; %bb.171:
	s_mov_b32 s1, exec_lo
	v_cmpx_ge_u32_e64 v1, v18
	s_xor_b32 s1, exec_lo, s1
	s_cbranch_execz .LBB1792_173
; %bb.172:
	v_dual_mov_b32 v1, 0 :: v_dual_lshlrev_b32 v19, 2, v0
	s_delay_alu instid0(VALU_DEP_1) | instskip(SKIP_2) | instid1(VALU_DEP_1)
	v_add_nc_u64_e32 v[20:21], v[14:15], v[0:1]
	ds_load_b32 v1, v19 offset:2048
	v_lshlrev_b64_e32 v[20:21], 2, v[20:21]
	v_sub_nc_u64_e32 v[20:21], s[14:15], v[20:21]
	s_wait_dscnt 0x0
	global_store_b32 v[20:21], v1, off offset:-2052
.LBB1792_173:
	s_wait_xcnt 0x0
	s_and_not1_saveexec_b32 s1, s1
	s_cbranch_execz .LBB1792_175
; %bb.174:
	v_lshlrev_b32_e32 v1, 2, v0
	v_readfirstlane_b32 s6, v8
	v_readfirstlane_b32 s7, v9
	ds_load_b32 v1, v1 offset:2048
	s_wait_dscnt 0x0
	global_store_b32 v0, v1, s[6:7] offset:2048 scale_offset
.LBB1792_175:
	s_wait_xcnt 0x0
	s_or_b32 exec_lo, exec_lo, s1
.LBB1792_176:
	s_and_not1_saveexec_b32 s0, s0
	s_cbranch_execz .LBB1792_178
; %bb.177:
	v_lshlrev_b32_e32 v1, 2, v0
	v_readfirstlane_b32 s6, v16
	v_readfirstlane_b32 s7, v17
	ds_load_b32 v1, v1 offset:2048
	s_wait_dscnt 0x0
	global_store_b32 v0, v1, s[6:7] offset:2048 scale_offset
.LBB1792_178:
	s_wait_xcnt 0x0
	s_or_b32 exec_lo, exec_lo, s0
	v_or_b32_e32 v1, 0x300, v0
	s_mov_b32 s0, exec_lo
	s_delay_alu instid0(VALU_DEP_1)
	v_cmpx_ge_u32_e64 v1, v6
	s_xor_b32 s0, exec_lo, s0
	s_cbranch_execz .LBB1792_184
; %bb.179:
	s_mov_b32 s1, exec_lo
	v_cmpx_ge_u32_e64 v1, v18
	s_xor_b32 s1, exec_lo, s1
	s_cbranch_execz .LBB1792_181
; %bb.180:
	v_dual_mov_b32 v1, 0 :: v_dual_lshlrev_b32 v19, 2, v0
	s_delay_alu instid0(VALU_DEP_1) | instskip(SKIP_2) | instid1(VALU_DEP_1)
	v_add_nc_u64_e32 v[20:21], v[14:15], v[0:1]
	ds_load_b32 v1, v19 offset:3072
	v_lshlrev_b64_e32 v[20:21], 2, v[20:21]
	v_sub_nc_u64_e32 v[20:21], s[14:15], v[20:21]
	s_wait_dscnt 0x0
	global_store_b32 v[20:21], v1, off offset:-3076
.LBB1792_181:
	s_wait_xcnt 0x0
	s_and_not1_saveexec_b32 s1, s1
	s_cbranch_execz .LBB1792_183
; %bb.182:
	v_lshlrev_b32_e32 v1, 2, v0
	v_readfirstlane_b32 s6, v8
	v_readfirstlane_b32 s7, v9
	ds_load_b32 v1, v1 offset:3072
	s_wait_dscnt 0x0
	global_store_b32 v0, v1, s[6:7] offset:3072 scale_offset
.LBB1792_183:
	s_wait_xcnt 0x0
	s_or_b32 exec_lo, exec_lo, s1
.LBB1792_184:
	s_and_not1_saveexec_b32 s0, s0
	s_cbranch_execz .LBB1792_186
; %bb.185:
	v_lshlrev_b32_e32 v1, 2, v0
	v_readfirstlane_b32 s6, v16
	v_readfirstlane_b32 s7, v17
	ds_load_b32 v1, v1 offset:3072
	s_wait_dscnt 0x0
	global_store_b32 v0, v1, s[6:7] offset:3072 scale_offset
.LBB1792_186:
	s_wait_xcnt 0x0
	s_or_b32 exec_lo, exec_lo, s0
	v_or_b32_e32 v1, 0x400, v0
	s_mov_b32 s0, exec_lo
	s_delay_alu instid0(VALU_DEP_1)
	v_cmpx_ge_u32_e64 v1, v6
	s_xor_b32 s0, exec_lo, s0
	s_cbranch_execz .LBB1792_192
; %bb.187:
	s_mov_b32 s1, exec_lo
	v_cmpx_ge_u32_e64 v1, v18
	s_xor_b32 s1, exec_lo, s1
	s_cbranch_execz .LBB1792_189
; %bb.188:
	v_dual_mov_b32 v1, 0 :: v_dual_lshlrev_b32 v19, 2, v0
	s_delay_alu instid0(VALU_DEP_1) | instskip(SKIP_2) | instid1(VALU_DEP_1)
	v_add_nc_u64_e32 v[20:21], v[14:15], v[0:1]
	ds_load_b32 v1, v19 offset:4096
	v_lshlrev_b64_e32 v[20:21], 2, v[20:21]
	v_sub_nc_u64_e32 v[20:21], s[14:15], v[20:21]
	s_wait_dscnt 0x0
	global_store_b32 v[20:21], v1, off offset:-4100
.LBB1792_189:
	s_wait_xcnt 0x0
	s_and_not1_saveexec_b32 s1, s1
	s_cbranch_execz .LBB1792_191
; %bb.190:
	v_lshlrev_b32_e32 v1, 2, v0
	v_readfirstlane_b32 s6, v8
	v_readfirstlane_b32 s7, v9
	ds_load_b32 v1, v1 offset:4096
	s_wait_dscnt 0x0
	global_store_b32 v0, v1, s[6:7] offset:4096 scale_offset
.LBB1792_191:
	s_wait_xcnt 0x0
	s_or_b32 exec_lo, exec_lo, s1
.LBB1792_192:
	s_and_not1_saveexec_b32 s0, s0
	s_cbranch_execz .LBB1792_194
; %bb.193:
	v_lshlrev_b32_e32 v1, 2, v0
	v_readfirstlane_b32 s6, v16
	v_readfirstlane_b32 s7, v17
	ds_load_b32 v1, v1 offset:4096
	s_wait_dscnt 0x0
	global_store_b32 v0, v1, s[6:7] offset:4096 scale_offset
.LBB1792_194:
	s_wait_xcnt 0x0
	s_or_b32 exec_lo, exec_lo, s0
	v_or_b32_e32 v1, 0x500, v0
	s_mov_b32 s0, exec_lo
	s_delay_alu instid0(VALU_DEP_1)
	v_cmpx_ge_u32_e64 v1, v6
	s_xor_b32 s0, exec_lo, s0
	s_cbranch_execz .LBB1792_200
; %bb.195:
	s_mov_b32 s1, exec_lo
	v_cmpx_ge_u32_e64 v1, v18
	s_xor_b32 s1, exec_lo, s1
	s_cbranch_execz .LBB1792_197
; %bb.196:
	v_dual_mov_b32 v1, 0 :: v_dual_lshlrev_b32 v19, 2, v0
	s_delay_alu instid0(VALU_DEP_1) | instskip(SKIP_2) | instid1(VALU_DEP_1)
	v_add_nc_u64_e32 v[20:21], v[14:15], v[0:1]
	ds_load_b32 v1, v19 offset:5120
	v_lshlrev_b64_e32 v[20:21], 2, v[20:21]
	v_sub_nc_u64_e32 v[20:21], s[14:15], v[20:21]
	s_wait_dscnt 0x0
	global_store_b32 v[20:21], v1, off offset:-5124
.LBB1792_197:
	s_wait_xcnt 0x0
	s_and_not1_saveexec_b32 s1, s1
	s_cbranch_execz .LBB1792_199
; %bb.198:
	v_lshlrev_b32_e32 v1, 2, v0
	v_readfirstlane_b32 s6, v8
	v_readfirstlane_b32 s7, v9
	ds_load_b32 v1, v1 offset:5120
	s_wait_dscnt 0x0
	global_store_b32 v0, v1, s[6:7] offset:5120 scale_offset
.LBB1792_199:
	s_wait_xcnt 0x0
	s_or_b32 exec_lo, exec_lo, s1
.LBB1792_200:
	s_and_not1_saveexec_b32 s0, s0
	s_cbranch_execz .LBB1792_202
; %bb.201:
	v_lshlrev_b32_e32 v1, 2, v0
	v_readfirstlane_b32 s6, v16
	v_readfirstlane_b32 s7, v17
	ds_load_b32 v1, v1 offset:5120
	s_wait_dscnt 0x0
	global_store_b32 v0, v1, s[6:7] offset:5120 scale_offset
.LBB1792_202:
	s_wait_xcnt 0x0
	s_or_b32 exec_lo, exec_lo, s0
	v_or_b32_e32 v1, 0x600, v0
	s_mov_b32 s0, exec_lo
	s_delay_alu instid0(VALU_DEP_1)
	v_cmpx_ge_u32_e64 v1, v6
	s_xor_b32 s0, exec_lo, s0
	s_cbranch_execz .LBB1792_208
; %bb.203:
	s_mov_b32 s1, exec_lo
	v_cmpx_ge_u32_e64 v1, v18
	s_xor_b32 s1, exec_lo, s1
	s_cbranch_execz .LBB1792_205
; %bb.204:
	v_dual_mov_b32 v1, 0 :: v_dual_lshlrev_b32 v19, 2, v0
	s_delay_alu instid0(VALU_DEP_1) | instskip(SKIP_2) | instid1(VALU_DEP_1)
	v_add_nc_u64_e32 v[20:21], v[14:15], v[0:1]
	ds_load_b32 v1, v19 offset:6144
	v_lshlrev_b64_e32 v[20:21], 2, v[20:21]
	v_sub_nc_u64_e32 v[20:21], s[14:15], v[20:21]
	s_wait_dscnt 0x0
	global_store_b32 v[20:21], v1, off offset:-6148
.LBB1792_205:
	s_wait_xcnt 0x0
	s_and_not1_saveexec_b32 s1, s1
	s_cbranch_execz .LBB1792_207
; %bb.206:
	v_lshlrev_b32_e32 v1, 2, v0
	v_readfirstlane_b32 s6, v8
	v_readfirstlane_b32 s7, v9
	ds_load_b32 v1, v1 offset:6144
	s_wait_dscnt 0x0
	global_store_b32 v0, v1, s[6:7] offset:6144 scale_offset
.LBB1792_207:
	s_wait_xcnt 0x0
	s_or_b32 exec_lo, exec_lo, s1
.LBB1792_208:
	s_and_not1_saveexec_b32 s0, s0
	s_cbranch_execz .LBB1792_210
; %bb.209:
	v_lshlrev_b32_e32 v1, 2, v0
	v_readfirstlane_b32 s6, v16
	v_readfirstlane_b32 s7, v17
	ds_load_b32 v1, v1 offset:6144
	s_wait_dscnt 0x0
	global_store_b32 v0, v1, s[6:7] offset:6144 scale_offset
.LBB1792_210:
	s_wait_xcnt 0x0
	s_or_b32 exec_lo, exec_lo, s0
	v_or_b32_e32 v1, 0x700, v0
	s_mov_b32 s0, exec_lo
	s_delay_alu instid0(VALU_DEP_1)
	v_cmpx_ge_u32_e64 v1, v6
	s_xor_b32 s0, exec_lo, s0
	s_cbranch_execz .LBB1792_216
; %bb.211:
	s_mov_b32 s1, exec_lo
	v_cmpx_ge_u32_e64 v1, v18
	s_xor_b32 s1, exec_lo, s1
	s_cbranch_execz .LBB1792_213
; %bb.212:
	v_dual_mov_b32 v1, 0 :: v_dual_lshlrev_b32 v19, 2, v0
	s_delay_alu instid0(VALU_DEP_1) | instskip(SKIP_2) | instid1(VALU_DEP_1)
	v_add_nc_u64_e32 v[20:21], v[14:15], v[0:1]
	ds_load_b32 v1, v19 offset:7168
	v_lshlrev_b64_e32 v[20:21], 2, v[20:21]
	v_sub_nc_u64_e32 v[20:21], s[14:15], v[20:21]
	s_wait_dscnt 0x0
	global_store_b32 v[20:21], v1, off offset:-7172
.LBB1792_213:
	s_wait_xcnt 0x0
	s_and_not1_saveexec_b32 s1, s1
	s_cbranch_execz .LBB1792_215
; %bb.214:
	v_lshlrev_b32_e32 v1, 2, v0
	v_readfirstlane_b32 s6, v8
	v_readfirstlane_b32 s7, v9
	ds_load_b32 v1, v1 offset:7168
	s_wait_dscnt 0x0
	global_store_b32 v0, v1, s[6:7] offset:7168 scale_offset
.LBB1792_215:
	s_wait_xcnt 0x0
	s_or_b32 exec_lo, exec_lo, s1
.LBB1792_216:
	s_and_not1_saveexec_b32 s0, s0
	s_cbranch_execz .LBB1792_218
; %bb.217:
	v_lshlrev_b32_e32 v1, 2, v0
	v_readfirstlane_b32 s6, v16
	v_readfirstlane_b32 s7, v17
	ds_load_b32 v1, v1 offset:7168
	s_wait_dscnt 0x0
	global_store_b32 v0, v1, s[6:7] offset:7168 scale_offset
.LBB1792_218:
	s_wait_xcnt 0x0
	s_or_b32 exec_lo, exec_lo, s0
	v_or_b32_e32 v1, 0x800, v0
	s_mov_b32 s0, exec_lo
	s_delay_alu instid0(VALU_DEP_1)
	v_cmpx_ge_u32_e64 v1, v6
	s_xor_b32 s0, exec_lo, s0
	s_cbranch_execz .LBB1792_224
; %bb.219:
	s_mov_b32 s1, exec_lo
	v_cmpx_ge_u32_e64 v1, v18
	s_xor_b32 s1, exec_lo, s1
	s_cbranch_execz .LBB1792_221
; %bb.220:
	v_dual_mov_b32 v1, 0 :: v_dual_lshlrev_b32 v19, 2, v0
	s_delay_alu instid0(VALU_DEP_1) | instskip(SKIP_2) | instid1(VALU_DEP_1)
	v_add_nc_u64_e32 v[20:21], v[14:15], v[0:1]
	ds_load_b32 v1, v19 offset:8192
	v_lshlrev_b64_e32 v[20:21], 2, v[20:21]
	v_sub_nc_u64_e32 v[20:21], s[14:15], v[20:21]
	s_wait_dscnt 0x0
	global_store_b32 v[20:21], v1, off offset:-8196
.LBB1792_221:
	s_wait_xcnt 0x0
	s_and_not1_saveexec_b32 s1, s1
	s_cbranch_execz .LBB1792_223
; %bb.222:
	v_lshlrev_b32_e32 v1, 2, v0
	v_readfirstlane_b32 s6, v8
	v_readfirstlane_b32 s7, v9
	ds_load_b32 v1, v1 offset:8192
	s_wait_dscnt 0x0
	global_store_b32 v0, v1, s[6:7] offset:8192 scale_offset
.LBB1792_223:
	s_wait_xcnt 0x0
	s_or_b32 exec_lo, exec_lo, s1
.LBB1792_224:
	s_and_not1_saveexec_b32 s0, s0
	s_cbranch_execz .LBB1792_226
; %bb.225:
	v_lshlrev_b32_e32 v1, 2, v0
	v_readfirstlane_b32 s6, v16
	v_readfirstlane_b32 s7, v17
	ds_load_b32 v1, v1 offset:8192
	s_wait_dscnt 0x0
	global_store_b32 v0, v1, s[6:7] offset:8192 scale_offset
.LBB1792_226:
	s_wait_xcnt 0x0
	s_or_b32 exec_lo, exec_lo, s0
	v_or_b32_e32 v1, 0x900, v0
	s_mov_b32 s0, exec_lo
	s_delay_alu instid0(VALU_DEP_1)
	v_cmpx_ge_u32_e64 v1, v6
	s_xor_b32 s0, exec_lo, s0
	s_cbranch_execz .LBB1792_232
; %bb.227:
	s_mov_b32 s1, exec_lo
	v_cmpx_ge_u32_e64 v1, v18
	s_xor_b32 s1, exec_lo, s1
	s_cbranch_execz .LBB1792_229
; %bb.228:
	v_dual_mov_b32 v1, 0 :: v_dual_lshlrev_b32 v19, 2, v0
	s_delay_alu instid0(VALU_DEP_1) | instskip(SKIP_2) | instid1(VALU_DEP_1)
	v_add_nc_u64_e32 v[20:21], v[14:15], v[0:1]
	ds_load_b32 v1, v19 offset:9216
	v_lshlrev_b64_e32 v[20:21], 2, v[20:21]
	v_sub_nc_u64_e32 v[20:21], s[14:15], v[20:21]
	s_wait_dscnt 0x0
	global_store_b32 v[20:21], v1, off offset:-9220
.LBB1792_229:
	s_wait_xcnt 0x0
	s_and_not1_saveexec_b32 s1, s1
	s_cbranch_execz .LBB1792_231
; %bb.230:
	v_lshlrev_b32_e32 v1, 2, v0
	v_readfirstlane_b32 s6, v8
	v_readfirstlane_b32 s7, v9
	ds_load_b32 v1, v1 offset:9216
	s_wait_dscnt 0x0
	global_store_b32 v0, v1, s[6:7] offset:9216 scale_offset
.LBB1792_231:
	s_wait_xcnt 0x0
	s_or_b32 exec_lo, exec_lo, s1
.LBB1792_232:
	s_and_not1_saveexec_b32 s0, s0
	s_cbranch_execz .LBB1792_234
; %bb.233:
	v_lshlrev_b32_e32 v1, 2, v0
	v_readfirstlane_b32 s6, v16
	v_readfirstlane_b32 s7, v17
	ds_load_b32 v1, v1 offset:9216
	s_wait_dscnt 0x0
	global_store_b32 v0, v1, s[6:7] offset:9216 scale_offset
.LBB1792_234:
	s_wait_xcnt 0x0
	s_or_b32 exec_lo, exec_lo, s0
	v_or_b32_e32 v1, 0xa00, v0
	s_mov_b32 s0, exec_lo
	s_delay_alu instid0(VALU_DEP_1)
	v_cmpx_ge_u32_e64 v1, v6
	s_xor_b32 s0, exec_lo, s0
	s_cbranch_execz .LBB1792_240
; %bb.235:
	s_mov_b32 s1, exec_lo
	v_cmpx_ge_u32_e64 v1, v18
	s_xor_b32 s1, exec_lo, s1
	s_cbranch_execz .LBB1792_237
; %bb.236:
	v_dual_mov_b32 v1, 0 :: v_dual_lshlrev_b32 v19, 2, v0
	s_delay_alu instid0(VALU_DEP_1) | instskip(SKIP_2) | instid1(VALU_DEP_1)
	v_add_nc_u64_e32 v[20:21], v[14:15], v[0:1]
	ds_load_b32 v1, v19 offset:10240
	v_lshlrev_b64_e32 v[20:21], 2, v[20:21]
	v_sub_nc_u64_e32 v[20:21], s[14:15], v[20:21]
	s_wait_dscnt 0x0
	global_store_b32 v[20:21], v1, off offset:-10244
.LBB1792_237:
	s_wait_xcnt 0x0
	s_and_not1_saveexec_b32 s1, s1
	s_cbranch_execz .LBB1792_239
; %bb.238:
	v_lshlrev_b32_e32 v1, 2, v0
	v_readfirstlane_b32 s6, v8
	v_readfirstlane_b32 s7, v9
	ds_load_b32 v1, v1 offset:10240
	s_wait_dscnt 0x0
	global_store_b32 v0, v1, s[6:7] offset:10240 scale_offset
.LBB1792_239:
	s_wait_xcnt 0x0
	s_or_b32 exec_lo, exec_lo, s1
.LBB1792_240:
	s_and_not1_saveexec_b32 s0, s0
	s_cbranch_execz .LBB1792_242
; %bb.241:
	v_lshlrev_b32_e32 v1, 2, v0
	v_readfirstlane_b32 s6, v16
	v_readfirstlane_b32 s7, v17
	ds_load_b32 v1, v1 offset:10240
	s_wait_dscnt 0x0
	global_store_b32 v0, v1, s[6:7] offset:10240 scale_offset
.LBB1792_242:
	s_wait_xcnt 0x0
	s_or_b32 exec_lo, exec_lo, s0
	v_or_b32_e32 v1, 0xb00, v0
	s_mov_b32 s0, exec_lo
	s_delay_alu instid0(VALU_DEP_1)
	v_cmpx_ge_u32_e64 v1, v6
	s_xor_b32 s0, exec_lo, s0
	s_cbranch_execz .LBB1792_248
; %bb.243:
	s_mov_b32 s1, exec_lo
	v_cmpx_ge_u32_e64 v1, v18
	s_xor_b32 s1, exec_lo, s1
	s_cbranch_execz .LBB1792_245
; %bb.244:
	v_dual_mov_b32 v1, 0 :: v_dual_lshlrev_b32 v19, 2, v0
	s_delay_alu instid0(VALU_DEP_1) | instskip(SKIP_2) | instid1(VALU_DEP_1)
	v_add_nc_u64_e32 v[20:21], v[14:15], v[0:1]
	ds_load_b32 v1, v19 offset:11264
	v_lshlrev_b64_e32 v[20:21], 2, v[20:21]
	v_sub_nc_u64_e32 v[20:21], s[14:15], v[20:21]
	s_wait_dscnt 0x0
	global_store_b32 v[20:21], v1, off offset:-11268
.LBB1792_245:
	s_wait_xcnt 0x0
	s_and_not1_saveexec_b32 s1, s1
	s_cbranch_execz .LBB1792_247
; %bb.246:
	v_lshlrev_b32_e32 v1, 2, v0
	v_readfirstlane_b32 s6, v8
	v_readfirstlane_b32 s7, v9
	ds_load_b32 v1, v1 offset:11264
	s_wait_dscnt 0x0
	global_store_b32 v0, v1, s[6:7] offset:11264 scale_offset
.LBB1792_247:
	s_wait_xcnt 0x0
	s_or_b32 exec_lo, exec_lo, s1
.LBB1792_248:
	s_and_not1_saveexec_b32 s0, s0
	s_cbranch_execz .LBB1792_250
; %bb.249:
	v_lshlrev_b32_e32 v1, 2, v0
	v_readfirstlane_b32 s6, v16
	v_readfirstlane_b32 s7, v17
	ds_load_b32 v1, v1 offset:11264
	s_wait_dscnt 0x0
	global_store_b32 v0, v1, s[6:7] offset:11264 scale_offset
.LBB1792_250:
	s_wait_xcnt 0x0
	s_or_b32 exec_lo, exec_lo, s0
	v_or_b32_e32 v1, 0xc00, v0
	s_mov_b32 s0, exec_lo
	s_delay_alu instid0(VALU_DEP_1)
	v_cmpx_ge_u32_e64 v1, v6
	s_xor_b32 s0, exec_lo, s0
	s_cbranch_execz .LBB1792_256
; %bb.251:
	s_mov_b32 s1, exec_lo
	v_cmpx_ge_u32_e64 v1, v18
	s_xor_b32 s1, exec_lo, s1
	s_cbranch_execz .LBB1792_253
; %bb.252:
	v_dual_mov_b32 v1, 0 :: v_dual_lshlrev_b32 v19, 2, v0
	s_delay_alu instid0(VALU_DEP_1) | instskip(SKIP_2) | instid1(VALU_DEP_1)
	v_add_nc_u64_e32 v[20:21], v[14:15], v[0:1]
	ds_load_b32 v1, v19 offset:12288
	v_lshlrev_b64_e32 v[20:21], 2, v[20:21]
	v_sub_nc_u64_e32 v[20:21], s[14:15], v[20:21]
	s_wait_dscnt 0x0
	global_store_b32 v[20:21], v1, off offset:-12292
.LBB1792_253:
	s_wait_xcnt 0x0
	s_and_not1_saveexec_b32 s1, s1
	s_cbranch_execz .LBB1792_255
; %bb.254:
	v_lshlrev_b32_e32 v1, 2, v0
	v_readfirstlane_b32 s6, v8
	v_readfirstlane_b32 s7, v9
	ds_load_b32 v1, v1 offset:12288
	s_wait_dscnt 0x0
	global_store_b32 v0, v1, s[6:7] offset:12288 scale_offset
.LBB1792_255:
	s_wait_xcnt 0x0
	s_or_b32 exec_lo, exec_lo, s1
.LBB1792_256:
	s_and_not1_saveexec_b32 s0, s0
	s_cbranch_execz .LBB1792_258
; %bb.257:
	v_lshlrev_b32_e32 v1, 2, v0
	v_readfirstlane_b32 s6, v16
	v_readfirstlane_b32 s7, v17
	ds_load_b32 v1, v1 offset:12288
	s_wait_dscnt 0x0
	global_store_b32 v0, v1, s[6:7] offset:12288 scale_offset
.LBB1792_258:
	s_wait_xcnt 0x0
	s_or_b32 exec_lo, exec_lo, s0
	s_branch .LBB1792_152
.LBB1792_259:
	s_mov_b32 s0, exec_lo
	v_cmpx_gt_u32_e64 s5, v0
	s_cbranch_execz .LBB1792_268
; %bb.260:
	s_mov_b32 s1, exec_lo
	v_cmpx_ge_u32_e64 v0, v6
	s_xor_b32 s1, exec_lo, s1
	s_cbranch_execz .LBB1792_266
; %bb.261:
	v_mov_b32_e32 v1, 0
	s_mov_b32 s3, exec_lo
	v_cmpx_ge_u32_e64 v0, v18
	s_xor_b32 s3, exec_lo, s3
	s_cbranch_execz .LBB1792_263
; %bb.262:
	v_lshlrev_b32_e32 v19, 2, v0
	v_add_nc_u64_e32 v[20:21], v[14:15], v[0:1]
	ds_load_b32 v1, v19
	v_lshlrev_b64_e32 v[20:21], 2, v[20:21]
	s_delay_alu instid0(VALU_DEP_1)
	v_sub_nc_u64_e32 v[20:21], s[14:15], v[20:21]
	s_wait_dscnt 0x0
	global_store_b32 v[20:21], v1, off offset:-4
.LBB1792_263:
	s_wait_xcnt 0x0
	s_and_not1_saveexec_b32 s3, s3
	s_cbranch_execz .LBB1792_265
; %bb.264:
	v_lshlrev_b32_e32 v1, 2, v0
	v_readfirstlane_b32 s6, v8
	v_readfirstlane_b32 s7, v9
	ds_load_b32 v1, v1
	s_wait_dscnt 0x0
	global_store_b32 v0, v1, s[6:7] scale_offset
.LBB1792_265:
	s_wait_xcnt 0x0
	s_or_b32 exec_lo, exec_lo, s3
.LBB1792_266:
	s_and_not1_saveexec_b32 s1, s1
	s_cbranch_execz .LBB1792_268
; %bb.267:
	v_lshlrev_b32_e32 v1, 2, v0
	v_readfirstlane_b32 s6, v16
	v_readfirstlane_b32 s7, v17
	ds_load_b32 v1, v1
	s_wait_dscnt 0x0
	global_store_b32 v0, v1, s[6:7] scale_offset
.LBB1792_268:
	s_wait_xcnt 0x0
	s_or_b32 exec_lo, exec_lo, s0
	v_or_b32_e32 v1, 0x100, v0
	s_mov_b32 s0, exec_lo
	s_delay_alu instid0(VALU_DEP_1)
	v_cmpx_gt_u32_e64 s5, v1
	s_cbranch_execz .LBB1792_277
; %bb.269:
	s_mov_b32 s1, exec_lo
	v_cmpx_ge_u32_e64 v1, v6
	s_xor_b32 s1, exec_lo, s1
	s_cbranch_execz .LBB1792_275
; %bb.270:
	s_mov_b32 s3, exec_lo
	v_cmpx_ge_u32_e64 v1, v18
	s_xor_b32 s3, exec_lo, s3
	s_cbranch_execz .LBB1792_272
; %bb.271:
	v_dual_mov_b32 v1, 0 :: v_dual_lshlrev_b32 v19, 2, v0
	s_delay_alu instid0(VALU_DEP_1) | instskip(SKIP_2) | instid1(VALU_DEP_1)
	v_add_nc_u64_e32 v[20:21], v[14:15], v[0:1]
	ds_load_b32 v1, v19 offset:1024
	v_lshlrev_b64_e32 v[20:21], 2, v[20:21]
	v_sub_nc_u64_e32 v[20:21], s[14:15], v[20:21]
	s_wait_dscnt 0x0
	global_store_b32 v[20:21], v1, off offset:-1028
.LBB1792_272:
	s_wait_xcnt 0x0
	s_and_not1_saveexec_b32 s3, s3
	s_cbranch_execz .LBB1792_274
; %bb.273:
	v_lshlrev_b32_e32 v1, 2, v0
	v_readfirstlane_b32 s6, v8
	v_readfirstlane_b32 s7, v9
	ds_load_b32 v1, v1 offset:1024
	s_wait_dscnt 0x0
	global_store_b32 v0, v1, s[6:7] offset:1024 scale_offset
.LBB1792_274:
	s_wait_xcnt 0x0
	s_or_b32 exec_lo, exec_lo, s3
.LBB1792_275:
	s_and_not1_saveexec_b32 s1, s1
	s_cbranch_execz .LBB1792_277
; %bb.276:
	v_lshlrev_b32_e32 v1, 2, v0
	v_readfirstlane_b32 s6, v16
	v_readfirstlane_b32 s7, v17
	ds_load_b32 v1, v1 offset:1024
	s_wait_dscnt 0x0
	global_store_b32 v0, v1, s[6:7] offset:1024 scale_offset
.LBB1792_277:
	s_wait_xcnt 0x0
	s_or_b32 exec_lo, exec_lo, s0
	v_or_b32_e32 v1, 0x200, v0
	s_mov_b32 s0, exec_lo
	s_delay_alu instid0(VALU_DEP_1)
	v_cmpx_gt_u32_e64 s5, v1
	s_cbranch_execz .LBB1792_286
; %bb.278:
	s_mov_b32 s1, exec_lo
	v_cmpx_ge_u32_e64 v1, v6
	s_xor_b32 s1, exec_lo, s1
	s_cbranch_execz .LBB1792_284
; %bb.279:
	s_mov_b32 s3, exec_lo
	v_cmpx_ge_u32_e64 v1, v18
	s_xor_b32 s3, exec_lo, s3
	s_cbranch_execz .LBB1792_281
; %bb.280:
	v_dual_mov_b32 v1, 0 :: v_dual_lshlrev_b32 v19, 2, v0
	s_delay_alu instid0(VALU_DEP_1) | instskip(SKIP_2) | instid1(VALU_DEP_1)
	v_add_nc_u64_e32 v[20:21], v[14:15], v[0:1]
	ds_load_b32 v1, v19 offset:2048
	v_lshlrev_b64_e32 v[20:21], 2, v[20:21]
	v_sub_nc_u64_e32 v[20:21], s[14:15], v[20:21]
	s_wait_dscnt 0x0
	global_store_b32 v[20:21], v1, off offset:-2052
.LBB1792_281:
	s_wait_xcnt 0x0
	s_and_not1_saveexec_b32 s3, s3
	s_cbranch_execz .LBB1792_283
; %bb.282:
	v_lshlrev_b32_e32 v1, 2, v0
	v_readfirstlane_b32 s6, v8
	v_readfirstlane_b32 s7, v9
	ds_load_b32 v1, v1 offset:2048
	s_wait_dscnt 0x0
	global_store_b32 v0, v1, s[6:7] offset:2048 scale_offset
.LBB1792_283:
	s_wait_xcnt 0x0
	s_or_b32 exec_lo, exec_lo, s3
.LBB1792_284:
	s_and_not1_saveexec_b32 s1, s1
	s_cbranch_execz .LBB1792_286
; %bb.285:
	v_lshlrev_b32_e32 v1, 2, v0
	v_readfirstlane_b32 s6, v16
	v_readfirstlane_b32 s7, v17
	ds_load_b32 v1, v1 offset:2048
	s_wait_dscnt 0x0
	global_store_b32 v0, v1, s[6:7] offset:2048 scale_offset
.LBB1792_286:
	;; [unrolled: 51-line block ×11, first 2 shown]
	s_wait_xcnt 0x0
	s_or_b32 exec_lo, exec_lo, s0
	v_or_b32_e32 v1, 0xc00, v0
	s_mov_b32 s0, exec_lo
	s_delay_alu instid0(VALU_DEP_1)
	v_cmpx_gt_u32_e64 s5, v1
	s_cbranch_execz .LBB1792_376
; %bb.368:
	s_mov_b32 s1, exec_lo
	v_cmpx_ge_u32_e64 v1, v6
	s_xor_b32 s1, exec_lo, s1
	s_cbranch_execz .LBB1792_374
; %bb.369:
	s_mov_b32 s3, exec_lo
	v_cmpx_ge_u32_e64 v1, v18
	s_xor_b32 s3, exec_lo, s3
	s_cbranch_execz .LBB1792_371
; %bb.370:
	v_dual_mov_b32 v1, 0 :: v_dual_lshlrev_b32 v8, 2, v0
	s_delay_alu instid0(VALU_DEP_1) | instskip(SKIP_2) | instid1(VALU_DEP_1)
	v_add_nc_u64_e32 v[0:1], v[14:15], v[0:1]
	ds_load_b32 v8, v8 offset:12288
	v_lshlrev_b64_e32 v[0:1], 2, v[0:1]
	v_sub_nc_u64_e32 v[0:1], s[14:15], v[0:1]
	s_wait_dscnt 0x0
	global_store_b32 v[0:1], v8, off offset:-12292
                                        ; implicit-def: $vgpr0
                                        ; implicit-def: $vgpr8_vgpr9
.LBB1792_371:
	s_wait_xcnt 0x0
	s_and_not1_saveexec_b32 s3, s3
	s_cbranch_execz .LBB1792_373
; %bb.372:
	v_lshlrev_b32_e32 v1, 2, v0
	v_readfirstlane_b32 s4, v8
	v_readfirstlane_b32 s5, v9
	ds_load_b32 v1, v1 offset:12288
	s_wait_dscnt 0x0
	global_store_b32 v0, v1, s[4:5] offset:12288 scale_offset
.LBB1792_373:
	s_wait_xcnt 0x0
	s_or_b32 exec_lo, exec_lo, s3
                                        ; implicit-def: $vgpr0
                                        ; implicit-def: $vgpr16_vgpr17
.LBB1792_374:
	s_and_not1_saveexec_b32 s1, s1
	s_cbranch_execz .LBB1792_376
; %bb.375:
	v_lshlrev_b32_e32 v1, 2, v0
	v_readfirstlane_b32 s4, v16
	v_readfirstlane_b32 s5, v17
	ds_load_b32 v1, v1 offset:12288
	s_wait_dscnt 0x0
	global_store_b32 v0, v1, s[4:5] offset:12288 scale_offset
.LBB1792_376:
	s_wait_xcnt 0x0
	s_or_b32 exec_lo, exec_lo, s0
	s_and_b32 s0, s2, s26
	s_delay_alu instid0(SALU_CYCLE_1)
	s_and_saveexec_b32 s1, s0
	s_cbranch_execz .LBB1792_153
.LBB1792_377:
	v_add_nc_u64_e32 v[0:1], v[4:5], v[12:13]
	v_add_nc_u64_e32 v[2:3], v[2:3], v[6:7]
	s_delay_alu instid0(VALU_DEP_2)
	v_add_nc_u64_e32 v[4:5], v[0:1], v[10:11]
	v_mov_b32_e32 v0, 0
	global_store_b128 v0, v[2:5], s[24:25]
	s_sendmsg sendmsg(MSG_DEALLOC_VGPRS)
	s_endpgm
	.section	.rodata,"a",@progbits
	.p2align	6, 0x0
	.amdhsa_kernel _ZN7rocprim17ROCPRIM_400000_NS6detail17trampoline_kernelINS0_13select_configILj256ELj13ELNS0_17block_load_methodE3ELS4_3ELS4_3ELNS0_20block_scan_algorithmE0ELj4294967295EEENS1_25partition_config_selectorILNS1_17partition_subalgoE4EjNS0_10empty_typeEbEEZZNS1_14partition_implILS8_4ELb0ES6_15HIP_vector_typeIjLj2EENS0_17counting_iteratorIjlEEPS9_SG_NS0_5tupleIJPjSI_NS0_16reverse_iteratorISI_EEEEENSH_IJSG_SG_SG_EEES9_SI_JZNS1_25segmented_radix_sort_implINS0_14default_configELb0EPK6__halfPSP_PKlPlN2at6native12_GLOBAL__N_18offset_tEEE10hipError_tPvRmT1_PNSt15iterator_traitsIS13_E10value_typeET2_T3_PNS14_IS19_E10value_typeET4_jRbjT5_S1F_jjP12ihipStream_tbEUljE_ZNSN_ISO_Lb0ESR_SS_SU_SV_SZ_EES10_S11_S12_S13_S17_S18_S19_S1C_S1D_jS1E_jS1F_S1F_jjS1H_bEUljE0_EEES10_S11_S12_S19_S1D_S1F_T6_T7_T9_mT8_S1H_bDpT10_ENKUlT_T0_E_clISt17integral_constantIbLb0EES1U_IbLb1EEEEDaS1Q_S1R_EUlS1Q_E_NS1_11comp_targetILNS1_3genE0ELNS1_11target_archE4294967295ELNS1_3gpuE0ELNS1_3repE0EEENS1_30default_config_static_selectorELNS0_4arch9wavefront6targetE0EEEvS13_
		.amdhsa_group_segment_fixed_size 13328
		.amdhsa_private_segment_fixed_size 0
		.amdhsa_kernarg_size 184
		.amdhsa_user_sgpr_count 2
		.amdhsa_user_sgpr_dispatch_ptr 0
		.amdhsa_user_sgpr_queue_ptr 0
		.amdhsa_user_sgpr_kernarg_segment_ptr 1
		.amdhsa_user_sgpr_dispatch_id 0
		.amdhsa_user_sgpr_kernarg_preload_length 0
		.amdhsa_user_sgpr_kernarg_preload_offset 0
		.amdhsa_user_sgpr_private_segment_size 0
		.amdhsa_wavefront_size32 1
		.amdhsa_uses_dynamic_stack 0
		.amdhsa_enable_private_segment 0
		.amdhsa_system_sgpr_workgroup_id_x 1
		.amdhsa_system_sgpr_workgroup_id_y 0
		.amdhsa_system_sgpr_workgroup_id_z 0
		.amdhsa_system_sgpr_workgroup_info 0
		.amdhsa_system_vgpr_workitem_id 0
		.amdhsa_next_free_vgpr 86
		.amdhsa_next_free_sgpr 55
		.amdhsa_named_barrier_count 0
		.amdhsa_reserve_vcc 1
		.amdhsa_float_round_mode_32 0
		.amdhsa_float_round_mode_16_64 0
		.amdhsa_float_denorm_mode_32 3
		.amdhsa_float_denorm_mode_16_64 3
		.amdhsa_fp16_overflow 0
		.amdhsa_memory_ordered 1
		.amdhsa_forward_progress 1
		.amdhsa_inst_pref_size 140
		.amdhsa_round_robin_scheduling 0
		.amdhsa_exception_fp_ieee_invalid_op 0
		.amdhsa_exception_fp_denorm_src 0
		.amdhsa_exception_fp_ieee_div_zero 0
		.amdhsa_exception_fp_ieee_overflow 0
		.amdhsa_exception_fp_ieee_underflow 0
		.amdhsa_exception_fp_ieee_inexact 0
		.amdhsa_exception_int_div_zero 0
	.end_amdhsa_kernel
	.section	.text._ZN7rocprim17ROCPRIM_400000_NS6detail17trampoline_kernelINS0_13select_configILj256ELj13ELNS0_17block_load_methodE3ELS4_3ELS4_3ELNS0_20block_scan_algorithmE0ELj4294967295EEENS1_25partition_config_selectorILNS1_17partition_subalgoE4EjNS0_10empty_typeEbEEZZNS1_14partition_implILS8_4ELb0ES6_15HIP_vector_typeIjLj2EENS0_17counting_iteratorIjlEEPS9_SG_NS0_5tupleIJPjSI_NS0_16reverse_iteratorISI_EEEEENSH_IJSG_SG_SG_EEES9_SI_JZNS1_25segmented_radix_sort_implINS0_14default_configELb0EPK6__halfPSP_PKlPlN2at6native12_GLOBAL__N_18offset_tEEE10hipError_tPvRmT1_PNSt15iterator_traitsIS13_E10value_typeET2_T3_PNS14_IS19_E10value_typeET4_jRbjT5_S1F_jjP12ihipStream_tbEUljE_ZNSN_ISO_Lb0ESR_SS_SU_SV_SZ_EES10_S11_S12_S13_S17_S18_S19_S1C_S1D_jS1E_jS1F_S1F_jjS1H_bEUljE0_EEES10_S11_S12_S19_S1D_S1F_T6_T7_T9_mT8_S1H_bDpT10_ENKUlT_T0_E_clISt17integral_constantIbLb0EES1U_IbLb1EEEEDaS1Q_S1R_EUlS1Q_E_NS1_11comp_targetILNS1_3genE0ELNS1_11target_archE4294967295ELNS1_3gpuE0ELNS1_3repE0EEENS1_30default_config_static_selectorELNS0_4arch9wavefront6targetE0EEEvS13_,"axG",@progbits,_ZN7rocprim17ROCPRIM_400000_NS6detail17trampoline_kernelINS0_13select_configILj256ELj13ELNS0_17block_load_methodE3ELS4_3ELS4_3ELNS0_20block_scan_algorithmE0ELj4294967295EEENS1_25partition_config_selectorILNS1_17partition_subalgoE4EjNS0_10empty_typeEbEEZZNS1_14partition_implILS8_4ELb0ES6_15HIP_vector_typeIjLj2EENS0_17counting_iteratorIjlEEPS9_SG_NS0_5tupleIJPjSI_NS0_16reverse_iteratorISI_EEEEENSH_IJSG_SG_SG_EEES9_SI_JZNS1_25segmented_radix_sort_implINS0_14default_configELb0EPK6__halfPSP_PKlPlN2at6native12_GLOBAL__N_18offset_tEEE10hipError_tPvRmT1_PNSt15iterator_traitsIS13_E10value_typeET2_T3_PNS14_IS19_E10value_typeET4_jRbjT5_S1F_jjP12ihipStream_tbEUljE_ZNSN_ISO_Lb0ESR_SS_SU_SV_SZ_EES10_S11_S12_S13_S17_S18_S19_S1C_S1D_jS1E_jS1F_S1F_jjS1H_bEUljE0_EEES10_S11_S12_S19_S1D_S1F_T6_T7_T9_mT8_S1H_bDpT10_ENKUlT_T0_E_clISt17integral_constantIbLb0EES1U_IbLb1EEEEDaS1Q_S1R_EUlS1Q_E_NS1_11comp_targetILNS1_3genE0ELNS1_11target_archE4294967295ELNS1_3gpuE0ELNS1_3repE0EEENS1_30default_config_static_selectorELNS0_4arch9wavefront6targetE0EEEvS13_,comdat
.Lfunc_end1792:
	.size	_ZN7rocprim17ROCPRIM_400000_NS6detail17trampoline_kernelINS0_13select_configILj256ELj13ELNS0_17block_load_methodE3ELS4_3ELS4_3ELNS0_20block_scan_algorithmE0ELj4294967295EEENS1_25partition_config_selectorILNS1_17partition_subalgoE4EjNS0_10empty_typeEbEEZZNS1_14partition_implILS8_4ELb0ES6_15HIP_vector_typeIjLj2EENS0_17counting_iteratorIjlEEPS9_SG_NS0_5tupleIJPjSI_NS0_16reverse_iteratorISI_EEEEENSH_IJSG_SG_SG_EEES9_SI_JZNS1_25segmented_radix_sort_implINS0_14default_configELb0EPK6__halfPSP_PKlPlN2at6native12_GLOBAL__N_18offset_tEEE10hipError_tPvRmT1_PNSt15iterator_traitsIS13_E10value_typeET2_T3_PNS14_IS19_E10value_typeET4_jRbjT5_S1F_jjP12ihipStream_tbEUljE_ZNSN_ISO_Lb0ESR_SS_SU_SV_SZ_EES10_S11_S12_S13_S17_S18_S19_S1C_S1D_jS1E_jS1F_S1F_jjS1H_bEUljE0_EEES10_S11_S12_S19_S1D_S1F_T6_T7_T9_mT8_S1H_bDpT10_ENKUlT_T0_E_clISt17integral_constantIbLb0EES1U_IbLb1EEEEDaS1Q_S1R_EUlS1Q_E_NS1_11comp_targetILNS1_3genE0ELNS1_11target_archE4294967295ELNS1_3gpuE0ELNS1_3repE0EEENS1_30default_config_static_selectorELNS0_4arch9wavefront6targetE0EEEvS13_, .Lfunc_end1792-_ZN7rocprim17ROCPRIM_400000_NS6detail17trampoline_kernelINS0_13select_configILj256ELj13ELNS0_17block_load_methodE3ELS4_3ELS4_3ELNS0_20block_scan_algorithmE0ELj4294967295EEENS1_25partition_config_selectorILNS1_17partition_subalgoE4EjNS0_10empty_typeEbEEZZNS1_14partition_implILS8_4ELb0ES6_15HIP_vector_typeIjLj2EENS0_17counting_iteratorIjlEEPS9_SG_NS0_5tupleIJPjSI_NS0_16reverse_iteratorISI_EEEEENSH_IJSG_SG_SG_EEES9_SI_JZNS1_25segmented_radix_sort_implINS0_14default_configELb0EPK6__halfPSP_PKlPlN2at6native12_GLOBAL__N_18offset_tEEE10hipError_tPvRmT1_PNSt15iterator_traitsIS13_E10value_typeET2_T3_PNS14_IS19_E10value_typeET4_jRbjT5_S1F_jjP12ihipStream_tbEUljE_ZNSN_ISO_Lb0ESR_SS_SU_SV_SZ_EES10_S11_S12_S13_S17_S18_S19_S1C_S1D_jS1E_jS1F_S1F_jjS1H_bEUljE0_EEES10_S11_S12_S19_S1D_S1F_T6_T7_T9_mT8_S1H_bDpT10_ENKUlT_T0_E_clISt17integral_constantIbLb0EES1U_IbLb1EEEEDaS1Q_S1R_EUlS1Q_E_NS1_11comp_targetILNS1_3genE0ELNS1_11target_archE4294967295ELNS1_3gpuE0ELNS1_3repE0EEENS1_30default_config_static_selectorELNS0_4arch9wavefront6targetE0EEEvS13_
                                        ; -- End function
	.set _ZN7rocprim17ROCPRIM_400000_NS6detail17trampoline_kernelINS0_13select_configILj256ELj13ELNS0_17block_load_methodE3ELS4_3ELS4_3ELNS0_20block_scan_algorithmE0ELj4294967295EEENS1_25partition_config_selectorILNS1_17partition_subalgoE4EjNS0_10empty_typeEbEEZZNS1_14partition_implILS8_4ELb0ES6_15HIP_vector_typeIjLj2EENS0_17counting_iteratorIjlEEPS9_SG_NS0_5tupleIJPjSI_NS0_16reverse_iteratorISI_EEEEENSH_IJSG_SG_SG_EEES9_SI_JZNS1_25segmented_radix_sort_implINS0_14default_configELb0EPK6__halfPSP_PKlPlN2at6native12_GLOBAL__N_18offset_tEEE10hipError_tPvRmT1_PNSt15iterator_traitsIS13_E10value_typeET2_T3_PNS14_IS19_E10value_typeET4_jRbjT5_S1F_jjP12ihipStream_tbEUljE_ZNSN_ISO_Lb0ESR_SS_SU_SV_SZ_EES10_S11_S12_S13_S17_S18_S19_S1C_S1D_jS1E_jS1F_S1F_jjS1H_bEUljE0_EEES10_S11_S12_S19_S1D_S1F_T6_T7_T9_mT8_S1H_bDpT10_ENKUlT_T0_E_clISt17integral_constantIbLb0EES1U_IbLb1EEEEDaS1Q_S1R_EUlS1Q_E_NS1_11comp_targetILNS1_3genE0ELNS1_11target_archE4294967295ELNS1_3gpuE0ELNS1_3repE0EEENS1_30default_config_static_selectorELNS0_4arch9wavefront6targetE0EEEvS13_.num_vgpr, 86
	.set _ZN7rocprim17ROCPRIM_400000_NS6detail17trampoline_kernelINS0_13select_configILj256ELj13ELNS0_17block_load_methodE3ELS4_3ELS4_3ELNS0_20block_scan_algorithmE0ELj4294967295EEENS1_25partition_config_selectorILNS1_17partition_subalgoE4EjNS0_10empty_typeEbEEZZNS1_14partition_implILS8_4ELb0ES6_15HIP_vector_typeIjLj2EENS0_17counting_iteratorIjlEEPS9_SG_NS0_5tupleIJPjSI_NS0_16reverse_iteratorISI_EEEEENSH_IJSG_SG_SG_EEES9_SI_JZNS1_25segmented_radix_sort_implINS0_14default_configELb0EPK6__halfPSP_PKlPlN2at6native12_GLOBAL__N_18offset_tEEE10hipError_tPvRmT1_PNSt15iterator_traitsIS13_E10value_typeET2_T3_PNS14_IS19_E10value_typeET4_jRbjT5_S1F_jjP12ihipStream_tbEUljE_ZNSN_ISO_Lb0ESR_SS_SU_SV_SZ_EES10_S11_S12_S13_S17_S18_S19_S1C_S1D_jS1E_jS1F_S1F_jjS1H_bEUljE0_EEES10_S11_S12_S19_S1D_S1F_T6_T7_T9_mT8_S1H_bDpT10_ENKUlT_T0_E_clISt17integral_constantIbLb0EES1U_IbLb1EEEEDaS1Q_S1R_EUlS1Q_E_NS1_11comp_targetILNS1_3genE0ELNS1_11target_archE4294967295ELNS1_3gpuE0ELNS1_3repE0EEENS1_30default_config_static_selectorELNS0_4arch9wavefront6targetE0EEEvS13_.num_agpr, 0
	.set _ZN7rocprim17ROCPRIM_400000_NS6detail17trampoline_kernelINS0_13select_configILj256ELj13ELNS0_17block_load_methodE3ELS4_3ELS4_3ELNS0_20block_scan_algorithmE0ELj4294967295EEENS1_25partition_config_selectorILNS1_17partition_subalgoE4EjNS0_10empty_typeEbEEZZNS1_14partition_implILS8_4ELb0ES6_15HIP_vector_typeIjLj2EENS0_17counting_iteratorIjlEEPS9_SG_NS0_5tupleIJPjSI_NS0_16reverse_iteratorISI_EEEEENSH_IJSG_SG_SG_EEES9_SI_JZNS1_25segmented_radix_sort_implINS0_14default_configELb0EPK6__halfPSP_PKlPlN2at6native12_GLOBAL__N_18offset_tEEE10hipError_tPvRmT1_PNSt15iterator_traitsIS13_E10value_typeET2_T3_PNS14_IS19_E10value_typeET4_jRbjT5_S1F_jjP12ihipStream_tbEUljE_ZNSN_ISO_Lb0ESR_SS_SU_SV_SZ_EES10_S11_S12_S13_S17_S18_S19_S1C_S1D_jS1E_jS1F_S1F_jjS1H_bEUljE0_EEES10_S11_S12_S19_S1D_S1F_T6_T7_T9_mT8_S1H_bDpT10_ENKUlT_T0_E_clISt17integral_constantIbLb0EES1U_IbLb1EEEEDaS1Q_S1R_EUlS1Q_E_NS1_11comp_targetILNS1_3genE0ELNS1_11target_archE4294967295ELNS1_3gpuE0ELNS1_3repE0EEENS1_30default_config_static_selectorELNS0_4arch9wavefront6targetE0EEEvS13_.numbered_sgpr, 55
	.set _ZN7rocprim17ROCPRIM_400000_NS6detail17trampoline_kernelINS0_13select_configILj256ELj13ELNS0_17block_load_methodE3ELS4_3ELS4_3ELNS0_20block_scan_algorithmE0ELj4294967295EEENS1_25partition_config_selectorILNS1_17partition_subalgoE4EjNS0_10empty_typeEbEEZZNS1_14partition_implILS8_4ELb0ES6_15HIP_vector_typeIjLj2EENS0_17counting_iteratorIjlEEPS9_SG_NS0_5tupleIJPjSI_NS0_16reverse_iteratorISI_EEEEENSH_IJSG_SG_SG_EEES9_SI_JZNS1_25segmented_radix_sort_implINS0_14default_configELb0EPK6__halfPSP_PKlPlN2at6native12_GLOBAL__N_18offset_tEEE10hipError_tPvRmT1_PNSt15iterator_traitsIS13_E10value_typeET2_T3_PNS14_IS19_E10value_typeET4_jRbjT5_S1F_jjP12ihipStream_tbEUljE_ZNSN_ISO_Lb0ESR_SS_SU_SV_SZ_EES10_S11_S12_S13_S17_S18_S19_S1C_S1D_jS1E_jS1F_S1F_jjS1H_bEUljE0_EEES10_S11_S12_S19_S1D_S1F_T6_T7_T9_mT8_S1H_bDpT10_ENKUlT_T0_E_clISt17integral_constantIbLb0EES1U_IbLb1EEEEDaS1Q_S1R_EUlS1Q_E_NS1_11comp_targetILNS1_3genE0ELNS1_11target_archE4294967295ELNS1_3gpuE0ELNS1_3repE0EEENS1_30default_config_static_selectorELNS0_4arch9wavefront6targetE0EEEvS13_.num_named_barrier, 0
	.set _ZN7rocprim17ROCPRIM_400000_NS6detail17trampoline_kernelINS0_13select_configILj256ELj13ELNS0_17block_load_methodE3ELS4_3ELS4_3ELNS0_20block_scan_algorithmE0ELj4294967295EEENS1_25partition_config_selectorILNS1_17partition_subalgoE4EjNS0_10empty_typeEbEEZZNS1_14partition_implILS8_4ELb0ES6_15HIP_vector_typeIjLj2EENS0_17counting_iteratorIjlEEPS9_SG_NS0_5tupleIJPjSI_NS0_16reverse_iteratorISI_EEEEENSH_IJSG_SG_SG_EEES9_SI_JZNS1_25segmented_radix_sort_implINS0_14default_configELb0EPK6__halfPSP_PKlPlN2at6native12_GLOBAL__N_18offset_tEEE10hipError_tPvRmT1_PNSt15iterator_traitsIS13_E10value_typeET2_T3_PNS14_IS19_E10value_typeET4_jRbjT5_S1F_jjP12ihipStream_tbEUljE_ZNSN_ISO_Lb0ESR_SS_SU_SV_SZ_EES10_S11_S12_S13_S17_S18_S19_S1C_S1D_jS1E_jS1F_S1F_jjS1H_bEUljE0_EEES10_S11_S12_S19_S1D_S1F_T6_T7_T9_mT8_S1H_bDpT10_ENKUlT_T0_E_clISt17integral_constantIbLb0EES1U_IbLb1EEEEDaS1Q_S1R_EUlS1Q_E_NS1_11comp_targetILNS1_3genE0ELNS1_11target_archE4294967295ELNS1_3gpuE0ELNS1_3repE0EEENS1_30default_config_static_selectorELNS0_4arch9wavefront6targetE0EEEvS13_.private_seg_size, 0
	.set _ZN7rocprim17ROCPRIM_400000_NS6detail17trampoline_kernelINS0_13select_configILj256ELj13ELNS0_17block_load_methodE3ELS4_3ELS4_3ELNS0_20block_scan_algorithmE0ELj4294967295EEENS1_25partition_config_selectorILNS1_17partition_subalgoE4EjNS0_10empty_typeEbEEZZNS1_14partition_implILS8_4ELb0ES6_15HIP_vector_typeIjLj2EENS0_17counting_iteratorIjlEEPS9_SG_NS0_5tupleIJPjSI_NS0_16reverse_iteratorISI_EEEEENSH_IJSG_SG_SG_EEES9_SI_JZNS1_25segmented_radix_sort_implINS0_14default_configELb0EPK6__halfPSP_PKlPlN2at6native12_GLOBAL__N_18offset_tEEE10hipError_tPvRmT1_PNSt15iterator_traitsIS13_E10value_typeET2_T3_PNS14_IS19_E10value_typeET4_jRbjT5_S1F_jjP12ihipStream_tbEUljE_ZNSN_ISO_Lb0ESR_SS_SU_SV_SZ_EES10_S11_S12_S13_S17_S18_S19_S1C_S1D_jS1E_jS1F_S1F_jjS1H_bEUljE0_EEES10_S11_S12_S19_S1D_S1F_T6_T7_T9_mT8_S1H_bDpT10_ENKUlT_T0_E_clISt17integral_constantIbLb0EES1U_IbLb1EEEEDaS1Q_S1R_EUlS1Q_E_NS1_11comp_targetILNS1_3genE0ELNS1_11target_archE4294967295ELNS1_3gpuE0ELNS1_3repE0EEENS1_30default_config_static_selectorELNS0_4arch9wavefront6targetE0EEEvS13_.uses_vcc, 1
	.set _ZN7rocprim17ROCPRIM_400000_NS6detail17trampoline_kernelINS0_13select_configILj256ELj13ELNS0_17block_load_methodE3ELS4_3ELS4_3ELNS0_20block_scan_algorithmE0ELj4294967295EEENS1_25partition_config_selectorILNS1_17partition_subalgoE4EjNS0_10empty_typeEbEEZZNS1_14partition_implILS8_4ELb0ES6_15HIP_vector_typeIjLj2EENS0_17counting_iteratorIjlEEPS9_SG_NS0_5tupleIJPjSI_NS0_16reverse_iteratorISI_EEEEENSH_IJSG_SG_SG_EEES9_SI_JZNS1_25segmented_radix_sort_implINS0_14default_configELb0EPK6__halfPSP_PKlPlN2at6native12_GLOBAL__N_18offset_tEEE10hipError_tPvRmT1_PNSt15iterator_traitsIS13_E10value_typeET2_T3_PNS14_IS19_E10value_typeET4_jRbjT5_S1F_jjP12ihipStream_tbEUljE_ZNSN_ISO_Lb0ESR_SS_SU_SV_SZ_EES10_S11_S12_S13_S17_S18_S19_S1C_S1D_jS1E_jS1F_S1F_jjS1H_bEUljE0_EEES10_S11_S12_S19_S1D_S1F_T6_T7_T9_mT8_S1H_bDpT10_ENKUlT_T0_E_clISt17integral_constantIbLb0EES1U_IbLb1EEEEDaS1Q_S1R_EUlS1Q_E_NS1_11comp_targetILNS1_3genE0ELNS1_11target_archE4294967295ELNS1_3gpuE0ELNS1_3repE0EEENS1_30default_config_static_selectorELNS0_4arch9wavefront6targetE0EEEvS13_.uses_flat_scratch, 0
	.set _ZN7rocprim17ROCPRIM_400000_NS6detail17trampoline_kernelINS0_13select_configILj256ELj13ELNS0_17block_load_methodE3ELS4_3ELS4_3ELNS0_20block_scan_algorithmE0ELj4294967295EEENS1_25partition_config_selectorILNS1_17partition_subalgoE4EjNS0_10empty_typeEbEEZZNS1_14partition_implILS8_4ELb0ES6_15HIP_vector_typeIjLj2EENS0_17counting_iteratorIjlEEPS9_SG_NS0_5tupleIJPjSI_NS0_16reverse_iteratorISI_EEEEENSH_IJSG_SG_SG_EEES9_SI_JZNS1_25segmented_radix_sort_implINS0_14default_configELb0EPK6__halfPSP_PKlPlN2at6native12_GLOBAL__N_18offset_tEEE10hipError_tPvRmT1_PNSt15iterator_traitsIS13_E10value_typeET2_T3_PNS14_IS19_E10value_typeET4_jRbjT5_S1F_jjP12ihipStream_tbEUljE_ZNSN_ISO_Lb0ESR_SS_SU_SV_SZ_EES10_S11_S12_S13_S17_S18_S19_S1C_S1D_jS1E_jS1F_S1F_jjS1H_bEUljE0_EEES10_S11_S12_S19_S1D_S1F_T6_T7_T9_mT8_S1H_bDpT10_ENKUlT_T0_E_clISt17integral_constantIbLb0EES1U_IbLb1EEEEDaS1Q_S1R_EUlS1Q_E_NS1_11comp_targetILNS1_3genE0ELNS1_11target_archE4294967295ELNS1_3gpuE0ELNS1_3repE0EEENS1_30default_config_static_selectorELNS0_4arch9wavefront6targetE0EEEvS13_.has_dyn_sized_stack, 0
	.set _ZN7rocprim17ROCPRIM_400000_NS6detail17trampoline_kernelINS0_13select_configILj256ELj13ELNS0_17block_load_methodE3ELS4_3ELS4_3ELNS0_20block_scan_algorithmE0ELj4294967295EEENS1_25partition_config_selectorILNS1_17partition_subalgoE4EjNS0_10empty_typeEbEEZZNS1_14partition_implILS8_4ELb0ES6_15HIP_vector_typeIjLj2EENS0_17counting_iteratorIjlEEPS9_SG_NS0_5tupleIJPjSI_NS0_16reverse_iteratorISI_EEEEENSH_IJSG_SG_SG_EEES9_SI_JZNS1_25segmented_radix_sort_implINS0_14default_configELb0EPK6__halfPSP_PKlPlN2at6native12_GLOBAL__N_18offset_tEEE10hipError_tPvRmT1_PNSt15iterator_traitsIS13_E10value_typeET2_T3_PNS14_IS19_E10value_typeET4_jRbjT5_S1F_jjP12ihipStream_tbEUljE_ZNSN_ISO_Lb0ESR_SS_SU_SV_SZ_EES10_S11_S12_S13_S17_S18_S19_S1C_S1D_jS1E_jS1F_S1F_jjS1H_bEUljE0_EEES10_S11_S12_S19_S1D_S1F_T6_T7_T9_mT8_S1H_bDpT10_ENKUlT_T0_E_clISt17integral_constantIbLb0EES1U_IbLb1EEEEDaS1Q_S1R_EUlS1Q_E_NS1_11comp_targetILNS1_3genE0ELNS1_11target_archE4294967295ELNS1_3gpuE0ELNS1_3repE0EEENS1_30default_config_static_selectorELNS0_4arch9wavefront6targetE0EEEvS13_.has_recursion, 0
	.set _ZN7rocprim17ROCPRIM_400000_NS6detail17trampoline_kernelINS0_13select_configILj256ELj13ELNS0_17block_load_methodE3ELS4_3ELS4_3ELNS0_20block_scan_algorithmE0ELj4294967295EEENS1_25partition_config_selectorILNS1_17partition_subalgoE4EjNS0_10empty_typeEbEEZZNS1_14partition_implILS8_4ELb0ES6_15HIP_vector_typeIjLj2EENS0_17counting_iteratorIjlEEPS9_SG_NS0_5tupleIJPjSI_NS0_16reverse_iteratorISI_EEEEENSH_IJSG_SG_SG_EEES9_SI_JZNS1_25segmented_radix_sort_implINS0_14default_configELb0EPK6__halfPSP_PKlPlN2at6native12_GLOBAL__N_18offset_tEEE10hipError_tPvRmT1_PNSt15iterator_traitsIS13_E10value_typeET2_T3_PNS14_IS19_E10value_typeET4_jRbjT5_S1F_jjP12ihipStream_tbEUljE_ZNSN_ISO_Lb0ESR_SS_SU_SV_SZ_EES10_S11_S12_S13_S17_S18_S19_S1C_S1D_jS1E_jS1F_S1F_jjS1H_bEUljE0_EEES10_S11_S12_S19_S1D_S1F_T6_T7_T9_mT8_S1H_bDpT10_ENKUlT_T0_E_clISt17integral_constantIbLb0EES1U_IbLb1EEEEDaS1Q_S1R_EUlS1Q_E_NS1_11comp_targetILNS1_3genE0ELNS1_11target_archE4294967295ELNS1_3gpuE0ELNS1_3repE0EEENS1_30default_config_static_selectorELNS0_4arch9wavefront6targetE0EEEvS13_.has_indirect_call, 0
	.section	.AMDGPU.csdata,"",@progbits
; Kernel info:
; codeLenInByte = 17828
; TotalNumSgprs: 57
; NumVgprs: 86
; ScratchSize: 0
; MemoryBound: 0
; FloatMode: 240
; IeeeMode: 1
; LDSByteSize: 13328 bytes/workgroup (compile time only)
; SGPRBlocks: 0
; VGPRBlocks: 5
; NumSGPRsForWavesPerEU: 57
; NumVGPRsForWavesPerEU: 86
; NamedBarCnt: 0
; Occupancy: 10
; WaveLimiterHint : 1
; COMPUTE_PGM_RSRC2:SCRATCH_EN: 0
; COMPUTE_PGM_RSRC2:USER_SGPR: 2
; COMPUTE_PGM_RSRC2:TRAP_HANDLER: 0
; COMPUTE_PGM_RSRC2:TGID_X_EN: 1
; COMPUTE_PGM_RSRC2:TGID_Y_EN: 0
; COMPUTE_PGM_RSRC2:TGID_Z_EN: 0
; COMPUTE_PGM_RSRC2:TIDIG_COMP_CNT: 0
	.section	.text._ZN7rocprim17ROCPRIM_400000_NS6detail17trampoline_kernelINS0_13select_configILj256ELj13ELNS0_17block_load_methodE3ELS4_3ELS4_3ELNS0_20block_scan_algorithmE0ELj4294967295EEENS1_25partition_config_selectorILNS1_17partition_subalgoE4EjNS0_10empty_typeEbEEZZNS1_14partition_implILS8_4ELb0ES6_15HIP_vector_typeIjLj2EENS0_17counting_iteratorIjlEEPS9_SG_NS0_5tupleIJPjSI_NS0_16reverse_iteratorISI_EEEEENSH_IJSG_SG_SG_EEES9_SI_JZNS1_25segmented_radix_sort_implINS0_14default_configELb0EPK6__halfPSP_PKlPlN2at6native12_GLOBAL__N_18offset_tEEE10hipError_tPvRmT1_PNSt15iterator_traitsIS13_E10value_typeET2_T3_PNS14_IS19_E10value_typeET4_jRbjT5_S1F_jjP12ihipStream_tbEUljE_ZNSN_ISO_Lb0ESR_SS_SU_SV_SZ_EES10_S11_S12_S13_S17_S18_S19_S1C_S1D_jS1E_jS1F_S1F_jjS1H_bEUljE0_EEES10_S11_S12_S19_S1D_S1F_T6_T7_T9_mT8_S1H_bDpT10_ENKUlT_T0_E_clISt17integral_constantIbLb0EES1U_IbLb1EEEEDaS1Q_S1R_EUlS1Q_E_NS1_11comp_targetILNS1_3genE5ELNS1_11target_archE942ELNS1_3gpuE9ELNS1_3repE0EEENS1_30default_config_static_selectorELNS0_4arch9wavefront6targetE0EEEvS13_,"axG",@progbits,_ZN7rocprim17ROCPRIM_400000_NS6detail17trampoline_kernelINS0_13select_configILj256ELj13ELNS0_17block_load_methodE3ELS4_3ELS4_3ELNS0_20block_scan_algorithmE0ELj4294967295EEENS1_25partition_config_selectorILNS1_17partition_subalgoE4EjNS0_10empty_typeEbEEZZNS1_14partition_implILS8_4ELb0ES6_15HIP_vector_typeIjLj2EENS0_17counting_iteratorIjlEEPS9_SG_NS0_5tupleIJPjSI_NS0_16reverse_iteratorISI_EEEEENSH_IJSG_SG_SG_EEES9_SI_JZNS1_25segmented_radix_sort_implINS0_14default_configELb0EPK6__halfPSP_PKlPlN2at6native12_GLOBAL__N_18offset_tEEE10hipError_tPvRmT1_PNSt15iterator_traitsIS13_E10value_typeET2_T3_PNS14_IS19_E10value_typeET4_jRbjT5_S1F_jjP12ihipStream_tbEUljE_ZNSN_ISO_Lb0ESR_SS_SU_SV_SZ_EES10_S11_S12_S13_S17_S18_S19_S1C_S1D_jS1E_jS1F_S1F_jjS1H_bEUljE0_EEES10_S11_S12_S19_S1D_S1F_T6_T7_T9_mT8_S1H_bDpT10_ENKUlT_T0_E_clISt17integral_constantIbLb0EES1U_IbLb1EEEEDaS1Q_S1R_EUlS1Q_E_NS1_11comp_targetILNS1_3genE5ELNS1_11target_archE942ELNS1_3gpuE9ELNS1_3repE0EEENS1_30default_config_static_selectorELNS0_4arch9wavefront6targetE0EEEvS13_,comdat
	.globl	_ZN7rocprim17ROCPRIM_400000_NS6detail17trampoline_kernelINS0_13select_configILj256ELj13ELNS0_17block_load_methodE3ELS4_3ELS4_3ELNS0_20block_scan_algorithmE0ELj4294967295EEENS1_25partition_config_selectorILNS1_17partition_subalgoE4EjNS0_10empty_typeEbEEZZNS1_14partition_implILS8_4ELb0ES6_15HIP_vector_typeIjLj2EENS0_17counting_iteratorIjlEEPS9_SG_NS0_5tupleIJPjSI_NS0_16reverse_iteratorISI_EEEEENSH_IJSG_SG_SG_EEES9_SI_JZNS1_25segmented_radix_sort_implINS0_14default_configELb0EPK6__halfPSP_PKlPlN2at6native12_GLOBAL__N_18offset_tEEE10hipError_tPvRmT1_PNSt15iterator_traitsIS13_E10value_typeET2_T3_PNS14_IS19_E10value_typeET4_jRbjT5_S1F_jjP12ihipStream_tbEUljE_ZNSN_ISO_Lb0ESR_SS_SU_SV_SZ_EES10_S11_S12_S13_S17_S18_S19_S1C_S1D_jS1E_jS1F_S1F_jjS1H_bEUljE0_EEES10_S11_S12_S19_S1D_S1F_T6_T7_T9_mT8_S1H_bDpT10_ENKUlT_T0_E_clISt17integral_constantIbLb0EES1U_IbLb1EEEEDaS1Q_S1R_EUlS1Q_E_NS1_11comp_targetILNS1_3genE5ELNS1_11target_archE942ELNS1_3gpuE9ELNS1_3repE0EEENS1_30default_config_static_selectorELNS0_4arch9wavefront6targetE0EEEvS13_ ; -- Begin function _ZN7rocprim17ROCPRIM_400000_NS6detail17trampoline_kernelINS0_13select_configILj256ELj13ELNS0_17block_load_methodE3ELS4_3ELS4_3ELNS0_20block_scan_algorithmE0ELj4294967295EEENS1_25partition_config_selectorILNS1_17partition_subalgoE4EjNS0_10empty_typeEbEEZZNS1_14partition_implILS8_4ELb0ES6_15HIP_vector_typeIjLj2EENS0_17counting_iteratorIjlEEPS9_SG_NS0_5tupleIJPjSI_NS0_16reverse_iteratorISI_EEEEENSH_IJSG_SG_SG_EEES9_SI_JZNS1_25segmented_radix_sort_implINS0_14default_configELb0EPK6__halfPSP_PKlPlN2at6native12_GLOBAL__N_18offset_tEEE10hipError_tPvRmT1_PNSt15iterator_traitsIS13_E10value_typeET2_T3_PNS14_IS19_E10value_typeET4_jRbjT5_S1F_jjP12ihipStream_tbEUljE_ZNSN_ISO_Lb0ESR_SS_SU_SV_SZ_EES10_S11_S12_S13_S17_S18_S19_S1C_S1D_jS1E_jS1F_S1F_jjS1H_bEUljE0_EEES10_S11_S12_S19_S1D_S1F_T6_T7_T9_mT8_S1H_bDpT10_ENKUlT_T0_E_clISt17integral_constantIbLb0EES1U_IbLb1EEEEDaS1Q_S1R_EUlS1Q_E_NS1_11comp_targetILNS1_3genE5ELNS1_11target_archE942ELNS1_3gpuE9ELNS1_3repE0EEENS1_30default_config_static_selectorELNS0_4arch9wavefront6targetE0EEEvS13_
	.p2align	8
	.type	_ZN7rocprim17ROCPRIM_400000_NS6detail17trampoline_kernelINS0_13select_configILj256ELj13ELNS0_17block_load_methodE3ELS4_3ELS4_3ELNS0_20block_scan_algorithmE0ELj4294967295EEENS1_25partition_config_selectorILNS1_17partition_subalgoE4EjNS0_10empty_typeEbEEZZNS1_14partition_implILS8_4ELb0ES6_15HIP_vector_typeIjLj2EENS0_17counting_iteratorIjlEEPS9_SG_NS0_5tupleIJPjSI_NS0_16reverse_iteratorISI_EEEEENSH_IJSG_SG_SG_EEES9_SI_JZNS1_25segmented_radix_sort_implINS0_14default_configELb0EPK6__halfPSP_PKlPlN2at6native12_GLOBAL__N_18offset_tEEE10hipError_tPvRmT1_PNSt15iterator_traitsIS13_E10value_typeET2_T3_PNS14_IS19_E10value_typeET4_jRbjT5_S1F_jjP12ihipStream_tbEUljE_ZNSN_ISO_Lb0ESR_SS_SU_SV_SZ_EES10_S11_S12_S13_S17_S18_S19_S1C_S1D_jS1E_jS1F_S1F_jjS1H_bEUljE0_EEES10_S11_S12_S19_S1D_S1F_T6_T7_T9_mT8_S1H_bDpT10_ENKUlT_T0_E_clISt17integral_constantIbLb0EES1U_IbLb1EEEEDaS1Q_S1R_EUlS1Q_E_NS1_11comp_targetILNS1_3genE5ELNS1_11target_archE942ELNS1_3gpuE9ELNS1_3repE0EEENS1_30default_config_static_selectorELNS0_4arch9wavefront6targetE0EEEvS13_,@function
_ZN7rocprim17ROCPRIM_400000_NS6detail17trampoline_kernelINS0_13select_configILj256ELj13ELNS0_17block_load_methodE3ELS4_3ELS4_3ELNS0_20block_scan_algorithmE0ELj4294967295EEENS1_25partition_config_selectorILNS1_17partition_subalgoE4EjNS0_10empty_typeEbEEZZNS1_14partition_implILS8_4ELb0ES6_15HIP_vector_typeIjLj2EENS0_17counting_iteratorIjlEEPS9_SG_NS0_5tupleIJPjSI_NS0_16reverse_iteratorISI_EEEEENSH_IJSG_SG_SG_EEES9_SI_JZNS1_25segmented_radix_sort_implINS0_14default_configELb0EPK6__halfPSP_PKlPlN2at6native12_GLOBAL__N_18offset_tEEE10hipError_tPvRmT1_PNSt15iterator_traitsIS13_E10value_typeET2_T3_PNS14_IS19_E10value_typeET4_jRbjT5_S1F_jjP12ihipStream_tbEUljE_ZNSN_ISO_Lb0ESR_SS_SU_SV_SZ_EES10_S11_S12_S13_S17_S18_S19_S1C_S1D_jS1E_jS1F_S1F_jjS1H_bEUljE0_EEES10_S11_S12_S19_S1D_S1F_T6_T7_T9_mT8_S1H_bDpT10_ENKUlT_T0_E_clISt17integral_constantIbLb0EES1U_IbLb1EEEEDaS1Q_S1R_EUlS1Q_E_NS1_11comp_targetILNS1_3genE5ELNS1_11target_archE942ELNS1_3gpuE9ELNS1_3repE0EEENS1_30default_config_static_selectorELNS0_4arch9wavefront6targetE0EEEvS13_: ; @_ZN7rocprim17ROCPRIM_400000_NS6detail17trampoline_kernelINS0_13select_configILj256ELj13ELNS0_17block_load_methodE3ELS4_3ELS4_3ELNS0_20block_scan_algorithmE0ELj4294967295EEENS1_25partition_config_selectorILNS1_17partition_subalgoE4EjNS0_10empty_typeEbEEZZNS1_14partition_implILS8_4ELb0ES6_15HIP_vector_typeIjLj2EENS0_17counting_iteratorIjlEEPS9_SG_NS0_5tupleIJPjSI_NS0_16reverse_iteratorISI_EEEEENSH_IJSG_SG_SG_EEES9_SI_JZNS1_25segmented_radix_sort_implINS0_14default_configELb0EPK6__halfPSP_PKlPlN2at6native12_GLOBAL__N_18offset_tEEE10hipError_tPvRmT1_PNSt15iterator_traitsIS13_E10value_typeET2_T3_PNS14_IS19_E10value_typeET4_jRbjT5_S1F_jjP12ihipStream_tbEUljE_ZNSN_ISO_Lb0ESR_SS_SU_SV_SZ_EES10_S11_S12_S13_S17_S18_S19_S1C_S1D_jS1E_jS1F_S1F_jjS1H_bEUljE0_EEES10_S11_S12_S19_S1D_S1F_T6_T7_T9_mT8_S1H_bDpT10_ENKUlT_T0_E_clISt17integral_constantIbLb0EES1U_IbLb1EEEEDaS1Q_S1R_EUlS1Q_E_NS1_11comp_targetILNS1_3genE5ELNS1_11target_archE942ELNS1_3gpuE9ELNS1_3repE0EEENS1_30default_config_static_selectorELNS0_4arch9wavefront6targetE0EEEvS13_
; %bb.0:
	.section	.rodata,"a",@progbits
	.p2align	6, 0x0
	.amdhsa_kernel _ZN7rocprim17ROCPRIM_400000_NS6detail17trampoline_kernelINS0_13select_configILj256ELj13ELNS0_17block_load_methodE3ELS4_3ELS4_3ELNS0_20block_scan_algorithmE0ELj4294967295EEENS1_25partition_config_selectorILNS1_17partition_subalgoE4EjNS0_10empty_typeEbEEZZNS1_14partition_implILS8_4ELb0ES6_15HIP_vector_typeIjLj2EENS0_17counting_iteratorIjlEEPS9_SG_NS0_5tupleIJPjSI_NS0_16reverse_iteratorISI_EEEEENSH_IJSG_SG_SG_EEES9_SI_JZNS1_25segmented_radix_sort_implINS0_14default_configELb0EPK6__halfPSP_PKlPlN2at6native12_GLOBAL__N_18offset_tEEE10hipError_tPvRmT1_PNSt15iterator_traitsIS13_E10value_typeET2_T3_PNS14_IS19_E10value_typeET4_jRbjT5_S1F_jjP12ihipStream_tbEUljE_ZNSN_ISO_Lb0ESR_SS_SU_SV_SZ_EES10_S11_S12_S13_S17_S18_S19_S1C_S1D_jS1E_jS1F_S1F_jjS1H_bEUljE0_EEES10_S11_S12_S19_S1D_S1F_T6_T7_T9_mT8_S1H_bDpT10_ENKUlT_T0_E_clISt17integral_constantIbLb0EES1U_IbLb1EEEEDaS1Q_S1R_EUlS1Q_E_NS1_11comp_targetILNS1_3genE5ELNS1_11target_archE942ELNS1_3gpuE9ELNS1_3repE0EEENS1_30default_config_static_selectorELNS0_4arch9wavefront6targetE0EEEvS13_
		.amdhsa_group_segment_fixed_size 0
		.amdhsa_private_segment_fixed_size 0
		.amdhsa_kernarg_size 184
		.amdhsa_user_sgpr_count 2
		.amdhsa_user_sgpr_dispatch_ptr 0
		.amdhsa_user_sgpr_queue_ptr 0
		.amdhsa_user_sgpr_kernarg_segment_ptr 1
		.amdhsa_user_sgpr_dispatch_id 0
		.amdhsa_user_sgpr_kernarg_preload_length 0
		.amdhsa_user_sgpr_kernarg_preload_offset 0
		.amdhsa_user_sgpr_private_segment_size 0
		.amdhsa_wavefront_size32 1
		.amdhsa_uses_dynamic_stack 0
		.amdhsa_enable_private_segment 0
		.amdhsa_system_sgpr_workgroup_id_x 1
		.amdhsa_system_sgpr_workgroup_id_y 0
		.amdhsa_system_sgpr_workgroup_id_z 0
		.amdhsa_system_sgpr_workgroup_info 0
		.amdhsa_system_vgpr_workitem_id 0
		.amdhsa_next_free_vgpr 1
		.amdhsa_next_free_sgpr 1
		.amdhsa_named_barrier_count 0
		.amdhsa_reserve_vcc 0
		.amdhsa_float_round_mode_32 0
		.amdhsa_float_round_mode_16_64 0
		.amdhsa_float_denorm_mode_32 3
		.amdhsa_float_denorm_mode_16_64 3
		.amdhsa_fp16_overflow 0
		.amdhsa_memory_ordered 1
		.amdhsa_forward_progress 1
		.amdhsa_inst_pref_size 0
		.amdhsa_round_robin_scheduling 0
		.amdhsa_exception_fp_ieee_invalid_op 0
		.amdhsa_exception_fp_denorm_src 0
		.amdhsa_exception_fp_ieee_div_zero 0
		.amdhsa_exception_fp_ieee_overflow 0
		.amdhsa_exception_fp_ieee_underflow 0
		.amdhsa_exception_fp_ieee_inexact 0
		.amdhsa_exception_int_div_zero 0
	.end_amdhsa_kernel
	.section	.text._ZN7rocprim17ROCPRIM_400000_NS6detail17trampoline_kernelINS0_13select_configILj256ELj13ELNS0_17block_load_methodE3ELS4_3ELS4_3ELNS0_20block_scan_algorithmE0ELj4294967295EEENS1_25partition_config_selectorILNS1_17partition_subalgoE4EjNS0_10empty_typeEbEEZZNS1_14partition_implILS8_4ELb0ES6_15HIP_vector_typeIjLj2EENS0_17counting_iteratorIjlEEPS9_SG_NS0_5tupleIJPjSI_NS0_16reverse_iteratorISI_EEEEENSH_IJSG_SG_SG_EEES9_SI_JZNS1_25segmented_radix_sort_implINS0_14default_configELb0EPK6__halfPSP_PKlPlN2at6native12_GLOBAL__N_18offset_tEEE10hipError_tPvRmT1_PNSt15iterator_traitsIS13_E10value_typeET2_T3_PNS14_IS19_E10value_typeET4_jRbjT5_S1F_jjP12ihipStream_tbEUljE_ZNSN_ISO_Lb0ESR_SS_SU_SV_SZ_EES10_S11_S12_S13_S17_S18_S19_S1C_S1D_jS1E_jS1F_S1F_jjS1H_bEUljE0_EEES10_S11_S12_S19_S1D_S1F_T6_T7_T9_mT8_S1H_bDpT10_ENKUlT_T0_E_clISt17integral_constantIbLb0EES1U_IbLb1EEEEDaS1Q_S1R_EUlS1Q_E_NS1_11comp_targetILNS1_3genE5ELNS1_11target_archE942ELNS1_3gpuE9ELNS1_3repE0EEENS1_30default_config_static_selectorELNS0_4arch9wavefront6targetE0EEEvS13_,"axG",@progbits,_ZN7rocprim17ROCPRIM_400000_NS6detail17trampoline_kernelINS0_13select_configILj256ELj13ELNS0_17block_load_methodE3ELS4_3ELS4_3ELNS0_20block_scan_algorithmE0ELj4294967295EEENS1_25partition_config_selectorILNS1_17partition_subalgoE4EjNS0_10empty_typeEbEEZZNS1_14partition_implILS8_4ELb0ES6_15HIP_vector_typeIjLj2EENS0_17counting_iteratorIjlEEPS9_SG_NS0_5tupleIJPjSI_NS0_16reverse_iteratorISI_EEEEENSH_IJSG_SG_SG_EEES9_SI_JZNS1_25segmented_radix_sort_implINS0_14default_configELb0EPK6__halfPSP_PKlPlN2at6native12_GLOBAL__N_18offset_tEEE10hipError_tPvRmT1_PNSt15iterator_traitsIS13_E10value_typeET2_T3_PNS14_IS19_E10value_typeET4_jRbjT5_S1F_jjP12ihipStream_tbEUljE_ZNSN_ISO_Lb0ESR_SS_SU_SV_SZ_EES10_S11_S12_S13_S17_S18_S19_S1C_S1D_jS1E_jS1F_S1F_jjS1H_bEUljE0_EEES10_S11_S12_S19_S1D_S1F_T6_T7_T9_mT8_S1H_bDpT10_ENKUlT_T0_E_clISt17integral_constantIbLb0EES1U_IbLb1EEEEDaS1Q_S1R_EUlS1Q_E_NS1_11comp_targetILNS1_3genE5ELNS1_11target_archE942ELNS1_3gpuE9ELNS1_3repE0EEENS1_30default_config_static_selectorELNS0_4arch9wavefront6targetE0EEEvS13_,comdat
.Lfunc_end1793:
	.size	_ZN7rocprim17ROCPRIM_400000_NS6detail17trampoline_kernelINS0_13select_configILj256ELj13ELNS0_17block_load_methodE3ELS4_3ELS4_3ELNS0_20block_scan_algorithmE0ELj4294967295EEENS1_25partition_config_selectorILNS1_17partition_subalgoE4EjNS0_10empty_typeEbEEZZNS1_14partition_implILS8_4ELb0ES6_15HIP_vector_typeIjLj2EENS0_17counting_iteratorIjlEEPS9_SG_NS0_5tupleIJPjSI_NS0_16reverse_iteratorISI_EEEEENSH_IJSG_SG_SG_EEES9_SI_JZNS1_25segmented_radix_sort_implINS0_14default_configELb0EPK6__halfPSP_PKlPlN2at6native12_GLOBAL__N_18offset_tEEE10hipError_tPvRmT1_PNSt15iterator_traitsIS13_E10value_typeET2_T3_PNS14_IS19_E10value_typeET4_jRbjT5_S1F_jjP12ihipStream_tbEUljE_ZNSN_ISO_Lb0ESR_SS_SU_SV_SZ_EES10_S11_S12_S13_S17_S18_S19_S1C_S1D_jS1E_jS1F_S1F_jjS1H_bEUljE0_EEES10_S11_S12_S19_S1D_S1F_T6_T7_T9_mT8_S1H_bDpT10_ENKUlT_T0_E_clISt17integral_constantIbLb0EES1U_IbLb1EEEEDaS1Q_S1R_EUlS1Q_E_NS1_11comp_targetILNS1_3genE5ELNS1_11target_archE942ELNS1_3gpuE9ELNS1_3repE0EEENS1_30default_config_static_selectorELNS0_4arch9wavefront6targetE0EEEvS13_, .Lfunc_end1793-_ZN7rocprim17ROCPRIM_400000_NS6detail17trampoline_kernelINS0_13select_configILj256ELj13ELNS0_17block_load_methodE3ELS4_3ELS4_3ELNS0_20block_scan_algorithmE0ELj4294967295EEENS1_25partition_config_selectorILNS1_17partition_subalgoE4EjNS0_10empty_typeEbEEZZNS1_14partition_implILS8_4ELb0ES6_15HIP_vector_typeIjLj2EENS0_17counting_iteratorIjlEEPS9_SG_NS0_5tupleIJPjSI_NS0_16reverse_iteratorISI_EEEEENSH_IJSG_SG_SG_EEES9_SI_JZNS1_25segmented_radix_sort_implINS0_14default_configELb0EPK6__halfPSP_PKlPlN2at6native12_GLOBAL__N_18offset_tEEE10hipError_tPvRmT1_PNSt15iterator_traitsIS13_E10value_typeET2_T3_PNS14_IS19_E10value_typeET4_jRbjT5_S1F_jjP12ihipStream_tbEUljE_ZNSN_ISO_Lb0ESR_SS_SU_SV_SZ_EES10_S11_S12_S13_S17_S18_S19_S1C_S1D_jS1E_jS1F_S1F_jjS1H_bEUljE0_EEES10_S11_S12_S19_S1D_S1F_T6_T7_T9_mT8_S1H_bDpT10_ENKUlT_T0_E_clISt17integral_constantIbLb0EES1U_IbLb1EEEEDaS1Q_S1R_EUlS1Q_E_NS1_11comp_targetILNS1_3genE5ELNS1_11target_archE942ELNS1_3gpuE9ELNS1_3repE0EEENS1_30default_config_static_selectorELNS0_4arch9wavefront6targetE0EEEvS13_
                                        ; -- End function
	.set _ZN7rocprim17ROCPRIM_400000_NS6detail17trampoline_kernelINS0_13select_configILj256ELj13ELNS0_17block_load_methodE3ELS4_3ELS4_3ELNS0_20block_scan_algorithmE0ELj4294967295EEENS1_25partition_config_selectorILNS1_17partition_subalgoE4EjNS0_10empty_typeEbEEZZNS1_14partition_implILS8_4ELb0ES6_15HIP_vector_typeIjLj2EENS0_17counting_iteratorIjlEEPS9_SG_NS0_5tupleIJPjSI_NS0_16reverse_iteratorISI_EEEEENSH_IJSG_SG_SG_EEES9_SI_JZNS1_25segmented_radix_sort_implINS0_14default_configELb0EPK6__halfPSP_PKlPlN2at6native12_GLOBAL__N_18offset_tEEE10hipError_tPvRmT1_PNSt15iterator_traitsIS13_E10value_typeET2_T3_PNS14_IS19_E10value_typeET4_jRbjT5_S1F_jjP12ihipStream_tbEUljE_ZNSN_ISO_Lb0ESR_SS_SU_SV_SZ_EES10_S11_S12_S13_S17_S18_S19_S1C_S1D_jS1E_jS1F_S1F_jjS1H_bEUljE0_EEES10_S11_S12_S19_S1D_S1F_T6_T7_T9_mT8_S1H_bDpT10_ENKUlT_T0_E_clISt17integral_constantIbLb0EES1U_IbLb1EEEEDaS1Q_S1R_EUlS1Q_E_NS1_11comp_targetILNS1_3genE5ELNS1_11target_archE942ELNS1_3gpuE9ELNS1_3repE0EEENS1_30default_config_static_selectorELNS0_4arch9wavefront6targetE0EEEvS13_.num_vgpr, 0
	.set _ZN7rocprim17ROCPRIM_400000_NS6detail17trampoline_kernelINS0_13select_configILj256ELj13ELNS0_17block_load_methodE3ELS4_3ELS4_3ELNS0_20block_scan_algorithmE0ELj4294967295EEENS1_25partition_config_selectorILNS1_17partition_subalgoE4EjNS0_10empty_typeEbEEZZNS1_14partition_implILS8_4ELb0ES6_15HIP_vector_typeIjLj2EENS0_17counting_iteratorIjlEEPS9_SG_NS0_5tupleIJPjSI_NS0_16reverse_iteratorISI_EEEEENSH_IJSG_SG_SG_EEES9_SI_JZNS1_25segmented_radix_sort_implINS0_14default_configELb0EPK6__halfPSP_PKlPlN2at6native12_GLOBAL__N_18offset_tEEE10hipError_tPvRmT1_PNSt15iterator_traitsIS13_E10value_typeET2_T3_PNS14_IS19_E10value_typeET4_jRbjT5_S1F_jjP12ihipStream_tbEUljE_ZNSN_ISO_Lb0ESR_SS_SU_SV_SZ_EES10_S11_S12_S13_S17_S18_S19_S1C_S1D_jS1E_jS1F_S1F_jjS1H_bEUljE0_EEES10_S11_S12_S19_S1D_S1F_T6_T7_T9_mT8_S1H_bDpT10_ENKUlT_T0_E_clISt17integral_constantIbLb0EES1U_IbLb1EEEEDaS1Q_S1R_EUlS1Q_E_NS1_11comp_targetILNS1_3genE5ELNS1_11target_archE942ELNS1_3gpuE9ELNS1_3repE0EEENS1_30default_config_static_selectorELNS0_4arch9wavefront6targetE0EEEvS13_.num_agpr, 0
	.set _ZN7rocprim17ROCPRIM_400000_NS6detail17trampoline_kernelINS0_13select_configILj256ELj13ELNS0_17block_load_methodE3ELS4_3ELS4_3ELNS0_20block_scan_algorithmE0ELj4294967295EEENS1_25partition_config_selectorILNS1_17partition_subalgoE4EjNS0_10empty_typeEbEEZZNS1_14partition_implILS8_4ELb0ES6_15HIP_vector_typeIjLj2EENS0_17counting_iteratorIjlEEPS9_SG_NS0_5tupleIJPjSI_NS0_16reverse_iteratorISI_EEEEENSH_IJSG_SG_SG_EEES9_SI_JZNS1_25segmented_radix_sort_implINS0_14default_configELb0EPK6__halfPSP_PKlPlN2at6native12_GLOBAL__N_18offset_tEEE10hipError_tPvRmT1_PNSt15iterator_traitsIS13_E10value_typeET2_T3_PNS14_IS19_E10value_typeET4_jRbjT5_S1F_jjP12ihipStream_tbEUljE_ZNSN_ISO_Lb0ESR_SS_SU_SV_SZ_EES10_S11_S12_S13_S17_S18_S19_S1C_S1D_jS1E_jS1F_S1F_jjS1H_bEUljE0_EEES10_S11_S12_S19_S1D_S1F_T6_T7_T9_mT8_S1H_bDpT10_ENKUlT_T0_E_clISt17integral_constantIbLb0EES1U_IbLb1EEEEDaS1Q_S1R_EUlS1Q_E_NS1_11comp_targetILNS1_3genE5ELNS1_11target_archE942ELNS1_3gpuE9ELNS1_3repE0EEENS1_30default_config_static_selectorELNS0_4arch9wavefront6targetE0EEEvS13_.numbered_sgpr, 0
	.set _ZN7rocprim17ROCPRIM_400000_NS6detail17trampoline_kernelINS0_13select_configILj256ELj13ELNS0_17block_load_methodE3ELS4_3ELS4_3ELNS0_20block_scan_algorithmE0ELj4294967295EEENS1_25partition_config_selectorILNS1_17partition_subalgoE4EjNS0_10empty_typeEbEEZZNS1_14partition_implILS8_4ELb0ES6_15HIP_vector_typeIjLj2EENS0_17counting_iteratorIjlEEPS9_SG_NS0_5tupleIJPjSI_NS0_16reverse_iteratorISI_EEEEENSH_IJSG_SG_SG_EEES9_SI_JZNS1_25segmented_radix_sort_implINS0_14default_configELb0EPK6__halfPSP_PKlPlN2at6native12_GLOBAL__N_18offset_tEEE10hipError_tPvRmT1_PNSt15iterator_traitsIS13_E10value_typeET2_T3_PNS14_IS19_E10value_typeET4_jRbjT5_S1F_jjP12ihipStream_tbEUljE_ZNSN_ISO_Lb0ESR_SS_SU_SV_SZ_EES10_S11_S12_S13_S17_S18_S19_S1C_S1D_jS1E_jS1F_S1F_jjS1H_bEUljE0_EEES10_S11_S12_S19_S1D_S1F_T6_T7_T9_mT8_S1H_bDpT10_ENKUlT_T0_E_clISt17integral_constantIbLb0EES1U_IbLb1EEEEDaS1Q_S1R_EUlS1Q_E_NS1_11comp_targetILNS1_3genE5ELNS1_11target_archE942ELNS1_3gpuE9ELNS1_3repE0EEENS1_30default_config_static_selectorELNS0_4arch9wavefront6targetE0EEEvS13_.num_named_barrier, 0
	.set _ZN7rocprim17ROCPRIM_400000_NS6detail17trampoline_kernelINS0_13select_configILj256ELj13ELNS0_17block_load_methodE3ELS4_3ELS4_3ELNS0_20block_scan_algorithmE0ELj4294967295EEENS1_25partition_config_selectorILNS1_17partition_subalgoE4EjNS0_10empty_typeEbEEZZNS1_14partition_implILS8_4ELb0ES6_15HIP_vector_typeIjLj2EENS0_17counting_iteratorIjlEEPS9_SG_NS0_5tupleIJPjSI_NS0_16reverse_iteratorISI_EEEEENSH_IJSG_SG_SG_EEES9_SI_JZNS1_25segmented_radix_sort_implINS0_14default_configELb0EPK6__halfPSP_PKlPlN2at6native12_GLOBAL__N_18offset_tEEE10hipError_tPvRmT1_PNSt15iterator_traitsIS13_E10value_typeET2_T3_PNS14_IS19_E10value_typeET4_jRbjT5_S1F_jjP12ihipStream_tbEUljE_ZNSN_ISO_Lb0ESR_SS_SU_SV_SZ_EES10_S11_S12_S13_S17_S18_S19_S1C_S1D_jS1E_jS1F_S1F_jjS1H_bEUljE0_EEES10_S11_S12_S19_S1D_S1F_T6_T7_T9_mT8_S1H_bDpT10_ENKUlT_T0_E_clISt17integral_constantIbLb0EES1U_IbLb1EEEEDaS1Q_S1R_EUlS1Q_E_NS1_11comp_targetILNS1_3genE5ELNS1_11target_archE942ELNS1_3gpuE9ELNS1_3repE0EEENS1_30default_config_static_selectorELNS0_4arch9wavefront6targetE0EEEvS13_.private_seg_size, 0
	.set _ZN7rocprim17ROCPRIM_400000_NS6detail17trampoline_kernelINS0_13select_configILj256ELj13ELNS0_17block_load_methodE3ELS4_3ELS4_3ELNS0_20block_scan_algorithmE0ELj4294967295EEENS1_25partition_config_selectorILNS1_17partition_subalgoE4EjNS0_10empty_typeEbEEZZNS1_14partition_implILS8_4ELb0ES6_15HIP_vector_typeIjLj2EENS0_17counting_iteratorIjlEEPS9_SG_NS0_5tupleIJPjSI_NS0_16reverse_iteratorISI_EEEEENSH_IJSG_SG_SG_EEES9_SI_JZNS1_25segmented_radix_sort_implINS0_14default_configELb0EPK6__halfPSP_PKlPlN2at6native12_GLOBAL__N_18offset_tEEE10hipError_tPvRmT1_PNSt15iterator_traitsIS13_E10value_typeET2_T3_PNS14_IS19_E10value_typeET4_jRbjT5_S1F_jjP12ihipStream_tbEUljE_ZNSN_ISO_Lb0ESR_SS_SU_SV_SZ_EES10_S11_S12_S13_S17_S18_S19_S1C_S1D_jS1E_jS1F_S1F_jjS1H_bEUljE0_EEES10_S11_S12_S19_S1D_S1F_T6_T7_T9_mT8_S1H_bDpT10_ENKUlT_T0_E_clISt17integral_constantIbLb0EES1U_IbLb1EEEEDaS1Q_S1R_EUlS1Q_E_NS1_11comp_targetILNS1_3genE5ELNS1_11target_archE942ELNS1_3gpuE9ELNS1_3repE0EEENS1_30default_config_static_selectorELNS0_4arch9wavefront6targetE0EEEvS13_.uses_vcc, 0
	.set _ZN7rocprim17ROCPRIM_400000_NS6detail17trampoline_kernelINS0_13select_configILj256ELj13ELNS0_17block_load_methodE3ELS4_3ELS4_3ELNS0_20block_scan_algorithmE0ELj4294967295EEENS1_25partition_config_selectorILNS1_17partition_subalgoE4EjNS0_10empty_typeEbEEZZNS1_14partition_implILS8_4ELb0ES6_15HIP_vector_typeIjLj2EENS0_17counting_iteratorIjlEEPS9_SG_NS0_5tupleIJPjSI_NS0_16reverse_iteratorISI_EEEEENSH_IJSG_SG_SG_EEES9_SI_JZNS1_25segmented_radix_sort_implINS0_14default_configELb0EPK6__halfPSP_PKlPlN2at6native12_GLOBAL__N_18offset_tEEE10hipError_tPvRmT1_PNSt15iterator_traitsIS13_E10value_typeET2_T3_PNS14_IS19_E10value_typeET4_jRbjT5_S1F_jjP12ihipStream_tbEUljE_ZNSN_ISO_Lb0ESR_SS_SU_SV_SZ_EES10_S11_S12_S13_S17_S18_S19_S1C_S1D_jS1E_jS1F_S1F_jjS1H_bEUljE0_EEES10_S11_S12_S19_S1D_S1F_T6_T7_T9_mT8_S1H_bDpT10_ENKUlT_T0_E_clISt17integral_constantIbLb0EES1U_IbLb1EEEEDaS1Q_S1R_EUlS1Q_E_NS1_11comp_targetILNS1_3genE5ELNS1_11target_archE942ELNS1_3gpuE9ELNS1_3repE0EEENS1_30default_config_static_selectorELNS0_4arch9wavefront6targetE0EEEvS13_.uses_flat_scratch, 0
	.set _ZN7rocprim17ROCPRIM_400000_NS6detail17trampoline_kernelINS0_13select_configILj256ELj13ELNS0_17block_load_methodE3ELS4_3ELS4_3ELNS0_20block_scan_algorithmE0ELj4294967295EEENS1_25partition_config_selectorILNS1_17partition_subalgoE4EjNS0_10empty_typeEbEEZZNS1_14partition_implILS8_4ELb0ES6_15HIP_vector_typeIjLj2EENS0_17counting_iteratorIjlEEPS9_SG_NS0_5tupleIJPjSI_NS0_16reverse_iteratorISI_EEEEENSH_IJSG_SG_SG_EEES9_SI_JZNS1_25segmented_radix_sort_implINS0_14default_configELb0EPK6__halfPSP_PKlPlN2at6native12_GLOBAL__N_18offset_tEEE10hipError_tPvRmT1_PNSt15iterator_traitsIS13_E10value_typeET2_T3_PNS14_IS19_E10value_typeET4_jRbjT5_S1F_jjP12ihipStream_tbEUljE_ZNSN_ISO_Lb0ESR_SS_SU_SV_SZ_EES10_S11_S12_S13_S17_S18_S19_S1C_S1D_jS1E_jS1F_S1F_jjS1H_bEUljE0_EEES10_S11_S12_S19_S1D_S1F_T6_T7_T9_mT8_S1H_bDpT10_ENKUlT_T0_E_clISt17integral_constantIbLb0EES1U_IbLb1EEEEDaS1Q_S1R_EUlS1Q_E_NS1_11comp_targetILNS1_3genE5ELNS1_11target_archE942ELNS1_3gpuE9ELNS1_3repE0EEENS1_30default_config_static_selectorELNS0_4arch9wavefront6targetE0EEEvS13_.has_dyn_sized_stack, 0
	.set _ZN7rocprim17ROCPRIM_400000_NS6detail17trampoline_kernelINS0_13select_configILj256ELj13ELNS0_17block_load_methodE3ELS4_3ELS4_3ELNS0_20block_scan_algorithmE0ELj4294967295EEENS1_25partition_config_selectorILNS1_17partition_subalgoE4EjNS0_10empty_typeEbEEZZNS1_14partition_implILS8_4ELb0ES6_15HIP_vector_typeIjLj2EENS0_17counting_iteratorIjlEEPS9_SG_NS0_5tupleIJPjSI_NS0_16reverse_iteratorISI_EEEEENSH_IJSG_SG_SG_EEES9_SI_JZNS1_25segmented_radix_sort_implINS0_14default_configELb0EPK6__halfPSP_PKlPlN2at6native12_GLOBAL__N_18offset_tEEE10hipError_tPvRmT1_PNSt15iterator_traitsIS13_E10value_typeET2_T3_PNS14_IS19_E10value_typeET4_jRbjT5_S1F_jjP12ihipStream_tbEUljE_ZNSN_ISO_Lb0ESR_SS_SU_SV_SZ_EES10_S11_S12_S13_S17_S18_S19_S1C_S1D_jS1E_jS1F_S1F_jjS1H_bEUljE0_EEES10_S11_S12_S19_S1D_S1F_T6_T7_T9_mT8_S1H_bDpT10_ENKUlT_T0_E_clISt17integral_constantIbLb0EES1U_IbLb1EEEEDaS1Q_S1R_EUlS1Q_E_NS1_11comp_targetILNS1_3genE5ELNS1_11target_archE942ELNS1_3gpuE9ELNS1_3repE0EEENS1_30default_config_static_selectorELNS0_4arch9wavefront6targetE0EEEvS13_.has_recursion, 0
	.set _ZN7rocprim17ROCPRIM_400000_NS6detail17trampoline_kernelINS0_13select_configILj256ELj13ELNS0_17block_load_methodE3ELS4_3ELS4_3ELNS0_20block_scan_algorithmE0ELj4294967295EEENS1_25partition_config_selectorILNS1_17partition_subalgoE4EjNS0_10empty_typeEbEEZZNS1_14partition_implILS8_4ELb0ES6_15HIP_vector_typeIjLj2EENS0_17counting_iteratorIjlEEPS9_SG_NS0_5tupleIJPjSI_NS0_16reverse_iteratorISI_EEEEENSH_IJSG_SG_SG_EEES9_SI_JZNS1_25segmented_radix_sort_implINS0_14default_configELb0EPK6__halfPSP_PKlPlN2at6native12_GLOBAL__N_18offset_tEEE10hipError_tPvRmT1_PNSt15iterator_traitsIS13_E10value_typeET2_T3_PNS14_IS19_E10value_typeET4_jRbjT5_S1F_jjP12ihipStream_tbEUljE_ZNSN_ISO_Lb0ESR_SS_SU_SV_SZ_EES10_S11_S12_S13_S17_S18_S19_S1C_S1D_jS1E_jS1F_S1F_jjS1H_bEUljE0_EEES10_S11_S12_S19_S1D_S1F_T6_T7_T9_mT8_S1H_bDpT10_ENKUlT_T0_E_clISt17integral_constantIbLb0EES1U_IbLb1EEEEDaS1Q_S1R_EUlS1Q_E_NS1_11comp_targetILNS1_3genE5ELNS1_11target_archE942ELNS1_3gpuE9ELNS1_3repE0EEENS1_30default_config_static_selectorELNS0_4arch9wavefront6targetE0EEEvS13_.has_indirect_call, 0
	.section	.AMDGPU.csdata,"",@progbits
; Kernel info:
; codeLenInByte = 0
; TotalNumSgprs: 0
; NumVgprs: 0
; ScratchSize: 0
; MemoryBound: 0
; FloatMode: 240
; IeeeMode: 1
; LDSByteSize: 0 bytes/workgroup (compile time only)
; SGPRBlocks: 0
; VGPRBlocks: 0
; NumSGPRsForWavesPerEU: 1
; NumVGPRsForWavesPerEU: 1
; NamedBarCnt: 0
; Occupancy: 16
; WaveLimiterHint : 0
; COMPUTE_PGM_RSRC2:SCRATCH_EN: 0
; COMPUTE_PGM_RSRC2:USER_SGPR: 2
; COMPUTE_PGM_RSRC2:TRAP_HANDLER: 0
; COMPUTE_PGM_RSRC2:TGID_X_EN: 1
; COMPUTE_PGM_RSRC2:TGID_Y_EN: 0
; COMPUTE_PGM_RSRC2:TGID_Z_EN: 0
; COMPUTE_PGM_RSRC2:TIDIG_COMP_CNT: 0
	.section	.text._ZN7rocprim17ROCPRIM_400000_NS6detail17trampoline_kernelINS0_13select_configILj256ELj13ELNS0_17block_load_methodE3ELS4_3ELS4_3ELNS0_20block_scan_algorithmE0ELj4294967295EEENS1_25partition_config_selectorILNS1_17partition_subalgoE4EjNS0_10empty_typeEbEEZZNS1_14partition_implILS8_4ELb0ES6_15HIP_vector_typeIjLj2EENS0_17counting_iteratorIjlEEPS9_SG_NS0_5tupleIJPjSI_NS0_16reverse_iteratorISI_EEEEENSH_IJSG_SG_SG_EEES9_SI_JZNS1_25segmented_radix_sort_implINS0_14default_configELb0EPK6__halfPSP_PKlPlN2at6native12_GLOBAL__N_18offset_tEEE10hipError_tPvRmT1_PNSt15iterator_traitsIS13_E10value_typeET2_T3_PNS14_IS19_E10value_typeET4_jRbjT5_S1F_jjP12ihipStream_tbEUljE_ZNSN_ISO_Lb0ESR_SS_SU_SV_SZ_EES10_S11_S12_S13_S17_S18_S19_S1C_S1D_jS1E_jS1F_S1F_jjS1H_bEUljE0_EEES10_S11_S12_S19_S1D_S1F_T6_T7_T9_mT8_S1H_bDpT10_ENKUlT_T0_E_clISt17integral_constantIbLb0EES1U_IbLb1EEEEDaS1Q_S1R_EUlS1Q_E_NS1_11comp_targetILNS1_3genE4ELNS1_11target_archE910ELNS1_3gpuE8ELNS1_3repE0EEENS1_30default_config_static_selectorELNS0_4arch9wavefront6targetE0EEEvS13_,"axG",@progbits,_ZN7rocprim17ROCPRIM_400000_NS6detail17trampoline_kernelINS0_13select_configILj256ELj13ELNS0_17block_load_methodE3ELS4_3ELS4_3ELNS0_20block_scan_algorithmE0ELj4294967295EEENS1_25partition_config_selectorILNS1_17partition_subalgoE4EjNS0_10empty_typeEbEEZZNS1_14partition_implILS8_4ELb0ES6_15HIP_vector_typeIjLj2EENS0_17counting_iteratorIjlEEPS9_SG_NS0_5tupleIJPjSI_NS0_16reverse_iteratorISI_EEEEENSH_IJSG_SG_SG_EEES9_SI_JZNS1_25segmented_radix_sort_implINS0_14default_configELb0EPK6__halfPSP_PKlPlN2at6native12_GLOBAL__N_18offset_tEEE10hipError_tPvRmT1_PNSt15iterator_traitsIS13_E10value_typeET2_T3_PNS14_IS19_E10value_typeET4_jRbjT5_S1F_jjP12ihipStream_tbEUljE_ZNSN_ISO_Lb0ESR_SS_SU_SV_SZ_EES10_S11_S12_S13_S17_S18_S19_S1C_S1D_jS1E_jS1F_S1F_jjS1H_bEUljE0_EEES10_S11_S12_S19_S1D_S1F_T6_T7_T9_mT8_S1H_bDpT10_ENKUlT_T0_E_clISt17integral_constantIbLb0EES1U_IbLb1EEEEDaS1Q_S1R_EUlS1Q_E_NS1_11comp_targetILNS1_3genE4ELNS1_11target_archE910ELNS1_3gpuE8ELNS1_3repE0EEENS1_30default_config_static_selectorELNS0_4arch9wavefront6targetE0EEEvS13_,comdat
	.globl	_ZN7rocprim17ROCPRIM_400000_NS6detail17trampoline_kernelINS0_13select_configILj256ELj13ELNS0_17block_load_methodE3ELS4_3ELS4_3ELNS0_20block_scan_algorithmE0ELj4294967295EEENS1_25partition_config_selectorILNS1_17partition_subalgoE4EjNS0_10empty_typeEbEEZZNS1_14partition_implILS8_4ELb0ES6_15HIP_vector_typeIjLj2EENS0_17counting_iteratorIjlEEPS9_SG_NS0_5tupleIJPjSI_NS0_16reverse_iteratorISI_EEEEENSH_IJSG_SG_SG_EEES9_SI_JZNS1_25segmented_radix_sort_implINS0_14default_configELb0EPK6__halfPSP_PKlPlN2at6native12_GLOBAL__N_18offset_tEEE10hipError_tPvRmT1_PNSt15iterator_traitsIS13_E10value_typeET2_T3_PNS14_IS19_E10value_typeET4_jRbjT5_S1F_jjP12ihipStream_tbEUljE_ZNSN_ISO_Lb0ESR_SS_SU_SV_SZ_EES10_S11_S12_S13_S17_S18_S19_S1C_S1D_jS1E_jS1F_S1F_jjS1H_bEUljE0_EEES10_S11_S12_S19_S1D_S1F_T6_T7_T9_mT8_S1H_bDpT10_ENKUlT_T0_E_clISt17integral_constantIbLb0EES1U_IbLb1EEEEDaS1Q_S1R_EUlS1Q_E_NS1_11comp_targetILNS1_3genE4ELNS1_11target_archE910ELNS1_3gpuE8ELNS1_3repE0EEENS1_30default_config_static_selectorELNS0_4arch9wavefront6targetE0EEEvS13_ ; -- Begin function _ZN7rocprim17ROCPRIM_400000_NS6detail17trampoline_kernelINS0_13select_configILj256ELj13ELNS0_17block_load_methodE3ELS4_3ELS4_3ELNS0_20block_scan_algorithmE0ELj4294967295EEENS1_25partition_config_selectorILNS1_17partition_subalgoE4EjNS0_10empty_typeEbEEZZNS1_14partition_implILS8_4ELb0ES6_15HIP_vector_typeIjLj2EENS0_17counting_iteratorIjlEEPS9_SG_NS0_5tupleIJPjSI_NS0_16reverse_iteratorISI_EEEEENSH_IJSG_SG_SG_EEES9_SI_JZNS1_25segmented_radix_sort_implINS0_14default_configELb0EPK6__halfPSP_PKlPlN2at6native12_GLOBAL__N_18offset_tEEE10hipError_tPvRmT1_PNSt15iterator_traitsIS13_E10value_typeET2_T3_PNS14_IS19_E10value_typeET4_jRbjT5_S1F_jjP12ihipStream_tbEUljE_ZNSN_ISO_Lb0ESR_SS_SU_SV_SZ_EES10_S11_S12_S13_S17_S18_S19_S1C_S1D_jS1E_jS1F_S1F_jjS1H_bEUljE0_EEES10_S11_S12_S19_S1D_S1F_T6_T7_T9_mT8_S1H_bDpT10_ENKUlT_T0_E_clISt17integral_constantIbLb0EES1U_IbLb1EEEEDaS1Q_S1R_EUlS1Q_E_NS1_11comp_targetILNS1_3genE4ELNS1_11target_archE910ELNS1_3gpuE8ELNS1_3repE0EEENS1_30default_config_static_selectorELNS0_4arch9wavefront6targetE0EEEvS13_
	.p2align	8
	.type	_ZN7rocprim17ROCPRIM_400000_NS6detail17trampoline_kernelINS0_13select_configILj256ELj13ELNS0_17block_load_methodE3ELS4_3ELS4_3ELNS0_20block_scan_algorithmE0ELj4294967295EEENS1_25partition_config_selectorILNS1_17partition_subalgoE4EjNS0_10empty_typeEbEEZZNS1_14partition_implILS8_4ELb0ES6_15HIP_vector_typeIjLj2EENS0_17counting_iteratorIjlEEPS9_SG_NS0_5tupleIJPjSI_NS0_16reverse_iteratorISI_EEEEENSH_IJSG_SG_SG_EEES9_SI_JZNS1_25segmented_radix_sort_implINS0_14default_configELb0EPK6__halfPSP_PKlPlN2at6native12_GLOBAL__N_18offset_tEEE10hipError_tPvRmT1_PNSt15iterator_traitsIS13_E10value_typeET2_T3_PNS14_IS19_E10value_typeET4_jRbjT5_S1F_jjP12ihipStream_tbEUljE_ZNSN_ISO_Lb0ESR_SS_SU_SV_SZ_EES10_S11_S12_S13_S17_S18_S19_S1C_S1D_jS1E_jS1F_S1F_jjS1H_bEUljE0_EEES10_S11_S12_S19_S1D_S1F_T6_T7_T9_mT8_S1H_bDpT10_ENKUlT_T0_E_clISt17integral_constantIbLb0EES1U_IbLb1EEEEDaS1Q_S1R_EUlS1Q_E_NS1_11comp_targetILNS1_3genE4ELNS1_11target_archE910ELNS1_3gpuE8ELNS1_3repE0EEENS1_30default_config_static_selectorELNS0_4arch9wavefront6targetE0EEEvS13_,@function
_ZN7rocprim17ROCPRIM_400000_NS6detail17trampoline_kernelINS0_13select_configILj256ELj13ELNS0_17block_load_methodE3ELS4_3ELS4_3ELNS0_20block_scan_algorithmE0ELj4294967295EEENS1_25partition_config_selectorILNS1_17partition_subalgoE4EjNS0_10empty_typeEbEEZZNS1_14partition_implILS8_4ELb0ES6_15HIP_vector_typeIjLj2EENS0_17counting_iteratorIjlEEPS9_SG_NS0_5tupleIJPjSI_NS0_16reverse_iteratorISI_EEEEENSH_IJSG_SG_SG_EEES9_SI_JZNS1_25segmented_radix_sort_implINS0_14default_configELb0EPK6__halfPSP_PKlPlN2at6native12_GLOBAL__N_18offset_tEEE10hipError_tPvRmT1_PNSt15iterator_traitsIS13_E10value_typeET2_T3_PNS14_IS19_E10value_typeET4_jRbjT5_S1F_jjP12ihipStream_tbEUljE_ZNSN_ISO_Lb0ESR_SS_SU_SV_SZ_EES10_S11_S12_S13_S17_S18_S19_S1C_S1D_jS1E_jS1F_S1F_jjS1H_bEUljE0_EEES10_S11_S12_S19_S1D_S1F_T6_T7_T9_mT8_S1H_bDpT10_ENKUlT_T0_E_clISt17integral_constantIbLb0EES1U_IbLb1EEEEDaS1Q_S1R_EUlS1Q_E_NS1_11comp_targetILNS1_3genE4ELNS1_11target_archE910ELNS1_3gpuE8ELNS1_3repE0EEENS1_30default_config_static_selectorELNS0_4arch9wavefront6targetE0EEEvS13_: ; @_ZN7rocprim17ROCPRIM_400000_NS6detail17trampoline_kernelINS0_13select_configILj256ELj13ELNS0_17block_load_methodE3ELS4_3ELS4_3ELNS0_20block_scan_algorithmE0ELj4294967295EEENS1_25partition_config_selectorILNS1_17partition_subalgoE4EjNS0_10empty_typeEbEEZZNS1_14partition_implILS8_4ELb0ES6_15HIP_vector_typeIjLj2EENS0_17counting_iteratorIjlEEPS9_SG_NS0_5tupleIJPjSI_NS0_16reverse_iteratorISI_EEEEENSH_IJSG_SG_SG_EEES9_SI_JZNS1_25segmented_radix_sort_implINS0_14default_configELb0EPK6__halfPSP_PKlPlN2at6native12_GLOBAL__N_18offset_tEEE10hipError_tPvRmT1_PNSt15iterator_traitsIS13_E10value_typeET2_T3_PNS14_IS19_E10value_typeET4_jRbjT5_S1F_jjP12ihipStream_tbEUljE_ZNSN_ISO_Lb0ESR_SS_SU_SV_SZ_EES10_S11_S12_S13_S17_S18_S19_S1C_S1D_jS1E_jS1F_S1F_jjS1H_bEUljE0_EEES10_S11_S12_S19_S1D_S1F_T6_T7_T9_mT8_S1H_bDpT10_ENKUlT_T0_E_clISt17integral_constantIbLb0EES1U_IbLb1EEEEDaS1Q_S1R_EUlS1Q_E_NS1_11comp_targetILNS1_3genE4ELNS1_11target_archE910ELNS1_3gpuE8ELNS1_3repE0EEENS1_30default_config_static_selectorELNS0_4arch9wavefront6targetE0EEEvS13_
; %bb.0:
	.section	.rodata,"a",@progbits
	.p2align	6, 0x0
	.amdhsa_kernel _ZN7rocprim17ROCPRIM_400000_NS6detail17trampoline_kernelINS0_13select_configILj256ELj13ELNS0_17block_load_methodE3ELS4_3ELS4_3ELNS0_20block_scan_algorithmE0ELj4294967295EEENS1_25partition_config_selectorILNS1_17partition_subalgoE4EjNS0_10empty_typeEbEEZZNS1_14partition_implILS8_4ELb0ES6_15HIP_vector_typeIjLj2EENS0_17counting_iteratorIjlEEPS9_SG_NS0_5tupleIJPjSI_NS0_16reverse_iteratorISI_EEEEENSH_IJSG_SG_SG_EEES9_SI_JZNS1_25segmented_radix_sort_implINS0_14default_configELb0EPK6__halfPSP_PKlPlN2at6native12_GLOBAL__N_18offset_tEEE10hipError_tPvRmT1_PNSt15iterator_traitsIS13_E10value_typeET2_T3_PNS14_IS19_E10value_typeET4_jRbjT5_S1F_jjP12ihipStream_tbEUljE_ZNSN_ISO_Lb0ESR_SS_SU_SV_SZ_EES10_S11_S12_S13_S17_S18_S19_S1C_S1D_jS1E_jS1F_S1F_jjS1H_bEUljE0_EEES10_S11_S12_S19_S1D_S1F_T6_T7_T9_mT8_S1H_bDpT10_ENKUlT_T0_E_clISt17integral_constantIbLb0EES1U_IbLb1EEEEDaS1Q_S1R_EUlS1Q_E_NS1_11comp_targetILNS1_3genE4ELNS1_11target_archE910ELNS1_3gpuE8ELNS1_3repE0EEENS1_30default_config_static_selectorELNS0_4arch9wavefront6targetE0EEEvS13_
		.amdhsa_group_segment_fixed_size 0
		.amdhsa_private_segment_fixed_size 0
		.amdhsa_kernarg_size 184
		.amdhsa_user_sgpr_count 2
		.amdhsa_user_sgpr_dispatch_ptr 0
		.amdhsa_user_sgpr_queue_ptr 0
		.amdhsa_user_sgpr_kernarg_segment_ptr 1
		.amdhsa_user_sgpr_dispatch_id 0
		.amdhsa_user_sgpr_kernarg_preload_length 0
		.amdhsa_user_sgpr_kernarg_preload_offset 0
		.amdhsa_user_sgpr_private_segment_size 0
		.amdhsa_wavefront_size32 1
		.amdhsa_uses_dynamic_stack 0
		.amdhsa_enable_private_segment 0
		.amdhsa_system_sgpr_workgroup_id_x 1
		.amdhsa_system_sgpr_workgroup_id_y 0
		.amdhsa_system_sgpr_workgroup_id_z 0
		.amdhsa_system_sgpr_workgroup_info 0
		.amdhsa_system_vgpr_workitem_id 0
		.amdhsa_next_free_vgpr 1
		.amdhsa_next_free_sgpr 1
		.amdhsa_named_barrier_count 0
		.amdhsa_reserve_vcc 0
		.amdhsa_float_round_mode_32 0
		.amdhsa_float_round_mode_16_64 0
		.amdhsa_float_denorm_mode_32 3
		.amdhsa_float_denorm_mode_16_64 3
		.amdhsa_fp16_overflow 0
		.amdhsa_memory_ordered 1
		.amdhsa_forward_progress 1
		.amdhsa_inst_pref_size 0
		.amdhsa_round_robin_scheduling 0
		.amdhsa_exception_fp_ieee_invalid_op 0
		.amdhsa_exception_fp_denorm_src 0
		.amdhsa_exception_fp_ieee_div_zero 0
		.amdhsa_exception_fp_ieee_overflow 0
		.amdhsa_exception_fp_ieee_underflow 0
		.amdhsa_exception_fp_ieee_inexact 0
		.amdhsa_exception_int_div_zero 0
	.end_amdhsa_kernel
	.section	.text._ZN7rocprim17ROCPRIM_400000_NS6detail17trampoline_kernelINS0_13select_configILj256ELj13ELNS0_17block_load_methodE3ELS4_3ELS4_3ELNS0_20block_scan_algorithmE0ELj4294967295EEENS1_25partition_config_selectorILNS1_17partition_subalgoE4EjNS0_10empty_typeEbEEZZNS1_14partition_implILS8_4ELb0ES6_15HIP_vector_typeIjLj2EENS0_17counting_iteratorIjlEEPS9_SG_NS0_5tupleIJPjSI_NS0_16reverse_iteratorISI_EEEEENSH_IJSG_SG_SG_EEES9_SI_JZNS1_25segmented_radix_sort_implINS0_14default_configELb0EPK6__halfPSP_PKlPlN2at6native12_GLOBAL__N_18offset_tEEE10hipError_tPvRmT1_PNSt15iterator_traitsIS13_E10value_typeET2_T3_PNS14_IS19_E10value_typeET4_jRbjT5_S1F_jjP12ihipStream_tbEUljE_ZNSN_ISO_Lb0ESR_SS_SU_SV_SZ_EES10_S11_S12_S13_S17_S18_S19_S1C_S1D_jS1E_jS1F_S1F_jjS1H_bEUljE0_EEES10_S11_S12_S19_S1D_S1F_T6_T7_T9_mT8_S1H_bDpT10_ENKUlT_T0_E_clISt17integral_constantIbLb0EES1U_IbLb1EEEEDaS1Q_S1R_EUlS1Q_E_NS1_11comp_targetILNS1_3genE4ELNS1_11target_archE910ELNS1_3gpuE8ELNS1_3repE0EEENS1_30default_config_static_selectorELNS0_4arch9wavefront6targetE0EEEvS13_,"axG",@progbits,_ZN7rocprim17ROCPRIM_400000_NS6detail17trampoline_kernelINS0_13select_configILj256ELj13ELNS0_17block_load_methodE3ELS4_3ELS4_3ELNS0_20block_scan_algorithmE0ELj4294967295EEENS1_25partition_config_selectorILNS1_17partition_subalgoE4EjNS0_10empty_typeEbEEZZNS1_14partition_implILS8_4ELb0ES6_15HIP_vector_typeIjLj2EENS0_17counting_iteratorIjlEEPS9_SG_NS0_5tupleIJPjSI_NS0_16reverse_iteratorISI_EEEEENSH_IJSG_SG_SG_EEES9_SI_JZNS1_25segmented_radix_sort_implINS0_14default_configELb0EPK6__halfPSP_PKlPlN2at6native12_GLOBAL__N_18offset_tEEE10hipError_tPvRmT1_PNSt15iterator_traitsIS13_E10value_typeET2_T3_PNS14_IS19_E10value_typeET4_jRbjT5_S1F_jjP12ihipStream_tbEUljE_ZNSN_ISO_Lb0ESR_SS_SU_SV_SZ_EES10_S11_S12_S13_S17_S18_S19_S1C_S1D_jS1E_jS1F_S1F_jjS1H_bEUljE0_EEES10_S11_S12_S19_S1D_S1F_T6_T7_T9_mT8_S1H_bDpT10_ENKUlT_T0_E_clISt17integral_constantIbLb0EES1U_IbLb1EEEEDaS1Q_S1R_EUlS1Q_E_NS1_11comp_targetILNS1_3genE4ELNS1_11target_archE910ELNS1_3gpuE8ELNS1_3repE0EEENS1_30default_config_static_selectorELNS0_4arch9wavefront6targetE0EEEvS13_,comdat
.Lfunc_end1794:
	.size	_ZN7rocprim17ROCPRIM_400000_NS6detail17trampoline_kernelINS0_13select_configILj256ELj13ELNS0_17block_load_methodE3ELS4_3ELS4_3ELNS0_20block_scan_algorithmE0ELj4294967295EEENS1_25partition_config_selectorILNS1_17partition_subalgoE4EjNS0_10empty_typeEbEEZZNS1_14partition_implILS8_4ELb0ES6_15HIP_vector_typeIjLj2EENS0_17counting_iteratorIjlEEPS9_SG_NS0_5tupleIJPjSI_NS0_16reverse_iteratorISI_EEEEENSH_IJSG_SG_SG_EEES9_SI_JZNS1_25segmented_radix_sort_implINS0_14default_configELb0EPK6__halfPSP_PKlPlN2at6native12_GLOBAL__N_18offset_tEEE10hipError_tPvRmT1_PNSt15iterator_traitsIS13_E10value_typeET2_T3_PNS14_IS19_E10value_typeET4_jRbjT5_S1F_jjP12ihipStream_tbEUljE_ZNSN_ISO_Lb0ESR_SS_SU_SV_SZ_EES10_S11_S12_S13_S17_S18_S19_S1C_S1D_jS1E_jS1F_S1F_jjS1H_bEUljE0_EEES10_S11_S12_S19_S1D_S1F_T6_T7_T9_mT8_S1H_bDpT10_ENKUlT_T0_E_clISt17integral_constantIbLb0EES1U_IbLb1EEEEDaS1Q_S1R_EUlS1Q_E_NS1_11comp_targetILNS1_3genE4ELNS1_11target_archE910ELNS1_3gpuE8ELNS1_3repE0EEENS1_30default_config_static_selectorELNS0_4arch9wavefront6targetE0EEEvS13_, .Lfunc_end1794-_ZN7rocprim17ROCPRIM_400000_NS6detail17trampoline_kernelINS0_13select_configILj256ELj13ELNS0_17block_load_methodE3ELS4_3ELS4_3ELNS0_20block_scan_algorithmE0ELj4294967295EEENS1_25partition_config_selectorILNS1_17partition_subalgoE4EjNS0_10empty_typeEbEEZZNS1_14partition_implILS8_4ELb0ES6_15HIP_vector_typeIjLj2EENS0_17counting_iteratorIjlEEPS9_SG_NS0_5tupleIJPjSI_NS0_16reverse_iteratorISI_EEEEENSH_IJSG_SG_SG_EEES9_SI_JZNS1_25segmented_radix_sort_implINS0_14default_configELb0EPK6__halfPSP_PKlPlN2at6native12_GLOBAL__N_18offset_tEEE10hipError_tPvRmT1_PNSt15iterator_traitsIS13_E10value_typeET2_T3_PNS14_IS19_E10value_typeET4_jRbjT5_S1F_jjP12ihipStream_tbEUljE_ZNSN_ISO_Lb0ESR_SS_SU_SV_SZ_EES10_S11_S12_S13_S17_S18_S19_S1C_S1D_jS1E_jS1F_S1F_jjS1H_bEUljE0_EEES10_S11_S12_S19_S1D_S1F_T6_T7_T9_mT8_S1H_bDpT10_ENKUlT_T0_E_clISt17integral_constantIbLb0EES1U_IbLb1EEEEDaS1Q_S1R_EUlS1Q_E_NS1_11comp_targetILNS1_3genE4ELNS1_11target_archE910ELNS1_3gpuE8ELNS1_3repE0EEENS1_30default_config_static_selectorELNS0_4arch9wavefront6targetE0EEEvS13_
                                        ; -- End function
	.set _ZN7rocprim17ROCPRIM_400000_NS6detail17trampoline_kernelINS0_13select_configILj256ELj13ELNS0_17block_load_methodE3ELS4_3ELS4_3ELNS0_20block_scan_algorithmE0ELj4294967295EEENS1_25partition_config_selectorILNS1_17partition_subalgoE4EjNS0_10empty_typeEbEEZZNS1_14partition_implILS8_4ELb0ES6_15HIP_vector_typeIjLj2EENS0_17counting_iteratorIjlEEPS9_SG_NS0_5tupleIJPjSI_NS0_16reverse_iteratorISI_EEEEENSH_IJSG_SG_SG_EEES9_SI_JZNS1_25segmented_radix_sort_implINS0_14default_configELb0EPK6__halfPSP_PKlPlN2at6native12_GLOBAL__N_18offset_tEEE10hipError_tPvRmT1_PNSt15iterator_traitsIS13_E10value_typeET2_T3_PNS14_IS19_E10value_typeET4_jRbjT5_S1F_jjP12ihipStream_tbEUljE_ZNSN_ISO_Lb0ESR_SS_SU_SV_SZ_EES10_S11_S12_S13_S17_S18_S19_S1C_S1D_jS1E_jS1F_S1F_jjS1H_bEUljE0_EEES10_S11_S12_S19_S1D_S1F_T6_T7_T9_mT8_S1H_bDpT10_ENKUlT_T0_E_clISt17integral_constantIbLb0EES1U_IbLb1EEEEDaS1Q_S1R_EUlS1Q_E_NS1_11comp_targetILNS1_3genE4ELNS1_11target_archE910ELNS1_3gpuE8ELNS1_3repE0EEENS1_30default_config_static_selectorELNS0_4arch9wavefront6targetE0EEEvS13_.num_vgpr, 0
	.set _ZN7rocprim17ROCPRIM_400000_NS6detail17trampoline_kernelINS0_13select_configILj256ELj13ELNS0_17block_load_methodE3ELS4_3ELS4_3ELNS0_20block_scan_algorithmE0ELj4294967295EEENS1_25partition_config_selectorILNS1_17partition_subalgoE4EjNS0_10empty_typeEbEEZZNS1_14partition_implILS8_4ELb0ES6_15HIP_vector_typeIjLj2EENS0_17counting_iteratorIjlEEPS9_SG_NS0_5tupleIJPjSI_NS0_16reverse_iteratorISI_EEEEENSH_IJSG_SG_SG_EEES9_SI_JZNS1_25segmented_radix_sort_implINS0_14default_configELb0EPK6__halfPSP_PKlPlN2at6native12_GLOBAL__N_18offset_tEEE10hipError_tPvRmT1_PNSt15iterator_traitsIS13_E10value_typeET2_T3_PNS14_IS19_E10value_typeET4_jRbjT5_S1F_jjP12ihipStream_tbEUljE_ZNSN_ISO_Lb0ESR_SS_SU_SV_SZ_EES10_S11_S12_S13_S17_S18_S19_S1C_S1D_jS1E_jS1F_S1F_jjS1H_bEUljE0_EEES10_S11_S12_S19_S1D_S1F_T6_T7_T9_mT8_S1H_bDpT10_ENKUlT_T0_E_clISt17integral_constantIbLb0EES1U_IbLb1EEEEDaS1Q_S1R_EUlS1Q_E_NS1_11comp_targetILNS1_3genE4ELNS1_11target_archE910ELNS1_3gpuE8ELNS1_3repE0EEENS1_30default_config_static_selectorELNS0_4arch9wavefront6targetE0EEEvS13_.num_agpr, 0
	.set _ZN7rocprim17ROCPRIM_400000_NS6detail17trampoline_kernelINS0_13select_configILj256ELj13ELNS0_17block_load_methodE3ELS4_3ELS4_3ELNS0_20block_scan_algorithmE0ELj4294967295EEENS1_25partition_config_selectorILNS1_17partition_subalgoE4EjNS0_10empty_typeEbEEZZNS1_14partition_implILS8_4ELb0ES6_15HIP_vector_typeIjLj2EENS0_17counting_iteratorIjlEEPS9_SG_NS0_5tupleIJPjSI_NS0_16reverse_iteratorISI_EEEEENSH_IJSG_SG_SG_EEES9_SI_JZNS1_25segmented_radix_sort_implINS0_14default_configELb0EPK6__halfPSP_PKlPlN2at6native12_GLOBAL__N_18offset_tEEE10hipError_tPvRmT1_PNSt15iterator_traitsIS13_E10value_typeET2_T3_PNS14_IS19_E10value_typeET4_jRbjT5_S1F_jjP12ihipStream_tbEUljE_ZNSN_ISO_Lb0ESR_SS_SU_SV_SZ_EES10_S11_S12_S13_S17_S18_S19_S1C_S1D_jS1E_jS1F_S1F_jjS1H_bEUljE0_EEES10_S11_S12_S19_S1D_S1F_T6_T7_T9_mT8_S1H_bDpT10_ENKUlT_T0_E_clISt17integral_constantIbLb0EES1U_IbLb1EEEEDaS1Q_S1R_EUlS1Q_E_NS1_11comp_targetILNS1_3genE4ELNS1_11target_archE910ELNS1_3gpuE8ELNS1_3repE0EEENS1_30default_config_static_selectorELNS0_4arch9wavefront6targetE0EEEvS13_.numbered_sgpr, 0
	.set _ZN7rocprim17ROCPRIM_400000_NS6detail17trampoline_kernelINS0_13select_configILj256ELj13ELNS0_17block_load_methodE3ELS4_3ELS4_3ELNS0_20block_scan_algorithmE0ELj4294967295EEENS1_25partition_config_selectorILNS1_17partition_subalgoE4EjNS0_10empty_typeEbEEZZNS1_14partition_implILS8_4ELb0ES6_15HIP_vector_typeIjLj2EENS0_17counting_iteratorIjlEEPS9_SG_NS0_5tupleIJPjSI_NS0_16reverse_iteratorISI_EEEEENSH_IJSG_SG_SG_EEES9_SI_JZNS1_25segmented_radix_sort_implINS0_14default_configELb0EPK6__halfPSP_PKlPlN2at6native12_GLOBAL__N_18offset_tEEE10hipError_tPvRmT1_PNSt15iterator_traitsIS13_E10value_typeET2_T3_PNS14_IS19_E10value_typeET4_jRbjT5_S1F_jjP12ihipStream_tbEUljE_ZNSN_ISO_Lb0ESR_SS_SU_SV_SZ_EES10_S11_S12_S13_S17_S18_S19_S1C_S1D_jS1E_jS1F_S1F_jjS1H_bEUljE0_EEES10_S11_S12_S19_S1D_S1F_T6_T7_T9_mT8_S1H_bDpT10_ENKUlT_T0_E_clISt17integral_constantIbLb0EES1U_IbLb1EEEEDaS1Q_S1R_EUlS1Q_E_NS1_11comp_targetILNS1_3genE4ELNS1_11target_archE910ELNS1_3gpuE8ELNS1_3repE0EEENS1_30default_config_static_selectorELNS0_4arch9wavefront6targetE0EEEvS13_.num_named_barrier, 0
	.set _ZN7rocprim17ROCPRIM_400000_NS6detail17trampoline_kernelINS0_13select_configILj256ELj13ELNS0_17block_load_methodE3ELS4_3ELS4_3ELNS0_20block_scan_algorithmE0ELj4294967295EEENS1_25partition_config_selectorILNS1_17partition_subalgoE4EjNS0_10empty_typeEbEEZZNS1_14partition_implILS8_4ELb0ES6_15HIP_vector_typeIjLj2EENS0_17counting_iteratorIjlEEPS9_SG_NS0_5tupleIJPjSI_NS0_16reverse_iteratorISI_EEEEENSH_IJSG_SG_SG_EEES9_SI_JZNS1_25segmented_radix_sort_implINS0_14default_configELb0EPK6__halfPSP_PKlPlN2at6native12_GLOBAL__N_18offset_tEEE10hipError_tPvRmT1_PNSt15iterator_traitsIS13_E10value_typeET2_T3_PNS14_IS19_E10value_typeET4_jRbjT5_S1F_jjP12ihipStream_tbEUljE_ZNSN_ISO_Lb0ESR_SS_SU_SV_SZ_EES10_S11_S12_S13_S17_S18_S19_S1C_S1D_jS1E_jS1F_S1F_jjS1H_bEUljE0_EEES10_S11_S12_S19_S1D_S1F_T6_T7_T9_mT8_S1H_bDpT10_ENKUlT_T0_E_clISt17integral_constantIbLb0EES1U_IbLb1EEEEDaS1Q_S1R_EUlS1Q_E_NS1_11comp_targetILNS1_3genE4ELNS1_11target_archE910ELNS1_3gpuE8ELNS1_3repE0EEENS1_30default_config_static_selectorELNS0_4arch9wavefront6targetE0EEEvS13_.private_seg_size, 0
	.set _ZN7rocprim17ROCPRIM_400000_NS6detail17trampoline_kernelINS0_13select_configILj256ELj13ELNS0_17block_load_methodE3ELS4_3ELS4_3ELNS0_20block_scan_algorithmE0ELj4294967295EEENS1_25partition_config_selectorILNS1_17partition_subalgoE4EjNS0_10empty_typeEbEEZZNS1_14partition_implILS8_4ELb0ES6_15HIP_vector_typeIjLj2EENS0_17counting_iteratorIjlEEPS9_SG_NS0_5tupleIJPjSI_NS0_16reverse_iteratorISI_EEEEENSH_IJSG_SG_SG_EEES9_SI_JZNS1_25segmented_radix_sort_implINS0_14default_configELb0EPK6__halfPSP_PKlPlN2at6native12_GLOBAL__N_18offset_tEEE10hipError_tPvRmT1_PNSt15iterator_traitsIS13_E10value_typeET2_T3_PNS14_IS19_E10value_typeET4_jRbjT5_S1F_jjP12ihipStream_tbEUljE_ZNSN_ISO_Lb0ESR_SS_SU_SV_SZ_EES10_S11_S12_S13_S17_S18_S19_S1C_S1D_jS1E_jS1F_S1F_jjS1H_bEUljE0_EEES10_S11_S12_S19_S1D_S1F_T6_T7_T9_mT8_S1H_bDpT10_ENKUlT_T0_E_clISt17integral_constantIbLb0EES1U_IbLb1EEEEDaS1Q_S1R_EUlS1Q_E_NS1_11comp_targetILNS1_3genE4ELNS1_11target_archE910ELNS1_3gpuE8ELNS1_3repE0EEENS1_30default_config_static_selectorELNS0_4arch9wavefront6targetE0EEEvS13_.uses_vcc, 0
	.set _ZN7rocprim17ROCPRIM_400000_NS6detail17trampoline_kernelINS0_13select_configILj256ELj13ELNS0_17block_load_methodE3ELS4_3ELS4_3ELNS0_20block_scan_algorithmE0ELj4294967295EEENS1_25partition_config_selectorILNS1_17partition_subalgoE4EjNS0_10empty_typeEbEEZZNS1_14partition_implILS8_4ELb0ES6_15HIP_vector_typeIjLj2EENS0_17counting_iteratorIjlEEPS9_SG_NS0_5tupleIJPjSI_NS0_16reverse_iteratorISI_EEEEENSH_IJSG_SG_SG_EEES9_SI_JZNS1_25segmented_radix_sort_implINS0_14default_configELb0EPK6__halfPSP_PKlPlN2at6native12_GLOBAL__N_18offset_tEEE10hipError_tPvRmT1_PNSt15iterator_traitsIS13_E10value_typeET2_T3_PNS14_IS19_E10value_typeET4_jRbjT5_S1F_jjP12ihipStream_tbEUljE_ZNSN_ISO_Lb0ESR_SS_SU_SV_SZ_EES10_S11_S12_S13_S17_S18_S19_S1C_S1D_jS1E_jS1F_S1F_jjS1H_bEUljE0_EEES10_S11_S12_S19_S1D_S1F_T6_T7_T9_mT8_S1H_bDpT10_ENKUlT_T0_E_clISt17integral_constantIbLb0EES1U_IbLb1EEEEDaS1Q_S1R_EUlS1Q_E_NS1_11comp_targetILNS1_3genE4ELNS1_11target_archE910ELNS1_3gpuE8ELNS1_3repE0EEENS1_30default_config_static_selectorELNS0_4arch9wavefront6targetE0EEEvS13_.uses_flat_scratch, 0
	.set _ZN7rocprim17ROCPRIM_400000_NS6detail17trampoline_kernelINS0_13select_configILj256ELj13ELNS0_17block_load_methodE3ELS4_3ELS4_3ELNS0_20block_scan_algorithmE0ELj4294967295EEENS1_25partition_config_selectorILNS1_17partition_subalgoE4EjNS0_10empty_typeEbEEZZNS1_14partition_implILS8_4ELb0ES6_15HIP_vector_typeIjLj2EENS0_17counting_iteratorIjlEEPS9_SG_NS0_5tupleIJPjSI_NS0_16reverse_iteratorISI_EEEEENSH_IJSG_SG_SG_EEES9_SI_JZNS1_25segmented_radix_sort_implINS0_14default_configELb0EPK6__halfPSP_PKlPlN2at6native12_GLOBAL__N_18offset_tEEE10hipError_tPvRmT1_PNSt15iterator_traitsIS13_E10value_typeET2_T3_PNS14_IS19_E10value_typeET4_jRbjT5_S1F_jjP12ihipStream_tbEUljE_ZNSN_ISO_Lb0ESR_SS_SU_SV_SZ_EES10_S11_S12_S13_S17_S18_S19_S1C_S1D_jS1E_jS1F_S1F_jjS1H_bEUljE0_EEES10_S11_S12_S19_S1D_S1F_T6_T7_T9_mT8_S1H_bDpT10_ENKUlT_T0_E_clISt17integral_constantIbLb0EES1U_IbLb1EEEEDaS1Q_S1R_EUlS1Q_E_NS1_11comp_targetILNS1_3genE4ELNS1_11target_archE910ELNS1_3gpuE8ELNS1_3repE0EEENS1_30default_config_static_selectorELNS0_4arch9wavefront6targetE0EEEvS13_.has_dyn_sized_stack, 0
	.set _ZN7rocprim17ROCPRIM_400000_NS6detail17trampoline_kernelINS0_13select_configILj256ELj13ELNS0_17block_load_methodE3ELS4_3ELS4_3ELNS0_20block_scan_algorithmE0ELj4294967295EEENS1_25partition_config_selectorILNS1_17partition_subalgoE4EjNS0_10empty_typeEbEEZZNS1_14partition_implILS8_4ELb0ES6_15HIP_vector_typeIjLj2EENS0_17counting_iteratorIjlEEPS9_SG_NS0_5tupleIJPjSI_NS0_16reverse_iteratorISI_EEEEENSH_IJSG_SG_SG_EEES9_SI_JZNS1_25segmented_radix_sort_implINS0_14default_configELb0EPK6__halfPSP_PKlPlN2at6native12_GLOBAL__N_18offset_tEEE10hipError_tPvRmT1_PNSt15iterator_traitsIS13_E10value_typeET2_T3_PNS14_IS19_E10value_typeET4_jRbjT5_S1F_jjP12ihipStream_tbEUljE_ZNSN_ISO_Lb0ESR_SS_SU_SV_SZ_EES10_S11_S12_S13_S17_S18_S19_S1C_S1D_jS1E_jS1F_S1F_jjS1H_bEUljE0_EEES10_S11_S12_S19_S1D_S1F_T6_T7_T9_mT8_S1H_bDpT10_ENKUlT_T0_E_clISt17integral_constantIbLb0EES1U_IbLb1EEEEDaS1Q_S1R_EUlS1Q_E_NS1_11comp_targetILNS1_3genE4ELNS1_11target_archE910ELNS1_3gpuE8ELNS1_3repE0EEENS1_30default_config_static_selectorELNS0_4arch9wavefront6targetE0EEEvS13_.has_recursion, 0
	.set _ZN7rocprim17ROCPRIM_400000_NS6detail17trampoline_kernelINS0_13select_configILj256ELj13ELNS0_17block_load_methodE3ELS4_3ELS4_3ELNS0_20block_scan_algorithmE0ELj4294967295EEENS1_25partition_config_selectorILNS1_17partition_subalgoE4EjNS0_10empty_typeEbEEZZNS1_14partition_implILS8_4ELb0ES6_15HIP_vector_typeIjLj2EENS0_17counting_iteratorIjlEEPS9_SG_NS0_5tupleIJPjSI_NS0_16reverse_iteratorISI_EEEEENSH_IJSG_SG_SG_EEES9_SI_JZNS1_25segmented_radix_sort_implINS0_14default_configELb0EPK6__halfPSP_PKlPlN2at6native12_GLOBAL__N_18offset_tEEE10hipError_tPvRmT1_PNSt15iterator_traitsIS13_E10value_typeET2_T3_PNS14_IS19_E10value_typeET4_jRbjT5_S1F_jjP12ihipStream_tbEUljE_ZNSN_ISO_Lb0ESR_SS_SU_SV_SZ_EES10_S11_S12_S13_S17_S18_S19_S1C_S1D_jS1E_jS1F_S1F_jjS1H_bEUljE0_EEES10_S11_S12_S19_S1D_S1F_T6_T7_T9_mT8_S1H_bDpT10_ENKUlT_T0_E_clISt17integral_constantIbLb0EES1U_IbLb1EEEEDaS1Q_S1R_EUlS1Q_E_NS1_11comp_targetILNS1_3genE4ELNS1_11target_archE910ELNS1_3gpuE8ELNS1_3repE0EEENS1_30default_config_static_selectorELNS0_4arch9wavefront6targetE0EEEvS13_.has_indirect_call, 0
	.section	.AMDGPU.csdata,"",@progbits
; Kernel info:
; codeLenInByte = 0
; TotalNumSgprs: 0
; NumVgprs: 0
; ScratchSize: 0
; MemoryBound: 0
; FloatMode: 240
; IeeeMode: 1
; LDSByteSize: 0 bytes/workgroup (compile time only)
; SGPRBlocks: 0
; VGPRBlocks: 0
; NumSGPRsForWavesPerEU: 1
; NumVGPRsForWavesPerEU: 1
; NamedBarCnt: 0
; Occupancy: 16
; WaveLimiterHint : 0
; COMPUTE_PGM_RSRC2:SCRATCH_EN: 0
; COMPUTE_PGM_RSRC2:USER_SGPR: 2
; COMPUTE_PGM_RSRC2:TRAP_HANDLER: 0
; COMPUTE_PGM_RSRC2:TGID_X_EN: 1
; COMPUTE_PGM_RSRC2:TGID_Y_EN: 0
; COMPUTE_PGM_RSRC2:TGID_Z_EN: 0
; COMPUTE_PGM_RSRC2:TIDIG_COMP_CNT: 0
	.section	.text._ZN7rocprim17ROCPRIM_400000_NS6detail17trampoline_kernelINS0_13select_configILj256ELj13ELNS0_17block_load_methodE3ELS4_3ELS4_3ELNS0_20block_scan_algorithmE0ELj4294967295EEENS1_25partition_config_selectorILNS1_17partition_subalgoE4EjNS0_10empty_typeEbEEZZNS1_14partition_implILS8_4ELb0ES6_15HIP_vector_typeIjLj2EENS0_17counting_iteratorIjlEEPS9_SG_NS0_5tupleIJPjSI_NS0_16reverse_iteratorISI_EEEEENSH_IJSG_SG_SG_EEES9_SI_JZNS1_25segmented_radix_sort_implINS0_14default_configELb0EPK6__halfPSP_PKlPlN2at6native12_GLOBAL__N_18offset_tEEE10hipError_tPvRmT1_PNSt15iterator_traitsIS13_E10value_typeET2_T3_PNS14_IS19_E10value_typeET4_jRbjT5_S1F_jjP12ihipStream_tbEUljE_ZNSN_ISO_Lb0ESR_SS_SU_SV_SZ_EES10_S11_S12_S13_S17_S18_S19_S1C_S1D_jS1E_jS1F_S1F_jjS1H_bEUljE0_EEES10_S11_S12_S19_S1D_S1F_T6_T7_T9_mT8_S1H_bDpT10_ENKUlT_T0_E_clISt17integral_constantIbLb0EES1U_IbLb1EEEEDaS1Q_S1R_EUlS1Q_E_NS1_11comp_targetILNS1_3genE3ELNS1_11target_archE908ELNS1_3gpuE7ELNS1_3repE0EEENS1_30default_config_static_selectorELNS0_4arch9wavefront6targetE0EEEvS13_,"axG",@progbits,_ZN7rocprim17ROCPRIM_400000_NS6detail17trampoline_kernelINS0_13select_configILj256ELj13ELNS0_17block_load_methodE3ELS4_3ELS4_3ELNS0_20block_scan_algorithmE0ELj4294967295EEENS1_25partition_config_selectorILNS1_17partition_subalgoE4EjNS0_10empty_typeEbEEZZNS1_14partition_implILS8_4ELb0ES6_15HIP_vector_typeIjLj2EENS0_17counting_iteratorIjlEEPS9_SG_NS0_5tupleIJPjSI_NS0_16reverse_iteratorISI_EEEEENSH_IJSG_SG_SG_EEES9_SI_JZNS1_25segmented_radix_sort_implINS0_14default_configELb0EPK6__halfPSP_PKlPlN2at6native12_GLOBAL__N_18offset_tEEE10hipError_tPvRmT1_PNSt15iterator_traitsIS13_E10value_typeET2_T3_PNS14_IS19_E10value_typeET4_jRbjT5_S1F_jjP12ihipStream_tbEUljE_ZNSN_ISO_Lb0ESR_SS_SU_SV_SZ_EES10_S11_S12_S13_S17_S18_S19_S1C_S1D_jS1E_jS1F_S1F_jjS1H_bEUljE0_EEES10_S11_S12_S19_S1D_S1F_T6_T7_T9_mT8_S1H_bDpT10_ENKUlT_T0_E_clISt17integral_constantIbLb0EES1U_IbLb1EEEEDaS1Q_S1R_EUlS1Q_E_NS1_11comp_targetILNS1_3genE3ELNS1_11target_archE908ELNS1_3gpuE7ELNS1_3repE0EEENS1_30default_config_static_selectorELNS0_4arch9wavefront6targetE0EEEvS13_,comdat
	.globl	_ZN7rocprim17ROCPRIM_400000_NS6detail17trampoline_kernelINS0_13select_configILj256ELj13ELNS0_17block_load_methodE3ELS4_3ELS4_3ELNS0_20block_scan_algorithmE0ELj4294967295EEENS1_25partition_config_selectorILNS1_17partition_subalgoE4EjNS0_10empty_typeEbEEZZNS1_14partition_implILS8_4ELb0ES6_15HIP_vector_typeIjLj2EENS0_17counting_iteratorIjlEEPS9_SG_NS0_5tupleIJPjSI_NS0_16reverse_iteratorISI_EEEEENSH_IJSG_SG_SG_EEES9_SI_JZNS1_25segmented_radix_sort_implINS0_14default_configELb0EPK6__halfPSP_PKlPlN2at6native12_GLOBAL__N_18offset_tEEE10hipError_tPvRmT1_PNSt15iterator_traitsIS13_E10value_typeET2_T3_PNS14_IS19_E10value_typeET4_jRbjT5_S1F_jjP12ihipStream_tbEUljE_ZNSN_ISO_Lb0ESR_SS_SU_SV_SZ_EES10_S11_S12_S13_S17_S18_S19_S1C_S1D_jS1E_jS1F_S1F_jjS1H_bEUljE0_EEES10_S11_S12_S19_S1D_S1F_T6_T7_T9_mT8_S1H_bDpT10_ENKUlT_T0_E_clISt17integral_constantIbLb0EES1U_IbLb1EEEEDaS1Q_S1R_EUlS1Q_E_NS1_11comp_targetILNS1_3genE3ELNS1_11target_archE908ELNS1_3gpuE7ELNS1_3repE0EEENS1_30default_config_static_selectorELNS0_4arch9wavefront6targetE0EEEvS13_ ; -- Begin function _ZN7rocprim17ROCPRIM_400000_NS6detail17trampoline_kernelINS0_13select_configILj256ELj13ELNS0_17block_load_methodE3ELS4_3ELS4_3ELNS0_20block_scan_algorithmE0ELj4294967295EEENS1_25partition_config_selectorILNS1_17partition_subalgoE4EjNS0_10empty_typeEbEEZZNS1_14partition_implILS8_4ELb0ES6_15HIP_vector_typeIjLj2EENS0_17counting_iteratorIjlEEPS9_SG_NS0_5tupleIJPjSI_NS0_16reverse_iteratorISI_EEEEENSH_IJSG_SG_SG_EEES9_SI_JZNS1_25segmented_radix_sort_implINS0_14default_configELb0EPK6__halfPSP_PKlPlN2at6native12_GLOBAL__N_18offset_tEEE10hipError_tPvRmT1_PNSt15iterator_traitsIS13_E10value_typeET2_T3_PNS14_IS19_E10value_typeET4_jRbjT5_S1F_jjP12ihipStream_tbEUljE_ZNSN_ISO_Lb0ESR_SS_SU_SV_SZ_EES10_S11_S12_S13_S17_S18_S19_S1C_S1D_jS1E_jS1F_S1F_jjS1H_bEUljE0_EEES10_S11_S12_S19_S1D_S1F_T6_T7_T9_mT8_S1H_bDpT10_ENKUlT_T0_E_clISt17integral_constantIbLb0EES1U_IbLb1EEEEDaS1Q_S1R_EUlS1Q_E_NS1_11comp_targetILNS1_3genE3ELNS1_11target_archE908ELNS1_3gpuE7ELNS1_3repE0EEENS1_30default_config_static_selectorELNS0_4arch9wavefront6targetE0EEEvS13_
	.p2align	8
	.type	_ZN7rocprim17ROCPRIM_400000_NS6detail17trampoline_kernelINS0_13select_configILj256ELj13ELNS0_17block_load_methodE3ELS4_3ELS4_3ELNS0_20block_scan_algorithmE0ELj4294967295EEENS1_25partition_config_selectorILNS1_17partition_subalgoE4EjNS0_10empty_typeEbEEZZNS1_14partition_implILS8_4ELb0ES6_15HIP_vector_typeIjLj2EENS0_17counting_iteratorIjlEEPS9_SG_NS0_5tupleIJPjSI_NS0_16reverse_iteratorISI_EEEEENSH_IJSG_SG_SG_EEES9_SI_JZNS1_25segmented_radix_sort_implINS0_14default_configELb0EPK6__halfPSP_PKlPlN2at6native12_GLOBAL__N_18offset_tEEE10hipError_tPvRmT1_PNSt15iterator_traitsIS13_E10value_typeET2_T3_PNS14_IS19_E10value_typeET4_jRbjT5_S1F_jjP12ihipStream_tbEUljE_ZNSN_ISO_Lb0ESR_SS_SU_SV_SZ_EES10_S11_S12_S13_S17_S18_S19_S1C_S1D_jS1E_jS1F_S1F_jjS1H_bEUljE0_EEES10_S11_S12_S19_S1D_S1F_T6_T7_T9_mT8_S1H_bDpT10_ENKUlT_T0_E_clISt17integral_constantIbLb0EES1U_IbLb1EEEEDaS1Q_S1R_EUlS1Q_E_NS1_11comp_targetILNS1_3genE3ELNS1_11target_archE908ELNS1_3gpuE7ELNS1_3repE0EEENS1_30default_config_static_selectorELNS0_4arch9wavefront6targetE0EEEvS13_,@function
_ZN7rocprim17ROCPRIM_400000_NS6detail17trampoline_kernelINS0_13select_configILj256ELj13ELNS0_17block_load_methodE3ELS4_3ELS4_3ELNS0_20block_scan_algorithmE0ELj4294967295EEENS1_25partition_config_selectorILNS1_17partition_subalgoE4EjNS0_10empty_typeEbEEZZNS1_14partition_implILS8_4ELb0ES6_15HIP_vector_typeIjLj2EENS0_17counting_iteratorIjlEEPS9_SG_NS0_5tupleIJPjSI_NS0_16reverse_iteratorISI_EEEEENSH_IJSG_SG_SG_EEES9_SI_JZNS1_25segmented_radix_sort_implINS0_14default_configELb0EPK6__halfPSP_PKlPlN2at6native12_GLOBAL__N_18offset_tEEE10hipError_tPvRmT1_PNSt15iterator_traitsIS13_E10value_typeET2_T3_PNS14_IS19_E10value_typeET4_jRbjT5_S1F_jjP12ihipStream_tbEUljE_ZNSN_ISO_Lb0ESR_SS_SU_SV_SZ_EES10_S11_S12_S13_S17_S18_S19_S1C_S1D_jS1E_jS1F_S1F_jjS1H_bEUljE0_EEES10_S11_S12_S19_S1D_S1F_T6_T7_T9_mT8_S1H_bDpT10_ENKUlT_T0_E_clISt17integral_constantIbLb0EES1U_IbLb1EEEEDaS1Q_S1R_EUlS1Q_E_NS1_11comp_targetILNS1_3genE3ELNS1_11target_archE908ELNS1_3gpuE7ELNS1_3repE0EEENS1_30default_config_static_selectorELNS0_4arch9wavefront6targetE0EEEvS13_: ; @_ZN7rocprim17ROCPRIM_400000_NS6detail17trampoline_kernelINS0_13select_configILj256ELj13ELNS0_17block_load_methodE3ELS4_3ELS4_3ELNS0_20block_scan_algorithmE0ELj4294967295EEENS1_25partition_config_selectorILNS1_17partition_subalgoE4EjNS0_10empty_typeEbEEZZNS1_14partition_implILS8_4ELb0ES6_15HIP_vector_typeIjLj2EENS0_17counting_iteratorIjlEEPS9_SG_NS0_5tupleIJPjSI_NS0_16reverse_iteratorISI_EEEEENSH_IJSG_SG_SG_EEES9_SI_JZNS1_25segmented_radix_sort_implINS0_14default_configELb0EPK6__halfPSP_PKlPlN2at6native12_GLOBAL__N_18offset_tEEE10hipError_tPvRmT1_PNSt15iterator_traitsIS13_E10value_typeET2_T3_PNS14_IS19_E10value_typeET4_jRbjT5_S1F_jjP12ihipStream_tbEUljE_ZNSN_ISO_Lb0ESR_SS_SU_SV_SZ_EES10_S11_S12_S13_S17_S18_S19_S1C_S1D_jS1E_jS1F_S1F_jjS1H_bEUljE0_EEES10_S11_S12_S19_S1D_S1F_T6_T7_T9_mT8_S1H_bDpT10_ENKUlT_T0_E_clISt17integral_constantIbLb0EES1U_IbLb1EEEEDaS1Q_S1R_EUlS1Q_E_NS1_11comp_targetILNS1_3genE3ELNS1_11target_archE908ELNS1_3gpuE7ELNS1_3repE0EEENS1_30default_config_static_selectorELNS0_4arch9wavefront6targetE0EEEvS13_
; %bb.0:
	.section	.rodata,"a",@progbits
	.p2align	6, 0x0
	.amdhsa_kernel _ZN7rocprim17ROCPRIM_400000_NS6detail17trampoline_kernelINS0_13select_configILj256ELj13ELNS0_17block_load_methodE3ELS4_3ELS4_3ELNS0_20block_scan_algorithmE0ELj4294967295EEENS1_25partition_config_selectorILNS1_17partition_subalgoE4EjNS0_10empty_typeEbEEZZNS1_14partition_implILS8_4ELb0ES6_15HIP_vector_typeIjLj2EENS0_17counting_iteratorIjlEEPS9_SG_NS0_5tupleIJPjSI_NS0_16reverse_iteratorISI_EEEEENSH_IJSG_SG_SG_EEES9_SI_JZNS1_25segmented_radix_sort_implINS0_14default_configELb0EPK6__halfPSP_PKlPlN2at6native12_GLOBAL__N_18offset_tEEE10hipError_tPvRmT1_PNSt15iterator_traitsIS13_E10value_typeET2_T3_PNS14_IS19_E10value_typeET4_jRbjT5_S1F_jjP12ihipStream_tbEUljE_ZNSN_ISO_Lb0ESR_SS_SU_SV_SZ_EES10_S11_S12_S13_S17_S18_S19_S1C_S1D_jS1E_jS1F_S1F_jjS1H_bEUljE0_EEES10_S11_S12_S19_S1D_S1F_T6_T7_T9_mT8_S1H_bDpT10_ENKUlT_T0_E_clISt17integral_constantIbLb0EES1U_IbLb1EEEEDaS1Q_S1R_EUlS1Q_E_NS1_11comp_targetILNS1_3genE3ELNS1_11target_archE908ELNS1_3gpuE7ELNS1_3repE0EEENS1_30default_config_static_selectorELNS0_4arch9wavefront6targetE0EEEvS13_
		.amdhsa_group_segment_fixed_size 0
		.amdhsa_private_segment_fixed_size 0
		.amdhsa_kernarg_size 184
		.amdhsa_user_sgpr_count 2
		.amdhsa_user_sgpr_dispatch_ptr 0
		.amdhsa_user_sgpr_queue_ptr 0
		.amdhsa_user_sgpr_kernarg_segment_ptr 1
		.amdhsa_user_sgpr_dispatch_id 0
		.amdhsa_user_sgpr_kernarg_preload_length 0
		.amdhsa_user_sgpr_kernarg_preload_offset 0
		.amdhsa_user_sgpr_private_segment_size 0
		.amdhsa_wavefront_size32 1
		.amdhsa_uses_dynamic_stack 0
		.amdhsa_enable_private_segment 0
		.amdhsa_system_sgpr_workgroup_id_x 1
		.amdhsa_system_sgpr_workgroup_id_y 0
		.amdhsa_system_sgpr_workgroup_id_z 0
		.amdhsa_system_sgpr_workgroup_info 0
		.amdhsa_system_vgpr_workitem_id 0
		.amdhsa_next_free_vgpr 1
		.amdhsa_next_free_sgpr 1
		.amdhsa_named_barrier_count 0
		.amdhsa_reserve_vcc 0
		.amdhsa_float_round_mode_32 0
		.amdhsa_float_round_mode_16_64 0
		.amdhsa_float_denorm_mode_32 3
		.amdhsa_float_denorm_mode_16_64 3
		.amdhsa_fp16_overflow 0
		.amdhsa_memory_ordered 1
		.amdhsa_forward_progress 1
		.amdhsa_inst_pref_size 0
		.amdhsa_round_robin_scheduling 0
		.amdhsa_exception_fp_ieee_invalid_op 0
		.amdhsa_exception_fp_denorm_src 0
		.amdhsa_exception_fp_ieee_div_zero 0
		.amdhsa_exception_fp_ieee_overflow 0
		.amdhsa_exception_fp_ieee_underflow 0
		.amdhsa_exception_fp_ieee_inexact 0
		.amdhsa_exception_int_div_zero 0
	.end_amdhsa_kernel
	.section	.text._ZN7rocprim17ROCPRIM_400000_NS6detail17trampoline_kernelINS0_13select_configILj256ELj13ELNS0_17block_load_methodE3ELS4_3ELS4_3ELNS0_20block_scan_algorithmE0ELj4294967295EEENS1_25partition_config_selectorILNS1_17partition_subalgoE4EjNS0_10empty_typeEbEEZZNS1_14partition_implILS8_4ELb0ES6_15HIP_vector_typeIjLj2EENS0_17counting_iteratorIjlEEPS9_SG_NS0_5tupleIJPjSI_NS0_16reverse_iteratorISI_EEEEENSH_IJSG_SG_SG_EEES9_SI_JZNS1_25segmented_radix_sort_implINS0_14default_configELb0EPK6__halfPSP_PKlPlN2at6native12_GLOBAL__N_18offset_tEEE10hipError_tPvRmT1_PNSt15iterator_traitsIS13_E10value_typeET2_T3_PNS14_IS19_E10value_typeET4_jRbjT5_S1F_jjP12ihipStream_tbEUljE_ZNSN_ISO_Lb0ESR_SS_SU_SV_SZ_EES10_S11_S12_S13_S17_S18_S19_S1C_S1D_jS1E_jS1F_S1F_jjS1H_bEUljE0_EEES10_S11_S12_S19_S1D_S1F_T6_T7_T9_mT8_S1H_bDpT10_ENKUlT_T0_E_clISt17integral_constantIbLb0EES1U_IbLb1EEEEDaS1Q_S1R_EUlS1Q_E_NS1_11comp_targetILNS1_3genE3ELNS1_11target_archE908ELNS1_3gpuE7ELNS1_3repE0EEENS1_30default_config_static_selectorELNS0_4arch9wavefront6targetE0EEEvS13_,"axG",@progbits,_ZN7rocprim17ROCPRIM_400000_NS6detail17trampoline_kernelINS0_13select_configILj256ELj13ELNS0_17block_load_methodE3ELS4_3ELS4_3ELNS0_20block_scan_algorithmE0ELj4294967295EEENS1_25partition_config_selectorILNS1_17partition_subalgoE4EjNS0_10empty_typeEbEEZZNS1_14partition_implILS8_4ELb0ES6_15HIP_vector_typeIjLj2EENS0_17counting_iteratorIjlEEPS9_SG_NS0_5tupleIJPjSI_NS0_16reverse_iteratorISI_EEEEENSH_IJSG_SG_SG_EEES9_SI_JZNS1_25segmented_radix_sort_implINS0_14default_configELb0EPK6__halfPSP_PKlPlN2at6native12_GLOBAL__N_18offset_tEEE10hipError_tPvRmT1_PNSt15iterator_traitsIS13_E10value_typeET2_T3_PNS14_IS19_E10value_typeET4_jRbjT5_S1F_jjP12ihipStream_tbEUljE_ZNSN_ISO_Lb0ESR_SS_SU_SV_SZ_EES10_S11_S12_S13_S17_S18_S19_S1C_S1D_jS1E_jS1F_S1F_jjS1H_bEUljE0_EEES10_S11_S12_S19_S1D_S1F_T6_T7_T9_mT8_S1H_bDpT10_ENKUlT_T0_E_clISt17integral_constantIbLb0EES1U_IbLb1EEEEDaS1Q_S1R_EUlS1Q_E_NS1_11comp_targetILNS1_3genE3ELNS1_11target_archE908ELNS1_3gpuE7ELNS1_3repE0EEENS1_30default_config_static_selectorELNS0_4arch9wavefront6targetE0EEEvS13_,comdat
.Lfunc_end1795:
	.size	_ZN7rocprim17ROCPRIM_400000_NS6detail17trampoline_kernelINS0_13select_configILj256ELj13ELNS0_17block_load_methodE3ELS4_3ELS4_3ELNS0_20block_scan_algorithmE0ELj4294967295EEENS1_25partition_config_selectorILNS1_17partition_subalgoE4EjNS0_10empty_typeEbEEZZNS1_14partition_implILS8_4ELb0ES6_15HIP_vector_typeIjLj2EENS0_17counting_iteratorIjlEEPS9_SG_NS0_5tupleIJPjSI_NS0_16reverse_iteratorISI_EEEEENSH_IJSG_SG_SG_EEES9_SI_JZNS1_25segmented_radix_sort_implINS0_14default_configELb0EPK6__halfPSP_PKlPlN2at6native12_GLOBAL__N_18offset_tEEE10hipError_tPvRmT1_PNSt15iterator_traitsIS13_E10value_typeET2_T3_PNS14_IS19_E10value_typeET4_jRbjT5_S1F_jjP12ihipStream_tbEUljE_ZNSN_ISO_Lb0ESR_SS_SU_SV_SZ_EES10_S11_S12_S13_S17_S18_S19_S1C_S1D_jS1E_jS1F_S1F_jjS1H_bEUljE0_EEES10_S11_S12_S19_S1D_S1F_T6_T7_T9_mT8_S1H_bDpT10_ENKUlT_T0_E_clISt17integral_constantIbLb0EES1U_IbLb1EEEEDaS1Q_S1R_EUlS1Q_E_NS1_11comp_targetILNS1_3genE3ELNS1_11target_archE908ELNS1_3gpuE7ELNS1_3repE0EEENS1_30default_config_static_selectorELNS0_4arch9wavefront6targetE0EEEvS13_, .Lfunc_end1795-_ZN7rocprim17ROCPRIM_400000_NS6detail17trampoline_kernelINS0_13select_configILj256ELj13ELNS0_17block_load_methodE3ELS4_3ELS4_3ELNS0_20block_scan_algorithmE0ELj4294967295EEENS1_25partition_config_selectorILNS1_17partition_subalgoE4EjNS0_10empty_typeEbEEZZNS1_14partition_implILS8_4ELb0ES6_15HIP_vector_typeIjLj2EENS0_17counting_iteratorIjlEEPS9_SG_NS0_5tupleIJPjSI_NS0_16reverse_iteratorISI_EEEEENSH_IJSG_SG_SG_EEES9_SI_JZNS1_25segmented_radix_sort_implINS0_14default_configELb0EPK6__halfPSP_PKlPlN2at6native12_GLOBAL__N_18offset_tEEE10hipError_tPvRmT1_PNSt15iterator_traitsIS13_E10value_typeET2_T3_PNS14_IS19_E10value_typeET4_jRbjT5_S1F_jjP12ihipStream_tbEUljE_ZNSN_ISO_Lb0ESR_SS_SU_SV_SZ_EES10_S11_S12_S13_S17_S18_S19_S1C_S1D_jS1E_jS1F_S1F_jjS1H_bEUljE0_EEES10_S11_S12_S19_S1D_S1F_T6_T7_T9_mT8_S1H_bDpT10_ENKUlT_T0_E_clISt17integral_constantIbLb0EES1U_IbLb1EEEEDaS1Q_S1R_EUlS1Q_E_NS1_11comp_targetILNS1_3genE3ELNS1_11target_archE908ELNS1_3gpuE7ELNS1_3repE0EEENS1_30default_config_static_selectorELNS0_4arch9wavefront6targetE0EEEvS13_
                                        ; -- End function
	.set _ZN7rocprim17ROCPRIM_400000_NS6detail17trampoline_kernelINS0_13select_configILj256ELj13ELNS0_17block_load_methodE3ELS4_3ELS4_3ELNS0_20block_scan_algorithmE0ELj4294967295EEENS1_25partition_config_selectorILNS1_17partition_subalgoE4EjNS0_10empty_typeEbEEZZNS1_14partition_implILS8_4ELb0ES6_15HIP_vector_typeIjLj2EENS0_17counting_iteratorIjlEEPS9_SG_NS0_5tupleIJPjSI_NS0_16reverse_iteratorISI_EEEEENSH_IJSG_SG_SG_EEES9_SI_JZNS1_25segmented_radix_sort_implINS0_14default_configELb0EPK6__halfPSP_PKlPlN2at6native12_GLOBAL__N_18offset_tEEE10hipError_tPvRmT1_PNSt15iterator_traitsIS13_E10value_typeET2_T3_PNS14_IS19_E10value_typeET4_jRbjT5_S1F_jjP12ihipStream_tbEUljE_ZNSN_ISO_Lb0ESR_SS_SU_SV_SZ_EES10_S11_S12_S13_S17_S18_S19_S1C_S1D_jS1E_jS1F_S1F_jjS1H_bEUljE0_EEES10_S11_S12_S19_S1D_S1F_T6_T7_T9_mT8_S1H_bDpT10_ENKUlT_T0_E_clISt17integral_constantIbLb0EES1U_IbLb1EEEEDaS1Q_S1R_EUlS1Q_E_NS1_11comp_targetILNS1_3genE3ELNS1_11target_archE908ELNS1_3gpuE7ELNS1_3repE0EEENS1_30default_config_static_selectorELNS0_4arch9wavefront6targetE0EEEvS13_.num_vgpr, 0
	.set _ZN7rocprim17ROCPRIM_400000_NS6detail17trampoline_kernelINS0_13select_configILj256ELj13ELNS0_17block_load_methodE3ELS4_3ELS4_3ELNS0_20block_scan_algorithmE0ELj4294967295EEENS1_25partition_config_selectorILNS1_17partition_subalgoE4EjNS0_10empty_typeEbEEZZNS1_14partition_implILS8_4ELb0ES6_15HIP_vector_typeIjLj2EENS0_17counting_iteratorIjlEEPS9_SG_NS0_5tupleIJPjSI_NS0_16reverse_iteratorISI_EEEEENSH_IJSG_SG_SG_EEES9_SI_JZNS1_25segmented_radix_sort_implINS0_14default_configELb0EPK6__halfPSP_PKlPlN2at6native12_GLOBAL__N_18offset_tEEE10hipError_tPvRmT1_PNSt15iterator_traitsIS13_E10value_typeET2_T3_PNS14_IS19_E10value_typeET4_jRbjT5_S1F_jjP12ihipStream_tbEUljE_ZNSN_ISO_Lb0ESR_SS_SU_SV_SZ_EES10_S11_S12_S13_S17_S18_S19_S1C_S1D_jS1E_jS1F_S1F_jjS1H_bEUljE0_EEES10_S11_S12_S19_S1D_S1F_T6_T7_T9_mT8_S1H_bDpT10_ENKUlT_T0_E_clISt17integral_constantIbLb0EES1U_IbLb1EEEEDaS1Q_S1R_EUlS1Q_E_NS1_11comp_targetILNS1_3genE3ELNS1_11target_archE908ELNS1_3gpuE7ELNS1_3repE0EEENS1_30default_config_static_selectorELNS0_4arch9wavefront6targetE0EEEvS13_.num_agpr, 0
	.set _ZN7rocprim17ROCPRIM_400000_NS6detail17trampoline_kernelINS0_13select_configILj256ELj13ELNS0_17block_load_methodE3ELS4_3ELS4_3ELNS0_20block_scan_algorithmE0ELj4294967295EEENS1_25partition_config_selectorILNS1_17partition_subalgoE4EjNS0_10empty_typeEbEEZZNS1_14partition_implILS8_4ELb0ES6_15HIP_vector_typeIjLj2EENS0_17counting_iteratorIjlEEPS9_SG_NS0_5tupleIJPjSI_NS0_16reverse_iteratorISI_EEEEENSH_IJSG_SG_SG_EEES9_SI_JZNS1_25segmented_radix_sort_implINS0_14default_configELb0EPK6__halfPSP_PKlPlN2at6native12_GLOBAL__N_18offset_tEEE10hipError_tPvRmT1_PNSt15iterator_traitsIS13_E10value_typeET2_T3_PNS14_IS19_E10value_typeET4_jRbjT5_S1F_jjP12ihipStream_tbEUljE_ZNSN_ISO_Lb0ESR_SS_SU_SV_SZ_EES10_S11_S12_S13_S17_S18_S19_S1C_S1D_jS1E_jS1F_S1F_jjS1H_bEUljE0_EEES10_S11_S12_S19_S1D_S1F_T6_T7_T9_mT8_S1H_bDpT10_ENKUlT_T0_E_clISt17integral_constantIbLb0EES1U_IbLb1EEEEDaS1Q_S1R_EUlS1Q_E_NS1_11comp_targetILNS1_3genE3ELNS1_11target_archE908ELNS1_3gpuE7ELNS1_3repE0EEENS1_30default_config_static_selectorELNS0_4arch9wavefront6targetE0EEEvS13_.numbered_sgpr, 0
	.set _ZN7rocprim17ROCPRIM_400000_NS6detail17trampoline_kernelINS0_13select_configILj256ELj13ELNS0_17block_load_methodE3ELS4_3ELS4_3ELNS0_20block_scan_algorithmE0ELj4294967295EEENS1_25partition_config_selectorILNS1_17partition_subalgoE4EjNS0_10empty_typeEbEEZZNS1_14partition_implILS8_4ELb0ES6_15HIP_vector_typeIjLj2EENS0_17counting_iteratorIjlEEPS9_SG_NS0_5tupleIJPjSI_NS0_16reverse_iteratorISI_EEEEENSH_IJSG_SG_SG_EEES9_SI_JZNS1_25segmented_radix_sort_implINS0_14default_configELb0EPK6__halfPSP_PKlPlN2at6native12_GLOBAL__N_18offset_tEEE10hipError_tPvRmT1_PNSt15iterator_traitsIS13_E10value_typeET2_T3_PNS14_IS19_E10value_typeET4_jRbjT5_S1F_jjP12ihipStream_tbEUljE_ZNSN_ISO_Lb0ESR_SS_SU_SV_SZ_EES10_S11_S12_S13_S17_S18_S19_S1C_S1D_jS1E_jS1F_S1F_jjS1H_bEUljE0_EEES10_S11_S12_S19_S1D_S1F_T6_T7_T9_mT8_S1H_bDpT10_ENKUlT_T0_E_clISt17integral_constantIbLb0EES1U_IbLb1EEEEDaS1Q_S1R_EUlS1Q_E_NS1_11comp_targetILNS1_3genE3ELNS1_11target_archE908ELNS1_3gpuE7ELNS1_3repE0EEENS1_30default_config_static_selectorELNS0_4arch9wavefront6targetE0EEEvS13_.num_named_barrier, 0
	.set _ZN7rocprim17ROCPRIM_400000_NS6detail17trampoline_kernelINS0_13select_configILj256ELj13ELNS0_17block_load_methodE3ELS4_3ELS4_3ELNS0_20block_scan_algorithmE0ELj4294967295EEENS1_25partition_config_selectorILNS1_17partition_subalgoE4EjNS0_10empty_typeEbEEZZNS1_14partition_implILS8_4ELb0ES6_15HIP_vector_typeIjLj2EENS0_17counting_iteratorIjlEEPS9_SG_NS0_5tupleIJPjSI_NS0_16reverse_iteratorISI_EEEEENSH_IJSG_SG_SG_EEES9_SI_JZNS1_25segmented_radix_sort_implINS0_14default_configELb0EPK6__halfPSP_PKlPlN2at6native12_GLOBAL__N_18offset_tEEE10hipError_tPvRmT1_PNSt15iterator_traitsIS13_E10value_typeET2_T3_PNS14_IS19_E10value_typeET4_jRbjT5_S1F_jjP12ihipStream_tbEUljE_ZNSN_ISO_Lb0ESR_SS_SU_SV_SZ_EES10_S11_S12_S13_S17_S18_S19_S1C_S1D_jS1E_jS1F_S1F_jjS1H_bEUljE0_EEES10_S11_S12_S19_S1D_S1F_T6_T7_T9_mT8_S1H_bDpT10_ENKUlT_T0_E_clISt17integral_constantIbLb0EES1U_IbLb1EEEEDaS1Q_S1R_EUlS1Q_E_NS1_11comp_targetILNS1_3genE3ELNS1_11target_archE908ELNS1_3gpuE7ELNS1_3repE0EEENS1_30default_config_static_selectorELNS0_4arch9wavefront6targetE0EEEvS13_.private_seg_size, 0
	.set _ZN7rocprim17ROCPRIM_400000_NS6detail17trampoline_kernelINS0_13select_configILj256ELj13ELNS0_17block_load_methodE3ELS4_3ELS4_3ELNS0_20block_scan_algorithmE0ELj4294967295EEENS1_25partition_config_selectorILNS1_17partition_subalgoE4EjNS0_10empty_typeEbEEZZNS1_14partition_implILS8_4ELb0ES6_15HIP_vector_typeIjLj2EENS0_17counting_iteratorIjlEEPS9_SG_NS0_5tupleIJPjSI_NS0_16reverse_iteratorISI_EEEEENSH_IJSG_SG_SG_EEES9_SI_JZNS1_25segmented_radix_sort_implINS0_14default_configELb0EPK6__halfPSP_PKlPlN2at6native12_GLOBAL__N_18offset_tEEE10hipError_tPvRmT1_PNSt15iterator_traitsIS13_E10value_typeET2_T3_PNS14_IS19_E10value_typeET4_jRbjT5_S1F_jjP12ihipStream_tbEUljE_ZNSN_ISO_Lb0ESR_SS_SU_SV_SZ_EES10_S11_S12_S13_S17_S18_S19_S1C_S1D_jS1E_jS1F_S1F_jjS1H_bEUljE0_EEES10_S11_S12_S19_S1D_S1F_T6_T7_T9_mT8_S1H_bDpT10_ENKUlT_T0_E_clISt17integral_constantIbLb0EES1U_IbLb1EEEEDaS1Q_S1R_EUlS1Q_E_NS1_11comp_targetILNS1_3genE3ELNS1_11target_archE908ELNS1_3gpuE7ELNS1_3repE0EEENS1_30default_config_static_selectorELNS0_4arch9wavefront6targetE0EEEvS13_.uses_vcc, 0
	.set _ZN7rocprim17ROCPRIM_400000_NS6detail17trampoline_kernelINS0_13select_configILj256ELj13ELNS0_17block_load_methodE3ELS4_3ELS4_3ELNS0_20block_scan_algorithmE0ELj4294967295EEENS1_25partition_config_selectorILNS1_17partition_subalgoE4EjNS0_10empty_typeEbEEZZNS1_14partition_implILS8_4ELb0ES6_15HIP_vector_typeIjLj2EENS0_17counting_iteratorIjlEEPS9_SG_NS0_5tupleIJPjSI_NS0_16reverse_iteratorISI_EEEEENSH_IJSG_SG_SG_EEES9_SI_JZNS1_25segmented_radix_sort_implINS0_14default_configELb0EPK6__halfPSP_PKlPlN2at6native12_GLOBAL__N_18offset_tEEE10hipError_tPvRmT1_PNSt15iterator_traitsIS13_E10value_typeET2_T3_PNS14_IS19_E10value_typeET4_jRbjT5_S1F_jjP12ihipStream_tbEUljE_ZNSN_ISO_Lb0ESR_SS_SU_SV_SZ_EES10_S11_S12_S13_S17_S18_S19_S1C_S1D_jS1E_jS1F_S1F_jjS1H_bEUljE0_EEES10_S11_S12_S19_S1D_S1F_T6_T7_T9_mT8_S1H_bDpT10_ENKUlT_T0_E_clISt17integral_constantIbLb0EES1U_IbLb1EEEEDaS1Q_S1R_EUlS1Q_E_NS1_11comp_targetILNS1_3genE3ELNS1_11target_archE908ELNS1_3gpuE7ELNS1_3repE0EEENS1_30default_config_static_selectorELNS0_4arch9wavefront6targetE0EEEvS13_.uses_flat_scratch, 0
	.set _ZN7rocprim17ROCPRIM_400000_NS6detail17trampoline_kernelINS0_13select_configILj256ELj13ELNS0_17block_load_methodE3ELS4_3ELS4_3ELNS0_20block_scan_algorithmE0ELj4294967295EEENS1_25partition_config_selectorILNS1_17partition_subalgoE4EjNS0_10empty_typeEbEEZZNS1_14partition_implILS8_4ELb0ES6_15HIP_vector_typeIjLj2EENS0_17counting_iteratorIjlEEPS9_SG_NS0_5tupleIJPjSI_NS0_16reverse_iteratorISI_EEEEENSH_IJSG_SG_SG_EEES9_SI_JZNS1_25segmented_radix_sort_implINS0_14default_configELb0EPK6__halfPSP_PKlPlN2at6native12_GLOBAL__N_18offset_tEEE10hipError_tPvRmT1_PNSt15iterator_traitsIS13_E10value_typeET2_T3_PNS14_IS19_E10value_typeET4_jRbjT5_S1F_jjP12ihipStream_tbEUljE_ZNSN_ISO_Lb0ESR_SS_SU_SV_SZ_EES10_S11_S12_S13_S17_S18_S19_S1C_S1D_jS1E_jS1F_S1F_jjS1H_bEUljE0_EEES10_S11_S12_S19_S1D_S1F_T6_T7_T9_mT8_S1H_bDpT10_ENKUlT_T0_E_clISt17integral_constantIbLb0EES1U_IbLb1EEEEDaS1Q_S1R_EUlS1Q_E_NS1_11comp_targetILNS1_3genE3ELNS1_11target_archE908ELNS1_3gpuE7ELNS1_3repE0EEENS1_30default_config_static_selectorELNS0_4arch9wavefront6targetE0EEEvS13_.has_dyn_sized_stack, 0
	.set _ZN7rocprim17ROCPRIM_400000_NS6detail17trampoline_kernelINS0_13select_configILj256ELj13ELNS0_17block_load_methodE3ELS4_3ELS4_3ELNS0_20block_scan_algorithmE0ELj4294967295EEENS1_25partition_config_selectorILNS1_17partition_subalgoE4EjNS0_10empty_typeEbEEZZNS1_14partition_implILS8_4ELb0ES6_15HIP_vector_typeIjLj2EENS0_17counting_iteratorIjlEEPS9_SG_NS0_5tupleIJPjSI_NS0_16reverse_iteratorISI_EEEEENSH_IJSG_SG_SG_EEES9_SI_JZNS1_25segmented_radix_sort_implINS0_14default_configELb0EPK6__halfPSP_PKlPlN2at6native12_GLOBAL__N_18offset_tEEE10hipError_tPvRmT1_PNSt15iterator_traitsIS13_E10value_typeET2_T3_PNS14_IS19_E10value_typeET4_jRbjT5_S1F_jjP12ihipStream_tbEUljE_ZNSN_ISO_Lb0ESR_SS_SU_SV_SZ_EES10_S11_S12_S13_S17_S18_S19_S1C_S1D_jS1E_jS1F_S1F_jjS1H_bEUljE0_EEES10_S11_S12_S19_S1D_S1F_T6_T7_T9_mT8_S1H_bDpT10_ENKUlT_T0_E_clISt17integral_constantIbLb0EES1U_IbLb1EEEEDaS1Q_S1R_EUlS1Q_E_NS1_11comp_targetILNS1_3genE3ELNS1_11target_archE908ELNS1_3gpuE7ELNS1_3repE0EEENS1_30default_config_static_selectorELNS0_4arch9wavefront6targetE0EEEvS13_.has_recursion, 0
	.set _ZN7rocprim17ROCPRIM_400000_NS6detail17trampoline_kernelINS0_13select_configILj256ELj13ELNS0_17block_load_methodE3ELS4_3ELS4_3ELNS0_20block_scan_algorithmE0ELj4294967295EEENS1_25partition_config_selectorILNS1_17partition_subalgoE4EjNS0_10empty_typeEbEEZZNS1_14partition_implILS8_4ELb0ES6_15HIP_vector_typeIjLj2EENS0_17counting_iteratorIjlEEPS9_SG_NS0_5tupleIJPjSI_NS0_16reverse_iteratorISI_EEEEENSH_IJSG_SG_SG_EEES9_SI_JZNS1_25segmented_radix_sort_implINS0_14default_configELb0EPK6__halfPSP_PKlPlN2at6native12_GLOBAL__N_18offset_tEEE10hipError_tPvRmT1_PNSt15iterator_traitsIS13_E10value_typeET2_T3_PNS14_IS19_E10value_typeET4_jRbjT5_S1F_jjP12ihipStream_tbEUljE_ZNSN_ISO_Lb0ESR_SS_SU_SV_SZ_EES10_S11_S12_S13_S17_S18_S19_S1C_S1D_jS1E_jS1F_S1F_jjS1H_bEUljE0_EEES10_S11_S12_S19_S1D_S1F_T6_T7_T9_mT8_S1H_bDpT10_ENKUlT_T0_E_clISt17integral_constantIbLb0EES1U_IbLb1EEEEDaS1Q_S1R_EUlS1Q_E_NS1_11comp_targetILNS1_3genE3ELNS1_11target_archE908ELNS1_3gpuE7ELNS1_3repE0EEENS1_30default_config_static_selectorELNS0_4arch9wavefront6targetE0EEEvS13_.has_indirect_call, 0
	.section	.AMDGPU.csdata,"",@progbits
; Kernel info:
; codeLenInByte = 0
; TotalNumSgprs: 0
; NumVgprs: 0
; ScratchSize: 0
; MemoryBound: 0
; FloatMode: 240
; IeeeMode: 1
; LDSByteSize: 0 bytes/workgroup (compile time only)
; SGPRBlocks: 0
; VGPRBlocks: 0
; NumSGPRsForWavesPerEU: 1
; NumVGPRsForWavesPerEU: 1
; NamedBarCnt: 0
; Occupancy: 16
; WaveLimiterHint : 0
; COMPUTE_PGM_RSRC2:SCRATCH_EN: 0
; COMPUTE_PGM_RSRC2:USER_SGPR: 2
; COMPUTE_PGM_RSRC2:TRAP_HANDLER: 0
; COMPUTE_PGM_RSRC2:TGID_X_EN: 1
; COMPUTE_PGM_RSRC2:TGID_Y_EN: 0
; COMPUTE_PGM_RSRC2:TGID_Z_EN: 0
; COMPUTE_PGM_RSRC2:TIDIG_COMP_CNT: 0
	.section	.text._ZN7rocprim17ROCPRIM_400000_NS6detail17trampoline_kernelINS0_13select_configILj256ELj13ELNS0_17block_load_methodE3ELS4_3ELS4_3ELNS0_20block_scan_algorithmE0ELj4294967295EEENS1_25partition_config_selectorILNS1_17partition_subalgoE4EjNS0_10empty_typeEbEEZZNS1_14partition_implILS8_4ELb0ES6_15HIP_vector_typeIjLj2EENS0_17counting_iteratorIjlEEPS9_SG_NS0_5tupleIJPjSI_NS0_16reverse_iteratorISI_EEEEENSH_IJSG_SG_SG_EEES9_SI_JZNS1_25segmented_radix_sort_implINS0_14default_configELb0EPK6__halfPSP_PKlPlN2at6native12_GLOBAL__N_18offset_tEEE10hipError_tPvRmT1_PNSt15iterator_traitsIS13_E10value_typeET2_T3_PNS14_IS19_E10value_typeET4_jRbjT5_S1F_jjP12ihipStream_tbEUljE_ZNSN_ISO_Lb0ESR_SS_SU_SV_SZ_EES10_S11_S12_S13_S17_S18_S19_S1C_S1D_jS1E_jS1F_S1F_jjS1H_bEUljE0_EEES10_S11_S12_S19_S1D_S1F_T6_T7_T9_mT8_S1H_bDpT10_ENKUlT_T0_E_clISt17integral_constantIbLb0EES1U_IbLb1EEEEDaS1Q_S1R_EUlS1Q_E_NS1_11comp_targetILNS1_3genE2ELNS1_11target_archE906ELNS1_3gpuE6ELNS1_3repE0EEENS1_30default_config_static_selectorELNS0_4arch9wavefront6targetE0EEEvS13_,"axG",@progbits,_ZN7rocprim17ROCPRIM_400000_NS6detail17trampoline_kernelINS0_13select_configILj256ELj13ELNS0_17block_load_methodE3ELS4_3ELS4_3ELNS0_20block_scan_algorithmE0ELj4294967295EEENS1_25partition_config_selectorILNS1_17partition_subalgoE4EjNS0_10empty_typeEbEEZZNS1_14partition_implILS8_4ELb0ES6_15HIP_vector_typeIjLj2EENS0_17counting_iteratorIjlEEPS9_SG_NS0_5tupleIJPjSI_NS0_16reverse_iteratorISI_EEEEENSH_IJSG_SG_SG_EEES9_SI_JZNS1_25segmented_radix_sort_implINS0_14default_configELb0EPK6__halfPSP_PKlPlN2at6native12_GLOBAL__N_18offset_tEEE10hipError_tPvRmT1_PNSt15iterator_traitsIS13_E10value_typeET2_T3_PNS14_IS19_E10value_typeET4_jRbjT5_S1F_jjP12ihipStream_tbEUljE_ZNSN_ISO_Lb0ESR_SS_SU_SV_SZ_EES10_S11_S12_S13_S17_S18_S19_S1C_S1D_jS1E_jS1F_S1F_jjS1H_bEUljE0_EEES10_S11_S12_S19_S1D_S1F_T6_T7_T9_mT8_S1H_bDpT10_ENKUlT_T0_E_clISt17integral_constantIbLb0EES1U_IbLb1EEEEDaS1Q_S1R_EUlS1Q_E_NS1_11comp_targetILNS1_3genE2ELNS1_11target_archE906ELNS1_3gpuE6ELNS1_3repE0EEENS1_30default_config_static_selectorELNS0_4arch9wavefront6targetE0EEEvS13_,comdat
	.globl	_ZN7rocprim17ROCPRIM_400000_NS6detail17trampoline_kernelINS0_13select_configILj256ELj13ELNS0_17block_load_methodE3ELS4_3ELS4_3ELNS0_20block_scan_algorithmE0ELj4294967295EEENS1_25partition_config_selectorILNS1_17partition_subalgoE4EjNS0_10empty_typeEbEEZZNS1_14partition_implILS8_4ELb0ES6_15HIP_vector_typeIjLj2EENS0_17counting_iteratorIjlEEPS9_SG_NS0_5tupleIJPjSI_NS0_16reverse_iteratorISI_EEEEENSH_IJSG_SG_SG_EEES9_SI_JZNS1_25segmented_radix_sort_implINS0_14default_configELb0EPK6__halfPSP_PKlPlN2at6native12_GLOBAL__N_18offset_tEEE10hipError_tPvRmT1_PNSt15iterator_traitsIS13_E10value_typeET2_T3_PNS14_IS19_E10value_typeET4_jRbjT5_S1F_jjP12ihipStream_tbEUljE_ZNSN_ISO_Lb0ESR_SS_SU_SV_SZ_EES10_S11_S12_S13_S17_S18_S19_S1C_S1D_jS1E_jS1F_S1F_jjS1H_bEUljE0_EEES10_S11_S12_S19_S1D_S1F_T6_T7_T9_mT8_S1H_bDpT10_ENKUlT_T0_E_clISt17integral_constantIbLb0EES1U_IbLb1EEEEDaS1Q_S1R_EUlS1Q_E_NS1_11comp_targetILNS1_3genE2ELNS1_11target_archE906ELNS1_3gpuE6ELNS1_3repE0EEENS1_30default_config_static_selectorELNS0_4arch9wavefront6targetE0EEEvS13_ ; -- Begin function _ZN7rocprim17ROCPRIM_400000_NS6detail17trampoline_kernelINS0_13select_configILj256ELj13ELNS0_17block_load_methodE3ELS4_3ELS4_3ELNS0_20block_scan_algorithmE0ELj4294967295EEENS1_25partition_config_selectorILNS1_17partition_subalgoE4EjNS0_10empty_typeEbEEZZNS1_14partition_implILS8_4ELb0ES6_15HIP_vector_typeIjLj2EENS0_17counting_iteratorIjlEEPS9_SG_NS0_5tupleIJPjSI_NS0_16reverse_iteratorISI_EEEEENSH_IJSG_SG_SG_EEES9_SI_JZNS1_25segmented_radix_sort_implINS0_14default_configELb0EPK6__halfPSP_PKlPlN2at6native12_GLOBAL__N_18offset_tEEE10hipError_tPvRmT1_PNSt15iterator_traitsIS13_E10value_typeET2_T3_PNS14_IS19_E10value_typeET4_jRbjT5_S1F_jjP12ihipStream_tbEUljE_ZNSN_ISO_Lb0ESR_SS_SU_SV_SZ_EES10_S11_S12_S13_S17_S18_S19_S1C_S1D_jS1E_jS1F_S1F_jjS1H_bEUljE0_EEES10_S11_S12_S19_S1D_S1F_T6_T7_T9_mT8_S1H_bDpT10_ENKUlT_T0_E_clISt17integral_constantIbLb0EES1U_IbLb1EEEEDaS1Q_S1R_EUlS1Q_E_NS1_11comp_targetILNS1_3genE2ELNS1_11target_archE906ELNS1_3gpuE6ELNS1_3repE0EEENS1_30default_config_static_selectorELNS0_4arch9wavefront6targetE0EEEvS13_
	.p2align	8
	.type	_ZN7rocprim17ROCPRIM_400000_NS6detail17trampoline_kernelINS0_13select_configILj256ELj13ELNS0_17block_load_methodE3ELS4_3ELS4_3ELNS0_20block_scan_algorithmE0ELj4294967295EEENS1_25partition_config_selectorILNS1_17partition_subalgoE4EjNS0_10empty_typeEbEEZZNS1_14partition_implILS8_4ELb0ES6_15HIP_vector_typeIjLj2EENS0_17counting_iteratorIjlEEPS9_SG_NS0_5tupleIJPjSI_NS0_16reverse_iteratorISI_EEEEENSH_IJSG_SG_SG_EEES9_SI_JZNS1_25segmented_radix_sort_implINS0_14default_configELb0EPK6__halfPSP_PKlPlN2at6native12_GLOBAL__N_18offset_tEEE10hipError_tPvRmT1_PNSt15iterator_traitsIS13_E10value_typeET2_T3_PNS14_IS19_E10value_typeET4_jRbjT5_S1F_jjP12ihipStream_tbEUljE_ZNSN_ISO_Lb0ESR_SS_SU_SV_SZ_EES10_S11_S12_S13_S17_S18_S19_S1C_S1D_jS1E_jS1F_S1F_jjS1H_bEUljE0_EEES10_S11_S12_S19_S1D_S1F_T6_T7_T9_mT8_S1H_bDpT10_ENKUlT_T0_E_clISt17integral_constantIbLb0EES1U_IbLb1EEEEDaS1Q_S1R_EUlS1Q_E_NS1_11comp_targetILNS1_3genE2ELNS1_11target_archE906ELNS1_3gpuE6ELNS1_3repE0EEENS1_30default_config_static_selectorELNS0_4arch9wavefront6targetE0EEEvS13_,@function
_ZN7rocprim17ROCPRIM_400000_NS6detail17trampoline_kernelINS0_13select_configILj256ELj13ELNS0_17block_load_methodE3ELS4_3ELS4_3ELNS0_20block_scan_algorithmE0ELj4294967295EEENS1_25partition_config_selectorILNS1_17partition_subalgoE4EjNS0_10empty_typeEbEEZZNS1_14partition_implILS8_4ELb0ES6_15HIP_vector_typeIjLj2EENS0_17counting_iteratorIjlEEPS9_SG_NS0_5tupleIJPjSI_NS0_16reverse_iteratorISI_EEEEENSH_IJSG_SG_SG_EEES9_SI_JZNS1_25segmented_radix_sort_implINS0_14default_configELb0EPK6__halfPSP_PKlPlN2at6native12_GLOBAL__N_18offset_tEEE10hipError_tPvRmT1_PNSt15iterator_traitsIS13_E10value_typeET2_T3_PNS14_IS19_E10value_typeET4_jRbjT5_S1F_jjP12ihipStream_tbEUljE_ZNSN_ISO_Lb0ESR_SS_SU_SV_SZ_EES10_S11_S12_S13_S17_S18_S19_S1C_S1D_jS1E_jS1F_S1F_jjS1H_bEUljE0_EEES10_S11_S12_S19_S1D_S1F_T6_T7_T9_mT8_S1H_bDpT10_ENKUlT_T0_E_clISt17integral_constantIbLb0EES1U_IbLb1EEEEDaS1Q_S1R_EUlS1Q_E_NS1_11comp_targetILNS1_3genE2ELNS1_11target_archE906ELNS1_3gpuE6ELNS1_3repE0EEENS1_30default_config_static_selectorELNS0_4arch9wavefront6targetE0EEEvS13_: ; @_ZN7rocprim17ROCPRIM_400000_NS6detail17trampoline_kernelINS0_13select_configILj256ELj13ELNS0_17block_load_methodE3ELS4_3ELS4_3ELNS0_20block_scan_algorithmE0ELj4294967295EEENS1_25partition_config_selectorILNS1_17partition_subalgoE4EjNS0_10empty_typeEbEEZZNS1_14partition_implILS8_4ELb0ES6_15HIP_vector_typeIjLj2EENS0_17counting_iteratorIjlEEPS9_SG_NS0_5tupleIJPjSI_NS0_16reverse_iteratorISI_EEEEENSH_IJSG_SG_SG_EEES9_SI_JZNS1_25segmented_radix_sort_implINS0_14default_configELb0EPK6__halfPSP_PKlPlN2at6native12_GLOBAL__N_18offset_tEEE10hipError_tPvRmT1_PNSt15iterator_traitsIS13_E10value_typeET2_T3_PNS14_IS19_E10value_typeET4_jRbjT5_S1F_jjP12ihipStream_tbEUljE_ZNSN_ISO_Lb0ESR_SS_SU_SV_SZ_EES10_S11_S12_S13_S17_S18_S19_S1C_S1D_jS1E_jS1F_S1F_jjS1H_bEUljE0_EEES10_S11_S12_S19_S1D_S1F_T6_T7_T9_mT8_S1H_bDpT10_ENKUlT_T0_E_clISt17integral_constantIbLb0EES1U_IbLb1EEEEDaS1Q_S1R_EUlS1Q_E_NS1_11comp_targetILNS1_3genE2ELNS1_11target_archE906ELNS1_3gpuE6ELNS1_3repE0EEENS1_30default_config_static_selectorELNS0_4arch9wavefront6targetE0EEEvS13_
; %bb.0:
	.section	.rodata,"a",@progbits
	.p2align	6, 0x0
	.amdhsa_kernel _ZN7rocprim17ROCPRIM_400000_NS6detail17trampoline_kernelINS0_13select_configILj256ELj13ELNS0_17block_load_methodE3ELS4_3ELS4_3ELNS0_20block_scan_algorithmE0ELj4294967295EEENS1_25partition_config_selectorILNS1_17partition_subalgoE4EjNS0_10empty_typeEbEEZZNS1_14partition_implILS8_4ELb0ES6_15HIP_vector_typeIjLj2EENS0_17counting_iteratorIjlEEPS9_SG_NS0_5tupleIJPjSI_NS0_16reverse_iteratorISI_EEEEENSH_IJSG_SG_SG_EEES9_SI_JZNS1_25segmented_radix_sort_implINS0_14default_configELb0EPK6__halfPSP_PKlPlN2at6native12_GLOBAL__N_18offset_tEEE10hipError_tPvRmT1_PNSt15iterator_traitsIS13_E10value_typeET2_T3_PNS14_IS19_E10value_typeET4_jRbjT5_S1F_jjP12ihipStream_tbEUljE_ZNSN_ISO_Lb0ESR_SS_SU_SV_SZ_EES10_S11_S12_S13_S17_S18_S19_S1C_S1D_jS1E_jS1F_S1F_jjS1H_bEUljE0_EEES10_S11_S12_S19_S1D_S1F_T6_T7_T9_mT8_S1H_bDpT10_ENKUlT_T0_E_clISt17integral_constantIbLb0EES1U_IbLb1EEEEDaS1Q_S1R_EUlS1Q_E_NS1_11comp_targetILNS1_3genE2ELNS1_11target_archE906ELNS1_3gpuE6ELNS1_3repE0EEENS1_30default_config_static_selectorELNS0_4arch9wavefront6targetE0EEEvS13_
		.amdhsa_group_segment_fixed_size 0
		.amdhsa_private_segment_fixed_size 0
		.amdhsa_kernarg_size 184
		.amdhsa_user_sgpr_count 2
		.amdhsa_user_sgpr_dispatch_ptr 0
		.amdhsa_user_sgpr_queue_ptr 0
		.amdhsa_user_sgpr_kernarg_segment_ptr 1
		.amdhsa_user_sgpr_dispatch_id 0
		.amdhsa_user_sgpr_kernarg_preload_length 0
		.amdhsa_user_sgpr_kernarg_preload_offset 0
		.amdhsa_user_sgpr_private_segment_size 0
		.amdhsa_wavefront_size32 1
		.amdhsa_uses_dynamic_stack 0
		.amdhsa_enable_private_segment 0
		.amdhsa_system_sgpr_workgroup_id_x 1
		.amdhsa_system_sgpr_workgroup_id_y 0
		.amdhsa_system_sgpr_workgroup_id_z 0
		.amdhsa_system_sgpr_workgroup_info 0
		.amdhsa_system_vgpr_workitem_id 0
		.amdhsa_next_free_vgpr 1
		.amdhsa_next_free_sgpr 1
		.amdhsa_named_barrier_count 0
		.amdhsa_reserve_vcc 0
		.amdhsa_float_round_mode_32 0
		.amdhsa_float_round_mode_16_64 0
		.amdhsa_float_denorm_mode_32 3
		.amdhsa_float_denorm_mode_16_64 3
		.amdhsa_fp16_overflow 0
		.amdhsa_memory_ordered 1
		.amdhsa_forward_progress 1
		.amdhsa_inst_pref_size 0
		.amdhsa_round_robin_scheduling 0
		.amdhsa_exception_fp_ieee_invalid_op 0
		.amdhsa_exception_fp_denorm_src 0
		.amdhsa_exception_fp_ieee_div_zero 0
		.amdhsa_exception_fp_ieee_overflow 0
		.amdhsa_exception_fp_ieee_underflow 0
		.amdhsa_exception_fp_ieee_inexact 0
		.amdhsa_exception_int_div_zero 0
	.end_amdhsa_kernel
	.section	.text._ZN7rocprim17ROCPRIM_400000_NS6detail17trampoline_kernelINS0_13select_configILj256ELj13ELNS0_17block_load_methodE3ELS4_3ELS4_3ELNS0_20block_scan_algorithmE0ELj4294967295EEENS1_25partition_config_selectorILNS1_17partition_subalgoE4EjNS0_10empty_typeEbEEZZNS1_14partition_implILS8_4ELb0ES6_15HIP_vector_typeIjLj2EENS0_17counting_iteratorIjlEEPS9_SG_NS0_5tupleIJPjSI_NS0_16reverse_iteratorISI_EEEEENSH_IJSG_SG_SG_EEES9_SI_JZNS1_25segmented_radix_sort_implINS0_14default_configELb0EPK6__halfPSP_PKlPlN2at6native12_GLOBAL__N_18offset_tEEE10hipError_tPvRmT1_PNSt15iterator_traitsIS13_E10value_typeET2_T3_PNS14_IS19_E10value_typeET4_jRbjT5_S1F_jjP12ihipStream_tbEUljE_ZNSN_ISO_Lb0ESR_SS_SU_SV_SZ_EES10_S11_S12_S13_S17_S18_S19_S1C_S1D_jS1E_jS1F_S1F_jjS1H_bEUljE0_EEES10_S11_S12_S19_S1D_S1F_T6_T7_T9_mT8_S1H_bDpT10_ENKUlT_T0_E_clISt17integral_constantIbLb0EES1U_IbLb1EEEEDaS1Q_S1R_EUlS1Q_E_NS1_11comp_targetILNS1_3genE2ELNS1_11target_archE906ELNS1_3gpuE6ELNS1_3repE0EEENS1_30default_config_static_selectorELNS0_4arch9wavefront6targetE0EEEvS13_,"axG",@progbits,_ZN7rocprim17ROCPRIM_400000_NS6detail17trampoline_kernelINS0_13select_configILj256ELj13ELNS0_17block_load_methodE3ELS4_3ELS4_3ELNS0_20block_scan_algorithmE0ELj4294967295EEENS1_25partition_config_selectorILNS1_17partition_subalgoE4EjNS0_10empty_typeEbEEZZNS1_14partition_implILS8_4ELb0ES6_15HIP_vector_typeIjLj2EENS0_17counting_iteratorIjlEEPS9_SG_NS0_5tupleIJPjSI_NS0_16reverse_iteratorISI_EEEEENSH_IJSG_SG_SG_EEES9_SI_JZNS1_25segmented_radix_sort_implINS0_14default_configELb0EPK6__halfPSP_PKlPlN2at6native12_GLOBAL__N_18offset_tEEE10hipError_tPvRmT1_PNSt15iterator_traitsIS13_E10value_typeET2_T3_PNS14_IS19_E10value_typeET4_jRbjT5_S1F_jjP12ihipStream_tbEUljE_ZNSN_ISO_Lb0ESR_SS_SU_SV_SZ_EES10_S11_S12_S13_S17_S18_S19_S1C_S1D_jS1E_jS1F_S1F_jjS1H_bEUljE0_EEES10_S11_S12_S19_S1D_S1F_T6_T7_T9_mT8_S1H_bDpT10_ENKUlT_T0_E_clISt17integral_constantIbLb0EES1U_IbLb1EEEEDaS1Q_S1R_EUlS1Q_E_NS1_11comp_targetILNS1_3genE2ELNS1_11target_archE906ELNS1_3gpuE6ELNS1_3repE0EEENS1_30default_config_static_selectorELNS0_4arch9wavefront6targetE0EEEvS13_,comdat
.Lfunc_end1796:
	.size	_ZN7rocprim17ROCPRIM_400000_NS6detail17trampoline_kernelINS0_13select_configILj256ELj13ELNS0_17block_load_methodE3ELS4_3ELS4_3ELNS0_20block_scan_algorithmE0ELj4294967295EEENS1_25partition_config_selectorILNS1_17partition_subalgoE4EjNS0_10empty_typeEbEEZZNS1_14partition_implILS8_4ELb0ES6_15HIP_vector_typeIjLj2EENS0_17counting_iteratorIjlEEPS9_SG_NS0_5tupleIJPjSI_NS0_16reverse_iteratorISI_EEEEENSH_IJSG_SG_SG_EEES9_SI_JZNS1_25segmented_radix_sort_implINS0_14default_configELb0EPK6__halfPSP_PKlPlN2at6native12_GLOBAL__N_18offset_tEEE10hipError_tPvRmT1_PNSt15iterator_traitsIS13_E10value_typeET2_T3_PNS14_IS19_E10value_typeET4_jRbjT5_S1F_jjP12ihipStream_tbEUljE_ZNSN_ISO_Lb0ESR_SS_SU_SV_SZ_EES10_S11_S12_S13_S17_S18_S19_S1C_S1D_jS1E_jS1F_S1F_jjS1H_bEUljE0_EEES10_S11_S12_S19_S1D_S1F_T6_T7_T9_mT8_S1H_bDpT10_ENKUlT_T0_E_clISt17integral_constantIbLb0EES1U_IbLb1EEEEDaS1Q_S1R_EUlS1Q_E_NS1_11comp_targetILNS1_3genE2ELNS1_11target_archE906ELNS1_3gpuE6ELNS1_3repE0EEENS1_30default_config_static_selectorELNS0_4arch9wavefront6targetE0EEEvS13_, .Lfunc_end1796-_ZN7rocprim17ROCPRIM_400000_NS6detail17trampoline_kernelINS0_13select_configILj256ELj13ELNS0_17block_load_methodE3ELS4_3ELS4_3ELNS0_20block_scan_algorithmE0ELj4294967295EEENS1_25partition_config_selectorILNS1_17partition_subalgoE4EjNS0_10empty_typeEbEEZZNS1_14partition_implILS8_4ELb0ES6_15HIP_vector_typeIjLj2EENS0_17counting_iteratorIjlEEPS9_SG_NS0_5tupleIJPjSI_NS0_16reverse_iteratorISI_EEEEENSH_IJSG_SG_SG_EEES9_SI_JZNS1_25segmented_radix_sort_implINS0_14default_configELb0EPK6__halfPSP_PKlPlN2at6native12_GLOBAL__N_18offset_tEEE10hipError_tPvRmT1_PNSt15iterator_traitsIS13_E10value_typeET2_T3_PNS14_IS19_E10value_typeET4_jRbjT5_S1F_jjP12ihipStream_tbEUljE_ZNSN_ISO_Lb0ESR_SS_SU_SV_SZ_EES10_S11_S12_S13_S17_S18_S19_S1C_S1D_jS1E_jS1F_S1F_jjS1H_bEUljE0_EEES10_S11_S12_S19_S1D_S1F_T6_T7_T9_mT8_S1H_bDpT10_ENKUlT_T0_E_clISt17integral_constantIbLb0EES1U_IbLb1EEEEDaS1Q_S1R_EUlS1Q_E_NS1_11comp_targetILNS1_3genE2ELNS1_11target_archE906ELNS1_3gpuE6ELNS1_3repE0EEENS1_30default_config_static_selectorELNS0_4arch9wavefront6targetE0EEEvS13_
                                        ; -- End function
	.set _ZN7rocprim17ROCPRIM_400000_NS6detail17trampoline_kernelINS0_13select_configILj256ELj13ELNS0_17block_load_methodE3ELS4_3ELS4_3ELNS0_20block_scan_algorithmE0ELj4294967295EEENS1_25partition_config_selectorILNS1_17partition_subalgoE4EjNS0_10empty_typeEbEEZZNS1_14partition_implILS8_4ELb0ES6_15HIP_vector_typeIjLj2EENS0_17counting_iteratorIjlEEPS9_SG_NS0_5tupleIJPjSI_NS0_16reverse_iteratorISI_EEEEENSH_IJSG_SG_SG_EEES9_SI_JZNS1_25segmented_radix_sort_implINS0_14default_configELb0EPK6__halfPSP_PKlPlN2at6native12_GLOBAL__N_18offset_tEEE10hipError_tPvRmT1_PNSt15iterator_traitsIS13_E10value_typeET2_T3_PNS14_IS19_E10value_typeET4_jRbjT5_S1F_jjP12ihipStream_tbEUljE_ZNSN_ISO_Lb0ESR_SS_SU_SV_SZ_EES10_S11_S12_S13_S17_S18_S19_S1C_S1D_jS1E_jS1F_S1F_jjS1H_bEUljE0_EEES10_S11_S12_S19_S1D_S1F_T6_T7_T9_mT8_S1H_bDpT10_ENKUlT_T0_E_clISt17integral_constantIbLb0EES1U_IbLb1EEEEDaS1Q_S1R_EUlS1Q_E_NS1_11comp_targetILNS1_3genE2ELNS1_11target_archE906ELNS1_3gpuE6ELNS1_3repE0EEENS1_30default_config_static_selectorELNS0_4arch9wavefront6targetE0EEEvS13_.num_vgpr, 0
	.set _ZN7rocprim17ROCPRIM_400000_NS6detail17trampoline_kernelINS0_13select_configILj256ELj13ELNS0_17block_load_methodE3ELS4_3ELS4_3ELNS0_20block_scan_algorithmE0ELj4294967295EEENS1_25partition_config_selectorILNS1_17partition_subalgoE4EjNS0_10empty_typeEbEEZZNS1_14partition_implILS8_4ELb0ES6_15HIP_vector_typeIjLj2EENS0_17counting_iteratorIjlEEPS9_SG_NS0_5tupleIJPjSI_NS0_16reverse_iteratorISI_EEEEENSH_IJSG_SG_SG_EEES9_SI_JZNS1_25segmented_radix_sort_implINS0_14default_configELb0EPK6__halfPSP_PKlPlN2at6native12_GLOBAL__N_18offset_tEEE10hipError_tPvRmT1_PNSt15iterator_traitsIS13_E10value_typeET2_T3_PNS14_IS19_E10value_typeET4_jRbjT5_S1F_jjP12ihipStream_tbEUljE_ZNSN_ISO_Lb0ESR_SS_SU_SV_SZ_EES10_S11_S12_S13_S17_S18_S19_S1C_S1D_jS1E_jS1F_S1F_jjS1H_bEUljE0_EEES10_S11_S12_S19_S1D_S1F_T6_T7_T9_mT8_S1H_bDpT10_ENKUlT_T0_E_clISt17integral_constantIbLb0EES1U_IbLb1EEEEDaS1Q_S1R_EUlS1Q_E_NS1_11comp_targetILNS1_3genE2ELNS1_11target_archE906ELNS1_3gpuE6ELNS1_3repE0EEENS1_30default_config_static_selectorELNS0_4arch9wavefront6targetE0EEEvS13_.num_agpr, 0
	.set _ZN7rocprim17ROCPRIM_400000_NS6detail17trampoline_kernelINS0_13select_configILj256ELj13ELNS0_17block_load_methodE3ELS4_3ELS4_3ELNS0_20block_scan_algorithmE0ELj4294967295EEENS1_25partition_config_selectorILNS1_17partition_subalgoE4EjNS0_10empty_typeEbEEZZNS1_14partition_implILS8_4ELb0ES6_15HIP_vector_typeIjLj2EENS0_17counting_iteratorIjlEEPS9_SG_NS0_5tupleIJPjSI_NS0_16reverse_iteratorISI_EEEEENSH_IJSG_SG_SG_EEES9_SI_JZNS1_25segmented_radix_sort_implINS0_14default_configELb0EPK6__halfPSP_PKlPlN2at6native12_GLOBAL__N_18offset_tEEE10hipError_tPvRmT1_PNSt15iterator_traitsIS13_E10value_typeET2_T3_PNS14_IS19_E10value_typeET4_jRbjT5_S1F_jjP12ihipStream_tbEUljE_ZNSN_ISO_Lb0ESR_SS_SU_SV_SZ_EES10_S11_S12_S13_S17_S18_S19_S1C_S1D_jS1E_jS1F_S1F_jjS1H_bEUljE0_EEES10_S11_S12_S19_S1D_S1F_T6_T7_T9_mT8_S1H_bDpT10_ENKUlT_T0_E_clISt17integral_constantIbLb0EES1U_IbLb1EEEEDaS1Q_S1R_EUlS1Q_E_NS1_11comp_targetILNS1_3genE2ELNS1_11target_archE906ELNS1_3gpuE6ELNS1_3repE0EEENS1_30default_config_static_selectorELNS0_4arch9wavefront6targetE0EEEvS13_.numbered_sgpr, 0
	.set _ZN7rocprim17ROCPRIM_400000_NS6detail17trampoline_kernelINS0_13select_configILj256ELj13ELNS0_17block_load_methodE3ELS4_3ELS4_3ELNS0_20block_scan_algorithmE0ELj4294967295EEENS1_25partition_config_selectorILNS1_17partition_subalgoE4EjNS0_10empty_typeEbEEZZNS1_14partition_implILS8_4ELb0ES6_15HIP_vector_typeIjLj2EENS0_17counting_iteratorIjlEEPS9_SG_NS0_5tupleIJPjSI_NS0_16reverse_iteratorISI_EEEEENSH_IJSG_SG_SG_EEES9_SI_JZNS1_25segmented_radix_sort_implINS0_14default_configELb0EPK6__halfPSP_PKlPlN2at6native12_GLOBAL__N_18offset_tEEE10hipError_tPvRmT1_PNSt15iterator_traitsIS13_E10value_typeET2_T3_PNS14_IS19_E10value_typeET4_jRbjT5_S1F_jjP12ihipStream_tbEUljE_ZNSN_ISO_Lb0ESR_SS_SU_SV_SZ_EES10_S11_S12_S13_S17_S18_S19_S1C_S1D_jS1E_jS1F_S1F_jjS1H_bEUljE0_EEES10_S11_S12_S19_S1D_S1F_T6_T7_T9_mT8_S1H_bDpT10_ENKUlT_T0_E_clISt17integral_constantIbLb0EES1U_IbLb1EEEEDaS1Q_S1R_EUlS1Q_E_NS1_11comp_targetILNS1_3genE2ELNS1_11target_archE906ELNS1_3gpuE6ELNS1_3repE0EEENS1_30default_config_static_selectorELNS0_4arch9wavefront6targetE0EEEvS13_.num_named_barrier, 0
	.set _ZN7rocprim17ROCPRIM_400000_NS6detail17trampoline_kernelINS0_13select_configILj256ELj13ELNS0_17block_load_methodE3ELS4_3ELS4_3ELNS0_20block_scan_algorithmE0ELj4294967295EEENS1_25partition_config_selectorILNS1_17partition_subalgoE4EjNS0_10empty_typeEbEEZZNS1_14partition_implILS8_4ELb0ES6_15HIP_vector_typeIjLj2EENS0_17counting_iteratorIjlEEPS9_SG_NS0_5tupleIJPjSI_NS0_16reverse_iteratorISI_EEEEENSH_IJSG_SG_SG_EEES9_SI_JZNS1_25segmented_radix_sort_implINS0_14default_configELb0EPK6__halfPSP_PKlPlN2at6native12_GLOBAL__N_18offset_tEEE10hipError_tPvRmT1_PNSt15iterator_traitsIS13_E10value_typeET2_T3_PNS14_IS19_E10value_typeET4_jRbjT5_S1F_jjP12ihipStream_tbEUljE_ZNSN_ISO_Lb0ESR_SS_SU_SV_SZ_EES10_S11_S12_S13_S17_S18_S19_S1C_S1D_jS1E_jS1F_S1F_jjS1H_bEUljE0_EEES10_S11_S12_S19_S1D_S1F_T6_T7_T9_mT8_S1H_bDpT10_ENKUlT_T0_E_clISt17integral_constantIbLb0EES1U_IbLb1EEEEDaS1Q_S1R_EUlS1Q_E_NS1_11comp_targetILNS1_3genE2ELNS1_11target_archE906ELNS1_3gpuE6ELNS1_3repE0EEENS1_30default_config_static_selectorELNS0_4arch9wavefront6targetE0EEEvS13_.private_seg_size, 0
	.set _ZN7rocprim17ROCPRIM_400000_NS6detail17trampoline_kernelINS0_13select_configILj256ELj13ELNS0_17block_load_methodE3ELS4_3ELS4_3ELNS0_20block_scan_algorithmE0ELj4294967295EEENS1_25partition_config_selectorILNS1_17partition_subalgoE4EjNS0_10empty_typeEbEEZZNS1_14partition_implILS8_4ELb0ES6_15HIP_vector_typeIjLj2EENS0_17counting_iteratorIjlEEPS9_SG_NS0_5tupleIJPjSI_NS0_16reverse_iteratorISI_EEEEENSH_IJSG_SG_SG_EEES9_SI_JZNS1_25segmented_radix_sort_implINS0_14default_configELb0EPK6__halfPSP_PKlPlN2at6native12_GLOBAL__N_18offset_tEEE10hipError_tPvRmT1_PNSt15iterator_traitsIS13_E10value_typeET2_T3_PNS14_IS19_E10value_typeET4_jRbjT5_S1F_jjP12ihipStream_tbEUljE_ZNSN_ISO_Lb0ESR_SS_SU_SV_SZ_EES10_S11_S12_S13_S17_S18_S19_S1C_S1D_jS1E_jS1F_S1F_jjS1H_bEUljE0_EEES10_S11_S12_S19_S1D_S1F_T6_T7_T9_mT8_S1H_bDpT10_ENKUlT_T0_E_clISt17integral_constantIbLb0EES1U_IbLb1EEEEDaS1Q_S1R_EUlS1Q_E_NS1_11comp_targetILNS1_3genE2ELNS1_11target_archE906ELNS1_3gpuE6ELNS1_3repE0EEENS1_30default_config_static_selectorELNS0_4arch9wavefront6targetE0EEEvS13_.uses_vcc, 0
	.set _ZN7rocprim17ROCPRIM_400000_NS6detail17trampoline_kernelINS0_13select_configILj256ELj13ELNS0_17block_load_methodE3ELS4_3ELS4_3ELNS0_20block_scan_algorithmE0ELj4294967295EEENS1_25partition_config_selectorILNS1_17partition_subalgoE4EjNS0_10empty_typeEbEEZZNS1_14partition_implILS8_4ELb0ES6_15HIP_vector_typeIjLj2EENS0_17counting_iteratorIjlEEPS9_SG_NS0_5tupleIJPjSI_NS0_16reverse_iteratorISI_EEEEENSH_IJSG_SG_SG_EEES9_SI_JZNS1_25segmented_radix_sort_implINS0_14default_configELb0EPK6__halfPSP_PKlPlN2at6native12_GLOBAL__N_18offset_tEEE10hipError_tPvRmT1_PNSt15iterator_traitsIS13_E10value_typeET2_T3_PNS14_IS19_E10value_typeET4_jRbjT5_S1F_jjP12ihipStream_tbEUljE_ZNSN_ISO_Lb0ESR_SS_SU_SV_SZ_EES10_S11_S12_S13_S17_S18_S19_S1C_S1D_jS1E_jS1F_S1F_jjS1H_bEUljE0_EEES10_S11_S12_S19_S1D_S1F_T6_T7_T9_mT8_S1H_bDpT10_ENKUlT_T0_E_clISt17integral_constantIbLb0EES1U_IbLb1EEEEDaS1Q_S1R_EUlS1Q_E_NS1_11comp_targetILNS1_3genE2ELNS1_11target_archE906ELNS1_3gpuE6ELNS1_3repE0EEENS1_30default_config_static_selectorELNS0_4arch9wavefront6targetE0EEEvS13_.uses_flat_scratch, 0
	.set _ZN7rocprim17ROCPRIM_400000_NS6detail17trampoline_kernelINS0_13select_configILj256ELj13ELNS0_17block_load_methodE3ELS4_3ELS4_3ELNS0_20block_scan_algorithmE0ELj4294967295EEENS1_25partition_config_selectorILNS1_17partition_subalgoE4EjNS0_10empty_typeEbEEZZNS1_14partition_implILS8_4ELb0ES6_15HIP_vector_typeIjLj2EENS0_17counting_iteratorIjlEEPS9_SG_NS0_5tupleIJPjSI_NS0_16reverse_iteratorISI_EEEEENSH_IJSG_SG_SG_EEES9_SI_JZNS1_25segmented_radix_sort_implINS0_14default_configELb0EPK6__halfPSP_PKlPlN2at6native12_GLOBAL__N_18offset_tEEE10hipError_tPvRmT1_PNSt15iterator_traitsIS13_E10value_typeET2_T3_PNS14_IS19_E10value_typeET4_jRbjT5_S1F_jjP12ihipStream_tbEUljE_ZNSN_ISO_Lb0ESR_SS_SU_SV_SZ_EES10_S11_S12_S13_S17_S18_S19_S1C_S1D_jS1E_jS1F_S1F_jjS1H_bEUljE0_EEES10_S11_S12_S19_S1D_S1F_T6_T7_T9_mT8_S1H_bDpT10_ENKUlT_T0_E_clISt17integral_constantIbLb0EES1U_IbLb1EEEEDaS1Q_S1R_EUlS1Q_E_NS1_11comp_targetILNS1_3genE2ELNS1_11target_archE906ELNS1_3gpuE6ELNS1_3repE0EEENS1_30default_config_static_selectorELNS0_4arch9wavefront6targetE0EEEvS13_.has_dyn_sized_stack, 0
	.set _ZN7rocprim17ROCPRIM_400000_NS6detail17trampoline_kernelINS0_13select_configILj256ELj13ELNS0_17block_load_methodE3ELS4_3ELS4_3ELNS0_20block_scan_algorithmE0ELj4294967295EEENS1_25partition_config_selectorILNS1_17partition_subalgoE4EjNS0_10empty_typeEbEEZZNS1_14partition_implILS8_4ELb0ES6_15HIP_vector_typeIjLj2EENS0_17counting_iteratorIjlEEPS9_SG_NS0_5tupleIJPjSI_NS0_16reverse_iteratorISI_EEEEENSH_IJSG_SG_SG_EEES9_SI_JZNS1_25segmented_radix_sort_implINS0_14default_configELb0EPK6__halfPSP_PKlPlN2at6native12_GLOBAL__N_18offset_tEEE10hipError_tPvRmT1_PNSt15iterator_traitsIS13_E10value_typeET2_T3_PNS14_IS19_E10value_typeET4_jRbjT5_S1F_jjP12ihipStream_tbEUljE_ZNSN_ISO_Lb0ESR_SS_SU_SV_SZ_EES10_S11_S12_S13_S17_S18_S19_S1C_S1D_jS1E_jS1F_S1F_jjS1H_bEUljE0_EEES10_S11_S12_S19_S1D_S1F_T6_T7_T9_mT8_S1H_bDpT10_ENKUlT_T0_E_clISt17integral_constantIbLb0EES1U_IbLb1EEEEDaS1Q_S1R_EUlS1Q_E_NS1_11comp_targetILNS1_3genE2ELNS1_11target_archE906ELNS1_3gpuE6ELNS1_3repE0EEENS1_30default_config_static_selectorELNS0_4arch9wavefront6targetE0EEEvS13_.has_recursion, 0
	.set _ZN7rocprim17ROCPRIM_400000_NS6detail17trampoline_kernelINS0_13select_configILj256ELj13ELNS0_17block_load_methodE3ELS4_3ELS4_3ELNS0_20block_scan_algorithmE0ELj4294967295EEENS1_25partition_config_selectorILNS1_17partition_subalgoE4EjNS0_10empty_typeEbEEZZNS1_14partition_implILS8_4ELb0ES6_15HIP_vector_typeIjLj2EENS0_17counting_iteratorIjlEEPS9_SG_NS0_5tupleIJPjSI_NS0_16reverse_iteratorISI_EEEEENSH_IJSG_SG_SG_EEES9_SI_JZNS1_25segmented_radix_sort_implINS0_14default_configELb0EPK6__halfPSP_PKlPlN2at6native12_GLOBAL__N_18offset_tEEE10hipError_tPvRmT1_PNSt15iterator_traitsIS13_E10value_typeET2_T3_PNS14_IS19_E10value_typeET4_jRbjT5_S1F_jjP12ihipStream_tbEUljE_ZNSN_ISO_Lb0ESR_SS_SU_SV_SZ_EES10_S11_S12_S13_S17_S18_S19_S1C_S1D_jS1E_jS1F_S1F_jjS1H_bEUljE0_EEES10_S11_S12_S19_S1D_S1F_T6_T7_T9_mT8_S1H_bDpT10_ENKUlT_T0_E_clISt17integral_constantIbLb0EES1U_IbLb1EEEEDaS1Q_S1R_EUlS1Q_E_NS1_11comp_targetILNS1_3genE2ELNS1_11target_archE906ELNS1_3gpuE6ELNS1_3repE0EEENS1_30default_config_static_selectorELNS0_4arch9wavefront6targetE0EEEvS13_.has_indirect_call, 0
	.section	.AMDGPU.csdata,"",@progbits
; Kernel info:
; codeLenInByte = 0
; TotalNumSgprs: 0
; NumVgprs: 0
; ScratchSize: 0
; MemoryBound: 0
; FloatMode: 240
; IeeeMode: 1
; LDSByteSize: 0 bytes/workgroup (compile time only)
; SGPRBlocks: 0
; VGPRBlocks: 0
; NumSGPRsForWavesPerEU: 1
; NumVGPRsForWavesPerEU: 1
; NamedBarCnt: 0
; Occupancy: 16
; WaveLimiterHint : 0
; COMPUTE_PGM_RSRC2:SCRATCH_EN: 0
; COMPUTE_PGM_RSRC2:USER_SGPR: 2
; COMPUTE_PGM_RSRC2:TRAP_HANDLER: 0
; COMPUTE_PGM_RSRC2:TGID_X_EN: 1
; COMPUTE_PGM_RSRC2:TGID_Y_EN: 0
; COMPUTE_PGM_RSRC2:TGID_Z_EN: 0
; COMPUTE_PGM_RSRC2:TIDIG_COMP_CNT: 0
	.section	.text._ZN7rocprim17ROCPRIM_400000_NS6detail17trampoline_kernelINS0_13select_configILj256ELj13ELNS0_17block_load_methodE3ELS4_3ELS4_3ELNS0_20block_scan_algorithmE0ELj4294967295EEENS1_25partition_config_selectorILNS1_17partition_subalgoE4EjNS0_10empty_typeEbEEZZNS1_14partition_implILS8_4ELb0ES6_15HIP_vector_typeIjLj2EENS0_17counting_iteratorIjlEEPS9_SG_NS0_5tupleIJPjSI_NS0_16reverse_iteratorISI_EEEEENSH_IJSG_SG_SG_EEES9_SI_JZNS1_25segmented_radix_sort_implINS0_14default_configELb0EPK6__halfPSP_PKlPlN2at6native12_GLOBAL__N_18offset_tEEE10hipError_tPvRmT1_PNSt15iterator_traitsIS13_E10value_typeET2_T3_PNS14_IS19_E10value_typeET4_jRbjT5_S1F_jjP12ihipStream_tbEUljE_ZNSN_ISO_Lb0ESR_SS_SU_SV_SZ_EES10_S11_S12_S13_S17_S18_S19_S1C_S1D_jS1E_jS1F_S1F_jjS1H_bEUljE0_EEES10_S11_S12_S19_S1D_S1F_T6_T7_T9_mT8_S1H_bDpT10_ENKUlT_T0_E_clISt17integral_constantIbLb0EES1U_IbLb1EEEEDaS1Q_S1R_EUlS1Q_E_NS1_11comp_targetILNS1_3genE10ELNS1_11target_archE1200ELNS1_3gpuE4ELNS1_3repE0EEENS1_30default_config_static_selectorELNS0_4arch9wavefront6targetE0EEEvS13_,"axG",@progbits,_ZN7rocprim17ROCPRIM_400000_NS6detail17trampoline_kernelINS0_13select_configILj256ELj13ELNS0_17block_load_methodE3ELS4_3ELS4_3ELNS0_20block_scan_algorithmE0ELj4294967295EEENS1_25partition_config_selectorILNS1_17partition_subalgoE4EjNS0_10empty_typeEbEEZZNS1_14partition_implILS8_4ELb0ES6_15HIP_vector_typeIjLj2EENS0_17counting_iteratorIjlEEPS9_SG_NS0_5tupleIJPjSI_NS0_16reverse_iteratorISI_EEEEENSH_IJSG_SG_SG_EEES9_SI_JZNS1_25segmented_radix_sort_implINS0_14default_configELb0EPK6__halfPSP_PKlPlN2at6native12_GLOBAL__N_18offset_tEEE10hipError_tPvRmT1_PNSt15iterator_traitsIS13_E10value_typeET2_T3_PNS14_IS19_E10value_typeET4_jRbjT5_S1F_jjP12ihipStream_tbEUljE_ZNSN_ISO_Lb0ESR_SS_SU_SV_SZ_EES10_S11_S12_S13_S17_S18_S19_S1C_S1D_jS1E_jS1F_S1F_jjS1H_bEUljE0_EEES10_S11_S12_S19_S1D_S1F_T6_T7_T9_mT8_S1H_bDpT10_ENKUlT_T0_E_clISt17integral_constantIbLb0EES1U_IbLb1EEEEDaS1Q_S1R_EUlS1Q_E_NS1_11comp_targetILNS1_3genE10ELNS1_11target_archE1200ELNS1_3gpuE4ELNS1_3repE0EEENS1_30default_config_static_selectorELNS0_4arch9wavefront6targetE0EEEvS13_,comdat
	.globl	_ZN7rocprim17ROCPRIM_400000_NS6detail17trampoline_kernelINS0_13select_configILj256ELj13ELNS0_17block_load_methodE3ELS4_3ELS4_3ELNS0_20block_scan_algorithmE0ELj4294967295EEENS1_25partition_config_selectorILNS1_17partition_subalgoE4EjNS0_10empty_typeEbEEZZNS1_14partition_implILS8_4ELb0ES6_15HIP_vector_typeIjLj2EENS0_17counting_iteratorIjlEEPS9_SG_NS0_5tupleIJPjSI_NS0_16reverse_iteratorISI_EEEEENSH_IJSG_SG_SG_EEES9_SI_JZNS1_25segmented_radix_sort_implINS0_14default_configELb0EPK6__halfPSP_PKlPlN2at6native12_GLOBAL__N_18offset_tEEE10hipError_tPvRmT1_PNSt15iterator_traitsIS13_E10value_typeET2_T3_PNS14_IS19_E10value_typeET4_jRbjT5_S1F_jjP12ihipStream_tbEUljE_ZNSN_ISO_Lb0ESR_SS_SU_SV_SZ_EES10_S11_S12_S13_S17_S18_S19_S1C_S1D_jS1E_jS1F_S1F_jjS1H_bEUljE0_EEES10_S11_S12_S19_S1D_S1F_T6_T7_T9_mT8_S1H_bDpT10_ENKUlT_T0_E_clISt17integral_constantIbLb0EES1U_IbLb1EEEEDaS1Q_S1R_EUlS1Q_E_NS1_11comp_targetILNS1_3genE10ELNS1_11target_archE1200ELNS1_3gpuE4ELNS1_3repE0EEENS1_30default_config_static_selectorELNS0_4arch9wavefront6targetE0EEEvS13_ ; -- Begin function _ZN7rocprim17ROCPRIM_400000_NS6detail17trampoline_kernelINS0_13select_configILj256ELj13ELNS0_17block_load_methodE3ELS4_3ELS4_3ELNS0_20block_scan_algorithmE0ELj4294967295EEENS1_25partition_config_selectorILNS1_17partition_subalgoE4EjNS0_10empty_typeEbEEZZNS1_14partition_implILS8_4ELb0ES6_15HIP_vector_typeIjLj2EENS0_17counting_iteratorIjlEEPS9_SG_NS0_5tupleIJPjSI_NS0_16reverse_iteratorISI_EEEEENSH_IJSG_SG_SG_EEES9_SI_JZNS1_25segmented_radix_sort_implINS0_14default_configELb0EPK6__halfPSP_PKlPlN2at6native12_GLOBAL__N_18offset_tEEE10hipError_tPvRmT1_PNSt15iterator_traitsIS13_E10value_typeET2_T3_PNS14_IS19_E10value_typeET4_jRbjT5_S1F_jjP12ihipStream_tbEUljE_ZNSN_ISO_Lb0ESR_SS_SU_SV_SZ_EES10_S11_S12_S13_S17_S18_S19_S1C_S1D_jS1E_jS1F_S1F_jjS1H_bEUljE0_EEES10_S11_S12_S19_S1D_S1F_T6_T7_T9_mT8_S1H_bDpT10_ENKUlT_T0_E_clISt17integral_constantIbLb0EES1U_IbLb1EEEEDaS1Q_S1R_EUlS1Q_E_NS1_11comp_targetILNS1_3genE10ELNS1_11target_archE1200ELNS1_3gpuE4ELNS1_3repE0EEENS1_30default_config_static_selectorELNS0_4arch9wavefront6targetE0EEEvS13_
	.p2align	8
	.type	_ZN7rocprim17ROCPRIM_400000_NS6detail17trampoline_kernelINS0_13select_configILj256ELj13ELNS0_17block_load_methodE3ELS4_3ELS4_3ELNS0_20block_scan_algorithmE0ELj4294967295EEENS1_25partition_config_selectorILNS1_17partition_subalgoE4EjNS0_10empty_typeEbEEZZNS1_14partition_implILS8_4ELb0ES6_15HIP_vector_typeIjLj2EENS0_17counting_iteratorIjlEEPS9_SG_NS0_5tupleIJPjSI_NS0_16reverse_iteratorISI_EEEEENSH_IJSG_SG_SG_EEES9_SI_JZNS1_25segmented_radix_sort_implINS0_14default_configELb0EPK6__halfPSP_PKlPlN2at6native12_GLOBAL__N_18offset_tEEE10hipError_tPvRmT1_PNSt15iterator_traitsIS13_E10value_typeET2_T3_PNS14_IS19_E10value_typeET4_jRbjT5_S1F_jjP12ihipStream_tbEUljE_ZNSN_ISO_Lb0ESR_SS_SU_SV_SZ_EES10_S11_S12_S13_S17_S18_S19_S1C_S1D_jS1E_jS1F_S1F_jjS1H_bEUljE0_EEES10_S11_S12_S19_S1D_S1F_T6_T7_T9_mT8_S1H_bDpT10_ENKUlT_T0_E_clISt17integral_constantIbLb0EES1U_IbLb1EEEEDaS1Q_S1R_EUlS1Q_E_NS1_11comp_targetILNS1_3genE10ELNS1_11target_archE1200ELNS1_3gpuE4ELNS1_3repE0EEENS1_30default_config_static_selectorELNS0_4arch9wavefront6targetE0EEEvS13_,@function
_ZN7rocprim17ROCPRIM_400000_NS6detail17trampoline_kernelINS0_13select_configILj256ELj13ELNS0_17block_load_methodE3ELS4_3ELS4_3ELNS0_20block_scan_algorithmE0ELj4294967295EEENS1_25partition_config_selectorILNS1_17partition_subalgoE4EjNS0_10empty_typeEbEEZZNS1_14partition_implILS8_4ELb0ES6_15HIP_vector_typeIjLj2EENS0_17counting_iteratorIjlEEPS9_SG_NS0_5tupleIJPjSI_NS0_16reverse_iteratorISI_EEEEENSH_IJSG_SG_SG_EEES9_SI_JZNS1_25segmented_radix_sort_implINS0_14default_configELb0EPK6__halfPSP_PKlPlN2at6native12_GLOBAL__N_18offset_tEEE10hipError_tPvRmT1_PNSt15iterator_traitsIS13_E10value_typeET2_T3_PNS14_IS19_E10value_typeET4_jRbjT5_S1F_jjP12ihipStream_tbEUljE_ZNSN_ISO_Lb0ESR_SS_SU_SV_SZ_EES10_S11_S12_S13_S17_S18_S19_S1C_S1D_jS1E_jS1F_S1F_jjS1H_bEUljE0_EEES10_S11_S12_S19_S1D_S1F_T6_T7_T9_mT8_S1H_bDpT10_ENKUlT_T0_E_clISt17integral_constantIbLb0EES1U_IbLb1EEEEDaS1Q_S1R_EUlS1Q_E_NS1_11comp_targetILNS1_3genE10ELNS1_11target_archE1200ELNS1_3gpuE4ELNS1_3repE0EEENS1_30default_config_static_selectorELNS0_4arch9wavefront6targetE0EEEvS13_: ; @_ZN7rocprim17ROCPRIM_400000_NS6detail17trampoline_kernelINS0_13select_configILj256ELj13ELNS0_17block_load_methodE3ELS4_3ELS4_3ELNS0_20block_scan_algorithmE0ELj4294967295EEENS1_25partition_config_selectorILNS1_17partition_subalgoE4EjNS0_10empty_typeEbEEZZNS1_14partition_implILS8_4ELb0ES6_15HIP_vector_typeIjLj2EENS0_17counting_iteratorIjlEEPS9_SG_NS0_5tupleIJPjSI_NS0_16reverse_iteratorISI_EEEEENSH_IJSG_SG_SG_EEES9_SI_JZNS1_25segmented_radix_sort_implINS0_14default_configELb0EPK6__halfPSP_PKlPlN2at6native12_GLOBAL__N_18offset_tEEE10hipError_tPvRmT1_PNSt15iterator_traitsIS13_E10value_typeET2_T3_PNS14_IS19_E10value_typeET4_jRbjT5_S1F_jjP12ihipStream_tbEUljE_ZNSN_ISO_Lb0ESR_SS_SU_SV_SZ_EES10_S11_S12_S13_S17_S18_S19_S1C_S1D_jS1E_jS1F_S1F_jjS1H_bEUljE0_EEES10_S11_S12_S19_S1D_S1F_T6_T7_T9_mT8_S1H_bDpT10_ENKUlT_T0_E_clISt17integral_constantIbLb0EES1U_IbLb1EEEEDaS1Q_S1R_EUlS1Q_E_NS1_11comp_targetILNS1_3genE10ELNS1_11target_archE1200ELNS1_3gpuE4ELNS1_3repE0EEENS1_30default_config_static_selectorELNS0_4arch9wavefront6targetE0EEEvS13_
; %bb.0:
	.section	.rodata,"a",@progbits
	.p2align	6, 0x0
	.amdhsa_kernel _ZN7rocprim17ROCPRIM_400000_NS6detail17trampoline_kernelINS0_13select_configILj256ELj13ELNS0_17block_load_methodE3ELS4_3ELS4_3ELNS0_20block_scan_algorithmE0ELj4294967295EEENS1_25partition_config_selectorILNS1_17partition_subalgoE4EjNS0_10empty_typeEbEEZZNS1_14partition_implILS8_4ELb0ES6_15HIP_vector_typeIjLj2EENS0_17counting_iteratorIjlEEPS9_SG_NS0_5tupleIJPjSI_NS0_16reverse_iteratorISI_EEEEENSH_IJSG_SG_SG_EEES9_SI_JZNS1_25segmented_radix_sort_implINS0_14default_configELb0EPK6__halfPSP_PKlPlN2at6native12_GLOBAL__N_18offset_tEEE10hipError_tPvRmT1_PNSt15iterator_traitsIS13_E10value_typeET2_T3_PNS14_IS19_E10value_typeET4_jRbjT5_S1F_jjP12ihipStream_tbEUljE_ZNSN_ISO_Lb0ESR_SS_SU_SV_SZ_EES10_S11_S12_S13_S17_S18_S19_S1C_S1D_jS1E_jS1F_S1F_jjS1H_bEUljE0_EEES10_S11_S12_S19_S1D_S1F_T6_T7_T9_mT8_S1H_bDpT10_ENKUlT_T0_E_clISt17integral_constantIbLb0EES1U_IbLb1EEEEDaS1Q_S1R_EUlS1Q_E_NS1_11comp_targetILNS1_3genE10ELNS1_11target_archE1200ELNS1_3gpuE4ELNS1_3repE0EEENS1_30default_config_static_selectorELNS0_4arch9wavefront6targetE0EEEvS13_
		.amdhsa_group_segment_fixed_size 0
		.amdhsa_private_segment_fixed_size 0
		.amdhsa_kernarg_size 184
		.amdhsa_user_sgpr_count 2
		.amdhsa_user_sgpr_dispatch_ptr 0
		.amdhsa_user_sgpr_queue_ptr 0
		.amdhsa_user_sgpr_kernarg_segment_ptr 1
		.amdhsa_user_sgpr_dispatch_id 0
		.amdhsa_user_sgpr_kernarg_preload_length 0
		.amdhsa_user_sgpr_kernarg_preload_offset 0
		.amdhsa_user_sgpr_private_segment_size 0
		.amdhsa_wavefront_size32 1
		.amdhsa_uses_dynamic_stack 0
		.amdhsa_enable_private_segment 0
		.amdhsa_system_sgpr_workgroup_id_x 1
		.amdhsa_system_sgpr_workgroup_id_y 0
		.amdhsa_system_sgpr_workgroup_id_z 0
		.amdhsa_system_sgpr_workgroup_info 0
		.amdhsa_system_vgpr_workitem_id 0
		.amdhsa_next_free_vgpr 1
		.amdhsa_next_free_sgpr 1
		.amdhsa_named_barrier_count 0
		.amdhsa_reserve_vcc 0
		.amdhsa_float_round_mode_32 0
		.amdhsa_float_round_mode_16_64 0
		.amdhsa_float_denorm_mode_32 3
		.amdhsa_float_denorm_mode_16_64 3
		.amdhsa_fp16_overflow 0
		.amdhsa_memory_ordered 1
		.amdhsa_forward_progress 1
		.amdhsa_inst_pref_size 0
		.amdhsa_round_robin_scheduling 0
		.amdhsa_exception_fp_ieee_invalid_op 0
		.amdhsa_exception_fp_denorm_src 0
		.amdhsa_exception_fp_ieee_div_zero 0
		.amdhsa_exception_fp_ieee_overflow 0
		.amdhsa_exception_fp_ieee_underflow 0
		.amdhsa_exception_fp_ieee_inexact 0
		.amdhsa_exception_int_div_zero 0
	.end_amdhsa_kernel
	.section	.text._ZN7rocprim17ROCPRIM_400000_NS6detail17trampoline_kernelINS0_13select_configILj256ELj13ELNS0_17block_load_methodE3ELS4_3ELS4_3ELNS0_20block_scan_algorithmE0ELj4294967295EEENS1_25partition_config_selectorILNS1_17partition_subalgoE4EjNS0_10empty_typeEbEEZZNS1_14partition_implILS8_4ELb0ES6_15HIP_vector_typeIjLj2EENS0_17counting_iteratorIjlEEPS9_SG_NS0_5tupleIJPjSI_NS0_16reverse_iteratorISI_EEEEENSH_IJSG_SG_SG_EEES9_SI_JZNS1_25segmented_radix_sort_implINS0_14default_configELb0EPK6__halfPSP_PKlPlN2at6native12_GLOBAL__N_18offset_tEEE10hipError_tPvRmT1_PNSt15iterator_traitsIS13_E10value_typeET2_T3_PNS14_IS19_E10value_typeET4_jRbjT5_S1F_jjP12ihipStream_tbEUljE_ZNSN_ISO_Lb0ESR_SS_SU_SV_SZ_EES10_S11_S12_S13_S17_S18_S19_S1C_S1D_jS1E_jS1F_S1F_jjS1H_bEUljE0_EEES10_S11_S12_S19_S1D_S1F_T6_T7_T9_mT8_S1H_bDpT10_ENKUlT_T0_E_clISt17integral_constantIbLb0EES1U_IbLb1EEEEDaS1Q_S1R_EUlS1Q_E_NS1_11comp_targetILNS1_3genE10ELNS1_11target_archE1200ELNS1_3gpuE4ELNS1_3repE0EEENS1_30default_config_static_selectorELNS0_4arch9wavefront6targetE0EEEvS13_,"axG",@progbits,_ZN7rocprim17ROCPRIM_400000_NS6detail17trampoline_kernelINS0_13select_configILj256ELj13ELNS0_17block_load_methodE3ELS4_3ELS4_3ELNS0_20block_scan_algorithmE0ELj4294967295EEENS1_25partition_config_selectorILNS1_17partition_subalgoE4EjNS0_10empty_typeEbEEZZNS1_14partition_implILS8_4ELb0ES6_15HIP_vector_typeIjLj2EENS0_17counting_iteratorIjlEEPS9_SG_NS0_5tupleIJPjSI_NS0_16reverse_iteratorISI_EEEEENSH_IJSG_SG_SG_EEES9_SI_JZNS1_25segmented_radix_sort_implINS0_14default_configELb0EPK6__halfPSP_PKlPlN2at6native12_GLOBAL__N_18offset_tEEE10hipError_tPvRmT1_PNSt15iterator_traitsIS13_E10value_typeET2_T3_PNS14_IS19_E10value_typeET4_jRbjT5_S1F_jjP12ihipStream_tbEUljE_ZNSN_ISO_Lb0ESR_SS_SU_SV_SZ_EES10_S11_S12_S13_S17_S18_S19_S1C_S1D_jS1E_jS1F_S1F_jjS1H_bEUljE0_EEES10_S11_S12_S19_S1D_S1F_T6_T7_T9_mT8_S1H_bDpT10_ENKUlT_T0_E_clISt17integral_constantIbLb0EES1U_IbLb1EEEEDaS1Q_S1R_EUlS1Q_E_NS1_11comp_targetILNS1_3genE10ELNS1_11target_archE1200ELNS1_3gpuE4ELNS1_3repE0EEENS1_30default_config_static_selectorELNS0_4arch9wavefront6targetE0EEEvS13_,comdat
.Lfunc_end1797:
	.size	_ZN7rocprim17ROCPRIM_400000_NS6detail17trampoline_kernelINS0_13select_configILj256ELj13ELNS0_17block_load_methodE3ELS4_3ELS4_3ELNS0_20block_scan_algorithmE0ELj4294967295EEENS1_25partition_config_selectorILNS1_17partition_subalgoE4EjNS0_10empty_typeEbEEZZNS1_14partition_implILS8_4ELb0ES6_15HIP_vector_typeIjLj2EENS0_17counting_iteratorIjlEEPS9_SG_NS0_5tupleIJPjSI_NS0_16reverse_iteratorISI_EEEEENSH_IJSG_SG_SG_EEES9_SI_JZNS1_25segmented_radix_sort_implINS0_14default_configELb0EPK6__halfPSP_PKlPlN2at6native12_GLOBAL__N_18offset_tEEE10hipError_tPvRmT1_PNSt15iterator_traitsIS13_E10value_typeET2_T3_PNS14_IS19_E10value_typeET4_jRbjT5_S1F_jjP12ihipStream_tbEUljE_ZNSN_ISO_Lb0ESR_SS_SU_SV_SZ_EES10_S11_S12_S13_S17_S18_S19_S1C_S1D_jS1E_jS1F_S1F_jjS1H_bEUljE0_EEES10_S11_S12_S19_S1D_S1F_T6_T7_T9_mT8_S1H_bDpT10_ENKUlT_T0_E_clISt17integral_constantIbLb0EES1U_IbLb1EEEEDaS1Q_S1R_EUlS1Q_E_NS1_11comp_targetILNS1_3genE10ELNS1_11target_archE1200ELNS1_3gpuE4ELNS1_3repE0EEENS1_30default_config_static_selectorELNS0_4arch9wavefront6targetE0EEEvS13_, .Lfunc_end1797-_ZN7rocprim17ROCPRIM_400000_NS6detail17trampoline_kernelINS0_13select_configILj256ELj13ELNS0_17block_load_methodE3ELS4_3ELS4_3ELNS0_20block_scan_algorithmE0ELj4294967295EEENS1_25partition_config_selectorILNS1_17partition_subalgoE4EjNS0_10empty_typeEbEEZZNS1_14partition_implILS8_4ELb0ES6_15HIP_vector_typeIjLj2EENS0_17counting_iteratorIjlEEPS9_SG_NS0_5tupleIJPjSI_NS0_16reverse_iteratorISI_EEEEENSH_IJSG_SG_SG_EEES9_SI_JZNS1_25segmented_radix_sort_implINS0_14default_configELb0EPK6__halfPSP_PKlPlN2at6native12_GLOBAL__N_18offset_tEEE10hipError_tPvRmT1_PNSt15iterator_traitsIS13_E10value_typeET2_T3_PNS14_IS19_E10value_typeET4_jRbjT5_S1F_jjP12ihipStream_tbEUljE_ZNSN_ISO_Lb0ESR_SS_SU_SV_SZ_EES10_S11_S12_S13_S17_S18_S19_S1C_S1D_jS1E_jS1F_S1F_jjS1H_bEUljE0_EEES10_S11_S12_S19_S1D_S1F_T6_T7_T9_mT8_S1H_bDpT10_ENKUlT_T0_E_clISt17integral_constantIbLb0EES1U_IbLb1EEEEDaS1Q_S1R_EUlS1Q_E_NS1_11comp_targetILNS1_3genE10ELNS1_11target_archE1200ELNS1_3gpuE4ELNS1_3repE0EEENS1_30default_config_static_selectorELNS0_4arch9wavefront6targetE0EEEvS13_
                                        ; -- End function
	.set _ZN7rocprim17ROCPRIM_400000_NS6detail17trampoline_kernelINS0_13select_configILj256ELj13ELNS0_17block_load_methodE3ELS4_3ELS4_3ELNS0_20block_scan_algorithmE0ELj4294967295EEENS1_25partition_config_selectorILNS1_17partition_subalgoE4EjNS0_10empty_typeEbEEZZNS1_14partition_implILS8_4ELb0ES6_15HIP_vector_typeIjLj2EENS0_17counting_iteratorIjlEEPS9_SG_NS0_5tupleIJPjSI_NS0_16reverse_iteratorISI_EEEEENSH_IJSG_SG_SG_EEES9_SI_JZNS1_25segmented_radix_sort_implINS0_14default_configELb0EPK6__halfPSP_PKlPlN2at6native12_GLOBAL__N_18offset_tEEE10hipError_tPvRmT1_PNSt15iterator_traitsIS13_E10value_typeET2_T3_PNS14_IS19_E10value_typeET4_jRbjT5_S1F_jjP12ihipStream_tbEUljE_ZNSN_ISO_Lb0ESR_SS_SU_SV_SZ_EES10_S11_S12_S13_S17_S18_S19_S1C_S1D_jS1E_jS1F_S1F_jjS1H_bEUljE0_EEES10_S11_S12_S19_S1D_S1F_T6_T7_T9_mT8_S1H_bDpT10_ENKUlT_T0_E_clISt17integral_constantIbLb0EES1U_IbLb1EEEEDaS1Q_S1R_EUlS1Q_E_NS1_11comp_targetILNS1_3genE10ELNS1_11target_archE1200ELNS1_3gpuE4ELNS1_3repE0EEENS1_30default_config_static_selectorELNS0_4arch9wavefront6targetE0EEEvS13_.num_vgpr, 0
	.set _ZN7rocprim17ROCPRIM_400000_NS6detail17trampoline_kernelINS0_13select_configILj256ELj13ELNS0_17block_load_methodE3ELS4_3ELS4_3ELNS0_20block_scan_algorithmE0ELj4294967295EEENS1_25partition_config_selectorILNS1_17partition_subalgoE4EjNS0_10empty_typeEbEEZZNS1_14partition_implILS8_4ELb0ES6_15HIP_vector_typeIjLj2EENS0_17counting_iteratorIjlEEPS9_SG_NS0_5tupleIJPjSI_NS0_16reverse_iteratorISI_EEEEENSH_IJSG_SG_SG_EEES9_SI_JZNS1_25segmented_radix_sort_implINS0_14default_configELb0EPK6__halfPSP_PKlPlN2at6native12_GLOBAL__N_18offset_tEEE10hipError_tPvRmT1_PNSt15iterator_traitsIS13_E10value_typeET2_T3_PNS14_IS19_E10value_typeET4_jRbjT5_S1F_jjP12ihipStream_tbEUljE_ZNSN_ISO_Lb0ESR_SS_SU_SV_SZ_EES10_S11_S12_S13_S17_S18_S19_S1C_S1D_jS1E_jS1F_S1F_jjS1H_bEUljE0_EEES10_S11_S12_S19_S1D_S1F_T6_T7_T9_mT8_S1H_bDpT10_ENKUlT_T0_E_clISt17integral_constantIbLb0EES1U_IbLb1EEEEDaS1Q_S1R_EUlS1Q_E_NS1_11comp_targetILNS1_3genE10ELNS1_11target_archE1200ELNS1_3gpuE4ELNS1_3repE0EEENS1_30default_config_static_selectorELNS0_4arch9wavefront6targetE0EEEvS13_.num_agpr, 0
	.set _ZN7rocprim17ROCPRIM_400000_NS6detail17trampoline_kernelINS0_13select_configILj256ELj13ELNS0_17block_load_methodE3ELS4_3ELS4_3ELNS0_20block_scan_algorithmE0ELj4294967295EEENS1_25partition_config_selectorILNS1_17partition_subalgoE4EjNS0_10empty_typeEbEEZZNS1_14partition_implILS8_4ELb0ES6_15HIP_vector_typeIjLj2EENS0_17counting_iteratorIjlEEPS9_SG_NS0_5tupleIJPjSI_NS0_16reverse_iteratorISI_EEEEENSH_IJSG_SG_SG_EEES9_SI_JZNS1_25segmented_radix_sort_implINS0_14default_configELb0EPK6__halfPSP_PKlPlN2at6native12_GLOBAL__N_18offset_tEEE10hipError_tPvRmT1_PNSt15iterator_traitsIS13_E10value_typeET2_T3_PNS14_IS19_E10value_typeET4_jRbjT5_S1F_jjP12ihipStream_tbEUljE_ZNSN_ISO_Lb0ESR_SS_SU_SV_SZ_EES10_S11_S12_S13_S17_S18_S19_S1C_S1D_jS1E_jS1F_S1F_jjS1H_bEUljE0_EEES10_S11_S12_S19_S1D_S1F_T6_T7_T9_mT8_S1H_bDpT10_ENKUlT_T0_E_clISt17integral_constantIbLb0EES1U_IbLb1EEEEDaS1Q_S1R_EUlS1Q_E_NS1_11comp_targetILNS1_3genE10ELNS1_11target_archE1200ELNS1_3gpuE4ELNS1_3repE0EEENS1_30default_config_static_selectorELNS0_4arch9wavefront6targetE0EEEvS13_.numbered_sgpr, 0
	.set _ZN7rocprim17ROCPRIM_400000_NS6detail17trampoline_kernelINS0_13select_configILj256ELj13ELNS0_17block_load_methodE3ELS4_3ELS4_3ELNS0_20block_scan_algorithmE0ELj4294967295EEENS1_25partition_config_selectorILNS1_17partition_subalgoE4EjNS0_10empty_typeEbEEZZNS1_14partition_implILS8_4ELb0ES6_15HIP_vector_typeIjLj2EENS0_17counting_iteratorIjlEEPS9_SG_NS0_5tupleIJPjSI_NS0_16reverse_iteratorISI_EEEEENSH_IJSG_SG_SG_EEES9_SI_JZNS1_25segmented_radix_sort_implINS0_14default_configELb0EPK6__halfPSP_PKlPlN2at6native12_GLOBAL__N_18offset_tEEE10hipError_tPvRmT1_PNSt15iterator_traitsIS13_E10value_typeET2_T3_PNS14_IS19_E10value_typeET4_jRbjT5_S1F_jjP12ihipStream_tbEUljE_ZNSN_ISO_Lb0ESR_SS_SU_SV_SZ_EES10_S11_S12_S13_S17_S18_S19_S1C_S1D_jS1E_jS1F_S1F_jjS1H_bEUljE0_EEES10_S11_S12_S19_S1D_S1F_T6_T7_T9_mT8_S1H_bDpT10_ENKUlT_T0_E_clISt17integral_constantIbLb0EES1U_IbLb1EEEEDaS1Q_S1R_EUlS1Q_E_NS1_11comp_targetILNS1_3genE10ELNS1_11target_archE1200ELNS1_3gpuE4ELNS1_3repE0EEENS1_30default_config_static_selectorELNS0_4arch9wavefront6targetE0EEEvS13_.num_named_barrier, 0
	.set _ZN7rocprim17ROCPRIM_400000_NS6detail17trampoline_kernelINS0_13select_configILj256ELj13ELNS0_17block_load_methodE3ELS4_3ELS4_3ELNS0_20block_scan_algorithmE0ELj4294967295EEENS1_25partition_config_selectorILNS1_17partition_subalgoE4EjNS0_10empty_typeEbEEZZNS1_14partition_implILS8_4ELb0ES6_15HIP_vector_typeIjLj2EENS0_17counting_iteratorIjlEEPS9_SG_NS0_5tupleIJPjSI_NS0_16reverse_iteratorISI_EEEEENSH_IJSG_SG_SG_EEES9_SI_JZNS1_25segmented_radix_sort_implINS0_14default_configELb0EPK6__halfPSP_PKlPlN2at6native12_GLOBAL__N_18offset_tEEE10hipError_tPvRmT1_PNSt15iterator_traitsIS13_E10value_typeET2_T3_PNS14_IS19_E10value_typeET4_jRbjT5_S1F_jjP12ihipStream_tbEUljE_ZNSN_ISO_Lb0ESR_SS_SU_SV_SZ_EES10_S11_S12_S13_S17_S18_S19_S1C_S1D_jS1E_jS1F_S1F_jjS1H_bEUljE0_EEES10_S11_S12_S19_S1D_S1F_T6_T7_T9_mT8_S1H_bDpT10_ENKUlT_T0_E_clISt17integral_constantIbLb0EES1U_IbLb1EEEEDaS1Q_S1R_EUlS1Q_E_NS1_11comp_targetILNS1_3genE10ELNS1_11target_archE1200ELNS1_3gpuE4ELNS1_3repE0EEENS1_30default_config_static_selectorELNS0_4arch9wavefront6targetE0EEEvS13_.private_seg_size, 0
	.set _ZN7rocprim17ROCPRIM_400000_NS6detail17trampoline_kernelINS0_13select_configILj256ELj13ELNS0_17block_load_methodE3ELS4_3ELS4_3ELNS0_20block_scan_algorithmE0ELj4294967295EEENS1_25partition_config_selectorILNS1_17partition_subalgoE4EjNS0_10empty_typeEbEEZZNS1_14partition_implILS8_4ELb0ES6_15HIP_vector_typeIjLj2EENS0_17counting_iteratorIjlEEPS9_SG_NS0_5tupleIJPjSI_NS0_16reverse_iteratorISI_EEEEENSH_IJSG_SG_SG_EEES9_SI_JZNS1_25segmented_radix_sort_implINS0_14default_configELb0EPK6__halfPSP_PKlPlN2at6native12_GLOBAL__N_18offset_tEEE10hipError_tPvRmT1_PNSt15iterator_traitsIS13_E10value_typeET2_T3_PNS14_IS19_E10value_typeET4_jRbjT5_S1F_jjP12ihipStream_tbEUljE_ZNSN_ISO_Lb0ESR_SS_SU_SV_SZ_EES10_S11_S12_S13_S17_S18_S19_S1C_S1D_jS1E_jS1F_S1F_jjS1H_bEUljE0_EEES10_S11_S12_S19_S1D_S1F_T6_T7_T9_mT8_S1H_bDpT10_ENKUlT_T0_E_clISt17integral_constantIbLb0EES1U_IbLb1EEEEDaS1Q_S1R_EUlS1Q_E_NS1_11comp_targetILNS1_3genE10ELNS1_11target_archE1200ELNS1_3gpuE4ELNS1_3repE0EEENS1_30default_config_static_selectorELNS0_4arch9wavefront6targetE0EEEvS13_.uses_vcc, 0
	.set _ZN7rocprim17ROCPRIM_400000_NS6detail17trampoline_kernelINS0_13select_configILj256ELj13ELNS0_17block_load_methodE3ELS4_3ELS4_3ELNS0_20block_scan_algorithmE0ELj4294967295EEENS1_25partition_config_selectorILNS1_17partition_subalgoE4EjNS0_10empty_typeEbEEZZNS1_14partition_implILS8_4ELb0ES6_15HIP_vector_typeIjLj2EENS0_17counting_iteratorIjlEEPS9_SG_NS0_5tupleIJPjSI_NS0_16reverse_iteratorISI_EEEEENSH_IJSG_SG_SG_EEES9_SI_JZNS1_25segmented_radix_sort_implINS0_14default_configELb0EPK6__halfPSP_PKlPlN2at6native12_GLOBAL__N_18offset_tEEE10hipError_tPvRmT1_PNSt15iterator_traitsIS13_E10value_typeET2_T3_PNS14_IS19_E10value_typeET4_jRbjT5_S1F_jjP12ihipStream_tbEUljE_ZNSN_ISO_Lb0ESR_SS_SU_SV_SZ_EES10_S11_S12_S13_S17_S18_S19_S1C_S1D_jS1E_jS1F_S1F_jjS1H_bEUljE0_EEES10_S11_S12_S19_S1D_S1F_T6_T7_T9_mT8_S1H_bDpT10_ENKUlT_T0_E_clISt17integral_constantIbLb0EES1U_IbLb1EEEEDaS1Q_S1R_EUlS1Q_E_NS1_11comp_targetILNS1_3genE10ELNS1_11target_archE1200ELNS1_3gpuE4ELNS1_3repE0EEENS1_30default_config_static_selectorELNS0_4arch9wavefront6targetE0EEEvS13_.uses_flat_scratch, 0
	.set _ZN7rocprim17ROCPRIM_400000_NS6detail17trampoline_kernelINS0_13select_configILj256ELj13ELNS0_17block_load_methodE3ELS4_3ELS4_3ELNS0_20block_scan_algorithmE0ELj4294967295EEENS1_25partition_config_selectorILNS1_17partition_subalgoE4EjNS0_10empty_typeEbEEZZNS1_14partition_implILS8_4ELb0ES6_15HIP_vector_typeIjLj2EENS0_17counting_iteratorIjlEEPS9_SG_NS0_5tupleIJPjSI_NS0_16reverse_iteratorISI_EEEEENSH_IJSG_SG_SG_EEES9_SI_JZNS1_25segmented_radix_sort_implINS0_14default_configELb0EPK6__halfPSP_PKlPlN2at6native12_GLOBAL__N_18offset_tEEE10hipError_tPvRmT1_PNSt15iterator_traitsIS13_E10value_typeET2_T3_PNS14_IS19_E10value_typeET4_jRbjT5_S1F_jjP12ihipStream_tbEUljE_ZNSN_ISO_Lb0ESR_SS_SU_SV_SZ_EES10_S11_S12_S13_S17_S18_S19_S1C_S1D_jS1E_jS1F_S1F_jjS1H_bEUljE0_EEES10_S11_S12_S19_S1D_S1F_T6_T7_T9_mT8_S1H_bDpT10_ENKUlT_T0_E_clISt17integral_constantIbLb0EES1U_IbLb1EEEEDaS1Q_S1R_EUlS1Q_E_NS1_11comp_targetILNS1_3genE10ELNS1_11target_archE1200ELNS1_3gpuE4ELNS1_3repE0EEENS1_30default_config_static_selectorELNS0_4arch9wavefront6targetE0EEEvS13_.has_dyn_sized_stack, 0
	.set _ZN7rocprim17ROCPRIM_400000_NS6detail17trampoline_kernelINS0_13select_configILj256ELj13ELNS0_17block_load_methodE3ELS4_3ELS4_3ELNS0_20block_scan_algorithmE0ELj4294967295EEENS1_25partition_config_selectorILNS1_17partition_subalgoE4EjNS0_10empty_typeEbEEZZNS1_14partition_implILS8_4ELb0ES6_15HIP_vector_typeIjLj2EENS0_17counting_iteratorIjlEEPS9_SG_NS0_5tupleIJPjSI_NS0_16reverse_iteratorISI_EEEEENSH_IJSG_SG_SG_EEES9_SI_JZNS1_25segmented_radix_sort_implINS0_14default_configELb0EPK6__halfPSP_PKlPlN2at6native12_GLOBAL__N_18offset_tEEE10hipError_tPvRmT1_PNSt15iterator_traitsIS13_E10value_typeET2_T3_PNS14_IS19_E10value_typeET4_jRbjT5_S1F_jjP12ihipStream_tbEUljE_ZNSN_ISO_Lb0ESR_SS_SU_SV_SZ_EES10_S11_S12_S13_S17_S18_S19_S1C_S1D_jS1E_jS1F_S1F_jjS1H_bEUljE0_EEES10_S11_S12_S19_S1D_S1F_T6_T7_T9_mT8_S1H_bDpT10_ENKUlT_T0_E_clISt17integral_constantIbLb0EES1U_IbLb1EEEEDaS1Q_S1R_EUlS1Q_E_NS1_11comp_targetILNS1_3genE10ELNS1_11target_archE1200ELNS1_3gpuE4ELNS1_3repE0EEENS1_30default_config_static_selectorELNS0_4arch9wavefront6targetE0EEEvS13_.has_recursion, 0
	.set _ZN7rocprim17ROCPRIM_400000_NS6detail17trampoline_kernelINS0_13select_configILj256ELj13ELNS0_17block_load_methodE3ELS4_3ELS4_3ELNS0_20block_scan_algorithmE0ELj4294967295EEENS1_25partition_config_selectorILNS1_17partition_subalgoE4EjNS0_10empty_typeEbEEZZNS1_14partition_implILS8_4ELb0ES6_15HIP_vector_typeIjLj2EENS0_17counting_iteratorIjlEEPS9_SG_NS0_5tupleIJPjSI_NS0_16reverse_iteratorISI_EEEEENSH_IJSG_SG_SG_EEES9_SI_JZNS1_25segmented_radix_sort_implINS0_14default_configELb0EPK6__halfPSP_PKlPlN2at6native12_GLOBAL__N_18offset_tEEE10hipError_tPvRmT1_PNSt15iterator_traitsIS13_E10value_typeET2_T3_PNS14_IS19_E10value_typeET4_jRbjT5_S1F_jjP12ihipStream_tbEUljE_ZNSN_ISO_Lb0ESR_SS_SU_SV_SZ_EES10_S11_S12_S13_S17_S18_S19_S1C_S1D_jS1E_jS1F_S1F_jjS1H_bEUljE0_EEES10_S11_S12_S19_S1D_S1F_T6_T7_T9_mT8_S1H_bDpT10_ENKUlT_T0_E_clISt17integral_constantIbLb0EES1U_IbLb1EEEEDaS1Q_S1R_EUlS1Q_E_NS1_11comp_targetILNS1_3genE10ELNS1_11target_archE1200ELNS1_3gpuE4ELNS1_3repE0EEENS1_30default_config_static_selectorELNS0_4arch9wavefront6targetE0EEEvS13_.has_indirect_call, 0
	.section	.AMDGPU.csdata,"",@progbits
; Kernel info:
; codeLenInByte = 0
; TotalNumSgprs: 0
; NumVgprs: 0
; ScratchSize: 0
; MemoryBound: 0
; FloatMode: 240
; IeeeMode: 1
; LDSByteSize: 0 bytes/workgroup (compile time only)
; SGPRBlocks: 0
; VGPRBlocks: 0
; NumSGPRsForWavesPerEU: 1
; NumVGPRsForWavesPerEU: 1
; NamedBarCnt: 0
; Occupancy: 16
; WaveLimiterHint : 0
; COMPUTE_PGM_RSRC2:SCRATCH_EN: 0
; COMPUTE_PGM_RSRC2:USER_SGPR: 2
; COMPUTE_PGM_RSRC2:TRAP_HANDLER: 0
; COMPUTE_PGM_RSRC2:TGID_X_EN: 1
; COMPUTE_PGM_RSRC2:TGID_Y_EN: 0
; COMPUTE_PGM_RSRC2:TGID_Z_EN: 0
; COMPUTE_PGM_RSRC2:TIDIG_COMP_CNT: 0
	.section	.text._ZN7rocprim17ROCPRIM_400000_NS6detail17trampoline_kernelINS0_13select_configILj256ELj13ELNS0_17block_load_methodE3ELS4_3ELS4_3ELNS0_20block_scan_algorithmE0ELj4294967295EEENS1_25partition_config_selectorILNS1_17partition_subalgoE4EjNS0_10empty_typeEbEEZZNS1_14partition_implILS8_4ELb0ES6_15HIP_vector_typeIjLj2EENS0_17counting_iteratorIjlEEPS9_SG_NS0_5tupleIJPjSI_NS0_16reverse_iteratorISI_EEEEENSH_IJSG_SG_SG_EEES9_SI_JZNS1_25segmented_radix_sort_implINS0_14default_configELb0EPK6__halfPSP_PKlPlN2at6native12_GLOBAL__N_18offset_tEEE10hipError_tPvRmT1_PNSt15iterator_traitsIS13_E10value_typeET2_T3_PNS14_IS19_E10value_typeET4_jRbjT5_S1F_jjP12ihipStream_tbEUljE_ZNSN_ISO_Lb0ESR_SS_SU_SV_SZ_EES10_S11_S12_S13_S17_S18_S19_S1C_S1D_jS1E_jS1F_S1F_jjS1H_bEUljE0_EEES10_S11_S12_S19_S1D_S1F_T6_T7_T9_mT8_S1H_bDpT10_ENKUlT_T0_E_clISt17integral_constantIbLb0EES1U_IbLb1EEEEDaS1Q_S1R_EUlS1Q_E_NS1_11comp_targetILNS1_3genE9ELNS1_11target_archE1100ELNS1_3gpuE3ELNS1_3repE0EEENS1_30default_config_static_selectorELNS0_4arch9wavefront6targetE0EEEvS13_,"axG",@progbits,_ZN7rocprim17ROCPRIM_400000_NS6detail17trampoline_kernelINS0_13select_configILj256ELj13ELNS0_17block_load_methodE3ELS4_3ELS4_3ELNS0_20block_scan_algorithmE0ELj4294967295EEENS1_25partition_config_selectorILNS1_17partition_subalgoE4EjNS0_10empty_typeEbEEZZNS1_14partition_implILS8_4ELb0ES6_15HIP_vector_typeIjLj2EENS0_17counting_iteratorIjlEEPS9_SG_NS0_5tupleIJPjSI_NS0_16reverse_iteratorISI_EEEEENSH_IJSG_SG_SG_EEES9_SI_JZNS1_25segmented_radix_sort_implINS0_14default_configELb0EPK6__halfPSP_PKlPlN2at6native12_GLOBAL__N_18offset_tEEE10hipError_tPvRmT1_PNSt15iterator_traitsIS13_E10value_typeET2_T3_PNS14_IS19_E10value_typeET4_jRbjT5_S1F_jjP12ihipStream_tbEUljE_ZNSN_ISO_Lb0ESR_SS_SU_SV_SZ_EES10_S11_S12_S13_S17_S18_S19_S1C_S1D_jS1E_jS1F_S1F_jjS1H_bEUljE0_EEES10_S11_S12_S19_S1D_S1F_T6_T7_T9_mT8_S1H_bDpT10_ENKUlT_T0_E_clISt17integral_constantIbLb0EES1U_IbLb1EEEEDaS1Q_S1R_EUlS1Q_E_NS1_11comp_targetILNS1_3genE9ELNS1_11target_archE1100ELNS1_3gpuE3ELNS1_3repE0EEENS1_30default_config_static_selectorELNS0_4arch9wavefront6targetE0EEEvS13_,comdat
	.globl	_ZN7rocprim17ROCPRIM_400000_NS6detail17trampoline_kernelINS0_13select_configILj256ELj13ELNS0_17block_load_methodE3ELS4_3ELS4_3ELNS0_20block_scan_algorithmE0ELj4294967295EEENS1_25partition_config_selectorILNS1_17partition_subalgoE4EjNS0_10empty_typeEbEEZZNS1_14partition_implILS8_4ELb0ES6_15HIP_vector_typeIjLj2EENS0_17counting_iteratorIjlEEPS9_SG_NS0_5tupleIJPjSI_NS0_16reverse_iteratorISI_EEEEENSH_IJSG_SG_SG_EEES9_SI_JZNS1_25segmented_radix_sort_implINS0_14default_configELb0EPK6__halfPSP_PKlPlN2at6native12_GLOBAL__N_18offset_tEEE10hipError_tPvRmT1_PNSt15iterator_traitsIS13_E10value_typeET2_T3_PNS14_IS19_E10value_typeET4_jRbjT5_S1F_jjP12ihipStream_tbEUljE_ZNSN_ISO_Lb0ESR_SS_SU_SV_SZ_EES10_S11_S12_S13_S17_S18_S19_S1C_S1D_jS1E_jS1F_S1F_jjS1H_bEUljE0_EEES10_S11_S12_S19_S1D_S1F_T6_T7_T9_mT8_S1H_bDpT10_ENKUlT_T0_E_clISt17integral_constantIbLb0EES1U_IbLb1EEEEDaS1Q_S1R_EUlS1Q_E_NS1_11comp_targetILNS1_3genE9ELNS1_11target_archE1100ELNS1_3gpuE3ELNS1_3repE0EEENS1_30default_config_static_selectorELNS0_4arch9wavefront6targetE0EEEvS13_ ; -- Begin function _ZN7rocprim17ROCPRIM_400000_NS6detail17trampoline_kernelINS0_13select_configILj256ELj13ELNS0_17block_load_methodE3ELS4_3ELS4_3ELNS0_20block_scan_algorithmE0ELj4294967295EEENS1_25partition_config_selectorILNS1_17partition_subalgoE4EjNS0_10empty_typeEbEEZZNS1_14partition_implILS8_4ELb0ES6_15HIP_vector_typeIjLj2EENS0_17counting_iteratorIjlEEPS9_SG_NS0_5tupleIJPjSI_NS0_16reverse_iteratorISI_EEEEENSH_IJSG_SG_SG_EEES9_SI_JZNS1_25segmented_radix_sort_implINS0_14default_configELb0EPK6__halfPSP_PKlPlN2at6native12_GLOBAL__N_18offset_tEEE10hipError_tPvRmT1_PNSt15iterator_traitsIS13_E10value_typeET2_T3_PNS14_IS19_E10value_typeET4_jRbjT5_S1F_jjP12ihipStream_tbEUljE_ZNSN_ISO_Lb0ESR_SS_SU_SV_SZ_EES10_S11_S12_S13_S17_S18_S19_S1C_S1D_jS1E_jS1F_S1F_jjS1H_bEUljE0_EEES10_S11_S12_S19_S1D_S1F_T6_T7_T9_mT8_S1H_bDpT10_ENKUlT_T0_E_clISt17integral_constantIbLb0EES1U_IbLb1EEEEDaS1Q_S1R_EUlS1Q_E_NS1_11comp_targetILNS1_3genE9ELNS1_11target_archE1100ELNS1_3gpuE3ELNS1_3repE0EEENS1_30default_config_static_selectorELNS0_4arch9wavefront6targetE0EEEvS13_
	.p2align	8
	.type	_ZN7rocprim17ROCPRIM_400000_NS6detail17trampoline_kernelINS0_13select_configILj256ELj13ELNS0_17block_load_methodE3ELS4_3ELS4_3ELNS0_20block_scan_algorithmE0ELj4294967295EEENS1_25partition_config_selectorILNS1_17partition_subalgoE4EjNS0_10empty_typeEbEEZZNS1_14partition_implILS8_4ELb0ES6_15HIP_vector_typeIjLj2EENS0_17counting_iteratorIjlEEPS9_SG_NS0_5tupleIJPjSI_NS0_16reverse_iteratorISI_EEEEENSH_IJSG_SG_SG_EEES9_SI_JZNS1_25segmented_radix_sort_implINS0_14default_configELb0EPK6__halfPSP_PKlPlN2at6native12_GLOBAL__N_18offset_tEEE10hipError_tPvRmT1_PNSt15iterator_traitsIS13_E10value_typeET2_T3_PNS14_IS19_E10value_typeET4_jRbjT5_S1F_jjP12ihipStream_tbEUljE_ZNSN_ISO_Lb0ESR_SS_SU_SV_SZ_EES10_S11_S12_S13_S17_S18_S19_S1C_S1D_jS1E_jS1F_S1F_jjS1H_bEUljE0_EEES10_S11_S12_S19_S1D_S1F_T6_T7_T9_mT8_S1H_bDpT10_ENKUlT_T0_E_clISt17integral_constantIbLb0EES1U_IbLb1EEEEDaS1Q_S1R_EUlS1Q_E_NS1_11comp_targetILNS1_3genE9ELNS1_11target_archE1100ELNS1_3gpuE3ELNS1_3repE0EEENS1_30default_config_static_selectorELNS0_4arch9wavefront6targetE0EEEvS13_,@function
_ZN7rocprim17ROCPRIM_400000_NS6detail17trampoline_kernelINS0_13select_configILj256ELj13ELNS0_17block_load_methodE3ELS4_3ELS4_3ELNS0_20block_scan_algorithmE0ELj4294967295EEENS1_25partition_config_selectorILNS1_17partition_subalgoE4EjNS0_10empty_typeEbEEZZNS1_14partition_implILS8_4ELb0ES6_15HIP_vector_typeIjLj2EENS0_17counting_iteratorIjlEEPS9_SG_NS0_5tupleIJPjSI_NS0_16reverse_iteratorISI_EEEEENSH_IJSG_SG_SG_EEES9_SI_JZNS1_25segmented_radix_sort_implINS0_14default_configELb0EPK6__halfPSP_PKlPlN2at6native12_GLOBAL__N_18offset_tEEE10hipError_tPvRmT1_PNSt15iterator_traitsIS13_E10value_typeET2_T3_PNS14_IS19_E10value_typeET4_jRbjT5_S1F_jjP12ihipStream_tbEUljE_ZNSN_ISO_Lb0ESR_SS_SU_SV_SZ_EES10_S11_S12_S13_S17_S18_S19_S1C_S1D_jS1E_jS1F_S1F_jjS1H_bEUljE0_EEES10_S11_S12_S19_S1D_S1F_T6_T7_T9_mT8_S1H_bDpT10_ENKUlT_T0_E_clISt17integral_constantIbLb0EES1U_IbLb1EEEEDaS1Q_S1R_EUlS1Q_E_NS1_11comp_targetILNS1_3genE9ELNS1_11target_archE1100ELNS1_3gpuE3ELNS1_3repE0EEENS1_30default_config_static_selectorELNS0_4arch9wavefront6targetE0EEEvS13_: ; @_ZN7rocprim17ROCPRIM_400000_NS6detail17trampoline_kernelINS0_13select_configILj256ELj13ELNS0_17block_load_methodE3ELS4_3ELS4_3ELNS0_20block_scan_algorithmE0ELj4294967295EEENS1_25partition_config_selectorILNS1_17partition_subalgoE4EjNS0_10empty_typeEbEEZZNS1_14partition_implILS8_4ELb0ES6_15HIP_vector_typeIjLj2EENS0_17counting_iteratorIjlEEPS9_SG_NS0_5tupleIJPjSI_NS0_16reverse_iteratorISI_EEEEENSH_IJSG_SG_SG_EEES9_SI_JZNS1_25segmented_radix_sort_implINS0_14default_configELb0EPK6__halfPSP_PKlPlN2at6native12_GLOBAL__N_18offset_tEEE10hipError_tPvRmT1_PNSt15iterator_traitsIS13_E10value_typeET2_T3_PNS14_IS19_E10value_typeET4_jRbjT5_S1F_jjP12ihipStream_tbEUljE_ZNSN_ISO_Lb0ESR_SS_SU_SV_SZ_EES10_S11_S12_S13_S17_S18_S19_S1C_S1D_jS1E_jS1F_S1F_jjS1H_bEUljE0_EEES10_S11_S12_S19_S1D_S1F_T6_T7_T9_mT8_S1H_bDpT10_ENKUlT_T0_E_clISt17integral_constantIbLb0EES1U_IbLb1EEEEDaS1Q_S1R_EUlS1Q_E_NS1_11comp_targetILNS1_3genE9ELNS1_11target_archE1100ELNS1_3gpuE3ELNS1_3repE0EEENS1_30default_config_static_selectorELNS0_4arch9wavefront6targetE0EEEvS13_
; %bb.0:
	.section	.rodata,"a",@progbits
	.p2align	6, 0x0
	.amdhsa_kernel _ZN7rocprim17ROCPRIM_400000_NS6detail17trampoline_kernelINS0_13select_configILj256ELj13ELNS0_17block_load_methodE3ELS4_3ELS4_3ELNS0_20block_scan_algorithmE0ELj4294967295EEENS1_25partition_config_selectorILNS1_17partition_subalgoE4EjNS0_10empty_typeEbEEZZNS1_14partition_implILS8_4ELb0ES6_15HIP_vector_typeIjLj2EENS0_17counting_iteratorIjlEEPS9_SG_NS0_5tupleIJPjSI_NS0_16reverse_iteratorISI_EEEEENSH_IJSG_SG_SG_EEES9_SI_JZNS1_25segmented_radix_sort_implINS0_14default_configELb0EPK6__halfPSP_PKlPlN2at6native12_GLOBAL__N_18offset_tEEE10hipError_tPvRmT1_PNSt15iterator_traitsIS13_E10value_typeET2_T3_PNS14_IS19_E10value_typeET4_jRbjT5_S1F_jjP12ihipStream_tbEUljE_ZNSN_ISO_Lb0ESR_SS_SU_SV_SZ_EES10_S11_S12_S13_S17_S18_S19_S1C_S1D_jS1E_jS1F_S1F_jjS1H_bEUljE0_EEES10_S11_S12_S19_S1D_S1F_T6_T7_T9_mT8_S1H_bDpT10_ENKUlT_T0_E_clISt17integral_constantIbLb0EES1U_IbLb1EEEEDaS1Q_S1R_EUlS1Q_E_NS1_11comp_targetILNS1_3genE9ELNS1_11target_archE1100ELNS1_3gpuE3ELNS1_3repE0EEENS1_30default_config_static_selectorELNS0_4arch9wavefront6targetE0EEEvS13_
		.amdhsa_group_segment_fixed_size 0
		.amdhsa_private_segment_fixed_size 0
		.amdhsa_kernarg_size 184
		.amdhsa_user_sgpr_count 2
		.amdhsa_user_sgpr_dispatch_ptr 0
		.amdhsa_user_sgpr_queue_ptr 0
		.amdhsa_user_sgpr_kernarg_segment_ptr 1
		.amdhsa_user_sgpr_dispatch_id 0
		.amdhsa_user_sgpr_kernarg_preload_length 0
		.amdhsa_user_sgpr_kernarg_preload_offset 0
		.amdhsa_user_sgpr_private_segment_size 0
		.amdhsa_wavefront_size32 1
		.amdhsa_uses_dynamic_stack 0
		.amdhsa_enable_private_segment 0
		.amdhsa_system_sgpr_workgroup_id_x 1
		.amdhsa_system_sgpr_workgroup_id_y 0
		.amdhsa_system_sgpr_workgroup_id_z 0
		.amdhsa_system_sgpr_workgroup_info 0
		.amdhsa_system_vgpr_workitem_id 0
		.amdhsa_next_free_vgpr 1
		.amdhsa_next_free_sgpr 1
		.amdhsa_named_barrier_count 0
		.amdhsa_reserve_vcc 0
		.amdhsa_float_round_mode_32 0
		.amdhsa_float_round_mode_16_64 0
		.amdhsa_float_denorm_mode_32 3
		.amdhsa_float_denorm_mode_16_64 3
		.amdhsa_fp16_overflow 0
		.amdhsa_memory_ordered 1
		.amdhsa_forward_progress 1
		.amdhsa_inst_pref_size 0
		.amdhsa_round_robin_scheduling 0
		.amdhsa_exception_fp_ieee_invalid_op 0
		.amdhsa_exception_fp_denorm_src 0
		.amdhsa_exception_fp_ieee_div_zero 0
		.amdhsa_exception_fp_ieee_overflow 0
		.amdhsa_exception_fp_ieee_underflow 0
		.amdhsa_exception_fp_ieee_inexact 0
		.amdhsa_exception_int_div_zero 0
	.end_amdhsa_kernel
	.section	.text._ZN7rocprim17ROCPRIM_400000_NS6detail17trampoline_kernelINS0_13select_configILj256ELj13ELNS0_17block_load_methodE3ELS4_3ELS4_3ELNS0_20block_scan_algorithmE0ELj4294967295EEENS1_25partition_config_selectorILNS1_17partition_subalgoE4EjNS0_10empty_typeEbEEZZNS1_14partition_implILS8_4ELb0ES6_15HIP_vector_typeIjLj2EENS0_17counting_iteratorIjlEEPS9_SG_NS0_5tupleIJPjSI_NS0_16reverse_iteratorISI_EEEEENSH_IJSG_SG_SG_EEES9_SI_JZNS1_25segmented_radix_sort_implINS0_14default_configELb0EPK6__halfPSP_PKlPlN2at6native12_GLOBAL__N_18offset_tEEE10hipError_tPvRmT1_PNSt15iterator_traitsIS13_E10value_typeET2_T3_PNS14_IS19_E10value_typeET4_jRbjT5_S1F_jjP12ihipStream_tbEUljE_ZNSN_ISO_Lb0ESR_SS_SU_SV_SZ_EES10_S11_S12_S13_S17_S18_S19_S1C_S1D_jS1E_jS1F_S1F_jjS1H_bEUljE0_EEES10_S11_S12_S19_S1D_S1F_T6_T7_T9_mT8_S1H_bDpT10_ENKUlT_T0_E_clISt17integral_constantIbLb0EES1U_IbLb1EEEEDaS1Q_S1R_EUlS1Q_E_NS1_11comp_targetILNS1_3genE9ELNS1_11target_archE1100ELNS1_3gpuE3ELNS1_3repE0EEENS1_30default_config_static_selectorELNS0_4arch9wavefront6targetE0EEEvS13_,"axG",@progbits,_ZN7rocprim17ROCPRIM_400000_NS6detail17trampoline_kernelINS0_13select_configILj256ELj13ELNS0_17block_load_methodE3ELS4_3ELS4_3ELNS0_20block_scan_algorithmE0ELj4294967295EEENS1_25partition_config_selectorILNS1_17partition_subalgoE4EjNS0_10empty_typeEbEEZZNS1_14partition_implILS8_4ELb0ES6_15HIP_vector_typeIjLj2EENS0_17counting_iteratorIjlEEPS9_SG_NS0_5tupleIJPjSI_NS0_16reverse_iteratorISI_EEEEENSH_IJSG_SG_SG_EEES9_SI_JZNS1_25segmented_radix_sort_implINS0_14default_configELb0EPK6__halfPSP_PKlPlN2at6native12_GLOBAL__N_18offset_tEEE10hipError_tPvRmT1_PNSt15iterator_traitsIS13_E10value_typeET2_T3_PNS14_IS19_E10value_typeET4_jRbjT5_S1F_jjP12ihipStream_tbEUljE_ZNSN_ISO_Lb0ESR_SS_SU_SV_SZ_EES10_S11_S12_S13_S17_S18_S19_S1C_S1D_jS1E_jS1F_S1F_jjS1H_bEUljE0_EEES10_S11_S12_S19_S1D_S1F_T6_T7_T9_mT8_S1H_bDpT10_ENKUlT_T0_E_clISt17integral_constantIbLb0EES1U_IbLb1EEEEDaS1Q_S1R_EUlS1Q_E_NS1_11comp_targetILNS1_3genE9ELNS1_11target_archE1100ELNS1_3gpuE3ELNS1_3repE0EEENS1_30default_config_static_selectorELNS0_4arch9wavefront6targetE0EEEvS13_,comdat
.Lfunc_end1798:
	.size	_ZN7rocprim17ROCPRIM_400000_NS6detail17trampoline_kernelINS0_13select_configILj256ELj13ELNS0_17block_load_methodE3ELS4_3ELS4_3ELNS0_20block_scan_algorithmE0ELj4294967295EEENS1_25partition_config_selectorILNS1_17partition_subalgoE4EjNS0_10empty_typeEbEEZZNS1_14partition_implILS8_4ELb0ES6_15HIP_vector_typeIjLj2EENS0_17counting_iteratorIjlEEPS9_SG_NS0_5tupleIJPjSI_NS0_16reverse_iteratorISI_EEEEENSH_IJSG_SG_SG_EEES9_SI_JZNS1_25segmented_radix_sort_implINS0_14default_configELb0EPK6__halfPSP_PKlPlN2at6native12_GLOBAL__N_18offset_tEEE10hipError_tPvRmT1_PNSt15iterator_traitsIS13_E10value_typeET2_T3_PNS14_IS19_E10value_typeET4_jRbjT5_S1F_jjP12ihipStream_tbEUljE_ZNSN_ISO_Lb0ESR_SS_SU_SV_SZ_EES10_S11_S12_S13_S17_S18_S19_S1C_S1D_jS1E_jS1F_S1F_jjS1H_bEUljE0_EEES10_S11_S12_S19_S1D_S1F_T6_T7_T9_mT8_S1H_bDpT10_ENKUlT_T0_E_clISt17integral_constantIbLb0EES1U_IbLb1EEEEDaS1Q_S1R_EUlS1Q_E_NS1_11comp_targetILNS1_3genE9ELNS1_11target_archE1100ELNS1_3gpuE3ELNS1_3repE0EEENS1_30default_config_static_selectorELNS0_4arch9wavefront6targetE0EEEvS13_, .Lfunc_end1798-_ZN7rocprim17ROCPRIM_400000_NS6detail17trampoline_kernelINS0_13select_configILj256ELj13ELNS0_17block_load_methodE3ELS4_3ELS4_3ELNS0_20block_scan_algorithmE0ELj4294967295EEENS1_25partition_config_selectorILNS1_17partition_subalgoE4EjNS0_10empty_typeEbEEZZNS1_14partition_implILS8_4ELb0ES6_15HIP_vector_typeIjLj2EENS0_17counting_iteratorIjlEEPS9_SG_NS0_5tupleIJPjSI_NS0_16reverse_iteratorISI_EEEEENSH_IJSG_SG_SG_EEES9_SI_JZNS1_25segmented_radix_sort_implINS0_14default_configELb0EPK6__halfPSP_PKlPlN2at6native12_GLOBAL__N_18offset_tEEE10hipError_tPvRmT1_PNSt15iterator_traitsIS13_E10value_typeET2_T3_PNS14_IS19_E10value_typeET4_jRbjT5_S1F_jjP12ihipStream_tbEUljE_ZNSN_ISO_Lb0ESR_SS_SU_SV_SZ_EES10_S11_S12_S13_S17_S18_S19_S1C_S1D_jS1E_jS1F_S1F_jjS1H_bEUljE0_EEES10_S11_S12_S19_S1D_S1F_T6_T7_T9_mT8_S1H_bDpT10_ENKUlT_T0_E_clISt17integral_constantIbLb0EES1U_IbLb1EEEEDaS1Q_S1R_EUlS1Q_E_NS1_11comp_targetILNS1_3genE9ELNS1_11target_archE1100ELNS1_3gpuE3ELNS1_3repE0EEENS1_30default_config_static_selectorELNS0_4arch9wavefront6targetE0EEEvS13_
                                        ; -- End function
	.set _ZN7rocprim17ROCPRIM_400000_NS6detail17trampoline_kernelINS0_13select_configILj256ELj13ELNS0_17block_load_methodE3ELS4_3ELS4_3ELNS0_20block_scan_algorithmE0ELj4294967295EEENS1_25partition_config_selectorILNS1_17partition_subalgoE4EjNS0_10empty_typeEbEEZZNS1_14partition_implILS8_4ELb0ES6_15HIP_vector_typeIjLj2EENS0_17counting_iteratorIjlEEPS9_SG_NS0_5tupleIJPjSI_NS0_16reverse_iteratorISI_EEEEENSH_IJSG_SG_SG_EEES9_SI_JZNS1_25segmented_radix_sort_implINS0_14default_configELb0EPK6__halfPSP_PKlPlN2at6native12_GLOBAL__N_18offset_tEEE10hipError_tPvRmT1_PNSt15iterator_traitsIS13_E10value_typeET2_T3_PNS14_IS19_E10value_typeET4_jRbjT5_S1F_jjP12ihipStream_tbEUljE_ZNSN_ISO_Lb0ESR_SS_SU_SV_SZ_EES10_S11_S12_S13_S17_S18_S19_S1C_S1D_jS1E_jS1F_S1F_jjS1H_bEUljE0_EEES10_S11_S12_S19_S1D_S1F_T6_T7_T9_mT8_S1H_bDpT10_ENKUlT_T0_E_clISt17integral_constantIbLb0EES1U_IbLb1EEEEDaS1Q_S1R_EUlS1Q_E_NS1_11comp_targetILNS1_3genE9ELNS1_11target_archE1100ELNS1_3gpuE3ELNS1_3repE0EEENS1_30default_config_static_selectorELNS0_4arch9wavefront6targetE0EEEvS13_.num_vgpr, 0
	.set _ZN7rocprim17ROCPRIM_400000_NS6detail17trampoline_kernelINS0_13select_configILj256ELj13ELNS0_17block_load_methodE3ELS4_3ELS4_3ELNS0_20block_scan_algorithmE0ELj4294967295EEENS1_25partition_config_selectorILNS1_17partition_subalgoE4EjNS0_10empty_typeEbEEZZNS1_14partition_implILS8_4ELb0ES6_15HIP_vector_typeIjLj2EENS0_17counting_iteratorIjlEEPS9_SG_NS0_5tupleIJPjSI_NS0_16reverse_iteratorISI_EEEEENSH_IJSG_SG_SG_EEES9_SI_JZNS1_25segmented_radix_sort_implINS0_14default_configELb0EPK6__halfPSP_PKlPlN2at6native12_GLOBAL__N_18offset_tEEE10hipError_tPvRmT1_PNSt15iterator_traitsIS13_E10value_typeET2_T3_PNS14_IS19_E10value_typeET4_jRbjT5_S1F_jjP12ihipStream_tbEUljE_ZNSN_ISO_Lb0ESR_SS_SU_SV_SZ_EES10_S11_S12_S13_S17_S18_S19_S1C_S1D_jS1E_jS1F_S1F_jjS1H_bEUljE0_EEES10_S11_S12_S19_S1D_S1F_T6_T7_T9_mT8_S1H_bDpT10_ENKUlT_T0_E_clISt17integral_constantIbLb0EES1U_IbLb1EEEEDaS1Q_S1R_EUlS1Q_E_NS1_11comp_targetILNS1_3genE9ELNS1_11target_archE1100ELNS1_3gpuE3ELNS1_3repE0EEENS1_30default_config_static_selectorELNS0_4arch9wavefront6targetE0EEEvS13_.num_agpr, 0
	.set _ZN7rocprim17ROCPRIM_400000_NS6detail17trampoline_kernelINS0_13select_configILj256ELj13ELNS0_17block_load_methodE3ELS4_3ELS4_3ELNS0_20block_scan_algorithmE0ELj4294967295EEENS1_25partition_config_selectorILNS1_17partition_subalgoE4EjNS0_10empty_typeEbEEZZNS1_14partition_implILS8_4ELb0ES6_15HIP_vector_typeIjLj2EENS0_17counting_iteratorIjlEEPS9_SG_NS0_5tupleIJPjSI_NS0_16reverse_iteratorISI_EEEEENSH_IJSG_SG_SG_EEES9_SI_JZNS1_25segmented_radix_sort_implINS0_14default_configELb0EPK6__halfPSP_PKlPlN2at6native12_GLOBAL__N_18offset_tEEE10hipError_tPvRmT1_PNSt15iterator_traitsIS13_E10value_typeET2_T3_PNS14_IS19_E10value_typeET4_jRbjT5_S1F_jjP12ihipStream_tbEUljE_ZNSN_ISO_Lb0ESR_SS_SU_SV_SZ_EES10_S11_S12_S13_S17_S18_S19_S1C_S1D_jS1E_jS1F_S1F_jjS1H_bEUljE0_EEES10_S11_S12_S19_S1D_S1F_T6_T7_T9_mT8_S1H_bDpT10_ENKUlT_T0_E_clISt17integral_constantIbLb0EES1U_IbLb1EEEEDaS1Q_S1R_EUlS1Q_E_NS1_11comp_targetILNS1_3genE9ELNS1_11target_archE1100ELNS1_3gpuE3ELNS1_3repE0EEENS1_30default_config_static_selectorELNS0_4arch9wavefront6targetE0EEEvS13_.numbered_sgpr, 0
	.set _ZN7rocprim17ROCPRIM_400000_NS6detail17trampoline_kernelINS0_13select_configILj256ELj13ELNS0_17block_load_methodE3ELS4_3ELS4_3ELNS0_20block_scan_algorithmE0ELj4294967295EEENS1_25partition_config_selectorILNS1_17partition_subalgoE4EjNS0_10empty_typeEbEEZZNS1_14partition_implILS8_4ELb0ES6_15HIP_vector_typeIjLj2EENS0_17counting_iteratorIjlEEPS9_SG_NS0_5tupleIJPjSI_NS0_16reverse_iteratorISI_EEEEENSH_IJSG_SG_SG_EEES9_SI_JZNS1_25segmented_radix_sort_implINS0_14default_configELb0EPK6__halfPSP_PKlPlN2at6native12_GLOBAL__N_18offset_tEEE10hipError_tPvRmT1_PNSt15iterator_traitsIS13_E10value_typeET2_T3_PNS14_IS19_E10value_typeET4_jRbjT5_S1F_jjP12ihipStream_tbEUljE_ZNSN_ISO_Lb0ESR_SS_SU_SV_SZ_EES10_S11_S12_S13_S17_S18_S19_S1C_S1D_jS1E_jS1F_S1F_jjS1H_bEUljE0_EEES10_S11_S12_S19_S1D_S1F_T6_T7_T9_mT8_S1H_bDpT10_ENKUlT_T0_E_clISt17integral_constantIbLb0EES1U_IbLb1EEEEDaS1Q_S1R_EUlS1Q_E_NS1_11comp_targetILNS1_3genE9ELNS1_11target_archE1100ELNS1_3gpuE3ELNS1_3repE0EEENS1_30default_config_static_selectorELNS0_4arch9wavefront6targetE0EEEvS13_.num_named_barrier, 0
	.set _ZN7rocprim17ROCPRIM_400000_NS6detail17trampoline_kernelINS0_13select_configILj256ELj13ELNS0_17block_load_methodE3ELS4_3ELS4_3ELNS0_20block_scan_algorithmE0ELj4294967295EEENS1_25partition_config_selectorILNS1_17partition_subalgoE4EjNS0_10empty_typeEbEEZZNS1_14partition_implILS8_4ELb0ES6_15HIP_vector_typeIjLj2EENS0_17counting_iteratorIjlEEPS9_SG_NS0_5tupleIJPjSI_NS0_16reverse_iteratorISI_EEEEENSH_IJSG_SG_SG_EEES9_SI_JZNS1_25segmented_radix_sort_implINS0_14default_configELb0EPK6__halfPSP_PKlPlN2at6native12_GLOBAL__N_18offset_tEEE10hipError_tPvRmT1_PNSt15iterator_traitsIS13_E10value_typeET2_T3_PNS14_IS19_E10value_typeET4_jRbjT5_S1F_jjP12ihipStream_tbEUljE_ZNSN_ISO_Lb0ESR_SS_SU_SV_SZ_EES10_S11_S12_S13_S17_S18_S19_S1C_S1D_jS1E_jS1F_S1F_jjS1H_bEUljE0_EEES10_S11_S12_S19_S1D_S1F_T6_T7_T9_mT8_S1H_bDpT10_ENKUlT_T0_E_clISt17integral_constantIbLb0EES1U_IbLb1EEEEDaS1Q_S1R_EUlS1Q_E_NS1_11comp_targetILNS1_3genE9ELNS1_11target_archE1100ELNS1_3gpuE3ELNS1_3repE0EEENS1_30default_config_static_selectorELNS0_4arch9wavefront6targetE0EEEvS13_.private_seg_size, 0
	.set _ZN7rocprim17ROCPRIM_400000_NS6detail17trampoline_kernelINS0_13select_configILj256ELj13ELNS0_17block_load_methodE3ELS4_3ELS4_3ELNS0_20block_scan_algorithmE0ELj4294967295EEENS1_25partition_config_selectorILNS1_17partition_subalgoE4EjNS0_10empty_typeEbEEZZNS1_14partition_implILS8_4ELb0ES6_15HIP_vector_typeIjLj2EENS0_17counting_iteratorIjlEEPS9_SG_NS0_5tupleIJPjSI_NS0_16reverse_iteratorISI_EEEEENSH_IJSG_SG_SG_EEES9_SI_JZNS1_25segmented_radix_sort_implINS0_14default_configELb0EPK6__halfPSP_PKlPlN2at6native12_GLOBAL__N_18offset_tEEE10hipError_tPvRmT1_PNSt15iterator_traitsIS13_E10value_typeET2_T3_PNS14_IS19_E10value_typeET4_jRbjT5_S1F_jjP12ihipStream_tbEUljE_ZNSN_ISO_Lb0ESR_SS_SU_SV_SZ_EES10_S11_S12_S13_S17_S18_S19_S1C_S1D_jS1E_jS1F_S1F_jjS1H_bEUljE0_EEES10_S11_S12_S19_S1D_S1F_T6_T7_T9_mT8_S1H_bDpT10_ENKUlT_T0_E_clISt17integral_constantIbLb0EES1U_IbLb1EEEEDaS1Q_S1R_EUlS1Q_E_NS1_11comp_targetILNS1_3genE9ELNS1_11target_archE1100ELNS1_3gpuE3ELNS1_3repE0EEENS1_30default_config_static_selectorELNS0_4arch9wavefront6targetE0EEEvS13_.uses_vcc, 0
	.set _ZN7rocprim17ROCPRIM_400000_NS6detail17trampoline_kernelINS0_13select_configILj256ELj13ELNS0_17block_load_methodE3ELS4_3ELS4_3ELNS0_20block_scan_algorithmE0ELj4294967295EEENS1_25partition_config_selectorILNS1_17partition_subalgoE4EjNS0_10empty_typeEbEEZZNS1_14partition_implILS8_4ELb0ES6_15HIP_vector_typeIjLj2EENS0_17counting_iteratorIjlEEPS9_SG_NS0_5tupleIJPjSI_NS0_16reverse_iteratorISI_EEEEENSH_IJSG_SG_SG_EEES9_SI_JZNS1_25segmented_radix_sort_implINS0_14default_configELb0EPK6__halfPSP_PKlPlN2at6native12_GLOBAL__N_18offset_tEEE10hipError_tPvRmT1_PNSt15iterator_traitsIS13_E10value_typeET2_T3_PNS14_IS19_E10value_typeET4_jRbjT5_S1F_jjP12ihipStream_tbEUljE_ZNSN_ISO_Lb0ESR_SS_SU_SV_SZ_EES10_S11_S12_S13_S17_S18_S19_S1C_S1D_jS1E_jS1F_S1F_jjS1H_bEUljE0_EEES10_S11_S12_S19_S1D_S1F_T6_T7_T9_mT8_S1H_bDpT10_ENKUlT_T0_E_clISt17integral_constantIbLb0EES1U_IbLb1EEEEDaS1Q_S1R_EUlS1Q_E_NS1_11comp_targetILNS1_3genE9ELNS1_11target_archE1100ELNS1_3gpuE3ELNS1_3repE0EEENS1_30default_config_static_selectorELNS0_4arch9wavefront6targetE0EEEvS13_.uses_flat_scratch, 0
	.set _ZN7rocprim17ROCPRIM_400000_NS6detail17trampoline_kernelINS0_13select_configILj256ELj13ELNS0_17block_load_methodE3ELS4_3ELS4_3ELNS0_20block_scan_algorithmE0ELj4294967295EEENS1_25partition_config_selectorILNS1_17partition_subalgoE4EjNS0_10empty_typeEbEEZZNS1_14partition_implILS8_4ELb0ES6_15HIP_vector_typeIjLj2EENS0_17counting_iteratorIjlEEPS9_SG_NS0_5tupleIJPjSI_NS0_16reverse_iteratorISI_EEEEENSH_IJSG_SG_SG_EEES9_SI_JZNS1_25segmented_radix_sort_implINS0_14default_configELb0EPK6__halfPSP_PKlPlN2at6native12_GLOBAL__N_18offset_tEEE10hipError_tPvRmT1_PNSt15iterator_traitsIS13_E10value_typeET2_T3_PNS14_IS19_E10value_typeET4_jRbjT5_S1F_jjP12ihipStream_tbEUljE_ZNSN_ISO_Lb0ESR_SS_SU_SV_SZ_EES10_S11_S12_S13_S17_S18_S19_S1C_S1D_jS1E_jS1F_S1F_jjS1H_bEUljE0_EEES10_S11_S12_S19_S1D_S1F_T6_T7_T9_mT8_S1H_bDpT10_ENKUlT_T0_E_clISt17integral_constantIbLb0EES1U_IbLb1EEEEDaS1Q_S1R_EUlS1Q_E_NS1_11comp_targetILNS1_3genE9ELNS1_11target_archE1100ELNS1_3gpuE3ELNS1_3repE0EEENS1_30default_config_static_selectorELNS0_4arch9wavefront6targetE0EEEvS13_.has_dyn_sized_stack, 0
	.set _ZN7rocprim17ROCPRIM_400000_NS6detail17trampoline_kernelINS0_13select_configILj256ELj13ELNS0_17block_load_methodE3ELS4_3ELS4_3ELNS0_20block_scan_algorithmE0ELj4294967295EEENS1_25partition_config_selectorILNS1_17partition_subalgoE4EjNS0_10empty_typeEbEEZZNS1_14partition_implILS8_4ELb0ES6_15HIP_vector_typeIjLj2EENS0_17counting_iteratorIjlEEPS9_SG_NS0_5tupleIJPjSI_NS0_16reverse_iteratorISI_EEEEENSH_IJSG_SG_SG_EEES9_SI_JZNS1_25segmented_radix_sort_implINS0_14default_configELb0EPK6__halfPSP_PKlPlN2at6native12_GLOBAL__N_18offset_tEEE10hipError_tPvRmT1_PNSt15iterator_traitsIS13_E10value_typeET2_T3_PNS14_IS19_E10value_typeET4_jRbjT5_S1F_jjP12ihipStream_tbEUljE_ZNSN_ISO_Lb0ESR_SS_SU_SV_SZ_EES10_S11_S12_S13_S17_S18_S19_S1C_S1D_jS1E_jS1F_S1F_jjS1H_bEUljE0_EEES10_S11_S12_S19_S1D_S1F_T6_T7_T9_mT8_S1H_bDpT10_ENKUlT_T0_E_clISt17integral_constantIbLb0EES1U_IbLb1EEEEDaS1Q_S1R_EUlS1Q_E_NS1_11comp_targetILNS1_3genE9ELNS1_11target_archE1100ELNS1_3gpuE3ELNS1_3repE0EEENS1_30default_config_static_selectorELNS0_4arch9wavefront6targetE0EEEvS13_.has_recursion, 0
	.set _ZN7rocprim17ROCPRIM_400000_NS6detail17trampoline_kernelINS0_13select_configILj256ELj13ELNS0_17block_load_methodE3ELS4_3ELS4_3ELNS0_20block_scan_algorithmE0ELj4294967295EEENS1_25partition_config_selectorILNS1_17partition_subalgoE4EjNS0_10empty_typeEbEEZZNS1_14partition_implILS8_4ELb0ES6_15HIP_vector_typeIjLj2EENS0_17counting_iteratorIjlEEPS9_SG_NS0_5tupleIJPjSI_NS0_16reverse_iteratorISI_EEEEENSH_IJSG_SG_SG_EEES9_SI_JZNS1_25segmented_radix_sort_implINS0_14default_configELb0EPK6__halfPSP_PKlPlN2at6native12_GLOBAL__N_18offset_tEEE10hipError_tPvRmT1_PNSt15iterator_traitsIS13_E10value_typeET2_T3_PNS14_IS19_E10value_typeET4_jRbjT5_S1F_jjP12ihipStream_tbEUljE_ZNSN_ISO_Lb0ESR_SS_SU_SV_SZ_EES10_S11_S12_S13_S17_S18_S19_S1C_S1D_jS1E_jS1F_S1F_jjS1H_bEUljE0_EEES10_S11_S12_S19_S1D_S1F_T6_T7_T9_mT8_S1H_bDpT10_ENKUlT_T0_E_clISt17integral_constantIbLb0EES1U_IbLb1EEEEDaS1Q_S1R_EUlS1Q_E_NS1_11comp_targetILNS1_3genE9ELNS1_11target_archE1100ELNS1_3gpuE3ELNS1_3repE0EEENS1_30default_config_static_selectorELNS0_4arch9wavefront6targetE0EEEvS13_.has_indirect_call, 0
	.section	.AMDGPU.csdata,"",@progbits
; Kernel info:
; codeLenInByte = 0
; TotalNumSgprs: 0
; NumVgprs: 0
; ScratchSize: 0
; MemoryBound: 0
; FloatMode: 240
; IeeeMode: 1
; LDSByteSize: 0 bytes/workgroup (compile time only)
; SGPRBlocks: 0
; VGPRBlocks: 0
; NumSGPRsForWavesPerEU: 1
; NumVGPRsForWavesPerEU: 1
; NamedBarCnt: 0
; Occupancy: 16
; WaveLimiterHint : 0
; COMPUTE_PGM_RSRC2:SCRATCH_EN: 0
; COMPUTE_PGM_RSRC2:USER_SGPR: 2
; COMPUTE_PGM_RSRC2:TRAP_HANDLER: 0
; COMPUTE_PGM_RSRC2:TGID_X_EN: 1
; COMPUTE_PGM_RSRC2:TGID_Y_EN: 0
; COMPUTE_PGM_RSRC2:TGID_Z_EN: 0
; COMPUTE_PGM_RSRC2:TIDIG_COMP_CNT: 0
	.section	.text._ZN7rocprim17ROCPRIM_400000_NS6detail17trampoline_kernelINS0_13select_configILj256ELj13ELNS0_17block_load_methodE3ELS4_3ELS4_3ELNS0_20block_scan_algorithmE0ELj4294967295EEENS1_25partition_config_selectorILNS1_17partition_subalgoE4EjNS0_10empty_typeEbEEZZNS1_14partition_implILS8_4ELb0ES6_15HIP_vector_typeIjLj2EENS0_17counting_iteratorIjlEEPS9_SG_NS0_5tupleIJPjSI_NS0_16reverse_iteratorISI_EEEEENSH_IJSG_SG_SG_EEES9_SI_JZNS1_25segmented_radix_sort_implINS0_14default_configELb0EPK6__halfPSP_PKlPlN2at6native12_GLOBAL__N_18offset_tEEE10hipError_tPvRmT1_PNSt15iterator_traitsIS13_E10value_typeET2_T3_PNS14_IS19_E10value_typeET4_jRbjT5_S1F_jjP12ihipStream_tbEUljE_ZNSN_ISO_Lb0ESR_SS_SU_SV_SZ_EES10_S11_S12_S13_S17_S18_S19_S1C_S1D_jS1E_jS1F_S1F_jjS1H_bEUljE0_EEES10_S11_S12_S19_S1D_S1F_T6_T7_T9_mT8_S1H_bDpT10_ENKUlT_T0_E_clISt17integral_constantIbLb0EES1U_IbLb1EEEEDaS1Q_S1R_EUlS1Q_E_NS1_11comp_targetILNS1_3genE8ELNS1_11target_archE1030ELNS1_3gpuE2ELNS1_3repE0EEENS1_30default_config_static_selectorELNS0_4arch9wavefront6targetE0EEEvS13_,"axG",@progbits,_ZN7rocprim17ROCPRIM_400000_NS6detail17trampoline_kernelINS0_13select_configILj256ELj13ELNS0_17block_load_methodE3ELS4_3ELS4_3ELNS0_20block_scan_algorithmE0ELj4294967295EEENS1_25partition_config_selectorILNS1_17partition_subalgoE4EjNS0_10empty_typeEbEEZZNS1_14partition_implILS8_4ELb0ES6_15HIP_vector_typeIjLj2EENS0_17counting_iteratorIjlEEPS9_SG_NS0_5tupleIJPjSI_NS0_16reverse_iteratorISI_EEEEENSH_IJSG_SG_SG_EEES9_SI_JZNS1_25segmented_radix_sort_implINS0_14default_configELb0EPK6__halfPSP_PKlPlN2at6native12_GLOBAL__N_18offset_tEEE10hipError_tPvRmT1_PNSt15iterator_traitsIS13_E10value_typeET2_T3_PNS14_IS19_E10value_typeET4_jRbjT5_S1F_jjP12ihipStream_tbEUljE_ZNSN_ISO_Lb0ESR_SS_SU_SV_SZ_EES10_S11_S12_S13_S17_S18_S19_S1C_S1D_jS1E_jS1F_S1F_jjS1H_bEUljE0_EEES10_S11_S12_S19_S1D_S1F_T6_T7_T9_mT8_S1H_bDpT10_ENKUlT_T0_E_clISt17integral_constantIbLb0EES1U_IbLb1EEEEDaS1Q_S1R_EUlS1Q_E_NS1_11comp_targetILNS1_3genE8ELNS1_11target_archE1030ELNS1_3gpuE2ELNS1_3repE0EEENS1_30default_config_static_selectorELNS0_4arch9wavefront6targetE0EEEvS13_,comdat
	.globl	_ZN7rocprim17ROCPRIM_400000_NS6detail17trampoline_kernelINS0_13select_configILj256ELj13ELNS0_17block_load_methodE3ELS4_3ELS4_3ELNS0_20block_scan_algorithmE0ELj4294967295EEENS1_25partition_config_selectorILNS1_17partition_subalgoE4EjNS0_10empty_typeEbEEZZNS1_14partition_implILS8_4ELb0ES6_15HIP_vector_typeIjLj2EENS0_17counting_iteratorIjlEEPS9_SG_NS0_5tupleIJPjSI_NS0_16reverse_iteratorISI_EEEEENSH_IJSG_SG_SG_EEES9_SI_JZNS1_25segmented_radix_sort_implINS0_14default_configELb0EPK6__halfPSP_PKlPlN2at6native12_GLOBAL__N_18offset_tEEE10hipError_tPvRmT1_PNSt15iterator_traitsIS13_E10value_typeET2_T3_PNS14_IS19_E10value_typeET4_jRbjT5_S1F_jjP12ihipStream_tbEUljE_ZNSN_ISO_Lb0ESR_SS_SU_SV_SZ_EES10_S11_S12_S13_S17_S18_S19_S1C_S1D_jS1E_jS1F_S1F_jjS1H_bEUljE0_EEES10_S11_S12_S19_S1D_S1F_T6_T7_T9_mT8_S1H_bDpT10_ENKUlT_T0_E_clISt17integral_constantIbLb0EES1U_IbLb1EEEEDaS1Q_S1R_EUlS1Q_E_NS1_11comp_targetILNS1_3genE8ELNS1_11target_archE1030ELNS1_3gpuE2ELNS1_3repE0EEENS1_30default_config_static_selectorELNS0_4arch9wavefront6targetE0EEEvS13_ ; -- Begin function _ZN7rocprim17ROCPRIM_400000_NS6detail17trampoline_kernelINS0_13select_configILj256ELj13ELNS0_17block_load_methodE3ELS4_3ELS4_3ELNS0_20block_scan_algorithmE0ELj4294967295EEENS1_25partition_config_selectorILNS1_17partition_subalgoE4EjNS0_10empty_typeEbEEZZNS1_14partition_implILS8_4ELb0ES6_15HIP_vector_typeIjLj2EENS0_17counting_iteratorIjlEEPS9_SG_NS0_5tupleIJPjSI_NS0_16reverse_iteratorISI_EEEEENSH_IJSG_SG_SG_EEES9_SI_JZNS1_25segmented_radix_sort_implINS0_14default_configELb0EPK6__halfPSP_PKlPlN2at6native12_GLOBAL__N_18offset_tEEE10hipError_tPvRmT1_PNSt15iterator_traitsIS13_E10value_typeET2_T3_PNS14_IS19_E10value_typeET4_jRbjT5_S1F_jjP12ihipStream_tbEUljE_ZNSN_ISO_Lb0ESR_SS_SU_SV_SZ_EES10_S11_S12_S13_S17_S18_S19_S1C_S1D_jS1E_jS1F_S1F_jjS1H_bEUljE0_EEES10_S11_S12_S19_S1D_S1F_T6_T7_T9_mT8_S1H_bDpT10_ENKUlT_T0_E_clISt17integral_constantIbLb0EES1U_IbLb1EEEEDaS1Q_S1R_EUlS1Q_E_NS1_11comp_targetILNS1_3genE8ELNS1_11target_archE1030ELNS1_3gpuE2ELNS1_3repE0EEENS1_30default_config_static_selectorELNS0_4arch9wavefront6targetE0EEEvS13_
	.p2align	8
	.type	_ZN7rocprim17ROCPRIM_400000_NS6detail17trampoline_kernelINS0_13select_configILj256ELj13ELNS0_17block_load_methodE3ELS4_3ELS4_3ELNS0_20block_scan_algorithmE0ELj4294967295EEENS1_25partition_config_selectorILNS1_17partition_subalgoE4EjNS0_10empty_typeEbEEZZNS1_14partition_implILS8_4ELb0ES6_15HIP_vector_typeIjLj2EENS0_17counting_iteratorIjlEEPS9_SG_NS0_5tupleIJPjSI_NS0_16reverse_iteratorISI_EEEEENSH_IJSG_SG_SG_EEES9_SI_JZNS1_25segmented_radix_sort_implINS0_14default_configELb0EPK6__halfPSP_PKlPlN2at6native12_GLOBAL__N_18offset_tEEE10hipError_tPvRmT1_PNSt15iterator_traitsIS13_E10value_typeET2_T3_PNS14_IS19_E10value_typeET4_jRbjT5_S1F_jjP12ihipStream_tbEUljE_ZNSN_ISO_Lb0ESR_SS_SU_SV_SZ_EES10_S11_S12_S13_S17_S18_S19_S1C_S1D_jS1E_jS1F_S1F_jjS1H_bEUljE0_EEES10_S11_S12_S19_S1D_S1F_T6_T7_T9_mT8_S1H_bDpT10_ENKUlT_T0_E_clISt17integral_constantIbLb0EES1U_IbLb1EEEEDaS1Q_S1R_EUlS1Q_E_NS1_11comp_targetILNS1_3genE8ELNS1_11target_archE1030ELNS1_3gpuE2ELNS1_3repE0EEENS1_30default_config_static_selectorELNS0_4arch9wavefront6targetE0EEEvS13_,@function
_ZN7rocprim17ROCPRIM_400000_NS6detail17trampoline_kernelINS0_13select_configILj256ELj13ELNS0_17block_load_methodE3ELS4_3ELS4_3ELNS0_20block_scan_algorithmE0ELj4294967295EEENS1_25partition_config_selectorILNS1_17partition_subalgoE4EjNS0_10empty_typeEbEEZZNS1_14partition_implILS8_4ELb0ES6_15HIP_vector_typeIjLj2EENS0_17counting_iteratorIjlEEPS9_SG_NS0_5tupleIJPjSI_NS0_16reverse_iteratorISI_EEEEENSH_IJSG_SG_SG_EEES9_SI_JZNS1_25segmented_radix_sort_implINS0_14default_configELb0EPK6__halfPSP_PKlPlN2at6native12_GLOBAL__N_18offset_tEEE10hipError_tPvRmT1_PNSt15iterator_traitsIS13_E10value_typeET2_T3_PNS14_IS19_E10value_typeET4_jRbjT5_S1F_jjP12ihipStream_tbEUljE_ZNSN_ISO_Lb0ESR_SS_SU_SV_SZ_EES10_S11_S12_S13_S17_S18_S19_S1C_S1D_jS1E_jS1F_S1F_jjS1H_bEUljE0_EEES10_S11_S12_S19_S1D_S1F_T6_T7_T9_mT8_S1H_bDpT10_ENKUlT_T0_E_clISt17integral_constantIbLb0EES1U_IbLb1EEEEDaS1Q_S1R_EUlS1Q_E_NS1_11comp_targetILNS1_3genE8ELNS1_11target_archE1030ELNS1_3gpuE2ELNS1_3repE0EEENS1_30default_config_static_selectorELNS0_4arch9wavefront6targetE0EEEvS13_: ; @_ZN7rocprim17ROCPRIM_400000_NS6detail17trampoline_kernelINS0_13select_configILj256ELj13ELNS0_17block_load_methodE3ELS4_3ELS4_3ELNS0_20block_scan_algorithmE0ELj4294967295EEENS1_25partition_config_selectorILNS1_17partition_subalgoE4EjNS0_10empty_typeEbEEZZNS1_14partition_implILS8_4ELb0ES6_15HIP_vector_typeIjLj2EENS0_17counting_iteratorIjlEEPS9_SG_NS0_5tupleIJPjSI_NS0_16reverse_iteratorISI_EEEEENSH_IJSG_SG_SG_EEES9_SI_JZNS1_25segmented_radix_sort_implINS0_14default_configELb0EPK6__halfPSP_PKlPlN2at6native12_GLOBAL__N_18offset_tEEE10hipError_tPvRmT1_PNSt15iterator_traitsIS13_E10value_typeET2_T3_PNS14_IS19_E10value_typeET4_jRbjT5_S1F_jjP12ihipStream_tbEUljE_ZNSN_ISO_Lb0ESR_SS_SU_SV_SZ_EES10_S11_S12_S13_S17_S18_S19_S1C_S1D_jS1E_jS1F_S1F_jjS1H_bEUljE0_EEES10_S11_S12_S19_S1D_S1F_T6_T7_T9_mT8_S1H_bDpT10_ENKUlT_T0_E_clISt17integral_constantIbLb0EES1U_IbLb1EEEEDaS1Q_S1R_EUlS1Q_E_NS1_11comp_targetILNS1_3genE8ELNS1_11target_archE1030ELNS1_3gpuE2ELNS1_3repE0EEENS1_30default_config_static_selectorELNS0_4arch9wavefront6targetE0EEEvS13_
; %bb.0:
	.section	.rodata,"a",@progbits
	.p2align	6, 0x0
	.amdhsa_kernel _ZN7rocprim17ROCPRIM_400000_NS6detail17trampoline_kernelINS0_13select_configILj256ELj13ELNS0_17block_load_methodE3ELS4_3ELS4_3ELNS0_20block_scan_algorithmE0ELj4294967295EEENS1_25partition_config_selectorILNS1_17partition_subalgoE4EjNS0_10empty_typeEbEEZZNS1_14partition_implILS8_4ELb0ES6_15HIP_vector_typeIjLj2EENS0_17counting_iteratorIjlEEPS9_SG_NS0_5tupleIJPjSI_NS0_16reverse_iteratorISI_EEEEENSH_IJSG_SG_SG_EEES9_SI_JZNS1_25segmented_radix_sort_implINS0_14default_configELb0EPK6__halfPSP_PKlPlN2at6native12_GLOBAL__N_18offset_tEEE10hipError_tPvRmT1_PNSt15iterator_traitsIS13_E10value_typeET2_T3_PNS14_IS19_E10value_typeET4_jRbjT5_S1F_jjP12ihipStream_tbEUljE_ZNSN_ISO_Lb0ESR_SS_SU_SV_SZ_EES10_S11_S12_S13_S17_S18_S19_S1C_S1D_jS1E_jS1F_S1F_jjS1H_bEUljE0_EEES10_S11_S12_S19_S1D_S1F_T6_T7_T9_mT8_S1H_bDpT10_ENKUlT_T0_E_clISt17integral_constantIbLb0EES1U_IbLb1EEEEDaS1Q_S1R_EUlS1Q_E_NS1_11comp_targetILNS1_3genE8ELNS1_11target_archE1030ELNS1_3gpuE2ELNS1_3repE0EEENS1_30default_config_static_selectorELNS0_4arch9wavefront6targetE0EEEvS13_
		.amdhsa_group_segment_fixed_size 0
		.amdhsa_private_segment_fixed_size 0
		.amdhsa_kernarg_size 184
		.amdhsa_user_sgpr_count 2
		.amdhsa_user_sgpr_dispatch_ptr 0
		.amdhsa_user_sgpr_queue_ptr 0
		.amdhsa_user_sgpr_kernarg_segment_ptr 1
		.amdhsa_user_sgpr_dispatch_id 0
		.amdhsa_user_sgpr_kernarg_preload_length 0
		.amdhsa_user_sgpr_kernarg_preload_offset 0
		.amdhsa_user_sgpr_private_segment_size 0
		.amdhsa_wavefront_size32 1
		.amdhsa_uses_dynamic_stack 0
		.amdhsa_enable_private_segment 0
		.amdhsa_system_sgpr_workgroup_id_x 1
		.amdhsa_system_sgpr_workgroup_id_y 0
		.amdhsa_system_sgpr_workgroup_id_z 0
		.amdhsa_system_sgpr_workgroup_info 0
		.amdhsa_system_vgpr_workitem_id 0
		.amdhsa_next_free_vgpr 1
		.amdhsa_next_free_sgpr 1
		.amdhsa_named_barrier_count 0
		.amdhsa_reserve_vcc 0
		.amdhsa_float_round_mode_32 0
		.amdhsa_float_round_mode_16_64 0
		.amdhsa_float_denorm_mode_32 3
		.amdhsa_float_denorm_mode_16_64 3
		.amdhsa_fp16_overflow 0
		.amdhsa_memory_ordered 1
		.amdhsa_forward_progress 1
		.amdhsa_inst_pref_size 0
		.amdhsa_round_robin_scheduling 0
		.amdhsa_exception_fp_ieee_invalid_op 0
		.amdhsa_exception_fp_denorm_src 0
		.amdhsa_exception_fp_ieee_div_zero 0
		.amdhsa_exception_fp_ieee_overflow 0
		.amdhsa_exception_fp_ieee_underflow 0
		.amdhsa_exception_fp_ieee_inexact 0
		.amdhsa_exception_int_div_zero 0
	.end_amdhsa_kernel
	.section	.text._ZN7rocprim17ROCPRIM_400000_NS6detail17trampoline_kernelINS0_13select_configILj256ELj13ELNS0_17block_load_methodE3ELS4_3ELS4_3ELNS0_20block_scan_algorithmE0ELj4294967295EEENS1_25partition_config_selectorILNS1_17partition_subalgoE4EjNS0_10empty_typeEbEEZZNS1_14partition_implILS8_4ELb0ES6_15HIP_vector_typeIjLj2EENS0_17counting_iteratorIjlEEPS9_SG_NS0_5tupleIJPjSI_NS0_16reverse_iteratorISI_EEEEENSH_IJSG_SG_SG_EEES9_SI_JZNS1_25segmented_radix_sort_implINS0_14default_configELb0EPK6__halfPSP_PKlPlN2at6native12_GLOBAL__N_18offset_tEEE10hipError_tPvRmT1_PNSt15iterator_traitsIS13_E10value_typeET2_T3_PNS14_IS19_E10value_typeET4_jRbjT5_S1F_jjP12ihipStream_tbEUljE_ZNSN_ISO_Lb0ESR_SS_SU_SV_SZ_EES10_S11_S12_S13_S17_S18_S19_S1C_S1D_jS1E_jS1F_S1F_jjS1H_bEUljE0_EEES10_S11_S12_S19_S1D_S1F_T6_T7_T9_mT8_S1H_bDpT10_ENKUlT_T0_E_clISt17integral_constantIbLb0EES1U_IbLb1EEEEDaS1Q_S1R_EUlS1Q_E_NS1_11comp_targetILNS1_3genE8ELNS1_11target_archE1030ELNS1_3gpuE2ELNS1_3repE0EEENS1_30default_config_static_selectorELNS0_4arch9wavefront6targetE0EEEvS13_,"axG",@progbits,_ZN7rocprim17ROCPRIM_400000_NS6detail17trampoline_kernelINS0_13select_configILj256ELj13ELNS0_17block_load_methodE3ELS4_3ELS4_3ELNS0_20block_scan_algorithmE0ELj4294967295EEENS1_25partition_config_selectorILNS1_17partition_subalgoE4EjNS0_10empty_typeEbEEZZNS1_14partition_implILS8_4ELb0ES6_15HIP_vector_typeIjLj2EENS0_17counting_iteratorIjlEEPS9_SG_NS0_5tupleIJPjSI_NS0_16reverse_iteratorISI_EEEEENSH_IJSG_SG_SG_EEES9_SI_JZNS1_25segmented_radix_sort_implINS0_14default_configELb0EPK6__halfPSP_PKlPlN2at6native12_GLOBAL__N_18offset_tEEE10hipError_tPvRmT1_PNSt15iterator_traitsIS13_E10value_typeET2_T3_PNS14_IS19_E10value_typeET4_jRbjT5_S1F_jjP12ihipStream_tbEUljE_ZNSN_ISO_Lb0ESR_SS_SU_SV_SZ_EES10_S11_S12_S13_S17_S18_S19_S1C_S1D_jS1E_jS1F_S1F_jjS1H_bEUljE0_EEES10_S11_S12_S19_S1D_S1F_T6_T7_T9_mT8_S1H_bDpT10_ENKUlT_T0_E_clISt17integral_constantIbLb0EES1U_IbLb1EEEEDaS1Q_S1R_EUlS1Q_E_NS1_11comp_targetILNS1_3genE8ELNS1_11target_archE1030ELNS1_3gpuE2ELNS1_3repE0EEENS1_30default_config_static_selectorELNS0_4arch9wavefront6targetE0EEEvS13_,comdat
.Lfunc_end1799:
	.size	_ZN7rocprim17ROCPRIM_400000_NS6detail17trampoline_kernelINS0_13select_configILj256ELj13ELNS0_17block_load_methodE3ELS4_3ELS4_3ELNS0_20block_scan_algorithmE0ELj4294967295EEENS1_25partition_config_selectorILNS1_17partition_subalgoE4EjNS0_10empty_typeEbEEZZNS1_14partition_implILS8_4ELb0ES6_15HIP_vector_typeIjLj2EENS0_17counting_iteratorIjlEEPS9_SG_NS0_5tupleIJPjSI_NS0_16reverse_iteratorISI_EEEEENSH_IJSG_SG_SG_EEES9_SI_JZNS1_25segmented_radix_sort_implINS0_14default_configELb0EPK6__halfPSP_PKlPlN2at6native12_GLOBAL__N_18offset_tEEE10hipError_tPvRmT1_PNSt15iterator_traitsIS13_E10value_typeET2_T3_PNS14_IS19_E10value_typeET4_jRbjT5_S1F_jjP12ihipStream_tbEUljE_ZNSN_ISO_Lb0ESR_SS_SU_SV_SZ_EES10_S11_S12_S13_S17_S18_S19_S1C_S1D_jS1E_jS1F_S1F_jjS1H_bEUljE0_EEES10_S11_S12_S19_S1D_S1F_T6_T7_T9_mT8_S1H_bDpT10_ENKUlT_T0_E_clISt17integral_constantIbLb0EES1U_IbLb1EEEEDaS1Q_S1R_EUlS1Q_E_NS1_11comp_targetILNS1_3genE8ELNS1_11target_archE1030ELNS1_3gpuE2ELNS1_3repE0EEENS1_30default_config_static_selectorELNS0_4arch9wavefront6targetE0EEEvS13_, .Lfunc_end1799-_ZN7rocprim17ROCPRIM_400000_NS6detail17trampoline_kernelINS0_13select_configILj256ELj13ELNS0_17block_load_methodE3ELS4_3ELS4_3ELNS0_20block_scan_algorithmE0ELj4294967295EEENS1_25partition_config_selectorILNS1_17partition_subalgoE4EjNS0_10empty_typeEbEEZZNS1_14partition_implILS8_4ELb0ES6_15HIP_vector_typeIjLj2EENS0_17counting_iteratorIjlEEPS9_SG_NS0_5tupleIJPjSI_NS0_16reverse_iteratorISI_EEEEENSH_IJSG_SG_SG_EEES9_SI_JZNS1_25segmented_radix_sort_implINS0_14default_configELb0EPK6__halfPSP_PKlPlN2at6native12_GLOBAL__N_18offset_tEEE10hipError_tPvRmT1_PNSt15iterator_traitsIS13_E10value_typeET2_T3_PNS14_IS19_E10value_typeET4_jRbjT5_S1F_jjP12ihipStream_tbEUljE_ZNSN_ISO_Lb0ESR_SS_SU_SV_SZ_EES10_S11_S12_S13_S17_S18_S19_S1C_S1D_jS1E_jS1F_S1F_jjS1H_bEUljE0_EEES10_S11_S12_S19_S1D_S1F_T6_T7_T9_mT8_S1H_bDpT10_ENKUlT_T0_E_clISt17integral_constantIbLb0EES1U_IbLb1EEEEDaS1Q_S1R_EUlS1Q_E_NS1_11comp_targetILNS1_3genE8ELNS1_11target_archE1030ELNS1_3gpuE2ELNS1_3repE0EEENS1_30default_config_static_selectorELNS0_4arch9wavefront6targetE0EEEvS13_
                                        ; -- End function
	.set _ZN7rocprim17ROCPRIM_400000_NS6detail17trampoline_kernelINS0_13select_configILj256ELj13ELNS0_17block_load_methodE3ELS4_3ELS4_3ELNS0_20block_scan_algorithmE0ELj4294967295EEENS1_25partition_config_selectorILNS1_17partition_subalgoE4EjNS0_10empty_typeEbEEZZNS1_14partition_implILS8_4ELb0ES6_15HIP_vector_typeIjLj2EENS0_17counting_iteratorIjlEEPS9_SG_NS0_5tupleIJPjSI_NS0_16reverse_iteratorISI_EEEEENSH_IJSG_SG_SG_EEES9_SI_JZNS1_25segmented_radix_sort_implINS0_14default_configELb0EPK6__halfPSP_PKlPlN2at6native12_GLOBAL__N_18offset_tEEE10hipError_tPvRmT1_PNSt15iterator_traitsIS13_E10value_typeET2_T3_PNS14_IS19_E10value_typeET4_jRbjT5_S1F_jjP12ihipStream_tbEUljE_ZNSN_ISO_Lb0ESR_SS_SU_SV_SZ_EES10_S11_S12_S13_S17_S18_S19_S1C_S1D_jS1E_jS1F_S1F_jjS1H_bEUljE0_EEES10_S11_S12_S19_S1D_S1F_T6_T7_T9_mT8_S1H_bDpT10_ENKUlT_T0_E_clISt17integral_constantIbLb0EES1U_IbLb1EEEEDaS1Q_S1R_EUlS1Q_E_NS1_11comp_targetILNS1_3genE8ELNS1_11target_archE1030ELNS1_3gpuE2ELNS1_3repE0EEENS1_30default_config_static_selectorELNS0_4arch9wavefront6targetE0EEEvS13_.num_vgpr, 0
	.set _ZN7rocprim17ROCPRIM_400000_NS6detail17trampoline_kernelINS0_13select_configILj256ELj13ELNS0_17block_load_methodE3ELS4_3ELS4_3ELNS0_20block_scan_algorithmE0ELj4294967295EEENS1_25partition_config_selectorILNS1_17partition_subalgoE4EjNS0_10empty_typeEbEEZZNS1_14partition_implILS8_4ELb0ES6_15HIP_vector_typeIjLj2EENS0_17counting_iteratorIjlEEPS9_SG_NS0_5tupleIJPjSI_NS0_16reverse_iteratorISI_EEEEENSH_IJSG_SG_SG_EEES9_SI_JZNS1_25segmented_radix_sort_implINS0_14default_configELb0EPK6__halfPSP_PKlPlN2at6native12_GLOBAL__N_18offset_tEEE10hipError_tPvRmT1_PNSt15iterator_traitsIS13_E10value_typeET2_T3_PNS14_IS19_E10value_typeET4_jRbjT5_S1F_jjP12ihipStream_tbEUljE_ZNSN_ISO_Lb0ESR_SS_SU_SV_SZ_EES10_S11_S12_S13_S17_S18_S19_S1C_S1D_jS1E_jS1F_S1F_jjS1H_bEUljE0_EEES10_S11_S12_S19_S1D_S1F_T6_T7_T9_mT8_S1H_bDpT10_ENKUlT_T0_E_clISt17integral_constantIbLb0EES1U_IbLb1EEEEDaS1Q_S1R_EUlS1Q_E_NS1_11comp_targetILNS1_3genE8ELNS1_11target_archE1030ELNS1_3gpuE2ELNS1_3repE0EEENS1_30default_config_static_selectorELNS0_4arch9wavefront6targetE0EEEvS13_.num_agpr, 0
	.set _ZN7rocprim17ROCPRIM_400000_NS6detail17trampoline_kernelINS0_13select_configILj256ELj13ELNS0_17block_load_methodE3ELS4_3ELS4_3ELNS0_20block_scan_algorithmE0ELj4294967295EEENS1_25partition_config_selectorILNS1_17partition_subalgoE4EjNS0_10empty_typeEbEEZZNS1_14partition_implILS8_4ELb0ES6_15HIP_vector_typeIjLj2EENS0_17counting_iteratorIjlEEPS9_SG_NS0_5tupleIJPjSI_NS0_16reverse_iteratorISI_EEEEENSH_IJSG_SG_SG_EEES9_SI_JZNS1_25segmented_radix_sort_implINS0_14default_configELb0EPK6__halfPSP_PKlPlN2at6native12_GLOBAL__N_18offset_tEEE10hipError_tPvRmT1_PNSt15iterator_traitsIS13_E10value_typeET2_T3_PNS14_IS19_E10value_typeET4_jRbjT5_S1F_jjP12ihipStream_tbEUljE_ZNSN_ISO_Lb0ESR_SS_SU_SV_SZ_EES10_S11_S12_S13_S17_S18_S19_S1C_S1D_jS1E_jS1F_S1F_jjS1H_bEUljE0_EEES10_S11_S12_S19_S1D_S1F_T6_T7_T9_mT8_S1H_bDpT10_ENKUlT_T0_E_clISt17integral_constantIbLb0EES1U_IbLb1EEEEDaS1Q_S1R_EUlS1Q_E_NS1_11comp_targetILNS1_3genE8ELNS1_11target_archE1030ELNS1_3gpuE2ELNS1_3repE0EEENS1_30default_config_static_selectorELNS0_4arch9wavefront6targetE0EEEvS13_.numbered_sgpr, 0
	.set _ZN7rocprim17ROCPRIM_400000_NS6detail17trampoline_kernelINS0_13select_configILj256ELj13ELNS0_17block_load_methodE3ELS4_3ELS4_3ELNS0_20block_scan_algorithmE0ELj4294967295EEENS1_25partition_config_selectorILNS1_17partition_subalgoE4EjNS0_10empty_typeEbEEZZNS1_14partition_implILS8_4ELb0ES6_15HIP_vector_typeIjLj2EENS0_17counting_iteratorIjlEEPS9_SG_NS0_5tupleIJPjSI_NS0_16reverse_iteratorISI_EEEEENSH_IJSG_SG_SG_EEES9_SI_JZNS1_25segmented_radix_sort_implINS0_14default_configELb0EPK6__halfPSP_PKlPlN2at6native12_GLOBAL__N_18offset_tEEE10hipError_tPvRmT1_PNSt15iterator_traitsIS13_E10value_typeET2_T3_PNS14_IS19_E10value_typeET4_jRbjT5_S1F_jjP12ihipStream_tbEUljE_ZNSN_ISO_Lb0ESR_SS_SU_SV_SZ_EES10_S11_S12_S13_S17_S18_S19_S1C_S1D_jS1E_jS1F_S1F_jjS1H_bEUljE0_EEES10_S11_S12_S19_S1D_S1F_T6_T7_T9_mT8_S1H_bDpT10_ENKUlT_T0_E_clISt17integral_constantIbLb0EES1U_IbLb1EEEEDaS1Q_S1R_EUlS1Q_E_NS1_11comp_targetILNS1_3genE8ELNS1_11target_archE1030ELNS1_3gpuE2ELNS1_3repE0EEENS1_30default_config_static_selectorELNS0_4arch9wavefront6targetE0EEEvS13_.num_named_barrier, 0
	.set _ZN7rocprim17ROCPRIM_400000_NS6detail17trampoline_kernelINS0_13select_configILj256ELj13ELNS0_17block_load_methodE3ELS4_3ELS4_3ELNS0_20block_scan_algorithmE0ELj4294967295EEENS1_25partition_config_selectorILNS1_17partition_subalgoE4EjNS0_10empty_typeEbEEZZNS1_14partition_implILS8_4ELb0ES6_15HIP_vector_typeIjLj2EENS0_17counting_iteratorIjlEEPS9_SG_NS0_5tupleIJPjSI_NS0_16reverse_iteratorISI_EEEEENSH_IJSG_SG_SG_EEES9_SI_JZNS1_25segmented_radix_sort_implINS0_14default_configELb0EPK6__halfPSP_PKlPlN2at6native12_GLOBAL__N_18offset_tEEE10hipError_tPvRmT1_PNSt15iterator_traitsIS13_E10value_typeET2_T3_PNS14_IS19_E10value_typeET4_jRbjT5_S1F_jjP12ihipStream_tbEUljE_ZNSN_ISO_Lb0ESR_SS_SU_SV_SZ_EES10_S11_S12_S13_S17_S18_S19_S1C_S1D_jS1E_jS1F_S1F_jjS1H_bEUljE0_EEES10_S11_S12_S19_S1D_S1F_T6_T7_T9_mT8_S1H_bDpT10_ENKUlT_T0_E_clISt17integral_constantIbLb0EES1U_IbLb1EEEEDaS1Q_S1R_EUlS1Q_E_NS1_11comp_targetILNS1_3genE8ELNS1_11target_archE1030ELNS1_3gpuE2ELNS1_3repE0EEENS1_30default_config_static_selectorELNS0_4arch9wavefront6targetE0EEEvS13_.private_seg_size, 0
	.set _ZN7rocprim17ROCPRIM_400000_NS6detail17trampoline_kernelINS0_13select_configILj256ELj13ELNS0_17block_load_methodE3ELS4_3ELS4_3ELNS0_20block_scan_algorithmE0ELj4294967295EEENS1_25partition_config_selectorILNS1_17partition_subalgoE4EjNS0_10empty_typeEbEEZZNS1_14partition_implILS8_4ELb0ES6_15HIP_vector_typeIjLj2EENS0_17counting_iteratorIjlEEPS9_SG_NS0_5tupleIJPjSI_NS0_16reverse_iteratorISI_EEEEENSH_IJSG_SG_SG_EEES9_SI_JZNS1_25segmented_radix_sort_implINS0_14default_configELb0EPK6__halfPSP_PKlPlN2at6native12_GLOBAL__N_18offset_tEEE10hipError_tPvRmT1_PNSt15iterator_traitsIS13_E10value_typeET2_T3_PNS14_IS19_E10value_typeET4_jRbjT5_S1F_jjP12ihipStream_tbEUljE_ZNSN_ISO_Lb0ESR_SS_SU_SV_SZ_EES10_S11_S12_S13_S17_S18_S19_S1C_S1D_jS1E_jS1F_S1F_jjS1H_bEUljE0_EEES10_S11_S12_S19_S1D_S1F_T6_T7_T9_mT8_S1H_bDpT10_ENKUlT_T0_E_clISt17integral_constantIbLb0EES1U_IbLb1EEEEDaS1Q_S1R_EUlS1Q_E_NS1_11comp_targetILNS1_3genE8ELNS1_11target_archE1030ELNS1_3gpuE2ELNS1_3repE0EEENS1_30default_config_static_selectorELNS0_4arch9wavefront6targetE0EEEvS13_.uses_vcc, 0
	.set _ZN7rocprim17ROCPRIM_400000_NS6detail17trampoline_kernelINS0_13select_configILj256ELj13ELNS0_17block_load_methodE3ELS4_3ELS4_3ELNS0_20block_scan_algorithmE0ELj4294967295EEENS1_25partition_config_selectorILNS1_17partition_subalgoE4EjNS0_10empty_typeEbEEZZNS1_14partition_implILS8_4ELb0ES6_15HIP_vector_typeIjLj2EENS0_17counting_iteratorIjlEEPS9_SG_NS0_5tupleIJPjSI_NS0_16reverse_iteratorISI_EEEEENSH_IJSG_SG_SG_EEES9_SI_JZNS1_25segmented_radix_sort_implINS0_14default_configELb0EPK6__halfPSP_PKlPlN2at6native12_GLOBAL__N_18offset_tEEE10hipError_tPvRmT1_PNSt15iterator_traitsIS13_E10value_typeET2_T3_PNS14_IS19_E10value_typeET4_jRbjT5_S1F_jjP12ihipStream_tbEUljE_ZNSN_ISO_Lb0ESR_SS_SU_SV_SZ_EES10_S11_S12_S13_S17_S18_S19_S1C_S1D_jS1E_jS1F_S1F_jjS1H_bEUljE0_EEES10_S11_S12_S19_S1D_S1F_T6_T7_T9_mT8_S1H_bDpT10_ENKUlT_T0_E_clISt17integral_constantIbLb0EES1U_IbLb1EEEEDaS1Q_S1R_EUlS1Q_E_NS1_11comp_targetILNS1_3genE8ELNS1_11target_archE1030ELNS1_3gpuE2ELNS1_3repE0EEENS1_30default_config_static_selectorELNS0_4arch9wavefront6targetE0EEEvS13_.uses_flat_scratch, 0
	.set _ZN7rocprim17ROCPRIM_400000_NS6detail17trampoline_kernelINS0_13select_configILj256ELj13ELNS0_17block_load_methodE3ELS4_3ELS4_3ELNS0_20block_scan_algorithmE0ELj4294967295EEENS1_25partition_config_selectorILNS1_17partition_subalgoE4EjNS0_10empty_typeEbEEZZNS1_14partition_implILS8_4ELb0ES6_15HIP_vector_typeIjLj2EENS0_17counting_iteratorIjlEEPS9_SG_NS0_5tupleIJPjSI_NS0_16reverse_iteratorISI_EEEEENSH_IJSG_SG_SG_EEES9_SI_JZNS1_25segmented_radix_sort_implINS0_14default_configELb0EPK6__halfPSP_PKlPlN2at6native12_GLOBAL__N_18offset_tEEE10hipError_tPvRmT1_PNSt15iterator_traitsIS13_E10value_typeET2_T3_PNS14_IS19_E10value_typeET4_jRbjT5_S1F_jjP12ihipStream_tbEUljE_ZNSN_ISO_Lb0ESR_SS_SU_SV_SZ_EES10_S11_S12_S13_S17_S18_S19_S1C_S1D_jS1E_jS1F_S1F_jjS1H_bEUljE0_EEES10_S11_S12_S19_S1D_S1F_T6_T7_T9_mT8_S1H_bDpT10_ENKUlT_T0_E_clISt17integral_constantIbLb0EES1U_IbLb1EEEEDaS1Q_S1R_EUlS1Q_E_NS1_11comp_targetILNS1_3genE8ELNS1_11target_archE1030ELNS1_3gpuE2ELNS1_3repE0EEENS1_30default_config_static_selectorELNS0_4arch9wavefront6targetE0EEEvS13_.has_dyn_sized_stack, 0
	.set _ZN7rocprim17ROCPRIM_400000_NS6detail17trampoline_kernelINS0_13select_configILj256ELj13ELNS0_17block_load_methodE3ELS4_3ELS4_3ELNS0_20block_scan_algorithmE0ELj4294967295EEENS1_25partition_config_selectorILNS1_17partition_subalgoE4EjNS0_10empty_typeEbEEZZNS1_14partition_implILS8_4ELb0ES6_15HIP_vector_typeIjLj2EENS0_17counting_iteratorIjlEEPS9_SG_NS0_5tupleIJPjSI_NS0_16reverse_iteratorISI_EEEEENSH_IJSG_SG_SG_EEES9_SI_JZNS1_25segmented_radix_sort_implINS0_14default_configELb0EPK6__halfPSP_PKlPlN2at6native12_GLOBAL__N_18offset_tEEE10hipError_tPvRmT1_PNSt15iterator_traitsIS13_E10value_typeET2_T3_PNS14_IS19_E10value_typeET4_jRbjT5_S1F_jjP12ihipStream_tbEUljE_ZNSN_ISO_Lb0ESR_SS_SU_SV_SZ_EES10_S11_S12_S13_S17_S18_S19_S1C_S1D_jS1E_jS1F_S1F_jjS1H_bEUljE0_EEES10_S11_S12_S19_S1D_S1F_T6_T7_T9_mT8_S1H_bDpT10_ENKUlT_T0_E_clISt17integral_constantIbLb0EES1U_IbLb1EEEEDaS1Q_S1R_EUlS1Q_E_NS1_11comp_targetILNS1_3genE8ELNS1_11target_archE1030ELNS1_3gpuE2ELNS1_3repE0EEENS1_30default_config_static_selectorELNS0_4arch9wavefront6targetE0EEEvS13_.has_recursion, 0
	.set _ZN7rocprim17ROCPRIM_400000_NS6detail17trampoline_kernelINS0_13select_configILj256ELj13ELNS0_17block_load_methodE3ELS4_3ELS4_3ELNS0_20block_scan_algorithmE0ELj4294967295EEENS1_25partition_config_selectorILNS1_17partition_subalgoE4EjNS0_10empty_typeEbEEZZNS1_14partition_implILS8_4ELb0ES6_15HIP_vector_typeIjLj2EENS0_17counting_iteratorIjlEEPS9_SG_NS0_5tupleIJPjSI_NS0_16reverse_iteratorISI_EEEEENSH_IJSG_SG_SG_EEES9_SI_JZNS1_25segmented_radix_sort_implINS0_14default_configELb0EPK6__halfPSP_PKlPlN2at6native12_GLOBAL__N_18offset_tEEE10hipError_tPvRmT1_PNSt15iterator_traitsIS13_E10value_typeET2_T3_PNS14_IS19_E10value_typeET4_jRbjT5_S1F_jjP12ihipStream_tbEUljE_ZNSN_ISO_Lb0ESR_SS_SU_SV_SZ_EES10_S11_S12_S13_S17_S18_S19_S1C_S1D_jS1E_jS1F_S1F_jjS1H_bEUljE0_EEES10_S11_S12_S19_S1D_S1F_T6_T7_T9_mT8_S1H_bDpT10_ENKUlT_T0_E_clISt17integral_constantIbLb0EES1U_IbLb1EEEEDaS1Q_S1R_EUlS1Q_E_NS1_11comp_targetILNS1_3genE8ELNS1_11target_archE1030ELNS1_3gpuE2ELNS1_3repE0EEENS1_30default_config_static_selectorELNS0_4arch9wavefront6targetE0EEEvS13_.has_indirect_call, 0
	.section	.AMDGPU.csdata,"",@progbits
; Kernel info:
; codeLenInByte = 0
; TotalNumSgprs: 0
; NumVgprs: 0
; ScratchSize: 0
; MemoryBound: 0
; FloatMode: 240
; IeeeMode: 1
; LDSByteSize: 0 bytes/workgroup (compile time only)
; SGPRBlocks: 0
; VGPRBlocks: 0
; NumSGPRsForWavesPerEU: 1
; NumVGPRsForWavesPerEU: 1
; NamedBarCnt: 0
; Occupancy: 16
; WaveLimiterHint : 0
; COMPUTE_PGM_RSRC2:SCRATCH_EN: 0
; COMPUTE_PGM_RSRC2:USER_SGPR: 2
; COMPUTE_PGM_RSRC2:TRAP_HANDLER: 0
; COMPUTE_PGM_RSRC2:TGID_X_EN: 1
; COMPUTE_PGM_RSRC2:TGID_Y_EN: 0
; COMPUTE_PGM_RSRC2:TGID_Z_EN: 0
; COMPUTE_PGM_RSRC2:TIDIG_COMP_CNT: 0
	.section	.text._ZN7rocprim17ROCPRIM_400000_NS6detail17trampoline_kernelINS0_13select_configILj256ELj13ELNS0_17block_load_methodE3ELS4_3ELS4_3ELNS0_20block_scan_algorithmE0ELj4294967295EEENS1_25partition_config_selectorILNS1_17partition_subalgoE3EjNS0_10empty_typeEbEEZZNS1_14partition_implILS8_3ELb0ES6_jNS0_17counting_iteratorIjlEEPS9_SE_NS0_5tupleIJPjSE_EEENSF_IJSE_SE_EEES9_SG_JZNS1_25segmented_radix_sort_implINS0_14default_configELb0EPK6__halfPSL_PKlPlN2at6native12_GLOBAL__N_18offset_tEEE10hipError_tPvRmT1_PNSt15iterator_traitsISZ_E10value_typeET2_T3_PNS10_IS15_E10value_typeET4_jRbjT5_S1B_jjP12ihipStream_tbEUljE_EEESW_SX_SY_S15_S19_S1B_T6_T7_T9_mT8_S1D_bDpT10_ENKUlT_T0_E_clISt17integral_constantIbLb0EES1Q_EEDaS1L_S1M_EUlS1L_E_NS1_11comp_targetILNS1_3genE0ELNS1_11target_archE4294967295ELNS1_3gpuE0ELNS1_3repE0EEENS1_30default_config_static_selectorELNS0_4arch9wavefront6targetE0EEEvSZ_,"axG",@progbits,_ZN7rocprim17ROCPRIM_400000_NS6detail17trampoline_kernelINS0_13select_configILj256ELj13ELNS0_17block_load_methodE3ELS4_3ELS4_3ELNS0_20block_scan_algorithmE0ELj4294967295EEENS1_25partition_config_selectorILNS1_17partition_subalgoE3EjNS0_10empty_typeEbEEZZNS1_14partition_implILS8_3ELb0ES6_jNS0_17counting_iteratorIjlEEPS9_SE_NS0_5tupleIJPjSE_EEENSF_IJSE_SE_EEES9_SG_JZNS1_25segmented_radix_sort_implINS0_14default_configELb0EPK6__halfPSL_PKlPlN2at6native12_GLOBAL__N_18offset_tEEE10hipError_tPvRmT1_PNSt15iterator_traitsISZ_E10value_typeET2_T3_PNS10_IS15_E10value_typeET4_jRbjT5_S1B_jjP12ihipStream_tbEUljE_EEESW_SX_SY_S15_S19_S1B_T6_T7_T9_mT8_S1D_bDpT10_ENKUlT_T0_E_clISt17integral_constantIbLb0EES1Q_EEDaS1L_S1M_EUlS1L_E_NS1_11comp_targetILNS1_3genE0ELNS1_11target_archE4294967295ELNS1_3gpuE0ELNS1_3repE0EEENS1_30default_config_static_selectorELNS0_4arch9wavefront6targetE0EEEvSZ_,comdat
	.globl	_ZN7rocprim17ROCPRIM_400000_NS6detail17trampoline_kernelINS0_13select_configILj256ELj13ELNS0_17block_load_methodE3ELS4_3ELS4_3ELNS0_20block_scan_algorithmE0ELj4294967295EEENS1_25partition_config_selectorILNS1_17partition_subalgoE3EjNS0_10empty_typeEbEEZZNS1_14partition_implILS8_3ELb0ES6_jNS0_17counting_iteratorIjlEEPS9_SE_NS0_5tupleIJPjSE_EEENSF_IJSE_SE_EEES9_SG_JZNS1_25segmented_radix_sort_implINS0_14default_configELb0EPK6__halfPSL_PKlPlN2at6native12_GLOBAL__N_18offset_tEEE10hipError_tPvRmT1_PNSt15iterator_traitsISZ_E10value_typeET2_T3_PNS10_IS15_E10value_typeET4_jRbjT5_S1B_jjP12ihipStream_tbEUljE_EEESW_SX_SY_S15_S19_S1B_T6_T7_T9_mT8_S1D_bDpT10_ENKUlT_T0_E_clISt17integral_constantIbLb0EES1Q_EEDaS1L_S1M_EUlS1L_E_NS1_11comp_targetILNS1_3genE0ELNS1_11target_archE4294967295ELNS1_3gpuE0ELNS1_3repE0EEENS1_30default_config_static_selectorELNS0_4arch9wavefront6targetE0EEEvSZ_ ; -- Begin function _ZN7rocprim17ROCPRIM_400000_NS6detail17trampoline_kernelINS0_13select_configILj256ELj13ELNS0_17block_load_methodE3ELS4_3ELS4_3ELNS0_20block_scan_algorithmE0ELj4294967295EEENS1_25partition_config_selectorILNS1_17partition_subalgoE3EjNS0_10empty_typeEbEEZZNS1_14partition_implILS8_3ELb0ES6_jNS0_17counting_iteratorIjlEEPS9_SE_NS0_5tupleIJPjSE_EEENSF_IJSE_SE_EEES9_SG_JZNS1_25segmented_radix_sort_implINS0_14default_configELb0EPK6__halfPSL_PKlPlN2at6native12_GLOBAL__N_18offset_tEEE10hipError_tPvRmT1_PNSt15iterator_traitsISZ_E10value_typeET2_T3_PNS10_IS15_E10value_typeET4_jRbjT5_S1B_jjP12ihipStream_tbEUljE_EEESW_SX_SY_S15_S19_S1B_T6_T7_T9_mT8_S1D_bDpT10_ENKUlT_T0_E_clISt17integral_constantIbLb0EES1Q_EEDaS1L_S1M_EUlS1L_E_NS1_11comp_targetILNS1_3genE0ELNS1_11target_archE4294967295ELNS1_3gpuE0ELNS1_3repE0EEENS1_30default_config_static_selectorELNS0_4arch9wavefront6targetE0EEEvSZ_
	.p2align	8
	.type	_ZN7rocprim17ROCPRIM_400000_NS6detail17trampoline_kernelINS0_13select_configILj256ELj13ELNS0_17block_load_methodE3ELS4_3ELS4_3ELNS0_20block_scan_algorithmE0ELj4294967295EEENS1_25partition_config_selectorILNS1_17partition_subalgoE3EjNS0_10empty_typeEbEEZZNS1_14partition_implILS8_3ELb0ES6_jNS0_17counting_iteratorIjlEEPS9_SE_NS0_5tupleIJPjSE_EEENSF_IJSE_SE_EEES9_SG_JZNS1_25segmented_radix_sort_implINS0_14default_configELb0EPK6__halfPSL_PKlPlN2at6native12_GLOBAL__N_18offset_tEEE10hipError_tPvRmT1_PNSt15iterator_traitsISZ_E10value_typeET2_T3_PNS10_IS15_E10value_typeET4_jRbjT5_S1B_jjP12ihipStream_tbEUljE_EEESW_SX_SY_S15_S19_S1B_T6_T7_T9_mT8_S1D_bDpT10_ENKUlT_T0_E_clISt17integral_constantIbLb0EES1Q_EEDaS1L_S1M_EUlS1L_E_NS1_11comp_targetILNS1_3genE0ELNS1_11target_archE4294967295ELNS1_3gpuE0ELNS1_3repE0EEENS1_30default_config_static_selectorELNS0_4arch9wavefront6targetE0EEEvSZ_,@function
_ZN7rocprim17ROCPRIM_400000_NS6detail17trampoline_kernelINS0_13select_configILj256ELj13ELNS0_17block_load_methodE3ELS4_3ELS4_3ELNS0_20block_scan_algorithmE0ELj4294967295EEENS1_25partition_config_selectorILNS1_17partition_subalgoE3EjNS0_10empty_typeEbEEZZNS1_14partition_implILS8_3ELb0ES6_jNS0_17counting_iteratorIjlEEPS9_SE_NS0_5tupleIJPjSE_EEENSF_IJSE_SE_EEES9_SG_JZNS1_25segmented_radix_sort_implINS0_14default_configELb0EPK6__halfPSL_PKlPlN2at6native12_GLOBAL__N_18offset_tEEE10hipError_tPvRmT1_PNSt15iterator_traitsISZ_E10value_typeET2_T3_PNS10_IS15_E10value_typeET4_jRbjT5_S1B_jjP12ihipStream_tbEUljE_EEESW_SX_SY_S15_S19_S1B_T6_T7_T9_mT8_S1D_bDpT10_ENKUlT_T0_E_clISt17integral_constantIbLb0EES1Q_EEDaS1L_S1M_EUlS1L_E_NS1_11comp_targetILNS1_3genE0ELNS1_11target_archE4294967295ELNS1_3gpuE0ELNS1_3repE0EEENS1_30default_config_static_selectorELNS0_4arch9wavefront6targetE0EEEvSZ_: ; @_ZN7rocprim17ROCPRIM_400000_NS6detail17trampoline_kernelINS0_13select_configILj256ELj13ELNS0_17block_load_methodE3ELS4_3ELS4_3ELNS0_20block_scan_algorithmE0ELj4294967295EEENS1_25partition_config_selectorILNS1_17partition_subalgoE3EjNS0_10empty_typeEbEEZZNS1_14partition_implILS8_3ELb0ES6_jNS0_17counting_iteratorIjlEEPS9_SE_NS0_5tupleIJPjSE_EEENSF_IJSE_SE_EEES9_SG_JZNS1_25segmented_radix_sort_implINS0_14default_configELb0EPK6__halfPSL_PKlPlN2at6native12_GLOBAL__N_18offset_tEEE10hipError_tPvRmT1_PNSt15iterator_traitsISZ_E10value_typeET2_T3_PNS10_IS15_E10value_typeET4_jRbjT5_S1B_jjP12ihipStream_tbEUljE_EEESW_SX_SY_S15_S19_S1B_T6_T7_T9_mT8_S1D_bDpT10_ENKUlT_T0_E_clISt17integral_constantIbLb0EES1Q_EEDaS1L_S1M_EUlS1L_E_NS1_11comp_targetILNS1_3genE0ELNS1_11target_archE4294967295ELNS1_3gpuE0ELNS1_3repE0EEENS1_30default_config_static_selectorELNS0_4arch9wavefront6targetE0EEEvSZ_
; %bb.0:
	s_clause 0x4
	s_load_b128 s[8:11], s[0:1], 0x48
	s_load_b32 s2, s[0:1], 0x70
	s_load_b64 s[12:13], s[0:1], 0x10
	s_load_b64 s[14:15], s[0:1], 0x58
	s_load_b32 s20, s[0:1], 0x8
	s_bfe_u32 s3, ttmp6, 0x4000c
	s_and_b32 s4, ttmp6, 15
	s_add_co_i32 s3, s3, 1
	s_getreg_b32 s5, hwreg(HW_REG_IB_STS2, 6, 4)
	s_mul_i32 s3, ttmp9, s3
	s_mov_b32 s17, 0
	s_add_co_i32 s16, s4, s3
	s_cmp_eq_u32 s5, 0
	s_clause 0x1
	s_load_b32 s3, s[0:1], 0x88
	s_load_b128 s[4:7], s[0:1], 0x78
	s_cselect_b32 s24, ttmp9, s16
	v_lshlrev_b32_e32 v19, 2, v0
	s_wait_kmcnt 0x0
	s_load_b64 s[18:19], s[10:11], 0x0
	s_mul_i32 s16, s2, 0xd00
	s_add_co_i32 s2, s2, -1
	s_add_co_i32 s21, s16, s12
	s_wait_xcnt 0x0
	s_add_nc_u64 s[10:11], s[12:13], s[16:17]
	s_sub_co_i32 s23, s14, s21
	v_cmp_gt_u64_e64 s11, s[14:15], s[10:11]
	s_addk_co_i32 s23, 0xd00
	s_cmp_eq_u32 s24, s2
	s_mul_i32 s10, s24, 0xd00
	s_cselect_b32 s22, -1, 0
	s_cmp_lg_u32 s24, s2
	s_mov_b32 s17, -1
	s_cselect_b32 s2, -1, 0
	s_add_co_i32 s16, s20, s10
	s_or_b32 s11, s2, s11
	s_add_co_i32 s16, s16, s12
	s_and_b32 vcc_lo, exec_lo, s11
	v_add_nc_u32_e32 v1, s16, v0
	s_cbranch_vccz .LBB1800_2
; %bb.1:
	s_delay_alu instid0(VALU_DEP_1)
	v_add_nc_u32_e32 v2, 0x100, v1
	v_add_nc_u32_e32 v3, 0x200, v1
	;; [unrolled: 1-line block ×12, first 2 shown]
	ds_store_2addr_stride64_b32 v19, v1, v2 offset1:4
	ds_store_2addr_stride64_b32 v19, v3, v4 offset0:8 offset1:12
	ds_store_2addr_stride64_b32 v19, v5, v6 offset0:16 offset1:20
	;; [unrolled: 1-line block ×5, first 2 shown]
	ds_store_b32 v19, v13 offset:12288
	s_wait_dscnt 0x0
	s_barrier_signal -1
	s_mov_b32 s17, 0
	s_barrier_wait -1
.LBB1800_2:
	v_cmp_gt_u32_e64 s2, s23, v0
	v_or_b32_e32 v40, 0x100, v0
	v_or_b32_e32 v38, 0x200, v0
	;; [unrolled: 1-line block ×12, first 2 shown]
	s_and_not1_b32 vcc_lo, exec_lo, s17
	s_cbranch_vccnz .LBB1800_4
; %bb.3:
	v_dual_add_nc_u32 v2, s16, v40 :: v_dual_cndmask_b32 v1, 0, v1, s2
	v_cmp_gt_u32_e32 vcc_lo, s23, v40
	v_dual_add_nc_u32 v3, s16, v38 :: v_dual_add_nc_u32 v4, s16, v36
	v_dual_add_nc_u32 v7, s16, v30 :: v_dual_add_nc_u32 v8, s16, v28
	s_delay_alu instid0(VALU_DEP_4)
	v_cndmask_b32_e32 v2, 0, v2, vcc_lo
	v_cmp_gt_u32_e32 vcc_lo, s23, v38
	v_dual_add_nc_u32 v11, s16, v22 :: v_dual_add_nc_u32 v12, s16, v20
	v_cndmask_b32_e32 v3, 0, v3, vcc_lo
	v_cmp_gt_u32_e32 vcc_lo, s23, v36
	v_dual_cndmask_b32 v4, 0, v4 :: v_dual_add_nc_u32 v5, s16, v34
	v_cmp_gt_u32_e32 vcc_lo, s23, v34
	s_delay_alu instid0(VALU_DEP_2) | instskip(SKIP_1) | instid1(VALU_DEP_2)
	v_dual_cndmask_b32 v5, 0, v5 :: v_dual_add_nc_u32 v6, s16, v32
	v_cmp_gt_u32_e32 vcc_lo, s23, v32
	v_cndmask_b32_e32 v6, 0, v6, vcc_lo
	v_cmp_gt_u32_e32 vcc_lo, s23, v30
	v_cndmask_b32_e32 v7, 0, v7, vcc_lo
	v_cmp_gt_u32_e32 vcc_lo, s23, v28
	v_dual_cndmask_b32 v8, 0, v8 :: v_dual_add_nc_u32 v9, s16, v26
	v_cmp_gt_u32_e32 vcc_lo, s23, v26
	s_delay_alu instid0(VALU_DEP_2) | instskip(SKIP_1) | instid1(VALU_DEP_2)
	v_dual_cndmask_b32 v9, 0, v9 :: v_dual_add_nc_u32 v10, s16, v24
	v_cmp_gt_u32_e32 vcc_lo, s23, v24
	v_cndmask_b32_e32 v10, 0, v10, vcc_lo
	v_cmp_gt_u32_e32 vcc_lo, s23, v22
	v_cndmask_b32_e32 v11, 0, v11, vcc_lo
	v_cmp_gt_u32_e32 vcc_lo, s23, v20
	v_dual_cndmask_b32 v12, 0, v12 :: v_dual_add_nc_u32 v13, s16, v18
	v_cmp_gt_u32_e32 vcc_lo, s23, v18
	s_delay_alu instid0(VALU_DEP_2)
	v_cndmask_b32_e32 v13, 0, v13, vcc_lo
	ds_store_2addr_stride64_b32 v19, v1, v2 offset1:4
	ds_store_2addr_stride64_b32 v19, v3, v4 offset0:8 offset1:12
	ds_store_2addr_stride64_b32 v19, v5, v6 offset0:16 offset1:20
	;; [unrolled: 1-line block ×5, first 2 shown]
	ds_store_b32 v19, v13 offset:12288
	s_wait_dscnt 0x0
	s_barrier_signal -1
	s_barrier_wait -1
.LBB1800_4:
	v_mul_u32_u24_e32 v23, 13, v0
	v_cndmask_b32_e64 v21, 0, 1, s11
	s_and_not1_b32 vcc_lo, exec_lo, s11
	s_delay_alu instid0(VALU_DEP_2)
	v_lshlrev_b32_e32 v2, 2, v23
	ds_load_2addr_b32 v[50:51], v2 offset0:2 offset1:3
	ds_load_2addr_b32 v[46:47], v2 offset0:6 offset1:7
	;; [unrolled: 1-line block ×3, first 2 shown]
	ds_load_2addr_b32 v[52:53], v2 offset1:1
	ds_load_2addr_b32 v[42:43], v2 offset0:10 offset1:11
	ds_load_b32 v1, v2 offset:48
	ds_load_2addr_b32 v[44:45], v2 offset0:8 offset1:9
	s_wait_dscnt 0x0
	s_barrier_signal -1
	s_barrier_wait -1
	s_cbranch_vccnz .LBB1800_6
; %bb.5:
	v_dual_add_nc_u32 v2, s5, v51 :: v_dual_add_nc_u32 v3, s5, v53
	v_dual_add_nc_u32 v4, s5, v52 :: v_dual_add_nc_u32 v5, s5, v50
	;; [unrolled: 1-line block ×4, first 2 shown]
	s_delay_alu instid0(VALU_DEP_3) | instskip(NEXT) | instid1(VALU_DEP_4)
	v_mul_lo_u32 v5, v5, s4
	v_mul_lo_u32 v4, v4, s4
	;; [unrolled: 1-line block ×8, first 2 shown]
	v_dual_add_nc_u32 v10, s5, v48 :: v_dual_add_nc_u32 v11, s7, v48
	v_dual_add_nc_u32 v14, s7, v43 :: v_dual_add_nc_u32 v15, s5, v42
	;; [unrolled: 1-line block ×3, first 2 shown]
	s_delay_alu instid0(VALU_DEP_3)
	v_mul_lo_u32 v10, v10, s4
	v_dual_sub_nc_u32 v2, v2, v6 :: v_dual_sub_nc_u32 v3, v3, v7
	v_dual_sub_nc_u32 v4, v4, v8 :: v_dual_sub_nc_u32 v5, v5, v9
	v_dual_add_nc_u32 v6, s5, v49 :: v_dual_add_nc_u32 v7, s7, v49
	v_dual_add_nc_u32 v8, s5, v47 :: v_dual_add_nc_u32 v9, s7, v47
	v_mul_lo_u32 v11, v11, s6
	s_delay_alu instid0(VALU_DEP_3) | instskip(NEXT) | instid1(VALU_DEP_4)
	v_mul_lo_u32 v6, v6, s4
	v_mul_lo_u32 v7, v7, s6
	s_delay_alu instid0(VALU_DEP_4)
	v_mul_lo_u32 v8, v8, s4
	v_mul_lo_u32 v9, v9, s6
	v_cmp_lt_u32_e32 vcc_lo, s3, v2
	v_dual_add_nc_u32 v12, s5, v46 :: v_dual_add_nc_u32 v13, s5, v44
	v_mul_lo_u32 v14, v14, s6
	v_mul_lo_u32 v16, v16, s6
	v_cndmask_b32_e64 v2, 0, 1, vcc_lo
	v_cmp_lt_u32_e32 vcc_lo, s3, v3
	v_mul_lo_u32 v13, v13, s4
	v_dual_sub_nc_u32 v6, v6, v7 :: v_dual_add_nc_u32 v7, s7, v46
	v_dual_sub_nc_u32 v8, v8, v9 :: v_dual_sub_nc_u32 v9, v10, v11
	v_dual_add_nc_u32 v11, s5, v45 :: v_dual_add_nc_u32 v10, s5, v43
	v_cndmask_b32_e64 v3, 0, 1, vcc_lo
	s_delay_alu instid0(VALU_DEP_4)
	v_cmp_lt_u32_e32 vcc_lo, s3, v6
	v_mul_lo_u32 v12, v12, s4
	v_mul_lo_u32 v7, v7, s6
	;; [unrolled: 1-line block ×4, first 2 shown]
	v_cndmask_b32_e64 v6, 0, 1, vcc_lo
	v_cmp_lt_u32_e32 vcc_lo, s3, v8
	v_lshlrev_b16 v3, 8, v3
	v_add_nc_u32_e32 v25, s7, v42
	v_mul_lo_u32 v17, v17, s6
	v_lshlrev_b16 v6, 8, v6
	v_cndmask_b32_e64 v8, 0, 1, vcc_lo
	v_cmp_lt_u32_e32 vcc_lo, s3, v4
	v_dual_sub_nc_u32 v7, v12, v7 :: v_dual_sub_nc_u32 v10, v10, v14
	v_mul_lo_u32 v12, v15, s4
	v_mul_lo_u32 v15, v25, s6
	v_dual_add_nc_u32 v25, s7, v1 :: v_dual_lshrrev_b32 v3, 8, v3
	v_sub_nc_u32_e32 v11, v11, v16
	v_cndmask_b32_e64 v4, 0, 1, vcc_lo
	v_cmp_lt_u32_e32 vcc_lo, s3, v10
	v_dual_lshrrev_b32 v6, 8, v6 :: v_dual_add_nc_u32 v14, s5, v1
	v_mul_lo_u32 v16, v25, s6
	v_lshlrev_b16 v2, 8, v2
	v_cndmask_b32_e64 v10, 0, 1, vcc_lo
	v_cmp_lt_u32_e32 vcc_lo, s3, v11
	v_mul_lo_u32 v14, v14, s4
	v_dual_sub_nc_u32 v13, v13, v17 :: v_dual_sub_nc_u32 v12, v12, v15
	v_lshlrev_b16 v3, 8, v3
	v_cndmask_b32_e64 v11, 0, 1, vcc_lo
	v_cmp_lt_u32_e32 vcc_lo, s3, v5
	v_lshrrev_b32_e32 v2, 8, v2
	v_lshlrev_b16 v8, 8, v8
	v_or_b32_e32 v3, v4, v3
	v_lshlrev_b16 v4, 8, v10
	v_cndmask_b32_e64 v5, 0, 1, vcc_lo
	v_cmp_lt_u32_e32 vcc_lo, s3, v9
	v_lshlrev_b16 v10, 8, v11
	v_sub_nc_u32_e32 v11, v14, v16
	v_lshlrev_b16 v2, 8, v2
	v_lshrrev_b32_e32 v4, 8, v4
	v_cndmask_b32_e64 v9, 0, 1, vcc_lo
	v_cmp_lt_u32_e32 vcc_lo, s3, v7
	v_lshrrev_b32_e32 v10, 8, v10
	v_lshlrev_b16 v6, 8, v6
	v_or_b32_e32 v2, v5, v2
	v_lshlrev_b16 v4, 8, v4
	v_cndmask_b32_e64 v7, 0, 1, vcc_lo
	v_cmp_lt_u32_e32 vcc_lo, s3, v13
	v_lshlrev_b16 v10, 8, v10
	v_or_b32_e32 v5, v9, v6
	v_and_b32_e32 v3, 0xffff, v3
	v_dual_lshlrev_b32 v2, 16, v2 :: v_dual_bitop2_b32 v6, v7, v8 bitop3:0x54
	v_cndmask_b32_e64 v13, 0, 1, vcc_lo
	v_cmp_lt_u32_e32 vcc_lo, s3, v12
	s_delay_alu instid0(VALU_DEP_3) | instskip(SKIP_4) | instid1(VALU_DEP_4)
	v_lshlrev_b32_e32 v6, 16, v6
	v_and_b32_e32 v5, 0xffff, v5
	v_or_b32_e32 v35, v3, v2
	v_cndmask_b32_e64 v12, 0, 1, vcc_lo
	v_cmp_lt_u32_e32 vcc_lo, s3, v11
	v_or_b32_e32 v31, v5, v6
	s_delay_alu instid0(VALU_DEP_3) | instskip(SKIP_2) | instid1(VALU_DEP_3)
	v_or_b32_e32 v4, v12, v4
	v_or_b32_e32 v7, v13, v10
	v_cndmask_b32_e64 v25, 0, 1, vcc_lo
	v_lshlrev_b32_e32 v4, 16, v4
	s_delay_alu instid0(VALU_DEP_3) | instskip(NEXT) | instid1(VALU_DEP_1)
	v_and_b32_e32 v7, 0xffff, v7
	v_or_b32_e32 v27, v7, v4
	s_load_b64 s[20:21], s[0:1], 0x68
	s_cbranch_execz .LBB1800_7
	s_branch .LBB1800_34
.LBB1800_6:
                                        ; implicit-def: $vgpr25
                                        ; implicit-def: $vgpr27
                                        ; implicit-def: $vgpr31
                                        ; implicit-def: $vgpr35
	s_load_b64 s[20:21], s[0:1], 0x68
.LBB1800_7:
	v_dual_mov_b32 v3, 0 :: v_dual_mov_b32 v2, 0
	s_mov_b32 s2, exec_lo
	v_cmpx_gt_u32_e64 s23, v23
	s_cbranch_execz .LBB1800_9
; %bb.8:
	v_dual_add_nc_u32 v2, s5, v52 :: v_dual_add_nc_u32 v4, s7, v52
	s_delay_alu instid0(VALU_DEP_1) | instskip(NEXT) | instid1(VALU_DEP_2)
	v_mul_lo_u32 v2, v2, s4
	v_mul_lo_u32 v4, v4, s6
	s_delay_alu instid0(VALU_DEP_1) | instskip(NEXT) | instid1(VALU_DEP_1)
	v_sub_nc_u32_e32 v2, v2, v4
	v_cmp_lt_u32_e32 vcc_lo, s3, v2
	v_cndmask_b32_e64 v2, 0, 1, vcc_lo
.LBB1800_9:
	s_or_b32 exec_lo, exec_lo, s2
	v_add_nc_u32_e32 v4, 1, v23
	s_mov_b32 s2, exec_lo
	s_delay_alu instid0(VALU_DEP_1)
	v_cmpx_gt_u32_e64 s23, v4
	s_cbranch_execz .LBB1800_11
; %bb.10:
	v_dual_add_nc_u32 v3, s5, v53 :: v_dual_add_nc_u32 v4, s7, v53
	s_delay_alu instid0(VALU_DEP_1) | instskip(NEXT) | instid1(VALU_DEP_2)
	v_mul_lo_u32 v3, v3, s4
	v_mul_lo_u32 v4, v4, s6
	s_delay_alu instid0(VALU_DEP_1) | instskip(NEXT) | instid1(VALU_DEP_1)
	v_sub_nc_u32_e32 v3, v3, v4
	v_cmp_lt_u32_e32 vcc_lo, s3, v3
	v_cndmask_b32_e64 v3, 0, 1, vcc_lo
.LBB1800_11:
	s_or_b32 exec_lo, exec_lo, s2
	v_dual_mov_b32 v5, 0 :: v_dual_add_nc_u32 v4, 2, v23
	s_delay_alu instid0(VALU_DEP_1)
	v_cmp_gt_u32_e32 vcc_lo, s23, v4
	v_mov_b32_e32 v4, 0
	s_and_saveexec_b32 s2, vcc_lo
	s_cbranch_execz .LBB1800_13
; %bb.12:
	v_dual_add_nc_u32 v4, s5, v50 :: v_dual_add_nc_u32 v6, s7, v50
	s_delay_alu instid0(VALU_DEP_1) | instskip(NEXT) | instid1(VALU_DEP_2)
	v_mul_lo_u32 v4, v4, s4
	v_mul_lo_u32 v6, v6, s6
	s_delay_alu instid0(VALU_DEP_1) | instskip(NEXT) | instid1(VALU_DEP_1)
	v_sub_nc_u32_e32 v4, v4, v6
	v_cmp_lt_u32_e32 vcc_lo, s3, v4
	v_cndmask_b32_e64 v4, 0, 1, vcc_lo
.LBB1800_13:
	s_or_b32 exec_lo, exec_lo, s2
	v_add_nc_u32_e32 v6, 3, v23
	s_mov_b32 s2, exec_lo
	s_delay_alu instid0(VALU_DEP_1)
	v_cmpx_gt_u32_e64 s23, v6
	s_cbranch_execz .LBB1800_15
; %bb.14:
	v_dual_add_nc_u32 v5, s5, v51 :: v_dual_add_nc_u32 v6, s7, v51
	s_delay_alu instid0(VALU_DEP_1) | instskip(NEXT) | instid1(VALU_DEP_2)
	v_mul_lo_u32 v5, v5, s4
	v_mul_lo_u32 v6, v6, s6
	s_delay_alu instid0(VALU_DEP_1) | instskip(NEXT) | instid1(VALU_DEP_1)
	v_sub_nc_u32_e32 v5, v5, v6
	v_cmp_lt_u32_e32 vcc_lo, s3, v5
	v_cndmask_b32_e64 v5, 0, 1, vcc_lo
.LBB1800_15:
	s_or_b32 exec_lo, exec_lo, s2
	v_dual_mov_b32 v7, 0 :: v_dual_add_nc_u32 v6, 4, v23
	s_delay_alu instid0(VALU_DEP_1)
	v_cmp_gt_u32_e32 vcc_lo, s23, v6
	v_mov_b32_e32 v6, 0
	s_and_saveexec_b32 s2, vcc_lo
	;; [unrolled: 33-line block ×5, first 2 shown]
	s_cbranch_execz .LBB1800_29
; %bb.28:
	v_dual_add_nc_u32 v12, s5, v42 :: v_dual_add_nc_u32 v14, s7, v42
	s_delay_alu instid0(VALU_DEP_1) | instskip(NEXT) | instid1(VALU_DEP_2)
	v_mul_lo_u32 v12, v12, s4
	v_mul_lo_u32 v14, v14, s6
	s_delay_alu instid0(VALU_DEP_1) | instskip(NEXT) | instid1(VALU_DEP_1)
	v_sub_nc_u32_e32 v12, v12, v14
	v_cmp_lt_u32_e32 vcc_lo, s3, v12
	v_cndmask_b32_e64 v12, 0, 1, vcc_lo
.LBB1800_29:
	s_or_b32 exec_lo, exec_lo, s2
	v_add_nc_u32_e32 v14, 11, v23
	s_mov_b32 s2, exec_lo
	s_delay_alu instid0(VALU_DEP_1)
	v_cmpx_gt_u32_e64 s23, v14
	s_cbranch_execz .LBB1800_31
; %bb.30:
	v_dual_add_nc_u32 v13, s5, v43 :: v_dual_add_nc_u32 v14, s7, v43
	s_delay_alu instid0(VALU_DEP_1) | instskip(NEXT) | instid1(VALU_DEP_2)
	v_mul_lo_u32 v13, v13, s4
	v_mul_lo_u32 v14, v14, s6
	s_delay_alu instid0(VALU_DEP_1) | instskip(NEXT) | instid1(VALU_DEP_1)
	v_sub_nc_u32_e32 v13, v13, v14
	v_cmp_lt_u32_e32 vcc_lo, s3, v13
	v_cndmask_b32_e64 v13, 0, 1, vcc_lo
.LBB1800_31:
	s_or_b32 exec_lo, exec_lo, s2
	v_dual_mov_b32 v25, 0 :: v_dual_add_nc_u32 v14, 12, v23
	s_mov_b32 s2, exec_lo
	s_delay_alu instid0(VALU_DEP_1)
	v_cmpx_gt_u32_e64 s23, v14
	s_cbranch_execz .LBB1800_33
; %bb.32:
	v_dual_add_nc_u32 v14, s7, v1 :: v_dual_add_nc_u32 v15, s5, v1
	s_delay_alu instid0(VALU_DEP_1) | instskip(NEXT) | instid1(VALU_DEP_2)
	v_mul_lo_u32 v14, v14, s6
	v_mul_lo_u32 v15, v15, s4
	s_delay_alu instid0(VALU_DEP_1) | instskip(NEXT) | instid1(VALU_DEP_1)
	v_sub_nc_u32_e32 v14, v15, v14
	v_cmp_lt_u32_e32 vcc_lo, s3, v14
	v_cndmask_b32_e64 v25, 0, 1, vcc_lo
.LBB1800_33:
	s_or_b32 exec_lo, exec_lo, s2
	v_lshlrev_b16 v5, 8, v5
	v_lshlrev_b16 v7, 8, v7
	;; [unrolled: 1-line block ×5, first 2 shown]
	v_or_b32_e32 v4, v4, v5
	v_or_b32_e32 v5, v6, v7
	;; [unrolled: 1-line block ×3, first 2 shown]
	s_delay_alu instid0(VALU_DEP_4) | instskip(NEXT) | instid1(VALU_DEP_3)
	v_or_b32_e32 v7, v10, v11
	v_and_b32_e32 v5, 0xffff, v5
	s_delay_alu instid0(VALU_DEP_3) | instskip(SKIP_3) | instid1(VALU_DEP_4)
	v_dual_lshlrev_b32 v6, 16, v6 :: v_dual_bitop2_b32 v2, v2, v3 bitop3:0x54
	v_lshlrev_b32_e32 v4, 16, v4
	v_lshlrev_b16 v3, 8, v13
	v_and_b32_e32 v7, 0xffff, v7
	v_or_b32_e32 v31, v5, v6
	v_and_b32_e32 v2, 0xffff, v2
	s_delay_alu instid0(VALU_DEP_4) | instskip(NEXT) | instid1(VALU_DEP_1)
	v_or_b32_e32 v3, v12, v3
	v_dual_lshlrev_b32 v3, 16, v3 :: v_dual_bitop2_b32 v35, v2, v4 bitop3:0x54
	s_delay_alu instid0(VALU_DEP_1)
	v_or_b32_e32 v27, v7, v3
.LBB1800_34:
	s_delay_alu instid0(VALU_DEP_2)
	v_bfe_u32 v39, v35, 16, 8
	v_bfe_u32 v41, v35, 8, 8
	v_and_b32_e32 v55, 0xff, v35
	v_and_b32_e32 v56, 0xff, v31
	v_mbcnt_lo_u32_b32 v62, -1, 0
	v_lshrrev_b32_e32 v37, 24, v35
	v_bfe_u32 v57, v31, 16, 8
	v_add3_u32 v2, v41, v55, v39
	v_bfe_u32 v58, v31, 8, 8
	v_and_b32_e32 v4, 15, v62
	s_load_b64 s[16:17], s[0:1], 0x28
	v_dual_lshrrev_b32 v33, 24, v31 :: v_dual_lshrrev_b32 v63, 5, v0
	v_add3_u32 v2, v2, v37, v56
	v_and_b32_e32 v59, 0xff, v27
	v_bfe_u32 v60, v27, 16, 8
	v_bfe_u32 v61, v27, 8, 8
	v_dual_lshrrev_b32 v29, 24, v27 :: v_dual_bitop2_b32 v5, 31, v0 bitop3:0x54
	v_add3_u32 v2, v2, v58, v57
	v_and_b32_e32 v3, 0xff, v25
	v_and_b32_e32 v6, 16, v62
	v_cmp_eq_u32_e64 s5, 0, v4
	v_cmp_lt_u32_e64 s4, 1, v4
	v_add3_u32 v2, v2, v33, v59
	v_cmp_lt_u32_e64 s3, 3, v4
	v_cmp_lt_u32_e64 s2, 7, v4
	s_wait_xcnt 0x0
	v_cmp_eq_u32_e64 s1, 0, v6
	v_cmp_eq_u32_e64 s0, v0, v5
	v_add3_u32 v2, v2, v61, v60
	s_cmp_lg_u32 s24, 0
	s_mov_b32 s6, -1
	s_delay_alu instid0(VALU_DEP_1)
	v_add3_u32 v64, v2, v29, v3
	s_cbranch_scc0 .LBB1800_56
; %bb.35:
	s_delay_alu instid0(VALU_DEP_1) | instskip(NEXT) | instid1(VALU_DEP_1)
	v_mov_b32_dpp v2, v64 row_shr:1 row_mask:0xf bank_mask:0xf
	v_cndmask_b32_e64 v2, v2, 0, s5
	s_delay_alu instid0(VALU_DEP_1) | instskip(NEXT) | instid1(VALU_DEP_1)
	v_add_nc_u32_e32 v2, v2, v64
	v_mov_b32_dpp v3, v2 row_shr:2 row_mask:0xf bank_mask:0xf
	s_delay_alu instid0(VALU_DEP_1) | instskip(NEXT) | instid1(VALU_DEP_1)
	v_cndmask_b32_e64 v3, 0, v3, s4
	v_add_nc_u32_e32 v2, v2, v3
	s_delay_alu instid0(VALU_DEP_1) | instskip(NEXT) | instid1(VALU_DEP_1)
	v_mov_b32_dpp v3, v2 row_shr:4 row_mask:0xf bank_mask:0xf
	v_cndmask_b32_e64 v3, 0, v3, s3
	s_delay_alu instid0(VALU_DEP_1) | instskip(NEXT) | instid1(VALU_DEP_1)
	v_add_nc_u32_e32 v2, v2, v3
	v_mov_b32_dpp v3, v2 row_shr:8 row_mask:0xf bank_mask:0xf
	s_delay_alu instid0(VALU_DEP_1) | instskip(NEXT) | instid1(VALU_DEP_1)
	v_cndmask_b32_e64 v3, 0, v3, s2
	v_add_nc_u32_e32 v2, v2, v3
	ds_swizzle_b32 v3, v2 offset:swizzle(BROADCAST,32,15)
	s_wait_dscnt 0x0
	v_cndmask_b32_e64 v3, v3, 0, s1
	s_delay_alu instid0(VALU_DEP_1)
	v_add_nc_u32_e32 v2, v2, v3
	s_and_saveexec_b32 s6, s0
; %bb.36:
	v_lshlrev_b32_e32 v3, 2, v63
	ds_store_b32 v3, v2
; %bb.37:
	s_or_b32 exec_lo, exec_lo, s6
	s_delay_alu instid0(SALU_CYCLE_1)
	s_mov_b32 s6, exec_lo
	s_wait_dscnt 0x0
	s_barrier_signal -1
	s_barrier_wait -1
	v_cmpx_gt_u32_e32 8, v0
	s_cbranch_execz .LBB1800_39
; %bb.38:
	ds_load_b32 v3, v19
	s_wait_dscnt 0x0
	v_mov_b32_dpp v5, v3 row_shr:1 row_mask:0xf bank_mask:0xf
	v_and_b32_e32 v4, 7, v62
	s_delay_alu instid0(VALU_DEP_1) | instskip(NEXT) | instid1(VALU_DEP_3)
	v_cmp_ne_u32_e32 vcc_lo, 0, v4
	v_cndmask_b32_e32 v5, 0, v5, vcc_lo
	v_cmp_lt_u32_e32 vcc_lo, 1, v4
	s_delay_alu instid0(VALU_DEP_2) | instskip(NEXT) | instid1(VALU_DEP_1)
	v_add_nc_u32_e32 v3, v5, v3
	v_mov_b32_dpp v5, v3 row_shr:2 row_mask:0xf bank_mask:0xf
	s_delay_alu instid0(VALU_DEP_1) | instskip(SKIP_1) | instid1(VALU_DEP_2)
	v_cndmask_b32_e32 v5, 0, v5, vcc_lo
	v_cmp_lt_u32_e32 vcc_lo, 3, v4
	v_add_nc_u32_e32 v3, v3, v5
	s_delay_alu instid0(VALU_DEP_1) | instskip(NEXT) | instid1(VALU_DEP_1)
	v_mov_b32_dpp v5, v3 row_shr:4 row_mask:0xf bank_mask:0xf
	v_cndmask_b32_e32 v4, 0, v5, vcc_lo
	s_delay_alu instid0(VALU_DEP_1)
	v_add_nc_u32_e32 v3, v3, v4
	ds_store_b32 v19, v3
.LBB1800_39:
	s_or_b32 exec_lo, exec_lo, s6
	s_delay_alu instid0(SALU_CYCLE_1)
	s_mov_b32 s7, exec_lo
	v_cmp_gt_u32_e32 vcc_lo, 32, v0
	s_wait_dscnt 0x0
	s_barrier_signal -1
	s_barrier_wait -1
                                        ; implicit-def: $vgpr10
	v_cmpx_lt_u32_e32 31, v0
	s_cbranch_execz .LBB1800_41
; %bb.40:
	v_lshl_add_u32 v3, v63, 2, -4
	ds_load_b32 v10, v3
	s_wait_dscnt 0x0
	v_add_nc_u32_e32 v2, v10, v2
.LBB1800_41:
	s_or_b32 exec_lo, exec_lo, s7
	v_sub_co_u32 v3, s6, v62, 1
	s_delay_alu instid0(VALU_DEP_1) | instskip(NEXT) | instid1(VALU_DEP_1)
	v_cmp_gt_i32_e64 s7, 0, v3
	v_cndmask_b32_e64 v3, v3, v62, s7
	s_delay_alu instid0(VALU_DEP_1)
	v_lshlrev_b32_e32 v3, 2, v3
	ds_bpermute_b32 v11, v3, v2
	s_and_saveexec_b32 s7, vcc_lo
	s_cbranch_execz .LBB1800_61
; %bb.42:
	v_mov_b32_e32 v9, 0
	ds_load_b32 v2, v9 offset:28
	s_and_saveexec_b32 s11, s6
	s_cbranch_execz .LBB1800_44
; %bb.43:
	s_add_co_i32 s25, s24, 32
	s_delay_alu instid0(SALU_CYCLE_1)
	v_dual_mov_b32 v3, 1 :: v_dual_mov_b32 v4, s25
	s_wait_dscnt 0x0
	s_wait_kmcnt 0x0
	global_store_b64 v4, v[2:3], s[20:21] scale_offset scope:SCOPE_DEV
.LBB1800_44:
	s_wait_xcnt 0x0
	s_or_b32 exec_lo, exec_lo, s11
	v_xad_u32 v4, v62, -1, s24
	s_mov_b32 s25, 0
	s_mov_b32 s11, exec_lo
	s_delay_alu instid0(VALU_DEP_1)
	v_add_nc_u32_e32 v8, 32, v4
	s_wait_kmcnt 0x0
	global_load_b64 v[6:7], v8, s[20:21] scale_offset scope:SCOPE_DEV
	s_wait_loadcnt 0x0
	v_and_b32_e32 v3, 0xff, v7
	s_wait_xcnt 0x0
	s_delay_alu instid0(VALU_DEP_1)
	v_cmpx_eq_u16_e32 0, v3
	s_cbranch_execz .LBB1800_48
; %bb.45:
	v_lshl_add_u64 v[8:9], v[8:9], 3, s[20:21]
.LBB1800_46:                            ; =>This Inner Loop Header: Depth=1
	global_load_b64 v[6:7], v[8:9], off scope:SCOPE_DEV
	s_wait_loadcnt 0x0
	v_and_b32_e32 v3, 0xff, v7
	s_delay_alu instid0(VALU_DEP_1)
	v_cmp_ne_u16_e32 vcc_lo, 0, v3
	s_or_b32 s25, vcc_lo, s25
	s_wait_xcnt 0x0
	s_and_not1_b32 exec_lo, exec_lo, s25
	s_cbranch_execnz .LBB1800_46
; %bb.47:
	s_or_b32 exec_lo, exec_lo, s25
.LBB1800_48:
	s_delay_alu instid0(SALU_CYCLE_1)
	s_or_b32 exec_lo, exec_lo, s11
	v_cmp_ne_u32_e32 vcc_lo, 31, v62
	v_lshlrev_b32_e64 v13, v62, -1
	v_dual_add_nc_u32 v15, 2, v62 :: v_dual_add_nc_u32 v17, 4, v62
	v_dual_add_nc_u32 v65, 8, v62 :: v_dual_add_nc_u32 v67, 16, v62
	v_add_co_ci_u32_e64 v3, null, 0, v62, vcc_lo
	v_lshl_or_b32 v66, v62, 2, 64
	s_delay_alu instid0(VALU_DEP_2)
	v_lshlrev_b32_e32 v12, 2, v3
	v_and_b32_e32 v3, 0xff, v7
	ds_bpermute_b32 v5, v12, v6
	v_cmp_eq_u16_e32 vcc_lo, 2, v3
	v_and_or_b32 v3, vcc_lo, v13, 0x80000000
	v_cmp_gt_u32_e32 vcc_lo, 30, v62
	s_delay_alu instid0(VALU_DEP_2) | instskip(SKIP_1) | instid1(VALU_DEP_2)
	v_ctz_i32_b32_e32 v3, v3
	v_cndmask_b32_e64 v8, 0, 2, vcc_lo
	v_cmp_lt_u32_e32 vcc_lo, v62, v3
	s_delay_alu instid0(VALU_DEP_2)
	v_add_lshl_u32 v14, v8, v62, 2
	s_wait_dscnt 0x0
	v_cndmask_b32_e32 v5, 0, v5, vcc_lo
	v_cmp_gt_u32_e32 vcc_lo, 28, v62
	v_cndmask_b32_e64 v8, 0, 4, vcc_lo
	v_cmp_le_u32_e32 vcc_lo, v15, v3
	s_delay_alu instid0(VALU_DEP_4) | instskip(NEXT) | instid1(VALU_DEP_3)
	v_add_nc_u32_e32 v5, v5, v6
	v_add_lshl_u32 v16, v8, v62, 2
	ds_bpermute_b32 v6, v14, v5
	s_wait_dscnt 0x0
	v_cndmask_b32_e32 v6, 0, v6, vcc_lo
	v_cmp_gt_u32_e32 vcc_lo, 24, v62
	v_cndmask_b32_e64 v8, 0, 8, vcc_lo
	v_cmp_le_u32_e32 vcc_lo, v17, v3
	s_delay_alu instid0(VALU_DEP_4) | instskip(NEXT) | instid1(VALU_DEP_3)
	v_add_nc_u32_e32 v5, v5, v6
	v_add_lshl_u32 v54, v8, v62, 2
	ds_bpermute_b32 v6, v16, v5
	s_wait_dscnt 0x0
	v_cndmask_b32_e32 v6, 0, v6, vcc_lo
	v_cmp_le_u32_e32 vcc_lo, v65, v3
	s_delay_alu instid0(VALU_DEP_2) | instskip(SKIP_4) | instid1(VALU_DEP_2)
	v_add_nc_u32_e32 v5, v5, v6
	ds_bpermute_b32 v6, v54, v5
	s_wait_dscnt 0x0
	v_cndmask_b32_e32 v6, 0, v6, vcc_lo
	v_cmp_le_u32_e32 vcc_lo, v67, v3
	v_add_nc_u32_e32 v5, v5, v6
	ds_bpermute_b32 v6, v66, v5
	s_wait_dscnt 0x0
	v_cndmask_b32_e32 v3, 0, v6, vcc_lo
	s_delay_alu instid0(VALU_DEP_1)
	v_dual_mov_b32 v5, 0 :: v_dual_add_nc_u32 v6, v5, v3
	s_branch .LBB1800_52
.LBB1800_49:                            ;   in Loop: Header=BB1800_52 Depth=1
	s_or_b32 exec_lo, exec_lo, s25
.LBB1800_50:                            ;   in Loop: Header=BB1800_52 Depth=1
	s_delay_alu instid0(SALU_CYCLE_1)
	s_or_b32 exec_lo, exec_lo, s11
	v_and_b32_e32 v8, 0xff, v7
	ds_bpermute_b32 v9, v12, v6
	v_subrev_nc_u32_e32 v4, 32, v4
	s_mov_b32 s11, 0
	v_cmp_eq_u16_e32 vcc_lo, 2, v8
	v_and_or_b32 v8, vcc_lo, v13, 0x80000000
	s_delay_alu instid0(VALU_DEP_1) | instskip(NEXT) | instid1(VALU_DEP_1)
	v_ctz_i32_b32_e32 v8, v8
	v_cmp_lt_u32_e32 vcc_lo, v62, v8
	s_wait_dscnt 0x0
	v_cndmask_b32_e32 v9, 0, v9, vcc_lo
	v_cmp_le_u32_e32 vcc_lo, v15, v8
	s_delay_alu instid0(VALU_DEP_2) | instskip(SKIP_4) | instid1(VALU_DEP_2)
	v_add_nc_u32_e32 v6, v9, v6
	ds_bpermute_b32 v9, v14, v6
	s_wait_dscnt 0x0
	v_cndmask_b32_e32 v9, 0, v9, vcc_lo
	v_cmp_le_u32_e32 vcc_lo, v17, v8
	v_add_nc_u32_e32 v6, v6, v9
	ds_bpermute_b32 v9, v16, v6
	s_wait_dscnt 0x0
	v_cndmask_b32_e32 v9, 0, v9, vcc_lo
	v_cmp_le_u32_e32 vcc_lo, v65, v8
	s_delay_alu instid0(VALU_DEP_2) | instskip(SKIP_4) | instid1(VALU_DEP_2)
	v_add_nc_u32_e32 v6, v6, v9
	ds_bpermute_b32 v9, v54, v6
	s_wait_dscnt 0x0
	v_cndmask_b32_e32 v9, 0, v9, vcc_lo
	v_cmp_le_u32_e32 vcc_lo, v67, v8
	v_add_nc_u32_e32 v6, v6, v9
	ds_bpermute_b32 v9, v66, v6
	s_wait_dscnt 0x0
	v_cndmask_b32_e32 v8, 0, v9, vcc_lo
	s_delay_alu instid0(VALU_DEP_1)
	v_add3_u32 v6, v8, v3, v6
.LBB1800_51:                            ;   in Loop: Header=BB1800_52 Depth=1
	s_and_b32 vcc_lo, exec_lo, s11
	s_cbranch_vccnz .LBB1800_57
.LBB1800_52:                            ; =>This Loop Header: Depth=1
                                        ;     Child Loop BB1800_55 Depth 2
	v_and_b32_e32 v3, 0xff, v7
	s_mov_b32 s11, -1
                                        ; implicit-def: $vgpr7
	s_delay_alu instid0(VALU_DEP_1)
	v_cmp_ne_u16_e32 vcc_lo, 2, v3
	v_mov_b32_e32 v3, v6
                                        ; implicit-def: $vgpr6
	s_cmp_lg_u32 vcc_lo, exec_lo
	s_cbranch_scc1 .LBB1800_51
; %bb.53:                               ;   in Loop: Header=BB1800_52 Depth=1
	global_load_b64 v[6:7], v4, s[20:21] scale_offset scope:SCOPE_DEV
	s_mov_b32 s11, exec_lo
	s_wait_loadcnt 0x0
	v_and_b32_e32 v8, 0xff, v7
	s_wait_xcnt 0x0
	s_delay_alu instid0(VALU_DEP_1)
	v_cmpx_eq_u16_e32 0, v8
	s_cbranch_execz .LBB1800_50
; %bb.54:                               ;   in Loop: Header=BB1800_52 Depth=1
	v_lshl_add_u64 v[8:9], v[4:5], 3, s[20:21]
	s_mov_b32 s25, 0
.LBB1800_55:                            ;   Parent Loop BB1800_52 Depth=1
                                        ; =>  This Inner Loop Header: Depth=2
	global_load_b64 v[6:7], v[8:9], off scope:SCOPE_DEV
	s_wait_loadcnt 0x0
	v_and_b32_e32 v68, 0xff, v7
	s_delay_alu instid0(VALU_DEP_1)
	v_cmp_ne_u16_e32 vcc_lo, 0, v68
	s_or_b32 s25, vcc_lo, s25
	s_wait_xcnt 0x0
	s_and_not1_b32 exec_lo, exec_lo, s25
	s_cbranch_execnz .LBB1800_55
	s_branch .LBB1800_49
.LBB1800_56:
                                        ; implicit-def: $vgpr2_vgpr3_vgpr4_vgpr5_vgpr6_vgpr7_vgpr8_vgpr9_vgpr10_vgpr11_vgpr12_vgpr13_vgpr14_vgpr15_vgpr16_vgpr17
                                        ; implicit-def: $vgpr54
                                        ; implicit-def: $vgpr16
	s_and_b32 vcc_lo, exec_lo, s6
	s_cbranch_vccnz .LBB1800_62
	s_branch .LBB1800_71
.LBB1800_57:
	s_and_saveexec_b32 s11, s6
	s_cbranch_execz .LBB1800_59
; %bb.58:
	s_add_co_i32 s24, s24, 32
	v_dual_mov_b32 v5, 2 :: v_dual_add_nc_u32 v4, v3, v2
	v_dual_mov_b32 v6, s24 :: v_dual_mov_b32 v7, 0
	global_store_b64 v6, v[4:5], s[20:21] scale_offset scope:SCOPE_DEV
	ds_store_b64 v7, v[2:3] offset:13312
.LBB1800_59:
	s_wait_xcnt 0x0
	s_or_b32 exec_lo, exec_lo, s11
	v_cmp_eq_u32_e32 vcc_lo, 0, v0
	s_and_b32 exec_lo, exec_lo, vcc_lo
; %bb.60:
	v_mov_b32_e32 v2, 0
	ds_store_b32 v2, v3 offset:28
.LBB1800_61:
	s_or_b32 exec_lo, exec_lo, s7
	s_wait_dscnt 0x0
	v_dual_mov_b32 v12, 0 :: v_dual_cndmask_b32 v3, v11, v10, s6
	s_wait_storecnt 0x0
	s_barrier_signal -1
	s_barrier_wait -1
	ds_load_b32 v2, v12 offset:28
	v_cmp_ne_u32_e32 vcc_lo, 0, v0
	s_wait_dscnt 0x0
	s_barrier_signal -1
	s_barrier_wait -1
	v_cndmask_b32_e32 v3, 0, v3, vcc_lo
	ds_load_b64 v[16:17], v12 offset:13312
	v_add_nc_u32_e32 v2, v2, v3
	s_wait_dscnt 0x0
	s_delay_alu instid0(VALU_DEP_1) | instskip(NEXT) | instid1(VALU_DEP_1)
	v_dual_mov_b32 v54, v17 :: v_dual_add_nc_u32 v3, v2, v55
	v_add_nc_u32_e32 v4, v3, v41
	s_delay_alu instid0(VALU_DEP_1) | instskip(NEXT) | instid1(VALU_DEP_1)
	v_add_nc_u32_e32 v5, v4, v39
	v_add_nc_u32_e32 v6, v5, v37
	s_delay_alu instid0(VALU_DEP_1) | instskip(NEXT) | instid1(VALU_DEP_1)
	v_add_nc_u32_e32 v7, v6, v56
	;; [unrolled: 3-line block ×5, first 2 shown]
	v_add_nc_u32_e32 v14, v13, v29
	s_branch .LBB1800_71
.LBB1800_62:
	v_mov_b32_dpp v2, v64 row_shr:1 row_mask:0xf bank_mask:0xf
	s_delay_alu instid0(VALU_DEP_1) | instskip(NEXT) | instid1(VALU_DEP_1)
	v_cndmask_b32_e64 v2, v2, 0, s5
	v_add_nc_u32_e32 v2, v2, v64
	s_delay_alu instid0(VALU_DEP_1) | instskip(NEXT) | instid1(VALU_DEP_1)
	v_mov_b32_dpp v3, v2 row_shr:2 row_mask:0xf bank_mask:0xf
	v_cndmask_b32_e64 v3, 0, v3, s4
	s_delay_alu instid0(VALU_DEP_1) | instskip(NEXT) | instid1(VALU_DEP_1)
	v_add_nc_u32_e32 v2, v2, v3
	v_mov_b32_dpp v3, v2 row_shr:4 row_mask:0xf bank_mask:0xf
	s_delay_alu instid0(VALU_DEP_1) | instskip(NEXT) | instid1(VALU_DEP_1)
	v_cndmask_b32_e64 v3, 0, v3, s3
	v_add_nc_u32_e32 v2, v2, v3
	s_delay_alu instid0(VALU_DEP_1) | instskip(NEXT) | instid1(VALU_DEP_1)
	v_mov_b32_dpp v3, v2 row_shr:8 row_mask:0xf bank_mask:0xf
	v_cndmask_b32_e64 v3, 0, v3, s2
	s_delay_alu instid0(VALU_DEP_1) | instskip(SKIP_3) | instid1(VALU_DEP_1)
	v_add_nc_u32_e32 v2, v2, v3
	ds_swizzle_b32 v3, v2 offset:swizzle(BROADCAST,32,15)
	s_wait_dscnt 0x0
	v_cndmask_b32_e64 v3, v3, 0, s1
	v_add_nc_u32_e32 v2, v2, v3
	s_and_saveexec_b32 s1, s0
; %bb.63:
	v_lshlrev_b32_e32 v3, 2, v63
	ds_store_b32 v3, v2
; %bb.64:
	s_or_b32 exec_lo, exec_lo, s1
	s_delay_alu instid0(SALU_CYCLE_1)
	s_mov_b32 s0, exec_lo
	s_wait_dscnt 0x0
	s_barrier_signal -1
	s_barrier_wait -1
	v_cmpx_gt_u32_e32 8, v0
	s_cbranch_execz .LBB1800_66
; %bb.65:
	ds_load_b32 v3, v19
	s_wait_dscnt 0x0
	v_mov_b32_dpp v5, v3 row_shr:1 row_mask:0xf bank_mask:0xf
	v_and_b32_e32 v4, 7, v62
	s_delay_alu instid0(VALU_DEP_1) | instskip(NEXT) | instid1(VALU_DEP_3)
	v_cmp_ne_u32_e32 vcc_lo, 0, v4
	v_cndmask_b32_e32 v5, 0, v5, vcc_lo
	v_cmp_lt_u32_e32 vcc_lo, 1, v4
	s_delay_alu instid0(VALU_DEP_2) | instskip(NEXT) | instid1(VALU_DEP_1)
	v_add_nc_u32_e32 v3, v5, v3
	v_mov_b32_dpp v5, v3 row_shr:2 row_mask:0xf bank_mask:0xf
	s_delay_alu instid0(VALU_DEP_1) | instskip(SKIP_1) | instid1(VALU_DEP_2)
	v_cndmask_b32_e32 v5, 0, v5, vcc_lo
	v_cmp_lt_u32_e32 vcc_lo, 3, v4
	v_add_nc_u32_e32 v3, v3, v5
	s_delay_alu instid0(VALU_DEP_1) | instskip(NEXT) | instid1(VALU_DEP_1)
	v_mov_b32_dpp v5, v3 row_shr:4 row_mask:0xf bank_mask:0xf
	v_cndmask_b32_e32 v4, 0, v5, vcc_lo
	s_delay_alu instid0(VALU_DEP_1)
	v_add_nc_u32_e32 v3, v3, v4
	ds_store_b32 v19, v3
.LBB1800_66:
	s_or_b32 exec_lo, exec_lo, s0
	v_dual_mov_b32 v4, 0 :: v_dual_mov_b32 v3, 0
	s_mov_b32 s0, exec_lo
	s_wait_dscnt 0x0
	s_barrier_signal -1
	s_barrier_wait -1
	v_cmpx_lt_u32_e32 31, v0
; %bb.67:
	v_lshl_add_u32 v3, v63, 2, -4
	ds_load_b32 v3, v3
; %bb.68:
	s_or_b32 exec_lo, exec_lo, s0
	v_sub_co_u32 v5, vcc_lo, v62, 1
	ds_load_b32 v16, v4 offset:28
	v_cmp_gt_i32_e64 s0, 0, v5
	s_delay_alu instid0(VALU_DEP_1) | instskip(SKIP_3) | instid1(VALU_DEP_3)
	v_cndmask_b32_e64 v5, v5, v62, s0
	s_wait_dscnt 0x1
	v_add_nc_u32_e32 v2, v3, v2
	v_cmp_eq_u32_e64 s0, 0, v0
	v_lshlrev_b32_e32 v5, 2, v5
	ds_bpermute_b32 v2, v5, v2
	s_and_saveexec_b32 s1, s0
	s_cbranch_execz .LBB1800_70
; %bb.69:
	v_dual_mov_b32 v4, 0 :: v_dual_mov_b32 v17, 2
	s_wait_dscnt 0x1
	s_wait_kmcnt 0x0
	global_store_b64 v4, v[16:17], s[20:21] offset:256 scope:SCOPE_DEV
.LBB1800_70:
	s_wait_xcnt 0x0
	s_or_b32 exec_lo, exec_lo, s1
	s_wait_dscnt 0x0
	v_cndmask_b32_e32 v2, v2, v3, vcc_lo
	s_wait_storecnt 0x0
	s_barrier_signal -1
	s_barrier_wait -1
	s_delay_alu instid0(VALU_DEP_1) | instskip(NEXT) | instid1(VALU_DEP_1)
	v_cndmask_b32_e64 v2, v2, 0, s0
	v_dual_mov_b32 v54, 0 :: v_dual_add_nc_u32 v3, v2, v55
	s_delay_alu instid0(VALU_DEP_1) | instskip(NEXT) | instid1(VALU_DEP_1)
	v_add_nc_u32_e32 v4, v3, v41
	v_add_nc_u32_e32 v5, v4, v39
	s_delay_alu instid0(VALU_DEP_1) | instskip(NEXT) | instid1(VALU_DEP_1)
	v_add_nc_u32_e32 v6, v5, v37
	v_add_nc_u32_e32 v7, v6, v56
	;; [unrolled: 3-line block ×5, first 2 shown]
	s_delay_alu instid0(VALU_DEP_1)
	v_add_nc_u32_e32 v14, v13, v29
.LBB1800_71:
	v_dual_lshrrev_b32 v55, 16, v35 :: v_dual_lshrrev_b32 v56, 8, v35
	v_dual_add_nc_u32 v23, v16, v23 :: v_dual_sub_nc_u32 v3, v3, v54
	v_dual_sub_nc_u32 v2, v2, v54 :: v_dual_bitop2_b32 v35, 1, v35 bitop3:0x40
	s_delay_alu instid0(VALU_DEP_3) | instskip(NEXT) | instid1(VALU_DEP_4)
	v_dual_sub_nc_u32 v4, v4, v54 :: v_dual_bitop2_b32 v56, 1, v56 bitop3:0x40
	v_and_b32_e32 v55, 1, v55
	s_delay_alu instid0(VALU_DEP_3) | instskip(NEXT) | instid1(VALU_DEP_4)
	v_dual_sub_nc_u32 v57, v23, v3 :: v_dual_sub_nc_u32 v58, v23, v2
	v_cmp_eq_u32_e32 vcc_lo, 1, v35
	s_delay_alu instid0(VALU_DEP_4) | instskip(NEXT) | instid1(VALU_DEP_3)
	v_dual_sub_nc_u32 v5, v5, v54 :: v_dual_sub_nc_u32 v59, v23, v4
	v_dual_add_nc_u32 v57, 1, v57 :: v_dual_sub_nc_u32 v6, v6, v54
	s_delay_alu instid0(VALU_DEP_4) | instskip(SKIP_1) | instid1(VALU_DEP_4)
	v_cndmask_b32_e32 v2, v58, v2, vcc_lo
	v_cmp_eq_u32_e32 vcc_lo, 1, v56
	v_dual_sub_nc_u32 v35, v23, v5 :: v_dual_add_nc_u32 v56, 2, v59
	v_dual_lshrrev_b32 v41, 8, v31 :: v_dual_lshrrev_b32 v39, 16, v31
	v_dual_cndmask_b32 v3, v57, v3, vcc_lo :: v_dual_bitop2_b32 v37, 1, v37 bitop3:0x40
	v_lshlrev_b32_e32 v2, 2, v2
	v_cmp_eq_u32_e32 vcc_lo, 1, v55
	v_add_nc_u32_e32 v35, 3, v35
	s_delay_alu instid0(VALU_DEP_4)
	v_lshlrev_b32_e32 v3, 2, v3
	v_dual_lshrrev_b32 v15, 16, v27 :: v_dual_lshrrev_b32 v17, 8, v27
	v_cndmask_b32_e32 v4, v56, v4, vcc_lo
	v_cmp_eq_u32_e32 vcc_lo, 1, v37
	ds_store_b32 v2, v52
	ds_store_b32 v3, v53
	v_dual_lshlrev_b32 v3, 2, v4 :: v_dual_cndmask_b32 v5, v35, v5, vcc_lo
	s_delay_alu instid0(VALU_DEP_1) | instskip(SKIP_1) | instid1(VALU_DEP_2)
	v_dual_sub_nc_u32 v2, v23, v6 :: v_dual_lshlrev_b32 v4, 2, v5
	v_dual_sub_nc_u32 v5, v7, v54 :: v_dual_bitop2_b32 v7, 1, v31 bitop3:0x40
	v_add_nc_u32_e32 v2, 4, v2
	ds_store_b32 v3, v50
	ds_store_b32 v4, v51
	v_sub_nc_u32_e32 v3, v23, v5
	v_cmp_eq_u32_e32 vcc_lo, 1, v7
	s_delay_alu instid0(VALU_DEP_2) | instskip(SKIP_1) | instid1(VALU_DEP_2)
	v_dual_sub_nc_u32 v4, v8, v54 :: v_dual_add_nc_u32 v3, 5, v3
	v_dual_cndmask_b32 v2, v2, v6, vcc_lo :: v_dual_bitop2_b32 v6, 1, v41 bitop3:0x40
	v_dual_sub_nc_u32 v7, v9, v54 :: v_dual_sub_nc_u32 v8, v23, v4
	s_delay_alu instid0(VALU_DEP_2) | instskip(NEXT) | instid1(VALU_DEP_2)
	v_cmp_eq_u32_e32 vcc_lo, 1, v6
	v_dual_lshlrev_b32 v2, 2, v2 :: v_dual_add_nc_u32 v8, 6, v8
	v_cndmask_b32_e32 v3, v3, v5, vcc_lo
	s_delay_alu instid0(VALU_DEP_4)
	v_sub_nc_u32_e32 v5, v23, v7
	v_and_b32_e32 v6, 1, v39
	ds_store_b32 v2, v48
	v_dual_lshlrev_b32 v3, 2, v3 :: v_dual_add_nc_u32 v5, 7, v5
	v_cmp_eq_u32_e32 vcc_lo, 1, v6
	v_dual_sub_nc_u32 v6, v11, v54 :: v_dual_bitop2_b32 v2, 1, v33 bitop3:0x40
	ds_store_b32 v3, v49
	v_cndmask_b32_e32 v4, v8, v4, vcc_lo
	v_cmp_eq_u32_e32 vcc_lo, 1, v2
	s_delay_alu instid0(VALU_DEP_2)
	v_dual_lshlrev_b32 v4, 2, v4 :: v_dual_cndmask_b32 v2, v5, v7, vcc_lo
	v_dual_sub_nc_u32 v5, v10, v54 :: v_dual_bitop2_b32 v7, 1, v17 bitop3:0x40
	v_sub_nc_u32_e32 v3, v23, v6
	ds_store_b32 v4, v46
	v_dual_sub_nc_u32 v4, v23, v5 :: v_dual_lshlrev_b32 v2, 2, v2
	v_add_nc_u32_e32 v3, 9, v3
	v_cmp_eq_u32_e32 vcc_lo, 1, v7
	s_delay_alu instid0(VALU_DEP_3) | instskip(SKIP_3) | instid1(VALU_DEP_2)
	v_dual_sub_nc_u32 v7, v12, v54 :: v_dual_add_nc_u32 v4, 8, v4
	ds_store_b32 v2, v47
	v_dual_cndmask_b32 v3, v3, v6, vcc_lo :: v_dual_bitop2_b32 v2, 1, v27 bitop3:0x40
	v_dual_sub_nc_u32 v6, v13, v54 :: v_dual_sub_nc_u32 v8, v14, v54
	v_cmp_eq_u32_e32 vcc_lo, 1, v2
	v_dual_cndmask_b32 v2, v4, v5 :: v_dual_sub_nc_u32 v5, v23, v7
	s_delay_alu instid0(VALU_DEP_3) | instskip(SKIP_1) | instid1(VALU_DEP_3)
	v_dual_sub_nc_u32 v4, v23, v6 :: v_dual_sub_nc_u32 v9, v23, v8
	v_and_b32_e32 v10, 1, v15
	v_dual_lshlrev_b32 v2, 2, v2 :: v_dual_bitop2_b32 v12, 1, v25 bitop3:0x40
	s_delay_alu instid0(VALU_DEP_3) | instskip(NEXT) | instid1(VALU_DEP_1)
	v_dual_add_nc_u32 v4, 11, v4 :: v_dual_bitop2_b32 v11, 1, v29 bitop3:0x40
	v_cmp_eq_u32_e32 vcc_lo, 1, v11
	s_delay_alu instid0(VALU_DEP_2) | instskip(SKIP_3) | instid1(VALU_DEP_1)
	v_cndmask_b32_e32 v4, v4, v6, vcc_lo
	v_cmp_eq_u32_e32 vcc_lo, 1, v10
	v_add_nc_u32_e32 v9, 12, v9
	v_add_nc_u32_e32 v5, 10, v5
	v_cndmask_b32_e32 v5, v5, v7, vcc_lo
	v_cmp_eq_u32_e32 vcc_lo, 1, v12
	s_delay_alu instid0(VALU_DEP_2) | instskip(SKIP_3) | instid1(VALU_DEP_3)
	v_dual_lshlrev_b32 v3, 2, v3 :: v_dual_lshlrev_b32 v5, 2, v5
	v_cndmask_b32_e32 v6, v9, v8, vcc_lo
	v_lshlrev_b32_e32 v4, 2, v4
	v_cmp_ne_u32_e32 vcc_lo, 1, v21
	v_lshlrev_b32_e32 v6, 2, v6
	ds_store_b32 v2, v44
	ds_store_b32 v3, v45
	;; [unrolled: 1-line block ×5, first 2 shown]
	s_wait_dscnt 0x0
	s_barrier_signal -1
	s_barrier_wait -1
	ds_load_2addr_stride64_b32 v[14:15], v19 offset1:4
	ds_load_2addr_stride64_b32 v[12:13], v19 offset0:8 offset1:12
	ds_load_2addr_stride64_b32 v[10:11], v19 offset0:16 offset1:20
	;; [unrolled: 1-line block ×5, first 2 shown]
	ds_load_b32 v46, v19 offset:12288
	v_mov_b32_e32 v1, 0
	s_and_b32 vcc_lo, exec_lo, vcc_lo
	s_delay_alu instid0(VALU_DEP_1) | instskip(SKIP_3) | instid1(VALU_DEP_3)
	v_dual_mov_b32 v29, v1 :: v_dual_mov_b32 v55, v1
	v_dual_mov_b32 v41, v1 :: v_dual_mov_b32 v39, v1
	;; [unrolled: 1-line block ×3, first 2 shown]
	s_wait_kmcnt 0x0
	v_add_nc_u64_e32 v[2:3], s[18:19], v[54:55]
	v_dual_mov_b32 v33, v1 :: v_dual_mov_b32 v31, v1
	v_dual_mov_b32 v27, v1 :: v_dual_mov_b32 v25, v1
	;; [unrolled: 1-line block ×3, first 2 shown]
	v_mov_b32_e32 v19, v1
	s_cbranch_vccnz .LBB1800_125
; %bb.72:
	v_mov_b32_e32 v17, v1
	s_mov_b32 s11, 0
	v_sub_nc_u64_e64 v[42:43], v[2:3], s[12:13]
	s_sub_nc_u64 s[0:1], s[14:15], s[10:11]
	s_delay_alu instid0(VALU_DEP_2) | instid1(SALU_CYCLE_1)
	v_add_nc_u64_e32 v[44:45], s[0:1], v[16:17]
	s_mov_b32 s0, exec_lo
	s_delay_alu instid0(VALU_DEP_1)
	v_add_nc_u64_e32 v[42:43], v[44:45], v[42:43]
                                        ; implicit-def: $vgpr44_vgpr45
	v_cmpx_ge_u32_e64 v0, v16
	s_xor_b32 s0, exec_lo, s0
; %bb.73:
	v_not_b32_e32 v44, v0
	s_delay_alu instid0(VALU_DEP_1) | instskip(NEXT) | instid1(VALU_DEP_1)
	v_ashrrev_i32_e32 v45, 31, v44
	v_add_nc_u64_e32 v[44:45], v[42:43], v[44:45]
; %bb.74:
	s_and_not1_saveexec_b32 s0, s0
; %bb.75:
	v_add_nc_u64_e32 v[44:45], v[2:3], v[0:1]
; %bb.76:
	s_or_b32 exec_lo, exec_lo, s0
	s_delay_alu instid0(VALU_DEP_1)
	v_lshl_add_u64 v[44:45], v[44:45], 2, s[16:17]
	s_mov_b32 s0, exec_lo
	s_wait_dscnt 0x6
	global_store_b32 v[44:45], v14, off
                                        ; implicit-def: $vgpr44_vgpr45
	s_wait_xcnt 0x0
	v_cmpx_ge_u32_e64 v40, v16
	s_xor_b32 s0, exec_lo, s0
; %bb.77:
	v_xor_b32_e32 v44, 0xfffffeff, v0
	s_delay_alu instid0(VALU_DEP_1) | instskip(NEXT) | instid1(VALU_DEP_1)
	v_ashrrev_i32_e32 v45, 31, v44
	v_add_nc_u64_e32 v[44:45], v[42:43], v[44:45]
; %bb.78:
	s_and_not1_saveexec_b32 s0, s0
; %bb.79:
	v_add_nc_u64_e32 v[44:45], v[2:3], v[40:41]
; %bb.80:
	s_or_b32 exec_lo, exec_lo, s0
	s_delay_alu instid0(VALU_DEP_1)
	v_lshl_add_u64 v[44:45], v[44:45], 2, s[16:17]
	s_mov_b32 s0, exec_lo
	global_store_b32 v[44:45], v15, off
                                        ; implicit-def: $vgpr44_vgpr45
	s_wait_xcnt 0x0
	v_cmpx_ge_u32_e64 v38, v16
	s_xor_b32 s0, exec_lo, s0
; %bb.81:
	v_xor_b32_e32 v44, 0xfffffdff, v0
	s_delay_alu instid0(VALU_DEP_1) | instskip(NEXT) | instid1(VALU_DEP_1)
	v_ashrrev_i32_e32 v45, 31, v44
	v_add_nc_u64_e32 v[44:45], v[42:43], v[44:45]
; %bb.82:
	s_and_not1_saveexec_b32 s0, s0
; %bb.83:
	v_add_nc_u64_e32 v[44:45], v[2:3], v[38:39]
; %bb.84:
	s_or_b32 exec_lo, exec_lo, s0
	s_delay_alu instid0(VALU_DEP_1)
	v_lshl_add_u64 v[44:45], v[44:45], 2, s[16:17]
	s_mov_b32 s0, exec_lo
	s_wait_dscnt 0x5
	global_store_b32 v[44:45], v12, off
                                        ; implicit-def: $vgpr44_vgpr45
	s_wait_xcnt 0x0
	v_cmpx_ge_u32_e64 v36, v16
	s_xor_b32 s0, exec_lo, s0
; %bb.85:
	v_xor_b32_e32 v44, 0xfffffcff, v0
	s_delay_alu instid0(VALU_DEP_1) | instskip(NEXT) | instid1(VALU_DEP_1)
	v_ashrrev_i32_e32 v45, 31, v44
	v_add_nc_u64_e32 v[44:45], v[42:43], v[44:45]
; %bb.86:
	s_and_not1_saveexec_b32 s0, s0
; %bb.87:
	v_add_nc_u64_e32 v[44:45], v[2:3], v[36:37]
; %bb.88:
	s_or_b32 exec_lo, exec_lo, s0
	s_delay_alu instid0(VALU_DEP_1)
	v_lshl_add_u64 v[44:45], v[44:45], 2, s[16:17]
	s_mov_b32 s0, exec_lo
	global_store_b32 v[44:45], v13, off
                                        ; implicit-def: $vgpr44_vgpr45
	s_wait_xcnt 0x0
	v_cmpx_ge_u32_e64 v34, v16
	s_xor_b32 s0, exec_lo, s0
; %bb.89:
	v_xor_b32_e32 v44, 0xfffffbff, v0
	;; [unrolled: 39-line block ×6, first 2 shown]
	s_delay_alu instid0(VALU_DEP_1) | instskip(NEXT) | instid1(VALU_DEP_1)
	v_ashrrev_i32_e32 v45, 31, v44
	v_add_nc_u64_e32 v[44:45], v[42:43], v[44:45]
; %bb.122:
	s_and_not1_saveexec_b32 s0, s0
; %bb.123:
	v_add_nc_u64_e32 v[44:45], v[2:3], v[18:19]
; %bb.124:
	s_or_b32 exec_lo, exec_lo, s0
	s_mov_b32 s0, -1
	s_branch .LBB1800_205
.LBB1800_125:
	s_mov_b32 s0, 0
                                        ; implicit-def: $vgpr44_vgpr45
	s_cbranch_execz .LBB1800_205
; %bb.126:
	s_mov_b32 s11, 0
	v_mov_b32_e32 v17, 0
	s_add_nc_u64 s[2:3], s[12:13], s[10:11]
	s_mov_b32 s1, exec_lo
	s_sub_nc_u64 s[2:3], s[14:15], s[2:3]
	s_delay_alu instid0(VALU_DEP_1) | instid1(SALU_CYCLE_1)
	v_add_nc_u64_e32 v[42:43], s[2:3], v[16:17]
	s_delay_alu instid0(VALU_DEP_1)
	v_add_nc_u64_e32 v[42:43], v[42:43], v[2:3]
	v_cmpx_gt_u32_e64 s23, v0
	s_cbranch_execz .LBB1800_162
; %bb.127:
	s_mov_b32 s2, exec_lo
                                        ; implicit-def: $vgpr44_vgpr45
	v_cmpx_ge_u32_e64 v0, v16
	s_xor_b32 s2, exec_lo, s2
; %bb.128:
	v_not_b32_e32 v44, v0
	s_delay_alu instid0(VALU_DEP_1) | instskip(NEXT) | instid1(VALU_DEP_1)
	v_ashrrev_i32_e32 v45, 31, v44
	v_add_nc_u64_e32 v[44:45], v[42:43], v[44:45]
; %bb.129:
	s_and_not1_saveexec_b32 s2, s2
; %bb.130:
	v_add_nc_u64_e32 v[44:45], v[2:3], v[0:1]
; %bb.131:
	s_or_b32 exec_lo, exec_lo, s2
	s_delay_alu instid0(VALU_DEP_1) | instskip(SKIP_4) | instid1(SALU_CYCLE_1)
	v_lshl_add_u64 v[44:45], v[44:45], 2, s[16:17]
	s_wait_dscnt 0x6
	global_store_b32 v[44:45], v14, off
	s_wait_xcnt 0x0
	s_or_b32 exec_lo, exec_lo, s1
	s_mov_b32 s1, exec_lo
	v_cmpx_gt_u32_e64 s23, v40
	s_cbranch_execnz .LBB1800_163
.LBB1800_132:
	s_or_b32 exec_lo, exec_lo, s1
	s_delay_alu instid0(SALU_CYCLE_1)
	s_mov_b32 s1, exec_lo
	v_cmpx_gt_u32_e64 s23, v38
	s_cbranch_execz .LBB1800_168
.LBB1800_133:
	s_mov_b32 s2, exec_lo
                                        ; implicit-def: $vgpr14_vgpr15
	v_cmpx_ge_u32_e64 v38, v16
	s_xor_b32 s2, exec_lo, s2
	s_cbranch_execz .LBB1800_135
; %bb.134:
	s_wait_dscnt 0x6
	v_xor_b32_e32 v14, 0xfffffdff, v0
                                        ; implicit-def: $vgpr38_vgpr39
	s_delay_alu instid0(VALU_DEP_1) | instskip(NEXT) | instid1(VALU_DEP_1)
	v_ashrrev_i32_e32 v15, 31, v14
	v_add_nc_u64_e32 v[14:15], v[42:43], v[14:15]
.LBB1800_135:
	s_and_not1_saveexec_b32 s2, s2
	s_cbranch_execz .LBB1800_137
; %bb.136:
	s_wait_dscnt 0x6
	v_add_nc_u64_e32 v[14:15], v[2:3], v[38:39]
.LBB1800_137:
	s_or_b32 exec_lo, exec_lo, s2
	s_wait_dscnt 0x6
	s_delay_alu instid0(VALU_DEP_1) | instskip(SKIP_4) | instid1(SALU_CYCLE_1)
	v_lshl_add_u64 v[14:15], v[14:15], 2, s[16:17]
	s_wait_dscnt 0x5
	global_store_b32 v[14:15], v12, off
	s_wait_xcnt 0x0
	s_or_b32 exec_lo, exec_lo, s1
	s_mov_b32 s1, exec_lo
	v_cmpx_gt_u32_e64 s23, v36
	s_cbranch_execnz .LBB1800_169
.LBB1800_138:
	s_or_b32 exec_lo, exec_lo, s1
	s_delay_alu instid0(SALU_CYCLE_1)
	s_mov_b32 s1, exec_lo
	v_cmpx_gt_u32_e64 s23, v34
	s_cbranch_execz .LBB1800_174
.LBB1800_139:
	s_mov_b32 s2, exec_lo
                                        ; implicit-def: $vgpr12_vgpr13
	v_cmpx_ge_u32_e64 v34, v16
	s_xor_b32 s2, exec_lo, s2
	s_cbranch_execz .LBB1800_141
; %bb.140:
	s_wait_dscnt 0x5
	v_xor_b32_e32 v12, 0xfffffbff, v0
                                        ; implicit-def: $vgpr34_vgpr35
	s_delay_alu instid0(VALU_DEP_1) | instskip(NEXT) | instid1(VALU_DEP_1)
	v_ashrrev_i32_e32 v13, 31, v12
	v_add_nc_u64_e32 v[12:13], v[42:43], v[12:13]
.LBB1800_141:
	s_and_not1_saveexec_b32 s2, s2
	s_cbranch_execz .LBB1800_143
; %bb.142:
	s_wait_dscnt 0x5
	v_add_nc_u64_e32 v[12:13], v[2:3], v[34:35]
.LBB1800_143:
	s_or_b32 exec_lo, exec_lo, s2
	s_wait_dscnt 0x5
	s_delay_alu instid0(VALU_DEP_1) | instskip(SKIP_4) | instid1(SALU_CYCLE_1)
	v_lshl_add_u64 v[12:13], v[12:13], 2, s[16:17]
	s_wait_dscnt 0x4
	global_store_b32 v[12:13], v10, off
	s_wait_xcnt 0x0
	s_or_b32 exec_lo, exec_lo, s1
	s_mov_b32 s1, exec_lo
	v_cmpx_gt_u32_e64 s23, v32
	s_cbranch_execnz .LBB1800_175
.LBB1800_144:
	s_or_b32 exec_lo, exec_lo, s1
	s_delay_alu instid0(SALU_CYCLE_1)
	s_mov_b32 s1, exec_lo
	v_cmpx_gt_u32_e64 s23, v30
	s_cbranch_execz .LBB1800_180
.LBB1800_145:
	s_mov_b32 s2, exec_lo
                                        ; implicit-def: $vgpr10_vgpr11
	v_cmpx_ge_u32_e64 v30, v16
	s_xor_b32 s2, exec_lo, s2
	s_cbranch_execz .LBB1800_147
; %bb.146:
	s_wait_dscnt 0x4
	v_xor_b32_e32 v10, 0xfffff9ff, v0
                                        ; implicit-def: $vgpr30_vgpr31
	s_delay_alu instid0(VALU_DEP_1) | instskip(NEXT) | instid1(VALU_DEP_1)
	v_ashrrev_i32_e32 v11, 31, v10
	v_add_nc_u64_e32 v[10:11], v[42:43], v[10:11]
.LBB1800_147:
	s_and_not1_saveexec_b32 s2, s2
	s_cbranch_execz .LBB1800_149
; %bb.148:
	s_wait_dscnt 0x4
	v_add_nc_u64_e32 v[10:11], v[2:3], v[30:31]
.LBB1800_149:
	s_or_b32 exec_lo, exec_lo, s2
	s_wait_dscnt 0x4
	s_delay_alu instid0(VALU_DEP_1) | instskip(SKIP_4) | instid1(SALU_CYCLE_1)
	v_lshl_add_u64 v[10:11], v[10:11], 2, s[16:17]
	s_wait_dscnt 0x3
	global_store_b32 v[10:11], v8, off
	s_wait_xcnt 0x0
	s_or_b32 exec_lo, exec_lo, s1
	s_mov_b32 s1, exec_lo
	v_cmpx_gt_u32_e64 s23, v28
	s_cbranch_execnz .LBB1800_181
.LBB1800_150:
	s_or_b32 exec_lo, exec_lo, s1
	s_delay_alu instid0(SALU_CYCLE_1)
	s_mov_b32 s1, exec_lo
	v_cmpx_gt_u32_e64 s23, v26
	s_cbranch_execz .LBB1800_186
.LBB1800_151:
	s_mov_b32 s2, exec_lo
                                        ; implicit-def: $vgpr8_vgpr9
	v_cmpx_ge_u32_e64 v26, v16
	s_xor_b32 s2, exec_lo, s2
	s_cbranch_execz .LBB1800_153
; %bb.152:
	s_wait_dscnt 0x3
	v_xor_b32_e32 v8, 0xfffff7ff, v0
                                        ; implicit-def: $vgpr26_vgpr27
	s_delay_alu instid0(VALU_DEP_1) | instskip(NEXT) | instid1(VALU_DEP_1)
	v_ashrrev_i32_e32 v9, 31, v8
	v_add_nc_u64_e32 v[8:9], v[42:43], v[8:9]
.LBB1800_153:
	s_and_not1_saveexec_b32 s2, s2
	s_cbranch_execz .LBB1800_155
; %bb.154:
	s_wait_dscnt 0x3
	v_add_nc_u64_e32 v[8:9], v[2:3], v[26:27]
.LBB1800_155:
	s_or_b32 exec_lo, exec_lo, s2
	s_wait_dscnt 0x3
	s_delay_alu instid0(VALU_DEP_1) | instskip(SKIP_4) | instid1(SALU_CYCLE_1)
	v_lshl_add_u64 v[8:9], v[8:9], 2, s[16:17]
	s_wait_dscnt 0x2
	global_store_b32 v[8:9], v6, off
	s_wait_xcnt 0x0
	s_or_b32 exec_lo, exec_lo, s1
	s_mov_b32 s1, exec_lo
	v_cmpx_gt_u32_e64 s23, v24
	s_cbranch_execnz .LBB1800_187
.LBB1800_156:
	s_or_b32 exec_lo, exec_lo, s1
	s_delay_alu instid0(SALU_CYCLE_1)
	s_mov_b32 s1, exec_lo
	v_cmpx_gt_u32_e64 s23, v22
	s_cbranch_execz .LBB1800_192
.LBB1800_157:
	s_mov_b32 s2, exec_lo
                                        ; implicit-def: $vgpr6_vgpr7
	v_cmpx_ge_u32_e64 v22, v16
	s_xor_b32 s2, exec_lo, s2
	s_cbranch_execz .LBB1800_159
; %bb.158:
	s_wait_dscnt 0x2
	v_xor_b32_e32 v6, 0xfffff5ff, v0
                                        ; implicit-def: $vgpr22_vgpr23
	s_delay_alu instid0(VALU_DEP_1) | instskip(NEXT) | instid1(VALU_DEP_1)
	v_ashrrev_i32_e32 v7, 31, v6
	v_add_nc_u64_e32 v[6:7], v[42:43], v[6:7]
.LBB1800_159:
	s_and_not1_saveexec_b32 s2, s2
	s_cbranch_execz .LBB1800_161
; %bb.160:
	s_wait_dscnt 0x2
	v_add_nc_u64_e32 v[6:7], v[2:3], v[22:23]
.LBB1800_161:
	s_or_b32 exec_lo, exec_lo, s2
	s_wait_dscnt 0x2
	s_delay_alu instid0(VALU_DEP_1) | instskip(SKIP_4) | instid1(SALU_CYCLE_1)
	v_lshl_add_u64 v[6:7], v[6:7], 2, s[16:17]
	s_wait_dscnt 0x1
	global_store_b32 v[6:7], v4, off
	s_wait_xcnt 0x0
	s_or_b32 exec_lo, exec_lo, s1
	s_mov_b32 s1, exec_lo
	v_cmpx_gt_u32_e64 s23, v20
	s_cbranch_execz .LBB1800_198
	s_branch .LBB1800_193
.LBB1800_162:
	s_or_b32 exec_lo, exec_lo, s1
	s_delay_alu instid0(SALU_CYCLE_1)
	s_mov_b32 s1, exec_lo
	v_cmpx_gt_u32_e64 s23, v40
	s_cbranch_execz .LBB1800_132
.LBB1800_163:
	s_mov_b32 s2, exec_lo
                                        ; implicit-def: $vgpr44_vgpr45
	v_cmpx_ge_u32_e64 v40, v16
	s_xor_b32 s2, exec_lo, s2
; %bb.164:
	v_xor_b32_e32 v40, 0xfffffeff, v0
	s_delay_alu instid0(VALU_DEP_1) | instskip(NEXT) | instid1(VALU_DEP_1)
	v_ashrrev_i32_e32 v41, 31, v40
	v_add_nc_u64_e32 v[44:45], v[42:43], v[40:41]
                                        ; implicit-def: $vgpr40_vgpr41
; %bb.165:
	s_and_not1_saveexec_b32 s2, s2
; %bb.166:
	v_add_nc_u64_e32 v[44:45], v[2:3], v[40:41]
; %bb.167:
	s_or_b32 exec_lo, exec_lo, s2
	s_delay_alu instid0(VALU_DEP_1) | instskip(SKIP_4) | instid1(SALU_CYCLE_1)
	v_lshl_add_u64 v[40:41], v[44:45], 2, s[16:17]
	s_wait_dscnt 0x6
	global_store_b32 v[40:41], v15, off
	s_wait_xcnt 0x0
	s_or_b32 exec_lo, exec_lo, s1
	s_mov_b32 s1, exec_lo
	v_cmpx_gt_u32_e64 s23, v38
	s_cbranch_execnz .LBB1800_133
.LBB1800_168:
	s_or_b32 exec_lo, exec_lo, s1
	s_delay_alu instid0(SALU_CYCLE_1)
	s_mov_b32 s1, exec_lo
	v_cmpx_gt_u32_e64 s23, v36
	s_cbranch_execz .LBB1800_138
.LBB1800_169:
	s_mov_b32 s2, exec_lo
                                        ; implicit-def: $vgpr14_vgpr15
	v_cmpx_ge_u32_e64 v36, v16
	s_xor_b32 s2, exec_lo, s2
	s_cbranch_execz .LBB1800_171
; %bb.170:
	s_wait_dscnt 0x6
	v_xor_b32_e32 v14, 0xfffffcff, v0
                                        ; implicit-def: $vgpr36_vgpr37
	s_delay_alu instid0(VALU_DEP_1) | instskip(NEXT) | instid1(VALU_DEP_1)
	v_ashrrev_i32_e32 v15, 31, v14
	v_add_nc_u64_e32 v[14:15], v[42:43], v[14:15]
.LBB1800_171:
	s_and_not1_saveexec_b32 s2, s2
	s_cbranch_execz .LBB1800_173
; %bb.172:
	s_wait_dscnt 0x6
	v_add_nc_u64_e32 v[14:15], v[2:3], v[36:37]
.LBB1800_173:
	s_or_b32 exec_lo, exec_lo, s2
	s_wait_dscnt 0x6
	s_delay_alu instid0(VALU_DEP_1) | instskip(SKIP_4) | instid1(SALU_CYCLE_1)
	v_lshl_add_u64 v[14:15], v[14:15], 2, s[16:17]
	s_wait_dscnt 0x5
	global_store_b32 v[14:15], v13, off
	s_wait_xcnt 0x0
	s_or_b32 exec_lo, exec_lo, s1
	s_mov_b32 s1, exec_lo
	v_cmpx_gt_u32_e64 s23, v34
	s_cbranch_execnz .LBB1800_139
.LBB1800_174:
	s_or_b32 exec_lo, exec_lo, s1
	s_delay_alu instid0(SALU_CYCLE_1)
	s_mov_b32 s1, exec_lo
	v_cmpx_gt_u32_e64 s23, v32
	s_cbranch_execz .LBB1800_144
.LBB1800_175:
	s_mov_b32 s2, exec_lo
                                        ; implicit-def: $vgpr12_vgpr13
	v_cmpx_ge_u32_e64 v32, v16
	s_xor_b32 s2, exec_lo, s2
	s_cbranch_execz .LBB1800_177
; %bb.176:
	s_wait_dscnt 0x5
	v_xor_b32_e32 v12, 0xfffffaff, v0
                                        ; implicit-def: $vgpr32_vgpr33
	s_delay_alu instid0(VALU_DEP_1) | instskip(NEXT) | instid1(VALU_DEP_1)
	v_ashrrev_i32_e32 v13, 31, v12
	v_add_nc_u64_e32 v[12:13], v[42:43], v[12:13]
.LBB1800_177:
	s_and_not1_saveexec_b32 s2, s2
	s_cbranch_execz .LBB1800_179
; %bb.178:
	s_wait_dscnt 0x5
	v_add_nc_u64_e32 v[12:13], v[2:3], v[32:33]
.LBB1800_179:
	s_or_b32 exec_lo, exec_lo, s2
	s_wait_dscnt 0x5
	s_delay_alu instid0(VALU_DEP_1) | instskip(SKIP_4) | instid1(SALU_CYCLE_1)
	v_lshl_add_u64 v[12:13], v[12:13], 2, s[16:17]
	s_wait_dscnt 0x4
	global_store_b32 v[12:13], v11, off
	s_wait_xcnt 0x0
	s_or_b32 exec_lo, exec_lo, s1
	s_mov_b32 s1, exec_lo
	v_cmpx_gt_u32_e64 s23, v30
	s_cbranch_execnz .LBB1800_145
.LBB1800_180:
	s_or_b32 exec_lo, exec_lo, s1
	s_delay_alu instid0(SALU_CYCLE_1)
	s_mov_b32 s1, exec_lo
	v_cmpx_gt_u32_e64 s23, v28
	s_cbranch_execz .LBB1800_150
.LBB1800_181:
	s_mov_b32 s2, exec_lo
                                        ; implicit-def: $vgpr10_vgpr11
	v_cmpx_ge_u32_e64 v28, v16
	s_xor_b32 s2, exec_lo, s2
	s_cbranch_execz .LBB1800_183
; %bb.182:
	s_wait_dscnt 0x4
	v_xor_b32_e32 v10, 0xfffff8ff, v0
                                        ; implicit-def: $vgpr28_vgpr29
	s_delay_alu instid0(VALU_DEP_1) | instskip(NEXT) | instid1(VALU_DEP_1)
	v_ashrrev_i32_e32 v11, 31, v10
	v_add_nc_u64_e32 v[10:11], v[42:43], v[10:11]
.LBB1800_183:
	s_and_not1_saveexec_b32 s2, s2
	s_cbranch_execz .LBB1800_185
; %bb.184:
	s_wait_dscnt 0x4
	v_add_nc_u64_e32 v[10:11], v[2:3], v[28:29]
.LBB1800_185:
	s_or_b32 exec_lo, exec_lo, s2
	s_wait_dscnt 0x4
	s_delay_alu instid0(VALU_DEP_1) | instskip(SKIP_4) | instid1(SALU_CYCLE_1)
	v_lshl_add_u64 v[10:11], v[10:11], 2, s[16:17]
	s_wait_dscnt 0x3
	global_store_b32 v[10:11], v9, off
	s_wait_xcnt 0x0
	s_or_b32 exec_lo, exec_lo, s1
	s_mov_b32 s1, exec_lo
	v_cmpx_gt_u32_e64 s23, v26
	s_cbranch_execnz .LBB1800_151
.LBB1800_186:
	s_or_b32 exec_lo, exec_lo, s1
	s_delay_alu instid0(SALU_CYCLE_1)
	s_mov_b32 s1, exec_lo
	v_cmpx_gt_u32_e64 s23, v24
	s_cbranch_execz .LBB1800_156
.LBB1800_187:
	s_mov_b32 s2, exec_lo
                                        ; implicit-def: $vgpr8_vgpr9
	v_cmpx_ge_u32_e64 v24, v16
	s_xor_b32 s2, exec_lo, s2
	s_cbranch_execz .LBB1800_189
; %bb.188:
	s_wait_dscnt 0x3
	v_xor_b32_e32 v8, 0xfffff6ff, v0
                                        ; implicit-def: $vgpr24_vgpr25
	s_delay_alu instid0(VALU_DEP_1) | instskip(NEXT) | instid1(VALU_DEP_1)
	v_ashrrev_i32_e32 v9, 31, v8
	v_add_nc_u64_e32 v[8:9], v[42:43], v[8:9]
.LBB1800_189:
	s_and_not1_saveexec_b32 s2, s2
	s_cbranch_execz .LBB1800_191
; %bb.190:
	s_wait_dscnt 0x3
	v_add_nc_u64_e32 v[8:9], v[2:3], v[24:25]
.LBB1800_191:
	s_or_b32 exec_lo, exec_lo, s2
	s_wait_dscnt 0x3
	s_delay_alu instid0(VALU_DEP_1) | instskip(SKIP_4) | instid1(SALU_CYCLE_1)
	v_lshl_add_u64 v[8:9], v[8:9], 2, s[16:17]
	s_wait_dscnt 0x2
	global_store_b32 v[8:9], v7, off
	s_wait_xcnt 0x0
	s_or_b32 exec_lo, exec_lo, s1
	s_mov_b32 s1, exec_lo
	v_cmpx_gt_u32_e64 s23, v22
	s_cbranch_execnz .LBB1800_157
.LBB1800_192:
	s_or_b32 exec_lo, exec_lo, s1
	s_delay_alu instid0(SALU_CYCLE_1)
	s_mov_b32 s1, exec_lo
	v_cmpx_gt_u32_e64 s23, v20
	s_cbranch_execz .LBB1800_198
.LBB1800_193:
	s_mov_b32 s2, exec_lo
                                        ; implicit-def: $vgpr6_vgpr7
	v_cmpx_ge_u32_e64 v20, v16
	s_xor_b32 s2, exec_lo, s2
	s_cbranch_execz .LBB1800_195
; %bb.194:
	s_wait_dscnt 0x2
	v_xor_b32_e32 v6, 0xfffff4ff, v0
                                        ; implicit-def: $vgpr20_vgpr21
	s_delay_alu instid0(VALU_DEP_1) | instskip(NEXT) | instid1(VALU_DEP_1)
	v_ashrrev_i32_e32 v7, 31, v6
	v_add_nc_u64_e32 v[6:7], v[42:43], v[6:7]
.LBB1800_195:
	s_and_not1_saveexec_b32 s2, s2
	s_cbranch_execz .LBB1800_197
; %bb.196:
	s_wait_dscnt 0x2
	v_add_nc_u64_e32 v[6:7], v[2:3], v[20:21]
.LBB1800_197:
	s_or_b32 exec_lo, exec_lo, s2
	s_wait_dscnt 0x2
	s_delay_alu instid0(VALU_DEP_1)
	v_lshl_add_u64 v[6:7], v[6:7], 2, s[16:17]
	s_wait_dscnt 0x1
	global_store_b32 v[6:7], v5, off
.LBB1800_198:
	s_wait_xcnt 0x0
	s_or_b32 exec_lo, exec_lo, s1
	s_delay_alu instid0(SALU_CYCLE_1)
	s_mov_b32 s1, exec_lo
                                        ; implicit-def: $vgpr44_vgpr45
	v_cmpx_gt_u32_e64 s23, v18
	s_cbranch_execz .LBB1800_204
; %bb.199:
	s_mov_b32 s2, exec_lo
                                        ; implicit-def: $vgpr44_vgpr45
	v_cmpx_ge_u32_e64 v18, v16
	s_xor_b32 s2, exec_lo, s2
	s_cbranch_execz .LBB1800_201
; %bb.200:
	s_wait_dscnt 0x1
	v_xor_b32_e32 v4, 0xfffff3ff, v0
                                        ; implicit-def: $vgpr18_vgpr19
	s_delay_alu instid0(VALU_DEP_1) | instskip(NEXT) | instid1(VALU_DEP_1)
	v_ashrrev_i32_e32 v5, 31, v4
	v_add_nc_u64_e32 v[44:45], v[42:43], v[4:5]
.LBB1800_201:
	s_and_not1_saveexec_b32 s2, s2
; %bb.202:
	v_add_nc_u64_e32 v[44:45], v[2:3], v[18:19]
; %bb.203:
	s_or_b32 exec_lo, exec_lo, s2
	s_delay_alu instid0(SALU_CYCLE_1)
	s_or_b32 s0, s0, exec_lo
.LBB1800_204:
	s_or_b32 exec_lo, exec_lo, s1
.LBB1800_205:
	s_and_saveexec_b32 s1, s0
	s_cbranch_execz .LBB1800_207
; %bb.206:
	s_wait_dscnt 0x1
	v_lshl_add_u64 v[4:5], v[44:45], 2, s[16:17]
	s_wait_dscnt 0x0
	global_store_b32 v[4:5], v46, off
.LBB1800_207:
	s_wait_xcnt 0x0
	s_or_b32 exec_lo, exec_lo, s1
	v_cmp_eq_u32_e32 vcc_lo, 0, v0
	s_and_b32 s0, vcc_lo, s22
	s_delay_alu instid0(SALU_CYCLE_1)
	s_and_saveexec_b32 s1, s0
	s_cbranch_execz .LBB1800_209
; %bb.208:
	v_mov_b32_e32 v17, 0
	s_delay_alu instid0(VALU_DEP_1)
	v_add_nc_u64_e32 v[0:1], v[2:3], v[16:17]
	global_store_b64 v17, v[0:1], s[8:9]
.LBB1800_209:
	s_sendmsg sendmsg(MSG_DEALLOC_VGPRS)
	s_endpgm
	.section	.rodata,"a",@progbits
	.p2align	6, 0x0
	.amdhsa_kernel _ZN7rocprim17ROCPRIM_400000_NS6detail17trampoline_kernelINS0_13select_configILj256ELj13ELNS0_17block_load_methodE3ELS4_3ELS4_3ELNS0_20block_scan_algorithmE0ELj4294967295EEENS1_25partition_config_selectorILNS1_17partition_subalgoE3EjNS0_10empty_typeEbEEZZNS1_14partition_implILS8_3ELb0ES6_jNS0_17counting_iteratorIjlEEPS9_SE_NS0_5tupleIJPjSE_EEENSF_IJSE_SE_EEES9_SG_JZNS1_25segmented_radix_sort_implINS0_14default_configELb0EPK6__halfPSL_PKlPlN2at6native12_GLOBAL__N_18offset_tEEE10hipError_tPvRmT1_PNSt15iterator_traitsISZ_E10value_typeET2_T3_PNS10_IS15_E10value_typeET4_jRbjT5_S1B_jjP12ihipStream_tbEUljE_EEESW_SX_SY_S15_S19_S1B_T6_T7_T9_mT8_S1D_bDpT10_ENKUlT_T0_E_clISt17integral_constantIbLb0EES1Q_EEDaS1L_S1M_EUlS1L_E_NS1_11comp_targetILNS1_3genE0ELNS1_11target_archE4294967295ELNS1_3gpuE0ELNS1_3repE0EEENS1_30default_config_static_selectorELNS0_4arch9wavefront6targetE0EEEvSZ_
		.amdhsa_group_segment_fixed_size 13320
		.amdhsa_private_segment_fixed_size 0
		.amdhsa_kernarg_size 144
		.amdhsa_user_sgpr_count 2
		.amdhsa_user_sgpr_dispatch_ptr 0
		.amdhsa_user_sgpr_queue_ptr 0
		.amdhsa_user_sgpr_kernarg_segment_ptr 1
		.amdhsa_user_sgpr_dispatch_id 0
		.amdhsa_user_sgpr_kernarg_preload_length 0
		.amdhsa_user_sgpr_kernarg_preload_offset 0
		.amdhsa_user_sgpr_private_segment_size 0
		.amdhsa_wavefront_size32 1
		.amdhsa_uses_dynamic_stack 0
		.amdhsa_enable_private_segment 0
		.amdhsa_system_sgpr_workgroup_id_x 1
		.amdhsa_system_sgpr_workgroup_id_y 0
		.amdhsa_system_sgpr_workgroup_id_z 0
		.amdhsa_system_sgpr_workgroup_info 0
		.amdhsa_system_vgpr_workitem_id 0
		.amdhsa_next_free_vgpr 69
		.amdhsa_next_free_sgpr 26
		.amdhsa_named_barrier_count 0
		.amdhsa_reserve_vcc 1
		.amdhsa_float_round_mode_32 0
		.amdhsa_float_round_mode_16_64 0
		.amdhsa_float_denorm_mode_32 3
		.amdhsa_float_denorm_mode_16_64 3
		.amdhsa_fp16_overflow 0
		.amdhsa_memory_ordered 1
		.amdhsa_forward_progress 1
		.amdhsa_inst_pref_size 70
		.amdhsa_round_robin_scheduling 0
		.amdhsa_exception_fp_ieee_invalid_op 0
		.amdhsa_exception_fp_denorm_src 0
		.amdhsa_exception_fp_ieee_div_zero 0
		.amdhsa_exception_fp_ieee_overflow 0
		.amdhsa_exception_fp_ieee_underflow 0
		.amdhsa_exception_fp_ieee_inexact 0
		.amdhsa_exception_int_div_zero 0
	.end_amdhsa_kernel
	.section	.text._ZN7rocprim17ROCPRIM_400000_NS6detail17trampoline_kernelINS0_13select_configILj256ELj13ELNS0_17block_load_methodE3ELS4_3ELS4_3ELNS0_20block_scan_algorithmE0ELj4294967295EEENS1_25partition_config_selectorILNS1_17partition_subalgoE3EjNS0_10empty_typeEbEEZZNS1_14partition_implILS8_3ELb0ES6_jNS0_17counting_iteratorIjlEEPS9_SE_NS0_5tupleIJPjSE_EEENSF_IJSE_SE_EEES9_SG_JZNS1_25segmented_radix_sort_implINS0_14default_configELb0EPK6__halfPSL_PKlPlN2at6native12_GLOBAL__N_18offset_tEEE10hipError_tPvRmT1_PNSt15iterator_traitsISZ_E10value_typeET2_T3_PNS10_IS15_E10value_typeET4_jRbjT5_S1B_jjP12ihipStream_tbEUljE_EEESW_SX_SY_S15_S19_S1B_T6_T7_T9_mT8_S1D_bDpT10_ENKUlT_T0_E_clISt17integral_constantIbLb0EES1Q_EEDaS1L_S1M_EUlS1L_E_NS1_11comp_targetILNS1_3genE0ELNS1_11target_archE4294967295ELNS1_3gpuE0ELNS1_3repE0EEENS1_30default_config_static_selectorELNS0_4arch9wavefront6targetE0EEEvSZ_,"axG",@progbits,_ZN7rocprim17ROCPRIM_400000_NS6detail17trampoline_kernelINS0_13select_configILj256ELj13ELNS0_17block_load_methodE3ELS4_3ELS4_3ELNS0_20block_scan_algorithmE0ELj4294967295EEENS1_25partition_config_selectorILNS1_17partition_subalgoE3EjNS0_10empty_typeEbEEZZNS1_14partition_implILS8_3ELb0ES6_jNS0_17counting_iteratorIjlEEPS9_SE_NS0_5tupleIJPjSE_EEENSF_IJSE_SE_EEES9_SG_JZNS1_25segmented_radix_sort_implINS0_14default_configELb0EPK6__halfPSL_PKlPlN2at6native12_GLOBAL__N_18offset_tEEE10hipError_tPvRmT1_PNSt15iterator_traitsISZ_E10value_typeET2_T3_PNS10_IS15_E10value_typeET4_jRbjT5_S1B_jjP12ihipStream_tbEUljE_EEESW_SX_SY_S15_S19_S1B_T6_T7_T9_mT8_S1D_bDpT10_ENKUlT_T0_E_clISt17integral_constantIbLb0EES1Q_EEDaS1L_S1M_EUlS1L_E_NS1_11comp_targetILNS1_3genE0ELNS1_11target_archE4294967295ELNS1_3gpuE0ELNS1_3repE0EEENS1_30default_config_static_selectorELNS0_4arch9wavefront6targetE0EEEvSZ_,comdat
.Lfunc_end1800:
	.size	_ZN7rocprim17ROCPRIM_400000_NS6detail17trampoline_kernelINS0_13select_configILj256ELj13ELNS0_17block_load_methodE3ELS4_3ELS4_3ELNS0_20block_scan_algorithmE0ELj4294967295EEENS1_25partition_config_selectorILNS1_17partition_subalgoE3EjNS0_10empty_typeEbEEZZNS1_14partition_implILS8_3ELb0ES6_jNS0_17counting_iteratorIjlEEPS9_SE_NS0_5tupleIJPjSE_EEENSF_IJSE_SE_EEES9_SG_JZNS1_25segmented_radix_sort_implINS0_14default_configELb0EPK6__halfPSL_PKlPlN2at6native12_GLOBAL__N_18offset_tEEE10hipError_tPvRmT1_PNSt15iterator_traitsISZ_E10value_typeET2_T3_PNS10_IS15_E10value_typeET4_jRbjT5_S1B_jjP12ihipStream_tbEUljE_EEESW_SX_SY_S15_S19_S1B_T6_T7_T9_mT8_S1D_bDpT10_ENKUlT_T0_E_clISt17integral_constantIbLb0EES1Q_EEDaS1L_S1M_EUlS1L_E_NS1_11comp_targetILNS1_3genE0ELNS1_11target_archE4294967295ELNS1_3gpuE0ELNS1_3repE0EEENS1_30default_config_static_selectorELNS0_4arch9wavefront6targetE0EEEvSZ_, .Lfunc_end1800-_ZN7rocprim17ROCPRIM_400000_NS6detail17trampoline_kernelINS0_13select_configILj256ELj13ELNS0_17block_load_methodE3ELS4_3ELS4_3ELNS0_20block_scan_algorithmE0ELj4294967295EEENS1_25partition_config_selectorILNS1_17partition_subalgoE3EjNS0_10empty_typeEbEEZZNS1_14partition_implILS8_3ELb0ES6_jNS0_17counting_iteratorIjlEEPS9_SE_NS0_5tupleIJPjSE_EEENSF_IJSE_SE_EEES9_SG_JZNS1_25segmented_radix_sort_implINS0_14default_configELb0EPK6__halfPSL_PKlPlN2at6native12_GLOBAL__N_18offset_tEEE10hipError_tPvRmT1_PNSt15iterator_traitsISZ_E10value_typeET2_T3_PNS10_IS15_E10value_typeET4_jRbjT5_S1B_jjP12ihipStream_tbEUljE_EEESW_SX_SY_S15_S19_S1B_T6_T7_T9_mT8_S1D_bDpT10_ENKUlT_T0_E_clISt17integral_constantIbLb0EES1Q_EEDaS1L_S1M_EUlS1L_E_NS1_11comp_targetILNS1_3genE0ELNS1_11target_archE4294967295ELNS1_3gpuE0ELNS1_3repE0EEENS1_30default_config_static_selectorELNS0_4arch9wavefront6targetE0EEEvSZ_
                                        ; -- End function
	.set _ZN7rocprim17ROCPRIM_400000_NS6detail17trampoline_kernelINS0_13select_configILj256ELj13ELNS0_17block_load_methodE3ELS4_3ELS4_3ELNS0_20block_scan_algorithmE0ELj4294967295EEENS1_25partition_config_selectorILNS1_17partition_subalgoE3EjNS0_10empty_typeEbEEZZNS1_14partition_implILS8_3ELb0ES6_jNS0_17counting_iteratorIjlEEPS9_SE_NS0_5tupleIJPjSE_EEENSF_IJSE_SE_EEES9_SG_JZNS1_25segmented_radix_sort_implINS0_14default_configELb0EPK6__halfPSL_PKlPlN2at6native12_GLOBAL__N_18offset_tEEE10hipError_tPvRmT1_PNSt15iterator_traitsISZ_E10value_typeET2_T3_PNS10_IS15_E10value_typeET4_jRbjT5_S1B_jjP12ihipStream_tbEUljE_EEESW_SX_SY_S15_S19_S1B_T6_T7_T9_mT8_S1D_bDpT10_ENKUlT_T0_E_clISt17integral_constantIbLb0EES1Q_EEDaS1L_S1M_EUlS1L_E_NS1_11comp_targetILNS1_3genE0ELNS1_11target_archE4294967295ELNS1_3gpuE0ELNS1_3repE0EEENS1_30default_config_static_selectorELNS0_4arch9wavefront6targetE0EEEvSZ_.num_vgpr, 69
	.set _ZN7rocprim17ROCPRIM_400000_NS6detail17trampoline_kernelINS0_13select_configILj256ELj13ELNS0_17block_load_methodE3ELS4_3ELS4_3ELNS0_20block_scan_algorithmE0ELj4294967295EEENS1_25partition_config_selectorILNS1_17partition_subalgoE3EjNS0_10empty_typeEbEEZZNS1_14partition_implILS8_3ELb0ES6_jNS0_17counting_iteratorIjlEEPS9_SE_NS0_5tupleIJPjSE_EEENSF_IJSE_SE_EEES9_SG_JZNS1_25segmented_radix_sort_implINS0_14default_configELb0EPK6__halfPSL_PKlPlN2at6native12_GLOBAL__N_18offset_tEEE10hipError_tPvRmT1_PNSt15iterator_traitsISZ_E10value_typeET2_T3_PNS10_IS15_E10value_typeET4_jRbjT5_S1B_jjP12ihipStream_tbEUljE_EEESW_SX_SY_S15_S19_S1B_T6_T7_T9_mT8_S1D_bDpT10_ENKUlT_T0_E_clISt17integral_constantIbLb0EES1Q_EEDaS1L_S1M_EUlS1L_E_NS1_11comp_targetILNS1_3genE0ELNS1_11target_archE4294967295ELNS1_3gpuE0ELNS1_3repE0EEENS1_30default_config_static_selectorELNS0_4arch9wavefront6targetE0EEEvSZ_.num_agpr, 0
	.set _ZN7rocprim17ROCPRIM_400000_NS6detail17trampoline_kernelINS0_13select_configILj256ELj13ELNS0_17block_load_methodE3ELS4_3ELS4_3ELNS0_20block_scan_algorithmE0ELj4294967295EEENS1_25partition_config_selectorILNS1_17partition_subalgoE3EjNS0_10empty_typeEbEEZZNS1_14partition_implILS8_3ELb0ES6_jNS0_17counting_iteratorIjlEEPS9_SE_NS0_5tupleIJPjSE_EEENSF_IJSE_SE_EEES9_SG_JZNS1_25segmented_radix_sort_implINS0_14default_configELb0EPK6__halfPSL_PKlPlN2at6native12_GLOBAL__N_18offset_tEEE10hipError_tPvRmT1_PNSt15iterator_traitsISZ_E10value_typeET2_T3_PNS10_IS15_E10value_typeET4_jRbjT5_S1B_jjP12ihipStream_tbEUljE_EEESW_SX_SY_S15_S19_S1B_T6_T7_T9_mT8_S1D_bDpT10_ENKUlT_T0_E_clISt17integral_constantIbLb0EES1Q_EEDaS1L_S1M_EUlS1L_E_NS1_11comp_targetILNS1_3genE0ELNS1_11target_archE4294967295ELNS1_3gpuE0ELNS1_3repE0EEENS1_30default_config_static_selectorELNS0_4arch9wavefront6targetE0EEEvSZ_.numbered_sgpr, 26
	.set _ZN7rocprim17ROCPRIM_400000_NS6detail17trampoline_kernelINS0_13select_configILj256ELj13ELNS0_17block_load_methodE3ELS4_3ELS4_3ELNS0_20block_scan_algorithmE0ELj4294967295EEENS1_25partition_config_selectorILNS1_17partition_subalgoE3EjNS0_10empty_typeEbEEZZNS1_14partition_implILS8_3ELb0ES6_jNS0_17counting_iteratorIjlEEPS9_SE_NS0_5tupleIJPjSE_EEENSF_IJSE_SE_EEES9_SG_JZNS1_25segmented_radix_sort_implINS0_14default_configELb0EPK6__halfPSL_PKlPlN2at6native12_GLOBAL__N_18offset_tEEE10hipError_tPvRmT1_PNSt15iterator_traitsISZ_E10value_typeET2_T3_PNS10_IS15_E10value_typeET4_jRbjT5_S1B_jjP12ihipStream_tbEUljE_EEESW_SX_SY_S15_S19_S1B_T6_T7_T9_mT8_S1D_bDpT10_ENKUlT_T0_E_clISt17integral_constantIbLb0EES1Q_EEDaS1L_S1M_EUlS1L_E_NS1_11comp_targetILNS1_3genE0ELNS1_11target_archE4294967295ELNS1_3gpuE0ELNS1_3repE0EEENS1_30default_config_static_selectorELNS0_4arch9wavefront6targetE0EEEvSZ_.num_named_barrier, 0
	.set _ZN7rocprim17ROCPRIM_400000_NS6detail17trampoline_kernelINS0_13select_configILj256ELj13ELNS0_17block_load_methodE3ELS4_3ELS4_3ELNS0_20block_scan_algorithmE0ELj4294967295EEENS1_25partition_config_selectorILNS1_17partition_subalgoE3EjNS0_10empty_typeEbEEZZNS1_14partition_implILS8_3ELb0ES6_jNS0_17counting_iteratorIjlEEPS9_SE_NS0_5tupleIJPjSE_EEENSF_IJSE_SE_EEES9_SG_JZNS1_25segmented_radix_sort_implINS0_14default_configELb0EPK6__halfPSL_PKlPlN2at6native12_GLOBAL__N_18offset_tEEE10hipError_tPvRmT1_PNSt15iterator_traitsISZ_E10value_typeET2_T3_PNS10_IS15_E10value_typeET4_jRbjT5_S1B_jjP12ihipStream_tbEUljE_EEESW_SX_SY_S15_S19_S1B_T6_T7_T9_mT8_S1D_bDpT10_ENKUlT_T0_E_clISt17integral_constantIbLb0EES1Q_EEDaS1L_S1M_EUlS1L_E_NS1_11comp_targetILNS1_3genE0ELNS1_11target_archE4294967295ELNS1_3gpuE0ELNS1_3repE0EEENS1_30default_config_static_selectorELNS0_4arch9wavefront6targetE0EEEvSZ_.private_seg_size, 0
	.set _ZN7rocprim17ROCPRIM_400000_NS6detail17trampoline_kernelINS0_13select_configILj256ELj13ELNS0_17block_load_methodE3ELS4_3ELS4_3ELNS0_20block_scan_algorithmE0ELj4294967295EEENS1_25partition_config_selectorILNS1_17partition_subalgoE3EjNS0_10empty_typeEbEEZZNS1_14partition_implILS8_3ELb0ES6_jNS0_17counting_iteratorIjlEEPS9_SE_NS0_5tupleIJPjSE_EEENSF_IJSE_SE_EEES9_SG_JZNS1_25segmented_radix_sort_implINS0_14default_configELb0EPK6__halfPSL_PKlPlN2at6native12_GLOBAL__N_18offset_tEEE10hipError_tPvRmT1_PNSt15iterator_traitsISZ_E10value_typeET2_T3_PNS10_IS15_E10value_typeET4_jRbjT5_S1B_jjP12ihipStream_tbEUljE_EEESW_SX_SY_S15_S19_S1B_T6_T7_T9_mT8_S1D_bDpT10_ENKUlT_T0_E_clISt17integral_constantIbLb0EES1Q_EEDaS1L_S1M_EUlS1L_E_NS1_11comp_targetILNS1_3genE0ELNS1_11target_archE4294967295ELNS1_3gpuE0ELNS1_3repE0EEENS1_30default_config_static_selectorELNS0_4arch9wavefront6targetE0EEEvSZ_.uses_vcc, 1
	.set _ZN7rocprim17ROCPRIM_400000_NS6detail17trampoline_kernelINS0_13select_configILj256ELj13ELNS0_17block_load_methodE3ELS4_3ELS4_3ELNS0_20block_scan_algorithmE0ELj4294967295EEENS1_25partition_config_selectorILNS1_17partition_subalgoE3EjNS0_10empty_typeEbEEZZNS1_14partition_implILS8_3ELb0ES6_jNS0_17counting_iteratorIjlEEPS9_SE_NS0_5tupleIJPjSE_EEENSF_IJSE_SE_EEES9_SG_JZNS1_25segmented_radix_sort_implINS0_14default_configELb0EPK6__halfPSL_PKlPlN2at6native12_GLOBAL__N_18offset_tEEE10hipError_tPvRmT1_PNSt15iterator_traitsISZ_E10value_typeET2_T3_PNS10_IS15_E10value_typeET4_jRbjT5_S1B_jjP12ihipStream_tbEUljE_EEESW_SX_SY_S15_S19_S1B_T6_T7_T9_mT8_S1D_bDpT10_ENKUlT_T0_E_clISt17integral_constantIbLb0EES1Q_EEDaS1L_S1M_EUlS1L_E_NS1_11comp_targetILNS1_3genE0ELNS1_11target_archE4294967295ELNS1_3gpuE0ELNS1_3repE0EEENS1_30default_config_static_selectorELNS0_4arch9wavefront6targetE0EEEvSZ_.uses_flat_scratch, 0
	.set _ZN7rocprim17ROCPRIM_400000_NS6detail17trampoline_kernelINS0_13select_configILj256ELj13ELNS0_17block_load_methodE3ELS4_3ELS4_3ELNS0_20block_scan_algorithmE0ELj4294967295EEENS1_25partition_config_selectorILNS1_17partition_subalgoE3EjNS0_10empty_typeEbEEZZNS1_14partition_implILS8_3ELb0ES6_jNS0_17counting_iteratorIjlEEPS9_SE_NS0_5tupleIJPjSE_EEENSF_IJSE_SE_EEES9_SG_JZNS1_25segmented_radix_sort_implINS0_14default_configELb0EPK6__halfPSL_PKlPlN2at6native12_GLOBAL__N_18offset_tEEE10hipError_tPvRmT1_PNSt15iterator_traitsISZ_E10value_typeET2_T3_PNS10_IS15_E10value_typeET4_jRbjT5_S1B_jjP12ihipStream_tbEUljE_EEESW_SX_SY_S15_S19_S1B_T6_T7_T9_mT8_S1D_bDpT10_ENKUlT_T0_E_clISt17integral_constantIbLb0EES1Q_EEDaS1L_S1M_EUlS1L_E_NS1_11comp_targetILNS1_3genE0ELNS1_11target_archE4294967295ELNS1_3gpuE0ELNS1_3repE0EEENS1_30default_config_static_selectorELNS0_4arch9wavefront6targetE0EEEvSZ_.has_dyn_sized_stack, 0
	.set _ZN7rocprim17ROCPRIM_400000_NS6detail17trampoline_kernelINS0_13select_configILj256ELj13ELNS0_17block_load_methodE3ELS4_3ELS4_3ELNS0_20block_scan_algorithmE0ELj4294967295EEENS1_25partition_config_selectorILNS1_17partition_subalgoE3EjNS0_10empty_typeEbEEZZNS1_14partition_implILS8_3ELb0ES6_jNS0_17counting_iteratorIjlEEPS9_SE_NS0_5tupleIJPjSE_EEENSF_IJSE_SE_EEES9_SG_JZNS1_25segmented_radix_sort_implINS0_14default_configELb0EPK6__halfPSL_PKlPlN2at6native12_GLOBAL__N_18offset_tEEE10hipError_tPvRmT1_PNSt15iterator_traitsISZ_E10value_typeET2_T3_PNS10_IS15_E10value_typeET4_jRbjT5_S1B_jjP12ihipStream_tbEUljE_EEESW_SX_SY_S15_S19_S1B_T6_T7_T9_mT8_S1D_bDpT10_ENKUlT_T0_E_clISt17integral_constantIbLb0EES1Q_EEDaS1L_S1M_EUlS1L_E_NS1_11comp_targetILNS1_3genE0ELNS1_11target_archE4294967295ELNS1_3gpuE0ELNS1_3repE0EEENS1_30default_config_static_selectorELNS0_4arch9wavefront6targetE0EEEvSZ_.has_recursion, 0
	.set _ZN7rocprim17ROCPRIM_400000_NS6detail17trampoline_kernelINS0_13select_configILj256ELj13ELNS0_17block_load_methodE3ELS4_3ELS4_3ELNS0_20block_scan_algorithmE0ELj4294967295EEENS1_25partition_config_selectorILNS1_17partition_subalgoE3EjNS0_10empty_typeEbEEZZNS1_14partition_implILS8_3ELb0ES6_jNS0_17counting_iteratorIjlEEPS9_SE_NS0_5tupleIJPjSE_EEENSF_IJSE_SE_EEES9_SG_JZNS1_25segmented_radix_sort_implINS0_14default_configELb0EPK6__halfPSL_PKlPlN2at6native12_GLOBAL__N_18offset_tEEE10hipError_tPvRmT1_PNSt15iterator_traitsISZ_E10value_typeET2_T3_PNS10_IS15_E10value_typeET4_jRbjT5_S1B_jjP12ihipStream_tbEUljE_EEESW_SX_SY_S15_S19_S1B_T6_T7_T9_mT8_S1D_bDpT10_ENKUlT_T0_E_clISt17integral_constantIbLb0EES1Q_EEDaS1L_S1M_EUlS1L_E_NS1_11comp_targetILNS1_3genE0ELNS1_11target_archE4294967295ELNS1_3gpuE0ELNS1_3repE0EEENS1_30default_config_static_selectorELNS0_4arch9wavefront6targetE0EEEvSZ_.has_indirect_call, 0
	.section	.AMDGPU.csdata,"",@progbits
; Kernel info:
; codeLenInByte = 8920
; TotalNumSgprs: 28
; NumVgprs: 69
; ScratchSize: 0
; MemoryBound: 0
; FloatMode: 240
; IeeeMode: 1
; LDSByteSize: 13320 bytes/workgroup (compile time only)
; SGPRBlocks: 0
; VGPRBlocks: 4
; NumSGPRsForWavesPerEU: 28
; NumVGPRsForWavesPerEU: 69
; NamedBarCnt: 0
; Occupancy: 12
; WaveLimiterHint : 0
; COMPUTE_PGM_RSRC2:SCRATCH_EN: 0
; COMPUTE_PGM_RSRC2:USER_SGPR: 2
; COMPUTE_PGM_RSRC2:TRAP_HANDLER: 0
; COMPUTE_PGM_RSRC2:TGID_X_EN: 1
; COMPUTE_PGM_RSRC2:TGID_Y_EN: 0
; COMPUTE_PGM_RSRC2:TGID_Z_EN: 0
; COMPUTE_PGM_RSRC2:TIDIG_COMP_CNT: 0
	.section	.text._ZN7rocprim17ROCPRIM_400000_NS6detail17trampoline_kernelINS0_13select_configILj256ELj13ELNS0_17block_load_methodE3ELS4_3ELS4_3ELNS0_20block_scan_algorithmE0ELj4294967295EEENS1_25partition_config_selectorILNS1_17partition_subalgoE3EjNS0_10empty_typeEbEEZZNS1_14partition_implILS8_3ELb0ES6_jNS0_17counting_iteratorIjlEEPS9_SE_NS0_5tupleIJPjSE_EEENSF_IJSE_SE_EEES9_SG_JZNS1_25segmented_radix_sort_implINS0_14default_configELb0EPK6__halfPSL_PKlPlN2at6native12_GLOBAL__N_18offset_tEEE10hipError_tPvRmT1_PNSt15iterator_traitsISZ_E10value_typeET2_T3_PNS10_IS15_E10value_typeET4_jRbjT5_S1B_jjP12ihipStream_tbEUljE_EEESW_SX_SY_S15_S19_S1B_T6_T7_T9_mT8_S1D_bDpT10_ENKUlT_T0_E_clISt17integral_constantIbLb0EES1Q_EEDaS1L_S1M_EUlS1L_E_NS1_11comp_targetILNS1_3genE5ELNS1_11target_archE942ELNS1_3gpuE9ELNS1_3repE0EEENS1_30default_config_static_selectorELNS0_4arch9wavefront6targetE0EEEvSZ_,"axG",@progbits,_ZN7rocprim17ROCPRIM_400000_NS6detail17trampoline_kernelINS0_13select_configILj256ELj13ELNS0_17block_load_methodE3ELS4_3ELS4_3ELNS0_20block_scan_algorithmE0ELj4294967295EEENS1_25partition_config_selectorILNS1_17partition_subalgoE3EjNS0_10empty_typeEbEEZZNS1_14partition_implILS8_3ELb0ES6_jNS0_17counting_iteratorIjlEEPS9_SE_NS0_5tupleIJPjSE_EEENSF_IJSE_SE_EEES9_SG_JZNS1_25segmented_radix_sort_implINS0_14default_configELb0EPK6__halfPSL_PKlPlN2at6native12_GLOBAL__N_18offset_tEEE10hipError_tPvRmT1_PNSt15iterator_traitsISZ_E10value_typeET2_T3_PNS10_IS15_E10value_typeET4_jRbjT5_S1B_jjP12ihipStream_tbEUljE_EEESW_SX_SY_S15_S19_S1B_T6_T7_T9_mT8_S1D_bDpT10_ENKUlT_T0_E_clISt17integral_constantIbLb0EES1Q_EEDaS1L_S1M_EUlS1L_E_NS1_11comp_targetILNS1_3genE5ELNS1_11target_archE942ELNS1_3gpuE9ELNS1_3repE0EEENS1_30default_config_static_selectorELNS0_4arch9wavefront6targetE0EEEvSZ_,comdat
	.globl	_ZN7rocprim17ROCPRIM_400000_NS6detail17trampoline_kernelINS0_13select_configILj256ELj13ELNS0_17block_load_methodE3ELS4_3ELS4_3ELNS0_20block_scan_algorithmE0ELj4294967295EEENS1_25partition_config_selectorILNS1_17partition_subalgoE3EjNS0_10empty_typeEbEEZZNS1_14partition_implILS8_3ELb0ES6_jNS0_17counting_iteratorIjlEEPS9_SE_NS0_5tupleIJPjSE_EEENSF_IJSE_SE_EEES9_SG_JZNS1_25segmented_radix_sort_implINS0_14default_configELb0EPK6__halfPSL_PKlPlN2at6native12_GLOBAL__N_18offset_tEEE10hipError_tPvRmT1_PNSt15iterator_traitsISZ_E10value_typeET2_T3_PNS10_IS15_E10value_typeET4_jRbjT5_S1B_jjP12ihipStream_tbEUljE_EEESW_SX_SY_S15_S19_S1B_T6_T7_T9_mT8_S1D_bDpT10_ENKUlT_T0_E_clISt17integral_constantIbLb0EES1Q_EEDaS1L_S1M_EUlS1L_E_NS1_11comp_targetILNS1_3genE5ELNS1_11target_archE942ELNS1_3gpuE9ELNS1_3repE0EEENS1_30default_config_static_selectorELNS0_4arch9wavefront6targetE0EEEvSZ_ ; -- Begin function _ZN7rocprim17ROCPRIM_400000_NS6detail17trampoline_kernelINS0_13select_configILj256ELj13ELNS0_17block_load_methodE3ELS4_3ELS4_3ELNS0_20block_scan_algorithmE0ELj4294967295EEENS1_25partition_config_selectorILNS1_17partition_subalgoE3EjNS0_10empty_typeEbEEZZNS1_14partition_implILS8_3ELb0ES6_jNS0_17counting_iteratorIjlEEPS9_SE_NS0_5tupleIJPjSE_EEENSF_IJSE_SE_EEES9_SG_JZNS1_25segmented_radix_sort_implINS0_14default_configELb0EPK6__halfPSL_PKlPlN2at6native12_GLOBAL__N_18offset_tEEE10hipError_tPvRmT1_PNSt15iterator_traitsISZ_E10value_typeET2_T3_PNS10_IS15_E10value_typeET4_jRbjT5_S1B_jjP12ihipStream_tbEUljE_EEESW_SX_SY_S15_S19_S1B_T6_T7_T9_mT8_S1D_bDpT10_ENKUlT_T0_E_clISt17integral_constantIbLb0EES1Q_EEDaS1L_S1M_EUlS1L_E_NS1_11comp_targetILNS1_3genE5ELNS1_11target_archE942ELNS1_3gpuE9ELNS1_3repE0EEENS1_30default_config_static_selectorELNS0_4arch9wavefront6targetE0EEEvSZ_
	.p2align	8
	.type	_ZN7rocprim17ROCPRIM_400000_NS6detail17trampoline_kernelINS0_13select_configILj256ELj13ELNS0_17block_load_methodE3ELS4_3ELS4_3ELNS0_20block_scan_algorithmE0ELj4294967295EEENS1_25partition_config_selectorILNS1_17partition_subalgoE3EjNS0_10empty_typeEbEEZZNS1_14partition_implILS8_3ELb0ES6_jNS0_17counting_iteratorIjlEEPS9_SE_NS0_5tupleIJPjSE_EEENSF_IJSE_SE_EEES9_SG_JZNS1_25segmented_radix_sort_implINS0_14default_configELb0EPK6__halfPSL_PKlPlN2at6native12_GLOBAL__N_18offset_tEEE10hipError_tPvRmT1_PNSt15iterator_traitsISZ_E10value_typeET2_T3_PNS10_IS15_E10value_typeET4_jRbjT5_S1B_jjP12ihipStream_tbEUljE_EEESW_SX_SY_S15_S19_S1B_T6_T7_T9_mT8_S1D_bDpT10_ENKUlT_T0_E_clISt17integral_constantIbLb0EES1Q_EEDaS1L_S1M_EUlS1L_E_NS1_11comp_targetILNS1_3genE5ELNS1_11target_archE942ELNS1_3gpuE9ELNS1_3repE0EEENS1_30default_config_static_selectorELNS0_4arch9wavefront6targetE0EEEvSZ_,@function
_ZN7rocprim17ROCPRIM_400000_NS6detail17trampoline_kernelINS0_13select_configILj256ELj13ELNS0_17block_load_methodE3ELS4_3ELS4_3ELNS0_20block_scan_algorithmE0ELj4294967295EEENS1_25partition_config_selectorILNS1_17partition_subalgoE3EjNS0_10empty_typeEbEEZZNS1_14partition_implILS8_3ELb0ES6_jNS0_17counting_iteratorIjlEEPS9_SE_NS0_5tupleIJPjSE_EEENSF_IJSE_SE_EEES9_SG_JZNS1_25segmented_radix_sort_implINS0_14default_configELb0EPK6__halfPSL_PKlPlN2at6native12_GLOBAL__N_18offset_tEEE10hipError_tPvRmT1_PNSt15iterator_traitsISZ_E10value_typeET2_T3_PNS10_IS15_E10value_typeET4_jRbjT5_S1B_jjP12ihipStream_tbEUljE_EEESW_SX_SY_S15_S19_S1B_T6_T7_T9_mT8_S1D_bDpT10_ENKUlT_T0_E_clISt17integral_constantIbLb0EES1Q_EEDaS1L_S1M_EUlS1L_E_NS1_11comp_targetILNS1_3genE5ELNS1_11target_archE942ELNS1_3gpuE9ELNS1_3repE0EEENS1_30default_config_static_selectorELNS0_4arch9wavefront6targetE0EEEvSZ_: ; @_ZN7rocprim17ROCPRIM_400000_NS6detail17trampoline_kernelINS0_13select_configILj256ELj13ELNS0_17block_load_methodE3ELS4_3ELS4_3ELNS0_20block_scan_algorithmE0ELj4294967295EEENS1_25partition_config_selectorILNS1_17partition_subalgoE3EjNS0_10empty_typeEbEEZZNS1_14partition_implILS8_3ELb0ES6_jNS0_17counting_iteratorIjlEEPS9_SE_NS0_5tupleIJPjSE_EEENSF_IJSE_SE_EEES9_SG_JZNS1_25segmented_radix_sort_implINS0_14default_configELb0EPK6__halfPSL_PKlPlN2at6native12_GLOBAL__N_18offset_tEEE10hipError_tPvRmT1_PNSt15iterator_traitsISZ_E10value_typeET2_T3_PNS10_IS15_E10value_typeET4_jRbjT5_S1B_jjP12ihipStream_tbEUljE_EEESW_SX_SY_S15_S19_S1B_T6_T7_T9_mT8_S1D_bDpT10_ENKUlT_T0_E_clISt17integral_constantIbLb0EES1Q_EEDaS1L_S1M_EUlS1L_E_NS1_11comp_targetILNS1_3genE5ELNS1_11target_archE942ELNS1_3gpuE9ELNS1_3repE0EEENS1_30default_config_static_selectorELNS0_4arch9wavefront6targetE0EEEvSZ_
; %bb.0:
	.section	.rodata,"a",@progbits
	.p2align	6, 0x0
	.amdhsa_kernel _ZN7rocprim17ROCPRIM_400000_NS6detail17trampoline_kernelINS0_13select_configILj256ELj13ELNS0_17block_load_methodE3ELS4_3ELS4_3ELNS0_20block_scan_algorithmE0ELj4294967295EEENS1_25partition_config_selectorILNS1_17partition_subalgoE3EjNS0_10empty_typeEbEEZZNS1_14partition_implILS8_3ELb0ES6_jNS0_17counting_iteratorIjlEEPS9_SE_NS0_5tupleIJPjSE_EEENSF_IJSE_SE_EEES9_SG_JZNS1_25segmented_radix_sort_implINS0_14default_configELb0EPK6__halfPSL_PKlPlN2at6native12_GLOBAL__N_18offset_tEEE10hipError_tPvRmT1_PNSt15iterator_traitsISZ_E10value_typeET2_T3_PNS10_IS15_E10value_typeET4_jRbjT5_S1B_jjP12ihipStream_tbEUljE_EEESW_SX_SY_S15_S19_S1B_T6_T7_T9_mT8_S1D_bDpT10_ENKUlT_T0_E_clISt17integral_constantIbLb0EES1Q_EEDaS1L_S1M_EUlS1L_E_NS1_11comp_targetILNS1_3genE5ELNS1_11target_archE942ELNS1_3gpuE9ELNS1_3repE0EEENS1_30default_config_static_selectorELNS0_4arch9wavefront6targetE0EEEvSZ_
		.amdhsa_group_segment_fixed_size 0
		.amdhsa_private_segment_fixed_size 0
		.amdhsa_kernarg_size 144
		.amdhsa_user_sgpr_count 2
		.amdhsa_user_sgpr_dispatch_ptr 0
		.amdhsa_user_sgpr_queue_ptr 0
		.amdhsa_user_sgpr_kernarg_segment_ptr 1
		.amdhsa_user_sgpr_dispatch_id 0
		.amdhsa_user_sgpr_kernarg_preload_length 0
		.amdhsa_user_sgpr_kernarg_preload_offset 0
		.amdhsa_user_sgpr_private_segment_size 0
		.amdhsa_wavefront_size32 1
		.amdhsa_uses_dynamic_stack 0
		.amdhsa_enable_private_segment 0
		.amdhsa_system_sgpr_workgroup_id_x 1
		.amdhsa_system_sgpr_workgroup_id_y 0
		.amdhsa_system_sgpr_workgroup_id_z 0
		.amdhsa_system_sgpr_workgroup_info 0
		.amdhsa_system_vgpr_workitem_id 0
		.amdhsa_next_free_vgpr 1
		.amdhsa_next_free_sgpr 1
		.amdhsa_named_barrier_count 0
		.amdhsa_reserve_vcc 0
		.amdhsa_float_round_mode_32 0
		.amdhsa_float_round_mode_16_64 0
		.amdhsa_float_denorm_mode_32 3
		.amdhsa_float_denorm_mode_16_64 3
		.amdhsa_fp16_overflow 0
		.amdhsa_memory_ordered 1
		.amdhsa_forward_progress 1
		.amdhsa_inst_pref_size 0
		.amdhsa_round_robin_scheduling 0
		.amdhsa_exception_fp_ieee_invalid_op 0
		.amdhsa_exception_fp_denorm_src 0
		.amdhsa_exception_fp_ieee_div_zero 0
		.amdhsa_exception_fp_ieee_overflow 0
		.amdhsa_exception_fp_ieee_underflow 0
		.amdhsa_exception_fp_ieee_inexact 0
		.amdhsa_exception_int_div_zero 0
	.end_amdhsa_kernel
	.section	.text._ZN7rocprim17ROCPRIM_400000_NS6detail17trampoline_kernelINS0_13select_configILj256ELj13ELNS0_17block_load_methodE3ELS4_3ELS4_3ELNS0_20block_scan_algorithmE0ELj4294967295EEENS1_25partition_config_selectorILNS1_17partition_subalgoE3EjNS0_10empty_typeEbEEZZNS1_14partition_implILS8_3ELb0ES6_jNS0_17counting_iteratorIjlEEPS9_SE_NS0_5tupleIJPjSE_EEENSF_IJSE_SE_EEES9_SG_JZNS1_25segmented_radix_sort_implINS0_14default_configELb0EPK6__halfPSL_PKlPlN2at6native12_GLOBAL__N_18offset_tEEE10hipError_tPvRmT1_PNSt15iterator_traitsISZ_E10value_typeET2_T3_PNS10_IS15_E10value_typeET4_jRbjT5_S1B_jjP12ihipStream_tbEUljE_EEESW_SX_SY_S15_S19_S1B_T6_T7_T9_mT8_S1D_bDpT10_ENKUlT_T0_E_clISt17integral_constantIbLb0EES1Q_EEDaS1L_S1M_EUlS1L_E_NS1_11comp_targetILNS1_3genE5ELNS1_11target_archE942ELNS1_3gpuE9ELNS1_3repE0EEENS1_30default_config_static_selectorELNS0_4arch9wavefront6targetE0EEEvSZ_,"axG",@progbits,_ZN7rocprim17ROCPRIM_400000_NS6detail17trampoline_kernelINS0_13select_configILj256ELj13ELNS0_17block_load_methodE3ELS4_3ELS4_3ELNS0_20block_scan_algorithmE0ELj4294967295EEENS1_25partition_config_selectorILNS1_17partition_subalgoE3EjNS0_10empty_typeEbEEZZNS1_14partition_implILS8_3ELb0ES6_jNS0_17counting_iteratorIjlEEPS9_SE_NS0_5tupleIJPjSE_EEENSF_IJSE_SE_EEES9_SG_JZNS1_25segmented_radix_sort_implINS0_14default_configELb0EPK6__halfPSL_PKlPlN2at6native12_GLOBAL__N_18offset_tEEE10hipError_tPvRmT1_PNSt15iterator_traitsISZ_E10value_typeET2_T3_PNS10_IS15_E10value_typeET4_jRbjT5_S1B_jjP12ihipStream_tbEUljE_EEESW_SX_SY_S15_S19_S1B_T6_T7_T9_mT8_S1D_bDpT10_ENKUlT_T0_E_clISt17integral_constantIbLb0EES1Q_EEDaS1L_S1M_EUlS1L_E_NS1_11comp_targetILNS1_3genE5ELNS1_11target_archE942ELNS1_3gpuE9ELNS1_3repE0EEENS1_30default_config_static_selectorELNS0_4arch9wavefront6targetE0EEEvSZ_,comdat
.Lfunc_end1801:
	.size	_ZN7rocprim17ROCPRIM_400000_NS6detail17trampoline_kernelINS0_13select_configILj256ELj13ELNS0_17block_load_methodE3ELS4_3ELS4_3ELNS0_20block_scan_algorithmE0ELj4294967295EEENS1_25partition_config_selectorILNS1_17partition_subalgoE3EjNS0_10empty_typeEbEEZZNS1_14partition_implILS8_3ELb0ES6_jNS0_17counting_iteratorIjlEEPS9_SE_NS0_5tupleIJPjSE_EEENSF_IJSE_SE_EEES9_SG_JZNS1_25segmented_radix_sort_implINS0_14default_configELb0EPK6__halfPSL_PKlPlN2at6native12_GLOBAL__N_18offset_tEEE10hipError_tPvRmT1_PNSt15iterator_traitsISZ_E10value_typeET2_T3_PNS10_IS15_E10value_typeET4_jRbjT5_S1B_jjP12ihipStream_tbEUljE_EEESW_SX_SY_S15_S19_S1B_T6_T7_T9_mT8_S1D_bDpT10_ENKUlT_T0_E_clISt17integral_constantIbLb0EES1Q_EEDaS1L_S1M_EUlS1L_E_NS1_11comp_targetILNS1_3genE5ELNS1_11target_archE942ELNS1_3gpuE9ELNS1_3repE0EEENS1_30default_config_static_selectorELNS0_4arch9wavefront6targetE0EEEvSZ_, .Lfunc_end1801-_ZN7rocprim17ROCPRIM_400000_NS6detail17trampoline_kernelINS0_13select_configILj256ELj13ELNS0_17block_load_methodE3ELS4_3ELS4_3ELNS0_20block_scan_algorithmE0ELj4294967295EEENS1_25partition_config_selectorILNS1_17partition_subalgoE3EjNS0_10empty_typeEbEEZZNS1_14partition_implILS8_3ELb0ES6_jNS0_17counting_iteratorIjlEEPS9_SE_NS0_5tupleIJPjSE_EEENSF_IJSE_SE_EEES9_SG_JZNS1_25segmented_radix_sort_implINS0_14default_configELb0EPK6__halfPSL_PKlPlN2at6native12_GLOBAL__N_18offset_tEEE10hipError_tPvRmT1_PNSt15iterator_traitsISZ_E10value_typeET2_T3_PNS10_IS15_E10value_typeET4_jRbjT5_S1B_jjP12ihipStream_tbEUljE_EEESW_SX_SY_S15_S19_S1B_T6_T7_T9_mT8_S1D_bDpT10_ENKUlT_T0_E_clISt17integral_constantIbLb0EES1Q_EEDaS1L_S1M_EUlS1L_E_NS1_11comp_targetILNS1_3genE5ELNS1_11target_archE942ELNS1_3gpuE9ELNS1_3repE0EEENS1_30default_config_static_selectorELNS0_4arch9wavefront6targetE0EEEvSZ_
                                        ; -- End function
	.set _ZN7rocprim17ROCPRIM_400000_NS6detail17trampoline_kernelINS0_13select_configILj256ELj13ELNS0_17block_load_methodE3ELS4_3ELS4_3ELNS0_20block_scan_algorithmE0ELj4294967295EEENS1_25partition_config_selectorILNS1_17partition_subalgoE3EjNS0_10empty_typeEbEEZZNS1_14partition_implILS8_3ELb0ES6_jNS0_17counting_iteratorIjlEEPS9_SE_NS0_5tupleIJPjSE_EEENSF_IJSE_SE_EEES9_SG_JZNS1_25segmented_radix_sort_implINS0_14default_configELb0EPK6__halfPSL_PKlPlN2at6native12_GLOBAL__N_18offset_tEEE10hipError_tPvRmT1_PNSt15iterator_traitsISZ_E10value_typeET2_T3_PNS10_IS15_E10value_typeET4_jRbjT5_S1B_jjP12ihipStream_tbEUljE_EEESW_SX_SY_S15_S19_S1B_T6_T7_T9_mT8_S1D_bDpT10_ENKUlT_T0_E_clISt17integral_constantIbLb0EES1Q_EEDaS1L_S1M_EUlS1L_E_NS1_11comp_targetILNS1_3genE5ELNS1_11target_archE942ELNS1_3gpuE9ELNS1_3repE0EEENS1_30default_config_static_selectorELNS0_4arch9wavefront6targetE0EEEvSZ_.num_vgpr, 0
	.set _ZN7rocprim17ROCPRIM_400000_NS6detail17trampoline_kernelINS0_13select_configILj256ELj13ELNS0_17block_load_methodE3ELS4_3ELS4_3ELNS0_20block_scan_algorithmE0ELj4294967295EEENS1_25partition_config_selectorILNS1_17partition_subalgoE3EjNS0_10empty_typeEbEEZZNS1_14partition_implILS8_3ELb0ES6_jNS0_17counting_iteratorIjlEEPS9_SE_NS0_5tupleIJPjSE_EEENSF_IJSE_SE_EEES9_SG_JZNS1_25segmented_radix_sort_implINS0_14default_configELb0EPK6__halfPSL_PKlPlN2at6native12_GLOBAL__N_18offset_tEEE10hipError_tPvRmT1_PNSt15iterator_traitsISZ_E10value_typeET2_T3_PNS10_IS15_E10value_typeET4_jRbjT5_S1B_jjP12ihipStream_tbEUljE_EEESW_SX_SY_S15_S19_S1B_T6_T7_T9_mT8_S1D_bDpT10_ENKUlT_T0_E_clISt17integral_constantIbLb0EES1Q_EEDaS1L_S1M_EUlS1L_E_NS1_11comp_targetILNS1_3genE5ELNS1_11target_archE942ELNS1_3gpuE9ELNS1_3repE0EEENS1_30default_config_static_selectorELNS0_4arch9wavefront6targetE0EEEvSZ_.num_agpr, 0
	.set _ZN7rocprim17ROCPRIM_400000_NS6detail17trampoline_kernelINS0_13select_configILj256ELj13ELNS0_17block_load_methodE3ELS4_3ELS4_3ELNS0_20block_scan_algorithmE0ELj4294967295EEENS1_25partition_config_selectorILNS1_17partition_subalgoE3EjNS0_10empty_typeEbEEZZNS1_14partition_implILS8_3ELb0ES6_jNS0_17counting_iteratorIjlEEPS9_SE_NS0_5tupleIJPjSE_EEENSF_IJSE_SE_EEES9_SG_JZNS1_25segmented_radix_sort_implINS0_14default_configELb0EPK6__halfPSL_PKlPlN2at6native12_GLOBAL__N_18offset_tEEE10hipError_tPvRmT1_PNSt15iterator_traitsISZ_E10value_typeET2_T3_PNS10_IS15_E10value_typeET4_jRbjT5_S1B_jjP12ihipStream_tbEUljE_EEESW_SX_SY_S15_S19_S1B_T6_T7_T9_mT8_S1D_bDpT10_ENKUlT_T0_E_clISt17integral_constantIbLb0EES1Q_EEDaS1L_S1M_EUlS1L_E_NS1_11comp_targetILNS1_3genE5ELNS1_11target_archE942ELNS1_3gpuE9ELNS1_3repE0EEENS1_30default_config_static_selectorELNS0_4arch9wavefront6targetE0EEEvSZ_.numbered_sgpr, 0
	.set _ZN7rocprim17ROCPRIM_400000_NS6detail17trampoline_kernelINS0_13select_configILj256ELj13ELNS0_17block_load_methodE3ELS4_3ELS4_3ELNS0_20block_scan_algorithmE0ELj4294967295EEENS1_25partition_config_selectorILNS1_17partition_subalgoE3EjNS0_10empty_typeEbEEZZNS1_14partition_implILS8_3ELb0ES6_jNS0_17counting_iteratorIjlEEPS9_SE_NS0_5tupleIJPjSE_EEENSF_IJSE_SE_EEES9_SG_JZNS1_25segmented_radix_sort_implINS0_14default_configELb0EPK6__halfPSL_PKlPlN2at6native12_GLOBAL__N_18offset_tEEE10hipError_tPvRmT1_PNSt15iterator_traitsISZ_E10value_typeET2_T3_PNS10_IS15_E10value_typeET4_jRbjT5_S1B_jjP12ihipStream_tbEUljE_EEESW_SX_SY_S15_S19_S1B_T6_T7_T9_mT8_S1D_bDpT10_ENKUlT_T0_E_clISt17integral_constantIbLb0EES1Q_EEDaS1L_S1M_EUlS1L_E_NS1_11comp_targetILNS1_3genE5ELNS1_11target_archE942ELNS1_3gpuE9ELNS1_3repE0EEENS1_30default_config_static_selectorELNS0_4arch9wavefront6targetE0EEEvSZ_.num_named_barrier, 0
	.set _ZN7rocprim17ROCPRIM_400000_NS6detail17trampoline_kernelINS0_13select_configILj256ELj13ELNS0_17block_load_methodE3ELS4_3ELS4_3ELNS0_20block_scan_algorithmE0ELj4294967295EEENS1_25partition_config_selectorILNS1_17partition_subalgoE3EjNS0_10empty_typeEbEEZZNS1_14partition_implILS8_3ELb0ES6_jNS0_17counting_iteratorIjlEEPS9_SE_NS0_5tupleIJPjSE_EEENSF_IJSE_SE_EEES9_SG_JZNS1_25segmented_radix_sort_implINS0_14default_configELb0EPK6__halfPSL_PKlPlN2at6native12_GLOBAL__N_18offset_tEEE10hipError_tPvRmT1_PNSt15iterator_traitsISZ_E10value_typeET2_T3_PNS10_IS15_E10value_typeET4_jRbjT5_S1B_jjP12ihipStream_tbEUljE_EEESW_SX_SY_S15_S19_S1B_T6_T7_T9_mT8_S1D_bDpT10_ENKUlT_T0_E_clISt17integral_constantIbLb0EES1Q_EEDaS1L_S1M_EUlS1L_E_NS1_11comp_targetILNS1_3genE5ELNS1_11target_archE942ELNS1_3gpuE9ELNS1_3repE0EEENS1_30default_config_static_selectorELNS0_4arch9wavefront6targetE0EEEvSZ_.private_seg_size, 0
	.set _ZN7rocprim17ROCPRIM_400000_NS6detail17trampoline_kernelINS0_13select_configILj256ELj13ELNS0_17block_load_methodE3ELS4_3ELS4_3ELNS0_20block_scan_algorithmE0ELj4294967295EEENS1_25partition_config_selectorILNS1_17partition_subalgoE3EjNS0_10empty_typeEbEEZZNS1_14partition_implILS8_3ELb0ES6_jNS0_17counting_iteratorIjlEEPS9_SE_NS0_5tupleIJPjSE_EEENSF_IJSE_SE_EEES9_SG_JZNS1_25segmented_radix_sort_implINS0_14default_configELb0EPK6__halfPSL_PKlPlN2at6native12_GLOBAL__N_18offset_tEEE10hipError_tPvRmT1_PNSt15iterator_traitsISZ_E10value_typeET2_T3_PNS10_IS15_E10value_typeET4_jRbjT5_S1B_jjP12ihipStream_tbEUljE_EEESW_SX_SY_S15_S19_S1B_T6_T7_T9_mT8_S1D_bDpT10_ENKUlT_T0_E_clISt17integral_constantIbLb0EES1Q_EEDaS1L_S1M_EUlS1L_E_NS1_11comp_targetILNS1_3genE5ELNS1_11target_archE942ELNS1_3gpuE9ELNS1_3repE0EEENS1_30default_config_static_selectorELNS0_4arch9wavefront6targetE0EEEvSZ_.uses_vcc, 0
	.set _ZN7rocprim17ROCPRIM_400000_NS6detail17trampoline_kernelINS0_13select_configILj256ELj13ELNS0_17block_load_methodE3ELS4_3ELS4_3ELNS0_20block_scan_algorithmE0ELj4294967295EEENS1_25partition_config_selectorILNS1_17partition_subalgoE3EjNS0_10empty_typeEbEEZZNS1_14partition_implILS8_3ELb0ES6_jNS0_17counting_iteratorIjlEEPS9_SE_NS0_5tupleIJPjSE_EEENSF_IJSE_SE_EEES9_SG_JZNS1_25segmented_radix_sort_implINS0_14default_configELb0EPK6__halfPSL_PKlPlN2at6native12_GLOBAL__N_18offset_tEEE10hipError_tPvRmT1_PNSt15iterator_traitsISZ_E10value_typeET2_T3_PNS10_IS15_E10value_typeET4_jRbjT5_S1B_jjP12ihipStream_tbEUljE_EEESW_SX_SY_S15_S19_S1B_T6_T7_T9_mT8_S1D_bDpT10_ENKUlT_T0_E_clISt17integral_constantIbLb0EES1Q_EEDaS1L_S1M_EUlS1L_E_NS1_11comp_targetILNS1_3genE5ELNS1_11target_archE942ELNS1_3gpuE9ELNS1_3repE0EEENS1_30default_config_static_selectorELNS0_4arch9wavefront6targetE0EEEvSZ_.uses_flat_scratch, 0
	.set _ZN7rocprim17ROCPRIM_400000_NS6detail17trampoline_kernelINS0_13select_configILj256ELj13ELNS0_17block_load_methodE3ELS4_3ELS4_3ELNS0_20block_scan_algorithmE0ELj4294967295EEENS1_25partition_config_selectorILNS1_17partition_subalgoE3EjNS0_10empty_typeEbEEZZNS1_14partition_implILS8_3ELb0ES6_jNS0_17counting_iteratorIjlEEPS9_SE_NS0_5tupleIJPjSE_EEENSF_IJSE_SE_EEES9_SG_JZNS1_25segmented_radix_sort_implINS0_14default_configELb0EPK6__halfPSL_PKlPlN2at6native12_GLOBAL__N_18offset_tEEE10hipError_tPvRmT1_PNSt15iterator_traitsISZ_E10value_typeET2_T3_PNS10_IS15_E10value_typeET4_jRbjT5_S1B_jjP12ihipStream_tbEUljE_EEESW_SX_SY_S15_S19_S1B_T6_T7_T9_mT8_S1D_bDpT10_ENKUlT_T0_E_clISt17integral_constantIbLb0EES1Q_EEDaS1L_S1M_EUlS1L_E_NS1_11comp_targetILNS1_3genE5ELNS1_11target_archE942ELNS1_3gpuE9ELNS1_3repE0EEENS1_30default_config_static_selectorELNS0_4arch9wavefront6targetE0EEEvSZ_.has_dyn_sized_stack, 0
	.set _ZN7rocprim17ROCPRIM_400000_NS6detail17trampoline_kernelINS0_13select_configILj256ELj13ELNS0_17block_load_methodE3ELS4_3ELS4_3ELNS0_20block_scan_algorithmE0ELj4294967295EEENS1_25partition_config_selectorILNS1_17partition_subalgoE3EjNS0_10empty_typeEbEEZZNS1_14partition_implILS8_3ELb0ES6_jNS0_17counting_iteratorIjlEEPS9_SE_NS0_5tupleIJPjSE_EEENSF_IJSE_SE_EEES9_SG_JZNS1_25segmented_radix_sort_implINS0_14default_configELb0EPK6__halfPSL_PKlPlN2at6native12_GLOBAL__N_18offset_tEEE10hipError_tPvRmT1_PNSt15iterator_traitsISZ_E10value_typeET2_T3_PNS10_IS15_E10value_typeET4_jRbjT5_S1B_jjP12ihipStream_tbEUljE_EEESW_SX_SY_S15_S19_S1B_T6_T7_T9_mT8_S1D_bDpT10_ENKUlT_T0_E_clISt17integral_constantIbLb0EES1Q_EEDaS1L_S1M_EUlS1L_E_NS1_11comp_targetILNS1_3genE5ELNS1_11target_archE942ELNS1_3gpuE9ELNS1_3repE0EEENS1_30default_config_static_selectorELNS0_4arch9wavefront6targetE0EEEvSZ_.has_recursion, 0
	.set _ZN7rocprim17ROCPRIM_400000_NS6detail17trampoline_kernelINS0_13select_configILj256ELj13ELNS0_17block_load_methodE3ELS4_3ELS4_3ELNS0_20block_scan_algorithmE0ELj4294967295EEENS1_25partition_config_selectorILNS1_17partition_subalgoE3EjNS0_10empty_typeEbEEZZNS1_14partition_implILS8_3ELb0ES6_jNS0_17counting_iteratorIjlEEPS9_SE_NS0_5tupleIJPjSE_EEENSF_IJSE_SE_EEES9_SG_JZNS1_25segmented_radix_sort_implINS0_14default_configELb0EPK6__halfPSL_PKlPlN2at6native12_GLOBAL__N_18offset_tEEE10hipError_tPvRmT1_PNSt15iterator_traitsISZ_E10value_typeET2_T3_PNS10_IS15_E10value_typeET4_jRbjT5_S1B_jjP12ihipStream_tbEUljE_EEESW_SX_SY_S15_S19_S1B_T6_T7_T9_mT8_S1D_bDpT10_ENKUlT_T0_E_clISt17integral_constantIbLb0EES1Q_EEDaS1L_S1M_EUlS1L_E_NS1_11comp_targetILNS1_3genE5ELNS1_11target_archE942ELNS1_3gpuE9ELNS1_3repE0EEENS1_30default_config_static_selectorELNS0_4arch9wavefront6targetE0EEEvSZ_.has_indirect_call, 0
	.section	.AMDGPU.csdata,"",@progbits
; Kernel info:
; codeLenInByte = 0
; TotalNumSgprs: 0
; NumVgprs: 0
; ScratchSize: 0
; MemoryBound: 0
; FloatMode: 240
; IeeeMode: 1
; LDSByteSize: 0 bytes/workgroup (compile time only)
; SGPRBlocks: 0
; VGPRBlocks: 0
; NumSGPRsForWavesPerEU: 1
; NumVGPRsForWavesPerEU: 1
; NamedBarCnt: 0
; Occupancy: 16
; WaveLimiterHint : 0
; COMPUTE_PGM_RSRC2:SCRATCH_EN: 0
; COMPUTE_PGM_RSRC2:USER_SGPR: 2
; COMPUTE_PGM_RSRC2:TRAP_HANDLER: 0
; COMPUTE_PGM_RSRC2:TGID_X_EN: 1
; COMPUTE_PGM_RSRC2:TGID_Y_EN: 0
; COMPUTE_PGM_RSRC2:TGID_Z_EN: 0
; COMPUTE_PGM_RSRC2:TIDIG_COMP_CNT: 0
	.section	.text._ZN7rocprim17ROCPRIM_400000_NS6detail17trampoline_kernelINS0_13select_configILj256ELj13ELNS0_17block_load_methodE3ELS4_3ELS4_3ELNS0_20block_scan_algorithmE0ELj4294967295EEENS1_25partition_config_selectorILNS1_17partition_subalgoE3EjNS0_10empty_typeEbEEZZNS1_14partition_implILS8_3ELb0ES6_jNS0_17counting_iteratorIjlEEPS9_SE_NS0_5tupleIJPjSE_EEENSF_IJSE_SE_EEES9_SG_JZNS1_25segmented_radix_sort_implINS0_14default_configELb0EPK6__halfPSL_PKlPlN2at6native12_GLOBAL__N_18offset_tEEE10hipError_tPvRmT1_PNSt15iterator_traitsISZ_E10value_typeET2_T3_PNS10_IS15_E10value_typeET4_jRbjT5_S1B_jjP12ihipStream_tbEUljE_EEESW_SX_SY_S15_S19_S1B_T6_T7_T9_mT8_S1D_bDpT10_ENKUlT_T0_E_clISt17integral_constantIbLb0EES1Q_EEDaS1L_S1M_EUlS1L_E_NS1_11comp_targetILNS1_3genE4ELNS1_11target_archE910ELNS1_3gpuE8ELNS1_3repE0EEENS1_30default_config_static_selectorELNS0_4arch9wavefront6targetE0EEEvSZ_,"axG",@progbits,_ZN7rocprim17ROCPRIM_400000_NS6detail17trampoline_kernelINS0_13select_configILj256ELj13ELNS0_17block_load_methodE3ELS4_3ELS4_3ELNS0_20block_scan_algorithmE0ELj4294967295EEENS1_25partition_config_selectorILNS1_17partition_subalgoE3EjNS0_10empty_typeEbEEZZNS1_14partition_implILS8_3ELb0ES6_jNS0_17counting_iteratorIjlEEPS9_SE_NS0_5tupleIJPjSE_EEENSF_IJSE_SE_EEES9_SG_JZNS1_25segmented_radix_sort_implINS0_14default_configELb0EPK6__halfPSL_PKlPlN2at6native12_GLOBAL__N_18offset_tEEE10hipError_tPvRmT1_PNSt15iterator_traitsISZ_E10value_typeET2_T3_PNS10_IS15_E10value_typeET4_jRbjT5_S1B_jjP12ihipStream_tbEUljE_EEESW_SX_SY_S15_S19_S1B_T6_T7_T9_mT8_S1D_bDpT10_ENKUlT_T0_E_clISt17integral_constantIbLb0EES1Q_EEDaS1L_S1M_EUlS1L_E_NS1_11comp_targetILNS1_3genE4ELNS1_11target_archE910ELNS1_3gpuE8ELNS1_3repE0EEENS1_30default_config_static_selectorELNS0_4arch9wavefront6targetE0EEEvSZ_,comdat
	.globl	_ZN7rocprim17ROCPRIM_400000_NS6detail17trampoline_kernelINS0_13select_configILj256ELj13ELNS0_17block_load_methodE3ELS4_3ELS4_3ELNS0_20block_scan_algorithmE0ELj4294967295EEENS1_25partition_config_selectorILNS1_17partition_subalgoE3EjNS0_10empty_typeEbEEZZNS1_14partition_implILS8_3ELb0ES6_jNS0_17counting_iteratorIjlEEPS9_SE_NS0_5tupleIJPjSE_EEENSF_IJSE_SE_EEES9_SG_JZNS1_25segmented_radix_sort_implINS0_14default_configELb0EPK6__halfPSL_PKlPlN2at6native12_GLOBAL__N_18offset_tEEE10hipError_tPvRmT1_PNSt15iterator_traitsISZ_E10value_typeET2_T3_PNS10_IS15_E10value_typeET4_jRbjT5_S1B_jjP12ihipStream_tbEUljE_EEESW_SX_SY_S15_S19_S1B_T6_T7_T9_mT8_S1D_bDpT10_ENKUlT_T0_E_clISt17integral_constantIbLb0EES1Q_EEDaS1L_S1M_EUlS1L_E_NS1_11comp_targetILNS1_3genE4ELNS1_11target_archE910ELNS1_3gpuE8ELNS1_3repE0EEENS1_30default_config_static_selectorELNS0_4arch9wavefront6targetE0EEEvSZ_ ; -- Begin function _ZN7rocprim17ROCPRIM_400000_NS6detail17trampoline_kernelINS0_13select_configILj256ELj13ELNS0_17block_load_methodE3ELS4_3ELS4_3ELNS0_20block_scan_algorithmE0ELj4294967295EEENS1_25partition_config_selectorILNS1_17partition_subalgoE3EjNS0_10empty_typeEbEEZZNS1_14partition_implILS8_3ELb0ES6_jNS0_17counting_iteratorIjlEEPS9_SE_NS0_5tupleIJPjSE_EEENSF_IJSE_SE_EEES9_SG_JZNS1_25segmented_radix_sort_implINS0_14default_configELb0EPK6__halfPSL_PKlPlN2at6native12_GLOBAL__N_18offset_tEEE10hipError_tPvRmT1_PNSt15iterator_traitsISZ_E10value_typeET2_T3_PNS10_IS15_E10value_typeET4_jRbjT5_S1B_jjP12ihipStream_tbEUljE_EEESW_SX_SY_S15_S19_S1B_T6_T7_T9_mT8_S1D_bDpT10_ENKUlT_T0_E_clISt17integral_constantIbLb0EES1Q_EEDaS1L_S1M_EUlS1L_E_NS1_11comp_targetILNS1_3genE4ELNS1_11target_archE910ELNS1_3gpuE8ELNS1_3repE0EEENS1_30default_config_static_selectorELNS0_4arch9wavefront6targetE0EEEvSZ_
	.p2align	8
	.type	_ZN7rocprim17ROCPRIM_400000_NS6detail17trampoline_kernelINS0_13select_configILj256ELj13ELNS0_17block_load_methodE3ELS4_3ELS4_3ELNS0_20block_scan_algorithmE0ELj4294967295EEENS1_25partition_config_selectorILNS1_17partition_subalgoE3EjNS0_10empty_typeEbEEZZNS1_14partition_implILS8_3ELb0ES6_jNS0_17counting_iteratorIjlEEPS9_SE_NS0_5tupleIJPjSE_EEENSF_IJSE_SE_EEES9_SG_JZNS1_25segmented_radix_sort_implINS0_14default_configELb0EPK6__halfPSL_PKlPlN2at6native12_GLOBAL__N_18offset_tEEE10hipError_tPvRmT1_PNSt15iterator_traitsISZ_E10value_typeET2_T3_PNS10_IS15_E10value_typeET4_jRbjT5_S1B_jjP12ihipStream_tbEUljE_EEESW_SX_SY_S15_S19_S1B_T6_T7_T9_mT8_S1D_bDpT10_ENKUlT_T0_E_clISt17integral_constantIbLb0EES1Q_EEDaS1L_S1M_EUlS1L_E_NS1_11comp_targetILNS1_3genE4ELNS1_11target_archE910ELNS1_3gpuE8ELNS1_3repE0EEENS1_30default_config_static_selectorELNS0_4arch9wavefront6targetE0EEEvSZ_,@function
_ZN7rocprim17ROCPRIM_400000_NS6detail17trampoline_kernelINS0_13select_configILj256ELj13ELNS0_17block_load_methodE3ELS4_3ELS4_3ELNS0_20block_scan_algorithmE0ELj4294967295EEENS1_25partition_config_selectorILNS1_17partition_subalgoE3EjNS0_10empty_typeEbEEZZNS1_14partition_implILS8_3ELb0ES6_jNS0_17counting_iteratorIjlEEPS9_SE_NS0_5tupleIJPjSE_EEENSF_IJSE_SE_EEES9_SG_JZNS1_25segmented_radix_sort_implINS0_14default_configELb0EPK6__halfPSL_PKlPlN2at6native12_GLOBAL__N_18offset_tEEE10hipError_tPvRmT1_PNSt15iterator_traitsISZ_E10value_typeET2_T3_PNS10_IS15_E10value_typeET4_jRbjT5_S1B_jjP12ihipStream_tbEUljE_EEESW_SX_SY_S15_S19_S1B_T6_T7_T9_mT8_S1D_bDpT10_ENKUlT_T0_E_clISt17integral_constantIbLb0EES1Q_EEDaS1L_S1M_EUlS1L_E_NS1_11comp_targetILNS1_3genE4ELNS1_11target_archE910ELNS1_3gpuE8ELNS1_3repE0EEENS1_30default_config_static_selectorELNS0_4arch9wavefront6targetE0EEEvSZ_: ; @_ZN7rocprim17ROCPRIM_400000_NS6detail17trampoline_kernelINS0_13select_configILj256ELj13ELNS0_17block_load_methodE3ELS4_3ELS4_3ELNS0_20block_scan_algorithmE0ELj4294967295EEENS1_25partition_config_selectorILNS1_17partition_subalgoE3EjNS0_10empty_typeEbEEZZNS1_14partition_implILS8_3ELb0ES6_jNS0_17counting_iteratorIjlEEPS9_SE_NS0_5tupleIJPjSE_EEENSF_IJSE_SE_EEES9_SG_JZNS1_25segmented_radix_sort_implINS0_14default_configELb0EPK6__halfPSL_PKlPlN2at6native12_GLOBAL__N_18offset_tEEE10hipError_tPvRmT1_PNSt15iterator_traitsISZ_E10value_typeET2_T3_PNS10_IS15_E10value_typeET4_jRbjT5_S1B_jjP12ihipStream_tbEUljE_EEESW_SX_SY_S15_S19_S1B_T6_T7_T9_mT8_S1D_bDpT10_ENKUlT_T0_E_clISt17integral_constantIbLb0EES1Q_EEDaS1L_S1M_EUlS1L_E_NS1_11comp_targetILNS1_3genE4ELNS1_11target_archE910ELNS1_3gpuE8ELNS1_3repE0EEENS1_30default_config_static_selectorELNS0_4arch9wavefront6targetE0EEEvSZ_
; %bb.0:
	.section	.rodata,"a",@progbits
	.p2align	6, 0x0
	.amdhsa_kernel _ZN7rocprim17ROCPRIM_400000_NS6detail17trampoline_kernelINS0_13select_configILj256ELj13ELNS0_17block_load_methodE3ELS4_3ELS4_3ELNS0_20block_scan_algorithmE0ELj4294967295EEENS1_25partition_config_selectorILNS1_17partition_subalgoE3EjNS0_10empty_typeEbEEZZNS1_14partition_implILS8_3ELb0ES6_jNS0_17counting_iteratorIjlEEPS9_SE_NS0_5tupleIJPjSE_EEENSF_IJSE_SE_EEES9_SG_JZNS1_25segmented_radix_sort_implINS0_14default_configELb0EPK6__halfPSL_PKlPlN2at6native12_GLOBAL__N_18offset_tEEE10hipError_tPvRmT1_PNSt15iterator_traitsISZ_E10value_typeET2_T3_PNS10_IS15_E10value_typeET4_jRbjT5_S1B_jjP12ihipStream_tbEUljE_EEESW_SX_SY_S15_S19_S1B_T6_T7_T9_mT8_S1D_bDpT10_ENKUlT_T0_E_clISt17integral_constantIbLb0EES1Q_EEDaS1L_S1M_EUlS1L_E_NS1_11comp_targetILNS1_3genE4ELNS1_11target_archE910ELNS1_3gpuE8ELNS1_3repE0EEENS1_30default_config_static_selectorELNS0_4arch9wavefront6targetE0EEEvSZ_
		.amdhsa_group_segment_fixed_size 0
		.amdhsa_private_segment_fixed_size 0
		.amdhsa_kernarg_size 144
		.amdhsa_user_sgpr_count 2
		.amdhsa_user_sgpr_dispatch_ptr 0
		.amdhsa_user_sgpr_queue_ptr 0
		.amdhsa_user_sgpr_kernarg_segment_ptr 1
		.amdhsa_user_sgpr_dispatch_id 0
		.amdhsa_user_sgpr_kernarg_preload_length 0
		.amdhsa_user_sgpr_kernarg_preload_offset 0
		.amdhsa_user_sgpr_private_segment_size 0
		.amdhsa_wavefront_size32 1
		.amdhsa_uses_dynamic_stack 0
		.amdhsa_enable_private_segment 0
		.amdhsa_system_sgpr_workgroup_id_x 1
		.amdhsa_system_sgpr_workgroup_id_y 0
		.amdhsa_system_sgpr_workgroup_id_z 0
		.amdhsa_system_sgpr_workgroup_info 0
		.amdhsa_system_vgpr_workitem_id 0
		.amdhsa_next_free_vgpr 1
		.amdhsa_next_free_sgpr 1
		.amdhsa_named_barrier_count 0
		.amdhsa_reserve_vcc 0
		.amdhsa_float_round_mode_32 0
		.amdhsa_float_round_mode_16_64 0
		.amdhsa_float_denorm_mode_32 3
		.amdhsa_float_denorm_mode_16_64 3
		.amdhsa_fp16_overflow 0
		.amdhsa_memory_ordered 1
		.amdhsa_forward_progress 1
		.amdhsa_inst_pref_size 0
		.amdhsa_round_robin_scheduling 0
		.amdhsa_exception_fp_ieee_invalid_op 0
		.amdhsa_exception_fp_denorm_src 0
		.amdhsa_exception_fp_ieee_div_zero 0
		.amdhsa_exception_fp_ieee_overflow 0
		.amdhsa_exception_fp_ieee_underflow 0
		.amdhsa_exception_fp_ieee_inexact 0
		.amdhsa_exception_int_div_zero 0
	.end_amdhsa_kernel
	.section	.text._ZN7rocprim17ROCPRIM_400000_NS6detail17trampoline_kernelINS0_13select_configILj256ELj13ELNS0_17block_load_methodE3ELS4_3ELS4_3ELNS0_20block_scan_algorithmE0ELj4294967295EEENS1_25partition_config_selectorILNS1_17partition_subalgoE3EjNS0_10empty_typeEbEEZZNS1_14partition_implILS8_3ELb0ES6_jNS0_17counting_iteratorIjlEEPS9_SE_NS0_5tupleIJPjSE_EEENSF_IJSE_SE_EEES9_SG_JZNS1_25segmented_radix_sort_implINS0_14default_configELb0EPK6__halfPSL_PKlPlN2at6native12_GLOBAL__N_18offset_tEEE10hipError_tPvRmT1_PNSt15iterator_traitsISZ_E10value_typeET2_T3_PNS10_IS15_E10value_typeET4_jRbjT5_S1B_jjP12ihipStream_tbEUljE_EEESW_SX_SY_S15_S19_S1B_T6_T7_T9_mT8_S1D_bDpT10_ENKUlT_T0_E_clISt17integral_constantIbLb0EES1Q_EEDaS1L_S1M_EUlS1L_E_NS1_11comp_targetILNS1_3genE4ELNS1_11target_archE910ELNS1_3gpuE8ELNS1_3repE0EEENS1_30default_config_static_selectorELNS0_4arch9wavefront6targetE0EEEvSZ_,"axG",@progbits,_ZN7rocprim17ROCPRIM_400000_NS6detail17trampoline_kernelINS0_13select_configILj256ELj13ELNS0_17block_load_methodE3ELS4_3ELS4_3ELNS0_20block_scan_algorithmE0ELj4294967295EEENS1_25partition_config_selectorILNS1_17partition_subalgoE3EjNS0_10empty_typeEbEEZZNS1_14partition_implILS8_3ELb0ES6_jNS0_17counting_iteratorIjlEEPS9_SE_NS0_5tupleIJPjSE_EEENSF_IJSE_SE_EEES9_SG_JZNS1_25segmented_radix_sort_implINS0_14default_configELb0EPK6__halfPSL_PKlPlN2at6native12_GLOBAL__N_18offset_tEEE10hipError_tPvRmT1_PNSt15iterator_traitsISZ_E10value_typeET2_T3_PNS10_IS15_E10value_typeET4_jRbjT5_S1B_jjP12ihipStream_tbEUljE_EEESW_SX_SY_S15_S19_S1B_T6_T7_T9_mT8_S1D_bDpT10_ENKUlT_T0_E_clISt17integral_constantIbLb0EES1Q_EEDaS1L_S1M_EUlS1L_E_NS1_11comp_targetILNS1_3genE4ELNS1_11target_archE910ELNS1_3gpuE8ELNS1_3repE0EEENS1_30default_config_static_selectorELNS0_4arch9wavefront6targetE0EEEvSZ_,comdat
.Lfunc_end1802:
	.size	_ZN7rocprim17ROCPRIM_400000_NS6detail17trampoline_kernelINS0_13select_configILj256ELj13ELNS0_17block_load_methodE3ELS4_3ELS4_3ELNS0_20block_scan_algorithmE0ELj4294967295EEENS1_25partition_config_selectorILNS1_17partition_subalgoE3EjNS0_10empty_typeEbEEZZNS1_14partition_implILS8_3ELb0ES6_jNS0_17counting_iteratorIjlEEPS9_SE_NS0_5tupleIJPjSE_EEENSF_IJSE_SE_EEES9_SG_JZNS1_25segmented_radix_sort_implINS0_14default_configELb0EPK6__halfPSL_PKlPlN2at6native12_GLOBAL__N_18offset_tEEE10hipError_tPvRmT1_PNSt15iterator_traitsISZ_E10value_typeET2_T3_PNS10_IS15_E10value_typeET4_jRbjT5_S1B_jjP12ihipStream_tbEUljE_EEESW_SX_SY_S15_S19_S1B_T6_T7_T9_mT8_S1D_bDpT10_ENKUlT_T0_E_clISt17integral_constantIbLb0EES1Q_EEDaS1L_S1M_EUlS1L_E_NS1_11comp_targetILNS1_3genE4ELNS1_11target_archE910ELNS1_3gpuE8ELNS1_3repE0EEENS1_30default_config_static_selectorELNS0_4arch9wavefront6targetE0EEEvSZ_, .Lfunc_end1802-_ZN7rocprim17ROCPRIM_400000_NS6detail17trampoline_kernelINS0_13select_configILj256ELj13ELNS0_17block_load_methodE3ELS4_3ELS4_3ELNS0_20block_scan_algorithmE0ELj4294967295EEENS1_25partition_config_selectorILNS1_17partition_subalgoE3EjNS0_10empty_typeEbEEZZNS1_14partition_implILS8_3ELb0ES6_jNS0_17counting_iteratorIjlEEPS9_SE_NS0_5tupleIJPjSE_EEENSF_IJSE_SE_EEES9_SG_JZNS1_25segmented_radix_sort_implINS0_14default_configELb0EPK6__halfPSL_PKlPlN2at6native12_GLOBAL__N_18offset_tEEE10hipError_tPvRmT1_PNSt15iterator_traitsISZ_E10value_typeET2_T3_PNS10_IS15_E10value_typeET4_jRbjT5_S1B_jjP12ihipStream_tbEUljE_EEESW_SX_SY_S15_S19_S1B_T6_T7_T9_mT8_S1D_bDpT10_ENKUlT_T0_E_clISt17integral_constantIbLb0EES1Q_EEDaS1L_S1M_EUlS1L_E_NS1_11comp_targetILNS1_3genE4ELNS1_11target_archE910ELNS1_3gpuE8ELNS1_3repE0EEENS1_30default_config_static_selectorELNS0_4arch9wavefront6targetE0EEEvSZ_
                                        ; -- End function
	.set _ZN7rocprim17ROCPRIM_400000_NS6detail17trampoline_kernelINS0_13select_configILj256ELj13ELNS0_17block_load_methodE3ELS4_3ELS4_3ELNS0_20block_scan_algorithmE0ELj4294967295EEENS1_25partition_config_selectorILNS1_17partition_subalgoE3EjNS0_10empty_typeEbEEZZNS1_14partition_implILS8_3ELb0ES6_jNS0_17counting_iteratorIjlEEPS9_SE_NS0_5tupleIJPjSE_EEENSF_IJSE_SE_EEES9_SG_JZNS1_25segmented_radix_sort_implINS0_14default_configELb0EPK6__halfPSL_PKlPlN2at6native12_GLOBAL__N_18offset_tEEE10hipError_tPvRmT1_PNSt15iterator_traitsISZ_E10value_typeET2_T3_PNS10_IS15_E10value_typeET4_jRbjT5_S1B_jjP12ihipStream_tbEUljE_EEESW_SX_SY_S15_S19_S1B_T6_T7_T9_mT8_S1D_bDpT10_ENKUlT_T0_E_clISt17integral_constantIbLb0EES1Q_EEDaS1L_S1M_EUlS1L_E_NS1_11comp_targetILNS1_3genE4ELNS1_11target_archE910ELNS1_3gpuE8ELNS1_3repE0EEENS1_30default_config_static_selectorELNS0_4arch9wavefront6targetE0EEEvSZ_.num_vgpr, 0
	.set _ZN7rocprim17ROCPRIM_400000_NS6detail17trampoline_kernelINS0_13select_configILj256ELj13ELNS0_17block_load_methodE3ELS4_3ELS4_3ELNS0_20block_scan_algorithmE0ELj4294967295EEENS1_25partition_config_selectorILNS1_17partition_subalgoE3EjNS0_10empty_typeEbEEZZNS1_14partition_implILS8_3ELb0ES6_jNS0_17counting_iteratorIjlEEPS9_SE_NS0_5tupleIJPjSE_EEENSF_IJSE_SE_EEES9_SG_JZNS1_25segmented_radix_sort_implINS0_14default_configELb0EPK6__halfPSL_PKlPlN2at6native12_GLOBAL__N_18offset_tEEE10hipError_tPvRmT1_PNSt15iterator_traitsISZ_E10value_typeET2_T3_PNS10_IS15_E10value_typeET4_jRbjT5_S1B_jjP12ihipStream_tbEUljE_EEESW_SX_SY_S15_S19_S1B_T6_T7_T9_mT8_S1D_bDpT10_ENKUlT_T0_E_clISt17integral_constantIbLb0EES1Q_EEDaS1L_S1M_EUlS1L_E_NS1_11comp_targetILNS1_3genE4ELNS1_11target_archE910ELNS1_3gpuE8ELNS1_3repE0EEENS1_30default_config_static_selectorELNS0_4arch9wavefront6targetE0EEEvSZ_.num_agpr, 0
	.set _ZN7rocprim17ROCPRIM_400000_NS6detail17trampoline_kernelINS0_13select_configILj256ELj13ELNS0_17block_load_methodE3ELS4_3ELS4_3ELNS0_20block_scan_algorithmE0ELj4294967295EEENS1_25partition_config_selectorILNS1_17partition_subalgoE3EjNS0_10empty_typeEbEEZZNS1_14partition_implILS8_3ELb0ES6_jNS0_17counting_iteratorIjlEEPS9_SE_NS0_5tupleIJPjSE_EEENSF_IJSE_SE_EEES9_SG_JZNS1_25segmented_radix_sort_implINS0_14default_configELb0EPK6__halfPSL_PKlPlN2at6native12_GLOBAL__N_18offset_tEEE10hipError_tPvRmT1_PNSt15iterator_traitsISZ_E10value_typeET2_T3_PNS10_IS15_E10value_typeET4_jRbjT5_S1B_jjP12ihipStream_tbEUljE_EEESW_SX_SY_S15_S19_S1B_T6_T7_T9_mT8_S1D_bDpT10_ENKUlT_T0_E_clISt17integral_constantIbLb0EES1Q_EEDaS1L_S1M_EUlS1L_E_NS1_11comp_targetILNS1_3genE4ELNS1_11target_archE910ELNS1_3gpuE8ELNS1_3repE0EEENS1_30default_config_static_selectorELNS0_4arch9wavefront6targetE0EEEvSZ_.numbered_sgpr, 0
	.set _ZN7rocprim17ROCPRIM_400000_NS6detail17trampoline_kernelINS0_13select_configILj256ELj13ELNS0_17block_load_methodE3ELS4_3ELS4_3ELNS0_20block_scan_algorithmE0ELj4294967295EEENS1_25partition_config_selectorILNS1_17partition_subalgoE3EjNS0_10empty_typeEbEEZZNS1_14partition_implILS8_3ELb0ES6_jNS0_17counting_iteratorIjlEEPS9_SE_NS0_5tupleIJPjSE_EEENSF_IJSE_SE_EEES9_SG_JZNS1_25segmented_radix_sort_implINS0_14default_configELb0EPK6__halfPSL_PKlPlN2at6native12_GLOBAL__N_18offset_tEEE10hipError_tPvRmT1_PNSt15iterator_traitsISZ_E10value_typeET2_T3_PNS10_IS15_E10value_typeET4_jRbjT5_S1B_jjP12ihipStream_tbEUljE_EEESW_SX_SY_S15_S19_S1B_T6_T7_T9_mT8_S1D_bDpT10_ENKUlT_T0_E_clISt17integral_constantIbLb0EES1Q_EEDaS1L_S1M_EUlS1L_E_NS1_11comp_targetILNS1_3genE4ELNS1_11target_archE910ELNS1_3gpuE8ELNS1_3repE0EEENS1_30default_config_static_selectorELNS0_4arch9wavefront6targetE0EEEvSZ_.num_named_barrier, 0
	.set _ZN7rocprim17ROCPRIM_400000_NS6detail17trampoline_kernelINS0_13select_configILj256ELj13ELNS0_17block_load_methodE3ELS4_3ELS4_3ELNS0_20block_scan_algorithmE0ELj4294967295EEENS1_25partition_config_selectorILNS1_17partition_subalgoE3EjNS0_10empty_typeEbEEZZNS1_14partition_implILS8_3ELb0ES6_jNS0_17counting_iteratorIjlEEPS9_SE_NS0_5tupleIJPjSE_EEENSF_IJSE_SE_EEES9_SG_JZNS1_25segmented_radix_sort_implINS0_14default_configELb0EPK6__halfPSL_PKlPlN2at6native12_GLOBAL__N_18offset_tEEE10hipError_tPvRmT1_PNSt15iterator_traitsISZ_E10value_typeET2_T3_PNS10_IS15_E10value_typeET4_jRbjT5_S1B_jjP12ihipStream_tbEUljE_EEESW_SX_SY_S15_S19_S1B_T6_T7_T9_mT8_S1D_bDpT10_ENKUlT_T0_E_clISt17integral_constantIbLb0EES1Q_EEDaS1L_S1M_EUlS1L_E_NS1_11comp_targetILNS1_3genE4ELNS1_11target_archE910ELNS1_3gpuE8ELNS1_3repE0EEENS1_30default_config_static_selectorELNS0_4arch9wavefront6targetE0EEEvSZ_.private_seg_size, 0
	.set _ZN7rocprim17ROCPRIM_400000_NS6detail17trampoline_kernelINS0_13select_configILj256ELj13ELNS0_17block_load_methodE3ELS4_3ELS4_3ELNS0_20block_scan_algorithmE0ELj4294967295EEENS1_25partition_config_selectorILNS1_17partition_subalgoE3EjNS0_10empty_typeEbEEZZNS1_14partition_implILS8_3ELb0ES6_jNS0_17counting_iteratorIjlEEPS9_SE_NS0_5tupleIJPjSE_EEENSF_IJSE_SE_EEES9_SG_JZNS1_25segmented_radix_sort_implINS0_14default_configELb0EPK6__halfPSL_PKlPlN2at6native12_GLOBAL__N_18offset_tEEE10hipError_tPvRmT1_PNSt15iterator_traitsISZ_E10value_typeET2_T3_PNS10_IS15_E10value_typeET4_jRbjT5_S1B_jjP12ihipStream_tbEUljE_EEESW_SX_SY_S15_S19_S1B_T6_T7_T9_mT8_S1D_bDpT10_ENKUlT_T0_E_clISt17integral_constantIbLb0EES1Q_EEDaS1L_S1M_EUlS1L_E_NS1_11comp_targetILNS1_3genE4ELNS1_11target_archE910ELNS1_3gpuE8ELNS1_3repE0EEENS1_30default_config_static_selectorELNS0_4arch9wavefront6targetE0EEEvSZ_.uses_vcc, 0
	.set _ZN7rocprim17ROCPRIM_400000_NS6detail17trampoline_kernelINS0_13select_configILj256ELj13ELNS0_17block_load_methodE3ELS4_3ELS4_3ELNS0_20block_scan_algorithmE0ELj4294967295EEENS1_25partition_config_selectorILNS1_17partition_subalgoE3EjNS0_10empty_typeEbEEZZNS1_14partition_implILS8_3ELb0ES6_jNS0_17counting_iteratorIjlEEPS9_SE_NS0_5tupleIJPjSE_EEENSF_IJSE_SE_EEES9_SG_JZNS1_25segmented_radix_sort_implINS0_14default_configELb0EPK6__halfPSL_PKlPlN2at6native12_GLOBAL__N_18offset_tEEE10hipError_tPvRmT1_PNSt15iterator_traitsISZ_E10value_typeET2_T3_PNS10_IS15_E10value_typeET4_jRbjT5_S1B_jjP12ihipStream_tbEUljE_EEESW_SX_SY_S15_S19_S1B_T6_T7_T9_mT8_S1D_bDpT10_ENKUlT_T0_E_clISt17integral_constantIbLb0EES1Q_EEDaS1L_S1M_EUlS1L_E_NS1_11comp_targetILNS1_3genE4ELNS1_11target_archE910ELNS1_3gpuE8ELNS1_3repE0EEENS1_30default_config_static_selectorELNS0_4arch9wavefront6targetE0EEEvSZ_.uses_flat_scratch, 0
	.set _ZN7rocprim17ROCPRIM_400000_NS6detail17trampoline_kernelINS0_13select_configILj256ELj13ELNS0_17block_load_methodE3ELS4_3ELS4_3ELNS0_20block_scan_algorithmE0ELj4294967295EEENS1_25partition_config_selectorILNS1_17partition_subalgoE3EjNS0_10empty_typeEbEEZZNS1_14partition_implILS8_3ELb0ES6_jNS0_17counting_iteratorIjlEEPS9_SE_NS0_5tupleIJPjSE_EEENSF_IJSE_SE_EEES9_SG_JZNS1_25segmented_radix_sort_implINS0_14default_configELb0EPK6__halfPSL_PKlPlN2at6native12_GLOBAL__N_18offset_tEEE10hipError_tPvRmT1_PNSt15iterator_traitsISZ_E10value_typeET2_T3_PNS10_IS15_E10value_typeET4_jRbjT5_S1B_jjP12ihipStream_tbEUljE_EEESW_SX_SY_S15_S19_S1B_T6_T7_T9_mT8_S1D_bDpT10_ENKUlT_T0_E_clISt17integral_constantIbLb0EES1Q_EEDaS1L_S1M_EUlS1L_E_NS1_11comp_targetILNS1_3genE4ELNS1_11target_archE910ELNS1_3gpuE8ELNS1_3repE0EEENS1_30default_config_static_selectorELNS0_4arch9wavefront6targetE0EEEvSZ_.has_dyn_sized_stack, 0
	.set _ZN7rocprim17ROCPRIM_400000_NS6detail17trampoline_kernelINS0_13select_configILj256ELj13ELNS0_17block_load_methodE3ELS4_3ELS4_3ELNS0_20block_scan_algorithmE0ELj4294967295EEENS1_25partition_config_selectorILNS1_17partition_subalgoE3EjNS0_10empty_typeEbEEZZNS1_14partition_implILS8_3ELb0ES6_jNS0_17counting_iteratorIjlEEPS9_SE_NS0_5tupleIJPjSE_EEENSF_IJSE_SE_EEES9_SG_JZNS1_25segmented_radix_sort_implINS0_14default_configELb0EPK6__halfPSL_PKlPlN2at6native12_GLOBAL__N_18offset_tEEE10hipError_tPvRmT1_PNSt15iterator_traitsISZ_E10value_typeET2_T3_PNS10_IS15_E10value_typeET4_jRbjT5_S1B_jjP12ihipStream_tbEUljE_EEESW_SX_SY_S15_S19_S1B_T6_T7_T9_mT8_S1D_bDpT10_ENKUlT_T0_E_clISt17integral_constantIbLb0EES1Q_EEDaS1L_S1M_EUlS1L_E_NS1_11comp_targetILNS1_3genE4ELNS1_11target_archE910ELNS1_3gpuE8ELNS1_3repE0EEENS1_30default_config_static_selectorELNS0_4arch9wavefront6targetE0EEEvSZ_.has_recursion, 0
	.set _ZN7rocprim17ROCPRIM_400000_NS6detail17trampoline_kernelINS0_13select_configILj256ELj13ELNS0_17block_load_methodE3ELS4_3ELS4_3ELNS0_20block_scan_algorithmE0ELj4294967295EEENS1_25partition_config_selectorILNS1_17partition_subalgoE3EjNS0_10empty_typeEbEEZZNS1_14partition_implILS8_3ELb0ES6_jNS0_17counting_iteratorIjlEEPS9_SE_NS0_5tupleIJPjSE_EEENSF_IJSE_SE_EEES9_SG_JZNS1_25segmented_radix_sort_implINS0_14default_configELb0EPK6__halfPSL_PKlPlN2at6native12_GLOBAL__N_18offset_tEEE10hipError_tPvRmT1_PNSt15iterator_traitsISZ_E10value_typeET2_T3_PNS10_IS15_E10value_typeET4_jRbjT5_S1B_jjP12ihipStream_tbEUljE_EEESW_SX_SY_S15_S19_S1B_T6_T7_T9_mT8_S1D_bDpT10_ENKUlT_T0_E_clISt17integral_constantIbLb0EES1Q_EEDaS1L_S1M_EUlS1L_E_NS1_11comp_targetILNS1_3genE4ELNS1_11target_archE910ELNS1_3gpuE8ELNS1_3repE0EEENS1_30default_config_static_selectorELNS0_4arch9wavefront6targetE0EEEvSZ_.has_indirect_call, 0
	.section	.AMDGPU.csdata,"",@progbits
; Kernel info:
; codeLenInByte = 0
; TotalNumSgprs: 0
; NumVgprs: 0
; ScratchSize: 0
; MemoryBound: 0
; FloatMode: 240
; IeeeMode: 1
; LDSByteSize: 0 bytes/workgroup (compile time only)
; SGPRBlocks: 0
; VGPRBlocks: 0
; NumSGPRsForWavesPerEU: 1
; NumVGPRsForWavesPerEU: 1
; NamedBarCnt: 0
; Occupancy: 16
; WaveLimiterHint : 0
; COMPUTE_PGM_RSRC2:SCRATCH_EN: 0
; COMPUTE_PGM_RSRC2:USER_SGPR: 2
; COMPUTE_PGM_RSRC2:TRAP_HANDLER: 0
; COMPUTE_PGM_RSRC2:TGID_X_EN: 1
; COMPUTE_PGM_RSRC2:TGID_Y_EN: 0
; COMPUTE_PGM_RSRC2:TGID_Z_EN: 0
; COMPUTE_PGM_RSRC2:TIDIG_COMP_CNT: 0
	.section	.text._ZN7rocprim17ROCPRIM_400000_NS6detail17trampoline_kernelINS0_13select_configILj256ELj13ELNS0_17block_load_methodE3ELS4_3ELS4_3ELNS0_20block_scan_algorithmE0ELj4294967295EEENS1_25partition_config_selectorILNS1_17partition_subalgoE3EjNS0_10empty_typeEbEEZZNS1_14partition_implILS8_3ELb0ES6_jNS0_17counting_iteratorIjlEEPS9_SE_NS0_5tupleIJPjSE_EEENSF_IJSE_SE_EEES9_SG_JZNS1_25segmented_radix_sort_implINS0_14default_configELb0EPK6__halfPSL_PKlPlN2at6native12_GLOBAL__N_18offset_tEEE10hipError_tPvRmT1_PNSt15iterator_traitsISZ_E10value_typeET2_T3_PNS10_IS15_E10value_typeET4_jRbjT5_S1B_jjP12ihipStream_tbEUljE_EEESW_SX_SY_S15_S19_S1B_T6_T7_T9_mT8_S1D_bDpT10_ENKUlT_T0_E_clISt17integral_constantIbLb0EES1Q_EEDaS1L_S1M_EUlS1L_E_NS1_11comp_targetILNS1_3genE3ELNS1_11target_archE908ELNS1_3gpuE7ELNS1_3repE0EEENS1_30default_config_static_selectorELNS0_4arch9wavefront6targetE0EEEvSZ_,"axG",@progbits,_ZN7rocprim17ROCPRIM_400000_NS6detail17trampoline_kernelINS0_13select_configILj256ELj13ELNS0_17block_load_methodE3ELS4_3ELS4_3ELNS0_20block_scan_algorithmE0ELj4294967295EEENS1_25partition_config_selectorILNS1_17partition_subalgoE3EjNS0_10empty_typeEbEEZZNS1_14partition_implILS8_3ELb0ES6_jNS0_17counting_iteratorIjlEEPS9_SE_NS0_5tupleIJPjSE_EEENSF_IJSE_SE_EEES9_SG_JZNS1_25segmented_radix_sort_implINS0_14default_configELb0EPK6__halfPSL_PKlPlN2at6native12_GLOBAL__N_18offset_tEEE10hipError_tPvRmT1_PNSt15iterator_traitsISZ_E10value_typeET2_T3_PNS10_IS15_E10value_typeET4_jRbjT5_S1B_jjP12ihipStream_tbEUljE_EEESW_SX_SY_S15_S19_S1B_T6_T7_T9_mT8_S1D_bDpT10_ENKUlT_T0_E_clISt17integral_constantIbLb0EES1Q_EEDaS1L_S1M_EUlS1L_E_NS1_11comp_targetILNS1_3genE3ELNS1_11target_archE908ELNS1_3gpuE7ELNS1_3repE0EEENS1_30default_config_static_selectorELNS0_4arch9wavefront6targetE0EEEvSZ_,comdat
	.globl	_ZN7rocprim17ROCPRIM_400000_NS6detail17trampoline_kernelINS0_13select_configILj256ELj13ELNS0_17block_load_methodE3ELS4_3ELS4_3ELNS0_20block_scan_algorithmE0ELj4294967295EEENS1_25partition_config_selectorILNS1_17partition_subalgoE3EjNS0_10empty_typeEbEEZZNS1_14partition_implILS8_3ELb0ES6_jNS0_17counting_iteratorIjlEEPS9_SE_NS0_5tupleIJPjSE_EEENSF_IJSE_SE_EEES9_SG_JZNS1_25segmented_radix_sort_implINS0_14default_configELb0EPK6__halfPSL_PKlPlN2at6native12_GLOBAL__N_18offset_tEEE10hipError_tPvRmT1_PNSt15iterator_traitsISZ_E10value_typeET2_T3_PNS10_IS15_E10value_typeET4_jRbjT5_S1B_jjP12ihipStream_tbEUljE_EEESW_SX_SY_S15_S19_S1B_T6_T7_T9_mT8_S1D_bDpT10_ENKUlT_T0_E_clISt17integral_constantIbLb0EES1Q_EEDaS1L_S1M_EUlS1L_E_NS1_11comp_targetILNS1_3genE3ELNS1_11target_archE908ELNS1_3gpuE7ELNS1_3repE0EEENS1_30default_config_static_selectorELNS0_4arch9wavefront6targetE0EEEvSZ_ ; -- Begin function _ZN7rocprim17ROCPRIM_400000_NS6detail17trampoline_kernelINS0_13select_configILj256ELj13ELNS0_17block_load_methodE3ELS4_3ELS4_3ELNS0_20block_scan_algorithmE0ELj4294967295EEENS1_25partition_config_selectorILNS1_17partition_subalgoE3EjNS0_10empty_typeEbEEZZNS1_14partition_implILS8_3ELb0ES6_jNS0_17counting_iteratorIjlEEPS9_SE_NS0_5tupleIJPjSE_EEENSF_IJSE_SE_EEES9_SG_JZNS1_25segmented_radix_sort_implINS0_14default_configELb0EPK6__halfPSL_PKlPlN2at6native12_GLOBAL__N_18offset_tEEE10hipError_tPvRmT1_PNSt15iterator_traitsISZ_E10value_typeET2_T3_PNS10_IS15_E10value_typeET4_jRbjT5_S1B_jjP12ihipStream_tbEUljE_EEESW_SX_SY_S15_S19_S1B_T6_T7_T9_mT8_S1D_bDpT10_ENKUlT_T0_E_clISt17integral_constantIbLb0EES1Q_EEDaS1L_S1M_EUlS1L_E_NS1_11comp_targetILNS1_3genE3ELNS1_11target_archE908ELNS1_3gpuE7ELNS1_3repE0EEENS1_30default_config_static_selectorELNS0_4arch9wavefront6targetE0EEEvSZ_
	.p2align	8
	.type	_ZN7rocprim17ROCPRIM_400000_NS6detail17trampoline_kernelINS0_13select_configILj256ELj13ELNS0_17block_load_methodE3ELS4_3ELS4_3ELNS0_20block_scan_algorithmE0ELj4294967295EEENS1_25partition_config_selectorILNS1_17partition_subalgoE3EjNS0_10empty_typeEbEEZZNS1_14partition_implILS8_3ELb0ES6_jNS0_17counting_iteratorIjlEEPS9_SE_NS0_5tupleIJPjSE_EEENSF_IJSE_SE_EEES9_SG_JZNS1_25segmented_radix_sort_implINS0_14default_configELb0EPK6__halfPSL_PKlPlN2at6native12_GLOBAL__N_18offset_tEEE10hipError_tPvRmT1_PNSt15iterator_traitsISZ_E10value_typeET2_T3_PNS10_IS15_E10value_typeET4_jRbjT5_S1B_jjP12ihipStream_tbEUljE_EEESW_SX_SY_S15_S19_S1B_T6_T7_T9_mT8_S1D_bDpT10_ENKUlT_T0_E_clISt17integral_constantIbLb0EES1Q_EEDaS1L_S1M_EUlS1L_E_NS1_11comp_targetILNS1_3genE3ELNS1_11target_archE908ELNS1_3gpuE7ELNS1_3repE0EEENS1_30default_config_static_selectorELNS0_4arch9wavefront6targetE0EEEvSZ_,@function
_ZN7rocprim17ROCPRIM_400000_NS6detail17trampoline_kernelINS0_13select_configILj256ELj13ELNS0_17block_load_methodE3ELS4_3ELS4_3ELNS0_20block_scan_algorithmE0ELj4294967295EEENS1_25partition_config_selectorILNS1_17partition_subalgoE3EjNS0_10empty_typeEbEEZZNS1_14partition_implILS8_3ELb0ES6_jNS0_17counting_iteratorIjlEEPS9_SE_NS0_5tupleIJPjSE_EEENSF_IJSE_SE_EEES9_SG_JZNS1_25segmented_radix_sort_implINS0_14default_configELb0EPK6__halfPSL_PKlPlN2at6native12_GLOBAL__N_18offset_tEEE10hipError_tPvRmT1_PNSt15iterator_traitsISZ_E10value_typeET2_T3_PNS10_IS15_E10value_typeET4_jRbjT5_S1B_jjP12ihipStream_tbEUljE_EEESW_SX_SY_S15_S19_S1B_T6_T7_T9_mT8_S1D_bDpT10_ENKUlT_T0_E_clISt17integral_constantIbLb0EES1Q_EEDaS1L_S1M_EUlS1L_E_NS1_11comp_targetILNS1_3genE3ELNS1_11target_archE908ELNS1_3gpuE7ELNS1_3repE0EEENS1_30default_config_static_selectorELNS0_4arch9wavefront6targetE0EEEvSZ_: ; @_ZN7rocprim17ROCPRIM_400000_NS6detail17trampoline_kernelINS0_13select_configILj256ELj13ELNS0_17block_load_methodE3ELS4_3ELS4_3ELNS0_20block_scan_algorithmE0ELj4294967295EEENS1_25partition_config_selectorILNS1_17partition_subalgoE3EjNS0_10empty_typeEbEEZZNS1_14partition_implILS8_3ELb0ES6_jNS0_17counting_iteratorIjlEEPS9_SE_NS0_5tupleIJPjSE_EEENSF_IJSE_SE_EEES9_SG_JZNS1_25segmented_radix_sort_implINS0_14default_configELb0EPK6__halfPSL_PKlPlN2at6native12_GLOBAL__N_18offset_tEEE10hipError_tPvRmT1_PNSt15iterator_traitsISZ_E10value_typeET2_T3_PNS10_IS15_E10value_typeET4_jRbjT5_S1B_jjP12ihipStream_tbEUljE_EEESW_SX_SY_S15_S19_S1B_T6_T7_T9_mT8_S1D_bDpT10_ENKUlT_T0_E_clISt17integral_constantIbLb0EES1Q_EEDaS1L_S1M_EUlS1L_E_NS1_11comp_targetILNS1_3genE3ELNS1_11target_archE908ELNS1_3gpuE7ELNS1_3repE0EEENS1_30default_config_static_selectorELNS0_4arch9wavefront6targetE0EEEvSZ_
; %bb.0:
	.section	.rodata,"a",@progbits
	.p2align	6, 0x0
	.amdhsa_kernel _ZN7rocprim17ROCPRIM_400000_NS6detail17trampoline_kernelINS0_13select_configILj256ELj13ELNS0_17block_load_methodE3ELS4_3ELS4_3ELNS0_20block_scan_algorithmE0ELj4294967295EEENS1_25partition_config_selectorILNS1_17partition_subalgoE3EjNS0_10empty_typeEbEEZZNS1_14partition_implILS8_3ELb0ES6_jNS0_17counting_iteratorIjlEEPS9_SE_NS0_5tupleIJPjSE_EEENSF_IJSE_SE_EEES9_SG_JZNS1_25segmented_radix_sort_implINS0_14default_configELb0EPK6__halfPSL_PKlPlN2at6native12_GLOBAL__N_18offset_tEEE10hipError_tPvRmT1_PNSt15iterator_traitsISZ_E10value_typeET2_T3_PNS10_IS15_E10value_typeET4_jRbjT5_S1B_jjP12ihipStream_tbEUljE_EEESW_SX_SY_S15_S19_S1B_T6_T7_T9_mT8_S1D_bDpT10_ENKUlT_T0_E_clISt17integral_constantIbLb0EES1Q_EEDaS1L_S1M_EUlS1L_E_NS1_11comp_targetILNS1_3genE3ELNS1_11target_archE908ELNS1_3gpuE7ELNS1_3repE0EEENS1_30default_config_static_selectorELNS0_4arch9wavefront6targetE0EEEvSZ_
		.amdhsa_group_segment_fixed_size 0
		.amdhsa_private_segment_fixed_size 0
		.amdhsa_kernarg_size 144
		.amdhsa_user_sgpr_count 2
		.amdhsa_user_sgpr_dispatch_ptr 0
		.amdhsa_user_sgpr_queue_ptr 0
		.amdhsa_user_sgpr_kernarg_segment_ptr 1
		.amdhsa_user_sgpr_dispatch_id 0
		.amdhsa_user_sgpr_kernarg_preload_length 0
		.amdhsa_user_sgpr_kernarg_preload_offset 0
		.amdhsa_user_sgpr_private_segment_size 0
		.amdhsa_wavefront_size32 1
		.amdhsa_uses_dynamic_stack 0
		.amdhsa_enable_private_segment 0
		.amdhsa_system_sgpr_workgroup_id_x 1
		.amdhsa_system_sgpr_workgroup_id_y 0
		.amdhsa_system_sgpr_workgroup_id_z 0
		.amdhsa_system_sgpr_workgroup_info 0
		.amdhsa_system_vgpr_workitem_id 0
		.amdhsa_next_free_vgpr 1
		.amdhsa_next_free_sgpr 1
		.amdhsa_named_barrier_count 0
		.amdhsa_reserve_vcc 0
		.amdhsa_float_round_mode_32 0
		.amdhsa_float_round_mode_16_64 0
		.amdhsa_float_denorm_mode_32 3
		.amdhsa_float_denorm_mode_16_64 3
		.amdhsa_fp16_overflow 0
		.amdhsa_memory_ordered 1
		.amdhsa_forward_progress 1
		.amdhsa_inst_pref_size 0
		.amdhsa_round_robin_scheduling 0
		.amdhsa_exception_fp_ieee_invalid_op 0
		.amdhsa_exception_fp_denorm_src 0
		.amdhsa_exception_fp_ieee_div_zero 0
		.amdhsa_exception_fp_ieee_overflow 0
		.amdhsa_exception_fp_ieee_underflow 0
		.amdhsa_exception_fp_ieee_inexact 0
		.amdhsa_exception_int_div_zero 0
	.end_amdhsa_kernel
	.section	.text._ZN7rocprim17ROCPRIM_400000_NS6detail17trampoline_kernelINS0_13select_configILj256ELj13ELNS0_17block_load_methodE3ELS4_3ELS4_3ELNS0_20block_scan_algorithmE0ELj4294967295EEENS1_25partition_config_selectorILNS1_17partition_subalgoE3EjNS0_10empty_typeEbEEZZNS1_14partition_implILS8_3ELb0ES6_jNS0_17counting_iteratorIjlEEPS9_SE_NS0_5tupleIJPjSE_EEENSF_IJSE_SE_EEES9_SG_JZNS1_25segmented_radix_sort_implINS0_14default_configELb0EPK6__halfPSL_PKlPlN2at6native12_GLOBAL__N_18offset_tEEE10hipError_tPvRmT1_PNSt15iterator_traitsISZ_E10value_typeET2_T3_PNS10_IS15_E10value_typeET4_jRbjT5_S1B_jjP12ihipStream_tbEUljE_EEESW_SX_SY_S15_S19_S1B_T6_T7_T9_mT8_S1D_bDpT10_ENKUlT_T0_E_clISt17integral_constantIbLb0EES1Q_EEDaS1L_S1M_EUlS1L_E_NS1_11comp_targetILNS1_3genE3ELNS1_11target_archE908ELNS1_3gpuE7ELNS1_3repE0EEENS1_30default_config_static_selectorELNS0_4arch9wavefront6targetE0EEEvSZ_,"axG",@progbits,_ZN7rocprim17ROCPRIM_400000_NS6detail17trampoline_kernelINS0_13select_configILj256ELj13ELNS0_17block_load_methodE3ELS4_3ELS4_3ELNS0_20block_scan_algorithmE0ELj4294967295EEENS1_25partition_config_selectorILNS1_17partition_subalgoE3EjNS0_10empty_typeEbEEZZNS1_14partition_implILS8_3ELb0ES6_jNS0_17counting_iteratorIjlEEPS9_SE_NS0_5tupleIJPjSE_EEENSF_IJSE_SE_EEES9_SG_JZNS1_25segmented_radix_sort_implINS0_14default_configELb0EPK6__halfPSL_PKlPlN2at6native12_GLOBAL__N_18offset_tEEE10hipError_tPvRmT1_PNSt15iterator_traitsISZ_E10value_typeET2_T3_PNS10_IS15_E10value_typeET4_jRbjT5_S1B_jjP12ihipStream_tbEUljE_EEESW_SX_SY_S15_S19_S1B_T6_T7_T9_mT8_S1D_bDpT10_ENKUlT_T0_E_clISt17integral_constantIbLb0EES1Q_EEDaS1L_S1M_EUlS1L_E_NS1_11comp_targetILNS1_3genE3ELNS1_11target_archE908ELNS1_3gpuE7ELNS1_3repE0EEENS1_30default_config_static_selectorELNS0_4arch9wavefront6targetE0EEEvSZ_,comdat
.Lfunc_end1803:
	.size	_ZN7rocprim17ROCPRIM_400000_NS6detail17trampoline_kernelINS0_13select_configILj256ELj13ELNS0_17block_load_methodE3ELS4_3ELS4_3ELNS0_20block_scan_algorithmE0ELj4294967295EEENS1_25partition_config_selectorILNS1_17partition_subalgoE3EjNS0_10empty_typeEbEEZZNS1_14partition_implILS8_3ELb0ES6_jNS0_17counting_iteratorIjlEEPS9_SE_NS0_5tupleIJPjSE_EEENSF_IJSE_SE_EEES9_SG_JZNS1_25segmented_radix_sort_implINS0_14default_configELb0EPK6__halfPSL_PKlPlN2at6native12_GLOBAL__N_18offset_tEEE10hipError_tPvRmT1_PNSt15iterator_traitsISZ_E10value_typeET2_T3_PNS10_IS15_E10value_typeET4_jRbjT5_S1B_jjP12ihipStream_tbEUljE_EEESW_SX_SY_S15_S19_S1B_T6_T7_T9_mT8_S1D_bDpT10_ENKUlT_T0_E_clISt17integral_constantIbLb0EES1Q_EEDaS1L_S1M_EUlS1L_E_NS1_11comp_targetILNS1_3genE3ELNS1_11target_archE908ELNS1_3gpuE7ELNS1_3repE0EEENS1_30default_config_static_selectorELNS0_4arch9wavefront6targetE0EEEvSZ_, .Lfunc_end1803-_ZN7rocprim17ROCPRIM_400000_NS6detail17trampoline_kernelINS0_13select_configILj256ELj13ELNS0_17block_load_methodE3ELS4_3ELS4_3ELNS0_20block_scan_algorithmE0ELj4294967295EEENS1_25partition_config_selectorILNS1_17partition_subalgoE3EjNS0_10empty_typeEbEEZZNS1_14partition_implILS8_3ELb0ES6_jNS0_17counting_iteratorIjlEEPS9_SE_NS0_5tupleIJPjSE_EEENSF_IJSE_SE_EEES9_SG_JZNS1_25segmented_radix_sort_implINS0_14default_configELb0EPK6__halfPSL_PKlPlN2at6native12_GLOBAL__N_18offset_tEEE10hipError_tPvRmT1_PNSt15iterator_traitsISZ_E10value_typeET2_T3_PNS10_IS15_E10value_typeET4_jRbjT5_S1B_jjP12ihipStream_tbEUljE_EEESW_SX_SY_S15_S19_S1B_T6_T7_T9_mT8_S1D_bDpT10_ENKUlT_T0_E_clISt17integral_constantIbLb0EES1Q_EEDaS1L_S1M_EUlS1L_E_NS1_11comp_targetILNS1_3genE3ELNS1_11target_archE908ELNS1_3gpuE7ELNS1_3repE0EEENS1_30default_config_static_selectorELNS0_4arch9wavefront6targetE0EEEvSZ_
                                        ; -- End function
	.set _ZN7rocprim17ROCPRIM_400000_NS6detail17trampoline_kernelINS0_13select_configILj256ELj13ELNS0_17block_load_methodE3ELS4_3ELS4_3ELNS0_20block_scan_algorithmE0ELj4294967295EEENS1_25partition_config_selectorILNS1_17partition_subalgoE3EjNS0_10empty_typeEbEEZZNS1_14partition_implILS8_3ELb0ES6_jNS0_17counting_iteratorIjlEEPS9_SE_NS0_5tupleIJPjSE_EEENSF_IJSE_SE_EEES9_SG_JZNS1_25segmented_radix_sort_implINS0_14default_configELb0EPK6__halfPSL_PKlPlN2at6native12_GLOBAL__N_18offset_tEEE10hipError_tPvRmT1_PNSt15iterator_traitsISZ_E10value_typeET2_T3_PNS10_IS15_E10value_typeET4_jRbjT5_S1B_jjP12ihipStream_tbEUljE_EEESW_SX_SY_S15_S19_S1B_T6_T7_T9_mT8_S1D_bDpT10_ENKUlT_T0_E_clISt17integral_constantIbLb0EES1Q_EEDaS1L_S1M_EUlS1L_E_NS1_11comp_targetILNS1_3genE3ELNS1_11target_archE908ELNS1_3gpuE7ELNS1_3repE0EEENS1_30default_config_static_selectorELNS0_4arch9wavefront6targetE0EEEvSZ_.num_vgpr, 0
	.set _ZN7rocprim17ROCPRIM_400000_NS6detail17trampoline_kernelINS0_13select_configILj256ELj13ELNS0_17block_load_methodE3ELS4_3ELS4_3ELNS0_20block_scan_algorithmE0ELj4294967295EEENS1_25partition_config_selectorILNS1_17partition_subalgoE3EjNS0_10empty_typeEbEEZZNS1_14partition_implILS8_3ELb0ES6_jNS0_17counting_iteratorIjlEEPS9_SE_NS0_5tupleIJPjSE_EEENSF_IJSE_SE_EEES9_SG_JZNS1_25segmented_radix_sort_implINS0_14default_configELb0EPK6__halfPSL_PKlPlN2at6native12_GLOBAL__N_18offset_tEEE10hipError_tPvRmT1_PNSt15iterator_traitsISZ_E10value_typeET2_T3_PNS10_IS15_E10value_typeET4_jRbjT5_S1B_jjP12ihipStream_tbEUljE_EEESW_SX_SY_S15_S19_S1B_T6_T7_T9_mT8_S1D_bDpT10_ENKUlT_T0_E_clISt17integral_constantIbLb0EES1Q_EEDaS1L_S1M_EUlS1L_E_NS1_11comp_targetILNS1_3genE3ELNS1_11target_archE908ELNS1_3gpuE7ELNS1_3repE0EEENS1_30default_config_static_selectorELNS0_4arch9wavefront6targetE0EEEvSZ_.num_agpr, 0
	.set _ZN7rocprim17ROCPRIM_400000_NS6detail17trampoline_kernelINS0_13select_configILj256ELj13ELNS0_17block_load_methodE3ELS4_3ELS4_3ELNS0_20block_scan_algorithmE0ELj4294967295EEENS1_25partition_config_selectorILNS1_17partition_subalgoE3EjNS0_10empty_typeEbEEZZNS1_14partition_implILS8_3ELb0ES6_jNS0_17counting_iteratorIjlEEPS9_SE_NS0_5tupleIJPjSE_EEENSF_IJSE_SE_EEES9_SG_JZNS1_25segmented_radix_sort_implINS0_14default_configELb0EPK6__halfPSL_PKlPlN2at6native12_GLOBAL__N_18offset_tEEE10hipError_tPvRmT1_PNSt15iterator_traitsISZ_E10value_typeET2_T3_PNS10_IS15_E10value_typeET4_jRbjT5_S1B_jjP12ihipStream_tbEUljE_EEESW_SX_SY_S15_S19_S1B_T6_T7_T9_mT8_S1D_bDpT10_ENKUlT_T0_E_clISt17integral_constantIbLb0EES1Q_EEDaS1L_S1M_EUlS1L_E_NS1_11comp_targetILNS1_3genE3ELNS1_11target_archE908ELNS1_3gpuE7ELNS1_3repE0EEENS1_30default_config_static_selectorELNS0_4arch9wavefront6targetE0EEEvSZ_.numbered_sgpr, 0
	.set _ZN7rocprim17ROCPRIM_400000_NS6detail17trampoline_kernelINS0_13select_configILj256ELj13ELNS0_17block_load_methodE3ELS4_3ELS4_3ELNS0_20block_scan_algorithmE0ELj4294967295EEENS1_25partition_config_selectorILNS1_17partition_subalgoE3EjNS0_10empty_typeEbEEZZNS1_14partition_implILS8_3ELb0ES6_jNS0_17counting_iteratorIjlEEPS9_SE_NS0_5tupleIJPjSE_EEENSF_IJSE_SE_EEES9_SG_JZNS1_25segmented_radix_sort_implINS0_14default_configELb0EPK6__halfPSL_PKlPlN2at6native12_GLOBAL__N_18offset_tEEE10hipError_tPvRmT1_PNSt15iterator_traitsISZ_E10value_typeET2_T3_PNS10_IS15_E10value_typeET4_jRbjT5_S1B_jjP12ihipStream_tbEUljE_EEESW_SX_SY_S15_S19_S1B_T6_T7_T9_mT8_S1D_bDpT10_ENKUlT_T0_E_clISt17integral_constantIbLb0EES1Q_EEDaS1L_S1M_EUlS1L_E_NS1_11comp_targetILNS1_3genE3ELNS1_11target_archE908ELNS1_3gpuE7ELNS1_3repE0EEENS1_30default_config_static_selectorELNS0_4arch9wavefront6targetE0EEEvSZ_.num_named_barrier, 0
	.set _ZN7rocprim17ROCPRIM_400000_NS6detail17trampoline_kernelINS0_13select_configILj256ELj13ELNS0_17block_load_methodE3ELS4_3ELS4_3ELNS0_20block_scan_algorithmE0ELj4294967295EEENS1_25partition_config_selectorILNS1_17partition_subalgoE3EjNS0_10empty_typeEbEEZZNS1_14partition_implILS8_3ELb0ES6_jNS0_17counting_iteratorIjlEEPS9_SE_NS0_5tupleIJPjSE_EEENSF_IJSE_SE_EEES9_SG_JZNS1_25segmented_radix_sort_implINS0_14default_configELb0EPK6__halfPSL_PKlPlN2at6native12_GLOBAL__N_18offset_tEEE10hipError_tPvRmT1_PNSt15iterator_traitsISZ_E10value_typeET2_T3_PNS10_IS15_E10value_typeET4_jRbjT5_S1B_jjP12ihipStream_tbEUljE_EEESW_SX_SY_S15_S19_S1B_T6_T7_T9_mT8_S1D_bDpT10_ENKUlT_T0_E_clISt17integral_constantIbLb0EES1Q_EEDaS1L_S1M_EUlS1L_E_NS1_11comp_targetILNS1_3genE3ELNS1_11target_archE908ELNS1_3gpuE7ELNS1_3repE0EEENS1_30default_config_static_selectorELNS0_4arch9wavefront6targetE0EEEvSZ_.private_seg_size, 0
	.set _ZN7rocprim17ROCPRIM_400000_NS6detail17trampoline_kernelINS0_13select_configILj256ELj13ELNS0_17block_load_methodE3ELS4_3ELS4_3ELNS0_20block_scan_algorithmE0ELj4294967295EEENS1_25partition_config_selectorILNS1_17partition_subalgoE3EjNS0_10empty_typeEbEEZZNS1_14partition_implILS8_3ELb0ES6_jNS0_17counting_iteratorIjlEEPS9_SE_NS0_5tupleIJPjSE_EEENSF_IJSE_SE_EEES9_SG_JZNS1_25segmented_radix_sort_implINS0_14default_configELb0EPK6__halfPSL_PKlPlN2at6native12_GLOBAL__N_18offset_tEEE10hipError_tPvRmT1_PNSt15iterator_traitsISZ_E10value_typeET2_T3_PNS10_IS15_E10value_typeET4_jRbjT5_S1B_jjP12ihipStream_tbEUljE_EEESW_SX_SY_S15_S19_S1B_T6_T7_T9_mT8_S1D_bDpT10_ENKUlT_T0_E_clISt17integral_constantIbLb0EES1Q_EEDaS1L_S1M_EUlS1L_E_NS1_11comp_targetILNS1_3genE3ELNS1_11target_archE908ELNS1_3gpuE7ELNS1_3repE0EEENS1_30default_config_static_selectorELNS0_4arch9wavefront6targetE0EEEvSZ_.uses_vcc, 0
	.set _ZN7rocprim17ROCPRIM_400000_NS6detail17trampoline_kernelINS0_13select_configILj256ELj13ELNS0_17block_load_methodE3ELS4_3ELS4_3ELNS0_20block_scan_algorithmE0ELj4294967295EEENS1_25partition_config_selectorILNS1_17partition_subalgoE3EjNS0_10empty_typeEbEEZZNS1_14partition_implILS8_3ELb0ES6_jNS0_17counting_iteratorIjlEEPS9_SE_NS0_5tupleIJPjSE_EEENSF_IJSE_SE_EEES9_SG_JZNS1_25segmented_radix_sort_implINS0_14default_configELb0EPK6__halfPSL_PKlPlN2at6native12_GLOBAL__N_18offset_tEEE10hipError_tPvRmT1_PNSt15iterator_traitsISZ_E10value_typeET2_T3_PNS10_IS15_E10value_typeET4_jRbjT5_S1B_jjP12ihipStream_tbEUljE_EEESW_SX_SY_S15_S19_S1B_T6_T7_T9_mT8_S1D_bDpT10_ENKUlT_T0_E_clISt17integral_constantIbLb0EES1Q_EEDaS1L_S1M_EUlS1L_E_NS1_11comp_targetILNS1_3genE3ELNS1_11target_archE908ELNS1_3gpuE7ELNS1_3repE0EEENS1_30default_config_static_selectorELNS0_4arch9wavefront6targetE0EEEvSZ_.uses_flat_scratch, 0
	.set _ZN7rocprim17ROCPRIM_400000_NS6detail17trampoline_kernelINS0_13select_configILj256ELj13ELNS0_17block_load_methodE3ELS4_3ELS4_3ELNS0_20block_scan_algorithmE0ELj4294967295EEENS1_25partition_config_selectorILNS1_17partition_subalgoE3EjNS0_10empty_typeEbEEZZNS1_14partition_implILS8_3ELb0ES6_jNS0_17counting_iteratorIjlEEPS9_SE_NS0_5tupleIJPjSE_EEENSF_IJSE_SE_EEES9_SG_JZNS1_25segmented_radix_sort_implINS0_14default_configELb0EPK6__halfPSL_PKlPlN2at6native12_GLOBAL__N_18offset_tEEE10hipError_tPvRmT1_PNSt15iterator_traitsISZ_E10value_typeET2_T3_PNS10_IS15_E10value_typeET4_jRbjT5_S1B_jjP12ihipStream_tbEUljE_EEESW_SX_SY_S15_S19_S1B_T6_T7_T9_mT8_S1D_bDpT10_ENKUlT_T0_E_clISt17integral_constantIbLb0EES1Q_EEDaS1L_S1M_EUlS1L_E_NS1_11comp_targetILNS1_3genE3ELNS1_11target_archE908ELNS1_3gpuE7ELNS1_3repE0EEENS1_30default_config_static_selectorELNS0_4arch9wavefront6targetE0EEEvSZ_.has_dyn_sized_stack, 0
	.set _ZN7rocprim17ROCPRIM_400000_NS6detail17trampoline_kernelINS0_13select_configILj256ELj13ELNS0_17block_load_methodE3ELS4_3ELS4_3ELNS0_20block_scan_algorithmE0ELj4294967295EEENS1_25partition_config_selectorILNS1_17partition_subalgoE3EjNS0_10empty_typeEbEEZZNS1_14partition_implILS8_3ELb0ES6_jNS0_17counting_iteratorIjlEEPS9_SE_NS0_5tupleIJPjSE_EEENSF_IJSE_SE_EEES9_SG_JZNS1_25segmented_radix_sort_implINS0_14default_configELb0EPK6__halfPSL_PKlPlN2at6native12_GLOBAL__N_18offset_tEEE10hipError_tPvRmT1_PNSt15iterator_traitsISZ_E10value_typeET2_T3_PNS10_IS15_E10value_typeET4_jRbjT5_S1B_jjP12ihipStream_tbEUljE_EEESW_SX_SY_S15_S19_S1B_T6_T7_T9_mT8_S1D_bDpT10_ENKUlT_T0_E_clISt17integral_constantIbLb0EES1Q_EEDaS1L_S1M_EUlS1L_E_NS1_11comp_targetILNS1_3genE3ELNS1_11target_archE908ELNS1_3gpuE7ELNS1_3repE0EEENS1_30default_config_static_selectorELNS0_4arch9wavefront6targetE0EEEvSZ_.has_recursion, 0
	.set _ZN7rocprim17ROCPRIM_400000_NS6detail17trampoline_kernelINS0_13select_configILj256ELj13ELNS0_17block_load_methodE3ELS4_3ELS4_3ELNS0_20block_scan_algorithmE0ELj4294967295EEENS1_25partition_config_selectorILNS1_17partition_subalgoE3EjNS0_10empty_typeEbEEZZNS1_14partition_implILS8_3ELb0ES6_jNS0_17counting_iteratorIjlEEPS9_SE_NS0_5tupleIJPjSE_EEENSF_IJSE_SE_EEES9_SG_JZNS1_25segmented_radix_sort_implINS0_14default_configELb0EPK6__halfPSL_PKlPlN2at6native12_GLOBAL__N_18offset_tEEE10hipError_tPvRmT1_PNSt15iterator_traitsISZ_E10value_typeET2_T3_PNS10_IS15_E10value_typeET4_jRbjT5_S1B_jjP12ihipStream_tbEUljE_EEESW_SX_SY_S15_S19_S1B_T6_T7_T9_mT8_S1D_bDpT10_ENKUlT_T0_E_clISt17integral_constantIbLb0EES1Q_EEDaS1L_S1M_EUlS1L_E_NS1_11comp_targetILNS1_3genE3ELNS1_11target_archE908ELNS1_3gpuE7ELNS1_3repE0EEENS1_30default_config_static_selectorELNS0_4arch9wavefront6targetE0EEEvSZ_.has_indirect_call, 0
	.section	.AMDGPU.csdata,"",@progbits
; Kernel info:
; codeLenInByte = 0
; TotalNumSgprs: 0
; NumVgprs: 0
; ScratchSize: 0
; MemoryBound: 0
; FloatMode: 240
; IeeeMode: 1
; LDSByteSize: 0 bytes/workgroup (compile time only)
; SGPRBlocks: 0
; VGPRBlocks: 0
; NumSGPRsForWavesPerEU: 1
; NumVGPRsForWavesPerEU: 1
; NamedBarCnt: 0
; Occupancy: 16
; WaveLimiterHint : 0
; COMPUTE_PGM_RSRC2:SCRATCH_EN: 0
; COMPUTE_PGM_RSRC2:USER_SGPR: 2
; COMPUTE_PGM_RSRC2:TRAP_HANDLER: 0
; COMPUTE_PGM_RSRC2:TGID_X_EN: 1
; COMPUTE_PGM_RSRC2:TGID_Y_EN: 0
; COMPUTE_PGM_RSRC2:TGID_Z_EN: 0
; COMPUTE_PGM_RSRC2:TIDIG_COMP_CNT: 0
	.section	.text._ZN7rocprim17ROCPRIM_400000_NS6detail17trampoline_kernelINS0_13select_configILj256ELj13ELNS0_17block_load_methodE3ELS4_3ELS4_3ELNS0_20block_scan_algorithmE0ELj4294967295EEENS1_25partition_config_selectorILNS1_17partition_subalgoE3EjNS0_10empty_typeEbEEZZNS1_14partition_implILS8_3ELb0ES6_jNS0_17counting_iteratorIjlEEPS9_SE_NS0_5tupleIJPjSE_EEENSF_IJSE_SE_EEES9_SG_JZNS1_25segmented_radix_sort_implINS0_14default_configELb0EPK6__halfPSL_PKlPlN2at6native12_GLOBAL__N_18offset_tEEE10hipError_tPvRmT1_PNSt15iterator_traitsISZ_E10value_typeET2_T3_PNS10_IS15_E10value_typeET4_jRbjT5_S1B_jjP12ihipStream_tbEUljE_EEESW_SX_SY_S15_S19_S1B_T6_T7_T9_mT8_S1D_bDpT10_ENKUlT_T0_E_clISt17integral_constantIbLb0EES1Q_EEDaS1L_S1M_EUlS1L_E_NS1_11comp_targetILNS1_3genE2ELNS1_11target_archE906ELNS1_3gpuE6ELNS1_3repE0EEENS1_30default_config_static_selectorELNS0_4arch9wavefront6targetE0EEEvSZ_,"axG",@progbits,_ZN7rocprim17ROCPRIM_400000_NS6detail17trampoline_kernelINS0_13select_configILj256ELj13ELNS0_17block_load_methodE3ELS4_3ELS4_3ELNS0_20block_scan_algorithmE0ELj4294967295EEENS1_25partition_config_selectorILNS1_17partition_subalgoE3EjNS0_10empty_typeEbEEZZNS1_14partition_implILS8_3ELb0ES6_jNS0_17counting_iteratorIjlEEPS9_SE_NS0_5tupleIJPjSE_EEENSF_IJSE_SE_EEES9_SG_JZNS1_25segmented_radix_sort_implINS0_14default_configELb0EPK6__halfPSL_PKlPlN2at6native12_GLOBAL__N_18offset_tEEE10hipError_tPvRmT1_PNSt15iterator_traitsISZ_E10value_typeET2_T3_PNS10_IS15_E10value_typeET4_jRbjT5_S1B_jjP12ihipStream_tbEUljE_EEESW_SX_SY_S15_S19_S1B_T6_T7_T9_mT8_S1D_bDpT10_ENKUlT_T0_E_clISt17integral_constantIbLb0EES1Q_EEDaS1L_S1M_EUlS1L_E_NS1_11comp_targetILNS1_3genE2ELNS1_11target_archE906ELNS1_3gpuE6ELNS1_3repE0EEENS1_30default_config_static_selectorELNS0_4arch9wavefront6targetE0EEEvSZ_,comdat
	.globl	_ZN7rocprim17ROCPRIM_400000_NS6detail17trampoline_kernelINS0_13select_configILj256ELj13ELNS0_17block_load_methodE3ELS4_3ELS4_3ELNS0_20block_scan_algorithmE0ELj4294967295EEENS1_25partition_config_selectorILNS1_17partition_subalgoE3EjNS0_10empty_typeEbEEZZNS1_14partition_implILS8_3ELb0ES6_jNS0_17counting_iteratorIjlEEPS9_SE_NS0_5tupleIJPjSE_EEENSF_IJSE_SE_EEES9_SG_JZNS1_25segmented_radix_sort_implINS0_14default_configELb0EPK6__halfPSL_PKlPlN2at6native12_GLOBAL__N_18offset_tEEE10hipError_tPvRmT1_PNSt15iterator_traitsISZ_E10value_typeET2_T3_PNS10_IS15_E10value_typeET4_jRbjT5_S1B_jjP12ihipStream_tbEUljE_EEESW_SX_SY_S15_S19_S1B_T6_T7_T9_mT8_S1D_bDpT10_ENKUlT_T0_E_clISt17integral_constantIbLb0EES1Q_EEDaS1L_S1M_EUlS1L_E_NS1_11comp_targetILNS1_3genE2ELNS1_11target_archE906ELNS1_3gpuE6ELNS1_3repE0EEENS1_30default_config_static_selectorELNS0_4arch9wavefront6targetE0EEEvSZ_ ; -- Begin function _ZN7rocprim17ROCPRIM_400000_NS6detail17trampoline_kernelINS0_13select_configILj256ELj13ELNS0_17block_load_methodE3ELS4_3ELS4_3ELNS0_20block_scan_algorithmE0ELj4294967295EEENS1_25partition_config_selectorILNS1_17partition_subalgoE3EjNS0_10empty_typeEbEEZZNS1_14partition_implILS8_3ELb0ES6_jNS0_17counting_iteratorIjlEEPS9_SE_NS0_5tupleIJPjSE_EEENSF_IJSE_SE_EEES9_SG_JZNS1_25segmented_radix_sort_implINS0_14default_configELb0EPK6__halfPSL_PKlPlN2at6native12_GLOBAL__N_18offset_tEEE10hipError_tPvRmT1_PNSt15iterator_traitsISZ_E10value_typeET2_T3_PNS10_IS15_E10value_typeET4_jRbjT5_S1B_jjP12ihipStream_tbEUljE_EEESW_SX_SY_S15_S19_S1B_T6_T7_T9_mT8_S1D_bDpT10_ENKUlT_T0_E_clISt17integral_constantIbLb0EES1Q_EEDaS1L_S1M_EUlS1L_E_NS1_11comp_targetILNS1_3genE2ELNS1_11target_archE906ELNS1_3gpuE6ELNS1_3repE0EEENS1_30default_config_static_selectorELNS0_4arch9wavefront6targetE0EEEvSZ_
	.p2align	8
	.type	_ZN7rocprim17ROCPRIM_400000_NS6detail17trampoline_kernelINS0_13select_configILj256ELj13ELNS0_17block_load_methodE3ELS4_3ELS4_3ELNS0_20block_scan_algorithmE0ELj4294967295EEENS1_25partition_config_selectorILNS1_17partition_subalgoE3EjNS0_10empty_typeEbEEZZNS1_14partition_implILS8_3ELb0ES6_jNS0_17counting_iteratorIjlEEPS9_SE_NS0_5tupleIJPjSE_EEENSF_IJSE_SE_EEES9_SG_JZNS1_25segmented_radix_sort_implINS0_14default_configELb0EPK6__halfPSL_PKlPlN2at6native12_GLOBAL__N_18offset_tEEE10hipError_tPvRmT1_PNSt15iterator_traitsISZ_E10value_typeET2_T3_PNS10_IS15_E10value_typeET4_jRbjT5_S1B_jjP12ihipStream_tbEUljE_EEESW_SX_SY_S15_S19_S1B_T6_T7_T9_mT8_S1D_bDpT10_ENKUlT_T0_E_clISt17integral_constantIbLb0EES1Q_EEDaS1L_S1M_EUlS1L_E_NS1_11comp_targetILNS1_3genE2ELNS1_11target_archE906ELNS1_3gpuE6ELNS1_3repE0EEENS1_30default_config_static_selectorELNS0_4arch9wavefront6targetE0EEEvSZ_,@function
_ZN7rocprim17ROCPRIM_400000_NS6detail17trampoline_kernelINS0_13select_configILj256ELj13ELNS0_17block_load_methodE3ELS4_3ELS4_3ELNS0_20block_scan_algorithmE0ELj4294967295EEENS1_25partition_config_selectorILNS1_17partition_subalgoE3EjNS0_10empty_typeEbEEZZNS1_14partition_implILS8_3ELb0ES6_jNS0_17counting_iteratorIjlEEPS9_SE_NS0_5tupleIJPjSE_EEENSF_IJSE_SE_EEES9_SG_JZNS1_25segmented_radix_sort_implINS0_14default_configELb0EPK6__halfPSL_PKlPlN2at6native12_GLOBAL__N_18offset_tEEE10hipError_tPvRmT1_PNSt15iterator_traitsISZ_E10value_typeET2_T3_PNS10_IS15_E10value_typeET4_jRbjT5_S1B_jjP12ihipStream_tbEUljE_EEESW_SX_SY_S15_S19_S1B_T6_T7_T9_mT8_S1D_bDpT10_ENKUlT_T0_E_clISt17integral_constantIbLb0EES1Q_EEDaS1L_S1M_EUlS1L_E_NS1_11comp_targetILNS1_3genE2ELNS1_11target_archE906ELNS1_3gpuE6ELNS1_3repE0EEENS1_30default_config_static_selectorELNS0_4arch9wavefront6targetE0EEEvSZ_: ; @_ZN7rocprim17ROCPRIM_400000_NS6detail17trampoline_kernelINS0_13select_configILj256ELj13ELNS0_17block_load_methodE3ELS4_3ELS4_3ELNS0_20block_scan_algorithmE0ELj4294967295EEENS1_25partition_config_selectorILNS1_17partition_subalgoE3EjNS0_10empty_typeEbEEZZNS1_14partition_implILS8_3ELb0ES6_jNS0_17counting_iteratorIjlEEPS9_SE_NS0_5tupleIJPjSE_EEENSF_IJSE_SE_EEES9_SG_JZNS1_25segmented_radix_sort_implINS0_14default_configELb0EPK6__halfPSL_PKlPlN2at6native12_GLOBAL__N_18offset_tEEE10hipError_tPvRmT1_PNSt15iterator_traitsISZ_E10value_typeET2_T3_PNS10_IS15_E10value_typeET4_jRbjT5_S1B_jjP12ihipStream_tbEUljE_EEESW_SX_SY_S15_S19_S1B_T6_T7_T9_mT8_S1D_bDpT10_ENKUlT_T0_E_clISt17integral_constantIbLb0EES1Q_EEDaS1L_S1M_EUlS1L_E_NS1_11comp_targetILNS1_3genE2ELNS1_11target_archE906ELNS1_3gpuE6ELNS1_3repE0EEENS1_30default_config_static_selectorELNS0_4arch9wavefront6targetE0EEEvSZ_
; %bb.0:
	.section	.rodata,"a",@progbits
	.p2align	6, 0x0
	.amdhsa_kernel _ZN7rocprim17ROCPRIM_400000_NS6detail17trampoline_kernelINS0_13select_configILj256ELj13ELNS0_17block_load_methodE3ELS4_3ELS4_3ELNS0_20block_scan_algorithmE0ELj4294967295EEENS1_25partition_config_selectorILNS1_17partition_subalgoE3EjNS0_10empty_typeEbEEZZNS1_14partition_implILS8_3ELb0ES6_jNS0_17counting_iteratorIjlEEPS9_SE_NS0_5tupleIJPjSE_EEENSF_IJSE_SE_EEES9_SG_JZNS1_25segmented_radix_sort_implINS0_14default_configELb0EPK6__halfPSL_PKlPlN2at6native12_GLOBAL__N_18offset_tEEE10hipError_tPvRmT1_PNSt15iterator_traitsISZ_E10value_typeET2_T3_PNS10_IS15_E10value_typeET4_jRbjT5_S1B_jjP12ihipStream_tbEUljE_EEESW_SX_SY_S15_S19_S1B_T6_T7_T9_mT8_S1D_bDpT10_ENKUlT_T0_E_clISt17integral_constantIbLb0EES1Q_EEDaS1L_S1M_EUlS1L_E_NS1_11comp_targetILNS1_3genE2ELNS1_11target_archE906ELNS1_3gpuE6ELNS1_3repE0EEENS1_30default_config_static_selectorELNS0_4arch9wavefront6targetE0EEEvSZ_
		.amdhsa_group_segment_fixed_size 0
		.amdhsa_private_segment_fixed_size 0
		.amdhsa_kernarg_size 144
		.amdhsa_user_sgpr_count 2
		.amdhsa_user_sgpr_dispatch_ptr 0
		.amdhsa_user_sgpr_queue_ptr 0
		.amdhsa_user_sgpr_kernarg_segment_ptr 1
		.amdhsa_user_sgpr_dispatch_id 0
		.amdhsa_user_sgpr_kernarg_preload_length 0
		.amdhsa_user_sgpr_kernarg_preload_offset 0
		.amdhsa_user_sgpr_private_segment_size 0
		.amdhsa_wavefront_size32 1
		.amdhsa_uses_dynamic_stack 0
		.amdhsa_enable_private_segment 0
		.amdhsa_system_sgpr_workgroup_id_x 1
		.amdhsa_system_sgpr_workgroup_id_y 0
		.amdhsa_system_sgpr_workgroup_id_z 0
		.amdhsa_system_sgpr_workgroup_info 0
		.amdhsa_system_vgpr_workitem_id 0
		.amdhsa_next_free_vgpr 1
		.amdhsa_next_free_sgpr 1
		.amdhsa_named_barrier_count 0
		.amdhsa_reserve_vcc 0
		.amdhsa_float_round_mode_32 0
		.amdhsa_float_round_mode_16_64 0
		.amdhsa_float_denorm_mode_32 3
		.amdhsa_float_denorm_mode_16_64 3
		.amdhsa_fp16_overflow 0
		.amdhsa_memory_ordered 1
		.amdhsa_forward_progress 1
		.amdhsa_inst_pref_size 0
		.amdhsa_round_robin_scheduling 0
		.amdhsa_exception_fp_ieee_invalid_op 0
		.amdhsa_exception_fp_denorm_src 0
		.amdhsa_exception_fp_ieee_div_zero 0
		.amdhsa_exception_fp_ieee_overflow 0
		.amdhsa_exception_fp_ieee_underflow 0
		.amdhsa_exception_fp_ieee_inexact 0
		.amdhsa_exception_int_div_zero 0
	.end_amdhsa_kernel
	.section	.text._ZN7rocprim17ROCPRIM_400000_NS6detail17trampoline_kernelINS0_13select_configILj256ELj13ELNS0_17block_load_methodE3ELS4_3ELS4_3ELNS0_20block_scan_algorithmE0ELj4294967295EEENS1_25partition_config_selectorILNS1_17partition_subalgoE3EjNS0_10empty_typeEbEEZZNS1_14partition_implILS8_3ELb0ES6_jNS0_17counting_iteratorIjlEEPS9_SE_NS0_5tupleIJPjSE_EEENSF_IJSE_SE_EEES9_SG_JZNS1_25segmented_radix_sort_implINS0_14default_configELb0EPK6__halfPSL_PKlPlN2at6native12_GLOBAL__N_18offset_tEEE10hipError_tPvRmT1_PNSt15iterator_traitsISZ_E10value_typeET2_T3_PNS10_IS15_E10value_typeET4_jRbjT5_S1B_jjP12ihipStream_tbEUljE_EEESW_SX_SY_S15_S19_S1B_T6_T7_T9_mT8_S1D_bDpT10_ENKUlT_T0_E_clISt17integral_constantIbLb0EES1Q_EEDaS1L_S1M_EUlS1L_E_NS1_11comp_targetILNS1_3genE2ELNS1_11target_archE906ELNS1_3gpuE6ELNS1_3repE0EEENS1_30default_config_static_selectorELNS0_4arch9wavefront6targetE0EEEvSZ_,"axG",@progbits,_ZN7rocprim17ROCPRIM_400000_NS6detail17trampoline_kernelINS0_13select_configILj256ELj13ELNS0_17block_load_methodE3ELS4_3ELS4_3ELNS0_20block_scan_algorithmE0ELj4294967295EEENS1_25partition_config_selectorILNS1_17partition_subalgoE3EjNS0_10empty_typeEbEEZZNS1_14partition_implILS8_3ELb0ES6_jNS0_17counting_iteratorIjlEEPS9_SE_NS0_5tupleIJPjSE_EEENSF_IJSE_SE_EEES9_SG_JZNS1_25segmented_radix_sort_implINS0_14default_configELb0EPK6__halfPSL_PKlPlN2at6native12_GLOBAL__N_18offset_tEEE10hipError_tPvRmT1_PNSt15iterator_traitsISZ_E10value_typeET2_T3_PNS10_IS15_E10value_typeET4_jRbjT5_S1B_jjP12ihipStream_tbEUljE_EEESW_SX_SY_S15_S19_S1B_T6_T7_T9_mT8_S1D_bDpT10_ENKUlT_T0_E_clISt17integral_constantIbLb0EES1Q_EEDaS1L_S1M_EUlS1L_E_NS1_11comp_targetILNS1_3genE2ELNS1_11target_archE906ELNS1_3gpuE6ELNS1_3repE0EEENS1_30default_config_static_selectorELNS0_4arch9wavefront6targetE0EEEvSZ_,comdat
.Lfunc_end1804:
	.size	_ZN7rocprim17ROCPRIM_400000_NS6detail17trampoline_kernelINS0_13select_configILj256ELj13ELNS0_17block_load_methodE3ELS4_3ELS4_3ELNS0_20block_scan_algorithmE0ELj4294967295EEENS1_25partition_config_selectorILNS1_17partition_subalgoE3EjNS0_10empty_typeEbEEZZNS1_14partition_implILS8_3ELb0ES6_jNS0_17counting_iteratorIjlEEPS9_SE_NS0_5tupleIJPjSE_EEENSF_IJSE_SE_EEES9_SG_JZNS1_25segmented_radix_sort_implINS0_14default_configELb0EPK6__halfPSL_PKlPlN2at6native12_GLOBAL__N_18offset_tEEE10hipError_tPvRmT1_PNSt15iterator_traitsISZ_E10value_typeET2_T3_PNS10_IS15_E10value_typeET4_jRbjT5_S1B_jjP12ihipStream_tbEUljE_EEESW_SX_SY_S15_S19_S1B_T6_T7_T9_mT8_S1D_bDpT10_ENKUlT_T0_E_clISt17integral_constantIbLb0EES1Q_EEDaS1L_S1M_EUlS1L_E_NS1_11comp_targetILNS1_3genE2ELNS1_11target_archE906ELNS1_3gpuE6ELNS1_3repE0EEENS1_30default_config_static_selectorELNS0_4arch9wavefront6targetE0EEEvSZ_, .Lfunc_end1804-_ZN7rocprim17ROCPRIM_400000_NS6detail17trampoline_kernelINS0_13select_configILj256ELj13ELNS0_17block_load_methodE3ELS4_3ELS4_3ELNS0_20block_scan_algorithmE0ELj4294967295EEENS1_25partition_config_selectorILNS1_17partition_subalgoE3EjNS0_10empty_typeEbEEZZNS1_14partition_implILS8_3ELb0ES6_jNS0_17counting_iteratorIjlEEPS9_SE_NS0_5tupleIJPjSE_EEENSF_IJSE_SE_EEES9_SG_JZNS1_25segmented_radix_sort_implINS0_14default_configELb0EPK6__halfPSL_PKlPlN2at6native12_GLOBAL__N_18offset_tEEE10hipError_tPvRmT1_PNSt15iterator_traitsISZ_E10value_typeET2_T3_PNS10_IS15_E10value_typeET4_jRbjT5_S1B_jjP12ihipStream_tbEUljE_EEESW_SX_SY_S15_S19_S1B_T6_T7_T9_mT8_S1D_bDpT10_ENKUlT_T0_E_clISt17integral_constantIbLb0EES1Q_EEDaS1L_S1M_EUlS1L_E_NS1_11comp_targetILNS1_3genE2ELNS1_11target_archE906ELNS1_3gpuE6ELNS1_3repE0EEENS1_30default_config_static_selectorELNS0_4arch9wavefront6targetE0EEEvSZ_
                                        ; -- End function
	.set _ZN7rocprim17ROCPRIM_400000_NS6detail17trampoline_kernelINS0_13select_configILj256ELj13ELNS0_17block_load_methodE3ELS4_3ELS4_3ELNS0_20block_scan_algorithmE0ELj4294967295EEENS1_25partition_config_selectorILNS1_17partition_subalgoE3EjNS0_10empty_typeEbEEZZNS1_14partition_implILS8_3ELb0ES6_jNS0_17counting_iteratorIjlEEPS9_SE_NS0_5tupleIJPjSE_EEENSF_IJSE_SE_EEES9_SG_JZNS1_25segmented_radix_sort_implINS0_14default_configELb0EPK6__halfPSL_PKlPlN2at6native12_GLOBAL__N_18offset_tEEE10hipError_tPvRmT1_PNSt15iterator_traitsISZ_E10value_typeET2_T3_PNS10_IS15_E10value_typeET4_jRbjT5_S1B_jjP12ihipStream_tbEUljE_EEESW_SX_SY_S15_S19_S1B_T6_T7_T9_mT8_S1D_bDpT10_ENKUlT_T0_E_clISt17integral_constantIbLb0EES1Q_EEDaS1L_S1M_EUlS1L_E_NS1_11comp_targetILNS1_3genE2ELNS1_11target_archE906ELNS1_3gpuE6ELNS1_3repE0EEENS1_30default_config_static_selectorELNS0_4arch9wavefront6targetE0EEEvSZ_.num_vgpr, 0
	.set _ZN7rocprim17ROCPRIM_400000_NS6detail17trampoline_kernelINS0_13select_configILj256ELj13ELNS0_17block_load_methodE3ELS4_3ELS4_3ELNS0_20block_scan_algorithmE0ELj4294967295EEENS1_25partition_config_selectorILNS1_17partition_subalgoE3EjNS0_10empty_typeEbEEZZNS1_14partition_implILS8_3ELb0ES6_jNS0_17counting_iteratorIjlEEPS9_SE_NS0_5tupleIJPjSE_EEENSF_IJSE_SE_EEES9_SG_JZNS1_25segmented_radix_sort_implINS0_14default_configELb0EPK6__halfPSL_PKlPlN2at6native12_GLOBAL__N_18offset_tEEE10hipError_tPvRmT1_PNSt15iterator_traitsISZ_E10value_typeET2_T3_PNS10_IS15_E10value_typeET4_jRbjT5_S1B_jjP12ihipStream_tbEUljE_EEESW_SX_SY_S15_S19_S1B_T6_T7_T9_mT8_S1D_bDpT10_ENKUlT_T0_E_clISt17integral_constantIbLb0EES1Q_EEDaS1L_S1M_EUlS1L_E_NS1_11comp_targetILNS1_3genE2ELNS1_11target_archE906ELNS1_3gpuE6ELNS1_3repE0EEENS1_30default_config_static_selectorELNS0_4arch9wavefront6targetE0EEEvSZ_.num_agpr, 0
	.set _ZN7rocprim17ROCPRIM_400000_NS6detail17trampoline_kernelINS0_13select_configILj256ELj13ELNS0_17block_load_methodE3ELS4_3ELS4_3ELNS0_20block_scan_algorithmE0ELj4294967295EEENS1_25partition_config_selectorILNS1_17partition_subalgoE3EjNS0_10empty_typeEbEEZZNS1_14partition_implILS8_3ELb0ES6_jNS0_17counting_iteratorIjlEEPS9_SE_NS0_5tupleIJPjSE_EEENSF_IJSE_SE_EEES9_SG_JZNS1_25segmented_radix_sort_implINS0_14default_configELb0EPK6__halfPSL_PKlPlN2at6native12_GLOBAL__N_18offset_tEEE10hipError_tPvRmT1_PNSt15iterator_traitsISZ_E10value_typeET2_T3_PNS10_IS15_E10value_typeET4_jRbjT5_S1B_jjP12ihipStream_tbEUljE_EEESW_SX_SY_S15_S19_S1B_T6_T7_T9_mT8_S1D_bDpT10_ENKUlT_T0_E_clISt17integral_constantIbLb0EES1Q_EEDaS1L_S1M_EUlS1L_E_NS1_11comp_targetILNS1_3genE2ELNS1_11target_archE906ELNS1_3gpuE6ELNS1_3repE0EEENS1_30default_config_static_selectorELNS0_4arch9wavefront6targetE0EEEvSZ_.numbered_sgpr, 0
	.set _ZN7rocprim17ROCPRIM_400000_NS6detail17trampoline_kernelINS0_13select_configILj256ELj13ELNS0_17block_load_methodE3ELS4_3ELS4_3ELNS0_20block_scan_algorithmE0ELj4294967295EEENS1_25partition_config_selectorILNS1_17partition_subalgoE3EjNS0_10empty_typeEbEEZZNS1_14partition_implILS8_3ELb0ES6_jNS0_17counting_iteratorIjlEEPS9_SE_NS0_5tupleIJPjSE_EEENSF_IJSE_SE_EEES9_SG_JZNS1_25segmented_radix_sort_implINS0_14default_configELb0EPK6__halfPSL_PKlPlN2at6native12_GLOBAL__N_18offset_tEEE10hipError_tPvRmT1_PNSt15iterator_traitsISZ_E10value_typeET2_T3_PNS10_IS15_E10value_typeET4_jRbjT5_S1B_jjP12ihipStream_tbEUljE_EEESW_SX_SY_S15_S19_S1B_T6_T7_T9_mT8_S1D_bDpT10_ENKUlT_T0_E_clISt17integral_constantIbLb0EES1Q_EEDaS1L_S1M_EUlS1L_E_NS1_11comp_targetILNS1_3genE2ELNS1_11target_archE906ELNS1_3gpuE6ELNS1_3repE0EEENS1_30default_config_static_selectorELNS0_4arch9wavefront6targetE0EEEvSZ_.num_named_barrier, 0
	.set _ZN7rocprim17ROCPRIM_400000_NS6detail17trampoline_kernelINS0_13select_configILj256ELj13ELNS0_17block_load_methodE3ELS4_3ELS4_3ELNS0_20block_scan_algorithmE0ELj4294967295EEENS1_25partition_config_selectorILNS1_17partition_subalgoE3EjNS0_10empty_typeEbEEZZNS1_14partition_implILS8_3ELb0ES6_jNS0_17counting_iteratorIjlEEPS9_SE_NS0_5tupleIJPjSE_EEENSF_IJSE_SE_EEES9_SG_JZNS1_25segmented_radix_sort_implINS0_14default_configELb0EPK6__halfPSL_PKlPlN2at6native12_GLOBAL__N_18offset_tEEE10hipError_tPvRmT1_PNSt15iterator_traitsISZ_E10value_typeET2_T3_PNS10_IS15_E10value_typeET4_jRbjT5_S1B_jjP12ihipStream_tbEUljE_EEESW_SX_SY_S15_S19_S1B_T6_T7_T9_mT8_S1D_bDpT10_ENKUlT_T0_E_clISt17integral_constantIbLb0EES1Q_EEDaS1L_S1M_EUlS1L_E_NS1_11comp_targetILNS1_3genE2ELNS1_11target_archE906ELNS1_3gpuE6ELNS1_3repE0EEENS1_30default_config_static_selectorELNS0_4arch9wavefront6targetE0EEEvSZ_.private_seg_size, 0
	.set _ZN7rocprim17ROCPRIM_400000_NS6detail17trampoline_kernelINS0_13select_configILj256ELj13ELNS0_17block_load_methodE3ELS4_3ELS4_3ELNS0_20block_scan_algorithmE0ELj4294967295EEENS1_25partition_config_selectorILNS1_17partition_subalgoE3EjNS0_10empty_typeEbEEZZNS1_14partition_implILS8_3ELb0ES6_jNS0_17counting_iteratorIjlEEPS9_SE_NS0_5tupleIJPjSE_EEENSF_IJSE_SE_EEES9_SG_JZNS1_25segmented_radix_sort_implINS0_14default_configELb0EPK6__halfPSL_PKlPlN2at6native12_GLOBAL__N_18offset_tEEE10hipError_tPvRmT1_PNSt15iterator_traitsISZ_E10value_typeET2_T3_PNS10_IS15_E10value_typeET4_jRbjT5_S1B_jjP12ihipStream_tbEUljE_EEESW_SX_SY_S15_S19_S1B_T6_T7_T9_mT8_S1D_bDpT10_ENKUlT_T0_E_clISt17integral_constantIbLb0EES1Q_EEDaS1L_S1M_EUlS1L_E_NS1_11comp_targetILNS1_3genE2ELNS1_11target_archE906ELNS1_3gpuE6ELNS1_3repE0EEENS1_30default_config_static_selectorELNS0_4arch9wavefront6targetE0EEEvSZ_.uses_vcc, 0
	.set _ZN7rocprim17ROCPRIM_400000_NS6detail17trampoline_kernelINS0_13select_configILj256ELj13ELNS0_17block_load_methodE3ELS4_3ELS4_3ELNS0_20block_scan_algorithmE0ELj4294967295EEENS1_25partition_config_selectorILNS1_17partition_subalgoE3EjNS0_10empty_typeEbEEZZNS1_14partition_implILS8_3ELb0ES6_jNS0_17counting_iteratorIjlEEPS9_SE_NS0_5tupleIJPjSE_EEENSF_IJSE_SE_EEES9_SG_JZNS1_25segmented_radix_sort_implINS0_14default_configELb0EPK6__halfPSL_PKlPlN2at6native12_GLOBAL__N_18offset_tEEE10hipError_tPvRmT1_PNSt15iterator_traitsISZ_E10value_typeET2_T3_PNS10_IS15_E10value_typeET4_jRbjT5_S1B_jjP12ihipStream_tbEUljE_EEESW_SX_SY_S15_S19_S1B_T6_T7_T9_mT8_S1D_bDpT10_ENKUlT_T0_E_clISt17integral_constantIbLb0EES1Q_EEDaS1L_S1M_EUlS1L_E_NS1_11comp_targetILNS1_3genE2ELNS1_11target_archE906ELNS1_3gpuE6ELNS1_3repE0EEENS1_30default_config_static_selectorELNS0_4arch9wavefront6targetE0EEEvSZ_.uses_flat_scratch, 0
	.set _ZN7rocprim17ROCPRIM_400000_NS6detail17trampoline_kernelINS0_13select_configILj256ELj13ELNS0_17block_load_methodE3ELS4_3ELS4_3ELNS0_20block_scan_algorithmE0ELj4294967295EEENS1_25partition_config_selectorILNS1_17partition_subalgoE3EjNS0_10empty_typeEbEEZZNS1_14partition_implILS8_3ELb0ES6_jNS0_17counting_iteratorIjlEEPS9_SE_NS0_5tupleIJPjSE_EEENSF_IJSE_SE_EEES9_SG_JZNS1_25segmented_radix_sort_implINS0_14default_configELb0EPK6__halfPSL_PKlPlN2at6native12_GLOBAL__N_18offset_tEEE10hipError_tPvRmT1_PNSt15iterator_traitsISZ_E10value_typeET2_T3_PNS10_IS15_E10value_typeET4_jRbjT5_S1B_jjP12ihipStream_tbEUljE_EEESW_SX_SY_S15_S19_S1B_T6_T7_T9_mT8_S1D_bDpT10_ENKUlT_T0_E_clISt17integral_constantIbLb0EES1Q_EEDaS1L_S1M_EUlS1L_E_NS1_11comp_targetILNS1_3genE2ELNS1_11target_archE906ELNS1_3gpuE6ELNS1_3repE0EEENS1_30default_config_static_selectorELNS0_4arch9wavefront6targetE0EEEvSZ_.has_dyn_sized_stack, 0
	.set _ZN7rocprim17ROCPRIM_400000_NS6detail17trampoline_kernelINS0_13select_configILj256ELj13ELNS0_17block_load_methodE3ELS4_3ELS4_3ELNS0_20block_scan_algorithmE0ELj4294967295EEENS1_25partition_config_selectorILNS1_17partition_subalgoE3EjNS0_10empty_typeEbEEZZNS1_14partition_implILS8_3ELb0ES6_jNS0_17counting_iteratorIjlEEPS9_SE_NS0_5tupleIJPjSE_EEENSF_IJSE_SE_EEES9_SG_JZNS1_25segmented_radix_sort_implINS0_14default_configELb0EPK6__halfPSL_PKlPlN2at6native12_GLOBAL__N_18offset_tEEE10hipError_tPvRmT1_PNSt15iterator_traitsISZ_E10value_typeET2_T3_PNS10_IS15_E10value_typeET4_jRbjT5_S1B_jjP12ihipStream_tbEUljE_EEESW_SX_SY_S15_S19_S1B_T6_T7_T9_mT8_S1D_bDpT10_ENKUlT_T0_E_clISt17integral_constantIbLb0EES1Q_EEDaS1L_S1M_EUlS1L_E_NS1_11comp_targetILNS1_3genE2ELNS1_11target_archE906ELNS1_3gpuE6ELNS1_3repE0EEENS1_30default_config_static_selectorELNS0_4arch9wavefront6targetE0EEEvSZ_.has_recursion, 0
	.set _ZN7rocprim17ROCPRIM_400000_NS6detail17trampoline_kernelINS0_13select_configILj256ELj13ELNS0_17block_load_methodE3ELS4_3ELS4_3ELNS0_20block_scan_algorithmE0ELj4294967295EEENS1_25partition_config_selectorILNS1_17partition_subalgoE3EjNS0_10empty_typeEbEEZZNS1_14partition_implILS8_3ELb0ES6_jNS0_17counting_iteratorIjlEEPS9_SE_NS0_5tupleIJPjSE_EEENSF_IJSE_SE_EEES9_SG_JZNS1_25segmented_radix_sort_implINS0_14default_configELb0EPK6__halfPSL_PKlPlN2at6native12_GLOBAL__N_18offset_tEEE10hipError_tPvRmT1_PNSt15iterator_traitsISZ_E10value_typeET2_T3_PNS10_IS15_E10value_typeET4_jRbjT5_S1B_jjP12ihipStream_tbEUljE_EEESW_SX_SY_S15_S19_S1B_T6_T7_T9_mT8_S1D_bDpT10_ENKUlT_T0_E_clISt17integral_constantIbLb0EES1Q_EEDaS1L_S1M_EUlS1L_E_NS1_11comp_targetILNS1_3genE2ELNS1_11target_archE906ELNS1_3gpuE6ELNS1_3repE0EEENS1_30default_config_static_selectorELNS0_4arch9wavefront6targetE0EEEvSZ_.has_indirect_call, 0
	.section	.AMDGPU.csdata,"",@progbits
; Kernel info:
; codeLenInByte = 0
; TotalNumSgprs: 0
; NumVgprs: 0
; ScratchSize: 0
; MemoryBound: 0
; FloatMode: 240
; IeeeMode: 1
; LDSByteSize: 0 bytes/workgroup (compile time only)
; SGPRBlocks: 0
; VGPRBlocks: 0
; NumSGPRsForWavesPerEU: 1
; NumVGPRsForWavesPerEU: 1
; NamedBarCnt: 0
; Occupancy: 16
; WaveLimiterHint : 0
; COMPUTE_PGM_RSRC2:SCRATCH_EN: 0
; COMPUTE_PGM_RSRC2:USER_SGPR: 2
; COMPUTE_PGM_RSRC2:TRAP_HANDLER: 0
; COMPUTE_PGM_RSRC2:TGID_X_EN: 1
; COMPUTE_PGM_RSRC2:TGID_Y_EN: 0
; COMPUTE_PGM_RSRC2:TGID_Z_EN: 0
; COMPUTE_PGM_RSRC2:TIDIG_COMP_CNT: 0
	.section	.text._ZN7rocprim17ROCPRIM_400000_NS6detail17trampoline_kernelINS0_13select_configILj256ELj13ELNS0_17block_load_methodE3ELS4_3ELS4_3ELNS0_20block_scan_algorithmE0ELj4294967295EEENS1_25partition_config_selectorILNS1_17partition_subalgoE3EjNS0_10empty_typeEbEEZZNS1_14partition_implILS8_3ELb0ES6_jNS0_17counting_iteratorIjlEEPS9_SE_NS0_5tupleIJPjSE_EEENSF_IJSE_SE_EEES9_SG_JZNS1_25segmented_radix_sort_implINS0_14default_configELb0EPK6__halfPSL_PKlPlN2at6native12_GLOBAL__N_18offset_tEEE10hipError_tPvRmT1_PNSt15iterator_traitsISZ_E10value_typeET2_T3_PNS10_IS15_E10value_typeET4_jRbjT5_S1B_jjP12ihipStream_tbEUljE_EEESW_SX_SY_S15_S19_S1B_T6_T7_T9_mT8_S1D_bDpT10_ENKUlT_T0_E_clISt17integral_constantIbLb0EES1Q_EEDaS1L_S1M_EUlS1L_E_NS1_11comp_targetILNS1_3genE10ELNS1_11target_archE1200ELNS1_3gpuE4ELNS1_3repE0EEENS1_30default_config_static_selectorELNS0_4arch9wavefront6targetE0EEEvSZ_,"axG",@progbits,_ZN7rocprim17ROCPRIM_400000_NS6detail17trampoline_kernelINS0_13select_configILj256ELj13ELNS0_17block_load_methodE3ELS4_3ELS4_3ELNS0_20block_scan_algorithmE0ELj4294967295EEENS1_25partition_config_selectorILNS1_17partition_subalgoE3EjNS0_10empty_typeEbEEZZNS1_14partition_implILS8_3ELb0ES6_jNS0_17counting_iteratorIjlEEPS9_SE_NS0_5tupleIJPjSE_EEENSF_IJSE_SE_EEES9_SG_JZNS1_25segmented_radix_sort_implINS0_14default_configELb0EPK6__halfPSL_PKlPlN2at6native12_GLOBAL__N_18offset_tEEE10hipError_tPvRmT1_PNSt15iterator_traitsISZ_E10value_typeET2_T3_PNS10_IS15_E10value_typeET4_jRbjT5_S1B_jjP12ihipStream_tbEUljE_EEESW_SX_SY_S15_S19_S1B_T6_T7_T9_mT8_S1D_bDpT10_ENKUlT_T0_E_clISt17integral_constantIbLb0EES1Q_EEDaS1L_S1M_EUlS1L_E_NS1_11comp_targetILNS1_3genE10ELNS1_11target_archE1200ELNS1_3gpuE4ELNS1_3repE0EEENS1_30default_config_static_selectorELNS0_4arch9wavefront6targetE0EEEvSZ_,comdat
	.globl	_ZN7rocprim17ROCPRIM_400000_NS6detail17trampoline_kernelINS0_13select_configILj256ELj13ELNS0_17block_load_methodE3ELS4_3ELS4_3ELNS0_20block_scan_algorithmE0ELj4294967295EEENS1_25partition_config_selectorILNS1_17partition_subalgoE3EjNS0_10empty_typeEbEEZZNS1_14partition_implILS8_3ELb0ES6_jNS0_17counting_iteratorIjlEEPS9_SE_NS0_5tupleIJPjSE_EEENSF_IJSE_SE_EEES9_SG_JZNS1_25segmented_radix_sort_implINS0_14default_configELb0EPK6__halfPSL_PKlPlN2at6native12_GLOBAL__N_18offset_tEEE10hipError_tPvRmT1_PNSt15iterator_traitsISZ_E10value_typeET2_T3_PNS10_IS15_E10value_typeET4_jRbjT5_S1B_jjP12ihipStream_tbEUljE_EEESW_SX_SY_S15_S19_S1B_T6_T7_T9_mT8_S1D_bDpT10_ENKUlT_T0_E_clISt17integral_constantIbLb0EES1Q_EEDaS1L_S1M_EUlS1L_E_NS1_11comp_targetILNS1_3genE10ELNS1_11target_archE1200ELNS1_3gpuE4ELNS1_3repE0EEENS1_30default_config_static_selectorELNS0_4arch9wavefront6targetE0EEEvSZ_ ; -- Begin function _ZN7rocprim17ROCPRIM_400000_NS6detail17trampoline_kernelINS0_13select_configILj256ELj13ELNS0_17block_load_methodE3ELS4_3ELS4_3ELNS0_20block_scan_algorithmE0ELj4294967295EEENS1_25partition_config_selectorILNS1_17partition_subalgoE3EjNS0_10empty_typeEbEEZZNS1_14partition_implILS8_3ELb0ES6_jNS0_17counting_iteratorIjlEEPS9_SE_NS0_5tupleIJPjSE_EEENSF_IJSE_SE_EEES9_SG_JZNS1_25segmented_radix_sort_implINS0_14default_configELb0EPK6__halfPSL_PKlPlN2at6native12_GLOBAL__N_18offset_tEEE10hipError_tPvRmT1_PNSt15iterator_traitsISZ_E10value_typeET2_T3_PNS10_IS15_E10value_typeET4_jRbjT5_S1B_jjP12ihipStream_tbEUljE_EEESW_SX_SY_S15_S19_S1B_T6_T7_T9_mT8_S1D_bDpT10_ENKUlT_T0_E_clISt17integral_constantIbLb0EES1Q_EEDaS1L_S1M_EUlS1L_E_NS1_11comp_targetILNS1_3genE10ELNS1_11target_archE1200ELNS1_3gpuE4ELNS1_3repE0EEENS1_30default_config_static_selectorELNS0_4arch9wavefront6targetE0EEEvSZ_
	.p2align	8
	.type	_ZN7rocprim17ROCPRIM_400000_NS6detail17trampoline_kernelINS0_13select_configILj256ELj13ELNS0_17block_load_methodE3ELS4_3ELS4_3ELNS0_20block_scan_algorithmE0ELj4294967295EEENS1_25partition_config_selectorILNS1_17partition_subalgoE3EjNS0_10empty_typeEbEEZZNS1_14partition_implILS8_3ELb0ES6_jNS0_17counting_iteratorIjlEEPS9_SE_NS0_5tupleIJPjSE_EEENSF_IJSE_SE_EEES9_SG_JZNS1_25segmented_radix_sort_implINS0_14default_configELb0EPK6__halfPSL_PKlPlN2at6native12_GLOBAL__N_18offset_tEEE10hipError_tPvRmT1_PNSt15iterator_traitsISZ_E10value_typeET2_T3_PNS10_IS15_E10value_typeET4_jRbjT5_S1B_jjP12ihipStream_tbEUljE_EEESW_SX_SY_S15_S19_S1B_T6_T7_T9_mT8_S1D_bDpT10_ENKUlT_T0_E_clISt17integral_constantIbLb0EES1Q_EEDaS1L_S1M_EUlS1L_E_NS1_11comp_targetILNS1_3genE10ELNS1_11target_archE1200ELNS1_3gpuE4ELNS1_3repE0EEENS1_30default_config_static_selectorELNS0_4arch9wavefront6targetE0EEEvSZ_,@function
_ZN7rocprim17ROCPRIM_400000_NS6detail17trampoline_kernelINS0_13select_configILj256ELj13ELNS0_17block_load_methodE3ELS4_3ELS4_3ELNS0_20block_scan_algorithmE0ELj4294967295EEENS1_25partition_config_selectorILNS1_17partition_subalgoE3EjNS0_10empty_typeEbEEZZNS1_14partition_implILS8_3ELb0ES6_jNS0_17counting_iteratorIjlEEPS9_SE_NS0_5tupleIJPjSE_EEENSF_IJSE_SE_EEES9_SG_JZNS1_25segmented_radix_sort_implINS0_14default_configELb0EPK6__halfPSL_PKlPlN2at6native12_GLOBAL__N_18offset_tEEE10hipError_tPvRmT1_PNSt15iterator_traitsISZ_E10value_typeET2_T3_PNS10_IS15_E10value_typeET4_jRbjT5_S1B_jjP12ihipStream_tbEUljE_EEESW_SX_SY_S15_S19_S1B_T6_T7_T9_mT8_S1D_bDpT10_ENKUlT_T0_E_clISt17integral_constantIbLb0EES1Q_EEDaS1L_S1M_EUlS1L_E_NS1_11comp_targetILNS1_3genE10ELNS1_11target_archE1200ELNS1_3gpuE4ELNS1_3repE0EEENS1_30default_config_static_selectorELNS0_4arch9wavefront6targetE0EEEvSZ_: ; @_ZN7rocprim17ROCPRIM_400000_NS6detail17trampoline_kernelINS0_13select_configILj256ELj13ELNS0_17block_load_methodE3ELS4_3ELS4_3ELNS0_20block_scan_algorithmE0ELj4294967295EEENS1_25partition_config_selectorILNS1_17partition_subalgoE3EjNS0_10empty_typeEbEEZZNS1_14partition_implILS8_3ELb0ES6_jNS0_17counting_iteratorIjlEEPS9_SE_NS0_5tupleIJPjSE_EEENSF_IJSE_SE_EEES9_SG_JZNS1_25segmented_radix_sort_implINS0_14default_configELb0EPK6__halfPSL_PKlPlN2at6native12_GLOBAL__N_18offset_tEEE10hipError_tPvRmT1_PNSt15iterator_traitsISZ_E10value_typeET2_T3_PNS10_IS15_E10value_typeET4_jRbjT5_S1B_jjP12ihipStream_tbEUljE_EEESW_SX_SY_S15_S19_S1B_T6_T7_T9_mT8_S1D_bDpT10_ENKUlT_T0_E_clISt17integral_constantIbLb0EES1Q_EEDaS1L_S1M_EUlS1L_E_NS1_11comp_targetILNS1_3genE10ELNS1_11target_archE1200ELNS1_3gpuE4ELNS1_3repE0EEENS1_30default_config_static_selectorELNS0_4arch9wavefront6targetE0EEEvSZ_
; %bb.0:
	.section	.rodata,"a",@progbits
	.p2align	6, 0x0
	.amdhsa_kernel _ZN7rocprim17ROCPRIM_400000_NS6detail17trampoline_kernelINS0_13select_configILj256ELj13ELNS0_17block_load_methodE3ELS4_3ELS4_3ELNS0_20block_scan_algorithmE0ELj4294967295EEENS1_25partition_config_selectorILNS1_17partition_subalgoE3EjNS0_10empty_typeEbEEZZNS1_14partition_implILS8_3ELb0ES6_jNS0_17counting_iteratorIjlEEPS9_SE_NS0_5tupleIJPjSE_EEENSF_IJSE_SE_EEES9_SG_JZNS1_25segmented_radix_sort_implINS0_14default_configELb0EPK6__halfPSL_PKlPlN2at6native12_GLOBAL__N_18offset_tEEE10hipError_tPvRmT1_PNSt15iterator_traitsISZ_E10value_typeET2_T3_PNS10_IS15_E10value_typeET4_jRbjT5_S1B_jjP12ihipStream_tbEUljE_EEESW_SX_SY_S15_S19_S1B_T6_T7_T9_mT8_S1D_bDpT10_ENKUlT_T0_E_clISt17integral_constantIbLb0EES1Q_EEDaS1L_S1M_EUlS1L_E_NS1_11comp_targetILNS1_3genE10ELNS1_11target_archE1200ELNS1_3gpuE4ELNS1_3repE0EEENS1_30default_config_static_selectorELNS0_4arch9wavefront6targetE0EEEvSZ_
		.amdhsa_group_segment_fixed_size 0
		.amdhsa_private_segment_fixed_size 0
		.amdhsa_kernarg_size 144
		.amdhsa_user_sgpr_count 2
		.amdhsa_user_sgpr_dispatch_ptr 0
		.amdhsa_user_sgpr_queue_ptr 0
		.amdhsa_user_sgpr_kernarg_segment_ptr 1
		.amdhsa_user_sgpr_dispatch_id 0
		.amdhsa_user_sgpr_kernarg_preload_length 0
		.amdhsa_user_sgpr_kernarg_preload_offset 0
		.amdhsa_user_sgpr_private_segment_size 0
		.amdhsa_wavefront_size32 1
		.amdhsa_uses_dynamic_stack 0
		.amdhsa_enable_private_segment 0
		.amdhsa_system_sgpr_workgroup_id_x 1
		.amdhsa_system_sgpr_workgroup_id_y 0
		.amdhsa_system_sgpr_workgroup_id_z 0
		.amdhsa_system_sgpr_workgroup_info 0
		.amdhsa_system_vgpr_workitem_id 0
		.amdhsa_next_free_vgpr 1
		.amdhsa_next_free_sgpr 1
		.amdhsa_named_barrier_count 0
		.amdhsa_reserve_vcc 0
		.amdhsa_float_round_mode_32 0
		.amdhsa_float_round_mode_16_64 0
		.amdhsa_float_denorm_mode_32 3
		.amdhsa_float_denorm_mode_16_64 3
		.amdhsa_fp16_overflow 0
		.amdhsa_memory_ordered 1
		.amdhsa_forward_progress 1
		.amdhsa_inst_pref_size 0
		.amdhsa_round_robin_scheduling 0
		.amdhsa_exception_fp_ieee_invalid_op 0
		.amdhsa_exception_fp_denorm_src 0
		.amdhsa_exception_fp_ieee_div_zero 0
		.amdhsa_exception_fp_ieee_overflow 0
		.amdhsa_exception_fp_ieee_underflow 0
		.amdhsa_exception_fp_ieee_inexact 0
		.amdhsa_exception_int_div_zero 0
	.end_amdhsa_kernel
	.section	.text._ZN7rocprim17ROCPRIM_400000_NS6detail17trampoline_kernelINS0_13select_configILj256ELj13ELNS0_17block_load_methodE3ELS4_3ELS4_3ELNS0_20block_scan_algorithmE0ELj4294967295EEENS1_25partition_config_selectorILNS1_17partition_subalgoE3EjNS0_10empty_typeEbEEZZNS1_14partition_implILS8_3ELb0ES6_jNS0_17counting_iteratorIjlEEPS9_SE_NS0_5tupleIJPjSE_EEENSF_IJSE_SE_EEES9_SG_JZNS1_25segmented_radix_sort_implINS0_14default_configELb0EPK6__halfPSL_PKlPlN2at6native12_GLOBAL__N_18offset_tEEE10hipError_tPvRmT1_PNSt15iterator_traitsISZ_E10value_typeET2_T3_PNS10_IS15_E10value_typeET4_jRbjT5_S1B_jjP12ihipStream_tbEUljE_EEESW_SX_SY_S15_S19_S1B_T6_T7_T9_mT8_S1D_bDpT10_ENKUlT_T0_E_clISt17integral_constantIbLb0EES1Q_EEDaS1L_S1M_EUlS1L_E_NS1_11comp_targetILNS1_3genE10ELNS1_11target_archE1200ELNS1_3gpuE4ELNS1_3repE0EEENS1_30default_config_static_selectorELNS0_4arch9wavefront6targetE0EEEvSZ_,"axG",@progbits,_ZN7rocprim17ROCPRIM_400000_NS6detail17trampoline_kernelINS0_13select_configILj256ELj13ELNS0_17block_load_methodE3ELS4_3ELS4_3ELNS0_20block_scan_algorithmE0ELj4294967295EEENS1_25partition_config_selectorILNS1_17partition_subalgoE3EjNS0_10empty_typeEbEEZZNS1_14partition_implILS8_3ELb0ES6_jNS0_17counting_iteratorIjlEEPS9_SE_NS0_5tupleIJPjSE_EEENSF_IJSE_SE_EEES9_SG_JZNS1_25segmented_radix_sort_implINS0_14default_configELb0EPK6__halfPSL_PKlPlN2at6native12_GLOBAL__N_18offset_tEEE10hipError_tPvRmT1_PNSt15iterator_traitsISZ_E10value_typeET2_T3_PNS10_IS15_E10value_typeET4_jRbjT5_S1B_jjP12ihipStream_tbEUljE_EEESW_SX_SY_S15_S19_S1B_T6_T7_T9_mT8_S1D_bDpT10_ENKUlT_T0_E_clISt17integral_constantIbLb0EES1Q_EEDaS1L_S1M_EUlS1L_E_NS1_11comp_targetILNS1_3genE10ELNS1_11target_archE1200ELNS1_3gpuE4ELNS1_3repE0EEENS1_30default_config_static_selectorELNS0_4arch9wavefront6targetE0EEEvSZ_,comdat
.Lfunc_end1805:
	.size	_ZN7rocprim17ROCPRIM_400000_NS6detail17trampoline_kernelINS0_13select_configILj256ELj13ELNS0_17block_load_methodE3ELS4_3ELS4_3ELNS0_20block_scan_algorithmE0ELj4294967295EEENS1_25partition_config_selectorILNS1_17partition_subalgoE3EjNS0_10empty_typeEbEEZZNS1_14partition_implILS8_3ELb0ES6_jNS0_17counting_iteratorIjlEEPS9_SE_NS0_5tupleIJPjSE_EEENSF_IJSE_SE_EEES9_SG_JZNS1_25segmented_radix_sort_implINS0_14default_configELb0EPK6__halfPSL_PKlPlN2at6native12_GLOBAL__N_18offset_tEEE10hipError_tPvRmT1_PNSt15iterator_traitsISZ_E10value_typeET2_T3_PNS10_IS15_E10value_typeET4_jRbjT5_S1B_jjP12ihipStream_tbEUljE_EEESW_SX_SY_S15_S19_S1B_T6_T7_T9_mT8_S1D_bDpT10_ENKUlT_T0_E_clISt17integral_constantIbLb0EES1Q_EEDaS1L_S1M_EUlS1L_E_NS1_11comp_targetILNS1_3genE10ELNS1_11target_archE1200ELNS1_3gpuE4ELNS1_3repE0EEENS1_30default_config_static_selectorELNS0_4arch9wavefront6targetE0EEEvSZ_, .Lfunc_end1805-_ZN7rocprim17ROCPRIM_400000_NS6detail17trampoline_kernelINS0_13select_configILj256ELj13ELNS0_17block_load_methodE3ELS4_3ELS4_3ELNS0_20block_scan_algorithmE0ELj4294967295EEENS1_25partition_config_selectorILNS1_17partition_subalgoE3EjNS0_10empty_typeEbEEZZNS1_14partition_implILS8_3ELb0ES6_jNS0_17counting_iteratorIjlEEPS9_SE_NS0_5tupleIJPjSE_EEENSF_IJSE_SE_EEES9_SG_JZNS1_25segmented_radix_sort_implINS0_14default_configELb0EPK6__halfPSL_PKlPlN2at6native12_GLOBAL__N_18offset_tEEE10hipError_tPvRmT1_PNSt15iterator_traitsISZ_E10value_typeET2_T3_PNS10_IS15_E10value_typeET4_jRbjT5_S1B_jjP12ihipStream_tbEUljE_EEESW_SX_SY_S15_S19_S1B_T6_T7_T9_mT8_S1D_bDpT10_ENKUlT_T0_E_clISt17integral_constantIbLb0EES1Q_EEDaS1L_S1M_EUlS1L_E_NS1_11comp_targetILNS1_3genE10ELNS1_11target_archE1200ELNS1_3gpuE4ELNS1_3repE0EEENS1_30default_config_static_selectorELNS0_4arch9wavefront6targetE0EEEvSZ_
                                        ; -- End function
	.set _ZN7rocprim17ROCPRIM_400000_NS6detail17trampoline_kernelINS0_13select_configILj256ELj13ELNS0_17block_load_methodE3ELS4_3ELS4_3ELNS0_20block_scan_algorithmE0ELj4294967295EEENS1_25partition_config_selectorILNS1_17partition_subalgoE3EjNS0_10empty_typeEbEEZZNS1_14partition_implILS8_3ELb0ES6_jNS0_17counting_iteratorIjlEEPS9_SE_NS0_5tupleIJPjSE_EEENSF_IJSE_SE_EEES9_SG_JZNS1_25segmented_radix_sort_implINS0_14default_configELb0EPK6__halfPSL_PKlPlN2at6native12_GLOBAL__N_18offset_tEEE10hipError_tPvRmT1_PNSt15iterator_traitsISZ_E10value_typeET2_T3_PNS10_IS15_E10value_typeET4_jRbjT5_S1B_jjP12ihipStream_tbEUljE_EEESW_SX_SY_S15_S19_S1B_T6_T7_T9_mT8_S1D_bDpT10_ENKUlT_T0_E_clISt17integral_constantIbLb0EES1Q_EEDaS1L_S1M_EUlS1L_E_NS1_11comp_targetILNS1_3genE10ELNS1_11target_archE1200ELNS1_3gpuE4ELNS1_3repE0EEENS1_30default_config_static_selectorELNS0_4arch9wavefront6targetE0EEEvSZ_.num_vgpr, 0
	.set _ZN7rocprim17ROCPRIM_400000_NS6detail17trampoline_kernelINS0_13select_configILj256ELj13ELNS0_17block_load_methodE3ELS4_3ELS4_3ELNS0_20block_scan_algorithmE0ELj4294967295EEENS1_25partition_config_selectorILNS1_17partition_subalgoE3EjNS0_10empty_typeEbEEZZNS1_14partition_implILS8_3ELb0ES6_jNS0_17counting_iteratorIjlEEPS9_SE_NS0_5tupleIJPjSE_EEENSF_IJSE_SE_EEES9_SG_JZNS1_25segmented_radix_sort_implINS0_14default_configELb0EPK6__halfPSL_PKlPlN2at6native12_GLOBAL__N_18offset_tEEE10hipError_tPvRmT1_PNSt15iterator_traitsISZ_E10value_typeET2_T3_PNS10_IS15_E10value_typeET4_jRbjT5_S1B_jjP12ihipStream_tbEUljE_EEESW_SX_SY_S15_S19_S1B_T6_T7_T9_mT8_S1D_bDpT10_ENKUlT_T0_E_clISt17integral_constantIbLb0EES1Q_EEDaS1L_S1M_EUlS1L_E_NS1_11comp_targetILNS1_3genE10ELNS1_11target_archE1200ELNS1_3gpuE4ELNS1_3repE0EEENS1_30default_config_static_selectorELNS0_4arch9wavefront6targetE0EEEvSZ_.num_agpr, 0
	.set _ZN7rocprim17ROCPRIM_400000_NS6detail17trampoline_kernelINS0_13select_configILj256ELj13ELNS0_17block_load_methodE3ELS4_3ELS4_3ELNS0_20block_scan_algorithmE0ELj4294967295EEENS1_25partition_config_selectorILNS1_17partition_subalgoE3EjNS0_10empty_typeEbEEZZNS1_14partition_implILS8_3ELb0ES6_jNS0_17counting_iteratorIjlEEPS9_SE_NS0_5tupleIJPjSE_EEENSF_IJSE_SE_EEES9_SG_JZNS1_25segmented_radix_sort_implINS0_14default_configELb0EPK6__halfPSL_PKlPlN2at6native12_GLOBAL__N_18offset_tEEE10hipError_tPvRmT1_PNSt15iterator_traitsISZ_E10value_typeET2_T3_PNS10_IS15_E10value_typeET4_jRbjT5_S1B_jjP12ihipStream_tbEUljE_EEESW_SX_SY_S15_S19_S1B_T6_T7_T9_mT8_S1D_bDpT10_ENKUlT_T0_E_clISt17integral_constantIbLb0EES1Q_EEDaS1L_S1M_EUlS1L_E_NS1_11comp_targetILNS1_3genE10ELNS1_11target_archE1200ELNS1_3gpuE4ELNS1_3repE0EEENS1_30default_config_static_selectorELNS0_4arch9wavefront6targetE0EEEvSZ_.numbered_sgpr, 0
	.set _ZN7rocprim17ROCPRIM_400000_NS6detail17trampoline_kernelINS0_13select_configILj256ELj13ELNS0_17block_load_methodE3ELS4_3ELS4_3ELNS0_20block_scan_algorithmE0ELj4294967295EEENS1_25partition_config_selectorILNS1_17partition_subalgoE3EjNS0_10empty_typeEbEEZZNS1_14partition_implILS8_3ELb0ES6_jNS0_17counting_iteratorIjlEEPS9_SE_NS0_5tupleIJPjSE_EEENSF_IJSE_SE_EEES9_SG_JZNS1_25segmented_radix_sort_implINS0_14default_configELb0EPK6__halfPSL_PKlPlN2at6native12_GLOBAL__N_18offset_tEEE10hipError_tPvRmT1_PNSt15iterator_traitsISZ_E10value_typeET2_T3_PNS10_IS15_E10value_typeET4_jRbjT5_S1B_jjP12ihipStream_tbEUljE_EEESW_SX_SY_S15_S19_S1B_T6_T7_T9_mT8_S1D_bDpT10_ENKUlT_T0_E_clISt17integral_constantIbLb0EES1Q_EEDaS1L_S1M_EUlS1L_E_NS1_11comp_targetILNS1_3genE10ELNS1_11target_archE1200ELNS1_3gpuE4ELNS1_3repE0EEENS1_30default_config_static_selectorELNS0_4arch9wavefront6targetE0EEEvSZ_.num_named_barrier, 0
	.set _ZN7rocprim17ROCPRIM_400000_NS6detail17trampoline_kernelINS0_13select_configILj256ELj13ELNS0_17block_load_methodE3ELS4_3ELS4_3ELNS0_20block_scan_algorithmE0ELj4294967295EEENS1_25partition_config_selectorILNS1_17partition_subalgoE3EjNS0_10empty_typeEbEEZZNS1_14partition_implILS8_3ELb0ES6_jNS0_17counting_iteratorIjlEEPS9_SE_NS0_5tupleIJPjSE_EEENSF_IJSE_SE_EEES9_SG_JZNS1_25segmented_radix_sort_implINS0_14default_configELb0EPK6__halfPSL_PKlPlN2at6native12_GLOBAL__N_18offset_tEEE10hipError_tPvRmT1_PNSt15iterator_traitsISZ_E10value_typeET2_T3_PNS10_IS15_E10value_typeET4_jRbjT5_S1B_jjP12ihipStream_tbEUljE_EEESW_SX_SY_S15_S19_S1B_T6_T7_T9_mT8_S1D_bDpT10_ENKUlT_T0_E_clISt17integral_constantIbLb0EES1Q_EEDaS1L_S1M_EUlS1L_E_NS1_11comp_targetILNS1_3genE10ELNS1_11target_archE1200ELNS1_3gpuE4ELNS1_3repE0EEENS1_30default_config_static_selectorELNS0_4arch9wavefront6targetE0EEEvSZ_.private_seg_size, 0
	.set _ZN7rocprim17ROCPRIM_400000_NS6detail17trampoline_kernelINS0_13select_configILj256ELj13ELNS0_17block_load_methodE3ELS4_3ELS4_3ELNS0_20block_scan_algorithmE0ELj4294967295EEENS1_25partition_config_selectorILNS1_17partition_subalgoE3EjNS0_10empty_typeEbEEZZNS1_14partition_implILS8_3ELb0ES6_jNS0_17counting_iteratorIjlEEPS9_SE_NS0_5tupleIJPjSE_EEENSF_IJSE_SE_EEES9_SG_JZNS1_25segmented_radix_sort_implINS0_14default_configELb0EPK6__halfPSL_PKlPlN2at6native12_GLOBAL__N_18offset_tEEE10hipError_tPvRmT1_PNSt15iterator_traitsISZ_E10value_typeET2_T3_PNS10_IS15_E10value_typeET4_jRbjT5_S1B_jjP12ihipStream_tbEUljE_EEESW_SX_SY_S15_S19_S1B_T6_T7_T9_mT8_S1D_bDpT10_ENKUlT_T0_E_clISt17integral_constantIbLb0EES1Q_EEDaS1L_S1M_EUlS1L_E_NS1_11comp_targetILNS1_3genE10ELNS1_11target_archE1200ELNS1_3gpuE4ELNS1_3repE0EEENS1_30default_config_static_selectorELNS0_4arch9wavefront6targetE0EEEvSZ_.uses_vcc, 0
	.set _ZN7rocprim17ROCPRIM_400000_NS6detail17trampoline_kernelINS0_13select_configILj256ELj13ELNS0_17block_load_methodE3ELS4_3ELS4_3ELNS0_20block_scan_algorithmE0ELj4294967295EEENS1_25partition_config_selectorILNS1_17partition_subalgoE3EjNS0_10empty_typeEbEEZZNS1_14partition_implILS8_3ELb0ES6_jNS0_17counting_iteratorIjlEEPS9_SE_NS0_5tupleIJPjSE_EEENSF_IJSE_SE_EEES9_SG_JZNS1_25segmented_radix_sort_implINS0_14default_configELb0EPK6__halfPSL_PKlPlN2at6native12_GLOBAL__N_18offset_tEEE10hipError_tPvRmT1_PNSt15iterator_traitsISZ_E10value_typeET2_T3_PNS10_IS15_E10value_typeET4_jRbjT5_S1B_jjP12ihipStream_tbEUljE_EEESW_SX_SY_S15_S19_S1B_T6_T7_T9_mT8_S1D_bDpT10_ENKUlT_T0_E_clISt17integral_constantIbLb0EES1Q_EEDaS1L_S1M_EUlS1L_E_NS1_11comp_targetILNS1_3genE10ELNS1_11target_archE1200ELNS1_3gpuE4ELNS1_3repE0EEENS1_30default_config_static_selectorELNS0_4arch9wavefront6targetE0EEEvSZ_.uses_flat_scratch, 0
	.set _ZN7rocprim17ROCPRIM_400000_NS6detail17trampoline_kernelINS0_13select_configILj256ELj13ELNS0_17block_load_methodE3ELS4_3ELS4_3ELNS0_20block_scan_algorithmE0ELj4294967295EEENS1_25partition_config_selectorILNS1_17partition_subalgoE3EjNS0_10empty_typeEbEEZZNS1_14partition_implILS8_3ELb0ES6_jNS0_17counting_iteratorIjlEEPS9_SE_NS0_5tupleIJPjSE_EEENSF_IJSE_SE_EEES9_SG_JZNS1_25segmented_radix_sort_implINS0_14default_configELb0EPK6__halfPSL_PKlPlN2at6native12_GLOBAL__N_18offset_tEEE10hipError_tPvRmT1_PNSt15iterator_traitsISZ_E10value_typeET2_T3_PNS10_IS15_E10value_typeET4_jRbjT5_S1B_jjP12ihipStream_tbEUljE_EEESW_SX_SY_S15_S19_S1B_T6_T7_T9_mT8_S1D_bDpT10_ENKUlT_T0_E_clISt17integral_constantIbLb0EES1Q_EEDaS1L_S1M_EUlS1L_E_NS1_11comp_targetILNS1_3genE10ELNS1_11target_archE1200ELNS1_3gpuE4ELNS1_3repE0EEENS1_30default_config_static_selectorELNS0_4arch9wavefront6targetE0EEEvSZ_.has_dyn_sized_stack, 0
	.set _ZN7rocprim17ROCPRIM_400000_NS6detail17trampoline_kernelINS0_13select_configILj256ELj13ELNS0_17block_load_methodE3ELS4_3ELS4_3ELNS0_20block_scan_algorithmE0ELj4294967295EEENS1_25partition_config_selectorILNS1_17partition_subalgoE3EjNS0_10empty_typeEbEEZZNS1_14partition_implILS8_3ELb0ES6_jNS0_17counting_iteratorIjlEEPS9_SE_NS0_5tupleIJPjSE_EEENSF_IJSE_SE_EEES9_SG_JZNS1_25segmented_radix_sort_implINS0_14default_configELb0EPK6__halfPSL_PKlPlN2at6native12_GLOBAL__N_18offset_tEEE10hipError_tPvRmT1_PNSt15iterator_traitsISZ_E10value_typeET2_T3_PNS10_IS15_E10value_typeET4_jRbjT5_S1B_jjP12ihipStream_tbEUljE_EEESW_SX_SY_S15_S19_S1B_T6_T7_T9_mT8_S1D_bDpT10_ENKUlT_T0_E_clISt17integral_constantIbLb0EES1Q_EEDaS1L_S1M_EUlS1L_E_NS1_11comp_targetILNS1_3genE10ELNS1_11target_archE1200ELNS1_3gpuE4ELNS1_3repE0EEENS1_30default_config_static_selectorELNS0_4arch9wavefront6targetE0EEEvSZ_.has_recursion, 0
	.set _ZN7rocprim17ROCPRIM_400000_NS6detail17trampoline_kernelINS0_13select_configILj256ELj13ELNS0_17block_load_methodE3ELS4_3ELS4_3ELNS0_20block_scan_algorithmE0ELj4294967295EEENS1_25partition_config_selectorILNS1_17partition_subalgoE3EjNS0_10empty_typeEbEEZZNS1_14partition_implILS8_3ELb0ES6_jNS0_17counting_iteratorIjlEEPS9_SE_NS0_5tupleIJPjSE_EEENSF_IJSE_SE_EEES9_SG_JZNS1_25segmented_radix_sort_implINS0_14default_configELb0EPK6__halfPSL_PKlPlN2at6native12_GLOBAL__N_18offset_tEEE10hipError_tPvRmT1_PNSt15iterator_traitsISZ_E10value_typeET2_T3_PNS10_IS15_E10value_typeET4_jRbjT5_S1B_jjP12ihipStream_tbEUljE_EEESW_SX_SY_S15_S19_S1B_T6_T7_T9_mT8_S1D_bDpT10_ENKUlT_T0_E_clISt17integral_constantIbLb0EES1Q_EEDaS1L_S1M_EUlS1L_E_NS1_11comp_targetILNS1_3genE10ELNS1_11target_archE1200ELNS1_3gpuE4ELNS1_3repE0EEENS1_30default_config_static_selectorELNS0_4arch9wavefront6targetE0EEEvSZ_.has_indirect_call, 0
	.section	.AMDGPU.csdata,"",@progbits
; Kernel info:
; codeLenInByte = 0
; TotalNumSgprs: 0
; NumVgprs: 0
; ScratchSize: 0
; MemoryBound: 0
; FloatMode: 240
; IeeeMode: 1
; LDSByteSize: 0 bytes/workgroup (compile time only)
; SGPRBlocks: 0
; VGPRBlocks: 0
; NumSGPRsForWavesPerEU: 1
; NumVGPRsForWavesPerEU: 1
; NamedBarCnt: 0
; Occupancy: 16
; WaveLimiterHint : 0
; COMPUTE_PGM_RSRC2:SCRATCH_EN: 0
; COMPUTE_PGM_RSRC2:USER_SGPR: 2
; COMPUTE_PGM_RSRC2:TRAP_HANDLER: 0
; COMPUTE_PGM_RSRC2:TGID_X_EN: 1
; COMPUTE_PGM_RSRC2:TGID_Y_EN: 0
; COMPUTE_PGM_RSRC2:TGID_Z_EN: 0
; COMPUTE_PGM_RSRC2:TIDIG_COMP_CNT: 0
	.section	.text._ZN7rocprim17ROCPRIM_400000_NS6detail17trampoline_kernelINS0_13select_configILj256ELj13ELNS0_17block_load_methodE3ELS4_3ELS4_3ELNS0_20block_scan_algorithmE0ELj4294967295EEENS1_25partition_config_selectorILNS1_17partition_subalgoE3EjNS0_10empty_typeEbEEZZNS1_14partition_implILS8_3ELb0ES6_jNS0_17counting_iteratorIjlEEPS9_SE_NS0_5tupleIJPjSE_EEENSF_IJSE_SE_EEES9_SG_JZNS1_25segmented_radix_sort_implINS0_14default_configELb0EPK6__halfPSL_PKlPlN2at6native12_GLOBAL__N_18offset_tEEE10hipError_tPvRmT1_PNSt15iterator_traitsISZ_E10value_typeET2_T3_PNS10_IS15_E10value_typeET4_jRbjT5_S1B_jjP12ihipStream_tbEUljE_EEESW_SX_SY_S15_S19_S1B_T6_T7_T9_mT8_S1D_bDpT10_ENKUlT_T0_E_clISt17integral_constantIbLb0EES1Q_EEDaS1L_S1M_EUlS1L_E_NS1_11comp_targetILNS1_3genE9ELNS1_11target_archE1100ELNS1_3gpuE3ELNS1_3repE0EEENS1_30default_config_static_selectorELNS0_4arch9wavefront6targetE0EEEvSZ_,"axG",@progbits,_ZN7rocprim17ROCPRIM_400000_NS6detail17trampoline_kernelINS0_13select_configILj256ELj13ELNS0_17block_load_methodE3ELS4_3ELS4_3ELNS0_20block_scan_algorithmE0ELj4294967295EEENS1_25partition_config_selectorILNS1_17partition_subalgoE3EjNS0_10empty_typeEbEEZZNS1_14partition_implILS8_3ELb0ES6_jNS0_17counting_iteratorIjlEEPS9_SE_NS0_5tupleIJPjSE_EEENSF_IJSE_SE_EEES9_SG_JZNS1_25segmented_radix_sort_implINS0_14default_configELb0EPK6__halfPSL_PKlPlN2at6native12_GLOBAL__N_18offset_tEEE10hipError_tPvRmT1_PNSt15iterator_traitsISZ_E10value_typeET2_T3_PNS10_IS15_E10value_typeET4_jRbjT5_S1B_jjP12ihipStream_tbEUljE_EEESW_SX_SY_S15_S19_S1B_T6_T7_T9_mT8_S1D_bDpT10_ENKUlT_T0_E_clISt17integral_constantIbLb0EES1Q_EEDaS1L_S1M_EUlS1L_E_NS1_11comp_targetILNS1_3genE9ELNS1_11target_archE1100ELNS1_3gpuE3ELNS1_3repE0EEENS1_30default_config_static_selectorELNS0_4arch9wavefront6targetE0EEEvSZ_,comdat
	.globl	_ZN7rocprim17ROCPRIM_400000_NS6detail17trampoline_kernelINS0_13select_configILj256ELj13ELNS0_17block_load_methodE3ELS4_3ELS4_3ELNS0_20block_scan_algorithmE0ELj4294967295EEENS1_25partition_config_selectorILNS1_17partition_subalgoE3EjNS0_10empty_typeEbEEZZNS1_14partition_implILS8_3ELb0ES6_jNS0_17counting_iteratorIjlEEPS9_SE_NS0_5tupleIJPjSE_EEENSF_IJSE_SE_EEES9_SG_JZNS1_25segmented_radix_sort_implINS0_14default_configELb0EPK6__halfPSL_PKlPlN2at6native12_GLOBAL__N_18offset_tEEE10hipError_tPvRmT1_PNSt15iterator_traitsISZ_E10value_typeET2_T3_PNS10_IS15_E10value_typeET4_jRbjT5_S1B_jjP12ihipStream_tbEUljE_EEESW_SX_SY_S15_S19_S1B_T6_T7_T9_mT8_S1D_bDpT10_ENKUlT_T0_E_clISt17integral_constantIbLb0EES1Q_EEDaS1L_S1M_EUlS1L_E_NS1_11comp_targetILNS1_3genE9ELNS1_11target_archE1100ELNS1_3gpuE3ELNS1_3repE0EEENS1_30default_config_static_selectorELNS0_4arch9wavefront6targetE0EEEvSZ_ ; -- Begin function _ZN7rocprim17ROCPRIM_400000_NS6detail17trampoline_kernelINS0_13select_configILj256ELj13ELNS0_17block_load_methodE3ELS4_3ELS4_3ELNS0_20block_scan_algorithmE0ELj4294967295EEENS1_25partition_config_selectorILNS1_17partition_subalgoE3EjNS0_10empty_typeEbEEZZNS1_14partition_implILS8_3ELb0ES6_jNS0_17counting_iteratorIjlEEPS9_SE_NS0_5tupleIJPjSE_EEENSF_IJSE_SE_EEES9_SG_JZNS1_25segmented_radix_sort_implINS0_14default_configELb0EPK6__halfPSL_PKlPlN2at6native12_GLOBAL__N_18offset_tEEE10hipError_tPvRmT1_PNSt15iterator_traitsISZ_E10value_typeET2_T3_PNS10_IS15_E10value_typeET4_jRbjT5_S1B_jjP12ihipStream_tbEUljE_EEESW_SX_SY_S15_S19_S1B_T6_T7_T9_mT8_S1D_bDpT10_ENKUlT_T0_E_clISt17integral_constantIbLb0EES1Q_EEDaS1L_S1M_EUlS1L_E_NS1_11comp_targetILNS1_3genE9ELNS1_11target_archE1100ELNS1_3gpuE3ELNS1_3repE0EEENS1_30default_config_static_selectorELNS0_4arch9wavefront6targetE0EEEvSZ_
	.p2align	8
	.type	_ZN7rocprim17ROCPRIM_400000_NS6detail17trampoline_kernelINS0_13select_configILj256ELj13ELNS0_17block_load_methodE3ELS4_3ELS4_3ELNS0_20block_scan_algorithmE0ELj4294967295EEENS1_25partition_config_selectorILNS1_17partition_subalgoE3EjNS0_10empty_typeEbEEZZNS1_14partition_implILS8_3ELb0ES6_jNS0_17counting_iteratorIjlEEPS9_SE_NS0_5tupleIJPjSE_EEENSF_IJSE_SE_EEES9_SG_JZNS1_25segmented_radix_sort_implINS0_14default_configELb0EPK6__halfPSL_PKlPlN2at6native12_GLOBAL__N_18offset_tEEE10hipError_tPvRmT1_PNSt15iterator_traitsISZ_E10value_typeET2_T3_PNS10_IS15_E10value_typeET4_jRbjT5_S1B_jjP12ihipStream_tbEUljE_EEESW_SX_SY_S15_S19_S1B_T6_T7_T9_mT8_S1D_bDpT10_ENKUlT_T0_E_clISt17integral_constantIbLb0EES1Q_EEDaS1L_S1M_EUlS1L_E_NS1_11comp_targetILNS1_3genE9ELNS1_11target_archE1100ELNS1_3gpuE3ELNS1_3repE0EEENS1_30default_config_static_selectorELNS0_4arch9wavefront6targetE0EEEvSZ_,@function
_ZN7rocprim17ROCPRIM_400000_NS6detail17trampoline_kernelINS0_13select_configILj256ELj13ELNS0_17block_load_methodE3ELS4_3ELS4_3ELNS0_20block_scan_algorithmE0ELj4294967295EEENS1_25partition_config_selectorILNS1_17partition_subalgoE3EjNS0_10empty_typeEbEEZZNS1_14partition_implILS8_3ELb0ES6_jNS0_17counting_iteratorIjlEEPS9_SE_NS0_5tupleIJPjSE_EEENSF_IJSE_SE_EEES9_SG_JZNS1_25segmented_radix_sort_implINS0_14default_configELb0EPK6__halfPSL_PKlPlN2at6native12_GLOBAL__N_18offset_tEEE10hipError_tPvRmT1_PNSt15iterator_traitsISZ_E10value_typeET2_T3_PNS10_IS15_E10value_typeET4_jRbjT5_S1B_jjP12ihipStream_tbEUljE_EEESW_SX_SY_S15_S19_S1B_T6_T7_T9_mT8_S1D_bDpT10_ENKUlT_T0_E_clISt17integral_constantIbLb0EES1Q_EEDaS1L_S1M_EUlS1L_E_NS1_11comp_targetILNS1_3genE9ELNS1_11target_archE1100ELNS1_3gpuE3ELNS1_3repE0EEENS1_30default_config_static_selectorELNS0_4arch9wavefront6targetE0EEEvSZ_: ; @_ZN7rocprim17ROCPRIM_400000_NS6detail17trampoline_kernelINS0_13select_configILj256ELj13ELNS0_17block_load_methodE3ELS4_3ELS4_3ELNS0_20block_scan_algorithmE0ELj4294967295EEENS1_25partition_config_selectorILNS1_17partition_subalgoE3EjNS0_10empty_typeEbEEZZNS1_14partition_implILS8_3ELb0ES6_jNS0_17counting_iteratorIjlEEPS9_SE_NS0_5tupleIJPjSE_EEENSF_IJSE_SE_EEES9_SG_JZNS1_25segmented_radix_sort_implINS0_14default_configELb0EPK6__halfPSL_PKlPlN2at6native12_GLOBAL__N_18offset_tEEE10hipError_tPvRmT1_PNSt15iterator_traitsISZ_E10value_typeET2_T3_PNS10_IS15_E10value_typeET4_jRbjT5_S1B_jjP12ihipStream_tbEUljE_EEESW_SX_SY_S15_S19_S1B_T6_T7_T9_mT8_S1D_bDpT10_ENKUlT_T0_E_clISt17integral_constantIbLb0EES1Q_EEDaS1L_S1M_EUlS1L_E_NS1_11comp_targetILNS1_3genE9ELNS1_11target_archE1100ELNS1_3gpuE3ELNS1_3repE0EEENS1_30default_config_static_selectorELNS0_4arch9wavefront6targetE0EEEvSZ_
; %bb.0:
	.section	.rodata,"a",@progbits
	.p2align	6, 0x0
	.amdhsa_kernel _ZN7rocprim17ROCPRIM_400000_NS6detail17trampoline_kernelINS0_13select_configILj256ELj13ELNS0_17block_load_methodE3ELS4_3ELS4_3ELNS0_20block_scan_algorithmE0ELj4294967295EEENS1_25partition_config_selectorILNS1_17partition_subalgoE3EjNS0_10empty_typeEbEEZZNS1_14partition_implILS8_3ELb0ES6_jNS0_17counting_iteratorIjlEEPS9_SE_NS0_5tupleIJPjSE_EEENSF_IJSE_SE_EEES9_SG_JZNS1_25segmented_radix_sort_implINS0_14default_configELb0EPK6__halfPSL_PKlPlN2at6native12_GLOBAL__N_18offset_tEEE10hipError_tPvRmT1_PNSt15iterator_traitsISZ_E10value_typeET2_T3_PNS10_IS15_E10value_typeET4_jRbjT5_S1B_jjP12ihipStream_tbEUljE_EEESW_SX_SY_S15_S19_S1B_T6_T7_T9_mT8_S1D_bDpT10_ENKUlT_T0_E_clISt17integral_constantIbLb0EES1Q_EEDaS1L_S1M_EUlS1L_E_NS1_11comp_targetILNS1_3genE9ELNS1_11target_archE1100ELNS1_3gpuE3ELNS1_3repE0EEENS1_30default_config_static_selectorELNS0_4arch9wavefront6targetE0EEEvSZ_
		.amdhsa_group_segment_fixed_size 0
		.amdhsa_private_segment_fixed_size 0
		.amdhsa_kernarg_size 144
		.amdhsa_user_sgpr_count 2
		.amdhsa_user_sgpr_dispatch_ptr 0
		.amdhsa_user_sgpr_queue_ptr 0
		.amdhsa_user_sgpr_kernarg_segment_ptr 1
		.amdhsa_user_sgpr_dispatch_id 0
		.amdhsa_user_sgpr_kernarg_preload_length 0
		.amdhsa_user_sgpr_kernarg_preload_offset 0
		.amdhsa_user_sgpr_private_segment_size 0
		.amdhsa_wavefront_size32 1
		.amdhsa_uses_dynamic_stack 0
		.amdhsa_enable_private_segment 0
		.amdhsa_system_sgpr_workgroup_id_x 1
		.amdhsa_system_sgpr_workgroup_id_y 0
		.amdhsa_system_sgpr_workgroup_id_z 0
		.amdhsa_system_sgpr_workgroup_info 0
		.amdhsa_system_vgpr_workitem_id 0
		.amdhsa_next_free_vgpr 1
		.amdhsa_next_free_sgpr 1
		.amdhsa_named_barrier_count 0
		.amdhsa_reserve_vcc 0
		.amdhsa_float_round_mode_32 0
		.amdhsa_float_round_mode_16_64 0
		.amdhsa_float_denorm_mode_32 3
		.amdhsa_float_denorm_mode_16_64 3
		.amdhsa_fp16_overflow 0
		.amdhsa_memory_ordered 1
		.amdhsa_forward_progress 1
		.amdhsa_inst_pref_size 0
		.amdhsa_round_robin_scheduling 0
		.amdhsa_exception_fp_ieee_invalid_op 0
		.amdhsa_exception_fp_denorm_src 0
		.amdhsa_exception_fp_ieee_div_zero 0
		.amdhsa_exception_fp_ieee_overflow 0
		.amdhsa_exception_fp_ieee_underflow 0
		.amdhsa_exception_fp_ieee_inexact 0
		.amdhsa_exception_int_div_zero 0
	.end_amdhsa_kernel
	.section	.text._ZN7rocprim17ROCPRIM_400000_NS6detail17trampoline_kernelINS0_13select_configILj256ELj13ELNS0_17block_load_methodE3ELS4_3ELS4_3ELNS0_20block_scan_algorithmE0ELj4294967295EEENS1_25partition_config_selectorILNS1_17partition_subalgoE3EjNS0_10empty_typeEbEEZZNS1_14partition_implILS8_3ELb0ES6_jNS0_17counting_iteratorIjlEEPS9_SE_NS0_5tupleIJPjSE_EEENSF_IJSE_SE_EEES9_SG_JZNS1_25segmented_radix_sort_implINS0_14default_configELb0EPK6__halfPSL_PKlPlN2at6native12_GLOBAL__N_18offset_tEEE10hipError_tPvRmT1_PNSt15iterator_traitsISZ_E10value_typeET2_T3_PNS10_IS15_E10value_typeET4_jRbjT5_S1B_jjP12ihipStream_tbEUljE_EEESW_SX_SY_S15_S19_S1B_T6_T7_T9_mT8_S1D_bDpT10_ENKUlT_T0_E_clISt17integral_constantIbLb0EES1Q_EEDaS1L_S1M_EUlS1L_E_NS1_11comp_targetILNS1_3genE9ELNS1_11target_archE1100ELNS1_3gpuE3ELNS1_3repE0EEENS1_30default_config_static_selectorELNS0_4arch9wavefront6targetE0EEEvSZ_,"axG",@progbits,_ZN7rocprim17ROCPRIM_400000_NS6detail17trampoline_kernelINS0_13select_configILj256ELj13ELNS0_17block_load_methodE3ELS4_3ELS4_3ELNS0_20block_scan_algorithmE0ELj4294967295EEENS1_25partition_config_selectorILNS1_17partition_subalgoE3EjNS0_10empty_typeEbEEZZNS1_14partition_implILS8_3ELb0ES6_jNS0_17counting_iteratorIjlEEPS9_SE_NS0_5tupleIJPjSE_EEENSF_IJSE_SE_EEES9_SG_JZNS1_25segmented_radix_sort_implINS0_14default_configELb0EPK6__halfPSL_PKlPlN2at6native12_GLOBAL__N_18offset_tEEE10hipError_tPvRmT1_PNSt15iterator_traitsISZ_E10value_typeET2_T3_PNS10_IS15_E10value_typeET4_jRbjT5_S1B_jjP12ihipStream_tbEUljE_EEESW_SX_SY_S15_S19_S1B_T6_T7_T9_mT8_S1D_bDpT10_ENKUlT_T0_E_clISt17integral_constantIbLb0EES1Q_EEDaS1L_S1M_EUlS1L_E_NS1_11comp_targetILNS1_3genE9ELNS1_11target_archE1100ELNS1_3gpuE3ELNS1_3repE0EEENS1_30default_config_static_selectorELNS0_4arch9wavefront6targetE0EEEvSZ_,comdat
.Lfunc_end1806:
	.size	_ZN7rocprim17ROCPRIM_400000_NS6detail17trampoline_kernelINS0_13select_configILj256ELj13ELNS0_17block_load_methodE3ELS4_3ELS4_3ELNS0_20block_scan_algorithmE0ELj4294967295EEENS1_25partition_config_selectorILNS1_17partition_subalgoE3EjNS0_10empty_typeEbEEZZNS1_14partition_implILS8_3ELb0ES6_jNS0_17counting_iteratorIjlEEPS9_SE_NS0_5tupleIJPjSE_EEENSF_IJSE_SE_EEES9_SG_JZNS1_25segmented_radix_sort_implINS0_14default_configELb0EPK6__halfPSL_PKlPlN2at6native12_GLOBAL__N_18offset_tEEE10hipError_tPvRmT1_PNSt15iterator_traitsISZ_E10value_typeET2_T3_PNS10_IS15_E10value_typeET4_jRbjT5_S1B_jjP12ihipStream_tbEUljE_EEESW_SX_SY_S15_S19_S1B_T6_T7_T9_mT8_S1D_bDpT10_ENKUlT_T0_E_clISt17integral_constantIbLb0EES1Q_EEDaS1L_S1M_EUlS1L_E_NS1_11comp_targetILNS1_3genE9ELNS1_11target_archE1100ELNS1_3gpuE3ELNS1_3repE0EEENS1_30default_config_static_selectorELNS0_4arch9wavefront6targetE0EEEvSZ_, .Lfunc_end1806-_ZN7rocprim17ROCPRIM_400000_NS6detail17trampoline_kernelINS0_13select_configILj256ELj13ELNS0_17block_load_methodE3ELS4_3ELS4_3ELNS0_20block_scan_algorithmE0ELj4294967295EEENS1_25partition_config_selectorILNS1_17partition_subalgoE3EjNS0_10empty_typeEbEEZZNS1_14partition_implILS8_3ELb0ES6_jNS0_17counting_iteratorIjlEEPS9_SE_NS0_5tupleIJPjSE_EEENSF_IJSE_SE_EEES9_SG_JZNS1_25segmented_radix_sort_implINS0_14default_configELb0EPK6__halfPSL_PKlPlN2at6native12_GLOBAL__N_18offset_tEEE10hipError_tPvRmT1_PNSt15iterator_traitsISZ_E10value_typeET2_T3_PNS10_IS15_E10value_typeET4_jRbjT5_S1B_jjP12ihipStream_tbEUljE_EEESW_SX_SY_S15_S19_S1B_T6_T7_T9_mT8_S1D_bDpT10_ENKUlT_T0_E_clISt17integral_constantIbLb0EES1Q_EEDaS1L_S1M_EUlS1L_E_NS1_11comp_targetILNS1_3genE9ELNS1_11target_archE1100ELNS1_3gpuE3ELNS1_3repE0EEENS1_30default_config_static_selectorELNS0_4arch9wavefront6targetE0EEEvSZ_
                                        ; -- End function
	.set _ZN7rocprim17ROCPRIM_400000_NS6detail17trampoline_kernelINS0_13select_configILj256ELj13ELNS0_17block_load_methodE3ELS4_3ELS4_3ELNS0_20block_scan_algorithmE0ELj4294967295EEENS1_25partition_config_selectorILNS1_17partition_subalgoE3EjNS0_10empty_typeEbEEZZNS1_14partition_implILS8_3ELb0ES6_jNS0_17counting_iteratorIjlEEPS9_SE_NS0_5tupleIJPjSE_EEENSF_IJSE_SE_EEES9_SG_JZNS1_25segmented_radix_sort_implINS0_14default_configELb0EPK6__halfPSL_PKlPlN2at6native12_GLOBAL__N_18offset_tEEE10hipError_tPvRmT1_PNSt15iterator_traitsISZ_E10value_typeET2_T3_PNS10_IS15_E10value_typeET4_jRbjT5_S1B_jjP12ihipStream_tbEUljE_EEESW_SX_SY_S15_S19_S1B_T6_T7_T9_mT8_S1D_bDpT10_ENKUlT_T0_E_clISt17integral_constantIbLb0EES1Q_EEDaS1L_S1M_EUlS1L_E_NS1_11comp_targetILNS1_3genE9ELNS1_11target_archE1100ELNS1_3gpuE3ELNS1_3repE0EEENS1_30default_config_static_selectorELNS0_4arch9wavefront6targetE0EEEvSZ_.num_vgpr, 0
	.set _ZN7rocprim17ROCPRIM_400000_NS6detail17trampoline_kernelINS0_13select_configILj256ELj13ELNS0_17block_load_methodE3ELS4_3ELS4_3ELNS0_20block_scan_algorithmE0ELj4294967295EEENS1_25partition_config_selectorILNS1_17partition_subalgoE3EjNS0_10empty_typeEbEEZZNS1_14partition_implILS8_3ELb0ES6_jNS0_17counting_iteratorIjlEEPS9_SE_NS0_5tupleIJPjSE_EEENSF_IJSE_SE_EEES9_SG_JZNS1_25segmented_radix_sort_implINS0_14default_configELb0EPK6__halfPSL_PKlPlN2at6native12_GLOBAL__N_18offset_tEEE10hipError_tPvRmT1_PNSt15iterator_traitsISZ_E10value_typeET2_T3_PNS10_IS15_E10value_typeET4_jRbjT5_S1B_jjP12ihipStream_tbEUljE_EEESW_SX_SY_S15_S19_S1B_T6_T7_T9_mT8_S1D_bDpT10_ENKUlT_T0_E_clISt17integral_constantIbLb0EES1Q_EEDaS1L_S1M_EUlS1L_E_NS1_11comp_targetILNS1_3genE9ELNS1_11target_archE1100ELNS1_3gpuE3ELNS1_3repE0EEENS1_30default_config_static_selectorELNS0_4arch9wavefront6targetE0EEEvSZ_.num_agpr, 0
	.set _ZN7rocprim17ROCPRIM_400000_NS6detail17trampoline_kernelINS0_13select_configILj256ELj13ELNS0_17block_load_methodE3ELS4_3ELS4_3ELNS0_20block_scan_algorithmE0ELj4294967295EEENS1_25partition_config_selectorILNS1_17partition_subalgoE3EjNS0_10empty_typeEbEEZZNS1_14partition_implILS8_3ELb0ES6_jNS0_17counting_iteratorIjlEEPS9_SE_NS0_5tupleIJPjSE_EEENSF_IJSE_SE_EEES9_SG_JZNS1_25segmented_radix_sort_implINS0_14default_configELb0EPK6__halfPSL_PKlPlN2at6native12_GLOBAL__N_18offset_tEEE10hipError_tPvRmT1_PNSt15iterator_traitsISZ_E10value_typeET2_T3_PNS10_IS15_E10value_typeET4_jRbjT5_S1B_jjP12ihipStream_tbEUljE_EEESW_SX_SY_S15_S19_S1B_T6_T7_T9_mT8_S1D_bDpT10_ENKUlT_T0_E_clISt17integral_constantIbLb0EES1Q_EEDaS1L_S1M_EUlS1L_E_NS1_11comp_targetILNS1_3genE9ELNS1_11target_archE1100ELNS1_3gpuE3ELNS1_3repE0EEENS1_30default_config_static_selectorELNS0_4arch9wavefront6targetE0EEEvSZ_.numbered_sgpr, 0
	.set _ZN7rocprim17ROCPRIM_400000_NS6detail17trampoline_kernelINS0_13select_configILj256ELj13ELNS0_17block_load_methodE3ELS4_3ELS4_3ELNS0_20block_scan_algorithmE0ELj4294967295EEENS1_25partition_config_selectorILNS1_17partition_subalgoE3EjNS0_10empty_typeEbEEZZNS1_14partition_implILS8_3ELb0ES6_jNS0_17counting_iteratorIjlEEPS9_SE_NS0_5tupleIJPjSE_EEENSF_IJSE_SE_EEES9_SG_JZNS1_25segmented_radix_sort_implINS0_14default_configELb0EPK6__halfPSL_PKlPlN2at6native12_GLOBAL__N_18offset_tEEE10hipError_tPvRmT1_PNSt15iterator_traitsISZ_E10value_typeET2_T3_PNS10_IS15_E10value_typeET4_jRbjT5_S1B_jjP12ihipStream_tbEUljE_EEESW_SX_SY_S15_S19_S1B_T6_T7_T9_mT8_S1D_bDpT10_ENKUlT_T0_E_clISt17integral_constantIbLb0EES1Q_EEDaS1L_S1M_EUlS1L_E_NS1_11comp_targetILNS1_3genE9ELNS1_11target_archE1100ELNS1_3gpuE3ELNS1_3repE0EEENS1_30default_config_static_selectorELNS0_4arch9wavefront6targetE0EEEvSZ_.num_named_barrier, 0
	.set _ZN7rocprim17ROCPRIM_400000_NS6detail17trampoline_kernelINS0_13select_configILj256ELj13ELNS0_17block_load_methodE3ELS4_3ELS4_3ELNS0_20block_scan_algorithmE0ELj4294967295EEENS1_25partition_config_selectorILNS1_17partition_subalgoE3EjNS0_10empty_typeEbEEZZNS1_14partition_implILS8_3ELb0ES6_jNS0_17counting_iteratorIjlEEPS9_SE_NS0_5tupleIJPjSE_EEENSF_IJSE_SE_EEES9_SG_JZNS1_25segmented_radix_sort_implINS0_14default_configELb0EPK6__halfPSL_PKlPlN2at6native12_GLOBAL__N_18offset_tEEE10hipError_tPvRmT1_PNSt15iterator_traitsISZ_E10value_typeET2_T3_PNS10_IS15_E10value_typeET4_jRbjT5_S1B_jjP12ihipStream_tbEUljE_EEESW_SX_SY_S15_S19_S1B_T6_T7_T9_mT8_S1D_bDpT10_ENKUlT_T0_E_clISt17integral_constantIbLb0EES1Q_EEDaS1L_S1M_EUlS1L_E_NS1_11comp_targetILNS1_3genE9ELNS1_11target_archE1100ELNS1_3gpuE3ELNS1_3repE0EEENS1_30default_config_static_selectorELNS0_4arch9wavefront6targetE0EEEvSZ_.private_seg_size, 0
	.set _ZN7rocprim17ROCPRIM_400000_NS6detail17trampoline_kernelINS0_13select_configILj256ELj13ELNS0_17block_load_methodE3ELS4_3ELS4_3ELNS0_20block_scan_algorithmE0ELj4294967295EEENS1_25partition_config_selectorILNS1_17partition_subalgoE3EjNS0_10empty_typeEbEEZZNS1_14partition_implILS8_3ELb0ES6_jNS0_17counting_iteratorIjlEEPS9_SE_NS0_5tupleIJPjSE_EEENSF_IJSE_SE_EEES9_SG_JZNS1_25segmented_radix_sort_implINS0_14default_configELb0EPK6__halfPSL_PKlPlN2at6native12_GLOBAL__N_18offset_tEEE10hipError_tPvRmT1_PNSt15iterator_traitsISZ_E10value_typeET2_T3_PNS10_IS15_E10value_typeET4_jRbjT5_S1B_jjP12ihipStream_tbEUljE_EEESW_SX_SY_S15_S19_S1B_T6_T7_T9_mT8_S1D_bDpT10_ENKUlT_T0_E_clISt17integral_constantIbLb0EES1Q_EEDaS1L_S1M_EUlS1L_E_NS1_11comp_targetILNS1_3genE9ELNS1_11target_archE1100ELNS1_3gpuE3ELNS1_3repE0EEENS1_30default_config_static_selectorELNS0_4arch9wavefront6targetE0EEEvSZ_.uses_vcc, 0
	.set _ZN7rocprim17ROCPRIM_400000_NS6detail17trampoline_kernelINS0_13select_configILj256ELj13ELNS0_17block_load_methodE3ELS4_3ELS4_3ELNS0_20block_scan_algorithmE0ELj4294967295EEENS1_25partition_config_selectorILNS1_17partition_subalgoE3EjNS0_10empty_typeEbEEZZNS1_14partition_implILS8_3ELb0ES6_jNS0_17counting_iteratorIjlEEPS9_SE_NS0_5tupleIJPjSE_EEENSF_IJSE_SE_EEES9_SG_JZNS1_25segmented_radix_sort_implINS0_14default_configELb0EPK6__halfPSL_PKlPlN2at6native12_GLOBAL__N_18offset_tEEE10hipError_tPvRmT1_PNSt15iterator_traitsISZ_E10value_typeET2_T3_PNS10_IS15_E10value_typeET4_jRbjT5_S1B_jjP12ihipStream_tbEUljE_EEESW_SX_SY_S15_S19_S1B_T6_T7_T9_mT8_S1D_bDpT10_ENKUlT_T0_E_clISt17integral_constantIbLb0EES1Q_EEDaS1L_S1M_EUlS1L_E_NS1_11comp_targetILNS1_3genE9ELNS1_11target_archE1100ELNS1_3gpuE3ELNS1_3repE0EEENS1_30default_config_static_selectorELNS0_4arch9wavefront6targetE0EEEvSZ_.uses_flat_scratch, 0
	.set _ZN7rocprim17ROCPRIM_400000_NS6detail17trampoline_kernelINS0_13select_configILj256ELj13ELNS0_17block_load_methodE3ELS4_3ELS4_3ELNS0_20block_scan_algorithmE0ELj4294967295EEENS1_25partition_config_selectorILNS1_17partition_subalgoE3EjNS0_10empty_typeEbEEZZNS1_14partition_implILS8_3ELb0ES6_jNS0_17counting_iteratorIjlEEPS9_SE_NS0_5tupleIJPjSE_EEENSF_IJSE_SE_EEES9_SG_JZNS1_25segmented_radix_sort_implINS0_14default_configELb0EPK6__halfPSL_PKlPlN2at6native12_GLOBAL__N_18offset_tEEE10hipError_tPvRmT1_PNSt15iterator_traitsISZ_E10value_typeET2_T3_PNS10_IS15_E10value_typeET4_jRbjT5_S1B_jjP12ihipStream_tbEUljE_EEESW_SX_SY_S15_S19_S1B_T6_T7_T9_mT8_S1D_bDpT10_ENKUlT_T0_E_clISt17integral_constantIbLb0EES1Q_EEDaS1L_S1M_EUlS1L_E_NS1_11comp_targetILNS1_3genE9ELNS1_11target_archE1100ELNS1_3gpuE3ELNS1_3repE0EEENS1_30default_config_static_selectorELNS0_4arch9wavefront6targetE0EEEvSZ_.has_dyn_sized_stack, 0
	.set _ZN7rocprim17ROCPRIM_400000_NS6detail17trampoline_kernelINS0_13select_configILj256ELj13ELNS0_17block_load_methodE3ELS4_3ELS4_3ELNS0_20block_scan_algorithmE0ELj4294967295EEENS1_25partition_config_selectorILNS1_17partition_subalgoE3EjNS0_10empty_typeEbEEZZNS1_14partition_implILS8_3ELb0ES6_jNS0_17counting_iteratorIjlEEPS9_SE_NS0_5tupleIJPjSE_EEENSF_IJSE_SE_EEES9_SG_JZNS1_25segmented_radix_sort_implINS0_14default_configELb0EPK6__halfPSL_PKlPlN2at6native12_GLOBAL__N_18offset_tEEE10hipError_tPvRmT1_PNSt15iterator_traitsISZ_E10value_typeET2_T3_PNS10_IS15_E10value_typeET4_jRbjT5_S1B_jjP12ihipStream_tbEUljE_EEESW_SX_SY_S15_S19_S1B_T6_T7_T9_mT8_S1D_bDpT10_ENKUlT_T0_E_clISt17integral_constantIbLb0EES1Q_EEDaS1L_S1M_EUlS1L_E_NS1_11comp_targetILNS1_3genE9ELNS1_11target_archE1100ELNS1_3gpuE3ELNS1_3repE0EEENS1_30default_config_static_selectorELNS0_4arch9wavefront6targetE0EEEvSZ_.has_recursion, 0
	.set _ZN7rocprim17ROCPRIM_400000_NS6detail17trampoline_kernelINS0_13select_configILj256ELj13ELNS0_17block_load_methodE3ELS4_3ELS4_3ELNS0_20block_scan_algorithmE0ELj4294967295EEENS1_25partition_config_selectorILNS1_17partition_subalgoE3EjNS0_10empty_typeEbEEZZNS1_14partition_implILS8_3ELb0ES6_jNS0_17counting_iteratorIjlEEPS9_SE_NS0_5tupleIJPjSE_EEENSF_IJSE_SE_EEES9_SG_JZNS1_25segmented_radix_sort_implINS0_14default_configELb0EPK6__halfPSL_PKlPlN2at6native12_GLOBAL__N_18offset_tEEE10hipError_tPvRmT1_PNSt15iterator_traitsISZ_E10value_typeET2_T3_PNS10_IS15_E10value_typeET4_jRbjT5_S1B_jjP12ihipStream_tbEUljE_EEESW_SX_SY_S15_S19_S1B_T6_T7_T9_mT8_S1D_bDpT10_ENKUlT_T0_E_clISt17integral_constantIbLb0EES1Q_EEDaS1L_S1M_EUlS1L_E_NS1_11comp_targetILNS1_3genE9ELNS1_11target_archE1100ELNS1_3gpuE3ELNS1_3repE0EEENS1_30default_config_static_selectorELNS0_4arch9wavefront6targetE0EEEvSZ_.has_indirect_call, 0
	.section	.AMDGPU.csdata,"",@progbits
; Kernel info:
; codeLenInByte = 0
; TotalNumSgprs: 0
; NumVgprs: 0
; ScratchSize: 0
; MemoryBound: 0
; FloatMode: 240
; IeeeMode: 1
; LDSByteSize: 0 bytes/workgroup (compile time only)
; SGPRBlocks: 0
; VGPRBlocks: 0
; NumSGPRsForWavesPerEU: 1
; NumVGPRsForWavesPerEU: 1
; NamedBarCnt: 0
; Occupancy: 16
; WaveLimiterHint : 0
; COMPUTE_PGM_RSRC2:SCRATCH_EN: 0
; COMPUTE_PGM_RSRC2:USER_SGPR: 2
; COMPUTE_PGM_RSRC2:TRAP_HANDLER: 0
; COMPUTE_PGM_RSRC2:TGID_X_EN: 1
; COMPUTE_PGM_RSRC2:TGID_Y_EN: 0
; COMPUTE_PGM_RSRC2:TGID_Z_EN: 0
; COMPUTE_PGM_RSRC2:TIDIG_COMP_CNT: 0
	.section	.text._ZN7rocprim17ROCPRIM_400000_NS6detail17trampoline_kernelINS0_13select_configILj256ELj13ELNS0_17block_load_methodE3ELS4_3ELS4_3ELNS0_20block_scan_algorithmE0ELj4294967295EEENS1_25partition_config_selectorILNS1_17partition_subalgoE3EjNS0_10empty_typeEbEEZZNS1_14partition_implILS8_3ELb0ES6_jNS0_17counting_iteratorIjlEEPS9_SE_NS0_5tupleIJPjSE_EEENSF_IJSE_SE_EEES9_SG_JZNS1_25segmented_radix_sort_implINS0_14default_configELb0EPK6__halfPSL_PKlPlN2at6native12_GLOBAL__N_18offset_tEEE10hipError_tPvRmT1_PNSt15iterator_traitsISZ_E10value_typeET2_T3_PNS10_IS15_E10value_typeET4_jRbjT5_S1B_jjP12ihipStream_tbEUljE_EEESW_SX_SY_S15_S19_S1B_T6_T7_T9_mT8_S1D_bDpT10_ENKUlT_T0_E_clISt17integral_constantIbLb0EES1Q_EEDaS1L_S1M_EUlS1L_E_NS1_11comp_targetILNS1_3genE8ELNS1_11target_archE1030ELNS1_3gpuE2ELNS1_3repE0EEENS1_30default_config_static_selectorELNS0_4arch9wavefront6targetE0EEEvSZ_,"axG",@progbits,_ZN7rocprim17ROCPRIM_400000_NS6detail17trampoline_kernelINS0_13select_configILj256ELj13ELNS0_17block_load_methodE3ELS4_3ELS4_3ELNS0_20block_scan_algorithmE0ELj4294967295EEENS1_25partition_config_selectorILNS1_17partition_subalgoE3EjNS0_10empty_typeEbEEZZNS1_14partition_implILS8_3ELb0ES6_jNS0_17counting_iteratorIjlEEPS9_SE_NS0_5tupleIJPjSE_EEENSF_IJSE_SE_EEES9_SG_JZNS1_25segmented_radix_sort_implINS0_14default_configELb0EPK6__halfPSL_PKlPlN2at6native12_GLOBAL__N_18offset_tEEE10hipError_tPvRmT1_PNSt15iterator_traitsISZ_E10value_typeET2_T3_PNS10_IS15_E10value_typeET4_jRbjT5_S1B_jjP12ihipStream_tbEUljE_EEESW_SX_SY_S15_S19_S1B_T6_T7_T9_mT8_S1D_bDpT10_ENKUlT_T0_E_clISt17integral_constantIbLb0EES1Q_EEDaS1L_S1M_EUlS1L_E_NS1_11comp_targetILNS1_3genE8ELNS1_11target_archE1030ELNS1_3gpuE2ELNS1_3repE0EEENS1_30default_config_static_selectorELNS0_4arch9wavefront6targetE0EEEvSZ_,comdat
	.globl	_ZN7rocprim17ROCPRIM_400000_NS6detail17trampoline_kernelINS0_13select_configILj256ELj13ELNS0_17block_load_methodE3ELS4_3ELS4_3ELNS0_20block_scan_algorithmE0ELj4294967295EEENS1_25partition_config_selectorILNS1_17partition_subalgoE3EjNS0_10empty_typeEbEEZZNS1_14partition_implILS8_3ELb0ES6_jNS0_17counting_iteratorIjlEEPS9_SE_NS0_5tupleIJPjSE_EEENSF_IJSE_SE_EEES9_SG_JZNS1_25segmented_radix_sort_implINS0_14default_configELb0EPK6__halfPSL_PKlPlN2at6native12_GLOBAL__N_18offset_tEEE10hipError_tPvRmT1_PNSt15iterator_traitsISZ_E10value_typeET2_T3_PNS10_IS15_E10value_typeET4_jRbjT5_S1B_jjP12ihipStream_tbEUljE_EEESW_SX_SY_S15_S19_S1B_T6_T7_T9_mT8_S1D_bDpT10_ENKUlT_T0_E_clISt17integral_constantIbLb0EES1Q_EEDaS1L_S1M_EUlS1L_E_NS1_11comp_targetILNS1_3genE8ELNS1_11target_archE1030ELNS1_3gpuE2ELNS1_3repE0EEENS1_30default_config_static_selectorELNS0_4arch9wavefront6targetE0EEEvSZ_ ; -- Begin function _ZN7rocprim17ROCPRIM_400000_NS6detail17trampoline_kernelINS0_13select_configILj256ELj13ELNS0_17block_load_methodE3ELS4_3ELS4_3ELNS0_20block_scan_algorithmE0ELj4294967295EEENS1_25partition_config_selectorILNS1_17partition_subalgoE3EjNS0_10empty_typeEbEEZZNS1_14partition_implILS8_3ELb0ES6_jNS0_17counting_iteratorIjlEEPS9_SE_NS0_5tupleIJPjSE_EEENSF_IJSE_SE_EEES9_SG_JZNS1_25segmented_radix_sort_implINS0_14default_configELb0EPK6__halfPSL_PKlPlN2at6native12_GLOBAL__N_18offset_tEEE10hipError_tPvRmT1_PNSt15iterator_traitsISZ_E10value_typeET2_T3_PNS10_IS15_E10value_typeET4_jRbjT5_S1B_jjP12ihipStream_tbEUljE_EEESW_SX_SY_S15_S19_S1B_T6_T7_T9_mT8_S1D_bDpT10_ENKUlT_T0_E_clISt17integral_constantIbLb0EES1Q_EEDaS1L_S1M_EUlS1L_E_NS1_11comp_targetILNS1_3genE8ELNS1_11target_archE1030ELNS1_3gpuE2ELNS1_3repE0EEENS1_30default_config_static_selectorELNS0_4arch9wavefront6targetE0EEEvSZ_
	.p2align	8
	.type	_ZN7rocprim17ROCPRIM_400000_NS6detail17trampoline_kernelINS0_13select_configILj256ELj13ELNS0_17block_load_methodE3ELS4_3ELS4_3ELNS0_20block_scan_algorithmE0ELj4294967295EEENS1_25partition_config_selectorILNS1_17partition_subalgoE3EjNS0_10empty_typeEbEEZZNS1_14partition_implILS8_3ELb0ES6_jNS0_17counting_iteratorIjlEEPS9_SE_NS0_5tupleIJPjSE_EEENSF_IJSE_SE_EEES9_SG_JZNS1_25segmented_radix_sort_implINS0_14default_configELb0EPK6__halfPSL_PKlPlN2at6native12_GLOBAL__N_18offset_tEEE10hipError_tPvRmT1_PNSt15iterator_traitsISZ_E10value_typeET2_T3_PNS10_IS15_E10value_typeET4_jRbjT5_S1B_jjP12ihipStream_tbEUljE_EEESW_SX_SY_S15_S19_S1B_T6_T7_T9_mT8_S1D_bDpT10_ENKUlT_T0_E_clISt17integral_constantIbLb0EES1Q_EEDaS1L_S1M_EUlS1L_E_NS1_11comp_targetILNS1_3genE8ELNS1_11target_archE1030ELNS1_3gpuE2ELNS1_3repE0EEENS1_30default_config_static_selectorELNS0_4arch9wavefront6targetE0EEEvSZ_,@function
_ZN7rocprim17ROCPRIM_400000_NS6detail17trampoline_kernelINS0_13select_configILj256ELj13ELNS0_17block_load_methodE3ELS4_3ELS4_3ELNS0_20block_scan_algorithmE0ELj4294967295EEENS1_25partition_config_selectorILNS1_17partition_subalgoE3EjNS0_10empty_typeEbEEZZNS1_14partition_implILS8_3ELb0ES6_jNS0_17counting_iteratorIjlEEPS9_SE_NS0_5tupleIJPjSE_EEENSF_IJSE_SE_EEES9_SG_JZNS1_25segmented_radix_sort_implINS0_14default_configELb0EPK6__halfPSL_PKlPlN2at6native12_GLOBAL__N_18offset_tEEE10hipError_tPvRmT1_PNSt15iterator_traitsISZ_E10value_typeET2_T3_PNS10_IS15_E10value_typeET4_jRbjT5_S1B_jjP12ihipStream_tbEUljE_EEESW_SX_SY_S15_S19_S1B_T6_T7_T9_mT8_S1D_bDpT10_ENKUlT_T0_E_clISt17integral_constantIbLb0EES1Q_EEDaS1L_S1M_EUlS1L_E_NS1_11comp_targetILNS1_3genE8ELNS1_11target_archE1030ELNS1_3gpuE2ELNS1_3repE0EEENS1_30default_config_static_selectorELNS0_4arch9wavefront6targetE0EEEvSZ_: ; @_ZN7rocprim17ROCPRIM_400000_NS6detail17trampoline_kernelINS0_13select_configILj256ELj13ELNS0_17block_load_methodE3ELS4_3ELS4_3ELNS0_20block_scan_algorithmE0ELj4294967295EEENS1_25partition_config_selectorILNS1_17partition_subalgoE3EjNS0_10empty_typeEbEEZZNS1_14partition_implILS8_3ELb0ES6_jNS0_17counting_iteratorIjlEEPS9_SE_NS0_5tupleIJPjSE_EEENSF_IJSE_SE_EEES9_SG_JZNS1_25segmented_radix_sort_implINS0_14default_configELb0EPK6__halfPSL_PKlPlN2at6native12_GLOBAL__N_18offset_tEEE10hipError_tPvRmT1_PNSt15iterator_traitsISZ_E10value_typeET2_T3_PNS10_IS15_E10value_typeET4_jRbjT5_S1B_jjP12ihipStream_tbEUljE_EEESW_SX_SY_S15_S19_S1B_T6_T7_T9_mT8_S1D_bDpT10_ENKUlT_T0_E_clISt17integral_constantIbLb0EES1Q_EEDaS1L_S1M_EUlS1L_E_NS1_11comp_targetILNS1_3genE8ELNS1_11target_archE1030ELNS1_3gpuE2ELNS1_3repE0EEENS1_30default_config_static_selectorELNS0_4arch9wavefront6targetE0EEEvSZ_
; %bb.0:
	.section	.rodata,"a",@progbits
	.p2align	6, 0x0
	.amdhsa_kernel _ZN7rocprim17ROCPRIM_400000_NS6detail17trampoline_kernelINS0_13select_configILj256ELj13ELNS0_17block_load_methodE3ELS4_3ELS4_3ELNS0_20block_scan_algorithmE0ELj4294967295EEENS1_25partition_config_selectorILNS1_17partition_subalgoE3EjNS0_10empty_typeEbEEZZNS1_14partition_implILS8_3ELb0ES6_jNS0_17counting_iteratorIjlEEPS9_SE_NS0_5tupleIJPjSE_EEENSF_IJSE_SE_EEES9_SG_JZNS1_25segmented_radix_sort_implINS0_14default_configELb0EPK6__halfPSL_PKlPlN2at6native12_GLOBAL__N_18offset_tEEE10hipError_tPvRmT1_PNSt15iterator_traitsISZ_E10value_typeET2_T3_PNS10_IS15_E10value_typeET4_jRbjT5_S1B_jjP12ihipStream_tbEUljE_EEESW_SX_SY_S15_S19_S1B_T6_T7_T9_mT8_S1D_bDpT10_ENKUlT_T0_E_clISt17integral_constantIbLb0EES1Q_EEDaS1L_S1M_EUlS1L_E_NS1_11comp_targetILNS1_3genE8ELNS1_11target_archE1030ELNS1_3gpuE2ELNS1_3repE0EEENS1_30default_config_static_selectorELNS0_4arch9wavefront6targetE0EEEvSZ_
		.amdhsa_group_segment_fixed_size 0
		.amdhsa_private_segment_fixed_size 0
		.amdhsa_kernarg_size 144
		.amdhsa_user_sgpr_count 2
		.amdhsa_user_sgpr_dispatch_ptr 0
		.amdhsa_user_sgpr_queue_ptr 0
		.amdhsa_user_sgpr_kernarg_segment_ptr 1
		.amdhsa_user_sgpr_dispatch_id 0
		.amdhsa_user_sgpr_kernarg_preload_length 0
		.amdhsa_user_sgpr_kernarg_preload_offset 0
		.amdhsa_user_sgpr_private_segment_size 0
		.amdhsa_wavefront_size32 1
		.amdhsa_uses_dynamic_stack 0
		.amdhsa_enable_private_segment 0
		.amdhsa_system_sgpr_workgroup_id_x 1
		.amdhsa_system_sgpr_workgroup_id_y 0
		.amdhsa_system_sgpr_workgroup_id_z 0
		.amdhsa_system_sgpr_workgroup_info 0
		.amdhsa_system_vgpr_workitem_id 0
		.amdhsa_next_free_vgpr 1
		.amdhsa_next_free_sgpr 1
		.amdhsa_named_barrier_count 0
		.amdhsa_reserve_vcc 0
		.amdhsa_float_round_mode_32 0
		.amdhsa_float_round_mode_16_64 0
		.amdhsa_float_denorm_mode_32 3
		.amdhsa_float_denorm_mode_16_64 3
		.amdhsa_fp16_overflow 0
		.amdhsa_memory_ordered 1
		.amdhsa_forward_progress 1
		.amdhsa_inst_pref_size 0
		.amdhsa_round_robin_scheduling 0
		.amdhsa_exception_fp_ieee_invalid_op 0
		.amdhsa_exception_fp_denorm_src 0
		.amdhsa_exception_fp_ieee_div_zero 0
		.amdhsa_exception_fp_ieee_overflow 0
		.amdhsa_exception_fp_ieee_underflow 0
		.amdhsa_exception_fp_ieee_inexact 0
		.amdhsa_exception_int_div_zero 0
	.end_amdhsa_kernel
	.section	.text._ZN7rocprim17ROCPRIM_400000_NS6detail17trampoline_kernelINS0_13select_configILj256ELj13ELNS0_17block_load_methodE3ELS4_3ELS4_3ELNS0_20block_scan_algorithmE0ELj4294967295EEENS1_25partition_config_selectorILNS1_17partition_subalgoE3EjNS0_10empty_typeEbEEZZNS1_14partition_implILS8_3ELb0ES6_jNS0_17counting_iteratorIjlEEPS9_SE_NS0_5tupleIJPjSE_EEENSF_IJSE_SE_EEES9_SG_JZNS1_25segmented_radix_sort_implINS0_14default_configELb0EPK6__halfPSL_PKlPlN2at6native12_GLOBAL__N_18offset_tEEE10hipError_tPvRmT1_PNSt15iterator_traitsISZ_E10value_typeET2_T3_PNS10_IS15_E10value_typeET4_jRbjT5_S1B_jjP12ihipStream_tbEUljE_EEESW_SX_SY_S15_S19_S1B_T6_T7_T9_mT8_S1D_bDpT10_ENKUlT_T0_E_clISt17integral_constantIbLb0EES1Q_EEDaS1L_S1M_EUlS1L_E_NS1_11comp_targetILNS1_3genE8ELNS1_11target_archE1030ELNS1_3gpuE2ELNS1_3repE0EEENS1_30default_config_static_selectorELNS0_4arch9wavefront6targetE0EEEvSZ_,"axG",@progbits,_ZN7rocprim17ROCPRIM_400000_NS6detail17trampoline_kernelINS0_13select_configILj256ELj13ELNS0_17block_load_methodE3ELS4_3ELS4_3ELNS0_20block_scan_algorithmE0ELj4294967295EEENS1_25partition_config_selectorILNS1_17partition_subalgoE3EjNS0_10empty_typeEbEEZZNS1_14partition_implILS8_3ELb0ES6_jNS0_17counting_iteratorIjlEEPS9_SE_NS0_5tupleIJPjSE_EEENSF_IJSE_SE_EEES9_SG_JZNS1_25segmented_radix_sort_implINS0_14default_configELb0EPK6__halfPSL_PKlPlN2at6native12_GLOBAL__N_18offset_tEEE10hipError_tPvRmT1_PNSt15iterator_traitsISZ_E10value_typeET2_T3_PNS10_IS15_E10value_typeET4_jRbjT5_S1B_jjP12ihipStream_tbEUljE_EEESW_SX_SY_S15_S19_S1B_T6_T7_T9_mT8_S1D_bDpT10_ENKUlT_T0_E_clISt17integral_constantIbLb0EES1Q_EEDaS1L_S1M_EUlS1L_E_NS1_11comp_targetILNS1_3genE8ELNS1_11target_archE1030ELNS1_3gpuE2ELNS1_3repE0EEENS1_30default_config_static_selectorELNS0_4arch9wavefront6targetE0EEEvSZ_,comdat
.Lfunc_end1807:
	.size	_ZN7rocprim17ROCPRIM_400000_NS6detail17trampoline_kernelINS0_13select_configILj256ELj13ELNS0_17block_load_methodE3ELS4_3ELS4_3ELNS0_20block_scan_algorithmE0ELj4294967295EEENS1_25partition_config_selectorILNS1_17partition_subalgoE3EjNS0_10empty_typeEbEEZZNS1_14partition_implILS8_3ELb0ES6_jNS0_17counting_iteratorIjlEEPS9_SE_NS0_5tupleIJPjSE_EEENSF_IJSE_SE_EEES9_SG_JZNS1_25segmented_radix_sort_implINS0_14default_configELb0EPK6__halfPSL_PKlPlN2at6native12_GLOBAL__N_18offset_tEEE10hipError_tPvRmT1_PNSt15iterator_traitsISZ_E10value_typeET2_T3_PNS10_IS15_E10value_typeET4_jRbjT5_S1B_jjP12ihipStream_tbEUljE_EEESW_SX_SY_S15_S19_S1B_T6_T7_T9_mT8_S1D_bDpT10_ENKUlT_T0_E_clISt17integral_constantIbLb0EES1Q_EEDaS1L_S1M_EUlS1L_E_NS1_11comp_targetILNS1_3genE8ELNS1_11target_archE1030ELNS1_3gpuE2ELNS1_3repE0EEENS1_30default_config_static_selectorELNS0_4arch9wavefront6targetE0EEEvSZ_, .Lfunc_end1807-_ZN7rocprim17ROCPRIM_400000_NS6detail17trampoline_kernelINS0_13select_configILj256ELj13ELNS0_17block_load_methodE3ELS4_3ELS4_3ELNS0_20block_scan_algorithmE0ELj4294967295EEENS1_25partition_config_selectorILNS1_17partition_subalgoE3EjNS0_10empty_typeEbEEZZNS1_14partition_implILS8_3ELb0ES6_jNS0_17counting_iteratorIjlEEPS9_SE_NS0_5tupleIJPjSE_EEENSF_IJSE_SE_EEES9_SG_JZNS1_25segmented_radix_sort_implINS0_14default_configELb0EPK6__halfPSL_PKlPlN2at6native12_GLOBAL__N_18offset_tEEE10hipError_tPvRmT1_PNSt15iterator_traitsISZ_E10value_typeET2_T3_PNS10_IS15_E10value_typeET4_jRbjT5_S1B_jjP12ihipStream_tbEUljE_EEESW_SX_SY_S15_S19_S1B_T6_T7_T9_mT8_S1D_bDpT10_ENKUlT_T0_E_clISt17integral_constantIbLb0EES1Q_EEDaS1L_S1M_EUlS1L_E_NS1_11comp_targetILNS1_3genE8ELNS1_11target_archE1030ELNS1_3gpuE2ELNS1_3repE0EEENS1_30default_config_static_selectorELNS0_4arch9wavefront6targetE0EEEvSZ_
                                        ; -- End function
	.set _ZN7rocprim17ROCPRIM_400000_NS6detail17trampoline_kernelINS0_13select_configILj256ELj13ELNS0_17block_load_methodE3ELS4_3ELS4_3ELNS0_20block_scan_algorithmE0ELj4294967295EEENS1_25partition_config_selectorILNS1_17partition_subalgoE3EjNS0_10empty_typeEbEEZZNS1_14partition_implILS8_3ELb0ES6_jNS0_17counting_iteratorIjlEEPS9_SE_NS0_5tupleIJPjSE_EEENSF_IJSE_SE_EEES9_SG_JZNS1_25segmented_radix_sort_implINS0_14default_configELb0EPK6__halfPSL_PKlPlN2at6native12_GLOBAL__N_18offset_tEEE10hipError_tPvRmT1_PNSt15iterator_traitsISZ_E10value_typeET2_T3_PNS10_IS15_E10value_typeET4_jRbjT5_S1B_jjP12ihipStream_tbEUljE_EEESW_SX_SY_S15_S19_S1B_T6_T7_T9_mT8_S1D_bDpT10_ENKUlT_T0_E_clISt17integral_constantIbLb0EES1Q_EEDaS1L_S1M_EUlS1L_E_NS1_11comp_targetILNS1_3genE8ELNS1_11target_archE1030ELNS1_3gpuE2ELNS1_3repE0EEENS1_30default_config_static_selectorELNS0_4arch9wavefront6targetE0EEEvSZ_.num_vgpr, 0
	.set _ZN7rocprim17ROCPRIM_400000_NS6detail17trampoline_kernelINS0_13select_configILj256ELj13ELNS0_17block_load_methodE3ELS4_3ELS4_3ELNS0_20block_scan_algorithmE0ELj4294967295EEENS1_25partition_config_selectorILNS1_17partition_subalgoE3EjNS0_10empty_typeEbEEZZNS1_14partition_implILS8_3ELb0ES6_jNS0_17counting_iteratorIjlEEPS9_SE_NS0_5tupleIJPjSE_EEENSF_IJSE_SE_EEES9_SG_JZNS1_25segmented_radix_sort_implINS0_14default_configELb0EPK6__halfPSL_PKlPlN2at6native12_GLOBAL__N_18offset_tEEE10hipError_tPvRmT1_PNSt15iterator_traitsISZ_E10value_typeET2_T3_PNS10_IS15_E10value_typeET4_jRbjT5_S1B_jjP12ihipStream_tbEUljE_EEESW_SX_SY_S15_S19_S1B_T6_T7_T9_mT8_S1D_bDpT10_ENKUlT_T0_E_clISt17integral_constantIbLb0EES1Q_EEDaS1L_S1M_EUlS1L_E_NS1_11comp_targetILNS1_3genE8ELNS1_11target_archE1030ELNS1_3gpuE2ELNS1_3repE0EEENS1_30default_config_static_selectorELNS0_4arch9wavefront6targetE0EEEvSZ_.num_agpr, 0
	.set _ZN7rocprim17ROCPRIM_400000_NS6detail17trampoline_kernelINS0_13select_configILj256ELj13ELNS0_17block_load_methodE3ELS4_3ELS4_3ELNS0_20block_scan_algorithmE0ELj4294967295EEENS1_25partition_config_selectorILNS1_17partition_subalgoE3EjNS0_10empty_typeEbEEZZNS1_14partition_implILS8_3ELb0ES6_jNS0_17counting_iteratorIjlEEPS9_SE_NS0_5tupleIJPjSE_EEENSF_IJSE_SE_EEES9_SG_JZNS1_25segmented_radix_sort_implINS0_14default_configELb0EPK6__halfPSL_PKlPlN2at6native12_GLOBAL__N_18offset_tEEE10hipError_tPvRmT1_PNSt15iterator_traitsISZ_E10value_typeET2_T3_PNS10_IS15_E10value_typeET4_jRbjT5_S1B_jjP12ihipStream_tbEUljE_EEESW_SX_SY_S15_S19_S1B_T6_T7_T9_mT8_S1D_bDpT10_ENKUlT_T0_E_clISt17integral_constantIbLb0EES1Q_EEDaS1L_S1M_EUlS1L_E_NS1_11comp_targetILNS1_3genE8ELNS1_11target_archE1030ELNS1_3gpuE2ELNS1_3repE0EEENS1_30default_config_static_selectorELNS0_4arch9wavefront6targetE0EEEvSZ_.numbered_sgpr, 0
	.set _ZN7rocprim17ROCPRIM_400000_NS6detail17trampoline_kernelINS0_13select_configILj256ELj13ELNS0_17block_load_methodE3ELS4_3ELS4_3ELNS0_20block_scan_algorithmE0ELj4294967295EEENS1_25partition_config_selectorILNS1_17partition_subalgoE3EjNS0_10empty_typeEbEEZZNS1_14partition_implILS8_3ELb0ES6_jNS0_17counting_iteratorIjlEEPS9_SE_NS0_5tupleIJPjSE_EEENSF_IJSE_SE_EEES9_SG_JZNS1_25segmented_radix_sort_implINS0_14default_configELb0EPK6__halfPSL_PKlPlN2at6native12_GLOBAL__N_18offset_tEEE10hipError_tPvRmT1_PNSt15iterator_traitsISZ_E10value_typeET2_T3_PNS10_IS15_E10value_typeET4_jRbjT5_S1B_jjP12ihipStream_tbEUljE_EEESW_SX_SY_S15_S19_S1B_T6_T7_T9_mT8_S1D_bDpT10_ENKUlT_T0_E_clISt17integral_constantIbLb0EES1Q_EEDaS1L_S1M_EUlS1L_E_NS1_11comp_targetILNS1_3genE8ELNS1_11target_archE1030ELNS1_3gpuE2ELNS1_3repE0EEENS1_30default_config_static_selectorELNS0_4arch9wavefront6targetE0EEEvSZ_.num_named_barrier, 0
	.set _ZN7rocprim17ROCPRIM_400000_NS6detail17trampoline_kernelINS0_13select_configILj256ELj13ELNS0_17block_load_methodE3ELS4_3ELS4_3ELNS0_20block_scan_algorithmE0ELj4294967295EEENS1_25partition_config_selectorILNS1_17partition_subalgoE3EjNS0_10empty_typeEbEEZZNS1_14partition_implILS8_3ELb0ES6_jNS0_17counting_iteratorIjlEEPS9_SE_NS0_5tupleIJPjSE_EEENSF_IJSE_SE_EEES9_SG_JZNS1_25segmented_radix_sort_implINS0_14default_configELb0EPK6__halfPSL_PKlPlN2at6native12_GLOBAL__N_18offset_tEEE10hipError_tPvRmT1_PNSt15iterator_traitsISZ_E10value_typeET2_T3_PNS10_IS15_E10value_typeET4_jRbjT5_S1B_jjP12ihipStream_tbEUljE_EEESW_SX_SY_S15_S19_S1B_T6_T7_T9_mT8_S1D_bDpT10_ENKUlT_T0_E_clISt17integral_constantIbLb0EES1Q_EEDaS1L_S1M_EUlS1L_E_NS1_11comp_targetILNS1_3genE8ELNS1_11target_archE1030ELNS1_3gpuE2ELNS1_3repE0EEENS1_30default_config_static_selectorELNS0_4arch9wavefront6targetE0EEEvSZ_.private_seg_size, 0
	.set _ZN7rocprim17ROCPRIM_400000_NS6detail17trampoline_kernelINS0_13select_configILj256ELj13ELNS0_17block_load_methodE3ELS4_3ELS4_3ELNS0_20block_scan_algorithmE0ELj4294967295EEENS1_25partition_config_selectorILNS1_17partition_subalgoE3EjNS0_10empty_typeEbEEZZNS1_14partition_implILS8_3ELb0ES6_jNS0_17counting_iteratorIjlEEPS9_SE_NS0_5tupleIJPjSE_EEENSF_IJSE_SE_EEES9_SG_JZNS1_25segmented_radix_sort_implINS0_14default_configELb0EPK6__halfPSL_PKlPlN2at6native12_GLOBAL__N_18offset_tEEE10hipError_tPvRmT1_PNSt15iterator_traitsISZ_E10value_typeET2_T3_PNS10_IS15_E10value_typeET4_jRbjT5_S1B_jjP12ihipStream_tbEUljE_EEESW_SX_SY_S15_S19_S1B_T6_T7_T9_mT8_S1D_bDpT10_ENKUlT_T0_E_clISt17integral_constantIbLb0EES1Q_EEDaS1L_S1M_EUlS1L_E_NS1_11comp_targetILNS1_3genE8ELNS1_11target_archE1030ELNS1_3gpuE2ELNS1_3repE0EEENS1_30default_config_static_selectorELNS0_4arch9wavefront6targetE0EEEvSZ_.uses_vcc, 0
	.set _ZN7rocprim17ROCPRIM_400000_NS6detail17trampoline_kernelINS0_13select_configILj256ELj13ELNS0_17block_load_methodE3ELS4_3ELS4_3ELNS0_20block_scan_algorithmE0ELj4294967295EEENS1_25partition_config_selectorILNS1_17partition_subalgoE3EjNS0_10empty_typeEbEEZZNS1_14partition_implILS8_3ELb0ES6_jNS0_17counting_iteratorIjlEEPS9_SE_NS0_5tupleIJPjSE_EEENSF_IJSE_SE_EEES9_SG_JZNS1_25segmented_radix_sort_implINS0_14default_configELb0EPK6__halfPSL_PKlPlN2at6native12_GLOBAL__N_18offset_tEEE10hipError_tPvRmT1_PNSt15iterator_traitsISZ_E10value_typeET2_T3_PNS10_IS15_E10value_typeET4_jRbjT5_S1B_jjP12ihipStream_tbEUljE_EEESW_SX_SY_S15_S19_S1B_T6_T7_T9_mT8_S1D_bDpT10_ENKUlT_T0_E_clISt17integral_constantIbLb0EES1Q_EEDaS1L_S1M_EUlS1L_E_NS1_11comp_targetILNS1_3genE8ELNS1_11target_archE1030ELNS1_3gpuE2ELNS1_3repE0EEENS1_30default_config_static_selectorELNS0_4arch9wavefront6targetE0EEEvSZ_.uses_flat_scratch, 0
	.set _ZN7rocprim17ROCPRIM_400000_NS6detail17trampoline_kernelINS0_13select_configILj256ELj13ELNS0_17block_load_methodE3ELS4_3ELS4_3ELNS0_20block_scan_algorithmE0ELj4294967295EEENS1_25partition_config_selectorILNS1_17partition_subalgoE3EjNS0_10empty_typeEbEEZZNS1_14partition_implILS8_3ELb0ES6_jNS0_17counting_iteratorIjlEEPS9_SE_NS0_5tupleIJPjSE_EEENSF_IJSE_SE_EEES9_SG_JZNS1_25segmented_radix_sort_implINS0_14default_configELb0EPK6__halfPSL_PKlPlN2at6native12_GLOBAL__N_18offset_tEEE10hipError_tPvRmT1_PNSt15iterator_traitsISZ_E10value_typeET2_T3_PNS10_IS15_E10value_typeET4_jRbjT5_S1B_jjP12ihipStream_tbEUljE_EEESW_SX_SY_S15_S19_S1B_T6_T7_T9_mT8_S1D_bDpT10_ENKUlT_T0_E_clISt17integral_constantIbLb0EES1Q_EEDaS1L_S1M_EUlS1L_E_NS1_11comp_targetILNS1_3genE8ELNS1_11target_archE1030ELNS1_3gpuE2ELNS1_3repE0EEENS1_30default_config_static_selectorELNS0_4arch9wavefront6targetE0EEEvSZ_.has_dyn_sized_stack, 0
	.set _ZN7rocprim17ROCPRIM_400000_NS6detail17trampoline_kernelINS0_13select_configILj256ELj13ELNS0_17block_load_methodE3ELS4_3ELS4_3ELNS0_20block_scan_algorithmE0ELj4294967295EEENS1_25partition_config_selectorILNS1_17partition_subalgoE3EjNS0_10empty_typeEbEEZZNS1_14partition_implILS8_3ELb0ES6_jNS0_17counting_iteratorIjlEEPS9_SE_NS0_5tupleIJPjSE_EEENSF_IJSE_SE_EEES9_SG_JZNS1_25segmented_radix_sort_implINS0_14default_configELb0EPK6__halfPSL_PKlPlN2at6native12_GLOBAL__N_18offset_tEEE10hipError_tPvRmT1_PNSt15iterator_traitsISZ_E10value_typeET2_T3_PNS10_IS15_E10value_typeET4_jRbjT5_S1B_jjP12ihipStream_tbEUljE_EEESW_SX_SY_S15_S19_S1B_T6_T7_T9_mT8_S1D_bDpT10_ENKUlT_T0_E_clISt17integral_constantIbLb0EES1Q_EEDaS1L_S1M_EUlS1L_E_NS1_11comp_targetILNS1_3genE8ELNS1_11target_archE1030ELNS1_3gpuE2ELNS1_3repE0EEENS1_30default_config_static_selectorELNS0_4arch9wavefront6targetE0EEEvSZ_.has_recursion, 0
	.set _ZN7rocprim17ROCPRIM_400000_NS6detail17trampoline_kernelINS0_13select_configILj256ELj13ELNS0_17block_load_methodE3ELS4_3ELS4_3ELNS0_20block_scan_algorithmE0ELj4294967295EEENS1_25partition_config_selectorILNS1_17partition_subalgoE3EjNS0_10empty_typeEbEEZZNS1_14partition_implILS8_3ELb0ES6_jNS0_17counting_iteratorIjlEEPS9_SE_NS0_5tupleIJPjSE_EEENSF_IJSE_SE_EEES9_SG_JZNS1_25segmented_radix_sort_implINS0_14default_configELb0EPK6__halfPSL_PKlPlN2at6native12_GLOBAL__N_18offset_tEEE10hipError_tPvRmT1_PNSt15iterator_traitsISZ_E10value_typeET2_T3_PNS10_IS15_E10value_typeET4_jRbjT5_S1B_jjP12ihipStream_tbEUljE_EEESW_SX_SY_S15_S19_S1B_T6_T7_T9_mT8_S1D_bDpT10_ENKUlT_T0_E_clISt17integral_constantIbLb0EES1Q_EEDaS1L_S1M_EUlS1L_E_NS1_11comp_targetILNS1_3genE8ELNS1_11target_archE1030ELNS1_3gpuE2ELNS1_3repE0EEENS1_30default_config_static_selectorELNS0_4arch9wavefront6targetE0EEEvSZ_.has_indirect_call, 0
	.section	.AMDGPU.csdata,"",@progbits
; Kernel info:
; codeLenInByte = 0
; TotalNumSgprs: 0
; NumVgprs: 0
; ScratchSize: 0
; MemoryBound: 0
; FloatMode: 240
; IeeeMode: 1
; LDSByteSize: 0 bytes/workgroup (compile time only)
; SGPRBlocks: 0
; VGPRBlocks: 0
; NumSGPRsForWavesPerEU: 1
; NumVGPRsForWavesPerEU: 1
; NamedBarCnt: 0
; Occupancy: 16
; WaveLimiterHint : 0
; COMPUTE_PGM_RSRC2:SCRATCH_EN: 0
; COMPUTE_PGM_RSRC2:USER_SGPR: 2
; COMPUTE_PGM_RSRC2:TRAP_HANDLER: 0
; COMPUTE_PGM_RSRC2:TGID_X_EN: 1
; COMPUTE_PGM_RSRC2:TGID_Y_EN: 0
; COMPUTE_PGM_RSRC2:TGID_Z_EN: 0
; COMPUTE_PGM_RSRC2:TIDIG_COMP_CNT: 0
	.section	.text._ZN7rocprim17ROCPRIM_400000_NS6detail17trampoline_kernelINS0_13select_configILj256ELj13ELNS0_17block_load_methodE3ELS4_3ELS4_3ELNS0_20block_scan_algorithmE0ELj4294967295EEENS1_25partition_config_selectorILNS1_17partition_subalgoE3EjNS0_10empty_typeEbEEZZNS1_14partition_implILS8_3ELb0ES6_jNS0_17counting_iteratorIjlEEPS9_SE_NS0_5tupleIJPjSE_EEENSF_IJSE_SE_EEES9_SG_JZNS1_25segmented_radix_sort_implINS0_14default_configELb0EPK6__halfPSL_PKlPlN2at6native12_GLOBAL__N_18offset_tEEE10hipError_tPvRmT1_PNSt15iterator_traitsISZ_E10value_typeET2_T3_PNS10_IS15_E10value_typeET4_jRbjT5_S1B_jjP12ihipStream_tbEUljE_EEESW_SX_SY_S15_S19_S1B_T6_T7_T9_mT8_S1D_bDpT10_ENKUlT_T0_E_clISt17integral_constantIbLb1EES1Q_EEDaS1L_S1M_EUlS1L_E_NS1_11comp_targetILNS1_3genE0ELNS1_11target_archE4294967295ELNS1_3gpuE0ELNS1_3repE0EEENS1_30default_config_static_selectorELNS0_4arch9wavefront6targetE0EEEvSZ_,"axG",@progbits,_ZN7rocprim17ROCPRIM_400000_NS6detail17trampoline_kernelINS0_13select_configILj256ELj13ELNS0_17block_load_methodE3ELS4_3ELS4_3ELNS0_20block_scan_algorithmE0ELj4294967295EEENS1_25partition_config_selectorILNS1_17partition_subalgoE3EjNS0_10empty_typeEbEEZZNS1_14partition_implILS8_3ELb0ES6_jNS0_17counting_iteratorIjlEEPS9_SE_NS0_5tupleIJPjSE_EEENSF_IJSE_SE_EEES9_SG_JZNS1_25segmented_radix_sort_implINS0_14default_configELb0EPK6__halfPSL_PKlPlN2at6native12_GLOBAL__N_18offset_tEEE10hipError_tPvRmT1_PNSt15iterator_traitsISZ_E10value_typeET2_T3_PNS10_IS15_E10value_typeET4_jRbjT5_S1B_jjP12ihipStream_tbEUljE_EEESW_SX_SY_S15_S19_S1B_T6_T7_T9_mT8_S1D_bDpT10_ENKUlT_T0_E_clISt17integral_constantIbLb1EES1Q_EEDaS1L_S1M_EUlS1L_E_NS1_11comp_targetILNS1_3genE0ELNS1_11target_archE4294967295ELNS1_3gpuE0ELNS1_3repE0EEENS1_30default_config_static_selectorELNS0_4arch9wavefront6targetE0EEEvSZ_,comdat
	.globl	_ZN7rocprim17ROCPRIM_400000_NS6detail17trampoline_kernelINS0_13select_configILj256ELj13ELNS0_17block_load_methodE3ELS4_3ELS4_3ELNS0_20block_scan_algorithmE0ELj4294967295EEENS1_25partition_config_selectorILNS1_17partition_subalgoE3EjNS0_10empty_typeEbEEZZNS1_14partition_implILS8_3ELb0ES6_jNS0_17counting_iteratorIjlEEPS9_SE_NS0_5tupleIJPjSE_EEENSF_IJSE_SE_EEES9_SG_JZNS1_25segmented_radix_sort_implINS0_14default_configELb0EPK6__halfPSL_PKlPlN2at6native12_GLOBAL__N_18offset_tEEE10hipError_tPvRmT1_PNSt15iterator_traitsISZ_E10value_typeET2_T3_PNS10_IS15_E10value_typeET4_jRbjT5_S1B_jjP12ihipStream_tbEUljE_EEESW_SX_SY_S15_S19_S1B_T6_T7_T9_mT8_S1D_bDpT10_ENKUlT_T0_E_clISt17integral_constantIbLb1EES1Q_EEDaS1L_S1M_EUlS1L_E_NS1_11comp_targetILNS1_3genE0ELNS1_11target_archE4294967295ELNS1_3gpuE0ELNS1_3repE0EEENS1_30default_config_static_selectorELNS0_4arch9wavefront6targetE0EEEvSZ_ ; -- Begin function _ZN7rocprim17ROCPRIM_400000_NS6detail17trampoline_kernelINS0_13select_configILj256ELj13ELNS0_17block_load_methodE3ELS4_3ELS4_3ELNS0_20block_scan_algorithmE0ELj4294967295EEENS1_25partition_config_selectorILNS1_17partition_subalgoE3EjNS0_10empty_typeEbEEZZNS1_14partition_implILS8_3ELb0ES6_jNS0_17counting_iteratorIjlEEPS9_SE_NS0_5tupleIJPjSE_EEENSF_IJSE_SE_EEES9_SG_JZNS1_25segmented_radix_sort_implINS0_14default_configELb0EPK6__halfPSL_PKlPlN2at6native12_GLOBAL__N_18offset_tEEE10hipError_tPvRmT1_PNSt15iterator_traitsISZ_E10value_typeET2_T3_PNS10_IS15_E10value_typeET4_jRbjT5_S1B_jjP12ihipStream_tbEUljE_EEESW_SX_SY_S15_S19_S1B_T6_T7_T9_mT8_S1D_bDpT10_ENKUlT_T0_E_clISt17integral_constantIbLb1EES1Q_EEDaS1L_S1M_EUlS1L_E_NS1_11comp_targetILNS1_3genE0ELNS1_11target_archE4294967295ELNS1_3gpuE0ELNS1_3repE0EEENS1_30default_config_static_selectorELNS0_4arch9wavefront6targetE0EEEvSZ_
	.p2align	8
	.type	_ZN7rocprim17ROCPRIM_400000_NS6detail17trampoline_kernelINS0_13select_configILj256ELj13ELNS0_17block_load_methodE3ELS4_3ELS4_3ELNS0_20block_scan_algorithmE0ELj4294967295EEENS1_25partition_config_selectorILNS1_17partition_subalgoE3EjNS0_10empty_typeEbEEZZNS1_14partition_implILS8_3ELb0ES6_jNS0_17counting_iteratorIjlEEPS9_SE_NS0_5tupleIJPjSE_EEENSF_IJSE_SE_EEES9_SG_JZNS1_25segmented_radix_sort_implINS0_14default_configELb0EPK6__halfPSL_PKlPlN2at6native12_GLOBAL__N_18offset_tEEE10hipError_tPvRmT1_PNSt15iterator_traitsISZ_E10value_typeET2_T3_PNS10_IS15_E10value_typeET4_jRbjT5_S1B_jjP12ihipStream_tbEUljE_EEESW_SX_SY_S15_S19_S1B_T6_T7_T9_mT8_S1D_bDpT10_ENKUlT_T0_E_clISt17integral_constantIbLb1EES1Q_EEDaS1L_S1M_EUlS1L_E_NS1_11comp_targetILNS1_3genE0ELNS1_11target_archE4294967295ELNS1_3gpuE0ELNS1_3repE0EEENS1_30default_config_static_selectorELNS0_4arch9wavefront6targetE0EEEvSZ_,@function
_ZN7rocprim17ROCPRIM_400000_NS6detail17trampoline_kernelINS0_13select_configILj256ELj13ELNS0_17block_load_methodE3ELS4_3ELS4_3ELNS0_20block_scan_algorithmE0ELj4294967295EEENS1_25partition_config_selectorILNS1_17partition_subalgoE3EjNS0_10empty_typeEbEEZZNS1_14partition_implILS8_3ELb0ES6_jNS0_17counting_iteratorIjlEEPS9_SE_NS0_5tupleIJPjSE_EEENSF_IJSE_SE_EEES9_SG_JZNS1_25segmented_radix_sort_implINS0_14default_configELb0EPK6__halfPSL_PKlPlN2at6native12_GLOBAL__N_18offset_tEEE10hipError_tPvRmT1_PNSt15iterator_traitsISZ_E10value_typeET2_T3_PNS10_IS15_E10value_typeET4_jRbjT5_S1B_jjP12ihipStream_tbEUljE_EEESW_SX_SY_S15_S19_S1B_T6_T7_T9_mT8_S1D_bDpT10_ENKUlT_T0_E_clISt17integral_constantIbLb1EES1Q_EEDaS1L_S1M_EUlS1L_E_NS1_11comp_targetILNS1_3genE0ELNS1_11target_archE4294967295ELNS1_3gpuE0ELNS1_3repE0EEENS1_30default_config_static_selectorELNS0_4arch9wavefront6targetE0EEEvSZ_: ; @_ZN7rocprim17ROCPRIM_400000_NS6detail17trampoline_kernelINS0_13select_configILj256ELj13ELNS0_17block_load_methodE3ELS4_3ELS4_3ELNS0_20block_scan_algorithmE0ELj4294967295EEENS1_25partition_config_selectorILNS1_17partition_subalgoE3EjNS0_10empty_typeEbEEZZNS1_14partition_implILS8_3ELb0ES6_jNS0_17counting_iteratorIjlEEPS9_SE_NS0_5tupleIJPjSE_EEENSF_IJSE_SE_EEES9_SG_JZNS1_25segmented_radix_sort_implINS0_14default_configELb0EPK6__halfPSL_PKlPlN2at6native12_GLOBAL__N_18offset_tEEE10hipError_tPvRmT1_PNSt15iterator_traitsISZ_E10value_typeET2_T3_PNS10_IS15_E10value_typeET4_jRbjT5_S1B_jjP12ihipStream_tbEUljE_EEESW_SX_SY_S15_S19_S1B_T6_T7_T9_mT8_S1D_bDpT10_ENKUlT_T0_E_clISt17integral_constantIbLb1EES1Q_EEDaS1L_S1M_EUlS1L_E_NS1_11comp_targetILNS1_3genE0ELNS1_11target_archE4294967295ELNS1_3gpuE0ELNS1_3repE0EEENS1_30default_config_static_selectorELNS0_4arch9wavefront6targetE0EEEvSZ_
; %bb.0:
	s_endpgm
	.section	.rodata,"a",@progbits
	.p2align	6, 0x0
	.amdhsa_kernel _ZN7rocprim17ROCPRIM_400000_NS6detail17trampoline_kernelINS0_13select_configILj256ELj13ELNS0_17block_load_methodE3ELS4_3ELS4_3ELNS0_20block_scan_algorithmE0ELj4294967295EEENS1_25partition_config_selectorILNS1_17partition_subalgoE3EjNS0_10empty_typeEbEEZZNS1_14partition_implILS8_3ELb0ES6_jNS0_17counting_iteratorIjlEEPS9_SE_NS0_5tupleIJPjSE_EEENSF_IJSE_SE_EEES9_SG_JZNS1_25segmented_radix_sort_implINS0_14default_configELb0EPK6__halfPSL_PKlPlN2at6native12_GLOBAL__N_18offset_tEEE10hipError_tPvRmT1_PNSt15iterator_traitsISZ_E10value_typeET2_T3_PNS10_IS15_E10value_typeET4_jRbjT5_S1B_jjP12ihipStream_tbEUljE_EEESW_SX_SY_S15_S19_S1B_T6_T7_T9_mT8_S1D_bDpT10_ENKUlT_T0_E_clISt17integral_constantIbLb1EES1Q_EEDaS1L_S1M_EUlS1L_E_NS1_11comp_targetILNS1_3genE0ELNS1_11target_archE4294967295ELNS1_3gpuE0ELNS1_3repE0EEENS1_30default_config_static_selectorELNS0_4arch9wavefront6targetE0EEEvSZ_
		.amdhsa_group_segment_fixed_size 0
		.amdhsa_private_segment_fixed_size 0
		.amdhsa_kernarg_size 152
		.amdhsa_user_sgpr_count 2
		.amdhsa_user_sgpr_dispatch_ptr 0
		.amdhsa_user_sgpr_queue_ptr 0
		.amdhsa_user_sgpr_kernarg_segment_ptr 1
		.amdhsa_user_sgpr_dispatch_id 0
		.amdhsa_user_sgpr_kernarg_preload_length 0
		.amdhsa_user_sgpr_kernarg_preload_offset 0
		.amdhsa_user_sgpr_private_segment_size 0
		.amdhsa_wavefront_size32 1
		.amdhsa_uses_dynamic_stack 0
		.amdhsa_enable_private_segment 0
		.amdhsa_system_sgpr_workgroup_id_x 1
		.amdhsa_system_sgpr_workgroup_id_y 0
		.amdhsa_system_sgpr_workgroup_id_z 0
		.amdhsa_system_sgpr_workgroup_info 0
		.amdhsa_system_vgpr_workitem_id 0
		.amdhsa_next_free_vgpr 1
		.amdhsa_next_free_sgpr 1
		.amdhsa_named_barrier_count 0
		.amdhsa_reserve_vcc 0
		.amdhsa_float_round_mode_32 0
		.amdhsa_float_round_mode_16_64 0
		.amdhsa_float_denorm_mode_32 3
		.amdhsa_float_denorm_mode_16_64 3
		.amdhsa_fp16_overflow 0
		.amdhsa_memory_ordered 1
		.amdhsa_forward_progress 1
		.amdhsa_inst_pref_size 1
		.amdhsa_round_robin_scheduling 0
		.amdhsa_exception_fp_ieee_invalid_op 0
		.amdhsa_exception_fp_denorm_src 0
		.amdhsa_exception_fp_ieee_div_zero 0
		.amdhsa_exception_fp_ieee_overflow 0
		.amdhsa_exception_fp_ieee_underflow 0
		.amdhsa_exception_fp_ieee_inexact 0
		.amdhsa_exception_int_div_zero 0
	.end_amdhsa_kernel
	.section	.text._ZN7rocprim17ROCPRIM_400000_NS6detail17trampoline_kernelINS0_13select_configILj256ELj13ELNS0_17block_load_methodE3ELS4_3ELS4_3ELNS0_20block_scan_algorithmE0ELj4294967295EEENS1_25partition_config_selectorILNS1_17partition_subalgoE3EjNS0_10empty_typeEbEEZZNS1_14partition_implILS8_3ELb0ES6_jNS0_17counting_iteratorIjlEEPS9_SE_NS0_5tupleIJPjSE_EEENSF_IJSE_SE_EEES9_SG_JZNS1_25segmented_radix_sort_implINS0_14default_configELb0EPK6__halfPSL_PKlPlN2at6native12_GLOBAL__N_18offset_tEEE10hipError_tPvRmT1_PNSt15iterator_traitsISZ_E10value_typeET2_T3_PNS10_IS15_E10value_typeET4_jRbjT5_S1B_jjP12ihipStream_tbEUljE_EEESW_SX_SY_S15_S19_S1B_T6_T7_T9_mT8_S1D_bDpT10_ENKUlT_T0_E_clISt17integral_constantIbLb1EES1Q_EEDaS1L_S1M_EUlS1L_E_NS1_11comp_targetILNS1_3genE0ELNS1_11target_archE4294967295ELNS1_3gpuE0ELNS1_3repE0EEENS1_30default_config_static_selectorELNS0_4arch9wavefront6targetE0EEEvSZ_,"axG",@progbits,_ZN7rocprim17ROCPRIM_400000_NS6detail17trampoline_kernelINS0_13select_configILj256ELj13ELNS0_17block_load_methodE3ELS4_3ELS4_3ELNS0_20block_scan_algorithmE0ELj4294967295EEENS1_25partition_config_selectorILNS1_17partition_subalgoE3EjNS0_10empty_typeEbEEZZNS1_14partition_implILS8_3ELb0ES6_jNS0_17counting_iteratorIjlEEPS9_SE_NS0_5tupleIJPjSE_EEENSF_IJSE_SE_EEES9_SG_JZNS1_25segmented_radix_sort_implINS0_14default_configELb0EPK6__halfPSL_PKlPlN2at6native12_GLOBAL__N_18offset_tEEE10hipError_tPvRmT1_PNSt15iterator_traitsISZ_E10value_typeET2_T3_PNS10_IS15_E10value_typeET4_jRbjT5_S1B_jjP12ihipStream_tbEUljE_EEESW_SX_SY_S15_S19_S1B_T6_T7_T9_mT8_S1D_bDpT10_ENKUlT_T0_E_clISt17integral_constantIbLb1EES1Q_EEDaS1L_S1M_EUlS1L_E_NS1_11comp_targetILNS1_3genE0ELNS1_11target_archE4294967295ELNS1_3gpuE0ELNS1_3repE0EEENS1_30default_config_static_selectorELNS0_4arch9wavefront6targetE0EEEvSZ_,comdat
.Lfunc_end1808:
	.size	_ZN7rocprim17ROCPRIM_400000_NS6detail17trampoline_kernelINS0_13select_configILj256ELj13ELNS0_17block_load_methodE3ELS4_3ELS4_3ELNS0_20block_scan_algorithmE0ELj4294967295EEENS1_25partition_config_selectorILNS1_17partition_subalgoE3EjNS0_10empty_typeEbEEZZNS1_14partition_implILS8_3ELb0ES6_jNS0_17counting_iteratorIjlEEPS9_SE_NS0_5tupleIJPjSE_EEENSF_IJSE_SE_EEES9_SG_JZNS1_25segmented_radix_sort_implINS0_14default_configELb0EPK6__halfPSL_PKlPlN2at6native12_GLOBAL__N_18offset_tEEE10hipError_tPvRmT1_PNSt15iterator_traitsISZ_E10value_typeET2_T3_PNS10_IS15_E10value_typeET4_jRbjT5_S1B_jjP12ihipStream_tbEUljE_EEESW_SX_SY_S15_S19_S1B_T6_T7_T9_mT8_S1D_bDpT10_ENKUlT_T0_E_clISt17integral_constantIbLb1EES1Q_EEDaS1L_S1M_EUlS1L_E_NS1_11comp_targetILNS1_3genE0ELNS1_11target_archE4294967295ELNS1_3gpuE0ELNS1_3repE0EEENS1_30default_config_static_selectorELNS0_4arch9wavefront6targetE0EEEvSZ_, .Lfunc_end1808-_ZN7rocprim17ROCPRIM_400000_NS6detail17trampoline_kernelINS0_13select_configILj256ELj13ELNS0_17block_load_methodE3ELS4_3ELS4_3ELNS0_20block_scan_algorithmE0ELj4294967295EEENS1_25partition_config_selectorILNS1_17partition_subalgoE3EjNS0_10empty_typeEbEEZZNS1_14partition_implILS8_3ELb0ES6_jNS0_17counting_iteratorIjlEEPS9_SE_NS0_5tupleIJPjSE_EEENSF_IJSE_SE_EEES9_SG_JZNS1_25segmented_radix_sort_implINS0_14default_configELb0EPK6__halfPSL_PKlPlN2at6native12_GLOBAL__N_18offset_tEEE10hipError_tPvRmT1_PNSt15iterator_traitsISZ_E10value_typeET2_T3_PNS10_IS15_E10value_typeET4_jRbjT5_S1B_jjP12ihipStream_tbEUljE_EEESW_SX_SY_S15_S19_S1B_T6_T7_T9_mT8_S1D_bDpT10_ENKUlT_T0_E_clISt17integral_constantIbLb1EES1Q_EEDaS1L_S1M_EUlS1L_E_NS1_11comp_targetILNS1_3genE0ELNS1_11target_archE4294967295ELNS1_3gpuE0ELNS1_3repE0EEENS1_30default_config_static_selectorELNS0_4arch9wavefront6targetE0EEEvSZ_
                                        ; -- End function
	.set _ZN7rocprim17ROCPRIM_400000_NS6detail17trampoline_kernelINS0_13select_configILj256ELj13ELNS0_17block_load_methodE3ELS4_3ELS4_3ELNS0_20block_scan_algorithmE0ELj4294967295EEENS1_25partition_config_selectorILNS1_17partition_subalgoE3EjNS0_10empty_typeEbEEZZNS1_14partition_implILS8_3ELb0ES6_jNS0_17counting_iteratorIjlEEPS9_SE_NS0_5tupleIJPjSE_EEENSF_IJSE_SE_EEES9_SG_JZNS1_25segmented_radix_sort_implINS0_14default_configELb0EPK6__halfPSL_PKlPlN2at6native12_GLOBAL__N_18offset_tEEE10hipError_tPvRmT1_PNSt15iterator_traitsISZ_E10value_typeET2_T3_PNS10_IS15_E10value_typeET4_jRbjT5_S1B_jjP12ihipStream_tbEUljE_EEESW_SX_SY_S15_S19_S1B_T6_T7_T9_mT8_S1D_bDpT10_ENKUlT_T0_E_clISt17integral_constantIbLb1EES1Q_EEDaS1L_S1M_EUlS1L_E_NS1_11comp_targetILNS1_3genE0ELNS1_11target_archE4294967295ELNS1_3gpuE0ELNS1_3repE0EEENS1_30default_config_static_selectorELNS0_4arch9wavefront6targetE0EEEvSZ_.num_vgpr, 0
	.set _ZN7rocprim17ROCPRIM_400000_NS6detail17trampoline_kernelINS0_13select_configILj256ELj13ELNS0_17block_load_methodE3ELS4_3ELS4_3ELNS0_20block_scan_algorithmE0ELj4294967295EEENS1_25partition_config_selectorILNS1_17partition_subalgoE3EjNS0_10empty_typeEbEEZZNS1_14partition_implILS8_3ELb0ES6_jNS0_17counting_iteratorIjlEEPS9_SE_NS0_5tupleIJPjSE_EEENSF_IJSE_SE_EEES9_SG_JZNS1_25segmented_radix_sort_implINS0_14default_configELb0EPK6__halfPSL_PKlPlN2at6native12_GLOBAL__N_18offset_tEEE10hipError_tPvRmT1_PNSt15iterator_traitsISZ_E10value_typeET2_T3_PNS10_IS15_E10value_typeET4_jRbjT5_S1B_jjP12ihipStream_tbEUljE_EEESW_SX_SY_S15_S19_S1B_T6_T7_T9_mT8_S1D_bDpT10_ENKUlT_T0_E_clISt17integral_constantIbLb1EES1Q_EEDaS1L_S1M_EUlS1L_E_NS1_11comp_targetILNS1_3genE0ELNS1_11target_archE4294967295ELNS1_3gpuE0ELNS1_3repE0EEENS1_30default_config_static_selectorELNS0_4arch9wavefront6targetE0EEEvSZ_.num_agpr, 0
	.set _ZN7rocprim17ROCPRIM_400000_NS6detail17trampoline_kernelINS0_13select_configILj256ELj13ELNS0_17block_load_methodE3ELS4_3ELS4_3ELNS0_20block_scan_algorithmE0ELj4294967295EEENS1_25partition_config_selectorILNS1_17partition_subalgoE3EjNS0_10empty_typeEbEEZZNS1_14partition_implILS8_3ELb0ES6_jNS0_17counting_iteratorIjlEEPS9_SE_NS0_5tupleIJPjSE_EEENSF_IJSE_SE_EEES9_SG_JZNS1_25segmented_radix_sort_implINS0_14default_configELb0EPK6__halfPSL_PKlPlN2at6native12_GLOBAL__N_18offset_tEEE10hipError_tPvRmT1_PNSt15iterator_traitsISZ_E10value_typeET2_T3_PNS10_IS15_E10value_typeET4_jRbjT5_S1B_jjP12ihipStream_tbEUljE_EEESW_SX_SY_S15_S19_S1B_T6_T7_T9_mT8_S1D_bDpT10_ENKUlT_T0_E_clISt17integral_constantIbLb1EES1Q_EEDaS1L_S1M_EUlS1L_E_NS1_11comp_targetILNS1_3genE0ELNS1_11target_archE4294967295ELNS1_3gpuE0ELNS1_3repE0EEENS1_30default_config_static_selectorELNS0_4arch9wavefront6targetE0EEEvSZ_.numbered_sgpr, 0
	.set _ZN7rocprim17ROCPRIM_400000_NS6detail17trampoline_kernelINS0_13select_configILj256ELj13ELNS0_17block_load_methodE3ELS4_3ELS4_3ELNS0_20block_scan_algorithmE0ELj4294967295EEENS1_25partition_config_selectorILNS1_17partition_subalgoE3EjNS0_10empty_typeEbEEZZNS1_14partition_implILS8_3ELb0ES6_jNS0_17counting_iteratorIjlEEPS9_SE_NS0_5tupleIJPjSE_EEENSF_IJSE_SE_EEES9_SG_JZNS1_25segmented_radix_sort_implINS0_14default_configELb0EPK6__halfPSL_PKlPlN2at6native12_GLOBAL__N_18offset_tEEE10hipError_tPvRmT1_PNSt15iterator_traitsISZ_E10value_typeET2_T3_PNS10_IS15_E10value_typeET4_jRbjT5_S1B_jjP12ihipStream_tbEUljE_EEESW_SX_SY_S15_S19_S1B_T6_T7_T9_mT8_S1D_bDpT10_ENKUlT_T0_E_clISt17integral_constantIbLb1EES1Q_EEDaS1L_S1M_EUlS1L_E_NS1_11comp_targetILNS1_3genE0ELNS1_11target_archE4294967295ELNS1_3gpuE0ELNS1_3repE0EEENS1_30default_config_static_selectorELNS0_4arch9wavefront6targetE0EEEvSZ_.num_named_barrier, 0
	.set _ZN7rocprim17ROCPRIM_400000_NS6detail17trampoline_kernelINS0_13select_configILj256ELj13ELNS0_17block_load_methodE3ELS4_3ELS4_3ELNS0_20block_scan_algorithmE0ELj4294967295EEENS1_25partition_config_selectorILNS1_17partition_subalgoE3EjNS0_10empty_typeEbEEZZNS1_14partition_implILS8_3ELb0ES6_jNS0_17counting_iteratorIjlEEPS9_SE_NS0_5tupleIJPjSE_EEENSF_IJSE_SE_EEES9_SG_JZNS1_25segmented_radix_sort_implINS0_14default_configELb0EPK6__halfPSL_PKlPlN2at6native12_GLOBAL__N_18offset_tEEE10hipError_tPvRmT1_PNSt15iterator_traitsISZ_E10value_typeET2_T3_PNS10_IS15_E10value_typeET4_jRbjT5_S1B_jjP12ihipStream_tbEUljE_EEESW_SX_SY_S15_S19_S1B_T6_T7_T9_mT8_S1D_bDpT10_ENKUlT_T0_E_clISt17integral_constantIbLb1EES1Q_EEDaS1L_S1M_EUlS1L_E_NS1_11comp_targetILNS1_3genE0ELNS1_11target_archE4294967295ELNS1_3gpuE0ELNS1_3repE0EEENS1_30default_config_static_selectorELNS0_4arch9wavefront6targetE0EEEvSZ_.private_seg_size, 0
	.set _ZN7rocprim17ROCPRIM_400000_NS6detail17trampoline_kernelINS0_13select_configILj256ELj13ELNS0_17block_load_methodE3ELS4_3ELS4_3ELNS0_20block_scan_algorithmE0ELj4294967295EEENS1_25partition_config_selectorILNS1_17partition_subalgoE3EjNS0_10empty_typeEbEEZZNS1_14partition_implILS8_3ELb0ES6_jNS0_17counting_iteratorIjlEEPS9_SE_NS0_5tupleIJPjSE_EEENSF_IJSE_SE_EEES9_SG_JZNS1_25segmented_radix_sort_implINS0_14default_configELb0EPK6__halfPSL_PKlPlN2at6native12_GLOBAL__N_18offset_tEEE10hipError_tPvRmT1_PNSt15iterator_traitsISZ_E10value_typeET2_T3_PNS10_IS15_E10value_typeET4_jRbjT5_S1B_jjP12ihipStream_tbEUljE_EEESW_SX_SY_S15_S19_S1B_T6_T7_T9_mT8_S1D_bDpT10_ENKUlT_T0_E_clISt17integral_constantIbLb1EES1Q_EEDaS1L_S1M_EUlS1L_E_NS1_11comp_targetILNS1_3genE0ELNS1_11target_archE4294967295ELNS1_3gpuE0ELNS1_3repE0EEENS1_30default_config_static_selectorELNS0_4arch9wavefront6targetE0EEEvSZ_.uses_vcc, 0
	.set _ZN7rocprim17ROCPRIM_400000_NS6detail17trampoline_kernelINS0_13select_configILj256ELj13ELNS0_17block_load_methodE3ELS4_3ELS4_3ELNS0_20block_scan_algorithmE0ELj4294967295EEENS1_25partition_config_selectorILNS1_17partition_subalgoE3EjNS0_10empty_typeEbEEZZNS1_14partition_implILS8_3ELb0ES6_jNS0_17counting_iteratorIjlEEPS9_SE_NS0_5tupleIJPjSE_EEENSF_IJSE_SE_EEES9_SG_JZNS1_25segmented_radix_sort_implINS0_14default_configELb0EPK6__halfPSL_PKlPlN2at6native12_GLOBAL__N_18offset_tEEE10hipError_tPvRmT1_PNSt15iterator_traitsISZ_E10value_typeET2_T3_PNS10_IS15_E10value_typeET4_jRbjT5_S1B_jjP12ihipStream_tbEUljE_EEESW_SX_SY_S15_S19_S1B_T6_T7_T9_mT8_S1D_bDpT10_ENKUlT_T0_E_clISt17integral_constantIbLb1EES1Q_EEDaS1L_S1M_EUlS1L_E_NS1_11comp_targetILNS1_3genE0ELNS1_11target_archE4294967295ELNS1_3gpuE0ELNS1_3repE0EEENS1_30default_config_static_selectorELNS0_4arch9wavefront6targetE0EEEvSZ_.uses_flat_scratch, 0
	.set _ZN7rocprim17ROCPRIM_400000_NS6detail17trampoline_kernelINS0_13select_configILj256ELj13ELNS0_17block_load_methodE3ELS4_3ELS4_3ELNS0_20block_scan_algorithmE0ELj4294967295EEENS1_25partition_config_selectorILNS1_17partition_subalgoE3EjNS0_10empty_typeEbEEZZNS1_14partition_implILS8_3ELb0ES6_jNS0_17counting_iteratorIjlEEPS9_SE_NS0_5tupleIJPjSE_EEENSF_IJSE_SE_EEES9_SG_JZNS1_25segmented_radix_sort_implINS0_14default_configELb0EPK6__halfPSL_PKlPlN2at6native12_GLOBAL__N_18offset_tEEE10hipError_tPvRmT1_PNSt15iterator_traitsISZ_E10value_typeET2_T3_PNS10_IS15_E10value_typeET4_jRbjT5_S1B_jjP12ihipStream_tbEUljE_EEESW_SX_SY_S15_S19_S1B_T6_T7_T9_mT8_S1D_bDpT10_ENKUlT_T0_E_clISt17integral_constantIbLb1EES1Q_EEDaS1L_S1M_EUlS1L_E_NS1_11comp_targetILNS1_3genE0ELNS1_11target_archE4294967295ELNS1_3gpuE0ELNS1_3repE0EEENS1_30default_config_static_selectorELNS0_4arch9wavefront6targetE0EEEvSZ_.has_dyn_sized_stack, 0
	.set _ZN7rocprim17ROCPRIM_400000_NS6detail17trampoline_kernelINS0_13select_configILj256ELj13ELNS0_17block_load_methodE3ELS4_3ELS4_3ELNS0_20block_scan_algorithmE0ELj4294967295EEENS1_25partition_config_selectorILNS1_17partition_subalgoE3EjNS0_10empty_typeEbEEZZNS1_14partition_implILS8_3ELb0ES6_jNS0_17counting_iteratorIjlEEPS9_SE_NS0_5tupleIJPjSE_EEENSF_IJSE_SE_EEES9_SG_JZNS1_25segmented_radix_sort_implINS0_14default_configELb0EPK6__halfPSL_PKlPlN2at6native12_GLOBAL__N_18offset_tEEE10hipError_tPvRmT1_PNSt15iterator_traitsISZ_E10value_typeET2_T3_PNS10_IS15_E10value_typeET4_jRbjT5_S1B_jjP12ihipStream_tbEUljE_EEESW_SX_SY_S15_S19_S1B_T6_T7_T9_mT8_S1D_bDpT10_ENKUlT_T0_E_clISt17integral_constantIbLb1EES1Q_EEDaS1L_S1M_EUlS1L_E_NS1_11comp_targetILNS1_3genE0ELNS1_11target_archE4294967295ELNS1_3gpuE0ELNS1_3repE0EEENS1_30default_config_static_selectorELNS0_4arch9wavefront6targetE0EEEvSZ_.has_recursion, 0
	.set _ZN7rocprim17ROCPRIM_400000_NS6detail17trampoline_kernelINS0_13select_configILj256ELj13ELNS0_17block_load_methodE3ELS4_3ELS4_3ELNS0_20block_scan_algorithmE0ELj4294967295EEENS1_25partition_config_selectorILNS1_17partition_subalgoE3EjNS0_10empty_typeEbEEZZNS1_14partition_implILS8_3ELb0ES6_jNS0_17counting_iteratorIjlEEPS9_SE_NS0_5tupleIJPjSE_EEENSF_IJSE_SE_EEES9_SG_JZNS1_25segmented_radix_sort_implINS0_14default_configELb0EPK6__halfPSL_PKlPlN2at6native12_GLOBAL__N_18offset_tEEE10hipError_tPvRmT1_PNSt15iterator_traitsISZ_E10value_typeET2_T3_PNS10_IS15_E10value_typeET4_jRbjT5_S1B_jjP12ihipStream_tbEUljE_EEESW_SX_SY_S15_S19_S1B_T6_T7_T9_mT8_S1D_bDpT10_ENKUlT_T0_E_clISt17integral_constantIbLb1EES1Q_EEDaS1L_S1M_EUlS1L_E_NS1_11comp_targetILNS1_3genE0ELNS1_11target_archE4294967295ELNS1_3gpuE0ELNS1_3repE0EEENS1_30default_config_static_selectorELNS0_4arch9wavefront6targetE0EEEvSZ_.has_indirect_call, 0
	.section	.AMDGPU.csdata,"",@progbits
; Kernel info:
; codeLenInByte = 4
; TotalNumSgprs: 0
; NumVgprs: 0
; ScratchSize: 0
; MemoryBound: 0
; FloatMode: 240
; IeeeMode: 1
; LDSByteSize: 0 bytes/workgroup (compile time only)
; SGPRBlocks: 0
; VGPRBlocks: 0
; NumSGPRsForWavesPerEU: 1
; NumVGPRsForWavesPerEU: 1
; NamedBarCnt: 0
; Occupancy: 16
; WaveLimiterHint : 0
; COMPUTE_PGM_RSRC2:SCRATCH_EN: 0
; COMPUTE_PGM_RSRC2:USER_SGPR: 2
; COMPUTE_PGM_RSRC2:TRAP_HANDLER: 0
; COMPUTE_PGM_RSRC2:TGID_X_EN: 1
; COMPUTE_PGM_RSRC2:TGID_Y_EN: 0
; COMPUTE_PGM_RSRC2:TGID_Z_EN: 0
; COMPUTE_PGM_RSRC2:TIDIG_COMP_CNT: 0
	.section	.text._ZN7rocprim17ROCPRIM_400000_NS6detail17trampoline_kernelINS0_13select_configILj256ELj13ELNS0_17block_load_methodE3ELS4_3ELS4_3ELNS0_20block_scan_algorithmE0ELj4294967295EEENS1_25partition_config_selectorILNS1_17partition_subalgoE3EjNS0_10empty_typeEbEEZZNS1_14partition_implILS8_3ELb0ES6_jNS0_17counting_iteratorIjlEEPS9_SE_NS0_5tupleIJPjSE_EEENSF_IJSE_SE_EEES9_SG_JZNS1_25segmented_radix_sort_implINS0_14default_configELb0EPK6__halfPSL_PKlPlN2at6native12_GLOBAL__N_18offset_tEEE10hipError_tPvRmT1_PNSt15iterator_traitsISZ_E10value_typeET2_T3_PNS10_IS15_E10value_typeET4_jRbjT5_S1B_jjP12ihipStream_tbEUljE_EEESW_SX_SY_S15_S19_S1B_T6_T7_T9_mT8_S1D_bDpT10_ENKUlT_T0_E_clISt17integral_constantIbLb1EES1Q_EEDaS1L_S1M_EUlS1L_E_NS1_11comp_targetILNS1_3genE5ELNS1_11target_archE942ELNS1_3gpuE9ELNS1_3repE0EEENS1_30default_config_static_selectorELNS0_4arch9wavefront6targetE0EEEvSZ_,"axG",@progbits,_ZN7rocprim17ROCPRIM_400000_NS6detail17trampoline_kernelINS0_13select_configILj256ELj13ELNS0_17block_load_methodE3ELS4_3ELS4_3ELNS0_20block_scan_algorithmE0ELj4294967295EEENS1_25partition_config_selectorILNS1_17partition_subalgoE3EjNS0_10empty_typeEbEEZZNS1_14partition_implILS8_3ELb0ES6_jNS0_17counting_iteratorIjlEEPS9_SE_NS0_5tupleIJPjSE_EEENSF_IJSE_SE_EEES9_SG_JZNS1_25segmented_radix_sort_implINS0_14default_configELb0EPK6__halfPSL_PKlPlN2at6native12_GLOBAL__N_18offset_tEEE10hipError_tPvRmT1_PNSt15iterator_traitsISZ_E10value_typeET2_T3_PNS10_IS15_E10value_typeET4_jRbjT5_S1B_jjP12ihipStream_tbEUljE_EEESW_SX_SY_S15_S19_S1B_T6_T7_T9_mT8_S1D_bDpT10_ENKUlT_T0_E_clISt17integral_constantIbLb1EES1Q_EEDaS1L_S1M_EUlS1L_E_NS1_11comp_targetILNS1_3genE5ELNS1_11target_archE942ELNS1_3gpuE9ELNS1_3repE0EEENS1_30default_config_static_selectorELNS0_4arch9wavefront6targetE0EEEvSZ_,comdat
	.globl	_ZN7rocprim17ROCPRIM_400000_NS6detail17trampoline_kernelINS0_13select_configILj256ELj13ELNS0_17block_load_methodE3ELS4_3ELS4_3ELNS0_20block_scan_algorithmE0ELj4294967295EEENS1_25partition_config_selectorILNS1_17partition_subalgoE3EjNS0_10empty_typeEbEEZZNS1_14partition_implILS8_3ELb0ES6_jNS0_17counting_iteratorIjlEEPS9_SE_NS0_5tupleIJPjSE_EEENSF_IJSE_SE_EEES9_SG_JZNS1_25segmented_radix_sort_implINS0_14default_configELb0EPK6__halfPSL_PKlPlN2at6native12_GLOBAL__N_18offset_tEEE10hipError_tPvRmT1_PNSt15iterator_traitsISZ_E10value_typeET2_T3_PNS10_IS15_E10value_typeET4_jRbjT5_S1B_jjP12ihipStream_tbEUljE_EEESW_SX_SY_S15_S19_S1B_T6_T7_T9_mT8_S1D_bDpT10_ENKUlT_T0_E_clISt17integral_constantIbLb1EES1Q_EEDaS1L_S1M_EUlS1L_E_NS1_11comp_targetILNS1_3genE5ELNS1_11target_archE942ELNS1_3gpuE9ELNS1_3repE0EEENS1_30default_config_static_selectorELNS0_4arch9wavefront6targetE0EEEvSZ_ ; -- Begin function _ZN7rocprim17ROCPRIM_400000_NS6detail17trampoline_kernelINS0_13select_configILj256ELj13ELNS0_17block_load_methodE3ELS4_3ELS4_3ELNS0_20block_scan_algorithmE0ELj4294967295EEENS1_25partition_config_selectorILNS1_17partition_subalgoE3EjNS0_10empty_typeEbEEZZNS1_14partition_implILS8_3ELb0ES6_jNS0_17counting_iteratorIjlEEPS9_SE_NS0_5tupleIJPjSE_EEENSF_IJSE_SE_EEES9_SG_JZNS1_25segmented_radix_sort_implINS0_14default_configELb0EPK6__halfPSL_PKlPlN2at6native12_GLOBAL__N_18offset_tEEE10hipError_tPvRmT1_PNSt15iterator_traitsISZ_E10value_typeET2_T3_PNS10_IS15_E10value_typeET4_jRbjT5_S1B_jjP12ihipStream_tbEUljE_EEESW_SX_SY_S15_S19_S1B_T6_T7_T9_mT8_S1D_bDpT10_ENKUlT_T0_E_clISt17integral_constantIbLb1EES1Q_EEDaS1L_S1M_EUlS1L_E_NS1_11comp_targetILNS1_3genE5ELNS1_11target_archE942ELNS1_3gpuE9ELNS1_3repE0EEENS1_30default_config_static_selectorELNS0_4arch9wavefront6targetE0EEEvSZ_
	.p2align	8
	.type	_ZN7rocprim17ROCPRIM_400000_NS6detail17trampoline_kernelINS0_13select_configILj256ELj13ELNS0_17block_load_methodE3ELS4_3ELS4_3ELNS0_20block_scan_algorithmE0ELj4294967295EEENS1_25partition_config_selectorILNS1_17partition_subalgoE3EjNS0_10empty_typeEbEEZZNS1_14partition_implILS8_3ELb0ES6_jNS0_17counting_iteratorIjlEEPS9_SE_NS0_5tupleIJPjSE_EEENSF_IJSE_SE_EEES9_SG_JZNS1_25segmented_radix_sort_implINS0_14default_configELb0EPK6__halfPSL_PKlPlN2at6native12_GLOBAL__N_18offset_tEEE10hipError_tPvRmT1_PNSt15iterator_traitsISZ_E10value_typeET2_T3_PNS10_IS15_E10value_typeET4_jRbjT5_S1B_jjP12ihipStream_tbEUljE_EEESW_SX_SY_S15_S19_S1B_T6_T7_T9_mT8_S1D_bDpT10_ENKUlT_T0_E_clISt17integral_constantIbLb1EES1Q_EEDaS1L_S1M_EUlS1L_E_NS1_11comp_targetILNS1_3genE5ELNS1_11target_archE942ELNS1_3gpuE9ELNS1_3repE0EEENS1_30default_config_static_selectorELNS0_4arch9wavefront6targetE0EEEvSZ_,@function
_ZN7rocprim17ROCPRIM_400000_NS6detail17trampoline_kernelINS0_13select_configILj256ELj13ELNS0_17block_load_methodE3ELS4_3ELS4_3ELNS0_20block_scan_algorithmE0ELj4294967295EEENS1_25partition_config_selectorILNS1_17partition_subalgoE3EjNS0_10empty_typeEbEEZZNS1_14partition_implILS8_3ELb0ES6_jNS0_17counting_iteratorIjlEEPS9_SE_NS0_5tupleIJPjSE_EEENSF_IJSE_SE_EEES9_SG_JZNS1_25segmented_radix_sort_implINS0_14default_configELb0EPK6__halfPSL_PKlPlN2at6native12_GLOBAL__N_18offset_tEEE10hipError_tPvRmT1_PNSt15iterator_traitsISZ_E10value_typeET2_T3_PNS10_IS15_E10value_typeET4_jRbjT5_S1B_jjP12ihipStream_tbEUljE_EEESW_SX_SY_S15_S19_S1B_T6_T7_T9_mT8_S1D_bDpT10_ENKUlT_T0_E_clISt17integral_constantIbLb1EES1Q_EEDaS1L_S1M_EUlS1L_E_NS1_11comp_targetILNS1_3genE5ELNS1_11target_archE942ELNS1_3gpuE9ELNS1_3repE0EEENS1_30default_config_static_selectorELNS0_4arch9wavefront6targetE0EEEvSZ_: ; @_ZN7rocprim17ROCPRIM_400000_NS6detail17trampoline_kernelINS0_13select_configILj256ELj13ELNS0_17block_load_methodE3ELS4_3ELS4_3ELNS0_20block_scan_algorithmE0ELj4294967295EEENS1_25partition_config_selectorILNS1_17partition_subalgoE3EjNS0_10empty_typeEbEEZZNS1_14partition_implILS8_3ELb0ES6_jNS0_17counting_iteratorIjlEEPS9_SE_NS0_5tupleIJPjSE_EEENSF_IJSE_SE_EEES9_SG_JZNS1_25segmented_radix_sort_implINS0_14default_configELb0EPK6__halfPSL_PKlPlN2at6native12_GLOBAL__N_18offset_tEEE10hipError_tPvRmT1_PNSt15iterator_traitsISZ_E10value_typeET2_T3_PNS10_IS15_E10value_typeET4_jRbjT5_S1B_jjP12ihipStream_tbEUljE_EEESW_SX_SY_S15_S19_S1B_T6_T7_T9_mT8_S1D_bDpT10_ENKUlT_T0_E_clISt17integral_constantIbLb1EES1Q_EEDaS1L_S1M_EUlS1L_E_NS1_11comp_targetILNS1_3genE5ELNS1_11target_archE942ELNS1_3gpuE9ELNS1_3repE0EEENS1_30default_config_static_selectorELNS0_4arch9wavefront6targetE0EEEvSZ_
; %bb.0:
	.section	.rodata,"a",@progbits
	.p2align	6, 0x0
	.amdhsa_kernel _ZN7rocprim17ROCPRIM_400000_NS6detail17trampoline_kernelINS0_13select_configILj256ELj13ELNS0_17block_load_methodE3ELS4_3ELS4_3ELNS0_20block_scan_algorithmE0ELj4294967295EEENS1_25partition_config_selectorILNS1_17partition_subalgoE3EjNS0_10empty_typeEbEEZZNS1_14partition_implILS8_3ELb0ES6_jNS0_17counting_iteratorIjlEEPS9_SE_NS0_5tupleIJPjSE_EEENSF_IJSE_SE_EEES9_SG_JZNS1_25segmented_radix_sort_implINS0_14default_configELb0EPK6__halfPSL_PKlPlN2at6native12_GLOBAL__N_18offset_tEEE10hipError_tPvRmT1_PNSt15iterator_traitsISZ_E10value_typeET2_T3_PNS10_IS15_E10value_typeET4_jRbjT5_S1B_jjP12ihipStream_tbEUljE_EEESW_SX_SY_S15_S19_S1B_T6_T7_T9_mT8_S1D_bDpT10_ENKUlT_T0_E_clISt17integral_constantIbLb1EES1Q_EEDaS1L_S1M_EUlS1L_E_NS1_11comp_targetILNS1_3genE5ELNS1_11target_archE942ELNS1_3gpuE9ELNS1_3repE0EEENS1_30default_config_static_selectorELNS0_4arch9wavefront6targetE0EEEvSZ_
		.amdhsa_group_segment_fixed_size 0
		.amdhsa_private_segment_fixed_size 0
		.amdhsa_kernarg_size 152
		.amdhsa_user_sgpr_count 2
		.amdhsa_user_sgpr_dispatch_ptr 0
		.amdhsa_user_sgpr_queue_ptr 0
		.amdhsa_user_sgpr_kernarg_segment_ptr 1
		.amdhsa_user_sgpr_dispatch_id 0
		.amdhsa_user_sgpr_kernarg_preload_length 0
		.amdhsa_user_sgpr_kernarg_preload_offset 0
		.amdhsa_user_sgpr_private_segment_size 0
		.amdhsa_wavefront_size32 1
		.amdhsa_uses_dynamic_stack 0
		.amdhsa_enable_private_segment 0
		.amdhsa_system_sgpr_workgroup_id_x 1
		.amdhsa_system_sgpr_workgroup_id_y 0
		.amdhsa_system_sgpr_workgroup_id_z 0
		.amdhsa_system_sgpr_workgroup_info 0
		.amdhsa_system_vgpr_workitem_id 0
		.amdhsa_next_free_vgpr 1
		.amdhsa_next_free_sgpr 1
		.amdhsa_named_barrier_count 0
		.amdhsa_reserve_vcc 0
		.amdhsa_float_round_mode_32 0
		.amdhsa_float_round_mode_16_64 0
		.amdhsa_float_denorm_mode_32 3
		.amdhsa_float_denorm_mode_16_64 3
		.amdhsa_fp16_overflow 0
		.amdhsa_memory_ordered 1
		.amdhsa_forward_progress 1
		.amdhsa_inst_pref_size 0
		.amdhsa_round_robin_scheduling 0
		.amdhsa_exception_fp_ieee_invalid_op 0
		.amdhsa_exception_fp_denorm_src 0
		.amdhsa_exception_fp_ieee_div_zero 0
		.amdhsa_exception_fp_ieee_overflow 0
		.amdhsa_exception_fp_ieee_underflow 0
		.amdhsa_exception_fp_ieee_inexact 0
		.amdhsa_exception_int_div_zero 0
	.end_amdhsa_kernel
	.section	.text._ZN7rocprim17ROCPRIM_400000_NS6detail17trampoline_kernelINS0_13select_configILj256ELj13ELNS0_17block_load_methodE3ELS4_3ELS4_3ELNS0_20block_scan_algorithmE0ELj4294967295EEENS1_25partition_config_selectorILNS1_17partition_subalgoE3EjNS0_10empty_typeEbEEZZNS1_14partition_implILS8_3ELb0ES6_jNS0_17counting_iteratorIjlEEPS9_SE_NS0_5tupleIJPjSE_EEENSF_IJSE_SE_EEES9_SG_JZNS1_25segmented_radix_sort_implINS0_14default_configELb0EPK6__halfPSL_PKlPlN2at6native12_GLOBAL__N_18offset_tEEE10hipError_tPvRmT1_PNSt15iterator_traitsISZ_E10value_typeET2_T3_PNS10_IS15_E10value_typeET4_jRbjT5_S1B_jjP12ihipStream_tbEUljE_EEESW_SX_SY_S15_S19_S1B_T6_T7_T9_mT8_S1D_bDpT10_ENKUlT_T0_E_clISt17integral_constantIbLb1EES1Q_EEDaS1L_S1M_EUlS1L_E_NS1_11comp_targetILNS1_3genE5ELNS1_11target_archE942ELNS1_3gpuE9ELNS1_3repE0EEENS1_30default_config_static_selectorELNS0_4arch9wavefront6targetE0EEEvSZ_,"axG",@progbits,_ZN7rocprim17ROCPRIM_400000_NS6detail17trampoline_kernelINS0_13select_configILj256ELj13ELNS0_17block_load_methodE3ELS4_3ELS4_3ELNS0_20block_scan_algorithmE0ELj4294967295EEENS1_25partition_config_selectorILNS1_17partition_subalgoE3EjNS0_10empty_typeEbEEZZNS1_14partition_implILS8_3ELb0ES6_jNS0_17counting_iteratorIjlEEPS9_SE_NS0_5tupleIJPjSE_EEENSF_IJSE_SE_EEES9_SG_JZNS1_25segmented_radix_sort_implINS0_14default_configELb0EPK6__halfPSL_PKlPlN2at6native12_GLOBAL__N_18offset_tEEE10hipError_tPvRmT1_PNSt15iterator_traitsISZ_E10value_typeET2_T3_PNS10_IS15_E10value_typeET4_jRbjT5_S1B_jjP12ihipStream_tbEUljE_EEESW_SX_SY_S15_S19_S1B_T6_T7_T9_mT8_S1D_bDpT10_ENKUlT_T0_E_clISt17integral_constantIbLb1EES1Q_EEDaS1L_S1M_EUlS1L_E_NS1_11comp_targetILNS1_3genE5ELNS1_11target_archE942ELNS1_3gpuE9ELNS1_3repE0EEENS1_30default_config_static_selectorELNS0_4arch9wavefront6targetE0EEEvSZ_,comdat
.Lfunc_end1809:
	.size	_ZN7rocprim17ROCPRIM_400000_NS6detail17trampoline_kernelINS0_13select_configILj256ELj13ELNS0_17block_load_methodE3ELS4_3ELS4_3ELNS0_20block_scan_algorithmE0ELj4294967295EEENS1_25partition_config_selectorILNS1_17partition_subalgoE3EjNS0_10empty_typeEbEEZZNS1_14partition_implILS8_3ELb0ES6_jNS0_17counting_iteratorIjlEEPS9_SE_NS0_5tupleIJPjSE_EEENSF_IJSE_SE_EEES9_SG_JZNS1_25segmented_radix_sort_implINS0_14default_configELb0EPK6__halfPSL_PKlPlN2at6native12_GLOBAL__N_18offset_tEEE10hipError_tPvRmT1_PNSt15iterator_traitsISZ_E10value_typeET2_T3_PNS10_IS15_E10value_typeET4_jRbjT5_S1B_jjP12ihipStream_tbEUljE_EEESW_SX_SY_S15_S19_S1B_T6_T7_T9_mT8_S1D_bDpT10_ENKUlT_T0_E_clISt17integral_constantIbLb1EES1Q_EEDaS1L_S1M_EUlS1L_E_NS1_11comp_targetILNS1_3genE5ELNS1_11target_archE942ELNS1_3gpuE9ELNS1_3repE0EEENS1_30default_config_static_selectorELNS0_4arch9wavefront6targetE0EEEvSZ_, .Lfunc_end1809-_ZN7rocprim17ROCPRIM_400000_NS6detail17trampoline_kernelINS0_13select_configILj256ELj13ELNS0_17block_load_methodE3ELS4_3ELS4_3ELNS0_20block_scan_algorithmE0ELj4294967295EEENS1_25partition_config_selectorILNS1_17partition_subalgoE3EjNS0_10empty_typeEbEEZZNS1_14partition_implILS8_3ELb0ES6_jNS0_17counting_iteratorIjlEEPS9_SE_NS0_5tupleIJPjSE_EEENSF_IJSE_SE_EEES9_SG_JZNS1_25segmented_radix_sort_implINS0_14default_configELb0EPK6__halfPSL_PKlPlN2at6native12_GLOBAL__N_18offset_tEEE10hipError_tPvRmT1_PNSt15iterator_traitsISZ_E10value_typeET2_T3_PNS10_IS15_E10value_typeET4_jRbjT5_S1B_jjP12ihipStream_tbEUljE_EEESW_SX_SY_S15_S19_S1B_T6_T7_T9_mT8_S1D_bDpT10_ENKUlT_T0_E_clISt17integral_constantIbLb1EES1Q_EEDaS1L_S1M_EUlS1L_E_NS1_11comp_targetILNS1_3genE5ELNS1_11target_archE942ELNS1_3gpuE9ELNS1_3repE0EEENS1_30default_config_static_selectorELNS0_4arch9wavefront6targetE0EEEvSZ_
                                        ; -- End function
	.set _ZN7rocprim17ROCPRIM_400000_NS6detail17trampoline_kernelINS0_13select_configILj256ELj13ELNS0_17block_load_methodE3ELS4_3ELS4_3ELNS0_20block_scan_algorithmE0ELj4294967295EEENS1_25partition_config_selectorILNS1_17partition_subalgoE3EjNS0_10empty_typeEbEEZZNS1_14partition_implILS8_3ELb0ES6_jNS0_17counting_iteratorIjlEEPS9_SE_NS0_5tupleIJPjSE_EEENSF_IJSE_SE_EEES9_SG_JZNS1_25segmented_radix_sort_implINS0_14default_configELb0EPK6__halfPSL_PKlPlN2at6native12_GLOBAL__N_18offset_tEEE10hipError_tPvRmT1_PNSt15iterator_traitsISZ_E10value_typeET2_T3_PNS10_IS15_E10value_typeET4_jRbjT5_S1B_jjP12ihipStream_tbEUljE_EEESW_SX_SY_S15_S19_S1B_T6_T7_T9_mT8_S1D_bDpT10_ENKUlT_T0_E_clISt17integral_constantIbLb1EES1Q_EEDaS1L_S1M_EUlS1L_E_NS1_11comp_targetILNS1_3genE5ELNS1_11target_archE942ELNS1_3gpuE9ELNS1_3repE0EEENS1_30default_config_static_selectorELNS0_4arch9wavefront6targetE0EEEvSZ_.num_vgpr, 0
	.set _ZN7rocprim17ROCPRIM_400000_NS6detail17trampoline_kernelINS0_13select_configILj256ELj13ELNS0_17block_load_methodE3ELS4_3ELS4_3ELNS0_20block_scan_algorithmE0ELj4294967295EEENS1_25partition_config_selectorILNS1_17partition_subalgoE3EjNS0_10empty_typeEbEEZZNS1_14partition_implILS8_3ELb0ES6_jNS0_17counting_iteratorIjlEEPS9_SE_NS0_5tupleIJPjSE_EEENSF_IJSE_SE_EEES9_SG_JZNS1_25segmented_radix_sort_implINS0_14default_configELb0EPK6__halfPSL_PKlPlN2at6native12_GLOBAL__N_18offset_tEEE10hipError_tPvRmT1_PNSt15iterator_traitsISZ_E10value_typeET2_T3_PNS10_IS15_E10value_typeET4_jRbjT5_S1B_jjP12ihipStream_tbEUljE_EEESW_SX_SY_S15_S19_S1B_T6_T7_T9_mT8_S1D_bDpT10_ENKUlT_T0_E_clISt17integral_constantIbLb1EES1Q_EEDaS1L_S1M_EUlS1L_E_NS1_11comp_targetILNS1_3genE5ELNS1_11target_archE942ELNS1_3gpuE9ELNS1_3repE0EEENS1_30default_config_static_selectorELNS0_4arch9wavefront6targetE0EEEvSZ_.num_agpr, 0
	.set _ZN7rocprim17ROCPRIM_400000_NS6detail17trampoline_kernelINS0_13select_configILj256ELj13ELNS0_17block_load_methodE3ELS4_3ELS4_3ELNS0_20block_scan_algorithmE0ELj4294967295EEENS1_25partition_config_selectorILNS1_17partition_subalgoE3EjNS0_10empty_typeEbEEZZNS1_14partition_implILS8_3ELb0ES6_jNS0_17counting_iteratorIjlEEPS9_SE_NS0_5tupleIJPjSE_EEENSF_IJSE_SE_EEES9_SG_JZNS1_25segmented_radix_sort_implINS0_14default_configELb0EPK6__halfPSL_PKlPlN2at6native12_GLOBAL__N_18offset_tEEE10hipError_tPvRmT1_PNSt15iterator_traitsISZ_E10value_typeET2_T3_PNS10_IS15_E10value_typeET4_jRbjT5_S1B_jjP12ihipStream_tbEUljE_EEESW_SX_SY_S15_S19_S1B_T6_T7_T9_mT8_S1D_bDpT10_ENKUlT_T0_E_clISt17integral_constantIbLb1EES1Q_EEDaS1L_S1M_EUlS1L_E_NS1_11comp_targetILNS1_3genE5ELNS1_11target_archE942ELNS1_3gpuE9ELNS1_3repE0EEENS1_30default_config_static_selectorELNS0_4arch9wavefront6targetE0EEEvSZ_.numbered_sgpr, 0
	.set _ZN7rocprim17ROCPRIM_400000_NS6detail17trampoline_kernelINS0_13select_configILj256ELj13ELNS0_17block_load_methodE3ELS4_3ELS4_3ELNS0_20block_scan_algorithmE0ELj4294967295EEENS1_25partition_config_selectorILNS1_17partition_subalgoE3EjNS0_10empty_typeEbEEZZNS1_14partition_implILS8_3ELb0ES6_jNS0_17counting_iteratorIjlEEPS9_SE_NS0_5tupleIJPjSE_EEENSF_IJSE_SE_EEES9_SG_JZNS1_25segmented_radix_sort_implINS0_14default_configELb0EPK6__halfPSL_PKlPlN2at6native12_GLOBAL__N_18offset_tEEE10hipError_tPvRmT1_PNSt15iterator_traitsISZ_E10value_typeET2_T3_PNS10_IS15_E10value_typeET4_jRbjT5_S1B_jjP12ihipStream_tbEUljE_EEESW_SX_SY_S15_S19_S1B_T6_T7_T9_mT8_S1D_bDpT10_ENKUlT_T0_E_clISt17integral_constantIbLb1EES1Q_EEDaS1L_S1M_EUlS1L_E_NS1_11comp_targetILNS1_3genE5ELNS1_11target_archE942ELNS1_3gpuE9ELNS1_3repE0EEENS1_30default_config_static_selectorELNS0_4arch9wavefront6targetE0EEEvSZ_.num_named_barrier, 0
	.set _ZN7rocprim17ROCPRIM_400000_NS6detail17trampoline_kernelINS0_13select_configILj256ELj13ELNS0_17block_load_methodE3ELS4_3ELS4_3ELNS0_20block_scan_algorithmE0ELj4294967295EEENS1_25partition_config_selectorILNS1_17partition_subalgoE3EjNS0_10empty_typeEbEEZZNS1_14partition_implILS8_3ELb0ES6_jNS0_17counting_iteratorIjlEEPS9_SE_NS0_5tupleIJPjSE_EEENSF_IJSE_SE_EEES9_SG_JZNS1_25segmented_radix_sort_implINS0_14default_configELb0EPK6__halfPSL_PKlPlN2at6native12_GLOBAL__N_18offset_tEEE10hipError_tPvRmT1_PNSt15iterator_traitsISZ_E10value_typeET2_T3_PNS10_IS15_E10value_typeET4_jRbjT5_S1B_jjP12ihipStream_tbEUljE_EEESW_SX_SY_S15_S19_S1B_T6_T7_T9_mT8_S1D_bDpT10_ENKUlT_T0_E_clISt17integral_constantIbLb1EES1Q_EEDaS1L_S1M_EUlS1L_E_NS1_11comp_targetILNS1_3genE5ELNS1_11target_archE942ELNS1_3gpuE9ELNS1_3repE0EEENS1_30default_config_static_selectorELNS0_4arch9wavefront6targetE0EEEvSZ_.private_seg_size, 0
	.set _ZN7rocprim17ROCPRIM_400000_NS6detail17trampoline_kernelINS0_13select_configILj256ELj13ELNS0_17block_load_methodE3ELS4_3ELS4_3ELNS0_20block_scan_algorithmE0ELj4294967295EEENS1_25partition_config_selectorILNS1_17partition_subalgoE3EjNS0_10empty_typeEbEEZZNS1_14partition_implILS8_3ELb0ES6_jNS0_17counting_iteratorIjlEEPS9_SE_NS0_5tupleIJPjSE_EEENSF_IJSE_SE_EEES9_SG_JZNS1_25segmented_radix_sort_implINS0_14default_configELb0EPK6__halfPSL_PKlPlN2at6native12_GLOBAL__N_18offset_tEEE10hipError_tPvRmT1_PNSt15iterator_traitsISZ_E10value_typeET2_T3_PNS10_IS15_E10value_typeET4_jRbjT5_S1B_jjP12ihipStream_tbEUljE_EEESW_SX_SY_S15_S19_S1B_T6_T7_T9_mT8_S1D_bDpT10_ENKUlT_T0_E_clISt17integral_constantIbLb1EES1Q_EEDaS1L_S1M_EUlS1L_E_NS1_11comp_targetILNS1_3genE5ELNS1_11target_archE942ELNS1_3gpuE9ELNS1_3repE0EEENS1_30default_config_static_selectorELNS0_4arch9wavefront6targetE0EEEvSZ_.uses_vcc, 0
	.set _ZN7rocprim17ROCPRIM_400000_NS6detail17trampoline_kernelINS0_13select_configILj256ELj13ELNS0_17block_load_methodE3ELS4_3ELS4_3ELNS0_20block_scan_algorithmE0ELj4294967295EEENS1_25partition_config_selectorILNS1_17partition_subalgoE3EjNS0_10empty_typeEbEEZZNS1_14partition_implILS8_3ELb0ES6_jNS0_17counting_iteratorIjlEEPS9_SE_NS0_5tupleIJPjSE_EEENSF_IJSE_SE_EEES9_SG_JZNS1_25segmented_radix_sort_implINS0_14default_configELb0EPK6__halfPSL_PKlPlN2at6native12_GLOBAL__N_18offset_tEEE10hipError_tPvRmT1_PNSt15iterator_traitsISZ_E10value_typeET2_T3_PNS10_IS15_E10value_typeET4_jRbjT5_S1B_jjP12ihipStream_tbEUljE_EEESW_SX_SY_S15_S19_S1B_T6_T7_T9_mT8_S1D_bDpT10_ENKUlT_T0_E_clISt17integral_constantIbLb1EES1Q_EEDaS1L_S1M_EUlS1L_E_NS1_11comp_targetILNS1_3genE5ELNS1_11target_archE942ELNS1_3gpuE9ELNS1_3repE0EEENS1_30default_config_static_selectorELNS0_4arch9wavefront6targetE0EEEvSZ_.uses_flat_scratch, 0
	.set _ZN7rocprim17ROCPRIM_400000_NS6detail17trampoline_kernelINS0_13select_configILj256ELj13ELNS0_17block_load_methodE3ELS4_3ELS4_3ELNS0_20block_scan_algorithmE0ELj4294967295EEENS1_25partition_config_selectorILNS1_17partition_subalgoE3EjNS0_10empty_typeEbEEZZNS1_14partition_implILS8_3ELb0ES6_jNS0_17counting_iteratorIjlEEPS9_SE_NS0_5tupleIJPjSE_EEENSF_IJSE_SE_EEES9_SG_JZNS1_25segmented_radix_sort_implINS0_14default_configELb0EPK6__halfPSL_PKlPlN2at6native12_GLOBAL__N_18offset_tEEE10hipError_tPvRmT1_PNSt15iterator_traitsISZ_E10value_typeET2_T3_PNS10_IS15_E10value_typeET4_jRbjT5_S1B_jjP12ihipStream_tbEUljE_EEESW_SX_SY_S15_S19_S1B_T6_T7_T9_mT8_S1D_bDpT10_ENKUlT_T0_E_clISt17integral_constantIbLb1EES1Q_EEDaS1L_S1M_EUlS1L_E_NS1_11comp_targetILNS1_3genE5ELNS1_11target_archE942ELNS1_3gpuE9ELNS1_3repE0EEENS1_30default_config_static_selectorELNS0_4arch9wavefront6targetE0EEEvSZ_.has_dyn_sized_stack, 0
	.set _ZN7rocprim17ROCPRIM_400000_NS6detail17trampoline_kernelINS0_13select_configILj256ELj13ELNS0_17block_load_methodE3ELS4_3ELS4_3ELNS0_20block_scan_algorithmE0ELj4294967295EEENS1_25partition_config_selectorILNS1_17partition_subalgoE3EjNS0_10empty_typeEbEEZZNS1_14partition_implILS8_3ELb0ES6_jNS0_17counting_iteratorIjlEEPS9_SE_NS0_5tupleIJPjSE_EEENSF_IJSE_SE_EEES9_SG_JZNS1_25segmented_radix_sort_implINS0_14default_configELb0EPK6__halfPSL_PKlPlN2at6native12_GLOBAL__N_18offset_tEEE10hipError_tPvRmT1_PNSt15iterator_traitsISZ_E10value_typeET2_T3_PNS10_IS15_E10value_typeET4_jRbjT5_S1B_jjP12ihipStream_tbEUljE_EEESW_SX_SY_S15_S19_S1B_T6_T7_T9_mT8_S1D_bDpT10_ENKUlT_T0_E_clISt17integral_constantIbLb1EES1Q_EEDaS1L_S1M_EUlS1L_E_NS1_11comp_targetILNS1_3genE5ELNS1_11target_archE942ELNS1_3gpuE9ELNS1_3repE0EEENS1_30default_config_static_selectorELNS0_4arch9wavefront6targetE0EEEvSZ_.has_recursion, 0
	.set _ZN7rocprim17ROCPRIM_400000_NS6detail17trampoline_kernelINS0_13select_configILj256ELj13ELNS0_17block_load_methodE3ELS4_3ELS4_3ELNS0_20block_scan_algorithmE0ELj4294967295EEENS1_25partition_config_selectorILNS1_17partition_subalgoE3EjNS0_10empty_typeEbEEZZNS1_14partition_implILS8_3ELb0ES6_jNS0_17counting_iteratorIjlEEPS9_SE_NS0_5tupleIJPjSE_EEENSF_IJSE_SE_EEES9_SG_JZNS1_25segmented_radix_sort_implINS0_14default_configELb0EPK6__halfPSL_PKlPlN2at6native12_GLOBAL__N_18offset_tEEE10hipError_tPvRmT1_PNSt15iterator_traitsISZ_E10value_typeET2_T3_PNS10_IS15_E10value_typeET4_jRbjT5_S1B_jjP12ihipStream_tbEUljE_EEESW_SX_SY_S15_S19_S1B_T6_T7_T9_mT8_S1D_bDpT10_ENKUlT_T0_E_clISt17integral_constantIbLb1EES1Q_EEDaS1L_S1M_EUlS1L_E_NS1_11comp_targetILNS1_3genE5ELNS1_11target_archE942ELNS1_3gpuE9ELNS1_3repE0EEENS1_30default_config_static_selectorELNS0_4arch9wavefront6targetE0EEEvSZ_.has_indirect_call, 0
	.section	.AMDGPU.csdata,"",@progbits
; Kernel info:
; codeLenInByte = 0
; TotalNumSgprs: 0
; NumVgprs: 0
; ScratchSize: 0
; MemoryBound: 0
; FloatMode: 240
; IeeeMode: 1
; LDSByteSize: 0 bytes/workgroup (compile time only)
; SGPRBlocks: 0
; VGPRBlocks: 0
; NumSGPRsForWavesPerEU: 1
; NumVGPRsForWavesPerEU: 1
; NamedBarCnt: 0
; Occupancy: 16
; WaveLimiterHint : 0
; COMPUTE_PGM_RSRC2:SCRATCH_EN: 0
; COMPUTE_PGM_RSRC2:USER_SGPR: 2
; COMPUTE_PGM_RSRC2:TRAP_HANDLER: 0
; COMPUTE_PGM_RSRC2:TGID_X_EN: 1
; COMPUTE_PGM_RSRC2:TGID_Y_EN: 0
; COMPUTE_PGM_RSRC2:TGID_Z_EN: 0
; COMPUTE_PGM_RSRC2:TIDIG_COMP_CNT: 0
	.section	.text._ZN7rocprim17ROCPRIM_400000_NS6detail17trampoline_kernelINS0_13select_configILj256ELj13ELNS0_17block_load_methodE3ELS4_3ELS4_3ELNS0_20block_scan_algorithmE0ELj4294967295EEENS1_25partition_config_selectorILNS1_17partition_subalgoE3EjNS0_10empty_typeEbEEZZNS1_14partition_implILS8_3ELb0ES6_jNS0_17counting_iteratorIjlEEPS9_SE_NS0_5tupleIJPjSE_EEENSF_IJSE_SE_EEES9_SG_JZNS1_25segmented_radix_sort_implINS0_14default_configELb0EPK6__halfPSL_PKlPlN2at6native12_GLOBAL__N_18offset_tEEE10hipError_tPvRmT1_PNSt15iterator_traitsISZ_E10value_typeET2_T3_PNS10_IS15_E10value_typeET4_jRbjT5_S1B_jjP12ihipStream_tbEUljE_EEESW_SX_SY_S15_S19_S1B_T6_T7_T9_mT8_S1D_bDpT10_ENKUlT_T0_E_clISt17integral_constantIbLb1EES1Q_EEDaS1L_S1M_EUlS1L_E_NS1_11comp_targetILNS1_3genE4ELNS1_11target_archE910ELNS1_3gpuE8ELNS1_3repE0EEENS1_30default_config_static_selectorELNS0_4arch9wavefront6targetE0EEEvSZ_,"axG",@progbits,_ZN7rocprim17ROCPRIM_400000_NS6detail17trampoline_kernelINS0_13select_configILj256ELj13ELNS0_17block_load_methodE3ELS4_3ELS4_3ELNS0_20block_scan_algorithmE0ELj4294967295EEENS1_25partition_config_selectorILNS1_17partition_subalgoE3EjNS0_10empty_typeEbEEZZNS1_14partition_implILS8_3ELb0ES6_jNS0_17counting_iteratorIjlEEPS9_SE_NS0_5tupleIJPjSE_EEENSF_IJSE_SE_EEES9_SG_JZNS1_25segmented_radix_sort_implINS0_14default_configELb0EPK6__halfPSL_PKlPlN2at6native12_GLOBAL__N_18offset_tEEE10hipError_tPvRmT1_PNSt15iterator_traitsISZ_E10value_typeET2_T3_PNS10_IS15_E10value_typeET4_jRbjT5_S1B_jjP12ihipStream_tbEUljE_EEESW_SX_SY_S15_S19_S1B_T6_T7_T9_mT8_S1D_bDpT10_ENKUlT_T0_E_clISt17integral_constantIbLb1EES1Q_EEDaS1L_S1M_EUlS1L_E_NS1_11comp_targetILNS1_3genE4ELNS1_11target_archE910ELNS1_3gpuE8ELNS1_3repE0EEENS1_30default_config_static_selectorELNS0_4arch9wavefront6targetE0EEEvSZ_,comdat
	.globl	_ZN7rocprim17ROCPRIM_400000_NS6detail17trampoline_kernelINS0_13select_configILj256ELj13ELNS0_17block_load_methodE3ELS4_3ELS4_3ELNS0_20block_scan_algorithmE0ELj4294967295EEENS1_25partition_config_selectorILNS1_17partition_subalgoE3EjNS0_10empty_typeEbEEZZNS1_14partition_implILS8_3ELb0ES6_jNS0_17counting_iteratorIjlEEPS9_SE_NS0_5tupleIJPjSE_EEENSF_IJSE_SE_EEES9_SG_JZNS1_25segmented_radix_sort_implINS0_14default_configELb0EPK6__halfPSL_PKlPlN2at6native12_GLOBAL__N_18offset_tEEE10hipError_tPvRmT1_PNSt15iterator_traitsISZ_E10value_typeET2_T3_PNS10_IS15_E10value_typeET4_jRbjT5_S1B_jjP12ihipStream_tbEUljE_EEESW_SX_SY_S15_S19_S1B_T6_T7_T9_mT8_S1D_bDpT10_ENKUlT_T0_E_clISt17integral_constantIbLb1EES1Q_EEDaS1L_S1M_EUlS1L_E_NS1_11comp_targetILNS1_3genE4ELNS1_11target_archE910ELNS1_3gpuE8ELNS1_3repE0EEENS1_30default_config_static_selectorELNS0_4arch9wavefront6targetE0EEEvSZ_ ; -- Begin function _ZN7rocprim17ROCPRIM_400000_NS6detail17trampoline_kernelINS0_13select_configILj256ELj13ELNS0_17block_load_methodE3ELS4_3ELS4_3ELNS0_20block_scan_algorithmE0ELj4294967295EEENS1_25partition_config_selectorILNS1_17partition_subalgoE3EjNS0_10empty_typeEbEEZZNS1_14partition_implILS8_3ELb0ES6_jNS0_17counting_iteratorIjlEEPS9_SE_NS0_5tupleIJPjSE_EEENSF_IJSE_SE_EEES9_SG_JZNS1_25segmented_radix_sort_implINS0_14default_configELb0EPK6__halfPSL_PKlPlN2at6native12_GLOBAL__N_18offset_tEEE10hipError_tPvRmT1_PNSt15iterator_traitsISZ_E10value_typeET2_T3_PNS10_IS15_E10value_typeET4_jRbjT5_S1B_jjP12ihipStream_tbEUljE_EEESW_SX_SY_S15_S19_S1B_T6_T7_T9_mT8_S1D_bDpT10_ENKUlT_T0_E_clISt17integral_constantIbLb1EES1Q_EEDaS1L_S1M_EUlS1L_E_NS1_11comp_targetILNS1_3genE4ELNS1_11target_archE910ELNS1_3gpuE8ELNS1_3repE0EEENS1_30default_config_static_selectorELNS0_4arch9wavefront6targetE0EEEvSZ_
	.p2align	8
	.type	_ZN7rocprim17ROCPRIM_400000_NS6detail17trampoline_kernelINS0_13select_configILj256ELj13ELNS0_17block_load_methodE3ELS4_3ELS4_3ELNS0_20block_scan_algorithmE0ELj4294967295EEENS1_25partition_config_selectorILNS1_17partition_subalgoE3EjNS0_10empty_typeEbEEZZNS1_14partition_implILS8_3ELb0ES6_jNS0_17counting_iteratorIjlEEPS9_SE_NS0_5tupleIJPjSE_EEENSF_IJSE_SE_EEES9_SG_JZNS1_25segmented_radix_sort_implINS0_14default_configELb0EPK6__halfPSL_PKlPlN2at6native12_GLOBAL__N_18offset_tEEE10hipError_tPvRmT1_PNSt15iterator_traitsISZ_E10value_typeET2_T3_PNS10_IS15_E10value_typeET4_jRbjT5_S1B_jjP12ihipStream_tbEUljE_EEESW_SX_SY_S15_S19_S1B_T6_T7_T9_mT8_S1D_bDpT10_ENKUlT_T0_E_clISt17integral_constantIbLb1EES1Q_EEDaS1L_S1M_EUlS1L_E_NS1_11comp_targetILNS1_3genE4ELNS1_11target_archE910ELNS1_3gpuE8ELNS1_3repE0EEENS1_30default_config_static_selectorELNS0_4arch9wavefront6targetE0EEEvSZ_,@function
_ZN7rocprim17ROCPRIM_400000_NS6detail17trampoline_kernelINS0_13select_configILj256ELj13ELNS0_17block_load_methodE3ELS4_3ELS4_3ELNS0_20block_scan_algorithmE0ELj4294967295EEENS1_25partition_config_selectorILNS1_17partition_subalgoE3EjNS0_10empty_typeEbEEZZNS1_14partition_implILS8_3ELb0ES6_jNS0_17counting_iteratorIjlEEPS9_SE_NS0_5tupleIJPjSE_EEENSF_IJSE_SE_EEES9_SG_JZNS1_25segmented_radix_sort_implINS0_14default_configELb0EPK6__halfPSL_PKlPlN2at6native12_GLOBAL__N_18offset_tEEE10hipError_tPvRmT1_PNSt15iterator_traitsISZ_E10value_typeET2_T3_PNS10_IS15_E10value_typeET4_jRbjT5_S1B_jjP12ihipStream_tbEUljE_EEESW_SX_SY_S15_S19_S1B_T6_T7_T9_mT8_S1D_bDpT10_ENKUlT_T0_E_clISt17integral_constantIbLb1EES1Q_EEDaS1L_S1M_EUlS1L_E_NS1_11comp_targetILNS1_3genE4ELNS1_11target_archE910ELNS1_3gpuE8ELNS1_3repE0EEENS1_30default_config_static_selectorELNS0_4arch9wavefront6targetE0EEEvSZ_: ; @_ZN7rocprim17ROCPRIM_400000_NS6detail17trampoline_kernelINS0_13select_configILj256ELj13ELNS0_17block_load_methodE3ELS4_3ELS4_3ELNS0_20block_scan_algorithmE0ELj4294967295EEENS1_25partition_config_selectorILNS1_17partition_subalgoE3EjNS0_10empty_typeEbEEZZNS1_14partition_implILS8_3ELb0ES6_jNS0_17counting_iteratorIjlEEPS9_SE_NS0_5tupleIJPjSE_EEENSF_IJSE_SE_EEES9_SG_JZNS1_25segmented_radix_sort_implINS0_14default_configELb0EPK6__halfPSL_PKlPlN2at6native12_GLOBAL__N_18offset_tEEE10hipError_tPvRmT1_PNSt15iterator_traitsISZ_E10value_typeET2_T3_PNS10_IS15_E10value_typeET4_jRbjT5_S1B_jjP12ihipStream_tbEUljE_EEESW_SX_SY_S15_S19_S1B_T6_T7_T9_mT8_S1D_bDpT10_ENKUlT_T0_E_clISt17integral_constantIbLb1EES1Q_EEDaS1L_S1M_EUlS1L_E_NS1_11comp_targetILNS1_3genE4ELNS1_11target_archE910ELNS1_3gpuE8ELNS1_3repE0EEENS1_30default_config_static_selectorELNS0_4arch9wavefront6targetE0EEEvSZ_
; %bb.0:
	.section	.rodata,"a",@progbits
	.p2align	6, 0x0
	.amdhsa_kernel _ZN7rocprim17ROCPRIM_400000_NS6detail17trampoline_kernelINS0_13select_configILj256ELj13ELNS0_17block_load_methodE3ELS4_3ELS4_3ELNS0_20block_scan_algorithmE0ELj4294967295EEENS1_25partition_config_selectorILNS1_17partition_subalgoE3EjNS0_10empty_typeEbEEZZNS1_14partition_implILS8_3ELb0ES6_jNS0_17counting_iteratorIjlEEPS9_SE_NS0_5tupleIJPjSE_EEENSF_IJSE_SE_EEES9_SG_JZNS1_25segmented_radix_sort_implINS0_14default_configELb0EPK6__halfPSL_PKlPlN2at6native12_GLOBAL__N_18offset_tEEE10hipError_tPvRmT1_PNSt15iterator_traitsISZ_E10value_typeET2_T3_PNS10_IS15_E10value_typeET4_jRbjT5_S1B_jjP12ihipStream_tbEUljE_EEESW_SX_SY_S15_S19_S1B_T6_T7_T9_mT8_S1D_bDpT10_ENKUlT_T0_E_clISt17integral_constantIbLb1EES1Q_EEDaS1L_S1M_EUlS1L_E_NS1_11comp_targetILNS1_3genE4ELNS1_11target_archE910ELNS1_3gpuE8ELNS1_3repE0EEENS1_30default_config_static_selectorELNS0_4arch9wavefront6targetE0EEEvSZ_
		.amdhsa_group_segment_fixed_size 0
		.amdhsa_private_segment_fixed_size 0
		.amdhsa_kernarg_size 152
		.amdhsa_user_sgpr_count 2
		.amdhsa_user_sgpr_dispatch_ptr 0
		.amdhsa_user_sgpr_queue_ptr 0
		.amdhsa_user_sgpr_kernarg_segment_ptr 1
		.amdhsa_user_sgpr_dispatch_id 0
		.amdhsa_user_sgpr_kernarg_preload_length 0
		.amdhsa_user_sgpr_kernarg_preload_offset 0
		.amdhsa_user_sgpr_private_segment_size 0
		.amdhsa_wavefront_size32 1
		.amdhsa_uses_dynamic_stack 0
		.amdhsa_enable_private_segment 0
		.amdhsa_system_sgpr_workgroup_id_x 1
		.amdhsa_system_sgpr_workgroup_id_y 0
		.amdhsa_system_sgpr_workgroup_id_z 0
		.amdhsa_system_sgpr_workgroup_info 0
		.amdhsa_system_vgpr_workitem_id 0
		.amdhsa_next_free_vgpr 1
		.amdhsa_next_free_sgpr 1
		.amdhsa_named_barrier_count 0
		.amdhsa_reserve_vcc 0
		.amdhsa_float_round_mode_32 0
		.amdhsa_float_round_mode_16_64 0
		.amdhsa_float_denorm_mode_32 3
		.amdhsa_float_denorm_mode_16_64 3
		.amdhsa_fp16_overflow 0
		.amdhsa_memory_ordered 1
		.amdhsa_forward_progress 1
		.amdhsa_inst_pref_size 0
		.amdhsa_round_robin_scheduling 0
		.amdhsa_exception_fp_ieee_invalid_op 0
		.amdhsa_exception_fp_denorm_src 0
		.amdhsa_exception_fp_ieee_div_zero 0
		.amdhsa_exception_fp_ieee_overflow 0
		.amdhsa_exception_fp_ieee_underflow 0
		.amdhsa_exception_fp_ieee_inexact 0
		.amdhsa_exception_int_div_zero 0
	.end_amdhsa_kernel
	.section	.text._ZN7rocprim17ROCPRIM_400000_NS6detail17trampoline_kernelINS0_13select_configILj256ELj13ELNS0_17block_load_methodE3ELS4_3ELS4_3ELNS0_20block_scan_algorithmE0ELj4294967295EEENS1_25partition_config_selectorILNS1_17partition_subalgoE3EjNS0_10empty_typeEbEEZZNS1_14partition_implILS8_3ELb0ES6_jNS0_17counting_iteratorIjlEEPS9_SE_NS0_5tupleIJPjSE_EEENSF_IJSE_SE_EEES9_SG_JZNS1_25segmented_radix_sort_implINS0_14default_configELb0EPK6__halfPSL_PKlPlN2at6native12_GLOBAL__N_18offset_tEEE10hipError_tPvRmT1_PNSt15iterator_traitsISZ_E10value_typeET2_T3_PNS10_IS15_E10value_typeET4_jRbjT5_S1B_jjP12ihipStream_tbEUljE_EEESW_SX_SY_S15_S19_S1B_T6_T7_T9_mT8_S1D_bDpT10_ENKUlT_T0_E_clISt17integral_constantIbLb1EES1Q_EEDaS1L_S1M_EUlS1L_E_NS1_11comp_targetILNS1_3genE4ELNS1_11target_archE910ELNS1_3gpuE8ELNS1_3repE0EEENS1_30default_config_static_selectorELNS0_4arch9wavefront6targetE0EEEvSZ_,"axG",@progbits,_ZN7rocprim17ROCPRIM_400000_NS6detail17trampoline_kernelINS0_13select_configILj256ELj13ELNS0_17block_load_methodE3ELS4_3ELS4_3ELNS0_20block_scan_algorithmE0ELj4294967295EEENS1_25partition_config_selectorILNS1_17partition_subalgoE3EjNS0_10empty_typeEbEEZZNS1_14partition_implILS8_3ELb0ES6_jNS0_17counting_iteratorIjlEEPS9_SE_NS0_5tupleIJPjSE_EEENSF_IJSE_SE_EEES9_SG_JZNS1_25segmented_radix_sort_implINS0_14default_configELb0EPK6__halfPSL_PKlPlN2at6native12_GLOBAL__N_18offset_tEEE10hipError_tPvRmT1_PNSt15iterator_traitsISZ_E10value_typeET2_T3_PNS10_IS15_E10value_typeET4_jRbjT5_S1B_jjP12ihipStream_tbEUljE_EEESW_SX_SY_S15_S19_S1B_T6_T7_T9_mT8_S1D_bDpT10_ENKUlT_T0_E_clISt17integral_constantIbLb1EES1Q_EEDaS1L_S1M_EUlS1L_E_NS1_11comp_targetILNS1_3genE4ELNS1_11target_archE910ELNS1_3gpuE8ELNS1_3repE0EEENS1_30default_config_static_selectorELNS0_4arch9wavefront6targetE0EEEvSZ_,comdat
.Lfunc_end1810:
	.size	_ZN7rocprim17ROCPRIM_400000_NS6detail17trampoline_kernelINS0_13select_configILj256ELj13ELNS0_17block_load_methodE3ELS4_3ELS4_3ELNS0_20block_scan_algorithmE0ELj4294967295EEENS1_25partition_config_selectorILNS1_17partition_subalgoE3EjNS0_10empty_typeEbEEZZNS1_14partition_implILS8_3ELb0ES6_jNS0_17counting_iteratorIjlEEPS9_SE_NS0_5tupleIJPjSE_EEENSF_IJSE_SE_EEES9_SG_JZNS1_25segmented_radix_sort_implINS0_14default_configELb0EPK6__halfPSL_PKlPlN2at6native12_GLOBAL__N_18offset_tEEE10hipError_tPvRmT1_PNSt15iterator_traitsISZ_E10value_typeET2_T3_PNS10_IS15_E10value_typeET4_jRbjT5_S1B_jjP12ihipStream_tbEUljE_EEESW_SX_SY_S15_S19_S1B_T6_T7_T9_mT8_S1D_bDpT10_ENKUlT_T0_E_clISt17integral_constantIbLb1EES1Q_EEDaS1L_S1M_EUlS1L_E_NS1_11comp_targetILNS1_3genE4ELNS1_11target_archE910ELNS1_3gpuE8ELNS1_3repE0EEENS1_30default_config_static_selectorELNS0_4arch9wavefront6targetE0EEEvSZ_, .Lfunc_end1810-_ZN7rocprim17ROCPRIM_400000_NS6detail17trampoline_kernelINS0_13select_configILj256ELj13ELNS0_17block_load_methodE3ELS4_3ELS4_3ELNS0_20block_scan_algorithmE0ELj4294967295EEENS1_25partition_config_selectorILNS1_17partition_subalgoE3EjNS0_10empty_typeEbEEZZNS1_14partition_implILS8_3ELb0ES6_jNS0_17counting_iteratorIjlEEPS9_SE_NS0_5tupleIJPjSE_EEENSF_IJSE_SE_EEES9_SG_JZNS1_25segmented_radix_sort_implINS0_14default_configELb0EPK6__halfPSL_PKlPlN2at6native12_GLOBAL__N_18offset_tEEE10hipError_tPvRmT1_PNSt15iterator_traitsISZ_E10value_typeET2_T3_PNS10_IS15_E10value_typeET4_jRbjT5_S1B_jjP12ihipStream_tbEUljE_EEESW_SX_SY_S15_S19_S1B_T6_T7_T9_mT8_S1D_bDpT10_ENKUlT_T0_E_clISt17integral_constantIbLb1EES1Q_EEDaS1L_S1M_EUlS1L_E_NS1_11comp_targetILNS1_3genE4ELNS1_11target_archE910ELNS1_3gpuE8ELNS1_3repE0EEENS1_30default_config_static_selectorELNS0_4arch9wavefront6targetE0EEEvSZ_
                                        ; -- End function
	.set _ZN7rocprim17ROCPRIM_400000_NS6detail17trampoline_kernelINS0_13select_configILj256ELj13ELNS0_17block_load_methodE3ELS4_3ELS4_3ELNS0_20block_scan_algorithmE0ELj4294967295EEENS1_25partition_config_selectorILNS1_17partition_subalgoE3EjNS0_10empty_typeEbEEZZNS1_14partition_implILS8_3ELb0ES6_jNS0_17counting_iteratorIjlEEPS9_SE_NS0_5tupleIJPjSE_EEENSF_IJSE_SE_EEES9_SG_JZNS1_25segmented_radix_sort_implINS0_14default_configELb0EPK6__halfPSL_PKlPlN2at6native12_GLOBAL__N_18offset_tEEE10hipError_tPvRmT1_PNSt15iterator_traitsISZ_E10value_typeET2_T3_PNS10_IS15_E10value_typeET4_jRbjT5_S1B_jjP12ihipStream_tbEUljE_EEESW_SX_SY_S15_S19_S1B_T6_T7_T9_mT8_S1D_bDpT10_ENKUlT_T0_E_clISt17integral_constantIbLb1EES1Q_EEDaS1L_S1M_EUlS1L_E_NS1_11comp_targetILNS1_3genE4ELNS1_11target_archE910ELNS1_3gpuE8ELNS1_3repE0EEENS1_30default_config_static_selectorELNS0_4arch9wavefront6targetE0EEEvSZ_.num_vgpr, 0
	.set _ZN7rocprim17ROCPRIM_400000_NS6detail17trampoline_kernelINS0_13select_configILj256ELj13ELNS0_17block_load_methodE3ELS4_3ELS4_3ELNS0_20block_scan_algorithmE0ELj4294967295EEENS1_25partition_config_selectorILNS1_17partition_subalgoE3EjNS0_10empty_typeEbEEZZNS1_14partition_implILS8_3ELb0ES6_jNS0_17counting_iteratorIjlEEPS9_SE_NS0_5tupleIJPjSE_EEENSF_IJSE_SE_EEES9_SG_JZNS1_25segmented_radix_sort_implINS0_14default_configELb0EPK6__halfPSL_PKlPlN2at6native12_GLOBAL__N_18offset_tEEE10hipError_tPvRmT1_PNSt15iterator_traitsISZ_E10value_typeET2_T3_PNS10_IS15_E10value_typeET4_jRbjT5_S1B_jjP12ihipStream_tbEUljE_EEESW_SX_SY_S15_S19_S1B_T6_T7_T9_mT8_S1D_bDpT10_ENKUlT_T0_E_clISt17integral_constantIbLb1EES1Q_EEDaS1L_S1M_EUlS1L_E_NS1_11comp_targetILNS1_3genE4ELNS1_11target_archE910ELNS1_3gpuE8ELNS1_3repE0EEENS1_30default_config_static_selectorELNS0_4arch9wavefront6targetE0EEEvSZ_.num_agpr, 0
	.set _ZN7rocprim17ROCPRIM_400000_NS6detail17trampoline_kernelINS0_13select_configILj256ELj13ELNS0_17block_load_methodE3ELS4_3ELS4_3ELNS0_20block_scan_algorithmE0ELj4294967295EEENS1_25partition_config_selectorILNS1_17partition_subalgoE3EjNS0_10empty_typeEbEEZZNS1_14partition_implILS8_3ELb0ES6_jNS0_17counting_iteratorIjlEEPS9_SE_NS0_5tupleIJPjSE_EEENSF_IJSE_SE_EEES9_SG_JZNS1_25segmented_radix_sort_implINS0_14default_configELb0EPK6__halfPSL_PKlPlN2at6native12_GLOBAL__N_18offset_tEEE10hipError_tPvRmT1_PNSt15iterator_traitsISZ_E10value_typeET2_T3_PNS10_IS15_E10value_typeET4_jRbjT5_S1B_jjP12ihipStream_tbEUljE_EEESW_SX_SY_S15_S19_S1B_T6_T7_T9_mT8_S1D_bDpT10_ENKUlT_T0_E_clISt17integral_constantIbLb1EES1Q_EEDaS1L_S1M_EUlS1L_E_NS1_11comp_targetILNS1_3genE4ELNS1_11target_archE910ELNS1_3gpuE8ELNS1_3repE0EEENS1_30default_config_static_selectorELNS0_4arch9wavefront6targetE0EEEvSZ_.numbered_sgpr, 0
	.set _ZN7rocprim17ROCPRIM_400000_NS6detail17trampoline_kernelINS0_13select_configILj256ELj13ELNS0_17block_load_methodE3ELS4_3ELS4_3ELNS0_20block_scan_algorithmE0ELj4294967295EEENS1_25partition_config_selectorILNS1_17partition_subalgoE3EjNS0_10empty_typeEbEEZZNS1_14partition_implILS8_3ELb0ES6_jNS0_17counting_iteratorIjlEEPS9_SE_NS0_5tupleIJPjSE_EEENSF_IJSE_SE_EEES9_SG_JZNS1_25segmented_radix_sort_implINS0_14default_configELb0EPK6__halfPSL_PKlPlN2at6native12_GLOBAL__N_18offset_tEEE10hipError_tPvRmT1_PNSt15iterator_traitsISZ_E10value_typeET2_T3_PNS10_IS15_E10value_typeET4_jRbjT5_S1B_jjP12ihipStream_tbEUljE_EEESW_SX_SY_S15_S19_S1B_T6_T7_T9_mT8_S1D_bDpT10_ENKUlT_T0_E_clISt17integral_constantIbLb1EES1Q_EEDaS1L_S1M_EUlS1L_E_NS1_11comp_targetILNS1_3genE4ELNS1_11target_archE910ELNS1_3gpuE8ELNS1_3repE0EEENS1_30default_config_static_selectorELNS0_4arch9wavefront6targetE0EEEvSZ_.num_named_barrier, 0
	.set _ZN7rocprim17ROCPRIM_400000_NS6detail17trampoline_kernelINS0_13select_configILj256ELj13ELNS0_17block_load_methodE3ELS4_3ELS4_3ELNS0_20block_scan_algorithmE0ELj4294967295EEENS1_25partition_config_selectorILNS1_17partition_subalgoE3EjNS0_10empty_typeEbEEZZNS1_14partition_implILS8_3ELb0ES6_jNS0_17counting_iteratorIjlEEPS9_SE_NS0_5tupleIJPjSE_EEENSF_IJSE_SE_EEES9_SG_JZNS1_25segmented_radix_sort_implINS0_14default_configELb0EPK6__halfPSL_PKlPlN2at6native12_GLOBAL__N_18offset_tEEE10hipError_tPvRmT1_PNSt15iterator_traitsISZ_E10value_typeET2_T3_PNS10_IS15_E10value_typeET4_jRbjT5_S1B_jjP12ihipStream_tbEUljE_EEESW_SX_SY_S15_S19_S1B_T6_T7_T9_mT8_S1D_bDpT10_ENKUlT_T0_E_clISt17integral_constantIbLb1EES1Q_EEDaS1L_S1M_EUlS1L_E_NS1_11comp_targetILNS1_3genE4ELNS1_11target_archE910ELNS1_3gpuE8ELNS1_3repE0EEENS1_30default_config_static_selectorELNS0_4arch9wavefront6targetE0EEEvSZ_.private_seg_size, 0
	.set _ZN7rocprim17ROCPRIM_400000_NS6detail17trampoline_kernelINS0_13select_configILj256ELj13ELNS0_17block_load_methodE3ELS4_3ELS4_3ELNS0_20block_scan_algorithmE0ELj4294967295EEENS1_25partition_config_selectorILNS1_17partition_subalgoE3EjNS0_10empty_typeEbEEZZNS1_14partition_implILS8_3ELb0ES6_jNS0_17counting_iteratorIjlEEPS9_SE_NS0_5tupleIJPjSE_EEENSF_IJSE_SE_EEES9_SG_JZNS1_25segmented_radix_sort_implINS0_14default_configELb0EPK6__halfPSL_PKlPlN2at6native12_GLOBAL__N_18offset_tEEE10hipError_tPvRmT1_PNSt15iterator_traitsISZ_E10value_typeET2_T3_PNS10_IS15_E10value_typeET4_jRbjT5_S1B_jjP12ihipStream_tbEUljE_EEESW_SX_SY_S15_S19_S1B_T6_T7_T9_mT8_S1D_bDpT10_ENKUlT_T0_E_clISt17integral_constantIbLb1EES1Q_EEDaS1L_S1M_EUlS1L_E_NS1_11comp_targetILNS1_3genE4ELNS1_11target_archE910ELNS1_3gpuE8ELNS1_3repE0EEENS1_30default_config_static_selectorELNS0_4arch9wavefront6targetE0EEEvSZ_.uses_vcc, 0
	.set _ZN7rocprim17ROCPRIM_400000_NS6detail17trampoline_kernelINS0_13select_configILj256ELj13ELNS0_17block_load_methodE3ELS4_3ELS4_3ELNS0_20block_scan_algorithmE0ELj4294967295EEENS1_25partition_config_selectorILNS1_17partition_subalgoE3EjNS0_10empty_typeEbEEZZNS1_14partition_implILS8_3ELb0ES6_jNS0_17counting_iteratorIjlEEPS9_SE_NS0_5tupleIJPjSE_EEENSF_IJSE_SE_EEES9_SG_JZNS1_25segmented_radix_sort_implINS0_14default_configELb0EPK6__halfPSL_PKlPlN2at6native12_GLOBAL__N_18offset_tEEE10hipError_tPvRmT1_PNSt15iterator_traitsISZ_E10value_typeET2_T3_PNS10_IS15_E10value_typeET4_jRbjT5_S1B_jjP12ihipStream_tbEUljE_EEESW_SX_SY_S15_S19_S1B_T6_T7_T9_mT8_S1D_bDpT10_ENKUlT_T0_E_clISt17integral_constantIbLb1EES1Q_EEDaS1L_S1M_EUlS1L_E_NS1_11comp_targetILNS1_3genE4ELNS1_11target_archE910ELNS1_3gpuE8ELNS1_3repE0EEENS1_30default_config_static_selectorELNS0_4arch9wavefront6targetE0EEEvSZ_.uses_flat_scratch, 0
	.set _ZN7rocprim17ROCPRIM_400000_NS6detail17trampoline_kernelINS0_13select_configILj256ELj13ELNS0_17block_load_methodE3ELS4_3ELS4_3ELNS0_20block_scan_algorithmE0ELj4294967295EEENS1_25partition_config_selectorILNS1_17partition_subalgoE3EjNS0_10empty_typeEbEEZZNS1_14partition_implILS8_3ELb0ES6_jNS0_17counting_iteratorIjlEEPS9_SE_NS0_5tupleIJPjSE_EEENSF_IJSE_SE_EEES9_SG_JZNS1_25segmented_radix_sort_implINS0_14default_configELb0EPK6__halfPSL_PKlPlN2at6native12_GLOBAL__N_18offset_tEEE10hipError_tPvRmT1_PNSt15iterator_traitsISZ_E10value_typeET2_T3_PNS10_IS15_E10value_typeET4_jRbjT5_S1B_jjP12ihipStream_tbEUljE_EEESW_SX_SY_S15_S19_S1B_T6_T7_T9_mT8_S1D_bDpT10_ENKUlT_T0_E_clISt17integral_constantIbLb1EES1Q_EEDaS1L_S1M_EUlS1L_E_NS1_11comp_targetILNS1_3genE4ELNS1_11target_archE910ELNS1_3gpuE8ELNS1_3repE0EEENS1_30default_config_static_selectorELNS0_4arch9wavefront6targetE0EEEvSZ_.has_dyn_sized_stack, 0
	.set _ZN7rocprim17ROCPRIM_400000_NS6detail17trampoline_kernelINS0_13select_configILj256ELj13ELNS0_17block_load_methodE3ELS4_3ELS4_3ELNS0_20block_scan_algorithmE0ELj4294967295EEENS1_25partition_config_selectorILNS1_17partition_subalgoE3EjNS0_10empty_typeEbEEZZNS1_14partition_implILS8_3ELb0ES6_jNS0_17counting_iteratorIjlEEPS9_SE_NS0_5tupleIJPjSE_EEENSF_IJSE_SE_EEES9_SG_JZNS1_25segmented_radix_sort_implINS0_14default_configELb0EPK6__halfPSL_PKlPlN2at6native12_GLOBAL__N_18offset_tEEE10hipError_tPvRmT1_PNSt15iterator_traitsISZ_E10value_typeET2_T3_PNS10_IS15_E10value_typeET4_jRbjT5_S1B_jjP12ihipStream_tbEUljE_EEESW_SX_SY_S15_S19_S1B_T6_T7_T9_mT8_S1D_bDpT10_ENKUlT_T0_E_clISt17integral_constantIbLb1EES1Q_EEDaS1L_S1M_EUlS1L_E_NS1_11comp_targetILNS1_3genE4ELNS1_11target_archE910ELNS1_3gpuE8ELNS1_3repE0EEENS1_30default_config_static_selectorELNS0_4arch9wavefront6targetE0EEEvSZ_.has_recursion, 0
	.set _ZN7rocprim17ROCPRIM_400000_NS6detail17trampoline_kernelINS0_13select_configILj256ELj13ELNS0_17block_load_methodE3ELS4_3ELS4_3ELNS0_20block_scan_algorithmE0ELj4294967295EEENS1_25partition_config_selectorILNS1_17partition_subalgoE3EjNS0_10empty_typeEbEEZZNS1_14partition_implILS8_3ELb0ES6_jNS0_17counting_iteratorIjlEEPS9_SE_NS0_5tupleIJPjSE_EEENSF_IJSE_SE_EEES9_SG_JZNS1_25segmented_radix_sort_implINS0_14default_configELb0EPK6__halfPSL_PKlPlN2at6native12_GLOBAL__N_18offset_tEEE10hipError_tPvRmT1_PNSt15iterator_traitsISZ_E10value_typeET2_T3_PNS10_IS15_E10value_typeET4_jRbjT5_S1B_jjP12ihipStream_tbEUljE_EEESW_SX_SY_S15_S19_S1B_T6_T7_T9_mT8_S1D_bDpT10_ENKUlT_T0_E_clISt17integral_constantIbLb1EES1Q_EEDaS1L_S1M_EUlS1L_E_NS1_11comp_targetILNS1_3genE4ELNS1_11target_archE910ELNS1_3gpuE8ELNS1_3repE0EEENS1_30default_config_static_selectorELNS0_4arch9wavefront6targetE0EEEvSZ_.has_indirect_call, 0
	.section	.AMDGPU.csdata,"",@progbits
; Kernel info:
; codeLenInByte = 0
; TotalNumSgprs: 0
; NumVgprs: 0
; ScratchSize: 0
; MemoryBound: 0
; FloatMode: 240
; IeeeMode: 1
; LDSByteSize: 0 bytes/workgroup (compile time only)
; SGPRBlocks: 0
; VGPRBlocks: 0
; NumSGPRsForWavesPerEU: 1
; NumVGPRsForWavesPerEU: 1
; NamedBarCnt: 0
; Occupancy: 16
; WaveLimiterHint : 0
; COMPUTE_PGM_RSRC2:SCRATCH_EN: 0
; COMPUTE_PGM_RSRC2:USER_SGPR: 2
; COMPUTE_PGM_RSRC2:TRAP_HANDLER: 0
; COMPUTE_PGM_RSRC2:TGID_X_EN: 1
; COMPUTE_PGM_RSRC2:TGID_Y_EN: 0
; COMPUTE_PGM_RSRC2:TGID_Z_EN: 0
; COMPUTE_PGM_RSRC2:TIDIG_COMP_CNT: 0
	.section	.text._ZN7rocprim17ROCPRIM_400000_NS6detail17trampoline_kernelINS0_13select_configILj256ELj13ELNS0_17block_load_methodE3ELS4_3ELS4_3ELNS0_20block_scan_algorithmE0ELj4294967295EEENS1_25partition_config_selectorILNS1_17partition_subalgoE3EjNS0_10empty_typeEbEEZZNS1_14partition_implILS8_3ELb0ES6_jNS0_17counting_iteratorIjlEEPS9_SE_NS0_5tupleIJPjSE_EEENSF_IJSE_SE_EEES9_SG_JZNS1_25segmented_radix_sort_implINS0_14default_configELb0EPK6__halfPSL_PKlPlN2at6native12_GLOBAL__N_18offset_tEEE10hipError_tPvRmT1_PNSt15iterator_traitsISZ_E10value_typeET2_T3_PNS10_IS15_E10value_typeET4_jRbjT5_S1B_jjP12ihipStream_tbEUljE_EEESW_SX_SY_S15_S19_S1B_T6_T7_T9_mT8_S1D_bDpT10_ENKUlT_T0_E_clISt17integral_constantIbLb1EES1Q_EEDaS1L_S1M_EUlS1L_E_NS1_11comp_targetILNS1_3genE3ELNS1_11target_archE908ELNS1_3gpuE7ELNS1_3repE0EEENS1_30default_config_static_selectorELNS0_4arch9wavefront6targetE0EEEvSZ_,"axG",@progbits,_ZN7rocprim17ROCPRIM_400000_NS6detail17trampoline_kernelINS0_13select_configILj256ELj13ELNS0_17block_load_methodE3ELS4_3ELS4_3ELNS0_20block_scan_algorithmE0ELj4294967295EEENS1_25partition_config_selectorILNS1_17partition_subalgoE3EjNS0_10empty_typeEbEEZZNS1_14partition_implILS8_3ELb0ES6_jNS0_17counting_iteratorIjlEEPS9_SE_NS0_5tupleIJPjSE_EEENSF_IJSE_SE_EEES9_SG_JZNS1_25segmented_radix_sort_implINS0_14default_configELb0EPK6__halfPSL_PKlPlN2at6native12_GLOBAL__N_18offset_tEEE10hipError_tPvRmT1_PNSt15iterator_traitsISZ_E10value_typeET2_T3_PNS10_IS15_E10value_typeET4_jRbjT5_S1B_jjP12ihipStream_tbEUljE_EEESW_SX_SY_S15_S19_S1B_T6_T7_T9_mT8_S1D_bDpT10_ENKUlT_T0_E_clISt17integral_constantIbLb1EES1Q_EEDaS1L_S1M_EUlS1L_E_NS1_11comp_targetILNS1_3genE3ELNS1_11target_archE908ELNS1_3gpuE7ELNS1_3repE0EEENS1_30default_config_static_selectorELNS0_4arch9wavefront6targetE0EEEvSZ_,comdat
	.globl	_ZN7rocprim17ROCPRIM_400000_NS6detail17trampoline_kernelINS0_13select_configILj256ELj13ELNS0_17block_load_methodE3ELS4_3ELS4_3ELNS0_20block_scan_algorithmE0ELj4294967295EEENS1_25partition_config_selectorILNS1_17partition_subalgoE3EjNS0_10empty_typeEbEEZZNS1_14partition_implILS8_3ELb0ES6_jNS0_17counting_iteratorIjlEEPS9_SE_NS0_5tupleIJPjSE_EEENSF_IJSE_SE_EEES9_SG_JZNS1_25segmented_radix_sort_implINS0_14default_configELb0EPK6__halfPSL_PKlPlN2at6native12_GLOBAL__N_18offset_tEEE10hipError_tPvRmT1_PNSt15iterator_traitsISZ_E10value_typeET2_T3_PNS10_IS15_E10value_typeET4_jRbjT5_S1B_jjP12ihipStream_tbEUljE_EEESW_SX_SY_S15_S19_S1B_T6_T7_T9_mT8_S1D_bDpT10_ENKUlT_T0_E_clISt17integral_constantIbLb1EES1Q_EEDaS1L_S1M_EUlS1L_E_NS1_11comp_targetILNS1_3genE3ELNS1_11target_archE908ELNS1_3gpuE7ELNS1_3repE0EEENS1_30default_config_static_selectorELNS0_4arch9wavefront6targetE0EEEvSZ_ ; -- Begin function _ZN7rocprim17ROCPRIM_400000_NS6detail17trampoline_kernelINS0_13select_configILj256ELj13ELNS0_17block_load_methodE3ELS4_3ELS4_3ELNS0_20block_scan_algorithmE0ELj4294967295EEENS1_25partition_config_selectorILNS1_17partition_subalgoE3EjNS0_10empty_typeEbEEZZNS1_14partition_implILS8_3ELb0ES6_jNS0_17counting_iteratorIjlEEPS9_SE_NS0_5tupleIJPjSE_EEENSF_IJSE_SE_EEES9_SG_JZNS1_25segmented_radix_sort_implINS0_14default_configELb0EPK6__halfPSL_PKlPlN2at6native12_GLOBAL__N_18offset_tEEE10hipError_tPvRmT1_PNSt15iterator_traitsISZ_E10value_typeET2_T3_PNS10_IS15_E10value_typeET4_jRbjT5_S1B_jjP12ihipStream_tbEUljE_EEESW_SX_SY_S15_S19_S1B_T6_T7_T9_mT8_S1D_bDpT10_ENKUlT_T0_E_clISt17integral_constantIbLb1EES1Q_EEDaS1L_S1M_EUlS1L_E_NS1_11comp_targetILNS1_3genE3ELNS1_11target_archE908ELNS1_3gpuE7ELNS1_3repE0EEENS1_30default_config_static_selectorELNS0_4arch9wavefront6targetE0EEEvSZ_
	.p2align	8
	.type	_ZN7rocprim17ROCPRIM_400000_NS6detail17trampoline_kernelINS0_13select_configILj256ELj13ELNS0_17block_load_methodE3ELS4_3ELS4_3ELNS0_20block_scan_algorithmE0ELj4294967295EEENS1_25partition_config_selectorILNS1_17partition_subalgoE3EjNS0_10empty_typeEbEEZZNS1_14partition_implILS8_3ELb0ES6_jNS0_17counting_iteratorIjlEEPS9_SE_NS0_5tupleIJPjSE_EEENSF_IJSE_SE_EEES9_SG_JZNS1_25segmented_radix_sort_implINS0_14default_configELb0EPK6__halfPSL_PKlPlN2at6native12_GLOBAL__N_18offset_tEEE10hipError_tPvRmT1_PNSt15iterator_traitsISZ_E10value_typeET2_T3_PNS10_IS15_E10value_typeET4_jRbjT5_S1B_jjP12ihipStream_tbEUljE_EEESW_SX_SY_S15_S19_S1B_T6_T7_T9_mT8_S1D_bDpT10_ENKUlT_T0_E_clISt17integral_constantIbLb1EES1Q_EEDaS1L_S1M_EUlS1L_E_NS1_11comp_targetILNS1_3genE3ELNS1_11target_archE908ELNS1_3gpuE7ELNS1_3repE0EEENS1_30default_config_static_selectorELNS0_4arch9wavefront6targetE0EEEvSZ_,@function
_ZN7rocprim17ROCPRIM_400000_NS6detail17trampoline_kernelINS0_13select_configILj256ELj13ELNS0_17block_load_methodE3ELS4_3ELS4_3ELNS0_20block_scan_algorithmE0ELj4294967295EEENS1_25partition_config_selectorILNS1_17partition_subalgoE3EjNS0_10empty_typeEbEEZZNS1_14partition_implILS8_3ELb0ES6_jNS0_17counting_iteratorIjlEEPS9_SE_NS0_5tupleIJPjSE_EEENSF_IJSE_SE_EEES9_SG_JZNS1_25segmented_radix_sort_implINS0_14default_configELb0EPK6__halfPSL_PKlPlN2at6native12_GLOBAL__N_18offset_tEEE10hipError_tPvRmT1_PNSt15iterator_traitsISZ_E10value_typeET2_T3_PNS10_IS15_E10value_typeET4_jRbjT5_S1B_jjP12ihipStream_tbEUljE_EEESW_SX_SY_S15_S19_S1B_T6_T7_T9_mT8_S1D_bDpT10_ENKUlT_T0_E_clISt17integral_constantIbLb1EES1Q_EEDaS1L_S1M_EUlS1L_E_NS1_11comp_targetILNS1_3genE3ELNS1_11target_archE908ELNS1_3gpuE7ELNS1_3repE0EEENS1_30default_config_static_selectorELNS0_4arch9wavefront6targetE0EEEvSZ_: ; @_ZN7rocprim17ROCPRIM_400000_NS6detail17trampoline_kernelINS0_13select_configILj256ELj13ELNS0_17block_load_methodE3ELS4_3ELS4_3ELNS0_20block_scan_algorithmE0ELj4294967295EEENS1_25partition_config_selectorILNS1_17partition_subalgoE3EjNS0_10empty_typeEbEEZZNS1_14partition_implILS8_3ELb0ES6_jNS0_17counting_iteratorIjlEEPS9_SE_NS0_5tupleIJPjSE_EEENSF_IJSE_SE_EEES9_SG_JZNS1_25segmented_radix_sort_implINS0_14default_configELb0EPK6__halfPSL_PKlPlN2at6native12_GLOBAL__N_18offset_tEEE10hipError_tPvRmT1_PNSt15iterator_traitsISZ_E10value_typeET2_T3_PNS10_IS15_E10value_typeET4_jRbjT5_S1B_jjP12ihipStream_tbEUljE_EEESW_SX_SY_S15_S19_S1B_T6_T7_T9_mT8_S1D_bDpT10_ENKUlT_T0_E_clISt17integral_constantIbLb1EES1Q_EEDaS1L_S1M_EUlS1L_E_NS1_11comp_targetILNS1_3genE3ELNS1_11target_archE908ELNS1_3gpuE7ELNS1_3repE0EEENS1_30default_config_static_selectorELNS0_4arch9wavefront6targetE0EEEvSZ_
; %bb.0:
	.section	.rodata,"a",@progbits
	.p2align	6, 0x0
	.amdhsa_kernel _ZN7rocprim17ROCPRIM_400000_NS6detail17trampoline_kernelINS0_13select_configILj256ELj13ELNS0_17block_load_methodE3ELS4_3ELS4_3ELNS0_20block_scan_algorithmE0ELj4294967295EEENS1_25partition_config_selectorILNS1_17partition_subalgoE3EjNS0_10empty_typeEbEEZZNS1_14partition_implILS8_3ELb0ES6_jNS0_17counting_iteratorIjlEEPS9_SE_NS0_5tupleIJPjSE_EEENSF_IJSE_SE_EEES9_SG_JZNS1_25segmented_radix_sort_implINS0_14default_configELb0EPK6__halfPSL_PKlPlN2at6native12_GLOBAL__N_18offset_tEEE10hipError_tPvRmT1_PNSt15iterator_traitsISZ_E10value_typeET2_T3_PNS10_IS15_E10value_typeET4_jRbjT5_S1B_jjP12ihipStream_tbEUljE_EEESW_SX_SY_S15_S19_S1B_T6_T7_T9_mT8_S1D_bDpT10_ENKUlT_T0_E_clISt17integral_constantIbLb1EES1Q_EEDaS1L_S1M_EUlS1L_E_NS1_11comp_targetILNS1_3genE3ELNS1_11target_archE908ELNS1_3gpuE7ELNS1_3repE0EEENS1_30default_config_static_selectorELNS0_4arch9wavefront6targetE0EEEvSZ_
		.amdhsa_group_segment_fixed_size 0
		.amdhsa_private_segment_fixed_size 0
		.amdhsa_kernarg_size 152
		.amdhsa_user_sgpr_count 2
		.amdhsa_user_sgpr_dispatch_ptr 0
		.amdhsa_user_sgpr_queue_ptr 0
		.amdhsa_user_sgpr_kernarg_segment_ptr 1
		.amdhsa_user_sgpr_dispatch_id 0
		.amdhsa_user_sgpr_kernarg_preload_length 0
		.amdhsa_user_sgpr_kernarg_preload_offset 0
		.amdhsa_user_sgpr_private_segment_size 0
		.amdhsa_wavefront_size32 1
		.amdhsa_uses_dynamic_stack 0
		.amdhsa_enable_private_segment 0
		.amdhsa_system_sgpr_workgroup_id_x 1
		.amdhsa_system_sgpr_workgroup_id_y 0
		.amdhsa_system_sgpr_workgroup_id_z 0
		.amdhsa_system_sgpr_workgroup_info 0
		.amdhsa_system_vgpr_workitem_id 0
		.amdhsa_next_free_vgpr 1
		.amdhsa_next_free_sgpr 1
		.amdhsa_named_barrier_count 0
		.amdhsa_reserve_vcc 0
		.amdhsa_float_round_mode_32 0
		.amdhsa_float_round_mode_16_64 0
		.amdhsa_float_denorm_mode_32 3
		.amdhsa_float_denorm_mode_16_64 3
		.amdhsa_fp16_overflow 0
		.amdhsa_memory_ordered 1
		.amdhsa_forward_progress 1
		.amdhsa_inst_pref_size 0
		.amdhsa_round_robin_scheduling 0
		.amdhsa_exception_fp_ieee_invalid_op 0
		.amdhsa_exception_fp_denorm_src 0
		.amdhsa_exception_fp_ieee_div_zero 0
		.amdhsa_exception_fp_ieee_overflow 0
		.amdhsa_exception_fp_ieee_underflow 0
		.amdhsa_exception_fp_ieee_inexact 0
		.amdhsa_exception_int_div_zero 0
	.end_amdhsa_kernel
	.section	.text._ZN7rocprim17ROCPRIM_400000_NS6detail17trampoline_kernelINS0_13select_configILj256ELj13ELNS0_17block_load_methodE3ELS4_3ELS4_3ELNS0_20block_scan_algorithmE0ELj4294967295EEENS1_25partition_config_selectorILNS1_17partition_subalgoE3EjNS0_10empty_typeEbEEZZNS1_14partition_implILS8_3ELb0ES6_jNS0_17counting_iteratorIjlEEPS9_SE_NS0_5tupleIJPjSE_EEENSF_IJSE_SE_EEES9_SG_JZNS1_25segmented_radix_sort_implINS0_14default_configELb0EPK6__halfPSL_PKlPlN2at6native12_GLOBAL__N_18offset_tEEE10hipError_tPvRmT1_PNSt15iterator_traitsISZ_E10value_typeET2_T3_PNS10_IS15_E10value_typeET4_jRbjT5_S1B_jjP12ihipStream_tbEUljE_EEESW_SX_SY_S15_S19_S1B_T6_T7_T9_mT8_S1D_bDpT10_ENKUlT_T0_E_clISt17integral_constantIbLb1EES1Q_EEDaS1L_S1M_EUlS1L_E_NS1_11comp_targetILNS1_3genE3ELNS1_11target_archE908ELNS1_3gpuE7ELNS1_3repE0EEENS1_30default_config_static_selectorELNS0_4arch9wavefront6targetE0EEEvSZ_,"axG",@progbits,_ZN7rocprim17ROCPRIM_400000_NS6detail17trampoline_kernelINS0_13select_configILj256ELj13ELNS0_17block_load_methodE3ELS4_3ELS4_3ELNS0_20block_scan_algorithmE0ELj4294967295EEENS1_25partition_config_selectorILNS1_17partition_subalgoE3EjNS0_10empty_typeEbEEZZNS1_14partition_implILS8_3ELb0ES6_jNS0_17counting_iteratorIjlEEPS9_SE_NS0_5tupleIJPjSE_EEENSF_IJSE_SE_EEES9_SG_JZNS1_25segmented_radix_sort_implINS0_14default_configELb0EPK6__halfPSL_PKlPlN2at6native12_GLOBAL__N_18offset_tEEE10hipError_tPvRmT1_PNSt15iterator_traitsISZ_E10value_typeET2_T3_PNS10_IS15_E10value_typeET4_jRbjT5_S1B_jjP12ihipStream_tbEUljE_EEESW_SX_SY_S15_S19_S1B_T6_T7_T9_mT8_S1D_bDpT10_ENKUlT_T0_E_clISt17integral_constantIbLb1EES1Q_EEDaS1L_S1M_EUlS1L_E_NS1_11comp_targetILNS1_3genE3ELNS1_11target_archE908ELNS1_3gpuE7ELNS1_3repE0EEENS1_30default_config_static_selectorELNS0_4arch9wavefront6targetE0EEEvSZ_,comdat
.Lfunc_end1811:
	.size	_ZN7rocprim17ROCPRIM_400000_NS6detail17trampoline_kernelINS0_13select_configILj256ELj13ELNS0_17block_load_methodE3ELS4_3ELS4_3ELNS0_20block_scan_algorithmE0ELj4294967295EEENS1_25partition_config_selectorILNS1_17partition_subalgoE3EjNS0_10empty_typeEbEEZZNS1_14partition_implILS8_3ELb0ES6_jNS0_17counting_iteratorIjlEEPS9_SE_NS0_5tupleIJPjSE_EEENSF_IJSE_SE_EEES9_SG_JZNS1_25segmented_radix_sort_implINS0_14default_configELb0EPK6__halfPSL_PKlPlN2at6native12_GLOBAL__N_18offset_tEEE10hipError_tPvRmT1_PNSt15iterator_traitsISZ_E10value_typeET2_T3_PNS10_IS15_E10value_typeET4_jRbjT5_S1B_jjP12ihipStream_tbEUljE_EEESW_SX_SY_S15_S19_S1B_T6_T7_T9_mT8_S1D_bDpT10_ENKUlT_T0_E_clISt17integral_constantIbLb1EES1Q_EEDaS1L_S1M_EUlS1L_E_NS1_11comp_targetILNS1_3genE3ELNS1_11target_archE908ELNS1_3gpuE7ELNS1_3repE0EEENS1_30default_config_static_selectorELNS0_4arch9wavefront6targetE0EEEvSZ_, .Lfunc_end1811-_ZN7rocprim17ROCPRIM_400000_NS6detail17trampoline_kernelINS0_13select_configILj256ELj13ELNS0_17block_load_methodE3ELS4_3ELS4_3ELNS0_20block_scan_algorithmE0ELj4294967295EEENS1_25partition_config_selectorILNS1_17partition_subalgoE3EjNS0_10empty_typeEbEEZZNS1_14partition_implILS8_3ELb0ES6_jNS0_17counting_iteratorIjlEEPS9_SE_NS0_5tupleIJPjSE_EEENSF_IJSE_SE_EEES9_SG_JZNS1_25segmented_radix_sort_implINS0_14default_configELb0EPK6__halfPSL_PKlPlN2at6native12_GLOBAL__N_18offset_tEEE10hipError_tPvRmT1_PNSt15iterator_traitsISZ_E10value_typeET2_T3_PNS10_IS15_E10value_typeET4_jRbjT5_S1B_jjP12ihipStream_tbEUljE_EEESW_SX_SY_S15_S19_S1B_T6_T7_T9_mT8_S1D_bDpT10_ENKUlT_T0_E_clISt17integral_constantIbLb1EES1Q_EEDaS1L_S1M_EUlS1L_E_NS1_11comp_targetILNS1_3genE3ELNS1_11target_archE908ELNS1_3gpuE7ELNS1_3repE0EEENS1_30default_config_static_selectorELNS0_4arch9wavefront6targetE0EEEvSZ_
                                        ; -- End function
	.set _ZN7rocprim17ROCPRIM_400000_NS6detail17trampoline_kernelINS0_13select_configILj256ELj13ELNS0_17block_load_methodE3ELS4_3ELS4_3ELNS0_20block_scan_algorithmE0ELj4294967295EEENS1_25partition_config_selectorILNS1_17partition_subalgoE3EjNS0_10empty_typeEbEEZZNS1_14partition_implILS8_3ELb0ES6_jNS0_17counting_iteratorIjlEEPS9_SE_NS0_5tupleIJPjSE_EEENSF_IJSE_SE_EEES9_SG_JZNS1_25segmented_radix_sort_implINS0_14default_configELb0EPK6__halfPSL_PKlPlN2at6native12_GLOBAL__N_18offset_tEEE10hipError_tPvRmT1_PNSt15iterator_traitsISZ_E10value_typeET2_T3_PNS10_IS15_E10value_typeET4_jRbjT5_S1B_jjP12ihipStream_tbEUljE_EEESW_SX_SY_S15_S19_S1B_T6_T7_T9_mT8_S1D_bDpT10_ENKUlT_T0_E_clISt17integral_constantIbLb1EES1Q_EEDaS1L_S1M_EUlS1L_E_NS1_11comp_targetILNS1_3genE3ELNS1_11target_archE908ELNS1_3gpuE7ELNS1_3repE0EEENS1_30default_config_static_selectorELNS0_4arch9wavefront6targetE0EEEvSZ_.num_vgpr, 0
	.set _ZN7rocprim17ROCPRIM_400000_NS6detail17trampoline_kernelINS0_13select_configILj256ELj13ELNS0_17block_load_methodE3ELS4_3ELS4_3ELNS0_20block_scan_algorithmE0ELj4294967295EEENS1_25partition_config_selectorILNS1_17partition_subalgoE3EjNS0_10empty_typeEbEEZZNS1_14partition_implILS8_3ELb0ES6_jNS0_17counting_iteratorIjlEEPS9_SE_NS0_5tupleIJPjSE_EEENSF_IJSE_SE_EEES9_SG_JZNS1_25segmented_radix_sort_implINS0_14default_configELb0EPK6__halfPSL_PKlPlN2at6native12_GLOBAL__N_18offset_tEEE10hipError_tPvRmT1_PNSt15iterator_traitsISZ_E10value_typeET2_T3_PNS10_IS15_E10value_typeET4_jRbjT5_S1B_jjP12ihipStream_tbEUljE_EEESW_SX_SY_S15_S19_S1B_T6_T7_T9_mT8_S1D_bDpT10_ENKUlT_T0_E_clISt17integral_constantIbLb1EES1Q_EEDaS1L_S1M_EUlS1L_E_NS1_11comp_targetILNS1_3genE3ELNS1_11target_archE908ELNS1_3gpuE7ELNS1_3repE0EEENS1_30default_config_static_selectorELNS0_4arch9wavefront6targetE0EEEvSZ_.num_agpr, 0
	.set _ZN7rocprim17ROCPRIM_400000_NS6detail17trampoline_kernelINS0_13select_configILj256ELj13ELNS0_17block_load_methodE3ELS4_3ELS4_3ELNS0_20block_scan_algorithmE0ELj4294967295EEENS1_25partition_config_selectorILNS1_17partition_subalgoE3EjNS0_10empty_typeEbEEZZNS1_14partition_implILS8_3ELb0ES6_jNS0_17counting_iteratorIjlEEPS9_SE_NS0_5tupleIJPjSE_EEENSF_IJSE_SE_EEES9_SG_JZNS1_25segmented_radix_sort_implINS0_14default_configELb0EPK6__halfPSL_PKlPlN2at6native12_GLOBAL__N_18offset_tEEE10hipError_tPvRmT1_PNSt15iterator_traitsISZ_E10value_typeET2_T3_PNS10_IS15_E10value_typeET4_jRbjT5_S1B_jjP12ihipStream_tbEUljE_EEESW_SX_SY_S15_S19_S1B_T6_T7_T9_mT8_S1D_bDpT10_ENKUlT_T0_E_clISt17integral_constantIbLb1EES1Q_EEDaS1L_S1M_EUlS1L_E_NS1_11comp_targetILNS1_3genE3ELNS1_11target_archE908ELNS1_3gpuE7ELNS1_3repE0EEENS1_30default_config_static_selectorELNS0_4arch9wavefront6targetE0EEEvSZ_.numbered_sgpr, 0
	.set _ZN7rocprim17ROCPRIM_400000_NS6detail17trampoline_kernelINS0_13select_configILj256ELj13ELNS0_17block_load_methodE3ELS4_3ELS4_3ELNS0_20block_scan_algorithmE0ELj4294967295EEENS1_25partition_config_selectorILNS1_17partition_subalgoE3EjNS0_10empty_typeEbEEZZNS1_14partition_implILS8_3ELb0ES6_jNS0_17counting_iteratorIjlEEPS9_SE_NS0_5tupleIJPjSE_EEENSF_IJSE_SE_EEES9_SG_JZNS1_25segmented_radix_sort_implINS0_14default_configELb0EPK6__halfPSL_PKlPlN2at6native12_GLOBAL__N_18offset_tEEE10hipError_tPvRmT1_PNSt15iterator_traitsISZ_E10value_typeET2_T3_PNS10_IS15_E10value_typeET4_jRbjT5_S1B_jjP12ihipStream_tbEUljE_EEESW_SX_SY_S15_S19_S1B_T6_T7_T9_mT8_S1D_bDpT10_ENKUlT_T0_E_clISt17integral_constantIbLb1EES1Q_EEDaS1L_S1M_EUlS1L_E_NS1_11comp_targetILNS1_3genE3ELNS1_11target_archE908ELNS1_3gpuE7ELNS1_3repE0EEENS1_30default_config_static_selectorELNS0_4arch9wavefront6targetE0EEEvSZ_.num_named_barrier, 0
	.set _ZN7rocprim17ROCPRIM_400000_NS6detail17trampoline_kernelINS0_13select_configILj256ELj13ELNS0_17block_load_methodE3ELS4_3ELS4_3ELNS0_20block_scan_algorithmE0ELj4294967295EEENS1_25partition_config_selectorILNS1_17partition_subalgoE3EjNS0_10empty_typeEbEEZZNS1_14partition_implILS8_3ELb0ES6_jNS0_17counting_iteratorIjlEEPS9_SE_NS0_5tupleIJPjSE_EEENSF_IJSE_SE_EEES9_SG_JZNS1_25segmented_radix_sort_implINS0_14default_configELb0EPK6__halfPSL_PKlPlN2at6native12_GLOBAL__N_18offset_tEEE10hipError_tPvRmT1_PNSt15iterator_traitsISZ_E10value_typeET2_T3_PNS10_IS15_E10value_typeET4_jRbjT5_S1B_jjP12ihipStream_tbEUljE_EEESW_SX_SY_S15_S19_S1B_T6_T7_T9_mT8_S1D_bDpT10_ENKUlT_T0_E_clISt17integral_constantIbLb1EES1Q_EEDaS1L_S1M_EUlS1L_E_NS1_11comp_targetILNS1_3genE3ELNS1_11target_archE908ELNS1_3gpuE7ELNS1_3repE0EEENS1_30default_config_static_selectorELNS0_4arch9wavefront6targetE0EEEvSZ_.private_seg_size, 0
	.set _ZN7rocprim17ROCPRIM_400000_NS6detail17trampoline_kernelINS0_13select_configILj256ELj13ELNS0_17block_load_methodE3ELS4_3ELS4_3ELNS0_20block_scan_algorithmE0ELj4294967295EEENS1_25partition_config_selectorILNS1_17partition_subalgoE3EjNS0_10empty_typeEbEEZZNS1_14partition_implILS8_3ELb0ES6_jNS0_17counting_iteratorIjlEEPS9_SE_NS0_5tupleIJPjSE_EEENSF_IJSE_SE_EEES9_SG_JZNS1_25segmented_radix_sort_implINS0_14default_configELb0EPK6__halfPSL_PKlPlN2at6native12_GLOBAL__N_18offset_tEEE10hipError_tPvRmT1_PNSt15iterator_traitsISZ_E10value_typeET2_T3_PNS10_IS15_E10value_typeET4_jRbjT5_S1B_jjP12ihipStream_tbEUljE_EEESW_SX_SY_S15_S19_S1B_T6_T7_T9_mT8_S1D_bDpT10_ENKUlT_T0_E_clISt17integral_constantIbLb1EES1Q_EEDaS1L_S1M_EUlS1L_E_NS1_11comp_targetILNS1_3genE3ELNS1_11target_archE908ELNS1_3gpuE7ELNS1_3repE0EEENS1_30default_config_static_selectorELNS0_4arch9wavefront6targetE0EEEvSZ_.uses_vcc, 0
	.set _ZN7rocprim17ROCPRIM_400000_NS6detail17trampoline_kernelINS0_13select_configILj256ELj13ELNS0_17block_load_methodE3ELS4_3ELS4_3ELNS0_20block_scan_algorithmE0ELj4294967295EEENS1_25partition_config_selectorILNS1_17partition_subalgoE3EjNS0_10empty_typeEbEEZZNS1_14partition_implILS8_3ELb0ES6_jNS0_17counting_iteratorIjlEEPS9_SE_NS0_5tupleIJPjSE_EEENSF_IJSE_SE_EEES9_SG_JZNS1_25segmented_radix_sort_implINS0_14default_configELb0EPK6__halfPSL_PKlPlN2at6native12_GLOBAL__N_18offset_tEEE10hipError_tPvRmT1_PNSt15iterator_traitsISZ_E10value_typeET2_T3_PNS10_IS15_E10value_typeET4_jRbjT5_S1B_jjP12ihipStream_tbEUljE_EEESW_SX_SY_S15_S19_S1B_T6_T7_T9_mT8_S1D_bDpT10_ENKUlT_T0_E_clISt17integral_constantIbLb1EES1Q_EEDaS1L_S1M_EUlS1L_E_NS1_11comp_targetILNS1_3genE3ELNS1_11target_archE908ELNS1_3gpuE7ELNS1_3repE0EEENS1_30default_config_static_selectorELNS0_4arch9wavefront6targetE0EEEvSZ_.uses_flat_scratch, 0
	.set _ZN7rocprim17ROCPRIM_400000_NS6detail17trampoline_kernelINS0_13select_configILj256ELj13ELNS0_17block_load_methodE3ELS4_3ELS4_3ELNS0_20block_scan_algorithmE0ELj4294967295EEENS1_25partition_config_selectorILNS1_17partition_subalgoE3EjNS0_10empty_typeEbEEZZNS1_14partition_implILS8_3ELb0ES6_jNS0_17counting_iteratorIjlEEPS9_SE_NS0_5tupleIJPjSE_EEENSF_IJSE_SE_EEES9_SG_JZNS1_25segmented_radix_sort_implINS0_14default_configELb0EPK6__halfPSL_PKlPlN2at6native12_GLOBAL__N_18offset_tEEE10hipError_tPvRmT1_PNSt15iterator_traitsISZ_E10value_typeET2_T3_PNS10_IS15_E10value_typeET4_jRbjT5_S1B_jjP12ihipStream_tbEUljE_EEESW_SX_SY_S15_S19_S1B_T6_T7_T9_mT8_S1D_bDpT10_ENKUlT_T0_E_clISt17integral_constantIbLb1EES1Q_EEDaS1L_S1M_EUlS1L_E_NS1_11comp_targetILNS1_3genE3ELNS1_11target_archE908ELNS1_3gpuE7ELNS1_3repE0EEENS1_30default_config_static_selectorELNS0_4arch9wavefront6targetE0EEEvSZ_.has_dyn_sized_stack, 0
	.set _ZN7rocprim17ROCPRIM_400000_NS6detail17trampoline_kernelINS0_13select_configILj256ELj13ELNS0_17block_load_methodE3ELS4_3ELS4_3ELNS0_20block_scan_algorithmE0ELj4294967295EEENS1_25partition_config_selectorILNS1_17partition_subalgoE3EjNS0_10empty_typeEbEEZZNS1_14partition_implILS8_3ELb0ES6_jNS0_17counting_iteratorIjlEEPS9_SE_NS0_5tupleIJPjSE_EEENSF_IJSE_SE_EEES9_SG_JZNS1_25segmented_radix_sort_implINS0_14default_configELb0EPK6__halfPSL_PKlPlN2at6native12_GLOBAL__N_18offset_tEEE10hipError_tPvRmT1_PNSt15iterator_traitsISZ_E10value_typeET2_T3_PNS10_IS15_E10value_typeET4_jRbjT5_S1B_jjP12ihipStream_tbEUljE_EEESW_SX_SY_S15_S19_S1B_T6_T7_T9_mT8_S1D_bDpT10_ENKUlT_T0_E_clISt17integral_constantIbLb1EES1Q_EEDaS1L_S1M_EUlS1L_E_NS1_11comp_targetILNS1_3genE3ELNS1_11target_archE908ELNS1_3gpuE7ELNS1_3repE0EEENS1_30default_config_static_selectorELNS0_4arch9wavefront6targetE0EEEvSZ_.has_recursion, 0
	.set _ZN7rocprim17ROCPRIM_400000_NS6detail17trampoline_kernelINS0_13select_configILj256ELj13ELNS0_17block_load_methodE3ELS4_3ELS4_3ELNS0_20block_scan_algorithmE0ELj4294967295EEENS1_25partition_config_selectorILNS1_17partition_subalgoE3EjNS0_10empty_typeEbEEZZNS1_14partition_implILS8_3ELb0ES6_jNS0_17counting_iteratorIjlEEPS9_SE_NS0_5tupleIJPjSE_EEENSF_IJSE_SE_EEES9_SG_JZNS1_25segmented_radix_sort_implINS0_14default_configELb0EPK6__halfPSL_PKlPlN2at6native12_GLOBAL__N_18offset_tEEE10hipError_tPvRmT1_PNSt15iterator_traitsISZ_E10value_typeET2_T3_PNS10_IS15_E10value_typeET4_jRbjT5_S1B_jjP12ihipStream_tbEUljE_EEESW_SX_SY_S15_S19_S1B_T6_T7_T9_mT8_S1D_bDpT10_ENKUlT_T0_E_clISt17integral_constantIbLb1EES1Q_EEDaS1L_S1M_EUlS1L_E_NS1_11comp_targetILNS1_3genE3ELNS1_11target_archE908ELNS1_3gpuE7ELNS1_3repE0EEENS1_30default_config_static_selectorELNS0_4arch9wavefront6targetE0EEEvSZ_.has_indirect_call, 0
	.section	.AMDGPU.csdata,"",@progbits
; Kernel info:
; codeLenInByte = 0
; TotalNumSgprs: 0
; NumVgprs: 0
; ScratchSize: 0
; MemoryBound: 0
; FloatMode: 240
; IeeeMode: 1
; LDSByteSize: 0 bytes/workgroup (compile time only)
; SGPRBlocks: 0
; VGPRBlocks: 0
; NumSGPRsForWavesPerEU: 1
; NumVGPRsForWavesPerEU: 1
; NamedBarCnt: 0
; Occupancy: 16
; WaveLimiterHint : 0
; COMPUTE_PGM_RSRC2:SCRATCH_EN: 0
; COMPUTE_PGM_RSRC2:USER_SGPR: 2
; COMPUTE_PGM_RSRC2:TRAP_HANDLER: 0
; COMPUTE_PGM_RSRC2:TGID_X_EN: 1
; COMPUTE_PGM_RSRC2:TGID_Y_EN: 0
; COMPUTE_PGM_RSRC2:TGID_Z_EN: 0
; COMPUTE_PGM_RSRC2:TIDIG_COMP_CNT: 0
	.section	.text._ZN7rocprim17ROCPRIM_400000_NS6detail17trampoline_kernelINS0_13select_configILj256ELj13ELNS0_17block_load_methodE3ELS4_3ELS4_3ELNS0_20block_scan_algorithmE0ELj4294967295EEENS1_25partition_config_selectorILNS1_17partition_subalgoE3EjNS0_10empty_typeEbEEZZNS1_14partition_implILS8_3ELb0ES6_jNS0_17counting_iteratorIjlEEPS9_SE_NS0_5tupleIJPjSE_EEENSF_IJSE_SE_EEES9_SG_JZNS1_25segmented_radix_sort_implINS0_14default_configELb0EPK6__halfPSL_PKlPlN2at6native12_GLOBAL__N_18offset_tEEE10hipError_tPvRmT1_PNSt15iterator_traitsISZ_E10value_typeET2_T3_PNS10_IS15_E10value_typeET4_jRbjT5_S1B_jjP12ihipStream_tbEUljE_EEESW_SX_SY_S15_S19_S1B_T6_T7_T9_mT8_S1D_bDpT10_ENKUlT_T0_E_clISt17integral_constantIbLb1EES1Q_EEDaS1L_S1M_EUlS1L_E_NS1_11comp_targetILNS1_3genE2ELNS1_11target_archE906ELNS1_3gpuE6ELNS1_3repE0EEENS1_30default_config_static_selectorELNS0_4arch9wavefront6targetE0EEEvSZ_,"axG",@progbits,_ZN7rocprim17ROCPRIM_400000_NS6detail17trampoline_kernelINS0_13select_configILj256ELj13ELNS0_17block_load_methodE3ELS4_3ELS4_3ELNS0_20block_scan_algorithmE0ELj4294967295EEENS1_25partition_config_selectorILNS1_17partition_subalgoE3EjNS0_10empty_typeEbEEZZNS1_14partition_implILS8_3ELb0ES6_jNS0_17counting_iteratorIjlEEPS9_SE_NS0_5tupleIJPjSE_EEENSF_IJSE_SE_EEES9_SG_JZNS1_25segmented_radix_sort_implINS0_14default_configELb0EPK6__halfPSL_PKlPlN2at6native12_GLOBAL__N_18offset_tEEE10hipError_tPvRmT1_PNSt15iterator_traitsISZ_E10value_typeET2_T3_PNS10_IS15_E10value_typeET4_jRbjT5_S1B_jjP12ihipStream_tbEUljE_EEESW_SX_SY_S15_S19_S1B_T6_T7_T9_mT8_S1D_bDpT10_ENKUlT_T0_E_clISt17integral_constantIbLb1EES1Q_EEDaS1L_S1M_EUlS1L_E_NS1_11comp_targetILNS1_3genE2ELNS1_11target_archE906ELNS1_3gpuE6ELNS1_3repE0EEENS1_30default_config_static_selectorELNS0_4arch9wavefront6targetE0EEEvSZ_,comdat
	.globl	_ZN7rocprim17ROCPRIM_400000_NS6detail17trampoline_kernelINS0_13select_configILj256ELj13ELNS0_17block_load_methodE3ELS4_3ELS4_3ELNS0_20block_scan_algorithmE0ELj4294967295EEENS1_25partition_config_selectorILNS1_17partition_subalgoE3EjNS0_10empty_typeEbEEZZNS1_14partition_implILS8_3ELb0ES6_jNS0_17counting_iteratorIjlEEPS9_SE_NS0_5tupleIJPjSE_EEENSF_IJSE_SE_EEES9_SG_JZNS1_25segmented_radix_sort_implINS0_14default_configELb0EPK6__halfPSL_PKlPlN2at6native12_GLOBAL__N_18offset_tEEE10hipError_tPvRmT1_PNSt15iterator_traitsISZ_E10value_typeET2_T3_PNS10_IS15_E10value_typeET4_jRbjT5_S1B_jjP12ihipStream_tbEUljE_EEESW_SX_SY_S15_S19_S1B_T6_T7_T9_mT8_S1D_bDpT10_ENKUlT_T0_E_clISt17integral_constantIbLb1EES1Q_EEDaS1L_S1M_EUlS1L_E_NS1_11comp_targetILNS1_3genE2ELNS1_11target_archE906ELNS1_3gpuE6ELNS1_3repE0EEENS1_30default_config_static_selectorELNS0_4arch9wavefront6targetE0EEEvSZ_ ; -- Begin function _ZN7rocprim17ROCPRIM_400000_NS6detail17trampoline_kernelINS0_13select_configILj256ELj13ELNS0_17block_load_methodE3ELS4_3ELS4_3ELNS0_20block_scan_algorithmE0ELj4294967295EEENS1_25partition_config_selectorILNS1_17partition_subalgoE3EjNS0_10empty_typeEbEEZZNS1_14partition_implILS8_3ELb0ES6_jNS0_17counting_iteratorIjlEEPS9_SE_NS0_5tupleIJPjSE_EEENSF_IJSE_SE_EEES9_SG_JZNS1_25segmented_radix_sort_implINS0_14default_configELb0EPK6__halfPSL_PKlPlN2at6native12_GLOBAL__N_18offset_tEEE10hipError_tPvRmT1_PNSt15iterator_traitsISZ_E10value_typeET2_T3_PNS10_IS15_E10value_typeET4_jRbjT5_S1B_jjP12ihipStream_tbEUljE_EEESW_SX_SY_S15_S19_S1B_T6_T7_T9_mT8_S1D_bDpT10_ENKUlT_T0_E_clISt17integral_constantIbLb1EES1Q_EEDaS1L_S1M_EUlS1L_E_NS1_11comp_targetILNS1_3genE2ELNS1_11target_archE906ELNS1_3gpuE6ELNS1_3repE0EEENS1_30default_config_static_selectorELNS0_4arch9wavefront6targetE0EEEvSZ_
	.p2align	8
	.type	_ZN7rocprim17ROCPRIM_400000_NS6detail17trampoline_kernelINS0_13select_configILj256ELj13ELNS0_17block_load_methodE3ELS4_3ELS4_3ELNS0_20block_scan_algorithmE0ELj4294967295EEENS1_25partition_config_selectorILNS1_17partition_subalgoE3EjNS0_10empty_typeEbEEZZNS1_14partition_implILS8_3ELb0ES6_jNS0_17counting_iteratorIjlEEPS9_SE_NS0_5tupleIJPjSE_EEENSF_IJSE_SE_EEES9_SG_JZNS1_25segmented_radix_sort_implINS0_14default_configELb0EPK6__halfPSL_PKlPlN2at6native12_GLOBAL__N_18offset_tEEE10hipError_tPvRmT1_PNSt15iterator_traitsISZ_E10value_typeET2_T3_PNS10_IS15_E10value_typeET4_jRbjT5_S1B_jjP12ihipStream_tbEUljE_EEESW_SX_SY_S15_S19_S1B_T6_T7_T9_mT8_S1D_bDpT10_ENKUlT_T0_E_clISt17integral_constantIbLb1EES1Q_EEDaS1L_S1M_EUlS1L_E_NS1_11comp_targetILNS1_3genE2ELNS1_11target_archE906ELNS1_3gpuE6ELNS1_3repE0EEENS1_30default_config_static_selectorELNS0_4arch9wavefront6targetE0EEEvSZ_,@function
_ZN7rocprim17ROCPRIM_400000_NS6detail17trampoline_kernelINS0_13select_configILj256ELj13ELNS0_17block_load_methodE3ELS4_3ELS4_3ELNS0_20block_scan_algorithmE0ELj4294967295EEENS1_25partition_config_selectorILNS1_17partition_subalgoE3EjNS0_10empty_typeEbEEZZNS1_14partition_implILS8_3ELb0ES6_jNS0_17counting_iteratorIjlEEPS9_SE_NS0_5tupleIJPjSE_EEENSF_IJSE_SE_EEES9_SG_JZNS1_25segmented_radix_sort_implINS0_14default_configELb0EPK6__halfPSL_PKlPlN2at6native12_GLOBAL__N_18offset_tEEE10hipError_tPvRmT1_PNSt15iterator_traitsISZ_E10value_typeET2_T3_PNS10_IS15_E10value_typeET4_jRbjT5_S1B_jjP12ihipStream_tbEUljE_EEESW_SX_SY_S15_S19_S1B_T6_T7_T9_mT8_S1D_bDpT10_ENKUlT_T0_E_clISt17integral_constantIbLb1EES1Q_EEDaS1L_S1M_EUlS1L_E_NS1_11comp_targetILNS1_3genE2ELNS1_11target_archE906ELNS1_3gpuE6ELNS1_3repE0EEENS1_30default_config_static_selectorELNS0_4arch9wavefront6targetE0EEEvSZ_: ; @_ZN7rocprim17ROCPRIM_400000_NS6detail17trampoline_kernelINS0_13select_configILj256ELj13ELNS0_17block_load_methodE3ELS4_3ELS4_3ELNS0_20block_scan_algorithmE0ELj4294967295EEENS1_25partition_config_selectorILNS1_17partition_subalgoE3EjNS0_10empty_typeEbEEZZNS1_14partition_implILS8_3ELb0ES6_jNS0_17counting_iteratorIjlEEPS9_SE_NS0_5tupleIJPjSE_EEENSF_IJSE_SE_EEES9_SG_JZNS1_25segmented_radix_sort_implINS0_14default_configELb0EPK6__halfPSL_PKlPlN2at6native12_GLOBAL__N_18offset_tEEE10hipError_tPvRmT1_PNSt15iterator_traitsISZ_E10value_typeET2_T3_PNS10_IS15_E10value_typeET4_jRbjT5_S1B_jjP12ihipStream_tbEUljE_EEESW_SX_SY_S15_S19_S1B_T6_T7_T9_mT8_S1D_bDpT10_ENKUlT_T0_E_clISt17integral_constantIbLb1EES1Q_EEDaS1L_S1M_EUlS1L_E_NS1_11comp_targetILNS1_3genE2ELNS1_11target_archE906ELNS1_3gpuE6ELNS1_3repE0EEENS1_30default_config_static_selectorELNS0_4arch9wavefront6targetE0EEEvSZ_
; %bb.0:
	.section	.rodata,"a",@progbits
	.p2align	6, 0x0
	.amdhsa_kernel _ZN7rocprim17ROCPRIM_400000_NS6detail17trampoline_kernelINS0_13select_configILj256ELj13ELNS0_17block_load_methodE3ELS4_3ELS4_3ELNS0_20block_scan_algorithmE0ELj4294967295EEENS1_25partition_config_selectorILNS1_17partition_subalgoE3EjNS0_10empty_typeEbEEZZNS1_14partition_implILS8_3ELb0ES6_jNS0_17counting_iteratorIjlEEPS9_SE_NS0_5tupleIJPjSE_EEENSF_IJSE_SE_EEES9_SG_JZNS1_25segmented_radix_sort_implINS0_14default_configELb0EPK6__halfPSL_PKlPlN2at6native12_GLOBAL__N_18offset_tEEE10hipError_tPvRmT1_PNSt15iterator_traitsISZ_E10value_typeET2_T3_PNS10_IS15_E10value_typeET4_jRbjT5_S1B_jjP12ihipStream_tbEUljE_EEESW_SX_SY_S15_S19_S1B_T6_T7_T9_mT8_S1D_bDpT10_ENKUlT_T0_E_clISt17integral_constantIbLb1EES1Q_EEDaS1L_S1M_EUlS1L_E_NS1_11comp_targetILNS1_3genE2ELNS1_11target_archE906ELNS1_3gpuE6ELNS1_3repE0EEENS1_30default_config_static_selectorELNS0_4arch9wavefront6targetE0EEEvSZ_
		.amdhsa_group_segment_fixed_size 0
		.amdhsa_private_segment_fixed_size 0
		.amdhsa_kernarg_size 152
		.amdhsa_user_sgpr_count 2
		.amdhsa_user_sgpr_dispatch_ptr 0
		.amdhsa_user_sgpr_queue_ptr 0
		.amdhsa_user_sgpr_kernarg_segment_ptr 1
		.amdhsa_user_sgpr_dispatch_id 0
		.amdhsa_user_sgpr_kernarg_preload_length 0
		.amdhsa_user_sgpr_kernarg_preload_offset 0
		.amdhsa_user_sgpr_private_segment_size 0
		.amdhsa_wavefront_size32 1
		.amdhsa_uses_dynamic_stack 0
		.amdhsa_enable_private_segment 0
		.amdhsa_system_sgpr_workgroup_id_x 1
		.amdhsa_system_sgpr_workgroup_id_y 0
		.amdhsa_system_sgpr_workgroup_id_z 0
		.amdhsa_system_sgpr_workgroup_info 0
		.amdhsa_system_vgpr_workitem_id 0
		.amdhsa_next_free_vgpr 1
		.amdhsa_next_free_sgpr 1
		.amdhsa_named_barrier_count 0
		.amdhsa_reserve_vcc 0
		.amdhsa_float_round_mode_32 0
		.amdhsa_float_round_mode_16_64 0
		.amdhsa_float_denorm_mode_32 3
		.amdhsa_float_denorm_mode_16_64 3
		.amdhsa_fp16_overflow 0
		.amdhsa_memory_ordered 1
		.amdhsa_forward_progress 1
		.amdhsa_inst_pref_size 0
		.amdhsa_round_robin_scheduling 0
		.amdhsa_exception_fp_ieee_invalid_op 0
		.amdhsa_exception_fp_denorm_src 0
		.amdhsa_exception_fp_ieee_div_zero 0
		.amdhsa_exception_fp_ieee_overflow 0
		.amdhsa_exception_fp_ieee_underflow 0
		.amdhsa_exception_fp_ieee_inexact 0
		.amdhsa_exception_int_div_zero 0
	.end_amdhsa_kernel
	.section	.text._ZN7rocprim17ROCPRIM_400000_NS6detail17trampoline_kernelINS0_13select_configILj256ELj13ELNS0_17block_load_methodE3ELS4_3ELS4_3ELNS0_20block_scan_algorithmE0ELj4294967295EEENS1_25partition_config_selectorILNS1_17partition_subalgoE3EjNS0_10empty_typeEbEEZZNS1_14partition_implILS8_3ELb0ES6_jNS0_17counting_iteratorIjlEEPS9_SE_NS0_5tupleIJPjSE_EEENSF_IJSE_SE_EEES9_SG_JZNS1_25segmented_radix_sort_implINS0_14default_configELb0EPK6__halfPSL_PKlPlN2at6native12_GLOBAL__N_18offset_tEEE10hipError_tPvRmT1_PNSt15iterator_traitsISZ_E10value_typeET2_T3_PNS10_IS15_E10value_typeET4_jRbjT5_S1B_jjP12ihipStream_tbEUljE_EEESW_SX_SY_S15_S19_S1B_T6_T7_T9_mT8_S1D_bDpT10_ENKUlT_T0_E_clISt17integral_constantIbLb1EES1Q_EEDaS1L_S1M_EUlS1L_E_NS1_11comp_targetILNS1_3genE2ELNS1_11target_archE906ELNS1_3gpuE6ELNS1_3repE0EEENS1_30default_config_static_selectorELNS0_4arch9wavefront6targetE0EEEvSZ_,"axG",@progbits,_ZN7rocprim17ROCPRIM_400000_NS6detail17trampoline_kernelINS0_13select_configILj256ELj13ELNS0_17block_load_methodE3ELS4_3ELS4_3ELNS0_20block_scan_algorithmE0ELj4294967295EEENS1_25partition_config_selectorILNS1_17partition_subalgoE3EjNS0_10empty_typeEbEEZZNS1_14partition_implILS8_3ELb0ES6_jNS0_17counting_iteratorIjlEEPS9_SE_NS0_5tupleIJPjSE_EEENSF_IJSE_SE_EEES9_SG_JZNS1_25segmented_radix_sort_implINS0_14default_configELb0EPK6__halfPSL_PKlPlN2at6native12_GLOBAL__N_18offset_tEEE10hipError_tPvRmT1_PNSt15iterator_traitsISZ_E10value_typeET2_T3_PNS10_IS15_E10value_typeET4_jRbjT5_S1B_jjP12ihipStream_tbEUljE_EEESW_SX_SY_S15_S19_S1B_T6_T7_T9_mT8_S1D_bDpT10_ENKUlT_T0_E_clISt17integral_constantIbLb1EES1Q_EEDaS1L_S1M_EUlS1L_E_NS1_11comp_targetILNS1_3genE2ELNS1_11target_archE906ELNS1_3gpuE6ELNS1_3repE0EEENS1_30default_config_static_selectorELNS0_4arch9wavefront6targetE0EEEvSZ_,comdat
.Lfunc_end1812:
	.size	_ZN7rocprim17ROCPRIM_400000_NS6detail17trampoline_kernelINS0_13select_configILj256ELj13ELNS0_17block_load_methodE3ELS4_3ELS4_3ELNS0_20block_scan_algorithmE0ELj4294967295EEENS1_25partition_config_selectorILNS1_17partition_subalgoE3EjNS0_10empty_typeEbEEZZNS1_14partition_implILS8_3ELb0ES6_jNS0_17counting_iteratorIjlEEPS9_SE_NS0_5tupleIJPjSE_EEENSF_IJSE_SE_EEES9_SG_JZNS1_25segmented_radix_sort_implINS0_14default_configELb0EPK6__halfPSL_PKlPlN2at6native12_GLOBAL__N_18offset_tEEE10hipError_tPvRmT1_PNSt15iterator_traitsISZ_E10value_typeET2_T3_PNS10_IS15_E10value_typeET4_jRbjT5_S1B_jjP12ihipStream_tbEUljE_EEESW_SX_SY_S15_S19_S1B_T6_T7_T9_mT8_S1D_bDpT10_ENKUlT_T0_E_clISt17integral_constantIbLb1EES1Q_EEDaS1L_S1M_EUlS1L_E_NS1_11comp_targetILNS1_3genE2ELNS1_11target_archE906ELNS1_3gpuE6ELNS1_3repE0EEENS1_30default_config_static_selectorELNS0_4arch9wavefront6targetE0EEEvSZ_, .Lfunc_end1812-_ZN7rocprim17ROCPRIM_400000_NS6detail17trampoline_kernelINS0_13select_configILj256ELj13ELNS0_17block_load_methodE3ELS4_3ELS4_3ELNS0_20block_scan_algorithmE0ELj4294967295EEENS1_25partition_config_selectorILNS1_17partition_subalgoE3EjNS0_10empty_typeEbEEZZNS1_14partition_implILS8_3ELb0ES6_jNS0_17counting_iteratorIjlEEPS9_SE_NS0_5tupleIJPjSE_EEENSF_IJSE_SE_EEES9_SG_JZNS1_25segmented_radix_sort_implINS0_14default_configELb0EPK6__halfPSL_PKlPlN2at6native12_GLOBAL__N_18offset_tEEE10hipError_tPvRmT1_PNSt15iterator_traitsISZ_E10value_typeET2_T3_PNS10_IS15_E10value_typeET4_jRbjT5_S1B_jjP12ihipStream_tbEUljE_EEESW_SX_SY_S15_S19_S1B_T6_T7_T9_mT8_S1D_bDpT10_ENKUlT_T0_E_clISt17integral_constantIbLb1EES1Q_EEDaS1L_S1M_EUlS1L_E_NS1_11comp_targetILNS1_3genE2ELNS1_11target_archE906ELNS1_3gpuE6ELNS1_3repE0EEENS1_30default_config_static_selectorELNS0_4arch9wavefront6targetE0EEEvSZ_
                                        ; -- End function
	.set _ZN7rocprim17ROCPRIM_400000_NS6detail17trampoline_kernelINS0_13select_configILj256ELj13ELNS0_17block_load_methodE3ELS4_3ELS4_3ELNS0_20block_scan_algorithmE0ELj4294967295EEENS1_25partition_config_selectorILNS1_17partition_subalgoE3EjNS0_10empty_typeEbEEZZNS1_14partition_implILS8_3ELb0ES6_jNS0_17counting_iteratorIjlEEPS9_SE_NS0_5tupleIJPjSE_EEENSF_IJSE_SE_EEES9_SG_JZNS1_25segmented_radix_sort_implINS0_14default_configELb0EPK6__halfPSL_PKlPlN2at6native12_GLOBAL__N_18offset_tEEE10hipError_tPvRmT1_PNSt15iterator_traitsISZ_E10value_typeET2_T3_PNS10_IS15_E10value_typeET4_jRbjT5_S1B_jjP12ihipStream_tbEUljE_EEESW_SX_SY_S15_S19_S1B_T6_T7_T9_mT8_S1D_bDpT10_ENKUlT_T0_E_clISt17integral_constantIbLb1EES1Q_EEDaS1L_S1M_EUlS1L_E_NS1_11comp_targetILNS1_3genE2ELNS1_11target_archE906ELNS1_3gpuE6ELNS1_3repE0EEENS1_30default_config_static_selectorELNS0_4arch9wavefront6targetE0EEEvSZ_.num_vgpr, 0
	.set _ZN7rocprim17ROCPRIM_400000_NS6detail17trampoline_kernelINS0_13select_configILj256ELj13ELNS0_17block_load_methodE3ELS4_3ELS4_3ELNS0_20block_scan_algorithmE0ELj4294967295EEENS1_25partition_config_selectorILNS1_17partition_subalgoE3EjNS0_10empty_typeEbEEZZNS1_14partition_implILS8_3ELb0ES6_jNS0_17counting_iteratorIjlEEPS9_SE_NS0_5tupleIJPjSE_EEENSF_IJSE_SE_EEES9_SG_JZNS1_25segmented_radix_sort_implINS0_14default_configELb0EPK6__halfPSL_PKlPlN2at6native12_GLOBAL__N_18offset_tEEE10hipError_tPvRmT1_PNSt15iterator_traitsISZ_E10value_typeET2_T3_PNS10_IS15_E10value_typeET4_jRbjT5_S1B_jjP12ihipStream_tbEUljE_EEESW_SX_SY_S15_S19_S1B_T6_T7_T9_mT8_S1D_bDpT10_ENKUlT_T0_E_clISt17integral_constantIbLb1EES1Q_EEDaS1L_S1M_EUlS1L_E_NS1_11comp_targetILNS1_3genE2ELNS1_11target_archE906ELNS1_3gpuE6ELNS1_3repE0EEENS1_30default_config_static_selectorELNS0_4arch9wavefront6targetE0EEEvSZ_.num_agpr, 0
	.set _ZN7rocprim17ROCPRIM_400000_NS6detail17trampoline_kernelINS0_13select_configILj256ELj13ELNS0_17block_load_methodE3ELS4_3ELS4_3ELNS0_20block_scan_algorithmE0ELj4294967295EEENS1_25partition_config_selectorILNS1_17partition_subalgoE3EjNS0_10empty_typeEbEEZZNS1_14partition_implILS8_3ELb0ES6_jNS0_17counting_iteratorIjlEEPS9_SE_NS0_5tupleIJPjSE_EEENSF_IJSE_SE_EEES9_SG_JZNS1_25segmented_radix_sort_implINS0_14default_configELb0EPK6__halfPSL_PKlPlN2at6native12_GLOBAL__N_18offset_tEEE10hipError_tPvRmT1_PNSt15iterator_traitsISZ_E10value_typeET2_T3_PNS10_IS15_E10value_typeET4_jRbjT5_S1B_jjP12ihipStream_tbEUljE_EEESW_SX_SY_S15_S19_S1B_T6_T7_T9_mT8_S1D_bDpT10_ENKUlT_T0_E_clISt17integral_constantIbLb1EES1Q_EEDaS1L_S1M_EUlS1L_E_NS1_11comp_targetILNS1_3genE2ELNS1_11target_archE906ELNS1_3gpuE6ELNS1_3repE0EEENS1_30default_config_static_selectorELNS0_4arch9wavefront6targetE0EEEvSZ_.numbered_sgpr, 0
	.set _ZN7rocprim17ROCPRIM_400000_NS6detail17trampoline_kernelINS0_13select_configILj256ELj13ELNS0_17block_load_methodE3ELS4_3ELS4_3ELNS0_20block_scan_algorithmE0ELj4294967295EEENS1_25partition_config_selectorILNS1_17partition_subalgoE3EjNS0_10empty_typeEbEEZZNS1_14partition_implILS8_3ELb0ES6_jNS0_17counting_iteratorIjlEEPS9_SE_NS0_5tupleIJPjSE_EEENSF_IJSE_SE_EEES9_SG_JZNS1_25segmented_radix_sort_implINS0_14default_configELb0EPK6__halfPSL_PKlPlN2at6native12_GLOBAL__N_18offset_tEEE10hipError_tPvRmT1_PNSt15iterator_traitsISZ_E10value_typeET2_T3_PNS10_IS15_E10value_typeET4_jRbjT5_S1B_jjP12ihipStream_tbEUljE_EEESW_SX_SY_S15_S19_S1B_T6_T7_T9_mT8_S1D_bDpT10_ENKUlT_T0_E_clISt17integral_constantIbLb1EES1Q_EEDaS1L_S1M_EUlS1L_E_NS1_11comp_targetILNS1_3genE2ELNS1_11target_archE906ELNS1_3gpuE6ELNS1_3repE0EEENS1_30default_config_static_selectorELNS0_4arch9wavefront6targetE0EEEvSZ_.num_named_barrier, 0
	.set _ZN7rocprim17ROCPRIM_400000_NS6detail17trampoline_kernelINS0_13select_configILj256ELj13ELNS0_17block_load_methodE3ELS4_3ELS4_3ELNS0_20block_scan_algorithmE0ELj4294967295EEENS1_25partition_config_selectorILNS1_17partition_subalgoE3EjNS0_10empty_typeEbEEZZNS1_14partition_implILS8_3ELb0ES6_jNS0_17counting_iteratorIjlEEPS9_SE_NS0_5tupleIJPjSE_EEENSF_IJSE_SE_EEES9_SG_JZNS1_25segmented_radix_sort_implINS0_14default_configELb0EPK6__halfPSL_PKlPlN2at6native12_GLOBAL__N_18offset_tEEE10hipError_tPvRmT1_PNSt15iterator_traitsISZ_E10value_typeET2_T3_PNS10_IS15_E10value_typeET4_jRbjT5_S1B_jjP12ihipStream_tbEUljE_EEESW_SX_SY_S15_S19_S1B_T6_T7_T9_mT8_S1D_bDpT10_ENKUlT_T0_E_clISt17integral_constantIbLb1EES1Q_EEDaS1L_S1M_EUlS1L_E_NS1_11comp_targetILNS1_3genE2ELNS1_11target_archE906ELNS1_3gpuE6ELNS1_3repE0EEENS1_30default_config_static_selectorELNS0_4arch9wavefront6targetE0EEEvSZ_.private_seg_size, 0
	.set _ZN7rocprim17ROCPRIM_400000_NS6detail17trampoline_kernelINS0_13select_configILj256ELj13ELNS0_17block_load_methodE3ELS4_3ELS4_3ELNS0_20block_scan_algorithmE0ELj4294967295EEENS1_25partition_config_selectorILNS1_17partition_subalgoE3EjNS0_10empty_typeEbEEZZNS1_14partition_implILS8_3ELb0ES6_jNS0_17counting_iteratorIjlEEPS9_SE_NS0_5tupleIJPjSE_EEENSF_IJSE_SE_EEES9_SG_JZNS1_25segmented_radix_sort_implINS0_14default_configELb0EPK6__halfPSL_PKlPlN2at6native12_GLOBAL__N_18offset_tEEE10hipError_tPvRmT1_PNSt15iterator_traitsISZ_E10value_typeET2_T3_PNS10_IS15_E10value_typeET4_jRbjT5_S1B_jjP12ihipStream_tbEUljE_EEESW_SX_SY_S15_S19_S1B_T6_T7_T9_mT8_S1D_bDpT10_ENKUlT_T0_E_clISt17integral_constantIbLb1EES1Q_EEDaS1L_S1M_EUlS1L_E_NS1_11comp_targetILNS1_3genE2ELNS1_11target_archE906ELNS1_3gpuE6ELNS1_3repE0EEENS1_30default_config_static_selectorELNS0_4arch9wavefront6targetE0EEEvSZ_.uses_vcc, 0
	.set _ZN7rocprim17ROCPRIM_400000_NS6detail17trampoline_kernelINS0_13select_configILj256ELj13ELNS0_17block_load_methodE3ELS4_3ELS4_3ELNS0_20block_scan_algorithmE0ELj4294967295EEENS1_25partition_config_selectorILNS1_17partition_subalgoE3EjNS0_10empty_typeEbEEZZNS1_14partition_implILS8_3ELb0ES6_jNS0_17counting_iteratorIjlEEPS9_SE_NS0_5tupleIJPjSE_EEENSF_IJSE_SE_EEES9_SG_JZNS1_25segmented_radix_sort_implINS0_14default_configELb0EPK6__halfPSL_PKlPlN2at6native12_GLOBAL__N_18offset_tEEE10hipError_tPvRmT1_PNSt15iterator_traitsISZ_E10value_typeET2_T3_PNS10_IS15_E10value_typeET4_jRbjT5_S1B_jjP12ihipStream_tbEUljE_EEESW_SX_SY_S15_S19_S1B_T6_T7_T9_mT8_S1D_bDpT10_ENKUlT_T0_E_clISt17integral_constantIbLb1EES1Q_EEDaS1L_S1M_EUlS1L_E_NS1_11comp_targetILNS1_3genE2ELNS1_11target_archE906ELNS1_3gpuE6ELNS1_3repE0EEENS1_30default_config_static_selectorELNS0_4arch9wavefront6targetE0EEEvSZ_.uses_flat_scratch, 0
	.set _ZN7rocprim17ROCPRIM_400000_NS6detail17trampoline_kernelINS0_13select_configILj256ELj13ELNS0_17block_load_methodE3ELS4_3ELS4_3ELNS0_20block_scan_algorithmE0ELj4294967295EEENS1_25partition_config_selectorILNS1_17partition_subalgoE3EjNS0_10empty_typeEbEEZZNS1_14partition_implILS8_3ELb0ES6_jNS0_17counting_iteratorIjlEEPS9_SE_NS0_5tupleIJPjSE_EEENSF_IJSE_SE_EEES9_SG_JZNS1_25segmented_radix_sort_implINS0_14default_configELb0EPK6__halfPSL_PKlPlN2at6native12_GLOBAL__N_18offset_tEEE10hipError_tPvRmT1_PNSt15iterator_traitsISZ_E10value_typeET2_T3_PNS10_IS15_E10value_typeET4_jRbjT5_S1B_jjP12ihipStream_tbEUljE_EEESW_SX_SY_S15_S19_S1B_T6_T7_T9_mT8_S1D_bDpT10_ENKUlT_T0_E_clISt17integral_constantIbLb1EES1Q_EEDaS1L_S1M_EUlS1L_E_NS1_11comp_targetILNS1_3genE2ELNS1_11target_archE906ELNS1_3gpuE6ELNS1_3repE0EEENS1_30default_config_static_selectorELNS0_4arch9wavefront6targetE0EEEvSZ_.has_dyn_sized_stack, 0
	.set _ZN7rocprim17ROCPRIM_400000_NS6detail17trampoline_kernelINS0_13select_configILj256ELj13ELNS0_17block_load_methodE3ELS4_3ELS4_3ELNS0_20block_scan_algorithmE0ELj4294967295EEENS1_25partition_config_selectorILNS1_17partition_subalgoE3EjNS0_10empty_typeEbEEZZNS1_14partition_implILS8_3ELb0ES6_jNS0_17counting_iteratorIjlEEPS9_SE_NS0_5tupleIJPjSE_EEENSF_IJSE_SE_EEES9_SG_JZNS1_25segmented_radix_sort_implINS0_14default_configELb0EPK6__halfPSL_PKlPlN2at6native12_GLOBAL__N_18offset_tEEE10hipError_tPvRmT1_PNSt15iterator_traitsISZ_E10value_typeET2_T3_PNS10_IS15_E10value_typeET4_jRbjT5_S1B_jjP12ihipStream_tbEUljE_EEESW_SX_SY_S15_S19_S1B_T6_T7_T9_mT8_S1D_bDpT10_ENKUlT_T0_E_clISt17integral_constantIbLb1EES1Q_EEDaS1L_S1M_EUlS1L_E_NS1_11comp_targetILNS1_3genE2ELNS1_11target_archE906ELNS1_3gpuE6ELNS1_3repE0EEENS1_30default_config_static_selectorELNS0_4arch9wavefront6targetE0EEEvSZ_.has_recursion, 0
	.set _ZN7rocprim17ROCPRIM_400000_NS6detail17trampoline_kernelINS0_13select_configILj256ELj13ELNS0_17block_load_methodE3ELS4_3ELS4_3ELNS0_20block_scan_algorithmE0ELj4294967295EEENS1_25partition_config_selectorILNS1_17partition_subalgoE3EjNS0_10empty_typeEbEEZZNS1_14partition_implILS8_3ELb0ES6_jNS0_17counting_iteratorIjlEEPS9_SE_NS0_5tupleIJPjSE_EEENSF_IJSE_SE_EEES9_SG_JZNS1_25segmented_radix_sort_implINS0_14default_configELb0EPK6__halfPSL_PKlPlN2at6native12_GLOBAL__N_18offset_tEEE10hipError_tPvRmT1_PNSt15iterator_traitsISZ_E10value_typeET2_T3_PNS10_IS15_E10value_typeET4_jRbjT5_S1B_jjP12ihipStream_tbEUljE_EEESW_SX_SY_S15_S19_S1B_T6_T7_T9_mT8_S1D_bDpT10_ENKUlT_T0_E_clISt17integral_constantIbLb1EES1Q_EEDaS1L_S1M_EUlS1L_E_NS1_11comp_targetILNS1_3genE2ELNS1_11target_archE906ELNS1_3gpuE6ELNS1_3repE0EEENS1_30default_config_static_selectorELNS0_4arch9wavefront6targetE0EEEvSZ_.has_indirect_call, 0
	.section	.AMDGPU.csdata,"",@progbits
; Kernel info:
; codeLenInByte = 0
; TotalNumSgprs: 0
; NumVgprs: 0
; ScratchSize: 0
; MemoryBound: 0
; FloatMode: 240
; IeeeMode: 1
; LDSByteSize: 0 bytes/workgroup (compile time only)
; SGPRBlocks: 0
; VGPRBlocks: 0
; NumSGPRsForWavesPerEU: 1
; NumVGPRsForWavesPerEU: 1
; NamedBarCnt: 0
; Occupancy: 16
; WaveLimiterHint : 0
; COMPUTE_PGM_RSRC2:SCRATCH_EN: 0
; COMPUTE_PGM_RSRC2:USER_SGPR: 2
; COMPUTE_PGM_RSRC2:TRAP_HANDLER: 0
; COMPUTE_PGM_RSRC2:TGID_X_EN: 1
; COMPUTE_PGM_RSRC2:TGID_Y_EN: 0
; COMPUTE_PGM_RSRC2:TGID_Z_EN: 0
; COMPUTE_PGM_RSRC2:TIDIG_COMP_CNT: 0
	.section	.text._ZN7rocprim17ROCPRIM_400000_NS6detail17trampoline_kernelINS0_13select_configILj256ELj13ELNS0_17block_load_methodE3ELS4_3ELS4_3ELNS0_20block_scan_algorithmE0ELj4294967295EEENS1_25partition_config_selectorILNS1_17partition_subalgoE3EjNS0_10empty_typeEbEEZZNS1_14partition_implILS8_3ELb0ES6_jNS0_17counting_iteratorIjlEEPS9_SE_NS0_5tupleIJPjSE_EEENSF_IJSE_SE_EEES9_SG_JZNS1_25segmented_radix_sort_implINS0_14default_configELb0EPK6__halfPSL_PKlPlN2at6native12_GLOBAL__N_18offset_tEEE10hipError_tPvRmT1_PNSt15iterator_traitsISZ_E10value_typeET2_T3_PNS10_IS15_E10value_typeET4_jRbjT5_S1B_jjP12ihipStream_tbEUljE_EEESW_SX_SY_S15_S19_S1B_T6_T7_T9_mT8_S1D_bDpT10_ENKUlT_T0_E_clISt17integral_constantIbLb1EES1Q_EEDaS1L_S1M_EUlS1L_E_NS1_11comp_targetILNS1_3genE10ELNS1_11target_archE1200ELNS1_3gpuE4ELNS1_3repE0EEENS1_30default_config_static_selectorELNS0_4arch9wavefront6targetE0EEEvSZ_,"axG",@progbits,_ZN7rocprim17ROCPRIM_400000_NS6detail17trampoline_kernelINS0_13select_configILj256ELj13ELNS0_17block_load_methodE3ELS4_3ELS4_3ELNS0_20block_scan_algorithmE0ELj4294967295EEENS1_25partition_config_selectorILNS1_17partition_subalgoE3EjNS0_10empty_typeEbEEZZNS1_14partition_implILS8_3ELb0ES6_jNS0_17counting_iteratorIjlEEPS9_SE_NS0_5tupleIJPjSE_EEENSF_IJSE_SE_EEES9_SG_JZNS1_25segmented_radix_sort_implINS0_14default_configELb0EPK6__halfPSL_PKlPlN2at6native12_GLOBAL__N_18offset_tEEE10hipError_tPvRmT1_PNSt15iterator_traitsISZ_E10value_typeET2_T3_PNS10_IS15_E10value_typeET4_jRbjT5_S1B_jjP12ihipStream_tbEUljE_EEESW_SX_SY_S15_S19_S1B_T6_T7_T9_mT8_S1D_bDpT10_ENKUlT_T0_E_clISt17integral_constantIbLb1EES1Q_EEDaS1L_S1M_EUlS1L_E_NS1_11comp_targetILNS1_3genE10ELNS1_11target_archE1200ELNS1_3gpuE4ELNS1_3repE0EEENS1_30default_config_static_selectorELNS0_4arch9wavefront6targetE0EEEvSZ_,comdat
	.globl	_ZN7rocprim17ROCPRIM_400000_NS6detail17trampoline_kernelINS0_13select_configILj256ELj13ELNS0_17block_load_methodE3ELS4_3ELS4_3ELNS0_20block_scan_algorithmE0ELj4294967295EEENS1_25partition_config_selectorILNS1_17partition_subalgoE3EjNS0_10empty_typeEbEEZZNS1_14partition_implILS8_3ELb0ES6_jNS0_17counting_iteratorIjlEEPS9_SE_NS0_5tupleIJPjSE_EEENSF_IJSE_SE_EEES9_SG_JZNS1_25segmented_radix_sort_implINS0_14default_configELb0EPK6__halfPSL_PKlPlN2at6native12_GLOBAL__N_18offset_tEEE10hipError_tPvRmT1_PNSt15iterator_traitsISZ_E10value_typeET2_T3_PNS10_IS15_E10value_typeET4_jRbjT5_S1B_jjP12ihipStream_tbEUljE_EEESW_SX_SY_S15_S19_S1B_T6_T7_T9_mT8_S1D_bDpT10_ENKUlT_T0_E_clISt17integral_constantIbLb1EES1Q_EEDaS1L_S1M_EUlS1L_E_NS1_11comp_targetILNS1_3genE10ELNS1_11target_archE1200ELNS1_3gpuE4ELNS1_3repE0EEENS1_30default_config_static_selectorELNS0_4arch9wavefront6targetE0EEEvSZ_ ; -- Begin function _ZN7rocprim17ROCPRIM_400000_NS6detail17trampoline_kernelINS0_13select_configILj256ELj13ELNS0_17block_load_methodE3ELS4_3ELS4_3ELNS0_20block_scan_algorithmE0ELj4294967295EEENS1_25partition_config_selectorILNS1_17partition_subalgoE3EjNS0_10empty_typeEbEEZZNS1_14partition_implILS8_3ELb0ES6_jNS0_17counting_iteratorIjlEEPS9_SE_NS0_5tupleIJPjSE_EEENSF_IJSE_SE_EEES9_SG_JZNS1_25segmented_radix_sort_implINS0_14default_configELb0EPK6__halfPSL_PKlPlN2at6native12_GLOBAL__N_18offset_tEEE10hipError_tPvRmT1_PNSt15iterator_traitsISZ_E10value_typeET2_T3_PNS10_IS15_E10value_typeET4_jRbjT5_S1B_jjP12ihipStream_tbEUljE_EEESW_SX_SY_S15_S19_S1B_T6_T7_T9_mT8_S1D_bDpT10_ENKUlT_T0_E_clISt17integral_constantIbLb1EES1Q_EEDaS1L_S1M_EUlS1L_E_NS1_11comp_targetILNS1_3genE10ELNS1_11target_archE1200ELNS1_3gpuE4ELNS1_3repE0EEENS1_30default_config_static_selectorELNS0_4arch9wavefront6targetE0EEEvSZ_
	.p2align	8
	.type	_ZN7rocprim17ROCPRIM_400000_NS6detail17trampoline_kernelINS0_13select_configILj256ELj13ELNS0_17block_load_methodE3ELS4_3ELS4_3ELNS0_20block_scan_algorithmE0ELj4294967295EEENS1_25partition_config_selectorILNS1_17partition_subalgoE3EjNS0_10empty_typeEbEEZZNS1_14partition_implILS8_3ELb0ES6_jNS0_17counting_iteratorIjlEEPS9_SE_NS0_5tupleIJPjSE_EEENSF_IJSE_SE_EEES9_SG_JZNS1_25segmented_radix_sort_implINS0_14default_configELb0EPK6__halfPSL_PKlPlN2at6native12_GLOBAL__N_18offset_tEEE10hipError_tPvRmT1_PNSt15iterator_traitsISZ_E10value_typeET2_T3_PNS10_IS15_E10value_typeET4_jRbjT5_S1B_jjP12ihipStream_tbEUljE_EEESW_SX_SY_S15_S19_S1B_T6_T7_T9_mT8_S1D_bDpT10_ENKUlT_T0_E_clISt17integral_constantIbLb1EES1Q_EEDaS1L_S1M_EUlS1L_E_NS1_11comp_targetILNS1_3genE10ELNS1_11target_archE1200ELNS1_3gpuE4ELNS1_3repE0EEENS1_30default_config_static_selectorELNS0_4arch9wavefront6targetE0EEEvSZ_,@function
_ZN7rocprim17ROCPRIM_400000_NS6detail17trampoline_kernelINS0_13select_configILj256ELj13ELNS0_17block_load_methodE3ELS4_3ELS4_3ELNS0_20block_scan_algorithmE0ELj4294967295EEENS1_25partition_config_selectorILNS1_17partition_subalgoE3EjNS0_10empty_typeEbEEZZNS1_14partition_implILS8_3ELb0ES6_jNS0_17counting_iteratorIjlEEPS9_SE_NS0_5tupleIJPjSE_EEENSF_IJSE_SE_EEES9_SG_JZNS1_25segmented_radix_sort_implINS0_14default_configELb0EPK6__halfPSL_PKlPlN2at6native12_GLOBAL__N_18offset_tEEE10hipError_tPvRmT1_PNSt15iterator_traitsISZ_E10value_typeET2_T3_PNS10_IS15_E10value_typeET4_jRbjT5_S1B_jjP12ihipStream_tbEUljE_EEESW_SX_SY_S15_S19_S1B_T6_T7_T9_mT8_S1D_bDpT10_ENKUlT_T0_E_clISt17integral_constantIbLb1EES1Q_EEDaS1L_S1M_EUlS1L_E_NS1_11comp_targetILNS1_3genE10ELNS1_11target_archE1200ELNS1_3gpuE4ELNS1_3repE0EEENS1_30default_config_static_selectorELNS0_4arch9wavefront6targetE0EEEvSZ_: ; @_ZN7rocprim17ROCPRIM_400000_NS6detail17trampoline_kernelINS0_13select_configILj256ELj13ELNS0_17block_load_methodE3ELS4_3ELS4_3ELNS0_20block_scan_algorithmE0ELj4294967295EEENS1_25partition_config_selectorILNS1_17partition_subalgoE3EjNS0_10empty_typeEbEEZZNS1_14partition_implILS8_3ELb0ES6_jNS0_17counting_iteratorIjlEEPS9_SE_NS0_5tupleIJPjSE_EEENSF_IJSE_SE_EEES9_SG_JZNS1_25segmented_radix_sort_implINS0_14default_configELb0EPK6__halfPSL_PKlPlN2at6native12_GLOBAL__N_18offset_tEEE10hipError_tPvRmT1_PNSt15iterator_traitsISZ_E10value_typeET2_T3_PNS10_IS15_E10value_typeET4_jRbjT5_S1B_jjP12ihipStream_tbEUljE_EEESW_SX_SY_S15_S19_S1B_T6_T7_T9_mT8_S1D_bDpT10_ENKUlT_T0_E_clISt17integral_constantIbLb1EES1Q_EEDaS1L_S1M_EUlS1L_E_NS1_11comp_targetILNS1_3genE10ELNS1_11target_archE1200ELNS1_3gpuE4ELNS1_3repE0EEENS1_30default_config_static_selectorELNS0_4arch9wavefront6targetE0EEEvSZ_
; %bb.0:
	.section	.rodata,"a",@progbits
	.p2align	6, 0x0
	.amdhsa_kernel _ZN7rocprim17ROCPRIM_400000_NS6detail17trampoline_kernelINS0_13select_configILj256ELj13ELNS0_17block_load_methodE3ELS4_3ELS4_3ELNS0_20block_scan_algorithmE0ELj4294967295EEENS1_25partition_config_selectorILNS1_17partition_subalgoE3EjNS0_10empty_typeEbEEZZNS1_14partition_implILS8_3ELb0ES6_jNS0_17counting_iteratorIjlEEPS9_SE_NS0_5tupleIJPjSE_EEENSF_IJSE_SE_EEES9_SG_JZNS1_25segmented_radix_sort_implINS0_14default_configELb0EPK6__halfPSL_PKlPlN2at6native12_GLOBAL__N_18offset_tEEE10hipError_tPvRmT1_PNSt15iterator_traitsISZ_E10value_typeET2_T3_PNS10_IS15_E10value_typeET4_jRbjT5_S1B_jjP12ihipStream_tbEUljE_EEESW_SX_SY_S15_S19_S1B_T6_T7_T9_mT8_S1D_bDpT10_ENKUlT_T0_E_clISt17integral_constantIbLb1EES1Q_EEDaS1L_S1M_EUlS1L_E_NS1_11comp_targetILNS1_3genE10ELNS1_11target_archE1200ELNS1_3gpuE4ELNS1_3repE0EEENS1_30default_config_static_selectorELNS0_4arch9wavefront6targetE0EEEvSZ_
		.amdhsa_group_segment_fixed_size 0
		.amdhsa_private_segment_fixed_size 0
		.amdhsa_kernarg_size 152
		.amdhsa_user_sgpr_count 2
		.amdhsa_user_sgpr_dispatch_ptr 0
		.amdhsa_user_sgpr_queue_ptr 0
		.amdhsa_user_sgpr_kernarg_segment_ptr 1
		.amdhsa_user_sgpr_dispatch_id 0
		.amdhsa_user_sgpr_kernarg_preload_length 0
		.amdhsa_user_sgpr_kernarg_preload_offset 0
		.amdhsa_user_sgpr_private_segment_size 0
		.amdhsa_wavefront_size32 1
		.amdhsa_uses_dynamic_stack 0
		.amdhsa_enable_private_segment 0
		.amdhsa_system_sgpr_workgroup_id_x 1
		.amdhsa_system_sgpr_workgroup_id_y 0
		.amdhsa_system_sgpr_workgroup_id_z 0
		.amdhsa_system_sgpr_workgroup_info 0
		.amdhsa_system_vgpr_workitem_id 0
		.amdhsa_next_free_vgpr 1
		.amdhsa_next_free_sgpr 1
		.amdhsa_named_barrier_count 0
		.amdhsa_reserve_vcc 0
		.amdhsa_float_round_mode_32 0
		.amdhsa_float_round_mode_16_64 0
		.amdhsa_float_denorm_mode_32 3
		.amdhsa_float_denorm_mode_16_64 3
		.amdhsa_fp16_overflow 0
		.amdhsa_memory_ordered 1
		.amdhsa_forward_progress 1
		.amdhsa_inst_pref_size 0
		.amdhsa_round_robin_scheduling 0
		.amdhsa_exception_fp_ieee_invalid_op 0
		.amdhsa_exception_fp_denorm_src 0
		.amdhsa_exception_fp_ieee_div_zero 0
		.amdhsa_exception_fp_ieee_overflow 0
		.amdhsa_exception_fp_ieee_underflow 0
		.amdhsa_exception_fp_ieee_inexact 0
		.amdhsa_exception_int_div_zero 0
	.end_amdhsa_kernel
	.section	.text._ZN7rocprim17ROCPRIM_400000_NS6detail17trampoline_kernelINS0_13select_configILj256ELj13ELNS0_17block_load_methodE3ELS4_3ELS4_3ELNS0_20block_scan_algorithmE0ELj4294967295EEENS1_25partition_config_selectorILNS1_17partition_subalgoE3EjNS0_10empty_typeEbEEZZNS1_14partition_implILS8_3ELb0ES6_jNS0_17counting_iteratorIjlEEPS9_SE_NS0_5tupleIJPjSE_EEENSF_IJSE_SE_EEES9_SG_JZNS1_25segmented_radix_sort_implINS0_14default_configELb0EPK6__halfPSL_PKlPlN2at6native12_GLOBAL__N_18offset_tEEE10hipError_tPvRmT1_PNSt15iterator_traitsISZ_E10value_typeET2_T3_PNS10_IS15_E10value_typeET4_jRbjT5_S1B_jjP12ihipStream_tbEUljE_EEESW_SX_SY_S15_S19_S1B_T6_T7_T9_mT8_S1D_bDpT10_ENKUlT_T0_E_clISt17integral_constantIbLb1EES1Q_EEDaS1L_S1M_EUlS1L_E_NS1_11comp_targetILNS1_3genE10ELNS1_11target_archE1200ELNS1_3gpuE4ELNS1_3repE0EEENS1_30default_config_static_selectorELNS0_4arch9wavefront6targetE0EEEvSZ_,"axG",@progbits,_ZN7rocprim17ROCPRIM_400000_NS6detail17trampoline_kernelINS0_13select_configILj256ELj13ELNS0_17block_load_methodE3ELS4_3ELS4_3ELNS0_20block_scan_algorithmE0ELj4294967295EEENS1_25partition_config_selectorILNS1_17partition_subalgoE3EjNS0_10empty_typeEbEEZZNS1_14partition_implILS8_3ELb0ES6_jNS0_17counting_iteratorIjlEEPS9_SE_NS0_5tupleIJPjSE_EEENSF_IJSE_SE_EEES9_SG_JZNS1_25segmented_radix_sort_implINS0_14default_configELb0EPK6__halfPSL_PKlPlN2at6native12_GLOBAL__N_18offset_tEEE10hipError_tPvRmT1_PNSt15iterator_traitsISZ_E10value_typeET2_T3_PNS10_IS15_E10value_typeET4_jRbjT5_S1B_jjP12ihipStream_tbEUljE_EEESW_SX_SY_S15_S19_S1B_T6_T7_T9_mT8_S1D_bDpT10_ENKUlT_T0_E_clISt17integral_constantIbLb1EES1Q_EEDaS1L_S1M_EUlS1L_E_NS1_11comp_targetILNS1_3genE10ELNS1_11target_archE1200ELNS1_3gpuE4ELNS1_3repE0EEENS1_30default_config_static_selectorELNS0_4arch9wavefront6targetE0EEEvSZ_,comdat
.Lfunc_end1813:
	.size	_ZN7rocprim17ROCPRIM_400000_NS6detail17trampoline_kernelINS0_13select_configILj256ELj13ELNS0_17block_load_methodE3ELS4_3ELS4_3ELNS0_20block_scan_algorithmE0ELj4294967295EEENS1_25partition_config_selectorILNS1_17partition_subalgoE3EjNS0_10empty_typeEbEEZZNS1_14partition_implILS8_3ELb0ES6_jNS0_17counting_iteratorIjlEEPS9_SE_NS0_5tupleIJPjSE_EEENSF_IJSE_SE_EEES9_SG_JZNS1_25segmented_radix_sort_implINS0_14default_configELb0EPK6__halfPSL_PKlPlN2at6native12_GLOBAL__N_18offset_tEEE10hipError_tPvRmT1_PNSt15iterator_traitsISZ_E10value_typeET2_T3_PNS10_IS15_E10value_typeET4_jRbjT5_S1B_jjP12ihipStream_tbEUljE_EEESW_SX_SY_S15_S19_S1B_T6_T7_T9_mT8_S1D_bDpT10_ENKUlT_T0_E_clISt17integral_constantIbLb1EES1Q_EEDaS1L_S1M_EUlS1L_E_NS1_11comp_targetILNS1_3genE10ELNS1_11target_archE1200ELNS1_3gpuE4ELNS1_3repE0EEENS1_30default_config_static_selectorELNS0_4arch9wavefront6targetE0EEEvSZ_, .Lfunc_end1813-_ZN7rocprim17ROCPRIM_400000_NS6detail17trampoline_kernelINS0_13select_configILj256ELj13ELNS0_17block_load_methodE3ELS4_3ELS4_3ELNS0_20block_scan_algorithmE0ELj4294967295EEENS1_25partition_config_selectorILNS1_17partition_subalgoE3EjNS0_10empty_typeEbEEZZNS1_14partition_implILS8_3ELb0ES6_jNS0_17counting_iteratorIjlEEPS9_SE_NS0_5tupleIJPjSE_EEENSF_IJSE_SE_EEES9_SG_JZNS1_25segmented_radix_sort_implINS0_14default_configELb0EPK6__halfPSL_PKlPlN2at6native12_GLOBAL__N_18offset_tEEE10hipError_tPvRmT1_PNSt15iterator_traitsISZ_E10value_typeET2_T3_PNS10_IS15_E10value_typeET4_jRbjT5_S1B_jjP12ihipStream_tbEUljE_EEESW_SX_SY_S15_S19_S1B_T6_T7_T9_mT8_S1D_bDpT10_ENKUlT_T0_E_clISt17integral_constantIbLb1EES1Q_EEDaS1L_S1M_EUlS1L_E_NS1_11comp_targetILNS1_3genE10ELNS1_11target_archE1200ELNS1_3gpuE4ELNS1_3repE0EEENS1_30default_config_static_selectorELNS0_4arch9wavefront6targetE0EEEvSZ_
                                        ; -- End function
	.set _ZN7rocprim17ROCPRIM_400000_NS6detail17trampoline_kernelINS0_13select_configILj256ELj13ELNS0_17block_load_methodE3ELS4_3ELS4_3ELNS0_20block_scan_algorithmE0ELj4294967295EEENS1_25partition_config_selectorILNS1_17partition_subalgoE3EjNS0_10empty_typeEbEEZZNS1_14partition_implILS8_3ELb0ES6_jNS0_17counting_iteratorIjlEEPS9_SE_NS0_5tupleIJPjSE_EEENSF_IJSE_SE_EEES9_SG_JZNS1_25segmented_radix_sort_implINS0_14default_configELb0EPK6__halfPSL_PKlPlN2at6native12_GLOBAL__N_18offset_tEEE10hipError_tPvRmT1_PNSt15iterator_traitsISZ_E10value_typeET2_T3_PNS10_IS15_E10value_typeET4_jRbjT5_S1B_jjP12ihipStream_tbEUljE_EEESW_SX_SY_S15_S19_S1B_T6_T7_T9_mT8_S1D_bDpT10_ENKUlT_T0_E_clISt17integral_constantIbLb1EES1Q_EEDaS1L_S1M_EUlS1L_E_NS1_11comp_targetILNS1_3genE10ELNS1_11target_archE1200ELNS1_3gpuE4ELNS1_3repE0EEENS1_30default_config_static_selectorELNS0_4arch9wavefront6targetE0EEEvSZ_.num_vgpr, 0
	.set _ZN7rocprim17ROCPRIM_400000_NS6detail17trampoline_kernelINS0_13select_configILj256ELj13ELNS0_17block_load_methodE3ELS4_3ELS4_3ELNS0_20block_scan_algorithmE0ELj4294967295EEENS1_25partition_config_selectorILNS1_17partition_subalgoE3EjNS0_10empty_typeEbEEZZNS1_14partition_implILS8_3ELb0ES6_jNS0_17counting_iteratorIjlEEPS9_SE_NS0_5tupleIJPjSE_EEENSF_IJSE_SE_EEES9_SG_JZNS1_25segmented_radix_sort_implINS0_14default_configELb0EPK6__halfPSL_PKlPlN2at6native12_GLOBAL__N_18offset_tEEE10hipError_tPvRmT1_PNSt15iterator_traitsISZ_E10value_typeET2_T3_PNS10_IS15_E10value_typeET4_jRbjT5_S1B_jjP12ihipStream_tbEUljE_EEESW_SX_SY_S15_S19_S1B_T6_T7_T9_mT8_S1D_bDpT10_ENKUlT_T0_E_clISt17integral_constantIbLb1EES1Q_EEDaS1L_S1M_EUlS1L_E_NS1_11comp_targetILNS1_3genE10ELNS1_11target_archE1200ELNS1_3gpuE4ELNS1_3repE0EEENS1_30default_config_static_selectorELNS0_4arch9wavefront6targetE0EEEvSZ_.num_agpr, 0
	.set _ZN7rocprim17ROCPRIM_400000_NS6detail17trampoline_kernelINS0_13select_configILj256ELj13ELNS0_17block_load_methodE3ELS4_3ELS4_3ELNS0_20block_scan_algorithmE0ELj4294967295EEENS1_25partition_config_selectorILNS1_17partition_subalgoE3EjNS0_10empty_typeEbEEZZNS1_14partition_implILS8_3ELb0ES6_jNS0_17counting_iteratorIjlEEPS9_SE_NS0_5tupleIJPjSE_EEENSF_IJSE_SE_EEES9_SG_JZNS1_25segmented_radix_sort_implINS0_14default_configELb0EPK6__halfPSL_PKlPlN2at6native12_GLOBAL__N_18offset_tEEE10hipError_tPvRmT1_PNSt15iterator_traitsISZ_E10value_typeET2_T3_PNS10_IS15_E10value_typeET4_jRbjT5_S1B_jjP12ihipStream_tbEUljE_EEESW_SX_SY_S15_S19_S1B_T6_T7_T9_mT8_S1D_bDpT10_ENKUlT_T0_E_clISt17integral_constantIbLb1EES1Q_EEDaS1L_S1M_EUlS1L_E_NS1_11comp_targetILNS1_3genE10ELNS1_11target_archE1200ELNS1_3gpuE4ELNS1_3repE0EEENS1_30default_config_static_selectorELNS0_4arch9wavefront6targetE0EEEvSZ_.numbered_sgpr, 0
	.set _ZN7rocprim17ROCPRIM_400000_NS6detail17trampoline_kernelINS0_13select_configILj256ELj13ELNS0_17block_load_methodE3ELS4_3ELS4_3ELNS0_20block_scan_algorithmE0ELj4294967295EEENS1_25partition_config_selectorILNS1_17partition_subalgoE3EjNS0_10empty_typeEbEEZZNS1_14partition_implILS8_3ELb0ES6_jNS0_17counting_iteratorIjlEEPS9_SE_NS0_5tupleIJPjSE_EEENSF_IJSE_SE_EEES9_SG_JZNS1_25segmented_radix_sort_implINS0_14default_configELb0EPK6__halfPSL_PKlPlN2at6native12_GLOBAL__N_18offset_tEEE10hipError_tPvRmT1_PNSt15iterator_traitsISZ_E10value_typeET2_T3_PNS10_IS15_E10value_typeET4_jRbjT5_S1B_jjP12ihipStream_tbEUljE_EEESW_SX_SY_S15_S19_S1B_T6_T7_T9_mT8_S1D_bDpT10_ENKUlT_T0_E_clISt17integral_constantIbLb1EES1Q_EEDaS1L_S1M_EUlS1L_E_NS1_11comp_targetILNS1_3genE10ELNS1_11target_archE1200ELNS1_3gpuE4ELNS1_3repE0EEENS1_30default_config_static_selectorELNS0_4arch9wavefront6targetE0EEEvSZ_.num_named_barrier, 0
	.set _ZN7rocprim17ROCPRIM_400000_NS6detail17trampoline_kernelINS0_13select_configILj256ELj13ELNS0_17block_load_methodE3ELS4_3ELS4_3ELNS0_20block_scan_algorithmE0ELj4294967295EEENS1_25partition_config_selectorILNS1_17partition_subalgoE3EjNS0_10empty_typeEbEEZZNS1_14partition_implILS8_3ELb0ES6_jNS0_17counting_iteratorIjlEEPS9_SE_NS0_5tupleIJPjSE_EEENSF_IJSE_SE_EEES9_SG_JZNS1_25segmented_radix_sort_implINS0_14default_configELb0EPK6__halfPSL_PKlPlN2at6native12_GLOBAL__N_18offset_tEEE10hipError_tPvRmT1_PNSt15iterator_traitsISZ_E10value_typeET2_T3_PNS10_IS15_E10value_typeET4_jRbjT5_S1B_jjP12ihipStream_tbEUljE_EEESW_SX_SY_S15_S19_S1B_T6_T7_T9_mT8_S1D_bDpT10_ENKUlT_T0_E_clISt17integral_constantIbLb1EES1Q_EEDaS1L_S1M_EUlS1L_E_NS1_11comp_targetILNS1_3genE10ELNS1_11target_archE1200ELNS1_3gpuE4ELNS1_3repE0EEENS1_30default_config_static_selectorELNS0_4arch9wavefront6targetE0EEEvSZ_.private_seg_size, 0
	.set _ZN7rocprim17ROCPRIM_400000_NS6detail17trampoline_kernelINS0_13select_configILj256ELj13ELNS0_17block_load_methodE3ELS4_3ELS4_3ELNS0_20block_scan_algorithmE0ELj4294967295EEENS1_25partition_config_selectorILNS1_17partition_subalgoE3EjNS0_10empty_typeEbEEZZNS1_14partition_implILS8_3ELb0ES6_jNS0_17counting_iteratorIjlEEPS9_SE_NS0_5tupleIJPjSE_EEENSF_IJSE_SE_EEES9_SG_JZNS1_25segmented_radix_sort_implINS0_14default_configELb0EPK6__halfPSL_PKlPlN2at6native12_GLOBAL__N_18offset_tEEE10hipError_tPvRmT1_PNSt15iterator_traitsISZ_E10value_typeET2_T3_PNS10_IS15_E10value_typeET4_jRbjT5_S1B_jjP12ihipStream_tbEUljE_EEESW_SX_SY_S15_S19_S1B_T6_T7_T9_mT8_S1D_bDpT10_ENKUlT_T0_E_clISt17integral_constantIbLb1EES1Q_EEDaS1L_S1M_EUlS1L_E_NS1_11comp_targetILNS1_3genE10ELNS1_11target_archE1200ELNS1_3gpuE4ELNS1_3repE0EEENS1_30default_config_static_selectorELNS0_4arch9wavefront6targetE0EEEvSZ_.uses_vcc, 0
	.set _ZN7rocprim17ROCPRIM_400000_NS6detail17trampoline_kernelINS0_13select_configILj256ELj13ELNS0_17block_load_methodE3ELS4_3ELS4_3ELNS0_20block_scan_algorithmE0ELj4294967295EEENS1_25partition_config_selectorILNS1_17partition_subalgoE3EjNS0_10empty_typeEbEEZZNS1_14partition_implILS8_3ELb0ES6_jNS0_17counting_iteratorIjlEEPS9_SE_NS0_5tupleIJPjSE_EEENSF_IJSE_SE_EEES9_SG_JZNS1_25segmented_radix_sort_implINS0_14default_configELb0EPK6__halfPSL_PKlPlN2at6native12_GLOBAL__N_18offset_tEEE10hipError_tPvRmT1_PNSt15iterator_traitsISZ_E10value_typeET2_T3_PNS10_IS15_E10value_typeET4_jRbjT5_S1B_jjP12ihipStream_tbEUljE_EEESW_SX_SY_S15_S19_S1B_T6_T7_T9_mT8_S1D_bDpT10_ENKUlT_T0_E_clISt17integral_constantIbLb1EES1Q_EEDaS1L_S1M_EUlS1L_E_NS1_11comp_targetILNS1_3genE10ELNS1_11target_archE1200ELNS1_3gpuE4ELNS1_3repE0EEENS1_30default_config_static_selectorELNS0_4arch9wavefront6targetE0EEEvSZ_.uses_flat_scratch, 0
	.set _ZN7rocprim17ROCPRIM_400000_NS6detail17trampoline_kernelINS0_13select_configILj256ELj13ELNS0_17block_load_methodE3ELS4_3ELS4_3ELNS0_20block_scan_algorithmE0ELj4294967295EEENS1_25partition_config_selectorILNS1_17partition_subalgoE3EjNS0_10empty_typeEbEEZZNS1_14partition_implILS8_3ELb0ES6_jNS0_17counting_iteratorIjlEEPS9_SE_NS0_5tupleIJPjSE_EEENSF_IJSE_SE_EEES9_SG_JZNS1_25segmented_radix_sort_implINS0_14default_configELb0EPK6__halfPSL_PKlPlN2at6native12_GLOBAL__N_18offset_tEEE10hipError_tPvRmT1_PNSt15iterator_traitsISZ_E10value_typeET2_T3_PNS10_IS15_E10value_typeET4_jRbjT5_S1B_jjP12ihipStream_tbEUljE_EEESW_SX_SY_S15_S19_S1B_T6_T7_T9_mT8_S1D_bDpT10_ENKUlT_T0_E_clISt17integral_constantIbLb1EES1Q_EEDaS1L_S1M_EUlS1L_E_NS1_11comp_targetILNS1_3genE10ELNS1_11target_archE1200ELNS1_3gpuE4ELNS1_3repE0EEENS1_30default_config_static_selectorELNS0_4arch9wavefront6targetE0EEEvSZ_.has_dyn_sized_stack, 0
	.set _ZN7rocprim17ROCPRIM_400000_NS6detail17trampoline_kernelINS0_13select_configILj256ELj13ELNS0_17block_load_methodE3ELS4_3ELS4_3ELNS0_20block_scan_algorithmE0ELj4294967295EEENS1_25partition_config_selectorILNS1_17partition_subalgoE3EjNS0_10empty_typeEbEEZZNS1_14partition_implILS8_3ELb0ES6_jNS0_17counting_iteratorIjlEEPS9_SE_NS0_5tupleIJPjSE_EEENSF_IJSE_SE_EEES9_SG_JZNS1_25segmented_radix_sort_implINS0_14default_configELb0EPK6__halfPSL_PKlPlN2at6native12_GLOBAL__N_18offset_tEEE10hipError_tPvRmT1_PNSt15iterator_traitsISZ_E10value_typeET2_T3_PNS10_IS15_E10value_typeET4_jRbjT5_S1B_jjP12ihipStream_tbEUljE_EEESW_SX_SY_S15_S19_S1B_T6_T7_T9_mT8_S1D_bDpT10_ENKUlT_T0_E_clISt17integral_constantIbLb1EES1Q_EEDaS1L_S1M_EUlS1L_E_NS1_11comp_targetILNS1_3genE10ELNS1_11target_archE1200ELNS1_3gpuE4ELNS1_3repE0EEENS1_30default_config_static_selectorELNS0_4arch9wavefront6targetE0EEEvSZ_.has_recursion, 0
	.set _ZN7rocprim17ROCPRIM_400000_NS6detail17trampoline_kernelINS0_13select_configILj256ELj13ELNS0_17block_load_methodE3ELS4_3ELS4_3ELNS0_20block_scan_algorithmE0ELj4294967295EEENS1_25partition_config_selectorILNS1_17partition_subalgoE3EjNS0_10empty_typeEbEEZZNS1_14partition_implILS8_3ELb0ES6_jNS0_17counting_iteratorIjlEEPS9_SE_NS0_5tupleIJPjSE_EEENSF_IJSE_SE_EEES9_SG_JZNS1_25segmented_radix_sort_implINS0_14default_configELb0EPK6__halfPSL_PKlPlN2at6native12_GLOBAL__N_18offset_tEEE10hipError_tPvRmT1_PNSt15iterator_traitsISZ_E10value_typeET2_T3_PNS10_IS15_E10value_typeET4_jRbjT5_S1B_jjP12ihipStream_tbEUljE_EEESW_SX_SY_S15_S19_S1B_T6_T7_T9_mT8_S1D_bDpT10_ENKUlT_T0_E_clISt17integral_constantIbLb1EES1Q_EEDaS1L_S1M_EUlS1L_E_NS1_11comp_targetILNS1_3genE10ELNS1_11target_archE1200ELNS1_3gpuE4ELNS1_3repE0EEENS1_30default_config_static_selectorELNS0_4arch9wavefront6targetE0EEEvSZ_.has_indirect_call, 0
	.section	.AMDGPU.csdata,"",@progbits
; Kernel info:
; codeLenInByte = 0
; TotalNumSgprs: 0
; NumVgprs: 0
; ScratchSize: 0
; MemoryBound: 0
; FloatMode: 240
; IeeeMode: 1
; LDSByteSize: 0 bytes/workgroup (compile time only)
; SGPRBlocks: 0
; VGPRBlocks: 0
; NumSGPRsForWavesPerEU: 1
; NumVGPRsForWavesPerEU: 1
; NamedBarCnt: 0
; Occupancy: 16
; WaveLimiterHint : 0
; COMPUTE_PGM_RSRC2:SCRATCH_EN: 0
; COMPUTE_PGM_RSRC2:USER_SGPR: 2
; COMPUTE_PGM_RSRC2:TRAP_HANDLER: 0
; COMPUTE_PGM_RSRC2:TGID_X_EN: 1
; COMPUTE_PGM_RSRC2:TGID_Y_EN: 0
; COMPUTE_PGM_RSRC2:TGID_Z_EN: 0
; COMPUTE_PGM_RSRC2:TIDIG_COMP_CNT: 0
	.section	.text._ZN7rocprim17ROCPRIM_400000_NS6detail17trampoline_kernelINS0_13select_configILj256ELj13ELNS0_17block_load_methodE3ELS4_3ELS4_3ELNS0_20block_scan_algorithmE0ELj4294967295EEENS1_25partition_config_selectorILNS1_17partition_subalgoE3EjNS0_10empty_typeEbEEZZNS1_14partition_implILS8_3ELb0ES6_jNS0_17counting_iteratorIjlEEPS9_SE_NS0_5tupleIJPjSE_EEENSF_IJSE_SE_EEES9_SG_JZNS1_25segmented_radix_sort_implINS0_14default_configELb0EPK6__halfPSL_PKlPlN2at6native12_GLOBAL__N_18offset_tEEE10hipError_tPvRmT1_PNSt15iterator_traitsISZ_E10value_typeET2_T3_PNS10_IS15_E10value_typeET4_jRbjT5_S1B_jjP12ihipStream_tbEUljE_EEESW_SX_SY_S15_S19_S1B_T6_T7_T9_mT8_S1D_bDpT10_ENKUlT_T0_E_clISt17integral_constantIbLb1EES1Q_EEDaS1L_S1M_EUlS1L_E_NS1_11comp_targetILNS1_3genE9ELNS1_11target_archE1100ELNS1_3gpuE3ELNS1_3repE0EEENS1_30default_config_static_selectorELNS0_4arch9wavefront6targetE0EEEvSZ_,"axG",@progbits,_ZN7rocprim17ROCPRIM_400000_NS6detail17trampoline_kernelINS0_13select_configILj256ELj13ELNS0_17block_load_methodE3ELS4_3ELS4_3ELNS0_20block_scan_algorithmE0ELj4294967295EEENS1_25partition_config_selectorILNS1_17partition_subalgoE3EjNS0_10empty_typeEbEEZZNS1_14partition_implILS8_3ELb0ES6_jNS0_17counting_iteratorIjlEEPS9_SE_NS0_5tupleIJPjSE_EEENSF_IJSE_SE_EEES9_SG_JZNS1_25segmented_radix_sort_implINS0_14default_configELb0EPK6__halfPSL_PKlPlN2at6native12_GLOBAL__N_18offset_tEEE10hipError_tPvRmT1_PNSt15iterator_traitsISZ_E10value_typeET2_T3_PNS10_IS15_E10value_typeET4_jRbjT5_S1B_jjP12ihipStream_tbEUljE_EEESW_SX_SY_S15_S19_S1B_T6_T7_T9_mT8_S1D_bDpT10_ENKUlT_T0_E_clISt17integral_constantIbLb1EES1Q_EEDaS1L_S1M_EUlS1L_E_NS1_11comp_targetILNS1_3genE9ELNS1_11target_archE1100ELNS1_3gpuE3ELNS1_3repE0EEENS1_30default_config_static_selectorELNS0_4arch9wavefront6targetE0EEEvSZ_,comdat
	.globl	_ZN7rocprim17ROCPRIM_400000_NS6detail17trampoline_kernelINS0_13select_configILj256ELj13ELNS0_17block_load_methodE3ELS4_3ELS4_3ELNS0_20block_scan_algorithmE0ELj4294967295EEENS1_25partition_config_selectorILNS1_17partition_subalgoE3EjNS0_10empty_typeEbEEZZNS1_14partition_implILS8_3ELb0ES6_jNS0_17counting_iteratorIjlEEPS9_SE_NS0_5tupleIJPjSE_EEENSF_IJSE_SE_EEES9_SG_JZNS1_25segmented_radix_sort_implINS0_14default_configELb0EPK6__halfPSL_PKlPlN2at6native12_GLOBAL__N_18offset_tEEE10hipError_tPvRmT1_PNSt15iterator_traitsISZ_E10value_typeET2_T3_PNS10_IS15_E10value_typeET4_jRbjT5_S1B_jjP12ihipStream_tbEUljE_EEESW_SX_SY_S15_S19_S1B_T6_T7_T9_mT8_S1D_bDpT10_ENKUlT_T0_E_clISt17integral_constantIbLb1EES1Q_EEDaS1L_S1M_EUlS1L_E_NS1_11comp_targetILNS1_3genE9ELNS1_11target_archE1100ELNS1_3gpuE3ELNS1_3repE0EEENS1_30default_config_static_selectorELNS0_4arch9wavefront6targetE0EEEvSZ_ ; -- Begin function _ZN7rocprim17ROCPRIM_400000_NS6detail17trampoline_kernelINS0_13select_configILj256ELj13ELNS0_17block_load_methodE3ELS4_3ELS4_3ELNS0_20block_scan_algorithmE0ELj4294967295EEENS1_25partition_config_selectorILNS1_17partition_subalgoE3EjNS0_10empty_typeEbEEZZNS1_14partition_implILS8_3ELb0ES6_jNS0_17counting_iteratorIjlEEPS9_SE_NS0_5tupleIJPjSE_EEENSF_IJSE_SE_EEES9_SG_JZNS1_25segmented_radix_sort_implINS0_14default_configELb0EPK6__halfPSL_PKlPlN2at6native12_GLOBAL__N_18offset_tEEE10hipError_tPvRmT1_PNSt15iterator_traitsISZ_E10value_typeET2_T3_PNS10_IS15_E10value_typeET4_jRbjT5_S1B_jjP12ihipStream_tbEUljE_EEESW_SX_SY_S15_S19_S1B_T6_T7_T9_mT8_S1D_bDpT10_ENKUlT_T0_E_clISt17integral_constantIbLb1EES1Q_EEDaS1L_S1M_EUlS1L_E_NS1_11comp_targetILNS1_3genE9ELNS1_11target_archE1100ELNS1_3gpuE3ELNS1_3repE0EEENS1_30default_config_static_selectorELNS0_4arch9wavefront6targetE0EEEvSZ_
	.p2align	8
	.type	_ZN7rocprim17ROCPRIM_400000_NS6detail17trampoline_kernelINS0_13select_configILj256ELj13ELNS0_17block_load_methodE3ELS4_3ELS4_3ELNS0_20block_scan_algorithmE0ELj4294967295EEENS1_25partition_config_selectorILNS1_17partition_subalgoE3EjNS0_10empty_typeEbEEZZNS1_14partition_implILS8_3ELb0ES6_jNS0_17counting_iteratorIjlEEPS9_SE_NS0_5tupleIJPjSE_EEENSF_IJSE_SE_EEES9_SG_JZNS1_25segmented_radix_sort_implINS0_14default_configELb0EPK6__halfPSL_PKlPlN2at6native12_GLOBAL__N_18offset_tEEE10hipError_tPvRmT1_PNSt15iterator_traitsISZ_E10value_typeET2_T3_PNS10_IS15_E10value_typeET4_jRbjT5_S1B_jjP12ihipStream_tbEUljE_EEESW_SX_SY_S15_S19_S1B_T6_T7_T9_mT8_S1D_bDpT10_ENKUlT_T0_E_clISt17integral_constantIbLb1EES1Q_EEDaS1L_S1M_EUlS1L_E_NS1_11comp_targetILNS1_3genE9ELNS1_11target_archE1100ELNS1_3gpuE3ELNS1_3repE0EEENS1_30default_config_static_selectorELNS0_4arch9wavefront6targetE0EEEvSZ_,@function
_ZN7rocprim17ROCPRIM_400000_NS6detail17trampoline_kernelINS0_13select_configILj256ELj13ELNS0_17block_load_methodE3ELS4_3ELS4_3ELNS0_20block_scan_algorithmE0ELj4294967295EEENS1_25partition_config_selectorILNS1_17partition_subalgoE3EjNS0_10empty_typeEbEEZZNS1_14partition_implILS8_3ELb0ES6_jNS0_17counting_iteratorIjlEEPS9_SE_NS0_5tupleIJPjSE_EEENSF_IJSE_SE_EEES9_SG_JZNS1_25segmented_radix_sort_implINS0_14default_configELb0EPK6__halfPSL_PKlPlN2at6native12_GLOBAL__N_18offset_tEEE10hipError_tPvRmT1_PNSt15iterator_traitsISZ_E10value_typeET2_T3_PNS10_IS15_E10value_typeET4_jRbjT5_S1B_jjP12ihipStream_tbEUljE_EEESW_SX_SY_S15_S19_S1B_T6_T7_T9_mT8_S1D_bDpT10_ENKUlT_T0_E_clISt17integral_constantIbLb1EES1Q_EEDaS1L_S1M_EUlS1L_E_NS1_11comp_targetILNS1_3genE9ELNS1_11target_archE1100ELNS1_3gpuE3ELNS1_3repE0EEENS1_30default_config_static_selectorELNS0_4arch9wavefront6targetE0EEEvSZ_: ; @_ZN7rocprim17ROCPRIM_400000_NS6detail17trampoline_kernelINS0_13select_configILj256ELj13ELNS0_17block_load_methodE3ELS4_3ELS4_3ELNS0_20block_scan_algorithmE0ELj4294967295EEENS1_25partition_config_selectorILNS1_17partition_subalgoE3EjNS0_10empty_typeEbEEZZNS1_14partition_implILS8_3ELb0ES6_jNS0_17counting_iteratorIjlEEPS9_SE_NS0_5tupleIJPjSE_EEENSF_IJSE_SE_EEES9_SG_JZNS1_25segmented_radix_sort_implINS0_14default_configELb0EPK6__halfPSL_PKlPlN2at6native12_GLOBAL__N_18offset_tEEE10hipError_tPvRmT1_PNSt15iterator_traitsISZ_E10value_typeET2_T3_PNS10_IS15_E10value_typeET4_jRbjT5_S1B_jjP12ihipStream_tbEUljE_EEESW_SX_SY_S15_S19_S1B_T6_T7_T9_mT8_S1D_bDpT10_ENKUlT_T0_E_clISt17integral_constantIbLb1EES1Q_EEDaS1L_S1M_EUlS1L_E_NS1_11comp_targetILNS1_3genE9ELNS1_11target_archE1100ELNS1_3gpuE3ELNS1_3repE0EEENS1_30default_config_static_selectorELNS0_4arch9wavefront6targetE0EEEvSZ_
; %bb.0:
	.section	.rodata,"a",@progbits
	.p2align	6, 0x0
	.amdhsa_kernel _ZN7rocprim17ROCPRIM_400000_NS6detail17trampoline_kernelINS0_13select_configILj256ELj13ELNS0_17block_load_methodE3ELS4_3ELS4_3ELNS0_20block_scan_algorithmE0ELj4294967295EEENS1_25partition_config_selectorILNS1_17partition_subalgoE3EjNS0_10empty_typeEbEEZZNS1_14partition_implILS8_3ELb0ES6_jNS0_17counting_iteratorIjlEEPS9_SE_NS0_5tupleIJPjSE_EEENSF_IJSE_SE_EEES9_SG_JZNS1_25segmented_radix_sort_implINS0_14default_configELb0EPK6__halfPSL_PKlPlN2at6native12_GLOBAL__N_18offset_tEEE10hipError_tPvRmT1_PNSt15iterator_traitsISZ_E10value_typeET2_T3_PNS10_IS15_E10value_typeET4_jRbjT5_S1B_jjP12ihipStream_tbEUljE_EEESW_SX_SY_S15_S19_S1B_T6_T7_T9_mT8_S1D_bDpT10_ENKUlT_T0_E_clISt17integral_constantIbLb1EES1Q_EEDaS1L_S1M_EUlS1L_E_NS1_11comp_targetILNS1_3genE9ELNS1_11target_archE1100ELNS1_3gpuE3ELNS1_3repE0EEENS1_30default_config_static_selectorELNS0_4arch9wavefront6targetE0EEEvSZ_
		.amdhsa_group_segment_fixed_size 0
		.amdhsa_private_segment_fixed_size 0
		.amdhsa_kernarg_size 152
		.amdhsa_user_sgpr_count 2
		.amdhsa_user_sgpr_dispatch_ptr 0
		.amdhsa_user_sgpr_queue_ptr 0
		.amdhsa_user_sgpr_kernarg_segment_ptr 1
		.amdhsa_user_sgpr_dispatch_id 0
		.amdhsa_user_sgpr_kernarg_preload_length 0
		.amdhsa_user_sgpr_kernarg_preload_offset 0
		.amdhsa_user_sgpr_private_segment_size 0
		.amdhsa_wavefront_size32 1
		.amdhsa_uses_dynamic_stack 0
		.amdhsa_enable_private_segment 0
		.amdhsa_system_sgpr_workgroup_id_x 1
		.amdhsa_system_sgpr_workgroup_id_y 0
		.amdhsa_system_sgpr_workgroup_id_z 0
		.amdhsa_system_sgpr_workgroup_info 0
		.amdhsa_system_vgpr_workitem_id 0
		.amdhsa_next_free_vgpr 1
		.amdhsa_next_free_sgpr 1
		.amdhsa_named_barrier_count 0
		.amdhsa_reserve_vcc 0
		.amdhsa_float_round_mode_32 0
		.amdhsa_float_round_mode_16_64 0
		.amdhsa_float_denorm_mode_32 3
		.amdhsa_float_denorm_mode_16_64 3
		.amdhsa_fp16_overflow 0
		.amdhsa_memory_ordered 1
		.amdhsa_forward_progress 1
		.amdhsa_inst_pref_size 0
		.amdhsa_round_robin_scheduling 0
		.amdhsa_exception_fp_ieee_invalid_op 0
		.amdhsa_exception_fp_denorm_src 0
		.amdhsa_exception_fp_ieee_div_zero 0
		.amdhsa_exception_fp_ieee_overflow 0
		.amdhsa_exception_fp_ieee_underflow 0
		.amdhsa_exception_fp_ieee_inexact 0
		.amdhsa_exception_int_div_zero 0
	.end_amdhsa_kernel
	.section	.text._ZN7rocprim17ROCPRIM_400000_NS6detail17trampoline_kernelINS0_13select_configILj256ELj13ELNS0_17block_load_methodE3ELS4_3ELS4_3ELNS0_20block_scan_algorithmE0ELj4294967295EEENS1_25partition_config_selectorILNS1_17partition_subalgoE3EjNS0_10empty_typeEbEEZZNS1_14partition_implILS8_3ELb0ES6_jNS0_17counting_iteratorIjlEEPS9_SE_NS0_5tupleIJPjSE_EEENSF_IJSE_SE_EEES9_SG_JZNS1_25segmented_radix_sort_implINS0_14default_configELb0EPK6__halfPSL_PKlPlN2at6native12_GLOBAL__N_18offset_tEEE10hipError_tPvRmT1_PNSt15iterator_traitsISZ_E10value_typeET2_T3_PNS10_IS15_E10value_typeET4_jRbjT5_S1B_jjP12ihipStream_tbEUljE_EEESW_SX_SY_S15_S19_S1B_T6_T7_T9_mT8_S1D_bDpT10_ENKUlT_T0_E_clISt17integral_constantIbLb1EES1Q_EEDaS1L_S1M_EUlS1L_E_NS1_11comp_targetILNS1_3genE9ELNS1_11target_archE1100ELNS1_3gpuE3ELNS1_3repE0EEENS1_30default_config_static_selectorELNS0_4arch9wavefront6targetE0EEEvSZ_,"axG",@progbits,_ZN7rocprim17ROCPRIM_400000_NS6detail17trampoline_kernelINS0_13select_configILj256ELj13ELNS0_17block_load_methodE3ELS4_3ELS4_3ELNS0_20block_scan_algorithmE0ELj4294967295EEENS1_25partition_config_selectorILNS1_17partition_subalgoE3EjNS0_10empty_typeEbEEZZNS1_14partition_implILS8_3ELb0ES6_jNS0_17counting_iteratorIjlEEPS9_SE_NS0_5tupleIJPjSE_EEENSF_IJSE_SE_EEES9_SG_JZNS1_25segmented_radix_sort_implINS0_14default_configELb0EPK6__halfPSL_PKlPlN2at6native12_GLOBAL__N_18offset_tEEE10hipError_tPvRmT1_PNSt15iterator_traitsISZ_E10value_typeET2_T3_PNS10_IS15_E10value_typeET4_jRbjT5_S1B_jjP12ihipStream_tbEUljE_EEESW_SX_SY_S15_S19_S1B_T6_T7_T9_mT8_S1D_bDpT10_ENKUlT_T0_E_clISt17integral_constantIbLb1EES1Q_EEDaS1L_S1M_EUlS1L_E_NS1_11comp_targetILNS1_3genE9ELNS1_11target_archE1100ELNS1_3gpuE3ELNS1_3repE0EEENS1_30default_config_static_selectorELNS0_4arch9wavefront6targetE0EEEvSZ_,comdat
.Lfunc_end1814:
	.size	_ZN7rocprim17ROCPRIM_400000_NS6detail17trampoline_kernelINS0_13select_configILj256ELj13ELNS0_17block_load_methodE3ELS4_3ELS4_3ELNS0_20block_scan_algorithmE0ELj4294967295EEENS1_25partition_config_selectorILNS1_17partition_subalgoE3EjNS0_10empty_typeEbEEZZNS1_14partition_implILS8_3ELb0ES6_jNS0_17counting_iteratorIjlEEPS9_SE_NS0_5tupleIJPjSE_EEENSF_IJSE_SE_EEES9_SG_JZNS1_25segmented_radix_sort_implINS0_14default_configELb0EPK6__halfPSL_PKlPlN2at6native12_GLOBAL__N_18offset_tEEE10hipError_tPvRmT1_PNSt15iterator_traitsISZ_E10value_typeET2_T3_PNS10_IS15_E10value_typeET4_jRbjT5_S1B_jjP12ihipStream_tbEUljE_EEESW_SX_SY_S15_S19_S1B_T6_T7_T9_mT8_S1D_bDpT10_ENKUlT_T0_E_clISt17integral_constantIbLb1EES1Q_EEDaS1L_S1M_EUlS1L_E_NS1_11comp_targetILNS1_3genE9ELNS1_11target_archE1100ELNS1_3gpuE3ELNS1_3repE0EEENS1_30default_config_static_selectorELNS0_4arch9wavefront6targetE0EEEvSZ_, .Lfunc_end1814-_ZN7rocprim17ROCPRIM_400000_NS6detail17trampoline_kernelINS0_13select_configILj256ELj13ELNS0_17block_load_methodE3ELS4_3ELS4_3ELNS0_20block_scan_algorithmE0ELj4294967295EEENS1_25partition_config_selectorILNS1_17partition_subalgoE3EjNS0_10empty_typeEbEEZZNS1_14partition_implILS8_3ELb0ES6_jNS0_17counting_iteratorIjlEEPS9_SE_NS0_5tupleIJPjSE_EEENSF_IJSE_SE_EEES9_SG_JZNS1_25segmented_radix_sort_implINS0_14default_configELb0EPK6__halfPSL_PKlPlN2at6native12_GLOBAL__N_18offset_tEEE10hipError_tPvRmT1_PNSt15iterator_traitsISZ_E10value_typeET2_T3_PNS10_IS15_E10value_typeET4_jRbjT5_S1B_jjP12ihipStream_tbEUljE_EEESW_SX_SY_S15_S19_S1B_T6_T7_T9_mT8_S1D_bDpT10_ENKUlT_T0_E_clISt17integral_constantIbLb1EES1Q_EEDaS1L_S1M_EUlS1L_E_NS1_11comp_targetILNS1_3genE9ELNS1_11target_archE1100ELNS1_3gpuE3ELNS1_3repE0EEENS1_30default_config_static_selectorELNS0_4arch9wavefront6targetE0EEEvSZ_
                                        ; -- End function
	.set _ZN7rocprim17ROCPRIM_400000_NS6detail17trampoline_kernelINS0_13select_configILj256ELj13ELNS0_17block_load_methodE3ELS4_3ELS4_3ELNS0_20block_scan_algorithmE0ELj4294967295EEENS1_25partition_config_selectorILNS1_17partition_subalgoE3EjNS0_10empty_typeEbEEZZNS1_14partition_implILS8_3ELb0ES6_jNS0_17counting_iteratorIjlEEPS9_SE_NS0_5tupleIJPjSE_EEENSF_IJSE_SE_EEES9_SG_JZNS1_25segmented_radix_sort_implINS0_14default_configELb0EPK6__halfPSL_PKlPlN2at6native12_GLOBAL__N_18offset_tEEE10hipError_tPvRmT1_PNSt15iterator_traitsISZ_E10value_typeET2_T3_PNS10_IS15_E10value_typeET4_jRbjT5_S1B_jjP12ihipStream_tbEUljE_EEESW_SX_SY_S15_S19_S1B_T6_T7_T9_mT8_S1D_bDpT10_ENKUlT_T0_E_clISt17integral_constantIbLb1EES1Q_EEDaS1L_S1M_EUlS1L_E_NS1_11comp_targetILNS1_3genE9ELNS1_11target_archE1100ELNS1_3gpuE3ELNS1_3repE0EEENS1_30default_config_static_selectorELNS0_4arch9wavefront6targetE0EEEvSZ_.num_vgpr, 0
	.set _ZN7rocprim17ROCPRIM_400000_NS6detail17trampoline_kernelINS0_13select_configILj256ELj13ELNS0_17block_load_methodE3ELS4_3ELS4_3ELNS0_20block_scan_algorithmE0ELj4294967295EEENS1_25partition_config_selectorILNS1_17partition_subalgoE3EjNS0_10empty_typeEbEEZZNS1_14partition_implILS8_3ELb0ES6_jNS0_17counting_iteratorIjlEEPS9_SE_NS0_5tupleIJPjSE_EEENSF_IJSE_SE_EEES9_SG_JZNS1_25segmented_radix_sort_implINS0_14default_configELb0EPK6__halfPSL_PKlPlN2at6native12_GLOBAL__N_18offset_tEEE10hipError_tPvRmT1_PNSt15iterator_traitsISZ_E10value_typeET2_T3_PNS10_IS15_E10value_typeET4_jRbjT5_S1B_jjP12ihipStream_tbEUljE_EEESW_SX_SY_S15_S19_S1B_T6_T7_T9_mT8_S1D_bDpT10_ENKUlT_T0_E_clISt17integral_constantIbLb1EES1Q_EEDaS1L_S1M_EUlS1L_E_NS1_11comp_targetILNS1_3genE9ELNS1_11target_archE1100ELNS1_3gpuE3ELNS1_3repE0EEENS1_30default_config_static_selectorELNS0_4arch9wavefront6targetE0EEEvSZ_.num_agpr, 0
	.set _ZN7rocprim17ROCPRIM_400000_NS6detail17trampoline_kernelINS0_13select_configILj256ELj13ELNS0_17block_load_methodE3ELS4_3ELS4_3ELNS0_20block_scan_algorithmE0ELj4294967295EEENS1_25partition_config_selectorILNS1_17partition_subalgoE3EjNS0_10empty_typeEbEEZZNS1_14partition_implILS8_3ELb0ES6_jNS0_17counting_iteratorIjlEEPS9_SE_NS0_5tupleIJPjSE_EEENSF_IJSE_SE_EEES9_SG_JZNS1_25segmented_radix_sort_implINS0_14default_configELb0EPK6__halfPSL_PKlPlN2at6native12_GLOBAL__N_18offset_tEEE10hipError_tPvRmT1_PNSt15iterator_traitsISZ_E10value_typeET2_T3_PNS10_IS15_E10value_typeET4_jRbjT5_S1B_jjP12ihipStream_tbEUljE_EEESW_SX_SY_S15_S19_S1B_T6_T7_T9_mT8_S1D_bDpT10_ENKUlT_T0_E_clISt17integral_constantIbLb1EES1Q_EEDaS1L_S1M_EUlS1L_E_NS1_11comp_targetILNS1_3genE9ELNS1_11target_archE1100ELNS1_3gpuE3ELNS1_3repE0EEENS1_30default_config_static_selectorELNS0_4arch9wavefront6targetE0EEEvSZ_.numbered_sgpr, 0
	.set _ZN7rocprim17ROCPRIM_400000_NS6detail17trampoline_kernelINS0_13select_configILj256ELj13ELNS0_17block_load_methodE3ELS4_3ELS4_3ELNS0_20block_scan_algorithmE0ELj4294967295EEENS1_25partition_config_selectorILNS1_17partition_subalgoE3EjNS0_10empty_typeEbEEZZNS1_14partition_implILS8_3ELb0ES6_jNS0_17counting_iteratorIjlEEPS9_SE_NS0_5tupleIJPjSE_EEENSF_IJSE_SE_EEES9_SG_JZNS1_25segmented_radix_sort_implINS0_14default_configELb0EPK6__halfPSL_PKlPlN2at6native12_GLOBAL__N_18offset_tEEE10hipError_tPvRmT1_PNSt15iterator_traitsISZ_E10value_typeET2_T3_PNS10_IS15_E10value_typeET4_jRbjT5_S1B_jjP12ihipStream_tbEUljE_EEESW_SX_SY_S15_S19_S1B_T6_T7_T9_mT8_S1D_bDpT10_ENKUlT_T0_E_clISt17integral_constantIbLb1EES1Q_EEDaS1L_S1M_EUlS1L_E_NS1_11comp_targetILNS1_3genE9ELNS1_11target_archE1100ELNS1_3gpuE3ELNS1_3repE0EEENS1_30default_config_static_selectorELNS0_4arch9wavefront6targetE0EEEvSZ_.num_named_barrier, 0
	.set _ZN7rocprim17ROCPRIM_400000_NS6detail17trampoline_kernelINS0_13select_configILj256ELj13ELNS0_17block_load_methodE3ELS4_3ELS4_3ELNS0_20block_scan_algorithmE0ELj4294967295EEENS1_25partition_config_selectorILNS1_17partition_subalgoE3EjNS0_10empty_typeEbEEZZNS1_14partition_implILS8_3ELb0ES6_jNS0_17counting_iteratorIjlEEPS9_SE_NS0_5tupleIJPjSE_EEENSF_IJSE_SE_EEES9_SG_JZNS1_25segmented_radix_sort_implINS0_14default_configELb0EPK6__halfPSL_PKlPlN2at6native12_GLOBAL__N_18offset_tEEE10hipError_tPvRmT1_PNSt15iterator_traitsISZ_E10value_typeET2_T3_PNS10_IS15_E10value_typeET4_jRbjT5_S1B_jjP12ihipStream_tbEUljE_EEESW_SX_SY_S15_S19_S1B_T6_T7_T9_mT8_S1D_bDpT10_ENKUlT_T0_E_clISt17integral_constantIbLb1EES1Q_EEDaS1L_S1M_EUlS1L_E_NS1_11comp_targetILNS1_3genE9ELNS1_11target_archE1100ELNS1_3gpuE3ELNS1_3repE0EEENS1_30default_config_static_selectorELNS0_4arch9wavefront6targetE0EEEvSZ_.private_seg_size, 0
	.set _ZN7rocprim17ROCPRIM_400000_NS6detail17trampoline_kernelINS0_13select_configILj256ELj13ELNS0_17block_load_methodE3ELS4_3ELS4_3ELNS0_20block_scan_algorithmE0ELj4294967295EEENS1_25partition_config_selectorILNS1_17partition_subalgoE3EjNS0_10empty_typeEbEEZZNS1_14partition_implILS8_3ELb0ES6_jNS0_17counting_iteratorIjlEEPS9_SE_NS0_5tupleIJPjSE_EEENSF_IJSE_SE_EEES9_SG_JZNS1_25segmented_radix_sort_implINS0_14default_configELb0EPK6__halfPSL_PKlPlN2at6native12_GLOBAL__N_18offset_tEEE10hipError_tPvRmT1_PNSt15iterator_traitsISZ_E10value_typeET2_T3_PNS10_IS15_E10value_typeET4_jRbjT5_S1B_jjP12ihipStream_tbEUljE_EEESW_SX_SY_S15_S19_S1B_T6_T7_T9_mT8_S1D_bDpT10_ENKUlT_T0_E_clISt17integral_constantIbLb1EES1Q_EEDaS1L_S1M_EUlS1L_E_NS1_11comp_targetILNS1_3genE9ELNS1_11target_archE1100ELNS1_3gpuE3ELNS1_3repE0EEENS1_30default_config_static_selectorELNS0_4arch9wavefront6targetE0EEEvSZ_.uses_vcc, 0
	.set _ZN7rocprim17ROCPRIM_400000_NS6detail17trampoline_kernelINS0_13select_configILj256ELj13ELNS0_17block_load_methodE3ELS4_3ELS4_3ELNS0_20block_scan_algorithmE0ELj4294967295EEENS1_25partition_config_selectorILNS1_17partition_subalgoE3EjNS0_10empty_typeEbEEZZNS1_14partition_implILS8_3ELb0ES6_jNS0_17counting_iteratorIjlEEPS9_SE_NS0_5tupleIJPjSE_EEENSF_IJSE_SE_EEES9_SG_JZNS1_25segmented_radix_sort_implINS0_14default_configELb0EPK6__halfPSL_PKlPlN2at6native12_GLOBAL__N_18offset_tEEE10hipError_tPvRmT1_PNSt15iterator_traitsISZ_E10value_typeET2_T3_PNS10_IS15_E10value_typeET4_jRbjT5_S1B_jjP12ihipStream_tbEUljE_EEESW_SX_SY_S15_S19_S1B_T6_T7_T9_mT8_S1D_bDpT10_ENKUlT_T0_E_clISt17integral_constantIbLb1EES1Q_EEDaS1L_S1M_EUlS1L_E_NS1_11comp_targetILNS1_3genE9ELNS1_11target_archE1100ELNS1_3gpuE3ELNS1_3repE0EEENS1_30default_config_static_selectorELNS0_4arch9wavefront6targetE0EEEvSZ_.uses_flat_scratch, 0
	.set _ZN7rocprim17ROCPRIM_400000_NS6detail17trampoline_kernelINS0_13select_configILj256ELj13ELNS0_17block_load_methodE3ELS4_3ELS4_3ELNS0_20block_scan_algorithmE0ELj4294967295EEENS1_25partition_config_selectorILNS1_17partition_subalgoE3EjNS0_10empty_typeEbEEZZNS1_14partition_implILS8_3ELb0ES6_jNS0_17counting_iteratorIjlEEPS9_SE_NS0_5tupleIJPjSE_EEENSF_IJSE_SE_EEES9_SG_JZNS1_25segmented_radix_sort_implINS0_14default_configELb0EPK6__halfPSL_PKlPlN2at6native12_GLOBAL__N_18offset_tEEE10hipError_tPvRmT1_PNSt15iterator_traitsISZ_E10value_typeET2_T3_PNS10_IS15_E10value_typeET4_jRbjT5_S1B_jjP12ihipStream_tbEUljE_EEESW_SX_SY_S15_S19_S1B_T6_T7_T9_mT8_S1D_bDpT10_ENKUlT_T0_E_clISt17integral_constantIbLb1EES1Q_EEDaS1L_S1M_EUlS1L_E_NS1_11comp_targetILNS1_3genE9ELNS1_11target_archE1100ELNS1_3gpuE3ELNS1_3repE0EEENS1_30default_config_static_selectorELNS0_4arch9wavefront6targetE0EEEvSZ_.has_dyn_sized_stack, 0
	.set _ZN7rocprim17ROCPRIM_400000_NS6detail17trampoline_kernelINS0_13select_configILj256ELj13ELNS0_17block_load_methodE3ELS4_3ELS4_3ELNS0_20block_scan_algorithmE0ELj4294967295EEENS1_25partition_config_selectorILNS1_17partition_subalgoE3EjNS0_10empty_typeEbEEZZNS1_14partition_implILS8_3ELb0ES6_jNS0_17counting_iteratorIjlEEPS9_SE_NS0_5tupleIJPjSE_EEENSF_IJSE_SE_EEES9_SG_JZNS1_25segmented_radix_sort_implINS0_14default_configELb0EPK6__halfPSL_PKlPlN2at6native12_GLOBAL__N_18offset_tEEE10hipError_tPvRmT1_PNSt15iterator_traitsISZ_E10value_typeET2_T3_PNS10_IS15_E10value_typeET4_jRbjT5_S1B_jjP12ihipStream_tbEUljE_EEESW_SX_SY_S15_S19_S1B_T6_T7_T9_mT8_S1D_bDpT10_ENKUlT_T0_E_clISt17integral_constantIbLb1EES1Q_EEDaS1L_S1M_EUlS1L_E_NS1_11comp_targetILNS1_3genE9ELNS1_11target_archE1100ELNS1_3gpuE3ELNS1_3repE0EEENS1_30default_config_static_selectorELNS0_4arch9wavefront6targetE0EEEvSZ_.has_recursion, 0
	.set _ZN7rocprim17ROCPRIM_400000_NS6detail17trampoline_kernelINS0_13select_configILj256ELj13ELNS0_17block_load_methodE3ELS4_3ELS4_3ELNS0_20block_scan_algorithmE0ELj4294967295EEENS1_25partition_config_selectorILNS1_17partition_subalgoE3EjNS0_10empty_typeEbEEZZNS1_14partition_implILS8_3ELb0ES6_jNS0_17counting_iteratorIjlEEPS9_SE_NS0_5tupleIJPjSE_EEENSF_IJSE_SE_EEES9_SG_JZNS1_25segmented_radix_sort_implINS0_14default_configELb0EPK6__halfPSL_PKlPlN2at6native12_GLOBAL__N_18offset_tEEE10hipError_tPvRmT1_PNSt15iterator_traitsISZ_E10value_typeET2_T3_PNS10_IS15_E10value_typeET4_jRbjT5_S1B_jjP12ihipStream_tbEUljE_EEESW_SX_SY_S15_S19_S1B_T6_T7_T9_mT8_S1D_bDpT10_ENKUlT_T0_E_clISt17integral_constantIbLb1EES1Q_EEDaS1L_S1M_EUlS1L_E_NS1_11comp_targetILNS1_3genE9ELNS1_11target_archE1100ELNS1_3gpuE3ELNS1_3repE0EEENS1_30default_config_static_selectorELNS0_4arch9wavefront6targetE0EEEvSZ_.has_indirect_call, 0
	.section	.AMDGPU.csdata,"",@progbits
; Kernel info:
; codeLenInByte = 0
; TotalNumSgprs: 0
; NumVgprs: 0
; ScratchSize: 0
; MemoryBound: 0
; FloatMode: 240
; IeeeMode: 1
; LDSByteSize: 0 bytes/workgroup (compile time only)
; SGPRBlocks: 0
; VGPRBlocks: 0
; NumSGPRsForWavesPerEU: 1
; NumVGPRsForWavesPerEU: 1
; NamedBarCnt: 0
; Occupancy: 16
; WaveLimiterHint : 0
; COMPUTE_PGM_RSRC2:SCRATCH_EN: 0
; COMPUTE_PGM_RSRC2:USER_SGPR: 2
; COMPUTE_PGM_RSRC2:TRAP_HANDLER: 0
; COMPUTE_PGM_RSRC2:TGID_X_EN: 1
; COMPUTE_PGM_RSRC2:TGID_Y_EN: 0
; COMPUTE_PGM_RSRC2:TGID_Z_EN: 0
; COMPUTE_PGM_RSRC2:TIDIG_COMP_CNT: 0
	.section	.text._ZN7rocprim17ROCPRIM_400000_NS6detail17trampoline_kernelINS0_13select_configILj256ELj13ELNS0_17block_load_methodE3ELS4_3ELS4_3ELNS0_20block_scan_algorithmE0ELj4294967295EEENS1_25partition_config_selectorILNS1_17partition_subalgoE3EjNS0_10empty_typeEbEEZZNS1_14partition_implILS8_3ELb0ES6_jNS0_17counting_iteratorIjlEEPS9_SE_NS0_5tupleIJPjSE_EEENSF_IJSE_SE_EEES9_SG_JZNS1_25segmented_radix_sort_implINS0_14default_configELb0EPK6__halfPSL_PKlPlN2at6native12_GLOBAL__N_18offset_tEEE10hipError_tPvRmT1_PNSt15iterator_traitsISZ_E10value_typeET2_T3_PNS10_IS15_E10value_typeET4_jRbjT5_S1B_jjP12ihipStream_tbEUljE_EEESW_SX_SY_S15_S19_S1B_T6_T7_T9_mT8_S1D_bDpT10_ENKUlT_T0_E_clISt17integral_constantIbLb1EES1Q_EEDaS1L_S1M_EUlS1L_E_NS1_11comp_targetILNS1_3genE8ELNS1_11target_archE1030ELNS1_3gpuE2ELNS1_3repE0EEENS1_30default_config_static_selectorELNS0_4arch9wavefront6targetE0EEEvSZ_,"axG",@progbits,_ZN7rocprim17ROCPRIM_400000_NS6detail17trampoline_kernelINS0_13select_configILj256ELj13ELNS0_17block_load_methodE3ELS4_3ELS4_3ELNS0_20block_scan_algorithmE0ELj4294967295EEENS1_25partition_config_selectorILNS1_17partition_subalgoE3EjNS0_10empty_typeEbEEZZNS1_14partition_implILS8_3ELb0ES6_jNS0_17counting_iteratorIjlEEPS9_SE_NS0_5tupleIJPjSE_EEENSF_IJSE_SE_EEES9_SG_JZNS1_25segmented_radix_sort_implINS0_14default_configELb0EPK6__halfPSL_PKlPlN2at6native12_GLOBAL__N_18offset_tEEE10hipError_tPvRmT1_PNSt15iterator_traitsISZ_E10value_typeET2_T3_PNS10_IS15_E10value_typeET4_jRbjT5_S1B_jjP12ihipStream_tbEUljE_EEESW_SX_SY_S15_S19_S1B_T6_T7_T9_mT8_S1D_bDpT10_ENKUlT_T0_E_clISt17integral_constantIbLb1EES1Q_EEDaS1L_S1M_EUlS1L_E_NS1_11comp_targetILNS1_3genE8ELNS1_11target_archE1030ELNS1_3gpuE2ELNS1_3repE0EEENS1_30default_config_static_selectorELNS0_4arch9wavefront6targetE0EEEvSZ_,comdat
	.globl	_ZN7rocprim17ROCPRIM_400000_NS6detail17trampoline_kernelINS0_13select_configILj256ELj13ELNS0_17block_load_methodE3ELS4_3ELS4_3ELNS0_20block_scan_algorithmE0ELj4294967295EEENS1_25partition_config_selectorILNS1_17partition_subalgoE3EjNS0_10empty_typeEbEEZZNS1_14partition_implILS8_3ELb0ES6_jNS0_17counting_iteratorIjlEEPS9_SE_NS0_5tupleIJPjSE_EEENSF_IJSE_SE_EEES9_SG_JZNS1_25segmented_radix_sort_implINS0_14default_configELb0EPK6__halfPSL_PKlPlN2at6native12_GLOBAL__N_18offset_tEEE10hipError_tPvRmT1_PNSt15iterator_traitsISZ_E10value_typeET2_T3_PNS10_IS15_E10value_typeET4_jRbjT5_S1B_jjP12ihipStream_tbEUljE_EEESW_SX_SY_S15_S19_S1B_T6_T7_T9_mT8_S1D_bDpT10_ENKUlT_T0_E_clISt17integral_constantIbLb1EES1Q_EEDaS1L_S1M_EUlS1L_E_NS1_11comp_targetILNS1_3genE8ELNS1_11target_archE1030ELNS1_3gpuE2ELNS1_3repE0EEENS1_30default_config_static_selectorELNS0_4arch9wavefront6targetE0EEEvSZ_ ; -- Begin function _ZN7rocprim17ROCPRIM_400000_NS6detail17trampoline_kernelINS0_13select_configILj256ELj13ELNS0_17block_load_methodE3ELS4_3ELS4_3ELNS0_20block_scan_algorithmE0ELj4294967295EEENS1_25partition_config_selectorILNS1_17partition_subalgoE3EjNS0_10empty_typeEbEEZZNS1_14partition_implILS8_3ELb0ES6_jNS0_17counting_iteratorIjlEEPS9_SE_NS0_5tupleIJPjSE_EEENSF_IJSE_SE_EEES9_SG_JZNS1_25segmented_radix_sort_implINS0_14default_configELb0EPK6__halfPSL_PKlPlN2at6native12_GLOBAL__N_18offset_tEEE10hipError_tPvRmT1_PNSt15iterator_traitsISZ_E10value_typeET2_T3_PNS10_IS15_E10value_typeET4_jRbjT5_S1B_jjP12ihipStream_tbEUljE_EEESW_SX_SY_S15_S19_S1B_T6_T7_T9_mT8_S1D_bDpT10_ENKUlT_T0_E_clISt17integral_constantIbLb1EES1Q_EEDaS1L_S1M_EUlS1L_E_NS1_11comp_targetILNS1_3genE8ELNS1_11target_archE1030ELNS1_3gpuE2ELNS1_3repE0EEENS1_30default_config_static_selectorELNS0_4arch9wavefront6targetE0EEEvSZ_
	.p2align	8
	.type	_ZN7rocprim17ROCPRIM_400000_NS6detail17trampoline_kernelINS0_13select_configILj256ELj13ELNS0_17block_load_methodE3ELS4_3ELS4_3ELNS0_20block_scan_algorithmE0ELj4294967295EEENS1_25partition_config_selectorILNS1_17partition_subalgoE3EjNS0_10empty_typeEbEEZZNS1_14partition_implILS8_3ELb0ES6_jNS0_17counting_iteratorIjlEEPS9_SE_NS0_5tupleIJPjSE_EEENSF_IJSE_SE_EEES9_SG_JZNS1_25segmented_radix_sort_implINS0_14default_configELb0EPK6__halfPSL_PKlPlN2at6native12_GLOBAL__N_18offset_tEEE10hipError_tPvRmT1_PNSt15iterator_traitsISZ_E10value_typeET2_T3_PNS10_IS15_E10value_typeET4_jRbjT5_S1B_jjP12ihipStream_tbEUljE_EEESW_SX_SY_S15_S19_S1B_T6_T7_T9_mT8_S1D_bDpT10_ENKUlT_T0_E_clISt17integral_constantIbLb1EES1Q_EEDaS1L_S1M_EUlS1L_E_NS1_11comp_targetILNS1_3genE8ELNS1_11target_archE1030ELNS1_3gpuE2ELNS1_3repE0EEENS1_30default_config_static_selectorELNS0_4arch9wavefront6targetE0EEEvSZ_,@function
_ZN7rocprim17ROCPRIM_400000_NS6detail17trampoline_kernelINS0_13select_configILj256ELj13ELNS0_17block_load_methodE3ELS4_3ELS4_3ELNS0_20block_scan_algorithmE0ELj4294967295EEENS1_25partition_config_selectorILNS1_17partition_subalgoE3EjNS0_10empty_typeEbEEZZNS1_14partition_implILS8_3ELb0ES6_jNS0_17counting_iteratorIjlEEPS9_SE_NS0_5tupleIJPjSE_EEENSF_IJSE_SE_EEES9_SG_JZNS1_25segmented_radix_sort_implINS0_14default_configELb0EPK6__halfPSL_PKlPlN2at6native12_GLOBAL__N_18offset_tEEE10hipError_tPvRmT1_PNSt15iterator_traitsISZ_E10value_typeET2_T3_PNS10_IS15_E10value_typeET4_jRbjT5_S1B_jjP12ihipStream_tbEUljE_EEESW_SX_SY_S15_S19_S1B_T6_T7_T9_mT8_S1D_bDpT10_ENKUlT_T0_E_clISt17integral_constantIbLb1EES1Q_EEDaS1L_S1M_EUlS1L_E_NS1_11comp_targetILNS1_3genE8ELNS1_11target_archE1030ELNS1_3gpuE2ELNS1_3repE0EEENS1_30default_config_static_selectorELNS0_4arch9wavefront6targetE0EEEvSZ_: ; @_ZN7rocprim17ROCPRIM_400000_NS6detail17trampoline_kernelINS0_13select_configILj256ELj13ELNS0_17block_load_methodE3ELS4_3ELS4_3ELNS0_20block_scan_algorithmE0ELj4294967295EEENS1_25partition_config_selectorILNS1_17partition_subalgoE3EjNS0_10empty_typeEbEEZZNS1_14partition_implILS8_3ELb0ES6_jNS0_17counting_iteratorIjlEEPS9_SE_NS0_5tupleIJPjSE_EEENSF_IJSE_SE_EEES9_SG_JZNS1_25segmented_radix_sort_implINS0_14default_configELb0EPK6__halfPSL_PKlPlN2at6native12_GLOBAL__N_18offset_tEEE10hipError_tPvRmT1_PNSt15iterator_traitsISZ_E10value_typeET2_T3_PNS10_IS15_E10value_typeET4_jRbjT5_S1B_jjP12ihipStream_tbEUljE_EEESW_SX_SY_S15_S19_S1B_T6_T7_T9_mT8_S1D_bDpT10_ENKUlT_T0_E_clISt17integral_constantIbLb1EES1Q_EEDaS1L_S1M_EUlS1L_E_NS1_11comp_targetILNS1_3genE8ELNS1_11target_archE1030ELNS1_3gpuE2ELNS1_3repE0EEENS1_30default_config_static_selectorELNS0_4arch9wavefront6targetE0EEEvSZ_
; %bb.0:
	.section	.rodata,"a",@progbits
	.p2align	6, 0x0
	.amdhsa_kernel _ZN7rocprim17ROCPRIM_400000_NS6detail17trampoline_kernelINS0_13select_configILj256ELj13ELNS0_17block_load_methodE3ELS4_3ELS4_3ELNS0_20block_scan_algorithmE0ELj4294967295EEENS1_25partition_config_selectorILNS1_17partition_subalgoE3EjNS0_10empty_typeEbEEZZNS1_14partition_implILS8_3ELb0ES6_jNS0_17counting_iteratorIjlEEPS9_SE_NS0_5tupleIJPjSE_EEENSF_IJSE_SE_EEES9_SG_JZNS1_25segmented_radix_sort_implINS0_14default_configELb0EPK6__halfPSL_PKlPlN2at6native12_GLOBAL__N_18offset_tEEE10hipError_tPvRmT1_PNSt15iterator_traitsISZ_E10value_typeET2_T3_PNS10_IS15_E10value_typeET4_jRbjT5_S1B_jjP12ihipStream_tbEUljE_EEESW_SX_SY_S15_S19_S1B_T6_T7_T9_mT8_S1D_bDpT10_ENKUlT_T0_E_clISt17integral_constantIbLb1EES1Q_EEDaS1L_S1M_EUlS1L_E_NS1_11comp_targetILNS1_3genE8ELNS1_11target_archE1030ELNS1_3gpuE2ELNS1_3repE0EEENS1_30default_config_static_selectorELNS0_4arch9wavefront6targetE0EEEvSZ_
		.amdhsa_group_segment_fixed_size 0
		.amdhsa_private_segment_fixed_size 0
		.amdhsa_kernarg_size 152
		.amdhsa_user_sgpr_count 2
		.amdhsa_user_sgpr_dispatch_ptr 0
		.amdhsa_user_sgpr_queue_ptr 0
		.amdhsa_user_sgpr_kernarg_segment_ptr 1
		.amdhsa_user_sgpr_dispatch_id 0
		.amdhsa_user_sgpr_kernarg_preload_length 0
		.amdhsa_user_sgpr_kernarg_preload_offset 0
		.amdhsa_user_sgpr_private_segment_size 0
		.amdhsa_wavefront_size32 1
		.amdhsa_uses_dynamic_stack 0
		.amdhsa_enable_private_segment 0
		.amdhsa_system_sgpr_workgroup_id_x 1
		.amdhsa_system_sgpr_workgroup_id_y 0
		.amdhsa_system_sgpr_workgroup_id_z 0
		.amdhsa_system_sgpr_workgroup_info 0
		.amdhsa_system_vgpr_workitem_id 0
		.amdhsa_next_free_vgpr 1
		.amdhsa_next_free_sgpr 1
		.amdhsa_named_barrier_count 0
		.amdhsa_reserve_vcc 0
		.amdhsa_float_round_mode_32 0
		.amdhsa_float_round_mode_16_64 0
		.amdhsa_float_denorm_mode_32 3
		.amdhsa_float_denorm_mode_16_64 3
		.amdhsa_fp16_overflow 0
		.amdhsa_memory_ordered 1
		.amdhsa_forward_progress 1
		.amdhsa_inst_pref_size 0
		.amdhsa_round_robin_scheduling 0
		.amdhsa_exception_fp_ieee_invalid_op 0
		.amdhsa_exception_fp_denorm_src 0
		.amdhsa_exception_fp_ieee_div_zero 0
		.amdhsa_exception_fp_ieee_overflow 0
		.amdhsa_exception_fp_ieee_underflow 0
		.amdhsa_exception_fp_ieee_inexact 0
		.amdhsa_exception_int_div_zero 0
	.end_amdhsa_kernel
	.section	.text._ZN7rocprim17ROCPRIM_400000_NS6detail17trampoline_kernelINS0_13select_configILj256ELj13ELNS0_17block_load_methodE3ELS4_3ELS4_3ELNS0_20block_scan_algorithmE0ELj4294967295EEENS1_25partition_config_selectorILNS1_17partition_subalgoE3EjNS0_10empty_typeEbEEZZNS1_14partition_implILS8_3ELb0ES6_jNS0_17counting_iteratorIjlEEPS9_SE_NS0_5tupleIJPjSE_EEENSF_IJSE_SE_EEES9_SG_JZNS1_25segmented_radix_sort_implINS0_14default_configELb0EPK6__halfPSL_PKlPlN2at6native12_GLOBAL__N_18offset_tEEE10hipError_tPvRmT1_PNSt15iterator_traitsISZ_E10value_typeET2_T3_PNS10_IS15_E10value_typeET4_jRbjT5_S1B_jjP12ihipStream_tbEUljE_EEESW_SX_SY_S15_S19_S1B_T6_T7_T9_mT8_S1D_bDpT10_ENKUlT_T0_E_clISt17integral_constantIbLb1EES1Q_EEDaS1L_S1M_EUlS1L_E_NS1_11comp_targetILNS1_3genE8ELNS1_11target_archE1030ELNS1_3gpuE2ELNS1_3repE0EEENS1_30default_config_static_selectorELNS0_4arch9wavefront6targetE0EEEvSZ_,"axG",@progbits,_ZN7rocprim17ROCPRIM_400000_NS6detail17trampoline_kernelINS0_13select_configILj256ELj13ELNS0_17block_load_methodE3ELS4_3ELS4_3ELNS0_20block_scan_algorithmE0ELj4294967295EEENS1_25partition_config_selectorILNS1_17partition_subalgoE3EjNS0_10empty_typeEbEEZZNS1_14partition_implILS8_3ELb0ES6_jNS0_17counting_iteratorIjlEEPS9_SE_NS0_5tupleIJPjSE_EEENSF_IJSE_SE_EEES9_SG_JZNS1_25segmented_radix_sort_implINS0_14default_configELb0EPK6__halfPSL_PKlPlN2at6native12_GLOBAL__N_18offset_tEEE10hipError_tPvRmT1_PNSt15iterator_traitsISZ_E10value_typeET2_T3_PNS10_IS15_E10value_typeET4_jRbjT5_S1B_jjP12ihipStream_tbEUljE_EEESW_SX_SY_S15_S19_S1B_T6_T7_T9_mT8_S1D_bDpT10_ENKUlT_T0_E_clISt17integral_constantIbLb1EES1Q_EEDaS1L_S1M_EUlS1L_E_NS1_11comp_targetILNS1_3genE8ELNS1_11target_archE1030ELNS1_3gpuE2ELNS1_3repE0EEENS1_30default_config_static_selectorELNS0_4arch9wavefront6targetE0EEEvSZ_,comdat
.Lfunc_end1815:
	.size	_ZN7rocprim17ROCPRIM_400000_NS6detail17trampoline_kernelINS0_13select_configILj256ELj13ELNS0_17block_load_methodE3ELS4_3ELS4_3ELNS0_20block_scan_algorithmE0ELj4294967295EEENS1_25partition_config_selectorILNS1_17partition_subalgoE3EjNS0_10empty_typeEbEEZZNS1_14partition_implILS8_3ELb0ES6_jNS0_17counting_iteratorIjlEEPS9_SE_NS0_5tupleIJPjSE_EEENSF_IJSE_SE_EEES9_SG_JZNS1_25segmented_radix_sort_implINS0_14default_configELb0EPK6__halfPSL_PKlPlN2at6native12_GLOBAL__N_18offset_tEEE10hipError_tPvRmT1_PNSt15iterator_traitsISZ_E10value_typeET2_T3_PNS10_IS15_E10value_typeET4_jRbjT5_S1B_jjP12ihipStream_tbEUljE_EEESW_SX_SY_S15_S19_S1B_T6_T7_T9_mT8_S1D_bDpT10_ENKUlT_T0_E_clISt17integral_constantIbLb1EES1Q_EEDaS1L_S1M_EUlS1L_E_NS1_11comp_targetILNS1_3genE8ELNS1_11target_archE1030ELNS1_3gpuE2ELNS1_3repE0EEENS1_30default_config_static_selectorELNS0_4arch9wavefront6targetE0EEEvSZ_, .Lfunc_end1815-_ZN7rocprim17ROCPRIM_400000_NS6detail17trampoline_kernelINS0_13select_configILj256ELj13ELNS0_17block_load_methodE3ELS4_3ELS4_3ELNS0_20block_scan_algorithmE0ELj4294967295EEENS1_25partition_config_selectorILNS1_17partition_subalgoE3EjNS0_10empty_typeEbEEZZNS1_14partition_implILS8_3ELb0ES6_jNS0_17counting_iteratorIjlEEPS9_SE_NS0_5tupleIJPjSE_EEENSF_IJSE_SE_EEES9_SG_JZNS1_25segmented_radix_sort_implINS0_14default_configELb0EPK6__halfPSL_PKlPlN2at6native12_GLOBAL__N_18offset_tEEE10hipError_tPvRmT1_PNSt15iterator_traitsISZ_E10value_typeET2_T3_PNS10_IS15_E10value_typeET4_jRbjT5_S1B_jjP12ihipStream_tbEUljE_EEESW_SX_SY_S15_S19_S1B_T6_T7_T9_mT8_S1D_bDpT10_ENKUlT_T0_E_clISt17integral_constantIbLb1EES1Q_EEDaS1L_S1M_EUlS1L_E_NS1_11comp_targetILNS1_3genE8ELNS1_11target_archE1030ELNS1_3gpuE2ELNS1_3repE0EEENS1_30default_config_static_selectorELNS0_4arch9wavefront6targetE0EEEvSZ_
                                        ; -- End function
	.set _ZN7rocprim17ROCPRIM_400000_NS6detail17trampoline_kernelINS0_13select_configILj256ELj13ELNS0_17block_load_methodE3ELS4_3ELS4_3ELNS0_20block_scan_algorithmE0ELj4294967295EEENS1_25partition_config_selectorILNS1_17partition_subalgoE3EjNS0_10empty_typeEbEEZZNS1_14partition_implILS8_3ELb0ES6_jNS0_17counting_iteratorIjlEEPS9_SE_NS0_5tupleIJPjSE_EEENSF_IJSE_SE_EEES9_SG_JZNS1_25segmented_radix_sort_implINS0_14default_configELb0EPK6__halfPSL_PKlPlN2at6native12_GLOBAL__N_18offset_tEEE10hipError_tPvRmT1_PNSt15iterator_traitsISZ_E10value_typeET2_T3_PNS10_IS15_E10value_typeET4_jRbjT5_S1B_jjP12ihipStream_tbEUljE_EEESW_SX_SY_S15_S19_S1B_T6_T7_T9_mT8_S1D_bDpT10_ENKUlT_T0_E_clISt17integral_constantIbLb1EES1Q_EEDaS1L_S1M_EUlS1L_E_NS1_11comp_targetILNS1_3genE8ELNS1_11target_archE1030ELNS1_3gpuE2ELNS1_3repE0EEENS1_30default_config_static_selectorELNS0_4arch9wavefront6targetE0EEEvSZ_.num_vgpr, 0
	.set _ZN7rocprim17ROCPRIM_400000_NS6detail17trampoline_kernelINS0_13select_configILj256ELj13ELNS0_17block_load_methodE3ELS4_3ELS4_3ELNS0_20block_scan_algorithmE0ELj4294967295EEENS1_25partition_config_selectorILNS1_17partition_subalgoE3EjNS0_10empty_typeEbEEZZNS1_14partition_implILS8_3ELb0ES6_jNS0_17counting_iteratorIjlEEPS9_SE_NS0_5tupleIJPjSE_EEENSF_IJSE_SE_EEES9_SG_JZNS1_25segmented_radix_sort_implINS0_14default_configELb0EPK6__halfPSL_PKlPlN2at6native12_GLOBAL__N_18offset_tEEE10hipError_tPvRmT1_PNSt15iterator_traitsISZ_E10value_typeET2_T3_PNS10_IS15_E10value_typeET4_jRbjT5_S1B_jjP12ihipStream_tbEUljE_EEESW_SX_SY_S15_S19_S1B_T6_T7_T9_mT8_S1D_bDpT10_ENKUlT_T0_E_clISt17integral_constantIbLb1EES1Q_EEDaS1L_S1M_EUlS1L_E_NS1_11comp_targetILNS1_3genE8ELNS1_11target_archE1030ELNS1_3gpuE2ELNS1_3repE0EEENS1_30default_config_static_selectorELNS0_4arch9wavefront6targetE0EEEvSZ_.num_agpr, 0
	.set _ZN7rocprim17ROCPRIM_400000_NS6detail17trampoline_kernelINS0_13select_configILj256ELj13ELNS0_17block_load_methodE3ELS4_3ELS4_3ELNS0_20block_scan_algorithmE0ELj4294967295EEENS1_25partition_config_selectorILNS1_17partition_subalgoE3EjNS0_10empty_typeEbEEZZNS1_14partition_implILS8_3ELb0ES6_jNS0_17counting_iteratorIjlEEPS9_SE_NS0_5tupleIJPjSE_EEENSF_IJSE_SE_EEES9_SG_JZNS1_25segmented_radix_sort_implINS0_14default_configELb0EPK6__halfPSL_PKlPlN2at6native12_GLOBAL__N_18offset_tEEE10hipError_tPvRmT1_PNSt15iterator_traitsISZ_E10value_typeET2_T3_PNS10_IS15_E10value_typeET4_jRbjT5_S1B_jjP12ihipStream_tbEUljE_EEESW_SX_SY_S15_S19_S1B_T6_T7_T9_mT8_S1D_bDpT10_ENKUlT_T0_E_clISt17integral_constantIbLb1EES1Q_EEDaS1L_S1M_EUlS1L_E_NS1_11comp_targetILNS1_3genE8ELNS1_11target_archE1030ELNS1_3gpuE2ELNS1_3repE0EEENS1_30default_config_static_selectorELNS0_4arch9wavefront6targetE0EEEvSZ_.numbered_sgpr, 0
	.set _ZN7rocprim17ROCPRIM_400000_NS6detail17trampoline_kernelINS0_13select_configILj256ELj13ELNS0_17block_load_methodE3ELS4_3ELS4_3ELNS0_20block_scan_algorithmE0ELj4294967295EEENS1_25partition_config_selectorILNS1_17partition_subalgoE3EjNS0_10empty_typeEbEEZZNS1_14partition_implILS8_3ELb0ES6_jNS0_17counting_iteratorIjlEEPS9_SE_NS0_5tupleIJPjSE_EEENSF_IJSE_SE_EEES9_SG_JZNS1_25segmented_radix_sort_implINS0_14default_configELb0EPK6__halfPSL_PKlPlN2at6native12_GLOBAL__N_18offset_tEEE10hipError_tPvRmT1_PNSt15iterator_traitsISZ_E10value_typeET2_T3_PNS10_IS15_E10value_typeET4_jRbjT5_S1B_jjP12ihipStream_tbEUljE_EEESW_SX_SY_S15_S19_S1B_T6_T7_T9_mT8_S1D_bDpT10_ENKUlT_T0_E_clISt17integral_constantIbLb1EES1Q_EEDaS1L_S1M_EUlS1L_E_NS1_11comp_targetILNS1_3genE8ELNS1_11target_archE1030ELNS1_3gpuE2ELNS1_3repE0EEENS1_30default_config_static_selectorELNS0_4arch9wavefront6targetE0EEEvSZ_.num_named_barrier, 0
	.set _ZN7rocprim17ROCPRIM_400000_NS6detail17trampoline_kernelINS0_13select_configILj256ELj13ELNS0_17block_load_methodE3ELS4_3ELS4_3ELNS0_20block_scan_algorithmE0ELj4294967295EEENS1_25partition_config_selectorILNS1_17partition_subalgoE3EjNS0_10empty_typeEbEEZZNS1_14partition_implILS8_3ELb0ES6_jNS0_17counting_iteratorIjlEEPS9_SE_NS0_5tupleIJPjSE_EEENSF_IJSE_SE_EEES9_SG_JZNS1_25segmented_radix_sort_implINS0_14default_configELb0EPK6__halfPSL_PKlPlN2at6native12_GLOBAL__N_18offset_tEEE10hipError_tPvRmT1_PNSt15iterator_traitsISZ_E10value_typeET2_T3_PNS10_IS15_E10value_typeET4_jRbjT5_S1B_jjP12ihipStream_tbEUljE_EEESW_SX_SY_S15_S19_S1B_T6_T7_T9_mT8_S1D_bDpT10_ENKUlT_T0_E_clISt17integral_constantIbLb1EES1Q_EEDaS1L_S1M_EUlS1L_E_NS1_11comp_targetILNS1_3genE8ELNS1_11target_archE1030ELNS1_3gpuE2ELNS1_3repE0EEENS1_30default_config_static_selectorELNS0_4arch9wavefront6targetE0EEEvSZ_.private_seg_size, 0
	.set _ZN7rocprim17ROCPRIM_400000_NS6detail17trampoline_kernelINS0_13select_configILj256ELj13ELNS0_17block_load_methodE3ELS4_3ELS4_3ELNS0_20block_scan_algorithmE0ELj4294967295EEENS1_25partition_config_selectorILNS1_17partition_subalgoE3EjNS0_10empty_typeEbEEZZNS1_14partition_implILS8_3ELb0ES6_jNS0_17counting_iteratorIjlEEPS9_SE_NS0_5tupleIJPjSE_EEENSF_IJSE_SE_EEES9_SG_JZNS1_25segmented_radix_sort_implINS0_14default_configELb0EPK6__halfPSL_PKlPlN2at6native12_GLOBAL__N_18offset_tEEE10hipError_tPvRmT1_PNSt15iterator_traitsISZ_E10value_typeET2_T3_PNS10_IS15_E10value_typeET4_jRbjT5_S1B_jjP12ihipStream_tbEUljE_EEESW_SX_SY_S15_S19_S1B_T6_T7_T9_mT8_S1D_bDpT10_ENKUlT_T0_E_clISt17integral_constantIbLb1EES1Q_EEDaS1L_S1M_EUlS1L_E_NS1_11comp_targetILNS1_3genE8ELNS1_11target_archE1030ELNS1_3gpuE2ELNS1_3repE0EEENS1_30default_config_static_selectorELNS0_4arch9wavefront6targetE0EEEvSZ_.uses_vcc, 0
	.set _ZN7rocprim17ROCPRIM_400000_NS6detail17trampoline_kernelINS0_13select_configILj256ELj13ELNS0_17block_load_methodE3ELS4_3ELS4_3ELNS0_20block_scan_algorithmE0ELj4294967295EEENS1_25partition_config_selectorILNS1_17partition_subalgoE3EjNS0_10empty_typeEbEEZZNS1_14partition_implILS8_3ELb0ES6_jNS0_17counting_iteratorIjlEEPS9_SE_NS0_5tupleIJPjSE_EEENSF_IJSE_SE_EEES9_SG_JZNS1_25segmented_radix_sort_implINS0_14default_configELb0EPK6__halfPSL_PKlPlN2at6native12_GLOBAL__N_18offset_tEEE10hipError_tPvRmT1_PNSt15iterator_traitsISZ_E10value_typeET2_T3_PNS10_IS15_E10value_typeET4_jRbjT5_S1B_jjP12ihipStream_tbEUljE_EEESW_SX_SY_S15_S19_S1B_T6_T7_T9_mT8_S1D_bDpT10_ENKUlT_T0_E_clISt17integral_constantIbLb1EES1Q_EEDaS1L_S1M_EUlS1L_E_NS1_11comp_targetILNS1_3genE8ELNS1_11target_archE1030ELNS1_3gpuE2ELNS1_3repE0EEENS1_30default_config_static_selectorELNS0_4arch9wavefront6targetE0EEEvSZ_.uses_flat_scratch, 0
	.set _ZN7rocprim17ROCPRIM_400000_NS6detail17trampoline_kernelINS0_13select_configILj256ELj13ELNS0_17block_load_methodE3ELS4_3ELS4_3ELNS0_20block_scan_algorithmE0ELj4294967295EEENS1_25partition_config_selectorILNS1_17partition_subalgoE3EjNS0_10empty_typeEbEEZZNS1_14partition_implILS8_3ELb0ES6_jNS0_17counting_iteratorIjlEEPS9_SE_NS0_5tupleIJPjSE_EEENSF_IJSE_SE_EEES9_SG_JZNS1_25segmented_radix_sort_implINS0_14default_configELb0EPK6__halfPSL_PKlPlN2at6native12_GLOBAL__N_18offset_tEEE10hipError_tPvRmT1_PNSt15iterator_traitsISZ_E10value_typeET2_T3_PNS10_IS15_E10value_typeET4_jRbjT5_S1B_jjP12ihipStream_tbEUljE_EEESW_SX_SY_S15_S19_S1B_T6_T7_T9_mT8_S1D_bDpT10_ENKUlT_T0_E_clISt17integral_constantIbLb1EES1Q_EEDaS1L_S1M_EUlS1L_E_NS1_11comp_targetILNS1_3genE8ELNS1_11target_archE1030ELNS1_3gpuE2ELNS1_3repE0EEENS1_30default_config_static_selectorELNS0_4arch9wavefront6targetE0EEEvSZ_.has_dyn_sized_stack, 0
	.set _ZN7rocprim17ROCPRIM_400000_NS6detail17trampoline_kernelINS0_13select_configILj256ELj13ELNS0_17block_load_methodE3ELS4_3ELS4_3ELNS0_20block_scan_algorithmE0ELj4294967295EEENS1_25partition_config_selectorILNS1_17partition_subalgoE3EjNS0_10empty_typeEbEEZZNS1_14partition_implILS8_3ELb0ES6_jNS0_17counting_iteratorIjlEEPS9_SE_NS0_5tupleIJPjSE_EEENSF_IJSE_SE_EEES9_SG_JZNS1_25segmented_radix_sort_implINS0_14default_configELb0EPK6__halfPSL_PKlPlN2at6native12_GLOBAL__N_18offset_tEEE10hipError_tPvRmT1_PNSt15iterator_traitsISZ_E10value_typeET2_T3_PNS10_IS15_E10value_typeET4_jRbjT5_S1B_jjP12ihipStream_tbEUljE_EEESW_SX_SY_S15_S19_S1B_T6_T7_T9_mT8_S1D_bDpT10_ENKUlT_T0_E_clISt17integral_constantIbLb1EES1Q_EEDaS1L_S1M_EUlS1L_E_NS1_11comp_targetILNS1_3genE8ELNS1_11target_archE1030ELNS1_3gpuE2ELNS1_3repE0EEENS1_30default_config_static_selectorELNS0_4arch9wavefront6targetE0EEEvSZ_.has_recursion, 0
	.set _ZN7rocprim17ROCPRIM_400000_NS6detail17trampoline_kernelINS0_13select_configILj256ELj13ELNS0_17block_load_methodE3ELS4_3ELS4_3ELNS0_20block_scan_algorithmE0ELj4294967295EEENS1_25partition_config_selectorILNS1_17partition_subalgoE3EjNS0_10empty_typeEbEEZZNS1_14partition_implILS8_3ELb0ES6_jNS0_17counting_iteratorIjlEEPS9_SE_NS0_5tupleIJPjSE_EEENSF_IJSE_SE_EEES9_SG_JZNS1_25segmented_radix_sort_implINS0_14default_configELb0EPK6__halfPSL_PKlPlN2at6native12_GLOBAL__N_18offset_tEEE10hipError_tPvRmT1_PNSt15iterator_traitsISZ_E10value_typeET2_T3_PNS10_IS15_E10value_typeET4_jRbjT5_S1B_jjP12ihipStream_tbEUljE_EEESW_SX_SY_S15_S19_S1B_T6_T7_T9_mT8_S1D_bDpT10_ENKUlT_T0_E_clISt17integral_constantIbLb1EES1Q_EEDaS1L_S1M_EUlS1L_E_NS1_11comp_targetILNS1_3genE8ELNS1_11target_archE1030ELNS1_3gpuE2ELNS1_3repE0EEENS1_30default_config_static_selectorELNS0_4arch9wavefront6targetE0EEEvSZ_.has_indirect_call, 0
	.section	.AMDGPU.csdata,"",@progbits
; Kernel info:
; codeLenInByte = 0
; TotalNumSgprs: 0
; NumVgprs: 0
; ScratchSize: 0
; MemoryBound: 0
; FloatMode: 240
; IeeeMode: 1
; LDSByteSize: 0 bytes/workgroup (compile time only)
; SGPRBlocks: 0
; VGPRBlocks: 0
; NumSGPRsForWavesPerEU: 1
; NumVGPRsForWavesPerEU: 1
; NamedBarCnt: 0
; Occupancy: 16
; WaveLimiterHint : 0
; COMPUTE_PGM_RSRC2:SCRATCH_EN: 0
; COMPUTE_PGM_RSRC2:USER_SGPR: 2
; COMPUTE_PGM_RSRC2:TRAP_HANDLER: 0
; COMPUTE_PGM_RSRC2:TGID_X_EN: 1
; COMPUTE_PGM_RSRC2:TGID_Y_EN: 0
; COMPUTE_PGM_RSRC2:TGID_Z_EN: 0
; COMPUTE_PGM_RSRC2:TIDIG_COMP_CNT: 0
	.section	.text._ZN7rocprim17ROCPRIM_400000_NS6detail17trampoline_kernelINS0_13select_configILj256ELj13ELNS0_17block_load_methodE3ELS4_3ELS4_3ELNS0_20block_scan_algorithmE0ELj4294967295EEENS1_25partition_config_selectorILNS1_17partition_subalgoE3EjNS0_10empty_typeEbEEZZNS1_14partition_implILS8_3ELb0ES6_jNS0_17counting_iteratorIjlEEPS9_SE_NS0_5tupleIJPjSE_EEENSF_IJSE_SE_EEES9_SG_JZNS1_25segmented_radix_sort_implINS0_14default_configELb0EPK6__halfPSL_PKlPlN2at6native12_GLOBAL__N_18offset_tEEE10hipError_tPvRmT1_PNSt15iterator_traitsISZ_E10value_typeET2_T3_PNS10_IS15_E10value_typeET4_jRbjT5_S1B_jjP12ihipStream_tbEUljE_EEESW_SX_SY_S15_S19_S1B_T6_T7_T9_mT8_S1D_bDpT10_ENKUlT_T0_E_clISt17integral_constantIbLb1EES1P_IbLb0EEEEDaS1L_S1M_EUlS1L_E_NS1_11comp_targetILNS1_3genE0ELNS1_11target_archE4294967295ELNS1_3gpuE0ELNS1_3repE0EEENS1_30default_config_static_selectorELNS0_4arch9wavefront6targetE0EEEvSZ_,"axG",@progbits,_ZN7rocprim17ROCPRIM_400000_NS6detail17trampoline_kernelINS0_13select_configILj256ELj13ELNS0_17block_load_methodE3ELS4_3ELS4_3ELNS0_20block_scan_algorithmE0ELj4294967295EEENS1_25partition_config_selectorILNS1_17partition_subalgoE3EjNS0_10empty_typeEbEEZZNS1_14partition_implILS8_3ELb0ES6_jNS0_17counting_iteratorIjlEEPS9_SE_NS0_5tupleIJPjSE_EEENSF_IJSE_SE_EEES9_SG_JZNS1_25segmented_radix_sort_implINS0_14default_configELb0EPK6__halfPSL_PKlPlN2at6native12_GLOBAL__N_18offset_tEEE10hipError_tPvRmT1_PNSt15iterator_traitsISZ_E10value_typeET2_T3_PNS10_IS15_E10value_typeET4_jRbjT5_S1B_jjP12ihipStream_tbEUljE_EEESW_SX_SY_S15_S19_S1B_T6_T7_T9_mT8_S1D_bDpT10_ENKUlT_T0_E_clISt17integral_constantIbLb1EES1P_IbLb0EEEEDaS1L_S1M_EUlS1L_E_NS1_11comp_targetILNS1_3genE0ELNS1_11target_archE4294967295ELNS1_3gpuE0ELNS1_3repE0EEENS1_30default_config_static_selectorELNS0_4arch9wavefront6targetE0EEEvSZ_,comdat
	.globl	_ZN7rocprim17ROCPRIM_400000_NS6detail17trampoline_kernelINS0_13select_configILj256ELj13ELNS0_17block_load_methodE3ELS4_3ELS4_3ELNS0_20block_scan_algorithmE0ELj4294967295EEENS1_25partition_config_selectorILNS1_17partition_subalgoE3EjNS0_10empty_typeEbEEZZNS1_14partition_implILS8_3ELb0ES6_jNS0_17counting_iteratorIjlEEPS9_SE_NS0_5tupleIJPjSE_EEENSF_IJSE_SE_EEES9_SG_JZNS1_25segmented_radix_sort_implINS0_14default_configELb0EPK6__halfPSL_PKlPlN2at6native12_GLOBAL__N_18offset_tEEE10hipError_tPvRmT1_PNSt15iterator_traitsISZ_E10value_typeET2_T3_PNS10_IS15_E10value_typeET4_jRbjT5_S1B_jjP12ihipStream_tbEUljE_EEESW_SX_SY_S15_S19_S1B_T6_T7_T9_mT8_S1D_bDpT10_ENKUlT_T0_E_clISt17integral_constantIbLb1EES1P_IbLb0EEEEDaS1L_S1M_EUlS1L_E_NS1_11comp_targetILNS1_3genE0ELNS1_11target_archE4294967295ELNS1_3gpuE0ELNS1_3repE0EEENS1_30default_config_static_selectorELNS0_4arch9wavefront6targetE0EEEvSZ_ ; -- Begin function _ZN7rocprim17ROCPRIM_400000_NS6detail17trampoline_kernelINS0_13select_configILj256ELj13ELNS0_17block_load_methodE3ELS4_3ELS4_3ELNS0_20block_scan_algorithmE0ELj4294967295EEENS1_25partition_config_selectorILNS1_17partition_subalgoE3EjNS0_10empty_typeEbEEZZNS1_14partition_implILS8_3ELb0ES6_jNS0_17counting_iteratorIjlEEPS9_SE_NS0_5tupleIJPjSE_EEENSF_IJSE_SE_EEES9_SG_JZNS1_25segmented_radix_sort_implINS0_14default_configELb0EPK6__halfPSL_PKlPlN2at6native12_GLOBAL__N_18offset_tEEE10hipError_tPvRmT1_PNSt15iterator_traitsISZ_E10value_typeET2_T3_PNS10_IS15_E10value_typeET4_jRbjT5_S1B_jjP12ihipStream_tbEUljE_EEESW_SX_SY_S15_S19_S1B_T6_T7_T9_mT8_S1D_bDpT10_ENKUlT_T0_E_clISt17integral_constantIbLb1EES1P_IbLb0EEEEDaS1L_S1M_EUlS1L_E_NS1_11comp_targetILNS1_3genE0ELNS1_11target_archE4294967295ELNS1_3gpuE0ELNS1_3repE0EEENS1_30default_config_static_selectorELNS0_4arch9wavefront6targetE0EEEvSZ_
	.p2align	8
	.type	_ZN7rocprim17ROCPRIM_400000_NS6detail17trampoline_kernelINS0_13select_configILj256ELj13ELNS0_17block_load_methodE3ELS4_3ELS4_3ELNS0_20block_scan_algorithmE0ELj4294967295EEENS1_25partition_config_selectorILNS1_17partition_subalgoE3EjNS0_10empty_typeEbEEZZNS1_14partition_implILS8_3ELb0ES6_jNS0_17counting_iteratorIjlEEPS9_SE_NS0_5tupleIJPjSE_EEENSF_IJSE_SE_EEES9_SG_JZNS1_25segmented_radix_sort_implINS0_14default_configELb0EPK6__halfPSL_PKlPlN2at6native12_GLOBAL__N_18offset_tEEE10hipError_tPvRmT1_PNSt15iterator_traitsISZ_E10value_typeET2_T3_PNS10_IS15_E10value_typeET4_jRbjT5_S1B_jjP12ihipStream_tbEUljE_EEESW_SX_SY_S15_S19_S1B_T6_T7_T9_mT8_S1D_bDpT10_ENKUlT_T0_E_clISt17integral_constantIbLb1EES1P_IbLb0EEEEDaS1L_S1M_EUlS1L_E_NS1_11comp_targetILNS1_3genE0ELNS1_11target_archE4294967295ELNS1_3gpuE0ELNS1_3repE0EEENS1_30default_config_static_selectorELNS0_4arch9wavefront6targetE0EEEvSZ_,@function
_ZN7rocprim17ROCPRIM_400000_NS6detail17trampoline_kernelINS0_13select_configILj256ELj13ELNS0_17block_load_methodE3ELS4_3ELS4_3ELNS0_20block_scan_algorithmE0ELj4294967295EEENS1_25partition_config_selectorILNS1_17partition_subalgoE3EjNS0_10empty_typeEbEEZZNS1_14partition_implILS8_3ELb0ES6_jNS0_17counting_iteratorIjlEEPS9_SE_NS0_5tupleIJPjSE_EEENSF_IJSE_SE_EEES9_SG_JZNS1_25segmented_radix_sort_implINS0_14default_configELb0EPK6__halfPSL_PKlPlN2at6native12_GLOBAL__N_18offset_tEEE10hipError_tPvRmT1_PNSt15iterator_traitsISZ_E10value_typeET2_T3_PNS10_IS15_E10value_typeET4_jRbjT5_S1B_jjP12ihipStream_tbEUljE_EEESW_SX_SY_S15_S19_S1B_T6_T7_T9_mT8_S1D_bDpT10_ENKUlT_T0_E_clISt17integral_constantIbLb1EES1P_IbLb0EEEEDaS1L_S1M_EUlS1L_E_NS1_11comp_targetILNS1_3genE0ELNS1_11target_archE4294967295ELNS1_3gpuE0ELNS1_3repE0EEENS1_30default_config_static_selectorELNS0_4arch9wavefront6targetE0EEEvSZ_: ; @_ZN7rocprim17ROCPRIM_400000_NS6detail17trampoline_kernelINS0_13select_configILj256ELj13ELNS0_17block_load_methodE3ELS4_3ELS4_3ELNS0_20block_scan_algorithmE0ELj4294967295EEENS1_25partition_config_selectorILNS1_17partition_subalgoE3EjNS0_10empty_typeEbEEZZNS1_14partition_implILS8_3ELb0ES6_jNS0_17counting_iteratorIjlEEPS9_SE_NS0_5tupleIJPjSE_EEENSF_IJSE_SE_EEES9_SG_JZNS1_25segmented_radix_sort_implINS0_14default_configELb0EPK6__halfPSL_PKlPlN2at6native12_GLOBAL__N_18offset_tEEE10hipError_tPvRmT1_PNSt15iterator_traitsISZ_E10value_typeET2_T3_PNS10_IS15_E10value_typeET4_jRbjT5_S1B_jjP12ihipStream_tbEUljE_EEESW_SX_SY_S15_S19_S1B_T6_T7_T9_mT8_S1D_bDpT10_ENKUlT_T0_E_clISt17integral_constantIbLb1EES1P_IbLb0EEEEDaS1L_S1M_EUlS1L_E_NS1_11comp_targetILNS1_3genE0ELNS1_11target_archE4294967295ELNS1_3gpuE0ELNS1_3repE0EEENS1_30default_config_static_selectorELNS0_4arch9wavefront6targetE0EEEvSZ_
; %bb.0:
	s_endpgm
	.section	.rodata,"a",@progbits
	.p2align	6, 0x0
	.amdhsa_kernel _ZN7rocprim17ROCPRIM_400000_NS6detail17trampoline_kernelINS0_13select_configILj256ELj13ELNS0_17block_load_methodE3ELS4_3ELS4_3ELNS0_20block_scan_algorithmE0ELj4294967295EEENS1_25partition_config_selectorILNS1_17partition_subalgoE3EjNS0_10empty_typeEbEEZZNS1_14partition_implILS8_3ELb0ES6_jNS0_17counting_iteratorIjlEEPS9_SE_NS0_5tupleIJPjSE_EEENSF_IJSE_SE_EEES9_SG_JZNS1_25segmented_radix_sort_implINS0_14default_configELb0EPK6__halfPSL_PKlPlN2at6native12_GLOBAL__N_18offset_tEEE10hipError_tPvRmT1_PNSt15iterator_traitsISZ_E10value_typeET2_T3_PNS10_IS15_E10value_typeET4_jRbjT5_S1B_jjP12ihipStream_tbEUljE_EEESW_SX_SY_S15_S19_S1B_T6_T7_T9_mT8_S1D_bDpT10_ENKUlT_T0_E_clISt17integral_constantIbLb1EES1P_IbLb0EEEEDaS1L_S1M_EUlS1L_E_NS1_11comp_targetILNS1_3genE0ELNS1_11target_archE4294967295ELNS1_3gpuE0ELNS1_3repE0EEENS1_30default_config_static_selectorELNS0_4arch9wavefront6targetE0EEEvSZ_
		.amdhsa_group_segment_fixed_size 0
		.amdhsa_private_segment_fixed_size 0
		.amdhsa_kernarg_size 144
		.amdhsa_user_sgpr_count 2
		.amdhsa_user_sgpr_dispatch_ptr 0
		.amdhsa_user_sgpr_queue_ptr 0
		.amdhsa_user_sgpr_kernarg_segment_ptr 1
		.amdhsa_user_sgpr_dispatch_id 0
		.amdhsa_user_sgpr_kernarg_preload_length 0
		.amdhsa_user_sgpr_kernarg_preload_offset 0
		.amdhsa_user_sgpr_private_segment_size 0
		.amdhsa_wavefront_size32 1
		.amdhsa_uses_dynamic_stack 0
		.amdhsa_enable_private_segment 0
		.amdhsa_system_sgpr_workgroup_id_x 1
		.amdhsa_system_sgpr_workgroup_id_y 0
		.amdhsa_system_sgpr_workgroup_id_z 0
		.amdhsa_system_sgpr_workgroup_info 0
		.amdhsa_system_vgpr_workitem_id 0
		.amdhsa_next_free_vgpr 1
		.amdhsa_next_free_sgpr 1
		.amdhsa_named_barrier_count 0
		.amdhsa_reserve_vcc 0
		.amdhsa_float_round_mode_32 0
		.amdhsa_float_round_mode_16_64 0
		.amdhsa_float_denorm_mode_32 3
		.amdhsa_float_denorm_mode_16_64 3
		.amdhsa_fp16_overflow 0
		.amdhsa_memory_ordered 1
		.amdhsa_forward_progress 1
		.amdhsa_inst_pref_size 1
		.amdhsa_round_robin_scheduling 0
		.amdhsa_exception_fp_ieee_invalid_op 0
		.amdhsa_exception_fp_denorm_src 0
		.amdhsa_exception_fp_ieee_div_zero 0
		.amdhsa_exception_fp_ieee_overflow 0
		.amdhsa_exception_fp_ieee_underflow 0
		.amdhsa_exception_fp_ieee_inexact 0
		.amdhsa_exception_int_div_zero 0
	.end_amdhsa_kernel
	.section	.text._ZN7rocprim17ROCPRIM_400000_NS6detail17trampoline_kernelINS0_13select_configILj256ELj13ELNS0_17block_load_methodE3ELS4_3ELS4_3ELNS0_20block_scan_algorithmE0ELj4294967295EEENS1_25partition_config_selectorILNS1_17partition_subalgoE3EjNS0_10empty_typeEbEEZZNS1_14partition_implILS8_3ELb0ES6_jNS0_17counting_iteratorIjlEEPS9_SE_NS0_5tupleIJPjSE_EEENSF_IJSE_SE_EEES9_SG_JZNS1_25segmented_radix_sort_implINS0_14default_configELb0EPK6__halfPSL_PKlPlN2at6native12_GLOBAL__N_18offset_tEEE10hipError_tPvRmT1_PNSt15iterator_traitsISZ_E10value_typeET2_T3_PNS10_IS15_E10value_typeET4_jRbjT5_S1B_jjP12ihipStream_tbEUljE_EEESW_SX_SY_S15_S19_S1B_T6_T7_T9_mT8_S1D_bDpT10_ENKUlT_T0_E_clISt17integral_constantIbLb1EES1P_IbLb0EEEEDaS1L_S1M_EUlS1L_E_NS1_11comp_targetILNS1_3genE0ELNS1_11target_archE4294967295ELNS1_3gpuE0ELNS1_3repE0EEENS1_30default_config_static_selectorELNS0_4arch9wavefront6targetE0EEEvSZ_,"axG",@progbits,_ZN7rocprim17ROCPRIM_400000_NS6detail17trampoline_kernelINS0_13select_configILj256ELj13ELNS0_17block_load_methodE3ELS4_3ELS4_3ELNS0_20block_scan_algorithmE0ELj4294967295EEENS1_25partition_config_selectorILNS1_17partition_subalgoE3EjNS0_10empty_typeEbEEZZNS1_14partition_implILS8_3ELb0ES6_jNS0_17counting_iteratorIjlEEPS9_SE_NS0_5tupleIJPjSE_EEENSF_IJSE_SE_EEES9_SG_JZNS1_25segmented_radix_sort_implINS0_14default_configELb0EPK6__halfPSL_PKlPlN2at6native12_GLOBAL__N_18offset_tEEE10hipError_tPvRmT1_PNSt15iterator_traitsISZ_E10value_typeET2_T3_PNS10_IS15_E10value_typeET4_jRbjT5_S1B_jjP12ihipStream_tbEUljE_EEESW_SX_SY_S15_S19_S1B_T6_T7_T9_mT8_S1D_bDpT10_ENKUlT_T0_E_clISt17integral_constantIbLb1EES1P_IbLb0EEEEDaS1L_S1M_EUlS1L_E_NS1_11comp_targetILNS1_3genE0ELNS1_11target_archE4294967295ELNS1_3gpuE0ELNS1_3repE0EEENS1_30default_config_static_selectorELNS0_4arch9wavefront6targetE0EEEvSZ_,comdat
.Lfunc_end1816:
	.size	_ZN7rocprim17ROCPRIM_400000_NS6detail17trampoline_kernelINS0_13select_configILj256ELj13ELNS0_17block_load_methodE3ELS4_3ELS4_3ELNS0_20block_scan_algorithmE0ELj4294967295EEENS1_25partition_config_selectorILNS1_17partition_subalgoE3EjNS0_10empty_typeEbEEZZNS1_14partition_implILS8_3ELb0ES6_jNS0_17counting_iteratorIjlEEPS9_SE_NS0_5tupleIJPjSE_EEENSF_IJSE_SE_EEES9_SG_JZNS1_25segmented_radix_sort_implINS0_14default_configELb0EPK6__halfPSL_PKlPlN2at6native12_GLOBAL__N_18offset_tEEE10hipError_tPvRmT1_PNSt15iterator_traitsISZ_E10value_typeET2_T3_PNS10_IS15_E10value_typeET4_jRbjT5_S1B_jjP12ihipStream_tbEUljE_EEESW_SX_SY_S15_S19_S1B_T6_T7_T9_mT8_S1D_bDpT10_ENKUlT_T0_E_clISt17integral_constantIbLb1EES1P_IbLb0EEEEDaS1L_S1M_EUlS1L_E_NS1_11comp_targetILNS1_3genE0ELNS1_11target_archE4294967295ELNS1_3gpuE0ELNS1_3repE0EEENS1_30default_config_static_selectorELNS0_4arch9wavefront6targetE0EEEvSZ_, .Lfunc_end1816-_ZN7rocprim17ROCPRIM_400000_NS6detail17trampoline_kernelINS0_13select_configILj256ELj13ELNS0_17block_load_methodE3ELS4_3ELS4_3ELNS0_20block_scan_algorithmE0ELj4294967295EEENS1_25partition_config_selectorILNS1_17partition_subalgoE3EjNS0_10empty_typeEbEEZZNS1_14partition_implILS8_3ELb0ES6_jNS0_17counting_iteratorIjlEEPS9_SE_NS0_5tupleIJPjSE_EEENSF_IJSE_SE_EEES9_SG_JZNS1_25segmented_radix_sort_implINS0_14default_configELb0EPK6__halfPSL_PKlPlN2at6native12_GLOBAL__N_18offset_tEEE10hipError_tPvRmT1_PNSt15iterator_traitsISZ_E10value_typeET2_T3_PNS10_IS15_E10value_typeET4_jRbjT5_S1B_jjP12ihipStream_tbEUljE_EEESW_SX_SY_S15_S19_S1B_T6_T7_T9_mT8_S1D_bDpT10_ENKUlT_T0_E_clISt17integral_constantIbLb1EES1P_IbLb0EEEEDaS1L_S1M_EUlS1L_E_NS1_11comp_targetILNS1_3genE0ELNS1_11target_archE4294967295ELNS1_3gpuE0ELNS1_3repE0EEENS1_30default_config_static_selectorELNS0_4arch9wavefront6targetE0EEEvSZ_
                                        ; -- End function
	.set _ZN7rocprim17ROCPRIM_400000_NS6detail17trampoline_kernelINS0_13select_configILj256ELj13ELNS0_17block_load_methodE3ELS4_3ELS4_3ELNS0_20block_scan_algorithmE0ELj4294967295EEENS1_25partition_config_selectorILNS1_17partition_subalgoE3EjNS0_10empty_typeEbEEZZNS1_14partition_implILS8_3ELb0ES6_jNS0_17counting_iteratorIjlEEPS9_SE_NS0_5tupleIJPjSE_EEENSF_IJSE_SE_EEES9_SG_JZNS1_25segmented_radix_sort_implINS0_14default_configELb0EPK6__halfPSL_PKlPlN2at6native12_GLOBAL__N_18offset_tEEE10hipError_tPvRmT1_PNSt15iterator_traitsISZ_E10value_typeET2_T3_PNS10_IS15_E10value_typeET4_jRbjT5_S1B_jjP12ihipStream_tbEUljE_EEESW_SX_SY_S15_S19_S1B_T6_T7_T9_mT8_S1D_bDpT10_ENKUlT_T0_E_clISt17integral_constantIbLb1EES1P_IbLb0EEEEDaS1L_S1M_EUlS1L_E_NS1_11comp_targetILNS1_3genE0ELNS1_11target_archE4294967295ELNS1_3gpuE0ELNS1_3repE0EEENS1_30default_config_static_selectorELNS0_4arch9wavefront6targetE0EEEvSZ_.num_vgpr, 0
	.set _ZN7rocprim17ROCPRIM_400000_NS6detail17trampoline_kernelINS0_13select_configILj256ELj13ELNS0_17block_load_methodE3ELS4_3ELS4_3ELNS0_20block_scan_algorithmE0ELj4294967295EEENS1_25partition_config_selectorILNS1_17partition_subalgoE3EjNS0_10empty_typeEbEEZZNS1_14partition_implILS8_3ELb0ES6_jNS0_17counting_iteratorIjlEEPS9_SE_NS0_5tupleIJPjSE_EEENSF_IJSE_SE_EEES9_SG_JZNS1_25segmented_radix_sort_implINS0_14default_configELb0EPK6__halfPSL_PKlPlN2at6native12_GLOBAL__N_18offset_tEEE10hipError_tPvRmT1_PNSt15iterator_traitsISZ_E10value_typeET2_T3_PNS10_IS15_E10value_typeET4_jRbjT5_S1B_jjP12ihipStream_tbEUljE_EEESW_SX_SY_S15_S19_S1B_T6_T7_T9_mT8_S1D_bDpT10_ENKUlT_T0_E_clISt17integral_constantIbLb1EES1P_IbLb0EEEEDaS1L_S1M_EUlS1L_E_NS1_11comp_targetILNS1_3genE0ELNS1_11target_archE4294967295ELNS1_3gpuE0ELNS1_3repE0EEENS1_30default_config_static_selectorELNS0_4arch9wavefront6targetE0EEEvSZ_.num_agpr, 0
	.set _ZN7rocprim17ROCPRIM_400000_NS6detail17trampoline_kernelINS0_13select_configILj256ELj13ELNS0_17block_load_methodE3ELS4_3ELS4_3ELNS0_20block_scan_algorithmE0ELj4294967295EEENS1_25partition_config_selectorILNS1_17partition_subalgoE3EjNS0_10empty_typeEbEEZZNS1_14partition_implILS8_3ELb0ES6_jNS0_17counting_iteratorIjlEEPS9_SE_NS0_5tupleIJPjSE_EEENSF_IJSE_SE_EEES9_SG_JZNS1_25segmented_radix_sort_implINS0_14default_configELb0EPK6__halfPSL_PKlPlN2at6native12_GLOBAL__N_18offset_tEEE10hipError_tPvRmT1_PNSt15iterator_traitsISZ_E10value_typeET2_T3_PNS10_IS15_E10value_typeET4_jRbjT5_S1B_jjP12ihipStream_tbEUljE_EEESW_SX_SY_S15_S19_S1B_T6_T7_T9_mT8_S1D_bDpT10_ENKUlT_T0_E_clISt17integral_constantIbLb1EES1P_IbLb0EEEEDaS1L_S1M_EUlS1L_E_NS1_11comp_targetILNS1_3genE0ELNS1_11target_archE4294967295ELNS1_3gpuE0ELNS1_3repE0EEENS1_30default_config_static_selectorELNS0_4arch9wavefront6targetE0EEEvSZ_.numbered_sgpr, 0
	.set _ZN7rocprim17ROCPRIM_400000_NS6detail17trampoline_kernelINS0_13select_configILj256ELj13ELNS0_17block_load_methodE3ELS4_3ELS4_3ELNS0_20block_scan_algorithmE0ELj4294967295EEENS1_25partition_config_selectorILNS1_17partition_subalgoE3EjNS0_10empty_typeEbEEZZNS1_14partition_implILS8_3ELb0ES6_jNS0_17counting_iteratorIjlEEPS9_SE_NS0_5tupleIJPjSE_EEENSF_IJSE_SE_EEES9_SG_JZNS1_25segmented_radix_sort_implINS0_14default_configELb0EPK6__halfPSL_PKlPlN2at6native12_GLOBAL__N_18offset_tEEE10hipError_tPvRmT1_PNSt15iterator_traitsISZ_E10value_typeET2_T3_PNS10_IS15_E10value_typeET4_jRbjT5_S1B_jjP12ihipStream_tbEUljE_EEESW_SX_SY_S15_S19_S1B_T6_T7_T9_mT8_S1D_bDpT10_ENKUlT_T0_E_clISt17integral_constantIbLb1EES1P_IbLb0EEEEDaS1L_S1M_EUlS1L_E_NS1_11comp_targetILNS1_3genE0ELNS1_11target_archE4294967295ELNS1_3gpuE0ELNS1_3repE0EEENS1_30default_config_static_selectorELNS0_4arch9wavefront6targetE0EEEvSZ_.num_named_barrier, 0
	.set _ZN7rocprim17ROCPRIM_400000_NS6detail17trampoline_kernelINS0_13select_configILj256ELj13ELNS0_17block_load_methodE3ELS4_3ELS4_3ELNS0_20block_scan_algorithmE0ELj4294967295EEENS1_25partition_config_selectorILNS1_17partition_subalgoE3EjNS0_10empty_typeEbEEZZNS1_14partition_implILS8_3ELb0ES6_jNS0_17counting_iteratorIjlEEPS9_SE_NS0_5tupleIJPjSE_EEENSF_IJSE_SE_EEES9_SG_JZNS1_25segmented_radix_sort_implINS0_14default_configELb0EPK6__halfPSL_PKlPlN2at6native12_GLOBAL__N_18offset_tEEE10hipError_tPvRmT1_PNSt15iterator_traitsISZ_E10value_typeET2_T3_PNS10_IS15_E10value_typeET4_jRbjT5_S1B_jjP12ihipStream_tbEUljE_EEESW_SX_SY_S15_S19_S1B_T6_T7_T9_mT8_S1D_bDpT10_ENKUlT_T0_E_clISt17integral_constantIbLb1EES1P_IbLb0EEEEDaS1L_S1M_EUlS1L_E_NS1_11comp_targetILNS1_3genE0ELNS1_11target_archE4294967295ELNS1_3gpuE0ELNS1_3repE0EEENS1_30default_config_static_selectorELNS0_4arch9wavefront6targetE0EEEvSZ_.private_seg_size, 0
	.set _ZN7rocprim17ROCPRIM_400000_NS6detail17trampoline_kernelINS0_13select_configILj256ELj13ELNS0_17block_load_methodE3ELS4_3ELS4_3ELNS0_20block_scan_algorithmE0ELj4294967295EEENS1_25partition_config_selectorILNS1_17partition_subalgoE3EjNS0_10empty_typeEbEEZZNS1_14partition_implILS8_3ELb0ES6_jNS0_17counting_iteratorIjlEEPS9_SE_NS0_5tupleIJPjSE_EEENSF_IJSE_SE_EEES9_SG_JZNS1_25segmented_radix_sort_implINS0_14default_configELb0EPK6__halfPSL_PKlPlN2at6native12_GLOBAL__N_18offset_tEEE10hipError_tPvRmT1_PNSt15iterator_traitsISZ_E10value_typeET2_T3_PNS10_IS15_E10value_typeET4_jRbjT5_S1B_jjP12ihipStream_tbEUljE_EEESW_SX_SY_S15_S19_S1B_T6_T7_T9_mT8_S1D_bDpT10_ENKUlT_T0_E_clISt17integral_constantIbLb1EES1P_IbLb0EEEEDaS1L_S1M_EUlS1L_E_NS1_11comp_targetILNS1_3genE0ELNS1_11target_archE4294967295ELNS1_3gpuE0ELNS1_3repE0EEENS1_30default_config_static_selectorELNS0_4arch9wavefront6targetE0EEEvSZ_.uses_vcc, 0
	.set _ZN7rocprim17ROCPRIM_400000_NS6detail17trampoline_kernelINS0_13select_configILj256ELj13ELNS0_17block_load_methodE3ELS4_3ELS4_3ELNS0_20block_scan_algorithmE0ELj4294967295EEENS1_25partition_config_selectorILNS1_17partition_subalgoE3EjNS0_10empty_typeEbEEZZNS1_14partition_implILS8_3ELb0ES6_jNS0_17counting_iteratorIjlEEPS9_SE_NS0_5tupleIJPjSE_EEENSF_IJSE_SE_EEES9_SG_JZNS1_25segmented_radix_sort_implINS0_14default_configELb0EPK6__halfPSL_PKlPlN2at6native12_GLOBAL__N_18offset_tEEE10hipError_tPvRmT1_PNSt15iterator_traitsISZ_E10value_typeET2_T3_PNS10_IS15_E10value_typeET4_jRbjT5_S1B_jjP12ihipStream_tbEUljE_EEESW_SX_SY_S15_S19_S1B_T6_T7_T9_mT8_S1D_bDpT10_ENKUlT_T0_E_clISt17integral_constantIbLb1EES1P_IbLb0EEEEDaS1L_S1M_EUlS1L_E_NS1_11comp_targetILNS1_3genE0ELNS1_11target_archE4294967295ELNS1_3gpuE0ELNS1_3repE0EEENS1_30default_config_static_selectorELNS0_4arch9wavefront6targetE0EEEvSZ_.uses_flat_scratch, 0
	.set _ZN7rocprim17ROCPRIM_400000_NS6detail17trampoline_kernelINS0_13select_configILj256ELj13ELNS0_17block_load_methodE3ELS4_3ELS4_3ELNS0_20block_scan_algorithmE0ELj4294967295EEENS1_25partition_config_selectorILNS1_17partition_subalgoE3EjNS0_10empty_typeEbEEZZNS1_14partition_implILS8_3ELb0ES6_jNS0_17counting_iteratorIjlEEPS9_SE_NS0_5tupleIJPjSE_EEENSF_IJSE_SE_EEES9_SG_JZNS1_25segmented_radix_sort_implINS0_14default_configELb0EPK6__halfPSL_PKlPlN2at6native12_GLOBAL__N_18offset_tEEE10hipError_tPvRmT1_PNSt15iterator_traitsISZ_E10value_typeET2_T3_PNS10_IS15_E10value_typeET4_jRbjT5_S1B_jjP12ihipStream_tbEUljE_EEESW_SX_SY_S15_S19_S1B_T6_T7_T9_mT8_S1D_bDpT10_ENKUlT_T0_E_clISt17integral_constantIbLb1EES1P_IbLb0EEEEDaS1L_S1M_EUlS1L_E_NS1_11comp_targetILNS1_3genE0ELNS1_11target_archE4294967295ELNS1_3gpuE0ELNS1_3repE0EEENS1_30default_config_static_selectorELNS0_4arch9wavefront6targetE0EEEvSZ_.has_dyn_sized_stack, 0
	.set _ZN7rocprim17ROCPRIM_400000_NS6detail17trampoline_kernelINS0_13select_configILj256ELj13ELNS0_17block_load_methodE3ELS4_3ELS4_3ELNS0_20block_scan_algorithmE0ELj4294967295EEENS1_25partition_config_selectorILNS1_17partition_subalgoE3EjNS0_10empty_typeEbEEZZNS1_14partition_implILS8_3ELb0ES6_jNS0_17counting_iteratorIjlEEPS9_SE_NS0_5tupleIJPjSE_EEENSF_IJSE_SE_EEES9_SG_JZNS1_25segmented_radix_sort_implINS0_14default_configELb0EPK6__halfPSL_PKlPlN2at6native12_GLOBAL__N_18offset_tEEE10hipError_tPvRmT1_PNSt15iterator_traitsISZ_E10value_typeET2_T3_PNS10_IS15_E10value_typeET4_jRbjT5_S1B_jjP12ihipStream_tbEUljE_EEESW_SX_SY_S15_S19_S1B_T6_T7_T9_mT8_S1D_bDpT10_ENKUlT_T0_E_clISt17integral_constantIbLb1EES1P_IbLb0EEEEDaS1L_S1M_EUlS1L_E_NS1_11comp_targetILNS1_3genE0ELNS1_11target_archE4294967295ELNS1_3gpuE0ELNS1_3repE0EEENS1_30default_config_static_selectorELNS0_4arch9wavefront6targetE0EEEvSZ_.has_recursion, 0
	.set _ZN7rocprim17ROCPRIM_400000_NS6detail17trampoline_kernelINS0_13select_configILj256ELj13ELNS0_17block_load_methodE3ELS4_3ELS4_3ELNS0_20block_scan_algorithmE0ELj4294967295EEENS1_25partition_config_selectorILNS1_17partition_subalgoE3EjNS0_10empty_typeEbEEZZNS1_14partition_implILS8_3ELb0ES6_jNS0_17counting_iteratorIjlEEPS9_SE_NS0_5tupleIJPjSE_EEENSF_IJSE_SE_EEES9_SG_JZNS1_25segmented_radix_sort_implINS0_14default_configELb0EPK6__halfPSL_PKlPlN2at6native12_GLOBAL__N_18offset_tEEE10hipError_tPvRmT1_PNSt15iterator_traitsISZ_E10value_typeET2_T3_PNS10_IS15_E10value_typeET4_jRbjT5_S1B_jjP12ihipStream_tbEUljE_EEESW_SX_SY_S15_S19_S1B_T6_T7_T9_mT8_S1D_bDpT10_ENKUlT_T0_E_clISt17integral_constantIbLb1EES1P_IbLb0EEEEDaS1L_S1M_EUlS1L_E_NS1_11comp_targetILNS1_3genE0ELNS1_11target_archE4294967295ELNS1_3gpuE0ELNS1_3repE0EEENS1_30default_config_static_selectorELNS0_4arch9wavefront6targetE0EEEvSZ_.has_indirect_call, 0
	.section	.AMDGPU.csdata,"",@progbits
; Kernel info:
; codeLenInByte = 4
; TotalNumSgprs: 0
; NumVgprs: 0
; ScratchSize: 0
; MemoryBound: 0
; FloatMode: 240
; IeeeMode: 1
; LDSByteSize: 0 bytes/workgroup (compile time only)
; SGPRBlocks: 0
; VGPRBlocks: 0
; NumSGPRsForWavesPerEU: 1
; NumVGPRsForWavesPerEU: 1
; NamedBarCnt: 0
; Occupancy: 16
; WaveLimiterHint : 0
; COMPUTE_PGM_RSRC2:SCRATCH_EN: 0
; COMPUTE_PGM_RSRC2:USER_SGPR: 2
; COMPUTE_PGM_RSRC2:TRAP_HANDLER: 0
; COMPUTE_PGM_RSRC2:TGID_X_EN: 1
; COMPUTE_PGM_RSRC2:TGID_Y_EN: 0
; COMPUTE_PGM_RSRC2:TGID_Z_EN: 0
; COMPUTE_PGM_RSRC2:TIDIG_COMP_CNT: 0
	.section	.text._ZN7rocprim17ROCPRIM_400000_NS6detail17trampoline_kernelINS0_13select_configILj256ELj13ELNS0_17block_load_methodE3ELS4_3ELS4_3ELNS0_20block_scan_algorithmE0ELj4294967295EEENS1_25partition_config_selectorILNS1_17partition_subalgoE3EjNS0_10empty_typeEbEEZZNS1_14partition_implILS8_3ELb0ES6_jNS0_17counting_iteratorIjlEEPS9_SE_NS0_5tupleIJPjSE_EEENSF_IJSE_SE_EEES9_SG_JZNS1_25segmented_radix_sort_implINS0_14default_configELb0EPK6__halfPSL_PKlPlN2at6native12_GLOBAL__N_18offset_tEEE10hipError_tPvRmT1_PNSt15iterator_traitsISZ_E10value_typeET2_T3_PNS10_IS15_E10value_typeET4_jRbjT5_S1B_jjP12ihipStream_tbEUljE_EEESW_SX_SY_S15_S19_S1B_T6_T7_T9_mT8_S1D_bDpT10_ENKUlT_T0_E_clISt17integral_constantIbLb1EES1P_IbLb0EEEEDaS1L_S1M_EUlS1L_E_NS1_11comp_targetILNS1_3genE5ELNS1_11target_archE942ELNS1_3gpuE9ELNS1_3repE0EEENS1_30default_config_static_selectorELNS0_4arch9wavefront6targetE0EEEvSZ_,"axG",@progbits,_ZN7rocprim17ROCPRIM_400000_NS6detail17trampoline_kernelINS0_13select_configILj256ELj13ELNS0_17block_load_methodE3ELS4_3ELS4_3ELNS0_20block_scan_algorithmE0ELj4294967295EEENS1_25partition_config_selectorILNS1_17partition_subalgoE3EjNS0_10empty_typeEbEEZZNS1_14partition_implILS8_3ELb0ES6_jNS0_17counting_iteratorIjlEEPS9_SE_NS0_5tupleIJPjSE_EEENSF_IJSE_SE_EEES9_SG_JZNS1_25segmented_radix_sort_implINS0_14default_configELb0EPK6__halfPSL_PKlPlN2at6native12_GLOBAL__N_18offset_tEEE10hipError_tPvRmT1_PNSt15iterator_traitsISZ_E10value_typeET2_T3_PNS10_IS15_E10value_typeET4_jRbjT5_S1B_jjP12ihipStream_tbEUljE_EEESW_SX_SY_S15_S19_S1B_T6_T7_T9_mT8_S1D_bDpT10_ENKUlT_T0_E_clISt17integral_constantIbLb1EES1P_IbLb0EEEEDaS1L_S1M_EUlS1L_E_NS1_11comp_targetILNS1_3genE5ELNS1_11target_archE942ELNS1_3gpuE9ELNS1_3repE0EEENS1_30default_config_static_selectorELNS0_4arch9wavefront6targetE0EEEvSZ_,comdat
	.globl	_ZN7rocprim17ROCPRIM_400000_NS6detail17trampoline_kernelINS0_13select_configILj256ELj13ELNS0_17block_load_methodE3ELS4_3ELS4_3ELNS0_20block_scan_algorithmE0ELj4294967295EEENS1_25partition_config_selectorILNS1_17partition_subalgoE3EjNS0_10empty_typeEbEEZZNS1_14partition_implILS8_3ELb0ES6_jNS0_17counting_iteratorIjlEEPS9_SE_NS0_5tupleIJPjSE_EEENSF_IJSE_SE_EEES9_SG_JZNS1_25segmented_radix_sort_implINS0_14default_configELb0EPK6__halfPSL_PKlPlN2at6native12_GLOBAL__N_18offset_tEEE10hipError_tPvRmT1_PNSt15iterator_traitsISZ_E10value_typeET2_T3_PNS10_IS15_E10value_typeET4_jRbjT5_S1B_jjP12ihipStream_tbEUljE_EEESW_SX_SY_S15_S19_S1B_T6_T7_T9_mT8_S1D_bDpT10_ENKUlT_T0_E_clISt17integral_constantIbLb1EES1P_IbLb0EEEEDaS1L_S1M_EUlS1L_E_NS1_11comp_targetILNS1_3genE5ELNS1_11target_archE942ELNS1_3gpuE9ELNS1_3repE0EEENS1_30default_config_static_selectorELNS0_4arch9wavefront6targetE0EEEvSZ_ ; -- Begin function _ZN7rocprim17ROCPRIM_400000_NS6detail17trampoline_kernelINS0_13select_configILj256ELj13ELNS0_17block_load_methodE3ELS4_3ELS4_3ELNS0_20block_scan_algorithmE0ELj4294967295EEENS1_25partition_config_selectorILNS1_17partition_subalgoE3EjNS0_10empty_typeEbEEZZNS1_14partition_implILS8_3ELb0ES6_jNS0_17counting_iteratorIjlEEPS9_SE_NS0_5tupleIJPjSE_EEENSF_IJSE_SE_EEES9_SG_JZNS1_25segmented_radix_sort_implINS0_14default_configELb0EPK6__halfPSL_PKlPlN2at6native12_GLOBAL__N_18offset_tEEE10hipError_tPvRmT1_PNSt15iterator_traitsISZ_E10value_typeET2_T3_PNS10_IS15_E10value_typeET4_jRbjT5_S1B_jjP12ihipStream_tbEUljE_EEESW_SX_SY_S15_S19_S1B_T6_T7_T9_mT8_S1D_bDpT10_ENKUlT_T0_E_clISt17integral_constantIbLb1EES1P_IbLb0EEEEDaS1L_S1M_EUlS1L_E_NS1_11comp_targetILNS1_3genE5ELNS1_11target_archE942ELNS1_3gpuE9ELNS1_3repE0EEENS1_30default_config_static_selectorELNS0_4arch9wavefront6targetE0EEEvSZ_
	.p2align	8
	.type	_ZN7rocprim17ROCPRIM_400000_NS6detail17trampoline_kernelINS0_13select_configILj256ELj13ELNS0_17block_load_methodE3ELS4_3ELS4_3ELNS0_20block_scan_algorithmE0ELj4294967295EEENS1_25partition_config_selectorILNS1_17partition_subalgoE3EjNS0_10empty_typeEbEEZZNS1_14partition_implILS8_3ELb0ES6_jNS0_17counting_iteratorIjlEEPS9_SE_NS0_5tupleIJPjSE_EEENSF_IJSE_SE_EEES9_SG_JZNS1_25segmented_radix_sort_implINS0_14default_configELb0EPK6__halfPSL_PKlPlN2at6native12_GLOBAL__N_18offset_tEEE10hipError_tPvRmT1_PNSt15iterator_traitsISZ_E10value_typeET2_T3_PNS10_IS15_E10value_typeET4_jRbjT5_S1B_jjP12ihipStream_tbEUljE_EEESW_SX_SY_S15_S19_S1B_T6_T7_T9_mT8_S1D_bDpT10_ENKUlT_T0_E_clISt17integral_constantIbLb1EES1P_IbLb0EEEEDaS1L_S1M_EUlS1L_E_NS1_11comp_targetILNS1_3genE5ELNS1_11target_archE942ELNS1_3gpuE9ELNS1_3repE0EEENS1_30default_config_static_selectorELNS0_4arch9wavefront6targetE0EEEvSZ_,@function
_ZN7rocprim17ROCPRIM_400000_NS6detail17trampoline_kernelINS0_13select_configILj256ELj13ELNS0_17block_load_methodE3ELS4_3ELS4_3ELNS0_20block_scan_algorithmE0ELj4294967295EEENS1_25partition_config_selectorILNS1_17partition_subalgoE3EjNS0_10empty_typeEbEEZZNS1_14partition_implILS8_3ELb0ES6_jNS0_17counting_iteratorIjlEEPS9_SE_NS0_5tupleIJPjSE_EEENSF_IJSE_SE_EEES9_SG_JZNS1_25segmented_radix_sort_implINS0_14default_configELb0EPK6__halfPSL_PKlPlN2at6native12_GLOBAL__N_18offset_tEEE10hipError_tPvRmT1_PNSt15iterator_traitsISZ_E10value_typeET2_T3_PNS10_IS15_E10value_typeET4_jRbjT5_S1B_jjP12ihipStream_tbEUljE_EEESW_SX_SY_S15_S19_S1B_T6_T7_T9_mT8_S1D_bDpT10_ENKUlT_T0_E_clISt17integral_constantIbLb1EES1P_IbLb0EEEEDaS1L_S1M_EUlS1L_E_NS1_11comp_targetILNS1_3genE5ELNS1_11target_archE942ELNS1_3gpuE9ELNS1_3repE0EEENS1_30default_config_static_selectorELNS0_4arch9wavefront6targetE0EEEvSZ_: ; @_ZN7rocprim17ROCPRIM_400000_NS6detail17trampoline_kernelINS0_13select_configILj256ELj13ELNS0_17block_load_methodE3ELS4_3ELS4_3ELNS0_20block_scan_algorithmE0ELj4294967295EEENS1_25partition_config_selectorILNS1_17partition_subalgoE3EjNS0_10empty_typeEbEEZZNS1_14partition_implILS8_3ELb0ES6_jNS0_17counting_iteratorIjlEEPS9_SE_NS0_5tupleIJPjSE_EEENSF_IJSE_SE_EEES9_SG_JZNS1_25segmented_radix_sort_implINS0_14default_configELb0EPK6__halfPSL_PKlPlN2at6native12_GLOBAL__N_18offset_tEEE10hipError_tPvRmT1_PNSt15iterator_traitsISZ_E10value_typeET2_T3_PNS10_IS15_E10value_typeET4_jRbjT5_S1B_jjP12ihipStream_tbEUljE_EEESW_SX_SY_S15_S19_S1B_T6_T7_T9_mT8_S1D_bDpT10_ENKUlT_T0_E_clISt17integral_constantIbLb1EES1P_IbLb0EEEEDaS1L_S1M_EUlS1L_E_NS1_11comp_targetILNS1_3genE5ELNS1_11target_archE942ELNS1_3gpuE9ELNS1_3repE0EEENS1_30default_config_static_selectorELNS0_4arch9wavefront6targetE0EEEvSZ_
; %bb.0:
	.section	.rodata,"a",@progbits
	.p2align	6, 0x0
	.amdhsa_kernel _ZN7rocprim17ROCPRIM_400000_NS6detail17trampoline_kernelINS0_13select_configILj256ELj13ELNS0_17block_load_methodE3ELS4_3ELS4_3ELNS0_20block_scan_algorithmE0ELj4294967295EEENS1_25partition_config_selectorILNS1_17partition_subalgoE3EjNS0_10empty_typeEbEEZZNS1_14partition_implILS8_3ELb0ES6_jNS0_17counting_iteratorIjlEEPS9_SE_NS0_5tupleIJPjSE_EEENSF_IJSE_SE_EEES9_SG_JZNS1_25segmented_radix_sort_implINS0_14default_configELb0EPK6__halfPSL_PKlPlN2at6native12_GLOBAL__N_18offset_tEEE10hipError_tPvRmT1_PNSt15iterator_traitsISZ_E10value_typeET2_T3_PNS10_IS15_E10value_typeET4_jRbjT5_S1B_jjP12ihipStream_tbEUljE_EEESW_SX_SY_S15_S19_S1B_T6_T7_T9_mT8_S1D_bDpT10_ENKUlT_T0_E_clISt17integral_constantIbLb1EES1P_IbLb0EEEEDaS1L_S1M_EUlS1L_E_NS1_11comp_targetILNS1_3genE5ELNS1_11target_archE942ELNS1_3gpuE9ELNS1_3repE0EEENS1_30default_config_static_selectorELNS0_4arch9wavefront6targetE0EEEvSZ_
		.amdhsa_group_segment_fixed_size 0
		.amdhsa_private_segment_fixed_size 0
		.amdhsa_kernarg_size 144
		.amdhsa_user_sgpr_count 2
		.amdhsa_user_sgpr_dispatch_ptr 0
		.amdhsa_user_sgpr_queue_ptr 0
		.amdhsa_user_sgpr_kernarg_segment_ptr 1
		.amdhsa_user_sgpr_dispatch_id 0
		.amdhsa_user_sgpr_kernarg_preload_length 0
		.amdhsa_user_sgpr_kernarg_preload_offset 0
		.amdhsa_user_sgpr_private_segment_size 0
		.amdhsa_wavefront_size32 1
		.amdhsa_uses_dynamic_stack 0
		.amdhsa_enable_private_segment 0
		.amdhsa_system_sgpr_workgroup_id_x 1
		.amdhsa_system_sgpr_workgroup_id_y 0
		.amdhsa_system_sgpr_workgroup_id_z 0
		.amdhsa_system_sgpr_workgroup_info 0
		.amdhsa_system_vgpr_workitem_id 0
		.amdhsa_next_free_vgpr 1
		.amdhsa_next_free_sgpr 1
		.amdhsa_named_barrier_count 0
		.amdhsa_reserve_vcc 0
		.amdhsa_float_round_mode_32 0
		.amdhsa_float_round_mode_16_64 0
		.amdhsa_float_denorm_mode_32 3
		.amdhsa_float_denorm_mode_16_64 3
		.amdhsa_fp16_overflow 0
		.amdhsa_memory_ordered 1
		.amdhsa_forward_progress 1
		.amdhsa_inst_pref_size 0
		.amdhsa_round_robin_scheduling 0
		.amdhsa_exception_fp_ieee_invalid_op 0
		.amdhsa_exception_fp_denorm_src 0
		.amdhsa_exception_fp_ieee_div_zero 0
		.amdhsa_exception_fp_ieee_overflow 0
		.amdhsa_exception_fp_ieee_underflow 0
		.amdhsa_exception_fp_ieee_inexact 0
		.amdhsa_exception_int_div_zero 0
	.end_amdhsa_kernel
	.section	.text._ZN7rocprim17ROCPRIM_400000_NS6detail17trampoline_kernelINS0_13select_configILj256ELj13ELNS0_17block_load_methodE3ELS4_3ELS4_3ELNS0_20block_scan_algorithmE0ELj4294967295EEENS1_25partition_config_selectorILNS1_17partition_subalgoE3EjNS0_10empty_typeEbEEZZNS1_14partition_implILS8_3ELb0ES6_jNS0_17counting_iteratorIjlEEPS9_SE_NS0_5tupleIJPjSE_EEENSF_IJSE_SE_EEES9_SG_JZNS1_25segmented_radix_sort_implINS0_14default_configELb0EPK6__halfPSL_PKlPlN2at6native12_GLOBAL__N_18offset_tEEE10hipError_tPvRmT1_PNSt15iterator_traitsISZ_E10value_typeET2_T3_PNS10_IS15_E10value_typeET4_jRbjT5_S1B_jjP12ihipStream_tbEUljE_EEESW_SX_SY_S15_S19_S1B_T6_T7_T9_mT8_S1D_bDpT10_ENKUlT_T0_E_clISt17integral_constantIbLb1EES1P_IbLb0EEEEDaS1L_S1M_EUlS1L_E_NS1_11comp_targetILNS1_3genE5ELNS1_11target_archE942ELNS1_3gpuE9ELNS1_3repE0EEENS1_30default_config_static_selectorELNS0_4arch9wavefront6targetE0EEEvSZ_,"axG",@progbits,_ZN7rocprim17ROCPRIM_400000_NS6detail17trampoline_kernelINS0_13select_configILj256ELj13ELNS0_17block_load_methodE3ELS4_3ELS4_3ELNS0_20block_scan_algorithmE0ELj4294967295EEENS1_25partition_config_selectorILNS1_17partition_subalgoE3EjNS0_10empty_typeEbEEZZNS1_14partition_implILS8_3ELb0ES6_jNS0_17counting_iteratorIjlEEPS9_SE_NS0_5tupleIJPjSE_EEENSF_IJSE_SE_EEES9_SG_JZNS1_25segmented_radix_sort_implINS0_14default_configELb0EPK6__halfPSL_PKlPlN2at6native12_GLOBAL__N_18offset_tEEE10hipError_tPvRmT1_PNSt15iterator_traitsISZ_E10value_typeET2_T3_PNS10_IS15_E10value_typeET4_jRbjT5_S1B_jjP12ihipStream_tbEUljE_EEESW_SX_SY_S15_S19_S1B_T6_T7_T9_mT8_S1D_bDpT10_ENKUlT_T0_E_clISt17integral_constantIbLb1EES1P_IbLb0EEEEDaS1L_S1M_EUlS1L_E_NS1_11comp_targetILNS1_3genE5ELNS1_11target_archE942ELNS1_3gpuE9ELNS1_3repE0EEENS1_30default_config_static_selectorELNS0_4arch9wavefront6targetE0EEEvSZ_,comdat
.Lfunc_end1817:
	.size	_ZN7rocprim17ROCPRIM_400000_NS6detail17trampoline_kernelINS0_13select_configILj256ELj13ELNS0_17block_load_methodE3ELS4_3ELS4_3ELNS0_20block_scan_algorithmE0ELj4294967295EEENS1_25partition_config_selectorILNS1_17partition_subalgoE3EjNS0_10empty_typeEbEEZZNS1_14partition_implILS8_3ELb0ES6_jNS0_17counting_iteratorIjlEEPS9_SE_NS0_5tupleIJPjSE_EEENSF_IJSE_SE_EEES9_SG_JZNS1_25segmented_radix_sort_implINS0_14default_configELb0EPK6__halfPSL_PKlPlN2at6native12_GLOBAL__N_18offset_tEEE10hipError_tPvRmT1_PNSt15iterator_traitsISZ_E10value_typeET2_T3_PNS10_IS15_E10value_typeET4_jRbjT5_S1B_jjP12ihipStream_tbEUljE_EEESW_SX_SY_S15_S19_S1B_T6_T7_T9_mT8_S1D_bDpT10_ENKUlT_T0_E_clISt17integral_constantIbLb1EES1P_IbLb0EEEEDaS1L_S1M_EUlS1L_E_NS1_11comp_targetILNS1_3genE5ELNS1_11target_archE942ELNS1_3gpuE9ELNS1_3repE0EEENS1_30default_config_static_selectorELNS0_4arch9wavefront6targetE0EEEvSZ_, .Lfunc_end1817-_ZN7rocprim17ROCPRIM_400000_NS6detail17trampoline_kernelINS0_13select_configILj256ELj13ELNS0_17block_load_methodE3ELS4_3ELS4_3ELNS0_20block_scan_algorithmE0ELj4294967295EEENS1_25partition_config_selectorILNS1_17partition_subalgoE3EjNS0_10empty_typeEbEEZZNS1_14partition_implILS8_3ELb0ES6_jNS0_17counting_iteratorIjlEEPS9_SE_NS0_5tupleIJPjSE_EEENSF_IJSE_SE_EEES9_SG_JZNS1_25segmented_radix_sort_implINS0_14default_configELb0EPK6__halfPSL_PKlPlN2at6native12_GLOBAL__N_18offset_tEEE10hipError_tPvRmT1_PNSt15iterator_traitsISZ_E10value_typeET2_T3_PNS10_IS15_E10value_typeET4_jRbjT5_S1B_jjP12ihipStream_tbEUljE_EEESW_SX_SY_S15_S19_S1B_T6_T7_T9_mT8_S1D_bDpT10_ENKUlT_T0_E_clISt17integral_constantIbLb1EES1P_IbLb0EEEEDaS1L_S1M_EUlS1L_E_NS1_11comp_targetILNS1_3genE5ELNS1_11target_archE942ELNS1_3gpuE9ELNS1_3repE0EEENS1_30default_config_static_selectorELNS0_4arch9wavefront6targetE0EEEvSZ_
                                        ; -- End function
	.set _ZN7rocprim17ROCPRIM_400000_NS6detail17trampoline_kernelINS0_13select_configILj256ELj13ELNS0_17block_load_methodE3ELS4_3ELS4_3ELNS0_20block_scan_algorithmE0ELj4294967295EEENS1_25partition_config_selectorILNS1_17partition_subalgoE3EjNS0_10empty_typeEbEEZZNS1_14partition_implILS8_3ELb0ES6_jNS0_17counting_iteratorIjlEEPS9_SE_NS0_5tupleIJPjSE_EEENSF_IJSE_SE_EEES9_SG_JZNS1_25segmented_radix_sort_implINS0_14default_configELb0EPK6__halfPSL_PKlPlN2at6native12_GLOBAL__N_18offset_tEEE10hipError_tPvRmT1_PNSt15iterator_traitsISZ_E10value_typeET2_T3_PNS10_IS15_E10value_typeET4_jRbjT5_S1B_jjP12ihipStream_tbEUljE_EEESW_SX_SY_S15_S19_S1B_T6_T7_T9_mT8_S1D_bDpT10_ENKUlT_T0_E_clISt17integral_constantIbLb1EES1P_IbLb0EEEEDaS1L_S1M_EUlS1L_E_NS1_11comp_targetILNS1_3genE5ELNS1_11target_archE942ELNS1_3gpuE9ELNS1_3repE0EEENS1_30default_config_static_selectorELNS0_4arch9wavefront6targetE0EEEvSZ_.num_vgpr, 0
	.set _ZN7rocprim17ROCPRIM_400000_NS6detail17trampoline_kernelINS0_13select_configILj256ELj13ELNS0_17block_load_methodE3ELS4_3ELS4_3ELNS0_20block_scan_algorithmE0ELj4294967295EEENS1_25partition_config_selectorILNS1_17partition_subalgoE3EjNS0_10empty_typeEbEEZZNS1_14partition_implILS8_3ELb0ES6_jNS0_17counting_iteratorIjlEEPS9_SE_NS0_5tupleIJPjSE_EEENSF_IJSE_SE_EEES9_SG_JZNS1_25segmented_radix_sort_implINS0_14default_configELb0EPK6__halfPSL_PKlPlN2at6native12_GLOBAL__N_18offset_tEEE10hipError_tPvRmT1_PNSt15iterator_traitsISZ_E10value_typeET2_T3_PNS10_IS15_E10value_typeET4_jRbjT5_S1B_jjP12ihipStream_tbEUljE_EEESW_SX_SY_S15_S19_S1B_T6_T7_T9_mT8_S1D_bDpT10_ENKUlT_T0_E_clISt17integral_constantIbLb1EES1P_IbLb0EEEEDaS1L_S1M_EUlS1L_E_NS1_11comp_targetILNS1_3genE5ELNS1_11target_archE942ELNS1_3gpuE9ELNS1_3repE0EEENS1_30default_config_static_selectorELNS0_4arch9wavefront6targetE0EEEvSZ_.num_agpr, 0
	.set _ZN7rocprim17ROCPRIM_400000_NS6detail17trampoline_kernelINS0_13select_configILj256ELj13ELNS0_17block_load_methodE3ELS4_3ELS4_3ELNS0_20block_scan_algorithmE0ELj4294967295EEENS1_25partition_config_selectorILNS1_17partition_subalgoE3EjNS0_10empty_typeEbEEZZNS1_14partition_implILS8_3ELb0ES6_jNS0_17counting_iteratorIjlEEPS9_SE_NS0_5tupleIJPjSE_EEENSF_IJSE_SE_EEES9_SG_JZNS1_25segmented_radix_sort_implINS0_14default_configELb0EPK6__halfPSL_PKlPlN2at6native12_GLOBAL__N_18offset_tEEE10hipError_tPvRmT1_PNSt15iterator_traitsISZ_E10value_typeET2_T3_PNS10_IS15_E10value_typeET4_jRbjT5_S1B_jjP12ihipStream_tbEUljE_EEESW_SX_SY_S15_S19_S1B_T6_T7_T9_mT8_S1D_bDpT10_ENKUlT_T0_E_clISt17integral_constantIbLb1EES1P_IbLb0EEEEDaS1L_S1M_EUlS1L_E_NS1_11comp_targetILNS1_3genE5ELNS1_11target_archE942ELNS1_3gpuE9ELNS1_3repE0EEENS1_30default_config_static_selectorELNS0_4arch9wavefront6targetE0EEEvSZ_.numbered_sgpr, 0
	.set _ZN7rocprim17ROCPRIM_400000_NS6detail17trampoline_kernelINS0_13select_configILj256ELj13ELNS0_17block_load_methodE3ELS4_3ELS4_3ELNS0_20block_scan_algorithmE0ELj4294967295EEENS1_25partition_config_selectorILNS1_17partition_subalgoE3EjNS0_10empty_typeEbEEZZNS1_14partition_implILS8_3ELb0ES6_jNS0_17counting_iteratorIjlEEPS9_SE_NS0_5tupleIJPjSE_EEENSF_IJSE_SE_EEES9_SG_JZNS1_25segmented_radix_sort_implINS0_14default_configELb0EPK6__halfPSL_PKlPlN2at6native12_GLOBAL__N_18offset_tEEE10hipError_tPvRmT1_PNSt15iterator_traitsISZ_E10value_typeET2_T3_PNS10_IS15_E10value_typeET4_jRbjT5_S1B_jjP12ihipStream_tbEUljE_EEESW_SX_SY_S15_S19_S1B_T6_T7_T9_mT8_S1D_bDpT10_ENKUlT_T0_E_clISt17integral_constantIbLb1EES1P_IbLb0EEEEDaS1L_S1M_EUlS1L_E_NS1_11comp_targetILNS1_3genE5ELNS1_11target_archE942ELNS1_3gpuE9ELNS1_3repE0EEENS1_30default_config_static_selectorELNS0_4arch9wavefront6targetE0EEEvSZ_.num_named_barrier, 0
	.set _ZN7rocprim17ROCPRIM_400000_NS6detail17trampoline_kernelINS0_13select_configILj256ELj13ELNS0_17block_load_methodE3ELS4_3ELS4_3ELNS0_20block_scan_algorithmE0ELj4294967295EEENS1_25partition_config_selectorILNS1_17partition_subalgoE3EjNS0_10empty_typeEbEEZZNS1_14partition_implILS8_3ELb0ES6_jNS0_17counting_iteratorIjlEEPS9_SE_NS0_5tupleIJPjSE_EEENSF_IJSE_SE_EEES9_SG_JZNS1_25segmented_radix_sort_implINS0_14default_configELb0EPK6__halfPSL_PKlPlN2at6native12_GLOBAL__N_18offset_tEEE10hipError_tPvRmT1_PNSt15iterator_traitsISZ_E10value_typeET2_T3_PNS10_IS15_E10value_typeET4_jRbjT5_S1B_jjP12ihipStream_tbEUljE_EEESW_SX_SY_S15_S19_S1B_T6_T7_T9_mT8_S1D_bDpT10_ENKUlT_T0_E_clISt17integral_constantIbLb1EES1P_IbLb0EEEEDaS1L_S1M_EUlS1L_E_NS1_11comp_targetILNS1_3genE5ELNS1_11target_archE942ELNS1_3gpuE9ELNS1_3repE0EEENS1_30default_config_static_selectorELNS0_4arch9wavefront6targetE0EEEvSZ_.private_seg_size, 0
	.set _ZN7rocprim17ROCPRIM_400000_NS6detail17trampoline_kernelINS0_13select_configILj256ELj13ELNS0_17block_load_methodE3ELS4_3ELS4_3ELNS0_20block_scan_algorithmE0ELj4294967295EEENS1_25partition_config_selectorILNS1_17partition_subalgoE3EjNS0_10empty_typeEbEEZZNS1_14partition_implILS8_3ELb0ES6_jNS0_17counting_iteratorIjlEEPS9_SE_NS0_5tupleIJPjSE_EEENSF_IJSE_SE_EEES9_SG_JZNS1_25segmented_radix_sort_implINS0_14default_configELb0EPK6__halfPSL_PKlPlN2at6native12_GLOBAL__N_18offset_tEEE10hipError_tPvRmT1_PNSt15iterator_traitsISZ_E10value_typeET2_T3_PNS10_IS15_E10value_typeET4_jRbjT5_S1B_jjP12ihipStream_tbEUljE_EEESW_SX_SY_S15_S19_S1B_T6_T7_T9_mT8_S1D_bDpT10_ENKUlT_T0_E_clISt17integral_constantIbLb1EES1P_IbLb0EEEEDaS1L_S1M_EUlS1L_E_NS1_11comp_targetILNS1_3genE5ELNS1_11target_archE942ELNS1_3gpuE9ELNS1_3repE0EEENS1_30default_config_static_selectorELNS0_4arch9wavefront6targetE0EEEvSZ_.uses_vcc, 0
	.set _ZN7rocprim17ROCPRIM_400000_NS6detail17trampoline_kernelINS0_13select_configILj256ELj13ELNS0_17block_load_methodE3ELS4_3ELS4_3ELNS0_20block_scan_algorithmE0ELj4294967295EEENS1_25partition_config_selectorILNS1_17partition_subalgoE3EjNS0_10empty_typeEbEEZZNS1_14partition_implILS8_3ELb0ES6_jNS0_17counting_iteratorIjlEEPS9_SE_NS0_5tupleIJPjSE_EEENSF_IJSE_SE_EEES9_SG_JZNS1_25segmented_radix_sort_implINS0_14default_configELb0EPK6__halfPSL_PKlPlN2at6native12_GLOBAL__N_18offset_tEEE10hipError_tPvRmT1_PNSt15iterator_traitsISZ_E10value_typeET2_T3_PNS10_IS15_E10value_typeET4_jRbjT5_S1B_jjP12ihipStream_tbEUljE_EEESW_SX_SY_S15_S19_S1B_T6_T7_T9_mT8_S1D_bDpT10_ENKUlT_T0_E_clISt17integral_constantIbLb1EES1P_IbLb0EEEEDaS1L_S1M_EUlS1L_E_NS1_11comp_targetILNS1_3genE5ELNS1_11target_archE942ELNS1_3gpuE9ELNS1_3repE0EEENS1_30default_config_static_selectorELNS0_4arch9wavefront6targetE0EEEvSZ_.uses_flat_scratch, 0
	.set _ZN7rocprim17ROCPRIM_400000_NS6detail17trampoline_kernelINS0_13select_configILj256ELj13ELNS0_17block_load_methodE3ELS4_3ELS4_3ELNS0_20block_scan_algorithmE0ELj4294967295EEENS1_25partition_config_selectorILNS1_17partition_subalgoE3EjNS0_10empty_typeEbEEZZNS1_14partition_implILS8_3ELb0ES6_jNS0_17counting_iteratorIjlEEPS9_SE_NS0_5tupleIJPjSE_EEENSF_IJSE_SE_EEES9_SG_JZNS1_25segmented_radix_sort_implINS0_14default_configELb0EPK6__halfPSL_PKlPlN2at6native12_GLOBAL__N_18offset_tEEE10hipError_tPvRmT1_PNSt15iterator_traitsISZ_E10value_typeET2_T3_PNS10_IS15_E10value_typeET4_jRbjT5_S1B_jjP12ihipStream_tbEUljE_EEESW_SX_SY_S15_S19_S1B_T6_T7_T9_mT8_S1D_bDpT10_ENKUlT_T0_E_clISt17integral_constantIbLb1EES1P_IbLb0EEEEDaS1L_S1M_EUlS1L_E_NS1_11comp_targetILNS1_3genE5ELNS1_11target_archE942ELNS1_3gpuE9ELNS1_3repE0EEENS1_30default_config_static_selectorELNS0_4arch9wavefront6targetE0EEEvSZ_.has_dyn_sized_stack, 0
	.set _ZN7rocprim17ROCPRIM_400000_NS6detail17trampoline_kernelINS0_13select_configILj256ELj13ELNS0_17block_load_methodE3ELS4_3ELS4_3ELNS0_20block_scan_algorithmE0ELj4294967295EEENS1_25partition_config_selectorILNS1_17partition_subalgoE3EjNS0_10empty_typeEbEEZZNS1_14partition_implILS8_3ELb0ES6_jNS0_17counting_iteratorIjlEEPS9_SE_NS0_5tupleIJPjSE_EEENSF_IJSE_SE_EEES9_SG_JZNS1_25segmented_radix_sort_implINS0_14default_configELb0EPK6__halfPSL_PKlPlN2at6native12_GLOBAL__N_18offset_tEEE10hipError_tPvRmT1_PNSt15iterator_traitsISZ_E10value_typeET2_T3_PNS10_IS15_E10value_typeET4_jRbjT5_S1B_jjP12ihipStream_tbEUljE_EEESW_SX_SY_S15_S19_S1B_T6_T7_T9_mT8_S1D_bDpT10_ENKUlT_T0_E_clISt17integral_constantIbLb1EES1P_IbLb0EEEEDaS1L_S1M_EUlS1L_E_NS1_11comp_targetILNS1_3genE5ELNS1_11target_archE942ELNS1_3gpuE9ELNS1_3repE0EEENS1_30default_config_static_selectorELNS0_4arch9wavefront6targetE0EEEvSZ_.has_recursion, 0
	.set _ZN7rocprim17ROCPRIM_400000_NS6detail17trampoline_kernelINS0_13select_configILj256ELj13ELNS0_17block_load_methodE3ELS4_3ELS4_3ELNS0_20block_scan_algorithmE0ELj4294967295EEENS1_25partition_config_selectorILNS1_17partition_subalgoE3EjNS0_10empty_typeEbEEZZNS1_14partition_implILS8_3ELb0ES6_jNS0_17counting_iteratorIjlEEPS9_SE_NS0_5tupleIJPjSE_EEENSF_IJSE_SE_EEES9_SG_JZNS1_25segmented_radix_sort_implINS0_14default_configELb0EPK6__halfPSL_PKlPlN2at6native12_GLOBAL__N_18offset_tEEE10hipError_tPvRmT1_PNSt15iterator_traitsISZ_E10value_typeET2_T3_PNS10_IS15_E10value_typeET4_jRbjT5_S1B_jjP12ihipStream_tbEUljE_EEESW_SX_SY_S15_S19_S1B_T6_T7_T9_mT8_S1D_bDpT10_ENKUlT_T0_E_clISt17integral_constantIbLb1EES1P_IbLb0EEEEDaS1L_S1M_EUlS1L_E_NS1_11comp_targetILNS1_3genE5ELNS1_11target_archE942ELNS1_3gpuE9ELNS1_3repE0EEENS1_30default_config_static_selectorELNS0_4arch9wavefront6targetE0EEEvSZ_.has_indirect_call, 0
	.section	.AMDGPU.csdata,"",@progbits
; Kernel info:
; codeLenInByte = 0
; TotalNumSgprs: 0
; NumVgprs: 0
; ScratchSize: 0
; MemoryBound: 0
; FloatMode: 240
; IeeeMode: 1
; LDSByteSize: 0 bytes/workgroup (compile time only)
; SGPRBlocks: 0
; VGPRBlocks: 0
; NumSGPRsForWavesPerEU: 1
; NumVGPRsForWavesPerEU: 1
; NamedBarCnt: 0
; Occupancy: 16
; WaveLimiterHint : 0
; COMPUTE_PGM_RSRC2:SCRATCH_EN: 0
; COMPUTE_PGM_RSRC2:USER_SGPR: 2
; COMPUTE_PGM_RSRC2:TRAP_HANDLER: 0
; COMPUTE_PGM_RSRC2:TGID_X_EN: 1
; COMPUTE_PGM_RSRC2:TGID_Y_EN: 0
; COMPUTE_PGM_RSRC2:TGID_Z_EN: 0
; COMPUTE_PGM_RSRC2:TIDIG_COMP_CNT: 0
	.section	.text._ZN7rocprim17ROCPRIM_400000_NS6detail17trampoline_kernelINS0_13select_configILj256ELj13ELNS0_17block_load_methodE3ELS4_3ELS4_3ELNS0_20block_scan_algorithmE0ELj4294967295EEENS1_25partition_config_selectorILNS1_17partition_subalgoE3EjNS0_10empty_typeEbEEZZNS1_14partition_implILS8_3ELb0ES6_jNS0_17counting_iteratorIjlEEPS9_SE_NS0_5tupleIJPjSE_EEENSF_IJSE_SE_EEES9_SG_JZNS1_25segmented_radix_sort_implINS0_14default_configELb0EPK6__halfPSL_PKlPlN2at6native12_GLOBAL__N_18offset_tEEE10hipError_tPvRmT1_PNSt15iterator_traitsISZ_E10value_typeET2_T3_PNS10_IS15_E10value_typeET4_jRbjT5_S1B_jjP12ihipStream_tbEUljE_EEESW_SX_SY_S15_S19_S1B_T6_T7_T9_mT8_S1D_bDpT10_ENKUlT_T0_E_clISt17integral_constantIbLb1EES1P_IbLb0EEEEDaS1L_S1M_EUlS1L_E_NS1_11comp_targetILNS1_3genE4ELNS1_11target_archE910ELNS1_3gpuE8ELNS1_3repE0EEENS1_30default_config_static_selectorELNS0_4arch9wavefront6targetE0EEEvSZ_,"axG",@progbits,_ZN7rocprim17ROCPRIM_400000_NS6detail17trampoline_kernelINS0_13select_configILj256ELj13ELNS0_17block_load_methodE3ELS4_3ELS4_3ELNS0_20block_scan_algorithmE0ELj4294967295EEENS1_25partition_config_selectorILNS1_17partition_subalgoE3EjNS0_10empty_typeEbEEZZNS1_14partition_implILS8_3ELb0ES6_jNS0_17counting_iteratorIjlEEPS9_SE_NS0_5tupleIJPjSE_EEENSF_IJSE_SE_EEES9_SG_JZNS1_25segmented_radix_sort_implINS0_14default_configELb0EPK6__halfPSL_PKlPlN2at6native12_GLOBAL__N_18offset_tEEE10hipError_tPvRmT1_PNSt15iterator_traitsISZ_E10value_typeET2_T3_PNS10_IS15_E10value_typeET4_jRbjT5_S1B_jjP12ihipStream_tbEUljE_EEESW_SX_SY_S15_S19_S1B_T6_T7_T9_mT8_S1D_bDpT10_ENKUlT_T0_E_clISt17integral_constantIbLb1EES1P_IbLb0EEEEDaS1L_S1M_EUlS1L_E_NS1_11comp_targetILNS1_3genE4ELNS1_11target_archE910ELNS1_3gpuE8ELNS1_3repE0EEENS1_30default_config_static_selectorELNS0_4arch9wavefront6targetE0EEEvSZ_,comdat
	.globl	_ZN7rocprim17ROCPRIM_400000_NS6detail17trampoline_kernelINS0_13select_configILj256ELj13ELNS0_17block_load_methodE3ELS4_3ELS4_3ELNS0_20block_scan_algorithmE0ELj4294967295EEENS1_25partition_config_selectorILNS1_17partition_subalgoE3EjNS0_10empty_typeEbEEZZNS1_14partition_implILS8_3ELb0ES6_jNS0_17counting_iteratorIjlEEPS9_SE_NS0_5tupleIJPjSE_EEENSF_IJSE_SE_EEES9_SG_JZNS1_25segmented_radix_sort_implINS0_14default_configELb0EPK6__halfPSL_PKlPlN2at6native12_GLOBAL__N_18offset_tEEE10hipError_tPvRmT1_PNSt15iterator_traitsISZ_E10value_typeET2_T3_PNS10_IS15_E10value_typeET4_jRbjT5_S1B_jjP12ihipStream_tbEUljE_EEESW_SX_SY_S15_S19_S1B_T6_T7_T9_mT8_S1D_bDpT10_ENKUlT_T0_E_clISt17integral_constantIbLb1EES1P_IbLb0EEEEDaS1L_S1M_EUlS1L_E_NS1_11comp_targetILNS1_3genE4ELNS1_11target_archE910ELNS1_3gpuE8ELNS1_3repE0EEENS1_30default_config_static_selectorELNS0_4arch9wavefront6targetE0EEEvSZ_ ; -- Begin function _ZN7rocprim17ROCPRIM_400000_NS6detail17trampoline_kernelINS0_13select_configILj256ELj13ELNS0_17block_load_methodE3ELS4_3ELS4_3ELNS0_20block_scan_algorithmE0ELj4294967295EEENS1_25partition_config_selectorILNS1_17partition_subalgoE3EjNS0_10empty_typeEbEEZZNS1_14partition_implILS8_3ELb0ES6_jNS0_17counting_iteratorIjlEEPS9_SE_NS0_5tupleIJPjSE_EEENSF_IJSE_SE_EEES9_SG_JZNS1_25segmented_radix_sort_implINS0_14default_configELb0EPK6__halfPSL_PKlPlN2at6native12_GLOBAL__N_18offset_tEEE10hipError_tPvRmT1_PNSt15iterator_traitsISZ_E10value_typeET2_T3_PNS10_IS15_E10value_typeET4_jRbjT5_S1B_jjP12ihipStream_tbEUljE_EEESW_SX_SY_S15_S19_S1B_T6_T7_T9_mT8_S1D_bDpT10_ENKUlT_T0_E_clISt17integral_constantIbLb1EES1P_IbLb0EEEEDaS1L_S1M_EUlS1L_E_NS1_11comp_targetILNS1_3genE4ELNS1_11target_archE910ELNS1_3gpuE8ELNS1_3repE0EEENS1_30default_config_static_selectorELNS0_4arch9wavefront6targetE0EEEvSZ_
	.p2align	8
	.type	_ZN7rocprim17ROCPRIM_400000_NS6detail17trampoline_kernelINS0_13select_configILj256ELj13ELNS0_17block_load_methodE3ELS4_3ELS4_3ELNS0_20block_scan_algorithmE0ELj4294967295EEENS1_25partition_config_selectorILNS1_17partition_subalgoE3EjNS0_10empty_typeEbEEZZNS1_14partition_implILS8_3ELb0ES6_jNS0_17counting_iteratorIjlEEPS9_SE_NS0_5tupleIJPjSE_EEENSF_IJSE_SE_EEES9_SG_JZNS1_25segmented_radix_sort_implINS0_14default_configELb0EPK6__halfPSL_PKlPlN2at6native12_GLOBAL__N_18offset_tEEE10hipError_tPvRmT1_PNSt15iterator_traitsISZ_E10value_typeET2_T3_PNS10_IS15_E10value_typeET4_jRbjT5_S1B_jjP12ihipStream_tbEUljE_EEESW_SX_SY_S15_S19_S1B_T6_T7_T9_mT8_S1D_bDpT10_ENKUlT_T0_E_clISt17integral_constantIbLb1EES1P_IbLb0EEEEDaS1L_S1M_EUlS1L_E_NS1_11comp_targetILNS1_3genE4ELNS1_11target_archE910ELNS1_3gpuE8ELNS1_3repE0EEENS1_30default_config_static_selectorELNS0_4arch9wavefront6targetE0EEEvSZ_,@function
_ZN7rocprim17ROCPRIM_400000_NS6detail17trampoline_kernelINS0_13select_configILj256ELj13ELNS0_17block_load_methodE3ELS4_3ELS4_3ELNS0_20block_scan_algorithmE0ELj4294967295EEENS1_25partition_config_selectorILNS1_17partition_subalgoE3EjNS0_10empty_typeEbEEZZNS1_14partition_implILS8_3ELb0ES6_jNS0_17counting_iteratorIjlEEPS9_SE_NS0_5tupleIJPjSE_EEENSF_IJSE_SE_EEES9_SG_JZNS1_25segmented_radix_sort_implINS0_14default_configELb0EPK6__halfPSL_PKlPlN2at6native12_GLOBAL__N_18offset_tEEE10hipError_tPvRmT1_PNSt15iterator_traitsISZ_E10value_typeET2_T3_PNS10_IS15_E10value_typeET4_jRbjT5_S1B_jjP12ihipStream_tbEUljE_EEESW_SX_SY_S15_S19_S1B_T6_T7_T9_mT8_S1D_bDpT10_ENKUlT_T0_E_clISt17integral_constantIbLb1EES1P_IbLb0EEEEDaS1L_S1M_EUlS1L_E_NS1_11comp_targetILNS1_3genE4ELNS1_11target_archE910ELNS1_3gpuE8ELNS1_3repE0EEENS1_30default_config_static_selectorELNS0_4arch9wavefront6targetE0EEEvSZ_: ; @_ZN7rocprim17ROCPRIM_400000_NS6detail17trampoline_kernelINS0_13select_configILj256ELj13ELNS0_17block_load_methodE3ELS4_3ELS4_3ELNS0_20block_scan_algorithmE0ELj4294967295EEENS1_25partition_config_selectorILNS1_17partition_subalgoE3EjNS0_10empty_typeEbEEZZNS1_14partition_implILS8_3ELb0ES6_jNS0_17counting_iteratorIjlEEPS9_SE_NS0_5tupleIJPjSE_EEENSF_IJSE_SE_EEES9_SG_JZNS1_25segmented_radix_sort_implINS0_14default_configELb0EPK6__halfPSL_PKlPlN2at6native12_GLOBAL__N_18offset_tEEE10hipError_tPvRmT1_PNSt15iterator_traitsISZ_E10value_typeET2_T3_PNS10_IS15_E10value_typeET4_jRbjT5_S1B_jjP12ihipStream_tbEUljE_EEESW_SX_SY_S15_S19_S1B_T6_T7_T9_mT8_S1D_bDpT10_ENKUlT_T0_E_clISt17integral_constantIbLb1EES1P_IbLb0EEEEDaS1L_S1M_EUlS1L_E_NS1_11comp_targetILNS1_3genE4ELNS1_11target_archE910ELNS1_3gpuE8ELNS1_3repE0EEENS1_30default_config_static_selectorELNS0_4arch9wavefront6targetE0EEEvSZ_
; %bb.0:
	.section	.rodata,"a",@progbits
	.p2align	6, 0x0
	.amdhsa_kernel _ZN7rocprim17ROCPRIM_400000_NS6detail17trampoline_kernelINS0_13select_configILj256ELj13ELNS0_17block_load_methodE3ELS4_3ELS4_3ELNS0_20block_scan_algorithmE0ELj4294967295EEENS1_25partition_config_selectorILNS1_17partition_subalgoE3EjNS0_10empty_typeEbEEZZNS1_14partition_implILS8_3ELb0ES6_jNS0_17counting_iteratorIjlEEPS9_SE_NS0_5tupleIJPjSE_EEENSF_IJSE_SE_EEES9_SG_JZNS1_25segmented_radix_sort_implINS0_14default_configELb0EPK6__halfPSL_PKlPlN2at6native12_GLOBAL__N_18offset_tEEE10hipError_tPvRmT1_PNSt15iterator_traitsISZ_E10value_typeET2_T3_PNS10_IS15_E10value_typeET4_jRbjT5_S1B_jjP12ihipStream_tbEUljE_EEESW_SX_SY_S15_S19_S1B_T6_T7_T9_mT8_S1D_bDpT10_ENKUlT_T0_E_clISt17integral_constantIbLb1EES1P_IbLb0EEEEDaS1L_S1M_EUlS1L_E_NS1_11comp_targetILNS1_3genE4ELNS1_11target_archE910ELNS1_3gpuE8ELNS1_3repE0EEENS1_30default_config_static_selectorELNS0_4arch9wavefront6targetE0EEEvSZ_
		.amdhsa_group_segment_fixed_size 0
		.amdhsa_private_segment_fixed_size 0
		.amdhsa_kernarg_size 144
		.amdhsa_user_sgpr_count 2
		.amdhsa_user_sgpr_dispatch_ptr 0
		.amdhsa_user_sgpr_queue_ptr 0
		.amdhsa_user_sgpr_kernarg_segment_ptr 1
		.amdhsa_user_sgpr_dispatch_id 0
		.amdhsa_user_sgpr_kernarg_preload_length 0
		.amdhsa_user_sgpr_kernarg_preload_offset 0
		.amdhsa_user_sgpr_private_segment_size 0
		.amdhsa_wavefront_size32 1
		.amdhsa_uses_dynamic_stack 0
		.amdhsa_enable_private_segment 0
		.amdhsa_system_sgpr_workgroup_id_x 1
		.amdhsa_system_sgpr_workgroup_id_y 0
		.amdhsa_system_sgpr_workgroup_id_z 0
		.amdhsa_system_sgpr_workgroup_info 0
		.amdhsa_system_vgpr_workitem_id 0
		.amdhsa_next_free_vgpr 1
		.amdhsa_next_free_sgpr 1
		.amdhsa_named_barrier_count 0
		.amdhsa_reserve_vcc 0
		.amdhsa_float_round_mode_32 0
		.amdhsa_float_round_mode_16_64 0
		.amdhsa_float_denorm_mode_32 3
		.amdhsa_float_denorm_mode_16_64 3
		.amdhsa_fp16_overflow 0
		.amdhsa_memory_ordered 1
		.amdhsa_forward_progress 1
		.amdhsa_inst_pref_size 0
		.amdhsa_round_robin_scheduling 0
		.amdhsa_exception_fp_ieee_invalid_op 0
		.amdhsa_exception_fp_denorm_src 0
		.amdhsa_exception_fp_ieee_div_zero 0
		.amdhsa_exception_fp_ieee_overflow 0
		.amdhsa_exception_fp_ieee_underflow 0
		.amdhsa_exception_fp_ieee_inexact 0
		.amdhsa_exception_int_div_zero 0
	.end_amdhsa_kernel
	.section	.text._ZN7rocprim17ROCPRIM_400000_NS6detail17trampoline_kernelINS0_13select_configILj256ELj13ELNS0_17block_load_methodE3ELS4_3ELS4_3ELNS0_20block_scan_algorithmE0ELj4294967295EEENS1_25partition_config_selectorILNS1_17partition_subalgoE3EjNS0_10empty_typeEbEEZZNS1_14partition_implILS8_3ELb0ES6_jNS0_17counting_iteratorIjlEEPS9_SE_NS0_5tupleIJPjSE_EEENSF_IJSE_SE_EEES9_SG_JZNS1_25segmented_radix_sort_implINS0_14default_configELb0EPK6__halfPSL_PKlPlN2at6native12_GLOBAL__N_18offset_tEEE10hipError_tPvRmT1_PNSt15iterator_traitsISZ_E10value_typeET2_T3_PNS10_IS15_E10value_typeET4_jRbjT5_S1B_jjP12ihipStream_tbEUljE_EEESW_SX_SY_S15_S19_S1B_T6_T7_T9_mT8_S1D_bDpT10_ENKUlT_T0_E_clISt17integral_constantIbLb1EES1P_IbLb0EEEEDaS1L_S1M_EUlS1L_E_NS1_11comp_targetILNS1_3genE4ELNS1_11target_archE910ELNS1_3gpuE8ELNS1_3repE0EEENS1_30default_config_static_selectorELNS0_4arch9wavefront6targetE0EEEvSZ_,"axG",@progbits,_ZN7rocprim17ROCPRIM_400000_NS6detail17trampoline_kernelINS0_13select_configILj256ELj13ELNS0_17block_load_methodE3ELS4_3ELS4_3ELNS0_20block_scan_algorithmE0ELj4294967295EEENS1_25partition_config_selectorILNS1_17partition_subalgoE3EjNS0_10empty_typeEbEEZZNS1_14partition_implILS8_3ELb0ES6_jNS0_17counting_iteratorIjlEEPS9_SE_NS0_5tupleIJPjSE_EEENSF_IJSE_SE_EEES9_SG_JZNS1_25segmented_radix_sort_implINS0_14default_configELb0EPK6__halfPSL_PKlPlN2at6native12_GLOBAL__N_18offset_tEEE10hipError_tPvRmT1_PNSt15iterator_traitsISZ_E10value_typeET2_T3_PNS10_IS15_E10value_typeET4_jRbjT5_S1B_jjP12ihipStream_tbEUljE_EEESW_SX_SY_S15_S19_S1B_T6_T7_T9_mT8_S1D_bDpT10_ENKUlT_T0_E_clISt17integral_constantIbLb1EES1P_IbLb0EEEEDaS1L_S1M_EUlS1L_E_NS1_11comp_targetILNS1_3genE4ELNS1_11target_archE910ELNS1_3gpuE8ELNS1_3repE0EEENS1_30default_config_static_selectorELNS0_4arch9wavefront6targetE0EEEvSZ_,comdat
.Lfunc_end1818:
	.size	_ZN7rocprim17ROCPRIM_400000_NS6detail17trampoline_kernelINS0_13select_configILj256ELj13ELNS0_17block_load_methodE3ELS4_3ELS4_3ELNS0_20block_scan_algorithmE0ELj4294967295EEENS1_25partition_config_selectorILNS1_17partition_subalgoE3EjNS0_10empty_typeEbEEZZNS1_14partition_implILS8_3ELb0ES6_jNS0_17counting_iteratorIjlEEPS9_SE_NS0_5tupleIJPjSE_EEENSF_IJSE_SE_EEES9_SG_JZNS1_25segmented_radix_sort_implINS0_14default_configELb0EPK6__halfPSL_PKlPlN2at6native12_GLOBAL__N_18offset_tEEE10hipError_tPvRmT1_PNSt15iterator_traitsISZ_E10value_typeET2_T3_PNS10_IS15_E10value_typeET4_jRbjT5_S1B_jjP12ihipStream_tbEUljE_EEESW_SX_SY_S15_S19_S1B_T6_T7_T9_mT8_S1D_bDpT10_ENKUlT_T0_E_clISt17integral_constantIbLb1EES1P_IbLb0EEEEDaS1L_S1M_EUlS1L_E_NS1_11comp_targetILNS1_3genE4ELNS1_11target_archE910ELNS1_3gpuE8ELNS1_3repE0EEENS1_30default_config_static_selectorELNS0_4arch9wavefront6targetE0EEEvSZ_, .Lfunc_end1818-_ZN7rocprim17ROCPRIM_400000_NS6detail17trampoline_kernelINS0_13select_configILj256ELj13ELNS0_17block_load_methodE3ELS4_3ELS4_3ELNS0_20block_scan_algorithmE0ELj4294967295EEENS1_25partition_config_selectorILNS1_17partition_subalgoE3EjNS0_10empty_typeEbEEZZNS1_14partition_implILS8_3ELb0ES6_jNS0_17counting_iteratorIjlEEPS9_SE_NS0_5tupleIJPjSE_EEENSF_IJSE_SE_EEES9_SG_JZNS1_25segmented_radix_sort_implINS0_14default_configELb0EPK6__halfPSL_PKlPlN2at6native12_GLOBAL__N_18offset_tEEE10hipError_tPvRmT1_PNSt15iterator_traitsISZ_E10value_typeET2_T3_PNS10_IS15_E10value_typeET4_jRbjT5_S1B_jjP12ihipStream_tbEUljE_EEESW_SX_SY_S15_S19_S1B_T6_T7_T9_mT8_S1D_bDpT10_ENKUlT_T0_E_clISt17integral_constantIbLb1EES1P_IbLb0EEEEDaS1L_S1M_EUlS1L_E_NS1_11comp_targetILNS1_3genE4ELNS1_11target_archE910ELNS1_3gpuE8ELNS1_3repE0EEENS1_30default_config_static_selectorELNS0_4arch9wavefront6targetE0EEEvSZ_
                                        ; -- End function
	.set _ZN7rocprim17ROCPRIM_400000_NS6detail17trampoline_kernelINS0_13select_configILj256ELj13ELNS0_17block_load_methodE3ELS4_3ELS4_3ELNS0_20block_scan_algorithmE0ELj4294967295EEENS1_25partition_config_selectorILNS1_17partition_subalgoE3EjNS0_10empty_typeEbEEZZNS1_14partition_implILS8_3ELb0ES6_jNS0_17counting_iteratorIjlEEPS9_SE_NS0_5tupleIJPjSE_EEENSF_IJSE_SE_EEES9_SG_JZNS1_25segmented_radix_sort_implINS0_14default_configELb0EPK6__halfPSL_PKlPlN2at6native12_GLOBAL__N_18offset_tEEE10hipError_tPvRmT1_PNSt15iterator_traitsISZ_E10value_typeET2_T3_PNS10_IS15_E10value_typeET4_jRbjT5_S1B_jjP12ihipStream_tbEUljE_EEESW_SX_SY_S15_S19_S1B_T6_T7_T9_mT8_S1D_bDpT10_ENKUlT_T0_E_clISt17integral_constantIbLb1EES1P_IbLb0EEEEDaS1L_S1M_EUlS1L_E_NS1_11comp_targetILNS1_3genE4ELNS1_11target_archE910ELNS1_3gpuE8ELNS1_3repE0EEENS1_30default_config_static_selectorELNS0_4arch9wavefront6targetE0EEEvSZ_.num_vgpr, 0
	.set _ZN7rocprim17ROCPRIM_400000_NS6detail17trampoline_kernelINS0_13select_configILj256ELj13ELNS0_17block_load_methodE3ELS4_3ELS4_3ELNS0_20block_scan_algorithmE0ELj4294967295EEENS1_25partition_config_selectorILNS1_17partition_subalgoE3EjNS0_10empty_typeEbEEZZNS1_14partition_implILS8_3ELb0ES6_jNS0_17counting_iteratorIjlEEPS9_SE_NS0_5tupleIJPjSE_EEENSF_IJSE_SE_EEES9_SG_JZNS1_25segmented_radix_sort_implINS0_14default_configELb0EPK6__halfPSL_PKlPlN2at6native12_GLOBAL__N_18offset_tEEE10hipError_tPvRmT1_PNSt15iterator_traitsISZ_E10value_typeET2_T3_PNS10_IS15_E10value_typeET4_jRbjT5_S1B_jjP12ihipStream_tbEUljE_EEESW_SX_SY_S15_S19_S1B_T6_T7_T9_mT8_S1D_bDpT10_ENKUlT_T0_E_clISt17integral_constantIbLb1EES1P_IbLb0EEEEDaS1L_S1M_EUlS1L_E_NS1_11comp_targetILNS1_3genE4ELNS1_11target_archE910ELNS1_3gpuE8ELNS1_3repE0EEENS1_30default_config_static_selectorELNS0_4arch9wavefront6targetE0EEEvSZ_.num_agpr, 0
	.set _ZN7rocprim17ROCPRIM_400000_NS6detail17trampoline_kernelINS0_13select_configILj256ELj13ELNS0_17block_load_methodE3ELS4_3ELS4_3ELNS0_20block_scan_algorithmE0ELj4294967295EEENS1_25partition_config_selectorILNS1_17partition_subalgoE3EjNS0_10empty_typeEbEEZZNS1_14partition_implILS8_3ELb0ES6_jNS0_17counting_iteratorIjlEEPS9_SE_NS0_5tupleIJPjSE_EEENSF_IJSE_SE_EEES9_SG_JZNS1_25segmented_radix_sort_implINS0_14default_configELb0EPK6__halfPSL_PKlPlN2at6native12_GLOBAL__N_18offset_tEEE10hipError_tPvRmT1_PNSt15iterator_traitsISZ_E10value_typeET2_T3_PNS10_IS15_E10value_typeET4_jRbjT5_S1B_jjP12ihipStream_tbEUljE_EEESW_SX_SY_S15_S19_S1B_T6_T7_T9_mT8_S1D_bDpT10_ENKUlT_T0_E_clISt17integral_constantIbLb1EES1P_IbLb0EEEEDaS1L_S1M_EUlS1L_E_NS1_11comp_targetILNS1_3genE4ELNS1_11target_archE910ELNS1_3gpuE8ELNS1_3repE0EEENS1_30default_config_static_selectorELNS0_4arch9wavefront6targetE0EEEvSZ_.numbered_sgpr, 0
	.set _ZN7rocprim17ROCPRIM_400000_NS6detail17trampoline_kernelINS0_13select_configILj256ELj13ELNS0_17block_load_methodE3ELS4_3ELS4_3ELNS0_20block_scan_algorithmE0ELj4294967295EEENS1_25partition_config_selectorILNS1_17partition_subalgoE3EjNS0_10empty_typeEbEEZZNS1_14partition_implILS8_3ELb0ES6_jNS0_17counting_iteratorIjlEEPS9_SE_NS0_5tupleIJPjSE_EEENSF_IJSE_SE_EEES9_SG_JZNS1_25segmented_radix_sort_implINS0_14default_configELb0EPK6__halfPSL_PKlPlN2at6native12_GLOBAL__N_18offset_tEEE10hipError_tPvRmT1_PNSt15iterator_traitsISZ_E10value_typeET2_T3_PNS10_IS15_E10value_typeET4_jRbjT5_S1B_jjP12ihipStream_tbEUljE_EEESW_SX_SY_S15_S19_S1B_T6_T7_T9_mT8_S1D_bDpT10_ENKUlT_T0_E_clISt17integral_constantIbLb1EES1P_IbLb0EEEEDaS1L_S1M_EUlS1L_E_NS1_11comp_targetILNS1_3genE4ELNS1_11target_archE910ELNS1_3gpuE8ELNS1_3repE0EEENS1_30default_config_static_selectorELNS0_4arch9wavefront6targetE0EEEvSZ_.num_named_barrier, 0
	.set _ZN7rocprim17ROCPRIM_400000_NS6detail17trampoline_kernelINS0_13select_configILj256ELj13ELNS0_17block_load_methodE3ELS4_3ELS4_3ELNS0_20block_scan_algorithmE0ELj4294967295EEENS1_25partition_config_selectorILNS1_17partition_subalgoE3EjNS0_10empty_typeEbEEZZNS1_14partition_implILS8_3ELb0ES6_jNS0_17counting_iteratorIjlEEPS9_SE_NS0_5tupleIJPjSE_EEENSF_IJSE_SE_EEES9_SG_JZNS1_25segmented_radix_sort_implINS0_14default_configELb0EPK6__halfPSL_PKlPlN2at6native12_GLOBAL__N_18offset_tEEE10hipError_tPvRmT1_PNSt15iterator_traitsISZ_E10value_typeET2_T3_PNS10_IS15_E10value_typeET4_jRbjT5_S1B_jjP12ihipStream_tbEUljE_EEESW_SX_SY_S15_S19_S1B_T6_T7_T9_mT8_S1D_bDpT10_ENKUlT_T0_E_clISt17integral_constantIbLb1EES1P_IbLb0EEEEDaS1L_S1M_EUlS1L_E_NS1_11comp_targetILNS1_3genE4ELNS1_11target_archE910ELNS1_3gpuE8ELNS1_3repE0EEENS1_30default_config_static_selectorELNS0_4arch9wavefront6targetE0EEEvSZ_.private_seg_size, 0
	.set _ZN7rocprim17ROCPRIM_400000_NS6detail17trampoline_kernelINS0_13select_configILj256ELj13ELNS0_17block_load_methodE3ELS4_3ELS4_3ELNS0_20block_scan_algorithmE0ELj4294967295EEENS1_25partition_config_selectorILNS1_17partition_subalgoE3EjNS0_10empty_typeEbEEZZNS1_14partition_implILS8_3ELb0ES6_jNS0_17counting_iteratorIjlEEPS9_SE_NS0_5tupleIJPjSE_EEENSF_IJSE_SE_EEES9_SG_JZNS1_25segmented_radix_sort_implINS0_14default_configELb0EPK6__halfPSL_PKlPlN2at6native12_GLOBAL__N_18offset_tEEE10hipError_tPvRmT1_PNSt15iterator_traitsISZ_E10value_typeET2_T3_PNS10_IS15_E10value_typeET4_jRbjT5_S1B_jjP12ihipStream_tbEUljE_EEESW_SX_SY_S15_S19_S1B_T6_T7_T9_mT8_S1D_bDpT10_ENKUlT_T0_E_clISt17integral_constantIbLb1EES1P_IbLb0EEEEDaS1L_S1M_EUlS1L_E_NS1_11comp_targetILNS1_3genE4ELNS1_11target_archE910ELNS1_3gpuE8ELNS1_3repE0EEENS1_30default_config_static_selectorELNS0_4arch9wavefront6targetE0EEEvSZ_.uses_vcc, 0
	.set _ZN7rocprim17ROCPRIM_400000_NS6detail17trampoline_kernelINS0_13select_configILj256ELj13ELNS0_17block_load_methodE3ELS4_3ELS4_3ELNS0_20block_scan_algorithmE0ELj4294967295EEENS1_25partition_config_selectorILNS1_17partition_subalgoE3EjNS0_10empty_typeEbEEZZNS1_14partition_implILS8_3ELb0ES6_jNS0_17counting_iteratorIjlEEPS9_SE_NS0_5tupleIJPjSE_EEENSF_IJSE_SE_EEES9_SG_JZNS1_25segmented_radix_sort_implINS0_14default_configELb0EPK6__halfPSL_PKlPlN2at6native12_GLOBAL__N_18offset_tEEE10hipError_tPvRmT1_PNSt15iterator_traitsISZ_E10value_typeET2_T3_PNS10_IS15_E10value_typeET4_jRbjT5_S1B_jjP12ihipStream_tbEUljE_EEESW_SX_SY_S15_S19_S1B_T6_T7_T9_mT8_S1D_bDpT10_ENKUlT_T0_E_clISt17integral_constantIbLb1EES1P_IbLb0EEEEDaS1L_S1M_EUlS1L_E_NS1_11comp_targetILNS1_3genE4ELNS1_11target_archE910ELNS1_3gpuE8ELNS1_3repE0EEENS1_30default_config_static_selectorELNS0_4arch9wavefront6targetE0EEEvSZ_.uses_flat_scratch, 0
	.set _ZN7rocprim17ROCPRIM_400000_NS6detail17trampoline_kernelINS0_13select_configILj256ELj13ELNS0_17block_load_methodE3ELS4_3ELS4_3ELNS0_20block_scan_algorithmE0ELj4294967295EEENS1_25partition_config_selectorILNS1_17partition_subalgoE3EjNS0_10empty_typeEbEEZZNS1_14partition_implILS8_3ELb0ES6_jNS0_17counting_iteratorIjlEEPS9_SE_NS0_5tupleIJPjSE_EEENSF_IJSE_SE_EEES9_SG_JZNS1_25segmented_radix_sort_implINS0_14default_configELb0EPK6__halfPSL_PKlPlN2at6native12_GLOBAL__N_18offset_tEEE10hipError_tPvRmT1_PNSt15iterator_traitsISZ_E10value_typeET2_T3_PNS10_IS15_E10value_typeET4_jRbjT5_S1B_jjP12ihipStream_tbEUljE_EEESW_SX_SY_S15_S19_S1B_T6_T7_T9_mT8_S1D_bDpT10_ENKUlT_T0_E_clISt17integral_constantIbLb1EES1P_IbLb0EEEEDaS1L_S1M_EUlS1L_E_NS1_11comp_targetILNS1_3genE4ELNS1_11target_archE910ELNS1_3gpuE8ELNS1_3repE0EEENS1_30default_config_static_selectorELNS0_4arch9wavefront6targetE0EEEvSZ_.has_dyn_sized_stack, 0
	.set _ZN7rocprim17ROCPRIM_400000_NS6detail17trampoline_kernelINS0_13select_configILj256ELj13ELNS0_17block_load_methodE3ELS4_3ELS4_3ELNS0_20block_scan_algorithmE0ELj4294967295EEENS1_25partition_config_selectorILNS1_17partition_subalgoE3EjNS0_10empty_typeEbEEZZNS1_14partition_implILS8_3ELb0ES6_jNS0_17counting_iteratorIjlEEPS9_SE_NS0_5tupleIJPjSE_EEENSF_IJSE_SE_EEES9_SG_JZNS1_25segmented_radix_sort_implINS0_14default_configELb0EPK6__halfPSL_PKlPlN2at6native12_GLOBAL__N_18offset_tEEE10hipError_tPvRmT1_PNSt15iterator_traitsISZ_E10value_typeET2_T3_PNS10_IS15_E10value_typeET4_jRbjT5_S1B_jjP12ihipStream_tbEUljE_EEESW_SX_SY_S15_S19_S1B_T6_T7_T9_mT8_S1D_bDpT10_ENKUlT_T0_E_clISt17integral_constantIbLb1EES1P_IbLb0EEEEDaS1L_S1M_EUlS1L_E_NS1_11comp_targetILNS1_3genE4ELNS1_11target_archE910ELNS1_3gpuE8ELNS1_3repE0EEENS1_30default_config_static_selectorELNS0_4arch9wavefront6targetE0EEEvSZ_.has_recursion, 0
	.set _ZN7rocprim17ROCPRIM_400000_NS6detail17trampoline_kernelINS0_13select_configILj256ELj13ELNS0_17block_load_methodE3ELS4_3ELS4_3ELNS0_20block_scan_algorithmE0ELj4294967295EEENS1_25partition_config_selectorILNS1_17partition_subalgoE3EjNS0_10empty_typeEbEEZZNS1_14partition_implILS8_3ELb0ES6_jNS0_17counting_iteratorIjlEEPS9_SE_NS0_5tupleIJPjSE_EEENSF_IJSE_SE_EEES9_SG_JZNS1_25segmented_radix_sort_implINS0_14default_configELb0EPK6__halfPSL_PKlPlN2at6native12_GLOBAL__N_18offset_tEEE10hipError_tPvRmT1_PNSt15iterator_traitsISZ_E10value_typeET2_T3_PNS10_IS15_E10value_typeET4_jRbjT5_S1B_jjP12ihipStream_tbEUljE_EEESW_SX_SY_S15_S19_S1B_T6_T7_T9_mT8_S1D_bDpT10_ENKUlT_T0_E_clISt17integral_constantIbLb1EES1P_IbLb0EEEEDaS1L_S1M_EUlS1L_E_NS1_11comp_targetILNS1_3genE4ELNS1_11target_archE910ELNS1_3gpuE8ELNS1_3repE0EEENS1_30default_config_static_selectorELNS0_4arch9wavefront6targetE0EEEvSZ_.has_indirect_call, 0
	.section	.AMDGPU.csdata,"",@progbits
; Kernel info:
; codeLenInByte = 0
; TotalNumSgprs: 0
; NumVgprs: 0
; ScratchSize: 0
; MemoryBound: 0
; FloatMode: 240
; IeeeMode: 1
; LDSByteSize: 0 bytes/workgroup (compile time only)
; SGPRBlocks: 0
; VGPRBlocks: 0
; NumSGPRsForWavesPerEU: 1
; NumVGPRsForWavesPerEU: 1
; NamedBarCnt: 0
; Occupancy: 16
; WaveLimiterHint : 0
; COMPUTE_PGM_RSRC2:SCRATCH_EN: 0
; COMPUTE_PGM_RSRC2:USER_SGPR: 2
; COMPUTE_PGM_RSRC2:TRAP_HANDLER: 0
; COMPUTE_PGM_RSRC2:TGID_X_EN: 1
; COMPUTE_PGM_RSRC2:TGID_Y_EN: 0
; COMPUTE_PGM_RSRC2:TGID_Z_EN: 0
; COMPUTE_PGM_RSRC2:TIDIG_COMP_CNT: 0
	.section	.text._ZN7rocprim17ROCPRIM_400000_NS6detail17trampoline_kernelINS0_13select_configILj256ELj13ELNS0_17block_load_methodE3ELS4_3ELS4_3ELNS0_20block_scan_algorithmE0ELj4294967295EEENS1_25partition_config_selectorILNS1_17partition_subalgoE3EjNS0_10empty_typeEbEEZZNS1_14partition_implILS8_3ELb0ES6_jNS0_17counting_iteratorIjlEEPS9_SE_NS0_5tupleIJPjSE_EEENSF_IJSE_SE_EEES9_SG_JZNS1_25segmented_radix_sort_implINS0_14default_configELb0EPK6__halfPSL_PKlPlN2at6native12_GLOBAL__N_18offset_tEEE10hipError_tPvRmT1_PNSt15iterator_traitsISZ_E10value_typeET2_T3_PNS10_IS15_E10value_typeET4_jRbjT5_S1B_jjP12ihipStream_tbEUljE_EEESW_SX_SY_S15_S19_S1B_T6_T7_T9_mT8_S1D_bDpT10_ENKUlT_T0_E_clISt17integral_constantIbLb1EES1P_IbLb0EEEEDaS1L_S1M_EUlS1L_E_NS1_11comp_targetILNS1_3genE3ELNS1_11target_archE908ELNS1_3gpuE7ELNS1_3repE0EEENS1_30default_config_static_selectorELNS0_4arch9wavefront6targetE0EEEvSZ_,"axG",@progbits,_ZN7rocprim17ROCPRIM_400000_NS6detail17trampoline_kernelINS0_13select_configILj256ELj13ELNS0_17block_load_methodE3ELS4_3ELS4_3ELNS0_20block_scan_algorithmE0ELj4294967295EEENS1_25partition_config_selectorILNS1_17partition_subalgoE3EjNS0_10empty_typeEbEEZZNS1_14partition_implILS8_3ELb0ES6_jNS0_17counting_iteratorIjlEEPS9_SE_NS0_5tupleIJPjSE_EEENSF_IJSE_SE_EEES9_SG_JZNS1_25segmented_radix_sort_implINS0_14default_configELb0EPK6__halfPSL_PKlPlN2at6native12_GLOBAL__N_18offset_tEEE10hipError_tPvRmT1_PNSt15iterator_traitsISZ_E10value_typeET2_T3_PNS10_IS15_E10value_typeET4_jRbjT5_S1B_jjP12ihipStream_tbEUljE_EEESW_SX_SY_S15_S19_S1B_T6_T7_T9_mT8_S1D_bDpT10_ENKUlT_T0_E_clISt17integral_constantIbLb1EES1P_IbLb0EEEEDaS1L_S1M_EUlS1L_E_NS1_11comp_targetILNS1_3genE3ELNS1_11target_archE908ELNS1_3gpuE7ELNS1_3repE0EEENS1_30default_config_static_selectorELNS0_4arch9wavefront6targetE0EEEvSZ_,comdat
	.globl	_ZN7rocprim17ROCPRIM_400000_NS6detail17trampoline_kernelINS0_13select_configILj256ELj13ELNS0_17block_load_methodE3ELS4_3ELS4_3ELNS0_20block_scan_algorithmE0ELj4294967295EEENS1_25partition_config_selectorILNS1_17partition_subalgoE3EjNS0_10empty_typeEbEEZZNS1_14partition_implILS8_3ELb0ES6_jNS0_17counting_iteratorIjlEEPS9_SE_NS0_5tupleIJPjSE_EEENSF_IJSE_SE_EEES9_SG_JZNS1_25segmented_radix_sort_implINS0_14default_configELb0EPK6__halfPSL_PKlPlN2at6native12_GLOBAL__N_18offset_tEEE10hipError_tPvRmT1_PNSt15iterator_traitsISZ_E10value_typeET2_T3_PNS10_IS15_E10value_typeET4_jRbjT5_S1B_jjP12ihipStream_tbEUljE_EEESW_SX_SY_S15_S19_S1B_T6_T7_T9_mT8_S1D_bDpT10_ENKUlT_T0_E_clISt17integral_constantIbLb1EES1P_IbLb0EEEEDaS1L_S1M_EUlS1L_E_NS1_11comp_targetILNS1_3genE3ELNS1_11target_archE908ELNS1_3gpuE7ELNS1_3repE0EEENS1_30default_config_static_selectorELNS0_4arch9wavefront6targetE0EEEvSZ_ ; -- Begin function _ZN7rocprim17ROCPRIM_400000_NS6detail17trampoline_kernelINS0_13select_configILj256ELj13ELNS0_17block_load_methodE3ELS4_3ELS4_3ELNS0_20block_scan_algorithmE0ELj4294967295EEENS1_25partition_config_selectorILNS1_17partition_subalgoE3EjNS0_10empty_typeEbEEZZNS1_14partition_implILS8_3ELb0ES6_jNS0_17counting_iteratorIjlEEPS9_SE_NS0_5tupleIJPjSE_EEENSF_IJSE_SE_EEES9_SG_JZNS1_25segmented_radix_sort_implINS0_14default_configELb0EPK6__halfPSL_PKlPlN2at6native12_GLOBAL__N_18offset_tEEE10hipError_tPvRmT1_PNSt15iterator_traitsISZ_E10value_typeET2_T3_PNS10_IS15_E10value_typeET4_jRbjT5_S1B_jjP12ihipStream_tbEUljE_EEESW_SX_SY_S15_S19_S1B_T6_T7_T9_mT8_S1D_bDpT10_ENKUlT_T0_E_clISt17integral_constantIbLb1EES1P_IbLb0EEEEDaS1L_S1M_EUlS1L_E_NS1_11comp_targetILNS1_3genE3ELNS1_11target_archE908ELNS1_3gpuE7ELNS1_3repE0EEENS1_30default_config_static_selectorELNS0_4arch9wavefront6targetE0EEEvSZ_
	.p2align	8
	.type	_ZN7rocprim17ROCPRIM_400000_NS6detail17trampoline_kernelINS0_13select_configILj256ELj13ELNS0_17block_load_methodE3ELS4_3ELS4_3ELNS0_20block_scan_algorithmE0ELj4294967295EEENS1_25partition_config_selectorILNS1_17partition_subalgoE3EjNS0_10empty_typeEbEEZZNS1_14partition_implILS8_3ELb0ES6_jNS0_17counting_iteratorIjlEEPS9_SE_NS0_5tupleIJPjSE_EEENSF_IJSE_SE_EEES9_SG_JZNS1_25segmented_radix_sort_implINS0_14default_configELb0EPK6__halfPSL_PKlPlN2at6native12_GLOBAL__N_18offset_tEEE10hipError_tPvRmT1_PNSt15iterator_traitsISZ_E10value_typeET2_T3_PNS10_IS15_E10value_typeET4_jRbjT5_S1B_jjP12ihipStream_tbEUljE_EEESW_SX_SY_S15_S19_S1B_T6_T7_T9_mT8_S1D_bDpT10_ENKUlT_T0_E_clISt17integral_constantIbLb1EES1P_IbLb0EEEEDaS1L_S1M_EUlS1L_E_NS1_11comp_targetILNS1_3genE3ELNS1_11target_archE908ELNS1_3gpuE7ELNS1_3repE0EEENS1_30default_config_static_selectorELNS0_4arch9wavefront6targetE0EEEvSZ_,@function
_ZN7rocprim17ROCPRIM_400000_NS6detail17trampoline_kernelINS0_13select_configILj256ELj13ELNS0_17block_load_methodE3ELS4_3ELS4_3ELNS0_20block_scan_algorithmE0ELj4294967295EEENS1_25partition_config_selectorILNS1_17partition_subalgoE3EjNS0_10empty_typeEbEEZZNS1_14partition_implILS8_3ELb0ES6_jNS0_17counting_iteratorIjlEEPS9_SE_NS0_5tupleIJPjSE_EEENSF_IJSE_SE_EEES9_SG_JZNS1_25segmented_radix_sort_implINS0_14default_configELb0EPK6__halfPSL_PKlPlN2at6native12_GLOBAL__N_18offset_tEEE10hipError_tPvRmT1_PNSt15iterator_traitsISZ_E10value_typeET2_T3_PNS10_IS15_E10value_typeET4_jRbjT5_S1B_jjP12ihipStream_tbEUljE_EEESW_SX_SY_S15_S19_S1B_T6_T7_T9_mT8_S1D_bDpT10_ENKUlT_T0_E_clISt17integral_constantIbLb1EES1P_IbLb0EEEEDaS1L_S1M_EUlS1L_E_NS1_11comp_targetILNS1_3genE3ELNS1_11target_archE908ELNS1_3gpuE7ELNS1_3repE0EEENS1_30default_config_static_selectorELNS0_4arch9wavefront6targetE0EEEvSZ_: ; @_ZN7rocprim17ROCPRIM_400000_NS6detail17trampoline_kernelINS0_13select_configILj256ELj13ELNS0_17block_load_methodE3ELS4_3ELS4_3ELNS0_20block_scan_algorithmE0ELj4294967295EEENS1_25partition_config_selectorILNS1_17partition_subalgoE3EjNS0_10empty_typeEbEEZZNS1_14partition_implILS8_3ELb0ES6_jNS0_17counting_iteratorIjlEEPS9_SE_NS0_5tupleIJPjSE_EEENSF_IJSE_SE_EEES9_SG_JZNS1_25segmented_radix_sort_implINS0_14default_configELb0EPK6__halfPSL_PKlPlN2at6native12_GLOBAL__N_18offset_tEEE10hipError_tPvRmT1_PNSt15iterator_traitsISZ_E10value_typeET2_T3_PNS10_IS15_E10value_typeET4_jRbjT5_S1B_jjP12ihipStream_tbEUljE_EEESW_SX_SY_S15_S19_S1B_T6_T7_T9_mT8_S1D_bDpT10_ENKUlT_T0_E_clISt17integral_constantIbLb1EES1P_IbLb0EEEEDaS1L_S1M_EUlS1L_E_NS1_11comp_targetILNS1_3genE3ELNS1_11target_archE908ELNS1_3gpuE7ELNS1_3repE0EEENS1_30default_config_static_selectorELNS0_4arch9wavefront6targetE0EEEvSZ_
; %bb.0:
	.section	.rodata,"a",@progbits
	.p2align	6, 0x0
	.amdhsa_kernel _ZN7rocprim17ROCPRIM_400000_NS6detail17trampoline_kernelINS0_13select_configILj256ELj13ELNS0_17block_load_methodE3ELS4_3ELS4_3ELNS0_20block_scan_algorithmE0ELj4294967295EEENS1_25partition_config_selectorILNS1_17partition_subalgoE3EjNS0_10empty_typeEbEEZZNS1_14partition_implILS8_3ELb0ES6_jNS0_17counting_iteratorIjlEEPS9_SE_NS0_5tupleIJPjSE_EEENSF_IJSE_SE_EEES9_SG_JZNS1_25segmented_radix_sort_implINS0_14default_configELb0EPK6__halfPSL_PKlPlN2at6native12_GLOBAL__N_18offset_tEEE10hipError_tPvRmT1_PNSt15iterator_traitsISZ_E10value_typeET2_T3_PNS10_IS15_E10value_typeET4_jRbjT5_S1B_jjP12ihipStream_tbEUljE_EEESW_SX_SY_S15_S19_S1B_T6_T7_T9_mT8_S1D_bDpT10_ENKUlT_T0_E_clISt17integral_constantIbLb1EES1P_IbLb0EEEEDaS1L_S1M_EUlS1L_E_NS1_11comp_targetILNS1_3genE3ELNS1_11target_archE908ELNS1_3gpuE7ELNS1_3repE0EEENS1_30default_config_static_selectorELNS0_4arch9wavefront6targetE0EEEvSZ_
		.amdhsa_group_segment_fixed_size 0
		.amdhsa_private_segment_fixed_size 0
		.amdhsa_kernarg_size 144
		.amdhsa_user_sgpr_count 2
		.amdhsa_user_sgpr_dispatch_ptr 0
		.amdhsa_user_sgpr_queue_ptr 0
		.amdhsa_user_sgpr_kernarg_segment_ptr 1
		.amdhsa_user_sgpr_dispatch_id 0
		.amdhsa_user_sgpr_kernarg_preload_length 0
		.amdhsa_user_sgpr_kernarg_preload_offset 0
		.amdhsa_user_sgpr_private_segment_size 0
		.amdhsa_wavefront_size32 1
		.amdhsa_uses_dynamic_stack 0
		.amdhsa_enable_private_segment 0
		.amdhsa_system_sgpr_workgroup_id_x 1
		.amdhsa_system_sgpr_workgroup_id_y 0
		.amdhsa_system_sgpr_workgroup_id_z 0
		.amdhsa_system_sgpr_workgroup_info 0
		.amdhsa_system_vgpr_workitem_id 0
		.amdhsa_next_free_vgpr 1
		.amdhsa_next_free_sgpr 1
		.amdhsa_named_barrier_count 0
		.amdhsa_reserve_vcc 0
		.amdhsa_float_round_mode_32 0
		.amdhsa_float_round_mode_16_64 0
		.amdhsa_float_denorm_mode_32 3
		.amdhsa_float_denorm_mode_16_64 3
		.amdhsa_fp16_overflow 0
		.amdhsa_memory_ordered 1
		.amdhsa_forward_progress 1
		.amdhsa_inst_pref_size 0
		.amdhsa_round_robin_scheduling 0
		.amdhsa_exception_fp_ieee_invalid_op 0
		.amdhsa_exception_fp_denorm_src 0
		.amdhsa_exception_fp_ieee_div_zero 0
		.amdhsa_exception_fp_ieee_overflow 0
		.amdhsa_exception_fp_ieee_underflow 0
		.amdhsa_exception_fp_ieee_inexact 0
		.amdhsa_exception_int_div_zero 0
	.end_amdhsa_kernel
	.section	.text._ZN7rocprim17ROCPRIM_400000_NS6detail17trampoline_kernelINS0_13select_configILj256ELj13ELNS0_17block_load_methodE3ELS4_3ELS4_3ELNS0_20block_scan_algorithmE0ELj4294967295EEENS1_25partition_config_selectorILNS1_17partition_subalgoE3EjNS0_10empty_typeEbEEZZNS1_14partition_implILS8_3ELb0ES6_jNS0_17counting_iteratorIjlEEPS9_SE_NS0_5tupleIJPjSE_EEENSF_IJSE_SE_EEES9_SG_JZNS1_25segmented_radix_sort_implINS0_14default_configELb0EPK6__halfPSL_PKlPlN2at6native12_GLOBAL__N_18offset_tEEE10hipError_tPvRmT1_PNSt15iterator_traitsISZ_E10value_typeET2_T3_PNS10_IS15_E10value_typeET4_jRbjT5_S1B_jjP12ihipStream_tbEUljE_EEESW_SX_SY_S15_S19_S1B_T6_T7_T9_mT8_S1D_bDpT10_ENKUlT_T0_E_clISt17integral_constantIbLb1EES1P_IbLb0EEEEDaS1L_S1M_EUlS1L_E_NS1_11comp_targetILNS1_3genE3ELNS1_11target_archE908ELNS1_3gpuE7ELNS1_3repE0EEENS1_30default_config_static_selectorELNS0_4arch9wavefront6targetE0EEEvSZ_,"axG",@progbits,_ZN7rocprim17ROCPRIM_400000_NS6detail17trampoline_kernelINS0_13select_configILj256ELj13ELNS0_17block_load_methodE3ELS4_3ELS4_3ELNS0_20block_scan_algorithmE0ELj4294967295EEENS1_25partition_config_selectorILNS1_17partition_subalgoE3EjNS0_10empty_typeEbEEZZNS1_14partition_implILS8_3ELb0ES6_jNS0_17counting_iteratorIjlEEPS9_SE_NS0_5tupleIJPjSE_EEENSF_IJSE_SE_EEES9_SG_JZNS1_25segmented_radix_sort_implINS0_14default_configELb0EPK6__halfPSL_PKlPlN2at6native12_GLOBAL__N_18offset_tEEE10hipError_tPvRmT1_PNSt15iterator_traitsISZ_E10value_typeET2_T3_PNS10_IS15_E10value_typeET4_jRbjT5_S1B_jjP12ihipStream_tbEUljE_EEESW_SX_SY_S15_S19_S1B_T6_T7_T9_mT8_S1D_bDpT10_ENKUlT_T0_E_clISt17integral_constantIbLb1EES1P_IbLb0EEEEDaS1L_S1M_EUlS1L_E_NS1_11comp_targetILNS1_3genE3ELNS1_11target_archE908ELNS1_3gpuE7ELNS1_3repE0EEENS1_30default_config_static_selectorELNS0_4arch9wavefront6targetE0EEEvSZ_,comdat
.Lfunc_end1819:
	.size	_ZN7rocprim17ROCPRIM_400000_NS6detail17trampoline_kernelINS0_13select_configILj256ELj13ELNS0_17block_load_methodE3ELS4_3ELS4_3ELNS0_20block_scan_algorithmE0ELj4294967295EEENS1_25partition_config_selectorILNS1_17partition_subalgoE3EjNS0_10empty_typeEbEEZZNS1_14partition_implILS8_3ELb0ES6_jNS0_17counting_iteratorIjlEEPS9_SE_NS0_5tupleIJPjSE_EEENSF_IJSE_SE_EEES9_SG_JZNS1_25segmented_radix_sort_implINS0_14default_configELb0EPK6__halfPSL_PKlPlN2at6native12_GLOBAL__N_18offset_tEEE10hipError_tPvRmT1_PNSt15iterator_traitsISZ_E10value_typeET2_T3_PNS10_IS15_E10value_typeET4_jRbjT5_S1B_jjP12ihipStream_tbEUljE_EEESW_SX_SY_S15_S19_S1B_T6_T7_T9_mT8_S1D_bDpT10_ENKUlT_T0_E_clISt17integral_constantIbLb1EES1P_IbLb0EEEEDaS1L_S1M_EUlS1L_E_NS1_11comp_targetILNS1_3genE3ELNS1_11target_archE908ELNS1_3gpuE7ELNS1_3repE0EEENS1_30default_config_static_selectorELNS0_4arch9wavefront6targetE0EEEvSZ_, .Lfunc_end1819-_ZN7rocprim17ROCPRIM_400000_NS6detail17trampoline_kernelINS0_13select_configILj256ELj13ELNS0_17block_load_methodE3ELS4_3ELS4_3ELNS0_20block_scan_algorithmE0ELj4294967295EEENS1_25partition_config_selectorILNS1_17partition_subalgoE3EjNS0_10empty_typeEbEEZZNS1_14partition_implILS8_3ELb0ES6_jNS0_17counting_iteratorIjlEEPS9_SE_NS0_5tupleIJPjSE_EEENSF_IJSE_SE_EEES9_SG_JZNS1_25segmented_radix_sort_implINS0_14default_configELb0EPK6__halfPSL_PKlPlN2at6native12_GLOBAL__N_18offset_tEEE10hipError_tPvRmT1_PNSt15iterator_traitsISZ_E10value_typeET2_T3_PNS10_IS15_E10value_typeET4_jRbjT5_S1B_jjP12ihipStream_tbEUljE_EEESW_SX_SY_S15_S19_S1B_T6_T7_T9_mT8_S1D_bDpT10_ENKUlT_T0_E_clISt17integral_constantIbLb1EES1P_IbLb0EEEEDaS1L_S1M_EUlS1L_E_NS1_11comp_targetILNS1_3genE3ELNS1_11target_archE908ELNS1_3gpuE7ELNS1_3repE0EEENS1_30default_config_static_selectorELNS0_4arch9wavefront6targetE0EEEvSZ_
                                        ; -- End function
	.set _ZN7rocprim17ROCPRIM_400000_NS6detail17trampoline_kernelINS0_13select_configILj256ELj13ELNS0_17block_load_methodE3ELS4_3ELS4_3ELNS0_20block_scan_algorithmE0ELj4294967295EEENS1_25partition_config_selectorILNS1_17partition_subalgoE3EjNS0_10empty_typeEbEEZZNS1_14partition_implILS8_3ELb0ES6_jNS0_17counting_iteratorIjlEEPS9_SE_NS0_5tupleIJPjSE_EEENSF_IJSE_SE_EEES9_SG_JZNS1_25segmented_radix_sort_implINS0_14default_configELb0EPK6__halfPSL_PKlPlN2at6native12_GLOBAL__N_18offset_tEEE10hipError_tPvRmT1_PNSt15iterator_traitsISZ_E10value_typeET2_T3_PNS10_IS15_E10value_typeET4_jRbjT5_S1B_jjP12ihipStream_tbEUljE_EEESW_SX_SY_S15_S19_S1B_T6_T7_T9_mT8_S1D_bDpT10_ENKUlT_T0_E_clISt17integral_constantIbLb1EES1P_IbLb0EEEEDaS1L_S1M_EUlS1L_E_NS1_11comp_targetILNS1_3genE3ELNS1_11target_archE908ELNS1_3gpuE7ELNS1_3repE0EEENS1_30default_config_static_selectorELNS0_4arch9wavefront6targetE0EEEvSZ_.num_vgpr, 0
	.set _ZN7rocprim17ROCPRIM_400000_NS6detail17trampoline_kernelINS0_13select_configILj256ELj13ELNS0_17block_load_methodE3ELS4_3ELS4_3ELNS0_20block_scan_algorithmE0ELj4294967295EEENS1_25partition_config_selectorILNS1_17partition_subalgoE3EjNS0_10empty_typeEbEEZZNS1_14partition_implILS8_3ELb0ES6_jNS0_17counting_iteratorIjlEEPS9_SE_NS0_5tupleIJPjSE_EEENSF_IJSE_SE_EEES9_SG_JZNS1_25segmented_radix_sort_implINS0_14default_configELb0EPK6__halfPSL_PKlPlN2at6native12_GLOBAL__N_18offset_tEEE10hipError_tPvRmT1_PNSt15iterator_traitsISZ_E10value_typeET2_T3_PNS10_IS15_E10value_typeET4_jRbjT5_S1B_jjP12ihipStream_tbEUljE_EEESW_SX_SY_S15_S19_S1B_T6_T7_T9_mT8_S1D_bDpT10_ENKUlT_T0_E_clISt17integral_constantIbLb1EES1P_IbLb0EEEEDaS1L_S1M_EUlS1L_E_NS1_11comp_targetILNS1_3genE3ELNS1_11target_archE908ELNS1_3gpuE7ELNS1_3repE0EEENS1_30default_config_static_selectorELNS0_4arch9wavefront6targetE0EEEvSZ_.num_agpr, 0
	.set _ZN7rocprim17ROCPRIM_400000_NS6detail17trampoline_kernelINS0_13select_configILj256ELj13ELNS0_17block_load_methodE3ELS4_3ELS4_3ELNS0_20block_scan_algorithmE0ELj4294967295EEENS1_25partition_config_selectorILNS1_17partition_subalgoE3EjNS0_10empty_typeEbEEZZNS1_14partition_implILS8_3ELb0ES6_jNS0_17counting_iteratorIjlEEPS9_SE_NS0_5tupleIJPjSE_EEENSF_IJSE_SE_EEES9_SG_JZNS1_25segmented_radix_sort_implINS0_14default_configELb0EPK6__halfPSL_PKlPlN2at6native12_GLOBAL__N_18offset_tEEE10hipError_tPvRmT1_PNSt15iterator_traitsISZ_E10value_typeET2_T3_PNS10_IS15_E10value_typeET4_jRbjT5_S1B_jjP12ihipStream_tbEUljE_EEESW_SX_SY_S15_S19_S1B_T6_T7_T9_mT8_S1D_bDpT10_ENKUlT_T0_E_clISt17integral_constantIbLb1EES1P_IbLb0EEEEDaS1L_S1M_EUlS1L_E_NS1_11comp_targetILNS1_3genE3ELNS1_11target_archE908ELNS1_3gpuE7ELNS1_3repE0EEENS1_30default_config_static_selectorELNS0_4arch9wavefront6targetE0EEEvSZ_.numbered_sgpr, 0
	.set _ZN7rocprim17ROCPRIM_400000_NS6detail17trampoline_kernelINS0_13select_configILj256ELj13ELNS0_17block_load_methodE3ELS4_3ELS4_3ELNS0_20block_scan_algorithmE0ELj4294967295EEENS1_25partition_config_selectorILNS1_17partition_subalgoE3EjNS0_10empty_typeEbEEZZNS1_14partition_implILS8_3ELb0ES6_jNS0_17counting_iteratorIjlEEPS9_SE_NS0_5tupleIJPjSE_EEENSF_IJSE_SE_EEES9_SG_JZNS1_25segmented_radix_sort_implINS0_14default_configELb0EPK6__halfPSL_PKlPlN2at6native12_GLOBAL__N_18offset_tEEE10hipError_tPvRmT1_PNSt15iterator_traitsISZ_E10value_typeET2_T3_PNS10_IS15_E10value_typeET4_jRbjT5_S1B_jjP12ihipStream_tbEUljE_EEESW_SX_SY_S15_S19_S1B_T6_T7_T9_mT8_S1D_bDpT10_ENKUlT_T0_E_clISt17integral_constantIbLb1EES1P_IbLb0EEEEDaS1L_S1M_EUlS1L_E_NS1_11comp_targetILNS1_3genE3ELNS1_11target_archE908ELNS1_3gpuE7ELNS1_3repE0EEENS1_30default_config_static_selectorELNS0_4arch9wavefront6targetE0EEEvSZ_.num_named_barrier, 0
	.set _ZN7rocprim17ROCPRIM_400000_NS6detail17trampoline_kernelINS0_13select_configILj256ELj13ELNS0_17block_load_methodE3ELS4_3ELS4_3ELNS0_20block_scan_algorithmE0ELj4294967295EEENS1_25partition_config_selectorILNS1_17partition_subalgoE3EjNS0_10empty_typeEbEEZZNS1_14partition_implILS8_3ELb0ES6_jNS0_17counting_iteratorIjlEEPS9_SE_NS0_5tupleIJPjSE_EEENSF_IJSE_SE_EEES9_SG_JZNS1_25segmented_radix_sort_implINS0_14default_configELb0EPK6__halfPSL_PKlPlN2at6native12_GLOBAL__N_18offset_tEEE10hipError_tPvRmT1_PNSt15iterator_traitsISZ_E10value_typeET2_T3_PNS10_IS15_E10value_typeET4_jRbjT5_S1B_jjP12ihipStream_tbEUljE_EEESW_SX_SY_S15_S19_S1B_T6_T7_T9_mT8_S1D_bDpT10_ENKUlT_T0_E_clISt17integral_constantIbLb1EES1P_IbLb0EEEEDaS1L_S1M_EUlS1L_E_NS1_11comp_targetILNS1_3genE3ELNS1_11target_archE908ELNS1_3gpuE7ELNS1_3repE0EEENS1_30default_config_static_selectorELNS0_4arch9wavefront6targetE0EEEvSZ_.private_seg_size, 0
	.set _ZN7rocprim17ROCPRIM_400000_NS6detail17trampoline_kernelINS0_13select_configILj256ELj13ELNS0_17block_load_methodE3ELS4_3ELS4_3ELNS0_20block_scan_algorithmE0ELj4294967295EEENS1_25partition_config_selectorILNS1_17partition_subalgoE3EjNS0_10empty_typeEbEEZZNS1_14partition_implILS8_3ELb0ES6_jNS0_17counting_iteratorIjlEEPS9_SE_NS0_5tupleIJPjSE_EEENSF_IJSE_SE_EEES9_SG_JZNS1_25segmented_radix_sort_implINS0_14default_configELb0EPK6__halfPSL_PKlPlN2at6native12_GLOBAL__N_18offset_tEEE10hipError_tPvRmT1_PNSt15iterator_traitsISZ_E10value_typeET2_T3_PNS10_IS15_E10value_typeET4_jRbjT5_S1B_jjP12ihipStream_tbEUljE_EEESW_SX_SY_S15_S19_S1B_T6_T7_T9_mT8_S1D_bDpT10_ENKUlT_T0_E_clISt17integral_constantIbLb1EES1P_IbLb0EEEEDaS1L_S1M_EUlS1L_E_NS1_11comp_targetILNS1_3genE3ELNS1_11target_archE908ELNS1_3gpuE7ELNS1_3repE0EEENS1_30default_config_static_selectorELNS0_4arch9wavefront6targetE0EEEvSZ_.uses_vcc, 0
	.set _ZN7rocprim17ROCPRIM_400000_NS6detail17trampoline_kernelINS0_13select_configILj256ELj13ELNS0_17block_load_methodE3ELS4_3ELS4_3ELNS0_20block_scan_algorithmE0ELj4294967295EEENS1_25partition_config_selectorILNS1_17partition_subalgoE3EjNS0_10empty_typeEbEEZZNS1_14partition_implILS8_3ELb0ES6_jNS0_17counting_iteratorIjlEEPS9_SE_NS0_5tupleIJPjSE_EEENSF_IJSE_SE_EEES9_SG_JZNS1_25segmented_radix_sort_implINS0_14default_configELb0EPK6__halfPSL_PKlPlN2at6native12_GLOBAL__N_18offset_tEEE10hipError_tPvRmT1_PNSt15iterator_traitsISZ_E10value_typeET2_T3_PNS10_IS15_E10value_typeET4_jRbjT5_S1B_jjP12ihipStream_tbEUljE_EEESW_SX_SY_S15_S19_S1B_T6_T7_T9_mT8_S1D_bDpT10_ENKUlT_T0_E_clISt17integral_constantIbLb1EES1P_IbLb0EEEEDaS1L_S1M_EUlS1L_E_NS1_11comp_targetILNS1_3genE3ELNS1_11target_archE908ELNS1_3gpuE7ELNS1_3repE0EEENS1_30default_config_static_selectorELNS0_4arch9wavefront6targetE0EEEvSZ_.uses_flat_scratch, 0
	.set _ZN7rocprim17ROCPRIM_400000_NS6detail17trampoline_kernelINS0_13select_configILj256ELj13ELNS0_17block_load_methodE3ELS4_3ELS4_3ELNS0_20block_scan_algorithmE0ELj4294967295EEENS1_25partition_config_selectorILNS1_17partition_subalgoE3EjNS0_10empty_typeEbEEZZNS1_14partition_implILS8_3ELb0ES6_jNS0_17counting_iteratorIjlEEPS9_SE_NS0_5tupleIJPjSE_EEENSF_IJSE_SE_EEES9_SG_JZNS1_25segmented_radix_sort_implINS0_14default_configELb0EPK6__halfPSL_PKlPlN2at6native12_GLOBAL__N_18offset_tEEE10hipError_tPvRmT1_PNSt15iterator_traitsISZ_E10value_typeET2_T3_PNS10_IS15_E10value_typeET4_jRbjT5_S1B_jjP12ihipStream_tbEUljE_EEESW_SX_SY_S15_S19_S1B_T6_T7_T9_mT8_S1D_bDpT10_ENKUlT_T0_E_clISt17integral_constantIbLb1EES1P_IbLb0EEEEDaS1L_S1M_EUlS1L_E_NS1_11comp_targetILNS1_3genE3ELNS1_11target_archE908ELNS1_3gpuE7ELNS1_3repE0EEENS1_30default_config_static_selectorELNS0_4arch9wavefront6targetE0EEEvSZ_.has_dyn_sized_stack, 0
	.set _ZN7rocprim17ROCPRIM_400000_NS6detail17trampoline_kernelINS0_13select_configILj256ELj13ELNS0_17block_load_methodE3ELS4_3ELS4_3ELNS0_20block_scan_algorithmE0ELj4294967295EEENS1_25partition_config_selectorILNS1_17partition_subalgoE3EjNS0_10empty_typeEbEEZZNS1_14partition_implILS8_3ELb0ES6_jNS0_17counting_iteratorIjlEEPS9_SE_NS0_5tupleIJPjSE_EEENSF_IJSE_SE_EEES9_SG_JZNS1_25segmented_radix_sort_implINS0_14default_configELb0EPK6__halfPSL_PKlPlN2at6native12_GLOBAL__N_18offset_tEEE10hipError_tPvRmT1_PNSt15iterator_traitsISZ_E10value_typeET2_T3_PNS10_IS15_E10value_typeET4_jRbjT5_S1B_jjP12ihipStream_tbEUljE_EEESW_SX_SY_S15_S19_S1B_T6_T7_T9_mT8_S1D_bDpT10_ENKUlT_T0_E_clISt17integral_constantIbLb1EES1P_IbLb0EEEEDaS1L_S1M_EUlS1L_E_NS1_11comp_targetILNS1_3genE3ELNS1_11target_archE908ELNS1_3gpuE7ELNS1_3repE0EEENS1_30default_config_static_selectorELNS0_4arch9wavefront6targetE0EEEvSZ_.has_recursion, 0
	.set _ZN7rocprim17ROCPRIM_400000_NS6detail17trampoline_kernelINS0_13select_configILj256ELj13ELNS0_17block_load_methodE3ELS4_3ELS4_3ELNS0_20block_scan_algorithmE0ELj4294967295EEENS1_25partition_config_selectorILNS1_17partition_subalgoE3EjNS0_10empty_typeEbEEZZNS1_14partition_implILS8_3ELb0ES6_jNS0_17counting_iteratorIjlEEPS9_SE_NS0_5tupleIJPjSE_EEENSF_IJSE_SE_EEES9_SG_JZNS1_25segmented_radix_sort_implINS0_14default_configELb0EPK6__halfPSL_PKlPlN2at6native12_GLOBAL__N_18offset_tEEE10hipError_tPvRmT1_PNSt15iterator_traitsISZ_E10value_typeET2_T3_PNS10_IS15_E10value_typeET4_jRbjT5_S1B_jjP12ihipStream_tbEUljE_EEESW_SX_SY_S15_S19_S1B_T6_T7_T9_mT8_S1D_bDpT10_ENKUlT_T0_E_clISt17integral_constantIbLb1EES1P_IbLb0EEEEDaS1L_S1M_EUlS1L_E_NS1_11comp_targetILNS1_3genE3ELNS1_11target_archE908ELNS1_3gpuE7ELNS1_3repE0EEENS1_30default_config_static_selectorELNS0_4arch9wavefront6targetE0EEEvSZ_.has_indirect_call, 0
	.section	.AMDGPU.csdata,"",@progbits
; Kernel info:
; codeLenInByte = 0
; TotalNumSgprs: 0
; NumVgprs: 0
; ScratchSize: 0
; MemoryBound: 0
; FloatMode: 240
; IeeeMode: 1
; LDSByteSize: 0 bytes/workgroup (compile time only)
; SGPRBlocks: 0
; VGPRBlocks: 0
; NumSGPRsForWavesPerEU: 1
; NumVGPRsForWavesPerEU: 1
; NamedBarCnt: 0
; Occupancy: 16
; WaveLimiterHint : 0
; COMPUTE_PGM_RSRC2:SCRATCH_EN: 0
; COMPUTE_PGM_RSRC2:USER_SGPR: 2
; COMPUTE_PGM_RSRC2:TRAP_HANDLER: 0
; COMPUTE_PGM_RSRC2:TGID_X_EN: 1
; COMPUTE_PGM_RSRC2:TGID_Y_EN: 0
; COMPUTE_PGM_RSRC2:TGID_Z_EN: 0
; COMPUTE_PGM_RSRC2:TIDIG_COMP_CNT: 0
	.section	.text._ZN7rocprim17ROCPRIM_400000_NS6detail17trampoline_kernelINS0_13select_configILj256ELj13ELNS0_17block_load_methodE3ELS4_3ELS4_3ELNS0_20block_scan_algorithmE0ELj4294967295EEENS1_25partition_config_selectorILNS1_17partition_subalgoE3EjNS0_10empty_typeEbEEZZNS1_14partition_implILS8_3ELb0ES6_jNS0_17counting_iteratorIjlEEPS9_SE_NS0_5tupleIJPjSE_EEENSF_IJSE_SE_EEES9_SG_JZNS1_25segmented_radix_sort_implINS0_14default_configELb0EPK6__halfPSL_PKlPlN2at6native12_GLOBAL__N_18offset_tEEE10hipError_tPvRmT1_PNSt15iterator_traitsISZ_E10value_typeET2_T3_PNS10_IS15_E10value_typeET4_jRbjT5_S1B_jjP12ihipStream_tbEUljE_EEESW_SX_SY_S15_S19_S1B_T6_T7_T9_mT8_S1D_bDpT10_ENKUlT_T0_E_clISt17integral_constantIbLb1EES1P_IbLb0EEEEDaS1L_S1M_EUlS1L_E_NS1_11comp_targetILNS1_3genE2ELNS1_11target_archE906ELNS1_3gpuE6ELNS1_3repE0EEENS1_30default_config_static_selectorELNS0_4arch9wavefront6targetE0EEEvSZ_,"axG",@progbits,_ZN7rocprim17ROCPRIM_400000_NS6detail17trampoline_kernelINS0_13select_configILj256ELj13ELNS0_17block_load_methodE3ELS4_3ELS4_3ELNS0_20block_scan_algorithmE0ELj4294967295EEENS1_25partition_config_selectorILNS1_17partition_subalgoE3EjNS0_10empty_typeEbEEZZNS1_14partition_implILS8_3ELb0ES6_jNS0_17counting_iteratorIjlEEPS9_SE_NS0_5tupleIJPjSE_EEENSF_IJSE_SE_EEES9_SG_JZNS1_25segmented_radix_sort_implINS0_14default_configELb0EPK6__halfPSL_PKlPlN2at6native12_GLOBAL__N_18offset_tEEE10hipError_tPvRmT1_PNSt15iterator_traitsISZ_E10value_typeET2_T3_PNS10_IS15_E10value_typeET4_jRbjT5_S1B_jjP12ihipStream_tbEUljE_EEESW_SX_SY_S15_S19_S1B_T6_T7_T9_mT8_S1D_bDpT10_ENKUlT_T0_E_clISt17integral_constantIbLb1EES1P_IbLb0EEEEDaS1L_S1M_EUlS1L_E_NS1_11comp_targetILNS1_3genE2ELNS1_11target_archE906ELNS1_3gpuE6ELNS1_3repE0EEENS1_30default_config_static_selectorELNS0_4arch9wavefront6targetE0EEEvSZ_,comdat
	.globl	_ZN7rocprim17ROCPRIM_400000_NS6detail17trampoline_kernelINS0_13select_configILj256ELj13ELNS0_17block_load_methodE3ELS4_3ELS4_3ELNS0_20block_scan_algorithmE0ELj4294967295EEENS1_25partition_config_selectorILNS1_17partition_subalgoE3EjNS0_10empty_typeEbEEZZNS1_14partition_implILS8_3ELb0ES6_jNS0_17counting_iteratorIjlEEPS9_SE_NS0_5tupleIJPjSE_EEENSF_IJSE_SE_EEES9_SG_JZNS1_25segmented_radix_sort_implINS0_14default_configELb0EPK6__halfPSL_PKlPlN2at6native12_GLOBAL__N_18offset_tEEE10hipError_tPvRmT1_PNSt15iterator_traitsISZ_E10value_typeET2_T3_PNS10_IS15_E10value_typeET4_jRbjT5_S1B_jjP12ihipStream_tbEUljE_EEESW_SX_SY_S15_S19_S1B_T6_T7_T9_mT8_S1D_bDpT10_ENKUlT_T0_E_clISt17integral_constantIbLb1EES1P_IbLb0EEEEDaS1L_S1M_EUlS1L_E_NS1_11comp_targetILNS1_3genE2ELNS1_11target_archE906ELNS1_3gpuE6ELNS1_3repE0EEENS1_30default_config_static_selectorELNS0_4arch9wavefront6targetE0EEEvSZ_ ; -- Begin function _ZN7rocprim17ROCPRIM_400000_NS6detail17trampoline_kernelINS0_13select_configILj256ELj13ELNS0_17block_load_methodE3ELS4_3ELS4_3ELNS0_20block_scan_algorithmE0ELj4294967295EEENS1_25partition_config_selectorILNS1_17partition_subalgoE3EjNS0_10empty_typeEbEEZZNS1_14partition_implILS8_3ELb0ES6_jNS0_17counting_iteratorIjlEEPS9_SE_NS0_5tupleIJPjSE_EEENSF_IJSE_SE_EEES9_SG_JZNS1_25segmented_radix_sort_implINS0_14default_configELb0EPK6__halfPSL_PKlPlN2at6native12_GLOBAL__N_18offset_tEEE10hipError_tPvRmT1_PNSt15iterator_traitsISZ_E10value_typeET2_T3_PNS10_IS15_E10value_typeET4_jRbjT5_S1B_jjP12ihipStream_tbEUljE_EEESW_SX_SY_S15_S19_S1B_T6_T7_T9_mT8_S1D_bDpT10_ENKUlT_T0_E_clISt17integral_constantIbLb1EES1P_IbLb0EEEEDaS1L_S1M_EUlS1L_E_NS1_11comp_targetILNS1_3genE2ELNS1_11target_archE906ELNS1_3gpuE6ELNS1_3repE0EEENS1_30default_config_static_selectorELNS0_4arch9wavefront6targetE0EEEvSZ_
	.p2align	8
	.type	_ZN7rocprim17ROCPRIM_400000_NS6detail17trampoline_kernelINS0_13select_configILj256ELj13ELNS0_17block_load_methodE3ELS4_3ELS4_3ELNS0_20block_scan_algorithmE0ELj4294967295EEENS1_25partition_config_selectorILNS1_17partition_subalgoE3EjNS0_10empty_typeEbEEZZNS1_14partition_implILS8_3ELb0ES6_jNS0_17counting_iteratorIjlEEPS9_SE_NS0_5tupleIJPjSE_EEENSF_IJSE_SE_EEES9_SG_JZNS1_25segmented_radix_sort_implINS0_14default_configELb0EPK6__halfPSL_PKlPlN2at6native12_GLOBAL__N_18offset_tEEE10hipError_tPvRmT1_PNSt15iterator_traitsISZ_E10value_typeET2_T3_PNS10_IS15_E10value_typeET4_jRbjT5_S1B_jjP12ihipStream_tbEUljE_EEESW_SX_SY_S15_S19_S1B_T6_T7_T9_mT8_S1D_bDpT10_ENKUlT_T0_E_clISt17integral_constantIbLb1EES1P_IbLb0EEEEDaS1L_S1M_EUlS1L_E_NS1_11comp_targetILNS1_3genE2ELNS1_11target_archE906ELNS1_3gpuE6ELNS1_3repE0EEENS1_30default_config_static_selectorELNS0_4arch9wavefront6targetE0EEEvSZ_,@function
_ZN7rocprim17ROCPRIM_400000_NS6detail17trampoline_kernelINS0_13select_configILj256ELj13ELNS0_17block_load_methodE3ELS4_3ELS4_3ELNS0_20block_scan_algorithmE0ELj4294967295EEENS1_25partition_config_selectorILNS1_17partition_subalgoE3EjNS0_10empty_typeEbEEZZNS1_14partition_implILS8_3ELb0ES6_jNS0_17counting_iteratorIjlEEPS9_SE_NS0_5tupleIJPjSE_EEENSF_IJSE_SE_EEES9_SG_JZNS1_25segmented_radix_sort_implINS0_14default_configELb0EPK6__halfPSL_PKlPlN2at6native12_GLOBAL__N_18offset_tEEE10hipError_tPvRmT1_PNSt15iterator_traitsISZ_E10value_typeET2_T3_PNS10_IS15_E10value_typeET4_jRbjT5_S1B_jjP12ihipStream_tbEUljE_EEESW_SX_SY_S15_S19_S1B_T6_T7_T9_mT8_S1D_bDpT10_ENKUlT_T0_E_clISt17integral_constantIbLb1EES1P_IbLb0EEEEDaS1L_S1M_EUlS1L_E_NS1_11comp_targetILNS1_3genE2ELNS1_11target_archE906ELNS1_3gpuE6ELNS1_3repE0EEENS1_30default_config_static_selectorELNS0_4arch9wavefront6targetE0EEEvSZ_: ; @_ZN7rocprim17ROCPRIM_400000_NS6detail17trampoline_kernelINS0_13select_configILj256ELj13ELNS0_17block_load_methodE3ELS4_3ELS4_3ELNS0_20block_scan_algorithmE0ELj4294967295EEENS1_25partition_config_selectorILNS1_17partition_subalgoE3EjNS0_10empty_typeEbEEZZNS1_14partition_implILS8_3ELb0ES6_jNS0_17counting_iteratorIjlEEPS9_SE_NS0_5tupleIJPjSE_EEENSF_IJSE_SE_EEES9_SG_JZNS1_25segmented_radix_sort_implINS0_14default_configELb0EPK6__halfPSL_PKlPlN2at6native12_GLOBAL__N_18offset_tEEE10hipError_tPvRmT1_PNSt15iterator_traitsISZ_E10value_typeET2_T3_PNS10_IS15_E10value_typeET4_jRbjT5_S1B_jjP12ihipStream_tbEUljE_EEESW_SX_SY_S15_S19_S1B_T6_T7_T9_mT8_S1D_bDpT10_ENKUlT_T0_E_clISt17integral_constantIbLb1EES1P_IbLb0EEEEDaS1L_S1M_EUlS1L_E_NS1_11comp_targetILNS1_3genE2ELNS1_11target_archE906ELNS1_3gpuE6ELNS1_3repE0EEENS1_30default_config_static_selectorELNS0_4arch9wavefront6targetE0EEEvSZ_
; %bb.0:
	.section	.rodata,"a",@progbits
	.p2align	6, 0x0
	.amdhsa_kernel _ZN7rocprim17ROCPRIM_400000_NS6detail17trampoline_kernelINS0_13select_configILj256ELj13ELNS0_17block_load_methodE3ELS4_3ELS4_3ELNS0_20block_scan_algorithmE0ELj4294967295EEENS1_25partition_config_selectorILNS1_17partition_subalgoE3EjNS0_10empty_typeEbEEZZNS1_14partition_implILS8_3ELb0ES6_jNS0_17counting_iteratorIjlEEPS9_SE_NS0_5tupleIJPjSE_EEENSF_IJSE_SE_EEES9_SG_JZNS1_25segmented_radix_sort_implINS0_14default_configELb0EPK6__halfPSL_PKlPlN2at6native12_GLOBAL__N_18offset_tEEE10hipError_tPvRmT1_PNSt15iterator_traitsISZ_E10value_typeET2_T3_PNS10_IS15_E10value_typeET4_jRbjT5_S1B_jjP12ihipStream_tbEUljE_EEESW_SX_SY_S15_S19_S1B_T6_T7_T9_mT8_S1D_bDpT10_ENKUlT_T0_E_clISt17integral_constantIbLb1EES1P_IbLb0EEEEDaS1L_S1M_EUlS1L_E_NS1_11comp_targetILNS1_3genE2ELNS1_11target_archE906ELNS1_3gpuE6ELNS1_3repE0EEENS1_30default_config_static_selectorELNS0_4arch9wavefront6targetE0EEEvSZ_
		.amdhsa_group_segment_fixed_size 0
		.amdhsa_private_segment_fixed_size 0
		.amdhsa_kernarg_size 144
		.amdhsa_user_sgpr_count 2
		.amdhsa_user_sgpr_dispatch_ptr 0
		.amdhsa_user_sgpr_queue_ptr 0
		.amdhsa_user_sgpr_kernarg_segment_ptr 1
		.amdhsa_user_sgpr_dispatch_id 0
		.amdhsa_user_sgpr_kernarg_preload_length 0
		.amdhsa_user_sgpr_kernarg_preload_offset 0
		.amdhsa_user_sgpr_private_segment_size 0
		.amdhsa_wavefront_size32 1
		.amdhsa_uses_dynamic_stack 0
		.amdhsa_enable_private_segment 0
		.amdhsa_system_sgpr_workgroup_id_x 1
		.amdhsa_system_sgpr_workgroup_id_y 0
		.amdhsa_system_sgpr_workgroup_id_z 0
		.amdhsa_system_sgpr_workgroup_info 0
		.amdhsa_system_vgpr_workitem_id 0
		.amdhsa_next_free_vgpr 1
		.amdhsa_next_free_sgpr 1
		.amdhsa_named_barrier_count 0
		.amdhsa_reserve_vcc 0
		.amdhsa_float_round_mode_32 0
		.amdhsa_float_round_mode_16_64 0
		.amdhsa_float_denorm_mode_32 3
		.amdhsa_float_denorm_mode_16_64 3
		.amdhsa_fp16_overflow 0
		.amdhsa_memory_ordered 1
		.amdhsa_forward_progress 1
		.amdhsa_inst_pref_size 0
		.amdhsa_round_robin_scheduling 0
		.amdhsa_exception_fp_ieee_invalid_op 0
		.amdhsa_exception_fp_denorm_src 0
		.amdhsa_exception_fp_ieee_div_zero 0
		.amdhsa_exception_fp_ieee_overflow 0
		.amdhsa_exception_fp_ieee_underflow 0
		.amdhsa_exception_fp_ieee_inexact 0
		.amdhsa_exception_int_div_zero 0
	.end_amdhsa_kernel
	.section	.text._ZN7rocprim17ROCPRIM_400000_NS6detail17trampoline_kernelINS0_13select_configILj256ELj13ELNS0_17block_load_methodE3ELS4_3ELS4_3ELNS0_20block_scan_algorithmE0ELj4294967295EEENS1_25partition_config_selectorILNS1_17partition_subalgoE3EjNS0_10empty_typeEbEEZZNS1_14partition_implILS8_3ELb0ES6_jNS0_17counting_iteratorIjlEEPS9_SE_NS0_5tupleIJPjSE_EEENSF_IJSE_SE_EEES9_SG_JZNS1_25segmented_radix_sort_implINS0_14default_configELb0EPK6__halfPSL_PKlPlN2at6native12_GLOBAL__N_18offset_tEEE10hipError_tPvRmT1_PNSt15iterator_traitsISZ_E10value_typeET2_T3_PNS10_IS15_E10value_typeET4_jRbjT5_S1B_jjP12ihipStream_tbEUljE_EEESW_SX_SY_S15_S19_S1B_T6_T7_T9_mT8_S1D_bDpT10_ENKUlT_T0_E_clISt17integral_constantIbLb1EES1P_IbLb0EEEEDaS1L_S1M_EUlS1L_E_NS1_11comp_targetILNS1_3genE2ELNS1_11target_archE906ELNS1_3gpuE6ELNS1_3repE0EEENS1_30default_config_static_selectorELNS0_4arch9wavefront6targetE0EEEvSZ_,"axG",@progbits,_ZN7rocprim17ROCPRIM_400000_NS6detail17trampoline_kernelINS0_13select_configILj256ELj13ELNS0_17block_load_methodE3ELS4_3ELS4_3ELNS0_20block_scan_algorithmE0ELj4294967295EEENS1_25partition_config_selectorILNS1_17partition_subalgoE3EjNS0_10empty_typeEbEEZZNS1_14partition_implILS8_3ELb0ES6_jNS0_17counting_iteratorIjlEEPS9_SE_NS0_5tupleIJPjSE_EEENSF_IJSE_SE_EEES9_SG_JZNS1_25segmented_radix_sort_implINS0_14default_configELb0EPK6__halfPSL_PKlPlN2at6native12_GLOBAL__N_18offset_tEEE10hipError_tPvRmT1_PNSt15iterator_traitsISZ_E10value_typeET2_T3_PNS10_IS15_E10value_typeET4_jRbjT5_S1B_jjP12ihipStream_tbEUljE_EEESW_SX_SY_S15_S19_S1B_T6_T7_T9_mT8_S1D_bDpT10_ENKUlT_T0_E_clISt17integral_constantIbLb1EES1P_IbLb0EEEEDaS1L_S1M_EUlS1L_E_NS1_11comp_targetILNS1_3genE2ELNS1_11target_archE906ELNS1_3gpuE6ELNS1_3repE0EEENS1_30default_config_static_selectorELNS0_4arch9wavefront6targetE0EEEvSZ_,comdat
.Lfunc_end1820:
	.size	_ZN7rocprim17ROCPRIM_400000_NS6detail17trampoline_kernelINS0_13select_configILj256ELj13ELNS0_17block_load_methodE3ELS4_3ELS4_3ELNS0_20block_scan_algorithmE0ELj4294967295EEENS1_25partition_config_selectorILNS1_17partition_subalgoE3EjNS0_10empty_typeEbEEZZNS1_14partition_implILS8_3ELb0ES6_jNS0_17counting_iteratorIjlEEPS9_SE_NS0_5tupleIJPjSE_EEENSF_IJSE_SE_EEES9_SG_JZNS1_25segmented_radix_sort_implINS0_14default_configELb0EPK6__halfPSL_PKlPlN2at6native12_GLOBAL__N_18offset_tEEE10hipError_tPvRmT1_PNSt15iterator_traitsISZ_E10value_typeET2_T3_PNS10_IS15_E10value_typeET4_jRbjT5_S1B_jjP12ihipStream_tbEUljE_EEESW_SX_SY_S15_S19_S1B_T6_T7_T9_mT8_S1D_bDpT10_ENKUlT_T0_E_clISt17integral_constantIbLb1EES1P_IbLb0EEEEDaS1L_S1M_EUlS1L_E_NS1_11comp_targetILNS1_3genE2ELNS1_11target_archE906ELNS1_3gpuE6ELNS1_3repE0EEENS1_30default_config_static_selectorELNS0_4arch9wavefront6targetE0EEEvSZ_, .Lfunc_end1820-_ZN7rocprim17ROCPRIM_400000_NS6detail17trampoline_kernelINS0_13select_configILj256ELj13ELNS0_17block_load_methodE3ELS4_3ELS4_3ELNS0_20block_scan_algorithmE0ELj4294967295EEENS1_25partition_config_selectorILNS1_17partition_subalgoE3EjNS0_10empty_typeEbEEZZNS1_14partition_implILS8_3ELb0ES6_jNS0_17counting_iteratorIjlEEPS9_SE_NS0_5tupleIJPjSE_EEENSF_IJSE_SE_EEES9_SG_JZNS1_25segmented_radix_sort_implINS0_14default_configELb0EPK6__halfPSL_PKlPlN2at6native12_GLOBAL__N_18offset_tEEE10hipError_tPvRmT1_PNSt15iterator_traitsISZ_E10value_typeET2_T3_PNS10_IS15_E10value_typeET4_jRbjT5_S1B_jjP12ihipStream_tbEUljE_EEESW_SX_SY_S15_S19_S1B_T6_T7_T9_mT8_S1D_bDpT10_ENKUlT_T0_E_clISt17integral_constantIbLb1EES1P_IbLb0EEEEDaS1L_S1M_EUlS1L_E_NS1_11comp_targetILNS1_3genE2ELNS1_11target_archE906ELNS1_3gpuE6ELNS1_3repE0EEENS1_30default_config_static_selectorELNS0_4arch9wavefront6targetE0EEEvSZ_
                                        ; -- End function
	.set _ZN7rocprim17ROCPRIM_400000_NS6detail17trampoline_kernelINS0_13select_configILj256ELj13ELNS0_17block_load_methodE3ELS4_3ELS4_3ELNS0_20block_scan_algorithmE0ELj4294967295EEENS1_25partition_config_selectorILNS1_17partition_subalgoE3EjNS0_10empty_typeEbEEZZNS1_14partition_implILS8_3ELb0ES6_jNS0_17counting_iteratorIjlEEPS9_SE_NS0_5tupleIJPjSE_EEENSF_IJSE_SE_EEES9_SG_JZNS1_25segmented_radix_sort_implINS0_14default_configELb0EPK6__halfPSL_PKlPlN2at6native12_GLOBAL__N_18offset_tEEE10hipError_tPvRmT1_PNSt15iterator_traitsISZ_E10value_typeET2_T3_PNS10_IS15_E10value_typeET4_jRbjT5_S1B_jjP12ihipStream_tbEUljE_EEESW_SX_SY_S15_S19_S1B_T6_T7_T9_mT8_S1D_bDpT10_ENKUlT_T0_E_clISt17integral_constantIbLb1EES1P_IbLb0EEEEDaS1L_S1M_EUlS1L_E_NS1_11comp_targetILNS1_3genE2ELNS1_11target_archE906ELNS1_3gpuE6ELNS1_3repE0EEENS1_30default_config_static_selectorELNS0_4arch9wavefront6targetE0EEEvSZ_.num_vgpr, 0
	.set _ZN7rocprim17ROCPRIM_400000_NS6detail17trampoline_kernelINS0_13select_configILj256ELj13ELNS0_17block_load_methodE3ELS4_3ELS4_3ELNS0_20block_scan_algorithmE0ELj4294967295EEENS1_25partition_config_selectorILNS1_17partition_subalgoE3EjNS0_10empty_typeEbEEZZNS1_14partition_implILS8_3ELb0ES6_jNS0_17counting_iteratorIjlEEPS9_SE_NS0_5tupleIJPjSE_EEENSF_IJSE_SE_EEES9_SG_JZNS1_25segmented_radix_sort_implINS0_14default_configELb0EPK6__halfPSL_PKlPlN2at6native12_GLOBAL__N_18offset_tEEE10hipError_tPvRmT1_PNSt15iterator_traitsISZ_E10value_typeET2_T3_PNS10_IS15_E10value_typeET4_jRbjT5_S1B_jjP12ihipStream_tbEUljE_EEESW_SX_SY_S15_S19_S1B_T6_T7_T9_mT8_S1D_bDpT10_ENKUlT_T0_E_clISt17integral_constantIbLb1EES1P_IbLb0EEEEDaS1L_S1M_EUlS1L_E_NS1_11comp_targetILNS1_3genE2ELNS1_11target_archE906ELNS1_3gpuE6ELNS1_3repE0EEENS1_30default_config_static_selectorELNS0_4arch9wavefront6targetE0EEEvSZ_.num_agpr, 0
	.set _ZN7rocprim17ROCPRIM_400000_NS6detail17trampoline_kernelINS0_13select_configILj256ELj13ELNS0_17block_load_methodE3ELS4_3ELS4_3ELNS0_20block_scan_algorithmE0ELj4294967295EEENS1_25partition_config_selectorILNS1_17partition_subalgoE3EjNS0_10empty_typeEbEEZZNS1_14partition_implILS8_3ELb0ES6_jNS0_17counting_iteratorIjlEEPS9_SE_NS0_5tupleIJPjSE_EEENSF_IJSE_SE_EEES9_SG_JZNS1_25segmented_radix_sort_implINS0_14default_configELb0EPK6__halfPSL_PKlPlN2at6native12_GLOBAL__N_18offset_tEEE10hipError_tPvRmT1_PNSt15iterator_traitsISZ_E10value_typeET2_T3_PNS10_IS15_E10value_typeET4_jRbjT5_S1B_jjP12ihipStream_tbEUljE_EEESW_SX_SY_S15_S19_S1B_T6_T7_T9_mT8_S1D_bDpT10_ENKUlT_T0_E_clISt17integral_constantIbLb1EES1P_IbLb0EEEEDaS1L_S1M_EUlS1L_E_NS1_11comp_targetILNS1_3genE2ELNS1_11target_archE906ELNS1_3gpuE6ELNS1_3repE0EEENS1_30default_config_static_selectorELNS0_4arch9wavefront6targetE0EEEvSZ_.numbered_sgpr, 0
	.set _ZN7rocprim17ROCPRIM_400000_NS6detail17trampoline_kernelINS0_13select_configILj256ELj13ELNS0_17block_load_methodE3ELS4_3ELS4_3ELNS0_20block_scan_algorithmE0ELj4294967295EEENS1_25partition_config_selectorILNS1_17partition_subalgoE3EjNS0_10empty_typeEbEEZZNS1_14partition_implILS8_3ELb0ES6_jNS0_17counting_iteratorIjlEEPS9_SE_NS0_5tupleIJPjSE_EEENSF_IJSE_SE_EEES9_SG_JZNS1_25segmented_radix_sort_implINS0_14default_configELb0EPK6__halfPSL_PKlPlN2at6native12_GLOBAL__N_18offset_tEEE10hipError_tPvRmT1_PNSt15iterator_traitsISZ_E10value_typeET2_T3_PNS10_IS15_E10value_typeET4_jRbjT5_S1B_jjP12ihipStream_tbEUljE_EEESW_SX_SY_S15_S19_S1B_T6_T7_T9_mT8_S1D_bDpT10_ENKUlT_T0_E_clISt17integral_constantIbLb1EES1P_IbLb0EEEEDaS1L_S1M_EUlS1L_E_NS1_11comp_targetILNS1_3genE2ELNS1_11target_archE906ELNS1_3gpuE6ELNS1_3repE0EEENS1_30default_config_static_selectorELNS0_4arch9wavefront6targetE0EEEvSZ_.num_named_barrier, 0
	.set _ZN7rocprim17ROCPRIM_400000_NS6detail17trampoline_kernelINS0_13select_configILj256ELj13ELNS0_17block_load_methodE3ELS4_3ELS4_3ELNS0_20block_scan_algorithmE0ELj4294967295EEENS1_25partition_config_selectorILNS1_17partition_subalgoE3EjNS0_10empty_typeEbEEZZNS1_14partition_implILS8_3ELb0ES6_jNS0_17counting_iteratorIjlEEPS9_SE_NS0_5tupleIJPjSE_EEENSF_IJSE_SE_EEES9_SG_JZNS1_25segmented_radix_sort_implINS0_14default_configELb0EPK6__halfPSL_PKlPlN2at6native12_GLOBAL__N_18offset_tEEE10hipError_tPvRmT1_PNSt15iterator_traitsISZ_E10value_typeET2_T3_PNS10_IS15_E10value_typeET4_jRbjT5_S1B_jjP12ihipStream_tbEUljE_EEESW_SX_SY_S15_S19_S1B_T6_T7_T9_mT8_S1D_bDpT10_ENKUlT_T0_E_clISt17integral_constantIbLb1EES1P_IbLb0EEEEDaS1L_S1M_EUlS1L_E_NS1_11comp_targetILNS1_3genE2ELNS1_11target_archE906ELNS1_3gpuE6ELNS1_3repE0EEENS1_30default_config_static_selectorELNS0_4arch9wavefront6targetE0EEEvSZ_.private_seg_size, 0
	.set _ZN7rocprim17ROCPRIM_400000_NS6detail17trampoline_kernelINS0_13select_configILj256ELj13ELNS0_17block_load_methodE3ELS4_3ELS4_3ELNS0_20block_scan_algorithmE0ELj4294967295EEENS1_25partition_config_selectorILNS1_17partition_subalgoE3EjNS0_10empty_typeEbEEZZNS1_14partition_implILS8_3ELb0ES6_jNS0_17counting_iteratorIjlEEPS9_SE_NS0_5tupleIJPjSE_EEENSF_IJSE_SE_EEES9_SG_JZNS1_25segmented_radix_sort_implINS0_14default_configELb0EPK6__halfPSL_PKlPlN2at6native12_GLOBAL__N_18offset_tEEE10hipError_tPvRmT1_PNSt15iterator_traitsISZ_E10value_typeET2_T3_PNS10_IS15_E10value_typeET4_jRbjT5_S1B_jjP12ihipStream_tbEUljE_EEESW_SX_SY_S15_S19_S1B_T6_T7_T9_mT8_S1D_bDpT10_ENKUlT_T0_E_clISt17integral_constantIbLb1EES1P_IbLb0EEEEDaS1L_S1M_EUlS1L_E_NS1_11comp_targetILNS1_3genE2ELNS1_11target_archE906ELNS1_3gpuE6ELNS1_3repE0EEENS1_30default_config_static_selectorELNS0_4arch9wavefront6targetE0EEEvSZ_.uses_vcc, 0
	.set _ZN7rocprim17ROCPRIM_400000_NS6detail17trampoline_kernelINS0_13select_configILj256ELj13ELNS0_17block_load_methodE3ELS4_3ELS4_3ELNS0_20block_scan_algorithmE0ELj4294967295EEENS1_25partition_config_selectorILNS1_17partition_subalgoE3EjNS0_10empty_typeEbEEZZNS1_14partition_implILS8_3ELb0ES6_jNS0_17counting_iteratorIjlEEPS9_SE_NS0_5tupleIJPjSE_EEENSF_IJSE_SE_EEES9_SG_JZNS1_25segmented_radix_sort_implINS0_14default_configELb0EPK6__halfPSL_PKlPlN2at6native12_GLOBAL__N_18offset_tEEE10hipError_tPvRmT1_PNSt15iterator_traitsISZ_E10value_typeET2_T3_PNS10_IS15_E10value_typeET4_jRbjT5_S1B_jjP12ihipStream_tbEUljE_EEESW_SX_SY_S15_S19_S1B_T6_T7_T9_mT8_S1D_bDpT10_ENKUlT_T0_E_clISt17integral_constantIbLb1EES1P_IbLb0EEEEDaS1L_S1M_EUlS1L_E_NS1_11comp_targetILNS1_3genE2ELNS1_11target_archE906ELNS1_3gpuE6ELNS1_3repE0EEENS1_30default_config_static_selectorELNS0_4arch9wavefront6targetE0EEEvSZ_.uses_flat_scratch, 0
	.set _ZN7rocprim17ROCPRIM_400000_NS6detail17trampoline_kernelINS0_13select_configILj256ELj13ELNS0_17block_load_methodE3ELS4_3ELS4_3ELNS0_20block_scan_algorithmE0ELj4294967295EEENS1_25partition_config_selectorILNS1_17partition_subalgoE3EjNS0_10empty_typeEbEEZZNS1_14partition_implILS8_3ELb0ES6_jNS0_17counting_iteratorIjlEEPS9_SE_NS0_5tupleIJPjSE_EEENSF_IJSE_SE_EEES9_SG_JZNS1_25segmented_radix_sort_implINS0_14default_configELb0EPK6__halfPSL_PKlPlN2at6native12_GLOBAL__N_18offset_tEEE10hipError_tPvRmT1_PNSt15iterator_traitsISZ_E10value_typeET2_T3_PNS10_IS15_E10value_typeET4_jRbjT5_S1B_jjP12ihipStream_tbEUljE_EEESW_SX_SY_S15_S19_S1B_T6_T7_T9_mT8_S1D_bDpT10_ENKUlT_T0_E_clISt17integral_constantIbLb1EES1P_IbLb0EEEEDaS1L_S1M_EUlS1L_E_NS1_11comp_targetILNS1_3genE2ELNS1_11target_archE906ELNS1_3gpuE6ELNS1_3repE0EEENS1_30default_config_static_selectorELNS0_4arch9wavefront6targetE0EEEvSZ_.has_dyn_sized_stack, 0
	.set _ZN7rocprim17ROCPRIM_400000_NS6detail17trampoline_kernelINS0_13select_configILj256ELj13ELNS0_17block_load_methodE3ELS4_3ELS4_3ELNS0_20block_scan_algorithmE0ELj4294967295EEENS1_25partition_config_selectorILNS1_17partition_subalgoE3EjNS0_10empty_typeEbEEZZNS1_14partition_implILS8_3ELb0ES6_jNS0_17counting_iteratorIjlEEPS9_SE_NS0_5tupleIJPjSE_EEENSF_IJSE_SE_EEES9_SG_JZNS1_25segmented_radix_sort_implINS0_14default_configELb0EPK6__halfPSL_PKlPlN2at6native12_GLOBAL__N_18offset_tEEE10hipError_tPvRmT1_PNSt15iterator_traitsISZ_E10value_typeET2_T3_PNS10_IS15_E10value_typeET4_jRbjT5_S1B_jjP12ihipStream_tbEUljE_EEESW_SX_SY_S15_S19_S1B_T6_T7_T9_mT8_S1D_bDpT10_ENKUlT_T0_E_clISt17integral_constantIbLb1EES1P_IbLb0EEEEDaS1L_S1M_EUlS1L_E_NS1_11comp_targetILNS1_3genE2ELNS1_11target_archE906ELNS1_3gpuE6ELNS1_3repE0EEENS1_30default_config_static_selectorELNS0_4arch9wavefront6targetE0EEEvSZ_.has_recursion, 0
	.set _ZN7rocprim17ROCPRIM_400000_NS6detail17trampoline_kernelINS0_13select_configILj256ELj13ELNS0_17block_load_methodE3ELS4_3ELS4_3ELNS0_20block_scan_algorithmE0ELj4294967295EEENS1_25partition_config_selectorILNS1_17partition_subalgoE3EjNS0_10empty_typeEbEEZZNS1_14partition_implILS8_3ELb0ES6_jNS0_17counting_iteratorIjlEEPS9_SE_NS0_5tupleIJPjSE_EEENSF_IJSE_SE_EEES9_SG_JZNS1_25segmented_radix_sort_implINS0_14default_configELb0EPK6__halfPSL_PKlPlN2at6native12_GLOBAL__N_18offset_tEEE10hipError_tPvRmT1_PNSt15iterator_traitsISZ_E10value_typeET2_T3_PNS10_IS15_E10value_typeET4_jRbjT5_S1B_jjP12ihipStream_tbEUljE_EEESW_SX_SY_S15_S19_S1B_T6_T7_T9_mT8_S1D_bDpT10_ENKUlT_T0_E_clISt17integral_constantIbLb1EES1P_IbLb0EEEEDaS1L_S1M_EUlS1L_E_NS1_11comp_targetILNS1_3genE2ELNS1_11target_archE906ELNS1_3gpuE6ELNS1_3repE0EEENS1_30default_config_static_selectorELNS0_4arch9wavefront6targetE0EEEvSZ_.has_indirect_call, 0
	.section	.AMDGPU.csdata,"",@progbits
; Kernel info:
; codeLenInByte = 0
; TotalNumSgprs: 0
; NumVgprs: 0
; ScratchSize: 0
; MemoryBound: 0
; FloatMode: 240
; IeeeMode: 1
; LDSByteSize: 0 bytes/workgroup (compile time only)
; SGPRBlocks: 0
; VGPRBlocks: 0
; NumSGPRsForWavesPerEU: 1
; NumVGPRsForWavesPerEU: 1
; NamedBarCnt: 0
; Occupancy: 16
; WaveLimiterHint : 0
; COMPUTE_PGM_RSRC2:SCRATCH_EN: 0
; COMPUTE_PGM_RSRC2:USER_SGPR: 2
; COMPUTE_PGM_RSRC2:TRAP_HANDLER: 0
; COMPUTE_PGM_RSRC2:TGID_X_EN: 1
; COMPUTE_PGM_RSRC2:TGID_Y_EN: 0
; COMPUTE_PGM_RSRC2:TGID_Z_EN: 0
; COMPUTE_PGM_RSRC2:TIDIG_COMP_CNT: 0
	.section	.text._ZN7rocprim17ROCPRIM_400000_NS6detail17trampoline_kernelINS0_13select_configILj256ELj13ELNS0_17block_load_methodE3ELS4_3ELS4_3ELNS0_20block_scan_algorithmE0ELj4294967295EEENS1_25partition_config_selectorILNS1_17partition_subalgoE3EjNS0_10empty_typeEbEEZZNS1_14partition_implILS8_3ELb0ES6_jNS0_17counting_iteratorIjlEEPS9_SE_NS0_5tupleIJPjSE_EEENSF_IJSE_SE_EEES9_SG_JZNS1_25segmented_radix_sort_implINS0_14default_configELb0EPK6__halfPSL_PKlPlN2at6native12_GLOBAL__N_18offset_tEEE10hipError_tPvRmT1_PNSt15iterator_traitsISZ_E10value_typeET2_T3_PNS10_IS15_E10value_typeET4_jRbjT5_S1B_jjP12ihipStream_tbEUljE_EEESW_SX_SY_S15_S19_S1B_T6_T7_T9_mT8_S1D_bDpT10_ENKUlT_T0_E_clISt17integral_constantIbLb1EES1P_IbLb0EEEEDaS1L_S1M_EUlS1L_E_NS1_11comp_targetILNS1_3genE10ELNS1_11target_archE1200ELNS1_3gpuE4ELNS1_3repE0EEENS1_30default_config_static_selectorELNS0_4arch9wavefront6targetE0EEEvSZ_,"axG",@progbits,_ZN7rocprim17ROCPRIM_400000_NS6detail17trampoline_kernelINS0_13select_configILj256ELj13ELNS0_17block_load_methodE3ELS4_3ELS4_3ELNS0_20block_scan_algorithmE0ELj4294967295EEENS1_25partition_config_selectorILNS1_17partition_subalgoE3EjNS0_10empty_typeEbEEZZNS1_14partition_implILS8_3ELb0ES6_jNS0_17counting_iteratorIjlEEPS9_SE_NS0_5tupleIJPjSE_EEENSF_IJSE_SE_EEES9_SG_JZNS1_25segmented_radix_sort_implINS0_14default_configELb0EPK6__halfPSL_PKlPlN2at6native12_GLOBAL__N_18offset_tEEE10hipError_tPvRmT1_PNSt15iterator_traitsISZ_E10value_typeET2_T3_PNS10_IS15_E10value_typeET4_jRbjT5_S1B_jjP12ihipStream_tbEUljE_EEESW_SX_SY_S15_S19_S1B_T6_T7_T9_mT8_S1D_bDpT10_ENKUlT_T0_E_clISt17integral_constantIbLb1EES1P_IbLb0EEEEDaS1L_S1M_EUlS1L_E_NS1_11comp_targetILNS1_3genE10ELNS1_11target_archE1200ELNS1_3gpuE4ELNS1_3repE0EEENS1_30default_config_static_selectorELNS0_4arch9wavefront6targetE0EEEvSZ_,comdat
	.globl	_ZN7rocprim17ROCPRIM_400000_NS6detail17trampoline_kernelINS0_13select_configILj256ELj13ELNS0_17block_load_methodE3ELS4_3ELS4_3ELNS0_20block_scan_algorithmE0ELj4294967295EEENS1_25partition_config_selectorILNS1_17partition_subalgoE3EjNS0_10empty_typeEbEEZZNS1_14partition_implILS8_3ELb0ES6_jNS0_17counting_iteratorIjlEEPS9_SE_NS0_5tupleIJPjSE_EEENSF_IJSE_SE_EEES9_SG_JZNS1_25segmented_radix_sort_implINS0_14default_configELb0EPK6__halfPSL_PKlPlN2at6native12_GLOBAL__N_18offset_tEEE10hipError_tPvRmT1_PNSt15iterator_traitsISZ_E10value_typeET2_T3_PNS10_IS15_E10value_typeET4_jRbjT5_S1B_jjP12ihipStream_tbEUljE_EEESW_SX_SY_S15_S19_S1B_T6_T7_T9_mT8_S1D_bDpT10_ENKUlT_T0_E_clISt17integral_constantIbLb1EES1P_IbLb0EEEEDaS1L_S1M_EUlS1L_E_NS1_11comp_targetILNS1_3genE10ELNS1_11target_archE1200ELNS1_3gpuE4ELNS1_3repE0EEENS1_30default_config_static_selectorELNS0_4arch9wavefront6targetE0EEEvSZ_ ; -- Begin function _ZN7rocprim17ROCPRIM_400000_NS6detail17trampoline_kernelINS0_13select_configILj256ELj13ELNS0_17block_load_methodE3ELS4_3ELS4_3ELNS0_20block_scan_algorithmE0ELj4294967295EEENS1_25partition_config_selectorILNS1_17partition_subalgoE3EjNS0_10empty_typeEbEEZZNS1_14partition_implILS8_3ELb0ES6_jNS0_17counting_iteratorIjlEEPS9_SE_NS0_5tupleIJPjSE_EEENSF_IJSE_SE_EEES9_SG_JZNS1_25segmented_radix_sort_implINS0_14default_configELb0EPK6__halfPSL_PKlPlN2at6native12_GLOBAL__N_18offset_tEEE10hipError_tPvRmT1_PNSt15iterator_traitsISZ_E10value_typeET2_T3_PNS10_IS15_E10value_typeET4_jRbjT5_S1B_jjP12ihipStream_tbEUljE_EEESW_SX_SY_S15_S19_S1B_T6_T7_T9_mT8_S1D_bDpT10_ENKUlT_T0_E_clISt17integral_constantIbLb1EES1P_IbLb0EEEEDaS1L_S1M_EUlS1L_E_NS1_11comp_targetILNS1_3genE10ELNS1_11target_archE1200ELNS1_3gpuE4ELNS1_3repE0EEENS1_30default_config_static_selectorELNS0_4arch9wavefront6targetE0EEEvSZ_
	.p2align	8
	.type	_ZN7rocprim17ROCPRIM_400000_NS6detail17trampoline_kernelINS0_13select_configILj256ELj13ELNS0_17block_load_methodE3ELS4_3ELS4_3ELNS0_20block_scan_algorithmE0ELj4294967295EEENS1_25partition_config_selectorILNS1_17partition_subalgoE3EjNS0_10empty_typeEbEEZZNS1_14partition_implILS8_3ELb0ES6_jNS0_17counting_iteratorIjlEEPS9_SE_NS0_5tupleIJPjSE_EEENSF_IJSE_SE_EEES9_SG_JZNS1_25segmented_radix_sort_implINS0_14default_configELb0EPK6__halfPSL_PKlPlN2at6native12_GLOBAL__N_18offset_tEEE10hipError_tPvRmT1_PNSt15iterator_traitsISZ_E10value_typeET2_T3_PNS10_IS15_E10value_typeET4_jRbjT5_S1B_jjP12ihipStream_tbEUljE_EEESW_SX_SY_S15_S19_S1B_T6_T7_T9_mT8_S1D_bDpT10_ENKUlT_T0_E_clISt17integral_constantIbLb1EES1P_IbLb0EEEEDaS1L_S1M_EUlS1L_E_NS1_11comp_targetILNS1_3genE10ELNS1_11target_archE1200ELNS1_3gpuE4ELNS1_3repE0EEENS1_30default_config_static_selectorELNS0_4arch9wavefront6targetE0EEEvSZ_,@function
_ZN7rocprim17ROCPRIM_400000_NS6detail17trampoline_kernelINS0_13select_configILj256ELj13ELNS0_17block_load_methodE3ELS4_3ELS4_3ELNS0_20block_scan_algorithmE0ELj4294967295EEENS1_25partition_config_selectorILNS1_17partition_subalgoE3EjNS0_10empty_typeEbEEZZNS1_14partition_implILS8_3ELb0ES6_jNS0_17counting_iteratorIjlEEPS9_SE_NS0_5tupleIJPjSE_EEENSF_IJSE_SE_EEES9_SG_JZNS1_25segmented_radix_sort_implINS0_14default_configELb0EPK6__halfPSL_PKlPlN2at6native12_GLOBAL__N_18offset_tEEE10hipError_tPvRmT1_PNSt15iterator_traitsISZ_E10value_typeET2_T3_PNS10_IS15_E10value_typeET4_jRbjT5_S1B_jjP12ihipStream_tbEUljE_EEESW_SX_SY_S15_S19_S1B_T6_T7_T9_mT8_S1D_bDpT10_ENKUlT_T0_E_clISt17integral_constantIbLb1EES1P_IbLb0EEEEDaS1L_S1M_EUlS1L_E_NS1_11comp_targetILNS1_3genE10ELNS1_11target_archE1200ELNS1_3gpuE4ELNS1_3repE0EEENS1_30default_config_static_selectorELNS0_4arch9wavefront6targetE0EEEvSZ_: ; @_ZN7rocprim17ROCPRIM_400000_NS6detail17trampoline_kernelINS0_13select_configILj256ELj13ELNS0_17block_load_methodE3ELS4_3ELS4_3ELNS0_20block_scan_algorithmE0ELj4294967295EEENS1_25partition_config_selectorILNS1_17partition_subalgoE3EjNS0_10empty_typeEbEEZZNS1_14partition_implILS8_3ELb0ES6_jNS0_17counting_iteratorIjlEEPS9_SE_NS0_5tupleIJPjSE_EEENSF_IJSE_SE_EEES9_SG_JZNS1_25segmented_radix_sort_implINS0_14default_configELb0EPK6__halfPSL_PKlPlN2at6native12_GLOBAL__N_18offset_tEEE10hipError_tPvRmT1_PNSt15iterator_traitsISZ_E10value_typeET2_T3_PNS10_IS15_E10value_typeET4_jRbjT5_S1B_jjP12ihipStream_tbEUljE_EEESW_SX_SY_S15_S19_S1B_T6_T7_T9_mT8_S1D_bDpT10_ENKUlT_T0_E_clISt17integral_constantIbLb1EES1P_IbLb0EEEEDaS1L_S1M_EUlS1L_E_NS1_11comp_targetILNS1_3genE10ELNS1_11target_archE1200ELNS1_3gpuE4ELNS1_3repE0EEENS1_30default_config_static_selectorELNS0_4arch9wavefront6targetE0EEEvSZ_
; %bb.0:
	.section	.rodata,"a",@progbits
	.p2align	6, 0x0
	.amdhsa_kernel _ZN7rocprim17ROCPRIM_400000_NS6detail17trampoline_kernelINS0_13select_configILj256ELj13ELNS0_17block_load_methodE3ELS4_3ELS4_3ELNS0_20block_scan_algorithmE0ELj4294967295EEENS1_25partition_config_selectorILNS1_17partition_subalgoE3EjNS0_10empty_typeEbEEZZNS1_14partition_implILS8_3ELb0ES6_jNS0_17counting_iteratorIjlEEPS9_SE_NS0_5tupleIJPjSE_EEENSF_IJSE_SE_EEES9_SG_JZNS1_25segmented_radix_sort_implINS0_14default_configELb0EPK6__halfPSL_PKlPlN2at6native12_GLOBAL__N_18offset_tEEE10hipError_tPvRmT1_PNSt15iterator_traitsISZ_E10value_typeET2_T3_PNS10_IS15_E10value_typeET4_jRbjT5_S1B_jjP12ihipStream_tbEUljE_EEESW_SX_SY_S15_S19_S1B_T6_T7_T9_mT8_S1D_bDpT10_ENKUlT_T0_E_clISt17integral_constantIbLb1EES1P_IbLb0EEEEDaS1L_S1M_EUlS1L_E_NS1_11comp_targetILNS1_3genE10ELNS1_11target_archE1200ELNS1_3gpuE4ELNS1_3repE0EEENS1_30default_config_static_selectorELNS0_4arch9wavefront6targetE0EEEvSZ_
		.amdhsa_group_segment_fixed_size 0
		.amdhsa_private_segment_fixed_size 0
		.amdhsa_kernarg_size 144
		.amdhsa_user_sgpr_count 2
		.amdhsa_user_sgpr_dispatch_ptr 0
		.amdhsa_user_sgpr_queue_ptr 0
		.amdhsa_user_sgpr_kernarg_segment_ptr 1
		.amdhsa_user_sgpr_dispatch_id 0
		.amdhsa_user_sgpr_kernarg_preload_length 0
		.amdhsa_user_sgpr_kernarg_preload_offset 0
		.amdhsa_user_sgpr_private_segment_size 0
		.amdhsa_wavefront_size32 1
		.amdhsa_uses_dynamic_stack 0
		.amdhsa_enable_private_segment 0
		.amdhsa_system_sgpr_workgroup_id_x 1
		.amdhsa_system_sgpr_workgroup_id_y 0
		.amdhsa_system_sgpr_workgroup_id_z 0
		.amdhsa_system_sgpr_workgroup_info 0
		.amdhsa_system_vgpr_workitem_id 0
		.amdhsa_next_free_vgpr 1
		.amdhsa_next_free_sgpr 1
		.amdhsa_named_barrier_count 0
		.amdhsa_reserve_vcc 0
		.amdhsa_float_round_mode_32 0
		.amdhsa_float_round_mode_16_64 0
		.amdhsa_float_denorm_mode_32 3
		.amdhsa_float_denorm_mode_16_64 3
		.amdhsa_fp16_overflow 0
		.amdhsa_memory_ordered 1
		.amdhsa_forward_progress 1
		.amdhsa_inst_pref_size 0
		.amdhsa_round_robin_scheduling 0
		.amdhsa_exception_fp_ieee_invalid_op 0
		.amdhsa_exception_fp_denorm_src 0
		.amdhsa_exception_fp_ieee_div_zero 0
		.amdhsa_exception_fp_ieee_overflow 0
		.amdhsa_exception_fp_ieee_underflow 0
		.amdhsa_exception_fp_ieee_inexact 0
		.amdhsa_exception_int_div_zero 0
	.end_amdhsa_kernel
	.section	.text._ZN7rocprim17ROCPRIM_400000_NS6detail17trampoline_kernelINS0_13select_configILj256ELj13ELNS0_17block_load_methodE3ELS4_3ELS4_3ELNS0_20block_scan_algorithmE0ELj4294967295EEENS1_25partition_config_selectorILNS1_17partition_subalgoE3EjNS0_10empty_typeEbEEZZNS1_14partition_implILS8_3ELb0ES6_jNS0_17counting_iteratorIjlEEPS9_SE_NS0_5tupleIJPjSE_EEENSF_IJSE_SE_EEES9_SG_JZNS1_25segmented_radix_sort_implINS0_14default_configELb0EPK6__halfPSL_PKlPlN2at6native12_GLOBAL__N_18offset_tEEE10hipError_tPvRmT1_PNSt15iterator_traitsISZ_E10value_typeET2_T3_PNS10_IS15_E10value_typeET4_jRbjT5_S1B_jjP12ihipStream_tbEUljE_EEESW_SX_SY_S15_S19_S1B_T6_T7_T9_mT8_S1D_bDpT10_ENKUlT_T0_E_clISt17integral_constantIbLb1EES1P_IbLb0EEEEDaS1L_S1M_EUlS1L_E_NS1_11comp_targetILNS1_3genE10ELNS1_11target_archE1200ELNS1_3gpuE4ELNS1_3repE0EEENS1_30default_config_static_selectorELNS0_4arch9wavefront6targetE0EEEvSZ_,"axG",@progbits,_ZN7rocprim17ROCPRIM_400000_NS6detail17trampoline_kernelINS0_13select_configILj256ELj13ELNS0_17block_load_methodE3ELS4_3ELS4_3ELNS0_20block_scan_algorithmE0ELj4294967295EEENS1_25partition_config_selectorILNS1_17partition_subalgoE3EjNS0_10empty_typeEbEEZZNS1_14partition_implILS8_3ELb0ES6_jNS0_17counting_iteratorIjlEEPS9_SE_NS0_5tupleIJPjSE_EEENSF_IJSE_SE_EEES9_SG_JZNS1_25segmented_radix_sort_implINS0_14default_configELb0EPK6__halfPSL_PKlPlN2at6native12_GLOBAL__N_18offset_tEEE10hipError_tPvRmT1_PNSt15iterator_traitsISZ_E10value_typeET2_T3_PNS10_IS15_E10value_typeET4_jRbjT5_S1B_jjP12ihipStream_tbEUljE_EEESW_SX_SY_S15_S19_S1B_T6_T7_T9_mT8_S1D_bDpT10_ENKUlT_T0_E_clISt17integral_constantIbLb1EES1P_IbLb0EEEEDaS1L_S1M_EUlS1L_E_NS1_11comp_targetILNS1_3genE10ELNS1_11target_archE1200ELNS1_3gpuE4ELNS1_3repE0EEENS1_30default_config_static_selectorELNS0_4arch9wavefront6targetE0EEEvSZ_,comdat
.Lfunc_end1821:
	.size	_ZN7rocprim17ROCPRIM_400000_NS6detail17trampoline_kernelINS0_13select_configILj256ELj13ELNS0_17block_load_methodE3ELS4_3ELS4_3ELNS0_20block_scan_algorithmE0ELj4294967295EEENS1_25partition_config_selectorILNS1_17partition_subalgoE3EjNS0_10empty_typeEbEEZZNS1_14partition_implILS8_3ELb0ES6_jNS0_17counting_iteratorIjlEEPS9_SE_NS0_5tupleIJPjSE_EEENSF_IJSE_SE_EEES9_SG_JZNS1_25segmented_radix_sort_implINS0_14default_configELb0EPK6__halfPSL_PKlPlN2at6native12_GLOBAL__N_18offset_tEEE10hipError_tPvRmT1_PNSt15iterator_traitsISZ_E10value_typeET2_T3_PNS10_IS15_E10value_typeET4_jRbjT5_S1B_jjP12ihipStream_tbEUljE_EEESW_SX_SY_S15_S19_S1B_T6_T7_T9_mT8_S1D_bDpT10_ENKUlT_T0_E_clISt17integral_constantIbLb1EES1P_IbLb0EEEEDaS1L_S1M_EUlS1L_E_NS1_11comp_targetILNS1_3genE10ELNS1_11target_archE1200ELNS1_3gpuE4ELNS1_3repE0EEENS1_30default_config_static_selectorELNS0_4arch9wavefront6targetE0EEEvSZ_, .Lfunc_end1821-_ZN7rocprim17ROCPRIM_400000_NS6detail17trampoline_kernelINS0_13select_configILj256ELj13ELNS0_17block_load_methodE3ELS4_3ELS4_3ELNS0_20block_scan_algorithmE0ELj4294967295EEENS1_25partition_config_selectorILNS1_17partition_subalgoE3EjNS0_10empty_typeEbEEZZNS1_14partition_implILS8_3ELb0ES6_jNS0_17counting_iteratorIjlEEPS9_SE_NS0_5tupleIJPjSE_EEENSF_IJSE_SE_EEES9_SG_JZNS1_25segmented_radix_sort_implINS0_14default_configELb0EPK6__halfPSL_PKlPlN2at6native12_GLOBAL__N_18offset_tEEE10hipError_tPvRmT1_PNSt15iterator_traitsISZ_E10value_typeET2_T3_PNS10_IS15_E10value_typeET4_jRbjT5_S1B_jjP12ihipStream_tbEUljE_EEESW_SX_SY_S15_S19_S1B_T6_T7_T9_mT8_S1D_bDpT10_ENKUlT_T0_E_clISt17integral_constantIbLb1EES1P_IbLb0EEEEDaS1L_S1M_EUlS1L_E_NS1_11comp_targetILNS1_3genE10ELNS1_11target_archE1200ELNS1_3gpuE4ELNS1_3repE0EEENS1_30default_config_static_selectorELNS0_4arch9wavefront6targetE0EEEvSZ_
                                        ; -- End function
	.set _ZN7rocprim17ROCPRIM_400000_NS6detail17trampoline_kernelINS0_13select_configILj256ELj13ELNS0_17block_load_methodE3ELS4_3ELS4_3ELNS0_20block_scan_algorithmE0ELj4294967295EEENS1_25partition_config_selectorILNS1_17partition_subalgoE3EjNS0_10empty_typeEbEEZZNS1_14partition_implILS8_3ELb0ES6_jNS0_17counting_iteratorIjlEEPS9_SE_NS0_5tupleIJPjSE_EEENSF_IJSE_SE_EEES9_SG_JZNS1_25segmented_radix_sort_implINS0_14default_configELb0EPK6__halfPSL_PKlPlN2at6native12_GLOBAL__N_18offset_tEEE10hipError_tPvRmT1_PNSt15iterator_traitsISZ_E10value_typeET2_T3_PNS10_IS15_E10value_typeET4_jRbjT5_S1B_jjP12ihipStream_tbEUljE_EEESW_SX_SY_S15_S19_S1B_T6_T7_T9_mT8_S1D_bDpT10_ENKUlT_T0_E_clISt17integral_constantIbLb1EES1P_IbLb0EEEEDaS1L_S1M_EUlS1L_E_NS1_11comp_targetILNS1_3genE10ELNS1_11target_archE1200ELNS1_3gpuE4ELNS1_3repE0EEENS1_30default_config_static_selectorELNS0_4arch9wavefront6targetE0EEEvSZ_.num_vgpr, 0
	.set _ZN7rocprim17ROCPRIM_400000_NS6detail17trampoline_kernelINS0_13select_configILj256ELj13ELNS0_17block_load_methodE3ELS4_3ELS4_3ELNS0_20block_scan_algorithmE0ELj4294967295EEENS1_25partition_config_selectorILNS1_17partition_subalgoE3EjNS0_10empty_typeEbEEZZNS1_14partition_implILS8_3ELb0ES6_jNS0_17counting_iteratorIjlEEPS9_SE_NS0_5tupleIJPjSE_EEENSF_IJSE_SE_EEES9_SG_JZNS1_25segmented_radix_sort_implINS0_14default_configELb0EPK6__halfPSL_PKlPlN2at6native12_GLOBAL__N_18offset_tEEE10hipError_tPvRmT1_PNSt15iterator_traitsISZ_E10value_typeET2_T3_PNS10_IS15_E10value_typeET4_jRbjT5_S1B_jjP12ihipStream_tbEUljE_EEESW_SX_SY_S15_S19_S1B_T6_T7_T9_mT8_S1D_bDpT10_ENKUlT_T0_E_clISt17integral_constantIbLb1EES1P_IbLb0EEEEDaS1L_S1M_EUlS1L_E_NS1_11comp_targetILNS1_3genE10ELNS1_11target_archE1200ELNS1_3gpuE4ELNS1_3repE0EEENS1_30default_config_static_selectorELNS0_4arch9wavefront6targetE0EEEvSZ_.num_agpr, 0
	.set _ZN7rocprim17ROCPRIM_400000_NS6detail17trampoline_kernelINS0_13select_configILj256ELj13ELNS0_17block_load_methodE3ELS4_3ELS4_3ELNS0_20block_scan_algorithmE0ELj4294967295EEENS1_25partition_config_selectorILNS1_17partition_subalgoE3EjNS0_10empty_typeEbEEZZNS1_14partition_implILS8_3ELb0ES6_jNS0_17counting_iteratorIjlEEPS9_SE_NS0_5tupleIJPjSE_EEENSF_IJSE_SE_EEES9_SG_JZNS1_25segmented_radix_sort_implINS0_14default_configELb0EPK6__halfPSL_PKlPlN2at6native12_GLOBAL__N_18offset_tEEE10hipError_tPvRmT1_PNSt15iterator_traitsISZ_E10value_typeET2_T3_PNS10_IS15_E10value_typeET4_jRbjT5_S1B_jjP12ihipStream_tbEUljE_EEESW_SX_SY_S15_S19_S1B_T6_T7_T9_mT8_S1D_bDpT10_ENKUlT_T0_E_clISt17integral_constantIbLb1EES1P_IbLb0EEEEDaS1L_S1M_EUlS1L_E_NS1_11comp_targetILNS1_3genE10ELNS1_11target_archE1200ELNS1_3gpuE4ELNS1_3repE0EEENS1_30default_config_static_selectorELNS0_4arch9wavefront6targetE0EEEvSZ_.numbered_sgpr, 0
	.set _ZN7rocprim17ROCPRIM_400000_NS6detail17trampoline_kernelINS0_13select_configILj256ELj13ELNS0_17block_load_methodE3ELS4_3ELS4_3ELNS0_20block_scan_algorithmE0ELj4294967295EEENS1_25partition_config_selectorILNS1_17partition_subalgoE3EjNS0_10empty_typeEbEEZZNS1_14partition_implILS8_3ELb0ES6_jNS0_17counting_iteratorIjlEEPS9_SE_NS0_5tupleIJPjSE_EEENSF_IJSE_SE_EEES9_SG_JZNS1_25segmented_radix_sort_implINS0_14default_configELb0EPK6__halfPSL_PKlPlN2at6native12_GLOBAL__N_18offset_tEEE10hipError_tPvRmT1_PNSt15iterator_traitsISZ_E10value_typeET2_T3_PNS10_IS15_E10value_typeET4_jRbjT5_S1B_jjP12ihipStream_tbEUljE_EEESW_SX_SY_S15_S19_S1B_T6_T7_T9_mT8_S1D_bDpT10_ENKUlT_T0_E_clISt17integral_constantIbLb1EES1P_IbLb0EEEEDaS1L_S1M_EUlS1L_E_NS1_11comp_targetILNS1_3genE10ELNS1_11target_archE1200ELNS1_3gpuE4ELNS1_3repE0EEENS1_30default_config_static_selectorELNS0_4arch9wavefront6targetE0EEEvSZ_.num_named_barrier, 0
	.set _ZN7rocprim17ROCPRIM_400000_NS6detail17trampoline_kernelINS0_13select_configILj256ELj13ELNS0_17block_load_methodE3ELS4_3ELS4_3ELNS0_20block_scan_algorithmE0ELj4294967295EEENS1_25partition_config_selectorILNS1_17partition_subalgoE3EjNS0_10empty_typeEbEEZZNS1_14partition_implILS8_3ELb0ES6_jNS0_17counting_iteratorIjlEEPS9_SE_NS0_5tupleIJPjSE_EEENSF_IJSE_SE_EEES9_SG_JZNS1_25segmented_radix_sort_implINS0_14default_configELb0EPK6__halfPSL_PKlPlN2at6native12_GLOBAL__N_18offset_tEEE10hipError_tPvRmT1_PNSt15iterator_traitsISZ_E10value_typeET2_T3_PNS10_IS15_E10value_typeET4_jRbjT5_S1B_jjP12ihipStream_tbEUljE_EEESW_SX_SY_S15_S19_S1B_T6_T7_T9_mT8_S1D_bDpT10_ENKUlT_T0_E_clISt17integral_constantIbLb1EES1P_IbLb0EEEEDaS1L_S1M_EUlS1L_E_NS1_11comp_targetILNS1_3genE10ELNS1_11target_archE1200ELNS1_3gpuE4ELNS1_3repE0EEENS1_30default_config_static_selectorELNS0_4arch9wavefront6targetE0EEEvSZ_.private_seg_size, 0
	.set _ZN7rocprim17ROCPRIM_400000_NS6detail17trampoline_kernelINS0_13select_configILj256ELj13ELNS0_17block_load_methodE3ELS4_3ELS4_3ELNS0_20block_scan_algorithmE0ELj4294967295EEENS1_25partition_config_selectorILNS1_17partition_subalgoE3EjNS0_10empty_typeEbEEZZNS1_14partition_implILS8_3ELb0ES6_jNS0_17counting_iteratorIjlEEPS9_SE_NS0_5tupleIJPjSE_EEENSF_IJSE_SE_EEES9_SG_JZNS1_25segmented_radix_sort_implINS0_14default_configELb0EPK6__halfPSL_PKlPlN2at6native12_GLOBAL__N_18offset_tEEE10hipError_tPvRmT1_PNSt15iterator_traitsISZ_E10value_typeET2_T3_PNS10_IS15_E10value_typeET4_jRbjT5_S1B_jjP12ihipStream_tbEUljE_EEESW_SX_SY_S15_S19_S1B_T6_T7_T9_mT8_S1D_bDpT10_ENKUlT_T0_E_clISt17integral_constantIbLb1EES1P_IbLb0EEEEDaS1L_S1M_EUlS1L_E_NS1_11comp_targetILNS1_3genE10ELNS1_11target_archE1200ELNS1_3gpuE4ELNS1_3repE0EEENS1_30default_config_static_selectorELNS0_4arch9wavefront6targetE0EEEvSZ_.uses_vcc, 0
	.set _ZN7rocprim17ROCPRIM_400000_NS6detail17trampoline_kernelINS0_13select_configILj256ELj13ELNS0_17block_load_methodE3ELS4_3ELS4_3ELNS0_20block_scan_algorithmE0ELj4294967295EEENS1_25partition_config_selectorILNS1_17partition_subalgoE3EjNS0_10empty_typeEbEEZZNS1_14partition_implILS8_3ELb0ES6_jNS0_17counting_iteratorIjlEEPS9_SE_NS0_5tupleIJPjSE_EEENSF_IJSE_SE_EEES9_SG_JZNS1_25segmented_radix_sort_implINS0_14default_configELb0EPK6__halfPSL_PKlPlN2at6native12_GLOBAL__N_18offset_tEEE10hipError_tPvRmT1_PNSt15iterator_traitsISZ_E10value_typeET2_T3_PNS10_IS15_E10value_typeET4_jRbjT5_S1B_jjP12ihipStream_tbEUljE_EEESW_SX_SY_S15_S19_S1B_T6_T7_T9_mT8_S1D_bDpT10_ENKUlT_T0_E_clISt17integral_constantIbLb1EES1P_IbLb0EEEEDaS1L_S1M_EUlS1L_E_NS1_11comp_targetILNS1_3genE10ELNS1_11target_archE1200ELNS1_3gpuE4ELNS1_3repE0EEENS1_30default_config_static_selectorELNS0_4arch9wavefront6targetE0EEEvSZ_.uses_flat_scratch, 0
	.set _ZN7rocprim17ROCPRIM_400000_NS6detail17trampoline_kernelINS0_13select_configILj256ELj13ELNS0_17block_load_methodE3ELS4_3ELS4_3ELNS0_20block_scan_algorithmE0ELj4294967295EEENS1_25partition_config_selectorILNS1_17partition_subalgoE3EjNS0_10empty_typeEbEEZZNS1_14partition_implILS8_3ELb0ES6_jNS0_17counting_iteratorIjlEEPS9_SE_NS0_5tupleIJPjSE_EEENSF_IJSE_SE_EEES9_SG_JZNS1_25segmented_radix_sort_implINS0_14default_configELb0EPK6__halfPSL_PKlPlN2at6native12_GLOBAL__N_18offset_tEEE10hipError_tPvRmT1_PNSt15iterator_traitsISZ_E10value_typeET2_T3_PNS10_IS15_E10value_typeET4_jRbjT5_S1B_jjP12ihipStream_tbEUljE_EEESW_SX_SY_S15_S19_S1B_T6_T7_T9_mT8_S1D_bDpT10_ENKUlT_T0_E_clISt17integral_constantIbLb1EES1P_IbLb0EEEEDaS1L_S1M_EUlS1L_E_NS1_11comp_targetILNS1_3genE10ELNS1_11target_archE1200ELNS1_3gpuE4ELNS1_3repE0EEENS1_30default_config_static_selectorELNS0_4arch9wavefront6targetE0EEEvSZ_.has_dyn_sized_stack, 0
	.set _ZN7rocprim17ROCPRIM_400000_NS6detail17trampoline_kernelINS0_13select_configILj256ELj13ELNS0_17block_load_methodE3ELS4_3ELS4_3ELNS0_20block_scan_algorithmE0ELj4294967295EEENS1_25partition_config_selectorILNS1_17partition_subalgoE3EjNS0_10empty_typeEbEEZZNS1_14partition_implILS8_3ELb0ES6_jNS0_17counting_iteratorIjlEEPS9_SE_NS0_5tupleIJPjSE_EEENSF_IJSE_SE_EEES9_SG_JZNS1_25segmented_radix_sort_implINS0_14default_configELb0EPK6__halfPSL_PKlPlN2at6native12_GLOBAL__N_18offset_tEEE10hipError_tPvRmT1_PNSt15iterator_traitsISZ_E10value_typeET2_T3_PNS10_IS15_E10value_typeET4_jRbjT5_S1B_jjP12ihipStream_tbEUljE_EEESW_SX_SY_S15_S19_S1B_T6_T7_T9_mT8_S1D_bDpT10_ENKUlT_T0_E_clISt17integral_constantIbLb1EES1P_IbLb0EEEEDaS1L_S1M_EUlS1L_E_NS1_11comp_targetILNS1_3genE10ELNS1_11target_archE1200ELNS1_3gpuE4ELNS1_3repE0EEENS1_30default_config_static_selectorELNS0_4arch9wavefront6targetE0EEEvSZ_.has_recursion, 0
	.set _ZN7rocprim17ROCPRIM_400000_NS6detail17trampoline_kernelINS0_13select_configILj256ELj13ELNS0_17block_load_methodE3ELS4_3ELS4_3ELNS0_20block_scan_algorithmE0ELj4294967295EEENS1_25partition_config_selectorILNS1_17partition_subalgoE3EjNS0_10empty_typeEbEEZZNS1_14partition_implILS8_3ELb0ES6_jNS0_17counting_iteratorIjlEEPS9_SE_NS0_5tupleIJPjSE_EEENSF_IJSE_SE_EEES9_SG_JZNS1_25segmented_radix_sort_implINS0_14default_configELb0EPK6__halfPSL_PKlPlN2at6native12_GLOBAL__N_18offset_tEEE10hipError_tPvRmT1_PNSt15iterator_traitsISZ_E10value_typeET2_T3_PNS10_IS15_E10value_typeET4_jRbjT5_S1B_jjP12ihipStream_tbEUljE_EEESW_SX_SY_S15_S19_S1B_T6_T7_T9_mT8_S1D_bDpT10_ENKUlT_T0_E_clISt17integral_constantIbLb1EES1P_IbLb0EEEEDaS1L_S1M_EUlS1L_E_NS1_11comp_targetILNS1_3genE10ELNS1_11target_archE1200ELNS1_3gpuE4ELNS1_3repE0EEENS1_30default_config_static_selectorELNS0_4arch9wavefront6targetE0EEEvSZ_.has_indirect_call, 0
	.section	.AMDGPU.csdata,"",@progbits
; Kernel info:
; codeLenInByte = 0
; TotalNumSgprs: 0
; NumVgprs: 0
; ScratchSize: 0
; MemoryBound: 0
; FloatMode: 240
; IeeeMode: 1
; LDSByteSize: 0 bytes/workgroup (compile time only)
; SGPRBlocks: 0
; VGPRBlocks: 0
; NumSGPRsForWavesPerEU: 1
; NumVGPRsForWavesPerEU: 1
; NamedBarCnt: 0
; Occupancy: 16
; WaveLimiterHint : 0
; COMPUTE_PGM_RSRC2:SCRATCH_EN: 0
; COMPUTE_PGM_RSRC2:USER_SGPR: 2
; COMPUTE_PGM_RSRC2:TRAP_HANDLER: 0
; COMPUTE_PGM_RSRC2:TGID_X_EN: 1
; COMPUTE_PGM_RSRC2:TGID_Y_EN: 0
; COMPUTE_PGM_RSRC2:TGID_Z_EN: 0
; COMPUTE_PGM_RSRC2:TIDIG_COMP_CNT: 0
	.section	.text._ZN7rocprim17ROCPRIM_400000_NS6detail17trampoline_kernelINS0_13select_configILj256ELj13ELNS0_17block_load_methodE3ELS4_3ELS4_3ELNS0_20block_scan_algorithmE0ELj4294967295EEENS1_25partition_config_selectorILNS1_17partition_subalgoE3EjNS0_10empty_typeEbEEZZNS1_14partition_implILS8_3ELb0ES6_jNS0_17counting_iteratorIjlEEPS9_SE_NS0_5tupleIJPjSE_EEENSF_IJSE_SE_EEES9_SG_JZNS1_25segmented_radix_sort_implINS0_14default_configELb0EPK6__halfPSL_PKlPlN2at6native12_GLOBAL__N_18offset_tEEE10hipError_tPvRmT1_PNSt15iterator_traitsISZ_E10value_typeET2_T3_PNS10_IS15_E10value_typeET4_jRbjT5_S1B_jjP12ihipStream_tbEUljE_EEESW_SX_SY_S15_S19_S1B_T6_T7_T9_mT8_S1D_bDpT10_ENKUlT_T0_E_clISt17integral_constantIbLb1EES1P_IbLb0EEEEDaS1L_S1M_EUlS1L_E_NS1_11comp_targetILNS1_3genE9ELNS1_11target_archE1100ELNS1_3gpuE3ELNS1_3repE0EEENS1_30default_config_static_selectorELNS0_4arch9wavefront6targetE0EEEvSZ_,"axG",@progbits,_ZN7rocprim17ROCPRIM_400000_NS6detail17trampoline_kernelINS0_13select_configILj256ELj13ELNS0_17block_load_methodE3ELS4_3ELS4_3ELNS0_20block_scan_algorithmE0ELj4294967295EEENS1_25partition_config_selectorILNS1_17partition_subalgoE3EjNS0_10empty_typeEbEEZZNS1_14partition_implILS8_3ELb0ES6_jNS0_17counting_iteratorIjlEEPS9_SE_NS0_5tupleIJPjSE_EEENSF_IJSE_SE_EEES9_SG_JZNS1_25segmented_radix_sort_implINS0_14default_configELb0EPK6__halfPSL_PKlPlN2at6native12_GLOBAL__N_18offset_tEEE10hipError_tPvRmT1_PNSt15iterator_traitsISZ_E10value_typeET2_T3_PNS10_IS15_E10value_typeET4_jRbjT5_S1B_jjP12ihipStream_tbEUljE_EEESW_SX_SY_S15_S19_S1B_T6_T7_T9_mT8_S1D_bDpT10_ENKUlT_T0_E_clISt17integral_constantIbLb1EES1P_IbLb0EEEEDaS1L_S1M_EUlS1L_E_NS1_11comp_targetILNS1_3genE9ELNS1_11target_archE1100ELNS1_3gpuE3ELNS1_3repE0EEENS1_30default_config_static_selectorELNS0_4arch9wavefront6targetE0EEEvSZ_,comdat
	.globl	_ZN7rocprim17ROCPRIM_400000_NS6detail17trampoline_kernelINS0_13select_configILj256ELj13ELNS0_17block_load_methodE3ELS4_3ELS4_3ELNS0_20block_scan_algorithmE0ELj4294967295EEENS1_25partition_config_selectorILNS1_17partition_subalgoE3EjNS0_10empty_typeEbEEZZNS1_14partition_implILS8_3ELb0ES6_jNS0_17counting_iteratorIjlEEPS9_SE_NS0_5tupleIJPjSE_EEENSF_IJSE_SE_EEES9_SG_JZNS1_25segmented_radix_sort_implINS0_14default_configELb0EPK6__halfPSL_PKlPlN2at6native12_GLOBAL__N_18offset_tEEE10hipError_tPvRmT1_PNSt15iterator_traitsISZ_E10value_typeET2_T3_PNS10_IS15_E10value_typeET4_jRbjT5_S1B_jjP12ihipStream_tbEUljE_EEESW_SX_SY_S15_S19_S1B_T6_T7_T9_mT8_S1D_bDpT10_ENKUlT_T0_E_clISt17integral_constantIbLb1EES1P_IbLb0EEEEDaS1L_S1M_EUlS1L_E_NS1_11comp_targetILNS1_3genE9ELNS1_11target_archE1100ELNS1_3gpuE3ELNS1_3repE0EEENS1_30default_config_static_selectorELNS0_4arch9wavefront6targetE0EEEvSZ_ ; -- Begin function _ZN7rocprim17ROCPRIM_400000_NS6detail17trampoline_kernelINS0_13select_configILj256ELj13ELNS0_17block_load_methodE3ELS4_3ELS4_3ELNS0_20block_scan_algorithmE0ELj4294967295EEENS1_25partition_config_selectorILNS1_17partition_subalgoE3EjNS0_10empty_typeEbEEZZNS1_14partition_implILS8_3ELb0ES6_jNS0_17counting_iteratorIjlEEPS9_SE_NS0_5tupleIJPjSE_EEENSF_IJSE_SE_EEES9_SG_JZNS1_25segmented_radix_sort_implINS0_14default_configELb0EPK6__halfPSL_PKlPlN2at6native12_GLOBAL__N_18offset_tEEE10hipError_tPvRmT1_PNSt15iterator_traitsISZ_E10value_typeET2_T3_PNS10_IS15_E10value_typeET4_jRbjT5_S1B_jjP12ihipStream_tbEUljE_EEESW_SX_SY_S15_S19_S1B_T6_T7_T9_mT8_S1D_bDpT10_ENKUlT_T0_E_clISt17integral_constantIbLb1EES1P_IbLb0EEEEDaS1L_S1M_EUlS1L_E_NS1_11comp_targetILNS1_3genE9ELNS1_11target_archE1100ELNS1_3gpuE3ELNS1_3repE0EEENS1_30default_config_static_selectorELNS0_4arch9wavefront6targetE0EEEvSZ_
	.p2align	8
	.type	_ZN7rocprim17ROCPRIM_400000_NS6detail17trampoline_kernelINS0_13select_configILj256ELj13ELNS0_17block_load_methodE3ELS4_3ELS4_3ELNS0_20block_scan_algorithmE0ELj4294967295EEENS1_25partition_config_selectorILNS1_17partition_subalgoE3EjNS0_10empty_typeEbEEZZNS1_14partition_implILS8_3ELb0ES6_jNS0_17counting_iteratorIjlEEPS9_SE_NS0_5tupleIJPjSE_EEENSF_IJSE_SE_EEES9_SG_JZNS1_25segmented_radix_sort_implINS0_14default_configELb0EPK6__halfPSL_PKlPlN2at6native12_GLOBAL__N_18offset_tEEE10hipError_tPvRmT1_PNSt15iterator_traitsISZ_E10value_typeET2_T3_PNS10_IS15_E10value_typeET4_jRbjT5_S1B_jjP12ihipStream_tbEUljE_EEESW_SX_SY_S15_S19_S1B_T6_T7_T9_mT8_S1D_bDpT10_ENKUlT_T0_E_clISt17integral_constantIbLb1EES1P_IbLb0EEEEDaS1L_S1M_EUlS1L_E_NS1_11comp_targetILNS1_3genE9ELNS1_11target_archE1100ELNS1_3gpuE3ELNS1_3repE0EEENS1_30default_config_static_selectorELNS0_4arch9wavefront6targetE0EEEvSZ_,@function
_ZN7rocprim17ROCPRIM_400000_NS6detail17trampoline_kernelINS0_13select_configILj256ELj13ELNS0_17block_load_methodE3ELS4_3ELS4_3ELNS0_20block_scan_algorithmE0ELj4294967295EEENS1_25partition_config_selectorILNS1_17partition_subalgoE3EjNS0_10empty_typeEbEEZZNS1_14partition_implILS8_3ELb0ES6_jNS0_17counting_iteratorIjlEEPS9_SE_NS0_5tupleIJPjSE_EEENSF_IJSE_SE_EEES9_SG_JZNS1_25segmented_radix_sort_implINS0_14default_configELb0EPK6__halfPSL_PKlPlN2at6native12_GLOBAL__N_18offset_tEEE10hipError_tPvRmT1_PNSt15iterator_traitsISZ_E10value_typeET2_T3_PNS10_IS15_E10value_typeET4_jRbjT5_S1B_jjP12ihipStream_tbEUljE_EEESW_SX_SY_S15_S19_S1B_T6_T7_T9_mT8_S1D_bDpT10_ENKUlT_T0_E_clISt17integral_constantIbLb1EES1P_IbLb0EEEEDaS1L_S1M_EUlS1L_E_NS1_11comp_targetILNS1_3genE9ELNS1_11target_archE1100ELNS1_3gpuE3ELNS1_3repE0EEENS1_30default_config_static_selectorELNS0_4arch9wavefront6targetE0EEEvSZ_: ; @_ZN7rocprim17ROCPRIM_400000_NS6detail17trampoline_kernelINS0_13select_configILj256ELj13ELNS0_17block_load_methodE3ELS4_3ELS4_3ELNS0_20block_scan_algorithmE0ELj4294967295EEENS1_25partition_config_selectorILNS1_17partition_subalgoE3EjNS0_10empty_typeEbEEZZNS1_14partition_implILS8_3ELb0ES6_jNS0_17counting_iteratorIjlEEPS9_SE_NS0_5tupleIJPjSE_EEENSF_IJSE_SE_EEES9_SG_JZNS1_25segmented_radix_sort_implINS0_14default_configELb0EPK6__halfPSL_PKlPlN2at6native12_GLOBAL__N_18offset_tEEE10hipError_tPvRmT1_PNSt15iterator_traitsISZ_E10value_typeET2_T3_PNS10_IS15_E10value_typeET4_jRbjT5_S1B_jjP12ihipStream_tbEUljE_EEESW_SX_SY_S15_S19_S1B_T6_T7_T9_mT8_S1D_bDpT10_ENKUlT_T0_E_clISt17integral_constantIbLb1EES1P_IbLb0EEEEDaS1L_S1M_EUlS1L_E_NS1_11comp_targetILNS1_3genE9ELNS1_11target_archE1100ELNS1_3gpuE3ELNS1_3repE0EEENS1_30default_config_static_selectorELNS0_4arch9wavefront6targetE0EEEvSZ_
; %bb.0:
	.section	.rodata,"a",@progbits
	.p2align	6, 0x0
	.amdhsa_kernel _ZN7rocprim17ROCPRIM_400000_NS6detail17trampoline_kernelINS0_13select_configILj256ELj13ELNS0_17block_load_methodE3ELS4_3ELS4_3ELNS0_20block_scan_algorithmE0ELj4294967295EEENS1_25partition_config_selectorILNS1_17partition_subalgoE3EjNS0_10empty_typeEbEEZZNS1_14partition_implILS8_3ELb0ES6_jNS0_17counting_iteratorIjlEEPS9_SE_NS0_5tupleIJPjSE_EEENSF_IJSE_SE_EEES9_SG_JZNS1_25segmented_radix_sort_implINS0_14default_configELb0EPK6__halfPSL_PKlPlN2at6native12_GLOBAL__N_18offset_tEEE10hipError_tPvRmT1_PNSt15iterator_traitsISZ_E10value_typeET2_T3_PNS10_IS15_E10value_typeET4_jRbjT5_S1B_jjP12ihipStream_tbEUljE_EEESW_SX_SY_S15_S19_S1B_T6_T7_T9_mT8_S1D_bDpT10_ENKUlT_T0_E_clISt17integral_constantIbLb1EES1P_IbLb0EEEEDaS1L_S1M_EUlS1L_E_NS1_11comp_targetILNS1_3genE9ELNS1_11target_archE1100ELNS1_3gpuE3ELNS1_3repE0EEENS1_30default_config_static_selectorELNS0_4arch9wavefront6targetE0EEEvSZ_
		.amdhsa_group_segment_fixed_size 0
		.amdhsa_private_segment_fixed_size 0
		.amdhsa_kernarg_size 144
		.amdhsa_user_sgpr_count 2
		.amdhsa_user_sgpr_dispatch_ptr 0
		.amdhsa_user_sgpr_queue_ptr 0
		.amdhsa_user_sgpr_kernarg_segment_ptr 1
		.amdhsa_user_sgpr_dispatch_id 0
		.amdhsa_user_sgpr_kernarg_preload_length 0
		.amdhsa_user_sgpr_kernarg_preload_offset 0
		.amdhsa_user_sgpr_private_segment_size 0
		.amdhsa_wavefront_size32 1
		.amdhsa_uses_dynamic_stack 0
		.amdhsa_enable_private_segment 0
		.amdhsa_system_sgpr_workgroup_id_x 1
		.amdhsa_system_sgpr_workgroup_id_y 0
		.amdhsa_system_sgpr_workgroup_id_z 0
		.amdhsa_system_sgpr_workgroup_info 0
		.amdhsa_system_vgpr_workitem_id 0
		.amdhsa_next_free_vgpr 1
		.amdhsa_next_free_sgpr 1
		.amdhsa_named_barrier_count 0
		.amdhsa_reserve_vcc 0
		.amdhsa_float_round_mode_32 0
		.amdhsa_float_round_mode_16_64 0
		.amdhsa_float_denorm_mode_32 3
		.amdhsa_float_denorm_mode_16_64 3
		.amdhsa_fp16_overflow 0
		.amdhsa_memory_ordered 1
		.amdhsa_forward_progress 1
		.amdhsa_inst_pref_size 0
		.amdhsa_round_robin_scheduling 0
		.amdhsa_exception_fp_ieee_invalid_op 0
		.amdhsa_exception_fp_denorm_src 0
		.amdhsa_exception_fp_ieee_div_zero 0
		.amdhsa_exception_fp_ieee_overflow 0
		.amdhsa_exception_fp_ieee_underflow 0
		.amdhsa_exception_fp_ieee_inexact 0
		.amdhsa_exception_int_div_zero 0
	.end_amdhsa_kernel
	.section	.text._ZN7rocprim17ROCPRIM_400000_NS6detail17trampoline_kernelINS0_13select_configILj256ELj13ELNS0_17block_load_methodE3ELS4_3ELS4_3ELNS0_20block_scan_algorithmE0ELj4294967295EEENS1_25partition_config_selectorILNS1_17partition_subalgoE3EjNS0_10empty_typeEbEEZZNS1_14partition_implILS8_3ELb0ES6_jNS0_17counting_iteratorIjlEEPS9_SE_NS0_5tupleIJPjSE_EEENSF_IJSE_SE_EEES9_SG_JZNS1_25segmented_radix_sort_implINS0_14default_configELb0EPK6__halfPSL_PKlPlN2at6native12_GLOBAL__N_18offset_tEEE10hipError_tPvRmT1_PNSt15iterator_traitsISZ_E10value_typeET2_T3_PNS10_IS15_E10value_typeET4_jRbjT5_S1B_jjP12ihipStream_tbEUljE_EEESW_SX_SY_S15_S19_S1B_T6_T7_T9_mT8_S1D_bDpT10_ENKUlT_T0_E_clISt17integral_constantIbLb1EES1P_IbLb0EEEEDaS1L_S1M_EUlS1L_E_NS1_11comp_targetILNS1_3genE9ELNS1_11target_archE1100ELNS1_3gpuE3ELNS1_3repE0EEENS1_30default_config_static_selectorELNS0_4arch9wavefront6targetE0EEEvSZ_,"axG",@progbits,_ZN7rocprim17ROCPRIM_400000_NS6detail17trampoline_kernelINS0_13select_configILj256ELj13ELNS0_17block_load_methodE3ELS4_3ELS4_3ELNS0_20block_scan_algorithmE0ELj4294967295EEENS1_25partition_config_selectorILNS1_17partition_subalgoE3EjNS0_10empty_typeEbEEZZNS1_14partition_implILS8_3ELb0ES6_jNS0_17counting_iteratorIjlEEPS9_SE_NS0_5tupleIJPjSE_EEENSF_IJSE_SE_EEES9_SG_JZNS1_25segmented_radix_sort_implINS0_14default_configELb0EPK6__halfPSL_PKlPlN2at6native12_GLOBAL__N_18offset_tEEE10hipError_tPvRmT1_PNSt15iterator_traitsISZ_E10value_typeET2_T3_PNS10_IS15_E10value_typeET4_jRbjT5_S1B_jjP12ihipStream_tbEUljE_EEESW_SX_SY_S15_S19_S1B_T6_T7_T9_mT8_S1D_bDpT10_ENKUlT_T0_E_clISt17integral_constantIbLb1EES1P_IbLb0EEEEDaS1L_S1M_EUlS1L_E_NS1_11comp_targetILNS1_3genE9ELNS1_11target_archE1100ELNS1_3gpuE3ELNS1_3repE0EEENS1_30default_config_static_selectorELNS0_4arch9wavefront6targetE0EEEvSZ_,comdat
.Lfunc_end1822:
	.size	_ZN7rocprim17ROCPRIM_400000_NS6detail17trampoline_kernelINS0_13select_configILj256ELj13ELNS0_17block_load_methodE3ELS4_3ELS4_3ELNS0_20block_scan_algorithmE0ELj4294967295EEENS1_25partition_config_selectorILNS1_17partition_subalgoE3EjNS0_10empty_typeEbEEZZNS1_14partition_implILS8_3ELb0ES6_jNS0_17counting_iteratorIjlEEPS9_SE_NS0_5tupleIJPjSE_EEENSF_IJSE_SE_EEES9_SG_JZNS1_25segmented_radix_sort_implINS0_14default_configELb0EPK6__halfPSL_PKlPlN2at6native12_GLOBAL__N_18offset_tEEE10hipError_tPvRmT1_PNSt15iterator_traitsISZ_E10value_typeET2_T3_PNS10_IS15_E10value_typeET4_jRbjT5_S1B_jjP12ihipStream_tbEUljE_EEESW_SX_SY_S15_S19_S1B_T6_T7_T9_mT8_S1D_bDpT10_ENKUlT_T0_E_clISt17integral_constantIbLb1EES1P_IbLb0EEEEDaS1L_S1M_EUlS1L_E_NS1_11comp_targetILNS1_3genE9ELNS1_11target_archE1100ELNS1_3gpuE3ELNS1_3repE0EEENS1_30default_config_static_selectorELNS0_4arch9wavefront6targetE0EEEvSZ_, .Lfunc_end1822-_ZN7rocprim17ROCPRIM_400000_NS6detail17trampoline_kernelINS0_13select_configILj256ELj13ELNS0_17block_load_methodE3ELS4_3ELS4_3ELNS0_20block_scan_algorithmE0ELj4294967295EEENS1_25partition_config_selectorILNS1_17partition_subalgoE3EjNS0_10empty_typeEbEEZZNS1_14partition_implILS8_3ELb0ES6_jNS0_17counting_iteratorIjlEEPS9_SE_NS0_5tupleIJPjSE_EEENSF_IJSE_SE_EEES9_SG_JZNS1_25segmented_radix_sort_implINS0_14default_configELb0EPK6__halfPSL_PKlPlN2at6native12_GLOBAL__N_18offset_tEEE10hipError_tPvRmT1_PNSt15iterator_traitsISZ_E10value_typeET2_T3_PNS10_IS15_E10value_typeET4_jRbjT5_S1B_jjP12ihipStream_tbEUljE_EEESW_SX_SY_S15_S19_S1B_T6_T7_T9_mT8_S1D_bDpT10_ENKUlT_T0_E_clISt17integral_constantIbLb1EES1P_IbLb0EEEEDaS1L_S1M_EUlS1L_E_NS1_11comp_targetILNS1_3genE9ELNS1_11target_archE1100ELNS1_3gpuE3ELNS1_3repE0EEENS1_30default_config_static_selectorELNS0_4arch9wavefront6targetE0EEEvSZ_
                                        ; -- End function
	.set _ZN7rocprim17ROCPRIM_400000_NS6detail17trampoline_kernelINS0_13select_configILj256ELj13ELNS0_17block_load_methodE3ELS4_3ELS4_3ELNS0_20block_scan_algorithmE0ELj4294967295EEENS1_25partition_config_selectorILNS1_17partition_subalgoE3EjNS0_10empty_typeEbEEZZNS1_14partition_implILS8_3ELb0ES6_jNS0_17counting_iteratorIjlEEPS9_SE_NS0_5tupleIJPjSE_EEENSF_IJSE_SE_EEES9_SG_JZNS1_25segmented_radix_sort_implINS0_14default_configELb0EPK6__halfPSL_PKlPlN2at6native12_GLOBAL__N_18offset_tEEE10hipError_tPvRmT1_PNSt15iterator_traitsISZ_E10value_typeET2_T3_PNS10_IS15_E10value_typeET4_jRbjT5_S1B_jjP12ihipStream_tbEUljE_EEESW_SX_SY_S15_S19_S1B_T6_T7_T9_mT8_S1D_bDpT10_ENKUlT_T0_E_clISt17integral_constantIbLb1EES1P_IbLb0EEEEDaS1L_S1M_EUlS1L_E_NS1_11comp_targetILNS1_3genE9ELNS1_11target_archE1100ELNS1_3gpuE3ELNS1_3repE0EEENS1_30default_config_static_selectorELNS0_4arch9wavefront6targetE0EEEvSZ_.num_vgpr, 0
	.set _ZN7rocprim17ROCPRIM_400000_NS6detail17trampoline_kernelINS0_13select_configILj256ELj13ELNS0_17block_load_methodE3ELS4_3ELS4_3ELNS0_20block_scan_algorithmE0ELj4294967295EEENS1_25partition_config_selectorILNS1_17partition_subalgoE3EjNS0_10empty_typeEbEEZZNS1_14partition_implILS8_3ELb0ES6_jNS0_17counting_iteratorIjlEEPS9_SE_NS0_5tupleIJPjSE_EEENSF_IJSE_SE_EEES9_SG_JZNS1_25segmented_radix_sort_implINS0_14default_configELb0EPK6__halfPSL_PKlPlN2at6native12_GLOBAL__N_18offset_tEEE10hipError_tPvRmT1_PNSt15iterator_traitsISZ_E10value_typeET2_T3_PNS10_IS15_E10value_typeET4_jRbjT5_S1B_jjP12ihipStream_tbEUljE_EEESW_SX_SY_S15_S19_S1B_T6_T7_T9_mT8_S1D_bDpT10_ENKUlT_T0_E_clISt17integral_constantIbLb1EES1P_IbLb0EEEEDaS1L_S1M_EUlS1L_E_NS1_11comp_targetILNS1_3genE9ELNS1_11target_archE1100ELNS1_3gpuE3ELNS1_3repE0EEENS1_30default_config_static_selectorELNS0_4arch9wavefront6targetE0EEEvSZ_.num_agpr, 0
	.set _ZN7rocprim17ROCPRIM_400000_NS6detail17trampoline_kernelINS0_13select_configILj256ELj13ELNS0_17block_load_methodE3ELS4_3ELS4_3ELNS0_20block_scan_algorithmE0ELj4294967295EEENS1_25partition_config_selectorILNS1_17partition_subalgoE3EjNS0_10empty_typeEbEEZZNS1_14partition_implILS8_3ELb0ES6_jNS0_17counting_iteratorIjlEEPS9_SE_NS0_5tupleIJPjSE_EEENSF_IJSE_SE_EEES9_SG_JZNS1_25segmented_radix_sort_implINS0_14default_configELb0EPK6__halfPSL_PKlPlN2at6native12_GLOBAL__N_18offset_tEEE10hipError_tPvRmT1_PNSt15iterator_traitsISZ_E10value_typeET2_T3_PNS10_IS15_E10value_typeET4_jRbjT5_S1B_jjP12ihipStream_tbEUljE_EEESW_SX_SY_S15_S19_S1B_T6_T7_T9_mT8_S1D_bDpT10_ENKUlT_T0_E_clISt17integral_constantIbLb1EES1P_IbLb0EEEEDaS1L_S1M_EUlS1L_E_NS1_11comp_targetILNS1_3genE9ELNS1_11target_archE1100ELNS1_3gpuE3ELNS1_3repE0EEENS1_30default_config_static_selectorELNS0_4arch9wavefront6targetE0EEEvSZ_.numbered_sgpr, 0
	.set _ZN7rocprim17ROCPRIM_400000_NS6detail17trampoline_kernelINS0_13select_configILj256ELj13ELNS0_17block_load_methodE3ELS4_3ELS4_3ELNS0_20block_scan_algorithmE0ELj4294967295EEENS1_25partition_config_selectorILNS1_17partition_subalgoE3EjNS0_10empty_typeEbEEZZNS1_14partition_implILS8_3ELb0ES6_jNS0_17counting_iteratorIjlEEPS9_SE_NS0_5tupleIJPjSE_EEENSF_IJSE_SE_EEES9_SG_JZNS1_25segmented_radix_sort_implINS0_14default_configELb0EPK6__halfPSL_PKlPlN2at6native12_GLOBAL__N_18offset_tEEE10hipError_tPvRmT1_PNSt15iterator_traitsISZ_E10value_typeET2_T3_PNS10_IS15_E10value_typeET4_jRbjT5_S1B_jjP12ihipStream_tbEUljE_EEESW_SX_SY_S15_S19_S1B_T6_T7_T9_mT8_S1D_bDpT10_ENKUlT_T0_E_clISt17integral_constantIbLb1EES1P_IbLb0EEEEDaS1L_S1M_EUlS1L_E_NS1_11comp_targetILNS1_3genE9ELNS1_11target_archE1100ELNS1_3gpuE3ELNS1_3repE0EEENS1_30default_config_static_selectorELNS0_4arch9wavefront6targetE0EEEvSZ_.num_named_barrier, 0
	.set _ZN7rocprim17ROCPRIM_400000_NS6detail17trampoline_kernelINS0_13select_configILj256ELj13ELNS0_17block_load_methodE3ELS4_3ELS4_3ELNS0_20block_scan_algorithmE0ELj4294967295EEENS1_25partition_config_selectorILNS1_17partition_subalgoE3EjNS0_10empty_typeEbEEZZNS1_14partition_implILS8_3ELb0ES6_jNS0_17counting_iteratorIjlEEPS9_SE_NS0_5tupleIJPjSE_EEENSF_IJSE_SE_EEES9_SG_JZNS1_25segmented_radix_sort_implINS0_14default_configELb0EPK6__halfPSL_PKlPlN2at6native12_GLOBAL__N_18offset_tEEE10hipError_tPvRmT1_PNSt15iterator_traitsISZ_E10value_typeET2_T3_PNS10_IS15_E10value_typeET4_jRbjT5_S1B_jjP12ihipStream_tbEUljE_EEESW_SX_SY_S15_S19_S1B_T6_T7_T9_mT8_S1D_bDpT10_ENKUlT_T0_E_clISt17integral_constantIbLb1EES1P_IbLb0EEEEDaS1L_S1M_EUlS1L_E_NS1_11comp_targetILNS1_3genE9ELNS1_11target_archE1100ELNS1_3gpuE3ELNS1_3repE0EEENS1_30default_config_static_selectorELNS0_4arch9wavefront6targetE0EEEvSZ_.private_seg_size, 0
	.set _ZN7rocprim17ROCPRIM_400000_NS6detail17trampoline_kernelINS0_13select_configILj256ELj13ELNS0_17block_load_methodE3ELS4_3ELS4_3ELNS0_20block_scan_algorithmE0ELj4294967295EEENS1_25partition_config_selectorILNS1_17partition_subalgoE3EjNS0_10empty_typeEbEEZZNS1_14partition_implILS8_3ELb0ES6_jNS0_17counting_iteratorIjlEEPS9_SE_NS0_5tupleIJPjSE_EEENSF_IJSE_SE_EEES9_SG_JZNS1_25segmented_radix_sort_implINS0_14default_configELb0EPK6__halfPSL_PKlPlN2at6native12_GLOBAL__N_18offset_tEEE10hipError_tPvRmT1_PNSt15iterator_traitsISZ_E10value_typeET2_T3_PNS10_IS15_E10value_typeET4_jRbjT5_S1B_jjP12ihipStream_tbEUljE_EEESW_SX_SY_S15_S19_S1B_T6_T7_T9_mT8_S1D_bDpT10_ENKUlT_T0_E_clISt17integral_constantIbLb1EES1P_IbLb0EEEEDaS1L_S1M_EUlS1L_E_NS1_11comp_targetILNS1_3genE9ELNS1_11target_archE1100ELNS1_3gpuE3ELNS1_3repE0EEENS1_30default_config_static_selectorELNS0_4arch9wavefront6targetE0EEEvSZ_.uses_vcc, 0
	.set _ZN7rocprim17ROCPRIM_400000_NS6detail17trampoline_kernelINS0_13select_configILj256ELj13ELNS0_17block_load_methodE3ELS4_3ELS4_3ELNS0_20block_scan_algorithmE0ELj4294967295EEENS1_25partition_config_selectorILNS1_17partition_subalgoE3EjNS0_10empty_typeEbEEZZNS1_14partition_implILS8_3ELb0ES6_jNS0_17counting_iteratorIjlEEPS9_SE_NS0_5tupleIJPjSE_EEENSF_IJSE_SE_EEES9_SG_JZNS1_25segmented_radix_sort_implINS0_14default_configELb0EPK6__halfPSL_PKlPlN2at6native12_GLOBAL__N_18offset_tEEE10hipError_tPvRmT1_PNSt15iterator_traitsISZ_E10value_typeET2_T3_PNS10_IS15_E10value_typeET4_jRbjT5_S1B_jjP12ihipStream_tbEUljE_EEESW_SX_SY_S15_S19_S1B_T6_T7_T9_mT8_S1D_bDpT10_ENKUlT_T0_E_clISt17integral_constantIbLb1EES1P_IbLb0EEEEDaS1L_S1M_EUlS1L_E_NS1_11comp_targetILNS1_3genE9ELNS1_11target_archE1100ELNS1_3gpuE3ELNS1_3repE0EEENS1_30default_config_static_selectorELNS0_4arch9wavefront6targetE0EEEvSZ_.uses_flat_scratch, 0
	.set _ZN7rocprim17ROCPRIM_400000_NS6detail17trampoline_kernelINS0_13select_configILj256ELj13ELNS0_17block_load_methodE3ELS4_3ELS4_3ELNS0_20block_scan_algorithmE0ELj4294967295EEENS1_25partition_config_selectorILNS1_17partition_subalgoE3EjNS0_10empty_typeEbEEZZNS1_14partition_implILS8_3ELb0ES6_jNS0_17counting_iteratorIjlEEPS9_SE_NS0_5tupleIJPjSE_EEENSF_IJSE_SE_EEES9_SG_JZNS1_25segmented_radix_sort_implINS0_14default_configELb0EPK6__halfPSL_PKlPlN2at6native12_GLOBAL__N_18offset_tEEE10hipError_tPvRmT1_PNSt15iterator_traitsISZ_E10value_typeET2_T3_PNS10_IS15_E10value_typeET4_jRbjT5_S1B_jjP12ihipStream_tbEUljE_EEESW_SX_SY_S15_S19_S1B_T6_T7_T9_mT8_S1D_bDpT10_ENKUlT_T0_E_clISt17integral_constantIbLb1EES1P_IbLb0EEEEDaS1L_S1M_EUlS1L_E_NS1_11comp_targetILNS1_3genE9ELNS1_11target_archE1100ELNS1_3gpuE3ELNS1_3repE0EEENS1_30default_config_static_selectorELNS0_4arch9wavefront6targetE0EEEvSZ_.has_dyn_sized_stack, 0
	.set _ZN7rocprim17ROCPRIM_400000_NS6detail17trampoline_kernelINS0_13select_configILj256ELj13ELNS0_17block_load_methodE3ELS4_3ELS4_3ELNS0_20block_scan_algorithmE0ELj4294967295EEENS1_25partition_config_selectorILNS1_17partition_subalgoE3EjNS0_10empty_typeEbEEZZNS1_14partition_implILS8_3ELb0ES6_jNS0_17counting_iteratorIjlEEPS9_SE_NS0_5tupleIJPjSE_EEENSF_IJSE_SE_EEES9_SG_JZNS1_25segmented_radix_sort_implINS0_14default_configELb0EPK6__halfPSL_PKlPlN2at6native12_GLOBAL__N_18offset_tEEE10hipError_tPvRmT1_PNSt15iterator_traitsISZ_E10value_typeET2_T3_PNS10_IS15_E10value_typeET4_jRbjT5_S1B_jjP12ihipStream_tbEUljE_EEESW_SX_SY_S15_S19_S1B_T6_T7_T9_mT8_S1D_bDpT10_ENKUlT_T0_E_clISt17integral_constantIbLb1EES1P_IbLb0EEEEDaS1L_S1M_EUlS1L_E_NS1_11comp_targetILNS1_3genE9ELNS1_11target_archE1100ELNS1_3gpuE3ELNS1_3repE0EEENS1_30default_config_static_selectorELNS0_4arch9wavefront6targetE0EEEvSZ_.has_recursion, 0
	.set _ZN7rocprim17ROCPRIM_400000_NS6detail17trampoline_kernelINS0_13select_configILj256ELj13ELNS0_17block_load_methodE3ELS4_3ELS4_3ELNS0_20block_scan_algorithmE0ELj4294967295EEENS1_25partition_config_selectorILNS1_17partition_subalgoE3EjNS0_10empty_typeEbEEZZNS1_14partition_implILS8_3ELb0ES6_jNS0_17counting_iteratorIjlEEPS9_SE_NS0_5tupleIJPjSE_EEENSF_IJSE_SE_EEES9_SG_JZNS1_25segmented_radix_sort_implINS0_14default_configELb0EPK6__halfPSL_PKlPlN2at6native12_GLOBAL__N_18offset_tEEE10hipError_tPvRmT1_PNSt15iterator_traitsISZ_E10value_typeET2_T3_PNS10_IS15_E10value_typeET4_jRbjT5_S1B_jjP12ihipStream_tbEUljE_EEESW_SX_SY_S15_S19_S1B_T6_T7_T9_mT8_S1D_bDpT10_ENKUlT_T0_E_clISt17integral_constantIbLb1EES1P_IbLb0EEEEDaS1L_S1M_EUlS1L_E_NS1_11comp_targetILNS1_3genE9ELNS1_11target_archE1100ELNS1_3gpuE3ELNS1_3repE0EEENS1_30default_config_static_selectorELNS0_4arch9wavefront6targetE0EEEvSZ_.has_indirect_call, 0
	.section	.AMDGPU.csdata,"",@progbits
; Kernel info:
; codeLenInByte = 0
; TotalNumSgprs: 0
; NumVgprs: 0
; ScratchSize: 0
; MemoryBound: 0
; FloatMode: 240
; IeeeMode: 1
; LDSByteSize: 0 bytes/workgroup (compile time only)
; SGPRBlocks: 0
; VGPRBlocks: 0
; NumSGPRsForWavesPerEU: 1
; NumVGPRsForWavesPerEU: 1
; NamedBarCnt: 0
; Occupancy: 16
; WaveLimiterHint : 0
; COMPUTE_PGM_RSRC2:SCRATCH_EN: 0
; COMPUTE_PGM_RSRC2:USER_SGPR: 2
; COMPUTE_PGM_RSRC2:TRAP_HANDLER: 0
; COMPUTE_PGM_RSRC2:TGID_X_EN: 1
; COMPUTE_PGM_RSRC2:TGID_Y_EN: 0
; COMPUTE_PGM_RSRC2:TGID_Z_EN: 0
; COMPUTE_PGM_RSRC2:TIDIG_COMP_CNT: 0
	.section	.text._ZN7rocprim17ROCPRIM_400000_NS6detail17trampoline_kernelINS0_13select_configILj256ELj13ELNS0_17block_load_methodE3ELS4_3ELS4_3ELNS0_20block_scan_algorithmE0ELj4294967295EEENS1_25partition_config_selectorILNS1_17partition_subalgoE3EjNS0_10empty_typeEbEEZZNS1_14partition_implILS8_3ELb0ES6_jNS0_17counting_iteratorIjlEEPS9_SE_NS0_5tupleIJPjSE_EEENSF_IJSE_SE_EEES9_SG_JZNS1_25segmented_radix_sort_implINS0_14default_configELb0EPK6__halfPSL_PKlPlN2at6native12_GLOBAL__N_18offset_tEEE10hipError_tPvRmT1_PNSt15iterator_traitsISZ_E10value_typeET2_T3_PNS10_IS15_E10value_typeET4_jRbjT5_S1B_jjP12ihipStream_tbEUljE_EEESW_SX_SY_S15_S19_S1B_T6_T7_T9_mT8_S1D_bDpT10_ENKUlT_T0_E_clISt17integral_constantIbLb1EES1P_IbLb0EEEEDaS1L_S1M_EUlS1L_E_NS1_11comp_targetILNS1_3genE8ELNS1_11target_archE1030ELNS1_3gpuE2ELNS1_3repE0EEENS1_30default_config_static_selectorELNS0_4arch9wavefront6targetE0EEEvSZ_,"axG",@progbits,_ZN7rocprim17ROCPRIM_400000_NS6detail17trampoline_kernelINS0_13select_configILj256ELj13ELNS0_17block_load_methodE3ELS4_3ELS4_3ELNS0_20block_scan_algorithmE0ELj4294967295EEENS1_25partition_config_selectorILNS1_17partition_subalgoE3EjNS0_10empty_typeEbEEZZNS1_14partition_implILS8_3ELb0ES6_jNS0_17counting_iteratorIjlEEPS9_SE_NS0_5tupleIJPjSE_EEENSF_IJSE_SE_EEES9_SG_JZNS1_25segmented_radix_sort_implINS0_14default_configELb0EPK6__halfPSL_PKlPlN2at6native12_GLOBAL__N_18offset_tEEE10hipError_tPvRmT1_PNSt15iterator_traitsISZ_E10value_typeET2_T3_PNS10_IS15_E10value_typeET4_jRbjT5_S1B_jjP12ihipStream_tbEUljE_EEESW_SX_SY_S15_S19_S1B_T6_T7_T9_mT8_S1D_bDpT10_ENKUlT_T0_E_clISt17integral_constantIbLb1EES1P_IbLb0EEEEDaS1L_S1M_EUlS1L_E_NS1_11comp_targetILNS1_3genE8ELNS1_11target_archE1030ELNS1_3gpuE2ELNS1_3repE0EEENS1_30default_config_static_selectorELNS0_4arch9wavefront6targetE0EEEvSZ_,comdat
	.globl	_ZN7rocprim17ROCPRIM_400000_NS6detail17trampoline_kernelINS0_13select_configILj256ELj13ELNS0_17block_load_methodE3ELS4_3ELS4_3ELNS0_20block_scan_algorithmE0ELj4294967295EEENS1_25partition_config_selectorILNS1_17partition_subalgoE3EjNS0_10empty_typeEbEEZZNS1_14partition_implILS8_3ELb0ES6_jNS0_17counting_iteratorIjlEEPS9_SE_NS0_5tupleIJPjSE_EEENSF_IJSE_SE_EEES9_SG_JZNS1_25segmented_radix_sort_implINS0_14default_configELb0EPK6__halfPSL_PKlPlN2at6native12_GLOBAL__N_18offset_tEEE10hipError_tPvRmT1_PNSt15iterator_traitsISZ_E10value_typeET2_T3_PNS10_IS15_E10value_typeET4_jRbjT5_S1B_jjP12ihipStream_tbEUljE_EEESW_SX_SY_S15_S19_S1B_T6_T7_T9_mT8_S1D_bDpT10_ENKUlT_T0_E_clISt17integral_constantIbLb1EES1P_IbLb0EEEEDaS1L_S1M_EUlS1L_E_NS1_11comp_targetILNS1_3genE8ELNS1_11target_archE1030ELNS1_3gpuE2ELNS1_3repE0EEENS1_30default_config_static_selectorELNS0_4arch9wavefront6targetE0EEEvSZ_ ; -- Begin function _ZN7rocprim17ROCPRIM_400000_NS6detail17trampoline_kernelINS0_13select_configILj256ELj13ELNS0_17block_load_methodE3ELS4_3ELS4_3ELNS0_20block_scan_algorithmE0ELj4294967295EEENS1_25partition_config_selectorILNS1_17partition_subalgoE3EjNS0_10empty_typeEbEEZZNS1_14partition_implILS8_3ELb0ES6_jNS0_17counting_iteratorIjlEEPS9_SE_NS0_5tupleIJPjSE_EEENSF_IJSE_SE_EEES9_SG_JZNS1_25segmented_radix_sort_implINS0_14default_configELb0EPK6__halfPSL_PKlPlN2at6native12_GLOBAL__N_18offset_tEEE10hipError_tPvRmT1_PNSt15iterator_traitsISZ_E10value_typeET2_T3_PNS10_IS15_E10value_typeET4_jRbjT5_S1B_jjP12ihipStream_tbEUljE_EEESW_SX_SY_S15_S19_S1B_T6_T7_T9_mT8_S1D_bDpT10_ENKUlT_T0_E_clISt17integral_constantIbLb1EES1P_IbLb0EEEEDaS1L_S1M_EUlS1L_E_NS1_11comp_targetILNS1_3genE8ELNS1_11target_archE1030ELNS1_3gpuE2ELNS1_3repE0EEENS1_30default_config_static_selectorELNS0_4arch9wavefront6targetE0EEEvSZ_
	.p2align	8
	.type	_ZN7rocprim17ROCPRIM_400000_NS6detail17trampoline_kernelINS0_13select_configILj256ELj13ELNS0_17block_load_methodE3ELS4_3ELS4_3ELNS0_20block_scan_algorithmE0ELj4294967295EEENS1_25partition_config_selectorILNS1_17partition_subalgoE3EjNS0_10empty_typeEbEEZZNS1_14partition_implILS8_3ELb0ES6_jNS0_17counting_iteratorIjlEEPS9_SE_NS0_5tupleIJPjSE_EEENSF_IJSE_SE_EEES9_SG_JZNS1_25segmented_radix_sort_implINS0_14default_configELb0EPK6__halfPSL_PKlPlN2at6native12_GLOBAL__N_18offset_tEEE10hipError_tPvRmT1_PNSt15iterator_traitsISZ_E10value_typeET2_T3_PNS10_IS15_E10value_typeET4_jRbjT5_S1B_jjP12ihipStream_tbEUljE_EEESW_SX_SY_S15_S19_S1B_T6_T7_T9_mT8_S1D_bDpT10_ENKUlT_T0_E_clISt17integral_constantIbLb1EES1P_IbLb0EEEEDaS1L_S1M_EUlS1L_E_NS1_11comp_targetILNS1_3genE8ELNS1_11target_archE1030ELNS1_3gpuE2ELNS1_3repE0EEENS1_30default_config_static_selectorELNS0_4arch9wavefront6targetE0EEEvSZ_,@function
_ZN7rocprim17ROCPRIM_400000_NS6detail17trampoline_kernelINS0_13select_configILj256ELj13ELNS0_17block_load_methodE3ELS4_3ELS4_3ELNS0_20block_scan_algorithmE0ELj4294967295EEENS1_25partition_config_selectorILNS1_17partition_subalgoE3EjNS0_10empty_typeEbEEZZNS1_14partition_implILS8_3ELb0ES6_jNS0_17counting_iteratorIjlEEPS9_SE_NS0_5tupleIJPjSE_EEENSF_IJSE_SE_EEES9_SG_JZNS1_25segmented_radix_sort_implINS0_14default_configELb0EPK6__halfPSL_PKlPlN2at6native12_GLOBAL__N_18offset_tEEE10hipError_tPvRmT1_PNSt15iterator_traitsISZ_E10value_typeET2_T3_PNS10_IS15_E10value_typeET4_jRbjT5_S1B_jjP12ihipStream_tbEUljE_EEESW_SX_SY_S15_S19_S1B_T6_T7_T9_mT8_S1D_bDpT10_ENKUlT_T0_E_clISt17integral_constantIbLb1EES1P_IbLb0EEEEDaS1L_S1M_EUlS1L_E_NS1_11comp_targetILNS1_3genE8ELNS1_11target_archE1030ELNS1_3gpuE2ELNS1_3repE0EEENS1_30default_config_static_selectorELNS0_4arch9wavefront6targetE0EEEvSZ_: ; @_ZN7rocprim17ROCPRIM_400000_NS6detail17trampoline_kernelINS0_13select_configILj256ELj13ELNS0_17block_load_methodE3ELS4_3ELS4_3ELNS0_20block_scan_algorithmE0ELj4294967295EEENS1_25partition_config_selectorILNS1_17partition_subalgoE3EjNS0_10empty_typeEbEEZZNS1_14partition_implILS8_3ELb0ES6_jNS0_17counting_iteratorIjlEEPS9_SE_NS0_5tupleIJPjSE_EEENSF_IJSE_SE_EEES9_SG_JZNS1_25segmented_radix_sort_implINS0_14default_configELb0EPK6__halfPSL_PKlPlN2at6native12_GLOBAL__N_18offset_tEEE10hipError_tPvRmT1_PNSt15iterator_traitsISZ_E10value_typeET2_T3_PNS10_IS15_E10value_typeET4_jRbjT5_S1B_jjP12ihipStream_tbEUljE_EEESW_SX_SY_S15_S19_S1B_T6_T7_T9_mT8_S1D_bDpT10_ENKUlT_T0_E_clISt17integral_constantIbLb1EES1P_IbLb0EEEEDaS1L_S1M_EUlS1L_E_NS1_11comp_targetILNS1_3genE8ELNS1_11target_archE1030ELNS1_3gpuE2ELNS1_3repE0EEENS1_30default_config_static_selectorELNS0_4arch9wavefront6targetE0EEEvSZ_
; %bb.0:
	.section	.rodata,"a",@progbits
	.p2align	6, 0x0
	.amdhsa_kernel _ZN7rocprim17ROCPRIM_400000_NS6detail17trampoline_kernelINS0_13select_configILj256ELj13ELNS0_17block_load_methodE3ELS4_3ELS4_3ELNS0_20block_scan_algorithmE0ELj4294967295EEENS1_25partition_config_selectorILNS1_17partition_subalgoE3EjNS0_10empty_typeEbEEZZNS1_14partition_implILS8_3ELb0ES6_jNS0_17counting_iteratorIjlEEPS9_SE_NS0_5tupleIJPjSE_EEENSF_IJSE_SE_EEES9_SG_JZNS1_25segmented_radix_sort_implINS0_14default_configELb0EPK6__halfPSL_PKlPlN2at6native12_GLOBAL__N_18offset_tEEE10hipError_tPvRmT1_PNSt15iterator_traitsISZ_E10value_typeET2_T3_PNS10_IS15_E10value_typeET4_jRbjT5_S1B_jjP12ihipStream_tbEUljE_EEESW_SX_SY_S15_S19_S1B_T6_T7_T9_mT8_S1D_bDpT10_ENKUlT_T0_E_clISt17integral_constantIbLb1EES1P_IbLb0EEEEDaS1L_S1M_EUlS1L_E_NS1_11comp_targetILNS1_3genE8ELNS1_11target_archE1030ELNS1_3gpuE2ELNS1_3repE0EEENS1_30default_config_static_selectorELNS0_4arch9wavefront6targetE0EEEvSZ_
		.amdhsa_group_segment_fixed_size 0
		.amdhsa_private_segment_fixed_size 0
		.amdhsa_kernarg_size 144
		.amdhsa_user_sgpr_count 2
		.amdhsa_user_sgpr_dispatch_ptr 0
		.amdhsa_user_sgpr_queue_ptr 0
		.amdhsa_user_sgpr_kernarg_segment_ptr 1
		.amdhsa_user_sgpr_dispatch_id 0
		.amdhsa_user_sgpr_kernarg_preload_length 0
		.amdhsa_user_sgpr_kernarg_preload_offset 0
		.amdhsa_user_sgpr_private_segment_size 0
		.amdhsa_wavefront_size32 1
		.amdhsa_uses_dynamic_stack 0
		.amdhsa_enable_private_segment 0
		.amdhsa_system_sgpr_workgroup_id_x 1
		.amdhsa_system_sgpr_workgroup_id_y 0
		.amdhsa_system_sgpr_workgroup_id_z 0
		.amdhsa_system_sgpr_workgroup_info 0
		.amdhsa_system_vgpr_workitem_id 0
		.amdhsa_next_free_vgpr 1
		.amdhsa_next_free_sgpr 1
		.amdhsa_named_barrier_count 0
		.amdhsa_reserve_vcc 0
		.amdhsa_float_round_mode_32 0
		.amdhsa_float_round_mode_16_64 0
		.amdhsa_float_denorm_mode_32 3
		.amdhsa_float_denorm_mode_16_64 3
		.amdhsa_fp16_overflow 0
		.amdhsa_memory_ordered 1
		.amdhsa_forward_progress 1
		.amdhsa_inst_pref_size 0
		.amdhsa_round_robin_scheduling 0
		.amdhsa_exception_fp_ieee_invalid_op 0
		.amdhsa_exception_fp_denorm_src 0
		.amdhsa_exception_fp_ieee_div_zero 0
		.amdhsa_exception_fp_ieee_overflow 0
		.amdhsa_exception_fp_ieee_underflow 0
		.amdhsa_exception_fp_ieee_inexact 0
		.amdhsa_exception_int_div_zero 0
	.end_amdhsa_kernel
	.section	.text._ZN7rocprim17ROCPRIM_400000_NS6detail17trampoline_kernelINS0_13select_configILj256ELj13ELNS0_17block_load_methodE3ELS4_3ELS4_3ELNS0_20block_scan_algorithmE0ELj4294967295EEENS1_25partition_config_selectorILNS1_17partition_subalgoE3EjNS0_10empty_typeEbEEZZNS1_14partition_implILS8_3ELb0ES6_jNS0_17counting_iteratorIjlEEPS9_SE_NS0_5tupleIJPjSE_EEENSF_IJSE_SE_EEES9_SG_JZNS1_25segmented_radix_sort_implINS0_14default_configELb0EPK6__halfPSL_PKlPlN2at6native12_GLOBAL__N_18offset_tEEE10hipError_tPvRmT1_PNSt15iterator_traitsISZ_E10value_typeET2_T3_PNS10_IS15_E10value_typeET4_jRbjT5_S1B_jjP12ihipStream_tbEUljE_EEESW_SX_SY_S15_S19_S1B_T6_T7_T9_mT8_S1D_bDpT10_ENKUlT_T0_E_clISt17integral_constantIbLb1EES1P_IbLb0EEEEDaS1L_S1M_EUlS1L_E_NS1_11comp_targetILNS1_3genE8ELNS1_11target_archE1030ELNS1_3gpuE2ELNS1_3repE0EEENS1_30default_config_static_selectorELNS0_4arch9wavefront6targetE0EEEvSZ_,"axG",@progbits,_ZN7rocprim17ROCPRIM_400000_NS6detail17trampoline_kernelINS0_13select_configILj256ELj13ELNS0_17block_load_methodE3ELS4_3ELS4_3ELNS0_20block_scan_algorithmE0ELj4294967295EEENS1_25partition_config_selectorILNS1_17partition_subalgoE3EjNS0_10empty_typeEbEEZZNS1_14partition_implILS8_3ELb0ES6_jNS0_17counting_iteratorIjlEEPS9_SE_NS0_5tupleIJPjSE_EEENSF_IJSE_SE_EEES9_SG_JZNS1_25segmented_radix_sort_implINS0_14default_configELb0EPK6__halfPSL_PKlPlN2at6native12_GLOBAL__N_18offset_tEEE10hipError_tPvRmT1_PNSt15iterator_traitsISZ_E10value_typeET2_T3_PNS10_IS15_E10value_typeET4_jRbjT5_S1B_jjP12ihipStream_tbEUljE_EEESW_SX_SY_S15_S19_S1B_T6_T7_T9_mT8_S1D_bDpT10_ENKUlT_T0_E_clISt17integral_constantIbLb1EES1P_IbLb0EEEEDaS1L_S1M_EUlS1L_E_NS1_11comp_targetILNS1_3genE8ELNS1_11target_archE1030ELNS1_3gpuE2ELNS1_3repE0EEENS1_30default_config_static_selectorELNS0_4arch9wavefront6targetE0EEEvSZ_,comdat
.Lfunc_end1823:
	.size	_ZN7rocprim17ROCPRIM_400000_NS6detail17trampoline_kernelINS0_13select_configILj256ELj13ELNS0_17block_load_methodE3ELS4_3ELS4_3ELNS0_20block_scan_algorithmE0ELj4294967295EEENS1_25partition_config_selectorILNS1_17partition_subalgoE3EjNS0_10empty_typeEbEEZZNS1_14partition_implILS8_3ELb0ES6_jNS0_17counting_iteratorIjlEEPS9_SE_NS0_5tupleIJPjSE_EEENSF_IJSE_SE_EEES9_SG_JZNS1_25segmented_radix_sort_implINS0_14default_configELb0EPK6__halfPSL_PKlPlN2at6native12_GLOBAL__N_18offset_tEEE10hipError_tPvRmT1_PNSt15iterator_traitsISZ_E10value_typeET2_T3_PNS10_IS15_E10value_typeET4_jRbjT5_S1B_jjP12ihipStream_tbEUljE_EEESW_SX_SY_S15_S19_S1B_T6_T7_T9_mT8_S1D_bDpT10_ENKUlT_T0_E_clISt17integral_constantIbLb1EES1P_IbLb0EEEEDaS1L_S1M_EUlS1L_E_NS1_11comp_targetILNS1_3genE8ELNS1_11target_archE1030ELNS1_3gpuE2ELNS1_3repE0EEENS1_30default_config_static_selectorELNS0_4arch9wavefront6targetE0EEEvSZ_, .Lfunc_end1823-_ZN7rocprim17ROCPRIM_400000_NS6detail17trampoline_kernelINS0_13select_configILj256ELj13ELNS0_17block_load_methodE3ELS4_3ELS4_3ELNS0_20block_scan_algorithmE0ELj4294967295EEENS1_25partition_config_selectorILNS1_17partition_subalgoE3EjNS0_10empty_typeEbEEZZNS1_14partition_implILS8_3ELb0ES6_jNS0_17counting_iteratorIjlEEPS9_SE_NS0_5tupleIJPjSE_EEENSF_IJSE_SE_EEES9_SG_JZNS1_25segmented_radix_sort_implINS0_14default_configELb0EPK6__halfPSL_PKlPlN2at6native12_GLOBAL__N_18offset_tEEE10hipError_tPvRmT1_PNSt15iterator_traitsISZ_E10value_typeET2_T3_PNS10_IS15_E10value_typeET4_jRbjT5_S1B_jjP12ihipStream_tbEUljE_EEESW_SX_SY_S15_S19_S1B_T6_T7_T9_mT8_S1D_bDpT10_ENKUlT_T0_E_clISt17integral_constantIbLb1EES1P_IbLb0EEEEDaS1L_S1M_EUlS1L_E_NS1_11comp_targetILNS1_3genE8ELNS1_11target_archE1030ELNS1_3gpuE2ELNS1_3repE0EEENS1_30default_config_static_selectorELNS0_4arch9wavefront6targetE0EEEvSZ_
                                        ; -- End function
	.set _ZN7rocprim17ROCPRIM_400000_NS6detail17trampoline_kernelINS0_13select_configILj256ELj13ELNS0_17block_load_methodE3ELS4_3ELS4_3ELNS0_20block_scan_algorithmE0ELj4294967295EEENS1_25partition_config_selectorILNS1_17partition_subalgoE3EjNS0_10empty_typeEbEEZZNS1_14partition_implILS8_3ELb0ES6_jNS0_17counting_iteratorIjlEEPS9_SE_NS0_5tupleIJPjSE_EEENSF_IJSE_SE_EEES9_SG_JZNS1_25segmented_radix_sort_implINS0_14default_configELb0EPK6__halfPSL_PKlPlN2at6native12_GLOBAL__N_18offset_tEEE10hipError_tPvRmT1_PNSt15iterator_traitsISZ_E10value_typeET2_T3_PNS10_IS15_E10value_typeET4_jRbjT5_S1B_jjP12ihipStream_tbEUljE_EEESW_SX_SY_S15_S19_S1B_T6_T7_T9_mT8_S1D_bDpT10_ENKUlT_T0_E_clISt17integral_constantIbLb1EES1P_IbLb0EEEEDaS1L_S1M_EUlS1L_E_NS1_11comp_targetILNS1_3genE8ELNS1_11target_archE1030ELNS1_3gpuE2ELNS1_3repE0EEENS1_30default_config_static_selectorELNS0_4arch9wavefront6targetE0EEEvSZ_.num_vgpr, 0
	.set _ZN7rocprim17ROCPRIM_400000_NS6detail17trampoline_kernelINS0_13select_configILj256ELj13ELNS0_17block_load_methodE3ELS4_3ELS4_3ELNS0_20block_scan_algorithmE0ELj4294967295EEENS1_25partition_config_selectorILNS1_17partition_subalgoE3EjNS0_10empty_typeEbEEZZNS1_14partition_implILS8_3ELb0ES6_jNS0_17counting_iteratorIjlEEPS9_SE_NS0_5tupleIJPjSE_EEENSF_IJSE_SE_EEES9_SG_JZNS1_25segmented_radix_sort_implINS0_14default_configELb0EPK6__halfPSL_PKlPlN2at6native12_GLOBAL__N_18offset_tEEE10hipError_tPvRmT1_PNSt15iterator_traitsISZ_E10value_typeET2_T3_PNS10_IS15_E10value_typeET4_jRbjT5_S1B_jjP12ihipStream_tbEUljE_EEESW_SX_SY_S15_S19_S1B_T6_T7_T9_mT8_S1D_bDpT10_ENKUlT_T0_E_clISt17integral_constantIbLb1EES1P_IbLb0EEEEDaS1L_S1M_EUlS1L_E_NS1_11comp_targetILNS1_3genE8ELNS1_11target_archE1030ELNS1_3gpuE2ELNS1_3repE0EEENS1_30default_config_static_selectorELNS0_4arch9wavefront6targetE0EEEvSZ_.num_agpr, 0
	.set _ZN7rocprim17ROCPRIM_400000_NS6detail17trampoline_kernelINS0_13select_configILj256ELj13ELNS0_17block_load_methodE3ELS4_3ELS4_3ELNS0_20block_scan_algorithmE0ELj4294967295EEENS1_25partition_config_selectorILNS1_17partition_subalgoE3EjNS0_10empty_typeEbEEZZNS1_14partition_implILS8_3ELb0ES6_jNS0_17counting_iteratorIjlEEPS9_SE_NS0_5tupleIJPjSE_EEENSF_IJSE_SE_EEES9_SG_JZNS1_25segmented_radix_sort_implINS0_14default_configELb0EPK6__halfPSL_PKlPlN2at6native12_GLOBAL__N_18offset_tEEE10hipError_tPvRmT1_PNSt15iterator_traitsISZ_E10value_typeET2_T3_PNS10_IS15_E10value_typeET4_jRbjT5_S1B_jjP12ihipStream_tbEUljE_EEESW_SX_SY_S15_S19_S1B_T6_T7_T9_mT8_S1D_bDpT10_ENKUlT_T0_E_clISt17integral_constantIbLb1EES1P_IbLb0EEEEDaS1L_S1M_EUlS1L_E_NS1_11comp_targetILNS1_3genE8ELNS1_11target_archE1030ELNS1_3gpuE2ELNS1_3repE0EEENS1_30default_config_static_selectorELNS0_4arch9wavefront6targetE0EEEvSZ_.numbered_sgpr, 0
	.set _ZN7rocprim17ROCPRIM_400000_NS6detail17trampoline_kernelINS0_13select_configILj256ELj13ELNS0_17block_load_methodE3ELS4_3ELS4_3ELNS0_20block_scan_algorithmE0ELj4294967295EEENS1_25partition_config_selectorILNS1_17partition_subalgoE3EjNS0_10empty_typeEbEEZZNS1_14partition_implILS8_3ELb0ES6_jNS0_17counting_iteratorIjlEEPS9_SE_NS0_5tupleIJPjSE_EEENSF_IJSE_SE_EEES9_SG_JZNS1_25segmented_radix_sort_implINS0_14default_configELb0EPK6__halfPSL_PKlPlN2at6native12_GLOBAL__N_18offset_tEEE10hipError_tPvRmT1_PNSt15iterator_traitsISZ_E10value_typeET2_T3_PNS10_IS15_E10value_typeET4_jRbjT5_S1B_jjP12ihipStream_tbEUljE_EEESW_SX_SY_S15_S19_S1B_T6_T7_T9_mT8_S1D_bDpT10_ENKUlT_T0_E_clISt17integral_constantIbLb1EES1P_IbLb0EEEEDaS1L_S1M_EUlS1L_E_NS1_11comp_targetILNS1_3genE8ELNS1_11target_archE1030ELNS1_3gpuE2ELNS1_3repE0EEENS1_30default_config_static_selectorELNS0_4arch9wavefront6targetE0EEEvSZ_.num_named_barrier, 0
	.set _ZN7rocprim17ROCPRIM_400000_NS6detail17trampoline_kernelINS0_13select_configILj256ELj13ELNS0_17block_load_methodE3ELS4_3ELS4_3ELNS0_20block_scan_algorithmE0ELj4294967295EEENS1_25partition_config_selectorILNS1_17partition_subalgoE3EjNS0_10empty_typeEbEEZZNS1_14partition_implILS8_3ELb0ES6_jNS0_17counting_iteratorIjlEEPS9_SE_NS0_5tupleIJPjSE_EEENSF_IJSE_SE_EEES9_SG_JZNS1_25segmented_radix_sort_implINS0_14default_configELb0EPK6__halfPSL_PKlPlN2at6native12_GLOBAL__N_18offset_tEEE10hipError_tPvRmT1_PNSt15iterator_traitsISZ_E10value_typeET2_T3_PNS10_IS15_E10value_typeET4_jRbjT5_S1B_jjP12ihipStream_tbEUljE_EEESW_SX_SY_S15_S19_S1B_T6_T7_T9_mT8_S1D_bDpT10_ENKUlT_T0_E_clISt17integral_constantIbLb1EES1P_IbLb0EEEEDaS1L_S1M_EUlS1L_E_NS1_11comp_targetILNS1_3genE8ELNS1_11target_archE1030ELNS1_3gpuE2ELNS1_3repE0EEENS1_30default_config_static_selectorELNS0_4arch9wavefront6targetE0EEEvSZ_.private_seg_size, 0
	.set _ZN7rocprim17ROCPRIM_400000_NS6detail17trampoline_kernelINS0_13select_configILj256ELj13ELNS0_17block_load_methodE3ELS4_3ELS4_3ELNS0_20block_scan_algorithmE0ELj4294967295EEENS1_25partition_config_selectorILNS1_17partition_subalgoE3EjNS0_10empty_typeEbEEZZNS1_14partition_implILS8_3ELb0ES6_jNS0_17counting_iteratorIjlEEPS9_SE_NS0_5tupleIJPjSE_EEENSF_IJSE_SE_EEES9_SG_JZNS1_25segmented_radix_sort_implINS0_14default_configELb0EPK6__halfPSL_PKlPlN2at6native12_GLOBAL__N_18offset_tEEE10hipError_tPvRmT1_PNSt15iterator_traitsISZ_E10value_typeET2_T3_PNS10_IS15_E10value_typeET4_jRbjT5_S1B_jjP12ihipStream_tbEUljE_EEESW_SX_SY_S15_S19_S1B_T6_T7_T9_mT8_S1D_bDpT10_ENKUlT_T0_E_clISt17integral_constantIbLb1EES1P_IbLb0EEEEDaS1L_S1M_EUlS1L_E_NS1_11comp_targetILNS1_3genE8ELNS1_11target_archE1030ELNS1_3gpuE2ELNS1_3repE0EEENS1_30default_config_static_selectorELNS0_4arch9wavefront6targetE0EEEvSZ_.uses_vcc, 0
	.set _ZN7rocprim17ROCPRIM_400000_NS6detail17trampoline_kernelINS0_13select_configILj256ELj13ELNS0_17block_load_methodE3ELS4_3ELS4_3ELNS0_20block_scan_algorithmE0ELj4294967295EEENS1_25partition_config_selectorILNS1_17partition_subalgoE3EjNS0_10empty_typeEbEEZZNS1_14partition_implILS8_3ELb0ES6_jNS0_17counting_iteratorIjlEEPS9_SE_NS0_5tupleIJPjSE_EEENSF_IJSE_SE_EEES9_SG_JZNS1_25segmented_radix_sort_implINS0_14default_configELb0EPK6__halfPSL_PKlPlN2at6native12_GLOBAL__N_18offset_tEEE10hipError_tPvRmT1_PNSt15iterator_traitsISZ_E10value_typeET2_T3_PNS10_IS15_E10value_typeET4_jRbjT5_S1B_jjP12ihipStream_tbEUljE_EEESW_SX_SY_S15_S19_S1B_T6_T7_T9_mT8_S1D_bDpT10_ENKUlT_T0_E_clISt17integral_constantIbLb1EES1P_IbLb0EEEEDaS1L_S1M_EUlS1L_E_NS1_11comp_targetILNS1_3genE8ELNS1_11target_archE1030ELNS1_3gpuE2ELNS1_3repE0EEENS1_30default_config_static_selectorELNS0_4arch9wavefront6targetE0EEEvSZ_.uses_flat_scratch, 0
	.set _ZN7rocprim17ROCPRIM_400000_NS6detail17trampoline_kernelINS0_13select_configILj256ELj13ELNS0_17block_load_methodE3ELS4_3ELS4_3ELNS0_20block_scan_algorithmE0ELj4294967295EEENS1_25partition_config_selectorILNS1_17partition_subalgoE3EjNS0_10empty_typeEbEEZZNS1_14partition_implILS8_3ELb0ES6_jNS0_17counting_iteratorIjlEEPS9_SE_NS0_5tupleIJPjSE_EEENSF_IJSE_SE_EEES9_SG_JZNS1_25segmented_radix_sort_implINS0_14default_configELb0EPK6__halfPSL_PKlPlN2at6native12_GLOBAL__N_18offset_tEEE10hipError_tPvRmT1_PNSt15iterator_traitsISZ_E10value_typeET2_T3_PNS10_IS15_E10value_typeET4_jRbjT5_S1B_jjP12ihipStream_tbEUljE_EEESW_SX_SY_S15_S19_S1B_T6_T7_T9_mT8_S1D_bDpT10_ENKUlT_T0_E_clISt17integral_constantIbLb1EES1P_IbLb0EEEEDaS1L_S1M_EUlS1L_E_NS1_11comp_targetILNS1_3genE8ELNS1_11target_archE1030ELNS1_3gpuE2ELNS1_3repE0EEENS1_30default_config_static_selectorELNS0_4arch9wavefront6targetE0EEEvSZ_.has_dyn_sized_stack, 0
	.set _ZN7rocprim17ROCPRIM_400000_NS6detail17trampoline_kernelINS0_13select_configILj256ELj13ELNS0_17block_load_methodE3ELS4_3ELS4_3ELNS0_20block_scan_algorithmE0ELj4294967295EEENS1_25partition_config_selectorILNS1_17partition_subalgoE3EjNS0_10empty_typeEbEEZZNS1_14partition_implILS8_3ELb0ES6_jNS0_17counting_iteratorIjlEEPS9_SE_NS0_5tupleIJPjSE_EEENSF_IJSE_SE_EEES9_SG_JZNS1_25segmented_radix_sort_implINS0_14default_configELb0EPK6__halfPSL_PKlPlN2at6native12_GLOBAL__N_18offset_tEEE10hipError_tPvRmT1_PNSt15iterator_traitsISZ_E10value_typeET2_T3_PNS10_IS15_E10value_typeET4_jRbjT5_S1B_jjP12ihipStream_tbEUljE_EEESW_SX_SY_S15_S19_S1B_T6_T7_T9_mT8_S1D_bDpT10_ENKUlT_T0_E_clISt17integral_constantIbLb1EES1P_IbLb0EEEEDaS1L_S1M_EUlS1L_E_NS1_11comp_targetILNS1_3genE8ELNS1_11target_archE1030ELNS1_3gpuE2ELNS1_3repE0EEENS1_30default_config_static_selectorELNS0_4arch9wavefront6targetE0EEEvSZ_.has_recursion, 0
	.set _ZN7rocprim17ROCPRIM_400000_NS6detail17trampoline_kernelINS0_13select_configILj256ELj13ELNS0_17block_load_methodE3ELS4_3ELS4_3ELNS0_20block_scan_algorithmE0ELj4294967295EEENS1_25partition_config_selectorILNS1_17partition_subalgoE3EjNS0_10empty_typeEbEEZZNS1_14partition_implILS8_3ELb0ES6_jNS0_17counting_iteratorIjlEEPS9_SE_NS0_5tupleIJPjSE_EEENSF_IJSE_SE_EEES9_SG_JZNS1_25segmented_radix_sort_implINS0_14default_configELb0EPK6__halfPSL_PKlPlN2at6native12_GLOBAL__N_18offset_tEEE10hipError_tPvRmT1_PNSt15iterator_traitsISZ_E10value_typeET2_T3_PNS10_IS15_E10value_typeET4_jRbjT5_S1B_jjP12ihipStream_tbEUljE_EEESW_SX_SY_S15_S19_S1B_T6_T7_T9_mT8_S1D_bDpT10_ENKUlT_T0_E_clISt17integral_constantIbLb1EES1P_IbLb0EEEEDaS1L_S1M_EUlS1L_E_NS1_11comp_targetILNS1_3genE8ELNS1_11target_archE1030ELNS1_3gpuE2ELNS1_3repE0EEENS1_30default_config_static_selectorELNS0_4arch9wavefront6targetE0EEEvSZ_.has_indirect_call, 0
	.section	.AMDGPU.csdata,"",@progbits
; Kernel info:
; codeLenInByte = 0
; TotalNumSgprs: 0
; NumVgprs: 0
; ScratchSize: 0
; MemoryBound: 0
; FloatMode: 240
; IeeeMode: 1
; LDSByteSize: 0 bytes/workgroup (compile time only)
; SGPRBlocks: 0
; VGPRBlocks: 0
; NumSGPRsForWavesPerEU: 1
; NumVGPRsForWavesPerEU: 1
; NamedBarCnt: 0
; Occupancy: 16
; WaveLimiterHint : 0
; COMPUTE_PGM_RSRC2:SCRATCH_EN: 0
; COMPUTE_PGM_RSRC2:USER_SGPR: 2
; COMPUTE_PGM_RSRC2:TRAP_HANDLER: 0
; COMPUTE_PGM_RSRC2:TGID_X_EN: 1
; COMPUTE_PGM_RSRC2:TGID_Y_EN: 0
; COMPUTE_PGM_RSRC2:TGID_Z_EN: 0
; COMPUTE_PGM_RSRC2:TIDIG_COMP_CNT: 0
	.section	.text._ZN7rocprim17ROCPRIM_400000_NS6detail17trampoline_kernelINS0_13select_configILj256ELj13ELNS0_17block_load_methodE3ELS4_3ELS4_3ELNS0_20block_scan_algorithmE0ELj4294967295EEENS1_25partition_config_selectorILNS1_17partition_subalgoE3EjNS0_10empty_typeEbEEZZNS1_14partition_implILS8_3ELb0ES6_jNS0_17counting_iteratorIjlEEPS9_SE_NS0_5tupleIJPjSE_EEENSF_IJSE_SE_EEES9_SG_JZNS1_25segmented_radix_sort_implINS0_14default_configELb0EPK6__halfPSL_PKlPlN2at6native12_GLOBAL__N_18offset_tEEE10hipError_tPvRmT1_PNSt15iterator_traitsISZ_E10value_typeET2_T3_PNS10_IS15_E10value_typeET4_jRbjT5_S1B_jjP12ihipStream_tbEUljE_EEESW_SX_SY_S15_S19_S1B_T6_T7_T9_mT8_S1D_bDpT10_ENKUlT_T0_E_clISt17integral_constantIbLb0EES1P_IbLb1EEEEDaS1L_S1M_EUlS1L_E_NS1_11comp_targetILNS1_3genE0ELNS1_11target_archE4294967295ELNS1_3gpuE0ELNS1_3repE0EEENS1_30default_config_static_selectorELNS0_4arch9wavefront6targetE0EEEvSZ_,"axG",@progbits,_ZN7rocprim17ROCPRIM_400000_NS6detail17trampoline_kernelINS0_13select_configILj256ELj13ELNS0_17block_load_methodE3ELS4_3ELS4_3ELNS0_20block_scan_algorithmE0ELj4294967295EEENS1_25partition_config_selectorILNS1_17partition_subalgoE3EjNS0_10empty_typeEbEEZZNS1_14partition_implILS8_3ELb0ES6_jNS0_17counting_iteratorIjlEEPS9_SE_NS0_5tupleIJPjSE_EEENSF_IJSE_SE_EEES9_SG_JZNS1_25segmented_radix_sort_implINS0_14default_configELb0EPK6__halfPSL_PKlPlN2at6native12_GLOBAL__N_18offset_tEEE10hipError_tPvRmT1_PNSt15iterator_traitsISZ_E10value_typeET2_T3_PNS10_IS15_E10value_typeET4_jRbjT5_S1B_jjP12ihipStream_tbEUljE_EEESW_SX_SY_S15_S19_S1B_T6_T7_T9_mT8_S1D_bDpT10_ENKUlT_T0_E_clISt17integral_constantIbLb0EES1P_IbLb1EEEEDaS1L_S1M_EUlS1L_E_NS1_11comp_targetILNS1_3genE0ELNS1_11target_archE4294967295ELNS1_3gpuE0ELNS1_3repE0EEENS1_30default_config_static_selectorELNS0_4arch9wavefront6targetE0EEEvSZ_,comdat
	.globl	_ZN7rocprim17ROCPRIM_400000_NS6detail17trampoline_kernelINS0_13select_configILj256ELj13ELNS0_17block_load_methodE3ELS4_3ELS4_3ELNS0_20block_scan_algorithmE0ELj4294967295EEENS1_25partition_config_selectorILNS1_17partition_subalgoE3EjNS0_10empty_typeEbEEZZNS1_14partition_implILS8_3ELb0ES6_jNS0_17counting_iteratorIjlEEPS9_SE_NS0_5tupleIJPjSE_EEENSF_IJSE_SE_EEES9_SG_JZNS1_25segmented_radix_sort_implINS0_14default_configELb0EPK6__halfPSL_PKlPlN2at6native12_GLOBAL__N_18offset_tEEE10hipError_tPvRmT1_PNSt15iterator_traitsISZ_E10value_typeET2_T3_PNS10_IS15_E10value_typeET4_jRbjT5_S1B_jjP12ihipStream_tbEUljE_EEESW_SX_SY_S15_S19_S1B_T6_T7_T9_mT8_S1D_bDpT10_ENKUlT_T0_E_clISt17integral_constantIbLb0EES1P_IbLb1EEEEDaS1L_S1M_EUlS1L_E_NS1_11comp_targetILNS1_3genE0ELNS1_11target_archE4294967295ELNS1_3gpuE0ELNS1_3repE0EEENS1_30default_config_static_selectorELNS0_4arch9wavefront6targetE0EEEvSZ_ ; -- Begin function _ZN7rocprim17ROCPRIM_400000_NS6detail17trampoline_kernelINS0_13select_configILj256ELj13ELNS0_17block_load_methodE3ELS4_3ELS4_3ELNS0_20block_scan_algorithmE0ELj4294967295EEENS1_25partition_config_selectorILNS1_17partition_subalgoE3EjNS0_10empty_typeEbEEZZNS1_14partition_implILS8_3ELb0ES6_jNS0_17counting_iteratorIjlEEPS9_SE_NS0_5tupleIJPjSE_EEENSF_IJSE_SE_EEES9_SG_JZNS1_25segmented_radix_sort_implINS0_14default_configELb0EPK6__halfPSL_PKlPlN2at6native12_GLOBAL__N_18offset_tEEE10hipError_tPvRmT1_PNSt15iterator_traitsISZ_E10value_typeET2_T3_PNS10_IS15_E10value_typeET4_jRbjT5_S1B_jjP12ihipStream_tbEUljE_EEESW_SX_SY_S15_S19_S1B_T6_T7_T9_mT8_S1D_bDpT10_ENKUlT_T0_E_clISt17integral_constantIbLb0EES1P_IbLb1EEEEDaS1L_S1M_EUlS1L_E_NS1_11comp_targetILNS1_3genE0ELNS1_11target_archE4294967295ELNS1_3gpuE0ELNS1_3repE0EEENS1_30default_config_static_selectorELNS0_4arch9wavefront6targetE0EEEvSZ_
	.p2align	8
	.type	_ZN7rocprim17ROCPRIM_400000_NS6detail17trampoline_kernelINS0_13select_configILj256ELj13ELNS0_17block_load_methodE3ELS4_3ELS4_3ELNS0_20block_scan_algorithmE0ELj4294967295EEENS1_25partition_config_selectorILNS1_17partition_subalgoE3EjNS0_10empty_typeEbEEZZNS1_14partition_implILS8_3ELb0ES6_jNS0_17counting_iteratorIjlEEPS9_SE_NS0_5tupleIJPjSE_EEENSF_IJSE_SE_EEES9_SG_JZNS1_25segmented_radix_sort_implINS0_14default_configELb0EPK6__halfPSL_PKlPlN2at6native12_GLOBAL__N_18offset_tEEE10hipError_tPvRmT1_PNSt15iterator_traitsISZ_E10value_typeET2_T3_PNS10_IS15_E10value_typeET4_jRbjT5_S1B_jjP12ihipStream_tbEUljE_EEESW_SX_SY_S15_S19_S1B_T6_T7_T9_mT8_S1D_bDpT10_ENKUlT_T0_E_clISt17integral_constantIbLb0EES1P_IbLb1EEEEDaS1L_S1M_EUlS1L_E_NS1_11comp_targetILNS1_3genE0ELNS1_11target_archE4294967295ELNS1_3gpuE0ELNS1_3repE0EEENS1_30default_config_static_selectorELNS0_4arch9wavefront6targetE0EEEvSZ_,@function
_ZN7rocprim17ROCPRIM_400000_NS6detail17trampoline_kernelINS0_13select_configILj256ELj13ELNS0_17block_load_methodE3ELS4_3ELS4_3ELNS0_20block_scan_algorithmE0ELj4294967295EEENS1_25partition_config_selectorILNS1_17partition_subalgoE3EjNS0_10empty_typeEbEEZZNS1_14partition_implILS8_3ELb0ES6_jNS0_17counting_iteratorIjlEEPS9_SE_NS0_5tupleIJPjSE_EEENSF_IJSE_SE_EEES9_SG_JZNS1_25segmented_radix_sort_implINS0_14default_configELb0EPK6__halfPSL_PKlPlN2at6native12_GLOBAL__N_18offset_tEEE10hipError_tPvRmT1_PNSt15iterator_traitsISZ_E10value_typeET2_T3_PNS10_IS15_E10value_typeET4_jRbjT5_S1B_jjP12ihipStream_tbEUljE_EEESW_SX_SY_S15_S19_S1B_T6_T7_T9_mT8_S1D_bDpT10_ENKUlT_T0_E_clISt17integral_constantIbLb0EES1P_IbLb1EEEEDaS1L_S1M_EUlS1L_E_NS1_11comp_targetILNS1_3genE0ELNS1_11target_archE4294967295ELNS1_3gpuE0ELNS1_3repE0EEENS1_30default_config_static_selectorELNS0_4arch9wavefront6targetE0EEEvSZ_: ; @_ZN7rocprim17ROCPRIM_400000_NS6detail17trampoline_kernelINS0_13select_configILj256ELj13ELNS0_17block_load_methodE3ELS4_3ELS4_3ELNS0_20block_scan_algorithmE0ELj4294967295EEENS1_25partition_config_selectorILNS1_17partition_subalgoE3EjNS0_10empty_typeEbEEZZNS1_14partition_implILS8_3ELb0ES6_jNS0_17counting_iteratorIjlEEPS9_SE_NS0_5tupleIJPjSE_EEENSF_IJSE_SE_EEES9_SG_JZNS1_25segmented_radix_sort_implINS0_14default_configELb0EPK6__halfPSL_PKlPlN2at6native12_GLOBAL__N_18offset_tEEE10hipError_tPvRmT1_PNSt15iterator_traitsISZ_E10value_typeET2_T3_PNS10_IS15_E10value_typeET4_jRbjT5_S1B_jjP12ihipStream_tbEUljE_EEESW_SX_SY_S15_S19_S1B_T6_T7_T9_mT8_S1D_bDpT10_ENKUlT_T0_E_clISt17integral_constantIbLb0EES1P_IbLb1EEEEDaS1L_S1M_EUlS1L_E_NS1_11comp_targetILNS1_3genE0ELNS1_11target_archE4294967295ELNS1_3gpuE0ELNS1_3repE0EEENS1_30default_config_static_selectorELNS0_4arch9wavefront6targetE0EEEvSZ_
; %bb.0:
	s_clause 0x5
	s_load_b64 s[16:17], s[0:1], 0x10
	s_load_b128 s[12:15], s[0:1], 0x48
	s_load_b64 s[18:19], s[0:1], 0x58
	s_load_b64 s[20:21], s[0:1], 0x68
	s_load_b32 s3, s[0:1], 0x90
	s_load_b128 s[4:7], s[0:1], 0x80
	v_cmp_eq_u32_e64 s2, 0, v0
	s_and_saveexec_b32 s8, s2
	s_cbranch_execz .LBB1824_4
; %bb.1:
	s_mov_b32 s10, exec_lo
	s_mov_b32 s9, exec_lo
	v_mbcnt_lo_u32_b32 v1, s10, 0
                                        ; implicit-def: $vgpr2
	s_delay_alu instid0(VALU_DEP_1)
	v_cmpx_eq_u32_e32 0, v1
	s_cbranch_execz .LBB1824_3
; %bb.2:
	s_load_b64 s[22:23], s[0:1], 0x78
	s_bcnt1_i32_b32 s10, s10
	s_delay_alu instid0(SALU_CYCLE_1)
	v_dual_mov_b32 v2, 0 :: v_dual_mov_b32 v3, s10
	s_wait_xcnt 0x0
	s_wait_kmcnt 0x0
	global_atomic_add_u32 v2, v2, v3, s[22:23] th:TH_ATOMIC_RETURN scope:SCOPE_DEV
.LBB1824_3:
	s_wait_xcnt 0x0
	s_or_b32 exec_lo, exec_lo, s9
	s_wait_loadcnt 0x0
	v_readfirstlane_b32 s9, v2
	s_delay_alu instid0(VALU_DEP_1)
	v_dual_mov_b32 v2, 0 :: v_dual_add_nc_u32 v1, s9, v1
	ds_store_b32 v2, v1
.LBB1824_4:
	s_or_b32 exec_lo, exec_lo, s8
	v_dual_mov_b32 v1, 0 :: v_dual_lshlrev_b32 v19, 2, v0
	s_clause 0x2
	s_load_b32 s8, s[0:1], 0x8
	s_load_b64 s[10:11], s[0:1], 0x28
	s_load_b32 s9, s[0:1], 0x70
	s_wait_dscnt 0x0
	s_barrier_signal -1
	s_barrier_wait -1
	ds_load_b32 v4, v1
	s_wait_dscnt 0x0
	s_barrier_signal -1
	s_barrier_wait -1
	s_wait_kmcnt 0x0
	global_load_b64 v[42:43], v1, s[14:15]
	s_mov_b32 s1, 0
	s_add_co_i32 s8, s8, s16
	s_mul_i32 s0, s9, 0xd00
	s_add_co_i32 s9, s9, -1
	s_wait_xcnt 0x0
	s_add_nc_u64 s[14:15], s[16:17], s[0:1]
	s_add_co_i32 s0, s0, s16
	v_cmp_gt_u64_e64 s1, s[18:19], s[14:15]
	v_readfirstlane_b32 s23, v4
	s_sub_co_i32 s22, s18, s0
	v_cmp_ne_u32_e32 vcc_lo, s9, v4
	s_addk_co_i32 s22, 0xd00
	s_mov_b32 s15, -1
	s_cmp_eq_u32 s23, s9
	s_mul_i32 s14, s23, 0xd00
	s_cselect_b32 s9, -1, 0
	s_or_b32 s1, s1, vcc_lo
	s_delay_alu instid0(SALU_CYCLE_1)
	s_and_b32 vcc_lo, exec_lo, s1
	s_cbranch_vccz .LBB1824_6
; %bb.5:
	v_add3_u32 v1, s14, s8, v0
	s_mov_b32 s15, 0
	s_delay_alu instid0(VALU_DEP_1)
	v_add_nc_u32_e32 v2, 0x100, v1
	v_add_nc_u32_e32 v3, 0x200, v1
	;; [unrolled: 1-line block ×12, first 2 shown]
	ds_store_2addr_stride64_b32 v19, v1, v2 offset1:4
	ds_store_2addr_stride64_b32 v19, v3, v5 offset0:8 offset1:12
	ds_store_2addr_stride64_b32 v19, v6, v7 offset0:16 offset1:20
	;; [unrolled: 1-line block ×5, first 2 shown]
	ds_store_b32 v19, v14 offset:12288
	s_wait_loadcnt_dscnt 0x0
	s_barrier_signal -1
	s_barrier_wait -1
.LBB1824_6:
	v_cmp_gt_u32_e64 s0, s22, v0
	v_or_b32_e32 v40, 0x100, v0
	v_or_b32_e32 v38, 0x200, v0
	v_or_b32_e32 v36, 0x300, v0
	v_or_b32_e32 v34, 0x400, v0
	v_or_b32_e32 v32, 0x500, v0
	v_or_b32_e32 v30, 0x600, v0
	v_or_b32_e32 v28, 0x700, v0
	v_or_b32_e32 v26, 0x800, v0
	v_or_b32_e32 v24, 0x900, v0
	v_or_b32_e32 v22, 0xa00, v0
	v_or_b32_e32 v20, 0xb00, v0
	v_or_b32_e32 v18, 0xc00, v0
	s_and_not1_b32 vcc_lo, exec_lo, s15
	s_cbranch_vccnz .LBB1824_8
; %bb.7:
	s_add_co_i32 s8, s14, s8
	v_cmp_gt_u32_e32 vcc_lo, s22, v40
	v_dual_add_nc_u32 v1, s8, v0 :: v_dual_add_nc_u32 v3, s8, v38
	v_dual_add_nc_u32 v2, s8, v40 :: v_dual_add_nc_u32 v8, s8, v30
	s_delay_alu instid0(VALU_DEP_2) | instskip(NEXT) | instid1(VALU_DEP_2)
	v_dual_add_nc_u32 v9, s8, v28 :: v_dual_cndmask_b32 v1, 0, v1, s0
	v_dual_cndmask_b32 v2, 0, v2 :: v_dual_add_nc_u32 v5, s8, v36
	v_cmp_gt_u32_e32 vcc_lo, s22, v38
	v_dual_add_nc_u32 v12, s8, v22 :: v_dual_add_nc_u32 v13, s8, v20
	v_dual_add_nc_u32 v6, s8, v34 :: v_dual_add_nc_u32 v7, s8, v32
	v_cndmask_b32_e32 v3, 0, v3, vcc_lo
	v_cmp_gt_u32_e32 vcc_lo, s22, v36
	v_dual_add_nc_u32 v10, s8, v26 :: v_dual_add_nc_u32 v11, s8, v24
	v_cndmask_b32_e32 v5, 0, v5, vcc_lo
	v_cmp_gt_u32_e32 vcc_lo, s22, v34
	v_cndmask_b32_e32 v6, 0, v6, vcc_lo
	v_cmp_gt_u32_e32 vcc_lo, s22, v32
	v_cndmask_b32_e32 v7, 0, v7, vcc_lo
	v_cmp_gt_u32_e32 vcc_lo, s22, v30
	v_cndmask_b32_e32 v8, 0, v8, vcc_lo
	v_cmp_gt_u32_e32 vcc_lo, s22, v28
	v_cndmask_b32_e32 v9, 0, v9, vcc_lo
	v_cmp_gt_u32_e32 vcc_lo, s22, v26
	v_cndmask_b32_e32 v10, 0, v10, vcc_lo
	v_cmp_gt_u32_e32 vcc_lo, s22, v24
	v_cndmask_b32_e32 v11, 0, v11, vcc_lo
	v_cmp_gt_u32_e32 vcc_lo, s22, v22
	v_dual_add_nc_u32 v14, s8, v18 :: v_dual_cndmask_b32 v12, 0, v12, vcc_lo
	v_cmp_gt_u32_e32 vcc_lo, s22, v20
	v_cndmask_b32_e32 v13, 0, v13, vcc_lo
	v_cmp_gt_u32_e32 vcc_lo, s22, v18
	s_delay_alu instid0(VALU_DEP_4)
	v_cndmask_b32_e32 v14, 0, v14, vcc_lo
	ds_store_2addr_stride64_b32 v19, v1, v2 offset1:4
	ds_store_2addr_stride64_b32 v19, v3, v5 offset0:8 offset1:12
	ds_store_2addr_stride64_b32 v19, v6, v7 offset0:16 offset1:20
	;; [unrolled: 1-line block ×5, first 2 shown]
	ds_store_b32 v19, v14 offset:12288
	s_wait_loadcnt_dscnt 0x0
	s_barrier_signal -1
	s_barrier_wait -1
.LBB1824_8:
	v_mul_u32_u24_e32 v23, 13, v0
	s_wait_loadcnt 0x0
	v_cndmask_b32_e64 v21, 0, 1, s1
	s_and_not1_b32 vcc_lo, exec_lo, s1
	s_delay_alu instid0(VALU_DEP_2)
	v_lshlrev_b32_e32 v2, 2, v23
	ds_load_2addr_b32 v[52:53], v2 offset0:2 offset1:3
	ds_load_2addr_b32 v[48:49], v2 offset0:6 offset1:7
	;; [unrolled: 1-line block ×3, first 2 shown]
	ds_load_2addr_b32 v[54:55], v2 offset1:1
	ds_load_2addr_b32 v[44:45], v2 offset0:10 offset1:11
	ds_load_b32 v1, v2 offset:48
	ds_load_2addr_b32 v[46:47], v2 offset0:8 offset1:9
	s_wait_dscnt 0x0
	s_barrier_signal -1
	s_barrier_wait -1
	s_cbranch_vccnz .LBB1824_10
; %bb.9:
	v_dual_add_nc_u32 v2, s5, v53 :: v_dual_add_nc_u32 v3, s5, v55
	v_dual_add_nc_u32 v5, s5, v54 :: v_dual_add_nc_u32 v6, s5, v52
	v_dual_add_nc_u32 v7, s7, v53 :: v_dual_add_nc_u32 v8, s7, v55
	v_dual_add_nc_u32 v9, s7, v54 :: v_dual_add_nc_u32 v10, s7, v52
	s_delay_alu instid0(VALU_DEP_3) | instskip(NEXT) | instid1(VALU_DEP_4)
	v_mul_lo_u32 v6, v6, s4
	v_mul_lo_u32 v5, v5, s4
	;; [unrolled: 1-line block ×8, first 2 shown]
	v_dual_add_nc_u32 v11, s5, v50 :: v_dual_add_nc_u32 v12, s7, v50
	v_dual_add_nc_u32 v13, s5, v48 :: v_dual_add_nc_u32 v15, s7, v45
	v_add_nc_u32_e32 v16, s5, v44
	s_delay_alu instid0(VALU_DEP_3) | instskip(NEXT) | instid1(VALU_DEP_4)
	v_mul_lo_u32 v11, v11, s4
	v_mul_lo_u32 v12, v12, s6
	v_dual_sub_nc_u32 v2, v2, v7 :: v_dual_sub_nc_u32 v3, v3, v8
	v_dual_sub_nc_u32 v5, v5, v9 :: v_dual_sub_nc_u32 v6, v6, v10
	v_dual_add_nc_u32 v7, s5, v51 :: v_dual_add_nc_u32 v8, s7, v51
	v_dual_add_nc_u32 v9, s5, v49 :: v_dual_add_nc_u32 v10, s7, v49
	s_delay_alu instid0(VALU_DEP_4) | instskip(NEXT) | instid1(VALU_DEP_3)
	v_cmp_lt_u32_e32 vcc_lo, s3, v2
	v_mul_lo_u32 v7, v7, s4
	s_delay_alu instid0(VALU_DEP_4) | instskip(NEXT) | instid1(VALU_DEP_4)
	v_mul_lo_u32 v8, v8, s6
	v_mul_lo_u32 v9, v9, s4
	;; [unrolled: 1-line block ×3, first 2 shown]
	v_cndmask_b32_e64 v2, 0, 1, vcc_lo
	v_cmp_lt_u32_e32 vcc_lo, s3, v3
	v_dual_add_nc_u32 v17, s7, v47 :: v_dual_add_nc_u32 v25, s7, v46
	v_mul_lo_u32 v15, v15, s6
	v_add_nc_u32_e32 v14, s5, v46
	v_cndmask_b32_e64 v3, 0, 1, vcc_lo
	s_delay_alu instid0(VALU_DEP_4) | instskip(SKIP_4) | instid1(VALU_DEP_3)
	v_mul_lo_u32 v17, v17, s6
	v_sub_nc_u32_e32 v7, v7, v8
	v_dual_add_nc_u32 v8, s7, v48 :: v_dual_sub_nc_u32 v9, v9, v10
	v_dual_sub_nc_u32 v10, v11, v12 :: v_dual_add_nc_u32 v11, s5, v45
	v_mul_lo_u32 v13, v13, s4
	v_mul_lo_u32 v8, v8, s6
	v_add_nc_u32_e32 v12, s5, v47
	v_cmp_lt_u32_e32 vcc_lo, s3, v7
	v_mul_lo_u32 v11, v11, s4
	v_lshlrev_b16 v3, 8, v3
	v_mul_lo_u32 v14, v14, s4
	v_mul_lo_u32 v12, v12, s4
	v_cndmask_b32_e64 v7, 0, 1, vcc_lo
	v_cmp_lt_u32_e32 vcc_lo, s3, v9
	v_lshrrev_b32_e32 v3, 8, v3
	v_mul_lo_u32 v25, v25, s6
	v_sub_nc_u32_e32 v8, v13, v8
	v_lshlrev_b16 v7, 8, v7
	v_cndmask_b32_e64 v9, 0, 1, vcc_lo
	v_sub_nc_u32_e32 v11, v11, v15
	v_cmp_lt_u32_e32 vcc_lo, s3, v5
	s_delay_alu instid0(VALU_DEP_4)
	v_dual_add_nc_u32 v27, s7, v44 :: v_dual_lshrrev_b32 v7, 8, v7
	v_sub_nc_u32_e32 v12, v12, v17
	v_mul_lo_u32 v13, v16, s4
	v_cndmask_b32_e64 v5, 0, 1, vcc_lo
	v_cmp_lt_u32_e32 vcc_lo, s3, v11
	v_mul_lo_u32 v16, v27, s6
	v_dual_add_nc_u32 v15, s5, v1 :: v_dual_add_nc_u32 v27, s7, v1
	v_lshlrev_b16 v2, 8, v2
	v_cndmask_b32_e64 v11, 0, 1, vcc_lo
	v_cmp_lt_u32_e32 vcc_lo, s3, v12
	s_delay_alu instid0(VALU_DEP_4)
	v_mul_lo_u32 v15, v15, s4
	v_mul_lo_u32 v17, v27, s6
	v_sub_nc_u32_e32 v14, v14, v25
	v_lshlrev_b16 v3, 8, v3
	v_cndmask_b32_e64 v12, 0, 1, vcc_lo
	v_cmp_lt_u32_e32 vcc_lo, s3, v6
	v_dual_sub_nc_u32 v13, v13, v16 :: v_dual_lshrrev_b32 v2, 8, v2
	s_delay_alu instid0(VALU_DEP_4)
	v_or_b32_e32 v3, v5, v3
	v_lshlrev_b16 v5, 8, v11
	v_cndmask_b32_e64 v6, 0, 1, vcc_lo
	v_cmp_lt_u32_e32 vcc_lo, s3, v10
	v_lshlrev_b16 v11, 8, v12
	v_lshlrev_b16 v9, 8, v9
	v_sub_nc_u32_e32 v12, v15, v17
	v_lshlrev_b16 v2, 8, v2
	v_cndmask_b32_e64 v10, 0, 1, vcc_lo
	v_cmp_lt_u32_e32 vcc_lo, s3, v8
	v_lshlrev_b16 v7, 8, v7
	v_dual_lshrrev_b32 v11, 8, v11 :: v_dual_lshrrev_b32 v5, 8, v5
	v_or_b32_e32 v2, v6, v2
	v_cndmask_b32_e64 v8, 0, 1, vcc_lo
	v_cmp_lt_u32_e32 vcc_lo, s3, v14
	s_delay_alu instid0(VALU_DEP_4)
	v_lshlrev_b16 v11, 8, v11
	v_lshlrev_b16 v5, 8, v5
	v_dual_lshlrev_b32 v2, 16, v2 :: v_dual_bitop2_b32 v6, v10, v7 bitop3:0x54
	v_cndmask_b32_e64 v14, 0, 1, vcc_lo
	v_cmp_lt_u32_e32 vcc_lo, s3, v13
	v_or_b32_e32 v7, v8, v9
	v_and_b32_e32 v3, 0xffff, v3
	v_and_b32_e32 v6, 0xffff, v6
	v_cndmask_b32_e64 v13, 0, 1, vcc_lo
	s_delay_alu instid0(VALU_DEP_4) | instskip(SKIP_2) | instid1(VALU_DEP_4)
	v_lshlrev_b32_e32 v7, 16, v7
	v_cmp_lt_u32_e32 vcc_lo, s3, v12
	v_or_b32_e32 v35, v3, v2
	v_or_b32_e32 v5, v13, v5
	;; [unrolled: 1-line block ×3, first 2 shown]
	v_cndmask_b32_e64 v25, 0, 1, vcc_lo
	s_delay_alu instid0(VALU_DEP_3) | instskip(NEXT) | instid1(VALU_DEP_3)
	v_dual_lshlrev_b32 v5, 16, v5 :: v_dual_bitop2_b32 v31, v6, v7 bitop3:0x54
	v_and_b32_e32 v8, 0xffff, v8
	s_delay_alu instid0(VALU_DEP_1)
	v_or_b32_e32 v27, v8, v5
	s_cbranch_execz .LBB1824_11
	s_branch .LBB1824_38
.LBB1824_10:
                                        ; implicit-def: $vgpr25
                                        ; implicit-def: $vgpr27
                                        ; implicit-def: $vgpr31
                                        ; implicit-def: $vgpr35
.LBB1824_11:
	v_dual_mov_b32 v3, 0 :: v_dual_mov_b32 v2, 0
	s_mov_b32 s0, exec_lo
	v_cmpx_gt_u32_e64 s22, v23
	s_cbranch_execz .LBB1824_13
; %bb.12:
	v_dual_add_nc_u32 v2, s5, v54 :: v_dual_add_nc_u32 v5, s7, v54
	s_delay_alu instid0(VALU_DEP_1) | instskip(NEXT) | instid1(VALU_DEP_2)
	v_mul_lo_u32 v2, v2, s4
	v_mul_lo_u32 v5, v5, s6
	s_delay_alu instid0(VALU_DEP_1) | instskip(NEXT) | instid1(VALU_DEP_1)
	v_sub_nc_u32_e32 v2, v2, v5
	v_cmp_lt_u32_e32 vcc_lo, s3, v2
	v_cndmask_b32_e64 v2, 0, 1, vcc_lo
.LBB1824_13:
	s_or_b32 exec_lo, exec_lo, s0
	v_add_nc_u32_e32 v5, 1, v23
	s_mov_b32 s0, exec_lo
	s_delay_alu instid0(VALU_DEP_1)
	v_cmpx_gt_u32_e64 s22, v5
	s_cbranch_execz .LBB1824_15
; %bb.14:
	v_dual_add_nc_u32 v3, s5, v55 :: v_dual_add_nc_u32 v5, s7, v55
	s_delay_alu instid0(VALU_DEP_1) | instskip(NEXT) | instid1(VALU_DEP_2)
	v_mul_lo_u32 v3, v3, s4
	v_mul_lo_u32 v5, v5, s6
	s_delay_alu instid0(VALU_DEP_1) | instskip(NEXT) | instid1(VALU_DEP_1)
	v_sub_nc_u32_e32 v3, v3, v5
	v_cmp_lt_u32_e32 vcc_lo, s3, v3
	v_cndmask_b32_e64 v3, 0, 1, vcc_lo
.LBB1824_15:
	s_or_b32 exec_lo, exec_lo, s0
	v_dual_mov_b32 v6, 0 :: v_dual_add_nc_u32 v5, 2, v23
	s_delay_alu instid0(VALU_DEP_1)
	v_cmp_gt_u32_e32 vcc_lo, s22, v5
	v_mov_b32_e32 v5, 0
	s_and_saveexec_b32 s0, vcc_lo
	s_cbranch_execz .LBB1824_17
; %bb.16:
	v_dual_add_nc_u32 v5, s5, v52 :: v_dual_add_nc_u32 v7, s7, v52
	s_delay_alu instid0(VALU_DEP_1) | instskip(NEXT) | instid1(VALU_DEP_2)
	v_mul_lo_u32 v5, v5, s4
	v_mul_lo_u32 v7, v7, s6
	s_delay_alu instid0(VALU_DEP_1) | instskip(NEXT) | instid1(VALU_DEP_1)
	v_sub_nc_u32_e32 v5, v5, v7
	v_cmp_lt_u32_e32 vcc_lo, s3, v5
	v_cndmask_b32_e64 v5, 0, 1, vcc_lo
.LBB1824_17:
	s_or_b32 exec_lo, exec_lo, s0
	v_add_nc_u32_e32 v7, 3, v23
	s_mov_b32 s0, exec_lo
	s_delay_alu instid0(VALU_DEP_1)
	v_cmpx_gt_u32_e64 s22, v7
	s_cbranch_execz .LBB1824_19
; %bb.18:
	v_dual_add_nc_u32 v6, s5, v53 :: v_dual_add_nc_u32 v7, s7, v53
	s_delay_alu instid0(VALU_DEP_1) | instskip(NEXT) | instid1(VALU_DEP_2)
	v_mul_lo_u32 v6, v6, s4
	v_mul_lo_u32 v7, v7, s6
	s_delay_alu instid0(VALU_DEP_1) | instskip(NEXT) | instid1(VALU_DEP_1)
	v_sub_nc_u32_e32 v6, v6, v7
	v_cmp_lt_u32_e32 vcc_lo, s3, v6
	v_cndmask_b32_e64 v6, 0, 1, vcc_lo
.LBB1824_19:
	s_or_b32 exec_lo, exec_lo, s0
	v_dual_mov_b32 v8, 0 :: v_dual_add_nc_u32 v7, 4, v23
	s_delay_alu instid0(VALU_DEP_1)
	v_cmp_gt_u32_e32 vcc_lo, s22, v7
	v_mov_b32_e32 v7, 0
	s_and_saveexec_b32 s0, vcc_lo
	;; [unrolled: 33-line block ×5, first 2 shown]
	s_cbranch_execz .LBB1824_33
; %bb.32:
	v_dual_add_nc_u32 v13, s5, v44 :: v_dual_add_nc_u32 v15, s7, v44
	s_delay_alu instid0(VALU_DEP_1) | instskip(NEXT) | instid1(VALU_DEP_2)
	v_mul_lo_u32 v13, v13, s4
	v_mul_lo_u32 v15, v15, s6
	s_delay_alu instid0(VALU_DEP_1) | instskip(NEXT) | instid1(VALU_DEP_1)
	v_sub_nc_u32_e32 v13, v13, v15
	v_cmp_lt_u32_e32 vcc_lo, s3, v13
	v_cndmask_b32_e64 v13, 0, 1, vcc_lo
.LBB1824_33:
	s_or_b32 exec_lo, exec_lo, s0
	v_add_nc_u32_e32 v15, 11, v23
	s_mov_b32 s0, exec_lo
	s_delay_alu instid0(VALU_DEP_1)
	v_cmpx_gt_u32_e64 s22, v15
	s_cbranch_execz .LBB1824_35
; %bb.34:
	v_dual_add_nc_u32 v14, s5, v45 :: v_dual_add_nc_u32 v15, s7, v45
	s_delay_alu instid0(VALU_DEP_1) | instskip(NEXT) | instid1(VALU_DEP_2)
	v_mul_lo_u32 v14, v14, s4
	v_mul_lo_u32 v15, v15, s6
	s_delay_alu instid0(VALU_DEP_1) | instskip(NEXT) | instid1(VALU_DEP_1)
	v_sub_nc_u32_e32 v14, v14, v15
	v_cmp_lt_u32_e32 vcc_lo, s3, v14
	v_cndmask_b32_e64 v14, 0, 1, vcc_lo
.LBB1824_35:
	s_or_b32 exec_lo, exec_lo, s0
	v_dual_add_nc_u32 v15, 12, v23 :: v_dual_mov_b32 v25, 0
	s_mov_b32 s0, exec_lo
	s_delay_alu instid0(VALU_DEP_1)
	v_cmpx_gt_u32_e64 s22, v15
	s_cbranch_execz .LBB1824_37
; %bb.36:
	v_dual_add_nc_u32 v15, s7, v1 :: v_dual_add_nc_u32 v16, s5, v1
	s_delay_alu instid0(VALU_DEP_1) | instskip(NEXT) | instid1(VALU_DEP_2)
	v_mul_lo_u32 v15, v15, s6
	v_mul_lo_u32 v16, v16, s4
	s_delay_alu instid0(VALU_DEP_1) | instskip(NEXT) | instid1(VALU_DEP_1)
	v_sub_nc_u32_e32 v15, v16, v15
	v_cmp_lt_u32_e32 vcc_lo, s3, v15
	v_cndmask_b32_e64 v25, 0, 1, vcc_lo
.LBB1824_37:
	s_or_b32 exec_lo, exec_lo, s0
	v_lshlrev_b16 v6, 8, v6
	v_lshlrev_b16 v8, 8, v8
	;; [unrolled: 1-line block ×5, first 2 shown]
	v_or_b32_e32 v5, v5, v6
	v_or_b32_e32 v6, v7, v8
	;; [unrolled: 1-line block ×3, first 2 shown]
	s_delay_alu instid0(VALU_DEP_1) | instskip(NEXT) | instid1(VALU_DEP_4)
	v_dual_lshlrev_b32 v7, 16, v7 :: v_dual_bitop2_b32 v8, v11, v12 bitop3:0x54
	v_dual_lshlrev_b32 v5, 16, v5 :: v_dual_bitop2_b32 v2, v2, v3 bitop3:0x54
	v_lshlrev_b16 v3, 8, v14
	s_delay_alu instid0(VALU_DEP_3) | instskip(NEXT) | instid1(VALU_DEP_3)
	v_and_b32_e32 v8, 0xffff, v8
	v_and_b32_e32 v2, 0xffff, v2
	s_delay_alu instid0(VALU_DEP_3) | instskip(NEXT) | instid1(VALU_DEP_1)
	v_or_b32_e32 v3, v13, v3
	v_dual_lshlrev_b32 v3, 16, v3 :: v_dual_bitop2_b32 v35, v2, v5 bitop3:0x54
	v_and_b32_e32 v6, 0xffff, v6
	s_delay_alu instid0(VALU_DEP_2) | instskip(NEXT) | instid1(VALU_DEP_2)
	v_or_b32_e32 v27, v8, v3
	v_or_b32_e32 v31, v6, v7
.LBB1824_38:
	s_delay_alu instid0(VALU_DEP_4) | instskip(SKIP_2) | instid1(VALU_DEP_4)
	v_bfe_u32 v39, v35, 16, 8
	v_bfe_u32 v41, v35, 8, 8
	v_and_b32_e32 v57, 0xff, v35
	v_and_b32_e32 v58, 0xff, v31
	v_mbcnt_lo_u32_b32 v64, -1, 0
	v_lshrrev_b32_e32 v37, 24, v35
	v_bfe_u32 v59, v31, 16, 8
	v_add3_u32 v2, v41, v57, v39
	v_bfe_u32 v60, v31, 8, 8
	v_dual_lshrrev_b32 v33, 24, v31 :: v_dual_bitop2_b32 v5, 15, v64 bitop3:0x40
	v_lshrrev_b32_e32 v65, 5, v0
	s_delay_alu instid0(VALU_DEP_4)
	v_add3_u32 v2, v2, v37, v58
	v_and_b32_e32 v61, 0xff, v27
	v_bfe_u32 v62, v27, 16, 8
	v_bfe_u32 v63, v27, 8, 8
	v_dual_lshrrev_b32 v29, 24, v27 :: v_dual_bitop2_b32 v6, 31, v0 bitop3:0x54
	v_add3_u32 v2, v2, v60, v59
	v_and_b32_e32 v3, 0xff, v25
	v_and_b32_e32 v7, 16, v64
	v_cmp_ne_u32_e32 vcc_lo, 0, v4
	v_cmp_eq_u32_e64 s6, 0, v5
	v_add3_u32 v2, v2, v33, v61
	v_cmp_lt_u32_e64 s5, 1, v5
	v_cmp_lt_u32_e64 s4, 3, v5
	;; [unrolled: 1-line block ×3, first 2 shown]
	v_cmp_eq_u32_e64 s1, 0, v7
	v_add3_u32 v2, v2, v63, v62
	v_cmp_eq_u32_e64 s0, v0, v6
	s_mov_b32 s7, -1
	v_add3_u32 v66, v2, v29, v3
	s_cbranch_vccz .LBB1824_60
; %bb.39:
	s_delay_alu instid0(VALU_DEP_1) | instskip(NEXT) | instid1(VALU_DEP_1)
	v_mov_b32_dpp v2, v66 row_shr:1 row_mask:0xf bank_mask:0xf
	v_cndmask_b32_e64 v2, v2, 0, s6
	s_delay_alu instid0(VALU_DEP_1) | instskip(NEXT) | instid1(VALU_DEP_1)
	v_add_nc_u32_e32 v2, v2, v66
	v_mov_b32_dpp v3, v2 row_shr:2 row_mask:0xf bank_mask:0xf
	s_delay_alu instid0(VALU_DEP_1) | instskip(NEXT) | instid1(VALU_DEP_1)
	v_cndmask_b32_e64 v3, 0, v3, s5
	v_add_nc_u32_e32 v2, v2, v3
	s_delay_alu instid0(VALU_DEP_1) | instskip(NEXT) | instid1(VALU_DEP_1)
	v_mov_b32_dpp v3, v2 row_shr:4 row_mask:0xf bank_mask:0xf
	v_cndmask_b32_e64 v3, 0, v3, s4
	s_delay_alu instid0(VALU_DEP_1) | instskip(NEXT) | instid1(VALU_DEP_1)
	v_add_nc_u32_e32 v2, v2, v3
	v_mov_b32_dpp v3, v2 row_shr:8 row_mask:0xf bank_mask:0xf
	s_delay_alu instid0(VALU_DEP_1) | instskip(NEXT) | instid1(VALU_DEP_1)
	v_cndmask_b32_e64 v3, 0, v3, s3
	v_add_nc_u32_e32 v2, v2, v3
	ds_swizzle_b32 v3, v2 offset:swizzle(BROADCAST,32,15)
	s_wait_dscnt 0x0
	v_cndmask_b32_e64 v3, v3, 0, s1
	s_delay_alu instid0(VALU_DEP_1)
	v_add_nc_u32_e32 v2, v2, v3
	s_and_saveexec_b32 s7, s0
; %bb.40:
	v_lshlrev_b32_e32 v3, 2, v65
	ds_store_b32 v3, v2
; %bb.41:
	s_or_b32 exec_lo, exec_lo, s7
	s_delay_alu instid0(SALU_CYCLE_1)
	s_mov_b32 s7, exec_lo
	s_wait_dscnt 0x0
	s_barrier_signal -1
	s_barrier_wait -1
	v_cmpx_gt_u32_e32 8, v0
	s_cbranch_execz .LBB1824_43
; %bb.42:
	ds_load_b32 v3, v19
	s_wait_dscnt 0x0
	v_mov_b32_dpp v6, v3 row_shr:1 row_mask:0xf bank_mask:0xf
	v_and_b32_e32 v5, 7, v64
	s_delay_alu instid0(VALU_DEP_1) | instskip(NEXT) | instid1(VALU_DEP_3)
	v_cmp_ne_u32_e32 vcc_lo, 0, v5
	v_cndmask_b32_e32 v6, 0, v6, vcc_lo
	v_cmp_lt_u32_e32 vcc_lo, 1, v5
	s_delay_alu instid0(VALU_DEP_2) | instskip(NEXT) | instid1(VALU_DEP_1)
	v_add_nc_u32_e32 v3, v6, v3
	v_mov_b32_dpp v6, v3 row_shr:2 row_mask:0xf bank_mask:0xf
	s_delay_alu instid0(VALU_DEP_1) | instskip(SKIP_1) | instid1(VALU_DEP_2)
	v_cndmask_b32_e32 v6, 0, v6, vcc_lo
	v_cmp_lt_u32_e32 vcc_lo, 3, v5
	v_add_nc_u32_e32 v3, v3, v6
	s_delay_alu instid0(VALU_DEP_1) | instskip(NEXT) | instid1(VALU_DEP_1)
	v_mov_b32_dpp v6, v3 row_shr:4 row_mask:0xf bank_mask:0xf
	v_cndmask_b32_e32 v5, 0, v6, vcc_lo
	s_delay_alu instid0(VALU_DEP_1)
	v_add_nc_u32_e32 v3, v3, v5
	ds_store_b32 v19, v3
.LBB1824_43:
	s_or_b32 exec_lo, exec_lo, s7
	s_delay_alu instid0(SALU_CYCLE_1)
	s_mov_b32 s8, exec_lo
	v_cmp_gt_u32_e32 vcc_lo, 32, v0
	s_wait_dscnt 0x0
	s_barrier_signal -1
	s_barrier_wait -1
                                        ; implicit-def: $vgpr10
	v_cmpx_lt_u32_e32 31, v0
	s_cbranch_execz .LBB1824_45
; %bb.44:
	v_lshl_add_u32 v3, v65, 2, -4
	ds_load_b32 v10, v3
	s_wait_dscnt 0x0
	v_add_nc_u32_e32 v2, v10, v2
.LBB1824_45:
	s_or_b32 exec_lo, exec_lo, s8
	v_sub_co_u32 v3, s7, v64, 1
	s_delay_alu instid0(VALU_DEP_1) | instskip(NEXT) | instid1(VALU_DEP_1)
	v_cmp_gt_i32_e64 s8, 0, v3
	v_cndmask_b32_e64 v3, v3, v64, s8
	s_delay_alu instid0(VALU_DEP_1)
	v_lshlrev_b32_e32 v3, 2, v3
	ds_bpermute_b32 v11, v3, v2
	s_and_saveexec_b32 s8, vcc_lo
	s_cbranch_execz .LBB1824_65
; %bb.46:
	v_dual_mov_b32 v9, 0 :: v_dual_add_nc_u32 v12, 32, v4
	ds_load_b32 v2, v9 offset:28
	s_and_saveexec_b32 s15, s7
	s_cbranch_execz .LBB1824_48
; %bb.47:
	v_mov_b32_e32 v3, 1
	s_wait_dscnt 0x0
	global_store_b64 v12, v[2:3], s[20:21] scale_offset scope:SCOPE_DEV
.LBB1824_48:
	s_wait_xcnt 0x0
	s_or_b32 exec_lo, exec_lo, s15
	v_xad_u32 v4, v64, -1, v4
	s_mov_b32 s23, 0
	s_mov_b32 s15, exec_lo
	s_delay_alu instid0(VALU_DEP_1) | instskip(SKIP_4) | instid1(VALU_DEP_1)
	v_add_nc_u32_e32 v8, 32, v4
	global_load_b64 v[6:7], v8, s[20:21] scale_offset scope:SCOPE_DEV
	s_wait_loadcnt 0x0
	v_and_b32_e32 v3, 0xff, v7
	s_wait_xcnt 0x0
	v_cmpx_eq_u16_e32 0, v3
	s_cbranch_execz .LBB1824_52
; %bb.49:
	v_lshl_add_u64 v[8:9], v[8:9], 3, s[20:21]
.LBB1824_50:                            ; =>This Inner Loop Header: Depth=1
	global_load_b64 v[6:7], v[8:9], off scope:SCOPE_DEV
	s_wait_loadcnt 0x0
	v_and_b32_e32 v3, 0xff, v7
	s_delay_alu instid0(VALU_DEP_1)
	v_cmp_ne_u16_e32 vcc_lo, 0, v3
	s_or_b32 s23, vcc_lo, s23
	s_wait_xcnt 0x0
	s_and_not1_b32 exec_lo, exec_lo, s23
	s_cbranch_execnz .LBB1824_50
; %bb.51:
	s_or_b32 exec_lo, exec_lo, s23
.LBB1824_52:
	s_delay_alu instid0(SALU_CYCLE_1)
	s_or_b32 exec_lo, exec_lo, s15
	v_cmp_ne_u32_e32 vcc_lo, 31, v64
	v_lshlrev_b32_e64 v14, v64, -1
	v_lshl_or_b32 v69, v64, 2, 64
	v_dual_add_nc_u32 v16, 2, v64 :: v_dual_add_nc_u32 v56, 4, v64
	v_add_co_ci_u32_e64 v3, null, 0, v64, vcc_lo
	v_dual_add_nc_u32 v68, 8, v64 :: v_dual_add_nc_u32 v70, 16, v64
	s_delay_alu instid0(VALU_DEP_2)
	v_lshlrev_b32_e32 v13, 2, v3
	v_and_b32_e32 v3, 0xff, v7
	ds_bpermute_b32 v5, v13, v6
	v_cmp_eq_u16_e32 vcc_lo, 2, v3
	v_and_or_b32 v3, vcc_lo, v14, 0x80000000
	v_cmp_gt_u32_e32 vcc_lo, 30, v64
	s_delay_alu instid0(VALU_DEP_2) | instskip(SKIP_1) | instid1(VALU_DEP_2)
	v_ctz_i32_b32_e32 v3, v3
	v_cndmask_b32_e64 v8, 0, 2, vcc_lo
	v_cmp_lt_u32_e32 vcc_lo, v64, v3
	s_delay_alu instid0(VALU_DEP_2) | instskip(SKIP_3) | instid1(VALU_DEP_2)
	v_add_lshl_u32 v15, v8, v64, 2
	s_wait_dscnt 0x0
	v_cndmask_b32_e32 v5, 0, v5, vcc_lo
	v_cmp_gt_u32_e32 vcc_lo, 28, v64
	v_add_nc_u32_e32 v5, v5, v6
	v_cndmask_b32_e64 v8, 0, 4, vcc_lo
	v_cmp_le_u32_e32 vcc_lo, v16, v3
	ds_bpermute_b32 v6, v15, v5
	v_add_lshl_u32 v17, v8, v64, 2
	s_wait_dscnt 0x0
	v_cndmask_b32_e32 v6, 0, v6, vcc_lo
	v_cmp_gt_u32_e32 vcc_lo, 24, v64
	v_cndmask_b32_e64 v8, 0, 8, vcc_lo
	v_cmp_le_u32_e32 vcc_lo, v56, v3
	s_delay_alu instid0(VALU_DEP_4) | instskip(NEXT) | instid1(VALU_DEP_3)
	v_add_nc_u32_e32 v5, v5, v6
	v_add_lshl_u32 v67, v8, v64, 2
	ds_bpermute_b32 v6, v17, v5
	s_wait_dscnt 0x0
	v_cndmask_b32_e32 v6, 0, v6, vcc_lo
	v_cmp_le_u32_e32 vcc_lo, v68, v3
	s_delay_alu instid0(VALU_DEP_2) | instskip(SKIP_4) | instid1(VALU_DEP_2)
	v_add_nc_u32_e32 v5, v5, v6
	ds_bpermute_b32 v6, v67, v5
	s_wait_dscnt 0x0
	v_cndmask_b32_e32 v6, 0, v6, vcc_lo
	v_cmp_le_u32_e32 vcc_lo, v70, v3
	v_add_nc_u32_e32 v5, v5, v6
	ds_bpermute_b32 v6, v69, v5
	s_wait_dscnt 0x0
	v_cndmask_b32_e32 v3, 0, v6, vcc_lo
	s_delay_alu instid0(VALU_DEP_1)
	v_dual_mov_b32 v5, 0 :: v_dual_add_nc_u32 v6, v5, v3
	s_branch .LBB1824_56
.LBB1824_53:                            ;   in Loop: Header=BB1824_56 Depth=1
	s_or_b32 exec_lo, exec_lo, s23
.LBB1824_54:                            ;   in Loop: Header=BB1824_56 Depth=1
	s_delay_alu instid0(SALU_CYCLE_1)
	s_or_b32 exec_lo, exec_lo, s15
	v_and_b32_e32 v8, 0xff, v7
	ds_bpermute_b32 v9, v13, v6
	v_subrev_nc_u32_e32 v4, 32, v4
	s_mov_b32 s15, 0
	v_cmp_eq_u16_e32 vcc_lo, 2, v8
	v_and_or_b32 v8, vcc_lo, v14, 0x80000000
	s_delay_alu instid0(VALU_DEP_1) | instskip(NEXT) | instid1(VALU_DEP_1)
	v_ctz_i32_b32_e32 v8, v8
	v_cmp_lt_u32_e32 vcc_lo, v64, v8
	s_wait_dscnt 0x0
	v_cndmask_b32_e32 v9, 0, v9, vcc_lo
	v_cmp_le_u32_e32 vcc_lo, v16, v8
	s_delay_alu instid0(VALU_DEP_2) | instskip(SKIP_4) | instid1(VALU_DEP_2)
	v_add_nc_u32_e32 v6, v9, v6
	ds_bpermute_b32 v9, v15, v6
	s_wait_dscnt 0x0
	v_cndmask_b32_e32 v9, 0, v9, vcc_lo
	v_cmp_le_u32_e32 vcc_lo, v56, v8
	v_add_nc_u32_e32 v6, v6, v9
	ds_bpermute_b32 v9, v17, v6
	s_wait_dscnt 0x0
	v_cndmask_b32_e32 v9, 0, v9, vcc_lo
	v_cmp_le_u32_e32 vcc_lo, v68, v8
	s_delay_alu instid0(VALU_DEP_2) | instskip(SKIP_4) | instid1(VALU_DEP_2)
	v_add_nc_u32_e32 v6, v6, v9
	ds_bpermute_b32 v9, v67, v6
	s_wait_dscnt 0x0
	v_cndmask_b32_e32 v9, 0, v9, vcc_lo
	v_cmp_le_u32_e32 vcc_lo, v70, v8
	v_add_nc_u32_e32 v6, v6, v9
	ds_bpermute_b32 v9, v69, v6
	s_wait_dscnt 0x0
	v_cndmask_b32_e32 v8, 0, v9, vcc_lo
	s_delay_alu instid0(VALU_DEP_1)
	v_add3_u32 v6, v8, v3, v6
.LBB1824_55:                            ;   in Loop: Header=BB1824_56 Depth=1
	s_and_b32 vcc_lo, exec_lo, s15
	s_cbranch_vccnz .LBB1824_61
.LBB1824_56:                            ; =>This Loop Header: Depth=1
                                        ;     Child Loop BB1824_59 Depth 2
	v_and_b32_e32 v3, 0xff, v7
	s_mov_b32 s15, -1
                                        ; implicit-def: $vgpr7
	s_delay_alu instid0(VALU_DEP_1)
	v_cmp_ne_u16_e32 vcc_lo, 2, v3
	v_mov_b32_e32 v3, v6
                                        ; implicit-def: $vgpr6
	s_cmp_lg_u32 vcc_lo, exec_lo
	s_cbranch_scc1 .LBB1824_55
; %bb.57:                               ;   in Loop: Header=BB1824_56 Depth=1
	global_load_b64 v[6:7], v4, s[20:21] scale_offset scope:SCOPE_DEV
	s_mov_b32 s15, exec_lo
	s_wait_loadcnt 0x0
	v_and_b32_e32 v8, 0xff, v7
	s_wait_xcnt 0x0
	s_delay_alu instid0(VALU_DEP_1)
	v_cmpx_eq_u16_e32 0, v8
	s_cbranch_execz .LBB1824_54
; %bb.58:                               ;   in Loop: Header=BB1824_56 Depth=1
	v_lshl_add_u64 v[8:9], v[4:5], 3, s[20:21]
	s_mov_b32 s23, 0
.LBB1824_59:                            ;   Parent Loop BB1824_56 Depth=1
                                        ; =>  This Inner Loop Header: Depth=2
	global_load_b64 v[6:7], v[8:9], off scope:SCOPE_DEV
	s_wait_loadcnt 0x0
	v_and_b32_e32 v71, 0xff, v7
	s_delay_alu instid0(VALU_DEP_1)
	v_cmp_ne_u16_e32 vcc_lo, 0, v71
	s_or_b32 s23, vcc_lo, s23
	s_wait_xcnt 0x0
	s_and_not1_b32 exec_lo, exec_lo, s23
	s_cbranch_execnz .LBB1824_59
	s_branch .LBB1824_53
.LBB1824_60:
                                        ; implicit-def: $vgpr2_vgpr3_vgpr4_vgpr5_vgpr6_vgpr7_vgpr8_vgpr9_vgpr10_vgpr11_vgpr12_vgpr13_vgpr14_vgpr15_vgpr16_vgpr17
                                        ; implicit-def: $vgpr56
                                        ; implicit-def: $vgpr16
	s_and_b32 vcc_lo, exec_lo, s7
	s_cbranch_vccnz .LBB1824_66
	s_branch .LBB1824_75
.LBB1824_61:
	s_and_saveexec_b32 s15, s7
	s_cbranch_execz .LBB1824_63
; %bb.62:
	v_dual_mov_b32 v5, 2 :: v_dual_add_nc_u32 v4, v3, v2
	v_mov_b32_e32 v6, 0
	global_store_b64 v12, v[4:5], s[20:21] scale_offset scope:SCOPE_DEV
	ds_store_b64 v6, v[2:3] offset:13312
.LBB1824_63:
	s_wait_xcnt 0x0
	s_or_b32 exec_lo, exec_lo, s15
	s_delay_alu instid0(SALU_CYCLE_1)
	s_and_b32 exec_lo, exec_lo, s2
; %bb.64:
	v_mov_b32_e32 v2, 0
	ds_store_b32 v2, v3 offset:28
.LBB1824_65:
	s_or_b32 exec_lo, exec_lo, s8
	s_wait_dscnt 0x0
	v_dual_mov_b32 v12, 0 :: v_dual_cndmask_b32 v3, v11, v10, s7
	s_wait_storecnt 0x0
	s_barrier_signal -1
	s_barrier_wait -1
	ds_load_b32 v2, v12 offset:28
	v_cndmask_b32_e64 v3, v3, 0, s2
	s_wait_dscnt 0x0
	s_barrier_signal -1
	s_barrier_wait -1
	ds_load_b64 v[16:17], v12 offset:13312
	v_add_nc_u32_e32 v2, v2, v3
	s_wait_dscnt 0x0
	s_delay_alu instid0(VALU_DEP_1) | instskip(NEXT) | instid1(VALU_DEP_1)
	v_dual_mov_b32 v56, v17 :: v_dual_add_nc_u32 v3, v2, v57
	v_add_nc_u32_e32 v4, v3, v41
	s_delay_alu instid0(VALU_DEP_1) | instskip(NEXT) | instid1(VALU_DEP_1)
	v_add_nc_u32_e32 v5, v4, v39
	v_add_nc_u32_e32 v6, v5, v37
	s_delay_alu instid0(VALU_DEP_1) | instskip(NEXT) | instid1(VALU_DEP_1)
	v_add_nc_u32_e32 v7, v6, v58
	;; [unrolled: 3-line block ×5, first 2 shown]
	v_add_nc_u32_e32 v14, v13, v29
	s_branch .LBB1824_75
.LBB1824_66:
	v_mov_b32_dpp v2, v66 row_shr:1 row_mask:0xf bank_mask:0xf
	s_delay_alu instid0(VALU_DEP_1) | instskip(NEXT) | instid1(VALU_DEP_1)
	v_cndmask_b32_e64 v2, v2, 0, s6
	v_add_nc_u32_e32 v2, v2, v66
	s_delay_alu instid0(VALU_DEP_1) | instskip(NEXT) | instid1(VALU_DEP_1)
	v_mov_b32_dpp v3, v2 row_shr:2 row_mask:0xf bank_mask:0xf
	v_cndmask_b32_e64 v3, 0, v3, s5
	s_delay_alu instid0(VALU_DEP_1) | instskip(NEXT) | instid1(VALU_DEP_1)
	v_add_nc_u32_e32 v2, v2, v3
	v_mov_b32_dpp v3, v2 row_shr:4 row_mask:0xf bank_mask:0xf
	s_delay_alu instid0(VALU_DEP_1) | instskip(NEXT) | instid1(VALU_DEP_1)
	v_cndmask_b32_e64 v3, 0, v3, s4
	v_add_nc_u32_e32 v2, v2, v3
	s_delay_alu instid0(VALU_DEP_1) | instskip(NEXT) | instid1(VALU_DEP_1)
	v_mov_b32_dpp v3, v2 row_shr:8 row_mask:0xf bank_mask:0xf
	v_cndmask_b32_e64 v3, 0, v3, s3
	s_delay_alu instid0(VALU_DEP_1) | instskip(SKIP_3) | instid1(VALU_DEP_1)
	v_add_nc_u32_e32 v2, v2, v3
	ds_swizzle_b32 v3, v2 offset:swizzle(BROADCAST,32,15)
	s_wait_dscnt 0x0
	v_cndmask_b32_e64 v3, v3, 0, s1
	v_add_nc_u32_e32 v2, v2, v3
	s_and_saveexec_b32 s1, s0
; %bb.67:
	v_lshlrev_b32_e32 v3, 2, v65
	ds_store_b32 v3, v2
; %bb.68:
	s_or_b32 exec_lo, exec_lo, s1
	s_delay_alu instid0(SALU_CYCLE_1)
	s_mov_b32 s0, exec_lo
	s_wait_dscnt 0x0
	s_barrier_signal -1
	s_barrier_wait -1
	v_cmpx_gt_u32_e32 8, v0
	s_cbranch_execz .LBB1824_70
; %bb.69:
	ds_load_b32 v3, v19
	s_wait_dscnt 0x0
	v_mov_b32_dpp v5, v3 row_shr:1 row_mask:0xf bank_mask:0xf
	v_and_b32_e32 v4, 7, v64
	s_delay_alu instid0(VALU_DEP_1) | instskip(NEXT) | instid1(VALU_DEP_3)
	v_cmp_ne_u32_e32 vcc_lo, 0, v4
	v_cndmask_b32_e32 v5, 0, v5, vcc_lo
	v_cmp_lt_u32_e32 vcc_lo, 1, v4
	s_delay_alu instid0(VALU_DEP_2) | instskip(NEXT) | instid1(VALU_DEP_1)
	v_add_nc_u32_e32 v3, v5, v3
	v_mov_b32_dpp v5, v3 row_shr:2 row_mask:0xf bank_mask:0xf
	s_delay_alu instid0(VALU_DEP_1) | instskip(SKIP_1) | instid1(VALU_DEP_2)
	v_cndmask_b32_e32 v5, 0, v5, vcc_lo
	v_cmp_lt_u32_e32 vcc_lo, 3, v4
	v_add_nc_u32_e32 v3, v3, v5
	s_delay_alu instid0(VALU_DEP_1) | instskip(NEXT) | instid1(VALU_DEP_1)
	v_mov_b32_dpp v5, v3 row_shr:4 row_mask:0xf bank_mask:0xf
	v_cndmask_b32_e32 v4, 0, v5, vcc_lo
	s_delay_alu instid0(VALU_DEP_1)
	v_add_nc_u32_e32 v3, v3, v4
	ds_store_b32 v19, v3
.LBB1824_70:
	s_or_b32 exec_lo, exec_lo, s0
	v_dual_mov_b32 v4, 0 :: v_dual_mov_b32 v3, 0
	s_mov_b32 s0, exec_lo
	s_wait_dscnt 0x0
	s_barrier_signal -1
	s_barrier_wait -1
	v_cmpx_lt_u32_e32 31, v0
; %bb.71:
	v_lshl_add_u32 v3, v65, 2, -4
	ds_load_b32 v3, v3
; %bb.72:
	s_or_b32 exec_lo, exec_lo, s0
	v_sub_co_u32 v5, vcc_lo, v64, 1
	ds_load_b32 v16, v4 offset:28
	s_wait_dscnt 0x1
	v_add_nc_u32_e32 v2, v3, v2
	v_cmp_gt_i32_e64 s0, 0, v5
	s_delay_alu instid0(VALU_DEP_1) | instskip(NEXT) | instid1(VALU_DEP_1)
	v_cndmask_b32_e64 v5, v5, v64, s0
	v_lshlrev_b32_e32 v5, 2, v5
	ds_bpermute_b32 v2, v5, v2
	s_and_saveexec_b32 s0, s2
	s_cbranch_execz .LBB1824_74
; %bb.73:
	v_dual_mov_b32 v4, 0 :: v_dual_mov_b32 v17, 2
	s_wait_dscnt 0x1
	global_store_b64 v4, v[16:17], s[20:21] offset:256 scope:SCOPE_DEV
.LBB1824_74:
	s_wait_xcnt 0x0
	s_or_b32 exec_lo, exec_lo, s0
	s_wait_dscnt 0x0
	v_cndmask_b32_e32 v2, v2, v3, vcc_lo
	s_wait_storecnt 0x0
	s_barrier_signal -1
	s_barrier_wait -1
	s_delay_alu instid0(VALU_DEP_1) | instskip(NEXT) | instid1(VALU_DEP_1)
	v_cndmask_b32_e64 v2, v2, 0, s2
	v_dual_mov_b32 v56, 0 :: v_dual_add_nc_u32 v3, v2, v57
	s_delay_alu instid0(VALU_DEP_1) | instskip(NEXT) | instid1(VALU_DEP_1)
	v_add_nc_u32_e32 v4, v3, v41
	v_add_nc_u32_e32 v5, v4, v39
	s_delay_alu instid0(VALU_DEP_1) | instskip(NEXT) | instid1(VALU_DEP_1)
	v_add_nc_u32_e32 v6, v5, v37
	v_add_nc_u32_e32 v7, v6, v58
	;; [unrolled: 3-line block ×5, first 2 shown]
	s_delay_alu instid0(VALU_DEP_1)
	v_add_nc_u32_e32 v14, v13, v29
.LBB1824_75:
	v_dual_lshrrev_b32 v57, 16, v35 :: v_dual_lshrrev_b32 v58, 8, v35
	v_dual_add_nc_u32 v23, v16, v23 :: v_dual_sub_nc_u32 v3, v3, v56
	v_dual_sub_nc_u32 v2, v2, v56 :: v_dual_bitop2_b32 v35, 1, v35 bitop3:0x40
	s_delay_alu instid0(VALU_DEP_3) | instskip(NEXT) | instid1(VALU_DEP_3)
	v_dual_sub_nc_u32 v4, v4, v56 :: v_dual_bitop2_b32 v58, 1, v58 bitop3:0x40
	v_dual_sub_nc_u32 v59, v23, v3 :: v_dual_bitop2_b32 v57, 1, v57 bitop3:0x40
	s_delay_alu instid0(VALU_DEP_3) | instskip(NEXT) | instid1(VALU_DEP_4)
	v_dual_sub_nc_u32 v60, v23, v2 :: v_dual_sub_nc_u32 v5, v5, v56
	v_cmp_eq_u32_e32 vcc_lo, 1, v35
	s_delay_alu instid0(VALU_DEP_3) | instskip(SKIP_1) | instid1(VALU_DEP_4)
	v_dual_sub_nc_u32 v61, v23, v4 :: v_dual_add_nc_u32 v59, 1, v59
	v_dual_lshrrev_b32 v41, 8, v31 :: v_dual_lshrrev_b32 v39, 16, v31
	v_cndmask_b32_e32 v2, v60, v2, vcc_lo
	v_cmp_eq_u32_e32 vcc_lo, 1, v58
	v_dual_lshrrev_b32 v15, 16, v27 :: v_dual_lshrrev_b32 v17, 8, v27
	v_cndmask_b32_e32 v3, v59, v3, vcc_lo
	s_delay_alu instid0(VALU_DEP_4)
	v_dual_sub_nc_u32 v35, v23, v5 :: v_dual_lshlrev_b32 v2, 2, v2
	v_and_b32_e32 v37, 1, v37
	v_add_nc_u32_e32 v58, 2, v61
	v_cmp_eq_u32_e32 vcc_lo, 1, v57
	v_lshlrev_b32_e32 v3, 2, v3
	v_add_nc_u32_e32 v35, 3, v35
	ds_store_b32 v2, v54
	ds_store_b32 v3, v55
	v_cndmask_b32_e32 v4, v58, v4, vcc_lo
	v_cmp_eq_u32_e32 vcc_lo, 1, v37
	v_dual_cndmask_b32 v5, v35, v5 :: v_dual_sub_nc_u32 v6, v6, v56
	s_delay_alu instid0(VALU_DEP_1) | instskip(NEXT) | instid1(VALU_DEP_2)
	v_dual_lshlrev_b32 v3, 2, v4 :: v_dual_lshlrev_b32 v4, 2, v5
	v_sub_nc_u32_e32 v2, v23, v6
	v_dual_sub_nc_u32 v5, v7, v56 :: v_dual_bitop2_b32 v7, 1, v31 bitop3:0x40
	s_delay_alu instid0(VALU_DEP_2)
	v_add_nc_u32_e32 v2, 4, v2
	ds_store_b32 v3, v52
	ds_store_b32 v4, v53
	v_cmp_eq_u32_e32 vcc_lo, 1, v7
	v_dual_sub_nc_u32 v4, v8, v56 :: v_dual_cndmask_b32 v2, v2, v6, vcc_lo
	v_sub_nc_u32_e32 v3, v23, v5
	v_dual_sub_nc_u32 v7, v9, v56 :: v_dual_bitop2_b32 v6, 1, v41 bitop3:0x40
	s_delay_alu instid0(VALU_DEP_2) | instskip(NEXT) | instid1(VALU_DEP_2)
	v_dual_lshlrev_b32 v2, 2, v2 :: v_dual_add_nc_u32 v3, 5, v3
	v_cmp_eq_u32_e32 vcc_lo, 1, v6
	v_dual_sub_nc_u32 v8, v23, v4 :: v_dual_bitop2_b32 v6, 1, v39 bitop3:0x40
	ds_store_b32 v2, v50
	v_and_b32_e32 v2, 1, v33
	v_cndmask_b32_e32 v3, v3, v5, vcc_lo
	v_dual_sub_nc_u32 v5, v23, v7 :: v_dual_add_nc_u32 v8, 6, v8
	v_cmp_eq_u32_e32 vcc_lo, 1, v6
	s_delay_alu instid0(VALU_DEP_3) | instskip(NEXT) | instid1(VALU_DEP_3)
	v_dual_sub_nc_u32 v6, v11, v56 :: v_dual_lshlrev_b32 v3, 2, v3
	v_dual_cndmask_b32 v4, v8, v4 :: v_dual_add_nc_u32 v5, 7, v5
	v_cmp_eq_u32_e32 vcc_lo, 1, v2
	ds_store_b32 v3, v51
	v_dual_sub_nc_u32 v3, v23, v6 :: v_dual_sub_nc_u32 v8, v14, v56
	v_dual_lshlrev_b32 v4, 2, v4 :: v_dual_cndmask_b32 v2, v5, v7, vcc_lo
	v_dual_sub_nc_u32 v5, v10, v56 :: v_dual_bitop2_b32 v7, 1, v17 bitop3:0x40
	s_delay_alu instid0(VALU_DEP_3)
	v_add_nc_u32_e32 v3, 9, v3
	ds_store_b32 v4, v48
	v_dual_lshlrev_b32 v2, 2, v2 :: v_dual_sub_nc_u32 v4, v23, v5
	v_cmp_eq_u32_e32 vcc_lo, 1, v7
	v_sub_nc_u32_e32 v7, v12, v56
	v_sub_nc_u32_e32 v9, v23, v8
	ds_store_b32 v2, v49
	v_dual_add_nc_u32 v4, 8, v4 :: v_dual_bitop2_b32 v2, 1, v27 bitop3:0x40
	v_dual_cndmask_b32 v3, v3, v6 :: v_dual_sub_nc_u32 v6, v13, v56
	s_delay_alu instid0(VALU_DEP_2) | instskip(NEXT) | instid1(VALU_DEP_2)
	v_cmp_eq_u32_e32 vcc_lo, 1, v2
	v_dual_cndmask_b32 v2, v4, v5, vcc_lo :: v_dual_sub_nc_u32 v4, v23, v6
	v_and_b32_e32 v10, 1, v15
	v_dual_sub_nc_u32 v5, v23, v7 :: v_dual_bitop2_b32 v12, 1, v25 bitop3:0x40
	s_delay_alu instid0(VALU_DEP_3) | instskip(SKIP_1) | instid1(VALU_DEP_1)
	v_dual_lshlrev_b32 v2, 2, v2 :: v_dual_add_nc_u32 v4, 11, v4
	v_and_b32_e32 v11, 1, v29
	v_cmp_eq_u32_e32 vcc_lo, 1, v11
	s_delay_alu instid0(VALU_DEP_3) | instskip(SKIP_3) | instid1(VALU_DEP_1)
	v_cndmask_b32_e32 v4, v4, v6, vcc_lo
	v_cmp_eq_u32_e32 vcc_lo, 1, v10
	v_add_nc_u32_e32 v9, 12, v9
	v_add_nc_u32_e32 v5, 10, v5
	v_cndmask_b32_e32 v5, v5, v7, vcc_lo
	v_cmp_eq_u32_e32 vcc_lo, 1, v12
	s_delay_alu instid0(VALU_DEP_2) | instskip(SKIP_3) | instid1(VALU_DEP_3)
	v_dual_lshlrev_b32 v3, 2, v3 :: v_dual_lshlrev_b32 v5, 2, v5
	v_cndmask_b32_e32 v6, v9, v8, vcc_lo
	v_lshlrev_b32_e32 v4, 2, v4
	v_cmp_ne_u32_e32 vcc_lo, 1, v21
	v_lshlrev_b32_e32 v6, 2, v6
	ds_store_b32 v2, v46
	ds_store_b32 v3, v47
	;; [unrolled: 1-line block ×5, first 2 shown]
	s_wait_dscnt 0x0
	s_barrier_signal -1
	s_barrier_wait -1
	ds_load_2addr_stride64_b32 v[14:15], v19 offset1:4
	ds_load_2addr_stride64_b32 v[12:13], v19 offset0:8 offset1:12
	ds_load_2addr_stride64_b32 v[10:11], v19 offset0:16 offset1:20
	;; [unrolled: 1-line block ×5, first 2 shown]
	ds_load_b32 v46, v19 offset:12288
	v_mov_b32_e32 v1, 0
	s_and_b32 vcc_lo, exec_lo, vcc_lo
	s_delay_alu instid0(VALU_DEP_1) | instskip(SKIP_2) | instid1(VALU_DEP_3)
	v_dual_mov_b32 v29, v1 :: v_dual_mov_b32 v57, v1
	v_dual_mov_b32 v41, v1 :: v_dual_mov_b32 v39, v1
	;; [unrolled: 1-line block ×3, first 2 shown]
	v_add_nc_u64_e32 v[2:3], v[42:43], v[56:57]
	v_dual_mov_b32 v33, v1 :: v_dual_mov_b32 v31, v1
	v_dual_mov_b32 v27, v1 :: v_dual_mov_b32 v25, v1
	;; [unrolled: 1-line block ×3, first 2 shown]
	v_mov_b32_e32 v19, v1
	s_cbranch_vccnz .LBB1824_132
; %bb.76:
	v_mov_b32_e32 v17, v1
	s_mov_b32 s15, 0
	v_sub_nc_u64_e64 v[42:43], v[2:3], s[16:17]
	s_sub_nc_u64 s[0:1], s[18:19], s[14:15]
	s_delay_alu instid0(VALU_DEP_2) | instid1(SALU_CYCLE_1)
	v_add_nc_u64_e32 v[44:45], s[0:1], v[16:17]
	s_mov_b32 s0, exec_lo
	s_delay_alu instid0(VALU_DEP_1)
	v_add_nc_u64_e32 v[42:43], v[44:45], v[42:43]
                                        ; implicit-def: $vgpr44_vgpr45
	v_cmpx_ge_u32_e64 v0, v16
	s_xor_b32 s0, exec_lo, s0
; %bb.77:
	v_not_b32_e32 v44, v0
	s_delay_alu instid0(VALU_DEP_1) | instskip(NEXT) | instid1(VALU_DEP_1)
	v_ashrrev_i32_e32 v45, 31, v44
	v_add_nc_u64_e32 v[44:45], v[42:43], v[44:45]
; %bb.78:
	s_and_not1_saveexec_b32 s0, s0
; %bb.79:
	v_add_nc_u64_e32 v[44:45], v[2:3], v[0:1]
; %bb.80:
	s_or_b32 exec_lo, exec_lo, s0
	s_delay_alu instid0(VALU_DEP_1)
	v_lshl_add_u64 v[44:45], v[44:45], 2, s[10:11]
	s_mov_b32 s0, exec_lo
	s_wait_dscnt 0x6
	global_store_b32 v[44:45], v14, off
                                        ; implicit-def: $vgpr44_vgpr45
	s_wait_xcnt 0x0
	v_cmpx_ge_u32_e64 v40, v16
	s_xor_b32 s0, exec_lo, s0
; %bb.81:
	v_xor_b32_e32 v44, 0xfffffeff, v0
	s_delay_alu instid0(VALU_DEP_1) | instskip(NEXT) | instid1(VALU_DEP_1)
	v_ashrrev_i32_e32 v45, 31, v44
	v_add_nc_u64_e32 v[44:45], v[42:43], v[44:45]
; %bb.82:
	s_and_not1_saveexec_b32 s0, s0
; %bb.83:
	v_add_nc_u64_e32 v[44:45], v[2:3], v[40:41]
; %bb.84:
	s_or_b32 exec_lo, exec_lo, s0
	s_delay_alu instid0(VALU_DEP_1)
	v_lshl_add_u64 v[44:45], v[44:45], 2, s[10:11]
	s_mov_b32 s0, exec_lo
	global_store_b32 v[44:45], v15, off
                                        ; implicit-def: $vgpr44_vgpr45
	s_wait_xcnt 0x0
	v_cmpx_ge_u32_e64 v38, v16
	s_xor_b32 s0, exec_lo, s0
; %bb.85:
	v_xor_b32_e32 v44, 0xfffffdff, v0
	s_delay_alu instid0(VALU_DEP_1) | instskip(NEXT) | instid1(VALU_DEP_1)
	v_ashrrev_i32_e32 v45, 31, v44
	v_add_nc_u64_e32 v[44:45], v[42:43], v[44:45]
; %bb.86:
	s_and_not1_saveexec_b32 s0, s0
; %bb.87:
	v_add_nc_u64_e32 v[44:45], v[2:3], v[38:39]
; %bb.88:
	s_or_b32 exec_lo, exec_lo, s0
	s_delay_alu instid0(VALU_DEP_1)
	v_lshl_add_u64 v[44:45], v[44:45], 2, s[10:11]
	s_mov_b32 s0, exec_lo
	s_wait_dscnt 0x5
	global_store_b32 v[44:45], v12, off
                                        ; implicit-def: $vgpr44_vgpr45
	s_wait_xcnt 0x0
	v_cmpx_ge_u32_e64 v36, v16
	s_xor_b32 s0, exec_lo, s0
; %bb.89:
	v_xor_b32_e32 v44, 0xfffffcff, v0
	s_delay_alu instid0(VALU_DEP_1) | instskip(NEXT) | instid1(VALU_DEP_1)
	v_ashrrev_i32_e32 v45, 31, v44
	v_add_nc_u64_e32 v[44:45], v[42:43], v[44:45]
; %bb.90:
	s_and_not1_saveexec_b32 s0, s0
; %bb.91:
	v_add_nc_u64_e32 v[44:45], v[2:3], v[36:37]
; %bb.92:
	s_or_b32 exec_lo, exec_lo, s0
	s_delay_alu instid0(VALU_DEP_1)
	v_lshl_add_u64 v[44:45], v[44:45], 2, s[10:11]
	s_mov_b32 s0, exec_lo
	global_store_b32 v[44:45], v13, off
                                        ; implicit-def: $vgpr44_vgpr45
	s_wait_xcnt 0x0
	v_cmpx_ge_u32_e64 v34, v16
	s_xor_b32 s0, exec_lo, s0
; %bb.93:
	v_xor_b32_e32 v44, 0xfffffbff, v0
	;; [unrolled: 39-line block ×6, first 2 shown]
	s_delay_alu instid0(VALU_DEP_1) | instskip(NEXT) | instid1(VALU_DEP_1)
	v_ashrrev_i32_e32 v45, 31, v44
	v_add_nc_u64_e32 v[44:45], v[42:43], v[44:45]
; %bb.126:
	s_and_not1_saveexec_b32 s0, s0
; %bb.127:
	v_add_nc_u64_e32 v[44:45], v[2:3], v[18:19]
; %bb.128:
	s_or_b32 exec_lo, exec_lo, s0
	s_mov_b32 s0, -1
.LBB1824_129:
	s_delay_alu instid0(SALU_CYCLE_1)
	s_and_saveexec_b32 s1, s0
	s_cbranch_execz .LBB1824_212
.LBB1824_130:
	s_delay_alu instid0(VALU_DEP_1)
	v_lshl_add_u64 v[0:1], v[44:45], 2, s[10:11]
	s_wait_dscnt 0x0
	global_store_b32 v[0:1], v46, off
	s_wait_xcnt 0x0
	s_or_b32 exec_lo, exec_lo, s1
	s_and_b32 s0, s2, s9
	s_delay_alu instid0(SALU_CYCLE_1)
	s_and_saveexec_b32 s1, s0
	s_cbranch_execnz .LBB1824_213
.LBB1824_131:
	s_sendmsg sendmsg(MSG_DEALLOC_VGPRS)
	s_endpgm
.LBB1824_132:
	s_mov_b32 s0, 0
                                        ; implicit-def: $vgpr44_vgpr45
	s_cbranch_execz .LBB1824_129
; %bb.133:
	s_mov_b32 s15, 0
	v_mov_b32_e32 v17, 0
	s_add_nc_u64 s[4:5], s[16:17], s[14:15]
	s_mov_b32 s1, exec_lo
	s_sub_nc_u64 s[4:5], s[18:19], s[4:5]
	s_delay_alu instid0(VALU_DEP_1) | instid1(SALU_CYCLE_1)
	v_add_nc_u64_e32 v[42:43], s[4:5], v[16:17]
	s_delay_alu instid0(VALU_DEP_1)
	v_add_nc_u64_e32 v[42:43], v[42:43], v[2:3]
	v_cmpx_gt_u32_e64 s22, v0
	s_cbranch_execz .LBB1824_169
; %bb.134:
	s_mov_b32 s3, exec_lo
                                        ; implicit-def: $vgpr44_vgpr45
	v_cmpx_ge_u32_e64 v0, v16
	s_xor_b32 s3, exec_lo, s3
; %bb.135:
	v_not_b32_e32 v44, v0
	s_delay_alu instid0(VALU_DEP_1) | instskip(NEXT) | instid1(VALU_DEP_1)
	v_ashrrev_i32_e32 v45, 31, v44
	v_add_nc_u64_e32 v[44:45], v[42:43], v[44:45]
; %bb.136:
	s_and_not1_saveexec_b32 s3, s3
; %bb.137:
	v_add_nc_u64_e32 v[44:45], v[2:3], v[0:1]
; %bb.138:
	s_or_b32 exec_lo, exec_lo, s3
	s_delay_alu instid0(VALU_DEP_1) | instskip(SKIP_4) | instid1(SALU_CYCLE_1)
	v_lshl_add_u64 v[44:45], v[44:45], 2, s[10:11]
	s_wait_dscnt 0x6
	global_store_b32 v[44:45], v14, off
	s_wait_xcnt 0x0
	s_or_b32 exec_lo, exec_lo, s1
	s_mov_b32 s1, exec_lo
	v_cmpx_gt_u32_e64 s22, v40
	s_cbranch_execnz .LBB1824_170
.LBB1824_139:
	s_or_b32 exec_lo, exec_lo, s1
	s_delay_alu instid0(SALU_CYCLE_1)
	s_mov_b32 s1, exec_lo
	v_cmpx_gt_u32_e64 s22, v38
	s_cbranch_execz .LBB1824_175
.LBB1824_140:
	s_mov_b32 s3, exec_lo
                                        ; implicit-def: $vgpr14_vgpr15
	v_cmpx_ge_u32_e64 v38, v16
	s_xor_b32 s3, exec_lo, s3
	s_cbranch_execz .LBB1824_142
; %bb.141:
	s_wait_dscnt 0x6
	v_xor_b32_e32 v14, 0xfffffdff, v0
                                        ; implicit-def: $vgpr38_vgpr39
	s_delay_alu instid0(VALU_DEP_1) | instskip(NEXT) | instid1(VALU_DEP_1)
	v_ashrrev_i32_e32 v15, 31, v14
	v_add_nc_u64_e32 v[14:15], v[42:43], v[14:15]
.LBB1824_142:
	s_and_not1_saveexec_b32 s3, s3
	s_cbranch_execz .LBB1824_144
; %bb.143:
	s_wait_dscnt 0x6
	v_add_nc_u64_e32 v[14:15], v[2:3], v[38:39]
.LBB1824_144:
	s_or_b32 exec_lo, exec_lo, s3
	s_wait_dscnt 0x6
	s_delay_alu instid0(VALU_DEP_1) | instskip(SKIP_4) | instid1(SALU_CYCLE_1)
	v_lshl_add_u64 v[14:15], v[14:15], 2, s[10:11]
	s_wait_dscnt 0x5
	global_store_b32 v[14:15], v12, off
	s_wait_xcnt 0x0
	s_or_b32 exec_lo, exec_lo, s1
	s_mov_b32 s1, exec_lo
	v_cmpx_gt_u32_e64 s22, v36
	s_cbranch_execnz .LBB1824_176
.LBB1824_145:
	s_or_b32 exec_lo, exec_lo, s1
	s_delay_alu instid0(SALU_CYCLE_1)
	s_mov_b32 s1, exec_lo
	v_cmpx_gt_u32_e64 s22, v34
	s_cbranch_execz .LBB1824_181
.LBB1824_146:
	s_mov_b32 s3, exec_lo
                                        ; implicit-def: $vgpr12_vgpr13
	v_cmpx_ge_u32_e64 v34, v16
	s_xor_b32 s3, exec_lo, s3
	s_cbranch_execz .LBB1824_148
; %bb.147:
	s_wait_dscnt 0x5
	v_xor_b32_e32 v12, 0xfffffbff, v0
                                        ; implicit-def: $vgpr34_vgpr35
	s_delay_alu instid0(VALU_DEP_1) | instskip(NEXT) | instid1(VALU_DEP_1)
	v_ashrrev_i32_e32 v13, 31, v12
	v_add_nc_u64_e32 v[12:13], v[42:43], v[12:13]
.LBB1824_148:
	s_and_not1_saveexec_b32 s3, s3
	s_cbranch_execz .LBB1824_150
; %bb.149:
	s_wait_dscnt 0x5
	v_add_nc_u64_e32 v[12:13], v[2:3], v[34:35]
.LBB1824_150:
	s_or_b32 exec_lo, exec_lo, s3
	s_wait_dscnt 0x5
	s_delay_alu instid0(VALU_DEP_1) | instskip(SKIP_4) | instid1(SALU_CYCLE_1)
	v_lshl_add_u64 v[12:13], v[12:13], 2, s[10:11]
	s_wait_dscnt 0x4
	global_store_b32 v[12:13], v10, off
	s_wait_xcnt 0x0
	s_or_b32 exec_lo, exec_lo, s1
	s_mov_b32 s1, exec_lo
	v_cmpx_gt_u32_e64 s22, v32
	s_cbranch_execnz .LBB1824_182
.LBB1824_151:
	s_or_b32 exec_lo, exec_lo, s1
	s_delay_alu instid0(SALU_CYCLE_1)
	s_mov_b32 s1, exec_lo
	v_cmpx_gt_u32_e64 s22, v30
	s_cbranch_execz .LBB1824_187
.LBB1824_152:
	s_mov_b32 s3, exec_lo
                                        ; implicit-def: $vgpr10_vgpr11
	v_cmpx_ge_u32_e64 v30, v16
	s_xor_b32 s3, exec_lo, s3
	s_cbranch_execz .LBB1824_154
; %bb.153:
	s_wait_dscnt 0x4
	v_xor_b32_e32 v10, 0xfffff9ff, v0
                                        ; implicit-def: $vgpr30_vgpr31
	s_delay_alu instid0(VALU_DEP_1) | instskip(NEXT) | instid1(VALU_DEP_1)
	v_ashrrev_i32_e32 v11, 31, v10
	v_add_nc_u64_e32 v[10:11], v[42:43], v[10:11]
.LBB1824_154:
	s_and_not1_saveexec_b32 s3, s3
	s_cbranch_execz .LBB1824_156
; %bb.155:
	s_wait_dscnt 0x4
	v_add_nc_u64_e32 v[10:11], v[2:3], v[30:31]
.LBB1824_156:
	s_or_b32 exec_lo, exec_lo, s3
	s_wait_dscnt 0x4
	s_delay_alu instid0(VALU_DEP_1) | instskip(SKIP_4) | instid1(SALU_CYCLE_1)
	v_lshl_add_u64 v[10:11], v[10:11], 2, s[10:11]
	s_wait_dscnt 0x3
	global_store_b32 v[10:11], v8, off
	s_wait_xcnt 0x0
	s_or_b32 exec_lo, exec_lo, s1
	s_mov_b32 s1, exec_lo
	v_cmpx_gt_u32_e64 s22, v28
	s_cbranch_execnz .LBB1824_188
.LBB1824_157:
	s_or_b32 exec_lo, exec_lo, s1
	s_delay_alu instid0(SALU_CYCLE_1)
	s_mov_b32 s1, exec_lo
	v_cmpx_gt_u32_e64 s22, v26
	s_cbranch_execz .LBB1824_193
.LBB1824_158:
	s_mov_b32 s3, exec_lo
                                        ; implicit-def: $vgpr8_vgpr9
	v_cmpx_ge_u32_e64 v26, v16
	s_xor_b32 s3, exec_lo, s3
	s_cbranch_execz .LBB1824_160
; %bb.159:
	s_wait_dscnt 0x3
	v_xor_b32_e32 v8, 0xfffff7ff, v0
                                        ; implicit-def: $vgpr26_vgpr27
	s_delay_alu instid0(VALU_DEP_1) | instskip(NEXT) | instid1(VALU_DEP_1)
	v_ashrrev_i32_e32 v9, 31, v8
	v_add_nc_u64_e32 v[8:9], v[42:43], v[8:9]
.LBB1824_160:
	s_and_not1_saveexec_b32 s3, s3
	s_cbranch_execz .LBB1824_162
; %bb.161:
	s_wait_dscnt 0x3
	v_add_nc_u64_e32 v[8:9], v[2:3], v[26:27]
.LBB1824_162:
	s_or_b32 exec_lo, exec_lo, s3
	s_wait_dscnt 0x3
	s_delay_alu instid0(VALU_DEP_1) | instskip(SKIP_4) | instid1(SALU_CYCLE_1)
	v_lshl_add_u64 v[8:9], v[8:9], 2, s[10:11]
	s_wait_dscnt 0x2
	global_store_b32 v[8:9], v6, off
	s_wait_xcnt 0x0
	s_or_b32 exec_lo, exec_lo, s1
	s_mov_b32 s1, exec_lo
	v_cmpx_gt_u32_e64 s22, v24
	s_cbranch_execnz .LBB1824_194
.LBB1824_163:
	s_or_b32 exec_lo, exec_lo, s1
	s_delay_alu instid0(SALU_CYCLE_1)
	s_mov_b32 s1, exec_lo
	v_cmpx_gt_u32_e64 s22, v22
	s_cbranch_execz .LBB1824_199
.LBB1824_164:
	s_mov_b32 s3, exec_lo
                                        ; implicit-def: $vgpr6_vgpr7
	v_cmpx_ge_u32_e64 v22, v16
	s_xor_b32 s3, exec_lo, s3
	s_cbranch_execz .LBB1824_166
; %bb.165:
	s_wait_dscnt 0x2
	v_xor_b32_e32 v6, 0xfffff5ff, v0
                                        ; implicit-def: $vgpr22_vgpr23
	s_delay_alu instid0(VALU_DEP_1) | instskip(NEXT) | instid1(VALU_DEP_1)
	v_ashrrev_i32_e32 v7, 31, v6
	v_add_nc_u64_e32 v[6:7], v[42:43], v[6:7]
.LBB1824_166:
	s_and_not1_saveexec_b32 s3, s3
	s_cbranch_execz .LBB1824_168
; %bb.167:
	s_wait_dscnt 0x2
	v_add_nc_u64_e32 v[6:7], v[2:3], v[22:23]
.LBB1824_168:
	s_or_b32 exec_lo, exec_lo, s3
	s_wait_dscnt 0x2
	s_delay_alu instid0(VALU_DEP_1) | instskip(SKIP_4) | instid1(SALU_CYCLE_1)
	v_lshl_add_u64 v[6:7], v[6:7], 2, s[10:11]
	s_wait_dscnt 0x1
	global_store_b32 v[6:7], v4, off
	s_wait_xcnt 0x0
	s_or_b32 exec_lo, exec_lo, s1
	s_mov_b32 s1, exec_lo
	v_cmpx_gt_u32_e64 s22, v20
	s_cbranch_execz .LBB1824_205
	s_branch .LBB1824_200
.LBB1824_169:
	s_or_b32 exec_lo, exec_lo, s1
	s_delay_alu instid0(SALU_CYCLE_1)
	s_mov_b32 s1, exec_lo
	v_cmpx_gt_u32_e64 s22, v40
	s_cbranch_execz .LBB1824_139
.LBB1824_170:
	s_mov_b32 s3, exec_lo
                                        ; implicit-def: $vgpr44_vgpr45
	v_cmpx_ge_u32_e64 v40, v16
	s_xor_b32 s3, exec_lo, s3
; %bb.171:
	v_xor_b32_e32 v40, 0xfffffeff, v0
	s_delay_alu instid0(VALU_DEP_1) | instskip(NEXT) | instid1(VALU_DEP_1)
	v_ashrrev_i32_e32 v41, 31, v40
	v_add_nc_u64_e32 v[44:45], v[42:43], v[40:41]
                                        ; implicit-def: $vgpr40_vgpr41
; %bb.172:
	s_and_not1_saveexec_b32 s3, s3
; %bb.173:
	v_add_nc_u64_e32 v[44:45], v[2:3], v[40:41]
; %bb.174:
	s_or_b32 exec_lo, exec_lo, s3
	s_delay_alu instid0(VALU_DEP_1) | instskip(SKIP_4) | instid1(SALU_CYCLE_1)
	v_lshl_add_u64 v[40:41], v[44:45], 2, s[10:11]
	s_wait_dscnt 0x6
	global_store_b32 v[40:41], v15, off
	s_wait_xcnt 0x0
	s_or_b32 exec_lo, exec_lo, s1
	s_mov_b32 s1, exec_lo
	v_cmpx_gt_u32_e64 s22, v38
	s_cbranch_execnz .LBB1824_140
.LBB1824_175:
	s_or_b32 exec_lo, exec_lo, s1
	s_delay_alu instid0(SALU_CYCLE_1)
	s_mov_b32 s1, exec_lo
	v_cmpx_gt_u32_e64 s22, v36
	s_cbranch_execz .LBB1824_145
.LBB1824_176:
	s_mov_b32 s3, exec_lo
                                        ; implicit-def: $vgpr14_vgpr15
	v_cmpx_ge_u32_e64 v36, v16
	s_xor_b32 s3, exec_lo, s3
	s_cbranch_execz .LBB1824_178
; %bb.177:
	s_wait_dscnt 0x6
	v_xor_b32_e32 v14, 0xfffffcff, v0
                                        ; implicit-def: $vgpr36_vgpr37
	s_delay_alu instid0(VALU_DEP_1) | instskip(NEXT) | instid1(VALU_DEP_1)
	v_ashrrev_i32_e32 v15, 31, v14
	v_add_nc_u64_e32 v[14:15], v[42:43], v[14:15]
.LBB1824_178:
	s_and_not1_saveexec_b32 s3, s3
	s_cbranch_execz .LBB1824_180
; %bb.179:
	s_wait_dscnt 0x6
	v_add_nc_u64_e32 v[14:15], v[2:3], v[36:37]
.LBB1824_180:
	s_or_b32 exec_lo, exec_lo, s3
	s_wait_dscnt 0x6
	s_delay_alu instid0(VALU_DEP_1) | instskip(SKIP_4) | instid1(SALU_CYCLE_1)
	v_lshl_add_u64 v[14:15], v[14:15], 2, s[10:11]
	s_wait_dscnt 0x5
	global_store_b32 v[14:15], v13, off
	s_wait_xcnt 0x0
	s_or_b32 exec_lo, exec_lo, s1
	s_mov_b32 s1, exec_lo
	v_cmpx_gt_u32_e64 s22, v34
	s_cbranch_execnz .LBB1824_146
.LBB1824_181:
	s_or_b32 exec_lo, exec_lo, s1
	s_delay_alu instid0(SALU_CYCLE_1)
	s_mov_b32 s1, exec_lo
	v_cmpx_gt_u32_e64 s22, v32
	s_cbranch_execz .LBB1824_151
.LBB1824_182:
	s_mov_b32 s3, exec_lo
                                        ; implicit-def: $vgpr12_vgpr13
	v_cmpx_ge_u32_e64 v32, v16
	s_xor_b32 s3, exec_lo, s3
	s_cbranch_execz .LBB1824_184
; %bb.183:
	s_wait_dscnt 0x5
	v_xor_b32_e32 v12, 0xfffffaff, v0
                                        ; implicit-def: $vgpr32_vgpr33
	s_delay_alu instid0(VALU_DEP_1) | instskip(NEXT) | instid1(VALU_DEP_1)
	v_ashrrev_i32_e32 v13, 31, v12
	v_add_nc_u64_e32 v[12:13], v[42:43], v[12:13]
.LBB1824_184:
	s_and_not1_saveexec_b32 s3, s3
	s_cbranch_execz .LBB1824_186
; %bb.185:
	s_wait_dscnt 0x5
	v_add_nc_u64_e32 v[12:13], v[2:3], v[32:33]
.LBB1824_186:
	s_or_b32 exec_lo, exec_lo, s3
	s_wait_dscnt 0x5
	s_delay_alu instid0(VALU_DEP_1) | instskip(SKIP_4) | instid1(SALU_CYCLE_1)
	v_lshl_add_u64 v[12:13], v[12:13], 2, s[10:11]
	s_wait_dscnt 0x4
	global_store_b32 v[12:13], v11, off
	s_wait_xcnt 0x0
	s_or_b32 exec_lo, exec_lo, s1
	s_mov_b32 s1, exec_lo
	v_cmpx_gt_u32_e64 s22, v30
	s_cbranch_execnz .LBB1824_152
.LBB1824_187:
	s_or_b32 exec_lo, exec_lo, s1
	s_delay_alu instid0(SALU_CYCLE_1)
	s_mov_b32 s1, exec_lo
	v_cmpx_gt_u32_e64 s22, v28
	s_cbranch_execz .LBB1824_157
.LBB1824_188:
	s_mov_b32 s3, exec_lo
                                        ; implicit-def: $vgpr10_vgpr11
	v_cmpx_ge_u32_e64 v28, v16
	s_xor_b32 s3, exec_lo, s3
	s_cbranch_execz .LBB1824_190
; %bb.189:
	s_wait_dscnt 0x4
	v_xor_b32_e32 v10, 0xfffff8ff, v0
                                        ; implicit-def: $vgpr28_vgpr29
	s_delay_alu instid0(VALU_DEP_1) | instskip(NEXT) | instid1(VALU_DEP_1)
	v_ashrrev_i32_e32 v11, 31, v10
	v_add_nc_u64_e32 v[10:11], v[42:43], v[10:11]
.LBB1824_190:
	s_and_not1_saveexec_b32 s3, s3
	s_cbranch_execz .LBB1824_192
; %bb.191:
	s_wait_dscnt 0x4
	v_add_nc_u64_e32 v[10:11], v[2:3], v[28:29]
.LBB1824_192:
	s_or_b32 exec_lo, exec_lo, s3
	s_wait_dscnt 0x4
	s_delay_alu instid0(VALU_DEP_1) | instskip(SKIP_4) | instid1(SALU_CYCLE_1)
	v_lshl_add_u64 v[10:11], v[10:11], 2, s[10:11]
	s_wait_dscnt 0x3
	global_store_b32 v[10:11], v9, off
	s_wait_xcnt 0x0
	s_or_b32 exec_lo, exec_lo, s1
	s_mov_b32 s1, exec_lo
	v_cmpx_gt_u32_e64 s22, v26
	s_cbranch_execnz .LBB1824_158
.LBB1824_193:
	s_or_b32 exec_lo, exec_lo, s1
	s_delay_alu instid0(SALU_CYCLE_1)
	s_mov_b32 s1, exec_lo
	v_cmpx_gt_u32_e64 s22, v24
	s_cbranch_execz .LBB1824_163
.LBB1824_194:
	s_mov_b32 s3, exec_lo
                                        ; implicit-def: $vgpr8_vgpr9
	v_cmpx_ge_u32_e64 v24, v16
	s_xor_b32 s3, exec_lo, s3
	s_cbranch_execz .LBB1824_196
; %bb.195:
	s_wait_dscnt 0x3
	v_xor_b32_e32 v8, 0xfffff6ff, v0
                                        ; implicit-def: $vgpr24_vgpr25
	s_delay_alu instid0(VALU_DEP_1) | instskip(NEXT) | instid1(VALU_DEP_1)
	v_ashrrev_i32_e32 v9, 31, v8
	v_add_nc_u64_e32 v[8:9], v[42:43], v[8:9]
.LBB1824_196:
	s_and_not1_saveexec_b32 s3, s3
	s_cbranch_execz .LBB1824_198
; %bb.197:
	s_wait_dscnt 0x3
	v_add_nc_u64_e32 v[8:9], v[2:3], v[24:25]
.LBB1824_198:
	s_or_b32 exec_lo, exec_lo, s3
	s_wait_dscnt 0x3
	s_delay_alu instid0(VALU_DEP_1) | instskip(SKIP_4) | instid1(SALU_CYCLE_1)
	v_lshl_add_u64 v[8:9], v[8:9], 2, s[10:11]
	s_wait_dscnt 0x2
	global_store_b32 v[8:9], v7, off
	s_wait_xcnt 0x0
	s_or_b32 exec_lo, exec_lo, s1
	s_mov_b32 s1, exec_lo
	v_cmpx_gt_u32_e64 s22, v22
	s_cbranch_execnz .LBB1824_164
.LBB1824_199:
	s_or_b32 exec_lo, exec_lo, s1
	s_delay_alu instid0(SALU_CYCLE_1)
	s_mov_b32 s1, exec_lo
	v_cmpx_gt_u32_e64 s22, v20
	s_cbranch_execz .LBB1824_205
.LBB1824_200:
	s_mov_b32 s3, exec_lo
                                        ; implicit-def: $vgpr6_vgpr7
	v_cmpx_ge_u32_e64 v20, v16
	s_xor_b32 s3, exec_lo, s3
	s_cbranch_execz .LBB1824_202
; %bb.201:
	s_wait_dscnt 0x2
	v_xor_b32_e32 v6, 0xfffff4ff, v0
                                        ; implicit-def: $vgpr20_vgpr21
	s_delay_alu instid0(VALU_DEP_1) | instskip(NEXT) | instid1(VALU_DEP_1)
	v_ashrrev_i32_e32 v7, 31, v6
	v_add_nc_u64_e32 v[6:7], v[42:43], v[6:7]
.LBB1824_202:
	s_and_not1_saveexec_b32 s3, s3
	s_cbranch_execz .LBB1824_204
; %bb.203:
	s_wait_dscnt 0x2
	v_add_nc_u64_e32 v[6:7], v[2:3], v[20:21]
.LBB1824_204:
	s_or_b32 exec_lo, exec_lo, s3
	s_wait_dscnt 0x2
	s_delay_alu instid0(VALU_DEP_1)
	v_lshl_add_u64 v[6:7], v[6:7], 2, s[10:11]
	s_wait_dscnt 0x1
	global_store_b32 v[6:7], v5, off
.LBB1824_205:
	s_wait_xcnt 0x0
	s_or_b32 exec_lo, exec_lo, s1
	s_delay_alu instid0(SALU_CYCLE_1)
	s_mov_b32 s1, exec_lo
                                        ; implicit-def: $vgpr44_vgpr45
	v_cmpx_gt_u32_e64 s22, v18
	s_cbranch_execz .LBB1824_211
; %bb.206:
	s_mov_b32 s3, exec_lo
                                        ; implicit-def: $vgpr44_vgpr45
	v_cmpx_ge_u32_e64 v18, v16
	s_xor_b32 s3, exec_lo, s3
; %bb.207:
	v_xor_b32_e32 v0, 0xfffff3ff, v0
                                        ; implicit-def: $vgpr18_vgpr19
	s_delay_alu instid0(VALU_DEP_1) | instskip(NEXT) | instid1(VALU_DEP_1)
	v_ashrrev_i32_e32 v1, 31, v0
	v_add_nc_u64_e32 v[44:45], v[42:43], v[0:1]
; %bb.208:
	s_and_not1_saveexec_b32 s3, s3
; %bb.209:
	v_add_nc_u64_e32 v[44:45], v[2:3], v[18:19]
; %bb.210:
	s_or_b32 exec_lo, exec_lo, s3
	s_delay_alu instid0(SALU_CYCLE_1)
	s_or_b32 s0, s0, exec_lo
.LBB1824_211:
	s_or_b32 exec_lo, exec_lo, s1
	s_and_saveexec_b32 s1, s0
	s_cbranch_execnz .LBB1824_130
.LBB1824_212:
	s_or_b32 exec_lo, exec_lo, s1
	s_and_b32 s0, s2, s9
	s_delay_alu instid0(SALU_CYCLE_1)
	s_and_saveexec_b32 s1, s0
	s_cbranch_execz .LBB1824_131
.LBB1824_213:
	v_mov_b32_e32 v17, 0
	s_delay_alu instid0(VALU_DEP_1)
	v_add_nc_u64_e32 v[0:1], v[2:3], v[16:17]
	global_store_b64 v17, v[0:1], s[12:13]
	s_sendmsg sendmsg(MSG_DEALLOC_VGPRS)
	s_endpgm
	.section	.rodata,"a",@progbits
	.p2align	6, 0x0
	.amdhsa_kernel _ZN7rocprim17ROCPRIM_400000_NS6detail17trampoline_kernelINS0_13select_configILj256ELj13ELNS0_17block_load_methodE3ELS4_3ELS4_3ELNS0_20block_scan_algorithmE0ELj4294967295EEENS1_25partition_config_selectorILNS1_17partition_subalgoE3EjNS0_10empty_typeEbEEZZNS1_14partition_implILS8_3ELb0ES6_jNS0_17counting_iteratorIjlEEPS9_SE_NS0_5tupleIJPjSE_EEENSF_IJSE_SE_EEES9_SG_JZNS1_25segmented_radix_sort_implINS0_14default_configELb0EPK6__halfPSL_PKlPlN2at6native12_GLOBAL__N_18offset_tEEE10hipError_tPvRmT1_PNSt15iterator_traitsISZ_E10value_typeET2_T3_PNS10_IS15_E10value_typeET4_jRbjT5_S1B_jjP12ihipStream_tbEUljE_EEESW_SX_SY_S15_S19_S1B_T6_T7_T9_mT8_S1D_bDpT10_ENKUlT_T0_E_clISt17integral_constantIbLb0EES1P_IbLb1EEEEDaS1L_S1M_EUlS1L_E_NS1_11comp_targetILNS1_3genE0ELNS1_11target_archE4294967295ELNS1_3gpuE0ELNS1_3repE0EEENS1_30default_config_static_selectorELNS0_4arch9wavefront6targetE0EEEvSZ_
		.amdhsa_group_segment_fixed_size 13320
		.amdhsa_private_segment_fixed_size 0
		.amdhsa_kernarg_size 152
		.amdhsa_user_sgpr_count 2
		.amdhsa_user_sgpr_dispatch_ptr 0
		.amdhsa_user_sgpr_queue_ptr 0
		.amdhsa_user_sgpr_kernarg_segment_ptr 1
		.amdhsa_user_sgpr_dispatch_id 0
		.amdhsa_user_sgpr_kernarg_preload_length 0
		.amdhsa_user_sgpr_kernarg_preload_offset 0
		.amdhsa_user_sgpr_private_segment_size 0
		.amdhsa_wavefront_size32 1
		.amdhsa_uses_dynamic_stack 0
		.amdhsa_enable_private_segment 0
		.amdhsa_system_sgpr_workgroup_id_x 1
		.amdhsa_system_sgpr_workgroup_id_y 0
		.amdhsa_system_sgpr_workgroup_id_z 0
		.amdhsa_system_sgpr_workgroup_info 0
		.amdhsa_system_vgpr_workitem_id 0
		.amdhsa_next_free_vgpr 72
		.amdhsa_next_free_sgpr 24
		.amdhsa_named_barrier_count 0
		.amdhsa_reserve_vcc 1
		.amdhsa_float_round_mode_32 0
		.amdhsa_float_round_mode_16_64 0
		.amdhsa_float_denorm_mode_32 3
		.amdhsa_float_denorm_mode_16_64 3
		.amdhsa_fp16_overflow 0
		.amdhsa_memory_ordered 1
		.amdhsa_forward_progress 1
		.amdhsa_inst_pref_size 71
		.amdhsa_round_robin_scheduling 0
		.amdhsa_exception_fp_ieee_invalid_op 0
		.amdhsa_exception_fp_denorm_src 0
		.amdhsa_exception_fp_ieee_div_zero 0
		.amdhsa_exception_fp_ieee_overflow 0
		.amdhsa_exception_fp_ieee_underflow 0
		.amdhsa_exception_fp_ieee_inexact 0
		.amdhsa_exception_int_div_zero 0
	.end_amdhsa_kernel
	.section	.text._ZN7rocprim17ROCPRIM_400000_NS6detail17trampoline_kernelINS0_13select_configILj256ELj13ELNS0_17block_load_methodE3ELS4_3ELS4_3ELNS0_20block_scan_algorithmE0ELj4294967295EEENS1_25partition_config_selectorILNS1_17partition_subalgoE3EjNS0_10empty_typeEbEEZZNS1_14partition_implILS8_3ELb0ES6_jNS0_17counting_iteratorIjlEEPS9_SE_NS0_5tupleIJPjSE_EEENSF_IJSE_SE_EEES9_SG_JZNS1_25segmented_radix_sort_implINS0_14default_configELb0EPK6__halfPSL_PKlPlN2at6native12_GLOBAL__N_18offset_tEEE10hipError_tPvRmT1_PNSt15iterator_traitsISZ_E10value_typeET2_T3_PNS10_IS15_E10value_typeET4_jRbjT5_S1B_jjP12ihipStream_tbEUljE_EEESW_SX_SY_S15_S19_S1B_T6_T7_T9_mT8_S1D_bDpT10_ENKUlT_T0_E_clISt17integral_constantIbLb0EES1P_IbLb1EEEEDaS1L_S1M_EUlS1L_E_NS1_11comp_targetILNS1_3genE0ELNS1_11target_archE4294967295ELNS1_3gpuE0ELNS1_3repE0EEENS1_30default_config_static_selectorELNS0_4arch9wavefront6targetE0EEEvSZ_,"axG",@progbits,_ZN7rocprim17ROCPRIM_400000_NS6detail17trampoline_kernelINS0_13select_configILj256ELj13ELNS0_17block_load_methodE3ELS4_3ELS4_3ELNS0_20block_scan_algorithmE0ELj4294967295EEENS1_25partition_config_selectorILNS1_17partition_subalgoE3EjNS0_10empty_typeEbEEZZNS1_14partition_implILS8_3ELb0ES6_jNS0_17counting_iteratorIjlEEPS9_SE_NS0_5tupleIJPjSE_EEENSF_IJSE_SE_EEES9_SG_JZNS1_25segmented_radix_sort_implINS0_14default_configELb0EPK6__halfPSL_PKlPlN2at6native12_GLOBAL__N_18offset_tEEE10hipError_tPvRmT1_PNSt15iterator_traitsISZ_E10value_typeET2_T3_PNS10_IS15_E10value_typeET4_jRbjT5_S1B_jjP12ihipStream_tbEUljE_EEESW_SX_SY_S15_S19_S1B_T6_T7_T9_mT8_S1D_bDpT10_ENKUlT_T0_E_clISt17integral_constantIbLb0EES1P_IbLb1EEEEDaS1L_S1M_EUlS1L_E_NS1_11comp_targetILNS1_3genE0ELNS1_11target_archE4294967295ELNS1_3gpuE0ELNS1_3repE0EEENS1_30default_config_static_selectorELNS0_4arch9wavefront6targetE0EEEvSZ_,comdat
.Lfunc_end1824:
	.size	_ZN7rocprim17ROCPRIM_400000_NS6detail17trampoline_kernelINS0_13select_configILj256ELj13ELNS0_17block_load_methodE3ELS4_3ELS4_3ELNS0_20block_scan_algorithmE0ELj4294967295EEENS1_25partition_config_selectorILNS1_17partition_subalgoE3EjNS0_10empty_typeEbEEZZNS1_14partition_implILS8_3ELb0ES6_jNS0_17counting_iteratorIjlEEPS9_SE_NS0_5tupleIJPjSE_EEENSF_IJSE_SE_EEES9_SG_JZNS1_25segmented_radix_sort_implINS0_14default_configELb0EPK6__halfPSL_PKlPlN2at6native12_GLOBAL__N_18offset_tEEE10hipError_tPvRmT1_PNSt15iterator_traitsISZ_E10value_typeET2_T3_PNS10_IS15_E10value_typeET4_jRbjT5_S1B_jjP12ihipStream_tbEUljE_EEESW_SX_SY_S15_S19_S1B_T6_T7_T9_mT8_S1D_bDpT10_ENKUlT_T0_E_clISt17integral_constantIbLb0EES1P_IbLb1EEEEDaS1L_S1M_EUlS1L_E_NS1_11comp_targetILNS1_3genE0ELNS1_11target_archE4294967295ELNS1_3gpuE0ELNS1_3repE0EEENS1_30default_config_static_selectorELNS0_4arch9wavefront6targetE0EEEvSZ_, .Lfunc_end1824-_ZN7rocprim17ROCPRIM_400000_NS6detail17trampoline_kernelINS0_13select_configILj256ELj13ELNS0_17block_load_methodE3ELS4_3ELS4_3ELNS0_20block_scan_algorithmE0ELj4294967295EEENS1_25partition_config_selectorILNS1_17partition_subalgoE3EjNS0_10empty_typeEbEEZZNS1_14partition_implILS8_3ELb0ES6_jNS0_17counting_iteratorIjlEEPS9_SE_NS0_5tupleIJPjSE_EEENSF_IJSE_SE_EEES9_SG_JZNS1_25segmented_radix_sort_implINS0_14default_configELb0EPK6__halfPSL_PKlPlN2at6native12_GLOBAL__N_18offset_tEEE10hipError_tPvRmT1_PNSt15iterator_traitsISZ_E10value_typeET2_T3_PNS10_IS15_E10value_typeET4_jRbjT5_S1B_jjP12ihipStream_tbEUljE_EEESW_SX_SY_S15_S19_S1B_T6_T7_T9_mT8_S1D_bDpT10_ENKUlT_T0_E_clISt17integral_constantIbLb0EES1P_IbLb1EEEEDaS1L_S1M_EUlS1L_E_NS1_11comp_targetILNS1_3genE0ELNS1_11target_archE4294967295ELNS1_3gpuE0ELNS1_3repE0EEENS1_30default_config_static_selectorELNS0_4arch9wavefront6targetE0EEEvSZ_
                                        ; -- End function
	.set _ZN7rocprim17ROCPRIM_400000_NS6detail17trampoline_kernelINS0_13select_configILj256ELj13ELNS0_17block_load_methodE3ELS4_3ELS4_3ELNS0_20block_scan_algorithmE0ELj4294967295EEENS1_25partition_config_selectorILNS1_17partition_subalgoE3EjNS0_10empty_typeEbEEZZNS1_14partition_implILS8_3ELb0ES6_jNS0_17counting_iteratorIjlEEPS9_SE_NS0_5tupleIJPjSE_EEENSF_IJSE_SE_EEES9_SG_JZNS1_25segmented_radix_sort_implINS0_14default_configELb0EPK6__halfPSL_PKlPlN2at6native12_GLOBAL__N_18offset_tEEE10hipError_tPvRmT1_PNSt15iterator_traitsISZ_E10value_typeET2_T3_PNS10_IS15_E10value_typeET4_jRbjT5_S1B_jjP12ihipStream_tbEUljE_EEESW_SX_SY_S15_S19_S1B_T6_T7_T9_mT8_S1D_bDpT10_ENKUlT_T0_E_clISt17integral_constantIbLb0EES1P_IbLb1EEEEDaS1L_S1M_EUlS1L_E_NS1_11comp_targetILNS1_3genE0ELNS1_11target_archE4294967295ELNS1_3gpuE0ELNS1_3repE0EEENS1_30default_config_static_selectorELNS0_4arch9wavefront6targetE0EEEvSZ_.num_vgpr, 72
	.set _ZN7rocprim17ROCPRIM_400000_NS6detail17trampoline_kernelINS0_13select_configILj256ELj13ELNS0_17block_load_methodE3ELS4_3ELS4_3ELNS0_20block_scan_algorithmE0ELj4294967295EEENS1_25partition_config_selectorILNS1_17partition_subalgoE3EjNS0_10empty_typeEbEEZZNS1_14partition_implILS8_3ELb0ES6_jNS0_17counting_iteratorIjlEEPS9_SE_NS0_5tupleIJPjSE_EEENSF_IJSE_SE_EEES9_SG_JZNS1_25segmented_radix_sort_implINS0_14default_configELb0EPK6__halfPSL_PKlPlN2at6native12_GLOBAL__N_18offset_tEEE10hipError_tPvRmT1_PNSt15iterator_traitsISZ_E10value_typeET2_T3_PNS10_IS15_E10value_typeET4_jRbjT5_S1B_jjP12ihipStream_tbEUljE_EEESW_SX_SY_S15_S19_S1B_T6_T7_T9_mT8_S1D_bDpT10_ENKUlT_T0_E_clISt17integral_constantIbLb0EES1P_IbLb1EEEEDaS1L_S1M_EUlS1L_E_NS1_11comp_targetILNS1_3genE0ELNS1_11target_archE4294967295ELNS1_3gpuE0ELNS1_3repE0EEENS1_30default_config_static_selectorELNS0_4arch9wavefront6targetE0EEEvSZ_.num_agpr, 0
	.set _ZN7rocprim17ROCPRIM_400000_NS6detail17trampoline_kernelINS0_13select_configILj256ELj13ELNS0_17block_load_methodE3ELS4_3ELS4_3ELNS0_20block_scan_algorithmE0ELj4294967295EEENS1_25partition_config_selectorILNS1_17partition_subalgoE3EjNS0_10empty_typeEbEEZZNS1_14partition_implILS8_3ELb0ES6_jNS0_17counting_iteratorIjlEEPS9_SE_NS0_5tupleIJPjSE_EEENSF_IJSE_SE_EEES9_SG_JZNS1_25segmented_radix_sort_implINS0_14default_configELb0EPK6__halfPSL_PKlPlN2at6native12_GLOBAL__N_18offset_tEEE10hipError_tPvRmT1_PNSt15iterator_traitsISZ_E10value_typeET2_T3_PNS10_IS15_E10value_typeET4_jRbjT5_S1B_jjP12ihipStream_tbEUljE_EEESW_SX_SY_S15_S19_S1B_T6_T7_T9_mT8_S1D_bDpT10_ENKUlT_T0_E_clISt17integral_constantIbLb0EES1P_IbLb1EEEEDaS1L_S1M_EUlS1L_E_NS1_11comp_targetILNS1_3genE0ELNS1_11target_archE4294967295ELNS1_3gpuE0ELNS1_3repE0EEENS1_30default_config_static_selectorELNS0_4arch9wavefront6targetE0EEEvSZ_.numbered_sgpr, 24
	.set _ZN7rocprim17ROCPRIM_400000_NS6detail17trampoline_kernelINS0_13select_configILj256ELj13ELNS0_17block_load_methodE3ELS4_3ELS4_3ELNS0_20block_scan_algorithmE0ELj4294967295EEENS1_25partition_config_selectorILNS1_17partition_subalgoE3EjNS0_10empty_typeEbEEZZNS1_14partition_implILS8_3ELb0ES6_jNS0_17counting_iteratorIjlEEPS9_SE_NS0_5tupleIJPjSE_EEENSF_IJSE_SE_EEES9_SG_JZNS1_25segmented_radix_sort_implINS0_14default_configELb0EPK6__halfPSL_PKlPlN2at6native12_GLOBAL__N_18offset_tEEE10hipError_tPvRmT1_PNSt15iterator_traitsISZ_E10value_typeET2_T3_PNS10_IS15_E10value_typeET4_jRbjT5_S1B_jjP12ihipStream_tbEUljE_EEESW_SX_SY_S15_S19_S1B_T6_T7_T9_mT8_S1D_bDpT10_ENKUlT_T0_E_clISt17integral_constantIbLb0EES1P_IbLb1EEEEDaS1L_S1M_EUlS1L_E_NS1_11comp_targetILNS1_3genE0ELNS1_11target_archE4294967295ELNS1_3gpuE0ELNS1_3repE0EEENS1_30default_config_static_selectorELNS0_4arch9wavefront6targetE0EEEvSZ_.num_named_barrier, 0
	.set _ZN7rocprim17ROCPRIM_400000_NS6detail17trampoline_kernelINS0_13select_configILj256ELj13ELNS0_17block_load_methodE3ELS4_3ELS4_3ELNS0_20block_scan_algorithmE0ELj4294967295EEENS1_25partition_config_selectorILNS1_17partition_subalgoE3EjNS0_10empty_typeEbEEZZNS1_14partition_implILS8_3ELb0ES6_jNS0_17counting_iteratorIjlEEPS9_SE_NS0_5tupleIJPjSE_EEENSF_IJSE_SE_EEES9_SG_JZNS1_25segmented_radix_sort_implINS0_14default_configELb0EPK6__halfPSL_PKlPlN2at6native12_GLOBAL__N_18offset_tEEE10hipError_tPvRmT1_PNSt15iterator_traitsISZ_E10value_typeET2_T3_PNS10_IS15_E10value_typeET4_jRbjT5_S1B_jjP12ihipStream_tbEUljE_EEESW_SX_SY_S15_S19_S1B_T6_T7_T9_mT8_S1D_bDpT10_ENKUlT_T0_E_clISt17integral_constantIbLb0EES1P_IbLb1EEEEDaS1L_S1M_EUlS1L_E_NS1_11comp_targetILNS1_3genE0ELNS1_11target_archE4294967295ELNS1_3gpuE0ELNS1_3repE0EEENS1_30default_config_static_selectorELNS0_4arch9wavefront6targetE0EEEvSZ_.private_seg_size, 0
	.set _ZN7rocprim17ROCPRIM_400000_NS6detail17trampoline_kernelINS0_13select_configILj256ELj13ELNS0_17block_load_methodE3ELS4_3ELS4_3ELNS0_20block_scan_algorithmE0ELj4294967295EEENS1_25partition_config_selectorILNS1_17partition_subalgoE3EjNS0_10empty_typeEbEEZZNS1_14partition_implILS8_3ELb0ES6_jNS0_17counting_iteratorIjlEEPS9_SE_NS0_5tupleIJPjSE_EEENSF_IJSE_SE_EEES9_SG_JZNS1_25segmented_radix_sort_implINS0_14default_configELb0EPK6__halfPSL_PKlPlN2at6native12_GLOBAL__N_18offset_tEEE10hipError_tPvRmT1_PNSt15iterator_traitsISZ_E10value_typeET2_T3_PNS10_IS15_E10value_typeET4_jRbjT5_S1B_jjP12ihipStream_tbEUljE_EEESW_SX_SY_S15_S19_S1B_T6_T7_T9_mT8_S1D_bDpT10_ENKUlT_T0_E_clISt17integral_constantIbLb0EES1P_IbLb1EEEEDaS1L_S1M_EUlS1L_E_NS1_11comp_targetILNS1_3genE0ELNS1_11target_archE4294967295ELNS1_3gpuE0ELNS1_3repE0EEENS1_30default_config_static_selectorELNS0_4arch9wavefront6targetE0EEEvSZ_.uses_vcc, 1
	.set _ZN7rocprim17ROCPRIM_400000_NS6detail17trampoline_kernelINS0_13select_configILj256ELj13ELNS0_17block_load_methodE3ELS4_3ELS4_3ELNS0_20block_scan_algorithmE0ELj4294967295EEENS1_25partition_config_selectorILNS1_17partition_subalgoE3EjNS0_10empty_typeEbEEZZNS1_14partition_implILS8_3ELb0ES6_jNS0_17counting_iteratorIjlEEPS9_SE_NS0_5tupleIJPjSE_EEENSF_IJSE_SE_EEES9_SG_JZNS1_25segmented_radix_sort_implINS0_14default_configELb0EPK6__halfPSL_PKlPlN2at6native12_GLOBAL__N_18offset_tEEE10hipError_tPvRmT1_PNSt15iterator_traitsISZ_E10value_typeET2_T3_PNS10_IS15_E10value_typeET4_jRbjT5_S1B_jjP12ihipStream_tbEUljE_EEESW_SX_SY_S15_S19_S1B_T6_T7_T9_mT8_S1D_bDpT10_ENKUlT_T0_E_clISt17integral_constantIbLb0EES1P_IbLb1EEEEDaS1L_S1M_EUlS1L_E_NS1_11comp_targetILNS1_3genE0ELNS1_11target_archE4294967295ELNS1_3gpuE0ELNS1_3repE0EEENS1_30default_config_static_selectorELNS0_4arch9wavefront6targetE0EEEvSZ_.uses_flat_scratch, 0
	.set _ZN7rocprim17ROCPRIM_400000_NS6detail17trampoline_kernelINS0_13select_configILj256ELj13ELNS0_17block_load_methodE3ELS4_3ELS4_3ELNS0_20block_scan_algorithmE0ELj4294967295EEENS1_25partition_config_selectorILNS1_17partition_subalgoE3EjNS0_10empty_typeEbEEZZNS1_14partition_implILS8_3ELb0ES6_jNS0_17counting_iteratorIjlEEPS9_SE_NS0_5tupleIJPjSE_EEENSF_IJSE_SE_EEES9_SG_JZNS1_25segmented_radix_sort_implINS0_14default_configELb0EPK6__halfPSL_PKlPlN2at6native12_GLOBAL__N_18offset_tEEE10hipError_tPvRmT1_PNSt15iterator_traitsISZ_E10value_typeET2_T3_PNS10_IS15_E10value_typeET4_jRbjT5_S1B_jjP12ihipStream_tbEUljE_EEESW_SX_SY_S15_S19_S1B_T6_T7_T9_mT8_S1D_bDpT10_ENKUlT_T0_E_clISt17integral_constantIbLb0EES1P_IbLb1EEEEDaS1L_S1M_EUlS1L_E_NS1_11comp_targetILNS1_3genE0ELNS1_11target_archE4294967295ELNS1_3gpuE0ELNS1_3repE0EEENS1_30default_config_static_selectorELNS0_4arch9wavefront6targetE0EEEvSZ_.has_dyn_sized_stack, 0
	.set _ZN7rocprim17ROCPRIM_400000_NS6detail17trampoline_kernelINS0_13select_configILj256ELj13ELNS0_17block_load_methodE3ELS4_3ELS4_3ELNS0_20block_scan_algorithmE0ELj4294967295EEENS1_25partition_config_selectorILNS1_17partition_subalgoE3EjNS0_10empty_typeEbEEZZNS1_14partition_implILS8_3ELb0ES6_jNS0_17counting_iteratorIjlEEPS9_SE_NS0_5tupleIJPjSE_EEENSF_IJSE_SE_EEES9_SG_JZNS1_25segmented_radix_sort_implINS0_14default_configELb0EPK6__halfPSL_PKlPlN2at6native12_GLOBAL__N_18offset_tEEE10hipError_tPvRmT1_PNSt15iterator_traitsISZ_E10value_typeET2_T3_PNS10_IS15_E10value_typeET4_jRbjT5_S1B_jjP12ihipStream_tbEUljE_EEESW_SX_SY_S15_S19_S1B_T6_T7_T9_mT8_S1D_bDpT10_ENKUlT_T0_E_clISt17integral_constantIbLb0EES1P_IbLb1EEEEDaS1L_S1M_EUlS1L_E_NS1_11comp_targetILNS1_3genE0ELNS1_11target_archE4294967295ELNS1_3gpuE0ELNS1_3repE0EEENS1_30default_config_static_selectorELNS0_4arch9wavefront6targetE0EEEvSZ_.has_recursion, 0
	.set _ZN7rocprim17ROCPRIM_400000_NS6detail17trampoline_kernelINS0_13select_configILj256ELj13ELNS0_17block_load_methodE3ELS4_3ELS4_3ELNS0_20block_scan_algorithmE0ELj4294967295EEENS1_25partition_config_selectorILNS1_17partition_subalgoE3EjNS0_10empty_typeEbEEZZNS1_14partition_implILS8_3ELb0ES6_jNS0_17counting_iteratorIjlEEPS9_SE_NS0_5tupleIJPjSE_EEENSF_IJSE_SE_EEES9_SG_JZNS1_25segmented_radix_sort_implINS0_14default_configELb0EPK6__halfPSL_PKlPlN2at6native12_GLOBAL__N_18offset_tEEE10hipError_tPvRmT1_PNSt15iterator_traitsISZ_E10value_typeET2_T3_PNS10_IS15_E10value_typeET4_jRbjT5_S1B_jjP12ihipStream_tbEUljE_EEESW_SX_SY_S15_S19_S1B_T6_T7_T9_mT8_S1D_bDpT10_ENKUlT_T0_E_clISt17integral_constantIbLb0EES1P_IbLb1EEEEDaS1L_S1M_EUlS1L_E_NS1_11comp_targetILNS1_3genE0ELNS1_11target_archE4294967295ELNS1_3gpuE0ELNS1_3repE0EEENS1_30default_config_static_selectorELNS0_4arch9wavefront6targetE0EEEvSZ_.has_indirect_call, 0
	.section	.AMDGPU.csdata,"",@progbits
; Kernel info:
; codeLenInByte = 9040
; TotalNumSgprs: 26
; NumVgprs: 72
; ScratchSize: 0
; MemoryBound: 0
; FloatMode: 240
; IeeeMode: 1
; LDSByteSize: 13320 bytes/workgroup (compile time only)
; SGPRBlocks: 0
; VGPRBlocks: 4
; NumSGPRsForWavesPerEU: 26
; NumVGPRsForWavesPerEU: 72
; NamedBarCnt: 0
; Occupancy: 12
; WaveLimiterHint : 0
; COMPUTE_PGM_RSRC2:SCRATCH_EN: 0
; COMPUTE_PGM_RSRC2:USER_SGPR: 2
; COMPUTE_PGM_RSRC2:TRAP_HANDLER: 0
; COMPUTE_PGM_RSRC2:TGID_X_EN: 1
; COMPUTE_PGM_RSRC2:TGID_Y_EN: 0
; COMPUTE_PGM_RSRC2:TGID_Z_EN: 0
; COMPUTE_PGM_RSRC2:TIDIG_COMP_CNT: 0
	.section	.text._ZN7rocprim17ROCPRIM_400000_NS6detail17trampoline_kernelINS0_13select_configILj256ELj13ELNS0_17block_load_methodE3ELS4_3ELS4_3ELNS0_20block_scan_algorithmE0ELj4294967295EEENS1_25partition_config_selectorILNS1_17partition_subalgoE3EjNS0_10empty_typeEbEEZZNS1_14partition_implILS8_3ELb0ES6_jNS0_17counting_iteratorIjlEEPS9_SE_NS0_5tupleIJPjSE_EEENSF_IJSE_SE_EEES9_SG_JZNS1_25segmented_radix_sort_implINS0_14default_configELb0EPK6__halfPSL_PKlPlN2at6native12_GLOBAL__N_18offset_tEEE10hipError_tPvRmT1_PNSt15iterator_traitsISZ_E10value_typeET2_T3_PNS10_IS15_E10value_typeET4_jRbjT5_S1B_jjP12ihipStream_tbEUljE_EEESW_SX_SY_S15_S19_S1B_T6_T7_T9_mT8_S1D_bDpT10_ENKUlT_T0_E_clISt17integral_constantIbLb0EES1P_IbLb1EEEEDaS1L_S1M_EUlS1L_E_NS1_11comp_targetILNS1_3genE5ELNS1_11target_archE942ELNS1_3gpuE9ELNS1_3repE0EEENS1_30default_config_static_selectorELNS0_4arch9wavefront6targetE0EEEvSZ_,"axG",@progbits,_ZN7rocprim17ROCPRIM_400000_NS6detail17trampoline_kernelINS0_13select_configILj256ELj13ELNS0_17block_load_methodE3ELS4_3ELS4_3ELNS0_20block_scan_algorithmE0ELj4294967295EEENS1_25partition_config_selectorILNS1_17partition_subalgoE3EjNS0_10empty_typeEbEEZZNS1_14partition_implILS8_3ELb0ES6_jNS0_17counting_iteratorIjlEEPS9_SE_NS0_5tupleIJPjSE_EEENSF_IJSE_SE_EEES9_SG_JZNS1_25segmented_radix_sort_implINS0_14default_configELb0EPK6__halfPSL_PKlPlN2at6native12_GLOBAL__N_18offset_tEEE10hipError_tPvRmT1_PNSt15iterator_traitsISZ_E10value_typeET2_T3_PNS10_IS15_E10value_typeET4_jRbjT5_S1B_jjP12ihipStream_tbEUljE_EEESW_SX_SY_S15_S19_S1B_T6_T7_T9_mT8_S1D_bDpT10_ENKUlT_T0_E_clISt17integral_constantIbLb0EES1P_IbLb1EEEEDaS1L_S1M_EUlS1L_E_NS1_11comp_targetILNS1_3genE5ELNS1_11target_archE942ELNS1_3gpuE9ELNS1_3repE0EEENS1_30default_config_static_selectorELNS0_4arch9wavefront6targetE0EEEvSZ_,comdat
	.globl	_ZN7rocprim17ROCPRIM_400000_NS6detail17trampoline_kernelINS0_13select_configILj256ELj13ELNS0_17block_load_methodE3ELS4_3ELS4_3ELNS0_20block_scan_algorithmE0ELj4294967295EEENS1_25partition_config_selectorILNS1_17partition_subalgoE3EjNS0_10empty_typeEbEEZZNS1_14partition_implILS8_3ELb0ES6_jNS0_17counting_iteratorIjlEEPS9_SE_NS0_5tupleIJPjSE_EEENSF_IJSE_SE_EEES9_SG_JZNS1_25segmented_radix_sort_implINS0_14default_configELb0EPK6__halfPSL_PKlPlN2at6native12_GLOBAL__N_18offset_tEEE10hipError_tPvRmT1_PNSt15iterator_traitsISZ_E10value_typeET2_T3_PNS10_IS15_E10value_typeET4_jRbjT5_S1B_jjP12ihipStream_tbEUljE_EEESW_SX_SY_S15_S19_S1B_T6_T7_T9_mT8_S1D_bDpT10_ENKUlT_T0_E_clISt17integral_constantIbLb0EES1P_IbLb1EEEEDaS1L_S1M_EUlS1L_E_NS1_11comp_targetILNS1_3genE5ELNS1_11target_archE942ELNS1_3gpuE9ELNS1_3repE0EEENS1_30default_config_static_selectorELNS0_4arch9wavefront6targetE0EEEvSZ_ ; -- Begin function _ZN7rocprim17ROCPRIM_400000_NS6detail17trampoline_kernelINS0_13select_configILj256ELj13ELNS0_17block_load_methodE3ELS4_3ELS4_3ELNS0_20block_scan_algorithmE0ELj4294967295EEENS1_25partition_config_selectorILNS1_17partition_subalgoE3EjNS0_10empty_typeEbEEZZNS1_14partition_implILS8_3ELb0ES6_jNS0_17counting_iteratorIjlEEPS9_SE_NS0_5tupleIJPjSE_EEENSF_IJSE_SE_EEES9_SG_JZNS1_25segmented_radix_sort_implINS0_14default_configELb0EPK6__halfPSL_PKlPlN2at6native12_GLOBAL__N_18offset_tEEE10hipError_tPvRmT1_PNSt15iterator_traitsISZ_E10value_typeET2_T3_PNS10_IS15_E10value_typeET4_jRbjT5_S1B_jjP12ihipStream_tbEUljE_EEESW_SX_SY_S15_S19_S1B_T6_T7_T9_mT8_S1D_bDpT10_ENKUlT_T0_E_clISt17integral_constantIbLb0EES1P_IbLb1EEEEDaS1L_S1M_EUlS1L_E_NS1_11comp_targetILNS1_3genE5ELNS1_11target_archE942ELNS1_3gpuE9ELNS1_3repE0EEENS1_30default_config_static_selectorELNS0_4arch9wavefront6targetE0EEEvSZ_
	.p2align	8
	.type	_ZN7rocprim17ROCPRIM_400000_NS6detail17trampoline_kernelINS0_13select_configILj256ELj13ELNS0_17block_load_methodE3ELS4_3ELS4_3ELNS0_20block_scan_algorithmE0ELj4294967295EEENS1_25partition_config_selectorILNS1_17partition_subalgoE3EjNS0_10empty_typeEbEEZZNS1_14partition_implILS8_3ELb0ES6_jNS0_17counting_iteratorIjlEEPS9_SE_NS0_5tupleIJPjSE_EEENSF_IJSE_SE_EEES9_SG_JZNS1_25segmented_radix_sort_implINS0_14default_configELb0EPK6__halfPSL_PKlPlN2at6native12_GLOBAL__N_18offset_tEEE10hipError_tPvRmT1_PNSt15iterator_traitsISZ_E10value_typeET2_T3_PNS10_IS15_E10value_typeET4_jRbjT5_S1B_jjP12ihipStream_tbEUljE_EEESW_SX_SY_S15_S19_S1B_T6_T7_T9_mT8_S1D_bDpT10_ENKUlT_T0_E_clISt17integral_constantIbLb0EES1P_IbLb1EEEEDaS1L_S1M_EUlS1L_E_NS1_11comp_targetILNS1_3genE5ELNS1_11target_archE942ELNS1_3gpuE9ELNS1_3repE0EEENS1_30default_config_static_selectorELNS0_4arch9wavefront6targetE0EEEvSZ_,@function
_ZN7rocprim17ROCPRIM_400000_NS6detail17trampoline_kernelINS0_13select_configILj256ELj13ELNS0_17block_load_methodE3ELS4_3ELS4_3ELNS0_20block_scan_algorithmE0ELj4294967295EEENS1_25partition_config_selectorILNS1_17partition_subalgoE3EjNS0_10empty_typeEbEEZZNS1_14partition_implILS8_3ELb0ES6_jNS0_17counting_iteratorIjlEEPS9_SE_NS0_5tupleIJPjSE_EEENSF_IJSE_SE_EEES9_SG_JZNS1_25segmented_radix_sort_implINS0_14default_configELb0EPK6__halfPSL_PKlPlN2at6native12_GLOBAL__N_18offset_tEEE10hipError_tPvRmT1_PNSt15iterator_traitsISZ_E10value_typeET2_T3_PNS10_IS15_E10value_typeET4_jRbjT5_S1B_jjP12ihipStream_tbEUljE_EEESW_SX_SY_S15_S19_S1B_T6_T7_T9_mT8_S1D_bDpT10_ENKUlT_T0_E_clISt17integral_constantIbLb0EES1P_IbLb1EEEEDaS1L_S1M_EUlS1L_E_NS1_11comp_targetILNS1_3genE5ELNS1_11target_archE942ELNS1_3gpuE9ELNS1_3repE0EEENS1_30default_config_static_selectorELNS0_4arch9wavefront6targetE0EEEvSZ_: ; @_ZN7rocprim17ROCPRIM_400000_NS6detail17trampoline_kernelINS0_13select_configILj256ELj13ELNS0_17block_load_methodE3ELS4_3ELS4_3ELNS0_20block_scan_algorithmE0ELj4294967295EEENS1_25partition_config_selectorILNS1_17partition_subalgoE3EjNS0_10empty_typeEbEEZZNS1_14partition_implILS8_3ELb0ES6_jNS0_17counting_iteratorIjlEEPS9_SE_NS0_5tupleIJPjSE_EEENSF_IJSE_SE_EEES9_SG_JZNS1_25segmented_radix_sort_implINS0_14default_configELb0EPK6__halfPSL_PKlPlN2at6native12_GLOBAL__N_18offset_tEEE10hipError_tPvRmT1_PNSt15iterator_traitsISZ_E10value_typeET2_T3_PNS10_IS15_E10value_typeET4_jRbjT5_S1B_jjP12ihipStream_tbEUljE_EEESW_SX_SY_S15_S19_S1B_T6_T7_T9_mT8_S1D_bDpT10_ENKUlT_T0_E_clISt17integral_constantIbLb0EES1P_IbLb1EEEEDaS1L_S1M_EUlS1L_E_NS1_11comp_targetILNS1_3genE5ELNS1_11target_archE942ELNS1_3gpuE9ELNS1_3repE0EEENS1_30default_config_static_selectorELNS0_4arch9wavefront6targetE0EEEvSZ_
; %bb.0:
	.section	.rodata,"a",@progbits
	.p2align	6, 0x0
	.amdhsa_kernel _ZN7rocprim17ROCPRIM_400000_NS6detail17trampoline_kernelINS0_13select_configILj256ELj13ELNS0_17block_load_methodE3ELS4_3ELS4_3ELNS0_20block_scan_algorithmE0ELj4294967295EEENS1_25partition_config_selectorILNS1_17partition_subalgoE3EjNS0_10empty_typeEbEEZZNS1_14partition_implILS8_3ELb0ES6_jNS0_17counting_iteratorIjlEEPS9_SE_NS0_5tupleIJPjSE_EEENSF_IJSE_SE_EEES9_SG_JZNS1_25segmented_radix_sort_implINS0_14default_configELb0EPK6__halfPSL_PKlPlN2at6native12_GLOBAL__N_18offset_tEEE10hipError_tPvRmT1_PNSt15iterator_traitsISZ_E10value_typeET2_T3_PNS10_IS15_E10value_typeET4_jRbjT5_S1B_jjP12ihipStream_tbEUljE_EEESW_SX_SY_S15_S19_S1B_T6_T7_T9_mT8_S1D_bDpT10_ENKUlT_T0_E_clISt17integral_constantIbLb0EES1P_IbLb1EEEEDaS1L_S1M_EUlS1L_E_NS1_11comp_targetILNS1_3genE5ELNS1_11target_archE942ELNS1_3gpuE9ELNS1_3repE0EEENS1_30default_config_static_selectorELNS0_4arch9wavefront6targetE0EEEvSZ_
		.amdhsa_group_segment_fixed_size 0
		.amdhsa_private_segment_fixed_size 0
		.amdhsa_kernarg_size 152
		.amdhsa_user_sgpr_count 2
		.amdhsa_user_sgpr_dispatch_ptr 0
		.amdhsa_user_sgpr_queue_ptr 0
		.amdhsa_user_sgpr_kernarg_segment_ptr 1
		.amdhsa_user_sgpr_dispatch_id 0
		.amdhsa_user_sgpr_kernarg_preload_length 0
		.amdhsa_user_sgpr_kernarg_preload_offset 0
		.amdhsa_user_sgpr_private_segment_size 0
		.amdhsa_wavefront_size32 1
		.amdhsa_uses_dynamic_stack 0
		.amdhsa_enable_private_segment 0
		.amdhsa_system_sgpr_workgroup_id_x 1
		.amdhsa_system_sgpr_workgroup_id_y 0
		.amdhsa_system_sgpr_workgroup_id_z 0
		.amdhsa_system_sgpr_workgroup_info 0
		.amdhsa_system_vgpr_workitem_id 0
		.amdhsa_next_free_vgpr 1
		.amdhsa_next_free_sgpr 1
		.amdhsa_named_barrier_count 0
		.amdhsa_reserve_vcc 0
		.amdhsa_float_round_mode_32 0
		.amdhsa_float_round_mode_16_64 0
		.amdhsa_float_denorm_mode_32 3
		.amdhsa_float_denorm_mode_16_64 3
		.amdhsa_fp16_overflow 0
		.amdhsa_memory_ordered 1
		.amdhsa_forward_progress 1
		.amdhsa_inst_pref_size 0
		.amdhsa_round_robin_scheduling 0
		.amdhsa_exception_fp_ieee_invalid_op 0
		.amdhsa_exception_fp_denorm_src 0
		.amdhsa_exception_fp_ieee_div_zero 0
		.amdhsa_exception_fp_ieee_overflow 0
		.amdhsa_exception_fp_ieee_underflow 0
		.amdhsa_exception_fp_ieee_inexact 0
		.amdhsa_exception_int_div_zero 0
	.end_amdhsa_kernel
	.section	.text._ZN7rocprim17ROCPRIM_400000_NS6detail17trampoline_kernelINS0_13select_configILj256ELj13ELNS0_17block_load_methodE3ELS4_3ELS4_3ELNS0_20block_scan_algorithmE0ELj4294967295EEENS1_25partition_config_selectorILNS1_17partition_subalgoE3EjNS0_10empty_typeEbEEZZNS1_14partition_implILS8_3ELb0ES6_jNS0_17counting_iteratorIjlEEPS9_SE_NS0_5tupleIJPjSE_EEENSF_IJSE_SE_EEES9_SG_JZNS1_25segmented_radix_sort_implINS0_14default_configELb0EPK6__halfPSL_PKlPlN2at6native12_GLOBAL__N_18offset_tEEE10hipError_tPvRmT1_PNSt15iterator_traitsISZ_E10value_typeET2_T3_PNS10_IS15_E10value_typeET4_jRbjT5_S1B_jjP12ihipStream_tbEUljE_EEESW_SX_SY_S15_S19_S1B_T6_T7_T9_mT8_S1D_bDpT10_ENKUlT_T0_E_clISt17integral_constantIbLb0EES1P_IbLb1EEEEDaS1L_S1M_EUlS1L_E_NS1_11comp_targetILNS1_3genE5ELNS1_11target_archE942ELNS1_3gpuE9ELNS1_3repE0EEENS1_30default_config_static_selectorELNS0_4arch9wavefront6targetE0EEEvSZ_,"axG",@progbits,_ZN7rocprim17ROCPRIM_400000_NS6detail17trampoline_kernelINS0_13select_configILj256ELj13ELNS0_17block_load_methodE3ELS4_3ELS4_3ELNS0_20block_scan_algorithmE0ELj4294967295EEENS1_25partition_config_selectorILNS1_17partition_subalgoE3EjNS0_10empty_typeEbEEZZNS1_14partition_implILS8_3ELb0ES6_jNS0_17counting_iteratorIjlEEPS9_SE_NS0_5tupleIJPjSE_EEENSF_IJSE_SE_EEES9_SG_JZNS1_25segmented_radix_sort_implINS0_14default_configELb0EPK6__halfPSL_PKlPlN2at6native12_GLOBAL__N_18offset_tEEE10hipError_tPvRmT1_PNSt15iterator_traitsISZ_E10value_typeET2_T3_PNS10_IS15_E10value_typeET4_jRbjT5_S1B_jjP12ihipStream_tbEUljE_EEESW_SX_SY_S15_S19_S1B_T6_T7_T9_mT8_S1D_bDpT10_ENKUlT_T0_E_clISt17integral_constantIbLb0EES1P_IbLb1EEEEDaS1L_S1M_EUlS1L_E_NS1_11comp_targetILNS1_3genE5ELNS1_11target_archE942ELNS1_3gpuE9ELNS1_3repE0EEENS1_30default_config_static_selectorELNS0_4arch9wavefront6targetE0EEEvSZ_,comdat
.Lfunc_end1825:
	.size	_ZN7rocprim17ROCPRIM_400000_NS6detail17trampoline_kernelINS0_13select_configILj256ELj13ELNS0_17block_load_methodE3ELS4_3ELS4_3ELNS0_20block_scan_algorithmE0ELj4294967295EEENS1_25partition_config_selectorILNS1_17partition_subalgoE3EjNS0_10empty_typeEbEEZZNS1_14partition_implILS8_3ELb0ES6_jNS0_17counting_iteratorIjlEEPS9_SE_NS0_5tupleIJPjSE_EEENSF_IJSE_SE_EEES9_SG_JZNS1_25segmented_radix_sort_implINS0_14default_configELb0EPK6__halfPSL_PKlPlN2at6native12_GLOBAL__N_18offset_tEEE10hipError_tPvRmT1_PNSt15iterator_traitsISZ_E10value_typeET2_T3_PNS10_IS15_E10value_typeET4_jRbjT5_S1B_jjP12ihipStream_tbEUljE_EEESW_SX_SY_S15_S19_S1B_T6_T7_T9_mT8_S1D_bDpT10_ENKUlT_T0_E_clISt17integral_constantIbLb0EES1P_IbLb1EEEEDaS1L_S1M_EUlS1L_E_NS1_11comp_targetILNS1_3genE5ELNS1_11target_archE942ELNS1_3gpuE9ELNS1_3repE0EEENS1_30default_config_static_selectorELNS0_4arch9wavefront6targetE0EEEvSZ_, .Lfunc_end1825-_ZN7rocprim17ROCPRIM_400000_NS6detail17trampoline_kernelINS0_13select_configILj256ELj13ELNS0_17block_load_methodE3ELS4_3ELS4_3ELNS0_20block_scan_algorithmE0ELj4294967295EEENS1_25partition_config_selectorILNS1_17partition_subalgoE3EjNS0_10empty_typeEbEEZZNS1_14partition_implILS8_3ELb0ES6_jNS0_17counting_iteratorIjlEEPS9_SE_NS0_5tupleIJPjSE_EEENSF_IJSE_SE_EEES9_SG_JZNS1_25segmented_radix_sort_implINS0_14default_configELb0EPK6__halfPSL_PKlPlN2at6native12_GLOBAL__N_18offset_tEEE10hipError_tPvRmT1_PNSt15iterator_traitsISZ_E10value_typeET2_T3_PNS10_IS15_E10value_typeET4_jRbjT5_S1B_jjP12ihipStream_tbEUljE_EEESW_SX_SY_S15_S19_S1B_T6_T7_T9_mT8_S1D_bDpT10_ENKUlT_T0_E_clISt17integral_constantIbLb0EES1P_IbLb1EEEEDaS1L_S1M_EUlS1L_E_NS1_11comp_targetILNS1_3genE5ELNS1_11target_archE942ELNS1_3gpuE9ELNS1_3repE0EEENS1_30default_config_static_selectorELNS0_4arch9wavefront6targetE0EEEvSZ_
                                        ; -- End function
	.set _ZN7rocprim17ROCPRIM_400000_NS6detail17trampoline_kernelINS0_13select_configILj256ELj13ELNS0_17block_load_methodE3ELS4_3ELS4_3ELNS0_20block_scan_algorithmE0ELj4294967295EEENS1_25partition_config_selectorILNS1_17partition_subalgoE3EjNS0_10empty_typeEbEEZZNS1_14partition_implILS8_3ELb0ES6_jNS0_17counting_iteratorIjlEEPS9_SE_NS0_5tupleIJPjSE_EEENSF_IJSE_SE_EEES9_SG_JZNS1_25segmented_radix_sort_implINS0_14default_configELb0EPK6__halfPSL_PKlPlN2at6native12_GLOBAL__N_18offset_tEEE10hipError_tPvRmT1_PNSt15iterator_traitsISZ_E10value_typeET2_T3_PNS10_IS15_E10value_typeET4_jRbjT5_S1B_jjP12ihipStream_tbEUljE_EEESW_SX_SY_S15_S19_S1B_T6_T7_T9_mT8_S1D_bDpT10_ENKUlT_T0_E_clISt17integral_constantIbLb0EES1P_IbLb1EEEEDaS1L_S1M_EUlS1L_E_NS1_11comp_targetILNS1_3genE5ELNS1_11target_archE942ELNS1_3gpuE9ELNS1_3repE0EEENS1_30default_config_static_selectorELNS0_4arch9wavefront6targetE0EEEvSZ_.num_vgpr, 0
	.set _ZN7rocprim17ROCPRIM_400000_NS6detail17trampoline_kernelINS0_13select_configILj256ELj13ELNS0_17block_load_methodE3ELS4_3ELS4_3ELNS0_20block_scan_algorithmE0ELj4294967295EEENS1_25partition_config_selectorILNS1_17partition_subalgoE3EjNS0_10empty_typeEbEEZZNS1_14partition_implILS8_3ELb0ES6_jNS0_17counting_iteratorIjlEEPS9_SE_NS0_5tupleIJPjSE_EEENSF_IJSE_SE_EEES9_SG_JZNS1_25segmented_radix_sort_implINS0_14default_configELb0EPK6__halfPSL_PKlPlN2at6native12_GLOBAL__N_18offset_tEEE10hipError_tPvRmT1_PNSt15iterator_traitsISZ_E10value_typeET2_T3_PNS10_IS15_E10value_typeET4_jRbjT5_S1B_jjP12ihipStream_tbEUljE_EEESW_SX_SY_S15_S19_S1B_T6_T7_T9_mT8_S1D_bDpT10_ENKUlT_T0_E_clISt17integral_constantIbLb0EES1P_IbLb1EEEEDaS1L_S1M_EUlS1L_E_NS1_11comp_targetILNS1_3genE5ELNS1_11target_archE942ELNS1_3gpuE9ELNS1_3repE0EEENS1_30default_config_static_selectorELNS0_4arch9wavefront6targetE0EEEvSZ_.num_agpr, 0
	.set _ZN7rocprim17ROCPRIM_400000_NS6detail17trampoline_kernelINS0_13select_configILj256ELj13ELNS0_17block_load_methodE3ELS4_3ELS4_3ELNS0_20block_scan_algorithmE0ELj4294967295EEENS1_25partition_config_selectorILNS1_17partition_subalgoE3EjNS0_10empty_typeEbEEZZNS1_14partition_implILS8_3ELb0ES6_jNS0_17counting_iteratorIjlEEPS9_SE_NS0_5tupleIJPjSE_EEENSF_IJSE_SE_EEES9_SG_JZNS1_25segmented_radix_sort_implINS0_14default_configELb0EPK6__halfPSL_PKlPlN2at6native12_GLOBAL__N_18offset_tEEE10hipError_tPvRmT1_PNSt15iterator_traitsISZ_E10value_typeET2_T3_PNS10_IS15_E10value_typeET4_jRbjT5_S1B_jjP12ihipStream_tbEUljE_EEESW_SX_SY_S15_S19_S1B_T6_T7_T9_mT8_S1D_bDpT10_ENKUlT_T0_E_clISt17integral_constantIbLb0EES1P_IbLb1EEEEDaS1L_S1M_EUlS1L_E_NS1_11comp_targetILNS1_3genE5ELNS1_11target_archE942ELNS1_3gpuE9ELNS1_3repE0EEENS1_30default_config_static_selectorELNS0_4arch9wavefront6targetE0EEEvSZ_.numbered_sgpr, 0
	.set _ZN7rocprim17ROCPRIM_400000_NS6detail17trampoline_kernelINS0_13select_configILj256ELj13ELNS0_17block_load_methodE3ELS4_3ELS4_3ELNS0_20block_scan_algorithmE0ELj4294967295EEENS1_25partition_config_selectorILNS1_17partition_subalgoE3EjNS0_10empty_typeEbEEZZNS1_14partition_implILS8_3ELb0ES6_jNS0_17counting_iteratorIjlEEPS9_SE_NS0_5tupleIJPjSE_EEENSF_IJSE_SE_EEES9_SG_JZNS1_25segmented_radix_sort_implINS0_14default_configELb0EPK6__halfPSL_PKlPlN2at6native12_GLOBAL__N_18offset_tEEE10hipError_tPvRmT1_PNSt15iterator_traitsISZ_E10value_typeET2_T3_PNS10_IS15_E10value_typeET4_jRbjT5_S1B_jjP12ihipStream_tbEUljE_EEESW_SX_SY_S15_S19_S1B_T6_T7_T9_mT8_S1D_bDpT10_ENKUlT_T0_E_clISt17integral_constantIbLb0EES1P_IbLb1EEEEDaS1L_S1M_EUlS1L_E_NS1_11comp_targetILNS1_3genE5ELNS1_11target_archE942ELNS1_3gpuE9ELNS1_3repE0EEENS1_30default_config_static_selectorELNS0_4arch9wavefront6targetE0EEEvSZ_.num_named_barrier, 0
	.set _ZN7rocprim17ROCPRIM_400000_NS6detail17trampoline_kernelINS0_13select_configILj256ELj13ELNS0_17block_load_methodE3ELS4_3ELS4_3ELNS0_20block_scan_algorithmE0ELj4294967295EEENS1_25partition_config_selectorILNS1_17partition_subalgoE3EjNS0_10empty_typeEbEEZZNS1_14partition_implILS8_3ELb0ES6_jNS0_17counting_iteratorIjlEEPS9_SE_NS0_5tupleIJPjSE_EEENSF_IJSE_SE_EEES9_SG_JZNS1_25segmented_radix_sort_implINS0_14default_configELb0EPK6__halfPSL_PKlPlN2at6native12_GLOBAL__N_18offset_tEEE10hipError_tPvRmT1_PNSt15iterator_traitsISZ_E10value_typeET2_T3_PNS10_IS15_E10value_typeET4_jRbjT5_S1B_jjP12ihipStream_tbEUljE_EEESW_SX_SY_S15_S19_S1B_T6_T7_T9_mT8_S1D_bDpT10_ENKUlT_T0_E_clISt17integral_constantIbLb0EES1P_IbLb1EEEEDaS1L_S1M_EUlS1L_E_NS1_11comp_targetILNS1_3genE5ELNS1_11target_archE942ELNS1_3gpuE9ELNS1_3repE0EEENS1_30default_config_static_selectorELNS0_4arch9wavefront6targetE0EEEvSZ_.private_seg_size, 0
	.set _ZN7rocprim17ROCPRIM_400000_NS6detail17trampoline_kernelINS0_13select_configILj256ELj13ELNS0_17block_load_methodE3ELS4_3ELS4_3ELNS0_20block_scan_algorithmE0ELj4294967295EEENS1_25partition_config_selectorILNS1_17partition_subalgoE3EjNS0_10empty_typeEbEEZZNS1_14partition_implILS8_3ELb0ES6_jNS0_17counting_iteratorIjlEEPS9_SE_NS0_5tupleIJPjSE_EEENSF_IJSE_SE_EEES9_SG_JZNS1_25segmented_radix_sort_implINS0_14default_configELb0EPK6__halfPSL_PKlPlN2at6native12_GLOBAL__N_18offset_tEEE10hipError_tPvRmT1_PNSt15iterator_traitsISZ_E10value_typeET2_T3_PNS10_IS15_E10value_typeET4_jRbjT5_S1B_jjP12ihipStream_tbEUljE_EEESW_SX_SY_S15_S19_S1B_T6_T7_T9_mT8_S1D_bDpT10_ENKUlT_T0_E_clISt17integral_constantIbLb0EES1P_IbLb1EEEEDaS1L_S1M_EUlS1L_E_NS1_11comp_targetILNS1_3genE5ELNS1_11target_archE942ELNS1_3gpuE9ELNS1_3repE0EEENS1_30default_config_static_selectorELNS0_4arch9wavefront6targetE0EEEvSZ_.uses_vcc, 0
	.set _ZN7rocprim17ROCPRIM_400000_NS6detail17trampoline_kernelINS0_13select_configILj256ELj13ELNS0_17block_load_methodE3ELS4_3ELS4_3ELNS0_20block_scan_algorithmE0ELj4294967295EEENS1_25partition_config_selectorILNS1_17partition_subalgoE3EjNS0_10empty_typeEbEEZZNS1_14partition_implILS8_3ELb0ES6_jNS0_17counting_iteratorIjlEEPS9_SE_NS0_5tupleIJPjSE_EEENSF_IJSE_SE_EEES9_SG_JZNS1_25segmented_radix_sort_implINS0_14default_configELb0EPK6__halfPSL_PKlPlN2at6native12_GLOBAL__N_18offset_tEEE10hipError_tPvRmT1_PNSt15iterator_traitsISZ_E10value_typeET2_T3_PNS10_IS15_E10value_typeET4_jRbjT5_S1B_jjP12ihipStream_tbEUljE_EEESW_SX_SY_S15_S19_S1B_T6_T7_T9_mT8_S1D_bDpT10_ENKUlT_T0_E_clISt17integral_constantIbLb0EES1P_IbLb1EEEEDaS1L_S1M_EUlS1L_E_NS1_11comp_targetILNS1_3genE5ELNS1_11target_archE942ELNS1_3gpuE9ELNS1_3repE0EEENS1_30default_config_static_selectorELNS0_4arch9wavefront6targetE0EEEvSZ_.uses_flat_scratch, 0
	.set _ZN7rocprim17ROCPRIM_400000_NS6detail17trampoline_kernelINS0_13select_configILj256ELj13ELNS0_17block_load_methodE3ELS4_3ELS4_3ELNS0_20block_scan_algorithmE0ELj4294967295EEENS1_25partition_config_selectorILNS1_17partition_subalgoE3EjNS0_10empty_typeEbEEZZNS1_14partition_implILS8_3ELb0ES6_jNS0_17counting_iteratorIjlEEPS9_SE_NS0_5tupleIJPjSE_EEENSF_IJSE_SE_EEES9_SG_JZNS1_25segmented_radix_sort_implINS0_14default_configELb0EPK6__halfPSL_PKlPlN2at6native12_GLOBAL__N_18offset_tEEE10hipError_tPvRmT1_PNSt15iterator_traitsISZ_E10value_typeET2_T3_PNS10_IS15_E10value_typeET4_jRbjT5_S1B_jjP12ihipStream_tbEUljE_EEESW_SX_SY_S15_S19_S1B_T6_T7_T9_mT8_S1D_bDpT10_ENKUlT_T0_E_clISt17integral_constantIbLb0EES1P_IbLb1EEEEDaS1L_S1M_EUlS1L_E_NS1_11comp_targetILNS1_3genE5ELNS1_11target_archE942ELNS1_3gpuE9ELNS1_3repE0EEENS1_30default_config_static_selectorELNS0_4arch9wavefront6targetE0EEEvSZ_.has_dyn_sized_stack, 0
	.set _ZN7rocprim17ROCPRIM_400000_NS6detail17trampoline_kernelINS0_13select_configILj256ELj13ELNS0_17block_load_methodE3ELS4_3ELS4_3ELNS0_20block_scan_algorithmE0ELj4294967295EEENS1_25partition_config_selectorILNS1_17partition_subalgoE3EjNS0_10empty_typeEbEEZZNS1_14partition_implILS8_3ELb0ES6_jNS0_17counting_iteratorIjlEEPS9_SE_NS0_5tupleIJPjSE_EEENSF_IJSE_SE_EEES9_SG_JZNS1_25segmented_radix_sort_implINS0_14default_configELb0EPK6__halfPSL_PKlPlN2at6native12_GLOBAL__N_18offset_tEEE10hipError_tPvRmT1_PNSt15iterator_traitsISZ_E10value_typeET2_T3_PNS10_IS15_E10value_typeET4_jRbjT5_S1B_jjP12ihipStream_tbEUljE_EEESW_SX_SY_S15_S19_S1B_T6_T7_T9_mT8_S1D_bDpT10_ENKUlT_T0_E_clISt17integral_constantIbLb0EES1P_IbLb1EEEEDaS1L_S1M_EUlS1L_E_NS1_11comp_targetILNS1_3genE5ELNS1_11target_archE942ELNS1_3gpuE9ELNS1_3repE0EEENS1_30default_config_static_selectorELNS0_4arch9wavefront6targetE0EEEvSZ_.has_recursion, 0
	.set _ZN7rocprim17ROCPRIM_400000_NS6detail17trampoline_kernelINS0_13select_configILj256ELj13ELNS0_17block_load_methodE3ELS4_3ELS4_3ELNS0_20block_scan_algorithmE0ELj4294967295EEENS1_25partition_config_selectorILNS1_17partition_subalgoE3EjNS0_10empty_typeEbEEZZNS1_14partition_implILS8_3ELb0ES6_jNS0_17counting_iteratorIjlEEPS9_SE_NS0_5tupleIJPjSE_EEENSF_IJSE_SE_EEES9_SG_JZNS1_25segmented_radix_sort_implINS0_14default_configELb0EPK6__halfPSL_PKlPlN2at6native12_GLOBAL__N_18offset_tEEE10hipError_tPvRmT1_PNSt15iterator_traitsISZ_E10value_typeET2_T3_PNS10_IS15_E10value_typeET4_jRbjT5_S1B_jjP12ihipStream_tbEUljE_EEESW_SX_SY_S15_S19_S1B_T6_T7_T9_mT8_S1D_bDpT10_ENKUlT_T0_E_clISt17integral_constantIbLb0EES1P_IbLb1EEEEDaS1L_S1M_EUlS1L_E_NS1_11comp_targetILNS1_3genE5ELNS1_11target_archE942ELNS1_3gpuE9ELNS1_3repE0EEENS1_30default_config_static_selectorELNS0_4arch9wavefront6targetE0EEEvSZ_.has_indirect_call, 0
	.section	.AMDGPU.csdata,"",@progbits
; Kernel info:
; codeLenInByte = 0
; TotalNumSgprs: 0
; NumVgprs: 0
; ScratchSize: 0
; MemoryBound: 0
; FloatMode: 240
; IeeeMode: 1
; LDSByteSize: 0 bytes/workgroup (compile time only)
; SGPRBlocks: 0
; VGPRBlocks: 0
; NumSGPRsForWavesPerEU: 1
; NumVGPRsForWavesPerEU: 1
; NamedBarCnt: 0
; Occupancy: 16
; WaveLimiterHint : 0
; COMPUTE_PGM_RSRC2:SCRATCH_EN: 0
; COMPUTE_PGM_RSRC2:USER_SGPR: 2
; COMPUTE_PGM_RSRC2:TRAP_HANDLER: 0
; COMPUTE_PGM_RSRC2:TGID_X_EN: 1
; COMPUTE_PGM_RSRC2:TGID_Y_EN: 0
; COMPUTE_PGM_RSRC2:TGID_Z_EN: 0
; COMPUTE_PGM_RSRC2:TIDIG_COMP_CNT: 0
	.section	.text._ZN7rocprim17ROCPRIM_400000_NS6detail17trampoline_kernelINS0_13select_configILj256ELj13ELNS0_17block_load_methodE3ELS4_3ELS4_3ELNS0_20block_scan_algorithmE0ELj4294967295EEENS1_25partition_config_selectorILNS1_17partition_subalgoE3EjNS0_10empty_typeEbEEZZNS1_14partition_implILS8_3ELb0ES6_jNS0_17counting_iteratorIjlEEPS9_SE_NS0_5tupleIJPjSE_EEENSF_IJSE_SE_EEES9_SG_JZNS1_25segmented_radix_sort_implINS0_14default_configELb0EPK6__halfPSL_PKlPlN2at6native12_GLOBAL__N_18offset_tEEE10hipError_tPvRmT1_PNSt15iterator_traitsISZ_E10value_typeET2_T3_PNS10_IS15_E10value_typeET4_jRbjT5_S1B_jjP12ihipStream_tbEUljE_EEESW_SX_SY_S15_S19_S1B_T6_T7_T9_mT8_S1D_bDpT10_ENKUlT_T0_E_clISt17integral_constantIbLb0EES1P_IbLb1EEEEDaS1L_S1M_EUlS1L_E_NS1_11comp_targetILNS1_3genE4ELNS1_11target_archE910ELNS1_3gpuE8ELNS1_3repE0EEENS1_30default_config_static_selectorELNS0_4arch9wavefront6targetE0EEEvSZ_,"axG",@progbits,_ZN7rocprim17ROCPRIM_400000_NS6detail17trampoline_kernelINS0_13select_configILj256ELj13ELNS0_17block_load_methodE3ELS4_3ELS4_3ELNS0_20block_scan_algorithmE0ELj4294967295EEENS1_25partition_config_selectorILNS1_17partition_subalgoE3EjNS0_10empty_typeEbEEZZNS1_14partition_implILS8_3ELb0ES6_jNS0_17counting_iteratorIjlEEPS9_SE_NS0_5tupleIJPjSE_EEENSF_IJSE_SE_EEES9_SG_JZNS1_25segmented_radix_sort_implINS0_14default_configELb0EPK6__halfPSL_PKlPlN2at6native12_GLOBAL__N_18offset_tEEE10hipError_tPvRmT1_PNSt15iterator_traitsISZ_E10value_typeET2_T3_PNS10_IS15_E10value_typeET4_jRbjT5_S1B_jjP12ihipStream_tbEUljE_EEESW_SX_SY_S15_S19_S1B_T6_T7_T9_mT8_S1D_bDpT10_ENKUlT_T0_E_clISt17integral_constantIbLb0EES1P_IbLb1EEEEDaS1L_S1M_EUlS1L_E_NS1_11comp_targetILNS1_3genE4ELNS1_11target_archE910ELNS1_3gpuE8ELNS1_3repE0EEENS1_30default_config_static_selectorELNS0_4arch9wavefront6targetE0EEEvSZ_,comdat
	.globl	_ZN7rocprim17ROCPRIM_400000_NS6detail17trampoline_kernelINS0_13select_configILj256ELj13ELNS0_17block_load_methodE3ELS4_3ELS4_3ELNS0_20block_scan_algorithmE0ELj4294967295EEENS1_25partition_config_selectorILNS1_17partition_subalgoE3EjNS0_10empty_typeEbEEZZNS1_14partition_implILS8_3ELb0ES6_jNS0_17counting_iteratorIjlEEPS9_SE_NS0_5tupleIJPjSE_EEENSF_IJSE_SE_EEES9_SG_JZNS1_25segmented_radix_sort_implINS0_14default_configELb0EPK6__halfPSL_PKlPlN2at6native12_GLOBAL__N_18offset_tEEE10hipError_tPvRmT1_PNSt15iterator_traitsISZ_E10value_typeET2_T3_PNS10_IS15_E10value_typeET4_jRbjT5_S1B_jjP12ihipStream_tbEUljE_EEESW_SX_SY_S15_S19_S1B_T6_T7_T9_mT8_S1D_bDpT10_ENKUlT_T0_E_clISt17integral_constantIbLb0EES1P_IbLb1EEEEDaS1L_S1M_EUlS1L_E_NS1_11comp_targetILNS1_3genE4ELNS1_11target_archE910ELNS1_3gpuE8ELNS1_3repE0EEENS1_30default_config_static_selectorELNS0_4arch9wavefront6targetE0EEEvSZ_ ; -- Begin function _ZN7rocprim17ROCPRIM_400000_NS6detail17trampoline_kernelINS0_13select_configILj256ELj13ELNS0_17block_load_methodE3ELS4_3ELS4_3ELNS0_20block_scan_algorithmE0ELj4294967295EEENS1_25partition_config_selectorILNS1_17partition_subalgoE3EjNS0_10empty_typeEbEEZZNS1_14partition_implILS8_3ELb0ES6_jNS0_17counting_iteratorIjlEEPS9_SE_NS0_5tupleIJPjSE_EEENSF_IJSE_SE_EEES9_SG_JZNS1_25segmented_radix_sort_implINS0_14default_configELb0EPK6__halfPSL_PKlPlN2at6native12_GLOBAL__N_18offset_tEEE10hipError_tPvRmT1_PNSt15iterator_traitsISZ_E10value_typeET2_T3_PNS10_IS15_E10value_typeET4_jRbjT5_S1B_jjP12ihipStream_tbEUljE_EEESW_SX_SY_S15_S19_S1B_T6_T7_T9_mT8_S1D_bDpT10_ENKUlT_T0_E_clISt17integral_constantIbLb0EES1P_IbLb1EEEEDaS1L_S1M_EUlS1L_E_NS1_11comp_targetILNS1_3genE4ELNS1_11target_archE910ELNS1_3gpuE8ELNS1_3repE0EEENS1_30default_config_static_selectorELNS0_4arch9wavefront6targetE0EEEvSZ_
	.p2align	8
	.type	_ZN7rocprim17ROCPRIM_400000_NS6detail17trampoline_kernelINS0_13select_configILj256ELj13ELNS0_17block_load_methodE3ELS4_3ELS4_3ELNS0_20block_scan_algorithmE0ELj4294967295EEENS1_25partition_config_selectorILNS1_17partition_subalgoE3EjNS0_10empty_typeEbEEZZNS1_14partition_implILS8_3ELb0ES6_jNS0_17counting_iteratorIjlEEPS9_SE_NS0_5tupleIJPjSE_EEENSF_IJSE_SE_EEES9_SG_JZNS1_25segmented_radix_sort_implINS0_14default_configELb0EPK6__halfPSL_PKlPlN2at6native12_GLOBAL__N_18offset_tEEE10hipError_tPvRmT1_PNSt15iterator_traitsISZ_E10value_typeET2_T3_PNS10_IS15_E10value_typeET4_jRbjT5_S1B_jjP12ihipStream_tbEUljE_EEESW_SX_SY_S15_S19_S1B_T6_T7_T9_mT8_S1D_bDpT10_ENKUlT_T0_E_clISt17integral_constantIbLb0EES1P_IbLb1EEEEDaS1L_S1M_EUlS1L_E_NS1_11comp_targetILNS1_3genE4ELNS1_11target_archE910ELNS1_3gpuE8ELNS1_3repE0EEENS1_30default_config_static_selectorELNS0_4arch9wavefront6targetE0EEEvSZ_,@function
_ZN7rocprim17ROCPRIM_400000_NS6detail17trampoline_kernelINS0_13select_configILj256ELj13ELNS0_17block_load_methodE3ELS4_3ELS4_3ELNS0_20block_scan_algorithmE0ELj4294967295EEENS1_25partition_config_selectorILNS1_17partition_subalgoE3EjNS0_10empty_typeEbEEZZNS1_14partition_implILS8_3ELb0ES6_jNS0_17counting_iteratorIjlEEPS9_SE_NS0_5tupleIJPjSE_EEENSF_IJSE_SE_EEES9_SG_JZNS1_25segmented_radix_sort_implINS0_14default_configELb0EPK6__halfPSL_PKlPlN2at6native12_GLOBAL__N_18offset_tEEE10hipError_tPvRmT1_PNSt15iterator_traitsISZ_E10value_typeET2_T3_PNS10_IS15_E10value_typeET4_jRbjT5_S1B_jjP12ihipStream_tbEUljE_EEESW_SX_SY_S15_S19_S1B_T6_T7_T9_mT8_S1D_bDpT10_ENKUlT_T0_E_clISt17integral_constantIbLb0EES1P_IbLb1EEEEDaS1L_S1M_EUlS1L_E_NS1_11comp_targetILNS1_3genE4ELNS1_11target_archE910ELNS1_3gpuE8ELNS1_3repE0EEENS1_30default_config_static_selectorELNS0_4arch9wavefront6targetE0EEEvSZ_: ; @_ZN7rocprim17ROCPRIM_400000_NS6detail17trampoline_kernelINS0_13select_configILj256ELj13ELNS0_17block_load_methodE3ELS4_3ELS4_3ELNS0_20block_scan_algorithmE0ELj4294967295EEENS1_25partition_config_selectorILNS1_17partition_subalgoE3EjNS0_10empty_typeEbEEZZNS1_14partition_implILS8_3ELb0ES6_jNS0_17counting_iteratorIjlEEPS9_SE_NS0_5tupleIJPjSE_EEENSF_IJSE_SE_EEES9_SG_JZNS1_25segmented_radix_sort_implINS0_14default_configELb0EPK6__halfPSL_PKlPlN2at6native12_GLOBAL__N_18offset_tEEE10hipError_tPvRmT1_PNSt15iterator_traitsISZ_E10value_typeET2_T3_PNS10_IS15_E10value_typeET4_jRbjT5_S1B_jjP12ihipStream_tbEUljE_EEESW_SX_SY_S15_S19_S1B_T6_T7_T9_mT8_S1D_bDpT10_ENKUlT_T0_E_clISt17integral_constantIbLb0EES1P_IbLb1EEEEDaS1L_S1M_EUlS1L_E_NS1_11comp_targetILNS1_3genE4ELNS1_11target_archE910ELNS1_3gpuE8ELNS1_3repE0EEENS1_30default_config_static_selectorELNS0_4arch9wavefront6targetE0EEEvSZ_
; %bb.0:
	.section	.rodata,"a",@progbits
	.p2align	6, 0x0
	.amdhsa_kernel _ZN7rocprim17ROCPRIM_400000_NS6detail17trampoline_kernelINS0_13select_configILj256ELj13ELNS0_17block_load_methodE3ELS4_3ELS4_3ELNS0_20block_scan_algorithmE0ELj4294967295EEENS1_25partition_config_selectorILNS1_17partition_subalgoE3EjNS0_10empty_typeEbEEZZNS1_14partition_implILS8_3ELb0ES6_jNS0_17counting_iteratorIjlEEPS9_SE_NS0_5tupleIJPjSE_EEENSF_IJSE_SE_EEES9_SG_JZNS1_25segmented_radix_sort_implINS0_14default_configELb0EPK6__halfPSL_PKlPlN2at6native12_GLOBAL__N_18offset_tEEE10hipError_tPvRmT1_PNSt15iterator_traitsISZ_E10value_typeET2_T3_PNS10_IS15_E10value_typeET4_jRbjT5_S1B_jjP12ihipStream_tbEUljE_EEESW_SX_SY_S15_S19_S1B_T6_T7_T9_mT8_S1D_bDpT10_ENKUlT_T0_E_clISt17integral_constantIbLb0EES1P_IbLb1EEEEDaS1L_S1M_EUlS1L_E_NS1_11comp_targetILNS1_3genE4ELNS1_11target_archE910ELNS1_3gpuE8ELNS1_3repE0EEENS1_30default_config_static_selectorELNS0_4arch9wavefront6targetE0EEEvSZ_
		.amdhsa_group_segment_fixed_size 0
		.amdhsa_private_segment_fixed_size 0
		.amdhsa_kernarg_size 152
		.amdhsa_user_sgpr_count 2
		.amdhsa_user_sgpr_dispatch_ptr 0
		.amdhsa_user_sgpr_queue_ptr 0
		.amdhsa_user_sgpr_kernarg_segment_ptr 1
		.amdhsa_user_sgpr_dispatch_id 0
		.amdhsa_user_sgpr_kernarg_preload_length 0
		.amdhsa_user_sgpr_kernarg_preload_offset 0
		.amdhsa_user_sgpr_private_segment_size 0
		.amdhsa_wavefront_size32 1
		.amdhsa_uses_dynamic_stack 0
		.amdhsa_enable_private_segment 0
		.amdhsa_system_sgpr_workgroup_id_x 1
		.amdhsa_system_sgpr_workgroup_id_y 0
		.amdhsa_system_sgpr_workgroup_id_z 0
		.amdhsa_system_sgpr_workgroup_info 0
		.amdhsa_system_vgpr_workitem_id 0
		.amdhsa_next_free_vgpr 1
		.amdhsa_next_free_sgpr 1
		.amdhsa_named_barrier_count 0
		.amdhsa_reserve_vcc 0
		.amdhsa_float_round_mode_32 0
		.amdhsa_float_round_mode_16_64 0
		.amdhsa_float_denorm_mode_32 3
		.amdhsa_float_denorm_mode_16_64 3
		.amdhsa_fp16_overflow 0
		.amdhsa_memory_ordered 1
		.amdhsa_forward_progress 1
		.amdhsa_inst_pref_size 0
		.amdhsa_round_robin_scheduling 0
		.amdhsa_exception_fp_ieee_invalid_op 0
		.amdhsa_exception_fp_denorm_src 0
		.amdhsa_exception_fp_ieee_div_zero 0
		.amdhsa_exception_fp_ieee_overflow 0
		.amdhsa_exception_fp_ieee_underflow 0
		.amdhsa_exception_fp_ieee_inexact 0
		.amdhsa_exception_int_div_zero 0
	.end_amdhsa_kernel
	.section	.text._ZN7rocprim17ROCPRIM_400000_NS6detail17trampoline_kernelINS0_13select_configILj256ELj13ELNS0_17block_load_methodE3ELS4_3ELS4_3ELNS0_20block_scan_algorithmE0ELj4294967295EEENS1_25partition_config_selectorILNS1_17partition_subalgoE3EjNS0_10empty_typeEbEEZZNS1_14partition_implILS8_3ELb0ES6_jNS0_17counting_iteratorIjlEEPS9_SE_NS0_5tupleIJPjSE_EEENSF_IJSE_SE_EEES9_SG_JZNS1_25segmented_radix_sort_implINS0_14default_configELb0EPK6__halfPSL_PKlPlN2at6native12_GLOBAL__N_18offset_tEEE10hipError_tPvRmT1_PNSt15iterator_traitsISZ_E10value_typeET2_T3_PNS10_IS15_E10value_typeET4_jRbjT5_S1B_jjP12ihipStream_tbEUljE_EEESW_SX_SY_S15_S19_S1B_T6_T7_T9_mT8_S1D_bDpT10_ENKUlT_T0_E_clISt17integral_constantIbLb0EES1P_IbLb1EEEEDaS1L_S1M_EUlS1L_E_NS1_11comp_targetILNS1_3genE4ELNS1_11target_archE910ELNS1_3gpuE8ELNS1_3repE0EEENS1_30default_config_static_selectorELNS0_4arch9wavefront6targetE0EEEvSZ_,"axG",@progbits,_ZN7rocprim17ROCPRIM_400000_NS6detail17trampoline_kernelINS0_13select_configILj256ELj13ELNS0_17block_load_methodE3ELS4_3ELS4_3ELNS0_20block_scan_algorithmE0ELj4294967295EEENS1_25partition_config_selectorILNS1_17partition_subalgoE3EjNS0_10empty_typeEbEEZZNS1_14partition_implILS8_3ELb0ES6_jNS0_17counting_iteratorIjlEEPS9_SE_NS0_5tupleIJPjSE_EEENSF_IJSE_SE_EEES9_SG_JZNS1_25segmented_radix_sort_implINS0_14default_configELb0EPK6__halfPSL_PKlPlN2at6native12_GLOBAL__N_18offset_tEEE10hipError_tPvRmT1_PNSt15iterator_traitsISZ_E10value_typeET2_T3_PNS10_IS15_E10value_typeET4_jRbjT5_S1B_jjP12ihipStream_tbEUljE_EEESW_SX_SY_S15_S19_S1B_T6_T7_T9_mT8_S1D_bDpT10_ENKUlT_T0_E_clISt17integral_constantIbLb0EES1P_IbLb1EEEEDaS1L_S1M_EUlS1L_E_NS1_11comp_targetILNS1_3genE4ELNS1_11target_archE910ELNS1_3gpuE8ELNS1_3repE0EEENS1_30default_config_static_selectorELNS0_4arch9wavefront6targetE0EEEvSZ_,comdat
.Lfunc_end1826:
	.size	_ZN7rocprim17ROCPRIM_400000_NS6detail17trampoline_kernelINS0_13select_configILj256ELj13ELNS0_17block_load_methodE3ELS4_3ELS4_3ELNS0_20block_scan_algorithmE0ELj4294967295EEENS1_25partition_config_selectorILNS1_17partition_subalgoE3EjNS0_10empty_typeEbEEZZNS1_14partition_implILS8_3ELb0ES6_jNS0_17counting_iteratorIjlEEPS9_SE_NS0_5tupleIJPjSE_EEENSF_IJSE_SE_EEES9_SG_JZNS1_25segmented_radix_sort_implINS0_14default_configELb0EPK6__halfPSL_PKlPlN2at6native12_GLOBAL__N_18offset_tEEE10hipError_tPvRmT1_PNSt15iterator_traitsISZ_E10value_typeET2_T3_PNS10_IS15_E10value_typeET4_jRbjT5_S1B_jjP12ihipStream_tbEUljE_EEESW_SX_SY_S15_S19_S1B_T6_T7_T9_mT8_S1D_bDpT10_ENKUlT_T0_E_clISt17integral_constantIbLb0EES1P_IbLb1EEEEDaS1L_S1M_EUlS1L_E_NS1_11comp_targetILNS1_3genE4ELNS1_11target_archE910ELNS1_3gpuE8ELNS1_3repE0EEENS1_30default_config_static_selectorELNS0_4arch9wavefront6targetE0EEEvSZ_, .Lfunc_end1826-_ZN7rocprim17ROCPRIM_400000_NS6detail17trampoline_kernelINS0_13select_configILj256ELj13ELNS0_17block_load_methodE3ELS4_3ELS4_3ELNS0_20block_scan_algorithmE0ELj4294967295EEENS1_25partition_config_selectorILNS1_17partition_subalgoE3EjNS0_10empty_typeEbEEZZNS1_14partition_implILS8_3ELb0ES6_jNS0_17counting_iteratorIjlEEPS9_SE_NS0_5tupleIJPjSE_EEENSF_IJSE_SE_EEES9_SG_JZNS1_25segmented_radix_sort_implINS0_14default_configELb0EPK6__halfPSL_PKlPlN2at6native12_GLOBAL__N_18offset_tEEE10hipError_tPvRmT1_PNSt15iterator_traitsISZ_E10value_typeET2_T3_PNS10_IS15_E10value_typeET4_jRbjT5_S1B_jjP12ihipStream_tbEUljE_EEESW_SX_SY_S15_S19_S1B_T6_T7_T9_mT8_S1D_bDpT10_ENKUlT_T0_E_clISt17integral_constantIbLb0EES1P_IbLb1EEEEDaS1L_S1M_EUlS1L_E_NS1_11comp_targetILNS1_3genE4ELNS1_11target_archE910ELNS1_3gpuE8ELNS1_3repE0EEENS1_30default_config_static_selectorELNS0_4arch9wavefront6targetE0EEEvSZ_
                                        ; -- End function
	.set _ZN7rocprim17ROCPRIM_400000_NS6detail17trampoline_kernelINS0_13select_configILj256ELj13ELNS0_17block_load_methodE3ELS4_3ELS4_3ELNS0_20block_scan_algorithmE0ELj4294967295EEENS1_25partition_config_selectorILNS1_17partition_subalgoE3EjNS0_10empty_typeEbEEZZNS1_14partition_implILS8_3ELb0ES6_jNS0_17counting_iteratorIjlEEPS9_SE_NS0_5tupleIJPjSE_EEENSF_IJSE_SE_EEES9_SG_JZNS1_25segmented_radix_sort_implINS0_14default_configELb0EPK6__halfPSL_PKlPlN2at6native12_GLOBAL__N_18offset_tEEE10hipError_tPvRmT1_PNSt15iterator_traitsISZ_E10value_typeET2_T3_PNS10_IS15_E10value_typeET4_jRbjT5_S1B_jjP12ihipStream_tbEUljE_EEESW_SX_SY_S15_S19_S1B_T6_T7_T9_mT8_S1D_bDpT10_ENKUlT_T0_E_clISt17integral_constantIbLb0EES1P_IbLb1EEEEDaS1L_S1M_EUlS1L_E_NS1_11comp_targetILNS1_3genE4ELNS1_11target_archE910ELNS1_3gpuE8ELNS1_3repE0EEENS1_30default_config_static_selectorELNS0_4arch9wavefront6targetE0EEEvSZ_.num_vgpr, 0
	.set _ZN7rocprim17ROCPRIM_400000_NS6detail17trampoline_kernelINS0_13select_configILj256ELj13ELNS0_17block_load_methodE3ELS4_3ELS4_3ELNS0_20block_scan_algorithmE0ELj4294967295EEENS1_25partition_config_selectorILNS1_17partition_subalgoE3EjNS0_10empty_typeEbEEZZNS1_14partition_implILS8_3ELb0ES6_jNS0_17counting_iteratorIjlEEPS9_SE_NS0_5tupleIJPjSE_EEENSF_IJSE_SE_EEES9_SG_JZNS1_25segmented_radix_sort_implINS0_14default_configELb0EPK6__halfPSL_PKlPlN2at6native12_GLOBAL__N_18offset_tEEE10hipError_tPvRmT1_PNSt15iterator_traitsISZ_E10value_typeET2_T3_PNS10_IS15_E10value_typeET4_jRbjT5_S1B_jjP12ihipStream_tbEUljE_EEESW_SX_SY_S15_S19_S1B_T6_T7_T9_mT8_S1D_bDpT10_ENKUlT_T0_E_clISt17integral_constantIbLb0EES1P_IbLb1EEEEDaS1L_S1M_EUlS1L_E_NS1_11comp_targetILNS1_3genE4ELNS1_11target_archE910ELNS1_3gpuE8ELNS1_3repE0EEENS1_30default_config_static_selectorELNS0_4arch9wavefront6targetE0EEEvSZ_.num_agpr, 0
	.set _ZN7rocprim17ROCPRIM_400000_NS6detail17trampoline_kernelINS0_13select_configILj256ELj13ELNS0_17block_load_methodE3ELS4_3ELS4_3ELNS0_20block_scan_algorithmE0ELj4294967295EEENS1_25partition_config_selectorILNS1_17partition_subalgoE3EjNS0_10empty_typeEbEEZZNS1_14partition_implILS8_3ELb0ES6_jNS0_17counting_iteratorIjlEEPS9_SE_NS0_5tupleIJPjSE_EEENSF_IJSE_SE_EEES9_SG_JZNS1_25segmented_radix_sort_implINS0_14default_configELb0EPK6__halfPSL_PKlPlN2at6native12_GLOBAL__N_18offset_tEEE10hipError_tPvRmT1_PNSt15iterator_traitsISZ_E10value_typeET2_T3_PNS10_IS15_E10value_typeET4_jRbjT5_S1B_jjP12ihipStream_tbEUljE_EEESW_SX_SY_S15_S19_S1B_T6_T7_T9_mT8_S1D_bDpT10_ENKUlT_T0_E_clISt17integral_constantIbLb0EES1P_IbLb1EEEEDaS1L_S1M_EUlS1L_E_NS1_11comp_targetILNS1_3genE4ELNS1_11target_archE910ELNS1_3gpuE8ELNS1_3repE0EEENS1_30default_config_static_selectorELNS0_4arch9wavefront6targetE0EEEvSZ_.numbered_sgpr, 0
	.set _ZN7rocprim17ROCPRIM_400000_NS6detail17trampoline_kernelINS0_13select_configILj256ELj13ELNS0_17block_load_methodE3ELS4_3ELS4_3ELNS0_20block_scan_algorithmE0ELj4294967295EEENS1_25partition_config_selectorILNS1_17partition_subalgoE3EjNS0_10empty_typeEbEEZZNS1_14partition_implILS8_3ELb0ES6_jNS0_17counting_iteratorIjlEEPS9_SE_NS0_5tupleIJPjSE_EEENSF_IJSE_SE_EEES9_SG_JZNS1_25segmented_radix_sort_implINS0_14default_configELb0EPK6__halfPSL_PKlPlN2at6native12_GLOBAL__N_18offset_tEEE10hipError_tPvRmT1_PNSt15iterator_traitsISZ_E10value_typeET2_T3_PNS10_IS15_E10value_typeET4_jRbjT5_S1B_jjP12ihipStream_tbEUljE_EEESW_SX_SY_S15_S19_S1B_T6_T7_T9_mT8_S1D_bDpT10_ENKUlT_T0_E_clISt17integral_constantIbLb0EES1P_IbLb1EEEEDaS1L_S1M_EUlS1L_E_NS1_11comp_targetILNS1_3genE4ELNS1_11target_archE910ELNS1_3gpuE8ELNS1_3repE0EEENS1_30default_config_static_selectorELNS0_4arch9wavefront6targetE0EEEvSZ_.num_named_barrier, 0
	.set _ZN7rocprim17ROCPRIM_400000_NS6detail17trampoline_kernelINS0_13select_configILj256ELj13ELNS0_17block_load_methodE3ELS4_3ELS4_3ELNS0_20block_scan_algorithmE0ELj4294967295EEENS1_25partition_config_selectorILNS1_17partition_subalgoE3EjNS0_10empty_typeEbEEZZNS1_14partition_implILS8_3ELb0ES6_jNS0_17counting_iteratorIjlEEPS9_SE_NS0_5tupleIJPjSE_EEENSF_IJSE_SE_EEES9_SG_JZNS1_25segmented_radix_sort_implINS0_14default_configELb0EPK6__halfPSL_PKlPlN2at6native12_GLOBAL__N_18offset_tEEE10hipError_tPvRmT1_PNSt15iterator_traitsISZ_E10value_typeET2_T3_PNS10_IS15_E10value_typeET4_jRbjT5_S1B_jjP12ihipStream_tbEUljE_EEESW_SX_SY_S15_S19_S1B_T6_T7_T9_mT8_S1D_bDpT10_ENKUlT_T0_E_clISt17integral_constantIbLb0EES1P_IbLb1EEEEDaS1L_S1M_EUlS1L_E_NS1_11comp_targetILNS1_3genE4ELNS1_11target_archE910ELNS1_3gpuE8ELNS1_3repE0EEENS1_30default_config_static_selectorELNS0_4arch9wavefront6targetE0EEEvSZ_.private_seg_size, 0
	.set _ZN7rocprim17ROCPRIM_400000_NS6detail17trampoline_kernelINS0_13select_configILj256ELj13ELNS0_17block_load_methodE3ELS4_3ELS4_3ELNS0_20block_scan_algorithmE0ELj4294967295EEENS1_25partition_config_selectorILNS1_17partition_subalgoE3EjNS0_10empty_typeEbEEZZNS1_14partition_implILS8_3ELb0ES6_jNS0_17counting_iteratorIjlEEPS9_SE_NS0_5tupleIJPjSE_EEENSF_IJSE_SE_EEES9_SG_JZNS1_25segmented_radix_sort_implINS0_14default_configELb0EPK6__halfPSL_PKlPlN2at6native12_GLOBAL__N_18offset_tEEE10hipError_tPvRmT1_PNSt15iterator_traitsISZ_E10value_typeET2_T3_PNS10_IS15_E10value_typeET4_jRbjT5_S1B_jjP12ihipStream_tbEUljE_EEESW_SX_SY_S15_S19_S1B_T6_T7_T9_mT8_S1D_bDpT10_ENKUlT_T0_E_clISt17integral_constantIbLb0EES1P_IbLb1EEEEDaS1L_S1M_EUlS1L_E_NS1_11comp_targetILNS1_3genE4ELNS1_11target_archE910ELNS1_3gpuE8ELNS1_3repE0EEENS1_30default_config_static_selectorELNS0_4arch9wavefront6targetE0EEEvSZ_.uses_vcc, 0
	.set _ZN7rocprim17ROCPRIM_400000_NS6detail17trampoline_kernelINS0_13select_configILj256ELj13ELNS0_17block_load_methodE3ELS4_3ELS4_3ELNS0_20block_scan_algorithmE0ELj4294967295EEENS1_25partition_config_selectorILNS1_17partition_subalgoE3EjNS0_10empty_typeEbEEZZNS1_14partition_implILS8_3ELb0ES6_jNS0_17counting_iteratorIjlEEPS9_SE_NS0_5tupleIJPjSE_EEENSF_IJSE_SE_EEES9_SG_JZNS1_25segmented_radix_sort_implINS0_14default_configELb0EPK6__halfPSL_PKlPlN2at6native12_GLOBAL__N_18offset_tEEE10hipError_tPvRmT1_PNSt15iterator_traitsISZ_E10value_typeET2_T3_PNS10_IS15_E10value_typeET4_jRbjT5_S1B_jjP12ihipStream_tbEUljE_EEESW_SX_SY_S15_S19_S1B_T6_T7_T9_mT8_S1D_bDpT10_ENKUlT_T0_E_clISt17integral_constantIbLb0EES1P_IbLb1EEEEDaS1L_S1M_EUlS1L_E_NS1_11comp_targetILNS1_3genE4ELNS1_11target_archE910ELNS1_3gpuE8ELNS1_3repE0EEENS1_30default_config_static_selectorELNS0_4arch9wavefront6targetE0EEEvSZ_.uses_flat_scratch, 0
	.set _ZN7rocprim17ROCPRIM_400000_NS6detail17trampoline_kernelINS0_13select_configILj256ELj13ELNS0_17block_load_methodE3ELS4_3ELS4_3ELNS0_20block_scan_algorithmE0ELj4294967295EEENS1_25partition_config_selectorILNS1_17partition_subalgoE3EjNS0_10empty_typeEbEEZZNS1_14partition_implILS8_3ELb0ES6_jNS0_17counting_iteratorIjlEEPS9_SE_NS0_5tupleIJPjSE_EEENSF_IJSE_SE_EEES9_SG_JZNS1_25segmented_radix_sort_implINS0_14default_configELb0EPK6__halfPSL_PKlPlN2at6native12_GLOBAL__N_18offset_tEEE10hipError_tPvRmT1_PNSt15iterator_traitsISZ_E10value_typeET2_T3_PNS10_IS15_E10value_typeET4_jRbjT5_S1B_jjP12ihipStream_tbEUljE_EEESW_SX_SY_S15_S19_S1B_T6_T7_T9_mT8_S1D_bDpT10_ENKUlT_T0_E_clISt17integral_constantIbLb0EES1P_IbLb1EEEEDaS1L_S1M_EUlS1L_E_NS1_11comp_targetILNS1_3genE4ELNS1_11target_archE910ELNS1_3gpuE8ELNS1_3repE0EEENS1_30default_config_static_selectorELNS0_4arch9wavefront6targetE0EEEvSZ_.has_dyn_sized_stack, 0
	.set _ZN7rocprim17ROCPRIM_400000_NS6detail17trampoline_kernelINS0_13select_configILj256ELj13ELNS0_17block_load_methodE3ELS4_3ELS4_3ELNS0_20block_scan_algorithmE0ELj4294967295EEENS1_25partition_config_selectorILNS1_17partition_subalgoE3EjNS0_10empty_typeEbEEZZNS1_14partition_implILS8_3ELb0ES6_jNS0_17counting_iteratorIjlEEPS9_SE_NS0_5tupleIJPjSE_EEENSF_IJSE_SE_EEES9_SG_JZNS1_25segmented_radix_sort_implINS0_14default_configELb0EPK6__halfPSL_PKlPlN2at6native12_GLOBAL__N_18offset_tEEE10hipError_tPvRmT1_PNSt15iterator_traitsISZ_E10value_typeET2_T3_PNS10_IS15_E10value_typeET4_jRbjT5_S1B_jjP12ihipStream_tbEUljE_EEESW_SX_SY_S15_S19_S1B_T6_T7_T9_mT8_S1D_bDpT10_ENKUlT_T0_E_clISt17integral_constantIbLb0EES1P_IbLb1EEEEDaS1L_S1M_EUlS1L_E_NS1_11comp_targetILNS1_3genE4ELNS1_11target_archE910ELNS1_3gpuE8ELNS1_3repE0EEENS1_30default_config_static_selectorELNS0_4arch9wavefront6targetE0EEEvSZ_.has_recursion, 0
	.set _ZN7rocprim17ROCPRIM_400000_NS6detail17trampoline_kernelINS0_13select_configILj256ELj13ELNS0_17block_load_methodE3ELS4_3ELS4_3ELNS0_20block_scan_algorithmE0ELj4294967295EEENS1_25partition_config_selectorILNS1_17partition_subalgoE3EjNS0_10empty_typeEbEEZZNS1_14partition_implILS8_3ELb0ES6_jNS0_17counting_iteratorIjlEEPS9_SE_NS0_5tupleIJPjSE_EEENSF_IJSE_SE_EEES9_SG_JZNS1_25segmented_radix_sort_implINS0_14default_configELb0EPK6__halfPSL_PKlPlN2at6native12_GLOBAL__N_18offset_tEEE10hipError_tPvRmT1_PNSt15iterator_traitsISZ_E10value_typeET2_T3_PNS10_IS15_E10value_typeET4_jRbjT5_S1B_jjP12ihipStream_tbEUljE_EEESW_SX_SY_S15_S19_S1B_T6_T7_T9_mT8_S1D_bDpT10_ENKUlT_T0_E_clISt17integral_constantIbLb0EES1P_IbLb1EEEEDaS1L_S1M_EUlS1L_E_NS1_11comp_targetILNS1_3genE4ELNS1_11target_archE910ELNS1_3gpuE8ELNS1_3repE0EEENS1_30default_config_static_selectorELNS0_4arch9wavefront6targetE0EEEvSZ_.has_indirect_call, 0
	.section	.AMDGPU.csdata,"",@progbits
; Kernel info:
; codeLenInByte = 0
; TotalNumSgprs: 0
; NumVgprs: 0
; ScratchSize: 0
; MemoryBound: 0
; FloatMode: 240
; IeeeMode: 1
; LDSByteSize: 0 bytes/workgroup (compile time only)
; SGPRBlocks: 0
; VGPRBlocks: 0
; NumSGPRsForWavesPerEU: 1
; NumVGPRsForWavesPerEU: 1
; NamedBarCnt: 0
; Occupancy: 16
; WaveLimiterHint : 0
; COMPUTE_PGM_RSRC2:SCRATCH_EN: 0
; COMPUTE_PGM_RSRC2:USER_SGPR: 2
; COMPUTE_PGM_RSRC2:TRAP_HANDLER: 0
; COMPUTE_PGM_RSRC2:TGID_X_EN: 1
; COMPUTE_PGM_RSRC2:TGID_Y_EN: 0
; COMPUTE_PGM_RSRC2:TGID_Z_EN: 0
; COMPUTE_PGM_RSRC2:TIDIG_COMP_CNT: 0
	.section	.text._ZN7rocprim17ROCPRIM_400000_NS6detail17trampoline_kernelINS0_13select_configILj256ELj13ELNS0_17block_load_methodE3ELS4_3ELS4_3ELNS0_20block_scan_algorithmE0ELj4294967295EEENS1_25partition_config_selectorILNS1_17partition_subalgoE3EjNS0_10empty_typeEbEEZZNS1_14partition_implILS8_3ELb0ES6_jNS0_17counting_iteratorIjlEEPS9_SE_NS0_5tupleIJPjSE_EEENSF_IJSE_SE_EEES9_SG_JZNS1_25segmented_radix_sort_implINS0_14default_configELb0EPK6__halfPSL_PKlPlN2at6native12_GLOBAL__N_18offset_tEEE10hipError_tPvRmT1_PNSt15iterator_traitsISZ_E10value_typeET2_T3_PNS10_IS15_E10value_typeET4_jRbjT5_S1B_jjP12ihipStream_tbEUljE_EEESW_SX_SY_S15_S19_S1B_T6_T7_T9_mT8_S1D_bDpT10_ENKUlT_T0_E_clISt17integral_constantIbLb0EES1P_IbLb1EEEEDaS1L_S1M_EUlS1L_E_NS1_11comp_targetILNS1_3genE3ELNS1_11target_archE908ELNS1_3gpuE7ELNS1_3repE0EEENS1_30default_config_static_selectorELNS0_4arch9wavefront6targetE0EEEvSZ_,"axG",@progbits,_ZN7rocprim17ROCPRIM_400000_NS6detail17trampoline_kernelINS0_13select_configILj256ELj13ELNS0_17block_load_methodE3ELS4_3ELS4_3ELNS0_20block_scan_algorithmE0ELj4294967295EEENS1_25partition_config_selectorILNS1_17partition_subalgoE3EjNS0_10empty_typeEbEEZZNS1_14partition_implILS8_3ELb0ES6_jNS0_17counting_iteratorIjlEEPS9_SE_NS0_5tupleIJPjSE_EEENSF_IJSE_SE_EEES9_SG_JZNS1_25segmented_radix_sort_implINS0_14default_configELb0EPK6__halfPSL_PKlPlN2at6native12_GLOBAL__N_18offset_tEEE10hipError_tPvRmT1_PNSt15iterator_traitsISZ_E10value_typeET2_T3_PNS10_IS15_E10value_typeET4_jRbjT5_S1B_jjP12ihipStream_tbEUljE_EEESW_SX_SY_S15_S19_S1B_T6_T7_T9_mT8_S1D_bDpT10_ENKUlT_T0_E_clISt17integral_constantIbLb0EES1P_IbLb1EEEEDaS1L_S1M_EUlS1L_E_NS1_11comp_targetILNS1_3genE3ELNS1_11target_archE908ELNS1_3gpuE7ELNS1_3repE0EEENS1_30default_config_static_selectorELNS0_4arch9wavefront6targetE0EEEvSZ_,comdat
	.globl	_ZN7rocprim17ROCPRIM_400000_NS6detail17trampoline_kernelINS0_13select_configILj256ELj13ELNS0_17block_load_methodE3ELS4_3ELS4_3ELNS0_20block_scan_algorithmE0ELj4294967295EEENS1_25partition_config_selectorILNS1_17partition_subalgoE3EjNS0_10empty_typeEbEEZZNS1_14partition_implILS8_3ELb0ES6_jNS0_17counting_iteratorIjlEEPS9_SE_NS0_5tupleIJPjSE_EEENSF_IJSE_SE_EEES9_SG_JZNS1_25segmented_radix_sort_implINS0_14default_configELb0EPK6__halfPSL_PKlPlN2at6native12_GLOBAL__N_18offset_tEEE10hipError_tPvRmT1_PNSt15iterator_traitsISZ_E10value_typeET2_T3_PNS10_IS15_E10value_typeET4_jRbjT5_S1B_jjP12ihipStream_tbEUljE_EEESW_SX_SY_S15_S19_S1B_T6_T7_T9_mT8_S1D_bDpT10_ENKUlT_T0_E_clISt17integral_constantIbLb0EES1P_IbLb1EEEEDaS1L_S1M_EUlS1L_E_NS1_11comp_targetILNS1_3genE3ELNS1_11target_archE908ELNS1_3gpuE7ELNS1_3repE0EEENS1_30default_config_static_selectorELNS0_4arch9wavefront6targetE0EEEvSZ_ ; -- Begin function _ZN7rocprim17ROCPRIM_400000_NS6detail17trampoline_kernelINS0_13select_configILj256ELj13ELNS0_17block_load_methodE3ELS4_3ELS4_3ELNS0_20block_scan_algorithmE0ELj4294967295EEENS1_25partition_config_selectorILNS1_17partition_subalgoE3EjNS0_10empty_typeEbEEZZNS1_14partition_implILS8_3ELb0ES6_jNS0_17counting_iteratorIjlEEPS9_SE_NS0_5tupleIJPjSE_EEENSF_IJSE_SE_EEES9_SG_JZNS1_25segmented_radix_sort_implINS0_14default_configELb0EPK6__halfPSL_PKlPlN2at6native12_GLOBAL__N_18offset_tEEE10hipError_tPvRmT1_PNSt15iterator_traitsISZ_E10value_typeET2_T3_PNS10_IS15_E10value_typeET4_jRbjT5_S1B_jjP12ihipStream_tbEUljE_EEESW_SX_SY_S15_S19_S1B_T6_T7_T9_mT8_S1D_bDpT10_ENKUlT_T0_E_clISt17integral_constantIbLb0EES1P_IbLb1EEEEDaS1L_S1M_EUlS1L_E_NS1_11comp_targetILNS1_3genE3ELNS1_11target_archE908ELNS1_3gpuE7ELNS1_3repE0EEENS1_30default_config_static_selectorELNS0_4arch9wavefront6targetE0EEEvSZ_
	.p2align	8
	.type	_ZN7rocprim17ROCPRIM_400000_NS6detail17trampoline_kernelINS0_13select_configILj256ELj13ELNS0_17block_load_methodE3ELS4_3ELS4_3ELNS0_20block_scan_algorithmE0ELj4294967295EEENS1_25partition_config_selectorILNS1_17partition_subalgoE3EjNS0_10empty_typeEbEEZZNS1_14partition_implILS8_3ELb0ES6_jNS0_17counting_iteratorIjlEEPS9_SE_NS0_5tupleIJPjSE_EEENSF_IJSE_SE_EEES9_SG_JZNS1_25segmented_radix_sort_implINS0_14default_configELb0EPK6__halfPSL_PKlPlN2at6native12_GLOBAL__N_18offset_tEEE10hipError_tPvRmT1_PNSt15iterator_traitsISZ_E10value_typeET2_T3_PNS10_IS15_E10value_typeET4_jRbjT5_S1B_jjP12ihipStream_tbEUljE_EEESW_SX_SY_S15_S19_S1B_T6_T7_T9_mT8_S1D_bDpT10_ENKUlT_T0_E_clISt17integral_constantIbLb0EES1P_IbLb1EEEEDaS1L_S1M_EUlS1L_E_NS1_11comp_targetILNS1_3genE3ELNS1_11target_archE908ELNS1_3gpuE7ELNS1_3repE0EEENS1_30default_config_static_selectorELNS0_4arch9wavefront6targetE0EEEvSZ_,@function
_ZN7rocprim17ROCPRIM_400000_NS6detail17trampoline_kernelINS0_13select_configILj256ELj13ELNS0_17block_load_methodE3ELS4_3ELS4_3ELNS0_20block_scan_algorithmE0ELj4294967295EEENS1_25partition_config_selectorILNS1_17partition_subalgoE3EjNS0_10empty_typeEbEEZZNS1_14partition_implILS8_3ELb0ES6_jNS0_17counting_iteratorIjlEEPS9_SE_NS0_5tupleIJPjSE_EEENSF_IJSE_SE_EEES9_SG_JZNS1_25segmented_radix_sort_implINS0_14default_configELb0EPK6__halfPSL_PKlPlN2at6native12_GLOBAL__N_18offset_tEEE10hipError_tPvRmT1_PNSt15iterator_traitsISZ_E10value_typeET2_T3_PNS10_IS15_E10value_typeET4_jRbjT5_S1B_jjP12ihipStream_tbEUljE_EEESW_SX_SY_S15_S19_S1B_T6_T7_T9_mT8_S1D_bDpT10_ENKUlT_T0_E_clISt17integral_constantIbLb0EES1P_IbLb1EEEEDaS1L_S1M_EUlS1L_E_NS1_11comp_targetILNS1_3genE3ELNS1_11target_archE908ELNS1_3gpuE7ELNS1_3repE0EEENS1_30default_config_static_selectorELNS0_4arch9wavefront6targetE0EEEvSZ_: ; @_ZN7rocprim17ROCPRIM_400000_NS6detail17trampoline_kernelINS0_13select_configILj256ELj13ELNS0_17block_load_methodE3ELS4_3ELS4_3ELNS0_20block_scan_algorithmE0ELj4294967295EEENS1_25partition_config_selectorILNS1_17partition_subalgoE3EjNS0_10empty_typeEbEEZZNS1_14partition_implILS8_3ELb0ES6_jNS0_17counting_iteratorIjlEEPS9_SE_NS0_5tupleIJPjSE_EEENSF_IJSE_SE_EEES9_SG_JZNS1_25segmented_radix_sort_implINS0_14default_configELb0EPK6__halfPSL_PKlPlN2at6native12_GLOBAL__N_18offset_tEEE10hipError_tPvRmT1_PNSt15iterator_traitsISZ_E10value_typeET2_T3_PNS10_IS15_E10value_typeET4_jRbjT5_S1B_jjP12ihipStream_tbEUljE_EEESW_SX_SY_S15_S19_S1B_T6_T7_T9_mT8_S1D_bDpT10_ENKUlT_T0_E_clISt17integral_constantIbLb0EES1P_IbLb1EEEEDaS1L_S1M_EUlS1L_E_NS1_11comp_targetILNS1_3genE3ELNS1_11target_archE908ELNS1_3gpuE7ELNS1_3repE0EEENS1_30default_config_static_selectorELNS0_4arch9wavefront6targetE0EEEvSZ_
; %bb.0:
	.section	.rodata,"a",@progbits
	.p2align	6, 0x0
	.amdhsa_kernel _ZN7rocprim17ROCPRIM_400000_NS6detail17trampoline_kernelINS0_13select_configILj256ELj13ELNS0_17block_load_methodE3ELS4_3ELS4_3ELNS0_20block_scan_algorithmE0ELj4294967295EEENS1_25partition_config_selectorILNS1_17partition_subalgoE3EjNS0_10empty_typeEbEEZZNS1_14partition_implILS8_3ELb0ES6_jNS0_17counting_iteratorIjlEEPS9_SE_NS0_5tupleIJPjSE_EEENSF_IJSE_SE_EEES9_SG_JZNS1_25segmented_radix_sort_implINS0_14default_configELb0EPK6__halfPSL_PKlPlN2at6native12_GLOBAL__N_18offset_tEEE10hipError_tPvRmT1_PNSt15iterator_traitsISZ_E10value_typeET2_T3_PNS10_IS15_E10value_typeET4_jRbjT5_S1B_jjP12ihipStream_tbEUljE_EEESW_SX_SY_S15_S19_S1B_T6_T7_T9_mT8_S1D_bDpT10_ENKUlT_T0_E_clISt17integral_constantIbLb0EES1P_IbLb1EEEEDaS1L_S1M_EUlS1L_E_NS1_11comp_targetILNS1_3genE3ELNS1_11target_archE908ELNS1_3gpuE7ELNS1_3repE0EEENS1_30default_config_static_selectorELNS0_4arch9wavefront6targetE0EEEvSZ_
		.amdhsa_group_segment_fixed_size 0
		.amdhsa_private_segment_fixed_size 0
		.amdhsa_kernarg_size 152
		.amdhsa_user_sgpr_count 2
		.amdhsa_user_sgpr_dispatch_ptr 0
		.amdhsa_user_sgpr_queue_ptr 0
		.amdhsa_user_sgpr_kernarg_segment_ptr 1
		.amdhsa_user_sgpr_dispatch_id 0
		.amdhsa_user_sgpr_kernarg_preload_length 0
		.amdhsa_user_sgpr_kernarg_preload_offset 0
		.amdhsa_user_sgpr_private_segment_size 0
		.amdhsa_wavefront_size32 1
		.amdhsa_uses_dynamic_stack 0
		.amdhsa_enable_private_segment 0
		.amdhsa_system_sgpr_workgroup_id_x 1
		.amdhsa_system_sgpr_workgroup_id_y 0
		.amdhsa_system_sgpr_workgroup_id_z 0
		.amdhsa_system_sgpr_workgroup_info 0
		.amdhsa_system_vgpr_workitem_id 0
		.amdhsa_next_free_vgpr 1
		.amdhsa_next_free_sgpr 1
		.amdhsa_named_barrier_count 0
		.amdhsa_reserve_vcc 0
		.amdhsa_float_round_mode_32 0
		.amdhsa_float_round_mode_16_64 0
		.amdhsa_float_denorm_mode_32 3
		.amdhsa_float_denorm_mode_16_64 3
		.amdhsa_fp16_overflow 0
		.amdhsa_memory_ordered 1
		.amdhsa_forward_progress 1
		.amdhsa_inst_pref_size 0
		.amdhsa_round_robin_scheduling 0
		.amdhsa_exception_fp_ieee_invalid_op 0
		.amdhsa_exception_fp_denorm_src 0
		.amdhsa_exception_fp_ieee_div_zero 0
		.amdhsa_exception_fp_ieee_overflow 0
		.amdhsa_exception_fp_ieee_underflow 0
		.amdhsa_exception_fp_ieee_inexact 0
		.amdhsa_exception_int_div_zero 0
	.end_amdhsa_kernel
	.section	.text._ZN7rocprim17ROCPRIM_400000_NS6detail17trampoline_kernelINS0_13select_configILj256ELj13ELNS0_17block_load_methodE3ELS4_3ELS4_3ELNS0_20block_scan_algorithmE0ELj4294967295EEENS1_25partition_config_selectorILNS1_17partition_subalgoE3EjNS0_10empty_typeEbEEZZNS1_14partition_implILS8_3ELb0ES6_jNS0_17counting_iteratorIjlEEPS9_SE_NS0_5tupleIJPjSE_EEENSF_IJSE_SE_EEES9_SG_JZNS1_25segmented_radix_sort_implINS0_14default_configELb0EPK6__halfPSL_PKlPlN2at6native12_GLOBAL__N_18offset_tEEE10hipError_tPvRmT1_PNSt15iterator_traitsISZ_E10value_typeET2_T3_PNS10_IS15_E10value_typeET4_jRbjT5_S1B_jjP12ihipStream_tbEUljE_EEESW_SX_SY_S15_S19_S1B_T6_T7_T9_mT8_S1D_bDpT10_ENKUlT_T0_E_clISt17integral_constantIbLb0EES1P_IbLb1EEEEDaS1L_S1M_EUlS1L_E_NS1_11comp_targetILNS1_3genE3ELNS1_11target_archE908ELNS1_3gpuE7ELNS1_3repE0EEENS1_30default_config_static_selectorELNS0_4arch9wavefront6targetE0EEEvSZ_,"axG",@progbits,_ZN7rocprim17ROCPRIM_400000_NS6detail17trampoline_kernelINS0_13select_configILj256ELj13ELNS0_17block_load_methodE3ELS4_3ELS4_3ELNS0_20block_scan_algorithmE0ELj4294967295EEENS1_25partition_config_selectorILNS1_17partition_subalgoE3EjNS0_10empty_typeEbEEZZNS1_14partition_implILS8_3ELb0ES6_jNS0_17counting_iteratorIjlEEPS9_SE_NS0_5tupleIJPjSE_EEENSF_IJSE_SE_EEES9_SG_JZNS1_25segmented_radix_sort_implINS0_14default_configELb0EPK6__halfPSL_PKlPlN2at6native12_GLOBAL__N_18offset_tEEE10hipError_tPvRmT1_PNSt15iterator_traitsISZ_E10value_typeET2_T3_PNS10_IS15_E10value_typeET4_jRbjT5_S1B_jjP12ihipStream_tbEUljE_EEESW_SX_SY_S15_S19_S1B_T6_T7_T9_mT8_S1D_bDpT10_ENKUlT_T0_E_clISt17integral_constantIbLb0EES1P_IbLb1EEEEDaS1L_S1M_EUlS1L_E_NS1_11comp_targetILNS1_3genE3ELNS1_11target_archE908ELNS1_3gpuE7ELNS1_3repE0EEENS1_30default_config_static_selectorELNS0_4arch9wavefront6targetE0EEEvSZ_,comdat
.Lfunc_end1827:
	.size	_ZN7rocprim17ROCPRIM_400000_NS6detail17trampoline_kernelINS0_13select_configILj256ELj13ELNS0_17block_load_methodE3ELS4_3ELS4_3ELNS0_20block_scan_algorithmE0ELj4294967295EEENS1_25partition_config_selectorILNS1_17partition_subalgoE3EjNS0_10empty_typeEbEEZZNS1_14partition_implILS8_3ELb0ES6_jNS0_17counting_iteratorIjlEEPS9_SE_NS0_5tupleIJPjSE_EEENSF_IJSE_SE_EEES9_SG_JZNS1_25segmented_radix_sort_implINS0_14default_configELb0EPK6__halfPSL_PKlPlN2at6native12_GLOBAL__N_18offset_tEEE10hipError_tPvRmT1_PNSt15iterator_traitsISZ_E10value_typeET2_T3_PNS10_IS15_E10value_typeET4_jRbjT5_S1B_jjP12ihipStream_tbEUljE_EEESW_SX_SY_S15_S19_S1B_T6_T7_T9_mT8_S1D_bDpT10_ENKUlT_T0_E_clISt17integral_constantIbLb0EES1P_IbLb1EEEEDaS1L_S1M_EUlS1L_E_NS1_11comp_targetILNS1_3genE3ELNS1_11target_archE908ELNS1_3gpuE7ELNS1_3repE0EEENS1_30default_config_static_selectorELNS0_4arch9wavefront6targetE0EEEvSZ_, .Lfunc_end1827-_ZN7rocprim17ROCPRIM_400000_NS6detail17trampoline_kernelINS0_13select_configILj256ELj13ELNS0_17block_load_methodE3ELS4_3ELS4_3ELNS0_20block_scan_algorithmE0ELj4294967295EEENS1_25partition_config_selectorILNS1_17partition_subalgoE3EjNS0_10empty_typeEbEEZZNS1_14partition_implILS8_3ELb0ES6_jNS0_17counting_iteratorIjlEEPS9_SE_NS0_5tupleIJPjSE_EEENSF_IJSE_SE_EEES9_SG_JZNS1_25segmented_radix_sort_implINS0_14default_configELb0EPK6__halfPSL_PKlPlN2at6native12_GLOBAL__N_18offset_tEEE10hipError_tPvRmT1_PNSt15iterator_traitsISZ_E10value_typeET2_T3_PNS10_IS15_E10value_typeET4_jRbjT5_S1B_jjP12ihipStream_tbEUljE_EEESW_SX_SY_S15_S19_S1B_T6_T7_T9_mT8_S1D_bDpT10_ENKUlT_T0_E_clISt17integral_constantIbLb0EES1P_IbLb1EEEEDaS1L_S1M_EUlS1L_E_NS1_11comp_targetILNS1_3genE3ELNS1_11target_archE908ELNS1_3gpuE7ELNS1_3repE0EEENS1_30default_config_static_selectorELNS0_4arch9wavefront6targetE0EEEvSZ_
                                        ; -- End function
	.set _ZN7rocprim17ROCPRIM_400000_NS6detail17trampoline_kernelINS0_13select_configILj256ELj13ELNS0_17block_load_methodE3ELS4_3ELS4_3ELNS0_20block_scan_algorithmE0ELj4294967295EEENS1_25partition_config_selectorILNS1_17partition_subalgoE3EjNS0_10empty_typeEbEEZZNS1_14partition_implILS8_3ELb0ES6_jNS0_17counting_iteratorIjlEEPS9_SE_NS0_5tupleIJPjSE_EEENSF_IJSE_SE_EEES9_SG_JZNS1_25segmented_radix_sort_implINS0_14default_configELb0EPK6__halfPSL_PKlPlN2at6native12_GLOBAL__N_18offset_tEEE10hipError_tPvRmT1_PNSt15iterator_traitsISZ_E10value_typeET2_T3_PNS10_IS15_E10value_typeET4_jRbjT5_S1B_jjP12ihipStream_tbEUljE_EEESW_SX_SY_S15_S19_S1B_T6_T7_T9_mT8_S1D_bDpT10_ENKUlT_T0_E_clISt17integral_constantIbLb0EES1P_IbLb1EEEEDaS1L_S1M_EUlS1L_E_NS1_11comp_targetILNS1_3genE3ELNS1_11target_archE908ELNS1_3gpuE7ELNS1_3repE0EEENS1_30default_config_static_selectorELNS0_4arch9wavefront6targetE0EEEvSZ_.num_vgpr, 0
	.set _ZN7rocprim17ROCPRIM_400000_NS6detail17trampoline_kernelINS0_13select_configILj256ELj13ELNS0_17block_load_methodE3ELS4_3ELS4_3ELNS0_20block_scan_algorithmE0ELj4294967295EEENS1_25partition_config_selectorILNS1_17partition_subalgoE3EjNS0_10empty_typeEbEEZZNS1_14partition_implILS8_3ELb0ES6_jNS0_17counting_iteratorIjlEEPS9_SE_NS0_5tupleIJPjSE_EEENSF_IJSE_SE_EEES9_SG_JZNS1_25segmented_radix_sort_implINS0_14default_configELb0EPK6__halfPSL_PKlPlN2at6native12_GLOBAL__N_18offset_tEEE10hipError_tPvRmT1_PNSt15iterator_traitsISZ_E10value_typeET2_T3_PNS10_IS15_E10value_typeET4_jRbjT5_S1B_jjP12ihipStream_tbEUljE_EEESW_SX_SY_S15_S19_S1B_T6_T7_T9_mT8_S1D_bDpT10_ENKUlT_T0_E_clISt17integral_constantIbLb0EES1P_IbLb1EEEEDaS1L_S1M_EUlS1L_E_NS1_11comp_targetILNS1_3genE3ELNS1_11target_archE908ELNS1_3gpuE7ELNS1_3repE0EEENS1_30default_config_static_selectorELNS0_4arch9wavefront6targetE0EEEvSZ_.num_agpr, 0
	.set _ZN7rocprim17ROCPRIM_400000_NS6detail17trampoline_kernelINS0_13select_configILj256ELj13ELNS0_17block_load_methodE3ELS4_3ELS4_3ELNS0_20block_scan_algorithmE0ELj4294967295EEENS1_25partition_config_selectorILNS1_17partition_subalgoE3EjNS0_10empty_typeEbEEZZNS1_14partition_implILS8_3ELb0ES6_jNS0_17counting_iteratorIjlEEPS9_SE_NS0_5tupleIJPjSE_EEENSF_IJSE_SE_EEES9_SG_JZNS1_25segmented_radix_sort_implINS0_14default_configELb0EPK6__halfPSL_PKlPlN2at6native12_GLOBAL__N_18offset_tEEE10hipError_tPvRmT1_PNSt15iterator_traitsISZ_E10value_typeET2_T3_PNS10_IS15_E10value_typeET4_jRbjT5_S1B_jjP12ihipStream_tbEUljE_EEESW_SX_SY_S15_S19_S1B_T6_T7_T9_mT8_S1D_bDpT10_ENKUlT_T0_E_clISt17integral_constantIbLb0EES1P_IbLb1EEEEDaS1L_S1M_EUlS1L_E_NS1_11comp_targetILNS1_3genE3ELNS1_11target_archE908ELNS1_3gpuE7ELNS1_3repE0EEENS1_30default_config_static_selectorELNS0_4arch9wavefront6targetE0EEEvSZ_.numbered_sgpr, 0
	.set _ZN7rocprim17ROCPRIM_400000_NS6detail17trampoline_kernelINS0_13select_configILj256ELj13ELNS0_17block_load_methodE3ELS4_3ELS4_3ELNS0_20block_scan_algorithmE0ELj4294967295EEENS1_25partition_config_selectorILNS1_17partition_subalgoE3EjNS0_10empty_typeEbEEZZNS1_14partition_implILS8_3ELb0ES6_jNS0_17counting_iteratorIjlEEPS9_SE_NS0_5tupleIJPjSE_EEENSF_IJSE_SE_EEES9_SG_JZNS1_25segmented_radix_sort_implINS0_14default_configELb0EPK6__halfPSL_PKlPlN2at6native12_GLOBAL__N_18offset_tEEE10hipError_tPvRmT1_PNSt15iterator_traitsISZ_E10value_typeET2_T3_PNS10_IS15_E10value_typeET4_jRbjT5_S1B_jjP12ihipStream_tbEUljE_EEESW_SX_SY_S15_S19_S1B_T6_T7_T9_mT8_S1D_bDpT10_ENKUlT_T0_E_clISt17integral_constantIbLb0EES1P_IbLb1EEEEDaS1L_S1M_EUlS1L_E_NS1_11comp_targetILNS1_3genE3ELNS1_11target_archE908ELNS1_3gpuE7ELNS1_3repE0EEENS1_30default_config_static_selectorELNS0_4arch9wavefront6targetE0EEEvSZ_.num_named_barrier, 0
	.set _ZN7rocprim17ROCPRIM_400000_NS6detail17trampoline_kernelINS0_13select_configILj256ELj13ELNS0_17block_load_methodE3ELS4_3ELS4_3ELNS0_20block_scan_algorithmE0ELj4294967295EEENS1_25partition_config_selectorILNS1_17partition_subalgoE3EjNS0_10empty_typeEbEEZZNS1_14partition_implILS8_3ELb0ES6_jNS0_17counting_iteratorIjlEEPS9_SE_NS0_5tupleIJPjSE_EEENSF_IJSE_SE_EEES9_SG_JZNS1_25segmented_radix_sort_implINS0_14default_configELb0EPK6__halfPSL_PKlPlN2at6native12_GLOBAL__N_18offset_tEEE10hipError_tPvRmT1_PNSt15iterator_traitsISZ_E10value_typeET2_T3_PNS10_IS15_E10value_typeET4_jRbjT5_S1B_jjP12ihipStream_tbEUljE_EEESW_SX_SY_S15_S19_S1B_T6_T7_T9_mT8_S1D_bDpT10_ENKUlT_T0_E_clISt17integral_constantIbLb0EES1P_IbLb1EEEEDaS1L_S1M_EUlS1L_E_NS1_11comp_targetILNS1_3genE3ELNS1_11target_archE908ELNS1_3gpuE7ELNS1_3repE0EEENS1_30default_config_static_selectorELNS0_4arch9wavefront6targetE0EEEvSZ_.private_seg_size, 0
	.set _ZN7rocprim17ROCPRIM_400000_NS6detail17trampoline_kernelINS0_13select_configILj256ELj13ELNS0_17block_load_methodE3ELS4_3ELS4_3ELNS0_20block_scan_algorithmE0ELj4294967295EEENS1_25partition_config_selectorILNS1_17partition_subalgoE3EjNS0_10empty_typeEbEEZZNS1_14partition_implILS8_3ELb0ES6_jNS0_17counting_iteratorIjlEEPS9_SE_NS0_5tupleIJPjSE_EEENSF_IJSE_SE_EEES9_SG_JZNS1_25segmented_radix_sort_implINS0_14default_configELb0EPK6__halfPSL_PKlPlN2at6native12_GLOBAL__N_18offset_tEEE10hipError_tPvRmT1_PNSt15iterator_traitsISZ_E10value_typeET2_T3_PNS10_IS15_E10value_typeET4_jRbjT5_S1B_jjP12ihipStream_tbEUljE_EEESW_SX_SY_S15_S19_S1B_T6_T7_T9_mT8_S1D_bDpT10_ENKUlT_T0_E_clISt17integral_constantIbLb0EES1P_IbLb1EEEEDaS1L_S1M_EUlS1L_E_NS1_11comp_targetILNS1_3genE3ELNS1_11target_archE908ELNS1_3gpuE7ELNS1_3repE0EEENS1_30default_config_static_selectorELNS0_4arch9wavefront6targetE0EEEvSZ_.uses_vcc, 0
	.set _ZN7rocprim17ROCPRIM_400000_NS6detail17trampoline_kernelINS0_13select_configILj256ELj13ELNS0_17block_load_methodE3ELS4_3ELS4_3ELNS0_20block_scan_algorithmE0ELj4294967295EEENS1_25partition_config_selectorILNS1_17partition_subalgoE3EjNS0_10empty_typeEbEEZZNS1_14partition_implILS8_3ELb0ES6_jNS0_17counting_iteratorIjlEEPS9_SE_NS0_5tupleIJPjSE_EEENSF_IJSE_SE_EEES9_SG_JZNS1_25segmented_radix_sort_implINS0_14default_configELb0EPK6__halfPSL_PKlPlN2at6native12_GLOBAL__N_18offset_tEEE10hipError_tPvRmT1_PNSt15iterator_traitsISZ_E10value_typeET2_T3_PNS10_IS15_E10value_typeET4_jRbjT5_S1B_jjP12ihipStream_tbEUljE_EEESW_SX_SY_S15_S19_S1B_T6_T7_T9_mT8_S1D_bDpT10_ENKUlT_T0_E_clISt17integral_constantIbLb0EES1P_IbLb1EEEEDaS1L_S1M_EUlS1L_E_NS1_11comp_targetILNS1_3genE3ELNS1_11target_archE908ELNS1_3gpuE7ELNS1_3repE0EEENS1_30default_config_static_selectorELNS0_4arch9wavefront6targetE0EEEvSZ_.uses_flat_scratch, 0
	.set _ZN7rocprim17ROCPRIM_400000_NS6detail17trampoline_kernelINS0_13select_configILj256ELj13ELNS0_17block_load_methodE3ELS4_3ELS4_3ELNS0_20block_scan_algorithmE0ELj4294967295EEENS1_25partition_config_selectorILNS1_17partition_subalgoE3EjNS0_10empty_typeEbEEZZNS1_14partition_implILS8_3ELb0ES6_jNS0_17counting_iteratorIjlEEPS9_SE_NS0_5tupleIJPjSE_EEENSF_IJSE_SE_EEES9_SG_JZNS1_25segmented_radix_sort_implINS0_14default_configELb0EPK6__halfPSL_PKlPlN2at6native12_GLOBAL__N_18offset_tEEE10hipError_tPvRmT1_PNSt15iterator_traitsISZ_E10value_typeET2_T3_PNS10_IS15_E10value_typeET4_jRbjT5_S1B_jjP12ihipStream_tbEUljE_EEESW_SX_SY_S15_S19_S1B_T6_T7_T9_mT8_S1D_bDpT10_ENKUlT_T0_E_clISt17integral_constantIbLb0EES1P_IbLb1EEEEDaS1L_S1M_EUlS1L_E_NS1_11comp_targetILNS1_3genE3ELNS1_11target_archE908ELNS1_3gpuE7ELNS1_3repE0EEENS1_30default_config_static_selectorELNS0_4arch9wavefront6targetE0EEEvSZ_.has_dyn_sized_stack, 0
	.set _ZN7rocprim17ROCPRIM_400000_NS6detail17trampoline_kernelINS0_13select_configILj256ELj13ELNS0_17block_load_methodE3ELS4_3ELS4_3ELNS0_20block_scan_algorithmE0ELj4294967295EEENS1_25partition_config_selectorILNS1_17partition_subalgoE3EjNS0_10empty_typeEbEEZZNS1_14partition_implILS8_3ELb0ES6_jNS0_17counting_iteratorIjlEEPS9_SE_NS0_5tupleIJPjSE_EEENSF_IJSE_SE_EEES9_SG_JZNS1_25segmented_radix_sort_implINS0_14default_configELb0EPK6__halfPSL_PKlPlN2at6native12_GLOBAL__N_18offset_tEEE10hipError_tPvRmT1_PNSt15iterator_traitsISZ_E10value_typeET2_T3_PNS10_IS15_E10value_typeET4_jRbjT5_S1B_jjP12ihipStream_tbEUljE_EEESW_SX_SY_S15_S19_S1B_T6_T7_T9_mT8_S1D_bDpT10_ENKUlT_T0_E_clISt17integral_constantIbLb0EES1P_IbLb1EEEEDaS1L_S1M_EUlS1L_E_NS1_11comp_targetILNS1_3genE3ELNS1_11target_archE908ELNS1_3gpuE7ELNS1_3repE0EEENS1_30default_config_static_selectorELNS0_4arch9wavefront6targetE0EEEvSZ_.has_recursion, 0
	.set _ZN7rocprim17ROCPRIM_400000_NS6detail17trampoline_kernelINS0_13select_configILj256ELj13ELNS0_17block_load_methodE3ELS4_3ELS4_3ELNS0_20block_scan_algorithmE0ELj4294967295EEENS1_25partition_config_selectorILNS1_17partition_subalgoE3EjNS0_10empty_typeEbEEZZNS1_14partition_implILS8_3ELb0ES6_jNS0_17counting_iteratorIjlEEPS9_SE_NS0_5tupleIJPjSE_EEENSF_IJSE_SE_EEES9_SG_JZNS1_25segmented_radix_sort_implINS0_14default_configELb0EPK6__halfPSL_PKlPlN2at6native12_GLOBAL__N_18offset_tEEE10hipError_tPvRmT1_PNSt15iterator_traitsISZ_E10value_typeET2_T3_PNS10_IS15_E10value_typeET4_jRbjT5_S1B_jjP12ihipStream_tbEUljE_EEESW_SX_SY_S15_S19_S1B_T6_T7_T9_mT8_S1D_bDpT10_ENKUlT_T0_E_clISt17integral_constantIbLb0EES1P_IbLb1EEEEDaS1L_S1M_EUlS1L_E_NS1_11comp_targetILNS1_3genE3ELNS1_11target_archE908ELNS1_3gpuE7ELNS1_3repE0EEENS1_30default_config_static_selectorELNS0_4arch9wavefront6targetE0EEEvSZ_.has_indirect_call, 0
	.section	.AMDGPU.csdata,"",@progbits
; Kernel info:
; codeLenInByte = 0
; TotalNumSgprs: 0
; NumVgprs: 0
; ScratchSize: 0
; MemoryBound: 0
; FloatMode: 240
; IeeeMode: 1
; LDSByteSize: 0 bytes/workgroup (compile time only)
; SGPRBlocks: 0
; VGPRBlocks: 0
; NumSGPRsForWavesPerEU: 1
; NumVGPRsForWavesPerEU: 1
; NamedBarCnt: 0
; Occupancy: 16
; WaveLimiterHint : 0
; COMPUTE_PGM_RSRC2:SCRATCH_EN: 0
; COMPUTE_PGM_RSRC2:USER_SGPR: 2
; COMPUTE_PGM_RSRC2:TRAP_HANDLER: 0
; COMPUTE_PGM_RSRC2:TGID_X_EN: 1
; COMPUTE_PGM_RSRC2:TGID_Y_EN: 0
; COMPUTE_PGM_RSRC2:TGID_Z_EN: 0
; COMPUTE_PGM_RSRC2:TIDIG_COMP_CNT: 0
	.section	.text._ZN7rocprim17ROCPRIM_400000_NS6detail17trampoline_kernelINS0_13select_configILj256ELj13ELNS0_17block_load_methodE3ELS4_3ELS4_3ELNS0_20block_scan_algorithmE0ELj4294967295EEENS1_25partition_config_selectorILNS1_17partition_subalgoE3EjNS0_10empty_typeEbEEZZNS1_14partition_implILS8_3ELb0ES6_jNS0_17counting_iteratorIjlEEPS9_SE_NS0_5tupleIJPjSE_EEENSF_IJSE_SE_EEES9_SG_JZNS1_25segmented_radix_sort_implINS0_14default_configELb0EPK6__halfPSL_PKlPlN2at6native12_GLOBAL__N_18offset_tEEE10hipError_tPvRmT1_PNSt15iterator_traitsISZ_E10value_typeET2_T3_PNS10_IS15_E10value_typeET4_jRbjT5_S1B_jjP12ihipStream_tbEUljE_EEESW_SX_SY_S15_S19_S1B_T6_T7_T9_mT8_S1D_bDpT10_ENKUlT_T0_E_clISt17integral_constantIbLb0EES1P_IbLb1EEEEDaS1L_S1M_EUlS1L_E_NS1_11comp_targetILNS1_3genE2ELNS1_11target_archE906ELNS1_3gpuE6ELNS1_3repE0EEENS1_30default_config_static_selectorELNS0_4arch9wavefront6targetE0EEEvSZ_,"axG",@progbits,_ZN7rocprim17ROCPRIM_400000_NS6detail17trampoline_kernelINS0_13select_configILj256ELj13ELNS0_17block_load_methodE3ELS4_3ELS4_3ELNS0_20block_scan_algorithmE0ELj4294967295EEENS1_25partition_config_selectorILNS1_17partition_subalgoE3EjNS0_10empty_typeEbEEZZNS1_14partition_implILS8_3ELb0ES6_jNS0_17counting_iteratorIjlEEPS9_SE_NS0_5tupleIJPjSE_EEENSF_IJSE_SE_EEES9_SG_JZNS1_25segmented_radix_sort_implINS0_14default_configELb0EPK6__halfPSL_PKlPlN2at6native12_GLOBAL__N_18offset_tEEE10hipError_tPvRmT1_PNSt15iterator_traitsISZ_E10value_typeET2_T3_PNS10_IS15_E10value_typeET4_jRbjT5_S1B_jjP12ihipStream_tbEUljE_EEESW_SX_SY_S15_S19_S1B_T6_T7_T9_mT8_S1D_bDpT10_ENKUlT_T0_E_clISt17integral_constantIbLb0EES1P_IbLb1EEEEDaS1L_S1M_EUlS1L_E_NS1_11comp_targetILNS1_3genE2ELNS1_11target_archE906ELNS1_3gpuE6ELNS1_3repE0EEENS1_30default_config_static_selectorELNS0_4arch9wavefront6targetE0EEEvSZ_,comdat
	.globl	_ZN7rocprim17ROCPRIM_400000_NS6detail17trampoline_kernelINS0_13select_configILj256ELj13ELNS0_17block_load_methodE3ELS4_3ELS4_3ELNS0_20block_scan_algorithmE0ELj4294967295EEENS1_25partition_config_selectorILNS1_17partition_subalgoE3EjNS0_10empty_typeEbEEZZNS1_14partition_implILS8_3ELb0ES6_jNS0_17counting_iteratorIjlEEPS9_SE_NS0_5tupleIJPjSE_EEENSF_IJSE_SE_EEES9_SG_JZNS1_25segmented_radix_sort_implINS0_14default_configELb0EPK6__halfPSL_PKlPlN2at6native12_GLOBAL__N_18offset_tEEE10hipError_tPvRmT1_PNSt15iterator_traitsISZ_E10value_typeET2_T3_PNS10_IS15_E10value_typeET4_jRbjT5_S1B_jjP12ihipStream_tbEUljE_EEESW_SX_SY_S15_S19_S1B_T6_T7_T9_mT8_S1D_bDpT10_ENKUlT_T0_E_clISt17integral_constantIbLb0EES1P_IbLb1EEEEDaS1L_S1M_EUlS1L_E_NS1_11comp_targetILNS1_3genE2ELNS1_11target_archE906ELNS1_3gpuE6ELNS1_3repE0EEENS1_30default_config_static_selectorELNS0_4arch9wavefront6targetE0EEEvSZ_ ; -- Begin function _ZN7rocprim17ROCPRIM_400000_NS6detail17trampoline_kernelINS0_13select_configILj256ELj13ELNS0_17block_load_methodE3ELS4_3ELS4_3ELNS0_20block_scan_algorithmE0ELj4294967295EEENS1_25partition_config_selectorILNS1_17partition_subalgoE3EjNS0_10empty_typeEbEEZZNS1_14partition_implILS8_3ELb0ES6_jNS0_17counting_iteratorIjlEEPS9_SE_NS0_5tupleIJPjSE_EEENSF_IJSE_SE_EEES9_SG_JZNS1_25segmented_radix_sort_implINS0_14default_configELb0EPK6__halfPSL_PKlPlN2at6native12_GLOBAL__N_18offset_tEEE10hipError_tPvRmT1_PNSt15iterator_traitsISZ_E10value_typeET2_T3_PNS10_IS15_E10value_typeET4_jRbjT5_S1B_jjP12ihipStream_tbEUljE_EEESW_SX_SY_S15_S19_S1B_T6_T7_T9_mT8_S1D_bDpT10_ENKUlT_T0_E_clISt17integral_constantIbLb0EES1P_IbLb1EEEEDaS1L_S1M_EUlS1L_E_NS1_11comp_targetILNS1_3genE2ELNS1_11target_archE906ELNS1_3gpuE6ELNS1_3repE0EEENS1_30default_config_static_selectorELNS0_4arch9wavefront6targetE0EEEvSZ_
	.p2align	8
	.type	_ZN7rocprim17ROCPRIM_400000_NS6detail17trampoline_kernelINS0_13select_configILj256ELj13ELNS0_17block_load_methodE3ELS4_3ELS4_3ELNS0_20block_scan_algorithmE0ELj4294967295EEENS1_25partition_config_selectorILNS1_17partition_subalgoE3EjNS0_10empty_typeEbEEZZNS1_14partition_implILS8_3ELb0ES6_jNS0_17counting_iteratorIjlEEPS9_SE_NS0_5tupleIJPjSE_EEENSF_IJSE_SE_EEES9_SG_JZNS1_25segmented_radix_sort_implINS0_14default_configELb0EPK6__halfPSL_PKlPlN2at6native12_GLOBAL__N_18offset_tEEE10hipError_tPvRmT1_PNSt15iterator_traitsISZ_E10value_typeET2_T3_PNS10_IS15_E10value_typeET4_jRbjT5_S1B_jjP12ihipStream_tbEUljE_EEESW_SX_SY_S15_S19_S1B_T6_T7_T9_mT8_S1D_bDpT10_ENKUlT_T0_E_clISt17integral_constantIbLb0EES1P_IbLb1EEEEDaS1L_S1M_EUlS1L_E_NS1_11comp_targetILNS1_3genE2ELNS1_11target_archE906ELNS1_3gpuE6ELNS1_3repE0EEENS1_30default_config_static_selectorELNS0_4arch9wavefront6targetE0EEEvSZ_,@function
_ZN7rocprim17ROCPRIM_400000_NS6detail17trampoline_kernelINS0_13select_configILj256ELj13ELNS0_17block_load_methodE3ELS4_3ELS4_3ELNS0_20block_scan_algorithmE0ELj4294967295EEENS1_25partition_config_selectorILNS1_17partition_subalgoE3EjNS0_10empty_typeEbEEZZNS1_14partition_implILS8_3ELb0ES6_jNS0_17counting_iteratorIjlEEPS9_SE_NS0_5tupleIJPjSE_EEENSF_IJSE_SE_EEES9_SG_JZNS1_25segmented_radix_sort_implINS0_14default_configELb0EPK6__halfPSL_PKlPlN2at6native12_GLOBAL__N_18offset_tEEE10hipError_tPvRmT1_PNSt15iterator_traitsISZ_E10value_typeET2_T3_PNS10_IS15_E10value_typeET4_jRbjT5_S1B_jjP12ihipStream_tbEUljE_EEESW_SX_SY_S15_S19_S1B_T6_T7_T9_mT8_S1D_bDpT10_ENKUlT_T0_E_clISt17integral_constantIbLb0EES1P_IbLb1EEEEDaS1L_S1M_EUlS1L_E_NS1_11comp_targetILNS1_3genE2ELNS1_11target_archE906ELNS1_3gpuE6ELNS1_3repE0EEENS1_30default_config_static_selectorELNS0_4arch9wavefront6targetE0EEEvSZ_: ; @_ZN7rocprim17ROCPRIM_400000_NS6detail17trampoline_kernelINS0_13select_configILj256ELj13ELNS0_17block_load_methodE3ELS4_3ELS4_3ELNS0_20block_scan_algorithmE0ELj4294967295EEENS1_25partition_config_selectorILNS1_17partition_subalgoE3EjNS0_10empty_typeEbEEZZNS1_14partition_implILS8_3ELb0ES6_jNS0_17counting_iteratorIjlEEPS9_SE_NS0_5tupleIJPjSE_EEENSF_IJSE_SE_EEES9_SG_JZNS1_25segmented_radix_sort_implINS0_14default_configELb0EPK6__halfPSL_PKlPlN2at6native12_GLOBAL__N_18offset_tEEE10hipError_tPvRmT1_PNSt15iterator_traitsISZ_E10value_typeET2_T3_PNS10_IS15_E10value_typeET4_jRbjT5_S1B_jjP12ihipStream_tbEUljE_EEESW_SX_SY_S15_S19_S1B_T6_T7_T9_mT8_S1D_bDpT10_ENKUlT_T0_E_clISt17integral_constantIbLb0EES1P_IbLb1EEEEDaS1L_S1M_EUlS1L_E_NS1_11comp_targetILNS1_3genE2ELNS1_11target_archE906ELNS1_3gpuE6ELNS1_3repE0EEENS1_30default_config_static_selectorELNS0_4arch9wavefront6targetE0EEEvSZ_
; %bb.0:
	.section	.rodata,"a",@progbits
	.p2align	6, 0x0
	.amdhsa_kernel _ZN7rocprim17ROCPRIM_400000_NS6detail17trampoline_kernelINS0_13select_configILj256ELj13ELNS0_17block_load_methodE3ELS4_3ELS4_3ELNS0_20block_scan_algorithmE0ELj4294967295EEENS1_25partition_config_selectorILNS1_17partition_subalgoE3EjNS0_10empty_typeEbEEZZNS1_14partition_implILS8_3ELb0ES6_jNS0_17counting_iteratorIjlEEPS9_SE_NS0_5tupleIJPjSE_EEENSF_IJSE_SE_EEES9_SG_JZNS1_25segmented_radix_sort_implINS0_14default_configELb0EPK6__halfPSL_PKlPlN2at6native12_GLOBAL__N_18offset_tEEE10hipError_tPvRmT1_PNSt15iterator_traitsISZ_E10value_typeET2_T3_PNS10_IS15_E10value_typeET4_jRbjT5_S1B_jjP12ihipStream_tbEUljE_EEESW_SX_SY_S15_S19_S1B_T6_T7_T9_mT8_S1D_bDpT10_ENKUlT_T0_E_clISt17integral_constantIbLb0EES1P_IbLb1EEEEDaS1L_S1M_EUlS1L_E_NS1_11comp_targetILNS1_3genE2ELNS1_11target_archE906ELNS1_3gpuE6ELNS1_3repE0EEENS1_30default_config_static_selectorELNS0_4arch9wavefront6targetE0EEEvSZ_
		.amdhsa_group_segment_fixed_size 0
		.amdhsa_private_segment_fixed_size 0
		.amdhsa_kernarg_size 152
		.amdhsa_user_sgpr_count 2
		.amdhsa_user_sgpr_dispatch_ptr 0
		.amdhsa_user_sgpr_queue_ptr 0
		.amdhsa_user_sgpr_kernarg_segment_ptr 1
		.amdhsa_user_sgpr_dispatch_id 0
		.amdhsa_user_sgpr_kernarg_preload_length 0
		.amdhsa_user_sgpr_kernarg_preload_offset 0
		.amdhsa_user_sgpr_private_segment_size 0
		.amdhsa_wavefront_size32 1
		.amdhsa_uses_dynamic_stack 0
		.amdhsa_enable_private_segment 0
		.amdhsa_system_sgpr_workgroup_id_x 1
		.amdhsa_system_sgpr_workgroup_id_y 0
		.amdhsa_system_sgpr_workgroup_id_z 0
		.amdhsa_system_sgpr_workgroup_info 0
		.amdhsa_system_vgpr_workitem_id 0
		.amdhsa_next_free_vgpr 1
		.amdhsa_next_free_sgpr 1
		.amdhsa_named_barrier_count 0
		.amdhsa_reserve_vcc 0
		.amdhsa_float_round_mode_32 0
		.amdhsa_float_round_mode_16_64 0
		.amdhsa_float_denorm_mode_32 3
		.amdhsa_float_denorm_mode_16_64 3
		.amdhsa_fp16_overflow 0
		.amdhsa_memory_ordered 1
		.amdhsa_forward_progress 1
		.amdhsa_inst_pref_size 0
		.amdhsa_round_robin_scheduling 0
		.amdhsa_exception_fp_ieee_invalid_op 0
		.amdhsa_exception_fp_denorm_src 0
		.amdhsa_exception_fp_ieee_div_zero 0
		.amdhsa_exception_fp_ieee_overflow 0
		.amdhsa_exception_fp_ieee_underflow 0
		.amdhsa_exception_fp_ieee_inexact 0
		.amdhsa_exception_int_div_zero 0
	.end_amdhsa_kernel
	.section	.text._ZN7rocprim17ROCPRIM_400000_NS6detail17trampoline_kernelINS0_13select_configILj256ELj13ELNS0_17block_load_methodE3ELS4_3ELS4_3ELNS0_20block_scan_algorithmE0ELj4294967295EEENS1_25partition_config_selectorILNS1_17partition_subalgoE3EjNS0_10empty_typeEbEEZZNS1_14partition_implILS8_3ELb0ES6_jNS0_17counting_iteratorIjlEEPS9_SE_NS0_5tupleIJPjSE_EEENSF_IJSE_SE_EEES9_SG_JZNS1_25segmented_radix_sort_implINS0_14default_configELb0EPK6__halfPSL_PKlPlN2at6native12_GLOBAL__N_18offset_tEEE10hipError_tPvRmT1_PNSt15iterator_traitsISZ_E10value_typeET2_T3_PNS10_IS15_E10value_typeET4_jRbjT5_S1B_jjP12ihipStream_tbEUljE_EEESW_SX_SY_S15_S19_S1B_T6_T7_T9_mT8_S1D_bDpT10_ENKUlT_T0_E_clISt17integral_constantIbLb0EES1P_IbLb1EEEEDaS1L_S1M_EUlS1L_E_NS1_11comp_targetILNS1_3genE2ELNS1_11target_archE906ELNS1_3gpuE6ELNS1_3repE0EEENS1_30default_config_static_selectorELNS0_4arch9wavefront6targetE0EEEvSZ_,"axG",@progbits,_ZN7rocprim17ROCPRIM_400000_NS6detail17trampoline_kernelINS0_13select_configILj256ELj13ELNS0_17block_load_methodE3ELS4_3ELS4_3ELNS0_20block_scan_algorithmE0ELj4294967295EEENS1_25partition_config_selectorILNS1_17partition_subalgoE3EjNS0_10empty_typeEbEEZZNS1_14partition_implILS8_3ELb0ES6_jNS0_17counting_iteratorIjlEEPS9_SE_NS0_5tupleIJPjSE_EEENSF_IJSE_SE_EEES9_SG_JZNS1_25segmented_radix_sort_implINS0_14default_configELb0EPK6__halfPSL_PKlPlN2at6native12_GLOBAL__N_18offset_tEEE10hipError_tPvRmT1_PNSt15iterator_traitsISZ_E10value_typeET2_T3_PNS10_IS15_E10value_typeET4_jRbjT5_S1B_jjP12ihipStream_tbEUljE_EEESW_SX_SY_S15_S19_S1B_T6_T7_T9_mT8_S1D_bDpT10_ENKUlT_T0_E_clISt17integral_constantIbLb0EES1P_IbLb1EEEEDaS1L_S1M_EUlS1L_E_NS1_11comp_targetILNS1_3genE2ELNS1_11target_archE906ELNS1_3gpuE6ELNS1_3repE0EEENS1_30default_config_static_selectorELNS0_4arch9wavefront6targetE0EEEvSZ_,comdat
.Lfunc_end1828:
	.size	_ZN7rocprim17ROCPRIM_400000_NS6detail17trampoline_kernelINS0_13select_configILj256ELj13ELNS0_17block_load_methodE3ELS4_3ELS4_3ELNS0_20block_scan_algorithmE0ELj4294967295EEENS1_25partition_config_selectorILNS1_17partition_subalgoE3EjNS0_10empty_typeEbEEZZNS1_14partition_implILS8_3ELb0ES6_jNS0_17counting_iteratorIjlEEPS9_SE_NS0_5tupleIJPjSE_EEENSF_IJSE_SE_EEES9_SG_JZNS1_25segmented_radix_sort_implINS0_14default_configELb0EPK6__halfPSL_PKlPlN2at6native12_GLOBAL__N_18offset_tEEE10hipError_tPvRmT1_PNSt15iterator_traitsISZ_E10value_typeET2_T3_PNS10_IS15_E10value_typeET4_jRbjT5_S1B_jjP12ihipStream_tbEUljE_EEESW_SX_SY_S15_S19_S1B_T6_T7_T9_mT8_S1D_bDpT10_ENKUlT_T0_E_clISt17integral_constantIbLb0EES1P_IbLb1EEEEDaS1L_S1M_EUlS1L_E_NS1_11comp_targetILNS1_3genE2ELNS1_11target_archE906ELNS1_3gpuE6ELNS1_3repE0EEENS1_30default_config_static_selectorELNS0_4arch9wavefront6targetE0EEEvSZ_, .Lfunc_end1828-_ZN7rocprim17ROCPRIM_400000_NS6detail17trampoline_kernelINS0_13select_configILj256ELj13ELNS0_17block_load_methodE3ELS4_3ELS4_3ELNS0_20block_scan_algorithmE0ELj4294967295EEENS1_25partition_config_selectorILNS1_17partition_subalgoE3EjNS0_10empty_typeEbEEZZNS1_14partition_implILS8_3ELb0ES6_jNS0_17counting_iteratorIjlEEPS9_SE_NS0_5tupleIJPjSE_EEENSF_IJSE_SE_EEES9_SG_JZNS1_25segmented_radix_sort_implINS0_14default_configELb0EPK6__halfPSL_PKlPlN2at6native12_GLOBAL__N_18offset_tEEE10hipError_tPvRmT1_PNSt15iterator_traitsISZ_E10value_typeET2_T3_PNS10_IS15_E10value_typeET4_jRbjT5_S1B_jjP12ihipStream_tbEUljE_EEESW_SX_SY_S15_S19_S1B_T6_T7_T9_mT8_S1D_bDpT10_ENKUlT_T0_E_clISt17integral_constantIbLb0EES1P_IbLb1EEEEDaS1L_S1M_EUlS1L_E_NS1_11comp_targetILNS1_3genE2ELNS1_11target_archE906ELNS1_3gpuE6ELNS1_3repE0EEENS1_30default_config_static_selectorELNS0_4arch9wavefront6targetE0EEEvSZ_
                                        ; -- End function
	.set _ZN7rocprim17ROCPRIM_400000_NS6detail17trampoline_kernelINS0_13select_configILj256ELj13ELNS0_17block_load_methodE3ELS4_3ELS4_3ELNS0_20block_scan_algorithmE0ELj4294967295EEENS1_25partition_config_selectorILNS1_17partition_subalgoE3EjNS0_10empty_typeEbEEZZNS1_14partition_implILS8_3ELb0ES6_jNS0_17counting_iteratorIjlEEPS9_SE_NS0_5tupleIJPjSE_EEENSF_IJSE_SE_EEES9_SG_JZNS1_25segmented_radix_sort_implINS0_14default_configELb0EPK6__halfPSL_PKlPlN2at6native12_GLOBAL__N_18offset_tEEE10hipError_tPvRmT1_PNSt15iterator_traitsISZ_E10value_typeET2_T3_PNS10_IS15_E10value_typeET4_jRbjT5_S1B_jjP12ihipStream_tbEUljE_EEESW_SX_SY_S15_S19_S1B_T6_T7_T9_mT8_S1D_bDpT10_ENKUlT_T0_E_clISt17integral_constantIbLb0EES1P_IbLb1EEEEDaS1L_S1M_EUlS1L_E_NS1_11comp_targetILNS1_3genE2ELNS1_11target_archE906ELNS1_3gpuE6ELNS1_3repE0EEENS1_30default_config_static_selectorELNS0_4arch9wavefront6targetE0EEEvSZ_.num_vgpr, 0
	.set _ZN7rocprim17ROCPRIM_400000_NS6detail17trampoline_kernelINS0_13select_configILj256ELj13ELNS0_17block_load_methodE3ELS4_3ELS4_3ELNS0_20block_scan_algorithmE0ELj4294967295EEENS1_25partition_config_selectorILNS1_17partition_subalgoE3EjNS0_10empty_typeEbEEZZNS1_14partition_implILS8_3ELb0ES6_jNS0_17counting_iteratorIjlEEPS9_SE_NS0_5tupleIJPjSE_EEENSF_IJSE_SE_EEES9_SG_JZNS1_25segmented_radix_sort_implINS0_14default_configELb0EPK6__halfPSL_PKlPlN2at6native12_GLOBAL__N_18offset_tEEE10hipError_tPvRmT1_PNSt15iterator_traitsISZ_E10value_typeET2_T3_PNS10_IS15_E10value_typeET4_jRbjT5_S1B_jjP12ihipStream_tbEUljE_EEESW_SX_SY_S15_S19_S1B_T6_T7_T9_mT8_S1D_bDpT10_ENKUlT_T0_E_clISt17integral_constantIbLb0EES1P_IbLb1EEEEDaS1L_S1M_EUlS1L_E_NS1_11comp_targetILNS1_3genE2ELNS1_11target_archE906ELNS1_3gpuE6ELNS1_3repE0EEENS1_30default_config_static_selectorELNS0_4arch9wavefront6targetE0EEEvSZ_.num_agpr, 0
	.set _ZN7rocprim17ROCPRIM_400000_NS6detail17trampoline_kernelINS0_13select_configILj256ELj13ELNS0_17block_load_methodE3ELS4_3ELS4_3ELNS0_20block_scan_algorithmE0ELj4294967295EEENS1_25partition_config_selectorILNS1_17partition_subalgoE3EjNS0_10empty_typeEbEEZZNS1_14partition_implILS8_3ELb0ES6_jNS0_17counting_iteratorIjlEEPS9_SE_NS0_5tupleIJPjSE_EEENSF_IJSE_SE_EEES9_SG_JZNS1_25segmented_radix_sort_implINS0_14default_configELb0EPK6__halfPSL_PKlPlN2at6native12_GLOBAL__N_18offset_tEEE10hipError_tPvRmT1_PNSt15iterator_traitsISZ_E10value_typeET2_T3_PNS10_IS15_E10value_typeET4_jRbjT5_S1B_jjP12ihipStream_tbEUljE_EEESW_SX_SY_S15_S19_S1B_T6_T7_T9_mT8_S1D_bDpT10_ENKUlT_T0_E_clISt17integral_constantIbLb0EES1P_IbLb1EEEEDaS1L_S1M_EUlS1L_E_NS1_11comp_targetILNS1_3genE2ELNS1_11target_archE906ELNS1_3gpuE6ELNS1_3repE0EEENS1_30default_config_static_selectorELNS0_4arch9wavefront6targetE0EEEvSZ_.numbered_sgpr, 0
	.set _ZN7rocprim17ROCPRIM_400000_NS6detail17trampoline_kernelINS0_13select_configILj256ELj13ELNS0_17block_load_methodE3ELS4_3ELS4_3ELNS0_20block_scan_algorithmE0ELj4294967295EEENS1_25partition_config_selectorILNS1_17partition_subalgoE3EjNS0_10empty_typeEbEEZZNS1_14partition_implILS8_3ELb0ES6_jNS0_17counting_iteratorIjlEEPS9_SE_NS0_5tupleIJPjSE_EEENSF_IJSE_SE_EEES9_SG_JZNS1_25segmented_radix_sort_implINS0_14default_configELb0EPK6__halfPSL_PKlPlN2at6native12_GLOBAL__N_18offset_tEEE10hipError_tPvRmT1_PNSt15iterator_traitsISZ_E10value_typeET2_T3_PNS10_IS15_E10value_typeET4_jRbjT5_S1B_jjP12ihipStream_tbEUljE_EEESW_SX_SY_S15_S19_S1B_T6_T7_T9_mT8_S1D_bDpT10_ENKUlT_T0_E_clISt17integral_constantIbLb0EES1P_IbLb1EEEEDaS1L_S1M_EUlS1L_E_NS1_11comp_targetILNS1_3genE2ELNS1_11target_archE906ELNS1_3gpuE6ELNS1_3repE0EEENS1_30default_config_static_selectorELNS0_4arch9wavefront6targetE0EEEvSZ_.num_named_barrier, 0
	.set _ZN7rocprim17ROCPRIM_400000_NS6detail17trampoline_kernelINS0_13select_configILj256ELj13ELNS0_17block_load_methodE3ELS4_3ELS4_3ELNS0_20block_scan_algorithmE0ELj4294967295EEENS1_25partition_config_selectorILNS1_17partition_subalgoE3EjNS0_10empty_typeEbEEZZNS1_14partition_implILS8_3ELb0ES6_jNS0_17counting_iteratorIjlEEPS9_SE_NS0_5tupleIJPjSE_EEENSF_IJSE_SE_EEES9_SG_JZNS1_25segmented_radix_sort_implINS0_14default_configELb0EPK6__halfPSL_PKlPlN2at6native12_GLOBAL__N_18offset_tEEE10hipError_tPvRmT1_PNSt15iterator_traitsISZ_E10value_typeET2_T3_PNS10_IS15_E10value_typeET4_jRbjT5_S1B_jjP12ihipStream_tbEUljE_EEESW_SX_SY_S15_S19_S1B_T6_T7_T9_mT8_S1D_bDpT10_ENKUlT_T0_E_clISt17integral_constantIbLb0EES1P_IbLb1EEEEDaS1L_S1M_EUlS1L_E_NS1_11comp_targetILNS1_3genE2ELNS1_11target_archE906ELNS1_3gpuE6ELNS1_3repE0EEENS1_30default_config_static_selectorELNS0_4arch9wavefront6targetE0EEEvSZ_.private_seg_size, 0
	.set _ZN7rocprim17ROCPRIM_400000_NS6detail17trampoline_kernelINS0_13select_configILj256ELj13ELNS0_17block_load_methodE3ELS4_3ELS4_3ELNS0_20block_scan_algorithmE0ELj4294967295EEENS1_25partition_config_selectorILNS1_17partition_subalgoE3EjNS0_10empty_typeEbEEZZNS1_14partition_implILS8_3ELb0ES6_jNS0_17counting_iteratorIjlEEPS9_SE_NS0_5tupleIJPjSE_EEENSF_IJSE_SE_EEES9_SG_JZNS1_25segmented_radix_sort_implINS0_14default_configELb0EPK6__halfPSL_PKlPlN2at6native12_GLOBAL__N_18offset_tEEE10hipError_tPvRmT1_PNSt15iterator_traitsISZ_E10value_typeET2_T3_PNS10_IS15_E10value_typeET4_jRbjT5_S1B_jjP12ihipStream_tbEUljE_EEESW_SX_SY_S15_S19_S1B_T6_T7_T9_mT8_S1D_bDpT10_ENKUlT_T0_E_clISt17integral_constantIbLb0EES1P_IbLb1EEEEDaS1L_S1M_EUlS1L_E_NS1_11comp_targetILNS1_3genE2ELNS1_11target_archE906ELNS1_3gpuE6ELNS1_3repE0EEENS1_30default_config_static_selectorELNS0_4arch9wavefront6targetE0EEEvSZ_.uses_vcc, 0
	.set _ZN7rocprim17ROCPRIM_400000_NS6detail17trampoline_kernelINS0_13select_configILj256ELj13ELNS0_17block_load_methodE3ELS4_3ELS4_3ELNS0_20block_scan_algorithmE0ELj4294967295EEENS1_25partition_config_selectorILNS1_17partition_subalgoE3EjNS0_10empty_typeEbEEZZNS1_14partition_implILS8_3ELb0ES6_jNS0_17counting_iteratorIjlEEPS9_SE_NS0_5tupleIJPjSE_EEENSF_IJSE_SE_EEES9_SG_JZNS1_25segmented_radix_sort_implINS0_14default_configELb0EPK6__halfPSL_PKlPlN2at6native12_GLOBAL__N_18offset_tEEE10hipError_tPvRmT1_PNSt15iterator_traitsISZ_E10value_typeET2_T3_PNS10_IS15_E10value_typeET4_jRbjT5_S1B_jjP12ihipStream_tbEUljE_EEESW_SX_SY_S15_S19_S1B_T6_T7_T9_mT8_S1D_bDpT10_ENKUlT_T0_E_clISt17integral_constantIbLb0EES1P_IbLb1EEEEDaS1L_S1M_EUlS1L_E_NS1_11comp_targetILNS1_3genE2ELNS1_11target_archE906ELNS1_3gpuE6ELNS1_3repE0EEENS1_30default_config_static_selectorELNS0_4arch9wavefront6targetE0EEEvSZ_.uses_flat_scratch, 0
	.set _ZN7rocprim17ROCPRIM_400000_NS6detail17trampoline_kernelINS0_13select_configILj256ELj13ELNS0_17block_load_methodE3ELS4_3ELS4_3ELNS0_20block_scan_algorithmE0ELj4294967295EEENS1_25partition_config_selectorILNS1_17partition_subalgoE3EjNS0_10empty_typeEbEEZZNS1_14partition_implILS8_3ELb0ES6_jNS0_17counting_iteratorIjlEEPS9_SE_NS0_5tupleIJPjSE_EEENSF_IJSE_SE_EEES9_SG_JZNS1_25segmented_radix_sort_implINS0_14default_configELb0EPK6__halfPSL_PKlPlN2at6native12_GLOBAL__N_18offset_tEEE10hipError_tPvRmT1_PNSt15iterator_traitsISZ_E10value_typeET2_T3_PNS10_IS15_E10value_typeET4_jRbjT5_S1B_jjP12ihipStream_tbEUljE_EEESW_SX_SY_S15_S19_S1B_T6_T7_T9_mT8_S1D_bDpT10_ENKUlT_T0_E_clISt17integral_constantIbLb0EES1P_IbLb1EEEEDaS1L_S1M_EUlS1L_E_NS1_11comp_targetILNS1_3genE2ELNS1_11target_archE906ELNS1_3gpuE6ELNS1_3repE0EEENS1_30default_config_static_selectorELNS0_4arch9wavefront6targetE0EEEvSZ_.has_dyn_sized_stack, 0
	.set _ZN7rocprim17ROCPRIM_400000_NS6detail17trampoline_kernelINS0_13select_configILj256ELj13ELNS0_17block_load_methodE3ELS4_3ELS4_3ELNS0_20block_scan_algorithmE0ELj4294967295EEENS1_25partition_config_selectorILNS1_17partition_subalgoE3EjNS0_10empty_typeEbEEZZNS1_14partition_implILS8_3ELb0ES6_jNS0_17counting_iteratorIjlEEPS9_SE_NS0_5tupleIJPjSE_EEENSF_IJSE_SE_EEES9_SG_JZNS1_25segmented_radix_sort_implINS0_14default_configELb0EPK6__halfPSL_PKlPlN2at6native12_GLOBAL__N_18offset_tEEE10hipError_tPvRmT1_PNSt15iterator_traitsISZ_E10value_typeET2_T3_PNS10_IS15_E10value_typeET4_jRbjT5_S1B_jjP12ihipStream_tbEUljE_EEESW_SX_SY_S15_S19_S1B_T6_T7_T9_mT8_S1D_bDpT10_ENKUlT_T0_E_clISt17integral_constantIbLb0EES1P_IbLb1EEEEDaS1L_S1M_EUlS1L_E_NS1_11comp_targetILNS1_3genE2ELNS1_11target_archE906ELNS1_3gpuE6ELNS1_3repE0EEENS1_30default_config_static_selectorELNS0_4arch9wavefront6targetE0EEEvSZ_.has_recursion, 0
	.set _ZN7rocprim17ROCPRIM_400000_NS6detail17trampoline_kernelINS0_13select_configILj256ELj13ELNS0_17block_load_methodE3ELS4_3ELS4_3ELNS0_20block_scan_algorithmE0ELj4294967295EEENS1_25partition_config_selectorILNS1_17partition_subalgoE3EjNS0_10empty_typeEbEEZZNS1_14partition_implILS8_3ELb0ES6_jNS0_17counting_iteratorIjlEEPS9_SE_NS0_5tupleIJPjSE_EEENSF_IJSE_SE_EEES9_SG_JZNS1_25segmented_radix_sort_implINS0_14default_configELb0EPK6__halfPSL_PKlPlN2at6native12_GLOBAL__N_18offset_tEEE10hipError_tPvRmT1_PNSt15iterator_traitsISZ_E10value_typeET2_T3_PNS10_IS15_E10value_typeET4_jRbjT5_S1B_jjP12ihipStream_tbEUljE_EEESW_SX_SY_S15_S19_S1B_T6_T7_T9_mT8_S1D_bDpT10_ENKUlT_T0_E_clISt17integral_constantIbLb0EES1P_IbLb1EEEEDaS1L_S1M_EUlS1L_E_NS1_11comp_targetILNS1_3genE2ELNS1_11target_archE906ELNS1_3gpuE6ELNS1_3repE0EEENS1_30default_config_static_selectorELNS0_4arch9wavefront6targetE0EEEvSZ_.has_indirect_call, 0
	.section	.AMDGPU.csdata,"",@progbits
; Kernel info:
; codeLenInByte = 0
; TotalNumSgprs: 0
; NumVgprs: 0
; ScratchSize: 0
; MemoryBound: 0
; FloatMode: 240
; IeeeMode: 1
; LDSByteSize: 0 bytes/workgroup (compile time only)
; SGPRBlocks: 0
; VGPRBlocks: 0
; NumSGPRsForWavesPerEU: 1
; NumVGPRsForWavesPerEU: 1
; NamedBarCnt: 0
; Occupancy: 16
; WaveLimiterHint : 0
; COMPUTE_PGM_RSRC2:SCRATCH_EN: 0
; COMPUTE_PGM_RSRC2:USER_SGPR: 2
; COMPUTE_PGM_RSRC2:TRAP_HANDLER: 0
; COMPUTE_PGM_RSRC2:TGID_X_EN: 1
; COMPUTE_PGM_RSRC2:TGID_Y_EN: 0
; COMPUTE_PGM_RSRC2:TGID_Z_EN: 0
; COMPUTE_PGM_RSRC2:TIDIG_COMP_CNT: 0
	.section	.text._ZN7rocprim17ROCPRIM_400000_NS6detail17trampoline_kernelINS0_13select_configILj256ELj13ELNS0_17block_load_methodE3ELS4_3ELS4_3ELNS0_20block_scan_algorithmE0ELj4294967295EEENS1_25partition_config_selectorILNS1_17partition_subalgoE3EjNS0_10empty_typeEbEEZZNS1_14partition_implILS8_3ELb0ES6_jNS0_17counting_iteratorIjlEEPS9_SE_NS0_5tupleIJPjSE_EEENSF_IJSE_SE_EEES9_SG_JZNS1_25segmented_radix_sort_implINS0_14default_configELb0EPK6__halfPSL_PKlPlN2at6native12_GLOBAL__N_18offset_tEEE10hipError_tPvRmT1_PNSt15iterator_traitsISZ_E10value_typeET2_T3_PNS10_IS15_E10value_typeET4_jRbjT5_S1B_jjP12ihipStream_tbEUljE_EEESW_SX_SY_S15_S19_S1B_T6_T7_T9_mT8_S1D_bDpT10_ENKUlT_T0_E_clISt17integral_constantIbLb0EES1P_IbLb1EEEEDaS1L_S1M_EUlS1L_E_NS1_11comp_targetILNS1_3genE10ELNS1_11target_archE1200ELNS1_3gpuE4ELNS1_3repE0EEENS1_30default_config_static_selectorELNS0_4arch9wavefront6targetE0EEEvSZ_,"axG",@progbits,_ZN7rocprim17ROCPRIM_400000_NS6detail17trampoline_kernelINS0_13select_configILj256ELj13ELNS0_17block_load_methodE3ELS4_3ELS4_3ELNS0_20block_scan_algorithmE0ELj4294967295EEENS1_25partition_config_selectorILNS1_17partition_subalgoE3EjNS0_10empty_typeEbEEZZNS1_14partition_implILS8_3ELb0ES6_jNS0_17counting_iteratorIjlEEPS9_SE_NS0_5tupleIJPjSE_EEENSF_IJSE_SE_EEES9_SG_JZNS1_25segmented_radix_sort_implINS0_14default_configELb0EPK6__halfPSL_PKlPlN2at6native12_GLOBAL__N_18offset_tEEE10hipError_tPvRmT1_PNSt15iterator_traitsISZ_E10value_typeET2_T3_PNS10_IS15_E10value_typeET4_jRbjT5_S1B_jjP12ihipStream_tbEUljE_EEESW_SX_SY_S15_S19_S1B_T6_T7_T9_mT8_S1D_bDpT10_ENKUlT_T0_E_clISt17integral_constantIbLb0EES1P_IbLb1EEEEDaS1L_S1M_EUlS1L_E_NS1_11comp_targetILNS1_3genE10ELNS1_11target_archE1200ELNS1_3gpuE4ELNS1_3repE0EEENS1_30default_config_static_selectorELNS0_4arch9wavefront6targetE0EEEvSZ_,comdat
	.globl	_ZN7rocprim17ROCPRIM_400000_NS6detail17trampoline_kernelINS0_13select_configILj256ELj13ELNS0_17block_load_methodE3ELS4_3ELS4_3ELNS0_20block_scan_algorithmE0ELj4294967295EEENS1_25partition_config_selectorILNS1_17partition_subalgoE3EjNS0_10empty_typeEbEEZZNS1_14partition_implILS8_3ELb0ES6_jNS0_17counting_iteratorIjlEEPS9_SE_NS0_5tupleIJPjSE_EEENSF_IJSE_SE_EEES9_SG_JZNS1_25segmented_radix_sort_implINS0_14default_configELb0EPK6__halfPSL_PKlPlN2at6native12_GLOBAL__N_18offset_tEEE10hipError_tPvRmT1_PNSt15iterator_traitsISZ_E10value_typeET2_T3_PNS10_IS15_E10value_typeET4_jRbjT5_S1B_jjP12ihipStream_tbEUljE_EEESW_SX_SY_S15_S19_S1B_T6_T7_T9_mT8_S1D_bDpT10_ENKUlT_T0_E_clISt17integral_constantIbLb0EES1P_IbLb1EEEEDaS1L_S1M_EUlS1L_E_NS1_11comp_targetILNS1_3genE10ELNS1_11target_archE1200ELNS1_3gpuE4ELNS1_3repE0EEENS1_30default_config_static_selectorELNS0_4arch9wavefront6targetE0EEEvSZ_ ; -- Begin function _ZN7rocprim17ROCPRIM_400000_NS6detail17trampoline_kernelINS0_13select_configILj256ELj13ELNS0_17block_load_methodE3ELS4_3ELS4_3ELNS0_20block_scan_algorithmE0ELj4294967295EEENS1_25partition_config_selectorILNS1_17partition_subalgoE3EjNS0_10empty_typeEbEEZZNS1_14partition_implILS8_3ELb0ES6_jNS0_17counting_iteratorIjlEEPS9_SE_NS0_5tupleIJPjSE_EEENSF_IJSE_SE_EEES9_SG_JZNS1_25segmented_radix_sort_implINS0_14default_configELb0EPK6__halfPSL_PKlPlN2at6native12_GLOBAL__N_18offset_tEEE10hipError_tPvRmT1_PNSt15iterator_traitsISZ_E10value_typeET2_T3_PNS10_IS15_E10value_typeET4_jRbjT5_S1B_jjP12ihipStream_tbEUljE_EEESW_SX_SY_S15_S19_S1B_T6_T7_T9_mT8_S1D_bDpT10_ENKUlT_T0_E_clISt17integral_constantIbLb0EES1P_IbLb1EEEEDaS1L_S1M_EUlS1L_E_NS1_11comp_targetILNS1_3genE10ELNS1_11target_archE1200ELNS1_3gpuE4ELNS1_3repE0EEENS1_30default_config_static_selectorELNS0_4arch9wavefront6targetE0EEEvSZ_
	.p2align	8
	.type	_ZN7rocprim17ROCPRIM_400000_NS6detail17trampoline_kernelINS0_13select_configILj256ELj13ELNS0_17block_load_methodE3ELS4_3ELS4_3ELNS0_20block_scan_algorithmE0ELj4294967295EEENS1_25partition_config_selectorILNS1_17partition_subalgoE3EjNS0_10empty_typeEbEEZZNS1_14partition_implILS8_3ELb0ES6_jNS0_17counting_iteratorIjlEEPS9_SE_NS0_5tupleIJPjSE_EEENSF_IJSE_SE_EEES9_SG_JZNS1_25segmented_radix_sort_implINS0_14default_configELb0EPK6__halfPSL_PKlPlN2at6native12_GLOBAL__N_18offset_tEEE10hipError_tPvRmT1_PNSt15iterator_traitsISZ_E10value_typeET2_T3_PNS10_IS15_E10value_typeET4_jRbjT5_S1B_jjP12ihipStream_tbEUljE_EEESW_SX_SY_S15_S19_S1B_T6_T7_T9_mT8_S1D_bDpT10_ENKUlT_T0_E_clISt17integral_constantIbLb0EES1P_IbLb1EEEEDaS1L_S1M_EUlS1L_E_NS1_11comp_targetILNS1_3genE10ELNS1_11target_archE1200ELNS1_3gpuE4ELNS1_3repE0EEENS1_30default_config_static_selectorELNS0_4arch9wavefront6targetE0EEEvSZ_,@function
_ZN7rocprim17ROCPRIM_400000_NS6detail17trampoline_kernelINS0_13select_configILj256ELj13ELNS0_17block_load_methodE3ELS4_3ELS4_3ELNS0_20block_scan_algorithmE0ELj4294967295EEENS1_25partition_config_selectorILNS1_17partition_subalgoE3EjNS0_10empty_typeEbEEZZNS1_14partition_implILS8_3ELb0ES6_jNS0_17counting_iteratorIjlEEPS9_SE_NS0_5tupleIJPjSE_EEENSF_IJSE_SE_EEES9_SG_JZNS1_25segmented_radix_sort_implINS0_14default_configELb0EPK6__halfPSL_PKlPlN2at6native12_GLOBAL__N_18offset_tEEE10hipError_tPvRmT1_PNSt15iterator_traitsISZ_E10value_typeET2_T3_PNS10_IS15_E10value_typeET4_jRbjT5_S1B_jjP12ihipStream_tbEUljE_EEESW_SX_SY_S15_S19_S1B_T6_T7_T9_mT8_S1D_bDpT10_ENKUlT_T0_E_clISt17integral_constantIbLb0EES1P_IbLb1EEEEDaS1L_S1M_EUlS1L_E_NS1_11comp_targetILNS1_3genE10ELNS1_11target_archE1200ELNS1_3gpuE4ELNS1_3repE0EEENS1_30default_config_static_selectorELNS0_4arch9wavefront6targetE0EEEvSZ_: ; @_ZN7rocprim17ROCPRIM_400000_NS6detail17trampoline_kernelINS0_13select_configILj256ELj13ELNS0_17block_load_methodE3ELS4_3ELS4_3ELNS0_20block_scan_algorithmE0ELj4294967295EEENS1_25partition_config_selectorILNS1_17partition_subalgoE3EjNS0_10empty_typeEbEEZZNS1_14partition_implILS8_3ELb0ES6_jNS0_17counting_iteratorIjlEEPS9_SE_NS0_5tupleIJPjSE_EEENSF_IJSE_SE_EEES9_SG_JZNS1_25segmented_radix_sort_implINS0_14default_configELb0EPK6__halfPSL_PKlPlN2at6native12_GLOBAL__N_18offset_tEEE10hipError_tPvRmT1_PNSt15iterator_traitsISZ_E10value_typeET2_T3_PNS10_IS15_E10value_typeET4_jRbjT5_S1B_jjP12ihipStream_tbEUljE_EEESW_SX_SY_S15_S19_S1B_T6_T7_T9_mT8_S1D_bDpT10_ENKUlT_T0_E_clISt17integral_constantIbLb0EES1P_IbLb1EEEEDaS1L_S1M_EUlS1L_E_NS1_11comp_targetILNS1_3genE10ELNS1_11target_archE1200ELNS1_3gpuE4ELNS1_3repE0EEENS1_30default_config_static_selectorELNS0_4arch9wavefront6targetE0EEEvSZ_
; %bb.0:
	.section	.rodata,"a",@progbits
	.p2align	6, 0x0
	.amdhsa_kernel _ZN7rocprim17ROCPRIM_400000_NS6detail17trampoline_kernelINS0_13select_configILj256ELj13ELNS0_17block_load_methodE3ELS4_3ELS4_3ELNS0_20block_scan_algorithmE0ELj4294967295EEENS1_25partition_config_selectorILNS1_17partition_subalgoE3EjNS0_10empty_typeEbEEZZNS1_14partition_implILS8_3ELb0ES6_jNS0_17counting_iteratorIjlEEPS9_SE_NS0_5tupleIJPjSE_EEENSF_IJSE_SE_EEES9_SG_JZNS1_25segmented_radix_sort_implINS0_14default_configELb0EPK6__halfPSL_PKlPlN2at6native12_GLOBAL__N_18offset_tEEE10hipError_tPvRmT1_PNSt15iterator_traitsISZ_E10value_typeET2_T3_PNS10_IS15_E10value_typeET4_jRbjT5_S1B_jjP12ihipStream_tbEUljE_EEESW_SX_SY_S15_S19_S1B_T6_T7_T9_mT8_S1D_bDpT10_ENKUlT_T0_E_clISt17integral_constantIbLb0EES1P_IbLb1EEEEDaS1L_S1M_EUlS1L_E_NS1_11comp_targetILNS1_3genE10ELNS1_11target_archE1200ELNS1_3gpuE4ELNS1_3repE0EEENS1_30default_config_static_selectorELNS0_4arch9wavefront6targetE0EEEvSZ_
		.amdhsa_group_segment_fixed_size 0
		.amdhsa_private_segment_fixed_size 0
		.amdhsa_kernarg_size 152
		.amdhsa_user_sgpr_count 2
		.amdhsa_user_sgpr_dispatch_ptr 0
		.amdhsa_user_sgpr_queue_ptr 0
		.amdhsa_user_sgpr_kernarg_segment_ptr 1
		.amdhsa_user_sgpr_dispatch_id 0
		.amdhsa_user_sgpr_kernarg_preload_length 0
		.amdhsa_user_sgpr_kernarg_preload_offset 0
		.amdhsa_user_sgpr_private_segment_size 0
		.amdhsa_wavefront_size32 1
		.amdhsa_uses_dynamic_stack 0
		.amdhsa_enable_private_segment 0
		.amdhsa_system_sgpr_workgroup_id_x 1
		.amdhsa_system_sgpr_workgroup_id_y 0
		.amdhsa_system_sgpr_workgroup_id_z 0
		.amdhsa_system_sgpr_workgroup_info 0
		.amdhsa_system_vgpr_workitem_id 0
		.amdhsa_next_free_vgpr 1
		.amdhsa_next_free_sgpr 1
		.amdhsa_named_barrier_count 0
		.amdhsa_reserve_vcc 0
		.amdhsa_float_round_mode_32 0
		.amdhsa_float_round_mode_16_64 0
		.amdhsa_float_denorm_mode_32 3
		.amdhsa_float_denorm_mode_16_64 3
		.amdhsa_fp16_overflow 0
		.amdhsa_memory_ordered 1
		.amdhsa_forward_progress 1
		.amdhsa_inst_pref_size 0
		.amdhsa_round_robin_scheduling 0
		.amdhsa_exception_fp_ieee_invalid_op 0
		.amdhsa_exception_fp_denorm_src 0
		.amdhsa_exception_fp_ieee_div_zero 0
		.amdhsa_exception_fp_ieee_overflow 0
		.amdhsa_exception_fp_ieee_underflow 0
		.amdhsa_exception_fp_ieee_inexact 0
		.amdhsa_exception_int_div_zero 0
	.end_amdhsa_kernel
	.section	.text._ZN7rocprim17ROCPRIM_400000_NS6detail17trampoline_kernelINS0_13select_configILj256ELj13ELNS0_17block_load_methodE3ELS4_3ELS4_3ELNS0_20block_scan_algorithmE0ELj4294967295EEENS1_25partition_config_selectorILNS1_17partition_subalgoE3EjNS0_10empty_typeEbEEZZNS1_14partition_implILS8_3ELb0ES6_jNS0_17counting_iteratorIjlEEPS9_SE_NS0_5tupleIJPjSE_EEENSF_IJSE_SE_EEES9_SG_JZNS1_25segmented_radix_sort_implINS0_14default_configELb0EPK6__halfPSL_PKlPlN2at6native12_GLOBAL__N_18offset_tEEE10hipError_tPvRmT1_PNSt15iterator_traitsISZ_E10value_typeET2_T3_PNS10_IS15_E10value_typeET4_jRbjT5_S1B_jjP12ihipStream_tbEUljE_EEESW_SX_SY_S15_S19_S1B_T6_T7_T9_mT8_S1D_bDpT10_ENKUlT_T0_E_clISt17integral_constantIbLb0EES1P_IbLb1EEEEDaS1L_S1M_EUlS1L_E_NS1_11comp_targetILNS1_3genE10ELNS1_11target_archE1200ELNS1_3gpuE4ELNS1_3repE0EEENS1_30default_config_static_selectorELNS0_4arch9wavefront6targetE0EEEvSZ_,"axG",@progbits,_ZN7rocprim17ROCPRIM_400000_NS6detail17trampoline_kernelINS0_13select_configILj256ELj13ELNS0_17block_load_methodE3ELS4_3ELS4_3ELNS0_20block_scan_algorithmE0ELj4294967295EEENS1_25partition_config_selectorILNS1_17partition_subalgoE3EjNS0_10empty_typeEbEEZZNS1_14partition_implILS8_3ELb0ES6_jNS0_17counting_iteratorIjlEEPS9_SE_NS0_5tupleIJPjSE_EEENSF_IJSE_SE_EEES9_SG_JZNS1_25segmented_radix_sort_implINS0_14default_configELb0EPK6__halfPSL_PKlPlN2at6native12_GLOBAL__N_18offset_tEEE10hipError_tPvRmT1_PNSt15iterator_traitsISZ_E10value_typeET2_T3_PNS10_IS15_E10value_typeET4_jRbjT5_S1B_jjP12ihipStream_tbEUljE_EEESW_SX_SY_S15_S19_S1B_T6_T7_T9_mT8_S1D_bDpT10_ENKUlT_T0_E_clISt17integral_constantIbLb0EES1P_IbLb1EEEEDaS1L_S1M_EUlS1L_E_NS1_11comp_targetILNS1_3genE10ELNS1_11target_archE1200ELNS1_3gpuE4ELNS1_3repE0EEENS1_30default_config_static_selectorELNS0_4arch9wavefront6targetE0EEEvSZ_,comdat
.Lfunc_end1829:
	.size	_ZN7rocprim17ROCPRIM_400000_NS6detail17trampoline_kernelINS0_13select_configILj256ELj13ELNS0_17block_load_methodE3ELS4_3ELS4_3ELNS0_20block_scan_algorithmE0ELj4294967295EEENS1_25partition_config_selectorILNS1_17partition_subalgoE3EjNS0_10empty_typeEbEEZZNS1_14partition_implILS8_3ELb0ES6_jNS0_17counting_iteratorIjlEEPS9_SE_NS0_5tupleIJPjSE_EEENSF_IJSE_SE_EEES9_SG_JZNS1_25segmented_radix_sort_implINS0_14default_configELb0EPK6__halfPSL_PKlPlN2at6native12_GLOBAL__N_18offset_tEEE10hipError_tPvRmT1_PNSt15iterator_traitsISZ_E10value_typeET2_T3_PNS10_IS15_E10value_typeET4_jRbjT5_S1B_jjP12ihipStream_tbEUljE_EEESW_SX_SY_S15_S19_S1B_T6_T7_T9_mT8_S1D_bDpT10_ENKUlT_T0_E_clISt17integral_constantIbLb0EES1P_IbLb1EEEEDaS1L_S1M_EUlS1L_E_NS1_11comp_targetILNS1_3genE10ELNS1_11target_archE1200ELNS1_3gpuE4ELNS1_3repE0EEENS1_30default_config_static_selectorELNS0_4arch9wavefront6targetE0EEEvSZ_, .Lfunc_end1829-_ZN7rocprim17ROCPRIM_400000_NS6detail17trampoline_kernelINS0_13select_configILj256ELj13ELNS0_17block_load_methodE3ELS4_3ELS4_3ELNS0_20block_scan_algorithmE0ELj4294967295EEENS1_25partition_config_selectorILNS1_17partition_subalgoE3EjNS0_10empty_typeEbEEZZNS1_14partition_implILS8_3ELb0ES6_jNS0_17counting_iteratorIjlEEPS9_SE_NS0_5tupleIJPjSE_EEENSF_IJSE_SE_EEES9_SG_JZNS1_25segmented_radix_sort_implINS0_14default_configELb0EPK6__halfPSL_PKlPlN2at6native12_GLOBAL__N_18offset_tEEE10hipError_tPvRmT1_PNSt15iterator_traitsISZ_E10value_typeET2_T3_PNS10_IS15_E10value_typeET4_jRbjT5_S1B_jjP12ihipStream_tbEUljE_EEESW_SX_SY_S15_S19_S1B_T6_T7_T9_mT8_S1D_bDpT10_ENKUlT_T0_E_clISt17integral_constantIbLb0EES1P_IbLb1EEEEDaS1L_S1M_EUlS1L_E_NS1_11comp_targetILNS1_3genE10ELNS1_11target_archE1200ELNS1_3gpuE4ELNS1_3repE0EEENS1_30default_config_static_selectorELNS0_4arch9wavefront6targetE0EEEvSZ_
                                        ; -- End function
	.set _ZN7rocprim17ROCPRIM_400000_NS6detail17trampoline_kernelINS0_13select_configILj256ELj13ELNS0_17block_load_methodE3ELS4_3ELS4_3ELNS0_20block_scan_algorithmE0ELj4294967295EEENS1_25partition_config_selectorILNS1_17partition_subalgoE3EjNS0_10empty_typeEbEEZZNS1_14partition_implILS8_3ELb0ES6_jNS0_17counting_iteratorIjlEEPS9_SE_NS0_5tupleIJPjSE_EEENSF_IJSE_SE_EEES9_SG_JZNS1_25segmented_radix_sort_implINS0_14default_configELb0EPK6__halfPSL_PKlPlN2at6native12_GLOBAL__N_18offset_tEEE10hipError_tPvRmT1_PNSt15iterator_traitsISZ_E10value_typeET2_T3_PNS10_IS15_E10value_typeET4_jRbjT5_S1B_jjP12ihipStream_tbEUljE_EEESW_SX_SY_S15_S19_S1B_T6_T7_T9_mT8_S1D_bDpT10_ENKUlT_T0_E_clISt17integral_constantIbLb0EES1P_IbLb1EEEEDaS1L_S1M_EUlS1L_E_NS1_11comp_targetILNS1_3genE10ELNS1_11target_archE1200ELNS1_3gpuE4ELNS1_3repE0EEENS1_30default_config_static_selectorELNS0_4arch9wavefront6targetE0EEEvSZ_.num_vgpr, 0
	.set _ZN7rocprim17ROCPRIM_400000_NS6detail17trampoline_kernelINS0_13select_configILj256ELj13ELNS0_17block_load_methodE3ELS4_3ELS4_3ELNS0_20block_scan_algorithmE0ELj4294967295EEENS1_25partition_config_selectorILNS1_17partition_subalgoE3EjNS0_10empty_typeEbEEZZNS1_14partition_implILS8_3ELb0ES6_jNS0_17counting_iteratorIjlEEPS9_SE_NS0_5tupleIJPjSE_EEENSF_IJSE_SE_EEES9_SG_JZNS1_25segmented_radix_sort_implINS0_14default_configELb0EPK6__halfPSL_PKlPlN2at6native12_GLOBAL__N_18offset_tEEE10hipError_tPvRmT1_PNSt15iterator_traitsISZ_E10value_typeET2_T3_PNS10_IS15_E10value_typeET4_jRbjT5_S1B_jjP12ihipStream_tbEUljE_EEESW_SX_SY_S15_S19_S1B_T6_T7_T9_mT8_S1D_bDpT10_ENKUlT_T0_E_clISt17integral_constantIbLb0EES1P_IbLb1EEEEDaS1L_S1M_EUlS1L_E_NS1_11comp_targetILNS1_3genE10ELNS1_11target_archE1200ELNS1_3gpuE4ELNS1_3repE0EEENS1_30default_config_static_selectorELNS0_4arch9wavefront6targetE0EEEvSZ_.num_agpr, 0
	.set _ZN7rocprim17ROCPRIM_400000_NS6detail17trampoline_kernelINS0_13select_configILj256ELj13ELNS0_17block_load_methodE3ELS4_3ELS4_3ELNS0_20block_scan_algorithmE0ELj4294967295EEENS1_25partition_config_selectorILNS1_17partition_subalgoE3EjNS0_10empty_typeEbEEZZNS1_14partition_implILS8_3ELb0ES6_jNS0_17counting_iteratorIjlEEPS9_SE_NS0_5tupleIJPjSE_EEENSF_IJSE_SE_EEES9_SG_JZNS1_25segmented_radix_sort_implINS0_14default_configELb0EPK6__halfPSL_PKlPlN2at6native12_GLOBAL__N_18offset_tEEE10hipError_tPvRmT1_PNSt15iterator_traitsISZ_E10value_typeET2_T3_PNS10_IS15_E10value_typeET4_jRbjT5_S1B_jjP12ihipStream_tbEUljE_EEESW_SX_SY_S15_S19_S1B_T6_T7_T9_mT8_S1D_bDpT10_ENKUlT_T0_E_clISt17integral_constantIbLb0EES1P_IbLb1EEEEDaS1L_S1M_EUlS1L_E_NS1_11comp_targetILNS1_3genE10ELNS1_11target_archE1200ELNS1_3gpuE4ELNS1_3repE0EEENS1_30default_config_static_selectorELNS0_4arch9wavefront6targetE0EEEvSZ_.numbered_sgpr, 0
	.set _ZN7rocprim17ROCPRIM_400000_NS6detail17trampoline_kernelINS0_13select_configILj256ELj13ELNS0_17block_load_methodE3ELS4_3ELS4_3ELNS0_20block_scan_algorithmE0ELj4294967295EEENS1_25partition_config_selectorILNS1_17partition_subalgoE3EjNS0_10empty_typeEbEEZZNS1_14partition_implILS8_3ELb0ES6_jNS0_17counting_iteratorIjlEEPS9_SE_NS0_5tupleIJPjSE_EEENSF_IJSE_SE_EEES9_SG_JZNS1_25segmented_radix_sort_implINS0_14default_configELb0EPK6__halfPSL_PKlPlN2at6native12_GLOBAL__N_18offset_tEEE10hipError_tPvRmT1_PNSt15iterator_traitsISZ_E10value_typeET2_T3_PNS10_IS15_E10value_typeET4_jRbjT5_S1B_jjP12ihipStream_tbEUljE_EEESW_SX_SY_S15_S19_S1B_T6_T7_T9_mT8_S1D_bDpT10_ENKUlT_T0_E_clISt17integral_constantIbLb0EES1P_IbLb1EEEEDaS1L_S1M_EUlS1L_E_NS1_11comp_targetILNS1_3genE10ELNS1_11target_archE1200ELNS1_3gpuE4ELNS1_3repE0EEENS1_30default_config_static_selectorELNS0_4arch9wavefront6targetE0EEEvSZ_.num_named_barrier, 0
	.set _ZN7rocprim17ROCPRIM_400000_NS6detail17trampoline_kernelINS0_13select_configILj256ELj13ELNS0_17block_load_methodE3ELS4_3ELS4_3ELNS0_20block_scan_algorithmE0ELj4294967295EEENS1_25partition_config_selectorILNS1_17partition_subalgoE3EjNS0_10empty_typeEbEEZZNS1_14partition_implILS8_3ELb0ES6_jNS0_17counting_iteratorIjlEEPS9_SE_NS0_5tupleIJPjSE_EEENSF_IJSE_SE_EEES9_SG_JZNS1_25segmented_radix_sort_implINS0_14default_configELb0EPK6__halfPSL_PKlPlN2at6native12_GLOBAL__N_18offset_tEEE10hipError_tPvRmT1_PNSt15iterator_traitsISZ_E10value_typeET2_T3_PNS10_IS15_E10value_typeET4_jRbjT5_S1B_jjP12ihipStream_tbEUljE_EEESW_SX_SY_S15_S19_S1B_T6_T7_T9_mT8_S1D_bDpT10_ENKUlT_T0_E_clISt17integral_constantIbLb0EES1P_IbLb1EEEEDaS1L_S1M_EUlS1L_E_NS1_11comp_targetILNS1_3genE10ELNS1_11target_archE1200ELNS1_3gpuE4ELNS1_3repE0EEENS1_30default_config_static_selectorELNS0_4arch9wavefront6targetE0EEEvSZ_.private_seg_size, 0
	.set _ZN7rocprim17ROCPRIM_400000_NS6detail17trampoline_kernelINS0_13select_configILj256ELj13ELNS0_17block_load_methodE3ELS4_3ELS4_3ELNS0_20block_scan_algorithmE0ELj4294967295EEENS1_25partition_config_selectorILNS1_17partition_subalgoE3EjNS0_10empty_typeEbEEZZNS1_14partition_implILS8_3ELb0ES6_jNS0_17counting_iteratorIjlEEPS9_SE_NS0_5tupleIJPjSE_EEENSF_IJSE_SE_EEES9_SG_JZNS1_25segmented_radix_sort_implINS0_14default_configELb0EPK6__halfPSL_PKlPlN2at6native12_GLOBAL__N_18offset_tEEE10hipError_tPvRmT1_PNSt15iterator_traitsISZ_E10value_typeET2_T3_PNS10_IS15_E10value_typeET4_jRbjT5_S1B_jjP12ihipStream_tbEUljE_EEESW_SX_SY_S15_S19_S1B_T6_T7_T9_mT8_S1D_bDpT10_ENKUlT_T0_E_clISt17integral_constantIbLb0EES1P_IbLb1EEEEDaS1L_S1M_EUlS1L_E_NS1_11comp_targetILNS1_3genE10ELNS1_11target_archE1200ELNS1_3gpuE4ELNS1_3repE0EEENS1_30default_config_static_selectorELNS0_4arch9wavefront6targetE0EEEvSZ_.uses_vcc, 0
	.set _ZN7rocprim17ROCPRIM_400000_NS6detail17trampoline_kernelINS0_13select_configILj256ELj13ELNS0_17block_load_methodE3ELS4_3ELS4_3ELNS0_20block_scan_algorithmE0ELj4294967295EEENS1_25partition_config_selectorILNS1_17partition_subalgoE3EjNS0_10empty_typeEbEEZZNS1_14partition_implILS8_3ELb0ES6_jNS0_17counting_iteratorIjlEEPS9_SE_NS0_5tupleIJPjSE_EEENSF_IJSE_SE_EEES9_SG_JZNS1_25segmented_radix_sort_implINS0_14default_configELb0EPK6__halfPSL_PKlPlN2at6native12_GLOBAL__N_18offset_tEEE10hipError_tPvRmT1_PNSt15iterator_traitsISZ_E10value_typeET2_T3_PNS10_IS15_E10value_typeET4_jRbjT5_S1B_jjP12ihipStream_tbEUljE_EEESW_SX_SY_S15_S19_S1B_T6_T7_T9_mT8_S1D_bDpT10_ENKUlT_T0_E_clISt17integral_constantIbLb0EES1P_IbLb1EEEEDaS1L_S1M_EUlS1L_E_NS1_11comp_targetILNS1_3genE10ELNS1_11target_archE1200ELNS1_3gpuE4ELNS1_3repE0EEENS1_30default_config_static_selectorELNS0_4arch9wavefront6targetE0EEEvSZ_.uses_flat_scratch, 0
	.set _ZN7rocprim17ROCPRIM_400000_NS6detail17trampoline_kernelINS0_13select_configILj256ELj13ELNS0_17block_load_methodE3ELS4_3ELS4_3ELNS0_20block_scan_algorithmE0ELj4294967295EEENS1_25partition_config_selectorILNS1_17partition_subalgoE3EjNS0_10empty_typeEbEEZZNS1_14partition_implILS8_3ELb0ES6_jNS0_17counting_iteratorIjlEEPS9_SE_NS0_5tupleIJPjSE_EEENSF_IJSE_SE_EEES9_SG_JZNS1_25segmented_radix_sort_implINS0_14default_configELb0EPK6__halfPSL_PKlPlN2at6native12_GLOBAL__N_18offset_tEEE10hipError_tPvRmT1_PNSt15iterator_traitsISZ_E10value_typeET2_T3_PNS10_IS15_E10value_typeET4_jRbjT5_S1B_jjP12ihipStream_tbEUljE_EEESW_SX_SY_S15_S19_S1B_T6_T7_T9_mT8_S1D_bDpT10_ENKUlT_T0_E_clISt17integral_constantIbLb0EES1P_IbLb1EEEEDaS1L_S1M_EUlS1L_E_NS1_11comp_targetILNS1_3genE10ELNS1_11target_archE1200ELNS1_3gpuE4ELNS1_3repE0EEENS1_30default_config_static_selectorELNS0_4arch9wavefront6targetE0EEEvSZ_.has_dyn_sized_stack, 0
	.set _ZN7rocprim17ROCPRIM_400000_NS6detail17trampoline_kernelINS0_13select_configILj256ELj13ELNS0_17block_load_methodE3ELS4_3ELS4_3ELNS0_20block_scan_algorithmE0ELj4294967295EEENS1_25partition_config_selectorILNS1_17partition_subalgoE3EjNS0_10empty_typeEbEEZZNS1_14partition_implILS8_3ELb0ES6_jNS0_17counting_iteratorIjlEEPS9_SE_NS0_5tupleIJPjSE_EEENSF_IJSE_SE_EEES9_SG_JZNS1_25segmented_radix_sort_implINS0_14default_configELb0EPK6__halfPSL_PKlPlN2at6native12_GLOBAL__N_18offset_tEEE10hipError_tPvRmT1_PNSt15iterator_traitsISZ_E10value_typeET2_T3_PNS10_IS15_E10value_typeET4_jRbjT5_S1B_jjP12ihipStream_tbEUljE_EEESW_SX_SY_S15_S19_S1B_T6_T7_T9_mT8_S1D_bDpT10_ENKUlT_T0_E_clISt17integral_constantIbLb0EES1P_IbLb1EEEEDaS1L_S1M_EUlS1L_E_NS1_11comp_targetILNS1_3genE10ELNS1_11target_archE1200ELNS1_3gpuE4ELNS1_3repE0EEENS1_30default_config_static_selectorELNS0_4arch9wavefront6targetE0EEEvSZ_.has_recursion, 0
	.set _ZN7rocprim17ROCPRIM_400000_NS6detail17trampoline_kernelINS0_13select_configILj256ELj13ELNS0_17block_load_methodE3ELS4_3ELS4_3ELNS0_20block_scan_algorithmE0ELj4294967295EEENS1_25partition_config_selectorILNS1_17partition_subalgoE3EjNS0_10empty_typeEbEEZZNS1_14partition_implILS8_3ELb0ES6_jNS0_17counting_iteratorIjlEEPS9_SE_NS0_5tupleIJPjSE_EEENSF_IJSE_SE_EEES9_SG_JZNS1_25segmented_radix_sort_implINS0_14default_configELb0EPK6__halfPSL_PKlPlN2at6native12_GLOBAL__N_18offset_tEEE10hipError_tPvRmT1_PNSt15iterator_traitsISZ_E10value_typeET2_T3_PNS10_IS15_E10value_typeET4_jRbjT5_S1B_jjP12ihipStream_tbEUljE_EEESW_SX_SY_S15_S19_S1B_T6_T7_T9_mT8_S1D_bDpT10_ENKUlT_T0_E_clISt17integral_constantIbLb0EES1P_IbLb1EEEEDaS1L_S1M_EUlS1L_E_NS1_11comp_targetILNS1_3genE10ELNS1_11target_archE1200ELNS1_3gpuE4ELNS1_3repE0EEENS1_30default_config_static_selectorELNS0_4arch9wavefront6targetE0EEEvSZ_.has_indirect_call, 0
	.section	.AMDGPU.csdata,"",@progbits
; Kernel info:
; codeLenInByte = 0
; TotalNumSgprs: 0
; NumVgprs: 0
; ScratchSize: 0
; MemoryBound: 0
; FloatMode: 240
; IeeeMode: 1
; LDSByteSize: 0 bytes/workgroup (compile time only)
; SGPRBlocks: 0
; VGPRBlocks: 0
; NumSGPRsForWavesPerEU: 1
; NumVGPRsForWavesPerEU: 1
; NamedBarCnt: 0
; Occupancy: 16
; WaveLimiterHint : 0
; COMPUTE_PGM_RSRC2:SCRATCH_EN: 0
; COMPUTE_PGM_RSRC2:USER_SGPR: 2
; COMPUTE_PGM_RSRC2:TRAP_HANDLER: 0
; COMPUTE_PGM_RSRC2:TGID_X_EN: 1
; COMPUTE_PGM_RSRC2:TGID_Y_EN: 0
; COMPUTE_PGM_RSRC2:TGID_Z_EN: 0
; COMPUTE_PGM_RSRC2:TIDIG_COMP_CNT: 0
	.section	.text._ZN7rocprim17ROCPRIM_400000_NS6detail17trampoline_kernelINS0_13select_configILj256ELj13ELNS0_17block_load_methodE3ELS4_3ELS4_3ELNS0_20block_scan_algorithmE0ELj4294967295EEENS1_25partition_config_selectorILNS1_17partition_subalgoE3EjNS0_10empty_typeEbEEZZNS1_14partition_implILS8_3ELb0ES6_jNS0_17counting_iteratorIjlEEPS9_SE_NS0_5tupleIJPjSE_EEENSF_IJSE_SE_EEES9_SG_JZNS1_25segmented_radix_sort_implINS0_14default_configELb0EPK6__halfPSL_PKlPlN2at6native12_GLOBAL__N_18offset_tEEE10hipError_tPvRmT1_PNSt15iterator_traitsISZ_E10value_typeET2_T3_PNS10_IS15_E10value_typeET4_jRbjT5_S1B_jjP12ihipStream_tbEUljE_EEESW_SX_SY_S15_S19_S1B_T6_T7_T9_mT8_S1D_bDpT10_ENKUlT_T0_E_clISt17integral_constantIbLb0EES1P_IbLb1EEEEDaS1L_S1M_EUlS1L_E_NS1_11comp_targetILNS1_3genE9ELNS1_11target_archE1100ELNS1_3gpuE3ELNS1_3repE0EEENS1_30default_config_static_selectorELNS0_4arch9wavefront6targetE0EEEvSZ_,"axG",@progbits,_ZN7rocprim17ROCPRIM_400000_NS6detail17trampoline_kernelINS0_13select_configILj256ELj13ELNS0_17block_load_methodE3ELS4_3ELS4_3ELNS0_20block_scan_algorithmE0ELj4294967295EEENS1_25partition_config_selectorILNS1_17partition_subalgoE3EjNS0_10empty_typeEbEEZZNS1_14partition_implILS8_3ELb0ES6_jNS0_17counting_iteratorIjlEEPS9_SE_NS0_5tupleIJPjSE_EEENSF_IJSE_SE_EEES9_SG_JZNS1_25segmented_radix_sort_implINS0_14default_configELb0EPK6__halfPSL_PKlPlN2at6native12_GLOBAL__N_18offset_tEEE10hipError_tPvRmT1_PNSt15iterator_traitsISZ_E10value_typeET2_T3_PNS10_IS15_E10value_typeET4_jRbjT5_S1B_jjP12ihipStream_tbEUljE_EEESW_SX_SY_S15_S19_S1B_T6_T7_T9_mT8_S1D_bDpT10_ENKUlT_T0_E_clISt17integral_constantIbLb0EES1P_IbLb1EEEEDaS1L_S1M_EUlS1L_E_NS1_11comp_targetILNS1_3genE9ELNS1_11target_archE1100ELNS1_3gpuE3ELNS1_3repE0EEENS1_30default_config_static_selectorELNS0_4arch9wavefront6targetE0EEEvSZ_,comdat
	.globl	_ZN7rocprim17ROCPRIM_400000_NS6detail17trampoline_kernelINS0_13select_configILj256ELj13ELNS0_17block_load_methodE3ELS4_3ELS4_3ELNS0_20block_scan_algorithmE0ELj4294967295EEENS1_25partition_config_selectorILNS1_17partition_subalgoE3EjNS0_10empty_typeEbEEZZNS1_14partition_implILS8_3ELb0ES6_jNS0_17counting_iteratorIjlEEPS9_SE_NS0_5tupleIJPjSE_EEENSF_IJSE_SE_EEES9_SG_JZNS1_25segmented_radix_sort_implINS0_14default_configELb0EPK6__halfPSL_PKlPlN2at6native12_GLOBAL__N_18offset_tEEE10hipError_tPvRmT1_PNSt15iterator_traitsISZ_E10value_typeET2_T3_PNS10_IS15_E10value_typeET4_jRbjT5_S1B_jjP12ihipStream_tbEUljE_EEESW_SX_SY_S15_S19_S1B_T6_T7_T9_mT8_S1D_bDpT10_ENKUlT_T0_E_clISt17integral_constantIbLb0EES1P_IbLb1EEEEDaS1L_S1M_EUlS1L_E_NS1_11comp_targetILNS1_3genE9ELNS1_11target_archE1100ELNS1_3gpuE3ELNS1_3repE0EEENS1_30default_config_static_selectorELNS0_4arch9wavefront6targetE0EEEvSZ_ ; -- Begin function _ZN7rocprim17ROCPRIM_400000_NS6detail17trampoline_kernelINS0_13select_configILj256ELj13ELNS0_17block_load_methodE3ELS4_3ELS4_3ELNS0_20block_scan_algorithmE0ELj4294967295EEENS1_25partition_config_selectorILNS1_17partition_subalgoE3EjNS0_10empty_typeEbEEZZNS1_14partition_implILS8_3ELb0ES6_jNS0_17counting_iteratorIjlEEPS9_SE_NS0_5tupleIJPjSE_EEENSF_IJSE_SE_EEES9_SG_JZNS1_25segmented_radix_sort_implINS0_14default_configELb0EPK6__halfPSL_PKlPlN2at6native12_GLOBAL__N_18offset_tEEE10hipError_tPvRmT1_PNSt15iterator_traitsISZ_E10value_typeET2_T3_PNS10_IS15_E10value_typeET4_jRbjT5_S1B_jjP12ihipStream_tbEUljE_EEESW_SX_SY_S15_S19_S1B_T6_T7_T9_mT8_S1D_bDpT10_ENKUlT_T0_E_clISt17integral_constantIbLb0EES1P_IbLb1EEEEDaS1L_S1M_EUlS1L_E_NS1_11comp_targetILNS1_3genE9ELNS1_11target_archE1100ELNS1_3gpuE3ELNS1_3repE0EEENS1_30default_config_static_selectorELNS0_4arch9wavefront6targetE0EEEvSZ_
	.p2align	8
	.type	_ZN7rocprim17ROCPRIM_400000_NS6detail17trampoline_kernelINS0_13select_configILj256ELj13ELNS0_17block_load_methodE3ELS4_3ELS4_3ELNS0_20block_scan_algorithmE0ELj4294967295EEENS1_25partition_config_selectorILNS1_17partition_subalgoE3EjNS0_10empty_typeEbEEZZNS1_14partition_implILS8_3ELb0ES6_jNS0_17counting_iteratorIjlEEPS9_SE_NS0_5tupleIJPjSE_EEENSF_IJSE_SE_EEES9_SG_JZNS1_25segmented_radix_sort_implINS0_14default_configELb0EPK6__halfPSL_PKlPlN2at6native12_GLOBAL__N_18offset_tEEE10hipError_tPvRmT1_PNSt15iterator_traitsISZ_E10value_typeET2_T3_PNS10_IS15_E10value_typeET4_jRbjT5_S1B_jjP12ihipStream_tbEUljE_EEESW_SX_SY_S15_S19_S1B_T6_T7_T9_mT8_S1D_bDpT10_ENKUlT_T0_E_clISt17integral_constantIbLb0EES1P_IbLb1EEEEDaS1L_S1M_EUlS1L_E_NS1_11comp_targetILNS1_3genE9ELNS1_11target_archE1100ELNS1_3gpuE3ELNS1_3repE0EEENS1_30default_config_static_selectorELNS0_4arch9wavefront6targetE0EEEvSZ_,@function
_ZN7rocprim17ROCPRIM_400000_NS6detail17trampoline_kernelINS0_13select_configILj256ELj13ELNS0_17block_load_methodE3ELS4_3ELS4_3ELNS0_20block_scan_algorithmE0ELj4294967295EEENS1_25partition_config_selectorILNS1_17partition_subalgoE3EjNS0_10empty_typeEbEEZZNS1_14partition_implILS8_3ELb0ES6_jNS0_17counting_iteratorIjlEEPS9_SE_NS0_5tupleIJPjSE_EEENSF_IJSE_SE_EEES9_SG_JZNS1_25segmented_radix_sort_implINS0_14default_configELb0EPK6__halfPSL_PKlPlN2at6native12_GLOBAL__N_18offset_tEEE10hipError_tPvRmT1_PNSt15iterator_traitsISZ_E10value_typeET2_T3_PNS10_IS15_E10value_typeET4_jRbjT5_S1B_jjP12ihipStream_tbEUljE_EEESW_SX_SY_S15_S19_S1B_T6_T7_T9_mT8_S1D_bDpT10_ENKUlT_T0_E_clISt17integral_constantIbLb0EES1P_IbLb1EEEEDaS1L_S1M_EUlS1L_E_NS1_11comp_targetILNS1_3genE9ELNS1_11target_archE1100ELNS1_3gpuE3ELNS1_3repE0EEENS1_30default_config_static_selectorELNS0_4arch9wavefront6targetE0EEEvSZ_: ; @_ZN7rocprim17ROCPRIM_400000_NS6detail17trampoline_kernelINS0_13select_configILj256ELj13ELNS0_17block_load_methodE3ELS4_3ELS4_3ELNS0_20block_scan_algorithmE0ELj4294967295EEENS1_25partition_config_selectorILNS1_17partition_subalgoE3EjNS0_10empty_typeEbEEZZNS1_14partition_implILS8_3ELb0ES6_jNS0_17counting_iteratorIjlEEPS9_SE_NS0_5tupleIJPjSE_EEENSF_IJSE_SE_EEES9_SG_JZNS1_25segmented_radix_sort_implINS0_14default_configELb0EPK6__halfPSL_PKlPlN2at6native12_GLOBAL__N_18offset_tEEE10hipError_tPvRmT1_PNSt15iterator_traitsISZ_E10value_typeET2_T3_PNS10_IS15_E10value_typeET4_jRbjT5_S1B_jjP12ihipStream_tbEUljE_EEESW_SX_SY_S15_S19_S1B_T6_T7_T9_mT8_S1D_bDpT10_ENKUlT_T0_E_clISt17integral_constantIbLb0EES1P_IbLb1EEEEDaS1L_S1M_EUlS1L_E_NS1_11comp_targetILNS1_3genE9ELNS1_11target_archE1100ELNS1_3gpuE3ELNS1_3repE0EEENS1_30default_config_static_selectorELNS0_4arch9wavefront6targetE0EEEvSZ_
; %bb.0:
	.section	.rodata,"a",@progbits
	.p2align	6, 0x0
	.amdhsa_kernel _ZN7rocprim17ROCPRIM_400000_NS6detail17trampoline_kernelINS0_13select_configILj256ELj13ELNS0_17block_load_methodE3ELS4_3ELS4_3ELNS0_20block_scan_algorithmE0ELj4294967295EEENS1_25partition_config_selectorILNS1_17partition_subalgoE3EjNS0_10empty_typeEbEEZZNS1_14partition_implILS8_3ELb0ES6_jNS0_17counting_iteratorIjlEEPS9_SE_NS0_5tupleIJPjSE_EEENSF_IJSE_SE_EEES9_SG_JZNS1_25segmented_radix_sort_implINS0_14default_configELb0EPK6__halfPSL_PKlPlN2at6native12_GLOBAL__N_18offset_tEEE10hipError_tPvRmT1_PNSt15iterator_traitsISZ_E10value_typeET2_T3_PNS10_IS15_E10value_typeET4_jRbjT5_S1B_jjP12ihipStream_tbEUljE_EEESW_SX_SY_S15_S19_S1B_T6_T7_T9_mT8_S1D_bDpT10_ENKUlT_T0_E_clISt17integral_constantIbLb0EES1P_IbLb1EEEEDaS1L_S1M_EUlS1L_E_NS1_11comp_targetILNS1_3genE9ELNS1_11target_archE1100ELNS1_3gpuE3ELNS1_3repE0EEENS1_30default_config_static_selectorELNS0_4arch9wavefront6targetE0EEEvSZ_
		.amdhsa_group_segment_fixed_size 0
		.amdhsa_private_segment_fixed_size 0
		.amdhsa_kernarg_size 152
		.amdhsa_user_sgpr_count 2
		.amdhsa_user_sgpr_dispatch_ptr 0
		.amdhsa_user_sgpr_queue_ptr 0
		.amdhsa_user_sgpr_kernarg_segment_ptr 1
		.amdhsa_user_sgpr_dispatch_id 0
		.amdhsa_user_sgpr_kernarg_preload_length 0
		.amdhsa_user_sgpr_kernarg_preload_offset 0
		.amdhsa_user_sgpr_private_segment_size 0
		.amdhsa_wavefront_size32 1
		.amdhsa_uses_dynamic_stack 0
		.amdhsa_enable_private_segment 0
		.amdhsa_system_sgpr_workgroup_id_x 1
		.amdhsa_system_sgpr_workgroup_id_y 0
		.amdhsa_system_sgpr_workgroup_id_z 0
		.amdhsa_system_sgpr_workgroup_info 0
		.amdhsa_system_vgpr_workitem_id 0
		.amdhsa_next_free_vgpr 1
		.amdhsa_next_free_sgpr 1
		.amdhsa_named_barrier_count 0
		.amdhsa_reserve_vcc 0
		.amdhsa_float_round_mode_32 0
		.amdhsa_float_round_mode_16_64 0
		.amdhsa_float_denorm_mode_32 3
		.amdhsa_float_denorm_mode_16_64 3
		.amdhsa_fp16_overflow 0
		.amdhsa_memory_ordered 1
		.amdhsa_forward_progress 1
		.amdhsa_inst_pref_size 0
		.amdhsa_round_robin_scheduling 0
		.amdhsa_exception_fp_ieee_invalid_op 0
		.amdhsa_exception_fp_denorm_src 0
		.amdhsa_exception_fp_ieee_div_zero 0
		.amdhsa_exception_fp_ieee_overflow 0
		.amdhsa_exception_fp_ieee_underflow 0
		.amdhsa_exception_fp_ieee_inexact 0
		.amdhsa_exception_int_div_zero 0
	.end_amdhsa_kernel
	.section	.text._ZN7rocprim17ROCPRIM_400000_NS6detail17trampoline_kernelINS0_13select_configILj256ELj13ELNS0_17block_load_methodE3ELS4_3ELS4_3ELNS0_20block_scan_algorithmE0ELj4294967295EEENS1_25partition_config_selectorILNS1_17partition_subalgoE3EjNS0_10empty_typeEbEEZZNS1_14partition_implILS8_3ELb0ES6_jNS0_17counting_iteratorIjlEEPS9_SE_NS0_5tupleIJPjSE_EEENSF_IJSE_SE_EEES9_SG_JZNS1_25segmented_radix_sort_implINS0_14default_configELb0EPK6__halfPSL_PKlPlN2at6native12_GLOBAL__N_18offset_tEEE10hipError_tPvRmT1_PNSt15iterator_traitsISZ_E10value_typeET2_T3_PNS10_IS15_E10value_typeET4_jRbjT5_S1B_jjP12ihipStream_tbEUljE_EEESW_SX_SY_S15_S19_S1B_T6_T7_T9_mT8_S1D_bDpT10_ENKUlT_T0_E_clISt17integral_constantIbLb0EES1P_IbLb1EEEEDaS1L_S1M_EUlS1L_E_NS1_11comp_targetILNS1_3genE9ELNS1_11target_archE1100ELNS1_3gpuE3ELNS1_3repE0EEENS1_30default_config_static_selectorELNS0_4arch9wavefront6targetE0EEEvSZ_,"axG",@progbits,_ZN7rocprim17ROCPRIM_400000_NS6detail17trampoline_kernelINS0_13select_configILj256ELj13ELNS0_17block_load_methodE3ELS4_3ELS4_3ELNS0_20block_scan_algorithmE0ELj4294967295EEENS1_25partition_config_selectorILNS1_17partition_subalgoE3EjNS0_10empty_typeEbEEZZNS1_14partition_implILS8_3ELb0ES6_jNS0_17counting_iteratorIjlEEPS9_SE_NS0_5tupleIJPjSE_EEENSF_IJSE_SE_EEES9_SG_JZNS1_25segmented_radix_sort_implINS0_14default_configELb0EPK6__halfPSL_PKlPlN2at6native12_GLOBAL__N_18offset_tEEE10hipError_tPvRmT1_PNSt15iterator_traitsISZ_E10value_typeET2_T3_PNS10_IS15_E10value_typeET4_jRbjT5_S1B_jjP12ihipStream_tbEUljE_EEESW_SX_SY_S15_S19_S1B_T6_T7_T9_mT8_S1D_bDpT10_ENKUlT_T0_E_clISt17integral_constantIbLb0EES1P_IbLb1EEEEDaS1L_S1M_EUlS1L_E_NS1_11comp_targetILNS1_3genE9ELNS1_11target_archE1100ELNS1_3gpuE3ELNS1_3repE0EEENS1_30default_config_static_selectorELNS0_4arch9wavefront6targetE0EEEvSZ_,comdat
.Lfunc_end1830:
	.size	_ZN7rocprim17ROCPRIM_400000_NS6detail17trampoline_kernelINS0_13select_configILj256ELj13ELNS0_17block_load_methodE3ELS4_3ELS4_3ELNS0_20block_scan_algorithmE0ELj4294967295EEENS1_25partition_config_selectorILNS1_17partition_subalgoE3EjNS0_10empty_typeEbEEZZNS1_14partition_implILS8_3ELb0ES6_jNS0_17counting_iteratorIjlEEPS9_SE_NS0_5tupleIJPjSE_EEENSF_IJSE_SE_EEES9_SG_JZNS1_25segmented_radix_sort_implINS0_14default_configELb0EPK6__halfPSL_PKlPlN2at6native12_GLOBAL__N_18offset_tEEE10hipError_tPvRmT1_PNSt15iterator_traitsISZ_E10value_typeET2_T3_PNS10_IS15_E10value_typeET4_jRbjT5_S1B_jjP12ihipStream_tbEUljE_EEESW_SX_SY_S15_S19_S1B_T6_T7_T9_mT8_S1D_bDpT10_ENKUlT_T0_E_clISt17integral_constantIbLb0EES1P_IbLb1EEEEDaS1L_S1M_EUlS1L_E_NS1_11comp_targetILNS1_3genE9ELNS1_11target_archE1100ELNS1_3gpuE3ELNS1_3repE0EEENS1_30default_config_static_selectorELNS0_4arch9wavefront6targetE0EEEvSZ_, .Lfunc_end1830-_ZN7rocprim17ROCPRIM_400000_NS6detail17trampoline_kernelINS0_13select_configILj256ELj13ELNS0_17block_load_methodE3ELS4_3ELS4_3ELNS0_20block_scan_algorithmE0ELj4294967295EEENS1_25partition_config_selectorILNS1_17partition_subalgoE3EjNS0_10empty_typeEbEEZZNS1_14partition_implILS8_3ELb0ES6_jNS0_17counting_iteratorIjlEEPS9_SE_NS0_5tupleIJPjSE_EEENSF_IJSE_SE_EEES9_SG_JZNS1_25segmented_radix_sort_implINS0_14default_configELb0EPK6__halfPSL_PKlPlN2at6native12_GLOBAL__N_18offset_tEEE10hipError_tPvRmT1_PNSt15iterator_traitsISZ_E10value_typeET2_T3_PNS10_IS15_E10value_typeET4_jRbjT5_S1B_jjP12ihipStream_tbEUljE_EEESW_SX_SY_S15_S19_S1B_T6_T7_T9_mT8_S1D_bDpT10_ENKUlT_T0_E_clISt17integral_constantIbLb0EES1P_IbLb1EEEEDaS1L_S1M_EUlS1L_E_NS1_11comp_targetILNS1_3genE9ELNS1_11target_archE1100ELNS1_3gpuE3ELNS1_3repE0EEENS1_30default_config_static_selectorELNS0_4arch9wavefront6targetE0EEEvSZ_
                                        ; -- End function
	.set _ZN7rocprim17ROCPRIM_400000_NS6detail17trampoline_kernelINS0_13select_configILj256ELj13ELNS0_17block_load_methodE3ELS4_3ELS4_3ELNS0_20block_scan_algorithmE0ELj4294967295EEENS1_25partition_config_selectorILNS1_17partition_subalgoE3EjNS0_10empty_typeEbEEZZNS1_14partition_implILS8_3ELb0ES6_jNS0_17counting_iteratorIjlEEPS9_SE_NS0_5tupleIJPjSE_EEENSF_IJSE_SE_EEES9_SG_JZNS1_25segmented_radix_sort_implINS0_14default_configELb0EPK6__halfPSL_PKlPlN2at6native12_GLOBAL__N_18offset_tEEE10hipError_tPvRmT1_PNSt15iterator_traitsISZ_E10value_typeET2_T3_PNS10_IS15_E10value_typeET4_jRbjT5_S1B_jjP12ihipStream_tbEUljE_EEESW_SX_SY_S15_S19_S1B_T6_T7_T9_mT8_S1D_bDpT10_ENKUlT_T0_E_clISt17integral_constantIbLb0EES1P_IbLb1EEEEDaS1L_S1M_EUlS1L_E_NS1_11comp_targetILNS1_3genE9ELNS1_11target_archE1100ELNS1_3gpuE3ELNS1_3repE0EEENS1_30default_config_static_selectorELNS0_4arch9wavefront6targetE0EEEvSZ_.num_vgpr, 0
	.set _ZN7rocprim17ROCPRIM_400000_NS6detail17trampoline_kernelINS0_13select_configILj256ELj13ELNS0_17block_load_methodE3ELS4_3ELS4_3ELNS0_20block_scan_algorithmE0ELj4294967295EEENS1_25partition_config_selectorILNS1_17partition_subalgoE3EjNS0_10empty_typeEbEEZZNS1_14partition_implILS8_3ELb0ES6_jNS0_17counting_iteratorIjlEEPS9_SE_NS0_5tupleIJPjSE_EEENSF_IJSE_SE_EEES9_SG_JZNS1_25segmented_radix_sort_implINS0_14default_configELb0EPK6__halfPSL_PKlPlN2at6native12_GLOBAL__N_18offset_tEEE10hipError_tPvRmT1_PNSt15iterator_traitsISZ_E10value_typeET2_T3_PNS10_IS15_E10value_typeET4_jRbjT5_S1B_jjP12ihipStream_tbEUljE_EEESW_SX_SY_S15_S19_S1B_T6_T7_T9_mT8_S1D_bDpT10_ENKUlT_T0_E_clISt17integral_constantIbLb0EES1P_IbLb1EEEEDaS1L_S1M_EUlS1L_E_NS1_11comp_targetILNS1_3genE9ELNS1_11target_archE1100ELNS1_3gpuE3ELNS1_3repE0EEENS1_30default_config_static_selectorELNS0_4arch9wavefront6targetE0EEEvSZ_.num_agpr, 0
	.set _ZN7rocprim17ROCPRIM_400000_NS6detail17trampoline_kernelINS0_13select_configILj256ELj13ELNS0_17block_load_methodE3ELS4_3ELS4_3ELNS0_20block_scan_algorithmE0ELj4294967295EEENS1_25partition_config_selectorILNS1_17partition_subalgoE3EjNS0_10empty_typeEbEEZZNS1_14partition_implILS8_3ELb0ES6_jNS0_17counting_iteratorIjlEEPS9_SE_NS0_5tupleIJPjSE_EEENSF_IJSE_SE_EEES9_SG_JZNS1_25segmented_radix_sort_implINS0_14default_configELb0EPK6__halfPSL_PKlPlN2at6native12_GLOBAL__N_18offset_tEEE10hipError_tPvRmT1_PNSt15iterator_traitsISZ_E10value_typeET2_T3_PNS10_IS15_E10value_typeET4_jRbjT5_S1B_jjP12ihipStream_tbEUljE_EEESW_SX_SY_S15_S19_S1B_T6_T7_T9_mT8_S1D_bDpT10_ENKUlT_T0_E_clISt17integral_constantIbLb0EES1P_IbLb1EEEEDaS1L_S1M_EUlS1L_E_NS1_11comp_targetILNS1_3genE9ELNS1_11target_archE1100ELNS1_3gpuE3ELNS1_3repE0EEENS1_30default_config_static_selectorELNS0_4arch9wavefront6targetE0EEEvSZ_.numbered_sgpr, 0
	.set _ZN7rocprim17ROCPRIM_400000_NS6detail17trampoline_kernelINS0_13select_configILj256ELj13ELNS0_17block_load_methodE3ELS4_3ELS4_3ELNS0_20block_scan_algorithmE0ELj4294967295EEENS1_25partition_config_selectorILNS1_17partition_subalgoE3EjNS0_10empty_typeEbEEZZNS1_14partition_implILS8_3ELb0ES6_jNS0_17counting_iteratorIjlEEPS9_SE_NS0_5tupleIJPjSE_EEENSF_IJSE_SE_EEES9_SG_JZNS1_25segmented_radix_sort_implINS0_14default_configELb0EPK6__halfPSL_PKlPlN2at6native12_GLOBAL__N_18offset_tEEE10hipError_tPvRmT1_PNSt15iterator_traitsISZ_E10value_typeET2_T3_PNS10_IS15_E10value_typeET4_jRbjT5_S1B_jjP12ihipStream_tbEUljE_EEESW_SX_SY_S15_S19_S1B_T6_T7_T9_mT8_S1D_bDpT10_ENKUlT_T0_E_clISt17integral_constantIbLb0EES1P_IbLb1EEEEDaS1L_S1M_EUlS1L_E_NS1_11comp_targetILNS1_3genE9ELNS1_11target_archE1100ELNS1_3gpuE3ELNS1_3repE0EEENS1_30default_config_static_selectorELNS0_4arch9wavefront6targetE0EEEvSZ_.num_named_barrier, 0
	.set _ZN7rocprim17ROCPRIM_400000_NS6detail17trampoline_kernelINS0_13select_configILj256ELj13ELNS0_17block_load_methodE3ELS4_3ELS4_3ELNS0_20block_scan_algorithmE0ELj4294967295EEENS1_25partition_config_selectorILNS1_17partition_subalgoE3EjNS0_10empty_typeEbEEZZNS1_14partition_implILS8_3ELb0ES6_jNS0_17counting_iteratorIjlEEPS9_SE_NS0_5tupleIJPjSE_EEENSF_IJSE_SE_EEES9_SG_JZNS1_25segmented_radix_sort_implINS0_14default_configELb0EPK6__halfPSL_PKlPlN2at6native12_GLOBAL__N_18offset_tEEE10hipError_tPvRmT1_PNSt15iterator_traitsISZ_E10value_typeET2_T3_PNS10_IS15_E10value_typeET4_jRbjT5_S1B_jjP12ihipStream_tbEUljE_EEESW_SX_SY_S15_S19_S1B_T6_T7_T9_mT8_S1D_bDpT10_ENKUlT_T0_E_clISt17integral_constantIbLb0EES1P_IbLb1EEEEDaS1L_S1M_EUlS1L_E_NS1_11comp_targetILNS1_3genE9ELNS1_11target_archE1100ELNS1_3gpuE3ELNS1_3repE0EEENS1_30default_config_static_selectorELNS0_4arch9wavefront6targetE0EEEvSZ_.private_seg_size, 0
	.set _ZN7rocprim17ROCPRIM_400000_NS6detail17trampoline_kernelINS0_13select_configILj256ELj13ELNS0_17block_load_methodE3ELS4_3ELS4_3ELNS0_20block_scan_algorithmE0ELj4294967295EEENS1_25partition_config_selectorILNS1_17partition_subalgoE3EjNS0_10empty_typeEbEEZZNS1_14partition_implILS8_3ELb0ES6_jNS0_17counting_iteratorIjlEEPS9_SE_NS0_5tupleIJPjSE_EEENSF_IJSE_SE_EEES9_SG_JZNS1_25segmented_radix_sort_implINS0_14default_configELb0EPK6__halfPSL_PKlPlN2at6native12_GLOBAL__N_18offset_tEEE10hipError_tPvRmT1_PNSt15iterator_traitsISZ_E10value_typeET2_T3_PNS10_IS15_E10value_typeET4_jRbjT5_S1B_jjP12ihipStream_tbEUljE_EEESW_SX_SY_S15_S19_S1B_T6_T7_T9_mT8_S1D_bDpT10_ENKUlT_T0_E_clISt17integral_constantIbLb0EES1P_IbLb1EEEEDaS1L_S1M_EUlS1L_E_NS1_11comp_targetILNS1_3genE9ELNS1_11target_archE1100ELNS1_3gpuE3ELNS1_3repE0EEENS1_30default_config_static_selectorELNS0_4arch9wavefront6targetE0EEEvSZ_.uses_vcc, 0
	.set _ZN7rocprim17ROCPRIM_400000_NS6detail17trampoline_kernelINS0_13select_configILj256ELj13ELNS0_17block_load_methodE3ELS4_3ELS4_3ELNS0_20block_scan_algorithmE0ELj4294967295EEENS1_25partition_config_selectorILNS1_17partition_subalgoE3EjNS0_10empty_typeEbEEZZNS1_14partition_implILS8_3ELb0ES6_jNS0_17counting_iteratorIjlEEPS9_SE_NS0_5tupleIJPjSE_EEENSF_IJSE_SE_EEES9_SG_JZNS1_25segmented_radix_sort_implINS0_14default_configELb0EPK6__halfPSL_PKlPlN2at6native12_GLOBAL__N_18offset_tEEE10hipError_tPvRmT1_PNSt15iterator_traitsISZ_E10value_typeET2_T3_PNS10_IS15_E10value_typeET4_jRbjT5_S1B_jjP12ihipStream_tbEUljE_EEESW_SX_SY_S15_S19_S1B_T6_T7_T9_mT8_S1D_bDpT10_ENKUlT_T0_E_clISt17integral_constantIbLb0EES1P_IbLb1EEEEDaS1L_S1M_EUlS1L_E_NS1_11comp_targetILNS1_3genE9ELNS1_11target_archE1100ELNS1_3gpuE3ELNS1_3repE0EEENS1_30default_config_static_selectorELNS0_4arch9wavefront6targetE0EEEvSZ_.uses_flat_scratch, 0
	.set _ZN7rocprim17ROCPRIM_400000_NS6detail17trampoline_kernelINS0_13select_configILj256ELj13ELNS0_17block_load_methodE3ELS4_3ELS4_3ELNS0_20block_scan_algorithmE0ELj4294967295EEENS1_25partition_config_selectorILNS1_17partition_subalgoE3EjNS0_10empty_typeEbEEZZNS1_14partition_implILS8_3ELb0ES6_jNS0_17counting_iteratorIjlEEPS9_SE_NS0_5tupleIJPjSE_EEENSF_IJSE_SE_EEES9_SG_JZNS1_25segmented_radix_sort_implINS0_14default_configELb0EPK6__halfPSL_PKlPlN2at6native12_GLOBAL__N_18offset_tEEE10hipError_tPvRmT1_PNSt15iterator_traitsISZ_E10value_typeET2_T3_PNS10_IS15_E10value_typeET4_jRbjT5_S1B_jjP12ihipStream_tbEUljE_EEESW_SX_SY_S15_S19_S1B_T6_T7_T9_mT8_S1D_bDpT10_ENKUlT_T0_E_clISt17integral_constantIbLb0EES1P_IbLb1EEEEDaS1L_S1M_EUlS1L_E_NS1_11comp_targetILNS1_3genE9ELNS1_11target_archE1100ELNS1_3gpuE3ELNS1_3repE0EEENS1_30default_config_static_selectorELNS0_4arch9wavefront6targetE0EEEvSZ_.has_dyn_sized_stack, 0
	.set _ZN7rocprim17ROCPRIM_400000_NS6detail17trampoline_kernelINS0_13select_configILj256ELj13ELNS0_17block_load_methodE3ELS4_3ELS4_3ELNS0_20block_scan_algorithmE0ELj4294967295EEENS1_25partition_config_selectorILNS1_17partition_subalgoE3EjNS0_10empty_typeEbEEZZNS1_14partition_implILS8_3ELb0ES6_jNS0_17counting_iteratorIjlEEPS9_SE_NS0_5tupleIJPjSE_EEENSF_IJSE_SE_EEES9_SG_JZNS1_25segmented_radix_sort_implINS0_14default_configELb0EPK6__halfPSL_PKlPlN2at6native12_GLOBAL__N_18offset_tEEE10hipError_tPvRmT1_PNSt15iterator_traitsISZ_E10value_typeET2_T3_PNS10_IS15_E10value_typeET4_jRbjT5_S1B_jjP12ihipStream_tbEUljE_EEESW_SX_SY_S15_S19_S1B_T6_T7_T9_mT8_S1D_bDpT10_ENKUlT_T0_E_clISt17integral_constantIbLb0EES1P_IbLb1EEEEDaS1L_S1M_EUlS1L_E_NS1_11comp_targetILNS1_3genE9ELNS1_11target_archE1100ELNS1_3gpuE3ELNS1_3repE0EEENS1_30default_config_static_selectorELNS0_4arch9wavefront6targetE0EEEvSZ_.has_recursion, 0
	.set _ZN7rocprim17ROCPRIM_400000_NS6detail17trampoline_kernelINS0_13select_configILj256ELj13ELNS0_17block_load_methodE3ELS4_3ELS4_3ELNS0_20block_scan_algorithmE0ELj4294967295EEENS1_25partition_config_selectorILNS1_17partition_subalgoE3EjNS0_10empty_typeEbEEZZNS1_14partition_implILS8_3ELb0ES6_jNS0_17counting_iteratorIjlEEPS9_SE_NS0_5tupleIJPjSE_EEENSF_IJSE_SE_EEES9_SG_JZNS1_25segmented_radix_sort_implINS0_14default_configELb0EPK6__halfPSL_PKlPlN2at6native12_GLOBAL__N_18offset_tEEE10hipError_tPvRmT1_PNSt15iterator_traitsISZ_E10value_typeET2_T3_PNS10_IS15_E10value_typeET4_jRbjT5_S1B_jjP12ihipStream_tbEUljE_EEESW_SX_SY_S15_S19_S1B_T6_T7_T9_mT8_S1D_bDpT10_ENKUlT_T0_E_clISt17integral_constantIbLb0EES1P_IbLb1EEEEDaS1L_S1M_EUlS1L_E_NS1_11comp_targetILNS1_3genE9ELNS1_11target_archE1100ELNS1_3gpuE3ELNS1_3repE0EEENS1_30default_config_static_selectorELNS0_4arch9wavefront6targetE0EEEvSZ_.has_indirect_call, 0
	.section	.AMDGPU.csdata,"",@progbits
; Kernel info:
; codeLenInByte = 0
; TotalNumSgprs: 0
; NumVgprs: 0
; ScratchSize: 0
; MemoryBound: 0
; FloatMode: 240
; IeeeMode: 1
; LDSByteSize: 0 bytes/workgroup (compile time only)
; SGPRBlocks: 0
; VGPRBlocks: 0
; NumSGPRsForWavesPerEU: 1
; NumVGPRsForWavesPerEU: 1
; NamedBarCnt: 0
; Occupancy: 16
; WaveLimiterHint : 0
; COMPUTE_PGM_RSRC2:SCRATCH_EN: 0
; COMPUTE_PGM_RSRC2:USER_SGPR: 2
; COMPUTE_PGM_RSRC2:TRAP_HANDLER: 0
; COMPUTE_PGM_RSRC2:TGID_X_EN: 1
; COMPUTE_PGM_RSRC2:TGID_Y_EN: 0
; COMPUTE_PGM_RSRC2:TGID_Z_EN: 0
; COMPUTE_PGM_RSRC2:TIDIG_COMP_CNT: 0
	.section	.text._ZN7rocprim17ROCPRIM_400000_NS6detail17trampoline_kernelINS0_13select_configILj256ELj13ELNS0_17block_load_methodE3ELS4_3ELS4_3ELNS0_20block_scan_algorithmE0ELj4294967295EEENS1_25partition_config_selectorILNS1_17partition_subalgoE3EjNS0_10empty_typeEbEEZZNS1_14partition_implILS8_3ELb0ES6_jNS0_17counting_iteratorIjlEEPS9_SE_NS0_5tupleIJPjSE_EEENSF_IJSE_SE_EEES9_SG_JZNS1_25segmented_radix_sort_implINS0_14default_configELb0EPK6__halfPSL_PKlPlN2at6native12_GLOBAL__N_18offset_tEEE10hipError_tPvRmT1_PNSt15iterator_traitsISZ_E10value_typeET2_T3_PNS10_IS15_E10value_typeET4_jRbjT5_S1B_jjP12ihipStream_tbEUljE_EEESW_SX_SY_S15_S19_S1B_T6_T7_T9_mT8_S1D_bDpT10_ENKUlT_T0_E_clISt17integral_constantIbLb0EES1P_IbLb1EEEEDaS1L_S1M_EUlS1L_E_NS1_11comp_targetILNS1_3genE8ELNS1_11target_archE1030ELNS1_3gpuE2ELNS1_3repE0EEENS1_30default_config_static_selectorELNS0_4arch9wavefront6targetE0EEEvSZ_,"axG",@progbits,_ZN7rocprim17ROCPRIM_400000_NS6detail17trampoline_kernelINS0_13select_configILj256ELj13ELNS0_17block_load_methodE3ELS4_3ELS4_3ELNS0_20block_scan_algorithmE0ELj4294967295EEENS1_25partition_config_selectorILNS1_17partition_subalgoE3EjNS0_10empty_typeEbEEZZNS1_14partition_implILS8_3ELb0ES6_jNS0_17counting_iteratorIjlEEPS9_SE_NS0_5tupleIJPjSE_EEENSF_IJSE_SE_EEES9_SG_JZNS1_25segmented_radix_sort_implINS0_14default_configELb0EPK6__halfPSL_PKlPlN2at6native12_GLOBAL__N_18offset_tEEE10hipError_tPvRmT1_PNSt15iterator_traitsISZ_E10value_typeET2_T3_PNS10_IS15_E10value_typeET4_jRbjT5_S1B_jjP12ihipStream_tbEUljE_EEESW_SX_SY_S15_S19_S1B_T6_T7_T9_mT8_S1D_bDpT10_ENKUlT_T0_E_clISt17integral_constantIbLb0EES1P_IbLb1EEEEDaS1L_S1M_EUlS1L_E_NS1_11comp_targetILNS1_3genE8ELNS1_11target_archE1030ELNS1_3gpuE2ELNS1_3repE0EEENS1_30default_config_static_selectorELNS0_4arch9wavefront6targetE0EEEvSZ_,comdat
	.globl	_ZN7rocprim17ROCPRIM_400000_NS6detail17trampoline_kernelINS0_13select_configILj256ELj13ELNS0_17block_load_methodE3ELS4_3ELS4_3ELNS0_20block_scan_algorithmE0ELj4294967295EEENS1_25partition_config_selectorILNS1_17partition_subalgoE3EjNS0_10empty_typeEbEEZZNS1_14partition_implILS8_3ELb0ES6_jNS0_17counting_iteratorIjlEEPS9_SE_NS0_5tupleIJPjSE_EEENSF_IJSE_SE_EEES9_SG_JZNS1_25segmented_radix_sort_implINS0_14default_configELb0EPK6__halfPSL_PKlPlN2at6native12_GLOBAL__N_18offset_tEEE10hipError_tPvRmT1_PNSt15iterator_traitsISZ_E10value_typeET2_T3_PNS10_IS15_E10value_typeET4_jRbjT5_S1B_jjP12ihipStream_tbEUljE_EEESW_SX_SY_S15_S19_S1B_T6_T7_T9_mT8_S1D_bDpT10_ENKUlT_T0_E_clISt17integral_constantIbLb0EES1P_IbLb1EEEEDaS1L_S1M_EUlS1L_E_NS1_11comp_targetILNS1_3genE8ELNS1_11target_archE1030ELNS1_3gpuE2ELNS1_3repE0EEENS1_30default_config_static_selectorELNS0_4arch9wavefront6targetE0EEEvSZ_ ; -- Begin function _ZN7rocprim17ROCPRIM_400000_NS6detail17trampoline_kernelINS0_13select_configILj256ELj13ELNS0_17block_load_methodE3ELS4_3ELS4_3ELNS0_20block_scan_algorithmE0ELj4294967295EEENS1_25partition_config_selectorILNS1_17partition_subalgoE3EjNS0_10empty_typeEbEEZZNS1_14partition_implILS8_3ELb0ES6_jNS0_17counting_iteratorIjlEEPS9_SE_NS0_5tupleIJPjSE_EEENSF_IJSE_SE_EEES9_SG_JZNS1_25segmented_radix_sort_implINS0_14default_configELb0EPK6__halfPSL_PKlPlN2at6native12_GLOBAL__N_18offset_tEEE10hipError_tPvRmT1_PNSt15iterator_traitsISZ_E10value_typeET2_T3_PNS10_IS15_E10value_typeET4_jRbjT5_S1B_jjP12ihipStream_tbEUljE_EEESW_SX_SY_S15_S19_S1B_T6_T7_T9_mT8_S1D_bDpT10_ENKUlT_T0_E_clISt17integral_constantIbLb0EES1P_IbLb1EEEEDaS1L_S1M_EUlS1L_E_NS1_11comp_targetILNS1_3genE8ELNS1_11target_archE1030ELNS1_3gpuE2ELNS1_3repE0EEENS1_30default_config_static_selectorELNS0_4arch9wavefront6targetE0EEEvSZ_
	.p2align	8
	.type	_ZN7rocprim17ROCPRIM_400000_NS6detail17trampoline_kernelINS0_13select_configILj256ELj13ELNS0_17block_load_methodE3ELS4_3ELS4_3ELNS0_20block_scan_algorithmE0ELj4294967295EEENS1_25partition_config_selectorILNS1_17partition_subalgoE3EjNS0_10empty_typeEbEEZZNS1_14partition_implILS8_3ELb0ES6_jNS0_17counting_iteratorIjlEEPS9_SE_NS0_5tupleIJPjSE_EEENSF_IJSE_SE_EEES9_SG_JZNS1_25segmented_radix_sort_implINS0_14default_configELb0EPK6__halfPSL_PKlPlN2at6native12_GLOBAL__N_18offset_tEEE10hipError_tPvRmT1_PNSt15iterator_traitsISZ_E10value_typeET2_T3_PNS10_IS15_E10value_typeET4_jRbjT5_S1B_jjP12ihipStream_tbEUljE_EEESW_SX_SY_S15_S19_S1B_T6_T7_T9_mT8_S1D_bDpT10_ENKUlT_T0_E_clISt17integral_constantIbLb0EES1P_IbLb1EEEEDaS1L_S1M_EUlS1L_E_NS1_11comp_targetILNS1_3genE8ELNS1_11target_archE1030ELNS1_3gpuE2ELNS1_3repE0EEENS1_30default_config_static_selectorELNS0_4arch9wavefront6targetE0EEEvSZ_,@function
_ZN7rocprim17ROCPRIM_400000_NS6detail17trampoline_kernelINS0_13select_configILj256ELj13ELNS0_17block_load_methodE3ELS4_3ELS4_3ELNS0_20block_scan_algorithmE0ELj4294967295EEENS1_25partition_config_selectorILNS1_17partition_subalgoE3EjNS0_10empty_typeEbEEZZNS1_14partition_implILS8_3ELb0ES6_jNS0_17counting_iteratorIjlEEPS9_SE_NS0_5tupleIJPjSE_EEENSF_IJSE_SE_EEES9_SG_JZNS1_25segmented_radix_sort_implINS0_14default_configELb0EPK6__halfPSL_PKlPlN2at6native12_GLOBAL__N_18offset_tEEE10hipError_tPvRmT1_PNSt15iterator_traitsISZ_E10value_typeET2_T3_PNS10_IS15_E10value_typeET4_jRbjT5_S1B_jjP12ihipStream_tbEUljE_EEESW_SX_SY_S15_S19_S1B_T6_T7_T9_mT8_S1D_bDpT10_ENKUlT_T0_E_clISt17integral_constantIbLb0EES1P_IbLb1EEEEDaS1L_S1M_EUlS1L_E_NS1_11comp_targetILNS1_3genE8ELNS1_11target_archE1030ELNS1_3gpuE2ELNS1_3repE0EEENS1_30default_config_static_selectorELNS0_4arch9wavefront6targetE0EEEvSZ_: ; @_ZN7rocprim17ROCPRIM_400000_NS6detail17trampoline_kernelINS0_13select_configILj256ELj13ELNS0_17block_load_methodE3ELS4_3ELS4_3ELNS0_20block_scan_algorithmE0ELj4294967295EEENS1_25partition_config_selectorILNS1_17partition_subalgoE3EjNS0_10empty_typeEbEEZZNS1_14partition_implILS8_3ELb0ES6_jNS0_17counting_iteratorIjlEEPS9_SE_NS0_5tupleIJPjSE_EEENSF_IJSE_SE_EEES9_SG_JZNS1_25segmented_radix_sort_implINS0_14default_configELb0EPK6__halfPSL_PKlPlN2at6native12_GLOBAL__N_18offset_tEEE10hipError_tPvRmT1_PNSt15iterator_traitsISZ_E10value_typeET2_T3_PNS10_IS15_E10value_typeET4_jRbjT5_S1B_jjP12ihipStream_tbEUljE_EEESW_SX_SY_S15_S19_S1B_T6_T7_T9_mT8_S1D_bDpT10_ENKUlT_T0_E_clISt17integral_constantIbLb0EES1P_IbLb1EEEEDaS1L_S1M_EUlS1L_E_NS1_11comp_targetILNS1_3genE8ELNS1_11target_archE1030ELNS1_3gpuE2ELNS1_3repE0EEENS1_30default_config_static_selectorELNS0_4arch9wavefront6targetE0EEEvSZ_
; %bb.0:
	.section	.rodata,"a",@progbits
	.p2align	6, 0x0
	.amdhsa_kernel _ZN7rocprim17ROCPRIM_400000_NS6detail17trampoline_kernelINS0_13select_configILj256ELj13ELNS0_17block_load_methodE3ELS4_3ELS4_3ELNS0_20block_scan_algorithmE0ELj4294967295EEENS1_25partition_config_selectorILNS1_17partition_subalgoE3EjNS0_10empty_typeEbEEZZNS1_14partition_implILS8_3ELb0ES6_jNS0_17counting_iteratorIjlEEPS9_SE_NS0_5tupleIJPjSE_EEENSF_IJSE_SE_EEES9_SG_JZNS1_25segmented_radix_sort_implINS0_14default_configELb0EPK6__halfPSL_PKlPlN2at6native12_GLOBAL__N_18offset_tEEE10hipError_tPvRmT1_PNSt15iterator_traitsISZ_E10value_typeET2_T3_PNS10_IS15_E10value_typeET4_jRbjT5_S1B_jjP12ihipStream_tbEUljE_EEESW_SX_SY_S15_S19_S1B_T6_T7_T9_mT8_S1D_bDpT10_ENKUlT_T0_E_clISt17integral_constantIbLb0EES1P_IbLb1EEEEDaS1L_S1M_EUlS1L_E_NS1_11comp_targetILNS1_3genE8ELNS1_11target_archE1030ELNS1_3gpuE2ELNS1_3repE0EEENS1_30default_config_static_selectorELNS0_4arch9wavefront6targetE0EEEvSZ_
		.amdhsa_group_segment_fixed_size 0
		.amdhsa_private_segment_fixed_size 0
		.amdhsa_kernarg_size 152
		.amdhsa_user_sgpr_count 2
		.amdhsa_user_sgpr_dispatch_ptr 0
		.amdhsa_user_sgpr_queue_ptr 0
		.amdhsa_user_sgpr_kernarg_segment_ptr 1
		.amdhsa_user_sgpr_dispatch_id 0
		.amdhsa_user_sgpr_kernarg_preload_length 0
		.amdhsa_user_sgpr_kernarg_preload_offset 0
		.amdhsa_user_sgpr_private_segment_size 0
		.amdhsa_wavefront_size32 1
		.amdhsa_uses_dynamic_stack 0
		.amdhsa_enable_private_segment 0
		.amdhsa_system_sgpr_workgroup_id_x 1
		.amdhsa_system_sgpr_workgroup_id_y 0
		.amdhsa_system_sgpr_workgroup_id_z 0
		.amdhsa_system_sgpr_workgroup_info 0
		.amdhsa_system_vgpr_workitem_id 0
		.amdhsa_next_free_vgpr 1
		.amdhsa_next_free_sgpr 1
		.amdhsa_named_barrier_count 0
		.amdhsa_reserve_vcc 0
		.amdhsa_float_round_mode_32 0
		.amdhsa_float_round_mode_16_64 0
		.amdhsa_float_denorm_mode_32 3
		.amdhsa_float_denorm_mode_16_64 3
		.amdhsa_fp16_overflow 0
		.amdhsa_memory_ordered 1
		.amdhsa_forward_progress 1
		.amdhsa_inst_pref_size 0
		.amdhsa_round_robin_scheduling 0
		.amdhsa_exception_fp_ieee_invalid_op 0
		.amdhsa_exception_fp_denorm_src 0
		.amdhsa_exception_fp_ieee_div_zero 0
		.amdhsa_exception_fp_ieee_overflow 0
		.amdhsa_exception_fp_ieee_underflow 0
		.amdhsa_exception_fp_ieee_inexact 0
		.amdhsa_exception_int_div_zero 0
	.end_amdhsa_kernel
	.section	.text._ZN7rocprim17ROCPRIM_400000_NS6detail17trampoline_kernelINS0_13select_configILj256ELj13ELNS0_17block_load_methodE3ELS4_3ELS4_3ELNS0_20block_scan_algorithmE0ELj4294967295EEENS1_25partition_config_selectorILNS1_17partition_subalgoE3EjNS0_10empty_typeEbEEZZNS1_14partition_implILS8_3ELb0ES6_jNS0_17counting_iteratorIjlEEPS9_SE_NS0_5tupleIJPjSE_EEENSF_IJSE_SE_EEES9_SG_JZNS1_25segmented_radix_sort_implINS0_14default_configELb0EPK6__halfPSL_PKlPlN2at6native12_GLOBAL__N_18offset_tEEE10hipError_tPvRmT1_PNSt15iterator_traitsISZ_E10value_typeET2_T3_PNS10_IS15_E10value_typeET4_jRbjT5_S1B_jjP12ihipStream_tbEUljE_EEESW_SX_SY_S15_S19_S1B_T6_T7_T9_mT8_S1D_bDpT10_ENKUlT_T0_E_clISt17integral_constantIbLb0EES1P_IbLb1EEEEDaS1L_S1M_EUlS1L_E_NS1_11comp_targetILNS1_3genE8ELNS1_11target_archE1030ELNS1_3gpuE2ELNS1_3repE0EEENS1_30default_config_static_selectorELNS0_4arch9wavefront6targetE0EEEvSZ_,"axG",@progbits,_ZN7rocprim17ROCPRIM_400000_NS6detail17trampoline_kernelINS0_13select_configILj256ELj13ELNS0_17block_load_methodE3ELS4_3ELS4_3ELNS0_20block_scan_algorithmE0ELj4294967295EEENS1_25partition_config_selectorILNS1_17partition_subalgoE3EjNS0_10empty_typeEbEEZZNS1_14partition_implILS8_3ELb0ES6_jNS0_17counting_iteratorIjlEEPS9_SE_NS0_5tupleIJPjSE_EEENSF_IJSE_SE_EEES9_SG_JZNS1_25segmented_radix_sort_implINS0_14default_configELb0EPK6__halfPSL_PKlPlN2at6native12_GLOBAL__N_18offset_tEEE10hipError_tPvRmT1_PNSt15iterator_traitsISZ_E10value_typeET2_T3_PNS10_IS15_E10value_typeET4_jRbjT5_S1B_jjP12ihipStream_tbEUljE_EEESW_SX_SY_S15_S19_S1B_T6_T7_T9_mT8_S1D_bDpT10_ENKUlT_T0_E_clISt17integral_constantIbLb0EES1P_IbLb1EEEEDaS1L_S1M_EUlS1L_E_NS1_11comp_targetILNS1_3genE8ELNS1_11target_archE1030ELNS1_3gpuE2ELNS1_3repE0EEENS1_30default_config_static_selectorELNS0_4arch9wavefront6targetE0EEEvSZ_,comdat
.Lfunc_end1831:
	.size	_ZN7rocprim17ROCPRIM_400000_NS6detail17trampoline_kernelINS0_13select_configILj256ELj13ELNS0_17block_load_methodE3ELS4_3ELS4_3ELNS0_20block_scan_algorithmE0ELj4294967295EEENS1_25partition_config_selectorILNS1_17partition_subalgoE3EjNS0_10empty_typeEbEEZZNS1_14partition_implILS8_3ELb0ES6_jNS0_17counting_iteratorIjlEEPS9_SE_NS0_5tupleIJPjSE_EEENSF_IJSE_SE_EEES9_SG_JZNS1_25segmented_radix_sort_implINS0_14default_configELb0EPK6__halfPSL_PKlPlN2at6native12_GLOBAL__N_18offset_tEEE10hipError_tPvRmT1_PNSt15iterator_traitsISZ_E10value_typeET2_T3_PNS10_IS15_E10value_typeET4_jRbjT5_S1B_jjP12ihipStream_tbEUljE_EEESW_SX_SY_S15_S19_S1B_T6_T7_T9_mT8_S1D_bDpT10_ENKUlT_T0_E_clISt17integral_constantIbLb0EES1P_IbLb1EEEEDaS1L_S1M_EUlS1L_E_NS1_11comp_targetILNS1_3genE8ELNS1_11target_archE1030ELNS1_3gpuE2ELNS1_3repE0EEENS1_30default_config_static_selectorELNS0_4arch9wavefront6targetE0EEEvSZ_, .Lfunc_end1831-_ZN7rocprim17ROCPRIM_400000_NS6detail17trampoline_kernelINS0_13select_configILj256ELj13ELNS0_17block_load_methodE3ELS4_3ELS4_3ELNS0_20block_scan_algorithmE0ELj4294967295EEENS1_25partition_config_selectorILNS1_17partition_subalgoE3EjNS0_10empty_typeEbEEZZNS1_14partition_implILS8_3ELb0ES6_jNS0_17counting_iteratorIjlEEPS9_SE_NS0_5tupleIJPjSE_EEENSF_IJSE_SE_EEES9_SG_JZNS1_25segmented_radix_sort_implINS0_14default_configELb0EPK6__halfPSL_PKlPlN2at6native12_GLOBAL__N_18offset_tEEE10hipError_tPvRmT1_PNSt15iterator_traitsISZ_E10value_typeET2_T3_PNS10_IS15_E10value_typeET4_jRbjT5_S1B_jjP12ihipStream_tbEUljE_EEESW_SX_SY_S15_S19_S1B_T6_T7_T9_mT8_S1D_bDpT10_ENKUlT_T0_E_clISt17integral_constantIbLb0EES1P_IbLb1EEEEDaS1L_S1M_EUlS1L_E_NS1_11comp_targetILNS1_3genE8ELNS1_11target_archE1030ELNS1_3gpuE2ELNS1_3repE0EEENS1_30default_config_static_selectorELNS0_4arch9wavefront6targetE0EEEvSZ_
                                        ; -- End function
	.set _ZN7rocprim17ROCPRIM_400000_NS6detail17trampoline_kernelINS0_13select_configILj256ELj13ELNS0_17block_load_methodE3ELS4_3ELS4_3ELNS0_20block_scan_algorithmE0ELj4294967295EEENS1_25partition_config_selectorILNS1_17partition_subalgoE3EjNS0_10empty_typeEbEEZZNS1_14partition_implILS8_3ELb0ES6_jNS0_17counting_iteratorIjlEEPS9_SE_NS0_5tupleIJPjSE_EEENSF_IJSE_SE_EEES9_SG_JZNS1_25segmented_radix_sort_implINS0_14default_configELb0EPK6__halfPSL_PKlPlN2at6native12_GLOBAL__N_18offset_tEEE10hipError_tPvRmT1_PNSt15iterator_traitsISZ_E10value_typeET2_T3_PNS10_IS15_E10value_typeET4_jRbjT5_S1B_jjP12ihipStream_tbEUljE_EEESW_SX_SY_S15_S19_S1B_T6_T7_T9_mT8_S1D_bDpT10_ENKUlT_T0_E_clISt17integral_constantIbLb0EES1P_IbLb1EEEEDaS1L_S1M_EUlS1L_E_NS1_11comp_targetILNS1_3genE8ELNS1_11target_archE1030ELNS1_3gpuE2ELNS1_3repE0EEENS1_30default_config_static_selectorELNS0_4arch9wavefront6targetE0EEEvSZ_.num_vgpr, 0
	.set _ZN7rocprim17ROCPRIM_400000_NS6detail17trampoline_kernelINS0_13select_configILj256ELj13ELNS0_17block_load_methodE3ELS4_3ELS4_3ELNS0_20block_scan_algorithmE0ELj4294967295EEENS1_25partition_config_selectorILNS1_17partition_subalgoE3EjNS0_10empty_typeEbEEZZNS1_14partition_implILS8_3ELb0ES6_jNS0_17counting_iteratorIjlEEPS9_SE_NS0_5tupleIJPjSE_EEENSF_IJSE_SE_EEES9_SG_JZNS1_25segmented_radix_sort_implINS0_14default_configELb0EPK6__halfPSL_PKlPlN2at6native12_GLOBAL__N_18offset_tEEE10hipError_tPvRmT1_PNSt15iterator_traitsISZ_E10value_typeET2_T3_PNS10_IS15_E10value_typeET4_jRbjT5_S1B_jjP12ihipStream_tbEUljE_EEESW_SX_SY_S15_S19_S1B_T6_T7_T9_mT8_S1D_bDpT10_ENKUlT_T0_E_clISt17integral_constantIbLb0EES1P_IbLb1EEEEDaS1L_S1M_EUlS1L_E_NS1_11comp_targetILNS1_3genE8ELNS1_11target_archE1030ELNS1_3gpuE2ELNS1_3repE0EEENS1_30default_config_static_selectorELNS0_4arch9wavefront6targetE0EEEvSZ_.num_agpr, 0
	.set _ZN7rocprim17ROCPRIM_400000_NS6detail17trampoline_kernelINS0_13select_configILj256ELj13ELNS0_17block_load_methodE3ELS4_3ELS4_3ELNS0_20block_scan_algorithmE0ELj4294967295EEENS1_25partition_config_selectorILNS1_17partition_subalgoE3EjNS0_10empty_typeEbEEZZNS1_14partition_implILS8_3ELb0ES6_jNS0_17counting_iteratorIjlEEPS9_SE_NS0_5tupleIJPjSE_EEENSF_IJSE_SE_EEES9_SG_JZNS1_25segmented_radix_sort_implINS0_14default_configELb0EPK6__halfPSL_PKlPlN2at6native12_GLOBAL__N_18offset_tEEE10hipError_tPvRmT1_PNSt15iterator_traitsISZ_E10value_typeET2_T3_PNS10_IS15_E10value_typeET4_jRbjT5_S1B_jjP12ihipStream_tbEUljE_EEESW_SX_SY_S15_S19_S1B_T6_T7_T9_mT8_S1D_bDpT10_ENKUlT_T0_E_clISt17integral_constantIbLb0EES1P_IbLb1EEEEDaS1L_S1M_EUlS1L_E_NS1_11comp_targetILNS1_3genE8ELNS1_11target_archE1030ELNS1_3gpuE2ELNS1_3repE0EEENS1_30default_config_static_selectorELNS0_4arch9wavefront6targetE0EEEvSZ_.numbered_sgpr, 0
	.set _ZN7rocprim17ROCPRIM_400000_NS6detail17trampoline_kernelINS0_13select_configILj256ELj13ELNS0_17block_load_methodE3ELS4_3ELS4_3ELNS0_20block_scan_algorithmE0ELj4294967295EEENS1_25partition_config_selectorILNS1_17partition_subalgoE3EjNS0_10empty_typeEbEEZZNS1_14partition_implILS8_3ELb0ES6_jNS0_17counting_iteratorIjlEEPS9_SE_NS0_5tupleIJPjSE_EEENSF_IJSE_SE_EEES9_SG_JZNS1_25segmented_radix_sort_implINS0_14default_configELb0EPK6__halfPSL_PKlPlN2at6native12_GLOBAL__N_18offset_tEEE10hipError_tPvRmT1_PNSt15iterator_traitsISZ_E10value_typeET2_T3_PNS10_IS15_E10value_typeET4_jRbjT5_S1B_jjP12ihipStream_tbEUljE_EEESW_SX_SY_S15_S19_S1B_T6_T7_T9_mT8_S1D_bDpT10_ENKUlT_T0_E_clISt17integral_constantIbLb0EES1P_IbLb1EEEEDaS1L_S1M_EUlS1L_E_NS1_11comp_targetILNS1_3genE8ELNS1_11target_archE1030ELNS1_3gpuE2ELNS1_3repE0EEENS1_30default_config_static_selectorELNS0_4arch9wavefront6targetE0EEEvSZ_.num_named_barrier, 0
	.set _ZN7rocprim17ROCPRIM_400000_NS6detail17trampoline_kernelINS0_13select_configILj256ELj13ELNS0_17block_load_methodE3ELS4_3ELS4_3ELNS0_20block_scan_algorithmE0ELj4294967295EEENS1_25partition_config_selectorILNS1_17partition_subalgoE3EjNS0_10empty_typeEbEEZZNS1_14partition_implILS8_3ELb0ES6_jNS0_17counting_iteratorIjlEEPS9_SE_NS0_5tupleIJPjSE_EEENSF_IJSE_SE_EEES9_SG_JZNS1_25segmented_radix_sort_implINS0_14default_configELb0EPK6__halfPSL_PKlPlN2at6native12_GLOBAL__N_18offset_tEEE10hipError_tPvRmT1_PNSt15iterator_traitsISZ_E10value_typeET2_T3_PNS10_IS15_E10value_typeET4_jRbjT5_S1B_jjP12ihipStream_tbEUljE_EEESW_SX_SY_S15_S19_S1B_T6_T7_T9_mT8_S1D_bDpT10_ENKUlT_T0_E_clISt17integral_constantIbLb0EES1P_IbLb1EEEEDaS1L_S1M_EUlS1L_E_NS1_11comp_targetILNS1_3genE8ELNS1_11target_archE1030ELNS1_3gpuE2ELNS1_3repE0EEENS1_30default_config_static_selectorELNS0_4arch9wavefront6targetE0EEEvSZ_.private_seg_size, 0
	.set _ZN7rocprim17ROCPRIM_400000_NS6detail17trampoline_kernelINS0_13select_configILj256ELj13ELNS0_17block_load_methodE3ELS4_3ELS4_3ELNS0_20block_scan_algorithmE0ELj4294967295EEENS1_25partition_config_selectorILNS1_17partition_subalgoE3EjNS0_10empty_typeEbEEZZNS1_14partition_implILS8_3ELb0ES6_jNS0_17counting_iteratorIjlEEPS9_SE_NS0_5tupleIJPjSE_EEENSF_IJSE_SE_EEES9_SG_JZNS1_25segmented_radix_sort_implINS0_14default_configELb0EPK6__halfPSL_PKlPlN2at6native12_GLOBAL__N_18offset_tEEE10hipError_tPvRmT1_PNSt15iterator_traitsISZ_E10value_typeET2_T3_PNS10_IS15_E10value_typeET4_jRbjT5_S1B_jjP12ihipStream_tbEUljE_EEESW_SX_SY_S15_S19_S1B_T6_T7_T9_mT8_S1D_bDpT10_ENKUlT_T0_E_clISt17integral_constantIbLb0EES1P_IbLb1EEEEDaS1L_S1M_EUlS1L_E_NS1_11comp_targetILNS1_3genE8ELNS1_11target_archE1030ELNS1_3gpuE2ELNS1_3repE0EEENS1_30default_config_static_selectorELNS0_4arch9wavefront6targetE0EEEvSZ_.uses_vcc, 0
	.set _ZN7rocprim17ROCPRIM_400000_NS6detail17trampoline_kernelINS0_13select_configILj256ELj13ELNS0_17block_load_methodE3ELS4_3ELS4_3ELNS0_20block_scan_algorithmE0ELj4294967295EEENS1_25partition_config_selectorILNS1_17partition_subalgoE3EjNS0_10empty_typeEbEEZZNS1_14partition_implILS8_3ELb0ES6_jNS0_17counting_iteratorIjlEEPS9_SE_NS0_5tupleIJPjSE_EEENSF_IJSE_SE_EEES9_SG_JZNS1_25segmented_radix_sort_implINS0_14default_configELb0EPK6__halfPSL_PKlPlN2at6native12_GLOBAL__N_18offset_tEEE10hipError_tPvRmT1_PNSt15iterator_traitsISZ_E10value_typeET2_T3_PNS10_IS15_E10value_typeET4_jRbjT5_S1B_jjP12ihipStream_tbEUljE_EEESW_SX_SY_S15_S19_S1B_T6_T7_T9_mT8_S1D_bDpT10_ENKUlT_T0_E_clISt17integral_constantIbLb0EES1P_IbLb1EEEEDaS1L_S1M_EUlS1L_E_NS1_11comp_targetILNS1_3genE8ELNS1_11target_archE1030ELNS1_3gpuE2ELNS1_3repE0EEENS1_30default_config_static_selectorELNS0_4arch9wavefront6targetE0EEEvSZ_.uses_flat_scratch, 0
	.set _ZN7rocprim17ROCPRIM_400000_NS6detail17trampoline_kernelINS0_13select_configILj256ELj13ELNS0_17block_load_methodE3ELS4_3ELS4_3ELNS0_20block_scan_algorithmE0ELj4294967295EEENS1_25partition_config_selectorILNS1_17partition_subalgoE3EjNS0_10empty_typeEbEEZZNS1_14partition_implILS8_3ELb0ES6_jNS0_17counting_iteratorIjlEEPS9_SE_NS0_5tupleIJPjSE_EEENSF_IJSE_SE_EEES9_SG_JZNS1_25segmented_radix_sort_implINS0_14default_configELb0EPK6__halfPSL_PKlPlN2at6native12_GLOBAL__N_18offset_tEEE10hipError_tPvRmT1_PNSt15iterator_traitsISZ_E10value_typeET2_T3_PNS10_IS15_E10value_typeET4_jRbjT5_S1B_jjP12ihipStream_tbEUljE_EEESW_SX_SY_S15_S19_S1B_T6_T7_T9_mT8_S1D_bDpT10_ENKUlT_T0_E_clISt17integral_constantIbLb0EES1P_IbLb1EEEEDaS1L_S1M_EUlS1L_E_NS1_11comp_targetILNS1_3genE8ELNS1_11target_archE1030ELNS1_3gpuE2ELNS1_3repE0EEENS1_30default_config_static_selectorELNS0_4arch9wavefront6targetE0EEEvSZ_.has_dyn_sized_stack, 0
	.set _ZN7rocprim17ROCPRIM_400000_NS6detail17trampoline_kernelINS0_13select_configILj256ELj13ELNS0_17block_load_methodE3ELS4_3ELS4_3ELNS0_20block_scan_algorithmE0ELj4294967295EEENS1_25partition_config_selectorILNS1_17partition_subalgoE3EjNS0_10empty_typeEbEEZZNS1_14partition_implILS8_3ELb0ES6_jNS0_17counting_iteratorIjlEEPS9_SE_NS0_5tupleIJPjSE_EEENSF_IJSE_SE_EEES9_SG_JZNS1_25segmented_radix_sort_implINS0_14default_configELb0EPK6__halfPSL_PKlPlN2at6native12_GLOBAL__N_18offset_tEEE10hipError_tPvRmT1_PNSt15iterator_traitsISZ_E10value_typeET2_T3_PNS10_IS15_E10value_typeET4_jRbjT5_S1B_jjP12ihipStream_tbEUljE_EEESW_SX_SY_S15_S19_S1B_T6_T7_T9_mT8_S1D_bDpT10_ENKUlT_T0_E_clISt17integral_constantIbLb0EES1P_IbLb1EEEEDaS1L_S1M_EUlS1L_E_NS1_11comp_targetILNS1_3genE8ELNS1_11target_archE1030ELNS1_3gpuE2ELNS1_3repE0EEENS1_30default_config_static_selectorELNS0_4arch9wavefront6targetE0EEEvSZ_.has_recursion, 0
	.set _ZN7rocprim17ROCPRIM_400000_NS6detail17trampoline_kernelINS0_13select_configILj256ELj13ELNS0_17block_load_methodE3ELS4_3ELS4_3ELNS0_20block_scan_algorithmE0ELj4294967295EEENS1_25partition_config_selectorILNS1_17partition_subalgoE3EjNS0_10empty_typeEbEEZZNS1_14partition_implILS8_3ELb0ES6_jNS0_17counting_iteratorIjlEEPS9_SE_NS0_5tupleIJPjSE_EEENSF_IJSE_SE_EEES9_SG_JZNS1_25segmented_radix_sort_implINS0_14default_configELb0EPK6__halfPSL_PKlPlN2at6native12_GLOBAL__N_18offset_tEEE10hipError_tPvRmT1_PNSt15iterator_traitsISZ_E10value_typeET2_T3_PNS10_IS15_E10value_typeET4_jRbjT5_S1B_jjP12ihipStream_tbEUljE_EEESW_SX_SY_S15_S19_S1B_T6_T7_T9_mT8_S1D_bDpT10_ENKUlT_T0_E_clISt17integral_constantIbLb0EES1P_IbLb1EEEEDaS1L_S1M_EUlS1L_E_NS1_11comp_targetILNS1_3genE8ELNS1_11target_archE1030ELNS1_3gpuE2ELNS1_3repE0EEENS1_30default_config_static_selectorELNS0_4arch9wavefront6targetE0EEEvSZ_.has_indirect_call, 0
	.section	.AMDGPU.csdata,"",@progbits
; Kernel info:
; codeLenInByte = 0
; TotalNumSgprs: 0
; NumVgprs: 0
; ScratchSize: 0
; MemoryBound: 0
; FloatMode: 240
; IeeeMode: 1
; LDSByteSize: 0 bytes/workgroup (compile time only)
; SGPRBlocks: 0
; VGPRBlocks: 0
; NumSGPRsForWavesPerEU: 1
; NumVGPRsForWavesPerEU: 1
; NamedBarCnt: 0
; Occupancy: 16
; WaveLimiterHint : 0
; COMPUTE_PGM_RSRC2:SCRATCH_EN: 0
; COMPUTE_PGM_RSRC2:USER_SGPR: 2
; COMPUTE_PGM_RSRC2:TRAP_HANDLER: 0
; COMPUTE_PGM_RSRC2:TGID_X_EN: 1
; COMPUTE_PGM_RSRC2:TGID_Y_EN: 0
; COMPUTE_PGM_RSRC2:TGID_Z_EN: 0
; COMPUTE_PGM_RSRC2:TIDIG_COMP_CNT: 0
	.text
	.p2align	2                               ; -- Begin function _ZN7rocprim17ROCPRIM_400000_NS6detail40segmented_radix_sort_single_block_helperI6__halflLj256ELj16ELb0EE4sortIPKS3_PS3_PKlPlEEbT_T0_T1_T2_jjjjRNS4_12storage_typeE
	.type	_ZN7rocprim17ROCPRIM_400000_NS6detail40segmented_radix_sort_single_block_helperI6__halflLj256ELj16ELb0EE4sortIPKS3_PS3_PKlPlEEbT_T0_T1_T2_jjjjRNS4_12storage_typeE,@function
_ZN7rocprim17ROCPRIM_400000_NS6detail40segmented_radix_sort_single_block_helperI6__halflLj256ELj16ELb0EE4sortIPKS3_PS3_PKlPlEEbT_T0_T1_T2_jjjjRNS4_12storage_typeE: ; @_ZN7rocprim17ROCPRIM_400000_NS6detail40segmented_radix_sort_single_block_helperI6__halflLj256ELj16ELb0EE4sortIPKS3_PS3_PKlPlEEbT_T0_T1_T2_jjjjRNS4_12storage_typeE
; %bb.0:
	s_wait_loadcnt_dscnt 0x0
	s_wait_kmcnt 0x0
	s_set_vgpr_msb 64                       ;  msbs: dst=1 src0=0 src1=0 src2=0
	v_sub_nc_u32_e32 v0 /*v256*/, v9, v8
	s_mov_b32 s22, exec_lo
	s_set_vgpr_msb 4                        ;  msbs: dst=0 src0=0 src1=1 src2=0
	s_delay_alu instid0(VALU_DEP_1)
	v_cmpx_gt_u32_e32 0x1001, v0 /*v256*/
	s_set_vgpr_msb 0                        ;  msbs: dst=0 src0=0 src1=0 src2=0
	s_cbranch_execz .LBB1832_372
; %bb.1:
	v_bfe_u32 v9, v31, 10, 10
	v_bfe_u32 v14, v31, 20, 10
	v_and_b32_e32 v30, 0x3ff, v31
	v_mbcnt_lo_u32_b32 v33, -1, 0
	s_getreg_b32 s23, hwreg(HW_REG_IB_STS2, 6, 4)
	s_mov_b32 s0, exec_lo
	s_set_vgpr_msb 4                        ;  msbs: dst=0 src0=0 src1=1 src2=0
	v_cmpx_lt_u32_e32 0x800, v0 /*v256*/
	s_xor_b32 s21, exec_lo, s0
	s_set_vgpr_msb 0                        ;  msbs: dst=0 src0=0 src1=0 src2=0
	s_cbranch_execz .LBB1832_143
; %bb.2:
	s_load_b64 s[0:1], s[8:9], 0x0
	s_bfe_u32 s3, ttmp6, 0x4000c
	s_bfe_u32 s5, ttmp6, 0x40010
	s_and_b32 s4, ttmp7, 0xffff
	s_add_co_i32 s3, s3, 1
	s_add_co_i32 s5, s5, 1
	s_and_b32 s2, ttmp6, 15
	s_bfe_u32 s6, ttmp6, 0x40004
	s_mul_i32 s3, ttmp9, s3
	s_mul_i32 s5, s4, s5
	s_add_co_i32 s2, s2, s3
	s_add_co_i32 s6, s6, s5
	s_cmp_eq_u32 s23, 0
	s_mov_b32 s3, 0
	s_cselect_b32 s2, ttmp9, s2
	s_cselect_b32 s4, s4, s6
	s_wait_kmcnt 0x0
	s_cmp_lt_u32 s2, s0
	s_cselect_b32 s2, 12, 18
	s_cmp_lt_u32 s4, s1
	s_mov_b32 s1, s3
	s_cselect_b32 s0, 14, 20
	s_delay_alu instid0(SALU_CYCLE_1)
	s_add_nc_u64 s[0:1], s[8:9], s[0:1]
	s_load_u16 s4, s[0:1], 0x0
	s_wait_xcnt 0x0
	s_add_nc_u64 s[0:1], s[8:9], s[2:3]
	s_load_u16 s0, s[0:1], 0x0
	s_wait_kmcnt 0x0
	v_mad_u32_u24 v9, v14, s4, v9
	v_lshlrev_b32_e32 v14, 1, v33
	s_delay_alu instid0(VALU_DEP_2) | instskip(SKIP_1) | instid1(VALU_DEP_1)
	v_mad_u32 v38, v9, s0, v30
	v_mov_b32_e32 v9, 0
	v_lshl_add_u64 v[16:17], v[8:9], 1, v[0:1]
	s_delay_alu instid0(VALU_DEP_3) | instskip(NEXT) | instid1(VALU_DEP_1)
	v_dual_mov_b32 v15, v9 :: v_dual_lshlrev_b32 v18, 4, v38
	v_add_nc_u64_e32 v[14:15], v[16:17], v[14:15]
	v_dual_mov_b32 v16, 0x7fff :: v_dual_mov_b32 v17, 0x7fff
	s_delay_alu instid0(VALU_DEP_3) | instskip(NEXT) | instid1(VALU_DEP_1)
	v_and_b32_e32 v0, 0xfffffe00, v18
	v_dual_mov_b32 v1, v9 :: v_dual_bitop2_b32 v34, v0, v33 bitop3:0x54
	s_delay_alu instid0(VALU_DEP_1) | instskip(SKIP_1) | instid1(VALU_DEP_2)
	v_lshl_add_u64 v[14:15], v[0:1], 1, v[14:15]
	s_set_vgpr_msb 4                        ;  msbs: dst=0 src0=0 src1=1 src2=0
	v_cmp_lt_u32_e32 vcc_lo, v34, v0 /*v256*/
	s_and_saveexec_b32 s0, vcc_lo
	s_set_vgpr_msb 0                        ;  msbs: dst=0 src0=0 src1=0 src2=0
	s_cbranch_execz .LBB1832_4
; %bb.3:
	flat_load_u16 v17, v[14:15]
.LBB1832_4:
	s_wait_xcnt 0x0
	s_or_b32 exec_lo, exec_lo, s0
	v_or_b32_e32 v18, 32, v34
	s_set_vgpr_msb 4                        ;  msbs: dst=0 src0=0 src1=1 src2=0
	s_delay_alu instid0(VALU_DEP_1)
	v_cmp_lt_u32_e64 s0, v18, v0 /*v256*/
	s_and_saveexec_b32 s1, s0
	s_set_vgpr_msb 0                        ;  msbs: dst=0 src0=0 src1=0 src2=0
	s_cbranch_execz .LBB1832_6
; %bb.5:
	flat_load_u16 v16, v[14:15] offset:64
.LBB1832_6:
	s_wait_xcnt 0x0
	s_or_b32 exec_lo, exec_lo, s1
	v_or_b32_e32 v19, 64, v34
	v_mov_b32_e32 v18, 0x7fff
	s_set_vgpr_msb 4                        ;  msbs: dst=0 src0=0 src1=1 src2=0
	s_delay_alu instid0(VALU_DEP_2)
	v_cmp_lt_u32_e64 s1, v19, v0 /*v256*/
	v_mov_b32_e32 v19, 0x7fff
	s_and_saveexec_b32 s2, s1
	s_set_vgpr_msb 0                        ;  msbs: dst=0 src0=0 src1=0 src2=0
	s_cbranch_execz .LBB1832_8
; %bb.7:
	flat_load_u16 v19, v[14:15] offset:128
.LBB1832_8:
	s_wait_xcnt 0x0
	s_or_b32 exec_lo, exec_lo, s2
	v_or_b32_e32 v20, 0x60, v34
	s_set_vgpr_msb 4                        ;  msbs: dst=0 src0=0 src1=1 src2=0
	s_delay_alu instid0(VALU_DEP_1)
	v_cmp_lt_u32_e64 s2, v20, v0 /*v256*/
	s_and_saveexec_b32 s3, s2
	s_set_vgpr_msb 0                        ;  msbs: dst=0 src0=0 src1=0 src2=0
	s_cbranch_execz .LBB1832_10
; %bb.9:
	flat_load_u16 v18, v[14:15] offset:192
.LBB1832_10:
	s_wait_xcnt 0x0
	s_or_b32 exec_lo, exec_lo, s3
	v_or_b32_e32 v21, 0x80, v34
	v_mov_b32_e32 v20, 0x7fff
	s_set_vgpr_msb 4                        ;  msbs: dst=0 src0=0 src1=1 src2=0
	s_delay_alu instid0(VALU_DEP_2)
	v_cmp_lt_u32_e64 s3, v21, v0 /*v256*/
	v_mov_b32_e32 v21, 0x7fff
	s_and_saveexec_b32 s4, s3
	s_set_vgpr_msb 0                        ;  msbs: dst=0 src0=0 src1=0 src2=0
	s_cbranch_execz .LBB1832_12
; %bb.11:
	flat_load_u16 v21, v[14:15] offset:256
.LBB1832_12:
	;; [unrolled: 26-line block ×7, first 2 shown]
	s_wait_xcnt 0x0
	s_or_b32 exec_lo, exec_lo, s16
	v_or_b32_e32 v34, 0x1e0, v34
	s_set_vgpr_msb 4                        ;  msbs: dst=0 src0=0 src1=1 src2=0
	s_delay_alu instid0(VALU_DEP_1)
	v_cmp_lt_u32_e64 s16, v34, v0 /*v256*/
	s_and_saveexec_b32 s17, s16
	s_set_vgpr_msb 0                        ;  msbs: dst=0 src0=0 src1=0 src2=0
	s_cbranch_execz .LBB1832_34
; %bb.33:
	flat_load_u16 v31, v[14:15] offset:960
.LBB1832_34:
	s_wait_xcnt 0x0
	s_or_b32 exec_lo, exec_lo, s17
	v_lshl_add_u64 v[4:5], v[8:9], 3, v[4:5]
	v_dual_mov_b32 v15, 0 :: v_dual_lshlrev_b32 v14, 3, v33
                                        ; implicit-def: $vgpr66_vgpr67
	s_delay_alu instid0(VALU_DEP_1) | instskip(NEXT) | instid1(VALU_DEP_1)
	v_add_nc_u64_e32 v[4:5], v[4:5], v[14:15]
	v_lshl_add_u64 v[0:1], v[0:1], 3, v[4:5]
	s_and_saveexec_b32 s17, vcc_lo
	s_cbranch_execnz .LBB1832_196
; %bb.35:
	s_or_b32 exec_lo, exec_lo, s17
                                        ; implicit-def: $vgpr68_vgpr69
	s_and_saveexec_b32 s17, s0
	s_cbranch_execnz .LBB1832_197
.LBB1832_36:
	s_or_b32 exec_lo, exec_lo, s17
                                        ; implicit-def: $vgpr70_vgpr71
	s_and_saveexec_b32 s0, s1
	s_cbranch_execnz .LBB1832_198
.LBB1832_37:
	s_or_b32 exec_lo, exec_lo, s0
                                        ; implicit-def: $vgpr80_vgpr81
	s_and_saveexec_b32 s0, s2
	s_cbranch_execnz .LBB1832_199
.LBB1832_38:
	s_or_b32 exec_lo, exec_lo, s0
                                        ; implicit-def: $vgpr82_vgpr83
	s_and_saveexec_b32 s0, s3
	s_cbranch_execnz .LBB1832_200
.LBB1832_39:
	s_or_b32 exec_lo, exec_lo, s0
                                        ; implicit-def: $vgpr84_vgpr85
	s_and_saveexec_b32 s0, s4
	s_cbranch_execnz .LBB1832_201
.LBB1832_40:
	s_or_b32 exec_lo, exec_lo, s0
                                        ; implicit-def: $vgpr86_vgpr87
	s_and_saveexec_b32 s0, s5
	s_cbranch_execnz .LBB1832_202
.LBB1832_41:
	s_or_b32 exec_lo, exec_lo, s0
                                        ; implicit-def: $vgpr98_vgpr99
	s_and_saveexec_b32 s0, s6
	s_cbranch_execnz .LBB1832_203
.LBB1832_42:
	s_or_b32 exec_lo, exec_lo, s0
                                        ; implicit-def: $vgpr102_vgpr103
	s_and_saveexec_b32 s0, s7
	s_cbranch_execnz .LBB1832_204
.LBB1832_43:
	s_or_b32 exec_lo, exec_lo, s0
                                        ; implicit-def: $vgpr96_vgpr97
	s_and_saveexec_b32 s0, s10
	s_cbranch_execnz .LBB1832_205
.LBB1832_44:
	s_or_b32 exec_lo, exec_lo, s0
                                        ; implicit-def: $vgpr100_vgpr101
	s_and_saveexec_b32 s0, s11
	s_cbranch_execnz .LBB1832_206
.LBB1832_45:
	s_or_b32 exec_lo, exec_lo, s0
                                        ; implicit-def: $vgpr112_vgpr113
	s_and_saveexec_b32 s0, s12
	s_cbranch_execnz .LBB1832_207
.LBB1832_46:
	s_or_b32 exec_lo, exec_lo, s0
                                        ; implicit-def: $vgpr114_vgpr115
	s_and_saveexec_b32 s0, s13
	s_cbranch_execnz .LBB1832_208
.LBB1832_47:
	s_or_b32 exec_lo, exec_lo, s0
                                        ; implicit-def: $vgpr118_vgpr119
	s_and_saveexec_b32 s0, s14
	s_cbranch_execnz .LBB1832_209
.LBB1832_48:
	s_or_b32 exec_lo, exec_lo, s0
                                        ; implicit-def: $vgpr164_vgpr165
	s_and_saveexec_b32 s0, s15
	s_cbranch_execnz .LBB1832_210
.LBB1832_49:
	s_or_b32 exec_lo, exec_lo, s0
                                        ; implicit-def: $vgpr176_vgpr177
	s_and_saveexec_b32 s0, s16
	s_cbranch_execz .LBB1832_51
.LBB1832_50:
	flat_load_b64 v[176:177], v[0:1] offset:3840
.LBB1832_51:
	s_wait_xcnt 0x0
	s_or_b32 exec_lo, exec_lo, s0
	s_wait_loadcnt_dscnt 0x0
	v_cmp_lt_i16_e32 vcc_lo, -1, v17
	s_get_pc_i64 s[0:1]
	s_add_nc_u64 s[0:1], s[0:1], _ZN7rocprim17ROCPRIM_400000_NS16block_radix_sortI6__halfLj256ELj16ElLj1ELj1ELj8ELNS0_26block_radix_rank_algorithmE2ELNS0_18block_padding_hintE2ELNS0_4arch9wavefront6targetE0EE19radix_bits_per_passE@rel64+4
	v_mov_b64_e32 v[64:65], 0
	s_load_b32 s24, s[0:1], 0x0
	v_cmp_lt_u32_e64 s7, 31, v30
	v_cndmask_b32_e64 v0, -1, 0xffff8000, vcc_lo
	v_cmp_lt_i16_e32 vcc_lo, -1, v16
	v_cmp_eq_u32_e64 s10, 0, v30
	s_set_vgpr_msb 64                       ;  msbs: dst=1 src0=0 src1=0 src2=0
	v_lshl_add_u32 v11 /*v267*/, v30, 2, v12
	s_mov_b32 s25, 0
	s_set_vgpr_msb 0                        ;  msbs: dst=0 src0=0 src1=0 src2=0
	v_xor_b32_e32 v183, v0, v17
	v_cndmask_b32_e64 v1, -1, 0xffff8000, vcc_lo
	v_cmp_lt_i16_e32 vcc_lo, -1, v19
	s_wait_storecnt 0x0
	s_barrier_signal -1
	s_barrier_wait -1
	v_xor_b32_e32 v133, v1, v16
	v_cndmask_b32_e64 v4, -1, 0xffff8000, vcc_lo
	v_cmp_lt_i16_e32 vcc_lo, -1, v18
	s_set_vgpr_msb 64                       ;  msbs: dst=1 src0=0 src1=0 src2=0
	v_lshrrev_b32_e32 v7 /*v263*/, 5, v38
	v_sub_nc_u32_e32 v30 /*v286*/, v11, v10
	s_set_vgpr_msb 0                        ;  msbs: dst=0 src0=0 src1=0 src2=0
	v_xor_b32_e32 v135, v4, v19
	v_cndmask_b32_e64 v0, -1, 0xffff8000, vcc_lo
	v_cmp_lt_i16_e32 vcc_lo, -1, v21
	s_delay_alu instid0(VALU_DEP_2) | instskip(SKIP_2) | instid1(VALU_DEP_2)
	v_xor_b32_e32 v149, v0, v18
	v_cndmask_b32_e64 v1, -1, 0xffff8000, vcc_lo
	v_cmp_lt_i16_e32 vcc_lo, -1, v20
	v_xor_b32_e32 v167, v1, v21
	v_cndmask_b32_e64 v4, -1, 0xffff8000, vcc_lo
	v_cmp_lt_i16_e32 vcc_lo, -1, v23
	s_delay_alu instid0(VALU_DEP_2) | instskip(SKIP_2) | instid1(VALU_DEP_2)
	v_xor_b32_e32 v161, v4, v20
	v_cndmask_b32_e64 v5, -1, 0xffff8000, vcc_lo
	v_cmp_lt_i16_e32 vcc_lo, -1, v22
	;; [unrolled: 7-line block ×3, first 2 shown]
	v_xor_b32_e32 v181, v0, v25
	v_cndmask_b32_e64 v1, -1, 0xffff8000, vcc_lo
	v_cmp_lt_i16_e32 vcc_lo, -1, v27
	v_cndmask_b32_e64 v4, -1, 0xffff8000, vcc_lo
	v_cmp_lt_i16_e32 vcc_lo, -1, v26
	s_delay_alu instid0(VALU_DEP_2) | instskip(SKIP_2) | instid1(VALU_DEP_2)
	v_xor_b32_e32 v179, v4, v27
	v_cndmask_b32_e64 v5, -1, 0xffff8000, vcc_lo
	v_cmp_lt_i16_e32 vcc_lo, -1, v29
	v_xor_b32_e32 v129, v5, v26
	v_cndmask_b32_e64 v14, -1, 0xffff8000, vcc_lo
	v_cmp_lt_i16_e32 vcc_lo, -1, v28
	v_lshl_add_u32 v5, v30, 5, v12
	s_set_vgpr_msb 64                       ;  msbs: dst=1 src0=0 src1=0 src2=0
	v_xor_b32_e32 v47 /*v303*/, v1, v24
	s_set_vgpr_msb 0                        ;  msbs: dst=0 src0=0 src1=0 src2=0
	v_xor_b32_e32 v117, v14, v29
	v_cndmask_b32_e64 v0, -1, 0xffff8000, vcc_lo
	v_cmp_lt_i16_e32 vcc_lo, -1, v32
	v_add_nc_u32_e32 v39, 36, v5
	s_set_vgpr_msb 64                       ;  msbs: dst=1 src0=0 src1=0 src2=0
	v_dual_add_nc_u32 v1 /*v257*/, 40, v5 :: v_dual_add_nc_u32 v2 /*v258*/, 44, v5
	v_add_nc_u32_e32 v3 /*v259*/, 48, v5
	s_set_vgpr_msb 0                        ;  msbs: dst=0 src0=0 src1=0 src2=0
	v_cndmask_b32_e64 v1, -1, 0xffff8000, vcc_lo
	v_cmp_lt_i16_e32 vcc_lo, -1, v31
	v_xor_b32_e32 v131, v0, v28
	v_and_b32_e32 v0, 0x3e0, v30
	s_set_vgpr_msb 64                       ;  msbs: dst=1 src0=0 src1=0 src2=0
	v_dual_add_nc_u32 v4 /*v260*/, 52, v5 :: v_dual_add_nc_u32 v5 /*v261*/, 56, v5
	s_set_vgpr_msb 0                        ;  msbs: dst=0 src0=0 src1=0 src2=0
	v_cndmask_b32_e64 v4, -1, 0xffff8000, vcc_lo
	v_xor_b32_e32 v145, v1, v32
	v_and_b32_e32 v1, 15, v33
	s_set_vgpr_msb 64                       ;  msbs: dst=1 src0=0 src1=0 src2=0
	v_add_nc_u32_e32 v6 /*v262*/, 60, v5
	s_set_vgpr_msb 0                        ;  msbs: dst=0 src0=0 src1=0 src2=0
	v_min_u32_e32 v0, 0xe0, v0
	v_dual_add_nc_u32 v31, 32, v5 :: v_dual_bitop2_b32 v147, v4, v31 bitop3:0x14
	v_cmp_eq_u32_e32 vcc_lo, 0, v1
	s_wait_xcnt 0x0
	v_cmp_lt_u32_e64 s0, 1, v1
	v_cmp_lt_u32_e64 s1, 3, v1
	v_sub_co_u32 v5, s2, v33, 1
	v_cmp_lt_u32_e64 s3, 7, v1
	v_dual_lshlrev_b32 v1, 4, v30 :: v_dual_bitop2_b32 v4, 16, v33 bitop3:0x40
	v_or_b32_e32 v0, 31, v0
	s_delay_alu instid0(VALU_DEP_4) | instskip(NEXT) | instid1(VALU_DEP_3)
	v_cmp_gt_i32_e64 s6, 0, v5
	v_and_or_b32 v1, 0x3e00, v1, v33
	s_delay_alu instid0(VALU_DEP_4) | instskip(NEXT) | instid1(VALU_DEP_4)
	v_cmp_eq_u32_e64 s4, 0, v4
	v_cmp_eq_u32_e64 s5, v30, v0
	s_delay_alu instid0(VALU_DEP_4)
	v_dual_lshrrev_b32 v0, 3, v30 :: v_dual_cndmask_b32 v4, v5, v33, s6
	s_set_vgpr_msb 64                       ;  msbs: dst=1 src0=0 src1=0 src2=0
	v_lshl_add_u32 v9 /*v265*/, v1, 1, v12
	s_set_vgpr_msb 0                        ;  msbs: dst=0 src0=0 src1=0 src2=0
	v_mul_u32_u24_e32 v5, 6, v1
	v_cmp_gt_u32_e64 s6, 8, v30
	v_and_b32_e32 v0, 0x7c, v0
	s_set_vgpr_msb 64                       ;  msbs: dst=1 src0=0 src1=0 src2=0
	v_lshlrev_b32_e32 v8 /*v264*/, 2, v4
	s_set_vgpr_msb 0                        ;  msbs: dst=0 src0=0 src1=0 src2=0
	v_and_b32_e32 v4, 7, v33
	s_set_vgpr_msb 0x41                     ;  msbs: dst=1 src0=1 src1=0 src2=0
	v_add_nc_u32_e32 v12 /*v268*/, v9 /*v265*/, v5
	s_set_vgpr_msb 0                        ;  msbs: dst=0 src0=0 src1=0 src2=0
	v_mov_b32_e32 v1, 0
	s_set_vgpr_msb 64                       ;  msbs: dst=1 src0=0 src1=0 src2=0
	v_add_nc_u32_e32 v10 /*v266*/, v12, v0
	s_set_vgpr_msb 0x44                     ;  msbs: dst=1 src0=0 src1=1 src2=0
	v_add_nc_u32_e32 v13 /*v269*/, 0x380, v9 /*v265*/
	s_set_vgpr_msb 0                        ;  msbs: dst=0 src0=0 src1=0 src2=0
	v_cmp_eq_u32_e64 s11, 0, v4
	v_cmp_lt_u32_e64 s12, 1, v4
	v_cmp_lt_u32_e64 s13, 3, v4
	s_set_vgpr_msb 0x44                     ;  msbs: dst=1 src0=0 src1=1 src2=0
	v_add_nc_u32_e32 v14 /*v270*/, 0x3c0, v9 /*v265*/
	v_add_nc_u32_e32 v15 /*v271*/, 0x100, v12 /*v268*/
	;; [unrolled: 1-line block ×16, first 2 shown]
	s_set_vgpr_msb 0                        ;  msbs: dst=0 src0=0 src1=0 src2=0
	s_branch .LBB1832_53
.LBB1832_52:                            ;   in Loop: Header=BB1832_53 Depth=1
	s_or_b32 exec_lo, exec_lo, s15
	s_delay_alu instid0(SALU_CYCLE_1) | instskip(NEXT) | instid1(SALU_CYCLE_1)
	s_and_b32 s14, exec_lo, s16
	s_or_b32 s25, s14, s25
	s_delay_alu instid0(SALU_CYCLE_1)
	s_and_not1_b32 exec_lo, exec_lo, s25
	s_cbranch_execz .LBB1832_93
.LBB1832_53:                            ; =>This Inner Loop Header: Depth=1
	s_set_vgpr_msb 64                       ;  msbs: dst=1 src0=0 src1=0 src2=0
	v_dual_mov_b32 v31 /*v287*/, v183 :: v_dual_mov_b32 v34 /*v290*/, v133
	s_wait_kmcnt 0x0
	s_set_vgpr_msb 4                        ;  msbs: dst=0 src0=0 src1=1 src2=0
	v_min_u32_e32 v48, s24, v30 /*v286*/
	v_mov_b64_e32 v[26:27], v[68:69]
	v_mov_b64_e32 v[28:29], v[66:67]
	v_cmp_ne_u16_e64 s14, 0x7fff, v31 /*v287*/
	v_mov_b64_e32 v[24:25], v[70:71]
	v_lshlrev_b32_e64 v68, v48, -1
	v_mov_b64_e32 v[22:23], v[80:81]
	v_mov_b64_e32 v[20:21], v[82:83]
	v_cndmask_b32_e64 v0, 0xffff8000, v31 /*v287*/, s14
	v_mov_b64_e32 v[18:19], v[84:85]
	v_mov_b64_e32 v[16:17], v[86:87]
	;; [unrolled: 1-line block ×4, first 2 shown]
	s_set_vgpr_msb 0                        ;  msbs: dst=0 src0=0 src1=0 src2=0
	v_and_b32_e32 v0, 0xffff, v0
	v_mov_b64_e32 v[54:55], v[96:97]
	v_mov_b64_e32 v[52:53], v[100:101]
	;; [unrolled: 1-line block ×4, first 2 shown]
	v_lshrrev_b32_e32 v0, v10, v0
	v_mov_b64_e32 v[34:35], v[118:119]
	v_mov_b64_e32 v[32:33], v[164:165]
	;; [unrolled: 1-line block ×3, first 2 shown]
	s_set_vgpr_msb 64                       ;  msbs: dst=1 src0=0 src1=0 src2=0
	v_dual_mov_b32 v33 /*v289*/, v135 :: v_dual_mov_b32 v32 /*v288*/, v149
	s_set_vgpr_msb 0                        ;  msbs: dst=0 src0=0 src1=0 src2=0
	v_bitop3_b32 v66, v0, v68, v0 bitop3:0x30
	s_set_vgpr_msb 64                       ;  msbs: dst=1 src0=0 src1=0 src2=0
	v_dual_mov_b32 v35 /*v291*/, v167 :: v_dual_mov_b32 v37 /*v293*/, v161
	v_dual_mov_b32 v36 /*v292*/, v163 :: v_dual_mov_b32 v39 /*v295*/, v151
	s_set_vgpr_msb 0                        ;  msbs: dst=0 src0=0 src1=0 src2=0
	v_lshlrev_b32_e32 v67, 30, v66
	v_bitop3_b32 v0, v0, 1, v68 bitop3:0x40
	v_lshlrev_b32_e32 v81, 25, v66
	s_set_vgpr_msb 64                       ;  msbs: dst=1 src0=0 src1=0 src2=0
	v_dual_mov_b32 v38 /*v294*/, v181 :: v_dual_mov_b32 v41 /*v297*/, v179
	s_set_vgpr_msb 0                        ;  msbs: dst=0 src0=0 src1=0 src2=0
	v_not_b32_e32 v70, v67
	v_add_co_u32 v0, s14, v0, -1
	s_delay_alu instid0(VALU_DEP_1)
	v_cndmask_b32_e64 v69, 0, 1, s14
	v_cmp_gt_i32_e64 s15, 0, v67
	s_set_vgpr_msb 0x41                     ;  msbs: dst=1 src0=1 src1=0 src2=0
	v_mov_b32_e32 v40 /*v296*/, v47 /*v303*/
	s_set_vgpr_msb 64                       ;  msbs: dst=1 src0=0 src1=0 src2=0
	v_dual_mov_b32 v42 /*v298*/, v129 :: v_dual_mov_b32 v43 /*v299*/, v117
	v_cmp_ne_u32_e64 s14, 0, v69
	s_set_vgpr_msb 0                        ;  msbs: dst=0 src0=0 src1=0 src2=0
	v_lshlrev_b32_e32 v69, 29, v66
	v_ashrrev_i32_e32 v67, 31, v70
	v_lshlrev_b32_e32 v70, 28, v66
	s_set_vgpr_msb 64                       ;  msbs: dst=1 src0=0 src1=0 src2=0
	v_dual_mov_b32 v45 /*v301*/, v131 :: v_dual_mov_b32 v44 /*v300*/, v145
	s_set_vgpr_msb 0                        ;  msbs: dst=0 src0=0 src1=0 src2=0
	v_not_b32_e32 v71, v69
	v_xor_b32_e32 v0, s14, v0
	v_xor_b32_e32 v67, s15, v67
	v_not_b32_e32 v80, v70
	v_cmp_gt_i32_e64 s14, 0, v69
	v_dual_ashrrev_i32 v69, 31, v71 :: v_dual_lshlrev_b32 v71, 27, v66
	v_cmp_gt_i32_e64 s15, 0, v70
	s_delay_alu instid0(VALU_DEP_4) | instskip(SKIP_1) | instid1(VALU_DEP_4)
	v_ashrrev_i32_e32 v70, 31, v80
	v_bitop3_b32 v0, v0, v67, exec_lo bitop3:0x80
	v_dual_lshlrev_b32 v67, 26, v66 :: v_dual_bitop2_b32 v69, s14, v69 bitop3:0x14
	v_not_b32_e32 v80, v71
	s_delay_alu instid0(VALU_DEP_4) | instskip(SKIP_1) | instid1(VALU_DEP_4)
	v_xor_b32_e32 v70, s15, v70
	v_cmp_gt_i32_e64 s14, 0, v71
	v_not_b32_e32 v71, v67
	v_cmp_gt_i32_e64 s15, 0, v67
	v_dual_ashrrev_i32 v80, 31, v80 :: v_dual_lshlrev_b32 v67, 24, v66
	v_bitop3_b32 v0, v0, v70, v69 bitop3:0x80
	s_delay_alu instid0(VALU_DEP_4) | instskip(SKIP_1) | instid1(VALU_DEP_4)
	v_ashrrev_i32_e32 v71, 31, v71
	v_not_b32_e32 v69, v81
	v_xor_b32_e32 v70, s14, v80
	v_not_b32_e32 v80, v67
	v_cmp_gt_i32_e64 s14, 0, v81
	s_delay_alu instid0(VALU_DEP_4) | instskip(SKIP_1) | instid1(VALU_DEP_4)
	v_dual_ashrrev_i32 v69, 31, v69 :: v_dual_bitop2_b32 v71, s15, v71 bitop3:0x14
	v_cmp_gt_i32_e64 s15, 0, v67
	v_dual_ashrrev_i32 v67, 31, v80 :: v_dual_lshlrev_b32 v66, 3, v66
	s_delay_alu instid0(VALU_DEP_3) | instskip(NEXT) | instid1(VALU_DEP_4)
	v_bitop3_b32 v70, v0, v71, v70 bitop3:0x80
	v_xor_b32_e32 v69, s14, v69
	s_set_vgpr_msb 64                       ;  msbs: dst=1 src0=0 src1=0 src2=0
	v_mov_b32_e32 v46 /*v302*/, v147
	s_set_vgpr_msb 0                        ;  msbs: dst=0 src0=0 src1=0 src2=0
	v_xor_b32_e32 v67, s15, v67
	s_set_vgpr_msb 4                        ;  msbs: dst=0 src0=0 src1=1 src2=0
	v_add_lshl_u32 v0, v66, v7 /*v263*/, 2
	s_set_vgpr_msb 0                        ;  msbs: dst=0 src0=0 src1=0 src2=0
	ds_store_b64 v31, v[64:65]
	s_set_vgpr_msb 1                        ;  msbs: dst=0 src0=1 src1=0 src2=0
	ds_store_b64 v1 /*v257*/, v[64:65]
	ds_store_b64 v3 /*v259*/, v[64:65]
	;; [unrolled: 1-line block ×3, first 2 shown]
	s_wait_dscnt 0x0
	s_set_vgpr_msb 0                        ;  msbs: dst=0 src0=0 src1=0 src2=0
	v_bitop3_b32 v69, v70, v67, v69 bitop3:0x80
	v_add_nc_u64_e32 v[66:67], v[12:13], v[0:1]
	s_barrier_signal -1
	s_barrier_wait -1
	s_delay_alu instid0(VALU_DEP_2) | instskip(SKIP_1) | instid1(VALU_DEP_3)
	v_mbcnt_lo_u32_b32 v0, v69, 0
	v_cmp_ne_u32_e64 s15, 0, v69
	v_add_nc_u64_e32 v[66:67], 32, v[66:67]
	; wave barrier
	s_delay_alu instid0(VALU_DEP_3) | instskip(SKIP_1) | instid1(SALU_CYCLE_1)
	v_cmp_eq_u32_e64 s14, 0, v0
	s_and_b32 s15, s15, s14
	s_and_saveexec_b32 s14, s15
; %bb.54:                               ;   in Loop: Header=BB1832_53 Depth=1
	v_bcnt_u32_b32 v67, v69, 0
	ds_store_b32 v66, v67
; %bb.55:                               ;   in Loop: Header=BB1832_53 Depth=1
	s_or_b32 exec_lo, exec_lo, s14
	s_set_vgpr_msb 4                        ;  msbs: dst=0 src0=0 src1=1 src2=0
	v_cmp_ne_u16_e64 s14, 0x7fff, v34 /*v290*/
	v_not_b32_e32 v83, v68
	; wave barrier
	s_delay_alu instid0(VALU_DEP_2) | instskip(SKIP_1) | instid1(VALU_DEP_1)
	v_cndmask_b32_e64 v67, 0xffff8000, v34 /*v290*/, s14
	s_set_vgpr_msb 0                        ;  msbs: dst=0 src0=0 src1=0 src2=0
	v_and_b32_e32 v67, 0xffff, v67
	s_delay_alu instid0(VALU_DEP_1) | instskip(NEXT) | instid1(VALU_DEP_1)
	v_lshrrev_b32_e32 v67, v10, v67
	v_and_b32_e32 v68, v67, v83
	s_delay_alu instid0(VALU_DEP_1) | instskip(SKIP_1) | instid1(VALU_DEP_2)
	v_lshlrev_b32_e32 v71, 30, v68
	v_bitop3_b32 v67, v67, 1, v83 bitop3:0x80
	v_cmp_gt_i32_e64 s15, 0, v71
	s_delay_alu instid0(VALU_DEP_2) | instskip(NEXT) | instid1(VALU_DEP_1)
	v_add_co_u32 v67, s14, v67, -1
	v_cndmask_b32_e64 v70, 0, 1, s14
	s_delay_alu instid0(VALU_DEP_1) | instskip(SKIP_1) | instid1(VALU_DEP_1)
	v_cmp_ne_u32_e64 s14, 0, v70
	v_not_b32_e32 v70, v71
	v_dual_ashrrev_i32 v70, 31, v70 :: v_dual_lshlrev_b32 v80, 29, v68
	v_dual_lshlrev_b32 v81, 28, v68 :: v_dual_lshlrev_b32 v82, 27, v68
	v_lshlrev_b32_e32 v84, 26, v68
	s_set_vgpr_msb 16                       ;  msbs: dst=0 src0=0 src1=0 src2=1
	v_lshl_add_u32 v69, v68, 3, v7 /*v263*/
	v_cmp_gt_i32_e64 s16, 0, v80
	v_not_b32_e32 v71, v80
	v_not_b32_e32 v80, v81
	v_dual_lshlrev_b32 v85, 25, v68 :: v_dual_lshlrev_b32 v68, 24, v68
	v_cmp_gt_i32_e64 s17, 0, v81
	v_cmp_gt_i32_e64 s18, 0, v82
	v_not_b32_e32 v81, v82
	v_not_b32_e32 v82, v84
	v_dual_ashrrev_i32 v80, 31, v80 :: v_dual_bitop2_b32 v67, s14, v67 bitop3:0x14
	v_dual_ashrrev_i32 v71, 31, v71 :: v_dual_bitop2_b32 v70, s15, v70 bitop3:0x14
	v_cmp_gt_i32_e64 s19, 0, v84
	v_not_b32_e32 v84, v85
	v_dual_ashrrev_i32 v81, 31, v81 :: v_dual_ashrrev_i32 v82, 31, v82
	s_delay_alu instid0(VALU_DEP_4)
	v_xor_b32_e32 v71, s16, v71
	v_bitop3_b32 v67, v67, v70, exec_lo bitop3:0x80
	v_not_b32_e32 v70, v68
	v_xor_b32_e32 v80, s17, v80
	v_cmp_gt_i32_e64 s20, 0, v85
	v_dual_ashrrev_i32 v84, 31, v84 :: v_dual_bitop2_b32 v81, s18, v81 bitop3:0x14
	v_cmp_gt_i32_e64 s14, 0, v68
	v_ashrrev_i32_e32 v68, 31, v70
	s_set_vgpr_msb 0                        ;  msbs: dst=0 src0=0 src1=0 src2=0
	v_bitop3_b32 v67, v67, v80, v71 bitop3:0x80
	v_lshl_add_u32 v69, v69, 2, v12
	v_xor_b32_e32 v82, s19, v82
	v_xor_b32_e32 v70, s20, v84
	;; [unrolled: 1-line block ×3, first 2 shown]
	s_delay_alu instid0(VALU_DEP_3) | instskip(SKIP_3) | instid1(VALU_DEP_1)
	v_bitop3_b32 v71, v67, v82, v81 bitop3:0x80
	ds_load_b32 v67, v69 offset:32
	v_add_nc_u32_e32 v69, 32, v69
	; wave barrier
	v_bitop3_b32 v70, v71, v68, v70 bitop3:0x80
	v_mbcnt_lo_u32_b32 v68, v70, 0
	v_cmp_ne_u32_e64 s15, 0, v70
	s_delay_alu instid0(VALU_DEP_2) | instskip(SKIP_1) | instid1(SALU_CYCLE_1)
	v_cmp_eq_u32_e64 s14, 0, v68
	s_and_b32 s15, s15, s14
	s_and_saveexec_b32 s14, s15
	s_cbranch_execz .LBB1832_57
; %bb.56:                               ;   in Loop: Header=BB1832_53 Depth=1
	s_wait_dscnt 0x0
	v_bcnt_u32_b32 v70, v70, v67
	ds_store_b32 v69, v70
.LBB1832_57:                            ;   in Loop: Header=BB1832_53 Depth=1
	s_or_b32 exec_lo, exec_lo, s14
	s_set_vgpr_msb 4                        ;  msbs: dst=0 src0=0 src1=1 src2=0
	v_cmp_ne_u16_e64 s14, 0x7fff, v33 /*v289*/
	; wave barrier
	s_delay_alu instid0(VALU_DEP_1) | instskip(SKIP_1) | instid1(VALU_DEP_1)
	v_cndmask_b32_e64 v70, 0xffff8000, v33 /*v289*/, s14
	s_set_vgpr_msb 0                        ;  msbs: dst=0 src0=0 src1=0 src2=0
	v_and_b32_e32 v70, 0xffff, v70
	s_delay_alu instid0(VALU_DEP_1) | instskip(NEXT) | instid1(VALU_DEP_1)
	v_lshrrev_b32_e32 v70, v10, v70
	v_and_b32_e32 v71, v70, v83
	s_delay_alu instid0(VALU_DEP_1) | instskip(SKIP_1) | instid1(VALU_DEP_2)
	v_lshlrev_b32_e32 v82, 30, v71
	v_bitop3_b32 v70, v70, 1, v83 bitop3:0x80
	v_cmp_gt_i32_e64 s15, 0, v82
	s_delay_alu instid0(VALU_DEP_2) | instskip(NEXT) | instid1(VALU_DEP_1)
	v_add_co_u32 v70, s14, v70, -1
	v_cndmask_b32_e64 v81, 0, 1, s14
	s_delay_alu instid0(VALU_DEP_1) | instskip(SKIP_1) | instid1(VALU_DEP_1)
	v_cmp_ne_u32_e64 s14, 0, v81
	v_not_b32_e32 v81, v82
	v_dual_ashrrev_i32 v81, 31, v81 :: v_dual_lshlrev_b32 v84, 29, v71
	v_dual_lshlrev_b32 v85, 28, v71 :: v_dual_lshlrev_b32 v86, 27, v71
	v_lshlrev_b32_e32 v87, 26, v71
	s_set_vgpr_msb 16                       ;  msbs: dst=0 src0=0 src1=0 src2=1
	v_lshl_add_u32 v80, v71, 3, v7 /*v263*/
	v_cmp_gt_i32_e64 s16, 0, v84
	v_not_b32_e32 v82, v84
	v_not_b32_e32 v84, v85
	v_dual_lshlrev_b32 v96, 25, v71 :: v_dual_lshlrev_b32 v71, 24, v71
	v_cmp_gt_i32_e64 s17, 0, v85
	v_cmp_gt_i32_e64 s18, 0, v86
	v_not_b32_e32 v85, v86
	v_not_b32_e32 v86, v87
	v_dual_ashrrev_i32 v84, 31, v84 :: v_dual_bitop2_b32 v70, s14, v70 bitop3:0x14
	s_delay_alu instid0(VALU_DEP_3) | instskip(NEXT) | instid1(VALU_DEP_3)
	v_dual_ashrrev_i32 v82, 31, v82 :: v_dual_ashrrev_i32 v85, 31, v85
	v_dual_ashrrev_i32 v86, 31, v86 :: v_dual_bitop2_b32 v81, s15, v81 bitop3:0x14
	v_cmp_gt_i32_e64 s19, 0, v87
	v_not_b32_e32 v87, v96
	v_not_b32_e32 v97, v71
	v_xor_b32_e32 v82, s16, v82
	v_xor_b32_e32 v84, s17, v84
	v_bitop3_b32 v70, v70, v81, exec_lo bitop3:0x80
	v_xor_b32_e32 v81, s19, v86
	v_cmp_gt_i32_e64 s14, 0, v96
	v_ashrrev_i32_e32 v86, 31, v87
	v_cmp_gt_i32_e64 s15, 0, v71
	v_ashrrev_i32_e32 v71, 31, v97
	s_set_vgpr_msb 0                        ;  msbs: dst=0 src0=0 src1=0 src2=0
	v_bitop3_b32 v70, v70, v84, v82 bitop3:0x80
	v_lshl_add_u32 v80, v80, 2, v12
	v_xor_b32_e32 v85, s18, v85
	v_xor_b32_e32 v82, s14, v86
	;; [unrolled: 1-line block ×3, first 2 shown]
	s_delay_alu instid0(VALU_DEP_3) | instskip(SKIP_3) | instid1(VALU_DEP_1)
	v_bitop3_b32 v81, v70, v81, v85 bitop3:0x80
	ds_load_b32 v70, v80 offset:32
	v_add_nc_u32_e32 v80, 32, v80
	; wave barrier
	v_bitop3_b32 v81, v81, v71, v82 bitop3:0x80
	v_mbcnt_lo_u32_b32 v71, v81, 0
	v_cmp_ne_u32_e64 s15, 0, v81
	s_delay_alu instid0(VALU_DEP_2) | instskip(SKIP_1) | instid1(SALU_CYCLE_1)
	v_cmp_eq_u32_e64 s14, 0, v71
	s_and_b32 s15, s15, s14
	s_and_saveexec_b32 s14, s15
	s_cbranch_execz .LBB1832_59
; %bb.58:                               ;   in Loop: Header=BB1832_53 Depth=1
	s_wait_dscnt 0x0
	v_bcnt_u32_b32 v81, v81, v70
	ds_store_b32 v80, v81
.LBB1832_59:                            ;   in Loop: Header=BB1832_53 Depth=1
	s_or_b32 exec_lo, exec_lo, s14
	s_set_vgpr_msb 4                        ;  msbs: dst=0 src0=0 src1=1 src2=0
	v_cmp_ne_u16_e64 s14, 0x7fff, v32 /*v288*/
	; wave barrier
	s_delay_alu instid0(VALU_DEP_1) | instskip(SKIP_1) | instid1(VALU_DEP_1)
	v_cndmask_b32_e64 v81, 0xffff8000, v32 /*v288*/, s14
	s_set_vgpr_msb 0                        ;  msbs: dst=0 src0=0 src1=0 src2=0
	v_and_b32_e32 v81, 0xffff, v81
	s_delay_alu instid0(VALU_DEP_1) | instskip(NEXT) | instid1(VALU_DEP_1)
	v_lshrrev_b32_e32 v81, v10, v81
	v_and_b32_e32 v82, v81, v83
	s_delay_alu instid0(VALU_DEP_1) | instskip(SKIP_1) | instid1(VALU_DEP_2)
	v_lshlrev_b32_e32 v86, 30, v82
	v_bitop3_b32 v81, v81, 1, v83 bitop3:0x80
	v_cmp_gt_i32_e64 s15, 0, v86
	s_delay_alu instid0(VALU_DEP_2) | instskip(NEXT) | instid1(VALU_DEP_1)
	v_add_co_u32 v81, s14, v81, -1
	v_cndmask_b32_e64 v85, 0, 1, s14
	s_delay_alu instid0(VALU_DEP_1) | instskip(SKIP_1) | instid1(VALU_DEP_1)
	v_cmp_ne_u32_e64 s14, 0, v85
	v_not_b32_e32 v85, v86
	v_dual_ashrrev_i32 v85, 31, v85 :: v_dual_lshlrev_b32 v87, 29, v82
	v_dual_lshlrev_b32 v96, 28, v82 :: v_dual_lshlrev_b32 v97, 27, v82
	v_dual_lshlrev_b32 v98, 26, v82 :: v_dual_lshlrev_b32 v99, 25, v82
	s_delay_alu instid0(VALU_DEP_3) | instskip(SKIP_1) | instid1(VALU_DEP_4)
	v_cmp_gt_i32_e64 s16, 0, v87
	v_not_b32_e32 v86, v87
	v_not_b32_e32 v87, v96
	s_set_vgpr_msb 16                       ;  msbs: dst=0 src0=0 src1=0 src2=1
	v_lshl_add_u32 v84, v82, 3, v7 /*v263*/
	v_lshlrev_b32_e32 v82, 24, v82
	v_cmp_gt_i32_e64 s17, 0, v96
	v_cmp_gt_i32_e64 s18, 0, v97
	v_not_b32_e32 v96, v97
	v_cmp_gt_i32_e64 s19, 0, v98
	v_not_b32_e32 v97, v98
	v_not_b32_e32 v98, v99
	v_dual_ashrrev_i32 v86, 31, v86 :: v_dual_bitop2_b32 v81, s14, v81 bitop3:0x14
	v_dual_ashrrev_i32 v87, 31, v87 :: v_dual_ashrrev_i32 v96, 31, v96
	v_xor_b32_e32 v85, s15, v85
	v_not_b32_e32 v100, v82
	s_delay_alu instid0(VALU_DEP_4) | instskip(NEXT) | instid1(VALU_DEP_4)
	v_dual_ashrrev_i32 v97, 31, v97 :: v_dual_bitop2_b32 v86, s16, v86 bitop3:0x14
	v_xor_b32_e32 v87, s17, v87
	s_delay_alu instid0(VALU_DEP_4)
	v_bitop3_b32 v81, v81, v85, exec_lo bitop3:0x80
	v_xor_b32_e32 v96, s18, v96
	v_cmp_gt_i32_e64 s14, 0, v99
	v_cmp_gt_i32_e64 s15, 0, v82
	v_ashrrev_i32_e32 v82, 31, v100
	s_set_vgpr_msb 0                        ;  msbs: dst=0 src0=0 src1=0 src2=0
	v_bitop3_b32 v81, v81, v87, v86 bitop3:0x80
	v_lshl_add_u32 v84, v84, 2, v12
	v_dual_ashrrev_i32 v97, 31, v98 :: v_dual_bitop2_b32 v85, s19, v97 bitop3:0x14
	v_xor_b32_e32 v82, s15, v82
	s_delay_alu instid0(VALU_DEP_2) | instskip(NEXT) | instid1(VALU_DEP_3)
	v_bitop3_b32 v85, v81, v85, v96 bitop3:0x80
	v_xor_b32_e32 v86, s14, v97
	ds_load_b32 v81, v84 offset:32
	v_add_nc_u32_e32 v84, 32, v84
	; wave barrier
	v_bitop3_b32 v85, v85, v82, v86 bitop3:0x80
	s_delay_alu instid0(VALU_DEP_1) | instskip(SKIP_1) | instid1(VALU_DEP_2)
	v_mbcnt_lo_u32_b32 v82, v85, 0
	v_cmp_ne_u32_e64 s15, 0, v85
	v_cmp_eq_u32_e64 s14, 0, v82
	s_and_b32 s15, s15, s14
	s_delay_alu instid0(SALU_CYCLE_1)
	s_and_saveexec_b32 s14, s15
	s_cbranch_execz .LBB1832_61
; %bb.60:                               ;   in Loop: Header=BB1832_53 Depth=1
	s_wait_dscnt 0x0
	v_bcnt_u32_b32 v85, v85, v81
	ds_store_b32 v84, v85
.LBB1832_61:                            ;   in Loop: Header=BB1832_53 Depth=1
	s_or_b32 exec_lo, exec_lo, s14
	s_set_vgpr_msb 4                        ;  msbs: dst=0 src0=0 src1=1 src2=0
	v_cmp_ne_u16_e64 s14, 0x7fff, v35 /*v291*/
	; wave barrier
	s_delay_alu instid0(VALU_DEP_1) | instskip(SKIP_1) | instid1(VALU_DEP_1)
	v_cndmask_b32_e64 v85, 0xffff8000, v35 /*v291*/, s14
	s_set_vgpr_msb 0                        ;  msbs: dst=0 src0=0 src1=0 src2=0
	v_and_b32_e32 v85, 0xffff, v85
	s_delay_alu instid0(VALU_DEP_1) | instskip(NEXT) | instid1(VALU_DEP_1)
	v_lshrrev_b32_e32 v85, v10, v85
	v_and_b32_e32 v86, v85, v83
	s_delay_alu instid0(VALU_DEP_1) | instskip(SKIP_1) | instid1(VALU_DEP_2)
	v_lshlrev_b32_e32 v97, 30, v86
	v_bitop3_b32 v85, v85, 1, v83 bitop3:0x80
	v_cmp_gt_i32_e64 s15, 0, v97
	s_delay_alu instid0(VALU_DEP_2) | instskip(NEXT) | instid1(VALU_DEP_1)
	v_add_co_u32 v85, s14, v85, -1
	v_cndmask_b32_e64 v96, 0, 1, s14
	s_delay_alu instid0(VALU_DEP_1) | instskip(SKIP_1) | instid1(VALU_DEP_1)
	v_cmp_ne_u32_e64 s14, 0, v96
	v_not_b32_e32 v96, v97
	v_dual_ashrrev_i32 v96, 31, v96 :: v_dual_lshlrev_b32 v98, 29, v86
	v_dual_lshlrev_b32 v99, 28, v86 :: v_dual_lshlrev_b32 v100, 27, v86
	v_dual_lshlrev_b32 v101, 26, v86 :: v_dual_lshlrev_b32 v102, 25, v86
	s_delay_alu instid0(VALU_DEP_3) | instskip(SKIP_1) | instid1(VALU_DEP_4)
	v_cmp_gt_i32_e64 s16, 0, v98
	v_not_b32_e32 v97, v98
	v_not_b32_e32 v98, v99
	s_set_vgpr_msb 16                       ;  msbs: dst=0 src0=0 src1=0 src2=1
	v_lshl_add_u32 v87, v86, 3, v7 /*v263*/
	v_lshlrev_b32_e32 v86, 24, v86
	v_cmp_gt_i32_e64 s17, 0, v99
	v_cmp_gt_i32_e64 s18, 0, v100
	v_not_b32_e32 v99, v100
	v_cmp_gt_i32_e64 s19, 0, v101
	v_not_b32_e32 v100, v101
	v_not_b32_e32 v101, v102
	v_dual_ashrrev_i32 v98, 31, v98 :: v_dual_bitop2_b32 v85, s14, v85 bitop3:0x14
	v_dual_ashrrev_i32 v97, 31, v97 :: v_dual_ashrrev_i32 v99, 31, v99
	v_xor_b32_e32 v96, s15, v96
	v_not_b32_e32 v103, v86
	s_delay_alu instid0(VALU_DEP_3) | instskip(SKIP_1) | instid1(VALU_DEP_4)
	v_dual_ashrrev_i32 v100, 31, v100 :: v_dual_bitop2_b32 v97, s16, v97 bitop3:0x14
	v_xor_b32_e32 v98, s17, v98
	v_bitop3_b32 v85, v85, v96, exec_lo bitop3:0x80
	v_xor_b32_e32 v99, s18, v99
	v_cmp_gt_i32_e64 s14, 0, v102
	v_cmp_gt_i32_e64 s15, 0, v86
	v_ashrrev_i32_e32 v86, 31, v103
	s_set_vgpr_msb 0                        ;  msbs: dst=0 src0=0 src1=0 src2=0
	v_bitop3_b32 v85, v85, v98, v97 bitop3:0x80
	v_lshl_add_u32 v87, v87, 2, v12
	v_dual_ashrrev_i32 v100, 31, v101 :: v_dual_bitop2_b32 v96, s19, v100 bitop3:0x14
	v_xor_b32_e32 v86, s15, v86
	s_delay_alu instid0(VALU_DEP_2) | instskip(NEXT) | instid1(VALU_DEP_3)
	v_bitop3_b32 v96, v85, v96, v99 bitop3:0x80
	v_xor_b32_e32 v97, s14, v100
	ds_load_b32 v85, v87 offset:32
	v_add_nc_u32_e32 v87, 32, v87
	; wave barrier
	v_bitop3_b32 v96, v96, v86, v97 bitop3:0x80
	s_delay_alu instid0(VALU_DEP_1) | instskip(SKIP_1) | instid1(VALU_DEP_2)
	v_mbcnt_lo_u32_b32 v86, v96, 0
	v_cmp_ne_u32_e64 s15, 0, v96
	v_cmp_eq_u32_e64 s14, 0, v86
	s_and_b32 s15, s15, s14
	s_delay_alu instid0(SALU_CYCLE_1)
	s_and_saveexec_b32 s14, s15
	s_cbranch_execz .LBB1832_63
; %bb.62:                               ;   in Loop: Header=BB1832_53 Depth=1
	s_wait_dscnt 0x0
	v_bcnt_u32_b32 v96, v96, v85
	ds_store_b32 v87, v96
.LBB1832_63:                            ;   in Loop: Header=BB1832_53 Depth=1
	s_or_b32 exec_lo, exec_lo, s14
	s_set_vgpr_msb 4                        ;  msbs: dst=0 src0=0 src1=1 src2=0
	v_cmp_ne_u16_e64 s14, 0x7fff, v37 /*v293*/
	; wave barrier
	s_delay_alu instid0(VALU_DEP_1) | instskip(SKIP_1) | instid1(VALU_DEP_1)
	v_cndmask_b32_e64 v96, 0xffff8000, v37 /*v293*/, s14
	s_set_vgpr_msb 0                        ;  msbs: dst=0 src0=0 src1=0 src2=0
	v_and_b32_e32 v96, 0xffff, v96
	s_delay_alu instid0(VALU_DEP_1) | instskip(NEXT) | instid1(VALU_DEP_1)
	v_lshrrev_b32_e32 v96, v10, v96
	v_and_b32_e32 v97, v96, v83
	s_delay_alu instid0(VALU_DEP_1) | instskip(SKIP_2) | instid1(VALU_DEP_3)
	v_lshlrev_b32_e32 v100, 30, v97
	v_bitop3_b32 v96, v96, 1, v83 bitop3:0x80
	v_lshlrev_b32_e32 v101, 29, v97
	v_cmp_gt_i32_e64 s15, 0, v100
	s_delay_alu instid0(VALU_DEP_3) | instskip(NEXT) | instid1(VALU_DEP_1)
	v_add_co_u32 v96, s14, v96, -1
	v_cndmask_b32_e64 v99, 0, 1, s14
	s_delay_alu instid0(VALU_DEP_1) | instskip(SKIP_2) | instid1(VALU_DEP_2)
	v_cmp_ne_u32_e64 s14, 0, v99
	v_not_b32_e32 v99, v100
	v_not_b32_e32 v100, v101
	v_dual_ashrrev_i32 v99, 31, v99 :: v_dual_bitop2_b32 v96, s14, v96 bitop3:0x14
	s_delay_alu instid0(VALU_DEP_2) | instskip(SKIP_3) | instid1(VALU_DEP_4)
	v_dual_ashrrev_i32 v100, 31, v100 :: v_dual_lshlrev_b32 v102, 28, v97
	v_dual_lshlrev_b32 v103, 27, v97 :: v_dual_lshlrev_b32 v112, 26, v97
	v_lshlrev_b32_e32 v113, 25, v97
	v_cmp_gt_i32_e64 s16, 0, v101
	v_not_b32_e32 v101, v102
	s_set_vgpr_msb 16                       ;  msbs: dst=0 src0=0 src1=0 src2=1
	v_lshl_add_u32 v98, v97, 3, v7 /*v263*/
	v_lshlrev_b32_e32 v97, 24, v97
	v_cmp_gt_i32_e64 s17, 0, v102
	v_cmp_gt_i32_e64 s18, 0, v103
	v_not_b32_e32 v102, v103
	v_cmp_gt_i32_e64 s19, 0, v112
	v_not_b32_e32 v103, v112
	v_not_b32_e32 v112, v113
	s_delay_alu instid0(VALU_DEP_4) | instskip(SKIP_3) | instid1(VALU_DEP_4)
	v_dual_ashrrev_i32 v101, 31, v101 :: v_dual_ashrrev_i32 v102, 31, v102
	v_xor_b32_e32 v99, s15, v99
	v_not_b32_e32 v114, v97
	v_dual_ashrrev_i32 v103, 31, v103 :: v_dual_bitop2_b32 v100, s16, v100 bitop3:0x14
	v_xor_b32_e32 v101, s17, v101
	s_delay_alu instid0(VALU_DEP_4)
	v_bitop3_b32 v96, v96, v99, exec_lo bitop3:0x80
	v_xor_b32_e32 v102, s18, v102
	v_cmp_gt_i32_e64 s14, 0, v113
	v_cmp_gt_i32_e64 s15, 0, v97
	v_ashrrev_i32_e32 v97, 31, v114
	s_set_vgpr_msb 0                        ;  msbs: dst=0 src0=0 src1=0 src2=0
	v_bitop3_b32 v96, v96, v101, v100 bitop3:0x80
	v_lshl_add_u32 v98, v98, 2, v12
	v_dual_ashrrev_i32 v103, 31, v112 :: v_dual_bitop2_b32 v99, s19, v103 bitop3:0x14
	v_xor_b32_e32 v97, s15, v97
	s_delay_alu instid0(VALU_DEP_2) | instskip(NEXT) | instid1(VALU_DEP_3)
	v_bitop3_b32 v99, v96, v99, v102 bitop3:0x80
	v_xor_b32_e32 v100, s14, v103
	ds_load_b32 v96, v98 offset:32
	v_add_nc_u32_e32 v98, 32, v98
	; wave barrier
	v_bitop3_b32 v99, v99, v97, v100 bitop3:0x80
	s_delay_alu instid0(VALU_DEP_1) | instskip(SKIP_1) | instid1(VALU_DEP_2)
	v_mbcnt_lo_u32_b32 v97, v99, 0
	v_cmp_ne_u32_e64 s15, 0, v99
	v_cmp_eq_u32_e64 s14, 0, v97
	s_and_b32 s15, s15, s14
	s_delay_alu instid0(SALU_CYCLE_1)
	s_and_saveexec_b32 s14, s15
	s_cbranch_execz .LBB1832_65
; %bb.64:                               ;   in Loop: Header=BB1832_53 Depth=1
	s_wait_dscnt 0x0
	v_bcnt_u32_b32 v99, v99, v96
	ds_store_b32 v98, v99
.LBB1832_65:                            ;   in Loop: Header=BB1832_53 Depth=1
	s_or_b32 exec_lo, exec_lo, s14
	s_set_vgpr_msb 4                        ;  msbs: dst=0 src0=0 src1=1 src2=0
	v_cmp_ne_u16_e64 s14, 0x7fff, v36 /*v292*/
	; wave barrier
	s_delay_alu instid0(VALU_DEP_1) | instskip(SKIP_1) | instid1(VALU_DEP_1)
	v_cndmask_b32_e64 v99, 0xffff8000, v36 /*v292*/, s14
	s_set_vgpr_msb 0                        ;  msbs: dst=0 src0=0 src1=0 src2=0
	v_and_b32_e32 v99, 0xffff, v99
	s_delay_alu instid0(VALU_DEP_1) | instskip(NEXT) | instid1(VALU_DEP_1)
	v_lshrrev_b32_e32 v99, v10, v99
	v_and_b32_e32 v100, v99, v83
	s_delay_alu instid0(VALU_DEP_1) | instskip(SKIP_1) | instid1(VALU_DEP_2)
	v_lshlrev_b32_e32 v103, 30, v100
	v_bitop3_b32 v99, v99, 1, v83 bitop3:0x80
	v_cmp_gt_i32_e64 s15, 0, v103
	s_delay_alu instid0(VALU_DEP_2) | instskip(NEXT) | instid1(VALU_DEP_1)
	v_add_co_u32 v99, s14, v99, -1
	v_cndmask_b32_e64 v102, 0, 1, s14
	s_delay_alu instid0(VALU_DEP_1) | instskip(SKIP_1) | instid1(VALU_DEP_1)
	v_cmp_ne_u32_e64 s14, 0, v102
	v_not_b32_e32 v102, v103
	v_dual_ashrrev_i32 v102, 31, v102 :: v_dual_lshlrev_b32 v112, 29, v100
	v_dual_lshlrev_b32 v113, 28, v100 :: v_dual_lshlrev_b32 v114, 27, v100
	v_dual_lshlrev_b32 v115, 26, v100 :: v_dual_lshlrev_b32 v116, 25, v100
	s_delay_alu instid0(VALU_DEP_3) | instskip(SKIP_1) | instid1(VALU_DEP_4)
	v_cmp_gt_i32_e64 s16, 0, v112
	v_not_b32_e32 v103, v112
	v_not_b32_e32 v112, v113
	s_set_vgpr_msb 16                       ;  msbs: dst=0 src0=0 src1=0 src2=1
	v_lshl_add_u32 v101, v100, 3, v7 /*v263*/
	v_lshlrev_b32_e32 v100, 24, v100
	v_cmp_gt_i32_e64 s17, 0, v113
	v_cmp_gt_i32_e64 s18, 0, v114
	v_not_b32_e32 v113, v114
	v_cmp_gt_i32_e64 s19, 0, v115
	v_not_b32_e32 v114, v115
	v_not_b32_e32 v115, v116
	v_dual_ashrrev_i32 v112, 31, v112 :: v_dual_bitop2_b32 v99, s14, v99 bitop3:0x14
	v_dual_ashrrev_i32 v103, 31, v103 :: v_dual_ashrrev_i32 v113, 31, v113
	v_xor_b32_e32 v102, s15, v102
	v_not_b32_e32 v117, v100
	s_delay_alu instid0(VALU_DEP_3) | instskip(SKIP_1) | instid1(VALU_DEP_4)
	v_dual_ashrrev_i32 v114, 31, v114 :: v_dual_bitop2_b32 v103, s16, v103 bitop3:0x14
	v_xor_b32_e32 v112, s17, v112
	v_bitop3_b32 v99, v99, v102, exec_lo bitop3:0x80
	v_xor_b32_e32 v113, s18, v113
	v_cmp_gt_i32_e64 s14, 0, v116
	v_cmp_gt_i32_e64 s15, 0, v100
	v_ashrrev_i32_e32 v100, 31, v117
	s_set_vgpr_msb 0                        ;  msbs: dst=0 src0=0 src1=0 src2=0
	v_bitop3_b32 v99, v99, v112, v103 bitop3:0x80
	v_lshl_add_u32 v101, v101, 2, v12
	v_dual_ashrrev_i32 v114, 31, v115 :: v_dual_bitop2_b32 v102, s19, v114 bitop3:0x14
	v_xor_b32_e32 v100, s15, v100
	s_delay_alu instid0(VALU_DEP_2) | instskip(NEXT) | instid1(VALU_DEP_3)
	v_bitop3_b32 v102, v99, v102, v113 bitop3:0x80
	v_xor_b32_e32 v103, s14, v114
	ds_load_b32 v99, v101 offset:32
	v_add_nc_u32_e32 v101, 32, v101
	; wave barrier
	v_bitop3_b32 v102, v102, v100, v103 bitop3:0x80
	s_delay_alu instid0(VALU_DEP_1) | instskip(SKIP_1) | instid1(VALU_DEP_2)
	v_mbcnt_lo_u32_b32 v100, v102, 0
	v_cmp_ne_u32_e64 s15, 0, v102
	v_cmp_eq_u32_e64 s14, 0, v100
	s_and_b32 s15, s15, s14
	s_delay_alu instid0(SALU_CYCLE_1)
	s_and_saveexec_b32 s14, s15
	s_cbranch_execz .LBB1832_67
; %bb.66:                               ;   in Loop: Header=BB1832_53 Depth=1
	s_wait_dscnt 0x0
	v_bcnt_u32_b32 v102, v102, v99
	ds_store_b32 v101, v102
.LBB1832_67:                            ;   in Loop: Header=BB1832_53 Depth=1
	s_or_b32 exec_lo, exec_lo, s14
	s_set_vgpr_msb 4                        ;  msbs: dst=0 src0=0 src1=1 src2=0
	v_cmp_ne_u16_e64 s14, 0x7fff, v39 /*v295*/
	; wave barrier
	s_delay_alu instid0(VALU_DEP_1) | instskip(SKIP_1) | instid1(VALU_DEP_1)
	v_cndmask_b32_e64 v102, 0xffff8000, v39 /*v295*/, s14
	s_set_vgpr_msb 0                        ;  msbs: dst=0 src0=0 src1=0 src2=0
	v_and_b32_e32 v102, 0xffff, v102
	s_delay_alu instid0(VALU_DEP_1) | instskip(NEXT) | instid1(VALU_DEP_1)
	v_lshrrev_b32_e32 v102, v10, v102
	v_and_b32_e32 v103, v102, v83
	s_delay_alu instid0(VALU_DEP_1) | instskip(SKIP_1) | instid1(VALU_DEP_2)
	v_lshlrev_b32_e32 v114, 30, v103
	v_bitop3_b32 v102, v102, 1, v83 bitop3:0x80
	v_cmp_gt_i32_e64 s15, 0, v114
	s_delay_alu instid0(VALU_DEP_2) | instskip(NEXT) | instid1(VALU_DEP_1)
	v_add_co_u32 v102, s14, v102, -1
	v_cndmask_b32_e64 v113, 0, 1, s14
	s_delay_alu instid0(VALU_DEP_1) | instskip(SKIP_1) | instid1(VALU_DEP_1)
	v_cmp_ne_u32_e64 s14, 0, v113
	v_not_b32_e32 v113, v114
	v_dual_ashrrev_i32 v113, 31, v113 :: v_dual_lshlrev_b32 v115, 29, v103
	v_dual_lshlrev_b32 v116, 28, v103 :: v_dual_lshlrev_b32 v117, 27, v103
	v_dual_lshlrev_b32 v118, 26, v103 :: v_dual_lshlrev_b32 v119, 25, v103
	s_delay_alu instid0(VALU_DEP_3) | instskip(SKIP_1) | instid1(VALU_DEP_4)
	v_cmp_gt_i32_e64 s16, 0, v115
	v_not_b32_e32 v114, v115
	v_not_b32_e32 v115, v116
	s_set_vgpr_msb 16                       ;  msbs: dst=0 src0=0 src1=0 src2=1
	v_lshl_add_u32 v112, v103, 3, v7 /*v263*/
	v_lshlrev_b32_e32 v103, 24, v103
	v_cmp_gt_i32_e64 s17, 0, v116
	v_cmp_gt_i32_e64 s18, 0, v117
	v_not_b32_e32 v116, v117
	v_cmp_gt_i32_e64 s19, 0, v118
	v_not_b32_e32 v117, v118
	v_not_b32_e32 v118, v119
	v_dual_ashrrev_i32 v115, 31, v115 :: v_dual_bitop2_b32 v102, s14, v102 bitop3:0x14
	v_dual_ashrrev_i32 v114, 31, v114 :: v_dual_ashrrev_i32 v116, 31, v116
	v_xor_b32_e32 v113, s15, v113
	v_not_b32_e32 v128, v103
	s_delay_alu instid0(VALU_DEP_3) | instskip(SKIP_1) | instid1(VALU_DEP_4)
	v_dual_ashrrev_i32 v117, 31, v117 :: v_dual_bitop2_b32 v114, s16, v114 bitop3:0x14
	v_xor_b32_e32 v115, s17, v115
	v_bitop3_b32 v102, v102, v113, exec_lo bitop3:0x80
	v_xor_b32_e32 v116, s18, v116
	v_cmp_gt_i32_e64 s14, 0, v119
	v_cmp_gt_i32_e64 s15, 0, v103
	v_ashrrev_i32_e32 v103, 31, v128
	s_set_vgpr_msb 0                        ;  msbs: dst=0 src0=0 src1=0 src2=0
	v_bitop3_b32 v102, v102, v115, v114 bitop3:0x80
	v_lshl_add_u32 v112, v112, 2, v12
	v_dual_ashrrev_i32 v117, 31, v118 :: v_dual_bitop2_b32 v113, s19, v117 bitop3:0x14
	v_xor_b32_e32 v103, s15, v103
	s_delay_alu instid0(VALU_DEP_2) | instskip(NEXT) | instid1(VALU_DEP_3)
	v_bitop3_b32 v113, v102, v113, v116 bitop3:0x80
	v_xor_b32_e32 v114, s14, v117
	ds_load_b32 v102, v112 offset:32
	v_add_nc_u32_e32 v112, 32, v112
	; wave barrier
	v_bitop3_b32 v113, v113, v103, v114 bitop3:0x80
	s_delay_alu instid0(VALU_DEP_1) | instskip(SKIP_1) | instid1(VALU_DEP_2)
	v_mbcnt_lo_u32_b32 v103, v113, 0
	v_cmp_ne_u32_e64 s15, 0, v113
	v_cmp_eq_u32_e64 s14, 0, v103
	s_and_b32 s15, s15, s14
	s_delay_alu instid0(SALU_CYCLE_1)
	s_and_saveexec_b32 s14, s15
	s_cbranch_execz .LBB1832_69
; %bb.68:                               ;   in Loop: Header=BB1832_53 Depth=1
	s_wait_dscnt 0x0
	v_bcnt_u32_b32 v113, v113, v102
	ds_store_b32 v112, v113
.LBB1832_69:                            ;   in Loop: Header=BB1832_53 Depth=1
	s_or_b32 exec_lo, exec_lo, s14
	s_set_vgpr_msb 4                        ;  msbs: dst=0 src0=0 src1=1 src2=0
	v_cmp_ne_u16_e64 s14, 0x7fff, v38 /*v294*/
	; wave barrier
	s_delay_alu instid0(VALU_DEP_1) | instskip(SKIP_1) | instid1(VALU_DEP_1)
	v_cndmask_b32_e64 v113, 0xffff8000, v38 /*v294*/, s14
	s_set_vgpr_msb 0                        ;  msbs: dst=0 src0=0 src1=0 src2=0
	v_and_b32_e32 v113, 0xffff, v113
	s_delay_alu instid0(VALU_DEP_1) | instskip(NEXT) | instid1(VALU_DEP_1)
	v_lshrrev_b32_e32 v113, v10, v113
	v_and_b32_e32 v114, v113, v83
	s_delay_alu instid0(VALU_DEP_1) | instskip(SKIP_1) | instid1(VALU_DEP_2)
	v_lshlrev_b32_e32 v117, 30, v114
	v_bitop3_b32 v113, v113, 1, v83 bitop3:0x80
	v_cmp_gt_i32_e64 s15, 0, v117
	s_delay_alu instid0(VALU_DEP_2) | instskip(NEXT) | instid1(VALU_DEP_1)
	v_add_co_u32 v113, s14, v113, -1
	v_cndmask_b32_e64 v116, 0, 1, s14
	s_delay_alu instid0(VALU_DEP_1) | instskip(SKIP_1) | instid1(VALU_DEP_1)
	v_cmp_ne_u32_e64 s14, 0, v116
	v_not_b32_e32 v116, v117
	v_dual_ashrrev_i32 v116, 31, v116 :: v_dual_lshlrev_b32 v118, 29, v114
	v_dual_lshlrev_b32 v119, 28, v114 :: v_dual_lshlrev_b32 v128, 27, v114
	v_dual_lshlrev_b32 v129, 26, v114 :: v_dual_lshlrev_b32 v130, 25, v114
	s_delay_alu instid0(VALU_DEP_3) | instskip(SKIP_1) | instid1(VALU_DEP_4)
	v_cmp_gt_i32_e64 s16, 0, v118
	v_not_b32_e32 v117, v118
	v_not_b32_e32 v118, v119
	s_set_vgpr_msb 16                       ;  msbs: dst=0 src0=0 src1=0 src2=1
	v_lshl_add_u32 v115, v114, 3, v7 /*v263*/
	v_lshlrev_b32_e32 v114, 24, v114
	v_cmp_gt_i32_e64 s17, 0, v119
	v_cmp_gt_i32_e64 s18, 0, v128
	v_not_b32_e32 v119, v128
	v_cmp_gt_i32_e64 s19, 0, v129
	v_not_b32_e32 v128, v129
	v_not_b32_e32 v129, v130
	v_dual_ashrrev_i32 v118, 31, v118 :: v_dual_bitop2_b32 v113, s14, v113 bitop3:0x14
	v_dual_ashrrev_i32 v117, 31, v117 :: v_dual_ashrrev_i32 v119, 31, v119
	v_xor_b32_e32 v116, s15, v116
	v_not_b32_e32 v131, v114
	s_delay_alu instid0(VALU_DEP_3) | instskip(SKIP_1) | instid1(VALU_DEP_4)
	v_dual_ashrrev_i32 v128, 31, v128 :: v_dual_bitop2_b32 v117, s16, v117 bitop3:0x14
	v_xor_b32_e32 v118, s17, v118
	v_bitop3_b32 v113, v113, v116, exec_lo bitop3:0x80
	v_xor_b32_e32 v119, s18, v119
	v_cmp_gt_i32_e64 s14, 0, v130
	v_cmp_gt_i32_e64 s15, 0, v114
	v_ashrrev_i32_e32 v114, 31, v131
	s_set_vgpr_msb 0                        ;  msbs: dst=0 src0=0 src1=0 src2=0
	v_bitop3_b32 v113, v113, v118, v117 bitop3:0x80
	v_lshl_add_u32 v115, v115, 2, v12
	v_dual_ashrrev_i32 v128, 31, v129 :: v_dual_bitop2_b32 v116, s19, v128 bitop3:0x14
	v_xor_b32_e32 v114, s15, v114
	s_delay_alu instid0(VALU_DEP_2) | instskip(NEXT) | instid1(VALU_DEP_3)
	v_bitop3_b32 v116, v113, v116, v119 bitop3:0x80
	v_xor_b32_e32 v117, s14, v128
	ds_load_b32 v113, v115 offset:32
	v_add_nc_u32_e32 v115, 32, v115
	; wave barrier
	v_bitop3_b32 v116, v116, v114, v117 bitop3:0x80
	s_delay_alu instid0(VALU_DEP_1) | instskip(SKIP_1) | instid1(VALU_DEP_2)
	v_mbcnt_lo_u32_b32 v114, v116, 0
	v_cmp_ne_u32_e64 s15, 0, v116
	v_cmp_eq_u32_e64 s14, 0, v114
	s_and_b32 s15, s15, s14
	s_delay_alu instid0(SALU_CYCLE_1)
	s_and_saveexec_b32 s14, s15
	s_cbranch_execz .LBB1832_71
; %bb.70:                               ;   in Loop: Header=BB1832_53 Depth=1
	s_wait_dscnt 0x0
	v_bcnt_u32_b32 v116, v116, v113
	ds_store_b32 v115, v116
.LBB1832_71:                            ;   in Loop: Header=BB1832_53 Depth=1
	s_or_b32 exec_lo, exec_lo, s14
	s_set_vgpr_msb 4                        ;  msbs: dst=0 src0=0 src1=1 src2=0
	v_cmp_ne_u16_e64 s14, 0x7fff, v40 /*v296*/
	; wave barrier
	s_delay_alu instid0(VALU_DEP_1) | instskip(SKIP_1) | instid1(VALU_DEP_1)
	v_cndmask_b32_e64 v116, 0xffff8000, v40 /*v296*/, s14
	s_set_vgpr_msb 0                        ;  msbs: dst=0 src0=0 src1=0 src2=0
	v_and_b32_e32 v116, 0xffff, v116
	s_delay_alu instid0(VALU_DEP_1) | instskip(NEXT) | instid1(VALU_DEP_1)
	v_lshrrev_b32_e32 v116, v10, v116
	v_and_b32_e32 v117, v116, v83
	s_delay_alu instid0(VALU_DEP_1) | instskip(SKIP_2) | instid1(VALU_DEP_3)
	v_lshlrev_b32_e32 v128, 30, v117
	v_bitop3_b32 v116, v116, 1, v83 bitop3:0x80
	v_lshlrev_b32_e32 v129, 29, v117
	v_cmp_gt_i32_e64 s15, 0, v128
	s_delay_alu instid0(VALU_DEP_3) | instskip(NEXT) | instid1(VALU_DEP_1)
	v_add_co_u32 v116, s14, v116, -1
	v_cndmask_b32_e64 v119, 0, 1, s14
	s_delay_alu instid0(VALU_DEP_1) | instskip(SKIP_2) | instid1(VALU_DEP_2)
	v_cmp_ne_u32_e64 s14, 0, v119
	v_not_b32_e32 v119, v128
	v_not_b32_e32 v128, v129
	v_dual_ashrrev_i32 v119, 31, v119 :: v_dual_bitop2_b32 v116, s14, v116 bitop3:0x14
	s_delay_alu instid0(VALU_DEP_2) | instskip(SKIP_3) | instid1(VALU_DEP_4)
	v_dual_ashrrev_i32 v128, 31, v128 :: v_dual_lshlrev_b32 v130, 28, v117
	v_dual_lshlrev_b32 v131, 27, v117 :: v_dual_lshlrev_b32 v132, 26, v117
	v_lshlrev_b32_e32 v133, 25, v117
	v_cmp_gt_i32_e64 s16, 0, v129
	v_not_b32_e32 v129, v130
	s_set_vgpr_msb 16                       ;  msbs: dst=0 src0=0 src1=0 src2=1
	v_lshl_add_u32 v118, v117, 3, v7 /*v263*/
	v_lshlrev_b32_e32 v117, 24, v117
	v_cmp_gt_i32_e64 s17, 0, v130
	v_cmp_gt_i32_e64 s18, 0, v131
	v_not_b32_e32 v130, v131
	v_cmp_gt_i32_e64 s19, 0, v132
	v_not_b32_e32 v131, v132
	v_not_b32_e32 v132, v133
	s_delay_alu instid0(VALU_DEP_4) | instskip(SKIP_3) | instid1(VALU_DEP_4)
	v_dual_ashrrev_i32 v129, 31, v129 :: v_dual_ashrrev_i32 v130, 31, v130
	v_xor_b32_e32 v119, s15, v119
	v_not_b32_e32 v134, v117
	v_dual_ashrrev_i32 v131, 31, v131 :: v_dual_bitop2_b32 v128, s16, v128 bitop3:0x14
	v_xor_b32_e32 v129, s17, v129
	s_delay_alu instid0(VALU_DEP_4) | instskip(SKIP_1) | instid1(VALU_DEP_4)
	v_bitop3_b32 v116, v116, v119, exec_lo bitop3:0x80
	v_cmp_gt_i32_e64 s14, 0, v133
	v_dual_ashrrev_i32 v131, 31, v132 :: v_dual_bitop2_b32 v119, s19, v131 bitop3:0x14
	v_cmp_gt_i32_e64 s15, 0, v117
	v_ashrrev_i32_e32 v117, 31, v134
	s_set_vgpr_msb 0                        ;  msbs: dst=0 src0=0 src1=0 src2=0
	v_bitop3_b32 v116, v116, v129, v128 bitop3:0x80
	v_lshl_add_u32 v128, v118, 2, v12
	v_xor_b32_e32 v130, s18, v130
	v_xor_b32_e32 v129, s14, v131
	;; [unrolled: 1-line block ×3, first 2 shown]
	ds_load_b32 v118, v128 offset:32
	v_bitop3_b32 v116, v116, v119, v130 bitop3:0x80
	; wave barrier
	s_delay_alu instid0(VALU_DEP_1) | instskip(SKIP_1) | instid1(VALU_DEP_2)
	v_bitop3_b32 v117, v116, v117, v129 bitop3:0x80
	v_add_nc_u32_e32 v116, 32, v128
	v_mbcnt_lo_u32_b32 v119, v117, 0
	v_cmp_ne_u32_e64 s15, 0, v117
	s_delay_alu instid0(VALU_DEP_2) | instskip(SKIP_1) | instid1(SALU_CYCLE_1)
	v_cmp_eq_u32_e64 s14, 0, v119
	s_and_b32 s15, s15, s14
	s_and_saveexec_b32 s14, s15
	s_cbranch_execz .LBB1832_73
; %bb.72:                               ;   in Loop: Header=BB1832_53 Depth=1
	s_wait_dscnt 0x0
	v_bcnt_u32_b32 v117, v117, v118
	ds_store_b32 v116, v117
.LBB1832_73:                            ;   in Loop: Header=BB1832_53 Depth=1
	s_or_b32 exec_lo, exec_lo, s14
	s_set_vgpr_msb 4                        ;  msbs: dst=0 src0=0 src1=1 src2=0
	v_cmp_ne_u16_e64 s14, 0x7fff, v41 /*v297*/
	; wave barrier
	s_delay_alu instid0(VALU_DEP_1) | instskip(SKIP_1) | instid1(VALU_DEP_1)
	v_cndmask_b32_e64 v117, 0xffff8000, v41 /*v297*/, s14
	s_set_vgpr_msb 0                        ;  msbs: dst=0 src0=0 src1=0 src2=0
	v_and_b32_e32 v117, 0xffff, v117
	s_delay_alu instid0(VALU_DEP_1) | instskip(NEXT) | instid1(VALU_DEP_1)
	v_lshrrev_b32_e32 v117, v10, v117
	v_and_b32_e32 v128, v117, v83
	s_delay_alu instid0(VALU_DEP_1) | instskip(SKIP_1) | instid1(VALU_DEP_2)
	v_lshlrev_b32_e32 v131, 30, v128
	v_bitop3_b32 v117, v117, 1, v83 bitop3:0x80
	v_cmp_gt_i32_e64 s15, 0, v131
	s_delay_alu instid0(VALU_DEP_2) | instskip(NEXT) | instid1(VALU_DEP_1)
	v_add_co_u32 v117, s14, v117, -1
	v_cndmask_b32_e64 v130, 0, 1, s14
	s_delay_alu instid0(VALU_DEP_1) | instskip(SKIP_1) | instid1(VALU_DEP_1)
	v_cmp_ne_u32_e64 s14, 0, v130
	v_not_b32_e32 v130, v131
	v_dual_ashrrev_i32 v130, 31, v130 :: v_dual_lshlrev_b32 v132, 29, v128
	v_dual_lshlrev_b32 v133, 28, v128 :: v_dual_lshlrev_b32 v134, 27, v128
	v_dual_lshlrev_b32 v135, 26, v128 :: v_dual_lshlrev_b32 v144, 25, v128
	s_delay_alu instid0(VALU_DEP_3) | instskip(SKIP_1) | instid1(VALU_DEP_4)
	v_cmp_gt_i32_e64 s16, 0, v132
	v_not_b32_e32 v131, v132
	v_not_b32_e32 v132, v133
	s_set_vgpr_msb 16                       ;  msbs: dst=0 src0=0 src1=0 src2=1
	v_lshl_add_u32 v129, v128, 3, v7 /*v263*/
	v_lshlrev_b32_e32 v128, 24, v128
	v_cmp_gt_i32_e64 s17, 0, v133
	v_cmp_gt_i32_e64 s18, 0, v134
	v_not_b32_e32 v133, v134
	v_cmp_gt_i32_e64 s19, 0, v135
	v_not_b32_e32 v134, v135
	v_not_b32_e32 v135, v144
	v_dual_ashrrev_i32 v131, 31, v131 :: v_dual_bitop2_b32 v117, s14, v117 bitop3:0x14
	v_dual_ashrrev_i32 v132, 31, v132 :: v_dual_ashrrev_i32 v133, 31, v133
	v_xor_b32_e32 v130, s15, v130
	v_not_b32_e32 v145, v128
	s_delay_alu instid0(VALU_DEP_4) | instskip(NEXT) | instid1(VALU_DEP_4)
	v_dual_ashrrev_i32 v134, 31, v134 :: v_dual_bitop2_b32 v131, s16, v131 bitop3:0x14
	v_xor_b32_e32 v132, s17, v132
	s_delay_alu instid0(VALU_DEP_4)
	v_bitop3_b32 v117, v117, v130, exec_lo bitop3:0x80
	v_xor_b32_e32 v133, s18, v133
	v_cmp_gt_i32_e64 s14, 0, v144
	v_cmp_gt_i32_e64 s15, 0, v128
	v_ashrrev_i32_e32 v128, 31, v145
	s_set_vgpr_msb 0                        ;  msbs: dst=0 src0=0 src1=0 src2=0
	v_bitop3_b32 v117, v117, v132, v131 bitop3:0x80
	v_lshl_add_u32 v129, v129, 2, v12
	v_dual_ashrrev_i32 v134, 31, v135 :: v_dual_bitop2_b32 v130, s19, v134 bitop3:0x14
	v_xor_b32_e32 v128, s15, v128
	ds_load_b32 v144, v129 offset:32
	v_bitop3_b32 v117, v117, v130, v133 bitop3:0x80
	v_xor_b32_e32 v131, s14, v134
	; wave barrier
	s_delay_alu instid0(VALU_DEP_1) | instskip(SKIP_1) | instid1(VALU_DEP_2)
	v_bitop3_b32 v117, v117, v128, v131 bitop3:0x80
	v_add_nc_u32_e32 v128, 32, v129
	v_mbcnt_lo_u32_b32 v146, v117, 0
	v_cmp_ne_u32_e64 s15, 0, v117
	s_delay_alu instid0(VALU_DEP_2) | instskip(SKIP_1) | instid1(SALU_CYCLE_1)
	v_cmp_eq_u32_e64 s14, 0, v146
	s_and_b32 s15, s15, s14
	s_and_saveexec_b32 s14, s15
	s_cbranch_execz .LBB1832_75
; %bb.74:                               ;   in Loop: Header=BB1832_53 Depth=1
	s_wait_dscnt 0x0
	v_bcnt_u32_b32 v117, v117, v144
	ds_store_b32 v128, v117
.LBB1832_75:                            ;   in Loop: Header=BB1832_53 Depth=1
	s_or_b32 exec_lo, exec_lo, s14
	s_set_vgpr_msb 4                        ;  msbs: dst=0 src0=0 src1=1 src2=0
	v_cmp_ne_u16_e64 s14, 0x7fff, v42 /*v298*/
	; wave barrier
	s_delay_alu instid0(VALU_DEP_1) | instskip(SKIP_1) | instid1(VALU_DEP_1)
	v_cndmask_b32_e64 v117, 0xffff8000, v42 /*v298*/, s14
	s_set_vgpr_msb 0                        ;  msbs: dst=0 src0=0 src1=0 src2=0
	v_and_b32_e32 v117, 0xffff, v117
	s_delay_alu instid0(VALU_DEP_1) | instskip(NEXT) | instid1(VALU_DEP_1)
	v_lshrrev_b32_e32 v117, v10, v117
	v_and_b32_e32 v129, v117, v83
	v_bitop3_b32 v117, v117, 1, v83 bitop3:0x80
	s_delay_alu instid0(VALU_DEP_2) | instskip(NEXT) | instid1(VALU_DEP_2)
	v_dual_lshlrev_b32 v132, 30, v129 :: v_dual_lshlrev_b32 v133, 29, v129
	v_add_co_u32 v117, s14, v117, -1
	s_delay_alu instid0(VALU_DEP_1) | instskip(NEXT) | instid1(VALU_DEP_3)
	v_cndmask_b32_e64 v131, 0, 1, s14
	v_cmp_gt_i32_e64 s15, 0, v132
	s_delay_alu instid0(VALU_DEP_4) | instskip(NEXT) | instid1(VALU_DEP_3)
	v_cmp_gt_i32_e64 s16, 0, v133
	v_cmp_ne_u32_e64 s14, 0, v131
	v_not_b32_e32 v131, v132
	v_not_b32_e32 v132, v133
	s_delay_alu instid0(VALU_DEP_1) | instskip(SKIP_4) | instid1(VALU_DEP_3)
	v_dual_ashrrev_i32 v131, 31, v131 :: v_dual_ashrrev_i32 v132, 31, v132
	v_dual_lshlrev_b32 v134, 28, v129 :: v_dual_lshlrev_b32 v135, 27, v129
	v_dual_lshlrev_b32 v145, 26, v129 :: v_dual_lshlrev_b32 v147, 25, v129
	s_set_vgpr_msb 16                       ;  msbs: dst=0 src0=0 src1=0 src2=1
	v_lshl_add_u32 v130, v129, 3, v7 /*v263*/
	v_not_b32_e32 v133, v134
	v_cmp_gt_i32_e64 s17, 0, v134
	v_cmp_gt_i32_e64 s18, 0, v135
	v_not_b32_e32 v134, v135
	v_lshlrev_b32_e32 v129, 24, v129
	v_not_b32_e32 v135, v145
	v_xor_b32_e32 v117, s14, v117
	v_dual_ashrrev_i32 v133, 31, v133 :: v_dual_bitop2_b32 v131, s15, v131 bitop3:0x14
	v_cmp_gt_i32_e64 s19, 0, v145
	v_not_b32_e32 v145, v147
	v_ashrrev_i32_e32 v134, 31, v134
	v_not_b32_e32 v148, v129
	v_dual_ashrrev_i32 v135, 31, v135 :: v_dual_bitop2_b32 v132, s16, v132 bitop3:0x14
	v_xor_b32_e32 v133, s17, v133
	v_bitop3_b32 v117, v117, v131, exec_lo bitop3:0x80
	v_xor_b32_e32 v134, s18, v134
	v_cmp_gt_i32_e64 s14, 0, v147
	v_cmp_gt_i32_e64 s15, 0, v129
	v_ashrrev_i32_e32 v129, 31, v148
	s_set_vgpr_msb 0                        ;  msbs: dst=0 src0=0 src1=0 src2=0
	v_lshl_add_u32 v130, v130, 2, v12
	v_dual_ashrrev_i32 v135, 31, v145 :: v_dual_bitop2_b32 v131, s19, v135 bitop3:0x14
	v_bitop3_b32 v117, v117, v133, v132 bitop3:0x80
	v_xor_b32_e32 v129, s15, v129
	ds_load_b32 v148, v130 offset:32
	v_dual_add_nc_u32 v130, 32, v130 :: v_dual_bitop2_b32 v132, s14, v135 bitop3:0x14
	v_bitop3_b32 v117, v117, v131, v134 bitop3:0x80
	; wave barrier
	s_delay_alu instid0(VALU_DEP_1) | instskip(NEXT) | instid1(VALU_DEP_1)
	v_bitop3_b32 v117, v117, v129, v132 bitop3:0x80
	v_mbcnt_lo_u32_b32 v164, v117, 0
	v_cmp_ne_u32_e64 s15, 0, v117
	s_delay_alu instid0(VALU_DEP_2) | instskip(SKIP_1) | instid1(SALU_CYCLE_1)
	v_cmp_eq_u32_e64 s14, 0, v164
	s_and_b32 s15, s15, s14
	s_and_saveexec_b32 s14, s15
	s_cbranch_execz .LBB1832_77
; %bb.76:                               ;   in Loop: Header=BB1832_53 Depth=1
	s_wait_dscnt 0x0
	v_bcnt_u32_b32 v117, v117, v148
	ds_store_b32 v130, v117
.LBB1832_77:                            ;   in Loop: Header=BB1832_53 Depth=1
	s_or_b32 exec_lo, exec_lo, s14
	s_set_vgpr_msb 4                        ;  msbs: dst=0 src0=0 src1=1 src2=0
	v_cmp_ne_u16_e64 s14, 0x7fff, v43 /*v299*/
	; wave barrier
	s_delay_alu instid0(VALU_DEP_1) | instskip(SKIP_1) | instid1(VALU_DEP_1)
	v_cndmask_b32_e64 v117, 0xffff8000, v43 /*v299*/, s14
	s_set_vgpr_msb 0                        ;  msbs: dst=0 src0=0 src1=0 src2=0
	v_and_b32_e32 v117, 0xffff, v117
	s_delay_alu instid0(VALU_DEP_1) | instskip(NEXT) | instid1(VALU_DEP_1)
	v_lshrrev_b32_e32 v117, v10, v117
	v_and_b32_e32 v129, v117, v83
	v_bitop3_b32 v117, v117, 1, v83 bitop3:0x80
	s_delay_alu instid0(VALU_DEP_2) | instskip(NEXT) | instid1(VALU_DEP_2)
	v_dual_lshlrev_b32 v133, 30, v129 :: v_dual_lshlrev_b32 v134, 29, v129
	v_add_co_u32 v117, s14, v117, -1
	s_delay_alu instid0(VALU_DEP_1) | instskip(NEXT) | instid1(VALU_DEP_3)
	v_cndmask_b32_e64 v132, 0, 1, s14
	v_cmp_gt_i32_e64 s15, 0, v133
	s_delay_alu instid0(VALU_DEP_4) | instskip(NEXT) | instid1(VALU_DEP_3)
	v_cmp_gt_i32_e64 s16, 0, v134
	v_cmp_ne_u32_e64 s14, 0, v132
	v_not_b32_e32 v132, v133
	v_not_b32_e32 v133, v134
	s_delay_alu instid0(VALU_DEP_1) | instskip(SKIP_4) | instid1(VALU_DEP_3)
	v_dual_ashrrev_i32 v132, 31, v132 :: v_dual_ashrrev_i32 v133, 31, v133
	v_dual_lshlrev_b32 v135, 28, v129 :: v_dual_lshlrev_b32 v145, 27, v129
	v_dual_lshlrev_b32 v147, 26, v129 :: v_dual_lshlrev_b32 v149, 25, v129
	s_set_vgpr_msb 16                       ;  msbs: dst=0 src0=0 src1=0 src2=1
	v_lshl_add_u32 v131, v129, 3, v7 /*v263*/
	v_not_b32_e32 v134, v135
	v_lshlrev_b32_e32 v129, 24, v129
	v_cmp_gt_i32_e64 s17, 0, v135
	v_cmp_gt_i32_e64 s18, 0, v145
	v_not_b32_e32 v135, v145
	v_not_b32_e32 v145, v147
	v_dual_ashrrev_i32 v134, 31, v134 :: v_dual_bitop2_b32 v117, s14, v117 bitop3:0x14
	v_xor_b32_e32 v132, s15, v132
	v_cmp_gt_i32_e64 s19, 0, v147
	v_not_b32_e32 v147, v149
	v_not_b32_e32 v150, v129
	v_dual_ashrrev_i32 v135, 31, v135 :: v_dual_ashrrev_i32 v145, 31, v145
	v_xor_b32_e32 v133, s16, v133
	v_bitop3_b32 v117, v117, v132, exec_lo bitop3:0x80
	s_set_vgpr_msb 0                        ;  msbs: dst=0 src0=0 src1=0 src2=0
	v_lshl_add_u32 v131, v131, 2, v12
	v_xor_b32_e32 v134, s17, v134
	v_xor_b32_e32 v135, s18, v135
	;; [unrolled: 1-line block ×3, first 2 shown]
	v_cmp_gt_i32_e64 s14, 0, v149
	v_ashrrev_i32_e32 v145, 31, v147
	v_cmp_gt_i32_e64 s15, 0, v129
	v_ashrrev_i32_e32 v129, 31, v150
	v_bitop3_b32 v117, v117, v134, v133 bitop3:0x80
	ds_load_b32 v165, v131 offset:32
	v_xor_b32_e32 v133, s14, v145
	v_xor_b32_e32 v129, s15, v129
	v_bitop3_b32 v117, v117, v132, v135 bitop3:0x80
	v_add_nc_u32_e32 v132, 32, v131
	; wave barrier
	s_delay_alu instid0(VALU_DEP_2) | instskip(NEXT) | instid1(VALU_DEP_1)
	v_bitop3_b32 v117, v117, v129, v133 bitop3:0x80
	v_mbcnt_lo_u32_b32 v176, v117, 0
	v_cmp_ne_u32_e64 s15, 0, v117
	s_delay_alu instid0(VALU_DEP_2) | instskip(SKIP_1) | instid1(SALU_CYCLE_1)
	v_cmp_eq_u32_e64 s14, 0, v176
	s_and_b32 s15, s15, s14
	s_and_saveexec_b32 s14, s15
	s_cbranch_execz .LBB1832_79
; %bb.78:                               ;   in Loop: Header=BB1832_53 Depth=1
	s_wait_dscnt 0x0
	v_bcnt_u32_b32 v117, v117, v165
	ds_store_b32 v132, v117
.LBB1832_79:                            ;   in Loop: Header=BB1832_53 Depth=1
	s_or_b32 exec_lo, exec_lo, s14
	s_set_vgpr_msb 4                        ;  msbs: dst=0 src0=0 src1=1 src2=0
	v_cmp_ne_u16_e64 s14, 0x7fff, v45 /*v301*/
	; wave barrier
	s_delay_alu instid0(VALU_DEP_1) | instskip(SKIP_1) | instid1(VALU_DEP_1)
	v_cndmask_b32_e64 v117, 0xffff8000, v45 /*v301*/, s14
	s_set_vgpr_msb 0                        ;  msbs: dst=0 src0=0 src1=0 src2=0
	v_and_b32_e32 v117, 0xffff, v117
	s_delay_alu instid0(VALU_DEP_1) | instskip(NEXT) | instid1(VALU_DEP_1)
	v_lshrrev_b32_e32 v117, v10, v117
	v_and_b32_e32 v129, v117, v83
	v_bitop3_b32 v117, v117, 1, v83 bitop3:0x80
	s_delay_alu instid0(VALU_DEP_2) | instskip(NEXT) | instid1(VALU_DEP_2)
	v_lshlrev_b32_e32 v134, 30, v129
	v_add_co_u32 v117, s14, v117, -1
	s_delay_alu instid0(VALU_DEP_1) | instskip(NEXT) | instid1(VALU_DEP_1)
	v_cndmask_b32_e64 v133, 0, 1, s14
	v_cmp_ne_u32_e64 s14, 0, v133
	s_delay_alu instid0(VALU_DEP_4) | instskip(NEXT) | instid1(VALU_DEP_1)
	v_not_b32_e32 v133, v134
	v_ashrrev_i32_e32 v133, 31, v133
	v_dual_lshlrev_b32 v135, 29, v129 :: v_dual_lshlrev_b32 v145, 28, v129
	v_lshlrev_b32_e32 v147, 27, v129
	s_set_vgpr_msb 16                       ;  msbs: dst=0 src0=0 src1=0 src2=1
	v_lshl_add_u32 v131, v129, 3, v7 /*v263*/
	v_dual_lshlrev_b32 v149, 26, v129 :: v_dual_lshlrev_b32 v150, 25, v129
	v_cmp_gt_i32_e64 s15, 0, v134
	v_cmp_gt_i32_e64 s16, 0, v135
	v_not_b32_e32 v134, v135
	v_not_b32_e32 v135, v145
	v_lshlrev_b32_e32 v129, 24, v129
	v_cmp_gt_i32_e64 s17, 0, v145
	v_cmp_gt_i32_e64 s18, 0, v147
	v_not_b32_e32 v145, v147
	v_not_b32_e32 v147, v149
	v_dual_ashrrev_i32 v134, 31, v134 :: v_dual_bitop2_b32 v117, s14, v117 bitop3:0x14
	v_ashrrev_i32_e32 v135, 31, v135
	v_not_b32_e32 v151, v129
	v_xor_b32_e32 v133, s15, v133
	v_cmp_gt_i32_e64 s19, 0, v149
	v_not_b32_e32 v149, v150
	v_dual_ashrrev_i32 v145, 31, v145 :: v_dual_bitop2_b32 v134, s16, v134 bitop3:0x14
	v_ashrrev_i32_e32 v147, 31, v147
	v_xor_b32_e32 v135, s17, v135
	v_cmp_gt_i32_e64 s15, 0, v129
	v_ashrrev_i32_e32 v129, 31, v151
	v_bitop3_b32 v117, v117, v133, exec_lo bitop3:0x80
	v_xor_b32_e32 v133, s19, v147
	v_cmp_gt_i32_e64 s14, 0, v150
	v_ashrrev_i32_e32 v147, 31, v149
	s_set_vgpr_msb 0                        ;  msbs: dst=0 src0=0 src1=0 src2=0
	v_lshl_add_u32 v131, v131, 2, v12
	v_xor_b32_e32 v145, s18, v145
	v_bitop3_b32 v117, v117, v135, v134 bitop3:0x80
	v_xor_b32_e32 v129, s15, v129
	v_xor_b32_e32 v134, s14, v147
	ds_load_b32 v177, v131 offset:32
	v_bitop3_b32 v117, v117, v133, v145 bitop3:0x80
	; wave barrier
	s_delay_alu instid0(VALU_DEP_1) | instskip(SKIP_1) | instid1(VALU_DEP_2)
	v_bitop3_b32 v117, v117, v129, v134 bitop3:0x80
	v_add_nc_u32_e32 v134, 32, v131
	v_mbcnt_lo_u32_b32 v178, v117, 0
	v_cmp_ne_u32_e64 s15, 0, v117
	s_delay_alu instid0(VALU_DEP_2) | instskip(SKIP_1) | instid1(SALU_CYCLE_1)
	v_cmp_eq_u32_e64 s14, 0, v178
	s_and_b32 s15, s15, s14
	s_and_saveexec_b32 s14, s15
	s_cbranch_execz .LBB1832_81
; %bb.80:                               ;   in Loop: Header=BB1832_53 Depth=1
	s_wait_dscnt 0x0
	v_bcnt_u32_b32 v117, v117, v177
	ds_store_b32 v134, v117
.LBB1832_81:                            ;   in Loop: Header=BB1832_53 Depth=1
	s_or_b32 exec_lo, exec_lo, s14
	s_set_vgpr_msb 4                        ;  msbs: dst=0 src0=0 src1=1 src2=0
	v_cmp_ne_u16_e64 s14, 0x7fff, v44 /*v300*/
	; wave barrier
	s_delay_alu instid0(VALU_DEP_1) | instskip(SKIP_1) | instid1(VALU_DEP_1)
	v_cndmask_b32_e64 v117, 0xffff8000, v44 /*v300*/, s14
	s_set_vgpr_msb 0                        ;  msbs: dst=0 src0=0 src1=0 src2=0
	v_and_b32_e32 v117, 0xffff, v117
	s_delay_alu instid0(VALU_DEP_1) | instskip(NEXT) | instid1(VALU_DEP_1)
	v_lshrrev_b32_e32 v117, v10, v117
	v_and_b32_e32 v129, v117, v83
	v_bitop3_b32 v117, v117, 1, v83 bitop3:0x80
	s_delay_alu instid0(VALU_DEP_2) | instskip(NEXT) | instid1(VALU_DEP_2)
	v_lshlrev_b32_e32 v135, 30, v129
	v_add_co_u32 v117, s14, v117, -1
	s_delay_alu instid0(VALU_DEP_1) | instskip(NEXT) | instid1(VALU_DEP_1)
	v_cndmask_b32_e64 v133, 0, 1, s14
	v_cmp_ne_u32_e64 s14, 0, v133
	s_delay_alu instid0(VALU_DEP_4) | instskip(NEXT) | instid1(VALU_DEP_1)
	v_not_b32_e32 v133, v135
	v_ashrrev_i32_e32 v133, 31, v133
	v_dual_lshlrev_b32 v145, 29, v129 :: v_dual_lshlrev_b32 v147, 28, v129
	v_lshlrev_b32_e32 v149, 27, v129
	s_set_vgpr_msb 16                       ;  msbs: dst=0 src0=0 src1=0 src2=1
	v_lshl_add_u32 v131, v129, 3, v7 /*v263*/
	v_dual_lshlrev_b32 v150, 26, v129 :: v_dual_lshlrev_b32 v151, 25, v129
	v_cmp_gt_i32_e64 s15, 0, v135
	v_cmp_gt_i32_e64 s16, 0, v145
	v_not_b32_e32 v135, v145
	v_cmp_gt_i32_e64 s17, 0, v147
	v_not_b32_e32 v145, v147
	v_not_b32_e32 v147, v149
	v_lshlrev_b32_e32 v129, 24, v129
	v_cmp_gt_i32_e64 s18, 0, v149
	v_cmp_gt_i32_e64 s19, 0, v150
	v_not_b32_e32 v149, v150
	v_not_b32_e32 v150, v151
	v_dual_ashrrev_i32 v135, 31, v135 :: v_dual_bitop2_b32 v117, s14, v117 bitop3:0x14
	v_dual_ashrrev_i32 v145, 31, v145 :: v_dual_ashrrev_i32 v147, 31, v147
	v_not_b32_e32 v160, v129
	v_xor_b32_e32 v133, s15, v133
	s_delay_alu instid0(VALU_DEP_4) | instskip(SKIP_1) | instid1(VALU_DEP_4)
	v_dual_ashrrev_i32 v149, 31, v149 :: v_dual_bitop2_b32 v135, s16, v135 bitop3:0x14
	v_cmp_gt_i32_e64 s15, 0, v129
	v_ashrrev_i32_e32 v129, 31, v160
	s_delay_alu instid0(VALU_DEP_4)
	v_bitop3_b32 v117, v117, v133, exec_lo bitop3:0x80
	s_set_vgpr_msb 0                        ;  msbs: dst=0 src0=0 src1=0 src2=0
	v_lshl_add_u32 v131, v131, 2, v12
	v_xor_b32_e32 v145, s17, v145
	v_xor_b32_e32 v147, s18, v147
	;; [unrolled: 1-line block ×3, first 2 shown]
	v_cmp_gt_i32_e64 s14, 0, v151
	v_dual_ashrrev_i32 v149, 31, v150 :: v_dual_add_nc_u32 v150, 32, v131
	v_bitop3_b32 v117, v117, v145, v135 bitop3:0x80
	v_xor_b32_e32 v129, s15, v129
	ds_load_b32 v180, v131 offset:32
	v_xor_b32_e32 v135, s14, v149
	v_bitop3_b32 v117, v117, v133, v147 bitop3:0x80
	; wave barrier
	s_delay_alu instid0(VALU_DEP_1) | instskip(NEXT) | instid1(VALU_DEP_1)
	v_bitop3_b32 v117, v117, v129, v135 bitop3:0x80
	v_mbcnt_lo_u32_b32 v182, v117, 0
	v_cmp_ne_u32_e64 s15, 0, v117
	s_delay_alu instid0(VALU_DEP_2) | instskip(SKIP_1) | instid1(SALU_CYCLE_1)
	v_cmp_eq_u32_e64 s14, 0, v182
	s_and_b32 s15, s15, s14
	s_and_saveexec_b32 s14, s15
	s_cbranch_execz .LBB1832_83
; %bb.82:                               ;   in Loop: Header=BB1832_53 Depth=1
	s_wait_dscnt 0x0
	v_bcnt_u32_b32 v117, v117, v180
	ds_store_b32 v150, v117
.LBB1832_83:                            ;   in Loop: Header=BB1832_53 Depth=1
	s_or_b32 exec_lo, exec_lo, s14
	s_set_vgpr_msb 4                        ;  msbs: dst=0 src0=0 src1=1 src2=0
	v_cmp_ne_u16_e64 s14, 0x7fff, v46 /*v302*/
	; wave barrier
	s_delay_alu instid0(VALU_DEP_1) | instskip(SKIP_1) | instid1(VALU_DEP_1)
	v_cndmask_b32_e64 v117, 0xffff8000, v46 /*v302*/, s14
	s_set_vgpr_msb 0                        ;  msbs: dst=0 src0=0 src1=0 src2=0
	v_and_b32_e32 v117, 0xffff, v117
	s_delay_alu instid0(VALU_DEP_1) | instskip(NEXT) | instid1(VALU_DEP_1)
	v_lshrrev_b32_e32 v117, v10, v117
	v_and_b32_e32 v129, v117, v83
	v_bitop3_b32 v83, v117, 1, v83 bitop3:0x80
	s_delay_alu instid0(VALU_DEP_2) | instskip(NEXT) | instid1(VALU_DEP_2)
	v_dual_lshlrev_b32 v133, 30, v129 :: v_dual_lshlrev_b32 v135, 29, v129
	v_add_co_u32 v83, s14, v83, -1
	s_delay_alu instid0(VALU_DEP_1) | instskip(NEXT) | instid1(VALU_DEP_3)
	v_cndmask_b32_e64 v131, 0, 1, s14
	v_cmp_gt_i32_e64 s15, 0, v133
	s_delay_alu instid0(VALU_DEP_4) | instskip(NEXT) | instid1(VALU_DEP_3)
	v_cmp_gt_i32_e64 s16, 0, v135
	v_cmp_ne_u32_e64 s14, 0, v131
	v_not_b32_e32 v131, v133
	v_not_b32_e32 v133, v135
	s_delay_alu instid0(VALU_DEP_3) | instskip(NEXT) | instid1(VALU_DEP_2)
	v_xor_b32_e32 v83, s14, v83
	v_dual_ashrrev_i32 v131, 31, v131 :: v_dual_ashrrev_i32 v133, 31, v133
	v_dual_lshlrev_b32 v145, 28, v129 :: v_dual_lshlrev_b32 v147, 27, v129
	v_dual_lshlrev_b32 v149, 26, v129 :: v_dual_lshlrev_b32 v151, 25, v129
	s_set_vgpr_msb 16                       ;  msbs: dst=0 src0=0 src1=0 src2=1
	v_lshl_add_u32 v117, v129, 3, v7 /*v263*/
	s_delay_alu instid0(VALU_DEP_3)
	v_not_b32_e32 v135, v145
	v_lshlrev_b32_e32 v129, 24, v129
	v_cmp_gt_i32_e64 s17, 0, v145
	v_cmp_gt_i32_e64 s18, 0, v147
	v_not_b32_e32 v145, v147
	v_cmp_gt_i32_e64 s19, 0, v149
	v_not_b32_e32 v147, v149
	v_not_b32_e32 v149, v151
	s_delay_alu instid0(VALU_DEP_4) | instskip(SKIP_3) | instid1(VALU_DEP_4)
	v_dual_ashrrev_i32 v135, 31, v135 :: v_dual_ashrrev_i32 v145, 31, v145
	v_xor_b32_e32 v131, s15, v131
	v_not_b32_e32 v160, v129
	v_dual_ashrrev_i32 v147, 31, v147 :: v_dual_bitop2_b32 v133, s16, v133 bitop3:0x14
	v_xor_b32_e32 v135, s17, v135
	s_delay_alu instid0(VALU_DEP_4)
	v_bitop3_b32 v83, v83, v131, exec_lo bitop3:0x80
	v_xor_b32_e32 v145, s18, v145
	v_cmp_gt_i32_e64 s14, 0, v151
	v_cmp_gt_i32_e64 s15, 0, v129
	v_ashrrev_i32_e32 v129, 31, v160
	s_set_vgpr_msb 0                        ;  msbs: dst=0 src0=0 src1=0 src2=0
	v_bitop3_b32 v83, v83, v135, v133 bitop3:0x80
	v_lshl_add_u32 v133, v117, 2, v12
	v_dual_ashrrev_i32 v147, 31, v149 :: v_dual_bitop2_b32 v131, s19, v147 bitop3:0x14
	v_xor_b32_e32 v129, s15, v129
	s_delay_alu instid0(VALU_DEP_3) | instskip(NEXT) | instid1(VALU_DEP_3)
	v_add_nc_u32_e32 v160, 32, v133
	v_bitop3_b32 v131, v83, v131, v145 bitop3:0x80
	s_delay_alu instid0(VALU_DEP_4) | instskip(SKIP_2) | instid1(VALU_DEP_1)
	v_xor_b32_e32 v117, s14, v147
	ds_load_b32 v83, v133 offset:32
	; wave barrier
	v_bitop3_b32 v117, v131, v129, v117 bitop3:0x80
	v_mbcnt_lo_u32_b32 v192, v117, 0
	v_cmp_ne_u32_e64 s15, 0, v117
	s_delay_alu instid0(VALU_DEP_2) | instskip(SKIP_1) | instid1(SALU_CYCLE_1)
	v_cmp_eq_u32_e64 s14, 0, v192
	s_and_b32 s15, s15, s14
	s_and_saveexec_b32 s14, s15
	s_cbranch_execz .LBB1832_85
; %bb.84:                               ;   in Loop: Header=BB1832_53 Depth=1
	s_wait_dscnt 0x0
	v_bcnt_u32_b32 v117, v117, v83
	ds_store_b32 v160, v117
.LBB1832_85:                            ;   in Loop: Header=BB1832_53 Depth=1
	s_or_b32 exec_lo, exec_lo, s14
	; wave barrier
	s_wait_dscnt 0x0
	s_barrier_signal -1
	s_barrier_wait -1
	ds_load_b32 v129, v31
	ds_load_b32 v133, v39
	s_set_vgpr_msb 1                        ;  msbs: dst=0 src0=1 src1=0 src2=0
	ds_load_b32 v135, v1 /*v257*/
	ds_load_b32 v117, v2 /*v258*/
	;; [unrolled: 1-line block ×6, first 2 shown]
	s_wait_dscnt 0x6
	s_set_vgpr_msb 0                        ;  msbs: dst=0 src0=0 src1=0 src2=0
	v_add_nc_u32_e32 v147, v133, v129
	s_wait_dscnt 0x4
	s_delay_alu instid0(VALU_DEP_1) | instskip(SKIP_1) | instid1(VALU_DEP_1)
	v_add3_u32 v147, v147, v135, v117
	s_wait_dscnt 0x2
	v_add3_u32 v147, v147, v131, v149
	s_wait_dscnt 0x0
	s_delay_alu instid0(VALU_DEP_1) | instskip(NEXT) | instid1(VALU_DEP_1)
	v_add3_u32 v145, v147, v162, v145
	v_mov_b32_dpp v147, v145 row_shr:1 row_mask:0xf bank_mask:0xf
	s_delay_alu instid0(VALU_DEP_1) | instskip(NEXT) | instid1(VALU_DEP_1)
	v_cndmask_b32_e64 v147, v147, 0, vcc_lo
	v_add_nc_u32_e32 v145, v147, v145
	s_delay_alu instid0(VALU_DEP_1) | instskip(NEXT) | instid1(VALU_DEP_1)
	v_mov_b32_dpp v147, v145 row_shr:2 row_mask:0xf bank_mask:0xf
	v_cndmask_b32_e64 v147, 0, v147, s0
	s_delay_alu instid0(VALU_DEP_1) | instskip(NEXT) | instid1(VALU_DEP_1)
	v_add_nc_u32_e32 v145, v145, v147
	v_mov_b32_dpp v147, v145 row_shr:4 row_mask:0xf bank_mask:0xf
	s_delay_alu instid0(VALU_DEP_1) | instskip(NEXT) | instid1(VALU_DEP_1)
	v_cndmask_b32_e64 v147, 0, v147, s1
	v_add_nc_u32_e32 v145, v145, v147
	s_delay_alu instid0(VALU_DEP_1) | instskip(NEXT) | instid1(VALU_DEP_1)
	v_mov_b32_dpp v147, v145 row_shr:8 row_mask:0xf bank_mask:0xf
	v_cndmask_b32_e64 v147, 0, v147, s3
	s_delay_alu instid0(VALU_DEP_1) | instskip(SKIP_3) | instid1(VALU_DEP_1)
	v_add_nc_u32_e32 v145, v145, v147
	ds_swizzle_b32 v147, v145 offset:swizzle(BROADCAST,32,15)
	s_wait_dscnt 0x0
	v_cndmask_b32_e64 v147, v147, 0, s4
	v_add_nc_u32_e32 v145, v145, v147
	s_and_saveexec_b32 s14, s5
; %bb.86:                               ;   in Loop: Header=BB1832_53 Depth=1
	s_set_vgpr_msb 1                        ;  msbs: dst=0 src0=1 src1=0 src2=0
	ds_store_b32 v10 /*v266*/, v145
; %bb.87:                               ;   in Loop: Header=BB1832_53 Depth=1
	s_or_b32 exec_lo, exec_lo, s14
	s_wait_dscnt 0x0
	s_barrier_signal -1
	s_barrier_wait -1
	s_and_saveexec_b32 s14, s6
	s_set_vgpr_msb 0                        ;  msbs: dst=0 src0=0 src1=0 src2=0
	s_cbranch_execz .LBB1832_89
; %bb.88:                               ;   in Loop: Header=BB1832_53 Depth=1
	s_set_vgpr_msb 1                        ;  msbs: dst=0 src0=1 src1=0 src2=0
	ds_load_b32 v147, v11 /*v267*/
	s_wait_dscnt 0x0
	s_set_vgpr_msb 0                        ;  msbs: dst=0 src0=0 src1=0 src2=0
	v_mov_b32_dpp v151, v147 row_shr:1 row_mask:0xf bank_mask:0xf
	s_delay_alu instid0(VALU_DEP_1) | instskip(NEXT) | instid1(VALU_DEP_1)
	v_cndmask_b32_e64 v151, v151, 0, s11
	v_add_nc_u32_e32 v147, v151, v147
	s_delay_alu instid0(VALU_DEP_1) | instskip(NEXT) | instid1(VALU_DEP_1)
	v_mov_b32_dpp v151, v147 row_shr:2 row_mask:0xf bank_mask:0xf
	v_cndmask_b32_e64 v151, 0, v151, s12
	s_delay_alu instid0(VALU_DEP_1) | instskip(NEXT) | instid1(VALU_DEP_1)
	v_add_nc_u32_e32 v147, v147, v151
	v_mov_b32_dpp v151, v147 row_shr:4 row_mask:0xf bank_mask:0xf
	s_delay_alu instid0(VALU_DEP_1) | instskip(NEXT) | instid1(VALU_DEP_1)
	v_cndmask_b32_e64 v151, 0, v151, s13
	v_add_nc_u32_e32 v147, v147, v151
	s_set_vgpr_msb 1                        ;  msbs: dst=0 src0=1 src1=0 src2=0
	ds_store_b32 v11 /*v267*/, v147
.LBB1832_89:                            ;   in Loop: Header=BB1832_53 Depth=1
	s_or_b32 exec_lo, exec_lo, s14
	s_set_vgpr_msb 0                        ;  msbs: dst=0 src0=0 src1=0 src2=0
	v_mov_b32_e32 v147, 0
	s_wait_dscnt 0x0
	s_barrier_signal -1
	s_barrier_wait -1
	s_and_saveexec_b32 s14, s7
; %bb.90:                               ;   in Loop: Header=BB1832_53 Depth=1
	s_set_vgpr_msb 4                        ;  msbs: dst=0 src0=0 src1=1 src2=0
	v_add_nc_u32_e32 v147, -4, v10 /*v266*/
	ds_load_b32 v147, v147
; %bb.91:                               ;   in Loop: Header=BB1832_53 Depth=1
	s_or_b32 exec_lo, exec_lo, s14
	s_wait_dscnt 0x0
	s_set_vgpr_msb 0                        ;  msbs: dst=0 src0=0 src1=0 src2=0
	v_dual_add_nc_u32 v145, v147, v145 :: v_dual_mov_b32 v151, v1
	v_dual_mov_b32 v161, v1 :: v_dual_mov_b32 v167, v1
	s_mov_b32 s16, -1
	s_set_vgpr_msb 1                        ;  msbs: dst=0 src0=1 src1=0 src2=0
	ds_bpermute_b32 v145, v8 /*v264*/, v145
                                        ; implicit-def: $vgpr303
	v_add_nc_u32_e32 v10, 8, v10
	s_set_vgpr_msb 0                        ;  msbs: dst=0 src0=0 src1=0 src2=0
	s_delay_alu instid0(VALU_DEP_1) | instskip(SKIP_3) | instid1(VALU_DEP_2)
	v_cmp_lt_u32_e64 s14, v10, v11
	s_wait_dscnt 0x0
	v_cndmask_b32_e64 v145, v145, v147, s2
	v_mov_b32_e32 v147, v1
	v_cndmask_b32_e64 v166, v145, 0, s10
	s_delay_alu instid0(VALU_DEP_1) | instskip(NEXT) | instid1(VALU_DEP_1)
	v_dual_mov_b32 v145, v1 :: v_dual_add_nc_u32 v179, v166, v129
	v_dual_mov_b32 v129, v1 :: v_dual_add_nc_u32 v181, v179, v133
	ds_store_b32 v31, v166
	ds_store_b32 v39, v179
	s_set_vgpr_msb 1                        ;  msbs: dst=0 src0=1 src1=0 src2=0
	ds_store_b32 v1 /*v257*/, v181
	s_set_vgpr_msb 0                        ;  msbs: dst=0 src0=0 src1=0 src2=0
	v_mov_b32_e32 v133, v1
	v_add_nc_u32_e32 v183, v181, v135
	v_dual_mov_b32 v163, v1 :: v_dual_mov_b32 v179, v1
	v_dual_mov_b32 v181, v1 :: v_dual_mov_b32 v135, v1
	s_delay_alu instid0(VALU_DEP_3) | instskip(NEXT) | instid1(VALU_DEP_1)
	v_dual_add_nc_u32 v193, v183, v117 :: v_dual_mov_b32 v117, v1
	v_add_nc_u32_e32 v194, v193, v131
	s_delay_alu instid0(VALU_DEP_1) | instskip(NEXT) | instid1(VALU_DEP_1)
	v_dual_mov_b32 v131, v1 :: v_dual_add_nc_u32 v195, v194, v149
	v_dual_mov_b32 v149, v1 :: v_dual_add_nc_u32 v162, v195, v162
	s_set_vgpr_msb 1                        ;  msbs: dst=0 src0=1 src1=0 src2=0
	ds_store_b32 v2 /*v258*/, v183
	ds_store_b32 v3 /*v259*/, v193
	;; [unrolled: 1-line block ×5, first 2 shown]
	s_wait_dscnt 0x0
	s_barrier_signal -1
	s_barrier_wait -1
	s_set_vgpr_msb 0                        ;  msbs: dst=0 src0=0 src1=0 src2=0
	ds_load_b32 v66, v66
	ds_load_b32 v69, v69
	;; [unrolled: 1-line block ×16, first 2 shown]
	v_mov_b32_e32 v183, v1
	s_wait_dscnt 0x0
	v_add_nc_u32_e32 v0, v66, v0
	v_add3_u32 v150, v68, v67, v69
	v_add3_u32 v160, v71, v70, v80
	;; [unrolled: 1-line block ×15, first 2 shown]
	v_lshl_add_u64 v[246:247], v[0:1], 1, v[12:13]
	v_lshl_add_u64 v[244:245], v[150:151], 1, v[12:13]
	;; [unrolled: 1-line block ×16, first 2 shown]
                                        ; implicit-def: $vgpr66_vgpr67
                                        ; implicit-def: $vgpr68_vgpr69
                                        ; implicit-def: $vgpr70_vgpr71
                                        ; implicit-def: $vgpr80_vgpr81
                                        ; implicit-def: $vgpr82_vgpr83
                                        ; implicit-def: $vgpr84_vgpr85
                                        ; implicit-def: $vgpr86_vgpr87
                                        ; implicit-def: $vgpr98_vgpr99
                                        ; implicit-def: $vgpr102_vgpr103
                                        ; implicit-def: $vgpr96_vgpr97
                                        ; implicit-def: $vgpr100_vgpr101
                                        ; implicit-def: $vgpr112_vgpr113
                                        ; implicit-def: $vgpr114_vgpr115
                                        ; implicit-def: $vgpr118_vgpr119
                                        ; implicit-def: $vgpr164_vgpr165
                                        ; implicit-def: $vgpr176_vgpr177
                                        ; implicit-def: $vgpr183
                                        ; implicit-def: $vgpr133
                                        ; implicit-def: $vgpr135
                                        ; implicit-def: $vgpr149
                                        ; implicit-def: $vgpr167
                                        ; implicit-def: $vgpr161
                                        ; implicit-def: $vgpr163
                                        ; implicit-def: $vgpr151
                                        ; implicit-def: $vgpr181
                                        ; implicit-def: $vgpr179
                                        ; implicit-def: $vgpr129
                                        ; implicit-def: $vgpr117
                                        ; implicit-def: $vgpr131
                                        ; implicit-def: $vgpr145
                                        ; implicit-def: $vgpr147
	s_and_saveexec_b32 s15, s14
	s_cbranch_execz .LBB1832_52
; %bb.92:                               ;   in Loop: Header=BB1832_53 Depth=1
	s_set_vgpr_msb 4                        ;  msbs: dst=0 src0=0 src1=1 src2=0
	v_add_nc_u32_e32 v66, 64, v9 /*v265*/
	v_add_nc_u32_e32 v67, 0x80, v9 /*v265*/
	;; [unrolled: 1-line block ×3, first 2 shown]
	s_barrier_signal -1
	s_barrier_wait -1
	ds_store_b16 v246, v31 /*v287*/
	ds_store_b16 v244, v34 /*v290*/
	;; [unrolled: 1-line block ×16, first 2 shown]
	s_wait_dscnt 0x0
	s_barrier_signal -1
	s_barrier_wait -1
	s_set_vgpr_msb 1                        ;  msbs: dst=0 src0=1 src1=0 src2=0
	ds_load_u16 v183, v9 /*v265*/
	s_set_vgpr_msb 4                        ;  msbs: dst=0 src0=0 src1=1 src2=0
	ds_load_u16 v133, v66
	ds_load_u16 v135, v67
	;; [unrolled: 1-line block ×3, first 2 shown]
	v_add_nc_u32_e32 v66, 0x100, v9 /*v265*/
	v_add_nc_u32_e32 v67, 0x140, v9 /*v265*/
	v_add_nc_u32_e32 v68, 0x180, v9 /*v265*/
	v_add_nc_u32_e32 v69, 0x1c0, v9 /*v265*/
	v_add_nc_u32_e32 v70, 0x200, v9 /*v265*/
	ds_load_u16 v167, v66
	ds_load_u16 v161, v67
	;; [unrolled: 1-line block ×5, first 2 shown]
	v_add_nc_u32_e32 v66, 0x240, v9 /*v265*/
	v_add_nc_u32_e32 v67, 0x280, v9 /*v265*/
	;; [unrolled: 1-line block ×5, first 2 shown]
	s_set_vgpr_msb 64                       ;  msbs: dst=1 src0=0 src1=0 src2=0
	ds_load_u16 v47 /*v303*/, v66
	s_set_vgpr_msb 0                        ;  msbs: dst=0 src0=0 src1=0 src2=0
	ds_load_u16 v179, v67
	ds_load_u16 v129, v68
	;; [unrolled: 1-line block ×4, first 2 shown]
	v_mad_nc_u64_u32 v[66:67], v0, 6, v[246:247]
	v_mad_nc_u64_u32 v[68:69], v150, 6, v[244:245]
	;; [unrolled: 1-line block ×5, first 2 shown]
	s_set_vgpr_msb 1                        ;  msbs: dst=0 src0=1 src1=0 src2=0
	ds_load_u16 v145, v13 /*v269*/
	ds_load_u16 v147, v14 /*v270*/
	s_wait_dscnt 0x0
	s_barrier_signal -1
	s_barrier_wait -1
	s_set_vgpr_msb 0                        ;  msbs: dst=0 src0=0 src1=0 src2=0
	ds_store_b64 v66, v[28:29]
	ds_store_b64 v68, v[26:27]
	;; [unrolled: 1-line block ×5, first 2 shown]
	v_mad_nc_u64_u32 v[66:67], v132, 6, v[228:229]
	v_mad_nc_u64_u32 v[68:69], v116, 6, v[226:227]
	;; [unrolled: 1-line block ×11, first 2 shown]
	ds_store_b64 v66, v[18:19]
	ds_store_b64 v68, v[16:17]
	;; [unrolled: 1-line block ×11, first 2 shown]
	s_wait_dscnt 0x0
	s_barrier_signal -1
	s_barrier_wait -1
	s_set_vgpr_msb 1                        ;  msbs: dst=0 src0=1 src1=0 src2=0
	ds_load_b64 v[66:67], v12 /*v268*/
	ds_load_b64 v[68:69], v15 /*v271*/
	;; [unrolled: 1-line block ×16, first 2 shown]
	s_set_vgpr_msb 0x44                     ;  msbs: dst=1 src0=0 src1=1 src2=0
	v_add_nc_u32_e32 v30 /*v286*/, -8, v30 /*v286*/
	s_xor_b32 s16, exec_lo, -1
	s_wait_dscnt 0x0
	s_barrier_signal -1
	s_barrier_wait -1
	s_set_vgpr_msb 0                        ;  msbs: dst=0 src0=0 src1=0 src2=0
	s_branch .LBB1832_52
.LBB1832_93:
	s_or_b32 exec_lo, exec_lo, s25
	v_mad_nc_u64_u32 v[0:1], v0, 6, v[246:247]
	v_lshl_add_u32 v31, v30, 1, v12
	s_barrier_signal -1
	s_barrier_wait -1
	s_set_vgpr_msb 4                        ;  msbs: dst=0 src0=0 src1=1 src2=0
	ds_store_b16 v246, v31 /*v287*/
	ds_store_b16 v244, v34 /*v290*/
	;; [unrolled: 1-line block ×16, first 2 shown]
	s_wait_dscnt 0x0
	s_barrier_signal -1
	s_barrier_wait -1
	ds_load_u16 v87, v31
	ds_load_u16 v86, v31 offset:512
	ds_load_u16 v85, v31 offset:1024
	;; [unrolled: 1-line block ×7, first 2 shown]
	v_mad_nc_u64_u32 v[10:11], v150, 6, v[244:245]
	ds_load_u16 v80, v31 offset:4096
	ds_load_u16 v70, v31 offset:4608
	;; [unrolled: 1-line block ×8, first 2 shown]
	s_wait_dscnt 0x0
	s_barrier_signal -1
	s_barrier_wait -1
	s_set_vgpr_msb 0                        ;  msbs: dst=0 src0=0 src1=0 src2=0
	ds_store_b64 v0, v[28:29]
	v_mad_nc_u64_u32 v[0:1], v132, 6, v[228:229]
	v_mad_nc_u64_u32 v[12:13], v160, 6, v[242:243]
	;; [unrolled: 1-line block ×4, first 2 shown]
	ds_store_b64 v10, v[26:27]
	ds_store_b64 v12, v[24:25]
	;; [unrolled: 1-line block ×4, first 2 shown]
	v_mad_nc_u64_u32 v[10:11], v116, 6, v[226:227]
	ds_store_b64 v0, v[18:19]
	v_mad_nc_u64_u32 v[0:1], v148, 6, v[198:199]
	v_mad_nc_u64_u32 v[12:13], v128, 6, v[224:225]
	v_mad_nc_u64_u32 v[18:19], v178, 6, v[196:197]
	v_mad_nc_u64_u32 v[20:21], v130, 6, v[214:215]
	v_mad_nc_u64_u32 v[28:29], v180, 6, v[194:195]
	v_mad_nc_u64_u32 v[22:23], v134, 6, v[212:213]
	v_mad_nc_u64_u32 v[96:97], v182, 6, v[192:193]
	v_mad_nc_u64_u32 v[24:25], v144, 6, v[210:211]
	v_mad_nc_u64_u32 v[26:27], v146, 6, v[208:209]
	v_mul_u32_u24_e32 v1, 6, v30
	ds_store_b64 v10, v[16:17]
	ds_store_b64 v12, v[14:15]
	;; [unrolled: 1-line block ×10, first 2 shown]
	v_dual_mov_b32 v39, 0 :: v_dual_add_nc_u32 v0, v31, v1
	s_wait_dscnt 0x0
	s_barrier_signal -1
	s_barrier_wait -1
	ds_load_2addr_stride64_b64 v[48:51], v0 offset1:4
	ds_load_2addr_stride64_b64 v[34:37], v0 offset0:8 offset1:12
	ds_load_2addr_stride64_b64 v[30:33], v0 offset0:16 offset1:20
	;; [unrolled: 1-line block ×7, first 2 shown]
	v_lshl_add_u64 v[0:1], v[8:9], 1, v[2:3]
	s_set_vgpr_msb 4                        ;  msbs: dst=0 src0=0 src1=1 src2=0
	v_cmp_lt_u32_e32 vcc_lo, v38, v0 /*v256*/
	s_wait_dscnt 0x0
	s_barrier_signal -1
	s_barrier_wait -1
	v_lshl_add_u64 v[0:1], v[38:39], 1, v[0:1]
	s_and_saveexec_b32 s1, vcc_lo
	s_set_vgpr_msb 0                        ;  msbs: dst=0 src0=0 src1=0 src2=0
	s_cbranch_execz .LBB1832_95
; %bb.94:
	v_cmp_lt_i16_e64 s0, -1, v87
	s_delay_alu instid0(VALU_DEP_1) | instskip(NEXT) | instid1(VALU_DEP_1)
	v_cndmask_b32_e64 v2, 0xffff8000, -1, s0
	v_xor_b32_e32 v2, v2, v87
	flat_store_b16 v[0:1], v2
.LBB1832_95:
	s_wait_xcnt 0x0
	s_or_b32 exec_lo, exec_lo, s1
	v_add_nc_u32_e32 v2, 0x100, v38
	s_set_vgpr_msb 4                        ;  msbs: dst=0 src0=0 src1=1 src2=0
	s_delay_alu instid0(VALU_DEP_1)
	v_cmp_lt_u32_e64 s0, v2, v0 /*v256*/
	s_and_saveexec_b32 s2, s0
	s_set_vgpr_msb 0                        ;  msbs: dst=0 src0=0 src1=0 src2=0
	s_cbranch_execz .LBB1832_97
; %bb.96:
	v_cmp_lt_i16_e64 s1, -1, v86
	s_delay_alu instid0(VALU_DEP_1) | instskip(NEXT) | instid1(VALU_DEP_1)
	v_cndmask_b32_e64 v2, 0xffff8000, -1, s1
	v_xor_b32_e32 v2, v2, v86
	flat_store_b16 v[0:1], v2 offset:512
.LBB1832_97:
	s_wait_xcnt 0x0
	s_or_b32 exec_lo, exec_lo, s2
	v_add_nc_u32_e32 v2, 0x200, v38
	s_set_vgpr_msb 4                        ;  msbs: dst=0 src0=0 src1=1 src2=0
	s_delay_alu instid0(VALU_DEP_1)
	v_cmp_lt_u32_e64 s1, v2, v0 /*v256*/
	s_and_saveexec_b32 s3, s1
	s_set_vgpr_msb 0                        ;  msbs: dst=0 src0=0 src1=0 src2=0
	s_cbranch_execz .LBB1832_99
; %bb.98:
	v_cmp_lt_i16_e64 s2, -1, v85
	s_delay_alu instid0(VALU_DEP_1) | instskip(NEXT) | instid1(VALU_DEP_1)
	v_cndmask_b32_e64 v2, 0xffff8000, -1, s2
	v_xor_b32_e32 v2, v2, v85
	flat_store_b16 v[0:1], v2 offset:1024
.LBB1832_99:
	;; [unrolled: 16-line block ×15, first 2 shown]
	s_wait_xcnt 0x0
	s_or_b32 exec_lo, exec_lo, s18
	v_lshl_add_u64 v[0:1], v[8:9], 3, v[6:7]
	s_delay_alu instid0(VALU_DEP_1)
	v_lshl_add_u64 v[0:1], v[38:39], 3, v[0:1]
	s_and_saveexec_b32 s17, vcc_lo
	s_cbranch_execnz .LBB1832_211
; %bb.126:
	s_or_b32 exec_lo, exec_lo, s17
	s_and_saveexec_b32 s17, s0
	s_cbranch_execnz .LBB1832_212
.LBB1832_127:
	s_or_b32 exec_lo, exec_lo, s17
	s_and_saveexec_b32 s0, s1
	s_cbranch_execnz .LBB1832_213
.LBB1832_128:
	s_or_b32 exec_lo, exec_lo, s0
	s_and_saveexec_b32 s0, s2
	s_cbranch_execnz .LBB1832_214
.LBB1832_129:
	s_or_b32 exec_lo, exec_lo, s0
	s_and_saveexec_b32 s0, s3
	s_cbranch_execnz .LBB1832_215
.LBB1832_130:
	s_or_b32 exec_lo, exec_lo, s0
	s_and_saveexec_b32 s0, s4
	s_cbranch_execnz .LBB1832_216
.LBB1832_131:
	s_or_b32 exec_lo, exec_lo, s0
	s_and_saveexec_b32 s0, s5
	s_cbranch_execnz .LBB1832_217
.LBB1832_132:
	s_or_b32 exec_lo, exec_lo, s0
	s_and_saveexec_b32 s0, s6
	s_cbranch_execnz .LBB1832_218
.LBB1832_133:
	s_or_b32 exec_lo, exec_lo, s0
	s_and_saveexec_b32 s0, s7
	s_cbranch_execnz .LBB1832_219
.LBB1832_134:
	s_or_b32 exec_lo, exec_lo, s0
	s_and_saveexec_b32 s0, s10
	s_cbranch_execnz .LBB1832_220
.LBB1832_135:
	s_or_b32 exec_lo, exec_lo, s0
	s_and_saveexec_b32 s0, s11
	s_cbranch_execnz .LBB1832_221
.LBB1832_136:
	s_or_b32 exec_lo, exec_lo, s0
	s_and_saveexec_b32 s0, s12
	s_cbranch_execnz .LBB1832_222
.LBB1832_137:
	s_or_b32 exec_lo, exec_lo, s0
	s_and_saveexec_b32 s0, s13
	s_cbranch_execnz .LBB1832_223
.LBB1832_138:
	s_or_b32 exec_lo, exec_lo, s0
	s_and_saveexec_b32 s0, s14
	s_cbranch_execnz .LBB1832_224
.LBB1832_139:
	s_or_b32 exec_lo, exec_lo, s0
	s_and_saveexec_b32 s0, s15
	s_cbranch_execnz .LBB1832_225
.LBB1832_140:
	s_or_b32 exec_lo, exec_lo, s0
	s_and_saveexec_b32 s0, s16
	s_cbranch_execz .LBB1832_142
.LBB1832_141:
	flat_store_b64 v[0:1], v[12:13] offset:30720
.LBB1832_142:
	s_wait_xcnt 0x0
	s_or_b32 exec_lo, exec_lo, s0
                                        ; implicit-def: $vgpr256
                                        ; implicit-def: $vgpr8
                                        ; implicit-def: $vgpr10
                                        ; implicit-def: $vgpr11
                                        ; implicit-def: $vgpr0_vgpr1
                                        ; implicit-def: $vgpr2_vgpr3
                                        ; implicit-def: $vgpr4_vgpr5
                                        ; implicit-def: $vgpr6_vgpr7
                                        ; implicit-def: $vgpr12_vgpr13
                                        ; implicit-def: $vgpr9
                                        ; implicit-def: $vgpr14
                                        ; implicit-def: $vgpr30
                                        ; implicit-def: $vgpr33
.LBB1832_143:
	s_and_not1_saveexec_b32 s0, s21
	s_cbranch_execz .LBB1832_372
; %bb.144:
	s_mov_b32 s0, exec_lo
	s_set_vgpr_msb 4                        ;  msbs: dst=0 src0=0 src1=1 src2=0
	v_cmpx_lt_u32_e32 0x400, v0 /*v256*/
	s_xor_b32 s21, exec_lo, s0
	s_set_vgpr_msb 0                        ;  msbs: dst=0 src0=0 src1=0 src2=0
	s_cbranch_execz .LBB1832_252
; %bb.145:
	s_load_b64 s[0:1], s[8:9], 0x0
	s_bfe_u32 s3, ttmp6, 0x4000c
	s_bfe_u32 s5, ttmp6, 0x40010
	s_and_b32 s4, ttmp7, 0xffff
	s_add_co_i32 s3, s3, 1
	s_add_co_i32 s5, s5, 1
	s_and_b32 s2, ttmp6, 15
	s_bfe_u32 s6, ttmp6, 0x40004
	s_mul_i32 s3, ttmp9, s3
	s_mul_i32 s5, s4, s5
	s_add_co_i32 s2, s2, s3
	s_add_co_i32 s6, s6, s5
	s_cmp_eq_u32 s23, 0
	s_mov_b32 s3, 0
	s_cselect_b32 s2, ttmp9, s2
	s_cselect_b32 s4, s4, s6
	s_wait_kmcnt 0x0
	s_cmp_lt_u32 s2, s0
	s_cselect_b32 s2, 12, 18
	s_cmp_lt_u32 s4, s1
	s_mov_b32 s1, s3
	s_cselect_b32 s0, 14, 20
	s_delay_alu instid0(SALU_CYCLE_1)
	s_add_nc_u64 s[0:1], s[8:9], s[0:1]
	s_load_u16 s4, s[0:1], 0x0
	s_wait_xcnt 0x0
	s_add_nc_u64 s[0:1], s[8:9], s[2:3]
	s_load_u16 s0, s[0:1], 0x0
	s_wait_kmcnt 0x0
	v_mad_u32_u24 v9, v14, s4, v9
	v_lshlrev_b32_e32 v14, 1, v33
	s_delay_alu instid0(VALU_DEP_2) | instskip(SKIP_1) | instid1(VALU_DEP_1)
	v_mad_u32 v26, v9, s0, v30
	v_mov_b32_e32 v9, 0
	v_lshl_add_u64 v[16:17], v[8:9], 1, v[0:1]
	s_delay_alu instid0(VALU_DEP_3) | instskip(NEXT) | instid1(VALU_DEP_1)
	v_dual_mov_b32 v15, v9 :: v_dual_lshlrev_b32 v18, 3, v26
	v_add_nc_u64_e32 v[14:15], v[16:17], v[14:15]
	v_dual_mov_b32 v16, 0x7fff :: v_dual_mov_b32 v17, 0x7fff
	s_delay_alu instid0(VALU_DEP_3) | instskip(NEXT) | instid1(VALU_DEP_1)
	v_and_b32_e32 v0, 0xffffff00, v18
	v_dual_mov_b32 v1, v9 :: v_dual_bitop2_b32 v24, v0, v33 bitop3:0x54
	s_delay_alu instid0(VALU_DEP_1) | instskip(SKIP_1) | instid1(VALU_DEP_2)
	v_lshl_add_u64 v[14:15], v[0:1], 1, v[14:15]
	s_set_vgpr_msb 4                        ;  msbs: dst=0 src0=0 src1=1 src2=0
	v_cmp_lt_u32_e32 vcc_lo, v24, v0 /*v256*/
	s_and_saveexec_b32 s0, vcc_lo
	s_set_vgpr_msb 0                        ;  msbs: dst=0 src0=0 src1=0 src2=0
	s_cbranch_execz .LBB1832_147
; %bb.146:
	flat_load_u16 v17, v[14:15]
.LBB1832_147:
	s_wait_xcnt 0x0
	s_or_b32 exec_lo, exec_lo, s0
	v_or_b32_e32 v18, 32, v24
	s_set_vgpr_msb 4                        ;  msbs: dst=0 src0=0 src1=1 src2=0
	s_delay_alu instid0(VALU_DEP_1)
	v_cmp_lt_u32_e64 s0, v18, v0 /*v256*/
	s_and_saveexec_b32 s1, s0
	s_set_vgpr_msb 0                        ;  msbs: dst=0 src0=0 src1=0 src2=0
	s_cbranch_execz .LBB1832_149
; %bb.148:
	flat_load_u16 v16, v[14:15] offset:64
.LBB1832_149:
	s_wait_xcnt 0x0
	s_or_b32 exec_lo, exec_lo, s1
	v_or_b32_e32 v19, 64, v24
	v_mov_b32_e32 v18, 0x7fff
	s_set_vgpr_msb 4                        ;  msbs: dst=0 src0=0 src1=1 src2=0
	s_delay_alu instid0(VALU_DEP_2)
	v_cmp_lt_u32_e64 s1, v19, v0 /*v256*/
	v_mov_b32_e32 v19, 0x7fff
	s_and_saveexec_b32 s2, s1
	s_set_vgpr_msb 0                        ;  msbs: dst=0 src0=0 src1=0 src2=0
	s_cbranch_execz .LBB1832_151
; %bb.150:
	flat_load_u16 v19, v[14:15] offset:128
.LBB1832_151:
	s_wait_xcnt 0x0
	s_or_b32 exec_lo, exec_lo, s2
	v_or_b32_e32 v20, 0x60, v24
	s_set_vgpr_msb 4                        ;  msbs: dst=0 src0=0 src1=1 src2=0
	s_delay_alu instid0(VALU_DEP_1)
	v_cmp_lt_u32_e64 s2, v20, v0 /*v256*/
	s_and_saveexec_b32 s3, s2
	s_set_vgpr_msb 0                        ;  msbs: dst=0 src0=0 src1=0 src2=0
	s_cbranch_execz .LBB1832_153
; %bb.152:
	flat_load_u16 v18, v[14:15] offset:192
.LBB1832_153:
	s_wait_xcnt 0x0
	s_or_b32 exec_lo, exec_lo, s3
	v_or_b32_e32 v21, 0x80, v24
	v_mov_b32_e32 v20, 0x7fff
	s_set_vgpr_msb 4                        ;  msbs: dst=0 src0=0 src1=1 src2=0
	s_delay_alu instid0(VALU_DEP_2)
	v_cmp_lt_u32_e64 s3, v21, v0 /*v256*/
	v_mov_b32_e32 v21, 0x7fff
	s_and_saveexec_b32 s4, s3
	s_set_vgpr_msb 0                        ;  msbs: dst=0 src0=0 src1=0 src2=0
	s_cbranch_execz .LBB1832_155
; %bb.154:
	flat_load_u16 v21, v[14:15] offset:256
.LBB1832_155:
	;; [unrolled: 26-line block ×3, first 2 shown]
	s_wait_xcnt 0x0
	s_or_b32 exec_lo, exec_lo, s6
	v_or_b32_e32 v24, 0xe0, v24
	s_set_vgpr_msb 4                        ;  msbs: dst=0 src0=0 src1=1 src2=0
	s_delay_alu instid0(VALU_DEP_1)
	v_cmp_lt_u32_e64 s6, v24, v0 /*v256*/
	s_and_saveexec_b32 s7, s6
	s_set_vgpr_msb 0                        ;  msbs: dst=0 src0=0 src1=0 src2=0
	s_cbranch_execz .LBB1832_161
; %bb.160:
	flat_load_u16 v22, v[14:15] offset:448
.LBB1832_161:
	s_wait_xcnt 0x0
	s_or_b32 exec_lo, exec_lo, s7
	v_lshl_add_u64 v[4:5], v[8:9], 3, v[4:5]
	v_dual_mov_b32 v15, 0 :: v_dual_lshlrev_b32 v14, 3, v33
                                        ; implicit-def: $vgpr34_vgpr35
	s_delay_alu instid0(VALU_DEP_1) | instskip(NEXT) | instid1(VALU_DEP_1)
	v_add_nc_u64_e32 v[4:5], v[4:5], v[14:15]
	v_lshl_add_u64 v[0:1], v[0:1], 3, v[4:5]
	s_and_saveexec_b32 s7, vcc_lo
	s_cbranch_execnz .LBB1832_285
; %bb.162:
	s_or_b32 exec_lo, exec_lo, s7
                                        ; implicit-def: $vgpr36_vgpr37
	s_and_saveexec_b32 s7, s0
	s_cbranch_execnz .LBB1832_286
.LBB1832_163:
	s_or_b32 exec_lo, exec_lo, s7
                                        ; implicit-def: $vgpr38_vgpr39
	s_and_saveexec_b32 s0, s1
	s_cbranch_execnz .LBB1832_287
.LBB1832_164:
	s_or_b32 exec_lo, exec_lo, s0
                                        ; implicit-def: $vgpr48_vgpr49
	s_and_saveexec_b32 s0, s2
	s_cbranch_execnz .LBB1832_288
.LBB1832_165:
	s_or_b32 exec_lo, exec_lo, s0
                                        ; implicit-def: $vgpr50_vgpr51
	s_and_saveexec_b32 s0, s3
	s_cbranch_execnz .LBB1832_289
.LBB1832_166:
	s_or_b32 exec_lo, exec_lo, s0
                                        ; implicit-def: $vgpr52_vgpr53
	s_and_saveexec_b32 s0, s4
	s_cbranch_execnz .LBB1832_290
.LBB1832_167:
	s_or_b32 exec_lo, exec_lo, s0
                                        ; implicit-def: $vgpr54_vgpr55
	s_and_saveexec_b32 s0, s5
	s_cbranch_execnz .LBB1832_291
.LBB1832_168:
	s_or_b32 exec_lo, exec_lo, s0
                                        ; implicit-def: $vgpr64_vgpr65
	s_and_saveexec_b32 s0, s6
	s_cbranch_execz .LBB1832_170
.LBB1832_169:
	flat_load_b64 v[64:65], v[0:1] offset:1792
.LBB1832_170:
	s_wait_xcnt 0x0
	s_or_b32 exec_lo, exec_lo, s0
	s_wait_loadcnt_dscnt 0x0
	v_cmp_lt_i16_e32 vcc_lo, -1, v17
	s_get_pc_i64 s[0:1]
	s_add_nc_u64 s[0:1], s[0:1], _ZN7rocprim17ROCPRIM_400000_NS16block_radix_sortI6__halfLj256ELj8ElLj1ELj1ELj8ELNS0_26block_radix_rank_algorithmE2ELNS0_18block_padding_hintE2ELNS0_4arch9wavefront6targetE0EE19radix_bits_per_passE@rel64+4
	v_cmp_gt_u32_e64 s6, 8, v30
	s_load_b32 s24, s[0:1], 0x0
	v_cmp_lt_u32_e64 s7, 31, v30
	v_cndmask_b32_e64 v0, -1, 0xffff8000, vcc_lo
	v_cmp_lt_i16_e32 vcc_lo, -1, v16
	v_cmp_eq_u32_e64 s10, 0, v30
	v_lshl_add_u32 v145, v30, 2, v12
	s_delay_alu instid0(VALU_DEP_4) | instskip(SKIP_4) | instid1(VALU_DEP_2)
	v_dual_sub_nc_u32 v179, v11, v10 :: v_dual_bitop2_b32 v196, v0, v17 bitop3:0x14
	v_cndmask_b32_e64 v1, -1, 0xffff8000, vcc_lo
	v_cmp_lt_i16_e32 vcc_lo, -1, v19
	s_mov_b32 s25, 0
	s_wait_storecnt 0x0
	v_dual_lshrrev_b32 v134, 5, v26 :: v_dual_bitop2_b32 v85, v1, v16 bitop3:0x14
	v_cndmask_b32_e64 v4, -1, 0xffff8000, vcc_lo
	v_cmp_lt_i16_e32 vcc_lo, -1, v18
	s_barrier_signal -1
	s_barrier_wait -1
	v_cndmask_b32_e64 v5, -1, 0xffff8000, vcc_lo
	v_cmp_lt_i16_e32 vcc_lo, -1, v21
	v_cndmask_b32_e64 v14, -1, 0xffff8000, vcc_lo
	v_cmp_lt_i16_e32 vcc_lo, -1, v20
	;; [unrolled: 2-line block ×3, first 2 shown]
	s_delay_alu instid0(VALU_DEP_2)
	v_xor_b32_e32 v71, v0, v20
	v_cndmask_b32_e64 v1, -1, 0xffff8000, vcc_lo
	v_cmp_lt_i16_e32 vcc_lo, -1, v22
	v_lshl_add_u32 v0, v30, 5, v12
	v_xor_b32_e32 v87, v4, v19
	v_xor_b32_e32 v69, v5, v18
	v_xor_b32_e32 v67, v14, v21
	v_cndmask_b32_e64 v4, -1, 0xffff8000, vcc_lo
	v_dual_add_nc_u32 v129, 44, v0 :: v_dual_bitop2_b32 v81, v1, v23 bitop3:0x14
	v_dual_add_nc_u32 v27, 32, v0 :: v_dual_add_nc_u32 v31, 36, v0
	s_delay_alu instid0(VALU_DEP_3)
	v_dual_add_nc_u32 v130, 48, v0 :: v_dual_bitop2_b32 v83, v4, v22 bitop3:0x14
	v_dual_add_nc_u32 v128, 40, v0 :: v_dual_add_nc_u32 v131, 52, v0
	v_dual_add_nc_u32 v132, 56, v0 :: v_dual_bitop2_b32 v4, 15, v33 bitop3:0x40
	v_add_nc_u32_e32 v133, 60, v0
	v_and_b32_e32 v0, 0x3e0, v30
	v_sub_co_u32 v14, s2, v33, 1
	v_dual_lshlrev_b32 v1, 3, v30 :: v_dual_bitop2_b32 v5, 16, v33 bitop3:0x40
	s_delay_alu instid0(VALU_DEP_3) | instskip(NEXT) | instid1(VALU_DEP_3)
	v_min_u32_e32 v0, 0xe0, v0
	v_cmp_gt_i32_e64 s5, 0, v14
	v_cmp_eq_u32_e32 vcc_lo, 0, v4
	s_wait_xcnt 0x0
	v_cmp_lt_u32_e64 s0, 1, v4
	v_cmp_lt_u32_e64 s1, 3, v4
	;; [unrolled: 1-line block ×3, first 2 shown]
	v_or_b32_e32 v0, 31, v0
	v_cmp_eq_u32_e64 s4, 0, v5
	v_dual_lshrrev_b32 v4, 3, v30 :: v_dual_cndmask_b32 v5, v14, v33, s5
	s_delay_alu instid0(VALU_DEP_3) | instskip(NEXT) | instid1(VALU_DEP_2)
	v_cmp_eq_u32_e64 s5, v30, v0
	v_and_b32_e32 v0, 0x7c, v4
	s_delay_alu instid0(VALU_DEP_3) | instskip(SKIP_1) | instid1(VALU_DEP_3)
	v_lshlrev_b32_e32 v135, 2, v5
	v_and_or_b32 v5, 0x1f00, v1, v33
	v_dual_mov_b32 v1, 0 :: v_dual_add_nc_u32 v144, v12, v0
	v_and_b32_e32 v4, 7, v33
	s_delay_alu instid0(VALU_DEP_3) | instskip(SKIP_1) | instid1(VALU_DEP_4)
	v_lshl_add_u32 v146, v5, 1, v12
	v_mul_u32_u24_e32 v0, 6, v5
	v_add_nc_u32_e32 v147, -4, v144
	s_delay_alu instid0(VALU_DEP_4) | instskip(NEXT) | instid1(VALU_DEP_3)
	v_cmp_eq_u32_e64 s11, 0, v4
	v_dual_add_nc_u32 v148, 64, v146 :: v_dual_add_nc_u32 v151, v146, v0
	v_cmp_lt_u32_e64 s12, 1, v4
	v_cmp_lt_u32_e64 s13, 3, v4
	v_mov_b64_e32 v[4:5], 0
	v_add_nc_u32_e32 v149, 0x80, v146
	v_add_nc_u32_e32 v150, 0xc0, v146
	;; [unrolled: 1-line block ×13, first 2 shown]
	s_branch .LBB1832_172
.LBB1832_171:                           ;   in Loop: Header=BB1832_172 Depth=1
	s_or_b32 exec_lo, exec_lo, s15
	s_delay_alu instid0(SALU_CYCLE_1) | instskip(NEXT) | instid1(SALU_CYCLE_1)
	s_and_b32 s14, exec_lo, s16
	s_or_b32 s25, s14, s25
	s_delay_alu instid0(SALU_CYCLE_1)
	s_and_not1_b32 exec_lo, exec_lo, s25
	s_cbranch_execz .LBB1832_226
.LBB1832_172:                           ; =>This Inner Loop Header: Depth=1
	v_mov_b32_e32 v180, v196
	s_wait_kmcnt 0x0
	v_min_u32_e32 v14, s24, v179
	v_mov_b64_e32 v[32:33], v[36:37]
	v_mov_b64_e32 v[22:23], v[34:35]
	;; [unrolled: 1-line block ×3, first 2 shown]
	v_cmp_ne_u16_e64 s14, 0x7fff, v180
	v_lshlrev_b32_e64 v36, v14, -1
	v_mov_b64_e32 v[24:25], v[48:49]
	v_mov_b64_e32 v[20:21], v[50:51]
	;; [unrolled: 1-line block ×3, first 2 shown]
	v_cndmask_b32_e64 v0, 0xffff8000, v180, s14
	v_mov_b64_e32 v[16:17], v[54:55]
	v_mov_b64_e32 v[14:15], v[64:65]
	v_dual_mov_b32 v181, v85 :: v_dual_mov_b32 v182, v87
	s_delay_alu instid0(VALU_DEP_4)
	v_and_b32_e32 v0, 0xffff, v0
	v_dual_mov_b32 v193, v81 :: v_dual_mov_b32 v195, v83
	ds_store_b64 v27, v[4:5]
	ds_store_b64 v128, v[4:5]
	;; [unrolled: 1-line block ×4, first 2 shown]
	v_lshrrev_b32_e32 v0, v10, v0
	s_wait_dscnt 0x0
	s_barrier_signal -1
	s_barrier_wait -1
	s_delay_alu instid0(VALU_DEP_1) | instskip(SKIP_2) | instid1(VALU_DEP_3)
	v_bitop3_b32 v34, v0, 1, v36 bitop3:0x40
	v_bitop3_b32 v0, v0, v36, v0 bitop3:0x30
	v_mov_b32_e32 v183, v69
	; wave barrier
	v_add_co_u32 v34, s14, v34, -1
	s_delay_alu instid0(VALU_DEP_1) | instskip(NEXT) | instid1(VALU_DEP_4)
	v_cndmask_b32_e64 v35, 0, 1, s14
	v_dual_lshlrev_b32 v37, 30, v0 :: v_dual_lshlrev_b32 v38, 29, v0
	v_dual_lshlrev_b32 v39, 28, v0 :: v_dual_lshlrev_b32 v48, 27, v0
	s_delay_alu instid0(VALU_DEP_3) | instskip(NEXT) | instid1(VALU_DEP_3)
	v_cmp_ne_u32_e64 s14, 0, v35
	v_not_b32_e32 v35, v37
	v_lshlrev_b32_e32 v51, 24, v0
	v_cmp_gt_i32_e64 s15, 0, v37
	v_cmp_gt_i32_e64 s16, 0, v38
	v_not_b32_e32 v37, v38
	v_not_b32_e32 v38, v39
	v_dual_ashrrev_i32 v35, 31, v35 :: v_dual_lshlrev_b32 v49, 26, v0
	v_lshlrev_b32_e32 v50, 25, v0
	v_cmp_gt_i32_e64 s17, 0, v39
	v_dual_ashrrev_i32 v37, 31, v37 :: v_dual_bitop2_b32 v34, s14, v34 bitop3:0x14
	s_delay_alu instid0(VALU_DEP_4) | instskip(SKIP_2) | instid1(VALU_DEP_4)
	v_dual_ashrrev_i32 v38, 31, v38 :: v_dual_bitop2_b32 v35, s15, v35 bitop3:0x14
	v_not_b32_e32 v39, v48
	v_not_b32_e32 v52, v49
	v_xor_b32_e32 v37, s16, v37
	s_delay_alu instid0(VALU_DEP_4)
	v_xor_b32_e32 v38, s17, v38
	v_bitop3_b32 v34, v34, v35, exec_lo bitop3:0x80
	v_cmp_gt_i32_e64 s14, 0, v48
	v_ashrrev_i32_e32 v35, 31, v39
	v_cmp_gt_i32_e64 s15, 0, v49
	v_ashrrev_i32_e32 v39, 31, v52
	v_bitop3_b32 v34, v34, v38, v37 bitop3:0x80
	v_not_b32_e32 v37, v50
	v_not_b32_e32 v38, v51
	v_xor_b32_e32 v35, s14, v35
	v_xor_b32_e32 v39, s15, v39
	v_cmp_gt_i32_e64 s14, 0, v50
	v_ashrrev_i32_e32 v37, 31, v37
	v_cmp_gt_i32_e64 s15, 0, v51
	v_dual_ashrrev_i32 v38, 31, v38 :: v_dual_lshlrev_b32 v0, 3, v0
	v_bitop3_b32 v34, v34, v39, v35 bitop3:0x80
	s_delay_alu instid0(VALU_DEP_4) | instskip(NEXT) | instid1(VALU_DEP_3)
	v_dual_mov_b32 v192, v67 :: v_dual_bitop2_b32 v35, s14, v37 bitop3:0x14
	v_dual_mov_b32 v194, v71 :: v_dual_bitop2_b32 v37, s15, v38 bitop3:0x14
	s_delay_alu instid0(VALU_DEP_4) | instskip(NEXT) | instid1(VALU_DEP_2)
	v_add_lshl_u32 v0, v0, v134, 2
	v_bitop3_b32 v37, v34, v37, v35 bitop3:0x80
	s_delay_alu instid0(VALU_DEP_2) | instskip(NEXT) | instid1(VALU_DEP_2)
	v_add_nc_u64_e32 v[34:35], v[12:13], v[0:1]
	v_mbcnt_lo_u32_b32 v0, v37, 0
	v_cmp_ne_u32_e64 s15, 0, v37
	s_delay_alu instid0(VALU_DEP_3) | instskip(NEXT) | instid1(VALU_DEP_3)
	v_add_nc_u64_e32 v[34:35], 32, v[34:35]
	v_cmp_eq_u32_e64 s14, 0, v0
	s_and_b32 s15, s15, s14
	s_delay_alu instid0(SALU_CYCLE_1)
	s_and_saveexec_b32 s14, s15
; %bb.173:                              ;   in Loop: Header=BB1832_172 Depth=1
	v_bcnt_u32_b32 v35, v37, 0
	ds_store_b32 v34, v35
; %bb.174:                              ;   in Loop: Header=BB1832_172 Depth=1
	s_or_b32 exec_lo, exec_lo, s14
	v_cmp_ne_u16_e64 s14, 0x7fff, v181
	v_not_b32_e32 v49, v36
	; wave barrier
	s_delay_alu instid0(VALU_DEP_2) | instskip(NEXT) | instid1(VALU_DEP_1)
	v_cndmask_b32_e64 v35, 0xffff8000, v181, s14
	v_and_b32_e32 v35, 0xffff, v35
	s_delay_alu instid0(VALU_DEP_1) | instskip(NEXT) | instid1(VALU_DEP_1)
	v_lshrrev_b32_e32 v35, v10, v35
	v_and_b32_e32 v36, v35, v49
	s_delay_alu instid0(VALU_DEP_1) | instskip(SKIP_1) | instid1(VALU_DEP_2)
	v_lshlrev_b32_e32 v39, 30, v36
	v_bitop3_b32 v35, v35, 1, v49 bitop3:0x80
	v_cmp_gt_i32_e64 s15, 0, v39
	s_delay_alu instid0(VALU_DEP_2) | instskip(NEXT) | instid1(VALU_DEP_1)
	v_add_co_u32 v35, s14, v35, -1
	v_cndmask_b32_e64 v38, 0, 1, s14
	s_delay_alu instid0(VALU_DEP_1) | instskip(SKIP_1) | instid1(VALU_DEP_1)
	v_cmp_ne_u32_e64 s14, 0, v38
	v_not_b32_e32 v38, v39
	v_dual_ashrrev_i32 v38, 31, v38 :: v_dual_lshlrev_b32 v48, 29, v36
	v_dual_lshlrev_b32 v50, 28, v36 :: v_dual_lshlrev_b32 v51, 27, v36
	v_lshlrev_b32_e32 v52, 26, v36
	v_lshl_add_u32 v37, v36, 3, v134
	s_delay_alu instid0(VALU_DEP_4)
	v_cmp_gt_i32_e64 s16, 0, v48
	v_not_b32_e32 v39, v48
	v_not_b32_e32 v48, v50
	v_dual_lshlrev_b32 v53, 25, v36 :: v_dual_lshlrev_b32 v36, 24, v36
	v_cmp_gt_i32_e64 s17, 0, v50
	v_cmp_gt_i32_e64 s18, 0, v51
	v_not_b32_e32 v50, v51
	v_not_b32_e32 v51, v52
	v_dual_ashrrev_i32 v48, 31, v48 :: v_dual_bitop2_b32 v35, s14, v35 bitop3:0x14
	v_dual_ashrrev_i32 v39, 31, v39 :: v_dual_bitop2_b32 v38, s15, v38 bitop3:0x14
	v_cmp_gt_i32_e64 s19, 0, v52
	v_not_b32_e32 v52, v53
	v_dual_ashrrev_i32 v50, 31, v50 :: v_dual_ashrrev_i32 v51, 31, v51
	s_delay_alu instid0(VALU_DEP_4)
	v_xor_b32_e32 v39, s16, v39
	v_bitop3_b32 v35, v35, v38, exec_lo bitop3:0x80
	v_not_b32_e32 v38, v36
	v_xor_b32_e32 v48, s17, v48
	v_cmp_gt_i32_e64 s20, 0, v53
	v_dual_ashrrev_i32 v52, 31, v52 :: v_dual_bitop2_b32 v51, s19, v51 bitop3:0x14
	v_cmp_gt_i32_e64 s14, 0, v36
	v_ashrrev_i32_e32 v36, 31, v38
	v_bitop3_b32 v35, v35, v48, v39 bitop3:0x80
	v_lshl_add_u32 v37, v37, 2, v12
	v_xor_b32_e32 v50, s18, v50
	v_xor_b32_e32 v38, s20, v52
	;; [unrolled: 1-line block ×3, first 2 shown]
	s_delay_alu instid0(VALU_DEP_3) | instskip(SKIP_3) | instid1(VALU_DEP_1)
	v_bitop3_b32 v39, v35, v51, v50 bitop3:0x80
	ds_load_b32 v35, v37 offset:32
	v_add_nc_u32_e32 v37, 32, v37
	; wave barrier
	v_bitop3_b32 v38, v39, v36, v38 bitop3:0x80
	v_mbcnt_lo_u32_b32 v36, v38, 0
	v_cmp_ne_u32_e64 s15, 0, v38
	s_delay_alu instid0(VALU_DEP_2) | instskip(SKIP_1) | instid1(SALU_CYCLE_1)
	v_cmp_eq_u32_e64 s14, 0, v36
	s_and_b32 s15, s15, s14
	s_and_saveexec_b32 s14, s15
	s_cbranch_execz .LBB1832_176
; %bb.175:                              ;   in Loop: Header=BB1832_172 Depth=1
	s_wait_dscnt 0x0
	v_bcnt_u32_b32 v38, v38, v35
	ds_store_b32 v37, v38
.LBB1832_176:                           ;   in Loop: Header=BB1832_172 Depth=1
	s_or_b32 exec_lo, exec_lo, s14
	v_cmp_ne_u16_e64 s14, 0x7fff, v182
	; wave barrier
	s_delay_alu instid0(VALU_DEP_1) | instskip(NEXT) | instid1(VALU_DEP_1)
	v_cndmask_b32_e64 v38, 0xffff8000, v182, s14
	v_and_b32_e32 v38, 0xffff, v38
	s_delay_alu instid0(VALU_DEP_1) | instskip(NEXT) | instid1(VALU_DEP_1)
	v_lshrrev_b32_e32 v38, v10, v38
	v_and_b32_e32 v39, v38, v49
	s_delay_alu instid0(VALU_DEP_1) | instskip(SKIP_1) | instid1(VALU_DEP_2)
	v_lshlrev_b32_e32 v51, 30, v39
	v_bitop3_b32 v38, v38, 1, v49 bitop3:0x80
	v_cmp_gt_i32_e64 s15, 0, v51
	s_delay_alu instid0(VALU_DEP_2) | instskip(NEXT) | instid1(VALU_DEP_1)
	v_add_co_u32 v38, s14, v38, -1
	v_cndmask_b32_e64 v50, 0, 1, s14
	s_delay_alu instid0(VALU_DEP_1) | instskip(SKIP_1) | instid1(VALU_DEP_1)
	v_cmp_ne_u32_e64 s14, 0, v50
	v_not_b32_e32 v50, v51
	v_dual_ashrrev_i32 v50, 31, v50 :: v_dual_lshlrev_b32 v52, 29, v39
	v_dual_lshlrev_b32 v53, 28, v39 :: v_dual_lshlrev_b32 v54, 27, v39
	v_dual_lshlrev_b32 v55, 26, v39 :: v_dual_lshlrev_b32 v64, 25, v39
	s_delay_alu instid0(VALU_DEP_3) | instskip(SKIP_1) | instid1(VALU_DEP_4)
	v_cmp_gt_i32_e64 s16, 0, v52
	v_not_b32_e32 v51, v52
	v_not_b32_e32 v52, v53
	v_lshl_add_u32 v48, v39, 3, v134
	v_lshlrev_b32_e32 v39, 24, v39
	v_cmp_gt_i32_e64 s17, 0, v53
	v_cmp_gt_i32_e64 s18, 0, v54
	v_not_b32_e32 v53, v54
	v_cmp_gt_i32_e64 s19, 0, v55
	v_not_b32_e32 v54, v55
	v_not_b32_e32 v55, v64
	v_dual_ashrrev_i32 v51, 31, v51 :: v_dual_bitop2_b32 v38, s14, v38 bitop3:0x14
	v_dual_ashrrev_i32 v52, 31, v52 :: v_dual_ashrrev_i32 v53, 31, v53
	v_xor_b32_e32 v50, s15, v50
	v_not_b32_e32 v65, v39
	s_delay_alu instid0(VALU_DEP_4) | instskip(NEXT) | instid1(VALU_DEP_4)
	v_dual_ashrrev_i32 v54, 31, v54 :: v_dual_bitop2_b32 v51, s16, v51 bitop3:0x14
	v_xor_b32_e32 v52, s17, v52
	s_delay_alu instid0(VALU_DEP_4) | instskip(SKIP_1) | instid1(VALU_DEP_4)
	v_bitop3_b32 v38, v38, v50, exec_lo bitop3:0x80
	v_cmp_gt_i32_e64 s14, 0, v64
	v_dual_ashrrev_i32 v54, 31, v55 :: v_dual_bitop2_b32 v50, s19, v54 bitop3:0x14
	v_cmp_gt_i32_e64 s15, 0, v39
	v_ashrrev_i32_e32 v39, 31, v65
	v_bitop3_b32 v38, v38, v52, v51 bitop3:0x80
	v_lshl_add_u32 v48, v48, 2, v12
	v_xor_b32_e32 v53, s18, v53
	v_xor_b32_e32 v51, s14, v54
	;; [unrolled: 1-line block ×3, first 2 shown]
	s_delay_alu instid0(VALU_DEP_3) | instskip(SKIP_3) | instid1(VALU_DEP_1)
	v_bitop3_b32 v50, v38, v50, v53 bitop3:0x80
	ds_load_b32 v38, v48 offset:32
	v_add_nc_u32_e32 v48, 32, v48
	; wave barrier
	v_bitop3_b32 v50, v50, v39, v51 bitop3:0x80
	v_mbcnt_lo_u32_b32 v39, v50, 0
	v_cmp_ne_u32_e64 s15, 0, v50
	s_delay_alu instid0(VALU_DEP_2) | instskip(SKIP_1) | instid1(SALU_CYCLE_1)
	v_cmp_eq_u32_e64 s14, 0, v39
	s_and_b32 s15, s15, s14
	s_and_saveexec_b32 s14, s15
	s_cbranch_execz .LBB1832_178
; %bb.177:                              ;   in Loop: Header=BB1832_172 Depth=1
	s_wait_dscnt 0x0
	v_bcnt_u32_b32 v50, v50, v38
	ds_store_b32 v48, v50
.LBB1832_178:                           ;   in Loop: Header=BB1832_172 Depth=1
	s_or_b32 exec_lo, exec_lo, s14
	v_cmp_ne_u16_e64 s14, 0x7fff, v183
	; wave barrier
	s_delay_alu instid0(VALU_DEP_1) | instskip(NEXT) | instid1(VALU_DEP_1)
	v_cndmask_b32_e64 v50, 0xffff8000, v183, s14
	v_and_b32_e32 v50, 0xffff, v50
	s_delay_alu instid0(VALU_DEP_1) | instskip(NEXT) | instid1(VALU_DEP_1)
	v_lshrrev_b32_e32 v50, v10, v50
	v_and_b32_e32 v51, v50, v49
	s_delay_alu instid0(VALU_DEP_1) | instskip(SKIP_2) | instid1(VALU_DEP_3)
	v_lshlrev_b32_e32 v54, 30, v51
	v_bitop3_b32 v50, v50, 1, v49 bitop3:0x80
	v_lshlrev_b32_e32 v55, 29, v51
	v_cmp_gt_i32_e64 s15, 0, v54
	s_delay_alu instid0(VALU_DEP_3) | instskip(NEXT) | instid1(VALU_DEP_1)
	v_add_co_u32 v50, s14, v50, -1
	v_cndmask_b32_e64 v53, 0, 1, s14
	s_delay_alu instid0(VALU_DEP_1) | instskip(SKIP_2) | instid1(VALU_DEP_2)
	v_cmp_ne_u32_e64 s14, 0, v53
	v_not_b32_e32 v53, v54
	v_not_b32_e32 v54, v55
	v_dual_ashrrev_i32 v53, 31, v53 :: v_dual_bitop2_b32 v50, s14, v50 bitop3:0x14
	s_delay_alu instid0(VALU_DEP_2) | instskip(SKIP_3) | instid1(VALU_DEP_4)
	v_dual_ashrrev_i32 v54, 31, v54 :: v_dual_lshlrev_b32 v64, 28, v51
	v_dual_lshlrev_b32 v65, 27, v51 :: v_dual_lshlrev_b32 v66, 26, v51
	v_lshlrev_b32_e32 v67, 25, v51
	v_cmp_gt_i32_e64 s16, 0, v55
	v_not_b32_e32 v55, v64
	v_lshl_add_u32 v52, v51, 3, v134
	v_lshlrev_b32_e32 v51, 24, v51
	v_cmp_gt_i32_e64 s17, 0, v64
	v_cmp_gt_i32_e64 s18, 0, v65
	v_not_b32_e32 v64, v65
	v_cmp_gt_i32_e64 s19, 0, v66
	v_not_b32_e32 v65, v66
	v_not_b32_e32 v66, v67
	s_delay_alu instid0(VALU_DEP_4) | instskip(SKIP_3) | instid1(VALU_DEP_4)
	v_dual_ashrrev_i32 v55, 31, v55 :: v_dual_ashrrev_i32 v64, 31, v64
	v_xor_b32_e32 v53, s15, v53
	v_not_b32_e32 v68, v51
	v_dual_ashrrev_i32 v65, 31, v65 :: v_dual_bitop2_b32 v54, s16, v54 bitop3:0x14
	v_xor_b32_e32 v55, s17, v55
	s_delay_alu instid0(VALU_DEP_4)
	v_bitop3_b32 v50, v50, v53, exec_lo bitop3:0x80
	v_xor_b32_e32 v64, s18, v64
	v_cmp_gt_i32_e64 s14, 0, v67
	v_cmp_gt_i32_e64 s15, 0, v51
	v_ashrrev_i32_e32 v51, 31, v68
	v_bitop3_b32 v50, v50, v55, v54 bitop3:0x80
	v_lshl_add_u32 v52, v52, 2, v12
	v_dual_ashrrev_i32 v65, 31, v66 :: v_dual_bitop2_b32 v53, s19, v65 bitop3:0x14
	s_delay_alu instid0(VALU_DEP_4) | instskip(NEXT) | instid1(VALU_DEP_2)
	v_xor_b32_e32 v51, s15, v51
	v_bitop3_b32 v53, v50, v53, v64 bitop3:0x80
	s_delay_alu instid0(VALU_DEP_3) | instskip(SKIP_3) | instid1(VALU_DEP_1)
	v_xor_b32_e32 v54, s14, v65
	ds_load_b32 v50, v52 offset:32
	v_add_nc_u32_e32 v52, 32, v52
	; wave barrier
	v_bitop3_b32 v53, v53, v51, v54 bitop3:0x80
	v_mbcnt_lo_u32_b32 v51, v53, 0
	v_cmp_ne_u32_e64 s15, 0, v53
	s_delay_alu instid0(VALU_DEP_2) | instskip(SKIP_1) | instid1(SALU_CYCLE_1)
	v_cmp_eq_u32_e64 s14, 0, v51
	s_and_b32 s15, s15, s14
	s_and_saveexec_b32 s14, s15
	s_cbranch_execz .LBB1832_180
; %bb.179:                              ;   in Loop: Header=BB1832_172 Depth=1
	s_wait_dscnt 0x0
	v_bcnt_u32_b32 v53, v53, v50
	ds_store_b32 v52, v53
.LBB1832_180:                           ;   in Loop: Header=BB1832_172 Depth=1
	s_or_b32 exec_lo, exec_lo, s14
	v_cmp_ne_u16_e64 s14, 0x7fff, v192
	; wave barrier
	s_delay_alu instid0(VALU_DEP_1) | instskip(NEXT) | instid1(VALU_DEP_1)
	v_cndmask_b32_e64 v53, 0xffff8000, v192, s14
	v_and_b32_e32 v53, 0xffff, v53
	s_delay_alu instid0(VALU_DEP_1) | instskip(NEXT) | instid1(VALU_DEP_1)
	v_lshrrev_b32_e32 v53, v10, v53
	v_and_b32_e32 v54, v53, v49
	s_delay_alu instid0(VALU_DEP_1) | instskip(SKIP_1) | instid1(VALU_DEP_2)
	v_lshlrev_b32_e32 v65, 30, v54
	v_bitop3_b32 v53, v53, 1, v49 bitop3:0x80
	v_cmp_gt_i32_e64 s15, 0, v65
	s_delay_alu instid0(VALU_DEP_2) | instskip(NEXT) | instid1(VALU_DEP_1)
	v_add_co_u32 v53, s14, v53, -1
	v_cndmask_b32_e64 v64, 0, 1, s14
	s_delay_alu instid0(VALU_DEP_1) | instskip(SKIP_1) | instid1(VALU_DEP_1)
	v_cmp_ne_u32_e64 s14, 0, v64
	v_not_b32_e32 v64, v65
	v_dual_ashrrev_i32 v64, 31, v64 :: v_dual_lshlrev_b32 v66, 29, v54
	v_dual_lshlrev_b32 v67, 28, v54 :: v_dual_lshlrev_b32 v68, 27, v54
	v_dual_lshlrev_b32 v69, 26, v54 :: v_dual_lshlrev_b32 v70, 25, v54
	s_delay_alu instid0(VALU_DEP_3) | instskip(SKIP_1) | instid1(VALU_DEP_4)
	v_cmp_gt_i32_e64 s16, 0, v66
	v_not_b32_e32 v65, v66
	v_not_b32_e32 v66, v67
	v_lshl_add_u32 v55, v54, 3, v134
	v_lshlrev_b32_e32 v54, 24, v54
	v_cmp_gt_i32_e64 s17, 0, v67
	v_cmp_gt_i32_e64 s18, 0, v68
	v_not_b32_e32 v67, v68
	v_cmp_gt_i32_e64 s19, 0, v69
	v_not_b32_e32 v68, v69
	v_not_b32_e32 v69, v70
	v_dual_ashrrev_i32 v66, 31, v66 :: v_dual_bitop2_b32 v53, s14, v53 bitop3:0x14
	v_dual_ashrrev_i32 v65, 31, v65 :: v_dual_ashrrev_i32 v67, 31, v67
	v_xor_b32_e32 v64, s15, v64
	v_not_b32_e32 v71, v54
	s_delay_alu instid0(VALU_DEP_3) | instskip(SKIP_1) | instid1(VALU_DEP_4)
	v_dual_ashrrev_i32 v68, 31, v68 :: v_dual_bitop2_b32 v65, s16, v65 bitop3:0x14
	v_xor_b32_e32 v66, s17, v66
	v_bitop3_b32 v53, v53, v64, exec_lo bitop3:0x80
	v_xor_b32_e32 v67, s18, v67
	v_cmp_gt_i32_e64 s14, 0, v70
	v_cmp_gt_i32_e64 s15, 0, v54
	v_ashrrev_i32_e32 v54, 31, v71
	v_bitop3_b32 v53, v53, v66, v65 bitop3:0x80
	v_lshl_add_u32 v55, v55, 2, v12
	v_dual_ashrrev_i32 v68, 31, v69 :: v_dual_bitop2_b32 v64, s19, v68 bitop3:0x14
	s_delay_alu instid0(VALU_DEP_4) | instskip(NEXT) | instid1(VALU_DEP_2)
	v_xor_b32_e32 v54, s15, v54
	v_bitop3_b32 v64, v53, v64, v67 bitop3:0x80
	s_delay_alu instid0(VALU_DEP_3) | instskip(SKIP_3) | instid1(VALU_DEP_1)
	v_xor_b32_e32 v65, s14, v68
	ds_load_b32 v53, v55 offset:32
	v_add_nc_u32_e32 v55, 32, v55
	; wave barrier
	v_bitop3_b32 v64, v64, v54, v65 bitop3:0x80
	v_mbcnt_lo_u32_b32 v54, v64, 0
	v_cmp_ne_u32_e64 s15, 0, v64
	s_delay_alu instid0(VALU_DEP_2) | instskip(SKIP_1) | instid1(SALU_CYCLE_1)
	v_cmp_eq_u32_e64 s14, 0, v54
	s_and_b32 s15, s15, s14
	s_and_saveexec_b32 s14, s15
	s_cbranch_execz .LBB1832_182
; %bb.181:                              ;   in Loop: Header=BB1832_172 Depth=1
	s_wait_dscnt 0x0
	v_bcnt_u32_b32 v64, v64, v53
	ds_store_b32 v55, v64
.LBB1832_182:                           ;   in Loop: Header=BB1832_172 Depth=1
	s_or_b32 exec_lo, exec_lo, s14
	v_cmp_ne_u16_e64 s14, 0x7fff, v194
	; wave barrier
	s_delay_alu instid0(VALU_DEP_1) | instskip(NEXT) | instid1(VALU_DEP_1)
	v_cndmask_b32_e64 v64, 0xffff8000, v194, s14
	v_and_b32_e32 v64, 0xffff, v64
	s_delay_alu instid0(VALU_DEP_1) | instskip(NEXT) | instid1(VALU_DEP_1)
	v_lshrrev_b32_e32 v64, v10, v64
	v_and_b32_e32 v65, v64, v49
	s_delay_alu instid0(VALU_DEP_1) | instskip(SKIP_1) | instid1(VALU_DEP_2)
	v_lshlrev_b32_e32 v68, 30, v65
	v_bitop3_b32 v64, v64, 1, v49 bitop3:0x80
	v_cmp_gt_i32_e64 s15, 0, v68
	s_delay_alu instid0(VALU_DEP_2) | instskip(NEXT) | instid1(VALU_DEP_1)
	v_add_co_u32 v64, s14, v64, -1
	v_cndmask_b32_e64 v67, 0, 1, s14
	s_delay_alu instid0(VALU_DEP_1) | instskip(SKIP_1) | instid1(VALU_DEP_1)
	v_cmp_ne_u32_e64 s14, 0, v67
	v_not_b32_e32 v67, v68
	v_dual_ashrrev_i32 v67, 31, v67 :: v_dual_lshlrev_b32 v69, 29, v65
	v_dual_lshlrev_b32 v70, 28, v65 :: v_dual_lshlrev_b32 v71, 27, v65
	v_dual_lshlrev_b32 v80, 26, v65 :: v_dual_lshlrev_b32 v81, 25, v65
	s_delay_alu instid0(VALU_DEP_3) | instskip(SKIP_1) | instid1(VALU_DEP_4)
	v_cmp_gt_i32_e64 s16, 0, v69
	v_not_b32_e32 v68, v69
	v_not_b32_e32 v69, v70
	v_lshl_add_u32 v66, v65, 3, v134
	v_lshlrev_b32_e32 v65, 24, v65
	v_cmp_gt_i32_e64 s17, 0, v70
	v_cmp_gt_i32_e64 s18, 0, v71
	v_not_b32_e32 v70, v71
	v_cmp_gt_i32_e64 s19, 0, v80
	v_not_b32_e32 v71, v80
	v_not_b32_e32 v80, v81
	v_dual_ashrrev_i32 v69, 31, v69 :: v_dual_bitop2_b32 v64, s14, v64 bitop3:0x14
	v_dual_ashrrev_i32 v68, 31, v68 :: v_dual_ashrrev_i32 v70, 31, v70
	v_xor_b32_e32 v67, s15, v67
	v_not_b32_e32 v82, v65
	s_delay_alu instid0(VALU_DEP_3) | instskip(SKIP_1) | instid1(VALU_DEP_4)
	v_dual_ashrrev_i32 v71, 31, v71 :: v_dual_bitop2_b32 v68, s16, v68 bitop3:0x14
	v_xor_b32_e32 v69, s17, v69
	v_bitop3_b32 v64, v64, v67, exec_lo bitop3:0x80
	v_xor_b32_e32 v70, s18, v70
	v_cmp_gt_i32_e64 s14, 0, v81
	v_cmp_gt_i32_e64 s15, 0, v65
	v_ashrrev_i32_e32 v65, 31, v82
	v_bitop3_b32 v64, v64, v69, v68 bitop3:0x80
	v_lshl_add_u32 v66, v66, 2, v12
	v_dual_ashrrev_i32 v71, 31, v80 :: v_dual_bitop2_b32 v67, s19, v71 bitop3:0x14
	s_delay_alu instid0(VALU_DEP_4) | instskip(NEXT) | instid1(VALU_DEP_2)
	v_xor_b32_e32 v65, s15, v65
	v_bitop3_b32 v67, v64, v67, v70 bitop3:0x80
	s_delay_alu instid0(VALU_DEP_3) | instskip(SKIP_3) | instid1(VALU_DEP_1)
	v_xor_b32_e32 v68, s14, v71
	ds_load_b32 v64, v66 offset:32
	v_add_nc_u32_e32 v66, 32, v66
	; wave barrier
	v_bitop3_b32 v67, v67, v65, v68 bitop3:0x80
	v_mbcnt_lo_u32_b32 v65, v67, 0
	v_cmp_ne_u32_e64 s15, 0, v67
	s_delay_alu instid0(VALU_DEP_2) | instskip(SKIP_1) | instid1(SALU_CYCLE_1)
	v_cmp_eq_u32_e64 s14, 0, v65
	s_and_b32 s15, s15, s14
	s_and_saveexec_b32 s14, s15
	s_cbranch_execz .LBB1832_184
; %bb.183:                              ;   in Loop: Header=BB1832_172 Depth=1
	s_wait_dscnt 0x0
	v_bcnt_u32_b32 v67, v67, v64
	ds_store_b32 v66, v67
.LBB1832_184:                           ;   in Loop: Header=BB1832_172 Depth=1
	s_or_b32 exec_lo, exec_lo, s14
	v_cmp_ne_u16_e64 s14, 0x7fff, v193
	; wave barrier
	s_delay_alu instid0(VALU_DEP_1) | instskip(NEXT) | instid1(VALU_DEP_1)
	v_cndmask_b32_e64 v67, 0xffff8000, v193, s14
	v_and_b32_e32 v67, 0xffff, v67
	s_delay_alu instid0(VALU_DEP_1) | instskip(NEXT) | instid1(VALU_DEP_1)
	v_lshrrev_b32_e32 v67, v10, v67
	v_and_b32_e32 v68, v67, v49
	s_delay_alu instid0(VALU_DEP_1) | instskip(SKIP_1) | instid1(VALU_DEP_2)
	v_lshlrev_b32_e32 v71, 30, v68
	v_bitop3_b32 v67, v67, 1, v49 bitop3:0x80
	v_cmp_gt_i32_e64 s15, 0, v71
	s_delay_alu instid0(VALU_DEP_2) | instskip(NEXT) | instid1(VALU_DEP_1)
	v_add_co_u32 v67, s14, v67, -1
	v_cndmask_b32_e64 v70, 0, 1, s14
	s_delay_alu instid0(VALU_DEP_1) | instskip(SKIP_1) | instid1(VALU_DEP_1)
	v_cmp_ne_u32_e64 s14, 0, v70
	v_not_b32_e32 v70, v71
	v_dual_ashrrev_i32 v70, 31, v70 :: v_dual_lshlrev_b32 v80, 29, v68
	v_dual_lshlrev_b32 v81, 28, v68 :: v_dual_lshlrev_b32 v82, 27, v68
	v_dual_lshlrev_b32 v83, 26, v68 :: v_dual_lshlrev_b32 v84, 25, v68
	s_delay_alu instid0(VALU_DEP_3) | instskip(SKIP_1) | instid1(VALU_DEP_4)
	v_cmp_gt_i32_e64 s16, 0, v80
	v_not_b32_e32 v71, v80
	v_not_b32_e32 v80, v81
	v_lshl_add_u32 v69, v68, 3, v134
	v_lshlrev_b32_e32 v68, 24, v68
	v_cmp_gt_i32_e64 s17, 0, v81
	v_cmp_gt_i32_e64 s18, 0, v82
	v_not_b32_e32 v81, v82
	v_cmp_gt_i32_e64 s19, 0, v83
	v_not_b32_e32 v82, v83
	v_not_b32_e32 v83, v84
	v_dual_ashrrev_i32 v80, 31, v80 :: v_dual_bitop2_b32 v67, s14, v67 bitop3:0x14
	v_dual_ashrrev_i32 v71, 31, v71 :: v_dual_ashrrev_i32 v81, 31, v81
	v_xor_b32_e32 v70, s15, v70
	v_not_b32_e32 v85, v68
	s_delay_alu instid0(VALU_DEP_3) | instskip(SKIP_1) | instid1(VALU_DEP_4)
	v_dual_ashrrev_i32 v82, 31, v82 :: v_dual_bitop2_b32 v71, s16, v71 bitop3:0x14
	v_xor_b32_e32 v80, s17, v80
	v_bitop3_b32 v67, v67, v70, exec_lo bitop3:0x80
	v_xor_b32_e32 v81, s18, v81
	v_cmp_gt_i32_e64 s14, 0, v84
	v_cmp_gt_i32_e64 s15, 0, v68
	v_ashrrev_i32_e32 v68, 31, v85
	v_bitop3_b32 v67, v67, v80, v71 bitop3:0x80
	v_lshl_add_u32 v69, v69, 2, v12
	v_dual_ashrrev_i32 v82, 31, v83 :: v_dual_bitop2_b32 v70, s19, v82 bitop3:0x14
	s_delay_alu instid0(VALU_DEP_4) | instskip(SKIP_3) | instid1(VALU_DEP_1)
	v_xor_b32_e32 v68, s15, v68
	ds_load_b32 v84, v69 offset:32
	v_bitop3_b32 v67, v67, v70, v81 bitop3:0x80
	v_xor_b32_e32 v71, s14, v82
	; wave barrier
	v_bitop3_b32 v68, v67, v68, v71 bitop3:0x80
	v_add_nc_u32_e32 v67, 32, v69
	s_delay_alu instid0(VALU_DEP_2) | instskip(SKIP_1) | instid1(VALU_DEP_2)
	v_mbcnt_lo_u32_b32 v86, v68, 0
	v_cmp_ne_u32_e64 s15, 0, v68
	v_cmp_eq_u32_e64 s14, 0, v86
	s_and_b32 s15, s15, s14
	s_delay_alu instid0(SALU_CYCLE_1)
	s_and_saveexec_b32 s14, s15
	s_cbranch_execz .LBB1832_186
; %bb.185:                              ;   in Loop: Header=BB1832_172 Depth=1
	s_wait_dscnt 0x0
	v_bcnt_u32_b32 v68, v68, v84
	ds_store_b32 v67, v68
.LBB1832_186:                           ;   in Loop: Header=BB1832_172 Depth=1
	s_or_b32 exec_lo, exec_lo, s14
	v_cmp_ne_u16_e64 s14, 0x7fff, v195
	; wave barrier
	s_delay_alu instid0(VALU_DEP_1) | instskip(NEXT) | instid1(VALU_DEP_1)
	v_cndmask_b32_e64 v68, 0xffff8000, v195, s14
	v_and_b32_e32 v68, 0xffff, v68
	s_delay_alu instid0(VALU_DEP_1) | instskip(NEXT) | instid1(VALU_DEP_1)
	v_lshrrev_b32_e32 v68, v10, v68
	v_and_b32_e32 v69, v68, v49
	s_delay_alu instid0(VALU_DEP_1) | instskip(SKIP_1) | instid1(VALU_DEP_2)
	v_lshlrev_b32_e32 v71, 30, v69
	v_bitop3_b32 v49, v68, 1, v49 bitop3:0x80
	v_cmp_gt_i32_e64 s15, 0, v71
	s_delay_alu instid0(VALU_DEP_2) | instskip(NEXT) | instid1(VALU_DEP_1)
	v_add_co_u32 v49, s14, v49, -1
	v_cndmask_b32_e64 v70, 0, 1, s14
	s_delay_alu instid0(VALU_DEP_1) | instskip(SKIP_1) | instid1(VALU_DEP_1)
	v_cmp_ne_u32_e64 s14, 0, v70
	v_not_b32_e32 v70, v71
	v_dual_ashrrev_i32 v70, 31, v70 :: v_dual_lshlrev_b32 v80, 29, v69
	v_dual_lshlrev_b32 v81, 28, v69 :: v_dual_lshlrev_b32 v82, 27, v69
	v_dual_lshlrev_b32 v83, 26, v69 :: v_dual_lshlrev_b32 v85, 25, v69
	s_delay_alu instid0(VALU_DEP_3) | instskip(SKIP_1) | instid1(VALU_DEP_4)
	v_cmp_gt_i32_e64 s16, 0, v80
	v_not_b32_e32 v71, v80
	v_not_b32_e32 v80, v81
	v_lshl_add_u32 v68, v69, 3, v134
	v_lshlrev_b32_e32 v69, 24, v69
	v_cmp_gt_i32_e64 s17, 0, v81
	v_cmp_gt_i32_e64 s18, 0, v82
	v_not_b32_e32 v81, v82
	v_cmp_gt_i32_e64 s19, 0, v83
	v_not_b32_e32 v82, v83
	v_not_b32_e32 v83, v85
	v_dual_ashrrev_i32 v71, 31, v71 :: v_dual_bitop2_b32 v49, s14, v49 bitop3:0x14
	v_dual_ashrrev_i32 v80, 31, v80 :: v_dual_ashrrev_i32 v81, 31, v81
	v_xor_b32_e32 v70, s15, v70
	v_not_b32_e32 v87, v69
	s_delay_alu instid0(VALU_DEP_4) | instskip(NEXT) | instid1(VALU_DEP_4)
	v_dual_ashrrev_i32 v82, 31, v82 :: v_dual_bitop2_b32 v71, s16, v71 bitop3:0x14
	v_xor_b32_e32 v80, s17, v80
	s_delay_alu instid0(VALU_DEP_4) | instskip(SKIP_1) | instid1(VALU_DEP_4)
	v_bitop3_b32 v49, v49, v70, exec_lo bitop3:0x80
	v_cmp_gt_i32_e64 s14, 0, v85
	v_dual_ashrrev_i32 v82, 31, v83 :: v_dual_bitop2_b32 v70, s19, v82 bitop3:0x14
	v_cmp_gt_i32_e64 s15, 0, v69
	v_ashrrev_i32_e32 v69, 31, v87
	v_bitop3_b32 v49, v49, v80, v71 bitop3:0x80
	v_lshl_add_u32 v68, v68, 2, v12
	v_xor_b32_e32 v81, s18, v81
	v_xor_b32_e32 v71, s14, v82
	;; [unrolled: 1-line block ×3, first 2 shown]
	s_delay_alu instid0(VALU_DEP_3) | instskip(SKIP_3) | instid1(VALU_DEP_1)
	v_bitop3_b32 v70, v49, v70, v81 bitop3:0x80
	ds_load_b32 v49, v68 offset:32
	v_add_nc_u32_e32 v68, 32, v68
	; wave barrier
	v_bitop3_b32 v69, v70, v69, v71 bitop3:0x80
	v_mbcnt_lo_u32_b32 v96, v69, 0
	v_cmp_ne_u32_e64 s15, 0, v69
	s_delay_alu instid0(VALU_DEP_2) | instskip(SKIP_1) | instid1(SALU_CYCLE_1)
	v_cmp_eq_u32_e64 s14, 0, v96
	s_and_b32 s15, s15, s14
	s_and_saveexec_b32 s14, s15
	s_cbranch_execz .LBB1832_188
; %bb.187:                              ;   in Loop: Header=BB1832_172 Depth=1
	s_wait_dscnt 0x0
	v_bcnt_u32_b32 v69, v69, v49
	ds_store_b32 v68, v69
.LBB1832_188:                           ;   in Loop: Header=BB1832_172 Depth=1
	s_or_b32 exec_lo, exec_lo, s14
	; wave barrier
	s_wait_dscnt 0x0
	s_barrier_signal -1
	s_barrier_wait -1
	ds_load_b32 v70, v27
	ds_load_b32 v71, v31
	;; [unrolled: 1-line block ×8, first 2 shown]
	s_wait_dscnt 0x6
	v_add_nc_u32_e32 v87, v71, v70
	s_wait_dscnt 0x4
	s_delay_alu instid0(VALU_DEP_1) | instskip(SKIP_1) | instid1(VALU_DEP_1)
	v_add3_u32 v87, v87, v80, v81
	s_wait_dscnt 0x2
	v_add3_u32 v87, v87, v82, v83
	s_wait_dscnt 0x0
	s_delay_alu instid0(VALU_DEP_1) | instskip(NEXT) | instid1(VALU_DEP_1)
	v_add3_u32 v85, v87, v69, v85
	v_mov_b32_dpp v87, v85 row_shr:1 row_mask:0xf bank_mask:0xf
	s_delay_alu instid0(VALU_DEP_1) | instskip(NEXT) | instid1(VALU_DEP_1)
	v_cndmask_b32_e64 v87, v87, 0, vcc_lo
	v_add_nc_u32_e32 v85, v87, v85
	s_delay_alu instid0(VALU_DEP_1) | instskip(NEXT) | instid1(VALU_DEP_1)
	v_mov_b32_dpp v87, v85 row_shr:2 row_mask:0xf bank_mask:0xf
	v_cndmask_b32_e64 v87, 0, v87, s0
	s_delay_alu instid0(VALU_DEP_1) | instskip(NEXT) | instid1(VALU_DEP_1)
	v_add_nc_u32_e32 v85, v85, v87
	v_mov_b32_dpp v87, v85 row_shr:4 row_mask:0xf bank_mask:0xf
	s_delay_alu instid0(VALU_DEP_1) | instskip(NEXT) | instid1(VALU_DEP_1)
	v_cndmask_b32_e64 v87, 0, v87, s1
	v_add_nc_u32_e32 v85, v85, v87
	s_delay_alu instid0(VALU_DEP_1) | instskip(NEXT) | instid1(VALU_DEP_1)
	v_mov_b32_dpp v87, v85 row_shr:8 row_mask:0xf bank_mask:0xf
	v_cndmask_b32_e64 v87, 0, v87, s3
	s_delay_alu instid0(VALU_DEP_1) | instskip(SKIP_3) | instid1(VALU_DEP_1)
	v_add_nc_u32_e32 v85, v85, v87
	ds_swizzle_b32 v87, v85 offset:swizzle(BROADCAST,32,15)
	s_wait_dscnt 0x0
	v_cndmask_b32_e64 v87, v87, 0, s4
	v_add_nc_u32_e32 v85, v85, v87
	s_and_saveexec_b32 s14, s5
; %bb.189:                              ;   in Loop: Header=BB1832_172 Depth=1
	ds_store_b32 v144, v85
; %bb.190:                              ;   in Loop: Header=BB1832_172 Depth=1
	s_or_b32 exec_lo, exec_lo, s14
	s_wait_dscnt 0x0
	s_barrier_signal -1
	s_barrier_wait -1
	s_and_saveexec_b32 s14, s6
	s_cbranch_execz .LBB1832_192
; %bb.191:                              ;   in Loop: Header=BB1832_172 Depth=1
	ds_load_b32 v87, v145
	s_wait_dscnt 0x0
	v_mov_b32_dpp v97, v87 row_shr:1 row_mask:0xf bank_mask:0xf
	s_delay_alu instid0(VALU_DEP_1) | instskip(NEXT) | instid1(VALU_DEP_1)
	v_cndmask_b32_e64 v97, v97, 0, s11
	v_add_nc_u32_e32 v87, v97, v87
	s_delay_alu instid0(VALU_DEP_1) | instskip(NEXT) | instid1(VALU_DEP_1)
	v_mov_b32_dpp v97, v87 row_shr:2 row_mask:0xf bank_mask:0xf
	v_cndmask_b32_e64 v97, 0, v97, s12
	s_delay_alu instid0(VALU_DEP_1) | instskip(NEXT) | instid1(VALU_DEP_1)
	v_add_nc_u32_e32 v87, v87, v97
	v_mov_b32_dpp v97, v87 row_shr:4 row_mask:0xf bank_mask:0xf
	s_delay_alu instid0(VALU_DEP_1) | instskip(NEXT) | instid1(VALU_DEP_1)
	v_cndmask_b32_e64 v97, 0, v97, s13
	v_add_nc_u32_e32 v87, v87, v97
	ds_store_b32 v145, v87
.LBB1832_192:                           ;   in Loop: Header=BB1832_172 Depth=1
	s_or_b32 exec_lo, exec_lo, s14
	v_mov_b32_e32 v87, 0
	s_wait_dscnt 0x0
	s_barrier_signal -1
	s_barrier_wait -1
	s_and_saveexec_b32 s14, s7
; %bb.193:                              ;   in Loop: Header=BB1832_172 Depth=1
	ds_load_b32 v87, v147
; %bb.194:                              ;   in Loop: Header=BB1832_172 Depth=1
	s_or_b32 exec_lo, exec_lo, s14
	s_wait_dscnt 0x0
	v_add_nc_u32_e32 v85, v87, v85
	s_mov_b32 s16, -1
                                        ; implicit-def: $vgpr196
	v_add_nc_u32_e32 v10, 8, v10
	ds_bpermute_b32 v85, v135, v85
	v_cmp_lt_u32_e64 s14, v10, v11
	s_wait_dscnt 0x0
	v_cndmask_b32_e64 v85, v85, v87, s2
	s_delay_alu instid0(VALU_DEP_1) | instskip(NEXT) | instid1(VALU_DEP_1)
	v_cndmask_b32_e64 v85, v85, 0, s10
	v_add_nc_u32_e32 v70, v85, v70
	s_delay_alu instid0(VALU_DEP_1) | instskip(NEXT) | instid1(VALU_DEP_1)
	v_add_nc_u32_e32 v71, v70, v71
	v_add_nc_u32_e32 v80, v71, v80
	s_delay_alu instid0(VALU_DEP_1)
	v_add_nc_u32_e32 v81, v80, v81
	ds_store_b32 v27, v85
	ds_store_b32 v31, v70
	ds_store_b32 v128, v71
	v_dual_mov_b32 v71, v1 :: v_dual_mov_b32 v85, v1
	v_add_nc_u32_e32 v82, v81, v82
	s_delay_alu instid0(VALU_DEP_1) | instskip(NEXT) | instid1(VALU_DEP_1)
	v_add_nc_u32_e32 v83, v82, v83
	v_add_nc_u32_e32 v69, v83, v69
	ds_store_b32 v129, v80
	ds_store_b32 v130, v81
	;; [unrolled: 1-line block ×5, first 2 shown]
	s_wait_dscnt 0x0
	s_barrier_signal -1
	s_barrier_wait -1
	ds_load_b32 v34, v34
	ds_load_b32 v37, v37
	;; [unrolled: 1-line block ×8, first 2 shown]
	v_dual_mov_b32 v67, v1 :: v_dual_mov_b32 v69, v1
	v_dual_mov_b32 v81, v1 :: v_dual_mov_b32 v83, v1
	v_mov_b32_e32 v87, v1
	s_wait_dscnt 0x0
	v_add_nc_u32_e32 v0, v34, v0
	v_add3_u32 v66, v36, v35, v37
	v_add3_u32 v68, v39, v38, v48
	v_add3_u32 v80, v51, v50, v52
	v_add3_u32 v70, v54, v53, v55
	v_add3_u32 v82, v65, v64, v82
	v_add3_u32 v84, v86, v84, v97
	v_add3_u32 v86, v96, v49, v98
	v_lshl_add_u64 v[118:119], v[0:1], 1, v[12:13]
	v_lshl_add_u64 v[116:117], v[66:67], 1, v[12:13]
	;; [unrolled: 1-line block ×8, first 2 shown]
                                        ; implicit-def: $vgpr34_vgpr35
                                        ; implicit-def: $vgpr36_vgpr37
                                        ; implicit-def: $vgpr38_vgpr39
                                        ; implicit-def: $vgpr48_vgpr49
                                        ; implicit-def: $vgpr50_vgpr51
                                        ; implicit-def: $vgpr52_vgpr53
                                        ; implicit-def: $vgpr54_vgpr55
                                        ; implicit-def: $vgpr64_vgpr65
                                        ; implicit-def: $vgpr85
                                        ; implicit-def: $vgpr87
                                        ; implicit-def: $vgpr69
                                        ; implicit-def: $vgpr67
                                        ; implicit-def: $vgpr71
                                        ; implicit-def: $vgpr81
                                        ; implicit-def: $vgpr83
	s_and_saveexec_b32 s15, s14
	s_cbranch_execz .LBB1832_171
; %bb.195:                              ;   in Loop: Header=BB1832_172 Depth=1
	v_mad_nc_u64_u32 v[34:35], v0, 6, v[118:119]
	v_mad_nc_u64_u32 v[36:37], v66, 6, v[116:117]
	;; [unrolled: 1-line block ×8, first 2 shown]
	s_barrier_signal -1
	s_barrier_wait -1
	ds_store_b16 v118, v180
	ds_store_b16 v116, v181
	;; [unrolled: 1-line block ×8, first 2 shown]
	s_wait_dscnt 0x0
	s_barrier_signal -1
	s_barrier_wait -1
	ds_load_u16 v196, v146
	ds_load_u16 v85, v148
	;; [unrolled: 1-line block ×8, first 2 shown]
	s_wait_dscnt 0x0
	s_barrier_signal -1
	s_barrier_wait -1
	ds_store_b64 v34, v[22:23]
	ds_store_b64 v36, v[32:33]
	;; [unrolled: 1-line block ×8, first 2 shown]
	s_wait_dscnt 0x0
	s_barrier_signal -1
	s_barrier_wait -1
	ds_load_b64 v[34:35], v151
	ds_load_b64 v[36:37], v164
	;; [unrolled: 1-line block ×8, first 2 shown]
	v_add_nc_u32_e32 v179, -8, v179
	s_xor_b32 s16, exec_lo, -1
	s_wait_dscnt 0x0
	s_barrier_signal -1
	s_barrier_wait -1
	s_branch .LBB1832_171
.LBB1832_196:
	flat_load_b64 v[66:67], v[0:1]
	s_wait_xcnt 0x0
	s_or_b32 exec_lo, exec_lo, s17
                                        ; implicit-def: $vgpr68_vgpr69
	s_and_saveexec_b32 s17, s0
	s_cbranch_execz .LBB1832_36
.LBB1832_197:
	flat_load_b64 v[68:69], v[0:1] offset:256
	s_wait_xcnt 0x0
	s_or_b32 exec_lo, exec_lo, s17
                                        ; implicit-def: $vgpr70_vgpr71
	s_and_saveexec_b32 s0, s1
	s_cbranch_execz .LBB1832_37
.LBB1832_198:
	flat_load_b64 v[70:71], v[0:1] offset:512
	s_wait_xcnt 0x0
	s_or_b32 exec_lo, exec_lo, s0
                                        ; implicit-def: $vgpr80_vgpr81
	s_and_saveexec_b32 s0, s2
	s_cbranch_execz .LBB1832_38
.LBB1832_199:
	flat_load_b64 v[80:81], v[0:1] offset:768
	s_wait_xcnt 0x0
	s_or_b32 exec_lo, exec_lo, s0
                                        ; implicit-def: $vgpr82_vgpr83
	s_and_saveexec_b32 s0, s3
	s_cbranch_execz .LBB1832_39
.LBB1832_200:
	flat_load_b64 v[82:83], v[0:1] offset:1024
	s_wait_xcnt 0x0
	s_or_b32 exec_lo, exec_lo, s0
                                        ; implicit-def: $vgpr84_vgpr85
	s_and_saveexec_b32 s0, s4
	s_cbranch_execz .LBB1832_40
.LBB1832_201:
	flat_load_b64 v[84:85], v[0:1] offset:1280
	s_wait_xcnt 0x0
	s_or_b32 exec_lo, exec_lo, s0
                                        ; implicit-def: $vgpr86_vgpr87
	s_and_saveexec_b32 s0, s5
	s_cbranch_execz .LBB1832_41
.LBB1832_202:
	flat_load_b64 v[86:87], v[0:1] offset:1536
	s_wait_xcnt 0x0
	s_or_b32 exec_lo, exec_lo, s0
                                        ; implicit-def: $vgpr98_vgpr99
	s_and_saveexec_b32 s0, s6
	s_cbranch_execz .LBB1832_42
.LBB1832_203:
	flat_load_b64 v[98:99], v[0:1] offset:1792
	s_wait_xcnt 0x0
	s_or_b32 exec_lo, exec_lo, s0
                                        ; implicit-def: $vgpr102_vgpr103
	s_and_saveexec_b32 s0, s7
	s_cbranch_execz .LBB1832_43
.LBB1832_204:
	flat_load_b64 v[102:103], v[0:1] offset:2048
	s_wait_xcnt 0x0
	s_or_b32 exec_lo, exec_lo, s0
                                        ; implicit-def: $vgpr96_vgpr97
	s_and_saveexec_b32 s0, s10
	s_cbranch_execz .LBB1832_44
.LBB1832_205:
	flat_load_b64 v[96:97], v[0:1] offset:2304
	s_wait_xcnt 0x0
	s_or_b32 exec_lo, exec_lo, s0
                                        ; implicit-def: $vgpr100_vgpr101
	s_and_saveexec_b32 s0, s11
	s_cbranch_execz .LBB1832_45
.LBB1832_206:
	flat_load_b64 v[100:101], v[0:1] offset:2560
	s_wait_xcnt 0x0
	s_or_b32 exec_lo, exec_lo, s0
                                        ; implicit-def: $vgpr112_vgpr113
	s_and_saveexec_b32 s0, s12
	s_cbranch_execz .LBB1832_46
.LBB1832_207:
	flat_load_b64 v[112:113], v[0:1] offset:2816
	s_wait_xcnt 0x0
	s_or_b32 exec_lo, exec_lo, s0
                                        ; implicit-def: $vgpr114_vgpr115
	s_and_saveexec_b32 s0, s13
	s_cbranch_execz .LBB1832_47
.LBB1832_208:
	flat_load_b64 v[114:115], v[0:1] offset:3072
	s_wait_xcnt 0x0
	s_or_b32 exec_lo, exec_lo, s0
                                        ; implicit-def: $vgpr118_vgpr119
	s_and_saveexec_b32 s0, s14
	s_cbranch_execz .LBB1832_48
.LBB1832_209:
	flat_load_b64 v[118:119], v[0:1] offset:3328
	s_wait_xcnt 0x0
	s_or_b32 exec_lo, exec_lo, s0
                                        ; implicit-def: $vgpr164_vgpr165
	s_and_saveexec_b32 s0, s15
	s_cbranch_execz .LBB1832_49
.LBB1832_210:
	flat_load_b64 v[164:165], v[0:1] offset:3584
	s_wait_xcnt 0x0
	s_or_b32 exec_lo, exec_lo, s0
                                        ; implicit-def: $vgpr176_vgpr177
	s_and_saveexec_b32 s0, s16
	s_cbranch_execnz .LBB1832_50
	s_branch .LBB1832_51
.LBB1832_211:
	flat_store_b64 v[0:1], v[48:49]
	s_wait_xcnt 0x0
	s_or_b32 exec_lo, exec_lo, s17
	s_and_saveexec_b32 s17, s0
	s_cbranch_execz .LBB1832_127
.LBB1832_212:
	flat_store_b64 v[0:1], v[50:51] offset:2048
	s_wait_xcnt 0x0
	s_or_b32 exec_lo, exec_lo, s17
	s_and_saveexec_b32 s0, s1
	s_cbranch_execz .LBB1832_128
.LBB1832_213:
	flat_store_b64 v[0:1], v[34:35] offset:4096
	s_wait_xcnt 0x0
	s_or_b32 exec_lo, exec_lo, s0
	s_and_saveexec_b32 s0, s2
	s_cbranch_execz .LBB1832_129
.LBB1832_214:
	flat_store_b64 v[0:1], v[36:37] offset:6144
	s_wait_xcnt 0x0
	s_or_b32 exec_lo, exec_lo, s0
	s_and_saveexec_b32 s0, s3
	s_cbranch_execz .LBB1832_130
.LBB1832_215:
	flat_store_b64 v[0:1], v[30:31] offset:8192
	s_wait_xcnt 0x0
	s_or_b32 exec_lo, exec_lo, s0
	s_and_saveexec_b32 s0, s4
	s_cbranch_execz .LBB1832_131
.LBB1832_216:
	flat_store_b64 v[0:1], v[32:33] offset:10240
	s_wait_xcnt 0x0
	s_or_b32 exec_lo, exec_lo, s0
	s_and_saveexec_b32 s0, s5
	s_cbranch_execz .LBB1832_132
.LBB1832_217:
	flat_store_b64 v[0:1], v[26:27] offset:12288
	s_wait_xcnt 0x0
	s_or_b32 exec_lo, exec_lo, s0
	s_and_saveexec_b32 s0, s6
	s_cbranch_execz .LBB1832_133
.LBB1832_218:
	flat_store_b64 v[0:1], v[28:29] offset:14336
	s_wait_xcnt 0x0
	s_or_b32 exec_lo, exec_lo, s0
	s_and_saveexec_b32 s0, s7
	s_cbranch_execz .LBB1832_134
.LBB1832_219:
	flat_store_b64 v[0:1], v[22:23] offset:16384
	s_wait_xcnt 0x0
	s_or_b32 exec_lo, exec_lo, s0
	s_and_saveexec_b32 s0, s10
	s_cbranch_execz .LBB1832_135
.LBB1832_220:
	flat_store_b64 v[0:1], v[24:25] offset:18432
	s_wait_xcnt 0x0
	s_or_b32 exec_lo, exec_lo, s0
	s_and_saveexec_b32 s0, s11
	s_cbranch_execz .LBB1832_136
.LBB1832_221:
	flat_store_b64 v[0:1], v[18:19] offset:20480
	s_wait_xcnt 0x0
	s_or_b32 exec_lo, exec_lo, s0
	s_and_saveexec_b32 s0, s12
	s_cbranch_execz .LBB1832_137
.LBB1832_222:
	flat_store_b64 v[0:1], v[20:21] offset:22528
	s_wait_xcnt 0x0
	s_or_b32 exec_lo, exec_lo, s0
	s_and_saveexec_b32 s0, s13
	s_cbranch_execz .LBB1832_138
.LBB1832_223:
	flat_store_b64 v[0:1], v[14:15] offset:24576
	s_wait_xcnt 0x0
	s_or_b32 exec_lo, exec_lo, s0
	s_and_saveexec_b32 s0, s14
	s_cbranch_execz .LBB1832_139
.LBB1832_224:
	flat_store_b64 v[0:1], v[16:17] offset:26624
	s_wait_xcnt 0x0
	s_or_b32 exec_lo, exec_lo, s0
	s_and_saveexec_b32 s0, s15
	s_cbranch_execz .LBB1832_140
.LBB1832_225:
	flat_store_b64 v[0:1], v[10:11] offset:28672
	s_wait_xcnt 0x0
	s_or_b32 exec_lo, exec_lo, s0
	s_and_saveexec_b32 s0, s16
	s_cbranch_execnz .LBB1832_141
	s_branch .LBB1832_142
.LBB1832_226:
	s_or_b32 exec_lo, exec_lo, s25
	v_mad_nc_u64_u32 v[0:1], v0, 6, v[118:119]
	v_mad_nc_u64_u32 v[10:11], v66, 6, v[116:117]
	v_lshl_add_u32 v27, v30, 1, v12
	v_mad_nc_u64_u32 v[12:13], v68, 6, v[114:115]
	v_mad_nc_u64_u32 v[48:49], v80, 6, v[112:113]
	;; [unrolled: 1-line block ×3, first 2 shown]
	s_barrier_signal -1
	s_barrier_wait -1
	ds_store_b16 v118, v180
	ds_store_b16 v116, v181
	;; [unrolled: 1-line block ×8, first 2 shown]
	s_wait_dscnt 0x0
	s_barrier_signal -1
	s_barrier_wait -1
	ds_load_u16 v38, v27
	ds_load_u16 v37, v27 offset:512
	ds_load_u16 v36, v27 offset:1024
	;; [unrolled: 1-line block ×7, first 2 shown]
	s_wait_dscnt 0x0
	s_barrier_signal -1
	v_mad_nc_u64_u32 v[52:53], v82, 6, v[100:101]
	s_barrier_wait -1
	ds_store_b64 v0, v[22:23]
	ds_store_b64 v10, v[32:33]
	;; [unrolled: 1-line block ×4, first 2 shown]
	v_mul_u32_u24_e32 v0, 6, v30
	v_mad_nc_u64_u32 v[54:55], v84, 6, v[98:99]
	v_mad_nc_u64_u32 v[64:65], v86, 6, v[96:97]
	ds_store_b64 v50, v[20:21]
	ds_store_b64 v52, v[18:19]
	;; [unrolled: 1-line block ×4, first 2 shown]
	v_dual_mov_b32 v27, 0 :: v_dual_add_nc_u32 v0, v27, v0
	s_wait_dscnt 0x0
	s_barrier_signal -1
	s_barrier_wait -1
	ds_load_2addr_stride64_b64 v[22:25], v0 offset1:4
	ds_load_2addr_stride64_b64 v[18:21], v0 offset0:8 offset1:12
	ds_load_2addr_stride64_b64 v[14:17], v0 offset0:16 offset1:20
	;; [unrolled: 1-line block ×3, first 2 shown]
	v_lshl_add_u64 v[0:1], v[8:9], 1, v[2:3]
	s_set_vgpr_msb 4                        ;  msbs: dst=0 src0=0 src1=1 src2=0
	v_cmp_lt_u32_e32 vcc_lo, v26, v0 /*v256*/
	s_wait_dscnt 0x0
	s_barrier_signal -1
	s_barrier_wait -1
	v_lshl_add_u64 v[0:1], v[26:27], 1, v[0:1]
	s_and_saveexec_b32 s1, vcc_lo
	s_set_vgpr_msb 0                        ;  msbs: dst=0 src0=0 src1=0 src2=0
	s_cbranch_execz .LBB1832_228
; %bb.227:
	v_cmp_lt_i16_e64 s0, -1, v38
	s_delay_alu instid0(VALU_DEP_1) | instskip(NEXT) | instid1(VALU_DEP_1)
	v_cndmask_b32_e64 v2, 0xffff8000, -1, s0
	v_xor_b32_e32 v2, v2, v38
	flat_store_b16 v[0:1], v2
.LBB1832_228:
	s_wait_xcnt 0x0
	s_or_b32 exec_lo, exec_lo, s1
	v_add_nc_u32_e32 v2, 0x100, v26
	s_set_vgpr_msb 4                        ;  msbs: dst=0 src0=0 src1=1 src2=0
	s_delay_alu instid0(VALU_DEP_1)
	v_cmp_lt_u32_e64 s0, v2, v0 /*v256*/
	s_and_saveexec_b32 s2, s0
	s_set_vgpr_msb 0                        ;  msbs: dst=0 src0=0 src1=0 src2=0
	s_cbranch_execz .LBB1832_230
; %bb.229:
	v_cmp_lt_i16_e64 s1, -1, v37
	s_delay_alu instid0(VALU_DEP_1) | instskip(NEXT) | instid1(VALU_DEP_1)
	v_cndmask_b32_e64 v2, 0xffff8000, -1, s1
	v_xor_b32_e32 v2, v2, v37
	flat_store_b16 v[0:1], v2 offset:512
.LBB1832_230:
	s_wait_xcnt 0x0
	s_or_b32 exec_lo, exec_lo, s2
	v_add_nc_u32_e32 v2, 0x200, v26
	s_set_vgpr_msb 4                        ;  msbs: dst=0 src0=0 src1=1 src2=0
	s_delay_alu instid0(VALU_DEP_1)
	v_cmp_lt_u32_e64 s1, v2, v0 /*v256*/
	s_and_saveexec_b32 s3, s1
	s_set_vgpr_msb 0                        ;  msbs: dst=0 src0=0 src1=0 src2=0
	s_cbranch_execz .LBB1832_232
; %bb.231:
	v_cmp_lt_i16_e64 s2, -1, v36
	s_delay_alu instid0(VALU_DEP_1) | instskip(NEXT) | instid1(VALU_DEP_1)
	v_cndmask_b32_e64 v2, 0xffff8000, -1, s2
	v_xor_b32_e32 v2, v2, v36
	flat_store_b16 v[0:1], v2 offset:1024
.LBB1832_232:
	;; [unrolled: 16-line block ×7, first 2 shown]
	s_wait_xcnt 0x0
	s_or_b32 exec_lo, exec_lo, s10
	v_lshl_add_u64 v[0:1], v[8:9], 3, v[6:7]
	s_delay_alu instid0(VALU_DEP_1)
	v_lshl_add_u64 v[0:1], v[26:27], 3, v[0:1]
	s_and_saveexec_b32 s7, vcc_lo
	s_cbranch_execnz .LBB1832_292
; %bb.243:
	s_or_b32 exec_lo, exec_lo, s7
	s_and_saveexec_b32 s7, s0
	s_cbranch_execnz .LBB1832_293
.LBB1832_244:
	s_or_b32 exec_lo, exec_lo, s7
	s_and_saveexec_b32 s0, s1
	s_cbranch_execnz .LBB1832_294
.LBB1832_245:
	s_or_b32 exec_lo, exec_lo, s0
	s_and_saveexec_b32 s0, s2
	s_cbranch_execnz .LBB1832_295
.LBB1832_246:
	s_or_b32 exec_lo, exec_lo, s0
	s_and_saveexec_b32 s0, s3
	s_cbranch_execnz .LBB1832_296
.LBB1832_247:
	s_or_b32 exec_lo, exec_lo, s0
	s_and_saveexec_b32 s0, s4
	s_cbranch_execnz .LBB1832_297
.LBB1832_248:
	s_or_b32 exec_lo, exec_lo, s0
	s_and_saveexec_b32 s0, s5
	s_cbranch_execnz .LBB1832_298
.LBB1832_249:
	s_or_b32 exec_lo, exec_lo, s0
	s_and_saveexec_b32 s0, s6
	s_cbranch_execz .LBB1832_251
.LBB1832_250:
	flat_store_b64 v[0:1], v[12:13] offset:14336
.LBB1832_251:
	s_wait_xcnt 0x0
	s_or_b32 exec_lo, exec_lo, s0
                                        ; implicit-def: $vgpr256
                                        ; implicit-def: $vgpr8
                                        ; implicit-def: $vgpr10
                                        ; implicit-def: $vgpr11
                                        ; implicit-def: $vgpr0_vgpr1
                                        ; implicit-def: $vgpr2_vgpr3
                                        ; implicit-def: $vgpr4_vgpr5
                                        ; implicit-def: $vgpr6_vgpr7
                                        ; implicit-def: $vgpr12_vgpr13
                                        ; implicit-def: $vgpr9
                                        ; implicit-def: $vgpr14
                                        ; implicit-def: $vgpr30
                                        ; implicit-def: $vgpr33
.LBB1832_252:
	s_and_not1_saveexec_b32 s0, s21
	s_cbranch_execz .LBB1832_372
; %bb.253:
	s_mov_b32 s0, exec_lo
	s_set_vgpr_msb 4                        ;  msbs: dst=0 src0=0 src1=1 src2=0
	v_cmpx_lt_u32_e32 0x200, v0 /*v256*/
	s_xor_b32 s24, exec_lo, s0
	s_set_vgpr_msb 0                        ;  msbs: dst=0 src0=0 src1=0 src2=0
	s_cbranch_execz .LBB1832_313
; %bb.254:
	s_load_b64 s[0:1], s[8:9], 0x0
	s_bfe_u32 s3, ttmp6, 0x4000c
	s_bfe_u32 s5, ttmp6, 0x40010
	s_and_b32 s4, ttmp7, 0xffff
	s_add_co_i32 s3, s3, 1
	s_add_co_i32 s5, s5, 1
	s_and_b32 s2, ttmp6, 15
	s_bfe_u32 s6, ttmp6, 0x40004
	s_mul_i32 s3, ttmp9, s3
	s_mul_i32 s5, s4, s5
	s_add_co_i32 s2, s2, s3
	s_add_co_i32 s6, s6, s5
	s_cmp_eq_u32 s23, 0
	s_mov_b32 s3, 0
	s_cselect_b32 s2, ttmp9, s2
	s_cselect_b32 s4, s4, s6
	s_wait_kmcnt 0x0
	s_cmp_lt_u32 s2, s0
	s_cselect_b32 s2, 12, 18
	s_cmp_lt_u32 s4, s1
	s_mov_b32 s1, s3
	s_cselect_b32 s0, 14, 20
	s_delay_alu instid0(SALU_CYCLE_1)
	s_add_nc_u64 s[0:1], s[8:9], s[0:1]
	s_load_u16 s4, s[0:1], 0x0
	s_wait_xcnt 0x0
	s_add_nc_u64 s[0:1], s[8:9], s[2:3]
	s_load_u16 s0, s[0:1], 0x0
	s_wait_kmcnt 0x0
	v_mad_u32_u24 v9, v14, s4, v9
	v_lshlrev_b32_e32 v14, 1, v33
	s_delay_alu instid0(VALU_DEP_2) | instskip(SKIP_1) | instid1(VALU_DEP_1)
	v_mad_u32 v32, v9, s0, v30
	v_mov_b32_e32 v9, 0
	v_lshl_add_u64 v[16:17], v[8:9], 1, v[0:1]
	s_delay_alu instid0(VALU_DEP_3) | instskip(NEXT) | instid1(VALU_DEP_1)
	v_dual_mov_b32 v15, v9 :: v_dual_lshlrev_b32 v18, 2, v32
	v_add_nc_u64_e32 v[14:15], v[16:17], v[14:15]
	v_dual_mov_b32 v16, 0x7fff :: v_dual_mov_b32 v17, 0x7fff
	s_delay_alu instid0(VALU_DEP_3) | instskip(NEXT) | instid1(VALU_DEP_1)
	v_and_b32_e32 v0, 0xffffff80, v18
	v_dual_mov_b32 v1, v9 :: v_dual_bitop2_b32 v20, v0, v33 bitop3:0x54
	s_delay_alu instid0(VALU_DEP_1) | instskip(SKIP_1) | instid1(VALU_DEP_2)
	v_lshl_add_u64 v[14:15], v[0:1], 1, v[14:15]
	s_set_vgpr_msb 4                        ;  msbs: dst=0 src0=0 src1=1 src2=0
	v_cmp_lt_u32_e64 s2, v20, v0 /*v256*/
	s_and_saveexec_b32 s0, s2
	s_set_vgpr_msb 0                        ;  msbs: dst=0 src0=0 src1=0 src2=0
	s_cbranch_execz .LBB1832_256
; %bb.255:
	flat_load_u16 v17, v[14:15]
.LBB1832_256:
	s_wait_xcnt 0x0
	s_or_b32 exec_lo, exec_lo, s0
	v_or_b32_e32 v18, 32, v20
	s_set_vgpr_msb 4                        ;  msbs: dst=0 src0=0 src1=1 src2=0
	s_delay_alu instid0(VALU_DEP_1)
	v_cmp_lt_u32_e64 s0, v18, v0 /*v256*/
	s_and_saveexec_b32 s1, s0
	s_set_vgpr_msb 0                        ;  msbs: dst=0 src0=0 src1=0 src2=0
	s_cbranch_execz .LBB1832_258
; %bb.257:
	flat_load_u16 v16, v[14:15] offset:64
.LBB1832_258:
	s_wait_xcnt 0x0
	s_or_b32 exec_lo, exec_lo, s1
	v_or_b32_e32 v19, 64, v20
	v_mov_b32_e32 v18, 0x7fff
	s_set_vgpr_msb 4                        ;  msbs: dst=0 src0=0 src1=1 src2=0
	s_delay_alu instid0(VALU_DEP_2)
	v_cmp_lt_u32_e64 s1, v19, v0 /*v256*/
	v_mov_b32_e32 v19, 0x7fff
	s_and_saveexec_b32 s3, s1
	s_set_vgpr_msb 0                        ;  msbs: dst=0 src0=0 src1=0 src2=0
	s_cbranch_execz .LBB1832_260
; %bb.259:
	flat_load_u16 v19, v[14:15] offset:128
.LBB1832_260:
	s_wait_xcnt 0x0
	s_or_b32 exec_lo, exec_lo, s3
	v_or_b32_e32 v20, 0x60, v20
	s_set_vgpr_msb 4                        ;  msbs: dst=0 src0=0 src1=1 src2=0
	s_delay_alu instid0(VALU_DEP_1)
	v_cmp_lt_u32_e32 vcc_lo, v20, v0 /*v256*/
	s_and_saveexec_b32 s3, vcc_lo
	s_set_vgpr_msb 0                        ;  msbs: dst=0 src0=0 src1=0 src2=0
	s_cbranch_execz .LBB1832_262
; %bb.261:
	flat_load_u16 v18, v[14:15] offset:192
.LBB1832_262:
	s_wait_xcnt 0x0
	s_or_b32 exec_lo, exec_lo, s3
	v_lshl_add_u64 v[4:5], v[8:9], 3, v[4:5]
	v_dual_mov_b32 v23, 0 :: v_dual_lshlrev_b32 v22, 3, v33
	s_delay_alu instid0(VALU_DEP_1) | instskip(SKIP_3) | instid1(VALU_DEP_4)
	v_add_nc_u64_e32 v[4:5], v[4:5], v[22:23]
	v_dual_mov_b32 v22, v23 :: v_dual_mov_b32 v24, v23
	v_dual_mov_b32 v25, v23 :: v_dual_mov_b32 v26, v23
	;; [unrolled: 1-line block ×3, first 2 shown]
	v_lshl_add_u64 v[0:1], v[0:1], 3, v[4:5]
	v_mov_b32_e32 v29, v23
	s_and_saveexec_b32 s3, s2
	s_cbranch_execnz .LBB1832_337
; %bb.263:
	s_or_b32 exec_lo, exec_lo, s3
	s_and_saveexec_b32 s2, s0
	s_cbranch_execnz .LBB1832_338
.LBB1832_264:
	s_or_b32 exec_lo, exec_lo, s2
	s_and_saveexec_b32 s0, s1
	s_cbranch_execnz .LBB1832_339
.LBB1832_265:
	s_or_b32 exec_lo, exec_lo, s0
	s_and_saveexec_b32 s0, vcc_lo
	s_cbranch_execz .LBB1832_267
.LBB1832_266:
	flat_load_b64 v[28:29], v[0:1] offset:768
.LBB1832_267:
	s_wait_xcnt 0x0
	s_or_b32 exec_lo, exec_lo, s0
	s_wait_loadcnt_dscnt 0x0
	v_cmp_lt_i16_e32 vcc_lo, -1, v17
	v_lshl_add_u32 v5, v30, 5, v12
	s_get_pc_i64 s[0:1]
	s_add_nc_u64 s[0:1], s[0:1], _ZN7rocprim17ROCPRIM_400000_NS16block_radix_sortI6__halfLj256ELj4ElLj1ELj1ELj8ELNS0_26block_radix_rank_algorithmE2ELNS0_18block_padding_hintE2ELNS0_4arch9wavefront6targetE0EE19radix_bits_per_passE@rel64+4
	v_cmp_lt_u32_e64 s7, 31, v30
	s_load_b32 s25, s[0:1], 0x0
	v_cndmask_b32_e64 v0, -1, 0xffff8000, vcc_lo
	v_cmp_lt_i16_e32 vcc_lo, -1, v16
	v_dual_add_nc_u32 v66, 44, v5 :: v_dual_add_nc_u32 v67, 48, v5
	v_dual_add_nc_u32 v68, 52, v5 :: v_dual_add_nc_u32 v69, 56, v5
	v_cndmask_b32_e64 v1, -1, 0xffff8000, vcc_lo
	v_cmp_lt_i16_e32 vcc_lo, -1, v19
	v_dual_lshrrev_b32 v71, 5, v32 :: v_dual_bitop2_b32 v112, v0, v17 bitop3:0x14
	s_delay_alu instid0(VALU_DEP_3)
	v_dual_add_nc_u32 v31, 32, v5 :: v_dual_bitop2_b32 v35, v1, v16 bitop3:0x14
	v_cndmask_b32_e64 v0, -1, 0xffff8000, vcc_lo
	v_cmp_lt_i16_e32 vcc_lo, -1, v18
	v_and_b32_e32 v1, 15, v33
	v_add_nc_u32_e32 v64, 36, v5
	v_cmp_eq_u32_e64 s10, 0, v30
	v_xor_b32_e32 v37, v0, v19
	v_cndmask_b32_e64 v4, -1, 0xffff8000, vcc_lo
	v_and_b32_e32 v0, 0x3e0, v30
	v_add_nc_u32_e32 v65, 40, v5
	s_mov_b32 s26, 0
	s_wait_storecnt 0x0
	v_xor_b32_e32 v39, v4, v18
	v_min_u32_e32 v0, 0xe0, v0
	v_add_nc_u32_e32 v70, 60, v5
	v_sub_co_u32 v5, s2, v33, 1
	s_barrier_signal -1
	s_delay_alu instid0(VALU_DEP_3) | instskip(SKIP_1) | instid1(VALU_DEP_2)
	v_or_b32_e32 v0, 31, v0
	s_barrier_wait -1
	v_cmp_gt_i32_e64 s6, 0, v5
	v_and_b32_e32 v4, 16, v33
	s_delay_alu instid0(VALU_DEP_3)
	v_cmp_eq_u32_e64 s5, v30, v0
	v_lshrrev_b32_e32 v0, 3, v30
	v_cmp_eq_u32_e32 vcc_lo, 0, v1
	s_wait_xcnt 0x0
	v_cmp_lt_u32_e64 s0, 1, v1
	v_cmp_lt_u32_e64 s1, 3, v1
	;; [unrolled: 1-line block ×3, first 2 shown]
	v_cndmask_b32_e64 v1, v5, v33, s6
	v_cmp_eq_u32_e64 s4, 0, v4
	v_lshlrev_b32_e32 v4, 2, v30
	v_and_b32_e32 v0, 0x7c, v0
	v_cmp_gt_u32_e64 s6, 8, v30
	v_dual_mov_b32 v1, 0 :: v_dual_lshlrev_b32 v80, 2, v1
	s_delay_alu instid0(VALU_DEP_4) | instskip(SKIP_3) | instid1(VALU_DEP_3)
	v_add_nc_u32_e32 v82, v12, v4
	v_and_or_b32 v5, 0xf80, v4, v33
	v_dual_add_nc_u32 v81, v12, v0 :: v_dual_bitop2_b32 v0, 7, v33 bitop3:0x40
	v_sub_nc_u32_e32 v99, v11, v10
	v_lshl_add_u32 v33, v5, 1, v12
	v_mul_u32_u24_e32 v5, 6, v5
	s_delay_alu instid0(VALU_DEP_4)
	v_cmp_eq_u32_e64 s11, 0, v0
	v_cmp_lt_u32_e64 s12, 1, v0
	v_cmp_lt_u32_e64 s13, 3, v0
	v_add_nc_u32_e32 v84, -4, v81
	v_add_nc_u32_e32 v83, v33, v5
	v_mov_b64_e32 v[4:5], 0
	v_add_nc_u32_e32 v85, 64, v33
	v_add_nc_u32_e32 v86, 0x80, v33
	;; [unrolled: 1-line block ×6, first 2 shown]
	s_branch .LBB1832_269
.LBB1832_268:                           ;   in Loop: Header=BB1832_269 Depth=1
	s_or_b32 exec_lo, exec_lo, s15
	s_delay_alu instid0(SALU_CYCLE_1) | instskip(NEXT) | instid1(SALU_CYCLE_1)
	s_and_b32 s14, exec_lo, s16
	s_or_b32 s26, s14, s26
	s_delay_alu instid0(SALU_CYCLE_1)
	s_and_not1_b32 exec_lo, exec_lo, s26
	s_cbranch_execz .LBB1832_299
.LBB1832_269:                           ; =>This Inner Loop Header: Depth=1
	v_mov_b32_e32 v100, v112
	s_wait_kmcnt 0x0
	v_min_u32_e32 v14, s25, v99
	ds_store_b64 v31, v[4:5]
	ds_store_b64 v65, v[4:5]
	;; [unrolled: 1-line block ×4, first 2 shown]
	s_wait_dscnt 0x0
	v_cmp_ne_u16_e64 s14, 0x7fff, v100
	v_lshlrev_b32_e64 v34, v14, -1
	s_barrier_signal -1
	s_barrier_wait -1
	s_delay_alu instid0(VALU_DEP_2) | instskip(SKIP_1) | instid1(VALU_DEP_2)
	v_cndmask_b32_e64 v0, 0xffff8000, v100, s14
	; wave barrier
	v_dual_mov_b32 v102, v35 :: v_dual_mov_b32 v101, v37
	v_and_b32_e32 v0, 0xffff, v0
	s_delay_alu instid0(VALU_DEP_1) | instskip(NEXT) | instid1(VALU_DEP_1)
	v_dual_mov_b32 v103, v39 :: v_dual_lshrrev_b32 v0, v10, v0
	v_bitop3_b32 v14, v0, 1, v34 bitop3:0x40
	v_bitop3_b32 v0, v0, v34, v0 bitop3:0x30
	s_delay_alu instid0(VALU_DEP_2) | instskip(NEXT) | instid1(VALU_DEP_1)
	v_add_co_u32 v14, s14, v14, -1
	v_cndmask_b32_e64 v15, 0, 1, s14
	s_delay_alu instid0(VALU_DEP_3) | instskip(SKIP_1) | instid1(VALU_DEP_3)
	v_dual_lshlrev_b32 v16, 30, v0 :: v_dual_lshlrev_b32 v17, 29, v0
	v_dual_lshlrev_b32 v18, 28, v0 :: v_dual_lshlrev_b32 v19, 27, v0
	v_cmp_ne_u32_e64 s14, 0, v15
	s_delay_alu instid0(VALU_DEP_3)
	v_not_b32_e32 v15, v16
	v_dual_lshlrev_b32 v20, 26, v0 :: v_dual_lshlrev_b32 v21, 25, v0
	v_lshlrev_b32_e32 v36, 24, v0
	v_cmp_gt_i32_e64 s15, 0, v16
	v_cmp_gt_i32_e64 s16, 0, v17
	v_not_b32_e32 v16, v17
	v_not_b32_e32 v17, v18
	v_ashrrev_i32_e32 v15, 31, v15
	v_cmp_gt_i32_e64 s17, 0, v18
	v_cmp_gt_i32_e64 s18, 0, v19
	v_not_b32_e32 v18, v19
	v_not_b32_e32 v19, v20
	v_dual_ashrrev_i32 v16, 31, v16 :: v_dual_bitop2_b32 v14, s14, v14 bitop3:0x14
	v_dual_ashrrev_i32 v17, 31, v17 :: v_dual_bitop2_b32 v15, s15, v15 bitop3:0x14
	v_cmp_gt_i32_e64 s19, 0, v20
	v_cmp_gt_i32_e64 s20, 0, v21
	v_not_b32_e32 v20, v21
	v_not_b32_e32 v21, v36
	v_dual_ashrrev_i32 v18, 31, v18 :: v_dual_ashrrev_i32 v19, 31, v19
	v_xor_b32_e32 v16, s16, v16
	v_xor_b32_e32 v17, s17, v17
	v_bitop3_b32 v14, v14, v15, exec_lo bitop3:0x80
	v_cmp_gt_i32_e64 s21, 0, v36
	v_dual_ashrrev_i32 v15, 31, v20 :: v_dual_ashrrev_i32 v20, 31, v21
	v_dual_lshlrev_b32 v0, 3, v0 :: v_dual_bitop2_b32 v18, s18, v18 bitop3:0x14
	v_xor_b32_e32 v19, s19, v19
	v_bitop3_b32 v14, v14, v17, v16 bitop3:0x80
	s_delay_alu instid0(VALU_DEP_4) | instskip(SKIP_2) | instid1(VALU_DEP_4)
	v_xor_b32_e32 v36, s20, v15
	v_xor_b32_e32 v38, s21, v20
	v_add_lshl_u32 v0, v0, v71, 2
	v_bitop3_b32 v48, v14, v19, v18 bitop3:0x80
	v_mov_b64_e32 v[14:15], v[22:23]
	v_mov_b64_e32 v[16:17], v[24:25]
	;; [unrolled: 1-line block ×4, first 2 shown]
	v_bitop3_b32 v24, v48, v38, v36 bitop3:0x80
	v_add_nc_u64_e32 v[22:23], v[12:13], v[0:1]
	s_delay_alu instid0(VALU_DEP_2) | instskip(SKIP_1) | instid1(VALU_DEP_3)
	v_mbcnt_lo_u32_b32 v0, v24, 0
	v_cmp_ne_u32_e64 s15, 0, v24
	v_add_nc_u64_e32 v[22:23], 32, v[22:23]
	s_delay_alu instid0(VALU_DEP_3) | instskip(SKIP_1) | instid1(SALU_CYCLE_1)
	v_cmp_eq_u32_e64 s14, 0, v0
	s_and_b32 s15, s15, s14
	s_and_saveexec_b32 s14, s15
; %bb.270:                              ;   in Loop: Header=BB1832_269 Depth=1
	v_bcnt_u32_b32 v23, v24, 0
	ds_store_b32 v22, v23
; %bb.271:                              ;   in Loop: Header=BB1832_269 Depth=1
	s_or_b32 exec_lo, exec_lo, s14
	v_cmp_ne_u16_e64 s14, 0x7fff, v102
	v_not_b32_e32 v29, v34
	; wave barrier
	s_delay_alu instid0(VALU_DEP_2) | instskip(NEXT) | instid1(VALU_DEP_1)
	v_cndmask_b32_e64 v23, 0xffff8000, v102, s14
	v_and_b32_e32 v23, 0xffff, v23
	s_delay_alu instid0(VALU_DEP_1) | instskip(NEXT) | instid1(VALU_DEP_1)
	v_lshrrev_b32_e32 v23, v10, v23
	v_and_b32_e32 v24, v23, v29
	s_delay_alu instid0(VALU_DEP_1) | instskip(SKIP_1) | instid1(VALU_DEP_2)
	v_lshlrev_b32_e32 v27, 30, v24
	v_bitop3_b32 v23, v23, 1, v29 bitop3:0x80
	v_cmp_gt_i32_e64 s15, 0, v27
	s_delay_alu instid0(VALU_DEP_2) | instskip(NEXT) | instid1(VALU_DEP_1)
	v_add_co_u32 v23, s14, v23, -1
	v_cndmask_b32_e64 v26, 0, 1, s14
	s_delay_alu instid0(VALU_DEP_1) | instskip(SKIP_1) | instid1(VALU_DEP_1)
	v_cmp_ne_u32_e64 s14, 0, v26
	v_not_b32_e32 v26, v27
	v_dual_ashrrev_i32 v26, 31, v26 :: v_dual_lshlrev_b32 v28, 29, v24
	v_dual_lshlrev_b32 v34, 28, v24 :: v_dual_lshlrev_b32 v35, 27, v24
	v_lshlrev_b32_e32 v36, 26, v24
	v_lshl_add_u32 v25, v24, 3, v71
	s_delay_alu instid0(VALU_DEP_4)
	v_cmp_gt_i32_e64 s16, 0, v28
	v_not_b32_e32 v27, v28
	v_not_b32_e32 v28, v34
	v_dual_lshlrev_b32 v37, 25, v24 :: v_dual_lshlrev_b32 v24, 24, v24
	v_cmp_gt_i32_e64 s17, 0, v34
	v_cmp_gt_i32_e64 s18, 0, v35
	v_not_b32_e32 v34, v35
	v_not_b32_e32 v35, v36
	v_dual_ashrrev_i32 v28, 31, v28 :: v_dual_bitop2_b32 v23, s14, v23 bitop3:0x14
	v_dual_ashrrev_i32 v27, 31, v27 :: v_dual_bitop2_b32 v26, s15, v26 bitop3:0x14
	v_cmp_gt_i32_e64 s19, 0, v36
	v_not_b32_e32 v36, v37
	v_dual_ashrrev_i32 v34, 31, v34 :: v_dual_ashrrev_i32 v35, 31, v35
	s_delay_alu instid0(VALU_DEP_4)
	v_xor_b32_e32 v27, s16, v27
	v_bitop3_b32 v23, v23, v26, exec_lo bitop3:0x80
	v_not_b32_e32 v26, v24
	v_xor_b32_e32 v28, s17, v28
	v_cmp_gt_i32_e64 s20, 0, v37
	v_dual_ashrrev_i32 v36, 31, v36 :: v_dual_bitop2_b32 v35, s19, v35 bitop3:0x14
	v_cmp_gt_i32_e64 s14, 0, v24
	v_ashrrev_i32_e32 v24, 31, v26
	v_bitop3_b32 v23, v23, v28, v27 bitop3:0x80
	v_lshl_add_u32 v25, v25, 2, v12
	v_xor_b32_e32 v34, s18, v34
	v_xor_b32_e32 v26, s20, v36
	;; [unrolled: 1-line block ×3, first 2 shown]
	s_delay_alu instid0(VALU_DEP_3) | instskip(SKIP_3) | instid1(VALU_DEP_1)
	v_bitop3_b32 v27, v23, v35, v34 bitop3:0x80
	ds_load_b32 v23, v25 offset:32
	v_add_nc_u32_e32 v25, 32, v25
	; wave barrier
	v_bitop3_b32 v26, v27, v24, v26 bitop3:0x80
	v_mbcnt_lo_u32_b32 v24, v26, 0
	v_cmp_ne_u32_e64 s15, 0, v26
	s_delay_alu instid0(VALU_DEP_2) | instskip(SKIP_1) | instid1(SALU_CYCLE_1)
	v_cmp_eq_u32_e64 s14, 0, v24
	s_and_b32 s15, s15, s14
	s_and_saveexec_b32 s14, s15
	s_cbranch_execz .LBB1832_273
; %bb.272:                              ;   in Loop: Header=BB1832_269 Depth=1
	s_wait_dscnt 0x0
	v_bcnt_u32_b32 v26, v26, v23
	ds_store_b32 v25, v26
.LBB1832_273:                           ;   in Loop: Header=BB1832_269 Depth=1
	s_or_b32 exec_lo, exec_lo, s14
	v_cmp_ne_u16_e64 s14, 0x7fff, v101
	; wave barrier
	s_delay_alu instid0(VALU_DEP_1) | instskip(NEXT) | instid1(VALU_DEP_1)
	v_cndmask_b32_e64 v26, 0xffff8000, v101, s14
	v_and_b32_e32 v26, 0xffff, v26
	s_delay_alu instid0(VALU_DEP_1) | instskip(NEXT) | instid1(VALU_DEP_1)
	v_lshrrev_b32_e32 v26, v10, v26
	v_and_b32_e32 v27, v26, v29
	s_delay_alu instid0(VALU_DEP_1) | instskip(SKIP_1) | instid1(VALU_DEP_2)
	v_lshlrev_b32_e32 v35, 30, v27
	v_bitop3_b32 v26, v26, 1, v29 bitop3:0x80
	v_cmp_gt_i32_e64 s15, 0, v35
	s_delay_alu instid0(VALU_DEP_2) | instskip(NEXT) | instid1(VALU_DEP_1)
	v_add_co_u32 v26, s14, v26, -1
	v_cndmask_b32_e64 v34, 0, 1, s14
	s_delay_alu instid0(VALU_DEP_1) | instskip(SKIP_1) | instid1(VALU_DEP_1)
	v_cmp_ne_u32_e64 s14, 0, v34
	v_not_b32_e32 v34, v35
	v_dual_ashrrev_i32 v34, 31, v34 :: v_dual_lshlrev_b32 v36, 29, v27
	v_dual_lshlrev_b32 v37, 28, v27 :: v_dual_lshlrev_b32 v38, 27, v27
	v_dual_lshlrev_b32 v39, 26, v27 :: v_dual_lshlrev_b32 v48, 25, v27
	s_delay_alu instid0(VALU_DEP_3) | instskip(SKIP_1) | instid1(VALU_DEP_4)
	v_cmp_gt_i32_e64 s16, 0, v36
	v_not_b32_e32 v35, v36
	v_not_b32_e32 v36, v37
	v_lshl_add_u32 v28, v27, 3, v71
	v_lshlrev_b32_e32 v27, 24, v27
	v_cmp_gt_i32_e64 s17, 0, v37
	v_cmp_gt_i32_e64 s18, 0, v38
	v_not_b32_e32 v37, v38
	v_cmp_gt_i32_e64 s19, 0, v39
	v_not_b32_e32 v38, v39
	v_not_b32_e32 v39, v48
	v_dual_ashrrev_i32 v35, 31, v35 :: v_dual_bitop2_b32 v26, s14, v26 bitop3:0x14
	v_dual_ashrrev_i32 v36, 31, v36 :: v_dual_ashrrev_i32 v37, 31, v37
	v_xor_b32_e32 v34, s15, v34
	v_not_b32_e32 v49, v27
	s_delay_alu instid0(VALU_DEP_4) | instskip(NEXT) | instid1(VALU_DEP_4)
	v_dual_ashrrev_i32 v38, 31, v38 :: v_dual_bitop2_b32 v35, s16, v35 bitop3:0x14
	v_xor_b32_e32 v36, s17, v36
	s_delay_alu instid0(VALU_DEP_4) | instskip(SKIP_1) | instid1(VALU_DEP_4)
	v_bitop3_b32 v26, v26, v34, exec_lo bitop3:0x80
	v_cmp_gt_i32_e64 s14, 0, v48
	v_dual_ashrrev_i32 v38, 31, v39 :: v_dual_bitop2_b32 v34, s19, v38 bitop3:0x14
	v_cmp_gt_i32_e64 s15, 0, v27
	v_ashrrev_i32_e32 v27, 31, v49
	v_bitop3_b32 v26, v26, v36, v35 bitop3:0x80
	v_lshl_add_u32 v28, v28, 2, v12
	v_xor_b32_e32 v37, s18, v37
	v_xor_b32_e32 v35, s14, v38
	;; [unrolled: 1-line block ×3, first 2 shown]
	s_delay_alu instid0(VALU_DEP_3) | instskip(SKIP_3) | instid1(VALU_DEP_1)
	v_bitop3_b32 v34, v26, v34, v37 bitop3:0x80
	ds_load_b32 v26, v28 offset:32
	v_add_nc_u32_e32 v28, 32, v28
	; wave barrier
	v_bitop3_b32 v34, v34, v27, v35 bitop3:0x80
	v_mbcnt_lo_u32_b32 v27, v34, 0
	v_cmp_ne_u32_e64 s15, 0, v34
	s_delay_alu instid0(VALU_DEP_2) | instskip(SKIP_1) | instid1(SALU_CYCLE_1)
	v_cmp_eq_u32_e64 s14, 0, v27
	s_and_b32 s15, s15, s14
	s_and_saveexec_b32 s14, s15
	s_cbranch_execz .LBB1832_275
; %bb.274:                              ;   in Loop: Header=BB1832_269 Depth=1
	s_wait_dscnt 0x0
	v_bcnt_u32_b32 v34, v34, v26
	ds_store_b32 v28, v34
.LBB1832_275:                           ;   in Loop: Header=BB1832_269 Depth=1
	s_or_b32 exec_lo, exec_lo, s14
	v_cmp_ne_u16_e64 s14, 0x7fff, v103
	; wave barrier
	s_delay_alu instid0(VALU_DEP_1) | instskip(NEXT) | instid1(VALU_DEP_1)
	v_cndmask_b32_e64 v34, 0xffff8000, v103, s14
	v_and_b32_e32 v34, 0xffff, v34
	s_delay_alu instid0(VALU_DEP_1) | instskip(NEXT) | instid1(VALU_DEP_1)
	v_lshrrev_b32_e32 v34, v10, v34
	v_and_b32_e32 v35, v34, v29
	s_delay_alu instid0(VALU_DEP_1) | instskip(SKIP_1) | instid1(VALU_DEP_2)
	v_lshlrev_b32_e32 v37, 30, v35
	v_bitop3_b32 v29, v34, 1, v29 bitop3:0x80
	v_cmp_gt_i32_e64 s15, 0, v37
	s_delay_alu instid0(VALU_DEP_2) | instskip(NEXT) | instid1(VALU_DEP_1)
	v_add_co_u32 v29, s14, v29, -1
	v_cndmask_b32_e64 v36, 0, 1, s14
	s_delay_alu instid0(VALU_DEP_1) | instskip(SKIP_1) | instid1(VALU_DEP_1)
	v_cmp_ne_u32_e64 s14, 0, v36
	v_not_b32_e32 v36, v37
	v_dual_ashrrev_i32 v36, 31, v36 :: v_dual_lshlrev_b32 v38, 29, v35
	v_dual_lshlrev_b32 v39, 28, v35 :: v_dual_lshlrev_b32 v48, 27, v35
	v_dual_lshlrev_b32 v49, 26, v35 :: v_dual_lshlrev_b32 v50, 25, v35
	s_delay_alu instid0(VALU_DEP_3) | instskip(SKIP_1) | instid1(VALU_DEP_4)
	v_cmp_gt_i32_e64 s16, 0, v38
	v_not_b32_e32 v37, v38
	v_not_b32_e32 v38, v39
	v_lshl_add_u32 v34, v35, 3, v71
	v_lshlrev_b32_e32 v35, 24, v35
	v_cmp_gt_i32_e64 s17, 0, v39
	v_cmp_gt_i32_e64 s18, 0, v48
	v_not_b32_e32 v39, v48
	v_cmp_gt_i32_e64 s19, 0, v49
	v_not_b32_e32 v48, v49
	v_not_b32_e32 v49, v50
	v_dual_ashrrev_i32 v38, 31, v38 :: v_dual_bitop2_b32 v29, s14, v29 bitop3:0x14
	v_dual_ashrrev_i32 v37, 31, v37 :: v_dual_ashrrev_i32 v39, 31, v39
	v_xor_b32_e32 v36, s15, v36
	v_not_b32_e32 v51, v35
	s_delay_alu instid0(VALU_DEP_3) | instskip(SKIP_1) | instid1(VALU_DEP_4)
	v_dual_ashrrev_i32 v48, 31, v48 :: v_dual_bitop2_b32 v37, s16, v37 bitop3:0x14
	v_xor_b32_e32 v38, s17, v38
	v_bitop3_b32 v29, v29, v36, exec_lo bitop3:0x80
	v_cmp_gt_i32_e64 s14, 0, v50
	s_delay_alu instid0(VALU_DEP_4)
	v_dual_ashrrev_i32 v48, 31, v49 :: v_dual_bitop2_b32 v36, s19, v48 bitop3:0x14
	v_cmp_gt_i32_e64 s15, 0, v35
	v_ashrrev_i32_e32 v35, 31, v51
	v_bitop3_b32 v29, v29, v38, v37 bitop3:0x80
	v_lshl_add_u32 v37, v34, 2, v12
	v_xor_b32_e32 v39, s18, v39
	v_xor_b32_e32 v34, s14, v48
	;; [unrolled: 1-line block ×3, first 2 shown]
	s_delay_alu instid0(VALU_DEP_3) | instskip(SKIP_3) | instid1(VALU_DEP_2)
	v_bitop3_b32 v36, v29, v36, v39 bitop3:0x80
	ds_load_b32 v29, v37 offset:32
	; wave barrier
	v_bitop3_b32 v36, v36, v35, v34 bitop3:0x80
	v_add_nc_u32_e32 v35, 32, v37
	v_mbcnt_lo_u32_b32 v34, v36, 0
	v_cmp_ne_u32_e64 s15, 0, v36
	s_delay_alu instid0(VALU_DEP_2) | instskip(SKIP_1) | instid1(SALU_CYCLE_1)
	v_cmp_eq_u32_e64 s14, 0, v34
	s_and_b32 s15, s15, s14
	s_and_saveexec_b32 s14, s15
	s_cbranch_execz .LBB1832_277
; %bb.276:                              ;   in Loop: Header=BB1832_269 Depth=1
	s_wait_dscnt 0x0
	v_bcnt_u32_b32 v36, v36, v29
	ds_store_b32 v35, v36
.LBB1832_277:                           ;   in Loop: Header=BB1832_269 Depth=1
	s_or_b32 exec_lo, exec_lo, s14
	; wave barrier
	s_wait_dscnt 0x0
	s_barrier_signal -1
	s_barrier_wait -1
	ds_load_b32 v37, v31
	ds_load_b32 v38, v64
	;; [unrolled: 1-line block ×8, first 2 shown]
	s_wait_dscnt 0x6
	v_add_nc_u32_e32 v52, v38, v37
	s_wait_dscnt 0x4
	s_delay_alu instid0(VALU_DEP_1) | instskip(SKIP_1) | instid1(VALU_DEP_1)
	v_add3_u32 v52, v52, v39, v48
	s_wait_dscnt 0x2
	v_add3_u32 v52, v52, v49, v50
	s_wait_dscnt 0x0
	s_delay_alu instid0(VALU_DEP_1) | instskip(NEXT) | instid1(VALU_DEP_1)
	v_add3_u32 v51, v52, v36, v51
	v_mov_b32_dpp v52, v51 row_shr:1 row_mask:0xf bank_mask:0xf
	s_delay_alu instid0(VALU_DEP_1) | instskip(NEXT) | instid1(VALU_DEP_1)
	v_cndmask_b32_e64 v52, v52, 0, vcc_lo
	v_add_nc_u32_e32 v51, v52, v51
	s_delay_alu instid0(VALU_DEP_1) | instskip(NEXT) | instid1(VALU_DEP_1)
	v_mov_b32_dpp v52, v51 row_shr:2 row_mask:0xf bank_mask:0xf
	v_cndmask_b32_e64 v52, 0, v52, s0
	s_delay_alu instid0(VALU_DEP_1) | instskip(NEXT) | instid1(VALU_DEP_1)
	v_add_nc_u32_e32 v51, v51, v52
	v_mov_b32_dpp v52, v51 row_shr:4 row_mask:0xf bank_mask:0xf
	s_delay_alu instid0(VALU_DEP_1) | instskip(NEXT) | instid1(VALU_DEP_1)
	v_cndmask_b32_e64 v52, 0, v52, s1
	v_add_nc_u32_e32 v51, v51, v52
	s_delay_alu instid0(VALU_DEP_1) | instskip(NEXT) | instid1(VALU_DEP_1)
	v_mov_b32_dpp v52, v51 row_shr:8 row_mask:0xf bank_mask:0xf
	v_cndmask_b32_e64 v52, 0, v52, s3
	s_delay_alu instid0(VALU_DEP_1) | instskip(SKIP_3) | instid1(VALU_DEP_1)
	v_add_nc_u32_e32 v51, v51, v52
	ds_swizzle_b32 v52, v51 offset:swizzle(BROADCAST,32,15)
	s_wait_dscnt 0x0
	v_cndmask_b32_e64 v52, v52, 0, s4
	v_add_nc_u32_e32 v51, v51, v52
	s_and_saveexec_b32 s14, s5
; %bb.278:                              ;   in Loop: Header=BB1832_269 Depth=1
	ds_store_b32 v81, v51
; %bb.279:                              ;   in Loop: Header=BB1832_269 Depth=1
	s_or_b32 exec_lo, exec_lo, s14
	s_wait_dscnt 0x0
	s_barrier_signal -1
	s_barrier_wait -1
	s_and_saveexec_b32 s14, s6
	s_cbranch_execz .LBB1832_281
; %bb.280:                              ;   in Loop: Header=BB1832_269 Depth=1
	ds_load_b32 v52, v82
	s_wait_dscnt 0x0
	v_mov_b32_dpp v53, v52 row_shr:1 row_mask:0xf bank_mask:0xf
	s_delay_alu instid0(VALU_DEP_1) | instskip(NEXT) | instid1(VALU_DEP_1)
	v_cndmask_b32_e64 v53, v53, 0, s11
	v_add_nc_u32_e32 v52, v53, v52
	s_delay_alu instid0(VALU_DEP_1) | instskip(NEXT) | instid1(VALU_DEP_1)
	v_mov_b32_dpp v53, v52 row_shr:2 row_mask:0xf bank_mask:0xf
	v_cndmask_b32_e64 v53, 0, v53, s12
	s_delay_alu instid0(VALU_DEP_1) | instskip(NEXT) | instid1(VALU_DEP_1)
	v_add_nc_u32_e32 v52, v52, v53
	v_mov_b32_dpp v53, v52 row_shr:4 row_mask:0xf bank_mask:0xf
	s_delay_alu instid0(VALU_DEP_1) | instskip(NEXT) | instid1(VALU_DEP_1)
	v_cndmask_b32_e64 v53, 0, v53, s13
	v_add_nc_u32_e32 v52, v52, v53
	ds_store_b32 v82, v52
.LBB1832_281:                           ;   in Loop: Header=BB1832_269 Depth=1
	s_or_b32 exec_lo, exec_lo, s14
	v_mov_b32_e32 v52, 0
	s_wait_dscnt 0x0
	s_barrier_signal -1
	s_barrier_wait -1
	s_and_saveexec_b32 s14, s7
; %bb.282:                              ;   in Loop: Header=BB1832_269 Depth=1
	ds_load_b32 v52, v84
; %bb.283:                              ;   in Loop: Header=BB1832_269 Depth=1
	s_or_b32 exec_lo, exec_lo, s14
	s_wait_dscnt 0x0
	v_add_nc_u32_e32 v51, v52, v51
	s_mov_b32 s16, -1
	s_mov_b32 s15, exec_lo
                                        ; implicit-def: $vgpr112
	v_add_nc_u32_e32 v10, 8, v10
	ds_bpermute_b32 v51, v80, v51
	s_wait_dscnt 0x0
	v_cndmask_b32_e64 v51, v51, v52, s2
	s_delay_alu instid0(VALU_DEP_1) | instskip(NEXT) | instid1(VALU_DEP_1)
	v_cndmask_b32_e64 v51, v51, 0, s10
	v_add_nc_u32_e32 v37, v51, v37
	s_delay_alu instid0(VALU_DEP_1) | instskip(NEXT) | instid1(VALU_DEP_1)
	v_add_nc_u32_e32 v38, v37, v38
	v_add_nc_u32_e32 v39, v38, v39
	s_delay_alu instid0(VALU_DEP_1) | instskip(NEXT) | instid1(VALU_DEP_1)
	v_add_nc_u32_e32 v48, v39, v48
	v_add_nc_u32_e32 v49, v48, v49
	s_delay_alu instid0(VALU_DEP_1)
	v_add_nc_u32_e32 v50, v49, v50
	ds_store_b32 v31, v51
	ds_store_b32 v64, v37
	;; [unrolled: 1-line block ×3, first 2 shown]
	v_dual_mov_b32 v37, v1 :: v_dual_add_nc_u32 v36, v50, v36
	ds_store_b32 v66, v39
	ds_store_b32 v67, v48
	;; [unrolled: 1-line block ×5, first 2 shown]
	s_wait_dscnt 0x0
	s_barrier_signal -1
	s_barrier_wait -1
	ds_load_b32 v22, v22
	ds_load_b32 v25, v25
	;; [unrolled: 1-line block ×4, first 2 shown]
	v_dual_mov_b32 v39, v1 :: v_dual_mov_b32 v35, v1
	s_wait_dscnt 0x0
	v_add_nc_u32_e32 v0, v22, v0
	v_add3_u32 v38, v24, v23, v25
	v_add3_u32 v36, v27, v26, v28
	;; [unrolled: 1-line block ×3, first 2 shown]
                                        ; implicit-def: $vgpr22_vgpr23_vgpr24_vgpr25_vgpr26_vgpr27_vgpr28_vgpr29
	s_delay_alu instid0(VALU_DEP_4) | instskip(NEXT) | instid1(VALU_DEP_4)
	v_lshl_add_u64 v[54:55], v[0:1], 1, v[12:13]
	v_lshl_add_u64 v[52:53], v[38:39], 1, v[12:13]
	s_delay_alu instid0(VALU_DEP_4) | instskip(NEXT) | instid1(VALU_DEP_4)
	v_lshl_add_u64 v[50:51], v[36:37], 1, v[12:13]
	v_lshl_add_u64 v[48:49], v[34:35], 1, v[12:13]
                                        ; implicit-def: $vgpr35
                                        ; implicit-def: $vgpr37
                                        ; implicit-def: $vgpr39
	v_cmpx_lt_u32_e64 v10, v11
	s_cbranch_execz .LBB1832_268
; %bb.284:                              ;   in Loop: Header=BB1832_269 Depth=1
	v_mad_nc_u64_u32 v[22:23], v0, 6, v[54:55]
	v_mad_nc_u64_u32 v[24:25], v38, 6, v[52:53]
	;; [unrolled: 1-line block ×4, first 2 shown]
	s_barrier_signal -1
	s_barrier_wait -1
	ds_store_b16 v54, v100
	ds_store_b16 v52, v102
	;; [unrolled: 1-line block ×4, first 2 shown]
	s_wait_dscnt 0x0
	s_barrier_signal -1
	s_barrier_wait -1
	ds_load_u16 v112, v33
	ds_load_u16 v35, v85
	ds_load_u16 v37, v86
	ds_load_u16 v39, v87
	s_wait_dscnt 0x0
	s_barrier_signal -1
	s_barrier_wait -1
	ds_store_b64 v22, v[14:15]
	ds_store_b64 v24, v[16:17]
	;; [unrolled: 1-line block ×4, first 2 shown]
	s_wait_dscnt 0x0
	s_barrier_signal -1
	s_barrier_wait -1
	ds_load_b64 v[22:23], v83
	ds_load_b64 v[24:25], v96
	;; [unrolled: 1-line block ×4, first 2 shown]
	v_add_nc_u32_e32 v99, -8, v99
	s_xor_b32 s16, exec_lo, -1
	s_wait_dscnt 0x0
	s_barrier_signal -1
	s_barrier_wait -1
	s_branch .LBB1832_268
.LBB1832_285:
	flat_load_b64 v[34:35], v[0:1]
	s_wait_xcnt 0x0
	s_or_b32 exec_lo, exec_lo, s7
                                        ; implicit-def: $vgpr36_vgpr37
	s_and_saveexec_b32 s7, s0
	s_cbranch_execz .LBB1832_163
.LBB1832_286:
	flat_load_b64 v[36:37], v[0:1] offset:256
	s_wait_xcnt 0x0
	s_or_b32 exec_lo, exec_lo, s7
                                        ; implicit-def: $vgpr38_vgpr39
	s_and_saveexec_b32 s0, s1
	s_cbranch_execz .LBB1832_164
.LBB1832_287:
	flat_load_b64 v[38:39], v[0:1] offset:512
	s_wait_xcnt 0x0
	s_or_b32 exec_lo, exec_lo, s0
                                        ; implicit-def: $vgpr48_vgpr49
	s_and_saveexec_b32 s0, s2
	s_cbranch_execz .LBB1832_165
.LBB1832_288:
	flat_load_b64 v[48:49], v[0:1] offset:768
	s_wait_xcnt 0x0
	s_or_b32 exec_lo, exec_lo, s0
                                        ; implicit-def: $vgpr50_vgpr51
	s_and_saveexec_b32 s0, s3
	s_cbranch_execz .LBB1832_166
.LBB1832_289:
	flat_load_b64 v[50:51], v[0:1] offset:1024
	s_wait_xcnt 0x0
	s_or_b32 exec_lo, exec_lo, s0
                                        ; implicit-def: $vgpr52_vgpr53
	s_and_saveexec_b32 s0, s4
	s_cbranch_execz .LBB1832_167
.LBB1832_290:
	flat_load_b64 v[52:53], v[0:1] offset:1280
	s_wait_xcnt 0x0
	s_or_b32 exec_lo, exec_lo, s0
                                        ; implicit-def: $vgpr54_vgpr55
	s_and_saveexec_b32 s0, s5
	s_cbranch_execz .LBB1832_168
.LBB1832_291:
	flat_load_b64 v[54:55], v[0:1] offset:1536
	s_wait_xcnt 0x0
	s_or_b32 exec_lo, exec_lo, s0
                                        ; implicit-def: $vgpr64_vgpr65
	s_and_saveexec_b32 s0, s6
	s_cbranch_execnz .LBB1832_169
	s_branch .LBB1832_170
.LBB1832_292:
	flat_store_b64 v[0:1], v[22:23]
	s_wait_xcnt 0x0
	s_or_b32 exec_lo, exec_lo, s7
	s_and_saveexec_b32 s7, s0
	s_cbranch_execz .LBB1832_244
.LBB1832_293:
	flat_store_b64 v[0:1], v[24:25] offset:2048
	s_wait_xcnt 0x0
	s_or_b32 exec_lo, exec_lo, s7
	s_and_saveexec_b32 s0, s1
	s_cbranch_execz .LBB1832_245
.LBB1832_294:
	flat_store_b64 v[0:1], v[18:19] offset:4096
	s_wait_xcnt 0x0
	s_or_b32 exec_lo, exec_lo, s0
	s_and_saveexec_b32 s0, s2
	s_cbranch_execz .LBB1832_246
.LBB1832_295:
	flat_store_b64 v[0:1], v[20:21] offset:6144
	s_wait_xcnt 0x0
	s_or_b32 exec_lo, exec_lo, s0
	s_and_saveexec_b32 s0, s3
	s_cbranch_execz .LBB1832_247
.LBB1832_296:
	flat_store_b64 v[0:1], v[14:15] offset:8192
	s_wait_xcnt 0x0
	s_or_b32 exec_lo, exec_lo, s0
	s_and_saveexec_b32 s0, s4
	s_cbranch_execz .LBB1832_248
.LBB1832_297:
	flat_store_b64 v[0:1], v[16:17] offset:10240
	s_wait_xcnt 0x0
	s_or_b32 exec_lo, exec_lo, s0
	s_and_saveexec_b32 s0, s5
	s_cbranch_execz .LBB1832_249
.LBB1832_298:
	flat_store_b64 v[0:1], v[10:11] offset:12288
	s_wait_xcnt 0x0
	s_or_b32 exec_lo, exec_lo, s0
	s_and_saveexec_b32 s0, s6
	s_cbranch_execnz .LBB1832_250
	s_branch .LBB1832_251
.LBB1832_299:
	s_or_b32 exec_lo, exec_lo, s26
	v_mad_nc_u64_u32 v[0:1], v0, 6, v[54:55]
	v_mad_nc_u64_u32 v[10:11], v38, 6, v[52:53]
	v_lshl_add_u32 v26, v30, 1, v12
	v_mad_nc_u64_u32 v[12:13], v36, 6, v[50:51]
	v_mad_nc_u64_u32 v[24:25], v34, 6, v[48:49]
	v_mul_u32_u24_e32 v1, 6, v30
	s_barrier_signal -1
	s_barrier_wait -1
	ds_store_b16 v54, v100
	ds_store_b16 v52, v102
	;; [unrolled: 1-line block ×4, first 2 shown]
	s_wait_dscnt 0x0
	s_barrier_signal -1
	s_barrier_wait -1
	ds_load_u16 v23, v26
	ds_load_u16 v22, v26 offset:512
	ds_load_u16 v5, v26 offset:1024
	ds_load_u16 v4, v26 offset:1536
	s_wait_dscnt 0x0
	s_barrier_signal -1
	s_barrier_wait -1
	ds_store_b64 v0, v[14:15]
	ds_store_b64 v10, v[16:17]
	;; [unrolled: 1-line block ×4, first 2 shown]
	v_dual_mov_b32 v33, 0 :: v_dual_add_nc_u32 v0, v26, v1
	s_wait_dscnt 0x0
	s_barrier_signal -1
	s_barrier_wait -1
	ds_load_2addr_stride64_b64 v[14:17], v0 offset1:4
	ds_load_2addr_stride64_b64 v[10:13], v0 offset0:8 offset1:12
	v_lshl_add_u64 v[0:1], v[8:9], 1, v[2:3]
	s_set_vgpr_msb 4                        ;  msbs: dst=0 src0=0 src1=1 src2=0
	v_cmp_lt_u32_e32 vcc_lo, v32, v0 /*v256*/
	s_wait_dscnt 0x0
	s_barrier_signal -1
	s_barrier_wait -1
	v_lshl_add_u64 v[0:1], v[32:33], 1, v[0:1]
	s_and_saveexec_b32 s1, vcc_lo
	s_set_vgpr_msb 0                        ;  msbs: dst=0 src0=0 src1=0 src2=0
	s_cbranch_execz .LBB1832_301
; %bb.300:
	v_cmp_lt_i16_e64 s0, -1, v23
	s_delay_alu instid0(VALU_DEP_1) | instskip(NEXT) | instid1(VALU_DEP_1)
	v_cndmask_b32_e64 v2, 0xffff8000, -1, s0
	v_xor_b32_e32 v2, v2, v23
	flat_store_b16 v[0:1], v2
.LBB1832_301:
	s_wait_xcnt 0x0
	s_or_b32 exec_lo, exec_lo, s1
	v_add_nc_u32_e32 v2, 0x100, v32
	s_set_vgpr_msb 4                        ;  msbs: dst=0 src0=0 src1=1 src2=0
	s_delay_alu instid0(VALU_DEP_1)
	v_cmp_lt_u32_e64 s0, v2, v0 /*v256*/
	s_and_saveexec_b32 s2, s0
	s_set_vgpr_msb 0                        ;  msbs: dst=0 src0=0 src1=0 src2=0
	s_cbranch_execz .LBB1832_303
; %bb.302:
	v_cmp_lt_i16_e64 s1, -1, v22
	s_delay_alu instid0(VALU_DEP_1) | instskip(NEXT) | instid1(VALU_DEP_1)
	v_cndmask_b32_e64 v2, 0xffff8000, -1, s1
	v_xor_b32_e32 v2, v2, v22
	flat_store_b16 v[0:1], v2 offset:512
.LBB1832_303:
	s_wait_xcnt 0x0
	s_or_b32 exec_lo, exec_lo, s2
	v_add_nc_u32_e32 v2, 0x200, v32
	s_set_vgpr_msb 4                        ;  msbs: dst=0 src0=0 src1=1 src2=0
	s_delay_alu instid0(VALU_DEP_1)
	v_cmp_lt_u32_e64 s1, v2, v0 /*v256*/
	s_and_saveexec_b32 s3, s1
	s_set_vgpr_msb 0                        ;  msbs: dst=0 src0=0 src1=0 src2=0
	s_cbranch_execz .LBB1832_305
; %bb.304:
	v_cmp_lt_i16_e64 s2, -1, v5
	s_delay_alu instid0(VALU_DEP_1) | instskip(NEXT) | instid1(VALU_DEP_1)
	v_cndmask_b32_e64 v2, 0xffff8000, -1, s2
	v_xor_b32_e32 v2, v2, v5
	flat_store_b16 v[0:1], v2 offset:1024
.LBB1832_305:
	;; [unrolled: 16-line block ×3, first 2 shown]
	s_wait_xcnt 0x0
	s_or_b32 exec_lo, exec_lo, s4
	v_lshl_add_u64 v[0:1], v[8:9], 3, v[6:7]
	s_delay_alu instid0(VALU_DEP_1)
	v_lshl_add_u64 v[0:1], v[32:33], 3, v[0:1]
	s_and_saveexec_b32 s3, vcc_lo
	s_cbranch_execnz .LBB1832_340
; %bb.308:
	s_or_b32 exec_lo, exec_lo, s3
	s_and_saveexec_b32 s3, s0
	s_cbranch_execnz .LBB1832_341
.LBB1832_309:
	s_or_b32 exec_lo, exec_lo, s3
	s_and_saveexec_b32 s0, s1
	s_cbranch_execnz .LBB1832_342
.LBB1832_310:
	s_or_b32 exec_lo, exec_lo, s0
	s_and_saveexec_b32 s0, s2
	s_cbranch_execz .LBB1832_312
.LBB1832_311:
	flat_store_b64 v[0:1], v[12:13] offset:6144
.LBB1832_312:
	s_wait_xcnt 0x0
	s_or_b32 exec_lo, exec_lo, s0
                                        ; implicit-def: $vgpr256
                                        ; implicit-def: $vgpr8
                                        ; implicit-def: $vgpr10
                                        ; implicit-def: $vgpr11
                                        ; implicit-def: $vgpr0_vgpr1
                                        ; implicit-def: $vgpr2_vgpr3
                                        ; implicit-def: $vgpr4_vgpr5
                                        ; implicit-def: $vgpr6_vgpr7
                                        ; implicit-def: $vgpr12_vgpr13
                                        ; implicit-def: $vgpr9
                                        ; implicit-def: $vgpr14
                                        ; implicit-def: $vgpr30
                                        ; implicit-def: $vgpr33
.LBB1832_313:
	s_and_not1_saveexec_b32 s0, s24
	s_cbranch_execz .LBB1832_372
; %bb.314:
	s_load_b64 s[0:1], s[8:9], 0x0
	s_bfe_u32 s3, ttmp6, 0x4000c
	s_bfe_u32 s5, ttmp6, 0x40010
	s_and_b32 s4, ttmp7, 0xffff
	s_add_co_i32 s3, s3, 1
	s_add_co_i32 s5, s5, 1
	s_and_b32 s2, ttmp6, 15
	s_bfe_u32 s6, ttmp6, 0x40004
	s_mul_i32 s3, ttmp9, s3
	s_mul_i32 s5, s4, s5
	s_add_co_i32 s2, s2, s3
	s_add_co_i32 s6, s6, s5
	s_cmp_eq_u32 s23, 0
	s_cselect_b32 s2, ttmp9, s2
	s_cselect_b32 s3, s4, s6
	s_wait_kmcnt 0x0
	s_cmp_lt_u32 s2, s0
	s_cselect_b32 s0, 12, 18
	s_cmp_lt_u32 s3, s1
	s_mov_b32 s1, 0
	s_cselect_b32 s2, 14, 20
	s_mov_b32 s3, s1
	s_add_nc_u64 s[0:1], s[8:9], s[0:1]
	s_add_nc_u64 s[2:3], s[8:9], s[2:3]
	s_clause 0x1
	s_load_u16 s0, s[0:1], 0x0
	s_nop 0
	s_load_u16 s2, s[2:3], 0x0
	s_wait_kmcnt 0x0
	v_mad_u32_u24 v9, v14, s2, v9
	s_delay_alu instid0(VALU_DEP_1)
	v_mad_u32 v14, v9, s0, v30
	v_mov_b32_e32 v9, 0
	s_mov_b32 s0, exec_lo
	s_set_vgpr_msb 4                        ;  msbs: dst=0 src0=0 src1=1 src2=0
	v_cmpx_lt_u32_e32 0x100, v0 /*v256*/
	s_xor_b32 s20, exec_lo, s0
	s_set_vgpr_msb 0                        ;  msbs: dst=0 src0=0 src1=0 src2=0
	s_cbranch_execz .LBB1832_352
; %bb.315:
	v_lshl_add_u64 v[16:17], v[8:9], 1, v[0:1]
	s_delay_alu instid0(VALU_DEP_4) | instskip(SKIP_2) | instid1(VALU_DEP_3)
	v_dual_lshlrev_b32 v0, 1, v14 :: v_dual_lshlrev_b32 v18, 1, v33
	v_dual_mov_b32 v19, v9 :: v_dual_mov_b32 v1, v9
	v_mov_b32_e32 v15, 0x7fff
	v_and_b32_e32 v0, 0xffffffc0, v0
	s_delay_alu instid0(VALU_DEP_3) | instskip(SKIP_1) | instid1(VALU_DEP_3)
	v_add_nc_u64_e32 v[16:17], v[16:17], v[18:19]
	v_mov_b32_e32 v18, 0x7fff
	v_or_b32_e32 v19, v33, v0
	s_delay_alu instid0(VALU_DEP_3) | instskip(SKIP_1) | instid1(VALU_DEP_2)
	v_lshl_add_u64 v[16:17], v[0:1], 1, v[16:17]
	s_set_vgpr_msb 4                        ;  msbs: dst=0 src0=0 src1=1 src2=0
	v_cmp_lt_u32_e32 vcc_lo, v19, v0 /*v256*/
	s_and_saveexec_b32 s0, vcc_lo
	s_set_vgpr_msb 0                        ;  msbs: dst=0 src0=0 src1=0 src2=0
	s_cbranch_execz .LBB1832_317
; %bb.316:
	flat_load_u16 v18, v[16:17]
.LBB1832_317:
	s_wait_xcnt 0x0
	s_or_b32 exec_lo, exec_lo, s0
	v_or_b32_e32 v19, 32, v19
	s_set_vgpr_msb 4                        ;  msbs: dst=0 src0=0 src1=1 src2=0
	s_delay_alu instid0(VALU_DEP_1)
	v_cmp_lt_u32_e64 s0, v19, v0 /*v256*/
	s_and_saveexec_b32 s1, s0
	s_set_vgpr_msb 0                        ;  msbs: dst=0 src0=0 src1=0 src2=0
	s_cbranch_execz .LBB1832_319
; %bb.318:
	flat_load_u16 v15, v[16:17] offset:64
.LBB1832_319:
	s_wait_xcnt 0x0
	s_or_b32 exec_lo, exec_lo, s1
	v_lshl_add_u64 v[4:5], v[8:9], 3, v[4:5]
	v_dual_mov_b32 v17, 0 :: v_dual_lshlrev_b32 v16, 3, v33
	v_mov_b64_e32 v[22:23], 0
	v_mov_b64_e32 v[20:21], 0
	s_delay_alu instid0(VALU_DEP_3) | instskip(NEXT) | instid1(VALU_DEP_1)
	v_add_nc_u64_e32 v[4:5], v[4:5], v[16:17]
	v_lshl_add_u64 v[0:1], v[0:1], 3, v[4:5]
	s_and_saveexec_b32 s1, vcc_lo
	s_cbranch_execz .LBB1832_321
; %bb.320:
	flat_load_b64 v[20:21], v[0:1]
.LBB1832_321:
	s_wait_xcnt 0x0
	s_or_b32 exec_lo, exec_lo, s1
	s_and_saveexec_b32 s1, s0
	s_cbranch_execz .LBB1832_323
; %bb.322:
	flat_load_b64 v[22:23], v[0:1] offset:256
.LBB1832_323:
	s_wait_xcnt 0x0
	s_or_b32 exec_lo, exec_lo, s1
	s_wait_loadcnt_dscnt 0x0
	v_cmp_lt_i16_e32 vcc_lo, -1, v18
	v_lshl_add_u32 v4, v30, 5, v12
	s_get_pc_i64 s[0:1]
	s_add_nc_u64 s[0:1], s[0:1], _ZN7rocprim17ROCPRIM_400000_NS16block_radix_sortI6__halfLj256ELj2ElLj1ELj1ELj8ELNS0_26block_radix_rank_algorithmE2ELNS0_18block_padding_hintE2ELNS0_4arch9wavefront6targetE0EE19radix_bits_per_passE@rel64+4
	v_cmp_lt_u32_e64 s7, 31, v30
	s_load_b32 s21, s[0:1], 0x0
	v_cndmask_b32_e64 v0, -1, 0xffff8000, vcc_lo
	v_cmp_lt_i16_e32 vcc_lo, -1, v15
	v_dual_add_nc_u32 v32, 40, v4 :: v_dual_add_nc_u32 v34, 44, v4
	v_dual_add_nc_u32 v35, 48, v4 :: v_dual_add_nc_u32 v36, 52, v4
	s_delay_alu instid0(VALU_DEP_4) | instskip(SKIP_4) | instid1(VALU_DEP_4)
	v_xor_b32_e32 v66, v0, v18
	v_and_b32_e32 v0, 0x3e0, v30
	v_cndmask_b32_e64 v1, -1, 0xffff8000, vcc_lo
	v_dual_add_nc_u32 v38, 60, v4 :: v_dual_lshrrev_b32 v39, 5, v14
	v_add_nc_u32_e32 v31, 36, v4
	v_min_u32_e32 v0, 0xe0, v0
	s_delay_alu instid0(VALU_DEP_4) | instskip(SKIP_2) | instid1(VALU_DEP_4)
	v_dual_add_nc_u32 v15, 32, v4 :: v_dual_bitop2_b32 v25, v1, v15 bitop3:0x14
	v_dual_add_nc_u32 v37, 56, v4 :: v_dual_bitop2_b32 v1, 15, v33 bitop3:0x40
	v_and_b32_e32 v4, 16, v33
	v_or_b32_e32 v0, 31, v0
	v_cmp_eq_u32_e64 s8, 0, v30
	s_delay_alu instid0(VALU_DEP_4)
	v_cmp_eq_u32_e32 vcc_lo, 0, v1
	s_wait_xcnt 0x0
	v_cmp_lt_u32_e64 s0, 1, v1
	v_cmp_lt_u32_e64 s1, 3, v1
	;; [unrolled: 1-line block ×3, first 2 shown]
	v_sub_co_u32 v1, s3, v33, 1
	v_cmp_eq_u32_e64 s5, v30, v0
	v_lshrrev_b32_e32 v0, 3, v30
	v_cmp_eq_u32_e64 s4, 0, v4
	v_lshlrev_b32_e32 v4, 1, v30
	v_cmp_gt_i32_e64 s6, 0, v1
	v_lshl_add_u32 v50, v30, 2, v12
	v_and_b32_e32 v0, 0x7c, v0
	s_mov_b32 s23, 0
	v_and_or_b32 v4, 0x7c0, v4, v33
	v_cndmask_b32_e64 v1, v1, v33, s6
	v_cmp_gt_u32_e64 s6, 8, v30
	v_dual_add_nc_u32 v49, v12, v0 :: v_dual_bitop2_b32 v0, 7, v33 bitop3:0x40
	s_delay_alu instid0(VALU_DEP_4) | instskip(SKIP_2) | instid1(VALU_DEP_4)
	v_lshl_add_u32 v33, v4, 1, v12
	v_mul_u32_u24_e32 v4, 6, v4
	v_dual_mov_b32 v1, 0 :: v_dual_lshlrev_b32 v48, 2, v1
	v_dual_add_nc_u32 v52, -4, v49 :: v_dual_sub_nc_u32 v55, v11, v10
	s_delay_alu instid0(VALU_DEP_3)
	v_add_nc_u32_e32 v51, v33, v4
	v_mov_b64_e32 v[4:5], 0
	v_cmp_eq_u32_e64 s9, 0, v0
	v_cmp_lt_u32_e64 s10, 1, v0
	v_cmp_lt_u32_e64 s11, 3, v0
	v_add_nc_u32_e32 v53, 64, v33
	v_add_nc_u32_e32 v54, 0x100, v51
	s_wait_storecnt 0x0
	s_barrier_signal -1
	s_barrier_wait -1
	s_branch .LBB1832_325
.LBB1832_324:                           ;   in Loop: Header=BB1832_325 Depth=1
	s_or_b32 exec_lo, exec_lo, s13
	s_delay_alu instid0(SALU_CYCLE_1) | instskip(NEXT) | instid1(SALU_CYCLE_1)
	s_and_b32 s12, exec_lo, s14
	s_or_b32 s23, s12, s23
	s_delay_alu instid0(SALU_CYCLE_1)
	s_and_not1_b32 exec_lo, exec_lo, s23
	s_cbranch_execz .LBB1832_343
.LBB1832_325:                           ; =>This Inner Loop Header: Depth=1
	v_mov_b32_e32 v64, v66
	s_wait_kmcnt 0x0
	v_min_u32_e32 v16, s21, v55
	ds_store_b64 v15, v[4:5]
	ds_store_b64 v32, v[4:5]
	;; [unrolled: 1-line block ×4, first 2 shown]
	s_wait_dscnt 0x0
	v_cmp_ne_u16_e64 s12, 0x7fff, v64
	v_lshlrev_b32_e64 v24, v16, -1
	s_barrier_signal -1
	s_barrier_wait -1
	s_delay_alu instid0(VALU_DEP_2) | instskip(NEXT) | instid1(VALU_DEP_1)
	v_cndmask_b32_e64 v0, 0xffff8000, v64, s12
	; wave barrier
	v_and_b32_e32 v0, 0xffff, v0
	s_delay_alu instid0(VALU_DEP_1) | instskip(NEXT) | instid1(VALU_DEP_1)
	v_lshrrev_b32_e32 v0, v10, v0
	v_bitop3_b32 v16, v0, 1, v24 bitop3:0x40
	v_bitop3_b32 v0, v0, v24, v0 bitop3:0x30
	s_delay_alu instid0(VALU_DEP_2) | instskip(NEXT) | instid1(VALU_DEP_1)
	v_add_co_u32 v16, s12, v16, -1
	v_cndmask_b32_e64 v17, 0, 1, s12
	s_delay_alu instid0(VALU_DEP_3) | instskip(SKIP_2) | instid1(VALU_DEP_4)
	v_dual_lshlrev_b32 v18, 30, v0 :: v_dual_lshlrev_b32 v19, 29, v0
	v_dual_lshlrev_b32 v26, 28, v0 :: v_dual_lshlrev_b32 v27, 27, v0
	v_lshlrev_b32_e32 v28, 26, v0
	v_cmp_ne_u32_e64 s12, 0, v17
	s_delay_alu instid0(VALU_DEP_4)
	v_not_b32_e32 v17, v18
	v_cmp_gt_i32_e64 s13, 0, v18
	v_cmp_gt_i32_e64 s14, 0, v19
	v_not_b32_e32 v18, v19
	v_not_b32_e32 v19, v26
	v_dual_ashrrev_i32 v17, 31, v17 :: v_dual_lshlrev_b32 v29, 25, v0
	v_lshlrev_b32_e32 v65, 24, v0
	v_cmp_gt_i32_e64 s15, 0, v26
	v_cmp_gt_i32_e64 s16, 0, v27
	v_not_b32_e32 v26, v27
	v_not_b32_e32 v27, v28
	v_dual_ashrrev_i32 v18, 31, v18 :: v_dual_bitop2_b32 v16, s12, v16 bitop3:0x14
	v_dual_ashrrev_i32 v19, 31, v19 :: v_dual_bitop2_b32 v17, s13, v17 bitop3:0x14
	v_cmp_gt_i32_e64 s17, 0, v28
	v_cmp_gt_i32_e64 s18, 0, v29
	v_not_b32_e32 v28, v29
	v_not_b32_e32 v29, v65
	v_dual_ashrrev_i32 v26, 31, v26 :: v_dual_ashrrev_i32 v27, 31, v27
	v_xor_b32_e32 v18, s14, v18
	v_xor_b32_e32 v19, s15, v19
	v_bitop3_b32 v16, v16, v17, exec_lo bitop3:0x80
	v_cmp_gt_i32_e64 s19, 0, v65
	v_dual_ashrrev_i32 v17, 31, v28 :: v_dual_ashrrev_i32 v28, 31, v29
	v_dual_lshlrev_b32 v0, 3, v0 :: v_dual_bitop2_b32 v26, s16, v26 bitop3:0x14
	v_dual_mov_b32 v65, v25 :: v_dual_bitop2_b32 v27, s17, v27 bitop3:0x14
	v_bitop3_b32 v16, v16, v19, v18 bitop3:0x80
	s_delay_alu instid0(VALU_DEP_4)
	v_xor_b32_e32 v29, s18, v17
	v_xor_b32_e32 v28, s19, v28
	v_add_lshl_u32 v0, v0, v39, 2
	v_mov_b64_e32 v[18:19], v[20:21]
	v_bitop3_b32 v26, v16, v27, v26 bitop3:0x80
	v_mov_b64_e32 v[16:17], v[22:23]
	s_delay_alu instid0(VALU_DEP_4) | instskip(NEXT) | instid1(VALU_DEP_3)
	v_add_nc_u64_e32 v[20:21], v[12:13], v[0:1]
	v_bitop3_b32 v22, v26, v28, v29 bitop3:0x80
	s_delay_alu instid0(VALU_DEP_1) | instskip(NEXT) | instid1(VALU_DEP_3)
	v_mbcnt_lo_u32_b32 v0, v22, 0
	v_add_nc_u64_e32 v[20:21], 32, v[20:21]
	v_cmp_ne_u32_e64 s13, 0, v22
	s_delay_alu instid0(VALU_DEP_3) | instskip(SKIP_1) | instid1(SALU_CYCLE_1)
	v_cmp_eq_u32_e64 s12, 0, v0
	s_and_b32 s13, s13, s12
	s_and_saveexec_b32 s12, s13
; %bb.326:                              ;   in Loop: Header=BB1832_325 Depth=1
	v_bcnt_u32_b32 v21, v22, 0
	ds_store_b32 v20, v21
; %bb.327:                              ;   in Loop: Header=BB1832_325 Depth=1
	s_or_b32 exec_lo, exec_lo, s12
	v_cmp_ne_u16_e64 s12, 0x7fff, v65
	v_not_b32_e32 v22, v24
	; wave barrier
	s_delay_alu instid0(VALU_DEP_2) | instskip(NEXT) | instid1(VALU_DEP_1)
	v_cndmask_b32_e64 v21, 0xffff8000, v65, s12
	v_and_b32_e32 v21, 0xffff, v21
	s_delay_alu instid0(VALU_DEP_1) | instskip(NEXT) | instid1(VALU_DEP_1)
	v_lshrrev_b32_e32 v21, v10, v21
	v_and_b32_e32 v23, v21, v22
	s_delay_alu instid0(VALU_DEP_1) | instskip(SKIP_1) | instid1(VALU_DEP_2)
	v_lshlrev_b32_e32 v25, 30, v23
	v_bitop3_b32 v21, v21, 1, v22 bitop3:0x80
	v_cmp_gt_i32_e64 s13, 0, v25
	s_delay_alu instid0(VALU_DEP_2) | instskip(NEXT) | instid1(VALU_DEP_1)
	v_add_co_u32 v21, s12, v21, -1
	v_cndmask_b32_e64 v24, 0, 1, s12
	s_delay_alu instid0(VALU_DEP_1) | instskip(SKIP_1) | instid1(VALU_DEP_1)
	v_cmp_ne_u32_e64 s12, 0, v24
	v_not_b32_e32 v24, v25
	v_dual_ashrrev_i32 v24, 31, v24 :: v_dual_lshlrev_b32 v26, 29, v23
	v_dual_lshlrev_b32 v27, 28, v23 :: v_dual_lshlrev_b32 v28, 27, v23
	v_lshlrev_b32_e32 v29, 26, v23
	v_lshl_add_u32 v22, v23, 3, v39
	s_delay_alu instid0(VALU_DEP_4)
	v_cmp_gt_i32_e64 s14, 0, v26
	v_not_b32_e32 v25, v26
	v_not_b32_e32 v26, v27
	v_dual_lshlrev_b32 v66, 25, v23 :: v_dual_lshlrev_b32 v23, 24, v23
	v_cmp_gt_i32_e64 s15, 0, v27
	v_cmp_gt_i32_e64 s16, 0, v28
	v_not_b32_e32 v27, v28
	v_not_b32_e32 v28, v29
	v_dual_ashrrev_i32 v26, 31, v26 :: v_dual_bitop2_b32 v21, s12, v21 bitop3:0x14
	v_dual_ashrrev_i32 v25, 31, v25 :: v_dual_bitop2_b32 v24, s13, v24 bitop3:0x14
	v_cmp_gt_i32_e64 s17, 0, v29
	v_not_b32_e32 v29, v66
	v_dual_ashrrev_i32 v27, 31, v27 :: v_dual_ashrrev_i32 v28, 31, v28
	v_xor_b32_e32 v26, s15, v26
	v_bitop3_b32 v21, v21, v24, exec_lo bitop3:0x80
	v_not_b32_e32 v24, v23
	v_xor_b32_e32 v25, s14, v25
	v_cmp_gt_i32_e64 s18, 0, v66
	v_dual_ashrrev_i32 v29, 31, v29 :: v_dual_bitop2_b32 v28, s17, v28 bitop3:0x14
	v_cmp_gt_i32_e64 s12, 0, v23
	v_ashrrev_i32_e32 v23, 31, v24
	v_bitop3_b32 v21, v21, v26, v25 bitop3:0x80
	v_lshl_add_u32 v25, v22, 2, v12
	v_xor_b32_e32 v27, s16, v27
	v_xor_b32_e32 v22, s18, v29
	;; [unrolled: 1-line block ×3, first 2 shown]
	s_delay_alu instid0(VALU_DEP_3) | instskip(SKIP_3) | instid1(VALU_DEP_2)
	v_bitop3_b32 v24, v21, v28, v27 bitop3:0x80
	ds_load_b32 v21, v25 offset:32
	; wave barrier
	v_bitop3_b32 v24, v24, v23, v22 bitop3:0x80
	v_add_nc_u32_e32 v23, 32, v25
	v_mbcnt_lo_u32_b32 v22, v24, 0
	v_cmp_ne_u32_e64 s13, 0, v24
	s_delay_alu instid0(VALU_DEP_2) | instskip(SKIP_1) | instid1(SALU_CYCLE_1)
	v_cmp_eq_u32_e64 s12, 0, v22
	s_and_b32 s13, s13, s12
	s_and_saveexec_b32 s12, s13
	s_cbranch_execz .LBB1832_329
; %bb.328:                              ;   in Loop: Header=BB1832_325 Depth=1
	s_wait_dscnt 0x0
	v_bcnt_u32_b32 v24, v24, v21
	ds_store_b32 v23, v24
.LBB1832_329:                           ;   in Loop: Header=BB1832_325 Depth=1
	s_or_b32 exec_lo, exec_lo, s12
	; wave barrier
	s_wait_dscnt 0x0
	s_barrier_signal -1
	s_barrier_wait -1
	ds_load_b32 v25, v15
	ds_load_b32 v26, v31
	;; [unrolled: 1-line block ×8, first 2 shown]
	s_wait_dscnt 0x6
	v_add_nc_u32_e32 v68, v26, v25
	s_wait_dscnt 0x4
	s_delay_alu instid0(VALU_DEP_1) | instskip(SKIP_1) | instid1(VALU_DEP_1)
	v_add3_u32 v68, v68, v27, v28
	s_wait_dscnt 0x2
	v_add3_u32 v68, v68, v29, v66
	s_wait_dscnt 0x0
	s_delay_alu instid0(VALU_DEP_1) | instskip(NEXT) | instid1(VALU_DEP_1)
	v_add3_u32 v67, v68, v24, v67
	v_mov_b32_dpp v68, v67 row_shr:1 row_mask:0xf bank_mask:0xf
	s_delay_alu instid0(VALU_DEP_1) | instskip(NEXT) | instid1(VALU_DEP_1)
	v_cndmask_b32_e64 v68, v68, 0, vcc_lo
	v_add_nc_u32_e32 v67, v68, v67
	s_delay_alu instid0(VALU_DEP_1) | instskip(NEXT) | instid1(VALU_DEP_1)
	v_mov_b32_dpp v68, v67 row_shr:2 row_mask:0xf bank_mask:0xf
	v_cndmask_b32_e64 v68, 0, v68, s0
	s_delay_alu instid0(VALU_DEP_1) | instskip(NEXT) | instid1(VALU_DEP_1)
	v_add_nc_u32_e32 v67, v67, v68
	v_mov_b32_dpp v68, v67 row_shr:4 row_mask:0xf bank_mask:0xf
	s_delay_alu instid0(VALU_DEP_1) | instskip(NEXT) | instid1(VALU_DEP_1)
	v_cndmask_b32_e64 v68, 0, v68, s1
	v_add_nc_u32_e32 v67, v67, v68
	s_delay_alu instid0(VALU_DEP_1) | instskip(NEXT) | instid1(VALU_DEP_1)
	v_mov_b32_dpp v68, v67 row_shr:8 row_mask:0xf bank_mask:0xf
	v_cndmask_b32_e64 v68, 0, v68, s2
	s_delay_alu instid0(VALU_DEP_1) | instskip(SKIP_3) | instid1(VALU_DEP_1)
	v_add_nc_u32_e32 v67, v67, v68
	ds_swizzle_b32 v68, v67 offset:swizzle(BROADCAST,32,15)
	s_wait_dscnt 0x0
	v_cndmask_b32_e64 v68, v68, 0, s4
	v_add_nc_u32_e32 v67, v67, v68
	s_and_saveexec_b32 s12, s5
; %bb.330:                              ;   in Loop: Header=BB1832_325 Depth=1
	ds_store_b32 v49, v67
; %bb.331:                              ;   in Loop: Header=BB1832_325 Depth=1
	s_or_b32 exec_lo, exec_lo, s12
	s_wait_dscnt 0x0
	s_barrier_signal -1
	s_barrier_wait -1
	s_and_saveexec_b32 s12, s6
	s_cbranch_execz .LBB1832_333
; %bb.332:                              ;   in Loop: Header=BB1832_325 Depth=1
	ds_load_b32 v68, v50
	s_wait_dscnt 0x0
	v_mov_b32_dpp v69, v68 row_shr:1 row_mask:0xf bank_mask:0xf
	s_delay_alu instid0(VALU_DEP_1) | instskip(NEXT) | instid1(VALU_DEP_1)
	v_cndmask_b32_e64 v69, v69, 0, s9
	v_add_nc_u32_e32 v68, v69, v68
	s_delay_alu instid0(VALU_DEP_1) | instskip(NEXT) | instid1(VALU_DEP_1)
	v_mov_b32_dpp v69, v68 row_shr:2 row_mask:0xf bank_mask:0xf
	v_cndmask_b32_e64 v69, 0, v69, s10
	s_delay_alu instid0(VALU_DEP_1) | instskip(NEXT) | instid1(VALU_DEP_1)
	v_add_nc_u32_e32 v68, v68, v69
	v_mov_b32_dpp v69, v68 row_shr:4 row_mask:0xf bank_mask:0xf
	s_delay_alu instid0(VALU_DEP_1) | instskip(NEXT) | instid1(VALU_DEP_1)
	v_cndmask_b32_e64 v69, 0, v69, s11
	v_add_nc_u32_e32 v68, v68, v69
	ds_store_b32 v50, v68
.LBB1832_333:                           ;   in Loop: Header=BB1832_325 Depth=1
	s_or_b32 exec_lo, exec_lo, s12
	v_mov_b32_e32 v68, 0
	s_wait_dscnt 0x0
	s_barrier_signal -1
	s_barrier_wait -1
	s_and_saveexec_b32 s12, s7
; %bb.334:                              ;   in Loop: Header=BB1832_325 Depth=1
	ds_load_b32 v68, v52
; %bb.335:                              ;   in Loop: Header=BB1832_325 Depth=1
	s_or_b32 exec_lo, exec_lo, s12
	s_wait_dscnt 0x0
	v_add_nc_u32_e32 v67, v68, v67
	s_mov_b32 s14, -1
	s_mov_b32 s13, exec_lo
	v_add_nc_u32_e32 v10, 8, v10
	ds_bpermute_b32 v67, v48, v67
	s_wait_dscnt 0x0
	v_cndmask_b32_e64 v67, v67, v68, s3
	s_delay_alu instid0(VALU_DEP_1) | instskip(NEXT) | instid1(VALU_DEP_1)
	v_cndmask_b32_e64 v67, v67, 0, s8
	v_add_nc_u32_e32 v25, v67, v25
	s_delay_alu instid0(VALU_DEP_1) | instskip(NEXT) | instid1(VALU_DEP_1)
	v_add_nc_u32_e32 v26, v25, v26
	v_add_nc_u32_e32 v27, v26, v27
	s_delay_alu instid0(VALU_DEP_1) | instskip(NEXT) | instid1(VALU_DEP_1)
	v_add_nc_u32_e32 v28, v27, v28
	v_add_nc_u32_e32 v29, v28, v29
	s_delay_alu instid0(VALU_DEP_1)
	v_add_nc_u32_e32 v66, v29, v66
	ds_store_b32 v15, v67
	ds_store_b32 v31, v25
	;; [unrolled: 1-line block ×3, first 2 shown]
	v_add_nc_u32_e32 v24, v66, v24
	ds_store_b32 v34, v27
	ds_store_b32 v35, v28
	;; [unrolled: 1-line block ×5, first 2 shown]
	s_wait_dscnt 0x0
	s_barrier_signal -1
	s_barrier_wait -1
	ds_load_b32 v20, v20
	ds_load_b32 v23, v23
	v_mov_b32_e32 v25, v1
	s_wait_dscnt 0x0
                                        ; implicit-def: $vgpr66
	v_add_nc_u32_e32 v0, v20, v0
	v_add3_u32 v24, v22, v21, v23
                                        ; implicit-def: $vgpr22_vgpr23
                                        ; implicit-def: $vgpr20_vgpr21
	s_delay_alu instid0(VALU_DEP_2) | instskip(NEXT) | instid1(VALU_DEP_2)
	v_lshl_add_u64 v[28:29], v[0:1], 1, v[12:13]
	v_lshl_add_u64 v[26:27], v[24:25], 1, v[12:13]
                                        ; implicit-def: $vgpr25
	v_cmpx_lt_u32_e64 v10, v11
	s_cbranch_execz .LBB1832_324
; %bb.336:                              ;   in Loop: Header=BB1832_325 Depth=1
	s_delay_alu instid0(VALU_DEP_3) | instskip(NEXT) | instid1(VALU_DEP_3)
	v_mad_nc_u64_u32 v[20:21], v0, 6, v[28:29]
	v_mad_nc_u64_u32 v[22:23], v24, 6, v[26:27]
	s_barrier_signal -1
	s_barrier_wait -1
	ds_store_b16 v28, v64
	ds_store_b16 v26, v65
	s_wait_dscnt 0x0
	s_barrier_signal -1
	s_barrier_wait -1
	ds_load_u16 v66, v33
	ds_load_u16 v25, v53
	s_wait_dscnt 0x0
	s_barrier_signal -1
	s_barrier_wait -1
	ds_store_b64 v20, v[18:19]
	ds_store_b64 v22, v[16:17]
	s_wait_dscnt 0x0
	s_barrier_signal -1
	s_barrier_wait -1
	ds_load_b64 v[20:21], v51
	ds_load_b64 v[22:23], v54
	v_add_nc_u32_e32 v55, -8, v55
	s_xor_b32 s14, exec_lo, -1
	s_wait_dscnt 0x0
	s_barrier_signal -1
	s_barrier_wait -1
	s_branch .LBB1832_324
.LBB1832_337:
	flat_load_b64 v[48:49], v[0:1]
	v_dual_mov_b32 v50, v23 :: v_dual_mov_b32 v51, v23
	v_dual_mov_b32 v52, v23 :: v_dual_mov_b32 v53, v23
	v_dual_mov_b32 v54, v23 :: v_dual_mov_b32 v55, v23
	s_wait_loadcnt_dscnt 0x0
	v_mov_b64_e32 v[22:23], v[48:49]
	v_mov_b64_e32 v[24:25], v[50:51]
	v_mov_b64_e32 v[26:27], v[52:53]
	v_mov_b64_e32 v[28:29], v[54:55]
	s_wait_xcnt 0x0
	s_or_b32 exec_lo, exec_lo, s3
	s_and_saveexec_b32 s2, s0
	s_cbranch_execz .LBB1832_264
.LBB1832_338:
	flat_load_b64 v[24:25], v[0:1] offset:256
	s_wait_xcnt 0x0
	s_or_b32 exec_lo, exec_lo, s2
	s_and_saveexec_b32 s0, s1
	s_cbranch_execz .LBB1832_265
.LBB1832_339:
	flat_load_b64 v[26:27], v[0:1] offset:512
	s_wait_xcnt 0x0
	s_or_b32 exec_lo, exec_lo, s0
	s_and_saveexec_b32 s0, vcc_lo
	s_cbranch_execnz .LBB1832_266
	s_branch .LBB1832_267
.LBB1832_340:
	flat_store_b64 v[0:1], v[14:15]
	s_wait_xcnt 0x0
	s_or_b32 exec_lo, exec_lo, s3
	s_and_saveexec_b32 s3, s0
	s_cbranch_execz .LBB1832_309
.LBB1832_341:
	flat_store_b64 v[0:1], v[16:17] offset:2048
	s_wait_xcnt 0x0
	s_or_b32 exec_lo, exec_lo, s3
	s_and_saveexec_b32 s0, s1
	s_cbranch_execz .LBB1832_310
.LBB1832_342:
	flat_store_b64 v[0:1], v[10:11] offset:4096
	s_wait_xcnt 0x0
	s_or_b32 exec_lo, exec_lo, s0
	s_and_saveexec_b32 s0, s2
	s_cbranch_execnz .LBB1832_311
	s_branch .LBB1832_312
.LBB1832_343:
	s_or_b32 exec_lo, exec_lo, s23
	v_mad_nc_u64_u32 v[0:1], v0, 6, v[28:29]
	v_mad_nc_u64_u32 v[10:11], v24, 6, v[26:27]
	v_lshl_add_u32 v12, v30, 1, v12
	v_mul_u32_u24_e32 v1, 6, v30
	s_barrier_signal -1
	s_barrier_wait -1
	ds_store_b16 v28, v64
	ds_store_b16 v26, v65
	s_wait_dscnt 0x0
	s_barrier_signal -1
	s_barrier_wait -1
	ds_load_u16 v5, v12
	ds_load_u16 v4, v12 offset:512
	s_wait_dscnt 0x0
	s_barrier_signal -1
	s_barrier_wait -1
	ds_store_b64 v0, v[18:19]
	ds_store_b64 v10, v[16:17]
	v_dual_mov_b32 v15, 0 :: v_dual_add_nc_u32 v0, v12, v1
	s_wait_dscnt 0x0
	s_barrier_signal -1
	s_barrier_wait -1
	ds_load_2addr_stride64_b64 v[10:13], v0 offset1:4
	v_lshl_add_u64 v[0:1], v[8:9], 1, v[2:3]
	s_set_vgpr_msb 4                        ;  msbs: dst=0 src0=0 src1=1 src2=0
	v_cmp_lt_u32_e32 vcc_lo, v14, v0 /*v256*/
	s_wait_dscnt 0x0
	s_barrier_signal -1
	s_barrier_wait -1
	v_lshl_add_u64 v[0:1], v[14:15], 1, v[0:1]
	s_and_saveexec_b32 s1, vcc_lo
	s_set_vgpr_msb 0                        ;  msbs: dst=0 src0=0 src1=0 src2=0
	s_cbranch_execz .LBB1832_345
; %bb.344:
	v_cmp_lt_i16_e64 s0, -1, v5
	s_delay_alu instid0(VALU_DEP_1) | instskip(NEXT) | instid1(VALU_DEP_1)
	v_cndmask_b32_e64 v2, 0xffff8000, -1, s0
	v_xor_b32_e32 v2, v2, v5
	flat_store_b16 v[0:1], v2
.LBB1832_345:
	s_wait_xcnt 0x0
	s_or_b32 exec_lo, exec_lo, s1
	v_add_nc_u32_e32 v2, 0x100, v14
	s_set_vgpr_msb 4                        ;  msbs: dst=0 src0=0 src1=1 src2=0
	s_delay_alu instid0(VALU_DEP_1)
	v_cmp_lt_u32_e64 s0, v2, v0 /*v256*/
	s_and_saveexec_b32 s2, s0
	s_set_vgpr_msb 0                        ;  msbs: dst=0 src0=0 src1=0 src2=0
	s_cbranch_execz .LBB1832_347
; %bb.346:
	v_cmp_lt_i16_e64 s1, -1, v4
	s_delay_alu instid0(VALU_DEP_1) | instskip(NEXT) | instid1(VALU_DEP_1)
	v_cndmask_b32_e64 v2, 0xffff8000, -1, s1
	v_xor_b32_e32 v2, v2, v4
	flat_store_b16 v[0:1], v2 offset:512
.LBB1832_347:
	s_wait_xcnt 0x0
	s_or_b32 exec_lo, exec_lo, s2
	v_lshl_add_u64 v[0:1], v[8:9], 3, v[6:7]
	s_delay_alu instid0(VALU_DEP_1)
	v_lshl_add_u64 v[0:1], v[14:15], 3, v[0:1]
	s_and_saveexec_b32 s1, vcc_lo
	s_cbranch_execz .LBB1832_349
; %bb.348:
	flat_store_b64 v[0:1], v[10:11]
.LBB1832_349:
	s_wait_xcnt 0x0
	s_or_b32 exec_lo, exec_lo, s1
	s_and_saveexec_b32 s1, s0
	s_cbranch_execz .LBB1832_351
; %bb.350:
	flat_store_b64 v[0:1], v[12:13] offset:2048
.LBB1832_351:
	s_wait_xcnt 0x0
	s_or_b32 exec_lo, exec_lo, s1
                                        ; implicit-def: $vgpr14
                                        ; implicit-def: $vgpr8_vgpr9
                                        ; implicit-def: $vgpr256
                                        ; implicit-def: $vgpr10
                                        ; implicit-def: $vgpr11
                                        ; implicit-def: $vgpr0_vgpr1
                                        ; implicit-def: $vgpr2_vgpr3
                                        ; implicit-def: $vgpr4_vgpr5
                                        ; implicit-def: $vgpr6_vgpr7
                                        ; implicit-def: $vgpr12_vgpr13
                                        ; implicit-def: $vgpr30
                                        ; implicit-def: $vgpr33
.LBB1832_352:
	s_and_not1_saveexec_b32 s0, s20
	s_cbranch_execz .LBB1832_372
; %bb.353:
	s_delay_alu instid0(VALU_DEP_3) | instskip(NEXT) | instid1(VALU_DEP_1)
	v_and_b32_e32 v16, 0xffffffe0, v14
	v_or_b32_e32 v15, v33, v16
	s_set_vgpr_msb 4                        ;  msbs: dst=0 src0=0 src1=1 src2=0
	s_delay_alu instid0(VALU_DEP_1)
	v_cmp_lt_u32_e32 vcc_lo, v15, v0 /*v256*/
	v_mov_b32_e32 v15, 0x7fff
	s_and_saveexec_b32 s0, vcc_lo
	s_set_vgpr_msb 0                        ;  msbs: dst=0 src0=0 src1=0 src2=0
	s_cbranch_execz .LBB1832_355
; %bb.354:
	v_lshl_add_u64 v[0:1], v[8:9], 1, v[0:1]
	v_dual_mov_b32 v19, 0 :: v_dual_lshlrev_b32 v18, 1, v33
	s_delay_alu instid0(VALU_DEP_1) | instskip(SKIP_1) | instid1(VALU_DEP_1)
	v_add_nc_u64_e32 v[0:1], v[0:1], v[18:19]
	v_mov_b32_e32 v17, v19
	v_lshl_add_u64 v[0:1], v[16:17], 1, v[0:1]
	flat_load_u16 v15, v[0:1]
.LBB1832_355:
	s_wait_xcnt 0x0
	s_or_b32 exec_lo, exec_lo, s0
                                        ; implicit-def: $vgpr18_vgpr19
	s_and_saveexec_b32 s0, vcc_lo
	s_cbranch_execz .LBB1832_357
; %bb.356:
	v_lshl_add_u64 v[0:1], v[8:9], 3, v[4:5]
	v_dual_mov_b32 v5, 0 :: v_dual_lshlrev_b32 v4, 3, v33
	s_delay_alu instid0(VALU_DEP_1) | instskip(SKIP_1) | instid1(VALU_DEP_1)
	v_add_nc_u64_e32 v[0:1], v[0:1], v[4:5]
	v_mov_b32_e32 v17, v5
	v_lshl_add_u64 v[0:1], v[16:17], 3, v[0:1]
	flat_load_b64 v[18:19], v[0:1]
.LBB1832_357:
	s_wait_xcnt 0x0
	s_or_b32 exec_lo, exec_lo, s0
	s_wait_loadcnt_dscnt 0x0
	v_cmp_lt_i16_e32 vcc_lo, -1, v15
	v_lshl_add_u32 v1, v30, 5, v12
	v_sub_co_u32 v16, s2, v33, 1
	v_and_b32_e32 v5, 16, v33
	v_cndmask_b32_e64 v0, -1, 0xffff8000, vcc_lo
	s_delay_alu instid0(VALU_DEP_4) | instskip(SKIP_1) | instid1(VALU_DEP_3)
	v_dual_add_nc_u32 v22, 36, v1 :: v_dual_add_nc_u32 v23, 40, v1
	v_dual_add_nc_u32 v24, 44, v1 :: v_dual_add_nc_u32 v25, 48, v1
	v_dual_add_nc_u32 v15, 32, v1 :: v_dual_bitop2_b32 v39, v0, v15 bitop3:0x14
	v_dual_add_nc_u32 v26, 52, v1 :: v_dual_add_nc_u32 v27, 56, v1
	v_add_nc_u32_e32 v28, 60, v1
	v_and_b32_e32 v1, 0x3e0, v30
	v_dual_lshrrev_b32 v29, 5, v14 :: v_dual_bitop2_b32 v0, 15, v33 bitop3:0x40
	v_cmp_gt_i32_e64 s5, 0, v16
	s_get_pc_i64 s[0:1]
	s_add_nc_u64 s[0:1], s[0:1], _ZN7rocprim17ROCPRIM_400000_NS16block_radix_sortI6__halfLj256ELj1ElLj1ELj1ELj8ELNS0_26block_radix_rank_algorithmE2ELNS0_18block_padding_hintE2ELNS0_4arch9wavefront6targetE0EE19radix_bits_per_passE@rel64+4
	v_min_u32_e32 v4, 0xe0, v1
	s_load_b32 s20, s[0:1], 0x0
	v_cmp_eq_u32_e32 vcc_lo, 0, v0
	s_wait_xcnt 0x0
	v_cmp_lt_u32_e64 s0, 1, v0
	v_cmp_lt_u32_e64 s1, 3, v0
	;; [unrolled: 1-line block ×3, first 2 shown]
	v_dual_lshrrev_b32 v4, 3, v30 :: v_dual_bitop2_b32 v0, 31, v4 bitop3:0x54
	v_cmp_eq_u32_e64 s4, 0, v5
	v_cndmask_b32_e64 v5, v16, v33, s5
	v_cmp_gt_u32_e64 s6, 8, v30
	s_delay_alu instid0(VALU_DEP_4) | instskip(SKIP_4) | instid1(VALU_DEP_4)
	v_cmp_eq_u32_e64 s5, v30, v0
	v_and_b32_e32 v0, 0x7c, v4
	v_and_b32_e32 v4, 7, v33
	v_lshlrev_b32_e32 v31, 2, v5
	v_dual_mov_b32 v1, 0 :: v_dual_bitop2_b32 v5, v33, v1 bitop3:0x54
	v_add_nc_u32_e32 v32, v12, v0
	s_delay_alu instid0(VALU_DEP_4) | instskip(SKIP_1) | instid1(VALU_DEP_4)
	v_cmp_eq_u32_e64 s9, 0, v4
	v_cmp_lt_u32_e64 s10, 1, v4
	v_lshl_add_u32 v34, v5, 1, v12
	v_mul_u32_u24_e32 v0, 6, v5
	v_cmp_lt_u32_e64 s11, 3, v4
	v_mov_b64_e32 v[4:5], 0
	v_cmp_lt_u32_e64 s7, 31, v30
	v_cmp_eq_u32_e64 s8, 0, v30
	v_lshl_add_u32 v33, v30, 2, v12
	v_dual_add_nc_u32 v35, -4, v32 :: v_dual_sub_nc_u32 v37, v11, v10
	v_add_nc_u32_e32 v36, v34, v0
	s_mov_b32 s21, 0
	s_wait_storecnt 0x0
	s_barrier_signal -1
	s_barrier_wait -1
	s_branch .LBB1832_359
.LBB1832_358:                           ;   in Loop: Header=BB1832_359 Depth=1
	s_or_b32 exec_lo, exec_lo, s13
	s_delay_alu instid0(SALU_CYCLE_1) | instskip(NEXT) | instid1(SALU_CYCLE_1)
	s_and_b32 s12, exec_lo, s14
	s_or_b32 s21, s12, s21
	s_delay_alu instid0(SALU_CYCLE_1)
	s_and_not1_b32 exec_lo, exec_lo, s21
	s_cbranch_execz .LBB1832_369
.LBB1832_359:                           ; =>This Inner Loop Header: Depth=1
	v_mov_b32_e32 v38, v39
	s_wait_kmcnt 0x0
	v_min_u32_e32 v16, s20, v37
	ds_store_b64 v15, v[4:5]
	ds_store_b64 v23, v[4:5]
	ds_store_b64 v25, v[4:5]
	ds_store_b64 v27, v[4:5]
	s_wait_dscnt 0x0
	v_cmp_ne_u16_e64 s12, 0x7fff, v38
	v_lshlrev_b32_e64 v16, v16, -1
	s_barrier_signal -1
	s_barrier_wait -1
	s_delay_alu instid0(VALU_DEP_2) | instskip(NEXT) | instid1(VALU_DEP_1)
	v_cndmask_b32_e64 v0, 0xffff8000, v38, s12
	; wave barrier
	v_and_b32_e32 v0, 0xffff, v0
	s_delay_alu instid0(VALU_DEP_1) | instskip(NEXT) | instid1(VALU_DEP_1)
	v_lshrrev_b32_e32 v0, v10, v0
	v_bitop3_b32 v17, v0, 1, v16 bitop3:0x40
	v_bitop3_b32 v0, v0, v16, v0 bitop3:0x30
	s_delay_alu instid0(VALU_DEP_2) | instskip(NEXT) | instid1(VALU_DEP_1)
	v_add_co_u32 v16, s12, v17, -1
	v_cndmask_b32_e64 v17, 0, 1, s12
	s_delay_alu instid0(VALU_DEP_3) | instskip(SKIP_1) | instid1(VALU_DEP_3)
	v_dual_lshlrev_b32 v20, 30, v0 :: v_dual_lshlrev_b32 v21, 29, v0
	v_dual_lshlrev_b32 v39, 28, v0 :: v_dual_lshlrev_b32 v48, 27, v0
	v_cmp_ne_u32_e64 s12, 0, v17
	s_delay_alu instid0(VALU_DEP_3)
	v_not_b32_e32 v17, v20
	v_dual_lshlrev_b32 v49, 26, v0 :: v_dual_lshlrev_b32 v50, 25, v0
	v_lshlrev_b32_e32 v51, 24, v0
	v_cmp_gt_i32_e64 s13, 0, v20
	v_cmp_gt_i32_e64 s14, 0, v21
	v_not_b32_e32 v20, v21
	v_not_b32_e32 v21, v39
	v_ashrrev_i32_e32 v17, 31, v17
	v_cmp_gt_i32_e64 s15, 0, v39
	v_cmp_gt_i32_e64 s16, 0, v48
	v_not_b32_e32 v39, v48
	v_not_b32_e32 v48, v49
	v_dual_ashrrev_i32 v21, 31, v21 :: v_dual_bitop2_b32 v16, s12, v16 bitop3:0x14
	v_dual_ashrrev_i32 v20, 31, v20 :: v_dual_bitop2_b32 v17, s13, v17 bitop3:0x14
	v_cmp_gt_i32_e64 s17, 0, v49
	v_cmp_gt_i32_e64 s18, 0, v50
	v_not_b32_e32 v49, v50
	v_not_b32_e32 v50, v51
	v_dual_ashrrev_i32 v39, 31, v39 :: v_dual_ashrrev_i32 v48, 31, v48
	v_xor_b32_e32 v20, s14, v20
	v_xor_b32_e32 v21, s15, v21
	v_bitop3_b32 v16, v16, v17, exec_lo bitop3:0x80
	v_cmp_gt_i32_e64 s19, 0, v51
	v_dual_ashrrev_i32 v17, 31, v49 :: v_dual_ashrrev_i32 v49, 31, v50
	v_dual_lshlrev_b32 v0, 3, v0 :: v_dual_bitop2_b32 v39, s16, v39 bitop3:0x14
	v_xor_b32_e32 v48, s17, v48
	v_bitop3_b32 v16, v16, v21, v20 bitop3:0x80
	s_delay_alu instid0(VALU_DEP_4) | instskip(SKIP_2) | instid1(VALU_DEP_4)
	v_xor_b32_e32 v17, s18, v17
	v_xor_b32_e32 v20, s19, v49
	v_add_lshl_u32 v0, v0, v29, 2
	v_bitop3_b32 v16, v16, v48, v39 bitop3:0x80
	s_delay_alu instid0(VALU_DEP_1) | instskip(SKIP_1) | instid1(VALU_DEP_4)
	v_bitop3_b32 v20, v16, v20, v17 bitop3:0x80
	v_mov_b64_e32 v[16:17], v[18:19]
	v_add_nc_u64_e32 v[18:19], v[12:13], v[0:1]
	s_delay_alu instid0(VALU_DEP_3) | instskip(SKIP_1) | instid1(VALU_DEP_3)
	v_mbcnt_lo_u32_b32 v0, v20, 0
	v_cmp_ne_u32_e64 s13, 0, v20
	v_add_nc_u64_e32 v[18:19], 32, v[18:19]
	s_delay_alu instid0(VALU_DEP_3) | instskip(SKIP_1) | instid1(SALU_CYCLE_1)
	v_cmp_eq_u32_e64 s12, 0, v0
	s_and_b32 s13, s13, s12
	s_and_saveexec_b32 s12, s13
; %bb.360:                              ;   in Loop: Header=BB1832_359 Depth=1
	v_bcnt_u32_b32 v19, v20, 0
	ds_store_b32 v18, v19
; %bb.361:                              ;   in Loop: Header=BB1832_359 Depth=1
	s_or_b32 exec_lo, exec_lo, s12
	; wave barrier
	s_wait_dscnt 0x0
	s_barrier_signal -1
	s_barrier_wait -1
	ds_load_b32 v20, v15
	ds_load_b32 v21, v22
	;; [unrolled: 1-line block ×8, first 2 shown]
	s_wait_dscnt 0x6
	v_add_nc_u32_e32 v52, v21, v20
	s_wait_dscnt 0x4
	s_delay_alu instid0(VALU_DEP_1) | instskip(SKIP_1) | instid1(VALU_DEP_1)
	v_add3_u32 v52, v52, v39, v48
	s_wait_dscnt 0x2
	v_add3_u32 v52, v52, v49, v50
	s_wait_dscnt 0x0
	s_delay_alu instid0(VALU_DEP_1) | instskip(NEXT) | instid1(VALU_DEP_1)
	v_add3_u32 v51, v52, v19, v51
	v_mov_b32_dpp v52, v51 row_shr:1 row_mask:0xf bank_mask:0xf
	s_delay_alu instid0(VALU_DEP_1) | instskip(NEXT) | instid1(VALU_DEP_1)
	v_cndmask_b32_e64 v52, v52, 0, vcc_lo
	v_add_nc_u32_e32 v51, v52, v51
	s_delay_alu instid0(VALU_DEP_1) | instskip(NEXT) | instid1(VALU_DEP_1)
	v_mov_b32_dpp v52, v51 row_shr:2 row_mask:0xf bank_mask:0xf
	v_cndmask_b32_e64 v52, 0, v52, s0
	s_delay_alu instid0(VALU_DEP_1) | instskip(NEXT) | instid1(VALU_DEP_1)
	v_add_nc_u32_e32 v51, v51, v52
	v_mov_b32_dpp v52, v51 row_shr:4 row_mask:0xf bank_mask:0xf
	s_delay_alu instid0(VALU_DEP_1) | instskip(NEXT) | instid1(VALU_DEP_1)
	v_cndmask_b32_e64 v52, 0, v52, s1
	v_add_nc_u32_e32 v51, v51, v52
	s_delay_alu instid0(VALU_DEP_1) | instskip(NEXT) | instid1(VALU_DEP_1)
	v_mov_b32_dpp v52, v51 row_shr:8 row_mask:0xf bank_mask:0xf
	v_cndmask_b32_e64 v52, 0, v52, s3
	s_delay_alu instid0(VALU_DEP_1) | instskip(SKIP_3) | instid1(VALU_DEP_1)
	v_add_nc_u32_e32 v51, v51, v52
	ds_swizzle_b32 v52, v51 offset:swizzle(BROADCAST,32,15)
	s_wait_dscnt 0x0
	v_cndmask_b32_e64 v52, v52, 0, s4
	v_add_nc_u32_e32 v51, v51, v52
	s_and_saveexec_b32 s12, s5
; %bb.362:                              ;   in Loop: Header=BB1832_359 Depth=1
	ds_store_b32 v32, v51
; %bb.363:                              ;   in Loop: Header=BB1832_359 Depth=1
	s_or_b32 exec_lo, exec_lo, s12
	s_wait_dscnt 0x0
	s_barrier_signal -1
	s_barrier_wait -1
	s_and_saveexec_b32 s12, s6
	s_cbranch_execz .LBB1832_365
; %bb.364:                              ;   in Loop: Header=BB1832_359 Depth=1
	ds_load_b32 v52, v33
	s_wait_dscnt 0x0
	v_mov_b32_dpp v53, v52 row_shr:1 row_mask:0xf bank_mask:0xf
	s_delay_alu instid0(VALU_DEP_1) | instskip(NEXT) | instid1(VALU_DEP_1)
	v_cndmask_b32_e64 v53, v53, 0, s9
	v_add_nc_u32_e32 v52, v53, v52
	s_delay_alu instid0(VALU_DEP_1) | instskip(NEXT) | instid1(VALU_DEP_1)
	v_mov_b32_dpp v53, v52 row_shr:2 row_mask:0xf bank_mask:0xf
	v_cndmask_b32_e64 v53, 0, v53, s10
	s_delay_alu instid0(VALU_DEP_1) | instskip(NEXT) | instid1(VALU_DEP_1)
	v_add_nc_u32_e32 v52, v52, v53
	v_mov_b32_dpp v53, v52 row_shr:4 row_mask:0xf bank_mask:0xf
	s_delay_alu instid0(VALU_DEP_1) | instskip(NEXT) | instid1(VALU_DEP_1)
	v_cndmask_b32_e64 v53, 0, v53, s11
	v_add_nc_u32_e32 v52, v52, v53
	ds_store_b32 v33, v52
.LBB1832_365:                           ;   in Loop: Header=BB1832_359 Depth=1
	s_or_b32 exec_lo, exec_lo, s12
	v_mov_b32_e32 v52, 0
	s_wait_dscnt 0x0
	s_barrier_signal -1
	s_barrier_wait -1
	s_and_saveexec_b32 s12, s7
; %bb.366:                              ;   in Loop: Header=BB1832_359 Depth=1
	ds_load_b32 v52, v35
; %bb.367:                              ;   in Loop: Header=BB1832_359 Depth=1
	s_or_b32 exec_lo, exec_lo, s12
	s_wait_dscnt 0x0
	v_dual_add_nc_u32 v51, v52, v51 :: v_dual_add_nc_u32 v10, 8, v10
	s_mov_b32 s14, -1
	s_mov_b32 s13, exec_lo
	ds_bpermute_b32 v51, v31, v51
	s_wait_dscnt 0x0
	v_cndmask_b32_e64 v51, v51, v52, s2
	s_delay_alu instid0(VALU_DEP_1) | instskip(NEXT) | instid1(VALU_DEP_1)
	v_cndmask_b32_e64 v51, v51, 0, s8
	v_add_nc_u32_e32 v20, v51, v20
	s_delay_alu instid0(VALU_DEP_1) | instskip(NEXT) | instid1(VALU_DEP_1)
	v_add_nc_u32_e32 v21, v20, v21
	v_add_nc_u32_e32 v39, v21, v39
	ds_store_b32 v15, v51
	ds_store_b32 v22, v20
	;; [unrolled: 1-line block ×3, first 2 shown]
	v_add_nc_u32_e32 v48, v39, v48
	s_delay_alu instid0(VALU_DEP_1) | instskip(NEXT) | instid1(VALU_DEP_1)
	v_add_nc_u32_e32 v49, v48, v49
	v_add_nc_u32_e32 v50, v49, v50
	s_delay_alu instid0(VALU_DEP_1)
	v_add_nc_u32_e32 v19, v50, v19
	ds_store_b32 v24, v39
	ds_store_b32 v25, v48
	;; [unrolled: 1-line block ×5, first 2 shown]
	s_wait_dscnt 0x0
	s_barrier_signal -1
	s_barrier_wait -1
	ds_load_b32 v18, v18
	s_wait_dscnt 0x0
                                        ; implicit-def: $vgpr39
	v_add_nc_u32_e32 v0, v18, v0
                                        ; implicit-def: $vgpr18_vgpr19
	s_delay_alu instid0(VALU_DEP_1)
	v_lshl_add_u64 v[20:21], v[0:1], 1, v[12:13]
	v_cmpx_lt_u32_e64 v10, v11
	s_cbranch_execz .LBB1832_358
; %bb.368:                              ;   in Loop: Header=BB1832_359 Depth=1
	s_delay_alu instid0(VALU_DEP_2)
	v_mad_nc_u64_u32 v[18:19], v0, 6, v[20:21]
	s_barrier_signal -1
	s_barrier_wait -1
	ds_store_b16 v20, v38
	s_wait_dscnt 0x0
	s_barrier_signal -1
	s_barrier_wait -1
	ds_load_u16 v39, v34
	s_wait_dscnt 0x0
	s_barrier_signal -1
	s_barrier_wait -1
	ds_store_b64 v18, v[16:17]
	s_wait_dscnt 0x0
	s_barrier_signal -1
	s_barrier_wait -1
	ds_load_b64 v[18:19], v36
	v_add_nc_u32_e32 v37, -8, v37
	s_xor_b32 s14, exec_lo, -1
	s_wait_dscnt 0x0
	s_barrier_signal -1
	s_barrier_wait -1
	s_branch .LBB1832_358
.LBB1832_369:
	s_or_b32 exec_lo, exec_lo, s21
	v_mad_nc_u64_u32 v[0:1], v0, 6, v[20:21]
	v_lshl_add_u32 v5, v30, 1, v12
	v_mul_u32_u24_e32 v1, 6, v30
	s_barrier_signal -1
	s_barrier_wait -1
	ds_store_b16 v20, v38
	s_wait_dscnt 0x0
	s_barrier_signal -1
	s_barrier_wait -1
	ds_load_u16 v4, v5
	s_wait_dscnt 0x0
	s_barrier_signal -1
	s_barrier_wait -1
	ds_store_b64 v0, v[16:17]
	v_add_nc_u32_e32 v0, v5, v1
	s_wait_dscnt 0x0
	s_barrier_signal -1
	s_barrier_wait -1
	ds_load_b64 v[0:1], v0
	s_mov_b32 s0, exec_lo
	s_wait_dscnt 0x0
	s_barrier_signal -1
	s_barrier_wait -1
	s_set_vgpr_msb 4                        ;  msbs: dst=0 src0=0 src1=1 src2=0
	v_cmpx_lt_u32_e64 v14, v0 /*v256*/
	s_set_vgpr_msb 0                        ;  msbs: dst=0 src0=0 src1=0 src2=0
	s_cbranch_execz .LBB1832_371
; %bb.370:
	v_cmp_lt_i16_e32 vcc_lo, -1, v4
	v_lshl_add_u64 v[2:3], v[8:9], 1, v[2:3]
	v_lshl_add_u64 v[6:7], v[8:9], 3, v[6:7]
	v_cndmask_b32_e64 v5, 0xffff8000, -1, vcc_lo
	s_delay_alu instid0(VALU_DEP_1) | instskip(NEXT) | instid1(VALU_DEP_1)
	v_dual_mov_b32 v15, 0 :: v_dual_bitop2_b32 v8, v5, v4 bitop3:0x14
	v_lshl_add_u64 v[2:3], v[14:15], 1, v[2:3]
	s_delay_alu instid0(VALU_DEP_4)
	v_lshl_add_u64 v[4:5], v[14:15], 3, v[6:7]
	flat_store_b16 v[2:3], v8
	flat_store_b64 v[4:5], v[0:1]
.LBB1832_371:
	s_wait_xcnt 0x0
	s_or_b32 exec_lo, exec_lo, s0
.LBB1832_372:
	s_delay_alu instid0(SALU_CYCLE_1)
	s_or_b32 exec_lo, exec_lo, s22
	s_wait_dscnt 0x0
	s_set_pc_i64 s[30:31]
.Lfunc_end1832:
	.size	_ZN7rocprim17ROCPRIM_400000_NS6detail40segmented_radix_sort_single_block_helperI6__halflLj256ELj16ELb0EE4sortIPKS3_PS3_PKlPlEEbT_T0_T1_T2_jjjjRNS4_12storage_typeE, .Lfunc_end1832-_ZN7rocprim17ROCPRIM_400000_NS6detail40segmented_radix_sort_single_block_helperI6__halflLj256ELj16ELb0EE4sortIPKS3_PS3_PKlPlEEbT_T0_T1_T2_jjjjRNS4_12storage_typeE
                                        ; -- End function
	.set .L_ZN7rocprim17ROCPRIM_400000_NS6detail40segmented_radix_sort_single_block_helperI6__halflLj256ELj16ELb0EE4sortIPKS3_PS3_PKlPlEEbT_T0_T1_T2_jjjjRNS4_12storage_typeE.num_vgpr, 304
	.set .L_ZN7rocprim17ROCPRIM_400000_NS6detail40segmented_radix_sort_single_block_helperI6__halflLj256ELj16ELb0EE4sortIPKS3_PS3_PKlPlEEbT_T0_T1_T2_jjjjRNS4_12storage_typeE.num_agpr, 0
	.set .L_ZN7rocprim17ROCPRIM_400000_NS6detail40segmented_radix_sort_single_block_helperI6__halflLj256ELj16ELb0EE4sortIPKS3_PS3_PKlPlEEbT_T0_T1_T2_jjjjRNS4_12storage_typeE.numbered_sgpr, 32
	.set .L_ZN7rocprim17ROCPRIM_400000_NS6detail40segmented_radix_sort_single_block_helperI6__halflLj256ELj16ELb0EE4sortIPKS3_PS3_PKlPlEEbT_T0_T1_T2_jjjjRNS4_12storage_typeE.num_named_barrier, 0
	.set .L_ZN7rocprim17ROCPRIM_400000_NS6detail40segmented_radix_sort_single_block_helperI6__halflLj256ELj16ELb0EE4sortIPKS3_PS3_PKlPlEEbT_T0_T1_T2_jjjjRNS4_12storage_typeE.private_seg_size, 0
	.set .L_ZN7rocprim17ROCPRIM_400000_NS6detail40segmented_radix_sort_single_block_helperI6__halflLj256ELj16ELb0EE4sortIPKS3_PS3_PKlPlEEbT_T0_T1_T2_jjjjRNS4_12storage_typeE.uses_vcc, 1
	.set .L_ZN7rocprim17ROCPRIM_400000_NS6detail40segmented_radix_sort_single_block_helperI6__halflLj256ELj16ELb0EE4sortIPKS3_PS3_PKlPlEEbT_T0_T1_T2_jjjjRNS4_12storage_typeE.uses_flat_scratch, 0
	.set .L_ZN7rocprim17ROCPRIM_400000_NS6detail40segmented_radix_sort_single_block_helperI6__halflLj256ELj16ELb0EE4sortIPKS3_PS3_PKlPlEEbT_T0_T1_T2_jjjjRNS4_12storage_typeE.has_dyn_sized_stack, 0
	.set .L_ZN7rocprim17ROCPRIM_400000_NS6detail40segmented_radix_sort_single_block_helperI6__halflLj256ELj16ELb0EE4sortIPKS3_PS3_PKlPlEEbT_T0_T1_T2_jjjjRNS4_12storage_typeE.has_recursion, 0
	.set .L_ZN7rocprim17ROCPRIM_400000_NS6detail40segmented_radix_sort_single_block_helperI6__halflLj256ELj16ELb0EE4sortIPKS3_PS3_PKlPlEEbT_T0_T1_T2_jjjjRNS4_12storage_typeE.has_indirect_call, 0
	.section	.AMDGPU.csdata,"",@progbits
; Function info:
; codeLenInByte = 32768
; TotalNumSgprs: 34
; NumVgprs: 304
; ScratchSize: 0
; MemoryBound: 1
	.section	.text._ZN7rocprim17ROCPRIM_400000_NS6detail17trampoline_kernelINS0_14default_configENS1_36segmented_radix_sort_config_selectorI6__halflEEZNS1_25segmented_radix_sort_implIS3_Lb0EPKS5_PS5_PKlPlN2at6native12_GLOBAL__N_18offset_tEEE10hipError_tPvRmT1_PNSt15iterator_traitsISL_E10value_typeET2_T3_PNSM_ISR_E10value_typeET4_jRbjT5_SX_jjP12ihipStream_tbEUlT_E_NS1_11comp_targetILNS1_3genE0ELNS1_11target_archE4294967295ELNS1_3gpuE0ELNS1_3repE0EEENS1_30default_config_static_selectorELNS0_4arch9wavefront6targetE0EEEvSL_,"axG",@progbits,_ZN7rocprim17ROCPRIM_400000_NS6detail17trampoline_kernelINS0_14default_configENS1_36segmented_radix_sort_config_selectorI6__halflEEZNS1_25segmented_radix_sort_implIS3_Lb0EPKS5_PS5_PKlPlN2at6native12_GLOBAL__N_18offset_tEEE10hipError_tPvRmT1_PNSt15iterator_traitsISL_E10value_typeET2_T3_PNSM_ISR_E10value_typeET4_jRbjT5_SX_jjP12ihipStream_tbEUlT_E_NS1_11comp_targetILNS1_3genE0ELNS1_11target_archE4294967295ELNS1_3gpuE0ELNS1_3repE0EEENS1_30default_config_static_selectorELNS0_4arch9wavefront6targetE0EEEvSL_,comdat
	.globl	_ZN7rocprim17ROCPRIM_400000_NS6detail17trampoline_kernelINS0_14default_configENS1_36segmented_radix_sort_config_selectorI6__halflEEZNS1_25segmented_radix_sort_implIS3_Lb0EPKS5_PS5_PKlPlN2at6native12_GLOBAL__N_18offset_tEEE10hipError_tPvRmT1_PNSt15iterator_traitsISL_E10value_typeET2_T3_PNSM_ISR_E10value_typeET4_jRbjT5_SX_jjP12ihipStream_tbEUlT_E_NS1_11comp_targetILNS1_3genE0ELNS1_11target_archE4294967295ELNS1_3gpuE0ELNS1_3repE0EEENS1_30default_config_static_selectorELNS0_4arch9wavefront6targetE0EEEvSL_ ; -- Begin function _ZN7rocprim17ROCPRIM_400000_NS6detail17trampoline_kernelINS0_14default_configENS1_36segmented_radix_sort_config_selectorI6__halflEEZNS1_25segmented_radix_sort_implIS3_Lb0EPKS5_PS5_PKlPlN2at6native12_GLOBAL__N_18offset_tEEE10hipError_tPvRmT1_PNSt15iterator_traitsISL_E10value_typeET2_T3_PNSM_ISR_E10value_typeET4_jRbjT5_SX_jjP12ihipStream_tbEUlT_E_NS1_11comp_targetILNS1_3genE0ELNS1_11target_archE4294967295ELNS1_3gpuE0ELNS1_3repE0EEENS1_30default_config_static_selectorELNS0_4arch9wavefront6targetE0EEEvSL_
	.p2align	8
	.type	_ZN7rocprim17ROCPRIM_400000_NS6detail17trampoline_kernelINS0_14default_configENS1_36segmented_radix_sort_config_selectorI6__halflEEZNS1_25segmented_radix_sort_implIS3_Lb0EPKS5_PS5_PKlPlN2at6native12_GLOBAL__N_18offset_tEEE10hipError_tPvRmT1_PNSt15iterator_traitsISL_E10value_typeET2_T3_PNSM_ISR_E10value_typeET4_jRbjT5_SX_jjP12ihipStream_tbEUlT_E_NS1_11comp_targetILNS1_3genE0ELNS1_11target_archE4294967295ELNS1_3gpuE0ELNS1_3repE0EEENS1_30default_config_static_selectorELNS0_4arch9wavefront6targetE0EEEvSL_,@function
_ZN7rocprim17ROCPRIM_400000_NS6detail17trampoline_kernelINS0_14default_configENS1_36segmented_radix_sort_config_selectorI6__halflEEZNS1_25segmented_radix_sort_implIS3_Lb0EPKS5_PS5_PKlPlN2at6native12_GLOBAL__N_18offset_tEEE10hipError_tPvRmT1_PNSt15iterator_traitsISL_E10value_typeET2_T3_PNSM_ISR_E10value_typeET4_jRbjT5_SX_jjP12ihipStream_tbEUlT_E_NS1_11comp_targetILNS1_3genE0ELNS1_11target_archE4294967295ELNS1_3gpuE0ELNS1_3repE0EEENS1_30default_config_static_selectorELNS0_4arch9wavefront6targetE0EEEvSL_: ; @_ZN7rocprim17ROCPRIM_400000_NS6detail17trampoline_kernelINS0_14default_configENS1_36segmented_radix_sort_config_selectorI6__halflEEZNS1_25segmented_radix_sort_implIS3_Lb0EPKS5_PS5_PKlPlN2at6native12_GLOBAL__N_18offset_tEEE10hipError_tPvRmT1_PNSt15iterator_traitsISL_E10value_typeET2_T3_PNSM_ISR_E10value_typeET4_jRbjT5_SX_jjP12ihipStream_tbEUlT_E_NS1_11comp_targetILNS1_3genE0ELNS1_11target_archE4294967295ELNS1_3gpuE0ELNS1_3repE0EEENS1_30default_config_static_selectorELNS0_4arch9wavefront6targetE0EEEvSL_
; %bb.0:
	s_load_b64 s[8:9], s[2:3], 0x38
	s_bfe_u32 s4, ttmp6, 0x4000c
	s_and_b32 s5, ttmp6, 15
	s_add_co_i32 s4, s4, 1
	s_getreg_b32 s27, hwreg(HW_REG_IB_STS2, 6, 4)
	s_mul_i32 s4, ttmp9, s4
	s_mov_b32 s32, 0
	s_add_co_i32 s5, s5, s4
	s_cmp_eq_u32 s27, 0
	s_cselect_b32 s33, ttmp9, s5
	s_load_b128 s[4:7], s[2:3], 0x40
	s_wait_kmcnt 0x0
	s_load_b32 s10, s[8:9], s33 offset:0x0 scale_offset
	s_wait_kmcnt 0x0
	s_add_co_i32 s51, s10, s7
	s_add_co_i32 s54, s10, s5
	s_mul_i32 s51, s51, s6
	s_mul_i32 s54, s54, s4
	s_delay_alu instid0(SALU_CYCLE_1)
	s_cmp_le_u32 s51, s54
	s_cbranch_scc1 .LBB1833_1182
; %bb.1:
	s_clause 0x3
	s_load_b32 s4, s[2:3], 0x30
	s_load_b128 s[44:47], s[2:3], 0x20
	s_load_b96 s[48:50], s[2:3], 0x50
	s_load_b256 s[36:43], s[2:3], 0x0
	s_wait_kmcnt 0x0
	s_bitcmp1_b32 s4, 0
	s_mov_b32 s4, -1
	s_cselect_b32 s55, -1, 0
	s_sub_co_i32 s56, s51, s54
	s_delay_alu instid0(SALU_CYCLE_1)
	s_cmp_lt_u32 s56, 0x1001
	s_cbranch_scc0 .LBB1833_7
; %bb.2:
	v_cndmask_b32_e64 v1, 0, 1, s55
	s_and_b32 s4, s48, 1
	s_get_pc_i64 s[28:29]
	s_add_nc_u64 s[28:29], s[28:29], _ZN7rocprim17ROCPRIM_400000_NS6detail40segmented_radix_sort_single_block_helperI6__halflLj256ELj16ELb0EE4sortIPKS3_PS3_PKlPlEEbT_T0_T1_T2_jjjjRNS4_12storage_typeE@rel64+4
	s_delay_alu instid0(VALU_DEP_1)
	v_cmp_ne_u32_e32 vcc_lo, s4, v1
	s_mov_b32 s4, -1
	s_cbranch_vccnz .LBB1833_4
; %bb.3:
	s_mov_b64 s[4:5], src_shared_base
	v_dual_mov_b32 v31, v0 :: v_dual_mov_b32 v40, v0
	v_dual_mov_b32 v0, s36 :: v_dual_mov_b32 v1, s37
	;; [unrolled: 1-line block ×8, first 2 shown]
	s_add_nc_u64 s[8:9], s[2:3], 0x60
	s_mov_b64 s[6:7], s[0:1]
	s_mov_b64 s[34:35], s[2:3]
	;; [unrolled: 1-line block ×3, first 2 shown]
	s_swap_pc_i64 s[30:31], s[28:29]
	v_mov_b32_e32 v0, v40
	s_mov_b64 s[0:1], s[52:53]
	s_mov_b64 s[2:3], s[34:35]
	s_mov_b32 s4, 0
.LBB1833_4:
	s_delay_alu instid0(SALU_CYCLE_1)
	s_and_not1_b32 vcc_lo, exec_lo, s4
	s_cbranch_vccnz .LBB1833_6
; %bb.5:
	s_mov_b64 s[4:5], src_shared_base
	v_dual_mov_b32 v31, v0 :: v_dual_mov_b32 v40, v0
	v_dual_mov_b32 v0, s36 :: v_dual_mov_b32 v1, s37
	;; [unrolled: 1-line block ×8, first 2 shown]
	s_add_nc_u64 s[8:9], s[2:3], 0x60
	s_mov_b64 s[6:7], s[0:1]
	s_mov_b64 s[34:35], s[2:3]
	s_swap_pc_i64 s[30:31], s[28:29]
	v_mov_b32_e32 v0, v40
	s_mov_b64 s[2:3], s[34:35]
.LBB1833_6:
	s_mov_b32 s4, 0
.LBB1833_7:
	s_delay_alu instid0(SALU_CYCLE_1)
	s_and_not1_b32 vcc_lo, exec_lo, s4
	s_cbranch_vccnz .LBB1833_1182
; %bb.8:
	s_cmp_ge_u32 s49, s50
	s_cbranch_scc1 .LBB1833_1182
; %bb.9:
	v_and_b32_e32 v2, 0x3ff, v0
	v_dual_mov_b32 v5, 0 :: v_dual_bitop2_b32 v1, 3, v0 bitop3:0x40
	v_lshrrev_b32_e32 v8, 3, v0
	v_bfe_u32 v89, v0, 20, 10
	s_delay_alu instid0(VALU_DEP_4) | instskip(NEXT) | instid1(VALU_DEP_4)
	v_dual_lshlrev_b32 v3, 2, v2 :: v_dual_lshlrev_b32 v4, 1, v2
	v_dual_lshlrev_b32 v83, 2, v1 :: v_dual_bitop2_b32 v1, 31, v2 bitop3:0x54
	s_delay_alu instid0(VALU_DEP_4) | instskip(NEXT) | instid1(VALU_DEP_3)
	v_dual_lshlrev_b32 v8, 4, v2 :: v_dual_bitop2_b32 v84, 28, v8 bitop3:0x40
	v_mad_u32_u24 v85, v2, 12, v3
	v_bfe_u32 v90, v0, 10, 10
	v_lshlrev_b32_e32 v0, 5, v2
	v_mbcnt_lo_u32_b32 v95, -1, 0
	v_and_b32_e32 v22, 0xe00, v8
	v_mad_u32_u24 v91, v2, 20, v85
	v_dual_mov_b32 v19, v5 :: v_dual_add_nc_u32 v88, 0x83fc, v84
	s_delay_alu instid0(VALU_DEP_3)
	v_dual_mov_b32 v21, v5 :: v_dual_lshlrev_b32 v18, 3, v22
	v_lshlrev_b32_e32 v20, 1, v22
	s_bfe_u32 s6, ttmp6, 0x40010
	v_sub_nc_u32_e32 v92, v91, v0
	v_dual_lshlrev_b32 v22, 1, v95 :: v_dual_bitop2_b32 v100, v95, v22 bitop3:0x54
	s_add_co_i32 s6, s6, 1
	v_add_nc_u64_e32 v[6:7], s[40:41], v[4:5]
	v_cmp_eq_u32_e64 s1, v2, v1
	s_mul_i32 s6, ttmp7, s6
	s_bfe_u32 s7, ttmp6, 0x40004
	v_add_nc_u64_e32 v[0:1], s[46:47], v[18:19]
	v_add_nc_u64_e32 v[8:9], s[40:41], v[20:21]
	;; [unrolled: 1-line block ×8, first 2 shown]
	v_or_b32_e32 v68, 0x100, v2
	v_or_b32_e32 v69, 0x200, v2
	;; [unrolled: 1-line block ×15, first 2 shown]
	v_cmp_gt_u32_e64 s0, 0x100, v2
	v_or_b32_e32 v86, 0x8400, v84
	v_cmp_gt_u32_e64 s4, 8, v2
	v_dual_mov_b32 v96, 1 :: v_dual_add_nc_u32 v87, 0x8400, v3
	v_cmp_lt_u32_e64 s5, 31, v2
	s_add_nc_u64 s[34:35], s[2:3], 0x60
	s_add_co_i32 s7, s7, s6
	v_cmp_eq_u32_e64 s2, 0, v2
	v_cmp_ne_u32_e64 s3, 0xff, v2
	v_dual_sub_nc_u32 v93, v92, v4 :: v_dual_bitop2_b32 v97, 15, v95 bitop3:0x40
	v_mul_u32_u24_e32 v94, 6, v2
	v_bfe_i32 v98, v95, 4, 1
	v_dual_lshlrev_b32 v4, 3, v95 :: v_dual_bitop2_b32 v99, 16, v95 bitop3:0x40
	v_and_b32_e32 v101, 7, v95
	v_sub_co_u32 v102, s6, v95, 1
	v_or_b32_e32 v103, 32, v100
	v_or_b32_e32 v104, 64, v100
	;; [unrolled: 1-line block ×15, first 2 shown]
	v_add_nc_u32_e32 v118, 0x420, v91
	v_add_nc_u32_e32 v119, 0x428, v91
	v_add_nc_u32_e32 v120, 0x430, v91
	v_add_nc_u32_e32 v121, 0x438, v91
	s_cmp_eq_u32 s27, 0
	s_mov_b32 s43, 0
	s_cselect_b32 s31, ttmp7, s7
	s_mov_b32 s48, s49
	s_branch .LBB1833_12
.LBB1833_10:                            ;   in Loop: Header=BB1833_12 Depth=1
	s_wait_dscnt 0x0
	s_barrier_signal -1
	s_barrier_wait -1
.LBB1833_11:                            ;   in Loop: Header=BB1833_12 Depth=1
	s_add_co_i32 s48, s48, 8
	s_delay_alu instid0(SALU_CYCLE_1)
	s_cmp_ge_u32 s48, s50
	s_cbranch_scc1 .LBB1833_1182
.LBB1833_12:                            ; =>This Loop Header: Depth=1
                                        ;     Child Loop BB1833_16 Depth 2
                                        ;     Child Loop BB1833_96 Depth 2
	;; [unrolled: 1-line block ×8, first 2 shown]
	s_sub_co_i32 s7, s50, s48
	s_xor_b32 s55, s55, -1
	s_min_u32 s7, s7, 8
	ds_store_2addr_stride64_b32 v3, v5, v5 offset1:4
	s_lshl_b32 s7, -1, s7
	ds_store_2addr_stride64_b32 v3, v5, v5 offset0:8 offset1:12
	s_not_b32 s52, s7
	s_cmp_lg_u32 s48, s49
	s_mov_b32 s7, -1
	s_wait_storecnt_dscnt 0x0
	s_cbranch_scc0 .LBB1833_598
; %bb.13:                               ;   in Loop: Header=BB1833_12 Depth=1
	s_and_b32 vcc_lo, exec_lo, s55
	s_cbranch_vccz .LBB1833_305
; %bb.14:                               ;   in Loop: Header=BB1833_12 Depth=1
	s_mov_b32 s7, s56
	s_mov_b32 s42, s54
	s_barrier_signal -1
	s_barrier_wait -1
                                        ; implicit-def: $vgpr23
                                        ; implicit-def: $vgpr24
                                        ; implicit-def: $vgpr25
                                        ; implicit-def: $vgpr26
                                        ; implicit-def: $vgpr27
                                        ; implicit-def: $vgpr28
                                        ; implicit-def: $vgpr29
                                        ; implicit-def: $vgpr30
                                        ; implicit-def: $vgpr31
                                        ; implicit-def: $vgpr32
                                        ; implicit-def: $vgpr33
                                        ; implicit-def: $vgpr34
                                        ; implicit-def: $vgpr35
                                        ; implicit-def: $vgpr36
                                        ; implicit-def: $vgpr37
                                        ; implicit-def: $vgpr38
	s_branch .LBB1833_16
.LBB1833_15:                            ;   in Loop: Header=BB1833_16 Depth=2
	s_or_b32 exec_lo, exec_lo, s8
	s_addk_co_i32 s7, 0xf000
	s_cmp_ge_u32 s10, s51
	s_mov_b32 s42, s10
	s_cbranch_scc1 .LBB1833_84
.LBB1833_16:                            ;   Parent Loop BB1833_12 Depth=1
                                        ; =>  This Inner Loop Header: Depth=2
	s_add_co_i32 s10, s42, 0x1000
	s_mov_b32 s8, -1
	s_cmp_gt_u32 s10, s51
                                        ; implicit-def: $vgpr39
                                        ; implicit-def: $vgpr40
                                        ; implicit-def: $vgpr41
                                        ; implicit-def: $vgpr42
                                        ; implicit-def: $vgpr43
                                        ; implicit-def: $vgpr44
                                        ; implicit-def: $vgpr45
                                        ; implicit-def: $vgpr46
                                        ; implicit-def: $vgpr47
                                        ; implicit-def: $vgpr48
                                        ; implicit-def: $vgpr49
                                        ; implicit-def: $vgpr50
                                        ; implicit-def: $vgpr51
                                        ; implicit-def: $vgpr52
                                        ; implicit-def: $vgpr53
                                        ; implicit-def: $vgpr54
	s_cbranch_scc1 .LBB1833_18
; %bb.17:                               ;   in Loop: Header=BB1833_16 Depth=2
	v_lshl_add_u64 v[54:55], s[42:43], 1, v[6:7]
	s_mov_b32 s8, 0
	s_clause 0xf
	global_load_u16 v39, v[54:55], off
	global_load_u16 v40, v[54:55], off offset:512
	global_load_u16 v41, v[54:55], off offset:1024
	;; [unrolled: 1-line block ×15, first 2 shown]
.LBB1833_18:                            ;   in Loop: Header=BB1833_16 Depth=2
	s_and_not1_b32 vcc_lo, exec_lo, s8
	s_movk_i32 s8, 0x1000
	s_cbranch_vccnz .LBB1833_37
; %bb.19:                               ;   in Loop: Header=BB1833_16 Depth=2
	s_lshl_b64 s[8:9], s[42:43], 1
	s_mov_b32 s11, exec_lo
	s_add_nc_u64 s[8:9], s[40:41], s[8:9]
	s_wait_xcnt 0x0
	v_cmpx_gt_u32_e64 s7, v2
	s_cbranch_execnz .LBB1833_69
; %bb.20:                               ;   in Loop: Header=BB1833_16 Depth=2
	s_or_b32 exec_lo, exec_lo, s11
	s_delay_alu instid0(SALU_CYCLE_1)
	s_mov_b32 s11, exec_lo
	v_cmpx_gt_u32_e64 s7, v68
	s_cbranch_execnz .LBB1833_70
.LBB1833_21:                            ;   in Loop: Header=BB1833_16 Depth=2
	s_or_b32 exec_lo, exec_lo, s11
	s_delay_alu instid0(SALU_CYCLE_1)
	s_mov_b32 s11, exec_lo
	v_cmpx_gt_u32_e64 s7, v69
	s_cbranch_execnz .LBB1833_71
.LBB1833_22:                            ;   in Loop: Header=BB1833_16 Depth=2
	s_or_b32 exec_lo, exec_lo, s11
	s_delay_alu instid0(SALU_CYCLE_1)
	s_mov_b32 s11, exec_lo
	v_cmpx_gt_u32_e64 s7, v70
	s_cbranch_execnz .LBB1833_72
.LBB1833_23:                            ;   in Loop: Header=BB1833_16 Depth=2
	s_or_b32 exec_lo, exec_lo, s11
	s_delay_alu instid0(SALU_CYCLE_1)
	s_mov_b32 s11, exec_lo
	v_cmpx_gt_u32_e64 s7, v71
	s_cbranch_execnz .LBB1833_73
.LBB1833_24:                            ;   in Loop: Header=BB1833_16 Depth=2
	s_or_b32 exec_lo, exec_lo, s11
	s_delay_alu instid0(SALU_CYCLE_1)
	s_mov_b32 s11, exec_lo
	v_cmpx_gt_u32_e64 s7, v72
	s_cbranch_execnz .LBB1833_74
.LBB1833_25:                            ;   in Loop: Header=BB1833_16 Depth=2
	s_or_b32 exec_lo, exec_lo, s11
	s_delay_alu instid0(SALU_CYCLE_1)
	s_mov_b32 s11, exec_lo
	v_cmpx_gt_u32_e64 s7, v73
	s_cbranch_execnz .LBB1833_75
.LBB1833_26:                            ;   in Loop: Header=BB1833_16 Depth=2
	s_or_b32 exec_lo, exec_lo, s11
	s_delay_alu instid0(SALU_CYCLE_1)
	s_mov_b32 s11, exec_lo
	v_cmpx_gt_u32_e64 s7, v74
	s_cbranch_execnz .LBB1833_76
.LBB1833_27:                            ;   in Loop: Header=BB1833_16 Depth=2
	s_or_b32 exec_lo, exec_lo, s11
	s_delay_alu instid0(SALU_CYCLE_1)
	s_mov_b32 s11, exec_lo
	v_cmpx_gt_u32_e64 s7, v75
	s_cbranch_execnz .LBB1833_77
.LBB1833_28:                            ;   in Loop: Header=BB1833_16 Depth=2
	s_or_b32 exec_lo, exec_lo, s11
	s_delay_alu instid0(SALU_CYCLE_1)
	s_mov_b32 s11, exec_lo
	v_cmpx_gt_u32_e64 s7, v76
	s_cbranch_execnz .LBB1833_78
.LBB1833_29:                            ;   in Loop: Header=BB1833_16 Depth=2
	s_or_b32 exec_lo, exec_lo, s11
	s_delay_alu instid0(SALU_CYCLE_1)
	s_mov_b32 s11, exec_lo
	v_cmpx_gt_u32_e64 s7, v77
	s_cbranch_execnz .LBB1833_79
.LBB1833_30:                            ;   in Loop: Header=BB1833_16 Depth=2
	s_or_b32 exec_lo, exec_lo, s11
	s_delay_alu instid0(SALU_CYCLE_1)
	s_mov_b32 s11, exec_lo
	v_cmpx_gt_u32_e64 s7, v78
	s_cbranch_execnz .LBB1833_80
.LBB1833_31:                            ;   in Loop: Header=BB1833_16 Depth=2
	s_or_b32 exec_lo, exec_lo, s11
	s_delay_alu instid0(SALU_CYCLE_1)
	s_mov_b32 s11, exec_lo
	v_cmpx_gt_u32_e64 s7, v79
	s_cbranch_execnz .LBB1833_81
.LBB1833_32:                            ;   in Loop: Header=BB1833_16 Depth=2
	s_or_b32 exec_lo, exec_lo, s11
	s_delay_alu instid0(SALU_CYCLE_1)
	s_mov_b32 s11, exec_lo
	v_cmpx_gt_u32_e64 s7, v80
	s_cbranch_execnz .LBB1833_82
.LBB1833_33:                            ;   in Loop: Header=BB1833_16 Depth=2
	s_or_b32 exec_lo, exec_lo, s11
	s_delay_alu instid0(SALU_CYCLE_1)
	s_mov_b32 s11, exec_lo
	v_cmpx_gt_u32_e64 s7, v81
	s_cbranch_execnz .LBB1833_83
.LBB1833_34:                            ;   in Loop: Header=BB1833_16 Depth=2
	s_or_b32 exec_lo, exec_lo, s11
	s_delay_alu instid0(SALU_CYCLE_1)
	s_mov_b32 s11, exec_lo
	v_cmpx_gt_u32_e64 s7, v82
	s_cbranch_execz .LBB1833_36
.LBB1833_35:                            ;   in Loop: Header=BB1833_16 Depth=2
	global_load_u16 v23, v2, s[8:9] offset:7680 scale_offset
.LBB1833_36:                            ;   in Loop: Header=BB1833_16 Depth=2
	s_wait_xcnt 0x0
	s_or_b32 exec_lo, exec_lo, s11
	s_wait_loadcnt 0x0
	v_dual_mov_b32 v39, v38 :: v_dual_mov_b32 v40, v37
	v_dual_mov_b32 v41, v36 :: v_dual_mov_b32 v42, v35
	;; [unrolled: 1-line block ×8, first 2 shown]
	s_mov_b32 s8, s7
.LBB1833_37:                            ;   in Loop: Header=BB1833_16 Depth=2
	s_wait_loadcnt 0x0
	s_delay_alu instid0(VALU_DEP_1)
	v_dual_mov_b32 v23, v54 :: v_dual_mov_b32 v24, v53
	v_dual_mov_b32 v25, v52 :: v_dual_mov_b32 v26, v51
	;; [unrolled: 1-line block ×8, first 2 shown]
	s_mov_b32 s9, exec_lo
	s_wait_xcnt 0x0
	v_cmpx_gt_u32_e64 s8, v2
	s_cbranch_execnz .LBB1833_53
; %bb.38:                               ;   in Loop: Header=BB1833_16 Depth=2
	s_or_b32 exec_lo, exec_lo, s9
	s_delay_alu instid0(SALU_CYCLE_1)
	s_mov_b32 s9, exec_lo
	v_cmpx_gt_u32_e64 s8, v68
	s_cbranch_execnz .LBB1833_54
.LBB1833_39:                            ;   in Loop: Header=BB1833_16 Depth=2
	s_or_b32 exec_lo, exec_lo, s9
	s_delay_alu instid0(SALU_CYCLE_1)
	s_mov_b32 s9, exec_lo
	v_cmpx_gt_u32_e64 s8, v69
	s_cbranch_execnz .LBB1833_55
.LBB1833_40:                            ;   in Loop: Header=BB1833_16 Depth=2
	s_or_b32 exec_lo, exec_lo, s9
	s_delay_alu instid0(SALU_CYCLE_1)
	s_mov_b32 s9, exec_lo
	v_cmpx_gt_u32_e64 s8, v70
	s_cbranch_execnz .LBB1833_56
.LBB1833_41:                            ;   in Loop: Header=BB1833_16 Depth=2
	s_or_b32 exec_lo, exec_lo, s9
	s_delay_alu instid0(SALU_CYCLE_1)
	s_mov_b32 s9, exec_lo
	v_cmpx_gt_u32_e64 s8, v71
	s_cbranch_execnz .LBB1833_57
.LBB1833_42:                            ;   in Loop: Header=BB1833_16 Depth=2
	s_or_b32 exec_lo, exec_lo, s9
	s_delay_alu instid0(SALU_CYCLE_1)
	s_mov_b32 s9, exec_lo
	v_cmpx_gt_u32_e64 s8, v72
	s_cbranch_execnz .LBB1833_58
.LBB1833_43:                            ;   in Loop: Header=BB1833_16 Depth=2
	s_or_b32 exec_lo, exec_lo, s9
	s_delay_alu instid0(SALU_CYCLE_1)
	s_mov_b32 s9, exec_lo
	v_cmpx_gt_u32_e64 s8, v73
	s_cbranch_execnz .LBB1833_59
.LBB1833_44:                            ;   in Loop: Header=BB1833_16 Depth=2
	s_or_b32 exec_lo, exec_lo, s9
	s_delay_alu instid0(SALU_CYCLE_1)
	s_mov_b32 s9, exec_lo
	v_cmpx_gt_u32_e64 s8, v74
	s_cbranch_execnz .LBB1833_60
.LBB1833_45:                            ;   in Loop: Header=BB1833_16 Depth=2
	s_or_b32 exec_lo, exec_lo, s9
	s_delay_alu instid0(SALU_CYCLE_1)
	s_mov_b32 s9, exec_lo
	v_cmpx_gt_u32_e64 s8, v75
	s_cbranch_execnz .LBB1833_61
.LBB1833_46:                            ;   in Loop: Header=BB1833_16 Depth=2
	s_or_b32 exec_lo, exec_lo, s9
	s_delay_alu instid0(SALU_CYCLE_1)
	s_mov_b32 s9, exec_lo
	v_cmpx_gt_u32_e64 s8, v76
	s_cbranch_execnz .LBB1833_62
.LBB1833_47:                            ;   in Loop: Header=BB1833_16 Depth=2
	s_or_b32 exec_lo, exec_lo, s9
	s_delay_alu instid0(SALU_CYCLE_1)
	s_mov_b32 s9, exec_lo
	v_cmpx_gt_u32_e64 s8, v77
	s_cbranch_execnz .LBB1833_63
.LBB1833_48:                            ;   in Loop: Header=BB1833_16 Depth=2
	s_or_b32 exec_lo, exec_lo, s9
	s_delay_alu instid0(SALU_CYCLE_1)
	s_mov_b32 s9, exec_lo
	v_cmpx_gt_u32_e64 s8, v78
	s_cbranch_execnz .LBB1833_64
.LBB1833_49:                            ;   in Loop: Header=BB1833_16 Depth=2
	s_or_b32 exec_lo, exec_lo, s9
	s_delay_alu instid0(SALU_CYCLE_1)
	s_mov_b32 s9, exec_lo
	v_cmpx_gt_u32_e64 s8, v79
	s_cbranch_execnz .LBB1833_65
.LBB1833_50:                            ;   in Loop: Header=BB1833_16 Depth=2
	s_or_b32 exec_lo, exec_lo, s9
	s_delay_alu instid0(SALU_CYCLE_1)
	s_mov_b32 s9, exec_lo
	v_cmpx_gt_u32_e64 s8, v80
	s_cbranch_execnz .LBB1833_66
.LBB1833_51:                            ;   in Loop: Header=BB1833_16 Depth=2
	s_or_b32 exec_lo, exec_lo, s9
	s_delay_alu instid0(SALU_CYCLE_1)
	s_mov_b32 s9, exec_lo
	v_cmpx_gt_u32_e64 s8, v81
	s_cbranch_execnz .LBB1833_67
.LBB1833_52:                            ;   in Loop: Header=BB1833_16 Depth=2
	s_or_b32 exec_lo, exec_lo, s9
	v_cmp_gt_u32_e32 vcc_lo, s8, v82
	s_and_saveexec_b32 s8, vcc_lo
	s_cbranch_execz .LBB1833_15
	s_branch .LBB1833_68
.LBB1833_53:                            ;   in Loop: Header=BB1833_16 Depth=2
	v_cmp_lt_i16_e32 vcc_lo, -1, v38
	v_cndmask_b32_e64 v39, -1, 0xffff8000, vcc_lo
	s_delay_alu instid0(VALU_DEP_1) | instskip(NEXT) | instid1(VALU_DEP_1)
	v_xor_b32_e32 v39, v39, v38
	v_cmp_ne_u16_e32 vcc_lo, 0x7fff, v39
	v_cndmask_b32_e32 v39, 0xffff8000, v39, vcc_lo
	s_delay_alu instid0(VALU_DEP_1) | instskip(NEXT) | instid1(VALU_DEP_1)
	v_and_b32_e32 v39, 0xffff, v39
	v_lshrrev_b32_e32 v39, s48, v39
	s_delay_alu instid0(VALU_DEP_1) | instskip(NEXT) | instid1(VALU_DEP_1)
	v_and_b32_e32 v39, s52, v39
	v_lshl_or_b32 v39, v39, 4, v83
	ds_add_u32 v39, v96
	s_or_b32 exec_lo, exec_lo, s9
	s_delay_alu instid0(SALU_CYCLE_1)
	s_mov_b32 s9, exec_lo
	v_cmpx_gt_u32_e64 s8, v68
	s_cbranch_execz .LBB1833_39
.LBB1833_54:                            ;   in Loop: Header=BB1833_16 Depth=2
	v_cmp_lt_i16_e32 vcc_lo, -1, v37
	v_cndmask_b32_e64 v39, -1, 0xffff8000, vcc_lo
	s_delay_alu instid0(VALU_DEP_1) | instskip(NEXT) | instid1(VALU_DEP_1)
	v_xor_b32_e32 v39, v39, v37
	v_cmp_ne_u16_e32 vcc_lo, 0x7fff, v39
	v_cndmask_b32_e32 v39, 0xffff8000, v39, vcc_lo
	s_delay_alu instid0(VALU_DEP_1) | instskip(NEXT) | instid1(VALU_DEP_1)
	v_and_b32_e32 v39, 0xffff, v39
	v_lshrrev_b32_e32 v39, s48, v39
	s_delay_alu instid0(VALU_DEP_1) | instskip(NEXT) | instid1(VALU_DEP_1)
	v_and_b32_e32 v39, s52, v39
	v_lshl_or_b32 v39, v39, 4, v83
	ds_add_u32 v39, v96
	s_or_b32 exec_lo, exec_lo, s9
	s_delay_alu instid0(SALU_CYCLE_1)
	s_mov_b32 s9, exec_lo
	v_cmpx_gt_u32_e64 s8, v69
	s_cbranch_execz .LBB1833_40
.LBB1833_55:                            ;   in Loop: Header=BB1833_16 Depth=2
	v_cmp_lt_i16_e32 vcc_lo, -1, v36
	v_cndmask_b32_e64 v39, -1, 0xffff8000, vcc_lo
	s_delay_alu instid0(VALU_DEP_1) | instskip(NEXT) | instid1(VALU_DEP_1)
	v_xor_b32_e32 v39, v39, v36
	v_cmp_ne_u16_e32 vcc_lo, 0x7fff, v39
	v_cndmask_b32_e32 v39, 0xffff8000, v39, vcc_lo
	s_delay_alu instid0(VALU_DEP_1) | instskip(NEXT) | instid1(VALU_DEP_1)
	v_and_b32_e32 v39, 0xffff, v39
	v_lshrrev_b32_e32 v39, s48, v39
	s_delay_alu instid0(VALU_DEP_1) | instskip(NEXT) | instid1(VALU_DEP_1)
	v_and_b32_e32 v39, s52, v39
	v_lshl_or_b32 v39, v39, 4, v83
	ds_add_u32 v39, v96
	s_or_b32 exec_lo, exec_lo, s9
	s_delay_alu instid0(SALU_CYCLE_1)
	s_mov_b32 s9, exec_lo
	v_cmpx_gt_u32_e64 s8, v70
	s_cbranch_execz .LBB1833_41
.LBB1833_56:                            ;   in Loop: Header=BB1833_16 Depth=2
	v_cmp_lt_i16_e32 vcc_lo, -1, v35
	v_cndmask_b32_e64 v39, -1, 0xffff8000, vcc_lo
	s_delay_alu instid0(VALU_DEP_1) | instskip(NEXT) | instid1(VALU_DEP_1)
	v_xor_b32_e32 v39, v39, v35
	v_cmp_ne_u16_e32 vcc_lo, 0x7fff, v39
	v_cndmask_b32_e32 v39, 0xffff8000, v39, vcc_lo
	s_delay_alu instid0(VALU_DEP_1) | instskip(NEXT) | instid1(VALU_DEP_1)
	v_and_b32_e32 v39, 0xffff, v39
	v_lshrrev_b32_e32 v39, s48, v39
	s_delay_alu instid0(VALU_DEP_1) | instskip(NEXT) | instid1(VALU_DEP_1)
	v_and_b32_e32 v39, s52, v39
	v_lshl_or_b32 v39, v39, 4, v83
	ds_add_u32 v39, v96
	s_or_b32 exec_lo, exec_lo, s9
	s_delay_alu instid0(SALU_CYCLE_1)
	s_mov_b32 s9, exec_lo
	v_cmpx_gt_u32_e64 s8, v71
	s_cbranch_execz .LBB1833_42
.LBB1833_57:                            ;   in Loop: Header=BB1833_16 Depth=2
	v_cmp_lt_i16_e32 vcc_lo, -1, v34
	v_cndmask_b32_e64 v39, -1, 0xffff8000, vcc_lo
	s_delay_alu instid0(VALU_DEP_1) | instskip(NEXT) | instid1(VALU_DEP_1)
	v_xor_b32_e32 v39, v39, v34
	v_cmp_ne_u16_e32 vcc_lo, 0x7fff, v39
	v_cndmask_b32_e32 v39, 0xffff8000, v39, vcc_lo
	s_delay_alu instid0(VALU_DEP_1) | instskip(NEXT) | instid1(VALU_DEP_1)
	v_and_b32_e32 v39, 0xffff, v39
	v_lshrrev_b32_e32 v39, s48, v39
	s_delay_alu instid0(VALU_DEP_1) | instskip(NEXT) | instid1(VALU_DEP_1)
	v_and_b32_e32 v39, s52, v39
	v_lshl_or_b32 v39, v39, 4, v83
	ds_add_u32 v39, v96
	s_or_b32 exec_lo, exec_lo, s9
	s_delay_alu instid0(SALU_CYCLE_1)
	s_mov_b32 s9, exec_lo
	v_cmpx_gt_u32_e64 s8, v72
	s_cbranch_execz .LBB1833_43
.LBB1833_58:                            ;   in Loop: Header=BB1833_16 Depth=2
	v_cmp_lt_i16_e32 vcc_lo, -1, v33
	v_cndmask_b32_e64 v39, -1, 0xffff8000, vcc_lo
	s_delay_alu instid0(VALU_DEP_1) | instskip(NEXT) | instid1(VALU_DEP_1)
	v_xor_b32_e32 v39, v39, v33
	v_cmp_ne_u16_e32 vcc_lo, 0x7fff, v39
	v_cndmask_b32_e32 v39, 0xffff8000, v39, vcc_lo
	s_delay_alu instid0(VALU_DEP_1) | instskip(NEXT) | instid1(VALU_DEP_1)
	v_and_b32_e32 v39, 0xffff, v39
	v_lshrrev_b32_e32 v39, s48, v39
	s_delay_alu instid0(VALU_DEP_1) | instskip(NEXT) | instid1(VALU_DEP_1)
	v_and_b32_e32 v39, s52, v39
	v_lshl_or_b32 v39, v39, 4, v83
	ds_add_u32 v39, v96
	s_or_b32 exec_lo, exec_lo, s9
	s_delay_alu instid0(SALU_CYCLE_1)
	s_mov_b32 s9, exec_lo
	v_cmpx_gt_u32_e64 s8, v73
	s_cbranch_execz .LBB1833_44
.LBB1833_59:                            ;   in Loop: Header=BB1833_16 Depth=2
	v_cmp_lt_i16_e32 vcc_lo, -1, v32
	v_cndmask_b32_e64 v39, -1, 0xffff8000, vcc_lo
	s_delay_alu instid0(VALU_DEP_1) | instskip(NEXT) | instid1(VALU_DEP_1)
	v_xor_b32_e32 v39, v39, v32
	v_cmp_ne_u16_e32 vcc_lo, 0x7fff, v39
	v_cndmask_b32_e32 v39, 0xffff8000, v39, vcc_lo
	s_delay_alu instid0(VALU_DEP_1) | instskip(NEXT) | instid1(VALU_DEP_1)
	v_and_b32_e32 v39, 0xffff, v39
	v_lshrrev_b32_e32 v39, s48, v39
	s_delay_alu instid0(VALU_DEP_1) | instskip(NEXT) | instid1(VALU_DEP_1)
	v_and_b32_e32 v39, s52, v39
	v_lshl_or_b32 v39, v39, 4, v83
	ds_add_u32 v39, v96
	s_or_b32 exec_lo, exec_lo, s9
	s_delay_alu instid0(SALU_CYCLE_1)
	s_mov_b32 s9, exec_lo
	v_cmpx_gt_u32_e64 s8, v74
	s_cbranch_execz .LBB1833_45
.LBB1833_60:                            ;   in Loop: Header=BB1833_16 Depth=2
	v_cmp_lt_i16_e32 vcc_lo, -1, v31
	v_cndmask_b32_e64 v39, -1, 0xffff8000, vcc_lo
	s_delay_alu instid0(VALU_DEP_1) | instskip(NEXT) | instid1(VALU_DEP_1)
	v_xor_b32_e32 v39, v39, v31
	v_cmp_ne_u16_e32 vcc_lo, 0x7fff, v39
	v_cndmask_b32_e32 v39, 0xffff8000, v39, vcc_lo
	s_delay_alu instid0(VALU_DEP_1) | instskip(NEXT) | instid1(VALU_DEP_1)
	v_and_b32_e32 v39, 0xffff, v39
	v_lshrrev_b32_e32 v39, s48, v39
	s_delay_alu instid0(VALU_DEP_1) | instskip(NEXT) | instid1(VALU_DEP_1)
	v_and_b32_e32 v39, s52, v39
	v_lshl_or_b32 v39, v39, 4, v83
	ds_add_u32 v39, v96
	s_or_b32 exec_lo, exec_lo, s9
	s_delay_alu instid0(SALU_CYCLE_1)
	s_mov_b32 s9, exec_lo
	v_cmpx_gt_u32_e64 s8, v75
	s_cbranch_execz .LBB1833_46
.LBB1833_61:                            ;   in Loop: Header=BB1833_16 Depth=2
	v_cmp_lt_i16_e32 vcc_lo, -1, v30
	v_cndmask_b32_e64 v39, -1, 0xffff8000, vcc_lo
	s_delay_alu instid0(VALU_DEP_1) | instskip(NEXT) | instid1(VALU_DEP_1)
	v_xor_b32_e32 v39, v39, v30
	v_cmp_ne_u16_e32 vcc_lo, 0x7fff, v39
	v_cndmask_b32_e32 v39, 0xffff8000, v39, vcc_lo
	s_delay_alu instid0(VALU_DEP_1) | instskip(NEXT) | instid1(VALU_DEP_1)
	v_and_b32_e32 v39, 0xffff, v39
	v_lshrrev_b32_e32 v39, s48, v39
	s_delay_alu instid0(VALU_DEP_1) | instskip(NEXT) | instid1(VALU_DEP_1)
	v_and_b32_e32 v39, s52, v39
	v_lshl_or_b32 v39, v39, 4, v83
	ds_add_u32 v39, v96
	s_or_b32 exec_lo, exec_lo, s9
	s_delay_alu instid0(SALU_CYCLE_1)
	s_mov_b32 s9, exec_lo
	v_cmpx_gt_u32_e64 s8, v76
	s_cbranch_execz .LBB1833_47
.LBB1833_62:                            ;   in Loop: Header=BB1833_16 Depth=2
	v_cmp_lt_i16_e32 vcc_lo, -1, v29
	v_cndmask_b32_e64 v39, -1, 0xffff8000, vcc_lo
	s_delay_alu instid0(VALU_DEP_1) | instskip(NEXT) | instid1(VALU_DEP_1)
	v_xor_b32_e32 v39, v39, v29
	v_cmp_ne_u16_e32 vcc_lo, 0x7fff, v39
	v_cndmask_b32_e32 v39, 0xffff8000, v39, vcc_lo
	s_delay_alu instid0(VALU_DEP_1) | instskip(NEXT) | instid1(VALU_DEP_1)
	v_and_b32_e32 v39, 0xffff, v39
	v_lshrrev_b32_e32 v39, s48, v39
	s_delay_alu instid0(VALU_DEP_1) | instskip(NEXT) | instid1(VALU_DEP_1)
	v_and_b32_e32 v39, s52, v39
	v_lshl_or_b32 v39, v39, 4, v83
	ds_add_u32 v39, v96
	s_or_b32 exec_lo, exec_lo, s9
	s_delay_alu instid0(SALU_CYCLE_1)
	s_mov_b32 s9, exec_lo
	v_cmpx_gt_u32_e64 s8, v77
	s_cbranch_execz .LBB1833_48
.LBB1833_63:                            ;   in Loop: Header=BB1833_16 Depth=2
	v_cmp_lt_i16_e32 vcc_lo, -1, v28
	v_cndmask_b32_e64 v39, -1, 0xffff8000, vcc_lo
	s_delay_alu instid0(VALU_DEP_1) | instskip(NEXT) | instid1(VALU_DEP_1)
	v_xor_b32_e32 v39, v39, v28
	v_cmp_ne_u16_e32 vcc_lo, 0x7fff, v39
	v_cndmask_b32_e32 v39, 0xffff8000, v39, vcc_lo
	s_delay_alu instid0(VALU_DEP_1) | instskip(NEXT) | instid1(VALU_DEP_1)
	v_and_b32_e32 v39, 0xffff, v39
	v_lshrrev_b32_e32 v39, s48, v39
	s_delay_alu instid0(VALU_DEP_1) | instskip(NEXT) | instid1(VALU_DEP_1)
	v_and_b32_e32 v39, s52, v39
	v_lshl_or_b32 v39, v39, 4, v83
	ds_add_u32 v39, v96
	s_or_b32 exec_lo, exec_lo, s9
	s_delay_alu instid0(SALU_CYCLE_1)
	s_mov_b32 s9, exec_lo
	v_cmpx_gt_u32_e64 s8, v78
	s_cbranch_execz .LBB1833_49
.LBB1833_64:                            ;   in Loop: Header=BB1833_16 Depth=2
	v_cmp_lt_i16_e32 vcc_lo, -1, v27
	v_cndmask_b32_e64 v39, -1, 0xffff8000, vcc_lo
	s_delay_alu instid0(VALU_DEP_1) | instskip(NEXT) | instid1(VALU_DEP_1)
	v_xor_b32_e32 v39, v39, v27
	v_cmp_ne_u16_e32 vcc_lo, 0x7fff, v39
	v_cndmask_b32_e32 v39, 0xffff8000, v39, vcc_lo
	s_delay_alu instid0(VALU_DEP_1) | instskip(NEXT) | instid1(VALU_DEP_1)
	v_and_b32_e32 v39, 0xffff, v39
	v_lshrrev_b32_e32 v39, s48, v39
	s_delay_alu instid0(VALU_DEP_1) | instskip(NEXT) | instid1(VALU_DEP_1)
	v_and_b32_e32 v39, s52, v39
	v_lshl_or_b32 v39, v39, 4, v83
	ds_add_u32 v39, v96
	s_or_b32 exec_lo, exec_lo, s9
	s_delay_alu instid0(SALU_CYCLE_1)
	s_mov_b32 s9, exec_lo
	v_cmpx_gt_u32_e64 s8, v79
	s_cbranch_execz .LBB1833_50
.LBB1833_65:                            ;   in Loop: Header=BB1833_16 Depth=2
	v_cmp_lt_i16_e32 vcc_lo, -1, v26
	v_cndmask_b32_e64 v39, -1, 0xffff8000, vcc_lo
	s_delay_alu instid0(VALU_DEP_1) | instskip(NEXT) | instid1(VALU_DEP_1)
	v_xor_b32_e32 v39, v39, v26
	v_cmp_ne_u16_e32 vcc_lo, 0x7fff, v39
	v_cndmask_b32_e32 v39, 0xffff8000, v39, vcc_lo
	s_delay_alu instid0(VALU_DEP_1) | instskip(NEXT) | instid1(VALU_DEP_1)
	v_and_b32_e32 v39, 0xffff, v39
	v_lshrrev_b32_e32 v39, s48, v39
	s_delay_alu instid0(VALU_DEP_1) | instskip(NEXT) | instid1(VALU_DEP_1)
	v_and_b32_e32 v39, s52, v39
	v_lshl_or_b32 v39, v39, 4, v83
	ds_add_u32 v39, v96
	s_or_b32 exec_lo, exec_lo, s9
	s_delay_alu instid0(SALU_CYCLE_1)
	s_mov_b32 s9, exec_lo
	v_cmpx_gt_u32_e64 s8, v80
	s_cbranch_execz .LBB1833_51
.LBB1833_66:                            ;   in Loop: Header=BB1833_16 Depth=2
	v_cmp_lt_i16_e32 vcc_lo, -1, v25
	v_cndmask_b32_e64 v39, -1, 0xffff8000, vcc_lo
	s_delay_alu instid0(VALU_DEP_1) | instskip(NEXT) | instid1(VALU_DEP_1)
	v_xor_b32_e32 v39, v39, v25
	v_cmp_ne_u16_e32 vcc_lo, 0x7fff, v39
	v_cndmask_b32_e32 v39, 0xffff8000, v39, vcc_lo
	s_delay_alu instid0(VALU_DEP_1) | instskip(NEXT) | instid1(VALU_DEP_1)
	v_and_b32_e32 v39, 0xffff, v39
	v_lshrrev_b32_e32 v39, s48, v39
	s_delay_alu instid0(VALU_DEP_1) | instskip(NEXT) | instid1(VALU_DEP_1)
	v_and_b32_e32 v39, s52, v39
	v_lshl_or_b32 v39, v39, 4, v83
	ds_add_u32 v39, v96
	s_or_b32 exec_lo, exec_lo, s9
	s_delay_alu instid0(SALU_CYCLE_1)
	s_mov_b32 s9, exec_lo
	v_cmpx_gt_u32_e64 s8, v81
	s_cbranch_execz .LBB1833_52
.LBB1833_67:                            ;   in Loop: Header=BB1833_16 Depth=2
	v_cmp_lt_i16_e32 vcc_lo, -1, v24
	v_cndmask_b32_e64 v39, -1, 0xffff8000, vcc_lo
	s_delay_alu instid0(VALU_DEP_1) | instskip(NEXT) | instid1(VALU_DEP_1)
	v_xor_b32_e32 v39, v39, v24
	v_cmp_ne_u16_e32 vcc_lo, 0x7fff, v39
	v_cndmask_b32_e32 v39, 0xffff8000, v39, vcc_lo
	s_delay_alu instid0(VALU_DEP_1) | instskip(NEXT) | instid1(VALU_DEP_1)
	v_and_b32_e32 v39, 0xffff, v39
	v_lshrrev_b32_e32 v39, s48, v39
	s_delay_alu instid0(VALU_DEP_1) | instskip(NEXT) | instid1(VALU_DEP_1)
	v_and_b32_e32 v39, s52, v39
	v_lshl_or_b32 v39, v39, 4, v83
	ds_add_u32 v39, v96
	s_or_b32 exec_lo, exec_lo, s9
	v_cmp_gt_u32_e32 vcc_lo, s8, v82
	s_and_saveexec_b32 s8, vcc_lo
	s_cbranch_execz .LBB1833_15
.LBB1833_68:                            ;   in Loop: Header=BB1833_16 Depth=2
	v_cmp_lt_i16_e32 vcc_lo, -1, v23
	v_cndmask_b32_e64 v39, -1, 0xffff8000, vcc_lo
	s_delay_alu instid0(VALU_DEP_1) | instskip(NEXT) | instid1(VALU_DEP_1)
	v_xor_b32_e32 v39, v39, v23
	v_cmp_ne_u16_e32 vcc_lo, 0x7fff, v39
	v_cndmask_b32_e32 v39, 0xffff8000, v39, vcc_lo
	s_delay_alu instid0(VALU_DEP_1) | instskip(NEXT) | instid1(VALU_DEP_1)
	v_and_b32_e32 v39, 0xffff, v39
	v_lshrrev_b32_e32 v39, s48, v39
	s_delay_alu instid0(VALU_DEP_1) | instskip(NEXT) | instid1(VALU_DEP_1)
	v_and_b32_e32 v39, s52, v39
	v_lshl_or_b32 v39, v39, 4, v83
	ds_add_u32 v39, v96
	s_branch .LBB1833_15
.LBB1833_69:                            ;   in Loop: Header=BB1833_16 Depth=2
	global_load_u16 v38, v2, s[8:9] scale_offset
	s_wait_xcnt 0x0
	s_or_b32 exec_lo, exec_lo, s11
	s_delay_alu instid0(SALU_CYCLE_1)
	s_mov_b32 s11, exec_lo
	v_cmpx_gt_u32_e64 s7, v68
	s_cbranch_execz .LBB1833_21
.LBB1833_70:                            ;   in Loop: Header=BB1833_16 Depth=2
	global_load_u16 v37, v2, s[8:9] offset:512 scale_offset
	s_wait_xcnt 0x0
	s_or_b32 exec_lo, exec_lo, s11
	s_delay_alu instid0(SALU_CYCLE_1)
	s_mov_b32 s11, exec_lo
	v_cmpx_gt_u32_e64 s7, v69
	s_cbranch_execz .LBB1833_22
.LBB1833_71:                            ;   in Loop: Header=BB1833_16 Depth=2
	global_load_u16 v36, v2, s[8:9] offset:1024 scale_offset
	s_wait_xcnt 0x0
	s_or_b32 exec_lo, exec_lo, s11
	s_delay_alu instid0(SALU_CYCLE_1)
	s_mov_b32 s11, exec_lo
	v_cmpx_gt_u32_e64 s7, v70
	s_cbranch_execz .LBB1833_23
.LBB1833_72:                            ;   in Loop: Header=BB1833_16 Depth=2
	global_load_u16 v35, v2, s[8:9] offset:1536 scale_offset
	s_wait_xcnt 0x0
	s_or_b32 exec_lo, exec_lo, s11
	s_delay_alu instid0(SALU_CYCLE_1)
	s_mov_b32 s11, exec_lo
	v_cmpx_gt_u32_e64 s7, v71
	s_cbranch_execz .LBB1833_24
.LBB1833_73:                            ;   in Loop: Header=BB1833_16 Depth=2
	global_load_u16 v34, v2, s[8:9] offset:2048 scale_offset
	s_wait_xcnt 0x0
	s_or_b32 exec_lo, exec_lo, s11
	s_delay_alu instid0(SALU_CYCLE_1)
	s_mov_b32 s11, exec_lo
	v_cmpx_gt_u32_e64 s7, v72
	s_cbranch_execz .LBB1833_25
.LBB1833_74:                            ;   in Loop: Header=BB1833_16 Depth=2
	global_load_u16 v33, v2, s[8:9] offset:2560 scale_offset
	s_wait_xcnt 0x0
	s_or_b32 exec_lo, exec_lo, s11
	s_delay_alu instid0(SALU_CYCLE_1)
	s_mov_b32 s11, exec_lo
	v_cmpx_gt_u32_e64 s7, v73
	s_cbranch_execz .LBB1833_26
.LBB1833_75:                            ;   in Loop: Header=BB1833_16 Depth=2
	global_load_u16 v32, v2, s[8:9] offset:3072 scale_offset
	s_wait_xcnt 0x0
	s_or_b32 exec_lo, exec_lo, s11
	s_delay_alu instid0(SALU_CYCLE_1)
	s_mov_b32 s11, exec_lo
	v_cmpx_gt_u32_e64 s7, v74
	s_cbranch_execz .LBB1833_27
.LBB1833_76:                            ;   in Loop: Header=BB1833_16 Depth=2
	global_load_u16 v31, v2, s[8:9] offset:3584 scale_offset
	s_wait_xcnt 0x0
	s_or_b32 exec_lo, exec_lo, s11
	s_delay_alu instid0(SALU_CYCLE_1)
	s_mov_b32 s11, exec_lo
	v_cmpx_gt_u32_e64 s7, v75
	s_cbranch_execz .LBB1833_28
.LBB1833_77:                            ;   in Loop: Header=BB1833_16 Depth=2
	global_load_u16 v30, v2, s[8:9] offset:4096 scale_offset
	s_wait_xcnt 0x0
	s_or_b32 exec_lo, exec_lo, s11
	s_delay_alu instid0(SALU_CYCLE_1)
	s_mov_b32 s11, exec_lo
	v_cmpx_gt_u32_e64 s7, v76
	s_cbranch_execz .LBB1833_29
.LBB1833_78:                            ;   in Loop: Header=BB1833_16 Depth=2
	global_load_u16 v29, v2, s[8:9] offset:4608 scale_offset
	s_wait_xcnt 0x0
	s_or_b32 exec_lo, exec_lo, s11
	s_delay_alu instid0(SALU_CYCLE_1)
	s_mov_b32 s11, exec_lo
	v_cmpx_gt_u32_e64 s7, v77
	s_cbranch_execz .LBB1833_30
.LBB1833_79:                            ;   in Loop: Header=BB1833_16 Depth=2
	global_load_u16 v28, v2, s[8:9] offset:5120 scale_offset
	s_wait_xcnt 0x0
	s_or_b32 exec_lo, exec_lo, s11
	s_delay_alu instid0(SALU_CYCLE_1)
	s_mov_b32 s11, exec_lo
	v_cmpx_gt_u32_e64 s7, v78
	s_cbranch_execz .LBB1833_31
.LBB1833_80:                            ;   in Loop: Header=BB1833_16 Depth=2
	global_load_u16 v27, v2, s[8:9] offset:5632 scale_offset
	s_wait_xcnt 0x0
	s_or_b32 exec_lo, exec_lo, s11
	s_delay_alu instid0(SALU_CYCLE_1)
	s_mov_b32 s11, exec_lo
	v_cmpx_gt_u32_e64 s7, v79
	s_cbranch_execz .LBB1833_32
.LBB1833_81:                            ;   in Loop: Header=BB1833_16 Depth=2
	global_load_u16 v26, v2, s[8:9] offset:6144 scale_offset
	s_wait_xcnt 0x0
	s_or_b32 exec_lo, exec_lo, s11
	s_delay_alu instid0(SALU_CYCLE_1)
	s_mov_b32 s11, exec_lo
	v_cmpx_gt_u32_e64 s7, v80
	s_cbranch_execz .LBB1833_33
.LBB1833_82:                            ;   in Loop: Header=BB1833_16 Depth=2
	global_load_u16 v25, v2, s[8:9] offset:6656 scale_offset
	s_wait_xcnt 0x0
	s_or_b32 exec_lo, exec_lo, s11
	s_delay_alu instid0(SALU_CYCLE_1)
	s_mov_b32 s11, exec_lo
	v_cmpx_gt_u32_e64 s7, v81
	s_cbranch_execz .LBB1833_34
.LBB1833_83:                            ;   in Loop: Header=BB1833_16 Depth=2
	global_load_u16 v24, v2, s[8:9] offset:7168 scale_offset
	s_wait_xcnt 0x0
	s_or_b32 exec_lo, exec_lo, s11
	s_delay_alu instid0(SALU_CYCLE_1)
	s_mov_b32 s11, exec_lo
	v_cmpx_gt_u32_e64 s7, v82
	s_cbranch_execnz .LBB1833_35
	s_branch .LBB1833_36
.LBB1833_84:                            ;   in Loop: Header=BB1833_12 Depth=1
	v_mov_b32_e32 v23, 0
	s_wait_dscnt 0x0
	s_barrier_signal -1
	s_barrier_wait -1
	s_and_saveexec_b32 s7, s0
	s_cbranch_execz .LBB1833_86
; %bb.85:                               ;   in Loop: Header=BB1833_12 Depth=1
	ds_load_2addr_b64 v[24:27], v85 offset1:1
	s_wait_dscnt 0x0
	v_add_nc_u32_e32 v23, v25, v24
	s_delay_alu instid0(VALU_DEP_1)
	v_add3_u32 v23, v23, v26, v27
.LBB1833_86:                            ;   in Loop: Header=BB1833_12 Depth=1
	s_or_b32 exec_lo, exec_lo, s7
	s_delay_alu instid0(VALU_DEP_1)
	v_mov_b32_dpp v24, v23 row_shr:1 row_mask:0xf bank_mask:0xf
	v_cmp_eq_u32_e64 s7, 0, v97
	v_cmp_lt_u32_e64 s8, 1, v97
	v_cmp_lt_u32_e64 s9, 3, v97
	;; [unrolled: 1-line block ×3, first 2 shown]
	v_cmp_eq_u32_e64 s11, 0, v99
	v_cndmask_b32_e64 v24, v24, 0, s7
	s_delay_alu instid0(VALU_DEP_1) | instskip(NEXT) | instid1(VALU_DEP_1)
	v_add_nc_u32_e32 v23, v24, v23
	v_mov_b32_dpp v24, v23 row_shr:2 row_mask:0xf bank_mask:0xf
	s_delay_alu instid0(VALU_DEP_1) | instskip(NEXT) | instid1(VALU_DEP_1)
	v_cndmask_b32_e64 v24, 0, v24, s8
	v_add_nc_u32_e32 v23, v23, v24
	s_delay_alu instid0(VALU_DEP_1) | instskip(NEXT) | instid1(VALU_DEP_1)
	v_mov_b32_dpp v24, v23 row_shr:4 row_mask:0xf bank_mask:0xf
	v_cndmask_b32_e64 v24, 0, v24, s9
	s_delay_alu instid0(VALU_DEP_1) | instskip(NEXT) | instid1(VALU_DEP_1)
	v_add_nc_u32_e32 v23, v23, v24
	v_mov_b32_dpp v24, v23 row_shr:8 row_mask:0xf bank_mask:0xf
	s_delay_alu instid0(VALU_DEP_1) | instskip(NEXT) | instid1(VALU_DEP_1)
	v_cndmask_b32_e64 v24, 0, v24, s10
	v_add_nc_u32_e32 v23, v23, v24
	ds_swizzle_b32 v24, v23 offset:swizzle(BROADCAST,32,15)
	s_wait_dscnt 0x0
	v_and_b32_e32 v24, v98, v24
	s_delay_alu instid0(VALU_DEP_1)
	v_add_nc_u32_e32 v23, v23, v24
	s_and_saveexec_b32 s12, s1
; %bb.87:                               ;   in Loop: Header=BB1833_12 Depth=1
	ds_store_b32 v86, v23
; %bb.88:                               ;   in Loop: Header=BB1833_12 Depth=1
	s_or_b32 exec_lo, exec_lo, s12
	s_wait_dscnt 0x0
	s_barrier_signal -1
	s_barrier_wait -1
	s_and_saveexec_b32 s12, s4
	s_cbranch_execz .LBB1833_90
; %bb.89:                               ;   in Loop: Header=BB1833_12 Depth=1
	ds_load_b32 v24, v87
	v_cmp_ne_u32_e32 vcc_lo, 0, v101
	s_wait_dscnt 0x0
	v_mov_b32_dpp v25, v24 row_shr:1 row_mask:0xf bank_mask:0xf
	s_delay_alu instid0(VALU_DEP_1) | instskip(SKIP_1) | instid1(VALU_DEP_2)
	v_cndmask_b32_e32 v25, 0, v25, vcc_lo
	v_cmp_lt_u32_e32 vcc_lo, 1, v101
	v_add_nc_u32_e32 v24, v25, v24
	s_delay_alu instid0(VALU_DEP_1) | instskip(NEXT) | instid1(VALU_DEP_1)
	v_mov_b32_dpp v25, v24 row_shr:2 row_mask:0xf bank_mask:0xf
	v_cndmask_b32_e32 v25, 0, v25, vcc_lo
	v_cmp_lt_u32_e32 vcc_lo, 3, v101
	s_delay_alu instid0(VALU_DEP_2) | instskip(NEXT) | instid1(VALU_DEP_1)
	v_add_nc_u32_e32 v24, v24, v25
	v_mov_b32_dpp v25, v24 row_shr:4 row_mask:0xf bank_mask:0xf
	s_delay_alu instid0(VALU_DEP_1) | instskip(NEXT) | instid1(VALU_DEP_1)
	v_cndmask_b32_e32 v25, 0, v25, vcc_lo
	v_add_nc_u32_e32 v24, v24, v25
	ds_store_b32 v87, v24
.LBB1833_90:                            ;   in Loop: Header=BB1833_12 Depth=1
	s_or_b32 exec_lo, exec_lo, s12
	v_mov_b32_e32 v24, 0
	s_wait_dscnt 0x0
	s_barrier_signal -1
	s_barrier_wait -1
	s_and_saveexec_b32 s12, s5
; %bb.91:                               ;   in Loop: Header=BB1833_12 Depth=1
	ds_load_b32 v24, v88
; %bb.92:                               ;   in Loop: Header=BB1833_12 Depth=1
	s_or_b32 exec_lo, exec_lo, s12
	v_cmp_gt_i32_e32 vcc_lo, 0, v102
	s_wait_dscnt 0x0
	s_barrier_signal -1
	s_barrier_wait -1
	v_cndmask_b32_e32 v25, v102, v95, vcc_lo
	s_delay_alu instid0(VALU_DEP_1)
	v_dual_add_nc_u32 v23, v24, v23 :: v_dual_lshlrev_b32 v122, 2, v25
	ds_bpermute_b32 v23, v122, v23
	s_and_saveexec_b32 s12, s0
	s_cbranch_execz .LBB1833_94
; %bb.93:                               ;   in Loop: Header=BB1833_12 Depth=1
	s_wait_dscnt 0x0
	v_cndmask_b32_e64 v23, v23, v24, s6
	s_delay_alu instid0(VALU_DEP_1)
	v_add_nc_u32_e32 v23, s54, v23
	ds_store_b32 v3, v23
.LBB1833_94:                            ;   in Loop: Header=BB1833_12 Depth=1
	s_or_b32 exec_lo, exec_lo, s12
	s_clause 0x1
	s_load_b32 s12, s[34:35], 0x4
	s_load_b32 s14, s[34:35], 0xc
	s_mov_b32 s53, s56
                                        ; implicit-def: $vgpr30_vgpr31
                                        ; implicit-def: $vgpr32_vgpr33
                                        ; implicit-def: $vgpr34_vgpr35
                                        ; implicit-def: $vgpr36_vgpr37
                                        ; implicit-def: $vgpr38_vgpr39
                                        ; implicit-def: $vgpr40_vgpr41
                                        ; implicit-def: $vgpr42_vgpr43
                                        ; implicit-def: $vgpr44_vgpr45
                                        ; implicit-def: $vgpr46_vgpr47
                                        ; implicit-def: $vgpr48_vgpr49
                                        ; implicit-def: $vgpr50_vgpr51
                                        ; implicit-def: $vgpr52_vgpr53
                                        ; implicit-def: $vgpr54_vgpr55
                                        ; implicit-def: $vgpr56_vgpr57
                                        ; implicit-def: $vgpr58_vgpr59
                                        ; implicit-def: $vgpr123
                                        ; implicit-def: $vgpr124
                                        ; implicit-def: $vgpr125
                                        ; implicit-def: $vgpr126
                                        ; implicit-def: $vgpr127
                                        ; implicit-def: $vgpr128
                                        ; implicit-def: $vgpr129
                                        ; implicit-def: $vgpr130
                                        ; implicit-def: $vgpr131
                                        ; implicit-def: $vgpr132
                                        ; implicit-def: $vgpr133
                                        ; implicit-def: $vgpr134
                                        ; implicit-def: $vgpr135
                                        ; implicit-def: $vgpr136
                                        ; implicit-def: $vgpr137
                                        ; implicit-def: $vgpr138
	s_wait_kmcnt 0x0
	s_cmp_lt_u32 s31, s12
	s_cselect_b32 s42, 14, 20
	s_delay_alu instid0(SALU_CYCLE_1)
	s_add_nc_u64 s[12:13], s[34:35], s[42:43]
	s_mov_b32 s42, s54
	s_load_u16 s12, s[12:13], 0x0
	s_wait_xcnt 0x0
	v_cmp_lt_u32_e64 s13, 1, v101
	s_wait_dscnt 0x0
	s_wait_kmcnt 0x0
	v_mad_u32_u24 v23, v89, s12, v90
	s_and_b32 s12, s14, 0xffff
	v_cmp_lt_u32_e64 s14, 3, v101
	s_delay_alu instid0(VALU_DEP_2) | instskip(SKIP_2) | instid1(VALU_DEP_3)
	v_mad_u32 v24, v23, s12, v2
	v_mov_b32_e32 v23, v5
	v_cmp_eq_u32_e64 s12, 0, v101
	v_lshrrev_b32_e32 v28, 3, v24
	v_add_nc_u64_e32 v[24:25], v[0:1], v[4:5]
	s_delay_alu instid0(VALU_DEP_4) | instskip(NEXT) | instid1(VALU_DEP_3)
	v_add_nc_u64_e32 v[26:27], v[8:9], v[22:23]
	v_and_b32_e32 v23, 0x1ffffffc, v28
                                        ; implicit-def: $vgpr28_vgpr29
	s_branch .LBB1833_96
.LBB1833_95:                            ;   in Loop: Header=BB1833_96 Depth=2
	s_or_b32 exec_lo, exec_lo, s15
	s_addk_co_i32 s53, 0xf000
	s_cmp_lt_u32 s57, s51
	s_mov_b32 s42, s57
	s_cbranch_scc0 .LBB1833_304
.LBB1833_96:                            ;   Parent Loop BB1833_12 Depth=1
                                        ; =>  This Inner Loop Header: Depth=2
	s_add_co_i32 s57, s42, 0x1000
	s_delay_alu instid0(SALU_CYCLE_1)
	s_cmp_gt_u32 s57, s51
	s_cbranch_scc1 .LBB1833_98
; %bb.97:                               ;   in Loop: Header=BB1833_96 Depth=2
	s_delay_alu instid0(VALU_DEP_2)
	v_lshl_add_u64 v[60:61], s[42:43], 1, v[26:27]
	s_mov_b32 s15, -1
	s_clause 0xe
	global_load_u16 v140, v[60:61], off
	global_load_u16 v141, v[60:61], off offset:64
	global_load_u16 v144, v[60:61], off offset:128
	;; [unrolled: 1-line block ×14, first 2 shown]
	s_movk_i32 s16, 0x1000
	s_cbranch_execz .LBB1833_99
	s_branch .LBB1833_130
.LBB1833_98:                            ;   in Loop: Header=BB1833_96 Depth=2
	s_mov_b32 s15, 0
                                        ; implicit-def: $vgpr140
                                        ; implicit-def: $vgpr141
                                        ; implicit-def: $vgpr144
                                        ; implicit-def: $vgpr148
                                        ; implicit-def: $vgpr152
                                        ; implicit-def: $vgpr156
                                        ; implicit-def: $vgpr160
                                        ; implicit-def: $vgpr164
                                        ; implicit-def: $vgpr168
                                        ; implicit-def: $vgpr67
                                        ; implicit-def: $vgpr66
                                        ; implicit-def: $vgpr65
                                        ; implicit-def: $vgpr64
                                        ; implicit-def: $vgpr63
                                        ; implicit-def: $vgpr62
	s_movk_i32 s16, 0x1000
.LBB1833_99:                            ;   in Loop: Header=BB1833_96 Depth=2
	s_wait_xcnt 0x0
	v_lshl_add_u64 v[60:61], s[42:43], 1, v[26:27]
	s_wait_loadcnt 0xd
	v_dual_mov_b32 v141, 0x7fff :: v_dual_mov_b32 v140, 0x7fff
	s_mov_b32 s15, exec_lo
	v_cmpx_gt_u32_e64 s53, v100
	s_cbranch_execz .LBB1833_101
; %bb.100:                              ;   in Loop: Header=BB1833_96 Depth=2
	global_load_u16 v140, v[60:61], off
.LBB1833_101:                           ;   in Loop: Header=BB1833_96 Depth=2
	s_wait_xcnt 0x0
	s_or_b32 exec_lo, exec_lo, s15
	s_delay_alu instid0(SALU_CYCLE_1)
	s_mov_b32 s15, exec_lo
	v_cmpx_gt_u32_e64 s53, v103
	s_cbranch_execz .LBB1833_103
; %bb.102:                              ;   in Loop: Header=BB1833_96 Depth=2
	global_load_u16 v141, v[60:61], off offset:64
.LBB1833_103:                           ;   in Loop: Header=BB1833_96 Depth=2
	s_wait_xcnt 0x0
	s_or_b32 exec_lo, exec_lo, s15
	s_wait_loadcnt 0xb
	v_mov_b32_e32 v148, 0x7fff
	v_mov_b32_e32 v144, 0x7fff
	s_mov_b32 s15, exec_lo
	v_cmpx_gt_u32_e64 s53, v104
	s_cbranch_execz .LBB1833_105
; %bb.104:                              ;   in Loop: Header=BB1833_96 Depth=2
	global_load_u16 v144, v[60:61], off offset:128
.LBB1833_105:                           ;   in Loop: Header=BB1833_96 Depth=2
	s_wait_xcnt 0x0
	s_or_b32 exec_lo, exec_lo, s15
	s_delay_alu instid0(SALU_CYCLE_1)
	s_mov_b32 s15, exec_lo
	v_cmpx_gt_u32_e64 s53, v105
	s_cbranch_execz .LBB1833_107
; %bb.106:                              ;   in Loop: Header=BB1833_96 Depth=2
	global_load_u16 v148, v[60:61], off offset:192
.LBB1833_107:                           ;   in Loop: Header=BB1833_96 Depth=2
	s_wait_xcnt 0x0
	s_or_b32 exec_lo, exec_lo, s15
	s_wait_loadcnt 0x9
	v_mov_b32_e32 v156, 0x7fff
	v_mov_b32_e32 v152, 0x7fff
	s_mov_b32 s15, exec_lo
	v_cmpx_gt_u32_e64 s53, v106
	s_cbranch_execz .LBB1833_109
; %bb.108:                              ;   in Loop: Header=BB1833_96 Depth=2
	global_load_u16 v152, v[60:61], off offset:256
.LBB1833_109:                           ;   in Loop: Header=BB1833_96 Depth=2
	s_wait_xcnt 0x0
	s_or_b32 exec_lo, exec_lo, s15
	s_delay_alu instid0(SALU_CYCLE_1)
	s_mov_b32 s15, exec_lo
	v_cmpx_gt_u32_e64 s53, v107
	s_cbranch_execz .LBB1833_111
; %bb.110:                              ;   in Loop: Header=BB1833_96 Depth=2
	global_load_u16 v156, v[60:61], off offset:320
.LBB1833_111:                           ;   in Loop: Header=BB1833_96 Depth=2
	s_wait_xcnt 0x0
	s_or_b32 exec_lo, exec_lo, s15
	s_wait_loadcnt 0x7
	v_mov_b32_e32 v164, 0x7fff
	v_mov_b32_e32 v160, 0x7fff
	s_mov_b32 s15, exec_lo
	v_cmpx_gt_u32_e64 s53, v108
	s_cbranch_execz .LBB1833_113
; %bb.112:                              ;   in Loop: Header=BB1833_96 Depth=2
	global_load_u16 v160, v[60:61], off offset:384
.LBB1833_113:                           ;   in Loop: Header=BB1833_96 Depth=2
	s_wait_xcnt 0x0
	s_or_b32 exec_lo, exec_lo, s15
	s_delay_alu instid0(SALU_CYCLE_1)
	s_mov_b32 s15, exec_lo
	v_cmpx_gt_u32_e64 s53, v109
	s_cbranch_execz .LBB1833_115
; %bb.114:                              ;   in Loop: Header=BB1833_96 Depth=2
	global_load_u16 v164, v[60:61], off offset:448
.LBB1833_115:                           ;   in Loop: Header=BB1833_96 Depth=2
	s_wait_xcnt 0x0
	s_or_b32 exec_lo, exec_lo, s15
	s_wait_loadcnt 0x5
	v_dual_mov_b32 v67, 0x7fff :: v_dual_mov_b32 v168, 0x7fff
	s_mov_b32 s15, exec_lo
	v_cmpx_gt_u32_e64 s53, v110
	s_cbranch_execz .LBB1833_117
; %bb.116:                              ;   in Loop: Header=BB1833_96 Depth=2
	global_load_u16 v168, v[60:61], off offset:512
.LBB1833_117:                           ;   in Loop: Header=BB1833_96 Depth=2
	s_wait_xcnt 0x0
	s_or_b32 exec_lo, exec_lo, s15
	s_delay_alu instid0(SALU_CYCLE_1)
	s_mov_b32 s15, exec_lo
	v_cmpx_gt_u32_e64 s53, v111
	s_cbranch_execz .LBB1833_119
; %bb.118:                              ;   in Loop: Header=BB1833_96 Depth=2
	global_load_u16 v67, v[60:61], off offset:576
.LBB1833_119:                           ;   in Loop: Header=BB1833_96 Depth=2
	s_wait_xcnt 0x0
	s_or_b32 exec_lo, exec_lo, s15
	s_wait_loadcnt 0x3
	v_dual_mov_b32 v65, 0x7fff :: v_dual_mov_b32 v66, 0x7fff
	s_mov_b32 s15, exec_lo
	v_cmpx_gt_u32_e64 s53, v112
	s_cbranch_execz .LBB1833_121
; %bb.120:                              ;   in Loop: Header=BB1833_96 Depth=2
	global_load_u16 v66, v[60:61], off offset:640
.LBB1833_121:                           ;   in Loop: Header=BB1833_96 Depth=2
	;; [unrolled: 19-line block ×3, first 2 shown]
	s_wait_xcnt 0x0
	s_or_b32 exec_lo, exec_lo, s15
	s_delay_alu instid0(SALU_CYCLE_1)
	s_mov_b32 s15, exec_lo
	v_cmpx_gt_u32_e64 s53, v115
	s_cbranch_execz .LBB1833_127
; %bb.126:                              ;   in Loop: Header=BB1833_96 Depth=2
	global_load_u16 v63, v[60:61], off offset:832
.LBB1833_127:                           ;   in Loop: Header=BB1833_96 Depth=2
	s_wait_xcnt 0x0
	s_or_b32 exec_lo, exec_lo, s15
	s_wait_loadcnt 0x0
	v_mov_b32_e32 v62, 0x7fff
	s_mov_b32 s15, exec_lo
	v_cmpx_gt_u32_e64 s53, v116
	s_cbranch_execz .LBB1833_129
; %bb.128:                              ;   in Loop: Header=BB1833_96 Depth=2
	global_load_u16 v62, v[60:61], off offset:896
.LBB1833_129:                           ;   in Loop: Header=BB1833_96 Depth=2
	s_wait_xcnt 0x0
	s_or_b32 exec_lo, exec_lo, s15
	v_cmp_gt_u32_e64 s15, s53, v117
	s_sub_co_i32 s16, s51, s42
.LBB1833_130:                           ;   in Loop: Header=BB1833_96 Depth=2
	s_wait_xcnt 0x0
	v_dual_mov_b32 v60, 0x7fff :: v_dual_mov_b32 v139, s53
	s_and_saveexec_b32 s17, s15
	s_cbranch_execz .LBB1833_132
; %bb.131:                              ;   in Loop: Header=BB1833_96 Depth=2
	v_lshl_add_u64 v[60:61], s[42:43], 1, v[26:27]
	v_mov_b32_e32 v139, s16
	global_load_u16 v60, v[60:61], off offset:960
.LBB1833_132:                           ;   in Loop: Header=BB1833_96 Depth=2
	s_wait_xcnt 0x0
	s_or_b32 exec_lo, exec_lo, s17
	s_wait_loadcnt 0xe
	v_cmp_lt_i16_e64 vcc_lo, -1, v140
	ds_store_2addr_b32 v121, v5, v5 offset1:1
	ds_store_2addr_b32 v118, v5, v5 offset1:1
	;; [unrolled: 1-line block ×4, first 2 shown]
	ds_store_b32 v91, v5 offset:1088
	s_wait_loadcnt_dscnt 0x0
	s_barrier_signal -1
	v_cndmask_b32_e64 v61, -1, 0xffff8000, vcc_lo
	s_barrier_wait -1
	; wave barrier
	s_delay_alu instid0(VALU_DEP_1) | instskip(NEXT) | instid1(VALU_DEP_1)
	v_xor_b32_e32 v140, v61, v140
	v_cmp_ne_u16_e64 vcc_lo, 0x7fff, v140
	v_cndmask_b32_e32 v61, 0xffff8000, v140, vcc_lo
	s_delay_alu instid0(VALU_DEP_1) | instskip(NEXT) | instid1(VALU_DEP_1)
	v_and_b32_e32 v61, 0xffff, v61
	v_lshrrev_b32_e32 v61, s48, v61
	s_delay_alu instid0(VALU_DEP_1) | instskip(SKIP_1) | instid1(VALU_DEP_2)
	v_bitop3_b32 v142, v61, 1, s52 bitop3:0x80
	v_and_b32_e32 v143, s52, v61
	v_add_co_u32 v61, s15, v142, -1
	s_delay_alu instid0(VALU_DEP_1) | instskip(NEXT) | instid1(VALU_DEP_3)
	v_cndmask_b32_e64 v142, 0, 1, s15
	v_lshlrev_b32_e32 v145, 30, v143
	s_delay_alu instid0(VALU_DEP_2) | instskip(NEXT) | instid1(VALU_DEP_2)
	v_cmp_ne_u32_e32 vcc_lo, 0, v142
	v_not_b32_e32 v142, v145
	s_delay_alu instid0(VALU_DEP_1) | instskip(SKIP_3) | instid1(VALU_DEP_4)
	v_dual_ashrrev_i32 v142, 31, v142 :: v_dual_lshlrev_b32 v146, 29, v143
	v_dual_lshlrev_b32 v147, 28, v143 :: v_dual_lshlrev_b32 v149, 27, v143
	v_lshlrev_b32_e32 v150, 26, v143
	v_cmp_gt_i32_e64 s15, 0, v145
	v_cmp_gt_i32_e64 s16, 0, v146
	v_not_b32_e32 v145, v146
	v_not_b32_e32 v146, v147
	v_dual_lshlrev_b32 v151, 25, v143 :: v_dual_lshlrev_b32 v153, 24, v143
	v_cmp_gt_i32_e64 s17, 0, v147
	v_cmp_gt_i32_e64 s18, 0, v149
	v_not_b32_e32 v147, v149
	v_not_b32_e32 v149, v150
	v_dual_ashrrev_i32 v146, 31, v146 :: v_dual_bitop2_b32 v61, vcc_lo, v61 bitop3:0x14
	v_dual_ashrrev_i32 v145, 31, v145 :: v_dual_bitop2_b32 v142, s15, v142 bitop3:0x14
	v_cmp_gt_i32_e64 s19, 0, v150
	v_cmp_gt_i32_e64 s20, 0, v151
	v_not_b32_e32 v150, v151
	v_not_b32_e32 v151, v153
	v_dual_ashrrev_i32 v147, 31, v147 :: v_dual_ashrrev_i32 v149, 31, v149
	v_xor_b32_e32 v145, s16, v145
	v_xor_b32_e32 v146, s17, v146
	v_bitop3_b32 v61, v61, v142, exec_lo bitop3:0x80
	v_cmp_gt_i32_e64 s21, 0, v153
	v_dual_ashrrev_i32 v142, 31, v150 :: v_dual_ashrrev_i32 v150, 31, v151
	v_xor_b32_e32 v147, s18, v147
	s_delay_alu instid0(VALU_DEP_4) | instskip(SKIP_3) | instid1(VALU_DEP_3)
	v_bitop3_b32 v61, v61, v146, v145 bitop3:0x80
	v_mul_u32_u24_e32 v143, 36, v143
	v_xor_b32_e32 v149, s19, v149
	v_xor_b32_e32 v142, s20, v142
	v_dual_add_nc_u32 v143, v23, v143 :: v_dual_bitop2_b32 v145, s21, v150 bitop3:0x14
	s_delay_alu instid0(VALU_DEP_3) | instskip(NEXT) | instid1(VALU_DEP_1)
	v_bitop3_b32 v61, v61, v149, v147 bitop3:0x80
	v_bitop3_b32 v61, v61, v145, v142 bitop3:0x80
	s_delay_alu instid0(VALU_DEP_1) | instskip(SKIP_1) | instid1(VALU_DEP_2)
	v_mbcnt_lo_u32_b32 v142, v61, 0
	v_cmp_ne_u32_e64 s15, 0, v61
	v_cmp_eq_u32_e32 vcc_lo, 0, v142
	s_and_b32 s16, s15, vcc_lo
	s_delay_alu instid0(SALU_CYCLE_1)
	s_and_saveexec_b32 s15, s16
; %bb.133:                              ;   in Loop: Header=BB1833_96 Depth=2
	v_bcnt_u32_b32 v61, v61, 0
	ds_store_b32 v143, v61 offset:1056
; %bb.134:                              ;   in Loop: Header=BB1833_96 Depth=2
	s_or_b32 exec_lo, exec_lo, s15
	v_cmp_lt_i16_e64 vcc_lo, -1, v141
	; wave barrier
	s_delay_alu instid0(VALU_DEP_1) | instskip(NEXT) | instid1(VALU_DEP_1)
	v_cndmask_b32_e64 v61, -1, 0xffff8000, vcc_lo
	v_xor_b32_e32 v141, v61, v141
	s_delay_alu instid0(VALU_DEP_1) | instskip(SKIP_1) | instid1(VALU_DEP_1)
	v_cmp_ne_u16_e64 vcc_lo, 0x7fff, v141
	v_cndmask_b32_e32 v61, 0xffff8000, v141, vcc_lo
	v_and_b32_e32 v61, 0xffff, v61
	s_delay_alu instid0(VALU_DEP_1) | instskip(NEXT) | instid1(VALU_DEP_1)
	v_lshrrev_b32_e32 v61, s48, v61
	v_and_b32_e32 v147, s52, v61
	s_delay_alu instid0(VALU_DEP_1) | instskip(SKIP_2) | instid1(VALU_DEP_3)
	v_lshlrev_b32_e32 v149, 29, v147
	v_bitop3_b32 v145, v61, 1, s52 bitop3:0x80
	v_lshlrev_b32_e32 v146, 30, v147
	v_cmp_gt_i32_e64 s16, 0, v149
	s_delay_alu instid0(VALU_DEP_3) | instskip(NEXT) | instid1(VALU_DEP_1)
	v_add_co_u32 v61, s15, v145, -1
	v_cndmask_b32_e64 v145, 0, 1, s15
	s_delay_alu instid0(VALU_DEP_4) | instskip(NEXT) | instid1(VALU_DEP_2)
	v_cmp_gt_i32_e64 s15, 0, v146
	v_cmp_ne_u32_e32 vcc_lo, 0, v145
	v_not_b32_e32 v145, v146
	v_not_b32_e32 v146, v149
	s_delay_alu instid0(VALU_DEP_1) | instskip(SKIP_2) | instid1(VALU_DEP_3)
	v_dual_ashrrev_i32 v146, 31, v146 :: v_dual_lshlrev_b32 v150, 28, v147
	v_dual_lshlrev_b32 v151, 27, v147 :: v_dual_lshlrev_b32 v153, 26, v147
	v_dual_lshlrev_b32 v154, 25, v147 :: v_dual_lshlrev_b32 v155, 24, v147
	v_cmp_gt_i32_e64 s17, 0, v150
	v_not_b32_e32 v149, v150
	s_delay_alu instid0(VALU_DEP_4)
	v_not_b32_e32 v150, v151
	v_ashrrev_i32_e32 v145, 31, v145
	v_cmp_gt_i32_e64 s18, 0, v151
	v_cmp_gt_i32_e64 s19, 0, v153
	v_not_b32_e32 v151, v153
	v_cmp_gt_i32_e64 s20, 0, v154
	v_not_b32_e32 v153, v154
	v_not_b32_e32 v154, v155
	s_delay_alu instid0(VALU_DEP_4) | instskip(SKIP_3) | instid1(VALU_DEP_3)
	v_dual_ashrrev_i32 v151, 31, v151 :: v_dual_bitop2_b32 v61, vcc_lo, v61 bitop3:0x14
	v_dual_ashrrev_i32 v149, 31, v149 :: v_dual_bitop2_b32 v146, s16, v146 bitop3:0x14
	v_dual_ashrrev_i32 v150, 31, v150 :: v_dual_bitop2_b32 v145, s15, v145 bitop3:0x14
	v_cmp_gt_i32_e64 s21, 0, v155
	v_xor_b32_e32 v149, s17, v149
	v_xor_b32_e32 v151, s19, v151
	s_delay_alu instid0(VALU_DEP_4) | instskip(SKIP_2) | instid1(VALU_DEP_2)
	v_xor_b32_e32 v150, s18, v150
	v_bitop3_b32 v61, v61, v145, exec_lo bitop3:0x80
	v_dual_ashrrev_i32 v145, 31, v153 :: v_dual_ashrrev_i32 v153, 31, v154
	v_bitop3_b32 v61, v61, v149, v146 bitop3:0x80
	v_mad_u32_u24 v146, v147, 36, v23
	s_delay_alu instid0(VALU_DEP_3) | instskip(NEXT) | instid1(VALU_DEP_4)
	v_xor_b32_e32 v149, s20, v145
	v_xor_b32_e32 v153, s21, v153
	v_mul_u32_u24_e32 v147, 36, v147
	v_bitop3_b32 v61, v61, v151, v150 bitop3:0x80
	ds_load_b32 v145, v146 offset:1056
	; wave barrier
	v_add_nc_u32_e32 v147, v23, v147
	v_bitop3_b32 v61, v61, v153, v149 bitop3:0x80
	s_delay_alu instid0(VALU_DEP_1) | instskip(SKIP_1) | instid1(VALU_DEP_2)
	v_mbcnt_lo_u32_b32 v146, v61, 0
	v_cmp_ne_u32_e64 s15, 0, v61
	v_cmp_eq_u32_e32 vcc_lo, 0, v146
	s_and_b32 s16, s15, vcc_lo
	s_delay_alu instid0(SALU_CYCLE_1)
	s_and_saveexec_b32 s15, s16
	s_cbranch_execz .LBB1833_136
; %bb.135:                              ;   in Loop: Header=BB1833_96 Depth=2
	s_wait_dscnt 0x0
	v_bcnt_u32_b32 v61, v61, v145
	ds_store_b32 v147, v61 offset:1056
.LBB1833_136:                           ;   in Loop: Header=BB1833_96 Depth=2
	s_or_b32 exec_lo, exec_lo, s15
	v_cmp_lt_i16_e64 vcc_lo, -1, v144
	; wave barrier
	s_delay_alu instid0(VALU_DEP_1) | instskip(NEXT) | instid1(VALU_DEP_1)
	v_cndmask_b32_e64 v61, -1, 0xffff8000, vcc_lo
	v_xor_b32_e32 v144, v61, v144
	s_delay_alu instid0(VALU_DEP_1) | instskip(SKIP_1) | instid1(VALU_DEP_1)
	v_cmp_ne_u16_e64 vcc_lo, 0x7fff, v144
	v_cndmask_b32_e32 v61, 0xffff8000, v144, vcc_lo
	v_and_b32_e32 v61, 0xffff, v61
	s_delay_alu instid0(VALU_DEP_1) | instskip(NEXT) | instid1(VALU_DEP_1)
	v_lshrrev_b32_e32 v61, s48, v61
	v_bitop3_b32 v149, v61, 1, s52 bitop3:0x80
	v_and_b32_e32 v151, s52, v61
	s_delay_alu instid0(VALU_DEP_2) | instskip(NEXT) | instid1(VALU_DEP_1)
	v_add_co_u32 v61, s15, v149, -1
	v_cndmask_b32_e64 v149, 0, 1, s15
	s_delay_alu instid0(VALU_DEP_3) | instskip(NEXT) | instid1(VALU_DEP_2)
	v_dual_lshlrev_b32 v150, 30, v151 :: v_dual_lshlrev_b32 v153, 29, v151
	v_cmp_ne_u32_e32 vcc_lo, 0, v149
	s_delay_alu instid0(VALU_DEP_2) | instskip(SKIP_1) | instid1(VALU_DEP_4)
	v_cmp_gt_i32_e64 s15, 0, v150
	v_not_b32_e32 v149, v150
	v_not_b32_e32 v150, v153
	s_delay_alu instid0(VALU_DEP_1) | instskip(SKIP_3) | instid1(VALU_DEP_4)
	v_dual_ashrrev_i32 v150, 31, v150 :: v_dual_lshlrev_b32 v154, 28, v151
	v_dual_lshlrev_b32 v155, 27, v151 :: v_dual_lshlrev_b32 v157, 26, v151
	v_dual_lshlrev_b32 v158, 25, v151 :: v_dual_lshlrev_b32 v159, 24, v151
	v_cmp_gt_i32_e64 s16, 0, v153
	v_cmp_gt_i32_e64 s17, 0, v154
	v_not_b32_e32 v153, v154
	v_not_b32_e32 v154, v155
	v_ashrrev_i32_e32 v149, 31, v149
	v_cmp_gt_i32_e64 s18, 0, v155
	v_cmp_gt_i32_e64 s19, 0, v157
	v_not_b32_e32 v155, v157
	v_cmp_gt_i32_e64 s20, 0, v158
	v_not_b32_e32 v157, v158
	v_not_b32_e32 v158, v159
	s_delay_alu instid0(VALU_DEP_4) | instskip(SKIP_3) | instid1(VALU_DEP_3)
	v_dual_ashrrev_i32 v155, 31, v155 :: v_dual_bitop2_b32 v61, vcc_lo, v61 bitop3:0x14
	v_dual_ashrrev_i32 v153, 31, v153 :: v_dual_bitop2_b32 v150, s16, v150 bitop3:0x14
	v_dual_ashrrev_i32 v154, 31, v154 :: v_dual_bitop2_b32 v149, s15, v149 bitop3:0x14
	v_cmp_gt_i32_e64 s21, 0, v159
	v_xor_b32_e32 v153, s17, v153
	v_xor_b32_e32 v155, s19, v155
	s_delay_alu instid0(VALU_DEP_4) | instskip(SKIP_2) | instid1(VALU_DEP_2)
	v_xor_b32_e32 v154, s18, v154
	v_bitop3_b32 v61, v61, v149, exec_lo bitop3:0x80
	v_dual_ashrrev_i32 v149, 31, v157 :: v_dual_ashrrev_i32 v157, 31, v158
	v_bitop3_b32 v61, v61, v153, v150 bitop3:0x80
	v_mad_u32_u24 v150, v151, 36, v23
	s_delay_alu instid0(VALU_DEP_3) | instskip(NEXT) | instid1(VALU_DEP_4)
	v_xor_b32_e32 v153, s20, v149
	v_xor_b32_e32 v157, s21, v157
	v_mul_u32_u24_e32 v151, 36, v151
	v_bitop3_b32 v61, v61, v155, v154 bitop3:0x80
	ds_load_b32 v149, v150 offset:1056
	; wave barrier
	v_add_nc_u32_e32 v151, v23, v151
	v_bitop3_b32 v61, v61, v157, v153 bitop3:0x80
	s_delay_alu instid0(VALU_DEP_1) | instskip(SKIP_1) | instid1(VALU_DEP_2)
	v_mbcnt_lo_u32_b32 v150, v61, 0
	v_cmp_ne_u32_e64 s15, 0, v61
	v_cmp_eq_u32_e32 vcc_lo, 0, v150
	s_and_b32 s16, s15, vcc_lo
	s_delay_alu instid0(SALU_CYCLE_1)
	s_and_saveexec_b32 s15, s16
	s_cbranch_execz .LBB1833_138
; %bb.137:                              ;   in Loop: Header=BB1833_96 Depth=2
	s_wait_dscnt 0x0
	v_bcnt_u32_b32 v61, v61, v149
	ds_store_b32 v151, v61 offset:1056
.LBB1833_138:                           ;   in Loop: Header=BB1833_96 Depth=2
	s_or_b32 exec_lo, exec_lo, s15
	v_cmp_lt_i16_e64 vcc_lo, -1, v148
	; wave barrier
	s_delay_alu instid0(VALU_DEP_1) | instskip(NEXT) | instid1(VALU_DEP_1)
	v_cndmask_b32_e64 v61, -1, 0xffff8000, vcc_lo
	v_xor_b32_e32 v148, v61, v148
	s_delay_alu instid0(VALU_DEP_1) | instskip(SKIP_1) | instid1(VALU_DEP_1)
	v_cmp_ne_u16_e64 vcc_lo, 0x7fff, v148
	v_cndmask_b32_e32 v61, 0xffff8000, v148, vcc_lo
	v_and_b32_e32 v61, 0xffff, v61
	s_delay_alu instid0(VALU_DEP_1) | instskip(NEXT) | instid1(VALU_DEP_1)
	v_lshrrev_b32_e32 v61, s48, v61
	v_bitop3_b32 v153, v61, 1, s52 bitop3:0x80
	v_and_b32_e32 v155, s52, v61
	s_delay_alu instid0(VALU_DEP_2) | instskip(NEXT) | instid1(VALU_DEP_1)
	v_add_co_u32 v61, s15, v153, -1
	v_cndmask_b32_e64 v153, 0, 1, s15
	s_delay_alu instid0(VALU_DEP_3) | instskip(NEXT) | instid1(VALU_DEP_2)
	v_dual_lshlrev_b32 v154, 30, v155 :: v_dual_lshlrev_b32 v157, 29, v155
	v_cmp_ne_u32_e32 vcc_lo, 0, v153
	s_delay_alu instid0(VALU_DEP_2) | instskip(SKIP_1) | instid1(VALU_DEP_4)
	v_cmp_gt_i32_e64 s15, 0, v154
	v_not_b32_e32 v153, v154
	v_not_b32_e32 v154, v157
	s_delay_alu instid0(VALU_DEP_1) | instskip(SKIP_3) | instid1(VALU_DEP_4)
	v_dual_ashrrev_i32 v154, 31, v154 :: v_dual_lshlrev_b32 v158, 28, v155
	v_dual_lshlrev_b32 v159, 27, v155 :: v_dual_lshlrev_b32 v161, 26, v155
	v_dual_lshlrev_b32 v162, 25, v155 :: v_dual_lshlrev_b32 v163, 24, v155
	v_cmp_gt_i32_e64 s16, 0, v157
	v_cmp_gt_i32_e64 s17, 0, v158
	v_not_b32_e32 v157, v158
	v_not_b32_e32 v158, v159
	v_ashrrev_i32_e32 v153, 31, v153
	v_cmp_gt_i32_e64 s18, 0, v159
	v_cmp_gt_i32_e64 s19, 0, v161
	v_not_b32_e32 v159, v161
	v_cmp_gt_i32_e64 s20, 0, v162
	v_not_b32_e32 v161, v162
	v_not_b32_e32 v162, v163
	s_delay_alu instid0(VALU_DEP_4) | instskip(SKIP_3) | instid1(VALU_DEP_3)
	v_dual_ashrrev_i32 v159, 31, v159 :: v_dual_bitop2_b32 v61, vcc_lo, v61 bitop3:0x14
	v_dual_ashrrev_i32 v157, 31, v157 :: v_dual_bitop2_b32 v154, s16, v154 bitop3:0x14
	v_dual_ashrrev_i32 v158, 31, v158 :: v_dual_bitop2_b32 v153, s15, v153 bitop3:0x14
	v_cmp_gt_i32_e64 s21, 0, v163
	v_xor_b32_e32 v157, s17, v157
	v_xor_b32_e32 v159, s19, v159
	s_delay_alu instid0(VALU_DEP_4) | instskip(SKIP_2) | instid1(VALU_DEP_2)
	v_xor_b32_e32 v158, s18, v158
	v_bitop3_b32 v61, v61, v153, exec_lo bitop3:0x80
	v_dual_ashrrev_i32 v153, 31, v161 :: v_dual_ashrrev_i32 v161, 31, v162
	v_bitop3_b32 v61, v61, v157, v154 bitop3:0x80
	v_mad_u32_u24 v154, v155, 36, v23
	s_delay_alu instid0(VALU_DEP_3) | instskip(NEXT) | instid1(VALU_DEP_4)
	v_xor_b32_e32 v157, s20, v153
	v_xor_b32_e32 v161, s21, v161
	v_mul_u32_u24_e32 v155, 36, v155
	v_bitop3_b32 v61, v61, v159, v158 bitop3:0x80
	ds_load_b32 v153, v154 offset:1056
	; wave barrier
	v_add_nc_u32_e32 v155, v23, v155
	v_bitop3_b32 v61, v61, v161, v157 bitop3:0x80
	s_delay_alu instid0(VALU_DEP_1) | instskip(SKIP_1) | instid1(VALU_DEP_2)
	v_mbcnt_lo_u32_b32 v154, v61, 0
	v_cmp_ne_u32_e64 s15, 0, v61
	v_cmp_eq_u32_e32 vcc_lo, 0, v154
	s_and_b32 s16, s15, vcc_lo
	s_delay_alu instid0(SALU_CYCLE_1)
	s_and_saveexec_b32 s15, s16
	s_cbranch_execz .LBB1833_140
; %bb.139:                              ;   in Loop: Header=BB1833_96 Depth=2
	s_wait_dscnt 0x0
	v_bcnt_u32_b32 v61, v61, v153
	ds_store_b32 v155, v61 offset:1056
.LBB1833_140:                           ;   in Loop: Header=BB1833_96 Depth=2
	s_or_b32 exec_lo, exec_lo, s15
	v_cmp_lt_i16_e64 vcc_lo, -1, v152
	; wave barrier
	s_delay_alu instid0(VALU_DEP_1) | instskip(NEXT) | instid1(VALU_DEP_1)
	v_cndmask_b32_e64 v61, -1, 0xffff8000, vcc_lo
	v_xor_b32_e32 v152, v61, v152
	s_delay_alu instid0(VALU_DEP_1) | instskip(SKIP_1) | instid1(VALU_DEP_1)
	v_cmp_ne_u16_e64 vcc_lo, 0x7fff, v152
	v_cndmask_b32_e32 v61, 0xffff8000, v152, vcc_lo
	v_and_b32_e32 v61, 0xffff, v61
	s_delay_alu instid0(VALU_DEP_1) | instskip(NEXT) | instid1(VALU_DEP_1)
	v_lshrrev_b32_e32 v61, s48, v61
	v_bitop3_b32 v157, v61, 1, s52 bitop3:0x80
	v_and_b32_e32 v159, s52, v61
	s_delay_alu instid0(VALU_DEP_2) | instskip(NEXT) | instid1(VALU_DEP_1)
	v_add_co_u32 v61, s15, v157, -1
	v_cndmask_b32_e64 v157, 0, 1, s15
	s_delay_alu instid0(VALU_DEP_3) | instskip(NEXT) | instid1(VALU_DEP_2)
	v_dual_lshlrev_b32 v158, 30, v159 :: v_dual_lshlrev_b32 v161, 29, v159
	v_cmp_ne_u32_e32 vcc_lo, 0, v157
	s_delay_alu instid0(VALU_DEP_2) | instskip(SKIP_1) | instid1(VALU_DEP_4)
	v_cmp_gt_i32_e64 s15, 0, v158
	v_not_b32_e32 v157, v158
	v_not_b32_e32 v158, v161
	s_delay_alu instid0(VALU_DEP_1) | instskip(SKIP_3) | instid1(VALU_DEP_4)
	v_dual_ashrrev_i32 v158, 31, v158 :: v_dual_lshlrev_b32 v162, 28, v159
	v_dual_lshlrev_b32 v163, 27, v159 :: v_dual_lshlrev_b32 v165, 26, v159
	v_dual_lshlrev_b32 v166, 25, v159 :: v_dual_lshlrev_b32 v167, 24, v159
	v_cmp_gt_i32_e64 s16, 0, v161
	v_cmp_gt_i32_e64 s17, 0, v162
	v_not_b32_e32 v161, v162
	v_not_b32_e32 v162, v163
	v_ashrrev_i32_e32 v157, 31, v157
	v_cmp_gt_i32_e64 s18, 0, v163
	v_cmp_gt_i32_e64 s19, 0, v165
	v_not_b32_e32 v163, v165
	v_cmp_gt_i32_e64 s20, 0, v166
	v_not_b32_e32 v165, v166
	v_not_b32_e32 v166, v167
	s_delay_alu instid0(VALU_DEP_4) | instskip(SKIP_3) | instid1(VALU_DEP_3)
	v_dual_ashrrev_i32 v163, 31, v163 :: v_dual_bitop2_b32 v61, vcc_lo, v61 bitop3:0x14
	v_dual_ashrrev_i32 v161, 31, v161 :: v_dual_bitop2_b32 v158, s16, v158 bitop3:0x14
	v_dual_ashrrev_i32 v162, 31, v162 :: v_dual_bitop2_b32 v157, s15, v157 bitop3:0x14
	v_cmp_gt_i32_e64 s21, 0, v167
	v_xor_b32_e32 v161, s17, v161
	v_xor_b32_e32 v163, s19, v163
	s_delay_alu instid0(VALU_DEP_4) | instskip(SKIP_2) | instid1(VALU_DEP_2)
	v_xor_b32_e32 v162, s18, v162
	v_bitop3_b32 v61, v61, v157, exec_lo bitop3:0x80
	v_dual_ashrrev_i32 v157, 31, v165 :: v_dual_ashrrev_i32 v165, 31, v166
	v_bitop3_b32 v61, v61, v161, v158 bitop3:0x80
	v_mad_u32_u24 v158, v159, 36, v23
	s_delay_alu instid0(VALU_DEP_3) | instskip(NEXT) | instid1(VALU_DEP_4)
	v_xor_b32_e32 v161, s20, v157
	v_xor_b32_e32 v165, s21, v165
	v_mul_u32_u24_e32 v159, 36, v159
	v_bitop3_b32 v61, v61, v163, v162 bitop3:0x80
	ds_load_b32 v157, v158 offset:1056
	; wave barrier
	v_add_nc_u32_e32 v159, v23, v159
	v_bitop3_b32 v61, v61, v165, v161 bitop3:0x80
	s_delay_alu instid0(VALU_DEP_1) | instskip(SKIP_1) | instid1(VALU_DEP_2)
	v_mbcnt_lo_u32_b32 v158, v61, 0
	v_cmp_ne_u32_e64 s15, 0, v61
	v_cmp_eq_u32_e32 vcc_lo, 0, v158
	s_and_b32 s16, s15, vcc_lo
	s_delay_alu instid0(SALU_CYCLE_1)
	s_and_saveexec_b32 s15, s16
	s_cbranch_execz .LBB1833_142
; %bb.141:                              ;   in Loop: Header=BB1833_96 Depth=2
	s_wait_dscnt 0x0
	v_bcnt_u32_b32 v61, v61, v157
	ds_store_b32 v159, v61 offset:1056
.LBB1833_142:                           ;   in Loop: Header=BB1833_96 Depth=2
	s_or_b32 exec_lo, exec_lo, s15
	v_cmp_lt_i16_e64 vcc_lo, -1, v156
	; wave barrier
	s_delay_alu instid0(VALU_DEP_1) | instskip(NEXT) | instid1(VALU_DEP_1)
	v_cndmask_b32_e64 v61, -1, 0xffff8000, vcc_lo
	v_xor_b32_e32 v156, v61, v156
	s_delay_alu instid0(VALU_DEP_1) | instskip(SKIP_1) | instid1(VALU_DEP_1)
	v_cmp_ne_u16_e64 vcc_lo, 0x7fff, v156
	v_cndmask_b32_e32 v61, 0xffff8000, v156, vcc_lo
	v_and_b32_e32 v61, 0xffff, v61
	s_delay_alu instid0(VALU_DEP_1) | instskip(NEXT) | instid1(VALU_DEP_1)
	v_lshrrev_b32_e32 v61, s48, v61
	v_bitop3_b32 v161, v61, 1, s52 bitop3:0x80
	v_and_b32_e32 v163, s52, v61
	s_delay_alu instid0(VALU_DEP_2) | instskip(NEXT) | instid1(VALU_DEP_1)
	v_add_co_u32 v61, s15, v161, -1
	v_cndmask_b32_e64 v161, 0, 1, s15
	s_delay_alu instid0(VALU_DEP_3) | instskip(NEXT) | instid1(VALU_DEP_2)
	v_dual_lshlrev_b32 v162, 30, v163 :: v_dual_lshlrev_b32 v165, 29, v163
	v_cmp_ne_u32_e32 vcc_lo, 0, v161
	s_delay_alu instid0(VALU_DEP_2) | instskip(SKIP_1) | instid1(VALU_DEP_4)
	v_cmp_gt_i32_e64 s15, 0, v162
	v_not_b32_e32 v161, v162
	v_not_b32_e32 v162, v165
	s_delay_alu instid0(VALU_DEP_1) | instskip(SKIP_3) | instid1(VALU_DEP_4)
	v_dual_ashrrev_i32 v162, 31, v162 :: v_dual_lshlrev_b32 v166, 28, v163
	v_dual_lshlrev_b32 v167, 27, v163 :: v_dual_lshlrev_b32 v169, 26, v163
	v_dual_lshlrev_b32 v170, 25, v163 :: v_dual_lshlrev_b32 v171, 24, v163
	v_cmp_gt_i32_e64 s16, 0, v165
	v_cmp_gt_i32_e64 s17, 0, v166
	v_not_b32_e32 v165, v166
	v_not_b32_e32 v166, v167
	v_ashrrev_i32_e32 v161, 31, v161
	v_cmp_gt_i32_e64 s18, 0, v167
	v_cmp_gt_i32_e64 s19, 0, v169
	v_not_b32_e32 v167, v169
	v_cmp_gt_i32_e64 s20, 0, v170
	v_not_b32_e32 v169, v170
	v_not_b32_e32 v170, v171
	s_delay_alu instid0(VALU_DEP_4) | instskip(SKIP_3) | instid1(VALU_DEP_3)
	v_dual_ashrrev_i32 v167, 31, v167 :: v_dual_bitop2_b32 v61, vcc_lo, v61 bitop3:0x14
	v_dual_ashrrev_i32 v165, 31, v165 :: v_dual_bitop2_b32 v162, s16, v162 bitop3:0x14
	v_dual_ashrrev_i32 v166, 31, v166 :: v_dual_bitop2_b32 v161, s15, v161 bitop3:0x14
	v_cmp_gt_i32_e64 s21, 0, v171
	v_xor_b32_e32 v165, s17, v165
	v_xor_b32_e32 v167, s19, v167
	s_delay_alu instid0(VALU_DEP_4) | instskip(SKIP_2) | instid1(VALU_DEP_2)
	v_xor_b32_e32 v166, s18, v166
	v_bitop3_b32 v61, v61, v161, exec_lo bitop3:0x80
	v_dual_ashrrev_i32 v161, 31, v169 :: v_dual_ashrrev_i32 v169, 31, v170
	v_bitop3_b32 v61, v61, v165, v162 bitop3:0x80
	v_mad_u32_u24 v162, v163, 36, v23
	s_delay_alu instid0(VALU_DEP_3) | instskip(NEXT) | instid1(VALU_DEP_4)
	v_xor_b32_e32 v165, s20, v161
	v_xor_b32_e32 v169, s21, v169
	v_mul_u32_u24_e32 v163, 36, v163
	v_bitop3_b32 v61, v61, v167, v166 bitop3:0x80
	ds_load_b32 v161, v162 offset:1056
	; wave barrier
	v_add_nc_u32_e32 v163, v23, v163
	v_bitop3_b32 v61, v61, v169, v165 bitop3:0x80
	s_delay_alu instid0(VALU_DEP_1) | instskip(SKIP_1) | instid1(VALU_DEP_2)
	v_mbcnt_lo_u32_b32 v162, v61, 0
	v_cmp_ne_u32_e64 s15, 0, v61
	v_cmp_eq_u32_e32 vcc_lo, 0, v162
	s_and_b32 s16, s15, vcc_lo
	s_delay_alu instid0(SALU_CYCLE_1)
	s_and_saveexec_b32 s15, s16
	s_cbranch_execz .LBB1833_144
; %bb.143:                              ;   in Loop: Header=BB1833_96 Depth=2
	s_wait_dscnt 0x0
	v_bcnt_u32_b32 v61, v61, v161
	ds_store_b32 v163, v61 offset:1056
.LBB1833_144:                           ;   in Loop: Header=BB1833_96 Depth=2
	s_or_b32 exec_lo, exec_lo, s15
	v_cmp_lt_i16_e64 vcc_lo, -1, v160
	; wave barrier
	s_delay_alu instid0(VALU_DEP_1) | instskip(NEXT) | instid1(VALU_DEP_1)
	v_cndmask_b32_e64 v61, -1, 0xffff8000, vcc_lo
	v_xor_b32_e32 v160, v61, v160
	s_delay_alu instid0(VALU_DEP_1) | instskip(SKIP_1) | instid1(VALU_DEP_1)
	v_cmp_ne_u16_e64 vcc_lo, 0x7fff, v160
	v_cndmask_b32_e32 v61, 0xffff8000, v160, vcc_lo
	v_and_b32_e32 v61, 0xffff, v61
	s_delay_alu instid0(VALU_DEP_1) | instskip(NEXT) | instid1(VALU_DEP_1)
	v_lshrrev_b32_e32 v61, s48, v61
	v_bitop3_b32 v165, v61, 1, s52 bitop3:0x80
	v_and_b32_e32 v167, s52, v61
	s_delay_alu instid0(VALU_DEP_2) | instskip(NEXT) | instid1(VALU_DEP_1)
	v_add_co_u32 v61, s15, v165, -1
	v_cndmask_b32_e64 v165, 0, 1, s15
	s_delay_alu instid0(VALU_DEP_3) | instskip(NEXT) | instid1(VALU_DEP_2)
	v_dual_lshlrev_b32 v166, 30, v167 :: v_dual_lshlrev_b32 v169, 29, v167
	v_cmp_ne_u32_e32 vcc_lo, 0, v165
	s_delay_alu instid0(VALU_DEP_2) | instskip(SKIP_1) | instid1(VALU_DEP_4)
	v_cmp_gt_i32_e64 s15, 0, v166
	v_not_b32_e32 v165, v166
	v_not_b32_e32 v166, v169
	s_delay_alu instid0(VALU_DEP_1) | instskip(SKIP_3) | instid1(VALU_DEP_4)
	v_dual_ashrrev_i32 v166, 31, v166 :: v_dual_lshlrev_b32 v170, 28, v167
	v_dual_lshlrev_b32 v171, 27, v167 :: v_dual_lshlrev_b32 v172, 26, v167
	v_cmp_gt_i32_e64 s16, 0, v169
	v_dual_lshlrev_b32 v173, 25, v167 :: v_dual_lshlrev_b32 v174, 24, v167
	v_cmp_gt_i32_e64 s17, 0, v170
	v_not_b32_e32 v169, v170
	v_not_b32_e32 v170, v171
	v_ashrrev_i32_e32 v165, 31, v165
	v_cmp_gt_i32_e64 s18, 0, v171
	v_not_b32_e32 v171, v172
	v_xor_b32_e32 v61, vcc_lo, v61
	v_dual_ashrrev_i32 v169, 31, v169 :: v_dual_bitop2_b32 v166, s16, v166 bitop3:0x14
	v_dual_ashrrev_i32 v170, 31, v170 :: v_dual_bitop2_b32 v165, s15, v165 bitop3:0x14
	v_cmp_gt_i32_e64 s19, 0, v172
	v_cmp_gt_i32_e64 s20, 0, v173
	v_not_b32_e32 v172, v173
	v_not_b32_e32 v173, v174
	v_dual_ashrrev_i32 v171, 31, v171 :: v_dual_bitop2_b32 v169, s17, v169 bitop3:0x14
	v_bitop3_b32 v61, v61, v165, exec_lo bitop3:0x80
	v_cmp_gt_i32_e64 s21, 0, v174
	s_delay_alu instid0(VALU_DEP_4)
	v_dual_ashrrev_i32 v165, 31, v172 :: v_dual_ashrrev_i32 v172, 31, v173
	v_xor_b32_e32 v170, s18, v170
	v_xor_b32_e32 v171, s19, v171
	v_bitop3_b32 v61, v61, v169, v166 bitop3:0x80
	v_mad_u32_u24 v166, v167, 36, v23
	v_xor_b32_e32 v169, s20, v165
	v_xor_b32_e32 v172, s21, v172
	v_mul_u32_u24_e32 v167, 36, v167
	v_bitop3_b32 v61, v61, v171, v170 bitop3:0x80
	ds_load_b32 v165, v166 offset:1056
	; wave barrier
	v_add_nc_u32_e32 v167, v23, v167
	v_bitop3_b32 v61, v61, v172, v169 bitop3:0x80
	s_delay_alu instid0(VALU_DEP_1) | instskip(SKIP_1) | instid1(VALU_DEP_2)
	v_mbcnt_lo_u32_b32 v166, v61, 0
	v_cmp_ne_u32_e64 s15, 0, v61
	v_cmp_eq_u32_e32 vcc_lo, 0, v166
	s_and_b32 s16, s15, vcc_lo
	s_delay_alu instid0(SALU_CYCLE_1)
	s_and_saveexec_b32 s15, s16
	s_cbranch_execz .LBB1833_146
; %bb.145:                              ;   in Loop: Header=BB1833_96 Depth=2
	s_wait_dscnt 0x0
	v_bcnt_u32_b32 v61, v61, v165
	ds_store_b32 v167, v61 offset:1056
.LBB1833_146:                           ;   in Loop: Header=BB1833_96 Depth=2
	s_or_b32 exec_lo, exec_lo, s15
	v_cmp_lt_i16_e64 vcc_lo, -1, v164
	; wave barrier
	s_delay_alu instid0(VALU_DEP_1) | instskip(NEXT) | instid1(VALU_DEP_1)
	v_cndmask_b32_e64 v61, -1, 0xffff8000, vcc_lo
	v_xor_b32_e32 v164, v61, v164
	s_delay_alu instid0(VALU_DEP_1) | instskip(SKIP_1) | instid1(VALU_DEP_1)
	v_cmp_ne_u16_e64 vcc_lo, 0x7fff, v164
	v_cndmask_b32_e32 v61, 0xffff8000, v164, vcc_lo
	v_and_b32_e32 v61, 0xffff, v61
	s_delay_alu instid0(VALU_DEP_1) | instskip(NEXT) | instid1(VALU_DEP_1)
	v_lshrrev_b32_e32 v61, s48, v61
	v_bitop3_b32 v169, v61, 1, s52 bitop3:0x80
	v_and_b32_e32 v171, s52, v61
	s_delay_alu instid0(VALU_DEP_2) | instskip(NEXT) | instid1(VALU_DEP_1)
	v_add_co_u32 v61, s15, v169, -1
	v_cndmask_b32_e64 v169, 0, 1, s15
	s_delay_alu instid0(VALU_DEP_3) | instskip(NEXT) | instid1(VALU_DEP_2)
	v_dual_lshlrev_b32 v170, 30, v171 :: v_dual_lshlrev_b32 v172, 29, v171
	v_cmp_ne_u32_e32 vcc_lo, 0, v169
	s_delay_alu instid0(VALU_DEP_2) | instskip(SKIP_1) | instid1(VALU_DEP_4)
	v_cmp_gt_i32_e64 s15, 0, v170
	v_not_b32_e32 v169, v170
	v_not_b32_e32 v170, v172
	s_delay_alu instid0(VALU_DEP_1) | instskip(SKIP_3) | instid1(VALU_DEP_4)
	v_dual_ashrrev_i32 v170, 31, v170 :: v_dual_lshlrev_b32 v173, 28, v171
	v_dual_lshlrev_b32 v174, 27, v171 :: v_dual_lshlrev_b32 v175, 26, v171
	v_dual_lshlrev_b32 v176, 25, v171 :: v_dual_lshlrev_b32 v177, 24, v171
	v_cmp_gt_i32_e64 s16, 0, v172
	v_not_b32_e32 v172, v173
	v_ashrrev_i32_e32 v169, 31, v169
	v_cmp_gt_i32_e64 s17, 0, v173
	v_cmp_gt_i32_e64 s18, 0, v174
	v_not_b32_e32 v173, v174
	v_cmp_gt_i32_e64 s19, 0, v175
	v_not_b32_e32 v174, v175
	;; [unrolled: 2-line block ×3, first 2 shown]
	v_not_b32_e32 v176, v177
	s_delay_alu instid0(VALU_DEP_4) | instskip(SKIP_3) | instid1(VALU_DEP_3)
	v_dual_ashrrev_i32 v174, 31, v174 :: v_dual_bitop2_b32 v61, vcc_lo, v61 bitop3:0x14
	v_dual_ashrrev_i32 v172, 31, v172 :: v_dual_bitop2_b32 v169, s15, v169 bitop3:0x14
	v_dual_ashrrev_i32 v173, 31, v173 :: v_dual_bitop2_b32 v170, s16, v170 bitop3:0x14
	v_cmp_gt_i32_e64 s21, 0, v177
	v_xor_b32_e32 v172, s17, v172
	s_delay_alu instid0(VALU_DEP_4) | instskip(SKIP_2) | instid1(VALU_DEP_3)
	v_bitop3_b32 v61, v61, v169, exec_lo bitop3:0x80
	v_dual_ashrrev_i32 v169, 31, v175 :: v_dual_ashrrev_i32 v175, 31, v176
	v_xor_b32_e32 v174, s19, v174
	v_bitop3_b32 v61, v61, v172, v170 bitop3:0x80
	v_mad_u32_u24 v170, v171, 36, v23
	v_mul_u32_u24_e32 v171, 36, v171
	v_xor_b32_e32 v173, s18, v173
	v_xor_b32_e32 v172, s20, v169
	;; [unrolled: 1-line block ×3, first 2 shown]
	ds_load_b32 v169, v170 offset:1056
	v_add_nc_u32_e32 v171, v23, v171
	v_bitop3_b32 v61, v61, v174, v173 bitop3:0x80
	; wave barrier
	s_delay_alu instid0(VALU_DEP_1) | instskip(NEXT) | instid1(VALU_DEP_1)
	v_bitop3_b32 v61, v61, v175, v172 bitop3:0x80
	v_mbcnt_lo_u32_b32 v170, v61, 0
	v_cmp_ne_u32_e64 s15, 0, v61
	s_delay_alu instid0(VALU_DEP_2) | instskip(SKIP_1) | instid1(SALU_CYCLE_1)
	v_cmp_eq_u32_e32 vcc_lo, 0, v170
	s_and_b32 s16, s15, vcc_lo
	s_and_saveexec_b32 s15, s16
	s_cbranch_execz .LBB1833_148
; %bb.147:                              ;   in Loop: Header=BB1833_96 Depth=2
	s_wait_dscnt 0x0
	v_bcnt_u32_b32 v61, v61, v169
	ds_store_b32 v171, v61 offset:1056
.LBB1833_148:                           ;   in Loop: Header=BB1833_96 Depth=2
	s_or_b32 exec_lo, exec_lo, s15
	v_cmp_lt_i16_e64 vcc_lo, -1, v168
	; wave barrier
	s_delay_alu instid0(VALU_DEP_1) | instskip(NEXT) | instid1(VALU_DEP_1)
	v_cndmask_b32_e64 v61, -1, 0xffff8000, vcc_lo
	v_xor_b32_e32 v168, v61, v168
	s_delay_alu instid0(VALU_DEP_1) | instskip(SKIP_1) | instid1(VALU_DEP_1)
	v_cmp_ne_u16_e64 vcc_lo, 0x7fff, v168
	v_cndmask_b32_e32 v61, 0xffff8000, v168, vcc_lo
	v_and_b32_e32 v61, 0xffff, v61
	s_delay_alu instid0(VALU_DEP_1) | instskip(NEXT) | instid1(VALU_DEP_1)
	v_lshrrev_b32_e32 v61, s48, v61
	v_bitop3_b32 v172, v61, 1, s52 bitop3:0x80
	v_and_b32_e32 v175, s52, v61
	s_delay_alu instid0(VALU_DEP_2) | instskip(NEXT) | instid1(VALU_DEP_1)
	v_add_co_u32 v61, s15, v172, -1
	v_cndmask_b32_e64 v172, 0, 1, s15
	s_delay_alu instid0(VALU_DEP_3) | instskip(NEXT) | instid1(VALU_DEP_2)
	v_lshlrev_b32_e32 v173, 30, v175
	v_cmp_ne_u32_e32 vcc_lo, 0, v172
	s_delay_alu instid0(VALU_DEP_2) | instskip(NEXT) | instid1(VALU_DEP_1)
	v_not_b32_e32 v172, v173
	v_dual_ashrrev_i32 v172, 31, v172 :: v_dual_lshlrev_b32 v174, 29, v175
	v_dual_lshlrev_b32 v176, 28, v175 :: v_dual_lshlrev_b32 v177, 27, v175
	v_lshlrev_b32_e32 v178, 26, v175
	v_cmp_gt_i32_e64 s15, 0, v173
	s_delay_alu instid0(VALU_DEP_4)
	v_cmp_gt_i32_e64 s16, 0, v174
	v_not_b32_e32 v173, v174
	v_not_b32_e32 v174, v176
	v_dual_lshlrev_b32 v179, 25, v175 :: v_dual_lshlrev_b32 v180, 24, v175
	v_cmp_gt_i32_e64 s17, 0, v176
	v_cmp_gt_i32_e64 s18, 0, v177
	v_not_b32_e32 v176, v177
	v_not_b32_e32 v177, v178
	v_dual_ashrrev_i32 v174, 31, v174 :: v_dual_bitop2_b32 v61, vcc_lo, v61 bitop3:0x14
	v_dual_ashrrev_i32 v173, 31, v173 :: v_dual_bitop2_b32 v172, s15, v172 bitop3:0x14
	v_cmp_gt_i32_e64 s19, 0, v178
	v_cmp_gt_i32_e64 s20, 0, v179
	v_not_b32_e32 v178, v179
	v_not_b32_e32 v179, v180
	v_dual_ashrrev_i32 v176, 31, v176 :: v_dual_ashrrev_i32 v177, 31, v177
	v_xor_b32_e32 v173, s16, v173
	v_xor_b32_e32 v174, s17, v174
	v_bitop3_b32 v61, v61, v172, exec_lo bitop3:0x80
	v_cmp_gt_i32_e64 s21, 0, v180
	v_dual_ashrrev_i32 v172, 31, v178 :: v_dual_ashrrev_i32 v178, 31, v179
	v_xor_b32_e32 v176, s18, v176
	v_xor_b32_e32 v177, s19, v177
	v_bitop3_b32 v61, v61, v174, v173 bitop3:0x80
	v_mad_u32_u24 v173, v175, 36, v23
	v_xor_b32_e32 v172, s20, v172
	v_xor_b32_e32 v174, s21, v178
	s_delay_alu instid0(VALU_DEP_4) | instskip(SKIP_3) | instid1(VALU_DEP_2)
	v_bitop3_b32 v61, v61, v177, v176 bitop3:0x80
	ds_load_b32 v173, v173 offset:1056
	; wave barrier
	v_bitop3_b32 v61, v61, v174, v172 bitop3:0x80
	v_mul_u32_u24_e32 v172, 36, v175
	v_mbcnt_lo_u32_b32 v174, v61, 0
	v_cmp_ne_u32_e64 s15, 0, v61
	s_delay_alu instid0(VALU_DEP_3) | instskip(NEXT) | instid1(VALU_DEP_3)
	v_add_nc_u32_e32 v175, v23, v172
	v_cmp_eq_u32_e32 vcc_lo, 0, v174
	s_and_b32 s16, s15, vcc_lo
	s_delay_alu instid0(SALU_CYCLE_1)
	s_and_saveexec_b32 s15, s16
	s_cbranch_execz .LBB1833_150
; %bb.149:                              ;   in Loop: Header=BB1833_96 Depth=2
	s_wait_dscnt 0x0
	v_bcnt_u32_b32 v61, v61, v173
	ds_store_b32 v175, v61 offset:1056
.LBB1833_150:                           ;   in Loop: Header=BB1833_96 Depth=2
	s_or_b32 exec_lo, exec_lo, s15
	v_cmp_lt_i16_e32 vcc_lo, -1, v67
	; wave barrier
	v_cndmask_b32_e64 v61, -1, 0xffff8000, vcc_lo
	s_delay_alu instid0(VALU_DEP_1) | instskip(NEXT) | instid1(VALU_DEP_1)
	v_xor_b32_e32 v172, v61, v67
	v_cmp_ne_u16_e64 vcc_lo, 0x7fff, v172
	v_cndmask_b32_e32 v61, 0xffff8000, v172, vcc_lo
	s_delay_alu instid0(VALU_DEP_1) | instskip(NEXT) | instid1(VALU_DEP_1)
	v_and_b32_e32 v61, 0xffff, v61
	v_lshrrev_b32_e32 v61, s48, v61
	s_delay_alu instid0(VALU_DEP_1) | instskip(SKIP_1) | instid1(VALU_DEP_2)
	v_bitop3_b32 v67, v61, 1, s52 bitop3:0x80
	v_and_b32_e32 v176, s52, v61
	v_add_co_u32 v61, s15, v67, -1
	s_delay_alu instid0(VALU_DEP_1) | instskip(NEXT) | instid1(VALU_DEP_3)
	v_cndmask_b32_e64 v67, 0, 1, s15
	v_lshlrev_b32_e32 v177, 30, v176
	s_delay_alu instid0(VALU_DEP_2) | instskip(NEXT) | instid1(VALU_DEP_2)
	v_cmp_ne_u32_e32 vcc_lo, 0, v67
	v_not_b32_e32 v67, v177
	s_delay_alu instid0(VALU_DEP_1) | instskip(SKIP_4) | instid1(VALU_DEP_4)
	v_dual_ashrrev_i32 v67, 31, v67 :: v_dual_bitop2_b32 v61, vcc_lo, v61 bitop3:0x14
	v_dual_lshlrev_b32 v178, 29, v176 :: v_dual_lshlrev_b32 v179, 28, v176
	v_dual_lshlrev_b32 v180, 27, v176 :: v_dual_lshlrev_b32 v181, 26, v176
	v_lshlrev_b32_e32 v182, 25, v176
	v_cmp_gt_i32_e64 s15, 0, v177
	v_cmp_gt_i32_e64 s16, 0, v178
	v_not_b32_e32 v177, v178
	v_not_b32_e32 v178, v179
	v_lshlrev_b32_e32 v183, 24, v176
	v_cmp_gt_i32_e64 s17, 0, v179
	v_cmp_gt_i32_e64 s18, 0, v180
	v_not_b32_e32 v179, v180
	v_not_b32_e32 v180, v181
	v_dual_ashrrev_i32 v177, 31, v177 :: v_dual_bitop2_b32 v67, s15, v67 bitop3:0x14
	v_ashrrev_i32_e32 v178, 31, v178
	v_cmp_gt_i32_e64 s19, 0, v181
	v_cmp_gt_i32_e64 s20, 0, v182
	v_not_b32_e32 v181, v182
	v_not_b32_e32 v182, v183
	v_dual_ashrrev_i32 v179, 31, v179 :: v_dual_ashrrev_i32 v180, 31, v180
	v_xor_b32_e32 v177, s16, v177
	v_xor_b32_e32 v178, s17, v178
	v_bitop3_b32 v61, v61, v67, exec_lo bitop3:0x80
	v_cmp_gt_i32_e64 s21, 0, v183
	v_dual_ashrrev_i32 v67, 31, v181 :: v_dual_ashrrev_i32 v181, 31, v182
	v_xor_b32_e32 v179, s18, v179
	v_xor_b32_e32 v180, s19, v180
	v_bitop3_b32 v61, v61, v178, v177 bitop3:0x80
	v_mad_u32_u24 v177, v176, 36, v23
	v_xor_b32_e32 v67, s20, v67
	v_xor_b32_e32 v178, s21, v181
	s_delay_alu instid0(VALU_DEP_4) | instskip(SKIP_3) | instid1(VALU_DEP_2)
	v_bitop3_b32 v61, v61, v180, v179 bitop3:0x80
	ds_load_b32 v177, v177 offset:1056
	; wave barrier
	v_bitop3_b32 v61, v61, v178, v67 bitop3:0x80
	v_mul_u32_u24_e32 v67, 36, v176
	v_mbcnt_lo_u32_b32 v178, v61, 0
	v_cmp_ne_u32_e64 s15, 0, v61
	s_delay_alu instid0(VALU_DEP_3) | instskip(NEXT) | instid1(VALU_DEP_3)
	v_add_nc_u32_e32 v179, v23, v67
	v_cmp_eq_u32_e32 vcc_lo, 0, v178
	s_and_b32 s16, s15, vcc_lo
	s_delay_alu instid0(SALU_CYCLE_1)
	s_and_saveexec_b32 s15, s16
	s_cbranch_execz .LBB1833_152
; %bb.151:                              ;   in Loop: Header=BB1833_96 Depth=2
	s_wait_dscnt 0x0
	v_bcnt_u32_b32 v61, v61, v177
	ds_store_b32 v179, v61 offset:1056
.LBB1833_152:                           ;   in Loop: Header=BB1833_96 Depth=2
	s_or_b32 exec_lo, exec_lo, s15
	v_cmp_lt_i16_e32 vcc_lo, -1, v66
	; wave barrier
	v_cndmask_b32_e64 v61, -1, 0xffff8000, vcc_lo
	s_delay_alu instid0(VALU_DEP_1) | instskip(NEXT) | instid1(VALU_DEP_1)
	v_xor_b32_e32 v176, v61, v66
	v_cmp_ne_u16_e64 vcc_lo, 0x7fff, v176
	v_cndmask_b32_e32 v61, 0xffff8000, v176, vcc_lo
	s_delay_alu instid0(VALU_DEP_1) | instskip(NEXT) | instid1(VALU_DEP_1)
	v_and_b32_e32 v61, 0xffff, v61
	v_lshrrev_b32_e32 v61, s48, v61
	s_delay_alu instid0(VALU_DEP_1) | instskip(SKIP_1) | instid1(VALU_DEP_2)
	v_bitop3_b32 v66, v61, 1, s52 bitop3:0x80
	v_and_b32_e32 v67, s52, v61
	v_add_co_u32 v61, s15, v66, -1
	s_delay_alu instid0(VALU_DEP_1) | instskip(NEXT) | instid1(VALU_DEP_3)
	v_cndmask_b32_e64 v66, 0, 1, s15
	v_lshlrev_b32_e32 v180, 30, v67
	s_delay_alu instid0(VALU_DEP_2) | instskip(NEXT) | instid1(VALU_DEP_2)
	v_cmp_ne_u32_e32 vcc_lo, 0, v66
	v_not_b32_e32 v66, v180
	v_cmp_gt_i32_e64 s15, 0, v180
	s_delay_alu instid0(VALU_DEP_2) | instskip(SKIP_3) | instid1(VALU_DEP_4)
	v_dual_ashrrev_i32 v66, 31, v66 :: v_dual_lshlrev_b32 v181, 29, v67
	v_dual_lshlrev_b32 v182, 28, v67 :: v_dual_lshlrev_b32 v183, 27, v67
	v_dual_lshlrev_b32 v184, 26, v67 :: v_dual_lshlrev_b32 v185, 25, v67
	v_lshlrev_b32_e32 v186, 24, v67
	v_cmp_gt_i32_e64 s16, 0, v181
	v_not_b32_e32 v180, v181
	v_not_b32_e32 v181, v182
	v_cmp_gt_i32_e64 s17, 0, v182
	v_cmp_gt_i32_e64 s18, 0, v183
	v_not_b32_e32 v182, v183
	v_not_b32_e32 v183, v184
	v_dual_ashrrev_i32 v180, 31, v180 :: v_dual_bitop2_b32 v61, vcc_lo, v61 bitop3:0x14
	v_dual_ashrrev_i32 v181, 31, v181 :: v_dual_bitop2_b32 v66, s15, v66 bitop3:0x14
	v_cmp_gt_i32_e64 s19, 0, v184
	v_cmp_gt_i32_e64 s20, 0, v185
	v_not_b32_e32 v184, v185
	v_not_b32_e32 v185, v186
	v_dual_ashrrev_i32 v182, 31, v182 :: v_dual_ashrrev_i32 v183, 31, v183
	v_xor_b32_e32 v180, s16, v180
	v_xor_b32_e32 v181, s17, v181
	v_bitop3_b32 v61, v61, v66, exec_lo bitop3:0x80
	v_cmp_gt_i32_e64 s21, 0, v186
	v_dual_ashrrev_i32 v66, 31, v184 :: v_dual_ashrrev_i32 v184, 31, v185
	v_xor_b32_e32 v182, s18, v182
	v_xor_b32_e32 v183, s19, v183
	v_bitop3_b32 v61, v61, v181, v180 bitop3:0x80
	v_mad_u32_u24 v180, v67, 36, v23
	v_xor_b32_e32 v66, s20, v66
	v_xor_b32_e32 v184, s21, v184
	s_delay_alu instid0(VALU_DEP_4) | instskip(SKIP_3) | instid1(VALU_DEP_2)
	v_bitop3_b32 v61, v61, v183, v182 bitop3:0x80
	ds_load_b32 v181, v180 offset:1056
	; wave barrier
	v_bitop3_b32 v61, v61, v184, v66 bitop3:0x80
	v_mul_u32_u24_e32 v66, 36, v67
	v_mbcnt_lo_u32_b32 v182, v61, 0
	v_cmp_ne_u32_e64 s15, 0, v61
	s_delay_alu instid0(VALU_DEP_3) | instskip(NEXT) | instid1(VALU_DEP_3)
	v_add_nc_u32_e32 v183, v23, v66
	v_cmp_eq_u32_e32 vcc_lo, 0, v182
	s_and_b32 s16, s15, vcc_lo
	s_delay_alu instid0(SALU_CYCLE_1)
	s_and_saveexec_b32 s15, s16
	s_cbranch_execz .LBB1833_154
; %bb.153:                              ;   in Loop: Header=BB1833_96 Depth=2
	s_wait_dscnt 0x0
	v_bcnt_u32_b32 v61, v61, v181
	ds_store_b32 v183, v61 offset:1056
.LBB1833_154:                           ;   in Loop: Header=BB1833_96 Depth=2
	s_or_b32 exec_lo, exec_lo, s15
	v_cmp_lt_i16_e32 vcc_lo, -1, v65
	; wave barrier
	v_cndmask_b32_e64 v61, -1, 0xffff8000, vcc_lo
	s_delay_alu instid0(VALU_DEP_1) | instskip(NEXT) | instid1(VALU_DEP_1)
	v_xor_b32_e32 v180, v61, v65
	v_cmp_ne_u16_e64 vcc_lo, 0x7fff, v180
	v_cndmask_b32_e32 v61, 0xffff8000, v180, vcc_lo
	s_delay_alu instid0(VALU_DEP_1) | instskip(NEXT) | instid1(VALU_DEP_1)
	v_and_b32_e32 v61, 0xffff, v61
	v_lshrrev_b32_e32 v61, s48, v61
	s_delay_alu instid0(VALU_DEP_1) | instskip(NEXT) | instid1(VALU_DEP_1)
	v_and_b32_e32 v66, s52, v61
	v_lshlrev_b32_e32 v185, 28, v66
	v_bitop3_b32 v65, v61, 1, s52 bitop3:0x80
	v_dual_lshlrev_b32 v67, 30, v66 :: v_dual_lshlrev_b32 v184, 29, v66
	s_delay_alu instid0(VALU_DEP_3) | instskip(NEXT) | instid1(VALU_DEP_3)
	v_cmp_gt_i32_e64 s17, 0, v185
	v_add_co_u32 v61, s15, v65, -1
	s_delay_alu instid0(VALU_DEP_1) | instskip(NEXT) | instid1(VALU_DEP_4)
	v_cndmask_b32_e64 v65, 0, 1, s15
	v_cmp_gt_i32_e64 s15, 0, v67
	v_cmp_gt_i32_e64 s16, 0, v184
	s_delay_alu instid0(VALU_DEP_3) | instskip(SKIP_3) | instid1(VALU_DEP_2)
	v_cmp_ne_u32_e32 vcc_lo, 0, v65
	v_not_b32_e32 v65, v67
	v_not_b32_e32 v67, v184
	;; [unrolled: 1-line block ×3, first 2 shown]
	v_dual_ashrrev_i32 v65, 31, v65 :: v_dual_ashrrev_i32 v67, 31, v67
	v_dual_lshlrev_b32 v186, 27, v66 :: v_dual_lshlrev_b32 v187, 26, v66
	v_dual_lshlrev_b32 v188, 25, v66 :: v_dual_lshlrev_b32 v189, 24, v66
	s_delay_alu instid0(VALU_DEP_4) | instskip(NEXT) | instid1(VALU_DEP_3)
	v_ashrrev_i32_e32 v184, 31, v184
	v_cmp_gt_i32_e64 s18, 0, v186
	v_not_b32_e32 v185, v186
	v_cmp_gt_i32_e64 s19, 0, v187
	v_not_b32_e32 v186, v187
	;; [unrolled: 2-line block ×3, first 2 shown]
	v_not_b32_e32 v188, v189
	s_delay_alu instid0(VALU_DEP_4) | instskip(SKIP_4) | instid1(VALU_DEP_4)
	v_dual_ashrrev_i32 v186, 31, v186 :: v_dual_bitop2_b32 v61, vcc_lo, v61 bitop3:0x14
	v_xor_b32_e32 v65, s15, v65
	v_dual_ashrrev_i32 v185, 31, v185 :: v_dual_bitop2_b32 v67, s16, v67 bitop3:0x14
	v_xor_b32_e32 v184, s17, v184
	v_cmp_gt_i32_e64 s21, 0, v189
	v_bitop3_b32 v61, v61, v65, exec_lo bitop3:0x80
	v_dual_ashrrev_i32 v65, 31, v187 :: v_dual_ashrrev_i32 v187, 31, v188
	v_xor_b32_e32 v185, s18, v185
	v_xor_b32_e32 v186, s19, v186
	s_delay_alu instid0(VALU_DEP_4) | instskip(SKIP_3) | instid1(VALU_DEP_4)
	v_bitop3_b32 v61, v61, v184, v67 bitop3:0x80
	v_mad_u32_u24 v67, v66, 36, v23
	v_xor_b32_e32 v65, s20, v65
	v_xor_b32_e32 v184, s21, v187
	v_bitop3_b32 v61, v61, v186, v185 bitop3:0x80
	ds_load_b32 v185, v67 offset:1056
	; wave barrier
	v_bitop3_b32 v61, v61, v184, v65 bitop3:0x80
	v_mul_u32_u24_e32 v65, 36, v66
	s_delay_alu instid0(VALU_DEP_2) | instskip(SKIP_1) | instid1(VALU_DEP_3)
	v_mbcnt_lo_u32_b32 v186, v61, 0
	v_cmp_ne_u32_e64 s15, 0, v61
	v_add_nc_u32_e32 v187, v23, v65
	s_delay_alu instid0(VALU_DEP_3) | instskip(SKIP_1) | instid1(SALU_CYCLE_1)
	v_cmp_eq_u32_e32 vcc_lo, 0, v186
	s_and_b32 s16, s15, vcc_lo
	s_and_saveexec_b32 s15, s16
	s_cbranch_execz .LBB1833_156
; %bb.155:                              ;   in Loop: Header=BB1833_96 Depth=2
	s_wait_dscnt 0x0
	v_bcnt_u32_b32 v61, v61, v185
	ds_store_b32 v187, v61 offset:1056
.LBB1833_156:                           ;   in Loop: Header=BB1833_96 Depth=2
	s_or_b32 exec_lo, exec_lo, s15
	v_cmp_lt_i16_e32 vcc_lo, -1, v64
	; wave barrier
	v_cndmask_b32_e64 v61, -1, 0xffff8000, vcc_lo
	s_delay_alu instid0(VALU_DEP_1) | instskip(NEXT) | instid1(VALU_DEP_1)
	v_xor_b32_e32 v184, v61, v64
	v_cmp_ne_u16_e64 vcc_lo, 0x7fff, v184
	v_cndmask_b32_e32 v61, 0xffff8000, v184, vcc_lo
	s_delay_alu instid0(VALU_DEP_1) | instskip(NEXT) | instid1(VALU_DEP_1)
	v_and_b32_e32 v61, 0xffff, v61
	v_lshrrev_b32_e32 v61, s48, v61
	s_delay_alu instid0(VALU_DEP_1) | instskip(SKIP_1) | instid1(VALU_DEP_2)
	v_bitop3_b32 v64, v61, 1, s52 bitop3:0x80
	v_and_b32_e32 v65, s52, v61
	v_add_co_u32 v61, s15, v64, -1
	s_delay_alu instid0(VALU_DEP_1) | instskip(NEXT) | instid1(VALU_DEP_3)
	v_cndmask_b32_e64 v64, 0, 1, s15
	v_lshlrev_b32_e32 v66, 30, v65
	s_delay_alu instid0(VALU_DEP_2) | instskip(NEXT) | instid1(VALU_DEP_2)
	v_cmp_ne_u32_e32 vcc_lo, 0, v64
	v_not_b32_e32 v64, v66
	v_cmp_gt_i32_e64 s15, 0, v66
	s_delay_alu instid0(VALU_DEP_2) | instskip(SKIP_3) | instid1(VALU_DEP_4)
	v_dual_ashrrev_i32 v64, 31, v64 :: v_dual_lshlrev_b32 v67, 29, v65
	v_dual_lshlrev_b32 v188, 28, v65 :: v_dual_lshlrev_b32 v189, 27, v65
	v_dual_lshlrev_b32 v190, 26, v65 :: v_dual_lshlrev_b32 v191, 25, v65
	v_lshlrev_b32_e32 v192, 24, v65
	v_cmp_gt_i32_e64 s16, 0, v67
	v_not_b32_e32 v66, v67
	v_not_b32_e32 v67, v188
	v_cmp_gt_i32_e64 s17, 0, v188
	v_cmp_gt_i32_e64 s18, 0, v189
	v_not_b32_e32 v188, v189
	v_not_b32_e32 v189, v190
	v_dual_ashrrev_i32 v66, 31, v66 :: v_dual_bitop2_b32 v61, vcc_lo, v61 bitop3:0x14
	v_dual_ashrrev_i32 v67, 31, v67 :: v_dual_bitop2_b32 v64, s15, v64 bitop3:0x14
	v_cmp_gt_i32_e64 s19, 0, v190
	v_cmp_gt_i32_e64 s20, 0, v191
	v_not_b32_e32 v190, v191
	v_not_b32_e32 v191, v192
	v_dual_ashrrev_i32 v188, 31, v188 :: v_dual_ashrrev_i32 v189, 31, v189
	v_xor_b32_e32 v66, s16, v66
	v_xor_b32_e32 v67, s17, v67
	v_bitop3_b32 v61, v61, v64, exec_lo bitop3:0x80
	v_cmp_gt_i32_e64 s21, 0, v192
	v_dual_ashrrev_i32 v64, 31, v190 :: v_dual_ashrrev_i32 v190, 31, v191
	v_xor_b32_e32 v188, s18, v188
	v_xor_b32_e32 v189, s19, v189
	v_bitop3_b32 v61, v61, v67, v66 bitop3:0x80
	v_mad_u32_u24 v66, v65, 36, v23
	v_xor_b32_e32 v64, s20, v64
	v_xor_b32_e32 v67, s21, v190
	s_delay_alu instid0(VALU_DEP_4) | instskip(SKIP_3) | instid1(VALU_DEP_2)
	v_bitop3_b32 v61, v61, v189, v188 bitop3:0x80
	ds_load_b32 v189, v66 offset:1056
	; wave barrier
	v_bitop3_b32 v61, v61, v67, v64 bitop3:0x80
	v_mul_u32_u24_e32 v64, 36, v65
	v_mbcnt_lo_u32_b32 v190, v61, 0
	v_cmp_ne_u32_e64 s15, 0, v61
	s_delay_alu instid0(VALU_DEP_3) | instskip(NEXT) | instid1(VALU_DEP_3)
	v_add_nc_u32_e32 v191, v23, v64
	v_cmp_eq_u32_e32 vcc_lo, 0, v190
	s_and_b32 s16, s15, vcc_lo
	s_delay_alu instid0(SALU_CYCLE_1)
	s_and_saveexec_b32 s15, s16
	s_cbranch_execz .LBB1833_158
; %bb.157:                              ;   in Loop: Header=BB1833_96 Depth=2
	s_wait_dscnt 0x0
	v_bcnt_u32_b32 v61, v61, v189
	ds_store_b32 v191, v61 offset:1056
.LBB1833_158:                           ;   in Loop: Header=BB1833_96 Depth=2
	s_or_b32 exec_lo, exec_lo, s15
	v_cmp_lt_i16_e32 vcc_lo, -1, v63
	; wave barrier
	v_cndmask_b32_e64 v61, -1, 0xffff8000, vcc_lo
	s_delay_alu instid0(VALU_DEP_1) | instskip(NEXT) | instid1(VALU_DEP_1)
	v_xor_b32_e32 v188, v61, v63
	v_cmp_ne_u16_e64 vcc_lo, 0x7fff, v188
	v_cndmask_b32_e32 v61, 0xffff8000, v188, vcc_lo
	s_delay_alu instid0(VALU_DEP_1) | instskip(NEXT) | instid1(VALU_DEP_1)
	v_and_b32_e32 v61, 0xffff, v61
	v_lshrrev_b32_e32 v61, s48, v61
	s_delay_alu instid0(VALU_DEP_1) | instskip(SKIP_1) | instid1(VALU_DEP_2)
	v_bitop3_b32 v63, v61, 1, s52 bitop3:0x80
	v_and_b32_e32 v64, s52, v61
	v_add_co_u32 v61, s15, v63, -1
	s_delay_alu instid0(VALU_DEP_1) | instskip(NEXT) | instid1(VALU_DEP_3)
	v_cndmask_b32_e64 v63, 0, 1, s15
	v_lshlrev_b32_e32 v65, 30, v64
	s_delay_alu instid0(VALU_DEP_2) | instskip(NEXT) | instid1(VALU_DEP_2)
	v_cmp_ne_u32_e32 vcc_lo, 0, v63
	v_not_b32_e32 v63, v65
	s_delay_alu instid0(VALU_DEP_1) | instskip(SKIP_4) | instid1(VALU_DEP_4)
	v_dual_ashrrev_i32 v63, 31, v63 :: v_dual_bitop2_b32 v61, vcc_lo, v61 bitop3:0x14
	v_dual_lshlrev_b32 v66, 29, v64 :: v_dual_lshlrev_b32 v67, 28, v64
	v_dual_lshlrev_b32 v192, 27, v64 :: v_dual_lshlrev_b32 v193, 26, v64
	v_lshlrev_b32_e32 v194, 25, v64
	v_cmp_gt_i32_e64 s15, 0, v65
	v_cmp_gt_i32_e64 s16, 0, v66
	v_not_b32_e32 v65, v66
	v_not_b32_e32 v66, v67
	v_lshlrev_b32_e32 v195, 24, v64
	v_cmp_gt_i32_e64 s17, 0, v67
	v_cmp_gt_i32_e64 s18, 0, v192
	v_not_b32_e32 v67, v192
	v_not_b32_e32 v192, v193
	v_dual_ashrrev_i32 v65, 31, v65 :: v_dual_bitop2_b32 v63, s15, v63 bitop3:0x14
	v_ashrrev_i32_e32 v66, 31, v66
	v_cmp_gt_i32_e64 s19, 0, v193
	v_cmp_gt_i32_e64 s20, 0, v194
	v_not_b32_e32 v193, v194
	v_not_b32_e32 v194, v195
	v_dual_ashrrev_i32 v67, 31, v67 :: v_dual_ashrrev_i32 v192, 31, v192
	v_xor_b32_e32 v65, s16, v65
	v_xor_b32_e32 v66, s17, v66
	v_bitop3_b32 v61, v61, v63, exec_lo bitop3:0x80
	v_cmp_gt_i32_e64 s21, 0, v195
	v_dual_ashrrev_i32 v63, 31, v193 :: v_dual_ashrrev_i32 v193, 31, v194
	v_xor_b32_e32 v67, s18, v67
	v_xor_b32_e32 v192, s19, v192
	v_bitop3_b32 v61, v61, v66, v65 bitop3:0x80
	v_mad_u32_u24 v65, v64, 36, v23
	v_xor_b32_e32 v63, s20, v63
	v_xor_b32_e32 v66, s21, v193
	s_delay_alu instid0(VALU_DEP_4) | instskip(SKIP_3) | instid1(VALU_DEP_2)
	v_bitop3_b32 v61, v61, v192, v67 bitop3:0x80
	ds_load_b32 v193, v65 offset:1056
	; wave barrier
	v_bitop3_b32 v61, v61, v66, v63 bitop3:0x80
	v_mul_u32_u24_e32 v63, 36, v64
	v_mbcnt_lo_u32_b32 v194, v61, 0
	v_cmp_ne_u32_e64 s15, 0, v61
	s_delay_alu instid0(VALU_DEP_3) | instskip(NEXT) | instid1(VALU_DEP_3)
	v_add_nc_u32_e32 v195, v23, v63
	v_cmp_eq_u32_e32 vcc_lo, 0, v194
	s_and_b32 s16, s15, vcc_lo
	s_delay_alu instid0(SALU_CYCLE_1)
	s_and_saveexec_b32 s15, s16
	s_cbranch_execz .LBB1833_160
; %bb.159:                              ;   in Loop: Header=BB1833_96 Depth=2
	s_wait_dscnt 0x0
	v_bcnt_u32_b32 v61, v61, v193
	ds_store_b32 v195, v61 offset:1056
.LBB1833_160:                           ;   in Loop: Header=BB1833_96 Depth=2
	s_or_b32 exec_lo, exec_lo, s15
	v_cmp_lt_i16_e32 vcc_lo, -1, v62
	; wave barrier
	v_cndmask_b32_e64 v61, -1, 0xffff8000, vcc_lo
	s_delay_alu instid0(VALU_DEP_1) | instskip(NEXT) | instid1(VALU_DEP_1)
	v_xor_b32_e32 v192, v61, v62
	v_cmp_ne_u16_e64 vcc_lo, 0x7fff, v192
	v_cndmask_b32_e32 v61, 0xffff8000, v192, vcc_lo
	s_delay_alu instid0(VALU_DEP_1) | instskip(NEXT) | instid1(VALU_DEP_1)
	v_and_b32_e32 v61, 0xffff, v61
	v_lshrrev_b32_e32 v61, s48, v61
	s_delay_alu instid0(VALU_DEP_1) | instskip(SKIP_1) | instid1(VALU_DEP_2)
	v_bitop3_b32 v62, v61, 1, s52 bitop3:0x80
	v_and_b32_e32 v63, s52, v61
	v_add_co_u32 v61, s15, v62, -1
	s_delay_alu instid0(VALU_DEP_1) | instskip(NEXT) | instid1(VALU_DEP_3)
	v_cndmask_b32_e64 v62, 0, 1, s15
	v_lshlrev_b32_e32 v64, 30, v63
	s_delay_alu instid0(VALU_DEP_2) | instskip(NEXT) | instid1(VALU_DEP_2)
	v_cmp_ne_u32_e32 vcc_lo, 0, v62
	v_not_b32_e32 v62, v64
	v_cmp_gt_i32_e64 s15, 0, v64
	s_delay_alu instid0(VALU_DEP_2) | instskip(SKIP_3) | instid1(VALU_DEP_4)
	v_dual_ashrrev_i32 v62, 31, v62 :: v_dual_lshlrev_b32 v65, 29, v63
	v_dual_lshlrev_b32 v66, 28, v63 :: v_dual_lshlrev_b32 v67, 27, v63
	v_dual_lshlrev_b32 v196, 26, v63 :: v_dual_lshlrev_b32 v197, 25, v63
	v_lshlrev_b32_e32 v198, 24, v63
	v_cmp_gt_i32_e64 s16, 0, v65
	v_not_b32_e32 v64, v65
	v_not_b32_e32 v65, v66
	v_cmp_gt_i32_e64 s17, 0, v66
	v_cmp_gt_i32_e64 s18, 0, v67
	v_not_b32_e32 v66, v67
	v_not_b32_e32 v67, v196
	v_dual_ashrrev_i32 v64, 31, v64 :: v_dual_bitop2_b32 v61, vcc_lo, v61 bitop3:0x14
	v_dual_ashrrev_i32 v65, 31, v65 :: v_dual_bitop2_b32 v62, s15, v62 bitop3:0x14
	v_cmp_gt_i32_e64 s19, 0, v196
	v_cmp_gt_i32_e64 s20, 0, v197
	v_not_b32_e32 v196, v197
	v_not_b32_e32 v197, v198
	v_dual_ashrrev_i32 v66, 31, v66 :: v_dual_ashrrev_i32 v67, 31, v67
	v_xor_b32_e32 v64, s16, v64
	v_xor_b32_e32 v65, s17, v65
	v_bitop3_b32 v61, v61, v62, exec_lo bitop3:0x80
	v_cmp_gt_i32_e64 s21, 0, v198
	v_dual_ashrrev_i32 v62, 31, v196 :: v_dual_ashrrev_i32 v196, 31, v197
	v_xor_b32_e32 v66, s18, v66
	v_xor_b32_e32 v67, s19, v67
	v_bitop3_b32 v61, v61, v65, v64 bitop3:0x80
	v_mad_u32_u24 v64, v63, 36, v23
	v_xor_b32_e32 v62, s20, v62
	v_xor_b32_e32 v65, s21, v196
	s_delay_alu instid0(VALU_DEP_4) | instskip(SKIP_3) | instid1(VALU_DEP_2)
	v_bitop3_b32 v61, v61, v67, v66 bitop3:0x80
	ds_load_b32 v197, v64 offset:1056
	; wave barrier
	v_bitop3_b32 v61, v61, v65, v62 bitop3:0x80
	v_mul_u32_u24_e32 v62, 36, v63
	v_mbcnt_lo_u32_b32 v198, v61, 0
	v_cmp_ne_u32_e64 s15, 0, v61
	s_delay_alu instid0(VALU_DEP_3) | instskip(NEXT) | instid1(VALU_DEP_3)
	v_add_nc_u32_e32 v199, v23, v62
	v_cmp_eq_u32_e32 vcc_lo, 0, v198
	s_and_b32 s16, s15, vcc_lo
	s_delay_alu instid0(SALU_CYCLE_1)
	s_and_saveexec_b32 s15, s16
	s_cbranch_execz .LBB1833_162
; %bb.161:                              ;   in Loop: Header=BB1833_96 Depth=2
	s_wait_dscnt 0x0
	v_bcnt_u32_b32 v61, v61, v197
	ds_store_b32 v199, v61 offset:1056
.LBB1833_162:                           ;   in Loop: Header=BB1833_96 Depth=2
	s_or_b32 exec_lo, exec_lo, s15
	v_cmp_lt_i16_e32 vcc_lo, -1, v60
	; wave barrier
	v_cndmask_b32_e64 v61, -1, 0xffff8000, vcc_lo
	s_delay_alu instid0(VALU_DEP_1) | instskip(NEXT) | instid1(VALU_DEP_1)
	v_xor_b32_e32 v196, v61, v60
	v_cmp_ne_u16_e64 vcc_lo, 0x7fff, v196
	v_cndmask_b32_e32 v60, 0xffff8000, v196, vcc_lo
	s_delay_alu instid0(VALU_DEP_1) | instskip(NEXT) | instid1(VALU_DEP_1)
	v_and_b32_e32 v60, 0xffff, v60
	v_lshrrev_b32_e32 v60, s48, v60
	s_delay_alu instid0(VALU_DEP_1) | instskip(SKIP_1) | instid1(VALU_DEP_2)
	v_bitop3_b32 v61, v60, 1, s52 bitop3:0x80
	v_and_b32_e32 v62, s52, v60
	v_add_co_u32 v60, s15, v61, -1
	s_delay_alu instid0(VALU_DEP_1) | instskip(NEXT) | instid1(VALU_DEP_3)
	v_cndmask_b32_e64 v61, 0, 1, s15
	v_lshlrev_b32_e32 v63, 30, v62
	s_delay_alu instid0(VALU_DEP_2) | instskip(NEXT) | instid1(VALU_DEP_2)
	v_cmp_ne_u32_e32 vcc_lo, 0, v61
	v_not_b32_e32 v61, v63
	v_cmp_gt_i32_e64 s15, 0, v63
	s_delay_alu instid0(VALU_DEP_2) | instskip(SKIP_3) | instid1(VALU_DEP_4)
	v_dual_ashrrev_i32 v61, 31, v61 :: v_dual_lshlrev_b32 v64, 29, v62
	v_dual_lshlrev_b32 v65, 28, v62 :: v_dual_lshlrev_b32 v66, 27, v62
	v_dual_lshlrev_b32 v67, 26, v62 :: v_dual_lshlrev_b32 v200, 25, v62
	v_lshlrev_b32_e32 v201, 24, v62
	v_cmp_gt_i32_e64 s16, 0, v64
	v_not_b32_e32 v63, v64
	v_not_b32_e32 v64, v65
	v_cmp_gt_i32_e64 s17, 0, v65
	v_cmp_gt_i32_e64 s18, 0, v66
	v_not_b32_e32 v65, v66
	v_not_b32_e32 v66, v67
	v_dual_ashrrev_i32 v63, 31, v63 :: v_dual_bitop2_b32 v60, vcc_lo, v60 bitop3:0x14
	v_dual_ashrrev_i32 v64, 31, v64 :: v_dual_bitop2_b32 v61, s15, v61 bitop3:0x14
	v_cmp_gt_i32_e64 s19, 0, v67
	v_cmp_gt_i32_e64 s20, 0, v200
	v_not_b32_e32 v67, v200
	v_not_b32_e32 v200, v201
	v_dual_ashrrev_i32 v65, 31, v65 :: v_dual_ashrrev_i32 v66, 31, v66
	v_xor_b32_e32 v63, s16, v63
	v_xor_b32_e32 v64, s17, v64
	v_bitop3_b32 v60, v60, v61, exec_lo bitop3:0x80
	v_cmp_gt_i32_e64 s21, 0, v201
	v_dual_ashrrev_i32 v61, 31, v67 :: v_dual_ashrrev_i32 v67, 31, v200
	v_xor_b32_e32 v65, s18, v65
	v_xor_b32_e32 v66, s19, v66
	v_bitop3_b32 v60, v60, v64, v63 bitop3:0x80
	v_mad_u32_u24 v63, v62, 36, v23
	v_xor_b32_e32 v61, s20, v61
	v_xor_b32_e32 v64, s21, v67
	s_delay_alu instid0(VALU_DEP_4) | instskip(SKIP_3) | instid1(VALU_DEP_2)
	v_bitop3_b32 v60, v60, v66, v65 bitop3:0x80
	ds_load_b32 v200, v63 offset:1056
	; wave barrier
	v_bitop3_b32 v60, v60, v64, v61 bitop3:0x80
	v_mul_u32_u24_e32 v61, 36, v62
	v_mbcnt_lo_u32_b32 v201, v60, 0
	v_cmp_ne_u32_e64 s15, 0, v60
	s_delay_alu instid0(VALU_DEP_3) | instskip(NEXT) | instid1(VALU_DEP_3)
	v_add_nc_u32_e32 v202, v23, v61
	v_cmp_eq_u32_e32 vcc_lo, 0, v201
	s_and_b32 s16, s15, vcc_lo
	s_delay_alu instid0(SALU_CYCLE_1)
	s_and_saveexec_b32 s15, s16
	s_cbranch_execz .LBB1833_164
; %bb.163:                              ;   in Loop: Header=BB1833_96 Depth=2
	s_wait_dscnt 0x0
	v_bcnt_u32_b32 v60, v60, v200
	ds_store_b32 v202, v60 offset:1056
.LBB1833_164:                           ;   in Loop: Header=BB1833_96 Depth=2
	s_or_b32 exec_lo, exec_lo, s15
	; wave barrier
	s_wait_dscnt 0x0
	s_barrier_signal -1
	s_barrier_wait -1
	ds_load_2addr_b32 v[66:67], v118 offset1:1
	ds_load_2addr_b32 v[64:65], v119 offset1:1
	ds_load_2addr_b32 v[62:63], v120 offset1:1
	ds_load_2addr_b32 v[60:61], v121 offset1:1
	ds_load_b32 v203, v91 offset:1088
	s_wait_dscnt 0x3
	v_add3_u32 v204, v67, v66, v64
	s_wait_dscnt 0x2
	s_delay_alu instid0(VALU_DEP_1) | instskip(SKIP_1) | instid1(VALU_DEP_1)
	v_add3_u32 v204, v204, v65, v62
	s_wait_dscnt 0x1
	v_add3_u32 v204, v204, v63, v60
	s_wait_dscnt 0x0
	s_delay_alu instid0(VALU_DEP_1) | instskip(NEXT) | instid1(VALU_DEP_1)
	v_add3_u32 v203, v204, v61, v203
	v_mov_b32_dpp v204, v203 row_shr:1 row_mask:0xf bank_mask:0xf
	s_delay_alu instid0(VALU_DEP_1) | instskip(NEXT) | instid1(VALU_DEP_1)
	v_cndmask_b32_e64 v204, v204, 0, s7
	v_add_nc_u32_e32 v203, v204, v203
	s_delay_alu instid0(VALU_DEP_1) | instskip(NEXT) | instid1(VALU_DEP_1)
	v_mov_b32_dpp v204, v203 row_shr:2 row_mask:0xf bank_mask:0xf
	v_cndmask_b32_e64 v204, 0, v204, s8
	s_delay_alu instid0(VALU_DEP_1) | instskip(NEXT) | instid1(VALU_DEP_1)
	v_add_nc_u32_e32 v203, v203, v204
	v_mov_b32_dpp v204, v203 row_shr:4 row_mask:0xf bank_mask:0xf
	s_delay_alu instid0(VALU_DEP_1) | instskip(NEXT) | instid1(VALU_DEP_1)
	v_cndmask_b32_e64 v204, 0, v204, s9
	v_add_nc_u32_e32 v203, v203, v204
	s_delay_alu instid0(VALU_DEP_1) | instskip(NEXT) | instid1(VALU_DEP_1)
	v_mov_b32_dpp v204, v203 row_shr:8 row_mask:0xf bank_mask:0xf
	v_cndmask_b32_e64 v204, 0, v204, s10
	s_delay_alu instid0(VALU_DEP_1) | instskip(SKIP_3) | instid1(VALU_DEP_1)
	v_add_nc_u32_e32 v203, v203, v204
	ds_swizzle_b32 v204, v203 offset:swizzle(BROADCAST,32,15)
	s_wait_dscnt 0x0
	v_cndmask_b32_e64 v204, v204, 0, s11
	v_add_nc_u32_e32 v203, v203, v204
	s_and_saveexec_b32 s15, s1
; %bb.165:                              ;   in Loop: Header=BB1833_96 Depth=2
	ds_store_b32 v84, v203 offset:1024
; %bb.166:                              ;   in Loop: Header=BB1833_96 Depth=2
	s_or_b32 exec_lo, exec_lo, s15
	s_wait_dscnt 0x0
	s_barrier_signal -1
	s_barrier_wait -1
	s_and_saveexec_b32 s15, s4
	s_cbranch_execz .LBB1833_168
; %bb.167:                              ;   in Loop: Header=BB1833_96 Depth=2
	ds_load_b32 v204, v92 offset:1024
	s_wait_dscnt 0x0
	v_mov_b32_dpp v205, v204 row_shr:1 row_mask:0xf bank_mask:0xf
	s_delay_alu instid0(VALU_DEP_1) | instskip(NEXT) | instid1(VALU_DEP_1)
	v_cndmask_b32_e64 v205, v205, 0, s12
	v_add_nc_u32_e32 v204, v205, v204
	s_delay_alu instid0(VALU_DEP_1) | instskip(NEXT) | instid1(VALU_DEP_1)
	v_mov_b32_dpp v205, v204 row_shr:2 row_mask:0xf bank_mask:0xf
	v_cndmask_b32_e64 v205, 0, v205, s13
	s_delay_alu instid0(VALU_DEP_1) | instskip(NEXT) | instid1(VALU_DEP_1)
	v_add_nc_u32_e32 v204, v204, v205
	v_mov_b32_dpp v205, v204 row_shr:4 row_mask:0xf bank_mask:0xf
	s_delay_alu instid0(VALU_DEP_1) | instskip(NEXT) | instid1(VALU_DEP_1)
	v_cndmask_b32_e64 v205, 0, v205, s14
	v_add_nc_u32_e32 v204, v204, v205
	ds_store_b32 v92, v204 offset:1024
.LBB1833_168:                           ;   in Loop: Header=BB1833_96 Depth=2
	s_or_b32 exec_lo, exec_lo, s15
	v_mov_b32_e32 v204, 0
	s_wait_dscnt 0x0
	s_barrier_signal -1
	s_barrier_wait -1
	s_and_saveexec_b32 s15, s5
; %bb.169:                              ;   in Loop: Header=BB1833_96 Depth=2
	ds_load_b32 v204, v84 offset:1020
; %bb.170:                              ;   in Loop: Header=BB1833_96 Depth=2
	s_or_b32 exec_lo, exec_lo, s15
	s_wait_dscnt 0x0
	v_add_nc_u32_e32 v203, v204, v203
	ds_bpermute_b32 v203, v122, v203
	s_wait_dscnt 0x0
	v_cndmask_b32_e64 v203, v203, v204, s6
	s_delay_alu instid0(VALU_DEP_1) | instskip(NEXT) | instid1(VALU_DEP_1)
	v_cndmask_b32_e64 v203, v203, 0, s2
	v_add_nc_u32_e32 v66, v203, v66
	s_delay_alu instid0(VALU_DEP_1) | instskip(NEXT) | instid1(VALU_DEP_1)
	v_add_nc_u32_e32 v67, v66, v67
	v_add_nc_u32_e32 v64, v67, v64
	s_delay_alu instid0(VALU_DEP_1) | instskip(NEXT) | instid1(VALU_DEP_1)
	v_add_nc_u32_e32 v65, v64, v65
	;; [unrolled: 3-line block ×3, first 2 shown]
	v_add_nc_u32_e32 v60, v63, v60
	s_delay_alu instid0(VALU_DEP_1)
	v_add_nc_u32_e32 v61, v60, v61
	ds_store_2addr_b32 v121, v63, v60 offset1:1
	ds_store_2addr_b32 v118, v203, v66 offset1:1
	;; [unrolled: 1-line block ×4, first 2 shown]
	ds_store_b32 v91, v61 offset:1088
	s_wait_dscnt 0x0
	s_barrier_signal -1
	s_barrier_wait -1
	ds_load_b32 v63, v143 offset:1056
	ds_load_b32 v65, v147 offset:1056
	;; [unrolled: 1-line block ×17, first 2 shown]
	v_mov_b32_e32 v62, 0x1000
	s_and_saveexec_b32 s15, s3
; %bb.171:                              ;   in Loop: Header=BB1833_96 Depth=2
	ds_load_b32 v62, v91 offset:1092
; %bb.172:                              ;   in Loop: Header=BB1833_96 Depth=2
	s_or_b32 exec_lo, exec_lo, s15
	s_wait_dscnt 0x0
	s_barrier_signal -1
	s_barrier_wait -1
	s_and_saveexec_b32 s15, s0
	s_cbranch_execz .LBB1833_174
; %bb.173:                              ;   in Loop: Header=BB1833_96 Depth=2
	ds_load_b32 v155, v3
	s_wait_dscnt 0x0
	v_sub_nc_u32_e32 v151, v155, v151
	ds_store_b32 v3, v151
.LBB1833_174:                           ;   in Loop: Header=BB1833_96 Depth=2
	s_or_b32 exec_lo, exec_lo, s15
	v_add3_u32 v159, v146, v145, v65
	v_add_nc_u32_e32 v163, v63, v142
	v_add3_u32 v155, v150, v149, v66
	v_add3_u32 v151, v154, v153, v67
	;; [unrolled: 1-line block ×4, first 2 shown]
	v_lshlrev_b32_e32 v60, 1, v159
	v_lshlrev_b32_e32 v153, 1, v163
	v_add3_u32 v150, v158, v157, v143
	v_add3_u32 v147, v166, v165, v203
	v_add3_u32 v146, v170, v169, v171
	v_add3_u32 v66, v194, v193, v61
	v_lshlrev_b32_e32 v61, 1, v155
	v_add3_u32 v145, v174, v173, v175
	v_lshlrev_b32_e32 v154, 1, v149
	ds_store_b16 v153, v140 offset:1024
	v_lshlrev_b32_e32 v140, 1, v151
	v_add3_u32 v143, v178, v177, v179
	v_lshlrev_b32_e32 v153, 1, v150
	v_add3_u32 v142, v182, v181, v183
	v_add3_u32 v63, v186, v185, v187
	ds_store_b16 v60, v141 offset:1024
	ds_store_b16 v61, v144 offset:1024
	;; [unrolled: 1-line block ×5, first 2 shown]
	v_dual_lshlrev_b32 v60, 1, v147 :: v_dual_lshlrev_b32 v140, 1, v145
	v_lshlrev_b32_e32 v61, 1, v146
	v_add3_u32 v65, v198, v197, v64
	v_dual_lshlrev_b32 v141, 1, v143 :: v_dual_lshlrev_b32 v144, 1, v142
	v_add3_u32 v64, v201, v200, v167
	ds_store_b16 v60, v160 offset:1024
	ds_store_b16 v61, v164 offset:1024
	;; [unrolled: 1-line block ×5, first 2 shown]
	v_dual_lshlrev_b32 v60, 1, v63 :: v_dual_lshlrev_b32 v140, 1, v66
	v_cmp_lt_u32_e32 vcc_lo, v2, v139
	v_dual_lshlrev_b32 v61, 1, v67 :: v_dual_lshlrev_b32 v141, 1, v65
	v_lshlrev_b32_e32 v144, 1, v64
	ds_store_b16 v60, v180 offset:1024
	ds_store_b16 v61, v184 offset:1024
	;; [unrolled: 1-line block ×5, first 2 shown]
	s_wait_dscnt 0x0
	s_barrier_signal -1
	s_barrier_wait -1
	s_and_saveexec_b32 s16, vcc_lo
	s_cbranch_execnz .LBB1833_243
; %bb.175:                              ;   in Loop: Header=BB1833_96 Depth=2
	s_or_b32 exec_lo, exec_lo, s16
	v_cmp_lt_u32_e64 s15, v68, v139
	s_and_saveexec_b32 s17, s15
	s_cbranch_execnz .LBB1833_244
.LBB1833_176:                           ;   in Loop: Header=BB1833_96 Depth=2
	s_or_b32 exec_lo, exec_lo, s17
	v_cmp_lt_u32_e64 s16, v69, v139
	s_and_saveexec_b32 s18, s16
	s_cbranch_execnz .LBB1833_245
.LBB1833_177:                           ;   in Loop: Header=BB1833_96 Depth=2
	s_or_b32 exec_lo, exec_lo, s18
	v_cmp_lt_u32_e64 s17, v70, v139
	s_and_saveexec_b32 s19, s17
	s_cbranch_execnz .LBB1833_246
.LBB1833_178:                           ;   in Loop: Header=BB1833_96 Depth=2
	s_or_b32 exec_lo, exec_lo, s19
	v_cmp_lt_u32_e64 s18, v71, v139
	s_and_saveexec_b32 s20, s18
	s_cbranch_execnz .LBB1833_247
.LBB1833_179:                           ;   in Loop: Header=BB1833_96 Depth=2
	s_or_b32 exec_lo, exec_lo, s20
	v_cmp_lt_u32_e64 s19, v72, v139
	s_and_saveexec_b32 s21, s19
	s_cbranch_execnz .LBB1833_248
.LBB1833_180:                           ;   in Loop: Header=BB1833_96 Depth=2
	s_or_b32 exec_lo, exec_lo, s21
	v_cmp_lt_u32_e64 s20, v73, v139
	s_and_saveexec_b32 s22, s20
	s_cbranch_execnz .LBB1833_249
.LBB1833_181:                           ;   in Loop: Header=BB1833_96 Depth=2
	s_or_b32 exec_lo, exec_lo, s22
	v_cmp_lt_u32_e64 s21, v74, v139
	s_and_saveexec_b32 s23, s21
	s_cbranch_execnz .LBB1833_250
.LBB1833_182:                           ;   in Loop: Header=BB1833_96 Depth=2
	s_or_b32 exec_lo, exec_lo, s23
	v_cmp_lt_u32_e64 s22, v75, v139
	s_and_saveexec_b32 s24, s22
	s_cbranch_execnz .LBB1833_251
.LBB1833_183:                           ;   in Loop: Header=BB1833_96 Depth=2
	s_or_b32 exec_lo, exec_lo, s24
	v_cmp_lt_u32_e64 s23, v76, v139
	s_and_saveexec_b32 s25, s23
	s_cbranch_execnz .LBB1833_252
.LBB1833_184:                           ;   in Loop: Header=BB1833_96 Depth=2
	s_or_b32 exec_lo, exec_lo, s25
	v_cmp_lt_u32_e64 s24, v77, v139
	s_and_saveexec_b32 s26, s24
	s_cbranch_execnz .LBB1833_253
.LBB1833_185:                           ;   in Loop: Header=BB1833_96 Depth=2
	s_or_b32 exec_lo, exec_lo, s26
	v_cmp_lt_u32_e64 s25, v78, v139
	s_and_saveexec_b32 s27, s25
	s_cbranch_execnz .LBB1833_254
.LBB1833_186:                           ;   in Loop: Header=BB1833_96 Depth=2
	s_or_b32 exec_lo, exec_lo, s27
	v_cmp_lt_u32_e64 s26, v79, v139
	s_and_saveexec_b32 s28, s26
	s_cbranch_execnz .LBB1833_255
.LBB1833_187:                           ;   in Loop: Header=BB1833_96 Depth=2
	s_or_b32 exec_lo, exec_lo, s28
	v_cmp_lt_u32_e64 s27, v80, v139
	s_and_saveexec_b32 s29, s27
	s_cbranch_execnz .LBB1833_256
.LBB1833_188:                           ;   in Loop: Header=BB1833_96 Depth=2
	s_or_b32 exec_lo, exec_lo, s29
	v_cmp_lt_u32_e64 s28, v81, v139
	s_and_saveexec_b32 s30, s28
	s_cbranch_execnz .LBB1833_257
.LBB1833_189:                           ;   in Loop: Header=BB1833_96 Depth=2
	s_or_b32 exec_lo, exec_lo, s30
	v_cmp_lt_u32_e64 s29, v82, v139
	s_and_saveexec_b32 s58, s29
	s_cbranch_execz .LBB1833_191
.LBB1833_190:                           ;   in Loop: Header=BB1833_96 Depth=2
	ds_load_u16 v60, v93 offset:8704
	s_wait_dscnt 0x0
	v_cmp_ne_u16_e64 s30, 0x7fff, v60
	s_delay_alu instid0(VALU_DEP_1) | instskip(SKIP_1) | instid1(VALU_DEP_2)
	v_cndmask_b32_e64 v61, 0xffff8000, v60, s30
	v_cmp_lt_i16_e64 s30, -1, v60
	v_and_b32_e32 v61, 0xffff, v61
	s_delay_alu instid0(VALU_DEP_2) | instskip(NEXT) | instid1(VALU_DEP_1)
	v_cndmask_b32_e64 v140, 0xffff8000, -1, s30
	v_dual_lshrrev_b32 v61, s48, v61 :: v_dual_bitop2_b32 v60, v140, v60 bitop3:0x14
	s_delay_alu instid0(VALU_DEP_1) | instskip(NEXT) | instid1(VALU_DEP_1)
	v_and_b32_e32 v61, s52, v61
	v_lshlrev_b32_e32 v61, 2, v61
	ds_load_b32 v61, v61
	s_wait_dscnt 0x0
	v_add_nc_u32_e32 v61, v61, v82
	global_store_b16 v61, v60, s[38:39] scale_offset
.LBB1833_191:                           ;   in Loop: Header=BB1833_96 Depth=2
	s_wait_xcnt 0x0
	s_or_b32 exec_lo, exec_lo, s58
	v_lshl_add_u64 v[60:61], s[42:43], 3, v[24:25]
	v_cmp_lt_u32_e64 s30, v100, v139
	s_and_saveexec_b32 s42, s30
	s_delay_alu instid0(SALU_CYCLE_1)
	s_xor_b32 s30, exec_lo, s42
	s_cbranch_execnz .LBB1833_258
; %bb.192:                              ;   in Loop: Header=BB1833_96 Depth=2
	s_or_b32 exec_lo, exec_lo, s30
	s_delay_alu instid0(SALU_CYCLE_1)
	s_mov_b32 s42, exec_lo
	v_cmpx_lt_u32_e64 v103, v139
	s_cbranch_execnz .LBB1833_259
.LBB1833_193:                           ;   in Loop: Header=BB1833_96 Depth=2
	s_or_b32 exec_lo, exec_lo, s42
	s_delay_alu instid0(SALU_CYCLE_1)
	s_mov_b32 s42, exec_lo
	v_cmpx_lt_u32_e64 v104, v139
	s_cbranch_execnz .LBB1833_260
.LBB1833_194:                           ;   in Loop: Header=BB1833_96 Depth=2
	s_or_b32 exec_lo, exec_lo, s42
	s_delay_alu instid0(SALU_CYCLE_1)
	s_mov_b32 s42, exec_lo
	v_cmpx_lt_u32_e64 v105, v139
	s_cbranch_execnz .LBB1833_261
.LBB1833_195:                           ;   in Loop: Header=BB1833_96 Depth=2
	s_or_b32 exec_lo, exec_lo, s42
	s_delay_alu instid0(SALU_CYCLE_1)
	s_mov_b32 s42, exec_lo
	v_cmpx_lt_u32_e64 v106, v139
	s_cbranch_execnz .LBB1833_262
.LBB1833_196:                           ;   in Loop: Header=BB1833_96 Depth=2
	s_or_b32 exec_lo, exec_lo, s42
	s_delay_alu instid0(SALU_CYCLE_1)
	s_mov_b32 s42, exec_lo
	v_cmpx_lt_u32_e64 v107, v139
	s_cbranch_execnz .LBB1833_263
.LBB1833_197:                           ;   in Loop: Header=BB1833_96 Depth=2
	s_or_b32 exec_lo, exec_lo, s42
	s_delay_alu instid0(SALU_CYCLE_1)
	s_mov_b32 s42, exec_lo
	v_cmpx_lt_u32_e64 v108, v139
	s_cbranch_execnz .LBB1833_264
.LBB1833_198:                           ;   in Loop: Header=BB1833_96 Depth=2
	s_or_b32 exec_lo, exec_lo, s42
	s_delay_alu instid0(SALU_CYCLE_1)
	s_mov_b32 s42, exec_lo
	v_cmpx_lt_u32_e64 v109, v139
	s_cbranch_execnz .LBB1833_265
.LBB1833_199:                           ;   in Loop: Header=BB1833_96 Depth=2
	s_or_b32 exec_lo, exec_lo, s42
	s_delay_alu instid0(SALU_CYCLE_1)
	s_mov_b32 s42, exec_lo
	v_cmpx_lt_u32_e64 v110, v139
	s_cbranch_execnz .LBB1833_266
.LBB1833_200:                           ;   in Loop: Header=BB1833_96 Depth=2
	s_or_b32 exec_lo, exec_lo, s42
	s_delay_alu instid0(SALU_CYCLE_1)
	s_mov_b32 s42, exec_lo
	v_cmpx_lt_u32_e64 v111, v139
	s_cbranch_execnz .LBB1833_267
.LBB1833_201:                           ;   in Loop: Header=BB1833_96 Depth=2
	s_or_b32 exec_lo, exec_lo, s42
	s_delay_alu instid0(SALU_CYCLE_1)
	s_mov_b32 s42, exec_lo
	v_cmpx_lt_u32_e64 v112, v139
	s_cbranch_execnz .LBB1833_268
.LBB1833_202:                           ;   in Loop: Header=BB1833_96 Depth=2
	s_or_b32 exec_lo, exec_lo, s42
	s_delay_alu instid0(SALU_CYCLE_1)
	s_mov_b32 s42, exec_lo
	v_cmpx_lt_u32_e64 v113, v139
	s_cbranch_execnz .LBB1833_269
.LBB1833_203:                           ;   in Loop: Header=BB1833_96 Depth=2
	s_or_b32 exec_lo, exec_lo, s42
	s_delay_alu instid0(SALU_CYCLE_1)
	s_mov_b32 s42, exec_lo
	v_cmpx_lt_u32_e64 v114, v139
	s_cbranch_execnz .LBB1833_270
.LBB1833_204:                           ;   in Loop: Header=BB1833_96 Depth=2
	s_or_b32 exec_lo, exec_lo, s42
	s_delay_alu instid0(SALU_CYCLE_1)
	s_mov_b32 s42, exec_lo
	v_cmpx_lt_u32_e64 v115, v139
	s_cbranch_execnz .LBB1833_271
.LBB1833_205:                           ;   in Loop: Header=BB1833_96 Depth=2
	s_or_b32 exec_lo, exec_lo, s42
	s_delay_alu instid0(SALU_CYCLE_1)
	s_mov_b32 s42, exec_lo
	v_cmpx_lt_u32_e64 v116, v139
	s_cbranch_execnz .LBB1833_272
.LBB1833_206:                           ;   in Loop: Header=BB1833_96 Depth=2
	s_or_b32 exec_lo, exec_lo, s42
	s_delay_alu instid0(SALU_CYCLE_1)
	s_mov_b32 s42, exec_lo
	v_cmpx_lt_u32_e64 v117, v139
	s_cbranch_execnz .LBB1833_273
.LBB1833_207:                           ;   in Loop: Header=BB1833_96 Depth=2
	s_or_b32 exec_lo, exec_lo, s42
	s_and_saveexec_b32 s42, vcc_lo
	s_cbranch_execnz .LBB1833_274
.LBB1833_208:                           ;   in Loop: Header=BB1833_96 Depth=2
	s_or_b32 exec_lo, exec_lo, s42
	s_and_saveexec_b32 s42, s15
	s_cbranch_execnz .LBB1833_275
.LBB1833_209:                           ;   in Loop: Header=BB1833_96 Depth=2
	s_or_b32 exec_lo, exec_lo, s42
	s_and_saveexec_b32 s42, s16
	s_cbranch_execnz .LBB1833_276
.LBB1833_210:                           ;   in Loop: Header=BB1833_96 Depth=2
	s_or_b32 exec_lo, exec_lo, s42
	s_and_saveexec_b32 s42, s17
	s_cbranch_execnz .LBB1833_277
.LBB1833_211:                           ;   in Loop: Header=BB1833_96 Depth=2
	s_or_b32 exec_lo, exec_lo, s42
	s_and_saveexec_b32 s42, s18
	s_cbranch_execnz .LBB1833_278
.LBB1833_212:                           ;   in Loop: Header=BB1833_96 Depth=2
	s_or_b32 exec_lo, exec_lo, s42
	s_and_saveexec_b32 s42, s19
	s_cbranch_execnz .LBB1833_279
.LBB1833_213:                           ;   in Loop: Header=BB1833_96 Depth=2
	s_or_b32 exec_lo, exec_lo, s42
	s_and_saveexec_b32 s42, s20
	s_cbranch_execnz .LBB1833_280
.LBB1833_214:                           ;   in Loop: Header=BB1833_96 Depth=2
	s_or_b32 exec_lo, exec_lo, s42
	s_and_saveexec_b32 s42, s21
	s_cbranch_execnz .LBB1833_281
.LBB1833_215:                           ;   in Loop: Header=BB1833_96 Depth=2
	s_or_b32 exec_lo, exec_lo, s42
	s_and_saveexec_b32 s42, s22
	s_cbranch_execnz .LBB1833_282
.LBB1833_216:                           ;   in Loop: Header=BB1833_96 Depth=2
	s_or_b32 exec_lo, exec_lo, s42
	s_and_saveexec_b32 s42, s23
	s_cbranch_execnz .LBB1833_283
.LBB1833_217:                           ;   in Loop: Header=BB1833_96 Depth=2
	s_or_b32 exec_lo, exec_lo, s42
	s_and_saveexec_b32 s42, s24
	s_cbranch_execnz .LBB1833_284
.LBB1833_218:                           ;   in Loop: Header=BB1833_96 Depth=2
	s_or_b32 exec_lo, exec_lo, s42
	s_and_saveexec_b32 s42, s25
	s_cbranch_execnz .LBB1833_285
.LBB1833_219:                           ;   in Loop: Header=BB1833_96 Depth=2
	s_or_b32 exec_lo, exec_lo, s42
	s_and_saveexec_b32 s42, s26
	s_cbranch_execnz .LBB1833_286
.LBB1833_220:                           ;   in Loop: Header=BB1833_96 Depth=2
	s_or_b32 exec_lo, exec_lo, s42
	s_and_saveexec_b32 s42, s27
	s_cbranch_execnz .LBB1833_287
.LBB1833_221:                           ;   in Loop: Header=BB1833_96 Depth=2
	s_or_b32 exec_lo, exec_lo, s42
	s_and_saveexec_b32 s42, s28
	s_cbranch_execnz .LBB1833_288
.LBB1833_222:                           ;   in Loop: Header=BB1833_96 Depth=2
	s_or_b32 exec_lo, exec_lo, s42
	s_and_saveexec_b32 s42, s29
	s_cbranch_execz .LBB1833_224
.LBB1833_223:                           ;   in Loop: Header=BB1833_96 Depth=2
	ds_load_u16 v60, v93 offset:8704
	s_wait_dscnt 0x0
	v_cmp_ne_u16_e64 s30, 0x7fff, v60
	s_delay_alu instid0(VALU_DEP_1) | instskip(NEXT) | instid1(VALU_DEP_1)
	v_cndmask_b32_e64 v60, 0xffff8000, v60, s30
	v_and_b32_e32 v60, 0xffff, v60
	s_delay_alu instid0(VALU_DEP_1) | instskip(NEXT) | instid1(VALU_DEP_1)
	v_lshrrev_b32_e32 v60, s48, v60
	v_and_b32_e32 v123, s52, v60
.LBB1833_224:                           ;   in Loop: Header=BB1833_96 Depth=2
	s_or_b32 exec_lo, exec_lo, s42
	v_dual_lshlrev_b32 v60, 3, v163 :: v_dual_lshlrev_b32 v140, 3, v150
	s_wait_loadcnt 0x0
	s_wait_storecnt 0x0
	s_barrier_signal -1
	s_barrier_wait -1
	ds_store_b64 v60, v[58:59] offset:1024
	v_dual_lshlrev_b32 v60, 3, v159 :: v_dual_lshlrev_b32 v141, 3, v149
	v_lshlrev_b32_e32 v61, 3, v155
	v_lshlrev_b32_e32 v139, 3, v151
	ds_store_b64 v60, v[56:57] offset:1024
	ds_store_b64 v61, v[54:55] offset:1024
	;; [unrolled: 1-line block ×5, first 2 shown]
	v_dual_lshlrev_b32 v60, 3, v147 :: v_dual_lshlrev_b32 v141, 3, v142
	v_dual_lshlrev_b32 v61, 3, v146 :: v_dual_lshlrev_b32 v139, 3, v145
	v_lshlrev_b32_e32 v140, 3, v143
	ds_store_b64 v60, v[46:47] offset:1024
	ds_store_b64 v61, v[44:45] offset:1024
	ds_store_b64 v139, v[42:43] offset:1024
	ds_store_b64 v140, v[40:41] offset:1024
	ds_store_b64 v141, v[38:39] offset:1024
	v_dual_lshlrev_b32 v60, 3, v63 :: v_dual_lshlrev_b32 v65, 3, v65
	v_dual_lshlrev_b32 v61, 3, v67 :: v_dual_lshlrev_b32 v64, 3, v64
	v_lshlrev_b32_e32 v63, 3, v66
	ds_store_b64 v60, v[36:37] offset:1024
	ds_store_b64 v61, v[34:35] offset:1024
	;; [unrolled: 1-line block ×5, first 2 shown]
	s_wait_dscnt 0x0
	s_barrier_signal -1
	s_barrier_wait -1
	s_and_saveexec_b32 s30, vcc_lo
	s_cbranch_execnz .LBB1833_289
; %bb.225:                              ;   in Loop: Header=BB1833_96 Depth=2
	s_or_b32 exec_lo, exec_lo, s30
	s_and_saveexec_b32 s30, s15
	s_cbranch_execnz .LBB1833_290
.LBB1833_226:                           ;   in Loop: Header=BB1833_96 Depth=2
	s_or_b32 exec_lo, exec_lo, s30
	s_and_saveexec_b32 s15, s16
	s_cbranch_execnz .LBB1833_291
.LBB1833_227:                           ;   in Loop: Header=BB1833_96 Depth=2
	s_or_b32 exec_lo, exec_lo, s15
	s_and_saveexec_b32 s15, s17
	s_cbranch_execnz .LBB1833_292
.LBB1833_228:                           ;   in Loop: Header=BB1833_96 Depth=2
	s_or_b32 exec_lo, exec_lo, s15
	s_and_saveexec_b32 s15, s18
	s_cbranch_execnz .LBB1833_293
.LBB1833_229:                           ;   in Loop: Header=BB1833_96 Depth=2
	s_or_b32 exec_lo, exec_lo, s15
	s_and_saveexec_b32 s15, s19
	s_cbranch_execnz .LBB1833_294
.LBB1833_230:                           ;   in Loop: Header=BB1833_96 Depth=2
	s_or_b32 exec_lo, exec_lo, s15
	s_and_saveexec_b32 s15, s20
	s_cbranch_execnz .LBB1833_295
.LBB1833_231:                           ;   in Loop: Header=BB1833_96 Depth=2
	s_or_b32 exec_lo, exec_lo, s15
	s_and_saveexec_b32 s15, s21
	s_cbranch_execnz .LBB1833_296
.LBB1833_232:                           ;   in Loop: Header=BB1833_96 Depth=2
	s_or_b32 exec_lo, exec_lo, s15
	s_and_saveexec_b32 s15, s22
	s_cbranch_execnz .LBB1833_297
.LBB1833_233:                           ;   in Loop: Header=BB1833_96 Depth=2
	s_or_b32 exec_lo, exec_lo, s15
	s_and_saveexec_b32 s15, s23
	s_cbranch_execnz .LBB1833_298
.LBB1833_234:                           ;   in Loop: Header=BB1833_96 Depth=2
	s_or_b32 exec_lo, exec_lo, s15
	s_and_saveexec_b32 s15, s24
	s_cbranch_execnz .LBB1833_299
.LBB1833_235:                           ;   in Loop: Header=BB1833_96 Depth=2
	s_or_b32 exec_lo, exec_lo, s15
	s_and_saveexec_b32 s15, s25
	s_cbranch_execnz .LBB1833_300
.LBB1833_236:                           ;   in Loop: Header=BB1833_96 Depth=2
	s_or_b32 exec_lo, exec_lo, s15
	s_and_saveexec_b32 s15, s26
	s_cbranch_execnz .LBB1833_301
.LBB1833_237:                           ;   in Loop: Header=BB1833_96 Depth=2
	s_or_b32 exec_lo, exec_lo, s15
	s_and_saveexec_b32 s15, s27
	s_cbranch_execnz .LBB1833_302
.LBB1833_238:                           ;   in Loop: Header=BB1833_96 Depth=2
	s_or_b32 exec_lo, exec_lo, s15
	s_and_saveexec_b32 s15, s28
	s_cbranch_execnz .LBB1833_303
.LBB1833_239:                           ;   in Loop: Header=BB1833_96 Depth=2
	s_or_b32 exec_lo, exec_lo, s15
	s_and_saveexec_b32 s15, s29
	s_cbranch_execz .LBB1833_241
.LBB1833_240:                           ;   in Loop: Header=BB1833_96 Depth=2
	v_dual_lshlrev_b32 v60, 2, v123 :: v_dual_add_nc_u32 v61, v93, v94
	ds_load_b32 v63, v60
	ds_load_b64 v[60:61], v61 offset:31744
	s_wait_dscnt 0x1
	v_add_nc_u32_e32 v63, v63, v82
	s_wait_dscnt 0x0
	global_store_b64 v63, v[60:61], s[44:45] scale_offset
.LBB1833_241:                           ;   in Loop: Header=BB1833_96 Depth=2
	s_wait_xcnt 0x0
	s_or_b32 exec_lo, exec_lo, s15
	s_wait_storecnt 0x0
	s_barrier_signal -1
	s_barrier_wait -1
	s_and_saveexec_b32 s15, s0
	s_cbranch_execz .LBB1833_95
; %bb.242:                              ;   in Loop: Header=BB1833_96 Depth=2
	ds_load_b32 v60, v3
	s_wait_dscnt 0x0
	v_add_nc_u32_e32 v60, v60, v62
	ds_store_b32 v3, v60
	s_branch .LBB1833_95
.LBB1833_243:                           ;   in Loop: Header=BB1833_96 Depth=2
	ds_load_u16 v60, v93 offset:1024
	s_wait_dscnt 0x0
	v_cmp_ne_u16_e64 s15, 0x7fff, v60
	s_delay_alu instid0(VALU_DEP_1) | instskip(SKIP_1) | instid1(VALU_DEP_2)
	v_cndmask_b32_e64 v61, 0xffff8000, v60, s15
	v_cmp_lt_i16_e64 s15, -1, v60
	v_and_b32_e32 v61, 0xffff, v61
	s_delay_alu instid0(VALU_DEP_2) | instskip(NEXT) | instid1(VALU_DEP_1)
	v_cndmask_b32_e64 v140, 0xffff8000, -1, s15
	v_dual_lshrrev_b32 v61, s48, v61 :: v_dual_bitop2_b32 v60, v140, v60 bitop3:0x14
	s_delay_alu instid0(VALU_DEP_1) | instskip(NEXT) | instid1(VALU_DEP_1)
	v_and_b32_e32 v61, s52, v61
	v_lshlrev_b32_e32 v61, 2, v61
	ds_load_b32 v61, v61
	s_wait_dscnt 0x0
	v_add_nc_u32_e32 v61, v61, v2
	global_store_b16 v61, v60, s[38:39] scale_offset
	s_wait_xcnt 0x0
	s_or_b32 exec_lo, exec_lo, s16
	v_cmp_lt_u32_e64 s15, v68, v139
	s_and_saveexec_b32 s17, s15
	s_cbranch_execz .LBB1833_176
.LBB1833_244:                           ;   in Loop: Header=BB1833_96 Depth=2
	ds_load_u16 v60, v93 offset:1536
	s_wait_dscnt 0x0
	v_cmp_ne_u16_e64 s16, 0x7fff, v60
	s_delay_alu instid0(VALU_DEP_1) | instskip(SKIP_1) | instid1(VALU_DEP_2)
	v_cndmask_b32_e64 v61, 0xffff8000, v60, s16
	v_cmp_lt_i16_e64 s16, -1, v60
	v_and_b32_e32 v61, 0xffff, v61
	s_delay_alu instid0(VALU_DEP_2) | instskip(NEXT) | instid1(VALU_DEP_1)
	v_cndmask_b32_e64 v140, 0xffff8000, -1, s16
	v_dual_lshrrev_b32 v61, s48, v61 :: v_dual_bitop2_b32 v60, v140, v60 bitop3:0x14
	s_delay_alu instid0(VALU_DEP_1) | instskip(NEXT) | instid1(VALU_DEP_1)
	v_and_b32_e32 v61, s52, v61
	v_lshlrev_b32_e32 v61, 2, v61
	ds_load_b32 v61, v61
	s_wait_dscnt 0x0
	v_add_nc_u32_e32 v61, v61, v68
	global_store_b16 v61, v60, s[38:39] scale_offset
	s_wait_xcnt 0x0
	s_or_b32 exec_lo, exec_lo, s17
	v_cmp_lt_u32_e64 s16, v69, v139
	s_and_saveexec_b32 s18, s16
	s_cbranch_execz .LBB1833_177
.LBB1833_245:                           ;   in Loop: Header=BB1833_96 Depth=2
	ds_load_u16 v60, v93 offset:2048
	s_wait_dscnt 0x0
	v_cmp_ne_u16_e64 s17, 0x7fff, v60
	s_delay_alu instid0(VALU_DEP_1) | instskip(SKIP_1) | instid1(VALU_DEP_2)
	v_cndmask_b32_e64 v61, 0xffff8000, v60, s17
	v_cmp_lt_i16_e64 s17, -1, v60
	v_and_b32_e32 v61, 0xffff, v61
	s_delay_alu instid0(VALU_DEP_2) | instskip(NEXT) | instid1(VALU_DEP_1)
	v_cndmask_b32_e64 v140, 0xffff8000, -1, s17
	v_dual_lshrrev_b32 v61, s48, v61 :: v_dual_bitop2_b32 v60, v140, v60 bitop3:0x14
	s_delay_alu instid0(VALU_DEP_1) | instskip(NEXT) | instid1(VALU_DEP_1)
	v_and_b32_e32 v61, s52, v61
	v_lshlrev_b32_e32 v61, 2, v61
	ds_load_b32 v61, v61
	s_wait_dscnt 0x0
	v_add_nc_u32_e32 v61, v61, v69
	global_store_b16 v61, v60, s[38:39] scale_offset
	s_wait_xcnt 0x0
	s_or_b32 exec_lo, exec_lo, s18
	v_cmp_lt_u32_e64 s17, v70, v139
	s_and_saveexec_b32 s19, s17
	s_cbranch_execz .LBB1833_178
.LBB1833_246:                           ;   in Loop: Header=BB1833_96 Depth=2
	ds_load_u16 v60, v93 offset:2560
	s_wait_dscnt 0x0
	v_cmp_ne_u16_e64 s18, 0x7fff, v60
	s_delay_alu instid0(VALU_DEP_1) | instskip(SKIP_1) | instid1(VALU_DEP_2)
	v_cndmask_b32_e64 v61, 0xffff8000, v60, s18
	v_cmp_lt_i16_e64 s18, -1, v60
	v_and_b32_e32 v61, 0xffff, v61
	s_delay_alu instid0(VALU_DEP_2) | instskip(NEXT) | instid1(VALU_DEP_1)
	v_cndmask_b32_e64 v140, 0xffff8000, -1, s18
	v_dual_lshrrev_b32 v61, s48, v61 :: v_dual_bitop2_b32 v60, v140, v60 bitop3:0x14
	s_delay_alu instid0(VALU_DEP_1) | instskip(NEXT) | instid1(VALU_DEP_1)
	v_and_b32_e32 v61, s52, v61
	v_lshlrev_b32_e32 v61, 2, v61
	ds_load_b32 v61, v61
	s_wait_dscnt 0x0
	v_add_nc_u32_e32 v61, v61, v70
	global_store_b16 v61, v60, s[38:39] scale_offset
	s_wait_xcnt 0x0
	s_or_b32 exec_lo, exec_lo, s19
	v_cmp_lt_u32_e64 s18, v71, v139
	s_and_saveexec_b32 s20, s18
	s_cbranch_execz .LBB1833_179
.LBB1833_247:                           ;   in Loop: Header=BB1833_96 Depth=2
	ds_load_u16 v60, v93 offset:3072
	s_wait_dscnt 0x0
	v_cmp_ne_u16_e64 s19, 0x7fff, v60
	s_delay_alu instid0(VALU_DEP_1) | instskip(SKIP_1) | instid1(VALU_DEP_2)
	v_cndmask_b32_e64 v61, 0xffff8000, v60, s19
	v_cmp_lt_i16_e64 s19, -1, v60
	v_and_b32_e32 v61, 0xffff, v61
	s_delay_alu instid0(VALU_DEP_2) | instskip(NEXT) | instid1(VALU_DEP_1)
	v_cndmask_b32_e64 v140, 0xffff8000, -1, s19
	v_dual_lshrrev_b32 v61, s48, v61 :: v_dual_bitop2_b32 v60, v140, v60 bitop3:0x14
	s_delay_alu instid0(VALU_DEP_1) | instskip(NEXT) | instid1(VALU_DEP_1)
	v_and_b32_e32 v61, s52, v61
	v_lshlrev_b32_e32 v61, 2, v61
	ds_load_b32 v61, v61
	s_wait_dscnt 0x0
	v_add_nc_u32_e32 v61, v61, v71
	global_store_b16 v61, v60, s[38:39] scale_offset
	s_wait_xcnt 0x0
	s_or_b32 exec_lo, exec_lo, s20
	v_cmp_lt_u32_e64 s19, v72, v139
	s_and_saveexec_b32 s21, s19
	s_cbranch_execz .LBB1833_180
.LBB1833_248:                           ;   in Loop: Header=BB1833_96 Depth=2
	ds_load_u16 v60, v93 offset:3584
	s_wait_dscnt 0x0
	v_cmp_ne_u16_e64 s20, 0x7fff, v60
	s_delay_alu instid0(VALU_DEP_1) | instskip(SKIP_1) | instid1(VALU_DEP_2)
	v_cndmask_b32_e64 v61, 0xffff8000, v60, s20
	v_cmp_lt_i16_e64 s20, -1, v60
	v_and_b32_e32 v61, 0xffff, v61
	s_delay_alu instid0(VALU_DEP_2) | instskip(NEXT) | instid1(VALU_DEP_1)
	v_cndmask_b32_e64 v140, 0xffff8000, -1, s20
	v_dual_lshrrev_b32 v61, s48, v61 :: v_dual_bitop2_b32 v60, v140, v60 bitop3:0x14
	s_delay_alu instid0(VALU_DEP_1) | instskip(NEXT) | instid1(VALU_DEP_1)
	v_and_b32_e32 v61, s52, v61
	v_lshlrev_b32_e32 v61, 2, v61
	ds_load_b32 v61, v61
	s_wait_dscnt 0x0
	v_add_nc_u32_e32 v61, v61, v72
	global_store_b16 v61, v60, s[38:39] scale_offset
	s_wait_xcnt 0x0
	s_or_b32 exec_lo, exec_lo, s21
	v_cmp_lt_u32_e64 s20, v73, v139
	s_and_saveexec_b32 s22, s20
	s_cbranch_execz .LBB1833_181
.LBB1833_249:                           ;   in Loop: Header=BB1833_96 Depth=2
	ds_load_u16 v60, v93 offset:4096
	s_wait_dscnt 0x0
	v_cmp_ne_u16_e64 s21, 0x7fff, v60
	s_delay_alu instid0(VALU_DEP_1) | instskip(SKIP_1) | instid1(VALU_DEP_2)
	v_cndmask_b32_e64 v61, 0xffff8000, v60, s21
	v_cmp_lt_i16_e64 s21, -1, v60
	v_and_b32_e32 v61, 0xffff, v61
	s_delay_alu instid0(VALU_DEP_2) | instskip(NEXT) | instid1(VALU_DEP_1)
	v_cndmask_b32_e64 v140, 0xffff8000, -1, s21
	v_dual_lshrrev_b32 v61, s48, v61 :: v_dual_bitop2_b32 v60, v140, v60 bitop3:0x14
	s_delay_alu instid0(VALU_DEP_1) | instskip(NEXT) | instid1(VALU_DEP_1)
	v_and_b32_e32 v61, s52, v61
	v_lshlrev_b32_e32 v61, 2, v61
	ds_load_b32 v61, v61
	s_wait_dscnt 0x0
	v_add_nc_u32_e32 v61, v61, v73
	global_store_b16 v61, v60, s[38:39] scale_offset
	s_wait_xcnt 0x0
	s_or_b32 exec_lo, exec_lo, s22
	v_cmp_lt_u32_e64 s21, v74, v139
	s_and_saveexec_b32 s23, s21
	s_cbranch_execz .LBB1833_182
.LBB1833_250:                           ;   in Loop: Header=BB1833_96 Depth=2
	ds_load_u16 v60, v93 offset:4608
	s_wait_dscnt 0x0
	v_cmp_ne_u16_e64 s22, 0x7fff, v60
	s_delay_alu instid0(VALU_DEP_1) | instskip(SKIP_1) | instid1(VALU_DEP_2)
	v_cndmask_b32_e64 v61, 0xffff8000, v60, s22
	v_cmp_lt_i16_e64 s22, -1, v60
	v_and_b32_e32 v61, 0xffff, v61
	s_delay_alu instid0(VALU_DEP_2) | instskip(NEXT) | instid1(VALU_DEP_1)
	v_cndmask_b32_e64 v140, 0xffff8000, -1, s22
	v_dual_lshrrev_b32 v61, s48, v61 :: v_dual_bitop2_b32 v60, v140, v60 bitop3:0x14
	s_delay_alu instid0(VALU_DEP_1) | instskip(NEXT) | instid1(VALU_DEP_1)
	v_and_b32_e32 v61, s52, v61
	v_lshlrev_b32_e32 v61, 2, v61
	ds_load_b32 v61, v61
	s_wait_dscnt 0x0
	v_add_nc_u32_e32 v61, v61, v74
	global_store_b16 v61, v60, s[38:39] scale_offset
	s_wait_xcnt 0x0
	s_or_b32 exec_lo, exec_lo, s23
	v_cmp_lt_u32_e64 s22, v75, v139
	s_and_saveexec_b32 s24, s22
	s_cbranch_execz .LBB1833_183
.LBB1833_251:                           ;   in Loop: Header=BB1833_96 Depth=2
	ds_load_u16 v60, v93 offset:5120
	s_wait_dscnt 0x0
	v_cmp_ne_u16_e64 s23, 0x7fff, v60
	s_delay_alu instid0(VALU_DEP_1) | instskip(SKIP_1) | instid1(VALU_DEP_2)
	v_cndmask_b32_e64 v61, 0xffff8000, v60, s23
	v_cmp_lt_i16_e64 s23, -1, v60
	v_and_b32_e32 v61, 0xffff, v61
	s_delay_alu instid0(VALU_DEP_2) | instskip(NEXT) | instid1(VALU_DEP_1)
	v_cndmask_b32_e64 v140, 0xffff8000, -1, s23
	v_dual_lshrrev_b32 v61, s48, v61 :: v_dual_bitop2_b32 v60, v140, v60 bitop3:0x14
	s_delay_alu instid0(VALU_DEP_1) | instskip(NEXT) | instid1(VALU_DEP_1)
	v_and_b32_e32 v61, s52, v61
	v_lshlrev_b32_e32 v61, 2, v61
	ds_load_b32 v61, v61
	s_wait_dscnt 0x0
	v_add_nc_u32_e32 v61, v61, v75
	global_store_b16 v61, v60, s[38:39] scale_offset
	s_wait_xcnt 0x0
	s_or_b32 exec_lo, exec_lo, s24
	v_cmp_lt_u32_e64 s23, v76, v139
	s_and_saveexec_b32 s25, s23
	s_cbranch_execz .LBB1833_184
.LBB1833_252:                           ;   in Loop: Header=BB1833_96 Depth=2
	ds_load_u16 v60, v93 offset:5632
	s_wait_dscnt 0x0
	v_cmp_ne_u16_e64 s24, 0x7fff, v60
	s_delay_alu instid0(VALU_DEP_1) | instskip(SKIP_1) | instid1(VALU_DEP_2)
	v_cndmask_b32_e64 v61, 0xffff8000, v60, s24
	v_cmp_lt_i16_e64 s24, -1, v60
	v_and_b32_e32 v61, 0xffff, v61
	s_delay_alu instid0(VALU_DEP_2) | instskip(NEXT) | instid1(VALU_DEP_1)
	v_cndmask_b32_e64 v140, 0xffff8000, -1, s24
	v_dual_lshrrev_b32 v61, s48, v61 :: v_dual_bitop2_b32 v60, v140, v60 bitop3:0x14
	s_delay_alu instid0(VALU_DEP_1) | instskip(NEXT) | instid1(VALU_DEP_1)
	v_and_b32_e32 v61, s52, v61
	v_lshlrev_b32_e32 v61, 2, v61
	ds_load_b32 v61, v61
	s_wait_dscnt 0x0
	v_add_nc_u32_e32 v61, v61, v76
	global_store_b16 v61, v60, s[38:39] scale_offset
	s_wait_xcnt 0x0
	s_or_b32 exec_lo, exec_lo, s25
	v_cmp_lt_u32_e64 s24, v77, v139
	s_and_saveexec_b32 s26, s24
	s_cbranch_execz .LBB1833_185
.LBB1833_253:                           ;   in Loop: Header=BB1833_96 Depth=2
	ds_load_u16 v60, v93 offset:6144
	s_wait_dscnt 0x0
	v_cmp_ne_u16_e64 s25, 0x7fff, v60
	s_delay_alu instid0(VALU_DEP_1) | instskip(SKIP_1) | instid1(VALU_DEP_2)
	v_cndmask_b32_e64 v61, 0xffff8000, v60, s25
	v_cmp_lt_i16_e64 s25, -1, v60
	v_and_b32_e32 v61, 0xffff, v61
	s_delay_alu instid0(VALU_DEP_2) | instskip(NEXT) | instid1(VALU_DEP_1)
	v_cndmask_b32_e64 v140, 0xffff8000, -1, s25
	v_dual_lshrrev_b32 v61, s48, v61 :: v_dual_bitop2_b32 v60, v140, v60 bitop3:0x14
	s_delay_alu instid0(VALU_DEP_1) | instskip(NEXT) | instid1(VALU_DEP_1)
	v_and_b32_e32 v61, s52, v61
	v_lshlrev_b32_e32 v61, 2, v61
	ds_load_b32 v61, v61
	s_wait_dscnt 0x0
	v_add_nc_u32_e32 v61, v61, v77
	global_store_b16 v61, v60, s[38:39] scale_offset
	s_wait_xcnt 0x0
	s_or_b32 exec_lo, exec_lo, s26
	v_cmp_lt_u32_e64 s25, v78, v139
	s_and_saveexec_b32 s27, s25
	s_cbranch_execz .LBB1833_186
.LBB1833_254:                           ;   in Loop: Header=BB1833_96 Depth=2
	ds_load_u16 v60, v93 offset:6656
	s_wait_dscnt 0x0
	v_cmp_ne_u16_e64 s26, 0x7fff, v60
	s_delay_alu instid0(VALU_DEP_1) | instskip(SKIP_1) | instid1(VALU_DEP_2)
	v_cndmask_b32_e64 v61, 0xffff8000, v60, s26
	v_cmp_lt_i16_e64 s26, -1, v60
	v_and_b32_e32 v61, 0xffff, v61
	s_delay_alu instid0(VALU_DEP_2) | instskip(NEXT) | instid1(VALU_DEP_1)
	v_cndmask_b32_e64 v140, 0xffff8000, -1, s26
	v_dual_lshrrev_b32 v61, s48, v61 :: v_dual_bitop2_b32 v60, v140, v60 bitop3:0x14
	s_delay_alu instid0(VALU_DEP_1) | instskip(NEXT) | instid1(VALU_DEP_1)
	v_and_b32_e32 v61, s52, v61
	v_lshlrev_b32_e32 v61, 2, v61
	ds_load_b32 v61, v61
	s_wait_dscnt 0x0
	v_add_nc_u32_e32 v61, v61, v78
	global_store_b16 v61, v60, s[38:39] scale_offset
	s_wait_xcnt 0x0
	s_or_b32 exec_lo, exec_lo, s27
	v_cmp_lt_u32_e64 s26, v79, v139
	s_and_saveexec_b32 s28, s26
	s_cbranch_execz .LBB1833_187
.LBB1833_255:                           ;   in Loop: Header=BB1833_96 Depth=2
	ds_load_u16 v60, v93 offset:7168
	s_wait_dscnt 0x0
	v_cmp_ne_u16_e64 s27, 0x7fff, v60
	s_delay_alu instid0(VALU_DEP_1) | instskip(SKIP_1) | instid1(VALU_DEP_2)
	v_cndmask_b32_e64 v61, 0xffff8000, v60, s27
	v_cmp_lt_i16_e64 s27, -1, v60
	v_and_b32_e32 v61, 0xffff, v61
	s_delay_alu instid0(VALU_DEP_2) | instskip(NEXT) | instid1(VALU_DEP_1)
	v_cndmask_b32_e64 v140, 0xffff8000, -1, s27
	v_dual_lshrrev_b32 v61, s48, v61 :: v_dual_bitop2_b32 v60, v140, v60 bitop3:0x14
	s_delay_alu instid0(VALU_DEP_1) | instskip(NEXT) | instid1(VALU_DEP_1)
	v_and_b32_e32 v61, s52, v61
	v_lshlrev_b32_e32 v61, 2, v61
	ds_load_b32 v61, v61
	s_wait_dscnt 0x0
	v_add_nc_u32_e32 v61, v61, v79
	global_store_b16 v61, v60, s[38:39] scale_offset
	s_wait_xcnt 0x0
	s_or_b32 exec_lo, exec_lo, s28
	v_cmp_lt_u32_e64 s27, v80, v139
	s_and_saveexec_b32 s29, s27
	s_cbranch_execz .LBB1833_188
.LBB1833_256:                           ;   in Loop: Header=BB1833_96 Depth=2
	ds_load_u16 v60, v93 offset:7680
	s_wait_dscnt 0x0
	v_cmp_ne_u16_e64 s28, 0x7fff, v60
	s_delay_alu instid0(VALU_DEP_1) | instskip(SKIP_1) | instid1(VALU_DEP_2)
	v_cndmask_b32_e64 v61, 0xffff8000, v60, s28
	v_cmp_lt_i16_e64 s28, -1, v60
	v_and_b32_e32 v61, 0xffff, v61
	s_delay_alu instid0(VALU_DEP_2) | instskip(NEXT) | instid1(VALU_DEP_1)
	v_cndmask_b32_e64 v140, 0xffff8000, -1, s28
	v_dual_lshrrev_b32 v61, s48, v61 :: v_dual_bitop2_b32 v60, v140, v60 bitop3:0x14
	s_delay_alu instid0(VALU_DEP_1) | instskip(NEXT) | instid1(VALU_DEP_1)
	v_and_b32_e32 v61, s52, v61
	v_lshlrev_b32_e32 v61, 2, v61
	ds_load_b32 v61, v61
	s_wait_dscnt 0x0
	v_add_nc_u32_e32 v61, v61, v80
	global_store_b16 v61, v60, s[38:39] scale_offset
	s_wait_xcnt 0x0
	s_or_b32 exec_lo, exec_lo, s29
	v_cmp_lt_u32_e64 s28, v81, v139
	s_and_saveexec_b32 s30, s28
	s_cbranch_execz .LBB1833_189
.LBB1833_257:                           ;   in Loop: Header=BB1833_96 Depth=2
	ds_load_u16 v60, v93 offset:8192
	s_wait_dscnt 0x0
	v_cmp_ne_u16_e64 s29, 0x7fff, v60
	s_delay_alu instid0(VALU_DEP_1) | instskip(SKIP_1) | instid1(VALU_DEP_2)
	v_cndmask_b32_e64 v61, 0xffff8000, v60, s29
	v_cmp_lt_i16_e64 s29, -1, v60
	v_and_b32_e32 v61, 0xffff, v61
	s_delay_alu instid0(VALU_DEP_2) | instskip(NEXT) | instid1(VALU_DEP_1)
	v_cndmask_b32_e64 v140, 0xffff8000, -1, s29
	v_dual_lshrrev_b32 v61, s48, v61 :: v_dual_bitop2_b32 v60, v140, v60 bitop3:0x14
	s_delay_alu instid0(VALU_DEP_1) | instskip(NEXT) | instid1(VALU_DEP_1)
	v_and_b32_e32 v61, s52, v61
	v_lshlrev_b32_e32 v61, 2, v61
	ds_load_b32 v61, v61
	s_wait_dscnt 0x0
	v_add_nc_u32_e32 v61, v61, v81
	global_store_b16 v61, v60, s[38:39] scale_offset
	s_wait_xcnt 0x0
	s_or_b32 exec_lo, exec_lo, s30
	v_cmp_lt_u32_e64 s29, v82, v139
	s_and_saveexec_b32 s58, s29
	s_cbranch_execnz .LBB1833_190
	s_branch .LBB1833_191
.LBB1833_258:                           ;   in Loop: Header=BB1833_96 Depth=2
	global_load_b64 v[58:59], v[60:61], off
	s_wait_xcnt 0x0
	s_or_b32 exec_lo, exec_lo, s30
	s_delay_alu instid0(SALU_CYCLE_1)
	s_mov_b32 s42, exec_lo
	v_cmpx_lt_u32_e64 v103, v139
	s_cbranch_execz .LBB1833_193
.LBB1833_259:                           ;   in Loop: Header=BB1833_96 Depth=2
	global_load_b64 v[56:57], v[60:61], off offset:256
	s_wait_xcnt 0x0
	s_or_b32 exec_lo, exec_lo, s42
	s_delay_alu instid0(SALU_CYCLE_1)
	s_mov_b32 s42, exec_lo
	v_cmpx_lt_u32_e64 v104, v139
	s_cbranch_execz .LBB1833_194
.LBB1833_260:                           ;   in Loop: Header=BB1833_96 Depth=2
	global_load_b64 v[54:55], v[60:61], off offset:512
	s_wait_xcnt 0x0
	s_or_b32 exec_lo, exec_lo, s42
	s_delay_alu instid0(SALU_CYCLE_1)
	s_mov_b32 s42, exec_lo
	v_cmpx_lt_u32_e64 v105, v139
	s_cbranch_execz .LBB1833_195
.LBB1833_261:                           ;   in Loop: Header=BB1833_96 Depth=2
	global_load_b64 v[52:53], v[60:61], off offset:768
	s_wait_xcnt 0x0
	s_or_b32 exec_lo, exec_lo, s42
	s_delay_alu instid0(SALU_CYCLE_1)
	s_mov_b32 s42, exec_lo
	v_cmpx_lt_u32_e64 v106, v139
	s_cbranch_execz .LBB1833_196
.LBB1833_262:                           ;   in Loop: Header=BB1833_96 Depth=2
	global_load_b64 v[50:51], v[60:61], off offset:1024
	s_wait_xcnt 0x0
	s_or_b32 exec_lo, exec_lo, s42
	s_delay_alu instid0(SALU_CYCLE_1)
	s_mov_b32 s42, exec_lo
	v_cmpx_lt_u32_e64 v107, v139
	s_cbranch_execz .LBB1833_197
.LBB1833_263:                           ;   in Loop: Header=BB1833_96 Depth=2
	global_load_b64 v[48:49], v[60:61], off offset:1280
	s_wait_xcnt 0x0
	s_or_b32 exec_lo, exec_lo, s42
	s_delay_alu instid0(SALU_CYCLE_1)
	s_mov_b32 s42, exec_lo
	v_cmpx_lt_u32_e64 v108, v139
	s_cbranch_execz .LBB1833_198
.LBB1833_264:                           ;   in Loop: Header=BB1833_96 Depth=2
	global_load_b64 v[46:47], v[60:61], off offset:1536
	s_wait_xcnt 0x0
	s_or_b32 exec_lo, exec_lo, s42
	s_delay_alu instid0(SALU_CYCLE_1)
	s_mov_b32 s42, exec_lo
	v_cmpx_lt_u32_e64 v109, v139
	s_cbranch_execz .LBB1833_199
.LBB1833_265:                           ;   in Loop: Header=BB1833_96 Depth=2
	global_load_b64 v[44:45], v[60:61], off offset:1792
	s_wait_xcnt 0x0
	s_or_b32 exec_lo, exec_lo, s42
	s_delay_alu instid0(SALU_CYCLE_1)
	s_mov_b32 s42, exec_lo
	v_cmpx_lt_u32_e64 v110, v139
	s_cbranch_execz .LBB1833_200
.LBB1833_266:                           ;   in Loop: Header=BB1833_96 Depth=2
	global_load_b64 v[42:43], v[60:61], off offset:2048
	s_wait_xcnt 0x0
	s_or_b32 exec_lo, exec_lo, s42
	s_delay_alu instid0(SALU_CYCLE_1)
	s_mov_b32 s42, exec_lo
	v_cmpx_lt_u32_e64 v111, v139
	s_cbranch_execz .LBB1833_201
.LBB1833_267:                           ;   in Loop: Header=BB1833_96 Depth=2
	global_load_b64 v[40:41], v[60:61], off offset:2304
	s_wait_xcnt 0x0
	s_or_b32 exec_lo, exec_lo, s42
	s_delay_alu instid0(SALU_CYCLE_1)
	s_mov_b32 s42, exec_lo
	v_cmpx_lt_u32_e64 v112, v139
	s_cbranch_execz .LBB1833_202
.LBB1833_268:                           ;   in Loop: Header=BB1833_96 Depth=2
	global_load_b64 v[38:39], v[60:61], off offset:2560
	s_wait_xcnt 0x0
	s_or_b32 exec_lo, exec_lo, s42
	s_delay_alu instid0(SALU_CYCLE_1)
	s_mov_b32 s42, exec_lo
	v_cmpx_lt_u32_e64 v113, v139
	s_cbranch_execz .LBB1833_203
.LBB1833_269:                           ;   in Loop: Header=BB1833_96 Depth=2
	global_load_b64 v[36:37], v[60:61], off offset:2816
	s_wait_xcnt 0x0
	s_or_b32 exec_lo, exec_lo, s42
	s_delay_alu instid0(SALU_CYCLE_1)
	s_mov_b32 s42, exec_lo
	v_cmpx_lt_u32_e64 v114, v139
	s_cbranch_execz .LBB1833_204
.LBB1833_270:                           ;   in Loop: Header=BB1833_96 Depth=2
	global_load_b64 v[34:35], v[60:61], off offset:3072
	s_wait_xcnt 0x0
	s_or_b32 exec_lo, exec_lo, s42
	s_delay_alu instid0(SALU_CYCLE_1)
	s_mov_b32 s42, exec_lo
	v_cmpx_lt_u32_e64 v115, v139
	s_cbranch_execz .LBB1833_205
.LBB1833_271:                           ;   in Loop: Header=BB1833_96 Depth=2
	global_load_b64 v[32:33], v[60:61], off offset:3328
	s_wait_xcnt 0x0
	s_or_b32 exec_lo, exec_lo, s42
	s_delay_alu instid0(SALU_CYCLE_1)
	s_mov_b32 s42, exec_lo
	v_cmpx_lt_u32_e64 v116, v139
	s_cbranch_execz .LBB1833_206
.LBB1833_272:                           ;   in Loop: Header=BB1833_96 Depth=2
	global_load_b64 v[30:31], v[60:61], off offset:3584
	s_wait_xcnt 0x0
	s_or_b32 exec_lo, exec_lo, s42
	s_delay_alu instid0(SALU_CYCLE_1)
	s_mov_b32 s42, exec_lo
	v_cmpx_lt_u32_e64 v117, v139
	s_cbranch_execz .LBB1833_207
.LBB1833_273:                           ;   in Loop: Header=BB1833_96 Depth=2
	global_load_b64 v[28:29], v[60:61], off offset:3840
	s_wait_xcnt 0x0
	s_or_b32 exec_lo, exec_lo, s42
	s_and_saveexec_b32 s42, vcc_lo
	s_cbranch_execz .LBB1833_208
.LBB1833_274:                           ;   in Loop: Header=BB1833_96 Depth=2
	ds_load_u16 v60, v93 offset:1024
	s_wait_dscnt 0x0
	v_cmp_ne_u16_e64 s30, 0x7fff, v60
	s_delay_alu instid0(VALU_DEP_1) | instskip(NEXT) | instid1(VALU_DEP_1)
	v_cndmask_b32_e64 v60, 0xffff8000, v60, s30
	v_and_b32_e32 v60, 0xffff, v60
	s_delay_alu instid0(VALU_DEP_1) | instskip(NEXT) | instid1(VALU_DEP_1)
	v_lshrrev_b32_e32 v60, s48, v60
	v_and_b32_e32 v138, s52, v60
	s_or_b32 exec_lo, exec_lo, s42
	s_and_saveexec_b32 s42, s15
	s_cbranch_execz .LBB1833_209
.LBB1833_275:                           ;   in Loop: Header=BB1833_96 Depth=2
	ds_load_u16 v60, v93 offset:1536
	s_wait_dscnt 0x0
	v_cmp_ne_u16_e64 s30, 0x7fff, v60
	s_delay_alu instid0(VALU_DEP_1) | instskip(NEXT) | instid1(VALU_DEP_1)
	v_cndmask_b32_e64 v60, 0xffff8000, v60, s30
	v_and_b32_e32 v60, 0xffff, v60
	s_delay_alu instid0(VALU_DEP_1) | instskip(NEXT) | instid1(VALU_DEP_1)
	v_lshrrev_b32_e32 v60, s48, v60
	v_and_b32_e32 v137, s52, v60
	s_or_b32 exec_lo, exec_lo, s42
	s_and_saveexec_b32 s42, s16
	s_cbranch_execz .LBB1833_210
.LBB1833_276:                           ;   in Loop: Header=BB1833_96 Depth=2
	ds_load_u16 v60, v93 offset:2048
	s_wait_dscnt 0x0
	v_cmp_ne_u16_e64 s30, 0x7fff, v60
	s_delay_alu instid0(VALU_DEP_1) | instskip(NEXT) | instid1(VALU_DEP_1)
	v_cndmask_b32_e64 v60, 0xffff8000, v60, s30
	v_and_b32_e32 v60, 0xffff, v60
	s_delay_alu instid0(VALU_DEP_1) | instskip(NEXT) | instid1(VALU_DEP_1)
	v_lshrrev_b32_e32 v60, s48, v60
	v_and_b32_e32 v136, s52, v60
	s_or_b32 exec_lo, exec_lo, s42
	s_and_saveexec_b32 s42, s17
	s_cbranch_execz .LBB1833_211
.LBB1833_277:                           ;   in Loop: Header=BB1833_96 Depth=2
	ds_load_u16 v60, v93 offset:2560
	s_wait_dscnt 0x0
	v_cmp_ne_u16_e64 s30, 0x7fff, v60
	s_delay_alu instid0(VALU_DEP_1) | instskip(NEXT) | instid1(VALU_DEP_1)
	v_cndmask_b32_e64 v60, 0xffff8000, v60, s30
	v_and_b32_e32 v60, 0xffff, v60
	s_delay_alu instid0(VALU_DEP_1) | instskip(NEXT) | instid1(VALU_DEP_1)
	v_lshrrev_b32_e32 v60, s48, v60
	v_and_b32_e32 v135, s52, v60
	s_or_b32 exec_lo, exec_lo, s42
	s_and_saveexec_b32 s42, s18
	s_cbranch_execz .LBB1833_212
.LBB1833_278:                           ;   in Loop: Header=BB1833_96 Depth=2
	ds_load_u16 v60, v93 offset:3072
	s_wait_dscnt 0x0
	v_cmp_ne_u16_e64 s30, 0x7fff, v60
	s_delay_alu instid0(VALU_DEP_1) | instskip(NEXT) | instid1(VALU_DEP_1)
	v_cndmask_b32_e64 v60, 0xffff8000, v60, s30
	v_and_b32_e32 v60, 0xffff, v60
	s_delay_alu instid0(VALU_DEP_1) | instskip(NEXT) | instid1(VALU_DEP_1)
	v_lshrrev_b32_e32 v60, s48, v60
	v_and_b32_e32 v134, s52, v60
	s_or_b32 exec_lo, exec_lo, s42
	s_and_saveexec_b32 s42, s19
	s_cbranch_execz .LBB1833_213
.LBB1833_279:                           ;   in Loop: Header=BB1833_96 Depth=2
	ds_load_u16 v60, v93 offset:3584
	s_wait_dscnt 0x0
	v_cmp_ne_u16_e64 s30, 0x7fff, v60
	s_delay_alu instid0(VALU_DEP_1) | instskip(NEXT) | instid1(VALU_DEP_1)
	v_cndmask_b32_e64 v60, 0xffff8000, v60, s30
	v_and_b32_e32 v60, 0xffff, v60
	s_delay_alu instid0(VALU_DEP_1) | instskip(NEXT) | instid1(VALU_DEP_1)
	v_lshrrev_b32_e32 v60, s48, v60
	v_and_b32_e32 v133, s52, v60
	s_or_b32 exec_lo, exec_lo, s42
	s_and_saveexec_b32 s42, s20
	s_cbranch_execz .LBB1833_214
.LBB1833_280:                           ;   in Loop: Header=BB1833_96 Depth=2
	ds_load_u16 v60, v93 offset:4096
	s_wait_dscnt 0x0
	v_cmp_ne_u16_e64 s30, 0x7fff, v60
	s_delay_alu instid0(VALU_DEP_1) | instskip(NEXT) | instid1(VALU_DEP_1)
	v_cndmask_b32_e64 v60, 0xffff8000, v60, s30
	v_and_b32_e32 v60, 0xffff, v60
	s_delay_alu instid0(VALU_DEP_1) | instskip(NEXT) | instid1(VALU_DEP_1)
	v_lshrrev_b32_e32 v60, s48, v60
	v_and_b32_e32 v132, s52, v60
	s_or_b32 exec_lo, exec_lo, s42
	s_and_saveexec_b32 s42, s21
	s_cbranch_execz .LBB1833_215
.LBB1833_281:                           ;   in Loop: Header=BB1833_96 Depth=2
	ds_load_u16 v60, v93 offset:4608
	s_wait_dscnt 0x0
	v_cmp_ne_u16_e64 s30, 0x7fff, v60
	s_delay_alu instid0(VALU_DEP_1) | instskip(NEXT) | instid1(VALU_DEP_1)
	v_cndmask_b32_e64 v60, 0xffff8000, v60, s30
	v_and_b32_e32 v60, 0xffff, v60
	s_delay_alu instid0(VALU_DEP_1) | instskip(NEXT) | instid1(VALU_DEP_1)
	v_lshrrev_b32_e32 v60, s48, v60
	v_and_b32_e32 v131, s52, v60
	s_or_b32 exec_lo, exec_lo, s42
	s_and_saveexec_b32 s42, s22
	s_cbranch_execz .LBB1833_216
.LBB1833_282:                           ;   in Loop: Header=BB1833_96 Depth=2
	ds_load_u16 v60, v93 offset:5120
	s_wait_dscnt 0x0
	v_cmp_ne_u16_e64 s30, 0x7fff, v60
	s_delay_alu instid0(VALU_DEP_1) | instskip(NEXT) | instid1(VALU_DEP_1)
	v_cndmask_b32_e64 v60, 0xffff8000, v60, s30
	v_and_b32_e32 v60, 0xffff, v60
	s_delay_alu instid0(VALU_DEP_1) | instskip(NEXT) | instid1(VALU_DEP_1)
	v_lshrrev_b32_e32 v60, s48, v60
	v_and_b32_e32 v130, s52, v60
	s_or_b32 exec_lo, exec_lo, s42
	s_and_saveexec_b32 s42, s23
	s_cbranch_execz .LBB1833_217
.LBB1833_283:                           ;   in Loop: Header=BB1833_96 Depth=2
	ds_load_u16 v60, v93 offset:5632
	s_wait_dscnt 0x0
	v_cmp_ne_u16_e64 s30, 0x7fff, v60
	s_delay_alu instid0(VALU_DEP_1) | instskip(NEXT) | instid1(VALU_DEP_1)
	v_cndmask_b32_e64 v60, 0xffff8000, v60, s30
	v_and_b32_e32 v60, 0xffff, v60
	s_delay_alu instid0(VALU_DEP_1) | instskip(NEXT) | instid1(VALU_DEP_1)
	v_lshrrev_b32_e32 v60, s48, v60
	v_and_b32_e32 v129, s52, v60
	s_or_b32 exec_lo, exec_lo, s42
	s_and_saveexec_b32 s42, s24
	s_cbranch_execz .LBB1833_218
.LBB1833_284:                           ;   in Loop: Header=BB1833_96 Depth=2
	ds_load_u16 v60, v93 offset:6144
	s_wait_dscnt 0x0
	v_cmp_ne_u16_e64 s30, 0x7fff, v60
	s_delay_alu instid0(VALU_DEP_1) | instskip(NEXT) | instid1(VALU_DEP_1)
	v_cndmask_b32_e64 v60, 0xffff8000, v60, s30
	v_and_b32_e32 v60, 0xffff, v60
	s_delay_alu instid0(VALU_DEP_1) | instskip(NEXT) | instid1(VALU_DEP_1)
	v_lshrrev_b32_e32 v60, s48, v60
	v_and_b32_e32 v128, s52, v60
	s_or_b32 exec_lo, exec_lo, s42
	s_and_saveexec_b32 s42, s25
	s_cbranch_execz .LBB1833_219
.LBB1833_285:                           ;   in Loop: Header=BB1833_96 Depth=2
	ds_load_u16 v60, v93 offset:6656
	s_wait_dscnt 0x0
	v_cmp_ne_u16_e64 s30, 0x7fff, v60
	s_delay_alu instid0(VALU_DEP_1) | instskip(NEXT) | instid1(VALU_DEP_1)
	v_cndmask_b32_e64 v60, 0xffff8000, v60, s30
	v_and_b32_e32 v60, 0xffff, v60
	s_delay_alu instid0(VALU_DEP_1) | instskip(NEXT) | instid1(VALU_DEP_1)
	v_lshrrev_b32_e32 v60, s48, v60
	v_and_b32_e32 v127, s52, v60
	s_or_b32 exec_lo, exec_lo, s42
	s_and_saveexec_b32 s42, s26
	s_cbranch_execz .LBB1833_220
.LBB1833_286:                           ;   in Loop: Header=BB1833_96 Depth=2
	ds_load_u16 v60, v93 offset:7168
	s_wait_dscnt 0x0
	v_cmp_ne_u16_e64 s30, 0x7fff, v60
	s_delay_alu instid0(VALU_DEP_1) | instskip(NEXT) | instid1(VALU_DEP_1)
	v_cndmask_b32_e64 v60, 0xffff8000, v60, s30
	v_and_b32_e32 v60, 0xffff, v60
	s_delay_alu instid0(VALU_DEP_1) | instskip(NEXT) | instid1(VALU_DEP_1)
	v_lshrrev_b32_e32 v60, s48, v60
	v_and_b32_e32 v126, s52, v60
	s_or_b32 exec_lo, exec_lo, s42
	s_and_saveexec_b32 s42, s27
	s_cbranch_execz .LBB1833_221
.LBB1833_287:                           ;   in Loop: Header=BB1833_96 Depth=2
	ds_load_u16 v60, v93 offset:7680
	s_wait_dscnt 0x0
	v_cmp_ne_u16_e64 s30, 0x7fff, v60
	s_delay_alu instid0(VALU_DEP_1) | instskip(NEXT) | instid1(VALU_DEP_1)
	v_cndmask_b32_e64 v60, 0xffff8000, v60, s30
	v_and_b32_e32 v60, 0xffff, v60
	s_delay_alu instid0(VALU_DEP_1) | instskip(NEXT) | instid1(VALU_DEP_1)
	v_lshrrev_b32_e32 v60, s48, v60
	v_and_b32_e32 v125, s52, v60
	s_or_b32 exec_lo, exec_lo, s42
	s_and_saveexec_b32 s42, s28
	s_cbranch_execz .LBB1833_222
.LBB1833_288:                           ;   in Loop: Header=BB1833_96 Depth=2
	ds_load_u16 v60, v93 offset:8192
	s_wait_dscnt 0x0
	v_cmp_ne_u16_e64 s30, 0x7fff, v60
	s_delay_alu instid0(VALU_DEP_1) | instskip(NEXT) | instid1(VALU_DEP_1)
	v_cndmask_b32_e64 v60, 0xffff8000, v60, s30
	v_and_b32_e32 v60, 0xffff, v60
	s_delay_alu instid0(VALU_DEP_1) | instskip(NEXT) | instid1(VALU_DEP_1)
	v_lshrrev_b32_e32 v60, s48, v60
	v_and_b32_e32 v124, s52, v60
	s_or_b32 exec_lo, exec_lo, s42
	s_and_saveexec_b32 s42, s29
	s_cbranch_execnz .LBB1833_223
	s_branch .LBB1833_224
.LBB1833_289:                           ;   in Loop: Header=BB1833_96 Depth=2
	v_lshlrev_b32_e32 v60, 2, v138
	v_add_nc_u32_e32 v61, v93, v94
	ds_load_b32 v63, v60
	ds_load_b64 v[60:61], v61 offset:1024
	s_wait_dscnt 0x1
	v_add_nc_u32_e32 v63, v63, v2
	s_wait_dscnt 0x0
	global_store_b64 v63, v[60:61], s[44:45] scale_offset
	s_wait_xcnt 0x0
	s_or_b32 exec_lo, exec_lo, s30
	s_and_saveexec_b32 s30, s15
	s_cbranch_execz .LBB1833_226
.LBB1833_290:                           ;   in Loop: Header=BB1833_96 Depth=2
	v_dual_lshlrev_b32 v60, 2, v137 :: v_dual_add_nc_u32 v61, v93, v94
	ds_load_b32 v63, v60
	ds_load_b64 v[60:61], v61 offset:3072
	s_wait_dscnt 0x1
	v_add_nc_u32_e32 v63, v63, v68
	s_wait_dscnt 0x0
	global_store_b64 v63, v[60:61], s[44:45] scale_offset
	s_wait_xcnt 0x0
	s_or_b32 exec_lo, exec_lo, s30
	s_and_saveexec_b32 s15, s16
	s_cbranch_execz .LBB1833_227
.LBB1833_291:                           ;   in Loop: Header=BB1833_96 Depth=2
	v_dual_lshlrev_b32 v60, 2, v136 :: v_dual_add_nc_u32 v61, v93, v94
	ds_load_b32 v63, v60
	ds_load_b64 v[60:61], v61 offset:5120
	s_wait_dscnt 0x1
	v_add_nc_u32_e32 v63, v63, v69
	s_wait_dscnt 0x0
	global_store_b64 v63, v[60:61], s[44:45] scale_offset
	s_wait_xcnt 0x0
	s_or_b32 exec_lo, exec_lo, s15
	s_and_saveexec_b32 s15, s17
	s_cbranch_execz .LBB1833_228
.LBB1833_292:                           ;   in Loop: Header=BB1833_96 Depth=2
	v_dual_lshlrev_b32 v60, 2, v135 :: v_dual_add_nc_u32 v61, v93, v94
	ds_load_b32 v63, v60
	ds_load_b64 v[60:61], v61 offset:7168
	s_wait_dscnt 0x1
	v_add_nc_u32_e32 v63, v63, v70
	s_wait_dscnt 0x0
	global_store_b64 v63, v[60:61], s[44:45] scale_offset
	s_wait_xcnt 0x0
	s_or_b32 exec_lo, exec_lo, s15
	s_and_saveexec_b32 s15, s18
	s_cbranch_execz .LBB1833_229
.LBB1833_293:                           ;   in Loop: Header=BB1833_96 Depth=2
	v_lshlrev_b32_e32 v60, 2, v134
	v_add_nc_u32_e32 v61, v93, v94
	ds_load_b32 v63, v60
	ds_load_b64 v[60:61], v61 offset:9216
	s_wait_dscnt 0x1
	v_add_nc_u32_e32 v63, v63, v71
	s_wait_dscnt 0x0
	global_store_b64 v63, v[60:61], s[44:45] scale_offset
	s_wait_xcnt 0x0
	s_or_b32 exec_lo, exec_lo, s15
	s_and_saveexec_b32 s15, s19
	s_cbranch_execz .LBB1833_230
.LBB1833_294:                           ;   in Loop: Header=BB1833_96 Depth=2
	v_dual_lshlrev_b32 v60, 2, v133 :: v_dual_add_nc_u32 v61, v93, v94
	ds_load_b32 v63, v60
	ds_load_b64 v[60:61], v61 offset:11264
	s_wait_dscnt 0x1
	v_add_nc_u32_e32 v63, v63, v72
	s_wait_dscnt 0x0
	global_store_b64 v63, v[60:61], s[44:45] scale_offset
	s_wait_xcnt 0x0
	s_or_b32 exec_lo, exec_lo, s15
	s_and_saveexec_b32 s15, s20
	s_cbranch_execz .LBB1833_231
.LBB1833_295:                           ;   in Loop: Header=BB1833_96 Depth=2
	v_dual_lshlrev_b32 v60, 2, v132 :: v_dual_add_nc_u32 v61, v93, v94
	ds_load_b32 v63, v60
	ds_load_b64 v[60:61], v61 offset:13312
	s_wait_dscnt 0x1
	v_add_nc_u32_e32 v63, v63, v73
	s_wait_dscnt 0x0
	global_store_b64 v63, v[60:61], s[44:45] scale_offset
	s_wait_xcnt 0x0
	s_or_b32 exec_lo, exec_lo, s15
	s_and_saveexec_b32 s15, s21
	s_cbranch_execz .LBB1833_232
.LBB1833_296:                           ;   in Loop: Header=BB1833_96 Depth=2
	v_dual_lshlrev_b32 v60, 2, v131 :: v_dual_add_nc_u32 v61, v93, v94
	ds_load_b32 v63, v60
	ds_load_b64 v[60:61], v61 offset:15360
	s_wait_dscnt 0x1
	v_add_nc_u32_e32 v63, v63, v74
	s_wait_dscnt 0x0
	global_store_b64 v63, v[60:61], s[44:45] scale_offset
	s_wait_xcnt 0x0
	s_or_b32 exec_lo, exec_lo, s15
	s_and_saveexec_b32 s15, s22
	s_cbranch_execz .LBB1833_233
.LBB1833_297:                           ;   in Loop: Header=BB1833_96 Depth=2
	v_lshlrev_b32_e32 v60, 2, v130
	v_add_nc_u32_e32 v61, v93, v94
	ds_load_b32 v63, v60
	ds_load_b64 v[60:61], v61 offset:17408
	s_wait_dscnt 0x1
	v_add_nc_u32_e32 v63, v63, v75
	s_wait_dscnt 0x0
	global_store_b64 v63, v[60:61], s[44:45] scale_offset
	s_wait_xcnt 0x0
	s_or_b32 exec_lo, exec_lo, s15
	s_and_saveexec_b32 s15, s23
	s_cbranch_execz .LBB1833_234
.LBB1833_298:                           ;   in Loop: Header=BB1833_96 Depth=2
	v_dual_lshlrev_b32 v60, 2, v129 :: v_dual_add_nc_u32 v61, v93, v94
	ds_load_b32 v63, v60
	ds_load_b64 v[60:61], v61 offset:19456
	s_wait_dscnt 0x1
	v_add_nc_u32_e32 v63, v63, v76
	s_wait_dscnt 0x0
	global_store_b64 v63, v[60:61], s[44:45] scale_offset
	s_wait_xcnt 0x0
	s_or_b32 exec_lo, exec_lo, s15
	s_and_saveexec_b32 s15, s24
	s_cbranch_execz .LBB1833_235
.LBB1833_299:                           ;   in Loop: Header=BB1833_96 Depth=2
	v_dual_lshlrev_b32 v60, 2, v128 :: v_dual_add_nc_u32 v61, v93, v94
	ds_load_b32 v63, v60
	ds_load_b64 v[60:61], v61 offset:21504
	s_wait_dscnt 0x1
	v_add_nc_u32_e32 v63, v63, v77
	s_wait_dscnt 0x0
	global_store_b64 v63, v[60:61], s[44:45] scale_offset
	s_wait_xcnt 0x0
	s_or_b32 exec_lo, exec_lo, s15
	s_and_saveexec_b32 s15, s25
	s_cbranch_execz .LBB1833_236
.LBB1833_300:                           ;   in Loop: Header=BB1833_96 Depth=2
	v_dual_lshlrev_b32 v60, 2, v127 :: v_dual_add_nc_u32 v61, v93, v94
	ds_load_b32 v63, v60
	ds_load_b64 v[60:61], v61 offset:23552
	s_wait_dscnt 0x1
	v_add_nc_u32_e32 v63, v63, v78
	s_wait_dscnt 0x0
	global_store_b64 v63, v[60:61], s[44:45] scale_offset
	s_wait_xcnt 0x0
	s_or_b32 exec_lo, exec_lo, s15
	s_and_saveexec_b32 s15, s26
	s_cbranch_execz .LBB1833_237
.LBB1833_301:                           ;   in Loop: Header=BB1833_96 Depth=2
	v_lshlrev_b32_e32 v60, 2, v126
	v_add_nc_u32_e32 v61, v93, v94
	ds_load_b32 v63, v60
	ds_load_b64 v[60:61], v61 offset:25600
	s_wait_dscnt 0x1
	v_add_nc_u32_e32 v63, v63, v79
	s_wait_dscnt 0x0
	global_store_b64 v63, v[60:61], s[44:45] scale_offset
	s_wait_xcnt 0x0
	s_or_b32 exec_lo, exec_lo, s15
	s_and_saveexec_b32 s15, s27
	s_cbranch_execz .LBB1833_238
.LBB1833_302:                           ;   in Loop: Header=BB1833_96 Depth=2
	v_dual_lshlrev_b32 v60, 2, v125 :: v_dual_add_nc_u32 v61, v93, v94
	ds_load_b32 v63, v60
	ds_load_b64 v[60:61], v61 offset:27648
	s_wait_dscnt 0x1
	v_add_nc_u32_e32 v63, v63, v80
	s_wait_dscnt 0x0
	global_store_b64 v63, v[60:61], s[44:45] scale_offset
	s_wait_xcnt 0x0
	s_or_b32 exec_lo, exec_lo, s15
	s_and_saveexec_b32 s15, s28
	s_cbranch_execz .LBB1833_239
.LBB1833_303:                           ;   in Loop: Header=BB1833_96 Depth=2
	v_dual_lshlrev_b32 v60, 2, v124 :: v_dual_add_nc_u32 v61, v93, v94
	ds_load_b32 v63, v60
	ds_load_b64 v[60:61], v61 offset:29696
	s_wait_dscnt 0x1
	v_add_nc_u32_e32 v63, v63, v81
	s_wait_dscnt 0x0
	global_store_b64 v63, v[60:61], s[44:45] scale_offset
	s_wait_xcnt 0x0
	s_or_b32 exec_lo, exec_lo, s15
	s_and_saveexec_b32 s15, s29
	s_cbranch_execnz .LBB1833_240
	s_branch .LBB1833_241
.LBB1833_304:                           ;   in Loop: Header=BB1833_12 Depth=1
	s_wait_dscnt 0x0
	s_barrier_signal -1
	s_mov_b32 s7, 0
	s_barrier_wait -1
.LBB1833_305:                           ;   in Loop: Header=BB1833_12 Depth=1
	s_and_b32 vcc_lo, exec_lo, s7
	s_cbranch_vccz .LBB1833_597
; %bb.306:                              ;   in Loop: Header=BB1833_12 Depth=1
	s_mov_b32 s7, s56
	s_mov_b32 s42, s54
	s_barrier_signal -1
	s_barrier_wait -1
                                        ; implicit-def: $vgpr23
                                        ; implicit-def: $vgpr24
                                        ; implicit-def: $vgpr25
                                        ; implicit-def: $vgpr26
                                        ; implicit-def: $vgpr27
                                        ; implicit-def: $vgpr28
                                        ; implicit-def: $vgpr29
                                        ; implicit-def: $vgpr30
                                        ; implicit-def: $vgpr31
                                        ; implicit-def: $vgpr32
                                        ; implicit-def: $vgpr33
                                        ; implicit-def: $vgpr34
                                        ; implicit-def: $vgpr35
                                        ; implicit-def: $vgpr36
                                        ; implicit-def: $vgpr37
                                        ; implicit-def: $vgpr38
	s_branch .LBB1833_308
.LBB1833_307:                           ;   in Loop: Header=BB1833_308 Depth=2
	s_or_b32 exec_lo, exec_lo, s8
	s_addk_co_i32 s7, 0xf000
	s_cmp_ge_u32 s10, s51
	s_mov_b32 s42, s10
	s_cbranch_scc1 .LBB1833_376
.LBB1833_308:                           ;   Parent Loop BB1833_12 Depth=1
                                        ; =>  This Inner Loop Header: Depth=2
	s_add_co_i32 s10, s42, 0x1000
	s_mov_b32 s8, -1
	s_cmp_gt_u32 s10, s51
                                        ; implicit-def: $vgpr39
                                        ; implicit-def: $vgpr40
                                        ; implicit-def: $vgpr41
                                        ; implicit-def: $vgpr42
                                        ; implicit-def: $vgpr43
                                        ; implicit-def: $vgpr44
                                        ; implicit-def: $vgpr45
                                        ; implicit-def: $vgpr46
                                        ; implicit-def: $vgpr47
                                        ; implicit-def: $vgpr48
                                        ; implicit-def: $vgpr49
                                        ; implicit-def: $vgpr50
                                        ; implicit-def: $vgpr51
                                        ; implicit-def: $vgpr52
                                        ; implicit-def: $vgpr53
                                        ; implicit-def: $vgpr54
	s_cbranch_scc1 .LBB1833_310
; %bb.309:                              ;   in Loop: Header=BB1833_308 Depth=2
	v_lshl_add_u64 v[54:55], s[42:43], 1, v[10:11]
	s_mov_b32 s8, 0
	s_clause 0xf
	global_load_u16 v39, v[54:55], off
	global_load_u16 v40, v[54:55], off offset:512
	global_load_u16 v41, v[54:55], off offset:1024
	;; [unrolled: 1-line block ×15, first 2 shown]
.LBB1833_310:                           ;   in Loop: Header=BB1833_308 Depth=2
	s_and_not1_b32 vcc_lo, exec_lo, s8
	s_movk_i32 s8, 0x1000
	s_cbranch_vccnz .LBB1833_329
; %bb.311:                              ;   in Loop: Header=BB1833_308 Depth=2
	s_lshl_b64 s[8:9], s[42:43], 1
	s_mov_b32 s11, exec_lo
	s_add_nc_u64 s[8:9], s[38:39], s[8:9]
	s_wait_xcnt 0x0
	v_cmpx_gt_u32_e64 s7, v2
	s_cbranch_execnz .LBB1833_361
; %bb.312:                              ;   in Loop: Header=BB1833_308 Depth=2
	s_or_b32 exec_lo, exec_lo, s11
	s_delay_alu instid0(SALU_CYCLE_1)
	s_mov_b32 s11, exec_lo
	v_cmpx_gt_u32_e64 s7, v68
	s_cbranch_execnz .LBB1833_362
.LBB1833_313:                           ;   in Loop: Header=BB1833_308 Depth=2
	s_or_b32 exec_lo, exec_lo, s11
	s_delay_alu instid0(SALU_CYCLE_1)
	s_mov_b32 s11, exec_lo
	v_cmpx_gt_u32_e64 s7, v69
	s_cbranch_execnz .LBB1833_363
.LBB1833_314:                           ;   in Loop: Header=BB1833_308 Depth=2
	s_or_b32 exec_lo, exec_lo, s11
	s_delay_alu instid0(SALU_CYCLE_1)
	s_mov_b32 s11, exec_lo
	v_cmpx_gt_u32_e64 s7, v70
	s_cbranch_execnz .LBB1833_364
.LBB1833_315:                           ;   in Loop: Header=BB1833_308 Depth=2
	s_or_b32 exec_lo, exec_lo, s11
	s_delay_alu instid0(SALU_CYCLE_1)
	s_mov_b32 s11, exec_lo
	v_cmpx_gt_u32_e64 s7, v71
	s_cbranch_execnz .LBB1833_365
.LBB1833_316:                           ;   in Loop: Header=BB1833_308 Depth=2
	s_or_b32 exec_lo, exec_lo, s11
	s_delay_alu instid0(SALU_CYCLE_1)
	s_mov_b32 s11, exec_lo
	v_cmpx_gt_u32_e64 s7, v72
	s_cbranch_execnz .LBB1833_366
.LBB1833_317:                           ;   in Loop: Header=BB1833_308 Depth=2
	s_or_b32 exec_lo, exec_lo, s11
	s_delay_alu instid0(SALU_CYCLE_1)
	s_mov_b32 s11, exec_lo
	v_cmpx_gt_u32_e64 s7, v73
	s_cbranch_execnz .LBB1833_367
.LBB1833_318:                           ;   in Loop: Header=BB1833_308 Depth=2
	s_or_b32 exec_lo, exec_lo, s11
	s_delay_alu instid0(SALU_CYCLE_1)
	s_mov_b32 s11, exec_lo
	v_cmpx_gt_u32_e64 s7, v74
	s_cbranch_execnz .LBB1833_368
.LBB1833_319:                           ;   in Loop: Header=BB1833_308 Depth=2
	s_or_b32 exec_lo, exec_lo, s11
	s_delay_alu instid0(SALU_CYCLE_1)
	s_mov_b32 s11, exec_lo
	v_cmpx_gt_u32_e64 s7, v75
	s_cbranch_execnz .LBB1833_369
.LBB1833_320:                           ;   in Loop: Header=BB1833_308 Depth=2
	s_or_b32 exec_lo, exec_lo, s11
	s_delay_alu instid0(SALU_CYCLE_1)
	s_mov_b32 s11, exec_lo
	v_cmpx_gt_u32_e64 s7, v76
	s_cbranch_execnz .LBB1833_370
.LBB1833_321:                           ;   in Loop: Header=BB1833_308 Depth=2
	s_or_b32 exec_lo, exec_lo, s11
	s_delay_alu instid0(SALU_CYCLE_1)
	s_mov_b32 s11, exec_lo
	v_cmpx_gt_u32_e64 s7, v77
	s_cbranch_execnz .LBB1833_371
.LBB1833_322:                           ;   in Loop: Header=BB1833_308 Depth=2
	s_or_b32 exec_lo, exec_lo, s11
	s_delay_alu instid0(SALU_CYCLE_1)
	s_mov_b32 s11, exec_lo
	v_cmpx_gt_u32_e64 s7, v78
	s_cbranch_execnz .LBB1833_372
.LBB1833_323:                           ;   in Loop: Header=BB1833_308 Depth=2
	s_or_b32 exec_lo, exec_lo, s11
	s_delay_alu instid0(SALU_CYCLE_1)
	s_mov_b32 s11, exec_lo
	v_cmpx_gt_u32_e64 s7, v79
	s_cbranch_execnz .LBB1833_373
.LBB1833_324:                           ;   in Loop: Header=BB1833_308 Depth=2
	s_or_b32 exec_lo, exec_lo, s11
	s_delay_alu instid0(SALU_CYCLE_1)
	s_mov_b32 s11, exec_lo
	v_cmpx_gt_u32_e64 s7, v80
	s_cbranch_execnz .LBB1833_374
.LBB1833_325:                           ;   in Loop: Header=BB1833_308 Depth=2
	s_or_b32 exec_lo, exec_lo, s11
	s_delay_alu instid0(SALU_CYCLE_1)
	s_mov_b32 s11, exec_lo
	v_cmpx_gt_u32_e64 s7, v81
	s_cbranch_execnz .LBB1833_375
.LBB1833_326:                           ;   in Loop: Header=BB1833_308 Depth=2
	s_or_b32 exec_lo, exec_lo, s11
	s_delay_alu instid0(SALU_CYCLE_1)
	s_mov_b32 s11, exec_lo
	v_cmpx_gt_u32_e64 s7, v82
	s_cbranch_execz .LBB1833_328
.LBB1833_327:                           ;   in Loop: Header=BB1833_308 Depth=2
	global_load_u16 v23, v2, s[8:9] offset:7680 scale_offset
.LBB1833_328:                           ;   in Loop: Header=BB1833_308 Depth=2
	s_wait_xcnt 0x0
	s_or_b32 exec_lo, exec_lo, s11
	s_wait_loadcnt 0x0
	v_dual_mov_b32 v39, v38 :: v_dual_mov_b32 v40, v37
	v_dual_mov_b32 v41, v36 :: v_dual_mov_b32 v42, v35
	;; [unrolled: 1-line block ×8, first 2 shown]
	s_mov_b32 s8, s7
.LBB1833_329:                           ;   in Loop: Header=BB1833_308 Depth=2
	s_wait_loadcnt 0x0
	s_delay_alu instid0(VALU_DEP_1)
	v_dual_mov_b32 v23, v54 :: v_dual_mov_b32 v24, v53
	v_dual_mov_b32 v25, v52 :: v_dual_mov_b32 v26, v51
	;; [unrolled: 1-line block ×8, first 2 shown]
	s_mov_b32 s9, exec_lo
	s_wait_xcnt 0x0
	v_cmpx_gt_u32_e64 s8, v2
	s_cbranch_execnz .LBB1833_345
; %bb.330:                              ;   in Loop: Header=BB1833_308 Depth=2
	s_or_b32 exec_lo, exec_lo, s9
	s_delay_alu instid0(SALU_CYCLE_1)
	s_mov_b32 s9, exec_lo
	v_cmpx_gt_u32_e64 s8, v68
	s_cbranch_execnz .LBB1833_346
.LBB1833_331:                           ;   in Loop: Header=BB1833_308 Depth=2
	s_or_b32 exec_lo, exec_lo, s9
	s_delay_alu instid0(SALU_CYCLE_1)
	s_mov_b32 s9, exec_lo
	v_cmpx_gt_u32_e64 s8, v69
	s_cbranch_execnz .LBB1833_347
.LBB1833_332:                           ;   in Loop: Header=BB1833_308 Depth=2
	s_or_b32 exec_lo, exec_lo, s9
	s_delay_alu instid0(SALU_CYCLE_1)
	s_mov_b32 s9, exec_lo
	v_cmpx_gt_u32_e64 s8, v70
	s_cbranch_execnz .LBB1833_348
.LBB1833_333:                           ;   in Loop: Header=BB1833_308 Depth=2
	s_or_b32 exec_lo, exec_lo, s9
	s_delay_alu instid0(SALU_CYCLE_1)
	s_mov_b32 s9, exec_lo
	v_cmpx_gt_u32_e64 s8, v71
	s_cbranch_execnz .LBB1833_349
.LBB1833_334:                           ;   in Loop: Header=BB1833_308 Depth=2
	s_or_b32 exec_lo, exec_lo, s9
	s_delay_alu instid0(SALU_CYCLE_1)
	s_mov_b32 s9, exec_lo
	v_cmpx_gt_u32_e64 s8, v72
	s_cbranch_execnz .LBB1833_350
.LBB1833_335:                           ;   in Loop: Header=BB1833_308 Depth=2
	s_or_b32 exec_lo, exec_lo, s9
	s_delay_alu instid0(SALU_CYCLE_1)
	s_mov_b32 s9, exec_lo
	v_cmpx_gt_u32_e64 s8, v73
	s_cbranch_execnz .LBB1833_351
.LBB1833_336:                           ;   in Loop: Header=BB1833_308 Depth=2
	s_or_b32 exec_lo, exec_lo, s9
	s_delay_alu instid0(SALU_CYCLE_1)
	s_mov_b32 s9, exec_lo
	v_cmpx_gt_u32_e64 s8, v74
	s_cbranch_execnz .LBB1833_352
.LBB1833_337:                           ;   in Loop: Header=BB1833_308 Depth=2
	s_or_b32 exec_lo, exec_lo, s9
	s_delay_alu instid0(SALU_CYCLE_1)
	s_mov_b32 s9, exec_lo
	v_cmpx_gt_u32_e64 s8, v75
	s_cbranch_execnz .LBB1833_353
.LBB1833_338:                           ;   in Loop: Header=BB1833_308 Depth=2
	s_or_b32 exec_lo, exec_lo, s9
	s_delay_alu instid0(SALU_CYCLE_1)
	s_mov_b32 s9, exec_lo
	v_cmpx_gt_u32_e64 s8, v76
	s_cbranch_execnz .LBB1833_354
.LBB1833_339:                           ;   in Loop: Header=BB1833_308 Depth=2
	s_or_b32 exec_lo, exec_lo, s9
	s_delay_alu instid0(SALU_CYCLE_1)
	s_mov_b32 s9, exec_lo
	v_cmpx_gt_u32_e64 s8, v77
	s_cbranch_execnz .LBB1833_355
.LBB1833_340:                           ;   in Loop: Header=BB1833_308 Depth=2
	s_or_b32 exec_lo, exec_lo, s9
	s_delay_alu instid0(SALU_CYCLE_1)
	s_mov_b32 s9, exec_lo
	v_cmpx_gt_u32_e64 s8, v78
	s_cbranch_execnz .LBB1833_356
.LBB1833_341:                           ;   in Loop: Header=BB1833_308 Depth=2
	s_or_b32 exec_lo, exec_lo, s9
	s_delay_alu instid0(SALU_CYCLE_1)
	s_mov_b32 s9, exec_lo
	v_cmpx_gt_u32_e64 s8, v79
	s_cbranch_execnz .LBB1833_357
.LBB1833_342:                           ;   in Loop: Header=BB1833_308 Depth=2
	s_or_b32 exec_lo, exec_lo, s9
	s_delay_alu instid0(SALU_CYCLE_1)
	s_mov_b32 s9, exec_lo
	v_cmpx_gt_u32_e64 s8, v80
	s_cbranch_execnz .LBB1833_358
.LBB1833_343:                           ;   in Loop: Header=BB1833_308 Depth=2
	s_or_b32 exec_lo, exec_lo, s9
	s_delay_alu instid0(SALU_CYCLE_1)
	s_mov_b32 s9, exec_lo
	v_cmpx_gt_u32_e64 s8, v81
	s_cbranch_execnz .LBB1833_359
.LBB1833_344:                           ;   in Loop: Header=BB1833_308 Depth=2
	s_or_b32 exec_lo, exec_lo, s9
	v_cmp_gt_u32_e32 vcc_lo, s8, v82
	s_and_saveexec_b32 s8, vcc_lo
	s_cbranch_execz .LBB1833_307
	s_branch .LBB1833_360
.LBB1833_345:                           ;   in Loop: Header=BB1833_308 Depth=2
	v_cmp_lt_i16_e32 vcc_lo, -1, v38
	v_cndmask_b32_e64 v39, -1, 0xffff8000, vcc_lo
	s_delay_alu instid0(VALU_DEP_1) | instskip(NEXT) | instid1(VALU_DEP_1)
	v_xor_b32_e32 v39, v39, v38
	v_cmp_ne_u16_e32 vcc_lo, 0x7fff, v39
	v_cndmask_b32_e32 v39, 0xffff8000, v39, vcc_lo
	s_delay_alu instid0(VALU_DEP_1) | instskip(NEXT) | instid1(VALU_DEP_1)
	v_and_b32_e32 v39, 0xffff, v39
	v_lshrrev_b32_e32 v39, s48, v39
	s_delay_alu instid0(VALU_DEP_1) | instskip(NEXT) | instid1(VALU_DEP_1)
	v_and_b32_e32 v39, s52, v39
	v_lshl_or_b32 v39, v39, 4, v83
	ds_add_u32 v39, v96
	s_or_b32 exec_lo, exec_lo, s9
	s_delay_alu instid0(SALU_CYCLE_1)
	s_mov_b32 s9, exec_lo
	v_cmpx_gt_u32_e64 s8, v68
	s_cbranch_execz .LBB1833_331
.LBB1833_346:                           ;   in Loop: Header=BB1833_308 Depth=2
	v_cmp_lt_i16_e32 vcc_lo, -1, v37
	v_cndmask_b32_e64 v39, -1, 0xffff8000, vcc_lo
	s_delay_alu instid0(VALU_DEP_1) | instskip(NEXT) | instid1(VALU_DEP_1)
	v_xor_b32_e32 v39, v39, v37
	v_cmp_ne_u16_e32 vcc_lo, 0x7fff, v39
	v_cndmask_b32_e32 v39, 0xffff8000, v39, vcc_lo
	s_delay_alu instid0(VALU_DEP_1) | instskip(NEXT) | instid1(VALU_DEP_1)
	v_and_b32_e32 v39, 0xffff, v39
	v_lshrrev_b32_e32 v39, s48, v39
	s_delay_alu instid0(VALU_DEP_1) | instskip(NEXT) | instid1(VALU_DEP_1)
	v_and_b32_e32 v39, s52, v39
	v_lshl_or_b32 v39, v39, 4, v83
	ds_add_u32 v39, v96
	s_or_b32 exec_lo, exec_lo, s9
	s_delay_alu instid0(SALU_CYCLE_1)
	s_mov_b32 s9, exec_lo
	v_cmpx_gt_u32_e64 s8, v69
	s_cbranch_execz .LBB1833_332
.LBB1833_347:                           ;   in Loop: Header=BB1833_308 Depth=2
	v_cmp_lt_i16_e32 vcc_lo, -1, v36
	v_cndmask_b32_e64 v39, -1, 0xffff8000, vcc_lo
	s_delay_alu instid0(VALU_DEP_1) | instskip(NEXT) | instid1(VALU_DEP_1)
	v_xor_b32_e32 v39, v39, v36
	v_cmp_ne_u16_e32 vcc_lo, 0x7fff, v39
	v_cndmask_b32_e32 v39, 0xffff8000, v39, vcc_lo
	s_delay_alu instid0(VALU_DEP_1) | instskip(NEXT) | instid1(VALU_DEP_1)
	v_and_b32_e32 v39, 0xffff, v39
	v_lshrrev_b32_e32 v39, s48, v39
	s_delay_alu instid0(VALU_DEP_1) | instskip(NEXT) | instid1(VALU_DEP_1)
	v_and_b32_e32 v39, s52, v39
	v_lshl_or_b32 v39, v39, 4, v83
	ds_add_u32 v39, v96
	s_or_b32 exec_lo, exec_lo, s9
	s_delay_alu instid0(SALU_CYCLE_1)
	s_mov_b32 s9, exec_lo
	v_cmpx_gt_u32_e64 s8, v70
	s_cbranch_execz .LBB1833_333
.LBB1833_348:                           ;   in Loop: Header=BB1833_308 Depth=2
	v_cmp_lt_i16_e32 vcc_lo, -1, v35
	v_cndmask_b32_e64 v39, -1, 0xffff8000, vcc_lo
	s_delay_alu instid0(VALU_DEP_1) | instskip(NEXT) | instid1(VALU_DEP_1)
	v_xor_b32_e32 v39, v39, v35
	v_cmp_ne_u16_e32 vcc_lo, 0x7fff, v39
	v_cndmask_b32_e32 v39, 0xffff8000, v39, vcc_lo
	s_delay_alu instid0(VALU_DEP_1) | instskip(NEXT) | instid1(VALU_DEP_1)
	v_and_b32_e32 v39, 0xffff, v39
	v_lshrrev_b32_e32 v39, s48, v39
	s_delay_alu instid0(VALU_DEP_1) | instskip(NEXT) | instid1(VALU_DEP_1)
	v_and_b32_e32 v39, s52, v39
	v_lshl_or_b32 v39, v39, 4, v83
	ds_add_u32 v39, v96
	s_or_b32 exec_lo, exec_lo, s9
	s_delay_alu instid0(SALU_CYCLE_1)
	s_mov_b32 s9, exec_lo
	v_cmpx_gt_u32_e64 s8, v71
	s_cbranch_execz .LBB1833_334
.LBB1833_349:                           ;   in Loop: Header=BB1833_308 Depth=2
	v_cmp_lt_i16_e32 vcc_lo, -1, v34
	v_cndmask_b32_e64 v39, -1, 0xffff8000, vcc_lo
	s_delay_alu instid0(VALU_DEP_1) | instskip(NEXT) | instid1(VALU_DEP_1)
	v_xor_b32_e32 v39, v39, v34
	v_cmp_ne_u16_e32 vcc_lo, 0x7fff, v39
	v_cndmask_b32_e32 v39, 0xffff8000, v39, vcc_lo
	s_delay_alu instid0(VALU_DEP_1) | instskip(NEXT) | instid1(VALU_DEP_1)
	v_and_b32_e32 v39, 0xffff, v39
	v_lshrrev_b32_e32 v39, s48, v39
	s_delay_alu instid0(VALU_DEP_1) | instskip(NEXT) | instid1(VALU_DEP_1)
	v_and_b32_e32 v39, s52, v39
	v_lshl_or_b32 v39, v39, 4, v83
	ds_add_u32 v39, v96
	s_or_b32 exec_lo, exec_lo, s9
	s_delay_alu instid0(SALU_CYCLE_1)
	s_mov_b32 s9, exec_lo
	v_cmpx_gt_u32_e64 s8, v72
	s_cbranch_execz .LBB1833_335
.LBB1833_350:                           ;   in Loop: Header=BB1833_308 Depth=2
	v_cmp_lt_i16_e32 vcc_lo, -1, v33
	v_cndmask_b32_e64 v39, -1, 0xffff8000, vcc_lo
	s_delay_alu instid0(VALU_DEP_1) | instskip(NEXT) | instid1(VALU_DEP_1)
	v_xor_b32_e32 v39, v39, v33
	v_cmp_ne_u16_e32 vcc_lo, 0x7fff, v39
	v_cndmask_b32_e32 v39, 0xffff8000, v39, vcc_lo
	s_delay_alu instid0(VALU_DEP_1) | instskip(NEXT) | instid1(VALU_DEP_1)
	v_and_b32_e32 v39, 0xffff, v39
	v_lshrrev_b32_e32 v39, s48, v39
	s_delay_alu instid0(VALU_DEP_1) | instskip(NEXT) | instid1(VALU_DEP_1)
	v_and_b32_e32 v39, s52, v39
	v_lshl_or_b32 v39, v39, 4, v83
	ds_add_u32 v39, v96
	s_or_b32 exec_lo, exec_lo, s9
	s_delay_alu instid0(SALU_CYCLE_1)
	s_mov_b32 s9, exec_lo
	v_cmpx_gt_u32_e64 s8, v73
	s_cbranch_execz .LBB1833_336
.LBB1833_351:                           ;   in Loop: Header=BB1833_308 Depth=2
	v_cmp_lt_i16_e32 vcc_lo, -1, v32
	v_cndmask_b32_e64 v39, -1, 0xffff8000, vcc_lo
	s_delay_alu instid0(VALU_DEP_1) | instskip(NEXT) | instid1(VALU_DEP_1)
	v_xor_b32_e32 v39, v39, v32
	v_cmp_ne_u16_e32 vcc_lo, 0x7fff, v39
	v_cndmask_b32_e32 v39, 0xffff8000, v39, vcc_lo
	s_delay_alu instid0(VALU_DEP_1) | instskip(NEXT) | instid1(VALU_DEP_1)
	v_and_b32_e32 v39, 0xffff, v39
	v_lshrrev_b32_e32 v39, s48, v39
	s_delay_alu instid0(VALU_DEP_1) | instskip(NEXT) | instid1(VALU_DEP_1)
	v_and_b32_e32 v39, s52, v39
	v_lshl_or_b32 v39, v39, 4, v83
	ds_add_u32 v39, v96
	s_or_b32 exec_lo, exec_lo, s9
	s_delay_alu instid0(SALU_CYCLE_1)
	s_mov_b32 s9, exec_lo
	v_cmpx_gt_u32_e64 s8, v74
	s_cbranch_execz .LBB1833_337
.LBB1833_352:                           ;   in Loop: Header=BB1833_308 Depth=2
	v_cmp_lt_i16_e32 vcc_lo, -1, v31
	v_cndmask_b32_e64 v39, -1, 0xffff8000, vcc_lo
	s_delay_alu instid0(VALU_DEP_1) | instskip(NEXT) | instid1(VALU_DEP_1)
	v_xor_b32_e32 v39, v39, v31
	v_cmp_ne_u16_e32 vcc_lo, 0x7fff, v39
	v_cndmask_b32_e32 v39, 0xffff8000, v39, vcc_lo
	s_delay_alu instid0(VALU_DEP_1) | instskip(NEXT) | instid1(VALU_DEP_1)
	v_and_b32_e32 v39, 0xffff, v39
	v_lshrrev_b32_e32 v39, s48, v39
	s_delay_alu instid0(VALU_DEP_1) | instskip(NEXT) | instid1(VALU_DEP_1)
	v_and_b32_e32 v39, s52, v39
	v_lshl_or_b32 v39, v39, 4, v83
	ds_add_u32 v39, v96
	s_or_b32 exec_lo, exec_lo, s9
	s_delay_alu instid0(SALU_CYCLE_1)
	s_mov_b32 s9, exec_lo
	v_cmpx_gt_u32_e64 s8, v75
	s_cbranch_execz .LBB1833_338
.LBB1833_353:                           ;   in Loop: Header=BB1833_308 Depth=2
	v_cmp_lt_i16_e32 vcc_lo, -1, v30
	v_cndmask_b32_e64 v39, -1, 0xffff8000, vcc_lo
	s_delay_alu instid0(VALU_DEP_1) | instskip(NEXT) | instid1(VALU_DEP_1)
	v_xor_b32_e32 v39, v39, v30
	v_cmp_ne_u16_e32 vcc_lo, 0x7fff, v39
	v_cndmask_b32_e32 v39, 0xffff8000, v39, vcc_lo
	s_delay_alu instid0(VALU_DEP_1) | instskip(NEXT) | instid1(VALU_DEP_1)
	v_and_b32_e32 v39, 0xffff, v39
	v_lshrrev_b32_e32 v39, s48, v39
	s_delay_alu instid0(VALU_DEP_1) | instskip(NEXT) | instid1(VALU_DEP_1)
	v_and_b32_e32 v39, s52, v39
	v_lshl_or_b32 v39, v39, 4, v83
	ds_add_u32 v39, v96
	s_or_b32 exec_lo, exec_lo, s9
	s_delay_alu instid0(SALU_CYCLE_1)
	s_mov_b32 s9, exec_lo
	v_cmpx_gt_u32_e64 s8, v76
	s_cbranch_execz .LBB1833_339
.LBB1833_354:                           ;   in Loop: Header=BB1833_308 Depth=2
	v_cmp_lt_i16_e32 vcc_lo, -1, v29
	v_cndmask_b32_e64 v39, -1, 0xffff8000, vcc_lo
	s_delay_alu instid0(VALU_DEP_1) | instskip(NEXT) | instid1(VALU_DEP_1)
	v_xor_b32_e32 v39, v39, v29
	v_cmp_ne_u16_e32 vcc_lo, 0x7fff, v39
	v_cndmask_b32_e32 v39, 0xffff8000, v39, vcc_lo
	s_delay_alu instid0(VALU_DEP_1) | instskip(NEXT) | instid1(VALU_DEP_1)
	v_and_b32_e32 v39, 0xffff, v39
	v_lshrrev_b32_e32 v39, s48, v39
	s_delay_alu instid0(VALU_DEP_1) | instskip(NEXT) | instid1(VALU_DEP_1)
	v_and_b32_e32 v39, s52, v39
	v_lshl_or_b32 v39, v39, 4, v83
	ds_add_u32 v39, v96
	s_or_b32 exec_lo, exec_lo, s9
	s_delay_alu instid0(SALU_CYCLE_1)
	s_mov_b32 s9, exec_lo
	v_cmpx_gt_u32_e64 s8, v77
	s_cbranch_execz .LBB1833_340
.LBB1833_355:                           ;   in Loop: Header=BB1833_308 Depth=2
	v_cmp_lt_i16_e32 vcc_lo, -1, v28
	v_cndmask_b32_e64 v39, -1, 0xffff8000, vcc_lo
	s_delay_alu instid0(VALU_DEP_1) | instskip(NEXT) | instid1(VALU_DEP_1)
	v_xor_b32_e32 v39, v39, v28
	v_cmp_ne_u16_e32 vcc_lo, 0x7fff, v39
	v_cndmask_b32_e32 v39, 0xffff8000, v39, vcc_lo
	s_delay_alu instid0(VALU_DEP_1) | instskip(NEXT) | instid1(VALU_DEP_1)
	v_and_b32_e32 v39, 0xffff, v39
	v_lshrrev_b32_e32 v39, s48, v39
	s_delay_alu instid0(VALU_DEP_1) | instskip(NEXT) | instid1(VALU_DEP_1)
	v_and_b32_e32 v39, s52, v39
	v_lshl_or_b32 v39, v39, 4, v83
	ds_add_u32 v39, v96
	s_or_b32 exec_lo, exec_lo, s9
	s_delay_alu instid0(SALU_CYCLE_1)
	s_mov_b32 s9, exec_lo
	v_cmpx_gt_u32_e64 s8, v78
	s_cbranch_execz .LBB1833_341
.LBB1833_356:                           ;   in Loop: Header=BB1833_308 Depth=2
	v_cmp_lt_i16_e32 vcc_lo, -1, v27
	v_cndmask_b32_e64 v39, -1, 0xffff8000, vcc_lo
	s_delay_alu instid0(VALU_DEP_1) | instskip(NEXT) | instid1(VALU_DEP_1)
	v_xor_b32_e32 v39, v39, v27
	v_cmp_ne_u16_e32 vcc_lo, 0x7fff, v39
	v_cndmask_b32_e32 v39, 0xffff8000, v39, vcc_lo
	s_delay_alu instid0(VALU_DEP_1) | instskip(NEXT) | instid1(VALU_DEP_1)
	v_and_b32_e32 v39, 0xffff, v39
	v_lshrrev_b32_e32 v39, s48, v39
	s_delay_alu instid0(VALU_DEP_1) | instskip(NEXT) | instid1(VALU_DEP_1)
	v_and_b32_e32 v39, s52, v39
	v_lshl_or_b32 v39, v39, 4, v83
	ds_add_u32 v39, v96
	s_or_b32 exec_lo, exec_lo, s9
	s_delay_alu instid0(SALU_CYCLE_1)
	s_mov_b32 s9, exec_lo
	v_cmpx_gt_u32_e64 s8, v79
	s_cbranch_execz .LBB1833_342
.LBB1833_357:                           ;   in Loop: Header=BB1833_308 Depth=2
	v_cmp_lt_i16_e32 vcc_lo, -1, v26
	v_cndmask_b32_e64 v39, -1, 0xffff8000, vcc_lo
	s_delay_alu instid0(VALU_DEP_1) | instskip(NEXT) | instid1(VALU_DEP_1)
	v_xor_b32_e32 v39, v39, v26
	v_cmp_ne_u16_e32 vcc_lo, 0x7fff, v39
	v_cndmask_b32_e32 v39, 0xffff8000, v39, vcc_lo
	s_delay_alu instid0(VALU_DEP_1) | instskip(NEXT) | instid1(VALU_DEP_1)
	v_and_b32_e32 v39, 0xffff, v39
	v_lshrrev_b32_e32 v39, s48, v39
	s_delay_alu instid0(VALU_DEP_1) | instskip(NEXT) | instid1(VALU_DEP_1)
	v_and_b32_e32 v39, s52, v39
	v_lshl_or_b32 v39, v39, 4, v83
	ds_add_u32 v39, v96
	s_or_b32 exec_lo, exec_lo, s9
	s_delay_alu instid0(SALU_CYCLE_1)
	s_mov_b32 s9, exec_lo
	v_cmpx_gt_u32_e64 s8, v80
	s_cbranch_execz .LBB1833_343
.LBB1833_358:                           ;   in Loop: Header=BB1833_308 Depth=2
	v_cmp_lt_i16_e32 vcc_lo, -1, v25
	v_cndmask_b32_e64 v39, -1, 0xffff8000, vcc_lo
	s_delay_alu instid0(VALU_DEP_1) | instskip(NEXT) | instid1(VALU_DEP_1)
	v_xor_b32_e32 v39, v39, v25
	v_cmp_ne_u16_e32 vcc_lo, 0x7fff, v39
	v_cndmask_b32_e32 v39, 0xffff8000, v39, vcc_lo
	s_delay_alu instid0(VALU_DEP_1) | instskip(NEXT) | instid1(VALU_DEP_1)
	v_and_b32_e32 v39, 0xffff, v39
	v_lshrrev_b32_e32 v39, s48, v39
	s_delay_alu instid0(VALU_DEP_1) | instskip(NEXT) | instid1(VALU_DEP_1)
	v_and_b32_e32 v39, s52, v39
	v_lshl_or_b32 v39, v39, 4, v83
	ds_add_u32 v39, v96
	s_or_b32 exec_lo, exec_lo, s9
	s_delay_alu instid0(SALU_CYCLE_1)
	s_mov_b32 s9, exec_lo
	v_cmpx_gt_u32_e64 s8, v81
	s_cbranch_execz .LBB1833_344
.LBB1833_359:                           ;   in Loop: Header=BB1833_308 Depth=2
	v_cmp_lt_i16_e32 vcc_lo, -1, v24
	v_cndmask_b32_e64 v39, -1, 0xffff8000, vcc_lo
	s_delay_alu instid0(VALU_DEP_1) | instskip(NEXT) | instid1(VALU_DEP_1)
	v_xor_b32_e32 v39, v39, v24
	v_cmp_ne_u16_e32 vcc_lo, 0x7fff, v39
	v_cndmask_b32_e32 v39, 0xffff8000, v39, vcc_lo
	s_delay_alu instid0(VALU_DEP_1) | instskip(NEXT) | instid1(VALU_DEP_1)
	v_and_b32_e32 v39, 0xffff, v39
	v_lshrrev_b32_e32 v39, s48, v39
	s_delay_alu instid0(VALU_DEP_1) | instskip(NEXT) | instid1(VALU_DEP_1)
	v_and_b32_e32 v39, s52, v39
	v_lshl_or_b32 v39, v39, 4, v83
	ds_add_u32 v39, v96
	s_or_b32 exec_lo, exec_lo, s9
	v_cmp_gt_u32_e32 vcc_lo, s8, v82
	s_and_saveexec_b32 s8, vcc_lo
	s_cbranch_execz .LBB1833_307
.LBB1833_360:                           ;   in Loop: Header=BB1833_308 Depth=2
	v_cmp_lt_i16_e32 vcc_lo, -1, v23
	v_cndmask_b32_e64 v39, -1, 0xffff8000, vcc_lo
	s_delay_alu instid0(VALU_DEP_1) | instskip(NEXT) | instid1(VALU_DEP_1)
	v_xor_b32_e32 v39, v39, v23
	v_cmp_ne_u16_e32 vcc_lo, 0x7fff, v39
	v_cndmask_b32_e32 v39, 0xffff8000, v39, vcc_lo
	s_delay_alu instid0(VALU_DEP_1) | instskip(NEXT) | instid1(VALU_DEP_1)
	v_and_b32_e32 v39, 0xffff, v39
	v_lshrrev_b32_e32 v39, s48, v39
	s_delay_alu instid0(VALU_DEP_1) | instskip(NEXT) | instid1(VALU_DEP_1)
	v_and_b32_e32 v39, s52, v39
	v_lshl_or_b32 v39, v39, 4, v83
	ds_add_u32 v39, v96
	s_branch .LBB1833_307
.LBB1833_361:                           ;   in Loop: Header=BB1833_308 Depth=2
	global_load_u16 v38, v2, s[8:9] scale_offset
	s_wait_xcnt 0x0
	s_or_b32 exec_lo, exec_lo, s11
	s_delay_alu instid0(SALU_CYCLE_1)
	s_mov_b32 s11, exec_lo
	v_cmpx_gt_u32_e64 s7, v68
	s_cbranch_execz .LBB1833_313
.LBB1833_362:                           ;   in Loop: Header=BB1833_308 Depth=2
	global_load_u16 v37, v2, s[8:9] offset:512 scale_offset
	s_wait_xcnt 0x0
	s_or_b32 exec_lo, exec_lo, s11
	s_delay_alu instid0(SALU_CYCLE_1)
	s_mov_b32 s11, exec_lo
	v_cmpx_gt_u32_e64 s7, v69
	s_cbranch_execz .LBB1833_314
.LBB1833_363:                           ;   in Loop: Header=BB1833_308 Depth=2
	global_load_u16 v36, v2, s[8:9] offset:1024 scale_offset
	s_wait_xcnt 0x0
	s_or_b32 exec_lo, exec_lo, s11
	s_delay_alu instid0(SALU_CYCLE_1)
	s_mov_b32 s11, exec_lo
	v_cmpx_gt_u32_e64 s7, v70
	s_cbranch_execz .LBB1833_315
.LBB1833_364:                           ;   in Loop: Header=BB1833_308 Depth=2
	global_load_u16 v35, v2, s[8:9] offset:1536 scale_offset
	s_wait_xcnt 0x0
	s_or_b32 exec_lo, exec_lo, s11
	s_delay_alu instid0(SALU_CYCLE_1)
	s_mov_b32 s11, exec_lo
	v_cmpx_gt_u32_e64 s7, v71
	s_cbranch_execz .LBB1833_316
.LBB1833_365:                           ;   in Loop: Header=BB1833_308 Depth=2
	global_load_u16 v34, v2, s[8:9] offset:2048 scale_offset
	s_wait_xcnt 0x0
	s_or_b32 exec_lo, exec_lo, s11
	s_delay_alu instid0(SALU_CYCLE_1)
	s_mov_b32 s11, exec_lo
	v_cmpx_gt_u32_e64 s7, v72
	s_cbranch_execz .LBB1833_317
.LBB1833_366:                           ;   in Loop: Header=BB1833_308 Depth=2
	global_load_u16 v33, v2, s[8:9] offset:2560 scale_offset
	s_wait_xcnt 0x0
	s_or_b32 exec_lo, exec_lo, s11
	s_delay_alu instid0(SALU_CYCLE_1)
	s_mov_b32 s11, exec_lo
	v_cmpx_gt_u32_e64 s7, v73
	s_cbranch_execz .LBB1833_318
.LBB1833_367:                           ;   in Loop: Header=BB1833_308 Depth=2
	global_load_u16 v32, v2, s[8:9] offset:3072 scale_offset
	s_wait_xcnt 0x0
	s_or_b32 exec_lo, exec_lo, s11
	s_delay_alu instid0(SALU_CYCLE_1)
	s_mov_b32 s11, exec_lo
	v_cmpx_gt_u32_e64 s7, v74
	s_cbranch_execz .LBB1833_319
.LBB1833_368:                           ;   in Loop: Header=BB1833_308 Depth=2
	global_load_u16 v31, v2, s[8:9] offset:3584 scale_offset
	s_wait_xcnt 0x0
	s_or_b32 exec_lo, exec_lo, s11
	s_delay_alu instid0(SALU_CYCLE_1)
	s_mov_b32 s11, exec_lo
	v_cmpx_gt_u32_e64 s7, v75
	s_cbranch_execz .LBB1833_320
.LBB1833_369:                           ;   in Loop: Header=BB1833_308 Depth=2
	global_load_u16 v30, v2, s[8:9] offset:4096 scale_offset
	s_wait_xcnt 0x0
	s_or_b32 exec_lo, exec_lo, s11
	s_delay_alu instid0(SALU_CYCLE_1)
	s_mov_b32 s11, exec_lo
	v_cmpx_gt_u32_e64 s7, v76
	s_cbranch_execz .LBB1833_321
.LBB1833_370:                           ;   in Loop: Header=BB1833_308 Depth=2
	global_load_u16 v29, v2, s[8:9] offset:4608 scale_offset
	s_wait_xcnt 0x0
	s_or_b32 exec_lo, exec_lo, s11
	s_delay_alu instid0(SALU_CYCLE_1)
	s_mov_b32 s11, exec_lo
	v_cmpx_gt_u32_e64 s7, v77
	s_cbranch_execz .LBB1833_322
.LBB1833_371:                           ;   in Loop: Header=BB1833_308 Depth=2
	global_load_u16 v28, v2, s[8:9] offset:5120 scale_offset
	s_wait_xcnt 0x0
	s_or_b32 exec_lo, exec_lo, s11
	s_delay_alu instid0(SALU_CYCLE_1)
	s_mov_b32 s11, exec_lo
	v_cmpx_gt_u32_e64 s7, v78
	s_cbranch_execz .LBB1833_323
.LBB1833_372:                           ;   in Loop: Header=BB1833_308 Depth=2
	global_load_u16 v27, v2, s[8:9] offset:5632 scale_offset
	s_wait_xcnt 0x0
	s_or_b32 exec_lo, exec_lo, s11
	s_delay_alu instid0(SALU_CYCLE_1)
	s_mov_b32 s11, exec_lo
	v_cmpx_gt_u32_e64 s7, v79
	s_cbranch_execz .LBB1833_324
.LBB1833_373:                           ;   in Loop: Header=BB1833_308 Depth=2
	global_load_u16 v26, v2, s[8:9] offset:6144 scale_offset
	s_wait_xcnt 0x0
	s_or_b32 exec_lo, exec_lo, s11
	s_delay_alu instid0(SALU_CYCLE_1)
	s_mov_b32 s11, exec_lo
	v_cmpx_gt_u32_e64 s7, v80
	s_cbranch_execz .LBB1833_325
.LBB1833_374:                           ;   in Loop: Header=BB1833_308 Depth=2
	global_load_u16 v25, v2, s[8:9] offset:6656 scale_offset
	s_wait_xcnt 0x0
	s_or_b32 exec_lo, exec_lo, s11
	s_delay_alu instid0(SALU_CYCLE_1)
	s_mov_b32 s11, exec_lo
	v_cmpx_gt_u32_e64 s7, v81
	s_cbranch_execz .LBB1833_326
.LBB1833_375:                           ;   in Loop: Header=BB1833_308 Depth=2
	global_load_u16 v24, v2, s[8:9] offset:7168 scale_offset
	s_wait_xcnt 0x0
	s_or_b32 exec_lo, exec_lo, s11
	s_delay_alu instid0(SALU_CYCLE_1)
	s_mov_b32 s11, exec_lo
	v_cmpx_gt_u32_e64 s7, v82
	s_cbranch_execnz .LBB1833_327
	s_branch .LBB1833_328
.LBB1833_376:                           ;   in Loop: Header=BB1833_12 Depth=1
	v_mov_b32_e32 v23, 0
	s_wait_dscnt 0x0
	s_barrier_signal -1
	s_barrier_wait -1
	s_and_saveexec_b32 s7, s0
	s_cbranch_execz .LBB1833_378
; %bb.377:                              ;   in Loop: Header=BB1833_12 Depth=1
	ds_load_2addr_b64 v[24:27], v85 offset1:1
	s_wait_dscnt 0x0
	v_add_nc_u32_e32 v23, v25, v24
	s_delay_alu instid0(VALU_DEP_1)
	v_add3_u32 v23, v23, v26, v27
.LBB1833_378:                           ;   in Loop: Header=BB1833_12 Depth=1
	s_or_b32 exec_lo, exec_lo, s7
	s_delay_alu instid0(VALU_DEP_1)
	v_mov_b32_dpp v24, v23 row_shr:1 row_mask:0xf bank_mask:0xf
	v_cmp_eq_u32_e64 s7, 0, v97
	v_cmp_lt_u32_e64 s8, 1, v97
	v_cmp_lt_u32_e64 s9, 3, v97
	;; [unrolled: 1-line block ×3, first 2 shown]
	v_cmp_eq_u32_e64 s11, 0, v99
	v_cndmask_b32_e64 v24, v24, 0, s7
	s_delay_alu instid0(VALU_DEP_1) | instskip(NEXT) | instid1(VALU_DEP_1)
	v_add_nc_u32_e32 v23, v24, v23
	v_mov_b32_dpp v24, v23 row_shr:2 row_mask:0xf bank_mask:0xf
	s_delay_alu instid0(VALU_DEP_1) | instskip(NEXT) | instid1(VALU_DEP_1)
	v_cndmask_b32_e64 v24, 0, v24, s8
	v_add_nc_u32_e32 v23, v23, v24
	s_delay_alu instid0(VALU_DEP_1) | instskip(NEXT) | instid1(VALU_DEP_1)
	v_mov_b32_dpp v24, v23 row_shr:4 row_mask:0xf bank_mask:0xf
	v_cndmask_b32_e64 v24, 0, v24, s9
	s_delay_alu instid0(VALU_DEP_1) | instskip(NEXT) | instid1(VALU_DEP_1)
	v_add_nc_u32_e32 v23, v23, v24
	v_mov_b32_dpp v24, v23 row_shr:8 row_mask:0xf bank_mask:0xf
	s_delay_alu instid0(VALU_DEP_1) | instskip(NEXT) | instid1(VALU_DEP_1)
	v_cndmask_b32_e64 v24, 0, v24, s10
	v_add_nc_u32_e32 v23, v23, v24
	ds_swizzle_b32 v24, v23 offset:swizzle(BROADCAST,32,15)
	s_wait_dscnt 0x0
	v_and_b32_e32 v24, v98, v24
	s_delay_alu instid0(VALU_DEP_1)
	v_add_nc_u32_e32 v23, v23, v24
	s_and_saveexec_b32 s12, s1
; %bb.379:                              ;   in Loop: Header=BB1833_12 Depth=1
	ds_store_b32 v86, v23
; %bb.380:                              ;   in Loop: Header=BB1833_12 Depth=1
	s_or_b32 exec_lo, exec_lo, s12
	s_wait_dscnt 0x0
	s_barrier_signal -1
	s_barrier_wait -1
	s_and_saveexec_b32 s12, s4
	s_cbranch_execz .LBB1833_382
; %bb.381:                              ;   in Loop: Header=BB1833_12 Depth=1
	ds_load_b32 v24, v87
	v_cmp_ne_u32_e32 vcc_lo, 0, v101
	s_wait_dscnt 0x0
	v_mov_b32_dpp v25, v24 row_shr:1 row_mask:0xf bank_mask:0xf
	s_delay_alu instid0(VALU_DEP_1) | instskip(SKIP_1) | instid1(VALU_DEP_2)
	v_cndmask_b32_e32 v25, 0, v25, vcc_lo
	v_cmp_lt_u32_e32 vcc_lo, 1, v101
	v_add_nc_u32_e32 v24, v25, v24
	s_delay_alu instid0(VALU_DEP_1) | instskip(NEXT) | instid1(VALU_DEP_1)
	v_mov_b32_dpp v25, v24 row_shr:2 row_mask:0xf bank_mask:0xf
	v_cndmask_b32_e32 v25, 0, v25, vcc_lo
	v_cmp_lt_u32_e32 vcc_lo, 3, v101
	s_delay_alu instid0(VALU_DEP_2) | instskip(NEXT) | instid1(VALU_DEP_1)
	v_add_nc_u32_e32 v24, v24, v25
	v_mov_b32_dpp v25, v24 row_shr:4 row_mask:0xf bank_mask:0xf
	s_delay_alu instid0(VALU_DEP_1) | instskip(NEXT) | instid1(VALU_DEP_1)
	v_cndmask_b32_e32 v25, 0, v25, vcc_lo
	v_add_nc_u32_e32 v24, v24, v25
	ds_store_b32 v87, v24
.LBB1833_382:                           ;   in Loop: Header=BB1833_12 Depth=1
	s_or_b32 exec_lo, exec_lo, s12
	v_mov_b32_e32 v24, 0
	s_wait_dscnt 0x0
	s_barrier_signal -1
	s_barrier_wait -1
	s_and_saveexec_b32 s12, s5
; %bb.383:                              ;   in Loop: Header=BB1833_12 Depth=1
	ds_load_b32 v24, v88
; %bb.384:                              ;   in Loop: Header=BB1833_12 Depth=1
	s_or_b32 exec_lo, exec_lo, s12
	v_cmp_gt_i32_e32 vcc_lo, 0, v102
	s_wait_dscnt 0x0
	s_barrier_signal -1
	s_barrier_wait -1
	v_cndmask_b32_e32 v25, v102, v95, vcc_lo
	s_delay_alu instid0(VALU_DEP_1)
	v_dual_add_nc_u32 v23, v24, v23 :: v_dual_lshlrev_b32 v122, 2, v25
	ds_bpermute_b32 v23, v122, v23
	s_and_saveexec_b32 s12, s0
	s_cbranch_execz .LBB1833_386
; %bb.385:                              ;   in Loop: Header=BB1833_12 Depth=1
	s_wait_dscnt 0x0
	v_cndmask_b32_e64 v23, v23, v24, s6
	s_delay_alu instid0(VALU_DEP_1)
	v_add_nc_u32_e32 v23, s54, v23
	ds_store_b32 v3, v23
.LBB1833_386:                           ;   in Loop: Header=BB1833_12 Depth=1
	s_or_b32 exec_lo, exec_lo, s12
	s_load_b64 s[12:13], s[34:35], 0x0
	s_mov_b32 s53, s56
                                        ; implicit-def: $vgpr30_vgpr31
                                        ; implicit-def: $vgpr32_vgpr33
                                        ; implicit-def: $vgpr34_vgpr35
                                        ; implicit-def: $vgpr36_vgpr37
                                        ; implicit-def: $vgpr38_vgpr39
                                        ; implicit-def: $vgpr40_vgpr41
                                        ; implicit-def: $vgpr42_vgpr43
                                        ; implicit-def: $vgpr44_vgpr45
                                        ; implicit-def: $vgpr46_vgpr47
                                        ; implicit-def: $vgpr48_vgpr49
                                        ; implicit-def: $vgpr50_vgpr51
                                        ; implicit-def: $vgpr52_vgpr53
                                        ; implicit-def: $vgpr54_vgpr55
                                        ; implicit-def: $vgpr56_vgpr57
                                        ; implicit-def: $vgpr58_vgpr59
                                        ; implicit-def: $vgpr123
                                        ; implicit-def: $vgpr124
                                        ; implicit-def: $vgpr125
                                        ; implicit-def: $vgpr126
                                        ; implicit-def: $vgpr127
                                        ; implicit-def: $vgpr128
                                        ; implicit-def: $vgpr129
                                        ; implicit-def: $vgpr130
                                        ; implicit-def: $vgpr131
                                        ; implicit-def: $vgpr132
                                        ; implicit-def: $vgpr133
                                        ; implicit-def: $vgpr134
                                        ; implicit-def: $vgpr135
                                        ; implicit-def: $vgpr136
                                        ; implicit-def: $vgpr137
                                        ; implicit-def: $vgpr138
	s_wait_kmcnt 0x0
	s_cmp_lt_u32 s33, s12
	s_cselect_b32 s42, 12, 18
	s_cmp_lt_u32 s31, s13
	s_mov_b32 s13, s43
	s_cselect_b32 s12, 14, 20
	s_delay_alu instid0(SALU_CYCLE_1)
	s_add_nc_u64 s[12:13], s[34:35], s[12:13]
	s_load_u16 s14, s[12:13], 0x0
	s_wait_xcnt 0x0
	s_add_nc_u64 s[12:13], s[34:35], s[42:43]
	s_mov_b32 s42, s54
	s_load_u16 s12, s[12:13], 0x0
	s_wait_xcnt 0x0
	v_cmp_lt_u32_e64 s13, 1, v101
	s_wait_dscnt 0x0
	s_wait_kmcnt 0x0
	v_mad_u32_u24 v23, v89, s14, v90
	v_cmp_lt_u32_e64 s14, 3, v101
	s_delay_alu instid0(VALU_DEP_2) | instskip(SKIP_2) | instid1(VALU_DEP_3)
	v_mad_u32 v24, v23, s12, v2
	v_mov_b32_e32 v23, v5
	v_cmp_eq_u32_e64 s12, 0, v101
	v_lshrrev_b32_e32 v28, 3, v24
	v_add_nc_u64_e32 v[24:25], v[12:13], v[4:5]
	s_delay_alu instid0(VALU_DEP_4) | instskip(NEXT) | instid1(VALU_DEP_3)
	v_add_nc_u64_e32 v[26:27], v[14:15], v[22:23]
	v_and_b32_e32 v23, 0x1ffffffc, v28
                                        ; implicit-def: $vgpr28_vgpr29
	s_branch .LBB1833_388
.LBB1833_387:                           ;   in Loop: Header=BB1833_388 Depth=2
	s_or_b32 exec_lo, exec_lo, s15
	s_addk_co_i32 s53, 0xf000
	s_cmp_lt_u32 s57, s51
	s_mov_b32 s42, s57
	s_cbranch_scc0 .LBB1833_596
.LBB1833_388:                           ;   Parent Loop BB1833_12 Depth=1
                                        ; =>  This Inner Loop Header: Depth=2
	s_add_co_i32 s57, s42, 0x1000
	s_delay_alu instid0(SALU_CYCLE_1)
	s_cmp_gt_u32 s57, s51
	s_cbranch_scc1 .LBB1833_390
; %bb.389:                              ;   in Loop: Header=BB1833_388 Depth=2
	s_delay_alu instid0(VALU_DEP_2)
	v_lshl_add_u64 v[60:61], s[42:43], 1, v[26:27]
	s_mov_b32 s15, -1
	s_clause 0xe
	global_load_u16 v140, v[60:61], off
	global_load_u16 v141, v[60:61], off offset:64
	global_load_u16 v144, v[60:61], off offset:128
	;; [unrolled: 1-line block ×14, first 2 shown]
	s_movk_i32 s16, 0x1000
	s_cbranch_execz .LBB1833_391
	s_branch .LBB1833_422
.LBB1833_390:                           ;   in Loop: Header=BB1833_388 Depth=2
	s_mov_b32 s15, 0
                                        ; implicit-def: $vgpr140
                                        ; implicit-def: $vgpr141
                                        ; implicit-def: $vgpr144
                                        ; implicit-def: $vgpr148
                                        ; implicit-def: $vgpr152
                                        ; implicit-def: $vgpr156
                                        ; implicit-def: $vgpr160
                                        ; implicit-def: $vgpr164
                                        ; implicit-def: $vgpr168
                                        ; implicit-def: $vgpr67
                                        ; implicit-def: $vgpr66
                                        ; implicit-def: $vgpr65
                                        ; implicit-def: $vgpr64
                                        ; implicit-def: $vgpr63
                                        ; implicit-def: $vgpr62
	s_movk_i32 s16, 0x1000
.LBB1833_391:                           ;   in Loop: Header=BB1833_388 Depth=2
	s_wait_xcnt 0x0
	v_lshl_add_u64 v[60:61], s[42:43], 1, v[26:27]
	s_wait_loadcnt 0xd
	v_dual_mov_b32 v141, 0x7fff :: v_dual_mov_b32 v140, 0x7fff
	s_mov_b32 s15, exec_lo
	v_cmpx_gt_u32_e64 s53, v100
	s_cbranch_execz .LBB1833_393
; %bb.392:                              ;   in Loop: Header=BB1833_388 Depth=2
	global_load_u16 v140, v[60:61], off
.LBB1833_393:                           ;   in Loop: Header=BB1833_388 Depth=2
	s_wait_xcnt 0x0
	s_or_b32 exec_lo, exec_lo, s15
	s_delay_alu instid0(SALU_CYCLE_1)
	s_mov_b32 s15, exec_lo
	v_cmpx_gt_u32_e64 s53, v103
	s_cbranch_execz .LBB1833_395
; %bb.394:                              ;   in Loop: Header=BB1833_388 Depth=2
	global_load_u16 v141, v[60:61], off offset:64
.LBB1833_395:                           ;   in Loop: Header=BB1833_388 Depth=2
	s_wait_xcnt 0x0
	s_or_b32 exec_lo, exec_lo, s15
	s_wait_loadcnt 0xb
	v_mov_b32_e32 v148, 0x7fff
	v_mov_b32_e32 v144, 0x7fff
	s_mov_b32 s15, exec_lo
	v_cmpx_gt_u32_e64 s53, v104
	s_cbranch_execz .LBB1833_397
; %bb.396:                              ;   in Loop: Header=BB1833_388 Depth=2
	global_load_u16 v144, v[60:61], off offset:128
.LBB1833_397:                           ;   in Loop: Header=BB1833_388 Depth=2
	s_wait_xcnt 0x0
	s_or_b32 exec_lo, exec_lo, s15
	s_delay_alu instid0(SALU_CYCLE_1)
	s_mov_b32 s15, exec_lo
	v_cmpx_gt_u32_e64 s53, v105
	s_cbranch_execz .LBB1833_399
; %bb.398:                              ;   in Loop: Header=BB1833_388 Depth=2
	global_load_u16 v148, v[60:61], off offset:192
.LBB1833_399:                           ;   in Loop: Header=BB1833_388 Depth=2
	s_wait_xcnt 0x0
	s_or_b32 exec_lo, exec_lo, s15
	s_wait_loadcnt 0x9
	v_mov_b32_e32 v156, 0x7fff
	v_mov_b32_e32 v152, 0x7fff
	s_mov_b32 s15, exec_lo
	v_cmpx_gt_u32_e64 s53, v106
	s_cbranch_execz .LBB1833_401
; %bb.400:                              ;   in Loop: Header=BB1833_388 Depth=2
	global_load_u16 v152, v[60:61], off offset:256
.LBB1833_401:                           ;   in Loop: Header=BB1833_388 Depth=2
	;; [unrolled: 20-line block ×3, first 2 shown]
	s_wait_xcnt 0x0
	s_or_b32 exec_lo, exec_lo, s15
	s_delay_alu instid0(SALU_CYCLE_1)
	s_mov_b32 s15, exec_lo
	v_cmpx_gt_u32_e64 s53, v109
	s_cbranch_execz .LBB1833_407
; %bb.406:                              ;   in Loop: Header=BB1833_388 Depth=2
	global_load_u16 v164, v[60:61], off offset:448
.LBB1833_407:                           ;   in Loop: Header=BB1833_388 Depth=2
	s_wait_xcnt 0x0
	s_or_b32 exec_lo, exec_lo, s15
	s_wait_loadcnt 0x5
	v_dual_mov_b32 v67, 0x7fff :: v_dual_mov_b32 v168, 0x7fff
	s_mov_b32 s15, exec_lo
	v_cmpx_gt_u32_e64 s53, v110
	s_cbranch_execz .LBB1833_409
; %bb.408:                              ;   in Loop: Header=BB1833_388 Depth=2
	global_load_u16 v168, v[60:61], off offset:512
.LBB1833_409:                           ;   in Loop: Header=BB1833_388 Depth=2
	s_wait_xcnt 0x0
	s_or_b32 exec_lo, exec_lo, s15
	s_delay_alu instid0(SALU_CYCLE_1)
	s_mov_b32 s15, exec_lo
	v_cmpx_gt_u32_e64 s53, v111
	s_cbranch_execz .LBB1833_411
; %bb.410:                              ;   in Loop: Header=BB1833_388 Depth=2
	global_load_u16 v67, v[60:61], off offset:576
.LBB1833_411:                           ;   in Loop: Header=BB1833_388 Depth=2
	s_wait_xcnt 0x0
	s_or_b32 exec_lo, exec_lo, s15
	s_wait_loadcnt 0x3
	v_dual_mov_b32 v65, 0x7fff :: v_dual_mov_b32 v66, 0x7fff
	s_mov_b32 s15, exec_lo
	v_cmpx_gt_u32_e64 s53, v112
	s_cbranch_execz .LBB1833_413
; %bb.412:                              ;   in Loop: Header=BB1833_388 Depth=2
	global_load_u16 v66, v[60:61], off offset:640
.LBB1833_413:                           ;   in Loop: Header=BB1833_388 Depth=2
	s_wait_xcnt 0x0
	s_or_b32 exec_lo, exec_lo, s15
	s_delay_alu instid0(SALU_CYCLE_1)
	s_mov_b32 s15, exec_lo
	v_cmpx_gt_u32_e64 s53, v113
	s_cbranch_execz .LBB1833_415
; %bb.414:                              ;   in Loop: Header=BB1833_388 Depth=2
	global_load_u16 v65, v[60:61], off offset:704
.LBB1833_415:                           ;   in Loop: Header=BB1833_388 Depth=2
	s_wait_xcnt 0x0
	s_or_b32 exec_lo, exec_lo, s15
	s_wait_loadcnt 0x1
	v_dual_mov_b32 v63, 0x7fff :: v_dual_mov_b32 v64, 0x7fff
	s_mov_b32 s15, exec_lo
	v_cmpx_gt_u32_e64 s53, v114
	s_cbranch_execz .LBB1833_417
; %bb.416:                              ;   in Loop: Header=BB1833_388 Depth=2
	global_load_u16 v64, v[60:61], off offset:768
.LBB1833_417:                           ;   in Loop: Header=BB1833_388 Depth=2
	s_wait_xcnt 0x0
	s_or_b32 exec_lo, exec_lo, s15
	s_delay_alu instid0(SALU_CYCLE_1)
	s_mov_b32 s15, exec_lo
	v_cmpx_gt_u32_e64 s53, v115
	s_cbranch_execz .LBB1833_419
; %bb.418:                              ;   in Loop: Header=BB1833_388 Depth=2
	global_load_u16 v63, v[60:61], off offset:832
.LBB1833_419:                           ;   in Loop: Header=BB1833_388 Depth=2
	s_wait_xcnt 0x0
	s_or_b32 exec_lo, exec_lo, s15
	s_wait_loadcnt 0x0
	v_mov_b32_e32 v62, 0x7fff
	s_mov_b32 s15, exec_lo
	v_cmpx_gt_u32_e64 s53, v116
	s_cbranch_execz .LBB1833_421
; %bb.420:                              ;   in Loop: Header=BB1833_388 Depth=2
	global_load_u16 v62, v[60:61], off offset:896
.LBB1833_421:                           ;   in Loop: Header=BB1833_388 Depth=2
	s_wait_xcnt 0x0
	s_or_b32 exec_lo, exec_lo, s15
	v_cmp_gt_u32_e64 s15, s53, v117
	s_sub_co_i32 s16, s51, s42
.LBB1833_422:                           ;   in Loop: Header=BB1833_388 Depth=2
	s_wait_xcnt 0x0
	v_dual_mov_b32 v60, 0x7fff :: v_dual_mov_b32 v139, s53
	s_and_saveexec_b32 s17, s15
	s_cbranch_execz .LBB1833_424
; %bb.423:                              ;   in Loop: Header=BB1833_388 Depth=2
	v_lshl_add_u64 v[60:61], s[42:43], 1, v[26:27]
	v_mov_b32_e32 v139, s16
	global_load_u16 v60, v[60:61], off offset:960
.LBB1833_424:                           ;   in Loop: Header=BB1833_388 Depth=2
	s_wait_xcnt 0x0
	s_or_b32 exec_lo, exec_lo, s17
	s_wait_loadcnt 0xe
	v_cmp_lt_i16_e64 vcc_lo, -1, v140
	ds_store_2addr_b32 v121, v5, v5 offset1:1
	ds_store_2addr_b32 v118, v5, v5 offset1:1
	;; [unrolled: 1-line block ×4, first 2 shown]
	ds_store_b32 v91, v5 offset:1088
	s_wait_loadcnt_dscnt 0x0
	s_barrier_signal -1
	v_cndmask_b32_e64 v61, -1, 0xffff8000, vcc_lo
	s_barrier_wait -1
	; wave barrier
	s_delay_alu instid0(VALU_DEP_1) | instskip(NEXT) | instid1(VALU_DEP_1)
	v_xor_b32_e32 v140, v61, v140
	v_cmp_ne_u16_e64 vcc_lo, 0x7fff, v140
	v_cndmask_b32_e32 v61, 0xffff8000, v140, vcc_lo
	s_delay_alu instid0(VALU_DEP_1) | instskip(NEXT) | instid1(VALU_DEP_1)
	v_and_b32_e32 v61, 0xffff, v61
	v_lshrrev_b32_e32 v61, s48, v61
	s_delay_alu instid0(VALU_DEP_1) | instskip(SKIP_1) | instid1(VALU_DEP_2)
	v_bitop3_b32 v142, v61, 1, s52 bitop3:0x80
	v_and_b32_e32 v143, s52, v61
	v_add_co_u32 v61, s15, v142, -1
	s_delay_alu instid0(VALU_DEP_1) | instskip(NEXT) | instid1(VALU_DEP_3)
	v_cndmask_b32_e64 v142, 0, 1, s15
	v_lshlrev_b32_e32 v145, 30, v143
	s_delay_alu instid0(VALU_DEP_2) | instskip(NEXT) | instid1(VALU_DEP_2)
	v_cmp_ne_u32_e32 vcc_lo, 0, v142
	v_not_b32_e32 v142, v145
	s_delay_alu instid0(VALU_DEP_1) | instskip(SKIP_3) | instid1(VALU_DEP_4)
	v_dual_ashrrev_i32 v142, 31, v142 :: v_dual_lshlrev_b32 v146, 29, v143
	v_dual_lshlrev_b32 v147, 28, v143 :: v_dual_lshlrev_b32 v149, 27, v143
	v_lshlrev_b32_e32 v150, 26, v143
	v_cmp_gt_i32_e64 s15, 0, v145
	v_cmp_gt_i32_e64 s16, 0, v146
	v_not_b32_e32 v145, v146
	v_not_b32_e32 v146, v147
	v_dual_lshlrev_b32 v151, 25, v143 :: v_dual_lshlrev_b32 v153, 24, v143
	v_cmp_gt_i32_e64 s17, 0, v147
	v_cmp_gt_i32_e64 s18, 0, v149
	v_not_b32_e32 v147, v149
	v_not_b32_e32 v149, v150
	v_dual_ashrrev_i32 v146, 31, v146 :: v_dual_bitop2_b32 v61, vcc_lo, v61 bitop3:0x14
	v_dual_ashrrev_i32 v145, 31, v145 :: v_dual_bitop2_b32 v142, s15, v142 bitop3:0x14
	v_cmp_gt_i32_e64 s19, 0, v150
	v_cmp_gt_i32_e64 s20, 0, v151
	v_not_b32_e32 v150, v151
	v_not_b32_e32 v151, v153
	v_dual_ashrrev_i32 v147, 31, v147 :: v_dual_ashrrev_i32 v149, 31, v149
	v_xor_b32_e32 v145, s16, v145
	v_xor_b32_e32 v146, s17, v146
	v_bitop3_b32 v61, v61, v142, exec_lo bitop3:0x80
	v_cmp_gt_i32_e64 s21, 0, v153
	v_dual_ashrrev_i32 v142, 31, v150 :: v_dual_ashrrev_i32 v150, 31, v151
	v_xor_b32_e32 v147, s18, v147
	s_delay_alu instid0(VALU_DEP_4) | instskip(SKIP_3) | instid1(VALU_DEP_3)
	v_bitop3_b32 v61, v61, v146, v145 bitop3:0x80
	v_mul_u32_u24_e32 v143, 36, v143
	v_xor_b32_e32 v149, s19, v149
	v_xor_b32_e32 v142, s20, v142
	v_dual_add_nc_u32 v143, v23, v143 :: v_dual_bitop2_b32 v145, s21, v150 bitop3:0x14
	s_delay_alu instid0(VALU_DEP_3) | instskip(NEXT) | instid1(VALU_DEP_1)
	v_bitop3_b32 v61, v61, v149, v147 bitop3:0x80
	v_bitop3_b32 v61, v61, v145, v142 bitop3:0x80
	s_delay_alu instid0(VALU_DEP_1) | instskip(SKIP_1) | instid1(VALU_DEP_2)
	v_mbcnt_lo_u32_b32 v142, v61, 0
	v_cmp_ne_u32_e64 s15, 0, v61
	v_cmp_eq_u32_e32 vcc_lo, 0, v142
	s_and_b32 s16, s15, vcc_lo
	s_delay_alu instid0(SALU_CYCLE_1)
	s_and_saveexec_b32 s15, s16
; %bb.425:                              ;   in Loop: Header=BB1833_388 Depth=2
	v_bcnt_u32_b32 v61, v61, 0
	ds_store_b32 v143, v61 offset:1056
; %bb.426:                              ;   in Loop: Header=BB1833_388 Depth=2
	s_or_b32 exec_lo, exec_lo, s15
	v_cmp_lt_i16_e64 vcc_lo, -1, v141
	; wave barrier
	s_delay_alu instid0(VALU_DEP_1) | instskip(NEXT) | instid1(VALU_DEP_1)
	v_cndmask_b32_e64 v61, -1, 0xffff8000, vcc_lo
	v_xor_b32_e32 v141, v61, v141
	s_delay_alu instid0(VALU_DEP_1) | instskip(SKIP_1) | instid1(VALU_DEP_1)
	v_cmp_ne_u16_e64 vcc_lo, 0x7fff, v141
	v_cndmask_b32_e32 v61, 0xffff8000, v141, vcc_lo
	v_and_b32_e32 v61, 0xffff, v61
	s_delay_alu instid0(VALU_DEP_1) | instskip(NEXT) | instid1(VALU_DEP_1)
	v_lshrrev_b32_e32 v61, s48, v61
	v_and_b32_e32 v147, s52, v61
	s_delay_alu instid0(VALU_DEP_1) | instskip(SKIP_2) | instid1(VALU_DEP_3)
	v_lshlrev_b32_e32 v149, 29, v147
	v_bitop3_b32 v145, v61, 1, s52 bitop3:0x80
	v_lshlrev_b32_e32 v146, 30, v147
	v_cmp_gt_i32_e64 s16, 0, v149
	s_delay_alu instid0(VALU_DEP_3) | instskip(NEXT) | instid1(VALU_DEP_1)
	v_add_co_u32 v61, s15, v145, -1
	v_cndmask_b32_e64 v145, 0, 1, s15
	s_delay_alu instid0(VALU_DEP_4) | instskip(NEXT) | instid1(VALU_DEP_2)
	v_cmp_gt_i32_e64 s15, 0, v146
	v_cmp_ne_u32_e32 vcc_lo, 0, v145
	v_not_b32_e32 v145, v146
	v_not_b32_e32 v146, v149
	s_delay_alu instid0(VALU_DEP_1) | instskip(SKIP_2) | instid1(VALU_DEP_3)
	v_dual_ashrrev_i32 v146, 31, v146 :: v_dual_lshlrev_b32 v150, 28, v147
	v_dual_lshlrev_b32 v151, 27, v147 :: v_dual_lshlrev_b32 v153, 26, v147
	v_dual_lshlrev_b32 v154, 25, v147 :: v_dual_lshlrev_b32 v155, 24, v147
	v_cmp_gt_i32_e64 s17, 0, v150
	v_not_b32_e32 v149, v150
	s_delay_alu instid0(VALU_DEP_4)
	v_not_b32_e32 v150, v151
	v_ashrrev_i32_e32 v145, 31, v145
	v_cmp_gt_i32_e64 s18, 0, v151
	v_cmp_gt_i32_e64 s19, 0, v153
	v_not_b32_e32 v151, v153
	v_cmp_gt_i32_e64 s20, 0, v154
	v_not_b32_e32 v153, v154
	v_not_b32_e32 v154, v155
	s_delay_alu instid0(VALU_DEP_4) | instskip(SKIP_3) | instid1(VALU_DEP_3)
	v_dual_ashrrev_i32 v151, 31, v151 :: v_dual_bitop2_b32 v61, vcc_lo, v61 bitop3:0x14
	v_dual_ashrrev_i32 v149, 31, v149 :: v_dual_bitop2_b32 v146, s16, v146 bitop3:0x14
	v_dual_ashrrev_i32 v150, 31, v150 :: v_dual_bitop2_b32 v145, s15, v145 bitop3:0x14
	v_cmp_gt_i32_e64 s21, 0, v155
	v_xor_b32_e32 v149, s17, v149
	v_xor_b32_e32 v151, s19, v151
	s_delay_alu instid0(VALU_DEP_4) | instskip(SKIP_2) | instid1(VALU_DEP_2)
	v_xor_b32_e32 v150, s18, v150
	v_bitop3_b32 v61, v61, v145, exec_lo bitop3:0x80
	v_dual_ashrrev_i32 v145, 31, v153 :: v_dual_ashrrev_i32 v153, 31, v154
	v_bitop3_b32 v61, v61, v149, v146 bitop3:0x80
	v_mad_u32_u24 v146, v147, 36, v23
	s_delay_alu instid0(VALU_DEP_3) | instskip(NEXT) | instid1(VALU_DEP_4)
	v_xor_b32_e32 v149, s20, v145
	v_xor_b32_e32 v153, s21, v153
	v_mul_u32_u24_e32 v147, 36, v147
	v_bitop3_b32 v61, v61, v151, v150 bitop3:0x80
	ds_load_b32 v145, v146 offset:1056
	; wave barrier
	v_add_nc_u32_e32 v147, v23, v147
	v_bitop3_b32 v61, v61, v153, v149 bitop3:0x80
	s_delay_alu instid0(VALU_DEP_1) | instskip(SKIP_1) | instid1(VALU_DEP_2)
	v_mbcnt_lo_u32_b32 v146, v61, 0
	v_cmp_ne_u32_e64 s15, 0, v61
	v_cmp_eq_u32_e32 vcc_lo, 0, v146
	s_and_b32 s16, s15, vcc_lo
	s_delay_alu instid0(SALU_CYCLE_1)
	s_and_saveexec_b32 s15, s16
	s_cbranch_execz .LBB1833_428
; %bb.427:                              ;   in Loop: Header=BB1833_388 Depth=2
	s_wait_dscnt 0x0
	v_bcnt_u32_b32 v61, v61, v145
	ds_store_b32 v147, v61 offset:1056
.LBB1833_428:                           ;   in Loop: Header=BB1833_388 Depth=2
	s_or_b32 exec_lo, exec_lo, s15
	v_cmp_lt_i16_e64 vcc_lo, -1, v144
	; wave barrier
	s_delay_alu instid0(VALU_DEP_1) | instskip(NEXT) | instid1(VALU_DEP_1)
	v_cndmask_b32_e64 v61, -1, 0xffff8000, vcc_lo
	v_xor_b32_e32 v144, v61, v144
	s_delay_alu instid0(VALU_DEP_1) | instskip(SKIP_1) | instid1(VALU_DEP_1)
	v_cmp_ne_u16_e64 vcc_lo, 0x7fff, v144
	v_cndmask_b32_e32 v61, 0xffff8000, v144, vcc_lo
	v_and_b32_e32 v61, 0xffff, v61
	s_delay_alu instid0(VALU_DEP_1) | instskip(NEXT) | instid1(VALU_DEP_1)
	v_lshrrev_b32_e32 v61, s48, v61
	v_bitop3_b32 v149, v61, 1, s52 bitop3:0x80
	v_and_b32_e32 v151, s52, v61
	s_delay_alu instid0(VALU_DEP_2) | instskip(NEXT) | instid1(VALU_DEP_1)
	v_add_co_u32 v61, s15, v149, -1
	v_cndmask_b32_e64 v149, 0, 1, s15
	s_delay_alu instid0(VALU_DEP_3) | instskip(NEXT) | instid1(VALU_DEP_2)
	v_dual_lshlrev_b32 v150, 30, v151 :: v_dual_lshlrev_b32 v153, 29, v151
	v_cmp_ne_u32_e32 vcc_lo, 0, v149
	s_delay_alu instid0(VALU_DEP_2) | instskip(SKIP_1) | instid1(VALU_DEP_4)
	v_cmp_gt_i32_e64 s15, 0, v150
	v_not_b32_e32 v149, v150
	v_not_b32_e32 v150, v153
	s_delay_alu instid0(VALU_DEP_1) | instskip(SKIP_3) | instid1(VALU_DEP_4)
	v_dual_ashrrev_i32 v150, 31, v150 :: v_dual_lshlrev_b32 v154, 28, v151
	v_dual_lshlrev_b32 v155, 27, v151 :: v_dual_lshlrev_b32 v157, 26, v151
	v_dual_lshlrev_b32 v158, 25, v151 :: v_dual_lshlrev_b32 v159, 24, v151
	v_cmp_gt_i32_e64 s16, 0, v153
	v_cmp_gt_i32_e64 s17, 0, v154
	v_not_b32_e32 v153, v154
	v_not_b32_e32 v154, v155
	v_ashrrev_i32_e32 v149, 31, v149
	v_cmp_gt_i32_e64 s18, 0, v155
	v_cmp_gt_i32_e64 s19, 0, v157
	v_not_b32_e32 v155, v157
	v_cmp_gt_i32_e64 s20, 0, v158
	v_not_b32_e32 v157, v158
	v_not_b32_e32 v158, v159
	s_delay_alu instid0(VALU_DEP_4) | instskip(SKIP_3) | instid1(VALU_DEP_3)
	v_dual_ashrrev_i32 v155, 31, v155 :: v_dual_bitop2_b32 v61, vcc_lo, v61 bitop3:0x14
	v_dual_ashrrev_i32 v153, 31, v153 :: v_dual_bitop2_b32 v150, s16, v150 bitop3:0x14
	v_dual_ashrrev_i32 v154, 31, v154 :: v_dual_bitop2_b32 v149, s15, v149 bitop3:0x14
	v_cmp_gt_i32_e64 s21, 0, v159
	v_xor_b32_e32 v153, s17, v153
	v_xor_b32_e32 v155, s19, v155
	s_delay_alu instid0(VALU_DEP_4) | instskip(SKIP_2) | instid1(VALU_DEP_2)
	v_xor_b32_e32 v154, s18, v154
	v_bitop3_b32 v61, v61, v149, exec_lo bitop3:0x80
	v_dual_ashrrev_i32 v149, 31, v157 :: v_dual_ashrrev_i32 v157, 31, v158
	v_bitop3_b32 v61, v61, v153, v150 bitop3:0x80
	v_mad_u32_u24 v150, v151, 36, v23
	s_delay_alu instid0(VALU_DEP_3) | instskip(NEXT) | instid1(VALU_DEP_4)
	v_xor_b32_e32 v153, s20, v149
	v_xor_b32_e32 v157, s21, v157
	v_mul_u32_u24_e32 v151, 36, v151
	v_bitop3_b32 v61, v61, v155, v154 bitop3:0x80
	ds_load_b32 v149, v150 offset:1056
	; wave barrier
	v_add_nc_u32_e32 v151, v23, v151
	v_bitop3_b32 v61, v61, v157, v153 bitop3:0x80
	s_delay_alu instid0(VALU_DEP_1) | instskip(SKIP_1) | instid1(VALU_DEP_2)
	v_mbcnt_lo_u32_b32 v150, v61, 0
	v_cmp_ne_u32_e64 s15, 0, v61
	v_cmp_eq_u32_e32 vcc_lo, 0, v150
	s_and_b32 s16, s15, vcc_lo
	s_delay_alu instid0(SALU_CYCLE_1)
	s_and_saveexec_b32 s15, s16
	s_cbranch_execz .LBB1833_430
; %bb.429:                              ;   in Loop: Header=BB1833_388 Depth=2
	s_wait_dscnt 0x0
	v_bcnt_u32_b32 v61, v61, v149
	ds_store_b32 v151, v61 offset:1056
.LBB1833_430:                           ;   in Loop: Header=BB1833_388 Depth=2
	s_or_b32 exec_lo, exec_lo, s15
	v_cmp_lt_i16_e64 vcc_lo, -1, v148
	; wave barrier
	s_delay_alu instid0(VALU_DEP_1) | instskip(NEXT) | instid1(VALU_DEP_1)
	v_cndmask_b32_e64 v61, -1, 0xffff8000, vcc_lo
	v_xor_b32_e32 v148, v61, v148
	s_delay_alu instid0(VALU_DEP_1) | instskip(SKIP_1) | instid1(VALU_DEP_1)
	v_cmp_ne_u16_e64 vcc_lo, 0x7fff, v148
	v_cndmask_b32_e32 v61, 0xffff8000, v148, vcc_lo
	v_and_b32_e32 v61, 0xffff, v61
	s_delay_alu instid0(VALU_DEP_1) | instskip(NEXT) | instid1(VALU_DEP_1)
	v_lshrrev_b32_e32 v61, s48, v61
	v_bitop3_b32 v153, v61, 1, s52 bitop3:0x80
	v_and_b32_e32 v155, s52, v61
	s_delay_alu instid0(VALU_DEP_2) | instskip(NEXT) | instid1(VALU_DEP_1)
	v_add_co_u32 v61, s15, v153, -1
	v_cndmask_b32_e64 v153, 0, 1, s15
	s_delay_alu instid0(VALU_DEP_3) | instskip(NEXT) | instid1(VALU_DEP_2)
	v_dual_lshlrev_b32 v154, 30, v155 :: v_dual_lshlrev_b32 v157, 29, v155
	v_cmp_ne_u32_e32 vcc_lo, 0, v153
	s_delay_alu instid0(VALU_DEP_2) | instskip(SKIP_1) | instid1(VALU_DEP_4)
	v_cmp_gt_i32_e64 s15, 0, v154
	v_not_b32_e32 v153, v154
	v_not_b32_e32 v154, v157
	s_delay_alu instid0(VALU_DEP_1) | instskip(SKIP_3) | instid1(VALU_DEP_4)
	v_dual_ashrrev_i32 v154, 31, v154 :: v_dual_lshlrev_b32 v158, 28, v155
	v_dual_lshlrev_b32 v159, 27, v155 :: v_dual_lshlrev_b32 v161, 26, v155
	v_dual_lshlrev_b32 v162, 25, v155 :: v_dual_lshlrev_b32 v163, 24, v155
	v_cmp_gt_i32_e64 s16, 0, v157
	v_cmp_gt_i32_e64 s17, 0, v158
	v_not_b32_e32 v157, v158
	v_not_b32_e32 v158, v159
	v_ashrrev_i32_e32 v153, 31, v153
	v_cmp_gt_i32_e64 s18, 0, v159
	v_cmp_gt_i32_e64 s19, 0, v161
	v_not_b32_e32 v159, v161
	v_cmp_gt_i32_e64 s20, 0, v162
	v_not_b32_e32 v161, v162
	v_not_b32_e32 v162, v163
	s_delay_alu instid0(VALU_DEP_4) | instskip(SKIP_3) | instid1(VALU_DEP_3)
	v_dual_ashrrev_i32 v159, 31, v159 :: v_dual_bitop2_b32 v61, vcc_lo, v61 bitop3:0x14
	v_dual_ashrrev_i32 v157, 31, v157 :: v_dual_bitop2_b32 v154, s16, v154 bitop3:0x14
	v_dual_ashrrev_i32 v158, 31, v158 :: v_dual_bitop2_b32 v153, s15, v153 bitop3:0x14
	v_cmp_gt_i32_e64 s21, 0, v163
	v_xor_b32_e32 v157, s17, v157
	v_xor_b32_e32 v159, s19, v159
	s_delay_alu instid0(VALU_DEP_4) | instskip(SKIP_2) | instid1(VALU_DEP_2)
	v_xor_b32_e32 v158, s18, v158
	v_bitop3_b32 v61, v61, v153, exec_lo bitop3:0x80
	v_dual_ashrrev_i32 v153, 31, v161 :: v_dual_ashrrev_i32 v161, 31, v162
	v_bitop3_b32 v61, v61, v157, v154 bitop3:0x80
	v_mad_u32_u24 v154, v155, 36, v23
	s_delay_alu instid0(VALU_DEP_3) | instskip(NEXT) | instid1(VALU_DEP_4)
	v_xor_b32_e32 v157, s20, v153
	v_xor_b32_e32 v161, s21, v161
	v_mul_u32_u24_e32 v155, 36, v155
	v_bitop3_b32 v61, v61, v159, v158 bitop3:0x80
	ds_load_b32 v153, v154 offset:1056
	; wave barrier
	v_add_nc_u32_e32 v155, v23, v155
	v_bitop3_b32 v61, v61, v161, v157 bitop3:0x80
	s_delay_alu instid0(VALU_DEP_1) | instskip(SKIP_1) | instid1(VALU_DEP_2)
	v_mbcnt_lo_u32_b32 v154, v61, 0
	v_cmp_ne_u32_e64 s15, 0, v61
	v_cmp_eq_u32_e32 vcc_lo, 0, v154
	s_and_b32 s16, s15, vcc_lo
	s_delay_alu instid0(SALU_CYCLE_1)
	s_and_saveexec_b32 s15, s16
	s_cbranch_execz .LBB1833_432
; %bb.431:                              ;   in Loop: Header=BB1833_388 Depth=2
	s_wait_dscnt 0x0
	v_bcnt_u32_b32 v61, v61, v153
	ds_store_b32 v155, v61 offset:1056
.LBB1833_432:                           ;   in Loop: Header=BB1833_388 Depth=2
	s_or_b32 exec_lo, exec_lo, s15
	v_cmp_lt_i16_e64 vcc_lo, -1, v152
	; wave barrier
	s_delay_alu instid0(VALU_DEP_1) | instskip(NEXT) | instid1(VALU_DEP_1)
	v_cndmask_b32_e64 v61, -1, 0xffff8000, vcc_lo
	v_xor_b32_e32 v152, v61, v152
	s_delay_alu instid0(VALU_DEP_1) | instskip(SKIP_1) | instid1(VALU_DEP_1)
	v_cmp_ne_u16_e64 vcc_lo, 0x7fff, v152
	v_cndmask_b32_e32 v61, 0xffff8000, v152, vcc_lo
	v_and_b32_e32 v61, 0xffff, v61
	s_delay_alu instid0(VALU_DEP_1) | instskip(NEXT) | instid1(VALU_DEP_1)
	v_lshrrev_b32_e32 v61, s48, v61
	v_bitop3_b32 v157, v61, 1, s52 bitop3:0x80
	v_and_b32_e32 v159, s52, v61
	s_delay_alu instid0(VALU_DEP_2) | instskip(NEXT) | instid1(VALU_DEP_1)
	v_add_co_u32 v61, s15, v157, -1
	v_cndmask_b32_e64 v157, 0, 1, s15
	s_delay_alu instid0(VALU_DEP_3) | instskip(NEXT) | instid1(VALU_DEP_2)
	v_dual_lshlrev_b32 v158, 30, v159 :: v_dual_lshlrev_b32 v161, 29, v159
	v_cmp_ne_u32_e32 vcc_lo, 0, v157
	s_delay_alu instid0(VALU_DEP_2) | instskip(SKIP_1) | instid1(VALU_DEP_4)
	v_cmp_gt_i32_e64 s15, 0, v158
	v_not_b32_e32 v157, v158
	v_not_b32_e32 v158, v161
	s_delay_alu instid0(VALU_DEP_1) | instskip(SKIP_3) | instid1(VALU_DEP_4)
	v_dual_ashrrev_i32 v158, 31, v158 :: v_dual_lshlrev_b32 v162, 28, v159
	v_dual_lshlrev_b32 v163, 27, v159 :: v_dual_lshlrev_b32 v165, 26, v159
	v_dual_lshlrev_b32 v166, 25, v159 :: v_dual_lshlrev_b32 v167, 24, v159
	v_cmp_gt_i32_e64 s16, 0, v161
	v_cmp_gt_i32_e64 s17, 0, v162
	v_not_b32_e32 v161, v162
	v_not_b32_e32 v162, v163
	v_ashrrev_i32_e32 v157, 31, v157
	v_cmp_gt_i32_e64 s18, 0, v163
	v_cmp_gt_i32_e64 s19, 0, v165
	v_not_b32_e32 v163, v165
	v_cmp_gt_i32_e64 s20, 0, v166
	v_not_b32_e32 v165, v166
	v_not_b32_e32 v166, v167
	s_delay_alu instid0(VALU_DEP_4) | instskip(SKIP_3) | instid1(VALU_DEP_3)
	v_dual_ashrrev_i32 v163, 31, v163 :: v_dual_bitop2_b32 v61, vcc_lo, v61 bitop3:0x14
	v_dual_ashrrev_i32 v161, 31, v161 :: v_dual_bitop2_b32 v158, s16, v158 bitop3:0x14
	v_dual_ashrrev_i32 v162, 31, v162 :: v_dual_bitop2_b32 v157, s15, v157 bitop3:0x14
	v_cmp_gt_i32_e64 s21, 0, v167
	v_xor_b32_e32 v161, s17, v161
	v_xor_b32_e32 v163, s19, v163
	s_delay_alu instid0(VALU_DEP_4) | instskip(SKIP_2) | instid1(VALU_DEP_2)
	v_xor_b32_e32 v162, s18, v162
	v_bitop3_b32 v61, v61, v157, exec_lo bitop3:0x80
	v_dual_ashrrev_i32 v157, 31, v165 :: v_dual_ashrrev_i32 v165, 31, v166
	v_bitop3_b32 v61, v61, v161, v158 bitop3:0x80
	v_mad_u32_u24 v158, v159, 36, v23
	s_delay_alu instid0(VALU_DEP_3) | instskip(NEXT) | instid1(VALU_DEP_4)
	v_xor_b32_e32 v161, s20, v157
	v_xor_b32_e32 v165, s21, v165
	v_mul_u32_u24_e32 v159, 36, v159
	v_bitop3_b32 v61, v61, v163, v162 bitop3:0x80
	ds_load_b32 v157, v158 offset:1056
	; wave barrier
	v_add_nc_u32_e32 v159, v23, v159
	v_bitop3_b32 v61, v61, v165, v161 bitop3:0x80
	s_delay_alu instid0(VALU_DEP_1) | instskip(SKIP_1) | instid1(VALU_DEP_2)
	v_mbcnt_lo_u32_b32 v158, v61, 0
	v_cmp_ne_u32_e64 s15, 0, v61
	v_cmp_eq_u32_e32 vcc_lo, 0, v158
	s_and_b32 s16, s15, vcc_lo
	s_delay_alu instid0(SALU_CYCLE_1)
	s_and_saveexec_b32 s15, s16
	s_cbranch_execz .LBB1833_434
; %bb.433:                              ;   in Loop: Header=BB1833_388 Depth=2
	s_wait_dscnt 0x0
	v_bcnt_u32_b32 v61, v61, v157
	ds_store_b32 v159, v61 offset:1056
.LBB1833_434:                           ;   in Loop: Header=BB1833_388 Depth=2
	s_or_b32 exec_lo, exec_lo, s15
	v_cmp_lt_i16_e64 vcc_lo, -1, v156
	; wave barrier
	s_delay_alu instid0(VALU_DEP_1) | instskip(NEXT) | instid1(VALU_DEP_1)
	v_cndmask_b32_e64 v61, -1, 0xffff8000, vcc_lo
	v_xor_b32_e32 v156, v61, v156
	s_delay_alu instid0(VALU_DEP_1) | instskip(SKIP_1) | instid1(VALU_DEP_1)
	v_cmp_ne_u16_e64 vcc_lo, 0x7fff, v156
	v_cndmask_b32_e32 v61, 0xffff8000, v156, vcc_lo
	v_and_b32_e32 v61, 0xffff, v61
	s_delay_alu instid0(VALU_DEP_1) | instskip(NEXT) | instid1(VALU_DEP_1)
	v_lshrrev_b32_e32 v61, s48, v61
	v_bitop3_b32 v161, v61, 1, s52 bitop3:0x80
	v_and_b32_e32 v163, s52, v61
	s_delay_alu instid0(VALU_DEP_2) | instskip(NEXT) | instid1(VALU_DEP_1)
	v_add_co_u32 v61, s15, v161, -1
	v_cndmask_b32_e64 v161, 0, 1, s15
	s_delay_alu instid0(VALU_DEP_3) | instskip(NEXT) | instid1(VALU_DEP_2)
	v_dual_lshlrev_b32 v162, 30, v163 :: v_dual_lshlrev_b32 v165, 29, v163
	v_cmp_ne_u32_e32 vcc_lo, 0, v161
	s_delay_alu instid0(VALU_DEP_2) | instskip(SKIP_1) | instid1(VALU_DEP_4)
	v_cmp_gt_i32_e64 s15, 0, v162
	v_not_b32_e32 v161, v162
	v_not_b32_e32 v162, v165
	s_delay_alu instid0(VALU_DEP_1) | instskip(SKIP_3) | instid1(VALU_DEP_4)
	v_dual_ashrrev_i32 v162, 31, v162 :: v_dual_lshlrev_b32 v166, 28, v163
	v_dual_lshlrev_b32 v167, 27, v163 :: v_dual_lshlrev_b32 v169, 26, v163
	v_dual_lshlrev_b32 v170, 25, v163 :: v_dual_lshlrev_b32 v171, 24, v163
	v_cmp_gt_i32_e64 s16, 0, v165
	v_cmp_gt_i32_e64 s17, 0, v166
	v_not_b32_e32 v165, v166
	v_not_b32_e32 v166, v167
	v_ashrrev_i32_e32 v161, 31, v161
	v_cmp_gt_i32_e64 s18, 0, v167
	v_cmp_gt_i32_e64 s19, 0, v169
	v_not_b32_e32 v167, v169
	v_cmp_gt_i32_e64 s20, 0, v170
	v_not_b32_e32 v169, v170
	v_not_b32_e32 v170, v171
	s_delay_alu instid0(VALU_DEP_4) | instskip(SKIP_3) | instid1(VALU_DEP_3)
	v_dual_ashrrev_i32 v167, 31, v167 :: v_dual_bitop2_b32 v61, vcc_lo, v61 bitop3:0x14
	v_dual_ashrrev_i32 v165, 31, v165 :: v_dual_bitop2_b32 v162, s16, v162 bitop3:0x14
	v_dual_ashrrev_i32 v166, 31, v166 :: v_dual_bitop2_b32 v161, s15, v161 bitop3:0x14
	v_cmp_gt_i32_e64 s21, 0, v171
	v_xor_b32_e32 v165, s17, v165
	v_xor_b32_e32 v167, s19, v167
	s_delay_alu instid0(VALU_DEP_4) | instskip(SKIP_2) | instid1(VALU_DEP_2)
	v_xor_b32_e32 v166, s18, v166
	v_bitop3_b32 v61, v61, v161, exec_lo bitop3:0x80
	v_dual_ashrrev_i32 v161, 31, v169 :: v_dual_ashrrev_i32 v169, 31, v170
	v_bitop3_b32 v61, v61, v165, v162 bitop3:0x80
	v_mad_u32_u24 v162, v163, 36, v23
	s_delay_alu instid0(VALU_DEP_3) | instskip(NEXT) | instid1(VALU_DEP_4)
	v_xor_b32_e32 v165, s20, v161
	v_xor_b32_e32 v169, s21, v169
	v_mul_u32_u24_e32 v163, 36, v163
	v_bitop3_b32 v61, v61, v167, v166 bitop3:0x80
	ds_load_b32 v161, v162 offset:1056
	; wave barrier
	v_add_nc_u32_e32 v163, v23, v163
	v_bitop3_b32 v61, v61, v169, v165 bitop3:0x80
	s_delay_alu instid0(VALU_DEP_1) | instskip(SKIP_1) | instid1(VALU_DEP_2)
	v_mbcnt_lo_u32_b32 v162, v61, 0
	v_cmp_ne_u32_e64 s15, 0, v61
	v_cmp_eq_u32_e32 vcc_lo, 0, v162
	s_and_b32 s16, s15, vcc_lo
	s_delay_alu instid0(SALU_CYCLE_1)
	s_and_saveexec_b32 s15, s16
	s_cbranch_execz .LBB1833_436
; %bb.435:                              ;   in Loop: Header=BB1833_388 Depth=2
	s_wait_dscnt 0x0
	v_bcnt_u32_b32 v61, v61, v161
	ds_store_b32 v163, v61 offset:1056
.LBB1833_436:                           ;   in Loop: Header=BB1833_388 Depth=2
	s_or_b32 exec_lo, exec_lo, s15
	v_cmp_lt_i16_e64 vcc_lo, -1, v160
	; wave barrier
	s_delay_alu instid0(VALU_DEP_1) | instskip(NEXT) | instid1(VALU_DEP_1)
	v_cndmask_b32_e64 v61, -1, 0xffff8000, vcc_lo
	v_xor_b32_e32 v160, v61, v160
	s_delay_alu instid0(VALU_DEP_1) | instskip(SKIP_1) | instid1(VALU_DEP_1)
	v_cmp_ne_u16_e64 vcc_lo, 0x7fff, v160
	v_cndmask_b32_e32 v61, 0xffff8000, v160, vcc_lo
	v_and_b32_e32 v61, 0xffff, v61
	s_delay_alu instid0(VALU_DEP_1) | instskip(NEXT) | instid1(VALU_DEP_1)
	v_lshrrev_b32_e32 v61, s48, v61
	v_bitop3_b32 v165, v61, 1, s52 bitop3:0x80
	v_and_b32_e32 v167, s52, v61
	s_delay_alu instid0(VALU_DEP_2) | instskip(NEXT) | instid1(VALU_DEP_1)
	v_add_co_u32 v61, s15, v165, -1
	v_cndmask_b32_e64 v165, 0, 1, s15
	s_delay_alu instid0(VALU_DEP_3) | instskip(NEXT) | instid1(VALU_DEP_2)
	v_dual_lshlrev_b32 v166, 30, v167 :: v_dual_lshlrev_b32 v169, 29, v167
	v_cmp_ne_u32_e32 vcc_lo, 0, v165
	s_delay_alu instid0(VALU_DEP_2) | instskip(SKIP_1) | instid1(VALU_DEP_4)
	v_cmp_gt_i32_e64 s15, 0, v166
	v_not_b32_e32 v165, v166
	v_not_b32_e32 v166, v169
	s_delay_alu instid0(VALU_DEP_1) | instskip(SKIP_3) | instid1(VALU_DEP_4)
	v_dual_ashrrev_i32 v166, 31, v166 :: v_dual_lshlrev_b32 v170, 28, v167
	v_dual_lshlrev_b32 v171, 27, v167 :: v_dual_lshlrev_b32 v172, 26, v167
	v_cmp_gt_i32_e64 s16, 0, v169
	v_dual_lshlrev_b32 v173, 25, v167 :: v_dual_lshlrev_b32 v174, 24, v167
	v_cmp_gt_i32_e64 s17, 0, v170
	v_not_b32_e32 v169, v170
	v_not_b32_e32 v170, v171
	v_ashrrev_i32_e32 v165, 31, v165
	v_cmp_gt_i32_e64 s18, 0, v171
	v_not_b32_e32 v171, v172
	v_xor_b32_e32 v61, vcc_lo, v61
	v_dual_ashrrev_i32 v169, 31, v169 :: v_dual_bitop2_b32 v166, s16, v166 bitop3:0x14
	v_dual_ashrrev_i32 v170, 31, v170 :: v_dual_bitop2_b32 v165, s15, v165 bitop3:0x14
	v_cmp_gt_i32_e64 s19, 0, v172
	v_cmp_gt_i32_e64 s20, 0, v173
	v_not_b32_e32 v172, v173
	v_not_b32_e32 v173, v174
	v_dual_ashrrev_i32 v171, 31, v171 :: v_dual_bitop2_b32 v169, s17, v169 bitop3:0x14
	v_bitop3_b32 v61, v61, v165, exec_lo bitop3:0x80
	v_cmp_gt_i32_e64 s21, 0, v174
	s_delay_alu instid0(VALU_DEP_4)
	v_dual_ashrrev_i32 v165, 31, v172 :: v_dual_ashrrev_i32 v172, 31, v173
	v_xor_b32_e32 v170, s18, v170
	v_xor_b32_e32 v171, s19, v171
	v_bitop3_b32 v61, v61, v169, v166 bitop3:0x80
	v_mad_u32_u24 v166, v167, 36, v23
	v_xor_b32_e32 v169, s20, v165
	v_xor_b32_e32 v172, s21, v172
	v_mul_u32_u24_e32 v167, 36, v167
	v_bitop3_b32 v61, v61, v171, v170 bitop3:0x80
	ds_load_b32 v165, v166 offset:1056
	; wave barrier
	v_add_nc_u32_e32 v167, v23, v167
	v_bitop3_b32 v61, v61, v172, v169 bitop3:0x80
	s_delay_alu instid0(VALU_DEP_1) | instskip(SKIP_1) | instid1(VALU_DEP_2)
	v_mbcnt_lo_u32_b32 v166, v61, 0
	v_cmp_ne_u32_e64 s15, 0, v61
	v_cmp_eq_u32_e32 vcc_lo, 0, v166
	s_and_b32 s16, s15, vcc_lo
	s_delay_alu instid0(SALU_CYCLE_1)
	s_and_saveexec_b32 s15, s16
	s_cbranch_execz .LBB1833_438
; %bb.437:                              ;   in Loop: Header=BB1833_388 Depth=2
	s_wait_dscnt 0x0
	v_bcnt_u32_b32 v61, v61, v165
	ds_store_b32 v167, v61 offset:1056
.LBB1833_438:                           ;   in Loop: Header=BB1833_388 Depth=2
	s_or_b32 exec_lo, exec_lo, s15
	v_cmp_lt_i16_e64 vcc_lo, -1, v164
	; wave barrier
	s_delay_alu instid0(VALU_DEP_1) | instskip(NEXT) | instid1(VALU_DEP_1)
	v_cndmask_b32_e64 v61, -1, 0xffff8000, vcc_lo
	v_xor_b32_e32 v164, v61, v164
	s_delay_alu instid0(VALU_DEP_1) | instskip(SKIP_1) | instid1(VALU_DEP_1)
	v_cmp_ne_u16_e64 vcc_lo, 0x7fff, v164
	v_cndmask_b32_e32 v61, 0xffff8000, v164, vcc_lo
	v_and_b32_e32 v61, 0xffff, v61
	s_delay_alu instid0(VALU_DEP_1) | instskip(NEXT) | instid1(VALU_DEP_1)
	v_lshrrev_b32_e32 v61, s48, v61
	v_bitop3_b32 v169, v61, 1, s52 bitop3:0x80
	v_and_b32_e32 v171, s52, v61
	s_delay_alu instid0(VALU_DEP_2) | instskip(NEXT) | instid1(VALU_DEP_1)
	v_add_co_u32 v61, s15, v169, -1
	v_cndmask_b32_e64 v169, 0, 1, s15
	s_delay_alu instid0(VALU_DEP_3) | instskip(NEXT) | instid1(VALU_DEP_2)
	v_dual_lshlrev_b32 v170, 30, v171 :: v_dual_lshlrev_b32 v172, 29, v171
	v_cmp_ne_u32_e32 vcc_lo, 0, v169
	s_delay_alu instid0(VALU_DEP_2) | instskip(SKIP_1) | instid1(VALU_DEP_4)
	v_cmp_gt_i32_e64 s15, 0, v170
	v_not_b32_e32 v169, v170
	v_not_b32_e32 v170, v172
	s_delay_alu instid0(VALU_DEP_1) | instskip(SKIP_3) | instid1(VALU_DEP_4)
	v_dual_ashrrev_i32 v170, 31, v170 :: v_dual_lshlrev_b32 v173, 28, v171
	v_dual_lshlrev_b32 v174, 27, v171 :: v_dual_lshlrev_b32 v175, 26, v171
	v_dual_lshlrev_b32 v176, 25, v171 :: v_dual_lshlrev_b32 v177, 24, v171
	v_cmp_gt_i32_e64 s16, 0, v172
	v_not_b32_e32 v172, v173
	v_ashrrev_i32_e32 v169, 31, v169
	v_cmp_gt_i32_e64 s17, 0, v173
	v_cmp_gt_i32_e64 s18, 0, v174
	v_not_b32_e32 v173, v174
	v_cmp_gt_i32_e64 s19, 0, v175
	v_not_b32_e32 v174, v175
	;; [unrolled: 2-line block ×3, first 2 shown]
	v_not_b32_e32 v176, v177
	s_delay_alu instid0(VALU_DEP_4) | instskip(SKIP_3) | instid1(VALU_DEP_3)
	v_dual_ashrrev_i32 v174, 31, v174 :: v_dual_bitop2_b32 v61, vcc_lo, v61 bitop3:0x14
	v_dual_ashrrev_i32 v172, 31, v172 :: v_dual_bitop2_b32 v169, s15, v169 bitop3:0x14
	v_dual_ashrrev_i32 v173, 31, v173 :: v_dual_bitop2_b32 v170, s16, v170 bitop3:0x14
	v_cmp_gt_i32_e64 s21, 0, v177
	v_xor_b32_e32 v172, s17, v172
	s_delay_alu instid0(VALU_DEP_4) | instskip(SKIP_2) | instid1(VALU_DEP_3)
	v_bitop3_b32 v61, v61, v169, exec_lo bitop3:0x80
	v_dual_ashrrev_i32 v169, 31, v175 :: v_dual_ashrrev_i32 v175, 31, v176
	v_xor_b32_e32 v174, s19, v174
	v_bitop3_b32 v61, v61, v172, v170 bitop3:0x80
	v_mad_u32_u24 v170, v171, 36, v23
	v_mul_u32_u24_e32 v171, 36, v171
	v_xor_b32_e32 v173, s18, v173
	v_xor_b32_e32 v172, s20, v169
	v_xor_b32_e32 v175, s21, v175
	ds_load_b32 v169, v170 offset:1056
	v_add_nc_u32_e32 v171, v23, v171
	v_bitop3_b32 v61, v61, v174, v173 bitop3:0x80
	; wave barrier
	s_delay_alu instid0(VALU_DEP_1) | instskip(NEXT) | instid1(VALU_DEP_1)
	v_bitop3_b32 v61, v61, v175, v172 bitop3:0x80
	v_mbcnt_lo_u32_b32 v170, v61, 0
	v_cmp_ne_u32_e64 s15, 0, v61
	s_delay_alu instid0(VALU_DEP_2) | instskip(SKIP_1) | instid1(SALU_CYCLE_1)
	v_cmp_eq_u32_e32 vcc_lo, 0, v170
	s_and_b32 s16, s15, vcc_lo
	s_and_saveexec_b32 s15, s16
	s_cbranch_execz .LBB1833_440
; %bb.439:                              ;   in Loop: Header=BB1833_388 Depth=2
	s_wait_dscnt 0x0
	v_bcnt_u32_b32 v61, v61, v169
	ds_store_b32 v171, v61 offset:1056
.LBB1833_440:                           ;   in Loop: Header=BB1833_388 Depth=2
	s_or_b32 exec_lo, exec_lo, s15
	v_cmp_lt_i16_e64 vcc_lo, -1, v168
	; wave barrier
	s_delay_alu instid0(VALU_DEP_1) | instskip(NEXT) | instid1(VALU_DEP_1)
	v_cndmask_b32_e64 v61, -1, 0xffff8000, vcc_lo
	v_xor_b32_e32 v168, v61, v168
	s_delay_alu instid0(VALU_DEP_1) | instskip(SKIP_1) | instid1(VALU_DEP_1)
	v_cmp_ne_u16_e64 vcc_lo, 0x7fff, v168
	v_cndmask_b32_e32 v61, 0xffff8000, v168, vcc_lo
	v_and_b32_e32 v61, 0xffff, v61
	s_delay_alu instid0(VALU_DEP_1) | instskip(NEXT) | instid1(VALU_DEP_1)
	v_lshrrev_b32_e32 v61, s48, v61
	v_bitop3_b32 v172, v61, 1, s52 bitop3:0x80
	v_and_b32_e32 v175, s52, v61
	s_delay_alu instid0(VALU_DEP_2) | instskip(NEXT) | instid1(VALU_DEP_1)
	v_add_co_u32 v61, s15, v172, -1
	v_cndmask_b32_e64 v172, 0, 1, s15
	s_delay_alu instid0(VALU_DEP_3) | instskip(NEXT) | instid1(VALU_DEP_2)
	v_lshlrev_b32_e32 v173, 30, v175
	v_cmp_ne_u32_e32 vcc_lo, 0, v172
	s_delay_alu instid0(VALU_DEP_2) | instskip(NEXT) | instid1(VALU_DEP_1)
	v_not_b32_e32 v172, v173
	v_dual_ashrrev_i32 v172, 31, v172 :: v_dual_lshlrev_b32 v174, 29, v175
	v_dual_lshlrev_b32 v176, 28, v175 :: v_dual_lshlrev_b32 v177, 27, v175
	v_lshlrev_b32_e32 v178, 26, v175
	v_cmp_gt_i32_e64 s15, 0, v173
	s_delay_alu instid0(VALU_DEP_4)
	v_cmp_gt_i32_e64 s16, 0, v174
	v_not_b32_e32 v173, v174
	v_not_b32_e32 v174, v176
	v_dual_lshlrev_b32 v179, 25, v175 :: v_dual_lshlrev_b32 v180, 24, v175
	v_cmp_gt_i32_e64 s17, 0, v176
	v_cmp_gt_i32_e64 s18, 0, v177
	v_not_b32_e32 v176, v177
	v_not_b32_e32 v177, v178
	v_dual_ashrrev_i32 v174, 31, v174 :: v_dual_bitop2_b32 v61, vcc_lo, v61 bitop3:0x14
	v_dual_ashrrev_i32 v173, 31, v173 :: v_dual_bitop2_b32 v172, s15, v172 bitop3:0x14
	v_cmp_gt_i32_e64 s19, 0, v178
	v_cmp_gt_i32_e64 s20, 0, v179
	v_not_b32_e32 v178, v179
	v_not_b32_e32 v179, v180
	v_dual_ashrrev_i32 v176, 31, v176 :: v_dual_ashrrev_i32 v177, 31, v177
	v_xor_b32_e32 v173, s16, v173
	v_xor_b32_e32 v174, s17, v174
	v_bitop3_b32 v61, v61, v172, exec_lo bitop3:0x80
	v_cmp_gt_i32_e64 s21, 0, v180
	v_dual_ashrrev_i32 v172, 31, v178 :: v_dual_ashrrev_i32 v178, 31, v179
	v_xor_b32_e32 v176, s18, v176
	v_xor_b32_e32 v177, s19, v177
	v_bitop3_b32 v61, v61, v174, v173 bitop3:0x80
	v_mad_u32_u24 v173, v175, 36, v23
	v_xor_b32_e32 v172, s20, v172
	v_xor_b32_e32 v174, s21, v178
	s_delay_alu instid0(VALU_DEP_4) | instskip(SKIP_3) | instid1(VALU_DEP_2)
	v_bitop3_b32 v61, v61, v177, v176 bitop3:0x80
	ds_load_b32 v173, v173 offset:1056
	; wave barrier
	v_bitop3_b32 v61, v61, v174, v172 bitop3:0x80
	v_mul_u32_u24_e32 v172, 36, v175
	v_mbcnt_lo_u32_b32 v174, v61, 0
	v_cmp_ne_u32_e64 s15, 0, v61
	s_delay_alu instid0(VALU_DEP_3) | instskip(NEXT) | instid1(VALU_DEP_3)
	v_add_nc_u32_e32 v175, v23, v172
	v_cmp_eq_u32_e32 vcc_lo, 0, v174
	s_and_b32 s16, s15, vcc_lo
	s_delay_alu instid0(SALU_CYCLE_1)
	s_and_saveexec_b32 s15, s16
	s_cbranch_execz .LBB1833_442
; %bb.441:                              ;   in Loop: Header=BB1833_388 Depth=2
	s_wait_dscnt 0x0
	v_bcnt_u32_b32 v61, v61, v173
	ds_store_b32 v175, v61 offset:1056
.LBB1833_442:                           ;   in Loop: Header=BB1833_388 Depth=2
	s_or_b32 exec_lo, exec_lo, s15
	v_cmp_lt_i16_e32 vcc_lo, -1, v67
	; wave barrier
	v_cndmask_b32_e64 v61, -1, 0xffff8000, vcc_lo
	s_delay_alu instid0(VALU_DEP_1) | instskip(NEXT) | instid1(VALU_DEP_1)
	v_xor_b32_e32 v172, v61, v67
	v_cmp_ne_u16_e64 vcc_lo, 0x7fff, v172
	v_cndmask_b32_e32 v61, 0xffff8000, v172, vcc_lo
	s_delay_alu instid0(VALU_DEP_1) | instskip(NEXT) | instid1(VALU_DEP_1)
	v_and_b32_e32 v61, 0xffff, v61
	v_lshrrev_b32_e32 v61, s48, v61
	s_delay_alu instid0(VALU_DEP_1) | instskip(SKIP_1) | instid1(VALU_DEP_2)
	v_bitop3_b32 v67, v61, 1, s52 bitop3:0x80
	v_and_b32_e32 v176, s52, v61
	v_add_co_u32 v61, s15, v67, -1
	s_delay_alu instid0(VALU_DEP_1) | instskip(NEXT) | instid1(VALU_DEP_3)
	v_cndmask_b32_e64 v67, 0, 1, s15
	v_lshlrev_b32_e32 v177, 30, v176
	s_delay_alu instid0(VALU_DEP_2) | instskip(NEXT) | instid1(VALU_DEP_2)
	v_cmp_ne_u32_e32 vcc_lo, 0, v67
	v_not_b32_e32 v67, v177
	s_delay_alu instid0(VALU_DEP_1) | instskip(SKIP_4) | instid1(VALU_DEP_4)
	v_dual_ashrrev_i32 v67, 31, v67 :: v_dual_bitop2_b32 v61, vcc_lo, v61 bitop3:0x14
	v_dual_lshlrev_b32 v178, 29, v176 :: v_dual_lshlrev_b32 v179, 28, v176
	v_dual_lshlrev_b32 v180, 27, v176 :: v_dual_lshlrev_b32 v181, 26, v176
	v_lshlrev_b32_e32 v182, 25, v176
	v_cmp_gt_i32_e64 s15, 0, v177
	v_cmp_gt_i32_e64 s16, 0, v178
	v_not_b32_e32 v177, v178
	v_not_b32_e32 v178, v179
	v_lshlrev_b32_e32 v183, 24, v176
	v_cmp_gt_i32_e64 s17, 0, v179
	v_cmp_gt_i32_e64 s18, 0, v180
	v_not_b32_e32 v179, v180
	v_not_b32_e32 v180, v181
	v_dual_ashrrev_i32 v177, 31, v177 :: v_dual_bitop2_b32 v67, s15, v67 bitop3:0x14
	v_ashrrev_i32_e32 v178, 31, v178
	v_cmp_gt_i32_e64 s19, 0, v181
	v_cmp_gt_i32_e64 s20, 0, v182
	v_not_b32_e32 v181, v182
	v_not_b32_e32 v182, v183
	v_dual_ashrrev_i32 v179, 31, v179 :: v_dual_ashrrev_i32 v180, 31, v180
	v_xor_b32_e32 v177, s16, v177
	v_xor_b32_e32 v178, s17, v178
	v_bitop3_b32 v61, v61, v67, exec_lo bitop3:0x80
	v_cmp_gt_i32_e64 s21, 0, v183
	v_dual_ashrrev_i32 v67, 31, v181 :: v_dual_ashrrev_i32 v181, 31, v182
	v_xor_b32_e32 v179, s18, v179
	v_xor_b32_e32 v180, s19, v180
	v_bitop3_b32 v61, v61, v178, v177 bitop3:0x80
	v_mad_u32_u24 v177, v176, 36, v23
	v_xor_b32_e32 v67, s20, v67
	v_xor_b32_e32 v178, s21, v181
	s_delay_alu instid0(VALU_DEP_4) | instskip(SKIP_3) | instid1(VALU_DEP_2)
	v_bitop3_b32 v61, v61, v180, v179 bitop3:0x80
	ds_load_b32 v177, v177 offset:1056
	; wave barrier
	v_bitop3_b32 v61, v61, v178, v67 bitop3:0x80
	v_mul_u32_u24_e32 v67, 36, v176
	v_mbcnt_lo_u32_b32 v178, v61, 0
	v_cmp_ne_u32_e64 s15, 0, v61
	s_delay_alu instid0(VALU_DEP_3) | instskip(NEXT) | instid1(VALU_DEP_3)
	v_add_nc_u32_e32 v179, v23, v67
	v_cmp_eq_u32_e32 vcc_lo, 0, v178
	s_and_b32 s16, s15, vcc_lo
	s_delay_alu instid0(SALU_CYCLE_1)
	s_and_saveexec_b32 s15, s16
	s_cbranch_execz .LBB1833_444
; %bb.443:                              ;   in Loop: Header=BB1833_388 Depth=2
	s_wait_dscnt 0x0
	v_bcnt_u32_b32 v61, v61, v177
	ds_store_b32 v179, v61 offset:1056
.LBB1833_444:                           ;   in Loop: Header=BB1833_388 Depth=2
	s_or_b32 exec_lo, exec_lo, s15
	v_cmp_lt_i16_e32 vcc_lo, -1, v66
	; wave barrier
	v_cndmask_b32_e64 v61, -1, 0xffff8000, vcc_lo
	s_delay_alu instid0(VALU_DEP_1) | instskip(NEXT) | instid1(VALU_DEP_1)
	v_xor_b32_e32 v176, v61, v66
	v_cmp_ne_u16_e64 vcc_lo, 0x7fff, v176
	v_cndmask_b32_e32 v61, 0xffff8000, v176, vcc_lo
	s_delay_alu instid0(VALU_DEP_1) | instskip(NEXT) | instid1(VALU_DEP_1)
	v_and_b32_e32 v61, 0xffff, v61
	v_lshrrev_b32_e32 v61, s48, v61
	s_delay_alu instid0(VALU_DEP_1) | instskip(SKIP_1) | instid1(VALU_DEP_2)
	v_bitop3_b32 v66, v61, 1, s52 bitop3:0x80
	v_and_b32_e32 v67, s52, v61
	v_add_co_u32 v61, s15, v66, -1
	s_delay_alu instid0(VALU_DEP_1) | instskip(NEXT) | instid1(VALU_DEP_3)
	v_cndmask_b32_e64 v66, 0, 1, s15
	v_lshlrev_b32_e32 v180, 30, v67
	s_delay_alu instid0(VALU_DEP_2) | instskip(NEXT) | instid1(VALU_DEP_2)
	v_cmp_ne_u32_e32 vcc_lo, 0, v66
	v_not_b32_e32 v66, v180
	v_cmp_gt_i32_e64 s15, 0, v180
	s_delay_alu instid0(VALU_DEP_2) | instskip(SKIP_3) | instid1(VALU_DEP_4)
	v_dual_ashrrev_i32 v66, 31, v66 :: v_dual_lshlrev_b32 v181, 29, v67
	v_dual_lshlrev_b32 v182, 28, v67 :: v_dual_lshlrev_b32 v183, 27, v67
	v_dual_lshlrev_b32 v184, 26, v67 :: v_dual_lshlrev_b32 v185, 25, v67
	v_lshlrev_b32_e32 v186, 24, v67
	v_cmp_gt_i32_e64 s16, 0, v181
	v_not_b32_e32 v180, v181
	v_not_b32_e32 v181, v182
	v_cmp_gt_i32_e64 s17, 0, v182
	v_cmp_gt_i32_e64 s18, 0, v183
	v_not_b32_e32 v182, v183
	v_not_b32_e32 v183, v184
	v_dual_ashrrev_i32 v180, 31, v180 :: v_dual_bitop2_b32 v61, vcc_lo, v61 bitop3:0x14
	v_dual_ashrrev_i32 v181, 31, v181 :: v_dual_bitop2_b32 v66, s15, v66 bitop3:0x14
	v_cmp_gt_i32_e64 s19, 0, v184
	v_cmp_gt_i32_e64 s20, 0, v185
	v_not_b32_e32 v184, v185
	v_not_b32_e32 v185, v186
	v_dual_ashrrev_i32 v182, 31, v182 :: v_dual_ashrrev_i32 v183, 31, v183
	v_xor_b32_e32 v180, s16, v180
	v_xor_b32_e32 v181, s17, v181
	v_bitop3_b32 v61, v61, v66, exec_lo bitop3:0x80
	v_cmp_gt_i32_e64 s21, 0, v186
	v_dual_ashrrev_i32 v66, 31, v184 :: v_dual_ashrrev_i32 v184, 31, v185
	v_xor_b32_e32 v182, s18, v182
	v_xor_b32_e32 v183, s19, v183
	v_bitop3_b32 v61, v61, v181, v180 bitop3:0x80
	v_mad_u32_u24 v180, v67, 36, v23
	v_xor_b32_e32 v66, s20, v66
	v_xor_b32_e32 v184, s21, v184
	s_delay_alu instid0(VALU_DEP_4) | instskip(SKIP_3) | instid1(VALU_DEP_2)
	v_bitop3_b32 v61, v61, v183, v182 bitop3:0x80
	ds_load_b32 v181, v180 offset:1056
	; wave barrier
	v_bitop3_b32 v61, v61, v184, v66 bitop3:0x80
	v_mul_u32_u24_e32 v66, 36, v67
	v_mbcnt_lo_u32_b32 v182, v61, 0
	v_cmp_ne_u32_e64 s15, 0, v61
	s_delay_alu instid0(VALU_DEP_3) | instskip(NEXT) | instid1(VALU_DEP_3)
	v_add_nc_u32_e32 v183, v23, v66
	v_cmp_eq_u32_e32 vcc_lo, 0, v182
	s_and_b32 s16, s15, vcc_lo
	s_delay_alu instid0(SALU_CYCLE_1)
	s_and_saveexec_b32 s15, s16
	s_cbranch_execz .LBB1833_446
; %bb.445:                              ;   in Loop: Header=BB1833_388 Depth=2
	s_wait_dscnt 0x0
	v_bcnt_u32_b32 v61, v61, v181
	ds_store_b32 v183, v61 offset:1056
.LBB1833_446:                           ;   in Loop: Header=BB1833_388 Depth=2
	s_or_b32 exec_lo, exec_lo, s15
	v_cmp_lt_i16_e32 vcc_lo, -1, v65
	; wave barrier
	v_cndmask_b32_e64 v61, -1, 0xffff8000, vcc_lo
	s_delay_alu instid0(VALU_DEP_1) | instskip(NEXT) | instid1(VALU_DEP_1)
	v_xor_b32_e32 v180, v61, v65
	v_cmp_ne_u16_e64 vcc_lo, 0x7fff, v180
	v_cndmask_b32_e32 v61, 0xffff8000, v180, vcc_lo
	s_delay_alu instid0(VALU_DEP_1) | instskip(NEXT) | instid1(VALU_DEP_1)
	v_and_b32_e32 v61, 0xffff, v61
	v_lshrrev_b32_e32 v61, s48, v61
	s_delay_alu instid0(VALU_DEP_1) | instskip(NEXT) | instid1(VALU_DEP_1)
	v_and_b32_e32 v66, s52, v61
	v_lshlrev_b32_e32 v185, 28, v66
	v_bitop3_b32 v65, v61, 1, s52 bitop3:0x80
	v_dual_lshlrev_b32 v67, 30, v66 :: v_dual_lshlrev_b32 v184, 29, v66
	s_delay_alu instid0(VALU_DEP_3) | instskip(NEXT) | instid1(VALU_DEP_3)
	v_cmp_gt_i32_e64 s17, 0, v185
	v_add_co_u32 v61, s15, v65, -1
	s_delay_alu instid0(VALU_DEP_1) | instskip(NEXT) | instid1(VALU_DEP_4)
	v_cndmask_b32_e64 v65, 0, 1, s15
	v_cmp_gt_i32_e64 s15, 0, v67
	v_cmp_gt_i32_e64 s16, 0, v184
	s_delay_alu instid0(VALU_DEP_3) | instskip(SKIP_3) | instid1(VALU_DEP_2)
	v_cmp_ne_u32_e32 vcc_lo, 0, v65
	v_not_b32_e32 v65, v67
	v_not_b32_e32 v67, v184
	;; [unrolled: 1-line block ×3, first 2 shown]
	v_dual_ashrrev_i32 v65, 31, v65 :: v_dual_ashrrev_i32 v67, 31, v67
	v_dual_lshlrev_b32 v186, 27, v66 :: v_dual_lshlrev_b32 v187, 26, v66
	v_dual_lshlrev_b32 v188, 25, v66 :: v_dual_lshlrev_b32 v189, 24, v66
	s_delay_alu instid0(VALU_DEP_4) | instskip(NEXT) | instid1(VALU_DEP_3)
	v_ashrrev_i32_e32 v184, 31, v184
	v_cmp_gt_i32_e64 s18, 0, v186
	v_not_b32_e32 v185, v186
	v_cmp_gt_i32_e64 s19, 0, v187
	v_not_b32_e32 v186, v187
	;; [unrolled: 2-line block ×3, first 2 shown]
	v_not_b32_e32 v188, v189
	s_delay_alu instid0(VALU_DEP_4) | instskip(SKIP_4) | instid1(VALU_DEP_4)
	v_dual_ashrrev_i32 v186, 31, v186 :: v_dual_bitop2_b32 v61, vcc_lo, v61 bitop3:0x14
	v_xor_b32_e32 v65, s15, v65
	v_dual_ashrrev_i32 v185, 31, v185 :: v_dual_bitop2_b32 v67, s16, v67 bitop3:0x14
	v_xor_b32_e32 v184, s17, v184
	v_cmp_gt_i32_e64 s21, 0, v189
	v_bitop3_b32 v61, v61, v65, exec_lo bitop3:0x80
	v_dual_ashrrev_i32 v65, 31, v187 :: v_dual_ashrrev_i32 v187, 31, v188
	v_xor_b32_e32 v185, s18, v185
	v_xor_b32_e32 v186, s19, v186
	s_delay_alu instid0(VALU_DEP_4) | instskip(SKIP_3) | instid1(VALU_DEP_4)
	v_bitop3_b32 v61, v61, v184, v67 bitop3:0x80
	v_mad_u32_u24 v67, v66, 36, v23
	v_xor_b32_e32 v65, s20, v65
	v_xor_b32_e32 v184, s21, v187
	v_bitop3_b32 v61, v61, v186, v185 bitop3:0x80
	ds_load_b32 v185, v67 offset:1056
	; wave barrier
	v_bitop3_b32 v61, v61, v184, v65 bitop3:0x80
	v_mul_u32_u24_e32 v65, 36, v66
	s_delay_alu instid0(VALU_DEP_2) | instskip(SKIP_1) | instid1(VALU_DEP_3)
	v_mbcnt_lo_u32_b32 v186, v61, 0
	v_cmp_ne_u32_e64 s15, 0, v61
	v_add_nc_u32_e32 v187, v23, v65
	s_delay_alu instid0(VALU_DEP_3) | instskip(SKIP_1) | instid1(SALU_CYCLE_1)
	v_cmp_eq_u32_e32 vcc_lo, 0, v186
	s_and_b32 s16, s15, vcc_lo
	s_and_saveexec_b32 s15, s16
	s_cbranch_execz .LBB1833_448
; %bb.447:                              ;   in Loop: Header=BB1833_388 Depth=2
	s_wait_dscnt 0x0
	v_bcnt_u32_b32 v61, v61, v185
	ds_store_b32 v187, v61 offset:1056
.LBB1833_448:                           ;   in Loop: Header=BB1833_388 Depth=2
	s_or_b32 exec_lo, exec_lo, s15
	v_cmp_lt_i16_e32 vcc_lo, -1, v64
	; wave barrier
	v_cndmask_b32_e64 v61, -1, 0xffff8000, vcc_lo
	s_delay_alu instid0(VALU_DEP_1) | instskip(NEXT) | instid1(VALU_DEP_1)
	v_xor_b32_e32 v184, v61, v64
	v_cmp_ne_u16_e64 vcc_lo, 0x7fff, v184
	v_cndmask_b32_e32 v61, 0xffff8000, v184, vcc_lo
	s_delay_alu instid0(VALU_DEP_1) | instskip(NEXT) | instid1(VALU_DEP_1)
	v_and_b32_e32 v61, 0xffff, v61
	v_lshrrev_b32_e32 v61, s48, v61
	s_delay_alu instid0(VALU_DEP_1) | instskip(SKIP_1) | instid1(VALU_DEP_2)
	v_bitop3_b32 v64, v61, 1, s52 bitop3:0x80
	v_and_b32_e32 v65, s52, v61
	v_add_co_u32 v61, s15, v64, -1
	s_delay_alu instid0(VALU_DEP_1) | instskip(NEXT) | instid1(VALU_DEP_3)
	v_cndmask_b32_e64 v64, 0, 1, s15
	v_lshlrev_b32_e32 v66, 30, v65
	s_delay_alu instid0(VALU_DEP_2) | instskip(NEXT) | instid1(VALU_DEP_2)
	v_cmp_ne_u32_e32 vcc_lo, 0, v64
	v_not_b32_e32 v64, v66
	v_cmp_gt_i32_e64 s15, 0, v66
	s_delay_alu instid0(VALU_DEP_2) | instskip(SKIP_3) | instid1(VALU_DEP_4)
	v_dual_ashrrev_i32 v64, 31, v64 :: v_dual_lshlrev_b32 v67, 29, v65
	v_dual_lshlrev_b32 v188, 28, v65 :: v_dual_lshlrev_b32 v189, 27, v65
	v_dual_lshlrev_b32 v190, 26, v65 :: v_dual_lshlrev_b32 v191, 25, v65
	v_lshlrev_b32_e32 v192, 24, v65
	v_cmp_gt_i32_e64 s16, 0, v67
	v_not_b32_e32 v66, v67
	v_not_b32_e32 v67, v188
	v_cmp_gt_i32_e64 s17, 0, v188
	v_cmp_gt_i32_e64 s18, 0, v189
	v_not_b32_e32 v188, v189
	v_not_b32_e32 v189, v190
	v_dual_ashrrev_i32 v66, 31, v66 :: v_dual_bitop2_b32 v61, vcc_lo, v61 bitop3:0x14
	v_dual_ashrrev_i32 v67, 31, v67 :: v_dual_bitop2_b32 v64, s15, v64 bitop3:0x14
	v_cmp_gt_i32_e64 s19, 0, v190
	v_cmp_gt_i32_e64 s20, 0, v191
	v_not_b32_e32 v190, v191
	v_not_b32_e32 v191, v192
	v_dual_ashrrev_i32 v188, 31, v188 :: v_dual_ashrrev_i32 v189, 31, v189
	v_xor_b32_e32 v66, s16, v66
	v_xor_b32_e32 v67, s17, v67
	v_bitop3_b32 v61, v61, v64, exec_lo bitop3:0x80
	v_cmp_gt_i32_e64 s21, 0, v192
	v_dual_ashrrev_i32 v64, 31, v190 :: v_dual_ashrrev_i32 v190, 31, v191
	v_xor_b32_e32 v188, s18, v188
	v_xor_b32_e32 v189, s19, v189
	v_bitop3_b32 v61, v61, v67, v66 bitop3:0x80
	v_mad_u32_u24 v66, v65, 36, v23
	v_xor_b32_e32 v64, s20, v64
	v_xor_b32_e32 v67, s21, v190
	s_delay_alu instid0(VALU_DEP_4) | instskip(SKIP_3) | instid1(VALU_DEP_2)
	v_bitop3_b32 v61, v61, v189, v188 bitop3:0x80
	ds_load_b32 v189, v66 offset:1056
	; wave barrier
	v_bitop3_b32 v61, v61, v67, v64 bitop3:0x80
	v_mul_u32_u24_e32 v64, 36, v65
	v_mbcnt_lo_u32_b32 v190, v61, 0
	v_cmp_ne_u32_e64 s15, 0, v61
	s_delay_alu instid0(VALU_DEP_3) | instskip(NEXT) | instid1(VALU_DEP_3)
	v_add_nc_u32_e32 v191, v23, v64
	v_cmp_eq_u32_e32 vcc_lo, 0, v190
	s_and_b32 s16, s15, vcc_lo
	s_delay_alu instid0(SALU_CYCLE_1)
	s_and_saveexec_b32 s15, s16
	s_cbranch_execz .LBB1833_450
; %bb.449:                              ;   in Loop: Header=BB1833_388 Depth=2
	s_wait_dscnt 0x0
	v_bcnt_u32_b32 v61, v61, v189
	ds_store_b32 v191, v61 offset:1056
.LBB1833_450:                           ;   in Loop: Header=BB1833_388 Depth=2
	s_or_b32 exec_lo, exec_lo, s15
	v_cmp_lt_i16_e32 vcc_lo, -1, v63
	; wave barrier
	v_cndmask_b32_e64 v61, -1, 0xffff8000, vcc_lo
	s_delay_alu instid0(VALU_DEP_1) | instskip(NEXT) | instid1(VALU_DEP_1)
	v_xor_b32_e32 v188, v61, v63
	v_cmp_ne_u16_e64 vcc_lo, 0x7fff, v188
	v_cndmask_b32_e32 v61, 0xffff8000, v188, vcc_lo
	s_delay_alu instid0(VALU_DEP_1) | instskip(NEXT) | instid1(VALU_DEP_1)
	v_and_b32_e32 v61, 0xffff, v61
	v_lshrrev_b32_e32 v61, s48, v61
	s_delay_alu instid0(VALU_DEP_1) | instskip(SKIP_1) | instid1(VALU_DEP_2)
	v_bitop3_b32 v63, v61, 1, s52 bitop3:0x80
	v_and_b32_e32 v64, s52, v61
	v_add_co_u32 v61, s15, v63, -1
	s_delay_alu instid0(VALU_DEP_1) | instskip(NEXT) | instid1(VALU_DEP_3)
	v_cndmask_b32_e64 v63, 0, 1, s15
	v_lshlrev_b32_e32 v65, 30, v64
	s_delay_alu instid0(VALU_DEP_2) | instskip(NEXT) | instid1(VALU_DEP_2)
	v_cmp_ne_u32_e32 vcc_lo, 0, v63
	v_not_b32_e32 v63, v65
	s_delay_alu instid0(VALU_DEP_1) | instskip(SKIP_4) | instid1(VALU_DEP_4)
	v_dual_ashrrev_i32 v63, 31, v63 :: v_dual_bitop2_b32 v61, vcc_lo, v61 bitop3:0x14
	v_dual_lshlrev_b32 v66, 29, v64 :: v_dual_lshlrev_b32 v67, 28, v64
	v_dual_lshlrev_b32 v192, 27, v64 :: v_dual_lshlrev_b32 v193, 26, v64
	v_lshlrev_b32_e32 v194, 25, v64
	v_cmp_gt_i32_e64 s15, 0, v65
	v_cmp_gt_i32_e64 s16, 0, v66
	v_not_b32_e32 v65, v66
	v_not_b32_e32 v66, v67
	v_lshlrev_b32_e32 v195, 24, v64
	v_cmp_gt_i32_e64 s17, 0, v67
	v_cmp_gt_i32_e64 s18, 0, v192
	v_not_b32_e32 v67, v192
	v_not_b32_e32 v192, v193
	v_dual_ashrrev_i32 v65, 31, v65 :: v_dual_bitop2_b32 v63, s15, v63 bitop3:0x14
	v_ashrrev_i32_e32 v66, 31, v66
	v_cmp_gt_i32_e64 s19, 0, v193
	v_cmp_gt_i32_e64 s20, 0, v194
	v_not_b32_e32 v193, v194
	v_not_b32_e32 v194, v195
	v_dual_ashrrev_i32 v67, 31, v67 :: v_dual_ashrrev_i32 v192, 31, v192
	v_xor_b32_e32 v65, s16, v65
	v_xor_b32_e32 v66, s17, v66
	v_bitop3_b32 v61, v61, v63, exec_lo bitop3:0x80
	v_cmp_gt_i32_e64 s21, 0, v195
	v_dual_ashrrev_i32 v63, 31, v193 :: v_dual_ashrrev_i32 v193, 31, v194
	v_xor_b32_e32 v67, s18, v67
	v_xor_b32_e32 v192, s19, v192
	v_bitop3_b32 v61, v61, v66, v65 bitop3:0x80
	v_mad_u32_u24 v65, v64, 36, v23
	v_xor_b32_e32 v63, s20, v63
	v_xor_b32_e32 v66, s21, v193
	s_delay_alu instid0(VALU_DEP_4) | instskip(SKIP_3) | instid1(VALU_DEP_2)
	v_bitop3_b32 v61, v61, v192, v67 bitop3:0x80
	ds_load_b32 v193, v65 offset:1056
	; wave barrier
	v_bitop3_b32 v61, v61, v66, v63 bitop3:0x80
	v_mul_u32_u24_e32 v63, 36, v64
	v_mbcnt_lo_u32_b32 v194, v61, 0
	v_cmp_ne_u32_e64 s15, 0, v61
	s_delay_alu instid0(VALU_DEP_3) | instskip(NEXT) | instid1(VALU_DEP_3)
	v_add_nc_u32_e32 v195, v23, v63
	v_cmp_eq_u32_e32 vcc_lo, 0, v194
	s_and_b32 s16, s15, vcc_lo
	s_delay_alu instid0(SALU_CYCLE_1)
	s_and_saveexec_b32 s15, s16
	s_cbranch_execz .LBB1833_452
; %bb.451:                              ;   in Loop: Header=BB1833_388 Depth=2
	s_wait_dscnt 0x0
	v_bcnt_u32_b32 v61, v61, v193
	ds_store_b32 v195, v61 offset:1056
.LBB1833_452:                           ;   in Loop: Header=BB1833_388 Depth=2
	s_or_b32 exec_lo, exec_lo, s15
	v_cmp_lt_i16_e32 vcc_lo, -1, v62
	; wave barrier
	v_cndmask_b32_e64 v61, -1, 0xffff8000, vcc_lo
	s_delay_alu instid0(VALU_DEP_1) | instskip(NEXT) | instid1(VALU_DEP_1)
	v_xor_b32_e32 v192, v61, v62
	v_cmp_ne_u16_e64 vcc_lo, 0x7fff, v192
	v_cndmask_b32_e32 v61, 0xffff8000, v192, vcc_lo
	s_delay_alu instid0(VALU_DEP_1) | instskip(NEXT) | instid1(VALU_DEP_1)
	v_and_b32_e32 v61, 0xffff, v61
	v_lshrrev_b32_e32 v61, s48, v61
	s_delay_alu instid0(VALU_DEP_1) | instskip(SKIP_1) | instid1(VALU_DEP_2)
	v_bitop3_b32 v62, v61, 1, s52 bitop3:0x80
	v_and_b32_e32 v63, s52, v61
	v_add_co_u32 v61, s15, v62, -1
	s_delay_alu instid0(VALU_DEP_1) | instskip(NEXT) | instid1(VALU_DEP_3)
	v_cndmask_b32_e64 v62, 0, 1, s15
	v_lshlrev_b32_e32 v64, 30, v63
	s_delay_alu instid0(VALU_DEP_2) | instskip(NEXT) | instid1(VALU_DEP_2)
	v_cmp_ne_u32_e32 vcc_lo, 0, v62
	v_not_b32_e32 v62, v64
	v_cmp_gt_i32_e64 s15, 0, v64
	s_delay_alu instid0(VALU_DEP_2) | instskip(SKIP_3) | instid1(VALU_DEP_4)
	v_dual_ashrrev_i32 v62, 31, v62 :: v_dual_lshlrev_b32 v65, 29, v63
	v_dual_lshlrev_b32 v66, 28, v63 :: v_dual_lshlrev_b32 v67, 27, v63
	v_dual_lshlrev_b32 v196, 26, v63 :: v_dual_lshlrev_b32 v197, 25, v63
	v_lshlrev_b32_e32 v198, 24, v63
	v_cmp_gt_i32_e64 s16, 0, v65
	v_not_b32_e32 v64, v65
	v_not_b32_e32 v65, v66
	v_cmp_gt_i32_e64 s17, 0, v66
	v_cmp_gt_i32_e64 s18, 0, v67
	v_not_b32_e32 v66, v67
	v_not_b32_e32 v67, v196
	v_dual_ashrrev_i32 v64, 31, v64 :: v_dual_bitop2_b32 v61, vcc_lo, v61 bitop3:0x14
	v_dual_ashrrev_i32 v65, 31, v65 :: v_dual_bitop2_b32 v62, s15, v62 bitop3:0x14
	v_cmp_gt_i32_e64 s19, 0, v196
	v_cmp_gt_i32_e64 s20, 0, v197
	v_not_b32_e32 v196, v197
	v_not_b32_e32 v197, v198
	v_dual_ashrrev_i32 v66, 31, v66 :: v_dual_ashrrev_i32 v67, 31, v67
	v_xor_b32_e32 v64, s16, v64
	v_xor_b32_e32 v65, s17, v65
	v_bitop3_b32 v61, v61, v62, exec_lo bitop3:0x80
	v_cmp_gt_i32_e64 s21, 0, v198
	v_dual_ashrrev_i32 v62, 31, v196 :: v_dual_ashrrev_i32 v196, 31, v197
	v_xor_b32_e32 v66, s18, v66
	v_xor_b32_e32 v67, s19, v67
	v_bitop3_b32 v61, v61, v65, v64 bitop3:0x80
	v_mad_u32_u24 v64, v63, 36, v23
	v_xor_b32_e32 v62, s20, v62
	v_xor_b32_e32 v65, s21, v196
	s_delay_alu instid0(VALU_DEP_4) | instskip(SKIP_3) | instid1(VALU_DEP_2)
	v_bitop3_b32 v61, v61, v67, v66 bitop3:0x80
	ds_load_b32 v197, v64 offset:1056
	; wave barrier
	v_bitop3_b32 v61, v61, v65, v62 bitop3:0x80
	v_mul_u32_u24_e32 v62, 36, v63
	v_mbcnt_lo_u32_b32 v198, v61, 0
	v_cmp_ne_u32_e64 s15, 0, v61
	s_delay_alu instid0(VALU_DEP_3) | instskip(NEXT) | instid1(VALU_DEP_3)
	v_add_nc_u32_e32 v199, v23, v62
	v_cmp_eq_u32_e32 vcc_lo, 0, v198
	s_and_b32 s16, s15, vcc_lo
	s_delay_alu instid0(SALU_CYCLE_1)
	s_and_saveexec_b32 s15, s16
	s_cbranch_execz .LBB1833_454
; %bb.453:                              ;   in Loop: Header=BB1833_388 Depth=2
	s_wait_dscnt 0x0
	v_bcnt_u32_b32 v61, v61, v197
	ds_store_b32 v199, v61 offset:1056
.LBB1833_454:                           ;   in Loop: Header=BB1833_388 Depth=2
	s_or_b32 exec_lo, exec_lo, s15
	v_cmp_lt_i16_e32 vcc_lo, -1, v60
	; wave barrier
	v_cndmask_b32_e64 v61, -1, 0xffff8000, vcc_lo
	s_delay_alu instid0(VALU_DEP_1) | instskip(NEXT) | instid1(VALU_DEP_1)
	v_xor_b32_e32 v196, v61, v60
	v_cmp_ne_u16_e64 vcc_lo, 0x7fff, v196
	v_cndmask_b32_e32 v60, 0xffff8000, v196, vcc_lo
	s_delay_alu instid0(VALU_DEP_1) | instskip(NEXT) | instid1(VALU_DEP_1)
	v_and_b32_e32 v60, 0xffff, v60
	v_lshrrev_b32_e32 v60, s48, v60
	s_delay_alu instid0(VALU_DEP_1) | instskip(SKIP_1) | instid1(VALU_DEP_2)
	v_bitop3_b32 v61, v60, 1, s52 bitop3:0x80
	v_and_b32_e32 v62, s52, v60
	v_add_co_u32 v60, s15, v61, -1
	s_delay_alu instid0(VALU_DEP_1) | instskip(NEXT) | instid1(VALU_DEP_3)
	v_cndmask_b32_e64 v61, 0, 1, s15
	v_lshlrev_b32_e32 v63, 30, v62
	s_delay_alu instid0(VALU_DEP_2) | instskip(NEXT) | instid1(VALU_DEP_2)
	v_cmp_ne_u32_e32 vcc_lo, 0, v61
	v_not_b32_e32 v61, v63
	v_cmp_gt_i32_e64 s15, 0, v63
	s_delay_alu instid0(VALU_DEP_2) | instskip(SKIP_3) | instid1(VALU_DEP_4)
	v_dual_ashrrev_i32 v61, 31, v61 :: v_dual_lshlrev_b32 v64, 29, v62
	v_dual_lshlrev_b32 v65, 28, v62 :: v_dual_lshlrev_b32 v66, 27, v62
	v_dual_lshlrev_b32 v67, 26, v62 :: v_dual_lshlrev_b32 v200, 25, v62
	v_lshlrev_b32_e32 v201, 24, v62
	v_cmp_gt_i32_e64 s16, 0, v64
	v_not_b32_e32 v63, v64
	v_not_b32_e32 v64, v65
	v_cmp_gt_i32_e64 s17, 0, v65
	v_cmp_gt_i32_e64 s18, 0, v66
	v_not_b32_e32 v65, v66
	v_not_b32_e32 v66, v67
	v_dual_ashrrev_i32 v63, 31, v63 :: v_dual_bitop2_b32 v60, vcc_lo, v60 bitop3:0x14
	v_dual_ashrrev_i32 v64, 31, v64 :: v_dual_bitop2_b32 v61, s15, v61 bitop3:0x14
	v_cmp_gt_i32_e64 s19, 0, v67
	v_cmp_gt_i32_e64 s20, 0, v200
	v_not_b32_e32 v67, v200
	v_not_b32_e32 v200, v201
	v_dual_ashrrev_i32 v65, 31, v65 :: v_dual_ashrrev_i32 v66, 31, v66
	v_xor_b32_e32 v63, s16, v63
	v_xor_b32_e32 v64, s17, v64
	v_bitop3_b32 v60, v60, v61, exec_lo bitop3:0x80
	v_cmp_gt_i32_e64 s21, 0, v201
	v_dual_ashrrev_i32 v61, 31, v67 :: v_dual_ashrrev_i32 v67, 31, v200
	v_xor_b32_e32 v65, s18, v65
	v_xor_b32_e32 v66, s19, v66
	v_bitop3_b32 v60, v60, v64, v63 bitop3:0x80
	v_mad_u32_u24 v63, v62, 36, v23
	v_xor_b32_e32 v61, s20, v61
	v_xor_b32_e32 v64, s21, v67
	s_delay_alu instid0(VALU_DEP_4) | instskip(SKIP_3) | instid1(VALU_DEP_2)
	v_bitop3_b32 v60, v60, v66, v65 bitop3:0x80
	ds_load_b32 v200, v63 offset:1056
	; wave barrier
	v_bitop3_b32 v60, v60, v64, v61 bitop3:0x80
	v_mul_u32_u24_e32 v61, 36, v62
	v_mbcnt_lo_u32_b32 v201, v60, 0
	v_cmp_ne_u32_e64 s15, 0, v60
	s_delay_alu instid0(VALU_DEP_3) | instskip(NEXT) | instid1(VALU_DEP_3)
	v_add_nc_u32_e32 v202, v23, v61
	v_cmp_eq_u32_e32 vcc_lo, 0, v201
	s_and_b32 s16, s15, vcc_lo
	s_delay_alu instid0(SALU_CYCLE_1)
	s_and_saveexec_b32 s15, s16
	s_cbranch_execz .LBB1833_456
; %bb.455:                              ;   in Loop: Header=BB1833_388 Depth=2
	s_wait_dscnt 0x0
	v_bcnt_u32_b32 v60, v60, v200
	ds_store_b32 v202, v60 offset:1056
.LBB1833_456:                           ;   in Loop: Header=BB1833_388 Depth=2
	s_or_b32 exec_lo, exec_lo, s15
	; wave barrier
	s_wait_dscnt 0x0
	s_barrier_signal -1
	s_barrier_wait -1
	ds_load_2addr_b32 v[66:67], v118 offset1:1
	ds_load_2addr_b32 v[64:65], v119 offset1:1
	;; [unrolled: 1-line block ×4, first 2 shown]
	ds_load_b32 v203, v91 offset:1088
	s_wait_dscnt 0x3
	v_add3_u32 v204, v67, v66, v64
	s_wait_dscnt 0x2
	s_delay_alu instid0(VALU_DEP_1) | instskip(SKIP_1) | instid1(VALU_DEP_1)
	v_add3_u32 v204, v204, v65, v62
	s_wait_dscnt 0x1
	v_add3_u32 v204, v204, v63, v60
	s_wait_dscnt 0x0
	s_delay_alu instid0(VALU_DEP_1) | instskip(NEXT) | instid1(VALU_DEP_1)
	v_add3_u32 v203, v204, v61, v203
	v_mov_b32_dpp v204, v203 row_shr:1 row_mask:0xf bank_mask:0xf
	s_delay_alu instid0(VALU_DEP_1) | instskip(NEXT) | instid1(VALU_DEP_1)
	v_cndmask_b32_e64 v204, v204, 0, s7
	v_add_nc_u32_e32 v203, v204, v203
	s_delay_alu instid0(VALU_DEP_1) | instskip(NEXT) | instid1(VALU_DEP_1)
	v_mov_b32_dpp v204, v203 row_shr:2 row_mask:0xf bank_mask:0xf
	v_cndmask_b32_e64 v204, 0, v204, s8
	s_delay_alu instid0(VALU_DEP_1) | instskip(NEXT) | instid1(VALU_DEP_1)
	v_add_nc_u32_e32 v203, v203, v204
	v_mov_b32_dpp v204, v203 row_shr:4 row_mask:0xf bank_mask:0xf
	s_delay_alu instid0(VALU_DEP_1) | instskip(NEXT) | instid1(VALU_DEP_1)
	v_cndmask_b32_e64 v204, 0, v204, s9
	v_add_nc_u32_e32 v203, v203, v204
	s_delay_alu instid0(VALU_DEP_1) | instskip(NEXT) | instid1(VALU_DEP_1)
	v_mov_b32_dpp v204, v203 row_shr:8 row_mask:0xf bank_mask:0xf
	v_cndmask_b32_e64 v204, 0, v204, s10
	s_delay_alu instid0(VALU_DEP_1) | instskip(SKIP_3) | instid1(VALU_DEP_1)
	v_add_nc_u32_e32 v203, v203, v204
	ds_swizzle_b32 v204, v203 offset:swizzle(BROADCAST,32,15)
	s_wait_dscnt 0x0
	v_cndmask_b32_e64 v204, v204, 0, s11
	v_add_nc_u32_e32 v203, v203, v204
	s_and_saveexec_b32 s15, s1
; %bb.457:                              ;   in Loop: Header=BB1833_388 Depth=2
	ds_store_b32 v84, v203 offset:1024
; %bb.458:                              ;   in Loop: Header=BB1833_388 Depth=2
	s_or_b32 exec_lo, exec_lo, s15
	s_wait_dscnt 0x0
	s_barrier_signal -1
	s_barrier_wait -1
	s_and_saveexec_b32 s15, s4
	s_cbranch_execz .LBB1833_460
; %bb.459:                              ;   in Loop: Header=BB1833_388 Depth=2
	ds_load_b32 v204, v92 offset:1024
	s_wait_dscnt 0x0
	v_mov_b32_dpp v205, v204 row_shr:1 row_mask:0xf bank_mask:0xf
	s_delay_alu instid0(VALU_DEP_1) | instskip(NEXT) | instid1(VALU_DEP_1)
	v_cndmask_b32_e64 v205, v205, 0, s12
	v_add_nc_u32_e32 v204, v205, v204
	s_delay_alu instid0(VALU_DEP_1) | instskip(NEXT) | instid1(VALU_DEP_1)
	v_mov_b32_dpp v205, v204 row_shr:2 row_mask:0xf bank_mask:0xf
	v_cndmask_b32_e64 v205, 0, v205, s13
	s_delay_alu instid0(VALU_DEP_1) | instskip(NEXT) | instid1(VALU_DEP_1)
	v_add_nc_u32_e32 v204, v204, v205
	v_mov_b32_dpp v205, v204 row_shr:4 row_mask:0xf bank_mask:0xf
	s_delay_alu instid0(VALU_DEP_1) | instskip(NEXT) | instid1(VALU_DEP_1)
	v_cndmask_b32_e64 v205, 0, v205, s14
	v_add_nc_u32_e32 v204, v204, v205
	ds_store_b32 v92, v204 offset:1024
.LBB1833_460:                           ;   in Loop: Header=BB1833_388 Depth=2
	s_or_b32 exec_lo, exec_lo, s15
	v_mov_b32_e32 v204, 0
	s_wait_dscnt 0x0
	s_barrier_signal -1
	s_barrier_wait -1
	s_and_saveexec_b32 s15, s5
; %bb.461:                              ;   in Loop: Header=BB1833_388 Depth=2
	ds_load_b32 v204, v84 offset:1020
; %bb.462:                              ;   in Loop: Header=BB1833_388 Depth=2
	s_or_b32 exec_lo, exec_lo, s15
	s_wait_dscnt 0x0
	v_add_nc_u32_e32 v203, v204, v203
	ds_bpermute_b32 v203, v122, v203
	s_wait_dscnt 0x0
	v_cndmask_b32_e64 v203, v203, v204, s6
	s_delay_alu instid0(VALU_DEP_1) | instskip(NEXT) | instid1(VALU_DEP_1)
	v_cndmask_b32_e64 v203, v203, 0, s2
	v_add_nc_u32_e32 v66, v203, v66
	s_delay_alu instid0(VALU_DEP_1) | instskip(NEXT) | instid1(VALU_DEP_1)
	v_add_nc_u32_e32 v67, v66, v67
	v_add_nc_u32_e32 v64, v67, v64
	s_delay_alu instid0(VALU_DEP_1) | instskip(NEXT) | instid1(VALU_DEP_1)
	v_add_nc_u32_e32 v65, v64, v65
	;; [unrolled: 3-line block ×3, first 2 shown]
	v_add_nc_u32_e32 v60, v63, v60
	s_delay_alu instid0(VALU_DEP_1)
	v_add_nc_u32_e32 v61, v60, v61
	ds_store_2addr_b32 v121, v63, v60 offset1:1
	ds_store_2addr_b32 v118, v203, v66 offset1:1
	;; [unrolled: 1-line block ×4, first 2 shown]
	ds_store_b32 v91, v61 offset:1088
	s_wait_dscnt 0x0
	s_barrier_signal -1
	s_barrier_wait -1
	ds_load_b32 v63, v143 offset:1056
	ds_load_b32 v65, v147 offset:1056
	;; [unrolled: 1-line block ×17, first 2 shown]
	v_mov_b32_e32 v62, 0x1000
	s_and_saveexec_b32 s15, s3
; %bb.463:                              ;   in Loop: Header=BB1833_388 Depth=2
	ds_load_b32 v62, v91 offset:1092
; %bb.464:                              ;   in Loop: Header=BB1833_388 Depth=2
	s_or_b32 exec_lo, exec_lo, s15
	s_wait_dscnt 0x0
	s_barrier_signal -1
	s_barrier_wait -1
	s_and_saveexec_b32 s15, s0
	s_cbranch_execz .LBB1833_466
; %bb.465:                              ;   in Loop: Header=BB1833_388 Depth=2
	ds_load_b32 v155, v3
	s_wait_dscnt 0x0
	v_sub_nc_u32_e32 v151, v155, v151
	ds_store_b32 v3, v151
.LBB1833_466:                           ;   in Loop: Header=BB1833_388 Depth=2
	s_or_b32 exec_lo, exec_lo, s15
	v_add3_u32 v159, v146, v145, v65
	v_add_nc_u32_e32 v163, v63, v142
	v_add3_u32 v155, v150, v149, v66
	v_add3_u32 v151, v154, v153, v67
	v_add3_u32 v149, v162, v161, v147
	v_add3_u32 v67, v190, v189, v60
	v_lshlrev_b32_e32 v60, 1, v159
	v_lshlrev_b32_e32 v153, 1, v163
	v_add3_u32 v150, v158, v157, v143
	v_add3_u32 v147, v166, v165, v203
	v_add3_u32 v146, v170, v169, v171
	v_add3_u32 v66, v194, v193, v61
	v_lshlrev_b32_e32 v61, 1, v155
	v_add3_u32 v145, v174, v173, v175
	v_lshlrev_b32_e32 v154, 1, v149
	ds_store_b16 v153, v140 offset:1024
	v_lshlrev_b32_e32 v140, 1, v151
	v_add3_u32 v143, v178, v177, v179
	v_lshlrev_b32_e32 v153, 1, v150
	v_add3_u32 v142, v182, v181, v183
	v_add3_u32 v63, v186, v185, v187
	ds_store_b16 v60, v141 offset:1024
	ds_store_b16 v61, v144 offset:1024
	ds_store_b16 v140, v148 offset:1024
	ds_store_b16 v153, v152 offset:1024
	ds_store_b16 v154, v156 offset:1024
	v_dual_lshlrev_b32 v60, 1, v147 :: v_dual_lshlrev_b32 v140, 1, v145
	v_lshlrev_b32_e32 v61, 1, v146
	v_add3_u32 v65, v198, v197, v64
	v_dual_lshlrev_b32 v141, 1, v143 :: v_dual_lshlrev_b32 v144, 1, v142
	v_add3_u32 v64, v201, v200, v167
	ds_store_b16 v60, v160 offset:1024
	ds_store_b16 v61, v164 offset:1024
	;; [unrolled: 1-line block ×5, first 2 shown]
	v_dual_lshlrev_b32 v60, 1, v63 :: v_dual_lshlrev_b32 v140, 1, v66
	v_cmp_lt_u32_e32 vcc_lo, v2, v139
	v_dual_lshlrev_b32 v61, 1, v67 :: v_dual_lshlrev_b32 v141, 1, v65
	v_lshlrev_b32_e32 v144, 1, v64
	ds_store_b16 v60, v180 offset:1024
	ds_store_b16 v61, v184 offset:1024
	;; [unrolled: 1-line block ×5, first 2 shown]
	s_wait_dscnt 0x0
	s_barrier_signal -1
	s_barrier_wait -1
	s_and_saveexec_b32 s16, vcc_lo
	s_cbranch_execnz .LBB1833_535
; %bb.467:                              ;   in Loop: Header=BB1833_388 Depth=2
	s_or_b32 exec_lo, exec_lo, s16
	v_cmp_lt_u32_e64 s15, v68, v139
	s_and_saveexec_b32 s17, s15
	s_cbranch_execnz .LBB1833_536
.LBB1833_468:                           ;   in Loop: Header=BB1833_388 Depth=2
	s_or_b32 exec_lo, exec_lo, s17
	v_cmp_lt_u32_e64 s16, v69, v139
	s_and_saveexec_b32 s18, s16
	s_cbranch_execnz .LBB1833_537
.LBB1833_469:                           ;   in Loop: Header=BB1833_388 Depth=2
	s_or_b32 exec_lo, exec_lo, s18
	v_cmp_lt_u32_e64 s17, v70, v139
	s_and_saveexec_b32 s19, s17
	s_cbranch_execnz .LBB1833_538
.LBB1833_470:                           ;   in Loop: Header=BB1833_388 Depth=2
	s_or_b32 exec_lo, exec_lo, s19
	v_cmp_lt_u32_e64 s18, v71, v139
	s_and_saveexec_b32 s20, s18
	s_cbranch_execnz .LBB1833_539
.LBB1833_471:                           ;   in Loop: Header=BB1833_388 Depth=2
	s_or_b32 exec_lo, exec_lo, s20
	v_cmp_lt_u32_e64 s19, v72, v139
	s_and_saveexec_b32 s21, s19
	s_cbranch_execnz .LBB1833_540
.LBB1833_472:                           ;   in Loop: Header=BB1833_388 Depth=2
	s_or_b32 exec_lo, exec_lo, s21
	v_cmp_lt_u32_e64 s20, v73, v139
	s_and_saveexec_b32 s22, s20
	s_cbranch_execnz .LBB1833_541
.LBB1833_473:                           ;   in Loop: Header=BB1833_388 Depth=2
	s_or_b32 exec_lo, exec_lo, s22
	v_cmp_lt_u32_e64 s21, v74, v139
	s_and_saveexec_b32 s23, s21
	s_cbranch_execnz .LBB1833_542
.LBB1833_474:                           ;   in Loop: Header=BB1833_388 Depth=2
	s_or_b32 exec_lo, exec_lo, s23
	v_cmp_lt_u32_e64 s22, v75, v139
	s_and_saveexec_b32 s24, s22
	s_cbranch_execnz .LBB1833_543
.LBB1833_475:                           ;   in Loop: Header=BB1833_388 Depth=2
	s_or_b32 exec_lo, exec_lo, s24
	v_cmp_lt_u32_e64 s23, v76, v139
	s_and_saveexec_b32 s25, s23
	s_cbranch_execnz .LBB1833_544
.LBB1833_476:                           ;   in Loop: Header=BB1833_388 Depth=2
	s_or_b32 exec_lo, exec_lo, s25
	v_cmp_lt_u32_e64 s24, v77, v139
	s_and_saveexec_b32 s26, s24
	s_cbranch_execnz .LBB1833_545
.LBB1833_477:                           ;   in Loop: Header=BB1833_388 Depth=2
	s_or_b32 exec_lo, exec_lo, s26
	v_cmp_lt_u32_e64 s25, v78, v139
	s_and_saveexec_b32 s27, s25
	s_cbranch_execnz .LBB1833_546
.LBB1833_478:                           ;   in Loop: Header=BB1833_388 Depth=2
	s_or_b32 exec_lo, exec_lo, s27
	v_cmp_lt_u32_e64 s26, v79, v139
	s_and_saveexec_b32 s28, s26
	s_cbranch_execnz .LBB1833_547
.LBB1833_479:                           ;   in Loop: Header=BB1833_388 Depth=2
	s_or_b32 exec_lo, exec_lo, s28
	v_cmp_lt_u32_e64 s27, v80, v139
	s_and_saveexec_b32 s29, s27
	s_cbranch_execnz .LBB1833_548
.LBB1833_480:                           ;   in Loop: Header=BB1833_388 Depth=2
	s_or_b32 exec_lo, exec_lo, s29
	v_cmp_lt_u32_e64 s28, v81, v139
	s_and_saveexec_b32 s30, s28
	s_cbranch_execnz .LBB1833_549
.LBB1833_481:                           ;   in Loop: Header=BB1833_388 Depth=2
	s_or_b32 exec_lo, exec_lo, s30
	v_cmp_lt_u32_e64 s29, v82, v139
	s_and_saveexec_b32 s58, s29
	s_cbranch_execz .LBB1833_483
.LBB1833_482:                           ;   in Loop: Header=BB1833_388 Depth=2
	ds_load_u16 v60, v93 offset:8704
	s_wait_dscnt 0x0
	v_cmp_ne_u16_e64 s30, 0x7fff, v60
	s_delay_alu instid0(VALU_DEP_1) | instskip(SKIP_1) | instid1(VALU_DEP_2)
	v_cndmask_b32_e64 v61, 0xffff8000, v60, s30
	v_cmp_lt_i16_e64 s30, -1, v60
	v_and_b32_e32 v61, 0xffff, v61
	s_delay_alu instid0(VALU_DEP_2) | instskip(NEXT) | instid1(VALU_DEP_1)
	v_cndmask_b32_e64 v140, 0xffff8000, -1, s30
	v_dual_lshrrev_b32 v61, s48, v61 :: v_dual_bitop2_b32 v60, v140, v60 bitop3:0x14
	s_delay_alu instid0(VALU_DEP_1) | instskip(NEXT) | instid1(VALU_DEP_1)
	v_and_b32_e32 v61, s52, v61
	v_lshlrev_b32_e32 v61, 2, v61
	ds_load_b32 v61, v61
	s_wait_dscnt 0x0
	v_add_nc_u32_e32 v61, v61, v82
	global_store_b16 v61, v60, s[40:41] scale_offset
.LBB1833_483:                           ;   in Loop: Header=BB1833_388 Depth=2
	s_wait_xcnt 0x0
	s_or_b32 exec_lo, exec_lo, s58
	v_lshl_add_u64 v[60:61], s[42:43], 3, v[24:25]
	v_cmp_lt_u32_e64 s30, v100, v139
	s_and_saveexec_b32 s42, s30
	s_delay_alu instid0(SALU_CYCLE_1)
	s_xor_b32 s30, exec_lo, s42
	s_cbranch_execnz .LBB1833_550
; %bb.484:                              ;   in Loop: Header=BB1833_388 Depth=2
	s_or_b32 exec_lo, exec_lo, s30
	s_delay_alu instid0(SALU_CYCLE_1)
	s_mov_b32 s42, exec_lo
	v_cmpx_lt_u32_e64 v103, v139
	s_cbranch_execnz .LBB1833_551
.LBB1833_485:                           ;   in Loop: Header=BB1833_388 Depth=2
	s_or_b32 exec_lo, exec_lo, s42
	s_delay_alu instid0(SALU_CYCLE_1)
	s_mov_b32 s42, exec_lo
	v_cmpx_lt_u32_e64 v104, v139
	s_cbranch_execnz .LBB1833_552
.LBB1833_486:                           ;   in Loop: Header=BB1833_388 Depth=2
	s_or_b32 exec_lo, exec_lo, s42
	s_delay_alu instid0(SALU_CYCLE_1)
	s_mov_b32 s42, exec_lo
	v_cmpx_lt_u32_e64 v105, v139
	s_cbranch_execnz .LBB1833_553
.LBB1833_487:                           ;   in Loop: Header=BB1833_388 Depth=2
	s_or_b32 exec_lo, exec_lo, s42
	s_delay_alu instid0(SALU_CYCLE_1)
	s_mov_b32 s42, exec_lo
	v_cmpx_lt_u32_e64 v106, v139
	s_cbranch_execnz .LBB1833_554
.LBB1833_488:                           ;   in Loop: Header=BB1833_388 Depth=2
	s_or_b32 exec_lo, exec_lo, s42
	s_delay_alu instid0(SALU_CYCLE_1)
	s_mov_b32 s42, exec_lo
	v_cmpx_lt_u32_e64 v107, v139
	s_cbranch_execnz .LBB1833_555
.LBB1833_489:                           ;   in Loop: Header=BB1833_388 Depth=2
	s_or_b32 exec_lo, exec_lo, s42
	s_delay_alu instid0(SALU_CYCLE_1)
	s_mov_b32 s42, exec_lo
	v_cmpx_lt_u32_e64 v108, v139
	s_cbranch_execnz .LBB1833_556
.LBB1833_490:                           ;   in Loop: Header=BB1833_388 Depth=2
	s_or_b32 exec_lo, exec_lo, s42
	s_delay_alu instid0(SALU_CYCLE_1)
	s_mov_b32 s42, exec_lo
	v_cmpx_lt_u32_e64 v109, v139
	s_cbranch_execnz .LBB1833_557
.LBB1833_491:                           ;   in Loop: Header=BB1833_388 Depth=2
	s_or_b32 exec_lo, exec_lo, s42
	s_delay_alu instid0(SALU_CYCLE_1)
	s_mov_b32 s42, exec_lo
	v_cmpx_lt_u32_e64 v110, v139
	s_cbranch_execnz .LBB1833_558
.LBB1833_492:                           ;   in Loop: Header=BB1833_388 Depth=2
	s_or_b32 exec_lo, exec_lo, s42
	s_delay_alu instid0(SALU_CYCLE_1)
	s_mov_b32 s42, exec_lo
	v_cmpx_lt_u32_e64 v111, v139
	s_cbranch_execnz .LBB1833_559
.LBB1833_493:                           ;   in Loop: Header=BB1833_388 Depth=2
	s_or_b32 exec_lo, exec_lo, s42
	s_delay_alu instid0(SALU_CYCLE_1)
	s_mov_b32 s42, exec_lo
	v_cmpx_lt_u32_e64 v112, v139
	s_cbranch_execnz .LBB1833_560
.LBB1833_494:                           ;   in Loop: Header=BB1833_388 Depth=2
	s_or_b32 exec_lo, exec_lo, s42
	s_delay_alu instid0(SALU_CYCLE_1)
	s_mov_b32 s42, exec_lo
	v_cmpx_lt_u32_e64 v113, v139
	s_cbranch_execnz .LBB1833_561
.LBB1833_495:                           ;   in Loop: Header=BB1833_388 Depth=2
	s_or_b32 exec_lo, exec_lo, s42
	s_delay_alu instid0(SALU_CYCLE_1)
	s_mov_b32 s42, exec_lo
	v_cmpx_lt_u32_e64 v114, v139
	s_cbranch_execnz .LBB1833_562
.LBB1833_496:                           ;   in Loop: Header=BB1833_388 Depth=2
	s_or_b32 exec_lo, exec_lo, s42
	s_delay_alu instid0(SALU_CYCLE_1)
	s_mov_b32 s42, exec_lo
	v_cmpx_lt_u32_e64 v115, v139
	s_cbranch_execnz .LBB1833_563
.LBB1833_497:                           ;   in Loop: Header=BB1833_388 Depth=2
	s_or_b32 exec_lo, exec_lo, s42
	s_delay_alu instid0(SALU_CYCLE_1)
	s_mov_b32 s42, exec_lo
	v_cmpx_lt_u32_e64 v116, v139
	s_cbranch_execnz .LBB1833_564
.LBB1833_498:                           ;   in Loop: Header=BB1833_388 Depth=2
	s_or_b32 exec_lo, exec_lo, s42
	s_delay_alu instid0(SALU_CYCLE_1)
	s_mov_b32 s42, exec_lo
	v_cmpx_lt_u32_e64 v117, v139
	s_cbranch_execnz .LBB1833_565
.LBB1833_499:                           ;   in Loop: Header=BB1833_388 Depth=2
	s_or_b32 exec_lo, exec_lo, s42
	s_and_saveexec_b32 s42, vcc_lo
	s_cbranch_execnz .LBB1833_566
.LBB1833_500:                           ;   in Loop: Header=BB1833_388 Depth=2
	s_or_b32 exec_lo, exec_lo, s42
	s_and_saveexec_b32 s42, s15
	s_cbranch_execnz .LBB1833_567
.LBB1833_501:                           ;   in Loop: Header=BB1833_388 Depth=2
	s_or_b32 exec_lo, exec_lo, s42
	s_and_saveexec_b32 s42, s16
	s_cbranch_execnz .LBB1833_568
.LBB1833_502:                           ;   in Loop: Header=BB1833_388 Depth=2
	s_or_b32 exec_lo, exec_lo, s42
	s_and_saveexec_b32 s42, s17
	s_cbranch_execnz .LBB1833_569
.LBB1833_503:                           ;   in Loop: Header=BB1833_388 Depth=2
	s_or_b32 exec_lo, exec_lo, s42
	s_and_saveexec_b32 s42, s18
	s_cbranch_execnz .LBB1833_570
.LBB1833_504:                           ;   in Loop: Header=BB1833_388 Depth=2
	s_or_b32 exec_lo, exec_lo, s42
	s_and_saveexec_b32 s42, s19
	s_cbranch_execnz .LBB1833_571
.LBB1833_505:                           ;   in Loop: Header=BB1833_388 Depth=2
	s_or_b32 exec_lo, exec_lo, s42
	s_and_saveexec_b32 s42, s20
	s_cbranch_execnz .LBB1833_572
.LBB1833_506:                           ;   in Loop: Header=BB1833_388 Depth=2
	s_or_b32 exec_lo, exec_lo, s42
	s_and_saveexec_b32 s42, s21
	s_cbranch_execnz .LBB1833_573
.LBB1833_507:                           ;   in Loop: Header=BB1833_388 Depth=2
	s_or_b32 exec_lo, exec_lo, s42
	s_and_saveexec_b32 s42, s22
	s_cbranch_execnz .LBB1833_574
.LBB1833_508:                           ;   in Loop: Header=BB1833_388 Depth=2
	s_or_b32 exec_lo, exec_lo, s42
	s_and_saveexec_b32 s42, s23
	s_cbranch_execnz .LBB1833_575
.LBB1833_509:                           ;   in Loop: Header=BB1833_388 Depth=2
	s_or_b32 exec_lo, exec_lo, s42
	s_and_saveexec_b32 s42, s24
	s_cbranch_execnz .LBB1833_576
.LBB1833_510:                           ;   in Loop: Header=BB1833_388 Depth=2
	s_or_b32 exec_lo, exec_lo, s42
	s_and_saveexec_b32 s42, s25
	s_cbranch_execnz .LBB1833_577
.LBB1833_511:                           ;   in Loop: Header=BB1833_388 Depth=2
	s_or_b32 exec_lo, exec_lo, s42
	s_and_saveexec_b32 s42, s26
	s_cbranch_execnz .LBB1833_578
.LBB1833_512:                           ;   in Loop: Header=BB1833_388 Depth=2
	s_or_b32 exec_lo, exec_lo, s42
	s_and_saveexec_b32 s42, s27
	s_cbranch_execnz .LBB1833_579
.LBB1833_513:                           ;   in Loop: Header=BB1833_388 Depth=2
	s_or_b32 exec_lo, exec_lo, s42
	s_and_saveexec_b32 s42, s28
	s_cbranch_execnz .LBB1833_580
.LBB1833_514:                           ;   in Loop: Header=BB1833_388 Depth=2
	s_or_b32 exec_lo, exec_lo, s42
	s_and_saveexec_b32 s42, s29
	s_cbranch_execz .LBB1833_516
.LBB1833_515:                           ;   in Loop: Header=BB1833_388 Depth=2
	ds_load_u16 v60, v93 offset:8704
	s_wait_dscnt 0x0
	v_cmp_ne_u16_e64 s30, 0x7fff, v60
	s_delay_alu instid0(VALU_DEP_1) | instskip(NEXT) | instid1(VALU_DEP_1)
	v_cndmask_b32_e64 v60, 0xffff8000, v60, s30
	v_and_b32_e32 v60, 0xffff, v60
	s_delay_alu instid0(VALU_DEP_1) | instskip(NEXT) | instid1(VALU_DEP_1)
	v_lshrrev_b32_e32 v60, s48, v60
	v_and_b32_e32 v123, s52, v60
.LBB1833_516:                           ;   in Loop: Header=BB1833_388 Depth=2
	s_or_b32 exec_lo, exec_lo, s42
	v_dual_lshlrev_b32 v60, 3, v163 :: v_dual_lshlrev_b32 v140, 3, v150
	s_wait_loadcnt 0x0
	s_wait_storecnt 0x0
	s_barrier_signal -1
	s_barrier_wait -1
	ds_store_b64 v60, v[58:59] offset:1024
	v_dual_lshlrev_b32 v60, 3, v159 :: v_dual_lshlrev_b32 v141, 3, v149
	v_lshlrev_b32_e32 v61, 3, v155
	v_lshlrev_b32_e32 v139, 3, v151
	ds_store_b64 v60, v[56:57] offset:1024
	ds_store_b64 v61, v[54:55] offset:1024
	;; [unrolled: 1-line block ×5, first 2 shown]
	v_dual_lshlrev_b32 v60, 3, v147 :: v_dual_lshlrev_b32 v141, 3, v142
	v_dual_lshlrev_b32 v61, 3, v146 :: v_dual_lshlrev_b32 v139, 3, v145
	v_lshlrev_b32_e32 v140, 3, v143
	ds_store_b64 v60, v[46:47] offset:1024
	ds_store_b64 v61, v[44:45] offset:1024
	;; [unrolled: 1-line block ×5, first 2 shown]
	v_dual_lshlrev_b32 v60, 3, v63 :: v_dual_lshlrev_b32 v65, 3, v65
	v_dual_lshlrev_b32 v61, 3, v67 :: v_dual_lshlrev_b32 v64, 3, v64
	v_lshlrev_b32_e32 v63, 3, v66
	ds_store_b64 v60, v[36:37] offset:1024
	ds_store_b64 v61, v[34:35] offset:1024
	;; [unrolled: 1-line block ×5, first 2 shown]
	s_wait_dscnt 0x0
	s_barrier_signal -1
	s_barrier_wait -1
	s_and_saveexec_b32 s30, vcc_lo
	s_cbranch_execnz .LBB1833_581
; %bb.517:                              ;   in Loop: Header=BB1833_388 Depth=2
	s_or_b32 exec_lo, exec_lo, s30
	s_and_saveexec_b32 s30, s15
	s_cbranch_execnz .LBB1833_582
.LBB1833_518:                           ;   in Loop: Header=BB1833_388 Depth=2
	s_or_b32 exec_lo, exec_lo, s30
	s_and_saveexec_b32 s15, s16
	s_cbranch_execnz .LBB1833_583
.LBB1833_519:                           ;   in Loop: Header=BB1833_388 Depth=2
	s_or_b32 exec_lo, exec_lo, s15
	s_and_saveexec_b32 s15, s17
	s_cbranch_execnz .LBB1833_584
.LBB1833_520:                           ;   in Loop: Header=BB1833_388 Depth=2
	s_or_b32 exec_lo, exec_lo, s15
	s_and_saveexec_b32 s15, s18
	s_cbranch_execnz .LBB1833_585
.LBB1833_521:                           ;   in Loop: Header=BB1833_388 Depth=2
	s_or_b32 exec_lo, exec_lo, s15
	s_and_saveexec_b32 s15, s19
	s_cbranch_execnz .LBB1833_586
.LBB1833_522:                           ;   in Loop: Header=BB1833_388 Depth=2
	s_or_b32 exec_lo, exec_lo, s15
	s_and_saveexec_b32 s15, s20
	s_cbranch_execnz .LBB1833_587
.LBB1833_523:                           ;   in Loop: Header=BB1833_388 Depth=2
	s_or_b32 exec_lo, exec_lo, s15
	s_and_saveexec_b32 s15, s21
	s_cbranch_execnz .LBB1833_588
.LBB1833_524:                           ;   in Loop: Header=BB1833_388 Depth=2
	s_or_b32 exec_lo, exec_lo, s15
	s_and_saveexec_b32 s15, s22
	s_cbranch_execnz .LBB1833_589
.LBB1833_525:                           ;   in Loop: Header=BB1833_388 Depth=2
	s_or_b32 exec_lo, exec_lo, s15
	s_and_saveexec_b32 s15, s23
	s_cbranch_execnz .LBB1833_590
.LBB1833_526:                           ;   in Loop: Header=BB1833_388 Depth=2
	s_or_b32 exec_lo, exec_lo, s15
	s_and_saveexec_b32 s15, s24
	s_cbranch_execnz .LBB1833_591
.LBB1833_527:                           ;   in Loop: Header=BB1833_388 Depth=2
	s_or_b32 exec_lo, exec_lo, s15
	s_and_saveexec_b32 s15, s25
	s_cbranch_execnz .LBB1833_592
.LBB1833_528:                           ;   in Loop: Header=BB1833_388 Depth=2
	s_or_b32 exec_lo, exec_lo, s15
	s_and_saveexec_b32 s15, s26
	s_cbranch_execnz .LBB1833_593
.LBB1833_529:                           ;   in Loop: Header=BB1833_388 Depth=2
	s_or_b32 exec_lo, exec_lo, s15
	s_and_saveexec_b32 s15, s27
	s_cbranch_execnz .LBB1833_594
.LBB1833_530:                           ;   in Loop: Header=BB1833_388 Depth=2
	s_or_b32 exec_lo, exec_lo, s15
	s_and_saveexec_b32 s15, s28
	s_cbranch_execnz .LBB1833_595
.LBB1833_531:                           ;   in Loop: Header=BB1833_388 Depth=2
	s_or_b32 exec_lo, exec_lo, s15
	s_and_saveexec_b32 s15, s29
	s_cbranch_execz .LBB1833_533
.LBB1833_532:                           ;   in Loop: Header=BB1833_388 Depth=2
	v_dual_lshlrev_b32 v60, 2, v123 :: v_dual_add_nc_u32 v61, v93, v94
	ds_load_b32 v63, v60
	ds_load_b64 v[60:61], v61 offset:31744
	s_wait_dscnt 0x1
	v_add_nc_u32_e32 v63, v63, v82
	s_wait_dscnt 0x0
	global_store_b64 v63, v[60:61], s[46:47] scale_offset
.LBB1833_533:                           ;   in Loop: Header=BB1833_388 Depth=2
	s_wait_xcnt 0x0
	s_or_b32 exec_lo, exec_lo, s15
	s_wait_storecnt 0x0
	s_barrier_signal -1
	s_barrier_wait -1
	s_and_saveexec_b32 s15, s0
	s_cbranch_execz .LBB1833_387
; %bb.534:                              ;   in Loop: Header=BB1833_388 Depth=2
	ds_load_b32 v60, v3
	s_wait_dscnt 0x0
	v_add_nc_u32_e32 v60, v60, v62
	ds_store_b32 v3, v60
	s_branch .LBB1833_387
.LBB1833_535:                           ;   in Loop: Header=BB1833_388 Depth=2
	ds_load_u16 v60, v93 offset:1024
	s_wait_dscnt 0x0
	v_cmp_ne_u16_e64 s15, 0x7fff, v60
	s_delay_alu instid0(VALU_DEP_1) | instskip(SKIP_1) | instid1(VALU_DEP_2)
	v_cndmask_b32_e64 v61, 0xffff8000, v60, s15
	v_cmp_lt_i16_e64 s15, -1, v60
	v_and_b32_e32 v61, 0xffff, v61
	s_delay_alu instid0(VALU_DEP_2) | instskip(NEXT) | instid1(VALU_DEP_1)
	v_cndmask_b32_e64 v140, 0xffff8000, -1, s15
	v_dual_lshrrev_b32 v61, s48, v61 :: v_dual_bitop2_b32 v60, v140, v60 bitop3:0x14
	s_delay_alu instid0(VALU_DEP_1) | instskip(NEXT) | instid1(VALU_DEP_1)
	v_and_b32_e32 v61, s52, v61
	v_lshlrev_b32_e32 v61, 2, v61
	ds_load_b32 v61, v61
	s_wait_dscnt 0x0
	v_add_nc_u32_e32 v61, v61, v2
	global_store_b16 v61, v60, s[40:41] scale_offset
	s_wait_xcnt 0x0
	s_or_b32 exec_lo, exec_lo, s16
	v_cmp_lt_u32_e64 s15, v68, v139
	s_and_saveexec_b32 s17, s15
	s_cbranch_execz .LBB1833_468
.LBB1833_536:                           ;   in Loop: Header=BB1833_388 Depth=2
	ds_load_u16 v60, v93 offset:1536
	s_wait_dscnt 0x0
	v_cmp_ne_u16_e64 s16, 0x7fff, v60
	s_delay_alu instid0(VALU_DEP_1) | instskip(SKIP_1) | instid1(VALU_DEP_2)
	v_cndmask_b32_e64 v61, 0xffff8000, v60, s16
	v_cmp_lt_i16_e64 s16, -1, v60
	v_and_b32_e32 v61, 0xffff, v61
	s_delay_alu instid0(VALU_DEP_2) | instskip(NEXT) | instid1(VALU_DEP_1)
	v_cndmask_b32_e64 v140, 0xffff8000, -1, s16
	v_dual_lshrrev_b32 v61, s48, v61 :: v_dual_bitop2_b32 v60, v140, v60 bitop3:0x14
	s_delay_alu instid0(VALU_DEP_1) | instskip(NEXT) | instid1(VALU_DEP_1)
	v_and_b32_e32 v61, s52, v61
	v_lshlrev_b32_e32 v61, 2, v61
	ds_load_b32 v61, v61
	s_wait_dscnt 0x0
	v_add_nc_u32_e32 v61, v61, v68
	global_store_b16 v61, v60, s[40:41] scale_offset
	s_wait_xcnt 0x0
	s_or_b32 exec_lo, exec_lo, s17
	v_cmp_lt_u32_e64 s16, v69, v139
	s_and_saveexec_b32 s18, s16
	s_cbranch_execz .LBB1833_469
.LBB1833_537:                           ;   in Loop: Header=BB1833_388 Depth=2
	ds_load_u16 v60, v93 offset:2048
	s_wait_dscnt 0x0
	v_cmp_ne_u16_e64 s17, 0x7fff, v60
	s_delay_alu instid0(VALU_DEP_1) | instskip(SKIP_1) | instid1(VALU_DEP_2)
	v_cndmask_b32_e64 v61, 0xffff8000, v60, s17
	v_cmp_lt_i16_e64 s17, -1, v60
	v_and_b32_e32 v61, 0xffff, v61
	s_delay_alu instid0(VALU_DEP_2) | instskip(NEXT) | instid1(VALU_DEP_1)
	v_cndmask_b32_e64 v140, 0xffff8000, -1, s17
	v_dual_lshrrev_b32 v61, s48, v61 :: v_dual_bitop2_b32 v60, v140, v60 bitop3:0x14
	s_delay_alu instid0(VALU_DEP_1) | instskip(NEXT) | instid1(VALU_DEP_1)
	v_and_b32_e32 v61, s52, v61
	v_lshlrev_b32_e32 v61, 2, v61
	ds_load_b32 v61, v61
	s_wait_dscnt 0x0
	v_add_nc_u32_e32 v61, v61, v69
	global_store_b16 v61, v60, s[40:41] scale_offset
	s_wait_xcnt 0x0
	s_or_b32 exec_lo, exec_lo, s18
	v_cmp_lt_u32_e64 s17, v70, v139
	s_and_saveexec_b32 s19, s17
	s_cbranch_execz .LBB1833_470
.LBB1833_538:                           ;   in Loop: Header=BB1833_388 Depth=2
	ds_load_u16 v60, v93 offset:2560
	s_wait_dscnt 0x0
	v_cmp_ne_u16_e64 s18, 0x7fff, v60
	s_delay_alu instid0(VALU_DEP_1) | instskip(SKIP_1) | instid1(VALU_DEP_2)
	v_cndmask_b32_e64 v61, 0xffff8000, v60, s18
	v_cmp_lt_i16_e64 s18, -1, v60
	v_and_b32_e32 v61, 0xffff, v61
	s_delay_alu instid0(VALU_DEP_2) | instskip(NEXT) | instid1(VALU_DEP_1)
	v_cndmask_b32_e64 v140, 0xffff8000, -1, s18
	v_dual_lshrrev_b32 v61, s48, v61 :: v_dual_bitop2_b32 v60, v140, v60 bitop3:0x14
	s_delay_alu instid0(VALU_DEP_1) | instskip(NEXT) | instid1(VALU_DEP_1)
	v_and_b32_e32 v61, s52, v61
	v_lshlrev_b32_e32 v61, 2, v61
	ds_load_b32 v61, v61
	s_wait_dscnt 0x0
	v_add_nc_u32_e32 v61, v61, v70
	global_store_b16 v61, v60, s[40:41] scale_offset
	s_wait_xcnt 0x0
	s_or_b32 exec_lo, exec_lo, s19
	v_cmp_lt_u32_e64 s18, v71, v139
	s_and_saveexec_b32 s20, s18
	s_cbranch_execz .LBB1833_471
.LBB1833_539:                           ;   in Loop: Header=BB1833_388 Depth=2
	ds_load_u16 v60, v93 offset:3072
	s_wait_dscnt 0x0
	v_cmp_ne_u16_e64 s19, 0x7fff, v60
	s_delay_alu instid0(VALU_DEP_1) | instskip(SKIP_1) | instid1(VALU_DEP_2)
	v_cndmask_b32_e64 v61, 0xffff8000, v60, s19
	v_cmp_lt_i16_e64 s19, -1, v60
	v_and_b32_e32 v61, 0xffff, v61
	s_delay_alu instid0(VALU_DEP_2) | instskip(NEXT) | instid1(VALU_DEP_1)
	v_cndmask_b32_e64 v140, 0xffff8000, -1, s19
	v_dual_lshrrev_b32 v61, s48, v61 :: v_dual_bitop2_b32 v60, v140, v60 bitop3:0x14
	s_delay_alu instid0(VALU_DEP_1) | instskip(NEXT) | instid1(VALU_DEP_1)
	v_and_b32_e32 v61, s52, v61
	v_lshlrev_b32_e32 v61, 2, v61
	ds_load_b32 v61, v61
	s_wait_dscnt 0x0
	v_add_nc_u32_e32 v61, v61, v71
	global_store_b16 v61, v60, s[40:41] scale_offset
	s_wait_xcnt 0x0
	s_or_b32 exec_lo, exec_lo, s20
	v_cmp_lt_u32_e64 s19, v72, v139
	s_and_saveexec_b32 s21, s19
	s_cbranch_execz .LBB1833_472
.LBB1833_540:                           ;   in Loop: Header=BB1833_388 Depth=2
	ds_load_u16 v60, v93 offset:3584
	s_wait_dscnt 0x0
	v_cmp_ne_u16_e64 s20, 0x7fff, v60
	s_delay_alu instid0(VALU_DEP_1) | instskip(SKIP_1) | instid1(VALU_DEP_2)
	v_cndmask_b32_e64 v61, 0xffff8000, v60, s20
	v_cmp_lt_i16_e64 s20, -1, v60
	v_and_b32_e32 v61, 0xffff, v61
	s_delay_alu instid0(VALU_DEP_2) | instskip(NEXT) | instid1(VALU_DEP_1)
	v_cndmask_b32_e64 v140, 0xffff8000, -1, s20
	v_dual_lshrrev_b32 v61, s48, v61 :: v_dual_bitop2_b32 v60, v140, v60 bitop3:0x14
	s_delay_alu instid0(VALU_DEP_1) | instskip(NEXT) | instid1(VALU_DEP_1)
	v_and_b32_e32 v61, s52, v61
	v_lshlrev_b32_e32 v61, 2, v61
	ds_load_b32 v61, v61
	s_wait_dscnt 0x0
	v_add_nc_u32_e32 v61, v61, v72
	global_store_b16 v61, v60, s[40:41] scale_offset
	s_wait_xcnt 0x0
	s_or_b32 exec_lo, exec_lo, s21
	v_cmp_lt_u32_e64 s20, v73, v139
	s_and_saveexec_b32 s22, s20
	s_cbranch_execz .LBB1833_473
.LBB1833_541:                           ;   in Loop: Header=BB1833_388 Depth=2
	ds_load_u16 v60, v93 offset:4096
	s_wait_dscnt 0x0
	v_cmp_ne_u16_e64 s21, 0x7fff, v60
	s_delay_alu instid0(VALU_DEP_1) | instskip(SKIP_1) | instid1(VALU_DEP_2)
	v_cndmask_b32_e64 v61, 0xffff8000, v60, s21
	v_cmp_lt_i16_e64 s21, -1, v60
	v_and_b32_e32 v61, 0xffff, v61
	s_delay_alu instid0(VALU_DEP_2) | instskip(NEXT) | instid1(VALU_DEP_1)
	v_cndmask_b32_e64 v140, 0xffff8000, -1, s21
	v_dual_lshrrev_b32 v61, s48, v61 :: v_dual_bitop2_b32 v60, v140, v60 bitop3:0x14
	s_delay_alu instid0(VALU_DEP_1) | instskip(NEXT) | instid1(VALU_DEP_1)
	v_and_b32_e32 v61, s52, v61
	v_lshlrev_b32_e32 v61, 2, v61
	ds_load_b32 v61, v61
	s_wait_dscnt 0x0
	v_add_nc_u32_e32 v61, v61, v73
	global_store_b16 v61, v60, s[40:41] scale_offset
	s_wait_xcnt 0x0
	s_or_b32 exec_lo, exec_lo, s22
	v_cmp_lt_u32_e64 s21, v74, v139
	s_and_saveexec_b32 s23, s21
	s_cbranch_execz .LBB1833_474
.LBB1833_542:                           ;   in Loop: Header=BB1833_388 Depth=2
	ds_load_u16 v60, v93 offset:4608
	s_wait_dscnt 0x0
	v_cmp_ne_u16_e64 s22, 0x7fff, v60
	s_delay_alu instid0(VALU_DEP_1) | instskip(SKIP_1) | instid1(VALU_DEP_2)
	v_cndmask_b32_e64 v61, 0xffff8000, v60, s22
	v_cmp_lt_i16_e64 s22, -1, v60
	v_and_b32_e32 v61, 0xffff, v61
	s_delay_alu instid0(VALU_DEP_2) | instskip(NEXT) | instid1(VALU_DEP_1)
	v_cndmask_b32_e64 v140, 0xffff8000, -1, s22
	v_dual_lshrrev_b32 v61, s48, v61 :: v_dual_bitop2_b32 v60, v140, v60 bitop3:0x14
	s_delay_alu instid0(VALU_DEP_1) | instskip(NEXT) | instid1(VALU_DEP_1)
	v_and_b32_e32 v61, s52, v61
	v_lshlrev_b32_e32 v61, 2, v61
	ds_load_b32 v61, v61
	s_wait_dscnt 0x0
	v_add_nc_u32_e32 v61, v61, v74
	global_store_b16 v61, v60, s[40:41] scale_offset
	s_wait_xcnt 0x0
	s_or_b32 exec_lo, exec_lo, s23
	v_cmp_lt_u32_e64 s22, v75, v139
	s_and_saveexec_b32 s24, s22
	s_cbranch_execz .LBB1833_475
.LBB1833_543:                           ;   in Loop: Header=BB1833_388 Depth=2
	ds_load_u16 v60, v93 offset:5120
	s_wait_dscnt 0x0
	v_cmp_ne_u16_e64 s23, 0x7fff, v60
	s_delay_alu instid0(VALU_DEP_1) | instskip(SKIP_1) | instid1(VALU_DEP_2)
	v_cndmask_b32_e64 v61, 0xffff8000, v60, s23
	v_cmp_lt_i16_e64 s23, -1, v60
	v_and_b32_e32 v61, 0xffff, v61
	s_delay_alu instid0(VALU_DEP_2) | instskip(NEXT) | instid1(VALU_DEP_1)
	v_cndmask_b32_e64 v140, 0xffff8000, -1, s23
	v_dual_lshrrev_b32 v61, s48, v61 :: v_dual_bitop2_b32 v60, v140, v60 bitop3:0x14
	s_delay_alu instid0(VALU_DEP_1) | instskip(NEXT) | instid1(VALU_DEP_1)
	v_and_b32_e32 v61, s52, v61
	v_lshlrev_b32_e32 v61, 2, v61
	ds_load_b32 v61, v61
	s_wait_dscnt 0x0
	v_add_nc_u32_e32 v61, v61, v75
	global_store_b16 v61, v60, s[40:41] scale_offset
	s_wait_xcnt 0x0
	s_or_b32 exec_lo, exec_lo, s24
	v_cmp_lt_u32_e64 s23, v76, v139
	s_and_saveexec_b32 s25, s23
	s_cbranch_execz .LBB1833_476
.LBB1833_544:                           ;   in Loop: Header=BB1833_388 Depth=2
	ds_load_u16 v60, v93 offset:5632
	s_wait_dscnt 0x0
	v_cmp_ne_u16_e64 s24, 0x7fff, v60
	s_delay_alu instid0(VALU_DEP_1) | instskip(SKIP_1) | instid1(VALU_DEP_2)
	v_cndmask_b32_e64 v61, 0xffff8000, v60, s24
	v_cmp_lt_i16_e64 s24, -1, v60
	v_and_b32_e32 v61, 0xffff, v61
	s_delay_alu instid0(VALU_DEP_2) | instskip(NEXT) | instid1(VALU_DEP_1)
	v_cndmask_b32_e64 v140, 0xffff8000, -1, s24
	v_dual_lshrrev_b32 v61, s48, v61 :: v_dual_bitop2_b32 v60, v140, v60 bitop3:0x14
	s_delay_alu instid0(VALU_DEP_1) | instskip(NEXT) | instid1(VALU_DEP_1)
	v_and_b32_e32 v61, s52, v61
	v_lshlrev_b32_e32 v61, 2, v61
	ds_load_b32 v61, v61
	s_wait_dscnt 0x0
	v_add_nc_u32_e32 v61, v61, v76
	global_store_b16 v61, v60, s[40:41] scale_offset
	s_wait_xcnt 0x0
	s_or_b32 exec_lo, exec_lo, s25
	v_cmp_lt_u32_e64 s24, v77, v139
	s_and_saveexec_b32 s26, s24
	s_cbranch_execz .LBB1833_477
.LBB1833_545:                           ;   in Loop: Header=BB1833_388 Depth=2
	ds_load_u16 v60, v93 offset:6144
	s_wait_dscnt 0x0
	v_cmp_ne_u16_e64 s25, 0x7fff, v60
	s_delay_alu instid0(VALU_DEP_1) | instskip(SKIP_1) | instid1(VALU_DEP_2)
	v_cndmask_b32_e64 v61, 0xffff8000, v60, s25
	v_cmp_lt_i16_e64 s25, -1, v60
	v_and_b32_e32 v61, 0xffff, v61
	s_delay_alu instid0(VALU_DEP_2) | instskip(NEXT) | instid1(VALU_DEP_1)
	v_cndmask_b32_e64 v140, 0xffff8000, -1, s25
	v_dual_lshrrev_b32 v61, s48, v61 :: v_dual_bitop2_b32 v60, v140, v60 bitop3:0x14
	s_delay_alu instid0(VALU_DEP_1) | instskip(NEXT) | instid1(VALU_DEP_1)
	v_and_b32_e32 v61, s52, v61
	v_lshlrev_b32_e32 v61, 2, v61
	ds_load_b32 v61, v61
	s_wait_dscnt 0x0
	v_add_nc_u32_e32 v61, v61, v77
	global_store_b16 v61, v60, s[40:41] scale_offset
	s_wait_xcnt 0x0
	s_or_b32 exec_lo, exec_lo, s26
	v_cmp_lt_u32_e64 s25, v78, v139
	s_and_saveexec_b32 s27, s25
	s_cbranch_execz .LBB1833_478
.LBB1833_546:                           ;   in Loop: Header=BB1833_388 Depth=2
	ds_load_u16 v60, v93 offset:6656
	s_wait_dscnt 0x0
	v_cmp_ne_u16_e64 s26, 0x7fff, v60
	s_delay_alu instid0(VALU_DEP_1) | instskip(SKIP_1) | instid1(VALU_DEP_2)
	v_cndmask_b32_e64 v61, 0xffff8000, v60, s26
	v_cmp_lt_i16_e64 s26, -1, v60
	v_and_b32_e32 v61, 0xffff, v61
	s_delay_alu instid0(VALU_DEP_2) | instskip(NEXT) | instid1(VALU_DEP_1)
	v_cndmask_b32_e64 v140, 0xffff8000, -1, s26
	v_dual_lshrrev_b32 v61, s48, v61 :: v_dual_bitop2_b32 v60, v140, v60 bitop3:0x14
	s_delay_alu instid0(VALU_DEP_1) | instskip(NEXT) | instid1(VALU_DEP_1)
	v_and_b32_e32 v61, s52, v61
	v_lshlrev_b32_e32 v61, 2, v61
	ds_load_b32 v61, v61
	s_wait_dscnt 0x0
	v_add_nc_u32_e32 v61, v61, v78
	global_store_b16 v61, v60, s[40:41] scale_offset
	s_wait_xcnt 0x0
	s_or_b32 exec_lo, exec_lo, s27
	v_cmp_lt_u32_e64 s26, v79, v139
	s_and_saveexec_b32 s28, s26
	s_cbranch_execz .LBB1833_479
.LBB1833_547:                           ;   in Loop: Header=BB1833_388 Depth=2
	ds_load_u16 v60, v93 offset:7168
	s_wait_dscnt 0x0
	v_cmp_ne_u16_e64 s27, 0x7fff, v60
	s_delay_alu instid0(VALU_DEP_1) | instskip(SKIP_1) | instid1(VALU_DEP_2)
	v_cndmask_b32_e64 v61, 0xffff8000, v60, s27
	v_cmp_lt_i16_e64 s27, -1, v60
	v_and_b32_e32 v61, 0xffff, v61
	s_delay_alu instid0(VALU_DEP_2) | instskip(NEXT) | instid1(VALU_DEP_1)
	v_cndmask_b32_e64 v140, 0xffff8000, -1, s27
	v_dual_lshrrev_b32 v61, s48, v61 :: v_dual_bitop2_b32 v60, v140, v60 bitop3:0x14
	s_delay_alu instid0(VALU_DEP_1) | instskip(NEXT) | instid1(VALU_DEP_1)
	v_and_b32_e32 v61, s52, v61
	v_lshlrev_b32_e32 v61, 2, v61
	ds_load_b32 v61, v61
	s_wait_dscnt 0x0
	v_add_nc_u32_e32 v61, v61, v79
	global_store_b16 v61, v60, s[40:41] scale_offset
	s_wait_xcnt 0x0
	s_or_b32 exec_lo, exec_lo, s28
	v_cmp_lt_u32_e64 s27, v80, v139
	s_and_saveexec_b32 s29, s27
	s_cbranch_execz .LBB1833_480
.LBB1833_548:                           ;   in Loop: Header=BB1833_388 Depth=2
	ds_load_u16 v60, v93 offset:7680
	s_wait_dscnt 0x0
	v_cmp_ne_u16_e64 s28, 0x7fff, v60
	s_delay_alu instid0(VALU_DEP_1) | instskip(SKIP_1) | instid1(VALU_DEP_2)
	v_cndmask_b32_e64 v61, 0xffff8000, v60, s28
	v_cmp_lt_i16_e64 s28, -1, v60
	v_and_b32_e32 v61, 0xffff, v61
	s_delay_alu instid0(VALU_DEP_2) | instskip(NEXT) | instid1(VALU_DEP_1)
	v_cndmask_b32_e64 v140, 0xffff8000, -1, s28
	v_dual_lshrrev_b32 v61, s48, v61 :: v_dual_bitop2_b32 v60, v140, v60 bitop3:0x14
	s_delay_alu instid0(VALU_DEP_1) | instskip(NEXT) | instid1(VALU_DEP_1)
	v_and_b32_e32 v61, s52, v61
	v_lshlrev_b32_e32 v61, 2, v61
	ds_load_b32 v61, v61
	s_wait_dscnt 0x0
	v_add_nc_u32_e32 v61, v61, v80
	global_store_b16 v61, v60, s[40:41] scale_offset
	s_wait_xcnt 0x0
	s_or_b32 exec_lo, exec_lo, s29
	v_cmp_lt_u32_e64 s28, v81, v139
	s_and_saveexec_b32 s30, s28
	s_cbranch_execz .LBB1833_481
.LBB1833_549:                           ;   in Loop: Header=BB1833_388 Depth=2
	ds_load_u16 v60, v93 offset:8192
	s_wait_dscnt 0x0
	v_cmp_ne_u16_e64 s29, 0x7fff, v60
	s_delay_alu instid0(VALU_DEP_1) | instskip(SKIP_1) | instid1(VALU_DEP_2)
	v_cndmask_b32_e64 v61, 0xffff8000, v60, s29
	v_cmp_lt_i16_e64 s29, -1, v60
	v_and_b32_e32 v61, 0xffff, v61
	s_delay_alu instid0(VALU_DEP_2) | instskip(NEXT) | instid1(VALU_DEP_1)
	v_cndmask_b32_e64 v140, 0xffff8000, -1, s29
	v_dual_lshrrev_b32 v61, s48, v61 :: v_dual_bitop2_b32 v60, v140, v60 bitop3:0x14
	s_delay_alu instid0(VALU_DEP_1) | instskip(NEXT) | instid1(VALU_DEP_1)
	v_and_b32_e32 v61, s52, v61
	v_lshlrev_b32_e32 v61, 2, v61
	ds_load_b32 v61, v61
	s_wait_dscnt 0x0
	v_add_nc_u32_e32 v61, v61, v81
	global_store_b16 v61, v60, s[40:41] scale_offset
	s_wait_xcnt 0x0
	s_or_b32 exec_lo, exec_lo, s30
	v_cmp_lt_u32_e64 s29, v82, v139
	s_and_saveexec_b32 s58, s29
	s_cbranch_execnz .LBB1833_482
	s_branch .LBB1833_483
.LBB1833_550:                           ;   in Loop: Header=BB1833_388 Depth=2
	global_load_b64 v[58:59], v[60:61], off
	s_wait_xcnt 0x0
	s_or_b32 exec_lo, exec_lo, s30
	s_delay_alu instid0(SALU_CYCLE_1)
	s_mov_b32 s42, exec_lo
	v_cmpx_lt_u32_e64 v103, v139
	s_cbranch_execz .LBB1833_485
.LBB1833_551:                           ;   in Loop: Header=BB1833_388 Depth=2
	global_load_b64 v[56:57], v[60:61], off offset:256
	s_wait_xcnt 0x0
	s_or_b32 exec_lo, exec_lo, s42
	s_delay_alu instid0(SALU_CYCLE_1)
	s_mov_b32 s42, exec_lo
	v_cmpx_lt_u32_e64 v104, v139
	s_cbranch_execz .LBB1833_486
.LBB1833_552:                           ;   in Loop: Header=BB1833_388 Depth=2
	global_load_b64 v[54:55], v[60:61], off offset:512
	s_wait_xcnt 0x0
	s_or_b32 exec_lo, exec_lo, s42
	s_delay_alu instid0(SALU_CYCLE_1)
	s_mov_b32 s42, exec_lo
	v_cmpx_lt_u32_e64 v105, v139
	s_cbranch_execz .LBB1833_487
.LBB1833_553:                           ;   in Loop: Header=BB1833_388 Depth=2
	global_load_b64 v[52:53], v[60:61], off offset:768
	s_wait_xcnt 0x0
	s_or_b32 exec_lo, exec_lo, s42
	s_delay_alu instid0(SALU_CYCLE_1)
	s_mov_b32 s42, exec_lo
	v_cmpx_lt_u32_e64 v106, v139
	s_cbranch_execz .LBB1833_488
.LBB1833_554:                           ;   in Loop: Header=BB1833_388 Depth=2
	global_load_b64 v[50:51], v[60:61], off offset:1024
	s_wait_xcnt 0x0
	s_or_b32 exec_lo, exec_lo, s42
	s_delay_alu instid0(SALU_CYCLE_1)
	s_mov_b32 s42, exec_lo
	v_cmpx_lt_u32_e64 v107, v139
	s_cbranch_execz .LBB1833_489
.LBB1833_555:                           ;   in Loop: Header=BB1833_388 Depth=2
	global_load_b64 v[48:49], v[60:61], off offset:1280
	s_wait_xcnt 0x0
	s_or_b32 exec_lo, exec_lo, s42
	s_delay_alu instid0(SALU_CYCLE_1)
	s_mov_b32 s42, exec_lo
	v_cmpx_lt_u32_e64 v108, v139
	s_cbranch_execz .LBB1833_490
.LBB1833_556:                           ;   in Loop: Header=BB1833_388 Depth=2
	global_load_b64 v[46:47], v[60:61], off offset:1536
	s_wait_xcnt 0x0
	s_or_b32 exec_lo, exec_lo, s42
	s_delay_alu instid0(SALU_CYCLE_1)
	s_mov_b32 s42, exec_lo
	v_cmpx_lt_u32_e64 v109, v139
	s_cbranch_execz .LBB1833_491
.LBB1833_557:                           ;   in Loop: Header=BB1833_388 Depth=2
	global_load_b64 v[44:45], v[60:61], off offset:1792
	s_wait_xcnt 0x0
	s_or_b32 exec_lo, exec_lo, s42
	s_delay_alu instid0(SALU_CYCLE_1)
	s_mov_b32 s42, exec_lo
	v_cmpx_lt_u32_e64 v110, v139
	s_cbranch_execz .LBB1833_492
.LBB1833_558:                           ;   in Loop: Header=BB1833_388 Depth=2
	global_load_b64 v[42:43], v[60:61], off offset:2048
	s_wait_xcnt 0x0
	s_or_b32 exec_lo, exec_lo, s42
	s_delay_alu instid0(SALU_CYCLE_1)
	s_mov_b32 s42, exec_lo
	v_cmpx_lt_u32_e64 v111, v139
	s_cbranch_execz .LBB1833_493
.LBB1833_559:                           ;   in Loop: Header=BB1833_388 Depth=2
	global_load_b64 v[40:41], v[60:61], off offset:2304
	s_wait_xcnt 0x0
	s_or_b32 exec_lo, exec_lo, s42
	s_delay_alu instid0(SALU_CYCLE_1)
	s_mov_b32 s42, exec_lo
	v_cmpx_lt_u32_e64 v112, v139
	s_cbranch_execz .LBB1833_494
.LBB1833_560:                           ;   in Loop: Header=BB1833_388 Depth=2
	global_load_b64 v[38:39], v[60:61], off offset:2560
	s_wait_xcnt 0x0
	s_or_b32 exec_lo, exec_lo, s42
	s_delay_alu instid0(SALU_CYCLE_1)
	s_mov_b32 s42, exec_lo
	v_cmpx_lt_u32_e64 v113, v139
	s_cbranch_execz .LBB1833_495
.LBB1833_561:                           ;   in Loop: Header=BB1833_388 Depth=2
	global_load_b64 v[36:37], v[60:61], off offset:2816
	s_wait_xcnt 0x0
	s_or_b32 exec_lo, exec_lo, s42
	s_delay_alu instid0(SALU_CYCLE_1)
	s_mov_b32 s42, exec_lo
	v_cmpx_lt_u32_e64 v114, v139
	s_cbranch_execz .LBB1833_496
.LBB1833_562:                           ;   in Loop: Header=BB1833_388 Depth=2
	global_load_b64 v[34:35], v[60:61], off offset:3072
	s_wait_xcnt 0x0
	s_or_b32 exec_lo, exec_lo, s42
	s_delay_alu instid0(SALU_CYCLE_1)
	s_mov_b32 s42, exec_lo
	v_cmpx_lt_u32_e64 v115, v139
	s_cbranch_execz .LBB1833_497
.LBB1833_563:                           ;   in Loop: Header=BB1833_388 Depth=2
	global_load_b64 v[32:33], v[60:61], off offset:3328
	s_wait_xcnt 0x0
	s_or_b32 exec_lo, exec_lo, s42
	s_delay_alu instid0(SALU_CYCLE_1)
	s_mov_b32 s42, exec_lo
	v_cmpx_lt_u32_e64 v116, v139
	s_cbranch_execz .LBB1833_498
.LBB1833_564:                           ;   in Loop: Header=BB1833_388 Depth=2
	global_load_b64 v[30:31], v[60:61], off offset:3584
	s_wait_xcnt 0x0
	s_or_b32 exec_lo, exec_lo, s42
	s_delay_alu instid0(SALU_CYCLE_1)
	s_mov_b32 s42, exec_lo
	v_cmpx_lt_u32_e64 v117, v139
	s_cbranch_execz .LBB1833_499
.LBB1833_565:                           ;   in Loop: Header=BB1833_388 Depth=2
	global_load_b64 v[28:29], v[60:61], off offset:3840
	s_wait_xcnt 0x0
	s_or_b32 exec_lo, exec_lo, s42
	s_and_saveexec_b32 s42, vcc_lo
	s_cbranch_execz .LBB1833_500
.LBB1833_566:                           ;   in Loop: Header=BB1833_388 Depth=2
	ds_load_u16 v60, v93 offset:1024
	s_wait_dscnt 0x0
	v_cmp_ne_u16_e64 s30, 0x7fff, v60
	s_delay_alu instid0(VALU_DEP_1) | instskip(NEXT) | instid1(VALU_DEP_1)
	v_cndmask_b32_e64 v60, 0xffff8000, v60, s30
	v_and_b32_e32 v60, 0xffff, v60
	s_delay_alu instid0(VALU_DEP_1) | instskip(NEXT) | instid1(VALU_DEP_1)
	v_lshrrev_b32_e32 v60, s48, v60
	v_and_b32_e32 v138, s52, v60
	s_or_b32 exec_lo, exec_lo, s42
	s_and_saveexec_b32 s42, s15
	s_cbranch_execz .LBB1833_501
.LBB1833_567:                           ;   in Loop: Header=BB1833_388 Depth=2
	ds_load_u16 v60, v93 offset:1536
	s_wait_dscnt 0x0
	v_cmp_ne_u16_e64 s30, 0x7fff, v60
	s_delay_alu instid0(VALU_DEP_1) | instskip(NEXT) | instid1(VALU_DEP_1)
	v_cndmask_b32_e64 v60, 0xffff8000, v60, s30
	v_and_b32_e32 v60, 0xffff, v60
	s_delay_alu instid0(VALU_DEP_1) | instskip(NEXT) | instid1(VALU_DEP_1)
	v_lshrrev_b32_e32 v60, s48, v60
	v_and_b32_e32 v137, s52, v60
	s_or_b32 exec_lo, exec_lo, s42
	s_and_saveexec_b32 s42, s16
	s_cbranch_execz .LBB1833_502
.LBB1833_568:                           ;   in Loop: Header=BB1833_388 Depth=2
	ds_load_u16 v60, v93 offset:2048
	s_wait_dscnt 0x0
	v_cmp_ne_u16_e64 s30, 0x7fff, v60
	s_delay_alu instid0(VALU_DEP_1) | instskip(NEXT) | instid1(VALU_DEP_1)
	v_cndmask_b32_e64 v60, 0xffff8000, v60, s30
	v_and_b32_e32 v60, 0xffff, v60
	s_delay_alu instid0(VALU_DEP_1) | instskip(NEXT) | instid1(VALU_DEP_1)
	v_lshrrev_b32_e32 v60, s48, v60
	v_and_b32_e32 v136, s52, v60
	s_or_b32 exec_lo, exec_lo, s42
	s_and_saveexec_b32 s42, s17
	s_cbranch_execz .LBB1833_503
.LBB1833_569:                           ;   in Loop: Header=BB1833_388 Depth=2
	ds_load_u16 v60, v93 offset:2560
	s_wait_dscnt 0x0
	v_cmp_ne_u16_e64 s30, 0x7fff, v60
	s_delay_alu instid0(VALU_DEP_1) | instskip(NEXT) | instid1(VALU_DEP_1)
	v_cndmask_b32_e64 v60, 0xffff8000, v60, s30
	v_and_b32_e32 v60, 0xffff, v60
	s_delay_alu instid0(VALU_DEP_1) | instskip(NEXT) | instid1(VALU_DEP_1)
	v_lshrrev_b32_e32 v60, s48, v60
	v_and_b32_e32 v135, s52, v60
	s_or_b32 exec_lo, exec_lo, s42
	s_and_saveexec_b32 s42, s18
	s_cbranch_execz .LBB1833_504
.LBB1833_570:                           ;   in Loop: Header=BB1833_388 Depth=2
	ds_load_u16 v60, v93 offset:3072
	s_wait_dscnt 0x0
	v_cmp_ne_u16_e64 s30, 0x7fff, v60
	s_delay_alu instid0(VALU_DEP_1) | instskip(NEXT) | instid1(VALU_DEP_1)
	v_cndmask_b32_e64 v60, 0xffff8000, v60, s30
	v_and_b32_e32 v60, 0xffff, v60
	s_delay_alu instid0(VALU_DEP_1) | instskip(NEXT) | instid1(VALU_DEP_1)
	v_lshrrev_b32_e32 v60, s48, v60
	v_and_b32_e32 v134, s52, v60
	s_or_b32 exec_lo, exec_lo, s42
	s_and_saveexec_b32 s42, s19
	s_cbranch_execz .LBB1833_505
.LBB1833_571:                           ;   in Loop: Header=BB1833_388 Depth=2
	ds_load_u16 v60, v93 offset:3584
	s_wait_dscnt 0x0
	v_cmp_ne_u16_e64 s30, 0x7fff, v60
	s_delay_alu instid0(VALU_DEP_1) | instskip(NEXT) | instid1(VALU_DEP_1)
	v_cndmask_b32_e64 v60, 0xffff8000, v60, s30
	v_and_b32_e32 v60, 0xffff, v60
	s_delay_alu instid0(VALU_DEP_1) | instskip(NEXT) | instid1(VALU_DEP_1)
	v_lshrrev_b32_e32 v60, s48, v60
	v_and_b32_e32 v133, s52, v60
	s_or_b32 exec_lo, exec_lo, s42
	s_and_saveexec_b32 s42, s20
	s_cbranch_execz .LBB1833_506
.LBB1833_572:                           ;   in Loop: Header=BB1833_388 Depth=2
	ds_load_u16 v60, v93 offset:4096
	s_wait_dscnt 0x0
	v_cmp_ne_u16_e64 s30, 0x7fff, v60
	s_delay_alu instid0(VALU_DEP_1) | instskip(NEXT) | instid1(VALU_DEP_1)
	v_cndmask_b32_e64 v60, 0xffff8000, v60, s30
	v_and_b32_e32 v60, 0xffff, v60
	s_delay_alu instid0(VALU_DEP_1) | instskip(NEXT) | instid1(VALU_DEP_1)
	v_lshrrev_b32_e32 v60, s48, v60
	v_and_b32_e32 v132, s52, v60
	s_or_b32 exec_lo, exec_lo, s42
	s_and_saveexec_b32 s42, s21
	s_cbranch_execz .LBB1833_507
.LBB1833_573:                           ;   in Loop: Header=BB1833_388 Depth=2
	ds_load_u16 v60, v93 offset:4608
	s_wait_dscnt 0x0
	v_cmp_ne_u16_e64 s30, 0x7fff, v60
	s_delay_alu instid0(VALU_DEP_1) | instskip(NEXT) | instid1(VALU_DEP_1)
	v_cndmask_b32_e64 v60, 0xffff8000, v60, s30
	v_and_b32_e32 v60, 0xffff, v60
	s_delay_alu instid0(VALU_DEP_1) | instskip(NEXT) | instid1(VALU_DEP_1)
	v_lshrrev_b32_e32 v60, s48, v60
	v_and_b32_e32 v131, s52, v60
	s_or_b32 exec_lo, exec_lo, s42
	s_and_saveexec_b32 s42, s22
	s_cbranch_execz .LBB1833_508
.LBB1833_574:                           ;   in Loop: Header=BB1833_388 Depth=2
	ds_load_u16 v60, v93 offset:5120
	s_wait_dscnt 0x0
	v_cmp_ne_u16_e64 s30, 0x7fff, v60
	s_delay_alu instid0(VALU_DEP_1) | instskip(NEXT) | instid1(VALU_DEP_1)
	v_cndmask_b32_e64 v60, 0xffff8000, v60, s30
	v_and_b32_e32 v60, 0xffff, v60
	s_delay_alu instid0(VALU_DEP_1) | instskip(NEXT) | instid1(VALU_DEP_1)
	v_lshrrev_b32_e32 v60, s48, v60
	v_and_b32_e32 v130, s52, v60
	s_or_b32 exec_lo, exec_lo, s42
	s_and_saveexec_b32 s42, s23
	s_cbranch_execz .LBB1833_509
.LBB1833_575:                           ;   in Loop: Header=BB1833_388 Depth=2
	ds_load_u16 v60, v93 offset:5632
	s_wait_dscnt 0x0
	v_cmp_ne_u16_e64 s30, 0x7fff, v60
	s_delay_alu instid0(VALU_DEP_1) | instskip(NEXT) | instid1(VALU_DEP_1)
	v_cndmask_b32_e64 v60, 0xffff8000, v60, s30
	v_and_b32_e32 v60, 0xffff, v60
	s_delay_alu instid0(VALU_DEP_1) | instskip(NEXT) | instid1(VALU_DEP_1)
	v_lshrrev_b32_e32 v60, s48, v60
	v_and_b32_e32 v129, s52, v60
	s_or_b32 exec_lo, exec_lo, s42
	s_and_saveexec_b32 s42, s24
	s_cbranch_execz .LBB1833_510
.LBB1833_576:                           ;   in Loop: Header=BB1833_388 Depth=2
	ds_load_u16 v60, v93 offset:6144
	s_wait_dscnt 0x0
	v_cmp_ne_u16_e64 s30, 0x7fff, v60
	s_delay_alu instid0(VALU_DEP_1) | instskip(NEXT) | instid1(VALU_DEP_1)
	v_cndmask_b32_e64 v60, 0xffff8000, v60, s30
	v_and_b32_e32 v60, 0xffff, v60
	s_delay_alu instid0(VALU_DEP_1) | instskip(NEXT) | instid1(VALU_DEP_1)
	v_lshrrev_b32_e32 v60, s48, v60
	v_and_b32_e32 v128, s52, v60
	s_or_b32 exec_lo, exec_lo, s42
	s_and_saveexec_b32 s42, s25
	s_cbranch_execz .LBB1833_511
.LBB1833_577:                           ;   in Loop: Header=BB1833_388 Depth=2
	ds_load_u16 v60, v93 offset:6656
	s_wait_dscnt 0x0
	v_cmp_ne_u16_e64 s30, 0x7fff, v60
	s_delay_alu instid0(VALU_DEP_1) | instskip(NEXT) | instid1(VALU_DEP_1)
	v_cndmask_b32_e64 v60, 0xffff8000, v60, s30
	v_and_b32_e32 v60, 0xffff, v60
	s_delay_alu instid0(VALU_DEP_1) | instskip(NEXT) | instid1(VALU_DEP_1)
	v_lshrrev_b32_e32 v60, s48, v60
	v_and_b32_e32 v127, s52, v60
	s_or_b32 exec_lo, exec_lo, s42
	s_and_saveexec_b32 s42, s26
	s_cbranch_execz .LBB1833_512
.LBB1833_578:                           ;   in Loop: Header=BB1833_388 Depth=2
	ds_load_u16 v60, v93 offset:7168
	s_wait_dscnt 0x0
	v_cmp_ne_u16_e64 s30, 0x7fff, v60
	s_delay_alu instid0(VALU_DEP_1) | instskip(NEXT) | instid1(VALU_DEP_1)
	v_cndmask_b32_e64 v60, 0xffff8000, v60, s30
	v_and_b32_e32 v60, 0xffff, v60
	s_delay_alu instid0(VALU_DEP_1) | instskip(NEXT) | instid1(VALU_DEP_1)
	v_lshrrev_b32_e32 v60, s48, v60
	v_and_b32_e32 v126, s52, v60
	s_or_b32 exec_lo, exec_lo, s42
	s_and_saveexec_b32 s42, s27
	s_cbranch_execz .LBB1833_513
.LBB1833_579:                           ;   in Loop: Header=BB1833_388 Depth=2
	ds_load_u16 v60, v93 offset:7680
	s_wait_dscnt 0x0
	v_cmp_ne_u16_e64 s30, 0x7fff, v60
	s_delay_alu instid0(VALU_DEP_1) | instskip(NEXT) | instid1(VALU_DEP_1)
	v_cndmask_b32_e64 v60, 0xffff8000, v60, s30
	v_and_b32_e32 v60, 0xffff, v60
	s_delay_alu instid0(VALU_DEP_1) | instskip(NEXT) | instid1(VALU_DEP_1)
	v_lshrrev_b32_e32 v60, s48, v60
	v_and_b32_e32 v125, s52, v60
	s_or_b32 exec_lo, exec_lo, s42
	s_and_saveexec_b32 s42, s28
	s_cbranch_execz .LBB1833_514
.LBB1833_580:                           ;   in Loop: Header=BB1833_388 Depth=2
	ds_load_u16 v60, v93 offset:8192
	s_wait_dscnt 0x0
	v_cmp_ne_u16_e64 s30, 0x7fff, v60
	s_delay_alu instid0(VALU_DEP_1) | instskip(NEXT) | instid1(VALU_DEP_1)
	v_cndmask_b32_e64 v60, 0xffff8000, v60, s30
	v_and_b32_e32 v60, 0xffff, v60
	s_delay_alu instid0(VALU_DEP_1) | instskip(NEXT) | instid1(VALU_DEP_1)
	v_lshrrev_b32_e32 v60, s48, v60
	v_and_b32_e32 v124, s52, v60
	s_or_b32 exec_lo, exec_lo, s42
	s_and_saveexec_b32 s42, s29
	s_cbranch_execnz .LBB1833_515
	s_branch .LBB1833_516
.LBB1833_581:                           ;   in Loop: Header=BB1833_388 Depth=2
	v_lshlrev_b32_e32 v60, 2, v138
	v_add_nc_u32_e32 v61, v93, v94
	ds_load_b32 v63, v60
	ds_load_b64 v[60:61], v61 offset:1024
	s_wait_dscnt 0x1
	v_add_nc_u32_e32 v63, v63, v2
	s_wait_dscnt 0x0
	global_store_b64 v63, v[60:61], s[46:47] scale_offset
	s_wait_xcnt 0x0
	s_or_b32 exec_lo, exec_lo, s30
	s_and_saveexec_b32 s30, s15
	s_cbranch_execz .LBB1833_518
.LBB1833_582:                           ;   in Loop: Header=BB1833_388 Depth=2
	v_dual_lshlrev_b32 v60, 2, v137 :: v_dual_add_nc_u32 v61, v93, v94
	ds_load_b32 v63, v60
	ds_load_b64 v[60:61], v61 offset:3072
	s_wait_dscnt 0x1
	v_add_nc_u32_e32 v63, v63, v68
	s_wait_dscnt 0x0
	global_store_b64 v63, v[60:61], s[46:47] scale_offset
	s_wait_xcnt 0x0
	s_or_b32 exec_lo, exec_lo, s30
	s_and_saveexec_b32 s15, s16
	s_cbranch_execz .LBB1833_519
.LBB1833_583:                           ;   in Loop: Header=BB1833_388 Depth=2
	v_dual_lshlrev_b32 v60, 2, v136 :: v_dual_add_nc_u32 v61, v93, v94
	ds_load_b32 v63, v60
	ds_load_b64 v[60:61], v61 offset:5120
	s_wait_dscnt 0x1
	v_add_nc_u32_e32 v63, v63, v69
	s_wait_dscnt 0x0
	global_store_b64 v63, v[60:61], s[46:47] scale_offset
	s_wait_xcnt 0x0
	s_or_b32 exec_lo, exec_lo, s15
	s_and_saveexec_b32 s15, s17
	s_cbranch_execz .LBB1833_520
.LBB1833_584:                           ;   in Loop: Header=BB1833_388 Depth=2
	v_dual_lshlrev_b32 v60, 2, v135 :: v_dual_add_nc_u32 v61, v93, v94
	ds_load_b32 v63, v60
	ds_load_b64 v[60:61], v61 offset:7168
	s_wait_dscnt 0x1
	v_add_nc_u32_e32 v63, v63, v70
	s_wait_dscnt 0x0
	global_store_b64 v63, v[60:61], s[46:47] scale_offset
	s_wait_xcnt 0x0
	s_or_b32 exec_lo, exec_lo, s15
	s_and_saveexec_b32 s15, s18
	s_cbranch_execz .LBB1833_521
.LBB1833_585:                           ;   in Loop: Header=BB1833_388 Depth=2
	v_lshlrev_b32_e32 v60, 2, v134
	v_add_nc_u32_e32 v61, v93, v94
	ds_load_b32 v63, v60
	ds_load_b64 v[60:61], v61 offset:9216
	s_wait_dscnt 0x1
	v_add_nc_u32_e32 v63, v63, v71
	s_wait_dscnt 0x0
	global_store_b64 v63, v[60:61], s[46:47] scale_offset
	s_wait_xcnt 0x0
	s_or_b32 exec_lo, exec_lo, s15
	s_and_saveexec_b32 s15, s19
	s_cbranch_execz .LBB1833_522
.LBB1833_586:                           ;   in Loop: Header=BB1833_388 Depth=2
	v_dual_lshlrev_b32 v60, 2, v133 :: v_dual_add_nc_u32 v61, v93, v94
	ds_load_b32 v63, v60
	ds_load_b64 v[60:61], v61 offset:11264
	s_wait_dscnt 0x1
	v_add_nc_u32_e32 v63, v63, v72
	s_wait_dscnt 0x0
	global_store_b64 v63, v[60:61], s[46:47] scale_offset
	s_wait_xcnt 0x0
	s_or_b32 exec_lo, exec_lo, s15
	s_and_saveexec_b32 s15, s20
	s_cbranch_execz .LBB1833_523
.LBB1833_587:                           ;   in Loop: Header=BB1833_388 Depth=2
	v_dual_lshlrev_b32 v60, 2, v132 :: v_dual_add_nc_u32 v61, v93, v94
	ds_load_b32 v63, v60
	ds_load_b64 v[60:61], v61 offset:13312
	s_wait_dscnt 0x1
	v_add_nc_u32_e32 v63, v63, v73
	s_wait_dscnt 0x0
	global_store_b64 v63, v[60:61], s[46:47] scale_offset
	s_wait_xcnt 0x0
	s_or_b32 exec_lo, exec_lo, s15
	s_and_saveexec_b32 s15, s21
	s_cbranch_execz .LBB1833_524
.LBB1833_588:                           ;   in Loop: Header=BB1833_388 Depth=2
	v_dual_lshlrev_b32 v60, 2, v131 :: v_dual_add_nc_u32 v61, v93, v94
	ds_load_b32 v63, v60
	ds_load_b64 v[60:61], v61 offset:15360
	s_wait_dscnt 0x1
	v_add_nc_u32_e32 v63, v63, v74
	s_wait_dscnt 0x0
	global_store_b64 v63, v[60:61], s[46:47] scale_offset
	s_wait_xcnt 0x0
	s_or_b32 exec_lo, exec_lo, s15
	s_and_saveexec_b32 s15, s22
	s_cbranch_execz .LBB1833_525
.LBB1833_589:                           ;   in Loop: Header=BB1833_388 Depth=2
	v_lshlrev_b32_e32 v60, 2, v130
	v_add_nc_u32_e32 v61, v93, v94
	ds_load_b32 v63, v60
	ds_load_b64 v[60:61], v61 offset:17408
	s_wait_dscnt 0x1
	v_add_nc_u32_e32 v63, v63, v75
	s_wait_dscnt 0x0
	global_store_b64 v63, v[60:61], s[46:47] scale_offset
	s_wait_xcnt 0x0
	s_or_b32 exec_lo, exec_lo, s15
	s_and_saveexec_b32 s15, s23
	s_cbranch_execz .LBB1833_526
.LBB1833_590:                           ;   in Loop: Header=BB1833_388 Depth=2
	v_dual_lshlrev_b32 v60, 2, v129 :: v_dual_add_nc_u32 v61, v93, v94
	ds_load_b32 v63, v60
	ds_load_b64 v[60:61], v61 offset:19456
	s_wait_dscnt 0x1
	v_add_nc_u32_e32 v63, v63, v76
	s_wait_dscnt 0x0
	global_store_b64 v63, v[60:61], s[46:47] scale_offset
	s_wait_xcnt 0x0
	s_or_b32 exec_lo, exec_lo, s15
	s_and_saveexec_b32 s15, s24
	s_cbranch_execz .LBB1833_527
.LBB1833_591:                           ;   in Loop: Header=BB1833_388 Depth=2
	v_dual_lshlrev_b32 v60, 2, v128 :: v_dual_add_nc_u32 v61, v93, v94
	ds_load_b32 v63, v60
	ds_load_b64 v[60:61], v61 offset:21504
	s_wait_dscnt 0x1
	v_add_nc_u32_e32 v63, v63, v77
	s_wait_dscnt 0x0
	global_store_b64 v63, v[60:61], s[46:47] scale_offset
	s_wait_xcnt 0x0
	s_or_b32 exec_lo, exec_lo, s15
	s_and_saveexec_b32 s15, s25
	s_cbranch_execz .LBB1833_528
.LBB1833_592:                           ;   in Loop: Header=BB1833_388 Depth=2
	v_dual_lshlrev_b32 v60, 2, v127 :: v_dual_add_nc_u32 v61, v93, v94
	ds_load_b32 v63, v60
	ds_load_b64 v[60:61], v61 offset:23552
	s_wait_dscnt 0x1
	v_add_nc_u32_e32 v63, v63, v78
	s_wait_dscnt 0x0
	global_store_b64 v63, v[60:61], s[46:47] scale_offset
	s_wait_xcnt 0x0
	s_or_b32 exec_lo, exec_lo, s15
	s_and_saveexec_b32 s15, s26
	s_cbranch_execz .LBB1833_529
.LBB1833_593:                           ;   in Loop: Header=BB1833_388 Depth=2
	v_lshlrev_b32_e32 v60, 2, v126
	v_add_nc_u32_e32 v61, v93, v94
	ds_load_b32 v63, v60
	ds_load_b64 v[60:61], v61 offset:25600
	s_wait_dscnt 0x1
	v_add_nc_u32_e32 v63, v63, v79
	s_wait_dscnt 0x0
	global_store_b64 v63, v[60:61], s[46:47] scale_offset
	s_wait_xcnt 0x0
	s_or_b32 exec_lo, exec_lo, s15
	s_and_saveexec_b32 s15, s27
	s_cbranch_execz .LBB1833_530
.LBB1833_594:                           ;   in Loop: Header=BB1833_388 Depth=2
	v_dual_lshlrev_b32 v60, 2, v125 :: v_dual_add_nc_u32 v61, v93, v94
	ds_load_b32 v63, v60
	ds_load_b64 v[60:61], v61 offset:27648
	s_wait_dscnt 0x1
	v_add_nc_u32_e32 v63, v63, v80
	s_wait_dscnt 0x0
	global_store_b64 v63, v[60:61], s[46:47] scale_offset
	s_wait_xcnt 0x0
	s_or_b32 exec_lo, exec_lo, s15
	s_and_saveexec_b32 s15, s28
	s_cbranch_execz .LBB1833_531
.LBB1833_595:                           ;   in Loop: Header=BB1833_388 Depth=2
	v_dual_lshlrev_b32 v60, 2, v124 :: v_dual_add_nc_u32 v61, v93, v94
	ds_load_b32 v63, v60
	ds_load_b64 v[60:61], v61 offset:29696
	s_wait_dscnt 0x1
	v_add_nc_u32_e32 v63, v63, v81
	s_wait_dscnt 0x0
	global_store_b64 v63, v[60:61], s[46:47] scale_offset
	s_wait_xcnt 0x0
	s_or_b32 exec_lo, exec_lo, s15
	s_and_saveexec_b32 s15, s29
	s_cbranch_execnz .LBB1833_532
	s_branch .LBB1833_533
.LBB1833_596:                           ;   in Loop: Header=BB1833_12 Depth=1
	s_wait_dscnt 0x0
	s_barrier_signal -1
	s_barrier_wait -1
.LBB1833_597:                           ;   in Loop: Header=BB1833_12 Depth=1
	s_mov_b32 s7, 0
.LBB1833_598:                           ;   in Loop: Header=BB1833_12 Depth=1
	s_delay_alu instid0(SALU_CYCLE_1)
	s_and_not1_b32 vcc_lo, exec_lo, s7
	s_cbranch_vccnz .LBB1833_11
; %bb.599:                              ;   in Loop: Header=BB1833_12 Depth=1
	s_and_b32 vcc_lo, exec_lo, s55
	s_mov_b32 s7, -1
	s_cbranch_vccz .LBB1833_891
; %bb.600:                              ;   in Loop: Header=BB1833_12 Depth=1
	s_mov_b32 s7, s56
	s_mov_b32 s42, s54
	s_barrier_signal -1
	s_barrier_wait -1
                                        ; implicit-def: $vgpr23
                                        ; implicit-def: $vgpr24
                                        ; implicit-def: $vgpr25
                                        ; implicit-def: $vgpr26
                                        ; implicit-def: $vgpr27
                                        ; implicit-def: $vgpr28
                                        ; implicit-def: $vgpr29
                                        ; implicit-def: $vgpr30
                                        ; implicit-def: $vgpr31
                                        ; implicit-def: $vgpr32
                                        ; implicit-def: $vgpr33
                                        ; implicit-def: $vgpr34
                                        ; implicit-def: $vgpr35
                                        ; implicit-def: $vgpr36
                                        ; implicit-def: $vgpr37
                                        ; implicit-def: $vgpr38
	s_branch .LBB1833_602
.LBB1833_601:                           ;   in Loop: Header=BB1833_602 Depth=2
	s_or_b32 exec_lo, exec_lo, s8
	s_addk_co_i32 s7, 0xf000
	s_cmp_ge_u32 s10, s51
	s_mov_b32 s42, s10
	s_cbranch_scc1 .LBB1833_670
.LBB1833_602:                           ;   Parent Loop BB1833_12 Depth=1
                                        ; =>  This Inner Loop Header: Depth=2
	s_add_co_i32 s10, s42, 0x1000
	s_mov_b32 s8, -1
	s_cmp_gt_u32 s10, s51
                                        ; implicit-def: $vgpr39
                                        ; implicit-def: $vgpr40
                                        ; implicit-def: $vgpr41
                                        ; implicit-def: $vgpr42
                                        ; implicit-def: $vgpr43
                                        ; implicit-def: $vgpr44
                                        ; implicit-def: $vgpr45
                                        ; implicit-def: $vgpr46
                                        ; implicit-def: $vgpr47
                                        ; implicit-def: $vgpr48
                                        ; implicit-def: $vgpr49
                                        ; implicit-def: $vgpr50
                                        ; implicit-def: $vgpr51
                                        ; implicit-def: $vgpr52
                                        ; implicit-def: $vgpr53
                                        ; implicit-def: $vgpr54
	s_cbranch_scc1 .LBB1833_604
; %bb.603:                              ;   in Loop: Header=BB1833_602 Depth=2
	v_lshl_add_u64 v[54:55], s[42:43], 1, v[16:17]
	s_mov_b32 s8, 0
	s_clause 0xf
	global_load_u16 v39, v[54:55], off
	global_load_u16 v40, v[54:55], off offset:512
	global_load_u16 v41, v[54:55], off offset:1024
	;; [unrolled: 1-line block ×15, first 2 shown]
.LBB1833_604:                           ;   in Loop: Header=BB1833_602 Depth=2
	s_and_not1_b32 vcc_lo, exec_lo, s8
	s_movk_i32 s8, 0x1000
	s_cbranch_vccnz .LBB1833_623
; %bb.605:                              ;   in Loop: Header=BB1833_602 Depth=2
	s_lshl_b64 s[8:9], s[42:43], 1
	s_mov_b32 s11, exec_lo
	s_add_nc_u64 s[8:9], s[36:37], s[8:9]
	s_wait_xcnt 0x0
	v_cmpx_gt_u32_e64 s7, v2
	s_cbranch_execnz .LBB1833_655
; %bb.606:                              ;   in Loop: Header=BB1833_602 Depth=2
	s_or_b32 exec_lo, exec_lo, s11
	s_delay_alu instid0(SALU_CYCLE_1)
	s_mov_b32 s11, exec_lo
	v_cmpx_gt_u32_e64 s7, v68
	s_cbranch_execnz .LBB1833_656
.LBB1833_607:                           ;   in Loop: Header=BB1833_602 Depth=2
	s_or_b32 exec_lo, exec_lo, s11
	s_delay_alu instid0(SALU_CYCLE_1)
	s_mov_b32 s11, exec_lo
	v_cmpx_gt_u32_e64 s7, v69
	s_cbranch_execnz .LBB1833_657
.LBB1833_608:                           ;   in Loop: Header=BB1833_602 Depth=2
	s_or_b32 exec_lo, exec_lo, s11
	s_delay_alu instid0(SALU_CYCLE_1)
	s_mov_b32 s11, exec_lo
	v_cmpx_gt_u32_e64 s7, v70
	s_cbranch_execnz .LBB1833_658
.LBB1833_609:                           ;   in Loop: Header=BB1833_602 Depth=2
	s_or_b32 exec_lo, exec_lo, s11
	s_delay_alu instid0(SALU_CYCLE_1)
	s_mov_b32 s11, exec_lo
	v_cmpx_gt_u32_e64 s7, v71
	s_cbranch_execnz .LBB1833_659
.LBB1833_610:                           ;   in Loop: Header=BB1833_602 Depth=2
	s_or_b32 exec_lo, exec_lo, s11
	s_delay_alu instid0(SALU_CYCLE_1)
	s_mov_b32 s11, exec_lo
	v_cmpx_gt_u32_e64 s7, v72
	s_cbranch_execnz .LBB1833_660
.LBB1833_611:                           ;   in Loop: Header=BB1833_602 Depth=2
	s_or_b32 exec_lo, exec_lo, s11
	s_delay_alu instid0(SALU_CYCLE_1)
	s_mov_b32 s11, exec_lo
	v_cmpx_gt_u32_e64 s7, v73
	s_cbranch_execnz .LBB1833_661
.LBB1833_612:                           ;   in Loop: Header=BB1833_602 Depth=2
	s_or_b32 exec_lo, exec_lo, s11
	s_delay_alu instid0(SALU_CYCLE_1)
	s_mov_b32 s11, exec_lo
	v_cmpx_gt_u32_e64 s7, v74
	s_cbranch_execnz .LBB1833_662
.LBB1833_613:                           ;   in Loop: Header=BB1833_602 Depth=2
	s_or_b32 exec_lo, exec_lo, s11
	s_delay_alu instid0(SALU_CYCLE_1)
	s_mov_b32 s11, exec_lo
	v_cmpx_gt_u32_e64 s7, v75
	s_cbranch_execnz .LBB1833_663
.LBB1833_614:                           ;   in Loop: Header=BB1833_602 Depth=2
	s_or_b32 exec_lo, exec_lo, s11
	s_delay_alu instid0(SALU_CYCLE_1)
	s_mov_b32 s11, exec_lo
	v_cmpx_gt_u32_e64 s7, v76
	s_cbranch_execnz .LBB1833_664
.LBB1833_615:                           ;   in Loop: Header=BB1833_602 Depth=2
	s_or_b32 exec_lo, exec_lo, s11
	s_delay_alu instid0(SALU_CYCLE_1)
	s_mov_b32 s11, exec_lo
	v_cmpx_gt_u32_e64 s7, v77
	s_cbranch_execnz .LBB1833_665
.LBB1833_616:                           ;   in Loop: Header=BB1833_602 Depth=2
	s_or_b32 exec_lo, exec_lo, s11
	s_delay_alu instid0(SALU_CYCLE_1)
	s_mov_b32 s11, exec_lo
	v_cmpx_gt_u32_e64 s7, v78
	s_cbranch_execnz .LBB1833_666
.LBB1833_617:                           ;   in Loop: Header=BB1833_602 Depth=2
	s_or_b32 exec_lo, exec_lo, s11
	s_delay_alu instid0(SALU_CYCLE_1)
	s_mov_b32 s11, exec_lo
	v_cmpx_gt_u32_e64 s7, v79
	s_cbranch_execnz .LBB1833_667
.LBB1833_618:                           ;   in Loop: Header=BB1833_602 Depth=2
	s_or_b32 exec_lo, exec_lo, s11
	s_delay_alu instid0(SALU_CYCLE_1)
	s_mov_b32 s11, exec_lo
	v_cmpx_gt_u32_e64 s7, v80
	s_cbranch_execnz .LBB1833_668
.LBB1833_619:                           ;   in Loop: Header=BB1833_602 Depth=2
	s_or_b32 exec_lo, exec_lo, s11
	s_delay_alu instid0(SALU_CYCLE_1)
	s_mov_b32 s11, exec_lo
	v_cmpx_gt_u32_e64 s7, v81
	s_cbranch_execnz .LBB1833_669
.LBB1833_620:                           ;   in Loop: Header=BB1833_602 Depth=2
	s_or_b32 exec_lo, exec_lo, s11
	s_delay_alu instid0(SALU_CYCLE_1)
	s_mov_b32 s11, exec_lo
	v_cmpx_gt_u32_e64 s7, v82
	s_cbranch_execz .LBB1833_622
.LBB1833_621:                           ;   in Loop: Header=BB1833_602 Depth=2
	global_load_u16 v23, v2, s[8:9] offset:7680 scale_offset
.LBB1833_622:                           ;   in Loop: Header=BB1833_602 Depth=2
	s_wait_xcnt 0x0
	s_or_b32 exec_lo, exec_lo, s11
	s_wait_loadcnt 0x0
	v_dual_mov_b32 v39, v38 :: v_dual_mov_b32 v40, v37
	v_dual_mov_b32 v41, v36 :: v_dual_mov_b32 v42, v35
	;; [unrolled: 1-line block ×8, first 2 shown]
	s_mov_b32 s8, s7
.LBB1833_623:                           ;   in Loop: Header=BB1833_602 Depth=2
	s_wait_loadcnt 0x0
	s_delay_alu instid0(VALU_DEP_1)
	v_dual_mov_b32 v23, v54 :: v_dual_mov_b32 v24, v53
	v_dual_mov_b32 v25, v52 :: v_dual_mov_b32 v26, v51
	;; [unrolled: 1-line block ×8, first 2 shown]
	s_mov_b32 s9, exec_lo
	s_wait_xcnt 0x0
	v_cmpx_gt_u32_e64 s8, v2
	s_cbranch_execnz .LBB1833_639
; %bb.624:                              ;   in Loop: Header=BB1833_602 Depth=2
	s_or_b32 exec_lo, exec_lo, s9
	s_delay_alu instid0(SALU_CYCLE_1)
	s_mov_b32 s9, exec_lo
	v_cmpx_gt_u32_e64 s8, v68
	s_cbranch_execnz .LBB1833_640
.LBB1833_625:                           ;   in Loop: Header=BB1833_602 Depth=2
	s_or_b32 exec_lo, exec_lo, s9
	s_delay_alu instid0(SALU_CYCLE_1)
	s_mov_b32 s9, exec_lo
	v_cmpx_gt_u32_e64 s8, v69
	s_cbranch_execnz .LBB1833_641
.LBB1833_626:                           ;   in Loop: Header=BB1833_602 Depth=2
	s_or_b32 exec_lo, exec_lo, s9
	s_delay_alu instid0(SALU_CYCLE_1)
	s_mov_b32 s9, exec_lo
	v_cmpx_gt_u32_e64 s8, v70
	s_cbranch_execnz .LBB1833_642
.LBB1833_627:                           ;   in Loop: Header=BB1833_602 Depth=2
	s_or_b32 exec_lo, exec_lo, s9
	s_delay_alu instid0(SALU_CYCLE_1)
	s_mov_b32 s9, exec_lo
	v_cmpx_gt_u32_e64 s8, v71
	s_cbranch_execnz .LBB1833_643
.LBB1833_628:                           ;   in Loop: Header=BB1833_602 Depth=2
	s_or_b32 exec_lo, exec_lo, s9
	s_delay_alu instid0(SALU_CYCLE_1)
	s_mov_b32 s9, exec_lo
	v_cmpx_gt_u32_e64 s8, v72
	s_cbranch_execnz .LBB1833_644
.LBB1833_629:                           ;   in Loop: Header=BB1833_602 Depth=2
	s_or_b32 exec_lo, exec_lo, s9
	s_delay_alu instid0(SALU_CYCLE_1)
	s_mov_b32 s9, exec_lo
	v_cmpx_gt_u32_e64 s8, v73
	s_cbranch_execnz .LBB1833_645
.LBB1833_630:                           ;   in Loop: Header=BB1833_602 Depth=2
	s_or_b32 exec_lo, exec_lo, s9
	s_delay_alu instid0(SALU_CYCLE_1)
	s_mov_b32 s9, exec_lo
	v_cmpx_gt_u32_e64 s8, v74
	s_cbranch_execnz .LBB1833_646
.LBB1833_631:                           ;   in Loop: Header=BB1833_602 Depth=2
	s_or_b32 exec_lo, exec_lo, s9
	s_delay_alu instid0(SALU_CYCLE_1)
	s_mov_b32 s9, exec_lo
	v_cmpx_gt_u32_e64 s8, v75
	s_cbranch_execnz .LBB1833_647
.LBB1833_632:                           ;   in Loop: Header=BB1833_602 Depth=2
	s_or_b32 exec_lo, exec_lo, s9
	s_delay_alu instid0(SALU_CYCLE_1)
	s_mov_b32 s9, exec_lo
	v_cmpx_gt_u32_e64 s8, v76
	s_cbranch_execnz .LBB1833_648
.LBB1833_633:                           ;   in Loop: Header=BB1833_602 Depth=2
	s_or_b32 exec_lo, exec_lo, s9
	s_delay_alu instid0(SALU_CYCLE_1)
	s_mov_b32 s9, exec_lo
	v_cmpx_gt_u32_e64 s8, v77
	s_cbranch_execnz .LBB1833_649
.LBB1833_634:                           ;   in Loop: Header=BB1833_602 Depth=2
	s_or_b32 exec_lo, exec_lo, s9
	s_delay_alu instid0(SALU_CYCLE_1)
	s_mov_b32 s9, exec_lo
	v_cmpx_gt_u32_e64 s8, v78
	s_cbranch_execnz .LBB1833_650
.LBB1833_635:                           ;   in Loop: Header=BB1833_602 Depth=2
	s_or_b32 exec_lo, exec_lo, s9
	s_delay_alu instid0(SALU_CYCLE_1)
	s_mov_b32 s9, exec_lo
	v_cmpx_gt_u32_e64 s8, v79
	s_cbranch_execnz .LBB1833_651
.LBB1833_636:                           ;   in Loop: Header=BB1833_602 Depth=2
	s_or_b32 exec_lo, exec_lo, s9
	s_delay_alu instid0(SALU_CYCLE_1)
	s_mov_b32 s9, exec_lo
	v_cmpx_gt_u32_e64 s8, v80
	s_cbranch_execnz .LBB1833_652
.LBB1833_637:                           ;   in Loop: Header=BB1833_602 Depth=2
	s_or_b32 exec_lo, exec_lo, s9
	s_delay_alu instid0(SALU_CYCLE_1)
	s_mov_b32 s9, exec_lo
	v_cmpx_gt_u32_e64 s8, v81
	s_cbranch_execnz .LBB1833_653
.LBB1833_638:                           ;   in Loop: Header=BB1833_602 Depth=2
	s_or_b32 exec_lo, exec_lo, s9
	v_cmp_gt_u32_e32 vcc_lo, s8, v82
	s_and_saveexec_b32 s8, vcc_lo
	s_cbranch_execz .LBB1833_601
	s_branch .LBB1833_654
.LBB1833_639:                           ;   in Loop: Header=BB1833_602 Depth=2
	v_cmp_lt_i16_e32 vcc_lo, -1, v38
	v_cndmask_b32_e64 v39, -1, 0xffff8000, vcc_lo
	s_delay_alu instid0(VALU_DEP_1) | instskip(NEXT) | instid1(VALU_DEP_1)
	v_xor_b32_e32 v39, v39, v38
	v_cmp_ne_u16_e32 vcc_lo, 0x7fff, v39
	v_cndmask_b32_e32 v39, 0xffff8000, v39, vcc_lo
	s_delay_alu instid0(VALU_DEP_1) | instskip(NEXT) | instid1(VALU_DEP_1)
	v_and_b32_e32 v39, 0xffff, v39
	v_lshrrev_b32_e32 v39, s49, v39
	s_delay_alu instid0(VALU_DEP_1) | instskip(NEXT) | instid1(VALU_DEP_1)
	v_and_b32_e32 v39, s52, v39
	v_lshl_or_b32 v39, v39, 4, v83
	ds_add_u32 v39, v96
	s_or_b32 exec_lo, exec_lo, s9
	s_delay_alu instid0(SALU_CYCLE_1)
	s_mov_b32 s9, exec_lo
	v_cmpx_gt_u32_e64 s8, v68
	s_cbranch_execz .LBB1833_625
.LBB1833_640:                           ;   in Loop: Header=BB1833_602 Depth=2
	v_cmp_lt_i16_e32 vcc_lo, -1, v37
	v_cndmask_b32_e64 v39, -1, 0xffff8000, vcc_lo
	s_delay_alu instid0(VALU_DEP_1) | instskip(NEXT) | instid1(VALU_DEP_1)
	v_xor_b32_e32 v39, v39, v37
	v_cmp_ne_u16_e32 vcc_lo, 0x7fff, v39
	v_cndmask_b32_e32 v39, 0xffff8000, v39, vcc_lo
	s_delay_alu instid0(VALU_DEP_1) | instskip(NEXT) | instid1(VALU_DEP_1)
	v_and_b32_e32 v39, 0xffff, v39
	v_lshrrev_b32_e32 v39, s49, v39
	s_delay_alu instid0(VALU_DEP_1) | instskip(NEXT) | instid1(VALU_DEP_1)
	v_and_b32_e32 v39, s52, v39
	v_lshl_or_b32 v39, v39, 4, v83
	ds_add_u32 v39, v96
	s_or_b32 exec_lo, exec_lo, s9
	s_delay_alu instid0(SALU_CYCLE_1)
	s_mov_b32 s9, exec_lo
	v_cmpx_gt_u32_e64 s8, v69
	s_cbranch_execz .LBB1833_626
.LBB1833_641:                           ;   in Loop: Header=BB1833_602 Depth=2
	v_cmp_lt_i16_e32 vcc_lo, -1, v36
	v_cndmask_b32_e64 v39, -1, 0xffff8000, vcc_lo
	s_delay_alu instid0(VALU_DEP_1) | instskip(NEXT) | instid1(VALU_DEP_1)
	v_xor_b32_e32 v39, v39, v36
	v_cmp_ne_u16_e32 vcc_lo, 0x7fff, v39
	v_cndmask_b32_e32 v39, 0xffff8000, v39, vcc_lo
	s_delay_alu instid0(VALU_DEP_1) | instskip(NEXT) | instid1(VALU_DEP_1)
	v_and_b32_e32 v39, 0xffff, v39
	v_lshrrev_b32_e32 v39, s49, v39
	s_delay_alu instid0(VALU_DEP_1) | instskip(NEXT) | instid1(VALU_DEP_1)
	v_and_b32_e32 v39, s52, v39
	v_lshl_or_b32 v39, v39, 4, v83
	ds_add_u32 v39, v96
	s_or_b32 exec_lo, exec_lo, s9
	s_delay_alu instid0(SALU_CYCLE_1)
	s_mov_b32 s9, exec_lo
	v_cmpx_gt_u32_e64 s8, v70
	s_cbranch_execz .LBB1833_627
.LBB1833_642:                           ;   in Loop: Header=BB1833_602 Depth=2
	v_cmp_lt_i16_e32 vcc_lo, -1, v35
	v_cndmask_b32_e64 v39, -1, 0xffff8000, vcc_lo
	s_delay_alu instid0(VALU_DEP_1) | instskip(NEXT) | instid1(VALU_DEP_1)
	v_xor_b32_e32 v39, v39, v35
	v_cmp_ne_u16_e32 vcc_lo, 0x7fff, v39
	v_cndmask_b32_e32 v39, 0xffff8000, v39, vcc_lo
	s_delay_alu instid0(VALU_DEP_1) | instskip(NEXT) | instid1(VALU_DEP_1)
	v_and_b32_e32 v39, 0xffff, v39
	v_lshrrev_b32_e32 v39, s49, v39
	s_delay_alu instid0(VALU_DEP_1) | instskip(NEXT) | instid1(VALU_DEP_1)
	v_and_b32_e32 v39, s52, v39
	v_lshl_or_b32 v39, v39, 4, v83
	ds_add_u32 v39, v96
	s_or_b32 exec_lo, exec_lo, s9
	s_delay_alu instid0(SALU_CYCLE_1)
	s_mov_b32 s9, exec_lo
	v_cmpx_gt_u32_e64 s8, v71
	s_cbranch_execz .LBB1833_628
.LBB1833_643:                           ;   in Loop: Header=BB1833_602 Depth=2
	v_cmp_lt_i16_e32 vcc_lo, -1, v34
	v_cndmask_b32_e64 v39, -1, 0xffff8000, vcc_lo
	s_delay_alu instid0(VALU_DEP_1) | instskip(NEXT) | instid1(VALU_DEP_1)
	v_xor_b32_e32 v39, v39, v34
	v_cmp_ne_u16_e32 vcc_lo, 0x7fff, v39
	v_cndmask_b32_e32 v39, 0xffff8000, v39, vcc_lo
	s_delay_alu instid0(VALU_DEP_1) | instskip(NEXT) | instid1(VALU_DEP_1)
	v_and_b32_e32 v39, 0xffff, v39
	v_lshrrev_b32_e32 v39, s49, v39
	s_delay_alu instid0(VALU_DEP_1) | instskip(NEXT) | instid1(VALU_DEP_1)
	v_and_b32_e32 v39, s52, v39
	v_lshl_or_b32 v39, v39, 4, v83
	ds_add_u32 v39, v96
	s_or_b32 exec_lo, exec_lo, s9
	s_delay_alu instid0(SALU_CYCLE_1)
	s_mov_b32 s9, exec_lo
	v_cmpx_gt_u32_e64 s8, v72
	s_cbranch_execz .LBB1833_629
.LBB1833_644:                           ;   in Loop: Header=BB1833_602 Depth=2
	v_cmp_lt_i16_e32 vcc_lo, -1, v33
	v_cndmask_b32_e64 v39, -1, 0xffff8000, vcc_lo
	s_delay_alu instid0(VALU_DEP_1) | instskip(NEXT) | instid1(VALU_DEP_1)
	v_xor_b32_e32 v39, v39, v33
	v_cmp_ne_u16_e32 vcc_lo, 0x7fff, v39
	v_cndmask_b32_e32 v39, 0xffff8000, v39, vcc_lo
	s_delay_alu instid0(VALU_DEP_1) | instskip(NEXT) | instid1(VALU_DEP_1)
	v_and_b32_e32 v39, 0xffff, v39
	v_lshrrev_b32_e32 v39, s49, v39
	s_delay_alu instid0(VALU_DEP_1) | instskip(NEXT) | instid1(VALU_DEP_1)
	v_and_b32_e32 v39, s52, v39
	v_lshl_or_b32 v39, v39, 4, v83
	ds_add_u32 v39, v96
	s_or_b32 exec_lo, exec_lo, s9
	s_delay_alu instid0(SALU_CYCLE_1)
	s_mov_b32 s9, exec_lo
	v_cmpx_gt_u32_e64 s8, v73
	s_cbranch_execz .LBB1833_630
.LBB1833_645:                           ;   in Loop: Header=BB1833_602 Depth=2
	v_cmp_lt_i16_e32 vcc_lo, -1, v32
	v_cndmask_b32_e64 v39, -1, 0xffff8000, vcc_lo
	s_delay_alu instid0(VALU_DEP_1) | instskip(NEXT) | instid1(VALU_DEP_1)
	v_xor_b32_e32 v39, v39, v32
	v_cmp_ne_u16_e32 vcc_lo, 0x7fff, v39
	v_cndmask_b32_e32 v39, 0xffff8000, v39, vcc_lo
	s_delay_alu instid0(VALU_DEP_1) | instskip(NEXT) | instid1(VALU_DEP_1)
	v_and_b32_e32 v39, 0xffff, v39
	v_lshrrev_b32_e32 v39, s49, v39
	s_delay_alu instid0(VALU_DEP_1) | instskip(NEXT) | instid1(VALU_DEP_1)
	v_and_b32_e32 v39, s52, v39
	v_lshl_or_b32 v39, v39, 4, v83
	ds_add_u32 v39, v96
	s_or_b32 exec_lo, exec_lo, s9
	s_delay_alu instid0(SALU_CYCLE_1)
	s_mov_b32 s9, exec_lo
	v_cmpx_gt_u32_e64 s8, v74
	s_cbranch_execz .LBB1833_631
.LBB1833_646:                           ;   in Loop: Header=BB1833_602 Depth=2
	v_cmp_lt_i16_e32 vcc_lo, -1, v31
	v_cndmask_b32_e64 v39, -1, 0xffff8000, vcc_lo
	s_delay_alu instid0(VALU_DEP_1) | instskip(NEXT) | instid1(VALU_DEP_1)
	v_xor_b32_e32 v39, v39, v31
	v_cmp_ne_u16_e32 vcc_lo, 0x7fff, v39
	v_cndmask_b32_e32 v39, 0xffff8000, v39, vcc_lo
	s_delay_alu instid0(VALU_DEP_1) | instskip(NEXT) | instid1(VALU_DEP_1)
	v_and_b32_e32 v39, 0xffff, v39
	v_lshrrev_b32_e32 v39, s49, v39
	s_delay_alu instid0(VALU_DEP_1) | instskip(NEXT) | instid1(VALU_DEP_1)
	v_and_b32_e32 v39, s52, v39
	v_lshl_or_b32 v39, v39, 4, v83
	ds_add_u32 v39, v96
	s_or_b32 exec_lo, exec_lo, s9
	s_delay_alu instid0(SALU_CYCLE_1)
	s_mov_b32 s9, exec_lo
	v_cmpx_gt_u32_e64 s8, v75
	s_cbranch_execz .LBB1833_632
.LBB1833_647:                           ;   in Loop: Header=BB1833_602 Depth=2
	v_cmp_lt_i16_e32 vcc_lo, -1, v30
	v_cndmask_b32_e64 v39, -1, 0xffff8000, vcc_lo
	s_delay_alu instid0(VALU_DEP_1) | instskip(NEXT) | instid1(VALU_DEP_1)
	v_xor_b32_e32 v39, v39, v30
	v_cmp_ne_u16_e32 vcc_lo, 0x7fff, v39
	v_cndmask_b32_e32 v39, 0xffff8000, v39, vcc_lo
	s_delay_alu instid0(VALU_DEP_1) | instskip(NEXT) | instid1(VALU_DEP_1)
	v_and_b32_e32 v39, 0xffff, v39
	v_lshrrev_b32_e32 v39, s49, v39
	s_delay_alu instid0(VALU_DEP_1) | instskip(NEXT) | instid1(VALU_DEP_1)
	v_and_b32_e32 v39, s52, v39
	v_lshl_or_b32 v39, v39, 4, v83
	ds_add_u32 v39, v96
	s_or_b32 exec_lo, exec_lo, s9
	s_delay_alu instid0(SALU_CYCLE_1)
	s_mov_b32 s9, exec_lo
	v_cmpx_gt_u32_e64 s8, v76
	s_cbranch_execz .LBB1833_633
.LBB1833_648:                           ;   in Loop: Header=BB1833_602 Depth=2
	v_cmp_lt_i16_e32 vcc_lo, -1, v29
	v_cndmask_b32_e64 v39, -1, 0xffff8000, vcc_lo
	s_delay_alu instid0(VALU_DEP_1) | instskip(NEXT) | instid1(VALU_DEP_1)
	v_xor_b32_e32 v39, v39, v29
	v_cmp_ne_u16_e32 vcc_lo, 0x7fff, v39
	v_cndmask_b32_e32 v39, 0xffff8000, v39, vcc_lo
	s_delay_alu instid0(VALU_DEP_1) | instskip(NEXT) | instid1(VALU_DEP_1)
	v_and_b32_e32 v39, 0xffff, v39
	v_lshrrev_b32_e32 v39, s49, v39
	s_delay_alu instid0(VALU_DEP_1) | instskip(NEXT) | instid1(VALU_DEP_1)
	v_and_b32_e32 v39, s52, v39
	v_lshl_or_b32 v39, v39, 4, v83
	ds_add_u32 v39, v96
	s_or_b32 exec_lo, exec_lo, s9
	s_delay_alu instid0(SALU_CYCLE_1)
	s_mov_b32 s9, exec_lo
	v_cmpx_gt_u32_e64 s8, v77
	s_cbranch_execz .LBB1833_634
.LBB1833_649:                           ;   in Loop: Header=BB1833_602 Depth=2
	v_cmp_lt_i16_e32 vcc_lo, -1, v28
	v_cndmask_b32_e64 v39, -1, 0xffff8000, vcc_lo
	s_delay_alu instid0(VALU_DEP_1) | instskip(NEXT) | instid1(VALU_DEP_1)
	v_xor_b32_e32 v39, v39, v28
	v_cmp_ne_u16_e32 vcc_lo, 0x7fff, v39
	v_cndmask_b32_e32 v39, 0xffff8000, v39, vcc_lo
	s_delay_alu instid0(VALU_DEP_1) | instskip(NEXT) | instid1(VALU_DEP_1)
	v_and_b32_e32 v39, 0xffff, v39
	v_lshrrev_b32_e32 v39, s49, v39
	s_delay_alu instid0(VALU_DEP_1) | instskip(NEXT) | instid1(VALU_DEP_1)
	v_and_b32_e32 v39, s52, v39
	v_lshl_or_b32 v39, v39, 4, v83
	ds_add_u32 v39, v96
	s_or_b32 exec_lo, exec_lo, s9
	s_delay_alu instid0(SALU_CYCLE_1)
	s_mov_b32 s9, exec_lo
	v_cmpx_gt_u32_e64 s8, v78
	s_cbranch_execz .LBB1833_635
.LBB1833_650:                           ;   in Loop: Header=BB1833_602 Depth=2
	v_cmp_lt_i16_e32 vcc_lo, -1, v27
	v_cndmask_b32_e64 v39, -1, 0xffff8000, vcc_lo
	s_delay_alu instid0(VALU_DEP_1) | instskip(NEXT) | instid1(VALU_DEP_1)
	v_xor_b32_e32 v39, v39, v27
	v_cmp_ne_u16_e32 vcc_lo, 0x7fff, v39
	v_cndmask_b32_e32 v39, 0xffff8000, v39, vcc_lo
	s_delay_alu instid0(VALU_DEP_1) | instskip(NEXT) | instid1(VALU_DEP_1)
	v_and_b32_e32 v39, 0xffff, v39
	v_lshrrev_b32_e32 v39, s49, v39
	s_delay_alu instid0(VALU_DEP_1) | instskip(NEXT) | instid1(VALU_DEP_1)
	v_and_b32_e32 v39, s52, v39
	v_lshl_or_b32 v39, v39, 4, v83
	ds_add_u32 v39, v96
	s_or_b32 exec_lo, exec_lo, s9
	s_delay_alu instid0(SALU_CYCLE_1)
	s_mov_b32 s9, exec_lo
	v_cmpx_gt_u32_e64 s8, v79
	s_cbranch_execz .LBB1833_636
.LBB1833_651:                           ;   in Loop: Header=BB1833_602 Depth=2
	v_cmp_lt_i16_e32 vcc_lo, -1, v26
	v_cndmask_b32_e64 v39, -1, 0xffff8000, vcc_lo
	s_delay_alu instid0(VALU_DEP_1) | instskip(NEXT) | instid1(VALU_DEP_1)
	v_xor_b32_e32 v39, v39, v26
	v_cmp_ne_u16_e32 vcc_lo, 0x7fff, v39
	v_cndmask_b32_e32 v39, 0xffff8000, v39, vcc_lo
	s_delay_alu instid0(VALU_DEP_1) | instskip(NEXT) | instid1(VALU_DEP_1)
	v_and_b32_e32 v39, 0xffff, v39
	v_lshrrev_b32_e32 v39, s49, v39
	s_delay_alu instid0(VALU_DEP_1) | instskip(NEXT) | instid1(VALU_DEP_1)
	v_and_b32_e32 v39, s52, v39
	v_lshl_or_b32 v39, v39, 4, v83
	ds_add_u32 v39, v96
	s_or_b32 exec_lo, exec_lo, s9
	s_delay_alu instid0(SALU_CYCLE_1)
	s_mov_b32 s9, exec_lo
	v_cmpx_gt_u32_e64 s8, v80
	s_cbranch_execz .LBB1833_637
.LBB1833_652:                           ;   in Loop: Header=BB1833_602 Depth=2
	v_cmp_lt_i16_e32 vcc_lo, -1, v25
	v_cndmask_b32_e64 v39, -1, 0xffff8000, vcc_lo
	s_delay_alu instid0(VALU_DEP_1) | instskip(NEXT) | instid1(VALU_DEP_1)
	v_xor_b32_e32 v39, v39, v25
	v_cmp_ne_u16_e32 vcc_lo, 0x7fff, v39
	v_cndmask_b32_e32 v39, 0xffff8000, v39, vcc_lo
	s_delay_alu instid0(VALU_DEP_1) | instskip(NEXT) | instid1(VALU_DEP_1)
	v_and_b32_e32 v39, 0xffff, v39
	v_lshrrev_b32_e32 v39, s49, v39
	s_delay_alu instid0(VALU_DEP_1) | instskip(NEXT) | instid1(VALU_DEP_1)
	v_and_b32_e32 v39, s52, v39
	v_lshl_or_b32 v39, v39, 4, v83
	ds_add_u32 v39, v96
	s_or_b32 exec_lo, exec_lo, s9
	s_delay_alu instid0(SALU_CYCLE_1)
	s_mov_b32 s9, exec_lo
	v_cmpx_gt_u32_e64 s8, v81
	s_cbranch_execz .LBB1833_638
.LBB1833_653:                           ;   in Loop: Header=BB1833_602 Depth=2
	v_cmp_lt_i16_e32 vcc_lo, -1, v24
	v_cndmask_b32_e64 v39, -1, 0xffff8000, vcc_lo
	s_delay_alu instid0(VALU_DEP_1) | instskip(NEXT) | instid1(VALU_DEP_1)
	v_xor_b32_e32 v39, v39, v24
	v_cmp_ne_u16_e32 vcc_lo, 0x7fff, v39
	v_cndmask_b32_e32 v39, 0xffff8000, v39, vcc_lo
	s_delay_alu instid0(VALU_DEP_1) | instskip(NEXT) | instid1(VALU_DEP_1)
	v_and_b32_e32 v39, 0xffff, v39
	v_lshrrev_b32_e32 v39, s49, v39
	s_delay_alu instid0(VALU_DEP_1) | instskip(NEXT) | instid1(VALU_DEP_1)
	v_and_b32_e32 v39, s52, v39
	v_lshl_or_b32 v39, v39, 4, v83
	ds_add_u32 v39, v96
	s_or_b32 exec_lo, exec_lo, s9
	v_cmp_gt_u32_e32 vcc_lo, s8, v82
	s_and_saveexec_b32 s8, vcc_lo
	s_cbranch_execz .LBB1833_601
.LBB1833_654:                           ;   in Loop: Header=BB1833_602 Depth=2
	v_cmp_lt_i16_e32 vcc_lo, -1, v23
	v_cndmask_b32_e64 v39, -1, 0xffff8000, vcc_lo
	s_delay_alu instid0(VALU_DEP_1) | instskip(NEXT) | instid1(VALU_DEP_1)
	v_xor_b32_e32 v39, v39, v23
	v_cmp_ne_u16_e32 vcc_lo, 0x7fff, v39
	v_cndmask_b32_e32 v39, 0xffff8000, v39, vcc_lo
	s_delay_alu instid0(VALU_DEP_1) | instskip(NEXT) | instid1(VALU_DEP_1)
	v_and_b32_e32 v39, 0xffff, v39
	v_lshrrev_b32_e32 v39, s49, v39
	s_delay_alu instid0(VALU_DEP_1) | instskip(NEXT) | instid1(VALU_DEP_1)
	v_and_b32_e32 v39, s52, v39
	v_lshl_or_b32 v39, v39, 4, v83
	ds_add_u32 v39, v96
	s_branch .LBB1833_601
.LBB1833_655:                           ;   in Loop: Header=BB1833_602 Depth=2
	global_load_u16 v38, v2, s[8:9] scale_offset
	s_wait_xcnt 0x0
	s_or_b32 exec_lo, exec_lo, s11
	s_delay_alu instid0(SALU_CYCLE_1)
	s_mov_b32 s11, exec_lo
	v_cmpx_gt_u32_e64 s7, v68
	s_cbranch_execz .LBB1833_607
.LBB1833_656:                           ;   in Loop: Header=BB1833_602 Depth=2
	global_load_u16 v37, v2, s[8:9] offset:512 scale_offset
	s_wait_xcnt 0x0
	s_or_b32 exec_lo, exec_lo, s11
	s_delay_alu instid0(SALU_CYCLE_1)
	s_mov_b32 s11, exec_lo
	v_cmpx_gt_u32_e64 s7, v69
	s_cbranch_execz .LBB1833_608
.LBB1833_657:                           ;   in Loop: Header=BB1833_602 Depth=2
	global_load_u16 v36, v2, s[8:9] offset:1024 scale_offset
	s_wait_xcnt 0x0
	s_or_b32 exec_lo, exec_lo, s11
	s_delay_alu instid0(SALU_CYCLE_1)
	s_mov_b32 s11, exec_lo
	v_cmpx_gt_u32_e64 s7, v70
	s_cbranch_execz .LBB1833_609
.LBB1833_658:                           ;   in Loop: Header=BB1833_602 Depth=2
	global_load_u16 v35, v2, s[8:9] offset:1536 scale_offset
	s_wait_xcnt 0x0
	s_or_b32 exec_lo, exec_lo, s11
	s_delay_alu instid0(SALU_CYCLE_1)
	s_mov_b32 s11, exec_lo
	v_cmpx_gt_u32_e64 s7, v71
	s_cbranch_execz .LBB1833_610
.LBB1833_659:                           ;   in Loop: Header=BB1833_602 Depth=2
	global_load_u16 v34, v2, s[8:9] offset:2048 scale_offset
	s_wait_xcnt 0x0
	s_or_b32 exec_lo, exec_lo, s11
	s_delay_alu instid0(SALU_CYCLE_1)
	s_mov_b32 s11, exec_lo
	v_cmpx_gt_u32_e64 s7, v72
	s_cbranch_execz .LBB1833_611
.LBB1833_660:                           ;   in Loop: Header=BB1833_602 Depth=2
	global_load_u16 v33, v2, s[8:9] offset:2560 scale_offset
	s_wait_xcnt 0x0
	s_or_b32 exec_lo, exec_lo, s11
	s_delay_alu instid0(SALU_CYCLE_1)
	s_mov_b32 s11, exec_lo
	v_cmpx_gt_u32_e64 s7, v73
	s_cbranch_execz .LBB1833_612
.LBB1833_661:                           ;   in Loop: Header=BB1833_602 Depth=2
	global_load_u16 v32, v2, s[8:9] offset:3072 scale_offset
	s_wait_xcnt 0x0
	s_or_b32 exec_lo, exec_lo, s11
	s_delay_alu instid0(SALU_CYCLE_1)
	s_mov_b32 s11, exec_lo
	v_cmpx_gt_u32_e64 s7, v74
	s_cbranch_execz .LBB1833_613
.LBB1833_662:                           ;   in Loop: Header=BB1833_602 Depth=2
	global_load_u16 v31, v2, s[8:9] offset:3584 scale_offset
	s_wait_xcnt 0x0
	s_or_b32 exec_lo, exec_lo, s11
	s_delay_alu instid0(SALU_CYCLE_1)
	s_mov_b32 s11, exec_lo
	v_cmpx_gt_u32_e64 s7, v75
	s_cbranch_execz .LBB1833_614
.LBB1833_663:                           ;   in Loop: Header=BB1833_602 Depth=2
	global_load_u16 v30, v2, s[8:9] offset:4096 scale_offset
	s_wait_xcnt 0x0
	s_or_b32 exec_lo, exec_lo, s11
	s_delay_alu instid0(SALU_CYCLE_1)
	s_mov_b32 s11, exec_lo
	v_cmpx_gt_u32_e64 s7, v76
	s_cbranch_execz .LBB1833_615
.LBB1833_664:                           ;   in Loop: Header=BB1833_602 Depth=2
	global_load_u16 v29, v2, s[8:9] offset:4608 scale_offset
	s_wait_xcnt 0x0
	s_or_b32 exec_lo, exec_lo, s11
	s_delay_alu instid0(SALU_CYCLE_1)
	s_mov_b32 s11, exec_lo
	v_cmpx_gt_u32_e64 s7, v77
	s_cbranch_execz .LBB1833_616
.LBB1833_665:                           ;   in Loop: Header=BB1833_602 Depth=2
	global_load_u16 v28, v2, s[8:9] offset:5120 scale_offset
	s_wait_xcnt 0x0
	s_or_b32 exec_lo, exec_lo, s11
	s_delay_alu instid0(SALU_CYCLE_1)
	s_mov_b32 s11, exec_lo
	v_cmpx_gt_u32_e64 s7, v78
	s_cbranch_execz .LBB1833_617
.LBB1833_666:                           ;   in Loop: Header=BB1833_602 Depth=2
	global_load_u16 v27, v2, s[8:9] offset:5632 scale_offset
	s_wait_xcnt 0x0
	s_or_b32 exec_lo, exec_lo, s11
	s_delay_alu instid0(SALU_CYCLE_1)
	s_mov_b32 s11, exec_lo
	v_cmpx_gt_u32_e64 s7, v79
	s_cbranch_execz .LBB1833_618
.LBB1833_667:                           ;   in Loop: Header=BB1833_602 Depth=2
	global_load_u16 v26, v2, s[8:9] offset:6144 scale_offset
	s_wait_xcnt 0x0
	s_or_b32 exec_lo, exec_lo, s11
	s_delay_alu instid0(SALU_CYCLE_1)
	s_mov_b32 s11, exec_lo
	v_cmpx_gt_u32_e64 s7, v80
	s_cbranch_execz .LBB1833_619
.LBB1833_668:                           ;   in Loop: Header=BB1833_602 Depth=2
	global_load_u16 v25, v2, s[8:9] offset:6656 scale_offset
	s_wait_xcnt 0x0
	s_or_b32 exec_lo, exec_lo, s11
	s_delay_alu instid0(SALU_CYCLE_1)
	s_mov_b32 s11, exec_lo
	v_cmpx_gt_u32_e64 s7, v81
	s_cbranch_execz .LBB1833_620
.LBB1833_669:                           ;   in Loop: Header=BB1833_602 Depth=2
	global_load_u16 v24, v2, s[8:9] offset:7168 scale_offset
	s_wait_xcnt 0x0
	s_or_b32 exec_lo, exec_lo, s11
	s_delay_alu instid0(SALU_CYCLE_1)
	s_mov_b32 s11, exec_lo
	v_cmpx_gt_u32_e64 s7, v82
	s_cbranch_execnz .LBB1833_621
	s_branch .LBB1833_622
.LBB1833_670:                           ;   in Loop: Header=BB1833_12 Depth=1
	v_mov_b32_e32 v23, 0
	s_wait_dscnt 0x0
	s_barrier_signal -1
	s_barrier_wait -1
	s_and_saveexec_b32 s7, s0
	s_cbranch_execz .LBB1833_672
; %bb.671:                              ;   in Loop: Header=BB1833_12 Depth=1
	ds_load_2addr_b64 v[24:27], v85 offset1:1
	s_wait_dscnt 0x0
	v_add_nc_u32_e32 v23, v25, v24
	s_delay_alu instid0(VALU_DEP_1)
	v_add3_u32 v23, v23, v26, v27
.LBB1833_672:                           ;   in Loop: Header=BB1833_12 Depth=1
	s_or_b32 exec_lo, exec_lo, s7
	s_delay_alu instid0(VALU_DEP_1)
	v_mov_b32_dpp v24, v23 row_shr:1 row_mask:0xf bank_mask:0xf
	v_cmp_eq_u32_e64 s7, 0, v97
	v_cmp_lt_u32_e64 s8, 1, v97
	v_cmp_lt_u32_e64 s9, 3, v97
	;; [unrolled: 1-line block ×3, first 2 shown]
	v_cmp_eq_u32_e64 s11, 0, v99
	v_cndmask_b32_e64 v24, v24, 0, s7
	s_delay_alu instid0(VALU_DEP_1) | instskip(NEXT) | instid1(VALU_DEP_1)
	v_add_nc_u32_e32 v23, v24, v23
	v_mov_b32_dpp v24, v23 row_shr:2 row_mask:0xf bank_mask:0xf
	s_delay_alu instid0(VALU_DEP_1) | instskip(NEXT) | instid1(VALU_DEP_1)
	v_cndmask_b32_e64 v24, 0, v24, s8
	v_add_nc_u32_e32 v23, v23, v24
	s_delay_alu instid0(VALU_DEP_1) | instskip(NEXT) | instid1(VALU_DEP_1)
	v_mov_b32_dpp v24, v23 row_shr:4 row_mask:0xf bank_mask:0xf
	v_cndmask_b32_e64 v24, 0, v24, s9
	s_delay_alu instid0(VALU_DEP_1) | instskip(NEXT) | instid1(VALU_DEP_1)
	v_add_nc_u32_e32 v23, v23, v24
	v_mov_b32_dpp v24, v23 row_shr:8 row_mask:0xf bank_mask:0xf
	s_delay_alu instid0(VALU_DEP_1) | instskip(NEXT) | instid1(VALU_DEP_1)
	v_cndmask_b32_e64 v24, 0, v24, s10
	v_add_nc_u32_e32 v23, v23, v24
	ds_swizzle_b32 v24, v23 offset:swizzle(BROADCAST,32,15)
	s_wait_dscnt 0x0
	v_and_b32_e32 v24, v98, v24
	s_delay_alu instid0(VALU_DEP_1)
	v_add_nc_u32_e32 v23, v23, v24
	s_and_saveexec_b32 s12, s1
; %bb.673:                              ;   in Loop: Header=BB1833_12 Depth=1
	ds_store_b32 v86, v23
; %bb.674:                              ;   in Loop: Header=BB1833_12 Depth=1
	s_or_b32 exec_lo, exec_lo, s12
	s_wait_dscnt 0x0
	s_barrier_signal -1
	s_barrier_wait -1
	s_and_saveexec_b32 s12, s4
	s_cbranch_execz .LBB1833_676
; %bb.675:                              ;   in Loop: Header=BB1833_12 Depth=1
	ds_load_b32 v24, v87
	v_cmp_ne_u32_e32 vcc_lo, 0, v101
	s_wait_dscnt 0x0
	v_mov_b32_dpp v25, v24 row_shr:1 row_mask:0xf bank_mask:0xf
	s_delay_alu instid0(VALU_DEP_1) | instskip(SKIP_1) | instid1(VALU_DEP_2)
	v_cndmask_b32_e32 v25, 0, v25, vcc_lo
	v_cmp_lt_u32_e32 vcc_lo, 1, v101
	v_add_nc_u32_e32 v24, v25, v24
	s_delay_alu instid0(VALU_DEP_1) | instskip(NEXT) | instid1(VALU_DEP_1)
	v_mov_b32_dpp v25, v24 row_shr:2 row_mask:0xf bank_mask:0xf
	v_cndmask_b32_e32 v25, 0, v25, vcc_lo
	v_cmp_lt_u32_e32 vcc_lo, 3, v101
	s_delay_alu instid0(VALU_DEP_2) | instskip(NEXT) | instid1(VALU_DEP_1)
	v_add_nc_u32_e32 v24, v24, v25
	v_mov_b32_dpp v25, v24 row_shr:4 row_mask:0xf bank_mask:0xf
	s_delay_alu instid0(VALU_DEP_1) | instskip(NEXT) | instid1(VALU_DEP_1)
	v_cndmask_b32_e32 v25, 0, v25, vcc_lo
	v_add_nc_u32_e32 v24, v24, v25
	ds_store_b32 v87, v24
.LBB1833_676:                           ;   in Loop: Header=BB1833_12 Depth=1
	s_or_b32 exec_lo, exec_lo, s12
	v_mov_b32_e32 v24, 0
	s_wait_dscnt 0x0
	s_barrier_signal -1
	s_barrier_wait -1
	s_and_saveexec_b32 s12, s5
; %bb.677:                              ;   in Loop: Header=BB1833_12 Depth=1
	ds_load_b32 v24, v88
; %bb.678:                              ;   in Loop: Header=BB1833_12 Depth=1
	s_or_b32 exec_lo, exec_lo, s12
	v_cmp_gt_i32_e32 vcc_lo, 0, v102
	s_wait_dscnt 0x0
	s_barrier_signal -1
	s_barrier_wait -1
	v_cndmask_b32_e32 v25, v102, v95, vcc_lo
	s_delay_alu instid0(VALU_DEP_1)
	v_dual_add_nc_u32 v23, v24, v23 :: v_dual_lshlrev_b32 v122, 2, v25
	ds_bpermute_b32 v23, v122, v23
	s_and_saveexec_b32 s12, s0
	s_cbranch_execz .LBB1833_680
; %bb.679:                              ;   in Loop: Header=BB1833_12 Depth=1
	s_wait_dscnt 0x0
	v_cndmask_b32_e64 v23, v23, v24, s6
	s_delay_alu instid0(VALU_DEP_1)
	v_add_nc_u32_e32 v23, s54, v23
	ds_store_b32 v3, v23
.LBB1833_680:                           ;   in Loop: Header=BB1833_12 Depth=1
	s_or_b32 exec_lo, exec_lo, s12
	s_load_b64 s[12:13], s[34:35], 0x0
	s_mov_b32 s53, s56
                                        ; implicit-def: $vgpr30_vgpr31
                                        ; implicit-def: $vgpr32_vgpr33
                                        ; implicit-def: $vgpr34_vgpr35
                                        ; implicit-def: $vgpr36_vgpr37
                                        ; implicit-def: $vgpr38_vgpr39
                                        ; implicit-def: $vgpr40_vgpr41
                                        ; implicit-def: $vgpr42_vgpr43
                                        ; implicit-def: $vgpr44_vgpr45
                                        ; implicit-def: $vgpr46_vgpr47
                                        ; implicit-def: $vgpr48_vgpr49
                                        ; implicit-def: $vgpr50_vgpr51
                                        ; implicit-def: $vgpr52_vgpr53
                                        ; implicit-def: $vgpr54_vgpr55
                                        ; implicit-def: $vgpr56_vgpr57
                                        ; implicit-def: $vgpr58_vgpr59
                                        ; implicit-def: $vgpr123
                                        ; implicit-def: $vgpr124
                                        ; implicit-def: $vgpr125
                                        ; implicit-def: $vgpr126
                                        ; implicit-def: $vgpr127
                                        ; implicit-def: $vgpr128
                                        ; implicit-def: $vgpr129
                                        ; implicit-def: $vgpr130
                                        ; implicit-def: $vgpr131
                                        ; implicit-def: $vgpr132
                                        ; implicit-def: $vgpr133
                                        ; implicit-def: $vgpr134
                                        ; implicit-def: $vgpr135
                                        ; implicit-def: $vgpr136
                                        ; implicit-def: $vgpr137
                                        ; implicit-def: $vgpr138
	s_wait_kmcnt 0x0
	s_cmp_lt_u32 s33, s12
	s_cselect_b32 s42, 12, 18
	s_cmp_lt_u32 s31, s13
	s_mov_b32 s13, s43
	s_cselect_b32 s12, 14, 20
	s_delay_alu instid0(SALU_CYCLE_1)
	s_add_nc_u64 s[12:13], s[34:35], s[12:13]
	s_load_u16 s14, s[12:13], 0x0
	s_wait_xcnt 0x0
	s_add_nc_u64 s[12:13], s[34:35], s[42:43]
	s_mov_b32 s42, s54
	s_load_u16 s12, s[12:13], 0x0
	s_wait_xcnt 0x0
	v_cmp_lt_u32_e64 s13, 1, v101
	s_wait_dscnt 0x0
	s_wait_kmcnt 0x0
	v_mad_u32_u24 v23, v89, s14, v90
	v_cmp_lt_u32_e64 s14, 3, v101
	s_delay_alu instid0(VALU_DEP_2) | instskip(SKIP_2) | instid1(VALU_DEP_3)
	v_mad_u32 v24, v23, s12, v2
	v_mov_b32_e32 v23, v5
	v_cmp_eq_u32_e64 s12, 0, v101
	v_lshrrev_b32_e32 v28, 3, v24
	v_add_nc_u64_e32 v[24:25], v[18:19], v[4:5]
	s_delay_alu instid0(VALU_DEP_4) | instskip(NEXT) | instid1(VALU_DEP_3)
	v_add_nc_u64_e32 v[26:27], v[20:21], v[22:23]
	v_and_b32_e32 v23, 0x1ffffffc, v28
                                        ; implicit-def: $vgpr28_vgpr29
	s_branch .LBB1833_682
.LBB1833_681:                           ;   in Loop: Header=BB1833_682 Depth=2
	s_or_b32 exec_lo, exec_lo, s15
	s_addk_co_i32 s53, 0xf000
	s_cmp_lt_u32 s57, s51
	s_mov_b32 s42, s57
	s_cbranch_scc0 .LBB1833_890
.LBB1833_682:                           ;   Parent Loop BB1833_12 Depth=1
                                        ; =>  This Inner Loop Header: Depth=2
	s_add_co_i32 s57, s42, 0x1000
	s_delay_alu instid0(SALU_CYCLE_1)
	s_cmp_gt_u32 s57, s51
	s_cbranch_scc1 .LBB1833_684
; %bb.683:                              ;   in Loop: Header=BB1833_682 Depth=2
	s_delay_alu instid0(VALU_DEP_2)
	v_lshl_add_u64 v[60:61], s[42:43], 1, v[26:27]
	s_mov_b32 s15, -1
	s_clause 0xe
	global_load_u16 v140, v[60:61], off
	global_load_u16 v141, v[60:61], off offset:64
	global_load_u16 v144, v[60:61], off offset:128
	;; [unrolled: 1-line block ×14, first 2 shown]
	s_movk_i32 s16, 0x1000
	s_cbranch_execz .LBB1833_685
	s_branch .LBB1833_716
.LBB1833_684:                           ;   in Loop: Header=BB1833_682 Depth=2
	s_mov_b32 s15, 0
                                        ; implicit-def: $vgpr140
                                        ; implicit-def: $vgpr141
                                        ; implicit-def: $vgpr144
                                        ; implicit-def: $vgpr148
                                        ; implicit-def: $vgpr152
                                        ; implicit-def: $vgpr156
                                        ; implicit-def: $vgpr160
                                        ; implicit-def: $vgpr164
                                        ; implicit-def: $vgpr168
                                        ; implicit-def: $vgpr67
                                        ; implicit-def: $vgpr66
                                        ; implicit-def: $vgpr65
                                        ; implicit-def: $vgpr64
                                        ; implicit-def: $vgpr63
                                        ; implicit-def: $vgpr62
	s_movk_i32 s16, 0x1000
.LBB1833_685:                           ;   in Loop: Header=BB1833_682 Depth=2
	s_wait_xcnt 0x0
	v_lshl_add_u64 v[60:61], s[42:43], 1, v[26:27]
	s_wait_loadcnt 0xd
	v_dual_mov_b32 v141, 0x7fff :: v_dual_mov_b32 v140, 0x7fff
	s_mov_b32 s15, exec_lo
	v_cmpx_gt_u32_e64 s53, v100
	s_cbranch_execz .LBB1833_687
; %bb.686:                              ;   in Loop: Header=BB1833_682 Depth=2
	global_load_u16 v140, v[60:61], off
.LBB1833_687:                           ;   in Loop: Header=BB1833_682 Depth=2
	s_wait_xcnt 0x0
	s_or_b32 exec_lo, exec_lo, s15
	s_delay_alu instid0(SALU_CYCLE_1)
	s_mov_b32 s15, exec_lo
	v_cmpx_gt_u32_e64 s53, v103
	s_cbranch_execz .LBB1833_689
; %bb.688:                              ;   in Loop: Header=BB1833_682 Depth=2
	global_load_u16 v141, v[60:61], off offset:64
.LBB1833_689:                           ;   in Loop: Header=BB1833_682 Depth=2
	s_wait_xcnt 0x0
	s_or_b32 exec_lo, exec_lo, s15
	s_wait_loadcnt 0xb
	v_mov_b32_e32 v148, 0x7fff
	v_mov_b32_e32 v144, 0x7fff
	s_mov_b32 s15, exec_lo
	v_cmpx_gt_u32_e64 s53, v104
	s_cbranch_execz .LBB1833_691
; %bb.690:                              ;   in Loop: Header=BB1833_682 Depth=2
	global_load_u16 v144, v[60:61], off offset:128
.LBB1833_691:                           ;   in Loop: Header=BB1833_682 Depth=2
	s_wait_xcnt 0x0
	s_or_b32 exec_lo, exec_lo, s15
	s_delay_alu instid0(SALU_CYCLE_1)
	s_mov_b32 s15, exec_lo
	v_cmpx_gt_u32_e64 s53, v105
	s_cbranch_execz .LBB1833_693
; %bb.692:                              ;   in Loop: Header=BB1833_682 Depth=2
	global_load_u16 v148, v[60:61], off offset:192
.LBB1833_693:                           ;   in Loop: Header=BB1833_682 Depth=2
	s_wait_xcnt 0x0
	s_or_b32 exec_lo, exec_lo, s15
	s_wait_loadcnt 0x9
	v_mov_b32_e32 v156, 0x7fff
	v_mov_b32_e32 v152, 0x7fff
	s_mov_b32 s15, exec_lo
	v_cmpx_gt_u32_e64 s53, v106
	s_cbranch_execz .LBB1833_695
; %bb.694:                              ;   in Loop: Header=BB1833_682 Depth=2
	global_load_u16 v152, v[60:61], off offset:256
.LBB1833_695:                           ;   in Loop: Header=BB1833_682 Depth=2
	;; [unrolled: 20-line block ×3, first 2 shown]
	s_wait_xcnt 0x0
	s_or_b32 exec_lo, exec_lo, s15
	s_delay_alu instid0(SALU_CYCLE_1)
	s_mov_b32 s15, exec_lo
	v_cmpx_gt_u32_e64 s53, v109
	s_cbranch_execz .LBB1833_701
; %bb.700:                              ;   in Loop: Header=BB1833_682 Depth=2
	global_load_u16 v164, v[60:61], off offset:448
.LBB1833_701:                           ;   in Loop: Header=BB1833_682 Depth=2
	s_wait_xcnt 0x0
	s_or_b32 exec_lo, exec_lo, s15
	s_wait_loadcnt 0x5
	v_dual_mov_b32 v67, 0x7fff :: v_dual_mov_b32 v168, 0x7fff
	s_mov_b32 s15, exec_lo
	v_cmpx_gt_u32_e64 s53, v110
	s_cbranch_execz .LBB1833_703
; %bb.702:                              ;   in Loop: Header=BB1833_682 Depth=2
	global_load_u16 v168, v[60:61], off offset:512
.LBB1833_703:                           ;   in Loop: Header=BB1833_682 Depth=2
	s_wait_xcnt 0x0
	s_or_b32 exec_lo, exec_lo, s15
	s_delay_alu instid0(SALU_CYCLE_1)
	s_mov_b32 s15, exec_lo
	v_cmpx_gt_u32_e64 s53, v111
	s_cbranch_execz .LBB1833_705
; %bb.704:                              ;   in Loop: Header=BB1833_682 Depth=2
	global_load_u16 v67, v[60:61], off offset:576
.LBB1833_705:                           ;   in Loop: Header=BB1833_682 Depth=2
	s_wait_xcnt 0x0
	s_or_b32 exec_lo, exec_lo, s15
	s_wait_loadcnt 0x3
	v_dual_mov_b32 v65, 0x7fff :: v_dual_mov_b32 v66, 0x7fff
	s_mov_b32 s15, exec_lo
	v_cmpx_gt_u32_e64 s53, v112
	s_cbranch_execz .LBB1833_707
; %bb.706:                              ;   in Loop: Header=BB1833_682 Depth=2
	global_load_u16 v66, v[60:61], off offset:640
.LBB1833_707:                           ;   in Loop: Header=BB1833_682 Depth=2
	;; [unrolled: 19-line block ×3, first 2 shown]
	s_wait_xcnt 0x0
	s_or_b32 exec_lo, exec_lo, s15
	s_delay_alu instid0(SALU_CYCLE_1)
	s_mov_b32 s15, exec_lo
	v_cmpx_gt_u32_e64 s53, v115
	s_cbranch_execz .LBB1833_713
; %bb.712:                              ;   in Loop: Header=BB1833_682 Depth=2
	global_load_u16 v63, v[60:61], off offset:832
.LBB1833_713:                           ;   in Loop: Header=BB1833_682 Depth=2
	s_wait_xcnt 0x0
	s_or_b32 exec_lo, exec_lo, s15
	s_wait_loadcnt 0x0
	v_mov_b32_e32 v62, 0x7fff
	s_mov_b32 s15, exec_lo
	v_cmpx_gt_u32_e64 s53, v116
	s_cbranch_execz .LBB1833_715
; %bb.714:                              ;   in Loop: Header=BB1833_682 Depth=2
	global_load_u16 v62, v[60:61], off offset:896
.LBB1833_715:                           ;   in Loop: Header=BB1833_682 Depth=2
	s_wait_xcnt 0x0
	s_or_b32 exec_lo, exec_lo, s15
	v_cmp_gt_u32_e64 s15, s53, v117
	s_sub_co_i32 s16, s51, s42
.LBB1833_716:                           ;   in Loop: Header=BB1833_682 Depth=2
	s_wait_xcnt 0x0
	v_dual_mov_b32 v60, 0x7fff :: v_dual_mov_b32 v139, s53
	s_and_saveexec_b32 s17, s15
	s_cbranch_execz .LBB1833_718
; %bb.717:                              ;   in Loop: Header=BB1833_682 Depth=2
	v_lshl_add_u64 v[60:61], s[42:43], 1, v[26:27]
	v_mov_b32_e32 v139, s16
	global_load_u16 v60, v[60:61], off offset:960
.LBB1833_718:                           ;   in Loop: Header=BB1833_682 Depth=2
	s_wait_xcnt 0x0
	s_or_b32 exec_lo, exec_lo, s17
	s_wait_loadcnt 0xe
	v_cmp_lt_i16_e64 vcc_lo, -1, v140
	ds_store_2addr_b32 v121, v5, v5 offset1:1
	ds_store_2addr_b32 v118, v5, v5 offset1:1
	ds_store_2addr_b32 v119, v5, v5 offset1:1
	ds_store_2addr_b32 v120, v5, v5 offset1:1
	ds_store_b32 v91, v5 offset:1088
	s_wait_loadcnt_dscnt 0x0
	s_barrier_signal -1
	v_cndmask_b32_e64 v61, -1, 0xffff8000, vcc_lo
	s_barrier_wait -1
	; wave barrier
	s_delay_alu instid0(VALU_DEP_1) | instskip(NEXT) | instid1(VALU_DEP_1)
	v_xor_b32_e32 v140, v61, v140
	v_cmp_ne_u16_e64 vcc_lo, 0x7fff, v140
	v_cndmask_b32_e32 v61, 0xffff8000, v140, vcc_lo
	s_delay_alu instid0(VALU_DEP_1) | instskip(NEXT) | instid1(VALU_DEP_1)
	v_and_b32_e32 v61, 0xffff, v61
	v_lshrrev_b32_e32 v61, s49, v61
	s_delay_alu instid0(VALU_DEP_1) | instskip(SKIP_1) | instid1(VALU_DEP_2)
	v_bitop3_b32 v142, v61, 1, s52 bitop3:0x80
	v_and_b32_e32 v143, s52, v61
	v_add_co_u32 v61, s15, v142, -1
	s_delay_alu instid0(VALU_DEP_1) | instskip(NEXT) | instid1(VALU_DEP_3)
	v_cndmask_b32_e64 v142, 0, 1, s15
	v_lshlrev_b32_e32 v145, 30, v143
	s_delay_alu instid0(VALU_DEP_2) | instskip(NEXT) | instid1(VALU_DEP_2)
	v_cmp_ne_u32_e32 vcc_lo, 0, v142
	v_not_b32_e32 v142, v145
	s_delay_alu instid0(VALU_DEP_1) | instskip(SKIP_3) | instid1(VALU_DEP_4)
	v_dual_ashrrev_i32 v142, 31, v142 :: v_dual_lshlrev_b32 v146, 29, v143
	v_dual_lshlrev_b32 v147, 28, v143 :: v_dual_lshlrev_b32 v149, 27, v143
	v_lshlrev_b32_e32 v150, 26, v143
	v_cmp_gt_i32_e64 s15, 0, v145
	v_cmp_gt_i32_e64 s16, 0, v146
	v_not_b32_e32 v145, v146
	v_not_b32_e32 v146, v147
	v_dual_lshlrev_b32 v151, 25, v143 :: v_dual_lshlrev_b32 v153, 24, v143
	v_cmp_gt_i32_e64 s17, 0, v147
	v_cmp_gt_i32_e64 s18, 0, v149
	v_not_b32_e32 v147, v149
	v_not_b32_e32 v149, v150
	v_dual_ashrrev_i32 v146, 31, v146 :: v_dual_bitop2_b32 v61, vcc_lo, v61 bitop3:0x14
	v_dual_ashrrev_i32 v145, 31, v145 :: v_dual_bitop2_b32 v142, s15, v142 bitop3:0x14
	v_cmp_gt_i32_e64 s19, 0, v150
	v_cmp_gt_i32_e64 s20, 0, v151
	v_not_b32_e32 v150, v151
	v_not_b32_e32 v151, v153
	v_dual_ashrrev_i32 v147, 31, v147 :: v_dual_ashrrev_i32 v149, 31, v149
	v_xor_b32_e32 v145, s16, v145
	v_xor_b32_e32 v146, s17, v146
	v_bitop3_b32 v61, v61, v142, exec_lo bitop3:0x80
	v_cmp_gt_i32_e64 s21, 0, v153
	v_dual_ashrrev_i32 v142, 31, v150 :: v_dual_ashrrev_i32 v150, 31, v151
	v_xor_b32_e32 v147, s18, v147
	s_delay_alu instid0(VALU_DEP_4) | instskip(SKIP_3) | instid1(VALU_DEP_3)
	v_bitop3_b32 v61, v61, v146, v145 bitop3:0x80
	v_mul_u32_u24_e32 v143, 36, v143
	v_xor_b32_e32 v149, s19, v149
	v_xor_b32_e32 v142, s20, v142
	v_dual_add_nc_u32 v143, v23, v143 :: v_dual_bitop2_b32 v145, s21, v150 bitop3:0x14
	s_delay_alu instid0(VALU_DEP_3) | instskip(NEXT) | instid1(VALU_DEP_1)
	v_bitop3_b32 v61, v61, v149, v147 bitop3:0x80
	v_bitop3_b32 v61, v61, v145, v142 bitop3:0x80
	s_delay_alu instid0(VALU_DEP_1) | instskip(SKIP_1) | instid1(VALU_DEP_2)
	v_mbcnt_lo_u32_b32 v142, v61, 0
	v_cmp_ne_u32_e64 s15, 0, v61
	v_cmp_eq_u32_e32 vcc_lo, 0, v142
	s_and_b32 s16, s15, vcc_lo
	s_delay_alu instid0(SALU_CYCLE_1)
	s_and_saveexec_b32 s15, s16
; %bb.719:                              ;   in Loop: Header=BB1833_682 Depth=2
	v_bcnt_u32_b32 v61, v61, 0
	ds_store_b32 v143, v61 offset:1056
; %bb.720:                              ;   in Loop: Header=BB1833_682 Depth=2
	s_or_b32 exec_lo, exec_lo, s15
	v_cmp_lt_i16_e64 vcc_lo, -1, v141
	; wave barrier
	s_delay_alu instid0(VALU_DEP_1) | instskip(NEXT) | instid1(VALU_DEP_1)
	v_cndmask_b32_e64 v61, -1, 0xffff8000, vcc_lo
	v_xor_b32_e32 v141, v61, v141
	s_delay_alu instid0(VALU_DEP_1) | instskip(SKIP_1) | instid1(VALU_DEP_1)
	v_cmp_ne_u16_e64 vcc_lo, 0x7fff, v141
	v_cndmask_b32_e32 v61, 0xffff8000, v141, vcc_lo
	v_and_b32_e32 v61, 0xffff, v61
	s_delay_alu instid0(VALU_DEP_1) | instskip(NEXT) | instid1(VALU_DEP_1)
	v_lshrrev_b32_e32 v61, s49, v61
	v_and_b32_e32 v147, s52, v61
	s_delay_alu instid0(VALU_DEP_1) | instskip(SKIP_2) | instid1(VALU_DEP_3)
	v_lshlrev_b32_e32 v149, 29, v147
	v_bitop3_b32 v145, v61, 1, s52 bitop3:0x80
	v_lshlrev_b32_e32 v146, 30, v147
	v_cmp_gt_i32_e64 s16, 0, v149
	s_delay_alu instid0(VALU_DEP_3) | instskip(NEXT) | instid1(VALU_DEP_1)
	v_add_co_u32 v61, s15, v145, -1
	v_cndmask_b32_e64 v145, 0, 1, s15
	s_delay_alu instid0(VALU_DEP_4) | instskip(NEXT) | instid1(VALU_DEP_2)
	v_cmp_gt_i32_e64 s15, 0, v146
	v_cmp_ne_u32_e32 vcc_lo, 0, v145
	v_not_b32_e32 v145, v146
	v_not_b32_e32 v146, v149
	s_delay_alu instid0(VALU_DEP_1) | instskip(SKIP_2) | instid1(VALU_DEP_3)
	v_dual_ashrrev_i32 v146, 31, v146 :: v_dual_lshlrev_b32 v150, 28, v147
	v_dual_lshlrev_b32 v151, 27, v147 :: v_dual_lshlrev_b32 v153, 26, v147
	v_dual_lshlrev_b32 v154, 25, v147 :: v_dual_lshlrev_b32 v155, 24, v147
	v_cmp_gt_i32_e64 s17, 0, v150
	v_not_b32_e32 v149, v150
	s_delay_alu instid0(VALU_DEP_4)
	v_not_b32_e32 v150, v151
	v_ashrrev_i32_e32 v145, 31, v145
	v_cmp_gt_i32_e64 s18, 0, v151
	v_cmp_gt_i32_e64 s19, 0, v153
	v_not_b32_e32 v151, v153
	v_cmp_gt_i32_e64 s20, 0, v154
	v_not_b32_e32 v153, v154
	v_not_b32_e32 v154, v155
	s_delay_alu instid0(VALU_DEP_4) | instskip(SKIP_3) | instid1(VALU_DEP_3)
	v_dual_ashrrev_i32 v151, 31, v151 :: v_dual_bitop2_b32 v61, vcc_lo, v61 bitop3:0x14
	v_dual_ashrrev_i32 v149, 31, v149 :: v_dual_bitop2_b32 v146, s16, v146 bitop3:0x14
	v_dual_ashrrev_i32 v150, 31, v150 :: v_dual_bitop2_b32 v145, s15, v145 bitop3:0x14
	v_cmp_gt_i32_e64 s21, 0, v155
	v_xor_b32_e32 v149, s17, v149
	v_xor_b32_e32 v151, s19, v151
	s_delay_alu instid0(VALU_DEP_4) | instskip(SKIP_2) | instid1(VALU_DEP_2)
	v_xor_b32_e32 v150, s18, v150
	v_bitop3_b32 v61, v61, v145, exec_lo bitop3:0x80
	v_dual_ashrrev_i32 v145, 31, v153 :: v_dual_ashrrev_i32 v153, 31, v154
	v_bitop3_b32 v61, v61, v149, v146 bitop3:0x80
	v_mad_u32_u24 v146, v147, 36, v23
	s_delay_alu instid0(VALU_DEP_3) | instskip(NEXT) | instid1(VALU_DEP_4)
	v_xor_b32_e32 v149, s20, v145
	v_xor_b32_e32 v153, s21, v153
	v_mul_u32_u24_e32 v147, 36, v147
	v_bitop3_b32 v61, v61, v151, v150 bitop3:0x80
	ds_load_b32 v145, v146 offset:1056
	; wave barrier
	v_add_nc_u32_e32 v147, v23, v147
	v_bitop3_b32 v61, v61, v153, v149 bitop3:0x80
	s_delay_alu instid0(VALU_DEP_1) | instskip(SKIP_1) | instid1(VALU_DEP_2)
	v_mbcnt_lo_u32_b32 v146, v61, 0
	v_cmp_ne_u32_e64 s15, 0, v61
	v_cmp_eq_u32_e32 vcc_lo, 0, v146
	s_and_b32 s16, s15, vcc_lo
	s_delay_alu instid0(SALU_CYCLE_1)
	s_and_saveexec_b32 s15, s16
	s_cbranch_execz .LBB1833_722
; %bb.721:                              ;   in Loop: Header=BB1833_682 Depth=2
	s_wait_dscnt 0x0
	v_bcnt_u32_b32 v61, v61, v145
	ds_store_b32 v147, v61 offset:1056
.LBB1833_722:                           ;   in Loop: Header=BB1833_682 Depth=2
	s_or_b32 exec_lo, exec_lo, s15
	v_cmp_lt_i16_e64 vcc_lo, -1, v144
	; wave barrier
	s_delay_alu instid0(VALU_DEP_1) | instskip(NEXT) | instid1(VALU_DEP_1)
	v_cndmask_b32_e64 v61, -1, 0xffff8000, vcc_lo
	v_xor_b32_e32 v144, v61, v144
	s_delay_alu instid0(VALU_DEP_1) | instskip(SKIP_1) | instid1(VALU_DEP_1)
	v_cmp_ne_u16_e64 vcc_lo, 0x7fff, v144
	v_cndmask_b32_e32 v61, 0xffff8000, v144, vcc_lo
	v_and_b32_e32 v61, 0xffff, v61
	s_delay_alu instid0(VALU_DEP_1) | instskip(NEXT) | instid1(VALU_DEP_1)
	v_lshrrev_b32_e32 v61, s49, v61
	v_bitop3_b32 v149, v61, 1, s52 bitop3:0x80
	v_and_b32_e32 v151, s52, v61
	s_delay_alu instid0(VALU_DEP_2) | instskip(NEXT) | instid1(VALU_DEP_1)
	v_add_co_u32 v61, s15, v149, -1
	v_cndmask_b32_e64 v149, 0, 1, s15
	s_delay_alu instid0(VALU_DEP_3) | instskip(NEXT) | instid1(VALU_DEP_2)
	v_dual_lshlrev_b32 v150, 30, v151 :: v_dual_lshlrev_b32 v153, 29, v151
	v_cmp_ne_u32_e32 vcc_lo, 0, v149
	s_delay_alu instid0(VALU_DEP_2) | instskip(SKIP_1) | instid1(VALU_DEP_4)
	v_cmp_gt_i32_e64 s15, 0, v150
	v_not_b32_e32 v149, v150
	v_not_b32_e32 v150, v153
	s_delay_alu instid0(VALU_DEP_1) | instskip(SKIP_3) | instid1(VALU_DEP_4)
	v_dual_ashrrev_i32 v150, 31, v150 :: v_dual_lshlrev_b32 v154, 28, v151
	v_dual_lshlrev_b32 v155, 27, v151 :: v_dual_lshlrev_b32 v157, 26, v151
	v_dual_lshlrev_b32 v158, 25, v151 :: v_dual_lshlrev_b32 v159, 24, v151
	v_cmp_gt_i32_e64 s16, 0, v153
	v_cmp_gt_i32_e64 s17, 0, v154
	v_not_b32_e32 v153, v154
	v_not_b32_e32 v154, v155
	v_ashrrev_i32_e32 v149, 31, v149
	v_cmp_gt_i32_e64 s18, 0, v155
	v_cmp_gt_i32_e64 s19, 0, v157
	v_not_b32_e32 v155, v157
	v_cmp_gt_i32_e64 s20, 0, v158
	v_not_b32_e32 v157, v158
	v_not_b32_e32 v158, v159
	s_delay_alu instid0(VALU_DEP_4) | instskip(SKIP_3) | instid1(VALU_DEP_3)
	v_dual_ashrrev_i32 v155, 31, v155 :: v_dual_bitop2_b32 v61, vcc_lo, v61 bitop3:0x14
	v_dual_ashrrev_i32 v153, 31, v153 :: v_dual_bitop2_b32 v150, s16, v150 bitop3:0x14
	v_dual_ashrrev_i32 v154, 31, v154 :: v_dual_bitop2_b32 v149, s15, v149 bitop3:0x14
	v_cmp_gt_i32_e64 s21, 0, v159
	v_xor_b32_e32 v153, s17, v153
	v_xor_b32_e32 v155, s19, v155
	s_delay_alu instid0(VALU_DEP_4) | instskip(SKIP_2) | instid1(VALU_DEP_2)
	v_xor_b32_e32 v154, s18, v154
	v_bitop3_b32 v61, v61, v149, exec_lo bitop3:0x80
	v_dual_ashrrev_i32 v149, 31, v157 :: v_dual_ashrrev_i32 v157, 31, v158
	v_bitop3_b32 v61, v61, v153, v150 bitop3:0x80
	v_mad_u32_u24 v150, v151, 36, v23
	s_delay_alu instid0(VALU_DEP_3) | instskip(NEXT) | instid1(VALU_DEP_4)
	v_xor_b32_e32 v153, s20, v149
	v_xor_b32_e32 v157, s21, v157
	v_mul_u32_u24_e32 v151, 36, v151
	v_bitop3_b32 v61, v61, v155, v154 bitop3:0x80
	ds_load_b32 v149, v150 offset:1056
	; wave barrier
	v_add_nc_u32_e32 v151, v23, v151
	v_bitop3_b32 v61, v61, v157, v153 bitop3:0x80
	s_delay_alu instid0(VALU_DEP_1) | instskip(SKIP_1) | instid1(VALU_DEP_2)
	v_mbcnt_lo_u32_b32 v150, v61, 0
	v_cmp_ne_u32_e64 s15, 0, v61
	v_cmp_eq_u32_e32 vcc_lo, 0, v150
	s_and_b32 s16, s15, vcc_lo
	s_delay_alu instid0(SALU_CYCLE_1)
	s_and_saveexec_b32 s15, s16
	s_cbranch_execz .LBB1833_724
; %bb.723:                              ;   in Loop: Header=BB1833_682 Depth=2
	s_wait_dscnt 0x0
	v_bcnt_u32_b32 v61, v61, v149
	ds_store_b32 v151, v61 offset:1056
.LBB1833_724:                           ;   in Loop: Header=BB1833_682 Depth=2
	s_or_b32 exec_lo, exec_lo, s15
	v_cmp_lt_i16_e64 vcc_lo, -1, v148
	; wave barrier
	s_delay_alu instid0(VALU_DEP_1) | instskip(NEXT) | instid1(VALU_DEP_1)
	v_cndmask_b32_e64 v61, -1, 0xffff8000, vcc_lo
	v_xor_b32_e32 v148, v61, v148
	s_delay_alu instid0(VALU_DEP_1) | instskip(SKIP_1) | instid1(VALU_DEP_1)
	v_cmp_ne_u16_e64 vcc_lo, 0x7fff, v148
	v_cndmask_b32_e32 v61, 0xffff8000, v148, vcc_lo
	v_and_b32_e32 v61, 0xffff, v61
	s_delay_alu instid0(VALU_DEP_1) | instskip(NEXT) | instid1(VALU_DEP_1)
	v_lshrrev_b32_e32 v61, s49, v61
	v_bitop3_b32 v153, v61, 1, s52 bitop3:0x80
	v_and_b32_e32 v155, s52, v61
	s_delay_alu instid0(VALU_DEP_2) | instskip(NEXT) | instid1(VALU_DEP_1)
	v_add_co_u32 v61, s15, v153, -1
	v_cndmask_b32_e64 v153, 0, 1, s15
	s_delay_alu instid0(VALU_DEP_3) | instskip(NEXT) | instid1(VALU_DEP_2)
	v_dual_lshlrev_b32 v154, 30, v155 :: v_dual_lshlrev_b32 v157, 29, v155
	v_cmp_ne_u32_e32 vcc_lo, 0, v153
	s_delay_alu instid0(VALU_DEP_2) | instskip(SKIP_1) | instid1(VALU_DEP_4)
	v_cmp_gt_i32_e64 s15, 0, v154
	v_not_b32_e32 v153, v154
	v_not_b32_e32 v154, v157
	s_delay_alu instid0(VALU_DEP_1) | instskip(SKIP_3) | instid1(VALU_DEP_4)
	v_dual_ashrrev_i32 v154, 31, v154 :: v_dual_lshlrev_b32 v158, 28, v155
	v_dual_lshlrev_b32 v159, 27, v155 :: v_dual_lshlrev_b32 v161, 26, v155
	v_dual_lshlrev_b32 v162, 25, v155 :: v_dual_lshlrev_b32 v163, 24, v155
	v_cmp_gt_i32_e64 s16, 0, v157
	v_cmp_gt_i32_e64 s17, 0, v158
	v_not_b32_e32 v157, v158
	v_not_b32_e32 v158, v159
	v_ashrrev_i32_e32 v153, 31, v153
	v_cmp_gt_i32_e64 s18, 0, v159
	v_cmp_gt_i32_e64 s19, 0, v161
	v_not_b32_e32 v159, v161
	v_cmp_gt_i32_e64 s20, 0, v162
	v_not_b32_e32 v161, v162
	v_not_b32_e32 v162, v163
	s_delay_alu instid0(VALU_DEP_4) | instskip(SKIP_3) | instid1(VALU_DEP_3)
	v_dual_ashrrev_i32 v159, 31, v159 :: v_dual_bitop2_b32 v61, vcc_lo, v61 bitop3:0x14
	v_dual_ashrrev_i32 v157, 31, v157 :: v_dual_bitop2_b32 v154, s16, v154 bitop3:0x14
	v_dual_ashrrev_i32 v158, 31, v158 :: v_dual_bitop2_b32 v153, s15, v153 bitop3:0x14
	v_cmp_gt_i32_e64 s21, 0, v163
	v_xor_b32_e32 v157, s17, v157
	v_xor_b32_e32 v159, s19, v159
	s_delay_alu instid0(VALU_DEP_4) | instskip(SKIP_2) | instid1(VALU_DEP_2)
	v_xor_b32_e32 v158, s18, v158
	v_bitop3_b32 v61, v61, v153, exec_lo bitop3:0x80
	v_dual_ashrrev_i32 v153, 31, v161 :: v_dual_ashrrev_i32 v161, 31, v162
	v_bitop3_b32 v61, v61, v157, v154 bitop3:0x80
	v_mad_u32_u24 v154, v155, 36, v23
	s_delay_alu instid0(VALU_DEP_3) | instskip(NEXT) | instid1(VALU_DEP_4)
	v_xor_b32_e32 v157, s20, v153
	v_xor_b32_e32 v161, s21, v161
	v_mul_u32_u24_e32 v155, 36, v155
	v_bitop3_b32 v61, v61, v159, v158 bitop3:0x80
	ds_load_b32 v153, v154 offset:1056
	; wave barrier
	v_add_nc_u32_e32 v155, v23, v155
	v_bitop3_b32 v61, v61, v161, v157 bitop3:0x80
	s_delay_alu instid0(VALU_DEP_1) | instskip(SKIP_1) | instid1(VALU_DEP_2)
	v_mbcnt_lo_u32_b32 v154, v61, 0
	v_cmp_ne_u32_e64 s15, 0, v61
	v_cmp_eq_u32_e32 vcc_lo, 0, v154
	s_and_b32 s16, s15, vcc_lo
	s_delay_alu instid0(SALU_CYCLE_1)
	s_and_saveexec_b32 s15, s16
	s_cbranch_execz .LBB1833_726
; %bb.725:                              ;   in Loop: Header=BB1833_682 Depth=2
	s_wait_dscnt 0x0
	v_bcnt_u32_b32 v61, v61, v153
	ds_store_b32 v155, v61 offset:1056
.LBB1833_726:                           ;   in Loop: Header=BB1833_682 Depth=2
	s_or_b32 exec_lo, exec_lo, s15
	v_cmp_lt_i16_e64 vcc_lo, -1, v152
	; wave barrier
	s_delay_alu instid0(VALU_DEP_1) | instskip(NEXT) | instid1(VALU_DEP_1)
	v_cndmask_b32_e64 v61, -1, 0xffff8000, vcc_lo
	v_xor_b32_e32 v152, v61, v152
	s_delay_alu instid0(VALU_DEP_1) | instskip(SKIP_1) | instid1(VALU_DEP_1)
	v_cmp_ne_u16_e64 vcc_lo, 0x7fff, v152
	v_cndmask_b32_e32 v61, 0xffff8000, v152, vcc_lo
	v_and_b32_e32 v61, 0xffff, v61
	s_delay_alu instid0(VALU_DEP_1) | instskip(NEXT) | instid1(VALU_DEP_1)
	v_lshrrev_b32_e32 v61, s49, v61
	v_bitop3_b32 v157, v61, 1, s52 bitop3:0x80
	v_and_b32_e32 v159, s52, v61
	s_delay_alu instid0(VALU_DEP_2) | instskip(NEXT) | instid1(VALU_DEP_1)
	v_add_co_u32 v61, s15, v157, -1
	v_cndmask_b32_e64 v157, 0, 1, s15
	s_delay_alu instid0(VALU_DEP_3) | instskip(NEXT) | instid1(VALU_DEP_2)
	v_dual_lshlrev_b32 v158, 30, v159 :: v_dual_lshlrev_b32 v161, 29, v159
	v_cmp_ne_u32_e32 vcc_lo, 0, v157
	s_delay_alu instid0(VALU_DEP_2) | instskip(SKIP_1) | instid1(VALU_DEP_4)
	v_cmp_gt_i32_e64 s15, 0, v158
	v_not_b32_e32 v157, v158
	v_not_b32_e32 v158, v161
	s_delay_alu instid0(VALU_DEP_1) | instskip(SKIP_3) | instid1(VALU_DEP_4)
	v_dual_ashrrev_i32 v158, 31, v158 :: v_dual_lshlrev_b32 v162, 28, v159
	v_dual_lshlrev_b32 v163, 27, v159 :: v_dual_lshlrev_b32 v165, 26, v159
	v_dual_lshlrev_b32 v166, 25, v159 :: v_dual_lshlrev_b32 v167, 24, v159
	v_cmp_gt_i32_e64 s16, 0, v161
	v_cmp_gt_i32_e64 s17, 0, v162
	v_not_b32_e32 v161, v162
	v_not_b32_e32 v162, v163
	v_ashrrev_i32_e32 v157, 31, v157
	v_cmp_gt_i32_e64 s18, 0, v163
	v_cmp_gt_i32_e64 s19, 0, v165
	v_not_b32_e32 v163, v165
	v_cmp_gt_i32_e64 s20, 0, v166
	v_not_b32_e32 v165, v166
	v_not_b32_e32 v166, v167
	s_delay_alu instid0(VALU_DEP_4) | instskip(SKIP_3) | instid1(VALU_DEP_3)
	v_dual_ashrrev_i32 v163, 31, v163 :: v_dual_bitop2_b32 v61, vcc_lo, v61 bitop3:0x14
	v_dual_ashrrev_i32 v161, 31, v161 :: v_dual_bitop2_b32 v158, s16, v158 bitop3:0x14
	v_dual_ashrrev_i32 v162, 31, v162 :: v_dual_bitop2_b32 v157, s15, v157 bitop3:0x14
	v_cmp_gt_i32_e64 s21, 0, v167
	v_xor_b32_e32 v161, s17, v161
	v_xor_b32_e32 v163, s19, v163
	s_delay_alu instid0(VALU_DEP_4) | instskip(SKIP_2) | instid1(VALU_DEP_2)
	v_xor_b32_e32 v162, s18, v162
	v_bitop3_b32 v61, v61, v157, exec_lo bitop3:0x80
	v_dual_ashrrev_i32 v157, 31, v165 :: v_dual_ashrrev_i32 v165, 31, v166
	v_bitop3_b32 v61, v61, v161, v158 bitop3:0x80
	v_mad_u32_u24 v158, v159, 36, v23
	s_delay_alu instid0(VALU_DEP_3) | instskip(NEXT) | instid1(VALU_DEP_4)
	v_xor_b32_e32 v161, s20, v157
	v_xor_b32_e32 v165, s21, v165
	v_mul_u32_u24_e32 v159, 36, v159
	v_bitop3_b32 v61, v61, v163, v162 bitop3:0x80
	ds_load_b32 v157, v158 offset:1056
	; wave barrier
	v_add_nc_u32_e32 v159, v23, v159
	v_bitop3_b32 v61, v61, v165, v161 bitop3:0x80
	s_delay_alu instid0(VALU_DEP_1) | instskip(SKIP_1) | instid1(VALU_DEP_2)
	v_mbcnt_lo_u32_b32 v158, v61, 0
	v_cmp_ne_u32_e64 s15, 0, v61
	v_cmp_eq_u32_e32 vcc_lo, 0, v158
	s_and_b32 s16, s15, vcc_lo
	s_delay_alu instid0(SALU_CYCLE_1)
	s_and_saveexec_b32 s15, s16
	s_cbranch_execz .LBB1833_728
; %bb.727:                              ;   in Loop: Header=BB1833_682 Depth=2
	s_wait_dscnt 0x0
	v_bcnt_u32_b32 v61, v61, v157
	ds_store_b32 v159, v61 offset:1056
.LBB1833_728:                           ;   in Loop: Header=BB1833_682 Depth=2
	s_or_b32 exec_lo, exec_lo, s15
	v_cmp_lt_i16_e64 vcc_lo, -1, v156
	; wave barrier
	s_delay_alu instid0(VALU_DEP_1) | instskip(NEXT) | instid1(VALU_DEP_1)
	v_cndmask_b32_e64 v61, -1, 0xffff8000, vcc_lo
	v_xor_b32_e32 v156, v61, v156
	s_delay_alu instid0(VALU_DEP_1) | instskip(SKIP_1) | instid1(VALU_DEP_1)
	v_cmp_ne_u16_e64 vcc_lo, 0x7fff, v156
	v_cndmask_b32_e32 v61, 0xffff8000, v156, vcc_lo
	v_and_b32_e32 v61, 0xffff, v61
	s_delay_alu instid0(VALU_DEP_1) | instskip(NEXT) | instid1(VALU_DEP_1)
	v_lshrrev_b32_e32 v61, s49, v61
	v_bitop3_b32 v161, v61, 1, s52 bitop3:0x80
	v_and_b32_e32 v163, s52, v61
	s_delay_alu instid0(VALU_DEP_2) | instskip(NEXT) | instid1(VALU_DEP_1)
	v_add_co_u32 v61, s15, v161, -1
	v_cndmask_b32_e64 v161, 0, 1, s15
	s_delay_alu instid0(VALU_DEP_3) | instskip(NEXT) | instid1(VALU_DEP_2)
	v_dual_lshlrev_b32 v162, 30, v163 :: v_dual_lshlrev_b32 v165, 29, v163
	v_cmp_ne_u32_e32 vcc_lo, 0, v161
	s_delay_alu instid0(VALU_DEP_2) | instskip(SKIP_1) | instid1(VALU_DEP_4)
	v_cmp_gt_i32_e64 s15, 0, v162
	v_not_b32_e32 v161, v162
	v_not_b32_e32 v162, v165
	s_delay_alu instid0(VALU_DEP_1) | instskip(SKIP_3) | instid1(VALU_DEP_4)
	v_dual_ashrrev_i32 v162, 31, v162 :: v_dual_lshlrev_b32 v166, 28, v163
	v_dual_lshlrev_b32 v167, 27, v163 :: v_dual_lshlrev_b32 v169, 26, v163
	v_dual_lshlrev_b32 v170, 25, v163 :: v_dual_lshlrev_b32 v171, 24, v163
	v_cmp_gt_i32_e64 s16, 0, v165
	v_cmp_gt_i32_e64 s17, 0, v166
	v_not_b32_e32 v165, v166
	v_not_b32_e32 v166, v167
	v_ashrrev_i32_e32 v161, 31, v161
	v_cmp_gt_i32_e64 s18, 0, v167
	v_cmp_gt_i32_e64 s19, 0, v169
	v_not_b32_e32 v167, v169
	v_cmp_gt_i32_e64 s20, 0, v170
	v_not_b32_e32 v169, v170
	v_not_b32_e32 v170, v171
	s_delay_alu instid0(VALU_DEP_4) | instskip(SKIP_3) | instid1(VALU_DEP_3)
	v_dual_ashrrev_i32 v167, 31, v167 :: v_dual_bitop2_b32 v61, vcc_lo, v61 bitop3:0x14
	v_dual_ashrrev_i32 v165, 31, v165 :: v_dual_bitop2_b32 v162, s16, v162 bitop3:0x14
	v_dual_ashrrev_i32 v166, 31, v166 :: v_dual_bitop2_b32 v161, s15, v161 bitop3:0x14
	v_cmp_gt_i32_e64 s21, 0, v171
	v_xor_b32_e32 v165, s17, v165
	v_xor_b32_e32 v167, s19, v167
	s_delay_alu instid0(VALU_DEP_4) | instskip(SKIP_2) | instid1(VALU_DEP_2)
	v_xor_b32_e32 v166, s18, v166
	v_bitop3_b32 v61, v61, v161, exec_lo bitop3:0x80
	v_dual_ashrrev_i32 v161, 31, v169 :: v_dual_ashrrev_i32 v169, 31, v170
	v_bitop3_b32 v61, v61, v165, v162 bitop3:0x80
	v_mad_u32_u24 v162, v163, 36, v23
	s_delay_alu instid0(VALU_DEP_3) | instskip(NEXT) | instid1(VALU_DEP_4)
	v_xor_b32_e32 v165, s20, v161
	v_xor_b32_e32 v169, s21, v169
	v_mul_u32_u24_e32 v163, 36, v163
	v_bitop3_b32 v61, v61, v167, v166 bitop3:0x80
	ds_load_b32 v161, v162 offset:1056
	; wave barrier
	v_add_nc_u32_e32 v163, v23, v163
	v_bitop3_b32 v61, v61, v169, v165 bitop3:0x80
	s_delay_alu instid0(VALU_DEP_1) | instskip(SKIP_1) | instid1(VALU_DEP_2)
	v_mbcnt_lo_u32_b32 v162, v61, 0
	v_cmp_ne_u32_e64 s15, 0, v61
	v_cmp_eq_u32_e32 vcc_lo, 0, v162
	s_and_b32 s16, s15, vcc_lo
	s_delay_alu instid0(SALU_CYCLE_1)
	s_and_saveexec_b32 s15, s16
	s_cbranch_execz .LBB1833_730
; %bb.729:                              ;   in Loop: Header=BB1833_682 Depth=2
	s_wait_dscnt 0x0
	v_bcnt_u32_b32 v61, v61, v161
	ds_store_b32 v163, v61 offset:1056
.LBB1833_730:                           ;   in Loop: Header=BB1833_682 Depth=2
	s_or_b32 exec_lo, exec_lo, s15
	v_cmp_lt_i16_e64 vcc_lo, -1, v160
	; wave barrier
	s_delay_alu instid0(VALU_DEP_1) | instskip(NEXT) | instid1(VALU_DEP_1)
	v_cndmask_b32_e64 v61, -1, 0xffff8000, vcc_lo
	v_xor_b32_e32 v160, v61, v160
	s_delay_alu instid0(VALU_DEP_1) | instskip(SKIP_1) | instid1(VALU_DEP_1)
	v_cmp_ne_u16_e64 vcc_lo, 0x7fff, v160
	v_cndmask_b32_e32 v61, 0xffff8000, v160, vcc_lo
	v_and_b32_e32 v61, 0xffff, v61
	s_delay_alu instid0(VALU_DEP_1) | instskip(NEXT) | instid1(VALU_DEP_1)
	v_lshrrev_b32_e32 v61, s49, v61
	v_bitop3_b32 v165, v61, 1, s52 bitop3:0x80
	v_and_b32_e32 v167, s52, v61
	s_delay_alu instid0(VALU_DEP_2) | instskip(NEXT) | instid1(VALU_DEP_1)
	v_add_co_u32 v61, s15, v165, -1
	v_cndmask_b32_e64 v165, 0, 1, s15
	s_delay_alu instid0(VALU_DEP_3) | instskip(NEXT) | instid1(VALU_DEP_2)
	v_dual_lshlrev_b32 v166, 30, v167 :: v_dual_lshlrev_b32 v169, 29, v167
	v_cmp_ne_u32_e32 vcc_lo, 0, v165
	s_delay_alu instid0(VALU_DEP_2) | instskip(SKIP_1) | instid1(VALU_DEP_4)
	v_cmp_gt_i32_e64 s15, 0, v166
	v_not_b32_e32 v165, v166
	v_not_b32_e32 v166, v169
	s_delay_alu instid0(VALU_DEP_1) | instskip(SKIP_3) | instid1(VALU_DEP_4)
	v_dual_ashrrev_i32 v166, 31, v166 :: v_dual_lshlrev_b32 v170, 28, v167
	v_dual_lshlrev_b32 v171, 27, v167 :: v_dual_lshlrev_b32 v172, 26, v167
	v_cmp_gt_i32_e64 s16, 0, v169
	v_dual_lshlrev_b32 v173, 25, v167 :: v_dual_lshlrev_b32 v174, 24, v167
	v_cmp_gt_i32_e64 s17, 0, v170
	v_not_b32_e32 v169, v170
	v_not_b32_e32 v170, v171
	v_ashrrev_i32_e32 v165, 31, v165
	v_cmp_gt_i32_e64 s18, 0, v171
	v_not_b32_e32 v171, v172
	v_xor_b32_e32 v61, vcc_lo, v61
	v_dual_ashrrev_i32 v169, 31, v169 :: v_dual_bitop2_b32 v166, s16, v166 bitop3:0x14
	v_dual_ashrrev_i32 v170, 31, v170 :: v_dual_bitop2_b32 v165, s15, v165 bitop3:0x14
	v_cmp_gt_i32_e64 s19, 0, v172
	v_cmp_gt_i32_e64 s20, 0, v173
	v_not_b32_e32 v172, v173
	v_not_b32_e32 v173, v174
	v_dual_ashrrev_i32 v171, 31, v171 :: v_dual_bitop2_b32 v169, s17, v169 bitop3:0x14
	v_bitop3_b32 v61, v61, v165, exec_lo bitop3:0x80
	v_cmp_gt_i32_e64 s21, 0, v174
	s_delay_alu instid0(VALU_DEP_4)
	v_dual_ashrrev_i32 v165, 31, v172 :: v_dual_ashrrev_i32 v172, 31, v173
	v_xor_b32_e32 v170, s18, v170
	v_xor_b32_e32 v171, s19, v171
	v_bitop3_b32 v61, v61, v169, v166 bitop3:0x80
	v_mad_u32_u24 v166, v167, 36, v23
	v_xor_b32_e32 v169, s20, v165
	v_xor_b32_e32 v172, s21, v172
	v_mul_u32_u24_e32 v167, 36, v167
	v_bitop3_b32 v61, v61, v171, v170 bitop3:0x80
	ds_load_b32 v165, v166 offset:1056
	; wave barrier
	v_add_nc_u32_e32 v167, v23, v167
	v_bitop3_b32 v61, v61, v172, v169 bitop3:0x80
	s_delay_alu instid0(VALU_DEP_1) | instskip(SKIP_1) | instid1(VALU_DEP_2)
	v_mbcnt_lo_u32_b32 v166, v61, 0
	v_cmp_ne_u32_e64 s15, 0, v61
	v_cmp_eq_u32_e32 vcc_lo, 0, v166
	s_and_b32 s16, s15, vcc_lo
	s_delay_alu instid0(SALU_CYCLE_1)
	s_and_saveexec_b32 s15, s16
	s_cbranch_execz .LBB1833_732
; %bb.731:                              ;   in Loop: Header=BB1833_682 Depth=2
	s_wait_dscnt 0x0
	v_bcnt_u32_b32 v61, v61, v165
	ds_store_b32 v167, v61 offset:1056
.LBB1833_732:                           ;   in Loop: Header=BB1833_682 Depth=2
	s_or_b32 exec_lo, exec_lo, s15
	v_cmp_lt_i16_e64 vcc_lo, -1, v164
	; wave barrier
	s_delay_alu instid0(VALU_DEP_1) | instskip(NEXT) | instid1(VALU_DEP_1)
	v_cndmask_b32_e64 v61, -1, 0xffff8000, vcc_lo
	v_xor_b32_e32 v164, v61, v164
	s_delay_alu instid0(VALU_DEP_1) | instskip(SKIP_1) | instid1(VALU_DEP_1)
	v_cmp_ne_u16_e64 vcc_lo, 0x7fff, v164
	v_cndmask_b32_e32 v61, 0xffff8000, v164, vcc_lo
	v_and_b32_e32 v61, 0xffff, v61
	s_delay_alu instid0(VALU_DEP_1) | instskip(NEXT) | instid1(VALU_DEP_1)
	v_lshrrev_b32_e32 v61, s49, v61
	v_bitop3_b32 v169, v61, 1, s52 bitop3:0x80
	v_and_b32_e32 v171, s52, v61
	s_delay_alu instid0(VALU_DEP_2) | instskip(NEXT) | instid1(VALU_DEP_1)
	v_add_co_u32 v61, s15, v169, -1
	v_cndmask_b32_e64 v169, 0, 1, s15
	s_delay_alu instid0(VALU_DEP_3) | instskip(NEXT) | instid1(VALU_DEP_2)
	v_dual_lshlrev_b32 v170, 30, v171 :: v_dual_lshlrev_b32 v172, 29, v171
	v_cmp_ne_u32_e32 vcc_lo, 0, v169
	s_delay_alu instid0(VALU_DEP_2) | instskip(SKIP_1) | instid1(VALU_DEP_4)
	v_cmp_gt_i32_e64 s15, 0, v170
	v_not_b32_e32 v169, v170
	v_not_b32_e32 v170, v172
	s_delay_alu instid0(VALU_DEP_1) | instskip(SKIP_3) | instid1(VALU_DEP_4)
	v_dual_ashrrev_i32 v170, 31, v170 :: v_dual_lshlrev_b32 v173, 28, v171
	v_dual_lshlrev_b32 v174, 27, v171 :: v_dual_lshlrev_b32 v175, 26, v171
	v_dual_lshlrev_b32 v176, 25, v171 :: v_dual_lshlrev_b32 v177, 24, v171
	v_cmp_gt_i32_e64 s16, 0, v172
	v_not_b32_e32 v172, v173
	v_ashrrev_i32_e32 v169, 31, v169
	v_cmp_gt_i32_e64 s17, 0, v173
	v_cmp_gt_i32_e64 s18, 0, v174
	v_not_b32_e32 v173, v174
	v_cmp_gt_i32_e64 s19, 0, v175
	v_not_b32_e32 v174, v175
	;; [unrolled: 2-line block ×3, first 2 shown]
	v_not_b32_e32 v176, v177
	s_delay_alu instid0(VALU_DEP_4) | instskip(SKIP_3) | instid1(VALU_DEP_3)
	v_dual_ashrrev_i32 v174, 31, v174 :: v_dual_bitop2_b32 v61, vcc_lo, v61 bitop3:0x14
	v_dual_ashrrev_i32 v172, 31, v172 :: v_dual_bitop2_b32 v169, s15, v169 bitop3:0x14
	v_dual_ashrrev_i32 v173, 31, v173 :: v_dual_bitop2_b32 v170, s16, v170 bitop3:0x14
	v_cmp_gt_i32_e64 s21, 0, v177
	v_xor_b32_e32 v172, s17, v172
	s_delay_alu instid0(VALU_DEP_4) | instskip(SKIP_2) | instid1(VALU_DEP_3)
	v_bitop3_b32 v61, v61, v169, exec_lo bitop3:0x80
	v_dual_ashrrev_i32 v169, 31, v175 :: v_dual_ashrrev_i32 v175, 31, v176
	v_xor_b32_e32 v174, s19, v174
	v_bitop3_b32 v61, v61, v172, v170 bitop3:0x80
	v_mad_u32_u24 v170, v171, 36, v23
	v_mul_u32_u24_e32 v171, 36, v171
	v_xor_b32_e32 v173, s18, v173
	v_xor_b32_e32 v172, s20, v169
	;; [unrolled: 1-line block ×3, first 2 shown]
	ds_load_b32 v169, v170 offset:1056
	v_add_nc_u32_e32 v171, v23, v171
	v_bitop3_b32 v61, v61, v174, v173 bitop3:0x80
	; wave barrier
	s_delay_alu instid0(VALU_DEP_1) | instskip(NEXT) | instid1(VALU_DEP_1)
	v_bitop3_b32 v61, v61, v175, v172 bitop3:0x80
	v_mbcnt_lo_u32_b32 v170, v61, 0
	v_cmp_ne_u32_e64 s15, 0, v61
	s_delay_alu instid0(VALU_DEP_2) | instskip(SKIP_1) | instid1(SALU_CYCLE_1)
	v_cmp_eq_u32_e32 vcc_lo, 0, v170
	s_and_b32 s16, s15, vcc_lo
	s_and_saveexec_b32 s15, s16
	s_cbranch_execz .LBB1833_734
; %bb.733:                              ;   in Loop: Header=BB1833_682 Depth=2
	s_wait_dscnt 0x0
	v_bcnt_u32_b32 v61, v61, v169
	ds_store_b32 v171, v61 offset:1056
.LBB1833_734:                           ;   in Loop: Header=BB1833_682 Depth=2
	s_or_b32 exec_lo, exec_lo, s15
	v_cmp_lt_i16_e64 vcc_lo, -1, v168
	; wave barrier
	s_delay_alu instid0(VALU_DEP_1) | instskip(NEXT) | instid1(VALU_DEP_1)
	v_cndmask_b32_e64 v61, -1, 0xffff8000, vcc_lo
	v_xor_b32_e32 v168, v61, v168
	s_delay_alu instid0(VALU_DEP_1) | instskip(SKIP_1) | instid1(VALU_DEP_1)
	v_cmp_ne_u16_e64 vcc_lo, 0x7fff, v168
	v_cndmask_b32_e32 v61, 0xffff8000, v168, vcc_lo
	v_and_b32_e32 v61, 0xffff, v61
	s_delay_alu instid0(VALU_DEP_1) | instskip(NEXT) | instid1(VALU_DEP_1)
	v_lshrrev_b32_e32 v61, s49, v61
	v_bitop3_b32 v172, v61, 1, s52 bitop3:0x80
	v_and_b32_e32 v175, s52, v61
	s_delay_alu instid0(VALU_DEP_2) | instskip(NEXT) | instid1(VALU_DEP_1)
	v_add_co_u32 v61, s15, v172, -1
	v_cndmask_b32_e64 v172, 0, 1, s15
	s_delay_alu instid0(VALU_DEP_3) | instskip(NEXT) | instid1(VALU_DEP_2)
	v_lshlrev_b32_e32 v173, 30, v175
	v_cmp_ne_u32_e32 vcc_lo, 0, v172
	s_delay_alu instid0(VALU_DEP_2) | instskip(NEXT) | instid1(VALU_DEP_1)
	v_not_b32_e32 v172, v173
	v_dual_ashrrev_i32 v172, 31, v172 :: v_dual_lshlrev_b32 v174, 29, v175
	v_dual_lshlrev_b32 v176, 28, v175 :: v_dual_lshlrev_b32 v177, 27, v175
	v_lshlrev_b32_e32 v178, 26, v175
	v_cmp_gt_i32_e64 s15, 0, v173
	s_delay_alu instid0(VALU_DEP_4)
	v_cmp_gt_i32_e64 s16, 0, v174
	v_not_b32_e32 v173, v174
	v_not_b32_e32 v174, v176
	v_dual_lshlrev_b32 v179, 25, v175 :: v_dual_lshlrev_b32 v180, 24, v175
	v_cmp_gt_i32_e64 s17, 0, v176
	v_cmp_gt_i32_e64 s18, 0, v177
	v_not_b32_e32 v176, v177
	v_not_b32_e32 v177, v178
	v_dual_ashrrev_i32 v174, 31, v174 :: v_dual_bitop2_b32 v61, vcc_lo, v61 bitop3:0x14
	v_dual_ashrrev_i32 v173, 31, v173 :: v_dual_bitop2_b32 v172, s15, v172 bitop3:0x14
	v_cmp_gt_i32_e64 s19, 0, v178
	v_cmp_gt_i32_e64 s20, 0, v179
	v_not_b32_e32 v178, v179
	v_not_b32_e32 v179, v180
	v_dual_ashrrev_i32 v176, 31, v176 :: v_dual_ashrrev_i32 v177, 31, v177
	v_xor_b32_e32 v173, s16, v173
	v_xor_b32_e32 v174, s17, v174
	v_bitop3_b32 v61, v61, v172, exec_lo bitop3:0x80
	v_cmp_gt_i32_e64 s21, 0, v180
	v_dual_ashrrev_i32 v172, 31, v178 :: v_dual_ashrrev_i32 v178, 31, v179
	v_xor_b32_e32 v176, s18, v176
	v_xor_b32_e32 v177, s19, v177
	v_bitop3_b32 v61, v61, v174, v173 bitop3:0x80
	v_mad_u32_u24 v173, v175, 36, v23
	v_xor_b32_e32 v172, s20, v172
	v_xor_b32_e32 v174, s21, v178
	s_delay_alu instid0(VALU_DEP_4) | instskip(SKIP_3) | instid1(VALU_DEP_2)
	v_bitop3_b32 v61, v61, v177, v176 bitop3:0x80
	ds_load_b32 v173, v173 offset:1056
	; wave barrier
	v_bitop3_b32 v61, v61, v174, v172 bitop3:0x80
	v_mul_u32_u24_e32 v172, 36, v175
	v_mbcnt_lo_u32_b32 v174, v61, 0
	v_cmp_ne_u32_e64 s15, 0, v61
	s_delay_alu instid0(VALU_DEP_3) | instskip(NEXT) | instid1(VALU_DEP_3)
	v_add_nc_u32_e32 v175, v23, v172
	v_cmp_eq_u32_e32 vcc_lo, 0, v174
	s_and_b32 s16, s15, vcc_lo
	s_delay_alu instid0(SALU_CYCLE_1)
	s_and_saveexec_b32 s15, s16
	s_cbranch_execz .LBB1833_736
; %bb.735:                              ;   in Loop: Header=BB1833_682 Depth=2
	s_wait_dscnt 0x0
	v_bcnt_u32_b32 v61, v61, v173
	ds_store_b32 v175, v61 offset:1056
.LBB1833_736:                           ;   in Loop: Header=BB1833_682 Depth=2
	s_or_b32 exec_lo, exec_lo, s15
	v_cmp_lt_i16_e32 vcc_lo, -1, v67
	; wave barrier
	v_cndmask_b32_e64 v61, -1, 0xffff8000, vcc_lo
	s_delay_alu instid0(VALU_DEP_1) | instskip(NEXT) | instid1(VALU_DEP_1)
	v_xor_b32_e32 v172, v61, v67
	v_cmp_ne_u16_e64 vcc_lo, 0x7fff, v172
	v_cndmask_b32_e32 v61, 0xffff8000, v172, vcc_lo
	s_delay_alu instid0(VALU_DEP_1) | instskip(NEXT) | instid1(VALU_DEP_1)
	v_and_b32_e32 v61, 0xffff, v61
	v_lshrrev_b32_e32 v61, s49, v61
	s_delay_alu instid0(VALU_DEP_1) | instskip(SKIP_1) | instid1(VALU_DEP_2)
	v_bitop3_b32 v67, v61, 1, s52 bitop3:0x80
	v_and_b32_e32 v176, s52, v61
	v_add_co_u32 v61, s15, v67, -1
	s_delay_alu instid0(VALU_DEP_1) | instskip(NEXT) | instid1(VALU_DEP_3)
	v_cndmask_b32_e64 v67, 0, 1, s15
	v_lshlrev_b32_e32 v177, 30, v176
	s_delay_alu instid0(VALU_DEP_2) | instskip(NEXT) | instid1(VALU_DEP_2)
	v_cmp_ne_u32_e32 vcc_lo, 0, v67
	v_not_b32_e32 v67, v177
	s_delay_alu instid0(VALU_DEP_1) | instskip(SKIP_4) | instid1(VALU_DEP_4)
	v_dual_ashrrev_i32 v67, 31, v67 :: v_dual_bitop2_b32 v61, vcc_lo, v61 bitop3:0x14
	v_dual_lshlrev_b32 v178, 29, v176 :: v_dual_lshlrev_b32 v179, 28, v176
	v_dual_lshlrev_b32 v180, 27, v176 :: v_dual_lshlrev_b32 v181, 26, v176
	v_lshlrev_b32_e32 v182, 25, v176
	v_cmp_gt_i32_e64 s15, 0, v177
	v_cmp_gt_i32_e64 s16, 0, v178
	v_not_b32_e32 v177, v178
	v_not_b32_e32 v178, v179
	v_lshlrev_b32_e32 v183, 24, v176
	v_cmp_gt_i32_e64 s17, 0, v179
	v_cmp_gt_i32_e64 s18, 0, v180
	v_not_b32_e32 v179, v180
	v_not_b32_e32 v180, v181
	v_dual_ashrrev_i32 v177, 31, v177 :: v_dual_bitop2_b32 v67, s15, v67 bitop3:0x14
	v_ashrrev_i32_e32 v178, 31, v178
	v_cmp_gt_i32_e64 s19, 0, v181
	v_cmp_gt_i32_e64 s20, 0, v182
	v_not_b32_e32 v181, v182
	v_not_b32_e32 v182, v183
	v_dual_ashrrev_i32 v179, 31, v179 :: v_dual_ashrrev_i32 v180, 31, v180
	v_xor_b32_e32 v177, s16, v177
	v_xor_b32_e32 v178, s17, v178
	v_bitop3_b32 v61, v61, v67, exec_lo bitop3:0x80
	v_cmp_gt_i32_e64 s21, 0, v183
	v_dual_ashrrev_i32 v67, 31, v181 :: v_dual_ashrrev_i32 v181, 31, v182
	v_xor_b32_e32 v179, s18, v179
	v_xor_b32_e32 v180, s19, v180
	v_bitop3_b32 v61, v61, v178, v177 bitop3:0x80
	v_mad_u32_u24 v177, v176, 36, v23
	v_xor_b32_e32 v67, s20, v67
	v_xor_b32_e32 v178, s21, v181
	s_delay_alu instid0(VALU_DEP_4) | instskip(SKIP_3) | instid1(VALU_DEP_2)
	v_bitop3_b32 v61, v61, v180, v179 bitop3:0x80
	ds_load_b32 v177, v177 offset:1056
	; wave barrier
	v_bitop3_b32 v61, v61, v178, v67 bitop3:0x80
	v_mul_u32_u24_e32 v67, 36, v176
	v_mbcnt_lo_u32_b32 v178, v61, 0
	v_cmp_ne_u32_e64 s15, 0, v61
	s_delay_alu instid0(VALU_DEP_3) | instskip(NEXT) | instid1(VALU_DEP_3)
	v_add_nc_u32_e32 v179, v23, v67
	v_cmp_eq_u32_e32 vcc_lo, 0, v178
	s_and_b32 s16, s15, vcc_lo
	s_delay_alu instid0(SALU_CYCLE_1)
	s_and_saveexec_b32 s15, s16
	s_cbranch_execz .LBB1833_738
; %bb.737:                              ;   in Loop: Header=BB1833_682 Depth=2
	s_wait_dscnt 0x0
	v_bcnt_u32_b32 v61, v61, v177
	ds_store_b32 v179, v61 offset:1056
.LBB1833_738:                           ;   in Loop: Header=BB1833_682 Depth=2
	s_or_b32 exec_lo, exec_lo, s15
	v_cmp_lt_i16_e32 vcc_lo, -1, v66
	; wave barrier
	v_cndmask_b32_e64 v61, -1, 0xffff8000, vcc_lo
	s_delay_alu instid0(VALU_DEP_1) | instskip(NEXT) | instid1(VALU_DEP_1)
	v_xor_b32_e32 v176, v61, v66
	v_cmp_ne_u16_e64 vcc_lo, 0x7fff, v176
	v_cndmask_b32_e32 v61, 0xffff8000, v176, vcc_lo
	s_delay_alu instid0(VALU_DEP_1) | instskip(NEXT) | instid1(VALU_DEP_1)
	v_and_b32_e32 v61, 0xffff, v61
	v_lshrrev_b32_e32 v61, s49, v61
	s_delay_alu instid0(VALU_DEP_1) | instskip(SKIP_1) | instid1(VALU_DEP_2)
	v_bitop3_b32 v66, v61, 1, s52 bitop3:0x80
	v_and_b32_e32 v67, s52, v61
	v_add_co_u32 v61, s15, v66, -1
	s_delay_alu instid0(VALU_DEP_1) | instskip(NEXT) | instid1(VALU_DEP_3)
	v_cndmask_b32_e64 v66, 0, 1, s15
	v_lshlrev_b32_e32 v180, 30, v67
	s_delay_alu instid0(VALU_DEP_2) | instskip(NEXT) | instid1(VALU_DEP_2)
	v_cmp_ne_u32_e32 vcc_lo, 0, v66
	v_not_b32_e32 v66, v180
	v_cmp_gt_i32_e64 s15, 0, v180
	s_delay_alu instid0(VALU_DEP_2) | instskip(SKIP_3) | instid1(VALU_DEP_4)
	v_dual_ashrrev_i32 v66, 31, v66 :: v_dual_lshlrev_b32 v181, 29, v67
	v_dual_lshlrev_b32 v182, 28, v67 :: v_dual_lshlrev_b32 v183, 27, v67
	v_dual_lshlrev_b32 v184, 26, v67 :: v_dual_lshlrev_b32 v185, 25, v67
	v_lshlrev_b32_e32 v186, 24, v67
	v_cmp_gt_i32_e64 s16, 0, v181
	v_not_b32_e32 v180, v181
	v_not_b32_e32 v181, v182
	v_cmp_gt_i32_e64 s17, 0, v182
	v_cmp_gt_i32_e64 s18, 0, v183
	v_not_b32_e32 v182, v183
	v_not_b32_e32 v183, v184
	v_dual_ashrrev_i32 v180, 31, v180 :: v_dual_bitop2_b32 v61, vcc_lo, v61 bitop3:0x14
	v_dual_ashrrev_i32 v181, 31, v181 :: v_dual_bitop2_b32 v66, s15, v66 bitop3:0x14
	v_cmp_gt_i32_e64 s19, 0, v184
	v_cmp_gt_i32_e64 s20, 0, v185
	v_not_b32_e32 v184, v185
	v_not_b32_e32 v185, v186
	v_dual_ashrrev_i32 v182, 31, v182 :: v_dual_ashrrev_i32 v183, 31, v183
	v_xor_b32_e32 v180, s16, v180
	v_xor_b32_e32 v181, s17, v181
	v_bitop3_b32 v61, v61, v66, exec_lo bitop3:0x80
	v_cmp_gt_i32_e64 s21, 0, v186
	v_dual_ashrrev_i32 v66, 31, v184 :: v_dual_ashrrev_i32 v184, 31, v185
	v_xor_b32_e32 v182, s18, v182
	v_xor_b32_e32 v183, s19, v183
	v_bitop3_b32 v61, v61, v181, v180 bitop3:0x80
	v_mad_u32_u24 v180, v67, 36, v23
	v_xor_b32_e32 v66, s20, v66
	v_xor_b32_e32 v184, s21, v184
	s_delay_alu instid0(VALU_DEP_4) | instskip(SKIP_3) | instid1(VALU_DEP_2)
	v_bitop3_b32 v61, v61, v183, v182 bitop3:0x80
	ds_load_b32 v181, v180 offset:1056
	; wave barrier
	v_bitop3_b32 v61, v61, v184, v66 bitop3:0x80
	v_mul_u32_u24_e32 v66, 36, v67
	v_mbcnt_lo_u32_b32 v182, v61, 0
	v_cmp_ne_u32_e64 s15, 0, v61
	s_delay_alu instid0(VALU_DEP_3) | instskip(NEXT) | instid1(VALU_DEP_3)
	v_add_nc_u32_e32 v183, v23, v66
	v_cmp_eq_u32_e32 vcc_lo, 0, v182
	s_and_b32 s16, s15, vcc_lo
	s_delay_alu instid0(SALU_CYCLE_1)
	s_and_saveexec_b32 s15, s16
	s_cbranch_execz .LBB1833_740
; %bb.739:                              ;   in Loop: Header=BB1833_682 Depth=2
	s_wait_dscnt 0x0
	v_bcnt_u32_b32 v61, v61, v181
	ds_store_b32 v183, v61 offset:1056
.LBB1833_740:                           ;   in Loop: Header=BB1833_682 Depth=2
	s_or_b32 exec_lo, exec_lo, s15
	v_cmp_lt_i16_e32 vcc_lo, -1, v65
	; wave barrier
	v_cndmask_b32_e64 v61, -1, 0xffff8000, vcc_lo
	s_delay_alu instid0(VALU_DEP_1) | instskip(NEXT) | instid1(VALU_DEP_1)
	v_xor_b32_e32 v180, v61, v65
	v_cmp_ne_u16_e64 vcc_lo, 0x7fff, v180
	v_cndmask_b32_e32 v61, 0xffff8000, v180, vcc_lo
	s_delay_alu instid0(VALU_DEP_1) | instskip(NEXT) | instid1(VALU_DEP_1)
	v_and_b32_e32 v61, 0xffff, v61
	v_lshrrev_b32_e32 v61, s49, v61
	s_delay_alu instid0(VALU_DEP_1) | instskip(NEXT) | instid1(VALU_DEP_1)
	v_and_b32_e32 v66, s52, v61
	v_lshlrev_b32_e32 v185, 28, v66
	v_bitop3_b32 v65, v61, 1, s52 bitop3:0x80
	v_dual_lshlrev_b32 v67, 30, v66 :: v_dual_lshlrev_b32 v184, 29, v66
	s_delay_alu instid0(VALU_DEP_3) | instskip(NEXT) | instid1(VALU_DEP_3)
	v_cmp_gt_i32_e64 s17, 0, v185
	v_add_co_u32 v61, s15, v65, -1
	s_delay_alu instid0(VALU_DEP_1) | instskip(NEXT) | instid1(VALU_DEP_4)
	v_cndmask_b32_e64 v65, 0, 1, s15
	v_cmp_gt_i32_e64 s15, 0, v67
	v_cmp_gt_i32_e64 s16, 0, v184
	s_delay_alu instid0(VALU_DEP_3) | instskip(SKIP_3) | instid1(VALU_DEP_2)
	v_cmp_ne_u32_e32 vcc_lo, 0, v65
	v_not_b32_e32 v65, v67
	v_not_b32_e32 v67, v184
	;; [unrolled: 1-line block ×3, first 2 shown]
	v_dual_ashrrev_i32 v65, 31, v65 :: v_dual_ashrrev_i32 v67, 31, v67
	v_dual_lshlrev_b32 v186, 27, v66 :: v_dual_lshlrev_b32 v187, 26, v66
	v_dual_lshlrev_b32 v188, 25, v66 :: v_dual_lshlrev_b32 v189, 24, v66
	s_delay_alu instid0(VALU_DEP_4) | instskip(NEXT) | instid1(VALU_DEP_3)
	v_ashrrev_i32_e32 v184, 31, v184
	v_cmp_gt_i32_e64 s18, 0, v186
	v_not_b32_e32 v185, v186
	v_cmp_gt_i32_e64 s19, 0, v187
	v_not_b32_e32 v186, v187
	;; [unrolled: 2-line block ×3, first 2 shown]
	v_not_b32_e32 v188, v189
	s_delay_alu instid0(VALU_DEP_4) | instskip(SKIP_4) | instid1(VALU_DEP_4)
	v_dual_ashrrev_i32 v186, 31, v186 :: v_dual_bitop2_b32 v61, vcc_lo, v61 bitop3:0x14
	v_xor_b32_e32 v65, s15, v65
	v_dual_ashrrev_i32 v185, 31, v185 :: v_dual_bitop2_b32 v67, s16, v67 bitop3:0x14
	v_xor_b32_e32 v184, s17, v184
	v_cmp_gt_i32_e64 s21, 0, v189
	v_bitop3_b32 v61, v61, v65, exec_lo bitop3:0x80
	v_dual_ashrrev_i32 v65, 31, v187 :: v_dual_ashrrev_i32 v187, 31, v188
	v_xor_b32_e32 v185, s18, v185
	v_xor_b32_e32 v186, s19, v186
	s_delay_alu instid0(VALU_DEP_4) | instskip(SKIP_3) | instid1(VALU_DEP_4)
	v_bitop3_b32 v61, v61, v184, v67 bitop3:0x80
	v_mad_u32_u24 v67, v66, 36, v23
	v_xor_b32_e32 v65, s20, v65
	v_xor_b32_e32 v184, s21, v187
	v_bitop3_b32 v61, v61, v186, v185 bitop3:0x80
	ds_load_b32 v185, v67 offset:1056
	; wave barrier
	v_bitop3_b32 v61, v61, v184, v65 bitop3:0x80
	v_mul_u32_u24_e32 v65, 36, v66
	s_delay_alu instid0(VALU_DEP_2) | instskip(SKIP_1) | instid1(VALU_DEP_3)
	v_mbcnt_lo_u32_b32 v186, v61, 0
	v_cmp_ne_u32_e64 s15, 0, v61
	v_add_nc_u32_e32 v187, v23, v65
	s_delay_alu instid0(VALU_DEP_3) | instskip(SKIP_1) | instid1(SALU_CYCLE_1)
	v_cmp_eq_u32_e32 vcc_lo, 0, v186
	s_and_b32 s16, s15, vcc_lo
	s_and_saveexec_b32 s15, s16
	s_cbranch_execz .LBB1833_742
; %bb.741:                              ;   in Loop: Header=BB1833_682 Depth=2
	s_wait_dscnt 0x0
	v_bcnt_u32_b32 v61, v61, v185
	ds_store_b32 v187, v61 offset:1056
.LBB1833_742:                           ;   in Loop: Header=BB1833_682 Depth=2
	s_or_b32 exec_lo, exec_lo, s15
	v_cmp_lt_i16_e32 vcc_lo, -1, v64
	; wave barrier
	v_cndmask_b32_e64 v61, -1, 0xffff8000, vcc_lo
	s_delay_alu instid0(VALU_DEP_1) | instskip(NEXT) | instid1(VALU_DEP_1)
	v_xor_b32_e32 v184, v61, v64
	v_cmp_ne_u16_e64 vcc_lo, 0x7fff, v184
	v_cndmask_b32_e32 v61, 0xffff8000, v184, vcc_lo
	s_delay_alu instid0(VALU_DEP_1) | instskip(NEXT) | instid1(VALU_DEP_1)
	v_and_b32_e32 v61, 0xffff, v61
	v_lshrrev_b32_e32 v61, s49, v61
	s_delay_alu instid0(VALU_DEP_1) | instskip(SKIP_1) | instid1(VALU_DEP_2)
	v_bitop3_b32 v64, v61, 1, s52 bitop3:0x80
	v_and_b32_e32 v65, s52, v61
	v_add_co_u32 v61, s15, v64, -1
	s_delay_alu instid0(VALU_DEP_1) | instskip(NEXT) | instid1(VALU_DEP_3)
	v_cndmask_b32_e64 v64, 0, 1, s15
	v_lshlrev_b32_e32 v66, 30, v65
	s_delay_alu instid0(VALU_DEP_2) | instskip(NEXT) | instid1(VALU_DEP_2)
	v_cmp_ne_u32_e32 vcc_lo, 0, v64
	v_not_b32_e32 v64, v66
	v_cmp_gt_i32_e64 s15, 0, v66
	s_delay_alu instid0(VALU_DEP_2) | instskip(SKIP_3) | instid1(VALU_DEP_4)
	v_dual_ashrrev_i32 v64, 31, v64 :: v_dual_lshlrev_b32 v67, 29, v65
	v_dual_lshlrev_b32 v188, 28, v65 :: v_dual_lshlrev_b32 v189, 27, v65
	v_dual_lshlrev_b32 v190, 26, v65 :: v_dual_lshlrev_b32 v191, 25, v65
	v_lshlrev_b32_e32 v192, 24, v65
	v_cmp_gt_i32_e64 s16, 0, v67
	v_not_b32_e32 v66, v67
	v_not_b32_e32 v67, v188
	v_cmp_gt_i32_e64 s17, 0, v188
	v_cmp_gt_i32_e64 s18, 0, v189
	v_not_b32_e32 v188, v189
	v_not_b32_e32 v189, v190
	v_dual_ashrrev_i32 v66, 31, v66 :: v_dual_bitop2_b32 v61, vcc_lo, v61 bitop3:0x14
	v_dual_ashrrev_i32 v67, 31, v67 :: v_dual_bitop2_b32 v64, s15, v64 bitop3:0x14
	v_cmp_gt_i32_e64 s19, 0, v190
	v_cmp_gt_i32_e64 s20, 0, v191
	v_not_b32_e32 v190, v191
	v_not_b32_e32 v191, v192
	v_dual_ashrrev_i32 v188, 31, v188 :: v_dual_ashrrev_i32 v189, 31, v189
	v_xor_b32_e32 v66, s16, v66
	v_xor_b32_e32 v67, s17, v67
	v_bitop3_b32 v61, v61, v64, exec_lo bitop3:0x80
	v_cmp_gt_i32_e64 s21, 0, v192
	v_dual_ashrrev_i32 v64, 31, v190 :: v_dual_ashrrev_i32 v190, 31, v191
	v_xor_b32_e32 v188, s18, v188
	v_xor_b32_e32 v189, s19, v189
	v_bitop3_b32 v61, v61, v67, v66 bitop3:0x80
	v_mad_u32_u24 v66, v65, 36, v23
	v_xor_b32_e32 v64, s20, v64
	v_xor_b32_e32 v67, s21, v190
	s_delay_alu instid0(VALU_DEP_4) | instskip(SKIP_3) | instid1(VALU_DEP_2)
	v_bitop3_b32 v61, v61, v189, v188 bitop3:0x80
	ds_load_b32 v189, v66 offset:1056
	; wave barrier
	v_bitop3_b32 v61, v61, v67, v64 bitop3:0x80
	v_mul_u32_u24_e32 v64, 36, v65
	v_mbcnt_lo_u32_b32 v190, v61, 0
	v_cmp_ne_u32_e64 s15, 0, v61
	s_delay_alu instid0(VALU_DEP_3) | instskip(NEXT) | instid1(VALU_DEP_3)
	v_add_nc_u32_e32 v191, v23, v64
	v_cmp_eq_u32_e32 vcc_lo, 0, v190
	s_and_b32 s16, s15, vcc_lo
	s_delay_alu instid0(SALU_CYCLE_1)
	s_and_saveexec_b32 s15, s16
	s_cbranch_execz .LBB1833_744
; %bb.743:                              ;   in Loop: Header=BB1833_682 Depth=2
	s_wait_dscnt 0x0
	v_bcnt_u32_b32 v61, v61, v189
	ds_store_b32 v191, v61 offset:1056
.LBB1833_744:                           ;   in Loop: Header=BB1833_682 Depth=2
	s_or_b32 exec_lo, exec_lo, s15
	v_cmp_lt_i16_e32 vcc_lo, -1, v63
	; wave barrier
	v_cndmask_b32_e64 v61, -1, 0xffff8000, vcc_lo
	s_delay_alu instid0(VALU_DEP_1) | instskip(NEXT) | instid1(VALU_DEP_1)
	v_xor_b32_e32 v188, v61, v63
	v_cmp_ne_u16_e64 vcc_lo, 0x7fff, v188
	v_cndmask_b32_e32 v61, 0xffff8000, v188, vcc_lo
	s_delay_alu instid0(VALU_DEP_1) | instskip(NEXT) | instid1(VALU_DEP_1)
	v_and_b32_e32 v61, 0xffff, v61
	v_lshrrev_b32_e32 v61, s49, v61
	s_delay_alu instid0(VALU_DEP_1) | instskip(SKIP_1) | instid1(VALU_DEP_2)
	v_bitop3_b32 v63, v61, 1, s52 bitop3:0x80
	v_and_b32_e32 v64, s52, v61
	v_add_co_u32 v61, s15, v63, -1
	s_delay_alu instid0(VALU_DEP_1) | instskip(NEXT) | instid1(VALU_DEP_3)
	v_cndmask_b32_e64 v63, 0, 1, s15
	v_lshlrev_b32_e32 v65, 30, v64
	s_delay_alu instid0(VALU_DEP_2) | instskip(NEXT) | instid1(VALU_DEP_2)
	v_cmp_ne_u32_e32 vcc_lo, 0, v63
	v_not_b32_e32 v63, v65
	s_delay_alu instid0(VALU_DEP_1) | instskip(SKIP_4) | instid1(VALU_DEP_4)
	v_dual_ashrrev_i32 v63, 31, v63 :: v_dual_bitop2_b32 v61, vcc_lo, v61 bitop3:0x14
	v_dual_lshlrev_b32 v66, 29, v64 :: v_dual_lshlrev_b32 v67, 28, v64
	v_dual_lshlrev_b32 v192, 27, v64 :: v_dual_lshlrev_b32 v193, 26, v64
	v_lshlrev_b32_e32 v194, 25, v64
	v_cmp_gt_i32_e64 s15, 0, v65
	v_cmp_gt_i32_e64 s16, 0, v66
	v_not_b32_e32 v65, v66
	v_not_b32_e32 v66, v67
	v_lshlrev_b32_e32 v195, 24, v64
	v_cmp_gt_i32_e64 s17, 0, v67
	v_cmp_gt_i32_e64 s18, 0, v192
	v_not_b32_e32 v67, v192
	v_not_b32_e32 v192, v193
	v_dual_ashrrev_i32 v65, 31, v65 :: v_dual_bitop2_b32 v63, s15, v63 bitop3:0x14
	v_ashrrev_i32_e32 v66, 31, v66
	v_cmp_gt_i32_e64 s19, 0, v193
	v_cmp_gt_i32_e64 s20, 0, v194
	v_not_b32_e32 v193, v194
	v_not_b32_e32 v194, v195
	v_dual_ashrrev_i32 v67, 31, v67 :: v_dual_ashrrev_i32 v192, 31, v192
	v_xor_b32_e32 v65, s16, v65
	v_xor_b32_e32 v66, s17, v66
	v_bitop3_b32 v61, v61, v63, exec_lo bitop3:0x80
	v_cmp_gt_i32_e64 s21, 0, v195
	v_dual_ashrrev_i32 v63, 31, v193 :: v_dual_ashrrev_i32 v193, 31, v194
	v_xor_b32_e32 v67, s18, v67
	v_xor_b32_e32 v192, s19, v192
	v_bitop3_b32 v61, v61, v66, v65 bitop3:0x80
	v_mad_u32_u24 v65, v64, 36, v23
	v_xor_b32_e32 v63, s20, v63
	v_xor_b32_e32 v66, s21, v193
	s_delay_alu instid0(VALU_DEP_4) | instskip(SKIP_3) | instid1(VALU_DEP_2)
	v_bitop3_b32 v61, v61, v192, v67 bitop3:0x80
	ds_load_b32 v193, v65 offset:1056
	; wave barrier
	v_bitop3_b32 v61, v61, v66, v63 bitop3:0x80
	v_mul_u32_u24_e32 v63, 36, v64
	v_mbcnt_lo_u32_b32 v194, v61, 0
	v_cmp_ne_u32_e64 s15, 0, v61
	s_delay_alu instid0(VALU_DEP_3) | instskip(NEXT) | instid1(VALU_DEP_3)
	v_add_nc_u32_e32 v195, v23, v63
	v_cmp_eq_u32_e32 vcc_lo, 0, v194
	s_and_b32 s16, s15, vcc_lo
	s_delay_alu instid0(SALU_CYCLE_1)
	s_and_saveexec_b32 s15, s16
	s_cbranch_execz .LBB1833_746
; %bb.745:                              ;   in Loop: Header=BB1833_682 Depth=2
	s_wait_dscnt 0x0
	v_bcnt_u32_b32 v61, v61, v193
	ds_store_b32 v195, v61 offset:1056
.LBB1833_746:                           ;   in Loop: Header=BB1833_682 Depth=2
	s_or_b32 exec_lo, exec_lo, s15
	v_cmp_lt_i16_e32 vcc_lo, -1, v62
	; wave barrier
	v_cndmask_b32_e64 v61, -1, 0xffff8000, vcc_lo
	s_delay_alu instid0(VALU_DEP_1) | instskip(NEXT) | instid1(VALU_DEP_1)
	v_xor_b32_e32 v192, v61, v62
	v_cmp_ne_u16_e64 vcc_lo, 0x7fff, v192
	v_cndmask_b32_e32 v61, 0xffff8000, v192, vcc_lo
	s_delay_alu instid0(VALU_DEP_1) | instskip(NEXT) | instid1(VALU_DEP_1)
	v_and_b32_e32 v61, 0xffff, v61
	v_lshrrev_b32_e32 v61, s49, v61
	s_delay_alu instid0(VALU_DEP_1) | instskip(SKIP_1) | instid1(VALU_DEP_2)
	v_bitop3_b32 v62, v61, 1, s52 bitop3:0x80
	v_and_b32_e32 v63, s52, v61
	v_add_co_u32 v61, s15, v62, -1
	s_delay_alu instid0(VALU_DEP_1) | instskip(NEXT) | instid1(VALU_DEP_3)
	v_cndmask_b32_e64 v62, 0, 1, s15
	v_lshlrev_b32_e32 v64, 30, v63
	s_delay_alu instid0(VALU_DEP_2) | instskip(NEXT) | instid1(VALU_DEP_2)
	v_cmp_ne_u32_e32 vcc_lo, 0, v62
	v_not_b32_e32 v62, v64
	v_cmp_gt_i32_e64 s15, 0, v64
	s_delay_alu instid0(VALU_DEP_2) | instskip(SKIP_3) | instid1(VALU_DEP_4)
	v_dual_ashrrev_i32 v62, 31, v62 :: v_dual_lshlrev_b32 v65, 29, v63
	v_dual_lshlrev_b32 v66, 28, v63 :: v_dual_lshlrev_b32 v67, 27, v63
	v_dual_lshlrev_b32 v196, 26, v63 :: v_dual_lshlrev_b32 v197, 25, v63
	v_lshlrev_b32_e32 v198, 24, v63
	v_cmp_gt_i32_e64 s16, 0, v65
	v_not_b32_e32 v64, v65
	v_not_b32_e32 v65, v66
	v_cmp_gt_i32_e64 s17, 0, v66
	v_cmp_gt_i32_e64 s18, 0, v67
	v_not_b32_e32 v66, v67
	v_not_b32_e32 v67, v196
	v_dual_ashrrev_i32 v64, 31, v64 :: v_dual_bitop2_b32 v61, vcc_lo, v61 bitop3:0x14
	v_dual_ashrrev_i32 v65, 31, v65 :: v_dual_bitop2_b32 v62, s15, v62 bitop3:0x14
	v_cmp_gt_i32_e64 s19, 0, v196
	v_cmp_gt_i32_e64 s20, 0, v197
	v_not_b32_e32 v196, v197
	v_not_b32_e32 v197, v198
	v_dual_ashrrev_i32 v66, 31, v66 :: v_dual_ashrrev_i32 v67, 31, v67
	v_xor_b32_e32 v64, s16, v64
	v_xor_b32_e32 v65, s17, v65
	v_bitop3_b32 v61, v61, v62, exec_lo bitop3:0x80
	v_cmp_gt_i32_e64 s21, 0, v198
	v_dual_ashrrev_i32 v62, 31, v196 :: v_dual_ashrrev_i32 v196, 31, v197
	v_xor_b32_e32 v66, s18, v66
	v_xor_b32_e32 v67, s19, v67
	v_bitop3_b32 v61, v61, v65, v64 bitop3:0x80
	v_mad_u32_u24 v64, v63, 36, v23
	v_xor_b32_e32 v62, s20, v62
	v_xor_b32_e32 v65, s21, v196
	s_delay_alu instid0(VALU_DEP_4) | instskip(SKIP_3) | instid1(VALU_DEP_2)
	v_bitop3_b32 v61, v61, v67, v66 bitop3:0x80
	ds_load_b32 v197, v64 offset:1056
	; wave barrier
	v_bitop3_b32 v61, v61, v65, v62 bitop3:0x80
	v_mul_u32_u24_e32 v62, 36, v63
	v_mbcnt_lo_u32_b32 v198, v61, 0
	v_cmp_ne_u32_e64 s15, 0, v61
	s_delay_alu instid0(VALU_DEP_3) | instskip(NEXT) | instid1(VALU_DEP_3)
	v_add_nc_u32_e32 v199, v23, v62
	v_cmp_eq_u32_e32 vcc_lo, 0, v198
	s_and_b32 s16, s15, vcc_lo
	s_delay_alu instid0(SALU_CYCLE_1)
	s_and_saveexec_b32 s15, s16
	s_cbranch_execz .LBB1833_748
; %bb.747:                              ;   in Loop: Header=BB1833_682 Depth=2
	s_wait_dscnt 0x0
	v_bcnt_u32_b32 v61, v61, v197
	ds_store_b32 v199, v61 offset:1056
.LBB1833_748:                           ;   in Loop: Header=BB1833_682 Depth=2
	s_or_b32 exec_lo, exec_lo, s15
	v_cmp_lt_i16_e32 vcc_lo, -1, v60
	; wave barrier
	v_cndmask_b32_e64 v61, -1, 0xffff8000, vcc_lo
	s_delay_alu instid0(VALU_DEP_1) | instskip(NEXT) | instid1(VALU_DEP_1)
	v_xor_b32_e32 v196, v61, v60
	v_cmp_ne_u16_e64 vcc_lo, 0x7fff, v196
	v_cndmask_b32_e32 v60, 0xffff8000, v196, vcc_lo
	s_delay_alu instid0(VALU_DEP_1) | instskip(NEXT) | instid1(VALU_DEP_1)
	v_and_b32_e32 v60, 0xffff, v60
	v_lshrrev_b32_e32 v60, s49, v60
	s_delay_alu instid0(VALU_DEP_1) | instskip(SKIP_1) | instid1(VALU_DEP_2)
	v_bitop3_b32 v61, v60, 1, s52 bitop3:0x80
	v_and_b32_e32 v62, s52, v60
	v_add_co_u32 v60, s15, v61, -1
	s_delay_alu instid0(VALU_DEP_1) | instskip(NEXT) | instid1(VALU_DEP_3)
	v_cndmask_b32_e64 v61, 0, 1, s15
	v_lshlrev_b32_e32 v63, 30, v62
	s_delay_alu instid0(VALU_DEP_2) | instskip(NEXT) | instid1(VALU_DEP_2)
	v_cmp_ne_u32_e32 vcc_lo, 0, v61
	v_not_b32_e32 v61, v63
	v_cmp_gt_i32_e64 s15, 0, v63
	s_delay_alu instid0(VALU_DEP_2) | instskip(SKIP_3) | instid1(VALU_DEP_4)
	v_dual_ashrrev_i32 v61, 31, v61 :: v_dual_lshlrev_b32 v64, 29, v62
	v_dual_lshlrev_b32 v65, 28, v62 :: v_dual_lshlrev_b32 v66, 27, v62
	v_dual_lshlrev_b32 v67, 26, v62 :: v_dual_lshlrev_b32 v200, 25, v62
	v_lshlrev_b32_e32 v201, 24, v62
	v_cmp_gt_i32_e64 s16, 0, v64
	v_not_b32_e32 v63, v64
	v_not_b32_e32 v64, v65
	v_cmp_gt_i32_e64 s17, 0, v65
	v_cmp_gt_i32_e64 s18, 0, v66
	v_not_b32_e32 v65, v66
	v_not_b32_e32 v66, v67
	v_dual_ashrrev_i32 v63, 31, v63 :: v_dual_bitop2_b32 v60, vcc_lo, v60 bitop3:0x14
	v_dual_ashrrev_i32 v64, 31, v64 :: v_dual_bitop2_b32 v61, s15, v61 bitop3:0x14
	v_cmp_gt_i32_e64 s19, 0, v67
	v_cmp_gt_i32_e64 s20, 0, v200
	v_not_b32_e32 v67, v200
	v_not_b32_e32 v200, v201
	v_dual_ashrrev_i32 v65, 31, v65 :: v_dual_ashrrev_i32 v66, 31, v66
	v_xor_b32_e32 v63, s16, v63
	v_xor_b32_e32 v64, s17, v64
	v_bitop3_b32 v60, v60, v61, exec_lo bitop3:0x80
	v_cmp_gt_i32_e64 s21, 0, v201
	v_dual_ashrrev_i32 v61, 31, v67 :: v_dual_ashrrev_i32 v67, 31, v200
	v_xor_b32_e32 v65, s18, v65
	v_xor_b32_e32 v66, s19, v66
	v_bitop3_b32 v60, v60, v64, v63 bitop3:0x80
	v_mad_u32_u24 v63, v62, 36, v23
	v_xor_b32_e32 v61, s20, v61
	v_xor_b32_e32 v64, s21, v67
	s_delay_alu instid0(VALU_DEP_4) | instskip(SKIP_3) | instid1(VALU_DEP_2)
	v_bitop3_b32 v60, v60, v66, v65 bitop3:0x80
	ds_load_b32 v200, v63 offset:1056
	; wave barrier
	v_bitop3_b32 v60, v60, v64, v61 bitop3:0x80
	v_mul_u32_u24_e32 v61, 36, v62
	v_mbcnt_lo_u32_b32 v201, v60, 0
	v_cmp_ne_u32_e64 s15, 0, v60
	s_delay_alu instid0(VALU_DEP_3) | instskip(NEXT) | instid1(VALU_DEP_3)
	v_add_nc_u32_e32 v202, v23, v61
	v_cmp_eq_u32_e32 vcc_lo, 0, v201
	s_and_b32 s16, s15, vcc_lo
	s_delay_alu instid0(SALU_CYCLE_1)
	s_and_saveexec_b32 s15, s16
	s_cbranch_execz .LBB1833_750
; %bb.749:                              ;   in Loop: Header=BB1833_682 Depth=2
	s_wait_dscnt 0x0
	v_bcnt_u32_b32 v60, v60, v200
	ds_store_b32 v202, v60 offset:1056
.LBB1833_750:                           ;   in Loop: Header=BB1833_682 Depth=2
	s_or_b32 exec_lo, exec_lo, s15
	; wave barrier
	s_wait_dscnt 0x0
	s_barrier_signal -1
	s_barrier_wait -1
	ds_load_2addr_b32 v[66:67], v118 offset1:1
	ds_load_2addr_b32 v[64:65], v119 offset1:1
	;; [unrolled: 1-line block ×4, first 2 shown]
	ds_load_b32 v203, v91 offset:1088
	s_wait_dscnt 0x3
	v_add3_u32 v204, v67, v66, v64
	s_wait_dscnt 0x2
	s_delay_alu instid0(VALU_DEP_1) | instskip(SKIP_1) | instid1(VALU_DEP_1)
	v_add3_u32 v204, v204, v65, v62
	s_wait_dscnt 0x1
	v_add3_u32 v204, v204, v63, v60
	s_wait_dscnt 0x0
	s_delay_alu instid0(VALU_DEP_1) | instskip(NEXT) | instid1(VALU_DEP_1)
	v_add3_u32 v203, v204, v61, v203
	v_mov_b32_dpp v204, v203 row_shr:1 row_mask:0xf bank_mask:0xf
	s_delay_alu instid0(VALU_DEP_1) | instskip(NEXT) | instid1(VALU_DEP_1)
	v_cndmask_b32_e64 v204, v204, 0, s7
	v_add_nc_u32_e32 v203, v204, v203
	s_delay_alu instid0(VALU_DEP_1) | instskip(NEXT) | instid1(VALU_DEP_1)
	v_mov_b32_dpp v204, v203 row_shr:2 row_mask:0xf bank_mask:0xf
	v_cndmask_b32_e64 v204, 0, v204, s8
	s_delay_alu instid0(VALU_DEP_1) | instskip(NEXT) | instid1(VALU_DEP_1)
	v_add_nc_u32_e32 v203, v203, v204
	v_mov_b32_dpp v204, v203 row_shr:4 row_mask:0xf bank_mask:0xf
	s_delay_alu instid0(VALU_DEP_1) | instskip(NEXT) | instid1(VALU_DEP_1)
	v_cndmask_b32_e64 v204, 0, v204, s9
	v_add_nc_u32_e32 v203, v203, v204
	s_delay_alu instid0(VALU_DEP_1) | instskip(NEXT) | instid1(VALU_DEP_1)
	v_mov_b32_dpp v204, v203 row_shr:8 row_mask:0xf bank_mask:0xf
	v_cndmask_b32_e64 v204, 0, v204, s10
	s_delay_alu instid0(VALU_DEP_1) | instskip(SKIP_3) | instid1(VALU_DEP_1)
	v_add_nc_u32_e32 v203, v203, v204
	ds_swizzle_b32 v204, v203 offset:swizzle(BROADCAST,32,15)
	s_wait_dscnt 0x0
	v_cndmask_b32_e64 v204, v204, 0, s11
	v_add_nc_u32_e32 v203, v203, v204
	s_and_saveexec_b32 s15, s1
; %bb.751:                              ;   in Loop: Header=BB1833_682 Depth=2
	ds_store_b32 v84, v203 offset:1024
; %bb.752:                              ;   in Loop: Header=BB1833_682 Depth=2
	s_or_b32 exec_lo, exec_lo, s15
	s_wait_dscnt 0x0
	s_barrier_signal -1
	s_barrier_wait -1
	s_and_saveexec_b32 s15, s4
	s_cbranch_execz .LBB1833_754
; %bb.753:                              ;   in Loop: Header=BB1833_682 Depth=2
	ds_load_b32 v204, v92 offset:1024
	s_wait_dscnt 0x0
	v_mov_b32_dpp v205, v204 row_shr:1 row_mask:0xf bank_mask:0xf
	s_delay_alu instid0(VALU_DEP_1) | instskip(NEXT) | instid1(VALU_DEP_1)
	v_cndmask_b32_e64 v205, v205, 0, s12
	v_add_nc_u32_e32 v204, v205, v204
	s_delay_alu instid0(VALU_DEP_1) | instskip(NEXT) | instid1(VALU_DEP_1)
	v_mov_b32_dpp v205, v204 row_shr:2 row_mask:0xf bank_mask:0xf
	v_cndmask_b32_e64 v205, 0, v205, s13
	s_delay_alu instid0(VALU_DEP_1) | instskip(NEXT) | instid1(VALU_DEP_1)
	v_add_nc_u32_e32 v204, v204, v205
	v_mov_b32_dpp v205, v204 row_shr:4 row_mask:0xf bank_mask:0xf
	s_delay_alu instid0(VALU_DEP_1) | instskip(NEXT) | instid1(VALU_DEP_1)
	v_cndmask_b32_e64 v205, 0, v205, s14
	v_add_nc_u32_e32 v204, v204, v205
	ds_store_b32 v92, v204 offset:1024
.LBB1833_754:                           ;   in Loop: Header=BB1833_682 Depth=2
	s_or_b32 exec_lo, exec_lo, s15
	v_mov_b32_e32 v204, 0
	s_wait_dscnt 0x0
	s_barrier_signal -1
	s_barrier_wait -1
	s_and_saveexec_b32 s15, s5
; %bb.755:                              ;   in Loop: Header=BB1833_682 Depth=2
	ds_load_b32 v204, v84 offset:1020
; %bb.756:                              ;   in Loop: Header=BB1833_682 Depth=2
	s_or_b32 exec_lo, exec_lo, s15
	s_wait_dscnt 0x0
	v_add_nc_u32_e32 v203, v204, v203
	ds_bpermute_b32 v203, v122, v203
	s_wait_dscnt 0x0
	v_cndmask_b32_e64 v203, v203, v204, s6
	s_delay_alu instid0(VALU_DEP_1) | instskip(NEXT) | instid1(VALU_DEP_1)
	v_cndmask_b32_e64 v203, v203, 0, s2
	v_add_nc_u32_e32 v66, v203, v66
	s_delay_alu instid0(VALU_DEP_1) | instskip(NEXT) | instid1(VALU_DEP_1)
	v_add_nc_u32_e32 v67, v66, v67
	v_add_nc_u32_e32 v64, v67, v64
	s_delay_alu instid0(VALU_DEP_1) | instskip(NEXT) | instid1(VALU_DEP_1)
	v_add_nc_u32_e32 v65, v64, v65
	;; [unrolled: 3-line block ×3, first 2 shown]
	v_add_nc_u32_e32 v60, v63, v60
	s_delay_alu instid0(VALU_DEP_1)
	v_add_nc_u32_e32 v61, v60, v61
	ds_store_2addr_b32 v121, v63, v60 offset1:1
	ds_store_2addr_b32 v118, v203, v66 offset1:1
	;; [unrolled: 1-line block ×4, first 2 shown]
	ds_store_b32 v91, v61 offset:1088
	s_wait_dscnt 0x0
	s_barrier_signal -1
	s_barrier_wait -1
	ds_load_b32 v63, v143 offset:1056
	ds_load_b32 v65, v147 offset:1056
	;; [unrolled: 1-line block ×17, first 2 shown]
	v_mov_b32_e32 v62, 0x1000
	s_and_saveexec_b32 s15, s3
; %bb.757:                              ;   in Loop: Header=BB1833_682 Depth=2
	ds_load_b32 v62, v91 offset:1092
; %bb.758:                              ;   in Loop: Header=BB1833_682 Depth=2
	s_or_b32 exec_lo, exec_lo, s15
	s_wait_dscnt 0x0
	s_barrier_signal -1
	s_barrier_wait -1
	s_and_saveexec_b32 s15, s0
	s_cbranch_execz .LBB1833_760
; %bb.759:                              ;   in Loop: Header=BB1833_682 Depth=2
	ds_load_b32 v155, v3
	s_wait_dscnt 0x0
	v_sub_nc_u32_e32 v151, v155, v151
	ds_store_b32 v3, v151
.LBB1833_760:                           ;   in Loop: Header=BB1833_682 Depth=2
	s_or_b32 exec_lo, exec_lo, s15
	v_add3_u32 v159, v146, v145, v65
	v_add_nc_u32_e32 v163, v63, v142
	v_add3_u32 v155, v150, v149, v66
	v_add3_u32 v151, v154, v153, v67
	;; [unrolled: 1-line block ×4, first 2 shown]
	v_lshlrev_b32_e32 v60, 1, v159
	v_lshlrev_b32_e32 v153, 1, v163
	v_add3_u32 v150, v158, v157, v143
	v_add3_u32 v147, v166, v165, v203
	;; [unrolled: 1-line block ×4, first 2 shown]
	v_lshlrev_b32_e32 v61, 1, v155
	v_add3_u32 v145, v174, v173, v175
	v_lshlrev_b32_e32 v154, 1, v149
	ds_store_b16 v153, v140 offset:1024
	v_lshlrev_b32_e32 v140, 1, v151
	v_add3_u32 v143, v178, v177, v179
	v_lshlrev_b32_e32 v153, 1, v150
	v_add3_u32 v142, v182, v181, v183
	v_add3_u32 v63, v186, v185, v187
	ds_store_b16 v60, v141 offset:1024
	ds_store_b16 v61, v144 offset:1024
	;; [unrolled: 1-line block ×5, first 2 shown]
	v_dual_lshlrev_b32 v60, 1, v147 :: v_dual_lshlrev_b32 v140, 1, v145
	v_lshlrev_b32_e32 v61, 1, v146
	v_add3_u32 v65, v198, v197, v64
	v_dual_lshlrev_b32 v141, 1, v143 :: v_dual_lshlrev_b32 v144, 1, v142
	v_add3_u32 v64, v201, v200, v167
	ds_store_b16 v60, v160 offset:1024
	ds_store_b16 v61, v164 offset:1024
	;; [unrolled: 1-line block ×5, first 2 shown]
	v_dual_lshlrev_b32 v60, 1, v63 :: v_dual_lshlrev_b32 v140, 1, v66
	v_cmp_lt_u32_e32 vcc_lo, v2, v139
	v_dual_lshlrev_b32 v61, 1, v67 :: v_dual_lshlrev_b32 v141, 1, v65
	v_lshlrev_b32_e32 v144, 1, v64
	ds_store_b16 v60, v180 offset:1024
	ds_store_b16 v61, v184 offset:1024
	;; [unrolled: 1-line block ×5, first 2 shown]
	s_wait_dscnt 0x0
	s_barrier_signal -1
	s_barrier_wait -1
	s_and_saveexec_b32 s16, vcc_lo
	s_cbranch_execnz .LBB1833_829
; %bb.761:                              ;   in Loop: Header=BB1833_682 Depth=2
	s_or_b32 exec_lo, exec_lo, s16
	v_cmp_lt_u32_e64 s15, v68, v139
	s_and_saveexec_b32 s17, s15
	s_cbranch_execnz .LBB1833_830
.LBB1833_762:                           ;   in Loop: Header=BB1833_682 Depth=2
	s_or_b32 exec_lo, exec_lo, s17
	v_cmp_lt_u32_e64 s16, v69, v139
	s_and_saveexec_b32 s18, s16
	s_cbranch_execnz .LBB1833_831
.LBB1833_763:                           ;   in Loop: Header=BB1833_682 Depth=2
	s_or_b32 exec_lo, exec_lo, s18
	v_cmp_lt_u32_e64 s17, v70, v139
	s_and_saveexec_b32 s19, s17
	s_cbranch_execnz .LBB1833_832
.LBB1833_764:                           ;   in Loop: Header=BB1833_682 Depth=2
	s_or_b32 exec_lo, exec_lo, s19
	v_cmp_lt_u32_e64 s18, v71, v139
	s_and_saveexec_b32 s20, s18
	s_cbranch_execnz .LBB1833_833
.LBB1833_765:                           ;   in Loop: Header=BB1833_682 Depth=2
	s_or_b32 exec_lo, exec_lo, s20
	v_cmp_lt_u32_e64 s19, v72, v139
	s_and_saveexec_b32 s21, s19
	s_cbranch_execnz .LBB1833_834
.LBB1833_766:                           ;   in Loop: Header=BB1833_682 Depth=2
	s_or_b32 exec_lo, exec_lo, s21
	v_cmp_lt_u32_e64 s20, v73, v139
	s_and_saveexec_b32 s22, s20
	s_cbranch_execnz .LBB1833_835
.LBB1833_767:                           ;   in Loop: Header=BB1833_682 Depth=2
	s_or_b32 exec_lo, exec_lo, s22
	v_cmp_lt_u32_e64 s21, v74, v139
	s_and_saveexec_b32 s23, s21
	s_cbranch_execnz .LBB1833_836
.LBB1833_768:                           ;   in Loop: Header=BB1833_682 Depth=2
	s_or_b32 exec_lo, exec_lo, s23
	v_cmp_lt_u32_e64 s22, v75, v139
	s_and_saveexec_b32 s24, s22
	s_cbranch_execnz .LBB1833_837
.LBB1833_769:                           ;   in Loop: Header=BB1833_682 Depth=2
	s_or_b32 exec_lo, exec_lo, s24
	v_cmp_lt_u32_e64 s23, v76, v139
	s_and_saveexec_b32 s25, s23
	s_cbranch_execnz .LBB1833_838
.LBB1833_770:                           ;   in Loop: Header=BB1833_682 Depth=2
	s_or_b32 exec_lo, exec_lo, s25
	v_cmp_lt_u32_e64 s24, v77, v139
	s_and_saveexec_b32 s26, s24
	s_cbranch_execnz .LBB1833_839
.LBB1833_771:                           ;   in Loop: Header=BB1833_682 Depth=2
	s_or_b32 exec_lo, exec_lo, s26
	v_cmp_lt_u32_e64 s25, v78, v139
	s_and_saveexec_b32 s27, s25
	s_cbranch_execnz .LBB1833_840
.LBB1833_772:                           ;   in Loop: Header=BB1833_682 Depth=2
	s_or_b32 exec_lo, exec_lo, s27
	v_cmp_lt_u32_e64 s26, v79, v139
	s_and_saveexec_b32 s28, s26
	s_cbranch_execnz .LBB1833_841
.LBB1833_773:                           ;   in Loop: Header=BB1833_682 Depth=2
	s_or_b32 exec_lo, exec_lo, s28
	v_cmp_lt_u32_e64 s27, v80, v139
	s_and_saveexec_b32 s29, s27
	s_cbranch_execnz .LBB1833_842
.LBB1833_774:                           ;   in Loop: Header=BB1833_682 Depth=2
	s_or_b32 exec_lo, exec_lo, s29
	v_cmp_lt_u32_e64 s28, v81, v139
	s_and_saveexec_b32 s30, s28
	s_cbranch_execnz .LBB1833_843
.LBB1833_775:                           ;   in Loop: Header=BB1833_682 Depth=2
	s_or_b32 exec_lo, exec_lo, s30
	v_cmp_lt_u32_e64 s29, v82, v139
	s_and_saveexec_b32 s58, s29
	s_cbranch_execz .LBB1833_777
.LBB1833_776:                           ;   in Loop: Header=BB1833_682 Depth=2
	ds_load_u16 v60, v93 offset:8704
	s_wait_dscnt 0x0
	v_cmp_ne_u16_e64 s30, 0x7fff, v60
	s_delay_alu instid0(VALU_DEP_1) | instskip(SKIP_1) | instid1(VALU_DEP_2)
	v_cndmask_b32_e64 v61, 0xffff8000, v60, s30
	v_cmp_lt_i16_e64 s30, -1, v60
	v_and_b32_e32 v61, 0xffff, v61
	s_delay_alu instid0(VALU_DEP_2) | instskip(NEXT) | instid1(VALU_DEP_1)
	v_cndmask_b32_e64 v140, 0xffff8000, -1, s30
	v_dual_lshrrev_b32 v61, s49, v61 :: v_dual_bitop2_b32 v60, v140, v60 bitop3:0x14
	s_delay_alu instid0(VALU_DEP_1) | instskip(NEXT) | instid1(VALU_DEP_1)
	v_and_b32_e32 v61, s52, v61
	v_lshlrev_b32_e32 v61, 2, v61
	ds_load_b32 v61, v61
	s_wait_dscnt 0x0
	v_add_nc_u32_e32 v61, v61, v82
	global_store_b16 v61, v60, s[38:39] scale_offset
.LBB1833_777:                           ;   in Loop: Header=BB1833_682 Depth=2
	s_wait_xcnt 0x0
	s_or_b32 exec_lo, exec_lo, s58
	v_lshl_add_u64 v[60:61], s[42:43], 3, v[24:25]
	v_cmp_lt_u32_e64 s30, v100, v139
	s_and_saveexec_b32 s42, s30
	s_delay_alu instid0(SALU_CYCLE_1)
	s_xor_b32 s30, exec_lo, s42
	s_cbranch_execnz .LBB1833_844
; %bb.778:                              ;   in Loop: Header=BB1833_682 Depth=2
	s_or_b32 exec_lo, exec_lo, s30
	s_delay_alu instid0(SALU_CYCLE_1)
	s_mov_b32 s42, exec_lo
	v_cmpx_lt_u32_e64 v103, v139
	s_cbranch_execnz .LBB1833_845
.LBB1833_779:                           ;   in Loop: Header=BB1833_682 Depth=2
	s_or_b32 exec_lo, exec_lo, s42
	s_delay_alu instid0(SALU_CYCLE_1)
	s_mov_b32 s42, exec_lo
	v_cmpx_lt_u32_e64 v104, v139
	s_cbranch_execnz .LBB1833_846
.LBB1833_780:                           ;   in Loop: Header=BB1833_682 Depth=2
	s_or_b32 exec_lo, exec_lo, s42
	s_delay_alu instid0(SALU_CYCLE_1)
	s_mov_b32 s42, exec_lo
	v_cmpx_lt_u32_e64 v105, v139
	s_cbranch_execnz .LBB1833_847
.LBB1833_781:                           ;   in Loop: Header=BB1833_682 Depth=2
	s_or_b32 exec_lo, exec_lo, s42
	s_delay_alu instid0(SALU_CYCLE_1)
	s_mov_b32 s42, exec_lo
	v_cmpx_lt_u32_e64 v106, v139
	s_cbranch_execnz .LBB1833_848
.LBB1833_782:                           ;   in Loop: Header=BB1833_682 Depth=2
	s_or_b32 exec_lo, exec_lo, s42
	s_delay_alu instid0(SALU_CYCLE_1)
	s_mov_b32 s42, exec_lo
	v_cmpx_lt_u32_e64 v107, v139
	s_cbranch_execnz .LBB1833_849
.LBB1833_783:                           ;   in Loop: Header=BB1833_682 Depth=2
	s_or_b32 exec_lo, exec_lo, s42
	s_delay_alu instid0(SALU_CYCLE_1)
	s_mov_b32 s42, exec_lo
	v_cmpx_lt_u32_e64 v108, v139
	s_cbranch_execnz .LBB1833_850
.LBB1833_784:                           ;   in Loop: Header=BB1833_682 Depth=2
	s_or_b32 exec_lo, exec_lo, s42
	s_delay_alu instid0(SALU_CYCLE_1)
	s_mov_b32 s42, exec_lo
	v_cmpx_lt_u32_e64 v109, v139
	s_cbranch_execnz .LBB1833_851
.LBB1833_785:                           ;   in Loop: Header=BB1833_682 Depth=2
	s_or_b32 exec_lo, exec_lo, s42
	s_delay_alu instid0(SALU_CYCLE_1)
	s_mov_b32 s42, exec_lo
	v_cmpx_lt_u32_e64 v110, v139
	s_cbranch_execnz .LBB1833_852
.LBB1833_786:                           ;   in Loop: Header=BB1833_682 Depth=2
	s_or_b32 exec_lo, exec_lo, s42
	s_delay_alu instid0(SALU_CYCLE_1)
	s_mov_b32 s42, exec_lo
	v_cmpx_lt_u32_e64 v111, v139
	s_cbranch_execnz .LBB1833_853
.LBB1833_787:                           ;   in Loop: Header=BB1833_682 Depth=2
	s_or_b32 exec_lo, exec_lo, s42
	s_delay_alu instid0(SALU_CYCLE_1)
	s_mov_b32 s42, exec_lo
	v_cmpx_lt_u32_e64 v112, v139
	s_cbranch_execnz .LBB1833_854
.LBB1833_788:                           ;   in Loop: Header=BB1833_682 Depth=2
	s_or_b32 exec_lo, exec_lo, s42
	s_delay_alu instid0(SALU_CYCLE_1)
	s_mov_b32 s42, exec_lo
	v_cmpx_lt_u32_e64 v113, v139
	s_cbranch_execnz .LBB1833_855
.LBB1833_789:                           ;   in Loop: Header=BB1833_682 Depth=2
	s_or_b32 exec_lo, exec_lo, s42
	s_delay_alu instid0(SALU_CYCLE_1)
	s_mov_b32 s42, exec_lo
	v_cmpx_lt_u32_e64 v114, v139
	s_cbranch_execnz .LBB1833_856
.LBB1833_790:                           ;   in Loop: Header=BB1833_682 Depth=2
	s_or_b32 exec_lo, exec_lo, s42
	s_delay_alu instid0(SALU_CYCLE_1)
	s_mov_b32 s42, exec_lo
	v_cmpx_lt_u32_e64 v115, v139
	s_cbranch_execnz .LBB1833_857
.LBB1833_791:                           ;   in Loop: Header=BB1833_682 Depth=2
	s_or_b32 exec_lo, exec_lo, s42
	s_delay_alu instid0(SALU_CYCLE_1)
	s_mov_b32 s42, exec_lo
	v_cmpx_lt_u32_e64 v116, v139
	s_cbranch_execnz .LBB1833_858
.LBB1833_792:                           ;   in Loop: Header=BB1833_682 Depth=2
	s_or_b32 exec_lo, exec_lo, s42
	s_delay_alu instid0(SALU_CYCLE_1)
	s_mov_b32 s42, exec_lo
	v_cmpx_lt_u32_e64 v117, v139
	s_cbranch_execnz .LBB1833_859
.LBB1833_793:                           ;   in Loop: Header=BB1833_682 Depth=2
	s_or_b32 exec_lo, exec_lo, s42
	s_and_saveexec_b32 s42, vcc_lo
	s_cbranch_execnz .LBB1833_860
.LBB1833_794:                           ;   in Loop: Header=BB1833_682 Depth=2
	s_or_b32 exec_lo, exec_lo, s42
	s_and_saveexec_b32 s42, s15
	s_cbranch_execnz .LBB1833_861
.LBB1833_795:                           ;   in Loop: Header=BB1833_682 Depth=2
	s_or_b32 exec_lo, exec_lo, s42
	s_and_saveexec_b32 s42, s16
	s_cbranch_execnz .LBB1833_862
.LBB1833_796:                           ;   in Loop: Header=BB1833_682 Depth=2
	s_or_b32 exec_lo, exec_lo, s42
	s_and_saveexec_b32 s42, s17
	s_cbranch_execnz .LBB1833_863
.LBB1833_797:                           ;   in Loop: Header=BB1833_682 Depth=2
	s_or_b32 exec_lo, exec_lo, s42
	s_and_saveexec_b32 s42, s18
	s_cbranch_execnz .LBB1833_864
.LBB1833_798:                           ;   in Loop: Header=BB1833_682 Depth=2
	s_or_b32 exec_lo, exec_lo, s42
	s_and_saveexec_b32 s42, s19
	s_cbranch_execnz .LBB1833_865
.LBB1833_799:                           ;   in Loop: Header=BB1833_682 Depth=2
	s_or_b32 exec_lo, exec_lo, s42
	s_and_saveexec_b32 s42, s20
	s_cbranch_execnz .LBB1833_866
.LBB1833_800:                           ;   in Loop: Header=BB1833_682 Depth=2
	s_or_b32 exec_lo, exec_lo, s42
	s_and_saveexec_b32 s42, s21
	s_cbranch_execnz .LBB1833_867
.LBB1833_801:                           ;   in Loop: Header=BB1833_682 Depth=2
	s_or_b32 exec_lo, exec_lo, s42
	s_and_saveexec_b32 s42, s22
	s_cbranch_execnz .LBB1833_868
.LBB1833_802:                           ;   in Loop: Header=BB1833_682 Depth=2
	s_or_b32 exec_lo, exec_lo, s42
	s_and_saveexec_b32 s42, s23
	s_cbranch_execnz .LBB1833_869
.LBB1833_803:                           ;   in Loop: Header=BB1833_682 Depth=2
	s_or_b32 exec_lo, exec_lo, s42
	s_and_saveexec_b32 s42, s24
	s_cbranch_execnz .LBB1833_870
.LBB1833_804:                           ;   in Loop: Header=BB1833_682 Depth=2
	s_or_b32 exec_lo, exec_lo, s42
	s_and_saveexec_b32 s42, s25
	s_cbranch_execnz .LBB1833_871
.LBB1833_805:                           ;   in Loop: Header=BB1833_682 Depth=2
	s_or_b32 exec_lo, exec_lo, s42
	s_and_saveexec_b32 s42, s26
	s_cbranch_execnz .LBB1833_872
.LBB1833_806:                           ;   in Loop: Header=BB1833_682 Depth=2
	s_or_b32 exec_lo, exec_lo, s42
	s_and_saveexec_b32 s42, s27
	s_cbranch_execnz .LBB1833_873
.LBB1833_807:                           ;   in Loop: Header=BB1833_682 Depth=2
	s_or_b32 exec_lo, exec_lo, s42
	s_and_saveexec_b32 s42, s28
	s_cbranch_execnz .LBB1833_874
.LBB1833_808:                           ;   in Loop: Header=BB1833_682 Depth=2
	s_or_b32 exec_lo, exec_lo, s42
	s_and_saveexec_b32 s42, s29
	s_cbranch_execz .LBB1833_810
.LBB1833_809:                           ;   in Loop: Header=BB1833_682 Depth=2
	ds_load_u16 v60, v93 offset:8704
	s_wait_dscnt 0x0
	v_cmp_ne_u16_e64 s30, 0x7fff, v60
	s_delay_alu instid0(VALU_DEP_1) | instskip(NEXT) | instid1(VALU_DEP_1)
	v_cndmask_b32_e64 v60, 0xffff8000, v60, s30
	v_and_b32_e32 v60, 0xffff, v60
	s_delay_alu instid0(VALU_DEP_1) | instskip(NEXT) | instid1(VALU_DEP_1)
	v_lshrrev_b32_e32 v60, s49, v60
	v_and_b32_e32 v123, s52, v60
.LBB1833_810:                           ;   in Loop: Header=BB1833_682 Depth=2
	s_or_b32 exec_lo, exec_lo, s42
	v_dual_lshlrev_b32 v60, 3, v163 :: v_dual_lshlrev_b32 v140, 3, v150
	s_wait_loadcnt 0x0
	s_wait_storecnt 0x0
	s_barrier_signal -1
	s_barrier_wait -1
	ds_store_b64 v60, v[58:59] offset:1024
	v_dual_lshlrev_b32 v60, 3, v159 :: v_dual_lshlrev_b32 v141, 3, v149
	v_lshlrev_b32_e32 v61, 3, v155
	v_lshlrev_b32_e32 v139, 3, v151
	ds_store_b64 v60, v[56:57] offset:1024
	ds_store_b64 v61, v[54:55] offset:1024
	;; [unrolled: 1-line block ×5, first 2 shown]
	v_dual_lshlrev_b32 v60, 3, v147 :: v_dual_lshlrev_b32 v141, 3, v142
	v_dual_lshlrev_b32 v61, 3, v146 :: v_dual_lshlrev_b32 v139, 3, v145
	v_lshlrev_b32_e32 v140, 3, v143
	ds_store_b64 v60, v[46:47] offset:1024
	ds_store_b64 v61, v[44:45] offset:1024
	;; [unrolled: 1-line block ×5, first 2 shown]
	v_dual_lshlrev_b32 v60, 3, v63 :: v_dual_lshlrev_b32 v65, 3, v65
	v_dual_lshlrev_b32 v61, 3, v67 :: v_dual_lshlrev_b32 v64, 3, v64
	v_lshlrev_b32_e32 v63, 3, v66
	ds_store_b64 v60, v[36:37] offset:1024
	ds_store_b64 v61, v[34:35] offset:1024
	;; [unrolled: 1-line block ×5, first 2 shown]
	s_wait_dscnt 0x0
	s_barrier_signal -1
	s_barrier_wait -1
	s_and_saveexec_b32 s30, vcc_lo
	s_cbranch_execnz .LBB1833_875
; %bb.811:                              ;   in Loop: Header=BB1833_682 Depth=2
	s_or_b32 exec_lo, exec_lo, s30
	s_and_saveexec_b32 s30, s15
	s_cbranch_execnz .LBB1833_876
.LBB1833_812:                           ;   in Loop: Header=BB1833_682 Depth=2
	s_or_b32 exec_lo, exec_lo, s30
	s_and_saveexec_b32 s15, s16
	s_cbranch_execnz .LBB1833_877
.LBB1833_813:                           ;   in Loop: Header=BB1833_682 Depth=2
	s_or_b32 exec_lo, exec_lo, s15
	s_and_saveexec_b32 s15, s17
	s_cbranch_execnz .LBB1833_878
.LBB1833_814:                           ;   in Loop: Header=BB1833_682 Depth=2
	s_or_b32 exec_lo, exec_lo, s15
	s_and_saveexec_b32 s15, s18
	s_cbranch_execnz .LBB1833_879
.LBB1833_815:                           ;   in Loop: Header=BB1833_682 Depth=2
	s_or_b32 exec_lo, exec_lo, s15
	s_and_saveexec_b32 s15, s19
	s_cbranch_execnz .LBB1833_880
.LBB1833_816:                           ;   in Loop: Header=BB1833_682 Depth=2
	s_or_b32 exec_lo, exec_lo, s15
	s_and_saveexec_b32 s15, s20
	s_cbranch_execnz .LBB1833_881
.LBB1833_817:                           ;   in Loop: Header=BB1833_682 Depth=2
	s_or_b32 exec_lo, exec_lo, s15
	s_and_saveexec_b32 s15, s21
	s_cbranch_execnz .LBB1833_882
.LBB1833_818:                           ;   in Loop: Header=BB1833_682 Depth=2
	s_or_b32 exec_lo, exec_lo, s15
	s_and_saveexec_b32 s15, s22
	s_cbranch_execnz .LBB1833_883
.LBB1833_819:                           ;   in Loop: Header=BB1833_682 Depth=2
	s_or_b32 exec_lo, exec_lo, s15
	s_and_saveexec_b32 s15, s23
	s_cbranch_execnz .LBB1833_884
.LBB1833_820:                           ;   in Loop: Header=BB1833_682 Depth=2
	s_or_b32 exec_lo, exec_lo, s15
	s_and_saveexec_b32 s15, s24
	s_cbranch_execnz .LBB1833_885
.LBB1833_821:                           ;   in Loop: Header=BB1833_682 Depth=2
	s_or_b32 exec_lo, exec_lo, s15
	s_and_saveexec_b32 s15, s25
	s_cbranch_execnz .LBB1833_886
.LBB1833_822:                           ;   in Loop: Header=BB1833_682 Depth=2
	s_or_b32 exec_lo, exec_lo, s15
	s_and_saveexec_b32 s15, s26
	s_cbranch_execnz .LBB1833_887
.LBB1833_823:                           ;   in Loop: Header=BB1833_682 Depth=2
	s_or_b32 exec_lo, exec_lo, s15
	s_and_saveexec_b32 s15, s27
	s_cbranch_execnz .LBB1833_888
.LBB1833_824:                           ;   in Loop: Header=BB1833_682 Depth=2
	s_or_b32 exec_lo, exec_lo, s15
	s_and_saveexec_b32 s15, s28
	s_cbranch_execnz .LBB1833_889
.LBB1833_825:                           ;   in Loop: Header=BB1833_682 Depth=2
	s_or_b32 exec_lo, exec_lo, s15
	s_and_saveexec_b32 s15, s29
	s_cbranch_execz .LBB1833_827
.LBB1833_826:                           ;   in Loop: Header=BB1833_682 Depth=2
	v_dual_lshlrev_b32 v60, 2, v123 :: v_dual_add_nc_u32 v61, v93, v94
	ds_load_b32 v63, v60
	ds_load_b64 v[60:61], v61 offset:31744
	s_wait_dscnt 0x1
	v_add_nc_u32_e32 v63, v63, v82
	s_wait_dscnt 0x0
	global_store_b64 v63, v[60:61], s[44:45] scale_offset
.LBB1833_827:                           ;   in Loop: Header=BB1833_682 Depth=2
	s_wait_xcnt 0x0
	s_or_b32 exec_lo, exec_lo, s15
	s_wait_storecnt 0x0
	s_barrier_signal -1
	s_barrier_wait -1
	s_and_saveexec_b32 s15, s0
	s_cbranch_execz .LBB1833_681
; %bb.828:                              ;   in Loop: Header=BB1833_682 Depth=2
	ds_load_b32 v60, v3
	s_wait_dscnt 0x0
	v_add_nc_u32_e32 v60, v60, v62
	ds_store_b32 v3, v60
	s_branch .LBB1833_681
.LBB1833_829:                           ;   in Loop: Header=BB1833_682 Depth=2
	ds_load_u16 v60, v93 offset:1024
	s_wait_dscnt 0x0
	v_cmp_ne_u16_e64 s15, 0x7fff, v60
	s_delay_alu instid0(VALU_DEP_1) | instskip(SKIP_1) | instid1(VALU_DEP_2)
	v_cndmask_b32_e64 v61, 0xffff8000, v60, s15
	v_cmp_lt_i16_e64 s15, -1, v60
	v_and_b32_e32 v61, 0xffff, v61
	s_delay_alu instid0(VALU_DEP_2) | instskip(NEXT) | instid1(VALU_DEP_1)
	v_cndmask_b32_e64 v140, 0xffff8000, -1, s15
	v_dual_lshrrev_b32 v61, s49, v61 :: v_dual_bitop2_b32 v60, v140, v60 bitop3:0x14
	s_delay_alu instid0(VALU_DEP_1) | instskip(NEXT) | instid1(VALU_DEP_1)
	v_and_b32_e32 v61, s52, v61
	v_lshlrev_b32_e32 v61, 2, v61
	ds_load_b32 v61, v61
	s_wait_dscnt 0x0
	v_add_nc_u32_e32 v61, v61, v2
	global_store_b16 v61, v60, s[38:39] scale_offset
	s_wait_xcnt 0x0
	s_or_b32 exec_lo, exec_lo, s16
	v_cmp_lt_u32_e64 s15, v68, v139
	s_and_saveexec_b32 s17, s15
	s_cbranch_execz .LBB1833_762
.LBB1833_830:                           ;   in Loop: Header=BB1833_682 Depth=2
	ds_load_u16 v60, v93 offset:1536
	s_wait_dscnt 0x0
	v_cmp_ne_u16_e64 s16, 0x7fff, v60
	s_delay_alu instid0(VALU_DEP_1) | instskip(SKIP_1) | instid1(VALU_DEP_2)
	v_cndmask_b32_e64 v61, 0xffff8000, v60, s16
	v_cmp_lt_i16_e64 s16, -1, v60
	v_and_b32_e32 v61, 0xffff, v61
	s_delay_alu instid0(VALU_DEP_2) | instskip(NEXT) | instid1(VALU_DEP_1)
	v_cndmask_b32_e64 v140, 0xffff8000, -1, s16
	v_dual_lshrrev_b32 v61, s49, v61 :: v_dual_bitop2_b32 v60, v140, v60 bitop3:0x14
	s_delay_alu instid0(VALU_DEP_1) | instskip(NEXT) | instid1(VALU_DEP_1)
	v_and_b32_e32 v61, s52, v61
	v_lshlrev_b32_e32 v61, 2, v61
	ds_load_b32 v61, v61
	s_wait_dscnt 0x0
	v_add_nc_u32_e32 v61, v61, v68
	global_store_b16 v61, v60, s[38:39] scale_offset
	s_wait_xcnt 0x0
	s_or_b32 exec_lo, exec_lo, s17
	v_cmp_lt_u32_e64 s16, v69, v139
	s_and_saveexec_b32 s18, s16
	s_cbranch_execz .LBB1833_763
.LBB1833_831:                           ;   in Loop: Header=BB1833_682 Depth=2
	ds_load_u16 v60, v93 offset:2048
	s_wait_dscnt 0x0
	v_cmp_ne_u16_e64 s17, 0x7fff, v60
	s_delay_alu instid0(VALU_DEP_1) | instskip(SKIP_1) | instid1(VALU_DEP_2)
	v_cndmask_b32_e64 v61, 0xffff8000, v60, s17
	v_cmp_lt_i16_e64 s17, -1, v60
	v_and_b32_e32 v61, 0xffff, v61
	s_delay_alu instid0(VALU_DEP_2) | instskip(NEXT) | instid1(VALU_DEP_1)
	v_cndmask_b32_e64 v140, 0xffff8000, -1, s17
	v_dual_lshrrev_b32 v61, s49, v61 :: v_dual_bitop2_b32 v60, v140, v60 bitop3:0x14
	s_delay_alu instid0(VALU_DEP_1) | instskip(NEXT) | instid1(VALU_DEP_1)
	v_and_b32_e32 v61, s52, v61
	v_lshlrev_b32_e32 v61, 2, v61
	ds_load_b32 v61, v61
	s_wait_dscnt 0x0
	v_add_nc_u32_e32 v61, v61, v69
	global_store_b16 v61, v60, s[38:39] scale_offset
	s_wait_xcnt 0x0
	s_or_b32 exec_lo, exec_lo, s18
	v_cmp_lt_u32_e64 s17, v70, v139
	s_and_saveexec_b32 s19, s17
	s_cbranch_execz .LBB1833_764
.LBB1833_832:                           ;   in Loop: Header=BB1833_682 Depth=2
	ds_load_u16 v60, v93 offset:2560
	s_wait_dscnt 0x0
	v_cmp_ne_u16_e64 s18, 0x7fff, v60
	s_delay_alu instid0(VALU_DEP_1) | instskip(SKIP_1) | instid1(VALU_DEP_2)
	v_cndmask_b32_e64 v61, 0xffff8000, v60, s18
	v_cmp_lt_i16_e64 s18, -1, v60
	v_and_b32_e32 v61, 0xffff, v61
	s_delay_alu instid0(VALU_DEP_2) | instskip(NEXT) | instid1(VALU_DEP_1)
	v_cndmask_b32_e64 v140, 0xffff8000, -1, s18
	v_dual_lshrrev_b32 v61, s49, v61 :: v_dual_bitop2_b32 v60, v140, v60 bitop3:0x14
	s_delay_alu instid0(VALU_DEP_1) | instskip(NEXT) | instid1(VALU_DEP_1)
	v_and_b32_e32 v61, s52, v61
	v_lshlrev_b32_e32 v61, 2, v61
	ds_load_b32 v61, v61
	s_wait_dscnt 0x0
	v_add_nc_u32_e32 v61, v61, v70
	global_store_b16 v61, v60, s[38:39] scale_offset
	s_wait_xcnt 0x0
	s_or_b32 exec_lo, exec_lo, s19
	v_cmp_lt_u32_e64 s18, v71, v139
	s_and_saveexec_b32 s20, s18
	s_cbranch_execz .LBB1833_765
.LBB1833_833:                           ;   in Loop: Header=BB1833_682 Depth=2
	ds_load_u16 v60, v93 offset:3072
	s_wait_dscnt 0x0
	v_cmp_ne_u16_e64 s19, 0x7fff, v60
	s_delay_alu instid0(VALU_DEP_1) | instskip(SKIP_1) | instid1(VALU_DEP_2)
	v_cndmask_b32_e64 v61, 0xffff8000, v60, s19
	v_cmp_lt_i16_e64 s19, -1, v60
	v_and_b32_e32 v61, 0xffff, v61
	s_delay_alu instid0(VALU_DEP_2) | instskip(NEXT) | instid1(VALU_DEP_1)
	v_cndmask_b32_e64 v140, 0xffff8000, -1, s19
	v_dual_lshrrev_b32 v61, s49, v61 :: v_dual_bitop2_b32 v60, v140, v60 bitop3:0x14
	s_delay_alu instid0(VALU_DEP_1) | instskip(NEXT) | instid1(VALU_DEP_1)
	v_and_b32_e32 v61, s52, v61
	v_lshlrev_b32_e32 v61, 2, v61
	ds_load_b32 v61, v61
	s_wait_dscnt 0x0
	v_add_nc_u32_e32 v61, v61, v71
	global_store_b16 v61, v60, s[38:39] scale_offset
	s_wait_xcnt 0x0
	s_or_b32 exec_lo, exec_lo, s20
	v_cmp_lt_u32_e64 s19, v72, v139
	s_and_saveexec_b32 s21, s19
	s_cbranch_execz .LBB1833_766
.LBB1833_834:                           ;   in Loop: Header=BB1833_682 Depth=2
	ds_load_u16 v60, v93 offset:3584
	s_wait_dscnt 0x0
	v_cmp_ne_u16_e64 s20, 0x7fff, v60
	s_delay_alu instid0(VALU_DEP_1) | instskip(SKIP_1) | instid1(VALU_DEP_2)
	v_cndmask_b32_e64 v61, 0xffff8000, v60, s20
	v_cmp_lt_i16_e64 s20, -1, v60
	v_and_b32_e32 v61, 0xffff, v61
	s_delay_alu instid0(VALU_DEP_2) | instskip(NEXT) | instid1(VALU_DEP_1)
	v_cndmask_b32_e64 v140, 0xffff8000, -1, s20
	v_dual_lshrrev_b32 v61, s49, v61 :: v_dual_bitop2_b32 v60, v140, v60 bitop3:0x14
	s_delay_alu instid0(VALU_DEP_1) | instskip(NEXT) | instid1(VALU_DEP_1)
	v_and_b32_e32 v61, s52, v61
	v_lshlrev_b32_e32 v61, 2, v61
	ds_load_b32 v61, v61
	s_wait_dscnt 0x0
	v_add_nc_u32_e32 v61, v61, v72
	global_store_b16 v61, v60, s[38:39] scale_offset
	s_wait_xcnt 0x0
	s_or_b32 exec_lo, exec_lo, s21
	v_cmp_lt_u32_e64 s20, v73, v139
	s_and_saveexec_b32 s22, s20
	s_cbranch_execz .LBB1833_767
.LBB1833_835:                           ;   in Loop: Header=BB1833_682 Depth=2
	ds_load_u16 v60, v93 offset:4096
	s_wait_dscnt 0x0
	v_cmp_ne_u16_e64 s21, 0x7fff, v60
	s_delay_alu instid0(VALU_DEP_1) | instskip(SKIP_1) | instid1(VALU_DEP_2)
	v_cndmask_b32_e64 v61, 0xffff8000, v60, s21
	v_cmp_lt_i16_e64 s21, -1, v60
	v_and_b32_e32 v61, 0xffff, v61
	s_delay_alu instid0(VALU_DEP_2) | instskip(NEXT) | instid1(VALU_DEP_1)
	v_cndmask_b32_e64 v140, 0xffff8000, -1, s21
	v_dual_lshrrev_b32 v61, s49, v61 :: v_dual_bitop2_b32 v60, v140, v60 bitop3:0x14
	s_delay_alu instid0(VALU_DEP_1) | instskip(NEXT) | instid1(VALU_DEP_1)
	v_and_b32_e32 v61, s52, v61
	v_lshlrev_b32_e32 v61, 2, v61
	ds_load_b32 v61, v61
	s_wait_dscnt 0x0
	v_add_nc_u32_e32 v61, v61, v73
	global_store_b16 v61, v60, s[38:39] scale_offset
	s_wait_xcnt 0x0
	s_or_b32 exec_lo, exec_lo, s22
	v_cmp_lt_u32_e64 s21, v74, v139
	s_and_saveexec_b32 s23, s21
	s_cbranch_execz .LBB1833_768
.LBB1833_836:                           ;   in Loop: Header=BB1833_682 Depth=2
	ds_load_u16 v60, v93 offset:4608
	s_wait_dscnt 0x0
	v_cmp_ne_u16_e64 s22, 0x7fff, v60
	s_delay_alu instid0(VALU_DEP_1) | instskip(SKIP_1) | instid1(VALU_DEP_2)
	v_cndmask_b32_e64 v61, 0xffff8000, v60, s22
	v_cmp_lt_i16_e64 s22, -1, v60
	v_and_b32_e32 v61, 0xffff, v61
	s_delay_alu instid0(VALU_DEP_2) | instskip(NEXT) | instid1(VALU_DEP_1)
	v_cndmask_b32_e64 v140, 0xffff8000, -1, s22
	v_dual_lshrrev_b32 v61, s49, v61 :: v_dual_bitop2_b32 v60, v140, v60 bitop3:0x14
	s_delay_alu instid0(VALU_DEP_1) | instskip(NEXT) | instid1(VALU_DEP_1)
	v_and_b32_e32 v61, s52, v61
	v_lshlrev_b32_e32 v61, 2, v61
	ds_load_b32 v61, v61
	s_wait_dscnt 0x0
	v_add_nc_u32_e32 v61, v61, v74
	global_store_b16 v61, v60, s[38:39] scale_offset
	s_wait_xcnt 0x0
	s_or_b32 exec_lo, exec_lo, s23
	v_cmp_lt_u32_e64 s22, v75, v139
	s_and_saveexec_b32 s24, s22
	s_cbranch_execz .LBB1833_769
.LBB1833_837:                           ;   in Loop: Header=BB1833_682 Depth=2
	ds_load_u16 v60, v93 offset:5120
	s_wait_dscnt 0x0
	v_cmp_ne_u16_e64 s23, 0x7fff, v60
	s_delay_alu instid0(VALU_DEP_1) | instskip(SKIP_1) | instid1(VALU_DEP_2)
	v_cndmask_b32_e64 v61, 0xffff8000, v60, s23
	v_cmp_lt_i16_e64 s23, -1, v60
	v_and_b32_e32 v61, 0xffff, v61
	s_delay_alu instid0(VALU_DEP_2) | instskip(NEXT) | instid1(VALU_DEP_1)
	v_cndmask_b32_e64 v140, 0xffff8000, -1, s23
	v_dual_lshrrev_b32 v61, s49, v61 :: v_dual_bitop2_b32 v60, v140, v60 bitop3:0x14
	s_delay_alu instid0(VALU_DEP_1) | instskip(NEXT) | instid1(VALU_DEP_1)
	v_and_b32_e32 v61, s52, v61
	v_lshlrev_b32_e32 v61, 2, v61
	ds_load_b32 v61, v61
	s_wait_dscnt 0x0
	v_add_nc_u32_e32 v61, v61, v75
	global_store_b16 v61, v60, s[38:39] scale_offset
	s_wait_xcnt 0x0
	s_or_b32 exec_lo, exec_lo, s24
	v_cmp_lt_u32_e64 s23, v76, v139
	s_and_saveexec_b32 s25, s23
	s_cbranch_execz .LBB1833_770
.LBB1833_838:                           ;   in Loop: Header=BB1833_682 Depth=2
	ds_load_u16 v60, v93 offset:5632
	s_wait_dscnt 0x0
	v_cmp_ne_u16_e64 s24, 0x7fff, v60
	s_delay_alu instid0(VALU_DEP_1) | instskip(SKIP_1) | instid1(VALU_DEP_2)
	v_cndmask_b32_e64 v61, 0xffff8000, v60, s24
	v_cmp_lt_i16_e64 s24, -1, v60
	v_and_b32_e32 v61, 0xffff, v61
	s_delay_alu instid0(VALU_DEP_2) | instskip(NEXT) | instid1(VALU_DEP_1)
	v_cndmask_b32_e64 v140, 0xffff8000, -1, s24
	v_dual_lshrrev_b32 v61, s49, v61 :: v_dual_bitop2_b32 v60, v140, v60 bitop3:0x14
	s_delay_alu instid0(VALU_DEP_1) | instskip(NEXT) | instid1(VALU_DEP_1)
	v_and_b32_e32 v61, s52, v61
	v_lshlrev_b32_e32 v61, 2, v61
	ds_load_b32 v61, v61
	s_wait_dscnt 0x0
	v_add_nc_u32_e32 v61, v61, v76
	global_store_b16 v61, v60, s[38:39] scale_offset
	s_wait_xcnt 0x0
	s_or_b32 exec_lo, exec_lo, s25
	v_cmp_lt_u32_e64 s24, v77, v139
	s_and_saveexec_b32 s26, s24
	s_cbranch_execz .LBB1833_771
.LBB1833_839:                           ;   in Loop: Header=BB1833_682 Depth=2
	ds_load_u16 v60, v93 offset:6144
	s_wait_dscnt 0x0
	v_cmp_ne_u16_e64 s25, 0x7fff, v60
	s_delay_alu instid0(VALU_DEP_1) | instskip(SKIP_1) | instid1(VALU_DEP_2)
	v_cndmask_b32_e64 v61, 0xffff8000, v60, s25
	v_cmp_lt_i16_e64 s25, -1, v60
	v_and_b32_e32 v61, 0xffff, v61
	s_delay_alu instid0(VALU_DEP_2) | instskip(NEXT) | instid1(VALU_DEP_1)
	v_cndmask_b32_e64 v140, 0xffff8000, -1, s25
	v_dual_lshrrev_b32 v61, s49, v61 :: v_dual_bitop2_b32 v60, v140, v60 bitop3:0x14
	s_delay_alu instid0(VALU_DEP_1) | instskip(NEXT) | instid1(VALU_DEP_1)
	v_and_b32_e32 v61, s52, v61
	v_lshlrev_b32_e32 v61, 2, v61
	ds_load_b32 v61, v61
	s_wait_dscnt 0x0
	v_add_nc_u32_e32 v61, v61, v77
	global_store_b16 v61, v60, s[38:39] scale_offset
	s_wait_xcnt 0x0
	s_or_b32 exec_lo, exec_lo, s26
	v_cmp_lt_u32_e64 s25, v78, v139
	s_and_saveexec_b32 s27, s25
	s_cbranch_execz .LBB1833_772
.LBB1833_840:                           ;   in Loop: Header=BB1833_682 Depth=2
	ds_load_u16 v60, v93 offset:6656
	s_wait_dscnt 0x0
	v_cmp_ne_u16_e64 s26, 0x7fff, v60
	s_delay_alu instid0(VALU_DEP_1) | instskip(SKIP_1) | instid1(VALU_DEP_2)
	v_cndmask_b32_e64 v61, 0xffff8000, v60, s26
	v_cmp_lt_i16_e64 s26, -1, v60
	v_and_b32_e32 v61, 0xffff, v61
	s_delay_alu instid0(VALU_DEP_2) | instskip(NEXT) | instid1(VALU_DEP_1)
	v_cndmask_b32_e64 v140, 0xffff8000, -1, s26
	v_dual_lshrrev_b32 v61, s49, v61 :: v_dual_bitop2_b32 v60, v140, v60 bitop3:0x14
	s_delay_alu instid0(VALU_DEP_1) | instskip(NEXT) | instid1(VALU_DEP_1)
	v_and_b32_e32 v61, s52, v61
	v_lshlrev_b32_e32 v61, 2, v61
	ds_load_b32 v61, v61
	s_wait_dscnt 0x0
	v_add_nc_u32_e32 v61, v61, v78
	global_store_b16 v61, v60, s[38:39] scale_offset
	s_wait_xcnt 0x0
	s_or_b32 exec_lo, exec_lo, s27
	v_cmp_lt_u32_e64 s26, v79, v139
	s_and_saveexec_b32 s28, s26
	s_cbranch_execz .LBB1833_773
.LBB1833_841:                           ;   in Loop: Header=BB1833_682 Depth=2
	ds_load_u16 v60, v93 offset:7168
	s_wait_dscnt 0x0
	v_cmp_ne_u16_e64 s27, 0x7fff, v60
	s_delay_alu instid0(VALU_DEP_1) | instskip(SKIP_1) | instid1(VALU_DEP_2)
	v_cndmask_b32_e64 v61, 0xffff8000, v60, s27
	v_cmp_lt_i16_e64 s27, -1, v60
	v_and_b32_e32 v61, 0xffff, v61
	s_delay_alu instid0(VALU_DEP_2) | instskip(NEXT) | instid1(VALU_DEP_1)
	v_cndmask_b32_e64 v140, 0xffff8000, -1, s27
	v_dual_lshrrev_b32 v61, s49, v61 :: v_dual_bitop2_b32 v60, v140, v60 bitop3:0x14
	s_delay_alu instid0(VALU_DEP_1) | instskip(NEXT) | instid1(VALU_DEP_1)
	v_and_b32_e32 v61, s52, v61
	v_lshlrev_b32_e32 v61, 2, v61
	ds_load_b32 v61, v61
	s_wait_dscnt 0x0
	v_add_nc_u32_e32 v61, v61, v79
	global_store_b16 v61, v60, s[38:39] scale_offset
	s_wait_xcnt 0x0
	s_or_b32 exec_lo, exec_lo, s28
	v_cmp_lt_u32_e64 s27, v80, v139
	s_and_saveexec_b32 s29, s27
	s_cbranch_execz .LBB1833_774
.LBB1833_842:                           ;   in Loop: Header=BB1833_682 Depth=2
	ds_load_u16 v60, v93 offset:7680
	s_wait_dscnt 0x0
	v_cmp_ne_u16_e64 s28, 0x7fff, v60
	s_delay_alu instid0(VALU_DEP_1) | instskip(SKIP_1) | instid1(VALU_DEP_2)
	v_cndmask_b32_e64 v61, 0xffff8000, v60, s28
	v_cmp_lt_i16_e64 s28, -1, v60
	v_and_b32_e32 v61, 0xffff, v61
	s_delay_alu instid0(VALU_DEP_2) | instskip(NEXT) | instid1(VALU_DEP_1)
	v_cndmask_b32_e64 v140, 0xffff8000, -1, s28
	v_dual_lshrrev_b32 v61, s49, v61 :: v_dual_bitop2_b32 v60, v140, v60 bitop3:0x14
	s_delay_alu instid0(VALU_DEP_1) | instskip(NEXT) | instid1(VALU_DEP_1)
	v_and_b32_e32 v61, s52, v61
	v_lshlrev_b32_e32 v61, 2, v61
	ds_load_b32 v61, v61
	s_wait_dscnt 0x0
	v_add_nc_u32_e32 v61, v61, v80
	global_store_b16 v61, v60, s[38:39] scale_offset
	s_wait_xcnt 0x0
	s_or_b32 exec_lo, exec_lo, s29
	v_cmp_lt_u32_e64 s28, v81, v139
	s_and_saveexec_b32 s30, s28
	s_cbranch_execz .LBB1833_775
.LBB1833_843:                           ;   in Loop: Header=BB1833_682 Depth=2
	ds_load_u16 v60, v93 offset:8192
	s_wait_dscnt 0x0
	v_cmp_ne_u16_e64 s29, 0x7fff, v60
	s_delay_alu instid0(VALU_DEP_1) | instskip(SKIP_1) | instid1(VALU_DEP_2)
	v_cndmask_b32_e64 v61, 0xffff8000, v60, s29
	v_cmp_lt_i16_e64 s29, -1, v60
	v_and_b32_e32 v61, 0xffff, v61
	s_delay_alu instid0(VALU_DEP_2) | instskip(NEXT) | instid1(VALU_DEP_1)
	v_cndmask_b32_e64 v140, 0xffff8000, -1, s29
	v_dual_lshrrev_b32 v61, s49, v61 :: v_dual_bitop2_b32 v60, v140, v60 bitop3:0x14
	s_delay_alu instid0(VALU_DEP_1) | instskip(NEXT) | instid1(VALU_DEP_1)
	v_and_b32_e32 v61, s52, v61
	v_lshlrev_b32_e32 v61, 2, v61
	ds_load_b32 v61, v61
	s_wait_dscnt 0x0
	v_add_nc_u32_e32 v61, v61, v81
	global_store_b16 v61, v60, s[38:39] scale_offset
	s_wait_xcnt 0x0
	s_or_b32 exec_lo, exec_lo, s30
	v_cmp_lt_u32_e64 s29, v82, v139
	s_and_saveexec_b32 s58, s29
	s_cbranch_execnz .LBB1833_776
	s_branch .LBB1833_777
.LBB1833_844:                           ;   in Loop: Header=BB1833_682 Depth=2
	global_load_b64 v[58:59], v[60:61], off
	s_wait_xcnt 0x0
	s_or_b32 exec_lo, exec_lo, s30
	s_delay_alu instid0(SALU_CYCLE_1)
	s_mov_b32 s42, exec_lo
	v_cmpx_lt_u32_e64 v103, v139
	s_cbranch_execz .LBB1833_779
.LBB1833_845:                           ;   in Loop: Header=BB1833_682 Depth=2
	global_load_b64 v[56:57], v[60:61], off offset:256
	s_wait_xcnt 0x0
	s_or_b32 exec_lo, exec_lo, s42
	s_delay_alu instid0(SALU_CYCLE_1)
	s_mov_b32 s42, exec_lo
	v_cmpx_lt_u32_e64 v104, v139
	s_cbranch_execz .LBB1833_780
.LBB1833_846:                           ;   in Loop: Header=BB1833_682 Depth=2
	global_load_b64 v[54:55], v[60:61], off offset:512
	s_wait_xcnt 0x0
	s_or_b32 exec_lo, exec_lo, s42
	s_delay_alu instid0(SALU_CYCLE_1)
	s_mov_b32 s42, exec_lo
	v_cmpx_lt_u32_e64 v105, v139
	s_cbranch_execz .LBB1833_781
.LBB1833_847:                           ;   in Loop: Header=BB1833_682 Depth=2
	global_load_b64 v[52:53], v[60:61], off offset:768
	s_wait_xcnt 0x0
	s_or_b32 exec_lo, exec_lo, s42
	s_delay_alu instid0(SALU_CYCLE_1)
	s_mov_b32 s42, exec_lo
	v_cmpx_lt_u32_e64 v106, v139
	s_cbranch_execz .LBB1833_782
.LBB1833_848:                           ;   in Loop: Header=BB1833_682 Depth=2
	global_load_b64 v[50:51], v[60:61], off offset:1024
	s_wait_xcnt 0x0
	s_or_b32 exec_lo, exec_lo, s42
	s_delay_alu instid0(SALU_CYCLE_1)
	s_mov_b32 s42, exec_lo
	v_cmpx_lt_u32_e64 v107, v139
	s_cbranch_execz .LBB1833_783
.LBB1833_849:                           ;   in Loop: Header=BB1833_682 Depth=2
	global_load_b64 v[48:49], v[60:61], off offset:1280
	s_wait_xcnt 0x0
	s_or_b32 exec_lo, exec_lo, s42
	s_delay_alu instid0(SALU_CYCLE_1)
	s_mov_b32 s42, exec_lo
	v_cmpx_lt_u32_e64 v108, v139
	s_cbranch_execz .LBB1833_784
.LBB1833_850:                           ;   in Loop: Header=BB1833_682 Depth=2
	global_load_b64 v[46:47], v[60:61], off offset:1536
	s_wait_xcnt 0x0
	s_or_b32 exec_lo, exec_lo, s42
	s_delay_alu instid0(SALU_CYCLE_1)
	s_mov_b32 s42, exec_lo
	v_cmpx_lt_u32_e64 v109, v139
	s_cbranch_execz .LBB1833_785
.LBB1833_851:                           ;   in Loop: Header=BB1833_682 Depth=2
	global_load_b64 v[44:45], v[60:61], off offset:1792
	s_wait_xcnt 0x0
	s_or_b32 exec_lo, exec_lo, s42
	s_delay_alu instid0(SALU_CYCLE_1)
	s_mov_b32 s42, exec_lo
	v_cmpx_lt_u32_e64 v110, v139
	s_cbranch_execz .LBB1833_786
.LBB1833_852:                           ;   in Loop: Header=BB1833_682 Depth=2
	global_load_b64 v[42:43], v[60:61], off offset:2048
	s_wait_xcnt 0x0
	s_or_b32 exec_lo, exec_lo, s42
	s_delay_alu instid0(SALU_CYCLE_1)
	s_mov_b32 s42, exec_lo
	v_cmpx_lt_u32_e64 v111, v139
	s_cbranch_execz .LBB1833_787
.LBB1833_853:                           ;   in Loop: Header=BB1833_682 Depth=2
	global_load_b64 v[40:41], v[60:61], off offset:2304
	s_wait_xcnt 0x0
	s_or_b32 exec_lo, exec_lo, s42
	s_delay_alu instid0(SALU_CYCLE_1)
	s_mov_b32 s42, exec_lo
	v_cmpx_lt_u32_e64 v112, v139
	s_cbranch_execz .LBB1833_788
.LBB1833_854:                           ;   in Loop: Header=BB1833_682 Depth=2
	global_load_b64 v[38:39], v[60:61], off offset:2560
	s_wait_xcnt 0x0
	s_or_b32 exec_lo, exec_lo, s42
	s_delay_alu instid0(SALU_CYCLE_1)
	s_mov_b32 s42, exec_lo
	v_cmpx_lt_u32_e64 v113, v139
	s_cbranch_execz .LBB1833_789
.LBB1833_855:                           ;   in Loop: Header=BB1833_682 Depth=2
	global_load_b64 v[36:37], v[60:61], off offset:2816
	s_wait_xcnt 0x0
	s_or_b32 exec_lo, exec_lo, s42
	s_delay_alu instid0(SALU_CYCLE_1)
	s_mov_b32 s42, exec_lo
	v_cmpx_lt_u32_e64 v114, v139
	s_cbranch_execz .LBB1833_790
.LBB1833_856:                           ;   in Loop: Header=BB1833_682 Depth=2
	global_load_b64 v[34:35], v[60:61], off offset:3072
	s_wait_xcnt 0x0
	s_or_b32 exec_lo, exec_lo, s42
	s_delay_alu instid0(SALU_CYCLE_1)
	s_mov_b32 s42, exec_lo
	v_cmpx_lt_u32_e64 v115, v139
	s_cbranch_execz .LBB1833_791
.LBB1833_857:                           ;   in Loop: Header=BB1833_682 Depth=2
	global_load_b64 v[32:33], v[60:61], off offset:3328
	s_wait_xcnt 0x0
	s_or_b32 exec_lo, exec_lo, s42
	s_delay_alu instid0(SALU_CYCLE_1)
	s_mov_b32 s42, exec_lo
	v_cmpx_lt_u32_e64 v116, v139
	s_cbranch_execz .LBB1833_792
.LBB1833_858:                           ;   in Loop: Header=BB1833_682 Depth=2
	global_load_b64 v[30:31], v[60:61], off offset:3584
	s_wait_xcnt 0x0
	s_or_b32 exec_lo, exec_lo, s42
	s_delay_alu instid0(SALU_CYCLE_1)
	s_mov_b32 s42, exec_lo
	v_cmpx_lt_u32_e64 v117, v139
	s_cbranch_execz .LBB1833_793
.LBB1833_859:                           ;   in Loop: Header=BB1833_682 Depth=2
	global_load_b64 v[28:29], v[60:61], off offset:3840
	s_wait_xcnt 0x0
	s_or_b32 exec_lo, exec_lo, s42
	s_and_saveexec_b32 s42, vcc_lo
	s_cbranch_execz .LBB1833_794
.LBB1833_860:                           ;   in Loop: Header=BB1833_682 Depth=2
	ds_load_u16 v60, v93 offset:1024
	s_wait_dscnt 0x0
	v_cmp_ne_u16_e64 s30, 0x7fff, v60
	s_delay_alu instid0(VALU_DEP_1) | instskip(NEXT) | instid1(VALU_DEP_1)
	v_cndmask_b32_e64 v60, 0xffff8000, v60, s30
	v_and_b32_e32 v60, 0xffff, v60
	s_delay_alu instid0(VALU_DEP_1) | instskip(NEXT) | instid1(VALU_DEP_1)
	v_lshrrev_b32_e32 v60, s49, v60
	v_and_b32_e32 v138, s52, v60
	s_or_b32 exec_lo, exec_lo, s42
	s_and_saveexec_b32 s42, s15
	s_cbranch_execz .LBB1833_795
.LBB1833_861:                           ;   in Loop: Header=BB1833_682 Depth=2
	ds_load_u16 v60, v93 offset:1536
	s_wait_dscnt 0x0
	v_cmp_ne_u16_e64 s30, 0x7fff, v60
	s_delay_alu instid0(VALU_DEP_1) | instskip(NEXT) | instid1(VALU_DEP_1)
	v_cndmask_b32_e64 v60, 0xffff8000, v60, s30
	v_and_b32_e32 v60, 0xffff, v60
	s_delay_alu instid0(VALU_DEP_1) | instskip(NEXT) | instid1(VALU_DEP_1)
	v_lshrrev_b32_e32 v60, s49, v60
	v_and_b32_e32 v137, s52, v60
	s_or_b32 exec_lo, exec_lo, s42
	s_and_saveexec_b32 s42, s16
	s_cbranch_execz .LBB1833_796
.LBB1833_862:                           ;   in Loop: Header=BB1833_682 Depth=2
	ds_load_u16 v60, v93 offset:2048
	s_wait_dscnt 0x0
	v_cmp_ne_u16_e64 s30, 0x7fff, v60
	s_delay_alu instid0(VALU_DEP_1) | instskip(NEXT) | instid1(VALU_DEP_1)
	v_cndmask_b32_e64 v60, 0xffff8000, v60, s30
	v_and_b32_e32 v60, 0xffff, v60
	s_delay_alu instid0(VALU_DEP_1) | instskip(NEXT) | instid1(VALU_DEP_1)
	v_lshrrev_b32_e32 v60, s49, v60
	v_and_b32_e32 v136, s52, v60
	s_or_b32 exec_lo, exec_lo, s42
	s_and_saveexec_b32 s42, s17
	s_cbranch_execz .LBB1833_797
.LBB1833_863:                           ;   in Loop: Header=BB1833_682 Depth=2
	ds_load_u16 v60, v93 offset:2560
	s_wait_dscnt 0x0
	v_cmp_ne_u16_e64 s30, 0x7fff, v60
	s_delay_alu instid0(VALU_DEP_1) | instskip(NEXT) | instid1(VALU_DEP_1)
	v_cndmask_b32_e64 v60, 0xffff8000, v60, s30
	v_and_b32_e32 v60, 0xffff, v60
	s_delay_alu instid0(VALU_DEP_1) | instskip(NEXT) | instid1(VALU_DEP_1)
	v_lshrrev_b32_e32 v60, s49, v60
	v_and_b32_e32 v135, s52, v60
	s_or_b32 exec_lo, exec_lo, s42
	s_and_saveexec_b32 s42, s18
	s_cbranch_execz .LBB1833_798
.LBB1833_864:                           ;   in Loop: Header=BB1833_682 Depth=2
	ds_load_u16 v60, v93 offset:3072
	s_wait_dscnt 0x0
	v_cmp_ne_u16_e64 s30, 0x7fff, v60
	s_delay_alu instid0(VALU_DEP_1) | instskip(NEXT) | instid1(VALU_DEP_1)
	v_cndmask_b32_e64 v60, 0xffff8000, v60, s30
	v_and_b32_e32 v60, 0xffff, v60
	s_delay_alu instid0(VALU_DEP_1) | instskip(NEXT) | instid1(VALU_DEP_1)
	v_lshrrev_b32_e32 v60, s49, v60
	v_and_b32_e32 v134, s52, v60
	s_or_b32 exec_lo, exec_lo, s42
	s_and_saveexec_b32 s42, s19
	s_cbranch_execz .LBB1833_799
.LBB1833_865:                           ;   in Loop: Header=BB1833_682 Depth=2
	ds_load_u16 v60, v93 offset:3584
	s_wait_dscnt 0x0
	v_cmp_ne_u16_e64 s30, 0x7fff, v60
	s_delay_alu instid0(VALU_DEP_1) | instskip(NEXT) | instid1(VALU_DEP_1)
	v_cndmask_b32_e64 v60, 0xffff8000, v60, s30
	v_and_b32_e32 v60, 0xffff, v60
	s_delay_alu instid0(VALU_DEP_1) | instskip(NEXT) | instid1(VALU_DEP_1)
	v_lshrrev_b32_e32 v60, s49, v60
	v_and_b32_e32 v133, s52, v60
	s_or_b32 exec_lo, exec_lo, s42
	s_and_saveexec_b32 s42, s20
	s_cbranch_execz .LBB1833_800
.LBB1833_866:                           ;   in Loop: Header=BB1833_682 Depth=2
	ds_load_u16 v60, v93 offset:4096
	s_wait_dscnt 0x0
	v_cmp_ne_u16_e64 s30, 0x7fff, v60
	s_delay_alu instid0(VALU_DEP_1) | instskip(NEXT) | instid1(VALU_DEP_1)
	v_cndmask_b32_e64 v60, 0xffff8000, v60, s30
	v_and_b32_e32 v60, 0xffff, v60
	s_delay_alu instid0(VALU_DEP_1) | instskip(NEXT) | instid1(VALU_DEP_1)
	v_lshrrev_b32_e32 v60, s49, v60
	v_and_b32_e32 v132, s52, v60
	s_or_b32 exec_lo, exec_lo, s42
	s_and_saveexec_b32 s42, s21
	s_cbranch_execz .LBB1833_801
.LBB1833_867:                           ;   in Loop: Header=BB1833_682 Depth=2
	ds_load_u16 v60, v93 offset:4608
	s_wait_dscnt 0x0
	v_cmp_ne_u16_e64 s30, 0x7fff, v60
	s_delay_alu instid0(VALU_DEP_1) | instskip(NEXT) | instid1(VALU_DEP_1)
	v_cndmask_b32_e64 v60, 0xffff8000, v60, s30
	v_and_b32_e32 v60, 0xffff, v60
	s_delay_alu instid0(VALU_DEP_1) | instskip(NEXT) | instid1(VALU_DEP_1)
	v_lshrrev_b32_e32 v60, s49, v60
	v_and_b32_e32 v131, s52, v60
	s_or_b32 exec_lo, exec_lo, s42
	s_and_saveexec_b32 s42, s22
	s_cbranch_execz .LBB1833_802
.LBB1833_868:                           ;   in Loop: Header=BB1833_682 Depth=2
	ds_load_u16 v60, v93 offset:5120
	s_wait_dscnt 0x0
	v_cmp_ne_u16_e64 s30, 0x7fff, v60
	s_delay_alu instid0(VALU_DEP_1) | instskip(NEXT) | instid1(VALU_DEP_1)
	v_cndmask_b32_e64 v60, 0xffff8000, v60, s30
	v_and_b32_e32 v60, 0xffff, v60
	s_delay_alu instid0(VALU_DEP_1) | instskip(NEXT) | instid1(VALU_DEP_1)
	v_lshrrev_b32_e32 v60, s49, v60
	v_and_b32_e32 v130, s52, v60
	s_or_b32 exec_lo, exec_lo, s42
	s_and_saveexec_b32 s42, s23
	s_cbranch_execz .LBB1833_803
.LBB1833_869:                           ;   in Loop: Header=BB1833_682 Depth=2
	ds_load_u16 v60, v93 offset:5632
	s_wait_dscnt 0x0
	v_cmp_ne_u16_e64 s30, 0x7fff, v60
	s_delay_alu instid0(VALU_DEP_1) | instskip(NEXT) | instid1(VALU_DEP_1)
	v_cndmask_b32_e64 v60, 0xffff8000, v60, s30
	v_and_b32_e32 v60, 0xffff, v60
	s_delay_alu instid0(VALU_DEP_1) | instskip(NEXT) | instid1(VALU_DEP_1)
	v_lshrrev_b32_e32 v60, s49, v60
	v_and_b32_e32 v129, s52, v60
	s_or_b32 exec_lo, exec_lo, s42
	s_and_saveexec_b32 s42, s24
	s_cbranch_execz .LBB1833_804
.LBB1833_870:                           ;   in Loop: Header=BB1833_682 Depth=2
	ds_load_u16 v60, v93 offset:6144
	s_wait_dscnt 0x0
	v_cmp_ne_u16_e64 s30, 0x7fff, v60
	s_delay_alu instid0(VALU_DEP_1) | instskip(NEXT) | instid1(VALU_DEP_1)
	v_cndmask_b32_e64 v60, 0xffff8000, v60, s30
	v_and_b32_e32 v60, 0xffff, v60
	s_delay_alu instid0(VALU_DEP_1) | instskip(NEXT) | instid1(VALU_DEP_1)
	v_lshrrev_b32_e32 v60, s49, v60
	v_and_b32_e32 v128, s52, v60
	s_or_b32 exec_lo, exec_lo, s42
	s_and_saveexec_b32 s42, s25
	s_cbranch_execz .LBB1833_805
.LBB1833_871:                           ;   in Loop: Header=BB1833_682 Depth=2
	ds_load_u16 v60, v93 offset:6656
	s_wait_dscnt 0x0
	v_cmp_ne_u16_e64 s30, 0x7fff, v60
	s_delay_alu instid0(VALU_DEP_1) | instskip(NEXT) | instid1(VALU_DEP_1)
	v_cndmask_b32_e64 v60, 0xffff8000, v60, s30
	v_and_b32_e32 v60, 0xffff, v60
	s_delay_alu instid0(VALU_DEP_1) | instskip(NEXT) | instid1(VALU_DEP_1)
	v_lshrrev_b32_e32 v60, s49, v60
	v_and_b32_e32 v127, s52, v60
	s_or_b32 exec_lo, exec_lo, s42
	s_and_saveexec_b32 s42, s26
	s_cbranch_execz .LBB1833_806
.LBB1833_872:                           ;   in Loop: Header=BB1833_682 Depth=2
	ds_load_u16 v60, v93 offset:7168
	s_wait_dscnt 0x0
	v_cmp_ne_u16_e64 s30, 0x7fff, v60
	s_delay_alu instid0(VALU_DEP_1) | instskip(NEXT) | instid1(VALU_DEP_1)
	v_cndmask_b32_e64 v60, 0xffff8000, v60, s30
	v_and_b32_e32 v60, 0xffff, v60
	s_delay_alu instid0(VALU_DEP_1) | instskip(NEXT) | instid1(VALU_DEP_1)
	v_lshrrev_b32_e32 v60, s49, v60
	v_and_b32_e32 v126, s52, v60
	s_or_b32 exec_lo, exec_lo, s42
	s_and_saveexec_b32 s42, s27
	s_cbranch_execz .LBB1833_807
.LBB1833_873:                           ;   in Loop: Header=BB1833_682 Depth=2
	ds_load_u16 v60, v93 offset:7680
	s_wait_dscnt 0x0
	v_cmp_ne_u16_e64 s30, 0x7fff, v60
	s_delay_alu instid0(VALU_DEP_1) | instskip(NEXT) | instid1(VALU_DEP_1)
	v_cndmask_b32_e64 v60, 0xffff8000, v60, s30
	v_and_b32_e32 v60, 0xffff, v60
	s_delay_alu instid0(VALU_DEP_1) | instskip(NEXT) | instid1(VALU_DEP_1)
	v_lshrrev_b32_e32 v60, s49, v60
	v_and_b32_e32 v125, s52, v60
	s_or_b32 exec_lo, exec_lo, s42
	s_and_saveexec_b32 s42, s28
	s_cbranch_execz .LBB1833_808
.LBB1833_874:                           ;   in Loop: Header=BB1833_682 Depth=2
	ds_load_u16 v60, v93 offset:8192
	s_wait_dscnt 0x0
	v_cmp_ne_u16_e64 s30, 0x7fff, v60
	s_delay_alu instid0(VALU_DEP_1) | instskip(NEXT) | instid1(VALU_DEP_1)
	v_cndmask_b32_e64 v60, 0xffff8000, v60, s30
	v_and_b32_e32 v60, 0xffff, v60
	s_delay_alu instid0(VALU_DEP_1) | instskip(NEXT) | instid1(VALU_DEP_1)
	v_lshrrev_b32_e32 v60, s49, v60
	v_and_b32_e32 v124, s52, v60
	s_or_b32 exec_lo, exec_lo, s42
	s_and_saveexec_b32 s42, s29
	s_cbranch_execnz .LBB1833_809
	s_branch .LBB1833_810
.LBB1833_875:                           ;   in Loop: Header=BB1833_682 Depth=2
	v_lshlrev_b32_e32 v60, 2, v138
	v_add_nc_u32_e32 v61, v93, v94
	ds_load_b32 v63, v60
	ds_load_b64 v[60:61], v61 offset:1024
	s_wait_dscnt 0x1
	v_add_nc_u32_e32 v63, v63, v2
	s_wait_dscnt 0x0
	global_store_b64 v63, v[60:61], s[44:45] scale_offset
	s_wait_xcnt 0x0
	s_or_b32 exec_lo, exec_lo, s30
	s_and_saveexec_b32 s30, s15
	s_cbranch_execz .LBB1833_812
.LBB1833_876:                           ;   in Loop: Header=BB1833_682 Depth=2
	v_dual_lshlrev_b32 v60, 2, v137 :: v_dual_add_nc_u32 v61, v93, v94
	ds_load_b32 v63, v60
	ds_load_b64 v[60:61], v61 offset:3072
	s_wait_dscnt 0x1
	v_add_nc_u32_e32 v63, v63, v68
	s_wait_dscnt 0x0
	global_store_b64 v63, v[60:61], s[44:45] scale_offset
	s_wait_xcnt 0x0
	s_or_b32 exec_lo, exec_lo, s30
	s_and_saveexec_b32 s15, s16
	s_cbranch_execz .LBB1833_813
.LBB1833_877:                           ;   in Loop: Header=BB1833_682 Depth=2
	v_dual_lshlrev_b32 v60, 2, v136 :: v_dual_add_nc_u32 v61, v93, v94
	ds_load_b32 v63, v60
	ds_load_b64 v[60:61], v61 offset:5120
	s_wait_dscnt 0x1
	v_add_nc_u32_e32 v63, v63, v69
	s_wait_dscnt 0x0
	global_store_b64 v63, v[60:61], s[44:45] scale_offset
	s_wait_xcnt 0x0
	s_or_b32 exec_lo, exec_lo, s15
	s_and_saveexec_b32 s15, s17
	s_cbranch_execz .LBB1833_814
.LBB1833_878:                           ;   in Loop: Header=BB1833_682 Depth=2
	v_dual_lshlrev_b32 v60, 2, v135 :: v_dual_add_nc_u32 v61, v93, v94
	ds_load_b32 v63, v60
	ds_load_b64 v[60:61], v61 offset:7168
	s_wait_dscnt 0x1
	v_add_nc_u32_e32 v63, v63, v70
	s_wait_dscnt 0x0
	global_store_b64 v63, v[60:61], s[44:45] scale_offset
	s_wait_xcnt 0x0
	s_or_b32 exec_lo, exec_lo, s15
	s_and_saveexec_b32 s15, s18
	s_cbranch_execz .LBB1833_815
.LBB1833_879:                           ;   in Loop: Header=BB1833_682 Depth=2
	v_lshlrev_b32_e32 v60, 2, v134
	v_add_nc_u32_e32 v61, v93, v94
	ds_load_b32 v63, v60
	ds_load_b64 v[60:61], v61 offset:9216
	s_wait_dscnt 0x1
	v_add_nc_u32_e32 v63, v63, v71
	s_wait_dscnt 0x0
	global_store_b64 v63, v[60:61], s[44:45] scale_offset
	s_wait_xcnt 0x0
	s_or_b32 exec_lo, exec_lo, s15
	s_and_saveexec_b32 s15, s19
	s_cbranch_execz .LBB1833_816
.LBB1833_880:                           ;   in Loop: Header=BB1833_682 Depth=2
	v_dual_lshlrev_b32 v60, 2, v133 :: v_dual_add_nc_u32 v61, v93, v94
	ds_load_b32 v63, v60
	ds_load_b64 v[60:61], v61 offset:11264
	s_wait_dscnt 0x1
	v_add_nc_u32_e32 v63, v63, v72
	s_wait_dscnt 0x0
	global_store_b64 v63, v[60:61], s[44:45] scale_offset
	s_wait_xcnt 0x0
	s_or_b32 exec_lo, exec_lo, s15
	s_and_saveexec_b32 s15, s20
	s_cbranch_execz .LBB1833_817
.LBB1833_881:                           ;   in Loop: Header=BB1833_682 Depth=2
	v_dual_lshlrev_b32 v60, 2, v132 :: v_dual_add_nc_u32 v61, v93, v94
	ds_load_b32 v63, v60
	ds_load_b64 v[60:61], v61 offset:13312
	s_wait_dscnt 0x1
	v_add_nc_u32_e32 v63, v63, v73
	s_wait_dscnt 0x0
	global_store_b64 v63, v[60:61], s[44:45] scale_offset
	s_wait_xcnt 0x0
	s_or_b32 exec_lo, exec_lo, s15
	s_and_saveexec_b32 s15, s21
	s_cbranch_execz .LBB1833_818
.LBB1833_882:                           ;   in Loop: Header=BB1833_682 Depth=2
	v_dual_lshlrev_b32 v60, 2, v131 :: v_dual_add_nc_u32 v61, v93, v94
	ds_load_b32 v63, v60
	ds_load_b64 v[60:61], v61 offset:15360
	s_wait_dscnt 0x1
	v_add_nc_u32_e32 v63, v63, v74
	s_wait_dscnt 0x0
	global_store_b64 v63, v[60:61], s[44:45] scale_offset
	s_wait_xcnt 0x0
	s_or_b32 exec_lo, exec_lo, s15
	s_and_saveexec_b32 s15, s22
	s_cbranch_execz .LBB1833_819
.LBB1833_883:                           ;   in Loop: Header=BB1833_682 Depth=2
	v_lshlrev_b32_e32 v60, 2, v130
	v_add_nc_u32_e32 v61, v93, v94
	ds_load_b32 v63, v60
	ds_load_b64 v[60:61], v61 offset:17408
	s_wait_dscnt 0x1
	v_add_nc_u32_e32 v63, v63, v75
	s_wait_dscnt 0x0
	global_store_b64 v63, v[60:61], s[44:45] scale_offset
	s_wait_xcnt 0x0
	s_or_b32 exec_lo, exec_lo, s15
	s_and_saveexec_b32 s15, s23
	s_cbranch_execz .LBB1833_820
.LBB1833_884:                           ;   in Loop: Header=BB1833_682 Depth=2
	v_dual_lshlrev_b32 v60, 2, v129 :: v_dual_add_nc_u32 v61, v93, v94
	ds_load_b32 v63, v60
	ds_load_b64 v[60:61], v61 offset:19456
	s_wait_dscnt 0x1
	v_add_nc_u32_e32 v63, v63, v76
	s_wait_dscnt 0x0
	global_store_b64 v63, v[60:61], s[44:45] scale_offset
	s_wait_xcnt 0x0
	s_or_b32 exec_lo, exec_lo, s15
	s_and_saveexec_b32 s15, s24
	s_cbranch_execz .LBB1833_821
.LBB1833_885:                           ;   in Loop: Header=BB1833_682 Depth=2
	v_dual_lshlrev_b32 v60, 2, v128 :: v_dual_add_nc_u32 v61, v93, v94
	ds_load_b32 v63, v60
	ds_load_b64 v[60:61], v61 offset:21504
	s_wait_dscnt 0x1
	v_add_nc_u32_e32 v63, v63, v77
	s_wait_dscnt 0x0
	global_store_b64 v63, v[60:61], s[44:45] scale_offset
	s_wait_xcnt 0x0
	s_or_b32 exec_lo, exec_lo, s15
	s_and_saveexec_b32 s15, s25
	s_cbranch_execz .LBB1833_822
.LBB1833_886:                           ;   in Loop: Header=BB1833_682 Depth=2
	v_dual_lshlrev_b32 v60, 2, v127 :: v_dual_add_nc_u32 v61, v93, v94
	ds_load_b32 v63, v60
	ds_load_b64 v[60:61], v61 offset:23552
	s_wait_dscnt 0x1
	v_add_nc_u32_e32 v63, v63, v78
	s_wait_dscnt 0x0
	global_store_b64 v63, v[60:61], s[44:45] scale_offset
	s_wait_xcnt 0x0
	s_or_b32 exec_lo, exec_lo, s15
	s_and_saveexec_b32 s15, s26
	s_cbranch_execz .LBB1833_823
.LBB1833_887:                           ;   in Loop: Header=BB1833_682 Depth=2
	v_lshlrev_b32_e32 v60, 2, v126
	v_add_nc_u32_e32 v61, v93, v94
	ds_load_b32 v63, v60
	ds_load_b64 v[60:61], v61 offset:25600
	s_wait_dscnt 0x1
	v_add_nc_u32_e32 v63, v63, v79
	s_wait_dscnt 0x0
	global_store_b64 v63, v[60:61], s[44:45] scale_offset
	s_wait_xcnt 0x0
	s_or_b32 exec_lo, exec_lo, s15
	s_and_saveexec_b32 s15, s27
	s_cbranch_execz .LBB1833_824
.LBB1833_888:                           ;   in Loop: Header=BB1833_682 Depth=2
	v_dual_lshlrev_b32 v60, 2, v125 :: v_dual_add_nc_u32 v61, v93, v94
	ds_load_b32 v63, v60
	ds_load_b64 v[60:61], v61 offset:27648
	s_wait_dscnt 0x1
	v_add_nc_u32_e32 v63, v63, v80
	s_wait_dscnt 0x0
	global_store_b64 v63, v[60:61], s[44:45] scale_offset
	s_wait_xcnt 0x0
	s_or_b32 exec_lo, exec_lo, s15
	s_and_saveexec_b32 s15, s28
	s_cbranch_execz .LBB1833_825
.LBB1833_889:                           ;   in Loop: Header=BB1833_682 Depth=2
	v_dual_lshlrev_b32 v60, 2, v124 :: v_dual_add_nc_u32 v61, v93, v94
	ds_load_b32 v63, v60
	ds_load_b64 v[60:61], v61 offset:29696
	s_wait_dscnt 0x1
	v_add_nc_u32_e32 v63, v63, v81
	s_wait_dscnt 0x0
	global_store_b64 v63, v[60:61], s[44:45] scale_offset
	s_wait_xcnt 0x0
	s_or_b32 exec_lo, exec_lo, s15
	s_and_saveexec_b32 s15, s29
	s_cbranch_execnz .LBB1833_826
	s_branch .LBB1833_827
.LBB1833_890:                           ;   in Loop: Header=BB1833_12 Depth=1
	s_wait_dscnt 0x0
	s_barrier_signal -1
	s_mov_b32 s7, 0
	s_barrier_wait -1
.LBB1833_891:                           ;   in Loop: Header=BB1833_12 Depth=1
	s_and_b32 vcc_lo, exec_lo, s7
	s_cbranch_vccz .LBB1833_11
; %bb.892:                              ;   in Loop: Header=BB1833_12 Depth=1
	s_mov_b32 s7, s56
	s_mov_b32 s42, s54
	s_barrier_signal -1
	s_barrier_wait -1
                                        ; implicit-def: $vgpr23
                                        ; implicit-def: $vgpr24
                                        ; implicit-def: $vgpr25
                                        ; implicit-def: $vgpr26
                                        ; implicit-def: $vgpr27
                                        ; implicit-def: $vgpr28
                                        ; implicit-def: $vgpr29
                                        ; implicit-def: $vgpr30
                                        ; implicit-def: $vgpr31
                                        ; implicit-def: $vgpr32
                                        ; implicit-def: $vgpr33
                                        ; implicit-def: $vgpr34
                                        ; implicit-def: $vgpr35
                                        ; implicit-def: $vgpr36
                                        ; implicit-def: $vgpr37
                                        ; implicit-def: $vgpr38
	s_branch .LBB1833_894
.LBB1833_893:                           ;   in Loop: Header=BB1833_894 Depth=2
	s_or_b32 exec_lo, exec_lo, s8
	s_addk_co_i32 s7, 0xf000
	s_cmp_ge_u32 s10, s51
	s_mov_b32 s42, s10
	s_cbranch_scc1 .LBB1833_962
.LBB1833_894:                           ;   Parent Loop BB1833_12 Depth=1
                                        ; =>  This Inner Loop Header: Depth=2
	s_add_co_i32 s10, s42, 0x1000
	s_mov_b32 s8, -1
	s_cmp_gt_u32 s10, s51
                                        ; implicit-def: $vgpr39
                                        ; implicit-def: $vgpr40
                                        ; implicit-def: $vgpr41
                                        ; implicit-def: $vgpr42
                                        ; implicit-def: $vgpr43
                                        ; implicit-def: $vgpr44
                                        ; implicit-def: $vgpr45
                                        ; implicit-def: $vgpr46
                                        ; implicit-def: $vgpr47
                                        ; implicit-def: $vgpr48
                                        ; implicit-def: $vgpr49
                                        ; implicit-def: $vgpr50
                                        ; implicit-def: $vgpr51
                                        ; implicit-def: $vgpr52
                                        ; implicit-def: $vgpr53
                                        ; implicit-def: $vgpr54
	s_cbranch_scc1 .LBB1833_896
; %bb.895:                              ;   in Loop: Header=BB1833_894 Depth=2
	v_lshl_add_u64 v[54:55], s[42:43], 1, v[16:17]
	s_mov_b32 s8, 0
	s_clause 0xf
	global_load_u16 v39, v[54:55], off
	global_load_u16 v40, v[54:55], off offset:512
	global_load_u16 v41, v[54:55], off offset:1024
	;; [unrolled: 1-line block ×15, first 2 shown]
.LBB1833_896:                           ;   in Loop: Header=BB1833_894 Depth=2
	s_and_not1_b32 vcc_lo, exec_lo, s8
	s_movk_i32 s8, 0x1000
	s_cbranch_vccnz .LBB1833_915
; %bb.897:                              ;   in Loop: Header=BB1833_894 Depth=2
	s_lshl_b64 s[8:9], s[42:43], 1
	s_mov_b32 s11, exec_lo
	s_add_nc_u64 s[8:9], s[36:37], s[8:9]
	s_wait_xcnt 0x0
	v_cmpx_gt_u32_e64 s7, v2
	s_cbranch_execnz .LBB1833_947
; %bb.898:                              ;   in Loop: Header=BB1833_894 Depth=2
	s_or_b32 exec_lo, exec_lo, s11
	s_delay_alu instid0(SALU_CYCLE_1)
	s_mov_b32 s11, exec_lo
	v_cmpx_gt_u32_e64 s7, v68
	s_cbranch_execnz .LBB1833_948
.LBB1833_899:                           ;   in Loop: Header=BB1833_894 Depth=2
	s_or_b32 exec_lo, exec_lo, s11
	s_delay_alu instid0(SALU_CYCLE_1)
	s_mov_b32 s11, exec_lo
	v_cmpx_gt_u32_e64 s7, v69
	s_cbranch_execnz .LBB1833_949
.LBB1833_900:                           ;   in Loop: Header=BB1833_894 Depth=2
	s_or_b32 exec_lo, exec_lo, s11
	s_delay_alu instid0(SALU_CYCLE_1)
	s_mov_b32 s11, exec_lo
	v_cmpx_gt_u32_e64 s7, v70
	s_cbranch_execnz .LBB1833_950
.LBB1833_901:                           ;   in Loop: Header=BB1833_894 Depth=2
	s_or_b32 exec_lo, exec_lo, s11
	s_delay_alu instid0(SALU_CYCLE_1)
	s_mov_b32 s11, exec_lo
	v_cmpx_gt_u32_e64 s7, v71
	s_cbranch_execnz .LBB1833_951
.LBB1833_902:                           ;   in Loop: Header=BB1833_894 Depth=2
	s_or_b32 exec_lo, exec_lo, s11
	s_delay_alu instid0(SALU_CYCLE_1)
	s_mov_b32 s11, exec_lo
	v_cmpx_gt_u32_e64 s7, v72
	s_cbranch_execnz .LBB1833_952
.LBB1833_903:                           ;   in Loop: Header=BB1833_894 Depth=2
	s_or_b32 exec_lo, exec_lo, s11
	s_delay_alu instid0(SALU_CYCLE_1)
	s_mov_b32 s11, exec_lo
	v_cmpx_gt_u32_e64 s7, v73
	s_cbranch_execnz .LBB1833_953
.LBB1833_904:                           ;   in Loop: Header=BB1833_894 Depth=2
	s_or_b32 exec_lo, exec_lo, s11
	s_delay_alu instid0(SALU_CYCLE_1)
	s_mov_b32 s11, exec_lo
	v_cmpx_gt_u32_e64 s7, v74
	s_cbranch_execnz .LBB1833_954
.LBB1833_905:                           ;   in Loop: Header=BB1833_894 Depth=2
	s_or_b32 exec_lo, exec_lo, s11
	s_delay_alu instid0(SALU_CYCLE_1)
	s_mov_b32 s11, exec_lo
	v_cmpx_gt_u32_e64 s7, v75
	s_cbranch_execnz .LBB1833_955
.LBB1833_906:                           ;   in Loop: Header=BB1833_894 Depth=2
	s_or_b32 exec_lo, exec_lo, s11
	s_delay_alu instid0(SALU_CYCLE_1)
	s_mov_b32 s11, exec_lo
	v_cmpx_gt_u32_e64 s7, v76
	s_cbranch_execnz .LBB1833_956
.LBB1833_907:                           ;   in Loop: Header=BB1833_894 Depth=2
	s_or_b32 exec_lo, exec_lo, s11
	s_delay_alu instid0(SALU_CYCLE_1)
	s_mov_b32 s11, exec_lo
	v_cmpx_gt_u32_e64 s7, v77
	s_cbranch_execnz .LBB1833_957
.LBB1833_908:                           ;   in Loop: Header=BB1833_894 Depth=2
	s_or_b32 exec_lo, exec_lo, s11
	s_delay_alu instid0(SALU_CYCLE_1)
	s_mov_b32 s11, exec_lo
	v_cmpx_gt_u32_e64 s7, v78
	s_cbranch_execnz .LBB1833_958
.LBB1833_909:                           ;   in Loop: Header=BB1833_894 Depth=2
	s_or_b32 exec_lo, exec_lo, s11
	s_delay_alu instid0(SALU_CYCLE_1)
	s_mov_b32 s11, exec_lo
	v_cmpx_gt_u32_e64 s7, v79
	s_cbranch_execnz .LBB1833_959
.LBB1833_910:                           ;   in Loop: Header=BB1833_894 Depth=2
	s_or_b32 exec_lo, exec_lo, s11
	s_delay_alu instid0(SALU_CYCLE_1)
	s_mov_b32 s11, exec_lo
	v_cmpx_gt_u32_e64 s7, v80
	s_cbranch_execnz .LBB1833_960
.LBB1833_911:                           ;   in Loop: Header=BB1833_894 Depth=2
	s_or_b32 exec_lo, exec_lo, s11
	s_delay_alu instid0(SALU_CYCLE_1)
	s_mov_b32 s11, exec_lo
	v_cmpx_gt_u32_e64 s7, v81
	s_cbranch_execnz .LBB1833_961
.LBB1833_912:                           ;   in Loop: Header=BB1833_894 Depth=2
	s_or_b32 exec_lo, exec_lo, s11
	s_delay_alu instid0(SALU_CYCLE_1)
	s_mov_b32 s11, exec_lo
	v_cmpx_gt_u32_e64 s7, v82
	s_cbranch_execz .LBB1833_914
.LBB1833_913:                           ;   in Loop: Header=BB1833_894 Depth=2
	global_load_u16 v23, v2, s[8:9] offset:7680 scale_offset
.LBB1833_914:                           ;   in Loop: Header=BB1833_894 Depth=2
	s_wait_xcnt 0x0
	s_or_b32 exec_lo, exec_lo, s11
	s_wait_loadcnt 0x0
	v_dual_mov_b32 v39, v38 :: v_dual_mov_b32 v40, v37
	v_dual_mov_b32 v41, v36 :: v_dual_mov_b32 v42, v35
	;; [unrolled: 1-line block ×8, first 2 shown]
	s_mov_b32 s8, s7
.LBB1833_915:                           ;   in Loop: Header=BB1833_894 Depth=2
	s_wait_loadcnt 0x0
	s_delay_alu instid0(VALU_DEP_1)
	v_dual_mov_b32 v23, v54 :: v_dual_mov_b32 v24, v53
	v_dual_mov_b32 v25, v52 :: v_dual_mov_b32 v26, v51
	;; [unrolled: 1-line block ×8, first 2 shown]
	s_mov_b32 s9, exec_lo
	s_wait_xcnt 0x0
	v_cmpx_gt_u32_e64 s8, v2
	s_cbranch_execnz .LBB1833_931
; %bb.916:                              ;   in Loop: Header=BB1833_894 Depth=2
	s_or_b32 exec_lo, exec_lo, s9
	s_delay_alu instid0(SALU_CYCLE_1)
	s_mov_b32 s9, exec_lo
	v_cmpx_gt_u32_e64 s8, v68
	s_cbranch_execnz .LBB1833_932
.LBB1833_917:                           ;   in Loop: Header=BB1833_894 Depth=2
	s_or_b32 exec_lo, exec_lo, s9
	s_delay_alu instid0(SALU_CYCLE_1)
	s_mov_b32 s9, exec_lo
	v_cmpx_gt_u32_e64 s8, v69
	s_cbranch_execnz .LBB1833_933
.LBB1833_918:                           ;   in Loop: Header=BB1833_894 Depth=2
	s_or_b32 exec_lo, exec_lo, s9
	s_delay_alu instid0(SALU_CYCLE_1)
	s_mov_b32 s9, exec_lo
	v_cmpx_gt_u32_e64 s8, v70
	s_cbranch_execnz .LBB1833_934
.LBB1833_919:                           ;   in Loop: Header=BB1833_894 Depth=2
	s_or_b32 exec_lo, exec_lo, s9
	s_delay_alu instid0(SALU_CYCLE_1)
	s_mov_b32 s9, exec_lo
	v_cmpx_gt_u32_e64 s8, v71
	s_cbranch_execnz .LBB1833_935
.LBB1833_920:                           ;   in Loop: Header=BB1833_894 Depth=2
	s_or_b32 exec_lo, exec_lo, s9
	s_delay_alu instid0(SALU_CYCLE_1)
	s_mov_b32 s9, exec_lo
	v_cmpx_gt_u32_e64 s8, v72
	s_cbranch_execnz .LBB1833_936
.LBB1833_921:                           ;   in Loop: Header=BB1833_894 Depth=2
	s_or_b32 exec_lo, exec_lo, s9
	s_delay_alu instid0(SALU_CYCLE_1)
	s_mov_b32 s9, exec_lo
	v_cmpx_gt_u32_e64 s8, v73
	s_cbranch_execnz .LBB1833_937
.LBB1833_922:                           ;   in Loop: Header=BB1833_894 Depth=2
	s_or_b32 exec_lo, exec_lo, s9
	s_delay_alu instid0(SALU_CYCLE_1)
	s_mov_b32 s9, exec_lo
	v_cmpx_gt_u32_e64 s8, v74
	s_cbranch_execnz .LBB1833_938
.LBB1833_923:                           ;   in Loop: Header=BB1833_894 Depth=2
	s_or_b32 exec_lo, exec_lo, s9
	s_delay_alu instid0(SALU_CYCLE_1)
	s_mov_b32 s9, exec_lo
	v_cmpx_gt_u32_e64 s8, v75
	s_cbranch_execnz .LBB1833_939
.LBB1833_924:                           ;   in Loop: Header=BB1833_894 Depth=2
	s_or_b32 exec_lo, exec_lo, s9
	s_delay_alu instid0(SALU_CYCLE_1)
	s_mov_b32 s9, exec_lo
	v_cmpx_gt_u32_e64 s8, v76
	s_cbranch_execnz .LBB1833_940
.LBB1833_925:                           ;   in Loop: Header=BB1833_894 Depth=2
	s_or_b32 exec_lo, exec_lo, s9
	s_delay_alu instid0(SALU_CYCLE_1)
	s_mov_b32 s9, exec_lo
	v_cmpx_gt_u32_e64 s8, v77
	s_cbranch_execnz .LBB1833_941
.LBB1833_926:                           ;   in Loop: Header=BB1833_894 Depth=2
	s_or_b32 exec_lo, exec_lo, s9
	s_delay_alu instid0(SALU_CYCLE_1)
	s_mov_b32 s9, exec_lo
	v_cmpx_gt_u32_e64 s8, v78
	s_cbranch_execnz .LBB1833_942
.LBB1833_927:                           ;   in Loop: Header=BB1833_894 Depth=2
	s_or_b32 exec_lo, exec_lo, s9
	s_delay_alu instid0(SALU_CYCLE_1)
	s_mov_b32 s9, exec_lo
	v_cmpx_gt_u32_e64 s8, v79
	s_cbranch_execnz .LBB1833_943
.LBB1833_928:                           ;   in Loop: Header=BB1833_894 Depth=2
	s_or_b32 exec_lo, exec_lo, s9
	s_delay_alu instid0(SALU_CYCLE_1)
	s_mov_b32 s9, exec_lo
	v_cmpx_gt_u32_e64 s8, v80
	s_cbranch_execnz .LBB1833_944
.LBB1833_929:                           ;   in Loop: Header=BB1833_894 Depth=2
	s_or_b32 exec_lo, exec_lo, s9
	s_delay_alu instid0(SALU_CYCLE_1)
	s_mov_b32 s9, exec_lo
	v_cmpx_gt_u32_e64 s8, v81
	s_cbranch_execnz .LBB1833_945
.LBB1833_930:                           ;   in Loop: Header=BB1833_894 Depth=2
	s_or_b32 exec_lo, exec_lo, s9
	v_cmp_gt_u32_e32 vcc_lo, s8, v82
	s_and_saveexec_b32 s8, vcc_lo
	s_cbranch_execz .LBB1833_893
	s_branch .LBB1833_946
.LBB1833_931:                           ;   in Loop: Header=BB1833_894 Depth=2
	v_cmp_lt_i16_e32 vcc_lo, -1, v38
	v_cndmask_b32_e64 v39, -1, 0xffff8000, vcc_lo
	s_delay_alu instid0(VALU_DEP_1) | instskip(NEXT) | instid1(VALU_DEP_1)
	v_xor_b32_e32 v39, v39, v38
	v_cmp_ne_u16_e32 vcc_lo, 0x7fff, v39
	v_cndmask_b32_e32 v39, 0xffff8000, v39, vcc_lo
	s_delay_alu instid0(VALU_DEP_1) | instskip(NEXT) | instid1(VALU_DEP_1)
	v_and_b32_e32 v39, 0xffff, v39
	v_lshrrev_b32_e32 v39, s49, v39
	s_delay_alu instid0(VALU_DEP_1) | instskip(NEXT) | instid1(VALU_DEP_1)
	v_and_b32_e32 v39, s52, v39
	v_lshl_or_b32 v39, v39, 4, v83
	ds_add_u32 v39, v96
	s_or_b32 exec_lo, exec_lo, s9
	s_delay_alu instid0(SALU_CYCLE_1)
	s_mov_b32 s9, exec_lo
	v_cmpx_gt_u32_e64 s8, v68
	s_cbranch_execz .LBB1833_917
.LBB1833_932:                           ;   in Loop: Header=BB1833_894 Depth=2
	v_cmp_lt_i16_e32 vcc_lo, -1, v37
	v_cndmask_b32_e64 v39, -1, 0xffff8000, vcc_lo
	s_delay_alu instid0(VALU_DEP_1) | instskip(NEXT) | instid1(VALU_DEP_1)
	v_xor_b32_e32 v39, v39, v37
	v_cmp_ne_u16_e32 vcc_lo, 0x7fff, v39
	v_cndmask_b32_e32 v39, 0xffff8000, v39, vcc_lo
	s_delay_alu instid0(VALU_DEP_1) | instskip(NEXT) | instid1(VALU_DEP_1)
	v_and_b32_e32 v39, 0xffff, v39
	v_lshrrev_b32_e32 v39, s49, v39
	s_delay_alu instid0(VALU_DEP_1) | instskip(NEXT) | instid1(VALU_DEP_1)
	v_and_b32_e32 v39, s52, v39
	v_lshl_or_b32 v39, v39, 4, v83
	ds_add_u32 v39, v96
	s_or_b32 exec_lo, exec_lo, s9
	s_delay_alu instid0(SALU_CYCLE_1)
	s_mov_b32 s9, exec_lo
	v_cmpx_gt_u32_e64 s8, v69
	s_cbranch_execz .LBB1833_918
.LBB1833_933:                           ;   in Loop: Header=BB1833_894 Depth=2
	v_cmp_lt_i16_e32 vcc_lo, -1, v36
	v_cndmask_b32_e64 v39, -1, 0xffff8000, vcc_lo
	s_delay_alu instid0(VALU_DEP_1) | instskip(NEXT) | instid1(VALU_DEP_1)
	v_xor_b32_e32 v39, v39, v36
	v_cmp_ne_u16_e32 vcc_lo, 0x7fff, v39
	v_cndmask_b32_e32 v39, 0xffff8000, v39, vcc_lo
	s_delay_alu instid0(VALU_DEP_1) | instskip(NEXT) | instid1(VALU_DEP_1)
	v_and_b32_e32 v39, 0xffff, v39
	v_lshrrev_b32_e32 v39, s49, v39
	s_delay_alu instid0(VALU_DEP_1) | instskip(NEXT) | instid1(VALU_DEP_1)
	v_and_b32_e32 v39, s52, v39
	v_lshl_or_b32 v39, v39, 4, v83
	ds_add_u32 v39, v96
	s_or_b32 exec_lo, exec_lo, s9
	s_delay_alu instid0(SALU_CYCLE_1)
	s_mov_b32 s9, exec_lo
	v_cmpx_gt_u32_e64 s8, v70
	s_cbranch_execz .LBB1833_919
.LBB1833_934:                           ;   in Loop: Header=BB1833_894 Depth=2
	v_cmp_lt_i16_e32 vcc_lo, -1, v35
	v_cndmask_b32_e64 v39, -1, 0xffff8000, vcc_lo
	s_delay_alu instid0(VALU_DEP_1) | instskip(NEXT) | instid1(VALU_DEP_1)
	v_xor_b32_e32 v39, v39, v35
	v_cmp_ne_u16_e32 vcc_lo, 0x7fff, v39
	v_cndmask_b32_e32 v39, 0xffff8000, v39, vcc_lo
	s_delay_alu instid0(VALU_DEP_1) | instskip(NEXT) | instid1(VALU_DEP_1)
	v_and_b32_e32 v39, 0xffff, v39
	v_lshrrev_b32_e32 v39, s49, v39
	s_delay_alu instid0(VALU_DEP_1) | instskip(NEXT) | instid1(VALU_DEP_1)
	v_and_b32_e32 v39, s52, v39
	v_lshl_or_b32 v39, v39, 4, v83
	ds_add_u32 v39, v96
	s_or_b32 exec_lo, exec_lo, s9
	s_delay_alu instid0(SALU_CYCLE_1)
	s_mov_b32 s9, exec_lo
	v_cmpx_gt_u32_e64 s8, v71
	s_cbranch_execz .LBB1833_920
.LBB1833_935:                           ;   in Loop: Header=BB1833_894 Depth=2
	v_cmp_lt_i16_e32 vcc_lo, -1, v34
	v_cndmask_b32_e64 v39, -1, 0xffff8000, vcc_lo
	s_delay_alu instid0(VALU_DEP_1) | instskip(NEXT) | instid1(VALU_DEP_1)
	v_xor_b32_e32 v39, v39, v34
	v_cmp_ne_u16_e32 vcc_lo, 0x7fff, v39
	v_cndmask_b32_e32 v39, 0xffff8000, v39, vcc_lo
	s_delay_alu instid0(VALU_DEP_1) | instskip(NEXT) | instid1(VALU_DEP_1)
	v_and_b32_e32 v39, 0xffff, v39
	v_lshrrev_b32_e32 v39, s49, v39
	s_delay_alu instid0(VALU_DEP_1) | instskip(NEXT) | instid1(VALU_DEP_1)
	v_and_b32_e32 v39, s52, v39
	v_lshl_or_b32 v39, v39, 4, v83
	ds_add_u32 v39, v96
	s_or_b32 exec_lo, exec_lo, s9
	s_delay_alu instid0(SALU_CYCLE_1)
	s_mov_b32 s9, exec_lo
	v_cmpx_gt_u32_e64 s8, v72
	s_cbranch_execz .LBB1833_921
.LBB1833_936:                           ;   in Loop: Header=BB1833_894 Depth=2
	v_cmp_lt_i16_e32 vcc_lo, -1, v33
	v_cndmask_b32_e64 v39, -1, 0xffff8000, vcc_lo
	s_delay_alu instid0(VALU_DEP_1) | instskip(NEXT) | instid1(VALU_DEP_1)
	v_xor_b32_e32 v39, v39, v33
	v_cmp_ne_u16_e32 vcc_lo, 0x7fff, v39
	v_cndmask_b32_e32 v39, 0xffff8000, v39, vcc_lo
	s_delay_alu instid0(VALU_DEP_1) | instskip(NEXT) | instid1(VALU_DEP_1)
	v_and_b32_e32 v39, 0xffff, v39
	v_lshrrev_b32_e32 v39, s49, v39
	s_delay_alu instid0(VALU_DEP_1) | instskip(NEXT) | instid1(VALU_DEP_1)
	v_and_b32_e32 v39, s52, v39
	v_lshl_or_b32 v39, v39, 4, v83
	ds_add_u32 v39, v96
	s_or_b32 exec_lo, exec_lo, s9
	s_delay_alu instid0(SALU_CYCLE_1)
	s_mov_b32 s9, exec_lo
	v_cmpx_gt_u32_e64 s8, v73
	s_cbranch_execz .LBB1833_922
.LBB1833_937:                           ;   in Loop: Header=BB1833_894 Depth=2
	v_cmp_lt_i16_e32 vcc_lo, -1, v32
	v_cndmask_b32_e64 v39, -1, 0xffff8000, vcc_lo
	s_delay_alu instid0(VALU_DEP_1) | instskip(NEXT) | instid1(VALU_DEP_1)
	v_xor_b32_e32 v39, v39, v32
	v_cmp_ne_u16_e32 vcc_lo, 0x7fff, v39
	v_cndmask_b32_e32 v39, 0xffff8000, v39, vcc_lo
	s_delay_alu instid0(VALU_DEP_1) | instskip(NEXT) | instid1(VALU_DEP_1)
	v_and_b32_e32 v39, 0xffff, v39
	v_lshrrev_b32_e32 v39, s49, v39
	s_delay_alu instid0(VALU_DEP_1) | instskip(NEXT) | instid1(VALU_DEP_1)
	v_and_b32_e32 v39, s52, v39
	v_lshl_or_b32 v39, v39, 4, v83
	ds_add_u32 v39, v96
	s_or_b32 exec_lo, exec_lo, s9
	s_delay_alu instid0(SALU_CYCLE_1)
	s_mov_b32 s9, exec_lo
	v_cmpx_gt_u32_e64 s8, v74
	s_cbranch_execz .LBB1833_923
.LBB1833_938:                           ;   in Loop: Header=BB1833_894 Depth=2
	v_cmp_lt_i16_e32 vcc_lo, -1, v31
	v_cndmask_b32_e64 v39, -1, 0xffff8000, vcc_lo
	s_delay_alu instid0(VALU_DEP_1) | instskip(NEXT) | instid1(VALU_DEP_1)
	v_xor_b32_e32 v39, v39, v31
	v_cmp_ne_u16_e32 vcc_lo, 0x7fff, v39
	v_cndmask_b32_e32 v39, 0xffff8000, v39, vcc_lo
	s_delay_alu instid0(VALU_DEP_1) | instskip(NEXT) | instid1(VALU_DEP_1)
	v_and_b32_e32 v39, 0xffff, v39
	v_lshrrev_b32_e32 v39, s49, v39
	s_delay_alu instid0(VALU_DEP_1) | instskip(NEXT) | instid1(VALU_DEP_1)
	v_and_b32_e32 v39, s52, v39
	v_lshl_or_b32 v39, v39, 4, v83
	ds_add_u32 v39, v96
	s_or_b32 exec_lo, exec_lo, s9
	s_delay_alu instid0(SALU_CYCLE_1)
	s_mov_b32 s9, exec_lo
	v_cmpx_gt_u32_e64 s8, v75
	s_cbranch_execz .LBB1833_924
.LBB1833_939:                           ;   in Loop: Header=BB1833_894 Depth=2
	v_cmp_lt_i16_e32 vcc_lo, -1, v30
	v_cndmask_b32_e64 v39, -1, 0xffff8000, vcc_lo
	s_delay_alu instid0(VALU_DEP_1) | instskip(NEXT) | instid1(VALU_DEP_1)
	v_xor_b32_e32 v39, v39, v30
	v_cmp_ne_u16_e32 vcc_lo, 0x7fff, v39
	v_cndmask_b32_e32 v39, 0xffff8000, v39, vcc_lo
	s_delay_alu instid0(VALU_DEP_1) | instskip(NEXT) | instid1(VALU_DEP_1)
	v_and_b32_e32 v39, 0xffff, v39
	v_lshrrev_b32_e32 v39, s49, v39
	s_delay_alu instid0(VALU_DEP_1) | instskip(NEXT) | instid1(VALU_DEP_1)
	v_and_b32_e32 v39, s52, v39
	v_lshl_or_b32 v39, v39, 4, v83
	ds_add_u32 v39, v96
	s_or_b32 exec_lo, exec_lo, s9
	s_delay_alu instid0(SALU_CYCLE_1)
	s_mov_b32 s9, exec_lo
	v_cmpx_gt_u32_e64 s8, v76
	s_cbranch_execz .LBB1833_925
.LBB1833_940:                           ;   in Loop: Header=BB1833_894 Depth=2
	v_cmp_lt_i16_e32 vcc_lo, -1, v29
	v_cndmask_b32_e64 v39, -1, 0xffff8000, vcc_lo
	s_delay_alu instid0(VALU_DEP_1) | instskip(NEXT) | instid1(VALU_DEP_1)
	v_xor_b32_e32 v39, v39, v29
	v_cmp_ne_u16_e32 vcc_lo, 0x7fff, v39
	v_cndmask_b32_e32 v39, 0xffff8000, v39, vcc_lo
	s_delay_alu instid0(VALU_DEP_1) | instskip(NEXT) | instid1(VALU_DEP_1)
	v_and_b32_e32 v39, 0xffff, v39
	v_lshrrev_b32_e32 v39, s49, v39
	s_delay_alu instid0(VALU_DEP_1) | instskip(NEXT) | instid1(VALU_DEP_1)
	v_and_b32_e32 v39, s52, v39
	v_lshl_or_b32 v39, v39, 4, v83
	ds_add_u32 v39, v96
	s_or_b32 exec_lo, exec_lo, s9
	s_delay_alu instid0(SALU_CYCLE_1)
	s_mov_b32 s9, exec_lo
	v_cmpx_gt_u32_e64 s8, v77
	s_cbranch_execz .LBB1833_926
.LBB1833_941:                           ;   in Loop: Header=BB1833_894 Depth=2
	v_cmp_lt_i16_e32 vcc_lo, -1, v28
	v_cndmask_b32_e64 v39, -1, 0xffff8000, vcc_lo
	s_delay_alu instid0(VALU_DEP_1) | instskip(NEXT) | instid1(VALU_DEP_1)
	v_xor_b32_e32 v39, v39, v28
	v_cmp_ne_u16_e32 vcc_lo, 0x7fff, v39
	v_cndmask_b32_e32 v39, 0xffff8000, v39, vcc_lo
	s_delay_alu instid0(VALU_DEP_1) | instskip(NEXT) | instid1(VALU_DEP_1)
	v_and_b32_e32 v39, 0xffff, v39
	v_lshrrev_b32_e32 v39, s49, v39
	s_delay_alu instid0(VALU_DEP_1) | instskip(NEXT) | instid1(VALU_DEP_1)
	v_and_b32_e32 v39, s52, v39
	v_lshl_or_b32 v39, v39, 4, v83
	ds_add_u32 v39, v96
	s_or_b32 exec_lo, exec_lo, s9
	s_delay_alu instid0(SALU_CYCLE_1)
	s_mov_b32 s9, exec_lo
	v_cmpx_gt_u32_e64 s8, v78
	s_cbranch_execz .LBB1833_927
.LBB1833_942:                           ;   in Loop: Header=BB1833_894 Depth=2
	v_cmp_lt_i16_e32 vcc_lo, -1, v27
	v_cndmask_b32_e64 v39, -1, 0xffff8000, vcc_lo
	s_delay_alu instid0(VALU_DEP_1) | instskip(NEXT) | instid1(VALU_DEP_1)
	v_xor_b32_e32 v39, v39, v27
	v_cmp_ne_u16_e32 vcc_lo, 0x7fff, v39
	v_cndmask_b32_e32 v39, 0xffff8000, v39, vcc_lo
	s_delay_alu instid0(VALU_DEP_1) | instskip(NEXT) | instid1(VALU_DEP_1)
	v_and_b32_e32 v39, 0xffff, v39
	v_lshrrev_b32_e32 v39, s49, v39
	s_delay_alu instid0(VALU_DEP_1) | instskip(NEXT) | instid1(VALU_DEP_1)
	v_and_b32_e32 v39, s52, v39
	v_lshl_or_b32 v39, v39, 4, v83
	ds_add_u32 v39, v96
	s_or_b32 exec_lo, exec_lo, s9
	s_delay_alu instid0(SALU_CYCLE_1)
	s_mov_b32 s9, exec_lo
	v_cmpx_gt_u32_e64 s8, v79
	s_cbranch_execz .LBB1833_928
.LBB1833_943:                           ;   in Loop: Header=BB1833_894 Depth=2
	v_cmp_lt_i16_e32 vcc_lo, -1, v26
	v_cndmask_b32_e64 v39, -1, 0xffff8000, vcc_lo
	s_delay_alu instid0(VALU_DEP_1) | instskip(NEXT) | instid1(VALU_DEP_1)
	v_xor_b32_e32 v39, v39, v26
	v_cmp_ne_u16_e32 vcc_lo, 0x7fff, v39
	v_cndmask_b32_e32 v39, 0xffff8000, v39, vcc_lo
	s_delay_alu instid0(VALU_DEP_1) | instskip(NEXT) | instid1(VALU_DEP_1)
	v_and_b32_e32 v39, 0xffff, v39
	v_lshrrev_b32_e32 v39, s49, v39
	s_delay_alu instid0(VALU_DEP_1) | instskip(NEXT) | instid1(VALU_DEP_1)
	v_and_b32_e32 v39, s52, v39
	v_lshl_or_b32 v39, v39, 4, v83
	ds_add_u32 v39, v96
	s_or_b32 exec_lo, exec_lo, s9
	s_delay_alu instid0(SALU_CYCLE_1)
	s_mov_b32 s9, exec_lo
	v_cmpx_gt_u32_e64 s8, v80
	s_cbranch_execz .LBB1833_929
.LBB1833_944:                           ;   in Loop: Header=BB1833_894 Depth=2
	v_cmp_lt_i16_e32 vcc_lo, -1, v25
	v_cndmask_b32_e64 v39, -1, 0xffff8000, vcc_lo
	s_delay_alu instid0(VALU_DEP_1) | instskip(NEXT) | instid1(VALU_DEP_1)
	v_xor_b32_e32 v39, v39, v25
	v_cmp_ne_u16_e32 vcc_lo, 0x7fff, v39
	v_cndmask_b32_e32 v39, 0xffff8000, v39, vcc_lo
	s_delay_alu instid0(VALU_DEP_1) | instskip(NEXT) | instid1(VALU_DEP_1)
	v_and_b32_e32 v39, 0xffff, v39
	v_lshrrev_b32_e32 v39, s49, v39
	s_delay_alu instid0(VALU_DEP_1) | instskip(NEXT) | instid1(VALU_DEP_1)
	v_and_b32_e32 v39, s52, v39
	v_lshl_or_b32 v39, v39, 4, v83
	ds_add_u32 v39, v96
	s_or_b32 exec_lo, exec_lo, s9
	s_delay_alu instid0(SALU_CYCLE_1)
	s_mov_b32 s9, exec_lo
	v_cmpx_gt_u32_e64 s8, v81
	s_cbranch_execz .LBB1833_930
.LBB1833_945:                           ;   in Loop: Header=BB1833_894 Depth=2
	v_cmp_lt_i16_e32 vcc_lo, -1, v24
	v_cndmask_b32_e64 v39, -1, 0xffff8000, vcc_lo
	s_delay_alu instid0(VALU_DEP_1) | instskip(NEXT) | instid1(VALU_DEP_1)
	v_xor_b32_e32 v39, v39, v24
	v_cmp_ne_u16_e32 vcc_lo, 0x7fff, v39
	v_cndmask_b32_e32 v39, 0xffff8000, v39, vcc_lo
	s_delay_alu instid0(VALU_DEP_1) | instskip(NEXT) | instid1(VALU_DEP_1)
	v_and_b32_e32 v39, 0xffff, v39
	v_lshrrev_b32_e32 v39, s49, v39
	s_delay_alu instid0(VALU_DEP_1) | instskip(NEXT) | instid1(VALU_DEP_1)
	v_and_b32_e32 v39, s52, v39
	v_lshl_or_b32 v39, v39, 4, v83
	ds_add_u32 v39, v96
	s_or_b32 exec_lo, exec_lo, s9
	v_cmp_gt_u32_e32 vcc_lo, s8, v82
	s_and_saveexec_b32 s8, vcc_lo
	s_cbranch_execz .LBB1833_893
.LBB1833_946:                           ;   in Loop: Header=BB1833_894 Depth=2
	v_cmp_lt_i16_e32 vcc_lo, -1, v23
	v_cndmask_b32_e64 v39, -1, 0xffff8000, vcc_lo
	s_delay_alu instid0(VALU_DEP_1) | instskip(NEXT) | instid1(VALU_DEP_1)
	v_xor_b32_e32 v39, v39, v23
	v_cmp_ne_u16_e32 vcc_lo, 0x7fff, v39
	v_cndmask_b32_e32 v39, 0xffff8000, v39, vcc_lo
	s_delay_alu instid0(VALU_DEP_1) | instskip(NEXT) | instid1(VALU_DEP_1)
	v_and_b32_e32 v39, 0xffff, v39
	v_lshrrev_b32_e32 v39, s49, v39
	s_delay_alu instid0(VALU_DEP_1) | instskip(NEXT) | instid1(VALU_DEP_1)
	v_and_b32_e32 v39, s52, v39
	v_lshl_or_b32 v39, v39, 4, v83
	ds_add_u32 v39, v96
	s_branch .LBB1833_893
.LBB1833_947:                           ;   in Loop: Header=BB1833_894 Depth=2
	global_load_u16 v38, v2, s[8:9] scale_offset
	s_wait_xcnt 0x0
	s_or_b32 exec_lo, exec_lo, s11
	s_delay_alu instid0(SALU_CYCLE_1)
	s_mov_b32 s11, exec_lo
	v_cmpx_gt_u32_e64 s7, v68
	s_cbranch_execz .LBB1833_899
.LBB1833_948:                           ;   in Loop: Header=BB1833_894 Depth=2
	global_load_u16 v37, v2, s[8:9] offset:512 scale_offset
	s_wait_xcnt 0x0
	s_or_b32 exec_lo, exec_lo, s11
	s_delay_alu instid0(SALU_CYCLE_1)
	s_mov_b32 s11, exec_lo
	v_cmpx_gt_u32_e64 s7, v69
	s_cbranch_execz .LBB1833_900
.LBB1833_949:                           ;   in Loop: Header=BB1833_894 Depth=2
	global_load_u16 v36, v2, s[8:9] offset:1024 scale_offset
	s_wait_xcnt 0x0
	s_or_b32 exec_lo, exec_lo, s11
	s_delay_alu instid0(SALU_CYCLE_1)
	s_mov_b32 s11, exec_lo
	v_cmpx_gt_u32_e64 s7, v70
	s_cbranch_execz .LBB1833_901
.LBB1833_950:                           ;   in Loop: Header=BB1833_894 Depth=2
	global_load_u16 v35, v2, s[8:9] offset:1536 scale_offset
	s_wait_xcnt 0x0
	s_or_b32 exec_lo, exec_lo, s11
	s_delay_alu instid0(SALU_CYCLE_1)
	s_mov_b32 s11, exec_lo
	v_cmpx_gt_u32_e64 s7, v71
	s_cbranch_execz .LBB1833_902
.LBB1833_951:                           ;   in Loop: Header=BB1833_894 Depth=2
	global_load_u16 v34, v2, s[8:9] offset:2048 scale_offset
	s_wait_xcnt 0x0
	s_or_b32 exec_lo, exec_lo, s11
	s_delay_alu instid0(SALU_CYCLE_1)
	s_mov_b32 s11, exec_lo
	v_cmpx_gt_u32_e64 s7, v72
	s_cbranch_execz .LBB1833_903
.LBB1833_952:                           ;   in Loop: Header=BB1833_894 Depth=2
	global_load_u16 v33, v2, s[8:9] offset:2560 scale_offset
	s_wait_xcnt 0x0
	s_or_b32 exec_lo, exec_lo, s11
	s_delay_alu instid0(SALU_CYCLE_1)
	s_mov_b32 s11, exec_lo
	v_cmpx_gt_u32_e64 s7, v73
	s_cbranch_execz .LBB1833_904
.LBB1833_953:                           ;   in Loop: Header=BB1833_894 Depth=2
	global_load_u16 v32, v2, s[8:9] offset:3072 scale_offset
	s_wait_xcnt 0x0
	s_or_b32 exec_lo, exec_lo, s11
	s_delay_alu instid0(SALU_CYCLE_1)
	s_mov_b32 s11, exec_lo
	v_cmpx_gt_u32_e64 s7, v74
	s_cbranch_execz .LBB1833_905
.LBB1833_954:                           ;   in Loop: Header=BB1833_894 Depth=2
	global_load_u16 v31, v2, s[8:9] offset:3584 scale_offset
	s_wait_xcnt 0x0
	s_or_b32 exec_lo, exec_lo, s11
	s_delay_alu instid0(SALU_CYCLE_1)
	s_mov_b32 s11, exec_lo
	v_cmpx_gt_u32_e64 s7, v75
	s_cbranch_execz .LBB1833_906
.LBB1833_955:                           ;   in Loop: Header=BB1833_894 Depth=2
	global_load_u16 v30, v2, s[8:9] offset:4096 scale_offset
	s_wait_xcnt 0x0
	s_or_b32 exec_lo, exec_lo, s11
	s_delay_alu instid0(SALU_CYCLE_1)
	s_mov_b32 s11, exec_lo
	v_cmpx_gt_u32_e64 s7, v76
	s_cbranch_execz .LBB1833_907
.LBB1833_956:                           ;   in Loop: Header=BB1833_894 Depth=2
	global_load_u16 v29, v2, s[8:9] offset:4608 scale_offset
	s_wait_xcnt 0x0
	s_or_b32 exec_lo, exec_lo, s11
	s_delay_alu instid0(SALU_CYCLE_1)
	s_mov_b32 s11, exec_lo
	v_cmpx_gt_u32_e64 s7, v77
	s_cbranch_execz .LBB1833_908
.LBB1833_957:                           ;   in Loop: Header=BB1833_894 Depth=2
	global_load_u16 v28, v2, s[8:9] offset:5120 scale_offset
	s_wait_xcnt 0x0
	s_or_b32 exec_lo, exec_lo, s11
	s_delay_alu instid0(SALU_CYCLE_1)
	s_mov_b32 s11, exec_lo
	v_cmpx_gt_u32_e64 s7, v78
	s_cbranch_execz .LBB1833_909
.LBB1833_958:                           ;   in Loop: Header=BB1833_894 Depth=2
	global_load_u16 v27, v2, s[8:9] offset:5632 scale_offset
	s_wait_xcnt 0x0
	s_or_b32 exec_lo, exec_lo, s11
	s_delay_alu instid0(SALU_CYCLE_1)
	s_mov_b32 s11, exec_lo
	v_cmpx_gt_u32_e64 s7, v79
	s_cbranch_execz .LBB1833_910
.LBB1833_959:                           ;   in Loop: Header=BB1833_894 Depth=2
	global_load_u16 v26, v2, s[8:9] offset:6144 scale_offset
	s_wait_xcnt 0x0
	s_or_b32 exec_lo, exec_lo, s11
	s_delay_alu instid0(SALU_CYCLE_1)
	s_mov_b32 s11, exec_lo
	v_cmpx_gt_u32_e64 s7, v80
	s_cbranch_execz .LBB1833_911
.LBB1833_960:                           ;   in Loop: Header=BB1833_894 Depth=2
	global_load_u16 v25, v2, s[8:9] offset:6656 scale_offset
	s_wait_xcnt 0x0
	s_or_b32 exec_lo, exec_lo, s11
	s_delay_alu instid0(SALU_CYCLE_1)
	s_mov_b32 s11, exec_lo
	v_cmpx_gt_u32_e64 s7, v81
	s_cbranch_execz .LBB1833_912
.LBB1833_961:                           ;   in Loop: Header=BB1833_894 Depth=2
	global_load_u16 v24, v2, s[8:9] offset:7168 scale_offset
	s_wait_xcnt 0x0
	s_or_b32 exec_lo, exec_lo, s11
	s_delay_alu instid0(SALU_CYCLE_1)
	s_mov_b32 s11, exec_lo
	v_cmpx_gt_u32_e64 s7, v82
	s_cbranch_execnz .LBB1833_913
	s_branch .LBB1833_914
.LBB1833_962:                           ;   in Loop: Header=BB1833_12 Depth=1
	v_mov_b32_e32 v23, 0
	s_wait_dscnt 0x0
	s_barrier_signal -1
	s_barrier_wait -1
	s_and_saveexec_b32 s7, s0
	s_cbranch_execz .LBB1833_964
; %bb.963:                              ;   in Loop: Header=BB1833_12 Depth=1
	ds_load_2addr_b64 v[24:27], v85 offset1:1
	s_wait_dscnt 0x0
	v_add_nc_u32_e32 v23, v25, v24
	s_delay_alu instid0(VALU_DEP_1)
	v_add3_u32 v23, v23, v26, v27
.LBB1833_964:                           ;   in Loop: Header=BB1833_12 Depth=1
	s_or_b32 exec_lo, exec_lo, s7
	s_delay_alu instid0(VALU_DEP_1)
	v_mov_b32_dpp v24, v23 row_shr:1 row_mask:0xf bank_mask:0xf
	v_cmp_eq_u32_e64 s7, 0, v97
	v_cmp_lt_u32_e64 s8, 1, v97
	v_cmp_lt_u32_e64 s9, 3, v97
	;; [unrolled: 1-line block ×3, first 2 shown]
	v_cmp_eq_u32_e64 s11, 0, v99
	v_cndmask_b32_e64 v24, v24, 0, s7
	s_delay_alu instid0(VALU_DEP_1) | instskip(NEXT) | instid1(VALU_DEP_1)
	v_add_nc_u32_e32 v23, v24, v23
	v_mov_b32_dpp v24, v23 row_shr:2 row_mask:0xf bank_mask:0xf
	s_delay_alu instid0(VALU_DEP_1) | instskip(NEXT) | instid1(VALU_DEP_1)
	v_cndmask_b32_e64 v24, 0, v24, s8
	v_add_nc_u32_e32 v23, v23, v24
	s_delay_alu instid0(VALU_DEP_1) | instskip(NEXT) | instid1(VALU_DEP_1)
	v_mov_b32_dpp v24, v23 row_shr:4 row_mask:0xf bank_mask:0xf
	v_cndmask_b32_e64 v24, 0, v24, s9
	s_delay_alu instid0(VALU_DEP_1) | instskip(NEXT) | instid1(VALU_DEP_1)
	v_add_nc_u32_e32 v23, v23, v24
	v_mov_b32_dpp v24, v23 row_shr:8 row_mask:0xf bank_mask:0xf
	s_delay_alu instid0(VALU_DEP_1) | instskip(NEXT) | instid1(VALU_DEP_1)
	v_cndmask_b32_e64 v24, 0, v24, s10
	v_add_nc_u32_e32 v23, v23, v24
	ds_swizzle_b32 v24, v23 offset:swizzle(BROADCAST,32,15)
	s_wait_dscnt 0x0
	v_and_b32_e32 v24, v98, v24
	s_delay_alu instid0(VALU_DEP_1)
	v_add_nc_u32_e32 v23, v23, v24
	s_and_saveexec_b32 s12, s1
; %bb.965:                              ;   in Loop: Header=BB1833_12 Depth=1
	ds_store_b32 v86, v23
; %bb.966:                              ;   in Loop: Header=BB1833_12 Depth=1
	s_or_b32 exec_lo, exec_lo, s12
	s_wait_dscnt 0x0
	s_barrier_signal -1
	s_barrier_wait -1
	s_and_saveexec_b32 s12, s4
	s_cbranch_execz .LBB1833_968
; %bb.967:                              ;   in Loop: Header=BB1833_12 Depth=1
	ds_load_b32 v24, v87
	v_cmp_ne_u32_e32 vcc_lo, 0, v101
	s_wait_dscnt 0x0
	v_mov_b32_dpp v25, v24 row_shr:1 row_mask:0xf bank_mask:0xf
	s_delay_alu instid0(VALU_DEP_1) | instskip(SKIP_1) | instid1(VALU_DEP_2)
	v_cndmask_b32_e32 v25, 0, v25, vcc_lo
	v_cmp_lt_u32_e32 vcc_lo, 1, v101
	v_add_nc_u32_e32 v24, v25, v24
	s_delay_alu instid0(VALU_DEP_1) | instskip(NEXT) | instid1(VALU_DEP_1)
	v_mov_b32_dpp v25, v24 row_shr:2 row_mask:0xf bank_mask:0xf
	v_cndmask_b32_e32 v25, 0, v25, vcc_lo
	v_cmp_lt_u32_e32 vcc_lo, 3, v101
	s_delay_alu instid0(VALU_DEP_2) | instskip(NEXT) | instid1(VALU_DEP_1)
	v_add_nc_u32_e32 v24, v24, v25
	v_mov_b32_dpp v25, v24 row_shr:4 row_mask:0xf bank_mask:0xf
	s_delay_alu instid0(VALU_DEP_1) | instskip(NEXT) | instid1(VALU_DEP_1)
	v_cndmask_b32_e32 v25, 0, v25, vcc_lo
	v_add_nc_u32_e32 v24, v24, v25
	ds_store_b32 v87, v24
.LBB1833_968:                           ;   in Loop: Header=BB1833_12 Depth=1
	s_or_b32 exec_lo, exec_lo, s12
	v_mov_b32_e32 v24, 0
	s_wait_dscnt 0x0
	s_barrier_signal -1
	s_barrier_wait -1
	s_and_saveexec_b32 s12, s5
; %bb.969:                              ;   in Loop: Header=BB1833_12 Depth=1
	ds_load_b32 v24, v88
; %bb.970:                              ;   in Loop: Header=BB1833_12 Depth=1
	s_or_b32 exec_lo, exec_lo, s12
	v_cmp_gt_i32_e32 vcc_lo, 0, v102
	s_wait_dscnt 0x0
	s_barrier_signal -1
	s_barrier_wait -1
	v_cndmask_b32_e32 v25, v102, v95, vcc_lo
	s_delay_alu instid0(VALU_DEP_1)
	v_dual_add_nc_u32 v23, v24, v23 :: v_dual_lshlrev_b32 v122, 2, v25
	ds_bpermute_b32 v23, v122, v23
	s_and_saveexec_b32 s12, s0
	s_cbranch_execz .LBB1833_972
; %bb.971:                              ;   in Loop: Header=BB1833_12 Depth=1
	s_wait_dscnt 0x0
	v_cndmask_b32_e64 v23, v23, v24, s6
	s_delay_alu instid0(VALU_DEP_1)
	v_add_nc_u32_e32 v23, s54, v23
	ds_store_b32 v3, v23
.LBB1833_972:                           ;   in Loop: Header=BB1833_12 Depth=1
	s_or_b32 exec_lo, exec_lo, s12
	s_load_b64 s[12:13], s[34:35], 0x0
	s_mov_b32 s53, s56
                                        ; implicit-def: $vgpr30_vgpr31
                                        ; implicit-def: $vgpr32_vgpr33
                                        ; implicit-def: $vgpr34_vgpr35
                                        ; implicit-def: $vgpr36_vgpr37
                                        ; implicit-def: $vgpr38_vgpr39
                                        ; implicit-def: $vgpr40_vgpr41
                                        ; implicit-def: $vgpr42_vgpr43
                                        ; implicit-def: $vgpr44_vgpr45
                                        ; implicit-def: $vgpr46_vgpr47
                                        ; implicit-def: $vgpr48_vgpr49
                                        ; implicit-def: $vgpr50_vgpr51
                                        ; implicit-def: $vgpr52_vgpr53
                                        ; implicit-def: $vgpr54_vgpr55
                                        ; implicit-def: $vgpr56_vgpr57
                                        ; implicit-def: $vgpr58_vgpr59
                                        ; implicit-def: $vgpr123
                                        ; implicit-def: $vgpr124
                                        ; implicit-def: $vgpr125
                                        ; implicit-def: $vgpr126
                                        ; implicit-def: $vgpr127
                                        ; implicit-def: $vgpr128
                                        ; implicit-def: $vgpr129
                                        ; implicit-def: $vgpr130
                                        ; implicit-def: $vgpr131
                                        ; implicit-def: $vgpr132
                                        ; implicit-def: $vgpr133
                                        ; implicit-def: $vgpr134
                                        ; implicit-def: $vgpr135
                                        ; implicit-def: $vgpr136
                                        ; implicit-def: $vgpr137
                                        ; implicit-def: $vgpr138
	s_wait_kmcnt 0x0
	s_cmp_lt_u32 s33, s12
	s_cselect_b32 s42, 12, 18
	s_cmp_lt_u32 s31, s13
	s_mov_b32 s13, s43
	s_cselect_b32 s12, 14, 20
	s_delay_alu instid0(SALU_CYCLE_1)
	s_add_nc_u64 s[12:13], s[34:35], s[12:13]
	s_load_u16 s14, s[12:13], 0x0
	s_wait_xcnt 0x0
	s_add_nc_u64 s[12:13], s[34:35], s[42:43]
	s_mov_b32 s42, s54
	s_load_u16 s12, s[12:13], 0x0
	s_wait_xcnt 0x0
	v_cmp_lt_u32_e64 s13, 1, v101
	s_wait_dscnt 0x0
	s_wait_kmcnt 0x0
	v_mad_u32_u24 v23, v89, s14, v90
	v_cmp_lt_u32_e64 s14, 3, v101
	s_delay_alu instid0(VALU_DEP_2) | instskip(SKIP_2) | instid1(VALU_DEP_3)
	v_mad_u32 v24, v23, s12, v2
	v_mov_b32_e32 v23, v5
	v_cmp_eq_u32_e64 s12, 0, v101
	v_lshrrev_b32_e32 v28, 3, v24
	v_add_nc_u64_e32 v[24:25], v[18:19], v[4:5]
	s_delay_alu instid0(VALU_DEP_4) | instskip(NEXT) | instid1(VALU_DEP_3)
	v_add_nc_u64_e32 v[26:27], v[20:21], v[22:23]
	v_and_b32_e32 v23, 0x1ffffffc, v28
                                        ; implicit-def: $vgpr28_vgpr29
	s_branch .LBB1833_974
.LBB1833_973:                           ;   in Loop: Header=BB1833_974 Depth=2
	s_or_b32 exec_lo, exec_lo, s15
	s_addk_co_i32 s53, 0xf000
	s_cmp_lt_u32 s57, s51
	s_mov_b32 s42, s57
	s_cbranch_scc0 .LBB1833_10
.LBB1833_974:                           ;   Parent Loop BB1833_12 Depth=1
                                        ; =>  This Inner Loop Header: Depth=2
	s_add_co_i32 s57, s42, 0x1000
	s_delay_alu instid0(SALU_CYCLE_1)
	s_cmp_gt_u32 s57, s51
	s_cbranch_scc1 .LBB1833_976
; %bb.975:                              ;   in Loop: Header=BB1833_974 Depth=2
	s_delay_alu instid0(VALU_DEP_2)
	v_lshl_add_u64 v[60:61], s[42:43], 1, v[26:27]
	s_mov_b32 s15, -1
	s_clause 0xe
	global_load_u16 v140, v[60:61], off
	global_load_u16 v141, v[60:61], off offset:64
	global_load_u16 v144, v[60:61], off offset:128
	global_load_u16 v148, v[60:61], off offset:192
	global_load_u16 v152, v[60:61], off offset:256
	global_load_u16 v156, v[60:61], off offset:320
	global_load_u16 v160, v[60:61], off offset:384
	global_load_u16 v164, v[60:61], off offset:448
	global_load_u16 v168, v[60:61], off offset:512
	global_load_u16 v67, v[60:61], off offset:576
	global_load_u16 v66, v[60:61], off offset:640
	global_load_u16 v65, v[60:61], off offset:704
	global_load_u16 v64, v[60:61], off offset:768
	global_load_u16 v63, v[60:61], off offset:832
	global_load_u16 v62, v[60:61], off offset:896
	s_movk_i32 s16, 0x1000
	s_cbranch_execz .LBB1833_977
	s_branch .LBB1833_1008
.LBB1833_976:                           ;   in Loop: Header=BB1833_974 Depth=2
	s_mov_b32 s15, 0
                                        ; implicit-def: $vgpr140
                                        ; implicit-def: $vgpr141
                                        ; implicit-def: $vgpr144
                                        ; implicit-def: $vgpr148
                                        ; implicit-def: $vgpr152
                                        ; implicit-def: $vgpr156
                                        ; implicit-def: $vgpr160
                                        ; implicit-def: $vgpr164
                                        ; implicit-def: $vgpr168
                                        ; implicit-def: $vgpr67
                                        ; implicit-def: $vgpr66
                                        ; implicit-def: $vgpr65
                                        ; implicit-def: $vgpr64
                                        ; implicit-def: $vgpr63
                                        ; implicit-def: $vgpr62
	s_movk_i32 s16, 0x1000
.LBB1833_977:                           ;   in Loop: Header=BB1833_974 Depth=2
	s_wait_xcnt 0x0
	v_lshl_add_u64 v[60:61], s[42:43], 1, v[26:27]
	s_wait_loadcnt 0xd
	v_dual_mov_b32 v141, 0x7fff :: v_dual_mov_b32 v140, 0x7fff
	s_mov_b32 s15, exec_lo
	v_cmpx_gt_u32_e64 s53, v100
	s_cbranch_execz .LBB1833_979
; %bb.978:                              ;   in Loop: Header=BB1833_974 Depth=2
	global_load_u16 v140, v[60:61], off
.LBB1833_979:                           ;   in Loop: Header=BB1833_974 Depth=2
	s_wait_xcnt 0x0
	s_or_b32 exec_lo, exec_lo, s15
	s_delay_alu instid0(SALU_CYCLE_1)
	s_mov_b32 s15, exec_lo
	v_cmpx_gt_u32_e64 s53, v103
	s_cbranch_execz .LBB1833_981
; %bb.980:                              ;   in Loop: Header=BB1833_974 Depth=2
	global_load_u16 v141, v[60:61], off offset:64
.LBB1833_981:                           ;   in Loop: Header=BB1833_974 Depth=2
	s_wait_xcnt 0x0
	s_or_b32 exec_lo, exec_lo, s15
	s_wait_loadcnt 0xb
	v_mov_b32_e32 v148, 0x7fff
	v_mov_b32_e32 v144, 0x7fff
	s_mov_b32 s15, exec_lo
	v_cmpx_gt_u32_e64 s53, v104
	s_cbranch_execz .LBB1833_983
; %bb.982:                              ;   in Loop: Header=BB1833_974 Depth=2
	global_load_u16 v144, v[60:61], off offset:128
.LBB1833_983:                           ;   in Loop: Header=BB1833_974 Depth=2
	s_wait_xcnt 0x0
	s_or_b32 exec_lo, exec_lo, s15
	s_delay_alu instid0(SALU_CYCLE_1)
	s_mov_b32 s15, exec_lo
	v_cmpx_gt_u32_e64 s53, v105
	s_cbranch_execz .LBB1833_985
; %bb.984:                              ;   in Loop: Header=BB1833_974 Depth=2
	global_load_u16 v148, v[60:61], off offset:192
.LBB1833_985:                           ;   in Loop: Header=BB1833_974 Depth=2
	s_wait_xcnt 0x0
	s_or_b32 exec_lo, exec_lo, s15
	s_wait_loadcnt 0x9
	v_mov_b32_e32 v156, 0x7fff
	v_mov_b32_e32 v152, 0x7fff
	s_mov_b32 s15, exec_lo
	v_cmpx_gt_u32_e64 s53, v106
	s_cbranch_execz .LBB1833_987
; %bb.986:                              ;   in Loop: Header=BB1833_974 Depth=2
	global_load_u16 v152, v[60:61], off offset:256
.LBB1833_987:                           ;   in Loop: Header=BB1833_974 Depth=2
	;; [unrolled: 20-line block ×3, first 2 shown]
	s_wait_xcnt 0x0
	s_or_b32 exec_lo, exec_lo, s15
	s_delay_alu instid0(SALU_CYCLE_1)
	s_mov_b32 s15, exec_lo
	v_cmpx_gt_u32_e64 s53, v109
	s_cbranch_execz .LBB1833_993
; %bb.992:                              ;   in Loop: Header=BB1833_974 Depth=2
	global_load_u16 v164, v[60:61], off offset:448
.LBB1833_993:                           ;   in Loop: Header=BB1833_974 Depth=2
	s_wait_xcnt 0x0
	s_or_b32 exec_lo, exec_lo, s15
	s_wait_loadcnt 0x5
	v_dual_mov_b32 v67, 0x7fff :: v_dual_mov_b32 v168, 0x7fff
	s_mov_b32 s15, exec_lo
	v_cmpx_gt_u32_e64 s53, v110
	s_cbranch_execz .LBB1833_995
; %bb.994:                              ;   in Loop: Header=BB1833_974 Depth=2
	global_load_u16 v168, v[60:61], off offset:512
.LBB1833_995:                           ;   in Loop: Header=BB1833_974 Depth=2
	s_wait_xcnt 0x0
	s_or_b32 exec_lo, exec_lo, s15
	s_delay_alu instid0(SALU_CYCLE_1)
	s_mov_b32 s15, exec_lo
	v_cmpx_gt_u32_e64 s53, v111
	s_cbranch_execz .LBB1833_997
; %bb.996:                              ;   in Loop: Header=BB1833_974 Depth=2
	global_load_u16 v67, v[60:61], off offset:576
.LBB1833_997:                           ;   in Loop: Header=BB1833_974 Depth=2
	s_wait_xcnt 0x0
	s_or_b32 exec_lo, exec_lo, s15
	s_wait_loadcnt 0x3
	v_dual_mov_b32 v65, 0x7fff :: v_dual_mov_b32 v66, 0x7fff
	s_mov_b32 s15, exec_lo
	v_cmpx_gt_u32_e64 s53, v112
	s_cbranch_execz .LBB1833_999
; %bb.998:                              ;   in Loop: Header=BB1833_974 Depth=2
	global_load_u16 v66, v[60:61], off offset:640
.LBB1833_999:                           ;   in Loop: Header=BB1833_974 Depth=2
	s_wait_xcnt 0x0
	s_or_b32 exec_lo, exec_lo, s15
	s_delay_alu instid0(SALU_CYCLE_1)
	s_mov_b32 s15, exec_lo
	v_cmpx_gt_u32_e64 s53, v113
	s_cbranch_execz .LBB1833_1001
; %bb.1000:                             ;   in Loop: Header=BB1833_974 Depth=2
	global_load_u16 v65, v[60:61], off offset:704
.LBB1833_1001:                          ;   in Loop: Header=BB1833_974 Depth=2
	s_wait_xcnt 0x0
	s_or_b32 exec_lo, exec_lo, s15
	s_wait_loadcnt 0x1
	v_dual_mov_b32 v63, 0x7fff :: v_dual_mov_b32 v64, 0x7fff
	s_mov_b32 s15, exec_lo
	v_cmpx_gt_u32_e64 s53, v114
	s_cbranch_execz .LBB1833_1003
; %bb.1002:                             ;   in Loop: Header=BB1833_974 Depth=2
	global_load_u16 v64, v[60:61], off offset:768
.LBB1833_1003:                          ;   in Loop: Header=BB1833_974 Depth=2
	s_wait_xcnt 0x0
	s_or_b32 exec_lo, exec_lo, s15
	s_delay_alu instid0(SALU_CYCLE_1)
	s_mov_b32 s15, exec_lo
	v_cmpx_gt_u32_e64 s53, v115
	s_cbranch_execz .LBB1833_1005
; %bb.1004:                             ;   in Loop: Header=BB1833_974 Depth=2
	global_load_u16 v63, v[60:61], off offset:832
.LBB1833_1005:                          ;   in Loop: Header=BB1833_974 Depth=2
	s_wait_xcnt 0x0
	s_or_b32 exec_lo, exec_lo, s15
	s_wait_loadcnt 0x0
	v_mov_b32_e32 v62, 0x7fff
	s_mov_b32 s15, exec_lo
	v_cmpx_gt_u32_e64 s53, v116
	s_cbranch_execz .LBB1833_1007
; %bb.1006:                             ;   in Loop: Header=BB1833_974 Depth=2
	global_load_u16 v62, v[60:61], off offset:896
.LBB1833_1007:                          ;   in Loop: Header=BB1833_974 Depth=2
	s_wait_xcnt 0x0
	s_or_b32 exec_lo, exec_lo, s15
	v_cmp_gt_u32_e64 s15, s53, v117
	s_sub_co_i32 s16, s51, s42
.LBB1833_1008:                          ;   in Loop: Header=BB1833_974 Depth=2
	s_wait_xcnt 0x0
	v_dual_mov_b32 v60, 0x7fff :: v_dual_mov_b32 v139, s53
	s_and_saveexec_b32 s17, s15
	s_cbranch_execz .LBB1833_1010
; %bb.1009:                             ;   in Loop: Header=BB1833_974 Depth=2
	v_lshl_add_u64 v[60:61], s[42:43], 1, v[26:27]
	v_mov_b32_e32 v139, s16
	global_load_u16 v60, v[60:61], off offset:960
.LBB1833_1010:                          ;   in Loop: Header=BB1833_974 Depth=2
	s_wait_xcnt 0x0
	s_or_b32 exec_lo, exec_lo, s17
	s_wait_loadcnt 0xe
	v_cmp_lt_i16_e64 vcc_lo, -1, v140
	ds_store_2addr_b32 v121, v5, v5 offset1:1
	ds_store_2addr_b32 v118, v5, v5 offset1:1
	;; [unrolled: 1-line block ×4, first 2 shown]
	ds_store_b32 v91, v5 offset:1088
	s_wait_loadcnt_dscnt 0x0
	s_barrier_signal -1
	v_cndmask_b32_e64 v61, -1, 0xffff8000, vcc_lo
	s_barrier_wait -1
	; wave barrier
	s_delay_alu instid0(VALU_DEP_1) | instskip(NEXT) | instid1(VALU_DEP_1)
	v_xor_b32_e32 v140, v61, v140
	v_cmp_ne_u16_e64 vcc_lo, 0x7fff, v140
	v_cndmask_b32_e32 v61, 0xffff8000, v140, vcc_lo
	s_delay_alu instid0(VALU_DEP_1) | instskip(NEXT) | instid1(VALU_DEP_1)
	v_and_b32_e32 v61, 0xffff, v61
	v_lshrrev_b32_e32 v61, s49, v61
	s_delay_alu instid0(VALU_DEP_1) | instskip(SKIP_1) | instid1(VALU_DEP_2)
	v_bitop3_b32 v142, v61, 1, s52 bitop3:0x80
	v_and_b32_e32 v143, s52, v61
	v_add_co_u32 v61, s15, v142, -1
	s_delay_alu instid0(VALU_DEP_1) | instskip(NEXT) | instid1(VALU_DEP_3)
	v_cndmask_b32_e64 v142, 0, 1, s15
	v_lshlrev_b32_e32 v145, 30, v143
	s_delay_alu instid0(VALU_DEP_2) | instskip(NEXT) | instid1(VALU_DEP_2)
	v_cmp_ne_u32_e32 vcc_lo, 0, v142
	v_not_b32_e32 v142, v145
	s_delay_alu instid0(VALU_DEP_1) | instskip(SKIP_3) | instid1(VALU_DEP_4)
	v_dual_ashrrev_i32 v142, 31, v142 :: v_dual_lshlrev_b32 v146, 29, v143
	v_dual_lshlrev_b32 v147, 28, v143 :: v_dual_lshlrev_b32 v149, 27, v143
	v_lshlrev_b32_e32 v150, 26, v143
	v_cmp_gt_i32_e64 s15, 0, v145
	v_cmp_gt_i32_e64 s16, 0, v146
	v_not_b32_e32 v145, v146
	v_not_b32_e32 v146, v147
	v_dual_lshlrev_b32 v151, 25, v143 :: v_dual_lshlrev_b32 v153, 24, v143
	v_cmp_gt_i32_e64 s17, 0, v147
	v_cmp_gt_i32_e64 s18, 0, v149
	v_not_b32_e32 v147, v149
	v_not_b32_e32 v149, v150
	v_dual_ashrrev_i32 v146, 31, v146 :: v_dual_bitop2_b32 v61, vcc_lo, v61 bitop3:0x14
	v_dual_ashrrev_i32 v145, 31, v145 :: v_dual_bitop2_b32 v142, s15, v142 bitop3:0x14
	v_cmp_gt_i32_e64 s19, 0, v150
	v_cmp_gt_i32_e64 s20, 0, v151
	v_not_b32_e32 v150, v151
	v_not_b32_e32 v151, v153
	v_dual_ashrrev_i32 v147, 31, v147 :: v_dual_ashrrev_i32 v149, 31, v149
	v_xor_b32_e32 v145, s16, v145
	v_xor_b32_e32 v146, s17, v146
	v_bitop3_b32 v61, v61, v142, exec_lo bitop3:0x80
	v_cmp_gt_i32_e64 s21, 0, v153
	v_dual_ashrrev_i32 v142, 31, v150 :: v_dual_ashrrev_i32 v150, 31, v151
	v_xor_b32_e32 v147, s18, v147
	s_delay_alu instid0(VALU_DEP_4) | instskip(SKIP_3) | instid1(VALU_DEP_3)
	v_bitop3_b32 v61, v61, v146, v145 bitop3:0x80
	v_mul_u32_u24_e32 v143, 36, v143
	v_xor_b32_e32 v149, s19, v149
	v_xor_b32_e32 v142, s20, v142
	v_dual_add_nc_u32 v143, v23, v143 :: v_dual_bitop2_b32 v145, s21, v150 bitop3:0x14
	s_delay_alu instid0(VALU_DEP_3) | instskip(NEXT) | instid1(VALU_DEP_1)
	v_bitop3_b32 v61, v61, v149, v147 bitop3:0x80
	v_bitop3_b32 v61, v61, v145, v142 bitop3:0x80
	s_delay_alu instid0(VALU_DEP_1) | instskip(SKIP_1) | instid1(VALU_DEP_2)
	v_mbcnt_lo_u32_b32 v142, v61, 0
	v_cmp_ne_u32_e64 s15, 0, v61
	v_cmp_eq_u32_e32 vcc_lo, 0, v142
	s_and_b32 s16, s15, vcc_lo
	s_delay_alu instid0(SALU_CYCLE_1)
	s_and_saveexec_b32 s15, s16
; %bb.1011:                             ;   in Loop: Header=BB1833_974 Depth=2
	v_bcnt_u32_b32 v61, v61, 0
	ds_store_b32 v143, v61 offset:1056
; %bb.1012:                             ;   in Loop: Header=BB1833_974 Depth=2
	s_or_b32 exec_lo, exec_lo, s15
	v_cmp_lt_i16_e64 vcc_lo, -1, v141
	; wave barrier
	s_delay_alu instid0(VALU_DEP_1) | instskip(NEXT) | instid1(VALU_DEP_1)
	v_cndmask_b32_e64 v61, -1, 0xffff8000, vcc_lo
	v_xor_b32_e32 v141, v61, v141
	s_delay_alu instid0(VALU_DEP_1) | instskip(SKIP_1) | instid1(VALU_DEP_1)
	v_cmp_ne_u16_e64 vcc_lo, 0x7fff, v141
	v_cndmask_b32_e32 v61, 0xffff8000, v141, vcc_lo
	v_and_b32_e32 v61, 0xffff, v61
	s_delay_alu instid0(VALU_DEP_1) | instskip(NEXT) | instid1(VALU_DEP_1)
	v_lshrrev_b32_e32 v61, s49, v61
	v_and_b32_e32 v147, s52, v61
	s_delay_alu instid0(VALU_DEP_1) | instskip(SKIP_2) | instid1(VALU_DEP_3)
	v_lshlrev_b32_e32 v149, 29, v147
	v_bitop3_b32 v145, v61, 1, s52 bitop3:0x80
	v_lshlrev_b32_e32 v146, 30, v147
	v_cmp_gt_i32_e64 s16, 0, v149
	s_delay_alu instid0(VALU_DEP_3) | instskip(NEXT) | instid1(VALU_DEP_1)
	v_add_co_u32 v61, s15, v145, -1
	v_cndmask_b32_e64 v145, 0, 1, s15
	s_delay_alu instid0(VALU_DEP_4) | instskip(NEXT) | instid1(VALU_DEP_2)
	v_cmp_gt_i32_e64 s15, 0, v146
	v_cmp_ne_u32_e32 vcc_lo, 0, v145
	v_not_b32_e32 v145, v146
	v_not_b32_e32 v146, v149
	s_delay_alu instid0(VALU_DEP_1) | instskip(SKIP_2) | instid1(VALU_DEP_3)
	v_dual_ashrrev_i32 v146, 31, v146 :: v_dual_lshlrev_b32 v150, 28, v147
	v_dual_lshlrev_b32 v151, 27, v147 :: v_dual_lshlrev_b32 v153, 26, v147
	v_dual_lshlrev_b32 v154, 25, v147 :: v_dual_lshlrev_b32 v155, 24, v147
	v_cmp_gt_i32_e64 s17, 0, v150
	v_not_b32_e32 v149, v150
	s_delay_alu instid0(VALU_DEP_4)
	v_not_b32_e32 v150, v151
	v_ashrrev_i32_e32 v145, 31, v145
	v_cmp_gt_i32_e64 s18, 0, v151
	v_cmp_gt_i32_e64 s19, 0, v153
	v_not_b32_e32 v151, v153
	v_cmp_gt_i32_e64 s20, 0, v154
	v_not_b32_e32 v153, v154
	v_not_b32_e32 v154, v155
	s_delay_alu instid0(VALU_DEP_4) | instskip(SKIP_3) | instid1(VALU_DEP_3)
	v_dual_ashrrev_i32 v151, 31, v151 :: v_dual_bitop2_b32 v61, vcc_lo, v61 bitop3:0x14
	v_dual_ashrrev_i32 v149, 31, v149 :: v_dual_bitop2_b32 v146, s16, v146 bitop3:0x14
	v_dual_ashrrev_i32 v150, 31, v150 :: v_dual_bitop2_b32 v145, s15, v145 bitop3:0x14
	v_cmp_gt_i32_e64 s21, 0, v155
	v_xor_b32_e32 v149, s17, v149
	v_xor_b32_e32 v151, s19, v151
	s_delay_alu instid0(VALU_DEP_4) | instskip(SKIP_2) | instid1(VALU_DEP_2)
	v_xor_b32_e32 v150, s18, v150
	v_bitop3_b32 v61, v61, v145, exec_lo bitop3:0x80
	v_dual_ashrrev_i32 v145, 31, v153 :: v_dual_ashrrev_i32 v153, 31, v154
	v_bitop3_b32 v61, v61, v149, v146 bitop3:0x80
	v_mad_u32_u24 v146, v147, 36, v23
	s_delay_alu instid0(VALU_DEP_3) | instskip(NEXT) | instid1(VALU_DEP_4)
	v_xor_b32_e32 v149, s20, v145
	v_xor_b32_e32 v153, s21, v153
	v_mul_u32_u24_e32 v147, 36, v147
	v_bitop3_b32 v61, v61, v151, v150 bitop3:0x80
	ds_load_b32 v145, v146 offset:1056
	; wave barrier
	v_add_nc_u32_e32 v147, v23, v147
	v_bitop3_b32 v61, v61, v153, v149 bitop3:0x80
	s_delay_alu instid0(VALU_DEP_1) | instskip(SKIP_1) | instid1(VALU_DEP_2)
	v_mbcnt_lo_u32_b32 v146, v61, 0
	v_cmp_ne_u32_e64 s15, 0, v61
	v_cmp_eq_u32_e32 vcc_lo, 0, v146
	s_and_b32 s16, s15, vcc_lo
	s_delay_alu instid0(SALU_CYCLE_1)
	s_and_saveexec_b32 s15, s16
	s_cbranch_execz .LBB1833_1014
; %bb.1013:                             ;   in Loop: Header=BB1833_974 Depth=2
	s_wait_dscnt 0x0
	v_bcnt_u32_b32 v61, v61, v145
	ds_store_b32 v147, v61 offset:1056
.LBB1833_1014:                          ;   in Loop: Header=BB1833_974 Depth=2
	s_or_b32 exec_lo, exec_lo, s15
	v_cmp_lt_i16_e64 vcc_lo, -1, v144
	; wave barrier
	s_delay_alu instid0(VALU_DEP_1) | instskip(NEXT) | instid1(VALU_DEP_1)
	v_cndmask_b32_e64 v61, -1, 0xffff8000, vcc_lo
	v_xor_b32_e32 v144, v61, v144
	s_delay_alu instid0(VALU_DEP_1) | instskip(SKIP_1) | instid1(VALU_DEP_1)
	v_cmp_ne_u16_e64 vcc_lo, 0x7fff, v144
	v_cndmask_b32_e32 v61, 0xffff8000, v144, vcc_lo
	v_and_b32_e32 v61, 0xffff, v61
	s_delay_alu instid0(VALU_DEP_1) | instskip(NEXT) | instid1(VALU_DEP_1)
	v_lshrrev_b32_e32 v61, s49, v61
	v_bitop3_b32 v149, v61, 1, s52 bitop3:0x80
	v_and_b32_e32 v151, s52, v61
	s_delay_alu instid0(VALU_DEP_2) | instskip(NEXT) | instid1(VALU_DEP_1)
	v_add_co_u32 v61, s15, v149, -1
	v_cndmask_b32_e64 v149, 0, 1, s15
	s_delay_alu instid0(VALU_DEP_3) | instskip(NEXT) | instid1(VALU_DEP_2)
	v_dual_lshlrev_b32 v150, 30, v151 :: v_dual_lshlrev_b32 v153, 29, v151
	v_cmp_ne_u32_e32 vcc_lo, 0, v149
	s_delay_alu instid0(VALU_DEP_2) | instskip(SKIP_1) | instid1(VALU_DEP_4)
	v_cmp_gt_i32_e64 s15, 0, v150
	v_not_b32_e32 v149, v150
	v_not_b32_e32 v150, v153
	s_delay_alu instid0(VALU_DEP_1) | instskip(SKIP_3) | instid1(VALU_DEP_4)
	v_dual_ashrrev_i32 v150, 31, v150 :: v_dual_lshlrev_b32 v154, 28, v151
	v_dual_lshlrev_b32 v155, 27, v151 :: v_dual_lshlrev_b32 v157, 26, v151
	v_dual_lshlrev_b32 v158, 25, v151 :: v_dual_lshlrev_b32 v159, 24, v151
	v_cmp_gt_i32_e64 s16, 0, v153
	v_cmp_gt_i32_e64 s17, 0, v154
	v_not_b32_e32 v153, v154
	v_not_b32_e32 v154, v155
	v_ashrrev_i32_e32 v149, 31, v149
	v_cmp_gt_i32_e64 s18, 0, v155
	v_cmp_gt_i32_e64 s19, 0, v157
	v_not_b32_e32 v155, v157
	v_cmp_gt_i32_e64 s20, 0, v158
	v_not_b32_e32 v157, v158
	v_not_b32_e32 v158, v159
	s_delay_alu instid0(VALU_DEP_4) | instskip(SKIP_3) | instid1(VALU_DEP_3)
	v_dual_ashrrev_i32 v155, 31, v155 :: v_dual_bitop2_b32 v61, vcc_lo, v61 bitop3:0x14
	v_dual_ashrrev_i32 v153, 31, v153 :: v_dual_bitop2_b32 v150, s16, v150 bitop3:0x14
	v_dual_ashrrev_i32 v154, 31, v154 :: v_dual_bitop2_b32 v149, s15, v149 bitop3:0x14
	v_cmp_gt_i32_e64 s21, 0, v159
	v_xor_b32_e32 v153, s17, v153
	v_xor_b32_e32 v155, s19, v155
	s_delay_alu instid0(VALU_DEP_4) | instskip(SKIP_2) | instid1(VALU_DEP_2)
	v_xor_b32_e32 v154, s18, v154
	v_bitop3_b32 v61, v61, v149, exec_lo bitop3:0x80
	v_dual_ashrrev_i32 v149, 31, v157 :: v_dual_ashrrev_i32 v157, 31, v158
	v_bitop3_b32 v61, v61, v153, v150 bitop3:0x80
	v_mad_u32_u24 v150, v151, 36, v23
	s_delay_alu instid0(VALU_DEP_3) | instskip(NEXT) | instid1(VALU_DEP_4)
	v_xor_b32_e32 v153, s20, v149
	v_xor_b32_e32 v157, s21, v157
	v_mul_u32_u24_e32 v151, 36, v151
	v_bitop3_b32 v61, v61, v155, v154 bitop3:0x80
	ds_load_b32 v149, v150 offset:1056
	; wave barrier
	v_add_nc_u32_e32 v151, v23, v151
	v_bitop3_b32 v61, v61, v157, v153 bitop3:0x80
	s_delay_alu instid0(VALU_DEP_1) | instskip(SKIP_1) | instid1(VALU_DEP_2)
	v_mbcnt_lo_u32_b32 v150, v61, 0
	v_cmp_ne_u32_e64 s15, 0, v61
	v_cmp_eq_u32_e32 vcc_lo, 0, v150
	s_and_b32 s16, s15, vcc_lo
	s_delay_alu instid0(SALU_CYCLE_1)
	s_and_saveexec_b32 s15, s16
	s_cbranch_execz .LBB1833_1016
; %bb.1015:                             ;   in Loop: Header=BB1833_974 Depth=2
	s_wait_dscnt 0x0
	v_bcnt_u32_b32 v61, v61, v149
	ds_store_b32 v151, v61 offset:1056
.LBB1833_1016:                          ;   in Loop: Header=BB1833_974 Depth=2
	s_or_b32 exec_lo, exec_lo, s15
	v_cmp_lt_i16_e64 vcc_lo, -1, v148
	; wave barrier
	s_delay_alu instid0(VALU_DEP_1) | instskip(NEXT) | instid1(VALU_DEP_1)
	v_cndmask_b32_e64 v61, -1, 0xffff8000, vcc_lo
	v_xor_b32_e32 v148, v61, v148
	s_delay_alu instid0(VALU_DEP_1) | instskip(SKIP_1) | instid1(VALU_DEP_1)
	v_cmp_ne_u16_e64 vcc_lo, 0x7fff, v148
	v_cndmask_b32_e32 v61, 0xffff8000, v148, vcc_lo
	v_and_b32_e32 v61, 0xffff, v61
	s_delay_alu instid0(VALU_DEP_1) | instskip(NEXT) | instid1(VALU_DEP_1)
	v_lshrrev_b32_e32 v61, s49, v61
	v_bitop3_b32 v153, v61, 1, s52 bitop3:0x80
	v_and_b32_e32 v155, s52, v61
	s_delay_alu instid0(VALU_DEP_2) | instskip(NEXT) | instid1(VALU_DEP_1)
	v_add_co_u32 v61, s15, v153, -1
	v_cndmask_b32_e64 v153, 0, 1, s15
	s_delay_alu instid0(VALU_DEP_3) | instskip(NEXT) | instid1(VALU_DEP_2)
	v_dual_lshlrev_b32 v154, 30, v155 :: v_dual_lshlrev_b32 v157, 29, v155
	v_cmp_ne_u32_e32 vcc_lo, 0, v153
	s_delay_alu instid0(VALU_DEP_2) | instskip(SKIP_1) | instid1(VALU_DEP_4)
	v_cmp_gt_i32_e64 s15, 0, v154
	v_not_b32_e32 v153, v154
	v_not_b32_e32 v154, v157
	s_delay_alu instid0(VALU_DEP_1) | instskip(SKIP_3) | instid1(VALU_DEP_4)
	v_dual_ashrrev_i32 v154, 31, v154 :: v_dual_lshlrev_b32 v158, 28, v155
	v_dual_lshlrev_b32 v159, 27, v155 :: v_dual_lshlrev_b32 v161, 26, v155
	v_dual_lshlrev_b32 v162, 25, v155 :: v_dual_lshlrev_b32 v163, 24, v155
	v_cmp_gt_i32_e64 s16, 0, v157
	v_cmp_gt_i32_e64 s17, 0, v158
	v_not_b32_e32 v157, v158
	v_not_b32_e32 v158, v159
	v_ashrrev_i32_e32 v153, 31, v153
	v_cmp_gt_i32_e64 s18, 0, v159
	v_cmp_gt_i32_e64 s19, 0, v161
	v_not_b32_e32 v159, v161
	v_cmp_gt_i32_e64 s20, 0, v162
	v_not_b32_e32 v161, v162
	v_not_b32_e32 v162, v163
	s_delay_alu instid0(VALU_DEP_4) | instskip(SKIP_3) | instid1(VALU_DEP_3)
	v_dual_ashrrev_i32 v159, 31, v159 :: v_dual_bitop2_b32 v61, vcc_lo, v61 bitop3:0x14
	v_dual_ashrrev_i32 v157, 31, v157 :: v_dual_bitop2_b32 v154, s16, v154 bitop3:0x14
	v_dual_ashrrev_i32 v158, 31, v158 :: v_dual_bitop2_b32 v153, s15, v153 bitop3:0x14
	v_cmp_gt_i32_e64 s21, 0, v163
	v_xor_b32_e32 v157, s17, v157
	v_xor_b32_e32 v159, s19, v159
	s_delay_alu instid0(VALU_DEP_4) | instskip(SKIP_2) | instid1(VALU_DEP_2)
	v_xor_b32_e32 v158, s18, v158
	v_bitop3_b32 v61, v61, v153, exec_lo bitop3:0x80
	v_dual_ashrrev_i32 v153, 31, v161 :: v_dual_ashrrev_i32 v161, 31, v162
	v_bitop3_b32 v61, v61, v157, v154 bitop3:0x80
	v_mad_u32_u24 v154, v155, 36, v23
	s_delay_alu instid0(VALU_DEP_3) | instskip(NEXT) | instid1(VALU_DEP_4)
	v_xor_b32_e32 v157, s20, v153
	v_xor_b32_e32 v161, s21, v161
	v_mul_u32_u24_e32 v155, 36, v155
	v_bitop3_b32 v61, v61, v159, v158 bitop3:0x80
	ds_load_b32 v153, v154 offset:1056
	; wave barrier
	v_add_nc_u32_e32 v155, v23, v155
	v_bitop3_b32 v61, v61, v161, v157 bitop3:0x80
	s_delay_alu instid0(VALU_DEP_1) | instskip(SKIP_1) | instid1(VALU_DEP_2)
	v_mbcnt_lo_u32_b32 v154, v61, 0
	v_cmp_ne_u32_e64 s15, 0, v61
	v_cmp_eq_u32_e32 vcc_lo, 0, v154
	s_and_b32 s16, s15, vcc_lo
	s_delay_alu instid0(SALU_CYCLE_1)
	s_and_saveexec_b32 s15, s16
	s_cbranch_execz .LBB1833_1018
; %bb.1017:                             ;   in Loop: Header=BB1833_974 Depth=2
	s_wait_dscnt 0x0
	v_bcnt_u32_b32 v61, v61, v153
	ds_store_b32 v155, v61 offset:1056
.LBB1833_1018:                          ;   in Loop: Header=BB1833_974 Depth=2
	s_or_b32 exec_lo, exec_lo, s15
	v_cmp_lt_i16_e64 vcc_lo, -1, v152
	; wave barrier
	s_delay_alu instid0(VALU_DEP_1) | instskip(NEXT) | instid1(VALU_DEP_1)
	v_cndmask_b32_e64 v61, -1, 0xffff8000, vcc_lo
	v_xor_b32_e32 v152, v61, v152
	s_delay_alu instid0(VALU_DEP_1) | instskip(SKIP_1) | instid1(VALU_DEP_1)
	v_cmp_ne_u16_e64 vcc_lo, 0x7fff, v152
	v_cndmask_b32_e32 v61, 0xffff8000, v152, vcc_lo
	v_and_b32_e32 v61, 0xffff, v61
	s_delay_alu instid0(VALU_DEP_1) | instskip(NEXT) | instid1(VALU_DEP_1)
	v_lshrrev_b32_e32 v61, s49, v61
	v_bitop3_b32 v157, v61, 1, s52 bitop3:0x80
	v_and_b32_e32 v159, s52, v61
	s_delay_alu instid0(VALU_DEP_2) | instskip(NEXT) | instid1(VALU_DEP_1)
	v_add_co_u32 v61, s15, v157, -1
	v_cndmask_b32_e64 v157, 0, 1, s15
	s_delay_alu instid0(VALU_DEP_3) | instskip(NEXT) | instid1(VALU_DEP_2)
	v_dual_lshlrev_b32 v158, 30, v159 :: v_dual_lshlrev_b32 v161, 29, v159
	v_cmp_ne_u32_e32 vcc_lo, 0, v157
	s_delay_alu instid0(VALU_DEP_2) | instskip(SKIP_1) | instid1(VALU_DEP_4)
	v_cmp_gt_i32_e64 s15, 0, v158
	v_not_b32_e32 v157, v158
	v_not_b32_e32 v158, v161
	s_delay_alu instid0(VALU_DEP_1) | instskip(SKIP_3) | instid1(VALU_DEP_4)
	v_dual_ashrrev_i32 v158, 31, v158 :: v_dual_lshlrev_b32 v162, 28, v159
	v_dual_lshlrev_b32 v163, 27, v159 :: v_dual_lshlrev_b32 v165, 26, v159
	v_dual_lshlrev_b32 v166, 25, v159 :: v_dual_lshlrev_b32 v167, 24, v159
	v_cmp_gt_i32_e64 s16, 0, v161
	v_cmp_gt_i32_e64 s17, 0, v162
	v_not_b32_e32 v161, v162
	v_not_b32_e32 v162, v163
	v_ashrrev_i32_e32 v157, 31, v157
	v_cmp_gt_i32_e64 s18, 0, v163
	v_cmp_gt_i32_e64 s19, 0, v165
	v_not_b32_e32 v163, v165
	v_cmp_gt_i32_e64 s20, 0, v166
	v_not_b32_e32 v165, v166
	v_not_b32_e32 v166, v167
	s_delay_alu instid0(VALU_DEP_4) | instskip(SKIP_3) | instid1(VALU_DEP_3)
	v_dual_ashrrev_i32 v163, 31, v163 :: v_dual_bitop2_b32 v61, vcc_lo, v61 bitop3:0x14
	v_dual_ashrrev_i32 v161, 31, v161 :: v_dual_bitop2_b32 v158, s16, v158 bitop3:0x14
	v_dual_ashrrev_i32 v162, 31, v162 :: v_dual_bitop2_b32 v157, s15, v157 bitop3:0x14
	v_cmp_gt_i32_e64 s21, 0, v167
	v_xor_b32_e32 v161, s17, v161
	v_xor_b32_e32 v163, s19, v163
	s_delay_alu instid0(VALU_DEP_4) | instskip(SKIP_2) | instid1(VALU_DEP_2)
	v_xor_b32_e32 v162, s18, v162
	v_bitop3_b32 v61, v61, v157, exec_lo bitop3:0x80
	v_dual_ashrrev_i32 v157, 31, v165 :: v_dual_ashrrev_i32 v165, 31, v166
	v_bitop3_b32 v61, v61, v161, v158 bitop3:0x80
	v_mad_u32_u24 v158, v159, 36, v23
	s_delay_alu instid0(VALU_DEP_3) | instskip(NEXT) | instid1(VALU_DEP_4)
	v_xor_b32_e32 v161, s20, v157
	v_xor_b32_e32 v165, s21, v165
	v_mul_u32_u24_e32 v159, 36, v159
	v_bitop3_b32 v61, v61, v163, v162 bitop3:0x80
	ds_load_b32 v157, v158 offset:1056
	; wave barrier
	v_add_nc_u32_e32 v159, v23, v159
	v_bitop3_b32 v61, v61, v165, v161 bitop3:0x80
	s_delay_alu instid0(VALU_DEP_1) | instskip(SKIP_1) | instid1(VALU_DEP_2)
	v_mbcnt_lo_u32_b32 v158, v61, 0
	v_cmp_ne_u32_e64 s15, 0, v61
	v_cmp_eq_u32_e32 vcc_lo, 0, v158
	s_and_b32 s16, s15, vcc_lo
	s_delay_alu instid0(SALU_CYCLE_1)
	s_and_saveexec_b32 s15, s16
	s_cbranch_execz .LBB1833_1020
; %bb.1019:                             ;   in Loop: Header=BB1833_974 Depth=2
	s_wait_dscnt 0x0
	v_bcnt_u32_b32 v61, v61, v157
	ds_store_b32 v159, v61 offset:1056
.LBB1833_1020:                          ;   in Loop: Header=BB1833_974 Depth=2
	s_or_b32 exec_lo, exec_lo, s15
	v_cmp_lt_i16_e64 vcc_lo, -1, v156
	; wave barrier
	s_delay_alu instid0(VALU_DEP_1) | instskip(NEXT) | instid1(VALU_DEP_1)
	v_cndmask_b32_e64 v61, -1, 0xffff8000, vcc_lo
	v_xor_b32_e32 v156, v61, v156
	s_delay_alu instid0(VALU_DEP_1) | instskip(SKIP_1) | instid1(VALU_DEP_1)
	v_cmp_ne_u16_e64 vcc_lo, 0x7fff, v156
	v_cndmask_b32_e32 v61, 0xffff8000, v156, vcc_lo
	v_and_b32_e32 v61, 0xffff, v61
	s_delay_alu instid0(VALU_DEP_1) | instskip(NEXT) | instid1(VALU_DEP_1)
	v_lshrrev_b32_e32 v61, s49, v61
	v_bitop3_b32 v161, v61, 1, s52 bitop3:0x80
	v_and_b32_e32 v163, s52, v61
	s_delay_alu instid0(VALU_DEP_2) | instskip(NEXT) | instid1(VALU_DEP_1)
	v_add_co_u32 v61, s15, v161, -1
	v_cndmask_b32_e64 v161, 0, 1, s15
	s_delay_alu instid0(VALU_DEP_3) | instskip(NEXT) | instid1(VALU_DEP_2)
	v_dual_lshlrev_b32 v162, 30, v163 :: v_dual_lshlrev_b32 v165, 29, v163
	v_cmp_ne_u32_e32 vcc_lo, 0, v161
	s_delay_alu instid0(VALU_DEP_2) | instskip(SKIP_1) | instid1(VALU_DEP_4)
	v_cmp_gt_i32_e64 s15, 0, v162
	v_not_b32_e32 v161, v162
	v_not_b32_e32 v162, v165
	s_delay_alu instid0(VALU_DEP_1) | instskip(SKIP_3) | instid1(VALU_DEP_4)
	v_dual_ashrrev_i32 v162, 31, v162 :: v_dual_lshlrev_b32 v166, 28, v163
	v_dual_lshlrev_b32 v167, 27, v163 :: v_dual_lshlrev_b32 v169, 26, v163
	v_dual_lshlrev_b32 v170, 25, v163 :: v_dual_lshlrev_b32 v171, 24, v163
	v_cmp_gt_i32_e64 s16, 0, v165
	v_cmp_gt_i32_e64 s17, 0, v166
	v_not_b32_e32 v165, v166
	v_not_b32_e32 v166, v167
	v_ashrrev_i32_e32 v161, 31, v161
	v_cmp_gt_i32_e64 s18, 0, v167
	v_cmp_gt_i32_e64 s19, 0, v169
	v_not_b32_e32 v167, v169
	v_cmp_gt_i32_e64 s20, 0, v170
	v_not_b32_e32 v169, v170
	v_not_b32_e32 v170, v171
	s_delay_alu instid0(VALU_DEP_4) | instskip(SKIP_3) | instid1(VALU_DEP_3)
	v_dual_ashrrev_i32 v167, 31, v167 :: v_dual_bitop2_b32 v61, vcc_lo, v61 bitop3:0x14
	v_dual_ashrrev_i32 v165, 31, v165 :: v_dual_bitop2_b32 v162, s16, v162 bitop3:0x14
	v_dual_ashrrev_i32 v166, 31, v166 :: v_dual_bitop2_b32 v161, s15, v161 bitop3:0x14
	v_cmp_gt_i32_e64 s21, 0, v171
	v_xor_b32_e32 v165, s17, v165
	v_xor_b32_e32 v167, s19, v167
	s_delay_alu instid0(VALU_DEP_4) | instskip(SKIP_2) | instid1(VALU_DEP_2)
	v_xor_b32_e32 v166, s18, v166
	v_bitop3_b32 v61, v61, v161, exec_lo bitop3:0x80
	v_dual_ashrrev_i32 v161, 31, v169 :: v_dual_ashrrev_i32 v169, 31, v170
	v_bitop3_b32 v61, v61, v165, v162 bitop3:0x80
	v_mad_u32_u24 v162, v163, 36, v23
	s_delay_alu instid0(VALU_DEP_3) | instskip(NEXT) | instid1(VALU_DEP_4)
	v_xor_b32_e32 v165, s20, v161
	v_xor_b32_e32 v169, s21, v169
	v_mul_u32_u24_e32 v163, 36, v163
	v_bitop3_b32 v61, v61, v167, v166 bitop3:0x80
	ds_load_b32 v161, v162 offset:1056
	; wave barrier
	v_add_nc_u32_e32 v163, v23, v163
	v_bitop3_b32 v61, v61, v169, v165 bitop3:0x80
	s_delay_alu instid0(VALU_DEP_1) | instskip(SKIP_1) | instid1(VALU_DEP_2)
	v_mbcnt_lo_u32_b32 v162, v61, 0
	v_cmp_ne_u32_e64 s15, 0, v61
	v_cmp_eq_u32_e32 vcc_lo, 0, v162
	s_and_b32 s16, s15, vcc_lo
	s_delay_alu instid0(SALU_CYCLE_1)
	s_and_saveexec_b32 s15, s16
	s_cbranch_execz .LBB1833_1022
; %bb.1021:                             ;   in Loop: Header=BB1833_974 Depth=2
	s_wait_dscnt 0x0
	v_bcnt_u32_b32 v61, v61, v161
	ds_store_b32 v163, v61 offset:1056
.LBB1833_1022:                          ;   in Loop: Header=BB1833_974 Depth=2
	s_or_b32 exec_lo, exec_lo, s15
	v_cmp_lt_i16_e64 vcc_lo, -1, v160
	; wave barrier
	s_delay_alu instid0(VALU_DEP_1) | instskip(NEXT) | instid1(VALU_DEP_1)
	v_cndmask_b32_e64 v61, -1, 0xffff8000, vcc_lo
	v_xor_b32_e32 v160, v61, v160
	s_delay_alu instid0(VALU_DEP_1) | instskip(SKIP_1) | instid1(VALU_DEP_1)
	v_cmp_ne_u16_e64 vcc_lo, 0x7fff, v160
	v_cndmask_b32_e32 v61, 0xffff8000, v160, vcc_lo
	v_and_b32_e32 v61, 0xffff, v61
	s_delay_alu instid0(VALU_DEP_1) | instskip(NEXT) | instid1(VALU_DEP_1)
	v_lshrrev_b32_e32 v61, s49, v61
	v_bitop3_b32 v165, v61, 1, s52 bitop3:0x80
	v_and_b32_e32 v167, s52, v61
	s_delay_alu instid0(VALU_DEP_2) | instskip(NEXT) | instid1(VALU_DEP_1)
	v_add_co_u32 v61, s15, v165, -1
	v_cndmask_b32_e64 v165, 0, 1, s15
	s_delay_alu instid0(VALU_DEP_3) | instskip(NEXT) | instid1(VALU_DEP_2)
	v_dual_lshlrev_b32 v166, 30, v167 :: v_dual_lshlrev_b32 v169, 29, v167
	v_cmp_ne_u32_e32 vcc_lo, 0, v165
	s_delay_alu instid0(VALU_DEP_2) | instskip(SKIP_1) | instid1(VALU_DEP_4)
	v_cmp_gt_i32_e64 s15, 0, v166
	v_not_b32_e32 v165, v166
	v_not_b32_e32 v166, v169
	s_delay_alu instid0(VALU_DEP_1) | instskip(SKIP_3) | instid1(VALU_DEP_4)
	v_dual_ashrrev_i32 v166, 31, v166 :: v_dual_lshlrev_b32 v170, 28, v167
	v_dual_lshlrev_b32 v171, 27, v167 :: v_dual_lshlrev_b32 v172, 26, v167
	v_cmp_gt_i32_e64 s16, 0, v169
	v_dual_lshlrev_b32 v173, 25, v167 :: v_dual_lshlrev_b32 v174, 24, v167
	v_cmp_gt_i32_e64 s17, 0, v170
	v_not_b32_e32 v169, v170
	v_not_b32_e32 v170, v171
	v_ashrrev_i32_e32 v165, 31, v165
	v_cmp_gt_i32_e64 s18, 0, v171
	v_not_b32_e32 v171, v172
	v_xor_b32_e32 v61, vcc_lo, v61
	v_dual_ashrrev_i32 v169, 31, v169 :: v_dual_bitop2_b32 v166, s16, v166 bitop3:0x14
	v_dual_ashrrev_i32 v170, 31, v170 :: v_dual_bitop2_b32 v165, s15, v165 bitop3:0x14
	v_cmp_gt_i32_e64 s19, 0, v172
	v_cmp_gt_i32_e64 s20, 0, v173
	v_not_b32_e32 v172, v173
	v_not_b32_e32 v173, v174
	v_dual_ashrrev_i32 v171, 31, v171 :: v_dual_bitop2_b32 v169, s17, v169 bitop3:0x14
	v_bitop3_b32 v61, v61, v165, exec_lo bitop3:0x80
	v_cmp_gt_i32_e64 s21, 0, v174
	s_delay_alu instid0(VALU_DEP_4)
	v_dual_ashrrev_i32 v165, 31, v172 :: v_dual_ashrrev_i32 v172, 31, v173
	v_xor_b32_e32 v170, s18, v170
	v_xor_b32_e32 v171, s19, v171
	v_bitop3_b32 v61, v61, v169, v166 bitop3:0x80
	v_mad_u32_u24 v166, v167, 36, v23
	v_xor_b32_e32 v169, s20, v165
	v_xor_b32_e32 v172, s21, v172
	v_mul_u32_u24_e32 v167, 36, v167
	v_bitop3_b32 v61, v61, v171, v170 bitop3:0x80
	ds_load_b32 v165, v166 offset:1056
	; wave barrier
	v_add_nc_u32_e32 v167, v23, v167
	v_bitop3_b32 v61, v61, v172, v169 bitop3:0x80
	s_delay_alu instid0(VALU_DEP_1) | instskip(SKIP_1) | instid1(VALU_DEP_2)
	v_mbcnt_lo_u32_b32 v166, v61, 0
	v_cmp_ne_u32_e64 s15, 0, v61
	v_cmp_eq_u32_e32 vcc_lo, 0, v166
	s_and_b32 s16, s15, vcc_lo
	s_delay_alu instid0(SALU_CYCLE_1)
	s_and_saveexec_b32 s15, s16
	s_cbranch_execz .LBB1833_1024
; %bb.1023:                             ;   in Loop: Header=BB1833_974 Depth=2
	s_wait_dscnt 0x0
	v_bcnt_u32_b32 v61, v61, v165
	ds_store_b32 v167, v61 offset:1056
.LBB1833_1024:                          ;   in Loop: Header=BB1833_974 Depth=2
	s_or_b32 exec_lo, exec_lo, s15
	v_cmp_lt_i16_e64 vcc_lo, -1, v164
	; wave barrier
	s_delay_alu instid0(VALU_DEP_1) | instskip(NEXT) | instid1(VALU_DEP_1)
	v_cndmask_b32_e64 v61, -1, 0xffff8000, vcc_lo
	v_xor_b32_e32 v164, v61, v164
	s_delay_alu instid0(VALU_DEP_1) | instskip(SKIP_1) | instid1(VALU_DEP_1)
	v_cmp_ne_u16_e64 vcc_lo, 0x7fff, v164
	v_cndmask_b32_e32 v61, 0xffff8000, v164, vcc_lo
	v_and_b32_e32 v61, 0xffff, v61
	s_delay_alu instid0(VALU_DEP_1) | instskip(NEXT) | instid1(VALU_DEP_1)
	v_lshrrev_b32_e32 v61, s49, v61
	v_bitop3_b32 v169, v61, 1, s52 bitop3:0x80
	v_and_b32_e32 v171, s52, v61
	s_delay_alu instid0(VALU_DEP_2) | instskip(NEXT) | instid1(VALU_DEP_1)
	v_add_co_u32 v61, s15, v169, -1
	v_cndmask_b32_e64 v169, 0, 1, s15
	s_delay_alu instid0(VALU_DEP_3) | instskip(NEXT) | instid1(VALU_DEP_2)
	v_dual_lshlrev_b32 v170, 30, v171 :: v_dual_lshlrev_b32 v172, 29, v171
	v_cmp_ne_u32_e32 vcc_lo, 0, v169
	s_delay_alu instid0(VALU_DEP_2) | instskip(SKIP_1) | instid1(VALU_DEP_4)
	v_cmp_gt_i32_e64 s15, 0, v170
	v_not_b32_e32 v169, v170
	v_not_b32_e32 v170, v172
	s_delay_alu instid0(VALU_DEP_1) | instskip(SKIP_3) | instid1(VALU_DEP_4)
	v_dual_ashrrev_i32 v170, 31, v170 :: v_dual_lshlrev_b32 v173, 28, v171
	v_dual_lshlrev_b32 v174, 27, v171 :: v_dual_lshlrev_b32 v175, 26, v171
	v_dual_lshlrev_b32 v176, 25, v171 :: v_dual_lshlrev_b32 v177, 24, v171
	v_cmp_gt_i32_e64 s16, 0, v172
	v_not_b32_e32 v172, v173
	v_ashrrev_i32_e32 v169, 31, v169
	v_cmp_gt_i32_e64 s17, 0, v173
	v_cmp_gt_i32_e64 s18, 0, v174
	v_not_b32_e32 v173, v174
	v_cmp_gt_i32_e64 s19, 0, v175
	v_not_b32_e32 v174, v175
	;; [unrolled: 2-line block ×3, first 2 shown]
	v_not_b32_e32 v176, v177
	s_delay_alu instid0(VALU_DEP_4) | instskip(SKIP_3) | instid1(VALU_DEP_3)
	v_dual_ashrrev_i32 v174, 31, v174 :: v_dual_bitop2_b32 v61, vcc_lo, v61 bitop3:0x14
	v_dual_ashrrev_i32 v172, 31, v172 :: v_dual_bitop2_b32 v169, s15, v169 bitop3:0x14
	v_dual_ashrrev_i32 v173, 31, v173 :: v_dual_bitop2_b32 v170, s16, v170 bitop3:0x14
	v_cmp_gt_i32_e64 s21, 0, v177
	v_xor_b32_e32 v172, s17, v172
	s_delay_alu instid0(VALU_DEP_4) | instskip(SKIP_2) | instid1(VALU_DEP_3)
	v_bitop3_b32 v61, v61, v169, exec_lo bitop3:0x80
	v_dual_ashrrev_i32 v169, 31, v175 :: v_dual_ashrrev_i32 v175, 31, v176
	v_xor_b32_e32 v174, s19, v174
	v_bitop3_b32 v61, v61, v172, v170 bitop3:0x80
	v_mad_u32_u24 v170, v171, 36, v23
	v_mul_u32_u24_e32 v171, 36, v171
	v_xor_b32_e32 v173, s18, v173
	v_xor_b32_e32 v172, s20, v169
	;; [unrolled: 1-line block ×3, first 2 shown]
	ds_load_b32 v169, v170 offset:1056
	v_add_nc_u32_e32 v171, v23, v171
	v_bitop3_b32 v61, v61, v174, v173 bitop3:0x80
	; wave barrier
	s_delay_alu instid0(VALU_DEP_1) | instskip(NEXT) | instid1(VALU_DEP_1)
	v_bitop3_b32 v61, v61, v175, v172 bitop3:0x80
	v_mbcnt_lo_u32_b32 v170, v61, 0
	v_cmp_ne_u32_e64 s15, 0, v61
	s_delay_alu instid0(VALU_DEP_2) | instskip(SKIP_1) | instid1(SALU_CYCLE_1)
	v_cmp_eq_u32_e32 vcc_lo, 0, v170
	s_and_b32 s16, s15, vcc_lo
	s_and_saveexec_b32 s15, s16
	s_cbranch_execz .LBB1833_1026
; %bb.1025:                             ;   in Loop: Header=BB1833_974 Depth=2
	s_wait_dscnt 0x0
	v_bcnt_u32_b32 v61, v61, v169
	ds_store_b32 v171, v61 offset:1056
.LBB1833_1026:                          ;   in Loop: Header=BB1833_974 Depth=2
	s_or_b32 exec_lo, exec_lo, s15
	v_cmp_lt_i16_e64 vcc_lo, -1, v168
	; wave barrier
	s_delay_alu instid0(VALU_DEP_1) | instskip(NEXT) | instid1(VALU_DEP_1)
	v_cndmask_b32_e64 v61, -1, 0xffff8000, vcc_lo
	v_xor_b32_e32 v168, v61, v168
	s_delay_alu instid0(VALU_DEP_1) | instskip(SKIP_1) | instid1(VALU_DEP_1)
	v_cmp_ne_u16_e64 vcc_lo, 0x7fff, v168
	v_cndmask_b32_e32 v61, 0xffff8000, v168, vcc_lo
	v_and_b32_e32 v61, 0xffff, v61
	s_delay_alu instid0(VALU_DEP_1) | instskip(NEXT) | instid1(VALU_DEP_1)
	v_lshrrev_b32_e32 v61, s49, v61
	v_bitop3_b32 v172, v61, 1, s52 bitop3:0x80
	v_and_b32_e32 v175, s52, v61
	s_delay_alu instid0(VALU_DEP_2) | instskip(NEXT) | instid1(VALU_DEP_1)
	v_add_co_u32 v61, s15, v172, -1
	v_cndmask_b32_e64 v172, 0, 1, s15
	s_delay_alu instid0(VALU_DEP_3) | instskip(NEXT) | instid1(VALU_DEP_2)
	v_lshlrev_b32_e32 v173, 30, v175
	v_cmp_ne_u32_e32 vcc_lo, 0, v172
	s_delay_alu instid0(VALU_DEP_2) | instskip(NEXT) | instid1(VALU_DEP_1)
	v_not_b32_e32 v172, v173
	v_dual_ashrrev_i32 v172, 31, v172 :: v_dual_lshlrev_b32 v174, 29, v175
	v_dual_lshlrev_b32 v176, 28, v175 :: v_dual_lshlrev_b32 v177, 27, v175
	v_lshlrev_b32_e32 v178, 26, v175
	v_cmp_gt_i32_e64 s15, 0, v173
	s_delay_alu instid0(VALU_DEP_4)
	v_cmp_gt_i32_e64 s16, 0, v174
	v_not_b32_e32 v173, v174
	v_not_b32_e32 v174, v176
	v_dual_lshlrev_b32 v179, 25, v175 :: v_dual_lshlrev_b32 v180, 24, v175
	v_cmp_gt_i32_e64 s17, 0, v176
	v_cmp_gt_i32_e64 s18, 0, v177
	v_not_b32_e32 v176, v177
	v_not_b32_e32 v177, v178
	v_dual_ashrrev_i32 v174, 31, v174 :: v_dual_bitop2_b32 v61, vcc_lo, v61 bitop3:0x14
	v_dual_ashrrev_i32 v173, 31, v173 :: v_dual_bitop2_b32 v172, s15, v172 bitop3:0x14
	v_cmp_gt_i32_e64 s19, 0, v178
	v_cmp_gt_i32_e64 s20, 0, v179
	v_not_b32_e32 v178, v179
	v_not_b32_e32 v179, v180
	v_dual_ashrrev_i32 v176, 31, v176 :: v_dual_ashrrev_i32 v177, 31, v177
	v_xor_b32_e32 v173, s16, v173
	v_xor_b32_e32 v174, s17, v174
	v_bitop3_b32 v61, v61, v172, exec_lo bitop3:0x80
	v_cmp_gt_i32_e64 s21, 0, v180
	v_dual_ashrrev_i32 v172, 31, v178 :: v_dual_ashrrev_i32 v178, 31, v179
	v_xor_b32_e32 v176, s18, v176
	v_xor_b32_e32 v177, s19, v177
	v_bitop3_b32 v61, v61, v174, v173 bitop3:0x80
	v_mad_u32_u24 v173, v175, 36, v23
	v_xor_b32_e32 v172, s20, v172
	v_xor_b32_e32 v174, s21, v178
	s_delay_alu instid0(VALU_DEP_4) | instskip(SKIP_3) | instid1(VALU_DEP_2)
	v_bitop3_b32 v61, v61, v177, v176 bitop3:0x80
	ds_load_b32 v173, v173 offset:1056
	; wave barrier
	v_bitop3_b32 v61, v61, v174, v172 bitop3:0x80
	v_mul_u32_u24_e32 v172, 36, v175
	v_mbcnt_lo_u32_b32 v174, v61, 0
	v_cmp_ne_u32_e64 s15, 0, v61
	s_delay_alu instid0(VALU_DEP_3) | instskip(NEXT) | instid1(VALU_DEP_3)
	v_add_nc_u32_e32 v175, v23, v172
	v_cmp_eq_u32_e32 vcc_lo, 0, v174
	s_and_b32 s16, s15, vcc_lo
	s_delay_alu instid0(SALU_CYCLE_1)
	s_and_saveexec_b32 s15, s16
	s_cbranch_execz .LBB1833_1028
; %bb.1027:                             ;   in Loop: Header=BB1833_974 Depth=2
	s_wait_dscnt 0x0
	v_bcnt_u32_b32 v61, v61, v173
	ds_store_b32 v175, v61 offset:1056
.LBB1833_1028:                          ;   in Loop: Header=BB1833_974 Depth=2
	s_or_b32 exec_lo, exec_lo, s15
	v_cmp_lt_i16_e32 vcc_lo, -1, v67
	; wave barrier
	v_cndmask_b32_e64 v61, -1, 0xffff8000, vcc_lo
	s_delay_alu instid0(VALU_DEP_1) | instskip(NEXT) | instid1(VALU_DEP_1)
	v_xor_b32_e32 v172, v61, v67
	v_cmp_ne_u16_e64 vcc_lo, 0x7fff, v172
	v_cndmask_b32_e32 v61, 0xffff8000, v172, vcc_lo
	s_delay_alu instid0(VALU_DEP_1) | instskip(NEXT) | instid1(VALU_DEP_1)
	v_and_b32_e32 v61, 0xffff, v61
	v_lshrrev_b32_e32 v61, s49, v61
	s_delay_alu instid0(VALU_DEP_1) | instskip(SKIP_1) | instid1(VALU_DEP_2)
	v_bitop3_b32 v67, v61, 1, s52 bitop3:0x80
	v_and_b32_e32 v176, s52, v61
	v_add_co_u32 v61, s15, v67, -1
	s_delay_alu instid0(VALU_DEP_1) | instskip(NEXT) | instid1(VALU_DEP_3)
	v_cndmask_b32_e64 v67, 0, 1, s15
	v_lshlrev_b32_e32 v177, 30, v176
	s_delay_alu instid0(VALU_DEP_2) | instskip(NEXT) | instid1(VALU_DEP_2)
	v_cmp_ne_u32_e32 vcc_lo, 0, v67
	v_not_b32_e32 v67, v177
	s_delay_alu instid0(VALU_DEP_1) | instskip(SKIP_4) | instid1(VALU_DEP_4)
	v_dual_ashrrev_i32 v67, 31, v67 :: v_dual_bitop2_b32 v61, vcc_lo, v61 bitop3:0x14
	v_dual_lshlrev_b32 v178, 29, v176 :: v_dual_lshlrev_b32 v179, 28, v176
	v_dual_lshlrev_b32 v180, 27, v176 :: v_dual_lshlrev_b32 v181, 26, v176
	v_lshlrev_b32_e32 v182, 25, v176
	v_cmp_gt_i32_e64 s15, 0, v177
	v_cmp_gt_i32_e64 s16, 0, v178
	v_not_b32_e32 v177, v178
	v_not_b32_e32 v178, v179
	v_lshlrev_b32_e32 v183, 24, v176
	v_cmp_gt_i32_e64 s17, 0, v179
	v_cmp_gt_i32_e64 s18, 0, v180
	v_not_b32_e32 v179, v180
	v_not_b32_e32 v180, v181
	v_dual_ashrrev_i32 v177, 31, v177 :: v_dual_bitop2_b32 v67, s15, v67 bitop3:0x14
	v_ashrrev_i32_e32 v178, 31, v178
	v_cmp_gt_i32_e64 s19, 0, v181
	v_cmp_gt_i32_e64 s20, 0, v182
	v_not_b32_e32 v181, v182
	v_not_b32_e32 v182, v183
	v_dual_ashrrev_i32 v179, 31, v179 :: v_dual_ashrrev_i32 v180, 31, v180
	v_xor_b32_e32 v177, s16, v177
	v_xor_b32_e32 v178, s17, v178
	v_bitop3_b32 v61, v61, v67, exec_lo bitop3:0x80
	v_cmp_gt_i32_e64 s21, 0, v183
	v_dual_ashrrev_i32 v67, 31, v181 :: v_dual_ashrrev_i32 v181, 31, v182
	v_xor_b32_e32 v179, s18, v179
	v_xor_b32_e32 v180, s19, v180
	v_bitop3_b32 v61, v61, v178, v177 bitop3:0x80
	v_mad_u32_u24 v177, v176, 36, v23
	v_xor_b32_e32 v67, s20, v67
	v_xor_b32_e32 v178, s21, v181
	s_delay_alu instid0(VALU_DEP_4) | instskip(SKIP_3) | instid1(VALU_DEP_2)
	v_bitop3_b32 v61, v61, v180, v179 bitop3:0x80
	ds_load_b32 v177, v177 offset:1056
	; wave barrier
	v_bitop3_b32 v61, v61, v178, v67 bitop3:0x80
	v_mul_u32_u24_e32 v67, 36, v176
	v_mbcnt_lo_u32_b32 v178, v61, 0
	v_cmp_ne_u32_e64 s15, 0, v61
	s_delay_alu instid0(VALU_DEP_3) | instskip(NEXT) | instid1(VALU_DEP_3)
	v_add_nc_u32_e32 v179, v23, v67
	v_cmp_eq_u32_e32 vcc_lo, 0, v178
	s_and_b32 s16, s15, vcc_lo
	s_delay_alu instid0(SALU_CYCLE_1)
	s_and_saveexec_b32 s15, s16
	s_cbranch_execz .LBB1833_1030
; %bb.1029:                             ;   in Loop: Header=BB1833_974 Depth=2
	s_wait_dscnt 0x0
	v_bcnt_u32_b32 v61, v61, v177
	ds_store_b32 v179, v61 offset:1056
.LBB1833_1030:                          ;   in Loop: Header=BB1833_974 Depth=2
	s_or_b32 exec_lo, exec_lo, s15
	v_cmp_lt_i16_e32 vcc_lo, -1, v66
	; wave barrier
	v_cndmask_b32_e64 v61, -1, 0xffff8000, vcc_lo
	s_delay_alu instid0(VALU_DEP_1) | instskip(NEXT) | instid1(VALU_DEP_1)
	v_xor_b32_e32 v176, v61, v66
	v_cmp_ne_u16_e64 vcc_lo, 0x7fff, v176
	v_cndmask_b32_e32 v61, 0xffff8000, v176, vcc_lo
	s_delay_alu instid0(VALU_DEP_1) | instskip(NEXT) | instid1(VALU_DEP_1)
	v_and_b32_e32 v61, 0xffff, v61
	v_lshrrev_b32_e32 v61, s49, v61
	s_delay_alu instid0(VALU_DEP_1) | instskip(SKIP_1) | instid1(VALU_DEP_2)
	v_bitop3_b32 v66, v61, 1, s52 bitop3:0x80
	v_and_b32_e32 v67, s52, v61
	v_add_co_u32 v61, s15, v66, -1
	s_delay_alu instid0(VALU_DEP_1) | instskip(NEXT) | instid1(VALU_DEP_3)
	v_cndmask_b32_e64 v66, 0, 1, s15
	v_lshlrev_b32_e32 v180, 30, v67
	s_delay_alu instid0(VALU_DEP_2) | instskip(NEXT) | instid1(VALU_DEP_2)
	v_cmp_ne_u32_e32 vcc_lo, 0, v66
	v_not_b32_e32 v66, v180
	v_cmp_gt_i32_e64 s15, 0, v180
	s_delay_alu instid0(VALU_DEP_2) | instskip(SKIP_3) | instid1(VALU_DEP_4)
	v_dual_ashrrev_i32 v66, 31, v66 :: v_dual_lshlrev_b32 v181, 29, v67
	v_dual_lshlrev_b32 v182, 28, v67 :: v_dual_lshlrev_b32 v183, 27, v67
	v_dual_lshlrev_b32 v184, 26, v67 :: v_dual_lshlrev_b32 v185, 25, v67
	v_lshlrev_b32_e32 v186, 24, v67
	v_cmp_gt_i32_e64 s16, 0, v181
	v_not_b32_e32 v180, v181
	v_not_b32_e32 v181, v182
	v_cmp_gt_i32_e64 s17, 0, v182
	v_cmp_gt_i32_e64 s18, 0, v183
	v_not_b32_e32 v182, v183
	v_not_b32_e32 v183, v184
	v_dual_ashrrev_i32 v180, 31, v180 :: v_dual_bitop2_b32 v61, vcc_lo, v61 bitop3:0x14
	v_dual_ashrrev_i32 v181, 31, v181 :: v_dual_bitop2_b32 v66, s15, v66 bitop3:0x14
	v_cmp_gt_i32_e64 s19, 0, v184
	v_cmp_gt_i32_e64 s20, 0, v185
	v_not_b32_e32 v184, v185
	v_not_b32_e32 v185, v186
	v_dual_ashrrev_i32 v182, 31, v182 :: v_dual_ashrrev_i32 v183, 31, v183
	v_xor_b32_e32 v180, s16, v180
	v_xor_b32_e32 v181, s17, v181
	v_bitop3_b32 v61, v61, v66, exec_lo bitop3:0x80
	v_cmp_gt_i32_e64 s21, 0, v186
	v_dual_ashrrev_i32 v66, 31, v184 :: v_dual_ashrrev_i32 v184, 31, v185
	v_xor_b32_e32 v182, s18, v182
	v_xor_b32_e32 v183, s19, v183
	v_bitop3_b32 v61, v61, v181, v180 bitop3:0x80
	v_mad_u32_u24 v180, v67, 36, v23
	v_xor_b32_e32 v66, s20, v66
	v_xor_b32_e32 v184, s21, v184
	s_delay_alu instid0(VALU_DEP_4) | instskip(SKIP_3) | instid1(VALU_DEP_2)
	v_bitop3_b32 v61, v61, v183, v182 bitop3:0x80
	ds_load_b32 v181, v180 offset:1056
	; wave barrier
	v_bitop3_b32 v61, v61, v184, v66 bitop3:0x80
	v_mul_u32_u24_e32 v66, 36, v67
	v_mbcnt_lo_u32_b32 v182, v61, 0
	v_cmp_ne_u32_e64 s15, 0, v61
	s_delay_alu instid0(VALU_DEP_3) | instskip(NEXT) | instid1(VALU_DEP_3)
	v_add_nc_u32_e32 v183, v23, v66
	v_cmp_eq_u32_e32 vcc_lo, 0, v182
	s_and_b32 s16, s15, vcc_lo
	s_delay_alu instid0(SALU_CYCLE_1)
	s_and_saveexec_b32 s15, s16
	s_cbranch_execz .LBB1833_1032
; %bb.1031:                             ;   in Loop: Header=BB1833_974 Depth=2
	s_wait_dscnt 0x0
	v_bcnt_u32_b32 v61, v61, v181
	ds_store_b32 v183, v61 offset:1056
.LBB1833_1032:                          ;   in Loop: Header=BB1833_974 Depth=2
	s_or_b32 exec_lo, exec_lo, s15
	v_cmp_lt_i16_e32 vcc_lo, -1, v65
	; wave barrier
	v_cndmask_b32_e64 v61, -1, 0xffff8000, vcc_lo
	s_delay_alu instid0(VALU_DEP_1) | instskip(NEXT) | instid1(VALU_DEP_1)
	v_xor_b32_e32 v180, v61, v65
	v_cmp_ne_u16_e64 vcc_lo, 0x7fff, v180
	v_cndmask_b32_e32 v61, 0xffff8000, v180, vcc_lo
	s_delay_alu instid0(VALU_DEP_1) | instskip(NEXT) | instid1(VALU_DEP_1)
	v_and_b32_e32 v61, 0xffff, v61
	v_lshrrev_b32_e32 v61, s49, v61
	s_delay_alu instid0(VALU_DEP_1) | instskip(NEXT) | instid1(VALU_DEP_1)
	v_and_b32_e32 v66, s52, v61
	v_lshlrev_b32_e32 v185, 28, v66
	v_bitop3_b32 v65, v61, 1, s52 bitop3:0x80
	v_dual_lshlrev_b32 v67, 30, v66 :: v_dual_lshlrev_b32 v184, 29, v66
	s_delay_alu instid0(VALU_DEP_3) | instskip(NEXT) | instid1(VALU_DEP_3)
	v_cmp_gt_i32_e64 s17, 0, v185
	v_add_co_u32 v61, s15, v65, -1
	s_delay_alu instid0(VALU_DEP_1) | instskip(NEXT) | instid1(VALU_DEP_4)
	v_cndmask_b32_e64 v65, 0, 1, s15
	v_cmp_gt_i32_e64 s15, 0, v67
	v_cmp_gt_i32_e64 s16, 0, v184
	s_delay_alu instid0(VALU_DEP_3) | instskip(SKIP_3) | instid1(VALU_DEP_2)
	v_cmp_ne_u32_e32 vcc_lo, 0, v65
	v_not_b32_e32 v65, v67
	v_not_b32_e32 v67, v184
	;; [unrolled: 1-line block ×3, first 2 shown]
	v_dual_ashrrev_i32 v65, 31, v65 :: v_dual_ashrrev_i32 v67, 31, v67
	v_dual_lshlrev_b32 v186, 27, v66 :: v_dual_lshlrev_b32 v187, 26, v66
	v_dual_lshlrev_b32 v188, 25, v66 :: v_dual_lshlrev_b32 v189, 24, v66
	s_delay_alu instid0(VALU_DEP_4) | instskip(NEXT) | instid1(VALU_DEP_3)
	v_ashrrev_i32_e32 v184, 31, v184
	v_cmp_gt_i32_e64 s18, 0, v186
	v_not_b32_e32 v185, v186
	v_cmp_gt_i32_e64 s19, 0, v187
	v_not_b32_e32 v186, v187
	v_cmp_gt_i32_e64 s20, 0, v188
	v_not_b32_e32 v187, v188
	v_not_b32_e32 v188, v189
	s_delay_alu instid0(VALU_DEP_4) | instskip(SKIP_4) | instid1(VALU_DEP_4)
	v_dual_ashrrev_i32 v186, 31, v186 :: v_dual_bitop2_b32 v61, vcc_lo, v61 bitop3:0x14
	v_xor_b32_e32 v65, s15, v65
	v_dual_ashrrev_i32 v185, 31, v185 :: v_dual_bitop2_b32 v67, s16, v67 bitop3:0x14
	v_xor_b32_e32 v184, s17, v184
	v_cmp_gt_i32_e64 s21, 0, v189
	v_bitop3_b32 v61, v61, v65, exec_lo bitop3:0x80
	v_dual_ashrrev_i32 v65, 31, v187 :: v_dual_ashrrev_i32 v187, 31, v188
	v_xor_b32_e32 v185, s18, v185
	v_xor_b32_e32 v186, s19, v186
	s_delay_alu instid0(VALU_DEP_4) | instskip(SKIP_3) | instid1(VALU_DEP_4)
	v_bitop3_b32 v61, v61, v184, v67 bitop3:0x80
	v_mad_u32_u24 v67, v66, 36, v23
	v_xor_b32_e32 v65, s20, v65
	v_xor_b32_e32 v184, s21, v187
	v_bitop3_b32 v61, v61, v186, v185 bitop3:0x80
	ds_load_b32 v185, v67 offset:1056
	; wave barrier
	v_bitop3_b32 v61, v61, v184, v65 bitop3:0x80
	v_mul_u32_u24_e32 v65, 36, v66
	s_delay_alu instid0(VALU_DEP_2) | instskip(SKIP_1) | instid1(VALU_DEP_3)
	v_mbcnt_lo_u32_b32 v186, v61, 0
	v_cmp_ne_u32_e64 s15, 0, v61
	v_add_nc_u32_e32 v187, v23, v65
	s_delay_alu instid0(VALU_DEP_3) | instskip(SKIP_1) | instid1(SALU_CYCLE_1)
	v_cmp_eq_u32_e32 vcc_lo, 0, v186
	s_and_b32 s16, s15, vcc_lo
	s_and_saveexec_b32 s15, s16
	s_cbranch_execz .LBB1833_1034
; %bb.1033:                             ;   in Loop: Header=BB1833_974 Depth=2
	s_wait_dscnt 0x0
	v_bcnt_u32_b32 v61, v61, v185
	ds_store_b32 v187, v61 offset:1056
.LBB1833_1034:                          ;   in Loop: Header=BB1833_974 Depth=2
	s_or_b32 exec_lo, exec_lo, s15
	v_cmp_lt_i16_e32 vcc_lo, -1, v64
	; wave barrier
	v_cndmask_b32_e64 v61, -1, 0xffff8000, vcc_lo
	s_delay_alu instid0(VALU_DEP_1) | instskip(NEXT) | instid1(VALU_DEP_1)
	v_xor_b32_e32 v184, v61, v64
	v_cmp_ne_u16_e64 vcc_lo, 0x7fff, v184
	v_cndmask_b32_e32 v61, 0xffff8000, v184, vcc_lo
	s_delay_alu instid0(VALU_DEP_1) | instskip(NEXT) | instid1(VALU_DEP_1)
	v_and_b32_e32 v61, 0xffff, v61
	v_lshrrev_b32_e32 v61, s49, v61
	s_delay_alu instid0(VALU_DEP_1) | instskip(SKIP_1) | instid1(VALU_DEP_2)
	v_bitop3_b32 v64, v61, 1, s52 bitop3:0x80
	v_and_b32_e32 v65, s52, v61
	v_add_co_u32 v61, s15, v64, -1
	s_delay_alu instid0(VALU_DEP_2) | instskip(SKIP_1) | instid1(VALU_DEP_2)
	v_lshlrev_b32_e32 v64, 30, v65
	v_cndmask_b32_e64 v192, 0, 1, s15
	v_cmp_gt_i32_e32 vcc_lo, 0, v64
	v_not_b32_e32 v64, v64
	s_delay_alu instid0(VALU_DEP_3) | instskip(NEXT) | instid1(VALU_DEP_2)
	v_cmp_ne_u32_e64 s21, 0, v192
	v_dual_ashrrev_i32 v64, 31, v64 :: v_dual_lshlrev_b32 v66, 29, v65
	v_dual_lshlrev_b32 v67, 28, v65 :: v_dual_lshlrev_b32 v188, 27, v65
	v_dual_lshlrev_b32 v189, 26, v65 :: v_dual_lshlrev_b32 v190, 25, v65
	v_lshlrev_b32_e32 v191, 24, v65
	s_delay_alu instid0(VALU_DEP_4)
	v_cmp_gt_i32_e64 s15, 0, v66
	v_not_b32_e32 v66, v66
	v_cmp_gt_i32_e64 s16, 0, v67
	v_not_b32_e32 v67, v67
	;; [unrolled: 2-line block ×4, first 2 shown]
	v_dual_ashrrev_i32 v66, 31, v66 :: v_dual_ashrrev_i32 v67, 31, v67
	s_delay_alu instid0(VALU_DEP_4) | instskip(NEXT) | instid1(VALU_DEP_3)
	v_dual_ashrrev_i32 v188, 31, v188 :: v_dual_bitop2_b32 v61, s21, v61 bitop3:0x14
	v_dual_ashrrev_i32 v189, 31, v189 :: v_dual_bitop2_b32 v64, vcc_lo, v64 bitop3:0x14
	v_cmp_gt_i32_e64 s19, 0, v190
	v_not_b32_e32 v190, v190
	v_cmp_gt_i32_e64 s20, 0, v191
	v_not_b32_e32 v191, v191
	v_xor_b32_e32 v66, s15, v66
	v_xor_b32_e32 v67, s16, v67
	v_bitop3_b32 v61, v61, v64, exec_lo bitop3:0x80
	s_delay_alu instid0(VALU_DEP_4) | instskip(SKIP_2) | instid1(VALU_DEP_4)
	v_dual_ashrrev_i32 v64, 31, v190 :: v_dual_ashrrev_i32 v190, 31, v191
	v_xor_b32_e32 v188, s17, v188
	v_xor_b32_e32 v189, s18, v189
	v_bitop3_b32 v61, v61, v67, v66 bitop3:0x80
	v_mad_u32_u24 v66, v65, 36, v23
	v_xor_b32_e32 v64, s19, v64
	v_xor_b32_e32 v67, s20, v190
	s_delay_alu instid0(VALU_DEP_4) | instskip(SKIP_3) | instid1(VALU_DEP_2)
	v_bitop3_b32 v61, v61, v189, v188 bitop3:0x80
	ds_load_b32 v189, v66 offset:1056
	; wave barrier
	v_bitop3_b32 v61, v61, v67, v64 bitop3:0x80
	v_mul_u32_u24_e32 v64, 36, v65
	v_mbcnt_lo_u32_b32 v190, v61, 0
	v_cmp_ne_u32_e64 s15, 0, v61
	s_delay_alu instid0(VALU_DEP_3) | instskip(NEXT) | instid1(VALU_DEP_3)
	v_add_nc_u32_e32 v191, v23, v64
	v_cmp_eq_u32_e32 vcc_lo, 0, v190
	s_and_b32 s16, s15, vcc_lo
	s_delay_alu instid0(SALU_CYCLE_1)
	s_and_saveexec_b32 s15, s16
	s_cbranch_execz .LBB1833_1036
; %bb.1035:                             ;   in Loop: Header=BB1833_974 Depth=2
	s_wait_dscnt 0x0
	v_bcnt_u32_b32 v61, v61, v189
	ds_store_b32 v191, v61 offset:1056
.LBB1833_1036:                          ;   in Loop: Header=BB1833_974 Depth=2
	s_or_b32 exec_lo, exec_lo, s15
	v_cmp_lt_i16_e32 vcc_lo, -1, v63
	; wave barrier
	v_cndmask_b32_e64 v61, -1, 0xffff8000, vcc_lo
	s_delay_alu instid0(VALU_DEP_1) | instskip(NEXT) | instid1(VALU_DEP_1)
	v_xor_b32_e32 v188, v61, v63
	v_cmp_ne_u16_e64 vcc_lo, 0x7fff, v188
	v_cndmask_b32_e32 v61, 0xffff8000, v188, vcc_lo
	s_delay_alu instid0(VALU_DEP_1) | instskip(NEXT) | instid1(VALU_DEP_1)
	v_and_b32_e32 v61, 0xffff, v61
	v_lshrrev_b32_e32 v61, s49, v61
	s_delay_alu instid0(VALU_DEP_1) | instskip(SKIP_1) | instid1(VALU_DEP_2)
	v_bitop3_b32 v63, v61, 1, s52 bitop3:0x80
	v_and_b32_e32 v64, s52, v61
	v_add_co_u32 v61, s15, v63, -1
	s_delay_alu instid0(VALU_DEP_1) | instskip(NEXT) | instid1(VALU_DEP_3)
	v_cndmask_b32_e64 v63, 0, 1, s15
	v_lshlrev_b32_e32 v65, 30, v64
	s_delay_alu instid0(VALU_DEP_2) | instskip(NEXT) | instid1(VALU_DEP_2)
	v_cmp_ne_u32_e32 vcc_lo, 0, v63
	v_not_b32_e32 v63, v65
	s_delay_alu instid0(VALU_DEP_1) | instskip(SKIP_4) | instid1(VALU_DEP_4)
	v_dual_ashrrev_i32 v63, 31, v63 :: v_dual_bitop2_b32 v61, vcc_lo, v61 bitop3:0x14
	v_dual_lshlrev_b32 v66, 29, v64 :: v_dual_lshlrev_b32 v67, 28, v64
	v_dual_lshlrev_b32 v192, 27, v64 :: v_dual_lshlrev_b32 v193, 26, v64
	v_lshlrev_b32_e32 v194, 25, v64
	v_cmp_gt_i32_e64 s15, 0, v65
	v_cmp_gt_i32_e64 s16, 0, v66
	v_not_b32_e32 v65, v66
	v_not_b32_e32 v66, v67
	v_lshlrev_b32_e32 v195, 24, v64
	v_cmp_gt_i32_e64 s17, 0, v67
	v_cmp_gt_i32_e64 s18, 0, v192
	v_not_b32_e32 v67, v192
	v_not_b32_e32 v192, v193
	v_dual_ashrrev_i32 v65, 31, v65 :: v_dual_bitop2_b32 v63, s15, v63 bitop3:0x14
	v_ashrrev_i32_e32 v66, 31, v66
	v_cmp_gt_i32_e64 s19, 0, v193
	v_cmp_gt_i32_e64 s20, 0, v194
	v_not_b32_e32 v193, v194
	v_not_b32_e32 v194, v195
	v_dual_ashrrev_i32 v67, 31, v67 :: v_dual_ashrrev_i32 v192, 31, v192
	v_xor_b32_e32 v65, s16, v65
	v_xor_b32_e32 v66, s17, v66
	v_bitop3_b32 v61, v61, v63, exec_lo bitop3:0x80
	v_cmp_gt_i32_e64 s21, 0, v195
	v_dual_ashrrev_i32 v63, 31, v193 :: v_dual_ashrrev_i32 v193, 31, v194
	v_xor_b32_e32 v67, s18, v67
	v_xor_b32_e32 v192, s19, v192
	v_bitop3_b32 v61, v61, v66, v65 bitop3:0x80
	v_mad_u32_u24 v65, v64, 36, v23
	v_xor_b32_e32 v63, s20, v63
	v_xor_b32_e32 v66, s21, v193
	s_delay_alu instid0(VALU_DEP_4) | instskip(SKIP_3) | instid1(VALU_DEP_2)
	v_bitop3_b32 v61, v61, v192, v67 bitop3:0x80
	ds_load_b32 v193, v65 offset:1056
	; wave barrier
	v_bitop3_b32 v61, v61, v66, v63 bitop3:0x80
	v_mul_u32_u24_e32 v63, 36, v64
	v_mbcnt_lo_u32_b32 v194, v61, 0
	v_cmp_ne_u32_e64 s15, 0, v61
	s_delay_alu instid0(VALU_DEP_3) | instskip(NEXT) | instid1(VALU_DEP_3)
	v_add_nc_u32_e32 v195, v23, v63
	v_cmp_eq_u32_e32 vcc_lo, 0, v194
	s_and_b32 s16, s15, vcc_lo
	s_delay_alu instid0(SALU_CYCLE_1)
	s_and_saveexec_b32 s15, s16
	s_cbranch_execz .LBB1833_1038
; %bb.1037:                             ;   in Loop: Header=BB1833_974 Depth=2
	s_wait_dscnt 0x0
	v_bcnt_u32_b32 v61, v61, v193
	ds_store_b32 v195, v61 offset:1056
.LBB1833_1038:                          ;   in Loop: Header=BB1833_974 Depth=2
	s_or_b32 exec_lo, exec_lo, s15
	v_cmp_lt_i16_e32 vcc_lo, -1, v62
	; wave barrier
	v_cndmask_b32_e64 v61, -1, 0xffff8000, vcc_lo
	s_delay_alu instid0(VALU_DEP_1) | instskip(NEXT) | instid1(VALU_DEP_1)
	v_xor_b32_e32 v192, v61, v62
	v_cmp_ne_u16_e64 vcc_lo, 0x7fff, v192
	v_cndmask_b32_e32 v61, 0xffff8000, v192, vcc_lo
	s_delay_alu instid0(VALU_DEP_1) | instskip(NEXT) | instid1(VALU_DEP_1)
	v_and_b32_e32 v61, 0xffff, v61
	v_lshrrev_b32_e32 v61, s49, v61
	s_delay_alu instid0(VALU_DEP_1) | instskip(SKIP_1) | instid1(VALU_DEP_2)
	v_bitop3_b32 v62, v61, 1, s52 bitop3:0x80
	v_and_b32_e32 v63, s52, v61
	v_add_co_u32 v61, s15, v62, -1
	s_delay_alu instid0(VALU_DEP_1) | instskip(NEXT) | instid1(VALU_DEP_3)
	v_cndmask_b32_e64 v62, 0, 1, s15
	v_lshlrev_b32_e32 v64, 30, v63
	s_delay_alu instid0(VALU_DEP_2) | instskip(NEXT) | instid1(VALU_DEP_2)
	v_cmp_ne_u32_e32 vcc_lo, 0, v62
	v_not_b32_e32 v62, v64
	v_cmp_gt_i32_e64 s15, 0, v64
	s_delay_alu instid0(VALU_DEP_2) | instskip(SKIP_3) | instid1(VALU_DEP_4)
	v_dual_ashrrev_i32 v62, 31, v62 :: v_dual_lshlrev_b32 v65, 29, v63
	v_dual_lshlrev_b32 v66, 28, v63 :: v_dual_lshlrev_b32 v67, 27, v63
	v_dual_lshlrev_b32 v196, 26, v63 :: v_dual_lshlrev_b32 v197, 25, v63
	v_lshlrev_b32_e32 v198, 24, v63
	v_cmp_gt_i32_e64 s16, 0, v65
	v_not_b32_e32 v64, v65
	v_not_b32_e32 v65, v66
	v_cmp_gt_i32_e64 s17, 0, v66
	v_cmp_gt_i32_e64 s18, 0, v67
	v_not_b32_e32 v66, v67
	v_not_b32_e32 v67, v196
	v_dual_ashrrev_i32 v64, 31, v64 :: v_dual_bitop2_b32 v61, vcc_lo, v61 bitop3:0x14
	v_dual_ashrrev_i32 v65, 31, v65 :: v_dual_bitop2_b32 v62, s15, v62 bitop3:0x14
	v_cmp_gt_i32_e64 s19, 0, v196
	v_cmp_gt_i32_e64 s20, 0, v197
	v_not_b32_e32 v196, v197
	v_not_b32_e32 v197, v198
	v_dual_ashrrev_i32 v66, 31, v66 :: v_dual_ashrrev_i32 v67, 31, v67
	v_xor_b32_e32 v64, s16, v64
	v_xor_b32_e32 v65, s17, v65
	v_bitop3_b32 v61, v61, v62, exec_lo bitop3:0x80
	v_cmp_gt_i32_e64 s21, 0, v198
	v_dual_ashrrev_i32 v62, 31, v196 :: v_dual_ashrrev_i32 v196, 31, v197
	v_xor_b32_e32 v66, s18, v66
	v_xor_b32_e32 v67, s19, v67
	v_bitop3_b32 v61, v61, v65, v64 bitop3:0x80
	v_mad_u32_u24 v64, v63, 36, v23
	v_xor_b32_e32 v62, s20, v62
	v_xor_b32_e32 v65, s21, v196
	s_delay_alu instid0(VALU_DEP_4) | instskip(SKIP_3) | instid1(VALU_DEP_2)
	v_bitop3_b32 v61, v61, v67, v66 bitop3:0x80
	ds_load_b32 v197, v64 offset:1056
	; wave barrier
	v_bitop3_b32 v61, v61, v65, v62 bitop3:0x80
	v_mul_u32_u24_e32 v62, 36, v63
	v_mbcnt_lo_u32_b32 v198, v61, 0
	v_cmp_ne_u32_e64 s15, 0, v61
	s_delay_alu instid0(VALU_DEP_3) | instskip(NEXT) | instid1(VALU_DEP_3)
	v_add_nc_u32_e32 v199, v23, v62
	v_cmp_eq_u32_e32 vcc_lo, 0, v198
	s_and_b32 s16, s15, vcc_lo
	s_delay_alu instid0(SALU_CYCLE_1)
	s_and_saveexec_b32 s15, s16
	s_cbranch_execz .LBB1833_1040
; %bb.1039:                             ;   in Loop: Header=BB1833_974 Depth=2
	s_wait_dscnt 0x0
	v_bcnt_u32_b32 v61, v61, v197
	ds_store_b32 v199, v61 offset:1056
.LBB1833_1040:                          ;   in Loop: Header=BB1833_974 Depth=2
	s_or_b32 exec_lo, exec_lo, s15
	v_cmp_lt_i16_e32 vcc_lo, -1, v60
	; wave barrier
	v_cndmask_b32_e64 v61, -1, 0xffff8000, vcc_lo
	s_delay_alu instid0(VALU_DEP_1) | instskip(NEXT) | instid1(VALU_DEP_1)
	v_xor_b32_e32 v196, v61, v60
	v_cmp_ne_u16_e64 vcc_lo, 0x7fff, v196
	v_cndmask_b32_e32 v60, 0xffff8000, v196, vcc_lo
	s_delay_alu instid0(VALU_DEP_1) | instskip(NEXT) | instid1(VALU_DEP_1)
	v_and_b32_e32 v60, 0xffff, v60
	v_lshrrev_b32_e32 v60, s49, v60
	s_delay_alu instid0(VALU_DEP_1) | instskip(SKIP_1) | instid1(VALU_DEP_2)
	v_bitop3_b32 v61, v60, 1, s52 bitop3:0x80
	v_and_b32_e32 v62, s52, v60
	v_add_co_u32 v60, s15, v61, -1
	s_delay_alu instid0(VALU_DEP_1) | instskip(NEXT) | instid1(VALU_DEP_3)
	v_cndmask_b32_e64 v61, 0, 1, s15
	v_lshlrev_b32_e32 v63, 30, v62
	s_delay_alu instid0(VALU_DEP_2) | instskip(NEXT) | instid1(VALU_DEP_2)
	v_cmp_ne_u32_e32 vcc_lo, 0, v61
	v_not_b32_e32 v61, v63
	v_cmp_gt_i32_e64 s15, 0, v63
	s_delay_alu instid0(VALU_DEP_2) | instskip(SKIP_3) | instid1(VALU_DEP_4)
	v_dual_ashrrev_i32 v61, 31, v61 :: v_dual_lshlrev_b32 v64, 29, v62
	v_dual_lshlrev_b32 v65, 28, v62 :: v_dual_lshlrev_b32 v66, 27, v62
	v_dual_lshlrev_b32 v67, 26, v62 :: v_dual_lshlrev_b32 v200, 25, v62
	v_lshlrev_b32_e32 v201, 24, v62
	v_cmp_gt_i32_e64 s16, 0, v64
	v_not_b32_e32 v63, v64
	v_not_b32_e32 v64, v65
	v_cmp_gt_i32_e64 s17, 0, v65
	v_cmp_gt_i32_e64 s18, 0, v66
	v_not_b32_e32 v65, v66
	v_not_b32_e32 v66, v67
	v_dual_ashrrev_i32 v63, 31, v63 :: v_dual_bitop2_b32 v60, vcc_lo, v60 bitop3:0x14
	v_dual_ashrrev_i32 v64, 31, v64 :: v_dual_bitop2_b32 v61, s15, v61 bitop3:0x14
	v_cmp_gt_i32_e64 s19, 0, v67
	v_cmp_gt_i32_e64 s20, 0, v200
	v_not_b32_e32 v67, v200
	v_not_b32_e32 v200, v201
	v_dual_ashrrev_i32 v65, 31, v65 :: v_dual_ashrrev_i32 v66, 31, v66
	v_xor_b32_e32 v63, s16, v63
	v_xor_b32_e32 v64, s17, v64
	v_bitop3_b32 v60, v60, v61, exec_lo bitop3:0x80
	v_cmp_gt_i32_e64 s21, 0, v201
	v_dual_ashrrev_i32 v61, 31, v67 :: v_dual_ashrrev_i32 v67, 31, v200
	v_xor_b32_e32 v65, s18, v65
	v_xor_b32_e32 v66, s19, v66
	v_bitop3_b32 v60, v60, v64, v63 bitop3:0x80
	v_mad_u32_u24 v63, v62, 36, v23
	v_xor_b32_e32 v61, s20, v61
	v_xor_b32_e32 v64, s21, v67
	s_delay_alu instid0(VALU_DEP_4) | instskip(SKIP_3) | instid1(VALU_DEP_2)
	v_bitop3_b32 v60, v60, v66, v65 bitop3:0x80
	ds_load_b32 v200, v63 offset:1056
	; wave barrier
	v_bitop3_b32 v60, v60, v64, v61 bitop3:0x80
	v_mul_u32_u24_e32 v61, 36, v62
	v_mbcnt_lo_u32_b32 v201, v60, 0
	v_cmp_ne_u32_e64 s15, 0, v60
	s_delay_alu instid0(VALU_DEP_3) | instskip(NEXT) | instid1(VALU_DEP_3)
	v_add_nc_u32_e32 v202, v23, v61
	v_cmp_eq_u32_e32 vcc_lo, 0, v201
	s_and_b32 s16, s15, vcc_lo
	s_delay_alu instid0(SALU_CYCLE_1)
	s_and_saveexec_b32 s15, s16
	s_cbranch_execz .LBB1833_1042
; %bb.1041:                             ;   in Loop: Header=BB1833_974 Depth=2
	s_wait_dscnt 0x0
	v_bcnt_u32_b32 v60, v60, v200
	ds_store_b32 v202, v60 offset:1056
.LBB1833_1042:                          ;   in Loop: Header=BB1833_974 Depth=2
	s_or_b32 exec_lo, exec_lo, s15
	; wave barrier
	s_wait_dscnt 0x0
	s_barrier_signal -1
	s_barrier_wait -1
	ds_load_2addr_b32 v[66:67], v118 offset1:1
	ds_load_2addr_b32 v[64:65], v119 offset1:1
	ds_load_2addr_b32 v[62:63], v120 offset1:1
	ds_load_2addr_b32 v[60:61], v121 offset1:1
	ds_load_b32 v203, v91 offset:1088
	s_wait_dscnt 0x3
	v_add3_u32 v204, v67, v66, v64
	s_wait_dscnt 0x2
	s_delay_alu instid0(VALU_DEP_1) | instskip(SKIP_1) | instid1(VALU_DEP_1)
	v_add3_u32 v204, v204, v65, v62
	s_wait_dscnt 0x1
	v_add3_u32 v204, v204, v63, v60
	s_wait_dscnt 0x0
	s_delay_alu instid0(VALU_DEP_1) | instskip(NEXT) | instid1(VALU_DEP_1)
	v_add3_u32 v203, v204, v61, v203
	v_mov_b32_dpp v204, v203 row_shr:1 row_mask:0xf bank_mask:0xf
	s_delay_alu instid0(VALU_DEP_1) | instskip(NEXT) | instid1(VALU_DEP_1)
	v_cndmask_b32_e64 v204, v204, 0, s7
	v_add_nc_u32_e32 v203, v204, v203
	s_delay_alu instid0(VALU_DEP_1) | instskip(NEXT) | instid1(VALU_DEP_1)
	v_mov_b32_dpp v204, v203 row_shr:2 row_mask:0xf bank_mask:0xf
	v_cndmask_b32_e64 v204, 0, v204, s8
	s_delay_alu instid0(VALU_DEP_1) | instskip(NEXT) | instid1(VALU_DEP_1)
	v_add_nc_u32_e32 v203, v203, v204
	v_mov_b32_dpp v204, v203 row_shr:4 row_mask:0xf bank_mask:0xf
	s_delay_alu instid0(VALU_DEP_1) | instskip(NEXT) | instid1(VALU_DEP_1)
	v_cndmask_b32_e64 v204, 0, v204, s9
	v_add_nc_u32_e32 v203, v203, v204
	s_delay_alu instid0(VALU_DEP_1) | instskip(NEXT) | instid1(VALU_DEP_1)
	v_mov_b32_dpp v204, v203 row_shr:8 row_mask:0xf bank_mask:0xf
	v_cndmask_b32_e64 v204, 0, v204, s10
	s_delay_alu instid0(VALU_DEP_1) | instskip(SKIP_3) | instid1(VALU_DEP_1)
	v_add_nc_u32_e32 v203, v203, v204
	ds_swizzle_b32 v204, v203 offset:swizzle(BROADCAST,32,15)
	s_wait_dscnt 0x0
	v_cndmask_b32_e64 v204, v204, 0, s11
	v_add_nc_u32_e32 v203, v203, v204
	s_and_saveexec_b32 s15, s1
; %bb.1043:                             ;   in Loop: Header=BB1833_974 Depth=2
	ds_store_b32 v84, v203 offset:1024
; %bb.1044:                             ;   in Loop: Header=BB1833_974 Depth=2
	s_or_b32 exec_lo, exec_lo, s15
	s_wait_dscnt 0x0
	s_barrier_signal -1
	s_barrier_wait -1
	s_and_saveexec_b32 s15, s4
	s_cbranch_execz .LBB1833_1046
; %bb.1045:                             ;   in Loop: Header=BB1833_974 Depth=2
	ds_load_b32 v204, v92 offset:1024
	s_wait_dscnt 0x0
	v_mov_b32_dpp v205, v204 row_shr:1 row_mask:0xf bank_mask:0xf
	s_delay_alu instid0(VALU_DEP_1) | instskip(NEXT) | instid1(VALU_DEP_1)
	v_cndmask_b32_e64 v205, v205, 0, s12
	v_add_nc_u32_e32 v204, v205, v204
	s_delay_alu instid0(VALU_DEP_1) | instskip(NEXT) | instid1(VALU_DEP_1)
	v_mov_b32_dpp v205, v204 row_shr:2 row_mask:0xf bank_mask:0xf
	v_cndmask_b32_e64 v205, 0, v205, s13
	s_delay_alu instid0(VALU_DEP_1) | instskip(NEXT) | instid1(VALU_DEP_1)
	v_add_nc_u32_e32 v204, v204, v205
	v_mov_b32_dpp v205, v204 row_shr:4 row_mask:0xf bank_mask:0xf
	s_delay_alu instid0(VALU_DEP_1) | instskip(NEXT) | instid1(VALU_DEP_1)
	v_cndmask_b32_e64 v205, 0, v205, s14
	v_add_nc_u32_e32 v204, v204, v205
	ds_store_b32 v92, v204 offset:1024
.LBB1833_1046:                          ;   in Loop: Header=BB1833_974 Depth=2
	s_or_b32 exec_lo, exec_lo, s15
	v_mov_b32_e32 v204, 0
	s_wait_dscnt 0x0
	s_barrier_signal -1
	s_barrier_wait -1
	s_and_saveexec_b32 s15, s5
; %bb.1047:                             ;   in Loop: Header=BB1833_974 Depth=2
	ds_load_b32 v204, v84 offset:1020
; %bb.1048:                             ;   in Loop: Header=BB1833_974 Depth=2
	s_or_b32 exec_lo, exec_lo, s15
	s_wait_dscnt 0x0
	v_add_nc_u32_e32 v203, v204, v203
	ds_bpermute_b32 v203, v122, v203
	s_wait_dscnt 0x0
	v_cndmask_b32_e64 v203, v203, v204, s6
	s_delay_alu instid0(VALU_DEP_1) | instskip(NEXT) | instid1(VALU_DEP_1)
	v_cndmask_b32_e64 v203, v203, 0, s2
	v_add_nc_u32_e32 v66, v203, v66
	s_delay_alu instid0(VALU_DEP_1) | instskip(NEXT) | instid1(VALU_DEP_1)
	v_add_nc_u32_e32 v67, v66, v67
	v_add_nc_u32_e32 v64, v67, v64
	s_delay_alu instid0(VALU_DEP_1) | instskip(NEXT) | instid1(VALU_DEP_1)
	v_add_nc_u32_e32 v65, v64, v65
	;; [unrolled: 3-line block ×3, first 2 shown]
	v_add_nc_u32_e32 v60, v63, v60
	s_delay_alu instid0(VALU_DEP_1)
	v_add_nc_u32_e32 v61, v60, v61
	ds_store_2addr_b32 v121, v63, v60 offset1:1
	ds_store_2addr_b32 v118, v203, v66 offset1:1
	;; [unrolled: 1-line block ×4, first 2 shown]
	ds_store_b32 v91, v61 offset:1088
	s_wait_dscnt 0x0
	s_barrier_signal -1
	s_barrier_wait -1
	ds_load_b32 v63, v143 offset:1056
	ds_load_b32 v65, v147 offset:1056
	;; [unrolled: 1-line block ×17, first 2 shown]
	v_mov_b32_e32 v62, 0x1000
	s_and_saveexec_b32 s15, s3
; %bb.1049:                             ;   in Loop: Header=BB1833_974 Depth=2
	ds_load_b32 v62, v91 offset:1092
; %bb.1050:                             ;   in Loop: Header=BB1833_974 Depth=2
	s_or_b32 exec_lo, exec_lo, s15
	s_wait_dscnt 0x0
	s_barrier_signal -1
	s_barrier_wait -1
	s_and_saveexec_b32 s15, s0
	s_cbranch_execz .LBB1833_1052
; %bb.1051:                             ;   in Loop: Header=BB1833_974 Depth=2
	ds_load_b32 v155, v3
	s_wait_dscnt 0x0
	v_sub_nc_u32_e32 v151, v155, v151
	ds_store_b32 v3, v151
.LBB1833_1052:                          ;   in Loop: Header=BB1833_974 Depth=2
	s_or_b32 exec_lo, exec_lo, s15
	v_add3_u32 v159, v146, v145, v65
	v_add_nc_u32_e32 v163, v63, v142
	v_add3_u32 v155, v150, v149, v66
	v_add3_u32 v151, v154, v153, v67
	;; [unrolled: 1-line block ×4, first 2 shown]
	v_lshlrev_b32_e32 v60, 1, v159
	v_lshlrev_b32_e32 v153, 1, v163
	v_add3_u32 v150, v158, v157, v143
	v_add3_u32 v147, v166, v165, v203
	;; [unrolled: 1-line block ×4, first 2 shown]
	v_lshlrev_b32_e32 v61, 1, v155
	v_add3_u32 v145, v174, v173, v175
	v_lshlrev_b32_e32 v154, 1, v149
	ds_store_b16 v153, v140 offset:1024
	v_lshlrev_b32_e32 v140, 1, v151
	v_add3_u32 v143, v178, v177, v179
	v_lshlrev_b32_e32 v153, 1, v150
	v_add3_u32 v142, v182, v181, v183
	v_add3_u32 v63, v186, v185, v187
	ds_store_b16 v60, v141 offset:1024
	ds_store_b16 v61, v144 offset:1024
	;; [unrolled: 1-line block ×5, first 2 shown]
	v_dual_lshlrev_b32 v60, 1, v147 :: v_dual_lshlrev_b32 v140, 1, v145
	v_lshlrev_b32_e32 v61, 1, v146
	v_add3_u32 v65, v198, v197, v64
	v_dual_lshlrev_b32 v141, 1, v143 :: v_dual_lshlrev_b32 v144, 1, v142
	v_add3_u32 v64, v201, v200, v167
	ds_store_b16 v60, v160 offset:1024
	ds_store_b16 v61, v164 offset:1024
	;; [unrolled: 1-line block ×5, first 2 shown]
	v_dual_lshlrev_b32 v60, 1, v63 :: v_dual_lshlrev_b32 v140, 1, v66
	v_cmp_lt_u32_e32 vcc_lo, v2, v139
	v_dual_lshlrev_b32 v61, 1, v67 :: v_dual_lshlrev_b32 v141, 1, v65
	v_lshlrev_b32_e32 v144, 1, v64
	ds_store_b16 v60, v180 offset:1024
	ds_store_b16 v61, v184 offset:1024
	;; [unrolled: 1-line block ×5, first 2 shown]
	s_wait_dscnt 0x0
	s_barrier_signal -1
	s_barrier_wait -1
	s_and_saveexec_b32 s16, vcc_lo
	s_cbranch_execnz .LBB1833_1121
; %bb.1053:                             ;   in Loop: Header=BB1833_974 Depth=2
	s_or_b32 exec_lo, exec_lo, s16
	v_cmp_lt_u32_e64 s15, v68, v139
	s_and_saveexec_b32 s17, s15
	s_cbranch_execnz .LBB1833_1122
.LBB1833_1054:                          ;   in Loop: Header=BB1833_974 Depth=2
	s_or_b32 exec_lo, exec_lo, s17
	v_cmp_lt_u32_e64 s16, v69, v139
	s_and_saveexec_b32 s18, s16
	s_cbranch_execnz .LBB1833_1123
.LBB1833_1055:                          ;   in Loop: Header=BB1833_974 Depth=2
	s_or_b32 exec_lo, exec_lo, s18
	v_cmp_lt_u32_e64 s17, v70, v139
	s_and_saveexec_b32 s19, s17
	s_cbranch_execnz .LBB1833_1124
.LBB1833_1056:                          ;   in Loop: Header=BB1833_974 Depth=2
	s_or_b32 exec_lo, exec_lo, s19
	v_cmp_lt_u32_e64 s18, v71, v139
	s_and_saveexec_b32 s20, s18
	s_cbranch_execnz .LBB1833_1125
.LBB1833_1057:                          ;   in Loop: Header=BB1833_974 Depth=2
	s_or_b32 exec_lo, exec_lo, s20
	v_cmp_lt_u32_e64 s19, v72, v139
	s_and_saveexec_b32 s21, s19
	s_cbranch_execnz .LBB1833_1126
.LBB1833_1058:                          ;   in Loop: Header=BB1833_974 Depth=2
	s_or_b32 exec_lo, exec_lo, s21
	v_cmp_lt_u32_e64 s20, v73, v139
	s_and_saveexec_b32 s22, s20
	s_cbranch_execnz .LBB1833_1127
.LBB1833_1059:                          ;   in Loop: Header=BB1833_974 Depth=2
	s_or_b32 exec_lo, exec_lo, s22
	v_cmp_lt_u32_e64 s21, v74, v139
	s_and_saveexec_b32 s23, s21
	s_cbranch_execnz .LBB1833_1128
.LBB1833_1060:                          ;   in Loop: Header=BB1833_974 Depth=2
	s_or_b32 exec_lo, exec_lo, s23
	v_cmp_lt_u32_e64 s22, v75, v139
	s_and_saveexec_b32 s24, s22
	s_cbranch_execnz .LBB1833_1129
.LBB1833_1061:                          ;   in Loop: Header=BB1833_974 Depth=2
	s_or_b32 exec_lo, exec_lo, s24
	v_cmp_lt_u32_e64 s23, v76, v139
	s_and_saveexec_b32 s25, s23
	s_cbranch_execnz .LBB1833_1130
.LBB1833_1062:                          ;   in Loop: Header=BB1833_974 Depth=2
	s_or_b32 exec_lo, exec_lo, s25
	v_cmp_lt_u32_e64 s24, v77, v139
	s_and_saveexec_b32 s26, s24
	s_cbranch_execnz .LBB1833_1131
.LBB1833_1063:                          ;   in Loop: Header=BB1833_974 Depth=2
	s_or_b32 exec_lo, exec_lo, s26
	v_cmp_lt_u32_e64 s25, v78, v139
	s_and_saveexec_b32 s27, s25
	s_cbranch_execnz .LBB1833_1132
.LBB1833_1064:                          ;   in Loop: Header=BB1833_974 Depth=2
	s_or_b32 exec_lo, exec_lo, s27
	v_cmp_lt_u32_e64 s26, v79, v139
	s_and_saveexec_b32 s28, s26
	s_cbranch_execnz .LBB1833_1133
.LBB1833_1065:                          ;   in Loop: Header=BB1833_974 Depth=2
	s_or_b32 exec_lo, exec_lo, s28
	v_cmp_lt_u32_e64 s27, v80, v139
	s_and_saveexec_b32 s29, s27
	s_cbranch_execnz .LBB1833_1134
.LBB1833_1066:                          ;   in Loop: Header=BB1833_974 Depth=2
	s_or_b32 exec_lo, exec_lo, s29
	v_cmp_lt_u32_e64 s28, v81, v139
	s_and_saveexec_b32 s30, s28
	s_cbranch_execnz .LBB1833_1135
.LBB1833_1067:                          ;   in Loop: Header=BB1833_974 Depth=2
	s_or_b32 exec_lo, exec_lo, s30
	v_cmp_lt_u32_e64 s29, v82, v139
	s_and_saveexec_b32 s58, s29
	s_cbranch_execz .LBB1833_1069
.LBB1833_1068:                          ;   in Loop: Header=BB1833_974 Depth=2
	ds_load_u16 v60, v93 offset:8704
	s_wait_dscnt 0x0
	v_cmp_ne_u16_e64 s30, 0x7fff, v60
	s_delay_alu instid0(VALU_DEP_1) | instskip(SKIP_1) | instid1(VALU_DEP_2)
	v_cndmask_b32_e64 v61, 0xffff8000, v60, s30
	v_cmp_lt_i16_e64 s30, -1, v60
	v_and_b32_e32 v61, 0xffff, v61
	s_delay_alu instid0(VALU_DEP_2) | instskip(NEXT) | instid1(VALU_DEP_1)
	v_cndmask_b32_e64 v140, 0xffff8000, -1, s30
	v_dual_lshrrev_b32 v61, s49, v61 :: v_dual_bitop2_b32 v60, v140, v60 bitop3:0x14
	s_delay_alu instid0(VALU_DEP_1) | instskip(NEXT) | instid1(VALU_DEP_1)
	v_and_b32_e32 v61, s52, v61
	v_lshlrev_b32_e32 v61, 2, v61
	ds_load_b32 v61, v61
	s_wait_dscnt 0x0
	v_add_nc_u32_e32 v61, v61, v82
	global_store_b16 v61, v60, s[40:41] scale_offset
.LBB1833_1069:                          ;   in Loop: Header=BB1833_974 Depth=2
	s_wait_xcnt 0x0
	s_or_b32 exec_lo, exec_lo, s58
	v_lshl_add_u64 v[60:61], s[42:43], 3, v[24:25]
	v_cmp_lt_u32_e64 s30, v100, v139
	s_and_saveexec_b32 s42, s30
	s_delay_alu instid0(SALU_CYCLE_1)
	s_xor_b32 s30, exec_lo, s42
	s_cbranch_execnz .LBB1833_1136
; %bb.1070:                             ;   in Loop: Header=BB1833_974 Depth=2
	s_or_b32 exec_lo, exec_lo, s30
	s_delay_alu instid0(SALU_CYCLE_1)
	s_mov_b32 s42, exec_lo
	v_cmpx_lt_u32_e64 v103, v139
	s_cbranch_execnz .LBB1833_1137
.LBB1833_1071:                          ;   in Loop: Header=BB1833_974 Depth=2
	s_or_b32 exec_lo, exec_lo, s42
	s_delay_alu instid0(SALU_CYCLE_1)
	s_mov_b32 s42, exec_lo
	v_cmpx_lt_u32_e64 v104, v139
	s_cbranch_execnz .LBB1833_1138
.LBB1833_1072:                          ;   in Loop: Header=BB1833_974 Depth=2
	s_or_b32 exec_lo, exec_lo, s42
	s_delay_alu instid0(SALU_CYCLE_1)
	s_mov_b32 s42, exec_lo
	v_cmpx_lt_u32_e64 v105, v139
	s_cbranch_execnz .LBB1833_1139
.LBB1833_1073:                          ;   in Loop: Header=BB1833_974 Depth=2
	s_or_b32 exec_lo, exec_lo, s42
	s_delay_alu instid0(SALU_CYCLE_1)
	s_mov_b32 s42, exec_lo
	v_cmpx_lt_u32_e64 v106, v139
	s_cbranch_execnz .LBB1833_1140
.LBB1833_1074:                          ;   in Loop: Header=BB1833_974 Depth=2
	s_or_b32 exec_lo, exec_lo, s42
	s_delay_alu instid0(SALU_CYCLE_1)
	s_mov_b32 s42, exec_lo
	v_cmpx_lt_u32_e64 v107, v139
	s_cbranch_execnz .LBB1833_1141
.LBB1833_1075:                          ;   in Loop: Header=BB1833_974 Depth=2
	s_or_b32 exec_lo, exec_lo, s42
	s_delay_alu instid0(SALU_CYCLE_1)
	s_mov_b32 s42, exec_lo
	v_cmpx_lt_u32_e64 v108, v139
	s_cbranch_execnz .LBB1833_1142
.LBB1833_1076:                          ;   in Loop: Header=BB1833_974 Depth=2
	s_or_b32 exec_lo, exec_lo, s42
	s_delay_alu instid0(SALU_CYCLE_1)
	s_mov_b32 s42, exec_lo
	v_cmpx_lt_u32_e64 v109, v139
	s_cbranch_execnz .LBB1833_1143
.LBB1833_1077:                          ;   in Loop: Header=BB1833_974 Depth=2
	s_or_b32 exec_lo, exec_lo, s42
	s_delay_alu instid0(SALU_CYCLE_1)
	s_mov_b32 s42, exec_lo
	v_cmpx_lt_u32_e64 v110, v139
	s_cbranch_execnz .LBB1833_1144
.LBB1833_1078:                          ;   in Loop: Header=BB1833_974 Depth=2
	s_or_b32 exec_lo, exec_lo, s42
	s_delay_alu instid0(SALU_CYCLE_1)
	s_mov_b32 s42, exec_lo
	v_cmpx_lt_u32_e64 v111, v139
	s_cbranch_execnz .LBB1833_1145
.LBB1833_1079:                          ;   in Loop: Header=BB1833_974 Depth=2
	s_or_b32 exec_lo, exec_lo, s42
	s_delay_alu instid0(SALU_CYCLE_1)
	s_mov_b32 s42, exec_lo
	v_cmpx_lt_u32_e64 v112, v139
	s_cbranch_execnz .LBB1833_1146
.LBB1833_1080:                          ;   in Loop: Header=BB1833_974 Depth=2
	s_or_b32 exec_lo, exec_lo, s42
	s_delay_alu instid0(SALU_CYCLE_1)
	s_mov_b32 s42, exec_lo
	v_cmpx_lt_u32_e64 v113, v139
	s_cbranch_execnz .LBB1833_1147
.LBB1833_1081:                          ;   in Loop: Header=BB1833_974 Depth=2
	s_or_b32 exec_lo, exec_lo, s42
	s_delay_alu instid0(SALU_CYCLE_1)
	s_mov_b32 s42, exec_lo
	v_cmpx_lt_u32_e64 v114, v139
	s_cbranch_execnz .LBB1833_1148
.LBB1833_1082:                          ;   in Loop: Header=BB1833_974 Depth=2
	s_or_b32 exec_lo, exec_lo, s42
	s_delay_alu instid0(SALU_CYCLE_1)
	s_mov_b32 s42, exec_lo
	v_cmpx_lt_u32_e64 v115, v139
	s_cbranch_execnz .LBB1833_1149
.LBB1833_1083:                          ;   in Loop: Header=BB1833_974 Depth=2
	s_or_b32 exec_lo, exec_lo, s42
	s_delay_alu instid0(SALU_CYCLE_1)
	s_mov_b32 s42, exec_lo
	v_cmpx_lt_u32_e64 v116, v139
	s_cbranch_execnz .LBB1833_1150
.LBB1833_1084:                          ;   in Loop: Header=BB1833_974 Depth=2
	s_or_b32 exec_lo, exec_lo, s42
	s_delay_alu instid0(SALU_CYCLE_1)
	s_mov_b32 s42, exec_lo
	v_cmpx_lt_u32_e64 v117, v139
	s_cbranch_execnz .LBB1833_1151
.LBB1833_1085:                          ;   in Loop: Header=BB1833_974 Depth=2
	s_or_b32 exec_lo, exec_lo, s42
	s_and_saveexec_b32 s42, vcc_lo
	s_cbranch_execnz .LBB1833_1152
.LBB1833_1086:                          ;   in Loop: Header=BB1833_974 Depth=2
	s_or_b32 exec_lo, exec_lo, s42
	s_and_saveexec_b32 s42, s15
	s_cbranch_execnz .LBB1833_1153
.LBB1833_1087:                          ;   in Loop: Header=BB1833_974 Depth=2
	s_or_b32 exec_lo, exec_lo, s42
	s_and_saveexec_b32 s42, s16
	s_cbranch_execnz .LBB1833_1154
.LBB1833_1088:                          ;   in Loop: Header=BB1833_974 Depth=2
	s_or_b32 exec_lo, exec_lo, s42
	s_and_saveexec_b32 s42, s17
	s_cbranch_execnz .LBB1833_1155
.LBB1833_1089:                          ;   in Loop: Header=BB1833_974 Depth=2
	s_or_b32 exec_lo, exec_lo, s42
	s_and_saveexec_b32 s42, s18
	s_cbranch_execnz .LBB1833_1156
.LBB1833_1090:                          ;   in Loop: Header=BB1833_974 Depth=2
	s_or_b32 exec_lo, exec_lo, s42
	s_and_saveexec_b32 s42, s19
	s_cbranch_execnz .LBB1833_1157
.LBB1833_1091:                          ;   in Loop: Header=BB1833_974 Depth=2
	s_or_b32 exec_lo, exec_lo, s42
	s_and_saveexec_b32 s42, s20
	s_cbranch_execnz .LBB1833_1158
.LBB1833_1092:                          ;   in Loop: Header=BB1833_974 Depth=2
	s_or_b32 exec_lo, exec_lo, s42
	s_and_saveexec_b32 s42, s21
	s_cbranch_execnz .LBB1833_1159
.LBB1833_1093:                          ;   in Loop: Header=BB1833_974 Depth=2
	s_or_b32 exec_lo, exec_lo, s42
	s_and_saveexec_b32 s42, s22
	s_cbranch_execnz .LBB1833_1160
.LBB1833_1094:                          ;   in Loop: Header=BB1833_974 Depth=2
	s_or_b32 exec_lo, exec_lo, s42
	s_and_saveexec_b32 s42, s23
	s_cbranch_execnz .LBB1833_1161
.LBB1833_1095:                          ;   in Loop: Header=BB1833_974 Depth=2
	s_or_b32 exec_lo, exec_lo, s42
	s_and_saveexec_b32 s42, s24
	s_cbranch_execnz .LBB1833_1162
.LBB1833_1096:                          ;   in Loop: Header=BB1833_974 Depth=2
	s_or_b32 exec_lo, exec_lo, s42
	s_and_saveexec_b32 s42, s25
	s_cbranch_execnz .LBB1833_1163
.LBB1833_1097:                          ;   in Loop: Header=BB1833_974 Depth=2
	s_or_b32 exec_lo, exec_lo, s42
	s_and_saveexec_b32 s42, s26
	s_cbranch_execnz .LBB1833_1164
.LBB1833_1098:                          ;   in Loop: Header=BB1833_974 Depth=2
	s_or_b32 exec_lo, exec_lo, s42
	s_and_saveexec_b32 s42, s27
	s_cbranch_execnz .LBB1833_1165
.LBB1833_1099:                          ;   in Loop: Header=BB1833_974 Depth=2
	s_or_b32 exec_lo, exec_lo, s42
	s_and_saveexec_b32 s42, s28
	s_cbranch_execnz .LBB1833_1166
.LBB1833_1100:                          ;   in Loop: Header=BB1833_974 Depth=2
	s_or_b32 exec_lo, exec_lo, s42
	s_and_saveexec_b32 s42, s29
	s_cbranch_execz .LBB1833_1102
.LBB1833_1101:                          ;   in Loop: Header=BB1833_974 Depth=2
	ds_load_u16 v60, v93 offset:8704
	s_wait_dscnt 0x0
	v_cmp_ne_u16_e64 s30, 0x7fff, v60
	s_delay_alu instid0(VALU_DEP_1) | instskip(NEXT) | instid1(VALU_DEP_1)
	v_cndmask_b32_e64 v60, 0xffff8000, v60, s30
	v_and_b32_e32 v60, 0xffff, v60
	s_delay_alu instid0(VALU_DEP_1) | instskip(NEXT) | instid1(VALU_DEP_1)
	v_lshrrev_b32_e32 v60, s49, v60
	v_and_b32_e32 v123, s52, v60
.LBB1833_1102:                          ;   in Loop: Header=BB1833_974 Depth=2
	s_or_b32 exec_lo, exec_lo, s42
	v_dual_lshlrev_b32 v60, 3, v163 :: v_dual_lshlrev_b32 v140, 3, v150
	s_wait_loadcnt 0x0
	s_wait_storecnt 0x0
	s_barrier_signal -1
	s_barrier_wait -1
	ds_store_b64 v60, v[58:59] offset:1024
	v_dual_lshlrev_b32 v60, 3, v159 :: v_dual_lshlrev_b32 v141, 3, v149
	v_lshlrev_b32_e32 v61, 3, v155
	v_lshlrev_b32_e32 v139, 3, v151
	ds_store_b64 v60, v[56:57] offset:1024
	ds_store_b64 v61, v[54:55] offset:1024
	;; [unrolled: 1-line block ×5, first 2 shown]
	v_dual_lshlrev_b32 v60, 3, v147 :: v_dual_lshlrev_b32 v141, 3, v142
	v_dual_lshlrev_b32 v61, 3, v146 :: v_dual_lshlrev_b32 v139, 3, v145
	v_lshlrev_b32_e32 v140, 3, v143
	ds_store_b64 v60, v[46:47] offset:1024
	ds_store_b64 v61, v[44:45] offset:1024
	;; [unrolled: 1-line block ×5, first 2 shown]
	v_dual_lshlrev_b32 v60, 3, v63 :: v_dual_lshlrev_b32 v65, 3, v65
	v_dual_lshlrev_b32 v61, 3, v67 :: v_dual_lshlrev_b32 v64, 3, v64
	v_lshlrev_b32_e32 v63, 3, v66
	ds_store_b64 v60, v[36:37] offset:1024
	ds_store_b64 v61, v[34:35] offset:1024
	;; [unrolled: 1-line block ×5, first 2 shown]
	v_add_nc_u32_e32 v60, v93, v94
	s_wait_dscnt 0x0
	s_barrier_signal -1
	s_barrier_wait -1
	s_and_saveexec_b32 s30, vcc_lo
	s_cbranch_execnz .LBB1833_1167
; %bb.1103:                             ;   in Loop: Header=BB1833_974 Depth=2
	s_or_b32 exec_lo, exec_lo, s30
	s_and_saveexec_b32 s30, s15
	s_cbranch_execnz .LBB1833_1168
.LBB1833_1104:                          ;   in Loop: Header=BB1833_974 Depth=2
	s_or_b32 exec_lo, exec_lo, s30
	s_and_saveexec_b32 s15, s16
	s_cbranch_execnz .LBB1833_1169
.LBB1833_1105:                          ;   in Loop: Header=BB1833_974 Depth=2
	s_or_b32 exec_lo, exec_lo, s15
	s_and_saveexec_b32 s15, s17
	s_cbranch_execnz .LBB1833_1170
.LBB1833_1106:                          ;   in Loop: Header=BB1833_974 Depth=2
	s_or_b32 exec_lo, exec_lo, s15
	s_and_saveexec_b32 s15, s18
	s_cbranch_execnz .LBB1833_1171
.LBB1833_1107:                          ;   in Loop: Header=BB1833_974 Depth=2
	s_or_b32 exec_lo, exec_lo, s15
	s_and_saveexec_b32 s15, s19
	s_cbranch_execnz .LBB1833_1172
.LBB1833_1108:                          ;   in Loop: Header=BB1833_974 Depth=2
	s_or_b32 exec_lo, exec_lo, s15
	s_and_saveexec_b32 s15, s20
	s_cbranch_execnz .LBB1833_1173
.LBB1833_1109:                          ;   in Loop: Header=BB1833_974 Depth=2
	s_or_b32 exec_lo, exec_lo, s15
	s_and_saveexec_b32 s15, s21
	s_cbranch_execnz .LBB1833_1174
.LBB1833_1110:                          ;   in Loop: Header=BB1833_974 Depth=2
	s_or_b32 exec_lo, exec_lo, s15
	s_and_saveexec_b32 s15, s22
	s_cbranch_execnz .LBB1833_1175
.LBB1833_1111:                          ;   in Loop: Header=BB1833_974 Depth=2
	s_or_b32 exec_lo, exec_lo, s15
	s_and_saveexec_b32 s15, s23
	s_cbranch_execnz .LBB1833_1176
.LBB1833_1112:                          ;   in Loop: Header=BB1833_974 Depth=2
	s_or_b32 exec_lo, exec_lo, s15
	s_and_saveexec_b32 s15, s24
	s_cbranch_execnz .LBB1833_1177
.LBB1833_1113:                          ;   in Loop: Header=BB1833_974 Depth=2
	s_or_b32 exec_lo, exec_lo, s15
	s_and_saveexec_b32 s15, s25
	s_cbranch_execnz .LBB1833_1178
.LBB1833_1114:                          ;   in Loop: Header=BB1833_974 Depth=2
	s_or_b32 exec_lo, exec_lo, s15
	s_and_saveexec_b32 s15, s26
	s_cbranch_execnz .LBB1833_1179
.LBB1833_1115:                          ;   in Loop: Header=BB1833_974 Depth=2
	s_or_b32 exec_lo, exec_lo, s15
	s_and_saveexec_b32 s15, s27
	s_cbranch_execnz .LBB1833_1180
.LBB1833_1116:                          ;   in Loop: Header=BB1833_974 Depth=2
	s_or_b32 exec_lo, exec_lo, s15
	s_and_saveexec_b32 s15, s28
	s_cbranch_execnz .LBB1833_1181
.LBB1833_1117:                          ;   in Loop: Header=BB1833_974 Depth=2
	s_or_b32 exec_lo, exec_lo, s15
	s_and_saveexec_b32 s15, s29
	s_cbranch_execz .LBB1833_1119
.LBB1833_1118:                          ;   in Loop: Header=BB1833_974 Depth=2
	v_lshlrev_b32_e32 v61, 2, v123
	ds_load_b32 v63, v61
	ds_load_b64 v[60:61], v60 offset:31744
	s_wait_dscnt 0x1
	v_add_nc_u32_e32 v63, v63, v82
	s_wait_dscnt 0x0
	global_store_b64 v63, v[60:61], s[46:47] scale_offset
.LBB1833_1119:                          ;   in Loop: Header=BB1833_974 Depth=2
	s_wait_xcnt 0x0
	s_or_b32 exec_lo, exec_lo, s15
	s_wait_storecnt 0x0
	s_barrier_signal -1
	s_barrier_wait -1
	s_and_saveexec_b32 s15, s0
	s_cbranch_execz .LBB1833_973
; %bb.1120:                             ;   in Loop: Header=BB1833_974 Depth=2
	ds_load_b32 v60, v3
	s_wait_dscnt 0x0
	v_add_nc_u32_e32 v60, v60, v62
	ds_store_b32 v3, v60
	s_branch .LBB1833_973
.LBB1833_1121:                          ;   in Loop: Header=BB1833_974 Depth=2
	ds_load_u16 v60, v93 offset:1024
	s_wait_dscnt 0x0
	v_cmp_ne_u16_e64 s15, 0x7fff, v60
	s_delay_alu instid0(VALU_DEP_1) | instskip(SKIP_1) | instid1(VALU_DEP_2)
	v_cndmask_b32_e64 v61, 0xffff8000, v60, s15
	v_cmp_lt_i16_e64 s15, -1, v60
	v_and_b32_e32 v61, 0xffff, v61
	s_delay_alu instid0(VALU_DEP_2) | instskip(NEXT) | instid1(VALU_DEP_1)
	v_cndmask_b32_e64 v140, 0xffff8000, -1, s15
	v_dual_lshrrev_b32 v61, s49, v61 :: v_dual_bitop2_b32 v60, v140, v60 bitop3:0x14
	s_delay_alu instid0(VALU_DEP_1) | instskip(NEXT) | instid1(VALU_DEP_1)
	v_and_b32_e32 v61, s52, v61
	v_lshlrev_b32_e32 v61, 2, v61
	ds_load_b32 v61, v61
	s_wait_dscnt 0x0
	v_add_nc_u32_e32 v61, v61, v2
	global_store_b16 v61, v60, s[40:41] scale_offset
	s_wait_xcnt 0x0
	s_or_b32 exec_lo, exec_lo, s16
	v_cmp_lt_u32_e64 s15, v68, v139
	s_and_saveexec_b32 s17, s15
	s_cbranch_execz .LBB1833_1054
.LBB1833_1122:                          ;   in Loop: Header=BB1833_974 Depth=2
	ds_load_u16 v60, v93 offset:1536
	s_wait_dscnt 0x0
	v_cmp_ne_u16_e64 s16, 0x7fff, v60
	s_delay_alu instid0(VALU_DEP_1) | instskip(SKIP_1) | instid1(VALU_DEP_2)
	v_cndmask_b32_e64 v61, 0xffff8000, v60, s16
	v_cmp_lt_i16_e64 s16, -1, v60
	v_and_b32_e32 v61, 0xffff, v61
	s_delay_alu instid0(VALU_DEP_2) | instskip(NEXT) | instid1(VALU_DEP_1)
	v_cndmask_b32_e64 v140, 0xffff8000, -1, s16
	v_dual_lshrrev_b32 v61, s49, v61 :: v_dual_bitop2_b32 v60, v140, v60 bitop3:0x14
	s_delay_alu instid0(VALU_DEP_1) | instskip(NEXT) | instid1(VALU_DEP_1)
	v_and_b32_e32 v61, s52, v61
	v_lshlrev_b32_e32 v61, 2, v61
	ds_load_b32 v61, v61
	s_wait_dscnt 0x0
	v_add_nc_u32_e32 v61, v61, v68
	global_store_b16 v61, v60, s[40:41] scale_offset
	s_wait_xcnt 0x0
	s_or_b32 exec_lo, exec_lo, s17
	v_cmp_lt_u32_e64 s16, v69, v139
	s_and_saveexec_b32 s18, s16
	s_cbranch_execz .LBB1833_1055
.LBB1833_1123:                          ;   in Loop: Header=BB1833_974 Depth=2
	ds_load_u16 v60, v93 offset:2048
	s_wait_dscnt 0x0
	v_cmp_ne_u16_e64 s17, 0x7fff, v60
	s_delay_alu instid0(VALU_DEP_1) | instskip(SKIP_1) | instid1(VALU_DEP_2)
	v_cndmask_b32_e64 v61, 0xffff8000, v60, s17
	v_cmp_lt_i16_e64 s17, -1, v60
	v_and_b32_e32 v61, 0xffff, v61
	s_delay_alu instid0(VALU_DEP_2) | instskip(NEXT) | instid1(VALU_DEP_1)
	v_cndmask_b32_e64 v140, 0xffff8000, -1, s17
	v_dual_lshrrev_b32 v61, s49, v61 :: v_dual_bitop2_b32 v60, v140, v60 bitop3:0x14
	s_delay_alu instid0(VALU_DEP_1) | instskip(NEXT) | instid1(VALU_DEP_1)
	v_and_b32_e32 v61, s52, v61
	v_lshlrev_b32_e32 v61, 2, v61
	ds_load_b32 v61, v61
	s_wait_dscnt 0x0
	v_add_nc_u32_e32 v61, v61, v69
	global_store_b16 v61, v60, s[40:41] scale_offset
	s_wait_xcnt 0x0
	s_or_b32 exec_lo, exec_lo, s18
	v_cmp_lt_u32_e64 s17, v70, v139
	s_and_saveexec_b32 s19, s17
	s_cbranch_execz .LBB1833_1056
.LBB1833_1124:                          ;   in Loop: Header=BB1833_974 Depth=2
	ds_load_u16 v60, v93 offset:2560
	s_wait_dscnt 0x0
	v_cmp_ne_u16_e64 s18, 0x7fff, v60
	s_delay_alu instid0(VALU_DEP_1) | instskip(SKIP_1) | instid1(VALU_DEP_2)
	v_cndmask_b32_e64 v61, 0xffff8000, v60, s18
	v_cmp_lt_i16_e64 s18, -1, v60
	v_and_b32_e32 v61, 0xffff, v61
	s_delay_alu instid0(VALU_DEP_2) | instskip(NEXT) | instid1(VALU_DEP_1)
	v_cndmask_b32_e64 v140, 0xffff8000, -1, s18
	v_dual_lshrrev_b32 v61, s49, v61 :: v_dual_bitop2_b32 v60, v140, v60 bitop3:0x14
	s_delay_alu instid0(VALU_DEP_1) | instskip(NEXT) | instid1(VALU_DEP_1)
	v_and_b32_e32 v61, s52, v61
	v_lshlrev_b32_e32 v61, 2, v61
	ds_load_b32 v61, v61
	s_wait_dscnt 0x0
	v_add_nc_u32_e32 v61, v61, v70
	global_store_b16 v61, v60, s[40:41] scale_offset
	s_wait_xcnt 0x0
	s_or_b32 exec_lo, exec_lo, s19
	v_cmp_lt_u32_e64 s18, v71, v139
	s_and_saveexec_b32 s20, s18
	s_cbranch_execz .LBB1833_1057
.LBB1833_1125:                          ;   in Loop: Header=BB1833_974 Depth=2
	ds_load_u16 v60, v93 offset:3072
	s_wait_dscnt 0x0
	v_cmp_ne_u16_e64 s19, 0x7fff, v60
	s_delay_alu instid0(VALU_DEP_1) | instskip(SKIP_1) | instid1(VALU_DEP_2)
	v_cndmask_b32_e64 v61, 0xffff8000, v60, s19
	v_cmp_lt_i16_e64 s19, -1, v60
	v_and_b32_e32 v61, 0xffff, v61
	s_delay_alu instid0(VALU_DEP_2) | instskip(NEXT) | instid1(VALU_DEP_1)
	v_cndmask_b32_e64 v140, 0xffff8000, -1, s19
	v_dual_lshrrev_b32 v61, s49, v61 :: v_dual_bitop2_b32 v60, v140, v60 bitop3:0x14
	s_delay_alu instid0(VALU_DEP_1) | instskip(NEXT) | instid1(VALU_DEP_1)
	v_and_b32_e32 v61, s52, v61
	v_lshlrev_b32_e32 v61, 2, v61
	ds_load_b32 v61, v61
	s_wait_dscnt 0x0
	v_add_nc_u32_e32 v61, v61, v71
	global_store_b16 v61, v60, s[40:41] scale_offset
	s_wait_xcnt 0x0
	s_or_b32 exec_lo, exec_lo, s20
	v_cmp_lt_u32_e64 s19, v72, v139
	s_and_saveexec_b32 s21, s19
	s_cbranch_execz .LBB1833_1058
.LBB1833_1126:                          ;   in Loop: Header=BB1833_974 Depth=2
	ds_load_u16 v60, v93 offset:3584
	s_wait_dscnt 0x0
	v_cmp_ne_u16_e64 s20, 0x7fff, v60
	s_delay_alu instid0(VALU_DEP_1) | instskip(SKIP_1) | instid1(VALU_DEP_2)
	v_cndmask_b32_e64 v61, 0xffff8000, v60, s20
	v_cmp_lt_i16_e64 s20, -1, v60
	v_and_b32_e32 v61, 0xffff, v61
	s_delay_alu instid0(VALU_DEP_2) | instskip(NEXT) | instid1(VALU_DEP_1)
	v_cndmask_b32_e64 v140, 0xffff8000, -1, s20
	v_dual_lshrrev_b32 v61, s49, v61 :: v_dual_bitop2_b32 v60, v140, v60 bitop3:0x14
	s_delay_alu instid0(VALU_DEP_1) | instskip(NEXT) | instid1(VALU_DEP_1)
	v_and_b32_e32 v61, s52, v61
	v_lshlrev_b32_e32 v61, 2, v61
	ds_load_b32 v61, v61
	s_wait_dscnt 0x0
	v_add_nc_u32_e32 v61, v61, v72
	global_store_b16 v61, v60, s[40:41] scale_offset
	s_wait_xcnt 0x0
	s_or_b32 exec_lo, exec_lo, s21
	v_cmp_lt_u32_e64 s20, v73, v139
	s_and_saveexec_b32 s22, s20
	s_cbranch_execz .LBB1833_1059
.LBB1833_1127:                          ;   in Loop: Header=BB1833_974 Depth=2
	ds_load_u16 v60, v93 offset:4096
	s_wait_dscnt 0x0
	v_cmp_ne_u16_e64 s21, 0x7fff, v60
	s_delay_alu instid0(VALU_DEP_1) | instskip(SKIP_1) | instid1(VALU_DEP_2)
	v_cndmask_b32_e64 v61, 0xffff8000, v60, s21
	v_cmp_lt_i16_e64 s21, -1, v60
	v_and_b32_e32 v61, 0xffff, v61
	s_delay_alu instid0(VALU_DEP_2) | instskip(NEXT) | instid1(VALU_DEP_1)
	v_cndmask_b32_e64 v140, 0xffff8000, -1, s21
	v_dual_lshrrev_b32 v61, s49, v61 :: v_dual_bitop2_b32 v60, v140, v60 bitop3:0x14
	s_delay_alu instid0(VALU_DEP_1) | instskip(NEXT) | instid1(VALU_DEP_1)
	v_and_b32_e32 v61, s52, v61
	v_lshlrev_b32_e32 v61, 2, v61
	ds_load_b32 v61, v61
	s_wait_dscnt 0x0
	v_add_nc_u32_e32 v61, v61, v73
	global_store_b16 v61, v60, s[40:41] scale_offset
	s_wait_xcnt 0x0
	s_or_b32 exec_lo, exec_lo, s22
	v_cmp_lt_u32_e64 s21, v74, v139
	s_and_saveexec_b32 s23, s21
	s_cbranch_execz .LBB1833_1060
.LBB1833_1128:                          ;   in Loop: Header=BB1833_974 Depth=2
	ds_load_u16 v60, v93 offset:4608
	s_wait_dscnt 0x0
	v_cmp_ne_u16_e64 s22, 0x7fff, v60
	s_delay_alu instid0(VALU_DEP_1) | instskip(SKIP_1) | instid1(VALU_DEP_2)
	v_cndmask_b32_e64 v61, 0xffff8000, v60, s22
	v_cmp_lt_i16_e64 s22, -1, v60
	v_and_b32_e32 v61, 0xffff, v61
	s_delay_alu instid0(VALU_DEP_2) | instskip(NEXT) | instid1(VALU_DEP_1)
	v_cndmask_b32_e64 v140, 0xffff8000, -1, s22
	v_dual_lshrrev_b32 v61, s49, v61 :: v_dual_bitop2_b32 v60, v140, v60 bitop3:0x14
	s_delay_alu instid0(VALU_DEP_1) | instskip(NEXT) | instid1(VALU_DEP_1)
	v_and_b32_e32 v61, s52, v61
	v_lshlrev_b32_e32 v61, 2, v61
	ds_load_b32 v61, v61
	s_wait_dscnt 0x0
	v_add_nc_u32_e32 v61, v61, v74
	global_store_b16 v61, v60, s[40:41] scale_offset
	s_wait_xcnt 0x0
	s_or_b32 exec_lo, exec_lo, s23
	v_cmp_lt_u32_e64 s22, v75, v139
	s_and_saveexec_b32 s24, s22
	s_cbranch_execz .LBB1833_1061
.LBB1833_1129:                          ;   in Loop: Header=BB1833_974 Depth=2
	ds_load_u16 v60, v93 offset:5120
	s_wait_dscnt 0x0
	v_cmp_ne_u16_e64 s23, 0x7fff, v60
	s_delay_alu instid0(VALU_DEP_1) | instskip(SKIP_1) | instid1(VALU_DEP_2)
	v_cndmask_b32_e64 v61, 0xffff8000, v60, s23
	v_cmp_lt_i16_e64 s23, -1, v60
	v_and_b32_e32 v61, 0xffff, v61
	s_delay_alu instid0(VALU_DEP_2) | instskip(NEXT) | instid1(VALU_DEP_1)
	v_cndmask_b32_e64 v140, 0xffff8000, -1, s23
	v_dual_lshrrev_b32 v61, s49, v61 :: v_dual_bitop2_b32 v60, v140, v60 bitop3:0x14
	s_delay_alu instid0(VALU_DEP_1) | instskip(NEXT) | instid1(VALU_DEP_1)
	v_and_b32_e32 v61, s52, v61
	v_lshlrev_b32_e32 v61, 2, v61
	ds_load_b32 v61, v61
	s_wait_dscnt 0x0
	v_add_nc_u32_e32 v61, v61, v75
	global_store_b16 v61, v60, s[40:41] scale_offset
	s_wait_xcnt 0x0
	s_or_b32 exec_lo, exec_lo, s24
	v_cmp_lt_u32_e64 s23, v76, v139
	s_and_saveexec_b32 s25, s23
	s_cbranch_execz .LBB1833_1062
.LBB1833_1130:                          ;   in Loop: Header=BB1833_974 Depth=2
	ds_load_u16 v60, v93 offset:5632
	s_wait_dscnt 0x0
	v_cmp_ne_u16_e64 s24, 0x7fff, v60
	s_delay_alu instid0(VALU_DEP_1) | instskip(SKIP_1) | instid1(VALU_DEP_2)
	v_cndmask_b32_e64 v61, 0xffff8000, v60, s24
	v_cmp_lt_i16_e64 s24, -1, v60
	v_and_b32_e32 v61, 0xffff, v61
	s_delay_alu instid0(VALU_DEP_2) | instskip(NEXT) | instid1(VALU_DEP_1)
	v_cndmask_b32_e64 v140, 0xffff8000, -1, s24
	v_dual_lshrrev_b32 v61, s49, v61 :: v_dual_bitop2_b32 v60, v140, v60 bitop3:0x14
	s_delay_alu instid0(VALU_DEP_1) | instskip(NEXT) | instid1(VALU_DEP_1)
	v_and_b32_e32 v61, s52, v61
	v_lshlrev_b32_e32 v61, 2, v61
	ds_load_b32 v61, v61
	s_wait_dscnt 0x0
	v_add_nc_u32_e32 v61, v61, v76
	global_store_b16 v61, v60, s[40:41] scale_offset
	s_wait_xcnt 0x0
	s_or_b32 exec_lo, exec_lo, s25
	v_cmp_lt_u32_e64 s24, v77, v139
	s_and_saveexec_b32 s26, s24
	s_cbranch_execz .LBB1833_1063
.LBB1833_1131:                          ;   in Loop: Header=BB1833_974 Depth=2
	ds_load_u16 v60, v93 offset:6144
	s_wait_dscnt 0x0
	v_cmp_ne_u16_e64 s25, 0x7fff, v60
	s_delay_alu instid0(VALU_DEP_1) | instskip(SKIP_1) | instid1(VALU_DEP_2)
	v_cndmask_b32_e64 v61, 0xffff8000, v60, s25
	v_cmp_lt_i16_e64 s25, -1, v60
	v_and_b32_e32 v61, 0xffff, v61
	s_delay_alu instid0(VALU_DEP_2) | instskip(NEXT) | instid1(VALU_DEP_1)
	v_cndmask_b32_e64 v140, 0xffff8000, -1, s25
	v_dual_lshrrev_b32 v61, s49, v61 :: v_dual_bitop2_b32 v60, v140, v60 bitop3:0x14
	s_delay_alu instid0(VALU_DEP_1) | instskip(NEXT) | instid1(VALU_DEP_1)
	v_and_b32_e32 v61, s52, v61
	v_lshlrev_b32_e32 v61, 2, v61
	ds_load_b32 v61, v61
	s_wait_dscnt 0x0
	v_add_nc_u32_e32 v61, v61, v77
	global_store_b16 v61, v60, s[40:41] scale_offset
	s_wait_xcnt 0x0
	s_or_b32 exec_lo, exec_lo, s26
	v_cmp_lt_u32_e64 s25, v78, v139
	s_and_saveexec_b32 s27, s25
	s_cbranch_execz .LBB1833_1064
.LBB1833_1132:                          ;   in Loop: Header=BB1833_974 Depth=2
	ds_load_u16 v60, v93 offset:6656
	s_wait_dscnt 0x0
	v_cmp_ne_u16_e64 s26, 0x7fff, v60
	s_delay_alu instid0(VALU_DEP_1) | instskip(SKIP_1) | instid1(VALU_DEP_2)
	v_cndmask_b32_e64 v61, 0xffff8000, v60, s26
	v_cmp_lt_i16_e64 s26, -1, v60
	v_and_b32_e32 v61, 0xffff, v61
	s_delay_alu instid0(VALU_DEP_2) | instskip(NEXT) | instid1(VALU_DEP_1)
	v_cndmask_b32_e64 v140, 0xffff8000, -1, s26
	v_dual_lshrrev_b32 v61, s49, v61 :: v_dual_bitop2_b32 v60, v140, v60 bitop3:0x14
	s_delay_alu instid0(VALU_DEP_1) | instskip(NEXT) | instid1(VALU_DEP_1)
	v_and_b32_e32 v61, s52, v61
	v_lshlrev_b32_e32 v61, 2, v61
	ds_load_b32 v61, v61
	s_wait_dscnt 0x0
	v_add_nc_u32_e32 v61, v61, v78
	global_store_b16 v61, v60, s[40:41] scale_offset
	s_wait_xcnt 0x0
	s_or_b32 exec_lo, exec_lo, s27
	v_cmp_lt_u32_e64 s26, v79, v139
	s_and_saveexec_b32 s28, s26
	s_cbranch_execz .LBB1833_1065
.LBB1833_1133:                          ;   in Loop: Header=BB1833_974 Depth=2
	ds_load_u16 v60, v93 offset:7168
	s_wait_dscnt 0x0
	v_cmp_ne_u16_e64 s27, 0x7fff, v60
	s_delay_alu instid0(VALU_DEP_1) | instskip(SKIP_1) | instid1(VALU_DEP_2)
	v_cndmask_b32_e64 v61, 0xffff8000, v60, s27
	v_cmp_lt_i16_e64 s27, -1, v60
	v_and_b32_e32 v61, 0xffff, v61
	s_delay_alu instid0(VALU_DEP_2) | instskip(NEXT) | instid1(VALU_DEP_1)
	v_cndmask_b32_e64 v140, 0xffff8000, -1, s27
	v_dual_lshrrev_b32 v61, s49, v61 :: v_dual_bitop2_b32 v60, v140, v60 bitop3:0x14
	s_delay_alu instid0(VALU_DEP_1) | instskip(NEXT) | instid1(VALU_DEP_1)
	v_and_b32_e32 v61, s52, v61
	v_lshlrev_b32_e32 v61, 2, v61
	ds_load_b32 v61, v61
	s_wait_dscnt 0x0
	v_add_nc_u32_e32 v61, v61, v79
	global_store_b16 v61, v60, s[40:41] scale_offset
	s_wait_xcnt 0x0
	s_or_b32 exec_lo, exec_lo, s28
	v_cmp_lt_u32_e64 s27, v80, v139
	s_and_saveexec_b32 s29, s27
	s_cbranch_execz .LBB1833_1066
.LBB1833_1134:                          ;   in Loop: Header=BB1833_974 Depth=2
	ds_load_u16 v60, v93 offset:7680
	s_wait_dscnt 0x0
	v_cmp_ne_u16_e64 s28, 0x7fff, v60
	s_delay_alu instid0(VALU_DEP_1) | instskip(SKIP_1) | instid1(VALU_DEP_2)
	v_cndmask_b32_e64 v61, 0xffff8000, v60, s28
	v_cmp_lt_i16_e64 s28, -1, v60
	v_and_b32_e32 v61, 0xffff, v61
	s_delay_alu instid0(VALU_DEP_2) | instskip(NEXT) | instid1(VALU_DEP_1)
	v_cndmask_b32_e64 v140, 0xffff8000, -1, s28
	v_dual_lshrrev_b32 v61, s49, v61 :: v_dual_bitop2_b32 v60, v140, v60 bitop3:0x14
	s_delay_alu instid0(VALU_DEP_1) | instskip(NEXT) | instid1(VALU_DEP_1)
	v_and_b32_e32 v61, s52, v61
	v_lshlrev_b32_e32 v61, 2, v61
	ds_load_b32 v61, v61
	s_wait_dscnt 0x0
	v_add_nc_u32_e32 v61, v61, v80
	global_store_b16 v61, v60, s[40:41] scale_offset
	s_wait_xcnt 0x0
	s_or_b32 exec_lo, exec_lo, s29
	v_cmp_lt_u32_e64 s28, v81, v139
	s_and_saveexec_b32 s30, s28
	s_cbranch_execz .LBB1833_1067
.LBB1833_1135:                          ;   in Loop: Header=BB1833_974 Depth=2
	ds_load_u16 v60, v93 offset:8192
	s_wait_dscnt 0x0
	v_cmp_ne_u16_e64 s29, 0x7fff, v60
	s_delay_alu instid0(VALU_DEP_1) | instskip(SKIP_1) | instid1(VALU_DEP_2)
	v_cndmask_b32_e64 v61, 0xffff8000, v60, s29
	v_cmp_lt_i16_e64 s29, -1, v60
	v_and_b32_e32 v61, 0xffff, v61
	s_delay_alu instid0(VALU_DEP_2) | instskip(NEXT) | instid1(VALU_DEP_1)
	v_cndmask_b32_e64 v140, 0xffff8000, -1, s29
	v_dual_lshrrev_b32 v61, s49, v61 :: v_dual_bitop2_b32 v60, v140, v60 bitop3:0x14
	s_delay_alu instid0(VALU_DEP_1) | instskip(NEXT) | instid1(VALU_DEP_1)
	v_and_b32_e32 v61, s52, v61
	v_lshlrev_b32_e32 v61, 2, v61
	ds_load_b32 v61, v61
	s_wait_dscnt 0x0
	v_add_nc_u32_e32 v61, v61, v81
	global_store_b16 v61, v60, s[40:41] scale_offset
	s_wait_xcnt 0x0
	s_or_b32 exec_lo, exec_lo, s30
	v_cmp_lt_u32_e64 s29, v82, v139
	s_and_saveexec_b32 s58, s29
	s_cbranch_execnz .LBB1833_1068
	s_branch .LBB1833_1069
.LBB1833_1136:                          ;   in Loop: Header=BB1833_974 Depth=2
	global_load_b64 v[58:59], v[60:61], off
	s_wait_xcnt 0x0
	s_or_b32 exec_lo, exec_lo, s30
	s_delay_alu instid0(SALU_CYCLE_1)
	s_mov_b32 s42, exec_lo
	v_cmpx_lt_u32_e64 v103, v139
	s_cbranch_execz .LBB1833_1071
.LBB1833_1137:                          ;   in Loop: Header=BB1833_974 Depth=2
	global_load_b64 v[56:57], v[60:61], off offset:256
	s_wait_xcnt 0x0
	s_or_b32 exec_lo, exec_lo, s42
	s_delay_alu instid0(SALU_CYCLE_1)
	s_mov_b32 s42, exec_lo
	v_cmpx_lt_u32_e64 v104, v139
	s_cbranch_execz .LBB1833_1072
.LBB1833_1138:                          ;   in Loop: Header=BB1833_974 Depth=2
	global_load_b64 v[54:55], v[60:61], off offset:512
	s_wait_xcnt 0x0
	s_or_b32 exec_lo, exec_lo, s42
	s_delay_alu instid0(SALU_CYCLE_1)
	s_mov_b32 s42, exec_lo
	v_cmpx_lt_u32_e64 v105, v139
	s_cbranch_execz .LBB1833_1073
.LBB1833_1139:                          ;   in Loop: Header=BB1833_974 Depth=2
	global_load_b64 v[52:53], v[60:61], off offset:768
	s_wait_xcnt 0x0
	s_or_b32 exec_lo, exec_lo, s42
	s_delay_alu instid0(SALU_CYCLE_1)
	s_mov_b32 s42, exec_lo
	v_cmpx_lt_u32_e64 v106, v139
	s_cbranch_execz .LBB1833_1074
.LBB1833_1140:                          ;   in Loop: Header=BB1833_974 Depth=2
	global_load_b64 v[50:51], v[60:61], off offset:1024
	s_wait_xcnt 0x0
	s_or_b32 exec_lo, exec_lo, s42
	s_delay_alu instid0(SALU_CYCLE_1)
	s_mov_b32 s42, exec_lo
	v_cmpx_lt_u32_e64 v107, v139
	s_cbranch_execz .LBB1833_1075
.LBB1833_1141:                          ;   in Loop: Header=BB1833_974 Depth=2
	global_load_b64 v[48:49], v[60:61], off offset:1280
	s_wait_xcnt 0x0
	s_or_b32 exec_lo, exec_lo, s42
	s_delay_alu instid0(SALU_CYCLE_1)
	s_mov_b32 s42, exec_lo
	v_cmpx_lt_u32_e64 v108, v139
	s_cbranch_execz .LBB1833_1076
.LBB1833_1142:                          ;   in Loop: Header=BB1833_974 Depth=2
	global_load_b64 v[46:47], v[60:61], off offset:1536
	s_wait_xcnt 0x0
	s_or_b32 exec_lo, exec_lo, s42
	s_delay_alu instid0(SALU_CYCLE_1)
	s_mov_b32 s42, exec_lo
	v_cmpx_lt_u32_e64 v109, v139
	s_cbranch_execz .LBB1833_1077
.LBB1833_1143:                          ;   in Loop: Header=BB1833_974 Depth=2
	global_load_b64 v[44:45], v[60:61], off offset:1792
	s_wait_xcnt 0x0
	s_or_b32 exec_lo, exec_lo, s42
	s_delay_alu instid0(SALU_CYCLE_1)
	s_mov_b32 s42, exec_lo
	v_cmpx_lt_u32_e64 v110, v139
	s_cbranch_execz .LBB1833_1078
.LBB1833_1144:                          ;   in Loop: Header=BB1833_974 Depth=2
	global_load_b64 v[42:43], v[60:61], off offset:2048
	s_wait_xcnt 0x0
	s_or_b32 exec_lo, exec_lo, s42
	s_delay_alu instid0(SALU_CYCLE_1)
	s_mov_b32 s42, exec_lo
	v_cmpx_lt_u32_e64 v111, v139
	s_cbranch_execz .LBB1833_1079
.LBB1833_1145:                          ;   in Loop: Header=BB1833_974 Depth=2
	global_load_b64 v[40:41], v[60:61], off offset:2304
	s_wait_xcnt 0x0
	s_or_b32 exec_lo, exec_lo, s42
	s_delay_alu instid0(SALU_CYCLE_1)
	s_mov_b32 s42, exec_lo
	v_cmpx_lt_u32_e64 v112, v139
	s_cbranch_execz .LBB1833_1080
.LBB1833_1146:                          ;   in Loop: Header=BB1833_974 Depth=2
	global_load_b64 v[38:39], v[60:61], off offset:2560
	s_wait_xcnt 0x0
	s_or_b32 exec_lo, exec_lo, s42
	s_delay_alu instid0(SALU_CYCLE_1)
	s_mov_b32 s42, exec_lo
	v_cmpx_lt_u32_e64 v113, v139
	s_cbranch_execz .LBB1833_1081
.LBB1833_1147:                          ;   in Loop: Header=BB1833_974 Depth=2
	global_load_b64 v[36:37], v[60:61], off offset:2816
	s_wait_xcnt 0x0
	s_or_b32 exec_lo, exec_lo, s42
	s_delay_alu instid0(SALU_CYCLE_1)
	s_mov_b32 s42, exec_lo
	v_cmpx_lt_u32_e64 v114, v139
	s_cbranch_execz .LBB1833_1082
.LBB1833_1148:                          ;   in Loop: Header=BB1833_974 Depth=2
	global_load_b64 v[34:35], v[60:61], off offset:3072
	s_wait_xcnt 0x0
	s_or_b32 exec_lo, exec_lo, s42
	s_delay_alu instid0(SALU_CYCLE_1)
	s_mov_b32 s42, exec_lo
	v_cmpx_lt_u32_e64 v115, v139
	s_cbranch_execz .LBB1833_1083
.LBB1833_1149:                          ;   in Loop: Header=BB1833_974 Depth=2
	global_load_b64 v[32:33], v[60:61], off offset:3328
	s_wait_xcnt 0x0
	s_or_b32 exec_lo, exec_lo, s42
	s_delay_alu instid0(SALU_CYCLE_1)
	s_mov_b32 s42, exec_lo
	v_cmpx_lt_u32_e64 v116, v139
	s_cbranch_execz .LBB1833_1084
.LBB1833_1150:                          ;   in Loop: Header=BB1833_974 Depth=2
	global_load_b64 v[30:31], v[60:61], off offset:3584
	s_wait_xcnt 0x0
	s_or_b32 exec_lo, exec_lo, s42
	s_delay_alu instid0(SALU_CYCLE_1)
	s_mov_b32 s42, exec_lo
	v_cmpx_lt_u32_e64 v117, v139
	s_cbranch_execz .LBB1833_1085
.LBB1833_1151:                          ;   in Loop: Header=BB1833_974 Depth=2
	global_load_b64 v[28:29], v[60:61], off offset:3840
	s_wait_xcnt 0x0
	s_or_b32 exec_lo, exec_lo, s42
	s_and_saveexec_b32 s42, vcc_lo
	s_cbranch_execz .LBB1833_1086
.LBB1833_1152:                          ;   in Loop: Header=BB1833_974 Depth=2
	ds_load_u16 v60, v93 offset:1024
	s_wait_dscnt 0x0
	v_cmp_ne_u16_e64 s30, 0x7fff, v60
	s_delay_alu instid0(VALU_DEP_1) | instskip(NEXT) | instid1(VALU_DEP_1)
	v_cndmask_b32_e64 v60, 0xffff8000, v60, s30
	v_and_b32_e32 v60, 0xffff, v60
	s_delay_alu instid0(VALU_DEP_1) | instskip(NEXT) | instid1(VALU_DEP_1)
	v_lshrrev_b32_e32 v60, s49, v60
	v_and_b32_e32 v138, s52, v60
	s_or_b32 exec_lo, exec_lo, s42
	s_and_saveexec_b32 s42, s15
	s_cbranch_execz .LBB1833_1087
.LBB1833_1153:                          ;   in Loop: Header=BB1833_974 Depth=2
	ds_load_u16 v60, v93 offset:1536
	s_wait_dscnt 0x0
	v_cmp_ne_u16_e64 s30, 0x7fff, v60
	s_delay_alu instid0(VALU_DEP_1) | instskip(NEXT) | instid1(VALU_DEP_1)
	v_cndmask_b32_e64 v60, 0xffff8000, v60, s30
	v_and_b32_e32 v60, 0xffff, v60
	s_delay_alu instid0(VALU_DEP_1) | instskip(NEXT) | instid1(VALU_DEP_1)
	v_lshrrev_b32_e32 v60, s49, v60
	v_and_b32_e32 v137, s52, v60
	s_or_b32 exec_lo, exec_lo, s42
	s_and_saveexec_b32 s42, s16
	s_cbranch_execz .LBB1833_1088
.LBB1833_1154:                          ;   in Loop: Header=BB1833_974 Depth=2
	ds_load_u16 v60, v93 offset:2048
	s_wait_dscnt 0x0
	v_cmp_ne_u16_e64 s30, 0x7fff, v60
	s_delay_alu instid0(VALU_DEP_1) | instskip(NEXT) | instid1(VALU_DEP_1)
	v_cndmask_b32_e64 v60, 0xffff8000, v60, s30
	v_and_b32_e32 v60, 0xffff, v60
	s_delay_alu instid0(VALU_DEP_1) | instskip(NEXT) | instid1(VALU_DEP_1)
	v_lshrrev_b32_e32 v60, s49, v60
	v_and_b32_e32 v136, s52, v60
	s_or_b32 exec_lo, exec_lo, s42
	s_and_saveexec_b32 s42, s17
	s_cbranch_execz .LBB1833_1089
.LBB1833_1155:                          ;   in Loop: Header=BB1833_974 Depth=2
	ds_load_u16 v60, v93 offset:2560
	s_wait_dscnt 0x0
	v_cmp_ne_u16_e64 s30, 0x7fff, v60
	s_delay_alu instid0(VALU_DEP_1) | instskip(NEXT) | instid1(VALU_DEP_1)
	v_cndmask_b32_e64 v60, 0xffff8000, v60, s30
	v_and_b32_e32 v60, 0xffff, v60
	s_delay_alu instid0(VALU_DEP_1) | instskip(NEXT) | instid1(VALU_DEP_1)
	v_lshrrev_b32_e32 v60, s49, v60
	v_and_b32_e32 v135, s52, v60
	s_or_b32 exec_lo, exec_lo, s42
	s_and_saveexec_b32 s42, s18
	s_cbranch_execz .LBB1833_1090
.LBB1833_1156:                          ;   in Loop: Header=BB1833_974 Depth=2
	ds_load_u16 v60, v93 offset:3072
	s_wait_dscnt 0x0
	v_cmp_ne_u16_e64 s30, 0x7fff, v60
	s_delay_alu instid0(VALU_DEP_1) | instskip(NEXT) | instid1(VALU_DEP_1)
	v_cndmask_b32_e64 v60, 0xffff8000, v60, s30
	v_and_b32_e32 v60, 0xffff, v60
	s_delay_alu instid0(VALU_DEP_1) | instskip(NEXT) | instid1(VALU_DEP_1)
	v_lshrrev_b32_e32 v60, s49, v60
	v_and_b32_e32 v134, s52, v60
	s_or_b32 exec_lo, exec_lo, s42
	s_and_saveexec_b32 s42, s19
	s_cbranch_execz .LBB1833_1091
.LBB1833_1157:                          ;   in Loop: Header=BB1833_974 Depth=2
	ds_load_u16 v60, v93 offset:3584
	s_wait_dscnt 0x0
	v_cmp_ne_u16_e64 s30, 0x7fff, v60
	s_delay_alu instid0(VALU_DEP_1) | instskip(NEXT) | instid1(VALU_DEP_1)
	v_cndmask_b32_e64 v60, 0xffff8000, v60, s30
	v_and_b32_e32 v60, 0xffff, v60
	s_delay_alu instid0(VALU_DEP_1) | instskip(NEXT) | instid1(VALU_DEP_1)
	v_lshrrev_b32_e32 v60, s49, v60
	v_and_b32_e32 v133, s52, v60
	s_or_b32 exec_lo, exec_lo, s42
	s_and_saveexec_b32 s42, s20
	s_cbranch_execz .LBB1833_1092
.LBB1833_1158:                          ;   in Loop: Header=BB1833_974 Depth=2
	ds_load_u16 v60, v93 offset:4096
	s_wait_dscnt 0x0
	v_cmp_ne_u16_e64 s30, 0x7fff, v60
	s_delay_alu instid0(VALU_DEP_1) | instskip(NEXT) | instid1(VALU_DEP_1)
	v_cndmask_b32_e64 v60, 0xffff8000, v60, s30
	v_and_b32_e32 v60, 0xffff, v60
	s_delay_alu instid0(VALU_DEP_1) | instskip(NEXT) | instid1(VALU_DEP_1)
	v_lshrrev_b32_e32 v60, s49, v60
	v_and_b32_e32 v132, s52, v60
	s_or_b32 exec_lo, exec_lo, s42
	s_and_saveexec_b32 s42, s21
	s_cbranch_execz .LBB1833_1093
.LBB1833_1159:                          ;   in Loop: Header=BB1833_974 Depth=2
	ds_load_u16 v60, v93 offset:4608
	s_wait_dscnt 0x0
	v_cmp_ne_u16_e64 s30, 0x7fff, v60
	s_delay_alu instid0(VALU_DEP_1) | instskip(NEXT) | instid1(VALU_DEP_1)
	v_cndmask_b32_e64 v60, 0xffff8000, v60, s30
	v_and_b32_e32 v60, 0xffff, v60
	s_delay_alu instid0(VALU_DEP_1) | instskip(NEXT) | instid1(VALU_DEP_1)
	v_lshrrev_b32_e32 v60, s49, v60
	v_and_b32_e32 v131, s52, v60
	s_or_b32 exec_lo, exec_lo, s42
	s_and_saveexec_b32 s42, s22
	s_cbranch_execz .LBB1833_1094
.LBB1833_1160:                          ;   in Loop: Header=BB1833_974 Depth=2
	ds_load_u16 v60, v93 offset:5120
	s_wait_dscnt 0x0
	v_cmp_ne_u16_e64 s30, 0x7fff, v60
	s_delay_alu instid0(VALU_DEP_1) | instskip(NEXT) | instid1(VALU_DEP_1)
	v_cndmask_b32_e64 v60, 0xffff8000, v60, s30
	v_and_b32_e32 v60, 0xffff, v60
	s_delay_alu instid0(VALU_DEP_1) | instskip(NEXT) | instid1(VALU_DEP_1)
	v_lshrrev_b32_e32 v60, s49, v60
	v_and_b32_e32 v130, s52, v60
	s_or_b32 exec_lo, exec_lo, s42
	s_and_saveexec_b32 s42, s23
	s_cbranch_execz .LBB1833_1095
.LBB1833_1161:                          ;   in Loop: Header=BB1833_974 Depth=2
	ds_load_u16 v60, v93 offset:5632
	s_wait_dscnt 0x0
	v_cmp_ne_u16_e64 s30, 0x7fff, v60
	s_delay_alu instid0(VALU_DEP_1) | instskip(NEXT) | instid1(VALU_DEP_1)
	v_cndmask_b32_e64 v60, 0xffff8000, v60, s30
	v_and_b32_e32 v60, 0xffff, v60
	s_delay_alu instid0(VALU_DEP_1) | instskip(NEXT) | instid1(VALU_DEP_1)
	v_lshrrev_b32_e32 v60, s49, v60
	v_and_b32_e32 v129, s52, v60
	s_or_b32 exec_lo, exec_lo, s42
	s_and_saveexec_b32 s42, s24
	s_cbranch_execz .LBB1833_1096
.LBB1833_1162:                          ;   in Loop: Header=BB1833_974 Depth=2
	ds_load_u16 v60, v93 offset:6144
	s_wait_dscnt 0x0
	v_cmp_ne_u16_e64 s30, 0x7fff, v60
	s_delay_alu instid0(VALU_DEP_1) | instskip(NEXT) | instid1(VALU_DEP_1)
	v_cndmask_b32_e64 v60, 0xffff8000, v60, s30
	v_and_b32_e32 v60, 0xffff, v60
	s_delay_alu instid0(VALU_DEP_1) | instskip(NEXT) | instid1(VALU_DEP_1)
	v_lshrrev_b32_e32 v60, s49, v60
	v_and_b32_e32 v128, s52, v60
	s_or_b32 exec_lo, exec_lo, s42
	s_and_saveexec_b32 s42, s25
	s_cbranch_execz .LBB1833_1097
.LBB1833_1163:                          ;   in Loop: Header=BB1833_974 Depth=2
	ds_load_u16 v60, v93 offset:6656
	s_wait_dscnt 0x0
	v_cmp_ne_u16_e64 s30, 0x7fff, v60
	s_delay_alu instid0(VALU_DEP_1) | instskip(NEXT) | instid1(VALU_DEP_1)
	v_cndmask_b32_e64 v60, 0xffff8000, v60, s30
	v_and_b32_e32 v60, 0xffff, v60
	s_delay_alu instid0(VALU_DEP_1) | instskip(NEXT) | instid1(VALU_DEP_1)
	v_lshrrev_b32_e32 v60, s49, v60
	v_and_b32_e32 v127, s52, v60
	s_or_b32 exec_lo, exec_lo, s42
	s_and_saveexec_b32 s42, s26
	s_cbranch_execz .LBB1833_1098
.LBB1833_1164:                          ;   in Loop: Header=BB1833_974 Depth=2
	ds_load_u16 v60, v93 offset:7168
	s_wait_dscnt 0x0
	v_cmp_ne_u16_e64 s30, 0x7fff, v60
	s_delay_alu instid0(VALU_DEP_1) | instskip(NEXT) | instid1(VALU_DEP_1)
	v_cndmask_b32_e64 v60, 0xffff8000, v60, s30
	v_and_b32_e32 v60, 0xffff, v60
	s_delay_alu instid0(VALU_DEP_1) | instskip(NEXT) | instid1(VALU_DEP_1)
	v_lshrrev_b32_e32 v60, s49, v60
	v_and_b32_e32 v126, s52, v60
	s_or_b32 exec_lo, exec_lo, s42
	s_and_saveexec_b32 s42, s27
	s_cbranch_execz .LBB1833_1099
.LBB1833_1165:                          ;   in Loop: Header=BB1833_974 Depth=2
	ds_load_u16 v60, v93 offset:7680
	s_wait_dscnt 0x0
	v_cmp_ne_u16_e64 s30, 0x7fff, v60
	s_delay_alu instid0(VALU_DEP_1) | instskip(NEXT) | instid1(VALU_DEP_1)
	v_cndmask_b32_e64 v60, 0xffff8000, v60, s30
	v_and_b32_e32 v60, 0xffff, v60
	s_delay_alu instid0(VALU_DEP_1) | instskip(NEXT) | instid1(VALU_DEP_1)
	v_lshrrev_b32_e32 v60, s49, v60
	v_and_b32_e32 v125, s52, v60
	s_or_b32 exec_lo, exec_lo, s42
	s_and_saveexec_b32 s42, s28
	s_cbranch_execz .LBB1833_1100
.LBB1833_1166:                          ;   in Loop: Header=BB1833_974 Depth=2
	ds_load_u16 v60, v93 offset:8192
	s_wait_dscnt 0x0
	v_cmp_ne_u16_e64 s30, 0x7fff, v60
	s_delay_alu instid0(VALU_DEP_1) | instskip(NEXT) | instid1(VALU_DEP_1)
	v_cndmask_b32_e64 v60, 0xffff8000, v60, s30
	v_and_b32_e32 v60, 0xffff, v60
	s_delay_alu instid0(VALU_DEP_1) | instskip(NEXT) | instid1(VALU_DEP_1)
	v_lshrrev_b32_e32 v60, s49, v60
	v_and_b32_e32 v124, s52, v60
	s_or_b32 exec_lo, exec_lo, s42
	s_and_saveexec_b32 s42, s29
	s_cbranch_execnz .LBB1833_1101
	s_branch .LBB1833_1102
.LBB1833_1167:                          ;   in Loop: Header=BB1833_974 Depth=2
	v_lshlrev_b32_e32 v61, 2, v138
	ds_load_b32 v61, v61
	ds_load_b64 v[64:65], v60 offset:1024
	s_wait_dscnt 0x1
	v_add_nc_u32_e32 v61, v61, v2
	s_wait_dscnt 0x0
	global_store_b64 v61, v[64:65], s[46:47] scale_offset
	s_wait_xcnt 0x0
	s_or_b32 exec_lo, exec_lo, s30
	s_and_saveexec_b32 s30, s15
	s_cbranch_execz .LBB1833_1104
.LBB1833_1168:                          ;   in Loop: Header=BB1833_974 Depth=2
	v_lshlrev_b32_e32 v61, 2, v137
	ds_load_b32 v61, v61
	ds_load_b64 v[64:65], v60 offset:3072
	s_wait_dscnt 0x1
	v_add_nc_u32_e32 v61, v61, v68
	s_wait_dscnt 0x0
	global_store_b64 v61, v[64:65], s[46:47] scale_offset
	s_wait_xcnt 0x0
	s_or_b32 exec_lo, exec_lo, s30
	s_and_saveexec_b32 s15, s16
	s_cbranch_execz .LBB1833_1105
.LBB1833_1169:                          ;   in Loop: Header=BB1833_974 Depth=2
	v_lshlrev_b32_e32 v61, 2, v136
	ds_load_b32 v61, v61
	ds_load_b64 v[64:65], v60 offset:5120
	s_wait_dscnt 0x1
	v_add_nc_u32_e32 v61, v61, v69
	s_wait_dscnt 0x0
	global_store_b64 v61, v[64:65], s[46:47] scale_offset
	s_wait_xcnt 0x0
	s_or_b32 exec_lo, exec_lo, s15
	s_and_saveexec_b32 s15, s17
	s_cbranch_execz .LBB1833_1106
.LBB1833_1170:                          ;   in Loop: Header=BB1833_974 Depth=2
	v_lshlrev_b32_e32 v61, 2, v135
	ds_load_b32 v61, v61
	ds_load_b64 v[64:65], v60 offset:7168
	s_wait_dscnt 0x1
	v_add_nc_u32_e32 v61, v61, v70
	s_wait_dscnt 0x0
	global_store_b64 v61, v[64:65], s[46:47] scale_offset
	s_wait_xcnt 0x0
	s_or_b32 exec_lo, exec_lo, s15
	s_and_saveexec_b32 s15, s18
	s_cbranch_execz .LBB1833_1107
.LBB1833_1171:                          ;   in Loop: Header=BB1833_974 Depth=2
	v_lshlrev_b32_e32 v61, 2, v134
	ds_load_b32 v61, v61
	ds_load_b64 v[64:65], v60 offset:9216
	s_wait_dscnt 0x1
	v_add_nc_u32_e32 v61, v61, v71
	s_wait_dscnt 0x0
	global_store_b64 v61, v[64:65], s[46:47] scale_offset
	s_wait_xcnt 0x0
	s_or_b32 exec_lo, exec_lo, s15
	s_and_saveexec_b32 s15, s19
	s_cbranch_execz .LBB1833_1108
.LBB1833_1172:                          ;   in Loop: Header=BB1833_974 Depth=2
	v_lshlrev_b32_e32 v61, 2, v133
	ds_load_b32 v61, v61
	ds_load_b64 v[64:65], v60 offset:11264
	s_wait_dscnt 0x1
	v_add_nc_u32_e32 v61, v61, v72
	s_wait_dscnt 0x0
	global_store_b64 v61, v[64:65], s[46:47] scale_offset
	s_wait_xcnt 0x0
	s_or_b32 exec_lo, exec_lo, s15
	s_and_saveexec_b32 s15, s20
	s_cbranch_execz .LBB1833_1109
.LBB1833_1173:                          ;   in Loop: Header=BB1833_974 Depth=2
	v_lshlrev_b32_e32 v61, 2, v132
	ds_load_b32 v61, v61
	ds_load_b64 v[64:65], v60 offset:13312
	s_wait_dscnt 0x1
	v_add_nc_u32_e32 v61, v61, v73
	s_wait_dscnt 0x0
	global_store_b64 v61, v[64:65], s[46:47] scale_offset
	s_wait_xcnt 0x0
	s_or_b32 exec_lo, exec_lo, s15
	s_and_saveexec_b32 s15, s21
	s_cbranch_execz .LBB1833_1110
.LBB1833_1174:                          ;   in Loop: Header=BB1833_974 Depth=2
	v_lshlrev_b32_e32 v61, 2, v131
	ds_load_b32 v61, v61
	ds_load_b64 v[64:65], v60 offset:15360
	s_wait_dscnt 0x1
	v_add_nc_u32_e32 v61, v61, v74
	s_wait_dscnt 0x0
	global_store_b64 v61, v[64:65], s[46:47] scale_offset
	s_wait_xcnt 0x0
	s_or_b32 exec_lo, exec_lo, s15
	s_and_saveexec_b32 s15, s22
	s_cbranch_execz .LBB1833_1111
.LBB1833_1175:                          ;   in Loop: Header=BB1833_974 Depth=2
	v_lshlrev_b32_e32 v61, 2, v130
	ds_load_b32 v61, v61
	ds_load_b64 v[64:65], v60 offset:17408
	s_wait_dscnt 0x1
	v_add_nc_u32_e32 v61, v61, v75
	s_wait_dscnt 0x0
	global_store_b64 v61, v[64:65], s[46:47] scale_offset
	s_wait_xcnt 0x0
	s_or_b32 exec_lo, exec_lo, s15
	s_and_saveexec_b32 s15, s23
	s_cbranch_execz .LBB1833_1112
.LBB1833_1176:                          ;   in Loop: Header=BB1833_974 Depth=2
	v_lshlrev_b32_e32 v61, 2, v129
	ds_load_b32 v61, v61
	ds_load_b64 v[64:65], v60 offset:19456
	s_wait_dscnt 0x1
	v_add_nc_u32_e32 v61, v61, v76
	s_wait_dscnt 0x0
	global_store_b64 v61, v[64:65], s[46:47] scale_offset
	s_wait_xcnt 0x0
	s_or_b32 exec_lo, exec_lo, s15
	s_and_saveexec_b32 s15, s24
	s_cbranch_execz .LBB1833_1113
.LBB1833_1177:                          ;   in Loop: Header=BB1833_974 Depth=2
	v_lshlrev_b32_e32 v61, 2, v128
	ds_load_b32 v61, v61
	ds_load_b64 v[64:65], v60 offset:21504
	s_wait_dscnt 0x1
	v_add_nc_u32_e32 v61, v61, v77
	s_wait_dscnt 0x0
	global_store_b64 v61, v[64:65], s[46:47] scale_offset
	s_wait_xcnt 0x0
	s_or_b32 exec_lo, exec_lo, s15
	s_and_saveexec_b32 s15, s25
	s_cbranch_execz .LBB1833_1114
.LBB1833_1178:                          ;   in Loop: Header=BB1833_974 Depth=2
	v_lshlrev_b32_e32 v61, 2, v127
	ds_load_b32 v61, v61
	ds_load_b64 v[64:65], v60 offset:23552
	s_wait_dscnt 0x1
	v_add_nc_u32_e32 v61, v61, v78
	s_wait_dscnt 0x0
	global_store_b64 v61, v[64:65], s[46:47] scale_offset
	s_wait_xcnt 0x0
	s_or_b32 exec_lo, exec_lo, s15
	s_and_saveexec_b32 s15, s26
	s_cbranch_execz .LBB1833_1115
.LBB1833_1179:                          ;   in Loop: Header=BB1833_974 Depth=2
	v_lshlrev_b32_e32 v61, 2, v126
	ds_load_b32 v61, v61
	ds_load_b64 v[64:65], v60 offset:25600
	s_wait_dscnt 0x1
	v_add_nc_u32_e32 v61, v61, v79
	s_wait_dscnt 0x0
	global_store_b64 v61, v[64:65], s[46:47] scale_offset
	s_wait_xcnt 0x0
	s_or_b32 exec_lo, exec_lo, s15
	s_and_saveexec_b32 s15, s27
	s_cbranch_execz .LBB1833_1116
.LBB1833_1180:                          ;   in Loop: Header=BB1833_974 Depth=2
	v_lshlrev_b32_e32 v61, 2, v125
	ds_load_b32 v61, v61
	ds_load_b64 v[64:65], v60 offset:27648
	s_wait_dscnt 0x1
	v_add_nc_u32_e32 v61, v61, v80
	s_wait_dscnt 0x0
	global_store_b64 v61, v[64:65], s[46:47] scale_offset
	s_wait_xcnt 0x0
	s_or_b32 exec_lo, exec_lo, s15
	s_and_saveexec_b32 s15, s28
	s_cbranch_execz .LBB1833_1117
.LBB1833_1181:                          ;   in Loop: Header=BB1833_974 Depth=2
	v_lshlrev_b32_e32 v61, 2, v124
	ds_load_b32 v61, v61
	ds_load_b64 v[64:65], v60 offset:29696
	s_wait_dscnt 0x1
	v_add_nc_u32_e32 v61, v61, v81
	s_wait_dscnt 0x0
	global_store_b64 v61, v[64:65], s[46:47] scale_offset
	s_wait_xcnt 0x0
	s_or_b32 exec_lo, exec_lo, s15
	s_and_saveexec_b32 s15, s29
	s_cbranch_execnz .LBB1833_1118
	s_branch .LBB1833_1119
.LBB1833_1182:
	s_endpgm
	.section	.rodata,"a",@progbits
	.p2align	6, 0x0
	.amdhsa_kernel _ZN7rocprim17ROCPRIM_400000_NS6detail17trampoline_kernelINS0_14default_configENS1_36segmented_radix_sort_config_selectorI6__halflEEZNS1_25segmented_radix_sort_implIS3_Lb0EPKS5_PS5_PKlPlN2at6native12_GLOBAL__N_18offset_tEEE10hipError_tPvRmT1_PNSt15iterator_traitsISL_E10value_typeET2_T3_PNSM_ISR_E10value_typeET4_jRbjT5_SX_jjP12ihipStream_tbEUlT_E_NS1_11comp_targetILNS1_3genE0ELNS1_11target_archE4294967295ELNS1_3gpuE0ELNS1_3repE0EEENS1_30default_config_static_selectorELNS0_4arch9wavefront6targetE0EEEvSL_
		.amdhsa_group_segment_fixed_size 33824
		.amdhsa_private_segment_fixed_size 0
		.amdhsa_kernarg_size 352
		.amdhsa_user_sgpr_count 4
		.amdhsa_user_sgpr_dispatch_ptr 0
		.amdhsa_user_sgpr_queue_ptr 1
		.amdhsa_user_sgpr_kernarg_segment_ptr 1
		.amdhsa_user_sgpr_dispatch_id 0
		.amdhsa_user_sgpr_kernarg_preload_length 0
		.amdhsa_user_sgpr_kernarg_preload_offset 0
		.amdhsa_user_sgpr_private_segment_size 0
		.amdhsa_wavefront_size32 1
		.amdhsa_uses_dynamic_stack 0
		.amdhsa_enable_private_segment 0
		.amdhsa_system_sgpr_workgroup_id_x 1
		.amdhsa_system_sgpr_workgroup_id_y 1
		.amdhsa_system_sgpr_workgroup_id_z 0
		.amdhsa_system_sgpr_workgroup_info 0
		.amdhsa_system_vgpr_workitem_id 2
		.amdhsa_next_free_vgpr 304
		.amdhsa_next_free_sgpr 59
		.amdhsa_named_barrier_count 0
		.amdhsa_reserve_vcc 1
		.amdhsa_float_round_mode_32 0
		.amdhsa_float_round_mode_16_64 0
		.amdhsa_float_denorm_mode_32 3
		.amdhsa_float_denorm_mode_16_64 3
		.amdhsa_fp16_overflow 0
		.amdhsa_memory_ordered 1
		.amdhsa_forward_progress 1
		.amdhsa_inst_pref_size 255
		.amdhsa_round_robin_scheduling 0
		.amdhsa_exception_fp_ieee_invalid_op 0
		.amdhsa_exception_fp_denorm_src 0
		.amdhsa_exception_fp_ieee_div_zero 0
		.amdhsa_exception_fp_ieee_overflow 0
		.amdhsa_exception_fp_ieee_underflow 0
		.amdhsa_exception_fp_ieee_inexact 0
		.amdhsa_exception_int_div_zero 0
	.end_amdhsa_kernel
	.section	.text._ZN7rocprim17ROCPRIM_400000_NS6detail17trampoline_kernelINS0_14default_configENS1_36segmented_radix_sort_config_selectorI6__halflEEZNS1_25segmented_radix_sort_implIS3_Lb0EPKS5_PS5_PKlPlN2at6native12_GLOBAL__N_18offset_tEEE10hipError_tPvRmT1_PNSt15iterator_traitsISL_E10value_typeET2_T3_PNSM_ISR_E10value_typeET4_jRbjT5_SX_jjP12ihipStream_tbEUlT_E_NS1_11comp_targetILNS1_3genE0ELNS1_11target_archE4294967295ELNS1_3gpuE0ELNS1_3repE0EEENS1_30default_config_static_selectorELNS0_4arch9wavefront6targetE0EEEvSL_,"axG",@progbits,_ZN7rocprim17ROCPRIM_400000_NS6detail17trampoline_kernelINS0_14default_configENS1_36segmented_radix_sort_config_selectorI6__halflEEZNS1_25segmented_radix_sort_implIS3_Lb0EPKS5_PS5_PKlPlN2at6native12_GLOBAL__N_18offset_tEEE10hipError_tPvRmT1_PNSt15iterator_traitsISL_E10value_typeET2_T3_PNSM_ISR_E10value_typeET4_jRbjT5_SX_jjP12ihipStream_tbEUlT_E_NS1_11comp_targetILNS1_3genE0ELNS1_11target_archE4294967295ELNS1_3gpuE0ELNS1_3repE0EEENS1_30default_config_static_selectorELNS0_4arch9wavefront6targetE0EEEvSL_,comdat
.Lfunc_end1833:
	.size	_ZN7rocprim17ROCPRIM_400000_NS6detail17trampoline_kernelINS0_14default_configENS1_36segmented_radix_sort_config_selectorI6__halflEEZNS1_25segmented_radix_sort_implIS3_Lb0EPKS5_PS5_PKlPlN2at6native12_GLOBAL__N_18offset_tEEE10hipError_tPvRmT1_PNSt15iterator_traitsISL_E10value_typeET2_T3_PNSM_ISR_E10value_typeET4_jRbjT5_SX_jjP12ihipStream_tbEUlT_E_NS1_11comp_targetILNS1_3genE0ELNS1_11target_archE4294967295ELNS1_3gpuE0ELNS1_3repE0EEENS1_30default_config_static_selectorELNS0_4arch9wavefront6targetE0EEEvSL_, .Lfunc_end1833-_ZN7rocprim17ROCPRIM_400000_NS6detail17trampoline_kernelINS0_14default_configENS1_36segmented_radix_sort_config_selectorI6__halflEEZNS1_25segmented_radix_sort_implIS3_Lb0EPKS5_PS5_PKlPlN2at6native12_GLOBAL__N_18offset_tEEE10hipError_tPvRmT1_PNSt15iterator_traitsISL_E10value_typeET2_T3_PNSM_ISR_E10value_typeET4_jRbjT5_SX_jjP12ihipStream_tbEUlT_E_NS1_11comp_targetILNS1_3genE0ELNS1_11target_archE4294967295ELNS1_3gpuE0ELNS1_3repE0EEENS1_30default_config_static_selectorELNS0_4arch9wavefront6targetE0EEEvSL_
                                        ; -- End function
	.set _ZN7rocprim17ROCPRIM_400000_NS6detail17trampoline_kernelINS0_14default_configENS1_36segmented_radix_sort_config_selectorI6__halflEEZNS1_25segmented_radix_sort_implIS3_Lb0EPKS5_PS5_PKlPlN2at6native12_GLOBAL__N_18offset_tEEE10hipError_tPvRmT1_PNSt15iterator_traitsISL_E10value_typeET2_T3_PNSM_ISR_E10value_typeET4_jRbjT5_SX_jjP12ihipStream_tbEUlT_E_NS1_11comp_targetILNS1_3genE0ELNS1_11target_archE4294967295ELNS1_3gpuE0ELNS1_3repE0EEENS1_30default_config_static_selectorELNS0_4arch9wavefront6targetE0EEEvSL_.num_vgpr, max(206, .L_ZN7rocprim17ROCPRIM_400000_NS6detail40segmented_radix_sort_single_block_helperI6__halflLj256ELj16ELb0EE4sortIPKS3_PS3_PKlPlEEbT_T0_T1_T2_jjjjRNS4_12storage_typeE.num_vgpr)
	.set _ZN7rocprim17ROCPRIM_400000_NS6detail17trampoline_kernelINS0_14default_configENS1_36segmented_radix_sort_config_selectorI6__halflEEZNS1_25segmented_radix_sort_implIS3_Lb0EPKS5_PS5_PKlPlN2at6native12_GLOBAL__N_18offset_tEEE10hipError_tPvRmT1_PNSt15iterator_traitsISL_E10value_typeET2_T3_PNSM_ISR_E10value_typeET4_jRbjT5_SX_jjP12ihipStream_tbEUlT_E_NS1_11comp_targetILNS1_3genE0ELNS1_11target_archE4294967295ELNS1_3gpuE0ELNS1_3repE0EEENS1_30default_config_static_selectorELNS0_4arch9wavefront6targetE0EEEvSL_.num_agpr, max(0, .L_ZN7rocprim17ROCPRIM_400000_NS6detail40segmented_radix_sort_single_block_helperI6__halflLj256ELj16ELb0EE4sortIPKS3_PS3_PKlPlEEbT_T0_T1_T2_jjjjRNS4_12storage_typeE.num_agpr)
	.set _ZN7rocprim17ROCPRIM_400000_NS6detail17trampoline_kernelINS0_14default_configENS1_36segmented_radix_sort_config_selectorI6__halflEEZNS1_25segmented_radix_sort_implIS3_Lb0EPKS5_PS5_PKlPlN2at6native12_GLOBAL__N_18offset_tEEE10hipError_tPvRmT1_PNSt15iterator_traitsISL_E10value_typeET2_T3_PNSM_ISR_E10value_typeET4_jRbjT5_SX_jjP12ihipStream_tbEUlT_E_NS1_11comp_targetILNS1_3genE0ELNS1_11target_archE4294967295ELNS1_3gpuE0ELNS1_3repE0EEENS1_30default_config_static_selectorELNS0_4arch9wavefront6targetE0EEEvSL_.numbered_sgpr, max(59, .L_ZN7rocprim17ROCPRIM_400000_NS6detail40segmented_radix_sort_single_block_helperI6__halflLj256ELj16ELb0EE4sortIPKS3_PS3_PKlPlEEbT_T0_T1_T2_jjjjRNS4_12storage_typeE.numbered_sgpr)
	.set _ZN7rocprim17ROCPRIM_400000_NS6detail17trampoline_kernelINS0_14default_configENS1_36segmented_radix_sort_config_selectorI6__halflEEZNS1_25segmented_radix_sort_implIS3_Lb0EPKS5_PS5_PKlPlN2at6native12_GLOBAL__N_18offset_tEEE10hipError_tPvRmT1_PNSt15iterator_traitsISL_E10value_typeET2_T3_PNSM_ISR_E10value_typeET4_jRbjT5_SX_jjP12ihipStream_tbEUlT_E_NS1_11comp_targetILNS1_3genE0ELNS1_11target_archE4294967295ELNS1_3gpuE0ELNS1_3repE0EEENS1_30default_config_static_selectorELNS0_4arch9wavefront6targetE0EEEvSL_.num_named_barrier, max(0, .L_ZN7rocprim17ROCPRIM_400000_NS6detail40segmented_radix_sort_single_block_helperI6__halflLj256ELj16ELb0EE4sortIPKS3_PS3_PKlPlEEbT_T0_T1_T2_jjjjRNS4_12storage_typeE.num_named_barrier)
	.set _ZN7rocprim17ROCPRIM_400000_NS6detail17trampoline_kernelINS0_14default_configENS1_36segmented_radix_sort_config_selectorI6__halflEEZNS1_25segmented_radix_sort_implIS3_Lb0EPKS5_PS5_PKlPlN2at6native12_GLOBAL__N_18offset_tEEE10hipError_tPvRmT1_PNSt15iterator_traitsISL_E10value_typeET2_T3_PNSM_ISR_E10value_typeET4_jRbjT5_SX_jjP12ihipStream_tbEUlT_E_NS1_11comp_targetILNS1_3genE0ELNS1_11target_archE4294967295ELNS1_3gpuE0ELNS1_3repE0EEENS1_30default_config_static_selectorELNS0_4arch9wavefront6targetE0EEEvSL_.private_seg_size, 0+max(.L_ZN7rocprim17ROCPRIM_400000_NS6detail40segmented_radix_sort_single_block_helperI6__halflLj256ELj16ELb0EE4sortIPKS3_PS3_PKlPlEEbT_T0_T1_T2_jjjjRNS4_12storage_typeE.private_seg_size)
	.set _ZN7rocprim17ROCPRIM_400000_NS6detail17trampoline_kernelINS0_14default_configENS1_36segmented_radix_sort_config_selectorI6__halflEEZNS1_25segmented_radix_sort_implIS3_Lb0EPKS5_PS5_PKlPlN2at6native12_GLOBAL__N_18offset_tEEE10hipError_tPvRmT1_PNSt15iterator_traitsISL_E10value_typeET2_T3_PNSM_ISR_E10value_typeET4_jRbjT5_SX_jjP12ihipStream_tbEUlT_E_NS1_11comp_targetILNS1_3genE0ELNS1_11target_archE4294967295ELNS1_3gpuE0ELNS1_3repE0EEENS1_30default_config_static_selectorELNS0_4arch9wavefront6targetE0EEEvSL_.uses_vcc, or(1, .L_ZN7rocprim17ROCPRIM_400000_NS6detail40segmented_radix_sort_single_block_helperI6__halflLj256ELj16ELb0EE4sortIPKS3_PS3_PKlPlEEbT_T0_T1_T2_jjjjRNS4_12storage_typeE.uses_vcc)
	.set _ZN7rocprim17ROCPRIM_400000_NS6detail17trampoline_kernelINS0_14default_configENS1_36segmented_radix_sort_config_selectorI6__halflEEZNS1_25segmented_radix_sort_implIS3_Lb0EPKS5_PS5_PKlPlN2at6native12_GLOBAL__N_18offset_tEEE10hipError_tPvRmT1_PNSt15iterator_traitsISL_E10value_typeET2_T3_PNSM_ISR_E10value_typeET4_jRbjT5_SX_jjP12ihipStream_tbEUlT_E_NS1_11comp_targetILNS1_3genE0ELNS1_11target_archE4294967295ELNS1_3gpuE0ELNS1_3repE0EEENS1_30default_config_static_selectorELNS0_4arch9wavefront6targetE0EEEvSL_.uses_flat_scratch, or(0, .L_ZN7rocprim17ROCPRIM_400000_NS6detail40segmented_radix_sort_single_block_helperI6__halflLj256ELj16ELb0EE4sortIPKS3_PS3_PKlPlEEbT_T0_T1_T2_jjjjRNS4_12storage_typeE.uses_flat_scratch)
	.set _ZN7rocprim17ROCPRIM_400000_NS6detail17trampoline_kernelINS0_14default_configENS1_36segmented_radix_sort_config_selectorI6__halflEEZNS1_25segmented_radix_sort_implIS3_Lb0EPKS5_PS5_PKlPlN2at6native12_GLOBAL__N_18offset_tEEE10hipError_tPvRmT1_PNSt15iterator_traitsISL_E10value_typeET2_T3_PNSM_ISR_E10value_typeET4_jRbjT5_SX_jjP12ihipStream_tbEUlT_E_NS1_11comp_targetILNS1_3genE0ELNS1_11target_archE4294967295ELNS1_3gpuE0ELNS1_3repE0EEENS1_30default_config_static_selectorELNS0_4arch9wavefront6targetE0EEEvSL_.has_dyn_sized_stack, or(0, .L_ZN7rocprim17ROCPRIM_400000_NS6detail40segmented_radix_sort_single_block_helperI6__halflLj256ELj16ELb0EE4sortIPKS3_PS3_PKlPlEEbT_T0_T1_T2_jjjjRNS4_12storage_typeE.has_dyn_sized_stack)
	.set _ZN7rocprim17ROCPRIM_400000_NS6detail17trampoline_kernelINS0_14default_configENS1_36segmented_radix_sort_config_selectorI6__halflEEZNS1_25segmented_radix_sort_implIS3_Lb0EPKS5_PS5_PKlPlN2at6native12_GLOBAL__N_18offset_tEEE10hipError_tPvRmT1_PNSt15iterator_traitsISL_E10value_typeET2_T3_PNSM_ISR_E10value_typeET4_jRbjT5_SX_jjP12ihipStream_tbEUlT_E_NS1_11comp_targetILNS1_3genE0ELNS1_11target_archE4294967295ELNS1_3gpuE0ELNS1_3repE0EEENS1_30default_config_static_selectorELNS0_4arch9wavefront6targetE0EEEvSL_.has_recursion, or(0, .L_ZN7rocprim17ROCPRIM_400000_NS6detail40segmented_radix_sort_single_block_helperI6__halflLj256ELj16ELb0EE4sortIPKS3_PS3_PKlPlEEbT_T0_T1_T2_jjjjRNS4_12storage_typeE.has_recursion)
	.set _ZN7rocprim17ROCPRIM_400000_NS6detail17trampoline_kernelINS0_14default_configENS1_36segmented_radix_sort_config_selectorI6__halflEEZNS1_25segmented_radix_sort_implIS3_Lb0EPKS5_PS5_PKlPlN2at6native12_GLOBAL__N_18offset_tEEE10hipError_tPvRmT1_PNSt15iterator_traitsISL_E10value_typeET2_T3_PNSM_ISR_E10value_typeET4_jRbjT5_SX_jjP12ihipStream_tbEUlT_E_NS1_11comp_targetILNS1_3genE0ELNS1_11target_archE4294967295ELNS1_3gpuE0ELNS1_3repE0EEENS1_30default_config_static_selectorELNS0_4arch9wavefront6targetE0EEEvSL_.has_indirect_call, or(0, .L_ZN7rocprim17ROCPRIM_400000_NS6detail40segmented_radix_sort_single_block_helperI6__halflLj256ELj16ELb0EE4sortIPKS3_PS3_PKlPlEEbT_T0_T1_T2_jjjjRNS4_12storage_typeE.has_indirect_call)
	.section	.AMDGPU.csdata,"",@progbits
; Kernel info:
; codeLenInByte = 80740
; TotalNumSgprs: 61
; NumVgprs: 304
; ScratchSize: 0
; MemoryBound: 0
; FloatMode: 240
; IeeeMode: 1
; LDSByteSize: 33824 bytes/workgroup (compile time only)
; SGPRBlocks: 0
; VGPRBlocks: 18
; NumSGPRsForWavesPerEU: 61
; NumVGPRsForWavesPerEU: 304
; NamedBarCnt: 0
; Occupancy: 3
; WaveLimiterHint : 1
; COMPUTE_PGM_RSRC2:SCRATCH_EN: 0
; COMPUTE_PGM_RSRC2:USER_SGPR: 4
; COMPUTE_PGM_RSRC2:TRAP_HANDLER: 0
; COMPUTE_PGM_RSRC2:TGID_X_EN: 1
; COMPUTE_PGM_RSRC2:TGID_Y_EN: 1
; COMPUTE_PGM_RSRC2:TGID_Z_EN: 0
; COMPUTE_PGM_RSRC2:TIDIG_COMP_CNT: 2
	.section	.text._ZN7rocprim17ROCPRIM_400000_NS6detail17trampoline_kernelINS0_14default_configENS1_36segmented_radix_sort_config_selectorI6__halflEEZNS1_25segmented_radix_sort_implIS3_Lb0EPKS5_PS5_PKlPlN2at6native12_GLOBAL__N_18offset_tEEE10hipError_tPvRmT1_PNSt15iterator_traitsISL_E10value_typeET2_T3_PNSM_ISR_E10value_typeET4_jRbjT5_SX_jjP12ihipStream_tbEUlT_E_NS1_11comp_targetILNS1_3genE5ELNS1_11target_archE942ELNS1_3gpuE9ELNS1_3repE0EEENS1_30default_config_static_selectorELNS0_4arch9wavefront6targetE0EEEvSL_,"axG",@progbits,_ZN7rocprim17ROCPRIM_400000_NS6detail17trampoline_kernelINS0_14default_configENS1_36segmented_radix_sort_config_selectorI6__halflEEZNS1_25segmented_radix_sort_implIS3_Lb0EPKS5_PS5_PKlPlN2at6native12_GLOBAL__N_18offset_tEEE10hipError_tPvRmT1_PNSt15iterator_traitsISL_E10value_typeET2_T3_PNSM_ISR_E10value_typeET4_jRbjT5_SX_jjP12ihipStream_tbEUlT_E_NS1_11comp_targetILNS1_3genE5ELNS1_11target_archE942ELNS1_3gpuE9ELNS1_3repE0EEENS1_30default_config_static_selectorELNS0_4arch9wavefront6targetE0EEEvSL_,comdat
	.globl	_ZN7rocprim17ROCPRIM_400000_NS6detail17trampoline_kernelINS0_14default_configENS1_36segmented_radix_sort_config_selectorI6__halflEEZNS1_25segmented_radix_sort_implIS3_Lb0EPKS5_PS5_PKlPlN2at6native12_GLOBAL__N_18offset_tEEE10hipError_tPvRmT1_PNSt15iterator_traitsISL_E10value_typeET2_T3_PNSM_ISR_E10value_typeET4_jRbjT5_SX_jjP12ihipStream_tbEUlT_E_NS1_11comp_targetILNS1_3genE5ELNS1_11target_archE942ELNS1_3gpuE9ELNS1_3repE0EEENS1_30default_config_static_selectorELNS0_4arch9wavefront6targetE0EEEvSL_ ; -- Begin function _ZN7rocprim17ROCPRIM_400000_NS6detail17trampoline_kernelINS0_14default_configENS1_36segmented_radix_sort_config_selectorI6__halflEEZNS1_25segmented_radix_sort_implIS3_Lb0EPKS5_PS5_PKlPlN2at6native12_GLOBAL__N_18offset_tEEE10hipError_tPvRmT1_PNSt15iterator_traitsISL_E10value_typeET2_T3_PNSM_ISR_E10value_typeET4_jRbjT5_SX_jjP12ihipStream_tbEUlT_E_NS1_11comp_targetILNS1_3genE5ELNS1_11target_archE942ELNS1_3gpuE9ELNS1_3repE0EEENS1_30default_config_static_selectorELNS0_4arch9wavefront6targetE0EEEvSL_
	.p2align	8
	.type	_ZN7rocprim17ROCPRIM_400000_NS6detail17trampoline_kernelINS0_14default_configENS1_36segmented_radix_sort_config_selectorI6__halflEEZNS1_25segmented_radix_sort_implIS3_Lb0EPKS5_PS5_PKlPlN2at6native12_GLOBAL__N_18offset_tEEE10hipError_tPvRmT1_PNSt15iterator_traitsISL_E10value_typeET2_T3_PNSM_ISR_E10value_typeET4_jRbjT5_SX_jjP12ihipStream_tbEUlT_E_NS1_11comp_targetILNS1_3genE5ELNS1_11target_archE942ELNS1_3gpuE9ELNS1_3repE0EEENS1_30default_config_static_selectorELNS0_4arch9wavefront6targetE0EEEvSL_,@function
_ZN7rocprim17ROCPRIM_400000_NS6detail17trampoline_kernelINS0_14default_configENS1_36segmented_radix_sort_config_selectorI6__halflEEZNS1_25segmented_radix_sort_implIS3_Lb0EPKS5_PS5_PKlPlN2at6native12_GLOBAL__N_18offset_tEEE10hipError_tPvRmT1_PNSt15iterator_traitsISL_E10value_typeET2_T3_PNSM_ISR_E10value_typeET4_jRbjT5_SX_jjP12ihipStream_tbEUlT_E_NS1_11comp_targetILNS1_3genE5ELNS1_11target_archE942ELNS1_3gpuE9ELNS1_3repE0EEENS1_30default_config_static_selectorELNS0_4arch9wavefront6targetE0EEEvSL_: ; @_ZN7rocprim17ROCPRIM_400000_NS6detail17trampoline_kernelINS0_14default_configENS1_36segmented_radix_sort_config_selectorI6__halflEEZNS1_25segmented_radix_sort_implIS3_Lb0EPKS5_PS5_PKlPlN2at6native12_GLOBAL__N_18offset_tEEE10hipError_tPvRmT1_PNSt15iterator_traitsISL_E10value_typeET2_T3_PNSM_ISR_E10value_typeET4_jRbjT5_SX_jjP12ihipStream_tbEUlT_E_NS1_11comp_targetILNS1_3genE5ELNS1_11target_archE942ELNS1_3gpuE9ELNS1_3repE0EEENS1_30default_config_static_selectorELNS0_4arch9wavefront6targetE0EEEvSL_
; %bb.0:
	.section	.rodata,"a",@progbits
	.p2align	6, 0x0
	.amdhsa_kernel _ZN7rocprim17ROCPRIM_400000_NS6detail17trampoline_kernelINS0_14default_configENS1_36segmented_radix_sort_config_selectorI6__halflEEZNS1_25segmented_radix_sort_implIS3_Lb0EPKS5_PS5_PKlPlN2at6native12_GLOBAL__N_18offset_tEEE10hipError_tPvRmT1_PNSt15iterator_traitsISL_E10value_typeET2_T3_PNSM_ISR_E10value_typeET4_jRbjT5_SX_jjP12ihipStream_tbEUlT_E_NS1_11comp_targetILNS1_3genE5ELNS1_11target_archE942ELNS1_3gpuE9ELNS1_3repE0EEENS1_30default_config_static_selectorELNS0_4arch9wavefront6targetE0EEEvSL_
		.amdhsa_group_segment_fixed_size 0
		.amdhsa_private_segment_fixed_size 0
		.amdhsa_kernarg_size 96
		.amdhsa_user_sgpr_count 2
		.amdhsa_user_sgpr_dispatch_ptr 0
		.amdhsa_user_sgpr_queue_ptr 0
		.amdhsa_user_sgpr_kernarg_segment_ptr 1
		.amdhsa_user_sgpr_dispatch_id 0
		.amdhsa_user_sgpr_kernarg_preload_length 0
		.amdhsa_user_sgpr_kernarg_preload_offset 0
		.amdhsa_user_sgpr_private_segment_size 0
		.amdhsa_wavefront_size32 1
		.amdhsa_uses_dynamic_stack 0
		.amdhsa_enable_private_segment 0
		.amdhsa_system_sgpr_workgroup_id_x 1
		.amdhsa_system_sgpr_workgroup_id_y 0
		.amdhsa_system_sgpr_workgroup_id_z 0
		.amdhsa_system_sgpr_workgroup_info 0
		.amdhsa_system_vgpr_workitem_id 0
		.amdhsa_next_free_vgpr 1
		.amdhsa_next_free_sgpr 1
		.amdhsa_named_barrier_count 0
		.amdhsa_reserve_vcc 0
		.amdhsa_float_round_mode_32 0
		.amdhsa_float_round_mode_16_64 0
		.amdhsa_float_denorm_mode_32 3
		.amdhsa_float_denorm_mode_16_64 3
		.amdhsa_fp16_overflow 0
		.amdhsa_memory_ordered 1
		.amdhsa_forward_progress 1
		.amdhsa_inst_pref_size 0
		.amdhsa_round_robin_scheduling 0
		.amdhsa_exception_fp_ieee_invalid_op 0
		.amdhsa_exception_fp_denorm_src 0
		.amdhsa_exception_fp_ieee_div_zero 0
		.amdhsa_exception_fp_ieee_overflow 0
		.amdhsa_exception_fp_ieee_underflow 0
		.amdhsa_exception_fp_ieee_inexact 0
		.amdhsa_exception_int_div_zero 0
	.end_amdhsa_kernel
	.section	.text._ZN7rocprim17ROCPRIM_400000_NS6detail17trampoline_kernelINS0_14default_configENS1_36segmented_radix_sort_config_selectorI6__halflEEZNS1_25segmented_radix_sort_implIS3_Lb0EPKS5_PS5_PKlPlN2at6native12_GLOBAL__N_18offset_tEEE10hipError_tPvRmT1_PNSt15iterator_traitsISL_E10value_typeET2_T3_PNSM_ISR_E10value_typeET4_jRbjT5_SX_jjP12ihipStream_tbEUlT_E_NS1_11comp_targetILNS1_3genE5ELNS1_11target_archE942ELNS1_3gpuE9ELNS1_3repE0EEENS1_30default_config_static_selectorELNS0_4arch9wavefront6targetE0EEEvSL_,"axG",@progbits,_ZN7rocprim17ROCPRIM_400000_NS6detail17trampoline_kernelINS0_14default_configENS1_36segmented_radix_sort_config_selectorI6__halflEEZNS1_25segmented_radix_sort_implIS3_Lb0EPKS5_PS5_PKlPlN2at6native12_GLOBAL__N_18offset_tEEE10hipError_tPvRmT1_PNSt15iterator_traitsISL_E10value_typeET2_T3_PNSM_ISR_E10value_typeET4_jRbjT5_SX_jjP12ihipStream_tbEUlT_E_NS1_11comp_targetILNS1_3genE5ELNS1_11target_archE942ELNS1_3gpuE9ELNS1_3repE0EEENS1_30default_config_static_selectorELNS0_4arch9wavefront6targetE0EEEvSL_,comdat
.Lfunc_end1834:
	.size	_ZN7rocprim17ROCPRIM_400000_NS6detail17trampoline_kernelINS0_14default_configENS1_36segmented_radix_sort_config_selectorI6__halflEEZNS1_25segmented_radix_sort_implIS3_Lb0EPKS5_PS5_PKlPlN2at6native12_GLOBAL__N_18offset_tEEE10hipError_tPvRmT1_PNSt15iterator_traitsISL_E10value_typeET2_T3_PNSM_ISR_E10value_typeET4_jRbjT5_SX_jjP12ihipStream_tbEUlT_E_NS1_11comp_targetILNS1_3genE5ELNS1_11target_archE942ELNS1_3gpuE9ELNS1_3repE0EEENS1_30default_config_static_selectorELNS0_4arch9wavefront6targetE0EEEvSL_, .Lfunc_end1834-_ZN7rocprim17ROCPRIM_400000_NS6detail17trampoline_kernelINS0_14default_configENS1_36segmented_radix_sort_config_selectorI6__halflEEZNS1_25segmented_radix_sort_implIS3_Lb0EPKS5_PS5_PKlPlN2at6native12_GLOBAL__N_18offset_tEEE10hipError_tPvRmT1_PNSt15iterator_traitsISL_E10value_typeET2_T3_PNSM_ISR_E10value_typeET4_jRbjT5_SX_jjP12ihipStream_tbEUlT_E_NS1_11comp_targetILNS1_3genE5ELNS1_11target_archE942ELNS1_3gpuE9ELNS1_3repE0EEENS1_30default_config_static_selectorELNS0_4arch9wavefront6targetE0EEEvSL_
                                        ; -- End function
	.set _ZN7rocprim17ROCPRIM_400000_NS6detail17trampoline_kernelINS0_14default_configENS1_36segmented_radix_sort_config_selectorI6__halflEEZNS1_25segmented_radix_sort_implIS3_Lb0EPKS5_PS5_PKlPlN2at6native12_GLOBAL__N_18offset_tEEE10hipError_tPvRmT1_PNSt15iterator_traitsISL_E10value_typeET2_T3_PNSM_ISR_E10value_typeET4_jRbjT5_SX_jjP12ihipStream_tbEUlT_E_NS1_11comp_targetILNS1_3genE5ELNS1_11target_archE942ELNS1_3gpuE9ELNS1_3repE0EEENS1_30default_config_static_selectorELNS0_4arch9wavefront6targetE0EEEvSL_.num_vgpr, 0
	.set _ZN7rocprim17ROCPRIM_400000_NS6detail17trampoline_kernelINS0_14default_configENS1_36segmented_radix_sort_config_selectorI6__halflEEZNS1_25segmented_radix_sort_implIS3_Lb0EPKS5_PS5_PKlPlN2at6native12_GLOBAL__N_18offset_tEEE10hipError_tPvRmT1_PNSt15iterator_traitsISL_E10value_typeET2_T3_PNSM_ISR_E10value_typeET4_jRbjT5_SX_jjP12ihipStream_tbEUlT_E_NS1_11comp_targetILNS1_3genE5ELNS1_11target_archE942ELNS1_3gpuE9ELNS1_3repE0EEENS1_30default_config_static_selectorELNS0_4arch9wavefront6targetE0EEEvSL_.num_agpr, 0
	.set _ZN7rocprim17ROCPRIM_400000_NS6detail17trampoline_kernelINS0_14default_configENS1_36segmented_radix_sort_config_selectorI6__halflEEZNS1_25segmented_radix_sort_implIS3_Lb0EPKS5_PS5_PKlPlN2at6native12_GLOBAL__N_18offset_tEEE10hipError_tPvRmT1_PNSt15iterator_traitsISL_E10value_typeET2_T3_PNSM_ISR_E10value_typeET4_jRbjT5_SX_jjP12ihipStream_tbEUlT_E_NS1_11comp_targetILNS1_3genE5ELNS1_11target_archE942ELNS1_3gpuE9ELNS1_3repE0EEENS1_30default_config_static_selectorELNS0_4arch9wavefront6targetE0EEEvSL_.numbered_sgpr, 0
	.set _ZN7rocprim17ROCPRIM_400000_NS6detail17trampoline_kernelINS0_14default_configENS1_36segmented_radix_sort_config_selectorI6__halflEEZNS1_25segmented_radix_sort_implIS3_Lb0EPKS5_PS5_PKlPlN2at6native12_GLOBAL__N_18offset_tEEE10hipError_tPvRmT1_PNSt15iterator_traitsISL_E10value_typeET2_T3_PNSM_ISR_E10value_typeET4_jRbjT5_SX_jjP12ihipStream_tbEUlT_E_NS1_11comp_targetILNS1_3genE5ELNS1_11target_archE942ELNS1_3gpuE9ELNS1_3repE0EEENS1_30default_config_static_selectorELNS0_4arch9wavefront6targetE0EEEvSL_.num_named_barrier, 0
	.set _ZN7rocprim17ROCPRIM_400000_NS6detail17trampoline_kernelINS0_14default_configENS1_36segmented_radix_sort_config_selectorI6__halflEEZNS1_25segmented_radix_sort_implIS3_Lb0EPKS5_PS5_PKlPlN2at6native12_GLOBAL__N_18offset_tEEE10hipError_tPvRmT1_PNSt15iterator_traitsISL_E10value_typeET2_T3_PNSM_ISR_E10value_typeET4_jRbjT5_SX_jjP12ihipStream_tbEUlT_E_NS1_11comp_targetILNS1_3genE5ELNS1_11target_archE942ELNS1_3gpuE9ELNS1_3repE0EEENS1_30default_config_static_selectorELNS0_4arch9wavefront6targetE0EEEvSL_.private_seg_size, 0
	.set _ZN7rocprim17ROCPRIM_400000_NS6detail17trampoline_kernelINS0_14default_configENS1_36segmented_radix_sort_config_selectorI6__halflEEZNS1_25segmented_radix_sort_implIS3_Lb0EPKS5_PS5_PKlPlN2at6native12_GLOBAL__N_18offset_tEEE10hipError_tPvRmT1_PNSt15iterator_traitsISL_E10value_typeET2_T3_PNSM_ISR_E10value_typeET4_jRbjT5_SX_jjP12ihipStream_tbEUlT_E_NS1_11comp_targetILNS1_3genE5ELNS1_11target_archE942ELNS1_3gpuE9ELNS1_3repE0EEENS1_30default_config_static_selectorELNS0_4arch9wavefront6targetE0EEEvSL_.uses_vcc, 0
	.set _ZN7rocprim17ROCPRIM_400000_NS6detail17trampoline_kernelINS0_14default_configENS1_36segmented_radix_sort_config_selectorI6__halflEEZNS1_25segmented_radix_sort_implIS3_Lb0EPKS5_PS5_PKlPlN2at6native12_GLOBAL__N_18offset_tEEE10hipError_tPvRmT1_PNSt15iterator_traitsISL_E10value_typeET2_T3_PNSM_ISR_E10value_typeET4_jRbjT5_SX_jjP12ihipStream_tbEUlT_E_NS1_11comp_targetILNS1_3genE5ELNS1_11target_archE942ELNS1_3gpuE9ELNS1_3repE0EEENS1_30default_config_static_selectorELNS0_4arch9wavefront6targetE0EEEvSL_.uses_flat_scratch, 0
	.set _ZN7rocprim17ROCPRIM_400000_NS6detail17trampoline_kernelINS0_14default_configENS1_36segmented_radix_sort_config_selectorI6__halflEEZNS1_25segmented_radix_sort_implIS3_Lb0EPKS5_PS5_PKlPlN2at6native12_GLOBAL__N_18offset_tEEE10hipError_tPvRmT1_PNSt15iterator_traitsISL_E10value_typeET2_T3_PNSM_ISR_E10value_typeET4_jRbjT5_SX_jjP12ihipStream_tbEUlT_E_NS1_11comp_targetILNS1_3genE5ELNS1_11target_archE942ELNS1_3gpuE9ELNS1_3repE0EEENS1_30default_config_static_selectorELNS0_4arch9wavefront6targetE0EEEvSL_.has_dyn_sized_stack, 0
	.set _ZN7rocprim17ROCPRIM_400000_NS6detail17trampoline_kernelINS0_14default_configENS1_36segmented_radix_sort_config_selectorI6__halflEEZNS1_25segmented_radix_sort_implIS3_Lb0EPKS5_PS5_PKlPlN2at6native12_GLOBAL__N_18offset_tEEE10hipError_tPvRmT1_PNSt15iterator_traitsISL_E10value_typeET2_T3_PNSM_ISR_E10value_typeET4_jRbjT5_SX_jjP12ihipStream_tbEUlT_E_NS1_11comp_targetILNS1_3genE5ELNS1_11target_archE942ELNS1_3gpuE9ELNS1_3repE0EEENS1_30default_config_static_selectorELNS0_4arch9wavefront6targetE0EEEvSL_.has_recursion, 0
	.set _ZN7rocprim17ROCPRIM_400000_NS6detail17trampoline_kernelINS0_14default_configENS1_36segmented_radix_sort_config_selectorI6__halflEEZNS1_25segmented_radix_sort_implIS3_Lb0EPKS5_PS5_PKlPlN2at6native12_GLOBAL__N_18offset_tEEE10hipError_tPvRmT1_PNSt15iterator_traitsISL_E10value_typeET2_T3_PNSM_ISR_E10value_typeET4_jRbjT5_SX_jjP12ihipStream_tbEUlT_E_NS1_11comp_targetILNS1_3genE5ELNS1_11target_archE942ELNS1_3gpuE9ELNS1_3repE0EEENS1_30default_config_static_selectorELNS0_4arch9wavefront6targetE0EEEvSL_.has_indirect_call, 0
	.section	.AMDGPU.csdata,"",@progbits
; Kernel info:
; codeLenInByte = 0
; TotalNumSgprs: 0
; NumVgprs: 0
; ScratchSize: 0
; MemoryBound: 0
; FloatMode: 240
; IeeeMode: 1
; LDSByteSize: 0 bytes/workgroup (compile time only)
; SGPRBlocks: 0
; VGPRBlocks: 0
; NumSGPRsForWavesPerEU: 1
; NumVGPRsForWavesPerEU: 1
; NamedBarCnt: 0
; Occupancy: 16
; WaveLimiterHint : 0
; COMPUTE_PGM_RSRC2:SCRATCH_EN: 0
; COMPUTE_PGM_RSRC2:USER_SGPR: 2
; COMPUTE_PGM_RSRC2:TRAP_HANDLER: 0
; COMPUTE_PGM_RSRC2:TGID_X_EN: 1
; COMPUTE_PGM_RSRC2:TGID_Y_EN: 0
; COMPUTE_PGM_RSRC2:TGID_Z_EN: 0
; COMPUTE_PGM_RSRC2:TIDIG_COMP_CNT: 0
	.section	.text._ZN7rocprim17ROCPRIM_400000_NS6detail17trampoline_kernelINS0_14default_configENS1_36segmented_radix_sort_config_selectorI6__halflEEZNS1_25segmented_radix_sort_implIS3_Lb0EPKS5_PS5_PKlPlN2at6native12_GLOBAL__N_18offset_tEEE10hipError_tPvRmT1_PNSt15iterator_traitsISL_E10value_typeET2_T3_PNSM_ISR_E10value_typeET4_jRbjT5_SX_jjP12ihipStream_tbEUlT_E_NS1_11comp_targetILNS1_3genE4ELNS1_11target_archE910ELNS1_3gpuE8ELNS1_3repE0EEENS1_30default_config_static_selectorELNS0_4arch9wavefront6targetE0EEEvSL_,"axG",@progbits,_ZN7rocprim17ROCPRIM_400000_NS6detail17trampoline_kernelINS0_14default_configENS1_36segmented_radix_sort_config_selectorI6__halflEEZNS1_25segmented_radix_sort_implIS3_Lb0EPKS5_PS5_PKlPlN2at6native12_GLOBAL__N_18offset_tEEE10hipError_tPvRmT1_PNSt15iterator_traitsISL_E10value_typeET2_T3_PNSM_ISR_E10value_typeET4_jRbjT5_SX_jjP12ihipStream_tbEUlT_E_NS1_11comp_targetILNS1_3genE4ELNS1_11target_archE910ELNS1_3gpuE8ELNS1_3repE0EEENS1_30default_config_static_selectorELNS0_4arch9wavefront6targetE0EEEvSL_,comdat
	.globl	_ZN7rocprim17ROCPRIM_400000_NS6detail17trampoline_kernelINS0_14default_configENS1_36segmented_radix_sort_config_selectorI6__halflEEZNS1_25segmented_radix_sort_implIS3_Lb0EPKS5_PS5_PKlPlN2at6native12_GLOBAL__N_18offset_tEEE10hipError_tPvRmT1_PNSt15iterator_traitsISL_E10value_typeET2_T3_PNSM_ISR_E10value_typeET4_jRbjT5_SX_jjP12ihipStream_tbEUlT_E_NS1_11comp_targetILNS1_3genE4ELNS1_11target_archE910ELNS1_3gpuE8ELNS1_3repE0EEENS1_30default_config_static_selectorELNS0_4arch9wavefront6targetE0EEEvSL_ ; -- Begin function _ZN7rocprim17ROCPRIM_400000_NS6detail17trampoline_kernelINS0_14default_configENS1_36segmented_radix_sort_config_selectorI6__halflEEZNS1_25segmented_radix_sort_implIS3_Lb0EPKS5_PS5_PKlPlN2at6native12_GLOBAL__N_18offset_tEEE10hipError_tPvRmT1_PNSt15iterator_traitsISL_E10value_typeET2_T3_PNSM_ISR_E10value_typeET4_jRbjT5_SX_jjP12ihipStream_tbEUlT_E_NS1_11comp_targetILNS1_3genE4ELNS1_11target_archE910ELNS1_3gpuE8ELNS1_3repE0EEENS1_30default_config_static_selectorELNS0_4arch9wavefront6targetE0EEEvSL_
	.p2align	8
	.type	_ZN7rocprim17ROCPRIM_400000_NS6detail17trampoline_kernelINS0_14default_configENS1_36segmented_radix_sort_config_selectorI6__halflEEZNS1_25segmented_radix_sort_implIS3_Lb0EPKS5_PS5_PKlPlN2at6native12_GLOBAL__N_18offset_tEEE10hipError_tPvRmT1_PNSt15iterator_traitsISL_E10value_typeET2_T3_PNSM_ISR_E10value_typeET4_jRbjT5_SX_jjP12ihipStream_tbEUlT_E_NS1_11comp_targetILNS1_3genE4ELNS1_11target_archE910ELNS1_3gpuE8ELNS1_3repE0EEENS1_30default_config_static_selectorELNS0_4arch9wavefront6targetE0EEEvSL_,@function
_ZN7rocprim17ROCPRIM_400000_NS6detail17trampoline_kernelINS0_14default_configENS1_36segmented_radix_sort_config_selectorI6__halflEEZNS1_25segmented_radix_sort_implIS3_Lb0EPKS5_PS5_PKlPlN2at6native12_GLOBAL__N_18offset_tEEE10hipError_tPvRmT1_PNSt15iterator_traitsISL_E10value_typeET2_T3_PNSM_ISR_E10value_typeET4_jRbjT5_SX_jjP12ihipStream_tbEUlT_E_NS1_11comp_targetILNS1_3genE4ELNS1_11target_archE910ELNS1_3gpuE8ELNS1_3repE0EEENS1_30default_config_static_selectorELNS0_4arch9wavefront6targetE0EEEvSL_: ; @_ZN7rocprim17ROCPRIM_400000_NS6detail17trampoline_kernelINS0_14default_configENS1_36segmented_radix_sort_config_selectorI6__halflEEZNS1_25segmented_radix_sort_implIS3_Lb0EPKS5_PS5_PKlPlN2at6native12_GLOBAL__N_18offset_tEEE10hipError_tPvRmT1_PNSt15iterator_traitsISL_E10value_typeET2_T3_PNSM_ISR_E10value_typeET4_jRbjT5_SX_jjP12ihipStream_tbEUlT_E_NS1_11comp_targetILNS1_3genE4ELNS1_11target_archE910ELNS1_3gpuE8ELNS1_3repE0EEENS1_30default_config_static_selectorELNS0_4arch9wavefront6targetE0EEEvSL_
; %bb.0:
	.section	.rodata,"a",@progbits
	.p2align	6, 0x0
	.amdhsa_kernel _ZN7rocprim17ROCPRIM_400000_NS6detail17trampoline_kernelINS0_14default_configENS1_36segmented_radix_sort_config_selectorI6__halflEEZNS1_25segmented_radix_sort_implIS3_Lb0EPKS5_PS5_PKlPlN2at6native12_GLOBAL__N_18offset_tEEE10hipError_tPvRmT1_PNSt15iterator_traitsISL_E10value_typeET2_T3_PNSM_ISR_E10value_typeET4_jRbjT5_SX_jjP12ihipStream_tbEUlT_E_NS1_11comp_targetILNS1_3genE4ELNS1_11target_archE910ELNS1_3gpuE8ELNS1_3repE0EEENS1_30default_config_static_selectorELNS0_4arch9wavefront6targetE0EEEvSL_
		.amdhsa_group_segment_fixed_size 0
		.amdhsa_private_segment_fixed_size 0
		.amdhsa_kernarg_size 96
		.amdhsa_user_sgpr_count 2
		.amdhsa_user_sgpr_dispatch_ptr 0
		.amdhsa_user_sgpr_queue_ptr 0
		.amdhsa_user_sgpr_kernarg_segment_ptr 1
		.amdhsa_user_sgpr_dispatch_id 0
		.amdhsa_user_sgpr_kernarg_preload_length 0
		.amdhsa_user_sgpr_kernarg_preload_offset 0
		.amdhsa_user_sgpr_private_segment_size 0
		.amdhsa_wavefront_size32 1
		.amdhsa_uses_dynamic_stack 0
		.amdhsa_enable_private_segment 0
		.amdhsa_system_sgpr_workgroup_id_x 1
		.amdhsa_system_sgpr_workgroup_id_y 0
		.amdhsa_system_sgpr_workgroup_id_z 0
		.amdhsa_system_sgpr_workgroup_info 0
		.amdhsa_system_vgpr_workitem_id 0
		.amdhsa_next_free_vgpr 1
		.amdhsa_next_free_sgpr 1
		.amdhsa_named_barrier_count 0
		.amdhsa_reserve_vcc 0
		.amdhsa_float_round_mode_32 0
		.amdhsa_float_round_mode_16_64 0
		.amdhsa_float_denorm_mode_32 3
		.amdhsa_float_denorm_mode_16_64 3
		.amdhsa_fp16_overflow 0
		.amdhsa_memory_ordered 1
		.amdhsa_forward_progress 1
		.amdhsa_inst_pref_size 0
		.amdhsa_round_robin_scheduling 0
		.amdhsa_exception_fp_ieee_invalid_op 0
		.amdhsa_exception_fp_denorm_src 0
		.amdhsa_exception_fp_ieee_div_zero 0
		.amdhsa_exception_fp_ieee_overflow 0
		.amdhsa_exception_fp_ieee_underflow 0
		.amdhsa_exception_fp_ieee_inexact 0
		.amdhsa_exception_int_div_zero 0
	.end_amdhsa_kernel
	.section	.text._ZN7rocprim17ROCPRIM_400000_NS6detail17trampoline_kernelINS0_14default_configENS1_36segmented_radix_sort_config_selectorI6__halflEEZNS1_25segmented_radix_sort_implIS3_Lb0EPKS5_PS5_PKlPlN2at6native12_GLOBAL__N_18offset_tEEE10hipError_tPvRmT1_PNSt15iterator_traitsISL_E10value_typeET2_T3_PNSM_ISR_E10value_typeET4_jRbjT5_SX_jjP12ihipStream_tbEUlT_E_NS1_11comp_targetILNS1_3genE4ELNS1_11target_archE910ELNS1_3gpuE8ELNS1_3repE0EEENS1_30default_config_static_selectorELNS0_4arch9wavefront6targetE0EEEvSL_,"axG",@progbits,_ZN7rocprim17ROCPRIM_400000_NS6detail17trampoline_kernelINS0_14default_configENS1_36segmented_radix_sort_config_selectorI6__halflEEZNS1_25segmented_radix_sort_implIS3_Lb0EPKS5_PS5_PKlPlN2at6native12_GLOBAL__N_18offset_tEEE10hipError_tPvRmT1_PNSt15iterator_traitsISL_E10value_typeET2_T3_PNSM_ISR_E10value_typeET4_jRbjT5_SX_jjP12ihipStream_tbEUlT_E_NS1_11comp_targetILNS1_3genE4ELNS1_11target_archE910ELNS1_3gpuE8ELNS1_3repE0EEENS1_30default_config_static_selectorELNS0_4arch9wavefront6targetE0EEEvSL_,comdat
.Lfunc_end1835:
	.size	_ZN7rocprim17ROCPRIM_400000_NS6detail17trampoline_kernelINS0_14default_configENS1_36segmented_radix_sort_config_selectorI6__halflEEZNS1_25segmented_radix_sort_implIS3_Lb0EPKS5_PS5_PKlPlN2at6native12_GLOBAL__N_18offset_tEEE10hipError_tPvRmT1_PNSt15iterator_traitsISL_E10value_typeET2_T3_PNSM_ISR_E10value_typeET4_jRbjT5_SX_jjP12ihipStream_tbEUlT_E_NS1_11comp_targetILNS1_3genE4ELNS1_11target_archE910ELNS1_3gpuE8ELNS1_3repE0EEENS1_30default_config_static_selectorELNS0_4arch9wavefront6targetE0EEEvSL_, .Lfunc_end1835-_ZN7rocprim17ROCPRIM_400000_NS6detail17trampoline_kernelINS0_14default_configENS1_36segmented_radix_sort_config_selectorI6__halflEEZNS1_25segmented_radix_sort_implIS3_Lb0EPKS5_PS5_PKlPlN2at6native12_GLOBAL__N_18offset_tEEE10hipError_tPvRmT1_PNSt15iterator_traitsISL_E10value_typeET2_T3_PNSM_ISR_E10value_typeET4_jRbjT5_SX_jjP12ihipStream_tbEUlT_E_NS1_11comp_targetILNS1_3genE4ELNS1_11target_archE910ELNS1_3gpuE8ELNS1_3repE0EEENS1_30default_config_static_selectorELNS0_4arch9wavefront6targetE0EEEvSL_
                                        ; -- End function
	.set _ZN7rocprim17ROCPRIM_400000_NS6detail17trampoline_kernelINS0_14default_configENS1_36segmented_radix_sort_config_selectorI6__halflEEZNS1_25segmented_radix_sort_implIS3_Lb0EPKS5_PS5_PKlPlN2at6native12_GLOBAL__N_18offset_tEEE10hipError_tPvRmT1_PNSt15iterator_traitsISL_E10value_typeET2_T3_PNSM_ISR_E10value_typeET4_jRbjT5_SX_jjP12ihipStream_tbEUlT_E_NS1_11comp_targetILNS1_3genE4ELNS1_11target_archE910ELNS1_3gpuE8ELNS1_3repE0EEENS1_30default_config_static_selectorELNS0_4arch9wavefront6targetE0EEEvSL_.num_vgpr, 0
	.set _ZN7rocprim17ROCPRIM_400000_NS6detail17trampoline_kernelINS0_14default_configENS1_36segmented_radix_sort_config_selectorI6__halflEEZNS1_25segmented_radix_sort_implIS3_Lb0EPKS5_PS5_PKlPlN2at6native12_GLOBAL__N_18offset_tEEE10hipError_tPvRmT1_PNSt15iterator_traitsISL_E10value_typeET2_T3_PNSM_ISR_E10value_typeET4_jRbjT5_SX_jjP12ihipStream_tbEUlT_E_NS1_11comp_targetILNS1_3genE4ELNS1_11target_archE910ELNS1_3gpuE8ELNS1_3repE0EEENS1_30default_config_static_selectorELNS0_4arch9wavefront6targetE0EEEvSL_.num_agpr, 0
	.set _ZN7rocprim17ROCPRIM_400000_NS6detail17trampoline_kernelINS0_14default_configENS1_36segmented_radix_sort_config_selectorI6__halflEEZNS1_25segmented_radix_sort_implIS3_Lb0EPKS5_PS5_PKlPlN2at6native12_GLOBAL__N_18offset_tEEE10hipError_tPvRmT1_PNSt15iterator_traitsISL_E10value_typeET2_T3_PNSM_ISR_E10value_typeET4_jRbjT5_SX_jjP12ihipStream_tbEUlT_E_NS1_11comp_targetILNS1_3genE4ELNS1_11target_archE910ELNS1_3gpuE8ELNS1_3repE0EEENS1_30default_config_static_selectorELNS0_4arch9wavefront6targetE0EEEvSL_.numbered_sgpr, 0
	.set _ZN7rocprim17ROCPRIM_400000_NS6detail17trampoline_kernelINS0_14default_configENS1_36segmented_radix_sort_config_selectorI6__halflEEZNS1_25segmented_radix_sort_implIS3_Lb0EPKS5_PS5_PKlPlN2at6native12_GLOBAL__N_18offset_tEEE10hipError_tPvRmT1_PNSt15iterator_traitsISL_E10value_typeET2_T3_PNSM_ISR_E10value_typeET4_jRbjT5_SX_jjP12ihipStream_tbEUlT_E_NS1_11comp_targetILNS1_3genE4ELNS1_11target_archE910ELNS1_3gpuE8ELNS1_3repE0EEENS1_30default_config_static_selectorELNS0_4arch9wavefront6targetE0EEEvSL_.num_named_barrier, 0
	.set _ZN7rocprim17ROCPRIM_400000_NS6detail17trampoline_kernelINS0_14default_configENS1_36segmented_radix_sort_config_selectorI6__halflEEZNS1_25segmented_radix_sort_implIS3_Lb0EPKS5_PS5_PKlPlN2at6native12_GLOBAL__N_18offset_tEEE10hipError_tPvRmT1_PNSt15iterator_traitsISL_E10value_typeET2_T3_PNSM_ISR_E10value_typeET4_jRbjT5_SX_jjP12ihipStream_tbEUlT_E_NS1_11comp_targetILNS1_3genE4ELNS1_11target_archE910ELNS1_3gpuE8ELNS1_3repE0EEENS1_30default_config_static_selectorELNS0_4arch9wavefront6targetE0EEEvSL_.private_seg_size, 0
	.set _ZN7rocprim17ROCPRIM_400000_NS6detail17trampoline_kernelINS0_14default_configENS1_36segmented_radix_sort_config_selectorI6__halflEEZNS1_25segmented_radix_sort_implIS3_Lb0EPKS5_PS5_PKlPlN2at6native12_GLOBAL__N_18offset_tEEE10hipError_tPvRmT1_PNSt15iterator_traitsISL_E10value_typeET2_T3_PNSM_ISR_E10value_typeET4_jRbjT5_SX_jjP12ihipStream_tbEUlT_E_NS1_11comp_targetILNS1_3genE4ELNS1_11target_archE910ELNS1_3gpuE8ELNS1_3repE0EEENS1_30default_config_static_selectorELNS0_4arch9wavefront6targetE0EEEvSL_.uses_vcc, 0
	.set _ZN7rocprim17ROCPRIM_400000_NS6detail17trampoline_kernelINS0_14default_configENS1_36segmented_radix_sort_config_selectorI6__halflEEZNS1_25segmented_radix_sort_implIS3_Lb0EPKS5_PS5_PKlPlN2at6native12_GLOBAL__N_18offset_tEEE10hipError_tPvRmT1_PNSt15iterator_traitsISL_E10value_typeET2_T3_PNSM_ISR_E10value_typeET4_jRbjT5_SX_jjP12ihipStream_tbEUlT_E_NS1_11comp_targetILNS1_3genE4ELNS1_11target_archE910ELNS1_3gpuE8ELNS1_3repE0EEENS1_30default_config_static_selectorELNS0_4arch9wavefront6targetE0EEEvSL_.uses_flat_scratch, 0
	.set _ZN7rocprim17ROCPRIM_400000_NS6detail17trampoline_kernelINS0_14default_configENS1_36segmented_radix_sort_config_selectorI6__halflEEZNS1_25segmented_radix_sort_implIS3_Lb0EPKS5_PS5_PKlPlN2at6native12_GLOBAL__N_18offset_tEEE10hipError_tPvRmT1_PNSt15iterator_traitsISL_E10value_typeET2_T3_PNSM_ISR_E10value_typeET4_jRbjT5_SX_jjP12ihipStream_tbEUlT_E_NS1_11comp_targetILNS1_3genE4ELNS1_11target_archE910ELNS1_3gpuE8ELNS1_3repE0EEENS1_30default_config_static_selectorELNS0_4arch9wavefront6targetE0EEEvSL_.has_dyn_sized_stack, 0
	.set _ZN7rocprim17ROCPRIM_400000_NS6detail17trampoline_kernelINS0_14default_configENS1_36segmented_radix_sort_config_selectorI6__halflEEZNS1_25segmented_radix_sort_implIS3_Lb0EPKS5_PS5_PKlPlN2at6native12_GLOBAL__N_18offset_tEEE10hipError_tPvRmT1_PNSt15iterator_traitsISL_E10value_typeET2_T3_PNSM_ISR_E10value_typeET4_jRbjT5_SX_jjP12ihipStream_tbEUlT_E_NS1_11comp_targetILNS1_3genE4ELNS1_11target_archE910ELNS1_3gpuE8ELNS1_3repE0EEENS1_30default_config_static_selectorELNS0_4arch9wavefront6targetE0EEEvSL_.has_recursion, 0
	.set _ZN7rocprim17ROCPRIM_400000_NS6detail17trampoline_kernelINS0_14default_configENS1_36segmented_radix_sort_config_selectorI6__halflEEZNS1_25segmented_radix_sort_implIS3_Lb0EPKS5_PS5_PKlPlN2at6native12_GLOBAL__N_18offset_tEEE10hipError_tPvRmT1_PNSt15iterator_traitsISL_E10value_typeET2_T3_PNSM_ISR_E10value_typeET4_jRbjT5_SX_jjP12ihipStream_tbEUlT_E_NS1_11comp_targetILNS1_3genE4ELNS1_11target_archE910ELNS1_3gpuE8ELNS1_3repE0EEENS1_30default_config_static_selectorELNS0_4arch9wavefront6targetE0EEEvSL_.has_indirect_call, 0
	.section	.AMDGPU.csdata,"",@progbits
; Kernel info:
; codeLenInByte = 0
; TotalNumSgprs: 0
; NumVgprs: 0
; ScratchSize: 0
; MemoryBound: 0
; FloatMode: 240
; IeeeMode: 1
; LDSByteSize: 0 bytes/workgroup (compile time only)
; SGPRBlocks: 0
; VGPRBlocks: 0
; NumSGPRsForWavesPerEU: 1
; NumVGPRsForWavesPerEU: 1
; NamedBarCnt: 0
; Occupancy: 16
; WaveLimiterHint : 0
; COMPUTE_PGM_RSRC2:SCRATCH_EN: 0
; COMPUTE_PGM_RSRC2:USER_SGPR: 2
; COMPUTE_PGM_RSRC2:TRAP_HANDLER: 0
; COMPUTE_PGM_RSRC2:TGID_X_EN: 1
; COMPUTE_PGM_RSRC2:TGID_Y_EN: 0
; COMPUTE_PGM_RSRC2:TGID_Z_EN: 0
; COMPUTE_PGM_RSRC2:TIDIG_COMP_CNT: 0
	.section	.text._ZN7rocprim17ROCPRIM_400000_NS6detail17trampoline_kernelINS0_14default_configENS1_36segmented_radix_sort_config_selectorI6__halflEEZNS1_25segmented_radix_sort_implIS3_Lb0EPKS5_PS5_PKlPlN2at6native12_GLOBAL__N_18offset_tEEE10hipError_tPvRmT1_PNSt15iterator_traitsISL_E10value_typeET2_T3_PNSM_ISR_E10value_typeET4_jRbjT5_SX_jjP12ihipStream_tbEUlT_E_NS1_11comp_targetILNS1_3genE3ELNS1_11target_archE908ELNS1_3gpuE7ELNS1_3repE0EEENS1_30default_config_static_selectorELNS0_4arch9wavefront6targetE0EEEvSL_,"axG",@progbits,_ZN7rocprim17ROCPRIM_400000_NS6detail17trampoline_kernelINS0_14default_configENS1_36segmented_radix_sort_config_selectorI6__halflEEZNS1_25segmented_radix_sort_implIS3_Lb0EPKS5_PS5_PKlPlN2at6native12_GLOBAL__N_18offset_tEEE10hipError_tPvRmT1_PNSt15iterator_traitsISL_E10value_typeET2_T3_PNSM_ISR_E10value_typeET4_jRbjT5_SX_jjP12ihipStream_tbEUlT_E_NS1_11comp_targetILNS1_3genE3ELNS1_11target_archE908ELNS1_3gpuE7ELNS1_3repE0EEENS1_30default_config_static_selectorELNS0_4arch9wavefront6targetE0EEEvSL_,comdat
	.globl	_ZN7rocprim17ROCPRIM_400000_NS6detail17trampoline_kernelINS0_14default_configENS1_36segmented_radix_sort_config_selectorI6__halflEEZNS1_25segmented_radix_sort_implIS3_Lb0EPKS5_PS5_PKlPlN2at6native12_GLOBAL__N_18offset_tEEE10hipError_tPvRmT1_PNSt15iterator_traitsISL_E10value_typeET2_T3_PNSM_ISR_E10value_typeET4_jRbjT5_SX_jjP12ihipStream_tbEUlT_E_NS1_11comp_targetILNS1_3genE3ELNS1_11target_archE908ELNS1_3gpuE7ELNS1_3repE0EEENS1_30default_config_static_selectorELNS0_4arch9wavefront6targetE0EEEvSL_ ; -- Begin function _ZN7rocprim17ROCPRIM_400000_NS6detail17trampoline_kernelINS0_14default_configENS1_36segmented_radix_sort_config_selectorI6__halflEEZNS1_25segmented_radix_sort_implIS3_Lb0EPKS5_PS5_PKlPlN2at6native12_GLOBAL__N_18offset_tEEE10hipError_tPvRmT1_PNSt15iterator_traitsISL_E10value_typeET2_T3_PNSM_ISR_E10value_typeET4_jRbjT5_SX_jjP12ihipStream_tbEUlT_E_NS1_11comp_targetILNS1_3genE3ELNS1_11target_archE908ELNS1_3gpuE7ELNS1_3repE0EEENS1_30default_config_static_selectorELNS0_4arch9wavefront6targetE0EEEvSL_
	.p2align	8
	.type	_ZN7rocprim17ROCPRIM_400000_NS6detail17trampoline_kernelINS0_14default_configENS1_36segmented_radix_sort_config_selectorI6__halflEEZNS1_25segmented_radix_sort_implIS3_Lb0EPKS5_PS5_PKlPlN2at6native12_GLOBAL__N_18offset_tEEE10hipError_tPvRmT1_PNSt15iterator_traitsISL_E10value_typeET2_T3_PNSM_ISR_E10value_typeET4_jRbjT5_SX_jjP12ihipStream_tbEUlT_E_NS1_11comp_targetILNS1_3genE3ELNS1_11target_archE908ELNS1_3gpuE7ELNS1_3repE0EEENS1_30default_config_static_selectorELNS0_4arch9wavefront6targetE0EEEvSL_,@function
_ZN7rocprim17ROCPRIM_400000_NS6detail17trampoline_kernelINS0_14default_configENS1_36segmented_radix_sort_config_selectorI6__halflEEZNS1_25segmented_radix_sort_implIS3_Lb0EPKS5_PS5_PKlPlN2at6native12_GLOBAL__N_18offset_tEEE10hipError_tPvRmT1_PNSt15iterator_traitsISL_E10value_typeET2_T3_PNSM_ISR_E10value_typeET4_jRbjT5_SX_jjP12ihipStream_tbEUlT_E_NS1_11comp_targetILNS1_3genE3ELNS1_11target_archE908ELNS1_3gpuE7ELNS1_3repE0EEENS1_30default_config_static_selectorELNS0_4arch9wavefront6targetE0EEEvSL_: ; @_ZN7rocprim17ROCPRIM_400000_NS6detail17trampoline_kernelINS0_14default_configENS1_36segmented_radix_sort_config_selectorI6__halflEEZNS1_25segmented_radix_sort_implIS3_Lb0EPKS5_PS5_PKlPlN2at6native12_GLOBAL__N_18offset_tEEE10hipError_tPvRmT1_PNSt15iterator_traitsISL_E10value_typeET2_T3_PNSM_ISR_E10value_typeET4_jRbjT5_SX_jjP12ihipStream_tbEUlT_E_NS1_11comp_targetILNS1_3genE3ELNS1_11target_archE908ELNS1_3gpuE7ELNS1_3repE0EEENS1_30default_config_static_selectorELNS0_4arch9wavefront6targetE0EEEvSL_
; %bb.0:
	.section	.rodata,"a",@progbits
	.p2align	6, 0x0
	.amdhsa_kernel _ZN7rocprim17ROCPRIM_400000_NS6detail17trampoline_kernelINS0_14default_configENS1_36segmented_radix_sort_config_selectorI6__halflEEZNS1_25segmented_radix_sort_implIS3_Lb0EPKS5_PS5_PKlPlN2at6native12_GLOBAL__N_18offset_tEEE10hipError_tPvRmT1_PNSt15iterator_traitsISL_E10value_typeET2_T3_PNSM_ISR_E10value_typeET4_jRbjT5_SX_jjP12ihipStream_tbEUlT_E_NS1_11comp_targetILNS1_3genE3ELNS1_11target_archE908ELNS1_3gpuE7ELNS1_3repE0EEENS1_30default_config_static_selectorELNS0_4arch9wavefront6targetE0EEEvSL_
		.amdhsa_group_segment_fixed_size 0
		.amdhsa_private_segment_fixed_size 0
		.amdhsa_kernarg_size 96
		.amdhsa_user_sgpr_count 2
		.amdhsa_user_sgpr_dispatch_ptr 0
		.amdhsa_user_sgpr_queue_ptr 0
		.amdhsa_user_sgpr_kernarg_segment_ptr 1
		.amdhsa_user_sgpr_dispatch_id 0
		.amdhsa_user_sgpr_kernarg_preload_length 0
		.amdhsa_user_sgpr_kernarg_preload_offset 0
		.amdhsa_user_sgpr_private_segment_size 0
		.amdhsa_wavefront_size32 1
		.amdhsa_uses_dynamic_stack 0
		.amdhsa_enable_private_segment 0
		.amdhsa_system_sgpr_workgroup_id_x 1
		.amdhsa_system_sgpr_workgroup_id_y 0
		.amdhsa_system_sgpr_workgroup_id_z 0
		.amdhsa_system_sgpr_workgroup_info 0
		.amdhsa_system_vgpr_workitem_id 0
		.amdhsa_next_free_vgpr 1
		.amdhsa_next_free_sgpr 1
		.amdhsa_named_barrier_count 0
		.amdhsa_reserve_vcc 0
		.amdhsa_float_round_mode_32 0
		.amdhsa_float_round_mode_16_64 0
		.amdhsa_float_denorm_mode_32 3
		.amdhsa_float_denorm_mode_16_64 3
		.amdhsa_fp16_overflow 0
		.amdhsa_memory_ordered 1
		.amdhsa_forward_progress 1
		.amdhsa_inst_pref_size 0
		.amdhsa_round_robin_scheduling 0
		.amdhsa_exception_fp_ieee_invalid_op 0
		.amdhsa_exception_fp_denorm_src 0
		.amdhsa_exception_fp_ieee_div_zero 0
		.amdhsa_exception_fp_ieee_overflow 0
		.amdhsa_exception_fp_ieee_underflow 0
		.amdhsa_exception_fp_ieee_inexact 0
		.amdhsa_exception_int_div_zero 0
	.end_amdhsa_kernel
	.section	.text._ZN7rocprim17ROCPRIM_400000_NS6detail17trampoline_kernelINS0_14default_configENS1_36segmented_radix_sort_config_selectorI6__halflEEZNS1_25segmented_radix_sort_implIS3_Lb0EPKS5_PS5_PKlPlN2at6native12_GLOBAL__N_18offset_tEEE10hipError_tPvRmT1_PNSt15iterator_traitsISL_E10value_typeET2_T3_PNSM_ISR_E10value_typeET4_jRbjT5_SX_jjP12ihipStream_tbEUlT_E_NS1_11comp_targetILNS1_3genE3ELNS1_11target_archE908ELNS1_3gpuE7ELNS1_3repE0EEENS1_30default_config_static_selectorELNS0_4arch9wavefront6targetE0EEEvSL_,"axG",@progbits,_ZN7rocprim17ROCPRIM_400000_NS6detail17trampoline_kernelINS0_14default_configENS1_36segmented_radix_sort_config_selectorI6__halflEEZNS1_25segmented_radix_sort_implIS3_Lb0EPKS5_PS5_PKlPlN2at6native12_GLOBAL__N_18offset_tEEE10hipError_tPvRmT1_PNSt15iterator_traitsISL_E10value_typeET2_T3_PNSM_ISR_E10value_typeET4_jRbjT5_SX_jjP12ihipStream_tbEUlT_E_NS1_11comp_targetILNS1_3genE3ELNS1_11target_archE908ELNS1_3gpuE7ELNS1_3repE0EEENS1_30default_config_static_selectorELNS0_4arch9wavefront6targetE0EEEvSL_,comdat
.Lfunc_end1836:
	.size	_ZN7rocprim17ROCPRIM_400000_NS6detail17trampoline_kernelINS0_14default_configENS1_36segmented_radix_sort_config_selectorI6__halflEEZNS1_25segmented_radix_sort_implIS3_Lb0EPKS5_PS5_PKlPlN2at6native12_GLOBAL__N_18offset_tEEE10hipError_tPvRmT1_PNSt15iterator_traitsISL_E10value_typeET2_T3_PNSM_ISR_E10value_typeET4_jRbjT5_SX_jjP12ihipStream_tbEUlT_E_NS1_11comp_targetILNS1_3genE3ELNS1_11target_archE908ELNS1_3gpuE7ELNS1_3repE0EEENS1_30default_config_static_selectorELNS0_4arch9wavefront6targetE0EEEvSL_, .Lfunc_end1836-_ZN7rocprim17ROCPRIM_400000_NS6detail17trampoline_kernelINS0_14default_configENS1_36segmented_radix_sort_config_selectorI6__halflEEZNS1_25segmented_radix_sort_implIS3_Lb0EPKS5_PS5_PKlPlN2at6native12_GLOBAL__N_18offset_tEEE10hipError_tPvRmT1_PNSt15iterator_traitsISL_E10value_typeET2_T3_PNSM_ISR_E10value_typeET4_jRbjT5_SX_jjP12ihipStream_tbEUlT_E_NS1_11comp_targetILNS1_3genE3ELNS1_11target_archE908ELNS1_3gpuE7ELNS1_3repE0EEENS1_30default_config_static_selectorELNS0_4arch9wavefront6targetE0EEEvSL_
                                        ; -- End function
	.set _ZN7rocprim17ROCPRIM_400000_NS6detail17trampoline_kernelINS0_14default_configENS1_36segmented_radix_sort_config_selectorI6__halflEEZNS1_25segmented_radix_sort_implIS3_Lb0EPKS5_PS5_PKlPlN2at6native12_GLOBAL__N_18offset_tEEE10hipError_tPvRmT1_PNSt15iterator_traitsISL_E10value_typeET2_T3_PNSM_ISR_E10value_typeET4_jRbjT5_SX_jjP12ihipStream_tbEUlT_E_NS1_11comp_targetILNS1_3genE3ELNS1_11target_archE908ELNS1_3gpuE7ELNS1_3repE0EEENS1_30default_config_static_selectorELNS0_4arch9wavefront6targetE0EEEvSL_.num_vgpr, 0
	.set _ZN7rocprim17ROCPRIM_400000_NS6detail17trampoline_kernelINS0_14default_configENS1_36segmented_radix_sort_config_selectorI6__halflEEZNS1_25segmented_radix_sort_implIS3_Lb0EPKS5_PS5_PKlPlN2at6native12_GLOBAL__N_18offset_tEEE10hipError_tPvRmT1_PNSt15iterator_traitsISL_E10value_typeET2_T3_PNSM_ISR_E10value_typeET4_jRbjT5_SX_jjP12ihipStream_tbEUlT_E_NS1_11comp_targetILNS1_3genE3ELNS1_11target_archE908ELNS1_3gpuE7ELNS1_3repE0EEENS1_30default_config_static_selectorELNS0_4arch9wavefront6targetE0EEEvSL_.num_agpr, 0
	.set _ZN7rocprim17ROCPRIM_400000_NS6detail17trampoline_kernelINS0_14default_configENS1_36segmented_radix_sort_config_selectorI6__halflEEZNS1_25segmented_radix_sort_implIS3_Lb0EPKS5_PS5_PKlPlN2at6native12_GLOBAL__N_18offset_tEEE10hipError_tPvRmT1_PNSt15iterator_traitsISL_E10value_typeET2_T3_PNSM_ISR_E10value_typeET4_jRbjT5_SX_jjP12ihipStream_tbEUlT_E_NS1_11comp_targetILNS1_3genE3ELNS1_11target_archE908ELNS1_3gpuE7ELNS1_3repE0EEENS1_30default_config_static_selectorELNS0_4arch9wavefront6targetE0EEEvSL_.numbered_sgpr, 0
	.set _ZN7rocprim17ROCPRIM_400000_NS6detail17trampoline_kernelINS0_14default_configENS1_36segmented_radix_sort_config_selectorI6__halflEEZNS1_25segmented_radix_sort_implIS3_Lb0EPKS5_PS5_PKlPlN2at6native12_GLOBAL__N_18offset_tEEE10hipError_tPvRmT1_PNSt15iterator_traitsISL_E10value_typeET2_T3_PNSM_ISR_E10value_typeET4_jRbjT5_SX_jjP12ihipStream_tbEUlT_E_NS1_11comp_targetILNS1_3genE3ELNS1_11target_archE908ELNS1_3gpuE7ELNS1_3repE0EEENS1_30default_config_static_selectorELNS0_4arch9wavefront6targetE0EEEvSL_.num_named_barrier, 0
	.set _ZN7rocprim17ROCPRIM_400000_NS6detail17trampoline_kernelINS0_14default_configENS1_36segmented_radix_sort_config_selectorI6__halflEEZNS1_25segmented_radix_sort_implIS3_Lb0EPKS5_PS5_PKlPlN2at6native12_GLOBAL__N_18offset_tEEE10hipError_tPvRmT1_PNSt15iterator_traitsISL_E10value_typeET2_T3_PNSM_ISR_E10value_typeET4_jRbjT5_SX_jjP12ihipStream_tbEUlT_E_NS1_11comp_targetILNS1_3genE3ELNS1_11target_archE908ELNS1_3gpuE7ELNS1_3repE0EEENS1_30default_config_static_selectorELNS0_4arch9wavefront6targetE0EEEvSL_.private_seg_size, 0
	.set _ZN7rocprim17ROCPRIM_400000_NS6detail17trampoline_kernelINS0_14default_configENS1_36segmented_radix_sort_config_selectorI6__halflEEZNS1_25segmented_radix_sort_implIS3_Lb0EPKS5_PS5_PKlPlN2at6native12_GLOBAL__N_18offset_tEEE10hipError_tPvRmT1_PNSt15iterator_traitsISL_E10value_typeET2_T3_PNSM_ISR_E10value_typeET4_jRbjT5_SX_jjP12ihipStream_tbEUlT_E_NS1_11comp_targetILNS1_3genE3ELNS1_11target_archE908ELNS1_3gpuE7ELNS1_3repE0EEENS1_30default_config_static_selectorELNS0_4arch9wavefront6targetE0EEEvSL_.uses_vcc, 0
	.set _ZN7rocprim17ROCPRIM_400000_NS6detail17trampoline_kernelINS0_14default_configENS1_36segmented_radix_sort_config_selectorI6__halflEEZNS1_25segmented_radix_sort_implIS3_Lb0EPKS5_PS5_PKlPlN2at6native12_GLOBAL__N_18offset_tEEE10hipError_tPvRmT1_PNSt15iterator_traitsISL_E10value_typeET2_T3_PNSM_ISR_E10value_typeET4_jRbjT5_SX_jjP12ihipStream_tbEUlT_E_NS1_11comp_targetILNS1_3genE3ELNS1_11target_archE908ELNS1_3gpuE7ELNS1_3repE0EEENS1_30default_config_static_selectorELNS0_4arch9wavefront6targetE0EEEvSL_.uses_flat_scratch, 0
	.set _ZN7rocprim17ROCPRIM_400000_NS6detail17trampoline_kernelINS0_14default_configENS1_36segmented_radix_sort_config_selectorI6__halflEEZNS1_25segmented_radix_sort_implIS3_Lb0EPKS5_PS5_PKlPlN2at6native12_GLOBAL__N_18offset_tEEE10hipError_tPvRmT1_PNSt15iterator_traitsISL_E10value_typeET2_T3_PNSM_ISR_E10value_typeET4_jRbjT5_SX_jjP12ihipStream_tbEUlT_E_NS1_11comp_targetILNS1_3genE3ELNS1_11target_archE908ELNS1_3gpuE7ELNS1_3repE0EEENS1_30default_config_static_selectorELNS0_4arch9wavefront6targetE0EEEvSL_.has_dyn_sized_stack, 0
	.set _ZN7rocprim17ROCPRIM_400000_NS6detail17trampoline_kernelINS0_14default_configENS1_36segmented_radix_sort_config_selectorI6__halflEEZNS1_25segmented_radix_sort_implIS3_Lb0EPKS5_PS5_PKlPlN2at6native12_GLOBAL__N_18offset_tEEE10hipError_tPvRmT1_PNSt15iterator_traitsISL_E10value_typeET2_T3_PNSM_ISR_E10value_typeET4_jRbjT5_SX_jjP12ihipStream_tbEUlT_E_NS1_11comp_targetILNS1_3genE3ELNS1_11target_archE908ELNS1_3gpuE7ELNS1_3repE0EEENS1_30default_config_static_selectorELNS0_4arch9wavefront6targetE0EEEvSL_.has_recursion, 0
	.set _ZN7rocprim17ROCPRIM_400000_NS6detail17trampoline_kernelINS0_14default_configENS1_36segmented_radix_sort_config_selectorI6__halflEEZNS1_25segmented_radix_sort_implIS3_Lb0EPKS5_PS5_PKlPlN2at6native12_GLOBAL__N_18offset_tEEE10hipError_tPvRmT1_PNSt15iterator_traitsISL_E10value_typeET2_T3_PNSM_ISR_E10value_typeET4_jRbjT5_SX_jjP12ihipStream_tbEUlT_E_NS1_11comp_targetILNS1_3genE3ELNS1_11target_archE908ELNS1_3gpuE7ELNS1_3repE0EEENS1_30default_config_static_selectorELNS0_4arch9wavefront6targetE0EEEvSL_.has_indirect_call, 0
	.section	.AMDGPU.csdata,"",@progbits
; Kernel info:
; codeLenInByte = 0
; TotalNumSgprs: 0
; NumVgprs: 0
; ScratchSize: 0
; MemoryBound: 0
; FloatMode: 240
; IeeeMode: 1
; LDSByteSize: 0 bytes/workgroup (compile time only)
; SGPRBlocks: 0
; VGPRBlocks: 0
; NumSGPRsForWavesPerEU: 1
; NumVGPRsForWavesPerEU: 1
; NamedBarCnt: 0
; Occupancy: 16
; WaveLimiterHint : 0
; COMPUTE_PGM_RSRC2:SCRATCH_EN: 0
; COMPUTE_PGM_RSRC2:USER_SGPR: 2
; COMPUTE_PGM_RSRC2:TRAP_HANDLER: 0
; COMPUTE_PGM_RSRC2:TGID_X_EN: 1
; COMPUTE_PGM_RSRC2:TGID_Y_EN: 0
; COMPUTE_PGM_RSRC2:TGID_Z_EN: 0
; COMPUTE_PGM_RSRC2:TIDIG_COMP_CNT: 0
	.section	.text._ZN7rocprim17ROCPRIM_400000_NS6detail17trampoline_kernelINS0_14default_configENS1_36segmented_radix_sort_config_selectorI6__halflEEZNS1_25segmented_radix_sort_implIS3_Lb0EPKS5_PS5_PKlPlN2at6native12_GLOBAL__N_18offset_tEEE10hipError_tPvRmT1_PNSt15iterator_traitsISL_E10value_typeET2_T3_PNSM_ISR_E10value_typeET4_jRbjT5_SX_jjP12ihipStream_tbEUlT_E_NS1_11comp_targetILNS1_3genE2ELNS1_11target_archE906ELNS1_3gpuE6ELNS1_3repE0EEENS1_30default_config_static_selectorELNS0_4arch9wavefront6targetE0EEEvSL_,"axG",@progbits,_ZN7rocprim17ROCPRIM_400000_NS6detail17trampoline_kernelINS0_14default_configENS1_36segmented_radix_sort_config_selectorI6__halflEEZNS1_25segmented_radix_sort_implIS3_Lb0EPKS5_PS5_PKlPlN2at6native12_GLOBAL__N_18offset_tEEE10hipError_tPvRmT1_PNSt15iterator_traitsISL_E10value_typeET2_T3_PNSM_ISR_E10value_typeET4_jRbjT5_SX_jjP12ihipStream_tbEUlT_E_NS1_11comp_targetILNS1_3genE2ELNS1_11target_archE906ELNS1_3gpuE6ELNS1_3repE0EEENS1_30default_config_static_selectorELNS0_4arch9wavefront6targetE0EEEvSL_,comdat
	.globl	_ZN7rocprim17ROCPRIM_400000_NS6detail17trampoline_kernelINS0_14default_configENS1_36segmented_radix_sort_config_selectorI6__halflEEZNS1_25segmented_radix_sort_implIS3_Lb0EPKS5_PS5_PKlPlN2at6native12_GLOBAL__N_18offset_tEEE10hipError_tPvRmT1_PNSt15iterator_traitsISL_E10value_typeET2_T3_PNSM_ISR_E10value_typeET4_jRbjT5_SX_jjP12ihipStream_tbEUlT_E_NS1_11comp_targetILNS1_3genE2ELNS1_11target_archE906ELNS1_3gpuE6ELNS1_3repE0EEENS1_30default_config_static_selectorELNS0_4arch9wavefront6targetE0EEEvSL_ ; -- Begin function _ZN7rocprim17ROCPRIM_400000_NS6detail17trampoline_kernelINS0_14default_configENS1_36segmented_radix_sort_config_selectorI6__halflEEZNS1_25segmented_radix_sort_implIS3_Lb0EPKS5_PS5_PKlPlN2at6native12_GLOBAL__N_18offset_tEEE10hipError_tPvRmT1_PNSt15iterator_traitsISL_E10value_typeET2_T3_PNSM_ISR_E10value_typeET4_jRbjT5_SX_jjP12ihipStream_tbEUlT_E_NS1_11comp_targetILNS1_3genE2ELNS1_11target_archE906ELNS1_3gpuE6ELNS1_3repE0EEENS1_30default_config_static_selectorELNS0_4arch9wavefront6targetE0EEEvSL_
	.p2align	8
	.type	_ZN7rocprim17ROCPRIM_400000_NS6detail17trampoline_kernelINS0_14default_configENS1_36segmented_radix_sort_config_selectorI6__halflEEZNS1_25segmented_radix_sort_implIS3_Lb0EPKS5_PS5_PKlPlN2at6native12_GLOBAL__N_18offset_tEEE10hipError_tPvRmT1_PNSt15iterator_traitsISL_E10value_typeET2_T3_PNSM_ISR_E10value_typeET4_jRbjT5_SX_jjP12ihipStream_tbEUlT_E_NS1_11comp_targetILNS1_3genE2ELNS1_11target_archE906ELNS1_3gpuE6ELNS1_3repE0EEENS1_30default_config_static_selectorELNS0_4arch9wavefront6targetE0EEEvSL_,@function
_ZN7rocprim17ROCPRIM_400000_NS6detail17trampoline_kernelINS0_14default_configENS1_36segmented_radix_sort_config_selectorI6__halflEEZNS1_25segmented_radix_sort_implIS3_Lb0EPKS5_PS5_PKlPlN2at6native12_GLOBAL__N_18offset_tEEE10hipError_tPvRmT1_PNSt15iterator_traitsISL_E10value_typeET2_T3_PNSM_ISR_E10value_typeET4_jRbjT5_SX_jjP12ihipStream_tbEUlT_E_NS1_11comp_targetILNS1_3genE2ELNS1_11target_archE906ELNS1_3gpuE6ELNS1_3repE0EEENS1_30default_config_static_selectorELNS0_4arch9wavefront6targetE0EEEvSL_: ; @_ZN7rocprim17ROCPRIM_400000_NS6detail17trampoline_kernelINS0_14default_configENS1_36segmented_radix_sort_config_selectorI6__halflEEZNS1_25segmented_radix_sort_implIS3_Lb0EPKS5_PS5_PKlPlN2at6native12_GLOBAL__N_18offset_tEEE10hipError_tPvRmT1_PNSt15iterator_traitsISL_E10value_typeET2_T3_PNSM_ISR_E10value_typeET4_jRbjT5_SX_jjP12ihipStream_tbEUlT_E_NS1_11comp_targetILNS1_3genE2ELNS1_11target_archE906ELNS1_3gpuE6ELNS1_3repE0EEENS1_30default_config_static_selectorELNS0_4arch9wavefront6targetE0EEEvSL_
; %bb.0:
	.section	.rodata,"a",@progbits
	.p2align	6, 0x0
	.amdhsa_kernel _ZN7rocprim17ROCPRIM_400000_NS6detail17trampoline_kernelINS0_14default_configENS1_36segmented_radix_sort_config_selectorI6__halflEEZNS1_25segmented_radix_sort_implIS3_Lb0EPKS5_PS5_PKlPlN2at6native12_GLOBAL__N_18offset_tEEE10hipError_tPvRmT1_PNSt15iterator_traitsISL_E10value_typeET2_T3_PNSM_ISR_E10value_typeET4_jRbjT5_SX_jjP12ihipStream_tbEUlT_E_NS1_11comp_targetILNS1_3genE2ELNS1_11target_archE906ELNS1_3gpuE6ELNS1_3repE0EEENS1_30default_config_static_selectorELNS0_4arch9wavefront6targetE0EEEvSL_
		.amdhsa_group_segment_fixed_size 0
		.amdhsa_private_segment_fixed_size 0
		.amdhsa_kernarg_size 96
		.amdhsa_user_sgpr_count 2
		.amdhsa_user_sgpr_dispatch_ptr 0
		.amdhsa_user_sgpr_queue_ptr 0
		.amdhsa_user_sgpr_kernarg_segment_ptr 1
		.amdhsa_user_sgpr_dispatch_id 0
		.amdhsa_user_sgpr_kernarg_preload_length 0
		.amdhsa_user_sgpr_kernarg_preload_offset 0
		.amdhsa_user_sgpr_private_segment_size 0
		.amdhsa_wavefront_size32 1
		.amdhsa_uses_dynamic_stack 0
		.amdhsa_enable_private_segment 0
		.amdhsa_system_sgpr_workgroup_id_x 1
		.amdhsa_system_sgpr_workgroup_id_y 0
		.amdhsa_system_sgpr_workgroup_id_z 0
		.amdhsa_system_sgpr_workgroup_info 0
		.amdhsa_system_vgpr_workitem_id 0
		.amdhsa_next_free_vgpr 1
		.amdhsa_next_free_sgpr 1
		.amdhsa_named_barrier_count 0
		.amdhsa_reserve_vcc 0
		.amdhsa_float_round_mode_32 0
		.amdhsa_float_round_mode_16_64 0
		.amdhsa_float_denorm_mode_32 3
		.amdhsa_float_denorm_mode_16_64 3
		.amdhsa_fp16_overflow 0
		.amdhsa_memory_ordered 1
		.amdhsa_forward_progress 1
		.amdhsa_inst_pref_size 0
		.amdhsa_round_robin_scheduling 0
		.amdhsa_exception_fp_ieee_invalid_op 0
		.amdhsa_exception_fp_denorm_src 0
		.amdhsa_exception_fp_ieee_div_zero 0
		.amdhsa_exception_fp_ieee_overflow 0
		.amdhsa_exception_fp_ieee_underflow 0
		.amdhsa_exception_fp_ieee_inexact 0
		.amdhsa_exception_int_div_zero 0
	.end_amdhsa_kernel
	.section	.text._ZN7rocprim17ROCPRIM_400000_NS6detail17trampoline_kernelINS0_14default_configENS1_36segmented_radix_sort_config_selectorI6__halflEEZNS1_25segmented_radix_sort_implIS3_Lb0EPKS5_PS5_PKlPlN2at6native12_GLOBAL__N_18offset_tEEE10hipError_tPvRmT1_PNSt15iterator_traitsISL_E10value_typeET2_T3_PNSM_ISR_E10value_typeET4_jRbjT5_SX_jjP12ihipStream_tbEUlT_E_NS1_11comp_targetILNS1_3genE2ELNS1_11target_archE906ELNS1_3gpuE6ELNS1_3repE0EEENS1_30default_config_static_selectorELNS0_4arch9wavefront6targetE0EEEvSL_,"axG",@progbits,_ZN7rocprim17ROCPRIM_400000_NS6detail17trampoline_kernelINS0_14default_configENS1_36segmented_radix_sort_config_selectorI6__halflEEZNS1_25segmented_radix_sort_implIS3_Lb0EPKS5_PS5_PKlPlN2at6native12_GLOBAL__N_18offset_tEEE10hipError_tPvRmT1_PNSt15iterator_traitsISL_E10value_typeET2_T3_PNSM_ISR_E10value_typeET4_jRbjT5_SX_jjP12ihipStream_tbEUlT_E_NS1_11comp_targetILNS1_3genE2ELNS1_11target_archE906ELNS1_3gpuE6ELNS1_3repE0EEENS1_30default_config_static_selectorELNS0_4arch9wavefront6targetE0EEEvSL_,comdat
.Lfunc_end1837:
	.size	_ZN7rocprim17ROCPRIM_400000_NS6detail17trampoline_kernelINS0_14default_configENS1_36segmented_radix_sort_config_selectorI6__halflEEZNS1_25segmented_radix_sort_implIS3_Lb0EPKS5_PS5_PKlPlN2at6native12_GLOBAL__N_18offset_tEEE10hipError_tPvRmT1_PNSt15iterator_traitsISL_E10value_typeET2_T3_PNSM_ISR_E10value_typeET4_jRbjT5_SX_jjP12ihipStream_tbEUlT_E_NS1_11comp_targetILNS1_3genE2ELNS1_11target_archE906ELNS1_3gpuE6ELNS1_3repE0EEENS1_30default_config_static_selectorELNS0_4arch9wavefront6targetE0EEEvSL_, .Lfunc_end1837-_ZN7rocprim17ROCPRIM_400000_NS6detail17trampoline_kernelINS0_14default_configENS1_36segmented_radix_sort_config_selectorI6__halflEEZNS1_25segmented_radix_sort_implIS3_Lb0EPKS5_PS5_PKlPlN2at6native12_GLOBAL__N_18offset_tEEE10hipError_tPvRmT1_PNSt15iterator_traitsISL_E10value_typeET2_T3_PNSM_ISR_E10value_typeET4_jRbjT5_SX_jjP12ihipStream_tbEUlT_E_NS1_11comp_targetILNS1_3genE2ELNS1_11target_archE906ELNS1_3gpuE6ELNS1_3repE0EEENS1_30default_config_static_selectorELNS0_4arch9wavefront6targetE0EEEvSL_
                                        ; -- End function
	.set _ZN7rocprim17ROCPRIM_400000_NS6detail17trampoline_kernelINS0_14default_configENS1_36segmented_radix_sort_config_selectorI6__halflEEZNS1_25segmented_radix_sort_implIS3_Lb0EPKS5_PS5_PKlPlN2at6native12_GLOBAL__N_18offset_tEEE10hipError_tPvRmT1_PNSt15iterator_traitsISL_E10value_typeET2_T3_PNSM_ISR_E10value_typeET4_jRbjT5_SX_jjP12ihipStream_tbEUlT_E_NS1_11comp_targetILNS1_3genE2ELNS1_11target_archE906ELNS1_3gpuE6ELNS1_3repE0EEENS1_30default_config_static_selectorELNS0_4arch9wavefront6targetE0EEEvSL_.num_vgpr, 0
	.set _ZN7rocprim17ROCPRIM_400000_NS6detail17trampoline_kernelINS0_14default_configENS1_36segmented_radix_sort_config_selectorI6__halflEEZNS1_25segmented_radix_sort_implIS3_Lb0EPKS5_PS5_PKlPlN2at6native12_GLOBAL__N_18offset_tEEE10hipError_tPvRmT1_PNSt15iterator_traitsISL_E10value_typeET2_T3_PNSM_ISR_E10value_typeET4_jRbjT5_SX_jjP12ihipStream_tbEUlT_E_NS1_11comp_targetILNS1_3genE2ELNS1_11target_archE906ELNS1_3gpuE6ELNS1_3repE0EEENS1_30default_config_static_selectorELNS0_4arch9wavefront6targetE0EEEvSL_.num_agpr, 0
	.set _ZN7rocprim17ROCPRIM_400000_NS6detail17trampoline_kernelINS0_14default_configENS1_36segmented_radix_sort_config_selectorI6__halflEEZNS1_25segmented_radix_sort_implIS3_Lb0EPKS5_PS5_PKlPlN2at6native12_GLOBAL__N_18offset_tEEE10hipError_tPvRmT1_PNSt15iterator_traitsISL_E10value_typeET2_T3_PNSM_ISR_E10value_typeET4_jRbjT5_SX_jjP12ihipStream_tbEUlT_E_NS1_11comp_targetILNS1_3genE2ELNS1_11target_archE906ELNS1_3gpuE6ELNS1_3repE0EEENS1_30default_config_static_selectorELNS0_4arch9wavefront6targetE0EEEvSL_.numbered_sgpr, 0
	.set _ZN7rocprim17ROCPRIM_400000_NS6detail17trampoline_kernelINS0_14default_configENS1_36segmented_radix_sort_config_selectorI6__halflEEZNS1_25segmented_radix_sort_implIS3_Lb0EPKS5_PS5_PKlPlN2at6native12_GLOBAL__N_18offset_tEEE10hipError_tPvRmT1_PNSt15iterator_traitsISL_E10value_typeET2_T3_PNSM_ISR_E10value_typeET4_jRbjT5_SX_jjP12ihipStream_tbEUlT_E_NS1_11comp_targetILNS1_3genE2ELNS1_11target_archE906ELNS1_3gpuE6ELNS1_3repE0EEENS1_30default_config_static_selectorELNS0_4arch9wavefront6targetE0EEEvSL_.num_named_barrier, 0
	.set _ZN7rocprim17ROCPRIM_400000_NS6detail17trampoline_kernelINS0_14default_configENS1_36segmented_radix_sort_config_selectorI6__halflEEZNS1_25segmented_radix_sort_implIS3_Lb0EPKS5_PS5_PKlPlN2at6native12_GLOBAL__N_18offset_tEEE10hipError_tPvRmT1_PNSt15iterator_traitsISL_E10value_typeET2_T3_PNSM_ISR_E10value_typeET4_jRbjT5_SX_jjP12ihipStream_tbEUlT_E_NS1_11comp_targetILNS1_3genE2ELNS1_11target_archE906ELNS1_3gpuE6ELNS1_3repE0EEENS1_30default_config_static_selectorELNS0_4arch9wavefront6targetE0EEEvSL_.private_seg_size, 0
	.set _ZN7rocprim17ROCPRIM_400000_NS6detail17trampoline_kernelINS0_14default_configENS1_36segmented_radix_sort_config_selectorI6__halflEEZNS1_25segmented_radix_sort_implIS3_Lb0EPKS5_PS5_PKlPlN2at6native12_GLOBAL__N_18offset_tEEE10hipError_tPvRmT1_PNSt15iterator_traitsISL_E10value_typeET2_T3_PNSM_ISR_E10value_typeET4_jRbjT5_SX_jjP12ihipStream_tbEUlT_E_NS1_11comp_targetILNS1_3genE2ELNS1_11target_archE906ELNS1_3gpuE6ELNS1_3repE0EEENS1_30default_config_static_selectorELNS0_4arch9wavefront6targetE0EEEvSL_.uses_vcc, 0
	.set _ZN7rocprim17ROCPRIM_400000_NS6detail17trampoline_kernelINS0_14default_configENS1_36segmented_radix_sort_config_selectorI6__halflEEZNS1_25segmented_radix_sort_implIS3_Lb0EPKS5_PS5_PKlPlN2at6native12_GLOBAL__N_18offset_tEEE10hipError_tPvRmT1_PNSt15iterator_traitsISL_E10value_typeET2_T3_PNSM_ISR_E10value_typeET4_jRbjT5_SX_jjP12ihipStream_tbEUlT_E_NS1_11comp_targetILNS1_3genE2ELNS1_11target_archE906ELNS1_3gpuE6ELNS1_3repE0EEENS1_30default_config_static_selectorELNS0_4arch9wavefront6targetE0EEEvSL_.uses_flat_scratch, 0
	.set _ZN7rocprim17ROCPRIM_400000_NS6detail17trampoline_kernelINS0_14default_configENS1_36segmented_radix_sort_config_selectorI6__halflEEZNS1_25segmented_radix_sort_implIS3_Lb0EPKS5_PS5_PKlPlN2at6native12_GLOBAL__N_18offset_tEEE10hipError_tPvRmT1_PNSt15iterator_traitsISL_E10value_typeET2_T3_PNSM_ISR_E10value_typeET4_jRbjT5_SX_jjP12ihipStream_tbEUlT_E_NS1_11comp_targetILNS1_3genE2ELNS1_11target_archE906ELNS1_3gpuE6ELNS1_3repE0EEENS1_30default_config_static_selectorELNS0_4arch9wavefront6targetE0EEEvSL_.has_dyn_sized_stack, 0
	.set _ZN7rocprim17ROCPRIM_400000_NS6detail17trampoline_kernelINS0_14default_configENS1_36segmented_radix_sort_config_selectorI6__halflEEZNS1_25segmented_radix_sort_implIS3_Lb0EPKS5_PS5_PKlPlN2at6native12_GLOBAL__N_18offset_tEEE10hipError_tPvRmT1_PNSt15iterator_traitsISL_E10value_typeET2_T3_PNSM_ISR_E10value_typeET4_jRbjT5_SX_jjP12ihipStream_tbEUlT_E_NS1_11comp_targetILNS1_3genE2ELNS1_11target_archE906ELNS1_3gpuE6ELNS1_3repE0EEENS1_30default_config_static_selectorELNS0_4arch9wavefront6targetE0EEEvSL_.has_recursion, 0
	.set _ZN7rocprim17ROCPRIM_400000_NS6detail17trampoline_kernelINS0_14default_configENS1_36segmented_radix_sort_config_selectorI6__halflEEZNS1_25segmented_radix_sort_implIS3_Lb0EPKS5_PS5_PKlPlN2at6native12_GLOBAL__N_18offset_tEEE10hipError_tPvRmT1_PNSt15iterator_traitsISL_E10value_typeET2_T3_PNSM_ISR_E10value_typeET4_jRbjT5_SX_jjP12ihipStream_tbEUlT_E_NS1_11comp_targetILNS1_3genE2ELNS1_11target_archE906ELNS1_3gpuE6ELNS1_3repE0EEENS1_30default_config_static_selectorELNS0_4arch9wavefront6targetE0EEEvSL_.has_indirect_call, 0
	.section	.AMDGPU.csdata,"",@progbits
; Kernel info:
; codeLenInByte = 0
; TotalNumSgprs: 0
; NumVgprs: 0
; ScratchSize: 0
; MemoryBound: 0
; FloatMode: 240
; IeeeMode: 1
; LDSByteSize: 0 bytes/workgroup (compile time only)
; SGPRBlocks: 0
; VGPRBlocks: 0
; NumSGPRsForWavesPerEU: 1
; NumVGPRsForWavesPerEU: 1
; NamedBarCnt: 0
; Occupancy: 16
; WaveLimiterHint : 0
; COMPUTE_PGM_RSRC2:SCRATCH_EN: 0
; COMPUTE_PGM_RSRC2:USER_SGPR: 2
; COMPUTE_PGM_RSRC2:TRAP_HANDLER: 0
; COMPUTE_PGM_RSRC2:TGID_X_EN: 1
; COMPUTE_PGM_RSRC2:TGID_Y_EN: 0
; COMPUTE_PGM_RSRC2:TGID_Z_EN: 0
; COMPUTE_PGM_RSRC2:TIDIG_COMP_CNT: 0
	.section	.text._ZN7rocprim17ROCPRIM_400000_NS6detail17trampoline_kernelINS0_14default_configENS1_36segmented_radix_sort_config_selectorI6__halflEEZNS1_25segmented_radix_sort_implIS3_Lb0EPKS5_PS5_PKlPlN2at6native12_GLOBAL__N_18offset_tEEE10hipError_tPvRmT1_PNSt15iterator_traitsISL_E10value_typeET2_T3_PNSM_ISR_E10value_typeET4_jRbjT5_SX_jjP12ihipStream_tbEUlT_E_NS1_11comp_targetILNS1_3genE10ELNS1_11target_archE1201ELNS1_3gpuE5ELNS1_3repE0EEENS1_30default_config_static_selectorELNS0_4arch9wavefront6targetE0EEEvSL_,"axG",@progbits,_ZN7rocprim17ROCPRIM_400000_NS6detail17trampoline_kernelINS0_14default_configENS1_36segmented_radix_sort_config_selectorI6__halflEEZNS1_25segmented_radix_sort_implIS3_Lb0EPKS5_PS5_PKlPlN2at6native12_GLOBAL__N_18offset_tEEE10hipError_tPvRmT1_PNSt15iterator_traitsISL_E10value_typeET2_T3_PNSM_ISR_E10value_typeET4_jRbjT5_SX_jjP12ihipStream_tbEUlT_E_NS1_11comp_targetILNS1_3genE10ELNS1_11target_archE1201ELNS1_3gpuE5ELNS1_3repE0EEENS1_30default_config_static_selectorELNS0_4arch9wavefront6targetE0EEEvSL_,comdat
	.globl	_ZN7rocprim17ROCPRIM_400000_NS6detail17trampoline_kernelINS0_14default_configENS1_36segmented_radix_sort_config_selectorI6__halflEEZNS1_25segmented_radix_sort_implIS3_Lb0EPKS5_PS5_PKlPlN2at6native12_GLOBAL__N_18offset_tEEE10hipError_tPvRmT1_PNSt15iterator_traitsISL_E10value_typeET2_T3_PNSM_ISR_E10value_typeET4_jRbjT5_SX_jjP12ihipStream_tbEUlT_E_NS1_11comp_targetILNS1_3genE10ELNS1_11target_archE1201ELNS1_3gpuE5ELNS1_3repE0EEENS1_30default_config_static_selectorELNS0_4arch9wavefront6targetE0EEEvSL_ ; -- Begin function _ZN7rocprim17ROCPRIM_400000_NS6detail17trampoline_kernelINS0_14default_configENS1_36segmented_radix_sort_config_selectorI6__halflEEZNS1_25segmented_radix_sort_implIS3_Lb0EPKS5_PS5_PKlPlN2at6native12_GLOBAL__N_18offset_tEEE10hipError_tPvRmT1_PNSt15iterator_traitsISL_E10value_typeET2_T3_PNSM_ISR_E10value_typeET4_jRbjT5_SX_jjP12ihipStream_tbEUlT_E_NS1_11comp_targetILNS1_3genE10ELNS1_11target_archE1201ELNS1_3gpuE5ELNS1_3repE0EEENS1_30default_config_static_selectorELNS0_4arch9wavefront6targetE0EEEvSL_
	.p2align	8
	.type	_ZN7rocprim17ROCPRIM_400000_NS6detail17trampoline_kernelINS0_14default_configENS1_36segmented_radix_sort_config_selectorI6__halflEEZNS1_25segmented_radix_sort_implIS3_Lb0EPKS5_PS5_PKlPlN2at6native12_GLOBAL__N_18offset_tEEE10hipError_tPvRmT1_PNSt15iterator_traitsISL_E10value_typeET2_T3_PNSM_ISR_E10value_typeET4_jRbjT5_SX_jjP12ihipStream_tbEUlT_E_NS1_11comp_targetILNS1_3genE10ELNS1_11target_archE1201ELNS1_3gpuE5ELNS1_3repE0EEENS1_30default_config_static_selectorELNS0_4arch9wavefront6targetE0EEEvSL_,@function
_ZN7rocprim17ROCPRIM_400000_NS6detail17trampoline_kernelINS0_14default_configENS1_36segmented_radix_sort_config_selectorI6__halflEEZNS1_25segmented_radix_sort_implIS3_Lb0EPKS5_PS5_PKlPlN2at6native12_GLOBAL__N_18offset_tEEE10hipError_tPvRmT1_PNSt15iterator_traitsISL_E10value_typeET2_T3_PNSM_ISR_E10value_typeET4_jRbjT5_SX_jjP12ihipStream_tbEUlT_E_NS1_11comp_targetILNS1_3genE10ELNS1_11target_archE1201ELNS1_3gpuE5ELNS1_3repE0EEENS1_30default_config_static_selectorELNS0_4arch9wavefront6targetE0EEEvSL_: ; @_ZN7rocprim17ROCPRIM_400000_NS6detail17trampoline_kernelINS0_14default_configENS1_36segmented_radix_sort_config_selectorI6__halflEEZNS1_25segmented_radix_sort_implIS3_Lb0EPKS5_PS5_PKlPlN2at6native12_GLOBAL__N_18offset_tEEE10hipError_tPvRmT1_PNSt15iterator_traitsISL_E10value_typeET2_T3_PNSM_ISR_E10value_typeET4_jRbjT5_SX_jjP12ihipStream_tbEUlT_E_NS1_11comp_targetILNS1_3genE10ELNS1_11target_archE1201ELNS1_3gpuE5ELNS1_3repE0EEENS1_30default_config_static_selectorELNS0_4arch9wavefront6targetE0EEEvSL_
; %bb.0:
	.section	.rodata,"a",@progbits
	.p2align	6, 0x0
	.amdhsa_kernel _ZN7rocprim17ROCPRIM_400000_NS6detail17trampoline_kernelINS0_14default_configENS1_36segmented_radix_sort_config_selectorI6__halflEEZNS1_25segmented_radix_sort_implIS3_Lb0EPKS5_PS5_PKlPlN2at6native12_GLOBAL__N_18offset_tEEE10hipError_tPvRmT1_PNSt15iterator_traitsISL_E10value_typeET2_T3_PNSM_ISR_E10value_typeET4_jRbjT5_SX_jjP12ihipStream_tbEUlT_E_NS1_11comp_targetILNS1_3genE10ELNS1_11target_archE1201ELNS1_3gpuE5ELNS1_3repE0EEENS1_30default_config_static_selectorELNS0_4arch9wavefront6targetE0EEEvSL_
		.amdhsa_group_segment_fixed_size 0
		.amdhsa_private_segment_fixed_size 0
		.amdhsa_kernarg_size 96
		.amdhsa_user_sgpr_count 2
		.amdhsa_user_sgpr_dispatch_ptr 0
		.amdhsa_user_sgpr_queue_ptr 0
		.amdhsa_user_sgpr_kernarg_segment_ptr 1
		.amdhsa_user_sgpr_dispatch_id 0
		.amdhsa_user_sgpr_kernarg_preload_length 0
		.amdhsa_user_sgpr_kernarg_preload_offset 0
		.amdhsa_user_sgpr_private_segment_size 0
		.amdhsa_wavefront_size32 1
		.amdhsa_uses_dynamic_stack 0
		.amdhsa_enable_private_segment 0
		.amdhsa_system_sgpr_workgroup_id_x 1
		.amdhsa_system_sgpr_workgroup_id_y 0
		.amdhsa_system_sgpr_workgroup_id_z 0
		.amdhsa_system_sgpr_workgroup_info 0
		.amdhsa_system_vgpr_workitem_id 0
		.amdhsa_next_free_vgpr 1
		.amdhsa_next_free_sgpr 1
		.amdhsa_named_barrier_count 0
		.amdhsa_reserve_vcc 0
		.amdhsa_float_round_mode_32 0
		.amdhsa_float_round_mode_16_64 0
		.amdhsa_float_denorm_mode_32 3
		.amdhsa_float_denorm_mode_16_64 3
		.amdhsa_fp16_overflow 0
		.amdhsa_memory_ordered 1
		.amdhsa_forward_progress 1
		.amdhsa_inst_pref_size 0
		.amdhsa_round_robin_scheduling 0
		.amdhsa_exception_fp_ieee_invalid_op 0
		.amdhsa_exception_fp_denorm_src 0
		.amdhsa_exception_fp_ieee_div_zero 0
		.amdhsa_exception_fp_ieee_overflow 0
		.amdhsa_exception_fp_ieee_underflow 0
		.amdhsa_exception_fp_ieee_inexact 0
		.amdhsa_exception_int_div_zero 0
	.end_amdhsa_kernel
	.section	.text._ZN7rocprim17ROCPRIM_400000_NS6detail17trampoline_kernelINS0_14default_configENS1_36segmented_radix_sort_config_selectorI6__halflEEZNS1_25segmented_radix_sort_implIS3_Lb0EPKS5_PS5_PKlPlN2at6native12_GLOBAL__N_18offset_tEEE10hipError_tPvRmT1_PNSt15iterator_traitsISL_E10value_typeET2_T3_PNSM_ISR_E10value_typeET4_jRbjT5_SX_jjP12ihipStream_tbEUlT_E_NS1_11comp_targetILNS1_3genE10ELNS1_11target_archE1201ELNS1_3gpuE5ELNS1_3repE0EEENS1_30default_config_static_selectorELNS0_4arch9wavefront6targetE0EEEvSL_,"axG",@progbits,_ZN7rocprim17ROCPRIM_400000_NS6detail17trampoline_kernelINS0_14default_configENS1_36segmented_radix_sort_config_selectorI6__halflEEZNS1_25segmented_radix_sort_implIS3_Lb0EPKS5_PS5_PKlPlN2at6native12_GLOBAL__N_18offset_tEEE10hipError_tPvRmT1_PNSt15iterator_traitsISL_E10value_typeET2_T3_PNSM_ISR_E10value_typeET4_jRbjT5_SX_jjP12ihipStream_tbEUlT_E_NS1_11comp_targetILNS1_3genE10ELNS1_11target_archE1201ELNS1_3gpuE5ELNS1_3repE0EEENS1_30default_config_static_selectorELNS0_4arch9wavefront6targetE0EEEvSL_,comdat
.Lfunc_end1838:
	.size	_ZN7rocprim17ROCPRIM_400000_NS6detail17trampoline_kernelINS0_14default_configENS1_36segmented_radix_sort_config_selectorI6__halflEEZNS1_25segmented_radix_sort_implIS3_Lb0EPKS5_PS5_PKlPlN2at6native12_GLOBAL__N_18offset_tEEE10hipError_tPvRmT1_PNSt15iterator_traitsISL_E10value_typeET2_T3_PNSM_ISR_E10value_typeET4_jRbjT5_SX_jjP12ihipStream_tbEUlT_E_NS1_11comp_targetILNS1_3genE10ELNS1_11target_archE1201ELNS1_3gpuE5ELNS1_3repE0EEENS1_30default_config_static_selectorELNS0_4arch9wavefront6targetE0EEEvSL_, .Lfunc_end1838-_ZN7rocprim17ROCPRIM_400000_NS6detail17trampoline_kernelINS0_14default_configENS1_36segmented_radix_sort_config_selectorI6__halflEEZNS1_25segmented_radix_sort_implIS3_Lb0EPKS5_PS5_PKlPlN2at6native12_GLOBAL__N_18offset_tEEE10hipError_tPvRmT1_PNSt15iterator_traitsISL_E10value_typeET2_T3_PNSM_ISR_E10value_typeET4_jRbjT5_SX_jjP12ihipStream_tbEUlT_E_NS1_11comp_targetILNS1_3genE10ELNS1_11target_archE1201ELNS1_3gpuE5ELNS1_3repE0EEENS1_30default_config_static_selectorELNS0_4arch9wavefront6targetE0EEEvSL_
                                        ; -- End function
	.set _ZN7rocprim17ROCPRIM_400000_NS6detail17trampoline_kernelINS0_14default_configENS1_36segmented_radix_sort_config_selectorI6__halflEEZNS1_25segmented_radix_sort_implIS3_Lb0EPKS5_PS5_PKlPlN2at6native12_GLOBAL__N_18offset_tEEE10hipError_tPvRmT1_PNSt15iterator_traitsISL_E10value_typeET2_T3_PNSM_ISR_E10value_typeET4_jRbjT5_SX_jjP12ihipStream_tbEUlT_E_NS1_11comp_targetILNS1_3genE10ELNS1_11target_archE1201ELNS1_3gpuE5ELNS1_3repE0EEENS1_30default_config_static_selectorELNS0_4arch9wavefront6targetE0EEEvSL_.num_vgpr, 0
	.set _ZN7rocprim17ROCPRIM_400000_NS6detail17trampoline_kernelINS0_14default_configENS1_36segmented_radix_sort_config_selectorI6__halflEEZNS1_25segmented_radix_sort_implIS3_Lb0EPKS5_PS5_PKlPlN2at6native12_GLOBAL__N_18offset_tEEE10hipError_tPvRmT1_PNSt15iterator_traitsISL_E10value_typeET2_T3_PNSM_ISR_E10value_typeET4_jRbjT5_SX_jjP12ihipStream_tbEUlT_E_NS1_11comp_targetILNS1_3genE10ELNS1_11target_archE1201ELNS1_3gpuE5ELNS1_3repE0EEENS1_30default_config_static_selectorELNS0_4arch9wavefront6targetE0EEEvSL_.num_agpr, 0
	.set _ZN7rocprim17ROCPRIM_400000_NS6detail17trampoline_kernelINS0_14default_configENS1_36segmented_radix_sort_config_selectorI6__halflEEZNS1_25segmented_radix_sort_implIS3_Lb0EPKS5_PS5_PKlPlN2at6native12_GLOBAL__N_18offset_tEEE10hipError_tPvRmT1_PNSt15iterator_traitsISL_E10value_typeET2_T3_PNSM_ISR_E10value_typeET4_jRbjT5_SX_jjP12ihipStream_tbEUlT_E_NS1_11comp_targetILNS1_3genE10ELNS1_11target_archE1201ELNS1_3gpuE5ELNS1_3repE0EEENS1_30default_config_static_selectorELNS0_4arch9wavefront6targetE0EEEvSL_.numbered_sgpr, 0
	.set _ZN7rocprim17ROCPRIM_400000_NS6detail17trampoline_kernelINS0_14default_configENS1_36segmented_radix_sort_config_selectorI6__halflEEZNS1_25segmented_radix_sort_implIS3_Lb0EPKS5_PS5_PKlPlN2at6native12_GLOBAL__N_18offset_tEEE10hipError_tPvRmT1_PNSt15iterator_traitsISL_E10value_typeET2_T3_PNSM_ISR_E10value_typeET4_jRbjT5_SX_jjP12ihipStream_tbEUlT_E_NS1_11comp_targetILNS1_3genE10ELNS1_11target_archE1201ELNS1_3gpuE5ELNS1_3repE0EEENS1_30default_config_static_selectorELNS0_4arch9wavefront6targetE0EEEvSL_.num_named_barrier, 0
	.set _ZN7rocprim17ROCPRIM_400000_NS6detail17trampoline_kernelINS0_14default_configENS1_36segmented_radix_sort_config_selectorI6__halflEEZNS1_25segmented_radix_sort_implIS3_Lb0EPKS5_PS5_PKlPlN2at6native12_GLOBAL__N_18offset_tEEE10hipError_tPvRmT1_PNSt15iterator_traitsISL_E10value_typeET2_T3_PNSM_ISR_E10value_typeET4_jRbjT5_SX_jjP12ihipStream_tbEUlT_E_NS1_11comp_targetILNS1_3genE10ELNS1_11target_archE1201ELNS1_3gpuE5ELNS1_3repE0EEENS1_30default_config_static_selectorELNS0_4arch9wavefront6targetE0EEEvSL_.private_seg_size, 0
	.set _ZN7rocprim17ROCPRIM_400000_NS6detail17trampoline_kernelINS0_14default_configENS1_36segmented_radix_sort_config_selectorI6__halflEEZNS1_25segmented_radix_sort_implIS3_Lb0EPKS5_PS5_PKlPlN2at6native12_GLOBAL__N_18offset_tEEE10hipError_tPvRmT1_PNSt15iterator_traitsISL_E10value_typeET2_T3_PNSM_ISR_E10value_typeET4_jRbjT5_SX_jjP12ihipStream_tbEUlT_E_NS1_11comp_targetILNS1_3genE10ELNS1_11target_archE1201ELNS1_3gpuE5ELNS1_3repE0EEENS1_30default_config_static_selectorELNS0_4arch9wavefront6targetE0EEEvSL_.uses_vcc, 0
	.set _ZN7rocprim17ROCPRIM_400000_NS6detail17trampoline_kernelINS0_14default_configENS1_36segmented_radix_sort_config_selectorI6__halflEEZNS1_25segmented_radix_sort_implIS3_Lb0EPKS5_PS5_PKlPlN2at6native12_GLOBAL__N_18offset_tEEE10hipError_tPvRmT1_PNSt15iterator_traitsISL_E10value_typeET2_T3_PNSM_ISR_E10value_typeET4_jRbjT5_SX_jjP12ihipStream_tbEUlT_E_NS1_11comp_targetILNS1_3genE10ELNS1_11target_archE1201ELNS1_3gpuE5ELNS1_3repE0EEENS1_30default_config_static_selectorELNS0_4arch9wavefront6targetE0EEEvSL_.uses_flat_scratch, 0
	.set _ZN7rocprim17ROCPRIM_400000_NS6detail17trampoline_kernelINS0_14default_configENS1_36segmented_radix_sort_config_selectorI6__halflEEZNS1_25segmented_radix_sort_implIS3_Lb0EPKS5_PS5_PKlPlN2at6native12_GLOBAL__N_18offset_tEEE10hipError_tPvRmT1_PNSt15iterator_traitsISL_E10value_typeET2_T3_PNSM_ISR_E10value_typeET4_jRbjT5_SX_jjP12ihipStream_tbEUlT_E_NS1_11comp_targetILNS1_3genE10ELNS1_11target_archE1201ELNS1_3gpuE5ELNS1_3repE0EEENS1_30default_config_static_selectorELNS0_4arch9wavefront6targetE0EEEvSL_.has_dyn_sized_stack, 0
	.set _ZN7rocprim17ROCPRIM_400000_NS6detail17trampoline_kernelINS0_14default_configENS1_36segmented_radix_sort_config_selectorI6__halflEEZNS1_25segmented_radix_sort_implIS3_Lb0EPKS5_PS5_PKlPlN2at6native12_GLOBAL__N_18offset_tEEE10hipError_tPvRmT1_PNSt15iterator_traitsISL_E10value_typeET2_T3_PNSM_ISR_E10value_typeET4_jRbjT5_SX_jjP12ihipStream_tbEUlT_E_NS1_11comp_targetILNS1_3genE10ELNS1_11target_archE1201ELNS1_3gpuE5ELNS1_3repE0EEENS1_30default_config_static_selectorELNS0_4arch9wavefront6targetE0EEEvSL_.has_recursion, 0
	.set _ZN7rocprim17ROCPRIM_400000_NS6detail17trampoline_kernelINS0_14default_configENS1_36segmented_radix_sort_config_selectorI6__halflEEZNS1_25segmented_radix_sort_implIS3_Lb0EPKS5_PS5_PKlPlN2at6native12_GLOBAL__N_18offset_tEEE10hipError_tPvRmT1_PNSt15iterator_traitsISL_E10value_typeET2_T3_PNSM_ISR_E10value_typeET4_jRbjT5_SX_jjP12ihipStream_tbEUlT_E_NS1_11comp_targetILNS1_3genE10ELNS1_11target_archE1201ELNS1_3gpuE5ELNS1_3repE0EEENS1_30default_config_static_selectorELNS0_4arch9wavefront6targetE0EEEvSL_.has_indirect_call, 0
	.section	.AMDGPU.csdata,"",@progbits
; Kernel info:
; codeLenInByte = 0
; TotalNumSgprs: 0
; NumVgprs: 0
; ScratchSize: 0
; MemoryBound: 0
; FloatMode: 240
; IeeeMode: 1
; LDSByteSize: 0 bytes/workgroup (compile time only)
; SGPRBlocks: 0
; VGPRBlocks: 0
; NumSGPRsForWavesPerEU: 1
; NumVGPRsForWavesPerEU: 1
; NamedBarCnt: 0
; Occupancy: 16
; WaveLimiterHint : 0
; COMPUTE_PGM_RSRC2:SCRATCH_EN: 0
; COMPUTE_PGM_RSRC2:USER_SGPR: 2
; COMPUTE_PGM_RSRC2:TRAP_HANDLER: 0
; COMPUTE_PGM_RSRC2:TGID_X_EN: 1
; COMPUTE_PGM_RSRC2:TGID_Y_EN: 0
; COMPUTE_PGM_RSRC2:TGID_Z_EN: 0
; COMPUTE_PGM_RSRC2:TIDIG_COMP_CNT: 0
	.section	.text._ZN7rocprim17ROCPRIM_400000_NS6detail17trampoline_kernelINS0_14default_configENS1_36segmented_radix_sort_config_selectorI6__halflEEZNS1_25segmented_radix_sort_implIS3_Lb0EPKS5_PS5_PKlPlN2at6native12_GLOBAL__N_18offset_tEEE10hipError_tPvRmT1_PNSt15iterator_traitsISL_E10value_typeET2_T3_PNSM_ISR_E10value_typeET4_jRbjT5_SX_jjP12ihipStream_tbEUlT_E_NS1_11comp_targetILNS1_3genE10ELNS1_11target_archE1200ELNS1_3gpuE4ELNS1_3repE0EEENS1_30default_config_static_selectorELNS0_4arch9wavefront6targetE0EEEvSL_,"axG",@progbits,_ZN7rocprim17ROCPRIM_400000_NS6detail17trampoline_kernelINS0_14default_configENS1_36segmented_radix_sort_config_selectorI6__halflEEZNS1_25segmented_radix_sort_implIS3_Lb0EPKS5_PS5_PKlPlN2at6native12_GLOBAL__N_18offset_tEEE10hipError_tPvRmT1_PNSt15iterator_traitsISL_E10value_typeET2_T3_PNSM_ISR_E10value_typeET4_jRbjT5_SX_jjP12ihipStream_tbEUlT_E_NS1_11comp_targetILNS1_3genE10ELNS1_11target_archE1200ELNS1_3gpuE4ELNS1_3repE0EEENS1_30default_config_static_selectorELNS0_4arch9wavefront6targetE0EEEvSL_,comdat
	.globl	_ZN7rocprim17ROCPRIM_400000_NS6detail17trampoline_kernelINS0_14default_configENS1_36segmented_radix_sort_config_selectorI6__halflEEZNS1_25segmented_radix_sort_implIS3_Lb0EPKS5_PS5_PKlPlN2at6native12_GLOBAL__N_18offset_tEEE10hipError_tPvRmT1_PNSt15iterator_traitsISL_E10value_typeET2_T3_PNSM_ISR_E10value_typeET4_jRbjT5_SX_jjP12ihipStream_tbEUlT_E_NS1_11comp_targetILNS1_3genE10ELNS1_11target_archE1200ELNS1_3gpuE4ELNS1_3repE0EEENS1_30default_config_static_selectorELNS0_4arch9wavefront6targetE0EEEvSL_ ; -- Begin function _ZN7rocprim17ROCPRIM_400000_NS6detail17trampoline_kernelINS0_14default_configENS1_36segmented_radix_sort_config_selectorI6__halflEEZNS1_25segmented_radix_sort_implIS3_Lb0EPKS5_PS5_PKlPlN2at6native12_GLOBAL__N_18offset_tEEE10hipError_tPvRmT1_PNSt15iterator_traitsISL_E10value_typeET2_T3_PNSM_ISR_E10value_typeET4_jRbjT5_SX_jjP12ihipStream_tbEUlT_E_NS1_11comp_targetILNS1_3genE10ELNS1_11target_archE1200ELNS1_3gpuE4ELNS1_3repE0EEENS1_30default_config_static_selectorELNS0_4arch9wavefront6targetE0EEEvSL_
	.p2align	8
	.type	_ZN7rocprim17ROCPRIM_400000_NS6detail17trampoline_kernelINS0_14default_configENS1_36segmented_radix_sort_config_selectorI6__halflEEZNS1_25segmented_radix_sort_implIS3_Lb0EPKS5_PS5_PKlPlN2at6native12_GLOBAL__N_18offset_tEEE10hipError_tPvRmT1_PNSt15iterator_traitsISL_E10value_typeET2_T3_PNSM_ISR_E10value_typeET4_jRbjT5_SX_jjP12ihipStream_tbEUlT_E_NS1_11comp_targetILNS1_3genE10ELNS1_11target_archE1200ELNS1_3gpuE4ELNS1_3repE0EEENS1_30default_config_static_selectorELNS0_4arch9wavefront6targetE0EEEvSL_,@function
_ZN7rocprim17ROCPRIM_400000_NS6detail17trampoline_kernelINS0_14default_configENS1_36segmented_radix_sort_config_selectorI6__halflEEZNS1_25segmented_radix_sort_implIS3_Lb0EPKS5_PS5_PKlPlN2at6native12_GLOBAL__N_18offset_tEEE10hipError_tPvRmT1_PNSt15iterator_traitsISL_E10value_typeET2_T3_PNSM_ISR_E10value_typeET4_jRbjT5_SX_jjP12ihipStream_tbEUlT_E_NS1_11comp_targetILNS1_3genE10ELNS1_11target_archE1200ELNS1_3gpuE4ELNS1_3repE0EEENS1_30default_config_static_selectorELNS0_4arch9wavefront6targetE0EEEvSL_: ; @_ZN7rocprim17ROCPRIM_400000_NS6detail17trampoline_kernelINS0_14default_configENS1_36segmented_radix_sort_config_selectorI6__halflEEZNS1_25segmented_radix_sort_implIS3_Lb0EPKS5_PS5_PKlPlN2at6native12_GLOBAL__N_18offset_tEEE10hipError_tPvRmT1_PNSt15iterator_traitsISL_E10value_typeET2_T3_PNSM_ISR_E10value_typeET4_jRbjT5_SX_jjP12ihipStream_tbEUlT_E_NS1_11comp_targetILNS1_3genE10ELNS1_11target_archE1200ELNS1_3gpuE4ELNS1_3repE0EEENS1_30default_config_static_selectorELNS0_4arch9wavefront6targetE0EEEvSL_
; %bb.0:
	.section	.rodata,"a",@progbits
	.p2align	6, 0x0
	.amdhsa_kernel _ZN7rocprim17ROCPRIM_400000_NS6detail17trampoline_kernelINS0_14default_configENS1_36segmented_radix_sort_config_selectorI6__halflEEZNS1_25segmented_radix_sort_implIS3_Lb0EPKS5_PS5_PKlPlN2at6native12_GLOBAL__N_18offset_tEEE10hipError_tPvRmT1_PNSt15iterator_traitsISL_E10value_typeET2_T3_PNSM_ISR_E10value_typeET4_jRbjT5_SX_jjP12ihipStream_tbEUlT_E_NS1_11comp_targetILNS1_3genE10ELNS1_11target_archE1200ELNS1_3gpuE4ELNS1_3repE0EEENS1_30default_config_static_selectorELNS0_4arch9wavefront6targetE0EEEvSL_
		.amdhsa_group_segment_fixed_size 0
		.amdhsa_private_segment_fixed_size 0
		.amdhsa_kernarg_size 96
		.amdhsa_user_sgpr_count 2
		.amdhsa_user_sgpr_dispatch_ptr 0
		.amdhsa_user_sgpr_queue_ptr 0
		.amdhsa_user_sgpr_kernarg_segment_ptr 1
		.amdhsa_user_sgpr_dispatch_id 0
		.amdhsa_user_sgpr_kernarg_preload_length 0
		.amdhsa_user_sgpr_kernarg_preload_offset 0
		.amdhsa_user_sgpr_private_segment_size 0
		.amdhsa_wavefront_size32 1
		.amdhsa_uses_dynamic_stack 0
		.amdhsa_enable_private_segment 0
		.amdhsa_system_sgpr_workgroup_id_x 1
		.amdhsa_system_sgpr_workgroup_id_y 0
		.amdhsa_system_sgpr_workgroup_id_z 0
		.amdhsa_system_sgpr_workgroup_info 0
		.amdhsa_system_vgpr_workitem_id 0
		.amdhsa_next_free_vgpr 1
		.amdhsa_next_free_sgpr 1
		.amdhsa_named_barrier_count 0
		.amdhsa_reserve_vcc 0
		.amdhsa_float_round_mode_32 0
		.amdhsa_float_round_mode_16_64 0
		.amdhsa_float_denorm_mode_32 3
		.amdhsa_float_denorm_mode_16_64 3
		.amdhsa_fp16_overflow 0
		.amdhsa_memory_ordered 1
		.amdhsa_forward_progress 1
		.amdhsa_inst_pref_size 0
		.amdhsa_round_robin_scheduling 0
		.amdhsa_exception_fp_ieee_invalid_op 0
		.amdhsa_exception_fp_denorm_src 0
		.amdhsa_exception_fp_ieee_div_zero 0
		.amdhsa_exception_fp_ieee_overflow 0
		.amdhsa_exception_fp_ieee_underflow 0
		.amdhsa_exception_fp_ieee_inexact 0
		.amdhsa_exception_int_div_zero 0
	.end_amdhsa_kernel
	.section	.text._ZN7rocprim17ROCPRIM_400000_NS6detail17trampoline_kernelINS0_14default_configENS1_36segmented_radix_sort_config_selectorI6__halflEEZNS1_25segmented_radix_sort_implIS3_Lb0EPKS5_PS5_PKlPlN2at6native12_GLOBAL__N_18offset_tEEE10hipError_tPvRmT1_PNSt15iterator_traitsISL_E10value_typeET2_T3_PNSM_ISR_E10value_typeET4_jRbjT5_SX_jjP12ihipStream_tbEUlT_E_NS1_11comp_targetILNS1_3genE10ELNS1_11target_archE1200ELNS1_3gpuE4ELNS1_3repE0EEENS1_30default_config_static_selectorELNS0_4arch9wavefront6targetE0EEEvSL_,"axG",@progbits,_ZN7rocprim17ROCPRIM_400000_NS6detail17trampoline_kernelINS0_14default_configENS1_36segmented_radix_sort_config_selectorI6__halflEEZNS1_25segmented_radix_sort_implIS3_Lb0EPKS5_PS5_PKlPlN2at6native12_GLOBAL__N_18offset_tEEE10hipError_tPvRmT1_PNSt15iterator_traitsISL_E10value_typeET2_T3_PNSM_ISR_E10value_typeET4_jRbjT5_SX_jjP12ihipStream_tbEUlT_E_NS1_11comp_targetILNS1_3genE10ELNS1_11target_archE1200ELNS1_3gpuE4ELNS1_3repE0EEENS1_30default_config_static_selectorELNS0_4arch9wavefront6targetE0EEEvSL_,comdat
.Lfunc_end1839:
	.size	_ZN7rocprim17ROCPRIM_400000_NS6detail17trampoline_kernelINS0_14default_configENS1_36segmented_radix_sort_config_selectorI6__halflEEZNS1_25segmented_radix_sort_implIS3_Lb0EPKS5_PS5_PKlPlN2at6native12_GLOBAL__N_18offset_tEEE10hipError_tPvRmT1_PNSt15iterator_traitsISL_E10value_typeET2_T3_PNSM_ISR_E10value_typeET4_jRbjT5_SX_jjP12ihipStream_tbEUlT_E_NS1_11comp_targetILNS1_3genE10ELNS1_11target_archE1200ELNS1_3gpuE4ELNS1_3repE0EEENS1_30default_config_static_selectorELNS0_4arch9wavefront6targetE0EEEvSL_, .Lfunc_end1839-_ZN7rocprim17ROCPRIM_400000_NS6detail17trampoline_kernelINS0_14default_configENS1_36segmented_radix_sort_config_selectorI6__halflEEZNS1_25segmented_radix_sort_implIS3_Lb0EPKS5_PS5_PKlPlN2at6native12_GLOBAL__N_18offset_tEEE10hipError_tPvRmT1_PNSt15iterator_traitsISL_E10value_typeET2_T3_PNSM_ISR_E10value_typeET4_jRbjT5_SX_jjP12ihipStream_tbEUlT_E_NS1_11comp_targetILNS1_3genE10ELNS1_11target_archE1200ELNS1_3gpuE4ELNS1_3repE0EEENS1_30default_config_static_selectorELNS0_4arch9wavefront6targetE0EEEvSL_
                                        ; -- End function
	.set _ZN7rocprim17ROCPRIM_400000_NS6detail17trampoline_kernelINS0_14default_configENS1_36segmented_radix_sort_config_selectorI6__halflEEZNS1_25segmented_radix_sort_implIS3_Lb0EPKS5_PS5_PKlPlN2at6native12_GLOBAL__N_18offset_tEEE10hipError_tPvRmT1_PNSt15iterator_traitsISL_E10value_typeET2_T3_PNSM_ISR_E10value_typeET4_jRbjT5_SX_jjP12ihipStream_tbEUlT_E_NS1_11comp_targetILNS1_3genE10ELNS1_11target_archE1200ELNS1_3gpuE4ELNS1_3repE0EEENS1_30default_config_static_selectorELNS0_4arch9wavefront6targetE0EEEvSL_.num_vgpr, 0
	.set _ZN7rocprim17ROCPRIM_400000_NS6detail17trampoline_kernelINS0_14default_configENS1_36segmented_radix_sort_config_selectorI6__halflEEZNS1_25segmented_radix_sort_implIS3_Lb0EPKS5_PS5_PKlPlN2at6native12_GLOBAL__N_18offset_tEEE10hipError_tPvRmT1_PNSt15iterator_traitsISL_E10value_typeET2_T3_PNSM_ISR_E10value_typeET4_jRbjT5_SX_jjP12ihipStream_tbEUlT_E_NS1_11comp_targetILNS1_3genE10ELNS1_11target_archE1200ELNS1_3gpuE4ELNS1_3repE0EEENS1_30default_config_static_selectorELNS0_4arch9wavefront6targetE0EEEvSL_.num_agpr, 0
	.set _ZN7rocprim17ROCPRIM_400000_NS6detail17trampoline_kernelINS0_14default_configENS1_36segmented_radix_sort_config_selectorI6__halflEEZNS1_25segmented_radix_sort_implIS3_Lb0EPKS5_PS5_PKlPlN2at6native12_GLOBAL__N_18offset_tEEE10hipError_tPvRmT1_PNSt15iterator_traitsISL_E10value_typeET2_T3_PNSM_ISR_E10value_typeET4_jRbjT5_SX_jjP12ihipStream_tbEUlT_E_NS1_11comp_targetILNS1_3genE10ELNS1_11target_archE1200ELNS1_3gpuE4ELNS1_3repE0EEENS1_30default_config_static_selectorELNS0_4arch9wavefront6targetE0EEEvSL_.numbered_sgpr, 0
	.set _ZN7rocprim17ROCPRIM_400000_NS6detail17trampoline_kernelINS0_14default_configENS1_36segmented_radix_sort_config_selectorI6__halflEEZNS1_25segmented_radix_sort_implIS3_Lb0EPKS5_PS5_PKlPlN2at6native12_GLOBAL__N_18offset_tEEE10hipError_tPvRmT1_PNSt15iterator_traitsISL_E10value_typeET2_T3_PNSM_ISR_E10value_typeET4_jRbjT5_SX_jjP12ihipStream_tbEUlT_E_NS1_11comp_targetILNS1_3genE10ELNS1_11target_archE1200ELNS1_3gpuE4ELNS1_3repE0EEENS1_30default_config_static_selectorELNS0_4arch9wavefront6targetE0EEEvSL_.num_named_barrier, 0
	.set _ZN7rocprim17ROCPRIM_400000_NS6detail17trampoline_kernelINS0_14default_configENS1_36segmented_radix_sort_config_selectorI6__halflEEZNS1_25segmented_radix_sort_implIS3_Lb0EPKS5_PS5_PKlPlN2at6native12_GLOBAL__N_18offset_tEEE10hipError_tPvRmT1_PNSt15iterator_traitsISL_E10value_typeET2_T3_PNSM_ISR_E10value_typeET4_jRbjT5_SX_jjP12ihipStream_tbEUlT_E_NS1_11comp_targetILNS1_3genE10ELNS1_11target_archE1200ELNS1_3gpuE4ELNS1_3repE0EEENS1_30default_config_static_selectorELNS0_4arch9wavefront6targetE0EEEvSL_.private_seg_size, 0
	.set _ZN7rocprim17ROCPRIM_400000_NS6detail17trampoline_kernelINS0_14default_configENS1_36segmented_radix_sort_config_selectorI6__halflEEZNS1_25segmented_radix_sort_implIS3_Lb0EPKS5_PS5_PKlPlN2at6native12_GLOBAL__N_18offset_tEEE10hipError_tPvRmT1_PNSt15iterator_traitsISL_E10value_typeET2_T3_PNSM_ISR_E10value_typeET4_jRbjT5_SX_jjP12ihipStream_tbEUlT_E_NS1_11comp_targetILNS1_3genE10ELNS1_11target_archE1200ELNS1_3gpuE4ELNS1_3repE0EEENS1_30default_config_static_selectorELNS0_4arch9wavefront6targetE0EEEvSL_.uses_vcc, 0
	.set _ZN7rocprim17ROCPRIM_400000_NS6detail17trampoline_kernelINS0_14default_configENS1_36segmented_radix_sort_config_selectorI6__halflEEZNS1_25segmented_radix_sort_implIS3_Lb0EPKS5_PS5_PKlPlN2at6native12_GLOBAL__N_18offset_tEEE10hipError_tPvRmT1_PNSt15iterator_traitsISL_E10value_typeET2_T3_PNSM_ISR_E10value_typeET4_jRbjT5_SX_jjP12ihipStream_tbEUlT_E_NS1_11comp_targetILNS1_3genE10ELNS1_11target_archE1200ELNS1_3gpuE4ELNS1_3repE0EEENS1_30default_config_static_selectorELNS0_4arch9wavefront6targetE0EEEvSL_.uses_flat_scratch, 0
	.set _ZN7rocprim17ROCPRIM_400000_NS6detail17trampoline_kernelINS0_14default_configENS1_36segmented_radix_sort_config_selectorI6__halflEEZNS1_25segmented_radix_sort_implIS3_Lb0EPKS5_PS5_PKlPlN2at6native12_GLOBAL__N_18offset_tEEE10hipError_tPvRmT1_PNSt15iterator_traitsISL_E10value_typeET2_T3_PNSM_ISR_E10value_typeET4_jRbjT5_SX_jjP12ihipStream_tbEUlT_E_NS1_11comp_targetILNS1_3genE10ELNS1_11target_archE1200ELNS1_3gpuE4ELNS1_3repE0EEENS1_30default_config_static_selectorELNS0_4arch9wavefront6targetE0EEEvSL_.has_dyn_sized_stack, 0
	.set _ZN7rocprim17ROCPRIM_400000_NS6detail17trampoline_kernelINS0_14default_configENS1_36segmented_radix_sort_config_selectorI6__halflEEZNS1_25segmented_radix_sort_implIS3_Lb0EPKS5_PS5_PKlPlN2at6native12_GLOBAL__N_18offset_tEEE10hipError_tPvRmT1_PNSt15iterator_traitsISL_E10value_typeET2_T3_PNSM_ISR_E10value_typeET4_jRbjT5_SX_jjP12ihipStream_tbEUlT_E_NS1_11comp_targetILNS1_3genE10ELNS1_11target_archE1200ELNS1_3gpuE4ELNS1_3repE0EEENS1_30default_config_static_selectorELNS0_4arch9wavefront6targetE0EEEvSL_.has_recursion, 0
	.set _ZN7rocprim17ROCPRIM_400000_NS6detail17trampoline_kernelINS0_14default_configENS1_36segmented_radix_sort_config_selectorI6__halflEEZNS1_25segmented_radix_sort_implIS3_Lb0EPKS5_PS5_PKlPlN2at6native12_GLOBAL__N_18offset_tEEE10hipError_tPvRmT1_PNSt15iterator_traitsISL_E10value_typeET2_T3_PNSM_ISR_E10value_typeET4_jRbjT5_SX_jjP12ihipStream_tbEUlT_E_NS1_11comp_targetILNS1_3genE10ELNS1_11target_archE1200ELNS1_3gpuE4ELNS1_3repE0EEENS1_30default_config_static_selectorELNS0_4arch9wavefront6targetE0EEEvSL_.has_indirect_call, 0
	.section	.AMDGPU.csdata,"",@progbits
; Kernel info:
; codeLenInByte = 0
; TotalNumSgprs: 0
; NumVgprs: 0
; ScratchSize: 0
; MemoryBound: 0
; FloatMode: 240
; IeeeMode: 1
; LDSByteSize: 0 bytes/workgroup (compile time only)
; SGPRBlocks: 0
; VGPRBlocks: 0
; NumSGPRsForWavesPerEU: 1
; NumVGPRsForWavesPerEU: 1
; NamedBarCnt: 0
; Occupancy: 16
; WaveLimiterHint : 0
; COMPUTE_PGM_RSRC2:SCRATCH_EN: 0
; COMPUTE_PGM_RSRC2:USER_SGPR: 2
; COMPUTE_PGM_RSRC2:TRAP_HANDLER: 0
; COMPUTE_PGM_RSRC2:TGID_X_EN: 1
; COMPUTE_PGM_RSRC2:TGID_Y_EN: 0
; COMPUTE_PGM_RSRC2:TGID_Z_EN: 0
; COMPUTE_PGM_RSRC2:TIDIG_COMP_CNT: 0
	.section	.text._ZN7rocprim17ROCPRIM_400000_NS6detail17trampoline_kernelINS0_14default_configENS1_36segmented_radix_sort_config_selectorI6__halflEEZNS1_25segmented_radix_sort_implIS3_Lb0EPKS5_PS5_PKlPlN2at6native12_GLOBAL__N_18offset_tEEE10hipError_tPvRmT1_PNSt15iterator_traitsISL_E10value_typeET2_T3_PNSM_ISR_E10value_typeET4_jRbjT5_SX_jjP12ihipStream_tbEUlT_E_NS1_11comp_targetILNS1_3genE9ELNS1_11target_archE1100ELNS1_3gpuE3ELNS1_3repE0EEENS1_30default_config_static_selectorELNS0_4arch9wavefront6targetE0EEEvSL_,"axG",@progbits,_ZN7rocprim17ROCPRIM_400000_NS6detail17trampoline_kernelINS0_14default_configENS1_36segmented_radix_sort_config_selectorI6__halflEEZNS1_25segmented_radix_sort_implIS3_Lb0EPKS5_PS5_PKlPlN2at6native12_GLOBAL__N_18offset_tEEE10hipError_tPvRmT1_PNSt15iterator_traitsISL_E10value_typeET2_T3_PNSM_ISR_E10value_typeET4_jRbjT5_SX_jjP12ihipStream_tbEUlT_E_NS1_11comp_targetILNS1_3genE9ELNS1_11target_archE1100ELNS1_3gpuE3ELNS1_3repE0EEENS1_30default_config_static_selectorELNS0_4arch9wavefront6targetE0EEEvSL_,comdat
	.globl	_ZN7rocprim17ROCPRIM_400000_NS6detail17trampoline_kernelINS0_14default_configENS1_36segmented_radix_sort_config_selectorI6__halflEEZNS1_25segmented_radix_sort_implIS3_Lb0EPKS5_PS5_PKlPlN2at6native12_GLOBAL__N_18offset_tEEE10hipError_tPvRmT1_PNSt15iterator_traitsISL_E10value_typeET2_T3_PNSM_ISR_E10value_typeET4_jRbjT5_SX_jjP12ihipStream_tbEUlT_E_NS1_11comp_targetILNS1_3genE9ELNS1_11target_archE1100ELNS1_3gpuE3ELNS1_3repE0EEENS1_30default_config_static_selectorELNS0_4arch9wavefront6targetE0EEEvSL_ ; -- Begin function _ZN7rocprim17ROCPRIM_400000_NS6detail17trampoline_kernelINS0_14default_configENS1_36segmented_radix_sort_config_selectorI6__halflEEZNS1_25segmented_radix_sort_implIS3_Lb0EPKS5_PS5_PKlPlN2at6native12_GLOBAL__N_18offset_tEEE10hipError_tPvRmT1_PNSt15iterator_traitsISL_E10value_typeET2_T3_PNSM_ISR_E10value_typeET4_jRbjT5_SX_jjP12ihipStream_tbEUlT_E_NS1_11comp_targetILNS1_3genE9ELNS1_11target_archE1100ELNS1_3gpuE3ELNS1_3repE0EEENS1_30default_config_static_selectorELNS0_4arch9wavefront6targetE0EEEvSL_
	.p2align	8
	.type	_ZN7rocprim17ROCPRIM_400000_NS6detail17trampoline_kernelINS0_14default_configENS1_36segmented_radix_sort_config_selectorI6__halflEEZNS1_25segmented_radix_sort_implIS3_Lb0EPKS5_PS5_PKlPlN2at6native12_GLOBAL__N_18offset_tEEE10hipError_tPvRmT1_PNSt15iterator_traitsISL_E10value_typeET2_T3_PNSM_ISR_E10value_typeET4_jRbjT5_SX_jjP12ihipStream_tbEUlT_E_NS1_11comp_targetILNS1_3genE9ELNS1_11target_archE1100ELNS1_3gpuE3ELNS1_3repE0EEENS1_30default_config_static_selectorELNS0_4arch9wavefront6targetE0EEEvSL_,@function
_ZN7rocprim17ROCPRIM_400000_NS6detail17trampoline_kernelINS0_14default_configENS1_36segmented_radix_sort_config_selectorI6__halflEEZNS1_25segmented_radix_sort_implIS3_Lb0EPKS5_PS5_PKlPlN2at6native12_GLOBAL__N_18offset_tEEE10hipError_tPvRmT1_PNSt15iterator_traitsISL_E10value_typeET2_T3_PNSM_ISR_E10value_typeET4_jRbjT5_SX_jjP12ihipStream_tbEUlT_E_NS1_11comp_targetILNS1_3genE9ELNS1_11target_archE1100ELNS1_3gpuE3ELNS1_3repE0EEENS1_30default_config_static_selectorELNS0_4arch9wavefront6targetE0EEEvSL_: ; @_ZN7rocprim17ROCPRIM_400000_NS6detail17trampoline_kernelINS0_14default_configENS1_36segmented_radix_sort_config_selectorI6__halflEEZNS1_25segmented_radix_sort_implIS3_Lb0EPKS5_PS5_PKlPlN2at6native12_GLOBAL__N_18offset_tEEE10hipError_tPvRmT1_PNSt15iterator_traitsISL_E10value_typeET2_T3_PNSM_ISR_E10value_typeET4_jRbjT5_SX_jjP12ihipStream_tbEUlT_E_NS1_11comp_targetILNS1_3genE9ELNS1_11target_archE1100ELNS1_3gpuE3ELNS1_3repE0EEENS1_30default_config_static_selectorELNS0_4arch9wavefront6targetE0EEEvSL_
; %bb.0:
	.section	.rodata,"a",@progbits
	.p2align	6, 0x0
	.amdhsa_kernel _ZN7rocprim17ROCPRIM_400000_NS6detail17trampoline_kernelINS0_14default_configENS1_36segmented_radix_sort_config_selectorI6__halflEEZNS1_25segmented_radix_sort_implIS3_Lb0EPKS5_PS5_PKlPlN2at6native12_GLOBAL__N_18offset_tEEE10hipError_tPvRmT1_PNSt15iterator_traitsISL_E10value_typeET2_T3_PNSM_ISR_E10value_typeET4_jRbjT5_SX_jjP12ihipStream_tbEUlT_E_NS1_11comp_targetILNS1_3genE9ELNS1_11target_archE1100ELNS1_3gpuE3ELNS1_3repE0EEENS1_30default_config_static_selectorELNS0_4arch9wavefront6targetE0EEEvSL_
		.amdhsa_group_segment_fixed_size 0
		.amdhsa_private_segment_fixed_size 0
		.amdhsa_kernarg_size 96
		.amdhsa_user_sgpr_count 2
		.amdhsa_user_sgpr_dispatch_ptr 0
		.amdhsa_user_sgpr_queue_ptr 0
		.amdhsa_user_sgpr_kernarg_segment_ptr 1
		.amdhsa_user_sgpr_dispatch_id 0
		.amdhsa_user_sgpr_kernarg_preload_length 0
		.amdhsa_user_sgpr_kernarg_preload_offset 0
		.amdhsa_user_sgpr_private_segment_size 0
		.amdhsa_wavefront_size32 1
		.amdhsa_uses_dynamic_stack 0
		.amdhsa_enable_private_segment 0
		.amdhsa_system_sgpr_workgroup_id_x 1
		.amdhsa_system_sgpr_workgroup_id_y 0
		.amdhsa_system_sgpr_workgroup_id_z 0
		.amdhsa_system_sgpr_workgroup_info 0
		.amdhsa_system_vgpr_workitem_id 0
		.amdhsa_next_free_vgpr 1
		.amdhsa_next_free_sgpr 1
		.amdhsa_named_barrier_count 0
		.amdhsa_reserve_vcc 0
		.amdhsa_float_round_mode_32 0
		.amdhsa_float_round_mode_16_64 0
		.amdhsa_float_denorm_mode_32 3
		.amdhsa_float_denorm_mode_16_64 3
		.amdhsa_fp16_overflow 0
		.amdhsa_memory_ordered 1
		.amdhsa_forward_progress 1
		.amdhsa_inst_pref_size 0
		.amdhsa_round_robin_scheduling 0
		.amdhsa_exception_fp_ieee_invalid_op 0
		.amdhsa_exception_fp_denorm_src 0
		.amdhsa_exception_fp_ieee_div_zero 0
		.amdhsa_exception_fp_ieee_overflow 0
		.amdhsa_exception_fp_ieee_underflow 0
		.amdhsa_exception_fp_ieee_inexact 0
		.amdhsa_exception_int_div_zero 0
	.end_amdhsa_kernel
	.section	.text._ZN7rocprim17ROCPRIM_400000_NS6detail17trampoline_kernelINS0_14default_configENS1_36segmented_radix_sort_config_selectorI6__halflEEZNS1_25segmented_radix_sort_implIS3_Lb0EPKS5_PS5_PKlPlN2at6native12_GLOBAL__N_18offset_tEEE10hipError_tPvRmT1_PNSt15iterator_traitsISL_E10value_typeET2_T3_PNSM_ISR_E10value_typeET4_jRbjT5_SX_jjP12ihipStream_tbEUlT_E_NS1_11comp_targetILNS1_3genE9ELNS1_11target_archE1100ELNS1_3gpuE3ELNS1_3repE0EEENS1_30default_config_static_selectorELNS0_4arch9wavefront6targetE0EEEvSL_,"axG",@progbits,_ZN7rocprim17ROCPRIM_400000_NS6detail17trampoline_kernelINS0_14default_configENS1_36segmented_radix_sort_config_selectorI6__halflEEZNS1_25segmented_radix_sort_implIS3_Lb0EPKS5_PS5_PKlPlN2at6native12_GLOBAL__N_18offset_tEEE10hipError_tPvRmT1_PNSt15iterator_traitsISL_E10value_typeET2_T3_PNSM_ISR_E10value_typeET4_jRbjT5_SX_jjP12ihipStream_tbEUlT_E_NS1_11comp_targetILNS1_3genE9ELNS1_11target_archE1100ELNS1_3gpuE3ELNS1_3repE0EEENS1_30default_config_static_selectorELNS0_4arch9wavefront6targetE0EEEvSL_,comdat
.Lfunc_end1840:
	.size	_ZN7rocprim17ROCPRIM_400000_NS6detail17trampoline_kernelINS0_14default_configENS1_36segmented_radix_sort_config_selectorI6__halflEEZNS1_25segmented_radix_sort_implIS3_Lb0EPKS5_PS5_PKlPlN2at6native12_GLOBAL__N_18offset_tEEE10hipError_tPvRmT1_PNSt15iterator_traitsISL_E10value_typeET2_T3_PNSM_ISR_E10value_typeET4_jRbjT5_SX_jjP12ihipStream_tbEUlT_E_NS1_11comp_targetILNS1_3genE9ELNS1_11target_archE1100ELNS1_3gpuE3ELNS1_3repE0EEENS1_30default_config_static_selectorELNS0_4arch9wavefront6targetE0EEEvSL_, .Lfunc_end1840-_ZN7rocprim17ROCPRIM_400000_NS6detail17trampoline_kernelINS0_14default_configENS1_36segmented_radix_sort_config_selectorI6__halflEEZNS1_25segmented_radix_sort_implIS3_Lb0EPKS5_PS5_PKlPlN2at6native12_GLOBAL__N_18offset_tEEE10hipError_tPvRmT1_PNSt15iterator_traitsISL_E10value_typeET2_T3_PNSM_ISR_E10value_typeET4_jRbjT5_SX_jjP12ihipStream_tbEUlT_E_NS1_11comp_targetILNS1_3genE9ELNS1_11target_archE1100ELNS1_3gpuE3ELNS1_3repE0EEENS1_30default_config_static_selectorELNS0_4arch9wavefront6targetE0EEEvSL_
                                        ; -- End function
	.set _ZN7rocprim17ROCPRIM_400000_NS6detail17trampoline_kernelINS0_14default_configENS1_36segmented_radix_sort_config_selectorI6__halflEEZNS1_25segmented_radix_sort_implIS3_Lb0EPKS5_PS5_PKlPlN2at6native12_GLOBAL__N_18offset_tEEE10hipError_tPvRmT1_PNSt15iterator_traitsISL_E10value_typeET2_T3_PNSM_ISR_E10value_typeET4_jRbjT5_SX_jjP12ihipStream_tbEUlT_E_NS1_11comp_targetILNS1_3genE9ELNS1_11target_archE1100ELNS1_3gpuE3ELNS1_3repE0EEENS1_30default_config_static_selectorELNS0_4arch9wavefront6targetE0EEEvSL_.num_vgpr, 0
	.set _ZN7rocprim17ROCPRIM_400000_NS6detail17trampoline_kernelINS0_14default_configENS1_36segmented_radix_sort_config_selectorI6__halflEEZNS1_25segmented_radix_sort_implIS3_Lb0EPKS5_PS5_PKlPlN2at6native12_GLOBAL__N_18offset_tEEE10hipError_tPvRmT1_PNSt15iterator_traitsISL_E10value_typeET2_T3_PNSM_ISR_E10value_typeET4_jRbjT5_SX_jjP12ihipStream_tbEUlT_E_NS1_11comp_targetILNS1_3genE9ELNS1_11target_archE1100ELNS1_3gpuE3ELNS1_3repE0EEENS1_30default_config_static_selectorELNS0_4arch9wavefront6targetE0EEEvSL_.num_agpr, 0
	.set _ZN7rocprim17ROCPRIM_400000_NS6detail17trampoline_kernelINS0_14default_configENS1_36segmented_radix_sort_config_selectorI6__halflEEZNS1_25segmented_radix_sort_implIS3_Lb0EPKS5_PS5_PKlPlN2at6native12_GLOBAL__N_18offset_tEEE10hipError_tPvRmT1_PNSt15iterator_traitsISL_E10value_typeET2_T3_PNSM_ISR_E10value_typeET4_jRbjT5_SX_jjP12ihipStream_tbEUlT_E_NS1_11comp_targetILNS1_3genE9ELNS1_11target_archE1100ELNS1_3gpuE3ELNS1_3repE0EEENS1_30default_config_static_selectorELNS0_4arch9wavefront6targetE0EEEvSL_.numbered_sgpr, 0
	.set _ZN7rocprim17ROCPRIM_400000_NS6detail17trampoline_kernelINS0_14default_configENS1_36segmented_radix_sort_config_selectorI6__halflEEZNS1_25segmented_radix_sort_implIS3_Lb0EPKS5_PS5_PKlPlN2at6native12_GLOBAL__N_18offset_tEEE10hipError_tPvRmT1_PNSt15iterator_traitsISL_E10value_typeET2_T3_PNSM_ISR_E10value_typeET4_jRbjT5_SX_jjP12ihipStream_tbEUlT_E_NS1_11comp_targetILNS1_3genE9ELNS1_11target_archE1100ELNS1_3gpuE3ELNS1_3repE0EEENS1_30default_config_static_selectorELNS0_4arch9wavefront6targetE0EEEvSL_.num_named_barrier, 0
	.set _ZN7rocprim17ROCPRIM_400000_NS6detail17trampoline_kernelINS0_14default_configENS1_36segmented_radix_sort_config_selectorI6__halflEEZNS1_25segmented_radix_sort_implIS3_Lb0EPKS5_PS5_PKlPlN2at6native12_GLOBAL__N_18offset_tEEE10hipError_tPvRmT1_PNSt15iterator_traitsISL_E10value_typeET2_T3_PNSM_ISR_E10value_typeET4_jRbjT5_SX_jjP12ihipStream_tbEUlT_E_NS1_11comp_targetILNS1_3genE9ELNS1_11target_archE1100ELNS1_3gpuE3ELNS1_3repE0EEENS1_30default_config_static_selectorELNS0_4arch9wavefront6targetE0EEEvSL_.private_seg_size, 0
	.set _ZN7rocprim17ROCPRIM_400000_NS6detail17trampoline_kernelINS0_14default_configENS1_36segmented_radix_sort_config_selectorI6__halflEEZNS1_25segmented_radix_sort_implIS3_Lb0EPKS5_PS5_PKlPlN2at6native12_GLOBAL__N_18offset_tEEE10hipError_tPvRmT1_PNSt15iterator_traitsISL_E10value_typeET2_T3_PNSM_ISR_E10value_typeET4_jRbjT5_SX_jjP12ihipStream_tbEUlT_E_NS1_11comp_targetILNS1_3genE9ELNS1_11target_archE1100ELNS1_3gpuE3ELNS1_3repE0EEENS1_30default_config_static_selectorELNS0_4arch9wavefront6targetE0EEEvSL_.uses_vcc, 0
	.set _ZN7rocprim17ROCPRIM_400000_NS6detail17trampoline_kernelINS0_14default_configENS1_36segmented_radix_sort_config_selectorI6__halflEEZNS1_25segmented_radix_sort_implIS3_Lb0EPKS5_PS5_PKlPlN2at6native12_GLOBAL__N_18offset_tEEE10hipError_tPvRmT1_PNSt15iterator_traitsISL_E10value_typeET2_T3_PNSM_ISR_E10value_typeET4_jRbjT5_SX_jjP12ihipStream_tbEUlT_E_NS1_11comp_targetILNS1_3genE9ELNS1_11target_archE1100ELNS1_3gpuE3ELNS1_3repE0EEENS1_30default_config_static_selectorELNS0_4arch9wavefront6targetE0EEEvSL_.uses_flat_scratch, 0
	.set _ZN7rocprim17ROCPRIM_400000_NS6detail17trampoline_kernelINS0_14default_configENS1_36segmented_radix_sort_config_selectorI6__halflEEZNS1_25segmented_radix_sort_implIS3_Lb0EPKS5_PS5_PKlPlN2at6native12_GLOBAL__N_18offset_tEEE10hipError_tPvRmT1_PNSt15iterator_traitsISL_E10value_typeET2_T3_PNSM_ISR_E10value_typeET4_jRbjT5_SX_jjP12ihipStream_tbEUlT_E_NS1_11comp_targetILNS1_3genE9ELNS1_11target_archE1100ELNS1_3gpuE3ELNS1_3repE0EEENS1_30default_config_static_selectorELNS0_4arch9wavefront6targetE0EEEvSL_.has_dyn_sized_stack, 0
	.set _ZN7rocprim17ROCPRIM_400000_NS6detail17trampoline_kernelINS0_14default_configENS1_36segmented_radix_sort_config_selectorI6__halflEEZNS1_25segmented_radix_sort_implIS3_Lb0EPKS5_PS5_PKlPlN2at6native12_GLOBAL__N_18offset_tEEE10hipError_tPvRmT1_PNSt15iterator_traitsISL_E10value_typeET2_T3_PNSM_ISR_E10value_typeET4_jRbjT5_SX_jjP12ihipStream_tbEUlT_E_NS1_11comp_targetILNS1_3genE9ELNS1_11target_archE1100ELNS1_3gpuE3ELNS1_3repE0EEENS1_30default_config_static_selectorELNS0_4arch9wavefront6targetE0EEEvSL_.has_recursion, 0
	.set _ZN7rocprim17ROCPRIM_400000_NS6detail17trampoline_kernelINS0_14default_configENS1_36segmented_radix_sort_config_selectorI6__halflEEZNS1_25segmented_radix_sort_implIS3_Lb0EPKS5_PS5_PKlPlN2at6native12_GLOBAL__N_18offset_tEEE10hipError_tPvRmT1_PNSt15iterator_traitsISL_E10value_typeET2_T3_PNSM_ISR_E10value_typeET4_jRbjT5_SX_jjP12ihipStream_tbEUlT_E_NS1_11comp_targetILNS1_3genE9ELNS1_11target_archE1100ELNS1_3gpuE3ELNS1_3repE0EEENS1_30default_config_static_selectorELNS0_4arch9wavefront6targetE0EEEvSL_.has_indirect_call, 0
	.section	.AMDGPU.csdata,"",@progbits
; Kernel info:
; codeLenInByte = 0
; TotalNumSgprs: 0
; NumVgprs: 0
; ScratchSize: 0
; MemoryBound: 0
; FloatMode: 240
; IeeeMode: 1
; LDSByteSize: 0 bytes/workgroup (compile time only)
; SGPRBlocks: 0
; VGPRBlocks: 0
; NumSGPRsForWavesPerEU: 1
; NumVGPRsForWavesPerEU: 1
; NamedBarCnt: 0
; Occupancy: 16
; WaveLimiterHint : 0
; COMPUTE_PGM_RSRC2:SCRATCH_EN: 0
; COMPUTE_PGM_RSRC2:USER_SGPR: 2
; COMPUTE_PGM_RSRC2:TRAP_HANDLER: 0
; COMPUTE_PGM_RSRC2:TGID_X_EN: 1
; COMPUTE_PGM_RSRC2:TGID_Y_EN: 0
; COMPUTE_PGM_RSRC2:TGID_Z_EN: 0
; COMPUTE_PGM_RSRC2:TIDIG_COMP_CNT: 0
	.section	.text._ZN7rocprim17ROCPRIM_400000_NS6detail17trampoline_kernelINS0_14default_configENS1_36segmented_radix_sort_config_selectorI6__halflEEZNS1_25segmented_radix_sort_implIS3_Lb0EPKS5_PS5_PKlPlN2at6native12_GLOBAL__N_18offset_tEEE10hipError_tPvRmT1_PNSt15iterator_traitsISL_E10value_typeET2_T3_PNSM_ISR_E10value_typeET4_jRbjT5_SX_jjP12ihipStream_tbEUlT_E_NS1_11comp_targetILNS1_3genE8ELNS1_11target_archE1030ELNS1_3gpuE2ELNS1_3repE0EEENS1_30default_config_static_selectorELNS0_4arch9wavefront6targetE0EEEvSL_,"axG",@progbits,_ZN7rocprim17ROCPRIM_400000_NS6detail17trampoline_kernelINS0_14default_configENS1_36segmented_radix_sort_config_selectorI6__halflEEZNS1_25segmented_radix_sort_implIS3_Lb0EPKS5_PS5_PKlPlN2at6native12_GLOBAL__N_18offset_tEEE10hipError_tPvRmT1_PNSt15iterator_traitsISL_E10value_typeET2_T3_PNSM_ISR_E10value_typeET4_jRbjT5_SX_jjP12ihipStream_tbEUlT_E_NS1_11comp_targetILNS1_3genE8ELNS1_11target_archE1030ELNS1_3gpuE2ELNS1_3repE0EEENS1_30default_config_static_selectorELNS0_4arch9wavefront6targetE0EEEvSL_,comdat
	.globl	_ZN7rocprim17ROCPRIM_400000_NS6detail17trampoline_kernelINS0_14default_configENS1_36segmented_radix_sort_config_selectorI6__halflEEZNS1_25segmented_radix_sort_implIS3_Lb0EPKS5_PS5_PKlPlN2at6native12_GLOBAL__N_18offset_tEEE10hipError_tPvRmT1_PNSt15iterator_traitsISL_E10value_typeET2_T3_PNSM_ISR_E10value_typeET4_jRbjT5_SX_jjP12ihipStream_tbEUlT_E_NS1_11comp_targetILNS1_3genE8ELNS1_11target_archE1030ELNS1_3gpuE2ELNS1_3repE0EEENS1_30default_config_static_selectorELNS0_4arch9wavefront6targetE0EEEvSL_ ; -- Begin function _ZN7rocprim17ROCPRIM_400000_NS6detail17trampoline_kernelINS0_14default_configENS1_36segmented_radix_sort_config_selectorI6__halflEEZNS1_25segmented_radix_sort_implIS3_Lb0EPKS5_PS5_PKlPlN2at6native12_GLOBAL__N_18offset_tEEE10hipError_tPvRmT1_PNSt15iterator_traitsISL_E10value_typeET2_T3_PNSM_ISR_E10value_typeET4_jRbjT5_SX_jjP12ihipStream_tbEUlT_E_NS1_11comp_targetILNS1_3genE8ELNS1_11target_archE1030ELNS1_3gpuE2ELNS1_3repE0EEENS1_30default_config_static_selectorELNS0_4arch9wavefront6targetE0EEEvSL_
	.p2align	8
	.type	_ZN7rocprim17ROCPRIM_400000_NS6detail17trampoline_kernelINS0_14default_configENS1_36segmented_radix_sort_config_selectorI6__halflEEZNS1_25segmented_radix_sort_implIS3_Lb0EPKS5_PS5_PKlPlN2at6native12_GLOBAL__N_18offset_tEEE10hipError_tPvRmT1_PNSt15iterator_traitsISL_E10value_typeET2_T3_PNSM_ISR_E10value_typeET4_jRbjT5_SX_jjP12ihipStream_tbEUlT_E_NS1_11comp_targetILNS1_3genE8ELNS1_11target_archE1030ELNS1_3gpuE2ELNS1_3repE0EEENS1_30default_config_static_selectorELNS0_4arch9wavefront6targetE0EEEvSL_,@function
_ZN7rocprim17ROCPRIM_400000_NS6detail17trampoline_kernelINS0_14default_configENS1_36segmented_radix_sort_config_selectorI6__halflEEZNS1_25segmented_radix_sort_implIS3_Lb0EPKS5_PS5_PKlPlN2at6native12_GLOBAL__N_18offset_tEEE10hipError_tPvRmT1_PNSt15iterator_traitsISL_E10value_typeET2_T3_PNSM_ISR_E10value_typeET4_jRbjT5_SX_jjP12ihipStream_tbEUlT_E_NS1_11comp_targetILNS1_3genE8ELNS1_11target_archE1030ELNS1_3gpuE2ELNS1_3repE0EEENS1_30default_config_static_selectorELNS0_4arch9wavefront6targetE0EEEvSL_: ; @_ZN7rocprim17ROCPRIM_400000_NS6detail17trampoline_kernelINS0_14default_configENS1_36segmented_radix_sort_config_selectorI6__halflEEZNS1_25segmented_radix_sort_implIS3_Lb0EPKS5_PS5_PKlPlN2at6native12_GLOBAL__N_18offset_tEEE10hipError_tPvRmT1_PNSt15iterator_traitsISL_E10value_typeET2_T3_PNSM_ISR_E10value_typeET4_jRbjT5_SX_jjP12ihipStream_tbEUlT_E_NS1_11comp_targetILNS1_3genE8ELNS1_11target_archE1030ELNS1_3gpuE2ELNS1_3repE0EEENS1_30default_config_static_selectorELNS0_4arch9wavefront6targetE0EEEvSL_
; %bb.0:
	.section	.rodata,"a",@progbits
	.p2align	6, 0x0
	.amdhsa_kernel _ZN7rocprim17ROCPRIM_400000_NS6detail17trampoline_kernelINS0_14default_configENS1_36segmented_radix_sort_config_selectorI6__halflEEZNS1_25segmented_radix_sort_implIS3_Lb0EPKS5_PS5_PKlPlN2at6native12_GLOBAL__N_18offset_tEEE10hipError_tPvRmT1_PNSt15iterator_traitsISL_E10value_typeET2_T3_PNSM_ISR_E10value_typeET4_jRbjT5_SX_jjP12ihipStream_tbEUlT_E_NS1_11comp_targetILNS1_3genE8ELNS1_11target_archE1030ELNS1_3gpuE2ELNS1_3repE0EEENS1_30default_config_static_selectorELNS0_4arch9wavefront6targetE0EEEvSL_
		.amdhsa_group_segment_fixed_size 0
		.amdhsa_private_segment_fixed_size 0
		.amdhsa_kernarg_size 96
		.amdhsa_user_sgpr_count 2
		.amdhsa_user_sgpr_dispatch_ptr 0
		.amdhsa_user_sgpr_queue_ptr 0
		.amdhsa_user_sgpr_kernarg_segment_ptr 1
		.amdhsa_user_sgpr_dispatch_id 0
		.amdhsa_user_sgpr_kernarg_preload_length 0
		.amdhsa_user_sgpr_kernarg_preload_offset 0
		.amdhsa_user_sgpr_private_segment_size 0
		.amdhsa_wavefront_size32 1
		.amdhsa_uses_dynamic_stack 0
		.amdhsa_enable_private_segment 0
		.amdhsa_system_sgpr_workgroup_id_x 1
		.amdhsa_system_sgpr_workgroup_id_y 0
		.amdhsa_system_sgpr_workgroup_id_z 0
		.amdhsa_system_sgpr_workgroup_info 0
		.amdhsa_system_vgpr_workitem_id 0
		.amdhsa_next_free_vgpr 1
		.amdhsa_next_free_sgpr 1
		.amdhsa_named_barrier_count 0
		.amdhsa_reserve_vcc 0
		.amdhsa_float_round_mode_32 0
		.amdhsa_float_round_mode_16_64 0
		.amdhsa_float_denorm_mode_32 3
		.amdhsa_float_denorm_mode_16_64 3
		.amdhsa_fp16_overflow 0
		.amdhsa_memory_ordered 1
		.amdhsa_forward_progress 1
		.amdhsa_inst_pref_size 0
		.amdhsa_round_robin_scheduling 0
		.amdhsa_exception_fp_ieee_invalid_op 0
		.amdhsa_exception_fp_denorm_src 0
		.amdhsa_exception_fp_ieee_div_zero 0
		.amdhsa_exception_fp_ieee_overflow 0
		.amdhsa_exception_fp_ieee_underflow 0
		.amdhsa_exception_fp_ieee_inexact 0
		.amdhsa_exception_int_div_zero 0
	.end_amdhsa_kernel
	.section	.text._ZN7rocprim17ROCPRIM_400000_NS6detail17trampoline_kernelINS0_14default_configENS1_36segmented_radix_sort_config_selectorI6__halflEEZNS1_25segmented_radix_sort_implIS3_Lb0EPKS5_PS5_PKlPlN2at6native12_GLOBAL__N_18offset_tEEE10hipError_tPvRmT1_PNSt15iterator_traitsISL_E10value_typeET2_T3_PNSM_ISR_E10value_typeET4_jRbjT5_SX_jjP12ihipStream_tbEUlT_E_NS1_11comp_targetILNS1_3genE8ELNS1_11target_archE1030ELNS1_3gpuE2ELNS1_3repE0EEENS1_30default_config_static_selectorELNS0_4arch9wavefront6targetE0EEEvSL_,"axG",@progbits,_ZN7rocprim17ROCPRIM_400000_NS6detail17trampoline_kernelINS0_14default_configENS1_36segmented_radix_sort_config_selectorI6__halflEEZNS1_25segmented_radix_sort_implIS3_Lb0EPKS5_PS5_PKlPlN2at6native12_GLOBAL__N_18offset_tEEE10hipError_tPvRmT1_PNSt15iterator_traitsISL_E10value_typeET2_T3_PNSM_ISR_E10value_typeET4_jRbjT5_SX_jjP12ihipStream_tbEUlT_E_NS1_11comp_targetILNS1_3genE8ELNS1_11target_archE1030ELNS1_3gpuE2ELNS1_3repE0EEENS1_30default_config_static_selectorELNS0_4arch9wavefront6targetE0EEEvSL_,comdat
.Lfunc_end1841:
	.size	_ZN7rocprim17ROCPRIM_400000_NS6detail17trampoline_kernelINS0_14default_configENS1_36segmented_radix_sort_config_selectorI6__halflEEZNS1_25segmented_radix_sort_implIS3_Lb0EPKS5_PS5_PKlPlN2at6native12_GLOBAL__N_18offset_tEEE10hipError_tPvRmT1_PNSt15iterator_traitsISL_E10value_typeET2_T3_PNSM_ISR_E10value_typeET4_jRbjT5_SX_jjP12ihipStream_tbEUlT_E_NS1_11comp_targetILNS1_3genE8ELNS1_11target_archE1030ELNS1_3gpuE2ELNS1_3repE0EEENS1_30default_config_static_selectorELNS0_4arch9wavefront6targetE0EEEvSL_, .Lfunc_end1841-_ZN7rocprim17ROCPRIM_400000_NS6detail17trampoline_kernelINS0_14default_configENS1_36segmented_radix_sort_config_selectorI6__halflEEZNS1_25segmented_radix_sort_implIS3_Lb0EPKS5_PS5_PKlPlN2at6native12_GLOBAL__N_18offset_tEEE10hipError_tPvRmT1_PNSt15iterator_traitsISL_E10value_typeET2_T3_PNSM_ISR_E10value_typeET4_jRbjT5_SX_jjP12ihipStream_tbEUlT_E_NS1_11comp_targetILNS1_3genE8ELNS1_11target_archE1030ELNS1_3gpuE2ELNS1_3repE0EEENS1_30default_config_static_selectorELNS0_4arch9wavefront6targetE0EEEvSL_
                                        ; -- End function
	.set _ZN7rocprim17ROCPRIM_400000_NS6detail17trampoline_kernelINS0_14default_configENS1_36segmented_radix_sort_config_selectorI6__halflEEZNS1_25segmented_radix_sort_implIS3_Lb0EPKS5_PS5_PKlPlN2at6native12_GLOBAL__N_18offset_tEEE10hipError_tPvRmT1_PNSt15iterator_traitsISL_E10value_typeET2_T3_PNSM_ISR_E10value_typeET4_jRbjT5_SX_jjP12ihipStream_tbEUlT_E_NS1_11comp_targetILNS1_3genE8ELNS1_11target_archE1030ELNS1_3gpuE2ELNS1_3repE0EEENS1_30default_config_static_selectorELNS0_4arch9wavefront6targetE0EEEvSL_.num_vgpr, 0
	.set _ZN7rocprim17ROCPRIM_400000_NS6detail17trampoline_kernelINS0_14default_configENS1_36segmented_radix_sort_config_selectorI6__halflEEZNS1_25segmented_radix_sort_implIS3_Lb0EPKS5_PS5_PKlPlN2at6native12_GLOBAL__N_18offset_tEEE10hipError_tPvRmT1_PNSt15iterator_traitsISL_E10value_typeET2_T3_PNSM_ISR_E10value_typeET4_jRbjT5_SX_jjP12ihipStream_tbEUlT_E_NS1_11comp_targetILNS1_3genE8ELNS1_11target_archE1030ELNS1_3gpuE2ELNS1_3repE0EEENS1_30default_config_static_selectorELNS0_4arch9wavefront6targetE0EEEvSL_.num_agpr, 0
	.set _ZN7rocprim17ROCPRIM_400000_NS6detail17trampoline_kernelINS0_14default_configENS1_36segmented_radix_sort_config_selectorI6__halflEEZNS1_25segmented_radix_sort_implIS3_Lb0EPKS5_PS5_PKlPlN2at6native12_GLOBAL__N_18offset_tEEE10hipError_tPvRmT1_PNSt15iterator_traitsISL_E10value_typeET2_T3_PNSM_ISR_E10value_typeET4_jRbjT5_SX_jjP12ihipStream_tbEUlT_E_NS1_11comp_targetILNS1_3genE8ELNS1_11target_archE1030ELNS1_3gpuE2ELNS1_3repE0EEENS1_30default_config_static_selectorELNS0_4arch9wavefront6targetE0EEEvSL_.numbered_sgpr, 0
	.set _ZN7rocprim17ROCPRIM_400000_NS6detail17trampoline_kernelINS0_14default_configENS1_36segmented_radix_sort_config_selectorI6__halflEEZNS1_25segmented_radix_sort_implIS3_Lb0EPKS5_PS5_PKlPlN2at6native12_GLOBAL__N_18offset_tEEE10hipError_tPvRmT1_PNSt15iterator_traitsISL_E10value_typeET2_T3_PNSM_ISR_E10value_typeET4_jRbjT5_SX_jjP12ihipStream_tbEUlT_E_NS1_11comp_targetILNS1_3genE8ELNS1_11target_archE1030ELNS1_3gpuE2ELNS1_3repE0EEENS1_30default_config_static_selectorELNS0_4arch9wavefront6targetE0EEEvSL_.num_named_barrier, 0
	.set _ZN7rocprim17ROCPRIM_400000_NS6detail17trampoline_kernelINS0_14default_configENS1_36segmented_radix_sort_config_selectorI6__halflEEZNS1_25segmented_radix_sort_implIS3_Lb0EPKS5_PS5_PKlPlN2at6native12_GLOBAL__N_18offset_tEEE10hipError_tPvRmT1_PNSt15iterator_traitsISL_E10value_typeET2_T3_PNSM_ISR_E10value_typeET4_jRbjT5_SX_jjP12ihipStream_tbEUlT_E_NS1_11comp_targetILNS1_3genE8ELNS1_11target_archE1030ELNS1_3gpuE2ELNS1_3repE0EEENS1_30default_config_static_selectorELNS0_4arch9wavefront6targetE0EEEvSL_.private_seg_size, 0
	.set _ZN7rocprim17ROCPRIM_400000_NS6detail17trampoline_kernelINS0_14default_configENS1_36segmented_radix_sort_config_selectorI6__halflEEZNS1_25segmented_radix_sort_implIS3_Lb0EPKS5_PS5_PKlPlN2at6native12_GLOBAL__N_18offset_tEEE10hipError_tPvRmT1_PNSt15iterator_traitsISL_E10value_typeET2_T3_PNSM_ISR_E10value_typeET4_jRbjT5_SX_jjP12ihipStream_tbEUlT_E_NS1_11comp_targetILNS1_3genE8ELNS1_11target_archE1030ELNS1_3gpuE2ELNS1_3repE0EEENS1_30default_config_static_selectorELNS0_4arch9wavefront6targetE0EEEvSL_.uses_vcc, 0
	.set _ZN7rocprim17ROCPRIM_400000_NS6detail17trampoline_kernelINS0_14default_configENS1_36segmented_radix_sort_config_selectorI6__halflEEZNS1_25segmented_radix_sort_implIS3_Lb0EPKS5_PS5_PKlPlN2at6native12_GLOBAL__N_18offset_tEEE10hipError_tPvRmT1_PNSt15iterator_traitsISL_E10value_typeET2_T3_PNSM_ISR_E10value_typeET4_jRbjT5_SX_jjP12ihipStream_tbEUlT_E_NS1_11comp_targetILNS1_3genE8ELNS1_11target_archE1030ELNS1_3gpuE2ELNS1_3repE0EEENS1_30default_config_static_selectorELNS0_4arch9wavefront6targetE0EEEvSL_.uses_flat_scratch, 0
	.set _ZN7rocprim17ROCPRIM_400000_NS6detail17trampoline_kernelINS0_14default_configENS1_36segmented_radix_sort_config_selectorI6__halflEEZNS1_25segmented_radix_sort_implIS3_Lb0EPKS5_PS5_PKlPlN2at6native12_GLOBAL__N_18offset_tEEE10hipError_tPvRmT1_PNSt15iterator_traitsISL_E10value_typeET2_T3_PNSM_ISR_E10value_typeET4_jRbjT5_SX_jjP12ihipStream_tbEUlT_E_NS1_11comp_targetILNS1_3genE8ELNS1_11target_archE1030ELNS1_3gpuE2ELNS1_3repE0EEENS1_30default_config_static_selectorELNS0_4arch9wavefront6targetE0EEEvSL_.has_dyn_sized_stack, 0
	.set _ZN7rocprim17ROCPRIM_400000_NS6detail17trampoline_kernelINS0_14default_configENS1_36segmented_radix_sort_config_selectorI6__halflEEZNS1_25segmented_radix_sort_implIS3_Lb0EPKS5_PS5_PKlPlN2at6native12_GLOBAL__N_18offset_tEEE10hipError_tPvRmT1_PNSt15iterator_traitsISL_E10value_typeET2_T3_PNSM_ISR_E10value_typeET4_jRbjT5_SX_jjP12ihipStream_tbEUlT_E_NS1_11comp_targetILNS1_3genE8ELNS1_11target_archE1030ELNS1_3gpuE2ELNS1_3repE0EEENS1_30default_config_static_selectorELNS0_4arch9wavefront6targetE0EEEvSL_.has_recursion, 0
	.set _ZN7rocprim17ROCPRIM_400000_NS6detail17trampoline_kernelINS0_14default_configENS1_36segmented_radix_sort_config_selectorI6__halflEEZNS1_25segmented_radix_sort_implIS3_Lb0EPKS5_PS5_PKlPlN2at6native12_GLOBAL__N_18offset_tEEE10hipError_tPvRmT1_PNSt15iterator_traitsISL_E10value_typeET2_T3_PNSM_ISR_E10value_typeET4_jRbjT5_SX_jjP12ihipStream_tbEUlT_E_NS1_11comp_targetILNS1_3genE8ELNS1_11target_archE1030ELNS1_3gpuE2ELNS1_3repE0EEENS1_30default_config_static_selectorELNS0_4arch9wavefront6targetE0EEEvSL_.has_indirect_call, 0
	.section	.AMDGPU.csdata,"",@progbits
; Kernel info:
; codeLenInByte = 0
; TotalNumSgprs: 0
; NumVgprs: 0
; ScratchSize: 0
; MemoryBound: 0
; FloatMode: 240
; IeeeMode: 1
; LDSByteSize: 0 bytes/workgroup (compile time only)
; SGPRBlocks: 0
; VGPRBlocks: 0
; NumSGPRsForWavesPerEU: 1
; NumVGPRsForWavesPerEU: 1
; NamedBarCnt: 0
; Occupancy: 16
; WaveLimiterHint : 0
; COMPUTE_PGM_RSRC2:SCRATCH_EN: 0
; COMPUTE_PGM_RSRC2:USER_SGPR: 2
; COMPUTE_PGM_RSRC2:TRAP_HANDLER: 0
; COMPUTE_PGM_RSRC2:TGID_X_EN: 1
; COMPUTE_PGM_RSRC2:TGID_Y_EN: 0
; COMPUTE_PGM_RSRC2:TGID_Z_EN: 0
; COMPUTE_PGM_RSRC2:TIDIG_COMP_CNT: 0
	.text
	.p2align	2                               ; -- Begin function _ZN7rocprim17ROCPRIM_400000_NS6detail26segmented_warp_sort_helperINS1_20WarpSortHelperConfigILj16ELj8ELj256EEE6__halflLi256ELb0EvE4sortIPKS5_PS5_PKlPlEEvT_T0_T1_T2_jjjjRNS6_12storage_typeE
	.type	_ZN7rocprim17ROCPRIM_400000_NS6detail26segmented_warp_sort_helperINS1_20WarpSortHelperConfigILj16ELj8ELj256EEE6__halflLi256ELb0EvE4sortIPKS5_PS5_PKlPlEEvT_T0_T1_T2_jjjjRNS6_12storage_typeE,@function
_ZN7rocprim17ROCPRIM_400000_NS6detail26segmented_warp_sort_helperINS1_20WarpSortHelperConfigILj16ELj8ELj256EEE6__halflLi256ELb0EvE4sortIPKS5_PS5_PKlPlEEvT_T0_T1_T2_jjjjRNS6_12storage_typeE: ; @_ZN7rocprim17ROCPRIM_400000_NS6detail26segmented_warp_sort_helperINS1_20WarpSortHelperConfigILj16ELj8ELj256EEE6__halflLi256ELb0EvE4sortIPKS5_PS5_PKlPlEEvT_T0_T1_T2_jjjjRNS6_12storage_typeE
; %bb.0:
	s_wait_loadcnt_dscnt 0x0
	s_wait_kmcnt 0x0
	v_mov_b32_e32 v10, v9
	v_mbcnt_lo_u32_b32 v9, -1, 0
	v_dual_mov_b32 v39, 0x7fff :: v_dual_mov_b32 v36, 0x7fff
	s_delay_alu instid0(VALU_DEP_2) | instskip(NEXT) | instid1(VALU_DEP_1)
	v_dual_lshlrev_b32 v35, 3, v9 :: v_dual_sub_nc_u32 v12, v10, v8
	v_and_b32_e32 v34, 0x78, v35
	v_mov_b32_e32 v9, 0
	s_delay_alu instid0(VALU_DEP_2) | instskip(NEXT) | instid1(VALU_DEP_2)
	v_cmp_lt_u32_e32 vcc_lo, v34, v12
	v_lshl_add_u64 v[14:15], v[8:9], 1, v[0:1]
	v_dual_mov_b32 v1, v9 :: v_dual_lshlrev_b32 v0, 1, v34
	s_delay_alu instid0(VALU_DEP_1)
	v_add_nc_u64_e32 v[10:11], v[14:15], v[0:1]
	s_and_saveexec_b32 s0, vcc_lo
	s_cbranch_execz .LBB1842_2
; %bb.1:
	flat_load_u16 v36, v[10:11]
.LBB1842_2:
	s_wait_xcnt 0x0
	s_or_b32 exec_lo, exec_lo, s0
	v_or_b32_e32 v1, 1, v34
	s_delay_alu instid0(VALU_DEP_1)
	v_cmp_lt_u32_e64 s0, v1, v12
	s_and_saveexec_b32 s1, s0
	s_cbranch_execz .LBB1842_4
; %bb.3:
	flat_load_u16 v39, v[10:11] offset:2
.LBB1842_4:
	s_wait_xcnt 0x0
	s_or_b32 exec_lo, exec_lo, s1
	v_or_b32_e32 v1, 2, v34
	v_dual_mov_b32 v33, 0x7fff :: v_dual_mov_b32 v30, 0x7fff
	s_delay_alu instid0(VALU_DEP_2)
	v_cmp_lt_u32_e64 s1, v1, v12
	s_and_saveexec_b32 s2, s1
	s_cbranch_execz .LBB1842_6
; %bb.5:
	flat_load_u16 v30, v[10:11] offset:4
.LBB1842_6:
	s_wait_xcnt 0x0
	s_or_b32 exec_lo, exec_lo, s2
	v_or_b32_e32 v1, 3, v34
	s_delay_alu instid0(VALU_DEP_1)
	v_cmp_lt_u32_e64 s2, v1, v12
	s_and_saveexec_b32 s3, s2
	s_cbranch_execz .LBB1842_8
; %bb.7:
	flat_load_u16 v33, v[10:11] offset:6
.LBB1842_8:
	s_wait_xcnt 0x0
	s_or_b32 exec_lo, exec_lo, s3
	v_or_b32_e32 v1, 4, v34
	v_mov_b32_e32 v38, 0x7fff
	v_mov_b32_e32 v48, 0x7fff
	s_delay_alu instid0(VALU_DEP_3)
	v_cmp_lt_u32_e64 s3, v1, v12
	s_and_saveexec_b32 s4, s3
	s_cbranch_execz .LBB1842_10
; %bb.9:
	flat_load_u16 v48, v[10:11] offset:8
.LBB1842_10:
	s_wait_xcnt 0x0
	s_or_b32 exec_lo, exec_lo, s4
	v_or_b32_e32 v1, 5, v34
	s_delay_alu instid0(VALU_DEP_1)
	v_cmp_lt_u32_e64 s4, v1, v12
	s_and_saveexec_b32 s5, s4
	s_cbranch_execz .LBB1842_12
; %bb.11:
	flat_load_u16 v38, v[10:11] offset:10
.LBB1842_12:
	s_wait_xcnt 0x0
	s_or_b32 exec_lo, exec_lo, s5
	v_or_b32_e32 v1, 6, v34
	v_dual_mov_b32 v37, 0x7fff :: v_dual_mov_b32 v32, 0x7fff
	s_delay_alu instid0(VALU_DEP_2)
	v_cmp_lt_u32_e64 s5, v1, v12
	s_and_saveexec_b32 s6, s5
	s_cbranch_execz .LBB1842_14
; %bb.13:
	flat_load_u16 v32, v[10:11] offset:12
.LBB1842_14:
	s_wait_xcnt 0x0
	s_or_b32 exec_lo, exec_lo, s6
	v_or_b32_e32 v1, 7, v34
	s_delay_alu instid0(VALU_DEP_1)
	v_cmp_lt_u32_e64 s6, v1, v12
	s_and_saveexec_b32 s7, s6
	s_cbranch_execz .LBB1842_16
; %bb.15:
	flat_load_u16 v37, v[10:11] offset:14
.LBB1842_16:
	s_wait_xcnt 0x0
	s_or_b32 exec_lo, exec_lo, s7
	v_lshl_add_u64 v[10:11], v[8:9], 3, v[4:5]
	v_dual_mov_b32 v5, 0 :: v_dual_lshlrev_b32 v4, 3, v34
	; wave barrier
	s_delay_alu instid0(VALU_DEP_1)
	v_add_nc_u64_e32 v[26:27], v[10:11], v[4:5]
                                        ; implicit-def: $vgpr10_vgpr11
	s_and_saveexec_b32 s7, vcc_lo
	s_cbranch_execnz .LBB1842_261
; %bb.17:
	s_or_b32 exec_lo, exec_lo, s7
                                        ; implicit-def: $vgpr12_vgpr13
	s_and_saveexec_b32 s7, s0
	s_cbranch_execnz .LBB1842_262
.LBB1842_18:
	s_or_b32 exec_lo, exec_lo, s7
                                        ; implicit-def: $vgpr14_vgpr15
	s_and_saveexec_b32 s7, s1
	s_cbranch_execnz .LBB1842_263
.LBB1842_19:
	s_or_b32 exec_lo, exec_lo, s7
                                        ; implicit-def: $vgpr16_vgpr17
	s_and_saveexec_b32 s7, s2
	s_cbranch_execnz .LBB1842_264
.LBB1842_20:
	s_or_b32 exec_lo, exec_lo, s7
                                        ; implicit-def: $vgpr18_vgpr19
	s_and_saveexec_b32 s7, s3
	s_cbranch_execnz .LBB1842_265
.LBB1842_21:
	s_or_b32 exec_lo, exec_lo, s7
                                        ; implicit-def: $vgpr22_vgpr23
	s_and_saveexec_b32 s7, s4
	s_cbranch_execnz .LBB1842_266
.LBB1842_22:
	s_or_b32 exec_lo, exec_lo, s7
                                        ; implicit-def: $vgpr20_vgpr21
	s_and_saveexec_b32 s7, s5
	s_cbranch_execnz .LBB1842_267
.LBB1842_23:
	s_or_b32 exec_lo, exec_lo, s7
                                        ; implicit-def: $vgpr24_vgpr25
	s_and_saveexec_b32 s7, s6
	s_cbranch_execz .LBB1842_25
.LBB1842_24:
	flat_load_b64 v[24:25], v[26:27] offset:56
.LBB1842_25:
	s_wait_xcnt 0x0
	s_or_b32 exec_lo, exec_lo, s7
	; wave barrier
	s_load_b64 s[10:11], s[8:9], 0x0
	s_bfe_u32 s12, ttmp6, 0x4000c
	s_bfe_u32 s14, ttmp6, 0x40010
	s_and_b32 s13, ttmp7, 0xffff
	s_add_co_i32 s12, s12, 1
	s_add_co_i32 s14, s14, 1
	s_and_b32 s7, ttmp6, 15
	s_bfe_u32 s15, ttmp6, 0x40004
	s_mul_i32 s12, ttmp9, s12
	s_mul_i32 s14, s13, s14
	s_getreg_b32 s16, hwreg(HW_REG_IB_STS2, 6, 4)
	s_add_co_i32 s7, s7, s12
	s_add_co_i32 s15, s15, s14
	s_cmp_eq_u32 s16, 0
	v_bfe_u32 v1, v31, 10, 10
	s_cselect_b32 s7, ttmp9, s7
	s_cselect_b32 s12, s13, s15
	v_bfe_u32 v5, v31, 20, 10
	s_wait_kmcnt 0x0
	s_cmp_lt_u32 s7, s10
	s_cselect_b32 s10, 12, 18
	s_cmp_lt_u32 s12, s11
	s_mov_b32 s11, 0
	s_cselect_b32 s12, 14, 20
	s_mov_b32 s13, s11
	s_delay_alu instid0(SALU_CYCLE_1)
	s_add_nc_u64 s[12:13], s[8:9], s[12:13]
	s_add_nc_u64 s[8:9], s[8:9], s[10:11]
	s_clause 0x1
	s_load_u16 s7, s[12:13], 0x0
	s_nop 0
	s_load_u16 s8, s[8:9], 0x0
	s_wait_kmcnt 0x0
	v_mad_u32_u24 v1, v5, s7, v1
	v_and_b32_e32 v5, 0x3ff, v31
	s_delay_alu instid0(VALU_DEP_2) | instskip(SKIP_1) | instid1(VALU_DEP_1)
	v_mul_lo_u32 v1, v1, s8
	s_mov_b32 s8, exec_lo
	v_add_lshl_u32 v1, v1, v5, 3
	s_delay_alu instid0(VALU_DEP_1)
	v_cmpx_gt_u32_e32 0x800, v1
	s_cbranch_execz .LBB1842_83
; %bb.26:
	s_wait_loadcnt_dscnt 0x0
	v_add_f16_e32 v5, 0, v36
	v_add_f16_e32 v26, 0, v39
	s_delay_alu instid0(VALU_DEP_2) | instskip(NEXT) | instid1(VALU_DEP_1)
	v_cmp_lt_i16_e64 s7, -1, v5
	v_cndmask_b32_e64 v27, -1, 0xffff8000, s7
	s_delay_alu instid0(VALU_DEP_3) | instskip(NEXT) | instid1(VALU_DEP_2)
	v_cmp_lt_i16_e64 s7, -1, v26
	v_xor_b32_e32 v27, v27, v5
	s_delay_alu instid0(VALU_DEP_2) | instskip(NEXT) | instid1(VALU_DEP_1)
	v_cndmask_b32_e64 v28, -1, 0xffff8000, s7
	v_dual_mov_b32 v5, v39 :: v_dual_bitop2_b32 v26, v28, v26 bitop3:0x14
	s_delay_alu instid0(VALU_DEP_1)
	v_cmp_gt_u16_e64 s7, v27, v26
	v_mov_b64_e32 v[26:27], v[12:13]
	s_and_saveexec_b32 s9, s7
; %bb.27:
	v_mov_b64_e32 v[26:27], v[10:11]
	v_mov_b64_e32 v[10:11], v[12:13]
	v_dual_mov_b32 v5, v36 :: v_dual_mov_b32 v36, v39
; %bb.28:
	s_or_b32 exec_lo, exec_lo, s9
	v_add_f16_e32 v12, 0, v30
	v_add_f16_e32 v13, 0, v33
	s_mov_b32 s9, exec_lo
	v_mov_b32_e32 v31, v33
	s_delay_alu instid0(VALU_DEP_3) | instskip(NEXT) | instid1(VALU_DEP_1)
	v_cmp_lt_i16_e64 s7, -1, v12
	v_cndmask_b32_e64 v28, -1, 0xffff8000, s7
	v_cmp_lt_i16_e64 s7, -1, v13
	s_delay_alu instid0(VALU_DEP_2) | instskip(NEXT) | instid1(VALU_DEP_2)
	v_xor_b32_e32 v12, v28, v12
	v_cndmask_b32_e64 v29, -1, 0xffff8000, s7
	s_delay_alu instid0(VALU_DEP_1) | instskip(SKIP_1) | instid1(VALU_DEP_2)
	v_xor_b32_e32 v13, v29, v13
	v_mov_b64_e32 v[28:29], v[16:17]
	v_cmpx_gt_u16_e64 v12, v13
; %bb.29:
	v_mov_b64_e32 v[28:29], v[14:15]
	v_mov_b64_e32 v[14:15], v[16:17]
	v_dual_mov_b32 v31, v30 :: v_dual_mov_b32 v30, v33
; %bb.30:
	s_or_b32 exec_lo, exec_lo, s9
	v_add_f16_e32 v12, 0, v48
	v_add_f16_e32 v13, 0, v38
	s_mov_b32 s9, exec_lo
	v_mov_b32_e32 v49, v48
	s_delay_alu instid0(VALU_DEP_3) | instskip(NEXT) | instid1(VALU_DEP_1)
	v_cmp_lt_i16_e64 s7, -1, v12
	v_cndmask_b32_e64 v16, -1, 0xffff8000, s7
	v_cmp_lt_i16_e64 s7, -1, v13
	s_delay_alu instid0(VALU_DEP_2) | instskip(NEXT) | instid1(VALU_DEP_2)
	v_xor_b32_e32 v12, v16, v12
	v_cndmask_b32_e64 v17, -1, 0xffff8000, s7
	s_delay_alu instid0(VALU_DEP_1) | instskip(SKIP_1) | instid1(VALU_DEP_2)
	v_xor_b32_e32 v13, v17, v13
	v_mov_b64_e32 v[16:17], v[22:23]
	v_cmpx_gt_u16_e64 v12, v13
; %bb.31:
	v_mov_b64_e32 v[16:17], v[18:19]
	v_mov_b64_e32 v[18:19], v[22:23]
	v_dual_mov_b32 v49, v38 :: v_dual_mov_b32 v38, v48
; %bb.32:
	s_or_b32 exec_lo, exec_lo, s9
	v_add_f16_e32 v12, 0, v32
	v_add_f16_e32 v13, 0, v37
	s_mov_b32 s9, exec_lo
	v_mov_b32_e32 v39, v32
	s_delay_alu instid0(VALU_DEP_3) | instskip(NEXT) | instid1(VALU_DEP_1)
	v_cmp_lt_i16_e64 s7, -1, v12
	v_cndmask_b32_e64 v22, -1, 0xffff8000, s7
	v_cmp_lt_i16_e64 s7, -1, v13
	s_delay_alu instid0(VALU_DEP_2) | instskip(NEXT) | instid1(VALU_DEP_2)
	v_xor_b32_e32 v22, v22, v12
	v_cndmask_b32_e64 v23, -1, 0xffff8000, s7
	s_delay_alu instid0(VALU_DEP_1) | instskip(SKIP_1) | instid1(VALU_DEP_2)
	v_xor_b32_e32 v23, v23, v13
	v_mov_b64_e32 v[12:13], v[24:25]
	v_cmpx_gt_u16_e64 v22, v23
; %bb.33:
	v_mov_b64_e32 v[12:13], v[20:21]
	v_mov_b64_e32 v[20:21], v[24:25]
	v_dual_mov_b32 v39, v37 :: v_dual_mov_b32 v37, v32
; %bb.34:
	s_or_b32 exec_lo, exec_lo, s9
	v_add_f16_e32 v22, 0, v5
	v_add_f16_e32 v23, 0, v30
	v_mov_b32_e32 v32, v30
	s_delay_alu instid0(VALU_DEP_3) | instskip(NEXT) | instid1(VALU_DEP_1)
	v_cmp_lt_i16_e64 s7, -1, v22
	v_cndmask_b32_e64 v24, -1, 0xffff8000, s7
	s_delay_alu instid0(VALU_DEP_4) | instskip(NEXT) | instid1(VALU_DEP_2)
	v_cmp_lt_i16_e64 s7, -1, v23
	v_xor_b32_e32 v22, v24, v22
	s_delay_alu instid0(VALU_DEP_2) | instskip(NEXT) | instid1(VALU_DEP_1)
	v_cndmask_b32_e64 v25, -1, 0xffff8000, s7
	v_xor_b32_e32 v23, v25, v23
	s_delay_alu instid0(VALU_DEP_1) | instskip(SKIP_2) | instid1(SALU_CYCLE_1)
	v_cmp_gt_u16_e64 s7, v22, v23
	v_mov_b64_e32 v[22:23], v[14:15]
	s_and_saveexec_b32 s9, s7
	s_xor_b32 s7, exec_lo, s9
; %bb.35:
	v_mov_b64_e32 v[22:23], v[26:27]
	v_mov_b64_e32 v[26:27], v[14:15]
	v_dual_mov_b32 v32, v5 :: v_dual_mov_b32 v5, v30
; %bb.36:
	s_or_b32 exec_lo, exec_lo, s7
	v_add_f16_e32 v14, 0, v31
	v_add_f16_e32 v15, 0, v49
	s_delay_alu instid0(VALU_DEP_2) | instskip(NEXT) | instid1(VALU_DEP_1)
	v_cmp_lt_i16_e64 s7, -1, v14
	v_cndmask_b32_e64 v24, -1, 0xffff8000, s7
	s_delay_alu instid0(VALU_DEP_3) | instskip(NEXT) | instid1(VALU_DEP_2)
	v_cmp_lt_i16_e64 s7, -1, v15
	v_dual_mov_b32 v14, v31 :: v_dual_bitop2_b32 v24, v24, v14 bitop3:0x14
	s_delay_alu instid0(VALU_DEP_2) | instskip(NEXT) | instid1(VALU_DEP_1)
	v_cndmask_b32_e64 v25, -1, 0xffff8000, s7
	v_xor_b32_e32 v15, v25, v15
	s_delay_alu instid0(VALU_DEP_1)
	v_cmp_gt_u16_e64 s7, v24, v15
	v_mov_b64_e32 v[24:25], v[18:19]
	s_and_saveexec_b32 s9, s7
; %bb.37:
	v_mov_b64_e32 v[24:25], v[28:29]
	v_mov_b64_e32 v[28:29], v[18:19]
	v_dual_mov_b32 v14, v49 :: v_dual_mov_b32 v49, v31
; %bb.38:
	s_or_b32 exec_lo, exec_lo, s9
	v_add_f16_e32 v15, 0, v38
	v_add_f16_e32 v18, 0, v39
	s_mov_b32 s9, exec_lo
	v_mov_b32_e32 v48, v38
	s_delay_alu instid0(VALU_DEP_3) | instskip(NEXT) | instid1(VALU_DEP_1)
	v_cmp_lt_i16_e64 s7, -1, v15
	v_cndmask_b32_e64 v19, -1, 0xffff8000, s7
	v_cmp_lt_i16_e64 s7, -1, v18
	s_delay_alu instid0(VALU_DEP_2) | instskip(NEXT) | instid1(VALU_DEP_2)
	v_xor_b32_e32 v15, v19, v15
	v_cndmask_b32_e64 v30, -1, 0xffff8000, s7
	s_delay_alu instid0(VALU_DEP_1) | instskip(SKIP_1) | instid1(VALU_DEP_2)
	v_xor_b32_e32 v30, v30, v18
	v_mov_b64_e32 v[18:19], v[20:21]
	v_cmpx_gt_u16_e64 v15, v30
; %bb.39:
	v_mov_b64_e32 v[18:19], v[16:17]
	v_mov_b64_e32 v[16:17], v[20:21]
	v_dual_mov_b32 v48, v39 :: v_dual_mov_b32 v39, v38
; %bb.40:
	s_or_b32 exec_lo, exec_lo, s9
	v_add_f16_e32 v15, 0, v36
	v_add_f16_e32 v20, 0, v5
	s_mov_b32 s9, exec_lo
	v_mov_b32_e32 v33, v5
	s_delay_alu instid0(VALU_DEP_3) | instskip(NEXT) | instid1(VALU_DEP_1)
	v_cmp_lt_i16_e64 s7, -1, v15
	v_cndmask_b32_e64 v21, -1, 0xffff8000, s7
	v_cmp_lt_i16_e64 s7, -1, v20
	s_delay_alu instid0(VALU_DEP_2) | instskip(NEXT) | instid1(VALU_DEP_2)
	v_xor_b32_e32 v15, v21, v15
	v_cndmask_b32_e64 v30, -1, 0xffff8000, s7
	s_delay_alu instid0(VALU_DEP_1) | instskip(SKIP_1) | instid1(VALU_DEP_2)
	v_xor_b32_e32 v20, v30, v20
	v_mov_b64_e32 v[30:31], v[26:27]
	v_cmpx_gt_u16_e64 v15, v20
; %bb.41:
	v_mov_b64_e32 v[30:31], v[10:11]
	v_mov_b64_e32 v[10:11], v[26:27]
	v_dual_mov_b32 v33, v36 :: v_dual_mov_b32 v36, v5
; %bb.42:
	s_or_b32 exec_lo, exec_lo, s9
	v_add_f16_e32 v5, 0, v32
	v_add_f16_e32 v15, 0, v14
	v_mov_b64_e32 v[26:27], v[28:29]
	s_mov_b32 s9, exec_lo
	v_mov_b32_e32 v51, v14
	v_cmp_lt_i16_e64 s7, -1, v5
	s_delay_alu instid0(VALU_DEP_1) | instskip(SKIP_1) | instid1(VALU_DEP_2)
	v_cndmask_b32_e64 v20, -1, 0xffff8000, s7
	v_cmp_lt_i16_e64 s7, -1, v15
	v_xor_b32_e32 v5, v20, v5
	s_delay_alu instid0(VALU_DEP_2) | instskip(NEXT) | instid1(VALU_DEP_1)
	v_cndmask_b32_e64 v21, -1, 0xffff8000, s7
	v_xor_b32_e32 v15, v21, v15
	s_delay_alu instid0(VALU_DEP_1)
	v_cmpx_gt_u16_e64 v5, v15
; %bb.43:
	v_mov_b64_e32 v[26:27], v[22:23]
	v_mov_b64_e32 v[22:23], v[28:29]
	v_dual_mov_b32 v51, v32 :: v_dual_mov_b32 v32, v14
; %bb.44:
	s_or_b32 exec_lo, exec_lo, s9
	v_add_f16_e32 v5, 0, v49
	v_add_f16_e32 v14, 0, v48
	s_mov_b32 s9, exec_lo
	v_mov_b32_e32 v50, v49
	s_delay_alu instid0(VALU_DEP_3) | instskip(NEXT) | instid1(VALU_DEP_1)
	v_cmp_lt_i16_e64 s7, -1, v5
	v_cndmask_b32_e64 v15, -1, 0xffff8000, s7
	v_cmp_lt_i16_e64 s7, -1, v14
	s_delay_alu instid0(VALU_DEP_2) | instskip(NEXT) | instid1(VALU_DEP_2)
	v_xor_b32_e32 v5, v15, v5
	v_cndmask_b32_e64 v20, -1, 0xffff8000, s7
	s_delay_alu instid0(VALU_DEP_1) | instskip(SKIP_1) | instid1(VALU_DEP_2)
	v_xor_b32_e32 v14, v20, v14
	v_mov_b64_e32 v[20:21], v[16:17]
	v_cmpx_gt_u16_e64 v5, v14
; %bb.45:
	v_mov_b64_e32 v[20:21], v[24:25]
	v_mov_b64_e32 v[24:25], v[16:17]
	v_dual_mov_b32 v50, v48 :: v_dual_mov_b32 v48, v49
; %bb.46:
	s_or_b32 exec_lo, exec_lo, s9
	v_add_f16_e32 v5, 0, v39
	v_add_f16_e32 v14, 0, v37
	s_mov_b32 s9, exec_lo
	v_mov_b32_e32 v38, v39
	s_delay_alu instid0(VALU_DEP_3) | instskip(NEXT) | instid1(VALU_DEP_1)
	v_cmp_lt_i16_e64 s7, -1, v5
	v_cndmask_b32_e64 v15, -1, 0xffff8000, s7
	v_cmp_lt_i16_e64 s7, -1, v14
	s_delay_alu instid0(VALU_DEP_2) | instskip(NEXT) | instid1(VALU_DEP_2)
	v_xor_b32_e32 v5, v15, v5
	v_cndmask_b32_e64 v16, -1, 0xffff8000, s7
	s_delay_alu instid0(VALU_DEP_1) | instskip(SKIP_1) | instid1(VALU_DEP_2)
	v_xor_b32_e32 v16, v16, v14
	v_mov_b64_e32 v[14:15], v[12:13]
	v_cmpx_gt_u16_e64 v5, v16
; %bb.47:
	v_mov_b64_e32 v[14:15], v[18:19]
	v_mov_b64_e32 v[18:19], v[12:13]
	v_dual_mov_b32 v38, v37 :: v_dual_mov_b32 v37, v39
; %bb.48:
	s_or_b32 exec_lo, exec_lo, s9
	v_add_f16_e32 v5, 0, v33
	v_add_f16_e32 v12, 0, v32
	v_mov_b64_e32 v[28:29], v[22:23]
	s_mov_b32 s9, exec_lo
	s_delay_alu instid0(VALU_DEP_3) | instskip(NEXT) | instid1(VALU_DEP_1)
	v_cmp_lt_i16_e64 s7, -1, v5
	v_cndmask_b32_e64 v13, -1, 0xffff8000, s7
	v_cmp_lt_i16_e64 s7, -1, v12
	s_delay_alu instid0(VALU_DEP_2) | instskip(NEXT) | instid1(VALU_DEP_2)
	v_dual_mov_b32 v5, v32 :: v_dual_bitop2_b32 v13, v13, v5 bitop3:0x14
	v_cndmask_b32_e64 v16, -1, 0xffff8000, s7
	s_delay_alu instid0(VALU_DEP_1) | instskip(NEXT) | instid1(VALU_DEP_1)
	v_xor_b32_e32 v12, v16, v12
	v_cmpx_gt_u16_e64 v13, v12
; %bb.49:
	v_mov_b64_e32 v[28:29], v[30:31]
	v_mov_b64_e32 v[30:31], v[22:23]
	v_dual_mov_b32 v5, v33 :: v_dual_mov_b32 v33, v32
; %bb.50:
	s_or_b32 exec_lo, exec_lo, s9
	v_add_f16_e32 v12, 0, v51
	v_add_f16_e32 v13, 0, v50
	s_mov_b32 s9, exec_lo
	v_mov_b32_e32 v22, v51
	s_delay_alu instid0(VALU_DEP_3) | instskip(NEXT) | instid1(VALU_DEP_1)
	v_cmp_lt_i16_e64 s7, -1, v12
	v_cndmask_b32_e64 v16, -1, 0xffff8000, s7
	v_cmp_lt_i16_e64 s7, -1, v13
	s_delay_alu instid0(VALU_DEP_2) | instskip(NEXT) | instid1(VALU_DEP_2)
	v_xor_b32_e32 v12, v16, v12
	v_cndmask_b32_e64 v17, -1, 0xffff8000, s7
	s_delay_alu instid0(VALU_DEP_1) | instskip(SKIP_1) | instid1(VALU_DEP_2)
	v_xor_b32_e32 v13, v17, v13
	v_mov_b64_e32 v[16:17], v[24:25]
	v_cmpx_gt_u16_e64 v12, v13
; %bb.51:
	v_mov_b64_e32 v[16:17], v[26:27]
	v_mov_b64_e32 v[26:27], v[24:25]
	v_dual_mov_b32 v22, v50 :: v_dual_mov_b32 v50, v51
; %bb.52:
	s_or_b32 exec_lo, exec_lo, s9
	v_add_f16_e32 v12, 0, v48
	v_add_f16_e32 v13, 0, v38
	s_mov_b32 s9, exec_lo
	v_mov_b32_e32 v39, v48
	s_delay_alu instid0(VALU_DEP_3) | instskip(NEXT) | instid1(VALU_DEP_1)
	v_cmp_lt_i16_e64 s7, -1, v12
	v_cndmask_b32_e64 v23, -1, 0xffff8000, s7
	v_cmp_lt_i16_e64 s7, -1, v13
	s_delay_alu instid0(VALU_DEP_2) | instskip(NEXT) | instid1(VALU_DEP_2)
	v_xor_b32_e32 v23, v23, v12
	v_cndmask_b32_e64 v24, -1, 0xffff8000, s7
	s_delay_alu instid0(VALU_DEP_1) | instskip(SKIP_1) | instid1(VALU_DEP_2)
	v_xor_b32_e32 v24, v24, v13
	v_mov_b64_e32 v[12:13], v[18:19]
	;; [unrolled: 21-line block ×6, first 2 shown]
	v_cmpx_gt_u16_e64 v20, v21
; %bb.61:
	v_mov_b64_e32 v[18:19], v[12:13]
	v_mov_b64_e32 v[12:13], v[14:15]
	v_dual_mov_b32 v50, v37 :: v_dual_mov_b32 v37, v38
; %bb.62:
	s_or_b32 exec_lo, exec_lo, s9
	v_add_f16_e32 v14, 0, v48
	v_add_f16_e32 v15, 0, v5
	v_mov_b64_e32 v[32:33], v[28:29]
	s_mov_b32 s9, exec_lo
	v_mov_b32_e32 v49, v5
	v_cmp_lt_i16_e64 s7, -1, v14
	s_delay_alu instid0(VALU_DEP_1) | instskip(SKIP_1) | instid1(VALU_DEP_2)
	v_cndmask_b32_e64 v20, -1, 0xffff8000, s7
	v_cmp_lt_i16_e64 s7, -1, v15
	v_xor_b32_e32 v14, v20, v14
	s_delay_alu instid0(VALU_DEP_2) | instskip(NEXT) | instid1(VALU_DEP_1)
	v_cndmask_b32_e64 v21, -1, 0xffff8000, s7
	v_xor_b32_e32 v15, v21, v15
	s_delay_alu instid0(VALU_DEP_1)
	v_cmpx_gt_u16_e64 v14, v15
; %bb.63:
	v_mov_b64_e32 v[32:33], v[24:25]
	v_mov_b64_e32 v[24:25], v[28:29]
	v_dual_mov_b32 v49, v48 :: v_dual_mov_b32 v48, v5
; %bb.64:
	s_or_b32 exec_lo, exec_lo, s9
	v_add_f16_e32 v5, 0, v52
	v_add_f16_e32 v14, 0, v51
	v_mov_b64_e32 v[26:27], v[16:17]
	s_mov_b32 s9, exec_lo
	s_delay_alu instid0(VALU_DEP_3) | instskip(NEXT) | instid1(VALU_DEP_1)
	v_cmp_lt_i16_e64 s7, -1, v5
	v_cndmask_b32_e64 v15, -1, 0xffff8000, s7
	v_cmp_lt_i16_e64 s7, -1, v14
	s_delay_alu instid0(VALU_DEP_2) | instskip(NEXT) | instid1(VALU_DEP_2)
	v_xor_b32_e32 v5, v15, v5
	v_cndmask_b32_e64 v20, -1, 0xffff8000, s7
	s_delay_alu instid0(VALU_DEP_1) | instskip(SKIP_1) | instid1(VALU_DEP_2)
	v_xor_b32_e32 v15, v20, v14
	v_mov_b32_e32 v14, v52
	v_cmpx_gt_u16_e64 v5, v15
; %bb.65:
	v_mov_b64_e32 v[26:27], v[30:31]
	v_mov_b64_e32 v[30:31], v[16:17]
	v_dual_mov_b32 v14, v51 :: v_dual_mov_b32 v51, v52
; %bb.66:
	s_or_b32 exec_lo, exec_lo, s9
	v_add_f16_e32 v5, 0, v39
	v_add_f16_e32 v15, 0, v50
	v_mov_b64_e32 v[20:21], v[12:13]
	s_mov_b32 s9, exec_lo
	v_mov_b32_e32 v38, v39
	v_cmp_lt_i16_e64 s7, -1, v5
	s_delay_alu instid0(VALU_DEP_1) | instskip(SKIP_1) | instid1(VALU_DEP_2)
	v_cndmask_b32_e64 v16, -1, 0xffff8000, s7
	v_cmp_lt_i16_e64 s7, -1, v15
	v_xor_b32_e32 v5, v16, v5
	s_delay_alu instid0(VALU_DEP_2) | instskip(NEXT) | instid1(VALU_DEP_1)
	v_cndmask_b32_e64 v17, -1, 0xffff8000, s7
	v_xor_b32_e32 v15, v17, v15
	s_delay_alu instid0(VALU_DEP_1)
	v_cmpx_gt_u16_e64 v5, v15
; %bb.67:
	v_mov_b64_e32 v[20:21], v[22:23]
	v_mov_b64_e32 v[22:23], v[12:13]
	v_dual_mov_b32 v38, v50 :: v_dual_mov_b32 v50, v39
; %bb.68:
	s_or_b32 exec_lo, exec_lo, s9
	v_add_f16_e32 v5, 0, v36
	v_add_f16_e32 v12, 0, v48
	v_mov_b32_e32 v39, v48
	s_delay_alu instid0(VALU_DEP_3) | instskip(NEXT) | instid1(VALU_DEP_1)
	v_cmp_lt_i16_e64 s7, -1, v5
	v_cndmask_b32_e64 v13, -1, 0xffff8000, s7
	s_delay_alu instid0(VALU_DEP_4) | instskip(NEXT) | instid1(VALU_DEP_2)
	v_cmp_lt_i16_e64 s7, -1, v12
	v_xor_b32_e32 v5, v13, v5
	s_delay_alu instid0(VALU_DEP_2) | instskip(NEXT) | instid1(VALU_DEP_1)
	v_cndmask_b32_e64 v15, -1, 0xffff8000, s7
	v_xor_b32_e32 v12, v15, v12
	s_delay_alu instid0(VALU_DEP_1)
	v_cmp_gt_u16_e64 s7, v5, v12
	v_mov_b64_e32 v[12:13], v[24:25]
	s_and_saveexec_b32 s9, s7
; %bb.69:
	v_mov_b64_e32 v[12:13], v[10:11]
	v_mov_b64_e32 v[10:11], v[24:25]
	v_dual_mov_b32 v39, v36 :: v_dual_mov_b32 v36, v48
; %bb.70:
	s_or_b32 exec_lo, exec_lo, s9
	v_add_f16_e32 v5, 0, v49
	v_add_f16_e32 v15, 0, v14
	s_delay_alu instid0(VALU_DEP_2) | instskip(NEXT) | instid1(VALU_DEP_1)
	v_cmp_lt_i16_e64 s7, -1, v5
	v_cndmask_b32_e64 v16, -1, 0xffff8000, s7
	s_delay_alu instid0(VALU_DEP_3) | instskip(NEXT) | instid1(VALU_DEP_2)
	v_cmp_lt_i16_e64 s7, -1, v15
	v_dual_mov_b32 v5, v14 :: v_dual_bitop2_b32 v16, v16, v5 bitop3:0x14
	s_delay_alu instid0(VALU_DEP_2) | instskip(NEXT) | instid1(VALU_DEP_1)
	v_cndmask_b32_e64 v17, -1, 0xffff8000, s7
	v_xor_b32_e32 v15, v17, v15
	s_delay_alu instid0(VALU_DEP_1)
	v_cmp_gt_u16_e64 s7, v16, v15
	v_mov_b64_e32 v[16:17], v[30:31]
	s_and_saveexec_b32 s9, s7
; %bb.71:
	v_mov_b64_e32 v[16:17], v[32:33]
	v_mov_b64_e32 v[32:33], v[30:31]
	v_dual_mov_b32 v5, v49 :: v_dual_mov_b32 v49, v14
; %bb.72:
	s_or_b32 exec_lo, exec_lo, s9
	v_add_f16_e32 v14, 0, v51
	v_add_f16_e32 v15, 0, v38
	v_mov_b64_e32 v[28:29], v[22:23]
	s_mov_b32 s9, exec_lo
	v_mov_b32_e32 v48, v51
	v_cmp_lt_i16_e64 s7, -1, v14
	s_delay_alu instid0(VALU_DEP_1) | instskip(SKIP_1) | instid1(VALU_DEP_2)
	v_cndmask_b32_e64 v24, -1, 0xffff8000, s7
	v_cmp_lt_i16_e64 s7, -1, v15
	v_xor_b32_e32 v14, v24, v14
	s_delay_alu instid0(VALU_DEP_2) | instskip(NEXT) | instid1(VALU_DEP_1)
	v_cndmask_b32_e64 v25, -1, 0xffff8000, s7
	v_xor_b32_e32 v15, v25, v15
	s_delay_alu instid0(VALU_DEP_1)
	v_cmpx_gt_u16_e64 v14, v15
; %bb.73:
	v_mov_b64_e32 v[28:29], v[26:27]
	v_mov_b64_e32 v[26:27], v[22:23]
	v_dual_mov_b32 v48, v38 :: v_dual_mov_b32 v38, v51
; %bb.74:
	s_or_b32 exec_lo, exec_lo, s9
	v_add_f16_e32 v14, 0, v50
	v_add_f16_e32 v15, 0, v37
	v_mov_b64_e32 v[24:25], v[18:19]
	s_mov_b32 s9, exec_lo
	v_mov_b32_e32 v31, v50
	v_cmp_lt_i16_e64 s7, -1, v14
	s_delay_alu instid0(VALU_DEP_1) | instskip(SKIP_1) | instid1(VALU_DEP_2)
	v_cndmask_b32_e64 v22, -1, 0xffff8000, s7
	v_cmp_lt_i16_e64 s7, -1, v15
	v_xor_b32_e32 v14, v22, v14
	s_delay_alu instid0(VALU_DEP_2) | instskip(NEXT) | instid1(VALU_DEP_1)
	v_cndmask_b32_e64 v23, -1, 0xffff8000, s7
	v_xor_b32_e32 v15, v23, v15
	s_delay_alu instid0(VALU_DEP_1)
	v_cmpx_gt_u16_e64 v14, v15
; %bb.75:
	v_mov_b64_e32 v[24:25], v[20:21]
	v_mov_b64_e32 v[20:21], v[18:19]
	v_dual_mov_b32 v31, v37 :: v_dual_mov_b32 v37, v50
; %bb.76:
	s_or_b32 exec_lo, exec_lo, s9
	v_add_f16_e32 v14, 0, v39
	v_add_f16_e32 v15, 0, v49
	v_mov_b32_e32 v30, v49
	s_delay_alu instid0(VALU_DEP_3) | instskip(NEXT) | instid1(VALU_DEP_1)
	v_cmp_lt_i16_e64 s7, -1, v14
	v_cndmask_b32_e64 v18, -1, 0xffff8000, s7
	s_delay_alu instid0(VALU_DEP_4) | instskip(NEXT) | instid1(VALU_DEP_2)
	v_cmp_lt_i16_e64 s7, -1, v15
	v_xor_b32_e32 v14, v18, v14
	s_delay_alu instid0(VALU_DEP_2) | instskip(NEXT) | instid1(VALU_DEP_1)
	v_cndmask_b32_e64 v19, -1, 0xffff8000, s7
	v_xor_b32_e32 v15, v19, v15
	s_delay_alu instid0(VALU_DEP_1)
	v_cmp_gt_u16_e64 s7, v14, v15
	v_mov_b64_e32 v[14:15], v[32:33]
	s_and_saveexec_b32 s9, s7
; %bb.77:
	v_mov_b64_e32 v[14:15], v[12:13]
	v_mov_b64_e32 v[12:13], v[32:33]
	v_dual_mov_b32 v30, v39 :: v_dual_mov_b32 v39, v49
; %bb.78:
	s_or_b32 exec_lo, exec_lo, s9
	v_add_f16_e32 v18, 0, v5
	v_add_f16_e32 v19, 0, v48
	v_mov_b32_e32 v33, v5
	s_delay_alu instid0(VALU_DEP_3) | instskip(NEXT) | instid1(VALU_DEP_1)
	v_cmp_lt_i16_e64 s7, -1, v18
	v_cndmask_b32_e64 v22, -1, 0xffff8000, s7
	s_delay_alu instid0(VALU_DEP_4) | instskip(NEXT) | instid1(VALU_DEP_2)
	v_cmp_lt_i16_e64 s7, -1, v19
	v_xor_b32_e32 v18, v22, v18
	s_delay_alu instid0(VALU_DEP_2) | instskip(NEXT) | instid1(VALU_DEP_1)
	v_cndmask_b32_e64 v23, -1, 0xffff8000, s7
	v_xor_b32_e32 v19, v23, v19
	s_delay_alu instid0(VALU_DEP_1)
	v_cmp_gt_u16_e64 s7, v18, v19
	v_mov_b64_e32 v[18:19], v[26:27]
	s_and_saveexec_b32 s9, s7
	;; [unrolled: 22-line block ×3, first 2 shown]
; %bb.81:
	v_mov_b64_e32 v[22:23], v[20:21]
	v_mov_b64_e32 v[20:21], v[28:29]
	v_dual_mov_b32 v32, v38 :: v_dual_mov_b32 v38, v31
; %bb.82:
	s_or_b32 exec_lo, exec_lo, s9
.LBB1842_83:
	s_delay_alu instid0(SALU_CYCLE_1) | instskip(SKIP_4) | instid1(VALU_DEP_3)
	s_or_b32 exec_lo, exec_lo, s8
	v_and_b32_e32 v1, 0xffffff00, v1
	v_or_b32_e32 v26, 8, v35
	v_and_b32_e32 v51, 0xf0, v35
	s_mov_b32 s8, exec_lo
	v_sub_nc_u32_e64 v28, 0x800, v1 clamp
	v_lshlrev_b32_e32 v5, 1, v1
	s_delay_alu instid0(VALU_DEP_2) | instskip(NEXT) | instid1(VALU_DEP_2)
	v_min_u32_e32 v29, v28, v26
	v_mad_u32 v1, v1, 6, v5
	v_lshl_or_b32 v26, v35, 1, v5
	s_delay_alu instid0(VALU_DEP_3)
	v_add_min_u32_e64 v31, v29, 8, v28
	v_and_b32_e32 v27, 8, v35
	v_sub_nc_u32_e32 v49, v29, v51
	s_wait_loadcnt_dscnt 0x0
	ds_store_b16 v26, v36
	v_sub_nc_u32_e32 v50, v31, v29
	v_min_u32_e32 v52, v28, v27
	v_lshl_add_u32 v27, v35, 3, v1
	ds_store_b64 v27, v[10:11] offset:4096
	ds_store_b16 v26, v39 offset:2
	ds_store_b64 v27, v[12:13] offset:4104
	ds_store_b16 v26, v30 offset:4
	;; [unrolled: 2-line block ×6, first 2 shown]
	ds_store_b64 v27, v[20:21] offset:4144
	v_min_u32_e32 v53, v52, v49
	v_sub_nc_u32_e64 v49, v52, v50 clamp
	v_lshl_or_b32 v50, v51, 1, v5
	ds_store_b16 v26, v37 offset:14
	ds_store_b64 v27, v[24:25] offset:4152
	; wave barrier
	v_cmpx_lt_u32_e64 v49, v53
	s_cbranch_execz .LBB1842_87
; %bb.84:
	v_dual_lshlrev_b32 v54, 1, v29 :: v_dual_lshlrev_b32 v55, 1, v52
	s_mov_b32 s9, 0
	s_delay_alu instid0(VALU_DEP_1)
	v_add3_u32 v54, v5, v54, v55
.LBB1842_85:                            ; =>This Inner Loop Header: Depth=1
	v_add_nc_u32_e32 v55, v53, v49
	s_delay_alu instid0(VALU_DEP_1) | instskip(NEXT) | instid1(VALU_DEP_1)
	v_dual_lshrrev_b32 v64, 1, v55 :: v_dual_bitop2_b32 v55, -2, v55 bitop3:0x40
	v_not_b32_e32 v65, v64
	s_delay_alu instid0(VALU_DEP_2) | instskip(NEXT) | instid1(VALU_DEP_2)
	v_add_nc_u32_e32 v55, v50, v55
	v_lshl_add_u32 v65, v65, 1, v54
	ds_load_u16 v55, v55
	ds_load_u16 v65, v65
	s_wait_dscnt 0x1
	v_add_f16_e32 v55, 0, v55
	s_wait_dscnt 0x0
	v_add_f16_e32 v65, 0, v65
	s_delay_alu instid0(VALU_DEP_2) | instskip(NEXT) | instid1(VALU_DEP_1)
	v_cmp_lt_i16_e64 s7, -1, v55
	v_cndmask_b32_e64 v66, -1, 0xffff8000, s7
	s_delay_alu instid0(VALU_DEP_3) | instskip(NEXT) | instid1(VALU_DEP_2)
	v_cmp_lt_i16_e64 s7, -1, v65
	v_xor_b32_e32 v55, v66, v55
	s_delay_alu instid0(VALU_DEP_2) | instskip(NEXT) | instid1(VALU_DEP_1)
	v_cndmask_b32_e64 v67, -1, 0xffff8000, s7
	v_dual_add_nc_u32 v66, 1, v64 :: v_dual_bitop2_b32 v65, v67, v65 bitop3:0x14
	s_delay_alu instid0(VALU_DEP_1) | instskip(NEXT) | instid1(VALU_DEP_1)
	v_cmp_gt_u16_e64 s7, v55, v65
	v_dual_cndmask_b32 v53, v53, v64, s7 :: v_dual_cndmask_b32 v49, v66, v49, s7
	s_delay_alu instid0(VALU_DEP_1) | instskip(SKIP_1) | instid1(SALU_CYCLE_1)
	v_cmp_ge_u32_e64 s7, v49, v53
	s_or_b32 s9, s7, s9
	s_and_not1_b32 exec_lo, exec_lo, s9
	s_cbranch_execnz .LBB1842_85
; %bb.86:
	s_or_b32 exec_lo, exec_lo, s9
.LBB1842_87:
	s_delay_alu instid0(SALU_CYCLE_1) | instskip(SKIP_1) | instid1(VALU_DEP_1)
	s_or_b32 exec_lo, exec_lo, s8
	v_add_nc_u32_e32 v52, v29, v52
	v_dual_add_nc_u32 v51, v49, v51 :: v_dual_sub_nc_u32 v52, v52, v49
	s_delay_alu instid0(VALU_DEP_1) | instskip(NEXT) | instid1(VALU_DEP_2)
	v_cmp_le_u32_e64 s7, v51, v29
	v_cmp_le_u32_e64 s8, v52, v31
	s_or_b32 s7, s7, s8
	s_delay_alu instid0(SALU_CYCLE_1)
	s_and_saveexec_b32 s9, s7
	s_cbranch_execz .LBB1842_123
; %bb.88:
	v_cmp_ge_u32_e64 s7, v51, v29
	s_mov_b32 s10, exec_lo
                                        ; implicit-def: $vgpr36
	v_cmpx_lt_u32_e64 v51, v29
; %bb.89:
	v_lshl_add_u32 v10, v49, 1, v50
	ds_load_u16 v36, v10
; %bb.90:
	s_or_b32 exec_lo, exec_lo, s10
	v_cmp_ge_u32_e64 s10, v52, v31
	s_mov_b32 s11, exec_lo
                                        ; implicit-def: $vgpr37
	v_cmpx_lt_u32_e64 v52, v31
; %bb.91:
	v_lshl_add_u32 v10, v52, 1, v5
	ds_load_u16 v37, v10
; %bb.92:
	s_or_b32 exec_lo, exec_lo, s11
	s_nor_b32 s7, s7, s10
	s_delay_alu instid0(SALU_CYCLE_1)
	s_and_saveexec_b32 s8, s7
	s_cbranch_execz .LBB1842_94
; %bb.93:
	s_wait_dscnt 0x0
	v_add_f16_e32 v10, 0, v36
	v_add_f16_e32 v11, 0, v37
	s_and_not1_b32 s10, s10, exec_lo
	s_delay_alu instid0(VALU_DEP_2) | instskip(NEXT) | instid1(VALU_DEP_1)
	v_cmp_lt_i16_e64 s7, -1, v10
	v_cndmask_b32_e64 v12, -1, 0xffff8000, s7
	s_delay_alu instid0(VALU_DEP_3) | instskip(NEXT) | instid1(VALU_DEP_2)
	v_cmp_lt_i16_e64 s7, -1, v11
	v_xor_b32_e32 v10, v12, v10
	s_delay_alu instid0(VALU_DEP_2) | instskip(NEXT) | instid1(VALU_DEP_1)
	v_cndmask_b32_e64 v13, -1, 0xffff8000, s7
	v_xor_b32_e32 v11, v13, v11
	s_delay_alu instid0(VALU_DEP_1) | instskip(SKIP_1) | instid1(SALU_CYCLE_1)
	v_cmp_le_u16_e64 s7, v10, v11
	s_and_b32 s7, s7, exec_lo
	s_or_b32 s10, s10, s7
.LBB1842_94:
	s_or_b32 exec_lo, exec_lo, s8
	v_dual_cndmask_b32 v10, v52, v51, s10 :: v_dual_cndmask_b32 v11, v31, v29, s10
	s_mov_b32 s11, -1
	s_mov_b32 s8, -1
	s_mov_b32 s12, exec_lo
	s_delay_alu instid0(VALU_DEP_1) | instskip(SKIP_1) | instid1(VALU_DEP_2)
	v_add_nc_u32_e32 v12, 1, v10
	v_lshl_add_u32 v10, v10, 3, v1
	v_add_min_u32_e64 v11, v11, -1, v12
	s_delay_alu instid0(VALU_DEP_1)
	v_lshl_add_u32 v11, v11, 1, v5
	ds_load_u16 v13, v11
	ds_load_b64 v[10:11], v10 offset:4096
	s_wait_dscnt 0x1
	v_dual_cndmask_b32 v39, v13, v37, s10 :: v_dual_cndmask_b32 v14, v12, v52, s10
	v_dual_cndmask_b32 v15, v51, v12, s10 :: v_dual_cndmask_b32 v49, v36, v13, s10
	s_delay_alu instid0(VALU_DEP_2)
	v_cmpx_lt_u32_e64 v14, v31
	s_cbranch_execz .LBB1842_98
; %bb.95:
	s_mov_b32 s13, 0
	s_mov_b32 s8, exec_lo
	v_cmpx_lt_u32_e64 v15, v29
	s_cbranch_execz .LBB1842_97
; %bb.96:
	v_add_f16_e32 v12, 0, v49
	v_add_f16_e32 v13, 0, v39
	s_delay_alu instid0(VALU_DEP_2) | instskip(NEXT) | instid1(VALU_DEP_1)
	v_cmp_lt_i16_e64 s7, -1, v12
	v_cndmask_b32_e64 v16, -1, 0xffff8000, s7
	s_delay_alu instid0(VALU_DEP_3) | instskip(NEXT) | instid1(VALU_DEP_2)
	v_cmp_lt_i16_e64 s7, -1, v13
	v_xor_b32_e32 v12, v16, v12
	s_delay_alu instid0(VALU_DEP_2) | instskip(NEXT) | instid1(VALU_DEP_1)
	v_cndmask_b32_e64 v17, -1, 0xffff8000, s7
	v_xor_b32_e32 v13, v17, v13
	s_delay_alu instid0(VALU_DEP_1)
	v_cmp_le_u16_e64 s7, v12, v13
	s_and_b32 s13, s7, exec_lo
.LBB1842_97:
	s_or_b32 exec_lo, exec_lo, s8
	s_delay_alu instid0(SALU_CYCLE_1)
	s_or_not1_b32 s8, s13, exec_lo
.LBB1842_98:
	s_or_b32 exec_lo, exec_lo, s12
	s_delay_alu instid0(VALU_DEP_2) | instskip(SKIP_1) | instid1(VALU_DEP_1)
	v_dual_cndmask_b32 v12, v14, v15, s8 :: v_dual_cndmask_b32 v13, v31, v29, s8
	s_mov_b32 s12, exec_lo
	v_add_nc_u32_e32 v17, 1, v12
	v_lshl_add_u32 v12, v12, 3, v1
	s_delay_alu instid0(VALU_DEP_2) | instskip(NEXT) | instid1(VALU_DEP_1)
	v_add_min_u32_e64 v13, v13, -1, v17
	v_lshl_add_u32 v13, v13, 1, v5
	ds_load_u16 v18, v13
	ds_load_b64 v[12:13], v12 offset:4096
	s_wait_dscnt 0x1
	v_dual_cndmask_b32 v30, v18, v39, s8 :: v_dual_cndmask_b32 v16, v17, v14, s8
	v_dual_cndmask_b32 v17, v15, v17, s8 :: v_dual_cndmask_b32 v50, v49, v18, s8
	s_delay_alu instid0(VALU_DEP_2)
	v_cmpx_lt_u32_e64 v16, v31
	s_cbranch_execz .LBB1842_102
; %bb.99:
	s_mov_b32 s13, 0
	s_mov_b32 s11, exec_lo
	v_cmpx_lt_u32_e64 v17, v29
	s_cbranch_execz .LBB1842_101
; %bb.100:
	v_add_f16_e32 v14, 0, v50
	v_add_f16_e32 v15, 0, v30
	s_delay_alu instid0(VALU_DEP_2) | instskip(NEXT) | instid1(VALU_DEP_1)
	v_cmp_lt_i16_e64 s7, -1, v14
	v_cndmask_b32_e64 v18, -1, 0xffff8000, s7
	s_delay_alu instid0(VALU_DEP_3) | instskip(NEXT) | instid1(VALU_DEP_2)
	v_cmp_lt_i16_e64 s7, -1, v15
	v_xor_b32_e32 v14, v18, v14
	s_delay_alu instid0(VALU_DEP_2) | instskip(NEXT) | instid1(VALU_DEP_1)
	v_cndmask_b32_e64 v19, -1, 0xffff8000, s7
	v_xor_b32_e32 v15, v19, v15
	s_delay_alu instid0(VALU_DEP_1)
	v_cmp_le_u16_e64 s7, v14, v15
	s_and_b32 s13, s7, exec_lo
.LBB1842_101:
	s_or_b32 exec_lo, exec_lo, s11
	s_delay_alu instid0(SALU_CYCLE_1)
	s_or_not1_b32 s11, s13, exec_lo
.LBB1842_102:
	s_or_b32 exec_lo, exec_lo, s12
	s_delay_alu instid0(VALU_DEP_2)
	v_cndmask_b32_e64 v14, v16, v17, s11
	v_cndmask_b32_e64 v15, v31, v29, s11
	s_mov_b32 s13, -1
	s_mov_b32 s12, -1
	s_mov_b32 s14, exec_lo
	v_add_nc_u32_e32 v19, 1, v14
	s_delay_alu instid0(VALU_DEP_1) | instskip(SKIP_2) | instid1(VALU_DEP_3)
	v_add_min_u32_e64 v15, v15, -1, v19
	v_cndmask_b32_e64 v18, v19, v16, s11
	v_lshl_add_u32 v14, v14, 3, v1
	v_lshl_add_u32 v15, v15, 1, v5
	ds_load_u16 v20, v15
	ds_load_b64 v[14:15], v14 offset:4096
	s_wait_dscnt 0x1
	v_dual_cndmask_b32 v19, v17, v19, s11 :: v_dual_cndmask_b32 v33, v20, v30, s11
	v_cndmask_b32_e64 v51, v50, v20, s11
	v_cmpx_lt_u32_e64 v18, v31
	s_cbranch_execz .LBB1842_106
; %bb.103:
	s_mov_b32 s15, 0
	s_mov_b32 s12, exec_lo
	v_cmpx_lt_u32_e64 v19, v29
	s_cbranch_execz .LBB1842_105
; %bb.104:
	v_add_f16_e32 v16, 0, v51
	v_add_f16_e32 v17, 0, v33
	s_delay_alu instid0(VALU_DEP_2) | instskip(NEXT) | instid1(VALU_DEP_1)
	v_cmp_lt_i16_e64 s7, -1, v16
	v_cndmask_b32_e64 v20, -1, 0xffff8000, s7
	s_delay_alu instid0(VALU_DEP_3) | instskip(NEXT) | instid1(VALU_DEP_2)
	v_cmp_lt_i16_e64 s7, -1, v17
	v_xor_b32_e32 v16, v20, v16
	s_delay_alu instid0(VALU_DEP_2) | instskip(NEXT) | instid1(VALU_DEP_1)
	v_cndmask_b32_e64 v21, -1, 0xffff8000, s7
	v_xor_b32_e32 v17, v21, v17
	s_delay_alu instid0(VALU_DEP_1)
	v_cmp_le_u16_e64 s7, v16, v17
	s_and_b32 s15, s7, exec_lo
.LBB1842_105:
	s_or_b32 exec_lo, exec_lo, s12
	s_delay_alu instid0(SALU_CYCLE_1)
	s_or_not1_b32 s12, s15, exec_lo
.LBB1842_106:
	s_or_b32 exec_lo, exec_lo, s14
	v_dual_cndmask_b32 v16, v18, v19, s12 :: v_dual_cndmask_b32 v17, v31, v29, s12
	s_mov_b32 s14, exec_lo
	s_delay_alu instid0(VALU_DEP_1) | instskip(SKIP_1) | instid1(VALU_DEP_2)
	v_add_nc_u32_e32 v21, 1, v16
	v_lshl_add_u32 v16, v16, 3, v1
	v_add_min_u32_e64 v17, v17, -1, v21
	s_delay_alu instid0(VALU_DEP_1)
	v_lshl_add_u32 v17, v17, 1, v5
	ds_load_u16 v22, v17
	ds_load_b64 v[16:17], v16 offset:4096
	s_wait_dscnt 0x1
	v_dual_cndmask_b32 v48, v22, v33, s12 :: v_dual_cndmask_b32 v20, v21, v18, s12
	v_cndmask_b32_e64 v21, v19, v21, s12
	v_cndmask_b32_e64 v52, v51, v22, s12
	s_delay_alu instid0(VALU_DEP_3)
	v_cmpx_lt_u32_e64 v20, v31
	s_cbranch_execz .LBB1842_110
; %bb.107:
	s_mov_b32 s15, 0
	s_mov_b32 s13, exec_lo
	v_cmpx_lt_u32_e64 v21, v29
	s_cbranch_execz .LBB1842_109
; %bb.108:
	v_add_f16_e32 v18, 0, v52
	v_add_f16_e32 v19, 0, v48
	s_delay_alu instid0(VALU_DEP_2) | instskip(NEXT) | instid1(VALU_DEP_1)
	v_cmp_lt_i16_e64 s7, -1, v18
	v_cndmask_b32_e64 v22, -1, 0xffff8000, s7
	s_delay_alu instid0(VALU_DEP_3) | instskip(NEXT) | instid1(VALU_DEP_2)
	v_cmp_lt_i16_e64 s7, -1, v19
	v_xor_b32_e32 v18, v22, v18
	s_delay_alu instid0(VALU_DEP_2) | instskip(NEXT) | instid1(VALU_DEP_1)
	v_cndmask_b32_e64 v23, -1, 0xffff8000, s7
	v_xor_b32_e32 v19, v23, v19
	s_delay_alu instid0(VALU_DEP_1)
	v_cmp_le_u16_e64 s7, v18, v19
	s_and_b32 s15, s7, exec_lo
.LBB1842_109:
	s_or_b32 exec_lo, exec_lo, s13
	s_delay_alu instid0(SALU_CYCLE_1)
	s_or_not1_b32 s13, s15, exec_lo
.LBB1842_110:
	s_or_b32 exec_lo, exec_lo, s14
	v_cndmask_b32_e64 v18, v20, v21, s13
	v_cndmask_b32_e64 v19, v31, v29, s13
	s_mov_b32 s15, -1
	s_mov_b32 s14, -1
	s_mov_b32 s16, exec_lo
	v_add_nc_u32_e32 v22, 1, v18
	s_delay_alu instid0(VALU_DEP_1) | instskip(SKIP_2) | instid1(VALU_DEP_3)
	v_add_min_u32_e64 v19, v19, -1, v22
	v_cndmask_b32_e64 v20, v22, v20, s13
	v_lshl_add_u32 v18, v18, 3, v1
	v_lshl_add_u32 v19, v19, 1, v5
	ds_load_u16 v23, v19
	ds_load_b64 v[18:19], v18 offset:4096
	s_wait_dscnt 0x1
	v_dual_cndmask_b32 v21, v21, v22, s13 :: v_dual_cndmask_b32 v38, v23, v48, s13
	v_cndmask_b32_e64 v53, v52, v23, s13
	v_cmpx_lt_u32_e64 v20, v31
	s_cbranch_execz .LBB1842_114
; %bb.111:
	s_mov_b32 s17, 0
	s_mov_b32 s14, exec_lo
	v_cmpx_lt_u32_e64 v21, v29
	s_cbranch_execz .LBB1842_113
; %bb.112:
	v_add_f16_e32 v22, 0, v53
	v_add_f16_e32 v23, 0, v38
	s_delay_alu instid0(VALU_DEP_2) | instskip(NEXT) | instid1(VALU_DEP_1)
	v_cmp_lt_i16_e64 s7, -1, v22
	v_cndmask_b32_e64 v24, -1, 0xffff8000, s7
	s_delay_alu instid0(VALU_DEP_3) | instskip(NEXT) | instid1(VALU_DEP_2)
	v_cmp_lt_i16_e64 s7, -1, v23
	v_xor_b32_e32 v22, v24, v22
	s_delay_alu instid0(VALU_DEP_2) | instskip(NEXT) | instid1(VALU_DEP_1)
	v_cndmask_b32_e64 v25, -1, 0xffff8000, s7
	v_xor_b32_e32 v23, v25, v23
	s_delay_alu instid0(VALU_DEP_1)
	v_cmp_le_u16_e64 s7, v22, v23
	s_and_b32 s17, s7, exec_lo
.LBB1842_113:
	s_or_b32 exec_lo, exec_lo, s14
	s_delay_alu instid0(SALU_CYCLE_1)
	s_or_not1_b32 s14, s17, exec_lo
.LBB1842_114:
	s_or_b32 exec_lo, exec_lo, s16
	v_cndmask_b32_e64 v22, v20, v21, s14
	v_cndmask_b32_e64 v23, v31, v29, s14
	s_mov_b32 s16, exec_lo
	s_delay_alu instid0(VALU_DEP_2) | instskip(NEXT) | instid1(VALU_DEP_1)
	v_add_nc_u32_e32 v25, 1, v22
	v_add_min_u32_e64 v23, v23, -1, v25
	v_cndmask_b32_e64 v24, v25, v20, s14
	v_lshl_add_u32 v22, v22, 3, v1
	s_delay_alu instid0(VALU_DEP_3)
	v_lshl_add_u32 v23, v23, 1, v5
	ds_load_u16 v54, v23
	ds_load_b64 v[22:23], v22 offset:4096
	s_wait_dscnt 0x1
	v_dual_cndmask_b32 v25, v21, v25, s14 :: v_dual_cndmask_b32 v32, v54, v38, s14
	v_cndmask_b32_e64 v54, v53, v54, s14
	v_cmpx_lt_u32_e64 v24, v31
	s_cbranch_execz .LBB1842_118
; %bb.115:
	s_mov_b32 s17, 0
	s_mov_b32 s15, exec_lo
	v_cmpx_lt_u32_e64 v25, v29
	s_cbranch_execz .LBB1842_117
; %bb.116:
	v_add_f16_e32 v20, 0, v54
	v_add_f16_e32 v21, 0, v32
	s_delay_alu instid0(VALU_DEP_2) | instskip(NEXT) | instid1(VALU_DEP_1)
	v_cmp_lt_i16_e64 s7, -1, v20
	v_cndmask_b32_e64 v55, -1, 0xffff8000, s7
	s_delay_alu instid0(VALU_DEP_3) | instskip(NEXT) | instid1(VALU_DEP_2)
	v_cmp_lt_i16_e64 s7, -1, v21
	v_xor_b32_e32 v20, v55, v20
	s_delay_alu instid0(VALU_DEP_2) | instskip(NEXT) | instid1(VALU_DEP_1)
	v_cndmask_b32_e64 v64, -1, 0xffff8000, s7
	v_xor_b32_e32 v21, v64, v21
	s_delay_alu instid0(VALU_DEP_1)
	v_cmp_le_u16_e64 s7, v20, v21
	s_and_b32 s17, s7, exec_lo
.LBB1842_117:
	s_or_b32 exec_lo, exec_lo, s15
	s_delay_alu instid0(SALU_CYCLE_1)
	s_or_not1_b32 s15, s17, exec_lo
.LBB1842_118:
	s_or_b32 exec_lo, exec_lo, s16
	v_cndmask_b32_e64 v20, v24, v25, s15
	v_cndmask_b32_e64 v21, v31, v29, s15
	s_mov_b32 s17, -1
	s_mov_b32 s16, exec_lo
	s_delay_alu instid0(VALU_DEP_2) | instskip(NEXT) | instid1(VALU_DEP_1)
	v_add_nc_u32_e32 v55, 1, v20
	v_add_min_u32_e64 v21, v21, -1, v55
	v_cndmask_b32_e64 v24, v55, v24, s15
	v_lshl_add_u32 v20, v20, 3, v1
	s_delay_alu instid0(VALU_DEP_3)
	v_lshl_add_u32 v21, v21, 1, v5
	ds_load_u16 v64, v21
	ds_load_b64 v[20:21], v20 offset:4096
	s_wait_dscnt 0x1
	v_dual_cndmask_b32 v25, v25, v55, s15 :: v_dual_cndmask_b32 v55, v64, v32, s15
	v_cndmask_b32_e64 v64, v54, v64, s15
	v_cmpx_lt_u32_e64 v24, v31
	s_cbranch_execz .LBB1842_122
; %bb.119:
	s_mov_b32 s18, 0
	s_mov_b32 s17, exec_lo
	v_cmpx_lt_u32_e64 v25, v29
	s_cbranch_execz .LBB1842_121
; %bb.120:
	v_add_f16_e32 v29, 0, v64
	v_add_f16_e32 v31, 0, v55
	s_delay_alu instid0(VALU_DEP_2) | instskip(NEXT) | instid1(VALU_DEP_1)
	v_cmp_lt_i16_e64 s7, -1, v29
	v_cndmask_b32_e64 v65, -1, 0xffff8000, s7
	s_delay_alu instid0(VALU_DEP_3) | instskip(NEXT) | instid1(VALU_DEP_2)
	v_cmp_lt_i16_e64 s7, -1, v31
	v_xor_b32_e32 v29, v65, v29
	s_delay_alu instid0(VALU_DEP_2) | instskip(NEXT) | instid1(VALU_DEP_1)
	v_cndmask_b32_e64 v66, -1, 0xffff8000, s7
	v_xor_b32_e32 v31, v66, v31
	s_delay_alu instid0(VALU_DEP_1)
	v_cmp_le_u16_e64 s7, v29, v31
	s_and_b32 s18, s7, exec_lo
.LBB1842_121:
	s_or_b32 exec_lo, exec_lo, s17
	s_delay_alu instid0(SALU_CYCLE_1)
	s_or_not1_b32 s17, s18, exec_lo
.LBB1842_122:
	s_or_b32 exec_lo, exec_lo, s16
	v_dual_cndmask_b32 v24, v24, v25, s17 :: v_dual_cndmask_b32 v33, v33, v51, s12
	v_dual_cndmask_b32 v32, v32, v54, s15 :: v_dual_cndmask_b32 v38, v38, v53, s14
	;; [unrolled: 1-line block ×3, first 2 shown]
	s_delay_alu instid0(VALU_DEP_3)
	v_lshl_add_u32 v24, v24, 3, v1
	v_dual_cndmask_b32 v39, v39, v49, s8 :: v_dual_cndmask_b32 v36, v37, v36, s10
	v_cndmask_b32_e64 v37, v55, v64, s17
	ds_load_b64 v[24:25], v24 offset:4096
.LBB1842_123:
	s_or_b32 exec_lo, exec_lo, s9
	v_and_b32_e32 v51, 0xe0, v35
	v_and_b32_e32 v49, 24, v35
	s_mov_b32 s8, exec_lo
	; wave barrier
	s_delay_alu instid0(VALU_DEP_2) | instskip(NEXT) | instid1(VALU_DEP_2)
	v_or_b32_e32 v29, 16, v51
	v_min_u32_e32 v52, v28, v49
	ds_store_b16 v26, v36
	ds_store_b64 v27, v[10:11] offset:4096
	ds_store_b16 v26, v39 offset:2
	ds_store_b64 v27, v[12:13] offset:4104
	ds_store_b16 v26, v30 offset:4
	;; [unrolled: 2-line block ×3, first 2 shown]
	ds_store_b64 v27, v[16:17] offset:4120
	v_min_u32_e32 v29, v28, v29
	ds_store_b16 v26, v48 offset:8
	ds_store_b64 v27, v[18:19] offset:4128
	ds_store_b16 v26, v38 offset:10
	ds_store_b64 v27, v[22:23] offset:4136
	ds_store_b16 v26, v32 offset:12
	s_wait_dscnt 0xe
	ds_store_b64 v27, v[20:21] offset:4144
	ds_store_b16 v26, v37 offset:14
	s_wait_dscnt 0xf
	ds_store_b64 v27, v[24:25] offset:4152
	v_add_min_u32_e64 v31, v29, 16, v28
	; wave barrier
	s_delay_alu instid0(VALU_DEP_1) | instskip(NEXT) | instid1(VALU_DEP_1)
	v_dual_sub_nc_u32 v50, v29, v51 :: v_dual_sub_nc_u32 v49, v31, v29
	v_min_u32_e32 v53, v52, v50
	v_lshl_add_u32 v50, v51, 1, v5
	s_delay_alu instid0(VALU_DEP_3) | instskip(NEXT) | instid1(VALU_DEP_1)
	v_sub_nc_u32_e64 v49, v52, v49 clamp
	v_cmpx_lt_u32_e64 v49, v53
	s_cbranch_execz .LBB1842_127
; %bb.124:
	v_dual_lshlrev_b32 v54, 1, v29 :: v_dual_lshlrev_b32 v55, 1, v52
	s_mov_b32 s9, 0
	s_delay_alu instid0(VALU_DEP_1)
	v_add3_u32 v54, v5, v54, v55
.LBB1842_125:                           ; =>This Inner Loop Header: Depth=1
	v_add_nc_u32_e32 v55, v53, v49
	s_delay_alu instid0(VALU_DEP_1) | instskip(NEXT) | instid1(VALU_DEP_1)
	v_dual_lshrrev_b32 v64, 1, v55 :: v_dual_bitop2_b32 v55, -2, v55 bitop3:0x40
	v_not_b32_e32 v65, v64
	s_delay_alu instid0(VALU_DEP_2) | instskip(NEXT) | instid1(VALU_DEP_2)
	v_add_nc_u32_e32 v55, v50, v55
	v_lshl_add_u32 v65, v65, 1, v54
	ds_load_u16 v55, v55
	ds_load_u16 v65, v65
	s_wait_dscnt 0x1
	v_add_f16_e32 v55, 0, v55
	s_wait_dscnt 0x0
	v_add_f16_e32 v65, 0, v65
	s_delay_alu instid0(VALU_DEP_2) | instskip(NEXT) | instid1(VALU_DEP_1)
	v_cmp_lt_i16_e64 s7, -1, v55
	v_cndmask_b32_e64 v66, -1, 0xffff8000, s7
	s_delay_alu instid0(VALU_DEP_3) | instskip(NEXT) | instid1(VALU_DEP_2)
	v_cmp_lt_i16_e64 s7, -1, v65
	v_xor_b32_e32 v55, v66, v55
	s_delay_alu instid0(VALU_DEP_2) | instskip(NEXT) | instid1(VALU_DEP_1)
	v_cndmask_b32_e64 v67, -1, 0xffff8000, s7
	v_dual_add_nc_u32 v66, 1, v64 :: v_dual_bitop2_b32 v65, v67, v65 bitop3:0x14
	s_delay_alu instid0(VALU_DEP_1) | instskip(NEXT) | instid1(VALU_DEP_1)
	v_cmp_gt_u16_e64 s7, v55, v65
	v_dual_cndmask_b32 v53, v53, v64, s7 :: v_dual_cndmask_b32 v49, v66, v49, s7
	s_delay_alu instid0(VALU_DEP_1) | instskip(SKIP_1) | instid1(SALU_CYCLE_1)
	v_cmp_ge_u32_e64 s7, v49, v53
	s_or_b32 s9, s7, s9
	s_and_not1_b32 exec_lo, exec_lo, s9
	s_cbranch_execnz .LBB1842_125
; %bb.126:
	s_or_b32 exec_lo, exec_lo, s9
.LBB1842_127:
	s_delay_alu instid0(SALU_CYCLE_1) | instskip(SKIP_1) | instid1(VALU_DEP_1)
	s_or_b32 exec_lo, exec_lo, s8
	v_add_nc_u32_e32 v52, v29, v52
	v_dual_add_nc_u32 v51, v49, v51 :: v_dual_sub_nc_u32 v52, v52, v49
	s_delay_alu instid0(VALU_DEP_1) | instskip(NEXT) | instid1(VALU_DEP_2)
	v_cmp_le_u32_e64 s7, v51, v29
	v_cmp_le_u32_e64 s8, v52, v31
	s_or_b32 s7, s7, s8
	s_delay_alu instid0(SALU_CYCLE_1)
	s_and_saveexec_b32 s9, s7
	s_cbranch_execz .LBB1842_163
; %bb.128:
	v_cmp_ge_u32_e64 s7, v51, v29
	s_mov_b32 s10, exec_lo
                                        ; implicit-def: $vgpr36
	v_cmpx_lt_u32_e64 v51, v29
; %bb.129:
	v_lshl_add_u32 v10, v49, 1, v50
	ds_load_u16 v36, v10
; %bb.130:
	s_or_b32 exec_lo, exec_lo, s10
	v_cmp_ge_u32_e64 s10, v52, v31
	s_mov_b32 s11, exec_lo
                                        ; implicit-def: $vgpr37
	v_cmpx_lt_u32_e64 v52, v31
; %bb.131:
	v_lshl_add_u32 v10, v52, 1, v5
	ds_load_u16 v37, v10
; %bb.132:
	s_or_b32 exec_lo, exec_lo, s11
	s_nor_b32 s7, s7, s10
	s_delay_alu instid0(SALU_CYCLE_1)
	s_and_saveexec_b32 s8, s7
	s_cbranch_execz .LBB1842_134
; %bb.133:
	s_wait_dscnt 0x0
	v_add_f16_e32 v10, 0, v36
	v_add_f16_e32 v11, 0, v37
	s_and_not1_b32 s10, s10, exec_lo
	s_delay_alu instid0(VALU_DEP_2) | instskip(NEXT) | instid1(VALU_DEP_1)
	v_cmp_lt_i16_e64 s7, -1, v10
	v_cndmask_b32_e64 v12, -1, 0xffff8000, s7
	s_delay_alu instid0(VALU_DEP_3) | instskip(NEXT) | instid1(VALU_DEP_2)
	v_cmp_lt_i16_e64 s7, -1, v11
	v_xor_b32_e32 v10, v12, v10
	s_delay_alu instid0(VALU_DEP_2) | instskip(NEXT) | instid1(VALU_DEP_1)
	v_cndmask_b32_e64 v13, -1, 0xffff8000, s7
	v_xor_b32_e32 v11, v13, v11
	s_delay_alu instid0(VALU_DEP_1) | instskip(SKIP_1) | instid1(SALU_CYCLE_1)
	v_cmp_le_u16_e64 s7, v10, v11
	s_and_b32 s7, s7, exec_lo
	s_or_b32 s10, s10, s7
.LBB1842_134:
	s_or_b32 exec_lo, exec_lo, s8
	v_dual_cndmask_b32 v10, v52, v51, s10 :: v_dual_cndmask_b32 v11, v31, v29, s10
	s_mov_b32 s11, -1
	s_mov_b32 s8, -1
	s_mov_b32 s12, exec_lo
	s_delay_alu instid0(VALU_DEP_1) | instskip(SKIP_1) | instid1(VALU_DEP_2)
	v_add_nc_u32_e32 v12, 1, v10
	v_lshl_add_u32 v10, v10, 3, v1
	v_add_min_u32_e64 v11, v11, -1, v12
	s_delay_alu instid0(VALU_DEP_1)
	v_lshl_add_u32 v11, v11, 1, v5
	ds_load_u16 v13, v11
	ds_load_b64 v[10:11], v10 offset:4096
	s_wait_dscnt 0x1
	v_dual_cndmask_b32 v39, v13, v37, s10 :: v_dual_cndmask_b32 v14, v12, v52, s10
	v_dual_cndmask_b32 v15, v51, v12, s10 :: v_dual_cndmask_b32 v49, v36, v13, s10
	s_delay_alu instid0(VALU_DEP_2)
	v_cmpx_lt_u32_e64 v14, v31
	s_cbranch_execz .LBB1842_138
; %bb.135:
	s_mov_b32 s13, 0
	s_mov_b32 s8, exec_lo
	v_cmpx_lt_u32_e64 v15, v29
	s_cbranch_execz .LBB1842_137
; %bb.136:
	v_add_f16_e32 v12, 0, v49
	v_add_f16_e32 v13, 0, v39
	s_delay_alu instid0(VALU_DEP_2) | instskip(NEXT) | instid1(VALU_DEP_1)
	v_cmp_lt_i16_e64 s7, -1, v12
	v_cndmask_b32_e64 v16, -1, 0xffff8000, s7
	s_delay_alu instid0(VALU_DEP_3) | instskip(NEXT) | instid1(VALU_DEP_2)
	v_cmp_lt_i16_e64 s7, -1, v13
	v_xor_b32_e32 v12, v16, v12
	s_delay_alu instid0(VALU_DEP_2) | instskip(NEXT) | instid1(VALU_DEP_1)
	v_cndmask_b32_e64 v17, -1, 0xffff8000, s7
	v_xor_b32_e32 v13, v17, v13
	s_delay_alu instid0(VALU_DEP_1)
	v_cmp_le_u16_e64 s7, v12, v13
	s_and_b32 s13, s7, exec_lo
.LBB1842_137:
	s_or_b32 exec_lo, exec_lo, s8
	s_delay_alu instid0(SALU_CYCLE_1)
	s_or_not1_b32 s8, s13, exec_lo
.LBB1842_138:
	s_or_b32 exec_lo, exec_lo, s12
	s_delay_alu instid0(VALU_DEP_2) | instskip(SKIP_1) | instid1(VALU_DEP_1)
	v_dual_cndmask_b32 v12, v14, v15, s8 :: v_dual_cndmask_b32 v13, v31, v29, s8
	s_mov_b32 s12, exec_lo
	v_add_nc_u32_e32 v17, 1, v12
	v_lshl_add_u32 v12, v12, 3, v1
	s_delay_alu instid0(VALU_DEP_2) | instskip(NEXT) | instid1(VALU_DEP_1)
	v_add_min_u32_e64 v13, v13, -1, v17
	v_lshl_add_u32 v13, v13, 1, v5
	ds_load_u16 v18, v13
	ds_load_b64 v[12:13], v12 offset:4096
	s_wait_dscnt 0x1
	v_dual_cndmask_b32 v30, v18, v39, s8 :: v_dual_cndmask_b32 v16, v17, v14, s8
	v_dual_cndmask_b32 v17, v15, v17, s8 :: v_dual_cndmask_b32 v50, v49, v18, s8
	s_delay_alu instid0(VALU_DEP_2)
	v_cmpx_lt_u32_e64 v16, v31
	s_cbranch_execz .LBB1842_142
; %bb.139:
	s_mov_b32 s13, 0
	s_mov_b32 s11, exec_lo
	v_cmpx_lt_u32_e64 v17, v29
	s_cbranch_execz .LBB1842_141
; %bb.140:
	v_add_f16_e32 v14, 0, v50
	v_add_f16_e32 v15, 0, v30
	s_delay_alu instid0(VALU_DEP_2) | instskip(NEXT) | instid1(VALU_DEP_1)
	v_cmp_lt_i16_e64 s7, -1, v14
	v_cndmask_b32_e64 v18, -1, 0xffff8000, s7
	s_delay_alu instid0(VALU_DEP_3) | instskip(NEXT) | instid1(VALU_DEP_2)
	v_cmp_lt_i16_e64 s7, -1, v15
	v_xor_b32_e32 v14, v18, v14
	s_delay_alu instid0(VALU_DEP_2) | instskip(NEXT) | instid1(VALU_DEP_1)
	v_cndmask_b32_e64 v19, -1, 0xffff8000, s7
	v_xor_b32_e32 v15, v19, v15
	s_delay_alu instid0(VALU_DEP_1)
	v_cmp_le_u16_e64 s7, v14, v15
	s_and_b32 s13, s7, exec_lo
.LBB1842_141:
	s_or_b32 exec_lo, exec_lo, s11
	s_delay_alu instid0(SALU_CYCLE_1)
	s_or_not1_b32 s11, s13, exec_lo
.LBB1842_142:
	s_or_b32 exec_lo, exec_lo, s12
	s_delay_alu instid0(VALU_DEP_2)
	v_cndmask_b32_e64 v14, v16, v17, s11
	v_cndmask_b32_e64 v15, v31, v29, s11
	s_mov_b32 s13, -1
	s_mov_b32 s12, -1
	s_mov_b32 s14, exec_lo
	v_add_nc_u32_e32 v19, 1, v14
	s_delay_alu instid0(VALU_DEP_1) | instskip(SKIP_2) | instid1(VALU_DEP_3)
	v_add_min_u32_e64 v15, v15, -1, v19
	v_cndmask_b32_e64 v18, v19, v16, s11
	v_lshl_add_u32 v14, v14, 3, v1
	v_lshl_add_u32 v15, v15, 1, v5
	ds_load_u16 v20, v15
	ds_load_b64 v[14:15], v14 offset:4096
	s_wait_dscnt 0x1
	v_dual_cndmask_b32 v19, v17, v19, s11 :: v_dual_cndmask_b32 v33, v20, v30, s11
	v_cndmask_b32_e64 v51, v50, v20, s11
	v_cmpx_lt_u32_e64 v18, v31
	s_cbranch_execz .LBB1842_146
; %bb.143:
	s_mov_b32 s15, 0
	s_mov_b32 s12, exec_lo
	v_cmpx_lt_u32_e64 v19, v29
	s_cbranch_execz .LBB1842_145
; %bb.144:
	v_add_f16_e32 v16, 0, v51
	v_add_f16_e32 v17, 0, v33
	s_delay_alu instid0(VALU_DEP_2) | instskip(NEXT) | instid1(VALU_DEP_1)
	v_cmp_lt_i16_e64 s7, -1, v16
	v_cndmask_b32_e64 v20, -1, 0xffff8000, s7
	s_delay_alu instid0(VALU_DEP_3) | instskip(NEXT) | instid1(VALU_DEP_2)
	v_cmp_lt_i16_e64 s7, -1, v17
	v_xor_b32_e32 v16, v20, v16
	s_delay_alu instid0(VALU_DEP_2) | instskip(NEXT) | instid1(VALU_DEP_1)
	v_cndmask_b32_e64 v21, -1, 0xffff8000, s7
	v_xor_b32_e32 v17, v21, v17
	s_delay_alu instid0(VALU_DEP_1)
	v_cmp_le_u16_e64 s7, v16, v17
	s_and_b32 s15, s7, exec_lo
.LBB1842_145:
	s_or_b32 exec_lo, exec_lo, s12
	s_delay_alu instid0(SALU_CYCLE_1)
	s_or_not1_b32 s12, s15, exec_lo
.LBB1842_146:
	s_or_b32 exec_lo, exec_lo, s14
	v_dual_cndmask_b32 v16, v18, v19, s12 :: v_dual_cndmask_b32 v17, v31, v29, s12
	s_mov_b32 s14, exec_lo
	s_delay_alu instid0(VALU_DEP_1) | instskip(SKIP_1) | instid1(VALU_DEP_2)
	v_add_nc_u32_e32 v21, 1, v16
	v_lshl_add_u32 v16, v16, 3, v1
	v_add_min_u32_e64 v17, v17, -1, v21
	s_delay_alu instid0(VALU_DEP_1)
	v_lshl_add_u32 v17, v17, 1, v5
	ds_load_u16 v22, v17
	ds_load_b64 v[16:17], v16 offset:4096
	s_wait_dscnt 0x1
	v_dual_cndmask_b32 v48, v22, v33, s12 :: v_dual_cndmask_b32 v20, v21, v18, s12
	v_cndmask_b32_e64 v21, v19, v21, s12
	v_cndmask_b32_e64 v52, v51, v22, s12
	s_delay_alu instid0(VALU_DEP_3)
	v_cmpx_lt_u32_e64 v20, v31
	s_cbranch_execz .LBB1842_150
; %bb.147:
	s_mov_b32 s15, 0
	s_mov_b32 s13, exec_lo
	v_cmpx_lt_u32_e64 v21, v29
	s_cbranch_execz .LBB1842_149
; %bb.148:
	v_add_f16_e32 v18, 0, v52
	v_add_f16_e32 v19, 0, v48
	s_delay_alu instid0(VALU_DEP_2) | instskip(NEXT) | instid1(VALU_DEP_1)
	v_cmp_lt_i16_e64 s7, -1, v18
	v_cndmask_b32_e64 v22, -1, 0xffff8000, s7
	s_delay_alu instid0(VALU_DEP_3) | instskip(NEXT) | instid1(VALU_DEP_2)
	v_cmp_lt_i16_e64 s7, -1, v19
	v_xor_b32_e32 v18, v22, v18
	s_delay_alu instid0(VALU_DEP_2) | instskip(NEXT) | instid1(VALU_DEP_1)
	v_cndmask_b32_e64 v23, -1, 0xffff8000, s7
	v_xor_b32_e32 v19, v23, v19
	s_delay_alu instid0(VALU_DEP_1)
	v_cmp_le_u16_e64 s7, v18, v19
	s_and_b32 s15, s7, exec_lo
.LBB1842_149:
	s_or_b32 exec_lo, exec_lo, s13
	s_delay_alu instid0(SALU_CYCLE_1)
	s_or_not1_b32 s13, s15, exec_lo
.LBB1842_150:
	s_or_b32 exec_lo, exec_lo, s14
	v_cndmask_b32_e64 v18, v20, v21, s13
	v_cndmask_b32_e64 v19, v31, v29, s13
	s_mov_b32 s15, -1
	s_mov_b32 s14, -1
	s_mov_b32 s16, exec_lo
	v_add_nc_u32_e32 v22, 1, v18
	s_delay_alu instid0(VALU_DEP_1) | instskip(SKIP_2) | instid1(VALU_DEP_3)
	v_add_min_u32_e64 v19, v19, -1, v22
	v_cndmask_b32_e64 v20, v22, v20, s13
	v_lshl_add_u32 v18, v18, 3, v1
	v_lshl_add_u32 v19, v19, 1, v5
	ds_load_u16 v23, v19
	ds_load_b64 v[18:19], v18 offset:4096
	s_wait_dscnt 0x1
	v_dual_cndmask_b32 v21, v21, v22, s13 :: v_dual_cndmask_b32 v38, v23, v48, s13
	v_cndmask_b32_e64 v53, v52, v23, s13
	v_cmpx_lt_u32_e64 v20, v31
	s_cbranch_execz .LBB1842_154
; %bb.151:
	s_mov_b32 s17, 0
	s_mov_b32 s14, exec_lo
	v_cmpx_lt_u32_e64 v21, v29
	s_cbranch_execz .LBB1842_153
; %bb.152:
	v_add_f16_e32 v22, 0, v53
	v_add_f16_e32 v23, 0, v38
	s_delay_alu instid0(VALU_DEP_2) | instskip(NEXT) | instid1(VALU_DEP_1)
	v_cmp_lt_i16_e64 s7, -1, v22
	v_cndmask_b32_e64 v24, -1, 0xffff8000, s7
	s_delay_alu instid0(VALU_DEP_3) | instskip(NEXT) | instid1(VALU_DEP_2)
	v_cmp_lt_i16_e64 s7, -1, v23
	v_xor_b32_e32 v22, v24, v22
	s_delay_alu instid0(VALU_DEP_2) | instskip(NEXT) | instid1(VALU_DEP_1)
	v_cndmask_b32_e64 v25, -1, 0xffff8000, s7
	v_xor_b32_e32 v23, v25, v23
	s_delay_alu instid0(VALU_DEP_1)
	v_cmp_le_u16_e64 s7, v22, v23
	s_and_b32 s17, s7, exec_lo
.LBB1842_153:
	s_or_b32 exec_lo, exec_lo, s14
	s_delay_alu instid0(SALU_CYCLE_1)
	s_or_not1_b32 s14, s17, exec_lo
.LBB1842_154:
	s_or_b32 exec_lo, exec_lo, s16
	v_cndmask_b32_e64 v22, v20, v21, s14
	v_cndmask_b32_e64 v23, v31, v29, s14
	s_mov_b32 s16, exec_lo
	s_delay_alu instid0(VALU_DEP_2) | instskip(NEXT) | instid1(VALU_DEP_1)
	v_add_nc_u32_e32 v25, 1, v22
	v_add_min_u32_e64 v23, v23, -1, v25
	v_cndmask_b32_e64 v24, v25, v20, s14
	v_lshl_add_u32 v22, v22, 3, v1
	s_delay_alu instid0(VALU_DEP_3)
	v_lshl_add_u32 v23, v23, 1, v5
	ds_load_u16 v54, v23
	ds_load_b64 v[22:23], v22 offset:4096
	s_wait_dscnt 0x1
	v_dual_cndmask_b32 v25, v21, v25, s14 :: v_dual_cndmask_b32 v32, v54, v38, s14
	v_cndmask_b32_e64 v54, v53, v54, s14
	v_cmpx_lt_u32_e64 v24, v31
	s_cbranch_execz .LBB1842_158
; %bb.155:
	s_mov_b32 s17, 0
	s_mov_b32 s15, exec_lo
	v_cmpx_lt_u32_e64 v25, v29
	s_cbranch_execz .LBB1842_157
; %bb.156:
	v_add_f16_e32 v20, 0, v54
	v_add_f16_e32 v21, 0, v32
	s_delay_alu instid0(VALU_DEP_2) | instskip(NEXT) | instid1(VALU_DEP_1)
	v_cmp_lt_i16_e64 s7, -1, v20
	v_cndmask_b32_e64 v55, -1, 0xffff8000, s7
	s_delay_alu instid0(VALU_DEP_3) | instskip(NEXT) | instid1(VALU_DEP_2)
	v_cmp_lt_i16_e64 s7, -1, v21
	v_xor_b32_e32 v20, v55, v20
	s_delay_alu instid0(VALU_DEP_2) | instskip(NEXT) | instid1(VALU_DEP_1)
	v_cndmask_b32_e64 v64, -1, 0xffff8000, s7
	v_xor_b32_e32 v21, v64, v21
	s_delay_alu instid0(VALU_DEP_1)
	v_cmp_le_u16_e64 s7, v20, v21
	s_and_b32 s17, s7, exec_lo
.LBB1842_157:
	s_or_b32 exec_lo, exec_lo, s15
	s_delay_alu instid0(SALU_CYCLE_1)
	s_or_not1_b32 s15, s17, exec_lo
.LBB1842_158:
	s_or_b32 exec_lo, exec_lo, s16
	v_cndmask_b32_e64 v20, v24, v25, s15
	v_cndmask_b32_e64 v21, v31, v29, s15
	s_mov_b32 s17, -1
	s_mov_b32 s16, exec_lo
	s_delay_alu instid0(VALU_DEP_2) | instskip(NEXT) | instid1(VALU_DEP_1)
	v_add_nc_u32_e32 v55, 1, v20
	v_add_min_u32_e64 v21, v21, -1, v55
	v_cndmask_b32_e64 v24, v55, v24, s15
	v_lshl_add_u32 v20, v20, 3, v1
	s_delay_alu instid0(VALU_DEP_3)
	v_lshl_add_u32 v21, v21, 1, v5
	ds_load_u16 v64, v21
	ds_load_b64 v[20:21], v20 offset:4096
	s_wait_dscnt 0x1
	v_dual_cndmask_b32 v25, v25, v55, s15 :: v_dual_cndmask_b32 v55, v64, v32, s15
	v_cndmask_b32_e64 v64, v54, v64, s15
	v_cmpx_lt_u32_e64 v24, v31
	s_cbranch_execz .LBB1842_162
; %bb.159:
	s_mov_b32 s18, 0
	s_mov_b32 s17, exec_lo
	v_cmpx_lt_u32_e64 v25, v29
	s_cbranch_execz .LBB1842_161
; %bb.160:
	v_add_f16_e32 v29, 0, v64
	v_add_f16_e32 v31, 0, v55
	s_delay_alu instid0(VALU_DEP_2) | instskip(NEXT) | instid1(VALU_DEP_1)
	v_cmp_lt_i16_e64 s7, -1, v29
	v_cndmask_b32_e64 v65, -1, 0xffff8000, s7
	s_delay_alu instid0(VALU_DEP_3) | instskip(NEXT) | instid1(VALU_DEP_2)
	v_cmp_lt_i16_e64 s7, -1, v31
	v_xor_b32_e32 v29, v65, v29
	s_delay_alu instid0(VALU_DEP_2) | instskip(NEXT) | instid1(VALU_DEP_1)
	v_cndmask_b32_e64 v66, -1, 0xffff8000, s7
	v_xor_b32_e32 v31, v66, v31
	s_delay_alu instid0(VALU_DEP_1)
	v_cmp_le_u16_e64 s7, v29, v31
	s_and_b32 s18, s7, exec_lo
.LBB1842_161:
	s_or_b32 exec_lo, exec_lo, s17
	s_delay_alu instid0(SALU_CYCLE_1)
	s_or_not1_b32 s17, s18, exec_lo
.LBB1842_162:
	s_or_b32 exec_lo, exec_lo, s16
	v_dual_cndmask_b32 v24, v24, v25, s17 :: v_dual_cndmask_b32 v33, v33, v51, s12
	v_dual_cndmask_b32 v32, v32, v54, s15 :: v_dual_cndmask_b32 v38, v38, v53, s14
	;; [unrolled: 1-line block ×3, first 2 shown]
	s_delay_alu instid0(VALU_DEP_3)
	v_lshl_add_u32 v24, v24, 3, v1
	v_dual_cndmask_b32 v39, v39, v49, s8 :: v_dual_cndmask_b32 v36, v37, v36, s10
	v_cndmask_b32_e64 v37, v55, v64, s17
	ds_load_b64 v[24:25], v24 offset:4096
.LBB1842_163:
	s_or_b32 exec_lo, exec_lo, s9
	v_and_b32_e32 v51, 0xc0, v35
	v_and_b32_e32 v49, 56, v35
	s_mov_b32 s8, exec_lo
	; wave barrier
	s_delay_alu instid0(VALU_DEP_2) | instskip(NEXT) | instid1(VALU_DEP_2)
	v_or_b32_e32 v29, 32, v51
	v_min_u32_e32 v52, v28, v49
	ds_store_b16 v26, v36
	ds_store_b64 v27, v[10:11] offset:4096
	ds_store_b16 v26, v39 offset:2
	ds_store_b64 v27, v[12:13] offset:4104
	ds_store_b16 v26, v30 offset:4
	;; [unrolled: 2-line block ×3, first 2 shown]
	ds_store_b64 v27, v[16:17] offset:4120
	v_min_u32_e32 v29, v28, v29
	ds_store_b16 v26, v48 offset:8
	ds_store_b64 v27, v[18:19] offset:4128
	ds_store_b16 v26, v38 offset:10
	ds_store_b64 v27, v[22:23] offset:4136
	ds_store_b16 v26, v32 offset:12
	s_wait_dscnt 0xe
	ds_store_b64 v27, v[20:21] offset:4144
	ds_store_b16 v26, v37 offset:14
	s_wait_dscnt 0xf
	ds_store_b64 v27, v[24:25] offset:4152
	v_add_min_u32_e64 v31, v29, 32, v28
	; wave barrier
	s_delay_alu instid0(VALU_DEP_1) | instskip(NEXT) | instid1(VALU_DEP_1)
	v_dual_sub_nc_u32 v50, v29, v51 :: v_dual_sub_nc_u32 v49, v31, v29
	v_min_u32_e32 v53, v52, v50
	v_lshl_add_u32 v50, v51, 1, v5
	s_delay_alu instid0(VALU_DEP_3) | instskip(NEXT) | instid1(VALU_DEP_1)
	v_sub_nc_u32_e64 v49, v52, v49 clamp
	v_cmpx_lt_u32_e64 v49, v53
	s_cbranch_execz .LBB1842_167
; %bb.164:
	v_dual_lshlrev_b32 v54, 1, v29 :: v_dual_lshlrev_b32 v55, 1, v52
	s_mov_b32 s9, 0
	s_delay_alu instid0(VALU_DEP_1)
	v_add3_u32 v54, v5, v54, v55
.LBB1842_165:                           ; =>This Inner Loop Header: Depth=1
	v_add_nc_u32_e32 v55, v53, v49
	s_delay_alu instid0(VALU_DEP_1) | instskip(NEXT) | instid1(VALU_DEP_1)
	v_dual_lshrrev_b32 v64, 1, v55 :: v_dual_bitop2_b32 v55, -2, v55 bitop3:0x40
	v_not_b32_e32 v65, v64
	s_delay_alu instid0(VALU_DEP_2) | instskip(NEXT) | instid1(VALU_DEP_2)
	v_add_nc_u32_e32 v55, v50, v55
	v_lshl_add_u32 v65, v65, 1, v54
	ds_load_u16 v55, v55
	ds_load_u16 v65, v65
	s_wait_dscnt 0x1
	v_add_f16_e32 v55, 0, v55
	s_wait_dscnt 0x0
	v_add_f16_e32 v65, 0, v65
	s_delay_alu instid0(VALU_DEP_2) | instskip(NEXT) | instid1(VALU_DEP_1)
	v_cmp_lt_i16_e64 s7, -1, v55
	v_cndmask_b32_e64 v66, -1, 0xffff8000, s7
	s_delay_alu instid0(VALU_DEP_3) | instskip(NEXT) | instid1(VALU_DEP_2)
	v_cmp_lt_i16_e64 s7, -1, v65
	v_xor_b32_e32 v55, v66, v55
	s_delay_alu instid0(VALU_DEP_2) | instskip(NEXT) | instid1(VALU_DEP_1)
	v_cndmask_b32_e64 v67, -1, 0xffff8000, s7
	v_dual_add_nc_u32 v66, 1, v64 :: v_dual_bitop2_b32 v65, v67, v65 bitop3:0x14
	s_delay_alu instid0(VALU_DEP_1) | instskip(NEXT) | instid1(VALU_DEP_1)
	v_cmp_gt_u16_e64 s7, v55, v65
	v_dual_cndmask_b32 v53, v53, v64, s7 :: v_dual_cndmask_b32 v49, v66, v49, s7
	s_delay_alu instid0(VALU_DEP_1) | instskip(SKIP_1) | instid1(SALU_CYCLE_1)
	v_cmp_ge_u32_e64 s7, v49, v53
	s_or_b32 s9, s7, s9
	s_and_not1_b32 exec_lo, exec_lo, s9
	s_cbranch_execnz .LBB1842_165
; %bb.166:
	s_or_b32 exec_lo, exec_lo, s9
.LBB1842_167:
	s_delay_alu instid0(SALU_CYCLE_1) | instskip(SKIP_1) | instid1(VALU_DEP_1)
	s_or_b32 exec_lo, exec_lo, s8
	v_add_nc_u32_e32 v52, v29, v52
	v_dual_add_nc_u32 v51, v49, v51 :: v_dual_sub_nc_u32 v52, v52, v49
	s_delay_alu instid0(VALU_DEP_1) | instskip(NEXT) | instid1(VALU_DEP_2)
	v_cmp_le_u32_e64 s7, v51, v29
	v_cmp_le_u32_e64 s8, v52, v31
	s_or_b32 s7, s7, s8
	s_delay_alu instid0(SALU_CYCLE_1)
	s_and_saveexec_b32 s9, s7
	s_cbranch_execz .LBB1842_203
; %bb.168:
	v_cmp_ge_u32_e64 s7, v51, v29
	s_mov_b32 s10, exec_lo
                                        ; implicit-def: $vgpr36
	v_cmpx_lt_u32_e64 v51, v29
; %bb.169:
	v_lshl_add_u32 v10, v49, 1, v50
	ds_load_u16 v36, v10
; %bb.170:
	s_or_b32 exec_lo, exec_lo, s10
	v_cmp_ge_u32_e64 s10, v52, v31
	s_mov_b32 s11, exec_lo
                                        ; implicit-def: $vgpr37
	v_cmpx_lt_u32_e64 v52, v31
; %bb.171:
	v_lshl_add_u32 v10, v52, 1, v5
	ds_load_u16 v37, v10
; %bb.172:
	s_or_b32 exec_lo, exec_lo, s11
	s_nor_b32 s7, s7, s10
	s_delay_alu instid0(SALU_CYCLE_1)
	s_and_saveexec_b32 s8, s7
	s_cbranch_execz .LBB1842_174
; %bb.173:
	s_wait_dscnt 0x0
	v_add_f16_e32 v10, 0, v36
	v_add_f16_e32 v11, 0, v37
	s_and_not1_b32 s10, s10, exec_lo
	s_delay_alu instid0(VALU_DEP_2) | instskip(NEXT) | instid1(VALU_DEP_1)
	v_cmp_lt_i16_e64 s7, -1, v10
	v_cndmask_b32_e64 v12, -1, 0xffff8000, s7
	s_delay_alu instid0(VALU_DEP_3) | instskip(NEXT) | instid1(VALU_DEP_2)
	v_cmp_lt_i16_e64 s7, -1, v11
	v_xor_b32_e32 v10, v12, v10
	s_delay_alu instid0(VALU_DEP_2) | instskip(NEXT) | instid1(VALU_DEP_1)
	v_cndmask_b32_e64 v13, -1, 0xffff8000, s7
	v_xor_b32_e32 v11, v13, v11
	s_delay_alu instid0(VALU_DEP_1) | instskip(SKIP_1) | instid1(SALU_CYCLE_1)
	v_cmp_le_u16_e64 s7, v10, v11
	s_and_b32 s7, s7, exec_lo
	s_or_b32 s10, s10, s7
.LBB1842_174:
	s_or_b32 exec_lo, exec_lo, s8
	v_dual_cndmask_b32 v10, v52, v51, s10 :: v_dual_cndmask_b32 v11, v31, v29, s10
	s_mov_b32 s11, -1
	s_mov_b32 s8, -1
	s_mov_b32 s12, exec_lo
	s_delay_alu instid0(VALU_DEP_1) | instskip(SKIP_1) | instid1(VALU_DEP_2)
	v_add_nc_u32_e32 v12, 1, v10
	v_lshl_add_u32 v10, v10, 3, v1
	v_add_min_u32_e64 v11, v11, -1, v12
	s_delay_alu instid0(VALU_DEP_1)
	v_lshl_add_u32 v11, v11, 1, v5
	ds_load_u16 v13, v11
	ds_load_b64 v[10:11], v10 offset:4096
	s_wait_dscnt 0x1
	v_dual_cndmask_b32 v39, v13, v37, s10 :: v_dual_cndmask_b32 v14, v12, v52, s10
	v_dual_cndmask_b32 v15, v51, v12, s10 :: v_dual_cndmask_b32 v49, v36, v13, s10
	s_delay_alu instid0(VALU_DEP_2)
	v_cmpx_lt_u32_e64 v14, v31
	s_cbranch_execz .LBB1842_178
; %bb.175:
	s_mov_b32 s13, 0
	s_mov_b32 s8, exec_lo
	v_cmpx_lt_u32_e64 v15, v29
	s_cbranch_execz .LBB1842_177
; %bb.176:
	v_add_f16_e32 v12, 0, v49
	v_add_f16_e32 v13, 0, v39
	s_delay_alu instid0(VALU_DEP_2) | instskip(NEXT) | instid1(VALU_DEP_1)
	v_cmp_lt_i16_e64 s7, -1, v12
	v_cndmask_b32_e64 v16, -1, 0xffff8000, s7
	s_delay_alu instid0(VALU_DEP_3) | instskip(NEXT) | instid1(VALU_DEP_2)
	v_cmp_lt_i16_e64 s7, -1, v13
	v_xor_b32_e32 v12, v16, v12
	s_delay_alu instid0(VALU_DEP_2) | instskip(NEXT) | instid1(VALU_DEP_1)
	v_cndmask_b32_e64 v17, -1, 0xffff8000, s7
	v_xor_b32_e32 v13, v17, v13
	s_delay_alu instid0(VALU_DEP_1)
	v_cmp_le_u16_e64 s7, v12, v13
	s_and_b32 s13, s7, exec_lo
.LBB1842_177:
	s_or_b32 exec_lo, exec_lo, s8
	s_delay_alu instid0(SALU_CYCLE_1)
	s_or_not1_b32 s8, s13, exec_lo
.LBB1842_178:
	s_or_b32 exec_lo, exec_lo, s12
	s_delay_alu instid0(VALU_DEP_2) | instskip(SKIP_1) | instid1(VALU_DEP_1)
	v_dual_cndmask_b32 v12, v14, v15, s8 :: v_dual_cndmask_b32 v13, v31, v29, s8
	s_mov_b32 s12, exec_lo
	v_add_nc_u32_e32 v17, 1, v12
	v_lshl_add_u32 v12, v12, 3, v1
	s_delay_alu instid0(VALU_DEP_2) | instskip(NEXT) | instid1(VALU_DEP_1)
	v_add_min_u32_e64 v13, v13, -1, v17
	v_lshl_add_u32 v13, v13, 1, v5
	ds_load_u16 v18, v13
	ds_load_b64 v[12:13], v12 offset:4096
	s_wait_dscnt 0x1
	v_dual_cndmask_b32 v30, v18, v39, s8 :: v_dual_cndmask_b32 v16, v17, v14, s8
	v_dual_cndmask_b32 v17, v15, v17, s8 :: v_dual_cndmask_b32 v50, v49, v18, s8
	s_delay_alu instid0(VALU_DEP_2)
	v_cmpx_lt_u32_e64 v16, v31
	s_cbranch_execz .LBB1842_182
; %bb.179:
	s_mov_b32 s13, 0
	s_mov_b32 s11, exec_lo
	v_cmpx_lt_u32_e64 v17, v29
	s_cbranch_execz .LBB1842_181
; %bb.180:
	v_add_f16_e32 v14, 0, v50
	v_add_f16_e32 v15, 0, v30
	s_delay_alu instid0(VALU_DEP_2) | instskip(NEXT) | instid1(VALU_DEP_1)
	v_cmp_lt_i16_e64 s7, -1, v14
	v_cndmask_b32_e64 v18, -1, 0xffff8000, s7
	s_delay_alu instid0(VALU_DEP_3) | instskip(NEXT) | instid1(VALU_DEP_2)
	v_cmp_lt_i16_e64 s7, -1, v15
	v_xor_b32_e32 v14, v18, v14
	s_delay_alu instid0(VALU_DEP_2) | instskip(NEXT) | instid1(VALU_DEP_1)
	v_cndmask_b32_e64 v19, -1, 0xffff8000, s7
	v_xor_b32_e32 v15, v19, v15
	s_delay_alu instid0(VALU_DEP_1)
	v_cmp_le_u16_e64 s7, v14, v15
	s_and_b32 s13, s7, exec_lo
.LBB1842_181:
	s_or_b32 exec_lo, exec_lo, s11
	s_delay_alu instid0(SALU_CYCLE_1)
	s_or_not1_b32 s11, s13, exec_lo
.LBB1842_182:
	s_or_b32 exec_lo, exec_lo, s12
	s_delay_alu instid0(VALU_DEP_2)
	v_cndmask_b32_e64 v14, v16, v17, s11
	v_cndmask_b32_e64 v15, v31, v29, s11
	s_mov_b32 s13, -1
	s_mov_b32 s12, -1
	s_mov_b32 s14, exec_lo
	v_add_nc_u32_e32 v19, 1, v14
	s_delay_alu instid0(VALU_DEP_1) | instskip(SKIP_2) | instid1(VALU_DEP_3)
	v_add_min_u32_e64 v15, v15, -1, v19
	v_cndmask_b32_e64 v18, v19, v16, s11
	v_lshl_add_u32 v14, v14, 3, v1
	v_lshl_add_u32 v15, v15, 1, v5
	ds_load_u16 v20, v15
	ds_load_b64 v[14:15], v14 offset:4096
	s_wait_dscnt 0x1
	v_dual_cndmask_b32 v19, v17, v19, s11 :: v_dual_cndmask_b32 v33, v20, v30, s11
	v_cndmask_b32_e64 v51, v50, v20, s11
	v_cmpx_lt_u32_e64 v18, v31
	s_cbranch_execz .LBB1842_186
; %bb.183:
	s_mov_b32 s15, 0
	s_mov_b32 s12, exec_lo
	v_cmpx_lt_u32_e64 v19, v29
	s_cbranch_execz .LBB1842_185
; %bb.184:
	v_add_f16_e32 v16, 0, v51
	v_add_f16_e32 v17, 0, v33
	s_delay_alu instid0(VALU_DEP_2) | instskip(NEXT) | instid1(VALU_DEP_1)
	v_cmp_lt_i16_e64 s7, -1, v16
	v_cndmask_b32_e64 v20, -1, 0xffff8000, s7
	s_delay_alu instid0(VALU_DEP_3) | instskip(NEXT) | instid1(VALU_DEP_2)
	v_cmp_lt_i16_e64 s7, -1, v17
	v_xor_b32_e32 v16, v20, v16
	s_delay_alu instid0(VALU_DEP_2) | instskip(NEXT) | instid1(VALU_DEP_1)
	v_cndmask_b32_e64 v21, -1, 0xffff8000, s7
	v_xor_b32_e32 v17, v21, v17
	s_delay_alu instid0(VALU_DEP_1)
	v_cmp_le_u16_e64 s7, v16, v17
	s_and_b32 s15, s7, exec_lo
.LBB1842_185:
	s_or_b32 exec_lo, exec_lo, s12
	s_delay_alu instid0(SALU_CYCLE_1)
	s_or_not1_b32 s12, s15, exec_lo
.LBB1842_186:
	s_or_b32 exec_lo, exec_lo, s14
	v_dual_cndmask_b32 v16, v18, v19, s12 :: v_dual_cndmask_b32 v17, v31, v29, s12
	s_mov_b32 s14, exec_lo
	s_delay_alu instid0(VALU_DEP_1) | instskip(SKIP_1) | instid1(VALU_DEP_2)
	v_add_nc_u32_e32 v21, 1, v16
	v_lshl_add_u32 v16, v16, 3, v1
	v_add_min_u32_e64 v17, v17, -1, v21
	s_delay_alu instid0(VALU_DEP_1)
	v_lshl_add_u32 v17, v17, 1, v5
	ds_load_u16 v22, v17
	ds_load_b64 v[16:17], v16 offset:4096
	s_wait_dscnt 0x1
	v_dual_cndmask_b32 v48, v22, v33, s12 :: v_dual_cndmask_b32 v20, v21, v18, s12
	v_cndmask_b32_e64 v21, v19, v21, s12
	v_cndmask_b32_e64 v52, v51, v22, s12
	s_delay_alu instid0(VALU_DEP_3)
	v_cmpx_lt_u32_e64 v20, v31
	s_cbranch_execz .LBB1842_190
; %bb.187:
	s_mov_b32 s15, 0
	s_mov_b32 s13, exec_lo
	v_cmpx_lt_u32_e64 v21, v29
	s_cbranch_execz .LBB1842_189
; %bb.188:
	v_add_f16_e32 v18, 0, v52
	v_add_f16_e32 v19, 0, v48
	s_delay_alu instid0(VALU_DEP_2) | instskip(NEXT) | instid1(VALU_DEP_1)
	v_cmp_lt_i16_e64 s7, -1, v18
	v_cndmask_b32_e64 v22, -1, 0xffff8000, s7
	s_delay_alu instid0(VALU_DEP_3) | instskip(NEXT) | instid1(VALU_DEP_2)
	v_cmp_lt_i16_e64 s7, -1, v19
	v_xor_b32_e32 v18, v22, v18
	s_delay_alu instid0(VALU_DEP_2) | instskip(NEXT) | instid1(VALU_DEP_1)
	v_cndmask_b32_e64 v23, -1, 0xffff8000, s7
	v_xor_b32_e32 v19, v23, v19
	s_delay_alu instid0(VALU_DEP_1)
	v_cmp_le_u16_e64 s7, v18, v19
	s_and_b32 s15, s7, exec_lo
.LBB1842_189:
	s_or_b32 exec_lo, exec_lo, s13
	s_delay_alu instid0(SALU_CYCLE_1)
	s_or_not1_b32 s13, s15, exec_lo
.LBB1842_190:
	s_or_b32 exec_lo, exec_lo, s14
	v_cndmask_b32_e64 v18, v20, v21, s13
	v_cndmask_b32_e64 v19, v31, v29, s13
	s_mov_b32 s15, -1
	s_mov_b32 s14, -1
	s_mov_b32 s16, exec_lo
	v_add_nc_u32_e32 v22, 1, v18
	s_delay_alu instid0(VALU_DEP_1) | instskip(SKIP_2) | instid1(VALU_DEP_3)
	v_add_min_u32_e64 v19, v19, -1, v22
	v_cndmask_b32_e64 v20, v22, v20, s13
	v_lshl_add_u32 v18, v18, 3, v1
	v_lshl_add_u32 v19, v19, 1, v5
	ds_load_u16 v23, v19
	ds_load_b64 v[18:19], v18 offset:4096
	s_wait_dscnt 0x1
	v_dual_cndmask_b32 v21, v21, v22, s13 :: v_dual_cndmask_b32 v38, v23, v48, s13
	v_cndmask_b32_e64 v53, v52, v23, s13
	v_cmpx_lt_u32_e64 v20, v31
	s_cbranch_execz .LBB1842_194
; %bb.191:
	s_mov_b32 s17, 0
	s_mov_b32 s14, exec_lo
	v_cmpx_lt_u32_e64 v21, v29
	s_cbranch_execz .LBB1842_193
; %bb.192:
	v_add_f16_e32 v22, 0, v53
	v_add_f16_e32 v23, 0, v38
	s_delay_alu instid0(VALU_DEP_2) | instskip(NEXT) | instid1(VALU_DEP_1)
	v_cmp_lt_i16_e64 s7, -1, v22
	v_cndmask_b32_e64 v24, -1, 0xffff8000, s7
	s_delay_alu instid0(VALU_DEP_3) | instskip(NEXT) | instid1(VALU_DEP_2)
	v_cmp_lt_i16_e64 s7, -1, v23
	v_xor_b32_e32 v22, v24, v22
	s_delay_alu instid0(VALU_DEP_2) | instskip(NEXT) | instid1(VALU_DEP_1)
	v_cndmask_b32_e64 v25, -1, 0xffff8000, s7
	v_xor_b32_e32 v23, v25, v23
	s_delay_alu instid0(VALU_DEP_1)
	v_cmp_le_u16_e64 s7, v22, v23
	s_and_b32 s17, s7, exec_lo
.LBB1842_193:
	s_or_b32 exec_lo, exec_lo, s14
	s_delay_alu instid0(SALU_CYCLE_1)
	s_or_not1_b32 s14, s17, exec_lo
.LBB1842_194:
	s_or_b32 exec_lo, exec_lo, s16
	v_cndmask_b32_e64 v22, v20, v21, s14
	v_cndmask_b32_e64 v23, v31, v29, s14
	s_mov_b32 s16, exec_lo
	s_delay_alu instid0(VALU_DEP_2) | instskip(NEXT) | instid1(VALU_DEP_1)
	v_add_nc_u32_e32 v25, 1, v22
	v_add_min_u32_e64 v23, v23, -1, v25
	v_cndmask_b32_e64 v24, v25, v20, s14
	v_lshl_add_u32 v22, v22, 3, v1
	s_delay_alu instid0(VALU_DEP_3)
	v_lshl_add_u32 v23, v23, 1, v5
	ds_load_u16 v54, v23
	ds_load_b64 v[22:23], v22 offset:4096
	s_wait_dscnt 0x1
	v_dual_cndmask_b32 v25, v21, v25, s14 :: v_dual_cndmask_b32 v32, v54, v38, s14
	v_cndmask_b32_e64 v54, v53, v54, s14
	v_cmpx_lt_u32_e64 v24, v31
	s_cbranch_execz .LBB1842_198
; %bb.195:
	s_mov_b32 s17, 0
	s_mov_b32 s15, exec_lo
	v_cmpx_lt_u32_e64 v25, v29
	s_cbranch_execz .LBB1842_197
; %bb.196:
	v_add_f16_e32 v20, 0, v54
	v_add_f16_e32 v21, 0, v32
	s_delay_alu instid0(VALU_DEP_2) | instskip(NEXT) | instid1(VALU_DEP_1)
	v_cmp_lt_i16_e64 s7, -1, v20
	v_cndmask_b32_e64 v55, -1, 0xffff8000, s7
	s_delay_alu instid0(VALU_DEP_3) | instskip(NEXT) | instid1(VALU_DEP_2)
	v_cmp_lt_i16_e64 s7, -1, v21
	v_xor_b32_e32 v20, v55, v20
	s_delay_alu instid0(VALU_DEP_2) | instskip(NEXT) | instid1(VALU_DEP_1)
	v_cndmask_b32_e64 v64, -1, 0xffff8000, s7
	v_xor_b32_e32 v21, v64, v21
	s_delay_alu instid0(VALU_DEP_1)
	v_cmp_le_u16_e64 s7, v20, v21
	s_and_b32 s17, s7, exec_lo
.LBB1842_197:
	s_or_b32 exec_lo, exec_lo, s15
	s_delay_alu instid0(SALU_CYCLE_1)
	s_or_not1_b32 s15, s17, exec_lo
.LBB1842_198:
	s_or_b32 exec_lo, exec_lo, s16
	v_cndmask_b32_e64 v20, v24, v25, s15
	v_cndmask_b32_e64 v21, v31, v29, s15
	s_mov_b32 s17, -1
	s_mov_b32 s16, exec_lo
	s_delay_alu instid0(VALU_DEP_2) | instskip(NEXT) | instid1(VALU_DEP_1)
	v_add_nc_u32_e32 v55, 1, v20
	v_add_min_u32_e64 v21, v21, -1, v55
	v_cndmask_b32_e64 v24, v55, v24, s15
	v_lshl_add_u32 v20, v20, 3, v1
	s_delay_alu instid0(VALU_DEP_3)
	v_lshl_add_u32 v21, v21, 1, v5
	ds_load_u16 v64, v21
	ds_load_b64 v[20:21], v20 offset:4096
	s_wait_dscnt 0x1
	v_dual_cndmask_b32 v25, v25, v55, s15 :: v_dual_cndmask_b32 v55, v64, v32, s15
	v_cndmask_b32_e64 v64, v54, v64, s15
	v_cmpx_lt_u32_e64 v24, v31
	s_cbranch_execz .LBB1842_202
; %bb.199:
	s_mov_b32 s18, 0
	s_mov_b32 s17, exec_lo
	v_cmpx_lt_u32_e64 v25, v29
	s_cbranch_execz .LBB1842_201
; %bb.200:
	v_add_f16_e32 v29, 0, v64
	v_add_f16_e32 v31, 0, v55
	s_delay_alu instid0(VALU_DEP_2) | instskip(NEXT) | instid1(VALU_DEP_1)
	v_cmp_lt_i16_e64 s7, -1, v29
	v_cndmask_b32_e64 v65, -1, 0xffff8000, s7
	s_delay_alu instid0(VALU_DEP_3) | instskip(NEXT) | instid1(VALU_DEP_2)
	v_cmp_lt_i16_e64 s7, -1, v31
	v_xor_b32_e32 v29, v65, v29
	s_delay_alu instid0(VALU_DEP_2) | instskip(NEXT) | instid1(VALU_DEP_1)
	v_cndmask_b32_e64 v66, -1, 0xffff8000, s7
	v_xor_b32_e32 v31, v66, v31
	s_delay_alu instid0(VALU_DEP_1)
	v_cmp_le_u16_e64 s7, v29, v31
	s_and_b32 s18, s7, exec_lo
.LBB1842_201:
	s_or_b32 exec_lo, exec_lo, s17
	s_delay_alu instid0(SALU_CYCLE_1)
	s_or_not1_b32 s17, s18, exec_lo
.LBB1842_202:
	s_or_b32 exec_lo, exec_lo, s16
	v_dual_cndmask_b32 v24, v24, v25, s17 :: v_dual_cndmask_b32 v33, v33, v51, s12
	v_dual_cndmask_b32 v32, v32, v54, s15 :: v_dual_cndmask_b32 v38, v38, v53, s14
	;; [unrolled: 1-line block ×3, first 2 shown]
	s_delay_alu instid0(VALU_DEP_3)
	v_lshl_add_u32 v24, v24, 3, v1
	v_dual_cndmask_b32 v39, v39, v49, s8 :: v_dual_cndmask_b32 v36, v37, v36, s10
	v_cndmask_b32_e64 v37, v55, v64, s17
	ds_load_b64 v[24:25], v24 offset:4096
.LBB1842_203:
	s_or_b32 exec_lo, exec_lo, s9
	v_and_b32_e32 v35, 0x80, v35
	v_min_u32_e32 v49, v28, v34
	s_mov_b32 s8, exec_lo
	; wave barrier
	s_delay_alu instid0(VALU_DEP_2)
	v_or_b32_e32 v29, 64, v35
	ds_store_b16 v26, v36
	ds_store_b64 v27, v[10:11] offset:4096
	ds_store_b16 v26, v39 offset:2
	ds_store_b64 v27, v[12:13] offset:4104
	ds_store_b16 v26, v30 offset:4
	;; [unrolled: 2-line block ×5, first 2 shown]
	v_min_u32_e32 v29, v28, v29
	ds_store_b64 v27, v[22:23] offset:4136
	ds_store_b16 v26, v32 offset:12
	s_wait_dscnt 0xe
	ds_store_b64 v27, v[20:21] offset:4144
	ds_store_b16 v26, v37 offset:14
	s_wait_dscnt 0xf
	ds_store_b64 v27, v[24:25] offset:4152
	; wave barrier
	v_add_min_u32_e64 v31, v29, 64, v28
	s_delay_alu instid0(VALU_DEP_1) | instskip(NEXT) | instid1(VALU_DEP_1)
	v_dual_sub_nc_u32 v34, v29, v35 :: v_dual_sub_nc_u32 v28, v31, v29
	v_min_u32_e32 v50, v49, v34
	v_lshl_add_u32 v34, v35, 1, v5
	s_delay_alu instid0(VALU_DEP_3) | instskip(NEXT) | instid1(VALU_DEP_1)
	v_sub_nc_u32_e64 v28, v49, v28 clamp
	v_cmpx_lt_u32_e64 v28, v50
	s_cbranch_execz .LBB1842_207
; %bb.204:
	v_lshlrev_b32_e32 v26, 1, v29
	v_lshlrev_b32_e32 v27, 1, v49
	s_mov_b32 s9, 0
	s_delay_alu instid0(VALU_DEP_1)
	v_add3_u32 v26, v5, v26, v27
.LBB1842_205:                           ; =>This Inner Loop Header: Depth=1
	v_add_nc_u32_e32 v27, v50, v28
	s_delay_alu instid0(VALU_DEP_1) | instskip(NEXT) | instid1(VALU_DEP_1)
	v_dual_lshrrev_b32 v51, 1, v27 :: v_dual_bitop2_b32 v27, -2, v27 bitop3:0x40
	v_not_b32_e32 v52, v51
	s_delay_alu instid0(VALU_DEP_2) | instskip(NEXT) | instid1(VALU_DEP_2)
	v_add_nc_u32_e32 v27, v34, v27
	v_lshl_add_u32 v52, v52, 1, v26
	ds_load_u16 v27, v27
	ds_load_u16 v52, v52
	s_wait_dscnt 0x1
	v_add_f16_e32 v27, 0, v27
	s_wait_dscnt 0x0
	v_add_f16_e32 v52, 0, v52
	s_delay_alu instid0(VALU_DEP_2) | instskip(NEXT) | instid1(VALU_DEP_1)
	v_cmp_lt_i16_e64 s7, -1, v27
	v_cndmask_b32_e64 v53, -1, 0xffff8000, s7
	s_delay_alu instid0(VALU_DEP_3) | instskip(NEXT) | instid1(VALU_DEP_2)
	v_cmp_lt_i16_e64 s7, -1, v52
	v_xor_b32_e32 v27, v53, v27
	s_delay_alu instid0(VALU_DEP_2) | instskip(NEXT) | instid1(VALU_DEP_1)
	v_cndmask_b32_e64 v54, -1, 0xffff8000, s7
	v_dual_add_nc_u32 v53, 1, v51 :: v_dual_bitop2_b32 v52, v54, v52 bitop3:0x14
	s_delay_alu instid0(VALU_DEP_1) | instskip(NEXT) | instid1(VALU_DEP_1)
	v_cmp_gt_u16_e64 s7, v27, v52
	v_dual_cndmask_b32 v50, v50, v51, s7 :: v_dual_cndmask_b32 v28, v53, v28, s7
	s_delay_alu instid0(VALU_DEP_1) | instskip(SKIP_1) | instid1(SALU_CYCLE_1)
	v_cmp_ge_u32_e64 s7, v28, v50
	s_or_b32 s9, s7, s9
	s_and_not1_b32 exec_lo, exec_lo, s9
	s_cbranch_execnz .LBB1842_205
; %bb.206:
	s_or_b32 exec_lo, exec_lo, s9
.LBB1842_207:
	s_delay_alu instid0(SALU_CYCLE_1) | instskip(SKIP_1) | instid1(VALU_DEP_1)
	s_or_b32 exec_lo, exec_lo, s8
	v_dual_add_nc_u32 v26, v29, v49 :: v_dual_add_nc_u32 v35, v28, v35
	v_sub_nc_u32_e32 v49, v26, v28
	s_delay_alu instid0(VALU_DEP_2) | instskip(NEXT) | instid1(VALU_DEP_2)
	v_cmp_le_u32_e64 s7, v35, v29
	v_cmp_le_u32_e64 s8, v49, v31
	s_or_b32 s7, s7, s8
	s_delay_alu instid0(SALU_CYCLE_1)
	s_and_saveexec_b32 s9, s7
	s_cbranch_execz .LBB1842_243
; %bb.208:
	v_cmp_ge_u32_e64 s7, v35, v29
	s_mov_b32 s10, exec_lo
                                        ; implicit-def: $vgpr26
	v_cmpx_lt_u32_e64 v35, v29
; %bb.209:
	v_lshl_add_u32 v10, v28, 1, v34
	ds_load_u16 v26, v10
; %bb.210:
	s_or_b32 exec_lo, exec_lo, s10
	v_cmp_ge_u32_e64 s10, v49, v31
	s_mov_b32 s11, exec_lo
                                        ; implicit-def: $vgpr27
	v_cmpx_lt_u32_e64 v49, v31
; %bb.211:
	v_lshl_add_u32 v10, v49, 1, v5
	ds_load_u16 v27, v10
; %bb.212:
	s_or_b32 exec_lo, exec_lo, s11
	s_nor_b32 s7, s7, s10
	s_delay_alu instid0(SALU_CYCLE_1)
	s_and_saveexec_b32 s8, s7
	s_cbranch_execz .LBB1842_214
; %bb.213:
	s_wait_dscnt 0x0
	v_add_f16_e32 v10, 0, v26
	v_add_f16_e32 v11, 0, v27
	s_and_not1_b32 s10, s10, exec_lo
	s_delay_alu instid0(VALU_DEP_2) | instskip(NEXT) | instid1(VALU_DEP_1)
	v_cmp_lt_i16_e64 s7, -1, v10
	v_cndmask_b32_e64 v12, -1, 0xffff8000, s7
	s_delay_alu instid0(VALU_DEP_3) | instskip(NEXT) | instid1(VALU_DEP_2)
	v_cmp_lt_i16_e64 s7, -1, v11
	v_xor_b32_e32 v10, v12, v10
	s_delay_alu instid0(VALU_DEP_2) | instskip(NEXT) | instid1(VALU_DEP_1)
	v_cndmask_b32_e64 v13, -1, 0xffff8000, s7
	v_xor_b32_e32 v11, v13, v11
	s_delay_alu instid0(VALU_DEP_1) | instskip(SKIP_1) | instid1(SALU_CYCLE_1)
	v_cmp_le_u16_e64 s7, v10, v11
	s_and_b32 s7, s7, exec_lo
	s_or_b32 s10, s10, s7
.LBB1842_214:
	s_or_b32 exec_lo, exec_lo, s8
	v_dual_cndmask_b32 v10, v49, v35, s10 :: v_dual_cndmask_b32 v11, v31, v29, s10
	s_mov_b32 s11, -1
	s_mov_b32 s8, -1
	s_mov_b32 s12, exec_lo
	s_delay_alu instid0(VALU_DEP_1) | instskip(SKIP_1) | instid1(VALU_DEP_2)
	v_add_nc_u32_e32 v12, 1, v10
	v_lshl_add_u32 v10, v10, 3, v1
	v_add_min_u32_e64 v11, v11, -1, v12
	s_delay_alu instid0(VALU_DEP_1)
	v_lshl_add_u32 v11, v11, 1, v5
	ds_load_u16 v13, v11
	ds_load_b64 v[10:11], v10 offset:4096
	s_wait_dscnt 0x1
	v_dual_cndmask_b32 v28, v13, v27, s10 :: v_dual_cndmask_b32 v14, v12, v49, s10
	v_dual_cndmask_b32 v15, v35, v12, s10 :: v_dual_cndmask_b32 v34, v26, v13, s10
	s_delay_alu instid0(VALU_DEP_2)
	v_cmpx_lt_u32_e64 v14, v31
	s_cbranch_execz .LBB1842_218
; %bb.215:
	s_mov_b32 s13, 0
	s_mov_b32 s8, exec_lo
	v_cmpx_lt_u32_e64 v15, v29
	s_cbranch_execz .LBB1842_217
; %bb.216:
	v_add_f16_e32 v12, 0, v34
	v_add_f16_e32 v13, 0, v28
	s_delay_alu instid0(VALU_DEP_2) | instskip(NEXT) | instid1(VALU_DEP_1)
	v_cmp_lt_i16_e64 s7, -1, v12
	v_cndmask_b32_e64 v16, -1, 0xffff8000, s7
	s_delay_alu instid0(VALU_DEP_3) | instskip(NEXT) | instid1(VALU_DEP_2)
	v_cmp_lt_i16_e64 s7, -1, v13
	v_xor_b32_e32 v12, v16, v12
	s_delay_alu instid0(VALU_DEP_2) | instskip(NEXT) | instid1(VALU_DEP_1)
	v_cndmask_b32_e64 v17, -1, 0xffff8000, s7
	v_xor_b32_e32 v13, v17, v13
	s_delay_alu instid0(VALU_DEP_1)
	v_cmp_le_u16_e64 s7, v12, v13
	s_and_b32 s13, s7, exec_lo
.LBB1842_217:
	s_or_b32 exec_lo, exec_lo, s8
	s_delay_alu instid0(SALU_CYCLE_1)
	s_or_not1_b32 s8, s13, exec_lo
.LBB1842_218:
	s_or_b32 exec_lo, exec_lo, s12
	s_delay_alu instid0(VALU_DEP_2) | instskip(SKIP_1) | instid1(VALU_DEP_1)
	v_dual_cndmask_b32 v12, v14, v15, s8 :: v_dual_cndmask_b32 v13, v31, v29, s8
	s_mov_b32 s12, exec_lo
	v_add_nc_u32_e32 v17, 1, v12
	v_lshl_add_u32 v12, v12, 3, v1
	s_delay_alu instid0(VALU_DEP_2) | instskip(NEXT) | instid1(VALU_DEP_1)
	v_add_min_u32_e64 v13, v13, -1, v17
	v_lshl_add_u32 v13, v13, 1, v5
	ds_load_u16 v18, v13
	ds_load_b64 v[12:13], v12 offset:4096
	s_wait_dscnt 0x1
	v_cndmask_b32_e64 v30, v18, v28, s8
	v_cndmask_b32_e64 v35, v34, v18, s8
	v_dual_cndmask_b32 v16, v17, v14, s8 :: v_dual_cndmask_b32 v17, v15, v17, s8
	s_delay_alu instid0(VALU_DEP_1)
	v_cmpx_lt_u32_e64 v16, v31
	s_cbranch_execz .LBB1842_222
; %bb.219:
	s_mov_b32 s13, 0
	s_mov_b32 s11, exec_lo
	v_cmpx_lt_u32_e64 v17, v29
	s_cbranch_execz .LBB1842_221
; %bb.220:
	v_add_f16_e32 v14, 0, v35
	v_add_f16_e32 v15, 0, v30
	s_delay_alu instid0(VALU_DEP_2) | instskip(NEXT) | instid1(VALU_DEP_1)
	v_cmp_lt_i16_e64 s7, -1, v14
	v_cndmask_b32_e64 v18, -1, 0xffff8000, s7
	s_delay_alu instid0(VALU_DEP_3) | instskip(NEXT) | instid1(VALU_DEP_2)
	v_cmp_lt_i16_e64 s7, -1, v15
	v_xor_b32_e32 v14, v18, v14
	s_delay_alu instid0(VALU_DEP_2) | instskip(NEXT) | instid1(VALU_DEP_1)
	v_cndmask_b32_e64 v19, -1, 0xffff8000, s7
	v_xor_b32_e32 v15, v19, v15
	s_delay_alu instid0(VALU_DEP_1)
	v_cmp_le_u16_e64 s7, v14, v15
	s_and_b32 s13, s7, exec_lo
.LBB1842_221:
	s_or_b32 exec_lo, exec_lo, s11
	s_delay_alu instid0(SALU_CYCLE_1)
	s_or_not1_b32 s11, s13, exec_lo
.LBB1842_222:
	s_or_b32 exec_lo, exec_lo, s12
	s_delay_alu instid0(VALU_DEP_2)
	v_cndmask_b32_e64 v14, v16, v17, s11
	v_cndmask_b32_e64 v15, v31, v29, s11
	s_mov_b32 s13, -1
	s_mov_b32 s12, -1
	s_mov_b32 s14, exec_lo
	v_add_nc_u32_e32 v19, 1, v14
	s_delay_alu instid0(VALU_DEP_1) | instskip(SKIP_2) | instid1(VALU_DEP_3)
	v_add_min_u32_e64 v15, v15, -1, v19
	v_cndmask_b32_e64 v18, v19, v16, s11
	v_lshl_add_u32 v14, v14, 3, v1
	v_lshl_add_u32 v15, v15, 1, v5
	ds_load_u16 v20, v15
	ds_load_b64 v[14:15], v14 offset:4096
	s_wait_dscnt 0x1
	v_dual_cndmask_b32 v19, v17, v19, s11 :: v_dual_cndmask_b32 v33, v20, v30, s11
	v_cndmask_b32_e64 v36, v35, v20, s11
	v_cmpx_lt_u32_e64 v18, v31
	s_cbranch_execz .LBB1842_226
; %bb.223:
	s_mov_b32 s15, 0
	s_mov_b32 s12, exec_lo
	v_cmpx_lt_u32_e64 v19, v29
	s_cbranch_execz .LBB1842_225
; %bb.224:
	v_add_f16_e32 v16, 0, v36
	v_add_f16_e32 v17, 0, v33
	s_delay_alu instid0(VALU_DEP_2) | instskip(NEXT) | instid1(VALU_DEP_1)
	v_cmp_lt_i16_e64 s7, -1, v16
	v_cndmask_b32_e64 v20, -1, 0xffff8000, s7
	s_delay_alu instid0(VALU_DEP_3) | instskip(NEXT) | instid1(VALU_DEP_2)
	v_cmp_lt_i16_e64 s7, -1, v17
	v_xor_b32_e32 v16, v20, v16
	s_delay_alu instid0(VALU_DEP_2) | instskip(NEXT) | instid1(VALU_DEP_1)
	v_cndmask_b32_e64 v21, -1, 0xffff8000, s7
	v_xor_b32_e32 v17, v21, v17
	s_delay_alu instid0(VALU_DEP_1)
	v_cmp_le_u16_e64 s7, v16, v17
	s_and_b32 s15, s7, exec_lo
.LBB1842_225:
	s_or_b32 exec_lo, exec_lo, s12
	s_delay_alu instid0(SALU_CYCLE_1)
	s_or_not1_b32 s12, s15, exec_lo
.LBB1842_226:
	s_or_b32 exec_lo, exec_lo, s14
	v_dual_cndmask_b32 v16, v18, v19, s12 :: v_dual_cndmask_b32 v17, v31, v29, s12
	s_mov_b32 s14, exec_lo
	s_delay_alu instid0(VALU_DEP_1) | instskip(SKIP_1) | instid1(VALU_DEP_2)
	v_add_nc_u32_e32 v21, 1, v16
	v_lshl_add_u32 v16, v16, 3, v1
	v_add_min_u32_e64 v17, v17, -1, v21
	s_delay_alu instid0(VALU_DEP_1)
	v_lshl_add_u32 v17, v17, 1, v5
	ds_load_u16 v22, v17
	ds_load_b64 v[16:17], v16 offset:4096
	s_wait_dscnt 0x1
	v_dual_cndmask_b32 v37, v22, v33, s12 :: v_dual_cndmask_b32 v20, v21, v18, s12
	v_dual_cndmask_b32 v21, v19, v21, s12 :: v_dual_cndmask_b32 v39, v36, v22, s12
	s_delay_alu instid0(VALU_DEP_2)
	v_cmpx_lt_u32_e64 v20, v31
	s_cbranch_execz .LBB1842_230
; %bb.227:
	s_mov_b32 s15, 0
	s_mov_b32 s13, exec_lo
	v_cmpx_lt_u32_e64 v21, v29
	s_cbranch_execz .LBB1842_229
; %bb.228:
	v_add_f16_e32 v18, 0, v39
	v_add_f16_e32 v19, 0, v37
	s_delay_alu instid0(VALU_DEP_2) | instskip(NEXT) | instid1(VALU_DEP_1)
	v_cmp_lt_i16_e64 s7, -1, v18
	v_cndmask_b32_e64 v22, -1, 0xffff8000, s7
	s_delay_alu instid0(VALU_DEP_3) | instskip(NEXT) | instid1(VALU_DEP_2)
	v_cmp_lt_i16_e64 s7, -1, v19
	v_xor_b32_e32 v18, v22, v18
	s_delay_alu instid0(VALU_DEP_2) | instskip(NEXT) | instid1(VALU_DEP_1)
	v_cndmask_b32_e64 v23, -1, 0xffff8000, s7
	v_xor_b32_e32 v19, v23, v19
	s_delay_alu instid0(VALU_DEP_1)
	v_cmp_le_u16_e64 s7, v18, v19
	s_and_b32 s15, s7, exec_lo
.LBB1842_229:
	s_or_b32 exec_lo, exec_lo, s13
	s_delay_alu instid0(SALU_CYCLE_1)
	s_or_not1_b32 s13, s15, exec_lo
.LBB1842_230:
	s_or_b32 exec_lo, exec_lo, s14
	s_delay_alu instid0(VALU_DEP_2)
	v_cndmask_b32_e64 v18, v20, v21, s13
	v_cndmask_b32_e64 v19, v31, v29, s13
	s_mov_b32 s15, -1
	s_mov_b32 s14, -1
	s_mov_b32 s16, exec_lo
	v_add_nc_u32_e32 v22, 1, v18
	s_delay_alu instid0(VALU_DEP_1) | instskip(SKIP_2) | instid1(VALU_DEP_3)
	v_add_min_u32_e64 v19, v19, -1, v22
	v_cndmask_b32_e64 v20, v22, v20, s13
	v_lshl_add_u32 v18, v18, 3, v1
	v_lshl_add_u32 v19, v19, 1, v5
	ds_load_u16 v23, v19
	ds_load_b64 v[18:19], v18 offset:4096
	s_wait_dscnt 0x1
	v_dual_cndmask_b32 v21, v21, v22, s13 :: v_dual_cndmask_b32 v38, v23, v37, s13
	v_cndmask_b32_e64 v48, v39, v23, s13
	v_cmpx_lt_u32_e64 v20, v31
	s_cbranch_execz .LBB1842_234
; %bb.231:
	s_mov_b32 s17, 0
	s_mov_b32 s14, exec_lo
	v_cmpx_lt_u32_e64 v21, v29
	s_cbranch_execz .LBB1842_233
; %bb.232:
	v_add_f16_e32 v22, 0, v48
	v_add_f16_e32 v23, 0, v38
	s_delay_alu instid0(VALU_DEP_2) | instskip(NEXT) | instid1(VALU_DEP_1)
	v_cmp_lt_i16_e64 s7, -1, v22
	v_cndmask_b32_e64 v24, -1, 0xffff8000, s7
	s_delay_alu instid0(VALU_DEP_3) | instskip(NEXT) | instid1(VALU_DEP_2)
	v_cmp_lt_i16_e64 s7, -1, v23
	v_xor_b32_e32 v22, v24, v22
	s_delay_alu instid0(VALU_DEP_2) | instskip(NEXT) | instid1(VALU_DEP_1)
	v_cndmask_b32_e64 v25, -1, 0xffff8000, s7
	v_xor_b32_e32 v23, v25, v23
	s_delay_alu instid0(VALU_DEP_1)
	v_cmp_le_u16_e64 s7, v22, v23
	s_and_b32 s17, s7, exec_lo
.LBB1842_233:
	s_or_b32 exec_lo, exec_lo, s14
	s_delay_alu instid0(SALU_CYCLE_1)
	s_or_not1_b32 s14, s17, exec_lo
.LBB1842_234:
	s_or_b32 exec_lo, exec_lo, s16
	v_cndmask_b32_e64 v22, v20, v21, s14
	v_cndmask_b32_e64 v23, v31, v29, s14
	s_mov_b32 s16, exec_lo
	s_delay_alu instid0(VALU_DEP_2) | instskip(NEXT) | instid1(VALU_DEP_1)
	v_add_nc_u32_e32 v25, 1, v22
	v_add_min_u32_e64 v23, v23, -1, v25
	v_cndmask_b32_e64 v24, v25, v20, s14
	v_lshl_add_u32 v22, v22, 3, v1
	v_cndmask_b32_e64 v25, v21, v25, s14
	s_delay_alu instid0(VALU_DEP_4)
	v_lshl_add_u32 v23, v23, 1, v5
	ds_load_u16 v49, v23
	ds_load_b64 v[22:23], v22 offset:4096
	s_wait_dscnt 0x1
	v_dual_cndmask_b32 v32, v49, v38, s14 :: v_dual_cndmask_b32 v49, v48, v49, s14
	v_cmpx_lt_u32_e64 v24, v31
	s_cbranch_execz .LBB1842_238
; %bb.235:
	s_mov_b32 s17, 0
	s_mov_b32 s15, exec_lo
	v_cmpx_lt_u32_e64 v25, v29
	s_cbranch_execz .LBB1842_237
; %bb.236:
	v_add_f16_e32 v20, 0, v49
	v_add_f16_e32 v21, 0, v32
	s_delay_alu instid0(VALU_DEP_2) | instskip(NEXT) | instid1(VALU_DEP_1)
	v_cmp_lt_i16_e64 s7, -1, v20
	v_cndmask_b32_e64 v50, -1, 0xffff8000, s7
	s_delay_alu instid0(VALU_DEP_3) | instskip(NEXT) | instid1(VALU_DEP_2)
	v_cmp_lt_i16_e64 s7, -1, v21
	v_xor_b32_e32 v20, v50, v20
	s_delay_alu instid0(VALU_DEP_2) | instskip(NEXT) | instid1(VALU_DEP_1)
	v_cndmask_b32_e64 v51, -1, 0xffff8000, s7
	v_xor_b32_e32 v21, v51, v21
	s_delay_alu instid0(VALU_DEP_1)
	v_cmp_le_u16_e64 s7, v20, v21
	s_and_b32 s17, s7, exec_lo
.LBB1842_237:
	s_or_b32 exec_lo, exec_lo, s15
	s_delay_alu instid0(SALU_CYCLE_1)
	s_or_not1_b32 s15, s17, exec_lo
.LBB1842_238:
	s_or_b32 exec_lo, exec_lo, s16
	v_cndmask_b32_e64 v20, v24, v25, s15
	v_cndmask_b32_e64 v21, v31, v29, s15
	s_mov_b32 s17, -1
	s_mov_b32 s16, exec_lo
	s_delay_alu instid0(VALU_DEP_2) | instskip(NEXT) | instid1(VALU_DEP_1)
	v_add_nc_u32_e32 v50, 1, v20
	v_add_min_u32_e64 v21, v21, -1, v50
	v_cndmask_b32_e64 v24, v50, v24, s15
	s_delay_alu instid0(VALU_DEP_2)
	v_lshl_add_u32 v5, v21, 1, v5
	ds_load_u16 v51, v5
	v_lshl_add_u32 v5, v20, 3, v1
	v_cndmask_b32_e64 v25, v25, v50, s15
	ds_load_b64 v[20:21], v5 offset:4096
	s_wait_dscnt 0x1
	v_dual_cndmask_b32 v5, v51, v32, s15 :: v_dual_cndmask_b32 v50, v49, v51, s15
	v_cmpx_lt_u32_e64 v24, v31
	s_cbranch_execz .LBB1842_242
; %bb.239:
	s_mov_b32 s18, 0
	s_mov_b32 s17, exec_lo
	v_cmpx_lt_u32_e64 v25, v29
	s_cbranch_execz .LBB1842_241
; %bb.240:
	v_add_f16_e32 v29, 0, v50
	v_add_f16_e32 v31, 0, v5
	s_delay_alu instid0(VALU_DEP_2) | instskip(NEXT) | instid1(VALU_DEP_1)
	v_cmp_lt_i16_e64 s7, -1, v29
	v_cndmask_b32_e64 v51, -1, 0xffff8000, s7
	s_delay_alu instid0(VALU_DEP_3) | instskip(NEXT) | instid1(VALU_DEP_2)
	v_cmp_lt_i16_e64 s7, -1, v31
	v_xor_b32_e32 v29, v51, v29
	s_delay_alu instid0(VALU_DEP_2) | instskip(NEXT) | instid1(VALU_DEP_1)
	v_cndmask_b32_e64 v52, -1, 0xffff8000, s7
	v_xor_b32_e32 v31, v52, v31
	s_delay_alu instid0(VALU_DEP_1)
	v_cmp_le_u16_e64 s7, v29, v31
	s_and_b32 s18, s7, exec_lo
.LBB1842_241:
	s_or_b32 exec_lo, exec_lo, s17
	s_delay_alu instid0(SALU_CYCLE_1)
	s_or_not1_b32 s17, s18, exec_lo
.LBB1842_242:
	s_or_b32 exec_lo, exec_lo, s16
	v_dual_cndmask_b32 v24, v24, v25, s17 :: v_dual_cndmask_b32 v38, v38, v48, s14
	v_dual_cndmask_b32 v32, v32, v49, s15 :: v_dual_cndmask_b32 v48, v37, v39, s13
	v_dual_cndmask_b32 v33, v33, v36, s12 :: v_dual_cndmask_b32 v30, v30, v35, s11
	s_delay_alu instid0(VALU_DEP_3)
	v_lshl_add_u32 v1, v24, 3, v1
	v_cndmask_b32_e64 v39, v28, v34, s8
	v_cndmask_b32_e64 v36, v27, v26, s10
	;; [unrolled: 1-line block ×3, first 2 shown]
	ds_load_b64 v[24:25], v1 offset:4096
.LBB1842_243:
	s_or_b32 exec_lo, exec_lo, s9
	v_lshl_add_u64 v[2:3], v[8:9], 1, v[2:3]
	v_mov_b32_e32 v1, 0
	; wave barrier
	s_wait_storecnt_dscnt 0x0
	s_barrier_signal -1
	s_delay_alu instid0(VALU_DEP_1)
	v_add_nc_u64_e32 v[0:1], v[2:3], v[0:1]
	s_barrier_wait -1
	; wave barrier
	s_and_saveexec_b32 s7, vcc_lo
	s_cbranch_execnz .LBB1842_268
; %bb.244:
	s_or_b32 exec_lo, exec_lo, s7
	s_and_saveexec_b32 s7, s0
	s_cbranch_execnz .LBB1842_269
.LBB1842_245:
	s_or_b32 exec_lo, exec_lo, s7
	s_and_saveexec_b32 s7, s1
	s_cbranch_execnz .LBB1842_270
.LBB1842_246:
	s_or_b32 exec_lo, exec_lo, s7
	s_and_saveexec_b32 s7, s2
	s_cbranch_execnz .LBB1842_271
.LBB1842_247:
	s_or_b32 exec_lo, exec_lo, s7
	s_and_saveexec_b32 s7, s3
	s_cbranch_execnz .LBB1842_272
.LBB1842_248:
	s_or_b32 exec_lo, exec_lo, s7
	s_and_saveexec_b32 s7, s4
	s_cbranch_execnz .LBB1842_273
.LBB1842_249:
	s_or_b32 exec_lo, exec_lo, s7
	s_and_saveexec_b32 s7, s5
	s_cbranch_execnz .LBB1842_274
.LBB1842_250:
	s_or_b32 exec_lo, exec_lo, s7
	s_and_saveexec_b32 s7, s6
	s_cbranch_execz .LBB1842_252
.LBB1842_251:
	flat_store_b16 v[0:1], v37 offset:14
.LBB1842_252:
	s_wait_xcnt 0x0
	s_or_b32 exec_lo, exec_lo, s7
	v_lshl_add_u64 v[0:1], v[8:9], 3, v[6:7]
	v_mov_b32_e32 v5, 0
	; wave barrier
	s_delay_alu instid0(VALU_DEP_1)
	v_add_nc_u64_e32 v[0:1], v[0:1], v[4:5]
	s_and_saveexec_b32 s7, vcc_lo
	s_cbranch_execnz .LBB1842_275
; %bb.253:
	s_or_b32 exec_lo, exec_lo, s7
	s_and_saveexec_b32 s7, s0
	s_cbranch_execnz .LBB1842_276
.LBB1842_254:
	s_or_b32 exec_lo, exec_lo, s7
	s_and_saveexec_b32 s0, s1
	s_cbranch_execnz .LBB1842_277
.LBB1842_255:
	s_or_b32 exec_lo, exec_lo, s0
	s_and_saveexec_b32 s0, s2
	s_cbranch_execnz .LBB1842_278
.LBB1842_256:
	s_or_b32 exec_lo, exec_lo, s0
	s_and_saveexec_b32 s0, s3
	s_cbranch_execnz .LBB1842_279
.LBB1842_257:
	s_or_b32 exec_lo, exec_lo, s0
	s_and_saveexec_b32 s0, s4
	s_cbranch_execnz .LBB1842_280
.LBB1842_258:
	s_or_b32 exec_lo, exec_lo, s0
	s_and_saveexec_b32 s0, s5
	s_cbranch_execnz .LBB1842_281
.LBB1842_259:
	s_or_b32 exec_lo, exec_lo, s0
	s_and_saveexec_b32 s0, s6
	s_cbranch_execnz .LBB1842_282
.LBB1842_260:
	s_or_b32 exec_lo, exec_lo, s0
	s_wait_dscnt 0x0
	s_set_pc_i64 s[30:31]
.LBB1842_261:
	flat_load_b64 v[10:11], v[26:27]
	s_wait_xcnt 0x0
	s_or_b32 exec_lo, exec_lo, s7
                                        ; implicit-def: $vgpr12_vgpr13
	s_and_saveexec_b32 s7, s0
	s_cbranch_execz .LBB1842_18
.LBB1842_262:
	flat_load_b64 v[12:13], v[26:27] offset:8
	s_wait_xcnt 0x0
	s_or_b32 exec_lo, exec_lo, s7
                                        ; implicit-def: $vgpr14_vgpr15
	s_and_saveexec_b32 s7, s1
	s_cbranch_execz .LBB1842_19
.LBB1842_263:
	flat_load_b64 v[14:15], v[26:27] offset:16
	s_wait_xcnt 0x0
	s_or_b32 exec_lo, exec_lo, s7
                                        ; implicit-def: $vgpr16_vgpr17
	s_and_saveexec_b32 s7, s2
	s_cbranch_execz .LBB1842_20
.LBB1842_264:
	flat_load_b64 v[16:17], v[26:27] offset:24
	s_wait_xcnt 0x0
	s_or_b32 exec_lo, exec_lo, s7
                                        ; implicit-def: $vgpr18_vgpr19
	s_and_saveexec_b32 s7, s3
	s_cbranch_execz .LBB1842_21
.LBB1842_265:
	flat_load_b64 v[18:19], v[26:27] offset:32
	s_wait_xcnt 0x0
	s_or_b32 exec_lo, exec_lo, s7
                                        ; implicit-def: $vgpr22_vgpr23
	s_and_saveexec_b32 s7, s4
	s_cbranch_execz .LBB1842_22
.LBB1842_266:
	flat_load_b64 v[22:23], v[26:27] offset:40
	s_wait_xcnt 0x0
	s_or_b32 exec_lo, exec_lo, s7
                                        ; implicit-def: $vgpr20_vgpr21
	s_and_saveexec_b32 s7, s5
	s_cbranch_execz .LBB1842_23
.LBB1842_267:
	flat_load_b64 v[20:21], v[26:27] offset:48
	s_wait_xcnt 0x0
	s_or_b32 exec_lo, exec_lo, s7
                                        ; implicit-def: $vgpr24_vgpr25
	s_and_saveexec_b32 s7, s6
	s_cbranch_execnz .LBB1842_24
	s_branch .LBB1842_25
.LBB1842_268:
	flat_store_b16 v[0:1], v36
	s_wait_xcnt 0x0
	s_or_b32 exec_lo, exec_lo, s7
	s_and_saveexec_b32 s7, s0
	s_cbranch_execz .LBB1842_245
.LBB1842_269:
	flat_store_b16 v[0:1], v39 offset:2
	s_wait_xcnt 0x0
	s_or_b32 exec_lo, exec_lo, s7
	s_and_saveexec_b32 s7, s1
	s_cbranch_execz .LBB1842_246
.LBB1842_270:
	flat_store_b16 v[0:1], v30 offset:4
	s_wait_xcnt 0x0
	s_or_b32 exec_lo, exec_lo, s7
	s_and_saveexec_b32 s7, s2
	s_cbranch_execz .LBB1842_247
.LBB1842_271:
	flat_store_b16 v[0:1], v33 offset:6
	s_wait_xcnt 0x0
	s_or_b32 exec_lo, exec_lo, s7
	s_and_saveexec_b32 s7, s3
	s_cbranch_execz .LBB1842_248
.LBB1842_272:
	flat_store_b16 v[0:1], v48 offset:8
	s_wait_xcnt 0x0
	s_or_b32 exec_lo, exec_lo, s7
	s_and_saveexec_b32 s7, s4
	s_cbranch_execz .LBB1842_249
.LBB1842_273:
	flat_store_b16 v[0:1], v38 offset:10
	s_wait_xcnt 0x0
	s_or_b32 exec_lo, exec_lo, s7
	s_and_saveexec_b32 s7, s5
	s_cbranch_execz .LBB1842_250
.LBB1842_274:
	flat_store_b16 v[0:1], v32 offset:12
	s_wait_xcnt 0x0
	s_or_b32 exec_lo, exec_lo, s7
	s_and_saveexec_b32 s7, s6
	s_cbranch_execnz .LBB1842_251
	s_branch .LBB1842_252
.LBB1842_275:
	flat_store_b64 v[0:1], v[10:11]
	s_wait_xcnt 0x0
	s_or_b32 exec_lo, exec_lo, s7
	s_and_saveexec_b32 s7, s0
	s_cbranch_execz .LBB1842_254
.LBB1842_276:
	flat_store_b64 v[0:1], v[12:13] offset:8
	s_wait_xcnt 0x0
	s_or_b32 exec_lo, exec_lo, s7
	s_and_saveexec_b32 s0, s1
	s_cbranch_execz .LBB1842_255
.LBB1842_277:
	flat_store_b64 v[0:1], v[14:15] offset:16
	s_wait_xcnt 0x0
	s_or_b32 exec_lo, exec_lo, s0
	s_and_saveexec_b32 s0, s2
	s_cbranch_execz .LBB1842_256
.LBB1842_278:
	flat_store_b64 v[0:1], v[16:17] offset:24
	s_wait_xcnt 0x0
	s_or_b32 exec_lo, exec_lo, s0
	s_and_saveexec_b32 s0, s3
	s_cbranch_execz .LBB1842_257
.LBB1842_279:
	flat_store_b64 v[0:1], v[18:19] offset:32
	s_wait_xcnt 0x0
	s_or_b32 exec_lo, exec_lo, s0
	s_and_saveexec_b32 s0, s4
	s_cbranch_execz .LBB1842_258
.LBB1842_280:
	flat_store_b64 v[0:1], v[22:23] offset:40
	s_wait_xcnt 0x0
	s_or_b32 exec_lo, exec_lo, s0
	s_and_saveexec_b32 s0, s5
	s_cbranch_execz .LBB1842_259
.LBB1842_281:
	flat_store_b64 v[0:1], v[20:21] offset:48
	s_wait_xcnt 0x0
	s_or_b32 exec_lo, exec_lo, s0
	s_and_saveexec_b32 s0, s6
	s_cbranch_execz .LBB1842_260
.LBB1842_282:
	flat_store_b64 v[0:1], v[24:25] offset:56
	s_wait_xcnt 0x0
	s_or_b32 exec_lo, exec_lo, s0
	s_wait_dscnt 0x0
	s_set_pc_i64 s[30:31]
.Lfunc_end1842:
	.size	_ZN7rocprim17ROCPRIM_400000_NS6detail26segmented_warp_sort_helperINS1_20WarpSortHelperConfigILj16ELj8ELj256EEE6__halflLi256ELb0EvE4sortIPKS5_PS5_PKlPlEEvT_T0_T1_T2_jjjjRNS6_12storage_typeE, .Lfunc_end1842-_ZN7rocprim17ROCPRIM_400000_NS6detail26segmented_warp_sort_helperINS1_20WarpSortHelperConfigILj16ELj8ELj256EEE6__halflLi256ELb0EvE4sortIPKS5_PS5_PKlPlEEvT_T0_T1_T2_jjjjRNS6_12storage_typeE
                                        ; -- End function
	.set .L_ZN7rocprim17ROCPRIM_400000_NS6detail26segmented_warp_sort_helperINS1_20WarpSortHelperConfigILj16ELj8ELj256EEE6__halflLi256ELb0EvE4sortIPKS5_PS5_PKlPlEEvT_T0_T1_T2_jjjjRNS6_12storage_typeE.num_vgpr, 68
	.set .L_ZN7rocprim17ROCPRIM_400000_NS6detail26segmented_warp_sort_helperINS1_20WarpSortHelperConfigILj16ELj8ELj256EEE6__halflLi256ELb0EvE4sortIPKS5_PS5_PKlPlEEvT_T0_T1_T2_jjjjRNS6_12storage_typeE.num_agpr, 0
	.set .L_ZN7rocprim17ROCPRIM_400000_NS6detail26segmented_warp_sort_helperINS1_20WarpSortHelperConfigILj16ELj8ELj256EEE6__halflLi256ELb0EvE4sortIPKS5_PS5_PKlPlEEvT_T0_T1_T2_jjjjRNS6_12storage_typeE.numbered_sgpr, 32
	.set .L_ZN7rocprim17ROCPRIM_400000_NS6detail26segmented_warp_sort_helperINS1_20WarpSortHelperConfigILj16ELj8ELj256EEE6__halflLi256ELb0EvE4sortIPKS5_PS5_PKlPlEEvT_T0_T1_T2_jjjjRNS6_12storage_typeE.num_named_barrier, 0
	.set .L_ZN7rocprim17ROCPRIM_400000_NS6detail26segmented_warp_sort_helperINS1_20WarpSortHelperConfigILj16ELj8ELj256EEE6__halflLi256ELb0EvE4sortIPKS5_PS5_PKlPlEEvT_T0_T1_T2_jjjjRNS6_12storage_typeE.private_seg_size, 0
	.set .L_ZN7rocprim17ROCPRIM_400000_NS6detail26segmented_warp_sort_helperINS1_20WarpSortHelperConfigILj16ELj8ELj256EEE6__halflLi256ELb0EvE4sortIPKS5_PS5_PKlPlEEvT_T0_T1_T2_jjjjRNS6_12storage_typeE.uses_vcc, 1
	.set .L_ZN7rocprim17ROCPRIM_400000_NS6detail26segmented_warp_sort_helperINS1_20WarpSortHelperConfigILj16ELj8ELj256EEE6__halflLi256ELb0EvE4sortIPKS5_PS5_PKlPlEEvT_T0_T1_T2_jjjjRNS6_12storage_typeE.uses_flat_scratch, 0
	.set .L_ZN7rocprim17ROCPRIM_400000_NS6detail26segmented_warp_sort_helperINS1_20WarpSortHelperConfigILj16ELj8ELj256EEE6__halflLi256ELb0EvE4sortIPKS5_PS5_PKlPlEEvT_T0_T1_T2_jjjjRNS6_12storage_typeE.has_dyn_sized_stack, 0
	.set .L_ZN7rocprim17ROCPRIM_400000_NS6detail26segmented_warp_sort_helperINS1_20WarpSortHelperConfigILj16ELj8ELj256EEE6__halflLi256ELb0EvE4sortIPKS5_PS5_PKlPlEEvT_T0_T1_T2_jjjjRNS6_12storage_typeE.has_recursion, 0
	.set .L_ZN7rocprim17ROCPRIM_400000_NS6detail26segmented_warp_sort_helperINS1_20WarpSortHelperConfigILj16ELj8ELj256EEE6__halflLi256ELb0EvE4sortIPKS5_PS5_PKlPlEEvT_T0_T1_T2_jjjjRNS6_12storage_typeE.has_indirect_call, 0
	.section	.AMDGPU.csdata,"",@progbits
; Function info:
; codeLenInByte = 14696
; TotalNumSgprs: 34
; NumVgprs: 68
; ScratchSize: 0
; MemoryBound: 0
	.section	.text._ZN7rocprim17ROCPRIM_400000_NS6detail17trampoline_kernelINS0_14default_configENS1_36segmented_radix_sort_config_selectorI6__halflEEZNS1_25segmented_radix_sort_implIS3_Lb0EPKS5_PS5_PKlPlN2at6native12_GLOBAL__N_18offset_tEEE10hipError_tPvRmT1_PNSt15iterator_traitsISL_E10value_typeET2_T3_PNSM_ISR_E10value_typeET4_jRbjT5_SX_jjP12ihipStream_tbEUlT_E0_NS1_11comp_targetILNS1_3genE0ELNS1_11target_archE4294967295ELNS1_3gpuE0ELNS1_3repE0EEENS1_60segmented_radix_sort_warp_sort_medium_config_static_selectorELNS0_4arch9wavefront6targetE0EEEvSL_,"axG",@progbits,_ZN7rocprim17ROCPRIM_400000_NS6detail17trampoline_kernelINS0_14default_configENS1_36segmented_radix_sort_config_selectorI6__halflEEZNS1_25segmented_radix_sort_implIS3_Lb0EPKS5_PS5_PKlPlN2at6native12_GLOBAL__N_18offset_tEEE10hipError_tPvRmT1_PNSt15iterator_traitsISL_E10value_typeET2_T3_PNSM_ISR_E10value_typeET4_jRbjT5_SX_jjP12ihipStream_tbEUlT_E0_NS1_11comp_targetILNS1_3genE0ELNS1_11target_archE4294967295ELNS1_3gpuE0ELNS1_3repE0EEENS1_60segmented_radix_sort_warp_sort_medium_config_static_selectorELNS0_4arch9wavefront6targetE0EEEvSL_,comdat
	.globl	_ZN7rocprim17ROCPRIM_400000_NS6detail17trampoline_kernelINS0_14default_configENS1_36segmented_radix_sort_config_selectorI6__halflEEZNS1_25segmented_radix_sort_implIS3_Lb0EPKS5_PS5_PKlPlN2at6native12_GLOBAL__N_18offset_tEEE10hipError_tPvRmT1_PNSt15iterator_traitsISL_E10value_typeET2_T3_PNSM_ISR_E10value_typeET4_jRbjT5_SX_jjP12ihipStream_tbEUlT_E0_NS1_11comp_targetILNS1_3genE0ELNS1_11target_archE4294967295ELNS1_3gpuE0ELNS1_3repE0EEENS1_60segmented_radix_sort_warp_sort_medium_config_static_selectorELNS0_4arch9wavefront6targetE0EEEvSL_ ; -- Begin function _ZN7rocprim17ROCPRIM_400000_NS6detail17trampoline_kernelINS0_14default_configENS1_36segmented_radix_sort_config_selectorI6__halflEEZNS1_25segmented_radix_sort_implIS3_Lb0EPKS5_PS5_PKlPlN2at6native12_GLOBAL__N_18offset_tEEE10hipError_tPvRmT1_PNSt15iterator_traitsISL_E10value_typeET2_T3_PNSM_ISR_E10value_typeET4_jRbjT5_SX_jjP12ihipStream_tbEUlT_E0_NS1_11comp_targetILNS1_3genE0ELNS1_11target_archE4294967295ELNS1_3gpuE0ELNS1_3repE0EEENS1_60segmented_radix_sort_warp_sort_medium_config_static_selectorELNS0_4arch9wavefront6targetE0EEEvSL_
	.p2align	8
	.type	_ZN7rocprim17ROCPRIM_400000_NS6detail17trampoline_kernelINS0_14default_configENS1_36segmented_radix_sort_config_selectorI6__halflEEZNS1_25segmented_radix_sort_implIS3_Lb0EPKS5_PS5_PKlPlN2at6native12_GLOBAL__N_18offset_tEEE10hipError_tPvRmT1_PNSt15iterator_traitsISL_E10value_typeET2_T3_PNSM_ISR_E10value_typeET4_jRbjT5_SX_jjP12ihipStream_tbEUlT_E0_NS1_11comp_targetILNS1_3genE0ELNS1_11target_archE4294967295ELNS1_3gpuE0ELNS1_3repE0EEENS1_60segmented_radix_sort_warp_sort_medium_config_static_selectorELNS0_4arch9wavefront6targetE0EEEvSL_,@function
_ZN7rocprim17ROCPRIM_400000_NS6detail17trampoline_kernelINS0_14default_configENS1_36segmented_radix_sort_config_selectorI6__halflEEZNS1_25segmented_radix_sort_implIS3_Lb0EPKS5_PS5_PKlPlN2at6native12_GLOBAL__N_18offset_tEEE10hipError_tPvRmT1_PNSt15iterator_traitsISL_E10value_typeET2_T3_PNSM_ISR_E10value_typeET4_jRbjT5_SX_jjP12ihipStream_tbEUlT_E0_NS1_11comp_targetILNS1_3genE0ELNS1_11target_archE4294967295ELNS1_3gpuE0ELNS1_3repE0EEENS1_60segmented_radix_sort_warp_sort_medium_config_static_selectorELNS0_4arch9wavefront6targetE0EEEvSL_: ; @_ZN7rocprim17ROCPRIM_400000_NS6detail17trampoline_kernelINS0_14default_configENS1_36segmented_radix_sort_config_selectorI6__halflEEZNS1_25segmented_radix_sort_implIS3_Lb0EPKS5_PS5_PKlPlN2at6native12_GLOBAL__N_18offset_tEEE10hipError_tPvRmT1_PNSt15iterator_traitsISL_E10value_typeET2_T3_PNSM_ISR_E10value_typeET4_jRbjT5_SX_jjP12ihipStream_tbEUlT_E0_NS1_11comp_targetILNS1_3genE0ELNS1_11target_archE4294967295ELNS1_3gpuE0ELNS1_3repE0EEENS1_60segmented_radix_sort_warp_sort_medium_config_static_selectorELNS0_4arch9wavefront6targetE0EEEvSL_
; %bb.0:
	s_load_b32 s4, s[2:3], 0x64
	v_bfe_u32 v1, v0, 10, 10
	v_bfe_u32 v2, v0, 20, 10
	v_and_b32_e32 v3, 0x3ff, v0
	s_and_b32 s6, ttmp6, 15
	s_getreg_b32 s7, hwreg(HW_REG_IB_STS2, 6, 4)
	s_mov_b32 s32, 0
	s_wait_kmcnt 0x0
	s_lshr_b32 s5, s4, 16
	s_and_b32 s4, s4, 0xffff
	v_mad_u32_u24 v1, v2, s5, v1
	s_bfe_u32 s5, ttmp6, 0x4000c
	s_delay_alu instid0(SALU_CYCLE_1) | instskip(NEXT) | instid1(SALU_CYCLE_1)
	s_add_co_i32 s5, s5, 1
	s_mul_i32 s5, ttmp9, s5
	s_delay_alu instid0(VALU_DEP_1) | instskip(SKIP_4) | instid1(VALU_DEP_1)
	v_mad_u32 v1, v1, s4, v3
	s_load_b32 s4, s[2:3], 0x34
	s_add_co_i32 s6, s6, s5
	s_cmp_eq_u32 s7, 0
	s_cselect_b32 s5, ttmp9, s6
	v_lshrrev_b32_e32 v1, 4, v1
	s_delay_alu instid0(VALU_DEP_1) | instskip(SKIP_1) | instid1(VALU_DEP_1)
	v_lshl_add_u32 v1, s5, 4, v1
	s_wait_kmcnt 0x0
	v_cmp_gt_u32_e32 vcc_lo, s4, v1
	s_and_saveexec_b32 s4, vcc_lo
	s_cbranch_execz .LBB1843_6
; %bb.1:
	s_clause 0x1
	s_load_b64 s[8:9], s[2:3], 0x38
	s_load_b128 s[4:7], s[2:3], 0x40
	s_wait_kmcnt 0x0
	global_load_b32 v1, v1, s[8:9] scale_offset
	s_wait_loadcnt 0x0
	v_dual_add_nc_u32 v2, s5, v1 :: v_dual_add_nc_u32 v1, s7, v1
	s_delay_alu instid0(VALU_DEP_1) | instskip(NEXT) | instid1(VALU_DEP_2)
	v_mul_lo_u32 v8, v2, s4
	v_mul_lo_u32 v40, v1, s6
	s_delay_alu instid0(VALU_DEP_1)
	v_cmp_gt_u32_e32 vcc_lo, v40, v8
	s_and_b32 exec_lo, exec_lo, vcc_lo
	s_cbranch_execz .LBB1843_6
; %bb.2:
	s_clause 0x2
	s_load_b32 s4, s[2:3], 0x30
	s_load_b128 s[24:27], s[2:3], 0x20
	s_load_b256 s[36:43], s[2:3], 0x0
	s_add_nc_u64 s[20:21], s[2:3], 0x58
	s_get_pc_i64 s[22:23]
	s_add_nc_u64 s[22:23], s[22:23], _ZN7rocprim17ROCPRIM_400000_NS6detail26segmented_warp_sort_helperINS1_20WarpSortHelperConfigILj16ELj8ELj256EEE6__halflLi256ELb0EvE4sortIPKS5_PS5_PKlPlEEvT_T0_T1_T2_jjjjRNS6_12storage_typeE@rel64+4
	s_wait_kmcnt 0x0
	s_bitcmp0_b32 s4, 0
	s_mov_b32 s4, -1
	s_cbranch_scc0 .LBB1843_4
; %bb.3:
	v_dual_mov_b32 v31, v0 :: v_dual_mov_b32 v41, v0
	v_dual_mov_b32 v0, s36 :: v_dual_mov_b32 v1, s37
	v_dual_mov_b32 v2, s38 :: v_dual_mov_b32 v3, s39
	v_dual_mov_b32 v4, s42 :: v_dual_mov_b32 v5, s43
	v_dual_mov_b32 v6, s24 :: v_dual_mov_b32 v7, s25
	v_mov_b32_e32 v9, v40
	s_mov_b64 s[6:7], s[0:1]
	s_mov_b64 s[8:9], s[20:21]
	s_mov_b64 s[24:25], s[0:1]
	s_swap_pc_i64 s[30:31], s[22:23]
	v_mov_b32_e32 v0, v41
	s_mov_b64 s[0:1], s[24:25]
	s_mov_b32 s4, 0
.LBB1843_4:
	s_delay_alu instid0(SALU_CYCLE_1)
	s_and_not1_b32 vcc_lo, exec_lo, s4
	s_cbranch_vccnz .LBB1843_6
; %bb.5:
	v_dual_mov_b32 v31, v0 :: v_dual_mov_b32 v0, s36
	v_dual_mov_b32 v1, s37 :: v_dual_mov_b32 v2, s40
	;; [unrolled: 1-line block ×5, first 2 shown]
	s_mov_b64 s[6:7], s[0:1]
	s_mov_b64 s[8:9], s[20:21]
	s_swap_pc_i64 s[30:31], s[22:23]
.LBB1843_6:
	s_endpgm
	.section	.rodata,"a",@progbits
	.p2align	6, 0x0
	.amdhsa_kernel _ZN7rocprim17ROCPRIM_400000_NS6detail17trampoline_kernelINS0_14default_configENS1_36segmented_radix_sort_config_selectorI6__halflEEZNS1_25segmented_radix_sort_implIS3_Lb0EPKS5_PS5_PKlPlN2at6native12_GLOBAL__N_18offset_tEEE10hipError_tPvRmT1_PNSt15iterator_traitsISL_E10value_typeET2_T3_PNSM_ISR_E10value_typeET4_jRbjT5_SX_jjP12ihipStream_tbEUlT_E0_NS1_11comp_targetILNS1_3genE0ELNS1_11target_archE4294967295ELNS1_3gpuE0ELNS1_3repE0EEENS1_60segmented_radix_sort_warp_sort_medium_config_static_selectorELNS0_4arch9wavefront6targetE0EEEvSL_
		.amdhsa_group_segment_fixed_size 20480
		.amdhsa_private_segment_fixed_size 0
		.amdhsa_kernarg_size 344
		.amdhsa_user_sgpr_count 4
		.amdhsa_user_sgpr_dispatch_ptr 0
		.amdhsa_user_sgpr_queue_ptr 1
		.amdhsa_user_sgpr_kernarg_segment_ptr 1
		.amdhsa_user_sgpr_dispatch_id 0
		.amdhsa_user_sgpr_kernarg_preload_length 0
		.amdhsa_user_sgpr_kernarg_preload_offset 0
		.amdhsa_user_sgpr_private_segment_size 0
		.amdhsa_wavefront_size32 1
		.amdhsa_uses_dynamic_stack 0
		.amdhsa_enable_private_segment 0
		.amdhsa_system_sgpr_workgroup_id_x 1
		.amdhsa_system_sgpr_workgroup_id_y 1
		.amdhsa_system_sgpr_workgroup_id_z 0
		.amdhsa_system_sgpr_workgroup_info 0
		.amdhsa_system_vgpr_workitem_id 2
		.amdhsa_next_free_vgpr 68
		.amdhsa_next_free_sgpr 44
		.amdhsa_named_barrier_count 0
		.amdhsa_reserve_vcc 1
		.amdhsa_float_round_mode_32 0
		.amdhsa_float_round_mode_16_64 0
		.amdhsa_float_denorm_mode_32 3
		.amdhsa_float_denorm_mode_16_64 3
		.amdhsa_fp16_overflow 0
		.amdhsa_memory_ordered 1
		.amdhsa_forward_progress 1
		.amdhsa_inst_pref_size 4
		.amdhsa_round_robin_scheduling 0
		.amdhsa_exception_fp_ieee_invalid_op 0
		.amdhsa_exception_fp_denorm_src 0
		.amdhsa_exception_fp_ieee_div_zero 0
		.amdhsa_exception_fp_ieee_overflow 0
		.amdhsa_exception_fp_ieee_underflow 0
		.amdhsa_exception_fp_ieee_inexact 0
		.amdhsa_exception_int_div_zero 0
	.end_amdhsa_kernel
	.section	.text._ZN7rocprim17ROCPRIM_400000_NS6detail17trampoline_kernelINS0_14default_configENS1_36segmented_radix_sort_config_selectorI6__halflEEZNS1_25segmented_radix_sort_implIS3_Lb0EPKS5_PS5_PKlPlN2at6native12_GLOBAL__N_18offset_tEEE10hipError_tPvRmT1_PNSt15iterator_traitsISL_E10value_typeET2_T3_PNSM_ISR_E10value_typeET4_jRbjT5_SX_jjP12ihipStream_tbEUlT_E0_NS1_11comp_targetILNS1_3genE0ELNS1_11target_archE4294967295ELNS1_3gpuE0ELNS1_3repE0EEENS1_60segmented_radix_sort_warp_sort_medium_config_static_selectorELNS0_4arch9wavefront6targetE0EEEvSL_,"axG",@progbits,_ZN7rocprim17ROCPRIM_400000_NS6detail17trampoline_kernelINS0_14default_configENS1_36segmented_radix_sort_config_selectorI6__halflEEZNS1_25segmented_radix_sort_implIS3_Lb0EPKS5_PS5_PKlPlN2at6native12_GLOBAL__N_18offset_tEEE10hipError_tPvRmT1_PNSt15iterator_traitsISL_E10value_typeET2_T3_PNSM_ISR_E10value_typeET4_jRbjT5_SX_jjP12ihipStream_tbEUlT_E0_NS1_11comp_targetILNS1_3genE0ELNS1_11target_archE4294967295ELNS1_3gpuE0ELNS1_3repE0EEENS1_60segmented_radix_sort_warp_sort_medium_config_static_selectorELNS0_4arch9wavefront6targetE0EEEvSL_,comdat
.Lfunc_end1843:
	.size	_ZN7rocprim17ROCPRIM_400000_NS6detail17trampoline_kernelINS0_14default_configENS1_36segmented_radix_sort_config_selectorI6__halflEEZNS1_25segmented_radix_sort_implIS3_Lb0EPKS5_PS5_PKlPlN2at6native12_GLOBAL__N_18offset_tEEE10hipError_tPvRmT1_PNSt15iterator_traitsISL_E10value_typeET2_T3_PNSM_ISR_E10value_typeET4_jRbjT5_SX_jjP12ihipStream_tbEUlT_E0_NS1_11comp_targetILNS1_3genE0ELNS1_11target_archE4294967295ELNS1_3gpuE0ELNS1_3repE0EEENS1_60segmented_radix_sort_warp_sort_medium_config_static_selectorELNS0_4arch9wavefront6targetE0EEEvSL_, .Lfunc_end1843-_ZN7rocprim17ROCPRIM_400000_NS6detail17trampoline_kernelINS0_14default_configENS1_36segmented_radix_sort_config_selectorI6__halflEEZNS1_25segmented_radix_sort_implIS3_Lb0EPKS5_PS5_PKlPlN2at6native12_GLOBAL__N_18offset_tEEE10hipError_tPvRmT1_PNSt15iterator_traitsISL_E10value_typeET2_T3_PNSM_ISR_E10value_typeET4_jRbjT5_SX_jjP12ihipStream_tbEUlT_E0_NS1_11comp_targetILNS1_3genE0ELNS1_11target_archE4294967295ELNS1_3gpuE0ELNS1_3repE0EEENS1_60segmented_radix_sort_warp_sort_medium_config_static_selectorELNS0_4arch9wavefront6targetE0EEEvSL_
                                        ; -- End function
	.set _ZN7rocprim17ROCPRIM_400000_NS6detail17trampoline_kernelINS0_14default_configENS1_36segmented_radix_sort_config_selectorI6__halflEEZNS1_25segmented_radix_sort_implIS3_Lb0EPKS5_PS5_PKlPlN2at6native12_GLOBAL__N_18offset_tEEE10hipError_tPvRmT1_PNSt15iterator_traitsISL_E10value_typeET2_T3_PNSM_ISR_E10value_typeET4_jRbjT5_SX_jjP12ihipStream_tbEUlT_E0_NS1_11comp_targetILNS1_3genE0ELNS1_11target_archE4294967295ELNS1_3gpuE0ELNS1_3repE0EEENS1_60segmented_radix_sort_warp_sort_medium_config_static_selectorELNS0_4arch9wavefront6targetE0EEEvSL_.num_vgpr, max(42, .L_ZN7rocprim17ROCPRIM_400000_NS6detail26segmented_warp_sort_helperINS1_20WarpSortHelperConfigILj16ELj8ELj256EEE6__halflLi256ELb0EvE4sortIPKS5_PS5_PKlPlEEvT_T0_T1_T2_jjjjRNS6_12storage_typeE.num_vgpr)
	.set _ZN7rocprim17ROCPRIM_400000_NS6detail17trampoline_kernelINS0_14default_configENS1_36segmented_radix_sort_config_selectorI6__halflEEZNS1_25segmented_radix_sort_implIS3_Lb0EPKS5_PS5_PKlPlN2at6native12_GLOBAL__N_18offset_tEEE10hipError_tPvRmT1_PNSt15iterator_traitsISL_E10value_typeET2_T3_PNSM_ISR_E10value_typeET4_jRbjT5_SX_jjP12ihipStream_tbEUlT_E0_NS1_11comp_targetILNS1_3genE0ELNS1_11target_archE4294967295ELNS1_3gpuE0ELNS1_3repE0EEENS1_60segmented_radix_sort_warp_sort_medium_config_static_selectorELNS0_4arch9wavefront6targetE0EEEvSL_.num_agpr, max(0, .L_ZN7rocprim17ROCPRIM_400000_NS6detail26segmented_warp_sort_helperINS1_20WarpSortHelperConfigILj16ELj8ELj256EEE6__halflLi256ELb0EvE4sortIPKS5_PS5_PKlPlEEvT_T0_T1_T2_jjjjRNS6_12storage_typeE.num_agpr)
	.set _ZN7rocprim17ROCPRIM_400000_NS6detail17trampoline_kernelINS0_14default_configENS1_36segmented_radix_sort_config_selectorI6__halflEEZNS1_25segmented_radix_sort_implIS3_Lb0EPKS5_PS5_PKlPlN2at6native12_GLOBAL__N_18offset_tEEE10hipError_tPvRmT1_PNSt15iterator_traitsISL_E10value_typeET2_T3_PNSM_ISR_E10value_typeET4_jRbjT5_SX_jjP12ihipStream_tbEUlT_E0_NS1_11comp_targetILNS1_3genE0ELNS1_11target_archE4294967295ELNS1_3gpuE0ELNS1_3repE0EEENS1_60segmented_radix_sort_warp_sort_medium_config_static_selectorELNS0_4arch9wavefront6targetE0EEEvSL_.numbered_sgpr, max(44, .L_ZN7rocprim17ROCPRIM_400000_NS6detail26segmented_warp_sort_helperINS1_20WarpSortHelperConfigILj16ELj8ELj256EEE6__halflLi256ELb0EvE4sortIPKS5_PS5_PKlPlEEvT_T0_T1_T2_jjjjRNS6_12storage_typeE.numbered_sgpr)
	.set _ZN7rocprim17ROCPRIM_400000_NS6detail17trampoline_kernelINS0_14default_configENS1_36segmented_radix_sort_config_selectorI6__halflEEZNS1_25segmented_radix_sort_implIS3_Lb0EPKS5_PS5_PKlPlN2at6native12_GLOBAL__N_18offset_tEEE10hipError_tPvRmT1_PNSt15iterator_traitsISL_E10value_typeET2_T3_PNSM_ISR_E10value_typeET4_jRbjT5_SX_jjP12ihipStream_tbEUlT_E0_NS1_11comp_targetILNS1_3genE0ELNS1_11target_archE4294967295ELNS1_3gpuE0ELNS1_3repE0EEENS1_60segmented_radix_sort_warp_sort_medium_config_static_selectorELNS0_4arch9wavefront6targetE0EEEvSL_.num_named_barrier, max(0, .L_ZN7rocprim17ROCPRIM_400000_NS6detail26segmented_warp_sort_helperINS1_20WarpSortHelperConfigILj16ELj8ELj256EEE6__halflLi256ELb0EvE4sortIPKS5_PS5_PKlPlEEvT_T0_T1_T2_jjjjRNS6_12storage_typeE.num_named_barrier)
	.set _ZN7rocprim17ROCPRIM_400000_NS6detail17trampoline_kernelINS0_14default_configENS1_36segmented_radix_sort_config_selectorI6__halflEEZNS1_25segmented_radix_sort_implIS3_Lb0EPKS5_PS5_PKlPlN2at6native12_GLOBAL__N_18offset_tEEE10hipError_tPvRmT1_PNSt15iterator_traitsISL_E10value_typeET2_T3_PNSM_ISR_E10value_typeET4_jRbjT5_SX_jjP12ihipStream_tbEUlT_E0_NS1_11comp_targetILNS1_3genE0ELNS1_11target_archE4294967295ELNS1_3gpuE0ELNS1_3repE0EEENS1_60segmented_radix_sort_warp_sort_medium_config_static_selectorELNS0_4arch9wavefront6targetE0EEEvSL_.private_seg_size, 0+max(.L_ZN7rocprim17ROCPRIM_400000_NS6detail26segmented_warp_sort_helperINS1_20WarpSortHelperConfigILj16ELj8ELj256EEE6__halflLi256ELb0EvE4sortIPKS5_PS5_PKlPlEEvT_T0_T1_T2_jjjjRNS6_12storage_typeE.private_seg_size)
	.set _ZN7rocprim17ROCPRIM_400000_NS6detail17trampoline_kernelINS0_14default_configENS1_36segmented_radix_sort_config_selectorI6__halflEEZNS1_25segmented_radix_sort_implIS3_Lb0EPKS5_PS5_PKlPlN2at6native12_GLOBAL__N_18offset_tEEE10hipError_tPvRmT1_PNSt15iterator_traitsISL_E10value_typeET2_T3_PNSM_ISR_E10value_typeET4_jRbjT5_SX_jjP12ihipStream_tbEUlT_E0_NS1_11comp_targetILNS1_3genE0ELNS1_11target_archE4294967295ELNS1_3gpuE0ELNS1_3repE0EEENS1_60segmented_radix_sort_warp_sort_medium_config_static_selectorELNS0_4arch9wavefront6targetE0EEEvSL_.uses_vcc, or(1, .L_ZN7rocprim17ROCPRIM_400000_NS6detail26segmented_warp_sort_helperINS1_20WarpSortHelperConfigILj16ELj8ELj256EEE6__halflLi256ELb0EvE4sortIPKS5_PS5_PKlPlEEvT_T0_T1_T2_jjjjRNS6_12storage_typeE.uses_vcc)
	.set _ZN7rocprim17ROCPRIM_400000_NS6detail17trampoline_kernelINS0_14default_configENS1_36segmented_radix_sort_config_selectorI6__halflEEZNS1_25segmented_radix_sort_implIS3_Lb0EPKS5_PS5_PKlPlN2at6native12_GLOBAL__N_18offset_tEEE10hipError_tPvRmT1_PNSt15iterator_traitsISL_E10value_typeET2_T3_PNSM_ISR_E10value_typeET4_jRbjT5_SX_jjP12ihipStream_tbEUlT_E0_NS1_11comp_targetILNS1_3genE0ELNS1_11target_archE4294967295ELNS1_3gpuE0ELNS1_3repE0EEENS1_60segmented_radix_sort_warp_sort_medium_config_static_selectorELNS0_4arch9wavefront6targetE0EEEvSL_.uses_flat_scratch, or(0, .L_ZN7rocprim17ROCPRIM_400000_NS6detail26segmented_warp_sort_helperINS1_20WarpSortHelperConfigILj16ELj8ELj256EEE6__halflLi256ELb0EvE4sortIPKS5_PS5_PKlPlEEvT_T0_T1_T2_jjjjRNS6_12storage_typeE.uses_flat_scratch)
	.set _ZN7rocprim17ROCPRIM_400000_NS6detail17trampoline_kernelINS0_14default_configENS1_36segmented_radix_sort_config_selectorI6__halflEEZNS1_25segmented_radix_sort_implIS3_Lb0EPKS5_PS5_PKlPlN2at6native12_GLOBAL__N_18offset_tEEE10hipError_tPvRmT1_PNSt15iterator_traitsISL_E10value_typeET2_T3_PNSM_ISR_E10value_typeET4_jRbjT5_SX_jjP12ihipStream_tbEUlT_E0_NS1_11comp_targetILNS1_3genE0ELNS1_11target_archE4294967295ELNS1_3gpuE0ELNS1_3repE0EEENS1_60segmented_radix_sort_warp_sort_medium_config_static_selectorELNS0_4arch9wavefront6targetE0EEEvSL_.has_dyn_sized_stack, or(0, .L_ZN7rocprim17ROCPRIM_400000_NS6detail26segmented_warp_sort_helperINS1_20WarpSortHelperConfigILj16ELj8ELj256EEE6__halflLi256ELb0EvE4sortIPKS5_PS5_PKlPlEEvT_T0_T1_T2_jjjjRNS6_12storage_typeE.has_dyn_sized_stack)
	.set _ZN7rocprim17ROCPRIM_400000_NS6detail17trampoline_kernelINS0_14default_configENS1_36segmented_radix_sort_config_selectorI6__halflEEZNS1_25segmented_radix_sort_implIS3_Lb0EPKS5_PS5_PKlPlN2at6native12_GLOBAL__N_18offset_tEEE10hipError_tPvRmT1_PNSt15iterator_traitsISL_E10value_typeET2_T3_PNSM_ISR_E10value_typeET4_jRbjT5_SX_jjP12ihipStream_tbEUlT_E0_NS1_11comp_targetILNS1_3genE0ELNS1_11target_archE4294967295ELNS1_3gpuE0ELNS1_3repE0EEENS1_60segmented_radix_sort_warp_sort_medium_config_static_selectorELNS0_4arch9wavefront6targetE0EEEvSL_.has_recursion, or(0, .L_ZN7rocprim17ROCPRIM_400000_NS6detail26segmented_warp_sort_helperINS1_20WarpSortHelperConfigILj16ELj8ELj256EEE6__halflLi256ELb0EvE4sortIPKS5_PS5_PKlPlEEvT_T0_T1_T2_jjjjRNS6_12storage_typeE.has_recursion)
	.set _ZN7rocprim17ROCPRIM_400000_NS6detail17trampoline_kernelINS0_14default_configENS1_36segmented_radix_sort_config_selectorI6__halflEEZNS1_25segmented_radix_sort_implIS3_Lb0EPKS5_PS5_PKlPlN2at6native12_GLOBAL__N_18offset_tEEE10hipError_tPvRmT1_PNSt15iterator_traitsISL_E10value_typeET2_T3_PNSM_ISR_E10value_typeET4_jRbjT5_SX_jjP12ihipStream_tbEUlT_E0_NS1_11comp_targetILNS1_3genE0ELNS1_11target_archE4294967295ELNS1_3gpuE0ELNS1_3repE0EEENS1_60segmented_radix_sort_warp_sort_medium_config_static_selectorELNS0_4arch9wavefront6targetE0EEEvSL_.has_indirect_call, or(0, .L_ZN7rocprim17ROCPRIM_400000_NS6detail26segmented_warp_sort_helperINS1_20WarpSortHelperConfigILj16ELj8ELj256EEE6__halflLi256ELb0EvE4sortIPKS5_PS5_PKlPlEEvT_T0_T1_T2_jjjjRNS6_12storage_typeE.has_indirect_call)
	.section	.AMDGPU.csdata,"",@progbits
; Kernel info:
; codeLenInByte = 456
; TotalNumSgprs: 46
; NumVgprs: 68
; ScratchSize: 0
; MemoryBound: 0
; FloatMode: 240
; IeeeMode: 1
; LDSByteSize: 20480 bytes/workgroup (compile time only)
; SGPRBlocks: 0
; VGPRBlocks: 4
; NumSGPRsForWavesPerEU: 46
; NumVGPRsForWavesPerEU: 68
; NamedBarCnt: 0
; Occupancy: 12
; WaveLimiterHint : 0
; COMPUTE_PGM_RSRC2:SCRATCH_EN: 0
; COMPUTE_PGM_RSRC2:USER_SGPR: 4
; COMPUTE_PGM_RSRC2:TRAP_HANDLER: 0
; COMPUTE_PGM_RSRC2:TGID_X_EN: 1
; COMPUTE_PGM_RSRC2:TGID_Y_EN: 1
; COMPUTE_PGM_RSRC2:TGID_Z_EN: 0
; COMPUTE_PGM_RSRC2:TIDIG_COMP_CNT: 2
	.section	.text._ZN7rocprim17ROCPRIM_400000_NS6detail17trampoline_kernelINS0_14default_configENS1_36segmented_radix_sort_config_selectorI6__halflEEZNS1_25segmented_radix_sort_implIS3_Lb0EPKS5_PS5_PKlPlN2at6native12_GLOBAL__N_18offset_tEEE10hipError_tPvRmT1_PNSt15iterator_traitsISL_E10value_typeET2_T3_PNSM_ISR_E10value_typeET4_jRbjT5_SX_jjP12ihipStream_tbEUlT_E0_NS1_11comp_targetILNS1_3genE5ELNS1_11target_archE942ELNS1_3gpuE9ELNS1_3repE0EEENS1_60segmented_radix_sort_warp_sort_medium_config_static_selectorELNS0_4arch9wavefront6targetE0EEEvSL_,"axG",@progbits,_ZN7rocprim17ROCPRIM_400000_NS6detail17trampoline_kernelINS0_14default_configENS1_36segmented_radix_sort_config_selectorI6__halflEEZNS1_25segmented_radix_sort_implIS3_Lb0EPKS5_PS5_PKlPlN2at6native12_GLOBAL__N_18offset_tEEE10hipError_tPvRmT1_PNSt15iterator_traitsISL_E10value_typeET2_T3_PNSM_ISR_E10value_typeET4_jRbjT5_SX_jjP12ihipStream_tbEUlT_E0_NS1_11comp_targetILNS1_3genE5ELNS1_11target_archE942ELNS1_3gpuE9ELNS1_3repE0EEENS1_60segmented_radix_sort_warp_sort_medium_config_static_selectorELNS0_4arch9wavefront6targetE0EEEvSL_,comdat
	.globl	_ZN7rocprim17ROCPRIM_400000_NS6detail17trampoline_kernelINS0_14default_configENS1_36segmented_radix_sort_config_selectorI6__halflEEZNS1_25segmented_radix_sort_implIS3_Lb0EPKS5_PS5_PKlPlN2at6native12_GLOBAL__N_18offset_tEEE10hipError_tPvRmT1_PNSt15iterator_traitsISL_E10value_typeET2_T3_PNSM_ISR_E10value_typeET4_jRbjT5_SX_jjP12ihipStream_tbEUlT_E0_NS1_11comp_targetILNS1_3genE5ELNS1_11target_archE942ELNS1_3gpuE9ELNS1_3repE0EEENS1_60segmented_radix_sort_warp_sort_medium_config_static_selectorELNS0_4arch9wavefront6targetE0EEEvSL_ ; -- Begin function _ZN7rocprim17ROCPRIM_400000_NS6detail17trampoline_kernelINS0_14default_configENS1_36segmented_radix_sort_config_selectorI6__halflEEZNS1_25segmented_radix_sort_implIS3_Lb0EPKS5_PS5_PKlPlN2at6native12_GLOBAL__N_18offset_tEEE10hipError_tPvRmT1_PNSt15iterator_traitsISL_E10value_typeET2_T3_PNSM_ISR_E10value_typeET4_jRbjT5_SX_jjP12ihipStream_tbEUlT_E0_NS1_11comp_targetILNS1_3genE5ELNS1_11target_archE942ELNS1_3gpuE9ELNS1_3repE0EEENS1_60segmented_radix_sort_warp_sort_medium_config_static_selectorELNS0_4arch9wavefront6targetE0EEEvSL_
	.p2align	8
	.type	_ZN7rocprim17ROCPRIM_400000_NS6detail17trampoline_kernelINS0_14default_configENS1_36segmented_radix_sort_config_selectorI6__halflEEZNS1_25segmented_radix_sort_implIS3_Lb0EPKS5_PS5_PKlPlN2at6native12_GLOBAL__N_18offset_tEEE10hipError_tPvRmT1_PNSt15iterator_traitsISL_E10value_typeET2_T3_PNSM_ISR_E10value_typeET4_jRbjT5_SX_jjP12ihipStream_tbEUlT_E0_NS1_11comp_targetILNS1_3genE5ELNS1_11target_archE942ELNS1_3gpuE9ELNS1_3repE0EEENS1_60segmented_radix_sort_warp_sort_medium_config_static_selectorELNS0_4arch9wavefront6targetE0EEEvSL_,@function
_ZN7rocprim17ROCPRIM_400000_NS6detail17trampoline_kernelINS0_14default_configENS1_36segmented_radix_sort_config_selectorI6__halflEEZNS1_25segmented_radix_sort_implIS3_Lb0EPKS5_PS5_PKlPlN2at6native12_GLOBAL__N_18offset_tEEE10hipError_tPvRmT1_PNSt15iterator_traitsISL_E10value_typeET2_T3_PNSM_ISR_E10value_typeET4_jRbjT5_SX_jjP12ihipStream_tbEUlT_E0_NS1_11comp_targetILNS1_3genE5ELNS1_11target_archE942ELNS1_3gpuE9ELNS1_3repE0EEENS1_60segmented_radix_sort_warp_sort_medium_config_static_selectorELNS0_4arch9wavefront6targetE0EEEvSL_: ; @_ZN7rocprim17ROCPRIM_400000_NS6detail17trampoline_kernelINS0_14default_configENS1_36segmented_radix_sort_config_selectorI6__halflEEZNS1_25segmented_radix_sort_implIS3_Lb0EPKS5_PS5_PKlPlN2at6native12_GLOBAL__N_18offset_tEEE10hipError_tPvRmT1_PNSt15iterator_traitsISL_E10value_typeET2_T3_PNSM_ISR_E10value_typeET4_jRbjT5_SX_jjP12ihipStream_tbEUlT_E0_NS1_11comp_targetILNS1_3genE5ELNS1_11target_archE942ELNS1_3gpuE9ELNS1_3repE0EEENS1_60segmented_radix_sort_warp_sort_medium_config_static_selectorELNS0_4arch9wavefront6targetE0EEEvSL_
; %bb.0:
	.section	.rodata,"a",@progbits
	.p2align	6, 0x0
	.amdhsa_kernel _ZN7rocprim17ROCPRIM_400000_NS6detail17trampoline_kernelINS0_14default_configENS1_36segmented_radix_sort_config_selectorI6__halflEEZNS1_25segmented_radix_sort_implIS3_Lb0EPKS5_PS5_PKlPlN2at6native12_GLOBAL__N_18offset_tEEE10hipError_tPvRmT1_PNSt15iterator_traitsISL_E10value_typeET2_T3_PNSM_ISR_E10value_typeET4_jRbjT5_SX_jjP12ihipStream_tbEUlT_E0_NS1_11comp_targetILNS1_3genE5ELNS1_11target_archE942ELNS1_3gpuE9ELNS1_3repE0EEENS1_60segmented_radix_sort_warp_sort_medium_config_static_selectorELNS0_4arch9wavefront6targetE0EEEvSL_
		.amdhsa_group_segment_fixed_size 0
		.amdhsa_private_segment_fixed_size 0
		.amdhsa_kernarg_size 88
		.amdhsa_user_sgpr_count 2
		.amdhsa_user_sgpr_dispatch_ptr 0
		.amdhsa_user_sgpr_queue_ptr 0
		.amdhsa_user_sgpr_kernarg_segment_ptr 1
		.amdhsa_user_sgpr_dispatch_id 0
		.amdhsa_user_sgpr_kernarg_preload_length 0
		.amdhsa_user_sgpr_kernarg_preload_offset 0
		.amdhsa_user_sgpr_private_segment_size 0
		.amdhsa_wavefront_size32 1
		.amdhsa_uses_dynamic_stack 0
		.amdhsa_enable_private_segment 0
		.amdhsa_system_sgpr_workgroup_id_x 1
		.amdhsa_system_sgpr_workgroup_id_y 0
		.amdhsa_system_sgpr_workgroup_id_z 0
		.amdhsa_system_sgpr_workgroup_info 0
		.amdhsa_system_vgpr_workitem_id 0
		.amdhsa_next_free_vgpr 1
		.amdhsa_next_free_sgpr 1
		.amdhsa_named_barrier_count 0
		.amdhsa_reserve_vcc 0
		.amdhsa_float_round_mode_32 0
		.amdhsa_float_round_mode_16_64 0
		.amdhsa_float_denorm_mode_32 3
		.amdhsa_float_denorm_mode_16_64 3
		.amdhsa_fp16_overflow 0
		.amdhsa_memory_ordered 1
		.amdhsa_forward_progress 1
		.amdhsa_inst_pref_size 0
		.amdhsa_round_robin_scheduling 0
		.amdhsa_exception_fp_ieee_invalid_op 0
		.amdhsa_exception_fp_denorm_src 0
		.amdhsa_exception_fp_ieee_div_zero 0
		.amdhsa_exception_fp_ieee_overflow 0
		.amdhsa_exception_fp_ieee_underflow 0
		.amdhsa_exception_fp_ieee_inexact 0
		.amdhsa_exception_int_div_zero 0
	.end_amdhsa_kernel
	.section	.text._ZN7rocprim17ROCPRIM_400000_NS6detail17trampoline_kernelINS0_14default_configENS1_36segmented_radix_sort_config_selectorI6__halflEEZNS1_25segmented_radix_sort_implIS3_Lb0EPKS5_PS5_PKlPlN2at6native12_GLOBAL__N_18offset_tEEE10hipError_tPvRmT1_PNSt15iterator_traitsISL_E10value_typeET2_T3_PNSM_ISR_E10value_typeET4_jRbjT5_SX_jjP12ihipStream_tbEUlT_E0_NS1_11comp_targetILNS1_3genE5ELNS1_11target_archE942ELNS1_3gpuE9ELNS1_3repE0EEENS1_60segmented_radix_sort_warp_sort_medium_config_static_selectorELNS0_4arch9wavefront6targetE0EEEvSL_,"axG",@progbits,_ZN7rocprim17ROCPRIM_400000_NS6detail17trampoline_kernelINS0_14default_configENS1_36segmented_radix_sort_config_selectorI6__halflEEZNS1_25segmented_radix_sort_implIS3_Lb0EPKS5_PS5_PKlPlN2at6native12_GLOBAL__N_18offset_tEEE10hipError_tPvRmT1_PNSt15iterator_traitsISL_E10value_typeET2_T3_PNSM_ISR_E10value_typeET4_jRbjT5_SX_jjP12ihipStream_tbEUlT_E0_NS1_11comp_targetILNS1_3genE5ELNS1_11target_archE942ELNS1_3gpuE9ELNS1_3repE0EEENS1_60segmented_radix_sort_warp_sort_medium_config_static_selectorELNS0_4arch9wavefront6targetE0EEEvSL_,comdat
.Lfunc_end1844:
	.size	_ZN7rocprim17ROCPRIM_400000_NS6detail17trampoline_kernelINS0_14default_configENS1_36segmented_radix_sort_config_selectorI6__halflEEZNS1_25segmented_radix_sort_implIS3_Lb0EPKS5_PS5_PKlPlN2at6native12_GLOBAL__N_18offset_tEEE10hipError_tPvRmT1_PNSt15iterator_traitsISL_E10value_typeET2_T3_PNSM_ISR_E10value_typeET4_jRbjT5_SX_jjP12ihipStream_tbEUlT_E0_NS1_11comp_targetILNS1_3genE5ELNS1_11target_archE942ELNS1_3gpuE9ELNS1_3repE0EEENS1_60segmented_radix_sort_warp_sort_medium_config_static_selectorELNS0_4arch9wavefront6targetE0EEEvSL_, .Lfunc_end1844-_ZN7rocprim17ROCPRIM_400000_NS6detail17trampoline_kernelINS0_14default_configENS1_36segmented_radix_sort_config_selectorI6__halflEEZNS1_25segmented_radix_sort_implIS3_Lb0EPKS5_PS5_PKlPlN2at6native12_GLOBAL__N_18offset_tEEE10hipError_tPvRmT1_PNSt15iterator_traitsISL_E10value_typeET2_T3_PNSM_ISR_E10value_typeET4_jRbjT5_SX_jjP12ihipStream_tbEUlT_E0_NS1_11comp_targetILNS1_3genE5ELNS1_11target_archE942ELNS1_3gpuE9ELNS1_3repE0EEENS1_60segmented_radix_sort_warp_sort_medium_config_static_selectorELNS0_4arch9wavefront6targetE0EEEvSL_
                                        ; -- End function
	.set _ZN7rocprim17ROCPRIM_400000_NS6detail17trampoline_kernelINS0_14default_configENS1_36segmented_radix_sort_config_selectorI6__halflEEZNS1_25segmented_radix_sort_implIS3_Lb0EPKS5_PS5_PKlPlN2at6native12_GLOBAL__N_18offset_tEEE10hipError_tPvRmT1_PNSt15iterator_traitsISL_E10value_typeET2_T3_PNSM_ISR_E10value_typeET4_jRbjT5_SX_jjP12ihipStream_tbEUlT_E0_NS1_11comp_targetILNS1_3genE5ELNS1_11target_archE942ELNS1_3gpuE9ELNS1_3repE0EEENS1_60segmented_radix_sort_warp_sort_medium_config_static_selectorELNS0_4arch9wavefront6targetE0EEEvSL_.num_vgpr, 0
	.set _ZN7rocprim17ROCPRIM_400000_NS6detail17trampoline_kernelINS0_14default_configENS1_36segmented_radix_sort_config_selectorI6__halflEEZNS1_25segmented_radix_sort_implIS3_Lb0EPKS5_PS5_PKlPlN2at6native12_GLOBAL__N_18offset_tEEE10hipError_tPvRmT1_PNSt15iterator_traitsISL_E10value_typeET2_T3_PNSM_ISR_E10value_typeET4_jRbjT5_SX_jjP12ihipStream_tbEUlT_E0_NS1_11comp_targetILNS1_3genE5ELNS1_11target_archE942ELNS1_3gpuE9ELNS1_3repE0EEENS1_60segmented_radix_sort_warp_sort_medium_config_static_selectorELNS0_4arch9wavefront6targetE0EEEvSL_.num_agpr, 0
	.set _ZN7rocprim17ROCPRIM_400000_NS6detail17trampoline_kernelINS0_14default_configENS1_36segmented_radix_sort_config_selectorI6__halflEEZNS1_25segmented_radix_sort_implIS3_Lb0EPKS5_PS5_PKlPlN2at6native12_GLOBAL__N_18offset_tEEE10hipError_tPvRmT1_PNSt15iterator_traitsISL_E10value_typeET2_T3_PNSM_ISR_E10value_typeET4_jRbjT5_SX_jjP12ihipStream_tbEUlT_E0_NS1_11comp_targetILNS1_3genE5ELNS1_11target_archE942ELNS1_3gpuE9ELNS1_3repE0EEENS1_60segmented_radix_sort_warp_sort_medium_config_static_selectorELNS0_4arch9wavefront6targetE0EEEvSL_.numbered_sgpr, 0
	.set _ZN7rocprim17ROCPRIM_400000_NS6detail17trampoline_kernelINS0_14default_configENS1_36segmented_radix_sort_config_selectorI6__halflEEZNS1_25segmented_radix_sort_implIS3_Lb0EPKS5_PS5_PKlPlN2at6native12_GLOBAL__N_18offset_tEEE10hipError_tPvRmT1_PNSt15iterator_traitsISL_E10value_typeET2_T3_PNSM_ISR_E10value_typeET4_jRbjT5_SX_jjP12ihipStream_tbEUlT_E0_NS1_11comp_targetILNS1_3genE5ELNS1_11target_archE942ELNS1_3gpuE9ELNS1_3repE0EEENS1_60segmented_radix_sort_warp_sort_medium_config_static_selectorELNS0_4arch9wavefront6targetE0EEEvSL_.num_named_barrier, 0
	.set _ZN7rocprim17ROCPRIM_400000_NS6detail17trampoline_kernelINS0_14default_configENS1_36segmented_radix_sort_config_selectorI6__halflEEZNS1_25segmented_radix_sort_implIS3_Lb0EPKS5_PS5_PKlPlN2at6native12_GLOBAL__N_18offset_tEEE10hipError_tPvRmT1_PNSt15iterator_traitsISL_E10value_typeET2_T3_PNSM_ISR_E10value_typeET4_jRbjT5_SX_jjP12ihipStream_tbEUlT_E0_NS1_11comp_targetILNS1_3genE5ELNS1_11target_archE942ELNS1_3gpuE9ELNS1_3repE0EEENS1_60segmented_radix_sort_warp_sort_medium_config_static_selectorELNS0_4arch9wavefront6targetE0EEEvSL_.private_seg_size, 0
	.set _ZN7rocprim17ROCPRIM_400000_NS6detail17trampoline_kernelINS0_14default_configENS1_36segmented_radix_sort_config_selectorI6__halflEEZNS1_25segmented_radix_sort_implIS3_Lb0EPKS5_PS5_PKlPlN2at6native12_GLOBAL__N_18offset_tEEE10hipError_tPvRmT1_PNSt15iterator_traitsISL_E10value_typeET2_T3_PNSM_ISR_E10value_typeET4_jRbjT5_SX_jjP12ihipStream_tbEUlT_E0_NS1_11comp_targetILNS1_3genE5ELNS1_11target_archE942ELNS1_3gpuE9ELNS1_3repE0EEENS1_60segmented_radix_sort_warp_sort_medium_config_static_selectorELNS0_4arch9wavefront6targetE0EEEvSL_.uses_vcc, 0
	.set _ZN7rocprim17ROCPRIM_400000_NS6detail17trampoline_kernelINS0_14default_configENS1_36segmented_radix_sort_config_selectorI6__halflEEZNS1_25segmented_radix_sort_implIS3_Lb0EPKS5_PS5_PKlPlN2at6native12_GLOBAL__N_18offset_tEEE10hipError_tPvRmT1_PNSt15iterator_traitsISL_E10value_typeET2_T3_PNSM_ISR_E10value_typeET4_jRbjT5_SX_jjP12ihipStream_tbEUlT_E0_NS1_11comp_targetILNS1_3genE5ELNS1_11target_archE942ELNS1_3gpuE9ELNS1_3repE0EEENS1_60segmented_radix_sort_warp_sort_medium_config_static_selectorELNS0_4arch9wavefront6targetE0EEEvSL_.uses_flat_scratch, 0
	.set _ZN7rocprim17ROCPRIM_400000_NS6detail17trampoline_kernelINS0_14default_configENS1_36segmented_radix_sort_config_selectorI6__halflEEZNS1_25segmented_radix_sort_implIS3_Lb0EPKS5_PS5_PKlPlN2at6native12_GLOBAL__N_18offset_tEEE10hipError_tPvRmT1_PNSt15iterator_traitsISL_E10value_typeET2_T3_PNSM_ISR_E10value_typeET4_jRbjT5_SX_jjP12ihipStream_tbEUlT_E0_NS1_11comp_targetILNS1_3genE5ELNS1_11target_archE942ELNS1_3gpuE9ELNS1_3repE0EEENS1_60segmented_radix_sort_warp_sort_medium_config_static_selectorELNS0_4arch9wavefront6targetE0EEEvSL_.has_dyn_sized_stack, 0
	.set _ZN7rocprim17ROCPRIM_400000_NS6detail17trampoline_kernelINS0_14default_configENS1_36segmented_radix_sort_config_selectorI6__halflEEZNS1_25segmented_radix_sort_implIS3_Lb0EPKS5_PS5_PKlPlN2at6native12_GLOBAL__N_18offset_tEEE10hipError_tPvRmT1_PNSt15iterator_traitsISL_E10value_typeET2_T3_PNSM_ISR_E10value_typeET4_jRbjT5_SX_jjP12ihipStream_tbEUlT_E0_NS1_11comp_targetILNS1_3genE5ELNS1_11target_archE942ELNS1_3gpuE9ELNS1_3repE0EEENS1_60segmented_radix_sort_warp_sort_medium_config_static_selectorELNS0_4arch9wavefront6targetE0EEEvSL_.has_recursion, 0
	.set _ZN7rocprim17ROCPRIM_400000_NS6detail17trampoline_kernelINS0_14default_configENS1_36segmented_radix_sort_config_selectorI6__halflEEZNS1_25segmented_radix_sort_implIS3_Lb0EPKS5_PS5_PKlPlN2at6native12_GLOBAL__N_18offset_tEEE10hipError_tPvRmT1_PNSt15iterator_traitsISL_E10value_typeET2_T3_PNSM_ISR_E10value_typeET4_jRbjT5_SX_jjP12ihipStream_tbEUlT_E0_NS1_11comp_targetILNS1_3genE5ELNS1_11target_archE942ELNS1_3gpuE9ELNS1_3repE0EEENS1_60segmented_radix_sort_warp_sort_medium_config_static_selectorELNS0_4arch9wavefront6targetE0EEEvSL_.has_indirect_call, 0
	.section	.AMDGPU.csdata,"",@progbits
; Kernel info:
; codeLenInByte = 0
; TotalNumSgprs: 0
; NumVgprs: 0
; ScratchSize: 0
; MemoryBound: 0
; FloatMode: 240
; IeeeMode: 1
; LDSByteSize: 0 bytes/workgroup (compile time only)
; SGPRBlocks: 0
; VGPRBlocks: 0
; NumSGPRsForWavesPerEU: 1
; NumVGPRsForWavesPerEU: 1
; NamedBarCnt: 0
; Occupancy: 16
; WaveLimiterHint : 0
; COMPUTE_PGM_RSRC2:SCRATCH_EN: 0
; COMPUTE_PGM_RSRC2:USER_SGPR: 2
; COMPUTE_PGM_RSRC2:TRAP_HANDLER: 0
; COMPUTE_PGM_RSRC2:TGID_X_EN: 1
; COMPUTE_PGM_RSRC2:TGID_Y_EN: 0
; COMPUTE_PGM_RSRC2:TGID_Z_EN: 0
; COMPUTE_PGM_RSRC2:TIDIG_COMP_CNT: 0
	.section	.text._ZN7rocprim17ROCPRIM_400000_NS6detail17trampoline_kernelINS0_14default_configENS1_36segmented_radix_sort_config_selectorI6__halflEEZNS1_25segmented_radix_sort_implIS3_Lb0EPKS5_PS5_PKlPlN2at6native12_GLOBAL__N_18offset_tEEE10hipError_tPvRmT1_PNSt15iterator_traitsISL_E10value_typeET2_T3_PNSM_ISR_E10value_typeET4_jRbjT5_SX_jjP12ihipStream_tbEUlT_E0_NS1_11comp_targetILNS1_3genE4ELNS1_11target_archE910ELNS1_3gpuE8ELNS1_3repE0EEENS1_60segmented_radix_sort_warp_sort_medium_config_static_selectorELNS0_4arch9wavefront6targetE0EEEvSL_,"axG",@progbits,_ZN7rocprim17ROCPRIM_400000_NS6detail17trampoline_kernelINS0_14default_configENS1_36segmented_radix_sort_config_selectorI6__halflEEZNS1_25segmented_radix_sort_implIS3_Lb0EPKS5_PS5_PKlPlN2at6native12_GLOBAL__N_18offset_tEEE10hipError_tPvRmT1_PNSt15iterator_traitsISL_E10value_typeET2_T3_PNSM_ISR_E10value_typeET4_jRbjT5_SX_jjP12ihipStream_tbEUlT_E0_NS1_11comp_targetILNS1_3genE4ELNS1_11target_archE910ELNS1_3gpuE8ELNS1_3repE0EEENS1_60segmented_radix_sort_warp_sort_medium_config_static_selectorELNS0_4arch9wavefront6targetE0EEEvSL_,comdat
	.globl	_ZN7rocprim17ROCPRIM_400000_NS6detail17trampoline_kernelINS0_14default_configENS1_36segmented_radix_sort_config_selectorI6__halflEEZNS1_25segmented_radix_sort_implIS3_Lb0EPKS5_PS5_PKlPlN2at6native12_GLOBAL__N_18offset_tEEE10hipError_tPvRmT1_PNSt15iterator_traitsISL_E10value_typeET2_T3_PNSM_ISR_E10value_typeET4_jRbjT5_SX_jjP12ihipStream_tbEUlT_E0_NS1_11comp_targetILNS1_3genE4ELNS1_11target_archE910ELNS1_3gpuE8ELNS1_3repE0EEENS1_60segmented_radix_sort_warp_sort_medium_config_static_selectorELNS0_4arch9wavefront6targetE0EEEvSL_ ; -- Begin function _ZN7rocprim17ROCPRIM_400000_NS6detail17trampoline_kernelINS0_14default_configENS1_36segmented_radix_sort_config_selectorI6__halflEEZNS1_25segmented_radix_sort_implIS3_Lb0EPKS5_PS5_PKlPlN2at6native12_GLOBAL__N_18offset_tEEE10hipError_tPvRmT1_PNSt15iterator_traitsISL_E10value_typeET2_T3_PNSM_ISR_E10value_typeET4_jRbjT5_SX_jjP12ihipStream_tbEUlT_E0_NS1_11comp_targetILNS1_3genE4ELNS1_11target_archE910ELNS1_3gpuE8ELNS1_3repE0EEENS1_60segmented_radix_sort_warp_sort_medium_config_static_selectorELNS0_4arch9wavefront6targetE0EEEvSL_
	.p2align	8
	.type	_ZN7rocprim17ROCPRIM_400000_NS6detail17trampoline_kernelINS0_14default_configENS1_36segmented_radix_sort_config_selectorI6__halflEEZNS1_25segmented_radix_sort_implIS3_Lb0EPKS5_PS5_PKlPlN2at6native12_GLOBAL__N_18offset_tEEE10hipError_tPvRmT1_PNSt15iterator_traitsISL_E10value_typeET2_T3_PNSM_ISR_E10value_typeET4_jRbjT5_SX_jjP12ihipStream_tbEUlT_E0_NS1_11comp_targetILNS1_3genE4ELNS1_11target_archE910ELNS1_3gpuE8ELNS1_3repE0EEENS1_60segmented_radix_sort_warp_sort_medium_config_static_selectorELNS0_4arch9wavefront6targetE0EEEvSL_,@function
_ZN7rocprim17ROCPRIM_400000_NS6detail17trampoline_kernelINS0_14default_configENS1_36segmented_radix_sort_config_selectorI6__halflEEZNS1_25segmented_radix_sort_implIS3_Lb0EPKS5_PS5_PKlPlN2at6native12_GLOBAL__N_18offset_tEEE10hipError_tPvRmT1_PNSt15iterator_traitsISL_E10value_typeET2_T3_PNSM_ISR_E10value_typeET4_jRbjT5_SX_jjP12ihipStream_tbEUlT_E0_NS1_11comp_targetILNS1_3genE4ELNS1_11target_archE910ELNS1_3gpuE8ELNS1_3repE0EEENS1_60segmented_radix_sort_warp_sort_medium_config_static_selectorELNS0_4arch9wavefront6targetE0EEEvSL_: ; @_ZN7rocprim17ROCPRIM_400000_NS6detail17trampoline_kernelINS0_14default_configENS1_36segmented_radix_sort_config_selectorI6__halflEEZNS1_25segmented_radix_sort_implIS3_Lb0EPKS5_PS5_PKlPlN2at6native12_GLOBAL__N_18offset_tEEE10hipError_tPvRmT1_PNSt15iterator_traitsISL_E10value_typeET2_T3_PNSM_ISR_E10value_typeET4_jRbjT5_SX_jjP12ihipStream_tbEUlT_E0_NS1_11comp_targetILNS1_3genE4ELNS1_11target_archE910ELNS1_3gpuE8ELNS1_3repE0EEENS1_60segmented_radix_sort_warp_sort_medium_config_static_selectorELNS0_4arch9wavefront6targetE0EEEvSL_
; %bb.0:
	.section	.rodata,"a",@progbits
	.p2align	6, 0x0
	.amdhsa_kernel _ZN7rocprim17ROCPRIM_400000_NS6detail17trampoline_kernelINS0_14default_configENS1_36segmented_radix_sort_config_selectorI6__halflEEZNS1_25segmented_radix_sort_implIS3_Lb0EPKS5_PS5_PKlPlN2at6native12_GLOBAL__N_18offset_tEEE10hipError_tPvRmT1_PNSt15iterator_traitsISL_E10value_typeET2_T3_PNSM_ISR_E10value_typeET4_jRbjT5_SX_jjP12ihipStream_tbEUlT_E0_NS1_11comp_targetILNS1_3genE4ELNS1_11target_archE910ELNS1_3gpuE8ELNS1_3repE0EEENS1_60segmented_radix_sort_warp_sort_medium_config_static_selectorELNS0_4arch9wavefront6targetE0EEEvSL_
		.amdhsa_group_segment_fixed_size 0
		.amdhsa_private_segment_fixed_size 0
		.amdhsa_kernarg_size 88
		.amdhsa_user_sgpr_count 2
		.amdhsa_user_sgpr_dispatch_ptr 0
		.amdhsa_user_sgpr_queue_ptr 0
		.amdhsa_user_sgpr_kernarg_segment_ptr 1
		.amdhsa_user_sgpr_dispatch_id 0
		.amdhsa_user_sgpr_kernarg_preload_length 0
		.amdhsa_user_sgpr_kernarg_preload_offset 0
		.amdhsa_user_sgpr_private_segment_size 0
		.amdhsa_wavefront_size32 1
		.amdhsa_uses_dynamic_stack 0
		.amdhsa_enable_private_segment 0
		.amdhsa_system_sgpr_workgroup_id_x 1
		.amdhsa_system_sgpr_workgroup_id_y 0
		.amdhsa_system_sgpr_workgroup_id_z 0
		.amdhsa_system_sgpr_workgroup_info 0
		.amdhsa_system_vgpr_workitem_id 0
		.amdhsa_next_free_vgpr 1
		.amdhsa_next_free_sgpr 1
		.amdhsa_named_barrier_count 0
		.amdhsa_reserve_vcc 0
		.amdhsa_float_round_mode_32 0
		.amdhsa_float_round_mode_16_64 0
		.amdhsa_float_denorm_mode_32 3
		.amdhsa_float_denorm_mode_16_64 3
		.amdhsa_fp16_overflow 0
		.amdhsa_memory_ordered 1
		.amdhsa_forward_progress 1
		.amdhsa_inst_pref_size 0
		.amdhsa_round_robin_scheduling 0
		.amdhsa_exception_fp_ieee_invalid_op 0
		.amdhsa_exception_fp_denorm_src 0
		.amdhsa_exception_fp_ieee_div_zero 0
		.amdhsa_exception_fp_ieee_overflow 0
		.amdhsa_exception_fp_ieee_underflow 0
		.amdhsa_exception_fp_ieee_inexact 0
		.amdhsa_exception_int_div_zero 0
	.end_amdhsa_kernel
	.section	.text._ZN7rocprim17ROCPRIM_400000_NS6detail17trampoline_kernelINS0_14default_configENS1_36segmented_radix_sort_config_selectorI6__halflEEZNS1_25segmented_radix_sort_implIS3_Lb0EPKS5_PS5_PKlPlN2at6native12_GLOBAL__N_18offset_tEEE10hipError_tPvRmT1_PNSt15iterator_traitsISL_E10value_typeET2_T3_PNSM_ISR_E10value_typeET4_jRbjT5_SX_jjP12ihipStream_tbEUlT_E0_NS1_11comp_targetILNS1_3genE4ELNS1_11target_archE910ELNS1_3gpuE8ELNS1_3repE0EEENS1_60segmented_radix_sort_warp_sort_medium_config_static_selectorELNS0_4arch9wavefront6targetE0EEEvSL_,"axG",@progbits,_ZN7rocprim17ROCPRIM_400000_NS6detail17trampoline_kernelINS0_14default_configENS1_36segmented_radix_sort_config_selectorI6__halflEEZNS1_25segmented_radix_sort_implIS3_Lb0EPKS5_PS5_PKlPlN2at6native12_GLOBAL__N_18offset_tEEE10hipError_tPvRmT1_PNSt15iterator_traitsISL_E10value_typeET2_T3_PNSM_ISR_E10value_typeET4_jRbjT5_SX_jjP12ihipStream_tbEUlT_E0_NS1_11comp_targetILNS1_3genE4ELNS1_11target_archE910ELNS1_3gpuE8ELNS1_3repE0EEENS1_60segmented_radix_sort_warp_sort_medium_config_static_selectorELNS0_4arch9wavefront6targetE0EEEvSL_,comdat
.Lfunc_end1845:
	.size	_ZN7rocprim17ROCPRIM_400000_NS6detail17trampoline_kernelINS0_14default_configENS1_36segmented_radix_sort_config_selectorI6__halflEEZNS1_25segmented_radix_sort_implIS3_Lb0EPKS5_PS5_PKlPlN2at6native12_GLOBAL__N_18offset_tEEE10hipError_tPvRmT1_PNSt15iterator_traitsISL_E10value_typeET2_T3_PNSM_ISR_E10value_typeET4_jRbjT5_SX_jjP12ihipStream_tbEUlT_E0_NS1_11comp_targetILNS1_3genE4ELNS1_11target_archE910ELNS1_3gpuE8ELNS1_3repE0EEENS1_60segmented_radix_sort_warp_sort_medium_config_static_selectorELNS0_4arch9wavefront6targetE0EEEvSL_, .Lfunc_end1845-_ZN7rocprim17ROCPRIM_400000_NS6detail17trampoline_kernelINS0_14default_configENS1_36segmented_radix_sort_config_selectorI6__halflEEZNS1_25segmented_radix_sort_implIS3_Lb0EPKS5_PS5_PKlPlN2at6native12_GLOBAL__N_18offset_tEEE10hipError_tPvRmT1_PNSt15iterator_traitsISL_E10value_typeET2_T3_PNSM_ISR_E10value_typeET4_jRbjT5_SX_jjP12ihipStream_tbEUlT_E0_NS1_11comp_targetILNS1_3genE4ELNS1_11target_archE910ELNS1_3gpuE8ELNS1_3repE0EEENS1_60segmented_radix_sort_warp_sort_medium_config_static_selectorELNS0_4arch9wavefront6targetE0EEEvSL_
                                        ; -- End function
	.set _ZN7rocprim17ROCPRIM_400000_NS6detail17trampoline_kernelINS0_14default_configENS1_36segmented_radix_sort_config_selectorI6__halflEEZNS1_25segmented_radix_sort_implIS3_Lb0EPKS5_PS5_PKlPlN2at6native12_GLOBAL__N_18offset_tEEE10hipError_tPvRmT1_PNSt15iterator_traitsISL_E10value_typeET2_T3_PNSM_ISR_E10value_typeET4_jRbjT5_SX_jjP12ihipStream_tbEUlT_E0_NS1_11comp_targetILNS1_3genE4ELNS1_11target_archE910ELNS1_3gpuE8ELNS1_3repE0EEENS1_60segmented_radix_sort_warp_sort_medium_config_static_selectorELNS0_4arch9wavefront6targetE0EEEvSL_.num_vgpr, 0
	.set _ZN7rocprim17ROCPRIM_400000_NS6detail17trampoline_kernelINS0_14default_configENS1_36segmented_radix_sort_config_selectorI6__halflEEZNS1_25segmented_radix_sort_implIS3_Lb0EPKS5_PS5_PKlPlN2at6native12_GLOBAL__N_18offset_tEEE10hipError_tPvRmT1_PNSt15iterator_traitsISL_E10value_typeET2_T3_PNSM_ISR_E10value_typeET4_jRbjT5_SX_jjP12ihipStream_tbEUlT_E0_NS1_11comp_targetILNS1_3genE4ELNS1_11target_archE910ELNS1_3gpuE8ELNS1_3repE0EEENS1_60segmented_radix_sort_warp_sort_medium_config_static_selectorELNS0_4arch9wavefront6targetE0EEEvSL_.num_agpr, 0
	.set _ZN7rocprim17ROCPRIM_400000_NS6detail17trampoline_kernelINS0_14default_configENS1_36segmented_radix_sort_config_selectorI6__halflEEZNS1_25segmented_radix_sort_implIS3_Lb0EPKS5_PS5_PKlPlN2at6native12_GLOBAL__N_18offset_tEEE10hipError_tPvRmT1_PNSt15iterator_traitsISL_E10value_typeET2_T3_PNSM_ISR_E10value_typeET4_jRbjT5_SX_jjP12ihipStream_tbEUlT_E0_NS1_11comp_targetILNS1_3genE4ELNS1_11target_archE910ELNS1_3gpuE8ELNS1_3repE0EEENS1_60segmented_radix_sort_warp_sort_medium_config_static_selectorELNS0_4arch9wavefront6targetE0EEEvSL_.numbered_sgpr, 0
	.set _ZN7rocprim17ROCPRIM_400000_NS6detail17trampoline_kernelINS0_14default_configENS1_36segmented_radix_sort_config_selectorI6__halflEEZNS1_25segmented_radix_sort_implIS3_Lb0EPKS5_PS5_PKlPlN2at6native12_GLOBAL__N_18offset_tEEE10hipError_tPvRmT1_PNSt15iterator_traitsISL_E10value_typeET2_T3_PNSM_ISR_E10value_typeET4_jRbjT5_SX_jjP12ihipStream_tbEUlT_E0_NS1_11comp_targetILNS1_3genE4ELNS1_11target_archE910ELNS1_3gpuE8ELNS1_3repE0EEENS1_60segmented_radix_sort_warp_sort_medium_config_static_selectorELNS0_4arch9wavefront6targetE0EEEvSL_.num_named_barrier, 0
	.set _ZN7rocprim17ROCPRIM_400000_NS6detail17trampoline_kernelINS0_14default_configENS1_36segmented_radix_sort_config_selectorI6__halflEEZNS1_25segmented_radix_sort_implIS3_Lb0EPKS5_PS5_PKlPlN2at6native12_GLOBAL__N_18offset_tEEE10hipError_tPvRmT1_PNSt15iterator_traitsISL_E10value_typeET2_T3_PNSM_ISR_E10value_typeET4_jRbjT5_SX_jjP12ihipStream_tbEUlT_E0_NS1_11comp_targetILNS1_3genE4ELNS1_11target_archE910ELNS1_3gpuE8ELNS1_3repE0EEENS1_60segmented_radix_sort_warp_sort_medium_config_static_selectorELNS0_4arch9wavefront6targetE0EEEvSL_.private_seg_size, 0
	.set _ZN7rocprim17ROCPRIM_400000_NS6detail17trampoline_kernelINS0_14default_configENS1_36segmented_radix_sort_config_selectorI6__halflEEZNS1_25segmented_radix_sort_implIS3_Lb0EPKS5_PS5_PKlPlN2at6native12_GLOBAL__N_18offset_tEEE10hipError_tPvRmT1_PNSt15iterator_traitsISL_E10value_typeET2_T3_PNSM_ISR_E10value_typeET4_jRbjT5_SX_jjP12ihipStream_tbEUlT_E0_NS1_11comp_targetILNS1_3genE4ELNS1_11target_archE910ELNS1_3gpuE8ELNS1_3repE0EEENS1_60segmented_radix_sort_warp_sort_medium_config_static_selectorELNS0_4arch9wavefront6targetE0EEEvSL_.uses_vcc, 0
	.set _ZN7rocprim17ROCPRIM_400000_NS6detail17trampoline_kernelINS0_14default_configENS1_36segmented_radix_sort_config_selectorI6__halflEEZNS1_25segmented_radix_sort_implIS3_Lb0EPKS5_PS5_PKlPlN2at6native12_GLOBAL__N_18offset_tEEE10hipError_tPvRmT1_PNSt15iterator_traitsISL_E10value_typeET2_T3_PNSM_ISR_E10value_typeET4_jRbjT5_SX_jjP12ihipStream_tbEUlT_E0_NS1_11comp_targetILNS1_3genE4ELNS1_11target_archE910ELNS1_3gpuE8ELNS1_3repE0EEENS1_60segmented_radix_sort_warp_sort_medium_config_static_selectorELNS0_4arch9wavefront6targetE0EEEvSL_.uses_flat_scratch, 0
	.set _ZN7rocprim17ROCPRIM_400000_NS6detail17trampoline_kernelINS0_14default_configENS1_36segmented_radix_sort_config_selectorI6__halflEEZNS1_25segmented_radix_sort_implIS3_Lb0EPKS5_PS5_PKlPlN2at6native12_GLOBAL__N_18offset_tEEE10hipError_tPvRmT1_PNSt15iterator_traitsISL_E10value_typeET2_T3_PNSM_ISR_E10value_typeET4_jRbjT5_SX_jjP12ihipStream_tbEUlT_E0_NS1_11comp_targetILNS1_3genE4ELNS1_11target_archE910ELNS1_3gpuE8ELNS1_3repE0EEENS1_60segmented_radix_sort_warp_sort_medium_config_static_selectorELNS0_4arch9wavefront6targetE0EEEvSL_.has_dyn_sized_stack, 0
	.set _ZN7rocprim17ROCPRIM_400000_NS6detail17trampoline_kernelINS0_14default_configENS1_36segmented_radix_sort_config_selectorI6__halflEEZNS1_25segmented_radix_sort_implIS3_Lb0EPKS5_PS5_PKlPlN2at6native12_GLOBAL__N_18offset_tEEE10hipError_tPvRmT1_PNSt15iterator_traitsISL_E10value_typeET2_T3_PNSM_ISR_E10value_typeET4_jRbjT5_SX_jjP12ihipStream_tbEUlT_E0_NS1_11comp_targetILNS1_3genE4ELNS1_11target_archE910ELNS1_3gpuE8ELNS1_3repE0EEENS1_60segmented_radix_sort_warp_sort_medium_config_static_selectorELNS0_4arch9wavefront6targetE0EEEvSL_.has_recursion, 0
	.set _ZN7rocprim17ROCPRIM_400000_NS6detail17trampoline_kernelINS0_14default_configENS1_36segmented_radix_sort_config_selectorI6__halflEEZNS1_25segmented_radix_sort_implIS3_Lb0EPKS5_PS5_PKlPlN2at6native12_GLOBAL__N_18offset_tEEE10hipError_tPvRmT1_PNSt15iterator_traitsISL_E10value_typeET2_T3_PNSM_ISR_E10value_typeET4_jRbjT5_SX_jjP12ihipStream_tbEUlT_E0_NS1_11comp_targetILNS1_3genE4ELNS1_11target_archE910ELNS1_3gpuE8ELNS1_3repE0EEENS1_60segmented_radix_sort_warp_sort_medium_config_static_selectorELNS0_4arch9wavefront6targetE0EEEvSL_.has_indirect_call, 0
	.section	.AMDGPU.csdata,"",@progbits
; Kernel info:
; codeLenInByte = 0
; TotalNumSgprs: 0
; NumVgprs: 0
; ScratchSize: 0
; MemoryBound: 0
; FloatMode: 240
; IeeeMode: 1
; LDSByteSize: 0 bytes/workgroup (compile time only)
; SGPRBlocks: 0
; VGPRBlocks: 0
; NumSGPRsForWavesPerEU: 1
; NumVGPRsForWavesPerEU: 1
; NamedBarCnt: 0
; Occupancy: 16
; WaveLimiterHint : 0
; COMPUTE_PGM_RSRC2:SCRATCH_EN: 0
; COMPUTE_PGM_RSRC2:USER_SGPR: 2
; COMPUTE_PGM_RSRC2:TRAP_HANDLER: 0
; COMPUTE_PGM_RSRC2:TGID_X_EN: 1
; COMPUTE_PGM_RSRC2:TGID_Y_EN: 0
; COMPUTE_PGM_RSRC2:TGID_Z_EN: 0
; COMPUTE_PGM_RSRC2:TIDIG_COMP_CNT: 0
	.section	.text._ZN7rocprim17ROCPRIM_400000_NS6detail17trampoline_kernelINS0_14default_configENS1_36segmented_radix_sort_config_selectorI6__halflEEZNS1_25segmented_radix_sort_implIS3_Lb0EPKS5_PS5_PKlPlN2at6native12_GLOBAL__N_18offset_tEEE10hipError_tPvRmT1_PNSt15iterator_traitsISL_E10value_typeET2_T3_PNSM_ISR_E10value_typeET4_jRbjT5_SX_jjP12ihipStream_tbEUlT_E0_NS1_11comp_targetILNS1_3genE3ELNS1_11target_archE908ELNS1_3gpuE7ELNS1_3repE0EEENS1_60segmented_radix_sort_warp_sort_medium_config_static_selectorELNS0_4arch9wavefront6targetE0EEEvSL_,"axG",@progbits,_ZN7rocprim17ROCPRIM_400000_NS6detail17trampoline_kernelINS0_14default_configENS1_36segmented_radix_sort_config_selectorI6__halflEEZNS1_25segmented_radix_sort_implIS3_Lb0EPKS5_PS5_PKlPlN2at6native12_GLOBAL__N_18offset_tEEE10hipError_tPvRmT1_PNSt15iterator_traitsISL_E10value_typeET2_T3_PNSM_ISR_E10value_typeET4_jRbjT5_SX_jjP12ihipStream_tbEUlT_E0_NS1_11comp_targetILNS1_3genE3ELNS1_11target_archE908ELNS1_3gpuE7ELNS1_3repE0EEENS1_60segmented_radix_sort_warp_sort_medium_config_static_selectorELNS0_4arch9wavefront6targetE0EEEvSL_,comdat
	.globl	_ZN7rocprim17ROCPRIM_400000_NS6detail17trampoline_kernelINS0_14default_configENS1_36segmented_radix_sort_config_selectorI6__halflEEZNS1_25segmented_radix_sort_implIS3_Lb0EPKS5_PS5_PKlPlN2at6native12_GLOBAL__N_18offset_tEEE10hipError_tPvRmT1_PNSt15iterator_traitsISL_E10value_typeET2_T3_PNSM_ISR_E10value_typeET4_jRbjT5_SX_jjP12ihipStream_tbEUlT_E0_NS1_11comp_targetILNS1_3genE3ELNS1_11target_archE908ELNS1_3gpuE7ELNS1_3repE0EEENS1_60segmented_radix_sort_warp_sort_medium_config_static_selectorELNS0_4arch9wavefront6targetE0EEEvSL_ ; -- Begin function _ZN7rocprim17ROCPRIM_400000_NS6detail17trampoline_kernelINS0_14default_configENS1_36segmented_radix_sort_config_selectorI6__halflEEZNS1_25segmented_radix_sort_implIS3_Lb0EPKS5_PS5_PKlPlN2at6native12_GLOBAL__N_18offset_tEEE10hipError_tPvRmT1_PNSt15iterator_traitsISL_E10value_typeET2_T3_PNSM_ISR_E10value_typeET4_jRbjT5_SX_jjP12ihipStream_tbEUlT_E0_NS1_11comp_targetILNS1_3genE3ELNS1_11target_archE908ELNS1_3gpuE7ELNS1_3repE0EEENS1_60segmented_radix_sort_warp_sort_medium_config_static_selectorELNS0_4arch9wavefront6targetE0EEEvSL_
	.p2align	8
	.type	_ZN7rocprim17ROCPRIM_400000_NS6detail17trampoline_kernelINS0_14default_configENS1_36segmented_radix_sort_config_selectorI6__halflEEZNS1_25segmented_radix_sort_implIS3_Lb0EPKS5_PS5_PKlPlN2at6native12_GLOBAL__N_18offset_tEEE10hipError_tPvRmT1_PNSt15iterator_traitsISL_E10value_typeET2_T3_PNSM_ISR_E10value_typeET4_jRbjT5_SX_jjP12ihipStream_tbEUlT_E0_NS1_11comp_targetILNS1_3genE3ELNS1_11target_archE908ELNS1_3gpuE7ELNS1_3repE0EEENS1_60segmented_radix_sort_warp_sort_medium_config_static_selectorELNS0_4arch9wavefront6targetE0EEEvSL_,@function
_ZN7rocprim17ROCPRIM_400000_NS6detail17trampoline_kernelINS0_14default_configENS1_36segmented_radix_sort_config_selectorI6__halflEEZNS1_25segmented_radix_sort_implIS3_Lb0EPKS5_PS5_PKlPlN2at6native12_GLOBAL__N_18offset_tEEE10hipError_tPvRmT1_PNSt15iterator_traitsISL_E10value_typeET2_T3_PNSM_ISR_E10value_typeET4_jRbjT5_SX_jjP12ihipStream_tbEUlT_E0_NS1_11comp_targetILNS1_3genE3ELNS1_11target_archE908ELNS1_3gpuE7ELNS1_3repE0EEENS1_60segmented_radix_sort_warp_sort_medium_config_static_selectorELNS0_4arch9wavefront6targetE0EEEvSL_: ; @_ZN7rocprim17ROCPRIM_400000_NS6detail17trampoline_kernelINS0_14default_configENS1_36segmented_radix_sort_config_selectorI6__halflEEZNS1_25segmented_radix_sort_implIS3_Lb0EPKS5_PS5_PKlPlN2at6native12_GLOBAL__N_18offset_tEEE10hipError_tPvRmT1_PNSt15iterator_traitsISL_E10value_typeET2_T3_PNSM_ISR_E10value_typeET4_jRbjT5_SX_jjP12ihipStream_tbEUlT_E0_NS1_11comp_targetILNS1_3genE3ELNS1_11target_archE908ELNS1_3gpuE7ELNS1_3repE0EEENS1_60segmented_radix_sort_warp_sort_medium_config_static_selectorELNS0_4arch9wavefront6targetE0EEEvSL_
; %bb.0:
	.section	.rodata,"a",@progbits
	.p2align	6, 0x0
	.amdhsa_kernel _ZN7rocprim17ROCPRIM_400000_NS6detail17trampoline_kernelINS0_14default_configENS1_36segmented_radix_sort_config_selectorI6__halflEEZNS1_25segmented_radix_sort_implIS3_Lb0EPKS5_PS5_PKlPlN2at6native12_GLOBAL__N_18offset_tEEE10hipError_tPvRmT1_PNSt15iterator_traitsISL_E10value_typeET2_T3_PNSM_ISR_E10value_typeET4_jRbjT5_SX_jjP12ihipStream_tbEUlT_E0_NS1_11comp_targetILNS1_3genE3ELNS1_11target_archE908ELNS1_3gpuE7ELNS1_3repE0EEENS1_60segmented_radix_sort_warp_sort_medium_config_static_selectorELNS0_4arch9wavefront6targetE0EEEvSL_
		.amdhsa_group_segment_fixed_size 0
		.amdhsa_private_segment_fixed_size 0
		.amdhsa_kernarg_size 88
		.amdhsa_user_sgpr_count 2
		.amdhsa_user_sgpr_dispatch_ptr 0
		.amdhsa_user_sgpr_queue_ptr 0
		.amdhsa_user_sgpr_kernarg_segment_ptr 1
		.amdhsa_user_sgpr_dispatch_id 0
		.amdhsa_user_sgpr_kernarg_preload_length 0
		.amdhsa_user_sgpr_kernarg_preload_offset 0
		.amdhsa_user_sgpr_private_segment_size 0
		.amdhsa_wavefront_size32 1
		.amdhsa_uses_dynamic_stack 0
		.amdhsa_enable_private_segment 0
		.amdhsa_system_sgpr_workgroup_id_x 1
		.amdhsa_system_sgpr_workgroup_id_y 0
		.amdhsa_system_sgpr_workgroup_id_z 0
		.amdhsa_system_sgpr_workgroup_info 0
		.amdhsa_system_vgpr_workitem_id 0
		.amdhsa_next_free_vgpr 1
		.amdhsa_next_free_sgpr 1
		.amdhsa_named_barrier_count 0
		.amdhsa_reserve_vcc 0
		.amdhsa_float_round_mode_32 0
		.amdhsa_float_round_mode_16_64 0
		.amdhsa_float_denorm_mode_32 3
		.amdhsa_float_denorm_mode_16_64 3
		.amdhsa_fp16_overflow 0
		.amdhsa_memory_ordered 1
		.amdhsa_forward_progress 1
		.amdhsa_inst_pref_size 0
		.amdhsa_round_robin_scheduling 0
		.amdhsa_exception_fp_ieee_invalid_op 0
		.amdhsa_exception_fp_denorm_src 0
		.amdhsa_exception_fp_ieee_div_zero 0
		.amdhsa_exception_fp_ieee_overflow 0
		.amdhsa_exception_fp_ieee_underflow 0
		.amdhsa_exception_fp_ieee_inexact 0
		.amdhsa_exception_int_div_zero 0
	.end_amdhsa_kernel
	.section	.text._ZN7rocprim17ROCPRIM_400000_NS6detail17trampoline_kernelINS0_14default_configENS1_36segmented_radix_sort_config_selectorI6__halflEEZNS1_25segmented_radix_sort_implIS3_Lb0EPKS5_PS5_PKlPlN2at6native12_GLOBAL__N_18offset_tEEE10hipError_tPvRmT1_PNSt15iterator_traitsISL_E10value_typeET2_T3_PNSM_ISR_E10value_typeET4_jRbjT5_SX_jjP12ihipStream_tbEUlT_E0_NS1_11comp_targetILNS1_3genE3ELNS1_11target_archE908ELNS1_3gpuE7ELNS1_3repE0EEENS1_60segmented_radix_sort_warp_sort_medium_config_static_selectorELNS0_4arch9wavefront6targetE0EEEvSL_,"axG",@progbits,_ZN7rocprim17ROCPRIM_400000_NS6detail17trampoline_kernelINS0_14default_configENS1_36segmented_radix_sort_config_selectorI6__halflEEZNS1_25segmented_radix_sort_implIS3_Lb0EPKS5_PS5_PKlPlN2at6native12_GLOBAL__N_18offset_tEEE10hipError_tPvRmT1_PNSt15iterator_traitsISL_E10value_typeET2_T3_PNSM_ISR_E10value_typeET4_jRbjT5_SX_jjP12ihipStream_tbEUlT_E0_NS1_11comp_targetILNS1_3genE3ELNS1_11target_archE908ELNS1_3gpuE7ELNS1_3repE0EEENS1_60segmented_radix_sort_warp_sort_medium_config_static_selectorELNS0_4arch9wavefront6targetE0EEEvSL_,comdat
.Lfunc_end1846:
	.size	_ZN7rocprim17ROCPRIM_400000_NS6detail17trampoline_kernelINS0_14default_configENS1_36segmented_radix_sort_config_selectorI6__halflEEZNS1_25segmented_radix_sort_implIS3_Lb0EPKS5_PS5_PKlPlN2at6native12_GLOBAL__N_18offset_tEEE10hipError_tPvRmT1_PNSt15iterator_traitsISL_E10value_typeET2_T3_PNSM_ISR_E10value_typeET4_jRbjT5_SX_jjP12ihipStream_tbEUlT_E0_NS1_11comp_targetILNS1_3genE3ELNS1_11target_archE908ELNS1_3gpuE7ELNS1_3repE0EEENS1_60segmented_radix_sort_warp_sort_medium_config_static_selectorELNS0_4arch9wavefront6targetE0EEEvSL_, .Lfunc_end1846-_ZN7rocprim17ROCPRIM_400000_NS6detail17trampoline_kernelINS0_14default_configENS1_36segmented_radix_sort_config_selectorI6__halflEEZNS1_25segmented_radix_sort_implIS3_Lb0EPKS5_PS5_PKlPlN2at6native12_GLOBAL__N_18offset_tEEE10hipError_tPvRmT1_PNSt15iterator_traitsISL_E10value_typeET2_T3_PNSM_ISR_E10value_typeET4_jRbjT5_SX_jjP12ihipStream_tbEUlT_E0_NS1_11comp_targetILNS1_3genE3ELNS1_11target_archE908ELNS1_3gpuE7ELNS1_3repE0EEENS1_60segmented_radix_sort_warp_sort_medium_config_static_selectorELNS0_4arch9wavefront6targetE0EEEvSL_
                                        ; -- End function
	.set _ZN7rocprim17ROCPRIM_400000_NS6detail17trampoline_kernelINS0_14default_configENS1_36segmented_radix_sort_config_selectorI6__halflEEZNS1_25segmented_radix_sort_implIS3_Lb0EPKS5_PS5_PKlPlN2at6native12_GLOBAL__N_18offset_tEEE10hipError_tPvRmT1_PNSt15iterator_traitsISL_E10value_typeET2_T3_PNSM_ISR_E10value_typeET4_jRbjT5_SX_jjP12ihipStream_tbEUlT_E0_NS1_11comp_targetILNS1_3genE3ELNS1_11target_archE908ELNS1_3gpuE7ELNS1_3repE0EEENS1_60segmented_radix_sort_warp_sort_medium_config_static_selectorELNS0_4arch9wavefront6targetE0EEEvSL_.num_vgpr, 0
	.set _ZN7rocprim17ROCPRIM_400000_NS6detail17trampoline_kernelINS0_14default_configENS1_36segmented_radix_sort_config_selectorI6__halflEEZNS1_25segmented_radix_sort_implIS3_Lb0EPKS5_PS5_PKlPlN2at6native12_GLOBAL__N_18offset_tEEE10hipError_tPvRmT1_PNSt15iterator_traitsISL_E10value_typeET2_T3_PNSM_ISR_E10value_typeET4_jRbjT5_SX_jjP12ihipStream_tbEUlT_E0_NS1_11comp_targetILNS1_3genE3ELNS1_11target_archE908ELNS1_3gpuE7ELNS1_3repE0EEENS1_60segmented_radix_sort_warp_sort_medium_config_static_selectorELNS0_4arch9wavefront6targetE0EEEvSL_.num_agpr, 0
	.set _ZN7rocprim17ROCPRIM_400000_NS6detail17trampoline_kernelINS0_14default_configENS1_36segmented_radix_sort_config_selectorI6__halflEEZNS1_25segmented_radix_sort_implIS3_Lb0EPKS5_PS5_PKlPlN2at6native12_GLOBAL__N_18offset_tEEE10hipError_tPvRmT1_PNSt15iterator_traitsISL_E10value_typeET2_T3_PNSM_ISR_E10value_typeET4_jRbjT5_SX_jjP12ihipStream_tbEUlT_E0_NS1_11comp_targetILNS1_3genE3ELNS1_11target_archE908ELNS1_3gpuE7ELNS1_3repE0EEENS1_60segmented_radix_sort_warp_sort_medium_config_static_selectorELNS0_4arch9wavefront6targetE0EEEvSL_.numbered_sgpr, 0
	.set _ZN7rocprim17ROCPRIM_400000_NS6detail17trampoline_kernelINS0_14default_configENS1_36segmented_radix_sort_config_selectorI6__halflEEZNS1_25segmented_radix_sort_implIS3_Lb0EPKS5_PS5_PKlPlN2at6native12_GLOBAL__N_18offset_tEEE10hipError_tPvRmT1_PNSt15iterator_traitsISL_E10value_typeET2_T3_PNSM_ISR_E10value_typeET4_jRbjT5_SX_jjP12ihipStream_tbEUlT_E0_NS1_11comp_targetILNS1_3genE3ELNS1_11target_archE908ELNS1_3gpuE7ELNS1_3repE0EEENS1_60segmented_radix_sort_warp_sort_medium_config_static_selectorELNS0_4arch9wavefront6targetE0EEEvSL_.num_named_barrier, 0
	.set _ZN7rocprim17ROCPRIM_400000_NS6detail17trampoline_kernelINS0_14default_configENS1_36segmented_radix_sort_config_selectorI6__halflEEZNS1_25segmented_radix_sort_implIS3_Lb0EPKS5_PS5_PKlPlN2at6native12_GLOBAL__N_18offset_tEEE10hipError_tPvRmT1_PNSt15iterator_traitsISL_E10value_typeET2_T3_PNSM_ISR_E10value_typeET4_jRbjT5_SX_jjP12ihipStream_tbEUlT_E0_NS1_11comp_targetILNS1_3genE3ELNS1_11target_archE908ELNS1_3gpuE7ELNS1_3repE0EEENS1_60segmented_radix_sort_warp_sort_medium_config_static_selectorELNS0_4arch9wavefront6targetE0EEEvSL_.private_seg_size, 0
	.set _ZN7rocprim17ROCPRIM_400000_NS6detail17trampoline_kernelINS0_14default_configENS1_36segmented_radix_sort_config_selectorI6__halflEEZNS1_25segmented_radix_sort_implIS3_Lb0EPKS5_PS5_PKlPlN2at6native12_GLOBAL__N_18offset_tEEE10hipError_tPvRmT1_PNSt15iterator_traitsISL_E10value_typeET2_T3_PNSM_ISR_E10value_typeET4_jRbjT5_SX_jjP12ihipStream_tbEUlT_E0_NS1_11comp_targetILNS1_3genE3ELNS1_11target_archE908ELNS1_3gpuE7ELNS1_3repE0EEENS1_60segmented_radix_sort_warp_sort_medium_config_static_selectorELNS0_4arch9wavefront6targetE0EEEvSL_.uses_vcc, 0
	.set _ZN7rocprim17ROCPRIM_400000_NS6detail17trampoline_kernelINS0_14default_configENS1_36segmented_radix_sort_config_selectorI6__halflEEZNS1_25segmented_radix_sort_implIS3_Lb0EPKS5_PS5_PKlPlN2at6native12_GLOBAL__N_18offset_tEEE10hipError_tPvRmT1_PNSt15iterator_traitsISL_E10value_typeET2_T3_PNSM_ISR_E10value_typeET4_jRbjT5_SX_jjP12ihipStream_tbEUlT_E0_NS1_11comp_targetILNS1_3genE3ELNS1_11target_archE908ELNS1_3gpuE7ELNS1_3repE0EEENS1_60segmented_radix_sort_warp_sort_medium_config_static_selectorELNS0_4arch9wavefront6targetE0EEEvSL_.uses_flat_scratch, 0
	.set _ZN7rocprim17ROCPRIM_400000_NS6detail17trampoline_kernelINS0_14default_configENS1_36segmented_radix_sort_config_selectorI6__halflEEZNS1_25segmented_radix_sort_implIS3_Lb0EPKS5_PS5_PKlPlN2at6native12_GLOBAL__N_18offset_tEEE10hipError_tPvRmT1_PNSt15iterator_traitsISL_E10value_typeET2_T3_PNSM_ISR_E10value_typeET4_jRbjT5_SX_jjP12ihipStream_tbEUlT_E0_NS1_11comp_targetILNS1_3genE3ELNS1_11target_archE908ELNS1_3gpuE7ELNS1_3repE0EEENS1_60segmented_radix_sort_warp_sort_medium_config_static_selectorELNS0_4arch9wavefront6targetE0EEEvSL_.has_dyn_sized_stack, 0
	.set _ZN7rocprim17ROCPRIM_400000_NS6detail17trampoline_kernelINS0_14default_configENS1_36segmented_radix_sort_config_selectorI6__halflEEZNS1_25segmented_radix_sort_implIS3_Lb0EPKS5_PS5_PKlPlN2at6native12_GLOBAL__N_18offset_tEEE10hipError_tPvRmT1_PNSt15iterator_traitsISL_E10value_typeET2_T3_PNSM_ISR_E10value_typeET4_jRbjT5_SX_jjP12ihipStream_tbEUlT_E0_NS1_11comp_targetILNS1_3genE3ELNS1_11target_archE908ELNS1_3gpuE7ELNS1_3repE0EEENS1_60segmented_radix_sort_warp_sort_medium_config_static_selectorELNS0_4arch9wavefront6targetE0EEEvSL_.has_recursion, 0
	.set _ZN7rocprim17ROCPRIM_400000_NS6detail17trampoline_kernelINS0_14default_configENS1_36segmented_radix_sort_config_selectorI6__halflEEZNS1_25segmented_radix_sort_implIS3_Lb0EPKS5_PS5_PKlPlN2at6native12_GLOBAL__N_18offset_tEEE10hipError_tPvRmT1_PNSt15iterator_traitsISL_E10value_typeET2_T3_PNSM_ISR_E10value_typeET4_jRbjT5_SX_jjP12ihipStream_tbEUlT_E0_NS1_11comp_targetILNS1_3genE3ELNS1_11target_archE908ELNS1_3gpuE7ELNS1_3repE0EEENS1_60segmented_radix_sort_warp_sort_medium_config_static_selectorELNS0_4arch9wavefront6targetE0EEEvSL_.has_indirect_call, 0
	.section	.AMDGPU.csdata,"",@progbits
; Kernel info:
; codeLenInByte = 0
; TotalNumSgprs: 0
; NumVgprs: 0
; ScratchSize: 0
; MemoryBound: 0
; FloatMode: 240
; IeeeMode: 1
; LDSByteSize: 0 bytes/workgroup (compile time only)
; SGPRBlocks: 0
; VGPRBlocks: 0
; NumSGPRsForWavesPerEU: 1
; NumVGPRsForWavesPerEU: 1
; NamedBarCnt: 0
; Occupancy: 16
; WaveLimiterHint : 0
; COMPUTE_PGM_RSRC2:SCRATCH_EN: 0
; COMPUTE_PGM_RSRC2:USER_SGPR: 2
; COMPUTE_PGM_RSRC2:TRAP_HANDLER: 0
; COMPUTE_PGM_RSRC2:TGID_X_EN: 1
; COMPUTE_PGM_RSRC2:TGID_Y_EN: 0
; COMPUTE_PGM_RSRC2:TGID_Z_EN: 0
; COMPUTE_PGM_RSRC2:TIDIG_COMP_CNT: 0
	.section	.text._ZN7rocprim17ROCPRIM_400000_NS6detail17trampoline_kernelINS0_14default_configENS1_36segmented_radix_sort_config_selectorI6__halflEEZNS1_25segmented_radix_sort_implIS3_Lb0EPKS5_PS5_PKlPlN2at6native12_GLOBAL__N_18offset_tEEE10hipError_tPvRmT1_PNSt15iterator_traitsISL_E10value_typeET2_T3_PNSM_ISR_E10value_typeET4_jRbjT5_SX_jjP12ihipStream_tbEUlT_E0_NS1_11comp_targetILNS1_3genE2ELNS1_11target_archE906ELNS1_3gpuE6ELNS1_3repE0EEENS1_60segmented_radix_sort_warp_sort_medium_config_static_selectorELNS0_4arch9wavefront6targetE0EEEvSL_,"axG",@progbits,_ZN7rocprim17ROCPRIM_400000_NS6detail17trampoline_kernelINS0_14default_configENS1_36segmented_radix_sort_config_selectorI6__halflEEZNS1_25segmented_radix_sort_implIS3_Lb0EPKS5_PS5_PKlPlN2at6native12_GLOBAL__N_18offset_tEEE10hipError_tPvRmT1_PNSt15iterator_traitsISL_E10value_typeET2_T3_PNSM_ISR_E10value_typeET4_jRbjT5_SX_jjP12ihipStream_tbEUlT_E0_NS1_11comp_targetILNS1_3genE2ELNS1_11target_archE906ELNS1_3gpuE6ELNS1_3repE0EEENS1_60segmented_radix_sort_warp_sort_medium_config_static_selectorELNS0_4arch9wavefront6targetE0EEEvSL_,comdat
	.globl	_ZN7rocprim17ROCPRIM_400000_NS6detail17trampoline_kernelINS0_14default_configENS1_36segmented_radix_sort_config_selectorI6__halflEEZNS1_25segmented_radix_sort_implIS3_Lb0EPKS5_PS5_PKlPlN2at6native12_GLOBAL__N_18offset_tEEE10hipError_tPvRmT1_PNSt15iterator_traitsISL_E10value_typeET2_T3_PNSM_ISR_E10value_typeET4_jRbjT5_SX_jjP12ihipStream_tbEUlT_E0_NS1_11comp_targetILNS1_3genE2ELNS1_11target_archE906ELNS1_3gpuE6ELNS1_3repE0EEENS1_60segmented_radix_sort_warp_sort_medium_config_static_selectorELNS0_4arch9wavefront6targetE0EEEvSL_ ; -- Begin function _ZN7rocprim17ROCPRIM_400000_NS6detail17trampoline_kernelINS0_14default_configENS1_36segmented_radix_sort_config_selectorI6__halflEEZNS1_25segmented_radix_sort_implIS3_Lb0EPKS5_PS5_PKlPlN2at6native12_GLOBAL__N_18offset_tEEE10hipError_tPvRmT1_PNSt15iterator_traitsISL_E10value_typeET2_T3_PNSM_ISR_E10value_typeET4_jRbjT5_SX_jjP12ihipStream_tbEUlT_E0_NS1_11comp_targetILNS1_3genE2ELNS1_11target_archE906ELNS1_3gpuE6ELNS1_3repE0EEENS1_60segmented_radix_sort_warp_sort_medium_config_static_selectorELNS0_4arch9wavefront6targetE0EEEvSL_
	.p2align	8
	.type	_ZN7rocprim17ROCPRIM_400000_NS6detail17trampoline_kernelINS0_14default_configENS1_36segmented_radix_sort_config_selectorI6__halflEEZNS1_25segmented_radix_sort_implIS3_Lb0EPKS5_PS5_PKlPlN2at6native12_GLOBAL__N_18offset_tEEE10hipError_tPvRmT1_PNSt15iterator_traitsISL_E10value_typeET2_T3_PNSM_ISR_E10value_typeET4_jRbjT5_SX_jjP12ihipStream_tbEUlT_E0_NS1_11comp_targetILNS1_3genE2ELNS1_11target_archE906ELNS1_3gpuE6ELNS1_3repE0EEENS1_60segmented_radix_sort_warp_sort_medium_config_static_selectorELNS0_4arch9wavefront6targetE0EEEvSL_,@function
_ZN7rocprim17ROCPRIM_400000_NS6detail17trampoline_kernelINS0_14default_configENS1_36segmented_radix_sort_config_selectorI6__halflEEZNS1_25segmented_radix_sort_implIS3_Lb0EPKS5_PS5_PKlPlN2at6native12_GLOBAL__N_18offset_tEEE10hipError_tPvRmT1_PNSt15iterator_traitsISL_E10value_typeET2_T3_PNSM_ISR_E10value_typeET4_jRbjT5_SX_jjP12ihipStream_tbEUlT_E0_NS1_11comp_targetILNS1_3genE2ELNS1_11target_archE906ELNS1_3gpuE6ELNS1_3repE0EEENS1_60segmented_radix_sort_warp_sort_medium_config_static_selectorELNS0_4arch9wavefront6targetE0EEEvSL_: ; @_ZN7rocprim17ROCPRIM_400000_NS6detail17trampoline_kernelINS0_14default_configENS1_36segmented_radix_sort_config_selectorI6__halflEEZNS1_25segmented_radix_sort_implIS3_Lb0EPKS5_PS5_PKlPlN2at6native12_GLOBAL__N_18offset_tEEE10hipError_tPvRmT1_PNSt15iterator_traitsISL_E10value_typeET2_T3_PNSM_ISR_E10value_typeET4_jRbjT5_SX_jjP12ihipStream_tbEUlT_E0_NS1_11comp_targetILNS1_3genE2ELNS1_11target_archE906ELNS1_3gpuE6ELNS1_3repE0EEENS1_60segmented_radix_sort_warp_sort_medium_config_static_selectorELNS0_4arch9wavefront6targetE0EEEvSL_
; %bb.0:
	.section	.rodata,"a",@progbits
	.p2align	6, 0x0
	.amdhsa_kernel _ZN7rocprim17ROCPRIM_400000_NS6detail17trampoline_kernelINS0_14default_configENS1_36segmented_radix_sort_config_selectorI6__halflEEZNS1_25segmented_radix_sort_implIS3_Lb0EPKS5_PS5_PKlPlN2at6native12_GLOBAL__N_18offset_tEEE10hipError_tPvRmT1_PNSt15iterator_traitsISL_E10value_typeET2_T3_PNSM_ISR_E10value_typeET4_jRbjT5_SX_jjP12ihipStream_tbEUlT_E0_NS1_11comp_targetILNS1_3genE2ELNS1_11target_archE906ELNS1_3gpuE6ELNS1_3repE0EEENS1_60segmented_radix_sort_warp_sort_medium_config_static_selectorELNS0_4arch9wavefront6targetE0EEEvSL_
		.amdhsa_group_segment_fixed_size 0
		.amdhsa_private_segment_fixed_size 0
		.amdhsa_kernarg_size 88
		.amdhsa_user_sgpr_count 2
		.amdhsa_user_sgpr_dispatch_ptr 0
		.amdhsa_user_sgpr_queue_ptr 0
		.amdhsa_user_sgpr_kernarg_segment_ptr 1
		.amdhsa_user_sgpr_dispatch_id 0
		.amdhsa_user_sgpr_kernarg_preload_length 0
		.amdhsa_user_sgpr_kernarg_preload_offset 0
		.amdhsa_user_sgpr_private_segment_size 0
		.amdhsa_wavefront_size32 1
		.amdhsa_uses_dynamic_stack 0
		.amdhsa_enable_private_segment 0
		.amdhsa_system_sgpr_workgroup_id_x 1
		.amdhsa_system_sgpr_workgroup_id_y 0
		.amdhsa_system_sgpr_workgroup_id_z 0
		.amdhsa_system_sgpr_workgroup_info 0
		.amdhsa_system_vgpr_workitem_id 0
		.amdhsa_next_free_vgpr 1
		.amdhsa_next_free_sgpr 1
		.amdhsa_named_barrier_count 0
		.amdhsa_reserve_vcc 0
		.amdhsa_float_round_mode_32 0
		.amdhsa_float_round_mode_16_64 0
		.amdhsa_float_denorm_mode_32 3
		.amdhsa_float_denorm_mode_16_64 3
		.amdhsa_fp16_overflow 0
		.amdhsa_memory_ordered 1
		.amdhsa_forward_progress 1
		.amdhsa_inst_pref_size 0
		.amdhsa_round_robin_scheduling 0
		.amdhsa_exception_fp_ieee_invalid_op 0
		.amdhsa_exception_fp_denorm_src 0
		.amdhsa_exception_fp_ieee_div_zero 0
		.amdhsa_exception_fp_ieee_overflow 0
		.amdhsa_exception_fp_ieee_underflow 0
		.amdhsa_exception_fp_ieee_inexact 0
		.amdhsa_exception_int_div_zero 0
	.end_amdhsa_kernel
	.section	.text._ZN7rocprim17ROCPRIM_400000_NS6detail17trampoline_kernelINS0_14default_configENS1_36segmented_radix_sort_config_selectorI6__halflEEZNS1_25segmented_radix_sort_implIS3_Lb0EPKS5_PS5_PKlPlN2at6native12_GLOBAL__N_18offset_tEEE10hipError_tPvRmT1_PNSt15iterator_traitsISL_E10value_typeET2_T3_PNSM_ISR_E10value_typeET4_jRbjT5_SX_jjP12ihipStream_tbEUlT_E0_NS1_11comp_targetILNS1_3genE2ELNS1_11target_archE906ELNS1_3gpuE6ELNS1_3repE0EEENS1_60segmented_radix_sort_warp_sort_medium_config_static_selectorELNS0_4arch9wavefront6targetE0EEEvSL_,"axG",@progbits,_ZN7rocprim17ROCPRIM_400000_NS6detail17trampoline_kernelINS0_14default_configENS1_36segmented_radix_sort_config_selectorI6__halflEEZNS1_25segmented_radix_sort_implIS3_Lb0EPKS5_PS5_PKlPlN2at6native12_GLOBAL__N_18offset_tEEE10hipError_tPvRmT1_PNSt15iterator_traitsISL_E10value_typeET2_T3_PNSM_ISR_E10value_typeET4_jRbjT5_SX_jjP12ihipStream_tbEUlT_E0_NS1_11comp_targetILNS1_3genE2ELNS1_11target_archE906ELNS1_3gpuE6ELNS1_3repE0EEENS1_60segmented_radix_sort_warp_sort_medium_config_static_selectorELNS0_4arch9wavefront6targetE0EEEvSL_,comdat
.Lfunc_end1847:
	.size	_ZN7rocprim17ROCPRIM_400000_NS6detail17trampoline_kernelINS0_14default_configENS1_36segmented_radix_sort_config_selectorI6__halflEEZNS1_25segmented_radix_sort_implIS3_Lb0EPKS5_PS5_PKlPlN2at6native12_GLOBAL__N_18offset_tEEE10hipError_tPvRmT1_PNSt15iterator_traitsISL_E10value_typeET2_T3_PNSM_ISR_E10value_typeET4_jRbjT5_SX_jjP12ihipStream_tbEUlT_E0_NS1_11comp_targetILNS1_3genE2ELNS1_11target_archE906ELNS1_3gpuE6ELNS1_3repE0EEENS1_60segmented_radix_sort_warp_sort_medium_config_static_selectorELNS0_4arch9wavefront6targetE0EEEvSL_, .Lfunc_end1847-_ZN7rocprim17ROCPRIM_400000_NS6detail17trampoline_kernelINS0_14default_configENS1_36segmented_radix_sort_config_selectorI6__halflEEZNS1_25segmented_radix_sort_implIS3_Lb0EPKS5_PS5_PKlPlN2at6native12_GLOBAL__N_18offset_tEEE10hipError_tPvRmT1_PNSt15iterator_traitsISL_E10value_typeET2_T3_PNSM_ISR_E10value_typeET4_jRbjT5_SX_jjP12ihipStream_tbEUlT_E0_NS1_11comp_targetILNS1_3genE2ELNS1_11target_archE906ELNS1_3gpuE6ELNS1_3repE0EEENS1_60segmented_radix_sort_warp_sort_medium_config_static_selectorELNS0_4arch9wavefront6targetE0EEEvSL_
                                        ; -- End function
	.set _ZN7rocprim17ROCPRIM_400000_NS6detail17trampoline_kernelINS0_14default_configENS1_36segmented_radix_sort_config_selectorI6__halflEEZNS1_25segmented_radix_sort_implIS3_Lb0EPKS5_PS5_PKlPlN2at6native12_GLOBAL__N_18offset_tEEE10hipError_tPvRmT1_PNSt15iterator_traitsISL_E10value_typeET2_T3_PNSM_ISR_E10value_typeET4_jRbjT5_SX_jjP12ihipStream_tbEUlT_E0_NS1_11comp_targetILNS1_3genE2ELNS1_11target_archE906ELNS1_3gpuE6ELNS1_3repE0EEENS1_60segmented_radix_sort_warp_sort_medium_config_static_selectorELNS0_4arch9wavefront6targetE0EEEvSL_.num_vgpr, 0
	.set _ZN7rocprim17ROCPRIM_400000_NS6detail17trampoline_kernelINS0_14default_configENS1_36segmented_radix_sort_config_selectorI6__halflEEZNS1_25segmented_radix_sort_implIS3_Lb0EPKS5_PS5_PKlPlN2at6native12_GLOBAL__N_18offset_tEEE10hipError_tPvRmT1_PNSt15iterator_traitsISL_E10value_typeET2_T3_PNSM_ISR_E10value_typeET4_jRbjT5_SX_jjP12ihipStream_tbEUlT_E0_NS1_11comp_targetILNS1_3genE2ELNS1_11target_archE906ELNS1_3gpuE6ELNS1_3repE0EEENS1_60segmented_radix_sort_warp_sort_medium_config_static_selectorELNS0_4arch9wavefront6targetE0EEEvSL_.num_agpr, 0
	.set _ZN7rocprim17ROCPRIM_400000_NS6detail17trampoline_kernelINS0_14default_configENS1_36segmented_radix_sort_config_selectorI6__halflEEZNS1_25segmented_radix_sort_implIS3_Lb0EPKS5_PS5_PKlPlN2at6native12_GLOBAL__N_18offset_tEEE10hipError_tPvRmT1_PNSt15iterator_traitsISL_E10value_typeET2_T3_PNSM_ISR_E10value_typeET4_jRbjT5_SX_jjP12ihipStream_tbEUlT_E0_NS1_11comp_targetILNS1_3genE2ELNS1_11target_archE906ELNS1_3gpuE6ELNS1_3repE0EEENS1_60segmented_radix_sort_warp_sort_medium_config_static_selectorELNS0_4arch9wavefront6targetE0EEEvSL_.numbered_sgpr, 0
	.set _ZN7rocprim17ROCPRIM_400000_NS6detail17trampoline_kernelINS0_14default_configENS1_36segmented_radix_sort_config_selectorI6__halflEEZNS1_25segmented_radix_sort_implIS3_Lb0EPKS5_PS5_PKlPlN2at6native12_GLOBAL__N_18offset_tEEE10hipError_tPvRmT1_PNSt15iterator_traitsISL_E10value_typeET2_T3_PNSM_ISR_E10value_typeET4_jRbjT5_SX_jjP12ihipStream_tbEUlT_E0_NS1_11comp_targetILNS1_3genE2ELNS1_11target_archE906ELNS1_3gpuE6ELNS1_3repE0EEENS1_60segmented_radix_sort_warp_sort_medium_config_static_selectorELNS0_4arch9wavefront6targetE0EEEvSL_.num_named_barrier, 0
	.set _ZN7rocprim17ROCPRIM_400000_NS6detail17trampoline_kernelINS0_14default_configENS1_36segmented_radix_sort_config_selectorI6__halflEEZNS1_25segmented_radix_sort_implIS3_Lb0EPKS5_PS5_PKlPlN2at6native12_GLOBAL__N_18offset_tEEE10hipError_tPvRmT1_PNSt15iterator_traitsISL_E10value_typeET2_T3_PNSM_ISR_E10value_typeET4_jRbjT5_SX_jjP12ihipStream_tbEUlT_E0_NS1_11comp_targetILNS1_3genE2ELNS1_11target_archE906ELNS1_3gpuE6ELNS1_3repE0EEENS1_60segmented_radix_sort_warp_sort_medium_config_static_selectorELNS0_4arch9wavefront6targetE0EEEvSL_.private_seg_size, 0
	.set _ZN7rocprim17ROCPRIM_400000_NS6detail17trampoline_kernelINS0_14default_configENS1_36segmented_radix_sort_config_selectorI6__halflEEZNS1_25segmented_radix_sort_implIS3_Lb0EPKS5_PS5_PKlPlN2at6native12_GLOBAL__N_18offset_tEEE10hipError_tPvRmT1_PNSt15iterator_traitsISL_E10value_typeET2_T3_PNSM_ISR_E10value_typeET4_jRbjT5_SX_jjP12ihipStream_tbEUlT_E0_NS1_11comp_targetILNS1_3genE2ELNS1_11target_archE906ELNS1_3gpuE6ELNS1_3repE0EEENS1_60segmented_radix_sort_warp_sort_medium_config_static_selectorELNS0_4arch9wavefront6targetE0EEEvSL_.uses_vcc, 0
	.set _ZN7rocprim17ROCPRIM_400000_NS6detail17trampoline_kernelINS0_14default_configENS1_36segmented_radix_sort_config_selectorI6__halflEEZNS1_25segmented_radix_sort_implIS3_Lb0EPKS5_PS5_PKlPlN2at6native12_GLOBAL__N_18offset_tEEE10hipError_tPvRmT1_PNSt15iterator_traitsISL_E10value_typeET2_T3_PNSM_ISR_E10value_typeET4_jRbjT5_SX_jjP12ihipStream_tbEUlT_E0_NS1_11comp_targetILNS1_3genE2ELNS1_11target_archE906ELNS1_3gpuE6ELNS1_3repE0EEENS1_60segmented_radix_sort_warp_sort_medium_config_static_selectorELNS0_4arch9wavefront6targetE0EEEvSL_.uses_flat_scratch, 0
	.set _ZN7rocprim17ROCPRIM_400000_NS6detail17trampoline_kernelINS0_14default_configENS1_36segmented_radix_sort_config_selectorI6__halflEEZNS1_25segmented_radix_sort_implIS3_Lb0EPKS5_PS5_PKlPlN2at6native12_GLOBAL__N_18offset_tEEE10hipError_tPvRmT1_PNSt15iterator_traitsISL_E10value_typeET2_T3_PNSM_ISR_E10value_typeET4_jRbjT5_SX_jjP12ihipStream_tbEUlT_E0_NS1_11comp_targetILNS1_3genE2ELNS1_11target_archE906ELNS1_3gpuE6ELNS1_3repE0EEENS1_60segmented_radix_sort_warp_sort_medium_config_static_selectorELNS0_4arch9wavefront6targetE0EEEvSL_.has_dyn_sized_stack, 0
	.set _ZN7rocprim17ROCPRIM_400000_NS6detail17trampoline_kernelINS0_14default_configENS1_36segmented_radix_sort_config_selectorI6__halflEEZNS1_25segmented_radix_sort_implIS3_Lb0EPKS5_PS5_PKlPlN2at6native12_GLOBAL__N_18offset_tEEE10hipError_tPvRmT1_PNSt15iterator_traitsISL_E10value_typeET2_T3_PNSM_ISR_E10value_typeET4_jRbjT5_SX_jjP12ihipStream_tbEUlT_E0_NS1_11comp_targetILNS1_3genE2ELNS1_11target_archE906ELNS1_3gpuE6ELNS1_3repE0EEENS1_60segmented_radix_sort_warp_sort_medium_config_static_selectorELNS0_4arch9wavefront6targetE0EEEvSL_.has_recursion, 0
	.set _ZN7rocprim17ROCPRIM_400000_NS6detail17trampoline_kernelINS0_14default_configENS1_36segmented_radix_sort_config_selectorI6__halflEEZNS1_25segmented_radix_sort_implIS3_Lb0EPKS5_PS5_PKlPlN2at6native12_GLOBAL__N_18offset_tEEE10hipError_tPvRmT1_PNSt15iterator_traitsISL_E10value_typeET2_T3_PNSM_ISR_E10value_typeET4_jRbjT5_SX_jjP12ihipStream_tbEUlT_E0_NS1_11comp_targetILNS1_3genE2ELNS1_11target_archE906ELNS1_3gpuE6ELNS1_3repE0EEENS1_60segmented_radix_sort_warp_sort_medium_config_static_selectorELNS0_4arch9wavefront6targetE0EEEvSL_.has_indirect_call, 0
	.section	.AMDGPU.csdata,"",@progbits
; Kernel info:
; codeLenInByte = 0
; TotalNumSgprs: 0
; NumVgprs: 0
; ScratchSize: 0
; MemoryBound: 0
; FloatMode: 240
; IeeeMode: 1
; LDSByteSize: 0 bytes/workgroup (compile time only)
; SGPRBlocks: 0
; VGPRBlocks: 0
; NumSGPRsForWavesPerEU: 1
; NumVGPRsForWavesPerEU: 1
; NamedBarCnt: 0
; Occupancy: 16
; WaveLimiterHint : 0
; COMPUTE_PGM_RSRC2:SCRATCH_EN: 0
; COMPUTE_PGM_RSRC2:USER_SGPR: 2
; COMPUTE_PGM_RSRC2:TRAP_HANDLER: 0
; COMPUTE_PGM_RSRC2:TGID_X_EN: 1
; COMPUTE_PGM_RSRC2:TGID_Y_EN: 0
; COMPUTE_PGM_RSRC2:TGID_Z_EN: 0
; COMPUTE_PGM_RSRC2:TIDIG_COMP_CNT: 0
	.section	.text._ZN7rocprim17ROCPRIM_400000_NS6detail17trampoline_kernelINS0_14default_configENS1_36segmented_radix_sort_config_selectorI6__halflEEZNS1_25segmented_radix_sort_implIS3_Lb0EPKS5_PS5_PKlPlN2at6native12_GLOBAL__N_18offset_tEEE10hipError_tPvRmT1_PNSt15iterator_traitsISL_E10value_typeET2_T3_PNSM_ISR_E10value_typeET4_jRbjT5_SX_jjP12ihipStream_tbEUlT_E0_NS1_11comp_targetILNS1_3genE10ELNS1_11target_archE1201ELNS1_3gpuE5ELNS1_3repE0EEENS1_60segmented_radix_sort_warp_sort_medium_config_static_selectorELNS0_4arch9wavefront6targetE0EEEvSL_,"axG",@progbits,_ZN7rocprim17ROCPRIM_400000_NS6detail17trampoline_kernelINS0_14default_configENS1_36segmented_radix_sort_config_selectorI6__halflEEZNS1_25segmented_radix_sort_implIS3_Lb0EPKS5_PS5_PKlPlN2at6native12_GLOBAL__N_18offset_tEEE10hipError_tPvRmT1_PNSt15iterator_traitsISL_E10value_typeET2_T3_PNSM_ISR_E10value_typeET4_jRbjT5_SX_jjP12ihipStream_tbEUlT_E0_NS1_11comp_targetILNS1_3genE10ELNS1_11target_archE1201ELNS1_3gpuE5ELNS1_3repE0EEENS1_60segmented_radix_sort_warp_sort_medium_config_static_selectorELNS0_4arch9wavefront6targetE0EEEvSL_,comdat
	.globl	_ZN7rocprim17ROCPRIM_400000_NS6detail17trampoline_kernelINS0_14default_configENS1_36segmented_radix_sort_config_selectorI6__halflEEZNS1_25segmented_radix_sort_implIS3_Lb0EPKS5_PS5_PKlPlN2at6native12_GLOBAL__N_18offset_tEEE10hipError_tPvRmT1_PNSt15iterator_traitsISL_E10value_typeET2_T3_PNSM_ISR_E10value_typeET4_jRbjT5_SX_jjP12ihipStream_tbEUlT_E0_NS1_11comp_targetILNS1_3genE10ELNS1_11target_archE1201ELNS1_3gpuE5ELNS1_3repE0EEENS1_60segmented_radix_sort_warp_sort_medium_config_static_selectorELNS0_4arch9wavefront6targetE0EEEvSL_ ; -- Begin function _ZN7rocprim17ROCPRIM_400000_NS6detail17trampoline_kernelINS0_14default_configENS1_36segmented_radix_sort_config_selectorI6__halflEEZNS1_25segmented_radix_sort_implIS3_Lb0EPKS5_PS5_PKlPlN2at6native12_GLOBAL__N_18offset_tEEE10hipError_tPvRmT1_PNSt15iterator_traitsISL_E10value_typeET2_T3_PNSM_ISR_E10value_typeET4_jRbjT5_SX_jjP12ihipStream_tbEUlT_E0_NS1_11comp_targetILNS1_3genE10ELNS1_11target_archE1201ELNS1_3gpuE5ELNS1_3repE0EEENS1_60segmented_radix_sort_warp_sort_medium_config_static_selectorELNS0_4arch9wavefront6targetE0EEEvSL_
	.p2align	8
	.type	_ZN7rocprim17ROCPRIM_400000_NS6detail17trampoline_kernelINS0_14default_configENS1_36segmented_radix_sort_config_selectorI6__halflEEZNS1_25segmented_radix_sort_implIS3_Lb0EPKS5_PS5_PKlPlN2at6native12_GLOBAL__N_18offset_tEEE10hipError_tPvRmT1_PNSt15iterator_traitsISL_E10value_typeET2_T3_PNSM_ISR_E10value_typeET4_jRbjT5_SX_jjP12ihipStream_tbEUlT_E0_NS1_11comp_targetILNS1_3genE10ELNS1_11target_archE1201ELNS1_3gpuE5ELNS1_3repE0EEENS1_60segmented_radix_sort_warp_sort_medium_config_static_selectorELNS0_4arch9wavefront6targetE0EEEvSL_,@function
_ZN7rocprim17ROCPRIM_400000_NS6detail17trampoline_kernelINS0_14default_configENS1_36segmented_radix_sort_config_selectorI6__halflEEZNS1_25segmented_radix_sort_implIS3_Lb0EPKS5_PS5_PKlPlN2at6native12_GLOBAL__N_18offset_tEEE10hipError_tPvRmT1_PNSt15iterator_traitsISL_E10value_typeET2_T3_PNSM_ISR_E10value_typeET4_jRbjT5_SX_jjP12ihipStream_tbEUlT_E0_NS1_11comp_targetILNS1_3genE10ELNS1_11target_archE1201ELNS1_3gpuE5ELNS1_3repE0EEENS1_60segmented_radix_sort_warp_sort_medium_config_static_selectorELNS0_4arch9wavefront6targetE0EEEvSL_: ; @_ZN7rocprim17ROCPRIM_400000_NS6detail17trampoline_kernelINS0_14default_configENS1_36segmented_radix_sort_config_selectorI6__halflEEZNS1_25segmented_radix_sort_implIS3_Lb0EPKS5_PS5_PKlPlN2at6native12_GLOBAL__N_18offset_tEEE10hipError_tPvRmT1_PNSt15iterator_traitsISL_E10value_typeET2_T3_PNSM_ISR_E10value_typeET4_jRbjT5_SX_jjP12ihipStream_tbEUlT_E0_NS1_11comp_targetILNS1_3genE10ELNS1_11target_archE1201ELNS1_3gpuE5ELNS1_3repE0EEENS1_60segmented_radix_sort_warp_sort_medium_config_static_selectorELNS0_4arch9wavefront6targetE0EEEvSL_
; %bb.0:
	.section	.rodata,"a",@progbits
	.p2align	6, 0x0
	.amdhsa_kernel _ZN7rocprim17ROCPRIM_400000_NS6detail17trampoline_kernelINS0_14default_configENS1_36segmented_radix_sort_config_selectorI6__halflEEZNS1_25segmented_radix_sort_implIS3_Lb0EPKS5_PS5_PKlPlN2at6native12_GLOBAL__N_18offset_tEEE10hipError_tPvRmT1_PNSt15iterator_traitsISL_E10value_typeET2_T3_PNSM_ISR_E10value_typeET4_jRbjT5_SX_jjP12ihipStream_tbEUlT_E0_NS1_11comp_targetILNS1_3genE10ELNS1_11target_archE1201ELNS1_3gpuE5ELNS1_3repE0EEENS1_60segmented_radix_sort_warp_sort_medium_config_static_selectorELNS0_4arch9wavefront6targetE0EEEvSL_
		.amdhsa_group_segment_fixed_size 0
		.amdhsa_private_segment_fixed_size 0
		.amdhsa_kernarg_size 88
		.amdhsa_user_sgpr_count 2
		.amdhsa_user_sgpr_dispatch_ptr 0
		.amdhsa_user_sgpr_queue_ptr 0
		.amdhsa_user_sgpr_kernarg_segment_ptr 1
		.amdhsa_user_sgpr_dispatch_id 0
		.amdhsa_user_sgpr_kernarg_preload_length 0
		.amdhsa_user_sgpr_kernarg_preload_offset 0
		.amdhsa_user_sgpr_private_segment_size 0
		.amdhsa_wavefront_size32 1
		.amdhsa_uses_dynamic_stack 0
		.amdhsa_enable_private_segment 0
		.amdhsa_system_sgpr_workgroup_id_x 1
		.amdhsa_system_sgpr_workgroup_id_y 0
		.amdhsa_system_sgpr_workgroup_id_z 0
		.amdhsa_system_sgpr_workgroup_info 0
		.amdhsa_system_vgpr_workitem_id 0
		.amdhsa_next_free_vgpr 1
		.amdhsa_next_free_sgpr 1
		.amdhsa_named_barrier_count 0
		.amdhsa_reserve_vcc 0
		.amdhsa_float_round_mode_32 0
		.amdhsa_float_round_mode_16_64 0
		.amdhsa_float_denorm_mode_32 3
		.amdhsa_float_denorm_mode_16_64 3
		.amdhsa_fp16_overflow 0
		.amdhsa_memory_ordered 1
		.amdhsa_forward_progress 1
		.amdhsa_inst_pref_size 0
		.amdhsa_round_robin_scheduling 0
		.amdhsa_exception_fp_ieee_invalid_op 0
		.amdhsa_exception_fp_denorm_src 0
		.amdhsa_exception_fp_ieee_div_zero 0
		.amdhsa_exception_fp_ieee_overflow 0
		.amdhsa_exception_fp_ieee_underflow 0
		.amdhsa_exception_fp_ieee_inexact 0
		.amdhsa_exception_int_div_zero 0
	.end_amdhsa_kernel
	.section	.text._ZN7rocprim17ROCPRIM_400000_NS6detail17trampoline_kernelINS0_14default_configENS1_36segmented_radix_sort_config_selectorI6__halflEEZNS1_25segmented_radix_sort_implIS3_Lb0EPKS5_PS5_PKlPlN2at6native12_GLOBAL__N_18offset_tEEE10hipError_tPvRmT1_PNSt15iterator_traitsISL_E10value_typeET2_T3_PNSM_ISR_E10value_typeET4_jRbjT5_SX_jjP12ihipStream_tbEUlT_E0_NS1_11comp_targetILNS1_3genE10ELNS1_11target_archE1201ELNS1_3gpuE5ELNS1_3repE0EEENS1_60segmented_radix_sort_warp_sort_medium_config_static_selectorELNS0_4arch9wavefront6targetE0EEEvSL_,"axG",@progbits,_ZN7rocprim17ROCPRIM_400000_NS6detail17trampoline_kernelINS0_14default_configENS1_36segmented_radix_sort_config_selectorI6__halflEEZNS1_25segmented_radix_sort_implIS3_Lb0EPKS5_PS5_PKlPlN2at6native12_GLOBAL__N_18offset_tEEE10hipError_tPvRmT1_PNSt15iterator_traitsISL_E10value_typeET2_T3_PNSM_ISR_E10value_typeET4_jRbjT5_SX_jjP12ihipStream_tbEUlT_E0_NS1_11comp_targetILNS1_3genE10ELNS1_11target_archE1201ELNS1_3gpuE5ELNS1_3repE0EEENS1_60segmented_radix_sort_warp_sort_medium_config_static_selectorELNS0_4arch9wavefront6targetE0EEEvSL_,comdat
.Lfunc_end1848:
	.size	_ZN7rocprim17ROCPRIM_400000_NS6detail17trampoline_kernelINS0_14default_configENS1_36segmented_radix_sort_config_selectorI6__halflEEZNS1_25segmented_radix_sort_implIS3_Lb0EPKS5_PS5_PKlPlN2at6native12_GLOBAL__N_18offset_tEEE10hipError_tPvRmT1_PNSt15iterator_traitsISL_E10value_typeET2_T3_PNSM_ISR_E10value_typeET4_jRbjT5_SX_jjP12ihipStream_tbEUlT_E0_NS1_11comp_targetILNS1_3genE10ELNS1_11target_archE1201ELNS1_3gpuE5ELNS1_3repE0EEENS1_60segmented_radix_sort_warp_sort_medium_config_static_selectorELNS0_4arch9wavefront6targetE0EEEvSL_, .Lfunc_end1848-_ZN7rocprim17ROCPRIM_400000_NS6detail17trampoline_kernelINS0_14default_configENS1_36segmented_radix_sort_config_selectorI6__halflEEZNS1_25segmented_radix_sort_implIS3_Lb0EPKS5_PS5_PKlPlN2at6native12_GLOBAL__N_18offset_tEEE10hipError_tPvRmT1_PNSt15iterator_traitsISL_E10value_typeET2_T3_PNSM_ISR_E10value_typeET4_jRbjT5_SX_jjP12ihipStream_tbEUlT_E0_NS1_11comp_targetILNS1_3genE10ELNS1_11target_archE1201ELNS1_3gpuE5ELNS1_3repE0EEENS1_60segmented_radix_sort_warp_sort_medium_config_static_selectorELNS0_4arch9wavefront6targetE0EEEvSL_
                                        ; -- End function
	.set _ZN7rocprim17ROCPRIM_400000_NS6detail17trampoline_kernelINS0_14default_configENS1_36segmented_radix_sort_config_selectorI6__halflEEZNS1_25segmented_radix_sort_implIS3_Lb0EPKS5_PS5_PKlPlN2at6native12_GLOBAL__N_18offset_tEEE10hipError_tPvRmT1_PNSt15iterator_traitsISL_E10value_typeET2_T3_PNSM_ISR_E10value_typeET4_jRbjT5_SX_jjP12ihipStream_tbEUlT_E0_NS1_11comp_targetILNS1_3genE10ELNS1_11target_archE1201ELNS1_3gpuE5ELNS1_3repE0EEENS1_60segmented_radix_sort_warp_sort_medium_config_static_selectorELNS0_4arch9wavefront6targetE0EEEvSL_.num_vgpr, 0
	.set _ZN7rocprim17ROCPRIM_400000_NS6detail17trampoline_kernelINS0_14default_configENS1_36segmented_radix_sort_config_selectorI6__halflEEZNS1_25segmented_radix_sort_implIS3_Lb0EPKS5_PS5_PKlPlN2at6native12_GLOBAL__N_18offset_tEEE10hipError_tPvRmT1_PNSt15iterator_traitsISL_E10value_typeET2_T3_PNSM_ISR_E10value_typeET4_jRbjT5_SX_jjP12ihipStream_tbEUlT_E0_NS1_11comp_targetILNS1_3genE10ELNS1_11target_archE1201ELNS1_3gpuE5ELNS1_3repE0EEENS1_60segmented_radix_sort_warp_sort_medium_config_static_selectorELNS0_4arch9wavefront6targetE0EEEvSL_.num_agpr, 0
	.set _ZN7rocprim17ROCPRIM_400000_NS6detail17trampoline_kernelINS0_14default_configENS1_36segmented_radix_sort_config_selectorI6__halflEEZNS1_25segmented_radix_sort_implIS3_Lb0EPKS5_PS5_PKlPlN2at6native12_GLOBAL__N_18offset_tEEE10hipError_tPvRmT1_PNSt15iterator_traitsISL_E10value_typeET2_T3_PNSM_ISR_E10value_typeET4_jRbjT5_SX_jjP12ihipStream_tbEUlT_E0_NS1_11comp_targetILNS1_3genE10ELNS1_11target_archE1201ELNS1_3gpuE5ELNS1_3repE0EEENS1_60segmented_radix_sort_warp_sort_medium_config_static_selectorELNS0_4arch9wavefront6targetE0EEEvSL_.numbered_sgpr, 0
	.set _ZN7rocprim17ROCPRIM_400000_NS6detail17trampoline_kernelINS0_14default_configENS1_36segmented_radix_sort_config_selectorI6__halflEEZNS1_25segmented_radix_sort_implIS3_Lb0EPKS5_PS5_PKlPlN2at6native12_GLOBAL__N_18offset_tEEE10hipError_tPvRmT1_PNSt15iterator_traitsISL_E10value_typeET2_T3_PNSM_ISR_E10value_typeET4_jRbjT5_SX_jjP12ihipStream_tbEUlT_E0_NS1_11comp_targetILNS1_3genE10ELNS1_11target_archE1201ELNS1_3gpuE5ELNS1_3repE0EEENS1_60segmented_radix_sort_warp_sort_medium_config_static_selectorELNS0_4arch9wavefront6targetE0EEEvSL_.num_named_barrier, 0
	.set _ZN7rocprim17ROCPRIM_400000_NS6detail17trampoline_kernelINS0_14default_configENS1_36segmented_radix_sort_config_selectorI6__halflEEZNS1_25segmented_radix_sort_implIS3_Lb0EPKS5_PS5_PKlPlN2at6native12_GLOBAL__N_18offset_tEEE10hipError_tPvRmT1_PNSt15iterator_traitsISL_E10value_typeET2_T3_PNSM_ISR_E10value_typeET4_jRbjT5_SX_jjP12ihipStream_tbEUlT_E0_NS1_11comp_targetILNS1_3genE10ELNS1_11target_archE1201ELNS1_3gpuE5ELNS1_3repE0EEENS1_60segmented_radix_sort_warp_sort_medium_config_static_selectorELNS0_4arch9wavefront6targetE0EEEvSL_.private_seg_size, 0
	.set _ZN7rocprim17ROCPRIM_400000_NS6detail17trampoline_kernelINS0_14default_configENS1_36segmented_radix_sort_config_selectorI6__halflEEZNS1_25segmented_radix_sort_implIS3_Lb0EPKS5_PS5_PKlPlN2at6native12_GLOBAL__N_18offset_tEEE10hipError_tPvRmT1_PNSt15iterator_traitsISL_E10value_typeET2_T3_PNSM_ISR_E10value_typeET4_jRbjT5_SX_jjP12ihipStream_tbEUlT_E0_NS1_11comp_targetILNS1_3genE10ELNS1_11target_archE1201ELNS1_3gpuE5ELNS1_3repE0EEENS1_60segmented_radix_sort_warp_sort_medium_config_static_selectorELNS0_4arch9wavefront6targetE0EEEvSL_.uses_vcc, 0
	.set _ZN7rocprim17ROCPRIM_400000_NS6detail17trampoline_kernelINS0_14default_configENS1_36segmented_radix_sort_config_selectorI6__halflEEZNS1_25segmented_radix_sort_implIS3_Lb0EPKS5_PS5_PKlPlN2at6native12_GLOBAL__N_18offset_tEEE10hipError_tPvRmT1_PNSt15iterator_traitsISL_E10value_typeET2_T3_PNSM_ISR_E10value_typeET4_jRbjT5_SX_jjP12ihipStream_tbEUlT_E0_NS1_11comp_targetILNS1_3genE10ELNS1_11target_archE1201ELNS1_3gpuE5ELNS1_3repE0EEENS1_60segmented_radix_sort_warp_sort_medium_config_static_selectorELNS0_4arch9wavefront6targetE0EEEvSL_.uses_flat_scratch, 0
	.set _ZN7rocprim17ROCPRIM_400000_NS6detail17trampoline_kernelINS0_14default_configENS1_36segmented_radix_sort_config_selectorI6__halflEEZNS1_25segmented_radix_sort_implIS3_Lb0EPKS5_PS5_PKlPlN2at6native12_GLOBAL__N_18offset_tEEE10hipError_tPvRmT1_PNSt15iterator_traitsISL_E10value_typeET2_T3_PNSM_ISR_E10value_typeET4_jRbjT5_SX_jjP12ihipStream_tbEUlT_E0_NS1_11comp_targetILNS1_3genE10ELNS1_11target_archE1201ELNS1_3gpuE5ELNS1_3repE0EEENS1_60segmented_radix_sort_warp_sort_medium_config_static_selectorELNS0_4arch9wavefront6targetE0EEEvSL_.has_dyn_sized_stack, 0
	.set _ZN7rocprim17ROCPRIM_400000_NS6detail17trampoline_kernelINS0_14default_configENS1_36segmented_radix_sort_config_selectorI6__halflEEZNS1_25segmented_radix_sort_implIS3_Lb0EPKS5_PS5_PKlPlN2at6native12_GLOBAL__N_18offset_tEEE10hipError_tPvRmT1_PNSt15iterator_traitsISL_E10value_typeET2_T3_PNSM_ISR_E10value_typeET4_jRbjT5_SX_jjP12ihipStream_tbEUlT_E0_NS1_11comp_targetILNS1_3genE10ELNS1_11target_archE1201ELNS1_3gpuE5ELNS1_3repE0EEENS1_60segmented_radix_sort_warp_sort_medium_config_static_selectorELNS0_4arch9wavefront6targetE0EEEvSL_.has_recursion, 0
	.set _ZN7rocprim17ROCPRIM_400000_NS6detail17trampoline_kernelINS0_14default_configENS1_36segmented_radix_sort_config_selectorI6__halflEEZNS1_25segmented_radix_sort_implIS3_Lb0EPKS5_PS5_PKlPlN2at6native12_GLOBAL__N_18offset_tEEE10hipError_tPvRmT1_PNSt15iterator_traitsISL_E10value_typeET2_T3_PNSM_ISR_E10value_typeET4_jRbjT5_SX_jjP12ihipStream_tbEUlT_E0_NS1_11comp_targetILNS1_3genE10ELNS1_11target_archE1201ELNS1_3gpuE5ELNS1_3repE0EEENS1_60segmented_radix_sort_warp_sort_medium_config_static_selectorELNS0_4arch9wavefront6targetE0EEEvSL_.has_indirect_call, 0
	.section	.AMDGPU.csdata,"",@progbits
; Kernel info:
; codeLenInByte = 0
; TotalNumSgprs: 0
; NumVgprs: 0
; ScratchSize: 0
; MemoryBound: 0
; FloatMode: 240
; IeeeMode: 1
; LDSByteSize: 0 bytes/workgroup (compile time only)
; SGPRBlocks: 0
; VGPRBlocks: 0
; NumSGPRsForWavesPerEU: 1
; NumVGPRsForWavesPerEU: 1
; NamedBarCnt: 0
; Occupancy: 16
; WaveLimiterHint : 0
; COMPUTE_PGM_RSRC2:SCRATCH_EN: 0
; COMPUTE_PGM_RSRC2:USER_SGPR: 2
; COMPUTE_PGM_RSRC2:TRAP_HANDLER: 0
; COMPUTE_PGM_RSRC2:TGID_X_EN: 1
; COMPUTE_PGM_RSRC2:TGID_Y_EN: 0
; COMPUTE_PGM_RSRC2:TGID_Z_EN: 0
; COMPUTE_PGM_RSRC2:TIDIG_COMP_CNT: 0
	.section	.text._ZN7rocprim17ROCPRIM_400000_NS6detail17trampoline_kernelINS0_14default_configENS1_36segmented_radix_sort_config_selectorI6__halflEEZNS1_25segmented_radix_sort_implIS3_Lb0EPKS5_PS5_PKlPlN2at6native12_GLOBAL__N_18offset_tEEE10hipError_tPvRmT1_PNSt15iterator_traitsISL_E10value_typeET2_T3_PNSM_ISR_E10value_typeET4_jRbjT5_SX_jjP12ihipStream_tbEUlT_E0_NS1_11comp_targetILNS1_3genE10ELNS1_11target_archE1200ELNS1_3gpuE4ELNS1_3repE0EEENS1_60segmented_radix_sort_warp_sort_medium_config_static_selectorELNS0_4arch9wavefront6targetE0EEEvSL_,"axG",@progbits,_ZN7rocprim17ROCPRIM_400000_NS6detail17trampoline_kernelINS0_14default_configENS1_36segmented_radix_sort_config_selectorI6__halflEEZNS1_25segmented_radix_sort_implIS3_Lb0EPKS5_PS5_PKlPlN2at6native12_GLOBAL__N_18offset_tEEE10hipError_tPvRmT1_PNSt15iterator_traitsISL_E10value_typeET2_T3_PNSM_ISR_E10value_typeET4_jRbjT5_SX_jjP12ihipStream_tbEUlT_E0_NS1_11comp_targetILNS1_3genE10ELNS1_11target_archE1200ELNS1_3gpuE4ELNS1_3repE0EEENS1_60segmented_radix_sort_warp_sort_medium_config_static_selectorELNS0_4arch9wavefront6targetE0EEEvSL_,comdat
	.globl	_ZN7rocprim17ROCPRIM_400000_NS6detail17trampoline_kernelINS0_14default_configENS1_36segmented_radix_sort_config_selectorI6__halflEEZNS1_25segmented_radix_sort_implIS3_Lb0EPKS5_PS5_PKlPlN2at6native12_GLOBAL__N_18offset_tEEE10hipError_tPvRmT1_PNSt15iterator_traitsISL_E10value_typeET2_T3_PNSM_ISR_E10value_typeET4_jRbjT5_SX_jjP12ihipStream_tbEUlT_E0_NS1_11comp_targetILNS1_3genE10ELNS1_11target_archE1200ELNS1_3gpuE4ELNS1_3repE0EEENS1_60segmented_radix_sort_warp_sort_medium_config_static_selectorELNS0_4arch9wavefront6targetE0EEEvSL_ ; -- Begin function _ZN7rocprim17ROCPRIM_400000_NS6detail17trampoline_kernelINS0_14default_configENS1_36segmented_radix_sort_config_selectorI6__halflEEZNS1_25segmented_radix_sort_implIS3_Lb0EPKS5_PS5_PKlPlN2at6native12_GLOBAL__N_18offset_tEEE10hipError_tPvRmT1_PNSt15iterator_traitsISL_E10value_typeET2_T3_PNSM_ISR_E10value_typeET4_jRbjT5_SX_jjP12ihipStream_tbEUlT_E0_NS1_11comp_targetILNS1_3genE10ELNS1_11target_archE1200ELNS1_3gpuE4ELNS1_3repE0EEENS1_60segmented_radix_sort_warp_sort_medium_config_static_selectorELNS0_4arch9wavefront6targetE0EEEvSL_
	.p2align	8
	.type	_ZN7rocprim17ROCPRIM_400000_NS6detail17trampoline_kernelINS0_14default_configENS1_36segmented_radix_sort_config_selectorI6__halflEEZNS1_25segmented_radix_sort_implIS3_Lb0EPKS5_PS5_PKlPlN2at6native12_GLOBAL__N_18offset_tEEE10hipError_tPvRmT1_PNSt15iterator_traitsISL_E10value_typeET2_T3_PNSM_ISR_E10value_typeET4_jRbjT5_SX_jjP12ihipStream_tbEUlT_E0_NS1_11comp_targetILNS1_3genE10ELNS1_11target_archE1200ELNS1_3gpuE4ELNS1_3repE0EEENS1_60segmented_radix_sort_warp_sort_medium_config_static_selectorELNS0_4arch9wavefront6targetE0EEEvSL_,@function
_ZN7rocprim17ROCPRIM_400000_NS6detail17trampoline_kernelINS0_14default_configENS1_36segmented_radix_sort_config_selectorI6__halflEEZNS1_25segmented_radix_sort_implIS3_Lb0EPKS5_PS5_PKlPlN2at6native12_GLOBAL__N_18offset_tEEE10hipError_tPvRmT1_PNSt15iterator_traitsISL_E10value_typeET2_T3_PNSM_ISR_E10value_typeET4_jRbjT5_SX_jjP12ihipStream_tbEUlT_E0_NS1_11comp_targetILNS1_3genE10ELNS1_11target_archE1200ELNS1_3gpuE4ELNS1_3repE0EEENS1_60segmented_radix_sort_warp_sort_medium_config_static_selectorELNS0_4arch9wavefront6targetE0EEEvSL_: ; @_ZN7rocprim17ROCPRIM_400000_NS6detail17trampoline_kernelINS0_14default_configENS1_36segmented_radix_sort_config_selectorI6__halflEEZNS1_25segmented_radix_sort_implIS3_Lb0EPKS5_PS5_PKlPlN2at6native12_GLOBAL__N_18offset_tEEE10hipError_tPvRmT1_PNSt15iterator_traitsISL_E10value_typeET2_T3_PNSM_ISR_E10value_typeET4_jRbjT5_SX_jjP12ihipStream_tbEUlT_E0_NS1_11comp_targetILNS1_3genE10ELNS1_11target_archE1200ELNS1_3gpuE4ELNS1_3repE0EEENS1_60segmented_radix_sort_warp_sort_medium_config_static_selectorELNS0_4arch9wavefront6targetE0EEEvSL_
; %bb.0:
	.section	.rodata,"a",@progbits
	.p2align	6, 0x0
	.amdhsa_kernel _ZN7rocprim17ROCPRIM_400000_NS6detail17trampoline_kernelINS0_14default_configENS1_36segmented_radix_sort_config_selectorI6__halflEEZNS1_25segmented_radix_sort_implIS3_Lb0EPKS5_PS5_PKlPlN2at6native12_GLOBAL__N_18offset_tEEE10hipError_tPvRmT1_PNSt15iterator_traitsISL_E10value_typeET2_T3_PNSM_ISR_E10value_typeET4_jRbjT5_SX_jjP12ihipStream_tbEUlT_E0_NS1_11comp_targetILNS1_3genE10ELNS1_11target_archE1200ELNS1_3gpuE4ELNS1_3repE0EEENS1_60segmented_radix_sort_warp_sort_medium_config_static_selectorELNS0_4arch9wavefront6targetE0EEEvSL_
		.amdhsa_group_segment_fixed_size 0
		.amdhsa_private_segment_fixed_size 0
		.amdhsa_kernarg_size 88
		.amdhsa_user_sgpr_count 2
		.amdhsa_user_sgpr_dispatch_ptr 0
		.amdhsa_user_sgpr_queue_ptr 0
		.amdhsa_user_sgpr_kernarg_segment_ptr 1
		.amdhsa_user_sgpr_dispatch_id 0
		.amdhsa_user_sgpr_kernarg_preload_length 0
		.amdhsa_user_sgpr_kernarg_preload_offset 0
		.amdhsa_user_sgpr_private_segment_size 0
		.amdhsa_wavefront_size32 1
		.amdhsa_uses_dynamic_stack 0
		.amdhsa_enable_private_segment 0
		.amdhsa_system_sgpr_workgroup_id_x 1
		.amdhsa_system_sgpr_workgroup_id_y 0
		.amdhsa_system_sgpr_workgroup_id_z 0
		.amdhsa_system_sgpr_workgroup_info 0
		.amdhsa_system_vgpr_workitem_id 0
		.amdhsa_next_free_vgpr 1
		.amdhsa_next_free_sgpr 1
		.amdhsa_named_barrier_count 0
		.amdhsa_reserve_vcc 0
		.amdhsa_float_round_mode_32 0
		.amdhsa_float_round_mode_16_64 0
		.amdhsa_float_denorm_mode_32 3
		.amdhsa_float_denorm_mode_16_64 3
		.amdhsa_fp16_overflow 0
		.amdhsa_memory_ordered 1
		.amdhsa_forward_progress 1
		.amdhsa_inst_pref_size 0
		.amdhsa_round_robin_scheduling 0
		.amdhsa_exception_fp_ieee_invalid_op 0
		.amdhsa_exception_fp_denorm_src 0
		.amdhsa_exception_fp_ieee_div_zero 0
		.amdhsa_exception_fp_ieee_overflow 0
		.amdhsa_exception_fp_ieee_underflow 0
		.amdhsa_exception_fp_ieee_inexact 0
		.amdhsa_exception_int_div_zero 0
	.end_amdhsa_kernel
	.section	.text._ZN7rocprim17ROCPRIM_400000_NS6detail17trampoline_kernelINS0_14default_configENS1_36segmented_radix_sort_config_selectorI6__halflEEZNS1_25segmented_radix_sort_implIS3_Lb0EPKS5_PS5_PKlPlN2at6native12_GLOBAL__N_18offset_tEEE10hipError_tPvRmT1_PNSt15iterator_traitsISL_E10value_typeET2_T3_PNSM_ISR_E10value_typeET4_jRbjT5_SX_jjP12ihipStream_tbEUlT_E0_NS1_11comp_targetILNS1_3genE10ELNS1_11target_archE1200ELNS1_3gpuE4ELNS1_3repE0EEENS1_60segmented_radix_sort_warp_sort_medium_config_static_selectorELNS0_4arch9wavefront6targetE0EEEvSL_,"axG",@progbits,_ZN7rocprim17ROCPRIM_400000_NS6detail17trampoline_kernelINS0_14default_configENS1_36segmented_radix_sort_config_selectorI6__halflEEZNS1_25segmented_radix_sort_implIS3_Lb0EPKS5_PS5_PKlPlN2at6native12_GLOBAL__N_18offset_tEEE10hipError_tPvRmT1_PNSt15iterator_traitsISL_E10value_typeET2_T3_PNSM_ISR_E10value_typeET4_jRbjT5_SX_jjP12ihipStream_tbEUlT_E0_NS1_11comp_targetILNS1_3genE10ELNS1_11target_archE1200ELNS1_3gpuE4ELNS1_3repE0EEENS1_60segmented_radix_sort_warp_sort_medium_config_static_selectorELNS0_4arch9wavefront6targetE0EEEvSL_,comdat
.Lfunc_end1849:
	.size	_ZN7rocprim17ROCPRIM_400000_NS6detail17trampoline_kernelINS0_14default_configENS1_36segmented_radix_sort_config_selectorI6__halflEEZNS1_25segmented_radix_sort_implIS3_Lb0EPKS5_PS5_PKlPlN2at6native12_GLOBAL__N_18offset_tEEE10hipError_tPvRmT1_PNSt15iterator_traitsISL_E10value_typeET2_T3_PNSM_ISR_E10value_typeET4_jRbjT5_SX_jjP12ihipStream_tbEUlT_E0_NS1_11comp_targetILNS1_3genE10ELNS1_11target_archE1200ELNS1_3gpuE4ELNS1_3repE0EEENS1_60segmented_radix_sort_warp_sort_medium_config_static_selectorELNS0_4arch9wavefront6targetE0EEEvSL_, .Lfunc_end1849-_ZN7rocprim17ROCPRIM_400000_NS6detail17trampoline_kernelINS0_14default_configENS1_36segmented_radix_sort_config_selectorI6__halflEEZNS1_25segmented_radix_sort_implIS3_Lb0EPKS5_PS5_PKlPlN2at6native12_GLOBAL__N_18offset_tEEE10hipError_tPvRmT1_PNSt15iterator_traitsISL_E10value_typeET2_T3_PNSM_ISR_E10value_typeET4_jRbjT5_SX_jjP12ihipStream_tbEUlT_E0_NS1_11comp_targetILNS1_3genE10ELNS1_11target_archE1200ELNS1_3gpuE4ELNS1_3repE0EEENS1_60segmented_radix_sort_warp_sort_medium_config_static_selectorELNS0_4arch9wavefront6targetE0EEEvSL_
                                        ; -- End function
	.set _ZN7rocprim17ROCPRIM_400000_NS6detail17trampoline_kernelINS0_14default_configENS1_36segmented_radix_sort_config_selectorI6__halflEEZNS1_25segmented_radix_sort_implIS3_Lb0EPKS5_PS5_PKlPlN2at6native12_GLOBAL__N_18offset_tEEE10hipError_tPvRmT1_PNSt15iterator_traitsISL_E10value_typeET2_T3_PNSM_ISR_E10value_typeET4_jRbjT5_SX_jjP12ihipStream_tbEUlT_E0_NS1_11comp_targetILNS1_3genE10ELNS1_11target_archE1200ELNS1_3gpuE4ELNS1_3repE0EEENS1_60segmented_radix_sort_warp_sort_medium_config_static_selectorELNS0_4arch9wavefront6targetE0EEEvSL_.num_vgpr, 0
	.set _ZN7rocprim17ROCPRIM_400000_NS6detail17trampoline_kernelINS0_14default_configENS1_36segmented_radix_sort_config_selectorI6__halflEEZNS1_25segmented_radix_sort_implIS3_Lb0EPKS5_PS5_PKlPlN2at6native12_GLOBAL__N_18offset_tEEE10hipError_tPvRmT1_PNSt15iterator_traitsISL_E10value_typeET2_T3_PNSM_ISR_E10value_typeET4_jRbjT5_SX_jjP12ihipStream_tbEUlT_E0_NS1_11comp_targetILNS1_3genE10ELNS1_11target_archE1200ELNS1_3gpuE4ELNS1_3repE0EEENS1_60segmented_radix_sort_warp_sort_medium_config_static_selectorELNS0_4arch9wavefront6targetE0EEEvSL_.num_agpr, 0
	.set _ZN7rocprim17ROCPRIM_400000_NS6detail17trampoline_kernelINS0_14default_configENS1_36segmented_radix_sort_config_selectorI6__halflEEZNS1_25segmented_radix_sort_implIS3_Lb0EPKS5_PS5_PKlPlN2at6native12_GLOBAL__N_18offset_tEEE10hipError_tPvRmT1_PNSt15iterator_traitsISL_E10value_typeET2_T3_PNSM_ISR_E10value_typeET4_jRbjT5_SX_jjP12ihipStream_tbEUlT_E0_NS1_11comp_targetILNS1_3genE10ELNS1_11target_archE1200ELNS1_3gpuE4ELNS1_3repE0EEENS1_60segmented_radix_sort_warp_sort_medium_config_static_selectorELNS0_4arch9wavefront6targetE0EEEvSL_.numbered_sgpr, 0
	.set _ZN7rocprim17ROCPRIM_400000_NS6detail17trampoline_kernelINS0_14default_configENS1_36segmented_radix_sort_config_selectorI6__halflEEZNS1_25segmented_radix_sort_implIS3_Lb0EPKS5_PS5_PKlPlN2at6native12_GLOBAL__N_18offset_tEEE10hipError_tPvRmT1_PNSt15iterator_traitsISL_E10value_typeET2_T3_PNSM_ISR_E10value_typeET4_jRbjT5_SX_jjP12ihipStream_tbEUlT_E0_NS1_11comp_targetILNS1_3genE10ELNS1_11target_archE1200ELNS1_3gpuE4ELNS1_3repE0EEENS1_60segmented_radix_sort_warp_sort_medium_config_static_selectorELNS0_4arch9wavefront6targetE0EEEvSL_.num_named_barrier, 0
	.set _ZN7rocprim17ROCPRIM_400000_NS6detail17trampoline_kernelINS0_14default_configENS1_36segmented_radix_sort_config_selectorI6__halflEEZNS1_25segmented_radix_sort_implIS3_Lb0EPKS5_PS5_PKlPlN2at6native12_GLOBAL__N_18offset_tEEE10hipError_tPvRmT1_PNSt15iterator_traitsISL_E10value_typeET2_T3_PNSM_ISR_E10value_typeET4_jRbjT5_SX_jjP12ihipStream_tbEUlT_E0_NS1_11comp_targetILNS1_3genE10ELNS1_11target_archE1200ELNS1_3gpuE4ELNS1_3repE0EEENS1_60segmented_radix_sort_warp_sort_medium_config_static_selectorELNS0_4arch9wavefront6targetE0EEEvSL_.private_seg_size, 0
	.set _ZN7rocprim17ROCPRIM_400000_NS6detail17trampoline_kernelINS0_14default_configENS1_36segmented_radix_sort_config_selectorI6__halflEEZNS1_25segmented_radix_sort_implIS3_Lb0EPKS5_PS5_PKlPlN2at6native12_GLOBAL__N_18offset_tEEE10hipError_tPvRmT1_PNSt15iterator_traitsISL_E10value_typeET2_T3_PNSM_ISR_E10value_typeET4_jRbjT5_SX_jjP12ihipStream_tbEUlT_E0_NS1_11comp_targetILNS1_3genE10ELNS1_11target_archE1200ELNS1_3gpuE4ELNS1_3repE0EEENS1_60segmented_radix_sort_warp_sort_medium_config_static_selectorELNS0_4arch9wavefront6targetE0EEEvSL_.uses_vcc, 0
	.set _ZN7rocprim17ROCPRIM_400000_NS6detail17trampoline_kernelINS0_14default_configENS1_36segmented_radix_sort_config_selectorI6__halflEEZNS1_25segmented_radix_sort_implIS3_Lb0EPKS5_PS5_PKlPlN2at6native12_GLOBAL__N_18offset_tEEE10hipError_tPvRmT1_PNSt15iterator_traitsISL_E10value_typeET2_T3_PNSM_ISR_E10value_typeET4_jRbjT5_SX_jjP12ihipStream_tbEUlT_E0_NS1_11comp_targetILNS1_3genE10ELNS1_11target_archE1200ELNS1_3gpuE4ELNS1_3repE0EEENS1_60segmented_radix_sort_warp_sort_medium_config_static_selectorELNS0_4arch9wavefront6targetE0EEEvSL_.uses_flat_scratch, 0
	.set _ZN7rocprim17ROCPRIM_400000_NS6detail17trampoline_kernelINS0_14default_configENS1_36segmented_radix_sort_config_selectorI6__halflEEZNS1_25segmented_radix_sort_implIS3_Lb0EPKS5_PS5_PKlPlN2at6native12_GLOBAL__N_18offset_tEEE10hipError_tPvRmT1_PNSt15iterator_traitsISL_E10value_typeET2_T3_PNSM_ISR_E10value_typeET4_jRbjT5_SX_jjP12ihipStream_tbEUlT_E0_NS1_11comp_targetILNS1_3genE10ELNS1_11target_archE1200ELNS1_3gpuE4ELNS1_3repE0EEENS1_60segmented_radix_sort_warp_sort_medium_config_static_selectorELNS0_4arch9wavefront6targetE0EEEvSL_.has_dyn_sized_stack, 0
	.set _ZN7rocprim17ROCPRIM_400000_NS6detail17trampoline_kernelINS0_14default_configENS1_36segmented_radix_sort_config_selectorI6__halflEEZNS1_25segmented_radix_sort_implIS3_Lb0EPKS5_PS5_PKlPlN2at6native12_GLOBAL__N_18offset_tEEE10hipError_tPvRmT1_PNSt15iterator_traitsISL_E10value_typeET2_T3_PNSM_ISR_E10value_typeET4_jRbjT5_SX_jjP12ihipStream_tbEUlT_E0_NS1_11comp_targetILNS1_3genE10ELNS1_11target_archE1200ELNS1_3gpuE4ELNS1_3repE0EEENS1_60segmented_radix_sort_warp_sort_medium_config_static_selectorELNS0_4arch9wavefront6targetE0EEEvSL_.has_recursion, 0
	.set _ZN7rocprim17ROCPRIM_400000_NS6detail17trampoline_kernelINS0_14default_configENS1_36segmented_radix_sort_config_selectorI6__halflEEZNS1_25segmented_radix_sort_implIS3_Lb0EPKS5_PS5_PKlPlN2at6native12_GLOBAL__N_18offset_tEEE10hipError_tPvRmT1_PNSt15iterator_traitsISL_E10value_typeET2_T3_PNSM_ISR_E10value_typeET4_jRbjT5_SX_jjP12ihipStream_tbEUlT_E0_NS1_11comp_targetILNS1_3genE10ELNS1_11target_archE1200ELNS1_3gpuE4ELNS1_3repE0EEENS1_60segmented_radix_sort_warp_sort_medium_config_static_selectorELNS0_4arch9wavefront6targetE0EEEvSL_.has_indirect_call, 0
	.section	.AMDGPU.csdata,"",@progbits
; Kernel info:
; codeLenInByte = 0
; TotalNumSgprs: 0
; NumVgprs: 0
; ScratchSize: 0
; MemoryBound: 0
; FloatMode: 240
; IeeeMode: 1
; LDSByteSize: 0 bytes/workgroup (compile time only)
; SGPRBlocks: 0
; VGPRBlocks: 0
; NumSGPRsForWavesPerEU: 1
; NumVGPRsForWavesPerEU: 1
; NamedBarCnt: 0
; Occupancy: 16
; WaveLimiterHint : 0
; COMPUTE_PGM_RSRC2:SCRATCH_EN: 0
; COMPUTE_PGM_RSRC2:USER_SGPR: 2
; COMPUTE_PGM_RSRC2:TRAP_HANDLER: 0
; COMPUTE_PGM_RSRC2:TGID_X_EN: 1
; COMPUTE_PGM_RSRC2:TGID_Y_EN: 0
; COMPUTE_PGM_RSRC2:TGID_Z_EN: 0
; COMPUTE_PGM_RSRC2:TIDIG_COMP_CNT: 0
	.section	.text._ZN7rocprim17ROCPRIM_400000_NS6detail17trampoline_kernelINS0_14default_configENS1_36segmented_radix_sort_config_selectorI6__halflEEZNS1_25segmented_radix_sort_implIS3_Lb0EPKS5_PS5_PKlPlN2at6native12_GLOBAL__N_18offset_tEEE10hipError_tPvRmT1_PNSt15iterator_traitsISL_E10value_typeET2_T3_PNSM_ISR_E10value_typeET4_jRbjT5_SX_jjP12ihipStream_tbEUlT_E0_NS1_11comp_targetILNS1_3genE9ELNS1_11target_archE1100ELNS1_3gpuE3ELNS1_3repE0EEENS1_60segmented_radix_sort_warp_sort_medium_config_static_selectorELNS0_4arch9wavefront6targetE0EEEvSL_,"axG",@progbits,_ZN7rocprim17ROCPRIM_400000_NS6detail17trampoline_kernelINS0_14default_configENS1_36segmented_radix_sort_config_selectorI6__halflEEZNS1_25segmented_radix_sort_implIS3_Lb0EPKS5_PS5_PKlPlN2at6native12_GLOBAL__N_18offset_tEEE10hipError_tPvRmT1_PNSt15iterator_traitsISL_E10value_typeET2_T3_PNSM_ISR_E10value_typeET4_jRbjT5_SX_jjP12ihipStream_tbEUlT_E0_NS1_11comp_targetILNS1_3genE9ELNS1_11target_archE1100ELNS1_3gpuE3ELNS1_3repE0EEENS1_60segmented_radix_sort_warp_sort_medium_config_static_selectorELNS0_4arch9wavefront6targetE0EEEvSL_,comdat
	.globl	_ZN7rocprim17ROCPRIM_400000_NS6detail17trampoline_kernelINS0_14default_configENS1_36segmented_radix_sort_config_selectorI6__halflEEZNS1_25segmented_radix_sort_implIS3_Lb0EPKS5_PS5_PKlPlN2at6native12_GLOBAL__N_18offset_tEEE10hipError_tPvRmT1_PNSt15iterator_traitsISL_E10value_typeET2_T3_PNSM_ISR_E10value_typeET4_jRbjT5_SX_jjP12ihipStream_tbEUlT_E0_NS1_11comp_targetILNS1_3genE9ELNS1_11target_archE1100ELNS1_3gpuE3ELNS1_3repE0EEENS1_60segmented_radix_sort_warp_sort_medium_config_static_selectorELNS0_4arch9wavefront6targetE0EEEvSL_ ; -- Begin function _ZN7rocprim17ROCPRIM_400000_NS6detail17trampoline_kernelINS0_14default_configENS1_36segmented_radix_sort_config_selectorI6__halflEEZNS1_25segmented_radix_sort_implIS3_Lb0EPKS5_PS5_PKlPlN2at6native12_GLOBAL__N_18offset_tEEE10hipError_tPvRmT1_PNSt15iterator_traitsISL_E10value_typeET2_T3_PNSM_ISR_E10value_typeET4_jRbjT5_SX_jjP12ihipStream_tbEUlT_E0_NS1_11comp_targetILNS1_3genE9ELNS1_11target_archE1100ELNS1_3gpuE3ELNS1_3repE0EEENS1_60segmented_radix_sort_warp_sort_medium_config_static_selectorELNS0_4arch9wavefront6targetE0EEEvSL_
	.p2align	8
	.type	_ZN7rocprim17ROCPRIM_400000_NS6detail17trampoline_kernelINS0_14default_configENS1_36segmented_radix_sort_config_selectorI6__halflEEZNS1_25segmented_radix_sort_implIS3_Lb0EPKS5_PS5_PKlPlN2at6native12_GLOBAL__N_18offset_tEEE10hipError_tPvRmT1_PNSt15iterator_traitsISL_E10value_typeET2_T3_PNSM_ISR_E10value_typeET4_jRbjT5_SX_jjP12ihipStream_tbEUlT_E0_NS1_11comp_targetILNS1_3genE9ELNS1_11target_archE1100ELNS1_3gpuE3ELNS1_3repE0EEENS1_60segmented_radix_sort_warp_sort_medium_config_static_selectorELNS0_4arch9wavefront6targetE0EEEvSL_,@function
_ZN7rocprim17ROCPRIM_400000_NS6detail17trampoline_kernelINS0_14default_configENS1_36segmented_radix_sort_config_selectorI6__halflEEZNS1_25segmented_radix_sort_implIS3_Lb0EPKS5_PS5_PKlPlN2at6native12_GLOBAL__N_18offset_tEEE10hipError_tPvRmT1_PNSt15iterator_traitsISL_E10value_typeET2_T3_PNSM_ISR_E10value_typeET4_jRbjT5_SX_jjP12ihipStream_tbEUlT_E0_NS1_11comp_targetILNS1_3genE9ELNS1_11target_archE1100ELNS1_3gpuE3ELNS1_3repE0EEENS1_60segmented_radix_sort_warp_sort_medium_config_static_selectorELNS0_4arch9wavefront6targetE0EEEvSL_: ; @_ZN7rocprim17ROCPRIM_400000_NS6detail17trampoline_kernelINS0_14default_configENS1_36segmented_radix_sort_config_selectorI6__halflEEZNS1_25segmented_radix_sort_implIS3_Lb0EPKS5_PS5_PKlPlN2at6native12_GLOBAL__N_18offset_tEEE10hipError_tPvRmT1_PNSt15iterator_traitsISL_E10value_typeET2_T3_PNSM_ISR_E10value_typeET4_jRbjT5_SX_jjP12ihipStream_tbEUlT_E0_NS1_11comp_targetILNS1_3genE9ELNS1_11target_archE1100ELNS1_3gpuE3ELNS1_3repE0EEENS1_60segmented_radix_sort_warp_sort_medium_config_static_selectorELNS0_4arch9wavefront6targetE0EEEvSL_
; %bb.0:
	.section	.rodata,"a",@progbits
	.p2align	6, 0x0
	.amdhsa_kernel _ZN7rocprim17ROCPRIM_400000_NS6detail17trampoline_kernelINS0_14default_configENS1_36segmented_radix_sort_config_selectorI6__halflEEZNS1_25segmented_radix_sort_implIS3_Lb0EPKS5_PS5_PKlPlN2at6native12_GLOBAL__N_18offset_tEEE10hipError_tPvRmT1_PNSt15iterator_traitsISL_E10value_typeET2_T3_PNSM_ISR_E10value_typeET4_jRbjT5_SX_jjP12ihipStream_tbEUlT_E0_NS1_11comp_targetILNS1_3genE9ELNS1_11target_archE1100ELNS1_3gpuE3ELNS1_3repE0EEENS1_60segmented_radix_sort_warp_sort_medium_config_static_selectorELNS0_4arch9wavefront6targetE0EEEvSL_
		.amdhsa_group_segment_fixed_size 0
		.amdhsa_private_segment_fixed_size 0
		.amdhsa_kernarg_size 88
		.amdhsa_user_sgpr_count 2
		.amdhsa_user_sgpr_dispatch_ptr 0
		.amdhsa_user_sgpr_queue_ptr 0
		.amdhsa_user_sgpr_kernarg_segment_ptr 1
		.amdhsa_user_sgpr_dispatch_id 0
		.amdhsa_user_sgpr_kernarg_preload_length 0
		.amdhsa_user_sgpr_kernarg_preload_offset 0
		.amdhsa_user_sgpr_private_segment_size 0
		.amdhsa_wavefront_size32 1
		.amdhsa_uses_dynamic_stack 0
		.amdhsa_enable_private_segment 0
		.amdhsa_system_sgpr_workgroup_id_x 1
		.amdhsa_system_sgpr_workgroup_id_y 0
		.amdhsa_system_sgpr_workgroup_id_z 0
		.amdhsa_system_sgpr_workgroup_info 0
		.amdhsa_system_vgpr_workitem_id 0
		.amdhsa_next_free_vgpr 1
		.amdhsa_next_free_sgpr 1
		.amdhsa_named_barrier_count 0
		.amdhsa_reserve_vcc 0
		.amdhsa_float_round_mode_32 0
		.amdhsa_float_round_mode_16_64 0
		.amdhsa_float_denorm_mode_32 3
		.amdhsa_float_denorm_mode_16_64 3
		.amdhsa_fp16_overflow 0
		.amdhsa_memory_ordered 1
		.amdhsa_forward_progress 1
		.amdhsa_inst_pref_size 0
		.amdhsa_round_robin_scheduling 0
		.amdhsa_exception_fp_ieee_invalid_op 0
		.amdhsa_exception_fp_denorm_src 0
		.amdhsa_exception_fp_ieee_div_zero 0
		.amdhsa_exception_fp_ieee_overflow 0
		.amdhsa_exception_fp_ieee_underflow 0
		.amdhsa_exception_fp_ieee_inexact 0
		.amdhsa_exception_int_div_zero 0
	.end_amdhsa_kernel
	.section	.text._ZN7rocprim17ROCPRIM_400000_NS6detail17trampoline_kernelINS0_14default_configENS1_36segmented_radix_sort_config_selectorI6__halflEEZNS1_25segmented_radix_sort_implIS3_Lb0EPKS5_PS5_PKlPlN2at6native12_GLOBAL__N_18offset_tEEE10hipError_tPvRmT1_PNSt15iterator_traitsISL_E10value_typeET2_T3_PNSM_ISR_E10value_typeET4_jRbjT5_SX_jjP12ihipStream_tbEUlT_E0_NS1_11comp_targetILNS1_3genE9ELNS1_11target_archE1100ELNS1_3gpuE3ELNS1_3repE0EEENS1_60segmented_radix_sort_warp_sort_medium_config_static_selectorELNS0_4arch9wavefront6targetE0EEEvSL_,"axG",@progbits,_ZN7rocprim17ROCPRIM_400000_NS6detail17trampoline_kernelINS0_14default_configENS1_36segmented_radix_sort_config_selectorI6__halflEEZNS1_25segmented_radix_sort_implIS3_Lb0EPKS5_PS5_PKlPlN2at6native12_GLOBAL__N_18offset_tEEE10hipError_tPvRmT1_PNSt15iterator_traitsISL_E10value_typeET2_T3_PNSM_ISR_E10value_typeET4_jRbjT5_SX_jjP12ihipStream_tbEUlT_E0_NS1_11comp_targetILNS1_3genE9ELNS1_11target_archE1100ELNS1_3gpuE3ELNS1_3repE0EEENS1_60segmented_radix_sort_warp_sort_medium_config_static_selectorELNS0_4arch9wavefront6targetE0EEEvSL_,comdat
.Lfunc_end1850:
	.size	_ZN7rocprim17ROCPRIM_400000_NS6detail17trampoline_kernelINS0_14default_configENS1_36segmented_radix_sort_config_selectorI6__halflEEZNS1_25segmented_radix_sort_implIS3_Lb0EPKS5_PS5_PKlPlN2at6native12_GLOBAL__N_18offset_tEEE10hipError_tPvRmT1_PNSt15iterator_traitsISL_E10value_typeET2_T3_PNSM_ISR_E10value_typeET4_jRbjT5_SX_jjP12ihipStream_tbEUlT_E0_NS1_11comp_targetILNS1_3genE9ELNS1_11target_archE1100ELNS1_3gpuE3ELNS1_3repE0EEENS1_60segmented_radix_sort_warp_sort_medium_config_static_selectorELNS0_4arch9wavefront6targetE0EEEvSL_, .Lfunc_end1850-_ZN7rocprim17ROCPRIM_400000_NS6detail17trampoline_kernelINS0_14default_configENS1_36segmented_radix_sort_config_selectorI6__halflEEZNS1_25segmented_radix_sort_implIS3_Lb0EPKS5_PS5_PKlPlN2at6native12_GLOBAL__N_18offset_tEEE10hipError_tPvRmT1_PNSt15iterator_traitsISL_E10value_typeET2_T3_PNSM_ISR_E10value_typeET4_jRbjT5_SX_jjP12ihipStream_tbEUlT_E0_NS1_11comp_targetILNS1_3genE9ELNS1_11target_archE1100ELNS1_3gpuE3ELNS1_3repE0EEENS1_60segmented_radix_sort_warp_sort_medium_config_static_selectorELNS0_4arch9wavefront6targetE0EEEvSL_
                                        ; -- End function
	.set _ZN7rocprim17ROCPRIM_400000_NS6detail17trampoline_kernelINS0_14default_configENS1_36segmented_radix_sort_config_selectorI6__halflEEZNS1_25segmented_radix_sort_implIS3_Lb0EPKS5_PS5_PKlPlN2at6native12_GLOBAL__N_18offset_tEEE10hipError_tPvRmT1_PNSt15iterator_traitsISL_E10value_typeET2_T3_PNSM_ISR_E10value_typeET4_jRbjT5_SX_jjP12ihipStream_tbEUlT_E0_NS1_11comp_targetILNS1_3genE9ELNS1_11target_archE1100ELNS1_3gpuE3ELNS1_3repE0EEENS1_60segmented_radix_sort_warp_sort_medium_config_static_selectorELNS0_4arch9wavefront6targetE0EEEvSL_.num_vgpr, 0
	.set _ZN7rocprim17ROCPRIM_400000_NS6detail17trampoline_kernelINS0_14default_configENS1_36segmented_radix_sort_config_selectorI6__halflEEZNS1_25segmented_radix_sort_implIS3_Lb0EPKS5_PS5_PKlPlN2at6native12_GLOBAL__N_18offset_tEEE10hipError_tPvRmT1_PNSt15iterator_traitsISL_E10value_typeET2_T3_PNSM_ISR_E10value_typeET4_jRbjT5_SX_jjP12ihipStream_tbEUlT_E0_NS1_11comp_targetILNS1_3genE9ELNS1_11target_archE1100ELNS1_3gpuE3ELNS1_3repE0EEENS1_60segmented_radix_sort_warp_sort_medium_config_static_selectorELNS0_4arch9wavefront6targetE0EEEvSL_.num_agpr, 0
	.set _ZN7rocprim17ROCPRIM_400000_NS6detail17trampoline_kernelINS0_14default_configENS1_36segmented_radix_sort_config_selectorI6__halflEEZNS1_25segmented_radix_sort_implIS3_Lb0EPKS5_PS5_PKlPlN2at6native12_GLOBAL__N_18offset_tEEE10hipError_tPvRmT1_PNSt15iterator_traitsISL_E10value_typeET2_T3_PNSM_ISR_E10value_typeET4_jRbjT5_SX_jjP12ihipStream_tbEUlT_E0_NS1_11comp_targetILNS1_3genE9ELNS1_11target_archE1100ELNS1_3gpuE3ELNS1_3repE0EEENS1_60segmented_radix_sort_warp_sort_medium_config_static_selectorELNS0_4arch9wavefront6targetE0EEEvSL_.numbered_sgpr, 0
	.set _ZN7rocprim17ROCPRIM_400000_NS6detail17trampoline_kernelINS0_14default_configENS1_36segmented_radix_sort_config_selectorI6__halflEEZNS1_25segmented_radix_sort_implIS3_Lb0EPKS5_PS5_PKlPlN2at6native12_GLOBAL__N_18offset_tEEE10hipError_tPvRmT1_PNSt15iterator_traitsISL_E10value_typeET2_T3_PNSM_ISR_E10value_typeET4_jRbjT5_SX_jjP12ihipStream_tbEUlT_E0_NS1_11comp_targetILNS1_3genE9ELNS1_11target_archE1100ELNS1_3gpuE3ELNS1_3repE0EEENS1_60segmented_radix_sort_warp_sort_medium_config_static_selectorELNS0_4arch9wavefront6targetE0EEEvSL_.num_named_barrier, 0
	.set _ZN7rocprim17ROCPRIM_400000_NS6detail17trampoline_kernelINS0_14default_configENS1_36segmented_radix_sort_config_selectorI6__halflEEZNS1_25segmented_radix_sort_implIS3_Lb0EPKS5_PS5_PKlPlN2at6native12_GLOBAL__N_18offset_tEEE10hipError_tPvRmT1_PNSt15iterator_traitsISL_E10value_typeET2_T3_PNSM_ISR_E10value_typeET4_jRbjT5_SX_jjP12ihipStream_tbEUlT_E0_NS1_11comp_targetILNS1_3genE9ELNS1_11target_archE1100ELNS1_3gpuE3ELNS1_3repE0EEENS1_60segmented_radix_sort_warp_sort_medium_config_static_selectorELNS0_4arch9wavefront6targetE0EEEvSL_.private_seg_size, 0
	.set _ZN7rocprim17ROCPRIM_400000_NS6detail17trampoline_kernelINS0_14default_configENS1_36segmented_radix_sort_config_selectorI6__halflEEZNS1_25segmented_radix_sort_implIS3_Lb0EPKS5_PS5_PKlPlN2at6native12_GLOBAL__N_18offset_tEEE10hipError_tPvRmT1_PNSt15iterator_traitsISL_E10value_typeET2_T3_PNSM_ISR_E10value_typeET4_jRbjT5_SX_jjP12ihipStream_tbEUlT_E0_NS1_11comp_targetILNS1_3genE9ELNS1_11target_archE1100ELNS1_3gpuE3ELNS1_3repE0EEENS1_60segmented_radix_sort_warp_sort_medium_config_static_selectorELNS0_4arch9wavefront6targetE0EEEvSL_.uses_vcc, 0
	.set _ZN7rocprim17ROCPRIM_400000_NS6detail17trampoline_kernelINS0_14default_configENS1_36segmented_radix_sort_config_selectorI6__halflEEZNS1_25segmented_radix_sort_implIS3_Lb0EPKS5_PS5_PKlPlN2at6native12_GLOBAL__N_18offset_tEEE10hipError_tPvRmT1_PNSt15iterator_traitsISL_E10value_typeET2_T3_PNSM_ISR_E10value_typeET4_jRbjT5_SX_jjP12ihipStream_tbEUlT_E0_NS1_11comp_targetILNS1_3genE9ELNS1_11target_archE1100ELNS1_3gpuE3ELNS1_3repE0EEENS1_60segmented_radix_sort_warp_sort_medium_config_static_selectorELNS0_4arch9wavefront6targetE0EEEvSL_.uses_flat_scratch, 0
	.set _ZN7rocprim17ROCPRIM_400000_NS6detail17trampoline_kernelINS0_14default_configENS1_36segmented_radix_sort_config_selectorI6__halflEEZNS1_25segmented_radix_sort_implIS3_Lb0EPKS5_PS5_PKlPlN2at6native12_GLOBAL__N_18offset_tEEE10hipError_tPvRmT1_PNSt15iterator_traitsISL_E10value_typeET2_T3_PNSM_ISR_E10value_typeET4_jRbjT5_SX_jjP12ihipStream_tbEUlT_E0_NS1_11comp_targetILNS1_3genE9ELNS1_11target_archE1100ELNS1_3gpuE3ELNS1_3repE0EEENS1_60segmented_radix_sort_warp_sort_medium_config_static_selectorELNS0_4arch9wavefront6targetE0EEEvSL_.has_dyn_sized_stack, 0
	.set _ZN7rocprim17ROCPRIM_400000_NS6detail17trampoline_kernelINS0_14default_configENS1_36segmented_radix_sort_config_selectorI6__halflEEZNS1_25segmented_radix_sort_implIS3_Lb0EPKS5_PS5_PKlPlN2at6native12_GLOBAL__N_18offset_tEEE10hipError_tPvRmT1_PNSt15iterator_traitsISL_E10value_typeET2_T3_PNSM_ISR_E10value_typeET4_jRbjT5_SX_jjP12ihipStream_tbEUlT_E0_NS1_11comp_targetILNS1_3genE9ELNS1_11target_archE1100ELNS1_3gpuE3ELNS1_3repE0EEENS1_60segmented_radix_sort_warp_sort_medium_config_static_selectorELNS0_4arch9wavefront6targetE0EEEvSL_.has_recursion, 0
	.set _ZN7rocprim17ROCPRIM_400000_NS6detail17trampoline_kernelINS0_14default_configENS1_36segmented_radix_sort_config_selectorI6__halflEEZNS1_25segmented_radix_sort_implIS3_Lb0EPKS5_PS5_PKlPlN2at6native12_GLOBAL__N_18offset_tEEE10hipError_tPvRmT1_PNSt15iterator_traitsISL_E10value_typeET2_T3_PNSM_ISR_E10value_typeET4_jRbjT5_SX_jjP12ihipStream_tbEUlT_E0_NS1_11comp_targetILNS1_3genE9ELNS1_11target_archE1100ELNS1_3gpuE3ELNS1_3repE0EEENS1_60segmented_radix_sort_warp_sort_medium_config_static_selectorELNS0_4arch9wavefront6targetE0EEEvSL_.has_indirect_call, 0
	.section	.AMDGPU.csdata,"",@progbits
; Kernel info:
; codeLenInByte = 0
; TotalNumSgprs: 0
; NumVgprs: 0
; ScratchSize: 0
; MemoryBound: 0
; FloatMode: 240
; IeeeMode: 1
; LDSByteSize: 0 bytes/workgroup (compile time only)
; SGPRBlocks: 0
; VGPRBlocks: 0
; NumSGPRsForWavesPerEU: 1
; NumVGPRsForWavesPerEU: 1
; NamedBarCnt: 0
; Occupancy: 16
; WaveLimiterHint : 0
; COMPUTE_PGM_RSRC2:SCRATCH_EN: 0
; COMPUTE_PGM_RSRC2:USER_SGPR: 2
; COMPUTE_PGM_RSRC2:TRAP_HANDLER: 0
; COMPUTE_PGM_RSRC2:TGID_X_EN: 1
; COMPUTE_PGM_RSRC2:TGID_Y_EN: 0
; COMPUTE_PGM_RSRC2:TGID_Z_EN: 0
; COMPUTE_PGM_RSRC2:TIDIG_COMP_CNT: 0
	.section	.text._ZN7rocprim17ROCPRIM_400000_NS6detail17trampoline_kernelINS0_14default_configENS1_36segmented_radix_sort_config_selectorI6__halflEEZNS1_25segmented_radix_sort_implIS3_Lb0EPKS5_PS5_PKlPlN2at6native12_GLOBAL__N_18offset_tEEE10hipError_tPvRmT1_PNSt15iterator_traitsISL_E10value_typeET2_T3_PNSM_ISR_E10value_typeET4_jRbjT5_SX_jjP12ihipStream_tbEUlT_E0_NS1_11comp_targetILNS1_3genE8ELNS1_11target_archE1030ELNS1_3gpuE2ELNS1_3repE0EEENS1_60segmented_radix_sort_warp_sort_medium_config_static_selectorELNS0_4arch9wavefront6targetE0EEEvSL_,"axG",@progbits,_ZN7rocprim17ROCPRIM_400000_NS6detail17trampoline_kernelINS0_14default_configENS1_36segmented_radix_sort_config_selectorI6__halflEEZNS1_25segmented_radix_sort_implIS3_Lb0EPKS5_PS5_PKlPlN2at6native12_GLOBAL__N_18offset_tEEE10hipError_tPvRmT1_PNSt15iterator_traitsISL_E10value_typeET2_T3_PNSM_ISR_E10value_typeET4_jRbjT5_SX_jjP12ihipStream_tbEUlT_E0_NS1_11comp_targetILNS1_3genE8ELNS1_11target_archE1030ELNS1_3gpuE2ELNS1_3repE0EEENS1_60segmented_radix_sort_warp_sort_medium_config_static_selectorELNS0_4arch9wavefront6targetE0EEEvSL_,comdat
	.globl	_ZN7rocprim17ROCPRIM_400000_NS6detail17trampoline_kernelINS0_14default_configENS1_36segmented_radix_sort_config_selectorI6__halflEEZNS1_25segmented_radix_sort_implIS3_Lb0EPKS5_PS5_PKlPlN2at6native12_GLOBAL__N_18offset_tEEE10hipError_tPvRmT1_PNSt15iterator_traitsISL_E10value_typeET2_T3_PNSM_ISR_E10value_typeET4_jRbjT5_SX_jjP12ihipStream_tbEUlT_E0_NS1_11comp_targetILNS1_3genE8ELNS1_11target_archE1030ELNS1_3gpuE2ELNS1_3repE0EEENS1_60segmented_radix_sort_warp_sort_medium_config_static_selectorELNS0_4arch9wavefront6targetE0EEEvSL_ ; -- Begin function _ZN7rocprim17ROCPRIM_400000_NS6detail17trampoline_kernelINS0_14default_configENS1_36segmented_radix_sort_config_selectorI6__halflEEZNS1_25segmented_radix_sort_implIS3_Lb0EPKS5_PS5_PKlPlN2at6native12_GLOBAL__N_18offset_tEEE10hipError_tPvRmT1_PNSt15iterator_traitsISL_E10value_typeET2_T3_PNSM_ISR_E10value_typeET4_jRbjT5_SX_jjP12ihipStream_tbEUlT_E0_NS1_11comp_targetILNS1_3genE8ELNS1_11target_archE1030ELNS1_3gpuE2ELNS1_3repE0EEENS1_60segmented_radix_sort_warp_sort_medium_config_static_selectorELNS0_4arch9wavefront6targetE0EEEvSL_
	.p2align	8
	.type	_ZN7rocprim17ROCPRIM_400000_NS6detail17trampoline_kernelINS0_14default_configENS1_36segmented_radix_sort_config_selectorI6__halflEEZNS1_25segmented_radix_sort_implIS3_Lb0EPKS5_PS5_PKlPlN2at6native12_GLOBAL__N_18offset_tEEE10hipError_tPvRmT1_PNSt15iterator_traitsISL_E10value_typeET2_T3_PNSM_ISR_E10value_typeET4_jRbjT5_SX_jjP12ihipStream_tbEUlT_E0_NS1_11comp_targetILNS1_3genE8ELNS1_11target_archE1030ELNS1_3gpuE2ELNS1_3repE0EEENS1_60segmented_radix_sort_warp_sort_medium_config_static_selectorELNS0_4arch9wavefront6targetE0EEEvSL_,@function
_ZN7rocprim17ROCPRIM_400000_NS6detail17trampoline_kernelINS0_14default_configENS1_36segmented_radix_sort_config_selectorI6__halflEEZNS1_25segmented_radix_sort_implIS3_Lb0EPKS5_PS5_PKlPlN2at6native12_GLOBAL__N_18offset_tEEE10hipError_tPvRmT1_PNSt15iterator_traitsISL_E10value_typeET2_T3_PNSM_ISR_E10value_typeET4_jRbjT5_SX_jjP12ihipStream_tbEUlT_E0_NS1_11comp_targetILNS1_3genE8ELNS1_11target_archE1030ELNS1_3gpuE2ELNS1_3repE0EEENS1_60segmented_radix_sort_warp_sort_medium_config_static_selectorELNS0_4arch9wavefront6targetE0EEEvSL_: ; @_ZN7rocprim17ROCPRIM_400000_NS6detail17trampoline_kernelINS0_14default_configENS1_36segmented_radix_sort_config_selectorI6__halflEEZNS1_25segmented_radix_sort_implIS3_Lb0EPKS5_PS5_PKlPlN2at6native12_GLOBAL__N_18offset_tEEE10hipError_tPvRmT1_PNSt15iterator_traitsISL_E10value_typeET2_T3_PNSM_ISR_E10value_typeET4_jRbjT5_SX_jjP12ihipStream_tbEUlT_E0_NS1_11comp_targetILNS1_3genE8ELNS1_11target_archE1030ELNS1_3gpuE2ELNS1_3repE0EEENS1_60segmented_radix_sort_warp_sort_medium_config_static_selectorELNS0_4arch9wavefront6targetE0EEEvSL_
; %bb.0:
	.section	.rodata,"a",@progbits
	.p2align	6, 0x0
	.amdhsa_kernel _ZN7rocprim17ROCPRIM_400000_NS6detail17trampoline_kernelINS0_14default_configENS1_36segmented_radix_sort_config_selectorI6__halflEEZNS1_25segmented_radix_sort_implIS3_Lb0EPKS5_PS5_PKlPlN2at6native12_GLOBAL__N_18offset_tEEE10hipError_tPvRmT1_PNSt15iterator_traitsISL_E10value_typeET2_T3_PNSM_ISR_E10value_typeET4_jRbjT5_SX_jjP12ihipStream_tbEUlT_E0_NS1_11comp_targetILNS1_3genE8ELNS1_11target_archE1030ELNS1_3gpuE2ELNS1_3repE0EEENS1_60segmented_radix_sort_warp_sort_medium_config_static_selectorELNS0_4arch9wavefront6targetE0EEEvSL_
		.amdhsa_group_segment_fixed_size 0
		.amdhsa_private_segment_fixed_size 0
		.amdhsa_kernarg_size 88
		.amdhsa_user_sgpr_count 2
		.amdhsa_user_sgpr_dispatch_ptr 0
		.amdhsa_user_sgpr_queue_ptr 0
		.amdhsa_user_sgpr_kernarg_segment_ptr 1
		.amdhsa_user_sgpr_dispatch_id 0
		.amdhsa_user_sgpr_kernarg_preload_length 0
		.amdhsa_user_sgpr_kernarg_preload_offset 0
		.amdhsa_user_sgpr_private_segment_size 0
		.amdhsa_wavefront_size32 1
		.amdhsa_uses_dynamic_stack 0
		.amdhsa_enable_private_segment 0
		.amdhsa_system_sgpr_workgroup_id_x 1
		.amdhsa_system_sgpr_workgroup_id_y 0
		.amdhsa_system_sgpr_workgroup_id_z 0
		.amdhsa_system_sgpr_workgroup_info 0
		.amdhsa_system_vgpr_workitem_id 0
		.amdhsa_next_free_vgpr 1
		.amdhsa_next_free_sgpr 1
		.amdhsa_named_barrier_count 0
		.amdhsa_reserve_vcc 0
		.amdhsa_float_round_mode_32 0
		.amdhsa_float_round_mode_16_64 0
		.amdhsa_float_denorm_mode_32 3
		.amdhsa_float_denorm_mode_16_64 3
		.amdhsa_fp16_overflow 0
		.amdhsa_memory_ordered 1
		.amdhsa_forward_progress 1
		.amdhsa_inst_pref_size 0
		.amdhsa_round_robin_scheduling 0
		.amdhsa_exception_fp_ieee_invalid_op 0
		.amdhsa_exception_fp_denorm_src 0
		.amdhsa_exception_fp_ieee_div_zero 0
		.amdhsa_exception_fp_ieee_overflow 0
		.amdhsa_exception_fp_ieee_underflow 0
		.amdhsa_exception_fp_ieee_inexact 0
		.amdhsa_exception_int_div_zero 0
	.end_amdhsa_kernel
	.section	.text._ZN7rocprim17ROCPRIM_400000_NS6detail17trampoline_kernelINS0_14default_configENS1_36segmented_radix_sort_config_selectorI6__halflEEZNS1_25segmented_radix_sort_implIS3_Lb0EPKS5_PS5_PKlPlN2at6native12_GLOBAL__N_18offset_tEEE10hipError_tPvRmT1_PNSt15iterator_traitsISL_E10value_typeET2_T3_PNSM_ISR_E10value_typeET4_jRbjT5_SX_jjP12ihipStream_tbEUlT_E0_NS1_11comp_targetILNS1_3genE8ELNS1_11target_archE1030ELNS1_3gpuE2ELNS1_3repE0EEENS1_60segmented_radix_sort_warp_sort_medium_config_static_selectorELNS0_4arch9wavefront6targetE0EEEvSL_,"axG",@progbits,_ZN7rocprim17ROCPRIM_400000_NS6detail17trampoline_kernelINS0_14default_configENS1_36segmented_radix_sort_config_selectorI6__halflEEZNS1_25segmented_radix_sort_implIS3_Lb0EPKS5_PS5_PKlPlN2at6native12_GLOBAL__N_18offset_tEEE10hipError_tPvRmT1_PNSt15iterator_traitsISL_E10value_typeET2_T3_PNSM_ISR_E10value_typeET4_jRbjT5_SX_jjP12ihipStream_tbEUlT_E0_NS1_11comp_targetILNS1_3genE8ELNS1_11target_archE1030ELNS1_3gpuE2ELNS1_3repE0EEENS1_60segmented_radix_sort_warp_sort_medium_config_static_selectorELNS0_4arch9wavefront6targetE0EEEvSL_,comdat
.Lfunc_end1851:
	.size	_ZN7rocprim17ROCPRIM_400000_NS6detail17trampoline_kernelINS0_14default_configENS1_36segmented_radix_sort_config_selectorI6__halflEEZNS1_25segmented_radix_sort_implIS3_Lb0EPKS5_PS5_PKlPlN2at6native12_GLOBAL__N_18offset_tEEE10hipError_tPvRmT1_PNSt15iterator_traitsISL_E10value_typeET2_T3_PNSM_ISR_E10value_typeET4_jRbjT5_SX_jjP12ihipStream_tbEUlT_E0_NS1_11comp_targetILNS1_3genE8ELNS1_11target_archE1030ELNS1_3gpuE2ELNS1_3repE0EEENS1_60segmented_radix_sort_warp_sort_medium_config_static_selectorELNS0_4arch9wavefront6targetE0EEEvSL_, .Lfunc_end1851-_ZN7rocprim17ROCPRIM_400000_NS6detail17trampoline_kernelINS0_14default_configENS1_36segmented_radix_sort_config_selectorI6__halflEEZNS1_25segmented_radix_sort_implIS3_Lb0EPKS5_PS5_PKlPlN2at6native12_GLOBAL__N_18offset_tEEE10hipError_tPvRmT1_PNSt15iterator_traitsISL_E10value_typeET2_T3_PNSM_ISR_E10value_typeET4_jRbjT5_SX_jjP12ihipStream_tbEUlT_E0_NS1_11comp_targetILNS1_3genE8ELNS1_11target_archE1030ELNS1_3gpuE2ELNS1_3repE0EEENS1_60segmented_radix_sort_warp_sort_medium_config_static_selectorELNS0_4arch9wavefront6targetE0EEEvSL_
                                        ; -- End function
	.set _ZN7rocprim17ROCPRIM_400000_NS6detail17trampoline_kernelINS0_14default_configENS1_36segmented_radix_sort_config_selectorI6__halflEEZNS1_25segmented_radix_sort_implIS3_Lb0EPKS5_PS5_PKlPlN2at6native12_GLOBAL__N_18offset_tEEE10hipError_tPvRmT1_PNSt15iterator_traitsISL_E10value_typeET2_T3_PNSM_ISR_E10value_typeET4_jRbjT5_SX_jjP12ihipStream_tbEUlT_E0_NS1_11comp_targetILNS1_3genE8ELNS1_11target_archE1030ELNS1_3gpuE2ELNS1_3repE0EEENS1_60segmented_radix_sort_warp_sort_medium_config_static_selectorELNS0_4arch9wavefront6targetE0EEEvSL_.num_vgpr, 0
	.set _ZN7rocprim17ROCPRIM_400000_NS6detail17trampoline_kernelINS0_14default_configENS1_36segmented_radix_sort_config_selectorI6__halflEEZNS1_25segmented_radix_sort_implIS3_Lb0EPKS5_PS5_PKlPlN2at6native12_GLOBAL__N_18offset_tEEE10hipError_tPvRmT1_PNSt15iterator_traitsISL_E10value_typeET2_T3_PNSM_ISR_E10value_typeET4_jRbjT5_SX_jjP12ihipStream_tbEUlT_E0_NS1_11comp_targetILNS1_3genE8ELNS1_11target_archE1030ELNS1_3gpuE2ELNS1_3repE0EEENS1_60segmented_radix_sort_warp_sort_medium_config_static_selectorELNS0_4arch9wavefront6targetE0EEEvSL_.num_agpr, 0
	.set _ZN7rocprim17ROCPRIM_400000_NS6detail17trampoline_kernelINS0_14default_configENS1_36segmented_radix_sort_config_selectorI6__halflEEZNS1_25segmented_radix_sort_implIS3_Lb0EPKS5_PS5_PKlPlN2at6native12_GLOBAL__N_18offset_tEEE10hipError_tPvRmT1_PNSt15iterator_traitsISL_E10value_typeET2_T3_PNSM_ISR_E10value_typeET4_jRbjT5_SX_jjP12ihipStream_tbEUlT_E0_NS1_11comp_targetILNS1_3genE8ELNS1_11target_archE1030ELNS1_3gpuE2ELNS1_3repE0EEENS1_60segmented_radix_sort_warp_sort_medium_config_static_selectorELNS0_4arch9wavefront6targetE0EEEvSL_.numbered_sgpr, 0
	.set _ZN7rocprim17ROCPRIM_400000_NS6detail17trampoline_kernelINS0_14default_configENS1_36segmented_radix_sort_config_selectorI6__halflEEZNS1_25segmented_radix_sort_implIS3_Lb0EPKS5_PS5_PKlPlN2at6native12_GLOBAL__N_18offset_tEEE10hipError_tPvRmT1_PNSt15iterator_traitsISL_E10value_typeET2_T3_PNSM_ISR_E10value_typeET4_jRbjT5_SX_jjP12ihipStream_tbEUlT_E0_NS1_11comp_targetILNS1_3genE8ELNS1_11target_archE1030ELNS1_3gpuE2ELNS1_3repE0EEENS1_60segmented_radix_sort_warp_sort_medium_config_static_selectorELNS0_4arch9wavefront6targetE0EEEvSL_.num_named_barrier, 0
	.set _ZN7rocprim17ROCPRIM_400000_NS6detail17trampoline_kernelINS0_14default_configENS1_36segmented_radix_sort_config_selectorI6__halflEEZNS1_25segmented_radix_sort_implIS3_Lb0EPKS5_PS5_PKlPlN2at6native12_GLOBAL__N_18offset_tEEE10hipError_tPvRmT1_PNSt15iterator_traitsISL_E10value_typeET2_T3_PNSM_ISR_E10value_typeET4_jRbjT5_SX_jjP12ihipStream_tbEUlT_E0_NS1_11comp_targetILNS1_3genE8ELNS1_11target_archE1030ELNS1_3gpuE2ELNS1_3repE0EEENS1_60segmented_radix_sort_warp_sort_medium_config_static_selectorELNS0_4arch9wavefront6targetE0EEEvSL_.private_seg_size, 0
	.set _ZN7rocprim17ROCPRIM_400000_NS6detail17trampoline_kernelINS0_14default_configENS1_36segmented_radix_sort_config_selectorI6__halflEEZNS1_25segmented_radix_sort_implIS3_Lb0EPKS5_PS5_PKlPlN2at6native12_GLOBAL__N_18offset_tEEE10hipError_tPvRmT1_PNSt15iterator_traitsISL_E10value_typeET2_T3_PNSM_ISR_E10value_typeET4_jRbjT5_SX_jjP12ihipStream_tbEUlT_E0_NS1_11comp_targetILNS1_3genE8ELNS1_11target_archE1030ELNS1_3gpuE2ELNS1_3repE0EEENS1_60segmented_radix_sort_warp_sort_medium_config_static_selectorELNS0_4arch9wavefront6targetE0EEEvSL_.uses_vcc, 0
	.set _ZN7rocprim17ROCPRIM_400000_NS6detail17trampoline_kernelINS0_14default_configENS1_36segmented_radix_sort_config_selectorI6__halflEEZNS1_25segmented_radix_sort_implIS3_Lb0EPKS5_PS5_PKlPlN2at6native12_GLOBAL__N_18offset_tEEE10hipError_tPvRmT1_PNSt15iterator_traitsISL_E10value_typeET2_T3_PNSM_ISR_E10value_typeET4_jRbjT5_SX_jjP12ihipStream_tbEUlT_E0_NS1_11comp_targetILNS1_3genE8ELNS1_11target_archE1030ELNS1_3gpuE2ELNS1_3repE0EEENS1_60segmented_radix_sort_warp_sort_medium_config_static_selectorELNS0_4arch9wavefront6targetE0EEEvSL_.uses_flat_scratch, 0
	.set _ZN7rocprim17ROCPRIM_400000_NS6detail17trampoline_kernelINS0_14default_configENS1_36segmented_radix_sort_config_selectorI6__halflEEZNS1_25segmented_radix_sort_implIS3_Lb0EPKS5_PS5_PKlPlN2at6native12_GLOBAL__N_18offset_tEEE10hipError_tPvRmT1_PNSt15iterator_traitsISL_E10value_typeET2_T3_PNSM_ISR_E10value_typeET4_jRbjT5_SX_jjP12ihipStream_tbEUlT_E0_NS1_11comp_targetILNS1_3genE8ELNS1_11target_archE1030ELNS1_3gpuE2ELNS1_3repE0EEENS1_60segmented_radix_sort_warp_sort_medium_config_static_selectorELNS0_4arch9wavefront6targetE0EEEvSL_.has_dyn_sized_stack, 0
	.set _ZN7rocprim17ROCPRIM_400000_NS6detail17trampoline_kernelINS0_14default_configENS1_36segmented_radix_sort_config_selectorI6__halflEEZNS1_25segmented_radix_sort_implIS3_Lb0EPKS5_PS5_PKlPlN2at6native12_GLOBAL__N_18offset_tEEE10hipError_tPvRmT1_PNSt15iterator_traitsISL_E10value_typeET2_T3_PNSM_ISR_E10value_typeET4_jRbjT5_SX_jjP12ihipStream_tbEUlT_E0_NS1_11comp_targetILNS1_3genE8ELNS1_11target_archE1030ELNS1_3gpuE2ELNS1_3repE0EEENS1_60segmented_radix_sort_warp_sort_medium_config_static_selectorELNS0_4arch9wavefront6targetE0EEEvSL_.has_recursion, 0
	.set _ZN7rocprim17ROCPRIM_400000_NS6detail17trampoline_kernelINS0_14default_configENS1_36segmented_radix_sort_config_selectorI6__halflEEZNS1_25segmented_radix_sort_implIS3_Lb0EPKS5_PS5_PKlPlN2at6native12_GLOBAL__N_18offset_tEEE10hipError_tPvRmT1_PNSt15iterator_traitsISL_E10value_typeET2_T3_PNSM_ISR_E10value_typeET4_jRbjT5_SX_jjP12ihipStream_tbEUlT_E0_NS1_11comp_targetILNS1_3genE8ELNS1_11target_archE1030ELNS1_3gpuE2ELNS1_3repE0EEENS1_60segmented_radix_sort_warp_sort_medium_config_static_selectorELNS0_4arch9wavefront6targetE0EEEvSL_.has_indirect_call, 0
	.section	.AMDGPU.csdata,"",@progbits
; Kernel info:
; codeLenInByte = 0
; TotalNumSgprs: 0
; NumVgprs: 0
; ScratchSize: 0
; MemoryBound: 0
; FloatMode: 240
; IeeeMode: 1
; LDSByteSize: 0 bytes/workgroup (compile time only)
; SGPRBlocks: 0
; VGPRBlocks: 0
; NumSGPRsForWavesPerEU: 1
; NumVGPRsForWavesPerEU: 1
; NamedBarCnt: 0
; Occupancy: 16
; WaveLimiterHint : 0
; COMPUTE_PGM_RSRC2:SCRATCH_EN: 0
; COMPUTE_PGM_RSRC2:USER_SGPR: 2
; COMPUTE_PGM_RSRC2:TRAP_HANDLER: 0
; COMPUTE_PGM_RSRC2:TGID_X_EN: 1
; COMPUTE_PGM_RSRC2:TGID_Y_EN: 0
; COMPUTE_PGM_RSRC2:TGID_Z_EN: 0
; COMPUTE_PGM_RSRC2:TIDIG_COMP_CNT: 0
	.text
	.p2align	2                               ; -- Begin function _ZN7rocprim17ROCPRIM_400000_NS6detail26segmented_warp_sort_helperINS1_20WarpSortHelperConfigILj8ELj4ELj256EEE6__halflLi256ELb0EvE4sortIPKS5_PS5_PKlPlEEvT_SA_T0_T1_SD_T2_bjjjjRNS6_12storage_typeE
	.type	_ZN7rocprim17ROCPRIM_400000_NS6detail26segmented_warp_sort_helperINS1_20WarpSortHelperConfigILj8ELj4ELj256EEE6__halflLi256ELb0EvE4sortIPKS5_PS5_PKlPlEEvT_SA_T0_T1_SD_T2_bjjjjRNS6_12storage_typeE,@function
_ZN7rocprim17ROCPRIM_400000_NS6detail26segmented_warp_sort_helperINS1_20WarpSortHelperConfigILj8ELj4ELj256EEE6__halflLi256ELb0EvE4sortIPKS5_PS5_PKlPlEEvT_SA_T0_T1_SD_T2_bjjjjRNS6_12storage_typeE: ; @_ZN7rocprim17ROCPRIM_400000_NS6detail26segmented_warp_sort_helperINS1_20WarpSortHelperConfigILj8ELj4ELj256EEE6__halflLi256ELb0EvE4sortIPKS5_PS5_PKlPlEEvT_SA_T0_T1_SD_T2_bjjjjRNS6_12storage_typeE
; %bb.0:
	s_wait_loadcnt_dscnt 0x0
	s_wait_kmcnt 0x0
	v_mov_b32_e32 v28, v13
	v_mbcnt_lo_u32_b32 v13, -1, 0
	v_dual_mov_b32 v33, v16 :: v_dual_mov_b32 v32, v15
	v_and_b32_e32 v12, 1, v12
	s_mov_b32 s6, 0
	s_delay_alu instid0(VALU_DEP_3) | instskip(SKIP_1) | instid1(VALU_DEP_3)
	v_dual_mov_b32 v29, 0 :: v_dual_lshlrev_b32 v34, 2, v13
	v_sub_nc_u32_e32 v22, v14, v28
	v_cmp_ne_u32_e64 s0, 1, v12
	s_getreg_b32 s5, hwreg(HW_REG_IB_STS2, 6, 4)
	v_and_b32_e32 v30, 28, v34
	v_lshl_add_u64 v[16:17], v[28:29], 1, v[0:1]
	s_delay_alu instid0(VALU_DEP_2) | instskip(SKIP_1) | instid1(VALU_DEP_2)
	v_dual_mov_b32 v1, v29 :: v_dual_lshlrev_b32 v0, 1, v30
	v_cmp_lt_u32_e32 vcc_lo, v30, v22
	v_add_nc_u64_e32 v[20:21], v[16:17], v[0:1]
                                        ; implicit-def: $vgpr12_vgpr13_vgpr14_vgpr15_vgpr16_vgpr17_vgpr18_vgpr19
	s_and_saveexec_b32 s1, s0
	s_delay_alu instid0(SALU_CYCLE_1)
	s_xor_b32 s7, exec_lo, s1
	s_cbranch_execnz .LBB1852_4
; %bb.1:
	s_and_not1_saveexec_b32 s7, s7
	s_cbranch_execnz .LBB1852_109
.LBB1852_2:
	s_or_b32 exec_lo, exec_lo, s7
	s_and_saveexec_b32 s0, s6
	s_cbranch_execnz .LBB1852_214
.LBB1852_3:
	s_or_b32 exec_lo, exec_lo, s0
	s_wait_dscnt 0x0
	s_set_pc_i64 s[30:31]
.LBB1852_4:
	v_dual_mov_b32 v36, 0x7fff :: v_dual_mov_b32 v37, 0x7fff
	s_and_saveexec_b32 s0, vcc_lo
	s_cbranch_execz .LBB1852_6
; %bb.5:
	flat_load_u16 v37, v[20:21]
.LBB1852_6:
	s_wait_xcnt 0x0
	s_or_b32 exec_lo, exec_lo, s0
	v_or_b32_e32 v1, 1, v30
	s_delay_alu instid0(VALU_DEP_1)
	v_cmp_lt_u32_e64 s0, v1, v22
	s_and_saveexec_b32 s1, s0
	s_cbranch_execz .LBB1852_8
; %bb.7:
	flat_load_u16 v36, v[20:21] offset:2
.LBB1852_8:
	s_wait_xcnt 0x0
	s_or_b32 exec_lo, exec_lo, s1
	v_or_b32_e32 v1, 2, v30
	v_dual_mov_b32 v35, 0x7fff :: v_dual_mov_b32 v38, 0x7fff
	s_delay_alu instid0(VALU_DEP_2)
	v_cmp_lt_u32_e64 s1, v1, v22
	s_and_saveexec_b32 s2, s1
	s_cbranch_execz .LBB1852_10
; %bb.9:
	flat_load_u16 v38, v[20:21] offset:4
.LBB1852_10:
	s_wait_xcnt 0x0
	s_or_b32 exec_lo, exec_lo, s2
	v_or_b32_e32 v1, 3, v30
	s_delay_alu instid0(VALU_DEP_1)
	v_cmp_lt_u32_e64 s2, v1, v22
	s_and_saveexec_b32 s3, s2
	s_cbranch_execz .LBB1852_12
; %bb.11:
	flat_load_u16 v35, v[20:21] offset:6
.LBB1852_12:
	s_wait_xcnt 0x0
	s_or_b32 exec_lo, exec_lo, s3
	v_lshl_add_u64 v[6:7], v[28:29], 3, v[6:7]
	v_dual_mov_b32 v5, 0 :: v_dual_lshlrev_b32 v4, 3, v30
	; wave barrier
	s_delay_alu instid0(VALU_DEP_1)
	v_add_nc_u64_e32 v[6:7], v[6:7], v[4:5]
	v_dual_mov_b32 v12, v5 :: v_dual_mov_b32 v13, v5
	v_dual_mov_b32 v14, v5 :: v_dual_mov_b32 v15, v5
	;; [unrolled: 1-line block ×4, first 2 shown]
	s_and_saveexec_b32 s3, vcc_lo
	s_cbranch_execnz .LBB1852_215
; %bb.13:
	s_or_b32 exec_lo, exec_lo, s3
	s_and_saveexec_b32 s3, s0
	s_cbranch_execnz .LBB1852_216
.LBB1852_14:
	s_or_b32 exec_lo, exec_lo, s3
	s_and_saveexec_b32 s3, s1
	s_cbranch_execnz .LBB1852_217
.LBB1852_15:
	s_or_b32 exec_lo, exec_lo, s3
	s_and_saveexec_b32 s3, s2
	s_cbranch_execz .LBB1852_17
.LBB1852_16:
	flat_load_b64 v[18:19], v[6:7] offset:24
.LBB1852_17:
	s_wait_xcnt 0x0
	s_or_b32 exec_lo, exec_lo, s3
	; wave barrier
	s_load_b64 s[10:11], s[8:9], 0x0
	s_bfe_u32 s4, ttmp6, 0x4000c
	s_bfe_u32 s12, ttmp6, 0x40010
	s_and_b32 s6, ttmp7, 0xffff
	s_add_co_i32 s4, s4, 1
	s_add_co_i32 s12, s12, 1
	s_and_b32 s3, ttmp6, 15
	s_bfe_u32 s13, ttmp6, 0x40004
	s_mul_i32 s4, ttmp9, s4
	s_mul_i32 s12, s6, s12
	s_add_co_i32 s3, s3, s4
	s_add_co_i32 s13, s13, s12
	s_cmp_eq_u32 s5, 0
	v_bfe_u32 v1, v31, 10, 10
	s_cselect_b32 s3, ttmp9, s3
	s_cselect_b32 s4, s6, s13
	v_bfe_u32 v5, v31, 20, 10
	s_mov_b32 s6, exec_lo
	s_wait_kmcnt 0x0
	s_cmp_lt_u32 s3, s10
	s_cselect_b32 s10, 12, 18
	s_cmp_lt_u32 s4, s11
	s_mov_b32 s11, 0
	s_cselect_b32 s12, 14, 20
	s_mov_b32 s13, s11
	s_add_nc_u64 s[10:11], s[8:9], s[10:11]
	s_add_nc_u64 s[12:13], s[8:9], s[12:13]
	s_clause 0x1
	s_load_u16 s4, s[10:11], 0x0
	s_load_u16 s3, s[12:13], 0x0
	s_wait_kmcnt 0x0
	v_mad_u32_u24 v1, v5, s3, v1
	v_and_b32_e32 v5, 0x3ff, v31
	s_delay_alu instid0(VALU_DEP_2) | instskip(NEXT) | instid1(VALU_DEP_1)
	v_mul_lo_u32 v1, v1, s4
	v_add_lshl_u32 v1, v1, v5, 2
	s_delay_alu instid0(VALU_DEP_1)
	v_cmpx_gt_u32_e32 0x400, v1
	s_cbranch_execz .LBB1852_27
; %bb.18:
	s_wait_loadcnt_dscnt 0x0
	v_add_f16_e32 v5, 0, v37
	v_add_f16_e32 v6, 0, v36
	;; [unrolled: 1-line block ×4, first 2 shown]
	v_mov_b64_e32 v[24:25], v[16:17]
	v_cmp_lt_i16_e64 s3, -1, v5
	v_mov_b64_e32 v[26:27], v[18:19]
	s_mov_b32 s10, exec_lo
	v_cndmask_b32_e64 v11, -1, 0xffff8000, s3
	v_cmp_lt_i16_e64 s3, -1, v6
	s_delay_alu instid0(VALU_DEP_2) | instskip(NEXT) | instid1(VALU_DEP_2)
	v_xor_b32_e32 v5, v11, v5
	v_cndmask_b32_e64 v20, -1, 0xffff8000, s3
	v_cmp_lt_i16_e64 s3, -1, v7
	s_delay_alu instid0(VALU_DEP_2) | instskip(NEXT) | instid1(VALU_DEP_2)
	v_xor_b32_e32 v6, v20, v6
	v_cndmask_b32_e64 v11, -1, 0xffff8000, s3
	v_cmp_lt_i16_e64 s3, -1, v10
	s_delay_alu instid0(VALU_DEP_1) | instskip(NEXT) | instid1(VALU_DEP_4)
	v_cndmask_b32_e64 v20, -1, 0xffff8000, s3
	v_cmp_gt_u16_e64 s3, v5, v6
	s_delay_alu instid0(VALU_DEP_4) | instskip(NEXT) | instid1(VALU_DEP_2)
	v_dual_mov_b32 v5, v38 :: v_dual_bitop2_b32 v6, v11, v7 bitop3:0x14
	v_dual_cndmask_b32 v21, v13, v15, s3 :: v_dual_bitop2_b32 v11, v20, v10 bitop3:0x14
	v_dual_cndmask_b32 v23, v15, v13, s3 :: v_dual_cndmask_b32 v22, v14, v12, s3
	v_cndmask_b32_e64 v20, v12, v14, s3
	s_delay_alu instid0(VALU_DEP_3)
	v_cmpx_gt_u16_e64 v6, v11
; %bb.19:
	v_mov_b64_e32 v[24:25], v[18:19]
	v_mov_b64_e32 v[26:27], v[16:17]
	v_dual_mov_b32 v7, v10 :: v_dual_mov_b32 v6, v11
	v_dual_mov_b32 v5, v35 :: v_dual_mov_b32 v35, v38
; %bb.20:
	s_or_b32 exec_lo, exec_lo, s10
	v_cndmask_b32_e64 v12, v36, v37, s3
	s_delay_alu instid0(VALU_DEP_1) | instskip(NEXT) | instid1(VALU_DEP_1)
	v_add_f16_e32 v10, 0, v12
	v_cmp_lt_i16_e64 s4, -1, v10
	s_delay_alu instid0(VALU_DEP_1) | instskip(NEXT) | instid1(VALU_DEP_1)
	v_cndmask_b32_e64 v11, -1, 0xffff8000, s4
	v_xor_b32_e32 v13, v11, v10
	v_mov_b32_e32 v11, v7
	s_delay_alu instid0(VALU_DEP_2) | instskip(SKIP_2) | instid1(SALU_CYCLE_1)
	v_cmp_gt_u16_e64 s4, v13, v6
	v_mov_b32_e32 v6, v12
	s_and_saveexec_b32 s10, s4
	s_xor_b32 s4, exec_lo, s10
	s_cbranch_execz .LBB1852_22
; %bb.21:
	v_mov_b64_e32 v[14:15], v[20:21]
	v_mov_b64_e32 v[16:17], v[22:23]
	v_mov_b64_e32 v[18:19], v[24:25]
	v_mov_b64_e32 v[20:21], v[26:27]
	v_dual_mov_b32 v20, v26 :: v_dual_mov_b32 v21, v27
	v_dual_mov_b32 v16, v24 :: v_dual_mov_b32 v17, v25
	;; [unrolled: 1-line block ×3, first 2 shown]
	s_delay_alu instid0(VALU_DEP_3) | instskip(SKIP_1) | instid1(VALU_DEP_4)
	v_mov_b64_e32 v[26:27], v[20:21]
	v_dual_mov_b32 v11, v10 :: v_dual_mov_b32 v6, v5
	v_mov_b64_e32 v[22:23], v[16:17]
	s_delay_alu instid0(VALU_DEP_4)
	v_mov_b64_e32 v[24:25], v[18:19]
	v_mov_b64_e32 v[20:21], v[14:15]
	v_dual_mov_b32 v5, v12 :: v_dual_mov_b32 v10, v7
.LBB1852_22:
	s_or_b32 exec_lo, exec_lo, s4
	s_delay_alu instid0(VALU_DEP_3) | instskip(NEXT) | instid1(VALU_DEP_2)
	v_dual_cndmask_b32 v7, v37, v36, s3 :: v_dual_mov_b32 v16, v24
	v_cmp_lt_i16_e64 s3, -1, v10
	v_add_f16_e32 v14, 0, v35
	s_mov_b32 s10, exec_lo
	v_add_f16_e32 v12, 0, v7
	v_mov_b32_e32 v19, v27
	v_cndmask_b32_e64 v13, -1, 0xffff8000, s3
	s_delay_alu instid0(VALU_DEP_3) | instskip(NEXT) | instid1(VALU_DEP_2)
	v_cmp_lt_i16_e64 s3, -1, v12
	v_xor_b32_e32 v10, v13, v10
	s_delay_alu instid0(VALU_DEP_2) | instskip(SKIP_1) | instid1(VALU_DEP_2)
	v_cndmask_b32_e64 v15, -1, 0xffff8000, s3
	v_cmp_lt_i16_e64 s3, -1, v11
	v_xor_b32_e32 v12, v15, v12
	s_delay_alu instid0(VALU_DEP_2) | instskip(SKIP_1) | instid1(VALU_DEP_2)
	v_cndmask_b32_e64 v17, -1, 0xffff8000, s3
	v_cmp_lt_i16_e64 s3, -1, v14
	v_xor_b32_e32 v11, v17, v11
	s_delay_alu instid0(VALU_DEP_2) | instskip(NEXT) | instid1(VALU_DEP_1)
	v_cndmask_b32_e64 v18, -1, 0xffff8000, s3
	v_dual_mov_b32 v17, v25 :: v_dual_bitop2_b32 v31, v18, v14 bitop3:0x14
	v_mov_b32_e32 v18, v26
	v_cmp_gt_u16_e64 s3, v12, v10
	s_delay_alu instid0(VALU_DEP_1)
	v_dual_mov_b32 v10, v5 :: v_dual_cndmask_b32 v12, v20, v22, s3
	v_dual_cndmask_b32 v15, v23, v21, s3 :: v_dual_cndmask_b32 v14, v22, v20, s3
	v_cndmask_b32_e64 v13, v21, v23, s3
	v_cmpx_gt_u16_e64 v11, v31
; %bb.23:
	v_dual_mov_b32 v16, v26 :: v_dual_mov_b32 v17, v27
	v_dual_mov_b32 v18, v24 :: v_dual_mov_b32 v19, v25
	;; [unrolled: 1-line block ×3, first 2 shown]
	v_mov_b32_e32 v35, v5
; %bb.24:
	s_or_b32 exec_lo, exec_lo, s10
	v_cndmask_b32_e64 v36, v6, v7, s3
	s_delay_alu instid0(VALU_DEP_3) | instskip(SKIP_1) | instid1(VALU_DEP_2)
	v_mov_b32_e32 v38, v10
	s_mov_b32 s10, exec_lo
	v_add_f16_e32 v5, 0, v36
	s_delay_alu instid0(VALU_DEP_1) | instskip(NEXT) | instid1(VALU_DEP_1)
	v_cmp_lt_i16_e64 s4, -1, v5
	v_cndmask_b32_e64 v20, -1, 0xffff8000, s4
	s_delay_alu instid0(VALU_DEP_1) | instskip(NEXT) | instid1(VALU_DEP_1)
	v_xor_b32_e32 v5, v20, v5
	v_cmpx_gt_u16_e64 v5, v11
	s_cbranch_execz .LBB1852_26
; %bb.25:
	v_dual_mov_b32 v20, v12 :: v_dual_mov_b32 v21, v13
	v_dual_mov_b32 v22, v16 :: v_dual_mov_b32 v23, v17
	;; [unrolled: 1-line block ×4, first 2 shown]
	s_delay_alu instid0(VALU_DEP_4) | instskip(NEXT) | instid1(VALU_DEP_4)
	v_mov_b64_e32 v[12:13], v[20:21]
	v_mov_b64_e32 v[14:15], v[22:23]
	s_delay_alu instid0(VALU_DEP_4)
	v_mov_b64_e32 v[16:17], v[24:25]
	v_dual_mov_b32 v38, v36 :: v_dual_mov_b32 v36, v10
	v_mov_b64_e32 v[18:19], v[26:27]
.LBB1852_26:
	s_or_b32 exec_lo, exec_lo, s10
	v_cndmask_b32_e64 v37, v7, v6, s3
.LBB1852_27:
	s_or_b32 exec_lo, exec_lo, s6
	v_and_b32_e32 v20, 0xffffff80, v1
	v_dual_mov_b32 v21, 0 :: v_dual_bitop2_b32 v5, 4, v34 bitop3:0x54
	v_and_b32_e32 v48, 0x78, v34
	s_mov_b32 s4, exec_lo
	s_delay_alu instid0(VALU_DEP_3) | instskip(NEXT) | instid1(VALU_DEP_3)
	v_sub_nc_u32_e64 v1, 0x400, v20 clamp
	v_lshl_add_u64 v[10:11], v[20:21], 1, v[32:33]
	s_delay_alu instid0(VALU_DEP_2) | instskip(NEXT) | instid1(VALU_DEP_2)
	v_min_u32_e32 v33, v1, v5
	v_mad_nc_u64_u32 v[6:7], v20, 6, v[10:11]
	v_lshl_add_u32 v5, v34, 1, v10
	s_delay_alu instid0(VALU_DEP_3)
	v_add_min_u32_e64 v39, v33, 4, v1
	v_and_b32_e32 v7, 4, v34
	s_wait_loadcnt_dscnt 0x0
	ds_store_b16 v5, v37
	v_sub_nc_u32_e32 v20, v39, v33
	v_min_u32_e32 v49, v1, v7
	v_sub_nc_u32_e32 v7, v33, v48
	v_lshl_add_u32 v32, v34, 3, v6
	ds_store_b64 v32, v[12:13] offset:2048
	ds_store_b16 v5, v36 offset:2
	ds_store_b64 v32, v[14:15] offset:2056
	ds_store_b16 v5, v38 offset:4
	;; [unrolled: 2-line block ×3, first 2 shown]
	ds_store_b64 v32, v[18:19] offset:2072
	v_min_u32_e32 v7, v49, v7
	v_sub_nc_u32_e64 v50, v49, v20 clamp
	; wave barrier
	s_delay_alu instid0(VALU_DEP_1)
	v_cmpx_lt_u32_e64 v50, v7
	s_cbranch_execz .LBB1852_31
; %bb.28:
	v_lshlrev_b32_e32 v20, 1, v48
	s_mov_b32 s6, 0
	s_delay_alu instid0(VALU_DEP_1) | instskip(SKIP_1) | instid1(VALU_DEP_1)
	v_add_nc_u64_e32 v[22:23], v[10:11], v[20:21]
	v_lshlrev_b32_e32 v20, 1, v33
	v_add_nc_u64_e32 v[20:21], v[10:11], v[20:21]
.LBB1852_29:                            ; =>This Inner Loop Header: Depth=1
	v_add_nc_u32_e32 v21, v7, v50
	s_delay_alu instid0(VALU_DEP_1) | instskip(NEXT) | instid1(VALU_DEP_1)
	v_dual_lshrrev_b32 v23, 1, v21 :: v_dual_bitop2_b32 v21, -2, v21 bitop3:0x40
	v_xad_u32 v24, v23, -1, v49
	s_delay_alu instid0(VALU_DEP_2) | instskip(NEXT) | instid1(VALU_DEP_2)
	v_add_nc_u32_e32 v21, v22, v21
	v_lshl_add_u32 v24, v24, 1, v20
	ds_load_u16 v21, v21
	ds_load_u16 v24, v24
	s_wait_dscnt 0x1
	v_add_f16_e32 v21, 0, v21
	s_wait_dscnt 0x0
	v_add_f16_e32 v24, 0, v24
	s_delay_alu instid0(VALU_DEP_2) | instskip(NEXT) | instid1(VALU_DEP_1)
	v_cmp_lt_i16_e64 s3, -1, v21
	v_cndmask_b32_e64 v25, -1, 0xffff8000, s3
	s_delay_alu instid0(VALU_DEP_3) | instskip(NEXT) | instid1(VALU_DEP_2)
	v_cmp_lt_i16_e64 s3, -1, v24
	v_xor_b32_e32 v21, v25, v21
	s_delay_alu instid0(VALU_DEP_2) | instskip(NEXT) | instid1(VALU_DEP_1)
	v_cndmask_b32_e64 v26, -1, 0xffff8000, s3
	v_dual_add_nc_u32 v25, 1, v23 :: v_dual_bitop2_b32 v24, v26, v24 bitop3:0x14
	s_delay_alu instid0(VALU_DEP_1) | instskip(NEXT) | instid1(VALU_DEP_1)
	v_cmp_gt_u16_e64 s3, v21, v24
	v_dual_cndmask_b32 v7, v7, v23, s3 :: v_dual_cndmask_b32 v50, v25, v50, s3
	s_delay_alu instid0(VALU_DEP_1) | instskip(SKIP_1) | instid1(SALU_CYCLE_1)
	v_cmp_ge_u32_e64 s3, v50, v7
	s_or_b32 s6, s3, s6
	s_and_not1_b32 exec_lo, exec_lo, s6
	s_cbranch_execnz .LBB1852_29
; %bb.30:
	s_or_b32 exec_lo, exec_lo, s6
.LBB1852_31:
	s_delay_alu instid0(SALU_CYCLE_1) | instskip(SKIP_4) | instid1(VALU_DEP_4)
	s_or_b32 exec_lo, exec_lo, s4
	v_add_nc_u32_e32 v20, v33, v49
	v_dual_add_nc_u32 v26, 6, v5 :: v_dual_add_nc_u32 v22, v50, v48
	v_add_nc_u32_e32 v27, 0x800, v32
	v_dual_add_nc_u32 v7, 2, v5 :: v_dual_add_nc_u32 v25, 4, v5
	v_sub_nc_u32_e32 v23, v20, v50
	s_delay_alu instid0(VALU_DEP_4)
	v_cmp_le_u32_e64 s3, v22, v33
	v_add_nc_u32_e32 v24, 0x808, v32
	v_add_nc_u32_e32 v31, 0x810, v32
	;; [unrolled: 1-line block ×3, first 2 shown]
	v_cmp_le_u32_e64 s4, v23, v39
	s_or_b32 s3, s3, s4
	s_delay_alu instid0(SALU_CYCLE_1)
	s_and_saveexec_b32 s6, s3
	s_cbranch_execz .LBB1852_51
; %bb.32:
	v_cmp_ge_u32_e64 s3, v22, v33
	s_mov_b32 s10, exec_lo
                                        ; implicit-def: $vgpr20
	v_cmpx_lt_u32_e64 v22, v33
; %bb.33:
	v_lshl_add_u32 v12, v22, 1, v10
	ds_load_u16 v20, v12
; %bb.34:
	s_or_b32 exec_lo, exec_lo, s10
	v_cmp_ge_u32_e64 s10, v23, v39
	s_mov_b32 s11, exec_lo
                                        ; implicit-def: $vgpr21
	v_cmpx_lt_u32_e64 v23, v39
; %bb.35:
	v_lshl_add_u32 v12, v23, 1, v10
	ds_load_u16 v21, v12
; %bb.36:
	s_or_b32 exec_lo, exec_lo, s11
	s_nor_b32 s3, s3, s10
	s_delay_alu instid0(SALU_CYCLE_1)
	s_and_saveexec_b32 s4, s3
	s_cbranch_execz .LBB1852_38
; %bb.37:
	s_wait_dscnt 0x0
	v_add_f16_e32 v12, 0, v20
	v_add_f16_e32 v13, 0, v21
	s_and_not1_b32 s10, s10, exec_lo
	s_delay_alu instid0(VALU_DEP_2) | instskip(NEXT) | instid1(VALU_DEP_1)
	v_cmp_lt_i16_e64 s3, -1, v12
	v_cndmask_b32_e64 v14, -1, 0xffff8000, s3
	s_delay_alu instid0(VALU_DEP_3) | instskip(NEXT) | instid1(VALU_DEP_2)
	v_cmp_lt_i16_e64 s3, -1, v13
	v_xor_b32_e32 v12, v14, v12
	s_delay_alu instid0(VALU_DEP_2) | instskip(NEXT) | instid1(VALU_DEP_1)
	v_cndmask_b32_e64 v15, -1, 0xffff8000, s3
	v_xor_b32_e32 v13, v15, v13
	s_delay_alu instid0(VALU_DEP_1) | instskip(SKIP_1) | instid1(SALU_CYCLE_1)
	v_cmp_le_u16_e64 s3, v12, v13
	s_and_b32 s3, s3, exec_lo
	s_or_b32 s10, s10, s3
.LBB1852_38:
	s_or_b32 exec_lo, exec_lo, s4
	v_cndmask_b32_e64 v12, v23, v22, s10
	v_cndmask_b32_e64 v13, v39, v33, s10
	s_mov_b32 s11, -1
	s_mov_b32 s4, -1
	s_mov_b32 s12, exec_lo
	v_add_nc_u32_e32 v14, 1, v12
	s_delay_alu instid0(VALU_DEP_1) | instskip(SKIP_2) | instid1(VALU_DEP_3)
	v_add_min_u32_e64 v13, v13, -1, v14
	v_cndmask_b32_e64 v16, v14, v23, s10
	v_lshl_add_u32 v12, v12, 3, v6
	v_lshl_add_u32 v13, v13, 1, v10
	ds_load_u16 v15, v13
	ds_load_b64 v[12:13], v12 offset:2048
	s_wait_dscnt 0x1
	v_dual_cndmask_b32 v17, v22, v14, s10 :: v_dual_cndmask_b32 v22, v15, v21, s10
	v_cndmask_b32_e64 v23, v20, v15, s10
	v_cmpx_lt_u32_e64 v16, v39
	s_cbranch_execz .LBB1852_42
; %bb.39:
	s_mov_b32 s13, 0
	s_mov_b32 s4, exec_lo
	v_cmpx_lt_u32_e64 v17, v33
	s_cbranch_execz .LBB1852_41
; %bb.40:
	v_add_f16_e32 v14, 0, v23
	v_add_f16_e32 v15, 0, v22
	s_delay_alu instid0(VALU_DEP_2) | instskip(NEXT) | instid1(VALU_DEP_1)
	v_cmp_lt_i16_e64 s3, -1, v14
	v_cndmask_b32_e64 v18, -1, 0xffff8000, s3
	s_delay_alu instid0(VALU_DEP_3) | instskip(NEXT) | instid1(VALU_DEP_2)
	v_cmp_lt_i16_e64 s3, -1, v15
	v_xor_b32_e32 v14, v18, v14
	s_delay_alu instid0(VALU_DEP_2) | instskip(NEXT) | instid1(VALU_DEP_1)
	v_cndmask_b32_e64 v19, -1, 0xffff8000, s3
	v_xor_b32_e32 v15, v19, v15
	s_delay_alu instid0(VALU_DEP_1)
	v_cmp_le_u16_e64 s3, v14, v15
	s_and_b32 s13, s3, exec_lo
.LBB1852_41:
	s_or_b32 exec_lo, exec_lo, s4
	s_delay_alu instid0(SALU_CYCLE_1)
	s_or_not1_b32 s4, s13, exec_lo
.LBB1852_42:
	s_or_b32 exec_lo, exec_lo, s12
	v_cndmask_b32_e64 v14, v16, v17, s4
	v_cndmask_b32_e64 v15, v39, v33, s4
	s_mov_b32 s12, exec_lo
	s_delay_alu instid0(VALU_DEP_2) | instskip(NEXT) | instid1(VALU_DEP_1)
	v_add_nc_u32_e32 v19, 1, v14
	v_add_min_u32_e64 v15, v15, -1, v19
	v_cndmask_b32_e64 v18, v19, v16, s4
	v_lshl_add_u32 v14, v14, 3, v6
	s_delay_alu instid0(VALU_DEP_3)
	v_lshl_add_u32 v15, v15, 1, v10
	ds_load_u16 v36, v15
	ds_load_b64 v[14:15], v14 offset:2048
	s_wait_dscnt 0x1
	v_dual_cndmask_b32 v19, v17, v19, s4 :: v_dual_cndmask_b32 v35, v36, v22, s4
	v_cndmask_b32_e64 v36, v23, v36, s4
	v_cmpx_lt_u32_e64 v18, v39
	s_cbranch_execz .LBB1852_46
; %bb.43:
	s_mov_b32 s13, 0
	s_mov_b32 s11, exec_lo
	v_cmpx_lt_u32_e64 v19, v33
	s_cbranch_execz .LBB1852_45
; %bb.44:
	v_add_f16_e32 v16, 0, v36
	v_add_f16_e32 v17, 0, v35
	s_delay_alu instid0(VALU_DEP_2) | instskip(NEXT) | instid1(VALU_DEP_1)
	v_cmp_lt_i16_e64 s3, -1, v16
	v_cndmask_b32_e64 v37, -1, 0xffff8000, s3
	s_delay_alu instid0(VALU_DEP_3) | instskip(NEXT) | instid1(VALU_DEP_2)
	v_cmp_lt_i16_e64 s3, -1, v17
	v_xor_b32_e32 v16, v37, v16
	s_delay_alu instid0(VALU_DEP_2) | instskip(NEXT) | instid1(VALU_DEP_1)
	v_cndmask_b32_e64 v38, -1, 0xffff8000, s3
	v_xor_b32_e32 v17, v38, v17
	s_delay_alu instid0(VALU_DEP_1)
	v_cmp_le_u16_e64 s3, v16, v17
	s_and_b32 s13, s3, exec_lo
.LBB1852_45:
	s_or_b32 exec_lo, exec_lo, s11
	s_delay_alu instid0(SALU_CYCLE_1)
	s_or_not1_b32 s11, s13, exec_lo
.LBB1852_46:
	s_or_b32 exec_lo, exec_lo, s12
	v_dual_cndmask_b32 v16, v18, v19, s11 :: v_dual_cndmask_b32 v17, v39, v33, s11
	s_mov_b32 s13, -1
	s_mov_b32 s12, exec_lo
	s_delay_alu instid0(VALU_DEP_1) | instskip(SKIP_1) | instid1(VALU_DEP_2)
	v_add_nc_u32_e32 v37, 1, v16
	v_lshl_add_u32 v16, v16, 3, v6
	v_add_min_u32_e64 v17, v17, -1, v37
	s_delay_alu instid0(VALU_DEP_1)
	v_lshl_add_u32 v17, v17, 1, v10
	ds_load_u16 v38, v17
	ds_load_b64 v[16:17], v16 offset:2048
	s_wait_dscnt 0x1
	v_dual_cndmask_b32 v48, v38, v35, s11 :: v_dual_cndmask_b32 v18, v37, v18, s11
	v_dual_cndmask_b32 v19, v19, v37, s11 :: v_dual_cndmask_b32 v49, v36, v38, s11
	s_delay_alu instid0(VALU_DEP_2)
	v_cmpx_lt_u32_e64 v18, v39
	s_cbranch_execz .LBB1852_50
; %bb.47:
	s_mov_b32 s14, 0
	s_mov_b32 s13, exec_lo
	v_cmpx_lt_u32_e64 v19, v33
	s_cbranch_execz .LBB1852_49
; %bb.48:
	v_add_f16_e32 v33, 0, v49
	v_add_f16_e32 v37, 0, v48
	s_delay_alu instid0(VALU_DEP_2) | instskip(NEXT) | instid1(VALU_DEP_1)
	v_cmp_lt_i16_e64 s3, -1, v33
	v_cndmask_b32_e64 v38, -1, 0xffff8000, s3
	s_delay_alu instid0(VALU_DEP_3) | instskip(NEXT) | instid1(VALU_DEP_2)
	v_cmp_lt_i16_e64 s3, -1, v37
	v_xor_b32_e32 v33, v38, v33
	s_delay_alu instid0(VALU_DEP_2) | instskip(NEXT) | instid1(VALU_DEP_1)
	v_cndmask_b32_e64 v39, -1, 0xffff8000, s3
	v_xor_b32_e32 v37, v39, v37
	s_delay_alu instid0(VALU_DEP_1)
	v_cmp_le_u16_e64 s3, v33, v37
	s_and_b32 s14, s3, exec_lo
.LBB1852_49:
	s_or_b32 exec_lo, exec_lo, s13
	s_delay_alu instid0(SALU_CYCLE_1)
	s_or_not1_b32 s13, s14, exec_lo
.LBB1852_50:
	s_or_b32 exec_lo, exec_lo, s12
	s_delay_alu instid0(VALU_DEP_2) | instskip(SKIP_2) | instid1(VALU_DEP_3)
	v_dual_cndmask_b32 v18, v18, v19, s13 :: v_dual_cndmask_b32 v38, v35, v36, s11
	v_dual_cndmask_b32 v36, v22, v23, s4 :: v_dual_cndmask_b32 v37, v21, v20, s10
	v_cndmask_b32_e64 v35, v48, v49, s13
	v_lshl_add_u32 v18, v18, 3, v6
	ds_load_b64 v[18:19], v18 offset:2048
.LBB1852_51:
	s_or_b32 exec_lo, exec_lo, s6
	v_and_b32_e32 v48, 0x70, v34
	s_mov_b32 s4, exec_lo
	; wave barrier
	ds_store_b16 v5, v37
	ds_store_b64 v27, v[12:13]
	v_or_b32_e32 v20, 8, v48
	ds_store_b16 v7, v36
	ds_store_b64 v24, v[14:15]
	ds_store_b16 v25, v38
	s_wait_dscnt 0x6
	ds_store_b64 v31, v[16:17]
	ds_store_b16 v26, v35
	s_wait_dscnt 0x7
	ds_store_b64 v32, v[18:19]
	; wave barrier
	v_min_u32_e32 v33, v1, v20
	v_and_b32_e32 v20, 12, v34
	s_delay_alu instid0(VALU_DEP_2) | instskip(NEXT) | instid1(VALU_DEP_2)
	v_add_min_u32_e64 v39, v33, 8, v1
	v_min_u32_e32 v49, v1, v20
	s_delay_alu instid0(VALU_DEP_2) | instskip(NEXT) | instid1(VALU_DEP_1)
	v_dual_sub_nc_u32 v21, v33, v48 :: v_dual_sub_nc_u32 v20, v39, v33
	v_min_u32_e32 v51, v49, v21
	s_delay_alu instid0(VALU_DEP_2) | instskip(NEXT) | instid1(VALU_DEP_1)
	v_sub_nc_u32_e64 v50, v49, v20 clamp
	v_cmpx_lt_u32_e64 v50, v51
	s_cbranch_execz .LBB1852_55
; %bb.52:
	v_dual_mov_b32 v23, 0 :: v_dual_lshlrev_b32 v22, 1, v48
	s_mov_b32 s6, 0
	s_delay_alu instid0(VALU_DEP_1) | instskip(SKIP_1) | instid1(VALU_DEP_1)
	v_add_nc_u64_e32 v[20:21], v[10:11], v[22:23]
	v_lshlrev_b32_e32 v22, 1, v33
	v_add_nc_u64_e32 v[22:23], v[10:11], v[22:23]
.LBB1852_53:                            ; =>This Inner Loop Header: Depth=1
	v_add_nc_u32_e32 v21, v51, v50
	s_delay_alu instid0(VALU_DEP_1) | instskip(NEXT) | instid1(VALU_DEP_1)
	v_dual_lshrrev_b32 v23, 1, v21 :: v_dual_bitop2_b32 v21, -2, v21 bitop3:0x40
	v_xad_u32 v52, v23, -1, v49
	s_delay_alu instid0(VALU_DEP_2) | instskip(NEXT) | instid1(VALU_DEP_2)
	v_add_nc_u32_e32 v21, v20, v21
	v_lshl_add_u32 v52, v52, 1, v22
	ds_load_u16 v21, v21
	ds_load_u16 v52, v52
	s_wait_dscnt 0x1
	v_add_f16_e32 v21, 0, v21
	s_wait_dscnt 0x0
	v_add_f16_e32 v52, 0, v52
	s_delay_alu instid0(VALU_DEP_2) | instskip(NEXT) | instid1(VALU_DEP_1)
	v_cmp_lt_i16_e64 s3, -1, v21
	v_cndmask_b32_e64 v53, -1, 0xffff8000, s3
	s_delay_alu instid0(VALU_DEP_3) | instskip(NEXT) | instid1(VALU_DEP_2)
	v_cmp_lt_i16_e64 s3, -1, v52
	v_xor_b32_e32 v21, v53, v21
	s_delay_alu instid0(VALU_DEP_2) | instskip(NEXT) | instid1(VALU_DEP_1)
	v_cndmask_b32_e64 v54, -1, 0xffff8000, s3
	v_dual_add_nc_u32 v53, 1, v23 :: v_dual_bitop2_b32 v52, v54, v52 bitop3:0x14
	s_delay_alu instid0(VALU_DEP_1) | instskip(NEXT) | instid1(VALU_DEP_1)
	v_cmp_gt_u16_e64 s3, v21, v52
	v_dual_cndmask_b32 v51, v51, v23, s3 :: v_dual_cndmask_b32 v50, v53, v50, s3
	s_delay_alu instid0(VALU_DEP_1) | instskip(SKIP_1) | instid1(SALU_CYCLE_1)
	v_cmp_ge_u32_e64 s3, v50, v51
	s_or_b32 s6, s3, s6
	s_and_not1_b32 exec_lo, exec_lo, s6
	s_cbranch_execnz .LBB1852_53
; %bb.54:
	s_or_b32 exec_lo, exec_lo, s6
.LBB1852_55:
	s_delay_alu instid0(SALU_CYCLE_1) | instskip(SKIP_1) | instid1(VALU_DEP_1)
	s_or_b32 exec_lo, exec_lo, s4
	v_dual_add_nc_u32 v20, v33, v49 :: v_dual_add_nc_u32 v22, v50, v48
	v_sub_nc_u32_e32 v23, v20, v50
	s_delay_alu instid0(VALU_DEP_2) | instskip(NEXT) | instid1(VALU_DEP_2)
	v_cmp_le_u32_e64 s3, v22, v33
	v_cmp_le_u32_e64 s4, v23, v39
	s_or_b32 s3, s3, s4
	s_delay_alu instid0(SALU_CYCLE_1)
	s_and_saveexec_b32 s6, s3
	s_cbranch_execz .LBB1852_75
; %bb.56:
	v_cmp_ge_u32_e64 s3, v22, v33
	s_mov_b32 s10, exec_lo
                                        ; implicit-def: $vgpr20
	v_cmpx_lt_u32_e64 v22, v33
; %bb.57:
	v_lshl_add_u32 v12, v22, 1, v10
	ds_load_u16 v20, v12
; %bb.58:
	s_or_b32 exec_lo, exec_lo, s10
	v_cmp_ge_u32_e64 s10, v23, v39
	s_mov_b32 s11, exec_lo
                                        ; implicit-def: $vgpr21
	v_cmpx_lt_u32_e64 v23, v39
; %bb.59:
	v_lshl_add_u32 v12, v23, 1, v10
	ds_load_u16 v21, v12
; %bb.60:
	s_or_b32 exec_lo, exec_lo, s11
	s_nor_b32 s3, s3, s10
	s_delay_alu instid0(SALU_CYCLE_1)
	s_and_saveexec_b32 s4, s3
	s_cbranch_execz .LBB1852_62
; %bb.61:
	s_wait_dscnt 0x0
	v_add_f16_e32 v12, 0, v20
	v_add_f16_e32 v13, 0, v21
	s_and_not1_b32 s10, s10, exec_lo
	s_delay_alu instid0(VALU_DEP_2) | instskip(NEXT) | instid1(VALU_DEP_1)
	v_cmp_lt_i16_e64 s3, -1, v12
	v_cndmask_b32_e64 v14, -1, 0xffff8000, s3
	s_delay_alu instid0(VALU_DEP_3) | instskip(NEXT) | instid1(VALU_DEP_2)
	v_cmp_lt_i16_e64 s3, -1, v13
	v_xor_b32_e32 v12, v14, v12
	s_delay_alu instid0(VALU_DEP_2) | instskip(NEXT) | instid1(VALU_DEP_1)
	v_cndmask_b32_e64 v15, -1, 0xffff8000, s3
	v_xor_b32_e32 v13, v15, v13
	s_delay_alu instid0(VALU_DEP_1) | instskip(SKIP_1) | instid1(SALU_CYCLE_1)
	v_cmp_le_u16_e64 s3, v12, v13
	s_and_b32 s3, s3, exec_lo
	s_or_b32 s10, s10, s3
.LBB1852_62:
	s_or_b32 exec_lo, exec_lo, s4
	v_cndmask_b32_e64 v12, v23, v22, s10
	v_cndmask_b32_e64 v13, v39, v33, s10
	s_mov_b32 s11, -1
	s_mov_b32 s4, -1
	s_mov_b32 s12, exec_lo
	v_add_nc_u32_e32 v14, 1, v12
	s_delay_alu instid0(VALU_DEP_1) | instskip(SKIP_2) | instid1(VALU_DEP_3)
	v_add_min_u32_e64 v13, v13, -1, v14
	v_cndmask_b32_e64 v16, v14, v23, s10
	v_lshl_add_u32 v12, v12, 3, v6
	v_lshl_add_u32 v13, v13, 1, v10
	ds_load_u16 v15, v13
	ds_load_b64 v[12:13], v12 offset:2048
	s_wait_dscnt 0x1
	v_dual_cndmask_b32 v17, v22, v14, s10 :: v_dual_cndmask_b32 v22, v15, v21, s10
	v_cndmask_b32_e64 v23, v20, v15, s10
	v_cmpx_lt_u32_e64 v16, v39
	s_cbranch_execz .LBB1852_66
; %bb.63:
	s_mov_b32 s13, 0
	s_mov_b32 s4, exec_lo
	v_cmpx_lt_u32_e64 v17, v33
	s_cbranch_execz .LBB1852_65
; %bb.64:
	v_add_f16_e32 v14, 0, v23
	v_add_f16_e32 v15, 0, v22
	s_delay_alu instid0(VALU_DEP_2) | instskip(NEXT) | instid1(VALU_DEP_1)
	v_cmp_lt_i16_e64 s3, -1, v14
	v_cndmask_b32_e64 v18, -1, 0xffff8000, s3
	s_delay_alu instid0(VALU_DEP_3) | instskip(NEXT) | instid1(VALU_DEP_2)
	v_cmp_lt_i16_e64 s3, -1, v15
	v_xor_b32_e32 v14, v18, v14
	s_delay_alu instid0(VALU_DEP_2) | instskip(NEXT) | instid1(VALU_DEP_1)
	v_cndmask_b32_e64 v19, -1, 0xffff8000, s3
	v_xor_b32_e32 v15, v19, v15
	s_delay_alu instid0(VALU_DEP_1)
	v_cmp_le_u16_e64 s3, v14, v15
	s_and_b32 s13, s3, exec_lo
.LBB1852_65:
	s_or_b32 exec_lo, exec_lo, s4
	s_delay_alu instid0(SALU_CYCLE_1)
	s_or_not1_b32 s4, s13, exec_lo
.LBB1852_66:
	s_or_b32 exec_lo, exec_lo, s12
	v_cndmask_b32_e64 v14, v16, v17, s4
	v_cndmask_b32_e64 v15, v39, v33, s4
	s_mov_b32 s12, exec_lo
	s_delay_alu instid0(VALU_DEP_2) | instskip(NEXT) | instid1(VALU_DEP_1)
	v_add_nc_u32_e32 v19, 1, v14
	v_add_min_u32_e64 v15, v15, -1, v19
	v_cndmask_b32_e64 v18, v19, v16, s4
	v_lshl_add_u32 v14, v14, 3, v6
	s_delay_alu instid0(VALU_DEP_3)
	v_lshl_add_u32 v15, v15, 1, v10
	ds_load_u16 v36, v15
	ds_load_b64 v[14:15], v14 offset:2048
	s_wait_dscnt 0x1
	v_dual_cndmask_b32 v19, v17, v19, s4 :: v_dual_cndmask_b32 v35, v36, v22, s4
	v_cndmask_b32_e64 v36, v23, v36, s4
	v_cmpx_lt_u32_e64 v18, v39
	s_cbranch_execz .LBB1852_70
; %bb.67:
	s_mov_b32 s13, 0
	s_mov_b32 s11, exec_lo
	v_cmpx_lt_u32_e64 v19, v33
	s_cbranch_execz .LBB1852_69
; %bb.68:
	v_add_f16_e32 v16, 0, v36
	v_add_f16_e32 v17, 0, v35
	s_delay_alu instid0(VALU_DEP_2) | instskip(NEXT) | instid1(VALU_DEP_1)
	v_cmp_lt_i16_e64 s3, -1, v16
	v_cndmask_b32_e64 v37, -1, 0xffff8000, s3
	s_delay_alu instid0(VALU_DEP_3) | instskip(NEXT) | instid1(VALU_DEP_2)
	v_cmp_lt_i16_e64 s3, -1, v17
	v_xor_b32_e32 v16, v37, v16
	s_delay_alu instid0(VALU_DEP_2) | instskip(NEXT) | instid1(VALU_DEP_1)
	v_cndmask_b32_e64 v38, -1, 0xffff8000, s3
	v_xor_b32_e32 v17, v38, v17
	s_delay_alu instid0(VALU_DEP_1)
	v_cmp_le_u16_e64 s3, v16, v17
	s_and_b32 s13, s3, exec_lo
.LBB1852_69:
	s_or_b32 exec_lo, exec_lo, s11
	s_delay_alu instid0(SALU_CYCLE_1)
	s_or_not1_b32 s11, s13, exec_lo
.LBB1852_70:
	s_or_b32 exec_lo, exec_lo, s12
	v_dual_cndmask_b32 v16, v18, v19, s11 :: v_dual_cndmask_b32 v17, v39, v33, s11
	s_mov_b32 s13, -1
	s_mov_b32 s12, exec_lo
	s_delay_alu instid0(VALU_DEP_1) | instskip(SKIP_1) | instid1(VALU_DEP_2)
	v_add_nc_u32_e32 v37, 1, v16
	v_lshl_add_u32 v16, v16, 3, v6
	v_add_min_u32_e64 v17, v17, -1, v37
	s_delay_alu instid0(VALU_DEP_1)
	v_lshl_add_u32 v17, v17, 1, v10
	ds_load_u16 v38, v17
	ds_load_b64 v[16:17], v16 offset:2048
	s_wait_dscnt 0x1
	v_dual_cndmask_b32 v48, v38, v35, s11 :: v_dual_cndmask_b32 v18, v37, v18, s11
	v_dual_cndmask_b32 v19, v19, v37, s11 :: v_dual_cndmask_b32 v49, v36, v38, s11
	s_delay_alu instid0(VALU_DEP_2)
	v_cmpx_lt_u32_e64 v18, v39
	s_cbranch_execz .LBB1852_74
; %bb.71:
	s_mov_b32 s14, 0
	s_mov_b32 s13, exec_lo
	v_cmpx_lt_u32_e64 v19, v33
	s_cbranch_execz .LBB1852_73
; %bb.72:
	v_add_f16_e32 v33, 0, v49
	v_add_f16_e32 v37, 0, v48
	s_delay_alu instid0(VALU_DEP_2) | instskip(NEXT) | instid1(VALU_DEP_1)
	v_cmp_lt_i16_e64 s3, -1, v33
	v_cndmask_b32_e64 v38, -1, 0xffff8000, s3
	s_delay_alu instid0(VALU_DEP_3) | instskip(NEXT) | instid1(VALU_DEP_2)
	v_cmp_lt_i16_e64 s3, -1, v37
	v_xor_b32_e32 v33, v38, v33
	s_delay_alu instid0(VALU_DEP_2) | instskip(NEXT) | instid1(VALU_DEP_1)
	v_cndmask_b32_e64 v39, -1, 0xffff8000, s3
	v_xor_b32_e32 v37, v39, v37
	s_delay_alu instid0(VALU_DEP_1)
	v_cmp_le_u16_e64 s3, v33, v37
	s_and_b32 s14, s3, exec_lo
.LBB1852_73:
	s_or_b32 exec_lo, exec_lo, s13
	s_delay_alu instid0(SALU_CYCLE_1)
	s_or_not1_b32 s13, s14, exec_lo
.LBB1852_74:
	s_or_b32 exec_lo, exec_lo, s12
	s_delay_alu instid0(VALU_DEP_2) | instskip(SKIP_2) | instid1(VALU_DEP_3)
	v_dual_cndmask_b32 v18, v18, v19, s13 :: v_dual_cndmask_b32 v38, v35, v36, s11
	v_dual_cndmask_b32 v36, v22, v23, s4 :: v_dual_cndmask_b32 v37, v21, v20, s10
	v_cndmask_b32_e64 v35, v48, v49, s13
	v_lshl_add_u32 v18, v18, 3, v6
	ds_load_b64 v[18:19], v18 offset:2048
.LBB1852_75:
	s_or_b32 exec_lo, exec_lo, s6
	v_and_b32_e32 v39, 0x60, v34
	; wave barrier
	ds_store_b16 v5, v37
	ds_store_b64 v27, v[12:13]
	s_mov_b32 s4, exec_lo
	v_or_b32_e32 v20, 16, v39
	ds_store_b16 v7, v36
	ds_store_b64 v24, v[14:15]
	ds_store_b16 v25, v38
	s_wait_dscnt 0x6
	ds_store_b64 v31, v[16:17]
	ds_store_b16 v26, v35
	s_wait_dscnt 0x7
	ds_store_b64 v32, v[18:19]
	; wave barrier
	v_min_u32_e32 v33, v1, v20
	s_delay_alu instid0(VALU_DEP_1) | instskip(SKIP_1) | instid1(VALU_DEP_2)
	v_add_min_u32_e64 v34, v33, 16, v1
	v_min_u32_e32 v1, v1, v30
	v_dual_sub_nc_u32 v21, v33, v39 :: v_dual_sub_nc_u32 v20, v34, v33
	s_delay_alu instid0(VALU_DEP_1) | instskip(NEXT) | instid1(VALU_DEP_2)
	v_min_u32_e32 v27, v1, v21
	v_sub_nc_u32_e64 v5, v1, v20 clamp
	s_delay_alu instid0(VALU_DEP_1)
	v_cmpx_lt_u32_e64 v5, v27
	s_cbranch_execz .LBB1852_79
; %bb.76:
	v_dual_mov_b32 v23, 0 :: v_dual_lshlrev_b32 v22, 1, v39
	s_mov_b32 s6, 0
	s_delay_alu instid0(VALU_DEP_1) | instskip(SKIP_1) | instid1(VALU_DEP_1)
	v_add_nc_u64_e32 v[20:21], v[10:11], v[22:23]
	v_lshlrev_b32_e32 v22, 1, v33
	v_add_nc_u64_e32 v[22:23], v[10:11], v[22:23]
.LBB1852_77:                            ; =>This Inner Loop Header: Depth=1
	v_add_nc_u32_e32 v7, v27, v5
	s_delay_alu instid0(VALU_DEP_1) | instskip(NEXT) | instid1(VALU_DEP_1)
	v_dual_lshrrev_b32 v11, 1, v7 :: v_dual_bitop2_b32 v7, -2, v7 bitop3:0x40
	v_xad_u32 v21, v11, -1, v1
	s_delay_alu instid0(VALU_DEP_2) | instskip(NEXT) | instid1(VALU_DEP_2)
	v_add_nc_u32_e32 v7, v20, v7
	v_lshl_add_u32 v21, v21, 1, v22
	ds_load_u16 v7, v7
	ds_load_u16 v21, v21
	s_wait_dscnt 0x1
	v_add_f16_e32 v7, 0, v7
	s_wait_dscnt 0x0
	v_add_f16_e32 v21, 0, v21
	s_delay_alu instid0(VALU_DEP_2) | instskip(NEXT) | instid1(VALU_DEP_1)
	v_cmp_lt_i16_e64 s3, -1, v7
	v_cndmask_b32_e64 v23, -1, 0xffff8000, s3
	s_delay_alu instid0(VALU_DEP_3) | instskip(NEXT) | instid1(VALU_DEP_2)
	v_cmp_lt_i16_e64 s3, -1, v21
	v_xor_b32_e32 v7, v23, v7
	s_delay_alu instid0(VALU_DEP_2) | instskip(NEXT) | instid1(VALU_DEP_1)
	v_cndmask_b32_e64 v24, -1, 0xffff8000, s3
	v_dual_add_nc_u32 v23, 1, v11 :: v_dual_bitop2_b32 v21, v24, v21 bitop3:0x14
	s_delay_alu instid0(VALU_DEP_1) | instskip(NEXT) | instid1(VALU_DEP_1)
	v_cmp_gt_u16_e64 s3, v7, v21
	v_cndmask_b32_e64 v27, v27, v11, s3
	s_delay_alu instid0(VALU_DEP_3) | instskip(NEXT) | instid1(VALU_DEP_1)
	v_cndmask_b32_e64 v5, v23, v5, s3
	v_cmp_ge_u32_e64 s3, v5, v27
	s_or_b32 s6, s3, s6
	s_delay_alu instid0(SALU_CYCLE_1)
	s_and_not1_b32 exec_lo, exec_lo, s6
	s_cbranch_execnz .LBB1852_77
; %bb.78:
	s_or_b32 exec_lo, exec_lo, s6
.LBB1852_79:
	s_delay_alu instid0(SALU_CYCLE_1) | instskip(SKIP_2) | instid1(VALU_DEP_2)
	s_or_b32 exec_lo, exec_lo, s4
	v_add_nc_u32_e32 v1, v33, v1
	v_add_nc_u32_e32 v7, v5, v39
	v_sub_nc_u32_e32 v11, v1, v5
	s_delay_alu instid0(VALU_DEP_2) | instskip(NEXT) | instid1(VALU_DEP_2)
	v_cmp_le_u32_e64 s3, v7, v33
	v_cmp_le_u32_e64 s4, v11, v34
	s_or_b32 s3, s3, s4
	s_delay_alu instid0(SALU_CYCLE_1)
	s_and_saveexec_b32 s6, s3
	s_cbranch_execz .LBB1852_99
; %bb.80:
	v_cmp_ge_u32_e64 s3, v7, v33
	s_mov_b32 s10, exec_lo
                                        ; implicit-def: $vgpr1
	v_cmpx_lt_u32_e64 v7, v33
; %bb.81:
	v_lshl_add_u32 v1, v7, 1, v10
	ds_load_u16 v1, v1
; %bb.82:
	s_or_b32 exec_lo, exec_lo, s10
	v_cmp_ge_u32_e64 s10, v11, v34
	s_mov_b32 s11, exec_lo
                                        ; implicit-def: $vgpr5
	v_cmpx_lt_u32_e64 v11, v34
; %bb.83:
	v_lshl_add_u32 v5, v11, 1, v10
	ds_load_u16 v5, v5
; %bb.84:
	s_or_b32 exec_lo, exec_lo, s11
	s_nor_b32 s3, s3, s10
	s_delay_alu instid0(SALU_CYCLE_1)
	s_and_saveexec_b32 s4, s3
	s_cbranch_execz .LBB1852_86
; %bb.85:
	s_wait_dscnt 0x0
	v_add_f16_e32 v12, 0, v1
	v_add_f16_e32 v13, 0, v5
	s_and_not1_b32 s10, s10, exec_lo
	s_delay_alu instid0(VALU_DEP_2) | instskip(NEXT) | instid1(VALU_DEP_1)
	v_cmp_lt_i16_e64 s3, -1, v12
	v_cndmask_b32_e64 v14, -1, 0xffff8000, s3
	s_delay_alu instid0(VALU_DEP_3) | instskip(NEXT) | instid1(VALU_DEP_2)
	v_cmp_lt_i16_e64 s3, -1, v13
	v_xor_b32_e32 v12, v14, v12
	s_delay_alu instid0(VALU_DEP_2) | instskip(NEXT) | instid1(VALU_DEP_1)
	v_cndmask_b32_e64 v15, -1, 0xffff8000, s3
	v_xor_b32_e32 v13, v15, v13
	s_delay_alu instid0(VALU_DEP_1) | instskip(SKIP_1) | instid1(SALU_CYCLE_1)
	v_cmp_le_u16_e64 s3, v12, v13
	s_and_b32 s3, s3, exec_lo
	s_or_b32 s10, s10, s3
.LBB1852_86:
	s_or_b32 exec_lo, exec_lo, s4
	v_dual_cndmask_b32 v12, v11, v7, s10 :: v_dual_cndmask_b32 v13, v34, v33, s10
	s_mov_b32 s11, -1
	s_mov_b32 s4, -1
	s_mov_b32 s12, exec_lo
	s_delay_alu instid0(VALU_DEP_1) | instskip(SKIP_1) | instid1(VALU_DEP_2)
	v_add_nc_u32_e32 v14, 1, v12
	v_lshl_add_u32 v12, v12, 3, v6
	v_add_min_u32_e64 v13, v13, -1, v14
	s_delay_alu instid0(VALU_DEP_1)
	v_lshl_add_u32 v13, v13, 1, v10
	ds_load_u16 v15, v13
	ds_load_b64 v[12:13], v12 offset:2048
	v_cndmask_b32_e64 v17, v7, v14, s10
	s_wait_dscnt 0x1
	v_dual_cndmask_b32 v7, v15, v5, s10 :: v_dual_cndmask_b32 v16, v14, v11, s10
	v_cndmask_b32_e64 v11, v1, v15, s10
	s_delay_alu instid0(VALU_DEP_2)
	v_cmpx_lt_u32_e64 v16, v34
	s_cbranch_execz .LBB1852_90
; %bb.87:
	s_mov_b32 s13, 0
	s_mov_b32 s4, exec_lo
	v_cmpx_lt_u32_e64 v17, v33
	s_cbranch_execz .LBB1852_89
; %bb.88:
	v_add_f16_e32 v14, 0, v11
	v_add_f16_e32 v15, 0, v7
	s_delay_alu instid0(VALU_DEP_2) | instskip(NEXT) | instid1(VALU_DEP_1)
	v_cmp_lt_i16_e64 s3, -1, v14
	v_cndmask_b32_e64 v18, -1, 0xffff8000, s3
	s_delay_alu instid0(VALU_DEP_3) | instskip(NEXT) | instid1(VALU_DEP_2)
	v_cmp_lt_i16_e64 s3, -1, v15
	v_xor_b32_e32 v14, v18, v14
	s_delay_alu instid0(VALU_DEP_2) | instskip(NEXT) | instid1(VALU_DEP_1)
	v_cndmask_b32_e64 v19, -1, 0xffff8000, s3
	v_xor_b32_e32 v15, v19, v15
	s_delay_alu instid0(VALU_DEP_1)
	v_cmp_le_u16_e64 s3, v14, v15
	s_and_b32 s13, s3, exec_lo
.LBB1852_89:
	s_or_b32 exec_lo, exec_lo, s4
	s_delay_alu instid0(SALU_CYCLE_1)
	s_or_not1_b32 s4, s13, exec_lo
.LBB1852_90:
	s_or_b32 exec_lo, exec_lo, s12
	v_cndmask_b32_e64 v14, v16, v17, s4
	v_cndmask_b32_e64 v15, v34, v33, s4
	s_mov_b32 s12, exec_lo
	s_delay_alu instid0(VALU_DEP_2) | instskip(NEXT) | instid1(VALU_DEP_1)
	v_add_nc_u32_e32 v19, 1, v14
	v_add_min_u32_e64 v15, v15, -1, v19
	v_cndmask_b32_e64 v18, v19, v16, s4
	v_lshl_add_u32 v14, v14, 3, v6
	s_delay_alu instid0(VALU_DEP_3)
	v_lshl_add_u32 v15, v15, 1, v10
	ds_load_u16 v21, v15
	ds_load_b64 v[14:15], v14 offset:2048
	v_cndmask_b32_e64 v19, v17, v19, s4
	s_wait_dscnt 0x1
	v_dual_cndmask_b32 v20, v21, v7, s4 :: v_dual_cndmask_b32 v21, v11, v21, s4
	v_cmpx_lt_u32_e64 v18, v34
	s_cbranch_execz .LBB1852_94
; %bb.91:
	s_mov_b32 s13, 0
	s_mov_b32 s11, exec_lo
	v_cmpx_lt_u32_e64 v19, v33
	s_cbranch_execz .LBB1852_93
; %bb.92:
	v_add_f16_e32 v16, 0, v21
	v_add_f16_e32 v17, 0, v20
	s_delay_alu instid0(VALU_DEP_2) | instskip(NEXT) | instid1(VALU_DEP_1)
	v_cmp_lt_i16_e64 s3, -1, v16
	v_cndmask_b32_e64 v22, -1, 0xffff8000, s3
	s_delay_alu instid0(VALU_DEP_3) | instskip(NEXT) | instid1(VALU_DEP_2)
	v_cmp_lt_i16_e64 s3, -1, v17
	v_xor_b32_e32 v16, v22, v16
	s_delay_alu instid0(VALU_DEP_2) | instskip(NEXT) | instid1(VALU_DEP_1)
	v_cndmask_b32_e64 v23, -1, 0xffff8000, s3
	v_xor_b32_e32 v17, v23, v17
	s_delay_alu instid0(VALU_DEP_1)
	v_cmp_le_u16_e64 s3, v16, v17
	s_and_b32 s13, s3, exec_lo
.LBB1852_93:
	s_or_b32 exec_lo, exec_lo, s11
	s_delay_alu instid0(SALU_CYCLE_1)
	s_or_not1_b32 s11, s13, exec_lo
.LBB1852_94:
	s_or_b32 exec_lo, exec_lo, s12
	v_cndmask_b32_e64 v16, v18, v19, s11
	v_cndmask_b32_e64 v17, v34, v33, s11
	s_mov_b32 s13, -1
	s_mov_b32 s12, exec_lo
	s_delay_alu instid0(VALU_DEP_2) | instskip(NEXT) | instid1(VALU_DEP_1)
	v_add_nc_u32_e32 v22, 1, v16
	v_add_min_u32_e64 v17, v17, -1, v22
	v_cndmask_b32_e64 v19, v19, v22, s11
	s_delay_alu instid0(VALU_DEP_2)
	v_lshl_add_u32 v10, v17, 1, v10
	ds_load_u16 v23, v10
	v_lshl_add_u32 v10, v16, 3, v6
	v_cndmask_b32_e64 v18, v22, v18, s11
	ds_load_b64 v[16:17], v10 offset:2048
	s_wait_dscnt 0x1
	v_dual_cndmask_b32 v10, v23, v20, s11 :: v_dual_cndmask_b32 v22, v21, v23, s11
	v_cmpx_lt_u32_e64 v18, v34
	s_cbranch_execz .LBB1852_98
; %bb.95:
	s_mov_b32 s14, 0
	s_mov_b32 s13, exec_lo
	v_cmpx_lt_u32_e64 v19, v33
	s_cbranch_execz .LBB1852_97
; %bb.96:
	v_add_f16_e32 v23, 0, v22
	v_add_f16_e32 v24, 0, v10
	s_delay_alu instid0(VALU_DEP_2) | instskip(NEXT) | instid1(VALU_DEP_1)
	v_cmp_lt_i16_e64 s3, -1, v23
	v_cndmask_b32_e64 v25, -1, 0xffff8000, s3
	s_delay_alu instid0(VALU_DEP_3) | instskip(NEXT) | instid1(VALU_DEP_2)
	v_cmp_lt_i16_e64 s3, -1, v24
	v_xor_b32_e32 v23, v25, v23
	s_delay_alu instid0(VALU_DEP_2) | instskip(NEXT) | instid1(VALU_DEP_1)
	v_cndmask_b32_e64 v26, -1, 0xffff8000, s3
	v_xor_b32_e32 v24, v26, v24
	s_delay_alu instid0(VALU_DEP_1)
	v_cmp_le_u16_e64 s3, v23, v24
	s_and_b32 s14, s3, exec_lo
.LBB1852_97:
	s_or_b32 exec_lo, exec_lo, s13
	s_delay_alu instid0(SALU_CYCLE_1)
	s_or_not1_b32 s13, s14, exec_lo
.LBB1852_98:
	s_or_b32 exec_lo, exec_lo, s12
	v_dual_cndmask_b32 v18, v18, v19, s13 :: v_dual_cndmask_b32 v38, v20, v21, s11
	v_dual_cndmask_b32 v36, v7, v11, s4 :: v_dual_cndmask_b32 v37, v5, v1, s10
	v_cndmask_b32_e64 v35, v10, v22, s13
	s_delay_alu instid0(VALU_DEP_3)
	v_lshl_add_u32 v6, v18, 3, v6
	ds_load_b64 v[18:19], v6 offset:2048
.LBB1852_99:
	s_or_b32 exec_lo, exec_lo, s6
	v_lshl_add_u64 v[2:3], v[28:29], 1, v[2:3]
	v_mov_b32_e32 v1, 0
	; wave barrier
	s_wait_storecnt_dscnt 0x0
	s_barrier_signal -1
	s_delay_alu instid0(VALU_DEP_1)
	v_add_nc_u64_e32 v[0:1], v[2:3], v[0:1]
	s_barrier_wait -1
	; wave barrier
	s_and_saveexec_b32 s3, vcc_lo
	s_cbranch_execnz .LBB1852_218
; %bb.100:
	s_or_b32 exec_lo, exec_lo, s3
	s_and_saveexec_b32 s3, s0
	s_cbranch_execnz .LBB1852_219
.LBB1852_101:
	s_or_b32 exec_lo, exec_lo, s3
	s_and_saveexec_b32 s3, s1
	s_cbranch_execnz .LBB1852_220
.LBB1852_102:
	s_or_b32 exec_lo, exec_lo, s3
	s_and_saveexec_b32 s3, s2
	s_cbranch_execz .LBB1852_104
.LBB1852_103:
	flat_store_b16 v[0:1], v35 offset:6
.LBB1852_104:
	s_wait_xcnt 0x0
	s_or_b32 exec_lo, exec_lo, s3
	v_lshl_add_u64 v[0:1], v[28:29], 3, v[8:9]
	v_mov_b32_e32 v5, 0
	; wave barrier
	s_delay_alu instid0(VALU_DEP_1)
	v_add_nc_u64_e32 v[0:1], v[0:1], v[4:5]
	s_and_saveexec_b32 s3, vcc_lo
	s_cbranch_execnz .LBB1852_221
; %bb.105:
	s_or_b32 exec_lo, exec_lo, s3
	s_and_saveexec_b32 s3, s0
	s_cbranch_execnz .LBB1852_222
.LBB1852_106:
	s_or_b32 exec_lo, exec_lo, s3
	s_and_saveexec_b32 s0, s1
	s_cbranch_execz .LBB1852_108
.LBB1852_107:
	flat_store_b64 v[0:1], v[16:17] offset:16
.LBB1852_108:
	s_wait_xcnt 0x0
	s_or_b32 exec_lo, exec_lo, s0
	s_delay_alu instid0(SALU_CYCLE_1)
	s_and_b32 s6, s2, exec_lo
                                        ; implicit-def: $vgpr22
                                        ; implicit-def: $vgpr34
                                        ; implicit-def: $vgpr20_vgpr21
                                        ; implicit-def: $vgpr4
                                        ; implicit-def: $vgpr10
                                        ; implicit-def: $vgpr0
                                        ; implicit-def: $vgpr31
                                        ; implicit-def: $vgpr6_vgpr7
                                        ; implicit-def: $vgpr32_vgpr33
	s_and_not1_saveexec_b32 s7, s7
	s_cbranch_execz .LBB1852_2
.LBB1852_109:
	v_dual_mov_b32 v36, 0x7fff :: v_dual_mov_b32 v37, 0x7fff
	s_and_saveexec_b32 s0, vcc_lo
	s_cbranch_execz .LBB1852_111
; %bb.110:
	flat_load_u16 v37, v[20:21]
.LBB1852_111:
	s_wait_xcnt 0x0
	s_or_b32 exec_lo, exec_lo, s0
	v_or_b32_e32 v1, 1, v30
	s_delay_alu instid0(VALU_DEP_1)
	v_cmp_lt_u32_e64 s0, v1, v22
	s_and_saveexec_b32 s1, s0
	s_cbranch_execz .LBB1852_113
; %bb.112:
	flat_load_u16 v36, v[20:21] offset:2
.LBB1852_113:
	s_wait_xcnt 0x0
	s_or_b32 exec_lo, exec_lo, s1
	v_or_b32_e32 v1, 2, v30
	v_dual_mov_b32 v35, 0x7fff :: v_dual_mov_b32 v38, 0x7fff
	s_delay_alu instid0(VALU_DEP_2)
	v_cmp_lt_u32_e64 s2, v1, v22
	s_and_saveexec_b32 s1, s2
	s_cbranch_execz .LBB1852_115
; %bb.114:
	flat_load_u16 v38, v[20:21] offset:4
.LBB1852_115:
	s_wait_xcnt 0x0
	s_or_b32 exec_lo, exec_lo, s1
	v_or_b32_e32 v1, 3, v30
	s_delay_alu instid0(VALU_DEP_1)
	v_cmp_lt_u32_e64 s1, v1, v22
	s_and_saveexec_b32 s3, s1
	s_cbranch_execz .LBB1852_117
; %bb.116:
	flat_load_u16 v35, v[20:21] offset:6
.LBB1852_117:
	s_wait_xcnt 0x0
	s_or_b32 exec_lo, exec_lo, s3
	v_lshl_add_u64 v[6:7], v[28:29], 3, v[6:7]
	v_dual_mov_b32 v3, 0 :: v_dual_lshlrev_b32 v2, 3, v30
	; wave barrier
	s_delay_alu instid0(VALU_DEP_1)
	v_add_nc_u64_e32 v[6:7], v[6:7], v[2:3]
	v_dual_mov_b32 v12, v3 :: v_dual_mov_b32 v13, v3
	v_dual_mov_b32 v14, v3 :: v_dual_mov_b32 v15, v3
	;; [unrolled: 1-line block ×4, first 2 shown]
	s_and_saveexec_b32 s3, vcc_lo
	s_cbranch_execnz .LBB1852_223
; %bb.118:
	s_or_b32 exec_lo, exec_lo, s3
	s_and_saveexec_b32 s3, s0
	s_cbranch_execnz .LBB1852_224
.LBB1852_119:
	s_or_b32 exec_lo, exec_lo, s3
	s_and_saveexec_b32 s3, s2
	s_cbranch_execnz .LBB1852_225
.LBB1852_120:
	s_or_b32 exec_lo, exec_lo, s3
	s_and_saveexec_b32 s3, s1
	s_cbranch_execz .LBB1852_122
.LBB1852_121:
	flat_load_b64 v[18:19], v[6:7] offset:24
.LBB1852_122:
	s_wait_xcnt 0x0
	s_or_b32 exec_lo, exec_lo, s3
	; wave barrier
	s_load_b64 s[10:11], s[8:9], 0x0
	s_bfe_u32 s4, ttmp6, 0x4000c
	s_bfe_u32 s13, ttmp6, 0x40010
	s_and_b32 s12, ttmp7, 0xffff
	s_add_co_i32 s4, s4, 1
	s_add_co_i32 s13, s13, 1
	s_and_b32 s3, ttmp6, 15
	s_bfe_u32 s14, ttmp6, 0x40004
	s_mul_i32 s4, ttmp9, s4
	s_mul_i32 s13, s12, s13
	s_add_co_i32 s3, s3, s4
	s_add_co_i32 s14, s14, s13
	s_cmp_eq_u32 s5, 0
	v_bfe_u32 v1, v31, 10, 10
	s_cselect_b32 s3, ttmp9, s3
	s_cselect_b32 s5, s12, s14
	v_bfe_u32 v3, v31, 20, 10
	s_wait_kmcnt 0x0
	s_cmp_lt_u32 s3, s10
	s_cselect_b32 s4, 12, 18
	s_cmp_lt_u32 s5, s11
	s_mov_b32 s5, 0
	s_cselect_b32 s10, 14, 20
	s_mov_b32 s11, s5
	s_add_nc_u64 s[4:5], s[8:9], s[4:5]
	s_add_nc_u64 s[10:11], s[8:9], s[10:11]
	s_load_u16 s4, s[4:5], 0x0
	s_wait_xcnt 0x0
	s_mov_b32 s5, exec_lo
	s_load_u16 s3, s[10:11], 0x0
	s_wait_kmcnt 0x0
	v_mad_u32_u24 v1, v3, s3, v1
	v_and_b32_e32 v3, 0x3ff, v31
	s_delay_alu instid0(VALU_DEP_2) | instskip(NEXT) | instid1(VALU_DEP_1)
	v_mul_lo_u32 v1, v1, s4
	v_add_lshl_u32 v1, v1, v3, 2
	s_delay_alu instid0(VALU_DEP_1)
	v_cmpx_gt_u32_e32 0x400, v1
	s_cbranch_execz .LBB1852_132
; %bb.123:
	s_wait_loadcnt_dscnt 0x0
	v_add_f16_e32 v3, 0, v37
	v_add_f16_e32 v6, 0, v36
	;; [unrolled: 1-line block ×4, first 2 shown]
	v_mov_b64_e32 v[24:25], v[16:17]
	v_cmp_lt_i16_e64 s3, -1, v3
	v_mov_b64_e32 v[26:27], v[18:19]
	s_mov_b32 s8, exec_lo
	v_cndmask_b32_e64 v9, -1, 0xffff8000, s3
	v_cmp_lt_i16_e64 s3, -1, v6
	s_delay_alu instid0(VALU_DEP_2) | instskip(NEXT) | instid1(VALU_DEP_2)
	v_xor_b32_e32 v3, v9, v3
	v_cndmask_b32_e64 v20, -1, 0xffff8000, s3
	v_cmp_lt_i16_e64 s3, -1, v7
	s_delay_alu instid0(VALU_DEP_2) | instskip(NEXT) | instid1(VALU_DEP_2)
	v_xor_b32_e32 v6, v20, v6
	v_cndmask_b32_e64 v9, -1, 0xffff8000, s3
	v_cmp_lt_i16_e64 s3, -1, v8
	s_delay_alu instid0(VALU_DEP_1) | instskip(NEXT) | instid1(VALU_DEP_4)
	v_cndmask_b32_e64 v20, -1, 0xffff8000, s3
	v_cmp_gt_u16_e64 s3, v3, v6
	s_delay_alu instid0(VALU_DEP_4) | instskip(NEXT) | instid1(VALU_DEP_2)
	v_dual_mov_b32 v3, v38 :: v_dual_bitop2_b32 v6, v9, v7 bitop3:0x14
	v_dual_cndmask_b32 v21, v13, v15, s3 :: v_dual_bitop2_b32 v9, v20, v8 bitop3:0x14
	v_dual_cndmask_b32 v23, v15, v13, s3 :: v_dual_cndmask_b32 v22, v14, v12, s3
	v_cndmask_b32_e64 v20, v12, v14, s3
	s_delay_alu instid0(VALU_DEP_3)
	v_cmpx_gt_u16_e64 v6, v9
; %bb.124:
	v_mov_b64_e32 v[24:25], v[18:19]
	v_mov_b64_e32 v[26:27], v[16:17]
	v_dual_mov_b32 v7, v8 :: v_dual_mov_b32 v6, v9
	v_dual_mov_b32 v3, v35 :: v_dual_mov_b32 v35, v38
; %bb.125:
	s_or_b32 exec_lo, exec_lo, s8
	v_cndmask_b32_e64 v12, v36, v37, s3
	s_delay_alu instid0(VALU_DEP_1) | instskip(NEXT) | instid1(VALU_DEP_1)
	v_add_f16_e32 v8, 0, v12
	v_cmp_lt_i16_e64 s4, -1, v8
	s_delay_alu instid0(VALU_DEP_1) | instskip(NEXT) | instid1(VALU_DEP_1)
	v_cndmask_b32_e64 v9, -1, 0xffff8000, s4
	v_dual_mov_b32 v9, v7 :: v_dual_bitop2_b32 v13, v9, v8 bitop3:0x14
	s_delay_alu instid0(VALU_DEP_1) | instskip(SKIP_2) | instid1(SALU_CYCLE_1)
	v_cmp_gt_u16_e64 s4, v13, v6
	v_mov_b32_e32 v6, v12
	s_and_saveexec_b32 s8, s4
	s_xor_b32 s4, exec_lo, s8
	s_cbranch_execz .LBB1852_127
; %bb.126:
	v_mov_b64_e32 v[14:15], v[20:21]
	v_mov_b64_e32 v[16:17], v[22:23]
	;; [unrolled: 1-line block ×4, first 2 shown]
	v_dual_mov_b32 v20, v26 :: v_dual_mov_b32 v21, v27
	v_dual_mov_b32 v16, v24 :: v_dual_mov_b32 v17, v25
	;; [unrolled: 1-line block ×3, first 2 shown]
	s_delay_alu instid0(VALU_DEP_3) | instskip(SKIP_1) | instid1(VALU_DEP_4)
	v_mov_b64_e32 v[26:27], v[20:21]
	v_dual_mov_b32 v9, v8 :: v_dual_mov_b32 v6, v3
	v_mov_b64_e32 v[22:23], v[16:17]
	s_delay_alu instid0(VALU_DEP_4)
	v_mov_b64_e32 v[24:25], v[18:19]
	v_mov_b64_e32 v[20:21], v[14:15]
	v_dual_mov_b32 v3, v12 :: v_dual_mov_b32 v8, v7
.LBB1852_127:
	s_or_b32 exec_lo, exec_lo, s4
	s_delay_alu instid0(VALU_DEP_3) | instskip(NEXT) | instid1(VALU_DEP_2)
	v_dual_cndmask_b32 v7, v37, v36, s3 :: v_dual_mov_b32 v16, v24
	v_cmp_lt_i16_e64 s3, -1, v8
	v_add_f16_e32 v14, 0, v35
	s_mov_b32 s8, exec_lo
	v_add_f16_e32 v12, 0, v7
	v_mov_b32_e32 v19, v27
	v_cndmask_b32_e64 v13, -1, 0xffff8000, s3
	s_delay_alu instid0(VALU_DEP_3) | instskip(NEXT) | instid1(VALU_DEP_2)
	v_cmp_lt_i16_e64 s3, -1, v12
	v_xor_b32_e32 v8, v13, v8
	s_delay_alu instid0(VALU_DEP_2) | instskip(SKIP_1) | instid1(VALU_DEP_2)
	v_cndmask_b32_e64 v15, -1, 0xffff8000, s3
	v_cmp_lt_i16_e64 s3, -1, v9
	v_xor_b32_e32 v12, v15, v12
	s_delay_alu instid0(VALU_DEP_2) | instskip(SKIP_1) | instid1(VALU_DEP_2)
	v_cndmask_b32_e64 v17, -1, 0xffff8000, s3
	v_cmp_lt_i16_e64 s3, -1, v14
	v_xor_b32_e32 v9, v17, v9
	s_delay_alu instid0(VALU_DEP_2) | instskip(NEXT) | instid1(VALU_DEP_1)
	v_cndmask_b32_e64 v18, -1, 0xffff8000, s3
	v_dual_mov_b32 v17, v25 :: v_dual_bitop2_b32 v31, v18, v14 bitop3:0x14
	v_mov_b32_e32 v18, v26
	v_cmp_gt_u16_e64 s3, v12, v8
	s_delay_alu instid0(VALU_DEP_1)
	v_dual_mov_b32 v8, v3 :: v_dual_cndmask_b32 v12, v20, v22, s3
	v_dual_cndmask_b32 v15, v23, v21, s3 :: v_dual_cndmask_b32 v14, v22, v20, s3
	v_cndmask_b32_e64 v13, v21, v23, s3
	v_cmpx_gt_u16_e64 v9, v31
; %bb.128:
	v_dual_mov_b32 v16, v26 :: v_dual_mov_b32 v17, v27
	v_dual_mov_b32 v18, v24 :: v_dual_mov_b32 v19, v25
	;; [unrolled: 1-line block ×3, first 2 shown]
	v_mov_b32_e32 v35, v3
; %bb.129:
	s_or_b32 exec_lo, exec_lo, s8
	s_delay_alu instid0(VALU_DEP_2) | instskip(SKIP_1) | instid1(VALU_DEP_1)
	v_dual_cndmask_b32 v36, v6, v7, s3 :: v_dual_mov_b32 v38, v8
	s_mov_b32 s8, exec_lo
	v_add_f16_e32 v3, 0, v36
	s_delay_alu instid0(VALU_DEP_1) | instskip(NEXT) | instid1(VALU_DEP_1)
	v_cmp_lt_i16_e64 s4, -1, v3
	v_cndmask_b32_e64 v20, -1, 0xffff8000, s4
	s_delay_alu instid0(VALU_DEP_1) | instskip(NEXT) | instid1(VALU_DEP_1)
	v_xor_b32_e32 v3, v20, v3
	v_cmpx_gt_u16_e64 v3, v9
	s_cbranch_execz .LBB1852_131
; %bb.130:
	v_dual_mov_b32 v20, v12 :: v_dual_mov_b32 v21, v13
	v_dual_mov_b32 v22, v16 :: v_dual_mov_b32 v23, v17
	;; [unrolled: 1-line block ×4, first 2 shown]
	s_delay_alu instid0(VALU_DEP_4) | instskip(NEXT) | instid1(VALU_DEP_4)
	v_mov_b64_e32 v[12:13], v[20:21]
	v_mov_b64_e32 v[14:15], v[22:23]
	s_delay_alu instid0(VALU_DEP_4)
	v_mov_b64_e32 v[16:17], v[24:25]
	v_dual_mov_b32 v38, v36 :: v_dual_mov_b32 v36, v8
	v_mov_b64_e32 v[18:19], v[26:27]
.LBB1852_131:
	s_or_b32 exec_lo, exec_lo, s8
	v_cndmask_b32_e64 v37, v7, v6, s3
.LBB1852_132:
	s_or_b32 exec_lo, exec_lo, s5
	v_and_b32_e32 v20, 0xffffff80, v1
	v_dual_mov_b32 v21, 0 :: v_dual_bitop2_b32 v3, 4, v34 bitop3:0x54
	v_and_b32_e32 v48, 0x78, v34
	s_mov_b32 s4, exec_lo
	s_delay_alu instid0(VALU_DEP_3) | instskip(NEXT) | instid1(VALU_DEP_3)
	v_sub_nc_u32_e64 v1, 0x400, v20 clamp
	v_lshl_add_u64 v[8:9], v[20:21], 1, v[32:33]
	s_delay_alu instid0(VALU_DEP_2) | instskip(NEXT) | instid1(VALU_DEP_2)
	v_min_u32_e32 v33, v1, v3
	v_mad_nc_u64_u32 v[6:7], v20, 6, v[8:9]
	v_lshl_add_u32 v3, v34, 1, v8
	s_delay_alu instid0(VALU_DEP_3)
	v_add_min_u32_e64 v39, v33, 4, v1
	v_and_b32_e32 v7, 4, v34
	s_wait_loadcnt_dscnt 0x0
	ds_store_b16 v3, v37
	v_sub_nc_u32_e32 v20, v39, v33
	v_min_u32_e32 v49, v1, v7
	v_sub_nc_u32_e32 v7, v33, v48
	v_lshl_add_u32 v32, v34, 3, v6
	ds_store_b64 v32, v[12:13] offset:2048
	ds_store_b16 v3, v36 offset:2
	ds_store_b64 v32, v[14:15] offset:2056
	ds_store_b16 v3, v38 offset:4
	;; [unrolled: 2-line block ×3, first 2 shown]
	ds_store_b64 v32, v[18:19] offset:2072
	v_min_u32_e32 v7, v49, v7
	v_sub_nc_u32_e64 v50, v49, v20 clamp
	; wave barrier
	s_delay_alu instid0(VALU_DEP_1)
	v_cmpx_lt_u32_e64 v50, v7
	s_cbranch_execz .LBB1852_136
; %bb.133:
	v_lshlrev_b32_e32 v20, 1, v48
	s_mov_b32 s5, 0
	s_delay_alu instid0(VALU_DEP_1) | instskip(SKIP_1) | instid1(VALU_DEP_1)
	v_add_nc_u64_e32 v[22:23], v[8:9], v[20:21]
	v_lshlrev_b32_e32 v20, 1, v33
	v_add_nc_u64_e32 v[20:21], v[8:9], v[20:21]
.LBB1852_134:                           ; =>This Inner Loop Header: Depth=1
	v_add_nc_u32_e32 v21, v7, v50
	s_delay_alu instid0(VALU_DEP_1) | instskip(NEXT) | instid1(VALU_DEP_1)
	v_dual_lshrrev_b32 v23, 1, v21 :: v_dual_bitop2_b32 v21, -2, v21 bitop3:0x40
	v_xad_u32 v24, v23, -1, v49
	s_delay_alu instid0(VALU_DEP_2) | instskip(NEXT) | instid1(VALU_DEP_2)
	v_add_nc_u32_e32 v21, v22, v21
	v_lshl_add_u32 v24, v24, 1, v20
	ds_load_u16 v21, v21
	ds_load_u16 v24, v24
	s_wait_dscnt 0x1
	v_add_f16_e32 v21, 0, v21
	s_wait_dscnt 0x0
	v_add_f16_e32 v24, 0, v24
	s_delay_alu instid0(VALU_DEP_2) | instskip(NEXT) | instid1(VALU_DEP_1)
	v_cmp_lt_i16_e64 s3, -1, v21
	v_cndmask_b32_e64 v25, -1, 0xffff8000, s3
	s_delay_alu instid0(VALU_DEP_3) | instskip(NEXT) | instid1(VALU_DEP_2)
	v_cmp_lt_i16_e64 s3, -1, v24
	v_xor_b32_e32 v21, v25, v21
	s_delay_alu instid0(VALU_DEP_2) | instskip(NEXT) | instid1(VALU_DEP_1)
	v_cndmask_b32_e64 v26, -1, 0xffff8000, s3
	v_dual_add_nc_u32 v25, 1, v23 :: v_dual_bitop2_b32 v24, v26, v24 bitop3:0x14
	s_delay_alu instid0(VALU_DEP_1) | instskip(NEXT) | instid1(VALU_DEP_1)
	v_cmp_gt_u16_e64 s3, v21, v24
	v_dual_cndmask_b32 v7, v7, v23, s3 :: v_dual_cndmask_b32 v50, v25, v50, s3
	s_delay_alu instid0(VALU_DEP_1) | instskip(SKIP_1) | instid1(SALU_CYCLE_1)
	v_cmp_ge_u32_e64 s3, v50, v7
	s_or_b32 s5, s3, s5
	s_and_not1_b32 exec_lo, exec_lo, s5
	s_cbranch_execnz .LBB1852_134
; %bb.135:
	s_or_b32 exec_lo, exec_lo, s5
.LBB1852_136:
	s_delay_alu instid0(SALU_CYCLE_1) | instskip(SKIP_4) | instid1(VALU_DEP_4)
	s_or_b32 exec_lo, exec_lo, s4
	v_dual_add_nc_u32 v26, 6, v3 :: v_dual_add_nc_u32 v20, v33, v49
	v_add_nc_u32_e32 v22, v50, v48
	v_add_nc_u32_e32 v27, 0x800, v32
	v_dual_add_nc_u32 v7, 2, v3 :: v_dual_add_nc_u32 v25, 4, v3
	v_sub_nc_u32_e32 v23, v20, v50
	s_delay_alu instid0(VALU_DEP_4)
	v_cmp_le_u32_e64 s3, v22, v33
	v_add_nc_u32_e32 v24, 0x808, v32
	v_add_nc_u32_e32 v31, 0x810, v32
	;; [unrolled: 1-line block ×3, first 2 shown]
	v_cmp_le_u32_e64 s4, v23, v39
	s_or_b32 s3, s3, s4
	s_delay_alu instid0(SALU_CYCLE_1)
	s_and_saveexec_b32 s5, s3
	s_cbranch_execz .LBB1852_156
; %bb.137:
	v_cmp_ge_u32_e64 s3, v22, v33
	s_mov_b32 s8, exec_lo
                                        ; implicit-def: $vgpr20
	v_cmpx_lt_u32_e64 v22, v33
; %bb.138:
	v_lshl_add_u32 v12, v22, 1, v8
	ds_load_u16 v20, v12
; %bb.139:
	s_or_b32 exec_lo, exec_lo, s8
	v_cmp_ge_u32_e64 s8, v23, v39
	s_mov_b32 s9, exec_lo
                                        ; implicit-def: $vgpr21
	v_cmpx_lt_u32_e64 v23, v39
; %bb.140:
	v_lshl_add_u32 v12, v23, 1, v8
	ds_load_u16 v21, v12
; %bb.141:
	s_or_b32 exec_lo, exec_lo, s9
	s_nor_b32 s3, s3, s8
	s_delay_alu instid0(SALU_CYCLE_1)
	s_and_saveexec_b32 s4, s3
	s_cbranch_execz .LBB1852_143
; %bb.142:
	s_wait_dscnt 0x0
	v_add_f16_e32 v12, 0, v20
	v_add_f16_e32 v13, 0, v21
	s_and_not1_b32 s8, s8, exec_lo
	s_delay_alu instid0(VALU_DEP_2) | instskip(NEXT) | instid1(VALU_DEP_1)
	v_cmp_lt_i16_e64 s3, -1, v12
	v_cndmask_b32_e64 v14, -1, 0xffff8000, s3
	s_delay_alu instid0(VALU_DEP_3) | instskip(NEXT) | instid1(VALU_DEP_2)
	v_cmp_lt_i16_e64 s3, -1, v13
	v_xor_b32_e32 v12, v14, v12
	s_delay_alu instid0(VALU_DEP_2) | instskip(NEXT) | instid1(VALU_DEP_1)
	v_cndmask_b32_e64 v15, -1, 0xffff8000, s3
	v_xor_b32_e32 v13, v15, v13
	s_delay_alu instid0(VALU_DEP_1) | instskip(SKIP_1) | instid1(SALU_CYCLE_1)
	v_cmp_le_u16_e64 s3, v12, v13
	s_and_b32 s3, s3, exec_lo
	s_or_b32 s8, s8, s3
.LBB1852_143:
	s_or_b32 exec_lo, exec_lo, s4
	v_cndmask_b32_e64 v12, v23, v22, s8
	v_cndmask_b32_e64 v13, v39, v33, s8
	s_mov_b32 s9, -1
	s_mov_b32 s4, -1
	s_mov_b32 s10, exec_lo
	v_add_nc_u32_e32 v14, 1, v12
	s_delay_alu instid0(VALU_DEP_1) | instskip(SKIP_2) | instid1(VALU_DEP_3)
	v_add_min_u32_e64 v13, v13, -1, v14
	v_cndmask_b32_e64 v16, v14, v23, s8
	v_lshl_add_u32 v12, v12, 3, v6
	v_lshl_add_u32 v13, v13, 1, v8
	ds_load_u16 v15, v13
	ds_load_b64 v[12:13], v12 offset:2048
	s_wait_dscnt 0x1
	v_dual_cndmask_b32 v17, v22, v14, s8 :: v_dual_cndmask_b32 v22, v15, v21, s8
	v_cndmask_b32_e64 v23, v20, v15, s8
	v_cmpx_lt_u32_e64 v16, v39
	s_cbranch_execz .LBB1852_147
; %bb.144:
	s_mov_b32 s11, 0
	s_mov_b32 s4, exec_lo
	v_cmpx_lt_u32_e64 v17, v33
	s_cbranch_execz .LBB1852_146
; %bb.145:
	v_add_f16_e32 v14, 0, v23
	v_add_f16_e32 v15, 0, v22
	s_delay_alu instid0(VALU_DEP_2) | instskip(NEXT) | instid1(VALU_DEP_1)
	v_cmp_lt_i16_e64 s3, -1, v14
	v_cndmask_b32_e64 v18, -1, 0xffff8000, s3
	s_delay_alu instid0(VALU_DEP_3) | instskip(NEXT) | instid1(VALU_DEP_2)
	v_cmp_lt_i16_e64 s3, -1, v15
	v_xor_b32_e32 v14, v18, v14
	s_delay_alu instid0(VALU_DEP_2) | instskip(NEXT) | instid1(VALU_DEP_1)
	v_cndmask_b32_e64 v19, -1, 0xffff8000, s3
	v_xor_b32_e32 v15, v19, v15
	s_delay_alu instid0(VALU_DEP_1)
	v_cmp_le_u16_e64 s3, v14, v15
	s_and_b32 s11, s3, exec_lo
.LBB1852_146:
	s_or_b32 exec_lo, exec_lo, s4
	s_delay_alu instid0(SALU_CYCLE_1)
	s_or_not1_b32 s4, s11, exec_lo
.LBB1852_147:
	s_or_b32 exec_lo, exec_lo, s10
	v_cndmask_b32_e64 v14, v16, v17, s4
	v_cndmask_b32_e64 v15, v39, v33, s4
	s_mov_b32 s10, exec_lo
	s_delay_alu instid0(VALU_DEP_2) | instskip(NEXT) | instid1(VALU_DEP_1)
	v_add_nc_u32_e32 v19, 1, v14
	v_add_min_u32_e64 v15, v15, -1, v19
	v_cndmask_b32_e64 v18, v19, v16, s4
	v_lshl_add_u32 v14, v14, 3, v6
	s_delay_alu instid0(VALU_DEP_3)
	v_lshl_add_u32 v15, v15, 1, v8
	ds_load_u16 v36, v15
	ds_load_b64 v[14:15], v14 offset:2048
	s_wait_dscnt 0x1
	v_dual_cndmask_b32 v19, v17, v19, s4 :: v_dual_cndmask_b32 v35, v36, v22, s4
	v_cndmask_b32_e64 v36, v23, v36, s4
	v_cmpx_lt_u32_e64 v18, v39
	s_cbranch_execz .LBB1852_151
; %bb.148:
	s_mov_b32 s11, 0
	s_mov_b32 s9, exec_lo
	v_cmpx_lt_u32_e64 v19, v33
	s_cbranch_execz .LBB1852_150
; %bb.149:
	v_add_f16_e32 v16, 0, v36
	v_add_f16_e32 v17, 0, v35
	s_delay_alu instid0(VALU_DEP_2) | instskip(NEXT) | instid1(VALU_DEP_1)
	v_cmp_lt_i16_e64 s3, -1, v16
	v_cndmask_b32_e64 v37, -1, 0xffff8000, s3
	s_delay_alu instid0(VALU_DEP_3) | instskip(NEXT) | instid1(VALU_DEP_2)
	v_cmp_lt_i16_e64 s3, -1, v17
	v_xor_b32_e32 v16, v37, v16
	s_delay_alu instid0(VALU_DEP_2) | instskip(NEXT) | instid1(VALU_DEP_1)
	v_cndmask_b32_e64 v38, -1, 0xffff8000, s3
	v_xor_b32_e32 v17, v38, v17
	s_delay_alu instid0(VALU_DEP_1)
	v_cmp_le_u16_e64 s3, v16, v17
	s_and_b32 s11, s3, exec_lo
.LBB1852_150:
	s_or_b32 exec_lo, exec_lo, s9
	s_delay_alu instid0(SALU_CYCLE_1)
	s_or_not1_b32 s9, s11, exec_lo
.LBB1852_151:
	s_or_b32 exec_lo, exec_lo, s10
	v_dual_cndmask_b32 v16, v18, v19, s9 :: v_dual_cndmask_b32 v17, v39, v33, s9
	s_mov_b32 s11, -1
	s_mov_b32 s10, exec_lo
	s_delay_alu instid0(VALU_DEP_1) | instskip(SKIP_1) | instid1(VALU_DEP_2)
	v_add_nc_u32_e32 v37, 1, v16
	v_lshl_add_u32 v16, v16, 3, v6
	v_add_min_u32_e64 v17, v17, -1, v37
	s_delay_alu instid0(VALU_DEP_1)
	v_lshl_add_u32 v17, v17, 1, v8
	ds_load_u16 v38, v17
	ds_load_b64 v[16:17], v16 offset:2048
	s_wait_dscnt 0x1
	v_dual_cndmask_b32 v48, v38, v35, s9 :: v_dual_cndmask_b32 v18, v37, v18, s9
	v_dual_cndmask_b32 v19, v19, v37, s9 :: v_dual_cndmask_b32 v49, v36, v38, s9
	s_delay_alu instid0(VALU_DEP_2)
	v_cmpx_lt_u32_e64 v18, v39
	s_cbranch_execz .LBB1852_155
; %bb.152:
	s_mov_b32 s12, 0
	s_mov_b32 s11, exec_lo
	v_cmpx_lt_u32_e64 v19, v33
	s_cbranch_execz .LBB1852_154
; %bb.153:
	v_add_f16_e32 v33, 0, v49
	v_add_f16_e32 v37, 0, v48
	s_delay_alu instid0(VALU_DEP_2) | instskip(NEXT) | instid1(VALU_DEP_1)
	v_cmp_lt_i16_e64 s3, -1, v33
	v_cndmask_b32_e64 v38, -1, 0xffff8000, s3
	s_delay_alu instid0(VALU_DEP_3) | instskip(NEXT) | instid1(VALU_DEP_2)
	v_cmp_lt_i16_e64 s3, -1, v37
	v_xor_b32_e32 v33, v38, v33
	s_delay_alu instid0(VALU_DEP_2) | instskip(NEXT) | instid1(VALU_DEP_1)
	v_cndmask_b32_e64 v39, -1, 0xffff8000, s3
	v_xor_b32_e32 v37, v39, v37
	s_delay_alu instid0(VALU_DEP_1)
	v_cmp_le_u16_e64 s3, v33, v37
	s_and_b32 s12, s3, exec_lo
.LBB1852_154:
	s_or_b32 exec_lo, exec_lo, s11
	s_delay_alu instid0(SALU_CYCLE_1)
	s_or_not1_b32 s11, s12, exec_lo
.LBB1852_155:
	s_or_b32 exec_lo, exec_lo, s10
	s_delay_alu instid0(VALU_DEP_2) | instskip(SKIP_2) | instid1(VALU_DEP_3)
	v_dual_cndmask_b32 v18, v18, v19, s11 :: v_dual_cndmask_b32 v38, v35, v36, s9
	v_dual_cndmask_b32 v36, v22, v23, s4 :: v_dual_cndmask_b32 v37, v21, v20, s8
	v_cndmask_b32_e64 v35, v48, v49, s11
	v_lshl_add_u32 v18, v18, 3, v6
	ds_load_b64 v[18:19], v18 offset:2048
.LBB1852_156:
	s_or_b32 exec_lo, exec_lo, s5
	v_and_b32_e32 v48, 0x70, v34
	s_mov_b32 s4, exec_lo
	; wave barrier
	ds_store_b16 v3, v37
	ds_store_b64 v27, v[12:13]
	v_or_b32_e32 v20, 8, v48
	ds_store_b16 v7, v36
	ds_store_b64 v24, v[14:15]
	ds_store_b16 v25, v38
	s_wait_dscnt 0x6
	ds_store_b64 v31, v[16:17]
	ds_store_b16 v26, v35
	s_wait_dscnt 0x7
	ds_store_b64 v32, v[18:19]
	; wave barrier
	v_min_u32_e32 v33, v1, v20
	v_and_b32_e32 v20, 12, v34
	s_delay_alu instid0(VALU_DEP_2) | instskip(NEXT) | instid1(VALU_DEP_2)
	v_add_min_u32_e64 v39, v33, 8, v1
	v_min_u32_e32 v49, v1, v20
	s_delay_alu instid0(VALU_DEP_2) | instskip(NEXT) | instid1(VALU_DEP_1)
	v_dual_sub_nc_u32 v21, v33, v48 :: v_dual_sub_nc_u32 v20, v39, v33
	v_min_u32_e32 v51, v49, v21
	s_delay_alu instid0(VALU_DEP_2) | instskip(NEXT) | instid1(VALU_DEP_1)
	v_sub_nc_u32_e64 v50, v49, v20 clamp
	v_cmpx_lt_u32_e64 v50, v51
	s_cbranch_execz .LBB1852_160
; %bb.157:
	v_dual_mov_b32 v23, 0 :: v_dual_lshlrev_b32 v22, 1, v48
	s_mov_b32 s5, 0
	s_delay_alu instid0(VALU_DEP_1) | instskip(SKIP_1) | instid1(VALU_DEP_1)
	v_add_nc_u64_e32 v[20:21], v[8:9], v[22:23]
	v_lshlrev_b32_e32 v22, 1, v33
	v_add_nc_u64_e32 v[22:23], v[8:9], v[22:23]
.LBB1852_158:                           ; =>This Inner Loop Header: Depth=1
	v_add_nc_u32_e32 v21, v51, v50
	s_delay_alu instid0(VALU_DEP_1) | instskip(NEXT) | instid1(VALU_DEP_1)
	v_dual_lshrrev_b32 v23, 1, v21 :: v_dual_bitop2_b32 v21, -2, v21 bitop3:0x40
	v_xad_u32 v52, v23, -1, v49
	s_delay_alu instid0(VALU_DEP_2) | instskip(NEXT) | instid1(VALU_DEP_2)
	v_add_nc_u32_e32 v21, v20, v21
	v_lshl_add_u32 v52, v52, 1, v22
	ds_load_u16 v21, v21
	ds_load_u16 v52, v52
	s_wait_dscnt 0x1
	v_add_f16_e32 v21, 0, v21
	s_wait_dscnt 0x0
	v_add_f16_e32 v52, 0, v52
	s_delay_alu instid0(VALU_DEP_2) | instskip(NEXT) | instid1(VALU_DEP_1)
	v_cmp_lt_i16_e64 s3, -1, v21
	v_cndmask_b32_e64 v53, -1, 0xffff8000, s3
	s_delay_alu instid0(VALU_DEP_3) | instskip(NEXT) | instid1(VALU_DEP_2)
	v_cmp_lt_i16_e64 s3, -1, v52
	v_xor_b32_e32 v21, v53, v21
	s_delay_alu instid0(VALU_DEP_2) | instskip(NEXT) | instid1(VALU_DEP_1)
	v_cndmask_b32_e64 v54, -1, 0xffff8000, s3
	v_dual_add_nc_u32 v53, 1, v23 :: v_dual_bitop2_b32 v52, v54, v52 bitop3:0x14
	s_delay_alu instid0(VALU_DEP_1) | instskip(NEXT) | instid1(VALU_DEP_1)
	v_cmp_gt_u16_e64 s3, v21, v52
	v_dual_cndmask_b32 v51, v51, v23, s3 :: v_dual_cndmask_b32 v50, v53, v50, s3
	s_delay_alu instid0(VALU_DEP_1) | instskip(SKIP_1) | instid1(SALU_CYCLE_1)
	v_cmp_ge_u32_e64 s3, v50, v51
	s_or_b32 s5, s3, s5
	s_and_not1_b32 exec_lo, exec_lo, s5
	s_cbranch_execnz .LBB1852_158
; %bb.159:
	s_or_b32 exec_lo, exec_lo, s5
.LBB1852_160:
	s_delay_alu instid0(SALU_CYCLE_1) | instskip(SKIP_1) | instid1(VALU_DEP_1)
	s_or_b32 exec_lo, exec_lo, s4
	v_dual_add_nc_u32 v20, v33, v49 :: v_dual_add_nc_u32 v22, v50, v48
	v_sub_nc_u32_e32 v23, v20, v50
	s_delay_alu instid0(VALU_DEP_2) | instskip(NEXT) | instid1(VALU_DEP_2)
	v_cmp_le_u32_e64 s3, v22, v33
	v_cmp_le_u32_e64 s4, v23, v39
	s_or_b32 s3, s3, s4
	s_delay_alu instid0(SALU_CYCLE_1)
	s_and_saveexec_b32 s5, s3
	s_cbranch_execz .LBB1852_180
; %bb.161:
	v_cmp_ge_u32_e64 s3, v22, v33
	s_mov_b32 s8, exec_lo
                                        ; implicit-def: $vgpr20
	v_cmpx_lt_u32_e64 v22, v33
; %bb.162:
	v_lshl_add_u32 v12, v22, 1, v8
	ds_load_u16 v20, v12
; %bb.163:
	s_or_b32 exec_lo, exec_lo, s8
	v_cmp_ge_u32_e64 s8, v23, v39
	s_mov_b32 s9, exec_lo
                                        ; implicit-def: $vgpr21
	v_cmpx_lt_u32_e64 v23, v39
; %bb.164:
	v_lshl_add_u32 v12, v23, 1, v8
	ds_load_u16 v21, v12
; %bb.165:
	s_or_b32 exec_lo, exec_lo, s9
	s_nor_b32 s3, s3, s8
	s_delay_alu instid0(SALU_CYCLE_1)
	s_and_saveexec_b32 s4, s3
	s_cbranch_execz .LBB1852_167
; %bb.166:
	s_wait_dscnt 0x0
	v_add_f16_e32 v12, 0, v20
	v_add_f16_e32 v13, 0, v21
	s_and_not1_b32 s8, s8, exec_lo
	s_delay_alu instid0(VALU_DEP_2) | instskip(NEXT) | instid1(VALU_DEP_1)
	v_cmp_lt_i16_e64 s3, -1, v12
	v_cndmask_b32_e64 v14, -1, 0xffff8000, s3
	s_delay_alu instid0(VALU_DEP_3) | instskip(NEXT) | instid1(VALU_DEP_2)
	v_cmp_lt_i16_e64 s3, -1, v13
	v_xor_b32_e32 v12, v14, v12
	s_delay_alu instid0(VALU_DEP_2) | instskip(NEXT) | instid1(VALU_DEP_1)
	v_cndmask_b32_e64 v15, -1, 0xffff8000, s3
	v_xor_b32_e32 v13, v15, v13
	s_delay_alu instid0(VALU_DEP_1) | instskip(SKIP_1) | instid1(SALU_CYCLE_1)
	v_cmp_le_u16_e64 s3, v12, v13
	s_and_b32 s3, s3, exec_lo
	s_or_b32 s8, s8, s3
.LBB1852_167:
	s_or_b32 exec_lo, exec_lo, s4
	v_cndmask_b32_e64 v12, v23, v22, s8
	v_cndmask_b32_e64 v13, v39, v33, s8
	s_mov_b32 s9, -1
	s_mov_b32 s4, -1
	s_mov_b32 s10, exec_lo
	v_add_nc_u32_e32 v14, 1, v12
	s_delay_alu instid0(VALU_DEP_1) | instskip(SKIP_2) | instid1(VALU_DEP_3)
	v_add_min_u32_e64 v13, v13, -1, v14
	v_cndmask_b32_e64 v16, v14, v23, s8
	v_lshl_add_u32 v12, v12, 3, v6
	v_lshl_add_u32 v13, v13, 1, v8
	ds_load_u16 v15, v13
	ds_load_b64 v[12:13], v12 offset:2048
	s_wait_dscnt 0x1
	v_dual_cndmask_b32 v17, v22, v14, s8 :: v_dual_cndmask_b32 v22, v15, v21, s8
	v_cndmask_b32_e64 v23, v20, v15, s8
	v_cmpx_lt_u32_e64 v16, v39
	s_cbranch_execz .LBB1852_171
; %bb.168:
	s_mov_b32 s11, 0
	s_mov_b32 s4, exec_lo
	v_cmpx_lt_u32_e64 v17, v33
	s_cbranch_execz .LBB1852_170
; %bb.169:
	v_add_f16_e32 v14, 0, v23
	v_add_f16_e32 v15, 0, v22
	s_delay_alu instid0(VALU_DEP_2) | instskip(NEXT) | instid1(VALU_DEP_1)
	v_cmp_lt_i16_e64 s3, -1, v14
	v_cndmask_b32_e64 v18, -1, 0xffff8000, s3
	s_delay_alu instid0(VALU_DEP_3) | instskip(NEXT) | instid1(VALU_DEP_2)
	v_cmp_lt_i16_e64 s3, -1, v15
	v_xor_b32_e32 v14, v18, v14
	s_delay_alu instid0(VALU_DEP_2) | instskip(NEXT) | instid1(VALU_DEP_1)
	v_cndmask_b32_e64 v19, -1, 0xffff8000, s3
	v_xor_b32_e32 v15, v19, v15
	s_delay_alu instid0(VALU_DEP_1)
	v_cmp_le_u16_e64 s3, v14, v15
	s_and_b32 s11, s3, exec_lo
.LBB1852_170:
	s_or_b32 exec_lo, exec_lo, s4
	s_delay_alu instid0(SALU_CYCLE_1)
	s_or_not1_b32 s4, s11, exec_lo
.LBB1852_171:
	s_or_b32 exec_lo, exec_lo, s10
	v_cndmask_b32_e64 v14, v16, v17, s4
	v_cndmask_b32_e64 v15, v39, v33, s4
	s_mov_b32 s10, exec_lo
	s_delay_alu instid0(VALU_DEP_2) | instskip(NEXT) | instid1(VALU_DEP_1)
	v_add_nc_u32_e32 v19, 1, v14
	v_add_min_u32_e64 v15, v15, -1, v19
	v_cndmask_b32_e64 v18, v19, v16, s4
	v_lshl_add_u32 v14, v14, 3, v6
	s_delay_alu instid0(VALU_DEP_3)
	v_lshl_add_u32 v15, v15, 1, v8
	ds_load_u16 v36, v15
	ds_load_b64 v[14:15], v14 offset:2048
	s_wait_dscnt 0x1
	v_dual_cndmask_b32 v19, v17, v19, s4 :: v_dual_cndmask_b32 v35, v36, v22, s4
	v_cndmask_b32_e64 v36, v23, v36, s4
	v_cmpx_lt_u32_e64 v18, v39
	s_cbranch_execz .LBB1852_175
; %bb.172:
	s_mov_b32 s11, 0
	s_mov_b32 s9, exec_lo
	v_cmpx_lt_u32_e64 v19, v33
	s_cbranch_execz .LBB1852_174
; %bb.173:
	v_add_f16_e32 v16, 0, v36
	v_add_f16_e32 v17, 0, v35
	s_delay_alu instid0(VALU_DEP_2) | instskip(NEXT) | instid1(VALU_DEP_1)
	v_cmp_lt_i16_e64 s3, -1, v16
	v_cndmask_b32_e64 v37, -1, 0xffff8000, s3
	s_delay_alu instid0(VALU_DEP_3) | instskip(NEXT) | instid1(VALU_DEP_2)
	v_cmp_lt_i16_e64 s3, -1, v17
	v_xor_b32_e32 v16, v37, v16
	s_delay_alu instid0(VALU_DEP_2) | instskip(NEXT) | instid1(VALU_DEP_1)
	v_cndmask_b32_e64 v38, -1, 0xffff8000, s3
	v_xor_b32_e32 v17, v38, v17
	s_delay_alu instid0(VALU_DEP_1)
	v_cmp_le_u16_e64 s3, v16, v17
	s_and_b32 s11, s3, exec_lo
.LBB1852_174:
	s_or_b32 exec_lo, exec_lo, s9
	s_delay_alu instid0(SALU_CYCLE_1)
	s_or_not1_b32 s9, s11, exec_lo
.LBB1852_175:
	s_or_b32 exec_lo, exec_lo, s10
	v_dual_cndmask_b32 v16, v18, v19, s9 :: v_dual_cndmask_b32 v17, v39, v33, s9
	s_mov_b32 s11, -1
	s_mov_b32 s10, exec_lo
	s_delay_alu instid0(VALU_DEP_1) | instskip(SKIP_1) | instid1(VALU_DEP_2)
	v_add_nc_u32_e32 v37, 1, v16
	v_lshl_add_u32 v16, v16, 3, v6
	v_add_min_u32_e64 v17, v17, -1, v37
	s_delay_alu instid0(VALU_DEP_1)
	v_lshl_add_u32 v17, v17, 1, v8
	ds_load_u16 v38, v17
	ds_load_b64 v[16:17], v16 offset:2048
	s_wait_dscnt 0x1
	v_dual_cndmask_b32 v48, v38, v35, s9 :: v_dual_cndmask_b32 v18, v37, v18, s9
	v_dual_cndmask_b32 v19, v19, v37, s9 :: v_dual_cndmask_b32 v49, v36, v38, s9
	s_delay_alu instid0(VALU_DEP_2)
	v_cmpx_lt_u32_e64 v18, v39
	s_cbranch_execz .LBB1852_179
; %bb.176:
	s_mov_b32 s12, 0
	s_mov_b32 s11, exec_lo
	v_cmpx_lt_u32_e64 v19, v33
	s_cbranch_execz .LBB1852_178
; %bb.177:
	v_add_f16_e32 v33, 0, v49
	v_add_f16_e32 v37, 0, v48
	s_delay_alu instid0(VALU_DEP_2) | instskip(NEXT) | instid1(VALU_DEP_1)
	v_cmp_lt_i16_e64 s3, -1, v33
	v_cndmask_b32_e64 v38, -1, 0xffff8000, s3
	s_delay_alu instid0(VALU_DEP_3) | instskip(NEXT) | instid1(VALU_DEP_2)
	v_cmp_lt_i16_e64 s3, -1, v37
	v_xor_b32_e32 v33, v38, v33
	s_delay_alu instid0(VALU_DEP_2) | instskip(NEXT) | instid1(VALU_DEP_1)
	v_cndmask_b32_e64 v39, -1, 0xffff8000, s3
	v_xor_b32_e32 v37, v39, v37
	s_delay_alu instid0(VALU_DEP_1)
	v_cmp_le_u16_e64 s3, v33, v37
	s_and_b32 s12, s3, exec_lo
.LBB1852_178:
	s_or_b32 exec_lo, exec_lo, s11
	s_delay_alu instid0(SALU_CYCLE_1)
	s_or_not1_b32 s11, s12, exec_lo
.LBB1852_179:
	s_or_b32 exec_lo, exec_lo, s10
	s_delay_alu instid0(VALU_DEP_2) | instskip(SKIP_2) | instid1(VALU_DEP_3)
	v_dual_cndmask_b32 v18, v18, v19, s11 :: v_dual_cndmask_b32 v38, v35, v36, s9
	v_dual_cndmask_b32 v36, v22, v23, s4 :: v_dual_cndmask_b32 v37, v21, v20, s8
	v_cndmask_b32_e64 v35, v48, v49, s11
	v_lshl_add_u32 v18, v18, 3, v6
	ds_load_b64 v[18:19], v18 offset:2048
.LBB1852_180:
	s_or_b32 exec_lo, exec_lo, s5
	v_and_b32_e32 v39, 0x60, v34
	; wave barrier
	ds_store_b16 v3, v37
	ds_store_b64 v27, v[12:13]
	s_mov_b32 s4, exec_lo
	v_or_b32_e32 v20, 16, v39
	ds_store_b16 v7, v36
	ds_store_b64 v24, v[14:15]
	ds_store_b16 v25, v38
	s_wait_dscnt 0x6
	ds_store_b64 v31, v[16:17]
	ds_store_b16 v26, v35
	s_wait_dscnt 0x7
	ds_store_b64 v32, v[18:19]
	; wave barrier
	v_min_u32_e32 v33, v1, v20
	s_delay_alu instid0(VALU_DEP_1) | instskip(SKIP_1) | instid1(VALU_DEP_2)
	v_add_min_u32_e64 v34, v33, 16, v1
	v_min_u32_e32 v1, v1, v30
	v_dual_sub_nc_u32 v21, v33, v39 :: v_dual_sub_nc_u32 v20, v34, v33
	s_delay_alu instid0(VALU_DEP_1) | instskip(NEXT) | instid1(VALU_DEP_2)
	v_min_u32_e32 v27, v1, v21
	v_sub_nc_u32_e64 v3, v1, v20 clamp
	s_delay_alu instid0(VALU_DEP_1)
	v_cmpx_lt_u32_e64 v3, v27
	s_cbranch_execz .LBB1852_184
; %bb.181:
	v_dual_mov_b32 v23, 0 :: v_dual_lshlrev_b32 v22, 1, v39
	s_mov_b32 s5, 0
	s_delay_alu instid0(VALU_DEP_1) | instskip(SKIP_1) | instid1(VALU_DEP_1)
	v_add_nc_u64_e32 v[20:21], v[8:9], v[22:23]
	v_lshlrev_b32_e32 v22, 1, v33
	v_add_nc_u64_e32 v[22:23], v[8:9], v[22:23]
.LBB1852_182:                           ; =>This Inner Loop Header: Depth=1
	v_add_nc_u32_e32 v7, v27, v3
	s_delay_alu instid0(VALU_DEP_1) | instskip(NEXT) | instid1(VALU_DEP_1)
	v_dual_lshrrev_b32 v9, 1, v7 :: v_dual_bitop2_b32 v7, -2, v7 bitop3:0x40
	v_xad_u32 v21, v9, -1, v1
	s_delay_alu instid0(VALU_DEP_2) | instskip(NEXT) | instid1(VALU_DEP_2)
	v_add_nc_u32_e32 v7, v20, v7
	v_lshl_add_u32 v21, v21, 1, v22
	ds_load_u16 v7, v7
	ds_load_u16 v21, v21
	s_wait_dscnt 0x1
	v_add_f16_e32 v7, 0, v7
	s_wait_dscnt 0x0
	v_add_f16_e32 v21, 0, v21
	s_delay_alu instid0(VALU_DEP_2) | instskip(NEXT) | instid1(VALU_DEP_1)
	v_cmp_lt_i16_e64 s3, -1, v7
	v_cndmask_b32_e64 v23, -1, 0xffff8000, s3
	s_delay_alu instid0(VALU_DEP_3) | instskip(NEXT) | instid1(VALU_DEP_2)
	v_cmp_lt_i16_e64 s3, -1, v21
	v_xor_b32_e32 v7, v23, v7
	s_delay_alu instid0(VALU_DEP_2) | instskip(SKIP_1) | instid1(VALU_DEP_2)
	v_cndmask_b32_e64 v24, -1, 0xffff8000, s3
	v_add_nc_u32_e32 v23, 1, v9
	v_xor_b32_e32 v21, v24, v21
	s_delay_alu instid0(VALU_DEP_1) | instskip(NEXT) | instid1(VALU_DEP_1)
	v_cmp_gt_u16_e64 s3, v7, v21
	v_cndmask_b32_e64 v27, v27, v9, s3
	s_delay_alu instid0(VALU_DEP_4) | instskip(NEXT) | instid1(VALU_DEP_1)
	v_cndmask_b32_e64 v3, v23, v3, s3
	v_cmp_ge_u32_e64 s3, v3, v27
	s_or_b32 s5, s3, s5
	s_delay_alu instid0(SALU_CYCLE_1)
	s_and_not1_b32 exec_lo, exec_lo, s5
	s_cbranch_execnz .LBB1852_182
; %bb.183:
	s_or_b32 exec_lo, exec_lo, s5
.LBB1852_184:
	s_delay_alu instid0(SALU_CYCLE_1) | instskip(SKIP_1) | instid1(VALU_DEP_1)
	s_or_b32 exec_lo, exec_lo, s4
	v_dual_add_nc_u32 v1, v33, v1 :: v_dual_add_nc_u32 v7, v3, v39
	v_sub_nc_u32_e32 v9, v1, v3
	s_delay_alu instid0(VALU_DEP_2) | instskip(NEXT) | instid1(VALU_DEP_2)
	v_cmp_le_u32_e64 s3, v7, v33
	v_cmp_le_u32_e64 s4, v9, v34
	s_or_b32 s3, s3, s4
	s_delay_alu instid0(SALU_CYCLE_1)
	s_and_saveexec_b32 s5, s3
	s_cbranch_execz .LBB1852_204
; %bb.185:
	v_cmp_ge_u32_e64 s3, v7, v33
	s_mov_b32 s8, exec_lo
                                        ; implicit-def: $vgpr1
	v_cmpx_lt_u32_e64 v7, v33
; %bb.186:
	v_lshl_add_u32 v1, v7, 1, v8
	ds_load_u16 v1, v1
; %bb.187:
	s_or_b32 exec_lo, exec_lo, s8
	v_cmp_ge_u32_e64 s8, v9, v34
	s_mov_b32 s9, exec_lo
                                        ; implicit-def: $vgpr3
	v_cmpx_lt_u32_e64 v9, v34
; %bb.188:
	v_lshl_add_u32 v3, v9, 1, v8
	ds_load_u16 v3, v3
; %bb.189:
	s_or_b32 exec_lo, exec_lo, s9
	s_nor_b32 s3, s3, s8
	s_delay_alu instid0(SALU_CYCLE_1)
	s_and_saveexec_b32 s4, s3
	s_cbranch_execz .LBB1852_191
; %bb.190:
	s_wait_dscnt 0x0
	v_add_f16_e32 v12, 0, v1
	v_add_f16_e32 v13, 0, v3
	s_and_not1_b32 s8, s8, exec_lo
	s_delay_alu instid0(VALU_DEP_2) | instskip(NEXT) | instid1(VALU_DEP_1)
	v_cmp_lt_i16_e64 s3, -1, v12
	v_cndmask_b32_e64 v14, -1, 0xffff8000, s3
	s_delay_alu instid0(VALU_DEP_3) | instskip(NEXT) | instid1(VALU_DEP_2)
	v_cmp_lt_i16_e64 s3, -1, v13
	v_xor_b32_e32 v12, v14, v12
	s_delay_alu instid0(VALU_DEP_2) | instskip(NEXT) | instid1(VALU_DEP_1)
	v_cndmask_b32_e64 v15, -1, 0xffff8000, s3
	v_xor_b32_e32 v13, v15, v13
	s_delay_alu instid0(VALU_DEP_1) | instskip(SKIP_1) | instid1(SALU_CYCLE_1)
	v_cmp_le_u16_e64 s3, v12, v13
	s_and_b32 s3, s3, exec_lo
	s_or_b32 s8, s8, s3
.LBB1852_191:
	s_or_b32 exec_lo, exec_lo, s4
	v_dual_cndmask_b32 v12, v9, v7, s8 :: v_dual_cndmask_b32 v13, v34, v33, s8
	s_mov_b32 s9, -1
	s_mov_b32 s4, -1
	s_mov_b32 s10, exec_lo
	s_delay_alu instid0(VALU_DEP_1) | instskip(SKIP_1) | instid1(VALU_DEP_2)
	v_add_nc_u32_e32 v14, 1, v12
	v_lshl_add_u32 v12, v12, 3, v6
	v_add_min_u32_e64 v13, v13, -1, v14
	v_cndmask_b32_e64 v17, v7, v14, s8
	s_delay_alu instid0(VALU_DEP_2)
	v_lshl_add_u32 v13, v13, 1, v8
	ds_load_u16 v15, v13
	ds_load_b64 v[12:13], v12 offset:2048
	s_wait_dscnt 0x1
	v_dual_cndmask_b32 v7, v15, v3, s8 :: v_dual_cndmask_b32 v16, v14, v9, s8
	v_cndmask_b32_e64 v9, v1, v15, s8
	s_delay_alu instid0(VALU_DEP_2)
	v_cmpx_lt_u32_e64 v16, v34
	s_cbranch_execz .LBB1852_195
; %bb.192:
	s_mov_b32 s11, 0
	s_mov_b32 s4, exec_lo
	v_cmpx_lt_u32_e64 v17, v33
	s_cbranch_execz .LBB1852_194
; %bb.193:
	v_add_f16_e32 v14, 0, v9
	v_add_f16_e32 v15, 0, v7
	s_delay_alu instid0(VALU_DEP_2) | instskip(NEXT) | instid1(VALU_DEP_1)
	v_cmp_lt_i16_e64 s3, -1, v14
	v_cndmask_b32_e64 v18, -1, 0xffff8000, s3
	s_delay_alu instid0(VALU_DEP_3) | instskip(NEXT) | instid1(VALU_DEP_2)
	v_cmp_lt_i16_e64 s3, -1, v15
	v_xor_b32_e32 v14, v18, v14
	s_delay_alu instid0(VALU_DEP_2) | instskip(NEXT) | instid1(VALU_DEP_1)
	v_cndmask_b32_e64 v19, -1, 0xffff8000, s3
	v_xor_b32_e32 v15, v19, v15
	s_delay_alu instid0(VALU_DEP_1)
	v_cmp_le_u16_e64 s3, v14, v15
	s_and_b32 s11, s3, exec_lo
.LBB1852_194:
	s_or_b32 exec_lo, exec_lo, s4
	s_delay_alu instid0(SALU_CYCLE_1)
	s_or_not1_b32 s4, s11, exec_lo
.LBB1852_195:
	s_or_b32 exec_lo, exec_lo, s10
	v_cndmask_b32_e64 v14, v16, v17, s4
	v_cndmask_b32_e64 v15, v34, v33, s4
	s_mov_b32 s10, exec_lo
	s_delay_alu instid0(VALU_DEP_2) | instskip(NEXT) | instid1(VALU_DEP_1)
	v_add_nc_u32_e32 v19, 1, v14
	v_add_min_u32_e64 v15, v15, -1, v19
	v_cndmask_b32_e64 v18, v19, v16, s4
	v_lshl_add_u32 v14, v14, 3, v6
	v_cndmask_b32_e64 v19, v17, v19, s4
	s_delay_alu instid0(VALU_DEP_4)
	v_lshl_add_u32 v15, v15, 1, v8
	ds_load_u16 v21, v15
	ds_load_b64 v[14:15], v14 offset:2048
	s_wait_dscnt 0x1
	v_cndmask_b32_e64 v20, v21, v7, s4
	v_cndmask_b32_e64 v21, v9, v21, s4
	v_cmpx_lt_u32_e64 v18, v34
	s_cbranch_execz .LBB1852_199
; %bb.196:
	s_mov_b32 s11, 0
	s_mov_b32 s9, exec_lo
	v_cmpx_lt_u32_e64 v19, v33
	s_cbranch_execz .LBB1852_198
; %bb.197:
	v_add_f16_e32 v16, 0, v21
	v_add_f16_e32 v17, 0, v20
	s_delay_alu instid0(VALU_DEP_2) | instskip(NEXT) | instid1(VALU_DEP_1)
	v_cmp_lt_i16_e64 s3, -1, v16
	v_cndmask_b32_e64 v22, -1, 0xffff8000, s3
	s_delay_alu instid0(VALU_DEP_3) | instskip(NEXT) | instid1(VALU_DEP_2)
	v_cmp_lt_i16_e64 s3, -1, v17
	v_xor_b32_e32 v16, v22, v16
	s_delay_alu instid0(VALU_DEP_2) | instskip(NEXT) | instid1(VALU_DEP_1)
	v_cndmask_b32_e64 v23, -1, 0xffff8000, s3
	v_xor_b32_e32 v17, v23, v17
	s_delay_alu instid0(VALU_DEP_1)
	v_cmp_le_u16_e64 s3, v16, v17
	s_and_b32 s11, s3, exec_lo
.LBB1852_198:
	s_or_b32 exec_lo, exec_lo, s9
	s_delay_alu instid0(SALU_CYCLE_1)
	s_or_not1_b32 s9, s11, exec_lo
.LBB1852_199:
	s_or_b32 exec_lo, exec_lo, s10
	v_cndmask_b32_e64 v16, v18, v19, s9
	v_cndmask_b32_e64 v17, v34, v33, s9
	s_mov_b32 s11, -1
	s_mov_b32 s10, exec_lo
	s_delay_alu instid0(VALU_DEP_2) | instskip(NEXT) | instid1(VALU_DEP_1)
	v_add_nc_u32_e32 v22, 1, v16
	v_add_min_u32_e64 v17, v17, -1, v22
	v_cndmask_b32_e64 v19, v19, v22, s9
	s_delay_alu instid0(VALU_DEP_2)
	v_lshl_add_u32 v8, v17, 1, v8
	ds_load_u16 v23, v8
	v_lshl_add_u32 v8, v16, 3, v6
	v_cndmask_b32_e64 v18, v22, v18, s9
	ds_load_b64 v[16:17], v8 offset:2048
	s_wait_dscnt 0x1
	v_dual_cndmask_b32 v8, v23, v20, s9 :: v_dual_cndmask_b32 v22, v21, v23, s9
	v_cmpx_lt_u32_e64 v18, v34
	s_cbranch_execz .LBB1852_203
; %bb.200:
	s_mov_b32 s12, 0
	s_mov_b32 s11, exec_lo
	v_cmpx_lt_u32_e64 v19, v33
	s_cbranch_execz .LBB1852_202
; %bb.201:
	v_add_f16_e32 v23, 0, v22
	v_add_f16_e32 v24, 0, v8
	s_delay_alu instid0(VALU_DEP_2) | instskip(NEXT) | instid1(VALU_DEP_1)
	v_cmp_lt_i16_e64 s3, -1, v23
	v_cndmask_b32_e64 v25, -1, 0xffff8000, s3
	s_delay_alu instid0(VALU_DEP_3) | instskip(NEXT) | instid1(VALU_DEP_2)
	v_cmp_lt_i16_e64 s3, -1, v24
	v_xor_b32_e32 v23, v25, v23
	s_delay_alu instid0(VALU_DEP_2) | instskip(NEXT) | instid1(VALU_DEP_1)
	v_cndmask_b32_e64 v26, -1, 0xffff8000, s3
	v_xor_b32_e32 v24, v26, v24
	s_delay_alu instid0(VALU_DEP_1)
	v_cmp_le_u16_e64 s3, v23, v24
	s_and_b32 s12, s3, exec_lo
.LBB1852_202:
	s_or_b32 exec_lo, exec_lo, s11
	s_delay_alu instid0(SALU_CYCLE_1)
	s_or_not1_b32 s11, s12, exec_lo
.LBB1852_203:
	s_or_b32 exec_lo, exec_lo, s10
	v_dual_cndmask_b32 v18, v18, v19, s11 :: v_dual_cndmask_b32 v38, v20, v21, s9
	v_dual_cndmask_b32 v36, v7, v9, s4 :: v_dual_cndmask_b32 v35, v8, v22, s11
	v_cndmask_b32_e64 v37, v3, v1, s8
	s_delay_alu instid0(VALU_DEP_3)
	v_lshl_add_u32 v6, v18, 3, v6
	ds_load_b64 v[18:19], v6 offset:2048
.LBB1852_204:
	s_or_b32 exec_lo, exec_lo, s5
	v_lshl_add_u64 v[4:5], v[28:29], 1, v[4:5]
	v_mov_b32_e32 v1, 0
	; wave barrier
	s_wait_storecnt_dscnt 0x0
	s_barrier_signal -1
	s_delay_alu instid0(VALU_DEP_1)
	v_add_nc_u64_e32 v[0:1], v[4:5], v[0:1]
	s_barrier_wait -1
	; wave barrier
	s_and_saveexec_b32 s3, vcc_lo
	s_cbranch_execnz .LBB1852_226
; %bb.205:
	s_or_b32 exec_lo, exec_lo, s3
	s_and_saveexec_b32 s3, s0
	s_cbranch_execnz .LBB1852_227
.LBB1852_206:
	s_or_b32 exec_lo, exec_lo, s3
	s_and_saveexec_b32 s3, s2
	s_cbranch_execnz .LBB1852_228
.LBB1852_207:
	s_or_b32 exec_lo, exec_lo, s3
	s_and_saveexec_b32 s3, s1
	s_cbranch_execz .LBB1852_209
.LBB1852_208:
	flat_store_b16 v[0:1], v35 offset:6
.LBB1852_209:
	s_wait_xcnt 0x0
	s_or_b32 exec_lo, exec_lo, s3
	v_lshl_add_u64 v[0:1], v[28:29], 3, v[10:11]
	v_mov_b32_e32 v3, 0
	; wave barrier
	s_delay_alu instid0(VALU_DEP_1)
	v_add_nc_u64_e32 v[0:1], v[0:1], v[2:3]
	s_and_saveexec_b32 s3, vcc_lo
	s_cbranch_execnz .LBB1852_229
; %bb.210:
	s_or_b32 exec_lo, exec_lo, s3
	s_and_saveexec_b32 s3, s0
	s_cbranch_execnz .LBB1852_230
.LBB1852_211:
	s_or_b32 exec_lo, exec_lo, s3
	s_and_saveexec_b32 s0, s2
	s_cbranch_execz .LBB1852_213
.LBB1852_212:
	flat_store_b64 v[0:1], v[16:17] offset:16
.LBB1852_213:
	s_wait_xcnt 0x0
	s_or_b32 exec_lo, exec_lo, s0
	v_mov_b64_e32 v[8:9], v[10:11]
	s_and_not1_b32 s0, s6, exec_lo
	s_and_b32 s1, s1, exec_lo
	s_delay_alu instid0(SALU_CYCLE_1)
	s_or_b32 s6, s0, s1
	s_or_b32 exec_lo, exec_lo, s7
	s_and_saveexec_b32 s0, s6
	s_cbranch_execz .LBB1852_3
.LBB1852_214:
	v_lshl_add_u64 v[0:1], v[28:29], 3, v[8:9]
	v_dual_mov_b32 v3, 0 :: v_dual_lshlrev_b32 v2, 3, v30
	s_delay_alu instid0(VALU_DEP_1)
	v_add_nc_u64_e32 v[0:1], v[0:1], v[2:3]
	flat_store_b64 v[0:1], v[18:19] offset:24
	s_wait_xcnt 0x0
	s_or_b32 exec_lo, exec_lo, s0
	s_wait_dscnt 0x0
	s_set_pc_i64 s[30:31]
.LBB1852_215:
	flat_load_b64 v[12:13], v[6:7]
	v_dual_mov_b32 v14, v5 :: v_dual_mov_b32 v15, v5
	v_dual_mov_b32 v16, v5 :: v_dual_mov_b32 v17, v5
	;; [unrolled: 1-line block ×3, first 2 shown]
	s_wait_xcnt 0x0
	s_or_b32 exec_lo, exec_lo, s3
	s_and_saveexec_b32 s3, s0
	s_cbranch_execz .LBB1852_14
.LBB1852_216:
	flat_load_b64 v[14:15], v[6:7] offset:8
	s_wait_xcnt 0x0
	s_or_b32 exec_lo, exec_lo, s3
	s_and_saveexec_b32 s3, s1
	s_cbranch_execz .LBB1852_15
.LBB1852_217:
	flat_load_b64 v[16:17], v[6:7] offset:16
	s_wait_xcnt 0x0
	s_or_b32 exec_lo, exec_lo, s3
	s_and_saveexec_b32 s3, s2
	s_cbranch_execnz .LBB1852_16
	s_branch .LBB1852_17
.LBB1852_218:
	flat_store_b16 v[0:1], v37
	s_wait_xcnt 0x0
	s_or_b32 exec_lo, exec_lo, s3
	s_and_saveexec_b32 s3, s0
	s_cbranch_execz .LBB1852_101
.LBB1852_219:
	flat_store_b16 v[0:1], v36 offset:2
	s_wait_xcnt 0x0
	s_or_b32 exec_lo, exec_lo, s3
	s_and_saveexec_b32 s3, s1
	s_cbranch_execz .LBB1852_102
.LBB1852_220:
	flat_store_b16 v[0:1], v38 offset:4
	s_wait_xcnt 0x0
	s_or_b32 exec_lo, exec_lo, s3
	s_and_saveexec_b32 s3, s2
	s_cbranch_execnz .LBB1852_103
	s_branch .LBB1852_104
.LBB1852_221:
	flat_store_b64 v[0:1], v[12:13]
	s_wait_xcnt 0x0
	s_or_b32 exec_lo, exec_lo, s3
	s_and_saveexec_b32 s3, s0
	s_cbranch_execz .LBB1852_106
.LBB1852_222:
	flat_store_b64 v[0:1], v[14:15] offset:8
	s_wait_xcnt 0x0
	s_or_b32 exec_lo, exec_lo, s3
	s_and_saveexec_b32 s0, s1
	s_cbranch_execnz .LBB1852_107
	s_branch .LBB1852_108
.LBB1852_223:
	flat_load_b64 v[12:13], v[6:7]
	v_dual_mov_b32 v14, v3 :: v_dual_mov_b32 v15, v3
	v_dual_mov_b32 v16, v3 :: v_dual_mov_b32 v17, v3
	v_dual_mov_b32 v18, v3 :: v_dual_mov_b32 v19, v3
	s_wait_xcnt 0x0
	s_or_b32 exec_lo, exec_lo, s3
	s_and_saveexec_b32 s3, s0
	s_cbranch_execz .LBB1852_119
.LBB1852_224:
	flat_load_b64 v[14:15], v[6:7] offset:8
	s_wait_xcnt 0x0
	s_or_b32 exec_lo, exec_lo, s3
	s_and_saveexec_b32 s3, s2
	s_cbranch_execz .LBB1852_120
.LBB1852_225:
	flat_load_b64 v[16:17], v[6:7] offset:16
	s_wait_xcnt 0x0
	s_or_b32 exec_lo, exec_lo, s3
	s_and_saveexec_b32 s3, s1
	s_cbranch_execnz .LBB1852_121
	s_branch .LBB1852_122
.LBB1852_226:
	flat_store_b16 v[0:1], v37
	s_wait_xcnt 0x0
	s_or_b32 exec_lo, exec_lo, s3
	s_and_saveexec_b32 s3, s0
	s_cbranch_execz .LBB1852_206
.LBB1852_227:
	flat_store_b16 v[0:1], v36 offset:2
	s_wait_xcnt 0x0
	s_or_b32 exec_lo, exec_lo, s3
	s_and_saveexec_b32 s3, s2
	s_cbranch_execz .LBB1852_207
.LBB1852_228:
	flat_store_b16 v[0:1], v38 offset:4
	s_wait_xcnt 0x0
	s_or_b32 exec_lo, exec_lo, s3
	s_and_saveexec_b32 s3, s1
	s_cbranch_execnz .LBB1852_208
	s_branch .LBB1852_209
.LBB1852_229:
	flat_store_b64 v[0:1], v[12:13]
	s_wait_xcnt 0x0
	s_or_b32 exec_lo, exec_lo, s3
	s_and_saveexec_b32 s3, s0
	s_cbranch_execz .LBB1852_211
.LBB1852_230:
	flat_store_b64 v[0:1], v[14:15] offset:8
	s_wait_xcnt 0x0
	s_or_b32 exec_lo, exec_lo, s3
	s_and_saveexec_b32 s0, s2
	s_cbranch_execnz .LBB1852_212
	s_branch .LBB1852_213
.Lfunc_end1852:
	.size	_ZN7rocprim17ROCPRIM_400000_NS6detail26segmented_warp_sort_helperINS1_20WarpSortHelperConfigILj8ELj4ELj256EEE6__halflLi256ELb0EvE4sortIPKS5_PS5_PKlPlEEvT_SA_T0_T1_SD_T2_bjjjjRNS6_12storage_typeE, .Lfunc_end1852-_ZN7rocprim17ROCPRIM_400000_NS6detail26segmented_warp_sort_helperINS1_20WarpSortHelperConfigILj8ELj4ELj256EEE6__halflLi256ELb0EvE4sortIPKS5_PS5_PKlPlEEvT_SA_T0_T1_SD_T2_bjjjjRNS6_12storage_typeE
                                        ; -- End function
	.set .L_ZN7rocprim17ROCPRIM_400000_NS6detail26segmented_warp_sort_helperINS1_20WarpSortHelperConfigILj8ELj4ELj256EEE6__halflLi256ELb0EvE4sortIPKS5_PS5_PKlPlEEvT_SA_T0_T1_SD_T2_bjjjjRNS6_12storage_typeE.num_vgpr, 55
	.set .L_ZN7rocprim17ROCPRIM_400000_NS6detail26segmented_warp_sort_helperINS1_20WarpSortHelperConfigILj8ELj4ELj256EEE6__halflLi256ELb0EvE4sortIPKS5_PS5_PKlPlEEvT_SA_T0_T1_SD_T2_bjjjjRNS6_12storage_typeE.num_agpr, 0
	.set .L_ZN7rocprim17ROCPRIM_400000_NS6detail26segmented_warp_sort_helperINS1_20WarpSortHelperConfigILj8ELj4ELj256EEE6__halflLi256ELb0EvE4sortIPKS5_PS5_PKlPlEEvT_SA_T0_T1_SD_T2_bjjjjRNS6_12storage_typeE.numbered_sgpr, 32
	.set .L_ZN7rocprim17ROCPRIM_400000_NS6detail26segmented_warp_sort_helperINS1_20WarpSortHelperConfigILj8ELj4ELj256EEE6__halflLi256ELb0EvE4sortIPKS5_PS5_PKlPlEEvT_SA_T0_T1_SD_T2_bjjjjRNS6_12storage_typeE.num_named_barrier, 0
	.set .L_ZN7rocprim17ROCPRIM_400000_NS6detail26segmented_warp_sort_helperINS1_20WarpSortHelperConfigILj8ELj4ELj256EEE6__halflLi256ELb0EvE4sortIPKS5_PS5_PKlPlEEvT_SA_T0_T1_SD_T2_bjjjjRNS6_12storage_typeE.private_seg_size, 0
	.set .L_ZN7rocprim17ROCPRIM_400000_NS6detail26segmented_warp_sort_helperINS1_20WarpSortHelperConfigILj8ELj4ELj256EEE6__halflLi256ELb0EvE4sortIPKS5_PS5_PKlPlEEvT_SA_T0_T1_SD_T2_bjjjjRNS6_12storage_typeE.uses_vcc, 1
	.set .L_ZN7rocprim17ROCPRIM_400000_NS6detail26segmented_warp_sort_helperINS1_20WarpSortHelperConfigILj8ELj4ELj256EEE6__halflLi256ELb0EvE4sortIPKS5_PS5_PKlPlEEvT_SA_T0_T1_SD_T2_bjjjjRNS6_12storage_typeE.uses_flat_scratch, 0
	.set .L_ZN7rocprim17ROCPRIM_400000_NS6detail26segmented_warp_sort_helperINS1_20WarpSortHelperConfigILj8ELj4ELj256EEE6__halflLi256ELb0EvE4sortIPKS5_PS5_PKlPlEEvT_SA_T0_T1_SD_T2_bjjjjRNS6_12storage_typeE.has_dyn_sized_stack, 0
	.set .L_ZN7rocprim17ROCPRIM_400000_NS6detail26segmented_warp_sort_helperINS1_20WarpSortHelperConfigILj8ELj4ELj256EEE6__halflLi256ELb0EvE4sortIPKS5_PS5_PKlPlEEvT_SA_T0_T1_SD_T2_bjjjjRNS6_12storage_typeE.has_recursion, 0
	.set .L_ZN7rocprim17ROCPRIM_400000_NS6detail26segmented_warp_sort_helperINS1_20WarpSortHelperConfigILj8ELj4ELj256EEE6__halflLi256ELb0EvE4sortIPKS5_PS5_PKlPlEEvT_SA_T0_T1_SD_T2_bjjjjRNS6_12storage_typeE.has_indirect_call, 0
	.section	.AMDGPU.csdata,"",@progbits
; Function info:
; codeLenInByte = 12348
; TotalNumSgprs: 34
; NumVgprs: 55
; ScratchSize: 0
; MemoryBound: 1
	.section	.text._ZN7rocprim17ROCPRIM_400000_NS6detail17trampoline_kernelINS0_14default_configENS1_36segmented_radix_sort_config_selectorI6__halflEEZNS1_25segmented_radix_sort_implIS3_Lb0EPKS5_PS5_PKlPlN2at6native12_GLOBAL__N_18offset_tEEE10hipError_tPvRmT1_PNSt15iterator_traitsISL_E10value_typeET2_T3_PNSM_ISR_E10value_typeET4_jRbjT5_SX_jjP12ihipStream_tbEUlT_E1_NS1_11comp_targetILNS1_3genE0ELNS1_11target_archE4294967295ELNS1_3gpuE0ELNS1_3repE0EEENS1_59segmented_radix_sort_warp_sort_small_config_static_selectorELNS0_4arch9wavefront6targetE0EEEvSL_,"axG",@progbits,_ZN7rocprim17ROCPRIM_400000_NS6detail17trampoline_kernelINS0_14default_configENS1_36segmented_radix_sort_config_selectorI6__halflEEZNS1_25segmented_radix_sort_implIS3_Lb0EPKS5_PS5_PKlPlN2at6native12_GLOBAL__N_18offset_tEEE10hipError_tPvRmT1_PNSt15iterator_traitsISL_E10value_typeET2_T3_PNSM_ISR_E10value_typeET4_jRbjT5_SX_jjP12ihipStream_tbEUlT_E1_NS1_11comp_targetILNS1_3genE0ELNS1_11target_archE4294967295ELNS1_3gpuE0ELNS1_3repE0EEENS1_59segmented_radix_sort_warp_sort_small_config_static_selectorELNS0_4arch9wavefront6targetE0EEEvSL_,comdat
	.globl	_ZN7rocprim17ROCPRIM_400000_NS6detail17trampoline_kernelINS0_14default_configENS1_36segmented_radix_sort_config_selectorI6__halflEEZNS1_25segmented_radix_sort_implIS3_Lb0EPKS5_PS5_PKlPlN2at6native12_GLOBAL__N_18offset_tEEE10hipError_tPvRmT1_PNSt15iterator_traitsISL_E10value_typeET2_T3_PNSM_ISR_E10value_typeET4_jRbjT5_SX_jjP12ihipStream_tbEUlT_E1_NS1_11comp_targetILNS1_3genE0ELNS1_11target_archE4294967295ELNS1_3gpuE0ELNS1_3repE0EEENS1_59segmented_radix_sort_warp_sort_small_config_static_selectorELNS0_4arch9wavefront6targetE0EEEvSL_ ; -- Begin function _ZN7rocprim17ROCPRIM_400000_NS6detail17trampoline_kernelINS0_14default_configENS1_36segmented_radix_sort_config_selectorI6__halflEEZNS1_25segmented_radix_sort_implIS3_Lb0EPKS5_PS5_PKlPlN2at6native12_GLOBAL__N_18offset_tEEE10hipError_tPvRmT1_PNSt15iterator_traitsISL_E10value_typeET2_T3_PNSM_ISR_E10value_typeET4_jRbjT5_SX_jjP12ihipStream_tbEUlT_E1_NS1_11comp_targetILNS1_3genE0ELNS1_11target_archE4294967295ELNS1_3gpuE0ELNS1_3repE0EEENS1_59segmented_radix_sort_warp_sort_small_config_static_selectorELNS0_4arch9wavefront6targetE0EEEvSL_
	.p2align	8
	.type	_ZN7rocprim17ROCPRIM_400000_NS6detail17trampoline_kernelINS0_14default_configENS1_36segmented_radix_sort_config_selectorI6__halflEEZNS1_25segmented_radix_sort_implIS3_Lb0EPKS5_PS5_PKlPlN2at6native12_GLOBAL__N_18offset_tEEE10hipError_tPvRmT1_PNSt15iterator_traitsISL_E10value_typeET2_T3_PNSM_ISR_E10value_typeET4_jRbjT5_SX_jjP12ihipStream_tbEUlT_E1_NS1_11comp_targetILNS1_3genE0ELNS1_11target_archE4294967295ELNS1_3gpuE0ELNS1_3repE0EEENS1_59segmented_radix_sort_warp_sort_small_config_static_selectorELNS0_4arch9wavefront6targetE0EEEvSL_,@function
_ZN7rocprim17ROCPRIM_400000_NS6detail17trampoline_kernelINS0_14default_configENS1_36segmented_radix_sort_config_selectorI6__halflEEZNS1_25segmented_radix_sort_implIS3_Lb0EPKS5_PS5_PKlPlN2at6native12_GLOBAL__N_18offset_tEEE10hipError_tPvRmT1_PNSt15iterator_traitsISL_E10value_typeET2_T3_PNSM_ISR_E10value_typeET4_jRbjT5_SX_jjP12ihipStream_tbEUlT_E1_NS1_11comp_targetILNS1_3genE0ELNS1_11target_archE4294967295ELNS1_3gpuE0ELNS1_3repE0EEENS1_59segmented_radix_sort_warp_sort_small_config_static_selectorELNS0_4arch9wavefront6targetE0EEEvSL_: ; @_ZN7rocprim17ROCPRIM_400000_NS6detail17trampoline_kernelINS0_14default_configENS1_36segmented_radix_sort_config_selectorI6__halflEEZNS1_25segmented_radix_sort_implIS3_Lb0EPKS5_PS5_PKlPlN2at6native12_GLOBAL__N_18offset_tEEE10hipError_tPvRmT1_PNSt15iterator_traitsISL_E10value_typeET2_T3_PNSM_ISR_E10value_typeET4_jRbjT5_SX_jjP12ihipStream_tbEUlT_E1_NS1_11comp_targetILNS1_3genE0ELNS1_11target_archE4294967295ELNS1_3gpuE0ELNS1_3repE0EEENS1_59segmented_radix_sort_warp_sort_small_config_static_selectorELNS0_4arch9wavefront6targetE0EEEvSL_
; %bb.0:
	s_load_b32 s4, s[2:3], 0x64
	v_bfe_u32 v1, v0, 10, 10
	v_bfe_u32 v2, v0, 20, 10
	v_and_b32_e32 v3, 0x3ff, v0
	s_and_b32 s6, ttmp6, 15
	s_getreg_b32 s7, hwreg(HW_REG_IB_STS2, 6, 4)
	s_mov_b32 s32, 0
	s_wait_kmcnt 0x0
	s_lshr_b32 s5, s4, 16
	s_and_b32 s4, s4, 0xffff
	v_mad_u32_u24 v1, v2, s5, v1
	s_bfe_u32 s5, ttmp6, 0x4000c
	s_delay_alu instid0(SALU_CYCLE_1) | instskip(NEXT) | instid1(SALU_CYCLE_1)
	s_add_co_i32 s5, s5, 1
	s_mul_i32 s5, ttmp9, s5
	s_delay_alu instid0(VALU_DEP_1) | instskip(SKIP_4) | instid1(VALU_DEP_1)
	v_mad_u32 v1, v1, s4, v3
	s_load_b32 s4, s[2:3], 0x34
	s_add_co_i32 s6, s6, s5
	s_cmp_eq_u32 s7, 0
	s_cselect_b32 s5, ttmp9, s6
	v_lshrrev_b32_e32 v1, 3, v1
	s_delay_alu instid0(VALU_DEP_1) | instskip(SKIP_1) | instid1(VALU_DEP_1)
	v_lshl_add_u32 v2, s5, 5, v1
	s_wait_kmcnt 0x0
	v_cmp_gt_u32_e32 vcc_lo, s4, v2
	s_and_saveexec_b32 s4, vcc_lo
	s_cbranch_execz .LBB1853_3
; %bb.1:
	s_clause 0x1
	s_load_b64 s[8:9], s[2:3], 0x38
	s_load_b128 s[4:7], s[2:3], 0x40
	v_mov_b32_e32 v3, 0
	s_delay_alu instid0(VALU_DEP_1) | instskip(SKIP_1) | instid1(VALU_DEP_1)
	v_lshlrev_b64_e32 v[2:3], 2, v[2:3]
	s_wait_kmcnt 0x0
	v_sub_nc_u64_e32 v[2:3], s[8:9], v[2:3]
	global_load_b32 v1, v[2:3], off offset:-4
	s_wait_loadcnt 0x0
	v_dual_add_nc_u32 v2, s5, v1 :: v_dual_add_nc_u32 v1, s7, v1
	s_delay_alu instid0(VALU_DEP_1) | instskip(NEXT) | instid1(VALU_DEP_2)
	v_mul_lo_u32 v13, v2, s4
	v_mul_lo_u32 v14, v1, s6
	s_delay_alu instid0(VALU_DEP_1)
	v_cmp_gt_u32_e32 vcc_lo, v14, v13
	s_and_b32 exec_lo, exec_lo, vcc_lo
	s_cbranch_execz .LBB1853_3
; %bb.2:
	s_mov_b64 s[10:11], src_shared_base
	s_clause 0x2
	s_load_b32 s10, s[2:3], 0x30
	s_load_b256 s[12:19], s[2:3], 0x0
	s_load_b128 s[4:7], s[2:3], 0x20
	v_dual_mov_b32 v31, v0 :: v_dual_mov_b32 v15, 0
	v_mov_b32_e32 v16, s11
	s_add_nc_u64 s[8:9], s[2:3], 0x58
	s_wait_xcnt 0x0
	s_get_pc_i64 s[2:3]
	s_add_nc_u64 s[2:3], s[2:3], _ZN7rocprim17ROCPRIM_400000_NS6detail26segmented_warp_sort_helperINS1_20WarpSortHelperConfigILj8ELj4ELj256EEE6__halflLi256ELb0EvE4sortIPKS5_PS5_PKlPlEEvT_SA_T0_T1_SD_T2_bjjjjRNS6_12storage_typeE@rel64+4
	s_wait_kmcnt 0x0
	s_and_b32 s10, s10, 0xff
	v_dual_mov_b32 v0, s12 :: v_dual_mov_b32 v1, s13
	v_dual_mov_b32 v2, s14 :: v_dual_mov_b32 v3, s15
	;; [unrolled: 1-line block ×6, first 2 shown]
	v_mov_b32_e32 v12, s10
	s_mov_b64 s[6:7], s[0:1]
	s_swap_pc_i64 s[30:31], s[2:3]
.LBB1853_3:
	s_endpgm
	.section	.rodata,"a",@progbits
	.p2align	6, 0x0
	.amdhsa_kernel _ZN7rocprim17ROCPRIM_400000_NS6detail17trampoline_kernelINS0_14default_configENS1_36segmented_radix_sort_config_selectorI6__halflEEZNS1_25segmented_radix_sort_implIS3_Lb0EPKS5_PS5_PKlPlN2at6native12_GLOBAL__N_18offset_tEEE10hipError_tPvRmT1_PNSt15iterator_traitsISL_E10value_typeET2_T3_PNSM_ISR_E10value_typeET4_jRbjT5_SX_jjP12ihipStream_tbEUlT_E1_NS1_11comp_targetILNS1_3genE0ELNS1_11target_archE4294967295ELNS1_3gpuE0ELNS1_3repE0EEENS1_59segmented_radix_sort_warp_sort_small_config_static_selectorELNS0_4arch9wavefront6targetE0EEEvSL_
		.amdhsa_group_segment_fixed_size 10240
		.amdhsa_private_segment_fixed_size 0
		.amdhsa_kernarg_size 344
		.amdhsa_user_sgpr_count 4
		.amdhsa_user_sgpr_dispatch_ptr 0
		.amdhsa_user_sgpr_queue_ptr 1
		.amdhsa_user_sgpr_kernarg_segment_ptr 1
		.amdhsa_user_sgpr_dispatch_id 0
		.amdhsa_user_sgpr_kernarg_preload_length 0
		.amdhsa_user_sgpr_kernarg_preload_offset 0
		.amdhsa_user_sgpr_private_segment_size 0
		.amdhsa_wavefront_size32 1
		.amdhsa_uses_dynamic_stack 0
		.amdhsa_enable_private_segment 0
		.amdhsa_system_sgpr_workgroup_id_x 1
		.amdhsa_system_sgpr_workgroup_id_y 1
		.amdhsa_system_sgpr_workgroup_id_z 0
		.amdhsa_system_sgpr_workgroup_info 0
		.amdhsa_system_vgpr_workitem_id 2
		.amdhsa_next_free_vgpr 55
		.amdhsa_next_free_sgpr 33
		.amdhsa_named_barrier_count 0
		.amdhsa_reserve_vcc 1
		.amdhsa_float_round_mode_32 0
		.amdhsa_float_round_mode_16_64 0
		.amdhsa_float_denorm_mode_32 3
		.amdhsa_float_denorm_mode_16_64 3
		.amdhsa_fp16_overflow 0
		.amdhsa_memory_ordered 1
		.amdhsa_forward_progress 1
		.amdhsa_inst_pref_size 4
		.amdhsa_round_robin_scheduling 0
		.amdhsa_exception_fp_ieee_invalid_op 0
		.amdhsa_exception_fp_denorm_src 0
		.amdhsa_exception_fp_ieee_div_zero 0
		.amdhsa_exception_fp_ieee_overflow 0
		.amdhsa_exception_fp_ieee_underflow 0
		.amdhsa_exception_fp_ieee_inexact 0
		.amdhsa_exception_int_div_zero 0
	.end_amdhsa_kernel
	.section	.text._ZN7rocprim17ROCPRIM_400000_NS6detail17trampoline_kernelINS0_14default_configENS1_36segmented_radix_sort_config_selectorI6__halflEEZNS1_25segmented_radix_sort_implIS3_Lb0EPKS5_PS5_PKlPlN2at6native12_GLOBAL__N_18offset_tEEE10hipError_tPvRmT1_PNSt15iterator_traitsISL_E10value_typeET2_T3_PNSM_ISR_E10value_typeET4_jRbjT5_SX_jjP12ihipStream_tbEUlT_E1_NS1_11comp_targetILNS1_3genE0ELNS1_11target_archE4294967295ELNS1_3gpuE0ELNS1_3repE0EEENS1_59segmented_radix_sort_warp_sort_small_config_static_selectorELNS0_4arch9wavefront6targetE0EEEvSL_,"axG",@progbits,_ZN7rocprim17ROCPRIM_400000_NS6detail17trampoline_kernelINS0_14default_configENS1_36segmented_radix_sort_config_selectorI6__halflEEZNS1_25segmented_radix_sort_implIS3_Lb0EPKS5_PS5_PKlPlN2at6native12_GLOBAL__N_18offset_tEEE10hipError_tPvRmT1_PNSt15iterator_traitsISL_E10value_typeET2_T3_PNSM_ISR_E10value_typeET4_jRbjT5_SX_jjP12ihipStream_tbEUlT_E1_NS1_11comp_targetILNS1_3genE0ELNS1_11target_archE4294967295ELNS1_3gpuE0ELNS1_3repE0EEENS1_59segmented_radix_sort_warp_sort_small_config_static_selectorELNS0_4arch9wavefront6targetE0EEEvSL_,comdat
.Lfunc_end1853:
	.size	_ZN7rocprim17ROCPRIM_400000_NS6detail17trampoline_kernelINS0_14default_configENS1_36segmented_radix_sort_config_selectorI6__halflEEZNS1_25segmented_radix_sort_implIS3_Lb0EPKS5_PS5_PKlPlN2at6native12_GLOBAL__N_18offset_tEEE10hipError_tPvRmT1_PNSt15iterator_traitsISL_E10value_typeET2_T3_PNSM_ISR_E10value_typeET4_jRbjT5_SX_jjP12ihipStream_tbEUlT_E1_NS1_11comp_targetILNS1_3genE0ELNS1_11target_archE4294967295ELNS1_3gpuE0ELNS1_3repE0EEENS1_59segmented_radix_sort_warp_sort_small_config_static_selectorELNS0_4arch9wavefront6targetE0EEEvSL_, .Lfunc_end1853-_ZN7rocprim17ROCPRIM_400000_NS6detail17trampoline_kernelINS0_14default_configENS1_36segmented_radix_sort_config_selectorI6__halflEEZNS1_25segmented_radix_sort_implIS3_Lb0EPKS5_PS5_PKlPlN2at6native12_GLOBAL__N_18offset_tEEE10hipError_tPvRmT1_PNSt15iterator_traitsISL_E10value_typeET2_T3_PNSM_ISR_E10value_typeET4_jRbjT5_SX_jjP12ihipStream_tbEUlT_E1_NS1_11comp_targetILNS1_3genE0ELNS1_11target_archE4294967295ELNS1_3gpuE0ELNS1_3repE0EEENS1_59segmented_radix_sort_warp_sort_small_config_static_selectorELNS0_4arch9wavefront6targetE0EEEvSL_
                                        ; -- End function
	.set _ZN7rocprim17ROCPRIM_400000_NS6detail17trampoline_kernelINS0_14default_configENS1_36segmented_radix_sort_config_selectorI6__halflEEZNS1_25segmented_radix_sort_implIS3_Lb0EPKS5_PS5_PKlPlN2at6native12_GLOBAL__N_18offset_tEEE10hipError_tPvRmT1_PNSt15iterator_traitsISL_E10value_typeET2_T3_PNSM_ISR_E10value_typeET4_jRbjT5_SX_jjP12ihipStream_tbEUlT_E1_NS1_11comp_targetILNS1_3genE0ELNS1_11target_archE4294967295ELNS1_3gpuE0ELNS1_3repE0EEENS1_59segmented_radix_sort_warp_sort_small_config_static_selectorELNS0_4arch9wavefront6targetE0EEEvSL_.num_vgpr, max(32, .L_ZN7rocprim17ROCPRIM_400000_NS6detail26segmented_warp_sort_helperINS1_20WarpSortHelperConfigILj8ELj4ELj256EEE6__halflLi256ELb0EvE4sortIPKS5_PS5_PKlPlEEvT_SA_T0_T1_SD_T2_bjjjjRNS6_12storage_typeE.num_vgpr)
	.set _ZN7rocprim17ROCPRIM_400000_NS6detail17trampoline_kernelINS0_14default_configENS1_36segmented_radix_sort_config_selectorI6__halflEEZNS1_25segmented_radix_sort_implIS3_Lb0EPKS5_PS5_PKlPlN2at6native12_GLOBAL__N_18offset_tEEE10hipError_tPvRmT1_PNSt15iterator_traitsISL_E10value_typeET2_T3_PNSM_ISR_E10value_typeET4_jRbjT5_SX_jjP12ihipStream_tbEUlT_E1_NS1_11comp_targetILNS1_3genE0ELNS1_11target_archE4294967295ELNS1_3gpuE0ELNS1_3repE0EEENS1_59segmented_radix_sort_warp_sort_small_config_static_selectorELNS0_4arch9wavefront6targetE0EEEvSL_.num_agpr, max(0, .L_ZN7rocprim17ROCPRIM_400000_NS6detail26segmented_warp_sort_helperINS1_20WarpSortHelperConfigILj8ELj4ELj256EEE6__halflLi256ELb0EvE4sortIPKS5_PS5_PKlPlEEvT_SA_T0_T1_SD_T2_bjjjjRNS6_12storage_typeE.num_agpr)
	.set _ZN7rocprim17ROCPRIM_400000_NS6detail17trampoline_kernelINS0_14default_configENS1_36segmented_radix_sort_config_selectorI6__halflEEZNS1_25segmented_radix_sort_implIS3_Lb0EPKS5_PS5_PKlPlN2at6native12_GLOBAL__N_18offset_tEEE10hipError_tPvRmT1_PNSt15iterator_traitsISL_E10value_typeET2_T3_PNSM_ISR_E10value_typeET4_jRbjT5_SX_jjP12ihipStream_tbEUlT_E1_NS1_11comp_targetILNS1_3genE0ELNS1_11target_archE4294967295ELNS1_3gpuE0ELNS1_3repE0EEENS1_59segmented_radix_sort_warp_sort_small_config_static_selectorELNS0_4arch9wavefront6targetE0EEEvSL_.numbered_sgpr, max(33, .L_ZN7rocprim17ROCPRIM_400000_NS6detail26segmented_warp_sort_helperINS1_20WarpSortHelperConfigILj8ELj4ELj256EEE6__halflLi256ELb0EvE4sortIPKS5_PS5_PKlPlEEvT_SA_T0_T1_SD_T2_bjjjjRNS6_12storage_typeE.numbered_sgpr)
	.set _ZN7rocprim17ROCPRIM_400000_NS6detail17trampoline_kernelINS0_14default_configENS1_36segmented_radix_sort_config_selectorI6__halflEEZNS1_25segmented_radix_sort_implIS3_Lb0EPKS5_PS5_PKlPlN2at6native12_GLOBAL__N_18offset_tEEE10hipError_tPvRmT1_PNSt15iterator_traitsISL_E10value_typeET2_T3_PNSM_ISR_E10value_typeET4_jRbjT5_SX_jjP12ihipStream_tbEUlT_E1_NS1_11comp_targetILNS1_3genE0ELNS1_11target_archE4294967295ELNS1_3gpuE0ELNS1_3repE0EEENS1_59segmented_radix_sort_warp_sort_small_config_static_selectorELNS0_4arch9wavefront6targetE0EEEvSL_.num_named_barrier, max(0, .L_ZN7rocprim17ROCPRIM_400000_NS6detail26segmented_warp_sort_helperINS1_20WarpSortHelperConfigILj8ELj4ELj256EEE6__halflLi256ELb0EvE4sortIPKS5_PS5_PKlPlEEvT_SA_T0_T1_SD_T2_bjjjjRNS6_12storage_typeE.num_named_barrier)
	.set _ZN7rocprim17ROCPRIM_400000_NS6detail17trampoline_kernelINS0_14default_configENS1_36segmented_radix_sort_config_selectorI6__halflEEZNS1_25segmented_radix_sort_implIS3_Lb0EPKS5_PS5_PKlPlN2at6native12_GLOBAL__N_18offset_tEEE10hipError_tPvRmT1_PNSt15iterator_traitsISL_E10value_typeET2_T3_PNSM_ISR_E10value_typeET4_jRbjT5_SX_jjP12ihipStream_tbEUlT_E1_NS1_11comp_targetILNS1_3genE0ELNS1_11target_archE4294967295ELNS1_3gpuE0ELNS1_3repE0EEENS1_59segmented_radix_sort_warp_sort_small_config_static_selectorELNS0_4arch9wavefront6targetE0EEEvSL_.private_seg_size, 0+max(.L_ZN7rocprim17ROCPRIM_400000_NS6detail26segmented_warp_sort_helperINS1_20WarpSortHelperConfigILj8ELj4ELj256EEE6__halflLi256ELb0EvE4sortIPKS5_PS5_PKlPlEEvT_SA_T0_T1_SD_T2_bjjjjRNS6_12storage_typeE.private_seg_size)
	.set _ZN7rocprim17ROCPRIM_400000_NS6detail17trampoline_kernelINS0_14default_configENS1_36segmented_radix_sort_config_selectorI6__halflEEZNS1_25segmented_radix_sort_implIS3_Lb0EPKS5_PS5_PKlPlN2at6native12_GLOBAL__N_18offset_tEEE10hipError_tPvRmT1_PNSt15iterator_traitsISL_E10value_typeET2_T3_PNSM_ISR_E10value_typeET4_jRbjT5_SX_jjP12ihipStream_tbEUlT_E1_NS1_11comp_targetILNS1_3genE0ELNS1_11target_archE4294967295ELNS1_3gpuE0ELNS1_3repE0EEENS1_59segmented_radix_sort_warp_sort_small_config_static_selectorELNS0_4arch9wavefront6targetE0EEEvSL_.uses_vcc, or(1, .L_ZN7rocprim17ROCPRIM_400000_NS6detail26segmented_warp_sort_helperINS1_20WarpSortHelperConfigILj8ELj4ELj256EEE6__halflLi256ELb0EvE4sortIPKS5_PS5_PKlPlEEvT_SA_T0_T1_SD_T2_bjjjjRNS6_12storage_typeE.uses_vcc)
	.set _ZN7rocprim17ROCPRIM_400000_NS6detail17trampoline_kernelINS0_14default_configENS1_36segmented_radix_sort_config_selectorI6__halflEEZNS1_25segmented_radix_sort_implIS3_Lb0EPKS5_PS5_PKlPlN2at6native12_GLOBAL__N_18offset_tEEE10hipError_tPvRmT1_PNSt15iterator_traitsISL_E10value_typeET2_T3_PNSM_ISR_E10value_typeET4_jRbjT5_SX_jjP12ihipStream_tbEUlT_E1_NS1_11comp_targetILNS1_3genE0ELNS1_11target_archE4294967295ELNS1_3gpuE0ELNS1_3repE0EEENS1_59segmented_radix_sort_warp_sort_small_config_static_selectorELNS0_4arch9wavefront6targetE0EEEvSL_.uses_flat_scratch, or(0, .L_ZN7rocprim17ROCPRIM_400000_NS6detail26segmented_warp_sort_helperINS1_20WarpSortHelperConfigILj8ELj4ELj256EEE6__halflLi256ELb0EvE4sortIPKS5_PS5_PKlPlEEvT_SA_T0_T1_SD_T2_bjjjjRNS6_12storage_typeE.uses_flat_scratch)
	.set _ZN7rocprim17ROCPRIM_400000_NS6detail17trampoline_kernelINS0_14default_configENS1_36segmented_radix_sort_config_selectorI6__halflEEZNS1_25segmented_radix_sort_implIS3_Lb0EPKS5_PS5_PKlPlN2at6native12_GLOBAL__N_18offset_tEEE10hipError_tPvRmT1_PNSt15iterator_traitsISL_E10value_typeET2_T3_PNSM_ISR_E10value_typeET4_jRbjT5_SX_jjP12ihipStream_tbEUlT_E1_NS1_11comp_targetILNS1_3genE0ELNS1_11target_archE4294967295ELNS1_3gpuE0ELNS1_3repE0EEENS1_59segmented_radix_sort_warp_sort_small_config_static_selectorELNS0_4arch9wavefront6targetE0EEEvSL_.has_dyn_sized_stack, or(0, .L_ZN7rocprim17ROCPRIM_400000_NS6detail26segmented_warp_sort_helperINS1_20WarpSortHelperConfigILj8ELj4ELj256EEE6__halflLi256ELb0EvE4sortIPKS5_PS5_PKlPlEEvT_SA_T0_T1_SD_T2_bjjjjRNS6_12storage_typeE.has_dyn_sized_stack)
	.set _ZN7rocprim17ROCPRIM_400000_NS6detail17trampoline_kernelINS0_14default_configENS1_36segmented_radix_sort_config_selectorI6__halflEEZNS1_25segmented_radix_sort_implIS3_Lb0EPKS5_PS5_PKlPlN2at6native12_GLOBAL__N_18offset_tEEE10hipError_tPvRmT1_PNSt15iterator_traitsISL_E10value_typeET2_T3_PNSM_ISR_E10value_typeET4_jRbjT5_SX_jjP12ihipStream_tbEUlT_E1_NS1_11comp_targetILNS1_3genE0ELNS1_11target_archE4294967295ELNS1_3gpuE0ELNS1_3repE0EEENS1_59segmented_radix_sort_warp_sort_small_config_static_selectorELNS0_4arch9wavefront6targetE0EEEvSL_.has_recursion, or(0, .L_ZN7rocprim17ROCPRIM_400000_NS6detail26segmented_warp_sort_helperINS1_20WarpSortHelperConfigILj8ELj4ELj256EEE6__halflLi256ELb0EvE4sortIPKS5_PS5_PKlPlEEvT_SA_T0_T1_SD_T2_bjjjjRNS6_12storage_typeE.has_recursion)
	.set _ZN7rocprim17ROCPRIM_400000_NS6detail17trampoline_kernelINS0_14default_configENS1_36segmented_radix_sort_config_selectorI6__halflEEZNS1_25segmented_radix_sort_implIS3_Lb0EPKS5_PS5_PKlPlN2at6native12_GLOBAL__N_18offset_tEEE10hipError_tPvRmT1_PNSt15iterator_traitsISL_E10value_typeET2_T3_PNSM_ISR_E10value_typeET4_jRbjT5_SX_jjP12ihipStream_tbEUlT_E1_NS1_11comp_targetILNS1_3genE0ELNS1_11target_archE4294967295ELNS1_3gpuE0ELNS1_3repE0EEENS1_59segmented_radix_sort_warp_sort_small_config_static_selectorELNS0_4arch9wavefront6targetE0EEEvSL_.has_indirect_call, or(0, .L_ZN7rocprim17ROCPRIM_400000_NS6detail26segmented_warp_sort_helperINS1_20WarpSortHelperConfigILj8ELj4ELj256EEE6__halflLi256ELb0EvE4sortIPKS5_PS5_PKlPlEEvT_SA_T0_T1_SD_T2_bjjjjRNS6_12storage_typeE.has_indirect_call)
	.section	.AMDGPU.csdata,"",@progbits
; Kernel info:
; codeLenInByte = 408
; TotalNumSgprs: 35
; NumVgprs: 55
; ScratchSize: 0
; MemoryBound: 0
; FloatMode: 240
; IeeeMode: 1
; LDSByteSize: 10240 bytes/workgroup (compile time only)
; SGPRBlocks: 0
; VGPRBlocks: 3
; NumSGPRsForWavesPerEU: 35
; NumVGPRsForWavesPerEU: 55
; NamedBarCnt: 0
; Occupancy: 16
; WaveLimiterHint : 0
; COMPUTE_PGM_RSRC2:SCRATCH_EN: 0
; COMPUTE_PGM_RSRC2:USER_SGPR: 4
; COMPUTE_PGM_RSRC2:TRAP_HANDLER: 0
; COMPUTE_PGM_RSRC2:TGID_X_EN: 1
; COMPUTE_PGM_RSRC2:TGID_Y_EN: 1
; COMPUTE_PGM_RSRC2:TGID_Z_EN: 0
; COMPUTE_PGM_RSRC2:TIDIG_COMP_CNT: 2
	.section	.text._ZN7rocprim17ROCPRIM_400000_NS6detail17trampoline_kernelINS0_14default_configENS1_36segmented_radix_sort_config_selectorI6__halflEEZNS1_25segmented_radix_sort_implIS3_Lb0EPKS5_PS5_PKlPlN2at6native12_GLOBAL__N_18offset_tEEE10hipError_tPvRmT1_PNSt15iterator_traitsISL_E10value_typeET2_T3_PNSM_ISR_E10value_typeET4_jRbjT5_SX_jjP12ihipStream_tbEUlT_E1_NS1_11comp_targetILNS1_3genE5ELNS1_11target_archE942ELNS1_3gpuE9ELNS1_3repE0EEENS1_59segmented_radix_sort_warp_sort_small_config_static_selectorELNS0_4arch9wavefront6targetE0EEEvSL_,"axG",@progbits,_ZN7rocprim17ROCPRIM_400000_NS6detail17trampoline_kernelINS0_14default_configENS1_36segmented_radix_sort_config_selectorI6__halflEEZNS1_25segmented_radix_sort_implIS3_Lb0EPKS5_PS5_PKlPlN2at6native12_GLOBAL__N_18offset_tEEE10hipError_tPvRmT1_PNSt15iterator_traitsISL_E10value_typeET2_T3_PNSM_ISR_E10value_typeET4_jRbjT5_SX_jjP12ihipStream_tbEUlT_E1_NS1_11comp_targetILNS1_3genE5ELNS1_11target_archE942ELNS1_3gpuE9ELNS1_3repE0EEENS1_59segmented_radix_sort_warp_sort_small_config_static_selectorELNS0_4arch9wavefront6targetE0EEEvSL_,comdat
	.globl	_ZN7rocprim17ROCPRIM_400000_NS6detail17trampoline_kernelINS0_14default_configENS1_36segmented_radix_sort_config_selectorI6__halflEEZNS1_25segmented_radix_sort_implIS3_Lb0EPKS5_PS5_PKlPlN2at6native12_GLOBAL__N_18offset_tEEE10hipError_tPvRmT1_PNSt15iterator_traitsISL_E10value_typeET2_T3_PNSM_ISR_E10value_typeET4_jRbjT5_SX_jjP12ihipStream_tbEUlT_E1_NS1_11comp_targetILNS1_3genE5ELNS1_11target_archE942ELNS1_3gpuE9ELNS1_3repE0EEENS1_59segmented_radix_sort_warp_sort_small_config_static_selectorELNS0_4arch9wavefront6targetE0EEEvSL_ ; -- Begin function _ZN7rocprim17ROCPRIM_400000_NS6detail17trampoline_kernelINS0_14default_configENS1_36segmented_radix_sort_config_selectorI6__halflEEZNS1_25segmented_radix_sort_implIS3_Lb0EPKS5_PS5_PKlPlN2at6native12_GLOBAL__N_18offset_tEEE10hipError_tPvRmT1_PNSt15iterator_traitsISL_E10value_typeET2_T3_PNSM_ISR_E10value_typeET4_jRbjT5_SX_jjP12ihipStream_tbEUlT_E1_NS1_11comp_targetILNS1_3genE5ELNS1_11target_archE942ELNS1_3gpuE9ELNS1_3repE0EEENS1_59segmented_radix_sort_warp_sort_small_config_static_selectorELNS0_4arch9wavefront6targetE0EEEvSL_
	.p2align	8
	.type	_ZN7rocprim17ROCPRIM_400000_NS6detail17trampoline_kernelINS0_14default_configENS1_36segmented_radix_sort_config_selectorI6__halflEEZNS1_25segmented_radix_sort_implIS3_Lb0EPKS5_PS5_PKlPlN2at6native12_GLOBAL__N_18offset_tEEE10hipError_tPvRmT1_PNSt15iterator_traitsISL_E10value_typeET2_T3_PNSM_ISR_E10value_typeET4_jRbjT5_SX_jjP12ihipStream_tbEUlT_E1_NS1_11comp_targetILNS1_3genE5ELNS1_11target_archE942ELNS1_3gpuE9ELNS1_3repE0EEENS1_59segmented_radix_sort_warp_sort_small_config_static_selectorELNS0_4arch9wavefront6targetE0EEEvSL_,@function
_ZN7rocprim17ROCPRIM_400000_NS6detail17trampoline_kernelINS0_14default_configENS1_36segmented_radix_sort_config_selectorI6__halflEEZNS1_25segmented_radix_sort_implIS3_Lb0EPKS5_PS5_PKlPlN2at6native12_GLOBAL__N_18offset_tEEE10hipError_tPvRmT1_PNSt15iterator_traitsISL_E10value_typeET2_T3_PNSM_ISR_E10value_typeET4_jRbjT5_SX_jjP12ihipStream_tbEUlT_E1_NS1_11comp_targetILNS1_3genE5ELNS1_11target_archE942ELNS1_3gpuE9ELNS1_3repE0EEENS1_59segmented_radix_sort_warp_sort_small_config_static_selectorELNS0_4arch9wavefront6targetE0EEEvSL_: ; @_ZN7rocprim17ROCPRIM_400000_NS6detail17trampoline_kernelINS0_14default_configENS1_36segmented_radix_sort_config_selectorI6__halflEEZNS1_25segmented_radix_sort_implIS3_Lb0EPKS5_PS5_PKlPlN2at6native12_GLOBAL__N_18offset_tEEE10hipError_tPvRmT1_PNSt15iterator_traitsISL_E10value_typeET2_T3_PNSM_ISR_E10value_typeET4_jRbjT5_SX_jjP12ihipStream_tbEUlT_E1_NS1_11comp_targetILNS1_3genE5ELNS1_11target_archE942ELNS1_3gpuE9ELNS1_3repE0EEENS1_59segmented_radix_sort_warp_sort_small_config_static_selectorELNS0_4arch9wavefront6targetE0EEEvSL_
; %bb.0:
	.section	.rodata,"a",@progbits
	.p2align	6, 0x0
	.amdhsa_kernel _ZN7rocprim17ROCPRIM_400000_NS6detail17trampoline_kernelINS0_14default_configENS1_36segmented_radix_sort_config_selectorI6__halflEEZNS1_25segmented_radix_sort_implIS3_Lb0EPKS5_PS5_PKlPlN2at6native12_GLOBAL__N_18offset_tEEE10hipError_tPvRmT1_PNSt15iterator_traitsISL_E10value_typeET2_T3_PNSM_ISR_E10value_typeET4_jRbjT5_SX_jjP12ihipStream_tbEUlT_E1_NS1_11comp_targetILNS1_3genE5ELNS1_11target_archE942ELNS1_3gpuE9ELNS1_3repE0EEENS1_59segmented_radix_sort_warp_sort_small_config_static_selectorELNS0_4arch9wavefront6targetE0EEEvSL_
		.amdhsa_group_segment_fixed_size 0
		.amdhsa_private_segment_fixed_size 0
		.amdhsa_kernarg_size 88
		.amdhsa_user_sgpr_count 2
		.amdhsa_user_sgpr_dispatch_ptr 0
		.amdhsa_user_sgpr_queue_ptr 0
		.amdhsa_user_sgpr_kernarg_segment_ptr 1
		.amdhsa_user_sgpr_dispatch_id 0
		.amdhsa_user_sgpr_kernarg_preload_length 0
		.amdhsa_user_sgpr_kernarg_preload_offset 0
		.amdhsa_user_sgpr_private_segment_size 0
		.amdhsa_wavefront_size32 1
		.amdhsa_uses_dynamic_stack 0
		.amdhsa_enable_private_segment 0
		.amdhsa_system_sgpr_workgroup_id_x 1
		.amdhsa_system_sgpr_workgroup_id_y 0
		.amdhsa_system_sgpr_workgroup_id_z 0
		.amdhsa_system_sgpr_workgroup_info 0
		.amdhsa_system_vgpr_workitem_id 0
		.amdhsa_next_free_vgpr 1
		.amdhsa_next_free_sgpr 1
		.amdhsa_named_barrier_count 0
		.amdhsa_reserve_vcc 0
		.amdhsa_float_round_mode_32 0
		.amdhsa_float_round_mode_16_64 0
		.amdhsa_float_denorm_mode_32 3
		.amdhsa_float_denorm_mode_16_64 3
		.amdhsa_fp16_overflow 0
		.amdhsa_memory_ordered 1
		.amdhsa_forward_progress 1
		.amdhsa_inst_pref_size 0
		.amdhsa_round_robin_scheduling 0
		.amdhsa_exception_fp_ieee_invalid_op 0
		.amdhsa_exception_fp_denorm_src 0
		.amdhsa_exception_fp_ieee_div_zero 0
		.amdhsa_exception_fp_ieee_overflow 0
		.amdhsa_exception_fp_ieee_underflow 0
		.amdhsa_exception_fp_ieee_inexact 0
		.amdhsa_exception_int_div_zero 0
	.end_amdhsa_kernel
	.section	.text._ZN7rocprim17ROCPRIM_400000_NS6detail17trampoline_kernelINS0_14default_configENS1_36segmented_radix_sort_config_selectorI6__halflEEZNS1_25segmented_radix_sort_implIS3_Lb0EPKS5_PS5_PKlPlN2at6native12_GLOBAL__N_18offset_tEEE10hipError_tPvRmT1_PNSt15iterator_traitsISL_E10value_typeET2_T3_PNSM_ISR_E10value_typeET4_jRbjT5_SX_jjP12ihipStream_tbEUlT_E1_NS1_11comp_targetILNS1_3genE5ELNS1_11target_archE942ELNS1_3gpuE9ELNS1_3repE0EEENS1_59segmented_radix_sort_warp_sort_small_config_static_selectorELNS0_4arch9wavefront6targetE0EEEvSL_,"axG",@progbits,_ZN7rocprim17ROCPRIM_400000_NS6detail17trampoline_kernelINS0_14default_configENS1_36segmented_radix_sort_config_selectorI6__halflEEZNS1_25segmented_radix_sort_implIS3_Lb0EPKS5_PS5_PKlPlN2at6native12_GLOBAL__N_18offset_tEEE10hipError_tPvRmT1_PNSt15iterator_traitsISL_E10value_typeET2_T3_PNSM_ISR_E10value_typeET4_jRbjT5_SX_jjP12ihipStream_tbEUlT_E1_NS1_11comp_targetILNS1_3genE5ELNS1_11target_archE942ELNS1_3gpuE9ELNS1_3repE0EEENS1_59segmented_radix_sort_warp_sort_small_config_static_selectorELNS0_4arch9wavefront6targetE0EEEvSL_,comdat
.Lfunc_end1854:
	.size	_ZN7rocprim17ROCPRIM_400000_NS6detail17trampoline_kernelINS0_14default_configENS1_36segmented_radix_sort_config_selectorI6__halflEEZNS1_25segmented_radix_sort_implIS3_Lb0EPKS5_PS5_PKlPlN2at6native12_GLOBAL__N_18offset_tEEE10hipError_tPvRmT1_PNSt15iterator_traitsISL_E10value_typeET2_T3_PNSM_ISR_E10value_typeET4_jRbjT5_SX_jjP12ihipStream_tbEUlT_E1_NS1_11comp_targetILNS1_3genE5ELNS1_11target_archE942ELNS1_3gpuE9ELNS1_3repE0EEENS1_59segmented_radix_sort_warp_sort_small_config_static_selectorELNS0_4arch9wavefront6targetE0EEEvSL_, .Lfunc_end1854-_ZN7rocprim17ROCPRIM_400000_NS6detail17trampoline_kernelINS0_14default_configENS1_36segmented_radix_sort_config_selectorI6__halflEEZNS1_25segmented_radix_sort_implIS3_Lb0EPKS5_PS5_PKlPlN2at6native12_GLOBAL__N_18offset_tEEE10hipError_tPvRmT1_PNSt15iterator_traitsISL_E10value_typeET2_T3_PNSM_ISR_E10value_typeET4_jRbjT5_SX_jjP12ihipStream_tbEUlT_E1_NS1_11comp_targetILNS1_3genE5ELNS1_11target_archE942ELNS1_3gpuE9ELNS1_3repE0EEENS1_59segmented_radix_sort_warp_sort_small_config_static_selectorELNS0_4arch9wavefront6targetE0EEEvSL_
                                        ; -- End function
	.set _ZN7rocprim17ROCPRIM_400000_NS6detail17trampoline_kernelINS0_14default_configENS1_36segmented_radix_sort_config_selectorI6__halflEEZNS1_25segmented_radix_sort_implIS3_Lb0EPKS5_PS5_PKlPlN2at6native12_GLOBAL__N_18offset_tEEE10hipError_tPvRmT1_PNSt15iterator_traitsISL_E10value_typeET2_T3_PNSM_ISR_E10value_typeET4_jRbjT5_SX_jjP12ihipStream_tbEUlT_E1_NS1_11comp_targetILNS1_3genE5ELNS1_11target_archE942ELNS1_3gpuE9ELNS1_3repE0EEENS1_59segmented_radix_sort_warp_sort_small_config_static_selectorELNS0_4arch9wavefront6targetE0EEEvSL_.num_vgpr, 0
	.set _ZN7rocprim17ROCPRIM_400000_NS6detail17trampoline_kernelINS0_14default_configENS1_36segmented_radix_sort_config_selectorI6__halflEEZNS1_25segmented_radix_sort_implIS3_Lb0EPKS5_PS5_PKlPlN2at6native12_GLOBAL__N_18offset_tEEE10hipError_tPvRmT1_PNSt15iterator_traitsISL_E10value_typeET2_T3_PNSM_ISR_E10value_typeET4_jRbjT5_SX_jjP12ihipStream_tbEUlT_E1_NS1_11comp_targetILNS1_3genE5ELNS1_11target_archE942ELNS1_3gpuE9ELNS1_3repE0EEENS1_59segmented_radix_sort_warp_sort_small_config_static_selectorELNS0_4arch9wavefront6targetE0EEEvSL_.num_agpr, 0
	.set _ZN7rocprim17ROCPRIM_400000_NS6detail17trampoline_kernelINS0_14default_configENS1_36segmented_radix_sort_config_selectorI6__halflEEZNS1_25segmented_radix_sort_implIS3_Lb0EPKS5_PS5_PKlPlN2at6native12_GLOBAL__N_18offset_tEEE10hipError_tPvRmT1_PNSt15iterator_traitsISL_E10value_typeET2_T3_PNSM_ISR_E10value_typeET4_jRbjT5_SX_jjP12ihipStream_tbEUlT_E1_NS1_11comp_targetILNS1_3genE5ELNS1_11target_archE942ELNS1_3gpuE9ELNS1_3repE0EEENS1_59segmented_radix_sort_warp_sort_small_config_static_selectorELNS0_4arch9wavefront6targetE0EEEvSL_.numbered_sgpr, 0
	.set _ZN7rocprim17ROCPRIM_400000_NS6detail17trampoline_kernelINS0_14default_configENS1_36segmented_radix_sort_config_selectorI6__halflEEZNS1_25segmented_radix_sort_implIS3_Lb0EPKS5_PS5_PKlPlN2at6native12_GLOBAL__N_18offset_tEEE10hipError_tPvRmT1_PNSt15iterator_traitsISL_E10value_typeET2_T3_PNSM_ISR_E10value_typeET4_jRbjT5_SX_jjP12ihipStream_tbEUlT_E1_NS1_11comp_targetILNS1_3genE5ELNS1_11target_archE942ELNS1_3gpuE9ELNS1_3repE0EEENS1_59segmented_radix_sort_warp_sort_small_config_static_selectorELNS0_4arch9wavefront6targetE0EEEvSL_.num_named_barrier, 0
	.set _ZN7rocprim17ROCPRIM_400000_NS6detail17trampoline_kernelINS0_14default_configENS1_36segmented_radix_sort_config_selectorI6__halflEEZNS1_25segmented_radix_sort_implIS3_Lb0EPKS5_PS5_PKlPlN2at6native12_GLOBAL__N_18offset_tEEE10hipError_tPvRmT1_PNSt15iterator_traitsISL_E10value_typeET2_T3_PNSM_ISR_E10value_typeET4_jRbjT5_SX_jjP12ihipStream_tbEUlT_E1_NS1_11comp_targetILNS1_3genE5ELNS1_11target_archE942ELNS1_3gpuE9ELNS1_3repE0EEENS1_59segmented_radix_sort_warp_sort_small_config_static_selectorELNS0_4arch9wavefront6targetE0EEEvSL_.private_seg_size, 0
	.set _ZN7rocprim17ROCPRIM_400000_NS6detail17trampoline_kernelINS0_14default_configENS1_36segmented_radix_sort_config_selectorI6__halflEEZNS1_25segmented_radix_sort_implIS3_Lb0EPKS5_PS5_PKlPlN2at6native12_GLOBAL__N_18offset_tEEE10hipError_tPvRmT1_PNSt15iterator_traitsISL_E10value_typeET2_T3_PNSM_ISR_E10value_typeET4_jRbjT5_SX_jjP12ihipStream_tbEUlT_E1_NS1_11comp_targetILNS1_3genE5ELNS1_11target_archE942ELNS1_3gpuE9ELNS1_3repE0EEENS1_59segmented_radix_sort_warp_sort_small_config_static_selectorELNS0_4arch9wavefront6targetE0EEEvSL_.uses_vcc, 0
	.set _ZN7rocprim17ROCPRIM_400000_NS6detail17trampoline_kernelINS0_14default_configENS1_36segmented_radix_sort_config_selectorI6__halflEEZNS1_25segmented_radix_sort_implIS3_Lb0EPKS5_PS5_PKlPlN2at6native12_GLOBAL__N_18offset_tEEE10hipError_tPvRmT1_PNSt15iterator_traitsISL_E10value_typeET2_T3_PNSM_ISR_E10value_typeET4_jRbjT5_SX_jjP12ihipStream_tbEUlT_E1_NS1_11comp_targetILNS1_3genE5ELNS1_11target_archE942ELNS1_3gpuE9ELNS1_3repE0EEENS1_59segmented_radix_sort_warp_sort_small_config_static_selectorELNS0_4arch9wavefront6targetE0EEEvSL_.uses_flat_scratch, 0
	.set _ZN7rocprim17ROCPRIM_400000_NS6detail17trampoline_kernelINS0_14default_configENS1_36segmented_radix_sort_config_selectorI6__halflEEZNS1_25segmented_radix_sort_implIS3_Lb0EPKS5_PS5_PKlPlN2at6native12_GLOBAL__N_18offset_tEEE10hipError_tPvRmT1_PNSt15iterator_traitsISL_E10value_typeET2_T3_PNSM_ISR_E10value_typeET4_jRbjT5_SX_jjP12ihipStream_tbEUlT_E1_NS1_11comp_targetILNS1_3genE5ELNS1_11target_archE942ELNS1_3gpuE9ELNS1_3repE0EEENS1_59segmented_radix_sort_warp_sort_small_config_static_selectorELNS0_4arch9wavefront6targetE0EEEvSL_.has_dyn_sized_stack, 0
	.set _ZN7rocprim17ROCPRIM_400000_NS6detail17trampoline_kernelINS0_14default_configENS1_36segmented_radix_sort_config_selectorI6__halflEEZNS1_25segmented_radix_sort_implIS3_Lb0EPKS5_PS5_PKlPlN2at6native12_GLOBAL__N_18offset_tEEE10hipError_tPvRmT1_PNSt15iterator_traitsISL_E10value_typeET2_T3_PNSM_ISR_E10value_typeET4_jRbjT5_SX_jjP12ihipStream_tbEUlT_E1_NS1_11comp_targetILNS1_3genE5ELNS1_11target_archE942ELNS1_3gpuE9ELNS1_3repE0EEENS1_59segmented_radix_sort_warp_sort_small_config_static_selectorELNS0_4arch9wavefront6targetE0EEEvSL_.has_recursion, 0
	.set _ZN7rocprim17ROCPRIM_400000_NS6detail17trampoline_kernelINS0_14default_configENS1_36segmented_radix_sort_config_selectorI6__halflEEZNS1_25segmented_radix_sort_implIS3_Lb0EPKS5_PS5_PKlPlN2at6native12_GLOBAL__N_18offset_tEEE10hipError_tPvRmT1_PNSt15iterator_traitsISL_E10value_typeET2_T3_PNSM_ISR_E10value_typeET4_jRbjT5_SX_jjP12ihipStream_tbEUlT_E1_NS1_11comp_targetILNS1_3genE5ELNS1_11target_archE942ELNS1_3gpuE9ELNS1_3repE0EEENS1_59segmented_radix_sort_warp_sort_small_config_static_selectorELNS0_4arch9wavefront6targetE0EEEvSL_.has_indirect_call, 0
	.section	.AMDGPU.csdata,"",@progbits
; Kernel info:
; codeLenInByte = 0
; TotalNumSgprs: 0
; NumVgprs: 0
; ScratchSize: 0
; MemoryBound: 0
; FloatMode: 240
; IeeeMode: 1
; LDSByteSize: 0 bytes/workgroup (compile time only)
; SGPRBlocks: 0
; VGPRBlocks: 0
; NumSGPRsForWavesPerEU: 1
; NumVGPRsForWavesPerEU: 1
; NamedBarCnt: 0
; Occupancy: 16
; WaveLimiterHint : 0
; COMPUTE_PGM_RSRC2:SCRATCH_EN: 0
; COMPUTE_PGM_RSRC2:USER_SGPR: 2
; COMPUTE_PGM_RSRC2:TRAP_HANDLER: 0
; COMPUTE_PGM_RSRC2:TGID_X_EN: 1
; COMPUTE_PGM_RSRC2:TGID_Y_EN: 0
; COMPUTE_PGM_RSRC2:TGID_Z_EN: 0
; COMPUTE_PGM_RSRC2:TIDIG_COMP_CNT: 0
	.section	.text._ZN7rocprim17ROCPRIM_400000_NS6detail17trampoline_kernelINS0_14default_configENS1_36segmented_radix_sort_config_selectorI6__halflEEZNS1_25segmented_radix_sort_implIS3_Lb0EPKS5_PS5_PKlPlN2at6native12_GLOBAL__N_18offset_tEEE10hipError_tPvRmT1_PNSt15iterator_traitsISL_E10value_typeET2_T3_PNSM_ISR_E10value_typeET4_jRbjT5_SX_jjP12ihipStream_tbEUlT_E1_NS1_11comp_targetILNS1_3genE4ELNS1_11target_archE910ELNS1_3gpuE8ELNS1_3repE0EEENS1_59segmented_radix_sort_warp_sort_small_config_static_selectorELNS0_4arch9wavefront6targetE0EEEvSL_,"axG",@progbits,_ZN7rocprim17ROCPRIM_400000_NS6detail17trampoline_kernelINS0_14default_configENS1_36segmented_radix_sort_config_selectorI6__halflEEZNS1_25segmented_radix_sort_implIS3_Lb0EPKS5_PS5_PKlPlN2at6native12_GLOBAL__N_18offset_tEEE10hipError_tPvRmT1_PNSt15iterator_traitsISL_E10value_typeET2_T3_PNSM_ISR_E10value_typeET4_jRbjT5_SX_jjP12ihipStream_tbEUlT_E1_NS1_11comp_targetILNS1_3genE4ELNS1_11target_archE910ELNS1_3gpuE8ELNS1_3repE0EEENS1_59segmented_radix_sort_warp_sort_small_config_static_selectorELNS0_4arch9wavefront6targetE0EEEvSL_,comdat
	.globl	_ZN7rocprim17ROCPRIM_400000_NS6detail17trampoline_kernelINS0_14default_configENS1_36segmented_radix_sort_config_selectorI6__halflEEZNS1_25segmented_radix_sort_implIS3_Lb0EPKS5_PS5_PKlPlN2at6native12_GLOBAL__N_18offset_tEEE10hipError_tPvRmT1_PNSt15iterator_traitsISL_E10value_typeET2_T3_PNSM_ISR_E10value_typeET4_jRbjT5_SX_jjP12ihipStream_tbEUlT_E1_NS1_11comp_targetILNS1_3genE4ELNS1_11target_archE910ELNS1_3gpuE8ELNS1_3repE0EEENS1_59segmented_radix_sort_warp_sort_small_config_static_selectorELNS0_4arch9wavefront6targetE0EEEvSL_ ; -- Begin function _ZN7rocprim17ROCPRIM_400000_NS6detail17trampoline_kernelINS0_14default_configENS1_36segmented_radix_sort_config_selectorI6__halflEEZNS1_25segmented_radix_sort_implIS3_Lb0EPKS5_PS5_PKlPlN2at6native12_GLOBAL__N_18offset_tEEE10hipError_tPvRmT1_PNSt15iterator_traitsISL_E10value_typeET2_T3_PNSM_ISR_E10value_typeET4_jRbjT5_SX_jjP12ihipStream_tbEUlT_E1_NS1_11comp_targetILNS1_3genE4ELNS1_11target_archE910ELNS1_3gpuE8ELNS1_3repE0EEENS1_59segmented_radix_sort_warp_sort_small_config_static_selectorELNS0_4arch9wavefront6targetE0EEEvSL_
	.p2align	8
	.type	_ZN7rocprim17ROCPRIM_400000_NS6detail17trampoline_kernelINS0_14default_configENS1_36segmented_radix_sort_config_selectorI6__halflEEZNS1_25segmented_radix_sort_implIS3_Lb0EPKS5_PS5_PKlPlN2at6native12_GLOBAL__N_18offset_tEEE10hipError_tPvRmT1_PNSt15iterator_traitsISL_E10value_typeET2_T3_PNSM_ISR_E10value_typeET4_jRbjT5_SX_jjP12ihipStream_tbEUlT_E1_NS1_11comp_targetILNS1_3genE4ELNS1_11target_archE910ELNS1_3gpuE8ELNS1_3repE0EEENS1_59segmented_radix_sort_warp_sort_small_config_static_selectorELNS0_4arch9wavefront6targetE0EEEvSL_,@function
_ZN7rocprim17ROCPRIM_400000_NS6detail17trampoline_kernelINS0_14default_configENS1_36segmented_radix_sort_config_selectorI6__halflEEZNS1_25segmented_radix_sort_implIS3_Lb0EPKS5_PS5_PKlPlN2at6native12_GLOBAL__N_18offset_tEEE10hipError_tPvRmT1_PNSt15iterator_traitsISL_E10value_typeET2_T3_PNSM_ISR_E10value_typeET4_jRbjT5_SX_jjP12ihipStream_tbEUlT_E1_NS1_11comp_targetILNS1_3genE4ELNS1_11target_archE910ELNS1_3gpuE8ELNS1_3repE0EEENS1_59segmented_radix_sort_warp_sort_small_config_static_selectorELNS0_4arch9wavefront6targetE0EEEvSL_: ; @_ZN7rocprim17ROCPRIM_400000_NS6detail17trampoline_kernelINS0_14default_configENS1_36segmented_radix_sort_config_selectorI6__halflEEZNS1_25segmented_radix_sort_implIS3_Lb0EPKS5_PS5_PKlPlN2at6native12_GLOBAL__N_18offset_tEEE10hipError_tPvRmT1_PNSt15iterator_traitsISL_E10value_typeET2_T3_PNSM_ISR_E10value_typeET4_jRbjT5_SX_jjP12ihipStream_tbEUlT_E1_NS1_11comp_targetILNS1_3genE4ELNS1_11target_archE910ELNS1_3gpuE8ELNS1_3repE0EEENS1_59segmented_radix_sort_warp_sort_small_config_static_selectorELNS0_4arch9wavefront6targetE0EEEvSL_
; %bb.0:
	.section	.rodata,"a",@progbits
	.p2align	6, 0x0
	.amdhsa_kernel _ZN7rocprim17ROCPRIM_400000_NS6detail17trampoline_kernelINS0_14default_configENS1_36segmented_radix_sort_config_selectorI6__halflEEZNS1_25segmented_radix_sort_implIS3_Lb0EPKS5_PS5_PKlPlN2at6native12_GLOBAL__N_18offset_tEEE10hipError_tPvRmT1_PNSt15iterator_traitsISL_E10value_typeET2_T3_PNSM_ISR_E10value_typeET4_jRbjT5_SX_jjP12ihipStream_tbEUlT_E1_NS1_11comp_targetILNS1_3genE4ELNS1_11target_archE910ELNS1_3gpuE8ELNS1_3repE0EEENS1_59segmented_radix_sort_warp_sort_small_config_static_selectorELNS0_4arch9wavefront6targetE0EEEvSL_
		.amdhsa_group_segment_fixed_size 0
		.amdhsa_private_segment_fixed_size 0
		.amdhsa_kernarg_size 88
		.amdhsa_user_sgpr_count 2
		.amdhsa_user_sgpr_dispatch_ptr 0
		.amdhsa_user_sgpr_queue_ptr 0
		.amdhsa_user_sgpr_kernarg_segment_ptr 1
		.amdhsa_user_sgpr_dispatch_id 0
		.amdhsa_user_sgpr_kernarg_preload_length 0
		.amdhsa_user_sgpr_kernarg_preload_offset 0
		.amdhsa_user_sgpr_private_segment_size 0
		.amdhsa_wavefront_size32 1
		.amdhsa_uses_dynamic_stack 0
		.amdhsa_enable_private_segment 0
		.amdhsa_system_sgpr_workgroup_id_x 1
		.amdhsa_system_sgpr_workgroup_id_y 0
		.amdhsa_system_sgpr_workgroup_id_z 0
		.amdhsa_system_sgpr_workgroup_info 0
		.amdhsa_system_vgpr_workitem_id 0
		.amdhsa_next_free_vgpr 1
		.amdhsa_next_free_sgpr 1
		.amdhsa_named_barrier_count 0
		.amdhsa_reserve_vcc 0
		.amdhsa_float_round_mode_32 0
		.amdhsa_float_round_mode_16_64 0
		.amdhsa_float_denorm_mode_32 3
		.amdhsa_float_denorm_mode_16_64 3
		.amdhsa_fp16_overflow 0
		.amdhsa_memory_ordered 1
		.amdhsa_forward_progress 1
		.amdhsa_inst_pref_size 0
		.amdhsa_round_robin_scheduling 0
		.amdhsa_exception_fp_ieee_invalid_op 0
		.amdhsa_exception_fp_denorm_src 0
		.amdhsa_exception_fp_ieee_div_zero 0
		.amdhsa_exception_fp_ieee_overflow 0
		.amdhsa_exception_fp_ieee_underflow 0
		.amdhsa_exception_fp_ieee_inexact 0
		.amdhsa_exception_int_div_zero 0
	.end_amdhsa_kernel
	.section	.text._ZN7rocprim17ROCPRIM_400000_NS6detail17trampoline_kernelINS0_14default_configENS1_36segmented_radix_sort_config_selectorI6__halflEEZNS1_25segmented_radix_sort_implIS3_Lb0EPKS5_PS5_PKlPlN2at6native12_GLOBAL__N_18offset_tEEE10hipError_tPvRmT1_PNSt15iterator_traitsISL_E10value_typeET2_T3_PNSM_ISR_E10value_typeET4_jRbjT5_SX_jjP12ihipStream_tbEUlT_E1_NS1_11comp_targetILNS1_3genE4ELNS1_11target_archE910ELNS1_3gpuE8ELNS1_3repE0EEENS1_59segmented_radix_sort_warp_sort_small_config_static_selectorELNS0_4arch9wavefront6targetE0EEEvSL_,"axG",@progbits,_ZN7rocprim17ROCPRIM_400000_NS6detail17trampoline_kernelINS0_14default_configENS1_36segmented_radix_sort_config_selectorI6__halflEEZNS1_25segmented_radix_sort_implIS3_Lb0EPKS5_PS5_PKlPlN2at6native12_GLOBAL__N_18offset_tEEE10hipError_tPvRmT1_PNSt15iterator_traitsISL_E10value_typeET2_T3_PNSM_ISR_E10value_typeET4_jRbjT5_SX_jjP12ihipStream_tbEUlT_E1_NS1_11comp_targetILNS1_3genE4ELNS1_11target_archE910ELNS1_3gpuE8ELNS1_3repE0EEENS1_59segmented_radix_sort_warp_sort_small_config_static_selectorELNS0_4arch9wavefront6targetE0EEEvSL_,comdat
.Lfunc_end1855:
	.size	_ZN7rocprim17ROCPRIM_400000_NS6detail17trampoline_kernelINS0_14default_configENS1_36segmented_radix_sort_config_selectorI6__halflEEZNS1_25segmented_radix_sort_implIS3_Lb0EPKS5_PS5_PKlPlN2at6native12_GLOBAL__N_18offset_tEEE10hipError_tPvRmT1_PNSt15iterator_traitsISL_E10value_typeET2_T3_PNSM_ISR_E10value_typeET4_jRbjT5_SX_jjP12ihipStream_tbEUlT_E1_NS1_11comp_targetILNS1_3genE4ELNS1_11target_archE910ELNS1_3gpuE8ELNS1_3repE0EEENS1_59segmented_radix_sort_warp_sort_small_config_static_selectorELNS0_4arch9wavefront6targetE0EEEvSL_, .Lfunc_end1855-_ZN7rocprim17ROCPRIM_400000_NS6detail17trampoline_kernelINS0_14default_configENS1_36segmented_radix_sort_config_selectorI6__halflEEZNS1_25segmented_radix_sort_implIS3_Lb0EPKS5_PS5_PKlPlN2at6native12_GLOBAL__N_18offset_tEEE10hipError_tPvRmT1_PNSt15iterator_traitsISL_E10value_typeET2_T3_PNSM_ISR_E10value_typeET4_jRbjT5_SX_jjP12ihipStream_tbEUlT_E1_NS1_11comp_targetILNS1_3genE4ELNS1_11target_archE910ELNS1_3gpuE8ELNS1_3repE0EEENS1_59segmented_radix_sort_warp_sort_small_config_static_selectorELNS0_4arch9wavefront6targetE0EEEvSL_
                                        ; -- End function
	.set _ZN7rocprim17ROCPRIM_400000_NS6detail17trampoline_kernelINS0_14default_configENS1_36segmented_radix_sort_config_selectorI6__halflEEZNS1_25segmented_radix_sort_implIS3_Lb0EPKS5_PS5_PKlPlN2at6native12_GLOBAL__N_18offset_tEEE10hipError_tPvRmT1_PNSt15iterator_traitsISL_E10value_typeET2_T3_PNSM_ISR_E10value_typeET4_jRbjT5_SX_jjP12ihipStream_tbEUlT_E1_NS1_11comp_targetILNS1_3genE4ELNS1_11target_archE910ELNS1_3gpuE8ELNS1_3repE0EEENS1_59segmented_radix_sort_warp_sort_small_config_static_selectorELNS0_4arch9wavefront6targetE0EEEvSL_.num_vgpr, 0
	.set _ZN7rocprim17ROCPRIM_400000_NS6detail17trampoline_kernelINS0_14default_configENS1_36segmented_radix_sort_config_selectorI6__halflEEZNS1_25segmented_radix_sort_implIS3_Lb0EPKS5_PS5_PKlPlN2at6native12_GLOBAL__N_18offset_tEEE10hipError_tPvRmT1_PNSt15iterator_traitsISL_E10value_typeET2_T3_PNSM_ISR_E10value_typeET4_jRbjT5_SX_jjP12ihipStream_tbEUlT_E1_NS1_11comp_targetILNS1_3genE4ELNS1_11target_archE910ELNS1_3gpuE8ELNS1_3repE0EEENS1_59segmented_radix_sort_warp_sort_small_config_static_selectorELNS0_4arch9wavefront6targetE0EEEvSL_.num_agpr, 0
	.set _ZN7rocprim17ROCPRIM_400000_NS6detail17trampoline_kernelINS0_14default_configENS1_36segmented_radix_sort_config_selectorI6__halflEEZNS1_25segmented_radix_sort_implIS3_Lb0EPKS5_PS5_PKlPlN2at6native12_GLOBAL__N_18offset_tEEE10hipError_tPvRmT1_PNSt15iterator_traitsISL_E10value_typeET2_T3_PNSM_ISR_E10value_typeET4_jRbjT5_SX_jjP12ihipStream_tbEUlT_E1_NS1_11comp_targetILNS1_3genE4ELNS1_11target_archE910ELNS1_3gpuE8ELNS1_3repE0EEENS1_59segmented_radix_sort_warp_sort_small_config_static_selectorELNS0_4arch9wavefront6targetE0EEEvSL_.numbered_sgpr, 0
	.set _ZN7rocprim17ROCPRIM_400000_NS6detail17trampoline_kernelINS0_14default_configENS1_36segmented_radix_sort_config_selectorI6__halflEEZNS1_25segmented_radix_sort_implIS3_Lb0EPKS5_PS5_PKlPlN2at6native12_GLOBAL__N_18offset_tEEE10hipError_tPvRmT1_PNSt15iterator_traitsISL_E10value_typeET2_T3_PNSM_ISR_E10value_typeET4_jRbjT5_SX_jjP12ihipStream_tbEUlT_E1_NS1_11comp_targetILNS1_3genE4ELNS1_11target_archE910ELNS1_3gpuE8ELNS1_3repE0EEENS1_59segmented_radix_sort_warp_sort_small_config_static_selectorELNS0_4arch9wavefront6targetE0EEEvSL_.num_named_barrier, 0
	.set _ZN7rocprim17ROCPRIM_400000_NS6detail17trampoline_kernelINS0_14default_configENS1_36segmented_radix_sort_config_selectorI6__halflEEZNS1_25segmented_radix_sort_implIS3_Lb0EPKS5_PS5_PKlPlN2at6native12_GLOBAL__N_18offset_tEEE10hipError_tPvRmT1_PNSt15iterator_traitsISL_E10value_typeET2_T3_PNSM_ISR_E10value_typeET4_jRbjT5_SX_jjP12ihipStream_tbEUlT_E1_NS1_11comp_targetILNS1_3genE4ELNS1_11target_archE910ELNS1_3gpuE8ELNS1_3repE0EEENS1_59segmented_radix_sort_warp_sort_small_config_static_selectorELNS0_4arch9wavefront6targetE0EEEvSL_.private_seg_size, 0
	.set _ZN7rocprim17ROCPRIM_400000_NS6detail17trampoline_kernelINS0_14default_configENS1_36segmented_radix_sort_config_selectorI6__halflEEZNS1_25segmented_radix_sort_implIS3_Lb0EPKS5_PS5_PKlPlN2at6native12_GLOBAL__N_18offset_tEEE10hipError_tPvRmT1_PNSt15iterator_traitsISL_E10value_typeET2_T3_PNSM_ISR_E10value_typeET4_jRbjT5_SX_jjP12ihipStream_tbEUlT_E1_NS1_11comp_targetILNS1_3genE4ELNS1_11target_archE910ELNS1_3gpuE8ELNS1_3repE0EEENS1_59segmented_radix_sort_warp_sort_small_config_static_selectorELNS0_4arch9wavefront6targetE0EEEvSL_.uses_vcc, 0
	.set _ZN7rocprim17ROCPRIM_400000_NS6detail17trampoline_kernelINS0_14default_configENS1_36segmented_radix_sort_config_selectorI6__halflEEZNS1_25segmented_radix_sort_implIS3_Lb0EPKS5_PS5_PKlPlN2at6native12_GLOBAL__N_18offset_tEEE10hipError_tPvRmT1_PNSt15iterator_traitsISL_E10value_typeET2_T3_PNSM_ISR_E10value_typeET4_jRbjT5_SX_jjP12ihipStream_tbEUlT_E1_NS1_11comp_targetILNS1_3genE4ELNS1_11target_archE910ELNS1_3gpuE8ELNS1_3repE0EEENS1_59segmented_radix_sort_warp_sort_small_config_static_selectorELNS0_4arch9wavefront6targetE0EEEvSL_.uses_flat_scratch, 0
	.set _ZN7rocprim17ROCPRIM_400000_NS6detail17trampoline_kernelINS0_14default_configENS1_36segmented_radix_sort_config_selectorI6__halflEEZNS1_25segmented_radix_sort_implIS3_Lb0EPKS5_PS5_PKlPlN2at6native12_GLOBAL__N_18offset_tEEE10hipError_tPvRmT1_PNSt15iterator_traitsISL_E10value_typeET2_T3_PNSM_ISR_E10value_typeET4_jRbjT5_SX_jjP12ihipStream_tbEUlT_E1_NS1_11comp_targetILNS1_3genE4ELNS1_11target_archE910ELNS1_3gpuE8ELNS1_3repE0EEENS1_59segmented_radix_sort_warp_sort_small_config_static_selectorELNS0_4arch9wavefront6targetE0EEEvSL_.has_dyn_sized_stack, 0
	.set _ZN7rocprim17ROCPRIM_400000_NS6detail17trampoline_kernelINS0_14default_configENS1_36segmented_radix_sort_config_selectorI6__halflEEZNS1_25segmented_radix_sort_implIS3_Lb0EPKS5_PS5_PKlPlN2at6native12_GLOBAL__N_18offset_tEEE10hipError_tPvRmT1_PNSt15iterator_traitsISL_E10value_typeET2_T3_PNSM_ISR_E10value_typeET4_jRbjT5_SX_jjP12ihipStream_tbEUlT_E1_NS1_11comp_targetILNS1_3genE4ELNS1_11target_archE910ELNS1_3gpuE8ELNS1_3repE0EEENS1_59segmented_radix_sort_warp_sort_small_config_static_selectorELNS0_4arch9wavefront6targetE0EEEvSL_.has_recursion, 0
	.set _ZN7rocprim17ROCPRIM_400000_NS6detail17trampoline_kernelINS0_14default_configENS1_36segmented_radix_sort_config_selectorI6__halflEEZNS1_25segmented_radix_sort_implIS3_Lb0EPKS5_PS5_PKlPlN2at6native12_GLOBAL__N_18offset_tEEE10hipError_tPvRmT1_PNSt15iterator_traitsISL_E10value_typeET2_T3_PNSM_ISR_E10value_typeET4_jRbjT5_SX_jjP12ihipStream_tbEUlT_E1_NS1_11comp_targetILNS1_3genE4ELNS1_11target_archE910ELNS1_3gpuE8ELNS1_3repE0EEENS1_59segmented_radix_sort_warp_sort_small_config_static_selectorELNS0_4arch9wavefront6targetE0EEEvSL_.has_indirect_call, 0
	.section	.AMDGPU.csdata,"",@progbits
; Kernel info:
; codeLenInByte = 0
; TotalNumSgprs: 0
; NumVgprs: 0
; ScratchSize: 0
; MemoryBound: 0
; FloatMode: 240
; IeeeMode: 1
; LDSByteSize: 0 bytes/workgroup (compile time only)
; SGPRBlocks: 0
; VGPRBlocks: 0
; NumSGPRsForWavesPerEU: 1
; NumVGPRsForWavesPerEU: 1
; NamedBarCnt: 0
; Occupancy: 16
; WaveLimiterHint : 0
; COMPUTE_PGM_RSRC2:SCRATCH_EN: 0
; COMPUTE_PGM_RSRC2:USER_SGPR: 2
; COMPUTE_PGM_RSRC2:TRAP_HANDLER: 0
; COMPUTE_PGM_RSRC2:TGID_X_EN: 1
; COMPUTE_PGM_RSRC2:TGID_Y_EN: 0
; COMPUTE_PGM_RSRC2:TGID_Z_EN: 0
; COMPUTE_PGM_RSRC2:TIDIG_COMP_CNT: 0
	.section	.text._ZN7rocprim17ROCPRIM_400000_NS6detail17trampoline_kernelINS0_14default_configENS1_36segmented_radix_sort_config_selectorI6__halflEEZNS1_25segmented_radix_sort_implIS3_Lb0EPKS5_PS5_PKlPlN2at6native12_GLOBAL__N_18offset_tEEE10hipError_tPvRmT1_PNSt15iterator_traitsISL_E10value_typeET2_T3_PNSM_ISR_E10value_typeET4_jRbjT5_SX_jjP12ihipStream_tbEUlT_E1_NS1_11comp_targetILNS1_3genE3ELNS1_11target_archE908ELNS1_3gpuE7ELNS1_3repE0EEENS1_59segmented_radix_sort_warp_sort_small_config_static_selectorELNS0_4arch9wavefront6targetE0EEEvSL_,"axG",@progbits,_ZN7rocprim17ROCPRIM_400000_NS6detail17trampoline_kernelINS0_14default_configENS1_36segmented_radix_sort_config_selectorI6__halflEEZNS1_25segmented_radix_sort_implIS3_Lb0EPKS5_PS5_PKlPlN2at6native12_GLOBAL__N_18offset_tEEE10hipError_tPvRmT1_PNSt15iterator_traitsISL_E10value_typeET2_T3_PNSM_ISR_E10value_typeET4_jRbjT5_SX_jjP12ihipStream_tbEUlT_E1_NS1_11comp_targetILNS1_3genE3ELNS1_11target_archE908ELNS1_3gpuE7ELNS1_3repE0EEENS1_59segmented_radix_sort_warp_sort_small_config_static_selectorELNS0_4arch9wavefront6targetE0EEEvSL_,comdat
	.globl	_ZN7rocprim17ROCPRIM_400000_NS6detail17trampoline_kernelINS0_14default_configENS1_36segmented_radix_sort_config_selectorI6__halflEEZNS1_25segmented_radix_sort_implIS3_Lb0EPKS5_PS5_PKlPlN2at6native12_GLOBAL__N_18offset_tEEE10hipError_tPvRmT1_PNSt15iterator_traitsISL_E10value_typeET2_T3_PNSM_ISR_E10value_typeET4_jRbjT5_SX_jjP12ihipStream_tbEUlT_E1_NS1_11comp_targetILNS1_3genE3ELNS1_11target_archE908ELNS1_3gpuE7ELNS1_3repE0EEENS1_59segmented_radix_sort_warp_sort_small_config_static_selectorELNS0_4arch9wavefront6targetE0EEEvSL_ ; -- Begin function _ZN7rocprim17ROCPRIM_400000_NS6detail17trampoline_kernelINS0_14default_configENS1_36segmented_radix_sort_config_selectorI6__halflEEZNS1_25segmented_radix_sort_implIS3_Lb0EPKS5_PS5_PKlPlN2at6native12_GLOBAL__N_18offset_tEEE10hipError_tPvRmT1_PNSt15iterator_traitsISL_E10value_typeET2_T3_PNSM_ISR_E10value_typeET4_jRbjT5_SX_jjP12ihipStream_tbEUlT_E1_NS1_11comp_targetILNS1_3genE3ELNS1_11target_archE908ELNS1_3gpuE7ELNS1_3repE0EEENS1_59segmented_radix_sort_warp_sort_small_config_static_selectorELNS0_4arch9wavefront6targetE0EEEvSL_
	.p2align	8
	.type	_ZN7rocprim17ROCPRIM_400000_NS6detail17trampoline_kernelINS0_14default_configENS1_36segmented_radix_sort_config_selectorI6__halflEEZNS1_25segmented_radix_sort_implIS3_Lb0EPKS5_PS5_PKlPlN2at6native12_GLOBAL__N_18offset_tEEE10hipError_tPvRmT1_PNSt15iterator_traitsISL_E10value_typeET2_T3_PNSM_ISR_E10value_typeET4_jRbjT5_SX_jjP12ihipStream_tbEUlT_E1_NS1_11comp_targetILNS1_3genE3ELNS1_11target_archE908ELNS1_3gpuE7ELNS1_3repE0EEENS1_59segmented_radix_sort_warp_sort_small_config_static_selectorELNS0_4arch9wavefront6targetE0EEEvSL_,@function
_ZN7rocprim17ROCPRIM_400000_NS6detail17trampoline_kernelINS0_14default_configENS1_36segmented_radix_sort_config_selectorI6__halflEEZNS1_25segmented_radix_sort_implIS3_Lb0EPKS5_PS5_PKlPlN2at6native12_GLOBAL__N_18offset_tEEE10hipError_tPvRmT1_PNSt15iterator_traitsISL_E10value_typeET2_T3_PNSM_ISR_E10value_typeET4_jRbjT5_SX_jjP12ihipStream_tbEUlT_E1_NS1_11comp_targetILNS1_3genE3ELNS1_11target_archE908ELNS1_3gpuE7ELNS1_3repE0EEENS1_59segmented_radix_sort_warp_sort_small_config_static_selectorELNS0_4arch9wavefront6targetE0EEEvSL_: ; @_ZN7rocprim17ROCPRIM_400000_NS6detail17trampoline_kernelINS0_14default_configENS1_36segmented_radix_sort_config_selectorI6__halflEEZNS1_25segmented_radix_sort_implIS3_Lb0EPKS5_PS5_PKlPlN2at6native12_GLOBAL__N_18offset_tEEE10hipError_tPvRmT1_PNSt15iterator_traitsISL_E10value_typeET2_T3_PNSM_ISR_E10value_typeET4_jRbjT5_SX_jjP12ihipStream_tbEUlT_E1_NS1_11comp_targetILNS1_3genE3ELNS1_11target_archE908ELNS1_3gpuE7ELNS1_3repE0EEENS1_59segmented_radix_sort_warp_sort_small_config_static_selectorELNS0_4arch9wavefront6targetE0EEEvSL_
; %bb.0:
	.section	.rodata,"a",@progbits
	.p2align	6, 0x0
	.amdhsa_kernel _ZN7rocprim17ROCPRIM_400000_NS6detail17trampoline_kernelINS0_14default_configENS1_36segmented_radix_sort_config_selectorI6__halflEEZNS1_25segmented_radix_sort_implIS3_Lb0EPKS5_PS5_PKlPlN2at6native12_GLOBAL__N_18offset_tEEE10hipError_tPvRmT1_PNSt15iterator_traitsISL_E10value_typeET2_T3_PNSM_ISR_E10value_typeET4_jRbjT5_SX_jjP12ihipStream_tbEUlT_E1_NS1_11comp_targetILNS1_3genE3ELNS1_11target_archE908ELNS1_3gpuE7ELNS1_3repE0EEENS1_59segmented_radix_sort_warp_sort_small_config_static_selectorELNS0_4arch9wavefront6targetE0EEEvSL_
		.amdhsa_group_segment_fixed_size 0
		.amdhsa_private_segment_fixed_size 0
		.amdhsa_kernarg_size 88
		.amdhsa_user_sgpr_count 2
		.amdhsa_user_sgpr_dispatch_ptr 0
		.amdhsa_user_sgpr_queue_ptr 0
		.amdhsa_user_sgpr_kernarg_segment_ptr 1
		.amdhsa_user_sgpr_dispatch_id 0
		.amdhsa_user_sgpr_kernarg_preload_length 0
		.amdhsa_user_sgpr_kernarg_preload_offset 0
		.amdhsa_user_sgpr_private_segment_size 0
		.amdhsa_wavefront_size32 1
		.amdhsa_uses_dynamic_stack 0
		.amdhsa_enable_private_segment 0
		.amdhsa_system_sgpr_workgroup_id_x 1
		.amdhsa_system_sgpr_workgroup_id_y 0
		.amdhsa_system_sgpr_workgroup_id_z 0
		.amdhsa_system_sgpr_workgroup_info 0
		.amdhsa_system_vgpr_workitem_id 0
		.amdhsa_next_free_vgpr 1
		.amdhsa_next_free_sgpr 1
		.amdhsa_named_barrier_count 0
		.amdhsa_reserve_vcc 0
		.amdhsa_float_round_mode_32 0
		.amdhsa_float_round_mode_16_64 0
		.amdhsa_float_denorm_mode_32 3
		.amdhsa_float_denorm_mode_16_64 3
		.amdhsa_fp16_overflow 0
		.amdhsa_memory_ordered 1
		.amdhsa_forward_progress 1
		.amdhsa_inst_pref_size 0
		.amdhsa_round_robin_scheduling 0
		.amdhsa_exception_fp_ieee_invalid_op 0
		.amdhsa_exception_fp_denorm_src 0
		.amdhsa_exception_fp_ieee_div_zero 0
		.amdhsa_exception_fp_ieee_overflow 0
		.amdhsa_exception_fp_ieee_underflow 0
		.amdhsa_exception_fp_ieee_inexact 0
		.amdhsa_exception_int_div_zero 0
	.end_amdhsa_kernel
	.section	.text._ZN7rocprim17ROCPRIM_400000_NS6detail17trampoline_kernelINS0_14default_configENS1_36segmented_radix_sort_config_selectorI6__halflEEZNS1_25segmented_radix_sort_implIS3_Lb0EPKS5_PS5_PKlPlN2at6native12_GLOBAL__N_18offset_tEEE10hipError_tPvRmT1_PNSt15iterator_traitsISL_E10value_typeET2_T3_PNSM_ISR_E10value_typeET4_jRbjT5_SX_jjP12ihipStream_tbEUlT_E1_NS1_11comp_targetILNS1_3genE3ELNS1_11target_archE908ELNS1_3gpuE7ELNS1_3repE0EEENS1_59segmented_radix_sort_warp_sort_small_config_static_selectorELNS0_4arch9wavefront6targetE0EEEvSL_,"axG",@progbits,_ZN7rocprim17ROCPRIM_400000_NS6detail17trampoline_kernelINS0_14default_configENS1_36segmented_radix_sort_config_selectorI6__halflEEZNS1_25segmented_radix_sort_implIS3_Lb0EPKS5_PS5_PKlPlN2at6native12_GLOBAL__N_18offset_tEEE10hipError_tPvRmT1_PNSt15iterator_traitsISL_E10value_typeET2_T3_PNSM_ISR_E10value_typeET4_jRbjT5_SX_jjP12ihipStream_tbEUlT_E1_NS1_11comp_targetILNS1_3genE3ELNS1_11target_archE908ELNS1_3gpuE7ELNS1_3repE0EEENS1_59segmented_radix_sort_warp_sort_small_config_static_selectorELNS0_4arch9wavefront6targetE0EEEvSL_,comdat
.Lfunc_end1856:
	.size	_ZN7rocprim17ROCPRIM_400000_NS6detail17trampoline_kernelINS0_14default_configENS1_36segmented_radix_sort_config_selectorI6__halflEEZNS1_25segmented_radix_sort_implIS3_Lb0EPKS5_PS5_PKlPlN2at6native12_GLOBAL__N_18offset_tEEE10hipError_tPvRmT1_PNSt15iterator_traitsISL_E10value_typeET2_T3_PNSM_ISR_E10value_typeET4_jRbjT5_SX_jjP12ihipStream_tbEUlT_E1_NS1_11comp_targetILNS1_3genE3ELNS1_11target_archE908ELNS1_3gpuE7ELNS1_3repE0EEENS1_59segmented_radix_sort_warp_sort_small_config_static_selectorELNS0_4arch9wavefront6targetE0EEEvSL_, .Lfunc_end1856-_ZN7rocprim17ROCPRIM_400000_NS6detail17trampoline_kernelINS0_14default_configENS1_36segmented_radix_sort_config_selectorI6__halflEEZNS1_25segmented_radix_sort_implIS3_Lb0EPKS5_PS5_PKlPlN2at6native12_GLOBAL__N_18offset_tEEE10hipError_tPvRmT1_PNSt15iterator_traitsISL_E10value_typeET2_T3_PNSM_ISR_E10value_typeET4_jRbjT5_SX_jjP12ihipStream_tbEUlT_E1_NS1_11comp_targetILNS1_3genE3ELNS1_11target_archE908ELNS1_3gpuE7ELNS1_3repE0EEENS1_59segmented_radix_sort_warp_sort_small_config_static_selectorELNS0_4arch9wavefront6targetE0EEEvSL_
                                        ; -- End function
	.set _ZN7rocprim17ROCPRIM_400000_NS6detail17trampoline_kernelINS0_14default_configENS1_36segmented_radix_sort_config_selectorI6__halflEEZNS1_25segmented_radix_sort_implIS3_Lb0EPKS5_PS5_PKlPlN2at6native12_GLOBAL__N_18offset_tEEE10hipError_tPvRmT1_PNSt15iterator_traitsISL_E10value_typeET2_T3_PNSM_ISR_E10value_typeET4_jRbjT5_SX_jjP12ihipStream_tbEUlT_E1_NS1_11comp_targetILNS1_3genE3ELNS1_11target_archE908ELNS1_3gpuE7ELNS1_3repE0EEENS1_59segmented_radix_sort_warp_sort_small_config_static_selectorELNS0_4arch9wavefront6targetE0EEEvSL_.num_vgpr, 0
	.set _ZN7rocprim17ROCPRIM_400000_NS6detail17trampoline_kernelINS0_14default_configENS1_36segmented_radix_sort_config_selectorI6__halflEEZNS1_25segmented_radix_sort_implIS3_Lb0EPKS5_PS5_PKlPlN2at6native12_GLOBAL__N_18offset_tEEE10hipError_tPvRmT1_PNSt15iterator_traitsISL_E10value_typeET2_T3_PNSM_ISR_E10value_typeET4_jRbjT5_SX_jjP12ihipStream_tbEUlT_E1_NS1_11comp_targetILNS1_3genE3ELNS1_11target_archE908ELNS1_3gpuE7ELNS1_3repE0EEENS1_59segmented_radix_sort_warp_sort_small_config_static_selectorELNS0_4arch9wavefront6targetE0EEEvSL_.num_agpr, 0
	.set _ZN7rocprim17ROCPRIM_400000_NS6detail17trampoline_kernelINS0_14default_configENS1_36segmented_radix_sort_config_selectorI6__halflEEZNS1_25segmented_radix_sort_implIS3_Lb0EPKS5_PS5_PKlPlN2at6native12_GLOBAL__N_18offset_tEEE10hipError_tPvRmT1_PNSt15iterator_traitsISL_E10value_typeET2_T3_PNSM_ISR_E10value_typeET4_jRbjT5_SX_jjP12ihipStream_tbEUlT_E1_NS1_11comp_targetILNS1_3genE3ELNS1_11target_archE908ELNS1_3gpuE7ELNS1_3repE0EEENS1_59segmented_radix_sort_warp_sort_small_config_static_selectorELNS0_4arch9wavefront6targetE0EEEvSL_.numbered_sgpr, 0
	.set _ZN7rocprim17ROCPRIM_400000_NS6detail17trampoline_kernelINS0_14default_configENS1_36segmented_radix_sort_config_selectorI6__halflEEZNS1_25segmented_radix_sort_implIS3_Lb0EPKS5_PS5_PKlPlN2at6native12_GLOBAL__N_18offset_tEEE10hipError_tPvRmT1_PNSt15iterator_traitsISL_E10value_typeET2_T3_PNSM_ISR_E10value_typeET4_jRbjT5_SX_jjP12ihipStream_tbEUlT_E1_NS1_11comp_targetILNS1_3genE3ELNS1_11target_archE908ELNS1_3gpuE7ELNS1_3repE0EEENS1_59segmented_radix_sort_warp_sort_small_config_static_selectorELNS0_4arch9wavefront6targetE0EEEvSL_.num_named_barrier, 0
	.set _ZN7rocprim17ROCPRIM_400000_NS6detail17trampoline_kernelINS0_14default_configENS1_36segmented_radix_sort_config_selectorI6__halflEEZNS1_25segmented_radix_sort_implIS3_Lb0EPKS5_PS5_PKlPlN2at6native12_GLOBAL__N_18offset_tEEE10hipError_tPvRmT1_PNSt15iterator_traitsISL_E10value_typeET2_T3_PNSM_ISR_E10value_typeET4_jRbjT5_SX_jjP12ihipStream_tbEUlT_E1_NS1_11comp_targetILNS1_3genE3ELNS1_11target_archE908ELNS1_3gpuE7ELNS1_3repE0EEENS1_59segmented_radix_sort_warp_sort_small_config_static_selectorELNS0_4arch9wavefront6targetE0EEEvSL_.private_seg_size, 0
	.set _ZN7rocprim17ROCPRIM_400000_NS6detail17trampoline_kernelINS0_14default_configENS1_36segmented_radix_sort_config_selectorI6__halflEEZNS1_25segmented_radix_sort_implIS3_Lb0EPKS5_PS5_PKlPlN2at6native12_GLOBAL__N_18offset_tEEE10hipError_tPvRmT1_PNSt15iterator_traitsISL_E10value_typeET2_T3_PNSM_ISR_E10value_typeET4_jRbjT5_SX_jjP12ihipStream_tbEUlT_E1_NS1_11comp_targetILNS1_3genE3ELNS1_11target_archE908ELNS1_3gpuE7ELNS1_3repE0EEENS1_59segmented_radix_sort_warp_sort_small_config_static_selectorELNS0_4arch9wavefront6targetE0EEEvSL_.uses_vcc, 0
	.set _ZN7rocprim17ROCPRIM_400000_NS6detail17trampoline_kernelINS0_14default_configENS1_36segmented_radix_sort_config_selectorI6__halflEEZNS1_25segmented_radix_sort_implIS3_Lb0EPKS5_PS5_PKlPlN2at6native12_GLOBAL__N_18offset_tEEE10hipError_tPvRmT1_PNSt15iterator_traitsISL_E10value_typeET2_T3_PNSM_ISR_E10value_typeET4_jRbjT5_SX_jjP12ihipStream_tbEUlT_E1_NS1_11comp_targetILNS1_3genE3ELNS1_11target_archE908ELNS1_3gpuE7ELNS1_3repE0EEENS1_59segmented_radix_sort_warp_sort_small_config_static_selectorELNS0_4arch9wavefront6targetE0EEEvSL_.uses_flat_scratch, 0
	.set _ZN7rocprim17ROCPRIM_400000_NS6detail17trampoline_kernelINS0_14default_configENS1_36segmented_radix_sort_config_selectorI6__halflEEZNS1_25segmented_radix_sort_implIS3_Lb0EPKS5_PS5_PKlPlN2at6native12_GLOBAL__N_18offset_tEEE10hipError_tPvRmT1_PNSt15iterator_traitsISL_E10value_typeET2_T3_PNSM_ISR_E10value_typeET4_jRbjT5_SX_jjP12ihipStream_tbEUlT_E1_NS1_11comp_targetILNS1_3genE3ELNS1_11target_archE908ELNS1_3gpuE7ELNS1_3repE0EEENS1_59segmented_radix_sort_warp_sort_small_config_static_selectorELNS0_4arch9wavefront6targetE0EEEvSL_.has_dyn_sized_stack, 0
	.set _ZN7rocprim17ROCPRIM_400000_NS6detail17trampoline_kernelINS0_14default_configENS1_36segmented_radix_sort_config_selectorI6__halflEEZNS1_25segmented_radix_sort_implIS3_Lb0EPKS5_PS5_PKlPlN2at6native12_GLOBAL__N_18offset_tEEE10hipError_tPvRmT1_PNSt15iterator_traitsISL_E10value_typeET2_T3_PNSM_ISR_E10value_typeET4_jRbjT5_SX_jjP12ihipStream_tbEUlT_E1_NS1_11comp_targetILNS1_3genE3ELNS1_11target_archE908ELNS1_3gpuE7ELNS1_3repE0EEENS1_59segmented_radix_sort_warp_sort_small_config_static_selectorELNS0_4arch9wavefront6targetE0EEEvSL_.has_recursion, 0
	.set _ZN7rocprim17ROCPRIM_400000_NS6detail17trampoline_kernelINS0_14default_configENS1_36segmented_radix_sort_config_selectorI6__halflEEZNS1_25segmented_radix_sort_implIS3_Lb0EPKS5_PS5_PKlPlN2at6native12_GLOBAL__N_18offset_tEEE10hipError_tPvRmT1_PNSt15iterator_traitsISL_E10value_typeET2_T3_PNSM_ISR_E10value_typeET4_jRbjT5_SX_jjP12ihipStream_tbEUlT_E1_NS1_11comp_targetILNS1_3genE3ELNS1_11target_archE908ELNS1_3gpuE7ELNS1_3repE0EEENS1_59segmented_radix_sort_warp_sort_small_config_static_selectorELNS0_4arch9wavefront6targetE0EEEvSL_.has_indirect_call, 0
	.section	.AMDGPU.csdata,"",@progbits
; Kernel info:
; codeLenInByte = 0
; TotalNumSgprs: 0
; NumVgprs: 0
; ScratchSize: 0
; MemoryBound: 0
; FloatMode: 240
; IeeeMode: 1
; LDSByteSize: 0 bytes/workgroup (compile time only)
; SGPRBlocks: 0
; VGPRBlocks: 0
; NumSGPRsForWavesPerEU: 1
; NumVGPRsForWavesPerEU: 1
; NamedBarCnt: 0
; Occupancy: 16
; WaveLimiterHint : 0
; COMPUTE_PGM_RSRC2:SCRATCH_EN: 0
; COMPUTE_PGM_RSRC2:USER_SGPR: 2
; COMPUTE_PGM_RSRC2:TRAP_HANDLER: 0
; COMPUTE_PGM_RSRC2:TGID_X_EN: 1
; COMPUTE_PGM_RSRC2:TGID_Y_EN: 0
; COMPUTE_PGM_RSRC2:TGID_Z_EN: 0
; COMPUTE_PGM_RSRC2:TIDIG_COMP_CNT: 0
	.section	.text._ZN7rocprim17ROCPRIM_400000_NS6detail17trampoline_kernelINS0_14default_configENS1_36segmented_radix_sort_config_selectorI6__halflEEZNS1_25segmented_radix_sort_implIS3_Lb0EPKS5_PS5_PKlPlN2at6native12_GLOBAL__N_18offset_tEEE10hipError_tPvRmT1_PNSt15iterator_traitsISL_E10value_typeET2_T3_PNSM_ISR_E10value_typeET4_jRbjT5_SX_jjP12ihipStream_tbEUlT_E1_NS1_11comp_targetILNS1_3genE2ELNS1_11target_archE906ELNS1_3gpuE6ELNS1_3repE0EEENS1_59segmented_radix_sort_warp_sort_small_config_static_selectorELNS0_4arch9wavefront6targetE0EEEvSL_,"axG",@progbits,_ZN7rocprim17ROCPRIM_400000_NS6detail17trampoline_kernelINS0_14default_configENS1_36segmented_radix_sort_config_selectorI6__halflEEZNS1_25segmented_radix_sort_implIS3_Lb0EPKS5_PS5_PKlPlN2at6native12_GLOBAL__N_18offset_tEEE10hipError_tPvRmT1_PNSt15iterator_traitsISL_E10value_typeET2_T3_PNSM_ISR_E10value_typeET4_jRbjT5_SX_jjP12ihipStream_tbEUlT_E1_NS1_11comp_targetILNS1_3genE2ELNS1_11target_archE906ELNS1_3gpuE6ELNS1_3repE0EEENS1_59segmented_radix_sort_warp_sort_small_config_static_selectorELNS0_4arch9wavefront6targetE0EEEvSL_,comdat
	.globl	_ZN7rocprim17ROCPRIM_400000_NS6detail17trampoline_kernelINS0_14default_configENS1_36segmented_radix_sort_config_selectorI6__halflEEZNS1_25segmented_radix_sort_implIS3_Lb0EPKS5_PS5_PKlPlN2at6native12_GLOBAL__N_18offset_tEEE10hipError_tPvRmT1_PNSt15iterator_traitsISL_E10value_typeET2_T3_PNSM_ISR_E10value_typeET4_jRbjT5_SX_jjP12ihipStream_tbEUlT_E1_NS1_11comp_targetILNS1_3genE2ELNS1_11target_archE906ELNS1_3gpuE6ELNS1_3repE0EEENS1_59segmented_radix_sort_warp_sort_small_config_static_selectorELNS0_4arch9wavefront6targetE0EEEvSL_ ; -- Begin function _ZN7rocprim17ROCPRIM_400000_NS6detail17trampoline_kernelINS0_14default_configENS1_36segmented_radix_sort_config_selectorI6__halflEEZNS1_25segmented_radix_sort_implIS3_Lb0EPKS5_PS5_PKlPlN2at6native12_GLOBAL__N_18offset_tEEE10hipError_tPvRmT1_PNSt15iterator_traitsISL_E10value_typeET2_T3_PNSM_ISR_E10value_typeET4_jRbjT5_SX_jjP12ihipStream_tbEUlT_E1_NS1_11comp_targetILNS1_3genE2ELNS1_11target_archE906ELNS1_3gpuE6ELNS1_3repE0EEENS1_59segmented_radix_sort_warp_sort_small_config_static_selectorELNS0_4arch9wavefront6targetE0EEEvSL_
	.p2align	8
	.type	_ZN7rocprim17ROCPRIM_400000_NS6detail17trampoline_kernelINS0_14default_configENS1_36segmented_radix_sort_config_selectorI6__halflEEZNS1_25segmented_radix_sort_implIS3_Lb0EPKS5_PS5_PKlPlN2at6native12_GLOBAL__N_18offset_tEEE10hipError_tPvRmT1_PNSt15iterator_traitsISL_E10value_typeET2_T3_PNSM_ISR_E10value_typeET4_jRbjT5_SX_jjP12ihipStream_tbEUlT_E1_NS1_11comp_targetILNS1_3genE2ELNS1_11target_archE906ELNS1_3gpuE6ELNS1_3repE0EEENS1_59segmented_radix_sort_warp_sort_small_config_static_selectorELNS0_4arch9wavefront6targetE0EEEvSL_,@function
_ZN7rocprim17ROCPRIM_400000_NS6detail17trampoline_kernelINS0_14default_configENS1_36segmented_radix_sort_config_selectorI6__halflEEZNS1_25segmented_radix_sort_implIS3_Lb0EPKS5_PS5_PKlPlN2at6native12_GLOBAL__N_18offset_tEEE10hipError_tPvRmT1_PNSt15iterator_traitsISL_E10value_typeET2_T3_PNSM_ISR_E10value_typeET4_jRbjT5_SX_jjP12ihipStream_tbEUlT_E1_NS1_11comp_targetILNS1_3genE2ELNS1_11target_archE906ELNS1_3gpuE6ELNS1_3repE0EEENS1_59segmented_radix_sort_warp_sort_small_config_static_selectorELNS0_4arch9wavefront6targetE0EEEvSL_: ; @_ZN7rocprim17ROCPRIM_400000_NS6detail17trampoline_kernelINS0_14default_configENS1_36segmented_radix_sort_config_selectorI6__halflEEZNS1_25segmented_radix_sort_implIS3_Lb0EPKS5_PS5_PKlPlN2at6native12_GLOBAL__N_18offset_tEEE10hipError_tPvRmT1_PNSt15iterator_traitsISL_E10value_typeET2_T3_PNSM_ISR_E10value_typeET4_jRbjT5_SX_jjP12ihipStream_tbEUlT_E1_NS1_11comp_targetILNS1_3genE2ELNS1_11target_archE906ELNS1_3gpuE6ELNS1_3repE0EEENS1_59segmented_radix_sort_warp_sort_small_config_static_selectorELNS0_4arch9wavefront6targetE0EEEvSL_
; %bb.0:
	.section	.rodata,"a",@progbits
	.p2align	6, 0x0
	.amdhsa_kernel _ZN7rocprim17ROCPRIM_400000_NS6detail17trampoline_kernelINS0_14default_configENS1_36segmented_radix_sort_config_selectorI6__halflEEZNS1_25segmented_radix_sort_implIS3_Lb0EPKS5_PS5_PKlPlN2at6native12_GLOBAL__N_18offset_tEEE10hipError_tPvRmT1_PNSt15iterator_traitsISL_E10value_typeET2_T3_PNSM_ISR_E10value_typeET4_jRbjT5_SX_jjP12ihipStream_tbEUlT_E1_NS1_11comp_targetILNS1_3genE2ELNS1_11target_archE906ELNS1_3gpuE6ELNS1_3repE0EEENS1_59segmented_radix_sort_warp_sort_small_config_static_selectorELNS0_4arch9wavefront6targetE0EEEvSL_
		.amdhsa_group_segment_fixed_size 0
		.amdhsa_private_segment_fixed_size 0
		.amdhsa_kernarg_size 88
		.amdhsa_user_sgpr_count 2
		.amdhsa_user_sgpr_dispatch_ptr 0
		.amdhsa_user_sgpr_queue_ptr 0
		.amdhsa_user_sgpr_kernarg_segment_ptr 1
		.amdhsa_user_sgpr_dispatch_id 0
		.amdhsa_user_sgpr_kernarg_preload_length 0
		.amdhsa_user_sgpr_kernarg_preload_offset 0
		.amdhsa_user_sgpr_private_segment_size 0
		.amdhsa_wavefront_size32 1
		.amdhsa_uses_dynamic_stack 0
		.amdhsa_enable_private_segment 0
		.amdhsa_system_sgpr_workgroup_id_x 1
		.amdhsa_system_sgpr_workgroup_id_y 0
		.amdhsa_system_sgpr_workgroup_id_z 0
		.amdhsa_system_sgpr_workgroup_info 0
		.amdhsa_system_vgpr_workitem_id 0
		.amdhsa_next_free_vgpr 1
		.amdhsa_next_free_sgpr 1
		.amdhsa_named_barrier_count 0
		.amdhsa_reserve_vcc 0
		.amdhsa_float_round_mode_32 0
		.amdhsa_float_round_mode_16_64 0
		.amdhsa_float_denorm_mode_32 3
		.amdhsa_float_denorm_mode_16_64 3
		.amdhsa_fp16_overflow 0
		.amdhsa_memory_ordered 1
		.amdhsa_forward_progress 1
		.amdhsa_inst_pref_size 0
		.amdhsa_round_robin_scheduling 0
		.amdhsa_exception_fp_ieee_invalid_op 0
		.amdhsa_exception_fp_denorm_src 0
		.amdhsa_exception_fp_ieee_div_zero 0
		.amdhsa_exception_fp_ieee_overflow 0
		.amdhsa_exception_fp_ieee_underflow 0
		.amdhsa_exception_fp_ieee_inexact 0
		.amdhsa_exception_int_div_zero 0
	.end_amdhsa_kernel
	.section	.text._ZN7rocprim17ROCPRIM_400000_NS6detail17trampoline_kernelINS0_14default_configENS1_36segmented_radix_sort_config_selectorI6__halflEEZNS1_25segmented_radix_sort_implIS3_Lb0EPKS5_PS5_PKlPlN2at6native12_GLOBAL__N_18offset_tEEE10hipError_tPvRmT1_PNSt15iterator_traitsISL_E10value_typeET2_T3_PNSM_ISR_E10value_typeET4_jRbjT5_SX_jjP12ihipStream_tbEUlT_E1_NS1_11comp_targetILNS1_3genE2ELNS1_11target_archE906ELNS1_3gpuE6ELNS1_3repE0EEENS1_59segmented_radix_sort_warp_sort_small_config_static_selectorELNS0_4arch9wavefront6targetE0EEEvSL_,"axG",@progbits,_ZN7rocprim17ROCPRIM_400000_NS6detail17trampoline_kernelINS0_14default_configENS1_36segmented_radix_sort_config_selectorI6__halflEEZNS1_25segmented_radix_sort_implIS3_Lb0EPKS5_PS5_PKlPlN2at6native12_GLOBAL__N_18offset_tEEE10hipError_tPvRmT1_PNSt15iterator_traitsISL_E10value_typeET2_T3_PNSM_ISR_E10value_typeET4_jRbjT5_SX_jjP12ihipStream_tbEUlT_E1_NS1_11comp_targetILNS1_3genE2ELNS1_11target_archE906ELNS1_3gpuE6ELNS1_3repE0EEENS1_59segmented_radix_sort_warp_sort_small_config_static_selectorELNS0_4arch9wavefront6targetE0EEEvSL_,comdat
.Lfunc_end1857:
	.size	_ZN7rocprim17ROCPRIM_400000_NS6detail17trampoline_kernelINS0_14default_configENS1_36segmented_radix_sort_config_selectorI6__halflEEZNS1_25segmented_radix_sort_implIS3_Lb0EPKS5_PS5_PKlPlN2at6native12_GLOBAL__N_18offset_tEEE10hipError_tPvRmT1_PNSt15iterator_traitsISL_E10value_typeET2_T3_PNSM_ISR_E10value_typeET4_jRbjT5_SX_jjP12ihipStream_tbEUlT_E1_NS1_11comp_targetILNS1_3genE2ELNS1_11target_archE906ELNS1_3gpuE6ELNS1_3repE0EEENS1_59segmented_radix_sort_warp_sort_small_config_static_selectorELNS0_4arch9wavefront6targetE0EEEvSL_, .Lfunc_end1857-_ZN7rocprim17ROCPRIM_400000_NS6detail17trampoline_kernelINS0_14default_configENS1_36segmented_radix_sort_config_selectorI6__halflEEZNS1_25segmented_radix_sort_implIS3_Lb0EPKS5_PS5_PKlPlN2at6native12_GLOBAL__N_18offset_tEEE10hipError_tPvRmT1_PNSt15iterator_traitsISL_E10value_typeET2_T3_PNSM_ISR_E10value_typeET4_jRbjT5_SX_jjP12ihipStream_tbEUlT_E1_NS1_11comp_targetILNS1_3genE2ELNS1_11target_archE906ELNS1_3gpuE6ELNS1_3repE0EEENS1_59segmented_radix_sort_warp_sort_small_config_static_selectorELNS0_4arch9wavefront6targetE0EEEvSL_
                                        ; -- End function
	.set _ZN7rocprim17ROCPRIM_400000_NS6detail17trampoline_kernelINS0_14default_configENS1_36segmented_radix_sort_config_selectorI6__halflEEZNS1_25segmented_radix_sort_implIS3_Lb0EPKS5_PS5_PKlPlN2at6native12_GLOBAL__N_18offset_tEEE10hipError_tPvRmT1_PNSt15iterator_traitsISL_E10value_typeET2_T3_PNSM_ISR_E10value_typeET4_jRbjT5_SX_jjP12ihipStream_tbEUlT_E1_NS1_11comp_targetILNS1_3genE2ELNS1_11target_archE906ELNS1_3gpuE6ELNS1_3repE0EEENS1_59segmented_radix_sort_warp_sort_small_config_static_selectorELNS0_4arch9wavefront6targetE0EEEvSL_.num_vgpr, 0
	.set _ZN7rocprim17ROCPRIM_400000_NS6detail17trampoline_kernelINS0_14default_configENS1_36segmented_radix_sort_config_selectorI6__halflEEZNS1_25segmented_radix_sort_implIS3_Lb0EPKS5_PS5_PKlPlN2at6native12_GLOBAL__N_18offset_tEEE10hipError_tPvRmT1_PNSt15iterator_traitsISL_E10value_typeET2_T3_PNSM_ISR_E10value_typeET4_jRbjT5_SX_jjP12ihipStream_tbEUlT_E1_NS1_11comp_targetILNS1_3genE2ELNS1_11target_archE906ELNS1_3gpuE6ELNS1_3repE0EEENS1_59segmented_radix_sort_warp_sort_small_config_static_selectorELNS0_4arch9wavefront6targetE0EEEvSL_.num_agpr, 0
	.set _ZN7rocprim17ROCPRIM_400000_NS6detail17trampoline_kernelINS0_14default_configENS1_36segmented_radix_sort_config_selectorI6__halflEEZNS1_25segmented_radix_sort_implIS3_Lb0EPKS5_PS5_PKlPlN2at6native12_GLOBAL__N_18offset_tEEE10hipError_tPvRmT1_PNSt15iterator_traitsISL_E10value_typeET2_T3_PNSM_ISR_E10value_typeET4_jRbjT5_SX_jjP12ihipStream_tbEUlT_E1_NS1_11comp_targetILNS1_3genE2ELNS1_11target_archE906ELNS1_3gpuE6ELNS1_3repE0EEENS1_59segmented_radix_sort_warp_sort_small_config_static_selectorELNS0_4arch9wavefront6targetE0EEEvSL_.numbered_sgpr, 0
	.set _ZN7rocprim17ROCPRIM_400000_NS6detail17trampoline_kernelINS0_14default_configENS1_36segmented_radix_sort_config_selectorI6__halflEEZNS1_25segmented_radix_sort_implIS3_Lb0EPKS5_PS5_PKlPlN2at6native12_GLOBAL__N_18offset_tEEE10hipError_tPvRmT1_PNSt15iterator_traitsISL_E10value_typeET2_T3_PNSM_ISR_E10value_typeET4_jRbjT5_SX_jjP12ihipStream_tbEUlT_E1_NS1_11comp_targetILNS1_3genE2ELNS1_11target_archE906ELNS1_3gpuE6ELNS1_3repE0EEENS1_59segmented_radix_sort_warp_sort_small_config_static_selectorELNS0_4arch9wavefront6targetE0EEEvSL_.num_named_barrier, 0
	.set _ZN7rocprim17ROCPRIM_400000_NS6detail17trampoline_kernelINS0_14default_configENS1_36segmented_radix_sort_config_selectorI6__halflEEZNS1_25segmented_radix_sort_implIS3_Lb0EPKS5_PS5_PKlPlN2at6native12_GLOBAL__N_18offset_tEEE10hipError_tPvRmT1_PNSt15iterator_traitsISL_E10value_typeET2_T3_PNSM_ISR_E10value_typeET4_jRbjT5_SX_jjP12ihipStream_tbEUlT_E1_NS1_11comp_targetILNS1_3genE2ELNS1_11target_archE906ELNS1_3gpuE6ELNS1_3repE0EEENS1_59segmented_radix_sort_warp_sort_small_config_static_selectorELNS0_4arch9wavefront6targetE0EEEvSL_.private_seg_size, 0
	.set _ZN7rocprim17ROCPRIM_400000_NS6detail17trampoline_kernelINS0_14default_configENS1_36segmented_radix_sort_config_selectorI6__halflEEZNS1_25segmented_radix_sort_implIS3_Lb0EPKS5_PS5_PKlPlN2at6native12_GLOBAL__N_18offset_tEEE10hipError_tPvRmT1_PNSt15iterator_traitsISL_E10value_typeET2_T3_PNSM_ISR_E10value_typeET4_jRbjT5_SX_jjP12ihipStream_tbEUlT_E1_NS1_11comp_targetILNS1_3genE2ELNS1_11target_archE906ELNS1_3gpuE6ELNS1_3repE0EEENS1_59segmented_radix_sort_warp_sort_small_config_static_selectorELNS0_4arch9wavefront6targetE0EEEvSL_.uses_vcc, 0
	.set _ZN7rocprim17ROCPRIM_400000_NS6detail17trampoline_kernelINS0_14default_configENS1_36segmented_radix_sort_config_selectorI6__halflEEZNS1_25segmented_radix_sort_implIS3_Lb0EPKS5_PS5_PKlPlN2at6native12_GLOBAL__N_18offset_tEEE10hipError_tPvRmT1_PNSt15iterator_traitsISL_E10value_typeET2_T3_PNSM_ISR_E10value_typeET4_jRbjT5_SX_jjP12ihipStream_tbEUlT_E1_NS1_11comp_targetILNS1_3genE2ELNS1_11target_archE906ELNS1_3gpuE6ELNS1_3repE0EEENS1_59segmented_radix_sort_warp_sort_small_config_static_selectorELNS0_4arch9wavefront6targetE0EEEvSL_.uses_flat_scratch, 0
	.set _ZN7rocprim17ROCPRIM_400000_NS6detail17trampoline_kernelINS0_14default_configENS1_36segmented_radix_sort_config_selectorI6__halflEEZNS1_25segmented_radix_sort_implIS3_Lb0EPKS5_PS5_PKlPlN2at6native12_GLOBAL__N_18offset_tEEE10hipError_tPvRmT1_PNSt15iterator_traitsISL_E10value_typeET2_T3_PNSM_ISR_E10value_typeET4_jRbjT5_SX_jjP12ihipStream_tbEUlT_E1_NS1_11comp_targetILNS1_3genE2ELNS1_11target_archE906ELNS1_3gpuE6ELNS1_3repE0EEENS1_59segmented_radix_sort_warp_sort_small_config_static_selectorELNS0_4arch9wavefront6targetE0EEEvSL_.has_dyn_sized_stack, 0
	.set _ZN7rocprim17ROCPRIM_400000_NS6detail17trampoline_kernelINS0_14default_configENS1_36segmented_radix_sort_config_selectorI6__halflEEZNS1_25segmented_radix_sort_implIS3_Lb0EPKS5_PS5_PKlPlN2at6native12_GLOBAL__N_18offset_tEEE10hipError_tPvRmT1_PNSt15iterator_traitsISL_E10value_typeET2_T3_PNSM_ISR_E10value_typeET4_jRbjT5_SX_jjP12ihipStream_tbEUlT_E1_NS1_11comp_targetILNS1_3genE2ELNS1_11target_archE906ELNS1_3gpuE6ELNS1_3repE0EEENS1_59segmented_radix_sort_warp_sort_small_config_static_selectorELNS0_4arch9wavefront6targetE0EEEvSL_.has_recursion, 0
	.set _ZN7rocprim17ROCPRIM_400000_NS6detail17trampoline_kernelINS0_14default_configENS1_36segmented_radix_sort_config_selectorI6__halflEEZNS1_25segmented_radix_sort_implIS3_Lb0EPKS5_PS5_PKlPlN2at6native12_GLOBAL__N_18offset_tEEE10hipError_tPvRmT1_PNSt15iterator_traitsISL_E10value_typeET2_T3_PNSM_ISR_E10value_typeET4_jRbjT5_SX_jjP12ihipStream_tbEUlT_E1_NS1_11comp_targetILNS1_3genE2ELNS1_11target_archE906ELNS1_3gpuE6ELNS1_3repE0EEENS1_59segmented_radix_sort_warp_sort_small_config_static_selectorELNS0_4arch9wavefront6targetE0EEEvSL_.has_indirect_call, 0
	.section	.AMDGPU.csdata,"",@progbits
; Kernel info:
; codeLenInByte = 0
; TotalNumSgprs: 0
; NumVgprs: 0
; ScratchSize: 0
; MemoryBound: 0
; FloatMode: 240
; IeeeMode: 1
; LDSByteSize: 0 bytes/workgroup (compile time only)
; SGPRBlocks: 0
; VGPRBlocks: 0
; NumSGPRsForWavesPerEU: 1
; NumVGPRsForWavesPerEU: 1
; NamedBarCnt: 0
; Occupancy: 16
; WaveLimiterHint : 0
; COMPUTE_PGM_RSRC2:SCRATCH_EN: 0
; COMPUTE_PGM_RSRC2:USER_SGPR: 2
; COMPUTE_PGM_RSRC2:TRAP_HANDLER: 0
; COMPUTE_PGM_RSRC2:TGID_X_EN: 1
; COMPUTE_PGM_RSRC2:TGID_Y_EN: 0
; COMPUTE_PGM_RSRC2:TGID_Z_EN: 0
; COMPUTE_PGM_RSRC2:TIDIG_COMP_CNT: 0
	.section	.text._ZN7rocprim17ROCPRIM_400000_NS6detail17trampoline_kernelINS0_14default_configENS1_36segmented_radix_sort_config_selectorI6__halflEEZNS1_25segmented_radix_sort_implIS3_Lb0EPKS5_PS5_PKlPlN2at6native12_GLOBAL__N_18offset_tEEE10hipError_tPvRmT1_PNSt15iterator_traitsISL_E10value_typeET2_T3_PNSM_ISR_E10value_typeET4_jRbjT5_SX_jjP12ihipStream_tbEUlT_E1_NS1_11comp_targetILNS1_3genE10ELNS1_11target_archE1201ELNS1_3gpuE5ELNS1_3repE0EEENS1_59segmented_radix_sort_warp_sort_small_config_static_selectorELNS0_4arch9wavefront6targetE0EEEvSL_,"axG",@progbits,_ZN7rocprim17ROCPRIM_400000_NS6detail17trampoline_kernelINS0_14default_configENS1_36segmented_radix_sort_config_selectorI6__halflEEZNS1_25segmented_radix_sort_implIS3_Lb0EPKS5_PS5_PKlPlN2at6native12_GLOBAL__N_18offset_tEEE10hipError_tPvRmT1_PNSt15iterator_traitsISL_E10value_typeET2_T3_PNSM_ISR_E10value_typeET4_jRbjT5_SX_jjP12ihipStream_tbEUlT_E1_NS1_11comp_targetILNS1_3genE10ELNS1_11target_archE1201ELNS1_3gpuE5ELNS1_3repE0EEENS1_59segmented_radix_sort_warp_sort_small_config_static_selectorELNS0_4arch9wavefront6targetE0EEEvSL_,comdat
	.globl	_ZN7rocprim17ROCPRIM_400000_NS6detail17trampoline_kernelINS0_14default_configENS1_36segmented_radix_sort_config_selectorI6__halflEEZNS1_25segmented_radix_sort_implIS3_Lb0EPKS5_PS5_PKlPlN2at6native12_GLOBAL__N_18offset_tEEE10hipError_tPvRmT1_PNSt15iterator_traitsISL_E10value_typeET2_T3_PNSM_ISR_E10value_typeET4_jRbjT5_SX_jjP12ihipStream_tbEUlT_E1_NS1_11comp_targetILNS1_3genE10ELNS1_11target_archE1201ELNS1_3gpuE5ELNS1_3repE0EEENS1_59segmented_radix_sort_warp_sort_small_config_static_selectorELNS0_4arch9wavefront6targetE0EEEvSL_ ; -- Begin function _ZN7rocprim17ROCPRIM_400000_NS6detail17trampoline_kernelINS0_14default_configENS1_36segmented_radix_sort_config_selectorI6__halflEEZNS1_25segmented_radix_sort_implIS3_Lb0EPKS5_PS5_PKlPlN2at6native12_GLOBAL__N_18offset_tEEE10hipError_tPvRmT1_PNSt15iterator_traitsISL_E10value_typeET2_T3_PNSM_ISR_E10value_typeET4_jRbjT5_SX_jjP12ihipStream_tbEUlT_E1_NS1_11comp_targetILNS1_3genE10ELNS1_11target_archE1201ELNS1_3gpuE5ELNS1_3repE0EEENS1_59segmented_radix_sort_warp_sort_small_config_static_selectorELNS0_4arch9wavefront6targetE0EEEvSL_
	.p2align	8
	.type	_ZN7rocprim17ROCPRIM_400000_NS6detail17trampoline_kernelINS0_14default_configENS1_36segmented_radix_sort_config_selectorI6__halflEEZNS1_25segmented_radix_sort_implIS3_Lb0EPKS5_PS5_PKlPlN2at6native12_GLOBAL__N_18offset_tEEE10hipError_tPvRmT1_PNSt15iterator_traitsISL_E10value_typeET2_T3_PNSM_ISR_E10value_typeET4_jRbjT5_SX_jjP12ihipStream_tbEUlT_E1_NS1_11comp_targetILNS1_3genE10ELNS1_11target_archE1201ELNS1_3gpuE5ELNS1_3repE0EEENS1_59segmented_radix_sort_warp_sort_small_config_static_selectorELNS0_4arch9wavefront6targetE0EEEvSL_,@function
_ZN7rocprim17ROCPRIM_400000_NS6detail17trampoline_kernelINS0_14default_configENS1_36segmented_radix_sort_config_selectorI6__halflEEZNS1_25segmented_radix_sort_implIS3_Lb0EPKS5_PS5_PKlPlN2at6native12_GLOBAL__N_18offset_tEEE10hipError_tPvRmT1_PNSt15iterator_traitsISL_E10value_typeET2_T3_PNSM_ISR_E10value_typeET4_jRbjT5_SX_jjP12ihipStream_tbEUlT_E1_NS1_11comp_targetILNS1_3genE10ELNS1_11target_archE1201ELNS1_3gpuE5ELNS1_3repE0EEENS1_59segmented_radix_sort_warp_sort_small_config_static_selectorELNS0_4arch9wavefront6targetE0EEEvSL_: ; @_ZN7rocprim17ROCPRIM_400000_NS6detail17trampoline_kernelINS0_14default_configENS1_36segmented_radix_sort_config_selectorI6__halflEEZNS1_25segmented_radix_sort_implIS3_Lb0EPKS5_PS5_PKlPlN2at6native12_GLOBAL__N_18offset_tEEE10hipError_tPvRmT1_PNSt15iterator_traitsISL_E10value_typeET2_T3_PNSM_ISR_E10value_typeET4_jRbjT5_SX_jjP12ihipStream_tbEUlT_E1_NS1_11comp_targetILNS1_3genE10ELNS1_11target_archE1201ELNS1_3gpuE5ELNS1_3repE0EEENS1_59segmented_radix_sort_warp_sort_small_config_static_selectorELNS0_4arch9wavefront6targetE0EEEvSL_
; %bb.0:
	.section	.rodata,"a",@progbits
	.p2align	6, 0x0
	.amdhsa_kernel _ZN7rocprim17ROCPRIM_400000_NS6detail17trampoline_kernelINS0_14default_configENS1_36segmented_radix_sort_config_selectorI6__halflEEZNS1_25segmented_radix_sort_implIS3_Lb0EPKS5_PS5_PKlPlN2at6native12_GLOBAL__N_18offset_tEEE10hipError_tPvRmT1_PNSt15iterator_traitsISL_E10value_typeET2_T3_PNSM_ISR_E10value_typeET4_jRbjT5_SX_jjP12ihipStream_tbEUlT_E1_NS1_11comp_targetILNS1_3genE10ELNS1_11target_archE1201ELNS1_3gpuE5ELNS1_3repE0EEENS1_59segmented_radix_sort_warp_sort_small_config_static_selectorELNS0_4arch9wavefront6targetE0EEEvSL_
		.amdhsa_group_segment_fixed_size 0
		.amdhsa_private_segment_fixed_size 0
		.amdhsa_kernarg_size 88
		.amdhsa_user_sgpr_count 2
		.amdhsa_user_sgpr_dispatch_ptr 0
		.amdhsa_user_sgpr_queue_ptr 0
		.amdhsa_user_sgpr_kernarg_segment_ptr 1
		.amdhsa_user_sgpr_dispatch_id 0
		.amdhsa_user_sgpr_kernarg_preload_length 0
		.amdhsa_user_sgpr_kernarg_preload_offset 0
		.amdhsa_user_sgpr_private_segment_size 0
		.amdhsa_wavefront_size32 1
		.amdhsa_uses_dynamic_stack 0
		.amdhsa_enable_private_segment 0
		.amdhsa_system_sgpr_workgroup_id_x 1
		.amdhsa_system_sgpr_workgroup_id_y 0
		.amdhsa_system_sgpr_workgroup_id_z 0
		.amdhsa_system_sgpr_workgroup_info 0
		.amdhsa_system_vgpr_workitem_id 0
		.amdhsa_next_free_vgpr 1
		.amdhsa_next_free_sgpr 1
		.amdhsa_named_barrier_count 0
		.amdhsa_reserve_vcc 0
		.amdhsa_float_round_mode_32 0
		.amdhsa_float_round_mode_16_64 0
		.amdhsa_float_denorm_mode_32 3
		.amdhsa_float_denorm_mode_16_64 3
		.amdhsa_fp16_overflow 0
		.amdhsa_memory_ordered 1
		.amdhsa_forward_progress 1
		.amdhsa_inst_pref_size 0
		.amdhsa_round_robin_scheduling 0
		.amdhsa_exception_fp_ieee_invalid_op 0
		.amdhsa_exception_fp_denorm_src 0
		.amdhsa_exception_fp_ieee_div_zero 0
		.amdhsa_exception_fp_ieee_overflow 0
		.amdhsa_exception_fp_ieee_underflow 0
		.amdhsa_exception_fp_ieee_inexact 0
		.amdhsa_exception_int_div_zero 0
	.end_amdhsa_kernel
	.section	.text._ZN7rocprim17ROCPRIM_400000_NS6detail17trampoline_kernelINS0_14default_configENS1_36segmented_radix_sort_config_selectorI6__halflEEZNS1_25segmented_radix_sort_implIS3_Lb0EPKS5_PS5_PKlPlN2at6native12_GLOBAL__N_18offset_tEEE10hipError_tPvRmT1_PNSt15iterator_traitsISL_E10value_typeET2_T3_PNSM_ISR_E10value_typeET4_jRbjT5_SX_jjP12ihipStream_tbEUlT_E1_NS1_11comp_targetILNS1_3genE10ELNS1_11target_archE1201ELNS1_3gpuE5ELNS1_3repE0EEENS1_59segmented_radix_sort_warp_sort_small_config_static_selectorELNS0_4arch9wavefront6targetE0EEEvSL_,"axG",@progbits,_ZN7rocprim17ROCPRIM_400000_NS6detail17trampoline_kernelINS0_14default_configENS1_36segmented_radix_sort_config_selectorI6__halflEEZNS1_25segmented_radix_sort_implIS3_Lb0EPKS5_PS5_PKlPlN2at6native12_GLOBAL__N_18offset_tEEE10hipError_tPvRmT1_PNSt15iterator_traitsISL_E10value_typeET2_T3_PNSM_ISR_E10value_typeET4_jRbjT5_SX_jjP12ihipStream_tbEUlT_E1_NS1_11comp_targetILNS1_3genE10ELNS1_11target_archE1201ELNS1_3gpuE5ELNS1_3repE0EEENS1_59segmented_radix_sort_warp_sort_small_config_static_selectorELNS0_4arch9wavefront6targetE0EEEvSL_,comdat
.Lfunc_end1858:
	.size	_ZN7rocprim17ROCPRIM_400000_NS6detail17trampoline_kernelINS0_14default_configENS1_36segmented_radix_sort_config_selectorI6__halflEEZNS1_25segmented_radix_sort_implIS3_Lb0EPKS5_PS5_PKlPlN2at6native12_GLOBAL__N_18offset_tEEE10hipError_tPvRmT1_PNSt15iterator_traitsISL_E10value_typeET2_T3_PNSM_ISR_E10value_typeET4_jRbjT5_SX_jjP12ihipStream_tbEUlT_E1_NS1_11comp_targetILNS1_3genE10ELNS1_11target_archE1201ELNS1_3gpuE5ELNS1_3repE0EEENS1_59segmented_radix_sort_warp_sort_small_config_static_selectorELNS0_4arch9wavefront6targetE0EEEvSL_, .Lfunc_end1858-_ZN7rocprim17ROCPRIM_400000_NS6detail17trampoline_kernelINS0_14default_configENS1_36segmented_radix_sort_config_selectorI6__halflEEZNS1_25segmented_radix_sort_implIS3_Lb0EPKS5_PS5_PKlPlN2at6native12_GLOBAL__N_18offset_tEEE10hipError_tPvRmT1_PNSt15iterator_traitsISL_E10value_typeET2_T3_PNSM_ISR_E10value_typeET4_jRbjT5_SX_jjP12ihipStream_tbEUlT_E1_NS1_11comp_targetILNS1_3genE10ELNS1_11target_archE1201ELNS1_3gpuE5ELNS1_3repE0EEENS1_59segmented_radix_sort_warp_sort_small_config_static_selectorELNS0_4arch9wavefront6targetE0EEEvSL_
                                        ; -- End function
	.set _ZN7rocprim17ROCPRIM_400000_NS6detail17trampoline_kernelINS0_14default_configENS1_36segmented_radix_sort_config_selectorI6__halflEEZNS1_25segmented_radix_sort_implIS3_Lb0EPKS5_PS5_PKlPlN2at6native12_GLOBAL__N_18offset_tEEE10hipError_tPvRmT1_PNSt15iterator_traitsISL_E10value_typeET2_T3_PNSM_ISR_E10value_typeET4_jRbjT5_SX_jjP12ihipStream_tbEUlT_E1_NS1_11comp_targetILNS1_3genE10ELNS1_11target_archE1201ELNS1_3gpuE5ELNS1_3repE0EEENS1_59segmented_radix_sort_warp_sort_small_config_static_selectorELNS0_4arch9wavefront6targetE0EEEvSL_.num_vgpr, 0
	.set _ZN7rocprim17ROCPRIM_400000_NS6detail17trampoline_kernelINS0_14default_configENS1_36segmented_radix_sort_config_selectorI6__halflEEZNS1_25segmented_radix_sort_implIS3_Lb0EPKS5_PS5_PKlPlN2at6native12_GLOBAL__N_18offset_tEEE10hipError_tPvRmT1_PNSt15iterator_traitsISL_E10value_typeET2_T3_PNSM_ISR_E10value_typeET4_jRbjT5_SX_jjP12ihipStream_tbEUlT_E1_NS1_11comp_targetILNS1_3genE10ELNS1_11target_archE1201ELNS1_3gpuE5ELNS1_3repE0EEENS1_59segmented_radix_sort_warp_sort_small_config_static_selectorELNS0_4arch9wavefront6targetE0EEEvSL_.num_agpr, 0
	.set _ZN7rocprim17ROCPRIM_400000_NS6detail17trampoline_kernelINS0_14default_configENS1_36segmented_radix_sort_config_selectorI6__halflEEZNS1_25segmented_radix_sort_implIS3_Lb0EPKS5_PS5_PKlPlN2at6native12_GLOBAL__N_18offset_tEEE10hipError_tPvRmT1_PNSt15iterator_traitsISL_E10value_typeET2_T3_PNSM_ISR_E10value_typeET4_jRbjT5_SX_jjP12ihipStream_tbEUlT_E1_NS1_11comp_targetILNS1_3genE10ELNS1_11target_archE1201ELNS1_3gpuE5ELNS1_3repE0EEENS1_59segmented_radix_sort_warp_sort_small_config_static_selectorELNS0_4arch9wavefront6targetE0EEEvSL_.numbered_sgpr, 0
	.set _ZN7rocprim17ROCPRIM_400000_NS6detail17trampoline_kernelINS0_14default_configENS1_36segmented_radix_sort_config_selectorI6__halflEEZNS1_25segmented_radix_sort_implIS3_Lb0EPKS5_PS5_PKlPlN2at6native12_GLOBAL__N_18offset_tEEE10hipError_tPvRmT1_PNSt15iterator_traitsISL_E10value_typeET2_T3_PNSM_ISR_E10value_typeET4_jRbjT5_SX_jjP12ihipStream_tbEUlT_E1_NS1_11comp_targetILNS1_3genE10ELNS1_11target_archE1201ELNS1_3gpuE5ELNS1_3repE0EEENS1_59segmented_radix_sort_warp_sort_small_config_static_selectorELNS0_4arch9wavefront6targetE0EEEvSL_.num_named_barrier, 0
	.set _ZN7rocprim17ROCPRIM_400000_NS6detail17trampoline_kernelINS0_14default_configENS1_36segmented_radix_sort_config_selectorI6__halflEEZNS1_25segmented_radix_sort_implIS3_Lb0EPKS5_PS5_PKlPlN2at6native12_GLOBAL__N_18offset_tEEE10hipError_tPvRmT1_PNSt15iterator_traitsISL_E10value_typeET2_T3_PNSM_ISR_E10value_typeET4_jRbjT5_SX_jjP12ihipStream_tbEUlT_E1_NS1_11comp_targetILNS1_3genE10ELNS1_11target_archE1201ELNS1_3gpuE5ELNS1_3repE0EEENS1_59segmented_radix_sort_warp_sort_small_config_static_selectorELNS0_4arch9wavefront6targetE0EEEvSL_.private_seg_size, 0
	.set _ZN7rocprim17ROCPRIM_400000_NS6detail17trampoline_kernelINS0_14default_configENS1_36segmented_radix_sort_config_selectorI6__halflEEZNS1_25segmented_radix_sort_implIS3_Lb0EPKS5_PS5_PKlPlN2at6native12_GLOBAL__N_18offset_tEEE10hipError_tPvRmT1_PNSt15iterator_traitsISL_E10value_typeET2_T3_PNSM_ISR_E10value_typeET4_jRbjT5_SX_jjP12ihipStream_tbEUlT_E1_NS1_11comp_targetILNS1_3genE10ELNS1_11target_archE1201ELNS1_3gpuE5ELNS1_3repE0EEENS1_59segmented_radix_sort_warp_sort_small_config_static_selectorELNS0_4arch9wavefront6targetE0EEEvSL_.uses_vcc, 0
	.set _ZN7rocprim17ROCPRIM_400000_NS6detail17trampoline_kernelINS0_14default_configENS1_36segmented_radix_sort_config_selectorI6__halflEEZNS1_25segmented_radix_sort_implIS3_Lb0EPKS5_PS5_PKlPlN2at6native12_GLOBAL__N_18offset_tEEE10hipError_tPvRmT1_PNSt15iterator_traitsISL_E10value_typeET2_T3_PNSM_ISR_E10value_typeET4_jRbjT5_SX_jjP12ihipStream_tbEUlT_E1_NS1_11comp_targetILNS1_3genE10ELNS1_11target_archE1201ELNS1_3gpuE5ELNS1_3repE0EEENS1_59segmented_radix_sort_warp_sort_small_config_static_selectorELNS0_4arch9wavefront6targetE0EEEvSL_.uses_flat_scratch, 0
	.set _ZN7rocprim17ROCPRIM_400000_NS6detail17trampoline_kernelINS0_14default_configENS1_36segmented_radix_sort_config_selectorI6__halflEEZNS1_25segmented_radix_sort_implIS3_Lb0EPKS5_PS5_PKlPlN2at6native12_GLOBAL__N_18offset_tEEE10hipError_tPvRmT1_PNSt15iterator_traitsISL_E10value_typeET2_T3_PNSM_ISR_E10value_typeET4_jRbjT5_SX_jjP12ihipStream_tbEUlT_E1_NS1_11comp_targetILNS1_3genE10ELNS1_11target_archE1201ELNS1_3gpuE5ELNS1_3repE0EEENS1_59segmented_radix_sort_warp_sort_small_config_static_selectorELNS0_4arch9wavefront6targetE0EEEvSL_.has_dyn_sized_stack, 0
	.set _ZN7rocprim17ROCPRIM_400000_NS6detail17trampoline_kernelINS0_14default_configENS1_36segmented_radix_sort_config_selectorI6__halflEEZNS1_25segmented_radix_sort_implIS3_Lb0EPKS5_PS5_PKlPlN2at6native12_GLOBAL__N_18offset_tEEE10hipError_tPvRmT1_PNSt15iterator_traitsISL_E10value_typeET2_T3_PNSM_ISR_E10value_typeET4_jRbjT5_SX_jjP12ihipStream_tbEUlT_E1_NS1_11comp_targetILNS1_3genE10ELNS1_11target_archE1201ELNS1_3gpuE5ELNS1_3repE0EEENS1_59segmented_radix_sort_warp_sort_small_config_static_selectorELNS0_4arch9wavefront6targetE0EEEvSL_.has_recursion, 0
	.set _ZN7rocprim17ROCPRIM_400000_NS6detail17trampoline_kernelINS0_14default_configENS1_36segmented_radix_sort_config_selectorI6__halflEEZNS1_25segmented_radix_sort_implIS3_Lb0EPKS5_PS5_PKlPlN2at6native12_GLOBAL__N_18offset_tEEE10hipError_tPvRmT1_PNSt15iterator_traitsISL_E10value_typeET2_T3_PNSM_ISR_E10value_typeET4_jRbjT5_SX_jjP12ihipStream_tbEUlT_E1_NS1_11comp_targetILNS1_3genE10ELNS1_11target_archE1201ELNS1_3gpuE5ELNS1_3repE0EEENS1_59segmented_radix_sort_warp_sort_small_config_static_selectorELNS0_4arch9wavefront6targetE0EEEvSL_.has_indirect_call, 0
	.section	.AMDGPU.csdata,"",@progbits
; Kernel info:
; codeLenInByte = 0
; TotalNumSgprs: 0
; NumVgprs: 0
; ScratchSize: 0
; MemoryBound: 0
; FloatMode: 240
; IeeeMode: 1
; LDSByteSize: 0 bytes/workgroup (compile time only)
; SGPRBlocks: 0
; VGPRBlocks: 0
; NumSGPRsForWavesPerEU: 1
; NumVGPRsForWavesPerEU: 1
; NamedBarCnt: 0
; Occupancy: 16
; WaveLimiterHint : 0
; COMPUTE_PGM_RSRC2:SCRATCH_EN: 0
; COMPUTE_PGM_RSRC2:USER_SGPR: 2
; COMPUTE_PGM_RSRC2:TRAP_HANDLER: 0
; COMPUTE_PGM_RSRC2:TGID_X_EN: 1
; COMPUTE_PGM_RSRC2:TGID_Y_EN: 0
; COMPUTE_PGM_RSRC2:TGID_Z_EN: 0
; COMPUTE_PGM_RSRC2:TIDIG_COMP_CNT: 0
	.section	.text._ZN7rocprim17ROCPRIM_400000_NS6detail17trampoline_kernelINS0_14default_configENS1_36segmented_radix_sort_config_selectorI6__halflEEZNS1_25segmented_radix_sort_implIS3_Lb0EPKS5_PS5_PKlPlN2at6native12_GLOBAL__N_18offset_tEEE10hipError_tPvRmT1_PNSt15iterator_traitsISL_E10value_typeET2_T3_PNSM_ISR_E10value_typeET4_jRbjT5_SX_jjP12ihipStream_tbEUlT_E1_NS1_11comp_targetILNS1_3genE10ELNS1_11target_archE1200ELNS1_3gpuE4ELNS1_3repE0EEENS1_59segmented_radix_sort_warp_sort_small_config_static_selectorELNS0_4arch9wavefront6targetE0EEEvSL_,"axG",@progbits,_ZN7rocprim17ROCPRIM_400000_NS6detail17trampoline_kernelINS0_14default_configENS1_36segmented_radix_sort_config_selectorI6__halflEEZNS1_25segmented_radix_sort_implIS3_Lb0EPKS5_PS5_PKlPlN2at6native12_GLOBAL__N_18offset_tEEE10hipError_tPvRmT1_PNSt15iterator_traitsISL_E10value_typeET2_T3_PNSM_ISR_E10value_typeET4_jRbjT5_SX_jjP12ihipStream_tbEUlT_E1_NS1_11comp_targetILNS1_3genE10ELNS1_11target_archE1200ELNS1_3gpuE4ELNS1_3repE0EEENS1_59segmented_radix_sort_warp_sort_small_config_static_selectorELNS0_4arch9wavefront6targetE0EEEvSL_,comdat
	.globl	_ZN7rocprim17ROCPRIM_400000_NS6detail17trampoline_kernelINS0_14default_configENS1_36segmented_radix_sort_config_selectorI6__halflEEZNS1_25segmented_radix_sort_implIS3_Lb0EPKS5_PS5_PKlPlN2at6native12_GLOBAL__N_18offset_tEEE10hipError_tPvRmT1_PNSt15iterator_traitsISL_E10value_typeET2_T3_PNSM_ISR_E10value_typeET4_jRbjT5_SX_jjP12ihipStream_tbEUlT_E1_NS1_11comp_targetILNS1_3genE10ELNS1_11target_archE1200ELNS1_3gpuE4ELNS1_3repE0EEENS1_59segmented_radix_sort_warp_sort_small_config_static_selectorELNS0_4arch9wavefront6targetE0EEEvSL_ ; -- Begin function _ZN7rocprim17ROCPRIM_400000_NS6detail17trampoline_kernelINS0_14default_configENS1_36segmented_radix_sort_config_selectorI6__halflEEZNS1_25segmented_radix_sort_implIS3_Lb0EPKS5_PS5_PKlPlN2at6native12_GLOBAL__N_18offset_tEEE10hipError_tPvRmT1_PNSt15iterator_traitsISL_E10value_typeET2_T3_PNSM_ISR_E10value_typeET4_jRbjT5_SX_jjP12ihipStream_tbEUlT_E1_NS1_11comp_targetILNS1_3genE10ELNS1_11target_archE1200ELNS1_3gpuE4ELNS1_3repE0EEENS1_59segmented_radix_sort_warp_sort_small_config_static_selectorELNS0_4arch9wavefront6targetE0EEEvSL_
	.p2align	8
	.type	_ZN7rocprim17ROCPRIM_400000_NS6detail17trampoline_kernelINS0_14default_configENS1_36segmented_radix_sort_config_selectorI6__halflEEZNS1_25segmented_radix_sort_implIS3_Lb0EPKS5_PS5_PKlPlN2at6native12_GLOBAL__N_18offset_tEEE10hipError_tPvRmT1_PNSt15iterator_traitsISL_E10value_typeET2_T3_PNSM_ISR_E10value_typeET4_jRbjT5_SX_jjP12ihipStream_tbEUlT_E1_NS1_11comp_targetILNS1_3genE10ELNS1_11target_archE1200ELNS1_3gpuE4ELNS1_3repE0EEENS1_59segmented_radix_sort_warp_sort_small_config_static_selectorELNS0_4arch9wavefront6targetE0EEEvSL_,@function
_ZN7rocprim17ROCPRIM_400000_NS6detail17trampoline_kernelINS0_14default_configENS1_36segmented_radix_sort_config_selectorI6__halflEEZNS1_25segmented_radix_sort_implIS3_Lb0EPKS5_PS5_PKlPlN2at6native12_GLOBAL__N_18offset_tEEE10hipError_tPvRmT1_PNSt15iterator_traitsISL_E10value_typeET2_T3_PNSM_ISR_E10value_typeET4_jRbjT5_SX_jjP12ihipStream_tbEUlT_E1_NS1_11comp_targetILNS1_3genE10ELNS1_11target_archE1200ELNS1_3gpuE4ELNS1_3repE0EEENS1_59segmented_radix_sort_warp_sort_small_config_static_selectorELNS0_4arch9wavefront6targetE0EEEvSL_: ; @_ZN7rocprim17ROCPRIM_400000_NS6detail17trampoline_kernelINS0_14default_configENS1_36segmented_radix_sort_config_selectorI6__halflEEZNS1_25segmented_radix_sort_implIS3_Lb0EPKS5_PS5_PKlPlN2at6native12_GLOBAL__N_18offset_tEEE10hipError_tPvRmT1_PNSt15iterator_traitsISL_E10value_typeET2_T3_PNSM_ISR_E10value_typeET4_jRbjT5_SX_jjP12ihipStream_tbEUlT_E1_NS1_11comp_targetILNS1_3genE10ELNS1_11target_archE1200ELNS1_3gpuE4ELNS1_3repE0EEENS1_59segmented_radix_sort_warp_sort_small_config_static_selectorELNS0_4arch9wavefront6targetE0EEEvSL_
; %bb.0:
	.section	.rodata,"a",@progbits
	.p2align	6, 0x0
	.amdhsa_kernel _ZN7rocprim17ROCPRIM_400000_NS6detail17trampoline_kernelINS0_14default_configENS1_36segmented_radix_sort_config_selectorI6__halflEEZNS1_25segmented_radix_sort_implIS3_Lb0EPKS5_PS5_PKlPlN2at6native12_GLOBAL__N_18offset_tEEE10hipError_tPvRmT1_PNSt15iterator_traitsISL_E10value_typeET2_T3_PNSM_ISR_E10value_typeET4_jRbjT5_SX_jjP12ihipStream_tbEUlT_E1_NS1_11comp_targetILNS1_3genE10ELNS1_11target_archE1200ELNS1_3gpuE4ELNS1_3repE0EEENS1_59segmented_radix_sort_warp_sort_small_config_static_selectorELNS0_4arch9wavefront6targetE0EEEvSL_
		.amdhsa_group_segment_fixed_size 0
		.amdhsa_private_segment_fixed_size 0
		.amdhsa_kernarg_size 88
		.amdhsa_user_sgpr_count 2
		.amdhsa_user_sgpr_dispatch_ptr 0
		.amdhsa_user_sgpr_queue_ptr 0
		.amdhsa_user_sgpr_kernarg_segment_ptr 1
		.amdhsa_user_sgpr_dispatch_id 0
		.amdhsa_user_sgpr_kernarg_preload_length 0
		.amdhsa_user_sgpr_kernarg_preload_offset 0
		.amdhsa_user_sgpr_private_segment_size 0
		.amdhsa_wavefront_size32 1
		.amdhsa_uses_dynamic_stack 0
		.amdhsa_enable_private_segment 0
		.amdhsa_system_sgpr_workgroup_id_x 1
		.amdhsa_system_sgpr_workgroup_id_y 0
		.amdhsa_system_sgpr_workgroup_id_z 0
		.amdhsa_system_sgpr_workgroup_info 0
		.amdhsa_system_vgpr_workitem_id 0
		.amdhsa_next_free_vgpr 1
		.amdhsa_next_free_sgpr 1
		.amdhsa_named_barrier_count 0
		.amdhsa_reserve_vcc 0
		.amdhsa_float_round_mode_32 0
		.amdhsa_float_round_mode_16_64 0
		.amdhsa_float_denorm_mode_32 3
		.amdhsa_float_denorm_mode_16_64 3
		.amdhsa_fp16_overflow 0
		.amdhsa_memory_ordered 1
		.amdhsa_forward_progress 1
		.amdhsa_inst_pref_size 0
		.amdhsa_round_robin_scheduling 0
		.amdhsa_exception_fp_ieee_invalid_op 0
		.amdhsa_exception_fp_denorm_src 0
		.amdhsa_exception_fp_ieee_div_zero 0
		.amdhsa_exception_fp_ieee_overflow 0
		.amdhsa_exception_fp_ieee_underflow 0
		.amdhsa_exception_fp_ieee_inexact 0
		.amdhsa_exception_int_div_zero 0
	.end_amdhsa_kernel
	.section	.text._ZN7rocprim17ROCPRIM_400000_NS6detail17trampoline_kernelINS0_14default_configENS1_36segmented_radix_sort_config_selectorI6__halflEEZNS1_25segmented_radix_sort_implIS3_Lb0EPKS5_PS5_PKlPlN2at6native12_GLOBAL__N_18offset_tEEE10hipError_tPvRmT1_PNSt15iterator_traitsISL_E10value_typeET2_T3_PNSM_ISR_E10value_typeET4_jRbjT5_SX_jjP12ihipStream_tbEUlT_E1_NS1_11comp_targetILNS1_3genE10ELNS1_11target_archE1200ELNS1_3gpuE4ELNS1_3repE0EEENS1_59segmented_radix_sort_warp_sort_small_config_static_selectorELNS0_4arch9wavefront6targetE0EEEvSL_,"axG",@progbits,_ZN7rocprim17ROCPRIM_400000_NS6detail17trampoline_kernelINS0_14default_configENS1_36segmented_radix_sort_config_selectorI6__halflEEZNS1_25segmented_radix_sort_implIS3_Lb0EPKS5_PS5_PKlPlN2at6native12_GLOBAL__N_18offset_tEEE10hipError_tPvRmT1_PNSt15iterator_traitsISL_E10value_typeET2_T3_PNSM_ISR_E10value_typeET4_jRbjT5_SX_jjP12ihipStream_tbEUlT_E1_NS1_11comp_targetILNS1_3genE10ELNS1_11target_archE1200ELNS1_3gpuE4ELNS1_3repE0EEENS1_59segmented_radix_sort_warp_sort_small_config_static_selectorELNS0_4arch9wavefront6targetE0EEEvSL_,comdat
.Lfunc_end1859:
	.size	_ZN7rocprim17ROCPRIM_400000_NS6detail17trampoline_kernelINS0_14default_configENS1_36segmented_radix_sort_config_selectorI6__halflEEZNS1_25segmented_radix_sort_implIS3_Lb0EPKS5_PS5_PKlPlN2at6native12_GLOBAL__N_18offset_tEEE10hipError_tPvRmT1_PNSt15iterator_traitsISL_E10value_typeET2_T3_PNSM_ISR_E10value_typeET4_jRbjT5_SX_jjP12ihipStream_tbEUlT_E1_NS1_11comp_targetILNS1_3genE10ELNS1_11target_archE1200ELNS1_3gpuE4ELNS1_3repE0EEENS1_59segmented_radix_sort_warp_sort_small_config_static_selectorELNS0_4arch9wavefront6targetE0EEEvSL_, .Lfunc_end1859-_ZN7rocprim17ROCPRIM_400000_NS6detail17trampoline_kernelINS0_14default_configENS1_36segmented_radix_sort_config_selectorI6__halflEEZNS1_25segmented_radix_sort_implIS3_Lb0EPKS5_PS5_PKlPlN2at6native12_GLOBAL__N_18offset_tEEE10hipError_tPvRmT1_PNSt15iterator_traitsISL_E10value_typeET2_T3_PNSM_ISR_E10value_typeET4_jRbjT5_SX_jjP12ihipStream_tbEUlT_E1_NS1_11comp_targetILNS1_3genE10ELNS1_11target_archE1200ELNS1_3gpuE4ELNS1_3repE0EEENS1_59segmented_radix_sort_warp_sort_small_config_static_selectorELNS0_4arch9wavefront6targetE0EEEvSL_
                                        ; -- End function
	.set _ZN7rocprim17ROCPRIM_400000_NS6detail17trampoline_kernelINS0_14default_configENS1_36segmented_radix_sort_config_selectorI6__halflEEZNS1_25segmented_radix_sort_implIS3_Lb0EPKS5_PS5_PKlPlN2at6native12_GLOBAL__N_18offset_tEEE10hipError_tPvRmT1_PNSt15iterator_traitsISL_E10value_typeET2_T3_PNSM_ISR_E10value_typeET4_jRbjT5_SX_jjP12ihipStream_tbEUlT_E1_NS1_11comp_targetILNS1_3genE10ELNS1_11target_archE1200ELNS1_3gpuE4ELNS1_3repE0EEENS1_59segmented_radix_sort_warp_sort_small_config_static_selectorELNS0_4arch9wavefront6targetE0EEEvSL_.num_vgpr, 0
	.set _ZN7rocprim17ROCPRIM_400000_NS6detail17trampoline_kernelINS0_14default_configENS1_36segmented_radix_sort_config_selectorI6__halflEEZNS1_25segmented_radix_sort_implIS3_Lb0EPKS5_PS5_PKlPlN2at6native12_GLOBAL__N_18offset_tEEE10hipError_tPvRmT1_PNSt15iterator_traitsISL_E10value_typeET2_T3_PNSM_ISR_E10value_typeET4_jRbjT5_SX_jjP12ihipStream_tbEUlT_E1_NS1_11comp_targetILNS1_3genE10ELNS1_11target_archE1200ELNS1_3gpuE4ELNS1_3repE0EEENS1_59segmented_radix_sort_warp_sort_small_config_static_selectorELNS0_4arch9wavefront6targetE0EEEvSL_.num_agpr, 0
	.set _ZN7rocprim17ROCPRIM_400000_NS6detail17trampoline_kernelINS0_14default_configENS1_36segmented_radix_sort_config_selectorI6__halflEEZNS1_25segmented_radix_sort_implIS3_Lb0EPKS5_PS5_PKlPlN2at6native12_GLOBAL__N_18offset_tEEE10hipError_tPvRmT1_PNSt15iterator_traitsISL_E10value_typeET2_T3_PNSM_ISR_E10value_typeET4_jRbjT5_SX_jjP12ihipStream_tbEUlT_E1_NS1_11comp_targetILNS1_3genE10ELNS1_11target_archE1200ELNS1_3gpuE4ELNS1_3repE0EEENS1_59segmented_radix_sort_warp_sort_small_config_static_selectorELNS0_4arch9wavefront6targetE0EEEvSL_.numbered_sgpr, 0
	.set _ZN7rocprim17ROCPRIM_400000_NS6detail17trampoline_kernelINS0_14default_configENS1_36segmented_radix_sort_config_selectorI6__halflEEZNS1_25segmented_radix_sort_implIS3_Lb0EPKS5_PS5_PKlPlN2at6native12_GLOBAL__N_18offset_tEEE10hipError_tPvRmT1_PNSt15iterator_traitsISL_E10value_typeET2_T3_PNSM_ISR_E10value_typeET4_jRbjT5_SX_jjP12ihipStream_tbEUlT_E1_NS1_11comp_targetILNS1_3genE10ELNS1_11target_archE1200ELNS1_3gpuE4ELNS1_3repE0EEENS1_59segmented_radix_sort_warp_sort_small_config_static_selectorELNS0_4arch9wavefront6targetE0EEEvSL_.num_named_barrier, 0
	.set _ZN7rocprim17ROCPRIM_400000_NS6detail17trampoline_kernelINS0_14default_configENS1_36segmented_radix_sort_config_selectorI6__halflEEZNS1_25segmented_radix_sort_implIS3_Lb0EPKS5_PS5_PKlPlN2at6native12_GLOBAL__N_18offset_tEEE10hipError_tPvRmT1_PNSt15iterator_traitsISL_E10value_typeET2_T3_PNSM_ISR_E10value_typeET4_jRbjT5_SX_jjP12ihipStream_tbEUlT_E1_NS1_11comp_targetILNS1_3genE10ELNS1_11target_archE1200ELNS1_3gpuE4ELNS1_3repE0EEENS1_59segmented_radix_sort_warp_sort_small_config_static_selectorELNS0_4arch9wavefront6targetE0EEEvSL_.private_seg_size, 0
	.set _ZN7rocprim17ROCPRIM_400000_NS6detail17trampoline_kernelINS0_14default_configENS1_36segmented_radix_sort_config_selectorI6__halflEEZNS1_25segmented_radix_sort_implIS3_Lb0EPKS5_PS5_PKlPlN2at6native12_GLOBAL__N_18offset_tEEE10hipError_tPvRmT1_PNSt15iterator_traitsISL_E10value_typeET2_T3_PNSM_ISR_E10value_typeET4_jRbjT5_SX_jjP12ihipStream_tbEUlT_E1_NS1_11comp_targetILNS1_3genE10ELNS1_11target_archE1200ELNS1_3gpuE4ELNS1_3repE0EEENS1_59segmented_radix_sort_warp_sort_small_config_static_selectorELNS0_4arch9wavefront6targetE0EEEvSL_.uses_vcc, 0
	.set _ZN7rocprim17ROCPRIM_400000_NS6detail17trampoline_kernelINS0_14default_configENS1_36segmented_radix_sort_config_selectorI6__halflEEZNS1_25segmented_radix_sort_implIS3_Lb0EPKS5_PS5_PKlPlN2at6native12_GLOBAL__N_18offset_tEEE10hipError_tPvRmT1_PNSt15iterator_traitsISL_E10value_typeET2_T3_PNSM_ISR_E10value_typeET4_jRbjT5_SX_jjP12ihipStream_tbEUlT_E1_NS1_11comp_targetILNS1_3genE10ELNS1_11target_archE1200ELNS1_3gpuE4ELNS1_3repE0EEENS1_59segmented_radix_sort_warp_sort_small_config_static_selectorELNS0_4arch9wavefront6targetE0EEEvSL_.uses_flat_scratch, 0
	.set _ZN7rocprim17ROCPRIM_400000_NS6detail17trampoline_kernelINS0_14default_configENS1_36segmented_radix_sort_config_selectorI6__halflEEZNS1_25segmented_radix_sort_implIS3_Lb0EPKS5_PS5_PKlPlN2at6native12_GLOBAL__N_18offset_tEEE10hipError_tPvRmT1_PNSt15iterator_traitsISL_E10value_typeET2_T3_PNSM_ISR_E10value_typeET4_jRbjT5_SX_jjP12ihipStream_tbEUlT_E1_NS1_11comp_targetILNS1_3genE10ELNS1_11target_archE1200ELNS1_3gpuE4ELNS1_3repE0EEENS1_59segmented_radix_sort_warp_sort_small_config_static_selectorELNS0_4arch9wavefront6targetE0EEEvSL_.has_dyn_sized_stack, 0
	.set _ZN7rocprim17ROCPRIM_400000_NS6detail17trampoline_kernelINS0_14default_configENS1_36segmented_radix_sort_config_selectorI6__halflEEZNS1_25segmented_radix_sort_implIS3_Lb0EPKS5_PS5_PKlPlN2at6native12_GLOBAL__N_18offset_tEEE10hipError_tPvRmT1_PNSt15iterator_traitsISL_E10value_typeET2_T3_PNSM_ISR_E10value_typeET4_jRbjT5_SX_jjP12ihipStream_tbEUlT_E1_NS1_11comp_targetILNS1_3genE10ELNS1_11target_archE1200ELNS1_3gpuE4ELNS1_3repE0EEENS1_59segmented_radix_sort_warp_sort_small_config_static_selectorELNS0_4arch9wavefront6targetE0EEEvSL_.has_recursion, 0
	.set _ZN7rocprim17ROCPRIM_400000_NS6detail17trampoline_kernelINS0_14default_configENS1_36segmented_radix_sort_config_selectorI6__halflEEZNS1_25segmented_radix_sort_implIS3_Lb0EPKS5_PS5_PKlPlN2at6native12_GLOBAL__N_18offset_tEEE10hipError_tPvRmT1_PNSt15iterator_traitsISL_E10value_typeET2_T3_PNSM_ISR_E10value_typeET4_jRbjT5_SX_jjP12ihipStream_tbEUlT_E1_NS1_11comp_targetILNS1_3genE10ELNS1_11target_archE1200ELNS1_3gpuE4ELNS1_3repE0EEENS1_59segmented_radix_sort_warp_sort_small_config_static_selectorELNS0_4arch9wavefront6targetE0EEEvSL_.has_indirect_call, 0
	.section	.AMDGPU.csdata,"",@progbits
; Kernel info:
; codeLenInByte = 0
; TotalNumSgprs: 0
; NumVgprs: 0
; ScratchSize: 0
; MemoryBound: 0
; FloatMode: 240
; IeeeMode: 1
; LDSByteSize: 0 bytes/workgroup (compile time only)
; SGPRBlocks: 0
; VGPRBlocks: 0
; NumSGPRsForWavesPerEU: 1
; NumVGPRsForWavesPerEU: 1
; NamedBarCnt: 0
; Occupancy: 16
; WaveLimiterHint : 0
; COMPUTE_PGM_RSRC2:SCRATCH_EN: 0
; COMPUTE_PGM_RSRC2:USER_SGPR: 2
; COMPUTE_PGM_RSRC2:TRAP_HANDLER: 0
; COMPUTE_PGM_RSRC2:TGID_X_EN: 1
; COMPUTE_PGM_RSRC2:TGID_Y_EN: 0
; COMPUTE_PGM_RSRC2:TGID_Z_EN: 0
; COMPUTE_PGM_RSRC2:TIDIG_COMP_CNT: 0
	.section	.text._ZN7rocprim17ROCPRIM_400000_NS6detail17trampoline_kernelINS0_14default_configENS1_36segmented_radix_sort_config_selectorI6__halflEEZNS1_25segmented_radix_sort_implIS3_Lb0EPKS5_PS5_PKlPlN2at6native12_GLOBAL__N_18offset_tEEE10hipError_tPvRmT1_PNSt15iterator_traitsISL_E10value_typeET2_T3_PNSM_ISR_E10value_typeET4_jRbjT5_SX_jjP12ihipStream_tbEUlT_E1_NS1_11comp_targetILNS1_3genE9ELNS1_11target_archE1100ELNS1_3gpuE3ELNS1_3repE0EEENS1_59segmented_radix_sort_warp_sort_small_config_static_selectorELNS0_4arch9wavefront6targetE0EEEvSL_,"axG",@progbits,_ZN7rocprim17ROCPRIM_400000_NS6detail17trampoline_kernelINS0_14default_configENS1_36segmented_radix_sort_config_selectorI6__halflEEZNS1_25segmented_radix_sort_implIS3_Lb0EPKS5_PS5_PKlPlN2at6native12_GLOBAL__N_18offset_tEEE10hipError_tPvRmT1_PNSt15iterator_traitsISL_E10value_typeET2_T3_PNSM_ISR_E10value_typeET4_jRbjT5_SX_jjP12ihipStream_tbEUlT_E1_NS1_11comp_targetILNS1_3genE9ELNS1_11target_archE1100ELNS1_3gpuE3ELNS1_3repE0EEENS1_59segmented_radix_sort_warp_sort_small_config_static_selectorELNS0_4arch9wavefront6targetE0EEEvSL_,comdat
	.globl	_ZN7rocprim17ROCPRIM_400000_NS6detail17trampoline_kernelINS0_14default_configENS1_36segmented_radix_sort_config_selectorI6__halflEEZNS1_25segmented_radix_sort_implIS3_Lb0EPKS5_PS5_PKlPlN2at6native12_GLOBAL__N_18offset_tEEE10hipError_tPvRmT1_PNSt15iterator_traitsISL_E10value_typeET2_T3_PNSM_ISR_E10value_typeET4_jRbjT5_SX_jjP12ihipStream_tbEUlT_E1_NS1_11comp_targetILNS1_3genE9ELNS1_11target_archE1100ELNS1_3gpuE3ELNS1_3repE0EEENS1_59segmented_radix_sort_warp_sort_small_config_static_selectorELNS0_4arch9wavefront6targetE0EEEvSL_ ; -- Begin function _ZN7rocprim17ROCPRIM_400000_NS6detail17trampoline_kernelINS0_14default_configENS1_36segmented_radix_sort_config_selectorI6__halflEEZNS1_25segmented_radix_sort_implIS3_Lb0EPKS5_PS5_PKlPlN2at6native12_GLOBAL__N_18offset_tEEE10hipError_tPvRmT1_PNSt15iterator_traitsISL_E10value_typeET2_T3_PNSM_ISR_E10value_typeET4_jRbjT5_SX_jjP12ihipStream_tbEUlT_E1_NS1_11comp_targetILNS1_3genE9ELNS1_11target_archE1100ELNS1_3gpuE3ELNS1_3repE0EEENS1_59segmented_radix_sort_warp_sort_small_config_static_selectorELNS0_4arch9wavefront6targetE0EEEvSL_
	.p2align	8
	.type	_ZN7rocprim17ROCPRIM_400000_NS6detail17trampoline_kernelINS0_14default_configENS1_36segmented_radix_sort_config_selectorI6__halflEEZNS1_25segmented_radix_sort_implIS3_Lb0EPKS5_PS5_PKlPlN2at6native12_GLOBAL__N_18offset_tEEE10hipError_tPvRmT1_PNSt15iterator_traitsISL_E10value_typeET2_T3_PNSM_ISR_E10value_typeET4_jRbjT5_SX_jjP12ihipStream_tbEUlT_E1_NS1_11comp_targetILNS1_3genE9ELNS1_11target_archE1100ELNS1_3gpuE3ELNS1_3repE0EEENS1_59segmented_radix_sort_warp_sort_small_config_static_selectorELNS0_4arch9wavefront6targetE0EEEvSL_,@function
_ZN7rocprim17ROCPRIM_400000_NS6detail17trampoline_kernelINS0_14default_configENS1_36segmented_radix_sort_config_selectorI6__halflEEZNS1_25segmented_radix_sort_implIS3_Lb0EPKS5_PS5_PKlPlN2at6native12_GLOBAL__N_18offset_tEEE10hipError_tPvRmT1_PNSt15iterator_traitsISL_E10value_typeET2_T3_PNSM_ISR_E10value_typeET4_jRbjT5_SX_jjP12ihipStream_tbEUlT_E1_NS1_11comp_targetILNS1_3genE9ELNS1_11target_archE1100ELNS1_3gpuE3ELNS1_3repE0EEENS1_59segmented_radix_sort_warp_sort_small_config_static_selectorELNS0_4arch9wavefront6targetE0EEEvSL_: ; @_ZN7rocprim17ROCPRIM_400000_NS6detail17trampoline_kernelINS0_14default_configENS1_36segmented_radix_sort_config_selectorI6__halflEEZNS1_25segmented_radix_sort_implIS3_Lb0EPKS5_PS5_PKlPlN2at6native12_GLOBAL__N_18offset_tEEE10hipError_tPvRmT1_PNSt15iterator_traitsISL_E10value_typeET2_T3_PNSM_ISR_E10value_typeET4_jRbjT5_SX_jjP12ihipStream_tbEUlT_E1_NS1_11comp_targetILNS1_3genE9ELNS1_11target_archE1100ELNS1_3gpuE3ELNS1_3repE0EEENS1_59segmented_radix_sort_warp_sort_small_config_static_selectorELNS0_4arch9wavefront6targetE0EEEvSL_
; %bb.0:
	.section	.rodata,"a",@progbits
	.p2align	6, 0x0
	.amdhsa_kernel _ZN7rocprim17ROCPRIM_400000_NS6detail17trampoline_kernelINS0_14default_configENS1_36segmented_radix_sort_config_selectorI6__halflEEZNS1_25segmented_radix_sort_implIS3_Lb0EPKS5_PS5_PKlPlN2at6native12_GLOBAL__N_18offset_tEEE10hipError_tPvRmT1_PNSt15iterator_traitsISL_E10value_typeET2_T3_PNSM_ISR_E10value_typeET4_jRbjT5_SX_jjP12ihipStream_tbEUlT_E1_NS1_11comp_targetILNS1_3genE9ELNS1_11target_archE1100ELNS1_3gpuE3ELNS1_3repE0EEENS1_59segmented_radix_sort_warp_sort_small_config_static_selectorELNS0_4arch9wavefront6targetE0EEEvSL_
		.amdhsa_group_segment_fixed_size 0
		.amdhsa_private_segment_fixed_size 0
		.amdhsa_kernarg_size 88
		.amdhsa_user_sgpr_count 2
		.amdhsa_user_sgpr_dispatch_ptr 0
		.amdhsa_user_sgpr_queue_ptr 0
		.amdhsa_user_sgpr_kernarg_segment_ptr 1
		.amdhsa_user_sgpr_dispatch_id 0
		.amdhsa_user_sgpr_kernarg_preload_length 0
		.amdhsa_user_sgpr_kernarg_preload_offset 0
		.amdhsa_user_sgpr_private_segment_size 0
		.amdhsa_wavefront_size32 1
		.amdhsa_uses_dynamic_stack 0
		.amdhsa_enable_private_segment 0
		.amdhsa_system_sgpr_workgroup_id_x 1
		.amdhsa_system_sgpr_workgroup_id_y 0
		.amdhsa_system_sgpr_workgroup_id_z 0
		.amdhsa_system_sgpr_workgroup_info 0
		.amdhsa_system_vgpr_workitem_id 0
		.amdhsa_next_free_vgpr 1
		.amdhsa_next_free_sgpr 1
		.amdhsa_named_barrier_count 0
		.amdhsa_reserve_vcc 0
		.amdhsa_float_round_mode_32 0
		.amdhsa_float_round_mode_16_64 0
		.amdhsa_float_denorm_mode_32 3
		.amdhsa_float_denorm_mode_16_64 3
		.amdhsa_fp16_overflow 0
		.amdhsa_memory_ordered 1
		.amdhsa_forward_progress 1
		.amdhsa_inst_pref_size 0
		.amdhsa_round_robin_scheduling 0
		.amdhsa_exception_fp_ieee_invalid_op 0
		.amdhsa_exception_fp_denorm_src 0
		.amdhsa_exception_fp_ieee_div_zero 0
		.amdhsa_exception_fp_ieee_overflow 0
		.amdhsa_exception_fp_ieee_underflow 0
		.amdhsa_exception_fp_ieee_inexact 0
		.amdhsa_exception_int_div_zero 0
	.end_amdhsa_kernel
	.section	.text._ZN7rocprim17ROCPRIM_400000_NS6detail17trampoline_kernelINS0_14default_configENS1_36segmented_radix_sort_config_selectorI6__halflEEZNS1_25segmented_radix_sort_implIS3_Lb0EPKS5_PS5_PKlPlN2at6native12_GLOBAL__N_18offset_tEEE10hipError_tPvRmT1_PNSt15iterator_traitsISL_E10value_typeET2_T3_PNSM_ISR_E10value_typeET4_jRbjT5_SX_jjP12ihipStream_tbEUlT_E1_NS1_11comp_targetILNS1_3genE9ELNS1_11target_archE1100ELNS1_3gpuE3ELNS1_3repE0EEENS1_59segmented_radix_sort_warp_sort_small_config_static_selectorELNS0_4arch9wavefront6targetE0EEEvSL_,"axG",@progbits,_ZN7rocprim17ROCPRIM_400000_NS6detail17trampoline_kernelINS0_14default_configENS1_36segmented_radix_sort_config_selectorI6__halflEEZNS1_25segmented_radix_sort_implIS3_Lb0EPKS5_PS5_PKlPlN2at6native12_GLOBAL__N_18offset_tEEE10hipError_tPvRmT1_PNSt15iterator_traitsISL_E10value_typeET2_T3_PNSM_ISR_E10value_typeET4_jRbjT5_SX_jjP12ihipStream_tbEUlT_E1_NS1_11comp_targetILNS1_3genE9ELNS1_11target_archE1100ELNS1_3gpuE3ELNS1_3repE0EEENS1_59segmented_radix_sort_warp_sort_small_config_static_selectorELNS0_4arch9wavefront6targetE0EEEvSL_,comdat
.Lfunc_end1860:
	.size	_ZN7rocprim17ROCPRIM_400000_NS6detail17trampoline_kernelINS0_14default_configENS1_36segmented_radix_sort_config_selectorI6__halflEEZNS1_25segmented_radix_sort_implIS3_Lb0EPKS5_PS5_PKlPlN2at6native12_GLOBAL__N_18offset_tEEE10hipError_tPvRmT1_PNSt15iterator_traitsISL_E10value_typeET2_T3_PNSM_ISR_E10value_typeET4_jRbjT5_SX_jjP12ihipStream_tbEUlT_E1_NS1_11comp_targetILNS1_3genE9ELNS1_11target_archE1100ELNS1_3gpuE3ELNS1_3repE0EEENS1_59segmented_radix_sort_warp_sort_small_config_static_selectorELNS0_4arch9wavefront6targetE0EEEvSL_, .Lfunc_end1860-_ZN7rocprim17ROCPRIM_400000_NS6detail17trampoline_kernelINS0_14default_configENS1_36segmented_radix_sort_config_selectorI6__halflEEZNS1_25segmented_radix_sort_implIS3_Lb0EPKS5_PS5_PKlPlN2at6native12_GLOBAL__N_18offset_tEEE10hipError_tPvRmT1_PNSt15iterator_traitsISL_E10value_typeET2_T3_PNSM_ISR_E10value_typeET4_jRbjT5_SX_jjP12ihipStream_tbEUlT_E1_NS1_11comp_targetILNS1_3genE9ELNS1_11target_archE1100ELNS1_3gpuE3ELNS1_3repE0EEENS1_59segmented_radix_sort_warp_sort_small_config_static_selectorELNS0_4arch9wavefront6targetE0EEEvSL_
                                        ; -- End function
	.set _ZN7rocprim17ROCPRIM_400000_NS6detail17trampoline_kernelINS0_14default_configENS1_36segmented_radix_sort_config_selectorI6__halflEEZNS1_25segmented_radix_sort_implIS3_Lb0EPKS5_PS5_PKlPlN2at6native12_GLOBAL__N_18offset_tEEE10hipError_tPvRmT1_PNSt15iterator_traitsISL_E10value_typeET2_T3_PNSM_ISR_E10value_typeET4_jRbjT5_SX_jjP12ihipStream_tbEUlT_E1_NS1_11comp_targetILNS1_3genE9ELNS1_11target_archE1100ELNS1_3gpuE3ELNS1_3repE0EEENS1_59segmented_radix_sort_warp_sort_small_config_static_selectorELNS0_4arch9wavefront6targetE0EEEvSL_.num_vgpr, 0
	.set _ZN7rocprim17ROCPRIM_400000_NS6detail17trampoline_kernelINS0_14default_configENS1_36segmented_radix_sort_config_selectorI6__halflEEZNS1_25segmented_radix_sort_implIS3_Lb0EPKS5_PS5_PKlPlN2at6native12_GLOBAL__N_18offset_tEEE10hipError_tPvRmT1_PNSt15iterator_traitsISL_E10value_typeET2_T3_PNSM_ISR_E10value_typeET4_jRbjT5_SX_jjP12ihipStream_tbEUlT_E1_NS1_11comp_targetILNS1_3genE9ELNS1_11target_archE1100ELNS1_3gpuE3ELNS1_3repE0EEENS1_59segmented_radix_sort_warp_sort_small_config_static_selectorELNS0_4arch9wavefront6targetE0EEEvSL_.num_agpr, 0
	.set _ZN7rocprim17ROCPRIM_400000_NS6detail17trampoline_kernelINS0_14default_configENS1_36segmented_radix_sort_config_selectorI6__halflEEZNS1_25segmented_radix_sort_implIS3_Lb0EPKS5_PS5_PKlPlN2at6native12_GLOBAL__N_18offset_tEEE10hipError_tPvRmT1_PNSt15iterator_traitsISL_E10value_typeET2_T3_PNSM_ISR_E10value_typeET4_jRbjT5_SX_jjP12ihipStream_tbEUlT_E1_NS1_11comp_targetILNS1_3genE9ELNS1_11target_archE1100ELNS1_3gpuE3ELNS1_3repE0EEENS1_59segmented_radix_sort_warp_sort_small_config_static_selectorELNS0_4arch9wavefront6targetE0EEEvSL_.numbered_sgpr, 0
	.set _ZN7rocprim17ROCPRIM_400000_NS6detail17trampoline_kernelINS0_14default_configENS1_36segmented_radix_sort_config_selectorI6__halflEEZNS1_25segmented_radix_sort_implIS3_Lb0EPKS5_PS5_PKlPlN2at6native12_GLOBAL__N_18offset_tEEE10hipError_tPvRmT1_PNSt15iterator_traitsISL_E10value_typeET2_T3_PNSM_ISR_E10value_typeET4_jRbjT5_SX_jjP12ihipStream_tbEUlT_E1_NS1_11comp_targetILNS1_3genE9ELNS1_11target_archE1100ELNS1_3gpuE3ELNS1_3repE0EEENS1_59segmented_radix_sort_warp_sort_small_config_static_selectorELNS0_4arch9wavefront6targetE0EEEvSL_.num_named_barrier, 0
	.set _ZN7rocprim17ROCPRIM_400000_NS6detail17trampoline_kernelINS0_14default_configENS1_36segmented_radix_sort_config_selectorI6__halflEEZNS1_25segmented_radix_sort_implIS3_Lb0EPKS5_PS5_PKlPlN2at6native12_GLOBAL__N_18offset_tEEE10hipError_tPvRmT1_PNSt15iterator_traitsISL_E10value_typeET2_T3_PNSM_ISR_E10value_typeET4_jRbjT5_SX_jjP12ihipStream_tbEUlT_E1_NS1_11comp_targetILNS1_3genE9ELNS1_11target_archE1100ELNS1_3gpuE3ELNS1_3repE0EEENS1_59segmented_radix_sort_warp_sort_small_config_static_selectorELNS0_4arch9wavefront6targetE0EEEvSL_.private_seg_size, 0
	.set _ZN7rocprim17ROCPRIM_400000_NS6detail17trampoline_kernelINS0_14default_configENS1_36segmented_radix_sort_config_selectorI6__halflEEZNS1_25segmented_radix_sort_implIS3_Lb0EPKS5_PS5_PKlPlN2at6native12_GLOBAL__N_18offset_tEEE10hipError_tPvRmT1_PNSt15iterator_traitsISL_E10value_typeET2_T3_PNSM_ISR_E10value_typeET4_jRbjT5_SX_jjP12ihipStream_tbEUlT_E1_NS1_11comp_targetILNS1_3genE9ELNS1_11target_archE1100ELNS1_3gpuE3ELNS1_3repE0EEENS1_59segmented_radix_sort_warp_sort_small_config_static_selectorELNS0_4arch9wavefront6targetE0EEEvSL_.uses_vcc, 0
	.set _ZN7rocprim17ROCPRIM_400000_NS6detail17trampoline_kernelINS0_14default_configENS1_36segmented_radix_sort_config_selectorI6__halflEEZNS1_25segmented_radix_sort_implIS3_Lb0EPKS5_PS5_PKlPlN2at6native12_GLOBAL__N_18offset_tEEE10hipError_tPvRmT1_PNSt15iterator_traitsISL_E10value_typeET2_T3_PNSM_ISR_E10value_typeET4_jRbjT5_SX_jjP12ihipStream_tbEUlT_E1_NS1_11comp_targetILNS1_3genE9ELNS1_11target_archE1100ELNS1_3gpuE3ELNS1_3repE0EEENS1_59segmented_radix_sort_warp_sort_small_config_static_selectorELNS0_4arch9wavefront6targetE0EEEvSL_.uses_flat_scratch, 0
	.set _ZN7rocprim17ROCPRIM_400000_NS6detail17trampoline_kernelINS0_14default_configENS1_36segmented_radix_sort_config_selectorI6__halflEEZNS1_25segmented_radix_sort_implIS3_Lb0EPKS5_PS5_PKlPlN2at6native12_GLOBAL__N_18offset_tEEE10hipError_tPvRmT1_PNSt15iterator_traitsISL_E10value_typeET2_T3_PNSM_ISR_E10value_typeET4_jRbjT5_SX_jjP12ihipStream_tbEUlT_E1_NS1_11comp_targetILNS1_3genE9ELNS1_11target_archE1100ELNS1_3gpuE3ELNS1_3repE0EEENS1_59segmented_radix_sort_warp_sort_small_config_static_selectorELNS0_4arch9wavefront6targetE0EEEvSL_.has_dyn_sized_stack, 0
	.set _ZN7rocprim17ROCPRIM_400000_NS6detail17trampoline_kernelINS0_14default_configENS1_36segmented_radix_sort_config_selectorI6__halflEEZNS1_25segmented_radix_sort_implIS3_Lb0EPKS5_PS5_PKlPlN2at6native12_GLOBAL__N_18offset_tEEE10hipError_tPvRmT1_PNSt15iterator_traitsISL_E10value_typeET2_T3_PNSM_ISR_E10value_typeET4_jRbjT5_SX_jjP12ihipStream_tbEUlT_E1_NS1_11comp_targetILNS1_3genE9ELNS1_11target_archE1100ELNS1_3gpuE3ELNS1_3repE0EEENS1_59segmented_radix_sort_warp_sort_small_config_static_selectorELNS0_4arch9wavefront6targetE0EEEvSL_.has_recursion, 0
	.set _ZN7rocprim17ROCPRIM_400000_NS6detail17trampoline_kernelINS0_14default_configENS1_36segmented_radix_sort_config_selectorI6__halflEEZNS1_25segmented_radix_sort_implIS3_Lb0EPKS5_PS5_PKlPlN2at6native12_GLOBAL__N_18offset_tEEE10hipError_tPvRmT1_PNSt15iterator_traitsISL_E10value_typeET2_T3_PNSM_ISR_E10value_typeET4_jRbjT5_SX_jjP12ihipStream_tbEUlT_E1_NS1_11comp_targetILNS1_3genE9ELNS1_11target_archE1100ELNS1_3gpuE3ELNS1_3repE0EEENS1_59segmented_radix_sort_warp_sort_small_config_static_selectorELNS0_4arch9wavefront6targetE0EEEvSL_.has_indirect_call, 0
	.section	.AMDGPU.csdata,"",@progbits
; Kernel info:
; codeLenInByte = 0
; TotalNumSgprs: 0
; NumVgprs: 0
; ScratchSize: 0
; MemoryBound: 0
; FloatMode: 240
; IeeeMode: 1
; LDSByteSize: 0 bytes/workgroup (compile time only)
; SGPRBlocks: 0
; VGPRBlocks: 0
; NumSGPRsForWavesPerEU: 1
; NumVGPRsForWavesPerEU: 1
; NamedBarCnt: 0
; Occupancy: 16
; WaveLimiterHint : 0
; COMPUTE_PGM_RSRC2:SCRATCH_EN: 0
; COMPUTE_PGM_RSRC2:USER_SGPR: 2
; COMPUTE_PGM_RSRC2:TRAP_HANDLER: 0
; COMPUTE_PGM_RSRC2:TGID_X_EN: 1
; COMPUTE_PGM_RSRC2:TGID_Y_EN: 0
; COMPUTE_PGM_RSRC2:TGID_Z_EN: 0
; COMPUTE_PGM_RSRC2:TIDIG_COMP_CNT: 0
	.section	.text._ZN7rocprim17ROCPRIM_400000_NS6detail17trampoline_kernelINS0_14default_configENS1_36segmented_radix_sort_config_selectorI6__halflEEZNS1_25segmented_radix_sort_implIS3_Lb0EPKS5_PS5_PKlPlN2at6native12_GLOBAL__N_18offset_tEEE10hipError_tPvRmT1_PNSt15iterator_traitsISL_E10value_typeET2_T3_PNSM_ISR_E10value_typeET4_jRbjT5_SX_jjP12ihipStream_tbEUlT_E1_NS1_11comp_targetILNS1_3genE8ELNS1_11target_archE1030ELNS1_3gpuE2ELNS1_3repE0EEENS1_59segmented_radix_sort_warp_sort_small_config_static_selectorELNS0_4arch9wavefront6targetE0EEEvSL_,"axG",@progbits,_ZN7rocprim17ROCPRIM_400000_NS6detail17trampoline_kernelINS0_14default_configENS1_36segmented_radix_sort_config_selectorI6__halflEEZNS1_25segmented_radix_sort_implIS3_Lb0EPKS5_PS5_PKlPlN2at6native12_GLOBAL__N_18offset_tEEE10hipError_tPvRmT1_PNSt15iterator_traitsISL_E10value_typeET2_T3_PNSM_ISR_E10value_typeET4_jRbjT5_SX_jjP12ihipStream_tbEUlT_E1_NS1_11comp_targetILNS1_3genE8ELNS1_11target_archE1030ELNS1_3gpuE2ELNS1_3repE0EEENS1_59segmented_radix_sort_warp_sort_small_config_static_selectorELNS0_4arch9wavefront6targetE0EEEvSL_,comdat
	.globl	_ZN7rocprim17ROCPRIM_400000_NS6detail17trampoline_kernelINS0_14default_configENS1_36segmented_radix_sort_config_selectorI6__halflEEZNS1_25segmented_radix_sort_implIS3_Lb0EPKS5_PS5_PKlPlN2at6native12_GLOBAL__N_18offset_tEEE10hipError_tPvRmT1_PNSt15iterator_traitsISL_E10value_typeET2_T3_PNSM_ISR_E10value_typeET4_jRbjT5_SX_jjP12ihipStream_tbEUlT_E1_NS1_11comp_targetILNS1_3genE8ELNS1_11target_archE1030ELNS1_3gpuE2ELNS1_3repE0EEENS1_59segmented_radix_sort_warp_sort_small_config_static_selectorELNS0_4arch9wavefront6targetE0EEEvSL_ ; -- Begin function _ZN7rocprim17ROCPRIM_400000_NS6detail17trampoline_kernelINS0_14default_configENS1_36segmented_radix_sort_config_selectorI6__halflEEZNS1_25segmented_radix_sort_implIS3_Lb0EPKS5_PS5_PKlPlN2at6native12_GLOBAL__N_18offset_tEEE10hipError_tPvRmT1_PNSt15iterator_traitsISL_E10value_typeET2_T3_PNSM_ISR_E10value_typeET4_jRbjT5_SX_jjP12ihipStream_tbEUlT_E1_NS1_11comp_targetILNS1_3genE8ELNS1_11target_archE1030ELNS1_3gpuE2ELNS1_3repE0EEENS1_59segmented_radix_sort_warp_sort_small_config_static_selectorELNS0_4arch9wavefront6targetE0EEEvSL_
	.p2align	8
	.type	_ZN7rocprim17ROCPRIM_400000_NS6detail17trampoline_kernelINS0_14default_configENS1_36segmented_radix_sort_config_selectorI6__halflEEZNS1_25segmented_radix_sort_implIS3_Lb0EPKS5_PS5_PKlPlN2at6native12_GLOBAL__N_18offset_tEEE10hipError_tPvRmT1_PNSt15iterator_traitsISL_E10value_typeET2_T3_PNSM_ISR_E10value_typeET4_jRbjT5_SX_jjP12ihipStream_tbEUlT_E1_NS1_11comp_targetILNS1_3genE8ELNS1_11target_archE1030ELNS1_3gpuE2ELNS1_3repE0EEENS1_59segmented_radix_sort_warp_sort_small_config_static_selectorELNS0_4arch9wavefront6targetE0EEEvSL_,@function
_ZN7rocprim17ROCPRIM_400000_NS6detail17trampoline_kernelINS0_14default_configENS1_36segmented_radix_sort_config_selectorI6__halflEEZNS1_25segmented_radix_sort_implIS3_Lb0EPKS5_PS5_PKlPlN2at6native12_GLOBAL__N_18offset_tEEE10hipError_tPvRmT1_PNSt15iterator_traitsISL_E10value_typeET2_T3_PNSM_ISR_E10value_typeET4_jRbjT5_SX_jjP12ihipStream_tbEUlT_E1_NS1_11comp_targetILNS1_3genE8ELNS1_11target_archE1030ELNS1_3gpuE2ELNS1_3repE0EEENS1_59segmented_radix_sort_warp_sort_small_config_static_selectorELNS0_4arch9wavefront6targetE0EEEvSL_: ; @_ZN7rocprim17ROCPRIM_400000_NS6detail17trampoline_kernelINS0_14default_configENS1_36segmented_radix_sort_config_selectorI6__halflEEZNS1_25segmented_radix_sort_implIS3_Lb0EPKS5_PS5_PKlPlN2at6native12_GLOBAL__N_18offset_tEEE10hipError_tPvRmT1_PNSt15iterator_traitsISL_E10value_typeET2_T3_PNSM_ISR_E10value_typeET4_jRbjT5_SX_jjP12ihipStream_tbEUlT_E1_NS1_11comp_targetILNS1_3genE8ELNS1_11target_archE1030ELNS1_3gpuE2ELNS1_3repE0EEENS1_59segmented_radix_sort_warp_sort_small_config_static_selectorELNS0_4arch9wavefront6targetE0EEEvSL_
; %bb.0:
	.section	.rodata,"a",@progbits
	.p2align	6, 0x0
	.amdhsa_kernel _ZN7rocprim17ROCPRIM_400000_NS6detail17trampoline_kernelINS0_14default_configENS1_36segmented_radix_sort_config_selectorI6__halflEEZNS1_25segmented_radix_sort_implIS3_Lb0EPKS5_PS5_PKlPlN2at6native12_GLOBAL__N_18offset_tEEE10hipError_tPvRmT1_PNSt15iterator_traitsISL_E10value_typeET2_T3_PNSM_ISR_E10value_typeET4_jRbjT5_SX_jjP12ihipStream_tbEUlT_E1_NS1_11comp_targetILNS1_3genE8ELNS1_11target_archE1030ELNS1_3gpuE2ELNS1_3repE0EEENS1_59segmented_radix_sort_warp_sort_small_config_static_selectorELNS0_4arch9wavefront6targetE0EEEvSL_
		.amdhsa_group_segment_fixed_size 0
		.amdhsa_private_segment_fixed_size 0
		.amdhsa_kernarg_size 88
		.amdhsa_user_sgpr_count 2
		.amdhsa_user_sgpr_dispatch_ptr 0
		.amdhsa_user_sgpr_queue_ptr 0
		.amdhsa_user_sgpr_kernarg_segment_ptr 1
		.amdhsa_user_sgpr_dispatch_id 0
		.amdhsa_user_sgpr_kernarg_preload_length 0
		.amdhsa_user_sgpr_kernarg_preload_offset 0
		.amdhsa_user_sgpr_private_segment_size 0
		.amdhsa_wavefront_size32 1
		.amdhsa_uses_dynamic_stack 0
		.amdhsa_enable_private_segment 0
		.amdhsa_system_sgpr_workgroup_id_x 1
		.amdhsa_system_sgpr_workgroup_id_y 0
		.amdhsa_system_sgpr_workgroup_id_z 0
		.amdhsa_system_sgpr_workgroup_info 0
		.amdhsa_system_vgpr_workitem_id 0
		.amdhsa_next_free_vgpr 1
		.amdhsa_next_free_sgpr 1
		.amdhsa_named_barrier_count 0
		.amdhsa_reserve_vcc 0
		.amdhsa_float_round_mode_32 0
		.amdhsa_float_round_mode_16_64 0
		.amdhsa_float_denorm_mode_32 3
		.amdhsa_float_denorm_mode_16_64 3
		.amdhsa_fp16_overflow 0
		.amdhsa_memory_ordered 1
		.amdhsa_forward_progress 1
		.amdhsa_inst_pref_size 0
		.amdhsa_round_robin_scheduling 0
		.amdhsa_exception_fp_ieee_invalid_op 0
		.amdhsa_exception_fp_denorm_src 0
		.amdhsa_exception_fp_ieee_div_zero 0
		.amdhsa_exception_fp_ieee_overflow 0
		.amdhsa_exception_fp_ieee_underflow 0
		.amdhsa_exception_fp_ieee_inexact 0
		.amdhsa_exception_int_div_zero 0
	.end_amdhsa_kernel
	.section	.text._ZN7rocprim17ROCPRIM_400000_NS6detail17trampoline_kernelINS0_14default_configENS1_36segmented_radix_sort_config_selectorI6__halflEEZNS1_25segmented_radix_sort_implIS3_Lb0EPKS5_PS5_PKlPlN2at6native12_GLOBAL__N_18offset_tEEE10hipError_tPvRmT1_PNSt15iterator_traitsISL_E10value_typeET2_T3_PNSM_ISR_E10value_typeET4_jRbjT5_SX_jjP12ihipStream_tbEUlT_E1_NS1_11comp_targetILNS1_3genE8ELNS1_11target_archE1030ELNS1_3gpuE2ELNS1_3repE0EEENS1_59segmented_radix_sort_warp_sort_small_config_static_selectorELNS0_4arch9wavefront6targetE0EEEvSL_,"axG",@progbits,_ZN7rocprim17ROCPRIM_400000_NS6detail17trampoline_kernelINS0_14default_configENS1_36segmented_radix_sort_config_selectorI6__halflEEZNS1_25segmented_radix_sort_implIS3_Lb0EPKS5_PS5_PKlPlN2at6native12_GLOBAL__N_18offset_tEEE10hipError_tPvRmT1_PNSt15iterator_traitsISL_E10value_typeET2_T3_PNSM_ISR_E10value_typeET4_jRbjT5_SX_jjP12ihipStream_tbEUlT_E1_NS1_11comp_targetILNS1_3genE8ELNS1_11target_archE1030ELNS1_3gpuE2ELNS1_3repE0EEENS1_59segmented_radix_sort_warp_sort_small_config_static_selectorELNS0_4arch9wavefront6targetE0EEEvSL_,comdat
.Lfunc_end1861:
	.size	_ZN7rocprim17ROCPRIM_400000_NS6detail17trampoline_kernelINS0_14default_configENS1_36segmented_radix_sort_config_selectorI6__halflEEZNS1_25segmented_radix_sort_implIS3_Lb0EPKS5_PS5_PKlPlN2at6native12_GLOBAL__N_18offset_tEEE10hipError_tPvRmT1_PNSt15iterator_traitsISL_E10value_typeET2_T3_PNSM_ISR_E10value_typeET4_jRbjT5_SX_jjP12ihipStream_tbEUlT_E1_NS1_11comp_targetILNS1_3genE8ELNS1_11target_archE1030ELNS1_3gpuE2ELNS1_3repE0EEENS1_59segmented_radix_sort_warp_sort_small_config_static_selectorELNS0_4arch9wavefront6targetE0EEEvSL_, .Lfunc_end1861-_ZN7rocprim17ROCPRIM_400000_NS6detail17trampoline_kernelINS0_14default_configENS1_36segmented_radix_sort_config_selectorI6__halflEEZNS1_25segmented_radix_sort_implIS3_Lb0EPKS5_PS5_PKlPlN2at6native12_GLOBAL__N_18offset_tEEE10hipError_tPvRmT1_PNSt15iterator_traitsISL_E10value_typeET2_T3_PNSM_ISR_E10value_typeET4_jRbjT5_SX_jjP12ihipStream_tbEUlT_E1_NS1_11comp_targetILNS1_3genE8ELNS1_11target_archE1030ELNS1_3gpuE2ELNS1_3repE0EEENS1_59segmented_radix_sort_warp_sort_small_config_static_selectorELNS0_4arch9wavefront6targetE0EEEvSL_
                                        ; -- End function
	.set _ZN7rocprim17ROCPRIM_400000_NS6detail17trampoline_kernelINS0_14default_configENS1_36segmented_radix_sort_config_selectorI6__halflEEZNS1_25segmented_radix_sort_implIS3_Lb0EPKS5_PS5_PKlPlN2at6native12_GLOBAL__N_18offset_tEEE10hipError_tPvRmT1_PNSt15iterator_traitsISL_E10value_typeET2_T3_PNSM_ISR_E10value_typeET4_jRbjT5_SX_jjP12ihipStream_tbEUlT_E1_NS1_11comp_targetILNS1_3genE8ELNS1_11target_archE1030ELNS1_3gpuE2ELNS1_3repE0EEENS1_59segmented_radix_sort_warp_sort_small_config_static_selectorELNS0_4arch9wavefront6targetE0EEEvSL_.num_vgpr, 0
	.set _ZN7rocprim17ROCPRIM_400000_NS6detail17trampoline_kernelINS0_14default_configENS1_36segmented_radix_sort_config_selectorI6__halflEEZNS1_25segmented_radix_sort_implIS3_Lb0EPKS5_PS5_PKlPlN2at6native12_GLOBAL__N_18offset_tEEE10hipError_tPvRmT1_PNSt15iterator_traitsISL_E10value_typeET2_T3_PNSM_ISR_E10value_typeET4_jRbjT5_SX_jjP12ihipStream_tbEUlT_E1_NS1_11comp_targetILNS1_3genE8ELNS1_11target_archE1030ELNS1_3gpuE2ELNS1_3repE0EEENS1_59segmented_radix_sort_warp_sort_small_config_static_selectorELNS0_4arch9wavefront6targetE0EEEvSL_.num_agpr, 0
	.set _ZN7rocprim17ROCPRIM_400000_NS6detail17trampoline_kernelINS0_14default_configENS1_36segmented_radix_sort_config_selectorI6__halflEEZNS1_25segmented_radix_sort_implIS3_Lb0EPKS5_PS5_PKlPlN2at6native12_GLOBAL__N_18offset_tEEE10hipError_tPvRmT1_PNSt15iterator_traitsISL_E10value_typeET2_T3_PNSM_ISR_E10value_typeET4_jRbjT5_SX_jjP12ihipStream_tbEUlT_E1_NS1_11comp_targetILNS1_3genE8ELNS1_11target_archE1030ELNS1_3gpuE2ELNS1_3repE0EEENS1_59segmented_radix_sort_warp_sort_small_config_static_selectorELNS0_4arch9wavefront6targetE0EEEvSL_.numbered_sgpr, 0
	.set _ZN7rocprim17ROCPRIM_400000_NS6detail17trampoline_kernelINS0_14default_configENS1_36segmented_radix_sort_config_selectorI6__halflEEZNS1_25segmented_radix_sort_implIS3_Lb0EPKS5_PS5_PKlPlN2at6native12_GLOBAL__N_18offset_tEEE10hipError_tPvRmT1_PNSt15iterator_traitsISL_E10value_typeET2_T3_PNSM_ISR_E10value_typeET4_jRbjT5_SX_jjP12ihipStream_tbEUlT_E1_NS1_11comp_targetILNS1_3genE8ELNS1_11target_archE1030ELNS1_3gpuE2ELNS1_3repE0EEENS1_59segmented_radix_sort_warp_sort_small_config_static_selectorELNS0_4arch9wavefront6targetE0EEEvSL_.num_named_barrier, 0
	.set _ZN7rocprim17ROCPRIM_400000_NS6detail17trampoline_kernelINS0_14default_configENS1_36segmented_radix_sort_config_selectorI6__halflEEZNS1_25segmented_radix_sort_implIS3_Lb0EPKS5_PS5_PKlPlN2at6native12_GLOBAL__N_18offset_tEEE10hipError_tPvRmT1_PNSt15iterator_traitsISL_E10value_typeET2_T3_PNSM_ISR_E10value_typeET4_jRbjT5_SX_jjP12ihipStream_tbEUlT_E1_NS1_11comp_targetILNS1_3genE8ELNS1_11target_archE1030ELNS1_3gpuE2ELNS1_3repE0EEENS1_59segmented_radix_sort_warp_sort_small_config_static_selectorELNS0_4arch9wavefront6targetE0EEEvSL_.private_seg_size, 0
	.set _ZN7rocprim17ROCPRIM_400000_NS6detail17trampoline_kernelINS0_14default_configENS1_36segmented_radix_sort_config_selectorI6__halflEEZNS1_25segmented_radix_sort_implIS3_Lb0EPKS5_PS5_PKlPlN2at6native12_GLOBAL__N_18offset_tEEE10hipError_tPvRmT1_PNSt15iterator_traitsISL_E10value_typeET2_T3_PNSM_ISR_E10value_typeET4_jRbjT5_SX_jjP12ihipStream_tbEUlT_E1_NS1_11comp_targetILNS1_3genE8ELNS1_11target_archE1030ELNS1_3gpuE2ELNS1_3repE0EEENS1_59segmented_radix_sort_warp_sort_small_config_static_selectorELNS0_4arch9wavefront6targetE0EEEvSL_.uses_vcc, 0
	.set _ZN7rocprim17ROCPRIM_400000_NS6detail17trampoline_kernelINS0_14default_configENS1_36segmented_radix_sort_config_selectorI6__halflEEZNS1_25segmented_radix_sort_implIS3_Lb0EPKS5_PS5_PKlPlN2at6native12_GLOBAL__N_18offset_tEEE10hipError_tPvRmT1_PNSt15iterator_traitsISL_E10value_typeET2_T3_PNSM_ISR_E10value_typeET4_jRbjT5_SX_jjP12ihipStream_tbEUlT_E1_NS1_11comp_targetILNS1_3genE8ELNS1_11target_archE1030ELNS1_3gpuE2ELNS1_3repE0EEENS1_59segmented_radix_sort_warp_sort_small_config_static_selectorELNS0_4arch9wavefront6targetE0EEEvSL_.uses_flat_scratch, 0
	.set _ZN7rocprim17ROCPRIM_400000_NS6detail17trampoline_kernelINS0_14default_configENS1_36segmented_radix_sort_config_selectorI6__halflEEZNS1_25segmented_radix_sort_implIS3_Lb0EPKS5_PS5_PKlPlN2at6native12_GLOBAL__N_18offset_tEEE10hipError_tPvRmT1_PNSt15iterator_traitsISL_E10value_typeET2_T3_PNSM_ISR_E10value_typeET4_jRbjT5_SX_jjP12ihipStream_tbEUlT_E1_NS1_11comp_targetILNS1_3genE8ELNS1_11target_archE1030ELNS1_3gpuE2ELNS1_3repE0EEENS1_59segmented_radix_sort_warp_sort_small_config_static_selectorELNS0_4arch9wavefront6targetE0EEEvSL_.has_dyn_sized_stack, 0
	.set _ZN7rocprim17ROCPRIM_400000_NS6detail17trampoline_kernelINS0_14default_configENS1_36segmented_radix_sort_config_selectorI6__halflEEZNS1_25segmented_radix_sort_implIS3_Lb0EPKS5_PS5_PKlPlN2at6native12_GLOBAL__N_18offset_tEEE10hipError_tPvRmT1_PNSt15iterator_traitsISL_E10value_typeET2_T3_PNSM_ISR_E10value_typeET4_jRbjT5_SX_jjP12ihipStream_tbEUlT_E1_NS1_11comp_targetILNS1_3genE8ELNS1_11target_archE1030ELNS1_3gpuE2ELNS1_3repE0EEENS1_59segmented_radix_sort_warp_sort_small_config_static_selectorELNS0_4arch9wavefront6targetE0EEEvSL_.has_recursion, 0
	.set _ZN7rocprim17ROCPRIM_400000_NS6detail17trampoline_kernelINS0_14default_configENS1_36segmented_radix_sort_config_selectorI6__halflEEZNS1_25segmented_radix_sort_implIS3_Lb0EPKS5_PS5_PKlPlN2at6native12_GLOBAL__N_18offset_tEEE10hipError_tPvRmT1_PNSt15iterator_traitsISL_E10value_typeET2_T3_PNSM_ISR_E10value_typeET4_jRbjT5_SX_jjP12ihipStream_tbEUlT_E1_NS1_11comp_targetILNS1_3genE8ELNS1_11target_archE1030ELNS1_3gpuE2ELNS1_3repE0EEENS1_59segmented_radix_sort_warp_sort_small_config_static_selectorELNS0_4arch9wavefront6targetE0EEEvSL_.has_indirect_call, 0
	.section	.AMDGPU.csdata,"",@progbits
; Kernel info:
; codeLenInByte = 0
; TotalNumSgprs: 0
; NumVgprs: 0
; ScratchSize: 0
; MemoryBound: 0
; FloatMode: 240
; IeeeMode: 1
; LDSByteSize: 0 bytes/workgroup (compile time only)
; SGPRBlocks: 0
; VGPRBlocks: 0
; NumSGPRsForWavesPerEU: 1
; NumVGPRsForWavesPerEU: 1
; NamedBarCnt: 0
; Occupancy: 16
; WaveLimiterHint : 0
; COMPUTE_PGM_RSRC2:SCRATCH_EN: 0
; COMPUTE_PGM_RSRC2:USER_SGPR: 2
; COMPUTE_PGM_RSRC2:TRAP_HANDLER: 0
; COMPUTE_PGM_RSRC2:TGID_X_EN: 1
; COMPUTE_PGM_RSRC2:TGID_Y_EN: 0
; COMPUTE_PGM_RSRC2:TGID_Z_EN: 0
; COMPUTE_PGM_RSRC2:TIDIG_COMP_CNT: 0
	.section	.text._ZN7rocprim17ROCPRIM_400000_NS6detail17trampoline_kernelINS0_14default_configENS1_36segmented_radix_sort_config_selectorI6__halflEEZNS1_25segmented_radix_sort_implIS3_Lb0EPKS5_PS5_PKlPlN2at6native12_GLOBAL__N_18offset_tEEE10hipError_tPvRmT1_PNSt15iterator_traitsISL_E10value_typeET2_T3_PNSM_ISR_E10value_typeET4_jRbjT5_SX_jjP12ihipStream_tbEUlT_E2_NS1_11comp_targetILNS1_3genE0ELNS1_11target_archE4294967295ELNS1_3gpuE0ELNS1_3repE0EEENS1_30default_config_static_selectorELNS0_4arch9wavefront6targetE0EEEvSL_,"axG",@progbits,_ZN7rocprim17ROCPRIM_400000_NS6detail17trampoline_kernelINS0_14default_configENS1_36segmented_radix_sort_config_selectorI6__halflEEZNS1_25segmented_radix_sort_implIS3_Lb0EPKS5_PS5_PKlPlN2at6native12_GLOBAL__N_18offset_tEEE10hipError_tPvRmT1_PNSt15iterator_traitsISL_E10value_typeET2_T3_PNSM_ISR_E10value_typeET4_jRbjT5_SX_jjP12ihipStream_tbEUlT_E2_NS1_11comp_targetILNS1_3genE0ELNS1_11target_archE4294967295ELNS1_3gpuE0ELNS1_3repE0EEENS1_30default_config_static_selectorELNS0_4arch9wavefront6targetE0EEEvSL_,comdat
	.globl	_ZN7rocprim17ROCPRIM_400000_NS6detail17trampoline_kernelINS0_14default_configENS1_36segmented_radix_sort_config_selectorI6__halflEEZNS1_25segmented_radix_sort_implIS3_Lb0EPKS5_PS5_PKlPlN2at6native12_GLOBAL__N_18offset_tEEE10hipError_tPvRmT1_PNSt15iterator_traitsISL_E10value_typeET2_T3_PNSM_ISR_E10value_typeET4_jRbjT5_SX_jjP12ihipStream_tbEUlT_E2_NS1_11comp_targetILNS1_3genE0ELNS1_11target_archE4294967295ELNS1_3gpuE0ELNS1_3repE0EEENS1_30default_config_static_selectorELNS0_4arch9wavefront6targetE0EEEvSL_ ; -- Begin function _ZN7rocprim17ROCPRIM_400000_NS6detail17trampoline_kernelINS0_14default_configENS1_36segmented_radix_sort_config_selectorI6__halflEEZNS1_25segmented_radix_sort_implIS3_Lb0EPKS5_PS5_PKlPlN2at6native12_GLOBAL__N_18offset_tEEE10hipError_tPvRmT1_PNSt15iterator_traitsISL_E10value_typeET2_T3_PNSM_ISR_E10value_typeET4_jRbjT5_SX_jjP12ihipStream_tbEUlT_E2_NS1_11comp_targetILNS1_3genE0ELNS1_11target_archE4294967295ELNS1_3gpuE0ELNS1_3repE0EEENS1_30default_config_static_selectorELNS0_4arch9wavefront6targetE0EEEvSL_
	.p2align	8
	.type	_ZN7rocprim17ROCPRIM_400000_NS6detail17trampoline_kernelINS0_14default_configENS1_36segmented_radix_sort_config_selectorI6__halflEEZNS1_25segmented_radix_sort_implIS3_Lb0EPKS5_PS5_PKlPlN2at6native12_GLOBAL__N_18offset_tEEE10hipError_tPvRmT1_PNSt15iterator_traitsISL_E10value_typeET2_T3_PNSM_ISR_E10value_typeET4_jRbjT5_SX_jjP12ihipStream_tbEUlT_E2_NS1_11comp_targetILNS1_3genE0ELNS1_11target_archE4294967295ELNS1_3gpuE0ELNS1_3repE0EEENS1_30default_config_static_selectorELNS0_4arch9wavefront6targetE0EEEvSL_,@function
_ZN7rocprim17ROCPRIM_400000_NS6detail17trampoline_kernelINS0_14default_configENS1_36segmented_radix_sort_config_selectorI6__halflEEZNS1_25segmented_radix_sort_implIS3_Lb0EPKS5_PS5_PKlPlN2at6native12_GLOBAL__N_18offset_tEEE10hipError_tPvRmT1_PNSt15iterator_traitsISL_E10value_typeET2_T3_PNSM_ISR_E10value_typeET4_jRbjT5_SX_jjP12ihipStream_tbEUlT_E2_NS1_11comp_targetILNS1_3genE0ELNS1_11target_archE4294967295ELNS1_3gpuE0ELNS1_3repE0EEENS1_30default_config_static_selectorELNS0_4arch9wavefront6targetE0EEEvSL_: ; @_ZN7rocprim17ROCPRIM_400000_NS6detail17trampoline_kernelINS0_14default_configENS1_36segmented_radix_sort_config_selectorI6__halflEEZNS1_25segmented_radix_sort_implIS3_Lb0EPKS5_PS5_PKlPlN2at6native12_GLOBAL__N_18offset_tEEE10hipError_tPvRmT1_PNSt15iterator_traitsISL_E10value_typeET2_T3_PNSM_ISR_E10value_typeET4_jRbjT5_SX_jjP12ihipStream_tbEUlT_E2_NS1_11comp_targetILNS1_3genE0ELNS1_11target_archE4294967295ELNS1_3gpuE0ELNS1_3repE0EEENS1_30default_config_static_selectorELNS0_4arch9wavefront6targetE0EEEvSL_
; %bb.0:
	s_load_b128 s[4:7], s[2:3], 0x34
	s_bfe_u32 s8, ttmp6, 0x4000c
	s_and_b32 s9, ttmp6, 15
	s_add_co_i32 s8, s8, 1
	s_getreg_b32 s27, hwreg(HW_REG_IB_STS2, 6, 4)
	s_mul_i32 s8, ttmp9, s8
	s_mov_b32 s32, 0
	s_add_co_i32 s9, s9, s8
	s_cmp_eq_u32 s27, 0
	s_cselect_b32 s33, ttmp9, s9
	s_wait_kmcnt 0x0
	s_add_co_i32 s51, s7, s33
	s_add_co_i32 s54, s5, s33
	s_mul_i32 s51, s51, s6
	s_mul_i32 s54, s54, s4
	s_delay_alu instid0(SALU_CYCLE_1)
	s_cmp_le_u32 s51, s54
	s_cbranch_scc1 .LBB1862_1187
; %bb.1:
	s_clause 0x3
	s_load_b32 s4, s[2:3], 0x30
	s_load_b128 s[44:47], s[2:3], 0x20
	s_load_b96 s[48:50], s[2:3], 0x44
	s_load_b256 s[36:43], s[2:3], 0x0
	s_wait_kmcnt 0x0
	s_bitcmp1_b32 s4, 0
	s_mov_b32 s4, -1
	s_cselect_b32 s55, -1, 0
	s_sub_co_i32 s56, s51, s54
	s_delay_alu instid0(SALU_CYCLE_1)
	s_cmp_lt_u32 s56, 0x1001
	s_cbranch_scc0 .LBB1862_12
; %bb.2:
	s_cmp_lt_u32 s56, 33
	s_cbranch_scc0 .LBB1862_6
; %bb.3:
	s_load_b32 s4, s[2:3], 0x5c
	v_bfe_u32 v1, v0, 10, 10
	v_bfe_u32 v2, v0, 20, 10
	s_mov_b32 s15, exec_lo
	s_wait_kmcnt 0x0
	s_lshr_b32 s5, s4, 16
	s_and_b32 s4, s4, 0xffff
	v_mad_u32_u24 v1, v2, s5, v1
	v_and_b32_e32 v2, 0x3ff, v0
	s_delay_alu instid0(VALU_DEP_1) | instskip(NEXT) | instid1(VALU_DEP_1)
	v_mad_u32 v1, v1, s4, v2
	v_cmpx_gt_u32_e32 8, v1
	s_cbranch_execz .LBB1862_5
; %bb.4:
	s_bitcmp1_b32 s48, 0
	s_mov_b64 s[4:5], src_shared_base
	s_cselect_b32 s4, -1, 0
	v_dual_mov_b32 v31, v0 :: v_dual_mov_b32 v40, v0
	s_xor_b32 s4, s55, s4
	v_dual_mov_b32 v0, s36 :: v_dual_mov_b32 v1, s37
	s_xor_b32 s4, s4, -1
	v_dual_mov_b32 v2, s38 :: v_dual_mov_b32 v3, s39
	v_cndmask_b32_e64 v12, 0, 1, s4
	v_dual_mov_b32 v4, s40 :: v_dual_mov_b32 v5, s41
	v_dual_mov_b32 v6, s42 :: v_dual_mov_b32 v7, s43
	;; [unrolled: 1-line block ×6, first 2 shown]
	s_add_nc_u64 s[8:9], s[2:3], 0x50
	s_get_pc_i64 s[10:11]
	s_add_nc_u64 s[10:11], s[10:11], _ZN7rocprim17ROCPRIM_400000_NS6detail26segmented_warp_sort_helperINS1_20WarpSortHelperConfigILj8ELj4ELj256EEE6__halflLi256ELb0EvE4sortIPKS5_PS5_PKlPlEEvT_SA_T0_T1_SD_T2_bjjjjRNS6_12storage_typeE@rel64+4
	s_mov_b64 s[6:7], s[0:1]
	s_mov_b64 s[16:17], s[2:3]
	;; [unrolled: 1-line block ×3, first 2 shown]
	s_swap_pc_i64 s[30:31], s[10:11]
	v_mov_b32_e32 v0, v40
	s_mov_b64 s[0:1], s[18:19]
	s_mov_b64 s[2:3], s[16:17]
.LBB1862_5:
	s_or_b32 exec_lo, exec_lo, s15
	s_mov_b32 s4, 0
.LBB1862_6:
	s_delay_alu instid0(SALU_CYCLE_1)
	s_and_not1_b32 vcc_lo, exec_lo, s4
	s_cbranch_vccnz .LBB1862_11
; %bb.7:
	v_cndmask_b32_e64 v1, 0, 1, s55
	s_and_b32 s4, s48, 1
	s_get_pc_i64 s[28:29]
	s_add_nc_u64 s[28:29], s[28:29], _ZN7rocprim17ROCPRIM_400000_NS6detail40segmented_radix_sort_single_block_helperI6__halflLj256ELj16ELb0EE4sortIPKS3_PS3_PKlPlEEbT_T0_T1_T2_jjjjRNS4_12storage_typeE@rel64+4
	s_delay_alu instid0(VALU_DEP_1)
	v_cmp_ne_u32_e32 vcc_lo, s4, v1
	s_mov_b32 s4, -1
	s_cbranch_vccnz .LBB1862_9
; %bb.8:
	s_mov_b64 s[4:5], src_shared_base
	v_dual_mov_b32 v31, v0 :: v_dual_mov_b32 v40, v0
	v_dual_mov_b32 v0, s36 :: v_dual_mov_b32 v1, s37
	;; [unrolled: 1-line block ×8, first 2 shown]
	s_add_nc_u64 s[8:9], s[2:3], 0x50
	s_mov_b64 s[6:7], s[0:1]
	s_mov_b64 s[34:35], s[2:3]
	;; [unrolled: 1-line block ×3, first 2 shown]
	s_swap_pc_i64 s[30:31], s[28:29]
	v_mov_b32_e32 v0, v40
	s_mov_b64 s[0:1], s[52:53]
	s_mov_b64 s[2:3], s[34:35]
	s_mov_b32 s4, 0
.LBB1862_9:
	s_delay_alu instid0(SALU_CYCLE_1)
	s_and_not1_b32 vcc_lo, exec_lo, s4
	s_cbranch_vccnz .LBB1862_11
; %bb.10:
	s_mov_b64 s[4:5], src_shared_base
	v_dual_mov_b32 v31, v0 :: v_dual_mov_b32 v40, v0
	v_dual_mov_b32 v0, s36 :: v_dual_mov_b32 v1, s37
	;; [unrolled: 1-line block ×8, first 2 shown]
	s_add_nc_u64 s[8:9], s[2:3], 0x50
	s_mov_b64 s[6:7], s[0:1]
	s_mov_b64 s[34:35], s[2:3]
	s_swap_pc_i64 s[30:31], s[28:29]
	v_mov_b32_e32 v0, v40
	s_mov_b64 s[2:3], s[34:35]
.LBB1862_11:
	s_mov_b32 s4, 0
.LBB1862_12:
	s_delay_alu instid0(SALU_CYCLE_1)
	s_and_not1_b32 vcc_lo, exec_lo, s4
	s_cbranch_vccnz .LBB1862_1187
; %bb.13:
	s_cmp_ge_u32 s49, s50
	s_cbranch_scc1 .LBB1862_1187
; %bb.14:
	v_and_b32_e32 v2, 0x3ff, v0
	v_dual_mov_b32 v5, 0 :: v_dual_bitop2_b32 v1, 3, v0 bitop3:0x40
	v_lshrrev_b32_e32 v8, 3, v0
	v_bfe_u32 v89, v0, 20, 10
	s_delay_alu instid0(VALU_DEP_4) | instskip(NEXT) | instid1(VALU_DEP_4)
	v_dual_lshlrev_b32 v3, 2, v2 :: v_dual_lshlrev_b32 v4, 1, v2
	v_dual_lshlrev_b32 v83, 2, v1 :: v_dual_bitop2_b32 v1, 31, v2 bitop3:0x54
	s_delay_alu instid0(VALU_DEP_4) | instskip(NEXT) | instid1(VALU_DEP_3)
	v_dual_lshlrev_b32 v8, 4, v2 :: v_dual_bitop2_b32 v84, 28, v8 bitop3:0x40
	v_mad_u32_u24 v85, v2, 12, v3
	v_bfe_u32 v90, v0, 10, 10
	v_lshlrev_b32_e32 v0, 5, v2
	v_mbcnt_lo_u32_b32 v95, -1, 0
	v_and_b32_e32 v22, 0xe00, v8
	v_mad_u32_u24 v91, v2, 20, v85
	v_dual_mov_b32 v19, v5 :: v_dual_add_nc_u32 v88, 0x83fc, v84
	s_delay_alu instid0(VALU_DEP_3)
	v_dual_mov_b32 v21, v5 :: v_dual_lshlrev_b32 v18, 3, v22
	v_lshlrev_b32_e32 v20, 1, v22
	s_bfe_u32 s6, ttmp6, 0x40010
	v_sub_nc_u32_e32 v92, v91, v0
	v_dual_lshlrev_b32 v22, 1, v95 :: v_dual_bitop2_b32 v100, v95, v22 bitop3:0x54
	s_add_co_i32 s6, s6, 1
	v_add_nc_u64_e32 v[6:7], s[40:41], v[4:5]
	v_cmp_eq_u32_e64 s1, v2, v1
	s_mul_i32 s6, ttmp7, s6
	s_bfe_u32 s7, ttmp6, 0x40004
	v_add_nc_u64_e32 v[0:1], s[46:47], v[18:19]
	v_add_nc_u64_e32 v[8:9], s[40:41], v[20:21]
	;; [unrolled: 1-line block ×8, first 2 shown]
	v_or_b32_e32 v68, 0x100, v2
	v_or_b32_e32 v69, 0x200, v2
	;; [unrolled: 1-line block ×15, first 2 shown]
	v_cmp_gt_u32_e64 s0, 0x100, v2
	v_or_b32_e32 v86, 0x8400, v84
	v_cmp_gt_u32_e64 s4, 8, v2
	v_dual_mov_b32 v96, 1 :: v_dual_add_nc_u32 v87, 0x8400, v3
	v_cmp_lt_u32_e64 s5, 31, v2
	s_add_nc_u64 s[34:35], s[2:3], 0x50
	s_add_co_i32 s7, s7, s6
	v_cmp_eq_u32_e64 s2, 0, v2
	v_cmp_ne_u32_e64 s3, 0xff, v2
	v_dual_sub_nc_u32 v93, v92, v4 :: v_dual_bitop2_b32 v97, 15, v95 bitop3:0x40
	v_mul_u32_u24_e32 v94, 6, v2
	v_bfe_i32 v98, v95, 4, 1
	v_dual_lshlrev_b32 v4, 3, v95 :: v_dual_bitop2_b32 v99, 16, v95 bitop3:0x40
	v_and_b32_e32 v101, 7, v95
	v_sub_co_u32 v102, s6, v95, 1
	v_or_b32_e32 v103, 32, v100
	v_or_b32_e32 v104, 64, v100
	;; [unrolled: 1-line block ×15, first 2 shown]
	v_add_nc_u32_e32 v118, 0x420, v91
	v_add_nc_u32_e32 v119, 0x428, v91
	;; [unrolled: 1-line block ×4, first 2 shown]
	s_cmp_eq_u32 s27, 0
	s_mov_b32 s43, 0
	s_cselect_b32 s31, ttmp7, s7
	s_mov_b32 s48, s49
	s_branch .LBB1862_17
.LBB1862_15:                            ;   in Loop: Header=BB1862_17 Depth=1
	s_wait_dscnt 0x0
	s_barrier_signal -1
	s_barrier_wait -1
.LBB1862_16:                            ;   in Loop: Header=BB1862_17 Depth=1
	s_add_co_i32 s48, s48, 8
	s_delay_alu instid0(SALU_CYCLE_1)
	s_cmp_ge_u32 s48, s50
	s_cbranch_scc1 .LBB1862_1187
.LBB1862_17:                            ; =>This Loop Header: Depth=1
                                        ;     Child Loop BB1862_21 Depth 2
                                        ;     Child Loop BB1862_101 Depth 2
	;; [unrolled: 1-line block ×8, first 2 shown]
	s_sub_co_i32 s7, s50, s48
	s_xor_b32 s55, s55, -1
	s_min_u32 s7, s7, 8
	ds_store_2addr_stride64_b32 v3, v5, v5 offset1:4
	s_lshl_b32 s7, -1, s7
	ds_store_2addr_stride64_b32 v3, v5, v5 offset0:8 offset1:12
	s_not_b32 s52, s7
	s_cmp_lg_u32 s48, s49
	s_mov_b32 s7, -1
	s_wait_storecnt_dscnt 0x0
	s_cbranch_scc0 .LBB1862_603
; %bb.18:                               ;   in Loop: Header=BB1862_17 Depth=1
	s_and_b32 vcc_lo, exec_lo, s55
	s_cbranch_vccz .LBB1862_310
; %bb.19:                               ;   in Loop: Header=BB1862_17 Depth=1
	s_mov_b32 s7, s56
	s_mov_b32 s42, s54
	s_barrier_signal -1
	s_barrier_wait -1
                                        ; implicit-def: $vgpr23
                                        ; implicit-def: $vgpr24
                                        ; implicit-def: $vgpr25
                                        ; implicit-def: $vgpr26
                                        ; implicit-def: $vgpr27
                                        ; implicit-def: $vgpr28
                                        ; implicit-def: $vgpr29
                                        ; implicit-def: $vgpr30
                                        ; implicit-def: $vgpr31
                                        ; implicit-def: $vgpr32
                                        ; implicit-def: $vgpr33
                                        ; implicit-def: $vgpr34
                                        ; implicit-def: $vgpr35
                                        ; implicit-def: $vgpr36
                                        ; implicit-def: $vgpr37
                                        ; implicit-def: $vgpr38
	s_branch .LBB1862_21
.LBB1862_20:                            ;   in Loop: Header=BB1862_21 Depth=2
	s_or_b32 exec_lo, exec_lo, s8
	s_addk_co_i32 s7, 0xf000
	s_cmp_ge_u32 s10, s51
	s_mov_b32 s42, s10
	s_cbranch_scc1 .LBB1862_89
.LBB1862_21:                            ;   Parent Loop BB1862_17 Depth=1
                                        ; =>  This Inner Loop Header: Depth=2
	s_add_co_i32 s10, s42, 0x1000
	s_mov_b32 s8, -1
	s_cmp_gt_u32 s10, s51
                                        ; implicit-def: $vgpr39
                                        ; implicit-def: $vgpr40
                                        ; implicit-def: $vgpr41
                                        ; implicit-def: $vgpr42
                                        ; implicit-def: $vgpr43
                                        ; implicit-def: $vgpr44
                                        ; implicit-def: $vgpr45
                                        ; implicit-def: $vgpr46
                                        ; implicit-def: $vgpr47
                                        ; implicit-def: $vgpr48
                                        ; implicit-def: $vgpr49
                                        ; implicit-def: $vgpr50
                                        ; implicit-def: $vgpr51
                                        ; implicit-def: $vgpr52
                                        ; implicit-def: $vgpr53
                                        ; implicit-def: $vgpr54
	s_cbranch_scc1 .LBB1862_23
; %bb.22:                               ;   in Loop: Header=BB1862_21 Depth=2
	v_lshl_add_u64 v[54:55], s[42:43], 1, v[6:7]
	s_mov_b32 s8, 0
	s_clause 0xf
	global_load_u16 v39, v[54:55], off
	global_load_u16 v40, v[54:55], off offset:512
	global_load_u16 v41, v[54:55], off offset:1024
	;; [unrolled: 1-line block ×15, first 2 shown]
.LBB1862_23:                            ;   in Loop: Header=BB1862_21 Depth=2
	s_and_not1_b32 vcc_lo, exec_lo, s8
	s_movk_i32 s8, 0x1000
	s_cbranch_vccnz .LBB1862_42
; %bb.24:                               ;   in Loop: Header=BB1862_21 Depth=2
	s_lshl_b64 s[8:9], s[42:43], 1
	s_mov_b32 s11, exec_lo
	s_add_nc_u64 s[8:9], s[40:41], s[8:9]
	s_wait_xcnt 0x0
	v_cmpx_gt_u32_e64 s7, v2
	s_cbranch_execnz .LBB1862_74
; %bb.25:                               ;   in Loop: Header=BB1862_21 Depth=2
	s_or_b32 exec_lo, exec_lo, s11
	s_delay_alu instid0(SALU_CYCLE_1)
	s_mov_b32 s11, exec_lo
	v_cmpx_gt_u32_e64 s7, v68
	s_cbranch_execnz .LBB1862_75
.LBB1862_26:                            ;   in Loop: Header=BB1862_21 Depth=2
	s_or_b32 exec_lo, exec_lo, s11
	s_delay_alu instid0(SALU_CYCLE_1)
	s_mov_b32 s11, exec_lo
	v_cmpx_gt_u32_e64 s7, v69
	s_cbranch_execnz .LBB1862_76
.LBB1862_27:                            ;   in Loop: Header=BB1862_21 Depth=2
	s_or_b32 exec_lo, exec_lo, s11
	s_delay_alu instid0(SALU_CYCLE_1)
	s_mov_b32 s11, exec_lo
	v_cmpx_gt_u32_e64 s7, v70
	s_cbranch_execnz .LBB1862_77
.LBB1862_28:                            ;   in Loop: Header=BB1862_21 Depth=2
	s_or_b32 exec_lo, exec_lo, s11
	s_delay_alu instid0(SALU_CYCLE_1)
	s_mov_b32 s11, exec_lo
	v_cmpx_gt_u32_e64 s7, v71
	s_cbranch_execnz .LBB1862_78
.LBB1862_29:                            ;   in Loop: Header=BB1862_21 Depth=2
	s_or_b32 exec_lo, exec_lo, s11
	s_delay_alu instid0(SALU_CYCLE_1)
	s_mov_b32 s11, exec_lo
	v_cmpx_gt_u32_e64 s7, v72
	s_cbranch_execnz .LBB1862_79
.LBB1862_30:                            ;   in Loop: Header=BB1862_21 Depth=2
	s_or_b32 exec_lo, exec_lo, s11
	s_delay_alu instid0(SALU_CYCLE_1)
	s_mov_b32 s11, exec_lo
	v_cmpx_gt_u32_e64 s7, v73
	s_cbranch_execnz .LBB1862_80
.LBB1862_31:                            ;   in Loop: Header=BB1862_21 Depth=2
	s_or_b32 exec_lo, exec_lo, s11
	s_delay_alu instid0(SALU_CYCLE_1)
	s_mov_b32 s11, exec_lo
	v_cmpx_gt_u32_e64 s7, v74
	s_cbranch_execnz .LBB1862_81
.LBB1862_32:                            ;   in Loop: Header=BB1862_21 Depth=2
	s_or_b32 exec_lo, exec_lo, s11
	s_delay_alu instid0(SALU_CYCLE_1)
	s_mov_b32 s11, exec_lo
	v_cmpx_gt_u32_e64 s7, v75
	s_cbranch_execnz .LBB1862_82
.LBB1862_33:                            ;   in Loop: Header=BB1862_21 Depth=2
	s_or_b32 exec_lo, exec_lo, s11
	s_delay_alu instid0(SALU_CYCLE_1)
	s_mov_b32 s11, exec_lo
	v_cmpx_gt_u32_e64 s7, v76
	s_cbranch_execnz .LBB1862_83
.LBB1862_34:                            ;   in Loop: Header=BB1862_21 Depth=2
	s_or_b32 exec_lo, exec_lo, s11
	s_delay_alu instid0(SALU_CYCLE_1)
	s_mov_b32 s11, exec_lo
	v_cmpx_gt_u32_e64 s7, v77
	s_cbranch_execnz .LBB1862_84
.LBB1862_35:                            ;   in Loop: Header=BB1862_21 Depth=2
	s_or_b32 exec_lo, exec_lo, s11
	s_delay_alu instid0(SALU_CYCLE_1)
	s_mov_b32 s11, exec_lo
	v_cmpx_gt_u32_e64 s7, v78
	s_cbranch_execnz .LBB1862_85
.LBB1862_36:                            ;   in Loop: Header=BB1862_21 Depth=2
	s_or_b32 exec_lo, exec_lo, s11
	s_delay_alu instid0(SALU_CYCLE_1)
	s_mov_b32 s11, exec_lo
	v_cmpx_gt_u32_e64 s7, v79
	s_cbranch_execnz .LBB1862_86
.LBB1862_37:                            ;   in Loop: Header=BB1862_21 Depth=2
	s_or_b32 exec_lo, exec_lo, s11
	s_delay_alu instid0(SALU_CYCLE_1)
	s_mov_b32 s11, exec_lo
	v_cmpx_gt_u32_e64 s7, v80
	s_cbranch_execnz .LBB1862_87
.LBB1862_38:                            ;   in Loop: Header=BB1862_21 Depth=2
	s_or_b32 exec_lo, exec_lo, s11
	s_delay_alu instid0(SALU_CYCLE_1)
	s_mov_b32 s11, exec_lo
	v_cmpx_gt_u32_e64 s7, v81
	s_cbranch_execnz .LBB1862_88
.LBB1862_39:                            ;   in Loop: Header=BB1862_21 Depth=2
	s_or_b32 exec_lo, exec_lo, s11
	s_delay_alu instid0(SALU_CYCLE_1)
	s_mov_b32 s11, exec_lo
	v_cmpx_gt_u32_e64 s7, v82
	s_cbranch_execz .LBB1862_41
.LBB1862_40:                            ;   in Loop: Header=BB1862_21 Depth=2
	global_load_u16 v23, v2, s[8:9] offset:7680 scale_offset
.LBB1862_41:                            ;   in Loop: Header=BB1862_21 Depth=2
	s_wait_xcnt 0x0
	s_or_b32 exec_lo, exec_lo, s11
	s_wait_loadcnt 0x0
	v_dual_mov_b32 v39, v38 :: v_dual_mov_b32 v40, v37
	v_dual_mov_b32 v41, v36 :: v_dual_mov_b32 v42, v35
	;; [unrolled: 1-line block ×8, first 2 shown]
	s_mov_b32 s8, s7
.LBB1862_42:                            ;   in Loop: Header=BB1862_21 Depth=2
	s_wait_loadcnt 0x0
	s_delay_alu instid0(VALU_DEP_1)
	v_dual_mov_b32 v23, v54 :: v_dual_mov_b32 v24, v53
	v_dual_mov_b32 v25, v52 :: v_dual_mov_b32 v26, v51
	v_dual_mov_b32 v27, v50 :: v_dual_mov_b32 v28, v49
	v_dual_mov_b32 v29, v48 :: v_dual_mov_b32 v30, v47
	v_dual_mov_b32 v31, v46 :: v_dual_mov_b32 v32, v45
	v_dual_mov_b32 v33, v44 :: v_dual_mov_b32 v34, v43
	v_dual_mov_b32 v35, v42 :: v_dual_mov_b32 v36, v41
	v_dual_mov_b32 v37, v40 :: v_dual_mov_b32 v38, v39
	s_mov_b32 s9, exec_lo
	s_wait_xcnt 0x0
	v_cmpx_gt_u32_e64 s8, v2
	s_cbranch_execnz .LBB1862_58
; %bb.43:                               ;   in Loop: Header=BB1862_21 Depth=2
	s_or_b32 exec_lo, exec_lo, s9
	s_delay_alu instid0(SALU_CYCLE_1)
	s_mov_b32 s9, exec_lo
	v_cmpx_gt_u32_e64 s8, v68
	s_cbranch_execnz .LBB1862_59
.LBB1862_44:                            ;   in Loop: Header=BB1862_21 Depth=2
	s_or_b32 exec_lo, exec_lo, s9
	s_delay_alu instid0(SALU_CYCLE_1)
	s_mov_b32 s9, exec_lo
	v_cmpx_gt_u32_e64 s8, v69
	s_cbranch_execnz .LBB1862_60
.LBB1862_45:                            ;   in Loop: Header=BB1862_21 Depth=2
	s_or_b32 exec_lo, exec_lo, s9
	s_delay_alu instid0(SALU_CYCLE_1)
	s_mov_b32 s9, exec_lo
	v_cmpx_gt_u32_e64 s8, v70
	s_cbranch_execnz .LBB1862_61
.LBB1862_46:                            ;   in Loop: Header=BB1862_21 Depth=2
	s_or_b32 exec_lo, exec_lo, s9
	s_delay_alu instid0(SALU_CYCLE_1)
	s_mov_b32 s9, exec_lo
	v_cmpx_gt_u32_e64 s8, v71
	s_cbranch_execnz .LBB1862_62
.LBB1862_47:                            ;   in Loop: Header=BB1862_21 Depth=2
	s_or_b32 exec_lo, exec_lo, s9
	s_delay_alu instid0(SALU_CYCLE_1)
	s_mov_b32 s9, exec_lo
	v_cmpx_gt_u32_e64 s8, v72
	s_cbranch_execnz .LBB1862_63
.LBB1862_48:                            ;   in Loop: Header=BB1862_21 Depth=2
	s_or_b32 exec_lo, exec_lo, s9
	s_delay_alu instid0(SALU_CYCLE_1)
	s_mov_b32 s9, exec_lo
	v_cmpx_gt_u32_e64 s8, v73
	s_cbranch_execnz .LBB1862_64
.LBB1862_49:                            ;   in Loop: Header=BB1862_21 Depth=2
	s_or_b32 exec_lo, exec_lo, s9
	s_delay_alu instid0(SALU_CYCLE_1)
	s_mov_b32 s9, exec_lo
	v_cmpx_gt_u32_e64 s8, v74
	s_cbranch_execnz .LBB1862_65
.LBB1862_50:                            ;   in Loop: Header=BB1862_21 Depth=2
	s_or_b32 exec_lo, exec_lo, s9
	s_delay_alu instid0(SALU_CYCLE_1)
	s_mov_b32 s9, exec_lo
	v_cmpx_gt_u32_e64 s8, v75
	s_cbranch_execnz .LBB1862_66
.LBB1862_51:                            ;   in Loop: Header=BB1862_21 Depth=2
	s_or_b32 exec_lo, exec_lo, s9
	s_delay_alu instid0(SALU_CYCLE_1)
	s_mov_b32 s9, exec_lo
	v_cmpx_gt_u32_e64 s8, v76
	s_cbranch_execnz .LBB1862_67
.LBB1862_52:                            ;   in Loop: Header=BB1862_21 Depth=2
	s_or_b32 exec_lo, exec_lo, s9
	s_delay_alu instid0(SALU_CYCLE_1)
	s_mov_b32 s9, exec_lo
	v_cmpx_gt_u32_e64 s8, v77
	s_cbranch_execnz .LBB1862_68
.LBB1862_53:                            ;   in Loop: Header=BB1862_21 Depth=2
	s_or_b32 exec_lo, exec_lo, s9
	s_delay_alu instid0(SALU_CYCLE_1)
	s_mov_b32 s9, exec_lo
	v_cmpx_gt_u32_e64 s8, v78
	s_cbranch_execnz .LBB1862_69
.LBB1862_54:                            ;   in Loop: Header=BB1862_21 Depth=2
	s_or_b32 exec_lo, exec_lo, s9
	s_delay_alu instid0(SALU_CYCLE_1)
	s_mov_b32 s9, exec_lo
	v_cmpx_gt_u32_e64 s8, v79
	s_cbranch_execnz .LBB1862_70
.LBB1862_55:                            ;   in Loop: Header=BB1862_21 Depth=2
	s_or_b32 exec_lo, exec_lo, s9
	s_delay_alu instid0(SALU_CYCLE_1)
	s_mov_b32 s9, exec_lo
	v_cmpx_gt_u32_e64 s8, v80
	s_cbranch_execnz .LBB1862_71
.LBB1862_56:                            ;   in Loop: Header=BB1862_21 Depth=2
	s_or_b32 exec_lo, exec_lo, s9
	s_delay_alu instid0(SALU_CYCLE_1)
	s_mov_b32 s9, exec_lo
	v_cmpx_gt_u32_e64 s8, v81
	s_cbranch_execnz .LBB1862_72
.LBB1862_57:                            ;   in Loop: Header=BB1862_21 Depth=2
	s_or_b32 exec_lo, exec_lo, s9
	v_cmp_gt_u32_e32 vcc_lo, s8, v82
	s_and_saveexec_b32 s8, vcc_lo
	s_cbranch_execz .LBB1862_20
	s_branch .LBB1862_73
.LBB1862_58:                            ;   in Loop: Header=BB1862_21 Depth=2
	v_cmp_lt_i16_e32 vcc_lo, -1, v38
	v_cndmask_b32_e64 v39, -1, 0xffff8000, vcc_lo
	s_delay_alu instid0(VALU_DEP_1) | instskip(NEXT) | instid1(VALU_DEP_1)
	v_xor_b32_e32 v39, v39, v38
	v_cmp_ne_u16_e32 vcc_lo, 0x7fff, v39
	v_cndmask_b32_e32 v39, 0xffff8000, v39, vcc_lo
	s_delay_alu instid0(VALU_DEP_1) | instskip(NEXT) | instid1(VALU_DEP_1)
	v_and_b32_e32 v39, 0xffff, v39
	v_lshrrev_b32_e32 v39, s48, v39
	s_delay_alu instid0(VALU_DEP_1) | instskip(NEXT) | instid1(VALU_DEP_1)
	v_and_b32_e32 v39, s52, v39
	v_lshl_or_b32 v39, v39, 4, v83
	ds_add_u32 v39, v96
	s_or_b32 exec_lo, exec_lo, s9
	s_delay_alu instid0(SALU_CYCLE_1)
	s_mov_b32 s9, exec_lo
	v_cmpx_gt_u32_e64 s8, v68
	s_cbranch_execz .LBB1862_44
.LBB1862_59:                            ;   in Loop: Header=BB1862_21 Depth=2
	v_cmp_lt_i16_e32 vcc_lo, -1, v37
	v_cndmask_b32_e64 v39, -1, 0xffff8000, vcc_lo
	s_delay_alu instid0(VALU_DEP_1) | instskip(NEXT) | instid1(VALU_DEP_1)
	v_xor_b32_e32 v39, v39, v37
	v_cmp_ne_u16_e32 vcc_lo, 0x7fff, v39
	v_cndmask_b32_e32 v39, 0xffff8000, v39, vcc_lo
	s_delay_alu instid0(VALU_DEP_1) | instskip(NEXT) | instid1(VALU_DEP_1)
	v_and_b32_e32 v39, 0xffff, v39
	v_lshrrev_b32_e32 v39, s48, v39
	s_delay_alu instid0(VALU_DEP_1) | instskip(NEXT) | instid1(VALU_DEP_1)
	v_and_b32_e32 v39, s52, v39
	v_lshl_or_b32 v39, v39, 4, v83
	ds_add_u32 v39, v96
	s_or_b32 exec_lo, exec_lo, s9
	s_delay_alu instid0(SALU_CYCLE_1)
	s_mov_b32 s9, exec_lo
	v_cmpx_gt_u32_e64 s8, v69
	s_cbranch_execz .LBB1862_45
.LBB1862_60:                            ;   in Loop: Header=BB1862_21 Depth=2
	v_cmp_lt_i16_e32 vcc_lo, -1, v36
	v_cndmask_b32_e64 v39, -1, 0xffff8000, vcc_lo
	s_delay_alu instid0(VALU_DEP_1) | instskip(NEXT) | instid1(VALU_DEP_1)
	v_xor_b32_e32 v39, v39, v36
	v_cmp_ne_u16_e32 vcc_lo, 0x7fff, v39
	v_cndmask_b32_e32 v39, 0xffff8000, v39, vcc_lo
	s_delay_alu instid0(VALU_DEP_1) | instskip(NEXT) | instid1(VALU_DEP_1)
	v_and_b32_e32 v39, 0xffff, v39
	v_lshrrev_b32_e32 v39, s48, v39
	s_delay_alu instid0(VALU_DEP_1) | instskip(NEXT) | instid1(VALU_DEP_1)
	v_and_b32_e32 v39, s52, v39
	v_lshl_or_b32 v39, v39, 4, v83
	ds_add_u32 v39, v96
	s_or_b32 exec_lo, exec_lo, s9
	s_delay_alu instid0(SALU_CYCLE_1)
	s_mov_b32 s9, exec_lo
	v_cmpx_gt_u32_e64 s8, v70
	s_cbranch_execz .LBB1862_46
.LBB1862_61:                            ;   in Loop: Header=BB1862_21 Depth=2
	v_cmp_lt_i16_e32 vcc_lo, -1, v35
	v_cndmask_b32_e64 v39, -1, 0xffff8000, vcc_lo
	s_delay_alu instid0(VALU_DEP_1) | instskip(NEXT) | instid1(VALU_DEP_1)
	v_xor_b32_e32 v39, v39, v35
	v_cmp_ne_u16_e32 vcc_lo, 0x7fff, v39
	v_cndmask_b32_e32 v39, 0xffff8000, v39, vcc_lo
	s_delay_alu instid0(VALU_DEP_1) | instskip(NEXT) | instid1(VALU_DEP_1)
	v_and_b32_e32 v39, 0xffff, v39
	v_lshrrev_b32_e32 v39, s48, v39
	s_delay_alu instid0(VALU_DEP_1) | instskip(NEXT) | instid1(VALU_DEP_1)
	v_and_b32_e32 v39, s52, v39
	v_lshl_or_b32 v39, v39, 4, v83
	ds_add_u32 v39, v96
	s_or_b32 exec_lo, exec_lo, s9
	s_delay_alu instid0(SALU_CYCLE_1)
	s_mov_b32 s9, exec_lo
	v_cmpx_gt_u32_e64 s8, v71
	s_cbranch_execz .LBB1862_47
.LBB1862_62:                            ;   in Loop: Header=BB1862_21 Depth=2
	v_cmp_lt_i16_e32 vcc_lo, -1, v34
	v_cndmask_b32_e64 v39, -1, 0xffff8000, vcc_lo
	s_delay_alu instid0(VALU_DEP_1) | instskip(NEXT) | instid1(VALU_DEP_1)
	v_xor_b32_e32 v39, v39, v34
	v_cmp_ne_u16_e32 vcc_lo, 0x7fff, v39
	v_cndmask_b32_e32 v39, 0xffff8000, v39, vcc_lo
	s_delay_alu instid0(VALU_DEP_1) | instskip(NEXT) | instid1(VALU_DEP_1)
	v_and_b32_e32 v39, 0xffff, v39
	v_lshrrev_b32_e32 v39, s48, v39
	s_delay_alu instid0(VALU_DEP_1) | instskip(NEXT) | instid1(VALU_DEP_1)
	v_and_b32_e32 v39, s52, v39
	v_lshl_or_b32 v39, v39, 4, v83
	ds_add_u32 v39, v96
	s_or_b32 exec_lo, exec_lo, s9
	s_delay_alu instid0(SALU_CYCLE_1)
	s_mov_b32 s9, exec_lo
	v_cmpx_gt_u32_e64 s8, v72
	s_cbranch_execz .LBB1862_48
.LBB1862_63:                            ;   in Loop: Header=BB1862_21 Depth=2
	v_cmp_lt_i16_e32 vcc_lo, -1, v33
	v_cndmask_b32_e64 v39, -1, 0xffff8000, vcc_lo
	s_delay_alu instid0(VALU_DEP_1) | instskip(NEXT) | instid1(VALU_DEP_1)
	v_xor_b32_e32 v39, v39, v33
	v_cmp_ne_u16_e32 vcc_lo, 0x7fff, v39
	v_cndmask_b32_e32 v39, 0xffff8000, v39, vcc_lo
	s_delay_alu instid0(VALU_DEP_1) | instskip(NEXT) | instid1(VALU_DEP_1)
	v_and_b32_e32 v39, 0xffff, v39
	v_lshrrev_b32_e32 v39, s48, v39
	s_delay_alu instid0(VALU_DEP_1) | instskip(NEXT) | instid1(VALU_DEP_1)
	v_and_b32_e32 v39, s52, v39
	v_lshl_or_b32 v39, v39, 4, v83
	ds_add_u32 v39, v96
	s_or_b32 exec_lo, exec_lo, s9
	s_delay_alu instid0(SALU_CYCLE_1)
	s_mov_b32 s9, exec_lo
	v_cmpx_gt_u32_e64 s8, v73
	s_cbranch_execz .LBB1862_49
.LBB1862_64:                            ;   in Loop: Header=BB1862_21 Depth=2
	v_cmp_lt_i16_e32 vcc_lo, -1, v32
	v_cndmask_b32_e64 v39, -1, 0xffff8000, vcc_lo
	s_delay_alu instid0(VALU_DEP_1) | instskip(NEXT) | instid1(VALU_DEP_1)
	v_xor_b32_e32 v39, v39, v32
	v_cmp_ne_u16_e32 vcc_lo, 0x7fff, v39
	v_cndmask_b32_e32 v39, 0xffff8000, v39, vcc_lo
	s_delay_alu instid0(VALU_DEP_1) | instskip(NEXT) | instid1(VALU_DEP_1)
	v_and_b32_e32 v39, 0xffff, v39
	v_lshrrev_b32_e32 v39, s48, v39
	s_delay_alu instid0(VALU_DEP_1) | instskip(NEXT) | instid1(VALU_DEP_1)
	v_and_b32_e32 v39, s52, v39
	v_lshl_or_b32 v39, v39, 4, v83
	ds_add_u32 v39, v96
	s_or_b32 exec_lo, exec_lo, s9
	s_delay_alu instid0(SALU_CYCLE_1)
	s_mov_b32 s9, exec_lo
	v_cmpx_gt_u32_e64 s8, v74
	s_cbranch_execz .LBB1862_50
.LBB1862_65:                            ;   in Loop: Header=BB1862_21 Depth=2
	v_cmp_lt_i16_e32 vcc_lo, -1, v31
	v_cndmask_b32_e64 v39, -1, 0xffff8000, vcc_lo
	s_delay_alu instid0(VALU_DEP_1) | instskip(NEXT) | instid1(VALU_DEP_1)
	v_xor_b32_e32 v39, v39, v31
	v_cmp_ne_u16_e32 vcc_lo, 0x7fff, v39
	v_cndmask_b32_e32 v39, 0xffff8000, v39, vcc_lo
	s_delay_alu instid0(VALU_DEP_1) | instskip(NEXT) | instid1(VALU_DEP_1)
	v_and_b32_e32 v39, 0xffff, v39
	v_lshrrev_b32_e32 v39, s48, v39
	s_delay_alu instid0(VALU_DEP_1) | instskip(NEXT) | instid1(VALU_DEP_1)
	v_and_b32_e32 v39, s52, v39
	v_lshl_or_b32 v39, v39, 4, v83
	ds_add_u32 v39, v96
	s_or_b32 exec_lo, exec_lo, s9
	s_delay_alu instid0(SALU_CYCLE_1)
	s_mov_b32 s9, exec_lo
	v_cmpx_gt_u32_e64 s8, v75
	s_cbranch_execz .LBB1862_51
.LBB1862_66:                            ;   in Loop: Header=BB1862_21 Depth=2
	v_cmp_lt_i16_e32 vcc_lo, -1, v30
	v_cndmask_b32_e64 v39, -1, 0xffff8000, vcc_lo
	s_delay_alu instid0(VALU_DEP_1) | instskip(NEXT) | instid1(VALU_DEP_1)
	v_xor_b32_e32 v39, v39, v30
	v_cmp_ne_u16_e32 vcc_lo, 0x7fff, v39
	v_cndmask_b32_e32 v39, 0xffff8000, v39, vcc_lo
	s_delay_alu instid0(VALU_DEP_1) | instskip(NEXT) | instid1(VALU_DEP_1)
	v_and_b32_e32 v39, 0xffff, v39
	v_lshrrev_b32_e32 v39, s48, v39
	s_delay_alu instid0(VALU_DEP_1) | instskip(NEXT) | instid1(VALU_DEP_1)
	v_and_b32_e32 v39, s52, v39
	v_lshl_or_b32 v39, v39, 4, v83
	ds_add_u32 v39, v96
	s_or_b32 exec_lo, exec_lo, s9
	s_delay_alu instid0(SALU_CYCLE_1)
	s_mov_b32 s9, exec_lo
	v_cmpx_gt_u32_e64 s8, v76
	s_cbranch_execz .LBB1862_52
.LBB1862_67:                            ;   in Loop: Header=BB1862_21 Depth=2
	v_cmp_lt_i16_e32 vcc_lo, -1, v29
	v_cndmask_b32_e64 v39, -1, 0xffff8000, vcc_lo
	s_delay_alu instid0(VALU_DEP_1) | instskip(NEXT) | instid1(VALU_DEP_1)
	v_xor_b32_e32 v39, v39, v29
	v_cmp_ne_u16_e32 vcc_lo, 0x7fff, v39
	v_cndmask_b32_e32 v39, 0xffff8000, v39, vcc_lo
	s_delay_alu instid0(VALU_DEP_1) | instskip(NEXT) | instid1(VALU_DEP_1)
	v_and_b32_e32 v39, 0xffff, v39
	v_lshrrev_b32_e32 v39, s48, v39
	s_delay_alu instid0(VALU_DEP_1) | instskip(NEXT) | instid1(VALU_DEP_1)
	v_and_b32_e32 v39, s52, v39
	v_lshl_or_b32 v39, v39, 4, v83
	ds_add_u32 v39, v96
	s_or_b32 exec_lo, exec_lo, s9
	s_delay_alu instid0(SALU_CYCLE_1)
	s_mov_b32 s9, exec_lo
	v_cmpx_gt_u32_e64 s8, v77
	s_cbranch_execz .LBB1862_53
.LBB1862_68:                            ;   in Loop: Header=BB1862_21 Depth=2
	v_cmp_lt_i16_e32 vcc_lo, -1, v28
	v_cndmask_b32_e64 v39, -1, 0xffff8000, vcc_lo
	s_delay_alu instid0(VALU_DEP_1) | instskip(NEXT) | instid1(VALU_DEP_1)
	v_xor_b32_e32 v39, v39, v28
	v_cmp_ne_u16_e32 vcc_lo, 0x7fff, v39
	v_cndmask_b32_e32 v39, 0xffff8000, v39, vcc_lo
	s_delay_alu instid0(VALU_DEP_1) | instskip(NEXT) | instid1(VALU_DEP_1)
	v_and_b32_e32 v39, 0xffff, v39
	v_lshrrev_b32_e32 v39, s48, v39
	s_delay_alu instid0(VALU_DEP_1) | instskip(NEXT) | instid1(VALU_DEP_1)
	v_and_b32_e32 v39, s52, v39
	v_lshl_or_b32 v39, v39, 4, v83
	ds_add_u32 v39, v96
	s_or_b32 exec_lo, exec_lo, s9
	s_delay_alu instid0(SALU_CYCLE_1)
	s_mov_b32 s9, exec_lo
	v_cmpx_gt_u32_e64 s8, v78
	s_cbranch_execz .LBB1862_54
.LBB1862_69:                            ;   in Loop: Header=BB1862_21 Depth=2
	v_cmp_lt_i16_e32 vcc_lo, -1, v27
	v_cndmask_b32_e64 v39, -1, 0xffff8000, vcc_lo
	s_delay_alu instid0(VALU_DEP_1) | instskip(NEXT) | instid1(VALU_DEP_1)
	v_xor_b32_e32 v39, v39, v27
	v_cmp_ne_u16_e32 vcc_lo, 0x7fff, v39
	v_cndmask_b32_e32 v39, 0xffff8000, v39, vcc_lo
	s_delay_alu instid0(VALU_DEP_1) | instskip(NEXT) | instid1(VALU_DEP_1)
	v_and_b32_e32 v39, 0xffff, v39
	v_lshrrev_b32_e32 v39, s48, v39
	s_delay_alu instid0(VALU_DEP_1) | instskip(NEXT) | instid1(VALU_DEP_1)
	v_and_b32_e32 v39, s52, v39
	v_lshl_or_b32 v39, v39, 4, v83
	ds_add_u32 v39, v96
	s_or_b32 exec_lo, exec_lo, s9
	s_delay_alu instid0(SALU_CYCLE_1)
	s_mov_b32 s9, exec_lo
	v_cmpx_gt_u32_e64 s8, v79
	s_cbranch_execz .LBB1862_55
.LBB1862_70:                            ;   in Loop: Header=BB1862_21 Depth=2
	v_cmp_lt_i16_e32 vcc_lo, -1, v26
	v_cndmask_b32_e64 v39, -1, 0xffff8000, vcc_lo
	s_delay_alu instid0(VALU_DEP_1) | instskip(NEXT) | instid1(VALU_DEP_1)
	v_xor_b32_e32 v39, v39, v26
	v_cmp_ne_u16_e32 vcc_lo, 0x7fff, v39
	v_cndmask_b32_e32 v39, 0xffff8000, v39, vcc_lo
	s_delay_alu instid0(VALU_DEP_1) | instskip(NEXT) | instid1(VALU_DEP_1)
	v_and_b32_e32 v39, 0xffff, v39
	v_lshrrev_b32_e32 v39, s48, v39
	s_delay_alu instid0(VALU_DEP_1) | instskip(NEXT) | instid1(VALU_DEP_1)
	v_and_b32_e32 v39, s52, v39
	v_lshl_or_b32 v39, v39, 4, v83
	ds_add_u32 v39, v96
	s_or_b32 exec_lo, exec_lo, s9
	s_delay_alu instid0(SALU_CYCLE_1)
	s_mov_b32 s9, exec_lo
	v_cmpx_gt_u32_e64 s8, v80
	s_cbranch_execz .LBB1862_56
.LBB1862_71:                            ;   in Loop: Header=BB1862_21 Depth=2
	v_cmp_lt_i16_e32 vcc_lo, -1, v25
	v_cndmask_b32_e64 v39, -1, 0xffff8000, vcc_lo
	s_delay_alu instid0(VALU_DEP_1) | instskip(NEXT) | instid1(VALU_DEP_1)
	v_xor_b32_e32 v39, v39, v25
	v_cmp_ne_u16_e32 vcc_lo, 0x7fff, v39
	v_cndmask_b32_e32 v39, 0xffff8000, v39, vcc_lo
	s_delay_alu instid0(VALU_DEP_1) | instskip(NEXT) | instid1(VALU_DEP_1)
	v_and_b32_e32 v39, 0xffff, v39
	v_lshrrev_b32_e32 v39, s48, v39
	s_delay_alu instid0(VALU_DEP_1) | instskip(NEXT) | instid1(VALU_DEP_1)
	v_and_b32_e32 v39, s52, v39
	v_lshl_or_b32 v39, v39, 4, v83
	ds_add_u32 v39, v96
	s_or_b32 exec_lo, exec_lo, s9
	s_delay_alu instid0(SALU_CYCLE_1)
	s_mov_b32 s9, exec_lo
	v_cmpx_gt_u32_e64 s8, v81
	s_cbranch_execz .LBB1862_57
.LBB1862_72:                            ;   in Loop: Header=BB1862_21 Depth=2
	v_cmp_lt_i16_e32 vcc_lo, -1, v24
	v_cndmask_b32_e64 v39, -1, 0xffff8000, vcc_lo
	s_delay_alu instid0(VALU_DEP_1) | instskip(NEXT) | instid1(VALU_DEP_1)
	v_xor_b32_e32 v39, v39, v24
	v_cmp_ne_u16_e32 vcc_lo, 0x7fff, v39
	v_cndmask_b32_e32 v39, 0xffff8000, v39, vcc_lo
	s_delay_alu instid0(VALU_DEP_1) | instskip(NEXT) | instid1(VALU_DEP_1)
	v_and_b32_e32 v39, 0xffff, v39
	v_lshrrev_b32_e32 v39, s48, v39
	s_delay_alu instid0(VALU_DEP_1) | instskip(NEXT) | instid1(VALU_DEP_1)
	v_and_b32_e32 v39, s52, v39
	v_lshl_or_b32 v39, v39, 4, v83
	ds_add_u32 v39, v96
	s_or_b32 exec_lo, exec_lo, s9
	v_cmp_gt_u32_e32 vcc_lo, s8, v82
	s_and_saveexec_b32 s8, vcc_lo
	s_cbranch_execz .LBB1862_20
.LBB1862_73:                            ;   in Loop: Header=BB1862_21 Depth=2
	v_cmp_lt_i16_e32 vcc_lo, -1, v23
	v_cndmask_b32_e64 v39, -1, 0xffff8000, vcc_lo
	s_delay_alu instid0(VALU_DEP_1) | instskip(NEXT) | instid1(VALU_DEP_1)
	v_xor_b32_e32 v39, v39, v23
	v_cmp_ne_u16_e32 vcc_lo, 0x7fff, v39
	v_cndmask_b32_e32 v39, 0xffff8000, v39, vcc_lo
	s_delay_alu instid0(VALU_DEP_1) | instskip(NEXT) | instid1(VALU_DEP_1)
	v_and_b32_e32 v39, 0xffff, v39
	v_lshrrev_b32_e32 v39, s48, v39
	s_delay_alu instid0(VALU_DEP_1) | instskip(NEXT) | instid1(VALU_DEP_1)
	v_and_b32_e32 v39, s52, v39
	v_lshl_or_b32 v39, v39, 4, v83
	ds_add_u32 v39, v96
	s_branch .LBB1862_20
.LBB1862_74:                            ;   in Loop: Header=BB1862_21 Depth=2
	global_load_u16 v38, v2, s[8:9] scale_offset
	s_wait_xcnt 0x0
	s_or_b32 exec_lo, exec_lo, s11
	s_delay_alu instid0(SALU_CYCLE_1)
	s_mov_b32 s11, exec_lo
	v_cmpx_gt_u32_e64 s7, v68
	s_cbranch_execz .LBB1862_26
.LBB1862_75:                            ;   in Loop: Header=BB1862_21 Depth=2
	global_load_u16 v37, v2, s[8:9] offset:512 scale_offset
	s_wait_xcnt 0x0
	s_or_b32 exec_lo, exec_lo, s11
	s_delay_alu instid0(SALU_CYCLE_1)
	s_mov_b32 s11, exec_lo
	v_cmpx_gt_u32_e64 s7, v69
	s_cbranch_execz .LBB1862_27
.LBB1862_76:                            ;   in Loop: Header=BB1862_21 Depth=2
	global_load_u16 v36, v2, s[8:9] offset:1024 scale_offset
	s_wait_xcnt 0x0
	s_or_b32 exec_lo, exec_lo, s11
	s_delay_alu instid0(SALU_CYCLE_1)
	s_mov_b32 s11, exec_lo
	v_cmpx_gt_u32_e64 s7, v70
	s_cbranch_execz .LBB1862_28
.LBB1862_77:                            ;   in Loop: Header=BB1862_21 Depth=2
	global_load_u16 v35, v2, s[8:9] offset:1536 scale_offset
	s_wait_xcnt 0x0
	s_or_b32 exec_lo, exec_lo, s11
	s_delay_alu instid0(SALU_CYCLE_1)
	s_mov_b32 s11, exec_lo
	v_cmpx_gt_u32_e64 s7, v71
	s_cbranch_execz .LBB1862_29
.LBB1862_78:                            ;   in Loop: Header=BB1862_21 Depth=2
	global_load_u16 v34, v2, s[8:9] offset:2048 scale_offset
	s_wait_xcnt 0x0
	s_or_b32 exec_lo, exec_lo, s11
	s_delay_alu instid0(SALU_CYCLE_1)
	s_mov_b32 s11, exec_lo
	v_cmpx_gt_u32_e64 s7, v72
	s_cbranch_execz .LBB1862_30
.LBB1862_79:                            ;   in Loop: Header=BB1862_21 Depth=2
	global_load_u16 v33, v2, s[8:9] offset:2560 scale_offset
	s_wait_xcnt 0x0
	s_or_b32 exec_lo, exec_lo, s11
	s_delay_alu instid0(SALU_CYCLE_1)
	s_mov_b32 s11, exec_lo
	v_cmpx_gt_u32_e64 s7, v73
	s_cbranch_execz .LBB1862_31
.LBB1862_80:                            ;   in Loop: Header=BB1862_21 Depth=2
	global_load_u16 v32, v2, s[8:9] offset:3072 scale_offset
	s_wait_xcnt 0x0
	s_or_b32 exec_lo, exec_lo, s11
	s_delay_alu instid0(SALU_CYCLE_1)
	s_mov_b32 s11, exec_lo
	v_cmpx_gt_u32_e64 s7, v74
	s_cbranch_execz .LBB1862_32
.LBB1862_81:                            ;   in Loop: Header=BB1862_21 Depth=2
	global_load_u16 v31, v2, s[8:9] offset:3584 scale_offset
	s_wait_xcnt 0x0
	s_or_b32 exec_lo, exec_lo, s11
	s_delay_alu instid0(SALU_CYCLE_1)
	s_mov_b32 s11, exec_lo
	v_cmpx_gt_u32_e64 s7, v75
	s_cbranch_execz .LBB1862_33
.LBB1862_82:                            ;   in Loop: Header=BB1862_21 Depth=2
	global_load_u16 v30, v2, s[8:9] offset:4096 scale_offset
	s_wait_xcnt 0x0
	s_or_b32 exec_lo, exec_lo, s11
	s_delay_alu instid0(SALU_CYCLE_1)
	s_mov_b32 s11, exec_lo
	v_cmpx_gt_u32_e64 s7, v76
	s_cbranch_execz .LBB1862_34
.LBB1862_83:                            ;   in Loop: Header=BB1862_21 Depth=2
	global_load_u16 v29, v2, s[8:9] offset:4608 scale_offset
	s_wait_xcnt 0x0
	s_or_b32 exec_lo, exec_lo, s11
	s_delay_alu instid0(SALU_CYCLE_1)
	s_mov_b32 s11, exec_lo
	v_cmpx_gt_u32_e64 s7, v77
	s_cbranch_execz .LBB1862_35
.LBB1862_84:                            ;   in Loop: Header=BB1862_21 Depth=2
	global_load_u16 v28, v2, s[8:9] offset:5120 scale_offset
	s_wait_xcnt 0x0
	s_or_b32 exec_lo, exec_lo, s11
	s_delay_alu instid0(SALU_CYCLE_1)
	s_mov_b32 s11, exec_lo
	v_cmpx_gt_u32_e64 s7, v78
	s_cbranch_execz .LBB1862_36
.LBB1862_85:                            ;   in Loop: Header=BB1862_21 Depth=2
	global_load_u16 v27, v2, s[8:9] offset:5632 scale_offset
	s_wait_xcnt 0x0
	s_or_b32 exec_lo, exec_lo, s11
	s_delay_alu instid0(SALU_CYCLE_1)
	s_mov_b32 s11, exec_lo
	v_cmpx_gt_u32_e64 s7, v79
	s_cbranch_execz .LBB1862_37
.LBB1862_86:                            ;   in Loop: Header=BB1862_21 Depth=2
	global_load_u16 v26, v2, s[8:9] offset:6144 scale_offset
	s_wait_xcnt 0x0
	s_or_b32 exec_lo, exec_lo, s11
	s_delay_alu instid0(SALU_CYCLE_1)
	s_mov_b32 s11, exec_lo
	v_cmpx_gt_u32_e64 s7, v80
	s_cbranch_execz .LBB1862_38
.LBB1862_87:                            ;   in Loop: Header=BB1862_21 Depth=2
	global_load_u16 v25, v2, s[8:9] offset:6656 scale_offset
	s_wait_xcnt 0x0
	s_or_b32 exec_lo, exec_lo, s11
	s_delay_alu instid0(SALU_CYCLE_1)
	s_mov_b32 s11, exec_lo
	v_cmpx_gt_u32_e64 s7, v81
	s_cbranch_execz .LBB1862_39
.LBB1862_88:                            ;   in Loop: Header=BB1862_21 Depth=2
	global_load_u16 v24, v2, s[8:9] offset:7168 scale_offset
	s_wait_xcnt 0x0
	s_or_b32 exec_lo, exec_lo, s11
	s_delay_alu instid0(SALU_CYCLE_1)
	s_mov_b32 s11, exec_lo
	v_cmpx_gt_u32_e64 s7, v82
	s_cbranch_execnz .LBB1862_40
	s_branch .LBB1862_41
.LBB1862_89:                            ;   in Loop: Header=BB1862_17 Depth=1
	v_mov_b32_e32 v23, 0
	s_wait_dscnt 0x0
	s_barrier_signal -1
	s_barrier_wait -1
	s_and_saveexec_b32 s7, s0
	s_cbranch_execz .LBB1862_91
; %bb.90:                               ;   in Loop: Header=BB1862_17 Depth=1
	ds_load_2addr_b64 v[24:27], v85 offset1:1
	s_wait_dscnt 0x0
	v_add_nc_u32_e32 v23, v25, v24
	s_delay_alu instid0(VALU_DEP_1)
	v_add3_u32 v23, v23, v26, v27
.LBB1862_91:                            ;   in Loop: Header=BB1862_17 Depth=1
	s_or_b32 exec_lo, exec_lo, s7
	s_delay_alu instid0(VALU_DEP_1)
	v_mov_b32_dpp v24, v23 row_shr:1 row_mask:0xf bank_mask:0xf
	v_cmp_eq_u32_e64 s7, 0, v97
	v_cmp_lt_u32_e64 s8, 1, v97
	v_cmp_lt_u32_e64 s9, 3, v97
	v_cmp_lt_u32_e64 s10, 7, v97
	v_cmp_eq_u32_e64 s11, 0, v99
	v_cndmask_b32_e64 v24, v24, 0, s7
	s_delay_alu instid0(VALU_DEP_1) | instskip(NEXT) | instid1(VALU_DEP_1)
	v_add_nc_u32_e32 v23, v24, v23
	v_mov_b32_dpp v24, v23 row_shr:2 row_mask:0xf bank_mask:0xf
	s_delay_alu instid0(VALU_DEP_1) | instskip(NEXT) | instid1(VALU_DEP_1)
	v_cndmask_b32_e64 v24, 0, v24, s8
	v_add_nc_u32_e32 v23, v23, v24
	s_delay_alu instid0(VALU_DEP_1) | instskip(NEXT) | instid1(VALU_DEP_1)
	v_mov_b32_dpp v24, v23 row_shr:4 row_mask:0xf bank_mask:0xf
	v_cndmask_b32_e64 v24, 0, v24, s9
	s_delay_alu instid0(VALU_DEP_1) | instskip(NEXT) | instid1(VALU_DEP_1)
	v_add_nc_u32_e32 v23, v23, v24
	v_mov_b32_dpp v24, v23 row_shr:8 row_mask:0xf bank_mask:0xf
	s_delay_alu instid0(VALU_DEP_1) | instskip(NEXT) | instid1(VALU_DEP_1)
	v_cndmask_b32_e64 v24, 0, v24, s10
	v_add_nc_u32_e32 v23, v23, v24
	ds_swizzle_b32 v24, v23 offset:swizzle(BROADCAST,32,15)
	s_wait_dscnt 0x0
	v_and_b32_e32 v24, v98, v24
	s_delay_alu instid0(VALU_DEP_1)
	v_add_nc_u32_e32 v23, v23, v24
	s_and_saveexec_b32 s12, s1
; %bb.92:                               ;   in Loop: Header=BB1862_17 Depth=1
	ds_store_b32 v86, v23
; %bb.93:                               ;   in Loop: Header=BB1862_17 Depth=1
	s_or_b32 exec_lo, exec_lo, s12
	s_wait_dscnt 0x0
	s_barrier_signal -1
	s_barrier_wait -1
	s_and_saveexec_b32 s12, s4
	s_cbranch_execz .LBB1862_95
; %bb.94:                               ;   in Loop: Header=BB1862_17 Depth=1
	ds_load_b32 v24, v87
	v_cmp_ne_u32_e32 vcc_lo, 0, v101
	s_wait_dscnt 0x0
	v_mov_b32_dpp v25, v24 row_shr:1 row_mask:0xf bank_mask:0xf
	s_delay_alu instid0(VALU_DEP_1) | instskip(SKIP_1) | instid1(VALU_DEP_2)
	v_cndmask_b32_e32 v25, 0, v25, vcc_lo
	v_cmp_lt_u32_e32 vcc_lo, 1, v101
	v_add_nc_u32_e32 v24, v25, v24
	s_delay_alu instid0(VALU_DEP_1) | instskip(NEXT) | instid1(VALU_DEP_1)
	v_mov_b32_dpp v25, v24 row_shr:2 row_mask:0xf bank_mask:0xf
	v_cndmask_b32_e32 v25, 0, v25, vcc_lo
	v_cmp_lt_u32_e32 vcc_lo, 3, v101
	s_delay_alu instid0(VALU_DEP_2) | instskip(NEXT) | instid1(VALU_DEP_1)
	v_add_nc_u32_e32 v24, v24, v25
	v_mov_b32_dpp v25, v24 row_shr:4 row_mask:0xf bank_mask:0xf
	s_delay_alu instid0(VALU_DEP_1) | instskip(NEXT) | instid1(VALU_DEP_1)
	v_cndmask_b32_e32 v25, 0, v25, vcc_lo
	v_add_nc_u32_e32 v24, v24, v25
	ds_store_b32 v87, v24
.LBB1862_95:                            ;   in Loop: Header=BB1862_17 Depth=1
	s_or_b32 exec_lo, exec_lo, s12
	v_mov_b32_e32 v24, 0
	s_wait_dscnt 0x0
	s_barrier_signal -1
	s_barrier_wait -1
	s_and_saveexec_b32 s12, s5
; %bb.96:                               ;   in Loop: Header=BB1862_17 Depth=1
	ds_load_b32 v24, v88
; %bb.97:                               ;   in Loop: Header=BB1862_17 Depth=1
	s_or_b32 exec_lo, exec_lo, s12
	v_cmp_gt_i32_e32 vcc_lo, 0, v102
	s_wait_dscnt 0x0
	s_barrier_signal -1
	s_barrier_wait -1
	v_cndmask_b32_e32 v25, v102, v95, vcc_lo
	s_delay_alu instid0(VALU_DEP_1)
	v_dual_add_nc_u32 v23, v24, v23 :: v_dual_lshlrev_b32 v122, 2, v25
	ds_bpermute_b32 v23, v122, v23
	s_and_saveexec_b32 s12, s0
	s_cbranch_execz .LBB1862_99
; %bb.98:                               ;   in Loop: Header=BB1862_17 Depth=1
	s_wait_dscnt 0x0
	v_cndmask_b32_e64 v23, v23, v24, s6
	s_delay_alu instid0(VALU_DEP_1)
	v_add_nc_u32_e32 v23, s54, v23
	ds_store_b32 v3, v23
.LBB1862_99:                            ;   in Loop: Header=BB1862_17 Depth=1
	s_or_b32 exec_lo, exec_lo, s12
	s_clause 0x1
	s_load_b32 s12, s[34:35], 0x4
	s_load_b32 s14, s[34:35], 0xc
	s_mov_b32 s53, s56
                                        ; implicit-def: $vgpr30_vgpr31
                                        ; implicit-def: $vgpr32_vgpr33
                                        ; implicit-def: $vgpr34_vgpr35
                                        ; implicit-def: $vgpr36_vgpr37
                                        ; implicit-def: $vgpr38_vgpr39
                                        ; implicit-def: $vgpr40_vgpr41
                                        ; implicit-def: $vgpr42_vgpr43
                                        ; implicit-def: $vgpr44_vgpr45
                                        ; implicit-def: $vgpr46_vgpr47
                                        ; implicit-def: $vgpr48_vgpr49
                                        ; implicit-def: $vgpr50_vgpr51
                                        ; implicit-def: $vgpr52_vgpr53
                                        ; implicit-def: $vgpr54_vgpr55
                                        ; implicit-def: $vgpr56_vgpr57
                                        ; implicit-def: $vgpr58_vgpr59
                                        ; implicit-def: $vgpr123
                                        ; implicit-def: $vgpr124
                                        ; implicit-def: $vgpr125
                                        ; implicit-def: $vgpr126
                                        ; implicit-def: $vgpr127
                                        ; implicit-def: $vgpr128
                                        ; implicit-def: $vgpr129
                                        ; implicit-def: $vgpr130
                                        ; implicit-def: $vgpr131
                                        ; implicit-def: $vgpr132
                                        ; implicit-def: $vgpr133
                                        ; implicit-def: $vgpr134
                                        ; implicit-def: $vgpr135
                                        ; implicit-def: $vgpr136
                                        ; implicit-def: $vgpr137
                                        ; implicit-def: $vgpr138
	s_wait_kmcnt 0x0
	s_cmp_lt_u32 s31, s12
	s_cselect_b32 s42, 14, 20
	s_delay_alu instid0(SALU_CYCLE_1)
	s_add_nc_u64 s[12:13], s[34:35], s[42:43]
	s_mov_b32 s42, s54
	s_load_u16 s12, s[12:13], 0x0
	s_wait_xcnt 0x0
	v_cmp_lt_u32_e64 s13, 1, v101
	s_wait_dscnt 0x0
	s_wait_kmcnt 0x0
	v_mad_u32_u24 v23, v89, s12, v90
	s_and_b32 s12, s14, 0xffff
	v_cmp_lt_u32_e64 s14, 3, v101
	s_delay_alu instid0(VALU_DEP_2) | instskip(SKIP_2) | instid1(VALU_DEP_3)
	v_mad_u32 v24, v23, s12, v2
	v_mov_b32_e32 v23, v5
	v_cmp_eq_u32_e64 s12, 0, v101
	v_lshrrev_b32_e32 v28, 3, v24
	v_add_nc_u64_e32 v[24:25], v[0:1], v[4:5]
	s_delay_alu instid0(VALU_DEP_4) | instskip(NEXT) | instid1(VALU_DEP_3)
	v_add_nc_u64_e32 v[26:27], v[8:9], v[22:23]
	v_and_b32_e32 v23, 0x1ffffffc, v28
                                        ; implicit-def: $vgpr28_vgpr29
	s_branch .LBB1862_101
.LBB1862_100:                           ;   in Loop: Header=BB1862_101 Depth=2
	s_or_b32 exec_lo, exec_lo, s15
	s_addk_co_i32 s53, 0xf000
	s_cmp_lt_u32 s57, s51
	s_mov_b32 s42, s57
	s_cbranch_scc0 .LBB1862_309
.LBB1862_101:                           ;   Parent Loop BB1862_17 Depth=1
                                        ; =>  This Inner Loop Header: Depth=2
	s_add_co_i32 s57, s42, 0x1000
	s_delay_alu instid0(SALU_CYCLE_1)
	s_cmp_gt_u32 s57, s51
	s_cbranch_scc1 .LBB1862_103
; %bb.102:                              ;   in Loop: Header=BB1862_101 Depth=2
	s_delay_alu instid0(VALU_DEP_2)
	v_lshl_add_u64 v[60:61], s[42:43], 1, v[26:27]
	s_mov_b32 s15, -1
	s_clause 0xe
	global_load_u16 v140, v[60:61], off
	global_load_u16 v141, v[60:61], off offset:64
	global_load_u16 v144, v[60:61], off offset:128
	;; [unrolled: 1-line block ×14, first 2 shown]
	s_movk_i32 s16, 0x1000
	s_cbranch_execz .LBB1862_104
	s_branch .LBB1862_135
.LBB1862_103:                           ;   in Loop: Header=BB1862_101 Depth=2
	s_mov_b32 s15, 0
                                        ; implicit-def: $vgpr140
                                        ; implicit-def: $vgpr141
                                        ; implicit-def: $vgpr144
                                        ; implicit-def: $vgpr148
                                        ; implicit-def: $vgpr152
                                        ; implicit-def: $vgpr156
                                        ; implicit-def: $vgpr160
                                        ; implicit-def: $vgpr164
                                        ; implicit-def: $vgpr168
                                        ; implicit-def: $vgpr67
                                        ; implicit-def: $vgpr66
                                        ; implicit-def: $vgpr65
                                        ; implicit-def: $vgpr64
                                        ; implicit-def: $vgpr63
                                        ; implicit-def: $vgpr62
	s_movk_i32 s16, 0x1000
.LBB1862_104:                           ;   in Loop: Header=BB1862_101 Depth=2
	s_wait_xcnt 0x0
	v_lshl_add_u64 v[60:61], s[42:43], 1, v[26:27]
	s_wait_loadcnt 0xd
	v_dual_mov_b32 v141, 0x7fff :: v_dual_mov_b32 v140, 0x7fff
	s_mov_b32 s15, exec_lo
	v_cmpx_gt_u32_e64 s53, v100
	s_cbranch_execz .LBB1862_106
; %bb.105:                              ;   in Loop: Header=BB1862_101 Depth=2
	global_load_u16 v140, v[60:61], off
.LBB1862_106:                           ;   in Loop: Header=BB1862_101 Depth=2
	s_wait_xcnt 0x0
	s_or_b32 exec_lo, exec_lo, s15
	s_delay_alu instid0(SALU_CYCLE_1)
	s_mov_b32 s15, exec_lo
	v_cmpx_gt_u32_e64 s53, v103
	s_cbranch_execz .LBB1862_108
; %bb.107:                              ;   in Loop: Header=BB1862_101 Depth=2
	global_load_u16 v141, v[60:61], off offset:64
.LBB1862_108:                           ;   in Loop: Header=BB1862_101 Depth=2
	s_wait_xcnt 0x0
	s_or_b32 exec_lo, exec_lo, s15
	s_wait_loadcnt 0xb
	v_mov_b32_e32 v148, 0x7fff
	v_mov_b32_e32 v144, 0x7fff
	s_mov_b32 s15, exec_lo
	v_cmpx_gt_u32_e64 s53, v104
	s_cbranch_execz .LBB1862_110
; %bb.109:                              ;   in Loop: Header=BB1862_101 Depth=2
	global_load_u16 v144, v[60:61], off offset:128
.LBB1862_110:                           ;   in Loop: Header=BB1862_101 Depth=2
	s_wait_xcnt 0x0
	s_or_b32 exec_lo, exec_lo, s15
	s_delay_alu instid0(SALU_CYCLE_1)
	s_mov_b32 s15, exec_lo
	v_cmpx_gt_u32_e64 s53, v105
	s_cbranch_execz .LBB1862_112
; %bb.111:                              ;   in Loop: Header=BB1862_101 Depth=2
	global_load_u16 v148, v[60:61], off offset:192
.LBB1862_112:                           ;   in Loop: Header=BB1862_101 Depth=2
	s_wait_xcnt 0x0
	s_or_b32 exec_lo, exec_lo, s15
	s_wait_loadcnt 0x9
	v_mov_b32_e32 v156, 0x7fff
	v_mov_b32_e32 v152, 0x7fff
	s_mov_b32 s15, exec_lo
	v_cmpx_gt_u32_e64 s53, v106
	s_cbranch_execz .LBB1862_114
; %bb.113:                              ;   in Loop: Header=BB1862_101 Depth=2
	global_load_u16 v152, v[60:61], off offset:256
.LBB1862_114:                           ;   in Loop: Header=BB1862_101 Depth=2
	;; [unrolled: 20-line block ×3, first 2 shown]
	s_wait_xcnt 0x0
	s_or_b32 exec_lo, exec_lo, s15
	s_delay_alu instid0(SALU_CYCLE_1)
	s_mov_b32 s15, exec_lo
	v_cmpx_gt_u32_e64 s53, v109
	s_cbranch_execz .LBB1862_120
; %bb.119:                              ;   in Loop: Header=BB1862_101 Depth=2
	global_load_u16 v164, v[60:61], off offset:448
.LBB1862_120:                           ;   in Loop: Header=BB1862_101 Depth=2
	s_wait_xcnt 0x0
	s_or_b32 exec_lo, exec_lo, s15
	s_wait_loadcnt 0x5
	v_dual_mov_b32 v67, 0x7fff :: v_dual_mov_b32 v168, 0x7fff
	s_mov_b32 s15, exec_lo
	v_cmpx_gt_u32_e64 s53, v110
	s_cbranch_execz .LBB1862_122
; %bb.121:                              ;   in Loop: Header=BB1862_101 Depth=2
	global_load_u16 v168, v[60:61], off offset:512
.LBB1862_122:                           ;   in Loop: Header=BB1862_101 Depth=2
	s_wait_xcnt 0x0
	s_or_b32 exec_lo, exec_lo, s15
	s_delay_alu instid0(SALU_CYCLE_1)
	s_mov_b32 s15, exec_lo
	v_cmpx_gt_u32_e64 s53, v111
	s_cbranch_execz .LBB1862_124
; %bb.123:                              ;   in Loop: Header=BB1862_101 Depth=2
	global_load_u16 v67, v[60:61], off offset:576
.LBB1862_124:                           ;   in Loop: Header=BB1862_101 Depth=2
	s_wait_xcnt 0x0
	s_or_b32 exec_lo, exec_lo, s15
	s_wait_loadcnt 0x3
	v_dual_mov_b32 v65, 0x7fff :: v_dual_mov_b32 v66, 0x7fff
	s_mov_b32 s15, exec_lo
	v_cmpx_gt_u32_e64 s53, v112
	s_cbranch_execz .LBB1862_126
; %bb.125:                              ;   in Loop: Header=BB1862_101 Depth=2
	global_load_u16 v66, v[60:61], off offset:640
.LBB1862_126:                           ;   in Loop: Header=BB1862_101 Depth=2
	;; [unrolled: 19-line block ×3, first 2 shown]
	s_wait_xcnt 0x0
	s_or_b32 exec_lo, exec_lo, s15
	s_delay_alu instid0(SALU_CYCLE_1)
	s_mov_b32 s15, exec_lo
	v_cmpx_gt_u32_e64 s53, v115
	s_cbranch_execz .LBB1862_132
; %bb.131:                              ;   in Loop: Header=BB1862_101 Depth=2
	global_load_u16 v63, v[60:61], off offset:832
.LBB1862_132:                           ;   in Loop: Header=BB1862_101 Depth=2
	s_wait_xcnt 0x0
	s_or_b32 exec_lo, exec_lo, s15
	s_wait_loadcnt 0x0
	v_mov_b32_e32 v62, 0x7fff
	s_mov_b32 s15, exec_lo
	v_cmpx_gt_u32_e64 s53, v116
	s_cbranch_execz .LBB1862_134
; %bb.133:                              ;   in Loop: Header=BB1862_101 Depth=2
	global_load_u16 v62, v[60:61], off offset:896
.LBB1862_134:                           ;   in Loop: Header=BB1862_101 Depth=2
	s_wait_xcnt 0x0
	s_or_b32 exec_lo, exec_lo, s15
	v_cmp_gt_u32_e64 s15, s53, v117
	s_sub_co_i32 s16, s51, s42
.LBB1862_135:                           ;   in Loop: Header=BB1862_101 Depth=2
	s_wait_xcnt 0x0
	v_dual_mov_b32 v60, 0x7fff :: v_dual_mov_b32 v139, s53
	s_and_saveexec_b32 s17, s15
	s_cbranch_execz .LBB1862_137
; %bb.136:                              ;   in Loop: Header=BB1862_101 Depth=2
	v_lshl_add_u64 v[60:61], s[42:43], 1, v[26:27]
	v_mov_b32_e32 v139, s16
	global_load_u16 v60, v[60:61], off offset:960
.LBB1862_137:                           ;   in Loop: Header=BB1862_101 Depth=2
	s_wait_xcnt 0x0
	s_or_b32 exec_lo, exec_lo, s17
	s_wait_loadcnt 0xe
	v_cmp_lt_i16_e64 vcc_lo, -1, v140
	ds_store_2addr_b32 v121, v5, v5 offset1:1
	ds_store_2addr_b32 v118, v5, v5 offset1:1
	;; [unrolled: 1-line block ×4, first 2 shown]
	ds_store_b32 v91, v5 offset:1088
	s_wait_loadcnt_dscnt 0x0
	s_barrier_signal -1
	v_cndmask_b32_e64 v61, -1, 0xffff8000, vcc_lo
	s_barrier_wait -1
	; wave barrier
	s_delay_alu instid0(VALU_DEP_1) | instskip(NEXT) | instid1(VALU_DEP_1)
	v_xor_b32_e32 v140, v61, v140
	v_cmp_ne_u16_e64 vcc_lo, 0x7fff, v140
	v_cndmask_b32_e32 v61, 0xffff8000, v140, vcc_lo
	s_delay_alu instid0(VALU_DEP_1) | instskip(NEXT) | instid1(VALU_DEP_1)
	v_and_b32_e32 v61, 0xffff, v61
	v_lshrrev_b32_e32 v61, s48, v61
	s_delay_alu instid0(VALU_DEP_1) | instskip(SKIP_1) | instid1(VALU_DEP_2)
	v_bitop3_b32 v142, v61, 1, s52 bitop3:0x80
	v_and_b32_e32 v143, s52, v61
	v_add_co_u32 v61, s15, v142, -1
	s_delay_alu instid0(VALU_DEP_1) | instskip(NEXT) | instid1(VALU_DEP_3)
	v_cndmask_b32_e64 v142, 0, 1, s15
	v_lshlrev_b32_e32 v145, 30, v143
	s_delay_alu instid0(VALU_DEP_2) | instskip(NEXT) | instid1(VALU_DEP_2)
	v_cmp_ne_u32_e32 vcc_lo, 0, v142
	v_not_b32_e32 v142, v145
	s_delay_alu instid0(VALU_DEP_1) | instskip(SKIP_3) | instid1(VALU_DEP_4)
	v_dual_ashrrev_i32 v142, 31, v142 :: v_dual_lshlrev_b32 v146, 29, v143
	v_dual_lshlrev_b32 v147, 28, v143 :: v_dual_lshlrev_b32 v149, 27, v143
	v_lshlrev_b32_e32 v150, 26, v143
	v_cmp_gt_i32_e64 s15, 0, v145
	v_cmp_gt_i32_e64 s16, 0, v146
	v_not_b32_e32 v145, v146
	v_not_b32_e32 v146, v147
	v_dual_lshlrev_b32 v151, 25, v143 :: v_dual_lshlrev_b32 v153, 24, v143
	v_cmp_gt_i32_e64 s17, 0, v147
	v_cmp_gt_i32_e64 s18, 0, v149
	v_not_b32_e32 v147, v149
	v_not_b32_e32 v149, v150
	v_dual_ashrrev_i32 v146, 31, v146 :: v_dual_bitop2_b32 v61, vcc_lo, v61 bitop3:0x14
	v_dual_ashrrev_i32 v145, 31, v145 :: v_dual_bitop2_b32 v142, s15, v142 bitop3:0x14
	v_cmp_gt_i32_e64 s19, 0, v150
	v_cmp_gt_i32_e64 s20, 0, v151
	v_not_b32_e32 v150, v151
	v_not_b32_e32 v151, v153
	v_dual_ashrrev_i32 v147, 31, v147 :: v_dual_ashrrev_i32 v149, 31, v149
	v_xor_b32_e32 v145, s16, v145
	v_xor_b32_e32 v146, s17, v146
	v_bitop3_b32 v61, v61, v142, exec_lo bitop3:0x80
	v_cmp_gt_i32_e64 s21, 0, v153
	v_dual_ashrrev_i32 v142, 31, v150 :: v_dual_ashrrev_i32 v150, 31, v151
	v_xor_b32_e32 v147, s18, v147
	s_delay_alu instid0(VALU_DEP_4) | instskip(SKIP_3) | instid1(VALU_DEP_3)
	v_bitop3_b32 v61, v61, v146, v145 bitop3:0x80
	v_mul_u32_u24_e32 v143, 36, v143
	v_xor_b32_e32 v149, s19, v149
	v_xor_b32_e32 v142, s20, v142
	v_dual_add_nc_u32 v143, v23, v143 :: v_dual_bitop2_b32 v145, s21, v150 bitop3:0x14
	s_delay_alu instid0(VALU_DEP_3) | instskip(NEXT) | instid1(VALU_DEP_1)
	v_bitop3_b32 v61, v61, v149, v147 bitop3:0x80
	v_bitop3_b32 v61, v61, v145, v142 bitop3:0x80
	s_delay_alu instid0(VALU_DEP_1) | instskip(SKIP_1) | instid1(VALU_DEP_2)
	v_mbcnt_lo_u32_b32 v142, v61, 0
	v_cmp_ne_u32_e64 s15, 0, v61
	v_cmp_eq_u32_e32 vcc_lo, 0, v142
	s_and_b32 s16, s15, vcc_lo
	s_delay_alu instid0(SALU_CYCLE_1)
	s_and_saveexec_b32 s15, s16
; %bb.138:                              ;   in Loop: Header=BB1862_101 Depth=2
	v_bcnt_u32_b32 v61, v61, 0
	ds_store_b32 v143, v61 offset:1056
; %bb.139:                              ;   in Loop: Header=BB1862_101 Depth=2
	s_or_b32 exec_lo, exec_lo, s15
	v_cmp_lt_i16_e64 vcc_lo, -1, v141
	; wave barrier
	s_delay_alu instid0(VALU_DEP_1) | instskip(NEXT) | instid1(VALU_DEP_1)
	v_cndmask_b32_e64 v61, -1, 0xffff8000, vcc_lo
	v_xor_b32_e32 v141, v61, v141
	s_delay_alu instid0(VALU_DEP_1) | instskip(SKIP_1) | instid1(VALU_DEP_1)
	v_cmp_ne_u16_e64 vcc_lo, 0x7fff, v141
	v_cndmask_b32_e32 v61, 0xffff8000, v141, vcc_lo
	v_and_b32_e32 v61, 0xffff, v61
	s_delay_alu instid0(VALU_DEP_1) | instskip(NEXT) | instid1(VALU_DEP_1)
	v_lshrrev_b32_e32 v61, s48, v61
	v_and_b32_e32 v147, s52, v61
	s_delay_alu instid0(VALU_DEP_1) | instskip(SKIP_2) | instid1(VALU_DEP_3)
	v_lshlrev_b32_e32 v149, 29, v147
	v_bitop3_b32 v145, v61, 1, s52 bitop3:0x80
	v_lshlrev_b32_e32 v146, 30, v147
	v_cmp_gt_i32_e64 s16, 0, v149
	s_delay_alu instid0(VALU_DEP_3) | instskip(NEXT) | instid1(VALU_DEP_1)
	v_add_co_u32 v61, s15, v145, -1
	v_cndmask_b32_e64 v145, 0, 1, s15
	s_delay_alu instid0(VALU_DEP_4) | instskip(NEXT) | instid1(VALU_DEP_2)
	v_cmp_gt_i32_e64 s15, 0, v146
	v_cmp_ne_u32_e32 vcc_lo, 0, v145
	v_not_b32_e32 v145, v146
	v_not_b32_e32 v146, v149
	s_delay_alu instid0(VALU_DEP_1) | instskip(SKIP_2) | instid1(VALU_DEP_3)
	v_dual_ashrrev_i32 v146, 31, v146 :: v_dual_lshlrev_b32 v150, 28, v147
	v_dual_lshlrev_b32 v151, 27, v147 :: v_dual_lshlrev_b32 v153, 26, v147
	v_dual_lshlrev_b32 v154, 25, v147 :: v_dual_lshlrev_b32 v155, 24, v147
	v_cmp_gt_i32_e64 s17, 0, v150
	v_not_b32_e32 v149, v150
	s_delay_alu instid0(VALU_DEP_4)
	v_not_b32_e32 v150, v151
	v_ashrrev_i32_e32 v145, 31, v145
	v_cmp_gt_i32_e64 s18, 0, v151
	v_cmp_gt_i32_e64 s19, 0, v153
	v_not_b32_e32 v151, v153
	v_cmp_gt_i32_e64 s20, 0, v154
	v_not_b32_e32 v153, v154
	v_not_b32_e32 v154, v155
	s_delay_alu instid0(VALU_DEP_4) | instskip(SKIP_3) | instid1(VALU_DEP_3)
	v_dual_ashrrev_i32 v151, 31, v151 :: v_dual_bitop2_b32 v61, vcc_lo, v61 bitop3:0x14
	v_dual_ashrrev_i32 v149, 31, v149 :: v_dual_bitop2_b32 v146, s16, v146 bitop3:0x14
	v_dual_ashrrev_i32 v150, 31, v150 :: v_dual_bitop2_b32 v145, s15, v145 bitop3:0x14
	v_cmp_gt_i32_e64 s21, 0, v155
	v_xor_b32_e32 v149, s17, v149
	v_xor_b32_e32 v151, s19, v151
	s_delay_alu instid0(VALU_DEP_4) | instskip(SKIP_2) | instid1(VALU_DEP_2)
	v_xor_b32_e32 v150, s18, v150
	v_bitop3_b32 v61, v61, v145, exec_lo bitop3:0x80
	v_dual_ashrrev_i32 v145, 31, v153 :: v_dual_ashrrev_i32 v153, 31, v154
	v_bitop3_b32 v61, v61, v149, v146 bitop3:0x80
	v_mad_u32_u24 v146, v147, 36, v23
	s_delay_alu instid0(VALU_DEP_3) | instskip(NEXT) | instid1(VALU_DEP_4)
	v_xor_b32_e32 v149, s20, v145
	v_xor_b32_e32 v153, s21, v153
	v_mul_u32_u24_e32 v147, 36, v147
	v_bitop3_b32 v61, v61, v151, v150 bitop3:0x80
	ds_load_b32 v145, v146 offset:1056
	; wave barrier
	v_add_nc_u32_e32 v147, v23, v147
	v_bitop3_b32 v61, v61, v153, v149 bitop3:0x80
	s_delay_alu instid0(VALU_DEP_1) | instskip(SKIP_1) | instid1(VALU_DEP_2)
	v_mbcnt_lo_u32_b32 v146, v61, 0
	v_cmp_ne_u32_e64 s15, 0, v61
	v_cmp_eq_u32_e32 vcc_lo, 0, v146
	s_and_b32 s16, s15, vcc_lo
	s_delay_alu instid0(SALU_CYCLE_1)
	s_and_saveexec_b32 s15, s16
	s_cbranch_execz .LBB1862_141
; %bb.140:                              ;   in Loop: Header=BB1862_101 Depth=2
	s_wait_dscnt 0x0
	v_bcnt_u32_b32 v61, v61, v145
	ds_store_b32 v147, v61 offset:1056
.LBB1862_141:                           ;   in Loop: Header=BB1862_101 Depth=2
	s_or_b32 exec_lo, exec_lo, s15
	v_cmp_lt_i16_e64 vcc_lo, -1, v144
	; wave barrier
	s_delay_alu instid0(VALU_DEP_1) | instskip(NEXT) | instid1(VALU_DEP_1)
	v_cndmask_b32_e64 v61, -1, 0xffff8000, vcc_lo
	v_xor_b32_e32 v144, v61, v144
	s_delay_alu instid0(VALU_DEP_1) | instskip(SKIP_1) | instid1(VALU_DEP_1)
	v_cmp_ne_u16_e64 vcc_lo, 0x7fff, v144
	v_cndmask_b32_e32 v61, 0xffff8000, v144, vcc_lo
	v_and_b32_e32 v61, 0xffff, v61
	s_delay_alu instid0(VALU_DEP_1) | instskip(NEXT) | instid1(VALU_DEP_1)
	v_lshrrev_b32_e32 v61, s48, v61
	v_bitop3_b32 v149, v61, 1, s52 bitop3:0x80
	v_and_b32_e32 v151, s52, v61
	s_delay_alu instid0(VALU_DEP_2) | instskip(NEXT) | instid1(VALU_DEP_1)
	v_add_co_u32 v61, s15, v149, -1
	v_cndmask_b32_e64 v149, 0, 1, s15
	s_delay_alu instid0(VALU_DEP_3) | instskip(NEXT) | instid1(VALU_DEP_2)
	v_dual_lshlrev_b32 v150, 30, v151 :: v_dual_lshlrev_b32 v153, 29, v151
	v_cmp_ne_u32_e32 vcc_lo, 0, v149
	s_delay_alu instid0(VALU_DEP_2) | instskip(SKIP_1) | instid1(VALU_DEP_4)
	v_cmp_gt_i32_e64 s15, 0, v150
	v_not_b32_e32 v149, v150
	v_not_b32_e32 v150, v153
	s_delay_alu instid0(VALU_DEP_1) | instskip(SKIP_3) | instid1(VALU_DEP_4)
	v_dual_ashrrev_i32 v150, 31, v150 :: v_dual_lshlrev_b32 v154, 28, v151
	v_dual_lshlrev_b32 v155, 27, v151 :: v_dual_lshlrev_b32 v157, 26, v151
	v_dual_lshlrev_b32 v158, 25, v151 :: v_dual_lshlrev_b32 v159, 24, v151
	v_cmp_gt_i32_e64 s16, 0, v153
	v_cmp_gt_i32_e64 s17, 0, v154
	v_not_b32_e32 v153, v154
	v_not_b32_e32 v154, v155
	v_ashrrev_i32_e32 v149, 31, v149
	v_cmp_gt_i32_e64 s18, 0, v155
	v_cmp_gt_i32_e64 s19, 0, v157
	v_not_b32_e32 v155, v157
	v_cmp_gt_i32_e64 s20, 0, v158
	v_not_b32_e32 v157, v158
	v_not_b32_e32 v158, v159
	s_delay_alu instid0(VALU_DEP_4) | instskip(SKIP_3) | instid1(VALU_DEP_3)
	v_dual_ashrrev_i32 v155, 31, v155 :: v_dual_bitop2_b32 v61, vcc_lo, v61 bitop3:0x14
	v_dual_ashrrev_i32 v153, 31, v153 :: v_dual_bitop2_b32 v150, s16, v150 bitop3:0x14
	v_dual_ashrrev_i32 v154, 31, v154 :: v_dual_bitop2_b32 v149, s15, v149 bitop3:0x14
	v_cmp_gt_i32_e64 s21, 0, v159
	v_xor_b32_e32 v153, s17, v153
	v_xor_b32_e32 v155, s19, v155
	s_delay_alu instid0(VALU_DEP_4) | instskip(SKIP_2) | instid1(VALU_DEP_2)
	v_xor_b32_e32 v154, s18, v154
	v_bitop3_b32 v61, v61, v149, exec_lo bitop3:0x80
	v_dual_ashrrev_i32 v149, 31, v157 :: v_dual_ashrrev_i32 v157, 31, v158
	v_bitop3_b32 v61, v61, v153, v150 bitop3:0x80
	v_mad_u32_u24 v150, v151, 36, v23
	s_delay_alu instid0(VALU_DEP_3) | instskip(NEXT) | instid1(VALU_DEP_4)
	v_xor_b32_e32 v153, s20, v149
	v_xor_b32_e32 v157, s21, v157
	v_mul_u32_u24_e32 v151, 36, v151
	v_bitop3_b32 v61, v61, v155, v154 bitop3:0x80
	ds_load_b32 v149, v150 offset:1056
	; wave barrier
	v_add_nc_u32_e32 v151, v23, v151
	v_bitop3_b32 v61, v61, v157, v153 bitop3:0x80
	s_delay_alu instid0(VALU_DEP_1) | instskip(SKIP_1) | instid1(VALU_DEP_2)
	v_mbcnt_lo_u32_b32 v150, v61, 0
	v_cmp_ne_u32_e64 s15, 0, v61
	v_cmp_eq_u32_e32 vcc_lo, 0, v150
	s_and_b32 s16, s15, vcc_lo
	s_delay_alu instid0(SALU_CYCLE_1)
	s_and_saveexec_b32 s15, s16
	s_cbranch_execz .LBB1862_143
; %bb.142:                              ;   in Loop: Header=BB1862_101 Depth=2
	s_wait_dscnt 0x0
	v_bcnt_u32_b32 v61, v61, v149
	ds_store_b32 v151, v61 offset:1056
.LBB1862_143:                           ;   in Loop: Header=BB1862_101 Depth=2
	s_or_b32 exec_lo, exec_lo, s15
	v_cmp_lt_i16_e64 vcc_lo, -1, v148
	; wave barrier
	s_delay_alu instid0(VALU_DEP_1) | instskip(NEXT) | instid1(VALU_DEP_1)
	v_cndmask_b32_e64 v61, -1, 0xffff8000, vcc_lo
	v_xor_b32_e32 v148, v61, v148
	s_delay_alu instid0(VALU_DEP_1) | instskip(SKIP_1) | instid1(VALU_DEP_1)
	v_cmp_ne_u16_e64 vcc_lo, 0x7fff, v148
	v_cndmask_b32_e32 v61, 0xffff8000, v148, vcc_lo
	v_and_b32_e32 v61, 0xffff, v61
	s_delay_alu instid0(VALU_DEP_1) | instskip(NEXT) | instid1(VALU_DEP_1)
	v_lshrrev_b32_e32 v61, s48, v61
	v_bitop3_b32 v153, v61, 1, s52 bitop3:0x80
	v_and_b32_e32 v155, s52, v61
	s_delay_alu instid0(VALU_DEP_2) | instskip(NEXT) | instid1(VALU_DEP_1)
	v_add_co_u32 v61, s15, v153, -1
	v_cndmask_b32_e64 v153, 0, 1, s15
	s_delay_alu instid0(VALU_DEP_3) | instskip(NEXT) | instid1(VALU_DEP_2)
	v_dual_lshlrev_b32 v154, 30, v155 :: v_dual_lshlrev_b32 v157, 29, v155
	v_cmp_ne_u32_e32 vcc_lo, 0, v153
	s_delay_alu instid0(VALU_DEP_2) | instskip(SKIP_1) | instid1(VALU_DEP_4)
	v_cmp_gt_i32_e64 s15, 0, v154
	v_not_b32_e32 v153, v154
	v_not_b32_e32 v154, v157
	s_delay_alu instid0(VALU_DEP_1) | instskip(SKIP_3) | instid1(VALU_DEP_4)
	v_dual_ashrrev_i32 v154, 31, v154 :: v_dual_lshlrev_b32 v158, 28, v155
	v_dual_lshlrev_b32 v159, 27, v155 :: v_dual_lshlrev_b32 v161, 26, v155
	v_dual_lshlrev_b32 v162, 25, v155 :: v_dual_lshlrev_b32 v163, 24, v155
	v_cmp_gt_i32_e64 s16, 0, v157
	v_cmp_gt_i32_e64 s17, 0, v158
	v_not_b32_e32 v157, v158
	v_not_b32_e32 v158, v159
	v_ashrrev_i32_e32 v153, 31, v153
	v_cmp_gt_i32_e64 s18, 0, v159
	v_cmp_gt_i32_e64 s19, 0, v161
	v_not_b32_e32 v159, v161
	v_cmp_gt_i32_e64 s20, 0, v162
	v_not_b32_e32 v161, v162
	v_not_b32_e32 v162, v163
	s_delay_alu instid0(VALU_DEP_4) | instskip(SKIP_3) | instid1(VALU_DEP_3)
	v_dual_ashrrev_i32 v159, 31, v159 :: v_dual_bitop2_b32 v61, vcc_lo, v61 bitop3:0x14
	v_dual_ashrrev_i32 v157, 31, v157 :: v_dual_bitop2_b32 v154, s16, v154 bitop3:0x14
	v_dual_ashrrev_i32 v158, 31, v158 :: v_dual_bitop2_b32 v153, s15, v153 bitop3:0x14
	v_cmp_gt_i32_e64 s21, 0, v163
	v_xor_b32_e32 v157, s17, v157
	v_xor_b32_e32 v159, s19, v159
	s_delay_alu instid0(VALU_DEP_4) | instskip(SKIP_2) | instid1(VALU_DEP_2)
	v_xor_b32_e32 v158, s18, v158
	v_bitop3_b32 v61, v61, v153, exec_lo bitop3:0x80
	v_dual_ashrrev_i32 v153, 31, v161 :: v_dual_ashrrev_i32 v161, 31, v162
	v_bitop3_b32 v61, v61, v157, v154 bitop3:0x80
	v_mad_u32_u24 v154, v155, 36, v23
	s_delay_alu instid0(VALU_DEP_3) | instskip(NEXT) | instid1(VALU_DEP_4)
	v_xor_b32_e32 v157, s20, v153
	v_xor_b32_e32 v161, s21, v161
	v_mul_u32_u24_e32 v155, 36, v155
	v_bitop3_b32 v61, v61, v159, v158 bitop3:0x80
	ds_load_b32 v153, v154 offset:1056
	; wave barrier
	v_add_nc_u32_e32 v155, v23, v155
	v_bitop3_b32 v61, v61, v161, v157 bitop3:0x80
	s_delay_alu instid0(VALU_DEP_1) | instskip(SKIP_1) | instid1(VALU_DEP_2)
	v_mbcnt_lo_u32_b32 v154, v61, 0
	v_cmp_ne_u32_e64 s15, 0, v61
	v_cmp_eq_u32_e32 vcc_lo, 0, v154
	s_and_b32 s16, s15, vcc_lo
	s_delay_alu instid0(SALU_CYCLE_1)
	s_and_saveexec_b32 s15, s16
	s_cbranch_execz .LBB1862_145
; %bb.144:                              ;   in Loop: Header=BB1862_101 Depth=2
	s_wait_dscnt 0x0
	v_bcnt_u32_b32 v61, v61, v153
	ds_store_b32 v155, v61 offset:1056
.LBB1862_145:                           ;   in Loop: Header=BB1862_101 Depth=2
	s_or_b32 exec_lo, exec_lo, s15
	v_cmp_lt_i16_e64 vcc_lo, -1, v152
	; wave barrier
	s_delay_alu instid0(VALU_DEP_1) | instskip(NEXT) | instid1(VALU_DEP_1)
	v_cndmask_b32_e64 v61, -1, 0xffff8000, vcc_lo
	v_xor_b32_e32 v152, v61, v152
	s_delay_alu instid0(VALU_DEP_1) | instskip(SKIP_1) | instid1(VALU_DEP_1)
	v_cmp_ne_u16_e64 vcc_lo, 0x7fff, v152
	v_cndmask_b32_e32 v61, 0xffff8000, v152, vcc_lo
	v_and_b32_e32 v61, 0xffff, v61
	s_delay_alu instid0(VALU_DEP_1) | instskip(NEXT) | instid1(VALU_DEP_1)
	v_lshrrev_b32_e32 v61, s48, v61
	v_bitop3_b32 v157, v61, 1, s52 bitop3:0x80
	v_and_b32_e32 v159, s52, v61
	s_delay_alu instid0(VALU_DEP_2) | instskip(NEXT) | instid1(VALU_DEP_1)
	v_add_co_u32 v61, s15, v157, -1
	v_cndmask_b32_e64 v157, 0, 1, s15
	s_delay_alu instid0(VALU_DEP_3) | instskip(NEXT) | instid1(VALU_DEP_2)
	v_dual_lshlrev_b32 v158, 30, v159 :: v_dual_lshlrev_b32 v161, 29, v159
	v_cmp_ne_u32_e32 vcc_lo, 0, v157
	s_delay_alu instid0(VALU_DEP_2) | instskip(SKIP_1) | instid1(VALU_DEP_4)
	v_cmp_gt_i32_e64 s15, 0, v158
	v_not_b32_e32 v157, v158
	v_not_b32_e32 v158, v161
	s_delay_alu instid0(VALU_DEP_1) | instskip(SKIP_3) | instid1(VALU_DEP_4)
	v_dual_ashrrev_i32 v158, 31, v158 :: v_dual_lshlrev_b32 v162, 28, v159
	v_dual_lshlrev_b32 v163, 27, v159 :: v_dual_lshlrev_b32 v165, 26, v159
	v_dual_lshlrev_b32 v166, 25, v159 :: v_dual_lshlrev_b32 v167, 24, v159
	v_cmp_gt_i32_e64 s16, 0, v161
	v_cmp_gt_i32_e64 s17, 0, v162
	v_not_b32_e32 v161, v162
	v_not_b32_e32 v162, v163
	v_ashrrev_i32_e32 v157, 31, v157
	v_cmp_gt_i32_e64 s18, 0, v163
	v_cmp_gt_i32_e64 s19, 0, v165
	v_not_b32_e32 v163, v165
	v_cmp_gt_i32_e64 s20, 0, v166
	v_not_b32_e32 v165, v166
	v_not_b32_e32 v166, v167
	s_delay_alu instid0(VALU_DEP_4) | instskip(SKIP_3) | instid1(VALU_DEP_3)
	v_dual_ashrrev_i32 v163, 31, v163 :: v_dual_bitop2_b32 v61, vcc_lo, v61 bitop3:0x14
	v_dual_ashrrev_i32 v161, 31, v161 :: v_dual_bitop2_b32 v158, s16, v158 bitop3:0x14
	v_dual_ashrrev_i32 v162, 31, v162 :: v_dual_bitop2_b32 v157, s15, v157 bitop3:0x14
	v_cmp_gt_i32_e64 s21, 0, v167
	v_xor_b32_e32 v161, s17, v161
	v_xor_b32_e32 v163, s19, v163
	s_delay_alu instid0(VALU_DEP_4) | instskip(SKIP_2) | instid1(VALU_DEP_2)
	v_xor_b32_e32 v162, s18, v162
	v_bitop3_b32 v61, v61, v157, exec_lo bitop3:0x80
	v_dual_ashrrev_i32 v157, 31, v165 :: v_dual_ashrrev_i32 v165, 31, v166
	v_bitop3_b32 v61, v61, v161, v158 bitop3:0x80
	v_mad_u32_u24 v158, v159, 36, v23
	s_delay_alu instid0(VALU_DEP_3) | instskip(NEXT) | instid1(VALU_DEP_4)
	v_xor_b32_e32 v161, s20, v157
	v_xor_b32_e32 v165, s21, v165
	v_mul_u32_u24_e32 v159, 36, v159
	v_bitop3_b32 v61, v61, v163, v162 bitop3:0x80
	ds_load_b32 v157, v158 offset:1056
	; wave barrier
	v_add_nc_u32_e32 v159, v23, v159
	v_bitop3_b32 v61, v61, v165, v161 bitop3:0x80
	s_delay_alu instid0(VALU_DEP_1) | instskip(SKIP_1) | instid1(VALU_DEP_2)
	v_mbcnt_lo_u32_b32 v158, v61, 0
	v_cmp_ne_u32_e64 s15, 0, v61
	v_cmp_eq_u32_e32 vcc_lo, 0, v158
	s_and_b32 s16, s15, vcc_lo
	s_delay_alu instid0(SALU_CYCLE_1)
	s_and_saveexec_b32 s15, s16
	s_cbranch_execz .LBB1862_147
; %bb.146:                              ;   in Loop: Header=BB1862_101 Depth=2
	s_wait_dscnt 0x0
	v_bcnt_u32_b32 v61, v61, v157
	ds_store_b32 v159, v61 offset:1056
.LBB1862_147:                           ;   in Loop: Header=BB1862_101 Depth=2
	s_or_b32 exec_lo, exec_lo, s15
	v_cmp_lt_i16_e64 vcc_lo, -1, v156
	; wave barrier
	s_delay_alu instid0(VALU_DEP_1) | instskip(NEXT) | instid1(VALU_DEP_1)
	v_cndmask_b32_e64 v61, -1, 0xffff8000, vcc_lo
	v_xor_b32_e32 v156, v61, v156
	s_delay_alu instid0(VALU_DEP_1) | instskip(SKIP_1) | instid1(VALU_DEP_1)
	v_cmp_ne_u16_e64 vcc_lo, 0x7fff, v156
	v_cndmask_b32_e32 v61, 0xffff8000, v156, vcc_lo
	v_and_b32_e32 v61, 0xffff, v61
	s_delay_alu instid0(VALU_DEP_1) | instskip(NEXT) | instid1(VALU_DEP_1)
	v_lshrrev_b32_e32 v61, s48, v61
	v_bitop3_b32 v161, v61, 1, s52 bitop3:0x80
	v_and_b32_e32 v163, s52, v61
	s_delay_alu instid0(VALU_DEP_2) | instskip(NEXT) | instid1(VALU_DEP_1)
	v_add_co_u32 v61, s15, v161, -1
	v_cndmask_b32_e64 v161, 0, 1, s15
	s_delay_alu instid0(VALU_DEP_3) | instskip(NEXT) | instid1(VALU_DEP_2)
	v_dual_lshlrev_b32 v162, 30, v163 :: v_dual_lshlrev_b32 v165, 29, v163
	v_cmp_ne_u32_e32 vcc_lo, 0, v161
	s_delay_alu instid0(VALU_DEP_2) | instskip(SKIP_1) | instid1(VALU_DEP_4)
	v_cmp_gt_i32_e64 s15, 0, v162
	v_not_b32_e32 v161, v162
	v_not_b32_e32 v162, v165
	s_delay_alu instid0(VALU_DEP_1) | instskip(SKIP_3) | instid1(VALU_DEP_4)
	v_dual_ashrrev_i32 v162, 31, v162 :: v_dual_lshlrev_b32 v166, 28, v163
	v_dual_lshlrev_b32 v167, 27, v163 :: v_dual_lshlrev_b32 v169, 26, v163
	v_dual_lshlrev_b32 v170, 25, v163 :: v_dual_lshlrev_b32 v171, 24, v163
	v_cmp_gt_i32_e64 s16, 0, v165
	v_cmp_gt_i32_e64 s17, 0, v166
	v_not_b32_e32 v165, v166
	v_not_b32_e32 v166, v167
	v_ashrrev_i32_e32 v161, 31, v161
	v_cmp_gt_i32_e64 s18, 0, v167
	v_cmp_gt_i32_e64 s19, 0, v169
	v_not_b32_e32 v167, v169
	v_cmp_gt_i32_e64 s20, 0, v170
	v_not_b32_e32 v169, v170
	v_not_b32_e32 v170, v171
	s_delay_alu instid0(VALU_DEP_4) | instskip(SKIP_3) | instid1(VALU_DEP_3)
	v_dual_ashrrev_i32 v167, 31, v167 :: v_dual_bitop2_b32 v61, vcc_lo, v61 bitop3:0x14
	v_dual_ashrrev_i32 v165, 31, v165 :: v_dual_bitop2_b32 v162, s16, v162 bitop3:0x14
	v_dual_ashrrev_i32 v166, 31, v166 :: v_dual_bitop2_b32 v161, s15, v161 bitop3:0x14
	v_cmp_gt_i32_e64 s21, 0, v171
	v_xor_b32_e32 v165, s17, v165
	v_xor_b32_e32 v167, s19, v167
	s_delay_alu instid0(VALU_DEP_4) | instskip(SKIP_2) | instid1(VALU_DEP_2)
	v_xor_b32_e32 v166, s18, v166
	v_bitop3_b32 v61, v61, v161, exec_lo bitop3:0x80
	v_dual_ashrrev_i32 v161, 31, v169 :: v_dual_ashrrev_i32 v169, 31, v170
	v_bitop3_b32 v61, v61, v165, v162 bitop3:0x80
	v_mad_u32_u24 v162, v163, 36, v23
	s_delay_alu instid0(VALU_DEP_3) | instskip(NEXT) | instid1(VALU_DEP_4)
	v_xor_b32_e32 v165, s20, v161
	v_xor_b32_e32 v169, s21, v169
	v_mul_u32_u24_e32 v163, 36, v163
	v_bitop3_b32 v61, v61, v167, v166 bitop3:0x80
	ds_load_b32 v161, v162 offset:1056
	; wave barrier
	v_add_nc_u32_e32 v163, v23, v163
	v_bitop3_b32 v61, v61, v169, v165 bitop3:0x80
	s_delay_alu instid0(VALU_DEP_1) | instskip(SKIP_1) | instid1(VALU_DEP_2)
	v_mbcnt_lo_u32_b32 v162, v61, 0
	v_cmp_ne_u32_e64 s15, 0, v61
	v_cmp_eq_u32_e32 vcc_lo, 0, v162
	s_and_b32 s16, s15, vcc_lo
	s_delay_alu instid0(SALU_CYCLE_1)
	s_and_saveexec_b32 s15, s16
	s_cbranch_execz .LBB1862_149
; %bb.148:                              ;   in Loop: Header=BB1862_101 Depth=2
	s_wait_dscnt 0x0
	v_bcnt_u32_b32 v61, v61, v161
	ds_store_b32 v163, v61 offset:1056
.LBB1862_149:                           ;   in Loop: Header=BB1862_101 Depth=2
	s_or_b32 exec_lo, exec_lo, s15
	v_cmp_lt_i16_e64 vcc_lo, -1, v160
	; wave barrier
	s_delay_alu instid0(VALU_DEP_1) | instskip(NEXT) | instid1(VALU_DEP_1)
	v_cndmask_b32_e64 v61, -1, 0xffff8000, vcc_lo
	v_xor_b32_e32 v160, v61, v160
	s_delay_alu instid0(VALU_DEP_1) | instskip(SKIP_1) | instid1(VALU_DEP_1)
	v_cmp_ne_u16_e64 vcc_lo, 0x7fff, v160
	v_cndmask_b32_e32 v61, 0xffff8000, v160, vcc_lo
	v_and_b32_e32 v61, 0xffff, v61
	s_delay_alu instid0(VALU_DEP_1) | instskip(NEXT) | instid1(VALU_DEP_1)
	v_lshrrev_b32_e32 v61, s48, v61
	v_bitop3_b32 v165, v61, 1, s52 bitop3:0x80
	v_and_b32_e32 v167, s52, v61
	s_delay_alu instid0(VALU_DEP_2) | instskip(NEXT) | instid1(VALU_DEP_1)
	v_add_co_u32 v61, s15, v165, -1
	v_cndmask_b32_e64 v165, 0, 1, s15
	s_delay_alu instid0(VALU_DEP_3) | instskip(NEXT) | instid1(VALU_DEP_2)
	v_dual_lshlrev_b32 v166, 30, v167 :: v_dual_lshlrev_b32 v169, 29, v167
	v_cmp_ne_u32_e32 vcc_lo, 0, v165
	s_delay_alu instid0(VALU_DEP_2) | instskip(SKIP_1) | instid1(VALU_DEP_4)
	v_cmp_gt_i32_e64 s15, 0, v166
	v_not_b32_e32 v165, v166
	v_not_b32_e32 v166, v169
	s_delay_alu instid0(VALU_DEP_1) | instskip(SKIP_3) | instid1(VALU_DEP_4)
	v_dual_ashrrev_i32 v166, 31, v166 :: v_dual_lshlrev_b32 v170, 28, v167
	v_dual_lshlrev_b32 v171, 27, v167 :: v_dual_lshlrev_b32 v172, 26, v167
	v_cmp_gt_i32_e64 s16, 0, v169
	v_dual_lshlrev_b32 v173, 25, v167 :: v_dual_lshlrev_b32 v174, 24, v167
	v_cmp_gt_i32_e64 s17, 0, v170
	v_not_b32_e32 v169, v170
	v_not_b32_e32 v170, v171
	v_ashrrev_i32_e32 v165, 31, v165
	v_cmp_gt_i32_e64 s18, 0, v171
	v_not_b32_e32 v171, v172
	v_xor_b32_e32 v61, vcc_lo, v61
	v_dual_ashrrev_i32 v169, 31, v169 :: v_dual_bitop2_b32 v166, s16, v166 bitop3:0x14
	v_dual_ashrrev_i32 v170, 31, v170 :: v_dual_bitop2_b32 v165, s15, v165 bitop3:0x14
	v_cmp_gt_i32_e64 s19, 0, v172
	v_cmp_gt_i32_e64 s20, 0, v173
	v_not_b32_e32 v172, v173
	v_not_b32_e32 v173, v174
	v_dual_ashrrev_i32 v171, 31, v171 :: v_dual_bitop2_b32 v169, s17, v169 bitop3:0x14
	v_bitop3_b32 v61, v61, v165, exec_lo bitop3:0x80
	v_cmp_gt_i32_e64 s21, 0, v174
	s_delay_alu instid0(VALU_DEP_4)
	v_dual_ashrrev_i32 v165, 31, v172 :: v_dual_ashrrev_i32 v172, 31, v173
	v_xor_b32_e32 v170, s18, v170
	v_xor_b32_e32 v171, s19, v171
	v_bitop3_b32 v61, v61, v169, v166 bitop3:0x80
	v_mad_u32_u24 v166, v167, 36, v23
	v_xor_b32_e32 v169, s20, v165
	v_xor_b32_e32 v172, s21, v172
	v_mul_u32_u24_e32 v167, 36, v167
	v_bitop3_b32 v61, v61, v171, v170 bitop3:0x80
	ds_load_b32 v165, v166 offset:1056
	; wave barrier
	v_add_nc_u32_e32 v167, v23, v167
	v_bitop3_b32 v61, v61, v172, v169 bitop3:0x80
	s_delay_alu instid0(VALU_DEP_1) | instskip(SKIP_1) | instid1(VALU_DEP_2)
	v_mbcnt_lo_u32_b32 v166, v61, 0
	v_cmp_ne_u32_e64 s15, 0, v61
	v_cmp_eq_u32_e32 vcc_lo, 0, v166
	s_and_b32 s16, s15, vcc_lo
	s_delay_alu instid0(SALU_CYCLE_1)
	s_and_saveexec_b32 s15, s16
	s_cbranch_execz .LBB1862_151
; %bb.150:                              ;   in Loop: Header=BB1862_101 Depth=2
	s_wait_dscnt 0x0
	v_bcnt_u32_b32 v61, v61, v165
	ds_store_b32 v167, v61 offset:1056
.LBB1862_151:                           ;   in Loop: Header=BB1862_101 Depth=2
	s_or_b32 exec_lo, exec_lo, s15
	v_cmp_lt_i16_e64 vcc_lo, -1, v164
	; wave barrier
	s_delay_alu instid0(VALU_DEP_1) | instskip(NEXT) | instid1(VALU_DEP_1)
	v_cndmask_b32_e64 v61, -1, 0xffff8000, vcc_lo
	v_xor_b32_e32 v164, v61, v164
	s_delay_alu instid0(VALU_DEP_1) | instskip(SKIP_1) | instid1(VALU_DEP_1)
	v_cmp_ne_u16_e64 vcc_lo, 0x7fff, v164
	v_cndmask_b32_e32 v61, 0xffff8000, v164, vcc_lo
	v_and_b32_e32 v61, 0xffff, v61
	s_delay_alu instid0(VALU_DEP_1) | instskip(NEXT) | instid1(VALU_DEP_1)
	v_lshrrev_b32_e32 v61, s48, v61
	v_bitop3_b32 v169, v61, 1, s52 bitop3:0x80
	v_and_b32_e32 v171, s52, v61
	s_delay_alu instid0(VALU_DEP_2) | instskip(NEXT) | instid1(VALU_DEP_1)
	v_add_co_u32 v61, s15, v169, -1
	v_cndmask_b32_e64 v169, 0, 1, s15
	s_delay_alu instid0(VALU_DEP_3) | instskip(NEXT) | instid1(VALU_DEP_2)
	v_dual_lshlrev_b32 v170, 30, v171 :: v_dual_lshlrev_b32 v172, 29, v171
	v_cmp_ne_u32_e32 vcc_lo, 0, v169
	s_delay_alu instid0(VALU_DEP_2) | instskip(SKIP_1) | instid1(VALU_DEP_4)
	v_cmp_gt_i32_e64 s15, 0, v170
	v_not_b32_e32 v169, v170
	v_not_b32_e32 v170, v172
	s_delay_alu instid0(VALU_DEP_1) | instskip(SKIP_3) | instid1(VALU_DEP_4)
	v_dual_ashrrev_i32 v170, 31, v170 :: v_dual_lshlrev_b32 v173, 28, v171
	v_dual_lshlrev_b32 v174, 27, v171 :: v_dual_lshlrev_b32 v175, 26, v171
	v_dual_lshlrev_b32 v176, 25, v171 :: v_dual_lshlrev_b32 v177, 24, v171
	v_cmp_gt_i32_e64 s16, 0, v172
	v_not_b32_e32 v172, v173
	v_ashrrev_i32_e32 v169, 31, v169
	v_cmp_gt_i32_e64 s17, 0, v173
	v_cmp_gt_i32_e64 s18, 0, v174
	v_not_b32_e32 v173, v174
	v_cmp_gt_i32_e64 s19, 0, v175
	v_not_b32_e32 v174, v175
	;; [unrolled: 2-line block ×3, first 2 shown]
	v_not_b32_e32 v176, v177
	s_delay_alu instid0(VALU_DEP_4) | instskip(SKIP_3) | instid1(VALU_DEP_3)
	v_dual_ashrrev_i32 v174, 31, v174 :: v_dual_bitop2_b32 v61, vcc_lo, v61 bitop3:0x14
	v_dual_ashrrev_i32 v172, 31, v172 :: v_dual_bitop2_b32 v169, s15, v169 bitop3:0x14
	v_dual_ashrrev_i32 v173, 31, v173 :: v_dual_bitop2_b32 v170, s16, v170 bitop3:0x14
	v_cmp_gt_i32_e64 s21, 0, v177
	v_xor_b32_e32 v172, s17, v172
	s_delay_alu instid0(VALU_DEP_4) | instskip(SKIP_2) | instid1(VALU_DEP_3)
	v_bitop3_b32 v61, v61, v169, exec_lo bitop3:0x80
	v_dual_ashrrev_i32 v169, 31, v175 :: v_dual_ashrrev_i32 v175, 31, v176
	v_xor_b32_e32 v174, s19, v174
	v_bitop3_b32 v61, v61, v172, v170 bitop3:0x80
	v_mad_u32_u24 v170, v171, 36, v23
	v_mul_u32_u24_e32 v171, 36, v171
	v_xor_b32_e32 v173, s18, v173
	v_xor_b32_e32 v172, s20, v169
	;; [unrolled: 1-line block ×3, first 2 shown]
	ds_load_b32 v169, v170 offset:1056
	v_add_nc_u32_e32 v171, v23, v171
	v_bitop3_b32 v61, v61, v174, v173 bitop3:0x80
	; wave barrier
	s_delay_alu instid0(VALU_DEP_1) | instskip(NEXT) | instid1(VALU_DEP_1)
	v_bitop3_b32 v61, v61, v175, v172 bitop3:0x80
	v_mbcnt_lo_u32_b32 v170, v61, 0
	v_cmp_ne_u32_e64 s15, 0, v61
	s_delay_alu instid0(VALU_DEP_2) | instskip(SKIP_1) | instid1(SALU_CYCLE_1)
	v_cmp_eq_u32_e32 vcc_lo, 0, v170
	s_and_b32 s16, s15, vcc_lo
	s_and_saveexec_b32 s15, s16
	s_cbranch_execz .LBB1862_153
; %bb.152:                              ;   in Loop: Header=BB1862_101 Depth=2
	s_wait_dscnt 0x0
	v_bcnt_u32_b32 v61, v61, v169
	ds_store_b32 v171, v61 offset:1056
.LBB1862_153:                           ;   in Loop: Header=BB1862_101 Depth=2
	s_or_b32 exec_lo, exec_lo, s15
	v_cmp_lt_i16_e64 vcc_lo, -1, v168
	; wave barrier
	s_delay_alu instid0(VALU_DEP_1) | instskip(NEXT) | instid1(VALU_DEP_1)
	v_cndmask_b32_e64 v61, -1, 0xffff8000, vcc_lo
	v_xor_b32_e32 v168, v61, v168
	s_delay_alu instid0(VALU_DEP_1) | instskip(SKIP_1) | instid1(VALU_DEP_1)
	v_cmp_ne_u16_e64 vcc_lo, 0x7fff, v168
	v_cndmask_b32_e32 v61, 0xffff8000, v168, vcc_lo
	v_and_b32_e32 v61, 0xffff, v61
	s_delay_alu instid0(VALU_DEP_1) | instskip(NEXT) | instid1(VALU_DEP_1)
	v_lshrrev_b32_e32 v61, s48, v61
	v_bitop3_b32 v172, v61, 1, s52 bitop3:0x80
	v_and_b32_e32 v175, s52, v61
	s_delay_alu instid0(VALU_DEP_2) | instskip(NEXT) | instid1(VALU_DEP_1)
	v_add_co_u32 v61, s15, v172, -1
	v_cndmask_b32_e64 v172, 0, 1, s15
	s_delay_alu instid0(VALU_DEP_3) | instskip(NEXT) | instid1(VALU_DEP_2)
	v_lshlrev_b32_e32 v173, 30, v175
	v_cmp_ne_u32_e32 vcc_lo, 0, v172
	s_delay_alu instid0(VALU_DEP_2) | instskip(NEXT) | instid1(VALU_DEP_1)
	v_not_b32_e32 v172, v173
	v_dual_ashrrev_i32 v172, 31, v172 :: v_dual_lshlrev_b32 v174, 29, v175
	v_dual_lshlrev_b32 v176, 28, v175 :: v_dual_lshlrev_b32 v177, 27, v175
	v_lshlrev_b32_e32 v178, 26, v175
	v_cmp_gt_i32_e64 s15, 0, v173
	s_delay_alu instid0(VALU_DEP_4)
	v_cmp_gt_i32_e64 s16, 0, v174
	v_not_b32_e32 v173, v174
	v_not_b32_e32 v174, v176
	v_dual_lshlrev_b32 v179, 25, v175 :: v_dual_lshlrev_b32 v180, 24, v175
	v_cmp_gt_i32_e64 s17, 0, v176
	v_cmp_gt_i32_e64 s18, 0, v177
	v_not_b32_e32 v176, v177
	v_not_b32_e32 v177, v178
	v_dual_ashrrev_i32 v174, 31, v174 :: v_dual_bitop2_b32 v61, vcc_lo, v61 bitop3:0x14
	v_dual_ashrrev_i32 v173, 31, v173 :: v_dual_bitop2_b32 v172, s15, v172 bitop3:0x14
	v_cmp_gt_i32_e64 s19, 0, v178
	v_cmp_gt_i32_e64 s20, 0, v179
	v_not_b32_e32 v178, v179
	v_not_b32_e32 v179, v180
	v_dual_ashrrev_i32 v176, 31, v176 :: v_dual_ashrrev_i32 v177, 31, v177
	v_xor_b32_e32 v173, s16, v173
	v_xor_b32_e32 v174, s17, v174
	v_bitop3_b32 v61, v61, v172, exec_lo bitop3:0x80
	v_cmp_gt_i32_e64 s21, 0, v180
	v_dual_ashrrev_i32 v172, 31, v178 :: v_dual_ashrrev_i32 v178, 31, v179
	v_xor_b32_e32 v176, s18, v176
	v_xor_b32_e32 v177, s19, v177
	v_bitop3_b32 v61, v61, v174, v173 bitop3:0x80
	v_mad_u32_u24 v173, v175, 36, v23
	v_xor_b32_e32 v172, s20, v172
	v_xor_b32_e32 v174, s21, v178
	s_delay_alu instid0(VALU_DEP_4) | instskip(SKIP_3) | instid1(VALU_DEP_2)
	v_bitop3_b32 v61, v61, v177, v176 bitop3:0x80
	ds_load_b32 v173, v173 offset:1056
	; wave barrier
	v_bitop3_b32 v61, v61, v174, v172 bitop3:0x80
	v_mul_u32_u24_e32 v172, 36, v175
	v_mbcnt_lo_u32_b32 v174, v61, 0
	v_cmp_ne_u32_e64 s15, 0, v61
	s_delay_alu instid0(VALU_DEP_3) | instskip(NEXT) | instid1(VALU_DEP_3)
	v_add_nc_u32_e32 v175, v23, v172
	v_cmp_eq_u32_e32 vcc_lo, 0, v174
	s_and_b32 s16, s15, vcc_lo
	s_delay_alu instid0(SALU_CYCLE_1)
	s_and_saveexec_b32 s15, s16
	s_cbranch_execz .LBB1862_155
; %bb.154:                              ;   in Loop: Header=BB1862_101 Depth=2
	s_wait_dscnt 0x0
	v_bcnt_u32_b32 v61, v61, v173
	ds_store_b32 v175, v61 offset:1056
.LBB1862_155:                           ;   in Loop: Header=BB1862_101 Depth=2
	s_or_b32 exec_lo, exec_lo, s15
	v_cmp_lt_i16_e32 vcc_lo, -1, v67
	; wave barrier
	v_cndmask_b32_e64 v61, -1, 0xffff8000, vcc_lo
	s_delay_alu instid0(VALU_DEP_1) | instskip(NEXT) | instid1(VALU_DEP_1)
	v_xor_b32_e32 v172, v61, v67
	v_cmp_ne_u16_e64 vcc_lo, 0x7fff, v172
	v_cndmask_b32_e32 v61, 0xffff8000, v172, vcc_lo
	s_delay_alu instid0(VALU_DEP_1) | instskip(NEXT) | instid1(VALU_DEP_1)
	v_and_b32_e32 v61, 0xffff, v61
	v_lshrrev_b32_e32 v61, s48, v61
	s_delay_alu instid0(VALU_DEP_1) | instskip(SKIP_1) | instid1(VALU_DEP_2)
	v_bitop3_b32 v67, v61, 1, s52 bitop3:0x80
	v_and_b32_e32 v176, s52, v61
	v_add_co_u32 v61, s15, v67, -1
	s_delay_alu instid0(VALU_DEP_1) | instskip(NEXT) | instid1(VALU_DEP_3)
	v_cndmask_b32_e64 v67, 0, 1, s15
	v_lshlrev_b32_e32 v177, 30, v176
	s_delay_alu instid0(VALU_DEP_2) | instskip(NEXT) | instid1(VALU_DEP_2)
	v_cmp_ne_u32_e32 vcc_lo, 0, v67
	v_not_b32_e32 v67, v177
	s_delay_alu instid0(VALU_DEP_1) | instskip(SKIP_4) | instid1(VALU_DEP_4)
	v_dual_ashrrev_i32 v67, 31, v67 :: v_dual_bitop2_b32 v61, vcc_lo, v61 bitop3:0x14
	v_dual_lshlrev_b32 v178, 29, v176 :: v_dual_lshlrev_b32 v179, 28, v176
	v_dual_lshlrev_b32 v180, 27, v176 :: v_dual_lshlrev_b32 v181, 26, v176
	v_lshlrev_b32_e32 v182, 25, v176
	v_cmp_gt_i32_e64 s15, 0, v177
	v_cmp_gt_i32_e64 s16, 0, v178
	v_not_b32_e32 v177, v178
	v_not_b32_e32 v178, v179
	v_lshlrev_b32_e32 v183, 24, v176
	v_cmp_gt_i32_e64 s17, 0, v179
	v_cmp_gt_i32_e64 s18, 0, v180
	v_not_b32_e32 v179, v180
	v_not_b32_e32 v180, v181
	v_dual_ashrrev_i32 v177, 31, v177 :: v_dual_bitop2_b32 v67, s15, v67 bitop3:0x14
	v_ashrrev_i32_e32 v178, 31, v178
	v_cmp_gt_i32_e64 s19, 0, v181
	v_cmp_gt_i32_e64 s20, 0, v182
	v_not_b32_e32 v181, v182
	v_not_b32_e32 v182, v183
	v_dual_ashrrev_i32 v179, 31, v179 :: v_dual_ashrrev_i32 v180, 31, v180
	v_xor_b32_e32 v177, s16, v177
	v_xor_b32_e32 v178, s17, v178
	v_bitop3_b32 v61, v61, v67, exec_lo bitop3:0x80
	v_cmp_gt_i32_e64 s21, 0, v183
	v_dual_ashrrev_i32 v67, 31, v181 :: v_dual_ashrrev_i32 v181, 31, v182
	v_xor_b32_e32 v179, s18, v179
	v_xor_b32_e32 v180, s19, v180
	v_bitop3_b32 v61, v61, v178, v177 bitop3:0x80
	v_mad_u32_u24 v177, v176, 36, v23
	v_xor_b32_e32 v67, s20, v67
	v_xor_b32_e32 v178, s21, v181
	s_delay_alu instid0(VALU_DEP_4) | instskip(SKIP_3) | instid1(VALU_DEP_2)
	v_bitop3_b32 v61, v61, v180, v179 bitop3:0x80
	ds_load_b32 v177, v177 offset:1056
	; wave barrier
	v_bitop3_b32 v61, v61, v178, v67 bitop3:0x80
	v_mul_u32_u24_e32 v67, 36, v176
	v_mbcnt_lo_u32_b32 v178, v61, 0
	v_cmp_ne_u32_e64 s15, 0, v61
	s_delay_alu instid0(VALU_DEP_3) | instskip(NEXT) | instid1(VALU_DEP_3)
	v_add_nc_u32_e32 v179, v23, v67
	v_cmp_eq_u32_e32 vcc_lo, 0, v178
	s_and_b32 s16, s15, vcc_lo
	s_delay_alu instid0(SALU_CYCLE_1)
	s_and_saveexec_b32 s15, s16
	s_cbranch_execz .LBB1862_157
; %bb.156:                              ;   in Loop: Header=BB1862_101 Depth=2
	s_wait_dscnt 0x0
	v_bcnt_u32_b32 v61, v61, v177
	ds_store_b32 v179, v61 offset:1056
.LBB1862_157:                           ;   in Loop: Header=BB1862_101 Depth=2
	s_or_b32 exec_lo, exec_lo, s15
	v_cmp_lt_i16_e32 vcc_lo, -1, v66
	; wave barrier
	v_cndmask_b32_e64 v61, -1, 0xffff8000, vcc_lo
	s_delay_alu instid0(VALU_DEP_1) | instskip(NEXT) | instid1(VALU_DEP_1)
	v_xor_b32_e32 v176, v61, v66
	v_cmp_ne_u16_e64 vcc_lo, 0x7fff, v176
	v_cndmask_b32_e32 v61, 0xffff8000, v176, vcc_lo
	s_delay_alu instid0(VALU_DEP_1) | instskip(NEXT) | instid1(VALU_DEP_1)
	v_and_b32_e32 v61, 0xffff, v61
	v_lshrrev_b32_e32 v61, s48, v61
	s_delay_alu instid0(VALU_DEP_1) | instskip(SKIP_1) | instid1(VALU_DEP_2)
	v_bitop3_b32 v66, v61, 1, s52 bitop3:0x80
	v_and_b32_e32 v67, s52, v61
	v_add_co_u32 v61, s15, v66, -1
	s_delay_alu instid0(VALU_DEP_1) | instskip(NEXT) | instid1(VALU_DEP_3)
	v_cndmask_b32_e64 v66, 0, 1, s15
	v_lshlrev_b32_e32 v180, 30, v67
	s_delay_alu instid0(VALU_DEP_2) | instskip(NEXT) | instid1(VALU_DEP_2)
	v_cmp_ne_u32_e32 vcc_lo, 0, v66
	v_not_b32_e32 v66, v180
	v_cmp_gt_i32_e64 s15, 0, v180
	s_delay_alu instid0(VALU_DEP_2) | instskip(SKIP_3) | instid1(VALU_DEP_4)
	v_dual_ashrrev_i32 v66, 31, v66 :: v_dual_lshlrev_b32 v181, 29, v67
	v_dual_lshlrev_b32 v182, 28, v67 :: v_dual_lshlrev_b32 v183, 27, v67
	v_dual_lshlrev_b32 v184, 26, v67 :: v_dual_lshlrev_b32 v185, 25, v67
	v_lshlrev_b32_e32 v186, 24, v67
	v_cmp_gt_i32_e64 s16, 0, v181
	v_not_b32_e32 v180, v181
	v_not_b32_e32 v181, v182
	v_cmp_gt_i32_e64 s17, 0, v182
	v_cmp_gt_i32_e64 s18, 0, v183
	v_not_b32_e32 v182, v183
	v_not_b32_e32 v183, v184
	v_dual_ashrrev_i32 v180, 31, v180 :: v_dual_bitop2_b32 v61, vcc_lo, v61 bitop3:0x14
	v_dual_ashrrev_i32 v181, 31, v181 :: v_dual_bitop2_b32 v66, s15, v66 bitop3:0x14
	v_cmp_gt_i32_e64 s19, 0, v184
	v_cmp_gt_i32_e64 s20, 0, v185
	v_not_b32_e32 v184, v185
	v_not_b32_e32 v185, v186
	v_dual_ashrrev_i32 v182, 31, v182 :: v_dual_ashrrev_i32 v183, 31, v183
	v_xor_b32_e32 v180, s16, v180
	v_xor_b32_e32 v181, s17, v181
	v_bitop3_b32 v61, v61, v66, exec_lo bitop3:0x80
	v_cmp_gt_i32_e64 s21, 0, v186
	v_dual_ashrrev_i32 v66, 31, v184 :: v_dual_ashrrev_i32 v184, 31, v185
	v_xor_b32_e32 v182, s18, v182
	v_xor_b32_e32 v183, s19, v183
	v_bitop3_b32 v61, v61, v181, v180 bitop3:0x80
	v_mad_u32_u24 v180, v67, 36, v23
	v_xor_b32_e32 v66, s20, v66
	v_xor_b32_e32 v184, s21, v184
	s_delay_alu instid0(VALU_DEP_4) | instskip(SKIP_3) | instid1(VALU_DEP_2)
	v_bitop3_b32 v61, v61, v183, v182 bitop3:0x80
	ds_load_b32 v181, v180 offset:1056
	; wave barrier
	v_bitop3_b32 v61, v61, v184, v66 bitop3:0x80
	v_mul_u32_u24_e32 v66, 36, v67
	v_mbcnt_lo_u32_b32 v182, v61, 0
	v_cmp_ne_u32_e64 s15, 0, v61
	s_delay_alu instid0(VALU_DEP_3) | instskip(NEXT) | instid1(VALU_DEP_3)
	v_add_nc_u32_e32 v183, v23, v66
	v_cmp_eq_u32_e32 vcc_lo, 0, v182
	s_and_b32 s16, s15, vcc_lo
	s_delay_alu instid0(SALU_CYCLE_1)
	s_and_saveexec_b32 s15, s16
	s_cbranch_execz .LBB1862_159
; %bb.158:                              ;   in Loop: Header=BB1862_101 Depth=2
	s_wait_dscnt 0x0
	v_bcnt_u32_b32 v61, v61, v181
	ds_store_b32 v183, v61 offset:1056
.LBB1862_159:                           ;   in Loop: Header=BB1862_101 Depth=2
	s_or_b32 exec_lo, exec_lo, s15
	v_cmp_lt_i16_e32 vcc_lo, -1, v65
	; wave barrier
	v_cndmask_b32_e64 v61, -1, 0xffff8000, vcc_lo
	s_delay_alu instid0(VALU_DEP_1) | instskip(NEXT) | instid1(VALU_DEP_1)
	v_xor_b32_e32 v180, v61, v65
	v_cmp_ne_u16_e64 vcc_lo, 0x7fff, v180
	v_cndmask_b32_e32 v61, 0xffff8000, v180, vcc_lo
	s_delay_alu instid0(VALU_DEP_1) | instskip(NEXT) | instid1(VALU_DEP_1)
	v_and_b32_e32 v61, 0xffff, v61
	v_lshrrev_b32_e32 v61, s48, v61
	s_delay_alu instid0(VALU_DEP_1) | instskip(NEXT) | instid1(VALU_DEP_1)
	v_and_b32_e32 v66, s52, v61
	v_lshlrev_b32_e32 v185, 28, v66
	v_bitop3_b32 v65, v61, 1, s52 bitop3:0x80
	v_dual_lshlrev_b32 v67, 30, v66 :: v_dual_lshlrev_b32 v184, 29, v66
	s_delay_alu instid0(VALU_DEP_3) | instskip(NEXT) | instid1(VALU_DEP_3)
	v_cmp_gt_i32_e64 s17, 0, v185
	v_add_co_u32 v61, s15, v65, -1
	s_delay_alu instid0(VALU_DEP_1) | instskip(NEXT) | instid1(VALU_DEP_4)
	v_cndmask_b32_e64 v65, 0, 1, s15
	v_cmp_gt_i32_e64 s15, 0, v67
	v_cmp_gt_i32_e64 s16, 0, v184
	s_delay_alu instid0(VALU_DEP_3) | instskip(SKIP_3) | instid1(VALU_DEP_2)
	v_cmp_ne_u32_e32 vcc_lo, 0, v65
	v_not_b32_e32 v65, v67
	v_not_b32_e32 v67, v184
	;; [unrolled: 1-line block ×3, first 2 shown]
	v_dual_ashrrev_i32 v65, 31, v65 :: v_dual_ashrrev_i32 v67, 31, v67
	v_dual_lshlrev_b32 v186, 27, v66 :: v_dual_lshlrev_b32 v187, 26, v66
	v_dual_lshlrev_b32 v188, 25, v66 :: v_dual_lshlrev_b32 v189, 24, v66
	s_delay_alu instid0(VALU_DEP_4) | instskip(NEXT) | instid1(VALU_DEP_3)
	v_ashrrev_i32_e32 v184, 31, v184
	v_cmp_gt_i32_e64 s18, 0, v186
	v_not_b32_e32 v185, v186
	v_cmp_gt_i32_e64 s19, 0, v187
	v_not_b32_e32 v186, v187
	;; [unrolled: 2-line block ×3, first 2 shown]
	v_not_b32_e32 v188, v189
	s_delay_alu instid0(VALU_DEP_4) | instskip(SKIP_4) | instid1(VALU_DEP_4)
	v_dual_ashrrev_i32 v186, 31, v186 :: v_dual_bitop2_b32 v61, vcc_lo, v61 bitop3:0x14
	v_xor_b32_e32 v65, s15, v65
	v_dual_ashrrev_i32 v185, 31, v185 :: v_dual_bitop2_b32 v67, s16, v67 bitop3:0x14
	v_xor_b32_e32 v184, s17, v184
	v_cmp_gt_i32_e64 s21, 0, v189
	v_bitop3_b32 v61, v61, v65, exec_lo bitop3:0x80
	v_dual_ashrrev_i32 v65, 31, v187 :: v_dual_ashrrev_i32 v187, 31, v188
	v_xor_b32_e32 v185, s18, v185
	v_xor_b32_e32 v186, s19, v186
	s_delay_alu instid0(VALU_DEP_4) | instskip(SKIP_3) | instid1(VALU_DEP_4)
	v_bitop3_b32 v61, v61, v184, v67 bitop3:0x80
	v_mad_u32_u24 v67, v66, 36, v23
	v_xor_b32_e32 v65, s20, v65
	v_xor_b32_e32 v184, s21, v187
	v_bitop3_b32 v61, v61, v186, v185 bitop3:0x80
	ds_load_b32 v185, v67 offset:1056
	; wave barrier
	v_bitop3_b32 v61, v61, v184, v65 bitop3:0x80
	v_mul_u32_u24_e32 v65, 36, v66
	s_delay_alu instid0(VALU_DEP_2) | instskip(SKIP_1) | instid1(VALU_DEP_3)
	v_mbcnt_lo_u32_b32 v186, v61, 0
	v_cmp_ne_u32_e64 s15, 0, v61
	v_add_nc_u32_e32 v187, v23, v65
	s_delay_alu instid0(VALU_DEP_3) | instskip(SKIP_1) | instid1(SALU_CYCLE_1)
	v_cmp_eq_u32_e32 vcc_lo, 0, v186
	s_and_b32 s16, s15, vcc_lo
	s_and_saveexec_b32 s15, s16
	s_cbranch_execz .LBB1862_161
; %bb.160:                              ;   in Loop: Header=BB1862_101 Depth=2
	s_wait_dscnt 0x0
	v_bcnt_u32_b32 v61, v61, v185
	ds_store_b32 v187, v61 offset:1056
.LBB1862_161:                           ;   in Loop: Header=BB1862_101 Depth=2
	s_or_b32 exec_lo, exec_lo, s15
	v_cmp_lt_i16_e32 vcc_lo, -1, v64
	; wave barrier
	v_cndmask_b32_e64 v61, -1, 0xffff8000, vcc_lo
	s_delay_alu instid0(VALU_DEP_1) | instskip(NEXT) | instid1(VALU_DEP_1)
	v_xor_b32_e32 v184, v61, v64
	v_cmp_ne_u16_e64 vcc_lo, 0x7fff, v184
	v_cndmask_b32_e32 v61, 0xffff8000, v184, vcc_lo
	s_delay_alu instid0(VALU_DEP_1) | instskip(NEXT) | instid1(VALU_DEP_1)
	v_and_b32_e32 v61, 0xffff, v61
	v_lshrrev_b32_e32 v61, s48, v61
	s_delay_alu instid0(VALU_DEP_1) | instskip(SKIP_1) | instid1(VALU_DEP_2)
	v_bitop3_b32 v64, v61, 1, s52 bitop3:0x80
	v_and_b32_e32 v65, s52, v61
	v_add_co_u32 v61, s15, v64, -1
	s_delay_alu instid0(VALU_DEP_1) | instskip(NEXT) | instid1(VALU_DEP_3)
	v_cndmask_b32_e64 v64, 0, 1, s15
	v_lshlrev_b32_e32 v66, 30, v65
	s_delay_alu instid0(VALU_DEP_2) | instskip(NEXT) | instid1(VALU_DEP_2)
	v_cmp_ne_u32_e32 vcc_lo, 0, v64
	v_not_b32_e32 v64, v66
	v_cmp_gt_i32_e64 s15, 0, v66
	s_delay_alu instid0(VALU_DEP_2) | instskip(SKIP_3) | instid1(VALU_DEP_4)
	v_dual_ashrrev_i32 v64, 31, v64 :: v_dual_lshlrev_b32 v67, 29, v65
	v_dual_lshlrev_b32 v188, 28, v65 :: v_dual_lshlrev_b32 v189, 27, v65
	v_dual_lshlrev_b32 v190, 26, v65 :: v_dual_lshlrev_b32 v191, 25, v65
	v_lshlrev_b32_e32 v192, 24, v65
	v_cmp_gt_i32_e64 s16, 0, v67
	v_not_b32_e32 v66, v67
	v_not_b32_e32 v67, v188
	v_cmp_gt_i32_e64 s17, 0, v188
	v_cmp_gt_i32_e64 s18, 0, v189
	v_not_b32_e32 v188, v189
	v_not_b32_e32 v189, v190
	v_dual_ashrrev_i32 v66, 31, v66 :: v_dual_bitop2_b32 v61, vcc_lo, v61 bitop3:0x14
	v_dual_ashrrev_i32 v67, 31, v67 :: v_dual_bitop2_b32 v64, s15, v64 bitop3:0x14
	v_cmp_gt_i32_e64 s19, 0, v190
	v_cmp_gt_i32_e64 s20, 0, v191
	v_not_b32_e32 v190, v191
	v_not_b32_e32 v191, v192
	v_dual_ashrrev_i32 v188, 31, v188 :: v_dual_ashrrev_i32 v189, 31, v189
	v_xor_b32_e32 v66, s16, v66
	v_xor_b32_e32 v67, s17, v67
	v_bitop3_b32 v61, v61, v64, exec_lo bitop3:0x80
	v_cmp_gt_i32_e64 s21, 0, v192
	v_dual_ashrrev_i32 v64, 31, v190 :: v_dual_ashrrev_i32 v190, 31, v191
	v_xor_b32_e32 v188, s18, v188
	v_xor_b32_e32 v189, s19, v189
	v_bitop3_b32 v61, v61, v67, v66 bitop3:0x80
	v_mad_u32_u24 v66, v65, 36, v23
	v_xor_b32_e32 v64, s20, v64
	v_xor_b32_e32 v67, s21, v190
	s_delay_alu instid0(VALU_DEP_4) | instskip(SKIP_3) | instid1(VALU_DEP_2)
	v_bitop3_b32 v61, v61, v189, v188 bitop3:0x80
	ds_load_b32 v189, v66 offset:1056
	; wave barrier
	v_bitop3_b32 v61, v61, v67, v64 bitop3:0x80
	v_mul_u32_u24_e32 v64, 36, v65
	v_mbcnt_lo_u32_b32 v190, v61, 0
	v_cmp_ne_u32_e64 s15, 0, v61
	s_delay_alu instid0(VALU_DEP_3) | instskip(NEXT) | instid1(VALU_DEP_3)
	v_add_nc_u32_e32 v191, v23, v64
	v_cmp_eq_u32_e32 vcc_lo, 0, v190
	s_and_b32 s16, s15, vcc_lo
	s_delay_alu instid0(SALU_CYCLE_1)
	s_and_saveexec_b32 s15, s16
	s_cbranch_execz .LBB1862_163
; %bb.162:                              ;   in Loop: Header=BB1862_101 Depth=2
	s_wait_dscnt 0x0
	v_bcnt_u32_b32 v61, v61, v189
	ds_store_b32 v191, v61 offset:1056
.LBB1862_163:                           ;   in Loop: Header=BB1862_101 Depth=2
	s_or_b32 exec_lo, exec_lo, s15
	v_cmp_lt_i16_e32 vcc_lo, -1, v63
	; wave barrier
	v_cndmask_b32_e64 v61, -1, 0xffff8000, vcc_lo
	s_delay_alu instid0(VALU_DEP_1) | instskip(NEXT) | instid1(VALU_DEP_1)
	v_xor_b32_e32 v188, v61, v63
	v_cmp_ne_u16_e64 vcc_lo, 0x7fff, v188
	v_cndmask_b32_e32 v61, 0xffff8000, v188, vcc_lo
	s_delay_alu instid0(VALU_DEP_1) | instskip(NEXT) | instid1(VALU_DEP_1)
	v_and_b32_e32 v61, 0xffff, v61
	v_lshrrev_b32_e32 v61, s48, v61
	s_delay_alu instid0(VALU_DEP_1) | instskip(SKIP_1) | instid1(VALU_DEP_2)
	v_bitop3_b32 v63, v61, 1, s52 bitop3:0x80
	v_and_b32_e32 v64, s52, v61
	v_add_co_u32 v61, s15, v63, -1
	s_delay_alu instid0(VALU_DEP_1) | instskip(NEXT) | instid1(VALU_DEP_3)
	v_cndmask_b32_e64 v63, 0, 1, s15
	v_lshlrev_b32_e32 v65, 30, v64
	s_delay_alu instid0(VALU_DEP_2) | instskip(NEXT) | instid1(VALU_DEP_2)
	v_cmp_ne_u32_e32 vcc_lo, 0, v63
	v_not_b32_e32 v63, v65
	s_delay_alu instid0(VALU_DEP_1) | instskip(SKIP_4) | instid1(VALU_DEP_4)
	v_dual_ashrrev_i32 v63, 31, v63 :: v_dual_bitop2_b32 v61, vcc_lo, v61 bitop3:0x14
	v_dual_lshlrev_b32 v66, 29, v64 :: v_dual_lshlrev_b32 v67, 28, v64
	v_dual_lshlrev_b32 v192, 27, v64 :: v_dual_lshlrev_b32 v193, 26, v64
	v_lshlrev_b32_e32 v194, 25, v64
	v_cmp_gt_i32_e64 s15, 0, v65
	v_cmp_gt_i32_e64 s16, 0, v66
	v_not_b32_e32 v65, v66
	v_not_b32_e32 v66, v67
	v_lshlrev_b32_e32 v195, 24, v64
	v_cmp_gt_i32_e64 s17, 0, v67
	v_cmp_gt_i32_e64 s18, 0, v192
	v_not_b32_e32 v67, v192
	v_not_b32_e32 v192, v193
	v_dual_ashrrev_i32 v65, 31, v65 :: v_dual_bitop2_b32 v63, s15, v63 bitop3:0x14
	v_ashrrev_i32_e32 v66, 31, v66
	v_cmp_gt_i32_e64 s19, 0, v193
	v_cmp_gt_i32_e64 s20, 0, v194
	v_not_b32_e32 v193, v194
	v_not_b32_e32 v194, v195
	v_dual_ashrrev_i32 v67, 31, v67 :: v_dual_ashrrev_i32 v192, 31, v192
	v_xor_b32_e32 v65, s16, v65
	v_xor_b32_e32 v66, s17, v66
	v_bitop3_b32 v61, v61, v63, exec_lo bitop3:0x80
	v_cmp_gt_i32_e64 s21, 0, v195
	v_dual_ashrrev_i32 v63, 31, v193 :: v_dual_ashrrev_i32 v193, 31, v194
	v_xor_b32_e32 v67, s18, v67
	v_xor_b32_e32 v192, s19, v192
	v_bitop3_b32 v61, v61, v66, v65 bitop3:0x80
	v_mad_u32_u24 v65, v64, 36, v23
	v_xor_b32_e32 v63, s20, v63
	v_xor_b32_e32 v66, s21, v193
	s_delay_alu instid0(VALU_DEP_4) | instskip(SKIP_3) | instid1(VALU_DEP_2)
	v_bitop3_b32 v61, v61, v192, v67 bitop3:0x80
	ds_load_b32 v193, v65 offset:1056
	; wave barrier
	v_bitop3_b32 v61, v61, v66, v63 bitop3:0x80
	v_mul_u32_u24_e32 v63, 36, v64
	v_mbcnt_lo_u32_b32 v194, v61, 0
	v_cmp_ne_u32_e64 s15, 0, v61
	s_delay_alu instid0(VALU_DEP_3) | instskip(NEXT) | instid1(VALU_DEP_3)
	v_add_nc_u32_e32 v195, v23, v63
	v_cmp_eq_u32_e32 vcc_lo, 0, v194
	s_and_b32 s16, s15, vcc_lo
	s_delay_alu instid0(SALU_CYCLE_1)
	s_and_saveexec_b32 s15, s16
	s_cbranch_execz .LBB1862_165
; %bb.164:                              ;   in Loop: Header=BB1862_101 Depth=2
	s_wait_dscnt 0x0
	v_bcnt_u32_b32 v61, v61, v193
	ds_store_b32 v195, v61 offset:1056
.LBB1862_165:                           ;   in Loop: Header=BB1862_101 Depth=2
	s_or_b32 exec_lo, exec_lo, s15
	v_cmp_lt_i16_e32 vcc_lo, -1, v62
	; wave barrier
	v_cndmask_b32_e64 v61, -1, 0xffff8000, vcc_lo
	s_delay_alu instid0(VALU_DEP_1) | instskip(NEXT) | instid1(VALU_DEP_1)
	v_xor_b32_e32 v192, v61, v62
	v_cmp_ne_u16_e64 vcc_lo, 0x7fff, v192
	v_cndmask_b32_e32 v61, 0xffff8000, v192, vcc_lo
	s_delay_alu instid0(VALU_DEP_1) | instskip(NEXT) | instid1(VALU_DEP_1)
	v_and_b32_e32 v61, 0xffff, v61
	v_lshrrev_b32_e32 v61, s48, v61
	s_delay_alu instid0(VALU_DEP_1) | instskip(SKIP_1) | instid1(VALU_DEP_2)
	v_bitop3_b32 v62, v61, 1, s52 bitop3:0x80
	v_and_b32_e32 v63, s52, v61
	v_add_co_u32 v61, s15, v62, -1
	s_delay_alu instid0(VALU_DEP_1) | instskip(NEXT) | instid1(VALU_DEP_3)
	v_cndmask_b32_e64 v62, 0, 1, s15
	v_lshlrev_b32_e32 v64, 30, v63
	s_delay_alu instid0(VALU_DEP_2) | instskip(NEXT) | instid1(VALU_DEP_2)
	v_cmp_ne_u32_e32 vcc_lo, 0, v62
	v_not_b32_e32 v62, v64
	v_cmp_gt_i32_e64 s15, 0, v64
	s_delay_alu instid0(VALU_DEP_2) | instskip(SKIP_3) | instid1(VALU_DEP_4)
	v_dual_ashrrev_i32 v62, 31, v62 :: v_dual_lshlrev_b32 v65, 29, v63
	v_dual_lshlrev_b32 v66, 28, v63 :: v_dual_lshlrev_b32 v67, 27, v63
	v_dual_lshlrev_b32 v196, 26, v63 :: v_dual_lshlrev_b32 v197, 25, v63
	v_lshlrev_b32_e32 v198, 24, v63
	v_cmp_gt_i32_e64 s16, 0, v65
	v_not_b32_e32 v64, v65
	v_not_b32_e32 v65, v66
	v_cmp_gt_i32_e64 s17, 0, v66
	v_cmp_gt_i32_e64 s18, 0, v67
	v_not_b32_e32 v66, v67
	v_not_b32_e32 v67, v196
	v_dual_ashrrev_i32 v64, 31, v64 :: v_dual_bitop2_b32 v61, vcc_lo, v61 bitop3:0x14
	v_dual_ashrrev_i32 v65, 31, v65 :: v_dual_bitop2_b32 v62, s15, v62 bitop3:0x14
	v_cmp_gt_i32_e64 s19, 0, v196
	v_cmp_gt_i32_e64 s20, 0, v197
	v_not_b32_e32 v196, v197
	v_not_b32_e32 v197, v198
	v_dual_ashrrev_i32 v66, 31, v66 :: v_dual_ashrrev_i32 v67, 31, v67
	v_xor_b32_e32 v64, s16, v64
	v_xor_b32_e32 v65, s17, v65
	v_bitop3_b32 v61, v61, v62, exec_lo bitop3:0x80
	v_cmp_gt_i32_e64 s21, 0, v198
	v_dual_ashrrev_i32 v62, 31, v196 :: v_dual_ashrrev_i32 v196, 31, v197
	v_xor_b32_e32 v66, s18, v66
	v_xor_b32_e32 v67, s19, v67
	v_bitop3_b32 v61, v61, v65, v64 bitop3:0x80
	v_mad_u32_u24 v64, v63, 36, v23
	v_xor_b32_e32 v62, s20, v62
	v_xor_b32_e32 v65, s21, v196
	s_delay_alu instid0(VALU_DEP_4) | instskip(SKIP_3) | instid1(VALU_DEP_2)
	v_bitop3_b32 v61, v61, v67, v66 bitop3:0x80
	ds_load_b32 v197, v64 offset:1056
	; wave barrier
	v_bitop3_b32 v61, v61, v65, v62 bitop3:0x80
	v_mul_u32_u24_e32 v62, 36, v63
	v_mbcnt_lo_u32_b32 v198, v61, 0
	v_cmp_ne_u32_e64 s15, 0, v61
	s_delay_alu instid0(VALU_DEP_3) | instskip(NEXT) | instid1(VALU_DEP_3)
	v_add_nc_u32_e32 v199, v23, v62
	v_cmp_eq_u32_e32 vcc_lo, 0, v198
	s_and_b32 s16, s15, vcc_lo
	s_delay_alu instid0(SALU_CYCLE_1)
	s_and_saveexec_b32 s15, s16
	s_cbranch_execz .LBB1862_167
; %bb.166:                              ;   in Loop: Header=BB1862_101 Depth=2
	s_wait_dscnt 0x0
	v_bcnt_u32_b32 v61, v61, v197
	ds_store_b32 v199, v61 offset:1056
.LBB1862_167:                           ;   in Loop: Header=BB1862_101 Depth=2
	s_or_b32 exec_lo, exec_lo, s15
	v_cmp_lt_i16_e32 vcc_lo, -1, v60
	; wave barrier
	v_cndmask_b32_e64 v61, -1, 0xffff8000, vcc_lo
	s_delay_alu instid0(VALU_DEP_1) | instskip(NEXT) | instid1(VALU_DEP_1)
	v_xor_b32_e32 v196, v61, v60
	v_cmp_ne_u16_e64 vcc_lo, 0x7fff, v196
	v_cndmask_b32_e32 v60, 0xffff8000, v196, vcc_lo
	s_delay_alu instid0(VALU_DEP_1) | instskip(NEXT) | instid1(VALU_DEP_1)
	v_and_b32_e32 v60, 0xffff, v60
	v_lshrrev_b32_e32 v60, s48, v60
	s_delay_alu instid0(VALU_DEP_1) | instskip(SKIP_1) | instid1(VALU_DEP_2)
	v_bitop3_b32 v61, v60, 1, s52 bitop3:0x80
	v_and_b32_e32 v62, s52, v60
	v_add_co_u32 v60, s15, v61, -1
	s_delay_alu instid0(VALU_DEP_1) | instskip(NEXT) | instid1(VALU_DEP_3)
	v_cndmask_b32_e64 v61, 0, 1, s15
	v_lshlrev_b32_e32 v63, 30, v62
	s_delay_alu instid0(VALU_DEP_2) | instskip(NEXT) | instid1(VALU_DEP_2)
	v_cmp_ne_u32_e32 vcc_lo, 0, v61
	v_not_b32_e32 v61, v63
	v_cmp_gt_i32_e64 s15, 0, v63
	s_delay_alu instid0(VALU_DEP_2) | instskip(SKIP_3) | instid1(VALU_DEP_4)
	v_dual_ashrrev_i32 v61, 31, v61 :: v_dual_lshlrev_b32 v64, 29, v62
	v_dual_lshlrev_b32 v65, 28, v62 :: v_dual_lshlrev_b32 v66, 27, v62
	v_dual_lshlrev_b32 v67, 26, v62 :: v_dual_lshlrev_b32 v200, 25, v62
	v_lshlrev_b32_e32 v201, 24, v62
	v_cmp_gt_i32_e64 s16, 0, v64
	v_not_b32_e32 v63, v64
	v_not_b32_e32 v64, v65
	v_cmp_gt_i32_e64 s17, 0, v65
	v_cmp_gt_i32_e64 s18, 0, v66
	v_not_b32_e32 v65, v66
	v_not_b32_e32 v66, v67
	v_dual_ashrrev_i32 v63, 31, v63 :: v_dual_bitop2_b32 v60, vcc_lo, v60 bitop3:0x14
	v_dual_ashrrev_i32 v64, 31, v64 :: v_dual_bitop2_b32 v61, s15, v61 bitop3:0x14
	v_cmp_gt_i32_e64 s19, 0, v67
	v_cmp_gt_i32_e64 s20, 0, v200
	v_not_b32_e32 v67, v200
	v_not_b32_e32 v200, v201
	v_dual_ashrrev_i32 v65, 31, v65 :: v_dual_ashrrev_i32 v66, 31, v66
	v_xor_b32_e32 v63, s16, v63
	v_xor_b32_e32 v64, s17, v64
	v_bitop3_b32 v60, v60, v61, exec_lo bitop3:0x80
	v_cmp_gt_i32_e64 s21, 0, v201
	v_dual_ashrrev_i32 v61, 31, v67 :: v_dual_ashrrev_i32 v67, 31, v200
	v_xor_b32_e32 v65, s18, v65
	v_xor_b32_e32 v66, s19, v66
	v_bitop3_b32 v60, v60, v64, v63 bitop3:0x80
	v_mad_u32_u24 v63, v62, 36, v23
	v_xor_b32_e32 v61, s20, v61
	v_xor_b32_e32 v64, s21, v67
	s_delay_alu instid0(VALU_DEP_4) | instskip(SKIP_3) | instid1(VALU_DEP_2)
	v_bitop3_b32 v60, v60, v66, v65 bitop3:0x80
	ds_load_b32 v200, v63 offset:1056
	; wave barrier
	v_bitop3_b32 v60, v60, v64, v61 bitop3:0x80
	v_mul_u32_u24_e32 v61, 36, v62
	v_mbcnt_lo_u32_b32 v201, v60, 0
	v_cmp_ne_u32_e64 s15, 0, v60
	s_delay_alu instid0(VALU_DEP_3) | instskip(NEXT) | instid1(VALU_DEP_3)
	v_add_nc_u32_e32 v202, v23, v61
	v_cmp_eq_u32_e32 vcc_lo, 0, v201
	s_and_b32 s16, s15, vcc_lo
	s_delay_alu instid0(SALU_CYCLE_1)
	s_and_saveexec_b32 s15, s16
	s_cbranch_execz .LBB1862_169
; %bb.168:                              ;   in Loop: Header=BB1862_101 Depth=2
	s_wait_dscnt 0x0
	v_bcnt_u32_b32 v60, v60, v200
	ds_store_b32 v202, v60 offset:1056
.LBB1862_169:                           ;   in Loop: Header=BB1862_101 Depth=2
	s_or_b32 exec_lo, exec_lo, s15
	; wave barrier
	s_wait_dscnt 0x0
	s_barrier_signal -1
	s_barrier_wait -1
	ds_load_2addr_b32 v[66:67], v118 offset1:1
	ds_load_2addr_b32 v[64:65], v119 offset1:1
	;; [unrolled: 1-line block ×4, first 2 shown]
	ds_load_b32 v203, v91 offset:1088
	s_wait_dscnt 0x3
	v_add3_u32 v204, v67, v66, v64
	s_wait_dscnt 0x2
	s_delay_alu instid0(VALU_DEP_1) | instskip(SKIP_1) | instid1(VALU_DEP_1)
	v_add3_u32 v204, v204, v65, v62
	s_wait_dscnt 0x1
	v_add3_u32 v204, v204, v63, v60
	s_wait_dscnt 0x0
	s_delay_alu instid0(VALU_DEP_1) | instskip(NEXT) | instid1(VALU_DEP_1)
	v_add3_u32 v203, v204, v61, v203
	v_mov_b32_dpp v204, v203 row_shr:1 row_mask:0xf bank_mask:0xf
	s_delay_alu instid0(VALU_DEP_1) | instskip(NEXT) | instid1(VALU_DEP_1)
	v_cndmask_b32_e64 v204, v204, 0, s7
	v_add_nc_u32_e32 v203, v204, v203
	s_delay_alu instid0(VALU_DEP_1) | instskip(NEXT) | instid1(VALU_DEP_1)
	v_mov_b32_dpp v204, v203 row_shr:2 row_mask:0xf bank_mask:0xf
	v_cndmask_b32_e64 v204, 0, v204, s8
	s_delay_alu instid0(VALU_DEP_1) | instskip(NEXT) | instid1(VALU_DEP_1)
	v_add_nc_u32_e32 v203, v203, v204
	v_mov_b32_dpp v204, v203 row_shr:4 row_mask:0xf bank_mask:0xf
	s_delay_alu instid0(VALU_DEP_1) | instskip(NEXT) | instid1(VALU_DEP_1)
	v_cndmask_b32_e64 v204, 0, v204, s9
	v_add_nc_u32_e32 v203, v203, v204
	s_delay_alu instid0(VALU_DEP_1) | instskip(NEXT) | instid1(VALU_DEP_1)
	v_mov_b32_dpp v204, v203 row_shr:8 row_mask:0xf bank_mask:0xf
	v_cndmask_b32_e64 v204, 0, v204, s10
	s_delay_alu instid0(VALU_DEP_1) | instskip(SKIP_3) | instid1(VALU_DEP_1)
	v_add_nc_u32_e32 v203, v203, v204
	ds_swizzle_b32 v204, v203 offset:swizzle(BROADCAST,32,15)
	s_wait_dscnt 0x0
	v_cndmask_b32_e64 v204, v204, 0, s11
	v_add_nc_u32_e32 v203, v203, v204
	s_and_saveexec_b32 s15, s1
; %bb.170:                              ;   in Loop: Header=BB1862_101 Depth=2
	ds_store_b32 v84, v203 offset:1024
; %bb.171:                              ;   in Loop: Header=BB1862_101 Depth=2
	s_or_b32 exec_lo, exec_lo, s15
	s_wait_dscnt 0x0
	s_barrier_signal -1
	s_barrier_wait -1
	s_and_saveexec_b32 s15, s4
	s_cbranch_execz .LBB1862_173
; %bb.172:                              ;   in Loop: Header=BB1862_101 Depth=2
	ds_load_b32 v204, v92 offset:1024
	s_wait_dscnt 0x0
	v_mov_b32_dpp v205, v204 row_shr:1 row_mask:0xf bank_mask:0xf
	s_delay_alu instid0(VALU_DEP_1) | instskip(NEXT) | instid1(VALU_DEP_1)
	v_cndmask_b32_e64 v205, v205, 0, s12
	v_add_nc_u32_e32 v204, v205, v204
	s_delay_alu instid0(VALU_DEP_1) | instskip(NEXT) | instid1(VALU_DEP_1)
	v_mov_b32_dpp v205, v204 row_shr:2 row_mask:0xf bank_mask:0xf
	v_cndmask_b32_e64 v205, 0, v205, s13
	s_delay_alu instid0(VALU_DEP_1) | instskip(NEXT) | instid1(VALU_DEP_1)
	v_add_nc_u32_e32 v204, v204, v205
	v_mov_b32_dpp v205, v204 row_shr:4 row_mask:0xf bank_mask:0xf
	s_delay_alu instid0(VALU_DEP_1) | instskip(NEXT) | instid1(VALU_DEP_1)
	v_cndmask_b32_e64 v205, 0, v205, s14
	v_add_nc_u32_e32 v204, v204, v205
	ds_store_b32 v92, v204 offset:1024
.LBB1862_173:                           ;   in Loop: Header=BB1862_101 Depth=2
	s_or_b32 exec_lo, exec_lo, s15
	v_mov_b32_e32 v204, 0
	s_wait_dscnt 0x0
	s_barrier_signal -1
	s_barrier_wait -1
	s_and_saveexec_b32 s15, s5
; %bb.174:                              ;   in Loop: Header=BB1862_101 Depth=2
	ds_load_b32 v204, v84 offset:1020
; %bb.175:                              ;   in Loop: Header=BB1862_101 Depth=2
	s_or_b32 exec_lo, exec_lo, s15
	s_wait_dscnt 0x0
	v_add_nc_u32_e32 v203, v204, v203
	ds_bpermute_b32 v203, v122, v203
	s_wait_dscnt 0x0
	v_cndmask_b32_e64 v203, v203, v204, s6
	s_delay_alu instid0(VALU_DEP_1) | instskip(NEXT) | instid1(VALU_DEP_1)
	v_cndmask_b32_e64 v203, v203, 0, s2
	v_add_nc_u32_e32 v66, v203, v66
	s_delay_alu instid0(VALU_DEP_1) | instskip(NEXT) | instid1(VALU_DEP_1)
	v_add_nc_u32_e32 v67, v66, v67
	v_add_nc_u32_e32 v64, v67, v64
	s_delay_alu instid0(VALU_DEP_1) | instskip(NEXT) | instid1(VALU_DEP_1)
	v_add_nc_u32_e32 v65, v64, v65
	v_add_nc_u32_e32 v62, v65, v62
	s_delay_alu instid0(VALU_DEP_1) | instskip(NEXT) | instid1(VALU_DEP_1)
	v_add_nc_u32_e32 v63, v62, v63
	v_add_nc_u32_e32 v60, v63, v60
	s_delay_alu instid0(VALU_DEP_1)
	v_add_nc_u32_e32 v61, v60, v61
	ds_store_2addr_b32 v121, v63, v60 offset1:1
	ds_store_2addr_b32 v118, v203, v66 offset1:1
	;; [unrolled: 1-line block ×4, first 2 shown]
	ds_store_b32 v91, v61 offset:1088
	s_wait_dscnt 0x0
	s_barrier_signal -1
	s_barrier_wait -1
	ds_load_b32 v63, v143 offset:1056
	ds_load_b32 v65, v147 offset:1056
	;; [unrolled: 1-line block ×17, first 2 shown]
	v_mov_b32_e32 v62, 0x1000
	s_and_saveexec_b32 s15, s3
; %bb.176:                              ;   in Loop: Header=BB1862_101 Depth=2
	ds_load_b32 v62, v91 offset:1092
; %bb.177:                              ;   in Loop: Header=BB1862_101 Depth=2
	s_or_b32 exec_lo, exec_lo, s15
	s_wait_dscnt 0x0
	s_barrier_signal -1
	s_barrier_wait -1
	s_and_saveexec_b32 s15, s0
	s_cbranch_execz .LBB1862_179
; %bb.178:                              ;   in Loop: Header=BB1862_101 Depth=2
	ds_load_b32 v155, v3
	s_wait_dscnt 0x0
	v_sub_nc_u32_e32 v151, v155, v151
	ds_store_b32 v3, v151
.LBB1862_179:                           ;   in Loop: Header=BB1862_101 Depth=2
	s_or_b32 exec_lo, exec_lo, s15
	v_add3_u32 v159, v146, v145, v65
	v_add_nc_u32_e32 v163, v63, v142
	v_add3_u32 v155, v150, v149, v66
	v_add3_u32 v151, v154, v153, v67
	;; [unrolled: 1-line block ×4, first 2 shown]
	v_lshlrev_b32_e32 v60, 1, v159
	v_lshlrev_b32_e32 v153, 1, v163
	v_add3_u32 v150, v158, v157, v143
	v_add3_u32 v147, v166, v165, v203
	;; [unrolled: 1-line block ×4, first 2 shown]
	v_lshlrev_b32_e32 v61, 1, v155
	v_add3_u32 v145, v174, v173, v175
	v_lshlrev_b32_e32 v154, 1, v149
	ds_store_b16 v153, v140 offset:1024
	v_lshlrev_b32_e32 v140, 1, v151
	v_add3_u32 v143, v178, v177, v179
	v_lshlrev_b32_e32 v153, 1, v150
	v_add3_u32 v142, v182, v181, v183
	v_add3_u32 v63, v186, v185, v187
	ds_store_b16 v60, v141 offset:1024
	ds_store_b16 v61, v144 offset:1024
	;; [unrolled: 1-line block ×5, first 2 shown]
	v_dual_lshlrev_b32 v60, 1, v147 :: v_dual_lshlrev_b32 v140, 1, v145
	v_lshlrev_b32_e32 v61, 1, v146
	v_add3_u32 v65, v198, v197, v64
	v_dual_lshlrev_b32 v141, 1, v143 :: v_dual_lshlrev_b32 v144, 1, v142
	v_add3_u32 v64, v201, v200, v167
	ds_store_b16 v60, v160 offset:1024
	ds_store_b16 v61, v164 offset:1024
	;; [unrolled: 1-line block ×5, first 2 shown]
	v_dual_lshlrev_b32 v60, 1, v63 :: v_dual_lshlrev_b32 v140, 1, v66
	v_cmp_lt_u32_e32 vcc_lo, v2, v139
	v_dual_lshlrev_b32 v61, 1, v67 :: v_dual_lshlrev_b32 v141, 1, v65
	v_lshlrev_b32_e32 v144, 1, v64
	ds_store_b16 v60, v180 offset:1024
	ds_store_b16 v61, v184 offset:1024
	;; [unrolled: 1-line block ×5, first 2 shown]
	s_wait_dscnt 0x0
	s_barrier_signal -1
	s_barrier_wait -1
	s_and_saveexec_b32 s16, vcc_lo
	s_cbranch_execnz .LBB1862_248
; %bb.180:                              ;   in Loop: Header=BB1862_101 Depth=2
	s_or_b32 exec_lo, exec_lo, s16
	v_cmp_lt_u32_e64 s15, v68, v139
	s_and_saveexec_b32 s17, s15
	s_cbranch_execnz .LBB1862_249
.LBB1862_181:                           ;   in Loop: Header=BB1862_101 Depth=2
	s_or_b32 exec_lo, exec_lo, s17
	v_cmp_lt_u32_e64 s16, v69, v139
	s_and_saveexec_b32 s18, s16
	s_cbranch_execnz .LBB1862_250
.LBB1862_182:                           ;   in Loop: Header=BB1862_101 Depth=2
	s_or_b32 exec_lo, exec_lo, s18
	v_cmp_lt_u32_e64 s17, v70, v139
	s_and_saveexec_b32 s19, s17
	s_cbranch_execnz .LBB1862_251
.LBB1862_183:                           ;   in Loop: Header=BB1862_101 Depth=2
	s_or_b32 exec_lo, exec_lo, s19
	v_cmp_lt_u32_e64 s18, v71, v139
	s_and_saveexec_b32 s20, s18
	s_cbranch_execnz .LBB1862_252
.LBB1862_184:                           ;   in Loop: Header=BB1862_101 Depth=2
	s_or_b32 exec_lo, exec_lo, s20
	v_cmp_lt_u32_e64 s19, v72, v139
	s_and_saveexec_b32 s21, s19
	s_cbranch_execnz .LBB1862_253
.LBB1862_185:                           ;   in Loop: Header=BB1862_101 Depth=2
	s_or_b32 exec_lo, exec_lo, s21
	v_cmp_lt_u32_e64 s20, v73, v139
	s_and_saveexec_b32 s22, s20
	s_cbranch_execnz .LBB1862_254
.LBB1862_186:                           ;   in Loop: Header=BB1862_101 Depth=2
	s_or_b32 exec_lo, exec_lo, s22
	v_cmp_lt_u32_e64 s21, v74, v139
	s_and_saveexec_b32 s23, s21
	s_cbranch_execnz .LBB1862_255
.LBB1862_187:                           ;   in Loop: Header=BB1862_101 Depth=2
	s_or_b32 exec_lo, exec_lo, s23
	v_cmp_lt_u32_e64 s22, v75, v139
	s_and_saveexec_b32 s24, s22
	s_cbranch_execnz .LBB1862_256
.LBB1862_188:                           ;   in Loop: Header=BB1862_101 Depth=2
	s_or_b32 exec_lo, exec_lo, s24
	v_cmp_lt_u32_e64 s23, v76, v139
	s_and_saveexec_b32 s25, s23
	s_cbranch_execnz .LBB1862_257
.LBB1862_189:                           ;   in Loop: Header=BB1862_101 Depth=2
	s_or_b32 exec_lo, exec_lo, s25
	v_cmp_lt_u32_e64 s24, v77, v139
	s_and_saveexec_b32 s26, s24
	s_cbranch_execnz .LBB1862_258
.LBB1862_190:                           ;   in Loop: Header=BB1862_101 Depth=2
	s_or_b32 exec_lo, exec_lo, s26
	v_cmp_lt_u32_e64 s25, v78, v139
	s_and_saveexec_b32 s27, s25
	s_cbranch_execnz .LBB1862_259
.LBB1862_191:                           ;   in Loop: Header=BB1862_101 Depth=2
	s_or_b32 exec_lo, exec_lo, s27
	v_cmp_lt_u32_e64 s26, v79, v139
	s_and_saveexec_b32 s28, s26
	s_cbranch_execnz .LBB1862_260
.LBB1862_192:                           ;   in Loop: Header=BB1862_101 Depth=2
	s_or_b32 exec_lo, exec_lo, s28
	v_cmp_lt_u32_e64 s27, v80, v139
	s_and_saveexec_b32 s29, s27
	s_cbranch_execnz .LBB1862_261
.LBB1862_193:                           ;   in Loop: Header=BB1862_101 Depth=2
	s_or_b32 exec_lo, exec_lo, s29
	v_cmp_lt_u32_e64 s28, v81, v139
	s_and_saveexec_b32 s30, s28
	s_cbranch_execnz .LBB1862_262
.LBB1862_194:                           ;   in Loop: Header=BB1862_101 Depth=2
	s_or_b32 exec_lo, exec_lo, s30
	v_cmp_lt_u32_e64 s29, v82, v139
	s_and_saveexec_b32 s58, s29
	s_cbranch_execz .LBB1862_196
.LBB1862_195:                           ;   in Loop: Header=BB1862_101 Depth=2
	ds_load_u16 v60, v93 offset:8704
	s_wait_dscnt 0x0
	v_cmp_ne_u16_e64 s30, 0x7fff, v60
	s_delay_alu instid0(VALU_DEP_1) | instskip(SKIP_1) | instid1(VALU_DEP_2)
	v_cndmask_b32_e64 v61, 0xffff8000, v60, s30
	v_cmp_lt_i16_e64 s30, -1, v60
	v_and_b32_e32 v61, 0xffff, v61
	s_delay_alu instid0(VALU_DEP_2) | instskip(NEXT) | instid1(VALU_DEP_1)
	v_cndmask_b32_e64 v140, 0xffff8000, -1, s30
	v_dual_lshrrev_b32 v61, s48, v61 :: v_dual_bitop2_b32 v60, v140, v60 bitop3:0x14
	s_delay_alu instid0(VALU_DEP_1) | instskip(NEXT) | instid1(VALU_DEP_1)
	v_and_b32_e32 v61, s52, v61
	v_lshlrev_b32_e32 v61, 2, v61
	ds_load_b32 v61, v61
	s_wait_dscnt 0x0
	v_add_nc_u32_e32 v61, v61, v82
	global_store_b16 v61, v60, s[38:39] scale_offset
.LBB1862_196:                           ;   in Loop: Header=BB1862_101 Depth=2
	s_wait_xcnt 0x0
	s_or_b32 exec_lo, exec_lo, s58
	v_lshl_add_u64 v[60:61], s[42:43], 3, v[24:25]
	v_cmp_lt_u32_e64 s30, v100, v139
	s_and_saveexec_b32 s42, s30
	s_delay_alu instid0(SALU_CYCLE_1)
	s_xor_b32 s30, exec_lo, s42
	s_cbranch_execnz .LBB1862_263
; %bb.197:                              ;   in Loop: Header=BB1862_101 Depth=2
	s_or_b32 exec_lo, exec_lo, s30
	s_delay_alu instid0(SALU_CYCLE_1)
	s_mov_b32 s42, exec_lo
	v_cmpx_lt_u32_e64 v103, v139
	s_cbranch_execnz .LBB1862_264
.LBB1862_198:                           ;   in Loop: Header=BB1862_101 Depth=2
	s_or_b32 exec_lo, exec_lo, s42
	s_delay_alu instid0(SALU_CYCLE_1)
	s_mov_b32 s42, exec_lo
	v_cmpx_lt_u32_e64 v104, v139
	s_cbranch_execnz .LBB1862_265
.LBB1862_199:                           ;   in Loop: Header=BB1862_101 Depth=2
	s_or_b32 exec_lo, exec_lo, s42
	s_delay_alu instid0(SALU_CYCLE_1)
	s_mov_b32 s42, exec_lo
	v_cmpx_lt_u32_e64 v105, v139
	s_cbranch_execnz .LBB1862_266
.LBB1862_200:                           ;   in Loop: Header=BB1862_101 Depth=2
	s_or_b32 exec_lo, exec_lo, s42
	s_delay_alu instid0(SALU_CYCLE_1)
	s_mov_b32 s42, exec_lo
	v_cmpx_lt_u32_e64 v106, v139
	s_cbranch_execnz .LBB1862_267
.LBB1862_201:                           ;   in Loop: Header=BB1862_101 Depth=2
	s_or_b32 exec_lo, exec_lo, s42
	s_delay_alu instid0(SALU_CYCLE_1)
	s_mov_b32 s42, exec_lo
	v_cmpx_lt_u32_e64 v107, v139
	s_cbranch_execnz .LBB1862_268
.LBB1862_202:                           ;   in Loop: Header=BB1862_101 Depth=2
	s_or_b32 exec_lo, exec_lo, s42
	s_delay_alu instid0(SALU_CYCLE_1)
	s_mov_b32 s42, exec_lo
	v_cmpx_lt_u32_e64 v108, v139
	s_cbranch_execnz .LBB1862_269
.LBB1862_203:                           ;   in Loop: Header=BB1862_101 Depth=2
	s_or_b32 exec_lo, exec_lo, s42
	s_delay_alu instid0(SALU_CYCLE_1)
	s_mov_b32 s42, exec_lo
	v_cmpx_lt_u32_e64 v109, v139
	s_cbranch_execnz .LBB1862_270
.LBB1862_204:                           ;   in Loop: Header=BB1862_101 Depth=2
	s_or_b32 exec_lo, exec_lo, s42
	s_delay_alu instid0(SALU_CYCLE_1)
	s_mov_b32 s42, exec_lo
	v_cmpx_lt_u32_e64 v110, v139
	s_cbranch_execnz .LBB1862_271
.LBB1862_205:                           ;   in Loop: Header=BB1862_101 Depth=2
	s_or_b32 exec_lo, exec_lo, s42
	s_delay_alu instid0(SALU_CYCLE_1)
	s_mov_b32 s42, exec_lo
	v_cmpx_lt_u32_e64 v111, v139
	s_cbranch_execnz .LBB1862_272
.LBB1862_206:                           ;   in Loop: Header=BB1862_101 Depth=2
	s_or_b32 exec_lo, exec_lo, s42
	s_delay_alu instid0(SALU_CYCLE_1)
	s_mov_b32 s42, exec_lo
	v_cmpx_lt_u32_e64 v112, v139
	s_cbranch_execnz .LBB1862_273
.LBB1862_207:                           ;   in Loop: Header=BB1862_101 Depth=2
	s_or_b32 exec_lo, exec_lo, s42
	s_delay_alu instid0(SALU_CYCLE_1)
	s_mov_b32 s42, exec_lo
	v_cmpx_lt_u32_e64 v113, v139
	s_cbranch_execnz .LBB1862_274
.LBB1862_208:                           ;   in Loop: Header=BB1862_101 Depth=2
	s_or_b32 exec_lo, exec_lo, s42
	s_delay_alu instid0(SALU_CYCLE_1)
	s_mov_b32 s42, exec_lo
	v_cmpx_lt_u32_e64 v114, v139
	s_cbranch_execnz .LBB1862_275
.LBB1862_209:                           ;   in Loop: Header=BB1862_101 Depth=2
	s_or_b32 exec_lo, exec_lo, s42
	s_delay_alu instid0(SALU_CYCLE_1)
	s_mov_b32 s42, exec_lo
	v_cmpx_lt_u32_e64 v115, v139
	s_cbranch_execnz .LBB1862_276
.LBB1862_210:                           ;   in Loop: Header=BB1862_101 Depth=2
	s_or_b32 exec_lo, exec_lo, s42
	s_delay_alu instid0(SALU_CYCLE_1)
	s_mov_b32 s42, exec_lo
	v_cmpx_lt_u32_e64 v116, v139
	s_cbranch_execnz .LBB1862_277
.LBB1862_211:                           ;   in Loop: Header=BB1862_101 Depth=2
	s_or_b32 exec_lo, exec_lo, s42
	s_delay_alu instid0(SALU_CYCLE_1)
	s_mov_b32 s42, exec_lo
	v_cmpx_lt_u32_e64 v117, v139
	s_cbranch_execnz .LBB1862_278
.LBB1862_212:                           ;   in Loop: Header=BB1862_101 Depth=2
	s_or_b32 exec_lo, exec_lo, s42
	s_and_saveexec_b32 s42, vcc_lo
	s_cbranch_execnz .LBB1862_279
.LBB1862_213:                           ;   in Loop: Header=BB1862_101 Depth=2
	s_or_b32 exec_lo, exec_lo, s42
	s_and_saveexec_b32 s42, s15
	s_cbranch_execnz .LBB1862_280
.LBB1862_214:                           ;   in Loop: Header=BB1862_101 Depth=2
	s_or_b32 exec_lo, exec_lo, s42
	s_and_saveexec_b32 s42, s16
	s_cbranch_execnz .LBB1862_281
.LBB1862_215:                           ;   in Loop: Header=BB1862_101 Depth=2
	s_or_b32 exec_lo, exec_lo, s42
	s_and_saveexec_b32 s42, s17
	s_cbranch_execnz .LBB1862_282
.LBB1862_216:                           ;   in Loop: Header=BB1862_101 Depth=2
	s_or_b32 exec_lo, exec_lo, s42
	s_and_saveexec_b32 s42, s18
	s_cbranch_execnz .LBB1862_283
.LBB1862_217:                           ;   in Loop: Header=BB1862_101 Depth=2
	s_or_b32 exec_lo, exec_lo, s42
	s_and_saveexec_b32 s42, s19
	s_cbranch_execnz .LBB1862_284
.LBB1862_218:                           ;   in Loop: Header=BB1862_101 Depth=2
	s_or_b32 exec_lo, exec_lo, s42
	s_and_saveexec_b32 s42, s20
	s_cbranch_execnz .LBB1862_285
.LBB1862_219:                           ;   in Loop: Header=BB1862_101 Depth=2
	s_or_b32 exec_lo, exec_lo, s42
	s_and_saveexec_b32 s42, s21
	s_cbranch_execnz .LBB1862_286
.LBB1862_220:                           ;   in Loop: Header=BB1862_101 Depth=2
	s_or_b32 exec_lo, exec_lo, s42
	s_and_saveexec_b32 s42, s22
	s_cbranch_execnz .LBB1862_287
.LBB1862_221:                           ;   in Loop: Header=BB1862_101 Depth=2
	s_or_b32 exec_lo, exec_lo, s42
	s_and_saveexec_b32 s42, s23
	s_cbranch_execnz .LBB1862_288
.LBB1862_222:                           ;   in Loop: Header=BB1862_101 Depth=2
	s_or_b32 exec_lo, exec_lo, s42
	s_and_saveexec_b32 s42, s24
	s_cbranch_execnz .LBB1862_289
.LBB1862_223:                           ;   in Loop: Header=BB1862_101 Depth=2
	s_or_b32 exec_lo, exec_lo, s42
	s_and_saveexec_b32 s42, s25
	s_cbranch_execnz .LBB1862_290
.LBB1862_224:                           ;   in Loop: Header=BB1862_101 Depth=2
	s_or_b32 exec_lo, exec_lo, s42
	s_and_saveexec_b32 s42, s26
	s_cbranch_execnz .LBB1862_291
.LBB1862_225:                           ;   in Loop: Header=BB1862_101 Depth=2
	s_or_b32 exec_lo, exec_lo, s42
	s_and_saveexec_b32 s42, s27
	s_cbranch_execnz .LBB1862_292
.LBB1862_226:                           ;   in Loop: Header=BB1862_101 Depth=2
	s_or_b32 exec_lo, exec_lo, s42
	s_and_saveexec_b32 s42, s28
	s_cbranch_execnz .LBB1862_293
.LBB1862_227:                           ;   in Loop: Header=BB1862_101 Depth=2
	s_or_b32 exec_lo, exec_lo, s42
	s_and_saveexec_b32 s42, s29
	s_cbranch_execz .LBB1862_229
.LBB1862_228:                           ;   in Loop: Header=BB1862_101 Depth=2
	ds_load_u16 v60, v93 offset:8704
	s_wait_dscnt 0x0
	v_cmp_ne_u16_e64 s30, 0x7fff, v60
	s_delay_alu instid0(VALU_DEP_1) | instskip(NEXT) | instid1(VALU_DEP_1)
	v_cndmask_b32_e64 v60, 0xffff8000, v60, s30
	v_and_b32_e32 v60, 0xffff, v60
	s_delay_alu instid0(VALU_DEP_1) | instskip(NEXT) | instid1(VALU_DEP_1)
	v_lshrrev_b32_e32 v60, s48, v60
	v_and_b32_e32 v123, s52, v60
.LBB1862_229:                           ;   in Loop: Header=BB1862_101 Depth=2
	s_or_b32 exec_lo, exec_lo, s42
	v_dual_lshlrev_b32 v60, 3, v163 :: v_dual_lshlrev_b32 v140, 3, v150
	s_wait_loadcnt 0x0
	s_wait_storecnt 0x0
	s_barrier_signal -1
	s_barrier_wait -1
	ds_store_b64 v60, v[58:59] offset:1024
	v_dual_lshlrev_b32 v60, 3, v159 :: v_dual_lshlrev_b32 v141, 3, v149
	v_lshlrev_b32_e32 v61, 3, v155
	v_lshlrev_b32_e32 v139, 3, v151
	ds_store_b64 v60, v[56:57] offset:1024
	ds_store_b64 v61, v[54:55] offset:1024
	;; [unrolled: 1-line block ×5, first 2 shown]
	v_dual_lshlrev_b32 v60, 3, v147 :: v_dual_lshlrev_b32 v141, 3, v142
	v_dual_lshlrev_b32 v61, 3, v146 :: v_dual_lshlrev_b32 v139, 3, v145
	v_lshlrev_b32_e32 v140, 3, v143
	ds_store_b64 v60, v[46:47] offset:1024
	ds_store_b64 v61, v[44:45] offset:1024
	;; [unrolled: 1-line block ×5, first 2 shown]
	v_dual_lshlrev_b32 v60, 3, v63 :: v_dual_lshlrev_b32 v65, 3, v65
	v_dual_lshlrev_b32 v61, 3, v67 :: v_dual_lshlrev_b32 v64, 3, v64
	v_lshlrev_b32_e32 v63, 3, v66
	ds_store_b64 v60, v[36:37] offset:1024
	ds_store_b64 v61, v[34:35] offset:1024
	;; [unrolled: 1-line block ×5, first 2 shown]
	s_wait_dscnt 0x0
	s_barrier_signal -1
	s_barrier_wait -1
	s_and_saveexec_b32 s30, vcc_lo
	s_cbranch_execnz .LBB1862_294
; %bb.230:                              ;   in Loop: Header=BB1862_101 Depth=2
	s_or_b32 exec_lo, exec_lo, s30
	s_and_saveexec_b32 s30, s15
	s_cbranch_execnz .LBB1862_295
.LBB1862_231:                           ;   in Loop: Header=BB1862_101 Depth=2
	s_or_b32 exec_lo, exec_lo, s30
	s_and_saveexec_b32 s15, s16
	s_cbranch_execnz .LBB1862_296
.LBB1862_232:                           ;   in Loop: Header=BB1862_101 Depth=2
	s_or_b32 exec_lo, exec_lo, s15
	s_and_saveexec_b32 s15, s17
	s_cbranch_execnz .LBB1862_297
.LBB1862_233:                           ;   in Loop: Header=BB1862_101 Depth=2
	s_or_b32 exec_lo, exec_lo, s15
	s_and_saveexec_b32 s15, s18
	s_cbranch_execnz .LBB1862_298
.LBB1862_234:                           ;   in Loop: Header=BB1862_101 Depth=2
	s_or_b32 exec_lo, exec_lo, s15
	s_and_saveexec_b32 s15, s19
	s_cbranch_execnz .LBB1862_299
.LBB1862_235:                           ;   in Loop: Header=BB1862_101 Depth=2
	s_or_b32 exec_lo, exec_lo, s15
	s_and_saveexec_b32 s15, s20
	s_cbranch_execnz .LBB1862_300
.LBB1862_236:                           ;   in Loop: Header=BB1862_101 Depth=2
	s_or_b32 exec_lo, exec_lo, s15
	s_and_saveexec_b32 s15, s21
	s_cbranch_execnz .LBB1862_301
.LBB1862_237:                           ;   in Loop: Header=BB1862_101 Depth=2
	s_or_b32 exec_lo, exec_lo, s15
	s_and_saveexec_b32 s15, s22
	s_cbranch_execnz .LBB1862_302
.LBB1862_238:                           ;   in Loop: Header=BB1862_101 Depth=2
	s_or_b32 exec_lo, exec_lo, s15
	s_and_saveexec_b32 s15, s23
	s_cbranch_execnz .LBB1862_303
.LBB1862_239:                           ;   in Loop: Header=BB1862_101 Depth=2
	s_or_b32 exec_lo, exec_lo, s15
	s_and_saveexec_b32 s15, s24
	s_cbranch_execnz .LBB1862_304
.LBB1862_240:                           ;   in Loop: Header=BB1862_101 Depth=2
	s_or_b32 exec_lo, exec_lo, s15
	s_and_saveexec_b32 s15, s25
	s_cbranch_execnz .LBB1862_305
.LBB1862_241:                           ;   in Loop: Header=BB1862_101 Depth=2
	s_or_b32 exec_lo, exec_lo, s15
	s_and_saveexec_b32 s15, s26
	s_cbranch_execnz .LBB1862_306
.LBB1862_242:                           ;   in Loop: Header=BB1862_101 Depth=2
	s_or_b32 exec_lo, exec_lo, s15
	s_and_saveexec_b32 s15, s27
	s_cbranch_execnz .LBB1862_307
.LBB1862_243:                           ;   in Loop: Header=BB1862_101 Depth=2
	s_or_b32 exec_lo, exec_lo, s15
	s_and_saveexec_b32 s15, s28
	s_cbranch_execnz .LBB1862_308
.LBB1862_244:                           ;   in Loop: Header=BB1862_101 Depth=2
	s_or_b32 exec_lo, exec_lo, s15
	s_and_saveexec_b32 s15, s29
	s_cbranch_execz .LBB1862_246
.LBB1862_245:                           ;   in Loop: Header=BB1862_101 Depth=2
	v_dual_lshlrev_b32 v60, 2, v123 :: v_dual_add_nc_u32 v61, v93, v94
	ds_load_b32 v63, v60
	ds_load_b64 v[60:61], v61 offset:31744
	s_wait_dscnt 0x1
	v_add_nc_u32_e32 v63, v63, v82
	s_wait_dscnt 0x0
	global_store_b64 v63, v[60:61], s[44:45] scale_offset
.LBB1862_246:                           ;   in Loop: Header=BB1862_101 Depth=2
	s_wait_xcnt 0x0
	s_or_b32 exec_lo, exec_lo, s15
	s_wait_storecnt 0x0
	s_barrier_signal -1
	s_barrier_wait -1
	s_and_saveexec_b32 s15, s0
	s_cbranch_execz .LBB1862_100
; %bb.247:                              ;   in Loop: Header=BB1862_101 Depth=2
	ds_load_b32 v60, v3
	s_wait_dscnt 0x0
	v_add_nc_u32_e32 v60, v60, v62
	ds_store_b32 v3, v60
	s_branch .LBB1862_100
.LBB1862_248:                           ;   in Loop: Header=BB1862_101 Depth=2
	ds_load_u16 v60, v93 offset:1024
	s_wait_dscnt 0x0
	v_cmp_ne_u16_e64 s15, 0x7fff, v60
	s_delay_alu instid0(VALU_DEP_1) | instskip(SKIP_1) | instid1(VALU_DEP_2)
	v_cndmask_b32_e64 v61, 0xffff8000, v60, s15
	v_cmp_lt_i16_e64 s15, -1, v60
	v_and_b32_e32 v61, 0xffff, v61
	s_delay_alu instid0(VALU_DEP_2) | instskip(NEXT) | instid1(VALU_DEP_1)
	v_cndmask_b32_e64 v140, 0xffff8000, -1, s15
	v_dual_lshrrev_b32 v61, s48, v61 :: v_dual_bitop2_b32 v60, v140, v60 bitop3:0x14
	s_delay_alu instid0(VALU_DEP_1) | instskip(NEXT) | instid1(VALU_DEP_1)
	v_and_b32_e32 v61, s52, v61
	v_lshlrev_b32_e32 v61, 2, v61
	ds_load_b32 v61, v61
	s_wait_dscnt 0x0
	v_add_nc_u32_e32 v61, v61, v2
	global_store_b16 v61, v60, s[38:39] scale_offset
	s_wait_xcnt 0x0
	s_or_b32 exec_lo, exec_lo, s16
	v_cmp_lt_u32_e64 s15, v68, v139
	s_and_saveexec_b32 s17, s15
	s_cbranch_execz .LBB1862_181
.LBB1862_249:                           ;   in Loop: Header=BB1862_101 Depth=2
	ds_load_u16 v60, v93 offset:1536
	s_wait_dscnt 0x0
	v_cmp_ne_u16_e64 s16, 0x7fff, v60
	s_delay_alu instid0(VALU_DEP_1) | instskip(SKIP_1) | instid1(VALU_DEP_2)
	v_cndmask_b32_e64 v61, 0xffff8000, v60, s16
	v_cmp_lt_i16_e64 s16, -1, v60
	v_and_b32_e32 v61, 0xffff, v61
	s_delay_alu instid0(VALU_DEP_2) | instskip(NEXT) | instid1(VALU_DEP_1)
	v_cndmask_b32_e64 v140, 0xffff8000, -1, s16
	v_dual_lshrrev_b32 v61, s48, v61 :: v_dual_bitop2_b32 v60, v140, v60 bitop3:0x14
	s_delay_alu instid0(VALU_DEP_1) | instskip(NEXT) | instid1(VALU_DEP_1)
	v_and_b32_e32 v61, s52, v61
	v_lshlrev_b32_e32 v61, 2, v61
	ds_load_b32 v61, v61
	s_wait_dscnt 0x0
	v_add_nc_u32_e32 v61, v61, v68
	global_store_b16 v61, v60, s[38:39] scale_offset
	s_wait_xcnt 0x0
	s_or_b32 exec_lo, exec_lo, s17
	v_cmp_lt_u32_e64 s16, v69, v139
	s_and_saveexec_b32 s18, s16
	s_cbranch_execz .LBB1862_182
.LBB1862_250:                           ;   in Loop: Header=BB1862_101 Depth=2
	ds_load_u16 v60, v93 offset:2048
	s_wait_dscnt 0x0
	v_cmp_ne_u16_e64 s17, 0x7fff, v60
	s_delay_alu instid0(VALU_DEP_1) | instskip(SKIP_1) | instid1(VALU_DEP_2)
	v_cndmask_b32_e64 v61, 0xffff8000, v60, s17
	v_cmp_lt_i16_e64 s17, -1, v60
	v_and_b32_e32 v61, 0xffff, v61
	s_delay_alu instid0(VALU_DEP_2) | instskip(NEXT) | instid1(VALU_DEP_1)
	v_cndmask_b32_e64 v140, 0xffff8000, -1, s17
	v_dual_lshrrev_b32 v61, s48, v61 :: v_dual_bitop2_b32 v60, v140, v60 bitop3:0x14
	s_delay_alu instid0(VALU_DEP_1) | instskip(NEXT) | instid1(VALU_DEP_1)
	v_and_b32_e32 v61, s52, v61
	v_lshlrev_b32_e32 v61, 2, v61
	ds_load_b32 v61, v61
	s_wait_dscnt 0x0
	v_add_nc_u32_e32 v61, v61, v69
	global_store_b16 v61, v60, s[38:39] scale_offset
	s_wait_xcnt 0x0
	s_or_b32 exec_lo, exec_lo, s18
	v_cmp_lt_u32_e64 s17, v70, v139
	s_and_saveexec_b32 s19, s17
	s_cbranch_execz .LBB1862_183
.LBB1862_251:                           ;   in Loop: Header=BB1862_101 Depth=2
	ds_load_u16 v60, v93 offset:2560
	s_wait_dscnt 0x0
	v_cmp_ne_u16_e64 s18, 0x7fff, v60
	s_delay_alu instid0(VALU_DEP_1) | instskip(SKIP_1) | instid1(VALU_DEP_2)
	v_cndmask_b32_e64 v61, 0xffff8000, v60, s18
	v_cmp_lt_i16_e64 s18, -1, v60
	v_and_b32_e32 v61, 0xffff, v61
	s_delay_alu instid0(VALU_DEP_2) | instskip(NEXT) | instid1(VALU_DEP_1)
	v_cndmask_b32_e64 v140, 0xffff8000, -1, s18
	v_dual_lshrrev_b32 v61, s48, v61 :: v_dual_bitop2_b32 v60, v140, v60 bitop3:0x14
	s_delay_alu instid0(VALU_DEP_1) | instskip(NEXT) | instid1(VALU_DEP_1)
	v_and_b32_e32 v61, s52, v61
	v_lshlrev_b32_e32 v61, 2, v61
	ds_load_b32 v61, v61
	s_wait_dscnt 0x0
	v_add_nc_u32_e32 v61, v61, v70
	global_store_b16 v61, v60, s[38:39] scale_offset
	s_wait_xcnt 0x0
	s_or_b32 exec_lo, exec_lo, s19
	v_cmp_lt_u32_e64 s18, v71, v139
	s_and_saveexec_b32 s20, s18
	s_cbranch_execz .LBB1862_184
.LBB1862_252:                           ;   in Loop: Header=BB1862_101 Depth=2
	ds_load_u16 v60, v93 offset:3072
	s_wait_dscnt 0x0
	v_cmp_ne_u16_e64 s19, 0x7fff, v60
	s_delay_alu instid0(VALU_DEP_1) | instskip(SKIP_1) | instid1(VALU_DEP_2)
	v_cndmask_b32_e64 v61, 0xffff8000, v60, s19
	v_cmp_lt_i16_e64 s19, -1, v60
	v_and_b32_e32 v61, 0xffff, v61
	s_delay_alu instid0(VALU_DEP_2) | instskip(NEXT) | instid1(VALU_DEP_1)
	v_cndmask_b32_e64 v140, 0xffff8000, -1, s19
	v_dual_lshrrev_b32 v61, s48, v61 :: v_dual_bitop2_b32 v60, v140, v60 bitop3:0x14
	s_delay_alu instid0(VALU_DEP_1) | instskip(NEXT) | instid1(VALU_DEP_1)
	v_and_b32_e32 v61, s52, v61
	v_lshlrev_b32_e32 v61, 2, v61
	ds_load_b32 v61, v61
	s_wait_dscnt 0x0
	v_add_nc_u32_e32 v61, v61, v71
	global_store_b16 v61, v60, s[38:39] scale_offset
	s_wait_xcnt 0x0
	s_or_b32 exec_lo, exec_lo, s20
	v_cmp_lt_u32_e64 s19, v72, v139
	s_and_saveexec_b32 s21, s19
	s_cbranch_execz .LBB1862_185
.LBB1862_253:                           ;   in Loop: Header=BB1862_101 Depth=2
	ds_load_u16 v60, v93 offset:3584
	s_wait_dscnt 0x0
	v_cmp_ne_u16_e64 s20, 0x7fff, v60
	s_delay_alu instid0(VALU_DEP_1) | instskip(SKIP_1) | instid1(VALU_DEP_2)
	v_cndmask_b32_e64 v61, 0xffff8000, v60, s20
	v_cmp_lt_i16_e64 s20, -1, v60
	v_and_b32_e32 v61, 0xffff, v61
	s_delay_alu instid0(VALU_DEP_2) | instskip(NEXT) | instid1(VALU_DEP_1)
	v_cndmask_b32_e64 v140, 0xffff8000, -1, s20
	v_dual_lshrrev_b32 v61, s48, v61 :: v_dual_bitop2_b32 v60, v140, v60 bitop3:0x14
	s_delay_alu instid0(VALU_DEP_1) | instskip(NEXT) | instid1(VALU_DEP_1)
	v_and_b32_e32 v61, s52, v61
	v_lshlrev_b32_e32 v61, 2, v61
	ds_load_b32 v61, v61
	s_wait_dscnt 0x0
	v_add_nc_u32_e32 v61, v61, v72
	global_store_b16 v61, v60, s[38:39] scale_offset
	s_wait_xcnt 0x0
	s_or_b32 exec_lo, exec_lo, s21
	v_cmp_lt_u32_e64 s20, v73, v139
	s_and_saveexec_b32 s22, s20
	s_cbranch_execz .LBB1862_186
.LBB1862_254:                           ;   in Loop: Header=BB1862_101 Depth=2
	ds_load_u16 v60, v93 offset:4096
	s_wait_dscnt 0x0
	v_cmp_ne_u16_e64 s21, 0x7fff, v60
	s_delay_alu instid0(VALU_DEP_1) | instskip(SKIP_1) | instid1(VALU_DEP_2)
	v_cndmask_b32_e64 v61, 0xffff8000, v60, s21
	v_cmp_lt_i16_e64 s21, -1, v60
	v_and_b32_e32 v61, 0xffff, v61
	s_delay_alu instid0(VALU_DEP_2) | instskip(NEXT) | instid1(VALU_DEP_1)
	v_cndmask_b32_e64 v140, 0xffff8000, -1, s21
	v_dual_lshrrev_b32 v61, s48, v61 :: v_dual_bitop2_b32 v60, v140, v60 bitop3:0x14
	s_delay_alu instid0(VALU_DEP_1) | instskip(NEXT) | instid1(VALU_DEP_1)
	v_and_b32_e32 v61, s52, v61
	v_lshlrev_b32_e32 v61, 2, v61
	ds_load_b32 v61, v61
	s_wait_dscnt 0x0
	v_add_nc_u32_e32 v61, v61, v73
	global_store_b16 v61, v60, s[38:39] scale_offset
	s_wait_xcnt 0x0
	s_or_b32 exec_lo, exec_lo, s22
	v_cmp_lt_u32_e64 s21, v74, v139
	s_and_saveexec_b32 s23, s21
	s_cbranch_execz .LBB1862_187
.LBB1862_255:                           ;   in Loop: Header=BB1862_101 Depth=2
	ds_load_u16 v60, v93 offset:4608
	s_wait_dscnt 0x0
	v_cmp_ne_u16_e64 s22, 0x7fff, v60
	s_delay_alu instid0(VALU_DEP_1) | instskip(SKIP_1) | instid1(VALU_DEP_2)
	v_cndmask_b32_e64 v61, 0xffff8000, v60, s22
	v_cmp_lt_i16_e64 s22, -1, v60
	v_and_b32_e32 v61, 0xffff, v61
	s_delay_alu instid0(VALU_DEP_2) | instskip(NEXT) | instid1(VALU_DEP_1)
	v_cndmask_b32_e64 v140, 0xffff8000, -1, s22
	v_dual_lshrrev_b32 v61, s48, v61 :: v_dual_bitop2_b32 v60, v140, v60 bitop3:0x14
	s_delay_alu instid0(VALU_DEP_1) | instskip(NEXT) | instid1(VALU_DEP_1)
	v_and_b32_e32 v61, s52, v61
	v_lshlrev_b32_e32 v61, 2, v61
	ds_load_b32 v61, v61
	s_wait_dscnt 0x0
	v_add_nc_u32_e32 v61, v61, v74
	global_store_b16 v61, v60, s[38:39] scale_offset
	s_wait_xcnt 0x0
	s_or_b32 exec_lo, exec_lo, s23
	v_cmp_lt_u32_e64 s22, v75, v139
	s_and_saveexec_b32 s24, s22
	s_cbranch_execz .LBB1862_188
.LBB1862_256:                           ;   in Loop: Header=BB1862_101 Depth=2
	ds_load_u16 v60, v93 offset:5120
	s_wait_dscnt 0x0
	v_cmp_ne_u16_e64 s23, 0x7fff, v60
	s_delay_alu instid0(VALU_DEP_1) | instskip(SKIP_1) | instid1(VALU_DEP_2)
	v_cndmask_b32_e64 v61, 0xffff8000, v60, s23
	v_cmp_lt_i16_e64 s23, -1, v60
	v_and_b32_e32 v61, 0xffff, v61
	s_delay_alu instid0(VALU_DEP_2) | instskip(NEXT) | instid1(VALU_DEP_1)
	v_cndmask_b32_e64 v140, 0xffff8000, -1, s23
	v_dual_lshrrev_b32 v61, s48, v61 :: v_dual_bitop2_b32 v60, v140, v60 bitop3:0x14
	s_delay_alu instid0(VALU_DEP_1) | instskip(NEXT) | instid1(VALU_DEP_1)
	v_and_b32_e32 v61, s52, v61
	v_lshlrev_b32_e32 v61, 2, v61
	ds_load_b32 v61, v61
	s_wait_dscnt 0x0
	v_add_nc_u32_e32 v61, v61, v75
	global_store_b16 v61, v60, s[38:39] scale_offset
	s_wait_xcnt 0x0
	s_or_b32 exec_lo, exec_lo, s24
	v_cmp_lt_u32_e64 s23, v76, v139
	s_and_saveexec_b32 s25, s23
	s_cbranch_execz .LBB1862_189
.LBB1862_257:                           ;   in Loop: Header=BB1862_101 Depth=2
	ds_load_u16 v60, v93 offset:5632
	s_wait_dscnt 0x0
	v_cmp_ne_u16_e64 s24, 0x7fff, v60
	s_delay_alu instid0(VALU_DEP_1) | instskip(SKIP_1) | instid1(VALU_DEP_2)
	v_cndmask_b32_e64 v61, 0xffff8000, v60, s24
	v_cmp_lt_i16_e64 s24, -1, v60
	v_and_b32_e32 v61, 0xffff, v61
	s_delay_alu instid0(VALU_DEP_2) | instskip(NEXT) | instid1(VALU_DEP_1)
	v_cndmask_b32_e64 v140, 0xffff8000, -1, s24
	v_dual_lshrrev_b32 v61, s48, v61 :: v_dual_bitop2_b32 v60, v140, v60 bitop3:0x14
	s_delay_alu instid0(VALU_DEP_1) | instskip(NEXT) | instid1(VALU_DEP_1)
	v_and_b32_e32 v61, s52, v61
	v_lshlrev_b32_e32 v61, 2, v61
	ds_load_b32 v61, v61
	s_wait_dscnt 0x0
	v_add_nc_u32_e32 v61, v61, v76
	global_store_b16 v61, v60, s[38:39] scale_offset
	s_wait_xcnt 0x0
	s_or_b32 exec_lo, exec_lo, s25
	v_cmp_lt_u32_e64 s24, v77, v139
	s_and_saveexec_b32 s26, s24
	s_cbranch_execz .LBB1862_190
.LBB1862_258:                           ;   in Loop: Header=BB1862_101 Depth=2
	ds_load_u16 v60, v93 offset:6144
	s_wait_dscnt 0x0
	v_cmp_ne_u16_e64 s25, 0x7fff, v60
	s_delay_alu instid0(VALU_DEP_1) | instskip(SKIP_1) | instid1(VALU_DEP_2)
	v_cndmask_b32_e64 v61, 0xffff8000, v60, s25
	v_cmp_lt_i16_e64 s25, -1, v60
	v_and_b32_e32 v61, 0xffff, v61
	s_delay_alu instid0(VALU_DEP_2) | instskip(NEXT) | instid1(VALU_DEP_1)
	v_cndmask_b32_e64 v140, 0xffff8000, -1, s25
	v_dual_lshrrev_b32 v61, s48, v61 :: v_dual_bitop2_b32 v60, v140, v60 bitop3:0x14
	s_delay_alu instid0(VALU_DEP_1) | instskip(NEXT) | instid1(VALU_DEP_1)
	v_and_b32_e32 v61, s52, v61
	v_lshlrev_b32_e32 v61, 2, v61
	ds_load_b32 v61, v61
	s_wait_dscnt 0x0
	v_add_nc_u32_e32 v61, v61, v77
	global_store_b16 v61, v60, s[38:39] scale_offset
	s_wait_xcnt 0x0
	s_or_b32 exec_lo, exec_lo, s26
	v_cmp_lt_u32_e64 s25, v78, v139
	s_and_saveexec_b32 s27, s25
	s_cbranch_execz .LBB1862_191
.LBB1862_259:                           ;   in Loop: Header=BB1862_101 Depth=2
	ds_load_u16 v60, v93 offset:6656
	s_wait_dscnt 0x0
	v_cmp_ne_u16_e64 s26, 0x7fff, v60
	s_delay_alu instid0(VALU_DEP_1) | instskip(SKIP_1) | instid1(VALU_DEP_2)
	v_cndmask_b32_e64 v61, 0xffff8000, v60, s26
	v_cmp_lt_i16_e64 s26, -1, v60
	v_and_b32_e32 v61, 0xffff, v61
	s_delay_alu instid0(VALU_DEP_2) | instskip(NEXT) | instid1(VALU_DEP_1)
	v_cndmask_b32_e64 v140, 0xffff8000, -1, s26
	v_dual_lshrrev_b32 v61, s48, v61 :: v_dual_bitop2_b32 v60, v140, v60 bitop3:0x14
	s_delay_alu instid0(VALU_DEP_1) | instskip(NEXT) | instid1(VALU_DEP_1)
	v_and_b32_e32 v61, s52, v61
	v_lshlrev_b32_e32 v61, 2, v61
	ds_load_b32 v61, v61
	s_wait_dscnt 0x0
	v_add_nc_u32_e32 v61, v61, v78
	global_store_b16 v61, v60, s[38:39] scale_offset
	s_wait_xcnt 0x0
	s_or_b32 exec_lo, exec_lo, s27
	v_cmp_lt_u32_e64 s26, v79, v139
	s_and_saveexec_b32 s28, s26
	s_cbranch_execz .LBB1862_192
.LBB1862_260:                           ;   in Loop: Header=BB1862_101 Depth=2
	ds_load_u16 v60, v93 offset:7168
	s_wait_dscnt 0x0
	v_cmp_ne_u16_e64 s27, 0x7fff, v60
	s_delay_alu instid0(VALU_DEP_1) | instskip(SKIP_1) | instid1(VALU_DEP_2)
	v_cndmask_b32_e64 v61, 0xffff8000, v60, s27
	v_cmp_lt_i16_e64 s27, -1, v60
	v_and_b32_e32 v61, 0xffff, v61
	s_delay_alu instid0(VALU_DEP_2) | instskip(NEXT) | instid1(VALU_DEP_1)
	v_cndmask_b32_e64 v140, 0xffff8000, -1, s27
	v_dual_lshrrev_b32 v61, s48, v61 :: v_dual_bitop2_b32 v60, v140, v60 bitop3:0x14
	s_delay_alu instid0(VALU_DEP_1) | instskip(NEXT) | instid1(VALU_DEP_1)
	v_and_b32_e32 v61, s52, v61
	v_lshlrev_b32_e32 v61, 2, v61
	ds_load_b32 v61, v61
	s_wait_dscnt 0x0
	v_add_nc_u32_e32 v61, v61, v79
	global_store_b16 v61, v60, s[38:39] scale_offset
	s_wait_xcnt 0x0
	s_or_b32 exec_lo, exec_lo, s28
	v_cmp_lt_u32_e64 s27, v80, v139
	s_and_saveexec_b32 s29, s27
	s_cbranch_execz .LBB1862_193
.LBB1862_261:                           ;   in Loop: Header=BB1862_101 Depth=2
	ds_load_u16 v60, v93 offset:7680
	s_wait_dscnt 0x0
	v_cmp_ne_u16_e64 s28, 0x7fff, v60
	s_delay_alu instid0(VALU_DEP_1) | instskip(SKIP_1) | instid1(VALU_DEP_2)
	v_cndmask_b32_e64 v61, 0xffff8000, v60, s28
	v_cmp_lt_i16_e64 s28, -1, v60
	v_and_b32_e32 v61, 0xffff, v61
	s_delay_alu instid0(VALU_DEP_2) | instskip(NEXT) | instid1(VALU_DEP_1)
	v_cndmask_b32_e64 v140, 0xffff8000, -1, s28
	v_dual_lshrrev_b32 v61, s48, v61 :: v_dual_bitop2_b32 v60, v140, v60 bitop3:0x14
	s_delay_alu instid0(VALU_DEP_1) | instskip(NEXT) | instid1(VALU_DEP_1)
	v_and_b32_e32 v61, s52, v61
	v_lshlrev_b32_e32 v61, 2, v61
	ds_load_b32 v61, v61
	s_wait_dscnt 0x0
	v_add_nc_u32_e32 v61, v61, v80
	global_store_b16 v61, v60, s[38:39] scale_offset
	s_wait_xcnt 0x0
	s_or_b32 exec_lo, exec_lo, s29
	v_cmp_lt_u32_e64 s28, v81, v139
	s_and_saveexec_b32 s30, s28
	s_cbranch_execz .LBB1862_194
.LBB1862_262:                           ;   in Loop: Header=BB1862_101 Depth=2
	ds_load_u16 v60, v93 offset:8192
	s_wait_dscnt 0x0
	v_cmp_ne_u16_e64 s29, 0x7fff, v60
	s_delay_alu instid0(VALU_DEP_1) | instskip(SKIP_1) | instid1(VALU_DEP_2)
	v_cndmask_b32_e64 v61, 0xffff8000, v60, s29
	v_cmp_lt_i16_e64 s29, -1, v60
	v_and_b32_e32 v61, 0xffff, v61
	s_delay_alu instid0(VALU_DEP_2) | instskip(NEXT) | instid1(VALU_DEP_1)
	v_cndmask_b32_e64 v140, 0xffff8000, -1, s29
	v_dual_lshrrev_b32 v61, s48, v61 :: v_dual_bitop2_b32 v60, v140, v60 bitop3:0x14
	s_delay_alu instid0(VALU_DEP_1) | instskip(NEXT) | instid1(VALU_DEP_1)
	v_and_b32_e32 v61, s52, v61
	v_lshlrev_b32_e32 v61, 2, v61
	ds_load_b32 v61, v61
	s_wait_dscnt 0x0
	v_add_nc_u32_e32 v61, v61, v81
	global_store_b16 v61, v60, s[38:39] scale_offset
	s_wait_xcnt 0x0
	s_or_b32 exec_lo, exec_lo, s30
	v_cmp_lt_u32_e64 s29, v82, v139
	s_and_saveexec_b32 s58, s29
	s_cbranch_execnz .LBB1862_195
	s_branch .LBB1862_196
.LBB1862_263:                           ;   in Loop: Header=BB1862_101 Depth=2
	global_load_b64 v[58:59], v[60:61], off
	s_wait_xcnt 0x0
	s_or_b32 exec_lo, exec_lo, s30
	s_delay_alu instid0(SALU_CYCLE_1)
	s_mov_b32 s42, exec_lo
	v_cmpx_lt_u32_e64 v103, v139
	s_cbranch_execz .LBB1862_198
.LBB1862_264:                           ;   in Loop: Header=BB1862_101 Depth=2
	global_load_b64 v[56:57], v[60:61], off offset:256
	s_wait_xcnt 0x0
	s_or_b32 exec_lo, exec_lo, s42
	s_delay_alu instid0(SALU_CYCLE_1)
	s_mov_b32 s42, exec_lo
	v_cmpx_lt_u32_e64 v104, v139
	s_cbranch_execz .LBB1862_199
.LBB1862_265:                           ;   in Loop: Header=BB1862_101 Depth=2
	global_load_b64 v[54:55], v[60:61], off offset:512
	s_wait_xcnt 0x0
	s_or_b32 exec_lo, exec_lo, s42
	s_delay_alu instid0(SALU_CYCLE_1)
	s_mov_b32 s42, exec_lo
	v_cmpx_lt_u32_e64 v105, v139
	s_cbranch_execz .LBB1862_200
.LBB1862_266:                           ;   in Loop: Header=BB1862_101 Depth=2
	global_load_b64 v[52:53], v[60:61], off offset:768
	s_wait_xcnt 0x0
	s_or_b32 exec_lo, exec_lo, s42
	s_delay_alu instid0(SALU_CYCLE_1)
	s_mov_b32 s42, exec_lo
	v_cmpx_lt_u32_e64 v106, v139
	s_cbranch_execz .LBB1862_201
.LBB1862_267:                           ;   in Loop: Header=BB1862_101 Depth=2
	global_load_b64 v[50:51], v[60:61], off offset:1024
	s_wait_xcnt 0x0
	s_or_b32 exec_lo, exec_lo, s42
	s_delay_alu instid0(SALU_CYCLE_1)
	s_mov_b32 s42, exec_lo
	v_cmpx_lt_u32_e64 v107, v139
	s_cbranch_execz .LBB1862_202
.LBB1862_268:                           ;   in Loop: Header=BB1862_101 Depth=2
	global_load_b64 v[48:49], v[60:61], off offset:1280
	s_wait_xcnt 0x0
	s_or_b32 exec_lo, exec_lo, s42
	s_delay_alu instid0(SALU_CYCLE_1)
	s_mov_b32 s42, exec_lo
	v_cmpx_lt_u32_e64 v108, v139
	s_cbranch_execz .LBB1862_203
.LBB1862_269:                           ;   in Loop: Header=BB1862_101 Depth=2
	global_load_b64 v[46:47], v[60:61], off offset:1536
	s_wait_xcnt 0x0
	s_or_b32 exec_lo, exec_lo, s42
	s_delay_alu instid0(SALU_CYCLE_1)
	s_mov_b32 s42, exec_lo
	v_cmpx_lt_u32_e64 v109, v139
	s_cbranch_execz .LBB1862_204
.LBB1862_270:                           ;   in Loop: Header=BB1862_101 Depth=2
	global_load_b64 v[44:45], v[60:61], off offset:1792
	s_wait_xcnt 0x0
	s_or_b32 exec_lo, exec_lo, s42
	s_delay_alu instid0(SALU_CYCLE_1)
	s_mov_b32 s42, exec_lo
	v_cmpx_lt_u32_e64 v110, v139
	s_cbranch_execz .LBB1862_205
.LBB1862_271:                           ;   in Loop: Header=BB1862_101 Depth=2
	global_load_b64 v[42:43], v[60:61], off offset:2048
	s_wait_xcnt 0x0
	s_or_b32 exec_lo, exec_lo, s42
	s_delay_alu instid0(SALU_CYCLE_1)
	s_mov_b32 s42, exec_lo
	v_cmpx_lt_u32_e64 v111, v139
	s_cbranch_execz .LBB1862_206
.LBB1862_272:                           ;   in Loop: Header=BB1862_101 Depth=2
	global_load_b64 v[40:41], v[60:61], off offset:2304
	s_wait_xcnt 0x0
	s_or_b32 exec_lo, exec_lo, s42
	s_delay_alu instid0(SALU_CYCLE_1)
	s_mov_b32 s42, exec_lo
	v_cmpx_lt_u32_e64 v112, v139
	s_cbranch_execz .LBB1862_207
.LBB1862_273:                           ;   in Loop: Header=BB1862_101 Depth=2
	global_load_b64 v[38:39], v[60:61], off offset:2560
	s_wait_xcnt 0x0
	s_or_b32 exec_lo, exec_lo, s42
	s_delay_alu instid0(SALU_CYCLE_1)
	s_mov_b32 s42, exec_lo
	v_cmpx_lt_u32_e64 v113, v139
	s_cbranch_execz .LBB1862_208
.LBB1862_274:                           ;   in Loop: Header=BB1862_101 Depth=2
	global_load_b64 v[36:37], v[60:61], off offset:2816
	s_wait_xcnt 0x0
	s_or_b32 exec_lo, exec_lo, s42
	s_delay_alu instid0(SALU_CYCLE_1)
	s_mov_b32 s42, exec_lo
	v_cmpx_lt_u32_e64 v114, v139
	s_cbranch_execz .LBB1862_209
.LBB1862_275:                           ;   in Loop: Header=BB1862_101 Depth=2
	global_load_b64 v[34:35], v[60:61], off offset:3072
	s_wait_xcnt 0x0
	s_or_b32 exec_lo, exec_lo, s42
	s_delay_alu instid0(SALU_CYCLE_1)
	s_mov_b32 s42, exec_lo
	v_cmpx_lt_u32_e64 v115, v139
	s_cbranch_execz .LBB1862_210
.LBB1862_276:                           ;   in Loop: Header=BB1862_101 Depth=2
	global_load_b64 v[32:33], v[60:61], off offset:3328
	s_wait_xcnt 0x0
	s_or_b32 exec_lo, exec_lo, s42
	s_delay_alu instid0(SALU_CYCLE_1)
	s_mov_b32 s42, exec_lo
	v_cmpx_lt_u32_e64 v116, v139
	s_cbranch_execz .LBB1862_211
.LBB1862_277:                           ;   in Loop: Header=BB1862_101 Depth=2
	global_load_b64 v[30:31], v[60:61], off offset:3584
	s_wait_xcnt 0x0
	s_or_b32 exec_lo, exec_lo, s42
	s_delay_alu instid0(SALU_CYCLE_1)
	s_mov_b32 s42, exec_lo
	v_cmpx_lt_u32_e64 v117, v139
	s_cbranch_execz .LBB1862_212
.LBB1862_278:                           ;   in Loop: Header=BB1862_101 Depth=2
	global_load_b64 v[28:29], v[60:61], off offset:3840
	s_wait_xcnt 0x0
	s_or_b32 exec_lo, exec_lo, s42
	s_and_saveexec_b32 s42, vcc_lo
	s_cbranch_execz .LBB1862_213
.LBB1862_279:                           ;   in Loop: Header=BB1862_101 Depth=2
	ds_load_u16 v60, v93 offset:1024
	s_wait_dscnt 0x0
	v_cmp_ne_u16_e64 s30, 0x7fff, v60
	s_delay_alu instid0(VALU_DEP_1) | instskip(NEXT) | instid1(VALU_DEP_1)
	v_cndmask_b32_e64 v60, 0xffff8000, v60, s30
	v_and_b32_e32 v60, 0xffff, v60
	s_delay_alu instid0(VALU_DEP_1) | instskip(NEXT) | instid1(VALU_DEP_1)
	v_lshrrev_b32_e32 v60, s48, v60
	v_and_b32_e32 v138, s52, v60
	s_or_b32 exec_lo, exec_lo, s42
	s_and_saveexec_b32 s42, s15
	s_cbranch_execz .LBB1862_214
.LBB1862_280:                           ;   in Loop: Header=BB1862_101 Depth=2
	ds_load_u16 v60, v93 offset:1536
	s_wait_dscnt 0x0
	v_cmp_ne_u16_e64 s30, 0x7fff, v60
	s_delay_alu instid0(VALU_DEP_1) | instskip(NEXT) | instid1(VALU_DEP_1)
	v_cndmask_b32_e64 v60, 0xffff8000, v60, s30
	v_and_b32_e32 v60, 0xffff, v60
	s_delay_alu instid0(VALU_DEP_1) | instskip(NEXT) | instid1(VALU_DEP_1)
	v_lshrrev_b32_e32 v60, s48, v60
	v_and_b32_e32 v137, s52, v60
	s_or_b32 exec_lo, exec_lo, s42
	s_and_saveexec_b32 s42, s16
	s_cbranch_execz .LBB1862_215
.LBB1862_281:                           ;   in Loop: Header=BB1862_101 Depth=2
	ds_load_u16 v60, v93 offset:2048
	s_wait_dscnt 0x0
	v_cmp_ne_u16_e64 s30, 0x7fff, v60
	s_delay_alu instid0(VALU_DEP_1) | instskip(NEXT) | instid1(VALU_DEP_1)
	v_cndmask_b32_e64 v60, 0xffff8000, v60, s30
	v_and_b32_e32 v60, 0xffff, v60
	s_delay_alu instid0(VALU_DEP_1) | instskip(NEXT) | instid1(VALU_DEP_1)
	v_lshrrev_b32_e32 v60, s48, v60
	v_and_b32_e32 v136, s52, v60
	s_or_b32 exec_lo, exec_lo, s42
	s_and_saveexec_b32 s42, s17
	s_cbranch_execz .LBB1862_216
.LBB1862_282:                           ;   in Loop: Header=BB1862_101 Depth=2
	ds_load_u16 v60, v93 offset:2560
	s_wait_dscnt 0x0
	v_cmp_ne_u16_e64 s30, 0x7fff, v60
	s_delay_alu instid0(VALU_DEP_1) | instskip(NEXT) | instid1(VALU_DEP_1)
	v_cndmask_b32_e64 v60, 0xffff8000, v60, s30
	v_and_b32_e32 v60, 0xffff, v60
	s_delay_alu instid0(VALU_DEP_1) | instskip(NEXT) | instid1(VALU_DEP_1)
	v_lshrrev_b32_e32 v60, s48, v60
	v_and_b32_e32 v135, s52, v60
	s_or_b32 exec_lo, exec_lo, s42
	s_and_saveexec_b32 s42, s18
	s_cbranch_execz .LBB1862_217
.LBB1862_283:                           ;   in Loop: Header=BB1862_101 Depth=2
	ds_load_u16 v60, v93 offset:3072
	s_wait_dscnt 0x0
	v_cmp_ne_u16_e64 s30, 0x7fff, v60
	s_delay_alu instid0(VALU_DEP_1) | instskip(NEXT) | instid1(VALU_DEP_1)
	v_cndmask_b32_e64 v60, 0xffff8000, v60, s30
	v_and_b32_e32 v60, 0xffff, v60
	s_delay_alu instid0(VALU_DEP_1) | instskip(NEXT) | instid1(VALU_DEP_1)
	v_lshrrev_b32_e32 v60, s48, v60
	v_and_b32_e32 v134, s52, v60
	s_or_b32 exec_lo, exec_lo, s42
	s_and_saveexec_b32 s42, s19
	s_cbranch_execz .LBB1862_218
.LBB1862_284:                           ;   in Loop: Header=BB1862_101 Depth=2
	ds_load_u16 v60, v93 offset:3584
	s_wait_dscnt 0x0
	v_cmp_ne_u16_e64 s30, 0x7fff, v60
	s_delay_alu instid0(VALU_DEP_1) | instskip(NEXT) | instid1(VALU_DEP_1)
	v_cndmask_b32_e64 v60, 0xffff8000, v60, s30
	v_and_b32_e32 v60, 0xffff, v60
	s_delay_alu instid0(VALU_DEP_1) | instskip(NEXT) | instid1(VALU_DEP_1)
	v_lshrrev_b32_e32 v60, s48, v60
	v_and_b32_e32 v133, s52, v60
	s_or_b32 exec_lo, exec_lo, s42
	s_and_saveexec_b32 s42, s20
	s_cbranch_execz .LBB1862_219
.LBB1862_285:                           ;   in Loop: Header=BB1862_101 Depth=2
	ds_load_u16 v60, v93 offset:4096
	s_wait_dscnt 0x0
	v_cmp_ne_u16_e64 s30, 0x7fff, v60
	s_delay_alu instid0(VALU_DEP_1) | instskip(NEXT) | instid1(VALU_DEP_1)
	v_cndmask_b32_e64 v60, 0xffff8000, v60, s30
	v_and_b32_e32 v60, 0xffff, v60
	s_delay_alu instid0(VALU_DEP_1) | instskip(NEXT) | instid1(VALU_DEP_1)
	v_lshrrev_b32_e32 v60, s48, v60
	v_and_b32_e32 v132, s52, v60
	s_or_b32 exec_lo, exec_lo, s42
	s_and_saveexec_b32 s42, s21
	s_cbranch_execz .LBB1862_220
.LBB1862_286:                           ;   in Loop: Header=BB1862_101 Depth=2
	ds_load_u16 v60, v93 offset:4608
	s_wait_dscnt 0x0
	v_cmp_ne_u16_e64 s30, 0x7fff, v60
	s_delay_alu instid0(VALU_DEP_1) | instskip(NEXT) | instid1(VALU_DEP_1)
	v_cndmask_b32_e64 v60, 0xffff8000, v60, s30
	v_and_b32_e32 v60, 0xffff, v60
	s_delay_alu instid0(VALU_DEP_1) | instskip(NEXT) | instid1(VALU_DEP_1)
	v_lshrrev_b32_e32 v60, s48, v60
	v_and_b32_e32 v131, s52, v60
	s_or_b32 exec_lo, exec_lo, s42
	s_and_saveexec_b32 s42, s22
	s_cbranch_execz .LBB1862_221
.LBB1862_287:                           ;   in Loop: Header=BB1862_101 Depth=2
	ds_load_u16 v60, v93 offset:5120
	s_wait_dscnt 0x0
	v_cmp_ne_u16_e64 s30, 0x7fff, v60
	s_delay_alu instid0(VALU_DEP_1) | instskip(NEXT) | instid1(VALU_DEP_1)
	v_cndmask_b32_e64 v60, 0xffff8000, v60, s30
	v_and_b32_e32 v60, 0xffff, v60
	s_delay_alu instid0(VALU_DEP_1) | instskip(NEXT) | instid1(VALU_DEP_1)
	v_lshrrev_b32_e32 v60, s48, v60
	v_and_b32_e32 v130, s52, v60
	s_or_b32 exec_lo, exec_lo, s42
	s_and_saveexec_b32 s42, s23
	s_cbranch_execz .LBB1862_222
.LBB1862_288:                           ;   in Loop: Header=BB1862_101 Depth=2
	ds_load_u16 v60, v93 offset:5632
	s_wait_dscnt 0x0
	v_cmp_ne_u16_e64 s30, 0x7fff, v60
	s_delay_alu instid0(VALU_DEP_1) | instskip(NEXT) | instid1(VALU_DEP_1)
	v_cndmask_b32_e64 v60, 0xffff8000, v60, s30
	v_and_b32_e32 v60, 0xffff, v60
	s_delay_alu instid0(VALU_DEP_1) | instskip(NEXT) | instid1(VALU_DEP_1)
	v_lshrrev_b32_e32 v60, s48, v60
	v_and_b32_e32 v129, s52, v60
	s_or_b32 exec_lo, exec_lo, s42
	s_and_saveexec_b32 s42, s24
	s_cbranch_execz .LBB1862_223
.LBB1862_289:                           ;   in Loop: Header=BB1862_101 Depth=2
	ds_load_u16 v60, v93 offset:6144
	s_wait_dscnt 0x0
	v_cmp_ne_u16_e64 s30, 0x7fff, v60
	s_delay_alu instid0(VALU_DEP_1) | instskip(NEXT) | instid1(VALU_DEP_1)
	v_cndmask_b32_e64 v60, 0xffff8000, v60, s30
	v_and_b32_e32 v60, 0xffff, v60
	s_delay_alu instid0(VALU_DEP_1) | instskip(NEXT) | instid1(VALU_DEP_1)
	v_lshrrev_b32_e32 v60, s48, v60
	v_and_b32_e32 v128, s52, v60
	s_or_b32 exec_lo, exec_lo, s42
	s_and_saveexec_b32 s42, s25
	s_cbranch_execz .LBB1862_224
.LBB1862_290:                           ;   in Loop: Header=BB1862_101 Depth=2
	ds_load_u16 v60, v93 offset:6656
	s_wait_dscnt 0x0
	v_cmp_ne_u16_e64 s30, 0x7fff, v60
	s_delay_alu instid0(VALU_DEP_1) | instskip(NEXT) | instid1(VALU_DEP_1)
	v_cndmask_b32_e64 v60, 0xffff8000, v60, s30
	v_and_b32_e32 v60, 0xffff, v60
	s_delay_alu instid0(VALU_DEP_1) | instskip(NEXT) | instid1(VALU_DEP_1)
	v_lshrrev_b32_e32 v60, s48, v60
	v_and_b32_e32 v127, s52, v60
	s_or_b32 exec_lo, exec_lo, s42
	s_and_saveexec_b32 s42, s26
	s_cbranch_execz .LBB1862_225
.LBB1862_291:                           ;   in Loop: Header=BB1862_101 Depth=2
	ds_load_u16 v60, v93 offset:7168
	s_wait_dscnt 0x0
	v_cmp_ne_u16_e64 s30, 0x7fff, v60
	s_delay_alu instid0(VALU_DEP_1) | instskip(NEXT) | instid1(VALU_DEP_1)
	v_cndmask_b32_e64 v60, 0xffff8000, v60, s30
	v_and_b32_e32 v60, 0xffff, v60
	s_delay_alu instid0(VALU_DEP_1) | instskip(NEXT) | instid1(VALU_DEP_1)
	v_lshrrev_b32_e32 v60, s48, v60
	v_and_b32_e32 v126, s52, v60
	s_or_b32 exec_lo, exec_lo, s42
	s_and_saveexec_b32 s42, s27
	s_cbranch_execz .LBB1862_226
.LBB1862_292:                           ;   in Loop: Header=BB1862_101 Depth=2
	ds_load_u16 v60, v93 offset:7680
	s_wait_dscnt 0x0
	v_cmp_ne_u16_e64 s30, 0x7fff, v60
	s_delay_alu instid0(VALU_DEP_1) | instskip(NEXT) | instid1(VALU_DEP_1)
	v_cndmask_b32_e64 v60, 0xffff8000, v60, s30
	v_and_b32_e32 v60, 0xffff, v60
	s_delay_alu instid0(VALU_DEP_1) | instskip(NEXT) | instid1(VALU_DEP_1)
	v_lshrrev_b32_e32 v60, s48, v60
	v_and_b32_e32 v125, s52, v60
	s_or_b32 exec_lo, exec_lo, s42
	s_and_saveexec_b32 s42, s28
	s_cbranch_execz .LBB1862_227
.LBB1862_293:                           ;   in Loop: Header=BB1862_101 Depth=2
	ds_load_u16 v60, v93 offset:8192
	s_wait_dscnt 0x0
	v_cmp_ne_u16_e64 s30, 0x7fff, v60
	s_delay_alu instid0(VALU_DEP_1) | instskip(NEXT) | instid1(VALU_DEP_1)
	v_cndmask_b32_e64 v60, 0xffff8000, v60, s30
	v_and_b32_e32 v60, 0xffff, v60
	s_delay_alu instid0(VALU_DEP_1) | instskip(NEXT) | instid1(VALU_DEP_1)
	v_lshrrev_b32_e32 v60, s48, v60
	v_and_b32_e32 v124, s52, v60
	s_or_b32 exec_lo, exec_lo, s42
	s_and_saveexec_b32 s42, s29
	s_cbranch_execnz .LBB1862_228
	s_branch .LBB1862_229
.LBB1862_294:                           ;   in Loop: Header=BB1862_101 Depth=2
	v_lshlrev_b32_e32 v60, 2, v138
	v_add_nc_u32_e32 v61, v93, v94
	ds_load_b32 v63, v60
	ds_load_b64 v[60:61], v61 offset:1024
	s_wait_dscnt 0x1
	v_add_nc_u32_e32 v63, v63, v2
	s_wait_dscnt 0x0
	global_store_b64 v63, v[60:61], s[44:45] scale_offset
	s_wait_xcnt 0x0
	s_or_b32 exec_lo, exec_lo, s30
	s_and_saveexec_b32 s30, s15
	s_cbranch_execz .LBB1862_231
.LBB1862_295:                           ;   in Loop: Header=BB1862_101 Depth=2
	v_dual_lshlrev_b32 v60, 2, v137 :: v_dual_add_nc_u32 v61, v93, v94
	ds_load_b32 v63, v60
	ds_load_b64 v[60:61], v61 offset:3072
	s_wait_dscnt 0x1
	v_add_nc_u32_e32 v63, v63, v68
	s_wait_dscnt 0x0
	global_store_b64 v63, v[60:61], s[44:45] scale_offset
	s_wait_xcnt 0x0
	s_or_b32 exec_lo, exec_lo, s30
	s_and_saveexec_b32 s15, s16
	s_cbranch_execz .LBB1862_232
.LBB1862_296:                           ;   in Loop: Header=BB1862_101 Depth=2
	v_dual_lshlrev_b32 v60, 2, v136 :: v_dual_add_nc_u32 v61, v93, v94
	ds_load_b32 v63, v60
	ds_load_b64 v[60:61], v61 offset:5120
	s_wait_dscnt 0x1
	v_add_nc_u32_e32 v63, v63, v69
	s_wait_dscnt 0x0
	global_store_b64 v63, v[60:61], s[44:45] scale_offset
	s_wait_xcnt 0x0
	s_or_b32 exec_lo, exec_lo, s15
	s_and_saveexec_b32 s15, s17
	s_cbranch_execz .LBB1862_233
.LBB1862_297:                           ;   in Loop: Header=BB1862_101 Depth=2
	v_dual_lshlrev_b32 v60, 2, v135 :: v_dual_add_nc_u32 v61, v93, v94
	ds_load_b32 v63, v60
	ds_load_b64 v[60:61], v61 offset:7168
	s_wait_dscnt 0x1
	v_add_nc_u32_e32 v63, v63, v70
	s_wait_dscnt 0x0
	global_store_b64 v63, v[60:61], s[44:45] scale_offset
	s_wait_xcnt 0x0
	s_or_b32 exec_lo, exec_lo, s15
	s_and_saveexec_b32 s15, s18
	s_cbranch_execz .LBB1862_234
.LBB1862_298:                           ;   in Loop: Header=BB1862_101 Depth=2
	v_lshlrev_b32_e32 v60, 2, v134
	v_add_nc_u32_e32 v61, v93, v94
	ds_load_b32 v63, v60
	ds_load_b64 v[60:61], v61 offset:9216
	s_wait_dscnt 0x1
	v_add_nc_u32_e32 v63, v63, v71
	s_wait_dscnt 0x0
	global_store_b64 v63, v[60:61], s[44:45] scale_offset
	s_wait_xcnt 0x0
	s_or_b32 exec_lo, exec_lo, s15
	s_and_saveexec_b32 s15, s19
	s_cbranch_execz .LBB1862_235
.LBB1862_299:                           ;   in Loop: Header=BB1862_101 Depth=2
	v_dual_lshlrev_b32 v60, 2, v133 :: v_dual_add_nc_u32 v61, v93, v94
	ds_load_b32 v63, v60
	ds_load_b64 v[60:61], v61 offset:11264
	s_wait_dscnt 0x1
	v_add_nc_u32_e32 v63, v63, v72
	s_wait_dscnt 0x0
	global_store_b64 v63, v[60:61], s[44:45] scale_offset
	s_wait_xcnt 0x0
	s_or_b32 exec_lo, exec_lo, s15
	s_and_saveexec_b32 s15, s20
	s_cbranch_execz .LBB1862_236
.LBB1862_300:                           ;   in Loop: Header=BB1862_101 Depth=2
	v_dual_lshlrev_b32 v60, 2, v132 :: v_dual_add_nc_u32 v61, v93, v94
	ds_load_b32 v63, v60
	ds_load_b64 v[60:61], v61 offset:13312
	s_wait_dscnt 0x1
	v_add_nc_u32_e32 v63, v63, v73
	s_wait_dscnt 0x0
	global_store_b64 v63, v[60:61], s[44:45] scale_offset
	s_wait_xcnt 0x0
	s_or_b32 exec_lo, exec_lo, s15
	s_and_saveexec_b32 s15, s21
	s_cbranch_execz .LBB1862_237
.LBB1862_301:                           ;   in Loop: Header=BB1862_101 Depth=2
	v_dual_lshlrev_b32 v60, 2, v131 :: v_dual_add_nc_u32 v61, v93, v94
	ds_load_b32 v63, v60
	ds_load_b64 v[60:61], v61 offset:15360
	s_wait_dscnt 0x1
	v_add_nc_u32_e32 v63, v63, v74
	s_wait_dscnt 0x0
	global_store_b64 v63, v[60:61], s[44:45] scale_offset
	s_wait_xcnt 0x0
	s_or_b32 exec_lo, exec_lo, s15
	s_and_saveexec_b32 s15, s22
	s_cbranch_execz .LBB1862_238
.LBB1862_302:                           ;   in Loop: Header=BB1862_101 Depth=2
	v_lshlrev_b32_e32 v60, 2, v130
	v_add_nc_u32_e32 v61, v93, v94
	ds_load_b32 v63, v60
	ds_load_b64 v[60:61], v61 offset:17408
	s_wait_dscnt 0x1
	v_add_nc_u32_e32 v63, v63, v75
	s_wait_dscnt 0x0
	global_store_b64 v63, v[60:61], s[44:45] scale_offset
	s_wait_xcnt 0x0
	s_or_b32 exec_lo, exec_lo, s15
	s_and_saveexec_b32 s15, s23
	s_cbranch_execz .LBB1862_239
.LBB1862_303:                           ;   in Loop: Header=BB1862_101 Depth=2
	v_dual_lshlrev_b32 v60, 2, v129 :: v_dual_add_nc_u32 v61, v93, v94
	ds_load_b32 v63, v60
	ds_load_b64 v[60:61], v61 offset:19456
	s_wait_dscnt 0x1
	v_add_nc_u32_e32 v63, v63, v76
	s_wait_dscnt 0x0
	global_store_b64 v63, v[60:61], s[44:45] scale_offset
	s_wait_xcnt 0x0
	s_or_b32 exec_lo, exec_lo, s15
	s_and_saveexec_b32 s15, s24
	s_cbranch_execz .LBB1862_240
.LBB1862_304:                           ;   in Loop: Header=BB1862_101 Depth=2
	v_dual_lshlrev_b32 v60, 2, v128 :: v_dual_add_nc_u32 v61, v93, v94
	ds_load_b32 v63, v60
	ds_load_b64 v[60:61], v61 offset:21504
	s_wait_dscnt 0x1
	v_add_nc_u32_e32 v63, v63, v77
	s_wait_dscnt 0x0
	global_store_b64 v63, v[60:61], s[44:45] scale_offset
	s_wait_xcnt 0x0
	s_or_b32 exec_lo, exec_lo, s15
	s_and_saveexec_b32 s15, s25
	s_cbranch_execz .LBB1862_241
.LBB1862_305:                           ;   in Loop: Header=BB1862_101 Depth=2
	v_dual_lshlrev_b32 v60, 2, v127 :: v_dual_add_nc_u32 v61, v93, v94
	ds_load_b32 v63, v60
	ds_load_b64 v[60:61], v61 offset:23552
	s_wait_dscnt 0x1
	v_add_nc_u32_e32 v63, v63, v78
	s_wait_dscnt 0x0
	global_store_b64 v63, v[60:61], s[44:45] scale_offset
	s_wait_xcnt 0x0
	s_or_b32 exec_lo, exec_lo, s15
	s_and_saveexec_b32 s15, s26
	s_cbranch_execz .LBB1862_242
.LBB1862_306:                           ;   in Loop: Header=BB1862_101 Depth=2
	v_lshlrev_b32_e32 v60, 2, v126
	v_add_nc_u32_e32 v61, v93, v94
	ds_load_b32 v63, v60
	ds_load_b64 v[60:61], v61 offset:25600
	s_wait_dscnt 0x1
	v_add_nc_u32_e32 v63, v63, v79
	s_wait_dscnt 0x0
	global_store_b64 v63, v[60:61], s[44:45] scale_offset
	s_wait_xcnt 0x0
	s_or_b32 exec_lo, exec_lo, s15
	s_and_saveexec_b32 s15, s27
	s_cbranch_execz .LBB1862_243
.LBB1862_307:                           ;   in Loop: Header=BB1862_101 Depth=2
	v_dual_lshlrev_b32 v60, 2, v125 :: v_dual_add_nc_u32 v61, v93, v94
	ds_load_b32 v63, v60
	ds_load_b64 v[60:61], v61 offset:27648
	s_wait_dscnt 0x1
	v_add_nc_u32_e32 v63, v63, v80
	s_wait_dscnt 0x0
	global_store_b64 v63, v[60:61], s[44:45] scale_offset
	s_wait_xcnt 0x0
	s_or_b32 exec_lo, exec_lo, s15
	s_and_saveexec_b32 s15, s28
	s_cbranch_execz .LBB1862_244
.LBB1862_308:                           ;   in Loop: Header=BB1862_101 Depth=2
	v_dual_lshlrev_b32 v60, 2, v124 :: v_dual_add_nc_u32 v61, v93, v94
	ds_load_b32 v63, v60
	ds_load_b64 v[60:61], v61 offset:29696
	s_wait_dscnt 0x1
	v_add_nc_u32_e32 v63, v63, v81
	s_wait_dscnt 0x0
	global_store_b64 v63, v[60:61], s[44:45] scale_offset
	s_wait_xcnt 0x0
	s_or_b32 exec_lo, exec_lo, s15
	s_and_saveexec_b32 s15, s29
	s_cbranch_execnz .LBB1862_245
	s_branch .LBB1862_246
.LBB1862_309:                           ;   in Loop: Header=BB1862_17 Depth=1
	s_wait_dscnt 0x0
	s_barrier_signal -1
	s_mov_b32 s7, 0
	s_barrier_wait -1
.LBB1862_310:                           ;   in Loop: Header=BB1862_17 Depth=1
	s_and_b32 vcc_lo, exec_lo, s7
	s_cbranch_vccz .LBB1862_602
; %bb.311:                              ;   in Loop: Header=BB1862_17 Depth=1
	s_mov_b32 s7, s56
	s_mov_b32 s42, s54
	s_barrier_signal -1
	s_barrier_wait -1
                                        ; implicit-def: $vgpr23
                                        ; implicit-def: $vgpr24
                                        ; implicit-def: $vgpr25
                                        ; implicit-def: $vgpr26
                                        ; implicit-def: $vgpr27
                                        ; implicit-def: $vgpr28
                                        ; implicit-def: $vgpr29
                                        ; implicit-def: $vgpr30
                                        ; implicit-def: $vgpr31
                                        ; implicit-def: $vgpr32
                                        ; implicit-def: $vgpr33
                                        ; implicit-def: $vgpr34
                                        ; implicit-def: $vgpr35
                                        ; implicit-def: $vgpr36
                                        ; implicit-def: $vgpr37
                                        ; implicit-def: $vgpr38
	s_branch .LBB1862_313
.LBB1862_312:                           ;   in Loop: Header=BB1862_313 Depth=2
	s_or_b32 exec_lo, exec_lo, s8
	s_addk_co_i32 s7, 0xf000
	s_cmp_ge_u32 s10, s51
	s_mov_b32 s42, s10
	s_cbranch_scc1 .LBB1862_381
.LBB1862_313:                           ;   Parent Loop BB1862_17 Depth=1
                                        ; =>  This Inner Loop Header: Depth=2
	s_add_co_i32 s10, s42, 0x1000
	s_mov_b32 s8, -1
	s_cmp_gt_u32 s10, s51
                                        ; implicit-def: $vgpr39
                                        ; implicit-def: $vgpr40
                                        ; implicit-def: $vgpr41
                                        ; implicit-def: $vgpr42
                                        ; implicit-def: $vgpr43
                                        ; implicit-def: $vgpr44
                                        ; implicit-def: $vgpr45
                                        ; implicit-def: $vgpr46
                                        ; implicit-def: $vgpr47
                                        ; implicit-def: $vgpr48
                                        ; implicit-def: $vgpr49
                                        ; implicit-def: $vgpr50
                                        ; implicit-def: $vgpr51
                                        ; implicit-def: $vgpr52
                                        ; implicit-def: $vgpr53
                                        ; implicit-def: $vgpr54
	s_cbranch_scc1 .LBB1862_315
; %bb.314:                              ;   in Loop: Header=BB1862_313 Depth=2
	v_lshl_add_u64 v[54:55], s[42:43], 1, v[10:11]
	s_mov_b32 s8, 0
	s_clause 0xf
	global_load_u16 v39, v[54:55], off
	global_load_u16 v40, v[54:55], off offset:512
	global_load_u16 v41, v[54:55], off offset:1024
	;; [unrolled: 1-line block ×15, first 2 shown]
.LBB1862_315:                           ;   in Loop: Header=BB1862_313 Depth=2
	s_and_not1_b32 vcc_lo, exec_lo, s8
	s_movk_i32 s8, 0x1000
	s_cbranch_vccnz .LBB1862_334
; %bb.316:                              ;   in Loop: Header=BB1862_313 Depth=2
	s_lshl_b64 s[8:9], s[42:43], 1
	s_mov_b32 s11, exec_lo
	s_add_nc_u64 s[8:9], s[38:39], s[8:9]
	s_wait_xcnt 0x0
	v_cmpx_gt_u32_e64 s7, v2
	s_cbranch_execnz .LBB1862_366
; %bb.317:                              ;   in Loop: Header=BB1862_313 Depth=2
	s_or_b32 exec_lo, exec_lo, s11
	s_delay_alu instid0(SALU_CYCLE_1)
	s_mov_b32 s11, exec_lo
	v_cmpx_gt_u32_e64 s7, v68
	s_cbranch_execnz .LBB1862_367
.LBB1862_318:                           ;   in Loop: Header=BB1862_313 Depth=2
	s_or_b32 exec_lo, exec_lo, s11
	s_delay_alu instid0(SALU_CYCLE_1)
	s_mov_b32 s11, exec_lo
	v_cmpx_gt_u32_e64 s7, v69
	s_cbranch_execnz .LBB1862_368
.LBB1862_319:                           ;   in Loop: Header=BB1862_313 Depth=2
	s_or_b32 exec_lo, exec_lo, s11
	s_delay_alu instid0(SALU_CYCLE_1)
	s_mov_b32 s11, exec_lo
	v_cmpx_gt_u32_e64 s7, v70
	s_cbranch_execnz .LBB1862_369
.LBB1862_320:                           ;   in Loop: Header=BB1862_313 Depth=2
	s_or_b32 exec_lo, exec_lo, s11
	s_delay_alu instid0(SALU_CYCLE_1)
	s_mov_b32 s11, exec_lo
	v_cmpx_gt_u32_e64 s7, v71
	s_cbranch_execnz .LBB1862_370
.LBB1862_321:                           ;   in Loop: Header=BB1862_313 Depth=2
	s_or_b32 exec_lo, exec_lo, s11
	s_delay_alu instid0(SALU_CYCLE_1)
	s_mov_b32 s11, exec_lo
	v_cmpx_gt_u32_e64 s7, v72
	s_cbranch_execnz .LBB1862_371
.LBB1862_322:                           ;   in Loop: Header=BB1862_313 Depth=2
	s_or_b32 exec_lo, exec_lo, s11
	s_delay_alu instid0(SALU_CYCLE_1)
	s_mov_b32 s11, exec_lo
	v_cmpx_gt_u32_e64 s7, v73
	s_cbranch_execnz .LBB1862_372
.LBB1862_323:                           ;   in Loop: Header=BB1862_313 Depth=2
	s_or_b32 exec_lo, exec_lo, s11
	s_delay_alu instid0(SALU_CYCLE_1)
	s_mov_b32 s11, exec_lo
	v_cmpx_gt_u32_e64 s7, v74
	s_cbranch_execnz .LBB1862_373
.LBB1862_324:                           ;   in Loop: Header=BB1862_313 Depth=2
	s_or_b32 exec_lo, exec_lo, s11
	s_delay_alu instid0(SALU_CYCLE_1)
	s_mov_b32 s11, exec_lo
	v_cmpx_gt_u32_e64 s7, v75
	s_cbranch_execnz .LBB1862_374
.LBB1862_325:                           ;   in Loop: Header=BB1862_313 Depth=2
	s_or_b32 exec_lo, exec_lo, s11
	s_delay_alu instid0(SALU_CYCLE_1)
	s_mov_b32 s11, exec_lo
	v_cmpx_gt_u32_e64 s7, v76
	s_cbranch_execnz .LBB1862_375
.LBB1862_326:                           ;   in Loop: Header=BB1862_313 Depth=2
	s_or_b32 exec_lo, exec_lo, s11
	s_delay_alu instid0(SALU_CYCLE_1)
	s_mov_b32 s11, exec_lo
	v_cmpx_gt_u32_e64 s7, v77
	s_cbranch_execnz .LBB1862_376
.LBB1862_327:                           ;   in Loop: Header=BB1862_313 Depth=2
	s_or_b32 exec_lo, exec_lo, s11
	s_delay_alu instid0(SALU_CYCLE_1)
	s_mov_b32 s11, exec_lo
	v_cmpx_gt_u32_e64 s7, v78
	s_cbranch_execnz .LBB1862_377
.LBB1862_328:                           ;   in Loop: Header=BB1862_313 Depth=2
	s_or_b32 exec_lo, exec_lo, s11
	s_delay_alu instid0(SALU_CYCLE_1)
	s_mov_b32 s11, exec_lo
	v_cmpx_gt_u32_e64 s7, v79
	s_cbranch_execnz .LBB1862_378
.LBB1862_329:                           ;   in Loop: Header=BB1862_313 Depth=2
	s_or_b32 exec_lo, exec_lo, s11
	s_delay_alu instid0(SALU_CYCLE_1)
	s_mov_b32 s11, exec_lo
	v_cmpx_gt_u32_e64 s7, v80
	s_cbranch_execnz .LBB1862_379
.LBB1862_330:                           ;   in Loop: Header=BB1862_313 Depth=2
	s_or_b32 exec_lo, exec_lo, s11
	s_delay_alu instid0(SALU_CYCLE_1)
	s_mov_b32 s11, exec_lo
	v_cmpx_gt_u32_e64 s7, v81
	s_cbranch_execnz .LBB1862_380
.LBB1862_331:                           ;   in Loop: Header=BB1862_313 Depth=2
	s_or_b32 exec_lo, exec_lo, s11
	s_delay_alu instid0(SALU_CYCLE_1)
	s_mov_b32 s11, exec_lo
	v_cmpx_gt_u32_e64 s7, v82
	s_cbranch_execz .LBB1862_333
.LBB1862_332:                           ;   in Loop: Header=BB1862_313 Depth=2
	global_load_u16 v23, v2, s[8:9] offset:7680 scale_offset
.LBB1862_333:                           ;   in Loop: Header=BB1862_313 Depth=2
	s_wait_xcnt 0x0
	s_or_b32 exec_lo, exec_lo, s11
	s_wait_loadcnt 0x0
	v_dual_mov_b32 v39, v38 :: v_dual_mov_b32 v40, v37
	v_dual_mov_b32 v41, v36 :: v_dual_mov_b32 v42, v35
	;; [unrolled: 1-line block ×8, first 2 shown]
	s_mov_b32 s8, s7
.LBB1862_334:                           ;   in Loop: Header=BB1862_313 Depth=2
	s_wait_loadcnt 0x0
	s_delay_alu instid0(VALU_DEP_1)
	v_dual_mov_b32 v23, v54 :: v_dual_mov_b32 v24, v53
	v_dual_mov_b32 v25, v52 :: v_dual_mov_b32 v26, v51
	;; [unrolled: 1-line block ×8, first 2 shown]
	s_mov_b32 s9, exec_lo
	s_wait_xcnt 0x0
	v_cmpx_gt_u32_e64 s8, v2
	s_cbranch_execnz .LBB1862_350
; %bb.335:                              ;   in Loop: Header=BB1862_313 Depth=2
	s_or_b32 exec_lo, exec_lo, s9
	s_delay_alu instid0(SALU_CYCLE_1)
	s_mov_b32 s9, exec_lo
	v_cmpx_gt_u32_e64 s8, v68
	s_cbranch_execnz .LBB1862_351
.LBB1862_336:                           ;   in Loop: Header=BB1862_313 Depth=2
	s_or_b32 exec_lo, exec_lo, s9
	s_delay_alu instid0(SALU_CYCLE_1)
	s_mov_b32 s9, exec_lo
	v_cmpx_gt_u32_e64 s8, v69
	s_cbranch_execnz .LBB1862_352
.LBB1862_337:                           ;   in Loop: Header=BB1862_313 Depth=2
	s_or_b32 exec_lo, exec_lo, s9
	s_delay_alu instid0(SALU_CYCLE_1)
	s_mov_b32 s9, exec_lo
	v_cmpx_gt_u32_e64 s8, v70
	s_cbranch_execnz .LBB1862_353
.LBB1862_338:                           ;   in Loop: Header=BB1862_313 Depth=2
	s_or_b32 exec_lo, exec_lo, s9
	s_delay_alu instid0(SALU_CYCLE_1)
	s_mov_b32 s9, exec_lo
	v_cmpx_gt_u32_e64 s8, v71
	s_cbranch_execnz .LBB1862_354
.LBB1862_339:                           ;   in Loop: Header=BB1862_313 Depth=2
	s_or_b32 exec_lo, exec_lo, s9
	s_delay_alu instid0(SALU_CYCLE_1)
	s_mov_b32 s9, exec_lo
	v_cmpx_gt_u32_e64 s8, v72
	s_cbranch_execnz .LBB1862_355
.LBB1862_340:                           ;   in Loop: Header=BB1862_313 Depth=2
	s_or_b32 exec_lo, exec_lo, s9
	s_delay_alu instid0(SALU_CYCLE_1)
	s_mov_b32 s9, exec_lo
	v_cmpx_gt_u32_e64 s8, v73
	s_cbranch_execnz .LBB1862_356
.LBB1862_341:                           ;   in Loop: Header=BB1862_313 Depth=2
	s_or_b32 exec_lo, exec_lo, s9
	s_delay_alu instid0(SALU_CYCLE_1)
	s_mov_b32 s9, exec_lo
	v_cmpx_gt_u32_e64 s8, v74
	s_cbranch_execnz .LBB1862_357
.LBB1862_342:                           ;   in Loop: Header=BB1862_313 Depth=2
	s_or_b32 exec_lo, exec_lo, s9
	s_delay_alu instid0(SALU_CYCLE_1)
	s_mov_b32 s9, exec_lo
	v_cmpx_gt_u32_e64 s8, v75
	s_cbranch_execnz .LBB1862_358
.LBB1862_343:                           ;   in Loop: Header=BB1862_313 Depth=2
	s_or_b32 exec_lo, exec_lo, s9
	s_delay_alu instid0(SALU_CYCLE_1)
	s_mov_b32 s9, exec_lo
	v_cmpx_gt_u32_e64 s8, v76
	s_cbranch_execnz .LBB1862_359
.LBB1862_344:                           ;   in Loop: Header=BB1862_313 Depth=2
	s_or_b32 exec_lo, exec_lo, s9
	s_delay_alu instid0(SALU_CYCLE_1)
	s_mov_b32 s9, exec_lo
	v_cmpx_gt_u32_e64 s8, v77
	s_cbranch_execnz .LBB1862_360
.LBB1862_345:                           ;   in Loop: Header=BB1862_313 Depth=2
	s_or_b32 exec_lo, exec_lo, s9
	s_delay_alu instid0(SALU_CYCLE_1)
	s_mov_b32 s9, exec_lo
	v_cmpx_gt_u32_e64 s8, v78
	s_cbranch_execnz .LBB1862_361
.LBB1862_346:                           ;   in Loop: Header=BB1862_313 Depth=2
	s_or_b32 exec_lo, exec_lo, s9
	s_delay_alu instid0(SALU_CYCLE_1)
	s_mov_b32 s9, exec_lo
	v_cmpx_gt_u32_e64 s8, v79
	s_cbranch_execnz .LBB1862_362
.LBB1862_347:                           ;   in Loop: Header=BB1862_313 Depth=2
	s_or_b32 exec_lo, exec_lo, s9
	s_delay_alu instid0(SALU_CYCLE_1)
	s_mov_b32 s9, exec_lo
	v_cmpx_gt_u32_e64 s8, v80
	s_cbranch_execnz .LBB1862_363
.LBB1862_348:                           ;   in Loop: Header=BB1862_313 Depth=2
	s_or_b32 exec_lo, exec_lo, s9
	s_delay_alu instid0(SALU_CYCLE_1)
	s_mov_b32 s9, exec_lo
	v_cmpx_gt_u32_e64 s8, v81
	s_cbranch_execnz .LBB1862_364
.LBB1862_349:                           ;   in Loop: Header=BB1862_313 Depth=2
	s_or_b32 exec_lo, exec_lo, s9
	v_cmp_gt_u32_e32 vcc_lo, s8, v82
	s_and_saveexec_b32 s8, vcc_lo
	s_cbranch_execz .LBB1862_312
	s_branch .LBB1862_365
.LBB1862_350:                           ;   in Loop: Header=BB1862_313 Depth=2
	v_cmp_lt_i16_e32 vcc_lo, -1, v38
	v_cndmask_b32_e64 v39, -1, 0xffff8000, vcc_lo
	s_delay_alu instid0(VALU_DEP_1) | instskip(NEXT) | instid1(VALU_DEP_1)
	v_xor_b32_e32 v39, v39, v38
	v_cmp_ne_u16_e32 vcc_lo, 0x7fff, v39
	v_cndmask_b32_e32 v39, 0xffff8000, v39, vcc_lo
	s_delay_alu instid0(VALU_DEP_1) | instskip(NEXT) | instid1(VALU_DEP_1)
	v_and_b32_e32 v39, 0xffff, v39
	v_lshrrev_b32_e32 v39, s48, v39
	s_delay_alu instid0(VALU_DEP_1) | instskip(NEXT) | instid1(VALU_DEP_1)
	v_and_b32_e32 v39, s52, v39
	v_lshl_or_b32 v39, v39, 4, v83
	ds_add_u32 v39, v96
	s_or_b32 exec_lo, exec_lo, s9
	s_delay_alu instid0(SALU_CYCLE_1)
	s_mov_b32 s9, exec_lo
	v_cmpx_gt_u32_e64 s8, v68
	s_cbranch_execz .LBB1862_336
.LBB1862_351:                           ;   in Loop: Header=BB1862_313 Depth=2
	v_cmp_lt_i16_e32 vcc_lo, -1, v37
	v_cndmask_b32_e64 v39, -1, 0xffff8000, vcc_lo
	s_delay_alu instid0(VALU_DEP_1) | instskip(NEXT) | instid1(VALU_DEP_1)
	v_xor_b32_e32 v39, v39, v37
	v_cmp_ne_u16_e32 vcc_lo, 0x7fff, v39
	v_cndmask_b32_e32 v39, 0xffff8000, v39, vcc_lo
	s_delay_alu instid0(VALU_DEP_1) | instskip(NEXT) | instid1(VALU_DEP_1)
	v_and_b32_e32 v39, 0xffff, v39
	v_lshrrev_b32_e32 v39, s48, v39
	s_delay_alu instid0(VALU_DEP_1) | instskip(NEXT) | instid1(VALU_DEP_1)
	v_and_b32_e32 v39, s52, v39
	v_lshl_or_b32 v39, v39, 4, v83
	ds_add_u32 v39, v96
	s_or_b32 exec_lo, exec_lo, s9
	s_delay_alu instid0(SALU_CYCLE_1)
	s_mov_b32 s9, exec_lo
	v_cmpx_gt_u32_e64 s8, v69
	s_cbranch_execz .LBB1862_337
.LBB1862_352:                           ;   in Loop: Header=BB1862_313 Depth=2
	v_cmp_lt_i16_e32 vcc_lo, -1, v36
	v_cndmask_b32_e64 v39, -1, 0xffff8000, vcc_lo
	s_delay_alu instid0(VALU_DEP_1) | instskip(NEXT) | instid1(VALU_DEP_1)
	v_xor_b32_e32 v39, v39, v36
	v_cmp_ne_u16_e32 vcc_lo, 0x7fff, v39
	v_cndmask_b32_e32 v39, 0xffff8000, v39, vcc_lo
	s_delay_alu instid0(VALU_DEP_1) | instskip(NEXT) | instid1(VALU_DEP_1)
	v_and_b32_e32 v39, 0xffff, v39
	v_lshrrev_b32_e32 v39, s48, v39
	s_delay_alu instid0(VALU_DEP_1) | instskip(NEXT) | instid1(VALU_DEP_1)
	v_and_b32_e32 v39, s52, v39
	v_lshl_or_b32 v39, v39, 4, v83
	ds_add_u32 v39, v96
	s_or_b32 exec_lo, exec_lo, s9
	s_delay_alu instid0(SALU_CYCLE_1)
	s_mov_b32 s9, exec_lo
	v_cmpx_gt_u32_e64 s8, v70
	s_cbranch_execz .LBB1862_338
.LBB1862_353:                           ;   in Loop: Header=BB1862_313 Depth=2
	v_cmp_lt_i16_e32 vcc_lo, -1, v35
	v_cndmask_b32_e64 v39, -1, 0xffff8000, vcc_lo
	s_delay_alu instid0(VALU_DEP_1) | instskip(NEXT) | instid1(VALU_DEP_1)
	v_xor_b32_e32 v39, v39, v35
	v_cmp_ne_u16_e32 vcc_lo, 0x7fff, v39
	v_cndmask_b32_e32 v39, 0xffff8000, v39, vcc_lo
	s_delay_alu instid0(VALU_DEP_1) | instskip(NEXT) | instid1(VALU_DEP_1)
	v_and_b32_e32 v39, 0xffff, v39
	v_lshrrev_b32_e32 v39, s48, v39
	s_delay_alu instid0(VALU_DEP_1) | instskip(NEXT) | instid1(VALU_DEP_1)
	v_and_b32_e32 v39, s52, v39
	v_lshl_or_b32 v39, v39, 4, v83
	ds_add_u32 v39, v96
	s_or_b32 exec_lo, exec_lo, s9
	s_delay_alu instid0(SALU_CYCLE_1)
	s_mov_b32 s9, exec_lo
	v_cmpx_gt_u32_e64 s8, v71
	s_cbranch_execz .LBB1862_339
.LBB1862_354:                           ;   in Loop: Header=BB1862_313 Depth=2
	v_cmp_lt_i16_e32 vcc_lo, -1, v34
	v_cndmask_b32_e64 v39, -1, 0xffff8000, vcc_lo
	s_delay_alu instid0(VALU_DEP_1) | instskip(NEXT) | instid1(VALU_DEP_1)
	v_xor_b32_e32 v39, v39, v34
	v_cmp_ne_u16_e32 vcc_lo, 0x7fff, v39
	v_cndmask_b32_e32 v39, 0xffff8000, v39, vcc_lo
	s_delay_alu instid0(VALU_DEP_1) | instskip(NEXT) | instid1(VALU_DEP_1)
	v_and_b32_e32 v39, 0xffff, v39
	v_lshrrev_b32_e32 v39, s48, v39
	s_delay_alu instid0(VALU_DEP_1) | instskip(NEXT) | instid1(VALU_DEP_1)
	v_and_b32_e32 v39, s52, v39
	v_lshl_or_b32 v39, v39, 4, v83
	ds_add_u32 v39, v96
	s_or_b32 exec_lo, exec_lo, s9
	s_delay_alu instid0(SALU_CYCLE_1)
	s_mov_b32 s9, exec_lo
	v_cmpx_gt_u32_e64 s8, v72
	s_cbranch_execz .LBB1862_340
.LBB1862_355:                           ;   in Loop: Header=BB1862_313 Depth=2
	v_cmp_lt_i16_e32 vcc_lo, -1, v33
	v_cndmask_b32_e64 v39, -1, 0xffff8000, vcc_lo
	s_delay_alu instid0(VALU_DEP_1) | instskip(NEXT) | instid1(VALU_DEP_1)
	v_xor_b32_e32 v39, v39, v33
	v_cmp_ne_u16_e32 vcc_lo, 0x7fff, v39
	v_cndmask_b32_e32 v39, 0xffff8000, v39, vcc_lo
	s_delay_alu instid0(VALU_DEP_1) | instskip(NEXT) | instid1(VALU_DEP_1)
	v_and_b32_e32 v39, 0xffff, v39
	v_lshrrev_b32_e32 v39, s48, v39
	s_delay_alu instid0(VALU_DEP_1) | instskip(NEXT) | instid1(VALU_DEP_1)
	v_and_b32_e32 v39, s52, v39
	v_lshl_or_b32 v39, v39, 4, v83
	ds_add_u32 v39, v96
	s_or_b32 exec_lo, exec_lo, s9
	s_delay_alu instid0(SALU_CYCLE_1)
	s_mov_b32 s9, exec_lo
	v_cmpx_gt_u32_e64 s8, v73
	s_cbranch_execz .LBB1862_341
.LBB1862_356:                           ;   in Loop: Header=BB1862_313 Depth=2
	v_cmp_lt_i16_e32 vcc_lo, -1, v32
	v_cndmask_b32_e64 v39, -1, 0xffff8000, vcc_lo
	s_delay_alu instid0(VALU_DEP_1) | instskip(NEXT) | instid1(VALU_DEP_1)
	v_xor_b32_e32 v39, v39, v32
	v_cmp_ne_u16_e32 vcc_lo, 0x7fff, v39
	v_cndmask_b32_e32 v39, 0xffff8000, v39, vcc_lo
	s_delay_alu instid0(VALU_DEP_1) | instskip(NEXT) | instid1(VALU_DEP_1)
	v_and_b32_e32 v39, 0xffff, v39
	v_lshrrev_b32_e32 v39, s48, v39
	s_delay_alu instid0(VALU_DEP_1) | instskip(NEXT) | instid1(VALU_DEP_1)
	v_and_b32_e32 v39, s52, v39
	v_lshl_or_b32 v39, v39, 4, v83
	ds_add_u32 v39, v96
	s_or_b32 exec_lo, exec_lo, s9
	s_delay_alu instid0(SALU_CYCLE_1)
	s_mov_b32 s9, exec_lo
	v_cmpx_gt_u32_e64 s8, v74
	s_cbranch_execz .LBB1862_342
.LBB1862_357:                           ;   in Loop: Header=BB1862_313 Depth=2
	v_cmp_lt_i16_e32 vcc_lo, -1, v31
	v_cndmask_b32_e64 v39, -1, 0xffff8000, vcc_lo
	s_delay_alu instid0(VALU_DEP_1) | instskip(NEXT) | instid1(VALU_DEP_1)
	v_xor_b32_e32 v39, v39, v31
	v_cmp_ne_u16_e32 vcc_lo, 0x7fff, v39
	v_cndmask_b32_e32 v39, 0xffff8000, v39, vcc_lo
	s_delay_alu instid0(VALU_DEP_1) | instskip(NEXT) | instid1(VALU_DEP_1)
	v_and_b32_e32 v39, 0xffff, v39
	v_lshrrev_b32_e32 v39, s48, v39
	s_delay_alu instid0(VALU_DEP_1) | instskip(NEXT) | instid1(VALU_DEP_1)
	v_and_b32_e32 v39, s52, v39
	v_lshl_or_b32 v39, v39, 4, v83
	ds_add_u32 v39, v96
	s_or_b32 exec_lo, exec_lo, s9
	s_delay_alu instid0(SALU_CYCLE_1)
	s_mov_b32 s9, exec_lo
	v_cmpx_gt_u32_e64 s8, v75
	s_cbranch_execz .LBB1862_343
.LBB1862_358:                           ;   in Loop: Header=BB1862_313 Depth=2
	v_cmp_lt_i16_e32 vcc_lo, -1, v30
	v_cndmask_b32_e64 v39, -1, 0xffff8000, vcc_lo
	s_delay_alu instid0(VALU_DEP_1) | instskip(NEXT) | instid1(VALU_DEP_1)
	v_xor_b32_e32 v39, v39, v30
	v_cmp_ne_u16_e32 vcc_lo, 0x7fff, v39
	v_cndmask_b32_e32 v39, 0xffff8000, v39, vcc_lo
	s_delay_alu instid0(VALU_DEP_1) | instskip(NEXT) | instid1(VALU_DEP_1)
	v_and_b32_e32 v39, 0xffff, v39
	v_lshrrev_b32_e32 v39, s48, v39
	s_delay_alu instid0(VALU_DEP_1) | instskip(NEXT) | instid1(VALU_DEP_1)
	v_and_b32_e32 v39, s52, v39
	v_lshl_or_b32 v39, v39, 4, v83
	ds_add_u32 v39, v96
	s_or_b32 exec_lo, exec_lo, s9
	s_delay_alu instid0(SALU_CYCLE_1)
	s_mov_b32 s9, exec_lo
	v_cmpx_gt_u32_e64 s8, v76
	s_cbranch_execz .LBB1862_344
.LBB1862_359:                           ;   in Loop: Header=BB1862_313 Depth=2
	v_cmp_lt_i16_e32 vcc_lo, -1, v29
	v_cndmask_b32_e64 v39, -1, 0xffff8000, vcc_lo
	s_delay_alu instid0(VALU_DEP_1) | instskip(NEXT) | instid1(VALU_DEP_1)
	v_xor_b32_e32 v39, v39, v29
	v_cmp_ne_u16_e32 vcc_lo, 0x7fff, v39
	v_cndmask_b32_e32 v39, 0xffff8000, v39, vcc_lo
	s_delay_alu instid0(VALU_DEP_1) | instskip(NEXT) | instid1(VALU_DEP_1)
	v_and_b32_e32 v39, 0xffff, v39
	v_lshrrev_b32_e32 v39, s48, v39
	s_delay_alu instid0(VALU_DEP_1) | instskip(NEXT) | instid1(VALU_DEP_1)
	v_and_b32_e32 v39, s52, v39
	v_lshl_or_b32 v39, v39, 4, v83
	ds_add_u32 v39, v96
	s_or_b32 exec_lo, exec_lo, s9
	s_delay_alu instid0(SALU_CYCLE_1)
	s_mov_b32 s9, exec_lo
	v_cmpx_gt_u32_e64 s8, v77
	s_cbranch_execz .LBB1862_345
.LBB1862_360:                           ;   in Loop: Header=BB1862_313 Depth=2
	v_cmp_lt_i16_e32 vcc_lo, -1, v28
	v_cndmask_b32_e64 v39, -1, 0xffff8000, vcc_lo
	s_delay_alu instid0(VALU_DEP_1) | instskip(NEXT) | instid1(VALU_DEP_1)
	v_xor_b32_e32 v39, v39, v28
	v_cmp_ne_u16_e32 vcc_lo, 0x7fff, v39
	v_cndmask_b32_e32 v39, 0xffff8000, v39, vcc_lo
	s_delay_alu instid0(VALU_DEP_1) | instskip(NEXT) | instid1(VALU_DEP_1)
	v_and_b32_e32 v39, 0xffff, v39
	v_lshrrev_b32_e32 v39, s48, v39
	s_delay_alu instid0(VALU_DEP_1) | instskip(NEXT) | instid1(VALU_DEP_1)
	v_and_b32_e32 v39, s52, v39
	v_lshl_or_b32 v39, v39, 4, v83
	ds_add_u32 v39, v96
	s_or_b32 exec_lo, exec_lo, s9
	s_delay_alu instid0(SALU_CYCLE_1)
	s_mov_b32 s9, exec_lo
	v_cmpx_gt_u32_e64 s8, v78
	s_cbranch_execz .LBB1862_346
.LBB1862_361:                           ;   in Loop: Header=BB1862_313 Depth=2
	v_cmp_lt_i16_e32 vcc_lo, -1, v27
	v_cndmask_b32_e64 v39, -1, 0xffff8000, vcc_lo
	s_delay_alu instid0(VALU_DEP_1) | instskip(NEXT) | instid1(VALU_DEP_1)
	v_xor_b32_e32 v39, v39, v27
	v_cmp_ne_u16_e32 vcc_lo, 0x7fff, v39
	v_cndmask_b32_e32 v39, 0xffff8000, v39, vcc_lo
	s_delay_alu instid0(VALU_DEP_1) | instskip(NEXT) | instid1(VALU_DEP_1)
	v_and_b32_e32 v39, 0xffff, v39
	v_lshrrev_b32_e32 v39, s48, v39
	s_delay_alu instid0(VALU_DEP_1) | instskip(NEXT) | instid1(VALU_DEP_1)
	v_and_b32_e32 v39, s52, v39
	v_lshl_or_b32 v39, v39, 4, v83
	ds_add_u32 v39, v96
	s_or_b32 exec_lo, exec_lo, s9
	s_delay_alu instid0(SALU_CYCLE_1)
	s_mov_b32 s9, exec_lo
	v_cmpx_gt_u32_e64 s8, v79
	s_cbranch_execz .LBB1862_347
.LBB1862_362:                           ;   in Loop: Header=BB1862_313 Depth=2
	v_cmp_lt_i16_e32 vcc_lo, -1, v26
	v_cndmask_b32_e64 v39, -1, 0xffff8000, vcc_lo
	s_delay_alu instid0(VALU_DEP_1) | instskip(NEXT) | instid1(VALU_DEP_1)
	v_xor_b32_e32 v39, v39, v26
	v_cmp_ne_u16_e32 vcc_lo, 0x7fff, v39
	v_cndmask_b32_e32 v39, 0xffff8000, v39, vcc_lo
	s_delay_alu instid0(VALU_DEP_1) | instskip(NEXT) | instid1(VALU_DEP_1)
	v_and_b32_e32 v39, 0xffff, v39
	v_lshrrev_b32_e32 v39, s48, v39
	s_delay_alu instid0(VALU_DEP_1) | instskip(NEXT) | instid1(VALU_DEP_1)
	v_and_b32_e32 v39, s52, v39
	v_lshl_or_b32 v39, v39, 4, v83
	ds_add_u32 v39, v96
	s_or_b32 exec_lo, exec_lo, s9
	s_delay_alu instid0(SALU_CYCLE_1)
	s_mov_b32 s9, exec_lo
	v_cmpx_gt_u32_e64 s8, v80
	s_cbranch_execz .LBB1862_348
.LBB1862_363:                           ;   in Loop: Header=BB1862_313 Depth=2
	v_cmp_lt_i16_e32 vcc_lo, -1, v25
	v_cndmask_b32_e64 v39, -1, 0xffff8000, vcc_lo
	s_delay_alu instid0(VALU_DEP_1) | instskip(NEXT) | instid1(VALU_DEP_1)
	v_xor_b32_e32 v39, v39, v25
	v_cmp_ne_u16_e32 vcc_lo, 0x7fff, v39
	v_cndmask_b32_e32 v39, 0xffff8000, v39, vcc_lo
	s_delay_alu instid0(VALU_DEP_1) | instskip(NEXT) | instid1(VALU_DEP_1)
	v_and_b32_e32 v39, 0xffff, v39
	v_lshrrev_b32_e32 v39, s48, v39
	s_delay_alu instid0(VALU_DEP_1) | instskip(NEXT) | instid1(VALU_DEP_1)
	v_and_b32_e32 v39, s52, v39
	v_lshl_or_b32 v39, v39, 4, v83
	ds_add_u32 v39, v96
	s_or_b32 exec_lo, exec_lo, s9
	s_delay_alu instid0(SALU_CYCLE_1)
	s_mov_b32 s9, exec_lo
	v_cmpx_gt_u32_e64 s8, v81
	s_cbranch_execz .LBB1862_349
.LBB1862_364:                           ;   in Loop: Header=BB1862_313 Depth=2
	v_cmp_lt_i16_e32 vcc_lo, -1, v24
	v_cndmask_b32_e64 v39, -1, 0xffff8000, vcc_lo
	s_delay_alu instid0(VALU_DEP_1) | instskip(NEXT) | instid1(VALU_DEP_1)
	v_xor_b32_e32 v39, v39, v24
	v_cmp_ne_u16_e32 vcc_lo, 0x7fff, v39
	v_cndmask_b32_e32 v39, 0xffff8000, v39, vcc_lo
	s_delay_alu instid0(VALU_DEP_1) | instskip(NEXT) | instid1(VALU_DEP_1)
	v_and_b32_e32 v39, 0xffff, v39
	v_lshrrev_b32_e32 v39, s48, v39
	s_delay_alu instid0(VALU_DEP_1) | instskip(NEXT) | instid1(VALU_DEP_1)
	v_and_b32_e32 v39, s52, v39
	v_lshl_or_b32 v39, v39, 4, v83
	ds_add_u32 v39, v96
	s_or_b32 exec_lo, exec_lo, s9
	v_cmp_gt_u32_e32 vcc_lo, s8, v82
	s_and_saveexec_b32 s8, vcc_lo
	s_cbranch_execz .LBB1862_312
.LBB1862_365:                           ;   in Loop: Header=BB1862_313 Depth=2
	v_cmp_lt_i16_e32 vcc_lo, -1, v23
	v_cndmask_b32_e64 v39, -1, 0xffff8000, vcc_lo
	s_delay_alu instid0(VALU_DEP_1) | instskip(NEXT) | instid1(VALU_DEP_1)
	v_xor_b32_e32 v39, v39, v23
	v_cmp_ne_u16_e32 vcc_lo, 0x7fff, v39
	v_cndmask_b32_e32 v39, 0xffff8000, v39, vcc_lo
	s_delay_alu instid0(VALU_DEP_1) | instskip(NEXT) | instid1(VALU_DEP_1)
	v_and_b32_e32 v39, 0xffff, v39
	v_lshrrev_b32_e32 v39, s48, v39
	s_delay_alu instid0(VALU_DEP_1) | instskip(NEXT) | instid1(VALU_DEP_1)
	v_and_b32_e32 v39, s52, v39
	v_lshl_or_b32 v39, v39, 4, v83
	ds_add_u32 v39, v96
	s_branch .LBB1862_312
.LBB1862_366:                           ;   in Loop: Header=BB1862_313 Depth=2
	global_load_u16 v38, v2, s[8:9] scale_offset
	s_wait_xcnt 0x0
	s_or_b32 exec_lo, exec_lo, s11
	s_delay_alu instid0(SALU_CYCLE_1)
	s_mov_b32 s11, exec_lo
	v_cmpx_gt_u32_e64 s7, v68
	s_cbranch_execz .LBB1862_318
.LBB1862_367:                           ;   in Loop: Header=BB1862_313 Depth=2
	global_load_u16 v37, v2, s[8:9] offset:512 scale_offset
	s_wait_xcnt 0x0
	s_or_b32 exec_lo, exec_lo, s11
	s_delay_alu instid0(SALU_CYCLE_1)
	s_mov_b32 s11, exec_lo
	v_cmpx_gt_u32_e64 s7, v69
	s_cbranch_execz .LBB1862_319
.LBB1862_368:                           ;   in Loop: Header=BB1862_313 Depth=2
	global_load_u16 v36, v2, s[8:9] offset:1024 scale_offset
	s_wait_xcnt 0x0
	s_or_b32 exec_lo, exec_lo, s11
	s_delay_alu instid0(SALU_CYCLE_1)
	s_mov_b32 s11, exec_lo
	v_cmpx_gt_u32_e64 s7, v70
	s_cbranch_execz .LBB1862_320
.LBB1862_369:                           ;   in Loop: Header=BB1862_313 Depth=2
	global_load_u16 v35, v2, s[8:9] offset:1536 scale_offset
	s_wait_xcnt 0x0
	s_or_b32 exec_lo, exec_lo, s11
	s_delay_alu instid0(SALU_CYCLE_1)
	s_mov_b32 s11, exec_lo
	v_cmpx_gt_u32_e64 s7, v71
	s_cbranch_execz .LBB1862_321
.LBB1862_370:                           ;   in Loop: Header=BB1862_313 Depth=2
	global_load_u16 v34, v2, s[8:9] offset:2048 scale_offset
	s_wait_xcnt 0x0
	s_or_b32 exec_lo, exec_lo, s11
	s_delay_alu instid0(SALU_CYCLE_1)
	s_mov_b32 s11, exec_lo
	v_cmpx_gt_u32_e64 s7, v72
	s_cbranch_execz .LBB1862_322
.LBB1862_371:                           ;   in Loop: Header=BB1862_313 Depth=2
	global_load_u16 v33, v2, s[8:9] offset:2560 scale_offset
	s_wait_xcnt 0x0
	s_or_b32 exec_lo, exec_lo, s11
	s_delay_alu instid0(SALU_CYCLE_1)
	s_mov_b32 s11, exec_lo
	v_cmpx_gt_u32_e64 s7, v73
	s_cbranch_execz .LBB1862_323
.LBB1862_372:                           ;   in Loop: Header=BB1862_313 Depth=2
	global_load_u16 v32, v2, s[8:9] offset:3072 scale_offset
	s_wait_xcnt 0x0
	s_or_b32 exec_lo, exec_lo, s11
	s_delay_alu instid0(SALU_CYCLE_1)
	s_mov_b32 s11, exec_lo
	v_cmpx_gt_u32_e64 s7, v74
	s_cbranch_execz .LBB1862_324
.LBB1862_373:                           ;   in Loop: Header=BB1862_313 Depth=2
	global_load_u16 v31, v2, s[8:9] offset:3584 scale_offset
	s_wait_xcnt 0x0
	s_or_b32 exec_lo, exec_lo, s11
	s_delay_alu instid0(SALU_CYCLE_1)
	s_mov_b32 s11, exec_lo
	v_cmpx_gt_u32_e64 s7, v75
	s_cbranch_execz .LBB1862_325
.LBB1862_374:                           ;   in Loop: Header=BB1862_313 Depth=2
	global_load_u16 v30, v2, s[8:9] offset:4096 scale_offset
	s_wait_xcnt 0x0
	s_or_b32 exec_lo, exec_lo, s11
	s_delay_alu instid0(SALU_CYCLE_1)
	s_mov_b32 s11, exec_lo
	v_cmpx_gt_u32_e64 s7, v76
	s_cbranch_execz .LBB1862_326
.LBB1862_375:                           ;   in Loop: Header=BB1862_313 Depth=2
	global_load_u16 v29, v2, s[8:9] offset:4608 scale_offset
	s_wait_xcnt 0x0
	s_or_b32 exec_lo, exec_lo, s11
	s_delay_alu instid0(SALU_CYCLE_1)
	s_mov_b32 s11, exec_lo
	v_cmpx_gt_u32_e64 s7, v77
	s_cbranch_execz .LBB1862_327
.LBB1862_376:                           ;   in Loop: Header=BB1862_313 Depth=2
	global_load_u16 v28, v2, s[8:9] offset:5120 scale_offset
	s_wait_xcnt 0x0
	s_or_b32 exec_lo, exec_lo, s11
	s_delay_alu instid0(SALU_CYCLE_1)
	s_mov_b32 s11, exec_lo
	v_cmpx_gt_u32_e64 s7, v78
	s_cbranch_execz .LBB1862_328
.LBB1862_377:                           ;   in Loop: Header=BB1862_313 Depth=2
	global_load_u16 v27, v2, s[8:9] offset:5632 scale_offset
	s_wait_xcnt 0x0
	s_or_b32 exec_lo, exec_lo, s11
	s_delay_alu instid0(SALU_CYCLE_1)
	s_mov_b32 s11, exec_lo
	v_cmpx_gt_u32_e64 s7, v79
	s_cbranch_execz .LBB1862_329
.LBB1862_378:                           ;   in Loop: Header=BB1862_313 Depth=2
	global_load_u16 v26, v2, s[8:9] offset:6144 scale_offset
	s_wait_xcnt 0x0
	s_or_b32 exec_lo, exec_lo, s11
	s_delay_alu instid0(SALU_CYCLE_1)
	s_mov_b32 s11, exec_lo
	v_cmpx_gt_u32_e64 s7, v80
	s_cbranch_execz .LBB1862_330
.LBB1862_379:                           ;   in Loop: Header=BB1862_313 Depth=2
	global_load_u16 v25, v2, s[8:9] offset:6656 scale_offset
	s_wait_xcnt 0x0
	s_or_b32 exec_lo, exec_lo, s11
	s_delay_alu instid0(SALU_CYCLE_1)
	s_mov_b32 s11, exec_lo
	v_cmpx_gt_u32_e64 s7, v81
	s_cbranch_execz .LBB1862_331
.LBB1862_380:                           ;   in Loop: Header=BB1862_313 Depth=2
	global_load_u16 v24, v2, s[8:9] offset:7168 scale_offset
	s_wait_xcnt 0x0
	s_or_b32 exec_lo, exec_lo, s11
	s_delay_alu instid0(SALU_CYCLE_1)
	s_mov_b32 s11, exec_lo
	v_cmpx_gt_u32_e64 s7, v82
	s_cbranch_execnz .LBB1862_332
	s_branch .LBB1862_333
.LBB1862_381:                           ;   in Loop: Header=BB1862_17 Depth=1
	v_mov_b32_e32 v23, 0
	s_wait_dscnt 0x0
	s_barrier_signal -1
	s_barrier_wait -1
	s_and_saveexec_b32 s7, s0
	s_cbranch_execz .LBB1862_383
; %bb.382:                              ;   in Loop: Header=BB1862_17 Depth=1
	ds_load_2addr_b64 v[24:27], v85 offset1:1
	s_wait_dscnt 0x0
	v_add_nc_u32_e32 v23, v25, v24
	s_delay_alu instid0(VALU_DEP_1)
	v_add3_u32 v23, v23, v26, v27
.LBB1862_383:                           ;   in Loop: Header=BB1862_17 Depth=1
	s_or_b32 exec_lo, exec_lo, s7
	s_delay_alu instid0(VALU_DEP_1)
	v_mov_b32_dpp v24, v23 row_shr:1 row_mask:0xf bank_mask:0xf
	v_cmp_eq_u32_e64 s7, 0, v97
	v_cmp_lt_u32_e64 s8, 1, v97
	v_cmp_lt_u32_e64 s9, 3, v97
	v_cmp_lt_u32_e64 s10, 7, v97
	v_cmp_eq_u32_e64 s11, 0, v99
	v_cndmask_b32_e64 v24, v24, 0, s7
	s_delay_alu instid0(VALU_DEP_1) | instskip(NEXT) | instid1(VALU_DEP_1)
	v_add_nc_u32_e32 v23, v24, v23
	v_mov_b32_dpp v24, v23 row_shr:2 row_mask:0xf bank_mask:0xf
	s_delay_alu instid0(VALU_DEP_1) | instskip(NEXT) | instid1(VALU_DEP_1)
	v_cndmask_b32_e64 v24, 0, v24, s8
	v_add_nc_u32_e32 v23, v23, v24
	s_delay_alu instid0(VALU_DEP_1) | instskip(NEXT) | instid1(VALU_DEP_1)
	v_mov_b32_dpp v24, v23 row_shr:4 row_mask:0xf bank_mask:0xf
	v_cndmask_b32_e64 v24, 0, v24, s9
	s_delay_alu instid0(VALU_DEP_1) | instskip(NEXT) | instid1(VALU_DEP_1)
	v_add_nc_u32_e32 v23, v23, v24
	v_mov_b32_dpp v24, v23 row_shr:8 row_mask:0xf bank_mask:0xf
	s_delay_alu instid0(VALU_DEP_1) | instskip(NEXT) | instid1(VALU_DEP_1)
	v_cndmask_b32_e64 v24, 0, v24, s10
	v_add_nc_u32_e32 v23, v23, v24
	ds_swizzle_b32 v24, v23 offset:swizzle(BROADCAST,32,15)
	s_wait_dscnt 0x0
	v_and_b32_e32 v24, v98, v24
	s_delay_alu instid0(VALU_DEP_1)
	v_add_nc_u32_e32 v23, v23, v24
	s_and_saveexec_b32 s12, s1
; %bb.384:                              ;   in Loop: Header=BB1862_17 Depth=1
	ds_store_b32 v86, v23
; %bb.385:                              ;   in Loop: Header=BB1862_17 Depth=1
	s_or_b32 exec_lo, exec_lo, s12
	s_wait_dscnt 0x0
	s_barrier_signal -1
	s_barrier_wait -1
	s_and_saveexec_b32 s12, s4
	s_cbranch_execz .LBB1862_387
; %bb.386:                              ;   in Loop: Header=BB1862_17 Depth=1
	ds_load_b32 v24, v87
	v_cmp_ne_u32_e32 vcc_lo, 0, v101
	s_wait_dscnt 0x0
	v_mov_b32_dpp v25, v24 row_shr:1 row_mask:0xf bank_mask:0xf
	s_delay_alu instid0(VALU_DEP_1) | instskip(SKIP_1) | instid1(VALU_DEP_2)
	v_cndmask_b32_e32 v25, 0, v25, vcc_lo
	v_cmp_lt_u32_e32 vcc_lo, 1, v101
	v_add_nc_u32_e32 v24, v25, v24
	s_delay_alu instid0(VALU_DEP_1) | instskip(NEXT) | instid1(VALU_DEP_1)
	v_mov_b32_dpp v25, v24 row_shr:2 row_mask:0xf bank_mask:0xf
	v_cndmask_b32_e32 v25, 0, v25, vcc_lo
	v_cmp_lt_u32_e32 vcc_lo, 3, v101
	s_delay_alu instid0(VALU_DEP_2) | instskip(NEXT) | instid1(VALU_DEP_1)
	v_add_nc_u32_e32 v24, v24, v25
	v_mov_b32_dpp v25, v24 row_shr:4 row_mask:0xf bank_mask:0xf
	s_delay_alu instid0(VALU_DEP_1) | instskip(NEXT) | instid1(VALU_DEP_1)
	v_cndmask_b32_e32 v25, 0, v25, vcc_lo
	v_add_nc_u32_e32 v24, v24, v25
	ds_store_b32 v87, v24
.LBB1862_387:                           ;   in Loop: Header=BB1862_17 Depth=1
	s_or_b32 exec_lo, exec_lo, s12
	v_mov_b32_e32 v24, 0
	s_wait_dscnt 0x0
	s_barrier_signal -1
	s_barrier_wait -1
	s_and_saveexec_b32 s12, s5
; %bb.388:                              ;   in Loop: Header=BB1862_17 Depth=1
	ds_load_b32 v24, v88
; %bb.389:                              ;   in Loop: Header=BB1862_17 Depth=1
	s_or_b32 exec_lo, exec_lo, s12
	v_cmp_gt_i32_e32 vcc_lo, 0, v102
	s_wait_dscnt 0x0
	s_barrier_signal -1
	s_barrier_wait -1
	v_cndmask_b32_e32 v25, v102, v95, vcc_lo
	s_delay_alu instid0(VALU_DEP_1)
	v_dual_add_nc_u32 v23, v24, v23 :: v_dual_lshlrev_b32 v122, 2, v25
	ds_bpermute_b32 v23, v122, v23
	s_and_saveexec_b32 s12, s0
	s_cbranch_execz .LBB1862_391
; %bb.390:                              ;   in Loop: Header=BB1862_17 Depth=1
	s_wait_dscnt 0x0
	v_cndmask_b32_e64 v23, v23, v24, s6
	s_delay_alu instid0(VALU_DEP_1)
	v_add_nc_u32_e32 v23, s54, v23
	ds_store_b32 v3, v23
.LBB1862_391:                           ;   in Loop: Header=BB1862_17 Depth=1
	s_or_b32 exec_lo, exec_lo, s12
	s_load_b64 s[12:13], s[34:35], 0x0
	s_mov_b32 s53, s56
                                        ; implicit-def: $vgpr30_vgpr31
                                        ; implicit-def: $vgpr32_vgpr33
                                        ; implicit-def: $vgpr34_vgpr35
                                        ; implicit-def: $vgpr36_vgpr37
                                        ; implicit-def: $vgpr38_vgpr39
                                        ; implicit-def: $vgpr40_vgpr41
                                        ; implicit-def: $vgpr42_vgpr43
                                        ; implicit-def: $vgpr44_vgpr45
                                        ; implicit-def: $vgpr46_vgpr47
                                        ; implicit-def: $vgpr48_vgpr49
                                        ; implicit-def: $vgpr50_vgpr51
                                        ; implicit-def: $vgpr52_vgpr53
                                        ; implicit-def: $vgpr54_vgpr55
                                        ; implicit-def: $vgpr56_vgpr57
                                        ; implicit-def: $vgpr58_vgpr59
                                        ; implicit-def: $vgpr123
                                        ; implicit-def: $vgpr124
                                        ; implicit-def: $vgpr125
                                        ; implicit-def: $vgpr126
                                        ; implicit-def: $vgpr127
                                        ; implicit-def: $vgpr128
                                        ; implicit-def: $vgpr129
                                        ; implicit-def: $vgpr130
                                        ; implicit-def: $vgpr131
                                        ; implicit-def: $vgpr132
                                        ; implicit-def: $vgpr133
                                        ; implicit-def: $vgpr134
                                        ; implicit-def: $vgpr135
                                        ; implicit-def: $vgpr136
                                        ; implicit-def: $vgpr137
                                        ; implicit-def: $vgpr138
	s_wait_kmcnt 0x0
	s_cmp_lt_u32 s33, s12
	s_cselect_b32 s42, 12, 18
	s_cmp_lt_u32 s31, s13
	s_mov_b32 s13, s43
	s_cselect_b32 s12, 14, 20
	s_delay_alu instid0(SALU_CYCLE_1)
	s_add_nc_u64 s[12:13], s[34:35], s[12:13]
	s_load_u16 s14, s[12:13], 0x0
	s_wait_xcnt 0x0
	s_add_nc_u64 s[12:13], s[34:35], s[42:43]
	s_mov_b32 s42, s54
	s_load_u16 s12, s[12:13], 0x0
	s_wait_xcnt 0x0
	v_cmp_lt_u32_e64 s13, 1, v101
	s_wait_dscnt 0x0
	s_wait_kmcnt 0x0
	v_mad_u32_u24 v23, v89, s14, v90
	v_cmp_lt_u32_e64 s14, 3, v101
	s_delay_alu instid0(VALU_DEP_2) | instskip(SKIP_2) | instid1(VALU_DEP_3)
	v_mad_u32 v24, v23, s12, v2
	v_mov_b32_e32 v23, v5
	v_cmp_eq_u32_e64 s12, 0, v101
	v_lshrrev_b32_e32 v28, 3, v24
	v_add_nc_u64_e32 v[24:25], v[12:13], v[4:5]
	s_delay_alu instid0(VALU_DEP_4) | instskip(NEXT) | instid1(VALU_DEP_3)
	v_add_nc_u64_e32 v[26:27], v[14:15], v[22:23]
	v_and_b32_e32 v23, 0x1ffffffc, v28
                                        ; implicit-def: $vgpr28_vgpr29
	s_branch .LBB1862_393
.LBB1862_392:                           ;   in Loop: Header=BB1862_393 Depth=2
	s_or_b32 exec_lo, exec_lo, s15
	s_addk_co_i32 s53, 0xf000
	s_cmp_lt_u32 s57, s51
	s_mov_b32 s42, s57
	s_cbranch_scc0 .LBB1862_601
.LBB1862_393:                           ;   Parent Loop BB1862_17 Depth=1
                                        ; =>  This Inner Loop Header: Depth=2
	s_add_co_i32 s57, s42, 0x1000
	s_delay_alu instid0(SALU_CYCLE_1)
	s_cmp_gt_u32 s57, s51
	s_cbranch_scc1 .LBB1862_395
; %bb.394:                              ;   in Loop: Header=BB1862_393 Depth=2
	s_delay_alu instid0(VALU_DEP_2)
	v_lshl_add_u64 v[60:61], s[42:43], 1, v[26:27]
	s_mov_b32 s15, -1
	s_clause 0xe
	global_load_u16 v140, v[60:61], off
	global_load_u16 v141, v[60:61], off offset:64
	global_load_u16 v144, v[60:61], off offset:128
	;; [unrolled: 1-line block ×14, first 2 shown]
	s_movk_i32 s16, 0x1000
	s_cbranch_execz .LBB1862_396
	s_branch .LBB1862_427
.LBB1862_395:                           ;   in Loop: Header=BB1862_393 Depth=2
	s_mov_b32 s15, 0
                                        ; implicit-def: $vgpr140
                                        ; implicit-def: $vgpr141
                                        ; implicit-def: $vgpr144
                                        ; implicit-def: $vgpr148
                                        ; implicit-def: $vgpr152
                                        ; implicit-def: $vgpr156
                                        ; implicit-def: $vgpr160
                                        ; implicit-def: $vgpr164
                                        ; implicit-def: $vgpr168
                                        ; implicit-def: $vgpr67
                                        ; implicit-def: $vgpr66
                                        ; implicit-def: $vgpr65
                                        ; implicit-def: $vgpr64
                                        ; implicit-def: $vgpr63
                                        ; implicit-def: $vgpr62
	s_movk_i32 s16, 0x1000
.LBB1862_396:                           ;   in Loop: Header=BB1862_393 Depth=2
	s_wait_xcnt 0x0
	v_lshl_add_u64 v[60:61], s[42:43], 1, v[26:27]
	s_wait_loadcnt 0xd
	v_dual_mov_b32 v141, 0x7fff :: v_dual_mov_b32 v140, 0x7fff
	s_mov_b32 s15, exec_lo
	v_cmpx_gt_u32_e64 s53, v100
	s_cbranch_execz .LBB1862_398
; %bb.397:                              ;   in Loop: Header=BB1862_393 Depth=2
	global_load_u16 v140, v[60:61], off
.LBB1862_398:                           ;   in Loop: Header=BB1862_393 Depth=2
	s_wait_xcnt 0x0
	s_or_b32 exec_lo, exec_lo, s15
	s_delay_alu instid0(SALU_CYCLE_1)
	s_mov_b32 s15, exec_lo
	v_cmpx_gt_u32_e64 s53, v103
	s_cbranch_execz .LBB1862_400
; %bb.399:                              ;   in Loop: Header=BB1862_393 Depth=2
	global_load_u16 v141, v[60:61], off offset:64
.LBB1862_400:                           ;   in Loop: Header=BB1862_393 Depth=2
	s_wait_xcnt 0x0
	s_or_b32 exec_lo, exec_lo, s15
	s_wait_loadcnt 0xb
	v_mov_b32_e32 v148, 0x7fff
	v_mov_b32_e32 v144, 0x7fff
	s_mov_b32 s15, exec_lo
	v_cmpx_gt_u32_e64 s53, v104
	s_cbranch_execz .LBB1862_402
; %bb.401:                              ;   in Loop: Header=BB1862_393 Depth=2
	global_load_u16 v144, v[60:61], off offset:128
.LBB1862_402:                           ;   in Loop: Header=BB1862_393 Depth=2
	s_wait_xcnt 0x0
	s_or_b32 exec_lo, exec_lo, s15
	s_delay_alu instid0(SALU_CYCLE_1)
	s_mov_b32 s15, exec_lo
	v_cmpx_gt_u32_e64 s53, v105
	s_cbranch_execz .LBB1862_404
; %bb.403:                              ;   in Loop: Header=BB1862_393 Depth=2
	global_load_u16 v148, v[60:61], off offset:192
.LBB1862_404:                           ;   in Loop: Header=BB1862_393 Depth=2
	s_wait_xcnt 0x0
	s_or_b32 exec_lo, exec_lo, s15
	s_wait_loadcnt 0x9
	v_mov_b32_e32 v156, 0x7fff
	v_mov_b32_e32 v152, 0x7fff
	s_mov_b32 s15, exec_lo
	v_cmpx_gt_u32_e64 s53, v106
	s_cbranch_execz .LBB1862_406
; %bb.405:                              ;   in Loop: Header=BB1862_393 Depth=2
	global_load_u16 v152, v[60:61], off offset:256
.LBB1862_406:                           ;   in Loop: Header=BB1862_393 Depth=2
	;; [unrolled: 20-line block ×3, first 2 shown]
	s_wait_xcnt 0x0
	s_or_b32 exec_lo, exec_lo, s15
	s_delay_alu instid0(SALU_CYCLE_1)
	s_mov_b32 s15, exec_lo
	v_cmpx_gt_u32_e64 s53, v109
	s_cbranch_execz .LBB1862_412
; %bb.411:                              ;   in Loop: Header=BB1862_393 Depth=2
	global_load_u16 v164, v[60:61], off offset:448
.LBB1862_412:                           ;   in Loop: Header=BB1862_393 Depth=2
	s_wait_xcnt 0x0
	s_or_b32 exec_lo, exec_lo, s15
	s_wait_loadcnt 0x5
	v_dual_mov_b32 v67, 0x7fff :: v_dual_mov_b32 v168, 0x7fff
	s_mov_b32 s15, exec_lo
	v_cmpx_gt_u32_e64 s53, v110
	s_cbranch_execz .LBB1862_414
; %bb.413:                              ;   in Loop: Header=BB1862_393 Depth=2
	global_load_u16 v168, v[60:61], off offset:512
.LBB1862_414:                           ;   in Loop: Header=BB1862_393 Depth=2
	s_wait_xcnt 0x0
	s_or_b32 exec_lo, exec_lo, s15
	s_delay_alu instid0(SALU_CYCLE_1)
	s_mov_b32 s15, exec_lo
	v_cmpx_gt_u32_e64 s53, v111
	s_cbranch_execz .LBB1862_416
; %bb.415:                              ;   in Loop: Header=BB1862_393 Depth=2
	global_load_u16 v67, v[60:61], off offset:576
.LBB1862_416:                           ;   in Loop: Header=BB1862_393 Depth=2
	s_wait_xcnt 0x0
	s_or_b32 exec_lo, exec_lo, s15
	s_wait_loadcnt 0x3
	v_dual_mov_b32 v65, 0x7fff :: v_dual_mov_b32 v66, 0x7fff
	s_mov_b32 s15, exec_lo
	v_cmpx_gt_u32_e64 s53, v112
	s_cbranch_execz .LBB1862_418
; %bb.417:                              ;   in Loop: Header=BB1862_393 Depth=2
	global_load_u16 v66, v[60:61], off offset:640
.LBB1862_418:                           ;   in Loop: Header=BB1862_393 Depth=2
	;; [unrolled: 19-line block ×3, first 2 shown]
	s_wait_xcnt 0x0
	s_or_b32 exec_lo, exec_lo, s15
	s_delay_alu instid0(SALU_CYCLE_1)
	s_mov_b32 s15, exec_lo
	v_cmpx_gt_u32_e64 s53, v115
	s_cbranch_execz .LBB1862_424
; %bb.423:                              ;   in Loop: Header=BB1862_393 Depth=2
	global_load_u16 v63, v[60:61], off offset:832
.LBB1862_424:                           ;   in Loop: Header=BB1862_393 Depth=2
	s_wait_xcnt 0x0
	s_or_b32 exec_lo, exec_lo, s15
	s_wait_loadcnt 0x0
	v_mov_b32_e32 v62, 0x7fff
	s_mov_b32 s15, exec_lo
	v_cmpx_gt_u32_e64 s53, v116
	s_cbranch_execz .LBB1862_426
; %bb.425:                              ;   in Loop: Header=BB1862_393 Depth=2
	global_load_u16 v62, v[60:61], off offset:896
.LBB1862_426:                           ;   in Loop: Header=BB1862_393 Depth=2
	s_wait_xcnt 0x0
	s_or_b32 exec_lo, exec_lo, s15
	v_cmp_gt_u32_e64 s15, s53, v117
	s_sub_co_i32 s16, s51, s42
.LBB1862_427:                           ;   in Loop: Header=BB1862_393 Depth=2
	s_wait_xcnt 0x0
	v_dual_mov_b32 v60, 0x7fff :: v_dual_mov_b32 v139, s53
	s_and_saveexec_b32 s17, s15
	s_cbranch_execz .LBB1862_429
; %bb.428:                              ;   in Loop: Header=BB1862_393 Depth=2
	v_lshl_add_u64 v[60:61], s[42:43], 1, v[26:27]
	v_mov_b32_e32 v139, s16
	global_load_u16 v60, v[60:61], off offset:960
.LBB1862_429:                           ;   in Loop: Header=BB1862_393 Depth=2
	s_wait_xcnt 0x0
	s_or_b32 exec_lo, exec_lo, s17
	s_wait_loadcnt 0xe
	v_cmp_lt_i16_e64 vcc_lo, -1, v140
	ds_store_2addr_b32 v121, v5, v5 offset1:1
	ds_store_2addr_b32 v118, v5, v5 offset1:1
	;; [unrolled: 1-line block ×4, first 2 shown]
	ds_store_b32 v91, v5 offset:1088
	s_wait_loadcnt_dscnt 0x0
	s_barrier_signal -1
	v_cndmask_b32_e64 v61, -1, 0xffff8000, vcc_lo
	s_barrier_wait -1
	; wave barrier
	s_delay_alu instid0(VALU_DEP_1) | instskip(NEXT) | instid1(VALU_DEP_1)
	v_xor_b32_e32 v140, v61, v140
	v_cmp_ne_u16_e64 vcc_lo, 0x7fff, v140
	v_cndmask_b32_e32 v61, 0xffff8000, v140, vcc_lo
	s_delay_alu instid0(VALU_DEP_1) | instskip(NEXT) | instid1(VALU_DEP_1)
	v_and_b32_e32 v61, 0xffff, v61
	v_lshrrev_b32_e32 v61, s48, v61
	s_delay_alu instid0(VALU_DEP_1) | instskip(SKIP_1) | instid1(VALU_DEP_2)
	v_bitop3_b32 v142, v61, 1, s52 bitop3:0x80
	v_and_b32_e32 v143, s52, v61
	v_add_co_u32 v61, s15, v142, -1
	s_delay_alu instid0(VALU_DEP_1) | instskip(NEXT) | instid1(VALU_DEP_3)
	v_cndmask_b32_e64 v142, 0, 1, s15
	v_lshlrev_b32_e32 v145, 30, v143
	s_delay_alu instid0(VALU_DEP_2) | instskip(NEXT) | instid1(VALU_DEP_2)
	v_cmp_ne_u32_e32 vcc_lo, 0, v142
	v_not_b32_e32 v142, v145
	s_delay_alu instid0(VALU_DEP_1) | instskip(SKIP_3) | instid1(VALU_DEP_4)
	v_dual_ashrrev_i32 v142, 31, v142 :: v_dual_lshlrev_b32 v146, 29, v143
	v_dual_lshlrev_b32 v147, 28, v143 :: v_dual_lshlrev_b32 v149, 27, v143
	v_lshlrev_b32_e32 v150, 26, v143
	v_cmp_gt_i32_e64 s15, 0, v145
	v_cmp_gt_i32_e64 s16, 0, v146
	v_not_b32_e32 v145, v146
	v_not_b32_e32 v146, v147
	v_dual_lshlrev_b32 v151, 25, v143 :: v_dual_lshlrev_b32 v153, 24, v143
	v_cmp_gt_i32_e64 s17, 0, v147
	v_cmp_gt_i32_e64 s18, 0, v149
	v_not_b32_e32 v147, v149
	v_not_b32_e32 v149, v150
	v_dual_ashrrev_i32 v146, 31, v146 :: v_dual_bitop2_b32 v61, vcc_lo, v61 bitop3:0x14
	v_dual_ashrrev_i32 v145, 31, v145 :: v_dual_bitop2_b32 v142, s15, v142 bitop3:0x14
	v_cmp_gt_i32_e64 s19, 0, v150
	v_cmp_gt_i32_e64 s20, 0, v151
	v_not_b32_e32 v150, v151
	v_not_b32_e32 v151, v153
	v_dual_ashrrev_i32 v147, 31, v147 :: v_dual_ashrrev_i32 v149, 31, v149
	v_xor_b32_e32 v145, s16, v145
	v_xor_b32_e32 v146, s17, v146
	v_bitop3_b32 v61, v61, v142, exec_lo bitop3:0x80
	v_cmp_gt_i32_e64 s21, 0, v153
	v_dual_ashrrev_i32 v142, 31, v150 :: v_dual_ashrrev_i32 v150, 31, v151
	v_xor_b32_e32 v147, s18, v147
	s_delay_alu instid0(VALU_DEP_4) | instskip(SKIP_3) | instid1(VALU_DEP_3)
	v_bitop3_b32 v61, v61, v146, v145 bitop3:0x80
	v_mul_u32_u24_e32 v143, 36, v143
	v_xor_b32_e32 v149, s19, v149
	v_xor_b32_e32 v142, s20, v142
	v_dual_add_nc_u32 v143, v23, v143 :: v_dual_bitop2_b32 v145, s21, v150 bitop3:0x14
	s_delay_alu instid0(VALU_DEP_3) | instskip(NEXT) | instid1(VALU_DEP_1)
	v_bitop3_b32 v61, v61, v149, v147 bitop3:0x80
	v_bitop3_b32 v61, v61, v145, v142 bitop3:0x80
	s_delay_alu instid0(VALU_DEP_1) | instskip(SKIP_1) | instid1(VALU_DEP_2)
	v_mbcnt_lo_u32_b32 v142, v61, 0
	v_cmp_ne_u32_e64 s15, 0, v61
	v_cmp_eq_u32_e32 vcc_lo, 0, v142
	s_and_b32 s16, s15, vcc_lo
	s_delay_alu instid0(SALU_CYCLE_1)
	s_and_saveexec_b32 s15, s16
; %bb.430:                              ;   in Loop: Header=BB1862_393 Depth=2
	v_bcnt_u32_b32 v61, v61, 0
	ds_store_b32 v143, v61 offset:1056
; %bb.431:                              ;   in Loop: Header=BB1862_393 Depth=2
	s_or_b32 exec_lo, exec_lo, s15
	v_cmp_lt_i16_e64 vcc_lo, -1, v141
	; wave barrier
	s_delay_alu instid0(VALU_DEP_1) | instskip(NEXT) | instid1(VALU_DEP_1)
	v_cndmask_b32_e64 v61, -1, 0xffff8000, vcc_lo
	v_xor_b32_e32 v141, v61, v141
	s_delay_alu instid0(VALU_DEP_1) | instskip(SKIP_1) | instid1(VALU_DEP_1)
	v_cmp_ne_u16_e64 vcc_lo, 0x7fff, v141
	v_cndmask_b32_e32 v61, 0xffff8000, v141, vcc_lo
	v_and_b32_e32 v61, 0xffff, v61
	s_delay_alu instid0(VALU_DEP_1) | instskip(NEXT) | instid1(VALU_DEP_1)
	v_lshrrev_b32_e32 v61, s48, v61
	v_and_b32_e32 v147, s52, v61
	s_delay_alu instid0(VALU_DEP_1) | instskip(SKIP_2) | instid1(VALU_DEP_3)
	v_lshlrev_b32_e32 v149, 29, v147
	v_bitop3_b32 v145, v61, 1, s52 bitop3:0x80
	v_lshlrev_b32_e32 v146, 30, v147
	v_cmp_gt_i32_e64 s16, 0, v149
	s_delay_alu instid0(VALU_DEP_3) | instskip(NEXT) | instid1(VALU_DEP_1)
	v_add_co_u32 v61, s15, v145, -1
	v_cndmask_b32_e64 v145, 0, 1, s15
	s_delay_alu instid0(VALU_DEP_4) | instskip(NEXT) | instid1(VALU_DEP_2)
	v_cmp_gt_i32_e64 s15, 0, v146
	v_cmp_ne_u32_e32 vcc_lo, 0, v145
	v_not_b32_e32 v145, v146
	v_not_b32_e32 v146, v149
	s_delay_alu instid0(VALU_DEP_1) | instskip(SKIP_2) | instid1(VALU_DEP_3)
	v_dual_ashrrev_i32 v146, 31, v146 :: v_dual_lshlrev_b32 v150, 28, v147
	v_dual_lshlrev_b32 v151, 27, v147 :: v_dual_lshlrev_b32 v153, 26, v147
	v_dual_lshlrev_b32 v154, 25, v147 :: v_dual_lshlrev_b32 v155, 24, v147
	v_cmp_gt_i32_e64 s17, 0, v150
	v_not_b32_e32 v149, v150
	s_delay_alu instid0(VALU_DEP_4)
	v_not_b32_e32 v150, v151
	v_ashrrev_i32_e32 v145, 31, v145
	v_cmp_gt_i32_e64 s18, 0, v151
	v_cmp_gt_i32_e64 s19, 0, v153
	v_not_b32_e32 v151, v153
	v_cmp_gt_i32_e64 s20, 0, v154
	v_not_b32_e32 v153, v154
	v_not_b32_e32 v154, v155
	s_delay_alu instid0(VALU_DEP_4) | instskip(SKIP_3) | instid1(VALU_DEP_3)
	v_dual_ashrrev_i32 v151, 31, v151 :: v_dual_bitop2_b32 v61, vcc_lo, v61 bitop3:0x14
	v_dual_ashrrev_i32 v149, 31, v149 :: v_dual_bitop2_b32 v146, s16, v146 bitop3:0x14
	v_dual_ashrrev_i32 v150, 31, v150 :: v_dual_bitop2_b32 v145, s15, v145 bitop3:0x14
	v_cmp_gt_i32_e64 s21, 0, v155
	v_xor_b32_e32 v149, s17, v149
	v_xor_b32_e32 v151, s19, v151
	s_delay_alu instid0(VALU_DEP_4) | instskip(SKIP_2) | instid1(VALU_DEP_2)
	v_xor_b32_e32 v150, s18, v150
	v_bitop3_b32 v61, v61, v145, exec_lo bitop3:0x80
	v_dual_ashrrev_i32 v145, 31, v153 :: v_dual_ashrrev_i32 v153, 31, v154
	v_bitop3_b32 v61, v61, v149, v146 bitop3:0x80
	v_mad_u32_u24 v146, v147, 36, v23
	s_delay_alu instid0(VALU_DEP_3) | instskip(NEXT) | instid1(VALU_DEP_4)
	v_xor_b32_e32 v149, s20, v145
	v_xor_b32_e32 v153, s21, v153
	v_mul_u32_u24_e32 v147, 36, v147
	v_bitop3_b32 v61, v61, v151, v150 bitop3:0x80
	ds_load_b32 v145, v146 offset:1056
	; wave barrier
	v_add_nc_u32_e32 v147, v23, v147
	v_bitop3_b32 v61, v61, v153, v149 bitop3:0x80
	s_delay_alu instid0(VALU_DEP_1) | instskip(SKIP_1) | instid1(VALU_DEP_2)
	v_mbcnt_lo_u32_b32 v146, v61, 0
	v_cmp_ne_u32_e64 s15, 0, v61
	v_cmp_eq_u32_e32 vcc_lo, 0, v146
	s_and_b32 s16, s15, vcc_lo
	s_delay_alu instid0(SALU_CYCLE_1)
	s_and_saveexec_b32 s15, s16
	s_cbranch_execz .LBB1862_433
; %bb.432:                              ;   in Loop: Header=BB1862_393 Depth=2
	s_wait_dscnt 0x0
	v_bcnt_u32_b32 v61, v61, v145
	ds_store_b32 v147, v61 offset:1056
.LBB1862_433:                           ;   in Loop: Header=BB1862_393 Depth=2
	s_or_b32 exec_lo, exec_lo, s15
	v_cmp_lt_i16_e64 vcc_lo, -1, v144
	; wave barrier
	s_delay_alu instid0(VALU_DEP_1) | instskip(NEXT) | instid1(VALU_DEP_1)
	v_cndmask_b32_e64 v61, -1, 0xffff8000, vcc_lo
	v_xor_b32_e32 v144, v61, v144
	s_delay_alu instid0(VALU_DEP_1) | instskip(SKIP_1) | instid1(VALU_DEP_1)
	v_cmp_ne_u16_e64 vcc_lo, 0x7fff, v144
	v_cndmask_b32_e32 v61, 0xffff8000, v144, vcc_lo
	v_and_b32_e32 v61, 0xffff, v61
	s_delay_alu instid0(VALU_DEP_1) | instskip(NEXT) | instid1(VALU_DEP_1)
	v_lshrrev_b32_e32 v61, s48, v61
	v_bitop3_b32 v149, v61, 1, s52 bitop3:0x80
	v_and_b32_e32 v151, s52, v61
	s_delay_alu instid0(VALU_DEP_2) | instskip(NEXT) | instid1(VALU_DEP_1)
	v_add_co_u32 v61, s15, v149, -1
	v_cndmask_b32_e64 v149, 0, 1, s15
	s_delay_alu instid0(VALU_DEP_3) | instskip(NEXT) | instid1(VALU_DEP_2)
	v_dual_lshlrev_b32 v150, 30, v151 :: v_dual_lshlrev_b32 v153, 29, v151
	v_cmp_ne_u32_e32 vcc_lo, 0, v149
	s_delay_alu instid0(VALU_DEP_2) | instskip(SKIP_1) | instid1(VALU_DEP_4)
	v_cmp_gt_i32_e64 s15, 0, v150
	v_not_b32_e32 v149, v150
	v_not_b32_e32 v150, v153
	s_delay_alu instid0(VALU_DEP_1) | instskip(SKIP_3) | instid1(VALU_DEP_4)
	v_dual_ashrrev_i32 v150, 31, v150 :: v_dual_lshlrev_b32 v154, 28, v151
	v_dual_lshlrev_b32 v155, 27, v151 :: v_dual_lshlrev_b32 v157, 26, v151
	v_dual_lshlrev_b32 v158, 25, v151 :: v_dual_lshlrev_b32 v159, 24, v151
	v_cmp_gt_i32_e64 s16, 0, v153
	v_cmp_gt_i32_e64 s17, 0, v154
	v_not_b32_e32 v153, v154
	v_not_b32_e32 v154, v155
	v_ashrrev_i32_e32 v149, 31, v149
	v_cmp_gt_i32_e64 s18, 0, v155
	v_cmp_gt_i32_e64 s19, 0, v157
	v_not_b32_e32 v155, v157
	v_cmp_gt_i32_e64 s20, 0, v158
	v_not_b32_e32 v157, v158
	v_not_b32_e32 v158, v159
	s_delay_alu instid0(VALU_DEP_4) | instskip(SKIP_3) | instid1(VALU_DEP_3)
	v_dual_ashrrev_i32 v155, 31, v155 :: v_dual_bitop2_b32 v61, vcc_lo, v61 bitop3:0x14
	v_dual_ashrrev_i32 v153, 31, v153 :: v_dual_bitop2_b32 v150, s16, v150 bitop3:0x14
	v_dual_ashrrev_i32 v154, 31, v154 :: v_dual_bitop2_b32 v149, s15, v149 bitop3:0x14
	v_cmp_gt_i32_e64 s21, 0, v159
	v_xor_b32_e32 v153, s17, v153
	v_xor_b32_e32 v155, s19, v155
	s_delay_alu instid0(VALU_DEP_4) | instskip(SKIP_2) | instid1(VALU_DEP_2)
	v_xor_b32_e32 v154, s18, v154
	v_bitop3_b32 v61, v61, v149, exec_lo bitop3:0x80
	v_dual_ashrrev_i32 v149, 31, v157 :: v_dual_ashrrev_i32 v157, 31, v158
	v_bitop3_b32 v61, v61, v153, v150 bitop3:0x80
	v_mad_u32_u24 v150, v151, 36, v23
	s_delay_alu instid0(VALU_DEP_3) | instskip(NEXT) | instid1(VALU_DEP_4)
	v_xor_b32_e32 v153, s20, v149
	v_xor_b32_e32 v157, s21, v157
	v_mul_u32_u24_e32 v151, 36, v151
	v_bitop3_b32 v61, v61, v155, v154 bitop3:0x80
	ds_load_b32 v149, v150 offset:1056
	; wave barrier
	v_add_nc_u32_e32 v151, v23, v151
	v_bitop3_b32 v61, v61, v157, v153 bitop3:0x80
	s_delay_alu instid0(VALU_DEP_1) | instskip(SKIP_1) | instid1(VALU_DEP_2)
	v_mbcnt_lo_u32_b32 v150, v61, 0
	v_cmp_ne_u32_e64 s15, 0, v61
	v_cmp_eq_u32_e32 vcc_lo, 0, v150
	s_and_b32 s16, s15, vcc_lo
	s_delay_alu instid0(SALU_CYCLE_1)
	s_and_saveexec_b32 s15, s16
	s_cbranch_execz .LBB1862_435
; %bb.434:                              ;   in Loop: Header=BB1862_393 Depth=2
	s_wait_dscnt 0x0
	v_bcnt_u32_b32 v61, v61, v149
	ds_store_b32 v151, v61 offset:1056
.LBB1862_435:                           ;   in Loop: Header=BB1862_393 Depth=2
	s_or_b32 exec_lo, exec_lo, s15
	v_cmp_lt_i16_e64 vcc_lo, -1, v148
	; wave barrier
	s_delay_alu instid0(VALU_DEP_1) | instskip(NEXT) | instid1(VALU_DEP_1)
	v_cndmask_b32_e64 v61, -1, 0xffff8000, vcc_lo
	v_xor_b32_e32 v148, v61, v148
	s_delay_alu instid0(VALU_DEP_1) | instskip(SKIP_1) | instid1(VALU_DEP_1)
	v_cmp_ne_u16_e64 vcc_lo, 0x7fff, v148
	v_cndmask_b32_e32 v61, 0xffff8000, v148, vcc_lo
	v_and_b32_e32 v61, 0xffff, v61
	s_delay_alu instid0(VALU_DEP_1) | instskip(NEXT) | instid1(VALU_DEP_1)
	v_lshrrev_b32_e32 v61, s48, v61
	v_bitop3_b32 v153, v61, 1, s52 bitop3:0x80
	v_and_b32_e32 v155, s52, v61
	s_delay_alu instid0(VALU_DEP_2) | instskip(NEXT) | instid1(VALU_DEP_1)
	v_add_co_u32 v61, s15, v153, -1
	v_cndmask_b32_e64 v153, 0, 1, s15
	s_delay_alu instid0(VALU_DEP_3) | instskip(NEXT) | instid1(VALU_DEP_2)
	v_dual_lshlrev_b32 v154, 30, v155 :: v_dual_lshlrev_b32 v157, 29, v155
	v_cmp_ne_u32_e32 vcc_lo, 0, v153
	s_delay_alu instid0(VALU_DEP_2) | instskip(SKIP_1) | instid1(VALU_DEP_4)
	v_cmp_gt_i32_e64 s15, 0, v154
	v_not_b32_e32 v153, v154
	v_not_b32_e32 v154, v157
	s_delay_alu instid0(VALU_DEP_1) | instskip(SKIP_3) | instid1(VALU_DEP_4)
	v_dual_ashrrev_i32 v154, 31, v154 :: v_dual_lshlrev_b32 v158, 28, v155
	v_dual_lshlrev_b32 v159, 27, v155 :: v_dual_lshlrev_b32 v161, 26, v155
	v_dual_lshlrev_b32 v162, 25, v155 :: v_dual_lshlrev_b32 v163, 24, v155
	v_cmp_gt_i32_e64 s16, 0, v157
	v_cmp_gt_i32_e64 s17, 0, v158
	v_not_b32_e32 v157, v158
	v_not_b32_e32 v158, v159
	v_ashrrev_i32_e32 v153, 31, v153
	v_cmp_gt_i32_e64 s18, 0, v159
	v_cmp_gt_i32_e64 s19, 0, v161
	v_not_b32_e32 v159, v161
	v_cmp_gt_i32_e64 s20, 0, v162
	v_not_b32_e32 v161, v162
	v_not_b32_e32 v162, v163
	s_delay_alu instid0(VALU_DEP_4) | instskip(SKIP_3) | instid1(VALU_DEP_3)
	v_dual_ashrrev_i32 v159, 31, v159 :: v_dual_bitop2_b32 v61, vcc_lo, v61 bitop3:0x14
	v_dual_ashrrev_i32 v157, 31, v157 :: v_dual_bitop2_b32 v154, s16, v154 bitop3:0x14
	v_dual_ashrrev_i32 v158, 31, v158 :: v_dual_bitop2_b32 v153, s15, v153 bitop3:0x14
	v_cmp_gt_i32_e64 s21, 0, v163
	v_xor_b32_e32 v157, s17, v157
	v_xor_b32_e32 v159, s19, v159
	s_delay_alu instid0(VALU_DEP_4) | instskip(SKIP_2) | instid1(VALU_DEP_2)
	v_xor_b32_e32 v158, s18, v158
	v_bitop3_b32 v61, v61, v153, exec_lo bitop3:0x80
	v_dual_ashrrev_i32 v153, 31, v161 :: v_dual_ashrrev_i32 v161, 31, v162
	v_bitop3_b32 v61, v61, v157, v154 bitop3:0x80
	v_mad_u32_u24 v154, v155, 36, v23
	s_delay_alu instid0(VALU_DEP_3) | instskip(NEXT) | instid1(VALU_DEP_4)
	v_xor_b32_e32 v157, s20, v153
	v_xor_b32_e32 v161, s21, v161
	v_mul_u32_u24_e32 v155, 36, v155
	v_bitop3_b32 v61, v61, v159, v158 bitop3:0x80
	ds_load_b32 v153, v154 offset:1056
	; wave barrier
	v_add_nc_u32_e32 v155, v23, v155
	v_bitop3_b32 v61, v61, v161, v157 bitop3:0x80
	s_delay_alu instid0(VALU_DEP_1) | instskip(SKIP_1) | instid1(VALU_DEP_2)
	v_mbcnt_lo_u32_b32 v154, v61, 0
	v_cmp_ne_u32_e64 s15, 0, v61
	v_cmp_eq_u32_e32 vcc_lo, 0, v154
	s_and_b32 s16, s15, vcc_lo
	s_delay_alu instid0(SALU_CYCLE_1)
	s_and_saveexec_b32 s15, s16
	s_cbranch_execz .LBB1862_437
; %bb.436:                              ;   in Loop: Header=BB1862_393 Depth=2
	s_wait_dscnt 0x0
	v_bcnt_u32_b32 v61, v61, v153
	ds_store_b32 v155, v61 offset:1056
.LBB1862_437:                           ;   in Loop: Header=BB1862_393 Depth=2
	s_or_b32 exec_lo, exec_lo, s15
	v_cmp_lt_i16_e64 vcc_lo, -1, v152
	; wave barrier
	s_delay_alu instid0(VALU_DEP_1) | instskip(NEXT) | instid1(VALU_DEP_1)
	v_cndmask_b32_e64 v61, -1, 0xffff8000, vcc_lo
	v_xor_b32_e32 v152, v61, v152
	s_delay_alu instid0(VALU_DEP_1) | instskip(SKIP_1) | instid1(VALU_DEP_1)
	v_cmp_ne_u16_e64 vcc_lo, 0x7fff, v152
	v_cndmask_b32_e32 v61, 0xffff8000, v152, vcc_lo
	v_and_b32_e32 v61, 0xffff, v61
	s_delay_alu instid0(VALU_DEP_1) | instskip(NEXT) | instid1(VALU_DEP_1)
	v_lshrrev_b32_e32 v61, s48, v61
	v_bitop3_b32 v157, v61, 1, s52 bitop3:0x80
	v_and_b32_e32 v159, s52, v61
	s_delay_alu instid0(VALU_DEP_2) | instskip(NEXT) | instid1(VALU_DEP_1)
	v_add_co_u32 v61, s15, v157, -1
	v_cndmask_b32_e64 v157, 0, 1, s15
	s_delay_alu instid0(VALU_DEP_3) | instskip(NEXT) | instid1(VALU_DEP_2)
	v_dual_lshlrev_b32 v158, 30, v159 :: v_dual_lshlrev_b32 v161, 29, v159
	v_cmp_ne_u32_e32 vcc_lo, 0, v157
	s_delay_alu instid0(VALU_DEP_2) | instskip(SKIP_1) | instid1(VALU_DEP_4)
	v_cmp_gt_i32_e64 s15, 0, v158
	v_not_b32_e32 v157, v158
	v_not_b32_e32 v158, v161
	s_delay_alu instid0(VALU_DEP_1) | instskip(SKIP_3) | instid1(VALU_DEP_4)
	v_dual_ashrrev_i32 v158, 31, v158 :: v_dual_lshlrev_b32 v162, 28, v159
	v_dual_lshlrev_b32 v163, 27, v159 :: v_dual_lshlrev_b32 v165, 26, v159
	v_dual_lshlrev_b32 v166, 25, v159 :: v_dual_lshlrev_b32 v167, 24, v159
	v_cmp_gt_i32_e64 s16, 0, v161
	v_cmp_gt_i32_e64 s17, 0, v162
	v_not_b32_e32 v161, v162
	v_not_b32_e32 v162, v163
	v_ashrrev_i32_e32 v157, 31, v157
	v_cmp_gt_i32_e64 s18, 0, v163
	v_cmp_gt_i32_e64 s19, 0, v165
	v_not_b32_e32 v163, v165
	v_cmp_gt_i32_e64 s20, 0, v166
	v_not_b32_e32 v165, v166
	v_not_b32_e32 v166, v167
	s_delay_alu instid0(VALU_DEP_4) | instskip(SKIP_3) | instid1(VALU_DEP_3)
	v_dual_ashrrev_i32 v163, 31, v163 :: v_dual_bitop2_b32 v61, vcc_lo, v61 bitop3:0x14
	v_dual_ashrrev_i32 v161, 31, v161 :: v_dual_bitop2_b32 v158, s16, v158 bitop3:0x14
	v_dual_ashrrev_i32 v162, 31, v162 :: v_dual_bitop2_b32 v157, s15, v157 bitop3:0x14
	v_cmp_gt_i32_e64 s21, 0, v167
	v_xor_b32_e32 v161, s17, v161
	v_xor_b32_e32 v163, s19, v163
	s_delay_alu instid0(VALU_DEP_4) | instskip(SKIP_2) | instid1(VALU_DEP_2)
	v_xor_b32_e32 v162, s18, v162
	v_bitop3_b32 v61, v61, v157, exec_lo bitop3:0x80
	v_dual_ashrrev_i32 v157, 31, v165 :: v_dual_ashrrev_i32 v165, 31, v166
	v_bitop3_b32 v61, v61, v161, v158 bitop3:0x80
	v_mad_u32_u24 v158, v159, 36, v23
	s_delay_alu instid0(VALU_DEP_3) | instskip(NEXT) | instid1(VALU_DEP_4)
	v_xor_b32_e32 v161, s20, v157
	v_xor_b32_e32 v165, s21, v165
	v_mul_u32_u24_e32 v159, 36, v159
	v_bitop3_b32 v61, v61, v163, v162 bitop3:0x80
	ds_load_b32 v157, v158 offset:1056
	; wave barrier
	v_add_nc_u32_e32 v159, v23, v159
	v_bitop3_b32 v61, v61, v165, v161 bitop3:0x80
	s_delay_alu instid0(VALU_DEP_1) | instskip(SKIP_1) | instid1(VALU_DEP_2)
	v_mbcnt_lo_u32_b32 v158, v61, 0
	v_cmp_ne_u32_e64 s15, 0, v61
	v_cmp_eq_u32_e32 vcc_lo, 0, v158
	s_and_b32 s16, s15, vcc_lo
	s_delay_alu instid0(SALU_CYCLE_1)
	s_and_saveexec_b32 s15, s16
	s_cbranch_execz .LBB1862_439
; %bb.438:                              ;   in Loop: Header=BB1862_393 Depth=2
	s_wait_dscnt 0x0
	v_bcnt_u32_b32 v61, v61, v157
	ds_store_b32 v159, v61 offset:1056
.LBB1862_439:                           ;   in Loop: Header=BB1862_393 Depth=2
	s_or_b32 exec_lo, exec_lo, s15
	v_cmp_lt_i16_e64 vcc_lo, -1, v156
	; wave barrier
	s_delay_alu instid0(VALU_DEP_1) | instskip(NEXT) | instid1(VALU_DEP_1)
	v_cndmask_b32_e64 v61, -1, 0xffff8000, vcc_lo
	v_xor_b32_e32 v156, v61, v156
	s_delay_alu instid0(VALU_DEP_1) | instskip(SKIP_1) | instid1(VALU_DEP_1)
	v_cmp_ne_u16_e64 vcc_lo, 0x7fff, v156
	v_cndmask_b32_e32 v61, 0xffff8000, v156, vcc_lo
	v_and_b32_e32 v61, 0xffff, v61
	s_delay_alu instid0(VALU_DEP_1) | instskip(NEXT) | instid1(VALU_DEP_1)
	v_lshrrev_b32_e32 v61, s48, v61
	v_bitop3_b32 v161, v61, 1, s52 bitop3:0x80
	v_and_b32_e32 v163, s52, v61
	s_delay_alu instid0(VALU_DEP_2) | instskip(NEXT) | instid1(VALU_DEP_1)
	v_add_co_u32 v61, s15, v161, -1
	v_cndmask_b32_e64 v161, 0, 1, s15
	s_delay_alu instid0(VALU_DEP_3) | instskip(NEXT) | instid1(VALU_DEP_2)
	v_dual_lshlrev_b32 v162, 30, v163 :: v_dual_lshlrev_b32 v165, 29, v163
	v_cmp_ne_u32_e32 vcc_lo, 0, v161
	s_delay_alu instid0(VALU_DEP_2) | instskip(SKIP_1) | instid1(VALU_DEP_4)
	v_cmp_gt_i32_e64 s15, 0, v162
	v_not_b32_e32 v161, v162
	v_not_b32_e32 v162, v165
	s_delay_alu instid0(VALU_DEP_1) | instskip(SKIP_3) | instid1(VALU_DEP_4)
	v_dual_ashrrev_i32 v162, 31, v162 :: v_dual_lshlrev_b32 v166, 28, v163
	v_dual_lshlrev_b32 v167, 27, v163 :: v_dual_lshlrev_b32 v169, 26, v163
	v_dual_lshlrev_b32 v170, 25, v163 :: v_dual_lshlrev_b32 v171, 24, v163
	v_cmp_gt_i32_e64 s16, 0, v165
	v_cmp_gt_i32_e64 s17, 0, v166
	v_not_b32_e32 v165, v166
	v_not_b32_e32 v166, v167
	v_ashrrev_i32_e32 v161, 31, v161
	v_cmp_gt_i32_e64 s18, 0, v167
	v_cmp_gt_i32_e64 s19, 0, v169
	v_not_b32_e32 v167, v169
	v_cmp_gt_i32_e64 s20, 0, v170
	v_not_b32_e32 v169, v170
	v_not_b32_e32 v170, v171
	s_delay_alu instid0(VALU_DEP_4) | instskip(SKIP_3) | instid1(VALU_DEP_3)
	v_dual_ashrrev_i32 v167, 31, v167 :: v_dual_bitop2_b32 v61, vcc_lo, v61 bitop3:0x14
	v_dual_ashrrev_i32 v165, 31, v165 :: v_dual_bitop2_b32 v162, s16, v162 bitop3:0x14
	v_dual_ashrrev_i32 v166, 31, v166 :: v_dual_bitop2_b32 v161, s15, v161 bitop3:0x14
	v_cmp_gt_i32_e64 s21, 0, v171
	v_xor_b32_e32 v165, s17, v165
	v_xor_b32_e32 v167, s19, v167
	s_delay_alu instid0(VALU_DEP_4) | instskip(SKIP_2) | instid1(VALU_DEP_2)
	v_xor_b32_e32 v166, s18, v166
	v_bitop3_b32 v61, v61, v161, exec_lo bitop3:0x80
	v_dual_ashrrev_i32 v161, 31, v169 :: v_dual_ashrrev_i32 v169, 31, v170
	v_bitop3_b32 v61, v61, v165, v162 bitop3:0x80
	v_mad_u32_u24 v162, v163, 36, v23
	s_delay_alu instid0(VALU_DEP_3) | instskip(NEXT) | instid1(VALU_DEP_4)
	v_xor_b32_e32 v165, s20, v161
	v_xor_b32_e32 v169, s21, v169
	v_mul_u32_u24_e32 v163, 36, v163
	v_bitop3_b32 v61, v61, v167, v166 bitop3:0x80
	ds_load_b32 v161, v162 offset:1056
	; wave barrier
	v_add_nc_u32_e32 v163, v23, v163
	v_bitop3_b32 v61, v61, v169, v165 bitop3:0x80
	s_delay_alu instid0(VALU_DEP_1) | instskip(SKIP_1) | instid1(VALU_DEP_2)
	v_mbcnt_lo_u32_b32 v162, v61, 0
	v_cmp_ne_u32_e64 s15, 0, v61
	v_cmp_eq_u32_e32 vcc_lo, 0, v162
	s_and_b32 s16, s15, vcc_lo
	s_delay_alu instid0(SALU_CYCLE_1)
	s_and_saveexec_b32 s15, s16
	s_cbranch_execz .LBB1862_441
; %bb.440:                              ;   in Loop: Header=BB1862_393 Depth=2
	s_wait_dscnt 0x0
	v_bcnt_u32_b32 v61, v61, v161
	ds_store_b32 v163, v61 offset:1056
.LBB1862_441:                           ;   in Loop: Header=BB1862_393 Depth=2
	s_or_b32 exec_lo, exec_lo, s15
	v_cmp_lt_i16_e64 vcc_lo, -1, v160
	; wave barrier
	s_delay_alu instid0(VALU_DEP_1) | instskip(NEXT) | instid1(VALU_DEP_1)
	v_cndmask_b32_e64 v61, -1, 0xffff8000, vcc_lo
	v_xor_b32_e32 v160, v61, v160
	s_delay_alu instid0(VALU_DEP_1) | instskip(SKIP_1) | instid1(VALU_DEP_1)
	v_cmp_ne_u16_e64 vcc_lo, 0x7fff, v160
	v_cndmask_b32_e32 v61, 0xffff8000, v160, vcc_lo
	v_and_b32_e32 v61, 0xffff, v61
	s_delay_alu instid0(VALU_DEP_1) | instskip(NEXT) | instid1(VALU_DEP_1)
	v_lshrrev_b32_e32 v61, s48, v61
	v_bitop3_b32 v165, v61, 1, s52 bitop3:0x80
	v_and_b32_e32 v167, s52, v61
	s_delay_alu instid0(VALU_DEP_2) | instskip(NEXT) | instid1(VALU_DEP_1)
	v_add_co_u32 v61, s15, v165, -1
	v_cndmask_b32_e64 v165, 0, 1, s15
	s_delay_alu instid0(VALU_DEP_3) | instskip(NEXT) | instid1(VALU_DEP_2)
	v_dual_lshlrev_b32 v166, 30, v167 :: v_dual_lshlrev_b32 v169, 29, v167
	v_cmp_ne_u32_e32 vcc_lo, 0, v165
	s_delay_alu instid0(VALU_DEP_2) | instskip(SKIP_1) | instid1(VALU_DEP_4)
	v_cmp_gt_i32_e64 s15, 0, v166
	v_not_b32_e32 v165, v166
	v_not_b32_e32 v166, v169
	s_delay_alu instid0(VALU_DEP_1) | instskip(SKIP_3) | instid1(VALU_DEP_4)
	v_dual_ashrrev_i32 v166, 31, v166 :: v_dual_lshlrev_b32 v170, 28, v167
	v_dual_lshlrev_b32 v171, 27, v167 :: v_dual_lshlrev_b32 v172, 26, v167
	v_cmp_gt_i32_e64 s16, 0, v169
	v_dual_lshlrev_b32 v173, 25, v167 :: v_dual_lshlrev_b32 v174, 24, v167
	v_cmp_gt_i32_e64 s17, 0, v170
	v_not_b32_e32 v169, v170
	v_not_b32_e32 v170, v171
	v_ashrrev_i32_e32 v165, 31, v165
	v_cmp_gt_i32_e64 s18, 0, v171
	v_not_b32_e32 v171, v172
	v_xor_b32_e32 v61, vcc_lo, v61
	v_dual_ashrrev_i32 v169, 31, v169 :: v_dual_bitop2_b32 v166, s16, v166 bitop3:0x14
	v_dual_ashrrev_i32 v170, 31, v170 :: v_dual_bitop2_b32 v165, s15, v165 bitop3:0x14
	v_cmp_gt_i32_e64 s19, 0, v172
	v_cmp_gt_i32_e64 s20, 0, v173
	v_not_b32_e32 v172, v173
	v_not_b32_e32 v173, v174
	v_dual_ashrrev_i32 v171, 31, v171 :: v_dual_bitop2_b32 v169, s17, v169 bitop3:0x14
	v_bitop3_b32 v61, v61, v165, exec_lo bitop3:0x80
	v_cmp_gt_i32_e64 s21, 0, v174
	s_delay_alu instid0(VALU_DEP_4)
	v_dual_ashrrev_i32 v165, 31, v172 :: v_dual_ashrrev_i32 v172, 31, v173
	v_xor_b32_e32 v170, s18, v170
	v_xor_b32_e32 v171, s19, v171
	v_bitop3_b32 v61, v61, v169, v166 bitop3:0x80
	v_mad_u32_u24 v166, v167, 36, v23
	v_xor_b32_e32 v169, s20, v165
	v_xor_b32_e32 v172, s21, v172
	v_mul_u32_u24_e32 v167, 36, v167
	v_bitop3_b32 v61, v61, v171, v170 bitop3:0x80
	ds_load_b32 v165, v166 offset:1056
	; wave barrier
	v_add_nc_u32_e32 v167, v23, v167
	v_bitop3_b32 v61, v61, v172, v169 bitop3:0x80
	s_delay_alu instid0(VALU_DEP_1) | instskip(SKIP_1) | instid1(VALU_DEP_2)
	v_mbcnt_lo_u32_b32 v166, v61, 0
	v_cmp_ne_u32_e64 s15, 0, v61
	v_cmp_eq_u32_e32 vcc_lo, 0, v166
	s_and_b32 s16, s15, vcc_lo
	s_delay_alu instid0(SALU_CYCLE_1)
	s_and_saveexec_b32 s15, s16
	s_cbranch_execz .LBB1862_443
; %bb.442:                              ;   in Loop: Header=BB1862_393 Depth=2
	s_wait_dscnt 0x0
	v_bcnt_u32_b32 v61, v61, v165
	ds_store_b32 v167, v61 offset:1056
.LBB1862_443:                           ;   in Loop: Header=BB1862_393 Depth=2
	s_or_b32 exec_lo, exec_lo, s15
	v_cmp_lt_i16_e64 vcc_lo, -1, v164
	; wave barrier
	s_delay_alu instid0(VALU_DEP_1) | instskip(NEXT) | instid1(VALU_DEP_1)
	v_cndmask_b32_e64 v61, -1, 0xffff8000, vcc_lo
	v_xor_b32_e32 v164, v61, v164
	s_delay_alu instid0(VALU_DEP_1) | instskip(SKIP_1) | instid1(VALU_DEP_1)
	v_cmp_ne_u16_e64 vcc_lo, 0x7fff, v164
	v_cndmask_b32_e32 v61, 0xffff8000, v164, vcc_lo
	v_and_b32_e32 v61, 0xffff, v61
	s_delay_alu instid0(VALU_DEP_1) | instskip(NEXT) | instid1(VALU_DEP_1)
	v_lshrrev_b32_e32 v61, s48, v61
	v_bitop3_b32 v169, v61, 1, s52 bitop3:0x80
	v_and_b32_e32 v171, s52, v61
	s_delay_alu instid0(VALU_DEP_2) | instskip(NEXT) | instid1(VALU_DEP_1)
	v_add_co_u32 v61, s15, v169, -1
	v_cndmask_b32_e64 v169, 0, 1, s15
	s_delay_alu instid0(VALU_DEP_3) | instskip(NEXT) | instid1(VALU_DEP_2)
	v_dual_lshlrev_b32 v170, 30, v171 :: v_dual_lshlrev_b32 v172, 29, v171
	v_cmp_ne_u32_e32 vcc_lo, 0, v169
	s_delay_alu instid0(VALU_DEP_2) | instskip(SKIP_1) | instid1(VALU_DEP_4)
	v_cmp_gt_i32_e64 s15, 0, v170
	v_not_b32_e32 v169, v170
	v_not_b32_e32 v170, v172
	s_delay_alu instid0(VALU_DEP_1) | instskip(SKIP_3) | instid1(VALU_DEP_4)
	v_dual_ashrrev_i32 v170, 31, v170 :: v_dual_lshlrev_b32 v173, 28, v171
	v_dual_lshlrev_b32 v174, 27, v171 :: v_dual_lshlrev_b32 v175, 26, v171
	v_dual_lshlrev_b32 v176, 25, v171 :: v_dual_lshlrev_b32 v177, 24, v171
	v_cmp_gt_i32_e64 s16, 0, v172
	v_not_b32_e32 v172, v173
	v_ashrrev_i32_e32 v169, 31, v169
	v_cmp_gt_i32_e64 s17, 0, v173
	v_cmp_gt_i32_e64 s18, 0, v174
	v_not_b32_e32 v173, v174
	v_cmp_gt_i32_e64 s19, 0, v175
	v_not_b32_e32 v174, v175
	;; [unrolled: 2-line block ×3, first 2 shown]
	v_not_b32_e32 v176, v177
	s_delay_alu instid0(VALU_DEP_4) | instskip(SKIP_3) | instid1(VALU_DEP_3)
	v_dual_ashrrev_i32 v174, 31, v174 :: v_dual_bitop2_b32 v61, vcc_lo, v61 bitop3:0x14
	v_dual_ashrrev_i32 v172, 31, v172 :: v_dual_bitop2_b32 v169, s15, v169 bitop3:0x14
	v_dual_ashrrev_i32 v173, 31, v173 :: v_dual_bitop2_b32 v170, s16, v170 bitop3:0x14
	v_cmp_gt_i32_e64 s21, 0, v177
	v_xor_b32_e32 v172, s17, v172
	s_delay_alu instid0(VALU_DEP_4) | instskip(SKIP_2) | instid1(VALU_DEP_3)
	v_bitop3_b32 v61, v61, v169, exec_lo bitop3:0x80
	v_dual_ashrrev_i32 v169, 31, v175 :: v_dual_ashrrev_i32 v175, 31, v176
	v_xor_b32_e32 v174, s19, v174
	v_bitop3_b32 v61, v61, v172, v170 bitop3:0x80
	v_mad_u32_u24 v170, v171, 36, v23
	v_mul_u32_u24_e32 v171, 36, v171
	v_xor_b32_e32 v173, s18, v173
	v_xor_b32_e32 v172, s20, v169
	v_xor_b32_e32 v175, s21, v175
	ds_load_b32 v169, v170 offset:1056
	v_add_nc_u32_e32 v171, v23, v171
	v_bitop3_b32 v61, v61, v174, v173 bitop3:0x80
	; wave barrier
	s_delay_alu instid0(VALU_DEP_1) | instskip(NEXT) | instid1(VALU_DEP_1)
	v_bitop3_b32 v61, v61, v175, v172 bitop3:0x80
	v_mbcnt_lo_u32_b32 v170, v61, 0
	v_cmp_ne_u32_e64 s15, 0, v61
	s_delay_alu instid0(VALU_DEP_2) | instskip(SKIP_1) | instid1(SALU_CYCLE_1)
	v_cmp_eq_u32_e32 vcc_lo, 0, v170
	s_and_b32 s16, s15, vcc_lo
	s_and_saveexec_b32 s15, s16
	s_cbranch_execz .LBB1862_445
; %bb.444:                              ;   in Loop: Header=BB1862_393 Depth=2
	s_wait_dscnt 0x0
	v_bcnt_u32_b32 v61, v61, v169
	ds_store_b32 v171, v61 offset:1056
.LBB1862_445:                           ;   in Loop: Header=BB1862_393 Depth=2
	s_or_b32 exec_lo, exec_lo, s15
	v_cmp_lt_i16_e64 vcc_lo, -1, v168
	; wave barrier
	s_delay_alu instid0(VALU_DEP_1) | instskip(NEXT) | instid1(VALU_DEP_1)
	v_cndmask_b32_e64 v61, -1, 0xffff8000, vcc_lo
	v_xor_b32_e32 v168, v61, v168
	s_delay_alu instid0(VALU_DEP_1) | instskip(SKIP_1) | instid1(VALU_DEP_1)
	v_cmp_ne_u16_e64 vcc_lo, 0x7fff, v168
	v_cndmask_b32_e32 v61, 0xffff8000, v168, vcc_lo
	v_and_b32_e32 v61, 0xffff, v61
	s_delay_alu instid0(VALU_DEP_1) | instskip(NEXT) | instid1(VALU_DEP_1)
	v_lshrrev_b32_e32 v61, s48, v61
	v_bitop3_b32 v172, v61, 1, s52 bitop3:0x80
	v_and_b32_e32 v175, s52, v61
	s_delay_alu instid0(VALU_DEP_2) | instskip(NEXT) | instid1(VALU_DEP_1)
	v_add_co_u32 v61, s15, v172, -1
	v_cndmask_b32_e64 v172, 0, 1, s15
	s_delay_alu instid0(VALU_DEP_3) | instskip(NEXT) | instid1(VALU_DEP_2)
	v_lshlrev_b32_e32 v173, 30, v175
	v_cmp_ne_u32_e32 vcc_lo, 0, v172
	s_delay_alu instid0(VALU_DEP_2) | instskip(NEXT) | instid1(VALU_DEP_1)
	v_not_b32_e32 v172, v173
	v_dual_ashrrev_i32 v172, 31, v172 :: v_dual_lshlrev_b32 v174, 29, v175
	v_dual_lshlrev_b32 v176, 28, v175 :: v_dual_lshlrev_b32 v177, 27, v175
	v_lshlrev_b32_e32 v178, 26, v175
	v_cmp_gt_i32_e64 s15, 0, v173
	s_delay_alu instid0(VALU_DEP_4)
	v_cmp_gt_i32_e64 s16, 0, v174
	v_not_b32_e32 v173, v174
	v_not_b32_e32 v174, v176
	v_dual_lshlrev_b32 v179, 25, v175 :: v_dual_lshlrev_b32 v180, 24, v175
	v_cmp_gt_i32_e64 s17, 0, v176
	v_cmp_gt_i32_e64 s18, 0, v177
	v_not_b32_e32 v176, v177
	v_not_b32_e32 v177, v178
	v_dual_ashrrev_i32 v174, 31, v174 :: v_dual_bitop2_b32 v61, vcc_lo, v61 bitop3:0x14
	v_dual_ashrrev_i32 v173, 31, v173 :: v_dual_bitop2_b32 v172, s15, v172 bitop3:0x14
	v_cmp_gt_i32_e64 s19, 0, v178
	v_cmp_gt_i32_e64 s20, 0, v179
	v_not_b32_e32 v178, v179
	v_not_b32_e32 v179, v180
	v_dual_ashrrev_i32 v176, 31, v176 :: v_dual_ashrrev_i32 v177, 31, v177
	v_xor_b32_e32 v173, s16, v173
	v_xor_b32_e32 v174, s17, v174
	v_bitop3_b32 v61, v61, v172, exec_lo bitop3:0x80
	v_cmp_gt_i32_e64 s21, 0, v180
	v_dual_ashrrev_i32 v172, 31, v178 :: v_dual_ashrrev_i32 v178, 31, v179
	v_xor_b32_e32 v176, s18, v176
	v_xor_b32_e32 v177, s19, v177
	v_bitop3_b32 v61, v61, v174, v173 bitop3:0x80
	v_mad_u32_u24 v173, v175, 36, v23
	v_xor_b32_e32 v172, s20, v172
	v_xor_b32_e32 v174, s21, v178
	s_delay_alu instid0(VALU_DEP_4) | instskip(SKIP_3) | instid1(VALU_DEP_2)
	v_bitop3_b32 v61, v61, v177, v176 bitop3:0x80
	ds_load_b32 v173, v173 offset:1056
	; wave barrier
	v_bitop3_b32 v61, v61, v174, v172 bitop3:0x80
	v_mul_u32_u24_e32 v172, 36, v175
	v_mbcnt_lo_u32_b32 v174, v61, 0
	v_cmp_ne_u32_e64 s15, 0, v61
	s_delay_alu instid0(VALU_DEP_3) | instskip(NEXT) | instid1(VALU_DEP_3)
	v_add_nc_u32_e32 v175, v23, v172
	v_cmp_eq_u32_e32 vcc_lo, 0, v174
	s_and_b32 s16, s15, vcc_lo
	s_delay_alu instid0(SALU_CYCLE_1)
	s_and_saveexec_b32 s15, s16
	s_cbranch_execz .LBB1862_447
; %bb.446:                              ;   in Loop: Header=BB1862_393 Depth=2
	s_wait_dscnt 0x0
	v_bcnt_u32_b32 v61, v61, v173
	ds_store_b32 v175, v61 offset:1056
.LBB1862_447:                           ;   in Loop: Header=BB1862_393 Depth=2
	s_or_b32 exec_lo, exec_lo, s15
	v_cmp_lt_i16_e32 vcc_lo, -1, v67
	; wave barrier
	v_cndmask_b32_e64 v61, -1, 0xffff8000, vcc_lo
	s_delay_alu instid0(VALU_DEP_1) | instskip(NEXT) | instid1(VALU_DEP_1)
	v_xor_b32_e32 v172, v61, v67
	v_cmp_ne_u16_e64 vcc_lo, 0x7fff, v172
	v_cndmask_b32_e32 v61, 0xffff8000, v172, vcc_lo
	s_delay_alu instid0(VALU_DEP_1) | instskip(NEXT) | instid1(VALU_DEP_1)
	v_and_b32_e32 v61, 0xffff, v61
	v_lshrrev_b32_e32 v61, s48, v61
	s_delay_alu instid0(VALU_DEP_1) | instskip(SKIP_1) | instid1(VALU_DEP_2)
	v_bitop3_b32 v67, v61, 1, s52 bitop3:0x80
	v_and_b32_e32 v176, s52, v61
	v_add_co_u32 v61, s15, v67, -1
	s_delay_alu instid0(VALU_DEP_1) | instskip(NEXT) | instid1(VALU_DEP_3)
	v_cndmask_b32_e64 v67, 0, 1, s15
	v_lshlrev_b32_e32 v177, 30, v176
	s_delay_alu instid0(VALU_DEP_2) | instskip(NEXT) | instid1(VALU_DEP_2)
	v_cmp_ne_u32_e32 vcc_lo, 0, v67
	v_not_b32_e32 v67, v177
	s_delay_alu instid0(VALU_DEP_1) | instskip(SKIP_4) | instid1(VALU_DEP_4)
	v_dual_ashrrev_i32 v67, 31, v67 :: v_dual_bitop2_b32 v61, vcc_lo, v61 bitop3:0x14
	v_dual_lshlrev_b32 v178, 29, v176 :: v_dual_lshlrev_b32 v179, 28, v176
	v_dual_lshlrev_b32 v180, 27, v176 :: v_dual_lshlrev_b32 v181, 26, v176
	v_lshlrev_b32_e32 v182, 25, v176
	v_cmp_gt_i32_e64 s15, 0, v177
	v_cmp_gt_i32_e64 s16, 0, v178
	v_not_b32_e32 v177, v178
	v_not_b32_e32 v178, v179
	v_lshlrev_b32_e32 v183, 24, v176
	v_cmp_gt_i32_e64 s17, 0, v179
	v_cmp_gt_i32_e64 s18, 0, v180
	v_not_b32_e32 v179, v180
	v_not_b32_e32 v180, v181
	v_dual_ashrrev_i32 v177, 31, v177 :: v_dual_bitop2_b32 v67, s15, v67 bitop3:0x14
	v_ashrrev_i32_e32 v178, 31, v178
	v_cmp_gt_i32_e64 s19, 0, v181
	v_cmp_gt_i32_e64 s20, 0, v182
	v_not_b32_e32 v181, v182
	v_not_b32_e32 v182, v183
	v_dual_ashrrev_i32 v179, 31, v179 :: v_dual_ashrrev_i32 v180, 31, v180
	v_xor_b32_e32 v177, s16, v177
	v_xor_b32_e32 v178, s17, v178
	v_bitop3_b32 v61, v61, v67, exec_lo bitop3:0x80
	v_cmp_gt_i32_e64 s21, 0, v183
	v_dual_ashrrev_i32 v67, 31, v181 :: v_dual_ashrrev_i32 v181, 31, v182
	v_xor_b32_e32 v179, s18, v179
	v_xor_b32_e32 v180, s19, v180
	v_bitop3_b32 v61, v61, v178, v177 bitop3:0x80
	v_mad_u32_u24 v177, v176, 36, v23
	v_xor_b32_e32 v67, s20, v67
	v_xor_b32_e32 v178, s21, v181
	s_delay_alu instid0(VALU_DEP_4) | instskip(SKIP_3) | instid1(VALU_DEP_2)
	v_bitop3_b32 v61, v61, v180, v179 bitop3:0x80
	ds_load_b32 v177, v177 offset:1056
	; wave barrier
	v_bitop3_b32 v61, v61, v178, v67 bitop3:0x80
	v_mul_u32_u24_e32 v67, 36, v176
	v_mbcnt_lo_u32_b32 v178, v61, 0
	v_cmp_ne_u32_e64 s15, 0, v61
	s_delay_alu instid0(VALU_DEP_3) | instskip(NEXT) | instid1(VALU_DEP_3)
	v_add_nc_u32_e32 v179, v23, v67
	v_cmp_eq_u32_e32 vcc_lo, 0, v178
	s_and_b32 s16, s15, vcc_lo
	s_delay_alu instid0(SALU_CYCLE_1)
	s_and_saveexec_b32 s15, s16
	s_cbranch_execz .LBB1862_449
; %bb.448:                              ;   in Loop: Header=BB1862_393 Depth=2
	s_wait_dscnt 0x0
	v_bcnt_u32_b32 v61, v61, v177
	ds_store_b32 v179, v61 offset:1056
.LBB1862_449:                           ;   in Loop: Header=BB1862_393 Depth=2
	s_or_b32 exec_lo, exec_lo, s15
	v_cmp_lt_i16_e32 vcc_lo, -1, v66
	; wave barrier
	v_cndmask_b32_e64 v61, -1, 0xffff8000, vcc_lo
	s_delay_alu instid0(VALU_DEP_1) | instskip(NEXT) | instid1(VALU_DEP_1)
	v_xor_b32_e32 v176, v61, v66
	v_cmp_ne_u16_e64 vcc_lo, 0x7fff, v176
	v_cndmask_b32_e32 v61, 0xffff8000, v176, vcc_lo
	s_delay_alu instid0(VALU_DEP_1) | instskip(NEXT) | instid1(VALU_DEP_1)
	v_and_b32_e32 v61, 0xffff, v61
	v_lshrrev_b32_e32 v61, s48, v61
	s_delay_alu instid0(VALU_DEP_1) | instskip(SKIP_1) | instid1(VALU_DEP_2)
	v_bitop3_b32 v66, v61, 1, s52 bitop3:0x80
	v_and_b32_e32 v67, s52, v61
	v_add_co_u32 v61, s15, v66, -1
	s_delay_alu instid0(VALU_DEP_1) | instskip(NEXT) | instid1(VALU_DEP_3)
	v_cndmask_b32_e64 v66, 0, 1, s15
	v_lshlrev_b32_e32 v180, 30, v67
	s_delay_alu instid0(VALU_DEP_2) | instskip(NEXT) | instid1(VALU_DEP_2)
	v_cmp_ne_u32_e32 vcc_lo, 0, v66
	v_not_b32_e32 v66, v180
	v_cmp_gt_i32_e64 s15, 0, v180
	s_delay_alu instid0(VALU_DEP_2) | instskip(SKIP_3) | instid1(VALU_DEP_4)
	v_dual_ashrrev_i32 v66, 31, v66 :: v_dual_lshlrev_b32 v181, 29, v67
	v_dual_lshlrev_b32 v182, 28, v67 :: v_dual_lshlrev_b32 v183, 27, v67
	v_dual_lshlrev_b32 v184, 26, v67 :: v_dual_lshlrev_b32 v185, 25, v67
	v_lshlrev_b32_e32 v186, 24, v67
	v_cmp_gt_i32_e64 s16, 0, v181
	v_not_b32_e32 v180, v181
	v_not_b32_e32 v181, v182
	v_cmp_gt_i32_e64 s17, 0, v182
	v_cmp_gt_i32_e64 s18, 0, v183
	v_not_b32_e32 v182, v183
	v_not_b32_e32 v183, v184
	v_dual_ashrrev_i32 v180, 31, v180 :: v_dual_bitop2_b32 v61, vcc_lo, v61 bitop3:0x14
	v_dual_ashrrev_i32 v181, 31, v181 :: v_dual_bitop2_b32 v66, s15, v66 bitop3:0x14
	v_cmp_gt_i32_e64 s19, 0, v184
	v_cmp_gt_i32_e64 s20, 0, v185
	v_not_b32_e32 v184, v185
	v_not_b32_e32 v185, v186
	v_dual_ashrrev_i32 v182, 31, v182 :: v_dual_ashrrev_i32 v183, 31, v183
	v_xor_b32_e32 v180, s16, v180
	v_xor_b32_e32 v181, s17, v181
	v_bitop3_b32 v61, v61, v66, exec_lo bitop3:0x80
	v_cmp_gt_i32_e64 s21, 0, v186
	v_dual_ashrrev_i32 v66, 31, v184 :: v_dual_ashrrev_i32 v184, 31, v185
	v_xor_b32_e32 v182, s18, v182
	v_xor_b32_e32 v183, s19, v183
	v_bitop3_b32 v61, v61, v181, v180 bitop3:0x80
	v_mad_u32_u24 v180, v67, 36, v23
	v_xor_b32_e32 v66, s20, v66
	v_xor_b32_e32 v184, s21, v184
	s_delay_alu instid0(VALU_DEP_4) | instskip(SKIP_3) | instid1(VALU_DEP_2)
	v_bitop3_b32 v61, v61, v183, v182 bitop3:0x80
	ds_load_b32 v181, v180 offset:1056
	; wave barrier
	v_bitop3_b32 v61, v61, v184, v66 bitop3:0x80
	v_mul_u32_u24_e32 v66, 36, v67
	v_mbcnt_lo_u32_b32 v182, v61, 0
	v_cmp_ne_u32_e64 s15, 0, v61
	s_delay_alu instid0(VALU_DEP_3) | instskip(NEXT) | instid1(VALU_DEP_3)
	v_add_nc_u32_e32 v183, v23, v66
	v_cmp_eq_u32_e32 vcc_lo, 0, v182
	s_and_b32 s16, s15, vcc_lo
	s_delay_alu instid0(SALU_CYCLE_1)
	s_and_saveexec_b32 s15, s16
	s_cbranch_execz .LBB1862_451
; %bb.450:                              ;   in Loop: Header=BB1862_393 Depth=2
	s_wait_dscnt 0x0
	v_bcnt_u32_b32 v61, v61, v181
	ds_store_b32 v183, v61 offset:1056
.LBB1862_451:                           ;   in Loop: Header=BB1862_393 Depth=2
	s_or_b32 exec_lo, exec_lo, s15
	v_cmp_lt_i16_e32 vcc_lo, -1, v65
	; wave barrier
	v_cndmask_b32_e64 v61, -1, 0xffff8000, vcc_lo
	s_delay_alu instid0(VALU_DEP_1) | instskip(NEXT) | instid1(VALU_DEP_1)
	v_xor_b32_e32 v180, v61, v65
	v_cmp_ne_u16_e64 vcc_lo, 0x7fff, v180
	v_cndmask_b32_e32 v61, 0xffff8000, v180, vcc_lo
	s_delay_alu instid0(VALU_DEP_1) | instskip(NEXT) | instid1(VALU_DEP_1)
	v_and_b32_e32 v61, 0xffff, v61
	v_lshrrev_b32_e32 v61, s48, v61
	s_delay_alu instid0(VALU_DEP_1) | instskip(NEXT) | instid1(VALU_DEP_1)
	v_and_b32_e32 v66, s52, v61
	v_lshlrev_b32_e32 v185, 28, v66
	v_bitop3_b32 v65, v61, 1, s52 bitop3:0x80
	v_dual_lshlrev_b32 v67, 30, v66 :: v_dual_lshlrev_b32 v184, 29, v66
	s_delay_alu instid0(VALU_DEP_3) | instskip(NEXT) | instid1(VALU_DEP_3)
	v_cmp_gt_i32_e64 s17, 0, v185
	v_add_co_u32 v61, s15, v65, -1
	s_delay_alu instid0(VALU_DEP_1) | instskip(NEXT) | instid1(VALU_DEP_4)
	v_cndmask_b32_e64 v65, 0, 1, s15
	v_cmp_gt_i32_e64 s15, 0, v67
	v_cmp_gt_i32_e64 s16, 0, v184
	s_delay_alu instid0(VALU_DEP_3) | instskip(SKIP_3) | instid1(VALU_DEP_2)
	v_cmp_ne_u32_e32 vcc_lo, 0, v65
	v_not_b32_e32 v65, v67
	v_not_b32_e32 v67, v184
	;; [unrolled: 1-line block ×3, first 2 shown]
	v_dual_ashrrev_i32 v65, 31, v65 :: v_dual_ashrrev_i32 v67, 31, v67
	v_dual_lshlrev_b32 v186, 27, v66 :: v_dual_lshlrev_b32 v187, 26, v66
	v_dual_lshlrev_b32 v188, 25, v66 :: v_dual_lshlrev_b32 v189, 24, v66
	s_delay_alu instid0(VALU_DEP_4) | instskip(NEXT) | instid1(VALU_DEP_3)
	v_ashrrev_i32_e32 v184, 31, v184
	v_cmp_gt_i32_e64 s18, 0, v186
	v_not_b32_e32 v185, v186
	v_cmp_gt_i32_e64 s19, 0, v187
	v_not_b32_e32 v186, v187
	;; [unrolled: 2-line block ×3, first 2 shown]
	v_not_b32_e32 v188, v189
	s_delay_alu instid0(VALU_DEP_4) | instskip(SKIP_4) | instid1(VALU_DEP_4)
	v_dual_ashrrev_i32 v186, 31, v186 :: v_dual_bitop2_b32 v61, vcc_lo, v61 bitop3:0x14
	v_xor_b32_e32 v65, s15, v65
	v_dual_ashrrev_i32 v185, 31, v185 :: v_dual_bitop2_b32 v67, s16, v67 bitop3:0x14
	v_xor_b32_e32 v184, s17, v184
	v_cmp_gt_i32_e64 s21, 0, v189
	v_bitop3_b32 v61, v61, v65, exec_lo bitop3:0x80
	v_dual_ashrrev_i32 v65, 31, v187 :: v_dual_ashrrev_i32 v187, 31, v188
	v_xor_b32_e32 v185, s18, v185
	v_xor_b32_e32 v186, s19, v186
	s_delay_alu instid0(VALU_DEP_4) | instskip(SKIP_3) | instid1(VALU_DEP_4)
	v_bitop3_b32 v61, v61, v184, v67 bitop3:0x80
	v_mad_u32_u24 v67, v66, 36, v23
	v_xor_b32_e32 v65, s20, v65
	v_xor_b32_e32 v184, s21, v187
	v_bitop3_b32 v61, v61, v186, v185 bitop3:0x80
	ds_load_b32 v185, v67 offset:1056
	; wave barrier
	v_bitop3_b32 v61, v61, v184, v65 bitop3:0x80
	v_mul_u32_u24_e32 v65, 36, v66
	s_delay_alu instid0(VALU_DEP_2) | instskip(SKIP_1) | instid1(VALU_DEP_3)
	v_mbcnt_lo_u32_b32 v186, v61, 0
	v_cmp_ne_u32_e64 s15, 0, v61
	v_add_nc_u32_e32 v187, v23, v65
	s_delay_alu instid0(VALU_DEP_3) | instskip(SKIP_1) | instid1(SALU_CYCLE_1)
	v_cmp_eq_u32_e32 vcc_lo, 0, v186
	s_and_b32 s16, s15, vcc_lo
	s_and_saveexec_b32 s15, s16
	s_cbranch_execz .LBB1862_453
; %bb.452:                              ;   in Loop: Header=BB1862_393 Depth=2
	s_wait_dscnt 0x0
	v_bcnt_u32_b32 v61, v61, v185
	ds_store_b32 v187, v61 offset:1056
.LBB1862_453:                           ;   in Loop: Header=BB1862_393 Depth=2
	s_or_b32 exec_lo, exec_lo, s15
	v_cmp_lt_i16_e32 vcc_lo, -1, v64
	; wave barrier
	v_cndmask_b32_e64 v61, -1, 0xffff8000, vcc_lo
	s_delay_alu instid0(VALU_DEP_1) | instskip(NEXT) | instid1(VALU_DEP_1)
	v_xor_b32_e32 v184, v61, v64
	v_cmp_ne_u16_e64 vcc_lo, 0x7fff, v184
	v_cndmask_b32_e32 v61, 0xffff8000, v184, vcc_lo
	s_delay_alu instid0(VALU_DEP_1) | instskip(NEXT) | instid1(VALU_DEP_1)
	v_and_b32_e32 v61, 0xffff, v61
	v_lshrrev_b32_e32 v61, s48, v61
	s_delay_alu instid0(VALU_DEP_1) | instskip(SKIP_1) | instid1(VALU_DEP_2)
	v_bitop3_b32 v64, v61, 1, s52 bitop3:0x80
	v_and_b32_e32 v65, s52, v61
	v_add_co_u32 v61, s15, v64, -1
	s_delay_alu instid0(VALU_DEP_1) | instskip(NEXT) | instid1(VALU_DEP_3)
	v_cndmask_b32_e64 v64, 0, 1, s15
	v_lshlrev_b32_e32 v66, 30, v65
	s_delay_alu instid0(VALU_DEP_2) | instskip(NEXT) | instid1(VALU_DEP_2)
	v_cmp_ne_u32_e32 vcc_lo, 0, v64
	v_not_b32_e32 v64, v66
	v_cmp_gt_i32_e64 s15, 0, v66
	s_delay_alu instid0(VALU_DEP_2) | instskip(SKIP_3) | instid1(VALU_DEP_4)
	v_dual_ashrrev_i32 v64, 31, v64 :: v_dual_lshlrev_b32 v67, 29, v65
	v_dual_lshlrev_b32 v188, 28, v65 :: v_dual_lshlrev_b32 v189, 27, v65
	v_dual_lshlrev_b32 v190, 26, v65 :: v_dual_lshlrev_b32 v191, 25, v65
	v_lshlrev_b32_e32 v192, 24, v65
	v_cmp_gt_i32_e64 s16, 0, v67
	v_not_b32_e32 v66, v67
	v_not_b32_e32 v67, v188
	v_cmp_gt_i32_e64 s17, 0, v188
	v_cmp_gt_i32_e64 s18, 0, v189
	v_not_b32_e32 v188, v189
	v_not_b32_e32 v189, v190
	v_dual_ashrrev_i32 v66, 31, v66 :: v_dual_bitop2_b32 v61, vcc_lo, v61 bitop3:0x14
	v_dual_ashrrev_i32 v67, 31, v67 :: v_dual_bitop2_b32 v64, s15, v64 bitop3:0x14
	v_cmp_gt_i32_e64 s19, 0, v190
	v_cmp_gt_i32_e64 s20, 0, v191
	v_not_b32_e32 v190, v191
	v_not_b32_e32 v191, v192
	v_dual_ashrrev_i32 v188, 31, v188 :: v_dual_ashrrev_i32 v189, 31, v189
	v_xor_b32_e32 v66, s16, v66
	v_xor_b32_e32 v67, s17, v67
	v_bitop3_b32 v61, v61, v64, exec_lo bitop3:0x80
	v_cmp_gt_i32_e64 s21, 0, v192
	v_dual_ashrrev_i32 v64, 31, v190 :: v_dual_ashrrev_i32 v190, 31, v191
	v_xor_b32_e32 v188, s18, v188
	v_xor_b32_e32 v189, s19, v189
	v_bitop3_b32 v61, v61, v67, v66 bitop3:0x80
	v_mad_u32_u24 v66, v65, 36, v23
	v_xor_b32_e32 v64, s20, v64
	v_xor_b32_e32 v67, s21, v190
	s_delay_alu instid0(VALU_DEP_4) | instskip(SKIP_3) | instid1(VALU_DEP_2)
	v_bitop3_b32 v61, v61, v189, v188 bitop3:0x80
	ds_load_b32 v189, v66 offset:1056
	; wave barrier
	v_bitop3_b32 v61, v61, v67, v64 bitop3:0x80
	v_mul_u32_u24_e32 v64, 36, v65
	v_mbcnt_lo_u32_b32 v190, v61, 0
	v_cmp_ne_u32_e64 s15, 0, v61
	s_delay_alu instid0(VALU_DEP_3) | instskip(NEXT) | instid1(VALU_DEP_3)
	v_add_nc_u32_e32 v191, v23, v64
	v_cmp_eq_u32_e32 vcc_lo, 0, v190
	s_and_b32 s16, s15, vcc_lo
	s_delay_alu instid0(SALU_CYCLE_1)
	s_and_saveexec_b32 s15, s16
	s_cbranch_execz .LBB1862_455
; %bb.454:                              ;   in Loop: Header=BB1862_393 Depth=2
	s_wait_dscnt 0x0
	v_bcnt_u32_b32 v61, v61, v189
	ds_store_b32 v191, v61 offset:1056
.LBB1862_455:                           ;   in Loop: Header=BB1862_393 Depth=2
	s_or_b32 exec_lo, exec_lo, s15
	v_cmp_lt_i16_e32 vcc_lo, -1, v63
	; wave barrier
	v_cndmask_b32_e64 v61, -1, 0xffff8000, vcc_lo
	s_delay_alu instid0(VALU_DEP_1) | instskip(NEXT) | instid1(VALU_DEP_1)
	v_xor_b32_e32 v188, v61, v63
	v_cmp_ne_u16_e64 vcc_lo, 0x7fff, v188
	v_cndmask_b32_e32 v61, 0xffff8000, v188, vcc_lo
	s_delay_alu instid0(VALU_DEP_1) | instskip(NEXT) | instid1(VALU_DEP_1)
	v_and_b32_e32 v61, 0xffff, v61
	v_lshrrev_b32_e32 v61, s48, v61
	s_delay_alu instid0(VALU_DEP_1) | instskip(SKIP_1) | instid1(VALU_DEP_2)
	v_bitop3_b32 v63, v61, 1, s52 bitop3:0x80
	v_and_b32_e32 v64, s52, v61
	v_add_co_u32 v61, s15, v63, -1
	s_delay_alu instid0(VALU_DEP_1) | instskip(NEXT) | instid1(VALU_DEP_3)
	v_cndmask_b32_e64 v63, 0, 1, s15
	v_lshlrev_b32_e32 v65, 30, v64
	s_delay_alu instid0(VALU_DEP_2) | instskip(NEXT) | instid1(VALU_DEP_2)
	v_cmp_ne_u32_e32 vcc_lo, 0, v63
	v_not_b32_e32 v63, v65
	s_delay_alu instid0(VALU_DEP_1) | instskip(SKIP_4) | instid1(VALU_DEP_4)
	v_dual_ashrrev_i32 v63, 31, v63 :: v_dual_bitop2_b32 v61, vcc_lo, v61 bitop3:0x14
	v_dual_lshlrev_b32 v66, 29, v64 :: v_dual_lshlrev_b32 v67, 28, v64
	v_dual_lshlrev_b32 v192, 27, v64 :: v_dual_lshlrev_b32 v193, 26, v64
	v_lshlrev_b32_e32 v194, 25, v64
	v_cmp_gt_i32_e64 s15, 0, v65
	v_cmp_gt_i32_e64 s16, 0, v66
	v_not_b32_e32 v65, v66
	v_not_b32_e32 v66, v67
	v_lshlrev_b32_e32 v195, 24, v64
	v_cmp_gt_i32_e64 s17, 0, v67
	v_cmp_gt_i32_e64 s18, 0, v192
	v_not_b32_e32 v67, v192
	v_not_b32_e32 v192, v193
	v_dual_ashrrev_i32 v65, 31, v65 :: v_dual_bitop2_b32 v63, s15, v63 bitop3:0x14
	v_ashrrev_i32_e32 v66, 31, v66
	v_cmp_gt_i32_e64 s19, 0, v193
	v_cmp_gt_i32_e64 s20, 0, v194
	v_not_b32_e32 v193, v194
	v_not_b32_e32 v194, v195
	v_dual_ashrrev_i32 v67, 31, v67 :: v_dual_ashrrev_i32 v192, 31, v192
	v_xor_b32_e32 v65, s16, v65
	v_xor_b32_e32 v66, s17, v66
	v_bitop3_b32 v61, v61, v63, exec_lo bitop3:0x80
	v_cmp_gt_i32_e64 s21, 0, v195
	v_dual_ashrrev_i32 v63, 31, v193 :: v_dual_ashrrev_i32 v193, 31, v194
	v_xor_b32_e32 v67, s18, v67
	v_xor_b32_e32 v192, s19, v192
	v_bitop3_b32 v61, v61, v66, v65 bitop3:0x80
	v_mad_u32_u24 v65, v64, 36, v23
	v_xor_b32_e32 v63, s20, v63
	v_xor_b32_e32 v66, s21, v193
	s_delay_alu instid0(VALU_DEP_4) | instskip(SKIP_3) | instid1(VALU_DEP_2)
	v_bitop3_b32 v61, v61, v192, v67 bitop3:0x80
	ds_load_b32 v193, v65 offset:1056
	; wave barrier
	v_bitop3_b32 v61, v61, v66, v63 bitop3:0x80
	v_mul_u32_u24_e32 v63, 36, v64
	v_mbcnt_lo_u32_b32 v194, v61, 0
	v_cmp_ne_u32_e64 s15, 0, v61
	s_delay_alu instid0(VALU_DEP_3) | instskip(NEXT) | instid1(VALU_DEP_3)
	v_add_nc_u32_e32 v195, v23, v63
	v_cmp_eq_u32_e32 vcc_lo, 0, v194
	s_and_b32 s16, s15, vcc_lo
	s_delay_alu instid0(SALU_CYCLE_1)
	s_and_saveexec_b32 s15, s16
	s_cbranch_execz .LBB1862_457
; %bb.456:                              ;   in Loop: Header=BB1862_393 Depth=2
	s_wait_dscnt 0x0
	v_bcnt_u32_b32 v61, v61, v193
	ds_store_b32 v195, v61 offset:1056
.LBB1862_457:                           ;   in Loop: Header=BB1862_393 Depth=2
	s_or_b32 exec_lo, exec_lo, s15
	v_cmp_lt_i16_e32 vcc_lo, -1, v62
	; wave barrier
	v_cndmask_b32_e64 v61, -1, 0xffff8000, vcc_lo
	s_delay_alu instid0(VALU_DEP_1) | instskip(NEXT) | instid1(VALU_DEP_1)
	v_xor_b32_e32 v192, v61, v62
	v_cmp_ne_u16_e64 vcc_lo, 0x7fff, v192
	v_cndmask_b32_e32 v61, 0xffff8000, v192, vcc_lo
	s_delay_alu instid0(VALU_DEP_1) | instskip(NEXT) | instid1(VALU_DEP_1)
	v_and_b32_e32 v61, 0xffff, v61
	v_lshrrev_b32_e32 v61, s48, v61
	s_delay_alu instid0(VALU_DEP_1) | instskip(SKIP_1) | instid1(VALU_DEP_2)
	v_bitop3_b32 v62, v61, 1, s52 bitop3:0x80
	v_and_b32_e32 v63, s52, v61
	v_add_co_u32 v61, s15, v62, -1
	s_delay_alu instid0(VALU_DEP_1) | instskip(NEXT) | instid1(VALU_DEP_3)
	v_cndmask_b32_e64 v62, 0, 1, s15
	v_lshlrev_b32_e32 v64, 30, v63
	s_delay_alu instid0(VALU_DEP_2) | instskip(NEXT) | instid1(VALU_DEP_2)
	v_cmp_ne_u32_e32 vcc_lo, 0, v62
	v_not_b32_e32 v62, v64
	v_cmp_gt_i32_e64 s15, 0, v64
	s_delay_alu instid0(VALU_DEP_2) | instskip(SKIP_3) | instid1(VALU_DEP_4)
	v_dual_ashrrev_i32 v62, 31, v62 :: v_dual_lshlrev_b32 v65, 29, v63
	v_dual_lshlrev_b32 v66, 28, v63 :: v_dual_lshlrev_b32 v67, 27, v63
	v_dual_lshlrev_b32 v196, 26, v63 :: v_dual_lshlrev_b32 v197, 25, v63
	v_lshlrev_b32_e32 v198, 24, v63
	v_cmp_gt_i32_e64 s16, 0, v65
	v_not_b32_e32 v64, v65
	v_not_b32_e32 v65, v66
	v_cmp_gt_i32_e64 s17, 0, v66
	v_cmp_gt_i32_e64 s18, 0, v67
	v_not_b32_e32 v66, v67
	v_not_b32_e32 v67, v196
	v_dual_ashrrev_i32 v64, 31, v64 :: v_dual_bitop2_b32 v61, vcc_lo, v61 bitop3:0x14
	v_dual_ashrrev_i32 v65, 31, v65 :: v_dual_bitop2_b32 v62, s15, v62 bitop3:0x14
	v_cmp_gt_i32_e64 s19, 0, v196
	v_cmp_gt_i32_e64 s20, 0, v197
	v_not_b32_e32 v196, v197
	v_not_b32_e32 v197, v198
	v_dual_ashrrev_i32 v66, 31, v66 :: v_dual_ashrrev_i32 v67, 31, v67
	v_xor_b32_e32 v64, s16, v64
	v_xor_b32_e32 v65, s17, v65
	v_bitop3_b32 v61, v61, v62, exec_lo bitop3:0x80
	v_cmp_gt_i32_e64 s21, 0, v198
	v_dual_ashrrev_i32 v62, 31, v196 :: v_dual_ashrrev_i32 v196, 31, v197
	v_xor_b32_e32 v66, s18, v66
	v_xor_b32_e32 v67, s19, v67
	v_bitop3_b32 v61, v61, v65, v64 bitop3:0x80
	v_mad_u32_u24 v64, v63, 36, v23
	v_xor_b32_e32 v62, s20, v62
	v_xor_b32_e32 v65, s21, v196
	s_delay_alu instid0(VALU_DEP_4) | instskip(SKIP_3) | instid1(VALU_DEP_2)
	v_bitop3_b32 v61, v61, v67, v66 bitop3:0x80
	ds_load_b32 v197, v64 offset:1056
	; wave barrier
	v_bitop3_b32 v61, v61, v65, v62 bitop3:0x80
	v_mul_u32_u24_e32 v62, 36, v63
	v_mbcnt_lo_u32_b32 v198, v61, 0
	v_cmp_ne_u32_e64 s15, 0, v61
	s_delay_alu instid0(VALU_DEP_3) | instskip(NEXT) | instid1(VALU_DEP_3)
	v_add_nc_u32_e32 v199, v23, v62
	v_cmp_eq_u32_e32 vcc_lo, 0, v198
	s_and_b32 s16, s15, vcc_lo
	s_delay_alu instid0(SALU_CYCLE_1)
	s_and_saveexec_b32 s15, s16
	s_cbranch_execz .LBB1862_459
; %bb.458:                              ;   in Loop: Header=BB1862_393 Depth=2
	s_wait_dscnt 0x0
	v_bcnt_u32_b32 v61, v61, v197
	ds_store_b32 v199, v61 offset:1056
.LBB1862_459:                           ;   in Loop: Header=BB1862_393 Depth=2
	s_or_b32 exec_lo, exec_lo, s15
	v_cmp_lt_i16_e32 vcc_lo, -1, v60
	; wave barrier
	v_cndmask_b32_e64 v61, -1, 0xffff8000, vcc_lo
	s_delay_alu instid0(VALU_DEP_1) | instskip(NEXT) | instid1(VALU_DEP_1)
	v_xor_b32_e32 v196, v61, v60
	v_cmp_ne_u16_e64 vcc_lo, 0x7fff, v196
	v_cndmask_b32_e32 v60, 0xffff8000, v196, vcc_lo
	s_delay_alu instid0(VALU_DEP_1) | instskip(NEXT) | instid1(VALU_DEP_1)
	v_and_b32_e32 v60, 0xffff, v60
	v_lshrrev_b32_e32 v60, s48, v60
	s_delay_alu instid0(VALU_DEP_1) | instskip(SKIP_1) | instid1(VALU_DEP_2)
	v_bitop3_b32 v61, v60, 1, s52 bitop3:0x80
	v_and_b32_e32 v62, s52, v60
	v_add_co_u32 v60, s15, v61, -1
	s_delay_alu instid0(VALU_DEP_1) | instskip(NEXT) | instid1(VALU_DEP_3)
	v_cndmask_b32_e64 v61, 0, 1, s15
	v_lshlrev_b32_e32 v63, 30, v62
	s_delay_alu instid0(VALU_DEP_2) | instskip(NEXT) | instid1(VALU_DEP_2)
	v_cmp_ne_u32_e32 vcc_lo, 0, v61
	v_not_b32_e32 v61, v63
	v_cmp_gt_i32_e64 s15, 0, v63
	s_delay_alu instid0(VALU_DEP_2) | instskip(SKIP_3) | instid1(VALU_DEP_4)
	v_dual_ashrrev_i32 v61, 31, v61 :: v_dual_lshlrev_b32 v64, 29, v62
	v_dual_lshlrev_b32 v65, 28, v62 :: v_dual_lshlrev_b32 v66, 27, v62
	v_dual_lshlrev_b32 v67, 26, v62 :: v_dual_lshlrev_b32 v200, 25, v62
	v_lshlrev_b32_e32 v201, 24, v62
	v_cmp_gt_i32_e64 s16, 0, v64
	v_not_b32_e32 v63, v64
	v_not_b32_e32 v64, v65
	v_cmp_gt_i32_e64 s17, 0, v65
	v_cmp_gt_i32_e64 s18, 0, v66
	v_not_b32_e32 v65, v66
	v_not_b32_e32 v66, v67
	v_dual_ashrrev_i32 v63, 31, v63 :: v_dual_bitop2_b32 v60, vcc_lo, v60 bitop3:0x14
	v_dual_ashrrev_i32 v64, 31, v64 :: v_dual_bitop2_b32 v61, s15, v61 bitop3:0x14
	v_cmp_gt_i32_e64 s19, 0, v67
	v_cmp_gt_i32_e64 s20, 0, v200
	v_not_b32_e32 v67, v200
	v_not_b32_e32 v200, v201
	v_dual_ashrrev_i32 v65, 31, v65 :: v_dual_ashrrev_i32 v66, 31, v66
	v_xor_b32_e32 v63, s16, v63
	v_xor_b32_e32 v64, s17, v64
	v_bitop3_b32 v60, v60, v61, exec_lo bitop3:0x80
	v_cmp_gt_i32_e64 s21, 0, v201
	v_dual_ashrrev_i32 v61, 31, v67 :: v_dual_ashrrev_i32 v67, 31, v200
	v_xor_b32_e32 v65, s18, v65
	v_xor_b32_e32 v66, s19, v66
	v_bitop3_b32 v60, v60, v64, v63 bitop3:0x80
	v_mad_u32_u24 v63, v62, 36, v23
	v_xor_b32_e32 v61, s20, v61
	v_xor_b32_e32 v64, s21, v67
	s_delay_alu instid0(VALU_DEP_4) | instskip(SKIP_3) | instid1(VALU_DEP_2)
	v_bitop3_b32 v60, v60, v66, v65 bitop3:0x80
	ds_load_b32 v200, v63 offset:1056
	; wave barrier
	v_bitop3_b32 v60, v60, v64, v61 bitop3:0x80
	v_mul_u32_u24_e32 v61, 36, v62
	v_mbcnt_lo_u32_b32 v201, v60, 0
	v_cmp_ne_u32_e64 s15, 0, v60
	s_delay_alu instid0(VALU_DEP_3) | instskip(NEXT) | instid1(VALU_DEP_3)
	v_add_nc_u32_e32 v202, v23, v61
	v_cmp_eq_u32_e32 vcc_lo, 0, v201
	s_and_b32 s16, s15, vcc_lo
	s_delay_alu instid0(SALU_CYCLE_1)
	s_and_saveexec_b32 s15, s16
	s_cbranch_execz .LBB1862_461
; %bb.460:                              ;   in Loop: Header=BB1862_393 Depth=2
	s_wait_dscnt 0x0
	v_bcnt_u32_b32 v60, v60, v200
	ds_store_b32 v202, v60 offset:1056
.LBB1862_461:                           ;   in Loop: Header=BB1862_393 Depth=2
	s_or_b32 exec_lo, exec_lo, s15
	; wave barrier
	s_wait_dscnt 0x0
	s_barrier_signal -1
	s_barrier_wait -1
	ds_load_2addr_b32 v[66:67], v118 offset1:1
	ds_load_2addr_b32 v[64:65], v119 offset1:1
	;; [unrolled: 1-line block ×4, first 2 shown]
	ds_load_b32 v203, v91 offset:1088
	s_wait_dscnt 0x3
	v_add3_u32 v204, v67, v66, v64
	s_wait_dscnt 0x2
	s_delay_alu instid0(VALU_DEP_1) | instskip(SKIP_1) | instid1(VALU_DEP_1)
	v_add3_u32 v204, v204, v65, v62
	s_wait_dscnt 0x1
	v_add3_u32 v204, v204, v63, v60
	s_wait_dscnt 0x0
	s_delay_alu instid0(VALU_DEP_1) | instskip(NEXT) | instid1(VALU_DEP_1)
	v_add3_u32 v203, v204, v61, v203
	v_mov_b32_dpp v204, v203 row_shr:1 row_mask:0xf bank_mask:0xf
	s_delay_alu instid0(VALU_DEP_1) | instskip(NEXT) | instid1(VALU_DEP_1)
	v_cndmask_b32_e64 v204, v204, 0, s7
	v_add_nc_u32_e32 v203, v204, v203
	s_delay_alu instid0(VALU_DEP_1) | instskip(NEXT) | instid1(VALU_DEP_1)
	v_mov_b32_dpp v204, v203 row_shr:2 row_mask:0xf bank_mask:0xf
	v_cndmask_b32_e64 v204, 0, v204, s8
	s_delay_alu instid0(VALU_DEP_1) | instskip(NEXT) | instid1(VALU_DEP_1)
	v_add_nc_u32_e32 v203, v203, v204
	v_mov_b32_dpp v204, v203 row_shr:4 row_mask:0xf bank_mask:0xf
	s_delay_alu instid0(VALU_DEP_1) | instskip(NEXT) | instid1(VALU_DEP_1)
	v_cndmask_b32_e64 v204, 0, v204, s9
	v_add_nc_u32_e32 v203, v203, v204
	s_delay_alu instid0(VALU_DEP_1) | instskip(NEXT) | instid1(VALU_DEP_1)
	v_mov_b32_dpp v204, v203 row_shr:8 row_mask:0xf bank_mask:0xf
	v_cndmask_b32_e64 v204, 0, v204, s10
	s_delay_alu instid0(VALU_DEP_1) | instskip(SKIP_3) | instid1(VALU_DEP_1)
	v_add_nc_u32_e32 v203, v203, v204
	ds_swizzle_b32 v204, v203 offset:swizzle(BROADCAST,32,15)
	s_wait_dscnt 0x0
	v_cndmask_b32_e64 v204, v204, 0, s11
	v_add_nc_u32_e32 v203, v203, v204
	s_and_saveexec_b32 s15, s1
; %bb.462:                              ;   in Loop: Header=BB1862_393 Depth=2
	ds_store_b32 v84, v203 offset:1024
; %bb.463:                              ;   in Loop: Header=BB1862_393 Depth=2
	s_or_b32 exec_lo, exec_lo, s15
	s_wait_dscnt 0x0
	s_barrier_signal -1
	s_barrier_wait -1
	s_and_saveexec_b32 s15, s4
	s_cbranch_execz .LBB1862_465
; %bb.464:                              ;   in Loop: Header=BB1862_393 Depth=2
	ds_load_b32 v204, v92 offset:1024
	s_wait_dscnt 0x0
	v_mov_b32_dpp v205, v204 row_shr:1 row_mask:0xf bank_mask:0xf
	s_delay_alu instid0(VALU_DEP_1) | instskip(NEXT) | instid1(VALU_DEP_1)
	v_cndmask_b32_e64 v205, v205, 0, s12
	v_add_nc_u32_e32 v204, v205, v204
	s_delay_alu instid0(VALU_DEP_1) | instskip(NEXT) | instid1(VALU_DEP_1)
	v_mov_b32_dpp v205, v204 row_shr:2 row_mask:0xf bank_mask:0xf
	v_cndmask_b32_e64 v205, 0, v205, s13
	s_delay_alu instid0(VALU_DEP_1) | instskip(NEXT) | instid1(VALU_DEP_1)
	v_add_nc_u32_e32 v204, v204, v205
	v_mov_b32_dpp v205, v204 row_shr:4 row_mask:0xf bank_mask:0xf
	s_delay_alu instid0(VALU_DEP_1) | instskip(NEXT) | instid1(VALU_DEP_1)
	v_cndmask_b32_e64 v205, 0, v205, s14
	v_add_nc_u32_e32 v204, v204, v205
	ds_store_b32 v92, v204 offset:1024
.LBB1862_465:                           ;   in Loop: Header=BB1862_393 Depth=2
	s_or_b32 exec_lo, exec_lo, s15
	v_mov_b32_e32 v204, 0
	s_wait_dscnt 0x0
	s_barrier_signal -1
	s_barrier_wait -1
	s_and_saveexec_b32 s15, s5
; %bb.466:                              ;   in Loop: Header=BB1862_393 Depth=2
	ds_load_b32 v204, v84 offset:1020
; %bb.467:                              ;   in Loop: Header=BB1862_393 Depth=2
	s_or_b32 exec_lo, exec_lo, s15
	s_wait_dscnt 0x0
	v_add_nc_u32_e32 v203, v204, v203
	ds_bpermute_b32 v203, v122, v203
	s_wait_dscnt 0x0
	v_cndmask_b32_e64 v203, v203, v204, s6
	s_delay_alu instid0(VALU_DEP_1) | instskip(NEXT) | instid1(VALU_DEP_1)
	v_cndmask_b32_e64 v203, v203, 0, s2
	v_add_nc_u32_e32 v66, v203, v66
	s_delay_alu instid0(VALU_DEP_1) | instskip(NEXT) | instid1(VALU_DEP_1)
	v_add_nc_u32_e32 v67, v66, v67
	v_add_nc_u32_e32 v64, v67, v64
	s_delay_alu instid0(VALU_DEP_1) | instskip(NEXT) | instid1(VALU_DEP_1)
	v_add_nc_u32_e32 v65, v64, v65
	;; [unrolled: 3-line block ×3, first 2 shown]
	v_add_nc_u32_e32 v60, v63, v60
	s_delay_alu instid0(VALU_DEP_1)
	v_add_nc_u32_e32 v61, v60, v61
	ds_store_2addr_b32 v121, v63, v60 offset1:1
	ds_store_2addr_b32 v118, v203, v66 offset1:1
	;; [unrolled: 1-line block ×4, first 2 shown]
	ds_store_b32 v91, v61 offset:1088
	s_wait_dscnt 0x0
	s_barrier_signal -1
	s_barrier_wait -1
	ds_load_b32 v63, v143 offset:1056
	ds_load_b32 v65, v147 offset:1056
	ds_load_b32 v66, v151 offset:1056
	ds_load_b32 v67, v155 offset:1056
	ds_load_b32 v143, v159 offset:1056
	ds_load_b32 v147, v163 offset:1056
	ds_load_b32 v203, v167 offset:1056
	ds_load_b32 v171, v171 offset:1056
	ds_load_b32 v175, v175 offset:1056
	ds_load_b32 v179, v179 offset:1056
	ds_load_b32 v183, v183 offset:1056
	ds_load_b32 v187, v187 offset:1056
	ds_load_b32 v60, v191 offset:1056
	ds_load_b32 v61, v195 offset:1056
	ds_load_b32 v64, v199 offset:1056
	ds_load_b32 v167, v202 offset:1056
	ds_load_b32 v151, v91 offset:1056
	v_mov_b32_e32 v62, 0x1000
	s_and_saveexec_b32 s15, s3
; %bb.468:                              ;   in Loop: Header=BB1862_393 Depth=2
	ds_load_b32 v62, v91 offset:1092
; %bb.469:                              ;   in Loop: Header=BB1862_393 Depth=2
	s_or_b32 exec_lo, exec_lo, s15
	s_wait_dscnt 0x0
	s_barrier_signal -1
	s_barrier_wait -1
	s_and_saveexec_b32 s15, s0
	s_cbranch_execz .LBB1862_471
; %bb.470:                              ;   in Loop: Header=BB1862_393 Depth=2
	ds_load_b32 v155, v3
	s_wait_dscnt 0x0
	v_sub_nc_u32_e32 v151, v155, v151
	ds_store_b32 v3, v151
.LBB1862_471:                           ;   in Loop: Header=BB1862_393 Depth=2
	s_or_b32 exec_lo, exec_lo, s15
	v_add3_u32 v159, v146, v145, v65
	v_add_nc_u32_e32 v163, v63, v142
	v_add3_u32 v155, v150, v149, v66
	v_add3_u32 v151, v154, v153, v67
	;; [unrolled: 1-line block ×4, first 2 shown]
	v_lshlrev_b32_e32 v60, 1, v159
	v_lshlrev_b32_e32 v153, 1, v163
	v_add3_u32 v150, v158, v157, v143
	v_add3_u32 v147, v166, v165, v203
	;; [unrolled: 1-line block ×4, first 2 shown]
	v_lshlrev_b32_e32 v61, 1, v155
	v_add3_u32 v145, v174, v173, v175
	v_lshlrev_b32_e32 v154, 1, v149
	ds_store_b16 v153, v140 offset:1024
	v_lshlrev_b32_e32 v140, 1, v151
	v_add3_u32 v143, v178, v177, v179
	v_lshlrev_b32_e32 v153, 1, v150
	v_add3_u32 v142, v182, v181, v183
	v_add3_u32 v63, v186, v185, v187
	ds_store_b16 v60, v141 offset:1024
	ds_store_b16 v61, v144 offset:1024
	;; [unrolled: 1-line block ×5, first 2 shown]
	v_dual_lshlrev_b32 v60, 1, v147 :: v_dual_lshlrev_b32 v140, 1, v145
	v_lshlrev_b32_e32 v61, 1, v146
	v_add3_u32 v65, v198, v197, v64
	v_dual_lshlrev_b32 v141, 1, v143 :: v_dual_lshlrev_b32 v144, 1, v142
	v_add3_u32 v64, v201, v200, v167
	ds_store_b16 v60, v160 offset:1024
	ds_store_b16 v61, v164 offset:1024
	;; [unrolled: 1-line block ×5, first 2 shown]
	v_dual_lshlrev_b32 v60, 1, v63 :: v_dual_lshlrev_b32 v140, 1, v66
	v_cmp_lt_u32_e32 vcc_lo, v2, v139
	v_dual_lshlrev_b32 v61, 1, v67 :: v_dual_lshlrev_b32 v141, 1, v65
	v_lshlrev_b32_e32 v144, 1, v64
	ds_store_b16 v60, v180 offset:1024
	ds_store_b16 v61, v184 offset:1024
	ds_store_b16 v140, v188 offset:1024
	ds_store_b16 v141, v192 offset:1024
	ds_store_b16 v144, v196 offset:1024
	s_wait_dscnt 0x0
	s_barrier_signal -1
	s_barrier_wait -1
	s_and_saveexec_b32 s16, vcc_lo
	s_cbranch_execnz .LBB1862_540
; %bb.472:                              ;   in Loop: Header=BB1862_393 Depth=2
	s_or_b32 exec_lo, exec_lo, s16
	v_cmp_lt_u32_e64 s15, v68, v139
	s_and_saveexec_b32 s17, s15
	s_cbranch_execnz .LBB1862_541
.LBB1862_473:                           ;   in Loop: Header=BB1862_393 Depth=2
	s_or_b32 exec_lo, exec_lo, s17
	v_cmp_lt_u32_e64 s16, v69, v139
	s_and_saveexec_b32 s18, s16
	s_cbranch_execnz .LBB1862_542
.LBB1862_474:                           ;   in Loop: Header=BB1862_393 Depth=2
	s_or_b32 exec_lo, exec_lo, s18
	v_cmp_lt_u32_e64 s17, v70, v139
	s_and_saveexec_b32 s19, s17
	s_cbranch_execnz .LBB1862_543
.LBB1862_475:                           ;   in Loop: Header=BB1862_393 Depth=2
	s_or_b32 exec_lo, exec_lo, s19
	v_cmp_lt_u32_e64 s18, v71, v139
	s_and_saveexec_b32 s20, s18
	s_cbranch_execnz .LBB1862_544
.LBB1862_476:                           ;   in Loop: Header=BB1862_393 Depth=2
	s_or_b32 exec_lo, exec_lo, s20
	v_cmp_lt_u32_e64 s19, v72, v139
	s_and_saveexec_b32 s21, s19
	s_cbranch_execnz .LBB1862_545
.LBB1862_477:                           ;   in Loop: Header=BB1862_393 Depth=2
	s_or_b32 exec_lo, exec_lo, s21
	v_cmp_lt_u32_e64 s20, v73, v139
	s_and_saveexec_b32 s22, s20
	s_cbranch_execnz .LBB1862_546
.LBB1862_478:                           ;   in Loop: Header=BB1862_393 Depth=2
	s_or_b32 exec_lo, exec_lo, s22
	v_cmp_lt_u32_e64 s21, v74, v139
	s_and_saveexec_b32 s23, s21
	s_cbranch_execnz .LBB1862_547
.LBB1862_479:                           ;   in Loop: Header=BB1862_393 Depth=2
	s_or_b32 exec_lo, exec_lo, s23
	v_cmp_lt_u32_e64 s22, v75, v139
	s_and_saveexec_b32 s24, s22
	s_cbranch_execnz .LBB1862_548
.LBB1862_480:                           ;   in Loop: Header=BB1862_393 Depth=2
	s_or_b32 exec_lo, exec_lo, s24
	v_cmp_lt_u32_e64 s23, v76, v139
	s_and_saveexec_b32 s25, s23
	s_cbranch_execnz .LBB1862_549
.LBB1862_481:                           ;   in Loop: Header=BB1862_393 Depth=2
	s_or_b32 exec_lo, exec_lo, s25
	v_cmp_lt_u32_e64 s24, v77, v139
	s_and_saveexec_b32 s26, s24
	s_cbranch_execnz .LBB1862_550
.LBB1862_482:                           ;   in Loop: Header=BB1862_393 Depth=2
	s_or_b32 exec_lo, exec_lo, s26
	v_cmp_lt_u32_e64 s25, v78, v139
	s_and_saveexec_b32 s27, s25
	s_cbranch_execnz .LBB1862_551
.LBB1862_483:                           ;   in Loop: Header=BB1862_393 Depth=2
	s_or_b32 exec_lo, exec_lo, s27
	v_cmp_lt_u32_e64 s26, v79, v139
	s_and_saveexec_b32 s28, s26
	s_cbranch_execnz .LBB1862_552
.LBB1862_484:                           ;   in Loop: Header=BB1862_393 Depth=2
	s_or_b32 exec_lo, exec_lo, s28
	v_cmp_lt_u32_e64 s27, v80, v139
	s_and_saveexec_b32 s29, s27
	s_cbranch_execnz .LBB1862_553
.LBB1862_485:                           ;   in Loop: Header=BB1862_393 Depth=2
	s_or_b32 exec_lo, exec_lo, s29
	v_cmp_lt_u32_e64 s28, v81, v139
	s_and_saveexec_b32 s30, s28
	s_cbranch_execnz .LBB1862_554
.LBB1862_486:                           ;   in Loop: Header=BB1862_393 Depth=2
	s_or_b32 exec_lo, exec_lo, s30
	v_cmp_lt_u32_e64 s29, v82, v139
	s_and_saveexec_b32 s58, s29
	s_cbranch_execz .LBB1862_488
.LBB1862_487:                           ;   in Loop: Header=BB1862_393 Depth=2
	ds_load_u16 v60, v93 offset:8704
	s_wait_dscnt 0x0
	v_cmp_ne_u16_e64 s30, 0x7fff, v60
	s_delay_alu instid0(VALU_DEP_1) | instskip(SKIP_1) | instid1(VALU_DEP_2)
	v_cndmask_b32_e64 v61, 0xffff8000, v60, s30
	v_cmp_lt_i16_e64 s30, -1, v60
	v_and_b32_e32 v61, 0xffff, v61
	s_delay_alu instid0(VALU_DEP_2) | instskip(NEXT) | instid1(VALU_DEP_1)
	v_cndmask_b32_e64 v140, 0xffff8000, -1, s30
	v_dual_lshrrev_b32 v61, s48, v61 :: v_dual_bitop2_b32 v60, v140, v60 bitop3:0x14
	s_delay_alu instid0(VALU_DEP_1) | instskip(NEXT) | instid1(VALU_DEP_1)
	v_and_b32_e32 v61, s52, v61
	v_lshlrev_b32_e32 v61, 2, v61
	ds_load_b32 v61, v61
	s_wait_dscnt 0x0
	v_add_nc_u32_e32 v61, v61, v82
	global_store_b16 v61, v60, s[40:41] scale_offset
.LBB1862_488:                           ;   in Loop: Header=BB1862_393 Depth=2
	s_wait_xcnt 0x0
	s_or_b32 exec_lo, exec_lo, s58
	v_lshl_add_u64 v[60:61], s[42:43], 3, v[24:25]
	v_cmp_lt_u32_e64 s30, v100, v139
	s_and_saveexec_b32 s42, s30
	s_delay_alu instid0(SALU_CYCLE_1)
	s_xor_b32 s30, exec_lo, s42
	s_cbranch_execnz .LBB1862_555
; %bb.489:                              ;   in Loop: Header=BB1862_393 Depth=2
	s_or_b32 exec_lo, exec_lo, s30
	s_delay_alu instid0(SALU_CYCLE_1)
	s_mov_b32 s42, exec_lo
	v_cmpx_lt_u32_e64 v103, v139
	s_cbranch_execnz .LBB1862_556
.LBB1862_490:                           ;   in Loop: Header=BB1862_393 Depth=2
	s_or_b32 exec_lo, exec_lo, s42
	s_delay_alu instid0(SALU_CYCLE_1)
	s_mov_b32 s42, exec_lo
	v_cmpx_lt_u32_e64 v104, v139
	s_cbranch_execnz .LBB1862_557
.LBB1862_491:                           ;   in Loop: Header=BB1862_393 Depth=2
	s_or_b32 exec_lo, exec_lo, s42
	s_delay_alu instid0(SALU_CYCLE_1)
	s_mov_b32 s42, exec_lo
	v_cmpx_lt_u32_e64 v105, v139
	s_cbranch_execnz .LBB1862_558
.LBB1862_492:                           ;   in Loop: Header=BB1862_393 Depth=2
	s_or_b32 exec_lo, exec_lo, s42
	s_delay_alu instid0(SALU_CYCLE_1)
	s_mov_b32 s42, exec_lo
	v_cmpx_lt_u32_e64 v106, v139
	s_cbranch_execnz .LBB1862_559
.LBB1862_493:                           ;   in Loop: Header=BB1862_393 Depth=2
	s_or_b32 exec_lo, exec_lo, s42
	s_delay_alu instid0(SALU_CYCLE_1)
	s_mov_b32 s42, exec_lo
	v_cmpx_lt_u32_e64 v107, v139
	s_cbranch_execnz .LBB1862_560
.LBB1862_494:                           ;   in Loop: Header=BB1862_393 Depth=2
	s_or_b32 exec_lo, exec_lo, s42
	s_delay_alu instid0(SALU_CYCLE_1)
	s_mov_b32 s42, exec_lo
	v_cmpx_lt_u32_e64 v108, v139
	s_cbranch_execnz .LBB1862_561
.LBB1862_495:                           ;   in Loop: Header=BB1862_393 Depth=2
	s_or_b32 exec_lo, exec_lo, s42
	s_delay_alu instid0(SALU_CYCLE_1)
	s_mov_b32 s42, exec_lo
	v_cmpx_lt_u32_e64 v109, v139
	s_cbranch_execnz .LBB1862_562
.LBB1862_496:                           ;   in Loop: Header=BB1862_393 Depth=2
	s_or_b32 exec_lo, exec_lo, s42
	s_delay_alu instid0(SALU_CYCLE_1)
	s_mov_b32 s42, exec_lo
	v_cmpx_lt_u32_e64 v110, v139
	s_cbranch_execnz .LBB1862_563
.LBB1862_497:                           ;   in Loop: Header=BB1862_393 Depth=2
	s_or_b32 exec_lo, exec_lo, s42
	s_delay_alu instid0(SALU_CYCLE_1)
	s_mov_b32 s42, exec_lo
	v_cmpx_lt_u32_e64 v111, v139
	s_cbranch_execnz .LBB1862_564
.LBB1862_498:                           ;   in Loop: Header=BB1862_393 Depth=2
	s_or_b32 exec_lo, exec_lo, s42
	s_delay_alu instid0(SALU_CYCLE_1)
	s_mov_b32 s42, exec_lo
	v_cmpx_lt_u32_e64 v112, v139
	s_cbranch_execnz .LBB1862_565
.LBB1862_499:                           ;   in Loop: Header=BB1862_393 Depth=2
	s_or_b32 exec_lo, exec_lo, s42
	s_delay_alu instid0(SALU_CYCLE_1)
	s_mov_b32 s42, exec_lo
	v_cmpx_lt_u32_e64 v113, v139
	s_cbranch_execnz .LBB1862_566
.LBB1862_500:                           ;   in Loop: Header=BB1862_393 Depth=2
	s_or_b32 exec_lo, exec_lo, s42
	s_delay_alu instid0(SALU_CYCLE_1)
	s_mov_b32 s42, exec_lo
	v_cmpx_lt_u32_e64 v114, v139
	s_cbranch_execnz .LBB1862_567
.LBB1862_501:                           ;   in Loop: Header=BB1862_393 Depth=2
	s_or_b32 exec_lo, exec_lo, s42
	s_delay_alu instid0(SALU_CYCLE_1)
	s_mov_b32 s42, exec_lo
	v_cmpx_lt_u32_e64 v115, v139
	s_cbranch_execnz .LBB1862_568
.LBB1862_502:                           ;   in Loop: Header=BB1862_393 Depth=2
	s_or_b32 exec_lo, exec_lo, s42
	s_delay_alu instid0(SALU_CYCLE_1)
	s_mov_b32 s42, exec_lo
	v_cmpx_lt_u32_e64 v116, v139
	s_cbranch_execnz .LBB1862_569
.LBB1862_503:                           ;   in Loop: Header=BB1862_393 Depth=2
	s_or_b32 exec_lo, exec_lo, s42
	s_delay_alu instid0(SALU_CYCLE_1)
	s_mov_b32 s42, exec_lo
	v_cmpx_lt_u32_e64 v117, v139
	s_cbranch_execnz .LBB1862_570
.LBB1862_504:                           ;   in Loop: Header=BB1862_393 Depth=2
	s_or_b32 exec_lo, exec_lo, s42
	s_and_saveexec_b32 s42, vcc_lo
	s_cbranch_execnz .LBB1862_571
.LBB1862_505:                           ;   in Loop: Header=BB1862_393 Depth=2
	s_or_b32 exec_lo, exec_lo, s42
	s_and_saveexec_b32 s42, s15
	s_cbranch_execnz .LBB1862_572
.LBB1862_506:                           ;   in Loop: Header=BB1862_393 Depth=2
	s_or_b32 exec_lo, exec_lo, s42
	s_and_saveexec_b32 s42, s16
	s_cbranch_execnz .LBB1862_573
.LBB1862_507:                           ;   in Loop: Header=BB1862_393 Depth=2
	s_or_b32 exec_lo, exec_lo, s42
	s_and_saveexec_b32 s42, s17
	s_cbranch_execnz .LBB1862_574
.LBB1862_508:                           ;   in Loop: Header=BB1862_393 Depth=2
	s_or_b32 exec_lo, exec_lo, s42
	s_and_saveexec_b32 s42, s18
	s_cbranch_execnz .LBB1862_575
.LBB1862_509:                           ;   in Loop: Header=BB1862_393 Depth=2
	s_or_b32 exec_lo, exec_lo, s42
	s_and_saveexec_b32 s42, s19
	s_cbranch_execnz .LBB1862_576
.LBB1862_510:                           ;   in Loop: Header=BB1862_393 Depth=2
	s_or_b32 exec_lo, exec_lo, s42
	s_and_saveexec_b32 s42, s20
	s_cbranch_execnz .LBB1862_577
.LBB1862_511:                           ;   in Loop: Header=BB1862_393 Depth=2
	s_or_b32 exec_lo, exec_lo, s42
	s_and_saveexec_b32 s42, s21
	s_cbranch_execnz .LBB1862_578
.LBB1862_512:                           ;   in Loop: Header=BB1862_393 Depth=2
	s_or_b32 exec_lo, exec_lo, s42
	s_and_saveexec_b32 s42, s22
	s_cbranch_execnz .LBB1862_579
.LBB1862_513:                           ;   in Loop: Header=BB1862_393 Depth=2
	s_or_b32 exec_lo, exec_lo, s42
	s_and_saveexec_b32 s42, s23
	s_cbranch_execnz .LBB1862_580
.LBB1862_514:                           ;   in Loop: Header=BB1862_393 Depth=2
	s_or_b32 exec_lo, exec_lo, s42
	s_and_saveexec_b32 s42, s24
	s_cbranch_execnz .LBB1862_581
.LBB1862_515:                           ;   in Loop: Header=BB1862_393 Depth=2
	s_or_b32 exec_lo, exec_lo, s42
	s_and_saveexec_b32 s42, s25
	s_cbranch_execnz .LBB1862_582
.LBB1862_516:                           ;   in Loop: Header=BB1862_393 Depth=2
	s_or_b32 exec_lo, exec_lo, s42
	s_and_saveexec_b32 s42, s26
	s_cbranch_execnz .LBB1862_583
.LBB1862_517:                           ;   in Loop: Header=BB1862_393 Depth=2
	s_or_b32 exec_lo, exec_lo, s42
	s_and_saveexec_b32 s42, s27
	s_cbranch_execnz .LBB1862_584
.LBB1862_518:                           ;   in Loop: Header=BB1862_393 Depth=2
	s_or_b32 exec_lo, exec_lo, s42
	s_and_saveexec_b32 s42, s28
	s_cbranch_execnz .LBB1862_585
.LBB1862_519:                           ;   in Loop: Header=BB1862_393 Depth=2
	s_or_b32 exec_lo, exec_lo, s42
	s_and_saveexec_b32 s42, s29
	s_cbranch_execz .LBB1862_521
.LBB1862_520:                           ;   in Loop: Header=BB1862_393 Depth=2
	ds_load_u16 v60, v93 offset:8704
	s_wait_dscnt 0x0
	v_cmp_ne_u16_e64 s30, 0x7fff, v60
	s_delay_alu instid0(VALU_DEP_1) | instskip(NEXT) | instid1(VALU_DEP_1)
	v_cndmask_b32_e64 v60, 0xffff8000, v60, s30
	v_and_b32_e32 v60, 0xffff, v60
	s_delay_alu instid0(VALU_DEP_1) | instskip(NEXT) | instid1(VALU_DEP_1)
	v_lshrrev_b32_e32 v60, s48, v60
	v_and_b32_e32 v123, s52, v60
.LBB1862_521:                           ;   in Loop: Header=BB1862_393 Depth=2
	s_or_b32 exec_lo, exec_lo, s42
	v_dual_lshlrev_b32 v60, 3, v163 :: v_dual_lshlrev_b32 v140, 3, v150
	s_wait_loadcnt 0x0
	s_wait_storecnt 0x0
	s_barrier_signal -1
	s_barrier_wait -1
	ds_store_b64 v60, v[58:59] offset:1024
	v_dual_lshlrev_b32 v60, 3, v159 :: v_dual_lshlrev_b32 v141, 3, v149
	v_lshlrev_b32_e32 v61, 3, v155
	v_lshlrev_b32_e32 v139, 3, v151
	ds_store_b64 v60, v[56:57] offset:1024
	ds_store_b64 v61, v[54:55] offset:1024
	;; [unrolled: 1-line block ×5, first 2 shown]
	v_dual_lshlrev_b32 v60, 3, v147 :: v_dual_lshlrev_b32 v141, 3, v142
	v_dual_lshlrev_b32 v61, 3, v146 :: v_dual_lshlrev_b32 v139, 3, v145
	v_lshlrev_b32_e32 v140, 3, v143
	ds_store_b64 v60, v[46:47] offset:1024
	ds_store_b64 v61, v[44:45] offset:1024
	;; [unrolled: 1-line block ×5, first 2 shown]
	v_dual_lshlrev_b32 v60, 3, v63 :: v_dual_lshlrev_b32 v65, 3, v65
	v_dual_lshlrev_b32 v61, 3, v67 :: v_dual_lshlrev_b32 v64, 3, v64
	v_lshlrev_b32_e32 v63, 3, v66
	ds_store_b64 v60, v[36:37] offset:1024
	ds_store_b64 v61, v[34:35] offset:1024
	;; [unrolled: 1-line block ×5, first 2 shown]
	s_wait_dscnt 0x0
	s_barrier_signal -1
	s_barrier_wait -1
	s_and_saveexec_b32 s30, vcc_lo
	s_cbranch_execnz .LBB1862_586
; %bb.522:                              ;   in Loop: Header=BB1862_393 Depth=2
	s_or_b32 exec_lo, exec_lo, s30
	s_and_saveexec_b32 s30, s15
	s_cbranch_execnz .LBB1862_587
.LBB1862_523:                           ;   in Loop: Header=BB1862_393 Depth=2
	s_or_b32 exec_lo, exec_lo, s30
	s_and_saveexec_b32 s15, s16
	s_cbranch_execnz .LBB1862_588
.LBB1862_524:                           ;   in Loop: Header=BB1862_393 Depth=2
	s_or_b32 exec_lo, exec_lo, s15
	s_and_saveexec_b32 s15, s17
	s_cbranch_execnz .LBB1862_589
.LBB1862_525:                           ;   in Loop: Header=BB1862_393 Depth=2
	s_or_b32 exec_lo, exec_lo, s15
	s_and_saveexec_b32 s15, s18
	s_cbranch_execnz .LBB1862_590
.LBB1862_526:                           ;   in Loop: Header=BB1862_393 Depth=2
	s_or_b32 exec_lo, exec_lo, s15
	s_and_saveexec_b32 s15, s19
	s_cbranch_execnz .LBB1862_591
.LBB1862_527:                           ;   in Loop: Header=BB1862_393 Depth=2
	s_or_b32 exec_lo, exec_lo, s15
	s_and_saveexec_b32 s15, s20
	s_cbranch_execnz .LBB1862_592
.LBB1862_528:                           ;   in Loop: Header=BB1862_393 Depth=2
	s_or_b32 exec_lo, exec_lo, s15
	s_and_saveexec_b32 s15, s21
	s_cbranch_execnz .LBB1862_593
.LBB1862_529:                           ;   in Loop: Header=BB1862_393 Depth=2
	s_or_b32 exec_lo, exec_lo, s15
	s_and_saveexec_b32 s15, s22
	s_cbranch_execnz .LBB1862_594
.LBB1862_530:                           ;   in Loop: Header=BB1862_393 Depth=2
	s_or_b32 exec_lo, exec_lo, s15
	s_and_saveexec_b32 s15, s23
	s_cbranch_execnz .LBB1862_595
.LBB1862_531:                           ;   in Loop: Header=BB1862_393 Depth=2
	s_or_b32 exec_lo, exec_lo, s15
	s_and_saveexec_b32 s15, s24
	s_cbranch_execnz .LBB1862_596
.LBB1862_532:                           ;   in Loop: Header=BB1862_393 Depth=2
	s_or_b32 exec_lo, exec_lo, s15
	s_and_saveexec_b32 s15, s25
	s_cbranch_execnz .LBB1862_597
.LBB1862_533:                           ;   in Loop: Header=BB1862_393 Depth=2
	s_or_b32 exec_lo, exec_lo, s15
	s_and_saveexec_b32 s15, s26
	s_cbranch_execnz .LBB1862_598
.LBB1862_534:                           ;   in Loop: Header=BB1862_393 Depth=2
	s_or_b32 exec_lo, exec_lo, s15
	s_and_saveexec_b32 s15, s27
	s_cbranch_execnz .LBB1862_599
.LBB1862_535:                           ;   in Loop: Header=BB1862_393 Depth=2
	s_or_b32 exec_lo, exec_lo, s15
	s_and_saveexec_b32 s15, s28
	s_cbranch_execnz .LBB1862_600
.LBB1862_536:                           ;   in Loop: Header=BB1862_393 Depth=2
	s_or_b32 exec_lo, exec_lo, s15
	s_and_saveexec_b32 s15, s29
	s_cbranch_execz .LBB1862_538
.LBB1862_537:                           ;   in Loop: Header=BB1862_393 Depth=2
	v_dual_lshlrev_b32 v60, 2, v123 :: v_dual_add_nc_u32 v61, v93, v94
	ds_load_b32 v63, v60
	ds_load_b64 v[60:61], v61 offset:31744
	s_wait_dscnt 0x1
	v_add_nc_u32_e32 v63, v63, v82
	s_wait_dscnt 0x0
	global_store_b64 v63, v[60:61], s[46:47] scale_offset
.LBB1862_538:                           ;   in Loop: Header=BB1862_393 Depth=2
	s_wait_xcnt 0x0
	s_or_b32 exec_lo, exec_lo, s15
	s_wait_storecnt 0x0
	s_barrier_signal -1
	s_barrier_wait -1
	s_and_saveexec_b32 s15, s0
	s_cbranch_execz .LBB1862_392
; %bb.539:                              ;   in Loop: Header=BB1862_393 Depth=2
	ds_load_b32 v60, v3
	s_wait_dscnt 0x0
	v_add_nc_u32_e32 v60, v60, v62
	ds_store_b32 v3, v60
	s_branch .LBB1862_392
.LBB1862_540:                           ;   in Loop: Header=BB1862_393 Depth=2
	ds_load_u16 v60, v93 offset:1024
	s_wait_dscnt 0x0
	v_cmp_ne_u16_e64 s15, 0x7fff, v60
	s_delay_alu instid0(VALU_DEP_1) | instskip(SKIP_1) | instid1(VALU_DEP_2)
	v_cndmask_b32_e64 v61, 0xffff8000, v60, s15
	v_cmp_lt_i16_e64 s15, -1, v60
	v_and_b32_e32 v61, 0xffff, v61
	s_delay_alu instid0(VALU_DEP_2) | instskip(NEXT) | instid1(VALU_DEP_1)
	v_cndmask_b32_e64 v140, 0xffff8000, -1, s15
	v_dual_lshrrev_b32 v61, s48, v61 :: v_dual_bitop2_b32 v60, v140, v60 bitop3:0x14
	s_delay_alu instid0(VALU_DEP_1) | instskip(NEXT) | instid1(VALU_DEP_1)
	v_and_b32_e32 v61, s52, v61
	v_lshlrev_b32_e32 v61, 2, v61
	ds_load_b32 v61, v61
	s_wait_dscnt 0x0
	v_add_nc_u32_e32 v61, v61, v2
	global_store_b16 v61, v60, s[40:41] scale_offset
	s_wait_xcnt 0x0
	s_or_b32 exec_lo, exec_lo, s16
	v_cmp_lt_u32_e64 s15, v68, v139
	s_and_saveexec_b32 s17, s15
	s_cbranch_execz .LBB1862_473
.LBB1862_541:                           ;   in Loop: Header=BB1862_393 Depth=2
	ds_load_u16 v60, v93 offset:1536
	s_wait_dscnt 0x0
	v_cmp_ne_u16_e64 s16, 0x7fff, v60
	s_delay_alu instid0(VALU_DEP_1) | instskip(SKIP_1) | instid1(VALU_DEP_2)
	v_cndmask_b32_e64 v61, 0xffff8000, v60, s16
	v_cmp_lt_i16_e64 s16, -1, v60
	v_and_b32_e32 v61, 0xffff, v61
	s_delay_alu instid0(VALU_DEP_2) | instskip(NEXT) | instid1(VALU_DEP_1)
	v_cndmask_b32_e64 v140, 0xffff8000, -1, s16
	v_dual_lshrrev_b32 v61, s48, v61 :: v_dual_bitop2_b32 v60, v140, v60 bitop3:0x14
	s_delay_alu instid0(VALU_DEP_1) | instskip(NEXT) | instid1(VALU_DEP_1)
	v_and_b32_e32 v61, s52, v61
	v_lshlrev_b32_e32 v61, 2, v61
	ds_load_b32 v61, v61
	s_wait_dscnt 0x0
	v_add_nc_u32_e32 v61, v61, v68
	global_store_b16 v61, v60, s[40:41] scale_offset
	s_wait_xcnt 0x0
	s_or_b32 exec_lo, exec_lo, s17
	v_cmp_lt_u32_e64 s16, v69, v139
	s_and_saveexec_b32 s18, s16
	s_cbranch_execz .LBB1862_474
.LBB1862_542:                           ;   in Loop: Header=BB1862_393 Depth=2
	ds_load_u16 v60, v93 offset:2048
	s_wait_dscnt 0x0
	v_cmp_ne_u16_e64 s17, 0x7fff, v60
	s_delay_alu instid0(VALU_DEP_1) | instskip(SKIP_1) | instid1(VALU_DEP_2)
	v_cndmask_b32_e64 v61, 0xffff8000, v60, s17
	v_cmp_lt_i16_e64 s17, -1, v60
	v_and_b32_e32 v61, 0xffff, v61
	s_delay_alu instid0(VALU_DEP_2) | instskip(NEXT) | instid1(VALU_DEP_1)
	v_cndmask_b32_e64 v140, 0xffff8000, -1, s17
	v_dual_lshrrev_b32 v61, s48, v61 :: v_dual_bitop2_b32 v60, v140, v60 bitop3:0x14
	s_delay_alu instid0(VALU_DEP_1) | instskip(NEXT) | instid1(VALU_DEP_1)
	v_and_b32_e32 v61, s52, v61
	v_lshlrev_b32_e32 v61, 2, v61
	ds_load_b32 v61, v61
	s_wait_dscnt 0x0
	v_add_nc_u32_e32 v61, v61, v69
	global_store_b16 v61, v60, s[40:41] scale_offset
	s_wait_xcnt 0x0
	s_or_b32 exec_lo, exec_lo, s18
	v_cmp_lt_u32_e64 s17, v70, v139
	s_and_saveexec_b32 s19, s17
	s_cbranch_execz .LBB1862_475
.LBB1862_543:                           ;   in Loop: Header=BB1862_393 Depth=2
	ds_load_u16 v60, v93 offset:2560
	s_wait_dscnt 0x0
	v_cmp_ne_u16_e64 s18, 0x7fff, v60
	s_delay_alu instid0(VALU_DEP_1) | instskip(SKIP_1) | instid1(VALU_DEP_2)
	v_cndmask_b32_e64 v61, 0xffff8000, v60, s18
	v_cmp_lt_i16_e64 s18, -1, v60
	v_and_b32_e32 v61, 0xffff, v61
	s_delay_alu instid0(VALU_DEP_2) | instskip(NEXT) | instid1(VALU_DEP_1)
	v_cndmask_b32_e64 v140, 0xffff8000, -1, s18
	v_dual_lshrrev_b32 v61, s48, v61 :: v_dual_bitop2_b32 v60, v140, v60 bitop3:0x14
	s_delay_alu instid0(VALU_DEP_1) | instskip(NEXT) | instid1(VALU_DEP_1)
	v_and_b32_e32 v61, s52, v61
	v_lshlrev_b32_e32 v61, 2, v61
	ds_load_b32 v61, v61
	s_wait_dscnt 0x0
	v_add_nc_u32_e32 v61, v61, v70
	global_store_b16 v61, v60, s[40:41] scale_offset
	s_wait_xcnt 0x0
	s_or_b32 exec_lo, exec_lo, s19
	v_cmp_lt_u32_e64 s18, v71, v139
	s_and_saveexec_b32 s20, s18
	s_cbranch_execz .LBB1862_476
.LBB1862_544:                           ;   in Loop: Header=BB1862_393 Depth=2
	ds_load_u16 v60, v93 offset:3072
	s_wait_dscnt 0x0
	v_cmp_ne_u16_e64 s19, 0x7fff, v60
	s_delay_alu instid0(VALU_DEP_1) | instskip(SKIP_1) | instid1(VALU_DEP_2)
	v_cndmask_b32_e64 v61, 0xffff8000, v60, s19
	v_cmp_lt_i16_e64 s19, -1, v60
	v_and_b32_e32 v61, 0xffff, v61
	s_delay_alu instid0(VALU_DEP_2) | instskip(NEXT) | instid1(VALU_DEP_1)
	v_cndmask_b32_e64 v140, 0xffff8000, -1, s19
	v_dual_lshrrev_b32 v61, s48, v61 :: v_dual_bitop2_b32 v60, v140, v60 bitop3:0x14
	s_delay_alu instid0(VALU_DEP_1) | instskip(NEXT) | instid1(VALU_DEP_1)
	v_and_b32_e32 v61, s52, v61
	v_lshlrev_b32_e32 v61, 2, v61
	ds_load_b32 v61, v61
	s_wait_dscnt 0x0
	v_add_nc_u32_e32 v61, v61, v71
	global_store_b16 v61, v60, s[40:41] scale_offset
	s_wait_xcnt 0x0
	s_or_b32 exec_lo, exec_lo, s20
	v_cmp_lt_u32_e64 s19, v72, v139
	s_and_saveexec_b32 s21, s19
	s_cbranch_execz .LBB1862_477
.LBB1862_545:                           ;   in Loop: Header=BB1862_393 Depth=2
	ds_load_u16 v60, v93 offset:3584
	s_wait_dscnt 0x0
	v_cmp_ne_u16_e64 s20, 0x7fff, v60
	s_delay_alu instid0(VALU_DEP_1) | instskip(SKIP_1) | instid1(VALU_DEP_2)
	v_cndmask_b32_e64 v61, 0xffff8000, v60, s20
	v_cmp_lt_i16_e64 s20, -1, v60
	v_and_b32_e32 v61, 0xffff, v61
	s_delay_alu instid0(VALU_DEP_2) | instskip(NEXT) | instid1(VALU_DEP_1)
	v_cndmask_b32_e64 v140, 0xffff8000, -1, s20
	v_dual_lshrrev_b32 v61, s48, v61 :: v_dual_bitop2_b32 v60, v140, v60 bitop3:0x14
	s_delay_alu instid0(VALU_DEP_1) | instskip(NEXT) | instid1(VALU_DEP_1)
	v_and_b32_e32 v61, s52, v61
	v_lshlrev_b32_e32 v61, 2, v61
	ds_load_b32 v61, v61
	s_wait_dscnt 0x0
	v_add_nc_u32_e32 v61, v61, v72
	global_store_b16 v61, v60, s[40:41] scale_offset
	s_wait_xcnt 0x0
	s_or_b32 exec_lo, exec_lo, s21
	v_cmp_lt_u32_e64 s20, v73, v139
	s_and_saveexec_b32 s22, s20
	s_cbranch_execz .LBB1862_478
.LBB1862_546:                           ;   in Loop: Header=BB1862_393 Depth=2
	ds_load_u16 v60, v93 offset:4096
	s_wait_dscnt 0x0
	v_cmp_ne_u16_e64 s21, 0x7fff, v60
	s_delay_alu instid0(VALU_DEP_1) | instskip(SKIP_1) | instid1(VALU_DEP_2)
	v_cndmask_b32_e64 v61, 0xffff8000, v60, s21
	v_cmp_lt_i16_e64 s21, -1, v60
	v_and_b32_e32 v61, 0xffff, v61
	s_delay_alu instid0(VALU_DEP_2) | instskip(NEXT) | instid1(VALU_DEP_1)
	v_cndmask_b32_e64 v140, 0xffff8000, -1, s21
	v_dual_lshrrev_b32 v61, s48, v61 :: v_dual_bitop2_b32 v60, v140, v60 bitop3:0x14
	s_delay_alu instid0(VALU_DEP_1) | instskip(NEXT) | instid1(VALU_DEP_1)
	v_and_b32_e32 v61, s52, v61
	v_lshlrev_b32_e32 v61, 2, v61
	ds_load_b32 v61, v61
	s_wait_dscnt 0x0
	v_add_nc_u32_e32 v61, v61, v73
	global_store_b16 v61, v60, s[40:41] scale_offset
	s_wait_xcnt 0x0
	s_or_b32 exec_lo, exec_lo, s22
	v_cmp_lt_u32_e64 s21, v74, v139
	s_and_saveexec_b32 s23, s21
	s_cbranch_execz .LBB1862_479
.LBB1862_547:                           ;   in Loop: Header=BB1862_393 Depth=2
	ds_load_u16 v60, v93 offset:4608
	s_wait_dscnt 0x0
	v_cmp_ne_u16_e64 s22, 0x7fff, v60
	s_delay_alu instid0(VALU_DEP_1) | instskip(SKIP_1) | instid1(VALU_DEP_2)
	v_cndmask_b32_e64 v61, 0xffff8000, v60, s22
	v_cmp_lt_i16_e64 s22, -1, v60
	v_and_b32_e32 v61, 0xffff, v61
	s_delay_alu instid0(VALU_DEP_2) | instskip(NEXT) | instid1(VALU_DEP_1)
	v_cndmask_b32_e64 v140, 0xffff8000, -1, s22
	v_dual_lshrrev_b32 v61, s48, v61 :: v_dual_bitop2_b32 v60, v140, v60 bitop3:0x14
	s_delay_alu instid0(VALU_DEP_1) | instskip(NEXT) | instid1(VALU_DEP_1)
	v_and_b32_e32 v61, s52, v61
	v_lshlrev_b32_e32 v61, 2, v61
	ds_load_b32 v61, v61
	s_wait_dscnt 0x0
	v_add_nc_u32_e32 v61, v61, v74
	global_store_b16 v61, v60, s[40:41] scale_offset
	s_wait_xcnt 0x0
	s_or_b32 exec_lo, exec_lo, s23
	v_cmp_lt_u32_e64 s22, v75, v139
	s_and_saveexec_b32 s24, s22
	s_cbranch_execz .LBB1862_480
.LBB1862_548:                           ;   in Loop: Header=BB1862_393 Depth=2
	ds_load_u16 v60, v93 offset:5120
	s_wait_dscnt 0x0
	v_cmp_ne_u16_e64 s23, 0x7fff, v60
	s_delay_alu instid0(VALU_DEP_1) | instskip(SKIP_1) | instid1(VALU_DEP_2)
	v_cndmask_b32_e64 v61, 0xffff8000, v60, s23
	v_cmp_lt_i16_e64 s23, -1, v60
	v_and_b32_e32 v61, 0xffff, v61
	s_delay_alu instid0(VALU_DEP_2) | instskip(NEXT) | instid1(VALU_DEP_1)
	v_cndmask_b32_e64 v140, 0xffff8000, -1, s23
	v_dual_lshrrev_b32 v61, s48, v61 :: v_dual_bitop2_b32 v60, v140, v60 bitop3:0x14
	s_delay_alu instid0(VALU_DEP_1) | instskip(NEXT) | instid1(VALU_DEP_1)
	v_and_b32_e32 v61, s52, v61
	v_lshlrev_b32_e32 v61, 2, v61
	ds_load_b32 v61, v61
	s_wait_dscnt 0x0
	v_add_nc_u32_e32 v61, v61, v75
	global_store_b16 v61, v60, s[40:41] scale_offset
	s_wait_xcnt 0x0
	s_or_b32 exec_lo, exec_lo, s24
	v_cmp_lt_u32_e64 s23, v76, v139
	s_and_saveexec_b32 s25, s23
	s_cbranch_execz .LBB1862_481
.LBB1862_549:                           ;   in Loop: Header=BB1862_393 Depth=2
	ds_load_u16 v60, v93 offset:5632
	s_wait_dscnt 0x0
	v_cmp_ne_u16_e64 s24, 0x7fff, v60
	s_delay_alu instid0(VALU_DEP_1) | instskip(SKIP_1) | instid1(VALU_DEP_2)
	v_cndmask_b32_e64 v61, 0xffff8000, v60, s24
	v_cmp_lt_i16_e64 s24, -1, v60
	v_and_b32_e32 v61, 0xffff, v61
	s_delay_alu instid0(VALU_DEP_2) | instskip(NEXT) | instid1(VALU_DEP_1)
	v_cndmask_b32_e64 v140, 0xffff8000, -1, s24
	v_dual_lshrrev_b32 v61, s48, v61 :: v_dual_bitop2_b32 v60, v140, v60 bitop3:0x14
	s_delay_alu instid0(VALU_DEP_1) | instskip(NEXT) | instid1(VALU_DEP_1)
	v_and_b32_e32 v61, s52, v61
	v_lshlrev_b32_e32 v61, 2, v61
	ds_load_b32 v61, v61
	s_wait_dscnt 0x0
	v_add_nc_u32_e32 v61, v61, v76
	global_store_b16 v61, v60, s[40:41] scale_offset
	s_wait_xcnt 0x0
	s_or_b32 exec_lo, exec_lo, s25
	v_cmp_lt_u32_e64 s24, v77, v139
	s_and_saveexec_b32 s26, s24
	s_cbranch_execz .LBB1862_482
.LBB1862_550:                           ;   in Loop: Header=BB1862_393 Depth=2
	ds_load_u16 v60, v93 offset:6144
	s_wait_dscnt 0x0
	v_cmp_ne_u16_e64 s25, 0x7fff, v60
	s_delay_alu instid0(VALU_DEP_1) | instskip(SKIP_1) | instid1(VALU_DEP_2)
	v_cndmask_b32_e64 v61, 0xffff8000, v60, s25
	v_cmp_lt_i16_e64 s25, -1, v60
	v_and_b32_e32 v61, 0xffff, v61
	s_delay_alu instid0(VALU_DEP_2) | instskip(NEXT) | instid1(VALU_DEP_1)
	v_cndmask_b32_e64 v140, 0xffff8000, -1, s25
	v_dual_lshrrev_b32 v61, s48, v61 :: v_dual_bitop2_b32 v60, v140, v60 bitop3:0x14
	s_delay_alu instid0(VALU_DEP_1) | instskip(NEXT) | instid1(VALU_DEP_1)
	v_and_b32_e32 v61, s52, v61
	v_lshlrev_b32_e32 v61, 2, v61
	ds_load_b32 v61, v61
	s_wait_dscnt 0x0
	v_add_nc_u32_e32 v61, v61, v77
	global_store_b16 v61, v60, s[40:41] scale_offset
	s_wait_xcnt 0x0
	s_or_b32 exec_lo, exec_lo, s26
	v_cmp_lt_u32_e64 s25, v78, v139
	s_and_saveexec_b32 s27, s25
	s_cbranch_execz .LBB1862_483
.LBB1862_551:                           ;   in Loop: Header=BB1862_393 Depth=2
	ds_load_u16 v60, v93 offset:6656
	s_wait_dscnt 0x0
	v_cmp_ne_u16_e64 s26, 0x7fff, v60
	s_delay_alu instid0(VALU_DEP_1) | instskip(SKIP_1) | instid1(VALU_DEP_2)
	v_cndmask_b32_e64 v61, 0xffff8000, v60, s26
	v_cmp_lt_i16_e64 s26, -1, v60
	v_and_b32_e32 v61, 0xffff, v61
	s_delay_alu instid0(VALU_DEP_2) | instskip(NEXT) | instid1(VALU_DEP_1)
	v_cndmask_b32_e64 v140, 0xffff8000, -1, s26
	v_dual_lshrrev_b32 v61, s48, v61 :: v_dual_bitop2_b32 v60, v140, v60 bitop3:0x14
	s_delay_alu instid0(VALU_DEP_1) | instskip(NEXT) | instid1(VALU_DEP_1)
	v_and_b32_e32 v61, s52, v61
	v_lshlrev_b32_e32 v61, 2, v61
	ds_load_b32 v61, v61
	s_wait_dscnt 0x0
	v_add_nc_u32_e32 v61, v61, v78
	global_store_b16 v61, v60, s[40:41] scale_offset
	s_wait_xcnt 0x0
	s_or_b32 exec_lo, exec_lo, s27
	v_cmp_lt_u32_e64 s26, v79, v139
	s_and_saveexec_b32 s28, s26
	s_cbranch_execz .LBB1862_484
.LBB1862_552:                           ;   in Loop: Header=BB1862_393 Depth=2
	ds_load_u16 v60, v93 offset:7168
	s_wait_dscnt 0x0
	v_cmp_ne_u16_e64 s27, 0x7fff, v60
	s_delay_alu instid0(VALU_DEP_1) | instskip(SKIP_1) | instid1(VALU_DEP_2)
	v_cndmask_b32_e64 v61, 0xffff8000, v60, s27
	v_cmp_lt_i16_e64 s27, -1, v60
	v_and_b32_e32 v61, 0xffff, v61
	s_delay_alu instid0(VALU_DEP_2) | instskip(NEXT) | instid1(VALU_DEP_1)
	v_cndmask_b32_e64 v140, 0xffff8000, -1, s27
	v_dual_lshrrev_b32 v61, s48, v61 :: v_dual_bitop2_b32 v60, v140, v60 bitop3:0x14
	s_delay_alu instid0(VALU_DEP_1) | instskip(NEXT) | instid1(VALU_DEP_1)
	v_and_b32_e32 v61, s52, v61
	v_lshlrev_b32_e32 v61, 2, v61
	ds_load_b32 v61, v61
	s_wait_dscnt 0x0
	v_add_nc_u32_e32 v61, v61, v79
	global_store_b16 v61, v60, s[40:41] scale_offset
	s_wait_xcnt 0x0
	s_or_b32 exec_lo, exec_lo, s28
	v_cmp_lt_u32_e64 s27, v80, v139
	s_and_saveexec_b32 s29, s27
	s_cbranch_execz .LBB1862_485
.LBB1862_553:                           ;   in Loop: Header=BB1862_393 Depth=2
	ds_load_u16 v60, v93 offset:7680
	s_wait_dscnt 0x0
	v_cmp_ne_u16_e64 s28, 0x7fff, v60
	s_delay_alu instid0(VALU_DEP_1) | instskip(SKIP_1) | instid1(VALU_DEP_2)
	v_cndmask_b32_e64 v61, 0xffff8000, v60, s28
	v_cmp_lt_i16_e64 s28, -1, v60
	v_and_b32_e32 v61, 0xffff, v61
	s_delay_alu instid0(VALU_DEP_2) | instskip(NEXT) | instid1(VALU_DEP_1)
	v_cndmask_b32_e64 v140, 0xffff8000, -1, s28
	v_dual_lshrrev_b32 v61, s48, v61 :: v_dual_bitop2_b32 v60, v140, v60 bitop3:0x14
	s_delay_alu instid0(VALU_DEP_1) | instskip(NEXT) | instid1(VALU_DEP_1)
	v_and_b32_e32 v61, s52, v61
	v_lshlrev_b32_e32 v61, 2, v61
	ds_load_b32 v61, v61
	s_wait_dscnt 0x0
	v_add_nc_u32_e32 v61, v61, v80
	global_store_b16 v61, v60, s[40:41] scale_offset
	s_wait_xcnt 0x0
	s_or_b32 exec_lo, exec_lo, s29
	v_cmp_lt_u32_e64 s28, v81, v139
	s_and_saveexec_b32 s30, s28
	s_cbranch_execz .LBB1862_486
.LBB1862_554:                           ;   in Loop: Header=BB1862_393 Depth=2
	ds_load_u16 v60, v93 offset:8192
	s_wait_dscnt 0x0
	v_cmp_ne_u16_e64 s29, 0x7fff, v60
	s_delay_alu instid0(VALU_DEP_1) | instskip(SKIP_1) | instid1(VALU_DEP_2)
	v_cndmask_b32_e64 v61, 0xffff8000, v60, s29
	v_cmp_lt_i16_e64 s29, -1, v60
	v_and_b32_e32 v61, 0xffff, v61
	s_delay_alu instid0(VALU_DEP_2) | instskip(NEXT) | instid1(VALU_DEP_1)
	v_cndmask_b32_e64 v140, 0xffff8000, -1, s29
	v_dual_lshrrev_b32 v61, s48, v61 :: v_dual_bitop2_b32 v60, v140, v60 bitop3:0x14
	s_delay_alu instid0(VALU_DEP_1) | instskip(NEXT) | instid1(VALU_DEP_1)
	v_and_b32_e32 v61, s52, v61
	v_lshlrev_b32_e32 v61, 2, v61
	ds_load_b32 v61, v61
	s_wait_dscnt 0x0
	v_add_nc_u32_e32 v61, v61, v81
	global_store_b16 v61, v60, s[40:41] scale_offset
	s_wait_xcnt 0x0
	s_or_b32 exec_lo, exec_lo, s30
	v_cmp_lt_u32_e64 s29, v82, v139
	s_and_saveexec_b32 s58, s29
	s_cbranch_execnz .LBB1862_487
	s_branch .LBB1862_488
.LBB1862_555:                           ;   in Loop: Header=BB1862_393 Depth=2
	global_load_b64 v[58:59], v[60:61], off
	s_wait_xcnt 0x0
	s_or_b32 exec_lo, exec_lo, s30
	s_delay_alu instid0(SALU_CYCLE_1)
	s_mov_b32 s42, exec_lo
	v_cmpx_lt_u32_e64 v103, v139
	s_cbranch_execz .LBB1862_490
.LBB1862_556:                           ;   in Loop: Header=BB1862_393 Depth=2
	global_load_b64 v[56:57], v[60:61], off offset:256
	s_wait_xcnt 0x0
	s_or_b32 exec_lo, exec_lo, s42
	s_delay_alu instid0(SALU_CYCLE_1)
	s_mov_b32 s42, exec_lo
	v_cmpx_lt_u32_e64 v104, v139
	s_cbranch_execz .LBB1862_491
.LBB1862_557:                           ;   in Loop: Header=BB1862_393 Depth=2
	global_load_b64 v[54:55], v[60:61], off offset:512
	s_wait_xcnt 0x0
	s_or_b32 exec_lo, exec_lo, s42
	s_delay_alu instid0(SALU_CYCLE_1)
	s_mov_b32 s42, exec_lo
	v_cmpx_lt_u32_e64 v105, v139
	s_cbranch_execz .LBB1862_492
.LBB1862_558:                           ;   in Loop: Header=BB1862_393 Depth=2
	global_load_b64 v[52:53], v[60:61], off offset:768
	s_wait_xcnt 0x0
	s_or_b32 exec_lo, exec_lo, s42
	s_delay_alu instid0(SALU_CYCLE_1)
	s_mov_b32 s42, exec_lo
	v_cmpx_lt_u32_e64 v106, v139
	s_cbranch_execz .LBB1862_493
.LBB1862_559:                           ;   in Loop: Header=BB1862_393 Depth=2
	global_load_b64 v[50:51], v[60:61], off offset:1024
	s_wait_xcnt 0x0
	s_or_b32 exec_lo, exec_lo, s42
	s_delay_alu instid0(SALU_CYCLE_1)
	s_mov_b32 s42, exec_lo
	v_cmpx_lt_u32_e64 v107, v139
	s_cbranch_execz .LBB1862_494
.LBB1862_560:                           ;   in Loop: Header=BB1862_393 Depth=2
	global_load_b64 v[48:49], v[60:61], off offset:1280
	s_wait_xcnt 0x0
	s_or_b32 exec_lo, exec_lo, s42
	s_delay_alu instid0(SALU_CYCLE_1)
	s_mov_b32 s42, exec_lo
	v_cmpx_lt_u32_e64 v108, v139
	s_cbranch_execz .LBB1862_495
.LBB1862_561:                           ;   in Loop: Header=BB1862_393 Depth=2
	global_load_b64 v[46:47], v[60:61], off offset:1536
	s_wait_xcnt 0x0
	s_or_b32 exec_lo, exec_lo, s42
	s_delay_alu instid0(SALU_CYCLE_1)
	s_mov_b32 s42, exec_lo
	v_cmpx_lt_u32_e64 v109, v139
	s_cbranch_execz .LBB1862_496
.LBB1862_562:                           ;   in Loop: Header=BB1862_393 Depth=2
	global_load_b64 v[44:45], v[60:61], off offset:1792
	s_wait_xcnt 0x0
	s_or_b32 exec_lo, exec_lo, s42
	s_delay_alu instid0(SALU_CYCLE_1)
	s_mov_b32 s42, exec_lo
	v_cmpx_lt_u32_e64 v110, v139
	s_cbranch_execz .LBB1862_497
.LBB1862_563:                           ;   in Loop: Header=BB1862_393 Depth=2
	global_load_b64 v[42:43], v[60:61], off offset:2048
	s_wait_xcnt 0x0
	s_or_b32 exec_lo, exec_lo, s42
	s_delay_alu instid0(SALU_CYCLE_1)
	s_mov_b32 s42, exec_lo
	v_cmpx_lt_u32_e64 v111, v139
	s_cbranch_execz .LBB1862_498
.LBB1862_564:                           ;   in Loop: Header=BB1862_393 Depth=2
	global_load_b64 v[40:41], v[60:61], off offset:2304
	s_wait_xcnt 0x0
	s_or_b32 exec_lo, exec_lo, s42
	s_delay_alu instid0(SALU_CYCLE_1)
	s_mov_b32 s42, exec_lo
	v_cmpx_lt_u32_e64 v112, v139
	s_cbranch_execz .LBB1862_499
.LBB1862_565:                           ;   in Loop: Header=BB1862_393 Depth=2
	global_load_b64 v[38:39], v[60:61], off offset:2560
	s_wait_xcnt 0x0
	s_or_b32 exec_lo, exec_lo, s42
	s_delay_alu instid0(SALU_CYCLE_1)
	s_mov_b32 s42, exec_lo
	v_cmpx_lt_u32_e64 v113, v139
	s_cbranch_execz .LBB1862_500
.LBB1862_566:                           ;   in Loop: Header=BB1862_393 Depth=2
	global_load_b64 v[36:37], v[60:61], off offset:2816
	s_wait_xcnt 0x0
	s_or_b32 exec_lo, exec_lo, s42
	s_delay_alu instid0(SALU_CYCLE_1)
	s_mov_b32 s42, exec_lo
	v_cmpx_lt_u32_e64 v114, v139
	s_cbranch_execz .LBB1862_501
.LBB1862_567:                           ;   in Loop: Header=BB1862_393 Depth=2
	global_load_b64 v[34:35], v[60:61], off offset:3072
	s_wait_xcnt 0x0
	s_or_b32 exec_lo, exec_lo, s42
	s_delay_alu instid0(SALU_CYCLE_1)
	s_mov_b32 s42, exec_lo
	v_cmpx_lt_u32_e64 v115, v139
	s_cbranch_execz .LBB1862_502
.LBB1862_568:                           ;   in Loop: Header=BB1862_393 Depth=2
	global_load_b64 v[32:33], v[60:61], off offset:3328
	s_wait_xcnt 0x0
	s_or_b32 exec_lo, exec_lo, s42
	s_delay_alu instid0(SALU_CYCLE_1)
	s_mov_b32 s42, exec_lo
	v_cmpx_lt_u32_e64 v116, v139
	s_cbranch_execz .LBB1862_503
.LBB1862_569:                           ;   in Loop: Header=BB1862_393 Depth=2
	global_load_b64 v[30:31], v[60:61], off offset:3584
	s_wait_xcnt 0x0
	s_or_b32 exec_lo, exec_lo, s42
	s_delay_alu instid0(SALU_CYCLE_1)
	s_mov_b32 s42, exec_lo
	v_cmpx_lt_u32_e64 v117, v139
	s_cbranch_execz .LBB1862_504
.LBB1862_570:                           ;   in Loop: Header=BB1862_393 Depth=2
	global_load_b64 v[28:29], v[60:61], off offset:3840
	s_wait_xcnt 0x0
	s_or_b32 exec_lo, exec_lo, s42
	s_and_saveexec_b32 s42, vcc_lo
	s_cbranch_execz .LBB1862_505
.LBB1862_571:                           ;   in Loop: Header=BB1862_393 Depth=2
	ds_load_u16 v60, v93 offset:1024
	s_wait_dscnt 0x0
	v_cmp_ne_u16_e64 s30, 0x7fff, v60
	s_delay_alu instid0(VALU_DEP_1) | instskip(NEXT) | instid1(VALU_DEP_1)
	v_cndmask_b32_e64 v60, 0xffff8000, v60, s30
	v_and_b32_e32 v60, 0xffff, v60
	s_delay_alu instid0(VALU_DEP_1) | instskip(NEXT) | instid1(VALU_DEP_1)
	v_lshrrev_b32_e32 v60, s48, v60
	v_and_b32_e32 v138, s52, v60
	s_or_b32 exec_lo, exec_lo, s42
	s_and_saveexec_b32 s42, s15
	s_cbranch_execz .LBB1862_506
.LBB1862_572:                           ;   in Loop: Header=BB1862_393 Depth=2
	ds_load_u16 v60, v93 offset:1536
	s_wait_dscnt 0x0
	v_cmp_ne_u16_e64 s30, 0x7fff, v60
	s_delay_alu instid0(VALU_DEP_1) | instskip(NEXT) | instid1(VALU_DEP_1)
	v_cndmask_b32_e64 v60, 0xffff8000, v60, s30
	v_and_b32_e32 v60, 0xffff, v60
	s_delay_alu instid0(VALU_DEP_1) | instskip(NEXT) | instid1(VALU_DEP_1)
	v_lshrrev_b32_e32 v60, s48, v60
	v_and_b32_e32 v137, s52, v60
	s_or_b32 exec_lo, exec_lo, s42
	s_and_saveexec_b32 s42, s16
	s_cbranch_execz .LBB1862_507
.LBB1862_573:                           ;   in Loop: Header=BB1862_393 Depth=2
	ds_load_u16 v60, v93 offset:2048
	s_wait_dscnt 0x0
	v_cmp_ne_u16_e64 s30, 0x7fff, v60
	s_delay_alu instid0(VALU_DEP_1) | instskip(NEXT) | instid1(VALU_DEP_1)
	v_cndmask_b32_e64 v60, 0xffff8000, v60, s30
	v_and_b32_e32 v60, 0xffff, v60
	s_delay_alu instid0(VALU_DEP_1) | instskip(NEXT) | instid1(VALU_DEP_1)
	v_lshrrev_b32_e32 v60, s48, v60
	v_and_b32_e32 v136, s52, v60
	s_or_b32 exec_lo, exec_lo, s42
	s_and_saveexec_b32 s42, s17
	s_cbranch_execz .LBB1862_508
.LBB1862_574:                           ;   in Loop: Header=BB1862_393 Depth=2
	ds_load_u16 v60, v93 offset:2560
	s_wait_dscnt 0x0
	v_cmp_ne_u16_e64 s30, 0x7fff, v60
	s_delay_alu instid0(VALU_DEP_1) | instskip(NEXT) | instid1(VALU_DEP_1)
	v_cndmask_b32_e64 v60, 0xffff8000, v60, s30
	v_and_b32_e32 v60, 0xffff, v60
	s_delay_alu instid0(VALU_DEP_1) | instskip(NEXT) | instid1(VALU_DEP_1)
	v_lshrrev_b32_e32 v60, s48, v60
	v_and_b32_e32 v135, s52, v60
	s_or_b32 exec_lo, exec_lo, s42
	s_and_saveexec_b32 s42, s18
	s_cbranch_execz .LBB1862_509
.LBB1862_575:                           ;   in Loop: Header=BB1862_393 Depth=2
	ds_load_u16 v60, v93 offset:3072
	s_wait_dscnt 0x0
	v_cmp_ne_u16_e64 s30, 0x7fff, v60
	s_delay_alu instid0(VALU_DEP_1) | instskip(NEXT) | instid1(VALU_DEP_1)
	v_cndmask_b32_e64 v60, 0xffff8000, v60, s30
	v_and_b32_e32 v60, 0xffff, v60
	s_delay_alu instid0(VALU_DEP_1) | instskip(NEXT) | instid1(VALU_DEP_1)
	v_lshrrev_b32_e32 v60, s48, v60
	v_and_b32_e32 v134, s52, v60
	s_or_b32 exec_lo, exec_lo, s42
	s_and_saveexec_b32 s42, s19
	s_cbranch_execz .LBB1862_510
.LBB1862_576:                           ;   in Loop: Header=BB1862_393 Depth=2
	ds_load_u16 v60, v93 offset:3584
	s_wait_dscnt 0x0
	v_cmp_ne_u16_e64 s30, 0x7fff, v60
	s_delay_alu instid0(VALU_DEP_1) | instskip(NEXT) | instid1(VALU_DEP_1)
	v_cndmask_b32_e64 v60, 0xffff8000, v60, s30
	v_and_b32_e32 v60, 0xffff, v60
	s_delay_alu instid0(VALU_DEP_1) | instskip(NEXT) | instid1(VALU_DEP_1)
	v_lshrrev_b32_e32 v60, s48, v60
	v_and_b32_e32 v133, s52, v60
	s_or_b32 exec_lo, exec_lo, s42
	s_and_saveexec_b32 s42, s20
	s_cbranch_execz .LBB1862_511
.LBB1862_577:                           ;   in Loop: Header=BB1862_393 Depth=2
	ds_load_u16 v60, v93 offset:4096
	s_wait_dscnt 0x0
	v_cmp_ne_u16_e64 s30, 0x7fff, v60
	s_delay_alu instid0(VALU_DEP_1) | instskip(NEXT) | instid1(VALU_DEP_1)
	v_cndmask_b32_e64 v60, 0xffff8000, v60, s30
	v_and_b32_e32 v60, 0xffff, v60
	s_delay_alu instid0(VALU_DEP_1) | instskip(NEXT) | instid1(VALU_DEP_1)
	v_lshrrev_b32_e32 v60, s48, v60
	v_and_b32_e32 v132, s52, v60
	s_or_b32 exec_lo, exec_lo, s42
	s_and_saveexec_b32 s42, s21
	s_cbranch_execz .LBB1862_512
.LBB1862_578:                           ;   in Loop: Header=BB1862_393 Depth=2
	ds_load_u16 v60, v93 offset:4608
	s_wait_dscnt 0x0
	v_cmp_ne_u16_e64 s30, 0x7fff, v60
	s_delay_alu instid0(VALU_DEP_1) | instskip(NEXT) | instid1(VALU_DEP_1)
	v_cndmask_b32_e64 v60, 0xffff8000, v60, s30
	v_and_b32_e32 v60, 0xffff, v60
	s_delay_alu instid0(VALU_DEP_1) | instskip(NEXT) | instid1(VALU_DEP_1)
	v_lshrrev_b32_e32 v60, s48, v60
	v_and_b32_e32 v131, s52, v60
	s_or_b32 exec_lo, exec_lo, s42
	s_and_saveexec_b32 s42, s22
	s_cbranch_execz .LBB1862_513
.LBB1862_579:                           ;   in Loop: Header=BB1862_393 Depth=2
	ds_load_u16 v60, v93 offset:5120
	s_wait_dscnt 0x0
	v_cmp_ne_u16_e64 s30, 0x7fff, v60
	s_delay_alu instid0(VALU_DEP_1) | instskip(NEXT) | instid1(VALU_DEP_1)
	v_cndmask_b32_e64 v60, 0xffff8000, v60, s30
	v_and_b32_e32 v60, 0xffff, v60
	s_delay_alu instid0(VALU_DEP_1) | instskip(NEXT) | instid1(VALU_DEP_1)
	v_lshrrev_b32_e32 v60, s48, v60
	v_and_b32_e32 v130, s52, v60
	s_or_b32 exec_lo, exec_lo, s42
	s_and_saveexec_b32 s42, s23
	s_cbranch_execz .LBB1862_514
.LBB1862_580:                           ;   in Loop: Header=BB1862_393 Depth=2
	ds_load_u16 v60, v93 offset:5632
	s_wait_dscnt 0x0
	v_cmp_ne_u16_e64 s30, 0x7fff, v60
	s_delay_alu instid0(VALU_DEP_1) | instskip(NEXT) | instid1(VALU_DEP_1)
	v_cndmask_b32_e64 v60, 0xffff8000, v60, s30
	v_and_b32_e32 v60, 0xffff, v60
	s_delay_alu instid0(VALU_DEP_1) | instskip(NEXT) | instid1(VALU_DEP_1)
	v_lshrrev_b32_e32 v60, s48, v60
	v_and_b32_e32 v129, s52, v60
	s_or_b32 exec_lo, exec_lo, s42
	s_and_saveexec_b32 s42, s24
	s_cbranch_execz .LBB1862_515
.LBB1862_581:                           ;   in Loop: Header=BB1862_393 Depth=2
	ds_load_u16 v60, v93 offset:6144
	s_wait_dscnt 0x0
	v_cmp_ne_u16_e64 s30, 0x7fff, v60
	s_delay_alu instid0(VALU_DEP_1) | instskip(NEXT) | instid1(VALU_DEP_1)
	v_cndmask_b32_e64 v60, 0xffff8000, v60, s30
	v_and_b32_e32 v60, 0xffff, v60
	s_delay_alu instid0(VALU_DEP_1) | instskip(NEXT) | instid1(VALU_DEP_1)
	v_lshrrev_b32_e32 v60, s48, v60
	v_and_b32_e32 v128, s52, v60
	s_or_b32 exec_lo, exec_lo, s42
	s_and_saveexec_b32 s42, s25
	s_cbranch_execz .LBB1862_516
.LBB1862_582:                           ;   in Loop: Header=BB1862_393 Depth=2
	ds_load_u16 v60, v93 offset:6656
	s_wait_dscnt 0x0
	v_cmp_ne_u16_e64 s30, 0x7fff, v60
	s_delay_alu instid0(VALU_DEP_1) | instskip(NEXT) | instid1(VALU_DEP_1)
	v_cndmask_b32_e64 v60, 0xffff8000, v60, s30
	v_and_b32_e32 v60, 0xffff, v60
	s_delay_alu instid0(VALU_DEP_1) | instskip(NEXT) | instid1(VALU_DEP_1)
	v_lshrrev_b32_e32 v60, s48, v60
	v_and_b32_e32 v127, s52, v60
	s_or_b32 exec_lo, exec_lo, s42
	s_and_saveexec_b32 s42, s26
	s_cbranch_execz .LBB1862_517
.LBB1862_583:                           ;   in Loop: Header=BB1862_393 Depth=2
	ds_load_u16 v60, v93 offset:7168
	s_wait_dscnt 0x0
	v_cmp_ne_u16_e64 s30, 0x7fff, v60
	s_delay_alu instid0(VALU_DEP_1) | instskip(NEXT) | instid1(VALU_DEP_1)
	v_cndmask_b32_e64 v60, 0xffff8000, v60, s30
	v_and_b32_e32 v60, 0xffff, v60
	s_delay_alu instid0(VALU_DEP_1) | instskip(NEXT) | instid1(VALU_DEP_1)
	v_lshrrev_b32_e32 v60, s48, v60
	v_and_b32_e32 v126, s52, v60
	s_or_b32 exec_lo, exec_lo, s42
	s_and_saveexec_b32 s42, s27
	s_cbranch_execz .LBB1862_518
.LBB1862_584:                           ;   in Loop: Header=BB1862_393 Depth=2
	ds_load_u16 v60, v93 offset:7680
	s_wait_dscnt 0x0
	v_cmp_ne_u16_e64 s30, 0x7fff, v60
	s_delay_alu instid0(VALU_DEP_1) | instskip(NEXT) | instid1(VALU_DEP_1)
	v_cndmask_b32_e64 v60, 0xffff8000, v60, s30
	v_and_b32_e32 v60, 0xffff, v60
	s_delay_alu instid0(VALU_DEP_1) | instskip(NEXT) | instid1(VALU_DEP_1)
	v_lshrrev_b32_e32 v60, s48, v60
	v_and_b32_e32 v125, s52, v60
	s_or_b32 exec_lo, exec_lo, s42
	s_and_saveexec_b32 s42, s28
	s_cbranch_execz .LBB1862_519
.LBB1862_585:                           ;   in Loop: Header=BB1862_393 Depth=2
	ds_load_u16 v60, v93 offset:8192
	s_wait_dscnt 0x0
	v_cmp_ne_u16_e64 s30, 0x7fff, v60
	s_delay_alu instid0(VALU_DEP_1) | instskip(NEXT) | instid1(VALU_DEP_1)
	v_cndmask_b32_e64 v60, 0xffff8000, v60, s30
	v_and_b32_e32 v60, 0xffff, v60
	s_delay_alu instid0(VALU_DEP_1) | instskip(NEXT) | instid1(VALU_DEP_1)
	v_lshrrev_b32_e32 v60, s48, v60
	v_and_b32_e32 v124, s52, v60
	s_or_b32 exec_lo, exec_lo, s42
	s_and_saveexec_b32 s42, s29
	s_cbranch_execnz .LBB1862_520
	s_branch .LBB1862_521
.LBB1862_586:                           ;   in Loop: Header=BB1862_393 Depth=2
	v_lshlrev_b32_e32 v60, 2, v138
	v_add_nc_u32_e32 v61, v93, v94
	ds_load_b32 v63, v60
	ds_load_b64 v[60:61], v61 offset:1024
	s_wait_dscnt 0x1
	v_add_nc_u32_e32 v63, v63, v2
	s_wait_dscnt 0x0
	global_store_b64 v63, v[60:61], s[46:47] scale_offset
	s_wait_xcnt 0x0
	s_or_b32 exec_lo, exec_lo, s30
	s_and_saveexec_b32 s30, s15
	s_cbranch_execz .LBB1862_523
.LBB1862_587:                           ;   in Loop: Header=BB1862_393 Depth=2
	v_dual_lshlrev_b32 v60, 2, v137 :: v_dual_add_nc_u32 v61, v93, v94
	ds_load_b32 v63, v60
	ds_load_b64 v[60:61], v61 offset:3072
	s_wait_dscnt 0x1
	v_add_nc_u32_e32 v63, v63, v68
	s_wait_dscnt 0x0
	global_store_b64 v63, v[60:61], s[46:47] scale_offset
	s_wait_xcnt 0x0
	s_or_b32 exec_lo, exec_lo, s30
	s_and_saveexec_b32 s15, s16
	s_cbranch_execz .LBB1862_524
.LBB1862_588:                           ;   in Loop: Header=BB1862_393 Depth=2
	v_dual_lshlrev_b32 v60, 2, v136 :: v_dual_add_nc_u32 v61, v93, v94
	ds_load_b32 v63, v60
	ds_load_b64 v[60:61], v61 offset:5120
	s_wait_dscnt 0x1
	v_add_nc_u32_e32 v63, v63, v69
	s_wait_dscnt 0x0
	global_store_b64 v63, v[60:61], s[46:47] scale_offset
	s_wait_xcnt 0x0
	s_or_b32 exec_lo, exec_lo, s15
	s_and_saveexec_b32 s15, s17
	s_cbranch_execz .LBB1862_525
.LBB1862_589:                           ;   in Loop: Header=BB1862_393 Depth=2
	v_dual_lshlrev_b32 v60, 2, v135 :: v_dual_add_nc_u32 v61, v93, v94
	ds_load_b32 v63, v60
	ds_load_b64 v[60:61], v61 offset:7168
	s_wait_dscnt 0x1
	v_add_nc_u32_e32 v63, v63, v70
	s_wait_dscnt 0x0
	global_store_b64 v63, v[60:61], s[46:47] scale_offset
	s_wait_xcnt 0x0
	s_or_b32 exec_lo, exec_lo, s15
	s_and_saveexec_b32 s15, s18
	s_cbranch_execz .LBB1862_526
.LBB1862_590:                           ;   in Loop: Header=BB1862_393 Depth=2
	v_lshlrev_b32_e32 v60, 2, v134
	v_add_nc_u32_e32 v61, v93, v94
	ds_load_b32 v63, v60
	ds_load_b64 v[60:61], v61 offset:9216
	s_wait_dscnt 0x1
	v_add_nc_u32_e32 v63, v63, v71
	s_wait_dscnt 0x0
	global_store_b64 v63, v[60:61], s[46:47] scale_offset
	s_wait_xcnt 0x0
	s_or_b32 exec_lo, exec_lo, s15
	s_and_saveexec_b32 s15, s19
	s_cbranch_execz .LBB1862_527
.LBB1862_591:                           ;   in Loop: Header=BB1862_393 Depth=2
	v_dual_lshlrev_b32 v60, 2, v133 :: v_dual_add_nc_u32 v61, v93, v94
	ds_load_b32 v63, v60
	ds_load_b64 v[60:61], v61 offset:11264
	s_wait_dscnt 0x1
	v_add_nc_u32_e32 v63, v63, v72
	s_wait_dscnt 0x0
	global_store_b64 v63, v[60:61], s[46:47] scale_offset
	s_wait_xcnt 0x0
	s_or_b32 exec_lo, exec_lo, s15
	s_and_saveexec_b32 s15, s20
	s_cbranch_execz .LBB1862_528
.LBB1862_592:                           ;   in Loop: Header=BB1862_393 Depth=2
	v_dual_lshlrev_b32 v60, 2, v132 :: v_dual_add_nc_u32 v61, v93, v94
	ds_load_b32 v63, v60
	ds_load_b64 v[60:61], v61 offset:13312
	s_wait_dscnt 0x1
	v_add_nc_u32_e32 v63, v63, v73
	s_wait_dscnt 0x0
	global_store_b64 v63, v[60:61], s[46:47] scale_offset
	s_wait_xcnt 0x0
	s_or_b32 exec_lo, exec_lo, s15
	s_and_saveexec_b32 s15, s21
	s_cbranch_execz .LBB1862_529
.LBB1862_593:                           ;   in Loop: Header=BB1862_393 Depth=2
	v_dual_lshlrev_b32 v60, 2, v131 :: v_dual_add_nc_u32 v61, v93, v94
	ds_load_b32 v63, v60
	ds_load_b64 v[60:61], v61 offset:15360
	s_wait_dscnt 0x1
	v_add_nc_u32_e32 v63, v63, v74
	s_wait_dscnt 0x0
	global_store_b64 v63, v[60:61], s[46:47] scale_offset
	s_wait_xcnt 0x0
	s_or_b32 exec_lo, exec_lo, s15
	s_and_saveexec_b32 s15, s22
	s_cbranch_execz .LBB1862_530
.LBB1862_594:                           ;   in Loop: Header=BB1862_393 Depth=2
	v_lshlrev_b32_e32 v60, 2, v130
	v_add_nc_u32_e32 v61, v93, v94
	ds_load_b32 v63, v60
	ds_load_b64 v[60:61], v61 offset:17408
	s_wait_dscnt 0x1
	v_add_nc_u32_e32 v63, v63, v75
	s_wait_dscnt 0x0
	global_store_b64 v63, v[60:61], s[46:47] scale_offset
	s_wait_xcnt 0x0
	s_or_b32 exec_lo, exec_lo, s15
	s_and_saveexec_b32 s15, s23
	s_cbranch_execz .LBB1862_531
.LBB1862_595:                           ;   in Loop: Header=BB1862_393 Depth=2
	v_dual_lshlrev_b32 v60, 2, v129 :: v_dual_add_nc_u32 v61, v93, v94
	ds_load_b32 v63, v60
	ds_load_b64 v[60:61], v61 offset:19456
	s_wait_dscnt 0x1
	v_add_nc_u32_e32 v63, v63, v76
	s_wait_dscnt 0x0
	global_store_b64 v63, v[60:61], s[46:47] scale_offset
	s_wait_xcnt 0x0
	s_or_b32 exec_lo, exec_lo, s15
	s_and_saveexec_b32 s15, s24
	s_cbranch_execz .LBB1862_532
.LBB1862_596:                           ;   in Loop: Header=BB1862_393 Depth=2
	v_dual_lshlrev_b32 v60, 2, v128 :: v_dual_add_nc_u32 v61, v93, v94
	ds_load_b32 v63, v60
	ds_load_b64 v[60:61], v61 offset:21504
	s_wait_dscnt 0x1
	v_add_nc_u32_e32 v63, v63, v77
	s_wait_dscnt 0x0
	global_store_b64 v63, v[60:61], s[46:47] scale_offset
	s_wait_xcnt 0x0
	s_or_b32 exec_lo, exec_lo, s15
	s_and_saveexec_b32 s15, s25
	s_cbranch_execz .LBB1862_533
.LBB1862_597:                           ;   in Loop: Header=BB1862_393 Depth=2
	v_dual_lshlrev_b32 v60, 2, v127 :: v_dual_add_nc_u32 v61, v93, v94
	ds_load_b32 v63, v60
	ds_load_b64 v[60:61], v61 offset:23552
	s_wait_dscnt 0x1
	v_add_nc_u32_e32 v63, v63, v78
	s_wait_dscnt 0x0
	global_store_b64 v63, v[60:61], s[46:47] scale_offset
	s_wait_xcnt 0x0
	s_or_b32 exec_lo, exec_lo, s15
	s_and_saveexec_b32 s15, s26
	s_cbranch_execz .LBB1862_534
.LBB1862_598:                           ;   in Loop: Header=BB1862_393 Depth=2
	v_lshlrev_b32_e32 v60, 2, v126
	v_add_nc_u32_e32 v61, v93, v94
	ds_load_b32 v63, v60
	ds_load_b64 v[60:61], v61 offset:25600
	s_wait_dscnt 0x1
	v_add_nc_u32_e32 v63, v63, v79
	s_wait_dscnt 0x0
	global_store_b64 v63, v[60:61], s[46:47] scale_offset
	s_wait_xcnt 0x0
	s_or_b32 exec_lo, exec_lo, s15
	s_and_saveexec_b32 s15, s27
	s_cbranch_execz .LBB1862_535
.LBB1862_599:                           ;   in Loop: Header=BB1862_393 Depth=2
	v_dual_lshlrev_b32 v60, 2, v125 :: v_dual_add_nc_u32 v61, v93, v94
	ds_load_b32 v63, v60
	ds_load_b64 v[60:61], v61 offset:27648
	s_wait_dscnt 0x1
	v_add_nc_u32_e32 v63, v63, v80
	s_wait_dscnt 0x0
	global_store_b64 v63, v[60:61], s[46:47] scale_offset
	s_wait_xcnt 0x0
	s_or_b32 exec_lo, exec_lo, s15
	s_and_saveexec_b32 s15, s28
	s_cbranch_execz .LBB1862_536
.LBB1862_600:                           ;   in Loop: Header=BB1862_393 Depth=2
	v_dual_lshlrev_b32 v60, 2, v124 :: v_dual_add_nc_u32 v61, v93, v94
	ds_load_b32 v63, v60
	ds_load_b64 v[60:61], v61 offset:29696
	s_wait_dscnt 0x1
	v_add_nc_u32_e32 v63, v63, v81
	s_wait_dscnt 0x0
	global_store_b64 v63, v[60:61], s[46:47] scale_offset
	s_wait_xcnt 0x0
	s_or_b32 exec_lo, exec_lo, s15
	s_and_saveexec_b32 s15, s29
	s_cbranch_execnz .LBB1862_537
	s_branch .LBB1862_538
.LBB1862_601:                           ;   in Loop: Header=BB1862_17 Depth=1
	s_wait_dscnt 0x0
	s_barrier_signal -1
	s_barrier_wait -1
.LBB1862_602:                           ;   in Loop: Header=BB1862_17 Depth=1
	s_mov_b32 s7, 0
.LBB1862_603:                           ;   in Loop: Header=BB1862_17 Depth=1
	s_delay_alu instid0(SALU_CYCLE_1)
	s_and_not1_b32 vcc_lo, exec_lo, s7
	s_cbranch_vccnz .LBB1862_16
; %bb.604:                              ;   in Loop: Header=BB1862_17 Depth=1
	s_and_b32 vcc_lo, exec_lo, s55
	s_mov_b32 s7, -1
	s_cbranch_vccz .LBB1862_896
; %bb.605:                              ;   in Loop: Header=BB1862_17 Depth=1
	s_mov_b32 s7, s56
	s_mov_b32 s42, s54
	s_barrier_signal -1
	s_barrier_wait -1
                                        ; implicit-def: $vgpr23
                                        ; implicit-def: $vgpr24
                                        ; implicit-def: $vgpr25
                                        ; implicit-def: $vgpr26
                                        ; implicit-def: $vgpr27
                                        ; implicit-def: $vgpr28
                                        ; implicit-def: $vgpr29
                                        ; implicit-def: $vgpr30
                                        ; implicit-def: $vgpr31
                                        ; implicit-def: $vgpr32
                                        ; implicit-def: $vgpr33
                                        ; implicit-def: $vgpr34
                                        ; implicit-def: $vgpr35
                                        ; implicit-def: $vgpr36
                                        ; implicit-def: $vgpr37
                                        ; implicit-def: $vgpr38
	s_branch .LBB1862_607
.LBB1862_606:                           ;   in Loop: Header=BB1862_607 Depth=2
	s_or_b32 exec_lo, exec_lo, s8
	s_addk_co_i32 s7, 0xf000
	s_cmp_ge_u32 s10, s51
	s_mov_b32 s42, s10
	s_cbranch_scc1 .LBB1862_675
.LBB1862_607:                           ;   Parent Loop BB1862_17 Depth=1
                                        ; =>  This Inner Loop Header: Depth=2
	s_add_co_i32 s10, s42, 0x1000
	s_mov_b32 s8, -1
	s_cmp_gt_u32 s10, s51
                                        ; implicit-def: $vgpr39
                                        ; implicit-def: $vgpr40
                                        ; implicit-def: $vgpr41
                                        ; implicit-def: $vgpr42
                                        ; implicit-def: $vgpr43
                                        ; implicit-def: $vgpr44
                                        ; implicit-def: $vgpr45
                                        ; implicit-def: $vgpr46
                                        ; implicit-def: $vgpr47
                                        ; implicit-def: $vgpr48
                                        ; implicit-def: $vgpr49
                                        ; implicit-def: $vgpr50
                                        ; implicit-def: $vgpr51
                                        ; implicit-def: $vgpr52
                                        ; implicit-def: $vgpr53
                                        ; implicit-def: $vgpr54
	s_cbranch_scc1 .LBB1862_609
; %bb.608:                              ;   in Loop: Header=BB1862_607 Depth=2
	v_lshl_add_u64 v[54:55], s[42:43], 1, v[16:17]
	s_mov_b32 s8, 0
	s_clause 0xf
	global_load_u16 v39, v[54:55], off
	global_load_u16 v40, v[54:55], off offset:512
	global_load_u16 v41, v[54:55], off offset:1024
	;; [unrolled: 1-line block ×15, first 2 shown]
.LBB1862_609:                           ;   in Loop: Header=BB1862_607 Depth=2
	s_and_not1_b32 vcc_lo, exec_lo, s8
	s_movk_i32 s8, 0x1000
	s_cbranch_vccnz .LBB1862_628
; %bb.610:                              ;   in Loop: Header=BB1862_607 Depth=2
	s_lshl_b64 s[8:9], s[42:43], 1
	s_mov_b32 s11, exec_lo
	s_add_nc_u64 s[8:9], s[36:37], s[8:9]
	s_wait_xcnt 0x0
	v_cmpx_gt_u32_e64 s7, v2
	s_cbranch_execnz .LBB1862_660
; %bb.611:                              ;   in Loop: Header=BB1862_607 Depth=2
	s_or_b32 exec_lo, exec_lo, s11
	s_delay_alu instid0(SALU_CYCLE_1)
	s_mov_b32 s11, exec_lo
	v_cmpx_gt_u32_e64 s7, v68
	s_cbranch_execnz .LBB1862_661
.LBB1862_612:                           ;   in Loop: Header=BB1862_607 Depth=2
	s_or_b32 exec_lo, exec_lo, s11
	s_delay_alu instid0(SALU_CYCLE_1)
	s_mov_b32 s11, exec_lo
	v_cmpx_gt_u32_e64 s7, v69
	s_cbranch_execnz .LBB1862_662
.LBB1862_613:                           ;   in Loop: Header=BB1862_607 Depth=2
	s_or_b32 exec_lo, exec_lo, s11
	s_delay_alu instid0(SALU_CYCLE_1)
	s_mov_b32 s11, exec_lo
	v_cmpx_gt_u32_e64 s7, v70
	s_cbranch_execnz .LBB1862_663
.LBB1862_614:                           ;   in Loop: Header=BB1862_607 Depth=2
	s_or_b32 exec_lo, exec_lo, s11
	s_delay_alu instid0(SALU_CYCLE_1)
	s_mov_b32 s11, exec_lo
	v_cmpx_gt_u32_e64 s7, v71
	s_cbranch_execnz .LBB1862_664
.LBB1862_615:                           ;   in Loop: Header=BB1862_607 Depth=2
	s_or_b32 exec_lo, exec_lo, s11
	s_delay_alu instid0(SALU_CYCLE_1)
	s_mov_b32 s11, exec_lo
	v_cmpx_gt_u32_e64 s7, v72
	s_cbranch_execnz .LBB1862_665
.LBB1862_616:                           ;   in Loop: Header=BB1862_607 Depth=2
	s_or_b32 exec_lo, exec_lo, s11
	s_delay_alu instid0(SALU_CYCLE_1)
	s_mov_b32 s11, exec_lo
	v_cmpx_gt_u32_e64 s7, v73
	s_cbranch_execnz .LBB1862_666
.LBB1862_617:                           ;   in Loop: Header=BB1862_607 Depth=2
	s_or_b32 exec_lo, exec_lo, s11
	s_delay_alu instid0(SALU_CYCLE_1)
	s_mov_b32 s11, exec_lo
	v_cmpx_gt_u32_e64 s7, v74
	s_cbranch_execnz .LBB1862_667
.LBB1862_618:                           ;   in Loop: Header=BB1862_607 Depth=2
	s_or_b32 exec_lo, exec_lo, s11
	s_delay_alu instid0(SALU_CYCLE_1)
	s_mov_b32 s11, exec_lo
	v_cmpx_gt_u32_e64 s7, v75
	s_cbranch_execnz .LBB1862_668
.LBB1862_619:                           ;   in Loop: Header=BB1862_607 Depth=2
	s_or_b32 exec_lo, exec_lo, s11
	s_delay_alu instid0(SALU_CYCLE_1)
	s_mov_b32 s11, exec_lo
	v_cmpx_gt_u32_e64 s7, v76
	s_cbranch_execnz .LBB1862_669
.LBB1862_620:                           ;   in Loop: Header=BB1862_607 Depth=2
	s_or_b32 exec_lo, exec_lo, s11
	s_delay_alu instid0(SALU_CYCLE_1)
	s_mov_b32 s11, exec_lo
	v_cmpx_gt_u32_e64 s7, v77
	s_cbranch_execnz .LBB1862_670
.LBB1862_621:                           ;   in Loop: Header=BB1862_607 Depth=2
	s_or_b32 exec_lo, exec_lo, s11
	s_delay_alu instid0(SALU_CYCLE_1)
	s_mov_b32 s11, exec_lo
	v_cmpx_gt_u32_e64 s7, v78
	s_cbranch_execnz .LBB1862_671
.LBB1862_622:                           ;   in Loop: Header=BB1862_607 Depth=2
	s_or_b32 exec_lo, exec_lo, s11
	s_delay_alu instid0(SALU_CYCLE_1)
	s_mov_b32 s11, exec_lo
	v_cmpx_gt_u32_e64 s7, v79
	s_cbranch_execnz .LBB1862_672
.LBB1862_623:                           ;   in Loop: Header=BB1862_607 Depth=2
	s_or_b32 exec_lo, exec_lo, s11
	s_delay_alu instid0(SALU_CYCLE_1)
	s_mov_b32 s11, exec_lo
	v_cmpx_gt_u32_e64 s7, v80
	s_cbranch_execnz .LBB1862_673
.LBB1862_624:                           ;   in Loop: Header=BB1862_607 Depth=2
	s_or_b32 exec_lo, exec_lo, s11
	s_delay_alu instid0(SALU_CYCLE_1)
	s_mov_b32 s11, exec_lo
	v_cmpx_gt_u32_e64 s7, v81
	s_cbranch_execnz .LBB1862_674
.LBB1862_625:                           ;   in Loop: Header=BB1862_607 Depth=2
	s_or_b32 exec_lo, exec_lo, s11
	s_delay_alu instid0(SALU_CYCLE_1)
	s_mov_b32 s11, exec_lo
	v_cmpx_gt_u32_e64 s7, v82
	s_cbranch_execz .LBB1862_627
.LBB1862_626:                           ;   in Loop: Header=BB1862_607 Depth=2
	global_load_u16 v23, v2, s[8:9] offset:7680 scale_offset
.LBB1862_627:                           ;   in Loop: Header=BB1862_607 Depth=2
	s_wait_xcnt 0x0
	s_or_b32 exec_lo, exec_lo, s11
	s_wait_loadcnt 0x0
	v_dual_mov_b32 v39, v38 :: v_dual_mov_b32 v40, v37
	v_dual_mov_b32 v41, v36 :: v_dual_mov_b32 v42, v35
	;; [unrolled: 1-line block ×8, first 2 shown]
	s_mov_b32 s8, s7
.LBB1862_628:                           ;   in Loop: Header=BB1862_607 Depth=2
	s_wait_loadcnt 0x0
	s_delay_alu instid0(VALU_DEP_1)
	v_dual_mov_b32 v23, v54 :: v_dual_mov_b32 v24, v53
	v_dual_mov_b32 v25, v52 :: v_dual_mov_b32 v26, v51
	;; [unrolled: 1-line block ×8, first 2 shown]
	s_mov_b32 s9, exec_lo
	s_wait_xcnt 0x0
	v_cmpx_gt_u32_e64 s8, v2
	s_cbranch_execnz .LBB1862_644
; %bb.629:                              ;   in Loop: Header=BB1862_607 Depth=2
	s_or_b32 exec_lo, exec_lo, s9
	s_delay_alu instid0(SALU_CYCLE_1)
	s_mov_b32 s9, exec_lo
	v_cmpx_gt_u32_e64 s8, v68
	s_cbranch_execnz .LBB1862_645
.LBB1862_630:                           ;   in Loop: Header=BB1862_607 Depth=2
	s_or_b32 exec_lo, exec_lo, s9
	s_delay_alu instid0(SALU_CYCLE_1)
	s_mov_b32 s9, exec_lo
	v_cmpx_gt_u32_e64 s8, v69
	s_cbranch_execnz .LBB1862_646
.LBB1862_631:                           ;   in Loop: Header=BB1862_607 Depth=2
	s_or_b32 exec_lo, exec_lo, s9
	s_delay_alu instid0(SALU_CYCLE_1)
	s_mov_b32 s9, exec_lo
	v_cmpx_gt_u32_e64 s8, v70
	s_cbranch_execnz .LBB1862_647
.LBB1862_632:                           ;   in Loop: Header=BB1862_607 Depth=2
	s_or_b32 exec_lo, exec_lo, s9
	s_delay_alu instid0(SALU_CYCLE_1)
	s_mov_b32 s9, exec_lo
	v_cmpx_gt_u32_e64 s8, v71
	s_cbranch_execnz .LBB1862_648
.LBB1862_633:                           ;   in Loop: Header=BB1862_607 Depth=2
	s_or_b32 exec_lo, exec_lo, s9
	s_delay_alu instid0(SALU_CYCLE_1)
	s_mov_b32 s9, exec_lo
	v_cmpx_gt_u32_e64 s8, v72
	s_cbranch_execnz .LBB1862_649
.LBB1862_634:                           ;   in Loop: Header=BB1862_607 Depth=2
	s_or_b32 exec_lo, exec_lo, s9
	s_delay_alu instid0(SALU_CYCLE_1)
	s_mov_b32 s9, exec_lo
	v_cmpx_gt_u32_e64 s8, v73
	s_cbranch_execnz .LBB1862_650
.LBB1862_635:                           ;   in Loop: Header=BB1862_607 Depth=2
	s_or_b32 exec_lo, exec_lo, s9
	s_delay_alu instid0(SALU_CYCLE_1)
	s_mov_b32 s9, exec_lo
	v_cmpx_gt_u32_e64 s8, v74
	s_cbranch_execnz .LBB1862_651
.LBB1862_636:                           ;   in Loop: Header=BB1862_607 Depth=2
	s_or_b32 exec_lo, exec_lo, s9
	s_delay_alu instid0(SALU_CYCLE_1)
	s_mov_b32 s9, exec_lo
	v_cmpx_gt_u32_e64 s8, v75
	s_cbranch_execnz .LBB1862_652
.LBB1862_637:                           ;   in Loop: Header=BB1862_607 Depth=2
	s_or_b32 exec_lo, exec_lo, s9
	s_delay_alu instid0(SALU_CYCLE_1)
	s_mov_b32 s9, exec_lo
	v_cmpx_gt_u32_e64 s8, v76
	s_cbranch_execnz .LBB1862_653
.LBB1862_638:                           ;   in Loop: Header=BB1862_607 Depth=2
	s_or_b32 exec_lo, exec_lo, s9
	s_delay_alu instid0(SALU_CYCLE_1)
	s_mov_b32 s9, exec_lo
	v_cmpx_gt_u32_e64 s8, v77
	s_cbranch_execnz .LBB1862_654
.LBB1862_639:                           ;   in Loop: Header=BB1862_607 Depth=2
	s_or_b32 exec_lo, exec_lo, s9
	s_delay_alu instid0(SALU_CYCLE_1)
	s_mov_b32 s9, exec_lo
	v_cmpx_gt_u32_e64 s8, v78
	s_cbranch_execnz .LBB1862_655
.LBB1862_640:                           ;   in Loop: Header=BB1862_607 Depth=2
	s_or_b32 exec_lo, exec_lo, s9
	s_delay_alu instid0(SALU_CYCLE_1)
	s_mov_b32 s9, exec_lo
	v_cmpx_gt_u32_e64 s8, v79
	s_cbranch_execnz .LBB1862_656
.LBB1862_641:                           ;   in Loop: Header=BB1862_607 Depth=2
	s_or_b32 exec_lo, exec_lo, s9
	s_delay_alu instid0(SALU_CYCLE_1)
	s_mov_b32 s9, exec_lo
	v_cmpx_gt_u32_e64 s8, v80
	s_cbranch_execnz .LBB1862_657
.LBB1862_642:                           ;   in Loop: Header=BB1862_607 Depth=2
	s_or_b32 exec_lo, exec_lo, s9
	s_delay_alu instid0(SALU_CYCLE_1)
	s_mov_b32 s9, exec_lo
	v_cmpx_gt_u32_e64 s8, v81
	s_cbranch_execnz .LBB1862_658
.LBB1862_643:                           ;   in Loop: Header=BB1862_607 Depth=2
	s_or_b32 exec_lo, exec_lo, s9
	v_cmp_gt_u32_e32 vcc_lo, s8, v82
	s_and_saveexec_b32 s8, vcc_lo
	s_cbranch_execz .LBB1862_606
	s_branch .LBB1862_659
.LBB1862_644:                           ;   in Loop: Header=BB1862_607 Depth=2
	v_cmp_lt_i16_e32 vcc_lo, -1, v38
	v_cndmask_b32_e64 v39, -1, 0xffff8000, vcc_lo
	s_delay_alu instid0(VALU_DEP_1) | instskip(NEXT) | instid1(VALU_DEP_1)
	v_xor_b32_e32 v39, v39, v38
	v_cmp_ne_u16_e32 vcc_lo, 0x7fff, v39
	v_cndmask_b32_e32 v39, 0xffff8000, v39, vcc_lo
	s_delay_alu instid0(VALU_DEP_1) | instskip(NEXT) | instid1(VALU_DEP_1)
	v_and_b32_e32 v39, 0xffff, v39
	v_lshrrev_b32_e32 v39, s49, v39
	s_delay_alu instid0(VALU_DEP_1) | instskip(NEXT) | instid1(VALU_DEP_1)
	v_and_b32_e32 v39, s52, v39
	v_lshl_or_b32 v39, v39, 4, v83
	ds_add_u32 v39, v96
	s_or_b32 exec_lo, exec_lo, s9
	s_delay_alu instid0(SALU_CYCLE_1)
	s_mov_b32 s9, exec_lo
	v_cmpx_gt_u32_e64 s8, v68
	s_cbranch_execz .LBB1862_630
.LBB1862_645:                           ;   in Loop: Header=BB1862_607 Depth=2
	v_cmp_lt_i16_e32 vcc_lo, -1, v37
	v_cndmask_b32_e64 v39, -1, 0xffff8000, vcc_lo
	s_delay_alu instid0(VALU_DEP_1) | instskip(NEXT) | instid1(VALU_DEP_1)
	v_xor_b32_e32 v39, v39, v37
	v_cmp_ne_u16_e32 vcc_lo, 0x7fff, v39
	v_cndmask_b32_e32 v39, 0xffff8000, v39, vcc_lo
	s_delay_alu instid0(VALU_DEP_1) | instskip(NEXT) | instid1(VALU_DEP_1)
	v_and_b32_e32 v39, 0xffff, v39
	v_lshrrev_b32_e32 v39, s49, v39
	s_delay_alu instid0(VALU_DEP_1) | instskip(NEXT) | instid1(VALU_DEP_1)
	v_and_b32_e32 v39, s52, v39
	v_lshl_or_b32 v39, v39, 4, v83
	ds_add_u32 v39, v96
	s_or_b32 exec_lo, exec_lo, s9
	s_delay_alu instid0(SALU_CYCLE_1)
	s_mov_b32 s9, exec_lo
	v_cmpx_gt_u32_e64 s8, v69
	s_cbranch_execz .LBB1862_631
.LBB1862_646:                           ;   in Loop: Header=BB1862_607 Depth=2
	v_cmp_lt_i16_e32 vcc_lo, -1, v36
	v_cndmask_b32_e64 v39, -1, 0xffff8000, vcc_lo
	s_delay_alu instid0(VALU_DEP_1) | instskip(NEXT) | instid1(VALU_DEP_1)
	v_xor_b32_e32 v39, v39, v36
	v_cmp_ne_u16_e32 vcc_lo, 0x7fff, v39
	v_cndmask_b32_e32 v39, 0xffff8000, v39, vcc_lo
	s_delay_alu instid0(VALU_DEP_1) | instskip(NEXT) | instid1(VALU_DEP_1)
	v_and_b32_e32 v39, 0xffff, v39
	v_lshrrev_b32_e32 v39, s49, v39
	s_delay_alu instid0(VALU_DEP_1) | instskip(NEXT) | instid1(VALU_DEP_1)
	v_and_b32_e32 v39, s52, v39
	v_lshl_or_b32 v39, v39, 4, v83
	ds_add_u32 v39, v96
	s_or_b32 exec_lo, exec_lo, s9
	s_delay_alu instid0(SALU_CYCLE_1)
	s_mov_b32 s9, exec_lo
	v_cmpx_gt_u32_e64 s8, v70
	s_cbranch_execz .LBB1862_632
.LBB1862_647:                           ;   in Loop: Header=BB1862_607 Depth=2
	v_cmp_lt_i16_e32 vcc_lo, -1, v35
	v_cndmask_b32_e64 v39, -1, 0xffff8000, vcc_lo
	s_delay_alu instid0(VALU_DEP_1) | instskip(NEXT) | instid1(VALU_DEP_1)
	v_xor_b32_e32 v39, v39, v35
	v_cmp_ne_u16_e32 vcc_lo, 0x7fff, v39
	v_cndmask_b32_e32 v39, 0xffff8000, v39, vcc_lo
	s_delay_alu instid0(VALU_DEP_1) | instskip(NEXT) | instid1(VALU_DEP_1)
	v_and_b32_e32 v39, 0xffff, v39
	v_lshrrev_b32_e32 v39, s49, v39
	s_delay_alu instid0(VALU_DEP_1) | instskip(NEXT) | instid1(VALU_DEP_1)
	v_and_b32_e32 v39, s52, v39
	v_lshl_or_b32 v39, v39, 4, v83
	ds_add_u32 v39, v96
	s_or_b32 exec_lo, exec_lo, s9
	s_delay_alu instid0(SALU_CYCLE_1)
	s_mov_b32 s9, exec_lo
	v_cmpx_gt_u32_e64 s8, v71
	s_cbranch_execz .LBB1862_633
.LBB1862_648:                           ;   in Loop: Header=BB1862_607 Depth=2
	v_cmp_lt_i16_e32 vcc_lo, -1, v34
	v_cndmask_b32_e64 v39, -1, 0xffff8000, vcc_lo
	s_delay_alu instid0(VALU_DEP_1) | instskip(NEXT) | instid1(VALU_DEP_1)
	v_xor_b32_e32 v39, v39, v34
	v_cmp_ne_u16_e32 vcc_lo, 0x7fff, v39
	v_cndmask_b32_e32 v39, 0xffff8000, v39, vcc_lo
	s_delay_alu instid0(VALU_DEP_1) | instskip(NEXT) | instid1(VALU_DEP_1)
	v_and_b32_e32 v39, 0xffff, v39
	v_lshrrev_b32_e32 v39, s49, v39
	s_delay_alu instid0(VALU_DEP_1) | instskip(NEXT) | instid1(VALU_DEP_1)
	v_and_b32_e32 v39, s52, v39
	v_lshl_or_b32 v39, v39, 4, v83
	ds_add_u32 v39, v96
	s_or_b32 exec_lo, exec_lo, s9
	s_delay_alu instid0(SALU_CYCLE_1)
	s_mov_b32 s9, exec_lo
	v_cmpx_gt_u32_e64 s8, v72
	s_cbranch_execz .LBB1862_634
.LBB1862_649:                           ;   in Loop: Header=BB1862_607 Depth=2
	v_cmp_lt_i16_e32 vcc_lo, -1, v33
	v_cndmask_b32_e64 v39, -1, 0xffff8000, vcc_lo
	s_delay_alu instid0(VALU_DEP_1) | instskip(NEXT) | instid1(VALU_DEP_1)
	v_xor_b32_e32 v39, v39, v33
	v_cmp_ne_u16_e32 vcc_lo, 0x7fff, v39
	v_cndmask_b32_e32 v39, 0xffff8000, v39, vcc_lo
	s_delay_alu instid0(VALU_DEP_1) | instskip(NEXT) | instid1(VALU_DEP_1)
	v_and_b32_e32 v39, 0xffff, v39
	v_lshrrev_b32_e32 v39, s49, v39
	s_delay_alu instid0(VALU_DEP_1) | instskip(NEXT) | instid1(VALU_DEP_1)
	v_and_b32_e32 v39, s52, v39
	v_lshl_or_b32 v39, v39, 4, v83
	ds_add_u32 v39, v96
	s_or_b32 exec_lo, exec_lo, s9
	s_delay_alu instid0(SALU_CYCLE_1)
	s_mov_b32 s9, exec_lo
	v_cmpx_gt_u32_e64 s8, v73
	s_cbranch_execz .LBB1862_635
.LBB1862_650:                           ;   in Loop: Header=BB1862_607 Depth=2
	v_cmp_lt_i16_e32 vcc_lo, -1, v32
	v_cndmask_b32_e64 v39, -1, 0xffff8000, vcc_lo
	s_delay_alu instid0(VALU_DEP_1) | instskip(NEXT) | instid1(VALU_DEP_1)
	v_xor_b32_e32 v39, v39, v32
	v_cmp_ne_u16_e32 vcc_lo, 0x7fff, v39
	v_cndmask_b32_e32 v39, 0xffff8000, v39, vcc_lo
	s_delay_alu instid0(VALU_DEP_1) | instskip(NEXT) | instid1(VALU_DEP_1)
	v_and_b32_e32 v39, 0xffff, v39
	v_lshrrev_b32_e32 v39, s49, v39
	s_delay_alu instid0(VALU_DEP_1) | instskip(NEXT) | instid1(VALU_DEP_1)
	v_and_b32_e32 v39, s52, v39
	v_lshl_or_b32 v39, v39, 4, v83
	ds_add_u32 v39, v96
	s_or_b32 exec_lo, exec_lo, s9
	s_delay_alu instid0(SALU_CYCLE_1)
	s_mov_b32 s9, exec_lo
	v_cmpx_gt_u32_e64 s8, v74
	s_cbranch_execz .LBB1862_636
.LBB1862_651:                           ;   in Loop: Header=BB1862_607 Depth=2
	v_cmp_lt_i16_e32 vcc_lo, -1, v31
	v_cndmask_b32_e64 v39, -1, 0xffff8000, vcc_lo
	s_delay_alu instid0(VALU_DEP_1) | instskip(NEXT) | instid1(VALU_DEP_1)
	v_xor_b32_e32 v39, v39, v31
	v_cmp_ne_u16_e32 vcc_lo, 0x7fff, v39
	v_cndmask_b32_e32 v39, 0xffff8000, v39, vcc_lo
	s_delay_alu instid0(VALU_DEP_1) | instskip(NEXT) | instid1(VALU_DEP_1)
	v_and_b32_e32 v39, 0xffff, v39
	v_lshrrev_b32_e32 v39, s49, v39
	s_delay_alu instid0(VALU_DEP_1) | instskip(NEXT) | instid1(VALU_DEP_1)
	v_and_b32_e32 v39, s52, v39
	v_lshl_or_b32 v39, v39, 4, v83
	ds_add_u32 v39, v96
	s_or_b32 exec_lo, exec_lo, s9
	s_delay_alu instid0(SALU_CYCLE_1)
	s_mov_b32 s9, exec_lo
	v_cmpx_gt_u32_e64 s8, v75
	s_cbranch_execz .LBB1862_637
.LBB1862_652:                           ;   in Loop: Header=BB1862_607 Depth=2
	v_cmp_lt_i16_e32 vcc_lo, -1, v30
	v_cndmask_b32_e64 v39, -1, 0xffff8000, vcc_lo
	s_delay_alu instid0(VALU_DEP_1) | instskip(NEXT) | instid1(VALU_DEP_1)
	v_xor_b32_e32 v39, v39, v30
	v_cmp_ne_u16_e32 vcc_lo, 0x7fff, v39
	v_cndmask_b32_e32 v39, 0xffff8000, v39, vcc_lo
	s_delay_alu instid0(VALU_DEP_1) | instskip(NEXT) | instid1(VALU_DEP_1)
	v_and_b32_e32 v39, 0xffff, v39
	v_lshrrev_b32_e32 v39, s49, v39
	s_delay_alu instid0(VALU_DEP_1) | instskip(NEXT) | instid1(VALU_DEP_1)
	v_and_b32_e32 v39, s52, v39
	v_lshl_or_b32 v39, v39, 4, v83
	ds_add_u32 v39, v96
	s_or_b32 exec_lo, exec_lo, s9
	s_delay_alu instid0(SALU_CYCLE_1)
	s_mov_b32 s9, exec_lo
	v_cmpx_gt_u32_e64 s8, v76
	s_cbranch_execz .LBB1862_638
.LBB1862_653:                           ;   in Loop: Header=BB1862_607 Depth=2
	v_cmp_lt_i16_e32 vcc_lo, -1, v29
	v_cndmask_b32_e64 v39, -1, 0xffff8000, vcc_lo
	s_delay_alu instid0(VALU_DEP_1) | instskip(NEXT) | instid1(VALU_DEP_1)
	v_xor_b32_e32 v39, v39, v29
	v_cmp_ne_u16_e32 vcc_lo, 0x7fff, v39
	v_cndmask_b32_e32 v39, 0xffff8000, v39, vcc_lo
	s_delay_alu instid0(VALU_DEP_1) | instskip(NEXT) | instid1(VALU_DEP_1)
	v_and_b32_e32 v39, 0xffff, v39
	v_lshrrev_b32_e32 v39, s49, v39
	s_delay_alu instid0(VALU_DEP_1) | instskip(NEXT) | instid1(VALU_DEP_1)
	v_and_b32_e32 v39, s52, v39
	v_lshl_or_b32 v39, v39, 4, v83
	ds_add_u32 v39, v96
	s_or_b32 exec_lo, exec_lo, s9
	s_delay_alu instid0(SALU_CYCLE_1)
	s_mov_b32 s9, exec_lo
	v_cmpx_gt_u32_e64 s8, v77
	s_cbranch_execz .LBB1862_639
.LBB1862_654:                           ;   in Loop: Header=BB1862_607 Depth=2
	v_cmp_lt_i16_e32 vcc_lo, -1, v28
	v_cndmask_b32_e64 v39, -1, 0xffff8000, vcc_lo
	s_delay_alu instid0(VALU_DEP_1) | instskip(NEXT) | instid1(VALU_DEP_1)
	v_xor_b32_e32 v39, v39, v28
	v_cmp_ne_u16_e32 vcc_lo, 0x7fff, v39
	v_cndmask_b32_e32 v39, 0xffff8000, v39, vcc_lo
	s_delay_alu instid0(VALU_DEP_1) | instskip(NEXT) | instid1(VALU_DEP_1)
	v_and_b32_e32 v39, 0xffff, v39
	v_lshrrev_b32_e32 v39, s49, v39
	s_delay_alu instid0(VALU_DEP_1) | instskip(NEXT) | instid1(VALU_DEP_1)
	v_and_b32_e32 v39, s52, v39
	v_lshl_or_b32 v39, v39, 4, v83
	ds_add_u32 v39, v96
	s_or_b32 exec_lo, exec_lo, s9
	s_delay_alu instid0(SALU_CYCLE_1)
	s_mov_b32 s9, exec_lo
	v_cmpx_gt_u32_e64 s8, v78
	s_cbranch_execz .LBB1862_640
.LBB1862_655:                           ;   in Loop: Header=BB1862_607 Depth=2
	v_cmp_lt_i16_e32 vcc_lo, -1, v27
	v_cndmask_b32_e64 v39, -1, 0xffff8000, vcc_lo
	s_delay_alu instid0(VALU_DEP_1) | instskip(NEXT) | instid1(VALU_DEP_1)
	v_xor_b32_e32 v39, v39, v27
	v_cmp_ne_u16_e32 vcc_lo, 0x7fff, v39
	v_cndmask_b32_e32 v39, 0xffff8000, v39, vcc_lo
	s_delay_alu instid0(VALU_DEP_1) | instskip(NEXT) | instid1(VALU_DEP_1)
	v_and_b32_e32 v39, 0xffff, v39
	v_lshrrev_b32_e32 v39, s49, v39
	s_delay_alu instid0(VALU_DEP_1) | instskip(NEXT) | instid1(VALU_DEP_1)
	v_and_b32_e32 v39, s52, v39
	v_lshl_or_b32 v39, v39, 4, v83
	ds_add_u32 v39, v96
	s_or_b32 exec_lo, exec_lo, s9
	s_delay_alu instid0(SALU_CYCLE_1)
	s_mov_b32 s9, exec_lo
	v_cmpx_gt_u32_e64 s8, v79
	s_cbranch_execz .LBB1862_641
.LBB1862_656:                           ;   in Loop: Header=BB1862_607 Depth=2
	v_cmp_lt_i16_e32 vcc_lo, -1, v26
	v_cndmask_b32_e64 v39, -1, 0xffff8000, vcc_lo
	s_delay_alu instid0(VALU_DEP_1) | instskip(NEXT) | instid1(VALU_DEP_1)
	v_xor_b32_e32 v39, v39, v26
	v_cmp_ne_u16_e32 vcc_lo, 0x7fff, v39
	v_cndmask_b32_e32 v39, 0xffff8000, v39, vcc_lo
	s_delay_alu instid0(VALU_DEP_1) | instskip(NEXT) | instid1(VALU_DEP_1)
	v_and_b32_e32 v39, 0xffff, v39
	v_lshrrev_b32_e32 v39, s49, v39
	s_delay_alu instid0(VALU_DEP_1) | instskip(NEXT) | instid1(VALU_DEP_1)
	v_and_b32_e32 v39, s52, v39
	v_lshl_or_b32 v39, v39, 4, v83
	ds_add_u32 v39, v96
	s_or_b32 exec_lo, exec_lo, s9
	s_delay_alu instid0(SALU_CYCLE_1)
	s_mov_b32 s9, exec_lo
	v_cmpx_gt_u32_e64 s8, v80
	s_cbranch_execz .LBB1862_642
.LBB1862_657:                           ;   in Loop: Header=BB1862_607 Depth=2
	v_cmp_lt_i16_e32 vcc_lo, -1, v25
	v_cndmask_b32_e64 v39, -1, 0xffff8000, vcc_lo
	s_delay_alu instid0(VALU_DEP_1) | instskip(NEXT) | instid1(VALU_DEP_1)
	v_xor_b32_e32 v39, v39, v25
	v_cmp_ne_u16_e32 vcc_lo, 0x7fff, v39
	v_cndmask_b32_e32 v39, 0xffff8000, v39, vcc_lo
	s_delay_alu instid0(VALU_DEP_1) | instskip(NEXT) | instid1(VALU_DEP_1)
	v_and_b32_e32 v39, 0xffff, v39
	v_lshrrev_b32_e32 v39, s49, v39
	s_delay_alu instid0(VALU_DEP_1) | instskip(NEXT) | instid1(VALU_DEP_1)
	v_and_b32_e32 v39, s52, v39
	v_lshl_or_b32 v39, v39, 4, v83
	ds_add_u32 v39, v96
	s_or_b32 exec_lo, exec_lo, s9
	s_delay_alu instid0(SALU_CYCLE_1)
	s_mov_b32 s9, exec_lo
	v_cmpx_gt_u32_e64 s8, v81
	s_cbranch_execz .LBB1862_643
.LBB1862_658:                           ;   in Loop: Header=BB1862_607 Depth=2
	v_cmp_lt_i16_e32 vcc_lo, -1, v24
	v_cndmask_b32_e64 v39, -1, 0xffff8000, vcc_lo
	s_delay_alu instid0(VALU_DEP_1) | instskip(NEXT) | instid1(VALU_DEP_1)
	v_xor_b32_e32 v39, v39, v24
	v_cmp_ne_u16_e32 vcc_lo, 0x7fff, v39
	v_cndmask_b32_e32 v39, 0xffff8000, v39, vcc_lo
	s_delay_alu instid0(VALU_DEP_1) | instskip(NEXT) | instid1(VALU_DEP_1)
	v_and_b32_e32 v39, 0xffff, v39
	v_lshrrev_b32_e32 v39, s49, v39
	s_delay_alu instid0(VALU_DEP_1) | instskip(NEXT) | instid1(VALU_DEP_1)
	v_and_b32_e32 v39, s52, v39
	v_lshl_or_b32 v39, v39, 4, v83
	ds_add_u32 v39, v96
	s_or_b32 exec_lo, exec_lo, s9
	v_cmp_gt_u32_e32 vcc_lo, s8, v82
	s_and_saveexec_b32 s8, vcc_lo
	s_cbranch_execz .LBB1862_606
.LBB1862_659:                           ;   in Loop: Header=BB1862_607 Depth=2
	v_cmp_lt_i16_e32 vcc_lo, -1, v23
	v_cndmask_b32_e64 v39, -1, 0xffff8000, vcc_lo
	s_delay_alu instid0(VALU_DEP_1) | instskip(NEXT) | instid1(VALU_DEP_1)
	v_xor_b32_e32 v39, v39, v23
	v_cmp_ne_u16_e32 vcc_lo, 0x7fff, v39
	v_cndmask_b32_e32 v39, 0xffff8000, v39, vcc_lo
	s_delay_alu instid0(VALU_DEP_1) | instskip(NEXT) | instid1(VALU_DEP_1)
	v_and_b32_e32 v39, 0xffff, v39
	v_lshrrev_b32_e32 v39, s49, v39
	s_delay_alu instid0(VALU_DEP_1) | instskip(NEXT) | instid1(VALU_DEP_1)
	v_and_b32_e32 v39, s52, v39
	v_lshl_or_b32 v39, v39, 4, v83
	ds_add_u32 v39, v96
	s_branch .LBB1862_606
.LBB1862_660:                           ;   in Loop: Header=BB1862_607 Depth=2
	global_load_u16 v38, v2, s[8:9] scale_offset
	s_wait_xcnt 0x0
	s_or_b32 exec_lo, exec_lo, s11
	s_delay_alu instid0(SALU_CYCLE_1)
	s_mov_b32 s11, exec_lo
	v_cmpx_gt_u32_e64 s7, v68
	s_cbranch_execz .LBB1862_612
.LBB1862_661:                           ;   in Loop: Header=BB1862_607 Depth=2
	global_load_u16 v37, v2, s[8:9] offset:512 scale_offset
	s_wait_xcnt 0x0
	s_or_b32 exec_lo, exec_lo, s11
	s_delay_alu instid0(SALU_CYCLE_1)
	s_mov_b32 s11, exec_lo
	v_cmpx_gt_u32_e64 s7, v69
	s_cbranch_execz .LBB1862_613
.LBB1862_662:                           ;   in Loop: Header=BB1862_607 Depth=2
	global_load_u16 v36, v2, s[8:9] offset:1024 scale_offset
	s_wait_xcnt 0x0
	s_or_b32 exec_lo, exec_lo, s11
	s_delay_alu instid0(SALU_CYCLE_1)
	s_mov_b32 s11, exec_lo
	v_cmpx_gt_u32_e64 s7, v70
	s_cbranch_execz .LBB1862_614
.LBB1862_663:                           ;   in Loop: Header=BB1862_607 Depth=2
	global_load_u16 v35, v2, s[8:9] offset:1536 scale_offset
	s_wait_xcnt 0x0
	s_or_b32 exec_lo, exec_lo, s11
	s_delay_alu instid0(SALU_CYCLE_1)
	s_mov_b32 s11, exec_lo
	v_cmpx_gt_u32_e64 s7, v71
	s_cbranch_execz .LBB1862_615
.LBB1862_664:                           ;   in Loop: Header=BB1862_607 Depth=2
	global_load_u16 v34, v2, s[8:9] offset:2048 scale_offset
	s_wait_xcnt 0x0
	s_or_b32 exec_lo, exec_lo, s11
	s_delay_alu instid0(SALU_CYCLE_1)
	s_mov_b32 s11, exec_lo
	v_cmpx_gt_u32_e64 s7, v72
	s_cbranch_execz .LBB1862_616
.LBB1862_665:                           ;   in Loop: Header=BB1862_607 Depth=2
	global_load_u16 v33, v2, s[8:9] offset:2560 scale_offset
	s_wait_xcnt 0x0
	s_or_b32 exec_lo, exec_lo, s11
	s_delay_alu instid0(SALU_CYCLE_1)
	s_mov_b32 s11, exec_lo
	v_cmpx_gt_u32_e64 s7, v73
	s_cbranch_execz .LBB1862_617
.LBB1862_666:                           ;   in Loop: Header=BB1862_607 Depth=2
	global_load_u16 v32, v2, s[8:9] offset:3072 scale_offset
	s_wait_xcnt 0x0
	s_or_b32 exec_lo, exec_lo, s11
	s_delay_alu instid0(SALU_CYCLE_1)
	s_mov_b32 s11, exec_lo
	v_cmpx_gt_u32_e64 s7, v74
	s_cbranch_execz .LBB1862_618
.LBB1862_667:                           ;   in Loop: Header=BB1862_607 Depth=2
	global_load_u16 v31, v2, s[8:9] offset:3584 scale_offset
	s_wait_xcnt 0x0
	s_or_b32 exec_lo, exec_lo, s11
	s_delay_alu instid0(SALU_CYCLE_1)
	s_mov_b32 s11, exec_lo
	v_cmpx_gt_u32_e64 s7, v75
	s_cbranch_execz .LBB1862_619
.LBB1862_668:                           ;   in Loop: Header=BB1862_607 Depth=2
	global_load_u16 v30, v2, s[8:9] offset:4096 scale_offset
	s_wait_xcnt 0x0
	s_or_b32 exec_lo, exec_lo, s11
	s_delay_alu instid0(SALU_CYCLE_1)
	s_mov_b32 s11, exec_lo
	v_cmpx_gt_u32_e64 s7, v76
	s_cbranch_execz .LBB1862_620
.LBB1862_669:                           ;   in Loop: Header=BB1862_607 Depth=2
	global_load_u16 v29, v2, s[8:9] offset:4608 scale_offset
	s_wait_xcnt 0x0
	s_or_b32 exec_lo, exec_lo, s11
	s_delay_alu instid0(SALU_CYCLE_1)
	s_mov_b32 s11, exec_lo
	v_cmpx_gt_u32_e64 s7, v77
	s_cbranch_execz .LBB1862_621
.LBB1862_670:                           ;   in Loop: Header=BB1862_607 Depth=2
	global_load_u16 v28, v2, s[8:9] offset:5120 scale_offset
	s_wait_xcnt 0x0
	s_or_b32 exec_lo, exec_lo, s11
	s_delay_alu instid0(SALU_CYCLE_1)
	s_mov_b32 s11, exec_lo
	v_cmpx_gt_u32_e64 s7, v78
	s_cbranch_execz .LBB1862_622
.LBB1862_671:                           ;   in Loop: Header=BB1862_607 Depth=2
	global_load_u16 v27, v2, s[8:9] offset:5632 scale_offset
	s_wait_xcnt 0x0
	s_or_b32 exec_lo, exec_lo, s11
	s_delay_alu instid0(SALU_CYCLE_1)
	s_mov_b32 s11, exec_lo
	v_cmpx_gt_u32_e64 s7, v79
	s_cbranch_execz .LBB1862_623
.LBB1862_672:                           ;   in Loop: Header=BB1862_607 Depth=2
	global_load_u16 v26, v2, s[8:9] offset:6144 scale_offset
	s_wait_xcnt 0x0
	s_or_b32 exec_lo, exec_lo, s11
	s_delay_alu instid0(SALU_CYCLE_1)
	s_mov_b32 s11, exec_lo
	v_cmpx_gt_u32_e64 s7, v80
	s_cbranch_execz .LBB1862_624
.LBB1862_673:                           ;   in Loop: Header=BB1862_607 Depth=2
	global_load_u16 v25, v2, s[8:9] offset:6656 scale_offset
	s_wait_xcnt 0x0
	s_or_b32 exec_lo, exec_lo, s11
	s_delay_alu instid0(SALU_CYCLE_1)
	s_mov_b32 s11, exec_lo
	v_cmpx_gt_u32_e64 s7, v81
	s_cbranch_execz .LBB1862_625
.LBB1862_674:                           ;   in Loop: Header=BB1862_607 Depth=2
	global_load_u16 v24, v2, s[8:9] offset:7168 scale_offset
	s_wait_xcnt 0x0
	s_or_b32 exec_lo, exec_lo, s11
	s_delay_alu instid0(SALU_CYCLE_1)
	s_mov_b32 s11, exec_lo
	v_cmpx_gt_u32_e64 s7, v82
	s_cbranch_execnz .LBB1862_626
	s_branch .LBB1862_627
.LBB1862_675:                           ;   in Loop: Header=BB1862_17 Depth=1
	v_mov_b32_e32 v23, 0
	s_wait_dscnt 0x0
	s_barrier_signal -1
	s_barrier_wait -1
	s_and_saveexec_b32 s7, s0
	s_cbranch_execz .LBB1862_677
; %bb.676:                              ;   in Loop: Header=BB1862_17 Depth=1
	ds_load_2addr_b64 v[24:27], v85 offset1:1
	s_wait_dscnt 0x0
	v_add_nc_u32_e32 v23, v25, v24
	s_delay_alu instid0(VALU_DEP_1)
	v_add3_u32 v23, v23, v26, v27
.LBB1862_677:                           ;   in Loop: Header=BB1862_17 Depth=1
	s_or_b32 exec_lo, exec_lo, s7
	s_delay_alu instid0(VALU_DEP_1)
	v_mov_b32_dpp v24, v23 row_shr:1 row_mask:0xf bank_mask:0xf
	v_cmp_eq_u32_e64 s7, 0, v97
	v_cmp_lt_u32_e64 s8, 1, v97
	v_cmp_lt_u32_e64 s9, 3, v97
	;; [unrolled: 1-line block ×3, first 2 shown]
	v_cmp_eq_u32_e64 s11, 0, v99
	v_cndmask_b32_e64 v24, v24, 0, s7
	s_delay_alu instid0(VALU_DEP_1) | instskip(NEXT) | instid1(VALU_DEP_1)
	v_add_nc_u32_e32 v23, v24, v23
	v_mov_b32_dpp v24, v23 row_shr:2 row_mask:0xf bank_mask:0xf
	s_delay_alu instid0(VALU_DEP_1) | instskip(NEXT) | instid1(VALU_DEP_1)
	v_cndmask_b32_e64 v24, 0, v24, s8
	v_add_nc_u32_e32 v23, v23, v24
	s_delay_alu instid0(VALU_DEP_1) | instskip(NEXT) | instid1(VALU_DEP_1)
	v_mov_b32_dpp v24, v23 row_shr:4 row_mask:0xf bank_mask:0xf
	v_cndmask_b32_e64 v24, 0, v24, s9
	s_delay_alu instid0(VALU_DEP_1) | instskip(NEXT) | instid1(VALU_DEP_1)
	v_add_nc_u32_e32 v23, v23, v24
	v_mov_b32_dpp v24, v23 row_shr:8 row_mask:0xf bank_mask:0xf
	s_delay_alu instid0(VALU_DEP_1) | instskip(NEXT) | instid1(VALU_DEP_1)
	v_cndmask_b32_e64 v24, 0, v24, s10
	v_add_nc_u32_e32 v23, v23, v24
	ds_swizzle_b32 v24, v23 offset:swizzle(BROADCAST,32,15)
	s_wait_dscnt 0x0
	v_and_b32_e32 v24, v98, v24
	s_delay_alu instid0(VALU_DEP_1)
	v_add_nc_u32_e32 v23, v23, v24
	s_and_saveexec_b32 s12, s1
; %bb.678:                              ;   in Loop: Header=BB1862_17 Depth=1
	ds_store_b32 v86, v23
; %bb.679:                              ;   in Loop: Header=BB1862_17 Depth=1
	s_or_b32 exec_lo, exec_lo, s12
	s_wait_dscnt 0x0
	s_barrier_signal -1
	s_barrier_wait -1
	s_and_saveexec_b32 s12, s4
	s_cbranch_execz .LBB1862_681
; %bb.680:                              ;   in Loop: Header=BB1862_17 Depth=1
	ds_load_b32 v24, v87
	v_cmp_ne_u32_e32 vcc_lo, 0, v101
	s_wait_dscnt 0x0
	v_mov_b32_dpp v25, v24 row_shr:1 row_mask:0xf bank_mask:0xf
	s_delay_alu instid0(VALU_DEP_1) | instskip(SKIP_1) | instid1(VALU_DEP_2)
	v_cndmask_b32_e32 v25, 0, v25, vcc_lo
	v_cmp_lt_u32_e32 vcc_lo, 1, v101
	v_add_nc_u32_e32 v24, v25, v24
	s_delay_alu instid0(VALU_DEP_1) | instskip(NEXT) | instid1(VALU_DEP_1)
	v_mov_b32_dpp v25, v24 row_shr:2 row_mask:0xf bank_mask:0xf
	v_cndmask_b32_e32 v25, 0, v25, vcc_lo
	v_cmp_lt_u32_e32 vcc_lo, 3, v101
	s_delay_alu instid0(VALU_DEP_2) | instskip(NEXT) | instid1(VALU_DEP_1)
	v_add_nc_u32_e32 v24, v24, v25
	v_mov_b32_dpp v25, v24 row_shr:4 row_mask:0xf bank_mask:0xf
	s_delay_alu instid0(VALU_DEP_1) | instskip(NEXT) | instid1(VALU_DEP_1)
	v_cndmask_b32_e32 v25, 0, v25, vcc_lo
	v_add_nc_u32_e32 v24, v24, v25
	ds_store_b32 v87, v24
.LBB1862_681:                           ;   in Loop: Header=BB1862_17 Depth=1
	s_or_b32 exec_lo, exec_lo, s12
	v_mov_b32_e32 v24, 0
	s_wait_dscnt 0x0
	s_barrier_signal -1
	s_barrier_wait -1
	s_and_saveexec_b32 s12, s5
; %bb.682:                              ;   in Loop: Header=BB1862_17 Depth=1
	ds_load_b32 v24, v88
; %bb.683:                              ;   in Loop: Header=BB1862_17 Depth=1
	s_or_b32 exec_lo, exec_lo, s12
	v_cmp_gt_i32_e32 vcc_lo, 0, v102
	s_wait_dscnt 0x0
	s_barrier_signal -1
	s_barrier_wait -1
	v_cndmask_b32_e32 v25, v102, v95, vcc_lo
	s_delay_alu instid0(VALU_DEP_1)
	v_dual_add_nc_u32 v23, v24, v23 :: v_dual_lshlrev_b32 v122, 2, v25
	ds_bpermute_b32 v23, v122, v23
	s_and_saveexec_b32 s12, s0
	s_cbranch_execz .LBB1862_685
; %bb.684:                              ;   in Loop: Header=BB1862_17 Depth=1
	s_wait_dscnt 0x0
	v_cndmask_b32_e64 v23, v23, v24, s6
	s_delay_alu instid0(VALU_DEP_1)
	v_add_nc_u32_e32 v23, s54, v23
	ds_store_b32 v3, v23
.LBB1862_685:                           ;   in Loop: Header=BB1862_17 Depth=1
	s_or_b32 exec_lo, exec_lo, s12
	s_load_b64 s[12:13], s[34:35], 0x0
	s_mov_b32 s53, s56
                                        ; implicit-def: $vgpr30_vgpr31
                                        ; implicit-def: $vgpr32_vgpr33
                                        ; implicit-def: $vgpr34_vgpr35
                                        ; implicit-def: $vgpr36_vgpr37
                                        ; implicit-def: $vgpr38_vgpr39
                                        ; implicit-def: $vgpr40_vgpr41
                                        ; implicit-def: $vgpr42_vgpr43
                                        ; implicit-def: $vgpr44_vgpr45
                                        ; implicit-def: $vgpr46_vgpr47
                                        ; implicit-def: $vgpr48_vgpr49
                                        ; implicit-def: $vgpr50_vgpr51
                                        ; implicit-def: $vgpr52_vgpr53
                                        ; implicit-def: $vgpr54_vgpr55
                                        ; implicit-def: $vgpr56_vgpr57
                                        ; implicit-def: $vgpr58_vgpr59
                                        ; implicit-def: $vgpr123
                                        ; implicit-def: $vgpr124
                                        ; implicit-def: $vgpr125
                                        ; implicit-def: $vgpr126
                                        ; implicit-def: $vgpr127
                                        ; implicit-def: $vgpr128
                                        ; implicit-def: $vgpr129
                                        ; implicit-def: $vgpr130
                                        ; implicit-def: $vgpr131
                                        ; implicit-def: $vgpr132
                                        ; implicit-def: $vgpr133
                                        ; implicit-def: $vgpr134
                                        ; implicit-def: $vgpr135
                                        ; implicit-def: $vgpr136
                                        ; implicit-def: $vgpr137
                                        ; implicit-def: $vgpr138
	s_wait_kmcnt 0x0
	s_cmp_lt_u32 s33, s12
	s_cselect_b32 s42, 12, 18
	s_cmp_lt_u32 s31, s13
	s_mov_b32 s13, s43
	s_cselect_b32 s12, 14, 20
	s_delay_alu instid0(SALU_CYCLE_1)
	s_add_nc_u64 s[12:13], s[34:35], s[12:13]
	s_load_u16 s14, s[12:13], 0x0
	s_wait_xcnt 0x0
	s_add_nc_u64 s[12:13], s[34:35], s[42:43]
	s_mov_b32 s42, s54
	s_load_u16 s12, s[12:13], 0x0
	s_wait_xcnt 0x0
	v_cmp_lt_u32_e64 s13, 1, v101
	s_wait_dscnt 0x0
	s_wait_kmcnt 0x0
	v_mad_u32_u24 v23, v89, s14, v90
	v_cmp_lt_u32_e64 s14, 3, v101
	s_delay_alu instid0(VALU_DEP_2) | instskip(SKIP_2) | instid1(VALU_DEP_3)
	v_mad_u32 v24, v23, s12, v2
	v_mov_b32_e32 v23, v5
	v_cmp_eq_u32_e64 s12, 0, v101
	v_lshrrev_b32_e32 v28, 3, v24
	v_add_nc_u64_e32 v[24:25], v[18:19], v[4:5]
	s_delay_alu instid0(VALU_DEP_4) | instskip(NEXT) | instid1(VALU_DEP_3)
	v_add_nc_u64_e32 v[26:27], v[20:21], v[22:23]
	v_and_b32_e32 v23, 0x1ffffffc, v28
                                        ; implicit-def: $vgpr28_vgpr29
	s_branch .LBB1862_687
.LBB1862_686:                           ;   in Loop: Header=BB1862_687 Depth=2
	s_or_b32 exec_lo, exec_lo, s15
	s_addk_co_i32 s53, 0xf000
	s_cmp_lt_u32 s57, s51
	s_mov_b32 s42, s57
	s_cbranch_scc0 .LBB1862_895
.LBB1862_687:                           ;   Parent Loop BB1862_17 Depth=1
                                        ; =>  This Inner Loop Header: Depth=2
	s_add_co_i32 s57, s42, 0x1000
	s_delay_alu instid0(SALU_CYCLE_1)
	s_cmp_gt_u32 s57, s51
	s_cbranch_scc1 .LBB1862_689
; %bb.688:                              ;   in Loop: Header=BB1862_687 Depth=2
	s_delay_alu instid0(VALU_DEP_2)
	v_lshl_add_u64 v[60:61], s[42:43], 1, v[26:27]
	s_mov_b32 s15, -1
	s_clause 0xe
	global_load_u16 v140, v[60:61], off
	global_load_u16 v141, v[60:61], off offset:64
	global_load_u16 v144, v[60:61], off offset:128
	;; [unrolled: 1-line block ×14, first 2 shown]
	s_movk_i32 s16, 0x1000
	s_cbranch_execz .LBB1862_690
	s_branch .LBB1862_721
.LBB1862_689:                           ;   in Loop: Header=BB1862_687 Depth=2
	s_mov_b32 s15, 0
                                        ; implicit-def: $vgpr140
                                        ; implicit-def: $vgpr141
                                        ; implicit-def: $vgpr144
                                        ; implicit-def: $vgpr148
                                        ; implicit-def: $vgpr152
                                        ; implicit-def: $vgpr156
                                        ; implicit-def: $vgpr160
                                        ; implicit-def: $vgpr164
                                        ; implicit-def: $vgpr168
                                        ; implicit-def: $vgpr67
                                        ; implicit-def: $vgpr66
                                        ; implicit-def: $vgpr65
                                        ; implicit-def: $vgpr64
                                        ; implicit-def: $vgpr63
                                        ; implicit-def: $vgpr62
	s_movk_i32 s16, 0x1000
.LBB1862_690:                           ;   in Loop: Header=BB1862_687 Depth=2
	s_wait_xcnt 0x0
	v_lshl_add_u64 v[60:61], s[42:43], 1, v[26:27]
	s_wait_loadcnt 0xd
	v_dual_mov_b32 v141, 0x7fff :: v_dual_mov_b32 v140, 0x7fff
	s_mov_b32 s15, exec_lo
	v_cmpx_gt_u32_e64 s53, v100
	s_cbranch_execz .LBB1862_692
; %bb.691:                              ;   in Loop: Header=BB1862_687 Depth=2
	global_load_u16 v140, v[60:61], off
.LBB1862_692:                           ;   in Loop: Header=BB1862_687 Depth=2
	s_wait_xcnt 0x0
	s_or_b32 exec_lo, exec_lo, s15
	s_delay_alu instid0(SALU_CYCLE_1)
	s_mov_b32 s15, exec_lo
	v_cmpx_gt_u32_e64 s53, v103
	s_cbranch_execz .LBB1862_694
; %bb.693:                              ;   in Loop: Header=BB1862_687 Depth=2
	global_load_u16 v141, v[60:61], off offset:64
.LBB1862_694:                           ;   in Loop: Header=BB1862_687 Depth=2
	s_wait_xcnt 0x0
	s_or_b32 exec_lo, exec_lo, s15
	s_wait_loadcnt 0xb
	v_mov_b32_e32 v148, 0x7fff
	v_mov_b32_e32 v144, 0x7fff
	s_mov_b32 s15, exec_lo
	v_cmpx_gt_u32_e64 s53, v104
	s_cbranch_execz .LBB1862_696
; %bb.695:                              ;   in Loop: Header=BB1862_687 Depth=2
	global_load_u16 v144, v[60:61], off offset:128
.LBB1862_696:                           ;   in Loop: Header=BB1862_687 Depth=2
	s_wait_xcnt 0x0
	s_or_b32 exec_lo, exec_lo, s15
	s_delay_alu instid0(SALU_CYCLE_1)
	s_mov_b32 s15, exec_lo
	v_cmpx_gt_u32_e64 s53, v105
	s_cbranch_execz .LBB1862_698
; %bb.697:                              ;   in Loop: Header=BB1862_687 Depth=2
	global_load_u16 v148, v[60:61], off offset:192
.LBB1862_698:                           ;   in Loop: Header=BB1862_687 Depth=2
	s_wait_xcnt 0x0
	s_or_b32 exec_lo, exec_lo, s15
	s_wait_loadcnt 0x9
	v_mov_b32_e32 v156, 0x7fff
	v_mov_b32_e32 v152, 0x7fff
	s_mov_b32 s15, exec_lo
	v_cmpx_gt_u32_e64 s53, v106
	s_cbranch_execz .LBB1862_700
; %bb.699:                              ;   in Loop: Header=BB1862_687 Depth=2
	global_load_u16 v152, v[60:61], off offset:256
.LBB1862_700:                           ;   in Loop: Header=BB1862_687 Depth=2
	;; [unrolled: 20-line block ×3, first 2 shown]
	s_wait_xcnt 0x0
	s_or_b32 exec_lo, exec_lo, s15
	s_delay_alu instid0(SALU_CYCLE_1)
	s_mov_b32 s15, exec_lo
	v_cmpx_gt_u32_e64 s53, v109
	s_cbranch_execz .LBB1862_706
; %bb.705:                              ;   in Loop: Header=BB1862_687 Depth=2
	global_load_u16 v164, v[60:61], off offset:448
.LBB1862_706:                           ;   in Loop: Header=BB1862_687 Depth=2
	s_wait_xcnt 0x0
	s_or_b32 exec_lo, exec_lo, s15
	s_wait_loadcnt 0x5
	v_dual_mov_b32 v67, 0x7fff :: v_dual_mov_b32 v168, 0x7fff
	s_mov_b32 s15, exec_lo
	v_cmpx_gt_u32_e64 s53, v110
	s_cbranch_execz .LBB1862_708
; %bb.707:                              ;   in Loop: Header=BB1862_687 Depth=2
	global_load_u16 v168, v[60:61], off offset:512
.LBB1862_708:                           ;   in Loop: Header=BB1862_687 Depth=2
	s_wait_xcnt 0x0
	s_or_b32 exec_lo, exec_lo, s15
	s_delay_alu instid0(SALU_CYCLE_1)
	s_mov_b32 s15, exec_lo
	v_cmpx_gt_u32_e64 s53, v111
	s_cbranch_execz .LBB1862_710
; %bb.709:                              ;   in Loop: Header=BB1862_687 Depth=2
	global_load_u16 v67, v[60:61], off offset:576
.LBB1862_710:                           ;   in Loop: Header=BB1862_687 Depth=2
	s_wait_xcnt 0x0
	s_or_b32 exec_lo, exec_lo, s15
	s_wait_loadcnt 0x3
	v_dual_mov_b32 v65, 0x7fff :: v_dual_mov_b32 v66, 0x7fff
	s_mov_b32 s15, exec_lo
	v_cmpx_gt_u32_e64 s53, v112
	s_cbranch_execz .LBB1862_712
; %bb.711:                              ;   in Loop: Header=BB1862_687 Depth=2
	global_load_u16 v66, v[60:61], off offset:640
.LBB1862_712:                           ;   in Loop: Header=BB1862_687 Depth=2
	;; [unrolled: 19-line block ×3, first 2 shown]
	s_wait_xcnt 0x0
	s_or_b32 exec_lo, exec_lo, s15
	s_delay_alu instid0(SALU_CYCLE_1)
	s_mov_b32 s15, exec_lo
	v_cmpx_gt_u32_e64 s53, v115
	s_cbranch_execz .LBB1862_718
; %bb.717:                              ;   in Loop: Header=BB1862_687 Depth=2
	global_load_u16 v63, v[60:61], off offset:832
.LBB1862_718:                           ;   in Loop: Header=BB1862_687 Depth=2
	s_wait_xcnt 0x0
	s_or_b32 exec_lo, exec_lo, s15
	s_wait_loadcnt 0x0
	v_mov_b32_e32 v62, 0x7fff
	s_mov_b32 s15, exec_lo
	v_cmpx_gt_u32_e64 s53, v116
	s_cbranch_execz .LBB1862_720
; %bb.719:                              ;   in Loop: Header=BB1862_687 Depth=2
	global_load_u16 v62, v[60:61], off offset:896
.LBB1862_720:                           ;   in Loop: Header=BB1862_687 Depth=2
	s_wait_xcnt 0x0
	s_or_b32 exec_lo, exec_lo, s15
	v_cmp_gt_u32_e64 s15, s53, v117
	s_sub_co_i32 s16, s51, s42
.LBB1862_721:                           ;   in Loop: Header=BB1862_687 Depth=2
	s_wait_xcnt 0x0
	v_dual_mov_b32 v60, 0x7fff :: v_dual_mov_b32 v139, s53
	s_and_saveexec_b32 s17, s15
	s_cbranch_execz .LBB1862_723
; %bb.722:                              ;   in Loop: Header=BB1862_687 Depth=2
	v_lshl_add_u64 v[60:61], s[42:43], 1, v[26:27]
	v_mov_b32_e32 v139, s16
	global_load_u16 v60, v[60:61], off offset:960
.LBB1862_723:                           ;   in Loop: Header=BB1862_687 Depth=2
	s_wait_xcnt 0x0
	s_or_b32 exec_lo, exec_lo, s17
	s_wait_loadcnt 0xe
	v_cmp_lt_i16_e64 vcc_lo, -1, v140
	ds_store_2addr_b32 v121, v5, v5 offset1:1
	ds_store_2addr_b32 v118, v5, v5 offset1:1
	;; [unrolled: 1-line block ×4, first 2 shown]
	ds_store_b32 v91, v5 offset:1088
	s_wait_loadcnt_dscnt 0x0
	s_barrier_signal -1
	v_cndmask_b32_e64 v61, -1, 0xffff8000, vcc_lo
	s_barrier_wait -1
	; wave barrier
	s_delay_alu instid0(VALU_DEP_1) | instskip(NEXT) | instid1(VALU_DEP_1)
	v_xor_b32_e32 v140, v61, v140
	v_cmp_ne_u16_e64 vcc_lo, 0x7fff, v140
	v_cndmask_b32_e32 v61, 0xffff8000, v140, vcc_lo
	s_delay_alu instid0(VALU_DEP_1) | instskip(NEXT) | instid1(VALU_DEP_1)
	v_and_b32_e32 v61, 0xffff, v61
	v_lshrrev_b32_e32 v61, s49, v61
	s_delay_alu instid0(VALU_DEP_1) | instskip(SKIP_1) | instid1(VALU_DEP_2)
	v_bitop3_b32 v142, v61, 1, s52 bitop3:0x80
	v_and_b32_e32 v143, s52, v61
	v_add_co_u32 v61, s15, v142, -1
	s_delay_alu instid0(VALU_DEP_1) | instskip(NEXT) | instid1(VALU_DEP_3)
	v_cndmask_b32_e64 v142, 0, 1, s15
	v_lshlrev_b32_e32 v145, 30, v143
	s_delay_alu instid0(VALU_DEP_2) | instskip(NEXT) | instid1(VALU_DEP_2)
	v_cmp_ne_u32_e32 vcc_lo, 0, v142
	v_not_b32_e32 v142, v145
	s_delay_alu instid0(VALU_DEP_1) | instskip(SKIP_3) | instid1(VALU_DEP_4)
	v_dual_ashrrev_i32 v142, 31, v142 :: v_dual_lshlrev_b32 v146, 29, v143
	v_dual_lshlrev_b32 v147, 28, v143 :: v_dual_lshlrev_b32 v149, 27, v143
	v_lshlrev_b32_e32 v150, 26, v143
	v_cmp_gt_i32_e64 s15, 0, v145
	v_cmp_gt_i32_e64 s16, 0, v146
	v_not_b32_e32 v145, v146
	v_not_b32_e32 v146, v147
	v_dual_lshlrev_b32 v151, 25, v143 :: v_dual_lshlrev_b32 v153, 24, v143
	v_cmp_gt_i32_e64 s17, 0, v147
	v_cmp_gt_i32_e64 s18, 0, v149
	v_not_b32_e32 v147, v149
	v_not_b32_e32 v149, v150
	v_dual_ashrrev_i32 v146, 31, v146 :: v_dual_bitop2_b32 v61, vcc_lo, v61 bitop3:0x14
	v_dual_ashrrev_i32 v145, 31, v145 :: v_dual_bitop2_b32 v142, s15, v142 bitop3:0x14
	v_cmp_gt_i32_e64 s19, 0, v150
	v_cmp_gt_i32_e64 s20, 0, v151
	v_not_b32_e32 v150, v151
	v_not_b32_e32 v151, v153
	v_dual_ashrrev_i32 v147, 31, v147 :: v_dual_ashrrev_i32 v149, 31, v149
	v_xor_b32_e32 v145, s16, v145
	v_xor_b32_e32 v146, s17, v146
	v_bitop3_b32 v61, v61, v142, exec_lo bitop3:0x80
	v_cmp_gt_i32_e64 s21, 0, v153
	v_dual_ashrrev_i32 v142, 31, v150 :: v_dual_ashrrev_i32 v150, 31, v151
	v_xor_b32_e32 v147, s18, v147
	s_delay_alu instid0(VALU_DEP_4) | instskip(SKIP_3) | instid1(VALU_DEP_3)
	v_bitop3_b32 v61, v61, v146, v145 bitop3:0x80
	v_mul_u32_u24_e32 v143, 36, v143
	v_xor_b32_e32 v149, s19, v149
	v_xor_b32_e32 v142, s20, v142
	v_dual_add_nc_u32 v143, v23, v143 :: v_dual_bitop2_b32 v145, s21, v150 bitop3:0x14
	s_delay_alu instid0(VALU_DEP_3) | instskip(NEXT) | instid1(VALU_DEP_1)
	v_bitop3_b32 v61, v61, v149, v147 bitop3:0x80
	v_bitop3_b32 v61, v61, v145, v142 bitop3:0x80
	s_delay_alu instid0(VALU_DEP_1) | instskip(SKIP_1) | instid1(VALU_DEP_2)
	v_mbcnt_lo_u32_b32 v142, v61, 0
	v_cmp_ne_u32_e64 s15, 0, v61
	v_cmp_eq_u32_e32 vcc_lo, 0, v142
	s_and_b32 s16, s15, vcc_lo
	s_delay_alu instid0(SALU_CYCLE_1)
	s_and_saveexec_b32 s15, s16
; %bb.724:                              ;   in Loop: Header=BB1862_687 Depth=2
	v_bcnt_u32_b32 v61, v61, 0
	ds_store_b32 v143, v61 offset:1056
; %bb.725:                              ;   in Loop: Header=BB1862_687 Depth=2
	s_or_b32 exec_lo, exec_lo, s15
	v_cmp_lt_i16_e64 vcc_lo, -1, v141
	; wave barrier
	s_delay_alu instid0(VALU_DEP_1) | instskip(NEXT) | instid1(VALU_DEP_1)
	v_cndmask_b32_e64 v61, -1, 0xffff8000, vcc_lo
	v_xor_b32_e32 v141, v61, v141
	s_delay_alu instid0(VALU_DEP_1) | instskip(SKIP_1) | instid1(VALU_DEP_1)
	v_cmp_ne_u16_e64 vcc_lo, 0x7fff, v141
	v_cndmask_b32_e32 v61, 0xffff8000, v141, vcc_lo
	v_and_b32_e32 v61, 0xffff, v61
	s_delay_alu instid0(VALU_DEP_1) | instskip(NEXT) | instid1(VALU_DEP_1)
	v_lshrrev_b32_e32 v61, s49, v61
	v_and_b32_e32 v147, s52, v61
	s_delay_alu instid0(VALU_DEP_1) | instskip(SKIP_2) | instid1(VALU_DEP_3)
	v_lshlrev_b32_e32 v149, 29, v147
	v_bitop3_b32 v145, v61, 1, s52 bitop3:0x80
	v_lshlrev_b32_e32 v146, 30, v147
	v_cmp_gt_i32_e64 s16, 0, v149
	s_delay_alu instid0(VALU_DEP_3) | instskip(NEXT) | instid1(VALU_DEP_1)
	v_add_co_u32 v61, s15, v145, -1
	v_cndmask_b32_e64 v145, 0, 1, s15
	s_delay_alu instid0(VALU_DEP_4) | instskip(NEXT) | instid1(VALU_DEP_2)
	v_cmp_gt_i32_e64 s15, 0, v146
	v_cmp_ne_u32_e32 vcc_lo, 0, v145
	v_not_b32_e32 v145, v146
	v_not_b32_e32 v146, v149
	s_delay_alu instid0(VALU_DEP_1) | instskip(SKIP_2) | instid1(VALU_DEP_3)
	v_dual_ashrrev_i32 v146, 31, v146 :: v_dual_lshlrev_b32 v150, 28, v147
	v_dual_lshlrev_b32 v151, 27, v147 :: v_dual_lshlrev_b32 v153, 26, v147
	v_dual_lshlrev_b32 v154, 25, v147 :: v_dual_lshlrev_b32 v155, 24, v147
	v_cmp_gt_i32_e64 s17, 0, v150
	v_not_b32_e32 v149, v150
	s_delay_alu instid0(VALU_DEP_4)
	v_not_b32_e32 v150, v151
	v_ashrrev_i32_e32 v145, 31, v145
	v_cmp_gt_i32_e64 s18, 0, v151
	v_cmp_gt_i32_e64 s19, 0, v153
	v_not_b32_e32 v151, v153
	v_cmp_gt_i32_e64 s20, 0, v154
	v_not_b32_e32 v153, v154
	v_not_b32_e32 v154, v155
	s_delay_alu instid0(VALU_DEP_4) | instskip(SKIP_3) | instid1(VALU_DEP_3)
	v_dual_ashrrev_i32 v151, 31, v151 :: v_dual_bitop2_b32 v61, vcc_lo, v61 bitop3:0x14
	v_dual_ashrrev_i32 v149, 31, v149 :: v_dual_bitop2_b32 v146, s16, v146 bitop3:0x14
	v_dual_ashrrev_i32 v150, 31, v150 :: v_dual_bitop2_b32 v145, s15, v145 bitop3:0x14
	v_cmp_gt_i32_e64 s21, 0, v155
	v_xor_b32_e32 v149, s17, v149
	v_xor_b32_e32 v151, s19, v151
	s_delay_alu instid0(VALU_DEP_4) | instskip(SKIP_2) | instid1(VALU_DEP_2)
	v_xor_b32_e32 v150, s18, v150
	v_bitop3_b32 v61, v61, v145, exec_lo bitop3:0x80
	v_dual_ashrrev_i32 v145, 31, v153 :: v_dual_ashrrev_i32 v153, 31, v154
	v_bitop3_b32 v61, v61, v149, v146 bitop3:0x80
	v_mad_u32_u24 v146, v147, 36, v23
	s_delay_alu instid0(VALU_DEP_3) | instskip(NEXT) | instid1(VALU_DEP_4)
	v_xor_b32_e32 v149, s20, v145
	v_xor_b32_e32 v153, s21, v153
	v_mul_u32_u24_e32 v147, 36, v147
	v_bitop3_b32 v61, v61, v151, v150 bitop3:0x80
	ds_load_b32 v145, v146 offset:1056
	; wave barrier
	v_add_nc_u32_e32 v147, v23, v147
	v_bitop3_b32 v61, v61, v153, v149 bitop3:0x80
	s_delay_alu instid0(VALU_DEP_1) | instskip(SKIP_1) | instid1(VALU_DEP_2)
	v_mbcnt_lo_u32_b32 v146, v61, 0
	v_cmp_ne_u32_e64 s15, 0, v61
	v_cmp_eq_u32_e32 vcc_lo, 0, v146
	s_and_b32 s16, s15, vcc_lo
	s_delay_alu instid0(SALU_CYCLE_1)
	s_and_saveexec_b32 s15, s16
	s_cbranch_execz .LBB1862_727
; %bb.726:                              ;   in Loop: Header=BB1862_687 Depth=2
	s_wait_dscnt 0x0
	v_bcnt_u32_b32 v61, v61, v145
	ds_store_b32 v147, v61 offset:1056
.LBB1862_727:                           ;   in Loop: Header=BB1862_687 Depth=2
	s_or_b32 exec_lo, exec_lo, s15
	v_cmp_lt_i16_e64 vcc_lo, -1, v144
	; wave barrier
	s_delay_alu instid0(VALU_DEP_1) | instskip(NEXT) | instid1(VALU_DEP_1)
	v_cndmask_b32_e64 v61, -1, 0xffff8000, vcc_lo
	v_xor_b32_e32 v144, v61, v144
	s_delay_alu instid0(VALU_DEP_1) | instskip(SKIP_1) | instid1(VALU_DEP_1)
	v_cmp_ne_u16_e64 vcc_lo, 0x7fff, v144
	v_cndmask_b32_e32 v61, 0xffff8000, v144, vcc_lo
	v_and_b32_e32 v61, 0xffff, v61
	s_delay_alu instid0(VALU_DEP_1) | instskip(NEXT) | instid1(VALU_DEP_1)
	v_lshrrev_b32_e32 v61, s49, v61
	v_bitop3_b32 v149, v61, 1, s52 bitop3:0x80
	v_and_b32_e32 v151, s52, v61
	s_delay_alu instid0(VALU_DEP_2) | instskip(NEXT) | instid1(VALU_DEP_1)
	v_add_co_u32 v61, s15, v149, -1
	v_cndmask_b32_e64 v149, 0, 1, s15
	s_delay_alu instid0(VALU_DEP_3) | instskip(NEXT) | instid1(VALU_DEP_2)
	v_dual_lshlrev_b32 v150, 30, v151 :: v_dual_lshlrev_b32 v153, 29, v151
	v_cmp_ne_u32_e32 vcc_lo, 0, v149
	s_delay_alu instid0(VALU_DEP_2) | instskip(SKIP_1) | instid1(VALU_DEP_4)
	v_cmp_gt_i32_e64 s15, 0, v150
	v_not_b32_e32 v149, v150
	v_not_b32_e32 v150, v153
	s_delay_alu instid0(VALU_DEP_1) | instskip(SKIP_3) | instid1(VALU_DEP_4)
	v_dual_ashrrev_i32 v150, 31, v150 :: v_dual_lshlrev_b32 v154, 28, v151
	v_dual_lshlrev_b32 v155, 27, v151 :: v_dual_lshlrev_b32 v157, 26, v151
	v_dual_lshlrev_b32 v158, 25, v151 :: v_dual_lshlrev_b32 v159, 24, v151
	v_cmp_gt_i32_e64 s16, 0, v153
	v_cmp_gt_i32_e64 s17, 0, v154
	v_not_b32_e32 v153, v154
	v_not_b32_e32 v154, v155
	v_ashrrev_i32_e32 v149, 31, v149
	v_cmp_gt_i32_e64 s18, 0, v155
	v_cmp_gt_i32_e64 s19, 0, v157
	v_not_b32_e32 v155, v157
	v_cmp_gt_i32_e64 s20, 0, v158
	v_not_b32_e32 v157, v158
	v_not_b32_e32 v158, v159
	s_delay_alu instid0(VALU_DEP_4) | instskip(SKIP_3) | instid1(VALU_DEP_3)
	v_dual_ashrrev_i32 v155, 31, v155 :: v_dual_bitop2_b32 v61, vcc_lo, v61 bitop3:0x14
	v_dual_ashrrev_i32 v153, 31, v153 :: v_dual_bitop2_b32 v150, s16, v150 bitop3:0x14
	v_dual_ashrrev_i32 v154, 31, v154 :: v_dual_bitop2_b32 v149, s15, v149 bitop3:0x14
	v_cmp_gt_i32_e64 s21, 0, v159
	v_xor_b32_e32 v153, s17, v153
	v_xor_b32_e32 v155, s19, v155
	s_delay_alu instid0(VALU_DEP_4) | instskip(SKIP_2) | instid1(VALU_DEP_2)
	v_xor_b32_e32 v154, s18, v154
	v_bitop3_b32 v61, v61, v149, exec_lo bitop3:0x80
	v_dual_ashrrev_i32 v149, 31, v157 :: v_dual_ashrrev_i32 v157, 31, v158
	v_bitop3_b32 v61, v61, v153, v150 bitop3:0x80
	v_mad_u32_u24 v150, v151, 36, v23
	s_delay_alu instid0(VALU_DEP_3) | instskip(NEXT) | instid1(VALU_DEP_4)
	v_xor_b32_e32 v153, s20, v149
	v_xor_b32_e32 v157, s21, v157
	v_mul_u32_u24_e32 v151, 36, v151
	v_bitop3_b32 v61, v61, v155, v154 bitop3:0x80
	ds_load_b32 v149, v150 offset:1056
	; wave barrier
	v_add_nc_u32_e32 v151, v23, v151
	v_bitop3_b32 v61, v61, v157, v153 bitop3:0x80
	s_delay_alu instid0(VALU_DEP_1) | instskip(SKIP_1) | instid1(VALU_DEP_2)
	v_mbcnt_lo_u32_b32 v150, v61, 0
	v_cmp_ne_u32_e64 s15, 0, v61
	v_cmp_eq_u32_e32 vcc_lo, 0, v150
	s_and_b32 s16, s15, vcc_lo
	s_delay_alu instid0(SALU_CYCLE_1)
	s_and_saveexec_b32 s15, s16
	s_cbranch_execz .LBB1862_729
; %bb.728:                              ;   in Loop: Header=BB1862_687 Depth=2
	s_wait_dscnt 0x0
	v_bcnt_u32_b32 v61, v61, v149
	ds_store_b32 v151, v61 offset:1056
.LBB1862_729:                           ;   in Loop: Header=BB1862_687 Depth=2
	s_or_b32 exec_lo, exec_lo, s15
	v_cmp_lt_i16_e64 vcc_lo, -1, v148
	; wave barrier
	s_delay_alu instid0(VALU_DEP_1) | instskip(NEXT) | instid1(VALU_DEP_1)
	v_cndmask_b32_e64 v61, -1, 0xffff8000, vcc_lo
	v_xor_b32_e32 v148, v61, v148
	s_delay_alu instid0(VALU_DEP_1) | instskip(SKIP_1) | instid1(VALU_DEP_1)
	v_cmp_ne_u16_e64 vcc_lo, 0x7fff, v148
	v_cndmask_b32_e32 v61, 0xffff8000, v148, vcc_lo
	v_and_b32_e32 v61, 0xffff, v61
	s_delay_alu instid0(VALU_DEP_1) | instskip(NEXT) | instid1(VALU_DEP_1)
	v_lshrrev_b32_e32 v61, s49, v61
	v_bitop3_b32 v153, v61, 1, s52 bitop3:0x80
	v_and_b32_e32 v155, s52, v61
	s_delay_alu instid0(VALU_DEP_2) | instskip(NEXT) | instid1(VALU_DEP_1)
	v_add_co_u32 v61, s15, v153, -1
	v_cndmask_b32_e64 v153, 0, 1, s15
	s_delay_alu instid0(VALU_DEP_3) | instskip(NEXT) | instid1(VALU_DEP_2)
	v_dual_lshlrev_b32 v154, 30, v155 :: v_dual_lshlrev_b32 v157, 29, v155
	v_cmp_ne_u32_e32 vcc_lo, 0, v153
	s_delay_alu instid0(VALU_DEP_2) | instskip(SKIP_1) | instid1(VALU_DEP_4)
	v_cmp_gt_i32_e64 s15, 0, v154
	v_not_b32_e32 v153, v154
	v_not_b32_e32 v154, v157
	s_delay_alu instid0(VALU_DEP_1) | instskip(SKIP_3) | instid1(VALU_DEP_4)
	v_dual_ashrrev_i32 v154, 31, v154 :: v_dual_lshlrev_b32 v158, 28, v155
	v_dual_lshlrev_b32 v159, 27, v155 :: v_dual_lshlrev_b32 v161, 26, v155
	v_dual_lshlrev_b32 v162, 25, v155 :: v_dual_lshlrev_b32 v163, 24, v155
	v_cmp_gt_i32_e64 s16, 0, v157
	v_cmp_gt_i32_e64 s17, 0, v158
	v_not_b32_e32 v157, v158
	v_not_b32_e32 v158, v159
	v_ashrrev_i32_e32 v153, 31, v153
	v_cmp_gt_i32_e64 s18, 0, v159
	v_cmp_gt_i32_e64 s19, 0, v161
	v_not_b32_e32 v159, v161
	v_cmp_gt_i32_e64 s20, 0, v162
	v_not_b32_e32 v161, v162
	v_not_b32_e32 v162, v163
	s_delay_alu instid0(VALU_DEP_4) | instskip(SKIP_3) | instid1(VALU_DEP_3)
	v_dual_ashrrev_i32 v159, 31, v159 :: v_dual_bitop2_b32 v61, vcc_lo, v61 bitop3:0x14
	v_dual_ashrrev_i32 v157, 31, v157 :: v_dual_bitop2_b32 v154, s16, v154 bitop3:0x14
	v_dual_ashrrev_i32 v158, 31, v158 :: v_dual_bitop2_b32 v153, s15, v153 bitop3:0x14
	v_cmp_gt_i32_e64 s21, 0, v163
	v_xor_b32_e32 v157, s17, v157
	v_xor_b32_e32 v159, s19, v159
	s_delay_alu instid0(VALU_DEP_4) | instskip(SKIP_2) | instid1(VALU_DEP_2)
	v_xor_b32_e32 v158, s18, v158
	v_bitop3_b32 v61, v61, v153, exec_lo bitop3:0x80
	v_dual_ashrrev_i32 v153, 31, v161 :: v_dual_ashrrev_i32 v161, 31, v162
	v_bitop3_b32 v61, v61, v157, v154 bitop3:0x80
	v_mad_u32_u24 v154, v155, 36, v23
	s_delay_alu instid0(VALU_DEP_3) | instskip(NEXT) | instid1(VALU_DEP_4)
	v_xor_b32_e32 v157, s20, v153
	v_xor_b32_e32 v161, s21, v161
	v_mul_u32_u24_e32 v155, 36, v155
	v_bitop3_b32 v61, v61, v159, v158 bitop3:0x80
	ds_load_b32 v153, v154 offset:1056
	; wave barrier
	v_add_nc_u32_e32 v155, v23, v155
	v_bitop3_b32 v61, v61, v161, v157 bitop3:0x80
	s_delay_alu instid0(VALU_DEP_1) | instskip(SKIP_1) | instid1(VALU_DEP_2)
	v_mbcnt_lo_u32_b32 v154, v61, 0
	v_cmp_ne_u32_e64 s15, 0, v61
	v_cmp_eq_u32_e32 vcc_lo, 0, v154
	s_and_b32 s16, s15, vcc_lo
	s_delay_alu instid0(SALU_CYCLE_1)
	s_and_saveexec_b32 s15, s16
	s_cbranch_execz .LBB1862_731
; %bb.730:                              ;   in Loop: Header=BB1862_687 Depth=2
	s_wait_dscnt 0x0
	v_bcnt_u32_b32 v61, v61, v153
	ds_store_b32 v155, v61 offset:1056
.LBB1862_731:                           ;   in Loop: Header=BB1862_687 Depth=2
	s_or_b32 exec_lo, exec_lo, s15
	v_cmp_lt_i16_e64 vcc_lo, -1, v152
	; wave barrier
	s_delay_alu instid0(VALU_DEP_1) | instskip(NEXT) | instid1(VALU_DEP_1)
	v_cndmask_b32_e64 v61, -1, 0xffff8000, vcc_lo
	v_xor_b32_e32 v152, v61, v152
	s_delay_alu instid0(VALU_DEP_1) | instskip(SKIP_1) | instid1(VALU_DEP_1)
	v_cmp_ne_u16_e64 vcc_lo, 0x7fff, v152
	v_cndmask_b32_e32 v61, 0xffff8000, v152, vcc_lo
	v_and_b32_e32 v61, 0xffff, v61
	s_delay_alu instid0(VALU_DEP_1) | instskip(NEXT) | instid1(VALU_DEP_1)
	v_lshrrev_b32_e32 v61, s49, v61
	v_bitop3_b32 v157, v61, 1, s52 bitop3:0x80
	v_and_b32_e32 v159, s52, v61
	s_delay_alu instid0(VALU_DEP_2) | instskip(NEXT) | instid1(VALU_DEP_1)
	v_add_co_u32 v61, s15, v157, -1
	v_cndmask_b32_e64 v157, 0, 1, s15
	s_delay_alu instid0(VALU_DEP_3) | instskip(NEXT) | instid1(VALU_DEP_2)
	v_dual_lshlrev_b32 v158, 30, v159 :: v_dual_lshlrev_b32 v161, 29, v159
	v_cmp_ne_u32_e32 vcc_lo, 0, v157
	s_delay_alu instid0(VALU_DEP_2) | instskip(SKIP_1) | instid1(VALU_DEP_4)
	v_cmp_gt_i32_e64 s15, 0, v158
	v_not_b32_e32 v157, v158
	v_not_b32_e32 v158, v161
	s_delay_alu instid0(VALU_DEP_1) | instskip(SKIP_3) | instid1(VALU_DEP_4)
	v_dual_ashrrev_i32 v158, 31, v158 :: v_dual_lshlrev_b32 v162, 28, v159
	v_dual_lshlrev_b32 v163, 27, v159 :: v_dual_lshlrev_b32 v165, 26, v159
	v_dual_lshlrev_b32 v166, 25, v159 :: v_dual_lshlrev_b32 v167, 24, v159
	v_cmp_gt_i32_e64 s16, 0, v161
	v_cmp_gt_i32_e64 s17, 0, v162
	v_not_b32_e32 v161, v162
	v_not_b32_e32 v162, v163
	v_ashrrev_i32_e32 v157, 31, v157
	v_cmp_gt_i32_e64 s18, 0, v163
	v_cmp_gt_i32_e64 s19, 0, v165
	v_not_b32_e32 v163, v165
	v_cmp_gt_i32_e64 s20, 0, v166
	v_not_b32_e32 v165, v166
	v_not_b32_e32 v166, v167
	s_delay_alu instid0(VALU_DEP_4) | instskip(SKIP_3) | instid1(VALU_DEP_3)
	v_dual_ashrrev_i32 v163, 31, v163 :: v_dual_bitop2_b32 v61, vcc_lo, v61 bitop3:0x14
	v_dual_ashrrev_i32 v161, 31, v161 :: v_dual_bitop2_b32 v158, s16, v158 bitop3:0x14
	v_dual_ashrrev_i32 v162, 31, v162 :: v_dual_bitop2_b32 v157, s15, v157 bitop3:0x14
	v_cmp_gt_i32_e64 s21, 0, v167
	v_xor_b32_e32 v161, s17, v161
	v_xor_b32_e32 v163, s19, v163
	s_delay_alu instid0(VALU_DEP_4) | instskip(SKIP_2) | instid1(VALU_DEP_2)
	v_xor_b32_e32 v162, s18, v162
	v_bitop3_b32 v61, v61, v157, exec_lo bitop3:0x80
	v_dual_ashrrev_i32 v157, 31, v165 :: v_dual_ashrrev_i32 v165, 31, v166
	v_bitop3_b32 v61, v61, v161, v158 bitop3:0x80
	v_mad_u32_u24 v158, v159, 36, v23
	s_delay_alu instid0(VALU_DEP_3) | instskip(NEXT) | instid1(VALU_DEP_4)
	v_xor_b32_e32 v161, s20, v157
	v_xor_b32_e32 v165, s21, v165
	v_mul_u32_u24_e32 v159, 36, v159
	v_bitop3_b32 v61, v61, v163, v162 bitop3:0x80
	ds_load_b32 v157, v158 offset:1056
	; wave barrier
	v_add_nc_u32_e32 v159, v23, v159
	v_bitop3_b32 v61, v61, v165, v161 bitop3:0x80
	s_delay_alu instid0(VALU_DEP_1) | instskip(SKIP_1) | instid1(VALU_DEP_2)
	v_mbcnt_lo_u32_b32 v158, v61, 0
	v_cmp_ne_u32_e64 s15, 0, v61
	v_cmp_eq_u32_e32 vcc_lo, 0, v158
	s_and_b32 s16, s15, vcc_lo
	s_delay_alu instid0(SALU_CYCLE_1)
	s_and_saveexec_b32 s15, s16
	s_cbranch_execz .LBB1862_733
; %bb.732:                              ;   in Loop: Header=BB1862_687 Depth=2
	s_wait_dscnt 0x0
	v_bcnt_u32_b32 v61, v61, v157
	ds_store_b32 v159, v61 offset:1056
.LBB1862_733:                           ;   in Loop: Header=BB1862_687 Depth=2
	s_or_b32 exec_lo, exec_lo, s15
	v_cmp_lt_i16_e64 vcc_lo, -1, v156
	; wave barrier
	s_delay_alu instid0(VALU_DEP_1) | instskip(NEXT) | instid1(VALU_DEP_1)
	v_cndmask_b32_e64 v61, -1, 0xffff8000, vcc_lo
	v_xor_b32_e32 v156, v61, v156
	s_delay_alu instid0(VALU_DEP_1) | instskip(SKIP_1) | instid1(VALU_DEP_1)
	v_cmp_ne_u16_e64 vcc_lo, 0x7fff, v156
	v_cndmask_b32_e32 v61, 0xffff8000, v156, vcc_lo
	v_and_b32_e32 v61, 0xffff, v61
	s_delay_alu instid0(VALU_DEP_1) | instskip(NEXT) | instid1(VALU_DEP_1)
	v_lshrrev_b32_e32 v61, s49, v61
	v_bitop3_b32 v161, v61, 1, s52 bitop3:0x80
	v_and_b32_e32 v163, s52, v61
	s_delay_alu instid0(VALU_DEP_2) | instskip(NEXT) | instid1(VALU_DEP_1)
	v_add_co_u32 v61, s15, v161, -1
	v_cndmask_b32_e64 v161, 0, 1, s15
	s_delay_alu instid0(VALU_DEP_3) | instskip(NEXT) | instid1(VALU_DEP_2)
	v_dual_lshlrev_b32 v162, 30, v163 :: v_dual_lshlrev_b32 v165, 29, v163
	v_cmp_ne_u32_e32 vcc_lo, 0, v161
	s_delay_alu instid0(VALU_DEP_2) | instskip(SKIP_1) | instid1(VALU_DEP_4)
	v_cmp_gt_i32_e64 s15, 0, v162
	v_not_b32_e32 v161, v162
	v_not_b32_e32 v162, v165
	s_delay_alu instid0(VALU_DEP_1) | instskip(SKIP_3) | instid1(VALU_DEP_4)
	v_dual_ashrrev_i32 v162, 31, v162 :: v_dual_lshlrev_b32 v166, 28, v163
	v_dual_lshlrev_b32 v167, 27, v163 :: v_dual_lshlrev_b32 v169, 26, v163
	v_dual_lshlrev_b32 v170, 25, v163 :: v_dual_lshlrev_b32 v171, 24, v163
	v_cmp_gt_i32_e64 s16, 0, v165
	v_cmp_gt_i32_e64 s17, 0, v166
	v_not_b32_e32 v165, v166
	v_not_b32_e32 v166, v167
	v_ashrrev_i32_e32 v161, 31, v161
	v_cmp_gt_i32_e64 s18, 0, v167
	v_cmp_gt_i32_e64 s19, 0, v169
	v_not_b32_e32 v167, v169
	v_cmp_gt_i32_e64 s20, 0, v170
	v_not_b32_e32 v169, v170
	v_not_b32_e32 v170, v171
	s_delay_alu instid0(VALU_DEP_4) | instskip(SKIP_3) | instid1(VALU_DEP_3)
	v_dual_ashrrev_i32 v167, 31, v167 :: v_dual_bitop2_b32 v61, vcc_lo, v61 bitop3:0x14
	v_dual_ashrrev_i32 v165, 31, v165 :: v_dual_bitop2_b32 v162, s16, v162 bitop3:0x14
	v_dual_ashrrev_i32 v166, 31, v166 :: v_dual_bitop2_b32 v161, s15, v161 bitop3:0x14
	v_cmp_gt_i32_e64 s21, 0, v171
	v_xor_b32_e32 v165, s17, v165
	v_xor_b32_e32 v167, s19, v167
	s_delay_alu instid0(VALU_DEP_4) | instskip(SKIP_2) | instid1(VALU_DEP_2)
	v_xor_b32_e32 v166, s18, v166
	v_bitop3_b32 v61, v61, v161, exec_lo bitop3:0x80
	v_dual_ashrrev_i32 v161, 31, v169 :: v_dual_ashrrev_i32 v169, 31, v170
	v_bitop3_b32 v61, v61, v165, v162 bitop3:0x80
	v_mad_u32_u24 v162, v163, 36, v23
	s_delay_alu instid0(VALU_DEP_3) | instskip(NEXT) | instid1(VALU_DEP_4)
	v_xor_b32_e32 v165, s20, v161
	v_xor_b32_e32 v169, s21, v169
	v_mul_u32_u24_e32 v163, 36, v163
	v_bitop3_b32 v61, v61, v167, v166 bitop3:0x80
	ds_load_b32 v161, v162 offset:1056
	; wave barrier
	v_add_nc_u32_e32 v163, v23, v163
	v_bitop3_b32 v61, v61, v169, v165 bitop3:0x80
	s_delay_alu instid0(VALU_DEP_1) | instskip(SKIP_1) | instid1(VALU_DEP_2)
	v_mbcnt_lo_u32_b32 v162, v61, 0
	v_cmp_ne_u32_e64 s15, 0, v61
	v_cmp_eq_u32_e32 vcc_lo, 0, v162
	s_and_b32 s16, s15, vcc_lo
	s_delay_alu instid0(SALU_CYCLE_1)
	s_and_saveexec_b32 s15, s16
	s_cbranch_execz .LBB1862_735
; %bb.734:                              ;   in Loop: Header=BB1862_687 Depth=2
	s_wait_dscnt 0x0
	v_bcnt_u32_b32 v61, v61, v161
	ds_store_b32 v163, v61 offset:1056
.LBB1862_735:                           ;   in Loop: Header=BB1862_687 Depth=2
	s_or_b32 exec_lo, exec_lo, s15
	v_cmp_lt_i16_e64 vcc_lo, -1, v160
	; wave barrier
	s_delay_alu instid0(VALU_DEP_1) | instskip(NEXT) | instid1(VALU_DEP_1)
	v_cndmask_b32_e64 v61, -1, 0xffff8000, vcc_lo
	v_xor_b32_e32 v160, v61, v160
	s_delay_alu instid0(VALU_DEP_1) | instskip(SKIP_1) | instid1(VALU_DEP_1)
	v_cmp_ne_u16_e64 vcc_lo, 0x7fff, v160
	v_cndmask_b32_e32 v61, 0xffff8000, v160, vcc_lo
	v_and_b32_e32 v61, 0xffff, v61
	s_delay_alu instid0(VALU_DEP_1) | instskip(NEXT) | instid1(VALU_DEP_1)
	v_lshrrev_b32_e32 v61, s49, v61
	v_bitop3_b32 v165, v61, 1, s52 bitop3:0x80
	v_and_b32_e32 v167, s52, v61
	s_delay_alu instid0(VALU_DEP_2) | instskip(NEXT) | instid1(VALU_DEP_1)
	v_add_co_u32 v61, s15, v165, -1
	v_cndmask_b32_e64 v165, 0, 1, s15
	s_delay_alu instid0(VALU_DEP_3) | instskip(NEXT) | instid1(VALU_DEP_2)
	v_dual_lshlrev_b32 v166, 30, v167 :: v_dual_lshlrev_b32 v169, 29, v167
	v_cmp_ne_u32_e32 vcc_lo, 0, v165
	s_delay_alu instid0(VALU_DEP_2) | instskip(SKIP_1) | instid1(VALU_DEP_4)
	v_cmp_gt_i32_e64 s15, 0, v166
	v_not_b32_e32 v165, v166
	v_not_b32_e32 v166, v169
	s_delay_alu instid0(VALU_DEP_1) | instskip(SKIP_3) | instid1(VALU_DEP_4)
	v_dual_ashrrev_i32 v166, 31, v166 :: v_dual_lshlrev_b32 v170, 28, v167
	v_dual_lshlrev_b32 v171, 27, v167 :: v_dual_lshlrev_b32 v172, 26, v167
	v_cmp_gt_i32_e64 s16, 0, v169
	v_dual_lshlrev_b32 v173, 25, v167 :: v_dual_lshlrev_b32 v174, 24, v167
	v_cmp_gt_i32_e64 s17, 0, v170
	v_not_b32_e32 v169, v170
	v_not_b32_e32 v170, v171
	v_ashrrev_i32_e32 v165, 31, v165
	v_cmp_gt_i32_e64 s18, 0, v171
	v_not_b32_e32 v171, v172
	v_xor_b32_e32 v61, vcc_lo, v61
	v_dual_ashrrev_i32 v169, 31, v169 :: v_dual_bitop2_b32 v166, s16, v166 bitop3:0x14
	v_dual_ashrrev_i32 v170, 31, v170 :: v_dual_bitop2_b32 v165, s15, v165 bitop3:0x14
	v_cmp_gt_i32_e64 s19, 0, v172
	v_cmp_gt_i32_e64 s20, 0, v173
	v_not_b32_e32 v172, v173
	v_not_b32_e32 v173, v174
	v_dual_ashrrev_i32 v171, 31, v171 :: v_dual_bitop2_b32 v169, s17, v169 bitop3:0x14
	v_bitop3_b32 v61, v61, v165, exec_lo bitop3:0x80
	v_cmp_gt_i32_e64 s21, 0, v174
	s_delay_alu instid0(VALU_DEP_4)
	v_dual_ashrrev_i32 v165, 31, v172 :: v_dual_ashrrev_i32 v172, 31, v173
	v_xor_b32_e32 v170, s18, v170
	v_xor_b32_e32 v171, s19, v171
	v_bitop3_b32 v61, v61, v169, v166 bitop3:0x80
	v_mad_u32_u24 v166, v167, 36, v23
	v_xor_b32_e32 v169, s20, v165
	v_xor_b32_e32 v172, s21, v172
	v_mul_u32_u24_e32 v167, 36, v167
	v_bitop3_b32 v61, v61, v171, v170 bitop3:0x80
	ds_load_b32 v165, v166 offset:1056
	; wave barrier
	v_add_nc_u32_e32 v167, v23, v167
	v_bitop3_b32 v61, v61, v172, v169 bitop3:0x80
	s_delay_alu instid0(VALU_DEP_1) | instskip(SKIP_1) | instid1(VALU_DEP_2)
	v_mbcnt_lo_u32_b32 v166, v61, 0
	v_cmp_ne_u32_e64 s15, 0, v61
	v_cmp_eq_u32_e32 vcc_lo, 0, v166
	s_and_b32 s16, s15, vcc_lo
	s_delay_alu instid0(SALU_CYCLE_1)
	s_and_saveexec_b32 s15, s16
	s_cbranch_execz .LBB1862_737
; %bb.736:                              ;   in Loop: Header=BB1862_687 Depth=2
	s_wait_dscnt 0x0
	v_bcnt_u32_b32 v61, v61, v165
	ds_store_b32 v167, v61 offset:1056
.LBB1862_737:                           ;   in Loop: Header=BB1862_687 Depth=2
	s_or_b32 exec_lo, exec_lo, s15
	v_cmp_lt_i16_e64 vcc_lo, -1, v164
	; wave barrier
	s_delay_alu instid0(VALU_DEP_1) | instskip(NEXT) | instid1(VALU_DEP_1)
	v_cndmask_b32_e64 v61, -1, 0xffff8000, vcc_lo
	v_xor_b32_e32 v164, v61, v164
	s_delay_alu instid0(VALU_DEP_1) | instskip(SKIP_1) | instid1(VALU_DEP_1)
	v_cmp_ne_u16_e64 vcc_lo, 0x7fff, v164
	v_cndmask_b32_e32 v61, 0xffff8000, v164, vcc_lo
	v_and_b32_e32 v61, 0xffff, v61
	s_delay_alu instid0(VALU_DEP_1) | instskip(NEXT) | instid1(VALU_DEP_1)
	v_lshrrev_b32_e32 v61, s49, v61
	v_bitop3_b32 v169, v61, 1, s52 bitop3:0x80
	v_and_b32_e32 v171, s52, v61
	s_delay_alu instid0(VALU_DEP_2) | instskip(NEXT) | instid1(VALU_DEP_1)
	v_add_co_u32 v61, s15, v169, -1
	v_cndmask_b32_e64 v169, 0, 1, s15
	s_delay_alu instid0(VALU_DEP_3) | instskip(NEXT) | instid1(VALU_DEP_2)
	v_dual_lshlrev_b32 v170, 30, v171 :: v_dual_lshlrev_b32 v172, 29, v171
	v_cmp_ne_u32_e32 vcc_lo, 0, v169
	s_delay_alu instid0(VALU_DEP_2) | instskip(SKIP_1) | instid1(VALU_DEP_4)
	v_cmp_gt_i32_e64 s15, 0, v170
	v_not_b32_e32 v169, v170
	v_not_b32_e32 v170, v172
	s_delay_alu instid0(VALU_DEP_1) | instskip(SKIP_3) | instid1(VALU_DEP_4)
	v_dual_ashrrev_i32 v170, 31, v170 :: v_dual_lshlrev_b32 v173, 28, v171
	v_dual_lshlrev_b32 v174, 27, v171 :: v_dual_lshlrev_b32 v175, 26, v171
	v_dual_lshlrev_b32 v176, 25, v171 :: v_dual_lshlrev_b32 v177, 24, v171
	v_cmp_gt_i32_e64 s16, 0, v172
	v_not_b32_e32 v172, v173
	v_ashrrev_i32_e32 v169, 31, v169
	v_cmp_gt_i32_e64 s17, 0, v173
	v_cmp_gt_i32_e64 s18, 0, v174
	v_not_b32_e32 v173, v174
	v_cmp_gt_i32_e64 s19, 0, v175
	v_not_b32_e32 v174, v175
	;; [unrolled: 2-line block ×3, first 2 shown]
	v_not_b32_e32 v176, v177
	s_delay_alu instid0(VALU_DEP_4) | instskip(SKIP_3) | instid1(VALU_DEP_3)
	v_dual_ashrrev_i32 v174, 31, v174 :: v_dual_bitop2_b32 v61, vcc_lo, v61 bitop3:0x14
	v_dual_ashrrev_i32 v172, 31, v172 :: v_dual_bitop2_b32 v169, s15, v169 bitop3:0x14
	v_dual_ashrrev_i32 v173, 31, v173 :: v_dual_bitop2_b32 v170, s16, v170 bitop3:0x14
	v_cmp_gt_i32_e64 s21, 0, v177
	v_xor_b32_e32 v172, s17, v172
	s_delay_alu instid0(VALU_DEP_4) | instskip(SKIP_2) | instid1(VALU_DEP_3)
	v_bitop3_b32 v61, v61, v169, exec_lo bitop3:0x80
	v_dual_ashrrev_i32 v169, 31, v175 :: v_dual_ashrrev_i32 v175, 31, v176
	v_xor_b32_e32 v174, s19, v174
	v_bitop3_b32 v61, v61, v172, v170 bitop3:0x80
	v_mad_u32_u24 v170, v171, 36, v23
	v_mul_u32_u24_e32 v171, 36, v171
	v_xor_b32_e32 v173, s18, v173
	v_xor_b32_e32 v172, s20, v169
	;; [unrolled: 1-line block ×3, first 2 shown]
	ds_load_b32 v169, v170 offset:1056
	v_add_nc_u32_e32 v171, v23, v171
	v_bitop3_b32 v61, v61, v174, v173 bitop3:0x80
	; wave barrier
	s_delay_alu instid0(VALU_DEP_1) | instskip(NEXT) | instid1(VALU_DEP_1)
	v_bitop3_b32 v61, v61, v175, v172 bitop3:0x80
	v_mbcnt_lo_u32_b32 v170, v61, 0
	v_cmp_ne_u32_e64 s15, 0, v61
	s_delay_alu instid0(VALU_DEP_2) | instskip(SKIP_1) | instid1(SALU_CYCLE_1)
	v_cmp_eq_u32_e32 vcc_lo, 0, v170
	s_and_b32 s16, s15, vcc_lo
	s_and_saveexec_b32 s15, s16
	s_cbranch_execz .LBB1862_739
; %bb.738:                              ;   in Loop: Header=BB1862_687 Depth=2
	s_wait_dscnt 0x0
	v_bcnt_u32_b32 v61, v61, v169
	ds_store_b32 v171, v61 offset:1056
.LBB1862_739:                           ;   in Loop: Header=BB1862_687 Depth=2
	s_or_b32 exec_lo, exec_lo, s15
	v_cmp_lt_i16_e64 vcc_lo, -1, v168
	; wave barrier
	s_delay_alu instid0(VALU_DEP_1) | instskip(NEXT) | instid1(VALU_DEP_1)
	v_cndmask_b32_e64 v61, -1, 0xffff8000, vcc_lo
	v_xor_b32_e32 v168, v61, v168
	s_delay_alu instid0(VALU_DEP_1) | instskip(SKIP_1) | instid1(VALU_DEP_1)
	v_cmp_ne_u16_e64 vcc_lo, 0x7fff, v168
	v_cndmask_b32_e32 v61, 0xffff8000, v168, vcc_lo
	v_and_b32_e32 v61, 0xffff, v61
	s_delay_alu instid0(VALU_DEP_1) | instskip(NEXT) | instid1(VALU_DEP_1)
	v_lshrrev_b32_e32 v61, s49, v61
	v_bitop3_b32 v172, v61, 1, s52 bitop3:0x80
	v_and_b32_e32 v175, s52, v61
	s_delay_alu instid0(VALU_DEP_2) | instskip(NEXT) | instid1(VALU_DEP_1)
	v_add_co_u32 v61, s15, v172, -1
	v_cndmask_b32_e64 v172, 0, 1, s15
	s_delay_alu instid0(VALU_DEP_3) | instskip(NEXT) | instid1(VALU_DEP_2)
	v_lshlrev_b32_e32 v173, 30, v175
	v_cmp_ne_u32_e32 vcc_lo, 0, v172
	s_delay_alu instid0(VALU_DEP_2) | instskip(NEXT) | instid1(VALU_DEP_1)
	v_not_b32_e32 v172, v173
	v_dual_ashrrev_i32 v172, 31, v172 :: v_dual_lshlrev_b32 v174, 29, v175
	v_dual_lshlrev_b32 v176, 28, v175 :: v_dual_lshlrev_b32 v177, 27, v175
	v_lshlrev_b32_e32 v178, 26, v175
	v_cmp_gt_i32_e64 s15, 0, v173
	s_delay_alu instid0(VALU_DEP_4)
	v_cmp_gt_i32_e64 s16, 0, v174
	v_not_b32_e32 v173, v174
	v_not_b32_e32 v174, v176
	v_dual_lshlrev_b32 v179, 25, v175 :: v_dual_lshlrev_b32 v180, 24, v175
	v_cmp_gt_i32_e64 s17, 0, v176
	v_cmp_gt_i32_e64 s18, 0, v177
	v_not_b32_e32 v176, v177
	v_not_b32_e32 v177, v178
	v_dual_ashrrev_i32 v174, 31, v174 :: v_dual_bitop2_b32 v61, vcc_lo, v61 bitop3:0x14
	v_dual_ashrrev_i32 v173, 31, v173 :: v_dual_bitop2_b32 v172, s15, v172 bitop3:0x14
	v_cmp_gt_i32_e64 s19, 0, v178
	v_cmp_gt_i32_e64 s20, 0, v179
	v_not_b32_e32 v178, v179
	v_not_b32_e32 v179, v180
	v_dual_ashrrev_i32 v176, 31, v176 :: v_dual_ashrrev_i32 v177, 31, v177
	v_xor_b32_e32 v173, s16, v173
	v_xor_b32_e32 v174, s17, v174
	v_bitop3_b32 v61, v61, v172, exec_lo bitop3:0x80
	v_cmp_gt_i32_e64 s21, 0, v180
	v_dual_ashrrev_i32 v172, 31, v178 :: v_dual_ashrrev_i32 v178, 31, v179
	v_xor_b32_e32 v176, s18, v176
	v_xor_b32_e32 v177, s19, v177
	v_bitop3_b32 v61, v61, v174, v173 bitop3:0x80
	v_mad_u32_u24 v173, v175, 36, v23
	v_xor_b32_e32 v172, s20, v172
	v_xor_b32_e32 v174, s21, v178
	s_delay_alu instid0(VALU_DEP_4) | instskip(SKIP_3) | instid1(VALU_DEP_2)
	v_bitop3_b32 v61, v61, v177, v176 bitop3:0x80
	ds_load_b32 v173, v173 offset:1056
	; wave barrier
	v_bitop3_b32 v61, v61, v174, v172 bitop3:0x80
	v_mul_u32_u24_e32 v172, 36, v175
	v_mbcnt_lo_u32_b32 v174, v61, 0
	v_cmp_ne_u32_e64 s15, 0, v61
	s_delay_alu instid0(VALU_DEP_3) | instskip(NEXT) | instid1(VALU_DEP_3)
	v_add_nc_u32_e32 v175, v23, v172
	v_cmp_eq_u32_e32 vcc_lo, 0, v174
	s_and_b32 s16, s15, vcc_lo
	s_delay_alu instid0(SALU_CYCLE_1)
	s_and_saveexec_b32 s15, s16
	s_cbranch_execz .LBB1862_741
; %bb.740:                              ;   in Loop: Header=BB1862_687 Depth=2
	s_wait_dscnt 0x0
	v_bcnt_u32_b32 v61, v61, v173
	ds_store_b32 v175, v61 offset:1056
.LBB1862_741:                           ;   in Loop: Header=BB1862_687 Depth=2
	s_or_b32 exec_lo, exec_lo, s15
	v_cmp_lt_i16_e32 vcc_lo, -1, v67
	; wave barrier
	v_cndmask_b32_e64 v61, -1, 0xffff8000, vcc_lo
	s_delay_alu instid0(VALU_DEP_1) | instskip(NEXT) | instid1(VALU_DEP_1)
	v_xor_b32_e32 v172, v61, v67
	v_cmp_ne_u16_e64 vcc_lo, 0x7fff, v172
	v_cndmask_b32_e32 v61, 0xffff8000, v172, vcc_lo
	s_delay_alu instid0(VALU_DEP_1) | instskip(NEXT) | instid1(VALU_DEP_1)
	v_and_b32_e32 v61, 0xffff, v61
	v_lshrrev_b32_e32 v61, s49, v61
	s_delay_alu instid0(VALU_DEP_1) | instskip(SKIP_1) | instid1(VALU_DEP_2)
	v_bitop3_b32 v67, v61, 1, s52 bitop3:0x80
	v_and_b32_e32 v176, s52, v61
	v_add_co_u32 v61, s15, v67, -1
	s_delay_alu instid0(VALU_DEP_1) | instskip(NEXT) | instid1(VALU_DEP_3)
	v_cndmask_b32_e64 v67, 0, 1, s15
	v_lshlrev_b32_e32 v177, 30, v176
	s_delay_alu instid0(VALU_DEP_2) | instskip(NEXT) | instid1(VALU_DEP_2)
	v_cmp_ne_u32_e32 vcc_lo, 0, v67
	v_not_b32_e32 v67, v177
	s_delay_alu instid0(VALU_DEP_1) | instskip(SKIP_4) | instid1(VALU_DEP_4)
	v_dual_ashrrev_i32 v67, 31, v67 :: v_dual_bitop2_b32 v61, vcc_lo, v61 bitop3:0x14
	v_dual_lshlrev_b32 v178, 29, v176 :: v_dual_lshlrev_b32 v179, 28, v176
	v_dual_lshlrev_b32 v180, 27, v176 :: v_dual_lshlrev_b32 v181, 26, v176
	v_lshlrev_b32_e32 v182, 25, v176
	v_cmp_gt_i32_e64 s15, 0, v177
	v_cmp_gt_i32_e64 s16, 0, v178
	v_not_b32_e32 v177, v178
	v_not_b32_e32 v178, v179
	v_lshlrev_b32_e32 v183, 24, v176
	v_cmp_gt_i32_e64 s17, 0, v179
	v_cmp_gt_i32_e64 s18, 0, v180
	v_not_b32_e32 v179, v180
	v_not_b32_e32 v180, v181
	v_dual_ashrrev_i32 v177, 31, v177 :: v_dual_bitop2_b32 v67, s15, v67 bitop3:0x14
	v_ashrrev_i32_e32 v178, 31, v178
	v_cmp_gt_i32_e64 s19, 0, v181
	v_cmp_gt_i32_e64 s20, 0, v182
	v_not_b32_e32 v181, v182
	v_not_b32_e32 v182, v183
	v_dual_ashrrev_i32 v179, 31, v179 :: v_dual_ashrrev_i32 v180, 31, v180
	v_xor_b32_e32 v177, s16, v177
	v_xor_b32_e32 v178, s17, v178
	v_bitop3_b32 v61, v61, v67, exec_lo bitop3:0x80
	v_cmp_gt_i32_e64 s21, 0, v183
	v_dual_ashrrev_i32 v67, 31, v181 :: v_dual_ashrrev_i32 v181, 31, v182
	v_xor_b32_e32 v179, s18, v179
	v_xor_b32_e32 v180, s19, v180
	v_bitop3_b32 v61, v61, v178, v177 bitop3:0x80
	v_mad_u32_u24 v177, v176, 36, v23
	v_xor_b32_e32 v67, s20, v67
	v_xor_b32_e32 v178, s21, v181
	s_delay_alu instid0(VALU_DEP_4) | instskip(SKIP_3) | instid1(VALU_DEP_2)
	v_bitop3_b32 v61, v61, v180, v179 bitop3:0x80
	ds_load_b32 v177, v177 offset:1056
	; wave barrier
	v_bitop3_b32 v61, v61, v178, v67 bitop3:0x80
	v_mul_u32_u24_e32 v67, 36, v176
	v_mbcnt_lo_u32_b32 v178, v61, 0
	v_cmp_ne_u32_e64 s15, 0, v61
	s_delay_alu instid0(VALU_DEP_3) | instskip(NEXT) | instid1(VALU_DEP_3)
	v_add_nc_u32_e32 v179, v23, v67
	v_cmp_eq_u32_e32 vcc_lo, 0, v178
	s_and_b32 s16, s15, vcc_lo
	s_delay_alu instid0(SALU_CYCLE_1)
	s_and_saveexec_b32 s15, s16
	s_cbranch_execz .LBB1862_743
; %bb.742:                              ;   in Loop: Header=BB1862_687 Depth=2
	s_wait_dscnt 0x0
	v_bcnt_u32_b32 v61, v61, v177
	ds_store_b32 v179, v61 offset:1056
.LBB1862_743:                           ;   in Loop: Header=BB1862_687 Depth=2
	s_or_b32 exec_lo, exec_lo, s15
	v_cmp_lt_i16_e32 vcc_lo, -1, v66
	; wave barrier
	v_cndmask_b32_e64 v61, -1, 0xffff8000, vcc_lo
	s_delay_alu instid0(VALU_DEP_1) | instskip(NEXT) | instid1(VALU_DEP_1)
	v_xor_b32_e32 v176, v61, v66
	v_cmp_ne_u16_e64 vcc_lo, 0x7fff, v176
	v_cndmask_b32_e32 v61, 0xffff8000, v176, vcc_lo
	s_delay_alu instid0(VALU_DEP_1) | instskip(NEXT) | instid1(VALU_DEP_1)
	v_and_b32_e32 v61, 0xffff, v61
	v_lshrrev_b32_e32 v61, s49, v61
	s_delay_alu instid0(VALU_DEP_1) | instskip(SKIP_1) | instid1(VALU_DEP_2)
	v_bitop3_b32 v66, v61, 1, s52 bitop3:0x80
	v_and_b32_e32 v67, s52, v61
	v_add_co_u32 v61, s15, v66, -1
	s_delay_alu instid0(VALU_DEP_1) | instskip(NEXT) | instid1(VALU_DEP_3)
	v_cndmask_b32_e64 v66, 0, 1, s15
	v_lshlrev_b32_e32 v180, 30, v67
	s_delay_alu instid0(VALU_DEP_2) | instskip(NEXT) | instid1(VALU_DEP_2)
	v_cmp_ne_u32_e32 vcc_lo, 0, v66
	v_not_b32_e32 v66, v180
	v_cmp_gt_i32_e64 s15, 0, v180
	s_delay_alu instid0(VALU_DEP_2) | instskip(SKIP_3) | instid1(VALU_DEP_4)
	v_dual_ashrrev_i32 v66, 31, v66 :: v_dual_lshlrev_b32 v181, 29, v67
	v_dual_lshlrev_b32 v182, 28, v67 :: v_dual_lshlrev_b32 v183, 27, v67
	v_dual_lshlrev_b32 v184, 26, v67 :: v_dual_lshlrev_b32 v185, 25, v67
	v_lshlrev_b32_e32 v186, 24, v67
	v_cmp_gt_i32_e64 s16, 0, v181
	v_not_b32_e32 v180, v181
	v_not_b32_e32 v181, v182
	v_cmp_gt_i32_e64 s17, 0, v182
	v_cmp_gt_i32_e64 s18, 0, v183
	v_not_b32_e32 v182, v183
	v_not_b32_e32 v183, v184
	v_dual_ashrrev_i32 v180, 31, v180 :: v_dual_bitop2_b32 v61, vcc_lo, v61 bitop3:0x14
	v_dual_ashrrev_i32 v181, 31, v181 :: v_dual_bitop2_b32 v66, s15, v66 bitop3:0x14
	v_cmp_gt_i32_e64 s19, 0, v184
	v_cmp_gt_i32_e64 s20, 0, v185
	v_not_b32_e32 v184, v185
	v_not_b32_e32 v185, v186
	v_dual_ashrrev_i32 v182, 31, v182 :: v_dual_ashrrev_i32 v183, 31, v183
	v_xor_b32_e32 v180, s16, v180
	v_xor_b32_e32 v181, s17, v181
	v_bitop3_b32 v61, v61, v66, exec_lo bitop3:0x80
	v_cmp_gt_i32_e64 s21, 0, v186
	v_dual_ashrrev_i32 v66, 31, v184 :: v_dual_ashrrev_i32 v184, 31, v185
	v_xor_b32_e32 v182, s18, v182
	v_xor_b32_e32 v183, s19, v183
	v_bitop3_b32 v61, v61, v181, v180 bitop3:0x80
	v_mad_u32_u24 v180, v67, 36, v23
	v_xor_b32_e32 v66, s20, v66
	v_xor_b32_e32 v184, s21, v184
	s_delay_alu instid0(VALU_DEP_4) | instskip(SKIP_3) | instid1(VALU_DEP_2)
	v_bitop3_b32 v61, v61, v183, v182 bitop3:0x80
	ds_load_b32 v181, v180 offset:1056
	; wave barrier
	v_bitop3_b32 v61, v61, v184, v66 bitop3:0x80
	v_mul_u32_u24_e32 v66, 36, v67
	v_mbcnt_lo_u32_b32 v182, v61, 0
	v_cmp_ne_u32_e64 s15, 0, v61
	s_delay_alu instid0(VALU_DEP_3) | instskip(NEXT) | instid1(VALU_DEP_3)
	v_add_nc_u32_e32 v183, v23, v66
	v_cmp_eq_u32_e32 vcc_lo, 0, v182
	s_and_b32 s16, s15, vcc_lo
	s_delay_alu instid0(SALU_CYCLE_1)
	s_and_saveexec_b32 s15, s16
	s_cbranch_execz .LBB1862_745
; %bb.744:                              ;   in Loop: Header=BB1862_687 Depth=2
	s_wait_dscnt 0x0
	v_bcnt_u32_b32 v61, v61, v181
	ds_store_b32 v183, v61 offset:1056
.LBB1862_745:                           ;   in Loop: Header=BB1862_687 Depth=2
	s_or_b32 exec_lo, exec_lo, s15
	v_cmp_lt_i16_e32 vcc_lo, -1, v65
	; wave barrier
	v_cndmask_b32_e64 v61, -1, 0xffff8000, vcc_lo
	s_delay_alu instid0(VALU_DEP_1) | instskip(NEXT) | instid1(VALU_DEP_1)
	v_xor_b32_e32 v180, v61, v65
	v_cmp_ne_u16_e64 vcc_lo, 0x7fff, v180
	v_cndmask_b32_e32 v61, 0xffff8000, v180, vcc_lo
	s_delay_alu instid0(VALU_DEP_1) | instskip(NEXT) | instid1(VALU_DEP_1)
	v_and_b32_e32 v61, 0xffff, v61
	v_lshrrev_b32_e32 v61, s49, v61
	s_delay_alu instid0(VALU_DEP_1) | instskip(NEXT) | instid1(VALU_DEP_1)
	v_and_b32_e32 v66, s52, v61
	v_lshlrev_b32_e32 v185, 28, v66
	v_bitop3_b32 v65, v61, 1, s52 bitop3:0x80
	v_dual_lshlrev_b32 v67, 30, v66 :: v_dual_lshlrev_b32 v184, 29, v66
	s_delay_alu instid0(VALU_DEP_3) | instskip(NEXT) | instid1(VALU_DEP_3)
	v_cmp_gt_i32_e64 s17, 0, v185
	v_add_co_u32 v61, s15, v65, -1
	s_delay_alu instid0(VALU_DEP_1) | instskip(NEXT) | instid1(VALU_DEP_4)
	v_cndmask_b32_e64 v65, 0, 1, s15
	v_cmp_gt_i32_e64 s15, 0, v67
	v_cmp_gt_i32_e64 s16, 0, v184
	s_delay_alu instid0(VALU_DEP_3) | instskip(SKIP_3) | instid1(VALU_DEP_2)
	v_cmp_ne_u32_e32 vcc_lo, 0, v65
	v_not_b32_e32 v65, v67
	v_not_b32_e32 v67, v184
	;; [unrolled: 1-line block ×3, first 2 shown]
	v_dual_ashrrev_i32 v65, 31, v65 :: v_dual_ashrrev_i32 v67, 31, v67
	v_dual_lshlrev_b32 v186, 27, v66 :: v_dual_lshlrev_b32 v187, 26, v66
	v_dual_lshlrev_b32 v188, 25, v66 :: v_dual_lshlrev_b32 v189, 24, v66
	s_delay_alu instid0(VALU_DEP_4) | instskip(NEXT) | instid1(VALU_DEP_3)
	v_ashrrev_i32_e32 v184, 31, v184
	v_cmp_gt_i32_e64 s18, 0, v186
	v_not_b32_e32 v185, v186
	v_cmp_gt_i32_e64 s19, 0, v187
	v_not_b32_e32 v186, v187
	v_cmp_gt_i32_e64 s20, 0, v188
	v_not_b32_e32 v187, v188
	v_not_b32_e32 v188, v189
	s_delay_alu instid0(VALU_DEP_4) | instskip(SKIP_4) | instid1(VALU_DEP_4)
	v_dual_ashrrev_i32 v186, 31, v186 :: v_dual_bitop2_b32 v61, vcc_lo, v61 bitop3:0x14
	v_xor_b32_e32 v65, s15, v65
	v_dual_ashrrev_i32 v185, 31, v185 :: v_dual_bitop2_b32 v67, s16, v67 bitop3:0x14
	v_xor_b32_e32 v184, s17, v184
	v_cmp_gt_i32_e64 s21, 0, v189
	v_bitop3_b32 v61, v61, v65, exec_lo bitop3:0x80
	v_dual_ashrrev_i32 v65, 31, v187 :: v_dual_ashrrev_i32 v187, 31, v188
	v_xor_b32_e32 v185, s18, v185
	v_xor_b32_e32 v186, s19, v186
	s_delay_alu instid0(VALU_DEP_4) | instskip(SKIP_3) | instid1(VALU_DEP_4)
	v_bitop3_b32 v61, v61, v184, v67 bitop3:0x80
	v_mad_u32_u24 v67, v66, 36, v23
	v_xor_b32_e32 v65, s20, v65
	v_xor_b32_e32 v184, s21, v187
	v_bitop3_b32 v61, v61, v186, v185 bitop3:0x80
	ds_load_b32 v185, v67 offset:1056
	; wave barrier
	v_bitop3_b32 v61, v61, v184, v65 bitop3:0x80
	v_mul_u32_u24_e32 v65, 36, v66
	s_delay_alu instid0(VALU_DEP_2) | instskip(SKIP_1) | instid1(VALU_DEP_3)
	v_mbcnt_lo_u32_b32 v186, v61, 0
	v_cmp_ne_u32_e64 s15, 0, v61
	v_add_nc_u32_e32 v187, v23, v65
	s_delay_alu instid0(VALU_DEP_3) | instskip(SKIP_1) | instid1(SALU_CYCLE_1)
	v_cmp_eq_u32_e32 vcc_lo, 0, v186
	s_and_b32 s16, s15, vcc_lo
	s_and_saveexec_b32 s15, s16
	s_cbranch_execz .LBB1862_747
; %bb.746:                              ;   in Loop: Header=BB1862_687 Depth=2
	s_wait_dscnt 0x0
	v_bcnt_u32_b32 v61, v61, v185
	ds_store_b32 v187, v61 offset:1056
.LBB1862_747:                           ;   in Loop: Header=BB1862_687 Depth=2
	s_or_b32 exec_lo, exec_lo, s15
	v_cmp_lt_i16_e32 vcc_lo, -1, v64
	; wave barrier
	v_cndmask_b32_e64 v61, -1, 0xffff8000, vcc_lo
	s_delay_alu instid0(VALU_DEP_1) | instskip(NEXT) | instid1(VALU_DEP_1)
	v_xor_b32_e32 v184, v61, v64
	v_cmp_ne_u16_e64 vcc_lo, 0x7fff, v184
	v_cndmask_b32_e32 v61, 0xffff8000, v184, vcc_lo
	s_delay_alu instid0(VALU_DEP_1) | instskip(NEXT) | instid1(VALU_DEP_1)
	v_and_b32_e32 v61, 0xffff, v61
	v_lshrrev_b32_e32 v61, s49, v61
	s_delay_alu instid0(VALU_DEP_1) | instskip(SKIP_1) | instid1(VALU_DEP_2)
	v_bitop3_b32 v64, v61, 1, s52 bitop3:0x80
	v_and_b32_e32 v65, s52, v61
	v_add_co_u32 v61, s15, v64, -1
	s_delay_alu instid0(VALU_DEP_1) | instskip(NEXT) | instid1(VALU_DEP_3)
	v_cndmask_b32_e64 v64, 0, 1, s15
	v_lshlrev_b32_e32 v66, 30, v65
	s_delay_alu instid0(VALU_DEP_2) | instskip(NEXT) | instid1(VALU_DEP_2)
	v_cmp_ne_u32_e32 vcc_lo, 0, v64
	v_not_b32_e32 v64, v66
	v_cmp_gt_i32_e64 s15, 0, v66
	s_delay_alu instid0(VALU_DEP_2) | instskip(SKIP_3) | instid1(VALU_DEP_4)
	v_dual_ashrrev_i32 v64, 31, v64 :: v_dual_lshlrev_b32 v67, 29, v65
	v_dual_lshlrev_b32 v188, 28, v65 :: v_dual_lshlrev_b32 v189, 27, v65
	v_dual_lshlrev_b32 v190, 26, v65 :: v_dual_lshlrev_b32 v191, 25, v65
	v_lshlrev_b32_e32 v192, 24, v65
	v_cmp_gt_i32_e64 s16, 0, v67
	v_not_b32_e32 v66, v67
	v_not_b32_e32 v67, v188
	v_cmp_gt_i32_e64 s17, 0, v188
	v_cmp_gt_i32_e64 s18, 0, v189
	v_not_b32_e32 v188, v189
	v_not_b32_e32 v189, v190
	v_dual_ashrrev_i32 v66, 31, v66 :: v_dual_bitop2_b32 v61, vcc_lo, v61 bitop3:0x14
	v_dual_ashrrev_i32 v67, 31, v67 :: v_dual_bitop2_b32 v64, s15, v64 bitop3:0x14
	v_cmp_gt_i32_e64 s19, 0, v190
	v_cmp_gt_i32_e64 s20, 0, v191
	v_not_b32_e32 v190, v191
	v_not_b32_e32 v191, v192
	v_dual_ashrrev_i32 v188, 31, v188 :: v_dual_ashrrev_i32 v189, 31, v189
	v_xor_b32_e32 v66, s16, v66
	v_xor_b32_e32 v67, s17, v67
	v_bitop3_b32 v61, v61, v64, exec_lo bitop3:0x80
	v_cmp_gt_i32_e64 s21, 0, v192
	v_dual_ashrrev_i32 v64, 31, v190 :: v_dual_ashrrev_i32 v190, 31, v191
	v_xor_b32_e32 v188, s18, v188
	v_xor_b32_e32 v189, s19, v189
	v_bitop3_b32 v61, v61, v67, v66 bitop3:0x80
	v_mad_u32_u24 v66, v65, 36, v23
	v_xor_b32_e32 v64, s20, v64
	v_xor_b32_e32 v67, s21, v190
	s_delay_alu instid0(VALU_DEP_4) | instskip(SKIP_3) | instid1(VALU_DEP_2)
	v_bitop3_b32 v61, v61, v189, v188 bitop3:0x80
	ds_load_b32 v189, v66 offset:1056
	; wave barrier
	v_bitop3_b32 v61, v61, v67, v64 bitop3:0x80
	v_mul_u32_u24_e32 v64, 36, v65
	v_mbcnt_lo_u32_b32 v190, v61, 0
	v_cmp_ne_u32_e64 s15, 0, v61
	s_delay_alu instid0(VALU_DEP_3) | instskip(NEXT) | instid1(VALU_DEP_3)
	v_add_nc_u32_e32 v191, v23, v64
	v_cmp_eq_u32_e32 vcc_lo, 0, v190
	s_and_b32 s16, s15, vcc_lo
	s_delay_alu instid0(SALU_CYCLE_1)
	s_and_saveexec_b32 s15, s16
	s_cbranch_execz .LBB1862_749
; %bb.748:                              ;   in Loop: Header=BB1862_687 Depth=2
	s_wait_dscnt 0x0
	v_bcnt_u32_b32 v61, v61, v189
	ds_store_b32 v191, v61 offset:1056
.LBB1862_749:                           ;   in Loop: Header=BB1862_687 Depth=2
	s_or_b32 exec_lo, exec_lo, s15
	v_cmp_lt_i16_e32 vcc_lo, -1, v63
	; wave barrier
	v_cndmask_b32_e64 v61, -1, 0xffff8000, vcc_lo
	s_delay_alu instid0(VALU_DEP_1) | instskip(NEXT) | instid1(VALU_DEP_1)
	v_xor_b32_e32 v188, v61, v63
	v_cmp_ne_u16_e64 vcc_lo, 0x7fff, v188
	v_cndmask_b32_e32 v61, 0xffff8000, v188, vcc_lo
	s_delay_alu instid0(VALU_DEP_1) | instskip(NEXT) | instid1(VALU_DEP_1)
	v_and_b32_e32 v61, 0xffff, v61
	v_lshrrev_b32_e32 v61, s49, v61
	s_delay_alu instid0(VALU_DEP_1) | instskip(SKIP_1) | instid1(VALU_DEP_2)
	v_bitop3_b32 v63, v61, 1, s52 bitop3:0x80
	v_and_b32_e32 v64, s52, v61
	v_add_co_u32 v61, s15, v63, -1
	s_delay_alu instid0(VALU_DEP_1) | instskip(NEXT) | instid1(VALU_DEP_3)
	v_cndmask_b32_e64 v63, 0, 1, s15
	v_lshlrev_b32_e32 v65, 30, v64
	s_delay_alu instid0(VALU_DEP_2) | instskip(NEXT) | instid1(VALU_DEP_2)
	v_cmp_ne_u32_e32 vcc_lo, 0, v63
	v_not_b32_e32 v63, v65
	s_delay_alu instid0(VALU_DEP_1) | instskip(SKIP_4) | instid1(VALU_DEP_4)
	v_dual_ashrrev_i32 v63, 31, v63 :: v_dual_bitop2_b32 v61, vcc_lo, v61 bitop3:0x14
	v_dual_lshlrev_b32 v66, 29, v64 :: v_dual_lshlrev_b32 v67, 28, v64
	v_dual_lshlrev_b32 v192, 27, v64 :: v_dual_lshlrev_b32 v193, 26, v64
	v_lshlrev_b32_e32 v194, 25, v64
	v_cmp_gt_i32_e64 s15, 0, v65
	v_cmp_gt_i32_e64 s16, 0, v66
	v_not_b32_e32 v65, v66
	v_not_b32_e32 v66, v67
	v_lshlrev_b32_e32 v195, 24, v64
	v_cmp_gt_i32_e64 s17, 0, v67
	v_cmp_gt_i32_e64 s18, 0, v192
	v_not_b32_e32 v67, v192
	v_not_b32_e32 v192, v193
	v_dual_ashrrev_i32 v65, 31, v65 :: v_dual_bitop2_b32 v63, s15, v63 bitop3:0x14
	v_ashrrev_i32_e32 v66, 31, v66
	v_cmp_gt_i32_e64 s19, 0, v193
	v_cmp_gt_i32_e64 s20, 0, v194
	v_not_b32_e32 v193, v194
	v_not_b32_e32 v194, v195
	v_dual_ashrrev_i32 v67, 31, v67 :: v_dual_ashrrev_i32 v192, 31, v192
	v_xor_b32_e32 v65, s16, v65
	v_xor_b32_e32 v66, s17, v66
	v_bitop3_b32 v61, v61, v63, exec_lo bitop3:0x80
	v_cmp_gt_i32_e64 s21, 0, v195
	v_dual_ashrrev_i32 v63, 31, v193 :: v_dual_ashrrev_i32 v193, 31, v194
	v_xor_b32_e32 v67, s18, v67
	v_xor_b32_e32 v192, s19, v192
	v_bitop3_b32 v61, v61, v66, v65 bitop3:0x80
	v_mad_u32_u24 v65, v64, 36, v23
	v_xor_b32_e32 v63, s20, v63
	v_xor_b32_e32 v66, s21, v193
	s_delay_alu instid0(VALU_DEP_4) | instskip(SKIP_3) | instid1(VALU_DEP_2)
	v_bitop3_b32 v61, v61, v192, v67 bitop3:0x80
	ds_load_b32 v193, v65 offset:1056
	; wave barrier
	v_bitop3_b32 v61, v61, v66, v63 bitop3:0x80
	v_mul_u32_u24_e32 v63, 36, v64
	v_mbcnt_lo_u32_b32 v194, v61, 0
	v_cmp_ne_u32_e64 s15, 0, v61
	s_delay_alu instid0(VALU_DEP_3) | instskip(NEXT) | instid1(VALU_DEP_3)
	v_add_nc_u32_e32 v195, v23, v63
	v_cmp_eq_u32_e32 vcc_lo, 0, v194
	s_and_b32 s16, s15, vcc_lo
	s_delay_alu instid0(SALU_CYCLE_1)
	s_and_saveexec_b32 s15, s16
	s_cbranch_execz .LBB1862_751
; %bb.750:                              ;   in Loop: Header=BB1862_687 Depth=2
	s_wait_dscnt 0x0
	v_bcnt_u32_b32 v61, v61, v193
	ds_store_b32 v195, v61 offset:1056
.LBB1862_751:                           ;   in Loop: Header=BB1862_687 Depth=2
	s_or_b32 exec_lo, exec_lo, s15
	v_cmp_lt_i16_e32 vcc_lo, -1, v62
	; wave barrier
	v_cndmask_b32_e64 v61, -1, 0xffff8000, vcc_lo
	s_delay_alu instid0(VALU_DEP_1) | instskip(NEXT) | instid1(VALU_DEP_1)
	v_xor_b32_e32 v192, v61, v62
	v_cmp_ne_u16_e64 vcc_lo, 0x7fff, v192
	v_cndmask_b32_e32 v61, 0xffff8000, v192, vcc_lo
	s_delay_alu instid0(VALU_DEP_1) | instskip(NEXT) | instid1(VALU_DEP_1)
	v_and_b32_e32 v61, 0xffff, v61
	v_lshrrev_b32_e32 v61, s49, v61
	s_delay_alu instid0(VALU_DEP_1) | instskip(SKIP_1) | instid1(VALU_DEP_2)
	v_bitop3_b32 v62, v61, 1, s52 bitop3:0x80
	v_and_b32_e32 v63, s52, v61
	v_add_co_u32 v61, s15, v62, -1
	s_delay_alu instid0(VALU_DEP_1) | instskip(NEXT) | instid1(VALU_DEP_3)
	v_cndmask_b32_e64 v62, 0, 1, s15
	v_lshlrev_b32_e32 v64, 30, v63
	s_delay_alu instid0(VALU_DEP_2) | instskip(NEXT) | instid1(VALU_DEP_2)
	v_cmp_ne_u32_e32 vcc_lo, 0, v62
	v_not_b32_e32 v62, v64
	v_cmp_gt_i32_e64 s15, 0, v64
	s_delay_alu instid0(VALU_DEP_2) | instskip(SKIP_3) | instid1(VALU_DEP_4)
	v_dual_ashrrev_i32 v62, 31, v62 :: v_dual_lshlrev_b32 v65, 29, v63
	v_dual_lshlrev_b32 v66, 28, v63 :: v_dual_lshlrev_b32 v67, 27, v63
	v_dual_lshlrev_b32 v196, 26, v63 :: v_dual_lshlrev_b32 v197, 25, v63
	v_lshlrev_b32_e32 v198, 24, v63
	v_cmp_gt_i32_e64 s16, 0, v65
	v_not_b32_e32 v64, v65
	v_not_b32_e32 v65, v66
	v_cmp_gt_i32_e64 s17, 0, v66
	v_cmp_gt_i32_e64 s18, 0, v67
	v_not_b32_e32 v66, v67
	v_not_b32_e32 v67, v196
	v_dual_ashrrev_i32 v64, 31, v64 :: v_dual_bitop2_b32 v61, vcc_lo, v61 bitop3:0x14
	v_dual_ashrrev_i32 v65, 31, v65 :: v_dual_bitop2_b32 v62, s15, v62 bitop3:0x14
	v_cmp_gt_i32_e64 s19, 0, v196
	v_cmp_gt_i32_e64 s20, 0, v197
	v_not_b32_e32 v196, v197
	v_not_b32_e32 v197, v198
	v_dual_ashrrev_i32 v66, 31, v66 :: v_dual_ashrrev_i32 v67, 31, v67
	v_xor_b32_e32 v64, s16, v64
	v_xor_b32_e32 v65, s17, v65
	v_bitop3_b32 v61, v61, v62, exec_lo bitop3:0x80
	v_cmp_gt_i32_e64 s21, 0, v198
	v_dual_ashrrev_i32 v62, 31, v196 :: v_dual_ashrrev_i32 v196, 31, v197
	v_xor_b32_e32 v66, s18, v66
	v_xor_b32_e32 v67, s19, v67
	v_bitop3_b32 v61, v61, v65, v64 bitop3:0x80
	v_mad_u32_u24 v64, v63, 36, v23
	v_xor_b32_e32 v62, s20, v62
	v_xor_b32_e32 v65, s21, v196
	s_delay_alu instid0(VALU_DEP_4) | instskip(SKIP_3) | instid1(VALU_DEP_2)
	v_bitop3_b32 v61, v61, v67, v66 bitop3:0x80
	ds_load_b32 v197, v64 offset:1056
	; wave barrier
	v_bitop3_b32 v61, v61, v65, v62 bitop3:0x80
	v_mul_u32_u24_e32 v62, 36, v63
	v_mbcnt_lo_u32_b32 v198, v61, 0
	v_cmp_ne_u32_e64 s15, 0, v61
	s_delay_alu instid0(VALU_DEP_3) | instskip(NEXT) | instid1(VALU_DEP_3)
	v_add_nc_u32_e32 v199, v23, v62
	v_cmp_eq_u32_e32 vcc_lo, 0, v198
	s_and_b32 s16, s15, vcc_lo
	s_delay_alu instid0(SALU_CYCLE_1)
	s_and_saveexec_b32 s15, s16
	s_cbranch_execz .LBB1862_753
; %bb.752:                              ;   in Loop: Header=BB1862_687 Depth=2
	s_wait_dscnt 0x0
	v_bcnt_u32_b32 v61, v61, v197
	ds_store_b32 v199, v61 offset:1056
.LBB1862_753:                           ;   in Loop: Header=BB1862_687 Depth=2
	s_or_b32 exec_lo, exec_lo, s15
	v_cmp_lt_i16_e32 vcc_lo, -1, v60
	; wave barrier
	v_cndmask_b32_e64 v61, -1, 0xffff8000, vcc_lo
	s_delay_alu instid0(VALU_DEP_1) | instskip(NEXT) | instid1(VALU_DEP_1)
	v_xor_b32_e32 v196, v61, v60
	v_cmp_ne_u16_e64 vcc_lo, 0x7fff, v196
	v_cndmask_b32_e32 v60, 0xffff8000, v196, vcc_lo
	s_delay_alu instid0(VALU_DEP_1) | instskip(NEXT) | instid1(VALU_DEP_1)
	v_and_b32_e32 v60, 0xffff, v60
	v_lshrrev_b32_e32 v60, s49, v60
	s_delay_alu instid0(VALU_DEP_1) | instskip(SKIP_1) | instid1(VALU_DEP_2)
	v_bitop3_b32 v61, v60, 1, s52 bitop3:0x80
	v_and_b32_e32 v62, s52, v60
	v_add_co_u32 v60, s15, v61, -1
	s_delay_alu instid0(VALU_DEP_1) | instskip(NEXT) | instid1(VALU_DEP_3)
	v_cndmask_b32_e64 v61, 0, 1, s15
	v_lshlrev_b32_e32 v63, 30, v62
	s_delay_alu instid0(VALU_DEP_2) | instskip(NEXT) | instid1(VALU_DEP_2)
	v_cmp_ne_u32_e32 vcc_lo, 0, v61
	v_not_b32_e32 v61, v63
	v_cmp_gt_i32_e64 s15, 0, v63
	s_delay_alu instid0(VALU_DEP_2) | instskip(SKIP_3) | instid1(VALU_DEP_4)
	v_dual_ashrrev_i32 v61, 31, v61 :: v_dual_lshlrev_b32 v64, 29, v62
	v_dual_lshlrev_b32 v65, 28, v62 :: v_dual_lshlrev_b32 v66, 27, v62
	v_dual_lshlrev_b32 v67, 26, v62 :: v_dual_lshlrev_b32 v200, 25, v62
	v_lshlrev_b32_e32 v201, 24, v62
	v_cmp_gt_i32_e64 s16, 0, v64
	v_not_b32_e32 v63, v64
	v_not_b32_e32 v64, v65
	v_cmp_gt_i32_e64 s17, 0, v65
	v_cmp_gt_i32_e64 s18, 0, v66
	v_not_b32_e32 v65, v66
	v_not_b32_e32 v66, v67
	v_dual_ashrrev_i32 v63, 31, v63 :: v_dual_bitop2_b32 v60, vcc_lo, v60 bitop3:0x14
	v_dual_ashrrev_i32 v64, 31, v64 :: v_dual_bitop2_b32 v61, s15, v61 bitop3:0x14
	v_cmp_gt_i32_e64 s19, 0, v67
	v_cmp_gt_i32_e64 s20, 0, v200
	v_not_b32_e32 v67, v200
	v_not_b32_e32 v200, v201
	v_dual_ashrrev_i32 v65, 31, v65 :: v_dual_ashrrev_i32 v66, 31, v66
	v_xor_b32_e32 v63, s16, v63
	v_xor_b32_e32 v64, s17, v64
	v_bitop3_b32 v60, v60, v61, exec_lo bitop3:0x80
	v_cmp_gt_i32_e64 s21, 0, v201
	v_dual_ashrrev_i32 v61, 31, v67 :: v_dual_ashrrev_i32 v67, 31, v200
	v_xor_b32_e32 v65, s18, v65
	v_xor_b32_e32 v66, s19, v66
	v_bitop3_b32 v60, v60, v64, v63 bitop3:0x80
	v_mad_u32_u24 v63, v62, 36, v23
	v_xor_b32_e32 v61, s20, v61
	v_xor_b32_e32 v64, s21, v67
	s_delay_alu instid0(VALU_DEP_4) | instskip(SKIP_3) | instid1(VALU_DEP_2)
	v_bitop3_b32 v60, v60, v66, v65 bitop3:0x80
	ds_load_b32 v200, v63 offset:1056
	; wave barrier
	v_bitop3_b32 v60, v60, v64, v61 bitop3:0x80
	v_mul_u32_u24_e32 v61, 36, v62
	v_mbcnt_lo_u32_b32 v201, v60, 0
	v_cmp_ne_u32_e64 s15, 0, v60
	s_delay_alu instid0(VALU_DEP_3) | instskip(NEXT) | instid1(VALU_DEP_3)
	v_add_nc_u32_e32 v202, v23, v61
	v_cmp_eq_u32_e32 vcc_lo, 0, v201
	s_and_b32 s16, s15, vcc_lo
	s_delay_alu instid0(SALU_CYCLE_1)
	s_and_saveexec_b32 s15, s16
	s_cbranch_execz .LBB1862_755
; %bb.754:                              ;   in Loop: Header=BB1862_687 Depth=2
	s_wait_dscnt 0x0
	v_bcnt_u32_b32 v60, v60, v200
	ds_store_b32 v202, v60 offset:1056
.LBB1862_755:                           ;   in Loop: Header=BB1862_687 Depth=2
	s_or_b32 exec_lo, exec_lo, s15
	; wave barrier
	s_wait_dscnt 0x0
	s_barrier_signal -1
	s_barrier_wait -1
	ds_load_2addr_b32 v[66:67], v118 offset1:1
	ds_load_2addr_b32 v[64:65], v119 offset1:1
	ds_load_2addr_b32 v[62:63], v120 offset1:1
	ds_load_2addr_b32 v[60:61], v121 offset1:1
	ds_load_b32 v203, v91 offset:1088
	s_wait_dscnt 0x3
	v_add3_u32 v204, v67, v66, v64
	s_wait_dscnt 0x2
	s_delay_alu instid0(VALU_DEP_1) | instskip(SKIP_1) | instid1(VALU_DEP_1)
	v_add3_u32 v204, v204, v65, v62
	s_wait_dscnt 0x1
	v_add3_u32 v204, v204, v63, v60
	s_wait_dscnt 0x0
	s_delay_alu instid0(VALU_DEP_1) | instskip(NEXT) | instid1(VALU_DEP_1)
	v_add3_u32 v203, v204, v61, v203
	v_mov_b32_dpp v204, v203 row_shr:1 row_mask:0xf bank_mask:0xf
	s_delay_alu instid0(VALU_DEP_1) | instskip(NEXT) | instid1(VALU_DEP_1)
	v_cndmask_b32_e64 v204, v204, 0, s7
	v_add_nc_u32_e32 v203, v204, v203
	s_delay_alu instid0(VALU_DEP_1) | instskip(NEXT) | instid1(VALU_DEP_1)
	v_mov_b32_dpp v204, v203 row_shr:2 row_mask:0xf bank_mask:0xf
	v_cndmask_b32_e64 v204, 0, v204, s8
	s_delay_alu instid0(VALU_DEP_1) | instskip(NEXT) | instid1(VALU_DEP_1)
	v_add_nc_u32_e32 v203, v203, v204
	v_mov_b32_dpp v204, v203 row_shr:4 row_mask:0xf bank_mask:0xf
	s_delay_alu instid0(VALU_DEP_1) | instskip(NEXT) | instid1(VALU_DEP_1)
	v_cndmask_b32_e64 v204, 0, v204, s9
	v_add_nc_u32_e32 v203, v203, v204
	s_delay_alu instid0(VALU_DEP_1) | instskip(NEXT) | instid1(VALU_DEP_1)
	v_mov_b32_dpp v204, v203 row_shr:8 row_mask:0xf bank_mask:0xf
	v_cndmask_b32_e64 v204, 0, v204, s10
	s_delay_alu instid0(VALU_DEP_1) | instskip(SKIP_3) | instid1(VALU_DEP_1)
	v_add_nc_u32_e32 v203, v203, v204
	ds_swizzle_b32 v204, v203 offset:swizzle(BROADCAST,32,15)
	s_wait_dscnt 0x0
	v_cndmask_b32_e64 v204, v204, 0, s11
	v_add_nc_u32_e32 v203, v203, v204
	s_and_saveexec_b32 s15, s1
; %bb.756:                              ;   in Loop: Header=BB1862_687 Depth=2
	ds_store_b32 v84, v203 offset:1024
; %bb.757:                              ;   in Loop: Header=BB1862_687 Depth=2
	s_or_b32 exec_lo, exec_lo, s15
	s_wait_dscnt 0x0
	s_barrier_signal -1
	s_barrier_wait -1
	s_and_saveexec_b32 s15, s4
	s_cbranch_execz .LBB1862_759
; %bb.758:                              ;   in Loop: Header=BB1862_687 Depth=2
	ds_load_b32 v204, v92 offset:1024
	s_wait_dscnt 0x0
	v_mov_b32_dpp v205, v204 row_shr:1 row_mask:0xf bank_mask:0xf
	s_delay_alu instid0(VALU_DEP_1) | instskip(NEXT) | instid1(VALU_DEP_1)
	v_cndmask_b32_e64 v205, v205, 0, s12
	v_add_nc_u32_e32 v204, v205, v204
	s_delay_alu instid0(VALU_DEP_1) | instskip(NEXT) | instid1(VALU_DEP_1)
	v_mov_b32_dpp v205, v204 row_shr:2 row_mask:0xf bank_mask:0xf
	v_cndmask_b32_e64 v205, 0, v205, s13
	s_delay_alu instid0(VALU_DEP_1) | instskip(NEXT) | instid1(VALU_DEP_1)
	v_add_nc_u32_e32 v204, v204, v205
	v_mov_b32_dpp v205, v204 row_shr:4 row_mask:0xf bank_mask:0xf
	s_delay_alu instid0(VALU_DEP_1) | instskip(NEXT) | instid1(VALU_DEP_1)
	v_cndmask_b32_e64 v205, 0, v205, s14
	v_add_nc_u32_e32 v204, v204, v205
	ds_store_b32 v92, v204 offset:1024
.LBB1862_759:                           ;   in Loop: Header=BB1862_687 Depth=2
	s_or_b32 exec_lo, exec_lo, s15
	v_mov_b32_e32 v204, 0
	s_wait_dscnt 0x0
	s_barrier_signal -1
	s_barrier_wait -1
	s_and_saveexec_b32 s15, s5
; %bb.760:                              ;   in Loop: Header=BB1862_687 Depth=2
	ds_load_b32 v204, v84 offset:1020
; %bb.761:                              ;   in Loop: Header=BB1862_687 Depth=2
	s_or_b32 exec_lo, exec_lo, s15
	s_wait_dscnt 0x0
	v_add_nc_u32_e32 v203, v204, v203
	ds_bpermute_b32 v203, v122, v203
	s_wait_dscnt 0x0
	v_cndmask_b32_e64 v203, v203, v204, s6
	s_delay_alu instid0(VALU_DEP_1) | instskip(NEXT) | instid1(VALU_DEP_1)
	v_cndmask_b32_e64 v203, v203, 0, s2
	v_add_nc_u32_e32 v66, v203, v66
	s_delay_alu instid0(VALU_DEP_1) | instskip(NEXT) | instid1(VALU_DEP_1)
	v_add_nc_u32_e32 v67, v66, v67
	v_add_nc_u32_e32 v64, v67, v64
	s_delay_alu instid0(VALU_DEP_1) | instskip(NEXT) | instid1(VALU_DEP_1)
	v_add_nc_u32_e32 v65, v64, v65
	;; [unrolled: 3-line block ×3, first 2 shown]
	v_add_nc_u32_e32 v60, v63, v60
	s_delay_alu instid0(VALU_DEP_1)
	v_add_nc_u32_e32 v61, v60, v61
	ds_store_2addr_b32 v121, v63, v60 offset1:1
	ds_store_2addr_b32 v118, v203, v66 offset1:1
	;; [unrolled: 1-line block ×4, first 2 shown]
	ds_store_b32 v91, v61 offset:1088
	s_wait_dscnt 0x0
	s_barrier_signal -1
	s_barrier_wait -1
	ds_load_b32 v63, v143 offset:1056
	ds_load_b32 v65, v147 offset:1056
	;; [unrolled: 1-line block ×17, first 2 shown]
	v_mov_b32_e32 v62, 0x1000
	s_and_saveexec_b32 s15, s3
; %bb.762:                              ;   in Loop: Header=BB1862_687 Depth=2
	ds_load_b32 v62, v91 offset:1092
; %bb.763:                              ;   in Loop: Header=BB1862_687 Depth=2
	s_or_b32 exec_lo, exec_lo, s15
	s_wait_dscnt 0x0
	s_barrier_signal -1
	s_barrier_wait -1
	s_and_saveexec_b32 s15, s0
	s_cbranch_execz .LBB1862_765
; %bb.764:                              ;   in Loop: Header=BB1862_687 Depth=2
	ds_load_b32 v155, v3
	s_wait_dscnt 0x0
	v_sub_nc_u32_e32 v151, v155, v151
	ds_store_b32 v3, v151
.LBB1862_765:                           ;   in Loop: Header=BB1862_687 Depth=2
	s_or_b32 exec_lo, exec_lo, s15
	v_add3_u32 v159, v146, v145, v65
	v_add_nc_u32_e32 v163, v63, v142
	v_add3_u32 v155, v150, v149, v66
	v_add3_u32 v151, v154, v153, v67
	;; [unrolled: 1-line block ×4, first 2 shown]
	v_lshlrev_b32_e32 v60, 1, v159
	v_lshlrev_b32_e32 v153, 1, v163
	v_add3_u32 v150, v158, v157, v143
	v_add3_u32 v147, v166, v165, v203
	;; [unrolled: 1-line block ×4, first 2 shown]
	v_lshlrev_b32_e32 v61, 1, v155
	v_add3_u32 v145, v174, v173, v175
	v_lshlrev_b32_e32 v154, 1, v149
	ds_store_b16 v153, v140 offset:1024
	v_lshlrev_b32_e32 v140, 1, v151
	v_add3_u32 v143, v178, v177, v179
	v_lshlrev_b32_e32 v153, 1, v150
	v_add3_u32 v142, v182, v181, v183
	v_add3_u32 v63, v186, v185, v187
	ds_store_b16 v60, v141 offset:1024
	ds_store_b16 v61, v144 offset:1024
	ds_store_b16 v140, v148 offset:1024
	ds_store_b16 v153, v152 offset:1024
	ds_store_b16 v154, v156 offset:1024
	v_dual_lshlrev_b32 v60, 1, v147 :: v_dual_lshlrev_b32 v140, 1, v145
	v_lshlrev_b32_e32 v61, 1, v146
	v_add3_u32 v65, v198, v197, v64
	v_dual_lshlrev_b32 v141, 1, v143 :: v_dual_lshlrev_b32 v144, 1, v142
	v_add3_u32 v64, v201, v200, v167
	ds_store_b16 v60, v160 offset:1024
	ds_store_b16 v61, v164 offset:1024
	;; [unrolled: 1-line block ×5, first 2 shown]
	v_dual_lshlrev_b32 v60, 1, v63 :: v_dual_lshlrev_b32 v140, 1, v66
	v_cmp_lt_u32_e32 vcc_lo, v2, v139
	v_dual_lshlrev_b32 v61, 1, v67 :: v_dual_lshlrev_b32 v141, 1, v65
	v_lshlrev_b32_e32 v144, 1, v64
	ds_store_b16 v60, v180 offset:1024
	ds_store_b16 v61, v184 offset:1024
	;; [unrolled: 1-line block ×5, first 2 shown]
	s_wait_dscnt 0x0
	s_barrier_signal -1
	s_barrier_wait -1
	s_and_saveexec_b32 s16, vcc_lo
	s_cbranch_execnz .LBB1862_834
; %bb.766:                              ;   in Loop: Header=BB1862_687 Depth=2
	s_or_b32 exec_lo, exec_lo, s16
	v_cmp_lt_u32_e64 s15, v68, v139
	s_and_saveexec_b32 s17, s15
	s_cbranch_execnz .LBB1862_835
.LBB1862_767:                           ;   in Loop: Header=BB1862_687 Depth=2
	s_or_b32 exec_lo, exec_lo, s17
	v_cmp_lt_u32_e64 s16, v69, v139
	s_and_saveexec_b32 s18, s16
	s_cbranch_execnz .LBB1862_836
.LBB1862_768:                           ;   in Loop: Header=BB1862_687 Depth=2
	s_or_b32 exec_lo, exec_lo, s18
	v_cmp_lt_u32_e64 s17, v70, v139
	s_and_saveexec_b32 s19, s17
	s_cbranch_execnz .LBB1862_837
.LBB1862_769:                           ;   in Loop: Header=BB1862_687 Depth=2
	s_or_b32 exec_lo, exec_lo, s19
	v_cmp_lt_u32_e64 s18, v71, v139
	s_and_saveexec_b32 s20, s18
	s_cbranch_execnz .LBB1862_838
.LBB1862_770:                           ;   in Loop: Header=BB1862_687 Depth=2
	s_or_b32 exec_lo, exec_lo, s20
	v_cmp_lt_u32_e64 s19, v72, v139
	s_and_saveexec_b32 s21, s19
	s_cbranch_execnz .LBB1862_839
.LBB1862_771:                           ;   in Loop: Header=BB1862_687 Depth=2
	s_or_b32 exec_lo, exec_lo, s21
	v_cmp_lt_u32_e64 s20, v73, v139
	s_and_saveexec_b32 s22, s20
	s_cbranch_execnz .LBB1862_840
.LBB1862_772:                           ;   in Loop: Header=BB1862_687 Depth=2
	s_or_b32 exec_lo, exec_lo, s22
	v_cmp_lt_u32_e64 s21, v74, v139
	s_and_saveexec_b32 s23, s21
	s_cbranch_execnz .LBB1862_841
.LBB1862_773:                           ;   in Loop: Header=BB1862_687 Depth=2
	s_or_b32 exec_lo, exec_lo, s23
	v_cmp_lt_u32_e64 s22, v75, v139
	s_and_saveexec_b32 s24, s22
	s_cbranch_execnz .LBB1862_842
.LBB1862_774:                           ;   in Loop: Header=BB1862_687 Depth=2
	s_or_b32 exec_lo, exec_lo, s24
	v_cmp_lt_u32_e64 s23, v76, v139
	s_and_saveexec_b32 s25, s23
	s_cbranch_execnz .LBB1862_843
.LBB1862_775:                           ;   in Loop: Header=BB1862_687 Depth=2
	s_or_b32 exec_lo, exec_lo, s25
	v_cmp_lt_u32_e64 s24, v77, v139
	s_and_saveexec_b32 s26, s24
	s_cbranch_execnz .LBB1862_844
.LBB1862_776:                           ;   in Loop: Header=BB1862_687 Depth=2
	s_or_b32 exec_lo, exec_lo, s26
	v_cmp_lt_u32_e64 s25, v78, v139
	s_and_saveexec_b32 s27, s25
	s_cbranch_execnz .LBB1862_845
.LBB1862_777:                           ;   in Loop: Header=BB1862_687 Depth=2
	s_or_b32 exec_lo, exec_lo, s27
	v_cmp_lt_u32_e64 s26, v79, v139
	s_and_saveexec_b32 s28, s26
	s_cbranch_execnz .LBB1862_846
.LBB1862_778:                           ;   in Loop: Header=BB1862_687 Depth=2
	s_or_b32 exec_lo, exec_lo, s28
	v_cmp_lt_u32_e64 s27, v80, v139
	s_and_saveexec_b32 s29, s27
	s_cbranch_execnz .LBB1862_847
.LBB1862_779:                           ;   in Loop: Header=BB1862_687 Depth=2
	s_or_b32 exec_lo, exec_lo, s29
	v_cmp_lt_u32_e64 s28, v81, v139
	s_and_saveexec_b32 s30, s28
	s_cbranch_execnz .LBB1862_848
.LBB1862_780:                           ;   in Loop: Header=BB1862_687 Depth=2
	s_or_b32 exec_lo, exec_lo, s30
	v_cmp_lt_u32_e64 s29, v82, v139
	s_and_saveexec_b32 s58, s29
	s_cbranch_execz .LBB1862_782
.LBB1862_781:                           ;   in Loop: Header=BB1862_687 Depth=2
	ds_load_u16 v60, v93 offset:8704
	s_wait_dscnt 0x0
	v_cmp_ne_u16_e64 s30, 0x7fff, v60
	s_delay_alu instid0(VALU_DEP_1) | instskip(SKIP_1) | instid1(VALU_DEP_2)
	v_cndmask_b32_e64 v61, 0xffff8000, v60, s30
	v_cmp_lt_i16_e64 s30, -1, v60
	v_and_b32_e32 v61, 0xffff, v61
	s_delay_alu instid0(VALU_DEP_2) | instskip(NEXT) | instid1(VALU_DEP_1)
	v_cndmask_b32_e64 v140, 0xffff8000, -1, s30
	v_dual_lshrrev_b32 v61, s49, v61 :: v_dual_bitop2_b32 v60, v140, v60 bitop3:0x14
	s_delay_alu instid0(VALU_DEP_1) | instskip(NEXT) | instid1(VALU_DEP_1)
	v_and_b32_e32 v61, s52, v61
	v_lshlrev_b32_e32 v61, 2, v61
	ds_load_b32 v61, v61
	s_wait_dscnt 0x0
	v_add_nc_u32_e32 v61, v61, v82
	global_store_b16 v61, v60, s[38:39] scale_offset
.LBB1862_782:                           ;   in Loop: Header=BB1862_687 Depth=2
	s_wait_xcnt 0x0
	s_or_b32 exec_lo, exec_lo, s58
	v_lshl_add_u64 v[60:61], s[42:43], 3, v[24:25]
	v_cmp_lt_u32_e64 s30, v100, v139
	s_and_saveexec_b32 s42, s30
	s_delay_alu instid0(SALU_CYCLE_1)
	s_xor_b32 s30, exec_lo, s42
	s_cbranch_execnz .LBB1862_849
; %bb.783:                              ;   in Loop: Header=BB1862_687 Depth=2
	s_or_b32 exec_lo, exec_lo, s30
	s_delay_alu instid0(SALU_CYCLE_1)
	s_mov_b32 s42, exec_lo
	v_cmpx_lt_u32_e64 v103, v139
	s_cbranch_execnz .LBB1862_850
.LBB1862_784:                           ;   in Loop: Header=BB1862_687 Depth=2
	s_or_b32 exec_lo, exec_lo, s42
	s_delay_alu instid0(SALU_CYCLE_1)
	s_mov_b32 s42, exec_lo
	v_cmpx_lt_u32_e64 v104, v139
	s_cbranch_execnz .LBB1862_851
.LBB1862_785:                           ;   in Loop: Header=BB1862_687 Depth=2
	s_or_b32 exec_lo, exec_lo, s42
	s_delay_alu instid0(SALU_CYCLE_1)
	s_mov_b32 s42, exec_lo
	v_cmpx_lt_u32_e64 v105, v139
	s_cbranch_execnz .LBB1862_852
.LBB1862_786:                           ;   in Loop: Header=BB1862_687 Depth=2
	s_or_b32 exec_lo, exec_lo, s42
	s_delay_alu instid0(SALU_CYCLE_1)
	s_mov_b32 s42, exec_lo
	v_cmpx_lt_u32_e64 v106, v139
	s_cbranch_execnz .LBB1862_853
.LBB1862_787:                           ;   in Loop: Header=BB1862_687 Depth=2
	s_or_b32 exec_lo, exec_lo, s42
	s_delay_alu instid0(SALU_CYCLE_1)
	s_mov_b32 s42, exec_lo
	v_cmpx_lt_u32_e64 v107, v139
	s_cbranch_execnz .LBB1862_854
.LBB1862_788:                           ;   in Loop: Header=BB1862_687 Depth=2
	s_or_b32 exec_lo, exec_lo, s42
	s_delay_alu instid0(SALU_CYCLE_1)
	s_mov_b32 s42, exec_lo
	v_cmpx_lt_u32_e64 v108, v139
	s_cbranch_execnz .LBB1862_855
.LBB1862_789:                           ;   in Loop: Header=BB1862_687 Depth=2
	s_or_b32 exec_lo, exec_lo, s42
	s_delay_alu instid0(SALU_CYCLE_1)
	s_mov_b32 s42, exec_lo
	v_cmpx_lt_u32_e64 v109, v139
	s_cbranch_execnz .LBB1862_856
.LBB1862_790:                           ;   in Loop: Header=BB1862_687 Depth=2
	s_or_b32 exec_lo, exec_lo, s42
	s_delay_alu instid0(SALU_CYCLE_1)
	s_mov_b32 s42, exec_lo
	v_cmpx_lt_u32_e64 v110, v139
	s_cbranch_execnz .LBB1862_857
.LBB1862_791:                           ;   in Loop: Header=BB1862_687 Depth=2
	s_or_b32 exec_lo, exec_lo, s42
	s_delay_alu instid0(SALU_CYCLE_1)
	s_mov_b32 s42, exec_lo
	v_cmpx_lt_u32_e64 v111, v139
	s_cbranch_execnz .LBB1862_858
.LBB1862_792:                           ;   in Loop: Header=BB1862_687 Depth=2
	s_or_b32 exec_lo, exec_lo, s42
	s_delay_alu instid0(SALU_CYCLE_1)
	s_mov_b32 s42, exec_lo
	v_cmpx_lt_u32_e64 v112, v139
	s_cbranch_execnz .LBB1862_859
.LBB1862_793:                           ;   in Loop: Header=BB1862_687 Depth=2
	s_or_b32 exec_lo, exec_lo, s42
	s_delay_alu instid0(SALU_CYCLE_1)
	s_mov_b32 s42, exec_lo
	v_cmpx_lt_u32_e64 v113, v139
	s_cbranch_execnz .LBB1862_860
.LBB1862_794:                           ;   in Loop: Header=BB1862_687 Depth=2
	s_or_b32 exec_lo, exec_lo, s42
	s_delay_alu instid0(SALU_CYCLE_1)
	s_mov_b32 s42, exec_lo
	v_cmpx_lt_u32_e64 v114, v139
	s_cbranch_execnz .LBB1862_861
.LBB1862_795:                           ;   in Loop: Header=BB1862_687 Depth=2
	s_or_b32 exec_lo, exec_lo, s42
	s_delay_alu instid0(SALU_CYCLE_1)
	s_mov_b32 s42, exec_lo
	v_cmpx_lt_u32_e64 v115, v139
	s_cbranch_execnz .LBB1862_862
.LBB1862_796:                           ;   in Loop: Header=BB1862_687 Depth=2
	s_or_b32 exec_lo, exec_lo, s42
	s_delay_alu instid0(SALU_CYCLE_1)
	s_mov_b32 s42, exec_lo
	v_cmpx_lt_u32_e64 v116, v139
	s_cbranch_execnz .LBB1862_863
.LBB1862_797:                           ;   in Loop: Header=BB1862_687 Depth=2
	s_or_b32 exec_lo, exec_lo, s42
	s_delay_alu instid0(SALU_CYCLE_1)
	s_mov_b32 s42, exec_lo
	v_cmpx_lt_u32_e64 v117, v139
	s_cbranch_execnz .LBB1862_864
.LBB1862_798:                           ;   in Loop: Header=BB1862_687 Depth=2
	s_or_b32 exec_lo, exec_lo, s42
	s_and_saveexec_b32 s42, vcc_lo
	s_cbranch_execnz .LBB1862_865
.LBB1862_799:                           ;   in Loop: Header=BB1862_687 Depth=2
	s_or_b32 exec_lo, exec_lo, s42
	s_and_saveexec_b32 s42, s15
	s_cbranch_execnz .LBB1862_866
.LBB1862_800:                           ;   in Loop: Header=BB1862_687 Depth=2
	s_or_b32 exec_lo, exec_lo, s42
	s_and_saveexec_b32 s42, s16
	s_cbranch_execnz .LBB1862_867
.LBB1862_801:                           ;   in Loop: Header=BB1862_687 Depth=2
	s_or_b32 exec_lo, exec_lo, s42
	s_and_saveexec_b32 s42, s17
	s_cbranch_execnz .LBB1862_868
.LBB1862_802:                           ;   in Loop: Header=BB1862_687 Depth=2
	s_or_b32 exec_lo, exec_lo, s42
	s_and_saveexec_b32 s42, s18
	s_cbranch_execnz .LBB1862_869
.LBB1862_803:                           ;   in Loop: Header=BB1862_687 Depth=2
	s_or_b32 exec_lo, exec_lo, s42
	s_and_saveexec_b32 s42, s19
	s_cbranch_execnz .LBB1862_870
.LBB1862_804:                           ;   in Loop: Header=BB1862_687 Depth=2
	s_or_b32 exec_lo, exec_lo, s42
	s_and_saveexec_b32 s42, s20
	s_cbranch_execnz .LBB1862_871
.LBB1862_805:                           ;   in Loop: Header=BB1862_687 Depth=2
	s_or_b32 exec_lo, exec_lo, s42
	s_and_saveexec_b32 s42, s21
	s_cbranch_execnz .LBB1862_872
.LBB1862_806:                           ;   in Loop: Header=BB1862_687 Depth=2
	s_or_b32 exec_lo, exec_lo, s42
	s_and_saveexec_b32 s42, s22
	s_cbranch_execnz .LBB1862_873
.LBB1862_807:                           ;   in Loop: Header=BB1862_687 Depth=2
	s_or_b32 exec_lo, exec_lo, s42
	s_and_saveexec_b32 s42, s23
	s_cbranch_execnz .LBB1862_874
.LBB1862_808:                           ;   in Loop: Header=BB1862_687 Depth=2
	s_or_b32 exec_lo, exec_lo, s42
	s_and_saveexec_b32 s42, s24
	s_cbranch_execnz .LBB1862_875
.LBB1862_809:                           ;   in Loop: Header=BB1862_687 Depth=2
	s_or_b32 exec_lo, exec_lo, s42
	s_and_saveexec_b32 s42, s25
	s_cbranch_execnz .LBB1862_876
.LBB1862_810:                           ;   in Loop: Header=BB1862_687 Depth=2
	s_or_b32 exec_lo, exec_lo, s42
	s_and_saveexec_b32 s42, s26
	s_cbranch_execnz .LBB1862_877
.LBB1862_811:                           ;   in Loop: Header=BB1862_687 Depth=2
	s_or_b32 exec_lo, exec_lo, s42
	s_and_saveexec_b32 s42, s27
	s_cbranch_execnz .LBB1862_878
.LBB1862_812:                           ;   in Loop: Header=BB1862_687 Depth=2
	s_or_b32 exec_lo, exec_lo, s42
	s_and_saveexec_b32 s42, s28
	s_cbranch_execnz .LBB1862_879
.LBB1862_813:                           ;   in Loop: Header=BB1862_687 Depth=2
	s_or_b32 exec_lo, exec_lo, s42
	s_and_saveexec_b32 s42, s29
	s_cbranch_execz .LBB1862_815
.LBB1862_814:                           ;   in Loop: Header=BB1862_687 Depth=2
	ds_load_u16 v60, v93 offset:8704
	s_wait_dscnt 0x0
	v_cmp_ne_u16_e64 s30, 0x7fff, v60
	s_delay_alu instid0(VALU_DEP_1) | instskip(NEXT) | instid1(VALU_DEP_1)
	v_cndmask_b32_e64 v60, 0xffff8000, v60, s30
	v_and_b32_e32 v60, 0xffff, v60
	s_delay_alu instid0(VALU_DEP_1) | instskip(NEXT) | instid1(VALU_DEP_1)
	v_lshrrev_b32_e32 v60, s49, v60
	v_and_b32_e32 v123, s52, v60
.LBB1862_815:                           ;   in Loop: Header=BB1862_687 Depth=2
	s_or_b32 exec_lo, exec_lo, s42
	v_dual_lshlrev_b32 v60, 3, v163 :: v_dual_lshlrev_b32 v140, 3, v150
	s_wait_loadcnt 0x0
	s_wait_storecnt 0x0
	s_barrier_signal -1
	s_barrier_wait -1
	ds_store_b64 v60, v[58:59] offset:1024
	v_dual_lshlrev_b32 v60, 3, v159 :: v_dual_lshlrev_b32 v141, 3, v149
	v_lshlrev_b32_e32 v61, 3, v155
	v_lshlrev_b32_e32 v139, 3, v151
	ds_store_b64 v60, v[56:57] offset:1024
	ds_store_b64 v61, v[54:55] offset:1024
	ds_store_b64 v139, v[52:53] offset:1024
	ds_store_b64 v140, v[50:51] offset:1024
	ds_store_b64 v141, v[48:49] offset:1024
	v_dual_lshlrev_b32 v60, 3, v147 :: v_dual_lshlrev_b32 v141, 3, v142
	v_dual_lshlrev_b32 v61, 3, v146 :: v_dual_lshlrev_b32 v139, 3, v145
	v_lshlrev_b32_e32 v140, 3, v143
	ds_store_b64 v60, v[46:47] offset:1024
	ds_store_b64 v61, v[44:45] offset:1024
	;; [unrolled: 1-line block ×5, first 2 shown]
	v_dual_lshlrev_b32 v60, 3, v63 :: v_dual_lshlrev_b32 v65, 3, v65
	v_dual_lshlrev_b32 v61, 3, v67 :: v_dual_lshlrev_b32 v64, 3, v64
	v_lshlrev_b32_e32 v63, 3, v66
	ds_store_b64 v60, v[36:37] offset:1024
	ds_store_b64 v61, v[34:35] offset:1024
	;; [unrolled: 1-line block ×5, first 2 shown]
	s_wait_dscnt 0x0
	s_barrier_signal -1
	s_barrier_wait -1
	s_and_saveexec_b32 s30, vcc_lo
	s_cbranch_execnz .LBB1862_880
; %bb.816:                              ;   in Loop: Header=BB1862_687 Depth=2
	s_or_b32 exec_lo, exec_lo, s30
	s_and_saveexec_b32 s30, s15
	s_cbranch_execnz .LBB1862_881
.LBB1862_817:                           ;   in Loop: Header=BB1862_687 Depth=2
	s_or_b32 exec_lo, exec_lo, s30
	s_and_saveexec_b32 s15, s16
	s_cbranch_execnz .LBB1862_882
.LBB1862_818:                           ;   in Loop: Header=BB1862_687 Depth=2
	s_or_b32 exec_lo, exec_lo, s15
	s_and_saveexec_b32 s15, s17
	s_cbranch_execnz .LBB1862_883
.LBB1862_819:                           ;   in Loop: Header=BB1862_687 Depth=2
	s_or_b32 exec_lo, exec_lo, s15
	s_and_saveexec_b32 s15, s18
	s_cbranch_execnz .LBB1862_884
.LBB1862_820:                           ;   in Loop: Header=BB1862_687 Depth=2
	s_or_b32 exec_lo, exec_lo, s15
	s_and_saveexec_b32 s15, s19
	s_cbranch_execnz .LBB1862_885
.LBB1862_821:                           ;   in Loop: Header=BB1862_687 Depth=2
	s_or_b32 exec_lo, exec_lo, s15
	s_and_saveexec_b32 s15, s20
	s_cbranch_execnz .LBB1862_886
.LBB1862_822:                           ;   in Loop: Header=BB1862_687 Depth=2
	s_or_b32 exec_lo, exec_lo, s15
	s_and_saveexec_b32 s15, s21
	s_cbranch_execnz .LBB1862_887
.LBB1862_823:                           ;   in Loop: Header=BB1862_687 Depth=2
	s_or_b32 exec_lo, exec_lo, s15
	s_and_saveexec_b32 s15, s22
	s_cbranch_execnz .LBB1862_888
.LBB1862_824:                           ;   in Loop: Header=BB1862_687 Depth=2
	s_or_b32 exec_lo, exec_lo, s15
	s_and_saveexec_b32 s15, s23
	s_cbranch_execnz .LBB1862_889
.LBB1862_825:                           ;   in Loop: Header=BB1862_687 Depth=2
	s_or_b32 exec_lo, exec_lo, s15
	s_and_saveexec_b32 s15, s24
	s_cbranch_execnz .LBB1862_890
.LBB1862_826:                           ;   in Loop: Header=BB1862_687 Depth=2
	s_or_b32 exec_lo, exec_lo, s15
	s_and_saveexec_b32 s15, s25
	s_cbranch_execnz .LBB1862_891
.LBB1862_827:                           ;   in Loop: Header=BB1862_687 Depth=2
	s_or_b32 exec_lo, exec_lo, s15
	s_and_saveexec_b32 s15, s26
	s_cbranch_execnz .LBB1862_892
.LBB1862_828:                           ;   in Loop: Header=BB1862_687 Depth=2
	s_or_b32 exec_lo, exec_lo, s15
	s_and_saveexec_b32 s15, s27
	s_cbranch_execnz .LBB1862_893
.LBB1862_829:                           ;   in Loop: Header=BB1862_687 Depth=2
	s_or_b32 exec_lo, exec_lo, s15
	s_and_saveexec_b32 s15, s28
	s_cbranch_execnz .LBB1862_894
.LBB1862_830:                           ;   in Loop: Header=BB1862_687 Depth=2
	s_or_b32 exec_lo, exec_lo, s15
	s_and_saveexec_b32 s15, s29
	s_cbranch_execz .LBB1862_832
.LBB1862_831:                           ;   in Loop: Header=BB1862_687 Depth=2
	v_dual_lshlrev_b32 v60, 2, v123 :: v_dual_add_nc_u32 v61, v93, v94
	ds_load_b32 v63, v60
	ds_load_b64 v[60:61], v61 offset:31744
	s_wait_dscnt 0x1
	v_add_nc_u32_e32 v63, v63, v82
	s_wait_dscnt 0x0
	global_store_b64 v63, v[60:61], s[44:45] scale_offset
.LBB1862_832:                           ;   in Loop: Header=BB1862_687 Depth=2
	s_wait_xcnt 0x0
	s_or_b32 exec_lo, exec_lo, s15
	s_wait_storecnt 0x0
	s_barrier_signal -1
	s_barrier_wait -1
	s_and_saveexec_b32 s15, s0
	s_cbranch_execz .LBB1862_686
; %bb.833:                              ;   in Loop: Header=BB1862_687 Depth=2
	ds_load_b32 v60, v3
	s_wait_dscnt 0x0
	v_add_nc_u32_e32 v60, v60, v62
	ds_store_b32 v3, v60
	s_branch .LBB1862_686
.LBB1862_834:                           ;   in Loop: Header=BB1862_687 Depth=2
	ds_load_u16 v60, v93 offset:1024
	s_wait_dscnt 0x0
	v_cmp_ne_u16_e64 s15, 0x7fff, v60
	s_delay_alu instid0(VALU_DEP_1) | instskip(SKIP_1) | instid1(VALU_DEP_2)
	v_cndmask_b32_e64 v61, 0xffff8000, v60, s15
	v_cmp_lt_i16_e64 s15, -1, v60
	v_and_b32_e32 v61, 0xffff, v61
	s_delay_alu instid0(VALU_DEP_2) | instskip(NEXT) | instid1(VALU_DEP_1)
	v_cndmask_b32_e64 v140, 0xffff8000, -1, s15
	v_dual_lshrrev_b32 v61, s49, v61 :: v_dual_bitop2_b32 v60, v140, v60 bitop3:0x14
	s_delay_alu instid0(VALU_DEP_1) | instskip(NEXT) | instid1(VALU_DEP_1)
	v_and_b32_e32 v61, s52, v61
	v_lshlrev_b32_e32 v61, 2, v61
	ds_load_b32 v61, v61
	s_wait_dscnt 0x0
	v_add_nc_u32_e32 v61, v61, v2
	global_store_b16 v61, v60, s[38:39] scale_offset
	s_wait_xcnt 0x0
	s_or_b32 exec_lo, exec_lo, s16
	v_cmp_lt_u32_e64 s15, v68, v139
	s_and_saveexec_b32 s17, s15
	s_cbranch_execz .LBB1862_767
.LBB1862_835:                           ;   in Loop: Header=BB1862_687 Depth=2
	ds_load_u16 v60, v93 offset:1536
	s_wait_dscnt 0x0
	v_cmp_ne_u16_e64 s16, 0x7fff, v60
	s_delay_alu instid0(VALU_DEP_1) | instskip(SKIP_1) | instid1(VALU_DEP_2)
	v_cndmask_b32_e64 v61, 0xffff8000, v60, s16
	v_cmp_lt_i16_e64 s16, -1, v60
	v_and_b32_e32 v61, 0xffff, v61
	s_delay_alu instid0(VALU_DEP_2) | instskip(NEXT) | instid1(VALU_DEP_1)
	v_cndmask_b32_e64 v140, 0xffff8000, -1, s16
	v_dual_lshrrev_b32 v61, s49, v61 :: v_dual_bitop2_b32 v60, v140, v60 bitop3:0x14
	s_delay_alu instid0(VALU_DEP_1) | instskip(NEXT) | instid1(VALU_DEP_1)
	v_and_b32_e32 v61, s52, v61
	v_lshlrev_b32_e32 v61, 2, v61
	ds_load_b32 v61, v61
	s_wait_dscnt 0x0
	v_add_nc_u32_e32 v61, v61, v68
	global_store_b16 v61, v60, s[38:39] scale_offset
	s_wait_xcnt 0x0
	s_or_b32 exec_lo, exec_lo, s17
	v_cmp_lt_u32_e64 s16, v69, v139
	s_and_saveexec_b32 s18, s16
	s_cbranch_execz .LBB1862_768
.LBB1862_836:                           ;   in Loop: Header=BB1862_687 Depth=2
	ds_load_u16 v60, v93 offset:2048
	s_wait_dscnt 0x0
	v_cmp_ne_u16_e64 s17, 0x7fff, v60
	s_delay_alu instid0(VALU_DEP_1) | instskip(SKIP_1) | instid1(VALU_DEP_2)
	v_cndmask_b32_e64 v61, 0xffff8000, v60, s17
	v_cmp_lt_i16_e64 s17, -1, v60
	v_and_b32_e32 v61, 0xffff, v61
	s_delay_alu instid0(VALU_DEP_2) | instskip(NEXT) | instid1(VALU_DEP_1)
	v_cndmask_b32_e64 v140, 0xffff8000, -1, s17
	v_dual_lshrrev_b32 v61, s49, v61 :: v_dual_bitop2_b32 v60, v140, v60 bitop3:0x14
	s_delay_alu instid0(VALU_DEP_1) | instskip(NEXT) | instid1(VALU_DEP_1)
	v_and_b32_e32 v61, s52, v61
	v_lshlrev_b32_e32 v61, 2, v61
	ds_load_b32 v61, v61
	s_wait_dscnt 0x0
	v_add_nc_u32_e32 v61, v61, v69
	global_store_b16 v61, v60, s[38:39] scale_offset
	s_wait_xcnt 0x0
	s_or_b32 exec_lo, exec_lo, s18
	v_cmp_lt_u32_e64 s17, v70, v139
	s_and_saveexec_b32 s19, s17
	s_cbranch_execz .LBB1862_769
.LBB1862_837:                           ;   in Loop: Header=BB1862_687 Depth=2
	ds_load_u16 v60, v93 offset:2560
	s_wait_dscnt 0x0
	v_cmp_ne_u16_e64 s18, 0x7fff, v60
	s_delay_alu instid0(VALU_DEP_1) | instskip(SKIP_1) | instid1(VALU_DEP_2)
	v_cndmask_b32_e64 v61, 0xffff8000, v60, s18
	v_cmp_lt_i16_e64 s18, -1, v60
	v_and_b32_e32 v61, 0xffff, v61
	s_delay_alu instid0(VALU_DEP_2) | instskip(NEXT) | instid1(VALU_DEP_1)
	v_cndmask_b32_e64 v140, 0xffff8000, -1, s18
	v_dual_lshrrev_b32 v61, s49, v61 :: v_dual_bitop2_b32 v60, v140, v60 bitop3:0x14
	s_delay_alu instid0(VALU_DEP_1) | instskip(NEXT) | instid1(VALU_DEP_1)
	v_and_b32_e32 v61, s52, v61
	v_lshlrev_b32_e32 v61, 2, v61
	ds_load_b32 v61, v61
	s_wait_dscnt 0x0
	v_add_nc_u32_e32 v61, v61, v70
	global_store_b16 v61, v60, s[38:39] scale_offset
	s_wait_xcnt 0x0
	s_or_b32 exec_lo, exec_lo, s19
	v_cmp_lt_u32_e64 s18, v71, v139
	s_and_saveexec_b32 s20, s18
	s_cbranch_execz .LBB1862_770
.LBB1862_838:                           ;   in Loop: Header=BB1862_687 Depth=2
	ds_load_u16 v60, v93 offset:3072
	s_wait_dscnt 0x0
	v_cmp_ne_u16_e64 s19, 0x7fff, v60
	s_delay_alu instid0(VALU_DEP_1) | instskip(SKIP_1) | instid1(VALU_DEP_2)
	v_cndmask_b32_e64 v61, 0xffff8000, v60, s19
	v_cmp_lt_i16_e64 s19, -1, v60
	v_and_b32_e32 v61, 0xffff, v61
	s_delay_alu instid0(VALU_DEP_2) | instskip(NEXT) | instid1(VALU_DEP_1)
	v_cndmask_b32_e64 v140, 0xffff8000, -1, s19
	v_dual_lshrrev_b32 v61, s49, v61 :: v_dual_bitop2_b32 v60, v140, v60 bitop3:0x14
	s_delay_alu instid0(VALU_DEP_1) | instskip(NEXT) | instid1(VALU_DEP_1)
	v_and_b32_e32 v61, s52, v61
	v_lshlrev_b32_e32 v61, 2, v61
	ds_load_b32 v61, v61
	s_wait_dscnt 0x0
	v_add_nc_u32_e32 v61, v61, v71
	global_store_b16 v61, v60, s[38:39] scale_offset
	s_wait_xcnt 0x0
	s_or_b32 exec_lo, exec_lo, s20
	v_cmp_lt_u32_e64 s19, v72, v139
	s_and_saveexec_b32 s21, s19
	s_cbranch_execz .LBB1862_771
.LBB1862_839:                           ;   in Loop: Header=BB1862_687 Depth=2
	ds_load_u16 v60, v93 offset:3584
	s_wait_dscnt 0x0
	v_cmp_ne_u16_e64 s20, 0x7fff, v60
	s_delay_alu instid0(VALU_DEP_1) | instskip(SKIP_1) | instid1(VALU_DEP_2)
	v_cndmask_b32_e64 v61, 0xffff8000, v60, s20
	v_cmp_lt_i16_e64 s20, -1, v60
	v_and_b32_e32 v61, 0xffff, v61
	s_delay_alu instid0(VALU_DEP_2) | instskip(NEXT) | instid1(VALU_DEP_1)
	v_cndmask_b32_e64 v140, 0xffff8000, -1, s20
	v_dual_lshrrev_b32 v61, s49, v61 :: v_dual_bitop2_b32 v60, v140, v60 bitop3:0x14
	s_delay_alu instid0(VALU_DEP_1) | instskip(NEXT) | instid1(VALU_DEP_1)
	v_and_b32_e32 v61, s52, v61
	v_lshlrev_b32_e32 v61, 2, v61
	ds_load_b32 v61, v61
	s_wait_dscnt 0x0
	v_add_nc_u32_e32 v61, v61, v72
	global_store_b16 v61, v60, s[38:39] scale_offset
	s_wait_xcnt 0x0
	s_or_b32 exec_lo, exec_lo, s21
	v_cmp_lt_u32_e64 s20, v73, v139
	s_and_saveexec_b32 s22, s20
	s_cbranch_execz .LBB1862_772
.LBB1862_840:                           ;   in Loop: Header=BB1862_687 Depth=2
	ds_load_u16 v60, v93 offset:4096
	s_wait_dscnt 0x0
	v_cmp_ne_u16_e64 s21, 0x7fff, v60
	s_delay_alu instid0(VALU_DEP_1) | instskip(SKIP_1) | instid1(VALU_DEP_2)
	v_cndmask_b32_e64 v61, 0xffff8000, v60, s21
	v_cmp_lt_i16_e64 s21, -1, v60
	v_and_b32_e32 v61, 0xffff, v61
	s_delay_alu instid0(VALU_DEP_2) | instskip(NEXT) | instid1(VALU_DEP_1)
	v_cndmask_b32_e64 v140, 0xffff8000, -1, s21
	v_dual_lshrrev_b32 v61, s49, v61 :: v_dual_bitop2_b32 v60, v140, v60 bitop3:0x14
	s_delay_alu instid0(VALU_DEP_1) | instskip(NEXT) | instid1(VALU_DEP_1)
	v_and_b32_e32 v61, s52, v61
	v_lshlrev_b32_e32 v61, 2, v61
	ds_load_b32 v61, v61
	s_wait_dscnt 0x0
	v_add_nc_u32_e32 v61, v61, v73
	global_store_b16 v61, v60, s[38:39] scale_offset
	s_wait_xcnt 0x0
	s_or_b32 exec_lo, exec_lo, s22
	v_cmp_lt_u32_e64 s21, v74, v139
	s_and_saveexec_b32 s23, s21
	s_cbranch_execz .LBB1862_773
.LBB1862_841:                           ;   in Loop: Header=BB1862_687 Depth=2
	ds_load_u16 v60, v93 offset:4608
	s_wait_dscnt 0x0
	v_cmp_ne_u16_e64 s22, 0x7fff, v60
	s_delay_alu instid0(VALU_DEP_1) | instskip(SKIP_1) | instid1(VALU_DEP_2)
	v_cndmask_b32_e64 v61, 0xffff8000, v60, s22
	v_cmp_lt_i16_e64 s22, -1, v60
	v_and_b32_e32 v61, 0xffff, v61
	s_delay_alu instid0(VALU_DEP_2) | instskip(NEXT) | instid1(VALU_DEP_1)
	v_cndmask_b32_e64 v140, 0xffff8000, -1, s22
	v_dual_lshrrev_b32 v61, s49, v61 :: v_dual_bitop2_b32 v60, v140, v60 bitop3:0x14
	s_delay_alu instid0(VALU_DEP_1) | instskip(NEXT) | instid1(VALU_DEP_1)
	v_and_b32_e32 v61, s52, v61
	v_lshlrev_b32_e32 v61, 2, v61
	ds_load_b32 v61, v61
	s_wait_dscnt 0x0
	v_add_nc_u32_e32 v61, v61, v74
	global_store_b16 v61, v60, s[38:39] scale_offset
	s_wait_xcnt 0x0
	s_or_b32 exec_lo, exec_lo, s23
	v_cmp_lt_u32_e64 s22, v75, v139
	s_and_saveexec_b32 s24, s22
	s_cbranch_execz .LBB1862_774
.LBB1862_842:                           ;   in Loop: Header=BB1862_687 Depth=2
	ds_load_u16 v60, v93 offset:5120
	s_wait_dscnt 0x0
	v_cmp_ne_u16_e64 s23, 0x7fff, v60
	s_delay_alu instid0(VALU_DEP_1) | instskip(SKIP_1) | instid1(VALU_DEP_2)
	v_cndmask_b32_e64 v61, 0xffff8000, v60, s23
	v_cmp_lt_i16_e64 s23, -1, v60
	v_and_b32_e32 v61, 0xffff, v61
	s_delay_alu instid0(VALU_DEP_2) | instskip(NEXT) | instid1(VALU_DEP_1)
	v_cndmask_b32_e64 v140, 0xffff8000, -1, s23
	v_dual_lshrrev_b32 v61, s49, v61 :: v_dual_bitop2_b32 v60, v140, v60 bitop3:0x14
	s_delay_alu instid0(VALU_DEP_1) | instskip(NEXT) | instid1(VALU_DEP_1)
	v_and_b32_e32 v61, s52, v61
	v_lshlrev_b32_e32 v61, 2, v61
	ds_load_b32 v61, v61
	s_wait_dscnt 0x0
	v_add_nc_u32_e32 v61, v61, v75
	global_store_b16 v61, v60, s[38:39] scale_offset
	s_wait_xcnt 0x0
	s_or_b32 exec_lo, exec_lo, s24
	v_cmp_lt_u32_e64 s23, v76, v139
	s_and_saveexec_b32 s25, s23
	s_cbranch_execz .LBB1862_775
.LBB1862_843:                           ;   in Loop: Header=BB1862_687 Depth=2
	ds_load_u16 v60, v93 offset:5632
	s_wait_dscnt 0x0
	v_cmp_ne_u16_e64 s24, 0x7fff, v60
	s_delay_alu instid0(VALU_DEP_1) | instskip(SKIP_1) | instid1(VALU_DEP_2)
	v_cndmask_b32_e64 v61, 0xffff8000, v60, s24
	v_cmp_lt_i16_e64 s24, -1, v60
	v_and_b32_e32 v61, 0xffff, v61
	s_delay_alu instid0(VALU_DEP_2) | instskip(NEXT) | instid1(VALU_DEP_1)
	v_cndmask_b32_e64 v140, 0xffff8000, -1, s24
	v_dual_lshrrev_b32 v61, s49, v61 :: v_dual_bitop2_b32 v60, v140, v60 bitop3:0x14
	s_delay_alu instid0(VALU_DEP_1) | instskip(NEXT) | instid1(VALU_DEP_1)
	v_and_b32_e32 v61, s52, v61
	v_lshlrev_b32_e32 v61, 2, v61
	ds_load_b32 v61, v61
	s_wait_dscnt 0x0
	v_add_nc_u32_e32 v61, v61, v76
	global_store_b16 v61, v60, s[38:39] scale_offset
	s_wait_xcnt 0x0
	s_or_b32 exec_lo, exec_lo, s25
	v_cmp_lt_u32_e64 s24, v77, v139
	s_and_saveexec_b32 s26, s24
	s_cbranch_execz .LBB1862_776
.LBB1862_844:                           ;   in Loop: Header=BB1862_687 Depth=2
	ds_load_u16 v60, v93 offset:6144
	s_wait_dscnt 0x0
	v_cmp_ne_u16_e64 s25, 0x7fff, v60
	s_delay_alu instid0(VALU_DEP_1) | instskip(SKIP_1) | instid1(VALU_DEP_2)
	v_cndmask_b32_e64 v61, 0xffff8000, v60, s25
	v_cmp_lt_i16_e64 s25, -1, v60
	v_and_b32_e32 v61, 0xffff, v61
	s_delay_alu instid0(VALU_DEP_2) | instskip(NEXT) | instid1(VALU_DEP_1)
	v_cndmask_b32_e64 v140, 0xffff8000, -1, s25
	v_dual_lshrrev_b32 v61, s49, v61 :: v_dual_bitop2_b32 v60, v140, v60 bitop3:0x14
	s_delay_alu instid0(VALU_DEP_1) | instskip(NEXT) | instid1(VALU_DEP_1)
	v_and_b32_e32 v61, s52, v61
	v_lshlrev_b32_e32 v61, 2, v61
	ds_load_b32 v61, v61
	s_wait_dscnt 0x0
	v_add_nc_u32_e32 v61, v61, v77
	global_store_b16 v61, v60, s[38:39] scale_offset
	s_wait_xcnt 0x0
	s_or_b32 exec_lo, exec_lo, s26
	v_cmp_lt_u32_e64 s25, v78, v139
	s_and_saveexec_b32 s27, s25
	s_cbranch_execz .LBB1862_777
.LBB1862_845:                           ;   in Loop: Header=BB1862_687 Depth=2
	ds_load_u16 v60, v93 offset:6656
	s_wait_dscnt 0x0
	v_cmp_ne_u16_e64 s26, 0x7fff, v60
	s_delay_alu instid0(VALU_DEP_1) | instskip(SKIP_1) | instid1(VALU_DEP_2)
	v_cndmask_b32_e64 v61, 0xffff8000, v60, s26
	v_cmp_lt_i16_e64 s26, -1, v60
	v_and_b32_e32 v61, 0xffff, v61
	s_delay_alu instid0(VALU_DEP_2) | instskip(NEXT) | instid1(VALU_DEP_1)
	v_cndmask_b32_e64 v140, 0xffff8000, -1, s26
	v_dual_lshrrev_b32 v61, s49, v61 :: v_dual_bitop2_b32 v60, v140, v60 bitop3:0x14
	s_delay_alu instid0(VALU_DEP_1) | instskip(NEXT) | instid1(VALU_DEP_1)
	v_and_b32_e32 v61, s52, v61
	v_lshlrev_b32_e32 v61, 2, v61
	ds_load_b32 v61, v61
	s_wait_dscnt 0x0
	v_add_nc_u32_e32 v61, v61, v78
	global_store_b16 v61, v60, s[38:39] scale_offset
	s_wait_xcnt 0x0
	s_or_b32 exec_lo, exec_lo, s27
	v_cmp_lt_u32_e64 s26, v79, v139
	s_and_saveexec_b32 s28, s26
	s_cbranch_execz .LBB1862_778
.LBB1862_846:                           ;   in Loop: Header=BB1862_687 Depth=2
	ds_load_u16 v60, v93 offset:7168
	s_wait_dscnt 0x0
	v_cmp_ne_u16_e64 s27, 0x7fff, v60
	s_delay_alu instid0(VALU_DEP_1) | instskip(SKIP_1) | instid1(VALU_DEP_2)
	v_cndmask_b32_e64 v61, 0xffff8000, v60, s27
	v_cmp_lt_i16_e64 s27, -1, v60
	v_and_b32_e32 v61, 0xffff, v61
	s_delay_alu instid0(VALU_DEP_2) | instskip(NEXT) | instid1(VALU_DEP_1)
	v_cndmask_b32_e64 v140, 0xffff8000, -1, s27
	v_dual_lshrrev_b32 v61, s49, v61 :: v_dual_bitop2_b32 v60, v140, v60 bitop3:0x14
	s_delay_alu instid0(VALU_DEP_1) | instskip(NEXT) | instid1(VALU_DEP_1)
	v_and_b32_e32 v61, s52, v61
	v_lshlrev_b32_e32 v61, 2, v61
	ds_load_b32 v61, v61
	s_wait_dscnt 0x0
	v_add_nc_u32_e32 v61, v61, v79
	global_store_b16 v61, v60, s[38:39] scale_offset
	s_wait_xcnt 0x0
	s_or_b32 exec_lo, exec_lo, s28
	v_cmp_lt_u32_e64 s27, v80, v139
	s_and_saveexec_b32 s29, s27
	s_cbranch_execz .LBB1862_779
.LBB1862_847:                           ;   in Loop: Header=BB1862_687 Depth=2
	ds_load_u16 v60, v93 offset:7680
	s_wait_dscnt 0x0
	v_cmp_ne_u16_e64 s28, 0x7fff, v60
	s_delay_alu instid0(VALU_DEP_1) | instskip(SKIP_1) | instid1(VALU_DEP_2)
	v_cndmask_b32_e64 v61, 0xffff8000, v60, s28
	v_cmp_lt_i16_e64 s28, -1, v60
	v_and_b32_e32 v61, 0xffff, v61
	s_delay_alu instid0(VALU_DEP_2) | instskip(NEXT) | instid1(VALU_DEP_1)
	v_cndmask_b32_e64 v140, 0xffff8000, -1, s28
	v_dual_lshrrev_b32 v61, s49, v61 :: v_dual_bitop2_b32 v60, v140, v60 bitop3:0x14
	s_delay_alu instid0(VALU_DEP_1) | instskip(NEXT) | instid1(VALU_DEP_1)
	v_and_b32_e32 v61, s52, v61
	v_lshlrev_b32_e32 v61, 2, v61
	ds_load_b32 v61, v61
	s_wait_dscnt 0x0
	v_add_nc_u32_e32 v61, v61, v80
	global_store_b16 v61, v60, s[38:39] scale_offset
	s_wait_xcnt 0x0
	s_or_b32 exec_lo, exec_lo, s29
	v_cmp_lt_u32_e64 s28, v81, v139
	s_and_saveexec_b32 s30, s28
	s_cbranch_execz .LBB1862_780
.LBB1862_848:                           ;   in Loop: Header=BB1862_687 Depth=2
	ds_load_u16 v60, v93 offset:8192
	s_wait_dscnt 0x0
	v_cmp_ne_u16_e64 s29, 0x7fff, v60
	s_delay_alu instid0(VALU_DEP_1) | instskip(SKIP_1) | instid1(VALU_DEP_2)
	v_cndmask_b32_e64 v61, 0xffff8000, v60, s29
	v_cmp_lt_i16_e64 s29, -1, v60
	v_and_b32_e32 v61, 0xffff, v61
	s_delay_alu instid0(VALU_DEP_2) | instskip(NEXT) | instid1(VALU_DEP_1)
	v_cndmask_b32_e64 v140, 0xffff8000, -1, s29
	v_dual_lshrrev_b32 v61, s49, v61 :: v_dual_bitop2_b32 v60, v140, v60 bitop3:0x14
	s_delay_alu instid0(VALU_DEP_1) | instskip(NEXT) | instid1(VALU_DEP_1)
	v_and_b32_e32 v61, s52, v61
	v_lshlrev_b32_e32 v61, 2, v61
	ds_load_b32 v61, v61
	s_wait_dscnt 0x0
	v_add_nc_u32_e32 v61, v61, v81
	global_store_b16 v61, v60, s[38:39] scale_offset
	s_wait_xcnt 0x0
	s_or_b32 exec_lo, exec_lo, s30
	v_cmp_lt_u32_e64 s29, v82, v139
	s_and_saveexec_b32 s58, s29
	s_cbranch_execnz .LBB1862_781
	s_branch .LBB1862_782
.LBB1862_849:                           ;   in Loop: Header=BB1862_687 Depth=2
	global_load_b64 v[58:59], v[60:61], off
	s_wait_xcnt 0x0
	s_or_b32 exec_lo, exec_lo, s30
	s_delay_alu instid0(SALU_CYCLE_1)
	s_mov_b32 s42, exec_lo
	v_cmpx_lt_u32_e64 v103, v139
	s_cbranch_execz .LBB1862_784
.LBB1862_850:                           ;   in Loop: Header=BB1862_687 Depth=2
	global_load_b64 v[56:57], v[60:61], off offset:256
	s_wait_xcnt 0x0
	s_or_b32 exec_lo, exec_lo, s42
	s_delay_alu instid0(SALU_CYCLE_1)
	s_mov_b32 s42, exec_lo
	v_cmpx_lt_u32_e64 v104, v139
	s_cbranch_execz .LBB1862_785
.LBB1862_851:                           ;   in Loop: Header=BB1862_687 Depth=2
	global_load_b64 v[54:55], v[60:61], off offset:512
	s_wait_xcnt 0x0
	s_or_b32 exec_lo, exec_lo, s42
	s_delay_alu instid0(SALU_CYCLE_1)
	s_mov_b32 s42, exec_lo
	v_cmpx_lt_u32_e64 v105, v139
	s_cbranch_execz .LBB1862_786
.LBB1862_852:                           ;   in Loop: Header=BB1862_687 Depth=2
	global_load_b64 v[52:53], v[60:61], off offset:768
	s_wait_xcnt 0x0
	s_or_b32 exec_lo, exec_lo, s42
	s_delay_alu instid0(SALU_CYCLE_1)
	s_mov_b32 s42, exec_lo
	v_cmpx_lt_u32_e64 v106, v139
	s_cbranch_execz .LBB1862_787
.LBB1862_853:                           ;   in Loop: Header=BB1862_687 Depth=2
	global_load_b64 v[50:51], v[60:61], off offset:1024
	s_wait_xcnt 0x0
	s_or_b32 exec_lo, exec_lo, s42
	s_delay_alu instid0(SALU_CYCLE_1)
	s_mov_b32 s42, exec_lo
	v_cmpx_lt_u32_e64 v107, v139
	s_cbranch_execz .LBB1862_788
.LBB1862_854:                           ;   in Loop: Header=BB1862_687 Depth=2
	global_load_b64 v[48:49], v[60:61], off offset:1280
	s_wait_xcnt 0x0
	s_or_b32 exec_lo, exec_lo, s42
	s_delay_alu instid0(SALU_CYCLE_1)
	s_mov_b32 s42, exec_lo
	v_cmpx_lt_u32_e64 v108, v139
	s_cbranch_execz .LBB1862_789
.LBB1862_855:                           ;   in Loop: Header=BB1862_687 Depth=2
	global_load_b64 v[46:47], v[60:61], off offset:1536
	s_wait_xcnt 0x0
	s_or_b32 exec_lo, exec_lo, s42
	s_delay_alu instid0(SALU_CYCLE_1)
	s_mov_b32 s42, exec_lo
	v_cmpx_lt_u32_e64 v109, v139
	s_cbranch_execz .LBB1862_790
.LBB1862_856:                           ;   in Loop: Header=BB1862_687 Depth=2
	global_load_b64 v[44:45], v[60:61], off offset:1792
	s_wait_xcnt 0x0
	s_or_b32 exec_lo, exec_lo, s42
	s_delay_alu instid0(SALU_CYCLE_1)
	s_mov_b32 s42, exec_lo
	v_cmpx_lt_u32_e64 v110, v139
	s_cbranch_execz .LBB1862_791
.LBB1862_857:                           ;   in Loop: Header=BB1862_687 Depth=2
	global_load_b64 v[42:43], v[60:61], off offset:2048
	s_wait_xcnt 0x0
	s_or_b32 exec_lo, exec_lo, s42
	s_delay_alu instid0(SALU_CYCLE_1)
	s_mov_b32 s42, exec_lo
	v_cmpx_lt_u32_e64 v111, v139
	s_cbranch_execz .LBB1862_792
.LBB1862_858:                           ;   in Loop: Header=BB1862_687 Depth=2
	global_load_b64 v[40:41], v[60:61], off offset:2304
	s_wait_xcnt 0x0
	s_or_b32 exec_lo, exec_lo, s42
	s_delay_alu instid0(SALU_CYCLE_1)
	s_mov_b32 s42, exec_lo
	v_cmpx_lt_u32_e64 v112, v139
	s_cbranch_execz .LBB1862_793
.LBB1862_859:                           ;   in Loop: Header=BB1862_687 Depth=2
	global_load_b64 v[38:39], v[60:61], off offset:2560
	s_wait_xcnt 0x0
	s_or_b32 exec_lo, exec_lo, s42
	s_delay_alu instid0(SALU_CYCLE_1)
	s_mov_b32 s42, exec_lo
	v_cmpx_lt_u32_e64 v113, v139
	s_cbranch_execz .LBB1862_794
.LBB1862_860:                           ;   in Loop: Header=BB1862_687 Depth=2
	global_load_b64 v[36:37], v[60:61], off offset:2816
	s_wait_xcnt 0x0
	s_or_b32 exec_lo, exec_lo, s42
	s_delay_alu instid0(SALU_CYCLE_1)
	s_mov_b32 s42, exec_lo
	v_cmpx_lt_u32_e64 v114, v139
	s_cbranch_execz .LBB1862_795
.LBB1862_861:                           ;   in Loop: Header=BB1862_687 Depth=2
	global_load_b64 v[34:35], v[60:61], off offset:3072
	s_wait_xcnt 0x0
	s_or_b32 exec_lo, exec_lo, s42
	s_delay_alu instid0(SALU_CYCLE_1)
	s_mov_b32 s42, exec_lo
	v_cmpx_lt_u32_e64 v115, v139
	s_cbranch_execz .LBB1862_796
.LBB1862_862:                           ;   in Loop: Header=BB1862_687 Depth=2
	global_load_b64 v[32:33], v[60:61], off offset:3328
	s_wait_xcnt 0x0
	s_or_b32 exec_lo, exec_lo, s42
	s_delay_alu instid0(SALU_CYCLE_1)
	s_mov_b32 s42, exec_lo
	v_cmpx_lt_u32_e64 v116, v139
	s_cbranch_execz .LBB1862_797
.LBB1862_863:                           ;   in Loop: Header=BB1862_687 Depth=2
	global_load_b64 v[30:31], v[60:61], off offset:3584
	s_wait_xcnt 0x0
	s_or_b32 exec_lo, exec_lo, s42
	s_delay_alu instid0(SALU_CYCLE_1)
	s_mov_b32 s42, exec_lo
	v_cmpx_lt_u32_e64 v117, v139
	s_cbranch_execz .LBB1862_798
.LBB1862_864:                           ;   in Loop: Header=BB1862_687 Depth=2
	global_load_b64 v[28:29], v[60:61], off offset:3840
	s_wait_xcnt 0x0
	s_or_b32 exec_lo, exec_lo, s42
	s_and_saveexec_b32 s42, vcc_lo
	s_cbranch_execz .LBB1862_799
.LBB1862_865:                           ;   in Loop: Header=BB1862_687 Depth=2
	ds_load_u16 v60, v93 offset:1024
	s_wait_dscnt 0x0
	v_cmp_ne_u16_e64 s30, 0x7fff, v60
	s_delay_alu instid0(VALU_DEP_1) | instskip(NEXT) | instid1(VALU_DEP_1)
	v_cndmask_b32_e64 v60, 0xffff8000, v60, s30
	v_and_b32_e32 v60, 0xffff, v60
	s_delay_alu instid0(VALU_DEP_1) | instskip(NEXT) | instid1(VALU_DEP_1)
	v_lshrrev_b32_e32 v60, s49, v60
	v_and_b32_e32 v138, s52, v60
	s_or_b32 exec_lo, exec_lo, s42
	s_and_saveexec_b32 s42, s15
	s_cbranch_execz .LBB1862_800
.LBB1862_866:                           ;   in Loop: Header=BB1862_687 Depth=2
	ds_load_u16 v60, v93 offset:1536
	s_wait_dscnt 0x0
	v_cmp_ne_u16_e64 s30, 0x7fff, v60
	s_delay_alu instid0(VALU_DEP_1) | instskip(NEXT) | instid1(VALU_DEP_1)
	v_cndmask_b32_e64 v60, 0xffff8000, v60, s30
	v_and_b32_e32 v60, 0xffff, v60
	s_delay_alu instid0(VALU_DEP_1) | instskip(NEXT) | instid1(VALU_DEP_1)
	v_lshrrev_b32_e32 v60, s49, v60
	v_and_b32_e32 v137, s52, v60
	s_or_b32 exec_lo, exec_lo, s42
	s_and_saveexec_b32 s42, s16
	s_cbranch_execz .LBB1862_801
.LBB1862_867:                           ;   in Loop: Header=BB1862_687 Depth=2
	ds_load_u16 v60, v93 offset:2048
	s_wait_dscnt 0x0
	v_cmp_ne_u16_e64 s30, 0x7fff, v60
	s_delay_alu instid0(VALU_DEP_1) | instskip(NEXT) | instid1(VALU_DEP_1)
	v_cndmask_b32_e64 v60, 0xffff8000, v60, s30
	v_and_b32_e32 v60, 0xffff, v60
	s_delay_alu instid0(VALU_DEP_1) | instskip(NEXT) | instid1(VALU_DEP_1)
	v_lshrrev_b32_e32 v60, s49, v60
	v_and_b32_e32 v136, s52, v60
	s_or_b32 exec_lo, exec_lo, s42
	s_and_saveexec_b32 s42, s17
	s_cbranch_execz .LBB1862_802
.LBB1862_868:                           ;   in Loop: Header=BB1862_687 Depth=2
	ds_load_u16 v60, v93 offset:2560
	s_wait_dscnt 0x0
	v_cmp_ne_u16_e64 s30, 0x7fff, v60
	s_delay_alu instid0(VALU_DEP_1) | instskip(NEXT) | instid1(VALU_DEP_1)
	v_cndmask_b32_e64 v60, 0xffff8000, v60, s30
	v_and_b32_e32 v60, 0xffff, v60
	s_delay_alu instid0(VALU_DEP_1) | instskip(NEXT) | instid1(VALU_DEP_1)
	v_lshrrev_b32_e32 v60, s49, v60
	v_and_b32_e32 v135, s52, v60
	s_or_b32 exec_lo, exec_lo, s42
	s_and_saveexec_b32 s42, s18
	s_cbranch_execz .LBB1862_803
.LBB1862_869:                           ;   in Loop: Header=BB1862_687 Depth=2
	ds_load_u16 v60, v93 offset:3072
	s_wait_dscnt 0x0
	v_cmp_ne_u16_e64 s30, 0x7fff, v60
	s_delay_alu instid0(VALU_DEP_1) | instskip(NEXT) | instid1(VALU_DEP_1)
	v_cndmask_b32_e64 v60, 0xffff8000, v60, s30
	v_and_b32_e32 v60, 0xffff, v60
	s_delay_alu instid0(VALU_DEP_1) | instskip(NEXT) | instid1(VALU_DEP_1)
	v_lshrrev_b32_e32 v60, s49, v60
	v_and_b32_e32 v134, s52, v60
	s_or_b32 exec_lo, exec_lo, s42
	s_and_saveexec_b32 s42, s19
	s_cbranch_execz .LBB1862_804
.LBB1862_870:                           ;   in Loop: Header=BB1862_687 Depth=2
	ds_load_u16 v60, v93 offset:3584
	s_wait_dscnt 0x0
	v_cmp_ne_u16_e64 s30, 0x7fff, v60
	s_delay_alu instid0(VALU_DEP_1) | instskip(NEXT) | instid1(VALU_DEP_1)
	v_cndmask_b32_e64 v60, 0xffff8000, v60, s30
	v_and_b32_e32 v60, 0xffff, v60
	s_delay_alu instid0(VALU_DEP_1) | instskip(NEXT) | instid1(VALU_DEP_1)
	v_lshrrev_b32_e32 v60, s49, v60
	v_and_b32_e32 v133, s52, v60
	s_or_b32 exec_lo, exec_lo, s42
	s_and_saveexec_b32 s42, s20
	s_cbranch_execz .LBB1862_805
.LBB1862_871:                           ;   in Loop: Header=BB1862_687 Depth=2
	ds_load_u16 v60, v93 offset:4096
	s_wait_dscnt 0x0
	v_cmp_ne_u16_e64 s30, 0x7fff, v60
	s_delay_alu instid0(VALU_DEP_1) | instskip(NEXT) | instid1(VALU_DEP_1)
	v_cndmask_b32_e64 v60, 0xffff8000, v60, s30
	v_and_b32_e32 v60, 0xffff, v60
	s_delay_alu instid0(VALU_DEP_1) | instskip(NEXT) | instid1(VALU_DEP_1)
	v_lshrrev_b32_e32 v60, s49, v60
	v_and_b32_e32 v132, s52, v60
	s_or_b32 exec_lo, exec_lo, s42
	s_and_saveexec_b32 s42, s21
	s_cbranch_execz .LBB1862_806
.LBB1862_872:                           ;   in Loop: Header=BB1862_687 Depth=2
	ds_load_u16 v60, v93 offset:4608
	s_wait_dscnt 0x0
	v_cmp_ne_u16_e64 s30, 0x7fff, v60
	s_delay_alu instid0(VALU_DEP_1) | instskip(NEXT) | instid1(VALU_DEP_1)
	v_cndmask_b32_e64 v60, 0xffff8000, v60, s30
	v_and_b32_e32 v60, 0xffff, v60
	s_delay_alu instid0(VALU_DEP_1) | instskip(NEXT) | instid1(VALU_DEP_1)
	v_lshrrev_b32_e32 v60, s49, v60
	v_and_b32_e32 v131, s52, v60
	s_or_b32 exec_lo, exec_lo, s42
	s_and_saveexec_b32 s42, s22
	s_cbranch_execz .LBB1862_807
.LBB1862_873:                           ;   in Loop: Header=BB1862_687 Depth=2
	ds_load_u16 v60, v93 offset:5120
	s_wait_dscnt 0x0
	v_cmp_ne_u16_e64 s30, 0x7fff, v60
	s_delay_alu instid0(VALU_DEP_1) | instskip(NEXT) | instid1(VALU_DEP_1)
	v_cndmask_b32_e64 v60, 0xffff8000, v60, s30
	v_and_b32_e32 v60, 0xffff, v60
	s_delay_alu instid0(VALU_DEP_1) | instskip(NEXT) | instid1(VALU_DEP_1)
	v_lshrrev_b32_e32 v60, s49, v60
	v_and_b32_e32 v130, s52, v60
	s_or_b32 exec_lo, exec_lo, s42
	s_and_saveexec_b32 s42, s23
	s_cbranch_execz .LBB1862_808
.LBB1862_874:                           ;   in Loop: Header=BB1862_687 Depth=2
	ds_load_u16 v60, v93 offset:5632
	s_wait_dscnt 0x0
	v_cmp_ne_u16_e64 s30, 0x7fff, v60
	s_delay_alu instid0(VALU_DEP_1) | instskip(NEXT) | instid1(VALU_DEP_1)
	v_cndmask_b32_e64 v60, 0xffff8000, v60, s30
	v_and_b32_e32 v60, 0xffff, v60
	s_delay_alu instid0(VALU_DEP_1) | instskip(NEXT) | instid1(VALU_DEP_1)
	v_lshrrev_b32_e32 v60, s49, v60
	v_and_b32_e32 v129, s52, v60
	s_or_b32 exec_lo, exec_lo, s42
	s_and_saveexec_b32 s42, s24
	s_cbranch_execz .LBB1862_809
.LBB1862_875:                           ;   in Loop: Header=BB1862_687 Depth=2
	ds_load_u16 v60, v93 offset:6144
	s_wait_dscnt 0x0
	v_cmp_ne_u16_e64 s30, 0x7fff, v60
	s_delay_alu instid0(VALU_DEP_1) | instskip(NEXT) | instid1(VALU_DEP_1)
	v_cndmask_b32_e64 v60, 0xffff8000, v60, s30
	v_and_b32_e32 v60, 0xffff, v60
	s_delay_alu instid0(VALU_DEP_1) | instskip(NEXT) | instid1(VALU_DEP_1)
	v_lshrrev_b32_e32 v60, s49, v60
	v_and_b32_e32 v128, s52, v60
	s_or_b32 exec_lo, exec_lo, s42
	s_and_saveexec_b32 s42, s25
	s_cbranch_execz .LBB1862_810
.LBB1862_876:                           ;   in Loop: Header=BB1862_687 Depth=2
	ds_load_u16 v60, v93 offset:6656
	s_wait_dscnt 0x0
	v_cmp_ne_u16_e64 s30, 0x7fff, v60
	s_delay_alu instid0(VALU_DEP_1) | instskip(NEXT) | instid1(VALU_DEP_1)
	v_cndmask_b32_e64 v60, 0xffff8000, v60, s30
	v_and_b32_e32 v60, 0xffff, v60
	s_delay_alu instid0(VALU_DEP_1) | instskip(NEXT) | instid1(VALU_DEP_1)
	v_lshrrev_b32_e32 v60, s49, v60
	v_and_b32_e32 v127, s52, v60
	s_or_b32 exec_lo, exec_lo, s42
	s_and_saveexec_b32 s42, s26
	s_cbranch_execz .LBB1862_811
.LBB1862_877:                           ;   in Loop: Header=BB1862_687 Depth=2
	ds_load_u16 v60, v93 offset:7168
	s_wait_dscnt 0x0
	v_cmp_ne_u16_e64 s30, 0x7fff, v60
	s_delay_alu instid0(VALU_DEP_1) | instskip(NEXT) | instid1(VALU_DEP_1)
	v_cndmask_b32_e64 v60, 0xffff8000, v60, s30
	v_and_b32_e32 v60, 0xffff, v60
	s_delay_alu instid0(VALU_DEP_1) | instskip(NEXT) | instid1(VALU_DEP_1)
	v_lshrrev_b32_e32 v60, s49, v60
	v_and_b32_e32 v126, s52, v60
	s_or_b32 exec_lo, exec_lo, s42
	s_and_saveexec_b32 s42, s27
	s_cbranch_execz .LBB1862_812
.LBB1862_878:                           ;   in Loop: Header=BB1862_687 Depth=2
	ds_load_u16 v60, v93 offset:7680
	s_wait_dscnt 0x0
	v_cmp_ne_u16_e64 s30, 0x7fff, v60
	s_delay_alu instid0(VALU_DEP_1) | instskip(NEXT) | instid1(VALU_DEP_1)
	v_cndmask_b32_e64 v60, 0xffff8000, v60, s30
	v_and_b32_e32 v60, 0xffff, v60
	s_delay_alu instid0(VALU_DEP_1) | instskip(NEXT) | instid1(VALU_DEP_1)
	v_lshrrev_b32_e32 v60, s49, v60
	v_and_b32_e32 v125, s52, v60
	s_or_b32 exec_lo, exec_lo, s42
	s_and_saveexec_b32 s42, s28
	s_cbranch_execz .LBB1862_813
.LBB1862_879:                           ;   in Loop: Header=BB1862_687 Depth=2
	ds_load_u16 v60, v93 offset:8192
	s_wait_dscnt 0x0
	v_cmp_ne_u16_e64 s30, 0x7fff, v60
	s_delay_alu instid0(VALU_DEP_1) | instskip(NEXT) | instid1(VALU_DEP_1)
	v_cndmask_b32_e64 v60, 0xffff8000, v60, s30
	v_and_b32_e32 v60, 0xffff, v60
	s_delay_alu instid0(VALU_DEP_1) | instskip(NEXT) | instid1(VALU_DEP_1)
	v_lshrrev_b32_e32 v60, s49, v60
	v_and_b32_e32 v124, s52, v60
	s_or_b32 exec_lo, exec_lo, s42
	s_and_saveexec_b32 s42, s29
	s_cbranch_execnz .LBB1862_814
	s_branch .LBB1862_815
.LBB1862_880:                           ;   in Loop: Header=BB1862_687 Depth=2
	v_lshlrev_b32_e32 v60, 2, v138
	v_add_nc_u32_e32 v61, v93, v94
	ds_load_b32 v63, v60
	ds_load_b64 v[60:61], v61 offset:1024
	s_wait_dscnt 0x1
	v_add_nc_u32_e32 v63, v63, v2
	s_wait_dscnt 0x0
	global_store_b64 v63, v[60:61], s[44:45] scale_offset
	s_wait_xcnt 0x0
	s_or_b32 exec_lo, exec_lo, s30
	s_and_saveexec_b32 s30, s15
	s_cbranch_execz .LBB1862_817
.LBB1862_881:                           ;   in Loop: Header=BB1862_687 Depth=2
	v_dual_lshlrev_b32 v60, 2, v137 :: v_dual_add_nc_u32 v61, v93, v94
	ds_load_b32 v63, v60
	ds_load_b64 v[60:61], v61 offset:3072
	s_wait_dscnt 0x1
	v_add_nc_u32_e32 v63, v63, v68
	s_wait_dscnt 0x0
	global_store_b64 v63, v[60:61], s[44:45] scale_offset
	s_wait_xcnt 0x0
	s_or_b32 exec_lo, exec_lo, s30
	s_and_saveexec_b32 s15, s16
	s_cbranch_execz .LBB1862_818
.LBB1862_882:                           ;   in Loop: Header=BB1862_687 Depth=2
	v_dual_lshlrev_b32 v60, 2, v136 :: v_dual_add_nc_u32 v61, v93, v94
	ds_load_b32 v63, v60
	ds_load_b64 v[60:61], v61 offset:5120
	s_wait_dscnt 0x1
	v_add_nc_u32_e32 v63, v63, v69
	s_wait_dscnt 0x0
	global_store_b64 v63, v[60:61], s[44:45] scale_offset
	s_wait_xcnt 0x0
	s_or_b32 exec_lo, exec_lo, s15
	s_and_saveexec_b32 s15, s17
	s_cbranch_execz .LBB1862_819
.LBB1862_883:                           ;   in Loop: Header=BB1862_687 Depth=2
	v_dual_lshlrev_b32 v60, 2, v135 :: v_dual_add_nc_u32 v61, v93, v94
	ds_load_b32 v63, v60
	ds_load_b64 v[60:61], v61 offset:7168
	s_wait_dscnt 0x1
	v_add_nc_u32_e32 v63, v63, v70
	s_wait_dscnt 0x0
	global_store_b64 v63, v[60:61], s[44:45] scale_offset
	s_wait_xcnt 0x0
	s_or_b32 exec_lo, exec_lo, s15
	s_and_saveexec_b32 s15, s18
	s_cbranch_execz .LBB1862_820
.LBB1862_884:                           ;   in Loop: Header=BB1862_687 Depth=2
	v_lshlrev_b32_e32 v60, 2, v134
	v_add_nc_u32_e32 v61, v93, v94
	ds_load_b32 v63, v60
	ds_load_b64 v[60:61], v61 offset:9216
	s_wait_dscnt 0x1
	v_add_nc_u32_e32 v63, v63, v71
	s_wait_dscnt 0x0
	global_store_b64 v63, v[60:61], s[44:45] scale_offset
	s_wait_xcnt 0x0
	s_or_b32 exec_lo, exec_lo, s15
	s_and_saveexec_b32 s15, s19
	s_cbranch_execz .LBB1862_821
.LBB1862_885:                           ;   in Loop: Header=BB1862_687 Depth=2
	v_dual_lshlrev_b32 v60, 2, v133 :: v_dual_add_nc_u32 v61, v93, v94
	ds_load_b32 v63, v60
	ds_load_b64 v[60:61], v61 offset:11264
	s_wait_dscnt 0x1
	v_add_nc_u32_e32 v63, v63, v72
	s_wait_dscnt 0x0
	global_store_b64 v63, v[60:61], s[44:45] scale_offset
	s_wait_xcnt 0x0
	s_or_b32 exec_lo, exec_lo, s15
	s_and_saveexec_b32 s15, s20
	s_cbranch_execz .LBB1862_822
.LBB1862_886:                           ;   in Loop: Header=BB1862_687 Depth=2
	v_dual_lshlrev_b32 v60, 2, v132 :: v_dual_add_nc_u32 v61, v93, v94
	ds_load_b32 v63, v60
	ds_load_b64 v[60:61], v61 offset:13312
	s_wait_dscnt 0x1
	v_add_nc_u32_e32 v63, v63, v73
	s_wait_dscnt 0x0
	global_store_b64 v63, v[60:61], s[44:45] scale_offset
	s_wait_xcnt 0x0
	s_or_b32 exec_lo, exec_lo, s15
	s_and_saveexec_b32 s15, s21
	s_cbranch_execz .LBB1862_823
.LBB1862_887:                           ;   in Loop: Header=BB1862_687 Depth=2
	v_dual_lshlrev_b32 v60, 2, v131 :: v_dual_add_nc_u32 v61, v93, v94
	ds_load_b32 v63, v60
	ds_load_b64 v[60:61], v61 offset:15360
	s_wait_dscnt 0x1
	v_add_nc_u32_e32 v63, v63, v74
	s_wait_dscnt 0x0
	global_store_b64 v63, v[60:61], s[44:45] scale_offset
	s_wait_xcnt 0x0
	s_or_b32 exec_lo, exec_lo, s15
	s_and_saveexec_b32 s15, s22
	s_cbranch_execz .LBB1862_824
.LBB1862_888:                           ;   in Loop: Header=BB1862_687 Depth=2
	v_lshlrev_b32_e32 v60, 2, v130
	v_add_nc_u32_e32 v61, v93, v94
	ds_load_b32 v63, v60
	ds_load_b64 v[60:61], v61 offset:17408
	s_wait_dscnt 0x1
	v_add_nc_u32_e32 v63, v63, v75
	s_wait_dscnt 0x0
	global_store_b64 v63, v[60:61], s[44:45] scale_offset
	s_wait_xcnt 0x0
	s_or_b32 exec_lo, exec_lo, s15
	s_and_saveexec_b32 s15, s23
	s_cbranch_execz .LBB1862_825
.LBB1862_889:                           ;   in Loop: Header=BB1862_687 Depth=2
	v_dual_lshlrev_b32 v60, 2, v129 :: v_dual_add_nc_u32 v61, v93, v94
	ds_load_b32 v63, v60
	ds_load_b64 v[60:61], v61 offset:19456
	s_wait_dscnt 0x1
	v_add_nc_u32_e32 v63, v63, v76
	s_wait_dscnt 0x0
	global_store_b64 v63, v[60:61], s[44:45] scale_offset
	s_wait_xcnt 0x0
	s_or_b32 exec_lo, exec_lo, s15
	s_and_saveexec_b32 s15, s24
	s_cbranch_execz .LBB1862_826
.LBB1862_890:                           ;   in Loop: Header=BB1862_687 Depth=2
	v_dual_lshlrev_b32 v60, 2, v128 :: v_dual_add_nc_u32 v61, v93, v94
	ds_load_b32 v63, v60
	ds_load_b64 v[60:61], v61 offset:21504
	s_wait_dscnt 0x1
	v_add_nc_u32_e32 v63, v63, v77
	s_wait_dscnt 0x0
	global_store_b64 v63, v[60:61], s[44:45] scale_offset
	s_wait_xcnt 0x0
	s_or_b32 exec_lo, exec_lo, s15
	s_and_saveexec_b32 s15, s25
	s_cbranch_execz .LBB1862_827
.LBB1862_891:                           ;   in Loop: Header=BB1862_687 Depth=2
	v_dual_lshlrev_b32 v60, 2, v127 :: v_dual_add_nc_u32 v61, v93, v94
	ds_load_b32 v63, v60
	ds_load_b64 v[60:61], v61 offset:23552
	s_wait_dscnt 0x1
	v_add_nc_u32_e32 v63, v63, v78
	s_wait_dscnt 0x0
	global_store_b64 v63, v[60:61], s[44:45] scale_offset
	s_wait_xcnt 0x0
	s_or_b32 exec_lo, exec_lo, s15
	s_and_saveexec_b32 s15, s26
	s_cbranch_execz .LBB1862_828
.LBB1862_892:                           ;   in Loop: Header=BB1862_687 Depth=2
	v_lshlrev_b32_e32 v60, 2, v126
	v_add_nc_u32_e32 v61, v93, v94
	ds_load_b32 v63, v60
	ds_load_b64 v[60:61], v61 offset:25600
	s_wait_dscnt 0x1
	v_add_nc_u32_e32 v63, v63, v79
	s_wait_dscnt 0x0
	global_store_b64 v63, v[60:61], s[44:45] scale_offset
	s_wait_xcnt 0x0
	s_or_b32 exec_lo, exec_lo, s15
	s_and_saveexec_b32 s15, s27
	s_cbranch_execz .LBB1862_829
.LBB1862_893:                           ;   in Loop: Header=BB1862_687 Depth=2
	v_dual_lshlrev_b32 v60, 2, v125 :: v_dual_add_nc_u32 v61, v93, v94
	ds_load_b32 v63, v60
	ds_load_b64 v[60:61], v61 offset:27648
	s_wait_dscnt 0x1
	v_add_nc_u32_e32 v63, v63, v80
	s_wait_dscnt 0x0
	global_store_b64 v63, v[60:61], s[44:45] scale_offset
	s_wait_xcnt 0x0
	s_or_b32 exec_lo, exec_lo, s15
	s_and_saveexec_b32 s15, s28
	s_cbranch_execz .LBB1862_830
.LBB1862_894:                           ;   in Loop: Header=BB1862_687 Depth=2
	v_dual_lshlrev_b32 v60, 2, v124 :: v_dual_add_nc_u32 v61, v93, v94
	ds_load_b32 v63, v60
	ds_load_b64 v[60:61], v61 offset:29696
	s_wait_dscnt 0x1
	v_add_nc_u32_e32 v63, v63, v81
	s_wait_dscnt 0x0
	global_store_b64 v63, v[60:61], s[44:45] scale_offset
	s_wait_xcnt 0x0
	s_or_b32 exec_lo, exec_lo, s15
	s_and_saveexec_b32 s15, s29
	s_cbranch_execnz .LBB1862_831
	s_branch .LBB1862_832
.LBB1862_895:                           ;   in Loop: Header=BB1862_17 Depth=1
	s_wait_dscnt 0x0
	s_barrier_signal -1
	s_mov_b32 s7, 0
	s_barrier_wait -1
.LBB1862_896:                           ;   in Loop: Header=BB1862_17 Depth=1
	s_and_b32 vcc_lo, exec_lo, s7
	s_cbranch_vccz .LBB1862_16
; %bb.897:                              ;   in Loop: Header=BB1862_17 Depth=1
	s_mov_b32 s7, s56
	s_mov_b32 s42, s54
	s_barrier_signal -1
	s_barrier_wait -1
                                        ; implicit-def: $vgpr23
                                        ; implicit-def: $vgpr24
                                        ; implicit-def: $vgpr25
                                        ; implicit-def: $vgpr26
                                        ; implicit-def: $vgpr27
                                        ; implicit-def: $vgpr28
                                        ; implicit-def: $vgpr29
                                        ; implicit-def: $vgpr30
                                        ; implicit-def: $vgpr31
                                        ; implicit-def: $vgpr32
                                        ; implicit-def: $vgpr33
                                        ; implicit-def: $vgpr34
                                        ; implicit-def: $vgpr35
                                        ; implicit-def: $vgpr36
                                        ; implicit-def: $vgpr37
                                        ; implicit-def: $vgpr38
	s_branch .LBB1862_899
.LBB1862_898:                           ;   in Loop: Header=BB1862_899 Depth=2
	s_or_b32 exec_lo, exec_lo, s8
	s_addk_co_i32 s7, 0xf000
	s_cmp_ge_u32 s10, s51
	s_mov_b32 s42, s10
	s_cbranch_scc1 .LBB1862_967
.LBB1862_899:                           ;   Parent Loop BB1862_17 Depth=1
                                        ; =>  This Inner Loop Header: Depth=2
	s_add_co_i32 s10, s42, 0x1000
	s_mov_b32 s8, -1
	s_cmp_gt_u32 s10, s51
                                        ; implicit-def: $vgpr39
                                        ; implicit-def: $vgpr40
                                        ; implicit-def: $vgpr41
                                        ; implicit-def: $vgpr42
                                        ; implicit-def: $vgpr43
                                        ; implicit-def: $vgpr44
                                        ; implicit-def: $vgpr45
                                        ; implicit-def: $vgpr46
                                        ; implicit-def: $vgpr47
                                        ; implicit-def: $vgpr48
                                        ; implicit-def: $vgpr49
                                        ; implicit-def: $vgpr50
                                        ; implicit-def: $vgpr51
                                        ; implicit-def: $vgpr52
                                        ; implicit-def: $vgpr53
                                        ; implicit-def: $vgpr54
	s_cbranch_scc1 .LBB1862_901
; %bb.900:                              ;   in Loop: Header=BB1862_899 Depth=2
	v_lshl_add_u64 v[54:55], s[42:43], 1, v[16:17]
	s_mov_b32 s8, 0
	s_clause 0xf
	global_load_u16 v39, v[54:55], off
	global_load_u16 v40, v[54:55], off offset:512
	global_load_u16 v41, v[54:55], off offset:1024
	global_load_u16 v42, v[54:55], off offset:1536
	global_load_u16 v43, v[54:55], off offset:2048
	global_load_u16 v44, v[54:55], off offset:2560
	global_load_u16 v45, v[54:55], off offset:3072
	global_load_u16 v46, v[54:55], off offset:3584
	global_load_u16 v47, v[54:55], off offset:4096
	global_load_u16 v48, v[54:55], off offset:4608
	global_load_u16 v49, v[54:55], off offset:5120
	global_load_u16 v50, v[54:55], off offset:5632
	global_load_u16 v51, v[54:55], off offset:6144
	global_load_u16 v52, v[54:55], off offset:6656
	global_load_u16 v53, v[54:55], off offset:7168
	global_load_u16 v54, v[54:55], off offset:7680
.LBB1862_901:                           ;   in Loop: Header=BB1862_899 Depth=2
	s_and_not1_b32 vcc_lo, exec_lo, s8
	s_movk_i32 s8, 0x1000
	s_cbranch_vccnz .LBB1862_920
; %bb.902:                              ;   in Loop: Header=BB1862_899 Depth=2
	s_lshl_b64 s[8:9], s[42:43], 1
	s_mov_b32 s11, exec_lo
	s_add_nc_u64 s[8:9], s[36:37], s[8:9]
	s_wait_xcnt 0x0
	v_cmpx_gt_u32_e64 s7, v2
	s_cbranch_execnz .LBB1862_952
; %bb.903:                              ;   in Loop: Header=BB1862_899 Depth=2
	s_or_b32 exec_lo, exec_lo, s11
	s_delay_alu instid0(SALU_CYCLE_1)
	s_mov_b32 s11, exec_lo
	v_cmpx_gt_u32_e64 s7, v68
	s_cbranch_execnz .LBB1862_953
.LBB1862_904:                           ;   in Loop: Header=BB1862_899 Depth=2
	s_or_b32 exec_lo, exec_lo, s11
	s_delay_alu instid0(SALU_CYCLE_1)
	s_mov_b32 s11, exec_lo
	v_cmpx_gt_u32_e64 s7, v69
	s_cbranch_execnz .LBB1862_954
.LBB1862_905:                           ;   in Loop: Header=BB1862_899 Depth=2
	s_or_b32 exec_lo, exec_lo, s11
	s_delay_alu instid0(SALU_CYCLE_1)
	s_mov_b32 s11, exec_lo
	v_cmpx_gt_u32_e64 s7, v70
	s_cbranch_execnz .LBB1862_955
.LBB1862_906:                           ;   in Loop: Header=BB1862_899 Depth=2
	s_or_b32 exec_lo, exec_lo, s11
	s_delay_alu instid0(SALU_CYCLE_1)
	s_mov_b32 s11, exec_lo
	v_cmpx_gt_u32_e64 s7, v71
	s_cbranch_execnz .LBB1862_956
.LBB1862_907:                           ;   in Loop: Header=BB1862_899 Depth=2
	s_or_b32 exec_lo, exec_lo, s11
	s_delay_alu instid0(SALU_CYCLE_1)
	s_mov_b32 s11, exec_lo
	v_cmpx_gt_u32_e64 s7, v72
	s_cbranch_execnz .LBB1862_957
.LBB1862_908:                           ;   in Loop: Header=BB1862_899 Depth=2
	s_or_b32 exec_lo, exec_lo, s11
	s_delay_alu instid0(SALU_CYCLE_1)
	s_mov_b32 s11, exec_lo
	v_cmpx_gt_u32_e64 s7, v73
	s_cbranch_execnz .LBB1862_958
.LBB1862_909:                           ;   in Loop: Header=BB1862_899 Depth=2
	s_or_b32 exec_lo, exec_lo, s11
	s_delay_alu instid0(SALU_CYCLE_1)
	s_mov_b32 s11, exec_lo
	v_cmpx_gt_u32_e64 s7, v74
	s_cbranch_execnz .LBB1862_959
.LBB1862_910:                           ;   in Loop: Header=BB1862_899 Depth=2
	s_or_b32 exec_lo, exec_lo, s11
	s_delay_alu instid0(SALU_CYCLE_1)
	s_mov_b32 s11, exec_lo
	v_cmpx_gt_u32_e64 s7, v75
	s_cbranch_execnz .LBB1862_960
.LBB1862_911:                           ;   in Loop: Header=BB1862_899 Depth=2
	s_or_b32 exec_lo, exec_lo, s11
	s_delay_alu instid0(SALU_CYCLE_1)
	s_mov_b32 s11, exec_lo
	v_cmpx_gt_u32_e64 s7, v76
	s_cbranch_execnz .LBB1862_961
.LBB1862_912:                           ;   in Loop: Header=BB1862_899 Depth=2
	s_or_b32 exec_lo, exec_lo, s11
	s_delay_alu instid0(SALU_CYCLE_1)
	s_mov_b32 s11, exec_lo
	v_cmpx_gt_u32_e64 s7, v77
	s_cbranch_execnz .LBB1862_962
.LBB1862_913:                           ;   in Loop: Header=BB1862_899 Depth=2
	s_or_b32 exec_lo, exec_lo, s11
	s_delay_alu instid0(SALU_CYCLE_1)
	s_mov_b32 s11, exec_lo
	v_cmpx_gt_u32_e64 s7, v78
	s_cbranch_execnz .LBB1862_963
.LBB1862_914:                           ;   in Loop: Header=BB1862_899 Depth=2
	s_or_b32 exec_lo, exec_lo, s11
	s_delay_alu instid0(SALU_CYCLE_1)
	s_mov_b32 s11, exec_lo
	v_cmpx_gt_u32_e64 s7, v79
	s_cbranch_execnz .LBB1862_964
.LBB1862_915:                           ;   in Loop: Header=BB1862_899 Depth=2
	s_or_b32 exec_lo, exec_lo, s11
	s_delay_alu instid0(SALU_CYCLE_1)
	s_mov_b32 s11, exec_lo
	v_cmpx_gt_u32_e64 s7, v80
	s_cbranch_execnz .LBB1862_965
.LBB1862_916:                           ;   in Loop: Header=BB1862_899 Depth=2
	s_or_b32 exec_lo, exec_lo, s11
	s_delay_alu instid0(SALU_CYCLE_1)
	s_mov_b32 s11, exec_lo
	v_cmpx_gt_u32_e64 s7, v81
	s_cbranch_execnz .LBB1862_966
.LBB1862_917:                           ;   in Loop: Header=BB1862_899 Depth=2
	s_or_b32 exec_lo, exec_lo, s11
	s_delay_alu instid0(SALU_CYCLE_1)
	s_mov_b32 s11, exec_lo
	v_cmpx_gt_u32_e64 s7, v82
	s_cbranch_execz .LBB1862_919
.LBB1862_918:                           ;   in Loop: Header=BB1862_899 Depth=2
	global_load_u16 v23, v2, s[8:9] offset:7680 scale_offset
.LBB1862_919:                           ;   in Loop: Header=BB1862_899 Depth=2
	s_wait_xcnt 0x0
	s_or_b32 exec_lo, exec_lo, s11
	s_wait_loadcnt 0x0
	v_dual_mov_b32 v39, v38 :: v_dual_mov_b32 v40, v37
	v_dual_mov_b32 v41, v36 :: v_dual_mov_b32 v42, v35
	;; [unrolled: 1-line block ×8, first 2 shown]
	s_mov_b32 s8, s7
.LBB1862_920:                           ;   in Loop: Header=BB1862_899 Depth=2
	s_wait_loadcnt 0x0
	s_delay_alu instid0(VALU_DEP_1)
	v_dual_mov_b32 v23, v54 :: v_dual_mov_b32 v24, v53
	v_dual_mov_b32 v25, v52 :: v_dual_mov_b32 v26, v51
	;; [unrolled: 1-line block ×8, first 2 shown]
	s_mov_b32 s9, exec_lo
	s_wait_xcnt 0x0
	v_cmpx_gt_u32_e64 s8, v2
	s_cbranch_execnz .LBB1862_936
; %bb.921:                              ;   in Loop: Header=BB1862_899 Depth=2
	s_or_b32 exec_lo, exec_lo, s9
	s_delay_alu instid0(SALU_CYCLE_1)
	s_mov_b32 s9, exec_lo
	v_cmpx_gt_u32_e64 s8, v68
	s_cbranch_execnz .LBB1862_937
.LBB1862_922:                           ;   in Loop: Header=BB1862_899 Depth=2
	s_or_b32 exec_lo, exec_lo, s9
	s_delay_alu instid0(SALU_CYCLE_1)
	s_mov_b32 s9, exec_lo
	v_cmpx_gt_u32_e64 s8, v69
	s_cbranch_execnz .LBB1862_938
.LBB1862_923:                           ;   in Loop: Header=BB1862_899 Depth=2
	s_or_b32 exec_lo, exec_lo, s9
	s_delay_alu instid0(SALU_CYCLE_1)
	s_mov_b32 s9, exec_lo
	v_cmpx_gt_u32_e64 s8, v70
	s_cbranch_execnz .LBB1862_939
.LBB1862_924:                           ;   in Loop: Header=BB1862_899 Depth=2
	s_or_b32 exec_lo, exec_lo, s9
	s_delay_alu instid0(SALU_CYCLE_1)
	s_mov_b32 s9, exec_lo
	v_cmpx_gt_u32_e64 s8, v71
	s_cbranch_execnz .LBB1862_940
.LBB1862_925:                           ;   in Loop: Header=BB1862_899 Depth=2
	s_or_b32 exec_lo, exec_lo, s9
	s_delay_alu instid0(SALU_CYCLE_1)
	s_mov_b32 s9, exec_lo
	v_cmpx_gt_u32_e64 s8, v72
	s_cbranch_execnz .LBB1862_941
.LBB1862_926:                           ;   in Loop: Header=BB1862_899 Depth=2
	s_or_b32 exec_lo, exec_lo, s9
	s_delay_alu instid0(SALU_CYCLE_1)
	s_mov_b32 s9, exec_lo
	v_cmpx_gt_u32_e64 s8, v73
	s_cbranch_execnz .LBB1862_942
.LBB1862_927:                           ;   in Loop: Header=BB1862_899 Depth=2
	s_or_b32 exec_lo, exec_lo, s9
	s_delay_alu instid0(SALU_CYCLE_1)
	s_mov_b32 s9, exec_lo
	v_cmpx_gt_u32_e64 s8, v74
	s_cbranch_execnz .LBB1862_943
.LBB1862_928:                           ;   in Loop: Header=BB1862_899 Depth=2
	s_or_b32 exec_lo, exec_lo, s9
	s_delay_alu instid0(SALU_CYCLE_1)
	s_mov_b32 s9, exec_lo
	v_cmpx_gt_u32_e64 s8, v75
	s_cbranch_execnz .LBB1862_944
.LBB1862_929:                           ;   in Loop: Header=BB1862_899 Depth=2
	s_or_b32 exec_lo, exec_lo, s9
	s_delay_alu instid0(SALU_CYCLE_1)
	s_mov_b32 s9, exec_lo
	v_cmpx_gt_u32_e64 s8, v76
	s_cbranch_execnz .LBB1862_945
.LBB1862_930:                           ;   in Loop: Header=BB1862_899 Depth=2
	s_or_b32 exec_lo, exec_lo, s9
	s_delay_alu instid0(SALU_CYCLE_1)
	s_mov_b32 s9, exec_lo
	v_cmpx_gt_u32_e64 s8, v77
	s_cbranch_execnz .LBB1862_946
.LBB1862_931:                           ;   in Loop: Header=BB1862_899 Depth=2
	s_or_b32 exec_lo, exec_lo, s9
	s_delay_alu instid0(SALU_CYCLE_1)
	s_mov_b32 s9, exec_lo
	v_cmpx_gt_u32_e64 s8, v78
	s_cbranch_execnz .LBB1862_947
.LBB1862_932:                           ;   in Loop: Header=BB1862_899 Depth=2
	s_or_b32 exec_lo, exec_lo, s9
	s_delay_alu instid0(SALU_CYCLE_1)
	s_mov_b32 s9, exec_lo
	v_cmpx_gt_u32_e64 s8, v79
	s_cbranch_execnz .LBB1862_948
.LBB1862_933:                           ;   in Loop: Header=BB1862_899 Depth=2
	s_or_b32 exec_lo, exec_lo, s9
	s_delay_alu instid0(SALU_CYCLE_1)
	s_mov_b32 s9, exec_lo
	v_cmpx_gt_u32_e64 s8, v80
	s_cbranch_execnz .LBB1862_949
.LBB1862_934:                           ;   in Loop: Header=BB1862_899 Depth=2
	s_or_b32 exec_lo, exec_lo, s9
	s_delay_alu instid0(SALU_CYCLE_1)
	s_mov_b32 s9, exec_lo
	v_cmpx_gt_u32_e64 s8, v81
	s_cbranch_execnz .LBB1862_950
.LBB1862_935:                           ;   in Loop: Header=BB1862_899 Depth=2
	s_or_b32 exec_lo, exec_lo, s9
	v_cmp_gt_u32_e32 vcc_lo, s8, v82
	s_and_saveexec_b32 s8, vcc_lo
	s_cbranch_execz .LBB1862_898
	s_branch .LBB1862_951
.LBB1862_936:                           ;   in Loop: Header=BB1862_899 Depth=2
	v_cmp_lt_i16_e32 vcc_lo, -1, v38
	v_cndmask_b32_e64 v39, -1, 0xffff8000, vcc_lo
	s_delay_alu instid0(VALU_DEP_1) | instskip(NEXT) | instid1(VALU_DEP_1)
	v_xor_b32_e32 v39, v39, v38
	v_cmp_ne_u16_e32 vcc_lo, 0x7fff, v39
	v_cndmask_b32_e32 v39, 0xffff8000, v39, vcc_lo
	s_delay_alu instid0(VALU_DEP_1) | instskip(NEXT) | instid1(VALU_DEP_1)
	v_and_b32_e32 v39, 0xffff, v39
	v_lshrrev_b32_e32 v39, s49, v39
	s_delay_alu instid0(VALU_DEP_1) | instskip(NEXT) | instid1(VALU_DEP_1)
	v_and_b32_e32 v39, s52, v39
	v_lshl_or_b32 v39, v39, 4, v83
	ds_add_u32 v39, v96
	s_or_b32 exec_lo, exec_lo, s9
	s_delay_alu instid0(SALU_CYCLE_1)
	s_mov_b32 s9, exec_lo
	v_cmpx_gt_u32_e64 s8, v68
	s_cbranch_execz .LBB1862_922
.LBB1862_937:                           ;   in Loop: Header=BB1862_899 Depth=2
	v_cmp_lt_i16_e32 vcc_lo, -1, v37
	v_cndmask_b32_e64 v39, -1, 0xffff8000, vcc_lo
	s_delay_alu instid0(VALU_DEP_1) | instskip(NEXT) | instid1(VALU_DEP_1)
	v_xor_b32_e32 v39, v39, v37
	v_cmp_ne_u16_e32 vcc_lo, 0x7fff, v39
	v_cndmask_b32_e32 v39, 0xffff8000, v39, vcc_lo
	s_delay_alu instid0(VALU_DEP_1) | instskip(NEXT) | instid1(VALU_DEP_1)
	v_and_b32_e32 v39, 0xffff, v39
	v_lshrrev_b32_e32 v39, s49, v39
	s_delay_alu instid0(VALU_DEP_1) | instskip(NEXT) | instid1(VALU_DEP_1)
	v_and_b32_e32 v39, s52, v39
	v_lshl_or_b32 v39, v39, 4, v83
	ds_add_u32 v39, v96
	s_or_b32 exec_lo, exec_lo, s9
	s_delay_alu instid0(SALU_CYCLE_1)
	s_mov_b32 s9, exec_lo
	v_cmpx_gt_u32_e64 s8, v69
	s_cbranch_execz .LBB1862_923
.LBB1862_938:                           ;   in Loop: Header=BB1862_899 Depth=2
	v_cmp_lt_i16_e32 vcc_lo, -1, v36
	v_cndmask_b32_e64 v39, -1, 0xffff8000, vcc_lo
	s_delay_alu instid0(VALU_DEP_1) | instskip(NEXT) | instid1(VALU_DEP_1)
	v_xor_b32_e32 v39, v39, v36
	v_cmp_ne_u16_e32 vcc_lo, 0x7fff, v39
	v_cndmask_b32_e32 v39, 0xffff8000, v39, vcc_lo
	s_delay_alu instid0(VALU_DEP_1) | instskip(NEXT) | instid1(VALU_DEP_1)
	v_and_b32_e32 v39, 0xffff, v39
	v_lshrrev_b32_e32 v39, s49, v39
	s_delay_alu instid0(VALU_DEP_1) | instskip(NEXT) | instid1(VALU_DEP_1)
	v_and_b32_e32 v39, s52, v39
	v_lshl_or_b32 v39, v39, 4, v83
	ds_add_u32 v39, v96
	s_or_b32 exec_lo, exec_lo, s9
	s_delay_alu instid0(SALU_CYCLE_1)
	s_mov_b32 s9, exec_lo
	v_cmpx_gt_u32_e64 s8, v70
	s_cbranch_execz .LBB1862_924
.LBB1862_939:                           ;   in Loop: Header=BB1862_899 Depth=2
	v_cmp_lt_i16_e32 vcc_lo, -1, v35
	v_cndmask_b32_e64 v39, -1, 0xffff8000, vcc_lo
	s_delay_alu instid0(VALU_DEP_1) | instskip(NEXT) | instid1(VALU_DEP_1)
	v_xor_b32_e32 v39, v39, v35
	v_cmp_ne_u16_e32 vcc_lo, 0x7fff, v39
	v_cndmask_b32_e32 v39, 0xffff8000, v39, vcc_lo
	s_delay_alu instid0(VALU_DEP_1) | instskip(NEXT) | instid1(VALU_DEP_1)
	v_and_b32_e32 v39, 0xffff, v39
	v_lshrrev_b32_e32 v39, s49, v39
	s_delay_alu instid0(VALU_DEP_1) | instskip(NEXT) | instid1(VALU_DEP_1)
	v_and_b32_e32 v39, s52, v39
	v_lshl_or_b32 v39, v39, 4, v83
	ds_add_u32 v39, v96
	s_or_b32 exec_lo, exec_lo, s9
	s_delay_alu instid0(SALU_CYCLE_1)
	s_mov_b32 s9, exec_lo
	v_cmpx_gt_u32_e64 s8, v71
	s_cbranch_execz .LBB1862_925
.LBB1862_940:                           ;   in Loop: Header=BB1862_899 Depth=2
	v_cmp_lt_i16_e32 vcc_lo, -1, v34
	v_cndmask_b32_e64 v39, -1, 0xffff8000, vcc_lo
	s_delay_alu instid0(VALU_DEP_1) | instskip(NEXT) | instid1(VALU_DEP_1)
	v_xor_b32_e32 v39, v39, v34
	v_cmp_ne_u16_e32 vcc_lo, 0x7fff, v39
	v_cndmask_b32_e32 v39, 0xffff8000, v39, vcc_lo
	s_delay_alu instid0(VALU_DEP_1) | instskip(NEXT) | instid1(VALU_DEP_1)
	v_and_b32_e32 v39, 0xffff, v39
	v_lshrrev_b32_e32 v39, s49, v39
	s_delay_alu instid0(VALU_DEP_1) | instskip(NEXT) | instid1(VALU_DEP_1)
	v_and_b32_e32 v39, s52, v39
	v_lshl_or_b32 v39, v39, 4, v83
	ds_add_u32 v39, v96
	s_or_b32 exec_lo, exec_lo, s9
	s_delay_alu instid0(SALU_CYCLE_1)
	s_mov_b32 s9, exec_lo
	v_cmpx_gt_u32_e64 s8, v72
	s_cbranch_execz .LBB1862_926
.LBB1862_941:                           ;   in Loop: Header=BB1862_899 Depth=2
	v_cmp_lt_i16_e32 vcc_lo, -1, v33
	v_cndmask_b32_e64 v39, -1, 0xffff8000, vcc_lo
	s_delay_alu instid0(VALU_DEP_1) | instskip(NEXT) | instid1(VALU_DEP_1)
	v_xor_b32_e32 v39, v39, v33
	v_cmp_ne_u16_e32 vcc_lo, 0x7fff, v39
	v_cndmask_b32_e32 v39, 0xffff8000, v39, vcc_lo
	s_delay_alu instid0(VALU_DEP_1) | instskip(NEXT) | instid1(VALU_DEP_1)
	v_and_b32_e32 v39, 0xffff, v39
	v_lshrrev_b32_e32 v39, s49, v39
	s_delay_alu instid0(VALU_DEP_1) | instskip(NEXT) | instid1(VALU_DEP_1)
	v_and_b32_e32 v39, s52, v39
	v_lshl_or_b32 v39, v39, 4, v83
	ds_add_u32 v39, v96
	s_or_b32 exec_lo, exec_lo, s9
	s_delay_alu instid0(SALU_CYCLE_1)
	s_mov_b32 s9, exec_lo
	v_cmpx_gt_u32_e64 s8, v73
	s_cbranch_execz .LBB1862_927
.LBB1862_942:                           ;   in Loop: Header=BB1862_899 Depth=2
	v_cmp_lt_i16_e32 vcc_lo, -1, v32
	v_cndmask_b32_e64 v39, -1, 0xffff8000, vcc_lo
	s_delay_alu instid0(VALU_DEP_1) | instskip(NEXT) | instid1(VALU_DEP_1)
	v_xor_b32_e32 v39, v39, v32
	v_cmp_ne_u16_e32 vcc_lo, 0x7fff, v39
	v_cndmask_b32_e32 v39, 0xffff8000, v39, vcc_lo
	s_delay_alu instid0(VALU_DEP_1) | instskip(NEXT) | instid1(VALU_DEP_1)
	v_and_b32_e32 v39, 0xffff, v39
	v_lshrrev_b32_e32 v39, s49, v39
	s_delay_alu instid0(VALU_DEP_1) | instskip(NEXT) | instid1(VALU_DEP_1)
	v_and_b32_e32 v39, s52, v39
	v_lshl_or_b32 v39, v39, 4, v83
	ds_add_u32 v39, v96
	s_or_b32 exec_lo, exec_lo, s9
	s_delay_alu instid0(SALU_CYCLE_1)
	s_mov_b32 s9, exec_lo
	v_cmpx_gt_u32_e64 s8, v74
	s_cbranch_execz .LBB1862_928
.LBB1862_943:                           ;   in Loop: Header=BB1862_899 Depth=2
	v_cmp_lt_i16_e32 vcc_lo, -1, v31
	v_cndmask_b32_e64 v39, -1, 0xffff8000, vcc_lo
	s_delay_alu instid0(VALU_DEP_1) | instskip(NEXT) | instid1(VALU_DEP_1)
	v_xor_b32_e32 v39, v39, v31
	v_cmp_ne_u16_e32 vcc_lo, 0x7fff, v39
	v_cndmask_b32_e32 v39, 0xffff8000, v39, vcc_lo
	s_delay_alu instid0(VALU_DEP_1) | instskip(NEXT) | instid1(VALU_DEP_1)
	v_and_b32_e32 v39, 0xffff, v39
	v_lshrrev_b32_e32 v39, s49, v39
	s_delay_alu instid0(VALU_DEP_1) | instskip(NEXT) | instid1(VALU_DEP_1)
	v_and_b32_e32 v39, s52, v39
	v_lshl_or_b32 v39, v39, 4, v83
	ds_add_u32 v39, v96
	s_or_b32 exec_lo, exec_lo, s9
	s_delay_alu instid0(SALU_CYCLE_1)
	s_mov_b32 s9, exec_lo
	v_cmpx_gt_u32_e64 s8, v75
	s_cbranch_execz .LBB1862_929
.LBB1862_944:                           ;   in Loop: Header=BB1862_899 Depth=2
	v_cmp_lt_i16_e32 vcc_lo, -1, v30
	v_cndmask_b32_e64 v39, -1, 0xffff8000, vcc_lo
	s_delay_alu instid0(VALU_DEP_1) | instskip(NEXT) | instid1(VALU_DEP_1)
	v_xor_b32_e32 v39, v39, v30
	v_cmp_ne_u16_e32 vcc_lo, 0x7fff, v39
	v_cndmask_b32_e32 v39, 0xffff8000, v39, vcc_lo
	s_delay_alu instid0(VALU_DEP_1) | instskip(NEXT) | instid1(VALU_DEP_1)
	v_and_b32_e32 v39, 0xffff, v39
	v_lshrrev_b32_e32 v39, s49, v39
	s_delay_alu instid0(VALU_DEP_1) | instskip(NEXT) | instid1(VALU_DEP_1)
	v_and_b32_e32 v39, s52, v39
	v_lshl_or_b32 v39, v39, 4, v83
	ds_add_u32 v39, v96
	s_or_b32 exec_lo, exec_lo, s9
	s_delay_alu instid0(SALU_CYCLE_1)
	s_mov_b32 s9, exec_lo
	v_cmpx_gt_u32_e64 s8, v76
	s_cbranch_execz .LBB1862_930
.LBB1862_945:                           ;   in Loop: Header=BB1862_899 Depth=2
	v_cmp_lt_i16_e32 vcc_lo, -1, v29
	v_cndmask_b32_e64 v39, -1, 0xffff8000, vcc_lo
	s_delay_alu instid0(VALU_DEP_1) | instskip(NEXT) | instid1(VALU_DEP_1)
	v_xor_b32_e32 v39, v39, v29
	v_cmp_ne_u16_e32 vcc_lo, 0x7fff, v39
	v_cndmask_b32_e32 v39, 0xffff8000, v39, vcc_lo
	s_delay_alu instid0(VALU_DEP_1) | instskip(NEXT) | instid1(VALU_DEP_1)
	v_and_b32_e32 v39, 0xffff, v39
	v_lshrrev_b32_e32 v39, s49, v39
	s_delay_alu instid0(VALU_DEP_1) | instskip(NEXT) | instid1(VALU_DEP_1)
	v_and_b32_e32 v39, s52, v39
	v_lshl_or_b32 v39, v39, 4, v83
	ds_add_u32 v39, v96
	s_or_b32 exec_lo, exec_lo, s9
	s_delay_alu instid0(SALU_CYCLE_1)
	s_mov_b32 s9, exec_lo
	v_cmpx_gt_u32_e64 s8, v77
	s_cbranch_execz .LBB1862_931
.LBB1862_946:                           ;   in Loop: Header=BB1862_899 Depth=2
	v_cmp_lt_i16_e32 vcc_lo, -1, v28
	v_cndmask_b32_e64 v39, -1, 0xffff8000, vcc_lo
	s_delay_alu instid0(VALU_DEP_1) | instskip(NEXT) | instid1(VALU_DEP_1)
	v_xor_b32_e32 v39, v39, v28
	v_cmp_ne_u16_e32 vcc_lo, 0x7fff, v39
	v_cndmask_b32_e32 v39, 0xffff8000, v39, vcc_lo
	s_delay_alu instid0(VALU_DEP_1) | instskip(NEXT) | instid1(VALU_DEP_1)
	v_and_b32_e32 v39, 0xffff, v39
	v_lshrrev_b32_e32 v39, s49, v39
	s_delay_alu instid0(VALU_DEP_1) | instskip(NEXT) | instid1(VALU_DEP_1)
	v_and_b32_e32 v39, s52, v39
	v_lshl_or_b32 v39, v39, 4, v83
	ds_add_u32 v39, v96
	s_or_b32 exec_lo, exec_lo, s9
	s_delay_alu instid0(SALU_CYCLE_1)
	s_mov_b32 s9, exec_lo
	v_cmpx_gt_u32_e64 s8, v78
	s_cbranch_execz .LBB1862_932
.LBB1862_947:                           ;   in Loop: Header=BB1862_899 Depth=2
	v_cmp_lt_i16_e32 vcc_lo, -1, v27
	v_cndmask_b32_e64 v39, -1, 0xffff8000, vcc_lo
	s_delay_alu instid0(VALU_DEP_1) | instskip(NEXT) | instid1(VALU_DEP_1)
	v_xor_b32_e32 v39, v39, v27
	v_cmp_ne_u16_e32 vcc_lo, 0x7fff, v39
	v_cndmask_b32_e32 v39, 0xffff8000, v39, vcc_lo
	s_delay_alu instid0(VALU_DEP_1) | instskip(NEXT) | instid1(VALU_DEP_1)
	v_and_b32_e32 v39, 0xffff, v39
	v_lshrrev_b32_e32 v39, s49, v39
	s_delay_alu instid0(VALU_DEP_1) | instskip(NEXT) | instid1(VALU_DEP_1)
	v_and_b32_e32 v39, s52, v39
	v_lshl_or_b32 v39, v39, 4, v83
	ds_add_u32 v39, v96
	s_or_b32 exec_lo, exec_lo, s9
	s_delay_alu instid0(SALU_CYCLE_1)
	s_mov_b32 s9, exec_lo
	v_cmpx_gt_u32_e64 s8, v79
	s_cbranch_execz .LBB1862_933
.LBB1862_948:                           ;   in Loop: Header=BB1862_899 Depth=2
	v_cmp_lt_i16_e32 vcc_lo, -1, v26
	v_cndmask_b32_e64 v39, -1, 0xffff8000, vcc_lo
	s_delay_alu instid0(VALU_DEP_1) | instskip(NEXT) | instid1(VALU_DEP_1)
	v_xor_b32_e32 v39, v39, v26
	v_cmp_ne_u16_e32 vcc_lo, 0x7fff, v39
	v_cndmask_b32_e32 v39, 0xffff8000, v39, vcc_lo
	s_delay_alu instid0(VALU_DEP_1) | instskip(NEXT) | instid1(VALU_DEP_1)
	v_and_b32_e32 v39, 0xffff, v39
	v_lshrrev_b32_e32 v39, s49, v39
	s_delay_alu instid0(VALU_DEP_1) | instskip(NEXT) | instid1(VALU_DEP_1)
	v_and_b32_e32 v39, s52, v39
	v_lshl_or_b32 v39, v39, 4, v83
	ds_add_u32 v39, v96
	s_or_b32 exec_lo, exec_lo, s9
	s_delay_alu instid0(SALU_CYCLE_1)
	s_mov_b32 s9, exec_lo
	v_cmpx_gt_u32_e64 s8, v80
	s_cbranch_execz .LBB1862_934
.LBB1862_949:                           ;   in Loop: Header=BB1862_899 Depth=2
	v_cmp_lt_i16_e32 vcc_lo, -1, v25
	v_cndmask_b32_e64 v39, -1, 0xffff8000, vcc_lo
	s_delay_alu instid0(VALU_DEP_1) | instskip(NEXT) | instid1(VALU_DEP_1)
	v_xor_b32_e32 v39, v39, v25
	v_cmp_ne_u16_e32 vcc_lo, 0x7fff, v39
	v_cndmask_b32_e32 v39, 0xffff8000, v39, vcc_lo
	s_delay_alu instid0(VALU_DEP_1) | instskip(NEXT) | instid1(VALU_DEP_1)
	v_and_b32_e32 v39, 0xffff, v39
	v_lshrrev_b32_e32 v39, s49, v39
	s_delay_alu instid0(VALU_DEP_1) | instskip(NEXT) | instid1(VALU_DEP_1)
	v_and_b32_e32 v39, s52, v39
	v_lshl_or_b32 v39, v39, 4, v83
	ds_add_u32 v39, v96
	s_or_b32 exec_lo, exec_lo, s9
	s_delay_alu instid0(SALU_CYCLE_1)
	s_mov_b32 s9, exec_lo
	v_cmpx_gt_u32_e64 s8, v81
	s_cbranch_execz .LBB1862_935
.LBB1862_950:                           ;   in Loop: Header=BB1862_899 Depth=2
	v_cmp_lt_i16_e32 vcc_lo, -1, v24
	v_cndmask_b32_e64 v39, -1, 0xffff8000, vcc_lo
	s_delay_alu instid0(VALU_DEP_1) | instskip(NEXT) | instid1(VALU_DEP_1)
	v_xor_b32_e32 v39, v39, v24
	v_cmp_ne_u16_e32 vcc_lo, 0x7fff, v39
	v_cndmask_b32_e32 v39, 0xffff8000, v39, vcc_lo
	s_delay_alu instid0(VALU_DEP_1) | instskip(NEXT) | instid1(VALU_DEP_1)
	v_and_b32_e32 v39, 0xffff, v39
	v_lshrrev_b32_e32 v39, s49, v39
	s_delay_alu instid0(VALU_DEP_1) | instskip(NEXT) | instid1(VALU_DEP_1)
	v_and_b32_e32 v39, s52, v39
	v_lshl_or_b32 v39, v39, 4, v83
	ds_add_u32 v39, v96
	s_or_b32 exec_lo, exec_lo, s9
	v_cmp_gt_u32_e32 vcc_lo, s8, v82
	s_and_saveexec_b32 s8, vcc_lo
	s_cbranch_execz .LBB1862_898
.LBB1862_951:                           ;   in Loop: Header=BB1862_899 Depth=2
	v_cmp_lt_i16_e32 vcc_lo, -1, v23
	v_cndmask_b32_e64 v39, -1, 0xffff8000, vcc_lo
	s_delay_alu instid0(VALU_DEP_1) | instskip(NEXT) | instid1(VALU_DEP_1)
	v_xor_b32_e32 v39, v39, v23
	v_cmp_ne_u16_e32 vcc_lo, 0x7fff, v39
	v_cndmask_b32_e32 v39, 0xffff8000, v39, vcc_lo
	s_delay_alu instid0(VALU_DEP_1) | instskip(NEXT) | instid1(VALU_DEP_1)
	v_and_b32_e32 v39, 0xffff, v39
	v_lshrrev_b32_e32 v39, s49, v39
	s_delay_alu instid0(VALU_DEP_1) | instskip(NEXT) | instid1(VALU_DEP_1)
	v_and_b32_e32 v39, s52, v39
	v_lshl_or_b32 v39, v39, 4, v83
	ds_add_u32 v39, v96
	s_branch .LBB1862_898
.LBB1862_952:                           ;   in Loop: Header=BB1862_899 Depth=2
	global_load_u16 v38, v2, s[8:9] scale_offset
	s_wait_xcnt 0x0
	s_or_b32 exec_lo, exec_lo, s11
	s_delay_alu instid0(SALU_CYCLE_1)
	s_mov_b32 s11, exec_lo
	v_cmpx_gt_u32_e64 s7, v68
	s_cbranch_execz .LBB1862_904
.LBB1862_953:                           ;   in Loop: Header=BB1862_899 Depth=2
	global_load_u16 v37, v2, s[8:9] offset:512 scale_offset
	s_wait_xcnt 0x0
	s_or_b32 exec_lo, exec_lo, s11
	s_delay_alu instid0(SALU_CYCLE_1)
	s_mov_b32 s11, exec_lo
	v_cmpx_gt_u32_e64 s7, v69
	s_cbranch_execz .LBB1862_905
.LBB1862_954:                           ;   in Loop: Header=BB1862_899 Depth=2
	global_load_u16 v36, v2, s[8:9] offset:1024 scale_offset
	s_wait_xcnt 0x0
	s_or_b32 exec_lo, exec_lo, s11
	s_delay_alu instid0(SALU_CYCLE_1)
	s_mov_b32 s11, exec_lo
	v_cmpx_gt_u32_e64 s7, v70
	s_cbranch_execz .LBB1862_906
.LBB1862_955:                           ;   in Loop: Header=BB1862_899 Depth=2
	global_load_u16 v35, v2, s[8:9] offset:1536 scale_offset
	s_wait_xcnt 0x0
	s_or_b32 exec_lo, exec_lo, s11
	s_delay_alu instid0(SALU_CYCLE_1)
	s_mov_b32 s11, exec_lo
	v_cmpx_gt_u32_e64 s7, v71
	s_cbranch_execz .LBB1862_907
.LBB1862_956:                           ;   in Loop: Header=BB1862_899 Depth=2
	global_load_u16 v34, v2, s[8:9] offset:2048 scale_offset
	s_wait_xcnt 0x0
	s_or_b32 exec_lo, exec_lo, s11
	s_delay_alu instid0(SALU_CYCLE_1)
	s_mov_b32 s11, exec_lo
	v_cmpx_gt_u32_e64 s7, v72
	s_cbranch_execz .LBB1862_908
.LBB1862_957:                           ;   in Loop: Header=BB1862_899 Depth=2
	global_load_u16 v33, v2, s[8:9] offset:2560 scale_offset
	s_wait_xcnt 0x0
	s_or_b32 exec_lo, exec_lo, s11
	s_delay_alu instid0(SALU_CYCLE_1)
	s_mov_b32 s11, exec_lo
	v_cmpx_gt_u32_e64 s7, v73
	s_cbranch_execz .LBB1862_909
.LBB1862_958:                           ;   in Loop: Header=BB1862_899 Depth=2
	global_load_u16 v32, v2, s[8:9] offset:3072 scale_offset
	s_wait_xcnt 0x0
	s_or_b32 exec_lo, exec_lo, s11
	s_delay_alu instid0(SALU_CYCLE_1)
	s_mov_b32 s11, exec_lo
	v_cmpx_gt_u32_e64 s7, v74
	s_cbranch_execz .LBB1862_910
.LBB1862_959:                           ;   in Loop: Header=BB1862_899 Depth=2
	global_load_u16 v31, v2, s[8:9] offset:3584 scale_offset
	s_wait_xcnt 0x0
	s_or_b32 exec_lo, exec_lo, s11
	s_delay_alu instid0(SALU_CYCLE_1)
	s_mov_b32 s11, exec_lo
	v_cmpx_gt_u32_e64 s7, v75
	s_cbranch_execz .LBB1862_911
.LBB1862_960:                           ;   in Loop: Header=BB1862_899 Depth=2
	global_load_u16 v30, v2, s[8:9] offset:4096 scale_offset
	s_wait_xcnt 0x0
	s_or_b32 exec_lo, exec_lo, s11
	s_delay_alu instid0(SALU_CYCLE_1)
	s_mov_b32 s11, exec_lo
	v_cmpx_gt_u32_e64 s7, v76
	s_cbranch_execz .LBB1862_912
.LBB1862_961:                           ;   in Loop: Header=BB1862_899 Depth=2
	global_load_u16 v29, v2, s[8:9] offset:4608 scale_offset
	s_wait_xcnt 0x0
	s_or_b32 exec_lo, exec_lo, s11
	s_delay_alu instid0(SALU_CYCLE_1)
	s_mov_b32 s11, exec_lo
	v_cmpx_gt_u32_e64 s7, v77
	s_cbranch_execz .LBB1862_913
.LBB1862_962:                           ;   in Loop: Header=BB1862_899 Depth=2
	global_load_u16 v28, v2, s[8:9] offset:5120 scale_offset
	s_wait_xcnt 0x0
	s_or_b32 exec_lo, exec_lo, s11
	s_delay_alu instid0(SALU_CYCLE_1)
	s_mov_b32 s11, exec_lo
	v_cmpx_gt_u32_e64 s7, v78
	s_cbranch_execz .LBB1862_914
.LBB1862_963:                           ;   in Loop: Header=BB1862_899 Depth=2
	global_load_u16 v27, v2, s[8:9] offset:5632 scale_offset
	s_wait_xcnt 0x0
	s_or_b32 exec_lo, exec_lo, s11
	s_delay_alu instid0(SALU_CYCLE_1)
	s_mov_b32 s11, exec_lo
	v_cmpx_gt_u32_e64 s7, v79
	s_cbranch_execz .LBB1862_915
.LBB1862_964:                           ;   in Loop: Header=BB1862_899 Depth=2
	global_load_u16 v26, v2, s[8:9] offset:6144 scale_offset
	s_wait_xcnt 0x0
	s_or_b32 exec_lo, exec_lo, s11
	s_delay_alu instid0(SALU_CYCLE_1)
	s_mov_b32 s11, exec_lo
	v_cmpx_gt_u32_e64 s7, v80
	s_cbranch_execz .LBB1862_916
.LBB1862_965:                           ;   in Loop: Header=BB1862_899 Depth=2
	global_load_u16 v25, v2, s[8:9] offset:6656 scale_offset
	s_wait_xcnt 0x0
	s_or_b32 exec_lo, exec_lo, s11
	s_delay_alu instid0(SALU_CYCLE_1)
	s_mov_b32 s11, exec_lo
	v_cmpx_gt_u32_e64 s7, v81
	s_cbranch_execz .LBB1862_917
.LBB1862_966:                           ;   in Loop: Header=BB1862_899 Depth=2
	global_load_u16 v24, v2, s[8:9] offset:7168 scale_offset
	s_wait_xcnt 0x0
	s_or_b32 exec_lo, exec_lo, s11
	s_delay_alu instid0(SALU_CYCLE_1)
	s_mov_b32 s11, exec_lo
	v_cmpx_gt_u32_e64 s7, v82
	s_cbranch_execnz .LBB1862_918
	s_branch .LBB1862_919
.LBB1862_967:                           ;   in Loop: Header=BB1862_17 Depth=1
	v_mov_b32_e32 v23, 0
	s_wait_dscnt 0x0
	s_barrier_signal -1
	s_barrier_wait -1
	s_and_saveexec_b32 s7, s0
	s_cbranch_execz .LBB1862_969
; %bb.968:                              ;   in Loop: Header=BB1862_17 Depth=1
	ds_load_2addr_b64 v[24:27], v85 offset1:1
	s_wait_dscnt 0x0
	v_add_nc_u32_e32 v23, v25, v24
	s_delay_alu instid0(VALU_DEP_1)
	v_add3_u32 v23, v23, v26, v27
.LBB1862_969:                           ;   in Loop: Header=BB1862_17 Depth=1
	s_or_b32 exec_lo, exec_lo, s7
	s_delay_alu instid0(VALU_DEP_1)
	v_mov_b32_dpp v24, v23 row_shr:1 row_mask:0xf bank_mask:0xf
	v_cmp_eq_u32_e64 s7, 0, v97
	v_cmp_lt_u32_e64 s8, 1, v97
	v_cmp_lt_u32_e64 s9, 3, v97
	;; [unrolled: 1-line block ×3, first 2 shown]
	v_cmp_eq_u32_e64 s11, 0, v99
	v_cndmask_b32_e64 v24, v24, 0, s7
	s_delay_alu instid0(VALU_DEP_1) | instskip(NEXT) | instid1(VALU_DEP_1)
	v_add_nc_u32_e32 v23, v24, v23
	v_mov_b32_dpp v24, v23 row_shr:2 row_mask:0xf bank_mask:0xf
	s_delay_alu instid0(VALU_DEP_1) | instskip(NEXT) | instid1(VALU_DEP_1)
	v_cndmask_b32_e64 v24, 0, v24, s8
	v_add_nc_u32_e32 v23, v23, v24
	s_delay_alu instid0(VALU_DEP_1) | instskip(NEXT) | instid1(VALU_DEP_1)
	v_mov_b32_dpp v24, v23 row_shr:4 row_mask:0xf bank_mask:0xf
	v_cndmask_b32_e64 v24, 0, v24, s9
	s_delay_alu instid0(VALU_DEP_1) | instskip(NEXT) | instid1(VALU_DEP_1)
	v_add_nc_u32_e32 v23, v23, v24
	v_mov_b32_dpp v24, v23 row_shr:8 row_mask:0xf bank_mask:0xf
	s_delay_alu instid0(VALU_DEP_1) | instskip(NEXT) | instid1(VALU_DEP_1)
	v_cndmask_b32_e64 v24, 0, v24, s10
	v_add_nc_u32_e32 v23, v23, v24
	ds_swizzle_b32 v24, v23 offset:swizzle(BROADCAST,32,15)
	s_wait_dscnt 0x0
	v_and_b32_e32 v24, v98, v24
	s_delay_alu instid0(VALU_DEP_1)
	v_add_nc_u32_e32 v23, v23, v24
	s_and_saveexec_b32 s12, s1
; %bb.970:                              ;   in Loop: Header=BB1862_17 Depth=1
	ds_store_b32 v86, v23
; %bb.971:                              ;   in Loop: Header=BB1862_17 Depth=1
	s_or_b32 exec_lo, exec_lo, s12
	s_wait_dscnt 0x0
	s_barrier_signal -1
	s_barrier_wait -1
	s_and_saveexec_b32 s12, s4
	s_cbranch_execz .LBB1862_973
; %bb.972:                              ;   in Loop: Header=BB1862_17 Depth=1
	ds_load_b32 v24, v87
	v_cmp_ne_u32_e32 vcc_lo, 0, v101
	s_wait_dscnt 0x0
	v_mov_b32_dpp v25, v24 row_shr:1 row_mask:0xf bank_mask:0xf
	s_delay_alu instid0(VALU_DEP_1) | instskip(SKIP_1) | instid1(VALU_DEP_2)
	v_cndmask_b32_e32 v25, 0, v25, vcc_lo
	v_cmp_lt_u32_e32 vcc_lo, 1, v101
	v_add_nc_u32_e32 v24, v25, v24
	s_delay_alu instid0(VALU_DEP_1) | instskip(NEXT) | instid1(VALU_DEP_1)
	v_mov_b32_dpp v25, v24 row_shr:2 row_mask:0xf bank_mask:0xf
	v_cndmask_b32_e32 v25, 0, v25, vcc_lo
	v_cmp_lt_u32_e32 vcc_lo, 3, v101
	s_delay_alu instid0(VALU_DEP_2) | instskip(NEXT) | instid1(VALU_DEP_1)
	v_add_nc_u32_e32 v24, v24, v25
	v_mov_b32_dpp v25, v24 row_shr:4 row_mask:0xf bank_mask:0xf
	s_delay_alu instid0(VALU_DEP_1) | instskip(NEXT) | instid1(VALU_DEP_1)
	v_cndmask_b32_e32 v25, 0, v25, vcc_lo
	v_add_nc_u32_e32 v24, v24, v25
	ds_store_b32 v87, v24
.LBB1862_973:                           ;   in Loop: Header=BB1862_17 Depth=1
	s_or_b32 exec_lo, exec_lo, s12
	v_mov_b32_e32 v24, 0
	s_wait_dscnt 0x0
	s_barrier_signal -1
	s_barrier_wait -1
	s_and_saveexec_b32 s12, s5
; %bb.974:                              ;   in Loop: Header=BB1862_17 Depth=1
	ds_load_b32 v24, v88
; %bb.975:                              ;   in Loop: Header=BB1862_17 Depth=1
	s_or_b32 exec_lo, exec_lo, s12
	v_cmp_gt_i32_e32 vcc_lo, 0, v102
	s_wait_dscnt 0x0
	s_barrier_signal -1
	s_barrier_wait -1
	v_cndmask_b32_e32 v25, v102, v95, vcc_lo
	s_delay_alu instid0(VALU_DEP_1)
	v_dual_add_nc_u32 v23, v24, v23 :: v_dual_lshlrev_b32 v122, 2, v25
	ds_bpermute_b32 v23, v122, v23
	s_and_saveexec_b32 s12, s0
	s_cbranch_execz .LBB1862_977
; %bb.976:                              ;   in Loop: Header=BB1862_17 Depth=1
	s_wait_dscnt 0x0
	v_cndmask_b32_e64 v23, v23, v24, s6
	s_delay_alu instid0(VALU_DEP_1)
	v_add_nc_u32_e32 v23, s54, v23
	ds_store_b32 v3, v23
.LBB1862_977:                           ;   in Loop: Header=BB1862_17 Depth=1
	s_or_b32 exec_lo, exec_lo, s12
	s_load_b64 s[12:13], s[34:35], 0x0
	s_mov_b32 s53, s56
                                        ; implicit-def: $vgpr30_vgpr31
                                        ; implicit-def: $vgpr32_vgpr33
                                        ; implicit-def: $vgpr34_vgpr35
                                        ; implicit-def: $vgpr36_vgpr37
                                        ; implicit-def: $vgpr38_vgpr39
                                        ; implicit-def: $vgpr40_vgpr41
                                        ; implicit-def: $vgpr42_vgpr43
                                        ; implicit-def: $vgpr44_vgpr45
                                        ; implicit-def: $vgpr46_vgpr47
                                        ; implicit-def: $vgpr48_vgpr49
                                        ; implicit-def: $vgpr50_vgpr51
                                        ; implicit-def: $vgpr52_vgpr53
                                        ; implicit-def: $vgpr54_vgpr55
                                        ; implicit-def: $vgpr56_vgpr57
                                        ; implicit-def: $vgpr58_vgpr59
                                        ; implicit-def: $vgpr123
                                        ; implicit-def: $vgpr124
                                        ; implicit-def: $vgpr125
                                        ; implicit-def: $vgpr126
                                        ; implicit-def: $vgpr127
                                        ; implicit-def: $vgpr128
                                        ; implicit-def: $vgpr129
                                        ; implicit-def: $vgpr130
                                        ; implicit-def: $vgpr131
                                        ; implicit-def: $vgpr132
                                        ; implicit-def: $vgpr133
                                        ; implicit-def: $vgpr134
                                        ; implicit-def: $vgpr135
                                        ; implicit-def: $vgpr136
                                        ; implicit-def: $vgpr137
                                        ; implicit-def: $vgpr138
	s_wait_kmcnt 0x0
	s_cmp_lt_u32 s33, s12
	s_cselect_b32 s42, 12, 18
	s_cmp_lt_u32 s31, s13
	s_mov_b32 s13, s43
	s_cselect_b32 s12, 14, 20
	s_delay_alu instid0(SALU_CYCLE_1)
	s_add_nc_u64 s[12:13], s[34:35], s[12:13]
	s_load_u16 s14, s[12:13], 0x0
	s_wait_xcnt 0x0
	s_add_nc_u64 s[12:13], s[34:35], s[42:43]
	s_mov_b32 s42, s54
	s_load_u16 s12, s[12:13], 0x0
	s_wait_xcnt 0x0
	v_cmp_lt_u32_e64 s13, 1, v101
	s_wait_dscnt 0x0
	s_wait_kmcnt 0x0
	v_mad_u32_u24 v23, v89, s14, v90
	v_cmp_lt_u32_e64 s14, 3, v101
	s_delay_alu instid0(VALU_DEP_2) | instskip(SKIP_2) | instid1(VALU_DEP_3)
	v_mad_u32 v24, v23, s12, v2
	v_mov_b32_e32 v23, v5
	v_cmp_eq_u32_e64 s12, 0, v101
	v_lshrrev_b32_e32 v28, 3, v24
	v_add_nc_u64_e32 v[24:25], v[18:19], v[4:5]
	s_delay_alu instid0(VALU_DEP_4) | instskip(NEXT) | instid1(VALU_DEP_3)
	v_add_nc_u64_e32 v[26:27], v[20:21], v[22:23]
	v_and_b32_e32 v23, 0x1ffffffc, v28
                                        ; implicit-def: $vgpr28_vgpr29
	s_branch .LBB1862_979
.LBB1862_978:                           ;   in Loop: Header=BB1862_979 Depth=2
	s_or_b32 exec_lo, exec_lo, s15
	s_addk_co_i32 s53, 0xf000
	s_cmp_lt_u32 s57, s51
	s_mov_b32 s42, s57
	s_cbranch_scc0 .LBB1862_15
.LBB1862_979:                           ;   Parent Loop BB1862_17 Depth=1
                                        ; =>  This Inner Loop Header: Depth=2
	s_add_co_i32 s57, s42, 0x1000
	s_delay_alu instid0(SALU_CYCLE_1)
	s_cmp_gt_u32 s57, s51
	s_cbranch_scc1 .LBB1862_981
; %bb.980:                              ;   in Loop: Header=BB1862_979 Depth=2
	s_delay_alu instid0(VALU_DEP_2)
	v_lshl_add_u64 v[60:61], s[42:43], 1, v[26:27]
	s_mov_b32 s15, -1
	s_clause 0xe
	global_load_u16 v140, v[60:61], off
	global_load_u16 v141, v[60:61], off offset:64
	global_load_u16 v144, v[60:61], off offset:128
	;; [unrolled: 1-line block ×14, first 2 shown]
	s_movk_i32 s16, 0x1000
	s_cbranch_execz .LBB1862_982
	s_branch .LBB1862_1013
.LBB1862_981:                           ;   in Loop: Header=BB1862_979 Depth=2
	s_mov_b32 s15, 0
                                        ; implicit-def: $vgpr140
                                        ; implicit-def: $vgpr141
                                        ; implicit-def: $vgpr144
                                        ; implicit-def: $vgpr148
                                        ; implicit-def: $vgpr152
                                        ; implicit-def: $vgpr156
                                        ; implicit-def: $vgpr160
                                        ; implicit-def: $vgpr164
                                        ; implicit-def: $vgpr168
                                        ; implicit-def: $vgpr67
                                        ; implicit-def: $vgpr66
                                        ; implicit-def: $vgpr65
                                        ; implicit-def: $vgpr64
                                        ; implicit-def: $vgpr63
                                        ; implicit-def: $vgpr62
	s_movk_i32 s16, 0x1000
.LBB1862_982:                           ;   in Loop: Header=BB1862_979 Depth=2
	s_wait_xcnt 0x0
	v_lshl_add_u64 v[60:61], s[42:43], 1, v[26:27]
	s_wait_loadcnt 0xd
	v_dual_mov_b32 v141, 0x7fff :: v_dual_mov_b32 v140, 0x7fff
	s_mov_b32 s15, exec_lo
	v_cmpx_gt_u32_e64 s53, v100
	s_cbranch_execz .LBB1862_984
; %bb.983:                              ;   in Loop: Header=BB1862_979 Depth=2
	global_load_u16 v140, v[60:61], off
.LBB1862_984:                           ;   in Loop: Header=BB1862_979 Depth=2
	s_wait_xcnt 0x0
	s_or_b32 exec_lo, exec_lo, s15
	s_delay_alu instid0(SALU_CYCLE_1)
	s_mov_b32 s15, exec_lo
	v_cmpx_gt_u32_e64 s53, v103
	s_cbranch_execz .LBB1862_986
; %bb.985:                              ;   in Loop: Header=BB1862_979 Depth=2
	global_load_u16 v141, v[60:61], off offset:64
.LBB1862_986:                           ;   in Loop: Header=BB1862_979 Depth=2
	s_wait_xcnt 0x0
	s_or_b32 exec_lo, exec_lo, s15
	s_wait_loadcnt 0xb
	v_mov_b32_e32 v148, 0x7fff
	v_mov_b32_e32 v144, 0x7fff
	s_mov_b32 s15, exec_lo
	v_cmpx_gt_u32_e64 s53, v104
	s_cbranch_execz .LBB1862_988
; %bb.987:                              ;   in Loop: Header=BB1862_979 Depth=2
	global_load_u16 v144, v[60:61], off offset:128
.LBB1862_988:                           ;   in Loop: Header=BB1862_979 Depth=2
	s_wait_xcnt 0x0
	s_or_b32 exec_lo, exec_lo, s15
	s_delay_alu instid0(SALU_CYCLE_1)
	s_mov_b32 s15, exec_lo
	v_cmpx_gt_u32_e64 s53, v105
	s_cbranch_execz .LBB1862_990
; %bb.989:                              ;   in Loop: Header=BB1862_979 Depth=2
	global_load_u16 v148, v[60:61], off offset:192
.LBB1862_990:                           ;   in Loop: Header=BB1862_979 Depth=2
	s_wait_xcnt 0x0
	s_or_b32 exec_lo, exec_lo, s15
	s_wait_loadcnt 0x9
	v_mov_b32_e32 v156, 0x7fff
	v_mov_b32_e32 v152, 0x7fff
	s_mov_b32 s15, exec_lo
	v_cmpx_gt_u32_e64 s53, v106
	s_cbranch_execz .LBB1862_992
; %bb.991:                              ;   in Loop: Header=BB1862_979 Depth=2
	global_load_u16 v152, v[60:61], off offset:256
.LBB1862_992:                           ;   in Loop: Header=BB1862_979 Depth=2
	;; [unrolled: 20-line block ×3, first 2 shown]
	s_wait_xcnt 0x0
	s_or_b32 exec_lo, exec_lo, s15
	s_delay_alu instid0(SALU_CYCLE_1)
	s_mov_b32 s15, exec_lo
	v_cmpx_gt_u32_e64 s53, v109
	s_cbranch_execz .LBB1862_998
; %bb.997:                              ;   in Loop: Header=BB1862_979 Depth=2
	global_load_u16 v164, v[60:61], off offset:448
.LBB1862_998:                           ;   in Loop: Header=BB1862_979 Depth=2
	s_wait_xcnt 0x0
	s_or_b32 exec_lo, exec_lo, s15
	s_wait_loadcnt 0x5
	v_dual_mov_b32 v67, 0x7fff :: v_dual_mov_b32 v168, 0x7fff
	s_mov_b32 s15, exec_lo
	v_cmpx_gt_u32_e64 s53, v110
	s_cbranch_execz .LBB1862_1000
; %bb.999:                              ;   in Loop: Header=BB1862_979 Depth=2
	global_load_u16 v168, v[60:61], off offset:512
.LBB1862_1000:                          ;   in Loop: Header=BB1862_979 Depth=2
	s_wait_xcnt 0x0
	s_or_b32 exec_lo, exec_lo, s15
	s_delay_alu instid0(SALU_CYCLE_1)
	s_mov_b32 s15, exec_lo
	v_cmpx_gt_u32_e64 s53, v111
	s_cbranch_execz .LBB1862_1002
; %bb.1001:                             ;   in Loop: Header=BB1862_979 Depth=2
	global_load_u16 v67, v[60:61], off offset:576
.LBB1862_1002:                          ;   in Loop: Header=BB1862_979 Depth=2
	s_wait_xcnt 0x0
	s_or_b32 exec_lo, exec_lo, s15
	s_wait_loadcnt 0x3
	v_dual_mov_b32 v65, 0x7fff :: v_dual_mov_b32 v66, 0x7fff
	s_mov_b32 s15, exec_lo
	v_cmpx_gt_u32_e64 s53, v112
	s_cbranch_execz .LBB1862_1004
; %bb.1003:                             ;   in Loop: Header=BB1862_979 Depth=2
	global_load_u16 v66, v[60:61], off offset:640
.LBB1862_1004:                          ;   in Loop: Header=BB1862_979 Depth=2
	s_wait_xcnt 0x0
	s_or_b32 exec_lo, exec_lo, s15
	s_delay_alu instid0(SALU_CYCLE_1)
	s_mov_b32 s15, exec_lo
	v_cmpx_gt_u32_e64 s53, v113
	s_cbranch_execz .LBB1862_1006
; %bb.1005:                             ;   in Loop: Header=BB1862_979 Depth=2
	global_load_u16 v65, v[60:61], off offset:704
.LBB1862_1006:                          ;   in Loop: Header=BB1862_979 Depth=2
	s_wait_xcnt 0x0
	s_or_b32 exec_lo, exec_lo, s15
	s_wait_loadcnt 0x1
	v_dual_mov_b32 v63, 0x7fff :: v_dual_mov_b32 v64, 0x7fff
	s_mov_b32 s15, exec_lo
	v_cmpx_gt_u32_e64 s53, v114
	s_cbranch_execz .LBB1862_1008
; %bb.1007:                             ;   in Loop: Header=BB1862_979 Depth=2
	global_load_u16 v64, v[60:61], off offset:768
.LBB1862_1008:                          ;   in Loop: Header=BB1862_979 Depth=2
	s_wait_xcnt 0x0
	s_or_b32 exec_lo, exec_lo, s15
	s_delay_alu instid0(SALU_CYCLE_1)
	s_mov_b32 s15, exec_lo
	v_cmpx_gt_u32_e64 s53, v115
	s_cbranch_execz .LBB1862_1010
; %bb.1009:                             ;   in Loop: Header=BB1862_979 Depth=2
	global_load_u16 v63, v[60:61], off offset:832
.LBB1862_1010:                          ;   in Loop: Header=BB1862_979 Depth=2
	s_wait_xcnt 0x0
	s_or_b32 exec_lo, exec_lo, s15
	s_wait_loadcnt 0x0
	v_mov_b32_e32 v62, 0x7fff
	s_mov_b32 s15, exec_lo
	v_cmpx_gt_u32_e64 s53, v116
	s_cbranch_execz .LBB1862_1012
; %bb.1011:                             ;   in Loop: Header=BB1862_979 Depth=2
	global_load_u16 v62, v[60:61], off offset:896
.LBB1862_1012:                          ;   in Loop: Header=BB1862_979 Depth=2
	s_wait_xcnt 0x0
	s_or_b32 exec_lo, exec_lo, s15
	v_cmp_gt_u32_e64 s15, s53, v117
	s_sub_co_i32 s16, s51, s42
.LBB1862_1013:                          ;   in Loop: Header=BB1862_979 Depth=2
	s_wait_xcnt 0x0
	v_dual_mov_b32 v60, 0x7fff :: v_dual_mov_b32 v139, s53
	s_and_saveexec_b32 s17, s15
	s_cbranch_execz .LBB1862_1015
; %bb.1014:                             ;   in Loop: Header=BB1862_979 Depth=2
	v_lshl_add_u64 v[60:61], s[42:43], 1, v[26:27]
	v_mov_b32_e32 v139, s16
	global_load_u16 v60, v[60:61], off offset:960
.LBB1862_1015:                          ;   in Loop: Header=BB1862_979 Depth=2
	s_wait_xcnt 0x0
	s_or_b32 exec_lo, exec_lo, s17
	s_wait_loadcnt 0xe
	v_cmp_lt_i16_e64 vcc_lo, -1, v140
	ds_store_2addr_b32 v121, v5, v5 offset1:1
	ds_store_2addr_b32 v118, v5, v5 offset1:1
	ds_store_2addr_b32 v119, v5, v5 offset1:1
	ds_store_2addr_b32 v120, v5, v5 offset1:1
	ds_store_b32 v91, v5 offset:1088
	s_wait_loadcnt_dscnt 0x0
	s_barrier_signal -1
	v_cndmask_b32_e64 v61, -1, 0xffff8000, vcc_lo
	s_barrier_wait -1
	; wave barrier
	s_delay_alu instid0(VALU_DEP_1) | instskip(NEXT) | instid1(VALU_DEP_1)
	v_xor_b32_e32 v140, v61, v140
	v_cmp_ne_u16_e64 vcc_lo, 0x7fff, v140
	v_cndmask_b32_e32 v61, 0xffff8000, v140, vcc_lo
	s_delay_alu instid0(VALU_DEP_1) | instskip(NEXT) | instid1(VALU_DEP_1)
	v_and_b32_e32 v61, 0xffff, v61
	v_lshrrev_b32_e32 v61, s49, v61
	s_delay_alu instid0(VALU_DEP_1) | instskip(SKIP_1) | instid1(VALU_DEP_2)
	v_bitop3_b32 v142, v61, 1, s52 bitop3:0x80
	v_and_b32_e32 v143, s52, v61
	v_add_co_u32 v61, s15, v142, -1
	s_delay_alu instid0(VALU_DEP_1) | instskip(NEXT) | instid1(VALU_DEP_3)
	v_cndmask_b32_e64 v142, 0, 1, s15
	v_lshlrev_b32_e32 v145, 30, v143
	s_delay_alu instid0(VALU_DEP_2) | instskip(NEXT) | instid1(VALU_DEP_2)
	v_cmp_ne_u32_e32 vcc_lo, 0, v142
	v_not_b32_e32 v142, v145
	s_delay_alu instid0(VALU_DEP_1) | instskip(SKIP_3) | instid1(VALU_DEP_4)
	v_dual_ashrrev_i32 v142, 31, v142 :: v_dual_lshlrev_b32 v146, 29, v143
	v_dual_lshlrev_b32 v147, 28, v143 :: v_dual_lshlrev_b32 v149, 27, v143
	v_lshlrev_b32_e32 v150, 26, v143
	v_cmp_gt_i32_e64 s15, 0, v145
	v_cmp_gt_i32_e64 s16, 0, v146
	v_not_b32_e32 v145, v146
	v_not_b32_e32 v146, v147
	v_dual_lshlrev_b32 v151, 25, v143 :: v_dual_lshlrev_b32 v153, 24, v143
	v_cmp_gt_i32_e64 s17, 0, v147
	v_cmp_gt_i32_e64 s18, 0, v149
	v_not_b32_e32 v147, v149
	v_not_b32_e32 v149, v150
	v_dual_ashrrev_i32 v146, 31, v146 :: v_dual_bitop2_b32 v61, vcc_lo, v61 bitop3:0x14
	v_dual_ashrrev_i32 v145, 31, v145 :: v_dual_bitop2_b32 v142, s15, v142 bitop3:0x14
	v_cmp_gt_i32_e64 s19, 0, v150
	v_cmp_gt_i32_e64 s20, 0, v151
	v_not_b32_e32 v150, v151
	v_not_b32_e32 v151, v153
	v_dual_ashrrev_i32 v147, 31, v147 :: v_dual_ashrrev_i32 v149, 31, v149
	v_xor_b32_e32 v145, s16, v145
	v_xor_b32_e32 v146, s17, v146
	v_bitop3_b32 v61, v61, v142, exec_lo bitop3:0x80
	v_cmp_gt_i32_e64 s21, 0, v153
	v_dual_ashrrev_i32 v142, 31, v150 :: v_dual_ashrrev_i32 v150, 31, v151
	v_xor_b32_e32 v147, s18, v147
	s_delay_alu instid0(VALU_DEP_4) | instskip(SKIP_3) | instid1(VALU_DEP_3)
	v_bitop3_b32 v61, v61, v146, v145 bitop3:0x80
	v_mul_u32_u24_e32 v143, 36, v143
	v_xor_b32_e32 v149, s19, v149
	v_xor_b32_e32 v142, s20, v142
	v_dual_add_nc_u32 v143, v23, v143 :: v_dual_bitop2_b32 v145, s21, v150 bitop3:0x14
	s_delay_alu instid0(VALU_DEP_3) | instskip(NEXT) | instid1(VALU_DEP_1)
	v_bitop3_b32 v61, v61, v149, v147 bitop3:0x80
	v_bitop3_b32 v61, v61, v145, v142 bitop3:0x80
	s_delay_alu instid0(VALU_DEP_1) | instskip(SKIP_1) | instid1(VALU_DEP_2)
	v_mbcnt_lo_u32_b32 v142, v61, 0
	v_cmp_ne_u32_e64 s15, 0, v61
	v_cmp_eq_u32_e32 vcc_lo, 0, v142
	s_and_b32 s16, s15, vcc_lo
	s_delay_alu instid0(SALU_CYCLE_1)
	s_and_saveexec_b32 s15, s16
; %bb.1016:                             ;   in Loop: Header=BB1862_979 Depth=2
	v_bcnt_u32_b32 v61, v61, 0
	ds_store_b32 v143, v61 offset:1056
; %bb.1017:                             ;   in Loop: Header=BB1862_979 Depth=2
	s_or_b32 exec_lo, exec_lo, s15
	v_cmp_lt_i16_e64 vcc_lo, -1, v141
	; wave barrier
	s_delay_alu instid0(VALU_DEP_1) | instskip(NEXT) | instid1(VALU_DEP_1)
	v_cndmask_b32_e64 v61, -1, 0xffff8000, vcc_lo
	v_xor_b32_e32 v141, v61, v141
	s_delay_alu instid0(VALU_DEP_1) | instskip(SKIP_1) | instid1(VALU_DEP_1)
	v_cmp_ne_u16_e64 vcc_lo, 0x7fff, v141
	v_cndmask_b32_e32 v61, 0xffff8000, v141, vcc_lo
	v_and_b32_e32 v61, 0xffff, v61
	s_delay_alu instid0(VALU_DEP_1) | instskip(NEXT) | instid1(VALU_DEP_1)
	v_lshrrev_b32_e32 v61, s49, v61
	v_and_b32_e32 v147, s52, v61
	s_delay_alu instid0(VALU_DEP_1) | instskip(SKIP_2) | instid1(VALU_DEP_3)
	v_lshlrev_b32_e32 v149, 29, v147
	v_bitop3_b32 v145, v61, 1, s52 bitop3:0x80
	v_lshlrev_b32_e32 v146, 30, v147
	v_cmp_gt_i32_e64 s16, 0, v149
	s_delay_alu instid0(VALU_DEP_3) | instskip(NEXT) | instid1(VALU_DEP_1)
	v_add_co_u32 v61, s15, v145, -1
	v_cndmask_b32_e64 v145, 0, 1, s15
	s_delay_alu instid0(VALU_DEP_4) | instskip(NEXT) | instid1(VALU_DEP_2)
	v_cmp_gt_i32_e64 s15, 0, v146
	v_cmp_ne_u32_e32 vcc_lo, 0, v145
	v_not_b32_e32 v145, v146
	v_not_b32_e32 v146, v149
	s_delay_alu instid0(VALU_DEP_1) | instskip(SKIP_2) | instid1(VALU_DEP_3)
	v_dual_ashrrev_i32 v146, 31, v146 :: v_dual_lshlrev_b32 v150, 28, v147
	v_dual_lshlrev_b32 v151, 27, v147 :: v_dual_lshlrev_b32 v153, 26, v147
	v_dual_lshlrev_b32 v154, 25, v147 :: v_dual_lshlrev_b32 v155, 24, v147
	v_cmp_gt_i32_e64 s17, 0, v150
	v_not_b32_e32 v149, v150
	s_delay_alu instid0(VALU_DEP_4)
	v_not_b32_e32 v150, v151
	v_ashrrev_i32_e32 v145, 31, v145
	v_cmp_gt_i32_e64 s18, 0, v151
	v_cmp_gt_i32_e64 s19, 0, v153
	v_not_b32_e32 v151, v153
	v_cmp_gt_i32_e64 s20, 0, v154
	v_not_b32_e32 v153, v154
	v_not_b32_e32 v154, v155
	s_delay_alu instid0(VALU_DEP_4) | instskip(SKIP_3) | instid1(VALU_DEP_3)
	v_dual_ashrrev_i32 v151, 31, v151 :: v_dual_bitop2_b32 v61, vcc_lo, v61 bitop3:0x14
	v_dual_ashrrev_i32 v149, 31, v149 :: v_dual_bitop2_b32 v146, s16, v146 bitop3:0x14
	v_dual_ashrrev_i32 v150, 31, v150 :: v_dual_bitop2_b32 v145, s15, v145 bitop3:0x14
	v_cmp_gt_i32_e64 s21, 0, v155
	v_xor_b32_e32 v149, s17, v149
	v_xor_b32_e32 v151, s19, v151
	s_delay_alu instid0(VALU_DEP_4) | instskip(SKIP_2) | instid1(VALU_DEP_2)
	v_xor_b32_e32 v150, s18, v150
	v_bitop3_b32 v61, v61, v145, exec_lo bitop3:0x80
	v_dual_ashrrev_i32 v145, 31, v153 :: v_dual_ashrrev_i32 v153, 31, v154
	v_bitop3_b32 v61, v61, v149, v146 bitop3:0x80
	v_mad_u32_u24 v146, v147, 36, v23
	s_delay_alu instid0(VALU_DEP_3) | instskip(NEXT) | instid1(VALU_DEP_4)
	v_xor_b32_e32 v149, s20, v145
	v_xor_b32_e32 v153, s21, v153
	v_mul_u32_u24_e32 v147, 36, v147
	v_bitop3_b32 v61, v61, v151, v150 bitop3:0x80
	ds_load_b32 v145, v146 offset:1056
	; wave barrier
	v_add_nc_u32_e32 v147, v23, v147
	v_bitop3_b32 v61, v61, v153, v149 bitop3:0x80
	s_delay_alu instid0(VALU_DEP_1) | instskip(SKIP_1) | instid1(VALU_DEP_2)
	v_mbcnt_lo_u32_b32 v146, v61, 0
	v_cmp_ne_u32_e64 s15, 0, v61
	v_cmp_eq_u32_e32 vcc_lo, 0, v146
	s_and_b32 s16, s15, vcc_lo
	s_delay_alu instid0(SALU_CYCLE_1)
	s_and_saveexec_b32 s15, s16
	s_cbranch_execz .LBB1862_1019
; %bb.1018:                             ;   in Loop: Header=BB1862_979 Depth=2
	s_wait_dscnt 0x0
	v_bcnt_u32_b32 v61, v61, v145
	ds_store_b32 v147, v61 offset:1056
.LBB1862_1019:                          ;   in Loop: Header=BB1862_979 Depth=2
	s_or_b32 exec_lo, exec_lo, s15
	v_cmp_lt_i16_e64 vcc_lo, -1, v144
	; wave barrier
	s_delay_alu instid0(VALU_DEP_1) | instskip(NEXT) | instid1(VALU_DEP_1)
	v_cndmask_b32_e64 v61, -1, 0xffff8000, vcc_lo
	v_xor_b32_e32 v144, v61, v144
	s_delay_alu instid0(VALU_DEP_1) | instskip(SKIP_1) | instid1(VALU_DEP_1)
	v_cmp_ne_u16_e64 vcc_lo, 0x7fff, v144
	v_cndmask_b32_e32 v61, 0xffff8000, v144, vcc_lo
	v_and_b32_e32 v61, 0xffff, v61
	s_delay_alu instid0(VALU_DEP_1) | instskip(NEXT) | instid1(VALU_DEP_1)
	v_lshrrev_b32_e32 v61, s49, v61
	v_bitop3_b32 v149, v61, 1, s52 bitop3:0x80
	v_and_b32_e32 v151, s52, v61
	s_delay_alu instid0(VALU_DEP_2) | instskip(NEXT) | instid1(VALU_DEP_1)
	v_add_co_u32 v61, s15, v149, -1
	v_cndmask_b32_e64 v149, 0, 1, s15
	s_delay_alu instid0(VALU_DEP_3) | instskip(NEXT) | instid1(VALU_DEP_2)
	v_dual_lshlrev_b32 v150, 30, v151 :: v_dual_lshlrev_b32 v153, 29, v151
	v_cmp_ne_u32_e32 vcc_lo, 0, v149
	s_delay_alu instid0(VALU_DEP_2) | instskip(SKIP_1) | instid1(VALU_DEP_4)
	v_cmp_gt_i32_e64 s15, 0, v150
	v_not_b32_e32 v149, v150
	v_not_b32_e32 v150, v153
	s_delay_alu instid0(VALU_DEP_1) | instskip(SKIP_3) | instid1(VALU_DEP_4)
	v_dual_ashrrev_i32 v150, 31, v150 :: v_dual_lshlrev_b32 v154, 28, v151
	v_dual_lshlrev_b32 v155, 27, v151 :: v_dual_lshlrev_b32 v157, 26, v151
	v_dual_lshlrev_b32 v158, 25, v151 :: v_dual_lshlrev_b32 v159, 24, v151
	v_cmp_gt_i32_e64 s16, 0, v153
	v_cmp_gt_i32_e64 s17, 0, v154
	v_not_b32_e32 v153, v154
	v_not_b32_e32 v154, v155
	v_ashrrev_i32_e32 v149, 31, v149
	v_cmp_gt_i32_e64 s18, 0, v155
	v_cmp_gt_i32_e64 s19, 0, v157
	v_not_b32_e32 v155, v157
	v_cmp_gt_i32_e64 s20, 0, v158
	v_not_b32_e32 v157, v158
	v_not_b32_e32 v158, v159
	s_delay_alu instid0(VALU_DEP_4) | instskip(SKIP_3) | instid1(VALU_DEP_3)
	v_dual_ashrrev_i32 v155, 31, v155 :: v_dual_bitop2_b32 v61, vcc_lo, v61 bitop3:0x14
	v_dual_ashrrev_i32 v153, 31, v153 :: v_dual_bitop2_b32 v150, s16, v150 bitop3:0x14
	v_dual_ashrrev_i32 v154, 31, v154 :: v_dual_bitop2_b32 v149, s15, v149 bitop3:0x14
	v_cmp_gt_i32_e64 s21, 0, v159
	v_xor_b32_e32 v153, s17, v153
	v_xor_b32_e32 v155, s19, v155
	s_delay_alu instid0(VALU_DEP_4) | instskip(SKIP_2) | instid1(VALU_DEP_2)
	v_xor_b32_e32 v154, s18, v154
	v_bitop3_b32 v61, v61, v149, exec_lo bitop3:0x80
	v_dual_ashrrev_i32 v149, 31, v157 :: v_dual_ashrrev_i32 v157, 31, v158
	v_bitop3_b32 v61, v61, v153, v150 bitop3:0x80
	v_mad_u32_u24 v150, v151, 36, v23
	s_delay_alu instid0(VALU_DEP_3) | instskip(NEXT) | instid1(VALU_DEP_4)
	v_xor_b32_e32 v153, s20, v149
	v_xor_b32_e32 v157, s21, v157
	v_mul_u32_u24_e32 v151, 36, v151
	v_bitop3_b32 v61, v61, v155, v154 bitop3:0x80
	ds_load_b32 v149, v150 offset:1056
	; wave barrier
	v_add_nc_u32_e32 v151, v23, v151
	v_bitop3_b32 v61, v61, v157, v153 bitop3:0x80
	s_delay_alu instid0(VALU_DEP_1) | instskip(SKIP_1) | instid1(VALU_DEP_2)
	v_mbcnt_lo_u32_b32 v150, v61, 0
	v_cmp_ne_u32_e64 s15, 0, v61
	v_cmp_eq_u32_e32 vcc_lo, 0, v150
	s_and_b32 s16, s15, vcc_lo
	s_delay_alu instid0(SALU_CYCLE_1)
	s_and_saveexec_b32 s15, s16
	s_cbranch_execz .LBB1862_1021
; %bb.1020:                             ;   in Loop: Header=BB1862_979 Depth=2
	s_wait_dscnt 0x0
	v_bcnt_u32_b32 v61, v61, v149
	ds_store_b32 v151, v61 offset:1056
.LBB1862_1021:                          ;   in Loop: Header=BB1862_979 Depth=2
	s_or_b32 exec_lo, exec_lo, s15
	v_cmp_lt_i16_e64 vcc_lo, -1, v148
	; wave barrier
	s_delay_alu instid0(VALU_DEP_1) | instskip(NEXT) | instid1(VALU_DEP_1)
	v_cndmask_b32_e64 v61, -1, 0xffff8000, vcc_lo
	v_xor_b32_e32 v148, v61, v148
	s_delay_alu instid0(VALU_DEP_1) | instskip(SKIP_1) | instid1(VALU_DEP_1)
	v_cmp_ne_u16_e64 vcc_lo, 0x7fff, v148
	v_cndmask_b32_e32 v61, 0xffff8000, v148, vcc_lo
	v_and_b32_e32 v61, 0xffff, v61
	s_delay_alu instid0(VALU_DEP_1) | instskip(NEXT) | instid1(VALU_DEP_1)
	v_lshrrev_b32_e32 v61, s49, v61
	v_bitop3_b32 v153, v61, 1, s52 bitop3:0x80
	v_and_b32_e32 v155, s52, v61
	s_delay_alu instid0(VALU_DEP_2) | instskip(NEXT) | instid1(VALU_DEP_1)
	v_add_co_u32 v61, s15, v153, -1
	v_cndmask_b32_e64 v153, 0, 1, s15
	s_delay_alu instid0(VALU_DEP_3) | instskip(NEXT) | instid1(VALU_DEP_2)
	v_dual_lshlrev_b32 v154, 30, v155 :: v_dual_lshlrev_b32 v157, 29, v155
	v_cmp_ne_u32_e32 vcc_lo, 0, v153
	s_delay_alu instid0(VALU_DEP_2) | instskip(SKIP_1) | instid1(VALU_DEP_4)
	v_cmp_gt_i32_e64 s15, 0, v154
	v_not_b32_e32 v153, v154
	v_not_b32_e32 v154, v157
	s_delay_alu instid0(VALU_DEP_1) | instskip(SKIP_3) | instid1(VALU_DEP_4)
	v_dual_ashrrev_i32 v154, 31, v154 :: v_dual_lshlrev_b32 v158, 28, v155
	v_dual_lshlrev_b32 v159, 27, v155 :: v_dual_lshlrev_b32 v161, 26, v155
	v_dual_lshlrev_b32 v162, 25, v155 :: v_dual_lshlrev_b32 v163, 24, v155
	v_cmp_gt_i32_e64 s16, 0, v157
	v_cmp_gt_i32_e64 s17, 0, v158
	v_not_b32_e32 v157, v158
	v_not_b32_e32 v158, v159
	v_ashrrev_i32_e32 v153, 31, v153
	v_cmp_gt_i32_e64 s18, 0, v159
	v_cmp_gt_i32_e64 s19, 0, v161
	v_not_b32_e32 v159, v161
	v_cmp_gt_i32_e64 s20, 0, v162
	v_not_b32_e32 v161, v162
	v_not_b32_e32 v162, v163
	s_delay_alu instid0(VALU_DEP_4) | instskip(SKIP_3) | instid1(VALU_DEP_3)
	v_dual_ashrrev_i32 v159, 31, v159 :: v_dual_bitop2_b32 v61, vcc_lo, v61 bitop3:0x14
	v_dual_ashrrev_i32 v157, 31, v157 :: v_dual_bitop2_b32 v154, s16, v154 bitop3:0x14
	v_dual_ashrrev_i32 v158, 31, v158 :: v_dual_bitop2_b32 v153, s15, v153 bitop3:0x14
	v_cmp_gt_i32_e64 s21, 0, v163
	v_xor_b32_e32 v157, s17, v157
	v_xor_b32_e32 v159, s19, v159
	s_delay_alu instid0(VALU_DEP_4) | instskip(SKIP_2) | instid1(VALU_DEP_2)
	v_xor_b32_e32 v158, s18, v158
	v_bitop3_b32 v61, v61, v153, exec_lo bitop3:0x80
	v_dual_ashrrev_i32 v153, 31, v161 :: v_dual_ashrrev_i32 v161, 31, v162
	v_bitop3_b32 v61, v61, v157, v154 bitop3:0x80
	v_mad_u32_u24 v154, v155, 36, v23
	s_delay_alu instid0(VALU_DEP_3) | instskip(NEXT) | instid1(VALU_DEP_4)
	v_xor_b32_e32 v157, s20, v153
	v_xor_b32_e32 v161, s21, v161
	v_mul_u32_u24_e32 v155, 36, v155
	v_bitop3_b32 v61, v61, v159, v158 bitop3:0x80
	ds_load_b32 v153, v154 offset:1056
	; wave barrier
	v_add_nc_u32_e32 v155, v23, v155
	v_bitop3_b32 v61, v61, v161, v157 bitop3:0x80
	s_delay_alu instid0(VALU_DEP_1) | instskip(SKIP_1) | instid1(VALU_DEP_2)
	v_mbcnt_lo_u32_b32 v154, v61, 0
	v_cmp_ne_u32_e64 s15, 0, v61
	v_cmp_eq_u32_e32 vcc_lo, 0, v154
	s_and_b32 s16, s15, vcc_lo
	s_delay_alu instid0(SALU_CYCLE_1)
	s_and_saveexec_b32 s15, s16
	s_cbranch_execz .LBB1862_1023
; %bb.1022:                             ;   in Loop: Header=BB1862_979 Depth=2
	s_wait_dscnt 0x0
	v_bcnt_u32_b32 v61, v61, v153
	ds_store_b32 v155, v61 offset:1056
.LBB1862_1023:                          ;   in Loop: Header=BB1862_979 Depth=2
	s_or_b32 exec_lo, exec_lo, s15
	v_cmp_lt_i16_e64 vcc_lo, -1, v152
	; wave barrier
	s_delay_alu instid0(VALU_DEP_1) | instskip(NEXT) | instid1(VALU_DEP_1)
	v_cndmask_b32_e64 v61, -1, 0xffff8000, vcc_lo
	v_xor_b32_e32 v152, v61, v152
	s_delay_alu instid0(VALU_DEP_1) | instskip(SKIP_1) | instid1(VALU_DEP_1)
	v_cmp_ne_u16_e64 vcc_lo, 0x7fff, v152
	v_cndmask_b32_e32 v61, 0xffff8000, v152, vcc_lo
	v_and_b32_e32 v61, 0xffff, v61
	s_delay_alu instid0(VALU_DEP_1) | instskip(NEXT) | instid1(VALU_DEP_1)
	v_lshrrev_b32_e32 v61, s49, v61
	v_bitop3_b32 v157, v61, 1, s52 bitop3:0x80
	v_and_b32_e32 v159, s52, v61
	s_delay_alu instid0(VALU_DEP_2) | instskip(NEXT) | instid1(VALU_DEP_1)
	v_add_co_u32 v61, s15, v157, -1
	v_cndmask_b32_e64 v157, 0, 1, s15
	s_delay_alu instid0(VALU_DEP_3) | instskip(NEXT) | instid1(VALU_DEP_2)
	v_dual_lshlrev_b32 v158, 30, v159 :: v_dual_lshlrev_b32 v161, 29, v159
	v_cmp_ne_u32_e32 vcc_lo, 0, v157
	s_delay_alu instid0(VALU_DEP_2) | instskip(SKIP_1) | instid1(VALU_DEP_4)
	v_cmp_gt_i32_e64 s15, 0, v158
	v_not_b32_e32 v157, v158
	v_not_b32_e32 v158, v161
	s_delay_alu instid0(VALU_DEP_1) | instskip(SKIP_3) | instid1(VALU_DEP_4)
	v_dual_ashrrev_i32 v158, 31, v158 :: v_dual_lshlrev_b32 v162, 28, v159
	v_dual_lshlrev_b32 v163, 27, v159 :: v_dual_lshlrev_b32 v165, 26, v159
	v_dual_lshlrev_b32 v166, 25, v159 :: v_dual_lshlrev_b32 v167, 24, v159
	v_cmp_gt_i32_e64 s16, 0, v161
	v_cmp_gt_i32_e64 s17, 0, v162
	v_not_b32_e32 v161, v162
	v_not_b32_e32 v162, v163
	v_ashrrev_i32_e32 v157, 31, v157
	v_cmp_gt_i32_e64 s18, 0, v163
	v_cmp_gt_i32_e64 s19, 0, v165
	v_not_b32_e32 v163, v165
	v_cmp_gt_i32_e64 s20, 0, v166
	v_not_b32_e32 v165, v166
	v_not_b32_e32 v166, v167
	s_delay_alu instid0(VALU_DEP_4) | instskip(SKIP_3) | instid1(VALU_DEP_3)
	v_dual_ashrrev_i32 v163, 31, v163 :: v_dual_bitop2_b32 v61, vcc_lo, v61 bitop3:0x14
	v_dual_ashrrev_i32 v161, 31, v161 :: v_dual_bitop2_b32 v158, s16, v158 bitop3:0x14
	v_dual_ashrrev_i32 v162, 31, v162 :: v_dual_bitop2_b32 v157, s15, v157 bitop3:0x14
	v_cmp_gt_i32_e64 s21, 0, v167
	v_xor_b32_e32 v161, s17, v161
	v_xor_b32_e32 v163, s19, v163
	s_delay_alu instid0(VALU_DEP_4) | instskip(SKIP_2) | instid1(VALU_DEP_2)
	v_xor_b32_e32 v162, s18, v162
	v_bitop3_b32 v61, v61, v157, exec_lo bitop3:0x80
	v_dual_ashrrev_i32 v157, 31, v165 :: v_dual_ashrrev_i32 v165, 31, v166
	v_bitop3_b32 v61, v61, v161, v158 bitop3:0x80
	v_mad_u32_u24 v158, v159, 36, v23
	s_delay_alu instid0(VALU_DEP_3) | instskip(NEXT) | instid1(VALU_DEP_4)
	v_xor_b32_e32 v161, s20, v157
	v_xor_b32_e32 v165, s21, v165
	v_mul_u32_u24_e32 v159, 36, v159
	v_bitop3_b32 v61, v61, v163, v162 bitop3:0x80
	ds_load_b32 v157, v158 offset:1056
	; wave barrier
	v_add_nc_u32_e32 v159, v23, v159
	v_bitop3_b32 v61, v61, v165, v161 bitop3:0x80
	s_delay_alu instid0(VALU_DEP_1) | instskip(SKIP_1) | instid1(VALU_DEP_2)
	v_mbcnt_lo_u32_b32 v158, v61, 0
	v_cmp_ne_u32_e64 s15, 0, v61
	v_cmp_eq_u32_e32 vcc_lo, 0, v158
	s_and_b32 s16, s15, vcc_lo
	s_delay_alu instid0(SALU_CYCLE_1)
	s_and_saveexec_b32 s15, s16
	s_cbranch_execz .LBB1862_1025
; %bb.1024:                             ;   in Loop: Header=BB1862_979 Depth=2
	s_wait_dscnt 0x0
	v_bcnt_u32_b32 v61, v61, v157
	ds_store_b32 v159, v61 offset:1056
.LBB1862_1025:                          ;   in Loop: Header=BB1862_979 Depth=2
	s_or_b32 exec_lo, exec_lo, s15
	v_cmp_lt_i16_e64 vcc_lo, -1, v156
	; wave barrier
	s_delay_alu instid0(VALU_DEP_1) | instskip(NEXT) | instid1(VALU_DEP_1)
	v_cndmask_b32_e64 v61, -1, 0xffff8000, vcc_lo
	v_xor_b32_e32 v156, v61, v156
	s_delay_alu instid0(VALU_DEP_1) | instskip(SKIP_1) | instid1(VALU_DEP_1)
	v_cmp_ne_u16_e64 vcc_lo, 0x7fff, v156
	v_cndmask_b32_e32 v61, 0xffff8000, v156, vcc_lo
	v_and_b32_e32 v61, 0xffff, v61
	s_delay_alu instid0(VALU_DEP_1) | instskip(NEXT) | instid1(VALU_DEP_1)
	v_lshrrev_b32_e32 v61, s49, v61
	v_bitop3_b32 v161, v61, 1, s52 bitop3:0x80
	v_and_b32_e32 v163, s52, v61
	s_delay_alu instid0(VALU_DEP_2) | instskip(NEXT) | instid1(VALU_DEP_1)
	v_add_co_u32 v61, s15, v161, -1
	v_cndmask_b32_e64 v161, 0, 1, s15
	s_delay_alu instid0(VALU_DEP_3) | instskip(NEXT) | instid1(VALU_DEP_2)
	v_dual_lshlrev_b32 v162, 30, v163 :: v_dual_lshlrev_b32 v165, 29, v163
	v_cmp_ne_u32_e32 vcc_lo, 0, v161
	s_delay_alu instid0(VALU_DEP_2) | instskip(SKIP_1) | instid1(VALU_DEP_4)
	v_cmp_gt_i32_e64 s15, 0, v162
	v_not_b32_e32 v161, v162
	v_not_b32_e32 v162, v165
	s_delay_alu instid0(VALU_DEP_1) | instskip(SKIP_3) | instid1(VALU_DEP_4)
	v_dual_ashrrev_i32 v162, 31, v162 :: v_dual_lshlrev_b32 v166, 28, v163
	v_dual_lshlrev_b32 v167, 27, v163 :: v_dual_lshlrev_b32 v169, 26, v163
	v_dual_lshlrev_b32 v170, 25, v163 :: v_dual_lshlrev_b32 v171, 24, v163
	v_cmp_gt_i32_e64 s16, 0, v165
	v_cmp_gt_i32_e64 s17, 0, v166
	v_not_b32_e32 v165, v166
	v_not_b32_e32 v166, v167
	v_ashrrev_i32_e32 v161, 31, v161
	v_cmp_gt_i32_e64 s18, 0, v167
	v_cmp_gt_i32_e64 s19, 0, v169
	v_not_b32_e32 v167, v169
	v_cmp_gt_i32_e64 s20, 0, v170
	v_not_b32_e32 v169, v170
	v_not_b32_e32 v170, v171
	s_delay_alu instid0(VALU_DEP_4) | instskip(SKIP_3) | instid1(VALU_DEP_3)
	v_dual_ashrrev_i32 v167, 31, v167 :: v_dual_bitop2_b32 v61, vcc_lo, v61 bitop3:0x14
	v_dual_ashrrev_i32 v165, 31, v165 :: v_dual_bitop2_b32 v162, s16, v162 bitop3:0x14
	v_dual_ashrrev_i32 v166, 31, v166 :: v_dual_bitop2_b32 v161, s15, v161 bitop3:0x14
	v_cmp_gt_i32_e64 s21, 0, v171
	v_xor_b32_e32 v165, s17, v165
	v_xor_b32_e32 v167, s19, v167
	s_delay_alu instid0(VALU_DEP_4) | instskip(SKIP_2) | instid1(VALU_DEP_2)
	v_xor_b32_e32 v166, s18, v166
	v_bitop3_b32 v61, v61, v161, exec_lo bitop3:0x80
	v_dual_ashrrev_i32 v161, 31, v169 :: v_dual_ashrrev_i32 v169, 31, v170
	v_bitop3_b32 v61, v61, v165, v162 bitop3:0x80
	v_mad_u32_u24 v162, v163, 36, v23
	s_delay_alu instid0(VALU_DEP_3) | instskip(NEXT) | instid1(VALU_DEP_4)
	v_xor_b32_e32 v165, s20, v161
	v_xor_b32_e32 v169, s21, v169
	v_mul_u32_u24_e32 v163, 36, v163
	v_bitop3_b32 v61, v61, v167, v166 bitop3:0x80
	ds_load_b32 v161, v162 offset:1056
	; wave barrier
	v_add_nc_u32_e32 v163, v23, v163
	v_bitop3_b32 v61, v61, v169, v165 bitop3:0x80
	s_delay_alu instid0(VALU_DEP_1) | instskip(SKIP_1) | instid1(VALU_DEP_2)
	v_mbcnt_lo_u32_b32 v162, v61, 0
	v_cmp_ne_u32_e64 s15, 0, v61
	v_cmp_eq_u32_e32 vcc_lo, 0, v162
	s_and_b32 s16, s15, vcc_lo
	s_delay_alu instid0(SALU_CYCLE_1)
	s_and_saveexec_b32 s15, s16
	s_cbranch_execz .LBB1862_1027
; %bb.1026:                             ;   in Loop: Header=BB1862_979 Depth=2
	s_wait_dscnt 0x0
	v_bcnt_u32_b32 v61, v61, v161
	ds_store_b32 v163, v61 offset:1056
.LBB1862_1027:                          ;   in Loop: Header=BB1862_979 Depth=2
	s_or_b32 exec_lo, exec_lo, s15
	v_cmp_lt_i16_e64 vcc_lo, -1, v160
	; wave barrier
	s_delay_alu instid0(VALU_DEP_1) | instskip(NEXT) | instid1(VALU_DEP_1)
	v_cndmask_b32_e64 v61, -1, 0xffff8000, vcc_lo
	v_xor_b32_e32 v160, v61, v160
	s_delay_alu instid0(VALU_DEP_1) | instskip(SKIP_1) | instid1(VALU_DEP_1)
	v_cmp_ne_u16_e64 vcc_lo, 0x7fff, v160
	v_cndmask_b32_e32 v61, 0xffff8000, v160, vcc_lo
	v_and_b32_e32 v61, 0xffff, v61
	s_delay_alu instid0(VALU_DEP_1) | instskip(NEXT) | instid1(VALU_DEP_1)
	v_lshrrev_b32_e32 v61, s49, v61
	v_bitop3_b32 v165, v61, 1, s52 bitop3:0x80
	v_and_b32_e32 v167, s52, v61
	s_delay_alu instid0(VALU_DEP_2) | instskip(NEXT) | instid1(VALU_DEP_1)
	v_add_co_u32 v61, s15, v165, -1
	v_cndmask_b32_e64 v165, 0, 1, s15
	s_delay_alu instid0(VALU_DEP_3) | instskip(NEXT) | instid1(VALU_DEP_2)
	v_dual_lshlrev_b32 v166, 30, v167 :: v_dual_lshlrev_b32 v169, 29, v167
	v_cmp_ne_u32_e32 vcc_lo, 0, v165
	s_delay_alu instid0(VALU_DEP_2) | instskip(SKIP_1) | instid1(VALU_DEP_4)
	v_cmp_gt_i32_e64 s15, 0, v166
	v_not_b32_e32 v165, v166
	v_not_b32_e32 v166, v169
	s_delay_alu instid0(VALU_DEP_1) | instskip(SKIP_3) | instid1(VALU_DEP_4)
	v_dual_ashrrev_i32 v166, 31, v166 :: v_dual_lshlrev_b32 v170, 28, v167
	v_dual_lshlrev_b32 v171, 27, v167 :: v_dual_lshlrev_b32 v172, 26, v167
	v_cmp_gt_i32_e64 s16, 0, v169
	v_dual_lshlrev_b32 v173, 25, v167 :: v_dual_lshlrev_b32 v174, 24, v167
	v_cmp_gt_i32_e64 s17, 0, v170
	v_not_b32_e32 v169, v170
	v_not_b32_e32 v170, v171
	v_ashrrev_i32_e32 v165, 31, v165
	v_cmp_gt_i32_e64 s18, 0, v171
	v_not_b32_e32 v171, v172
	v_xor_b32_e32 v61, vcc_lo, v61
	v_dual_ashrrev_i32 v169, 31, v169 :: v_dual_bitop2_b32 v166, s16, v166 bitop3:0x14
	v_dual_ashrrev_i32 v170, 31, v170 :: v_dual_bitop2_b32 v165, s15, v165 bitop3:0x14
	v_cmp_gt_i32_e64 s19, 0, v172
	v_cmp_gt_i32_e64 s20, 0, v173
	v_not_b32_e32 v172, v173
	v_not_b32_e32 v173, v174
	v_dual_ashrrev_i32 v171, 31, v171 :: v_dual_bitop2_b32 v169, s17, v169 bitop3:0x14
	v_bitop3_b32 v61, v61, v165, exec_lo bitop3:0x80
	v_cmp_gt_i32_e64 s21, 0, v174
	s_delay_alu instid0(VALU_DEP_4)
	v_dual_ashrrev_i32 v165, 31, v172 :: v_dual_ashrrev_i32 v172, 31, v173
	v_xor_b32_e32 v170, s18, v170
	v_xor_b32_e32 v171, s19, v171
	v_bitop3_b32 v61, v61, v169, v166 bitop3:0x80
	v_mad_u32_u24 v166, v167, 36, v23
	v_xor_b32_e32 v169, s20, v165
	v_xor_b32_e32 v172, s21, v172
	v_mul_u32_u24_e32 v167, 36, v167
	v_bitop3_b32 v61, v61, v171, v170 bitop3:0x80
	ds_load_b32 v165, v166 offset:1056
	; wave barrier
	v_add_nc_u32_e32 v167, v23, v167
	v_bitop3_b32 v61, v61, v172, v169 bitop3:0x80
	s_delay_alu instid0(VALU_DEP_1) | instskip(SKIP_1) | instid1(VALU_DEP_2)
	v_mbcnt_lo_u32_b32 v166, v61, 0
	v_cmp_ne_u32_e64 s15, 0, v61
	v_cmp_eq_u32_e32 vcc_lo, 0, v166
	s_and_b32 s16, s15, vcc_lo
	s_delay_alu instid0(SALU_CYCLE_1)
	s_and_saveexec_b32 s15, s16
	s_cbranch_execz .LBB1862_1029
; %bb.1028:                             ;   in Loop: Header=BB1862_979 Depth=2
	s_wait_dscnt 0x0
	v_bcnt_u32_b32 v61, v61, v165
	ds_store_b32 v167, v61 offset:1056
.LBB1862_1029:                          ;   in Loop: Header=BB1862_979 Depth=2
	s_or_b32 exec_lo, exec_lo, s15
	v_cmp_lt_i16_e64 vcc_lo, -1, v164
	; wave barrier
	s_delay_alu instid0(VALU_DEP_1) | instskip(NEXT) | instid1(VALU_DEP_1)
	v_cndmask_b32_e64 v61, -1, 0xffff8000, vcc_lo
	v_xor_b32_e32 v164, v61, v164
	s_delay_alu instid0(VALU_DEP_1) | instskip(SKIP_1) | instid1(VALU_DEP_1)
	v_cmp_ne_u16_e64 vcc_lo, 0x7fff, v164
	v_cndmask_b32_e32 v61, 0xffff8000, v164, vcc_lo
	v_and_b32_e32 v61, 0xffff, v61
	s_delay_alu instid0(VALU_DEP_1) | instskip(NEXT) | instid1(VALU_DEP_1)
	v_lshrrev_b32_e32 v61, s49, v61
	v_bitop3_b32 v169, v61, 1, s52 bitop3:0x80
	v_and_b32_e32 v171, s52, v61
	s_delay_alu instid0(VALU_DEP_2) | instskip(NEXT) | instid1(VALU_DEP_1)
	v_add_co_u32 v61, s15, v169, -1
	v_cndmask_b32_e64 v169, 0, 1, s15
	s_delay_alu instid0(VALU_DEP_3) | instskip(NEXT) | instid1(VALU_DEP_2)
	v_dual_lshlrev_b32 v170, 30, v171 :: v_dual_lshlrev_b32 v172, 29, v171
	v_cmp_ne_u32_e32 vcc_lo, 0, v169
	s_delay_alu instid0(VALU_DEP_2) | instskip(SKIP_1) | instid1(VALU_DEP_4)
	v_cmp_gt_i32_e64 s15, 0, v170
	v_not_b32_e32 v169, v170
	v_not_b32_e32 v170, v172
	s_delay_alu instid0(VALU_DEP_1) | instskip(SKIP_3) | instid1(VALU_DEP_4)
	v_dual_ashrrev_i32 v170, 31, v170 :: v_dual_lshlrev_b32 v173, 28, v171
	v_dual_lshlrev_b32 v174, 27, v171 :: v_dual_lshlrev_b32 v175, 26, v171
	v_dual_lshlrev_b32 v176, 25, v171 :: v_dual_lshlrev_b32 v177, 24, v171
	v_cmp_gt_i32_e64 s16, 0, v172
	v_not_b32_e32 v172, v173
	v_ashrrev_i32_e32 v169, 31, v169
	v_cmp_gt_i32_e64 s17, 0, v173
	v_cmp_gt_i32_e64 s18, 0, v174
	v_not_b32_e32 v173, v174
	v_cmp_gt_i32_e64 s19, 0, v175
	v_not_b32_e32 v174, v175
	;; [unrolled: 2-line block ×3, first 2 shown]
	v_not_b32_e32 v176, v177
	s_delay_alu instid0(VALU_DEP_4) | instskip(SKIP_3) | instid1(VALU_DEP_3)
	v_dual_ashrrev_i32 v174, 31, v174 :: v_dual_bitop2_b32 v61, vcc_lo, v61 bitop3:0x14
	v_dual_ashrrev_i32 v172, 31, v172 :: v_dual_bitop2_b32 v169, s15, v169 bitop3:0x14
	v_dual_ashrrev_i32 v173, 31, v173 :: v_dual_bitop2_b32 v170, s16, v170 bitop3:0x14
	v_cmp_gt_i32_e64 s21, 0, v177
	v_xor_b32_e32 v172, s17, v172
	s_delay_alu instid0(VALU_DEP_4) | instskip(SKIP_2) | instid1(VALU_DEP_3)
	v_bitop3_b32 v61, v61, v169, exec_lo bitop3:0x80
	v_dual_ashrrev_i32 v169, 31, v175 :: v_dual_ashrrev_i32 v175, 31, v176
	v_xor_b32_e32 v174, s19, v174
	v_bitop3_b32 v61, v61, v172, v170 bitop3:0x80
	v_mad_u32_u24 v170, v171, 36, v23
	v_mul_u32_u24_e32 v171, 36, v171
	v_xor_b32_e32 v173, s18, v173
	v_xor_b32_e32 v172, s20, v169
	;; [unrolled: 1-line block ×3, first 2 shown]
	ds_load_b32 v169, v170 offset:1056
	v_add_nc_u32_e32 v171, v23, v171
	v_bitop3_b32 v61, v61, v174, v173 bitop3:0x80
	; wave barrier
	s_delay_alu instid0(VALU_DEP_1) | instskip(NEXT) | instid1(VALU_DEP_1)
	v_bitop3_b32 v61, v61, v175, v172 bitop3:0x80
	v_mbcnt_lo_u32_b32 v170, v61, 0
	v_cmp_ne_u32_e64 s15, 0, v61
	s_delay_alu instid0(VALU_DEP_2) | instskip(SKIP_1) | instid1(SALU_CYCLE_1)
	v_cmp_eq_u32_e32 vcc_lo, 0, v170
	s_and_b32 s16, s15, vcc_lo
	s_and_saveexec_b32 s15, s16
	s_cbranch_execz .LBB1862_1031
; %bb.1030:                             ;   in Loop: Header=BB1862_979 Depth=2
	s_wait_dscnt 0x0
	v_bcnt_u32_b32 v61, v61, v169
	ds_store_b32 v171, v61 offset:1056
.LBB1862_1031:                          ;   in Loop: Header=BB1862_979 Depth=2
	s_or_b32 exec_lo, exec_lo, s15
	v_cmp_lt_i16_e64 vcc_lo, -1, v168
	; wave barrier
	s_delay_alu instid0(VALU_DEP_1) | instskip(NEXT) | instid1(VALU_DEP_1)
	v_cndmask_b32_e64 v61, -1, 0xffff8000, vcc_lo
	v_xor_b32_e32 v168, v61, v168
	s_delay_alu instid0(VALU_DEP_1) | instskip(SKIP_1) | instid1(VALU_DEP_1)
	v_cmp_ne_u16_e64 vcc_lo, 0x7fff, v168
	v_cndmask_b32_e32 v61, 0xffff8000, v168, vcc_lo
	v_and_b32_e32 v61, 0xffff, v61
	s_delay_alu instid0(VALU_DEP_1) | instskip(NEXT) | instid1(VALU_DEP_1)
	v_lshrrev_b32_e32 v61, s49, v61
	v_bitop3_b32 v172, v61, 1, s52 bitop3:0x80
	v_and_b32_e32 v175, s52, v61
	s_delay_alu instid0(VALU_DEP_2) | instskip(NEXT) | instid1(VALU_DEP_1)
	v_add_co_u32 v61, s15, v172, -1
	v_cndmask_b32_e64 v172, 0, 1, s15
	s_delay_alu instid0(VALU_DEP_3) | instskip(NEXT) | instid1(VALU_DEP_2)
	v_lshlrev_b32_e32 v173, 30, v175
	v_cmp_ne_u32_e32 vcc_lo, 0, v172
	s_delay_alu instid0(VALU_DEP_2) | instskip(NEXT) | instid1(VALU_DEP_1)
	v_not_b32_e32 v172, v173
	v_dual_ashrrev_i32 v172, 31, v172 :: v_dual_lshlrev_b32 v174, 29, v175
	v_dual_lshlrev_b32 v176, 28, v175 :: v_dual_lshlrev_b32 v177, 27, v175
	v_lshlrev_b32_e32 v178, 26, v175
	v_cmp_gt_i32_e64 s15, 0, v173
	s_delay_alu instid0(VALU_DEP_4)
	v_cmp_gt_i32_e64 s16, 0, v174
	v_not_b32_e32 v173, v174
	v_not_b32_e32 v174, v176
	v_dual_lshlrev_b32 v179, 25, v175 :: v_dual_lshlrev_b32 v180, 24, v175
	v_cmp_gt_i32_e64 s17, 0, v176
	v_cmp_gt_i32_e64 s18, 0, v177
	v_not_b32_e32 v176, v177
	v_not_b32_e32 v177, v178
	v_dual_ashrrev_i32 v174, 31, v174 :: v_dual_bitop2_b32 v61, vcc_lo, v61 bitop3:0x14
	v_dual_ashrrev_i32 v173, 31, v173 :: v_dual_bitop2_b32 v172, s15, v172 bitop3:0x14
	v_cmp_gt_i32_e64 s19, 0, v178
	v_cmp_gt_i32_e64 s20, 0, v179
	v_not_b32_e32 v178, v179
	v_not_b32_e32 v179, v180
	v_dual_ashrrev_i32 v176, 31, v176 :: v_dual_ashrrev_i32 v177, 31, v177
	v_xor_b32_e32 v173, s16, v173
	v_xor_b32_e32 v174, s17, v174
	v_bitop3_b32 v61, v61, v172, exec_lo bitop3:0x80
	v_cmp_gt_i32_e64 s21, 0, v180
	v_dual_ashrrev_i32 v172, 31, v178 :: v_dual_ashrrev_i32 v178, 31, v179
	v_xor_b32_e32 v176, s18, v176
	v_xor_b32_e32 v177, s19, v177
	v_bitop3_b32 v61, v61, v174, v173 bitop3:0x80
	v_mad_u32_u24 v173, v175, 36, v23
	v_xor_b32_e32 v172, s20, v172
	v_xor_b32_e32 v174, s21, v178
	s_delay_alu instid0(VALU_DEP_4) | instskip(SKIP_3) | instid1(VALU_DEP_2)
	v_bitop3_b32 v61, v61, v177, v176 bitop3:0x80
	ds_load_b32 v173, v173 offset:1056
	; wave barrier
	v_bitop3_b32 v61, v61, v174, v172 bitop3:0x80
	v_mul_u32_u24_e32 v172, 36, v175
	v_mbcnt_lo_u32_b32 v174, v61, 0
	v_cmp_ne_u32_e64 s15, 0, v61
	s_delay_alu instid0(VALU_DEP_3) | instskip(NEXT) | instid1(VALU_DEP_3)
	v_add_nc_u32_e32 v175, v23, v172
	v_cmp_eq_u32_e32 vcc_lo, 0, v174
	s_and_b32 s16, s15, vcc_lo
	s_delay_alu instid0(SALU_CYCLE_1)
	s_and_saveexec_b32 s15, s16
	s_cbranch_execz .LBB1862_1033
; %bb.1032:                             ;   in Loop: Header=BB1862_979 Depth=2
	s_wait_dscnt 0x0
	v_bcnt_u32_b32 v61, v61, v173
	ds_store_b32 v175, v61 offset:1056
.LBB1862_1033:                          ;   in Loop: Header=BB1862_979 Depth=2
	s_or_b32 exec_lo, exec_lo, s15
	v_cmp_lt_i16_e32 vcc_lo, -1, v67
	; wave barrier
	v_cndmask_b32_e64 v61, -1, 0xffff8000, vcc_lo
	s_delay_alu instid0(VALU_DEP_1) | instskip(NEXT) | instid1(VALU_DEP_1)
	v_xor_b32_e32 v172, v61, v67
	v_cmp_ne_u16_e64 vcc_lo, 0x7fff, v172
	v_cndmask_b32_e32 v61, 0xffff8000, v172, vcc_lo
	s_delay_alu instid0(VALU_DEP_1) | instskip(NEXT) | instid1(VALU_DEP_1)
	v_and_b32_e32 v61, 0xffff, v61
	v_lshrrev_b32_e32 v61, s49, v61
	s_delay_alu instid0(VALU_DEP_1) | instskip(SKIP_1) | instid1(VALU_DEP_2)
	v_bitop3_b32 v67, v61, 1, s52 bitop3:0x80
	v_and_b32_e32 v176, s52, v61
	v_add_co_u32 v61, s15, v67, -1
	s_delay_alu instid0(VALU_DEP_1) | instskip(NEXT) | instid1(VALU_DEP_3)
	v_cndmask_b32_e64 v67, 0, 1, s15
	v_lshlrev_b32_e32 v177, 30, v176
	s_delay_alu instid0(VALU_DEP_2) | instskip(NEXT) | instid1(VALU_DEP_2)
	v_cmp_ne_u32_e32 vcc_lo, 0, v67
	v_not_b32_e32 v67, v177
	s_delay_alu instid0(VALU_DEP_1) | instskip(SKIP_4) | instid1(VALU_DEP_4)
	v_dual_ashrrev_i32 v67, 31, v67 :: v_dual_bitop2_b32 v61, vcc_lo, v61 bitop3:0x14
	v_dual_lshlrev_b32 v178, 29, v176 :: v_dual_lshlrev_b32 v179, 28, v176
	v_dual_lshlrev_b32 v180, 27, v176 :: v_dual_lshlrev_b32 v181, 26, v176
	v_lshlrev_b32_e32 v182, 25, v176
	v_cmp_gt_i32_e64 s15, 0, v177
	v_cmp_gt_i32_e64 s16, 0, v178
	v_not_b32_e32 v177, v178
	v_not_b32_e32 v178, v179
	v_lshlrev_b32_e32 v183, 24, v176
	v_cmp_gt_i32_e64 s17, 0, v179
	v_cmp_gt_i32_e64 s18, 0, v180
	v_not_b32_e32 v179, v180
	v_not_b32_e32 v180, v181
	v_dual_ashrrev_i32 v177, 31, v177 :: v_dual_bitop2_b32 v67, s15, v67 bitop3:0x14
	v_ashrrev_i32_e32 v178, 31, v178
	v_cmp_gt_i32_e64 s19, 0, v181
	v_cmp_gt_i32_e64 s20, 0, v182
	v_not_b32_e32 v181, v182
	v_not_b32_e32 v182, v183
	v_dual_ashrrev_i32 v179, 31, v179 :: v_dual_ashrrev_i32 v180, 31, v180
	v_xor_b32_e32 v177, s16, v177
	v_xor_b32_e32 v178, s17, v178
	v_bitop3_b32 v61, v61, v67, exec_lo bitop3:0x80
	v_cmp_gt_i32_e64 s21, 0, v183
	v_dual_ashrrev_i32 v67, 31, v181 :: v_dual_ashrrev_i32 v181, 31, v182
	v_xor_b32_e32 v179, s18, v179
	v_xor_b32_e32 v180, s19, v180
	v_bitop3_b32 v61, v61, v178, v177 bitop3:0x80
	v_mad_u32_u24 v177, v176, 36, v23
	v_xor_b32_e32 v67, s20, v67
	v_xor_b32_e32 v178, s21, v181
	s_delay_alu instid0(VALU_DEP_4) | instskip(SKIP_3) | instid1(VALU_DEP_2)
	v_bitop3_b32 v61, v61, v180, v179 bitop3:0x80
	ds_load_b32 v177, v177 offset:1056
	; wave barrier
	v_bitop3_b32 v61, v61, v178, v67 bitop3:0x80
	v_mul_u32_u24_e32 v67, 36, v176
	v_mbcnt_lo_u32_b32 v178, v61, 0
	v_cmp_ne_u32_e64 s15, 0, v61
	s_delay_alu instid0(VALU_DEP_3) | instskip(NEXT) | instid1(VALU_DEP_3)
	v_add_nc_u32_e32 v179, v23, v67
	v_cmp_eq_u32_e32 vcc_lo, 0, v178
	s_and_b32 s16, s15, vcc_lo
	s_delay_alu instid0(SALU_CYCLE_1)
	s_and_saveexec_b32 s15, s16
	s_cbranch_execz .LBB1862_1035
; %bb.1034:                             ;   in Loop: Header=BB1862_979 Depth=2
	s_wait_dscnt 0x0
	v_bcnt_u32_b32 v61, v61, v177
	ds_store_b32 v179, v61 offset:1056
.LBB1862_1035:                          ;   in Loop: Header=BB1862_979 Depth=2
	s_or_b32 exec_lo, exec_lo, s15
	v_cmp_lt_i16_e32 vcc_lo, -1, v66
	; wave barrier
	v_cndmask_b32_e64 v61, -1, 0xffff8000, vcc_lo
	s_delay_alu instid0(VALU_DEP_1) | instskip(NEXT) | instid1(VALU_DEP_1)
	v_xor_b32_e32 v176, v61, v66
	v_cmp_ne_u16_e64 vcc_lo, 0x7fff, v176
	v_cndmask_b32_e32 v61, 0xffff8000, v176, vcc_lo
	s_delay_alu instid0(VALU_DEP_1) | instskip(NEXT) | instid1(VALU_DEP_1)
	v_and_b32_e32 v61, 0xffff, v61
	v_lshrrev_b32_e32 v61, s49, v61
	s_delay_alu instid0(VALU_DEP_1) | instskip(SKIP_1) | instid1(VALU_DEP_2)
	v_bitop3_b32 v66, v61, 1, s52 bitop3:0x80
	v_and_b32_e32 v67, s52, v61
	v_add_co_u32 v61, s15, v66, -1
	s_delay_alu instid0(VALU_DEP_1) | instskip(NEXT) | instid1(VALU_DEP_3)
	v_cndmask_b32_e64 v66, 0, 1, s15
	v_lshlrev_b32_e32 v180, 30, v67
	s_delay_alu instid0(VALU_DEP_2) | instskip(NEXT) | instid1(VALU_DEP_2)
	v_cmp_ne_u32_e32 vcc_lo, 0, v66
	v_not_b32_e32 v66, v180
	v_cmp_gt_i32_e64 s15, 0, v180
	s_delay_alu instid0(VALU_DEP_2) | instskip(SKIP_3) | instid1(VALU_DEP_4)
	v_dual_ashrrev_i32 v66, 31, v66 :: v_dual_lshlrev_b32 v181, 29, v67
	v_dual_lshlrev_b32 v182, 28, v67 :: v_dual_lshlrev_b32 v183, 27, v67
	v_dual_lshlrev_b32 v184, 26, v67 :: v_dual_lshlrev_b32 v185, 25, v67
	v_lshlrev_b32_e32 v186, 24, v67
	v_cmp_gt_i32_e64 s16, 0, v181
	v_not_b32_e32 v180, v181
	v_not_b32_e32 v181, v182
	v_cmp_gt_i32_e64 s17, 0, v182
	v_cmp_gt_i32_e64 s18, 0, v183
	v_not_b32_e32 v182, v183
	v_not_b32_e32 v183, v184
	v_dual_ashrrev_i32 v180, 31, v180 :: v_dual_bitop2_b32 v61, vcc_lo, v61 bitop3:0x14
	v_dual_ashrrev_i32 v181, 31, v181 :: v_dual_bitop2_b32 v66, s15, v66 bitop3:0x14
	v_cmp_gt_i32_e64 s19, 0, v184
	v_cmp_gt_i32_e64 s20, 0, v185
	v_not_b32_e32 v184, v185
	v_not_b32_e32 v185, v186
	v_dual_ashrrev_i32 v182, 31, v182 :: v_dual_ashrrev_i32 v183, 31, v183
	v_xor_b32_e32 v180, s16, v180
	v_xor_b32_e32 v181, s17, v181
	v_bitop3_b32 v61, v61, v66, exec_lo bitop3:0x80
	v_cmp_gt_i32_e64 s21, 0, v186
	v_dual_ashrrev_i32 v66, 31, v184 :: v_dual_ashrrev_i32 v184, 31, v185
	v_xor_b32_e32 v182, s18, v182
	v_xor_b32_e32 v183, s19, v183
	v_bitop3_b32 v61, v61, v181, v180 bitop3:0x80
	v_mad_u32_u24 v180, v67, 36, v23
	v_xor_b32_e32 v66, s20, v66
	v_xor_b32_e32 v184, s21, v184
	s_delay_alu instid0(VALU_DEP_4) | instskip(SKIP_3) | instid1(VALU_DEP_2)
	v_bitop3_b32 v61, v61, v183, v182 bitop3:0x80
	ds_load_b32 v181, v180 offset:1056
	; wave barrier
	v_bitop3_b32 v61, v61, v184, v66 bitop3:0x80
	v_mul_u32_u24_e32 v66, 36, v67
	v_mbcnt_lo_u32_b32 v182, v61, 0
	v_cmp_ne_u32_e64 s15, 0, v61
	s_delay_alu instid0(VALU_DEP_3) | instskip(NEXT) | instid1(VALU_DEP_3)
	v_add_nc_u32_e32 v183, v23, v66
	v_cmp_eq_u32_e32 vcc_lo, 0, v182
	s_and_b32 s16, s15, vcc_lo
	s_delay_alu instid0(SALU_CYCLE_1)
	s_and_saveexec_b32 s15, s16
	s_cbranch_execz .LBB1862_1037
; %bb.1036:                             ;   in Loop: Header=BB1862_979 Depth=2
	s_wait_dscnt 0x0
	v_bcnt_u32_b32 v61, v61, v181
	ds_store_b32 v183, v61 offset:1056
.LBB1862_1037:                          ;   in Loop: Header=BB1862_979 Depth=2
	s_or_b32 exec_lo, exec_lo, s15
	v_cmp_lt_i16_e32 vcc_lo, -1, v65
	; wave barrier
	v_cndmask_b32_e64 v61, -1, 0xffff8000, vcc_lo
	s_delay_alu instid0(VALU_DEP_1) | instskip(NEXT) | instid1(VALU_DEP_1)
	v_xor_b32_e32 v180, v61, v65
	v_cmp_ne_u16_e64 vcc_lo, 0x7fff, v180
	v_cndmask_b32_e32 v61, 0xffff8000, v180, vcc_lo
	s_delay_alu instid0(VALU_DEP_1) | instskip(NEXT) | instid1(VALU_DEP_1)
	v_and_b32_e32 v61, 0xffff, v61
	v_lshrrev_b32_e32 v61, s49, v61
	s_delay_alu instid0(VALU_DEP_1) | instskip(NEXT) | instid1(VALU_DEP_1)
	v_and_b32_e32 v66, s52, v61
	v_lshlrev_b32_e32 v185, 28, v66
	v_bitop3_b32 v65, v61, 1, s52 bitop3:0x80
	v_dual_lshlrev_b32 v67, 30, v66 :: v_dual_lshlrev_b32 v184, 29, v66
	s_delay_alu instid0(VALU_DEP_3) | instskip(NEXT) | instid1(VALU_DEP_3)
	v_cmp_gt_i32_e64 s17, 0, v185
	v_add_co_u32 v61, s15, v65, -1
	s_delay_alu instid0(VALU_DEP_1) | instskip(NEXT) | instid1(VALU_DEP_4)
	v_cndmask_b32_e64 v65, 0, 1, s15
	v_cmp_gt_i32_e64 s15, 0, v67
	v_cmp_gt_i32_e64 s16, 0, v184
	s_delay_alu instid0(VALU_DEP_3) | instskip(SKIP_3) | instid1(VALU_DEP_2)
	v_cmp_ne_u32_e32 vcc_lo, 0, v65
	v_not_b32_e32 v65, v67
	v_not_b32_e32 v67, v184
	;; [unrolled: 1-line block ×3, first 2 shown]
	v_dual_ashrrev_i32 v65, 31, v65 :: v_dual_ashrrev_i32 v67, 31, v67
	v_dual_lshlrev_b32 v186, 27, v66 :: v_dual_lshlrev_b32 v187, 26, v66
	v_dual_lshlrev_b32 v188, 25, v66 :: v_dual_lshlrev_b32 v189, 24, v66
	s_delay_alu instid0(VALU_DEP_4) | instskip(NEXT) | instid1(VALU_DEP_3)
	v_ashrrev_i32_e32 v184, 31, v184
	v_cmp_gt_i32_e64 s18, 0, v186
	v_not_b32_e32 v185, v186
	v_cmp_gt_i32_e64 s19, 0, v187
	v_not_b32_e32 v186, v187
	v_cmp_gt_i32_e64 s20, 0, v188
	v_not_b32_e32 v187, v188
	v_not_b32_e32 v188, v189
	s_delay_alu instid0(VALU_DEP_4) | instskip(SKIP_4) | instid1(VALU_DEP_4)
	v_dual_ashrrev_i32 v186, 31, v186 :: v_dual_bitop2_b32 v61, vcc_lo, v61 bitop3:0x14
	v_xor_b32_e32 v65, s15, v65
	v_dual_ashrrev_i32 v185, 31, v185 :: v_dual_bitop2_b32 v67, s16, v67 bitop3:0x14
	v_xor_b32_e32 v184, s17, v184
	v_cmp_gt_i32_e64 s21, 0, v189
	v_bitop3_b32 v61, v61, v65, exec_lo bitop3:0x80
	v_dual_ashrrev_i32 v65, 31, v187 :: v_dual_ashrrev_i32 v187, 31, v188
	v_xor_b32_e32 v185, s18, v185
	v_xor_b32_e32 v186, s19, v186
	s_delay_alu instid0(VALU_DEP_4) | instskip(SKIP_3) | instid1(VALU_DEP_4)
	v_bitop3_b32 v61, v61, v184, v67 bitop3:0x80
	v_mad_u32_u24 v67, v66, 36, v23
	v_xor_b32_e32 v65, s20, v65
	v_xor_b32_e32 v184, s21, v187
	v_bitop3_b32 v61, v61, v186, v185 bitop3:0x80
	ds_load_b32 v185, v67 offset:1056
	; wave barrier
	v_bitop3_b32 v61, v61, v184, v65 bitop3:0x80
	v_mul_u32_u24_e32 v65, 36, v66
	s_delay_alu instid0(VALU_DEP_2) | instskip(SKIP_1) | instid1(VALU_DEP_3)
	v_mbcnt_lo_u32_b32 v186, v61, 0
	v_cmp_ne_u32_e64 s15, 0, v61
	v_add_nc_u32_e32 v187, v23, v65
	s_delay_alu instid0(VALU_DEP_3) | instskip(SKIP_1) | instid1(SALU_CYCLE_1)
	v_cmp_eq_u32_e32 vcc_lo, 0, v186
	s_and_b32 s16, s15, vcc_lo
	s_and_saveexec_b32 s15, s16
	s_cbranch_execz .LBB1862_1039
; %bb.1038:                             ;   in Loop: Header=BB1862_979 Depth=2
	s_wait_dscnt 0x0
	v_bcnt_u32_b32 v61, v61, v185
	ds_store_b32 v187, v61 offset:1056
.LBB1862_1039:                          ;   in Loop: Header=BB1862_979 Depth=2
	s_or_b32 exec_lo, exec_lo, s15
	v_cmp_lt_i16_e32 vcc_lo, -1, v64
	; wave barrier
	v_cndmask_b32_e64 v61, -1, 0xffff8000, vcc_lo
	s_delay_alu instid0(VALU_DEP_1) | instskip(NEXT) | instid1(VALU_DEP_1)
	v_xor_b32_e32 v184, v61, v64
	v_cmp_ne_u16_e64 vcc_lo, 0x7fff, v184
	v_cndmask_b32_e32 v61, 0xffff8000, v184, vcc_lo
	s_delay_alu instid0(VALU_DEP_1) | instskip(NEXT) | instid1(VALU_DEP_1)
	v_and_b32_e32 v61, 0xffff, v61
	v_lshrrev_b32_e32 v61, s49, v61
	s_delay_alu instid0(VALU_DEP_1) | instskip(SKIP_1) | instid1(VALU_DEP_2)
	v_bitop3_b32 v64, v61, 1, s52 bitop3:0x80
	v_and_b32_e32 v65, s52, v61
	v_add_co_u32 v61, s15, v64, -1
	s_delay_alu instid0(VALU_DEP_2) | instskip(SKIP_1) | instid1(VALU_DEP_2)
	v_lshlrev_b32_e32 v64, 30, v65
	v_cndmask_b32_e64 v192, 0, 1, s15
	v_cmp_gt_i32_e32 vcc_lo, 0, v64
	v_not_b32_e32 v64, v64
	s_delay_alu instid0(VALU_DEP_3) | instskip(NEXT) | instid1(VALU_DEP_2)
	v_cmp_ne_u32_e64 s21, 0, v192
	v_dual_ashrrev_i32 v64, 31, v64 :: v_dual_lshlrev_b32 v66, 29, v65
	v_dual_lshlrev_b32 v67, 28, v65 :: v_dual_lshlrev_b32 v188, 27, v65
	v_dual_lshlrev_b32 v189, 26, v65 :: v_dual_lshlrev_b32 v190, 25, v65
	v_lshlrev_b32_e32 v191, 24, v65
	s_delay_alu instid0(VALU_DEP_4)
	v_cmp_gt_i32_e64 s15, 0, v66
	v_not_b32_e32 v66, v66
	v_cmp_gt_i32_e64 s16, 0, v67
	v_not_b32_e32 v67, v67
	;; [unrolled: 2-line block ×4, first 2 shown]
	v_dual_ashrrev_i32 v66, 31, v66 :: v_dual_ashrrev_i32 v67, 31, v67
	s_delay_alu instid0(VALU_DEP_4) | instskip(NEXT) | instid1(VALU_DEP_3)
	v_dual_ashrrev_i32 v188, 31, v188 :: v_dual_bitop2_b32 v61, s21, v61 bitop3:0x14
	v_dual_ashrrev_i32 v189, 31, v189 :: v_dual_bitop2_b32 v64, vcc_lo, v64 bitop3:0x14
	v_cmp_gt_i32_e64 s19, 0, v190
	v_not_b32_e32 v190, v190
	v_cmp_gt_i32_e64 s20, 0, v191
	v_not_b32_e32 v191, v191
	v_xor_b32_e32 v66, s15, v66
	v_xor_b32_e32 v67, s16, v67
	v_bitop3_b32 v61, v61, v64, exec_lo bitop3:0x80
	s_delay_alu instid0(VALU_DEP_4) | instskip(SKIP_2) | instid1(VALU_DEP_4)
	v_dual_ashrrev_i32 v64, 31, v190 :: v_dual_ashrrev_i32 v190, 31, v191
	v_xor_b32_e32 v188, s17, v188
	v_xor_b32_e32 v189, s18, v189
	v_bitop3_b32 v61, v61, v67, v66 bitop3:0x80
	v_mad_u32_u24 v66, v65, 36, v23
	v_xor_b32_e32 v64, s19, v64
	v_xor_b32_e32 v67, s20, v190
	s_delay_alu instid0(VALU_DEP_4) | instskip(SKIP_3) | instid1(VALU_DEP_2)
	v_bitop3_b32 v61, v61, v189, v188 bitop3:0x80
	ds_load_b32 v189, v66 offset:1056
	; wave barrier
	v_bitop3_b32 v61, v61, v67, v64 bitop3:0x80
	v_mul_u32_u24_e32 v64, 36, v65
	v_mbcnt_lo_u32_b32 v190, v61, 0
	v_cmp_ne_u32_e64 s15, 0, v61
	s_delay_alu instid0(VALU_DEP_3) | instskip(NEXT) | instid1(VALU_DEP_3)
	v_add_nc_u32_e32 v191, v23, v64
	v_cmp_eq_u32_e32 vcc_lo, 0, v190
	s_and_b32 s16, s15, vcc_lo
	s_delay_alu instid0(SALU_CYCLE_1)
	s_and_saveexec_b32 s15, s16
	s_cbranch_execz .LBB1862_1041
; %bb.1040:                             ;   in Loop: Header=BB1862_979 Depth=2
	s_wait_dscnt 0x0
	v_bcnt_u32_b32 v61, v61, v189
	ds_store_b32 v191, v61 offset:1056
.LBB1862_1041:                          ;   in Loop: Header=BB1862_979 Depth=2
	s_or_b32 exec_lo, exec_lo, s15
	v_cmp_lt_i16_e32 vcc_lo, -1, v63
	; wave barrier
	v_cndmask_b32_e64 v61, -1, 0xffff8000, vcc_lo
	s_delay_alu instid0(VALU_DEP_1) | instskip(NEXT) | instid1(VALU_DEP_1)
	v_xor_b32_e32 v188, v61, v63
	v_cmp_ne_u16_e64 vcc_lo, 0x7fff, v188
	v_cndmask_b32_e32 v61, 0xffff8000, v188, vcc_lo
	s_delay_alu instid0(VALU_DEP_1) | instskip(NEXT) | instid1(VALU_DEP_1)
	v_and_b32_e32 v61, 0xffff, v61
	v_lshrrev_b32_e32 v61, s49, v61
	s_delay_alu instid0(VALU_DEP_1) | instskip(SKIP_1) | instid1(VALU_DEP_2)
	v_bitop3_b32 v63, v61, 1, s52 bitop3:0x80
	v_and_b32_e32 v64, s52, v61
	v_add_co_u32 v61, s15, v63, -1
	s_delay_alu instid0(VALU_DEP_1) | instskip(NEXT) | instid1(VALU_DEP_3)
	v_cndmask_b32_e64 v63, 0, 1, s15
	v_lshlrev_b32_e32 v65, 30, v64
	s_delay_alu instid0(VALU_DEP_2) | instskip(NEXT) | instid1(VALU_DEP_2)
	v_cmp_ne_u32_e32 vcc_lo, 0, v63
	v_not_b32_e32 v63, v65
	s_delay_alu instid0(VALU_DEP_1) | instskip(SKIP_4) | instid1(VALU_DEP_4)
	v_dual_ashrrev_i32 v63, 31, v63 :: v_dual_bitop2_b32 v61, vcc_lo, v61 bitop3:0x14
	v_dual_lshlrev_b32 v66, 29, v64 :: v_dual_lshlrev_b32 v67, 28, v64
	v_dual_lshlrev_b32 v192, 27, v64 :: v_dual_lshlrev_b32 v193, 26, v64
	v_lshlrev_b32_e32 v194, 25, v64
	v_cmp_gt_i32_e64 s15, 0, v65
	v_cmp_gt_i32_e64 s16, 0, v66
	v_not_b32_e32 v65, v66
	v_not_b32_e32 v66, v67
	v_lshlrev_b32_e32 v195, 24, v64
	v_cmp_gt_i32_e64 s17, 0, v67
	v_cmp_gt_i32_e64 s18, 0, v192
	v_not_b32_e32 v67, v192
	v_not_b32_e32 v192, v193
	v_dual_ashrrev_i32 v65, 31, v65 :: v_dual_bitop2_b32 v63, s15, v63 bitop3:0x14
	v_ashrrev_i32_e32 v66, 31, v66
	v_cmp_gt_i32_e64 s19, 0, v193
	v_cmp_gt_i32_e64 s20, 0, v194
	v_not_b32_e32 v193, v194
	v_not_b32_e32 v194, v195
	v_dual_ashrrev_i32 v67, 31, v67 :: v_dual_ashrrev_i32 v192, 31, v192
	v_xor_b32_e32 v65, s16, v65
	v_xor_b32_e32 v66, s17, v66
	v_bitop3_b32 v61, v61, v63, exec_lo bitop3:0x80
	v_cmp_gt_i32_e64 s21, 0, v195
	v_dual_ashrrev_i32 v63, 31, v193 :: v_dual_ashrrev_i32 v193, 31, v194
	v_xor_b32_e32 v67, s18, v67
	v_xor_b32_e32 v192, s19, v192
	v_bitop3_b32 v61, v61, v66, v65 bitop3:0x80
	v_mad_u32_u24 v65, v64, 36, v23
	v_xor_b32_e32 v63, s20, v63
	v_xor_b32_e32 v66, s21, v193
	s_delay_alu instid0(VALU_DEP_4) | instskip(SKIP_3) | instid1(VALU_DEP_2)
	v_bitop3_b32 v61, v61, v192, v67 bitop3:0x80
	ds_load_b32 v193, v65 offset:1056
	; wave barrier
	v_bitop3_b32 v61, v61, v66, v63 bitop3:0x80
	v_mul_u32_u24_e32 v63, 36, v64
	v_mbcnt_lo_u32_b32 v194, v61, 0
	v_cmp_ne_u32_e64 s15, 0, v61
	s_delay_alu instid0(VALU_DEP_3) | instskip(NEXT) | instid1(VALU_DEP_3)
	v_add_nc_u32_e32 v195, v23, v63
	v_cmp_eq_u32_e32 vcc_lo, 0, v194
	s_and_b32 s16, s15, vcc_lo
	s_delay_alu instid0(SALU_CYCLE_1)
	s_and_saveexec_b32 s15, s16
	s_cbranch_execz .LBB1862_1043
; %bb.1042:                             ;   in Loop: Header=BB1862_979 Depth=2
	s_wait_dscnt 0x0
	v_bcnt_u32_b32 v61, v61, v193
	ds_store_b32 v195, v61 offset:1056
.LBB1862_1043:                          ;   in Loop: Header=BB1862_979 Depth=2
	s_or_b32 exec_lo, exec_lo, s15
	v_cmp_lt_i16_e32 vcc_lo, -1, v62
	; wave barrier
	v_cndmask_b32_e64 v61, -1, 0xffff8000, vcc_lo
	s_delay_alu instid0(VALU_DEP_1) | instskip(NEXT) | instid1(VALU_DEP_1)
	v_xor_b32_e32 v192, v61, v62
	v_cmp_ne_u16_e64 vcc_lo, 0x7fff, v192
	v_cndmask_b32_e32 v61, 0xffff8000, v192, vcc_lo
	s_delay_alu instid0(VALU_DEP_1) | instskip(NEXT) | instid1(VALU_DEP_1)
	v_and_b32_e32 v61, 0xffff, v61
	v_lshrrev_b32_e32 v61, s49, v61
	s_delay_alu instid0(VALU_DEP_1) | instskip(SKIP_1) | instid1(VALU_DEP_2)
	v_bitop3_b32 v62, v61, 1, s52 bitop3:0x80
	v_and_b32_e32 v63, s52, v61
	v_add_co_u32 v61, s15, v62, -1
	s_delay_alu instid0(VALU_DEP_1) | instskip(NEXT) | instid1(VALU_DEP_3)
	v_cndmask_b32_e64 v62, 0, 1, s15
	v_lshlrev_b32_e32 v64, 30, v63
	s_delay_alu instid0(VALU_DEP_2) | instskip(NEXT) | instid1(VALU_DEP_2)
	v_cmp_ne_u32_e32 vcc_lo, 0, v62
	v_not_b32_e32 v62, v64
	v_cmp_gt_i32_e64 s15, 0, v64
	s_delay_alu instid0(VALU_DEP_2) | instskip(SKIP_3) | instid1(VALU_DEP_4)
	v_dual_ashrrev_i32 v62, 31, v62 :: v_dual_lshlrev_b32 v65, 29, v63
	v_dual_lshlrev_b32 v66, 28, v63 :: v_dual_lshlrev_b32 v67, 27, v63
	v_dual_lshlrev_b32 v196, 26, v63 :: v_dual_lshlrev_b32 v197, 25, v63
	v_lshlrev_b32_e32 v198, 24, v63
	v_cmp_gt_i32_e64 s16, 0, v65
	v_not_b32_e32 v64, v65
	v_not_b32_e32 v65, v66
	v_cmp_gt_i32_e64 s17, 0, v66
	v_cmp_gt_i32_e64 s18, 0, v67
	v_not_b32_e32 v66, v67
	v_not_b32_e32 v67, v196
	v_dual_ashrrev_i32 v64, 31, v64 :: v_dual_bitop2_b32 v61, vcc_lo, v61 bitop3:0x14
	v_dual_ashrrev_i32 v65, 31, v65 :: v_dual_bitop2_b32 v62, s15, v62 bitop3:0x14
	v_cmp_gt_i32_e64 s19, 0, v196
	v_cmp_gt_i32_e64 s20, 0, v197
	v_not_b32_e32 v196, v197
	v_not_b32_e32 v197, v198
	v_dual_ashrrev_i32 v66, 31, v66 :: v_dual_ashrrev_i32 v67, 31, v67
	v_xor_b32_e32 v64, s16, v64
	v_xor_b32_e32 v65, s17, v65
	v_bitop3_b32 v61, v61, v62, exec_lo bitop3:0x80
	v_cmp_gt_i32_e64 s21, 0, v198
	v_dual_ashrrev_i32 v62, 31, v196 :: v_dual_ashrrev_i32 v196, 31, v197
	v_xor_b32_e32 v66, s18, v66
	v_xor_b32_e32 v67, s19, v67
	v_bitop3_b32 v61, v61, v65, v64 bitop3:0x80
	v_mad_u32_u24 v64, v63, 36, v23
	v_xor_b32_e32 v62, s20, v62
	v_xor_b32_e32 v65, s21, v196
	s_delay_alu instid0(VALU_DEP_4) | instskip(SKIP_3) | instid1(VALU_DEP_2)
	v_bitop3_b32 v61, v61, v67, v66 bitop3:0x80
	ds_load_b32 v197, v64 offset:1056
	; wave barrier
	v_bitop3_b32 v61, v61, v65, v62 bitop3:0x80
	v_mul_u32_u24_e32 v62, 36, v63
	v_mbcnt_lo_u32_b32 v198, v61, 0
	v_cmp_ne_u32_e64 s15, 0, v61
	s_delay_alu instid0(VALU_DEP_3) | instskip(NEXT) | instid1(VALU_DEP_3)
	v_add_nc_u32_e32 v199, v23, v62
	v_cmp_eq_u32_e32 vcc_lo, 0, v198
	s_and_b32 s16, s15, vcc_lo
	s_delay_alu instid0(SALU_CYCLE_1)
	s_and_saveexec_b32 s15, s16
	s_cbranch_execz .LBB1862_1045
; %bb.1044:                             ;   in Loop: Header=BB1862_979 Depth=2
	s_wait_dscnt 0x0
	v_bcnt_u32_b32 v61, v61, v197
	ds_store_b32 v199, v61 offset:1056
.LBB1862_1045:                          ;   in Loop: Header=BB1862_979 Depth=2
	s_or_b32 exec_lo, exec_lo, s15
	v_cmp_lt_i16_e32 vcc_lo, -1, v60
	; wave barrier
	v_cndmask_b32_e64 v61, -1, 0xffff8000, vcc_lo
	s_delay_alu instid0(VALU_DEP_1) | instskip(NEXT) | instid1(VALU_DEP_1)
	v_xor_b32_e32 v196, v61, v60
	v_cmp_ne_u16_e64 vcc_lo, 0x7fff, v196
	v_cndmask_b32_e32 v60, 0xffff8000, v196, vcc_lo
	s_delay_alu instid0(VALU_DEP_1) | instskip(NEXT) | instid1(VALU_DEP_1)
	v_and_b32_e32 v60, 0xffff, v60
	v_lshrrev_b32_e32 v60, s49, v60
	s_delay_alu instid0(VALU_DEP_1) | instskip(SKIP_1) | instid1(VALU_DEP_2)
	v_bitop3_b32 v61, v60, 1, s52 bitop3:0x80
	v_and_b32_e32 v62, s52, v60
	v_add_co_u32 v60, s15, v61, -1
	s_delay_alu instid0(VALU_DEP_1) | instskip(NEXT) | instid1(VALU_DEP_3)
	v_cndmask_b32_e64 v61, 0, 1, s15
	v_lshlrev_b32_e32 v63, 30, v62
	s_delay_alu instid0(VALU_DEP_2) | instskip(NEXT) | instid1(VALU_DEP_2)
	v_cmp_ne_u32_e32 vcc_lo, 0, v61
	v_not_b32_e32 v61, v63
	v_cmp_gt_i32_e64 s15, 0, v63
	s_delay_alu instid0(VALU_DEP_2) | instskip(SKIP_3) | instid1(VALU_DEP_4)
	v_dual_ashrrev_i32 v61, 31, v61 :: v_dual_lshlrev_b32 v64, 29, v62
	v_dual_lshlrev_b32 v65, 28, v62 :: v_dual_lshlrev_b32 v66, 27, v62
	v_dual_lshlrev_b32 v67, 26, v62 :: v_dual_lshlrev_b32 v200, 25, v62
	v_lshlrev_b32_e32 v201, 24, v62
	v_cmp_gt_i32_e64 s16, 0, v64
	v_not_b32_e32 v63, v64
	v_not_b32_e32 v64, v65
	v_cmp_gt_i32_e64 s17, 0, v65
	v_cmp_gt_i32_e64 s18, 0, v66
	v_not_b32_e32 v65, v66
	v_not_b32_e32 v66, v67
	v_dual_ashrrev_i32 v63, 31, v63 :: v_dual_bitop2_b32 v60, vcc_lo, v60 bitop3:0x14
	v_dual_ashrrev_i32 v64, 31, v64 :: v_dual_bitop2_b32 v61, s15, v61 bitop3:0x14
	v_cmp_gt_i32_e64 s19, 0, v67
	v_cmp_gt_i32_e64 s20, 0, v200
	v_not_b32_e32 v67, v200
	v_not_b32_e32 v200, v201
	v_dual_ashrrev_i32 v65, 31, v65 :: v_dual_ashrrev_i32 v66, 31, v66
	v_xor_b32_e32 v63, s16, v63
	v_xor_b32_e32 v64, s17, v64
	v_bitop3_b32 v60, v60, v61, exec_lo bitop3:0x80
	v_cmp_gt_i32_e64 s21, 0, v201
	v_dual_ashrrev_i32 v61, 31, v67 :: v_dual_ashrrev_i32 v67, 31, v200
	v_xor_b32_e32 v65, s18, v65
	v_xor_b32_e32 v66, s19, v66
	v_bitop3_b32 v60, v60, v64, v63 bitop3:0x80
	v_mad_u32_u24 v63, v62, 36, v23
	v_xor_b32_e32 v61, s20, v61
	v_xor_b32_e32 v64, s21, v67
	s_delay_alu instid0(VALU_DEP_4) | instskip(SKIP_3) | instid1(VALU_DEP_2)
	v_bitop3_b32 v60, v60, v66, v65 bitop3:0x80
	ds_load_b32 v200, v63 offset:1056
	; wave barrier
	v_bitop3_b32 v60, v60, v64, v61 bitop3:0x80
	v_mul_u32_u24_e32 v61, 36, v62
	v_mbcnt_lo_u32_b32 v201, v60, 0
	v_cmp_ne_u32_e64 s15, 0, v60
	s_delay_alu instid0(VALU_DEP_3) | instskip(NEXT) | instid1(VALU_DEP_3)
	v_add_nc_u32_e32 v202, v23, v61
	v_cmp_eq_u32_e32 vcc_lo, 0, v201
	s_and_b32 s16, s15, vcc_lo
	s_delay_alu instid0(SALU_CYCLE_1)
	s_and_saveexec_b32 s15, s16
	s_cbranch_execz .LBB1862_1047
; %bb.1046:                             ;   in Loop: Header=BB1862_979 Depth=2
	s_wait_dscnt 0x0
	v_bcnt_u32_b32 v60, v60, v200
	ds_store_b32 v202, v60 offset:1056
.LBB1862_1047:                          ;   in Loop: Header=BB1862_979 Depth=2
	s_or_b32 exec_lo, exec_lo, s15
	; wave barrier
	s_wait_dscnt 0x0
	s_barrier_signal -1
	s_barrier_wait -1
	ds_load_2addr_b32 v[66:67], v118 offset1:1
	ds_load_2addr_b32 v[64:65], v119 offset1:1
	;; [unrolled: 1-line block ×4, first 2 shown]
	ds_load_b32 v203, v91 offset:1088
	s_wait_dscnt 0x3
	v_add3_u32 v204, v67, v66, v64
	s_wait_dscnt 0x2
	s_delay_alu instid0(VALU_DEP_1) | instskip(SKIP_1) | instid1(VALU_DEP_1)
	v_add3_u32 v204, v204, v65, v62
	s_wait_dscnt 0x1
	v_add3_u32 v204, v204, v63, v60
	s_wait_dscnt 0x0
	s_delay_alu instid0(VALU_DEP_1) | instskip(NEXT) | instid1(VALU_DEP_1)
	v_add3_u32 v203, v204, v61, v203
	v_mov_b32_dpp v204, v203 row_shr:1 row_mask:0xf bank_mask:0xf
	s_delay_alu instid0(VALU_DEP_1) | instskip(NEXT) | instid1(VALU_DEP_1)
	v_cndmask_b32_e64 v204, v204, 0, s7
	v_add_nc_u32_e32 v203, v204, v203
	s_delay_alu instid0(VALU_DEP_1) | instskip(NEXT) | instid1(VALU_DEP_1)
	v_mov_b32_dpp v204, v203 row_shr:2 row_mask:0xf bank_mask:0xf
	v_cndmask_b32_e64 v204, 0, v204, s8
	s_delay_alu instid0(VALU_DEP_1) | instskip(NEXT) | instid1(VALU_DEP_1)
	v_add_nc_u32_e32 v203, v203, v204
	v_mov_b32_dpp v204, v203 row_shr:4 row_mask:0xf bank_mask:0xf
	s_delay_alu instid0(VALU_DEP_1) | instskip(NEXT) | instid1(VALU_DEP_1)
	v_cndmask_b32_e64 v204, 0, v204, s9
	v_add_nc_u32_e32 v203, v203, v204
	s_delay_alu instid0(VALU_DEP_1) | instskip(NEXT) | instid1(VALU_DEP_1)
	v_mov_b32_dpp v204, v203 row_shr:8 row_mask:0xf bank_mask:0xf
	v_cndmask_b32_e64 v204, 0, v204, s10
	s_delay_alu instid0(VALU_DEP_1) | instskip(SKIP_3) | instid1(VALU_DEP_1)
	v_add_nc_u32_e32 v203, v203, v204
	ds_swizzle_b32 v204, v203 offset:swizzle(BROADCAST,32,15)
	s_wait_dscnt 0x0
	v_cndmask_b32_e64 v204, v204, 0, s11
	v_add_nc_u32_e32 v203, v203, v204
	s_and_saveexec_b32 s15, s1
; %bb.1048:                             ;   in Loop: Header=BB1862_979 Depth=2
	ds_store_b32 v84, v203 offset:1024
; %bb.1049:                             ;   in Loop: Header=BB1862_979 Depth=2
	s_or_b32 exec_lo, exec_lo, s15
	s_wait_dscnt 0x0
	s_barrier_signal -1
	s_barrier_wait -1
	s_and_saveexec_b32 s15, s4
	s_cbranch_execz .LBB1862_1051
; %bb.1050:                             ;   in Loop: Header=BB1862_979 Depth=2
	ds_load_b32 v204, v92 offset:1024
	s_wait_dscnt 0x0
	v_mov_b32_dpp v205, v204 row_shr:1 row_mask:0xf bank_mask:0xf
	s_delay_alu instid0(VALU_DEP_1) | instskip(NEXT) | instid1(VALU_DEP_1)
	v_cndmask_b32_e64 v205, v205, 0, s12
	v_add_nc_u32_e32 v204, v205, v204
	s_delay_alu instid0(VALU_DEP_1) | instskip(NEXT) | instid1(VALU_DEP_1)
	v_mov_b32_dpp v205, v204 row_shr:2 row_mask:0xf bank_mask:0xf
	v_cndmask_b32_e64 v205, 0, v205, s13
	s_delay_alu instid0(VALU_DEP_1) | instskip(NEXT) | instid1(VALU_DEP_1)
	v_add_nc_u32_e32 v204, v204, v205
	v_mov_b32_dpp v205, v204 row_shr:4 row_mask:0xf bank_mask:0xf
	s_delay_alu instid0(VALU_DEP_1) | instskip(NEXT) | instid1(VALU_DEP_1)
	v_cndmask_b32_e64 v205, 0, v205, s14
	v_add_nc_u32_e32 v204, v204, v205
	ds_store_b32 v92, v204 offset:1024
.LBB1862_1051:                          ;   in Loop: Header=BB1862_979 Depth=2
	s_or_b32 exec_lo, exec_lo, s15
	v_mov_b32_e32 v204, 0
	s_wait_dscnt 0x0
	s_barrier_signal -1
	s_barrier_wait -1
	s_and_saveexec_b32 s15, s5
; %bb.1052:                             ;   in Loop: Header=BB1862_979 Depth=2
	ds_load_b32 v204, v84 offset:1020
; %bb.1053:                             ;   in Loop: Header=BB1862_979 Depth=2
	s_or_b32 exec_lo, exec_lo, s15
	s_wait_dscnt 0x0
	v_add_nc_u32_e32 v203, v204, v203
	ds_bpermute_b32 v203, v122, v203
	s_wait_dscnt 0x0
	v_cndmask_b32_e64 v203, v203, v204, s6
	s_delay_alu instid0(VALU_DEP_1) | instskip(NEXT) | instid1(VALU_DEP_1)
	v_cndmask_b32_e64 v203, v203, 0, s2
	v_add_nc_u32_e32 v66, v203, v66
	s_delay_alu instid0(VALU_DEP_1) | instskip(NEXT) | instid1(VALU_DEP_1)
	v_add_nc_u32_e32 v67, v66, v67
	v_add_nc_u32_e32 v64, v67, v64
	s_delay_alu instid0(VALU_DEP_1) | instskip(NEXT) | instid1(VALU_DEP_1)
	v_add_nc_u32_e32 v65, v64, v65
	;; [unrolled: 3-line block ×3, first 2 shown]
	v_add_nc_u32_e32 v60, v63, v60
	s_delay_alu instid0(VALU_DEP_1)
	v_add_nc_u32_e32 v61, v60, v61
	ds_store_2addr_b32 v121, v63, v60 offset1:1
	ds_store_2addr_b32 v118, v203, v66 offset1:1
	ds_store_2addr_b32 v119, v67, v64 offset1:1
	ds_store_2addr_b32 v120, v65, v62 offset1:1
	ds_store_b32 v91, v61 offset:1088
	s_wait_dscnt 0x0
	s_barrier_signal -1
	s_barrier_wait -1
	ds_load_b32 v63, v143 offset:1056
	ds_load_b32 v65, v147 offset:1056
	;; [unrolled: 1-line block ×17, first 2 shown]
	v_mov_b32_e32 v62, 0x1000
	s_and_saveexec_b32 s15, s3
; %bb.1054:                             ;   in Loop: Header=BB1862_979 Depth=2
	ds_load_b32 v62, v91 offset:1092
; %bb.1055:                             ;   in Loop: Header=BB1862_979 Depth=2
	s_or_b32 exec_lo, exec_lo, s15
	s_wait_dscnt 0x0
	s_barrier_signal -1
	s_barrier_wait -1
	s_and_saveexec_b32 s15, s0
	s_cbranch_execz .LBB1862_1057
; %bb.1056:                             ;   in Loop: Header=BB1862_979 Depth=2
	ds_load_b32 v155, v3
	s_wait_dscnt 0x0
	v_sub_nc_u32_e32 v151, v155, v151
	ds_store_b32 v3, v151
.LBB1862_1057:                          ;   in Loop: Header=BB1862_979 Depth=2
	s_or_b32 exec_lo, exec_lo, s15
	v_add3_u32 v159, v146, v145, v65
	v_add_nc_u32_e32 v163, v63, v142
	v_add3_u32 v155, v150, v149, v66
	v_add3_u32 v151, v154, v153, v67
	;; [unrolled: 1-line block ×4, first 2 shown]
	v_lshlrev_b32_e32 v60, 1, v159
	v_lshlrev_b32_e32 v153, 1, v163
	v_add3_u32 v150, v158, v157, v143
	v_add3_u32 v147, v166, v165, v203
	;; [unrolled: 1-line block ×4, first 2 shown]
	v_lshlrev_b32_e32 v61, 1, v155
	v_add3_u32 v145, v174, v173, v175
	v_lshlrev_b32_e32 v154, 1, v149
	ds_store_b16 v153, v140 offset:1024
	v_lshlrev_b32_e32 v140, 1, v151
	v_add3_u32 v143, v178, v177, v179
	v_lshlrev_b32_e32 v153, 1, v150
	v_add3_u32 v142, v182, v181, v183
	v_add3_u32 v63, v186, v185, v187
	ds_store_b16 v60, v141 offset:1024
	ds_store_b16 v61, v144 offset:1024
	;; [unrolled: 1-line block ×5, first 2 shown]
	v_dual_lshlrev_b32 v60, 1, v147 :: v_dual_lshlrev_b32 v140, 1, v145
	v_lshlrev_b32_e32 v61, 1, v146
	v_add3_u32 v65, v198, v197, v64
	v_dual_lshlrev_b32 v141, 1, v143 :: v_dual_lshlrev_b32 v144, 1, v142
	v_add3_u32 v64, v201, v200, v167
	ds_store_b16 v60, v160 offset:1024
	ds_store_b16 v61, v164 offset:1024
	;; [unrolled: 1-line block ×5, first 2 shown]
	v_dual_lshlrev_b32 v60, 1, v63 :: v_dual_lshlrev_b32 v140, 1, v66
	v_cmp_lt_u32_e32 vcc_lo, v2, v139
	v_dual_lshlrev_b32 v61, 1, v67 :: v_dual_lshlrev_b32 v141, 1, v65
	v_lshlrev_b32_e32 v144, 1, v64
	ds_store_b16 v60, v180 offset:1024
	ds_store_b16 v61, v184 offset:1024
	;; [unrolled: 1-line block ×5, first 2 shown]
	s_wait_dscnt 0x0
	s_barrier_signal -1
	s_barrier_wait -1
	s_and_saveexec_b32 s16, vcc_lo
	s_cbranch_execnz .LBB1862_1126
; %bb.1058:                             ;   in Loop: Header=BB1862_979 Depth=2
	s_or_b32 exec_lo, exec_lo, s16
	v_cmp_lt_u32_e64 s15, v68, v139
	s_and_saveexec_b32 s17, s15
	s_cbranch_execnz .LBB1862_1127
.LBB1862_1059:                          ;   in Loop: Header=BB1862_979 Depth=2
	s_or_b32 exec_lo, exec_lo, s17
	v_cmp_lt_u32_e64 s16, v69, v139
	s_and_saveexec_b32 s18, s16
	s_cbranch_execnz .LBB1862_1128
.LBB1862_1060:                          ;   in Loop: Header=BB1862_979 Depth=2
	s_or_b32 exec_lo, exec_lo, s18
	v_cmp_lt_u32_e64 s17, v70, v139
	s_and_saveexec_b32 s19, s17
	s_cbranch_execnz .LBB1862_1129
.LBB1862_1061:                          ;   in Loop: Header=BB1862_979 Depth=2
	s_or_b32 exec_lo, exec_lo, s19
	v_cmp_lt_u32_e64 s18, v71, v139
	s_and_saveexec_b32 s20, s18
	s_cbranch_execnz .LBB1862_1130
.LBB1862_1062:                          ;   in Loop: Header=BB1862_979 Depth=2
	s_or_b32 exec_lo, exec_lo, s20
	v_cmp_lt_u32_e64 s19, v72, v139
	s_and_saveexec_b32 s21, s19
	s_cbranch_execnz .LBB1862_1131
.LBB1862_1063:                          ;   in Loop: Header=BB1862_979 Depth=2
	s_or_b32 exec_lo, exec_lo, s21
	v_cmp_lt_u32_e64 s20, v73, v139
	s_and_saveexec_b32 s22, s20
	s_cbranch_execnz .LBB1862_1132
.LBB1862_1064:                          ;   in Loop: Header=BB1862_979 Depth=2
	s_or_b32 exec_lo, exec_lo, s22
	v_cmp_lt_u32_e64 s21, v74, v139
	s_and_saveexec_b32 s23, s21
	s_cbranch_execnz .LBB1862_1133
.LBB1862_1065:                          ;   in Loop: Header=BB1862_979 Depth=2
	s_or_b32 exec_lo, exec_lo, s23
	v_cmp_lt_u32_e64 s22, v75, v139
	s_and_saveexec_b32 s24, s22
	s_cbranch_execnz .LBB1862_1134
.LBB1862_1066:                          ;   in Loop: Header=BB1862_979 Depth=2
	s_or_b32 exec_lo, exec_lo, s24
	v_cmp_lt_u32_e64 s23, v76, v139
	s_and_saveexec_b32 s25, s23
	s_cbranch_execnz .LBB1862_1135
.LBB1862_1067:                          ;   in Loop: Header=BB1862_979 Depth=2
	s_or_b32 exec_lo, exec_lo, s25
	v_cmp_lt_u32_e64 s24, v77, v139
	s_and_saveexec_b32 s26, s24
	s_cbranch_execnz .LBB1862_1136
.LBB1862_1068:                          ;   in Loop: Header=BB1862_979 Depth=2
	s_or_b32 exec_lo, exec_lo, s26
	v_cmp_lt_u32_e64 s25, v78, v139
	s_and_saveexec_b32 s27, s25
	s_cbranch_execnz .LBB1862_1137
.LBB1862_1069:                          ;   in Loop: Header=BB1862_979 Depth=2
	s_or_b32 exec_lo, exec_lo, s27
	v_cmp_lt_u32_e64 s26, v79, v139
	s_and_saveexec_b32 s28, s26
	s_cbranch_execnz .LBB1862_1138
.LBB1862_1070:                          ;   in Loop: Header=BB1862_979 Depth=2
	s_or_b32 exec_lo, exec_lo, s28
	v_cmp_lt_u32_e64 s27, v80, v139
	s_and_saveexec_b32 s29, s27
	s_cbranch_execnz .LBB1862_1139
.LBB1862_1071:                          ;   in Loop: Header=BB1862_979 Depth=2
	s_or_b32 exec_lo, exec_lo, s29
	v_cmp_lt_u32_e64 s28, v81, v139
	s_and_saveexec_b32 s30, s28
	s_cbranch_execnz .LBB1862_1140
.LBB1862_1072:                          ;   in Loop: Header=BB1862_979 Depth=2
	s_or_b32 exec_lo, exec_lo, s30
	v_cmp_lt_u32_e64 s29, v82, v139
	s_and_saveexec_b32 s58, s29
	s_cbranch_execz .LBB1862_1074
.LBB1862_1073:                          ;   in Loop: Header=BB1862_979 Depth=2
	ds_load_u16 v60, v93 offset:8704
	s_wait_dscnt 0x0
	v_cmp_ne_u16_e64 s30, 0x7fff, v60
	s_delay_alu instid0(VALU_DEP_1) | instskip(SKIP_1) | instid1(VALU_DEP_2)
	v_cndmask_b32_e64 v61, 0xffff8000, v60, s30
	v_cmp_lt_i16_e64 s30, -1, v60
	v_and_b32_e32 v61, 0xffff, v61
	s_delay_alu instid0(VALU_DEP_2) | instskip(NEXT) | instid1(VALU_DEP_1)
	v_cndmask_b32_e64 v140, 0xffff8000, -1, s30
	v_dual_lshrrev_b32 v61, s49, v61 :: v_dual_bitop2_b32 v60, v140, v60 bitop3:0x14
	s_delay_alu instid0(VALU_DEP_1) | instskip(NEXT) | instid1(VALU_DEP_1)
	v_and_b32_e32 v61, s52, v61
	v_lshlrev_b32_e32 v61, 2, v61
	ds_load_b32 v61, v61
	s_wait_dscnt 0x0
	v_add_nc_u32_e32 v61, v61, v82
	global_store_b16 v61, v60, s[40:41] scale_offset
.LBB1862_1074:                          ;   in Loop: Header=BB1862_979 Depth=2
	s_wait_xcnt 0x0
	s_or_b32 exec_lo, exec_lo, s58
	v_lshl_add_u64 v[60:61], s[42:43], 3, v[24:25]
	v_cmp_lt_u32_e64 s30, v100, v139
	s_and_saveexec_b32 s42, s30
	s_delay_alu instid0(SALU_CYCLE_1)
	s_xor_b32 s30, exec_lo, s42
	s_cbranch_execnz .LBB1862_1141
; %bb.1075:                             ;   in Loop: Header=BB1862_979 Depth=2
	s_or_b32 exec_lo, exec_lo, s30
	s_delay_alu instid0(SALU_CYCLE_1)
	s_mov_b32 s42, exec_lo
	v_cmpx_lt_u32_e64 v103, v139
	s_cbranch_execnz .LBB1862_1142
.LBB1862_1076:                          ;   in Loop: Header=BB1862_979 Depth=2
	s_or_b32 exec_lo, exec_lo, s42
	s_delay_alu instid0(SALU_CYCLE_1)
	s_mov_b32 s42, exec_lo
	v_cmpx_lt_u32_e64 v104, v139
	s_cbranch_execnz .LBB1862_1143
.LBB1862_1077:                          ;   in Loop: Header=BB1862_979 Depth=2
	s_or_b32 exec_lo, exec_lo, s42
	s_delay_alu instid0(SALU_CYCLE_1)
	s_mov_b32 s42, exec_lo
	v_cmpx_lt_u32_e64 v105, v139
	s_cbranch_execnz .LBB1862_1144
.LBB1862_1078:                          ;   in Loop: Header=BB1862_979 Depth=2
	s_or_b32 exec_lo, exec_lo, s42
	s_delay_alu instid0(SALU_CYCLE_1)
	s_mov_b32 s42, exec_lo
	v_cmpx_lt_u32_e64 v106, v139
	s_cbranch_execnz .LBB1862_1145
.LBB1862_1079:                          ;   in Loop: Header=BB1862_979 Depth=2
	s_or_b32 exec_lo, exec_lo, s42
	s_delay_alu instid0(SALU_CYCLE_1)
	s_mov_b32 s42, exec_lo
	v_cmpx_lt_u32_e64 v107, v139
	s_cbranch_execnz .LBB1862_1146
.LBB1862_1080:                          ;   in Loop: Header=BB1862_979 Depth=2
	s_or_b32 exec_lo, exec_lo, s42
	s_delay_alu instid0(SALU_CYCLE_1)
	s_mov_b32 s42, exec_lo
	v_cmpx_lt_u32_e64 v108, v139
	s_cbranch_execnz .LBB1862_1147
.LBB1862_1081:                          ;   in Loop: Header=BB1862_979 Depth=2
	s_or_b32 exec_lo, exec_lo, s42
	s_delay_alu instid0(SALU_CYCLE_1)
	s_mov_b32 s42, exec_lo
	v_cmpx_lt_u32_e64 v109, v139
	s_cbranch_execnz .LBB1862_1148
.LBB1862_1082:                          ;   in Loop: Header=BB1862_979 Depth=2
	s_or_b32 exec_lo, exec_lo, s42
	s_delay_alu instid0(SALU_CYCLE_1)
	s_mov_b32 s42, exec_lo
	v_cmpx_lt_u32_e64 v110, v139
	s_cbranch_execnz .LBB1862_1149
.LBB1862_1083:                          ;   in Loop: Header=BB1862_979 Depth=2
	s_or_b32 exec_lo, exec_lo, s42
	s_delay_alu instid0(SALU_CYCLE_1)
	s_mov_b32 s42, exec_lo
	v_cmpx_lt_u32_e64 v111, v139
	s_cbranch_execnz .LBB1862_1150
.LBB1862_1084:                          ;   in Loop: Header=BB1862_979 Depth=2
	s_or_b32 exec_lo, exec_lo, s42
	s_delay_alu instid0(SALU_CYCLE_1)
	s_mov_b32 s42, exec_lo
	v_cmpx_lt_u32_e64 v112, v139
	s_cbranch_execnz .LBB1862_1151
.LBB1862_1085:                          ;   in Loop: Header=BB1862_979 Depth=2
	s_or_b32 exec_lo, exec_lo, s42
	s_delay_alu instid0(SALU_CYCLE_1)
	s_mov_b32 s42, exec_lo
	v_cmpx_lt_u32_e64 v113, v139
	s_cbranch_execnz .LBB1862_1152
.LBB1862_1086:                          ;   in Loop: Header=BB1862_979 Depth=2
	s_or_b32 exec_lo, exec_lo, s42
	s_delay_alu instid0(SALU_CYCLE_1)
	s_mov_b32 s42, exec_lo
	v_cmpx_lt_u32_e64 v114, v139
	s_cbranch_execnz .LBB1862_1153
.LBB1862_1087:                          ;   in Loop: Header=BB1862_979 Depth=2
	s_or_b32 exec_lo, exec_lo, s42
	s_delay_alu instid0(SALU_CYCLE_1)
	s_mov_b32 s42, exec_lo
	v_cmpx_lt_u32_e64 v115, v139
	s_cbranch_execnz .LBB1862_1154
.LBB1862_1088:                          ;   in Loop: Header=BB1862_979 Depth=2
	s_or_b32 exec_lo, exec_lo, s42
	s_delay_alu instid0(SALU_CYCLE_1)
	s_mov_b32 s42, exec_lo
	v_cmpx_lt_u32_e64 v116, v139
	s_cbranch_execnz .LBB1862_1155
.LBB1862_1089:                          ;   in Loop: Header=BB1862_979 Depth=2
	s_or_b32 exec_lo, exec_lo, s42
	s_delay_alu instid0(SALU_CYCLE_1)
	s_mov_b32 s42, exec_lo
	v_cmpx_lt_u32_e64 v117, v139
	s_cbranch_execnz .LBB1862_1156
.LBB1862_1090:                          ;   in Loop: Header=BB1862_979 Depth=2
	s_or_b32 exec_lo, exec_lo, s42
	s_and_saveexec_b32 s42, vcc_lo
	s_cbranch_execnz .LBB1862_1157
.LBB1862_1091:                          ;   in Loop: Header=BB1862_979 Depth=2
	s_or_b32 exec_lo, exec_lo, s42
	s_and_saveexec_b32 s42, s15
	s_cbranch_execnz .LBB1862_1158
.LBB1862_1092:                          ;   in Loop: Header=BB1862_979 Depth=2
	s_or_b32 exec_lo, exec_lo, s42
	s_and_saveexec_b32 s42, s16
	s_cbranch_execnz .LBB1862_1159
.LBB1862_1093:                          ;   in Loop: Header=BB1862_979 Depth=2
	s_or_b32 exec_lo, exec_lo, s42
	s_and_saveexec_b32 s42, s17
	s_cbranch_execnz .LBB1862_1160
.LBB1862_1094:                          ;   in Loop: Header=BB1862_979 Depth=2
	s_or_b32 exec_lo, exec_lo, s42
	s_and_saveexec_b32 s42, s18
	s_cbranch_execnz .LBB1862_1161
.LBB1862_1095:                          ;   in Loop: Header=BB1862_979 Depth=2
	s_or_b32 exec_lo, exec_lo, s42
	s_and_saveexec_b32 s42, s19
	s_cbranch_execnz .LBB1862_1162
.LBB1862_1096:                          ;   in Loop: Header=BB1862_979 Depth=2
	s_or_b32 exec_lo, exec_lo, s42
	s_and_saveexec_b32 s42, s20
	s_cbranch_execnz .LBB1862_1163
.LBB1862_1097:                          ;   in Loop: Header=BB1862_979 Depth=2
	s_or_b32 exec_lo, exec_lo, s42
	s_and_saveexec_b32 s42, s21
	s_cbranch_execnz .LBB1862_1164
.LBB1862_1098:                          ;   in Loop: Header=BB1862_979 Depth=2
	s_or_b32 exec_lo, exec_lo, s42
	s_and_saveexec_b32 s42, s22
	s_cbranch_execnz .LBB1862_1165
.LBB1862_1099:                          ;   in Loop: Header=BB1862_979 Depth=2
	s_or_b32 exec_lo, exec_lo, s42
	s_and_saveexec_b32 s42, s23
	s_cbranch_execnz .LBB1862_1166
.LBB1862_1100:                          ;   in Loop: Header=BB1862_979 Depth=2
	s_or_b32 exec_lo, exec_lo, s42
	s_and_saveexec_b32 s42, s24
	s_cbranch_execnz .LBB1862_1167
.LBB1862_1101:                          ;   in Loop: Header=BB1862_979 Depth=2
	s_or_b32 exec_lo, exec_lo, s42
	s_and_saveexec_b32 s42, s25
	s_cbranch_execnz .LBB1862_1168
.LBB1862_1102:                          ;   in Loop: Header=BB1862_979 Depth=2
	s_or_b32 exec_lo, exec_lo, s42
	s_and_saveexec_b32 s42, s26
	s_cbranch_execnz .LBB1862_1169
.LBB1862_1103:                          ;   in Loop: Header=BB1862_979 Depth=2
	s_or_b32 exec_lo, exec_lo, s42
	s_and_saveexec_b32 s42, s27
	s_cbranch_execnz .LBB1862_1170
.LBB1862_1104:                          ;   in Loop: Header=BB1862_979 Depth=2
	s_or_b32 exec_lo, exec_lo, s42
	s_and_saveexec_b32 s42, s28
	s_cbranch_execnz .LBB1862_1171
.LBB1862_1105:                          ;   in Loop: Header=BB1862_979 Depth=2
	s_or_b32 exec_lo, exec_lo, s42
	s_and_saveexec_b32 s42, s29
	s_cbranch_execz .LBB1862_1107
.LBB1862_1106:                          ;   in Loop: Header=BB1862_979 Depth=2
	ds_load_u16 v60, v93 offset:8704
	s_wait_dscnt 0x0
	v_cmp_ne_u16_e64 s30, 0x7fff, v60
	s_delay_alu instid0(VALU_DEP_1) | instskip(NEXT) | instid1(VALU_DEP_1)
	v_cndmask_b32_e64 v60, 0xffff8000, v60, s30
	v_and_b32_e32 v60, 0xffff, v60
	s_delay_alu instid0(VALU_DEP_1) | instskip(NEXT) | instid1(VALU_DEP_1)
	v_lshrrev_b32_e32 v60, s49, v60
	v_and_b32_e32 v123, s52, v60
.LBB1862_1107:                          ;   in Loop: Header=BB1862_979 Depth=2
	s_or_b32 exec_lo, exec_lo, s42
	v_dual_lshlrev_b32 v60, 3, v163 :: v_dual_lshlrev_b32 v140, 3, v150
	s_wait_loadcnt 0x0
	s_wait_storecnt 0x0
	s_barrier_signal -1
	s_barrier_wait -1
	ds_store_b64 v60, v[58:59] offset:1024
	v_dual_lshlrev_b32 v60, 3, v159 :: v_dual_lshlrev_b32 v141, 3, v149
	v_lshlrev_b32_e32 v61, 3, v155
	v_lshlrev_b32_e32 v139, 3, v151
	ds_store_b64 v60, v[56:57] offset:1024
	ds_store_b64 v61, v[54:55] offset:1024
	;; [unrolled: 1-line block ×5, first 2 shown]
	v_dual_lshlrev_b32 v60, 3, v147 :: v_dual_lshlrev_b32 v141, 3, v142
	v_dual_lshlrev_b32 v61, 3, v146 :: v_dual_lshlrev_b32 v139, 3, v145
	v_lshlrev_b32_e32 v140, 3, v143
	ds_store_b64 v60, v[46:47] offset:1024
	ds_store_b64 v61, v[44:45] offset:1024
	;; [unrolled: 1-line block ×5, first 2 shown]
	v_dual_lshlrev_b32 v60, 3, v63 :: v_dual_lshlrev_b32 v65, 3, v65
	v_dual_lshlrev_b32 v61, 3, v67 :: v_dual_lshlrev_b32 v64, 3, v64
	v_lshlrev_b32_e32 v63, 3, v66
	ds_store_b64 v60, v[36:37] offset:1024
	ds_store_b64 v61, v[34:35] offset:1024
	;; [unrolled: 1-line block ×5, first 2 shown]
	v_add_nc_u32_e32 v60, v93, v94
	s_wait_dscnt 0x0
	s_barrier_signal -1
	s_barrier_wait -1
	s_and_saveexec_b32 s30, vcc_lo
	s_cbranch_execnz .LBB1862_1172
; %bb.1108:                             ;   in Loop: Header=BB1862_979 Depth=2
	s_or_b32 exec_lo, exec_lo, s30
	s_and_saveexec_b32 s30, s15
	s_cbranch_execnz .LBB1862_1173
.LBB1862_1109:                          ;   in Loop: Header=BB1862_979 Depth=2
	s_or_b32 exec_lo, exec_lo, s30
	s_and_saveexec_b32 s15, s16
	s_cbranch_execnz .LBB1862_1174
.LBB1862_1110:                          ;   in Loop: Header=BB1862_979 Depth=2
	s_or_b32 exec_lo, exec_lo, s15
	s_and_saveexec_b32 s15, s17
	s_cbranch_execnz .LBB1862_1175
.LBB1862_1111:                          ;   in Loop: Header=BB1862_979 Depth=2
	s_or_b32 exec_lo, exec_lo, s15
	s_and_saveexec_b32 s15, s18
	s_cbranch_execnz .LBB1862_1176
.LBB1862_1112:                          ;   in Loop: Header=BB1862_979 Depth=2
	s_or_b32 exec_lo, exec_lo, s15
	s_and_saveexec_b32 s15, s19
	s_cbranch_execnz .LBB1862_1177
.LBB1862_1113:                          ;   in Loop: Header=BB1862_979 Depth=2
	s_or_b32 exec_lo, exec_lo, s15
	s_and_saveexec_b32 s15, s20
	s_cbranch_execnz .LBB1862_1178
.LBB1862_1114:                          ;   in Loop: Header=BB1862_979 Depth=2
	s_or_b32 exec_lo, exec_lo, s15
	s_and_saveexec_b32 s15, s21
	s_cbranch_execnz .LBB1862_1179
.LBB1862_1115:                          ;   in Loop: Header=BB1862_979 Depth=2
	s_or_b32 exec_lo, exec_lo, s15
	s_and_saveexec_b32 s15, s22
	s_cbranch_execnz .LBB1862_1180
.LBB1862_1116:                          ;   in Loop: Header=BB1862_979 Depth=2
	s_or_b32 exec_lo, exec_lo, s15
	s_and_saveexec_b32 s15, s23
	s_cbranch_execnz .LBB1862_1181
.LBB1862_1117:                          ;   in Loop: Header=BB1862_979 Depth=2
	s_or_b32 exec_lo, exec_lo, s15
	s_and_saveexec_b32 s15, s24
	s_cbranch_execnz .LBB1862_1182
.LBB1862_1118:                          ;   in Loop: Header=BB1862_979 Depth=2
	s_or_b32 exec_lo, exec_lo, s15
	s_and_saveexec_b32 s15, s25
	s_cbranch_execnz .LBB1862_1183
.LBB1862_1119:                          ;   in Loop: Header=BB1862_979 Depth=2
	s_or_b32 exec_lo, exec_lo, s15
	s_and_saveexec_b32 s15, s26
	s_cbranch_execnz .LBB1862_1184
.LBB1862_1120:                          ;   in Loop: Header=BB1862_979 Depth=2
	s_or_b32 exec_lo, exec_lo, s15
	s_and_saveexec_b32 s15, s27
	s_cbranch_execnz .LBB1862_1185
.LBB1862_1121:                          ;   in Loop: Header=BB1862_979 Depth=2
	s_or_b32 exec_lo, exec_lo, s15
	s_and_saveexec_b32 s15, s28
	s_cbranch_execnz .LBB1862_1186
.LBB1862_1122:                          ;   in Loop: Header=BB1862_979 Depth=2
	s_or_b32 exec_lo, exec_lo, s15
	s_and_saveexec_b32 s15, s29
	s_cbranch_execz .LBB1862_1124
.LBB1862_1123:                          ;   in Loop: Header=BB1862_979 Depth=2
	v_lshlrev_b32_e32 v61, 2, v123
	ds_load_b32 v63, v61
	ds_load_b64 v[60:61], v60 offset:31744
	s_wait_dscnt 0x1
	v_add_nc_u32_e32 v63, v63, v82
	s_wait_dscnt 0x0
	global_store_b64 v63, v[60:61], s[46:47] scale_offset
.LBB1862_1124:                          ;   in Loop: Header=BB1862_979 Depth=2
	s_wait_xcnt 0x0
	s_or_b32 exec_lo, exec_lo, s15
	s_wait_storecnt 0x0
	s_barrier_signal -1
	s_barrier_wait -1
	s_and_saveexec_b32 s15, s0
	s_cbranch_execz .LBB1862_978
; %bb.1125:                             ;   in Loop: Header=BB1862_979 Depth=2
	ds_load_b32 v60, v3
	s_wait_dscnt 0x0
	v_add_nc_u32_e32 v60, v60, v62
	ds_store_b32 v3, v60
	s_branch .LBB1862_978
.LBB1862_1126:                          ;   in Loop: Header=BB1862_979 Depth=2
	ds_load_u16 v60, v93 offset:1024
	s_wait_dscnt 0x0
	v_cmp_ne_u16_e64 s15, 0x7fff, v60
	s_delay_alu instid0(VALU_DEP_1) | instskip(SKIP_1) | instid1(VALU_DEP_2)
	v_cndmask_b32_e64 v61, 0xffff8000, v60, s15
	v_cmp_lt_i16_e64 s15, -1, v60
	v_and_b32_e32 v61, 0xffff, v61
	s_delay_alu instid0(VALU_DEP_2) | instskip(NEXT) | instid1(VALU_DEP_1)
	v_cndmask_b32_e64 v140, 0xffff8000, -1, s15
	v_dual_lshrrev_b32 v61, s49, v61 :: v_dual_bitop2_b32 v60, v140, v60 bitop3:0x14
	s_delay_alu instid0(VALU_DEP_1) | instskip(NEXT) | instid1(VALU_DEP_1)
	v_and_b32_e32 v61, s52, v61
	v_lshlrev_b32_e32 v61, 2, v61
	ds_load_b32 v61, v61
	s_wait_dscnt 0x0
	v_add_nc_u32_e32 v61, v61, v2
	global_store_b16 v61, v60, s[40:41] scale_offset
	s_wait_xcnt 0x0
	s_or_b32 exec_lo, exec_lo, s16
	v_cmp_lt_u32_e64 s15, v68, v139
	s_and_saveexec_b32 s17, s15
	s_cbranch_execz .LBB1862_1059
.LBB1862_1127:                          ;   in Loop: Header=BB1862_979 Depth=2
	ds_load_u16 v60, v93 offset:1536
	s_wait_dscnt 0x0
	v_cmp_ne_u16_e64 s16, 0x7fff, v60
	s_delay_alu instid0(VALU_DEP_1) | instskip(SKIP_1) | instid1(VALU_DEP_2)
	v_cndmask_b32_e64 v61, 0xffff8000, v60, s16
	v_cmp_lt_i16_e64 s16, -1, v60
	v_and_b32_e32 v61, 0xffff, v61
	s_delay_alu instid0(VALU_DEP_2) | instskip(NEXT) | instid1(VALU_DEP_1)
	v_cndmask_b32_e64 v140, 0xffff8000, -1, s16
	v_dual_lshrrev_b32 v61, s49, v61 :: v_dual_bitop2_b32 v60, v140, v60 bitop3:0x14
	s_delay_alu instid0(VALU_DEP_1) | instskip(NEXT) | instid1(VALU_DEP_1)
	v_and_b32_e32 v61, s52, v61
	v_lshlrev_b32_e32 v61, 2, v61
	ds_load_b32 v61, v61
	s_wait_dscnt 0x0
	v_add_nc_u32_e32 v61, v61, v68
	global_store_b16 v61, v60, s[40:41] scale_offset
	s_wait_xcnt 0x0
	s_or_b32 exec_lo, exec_lo, s17
	v_cmp_lt_u32_e64 s16, v69, v139
	s_and_saveexec_b32 s18, s16
	s_cbranch_execz .LBB1862_1060
.LBB1862_1128:                          ;   in Loop: Header=BB1862_979 Depth=2
	ds_load_u16 v60, v93 offset:2048
	s_wait_dscnt 0x0
	v_cmp_ne_u16_e64 s17, 0x7fff, v60
	s_delay_alu instid0(VALU_DEP_1) | instskip(SKIP_1) | instid1(VALU_DEP_2)
	v_cndmask_b32_e64 v61, 0xffff8000, v60, s17
	v_cmp_lt_i16_e64 s17, -1, v60
	v_and_b32_e32 v61, 0xffff, v61
	s_delay_alu instid0(VALU_DEP_2) | instskip(NEXT) | instid1(VALU_DEP_1)
	v_cndmask_b32_e64 v140, 0xffff8000, -1, s17
	v_dual_lshrrev_b32 v61, s49, v61 :: v_dual_bitop2_b32 v60, v140, v60 bitop3:0x14
	s_delay_alu instid0(VALU_DEP_1) | instskip(NEXT) | instid1(VALU_DEP_1)
	v_and_b32_e32 v61, s52, v61
	v_lshlrev_b32_e32 v61, 2, v61
	ds_load_b32 v61, v61
	s_wait_dscnt 0x0
	v_add_nc_u32_e32 v61, v61, v69
	global_store_b16 v61, v60, s[40:41] scale_offset
	s_wait_xcnt 0x0
	s_or_b32 exec_lo, exec_lo, s18
	v_cmp_lt_u32_e64 s17, v70, v139
	s_and_saveexec_b32 s19, s17
	s_cbranch_execz .LBB1862_1061
.LBB1862_1129:                          ;   in Loop: Header=BB1862_979 Depth=2
	ds_load_u16 v60, v93 offset:2560
	s_wait_dscnt 0x0
	v_cmp_ne_u16_e64 s18, 0x7fff, v60
	s_delay_alu instid0(VALU_DEP_1) | instskip(SKIP_1) | instid1(VALU_DEP_2)
	v_cndmask_b32_e64 v61, 0xffff8000, v60, s18
	v_cmp_lt_i16_e64 s18, -1, v60
	v_and_b32_e32 v61, 0xffff, v61
	s_delay_alu instid0(VALU_DEP_2) | instskip(NEXT) | instid1(VALU_DEP_1)
	v_cndmask_b32_e64 v140, 0xffff8000, -1, s18
	v_dual_lshrrev_b32 v61, s49, v61 :: v_dual_bitop2_b32 v60, v140, v60 bitop3:0x14
	s_delay_alu instid0(VALU_DEP_1) | instskip(NEXT) | instid1(VALU_DEP_1)
	v_and_b32_e32 v61, s52, v61
	v_lshlrev_b32_e32 v61, 2, v61
	ds_load_b32 v61, v61
	s_wait_dscnt 0x0
	v_add_nc_u32_e32 v61, v61, v70
	global_store_b16 v61, v60, s[40:41] scale_offset
	s_wait_xcnt 0x0
	s_or_b32 exec_lo, exec_lo, s19
	v_cmp_lt_u32_e64 s18, v71, v139
	s_and_saveexec_b32 s20, s18
	s_cbranch_execz .LBB1862_1062
.LBB1862_1130:                          ;   in Loop: Header=BB1862_979 Depth=2
	ds_load_u16 v60, v93 offset:3072
	s_wait_dscnt 0x0
	v_cmp_ne_u16_e64 s19, 0x7fff, v60
	s_delay_alu instid0(VALU_DEP_1) | instskip(SKIP_1) | instid1(VALU_DEP_2)
	v_cndmask_b32_e64 v61, 0xffff8000, v60, s19
	v_cmp_lt_i16_e64 s19, -1, v60
	v_and_b32_e32 v61, 0xffff, v61
	s_delay_alu instid0(VALU_DEP_2) | instskip(NEXT) | instid1(VALU_DEP_1)
	v_cndmask_b32_e64 v140, 0xffff8000, -1, s19
	v_dual_lshrrev_b32 v61, s49, v61 :: v_dual_bitop2_b32 v60, v140, v60 bitop3:0x14
	s_delay_alu instid0(VALU_DEP_1) | instskip(NEXT) | instid1(VALU_DEP_1)
	v_and_b32_e32 v61, s52, v61
	v_lshlrev_b32_e32 v61, 2, v61
	ds_load_b32 v61, v61
	s_wait_dscnt 0x0
	v_add_nc_u32_e32 v61, v61, v71
	global_store_b16 v61, v60, s[40:41] scale_offset
	s_wait_xcnt 0x0
	s_or_b32 exec_lo, exec_lo, s20
	v_cmp_lt_u32_e64 s19, v72, v139
	s_and_saveexec_b32 s21, s19
	s_cbranch_execz .LBB1862_1063
.LBB1862_1131:                          ;   in Loop: Header=BB1862_979 Depth=2
	ds_load_u16 v60, v93 offset:3584
	s_wait_dscnt 0x0
	v_cmp_ne_u16_e64 s20, 0x7fff, v60
	s_delay_alu instid0(VALU_DEP_1) | instskip(SKIP_1) | instid1(VALU_DEP_2)
	v_cndmask_b32_e64 v61, 0xffff8000, v60, s20
	v_cmp_lt_i16_e64 s20, -1, v60
	v_and_b32_e32 v61, 0xffff, v61
	s_delay_alu instid0(VALU_DEP_2) | instskip(NEXT) | instid1(VALU_DEP_1)
	v_cndmask_b32_e64 v140, 0xffff8000, -1, s20
	v_dual_lshrrev_b32 v61, s49, v61 :: v_dual_bitop2_b32 v60, v140, v60 bitop3:0x14
	s_delay_alu instid0(VALU_DEP_1) | instskip(NEXT) | instid1(VALU_DEP_1)
	v_and_b32_e32 v61, s52, v61
	v_lshlrev_b32_e32 v61, 2, v61
	ds_load_b32 v61, v61
	s_wait_dscnt 0x0
	v_add_nc_u32_e32 v61, v61, v72
	global_store_b16 v61, v60, s[40:41] scale_offset
	s_wait_xcnt 0x0
	s_or_b32 exec_lo, exec_lo, s21
	v_cmp_lt_u32_e64 s20, v73, v139
	s_and_saveexec_b32 s22, s20
	s_cbranch_execz .LBB1862_1064
.LBB1862_1132:                          ;   in Loop: Header=BB1862_979 Depth=2
	ds_load_u16 v60, v93 offset:4096
	s_wait_dscnt 0x0
	v_cmp_ne_u16_e64 s21, 0x7fff, v60
	s_delay_alu instid0(VALU_DEP_1) | instskip(SKIP_1) | instid1(VALU_DEP_2)
	v_cndmask_b32_e64 v61, 0xffff8000, v60, s21
	v_cmp_lt_i16_e64 s21, -1, v60
	v_and_b32_e32 v61, 0xffff, v61
	s_delay_alu instid0(VALU_DEP_2) | instskip(NEXT) | instid1(VALU_DEP_1)
	v_cndmask_b32_e64 v140, 0xffff8000, -1, s21
	v_dual_lshrrev_b32 v61, s49, v61 :: v_dual_bitop2_b32 v60, v140, v60 bitop3:0x14
	s_delay_alu instid0(VALU_DEP_1) | instskip(NEXT) | instid1(VALU_DEP_1)
	v_and_b32_e32 v61, s52, v61
	v_lshlrev_b32_e32 v61, 2, v61
	ds_load_b32 v61, v61
	s_wait_dscnt 0x0
	v_add_nc_u32_e32 v61, v61, v73
	global_store_b16 v61, v60, s[40:41] scale_offset
	s_wait_xcnt 0x0
	s_or_b32 exec_lo, exec_lo, s22
	v_cmp_lt_u32_e64 s21, v74, v139
	s_and_saveexec_b32 s23, s21
	s_cbranch_execz .LBB1862_1065
.LBB1862_1133:                          ;   in Loop: Header=BB1862_979 Depth=2
	ds_load_u16 v60, v93 offset:4608
	s_wait_dscnt 0x0
	v_cmp_ne_u16_e64 s22, 0x7fff, v60
	s_delay_alu instid0(VALU_DEP_1) | instskip(SKIP_1) | instid1(VALU_DEP_2)
	v_cndmask_b32_e64 v61, 0xffff8000, v60, s22
	v_cmp_lt_i16_e64 s22, -1, v60
	v_and_b32_e32 v61, 0xffff, v61
	s_delay_alu instid0(VALU_DEP_2) | instskip(NEXT) | instid1(VALU_DEP_1)
	v_cndmask_b32_e64 v140, 0xffff8000, -1, s22
	v_dual_lshrrev_b32 v61, s49, v61 :: v_dual_bitop2_b32 v60, v140, v60 bitop3:0x14
	s_delay_alu instid0(VALU_DEP_1) | instskip(NEXT) | instid1(VALU_DEP_1)
	v_and_b32_e32 v61, s52, v61
	v_lshlrev_b32_e32 v61, 2, v61
	ds_load_b32 v61, v61
	s_wait_dscnt 0x0
	v_add_nc_u32_e32 v61, v61, v74
	global_store_b16 v61, v60, s[40:41] scale_offset
	s_wait_xcnt 0x0
	s_or_b32 exec_lo, exec_lo, s23
	v_cmp_lt_u32_e64 s22, v75, v139
	s_and_saveexec_b32 s24, s22
	s_cbranch_execz .LBB1862_1066
.LBB1862_1134:                          ;   in Loop: Header=BB1862_979 Depth=2
	ds_load_u16 v60, v93 offset:5120
	s_wait_dscnt 0x0
	v_cmp_ne_u16_e64 s23, 0x7fff, v60
	s_delay_alu instid0(VALU_DEP_1) | instskip(SKIP_1) | instid1(VALU_DEP_2)
	v_cndmask_b32_e64 v61, 0xffff8000, v60, s23
	v_cmp_lt_i16_e64 s23, -1, v60
	v_and_b32_e32 v61, 0xffff, v61
	s_delay_alu instid0(VALU_DEP_2) | instskip(NEXT) | instid1(VALU_DEP_1)
	v_cndmask_b32_e64 v140, 0xffff8000, -1, s23
	v_dual_lshrrev_b32 v61, s49, v61 :: v_dual_bitop2_b32 v60, v140, v60 bitop3:0x14
	s_delay_alu instid0(VALU_DEP_1) | instskip(NEXT) | instid1(VALU_DEP_1)
	v_and_b32_e32 v61, s52, v61
	v_lshlrev_b32_e32 v61, 2, v61
	ds_load_b32 v61, v61
	s_wait_dscnt 0x0
	v_add_nc_u32_e32 v61, v61, v75
	global_store_b16 v61, v60, s[40:41] scale_offset
	s_wait_xcnt 0x0
	s_or_b32 exec_lo, exec_lo, s24
	v_cmp_lt_u32_e64 s23, v76, v139
	s_and_saveexec_b32 s25, s23
	s_cbranch_execz .LBB1862_1067
.LBB1862_1135:                          ;   in Loop: Header=BB1862_979 Depth=2
	ds_load_u16 v60, v93 offset:5632
	s_wait_dscnt 0x0
	v_cmp_ne_u16_e64 s24, 0x7fff, v60
	s_delay_alu instid0(VALU_DEP_1) | instskip(SKIP_1) | instid1(VALU_DEP_2)
	v_cndmask_b32_e64 v61, 0xffff8000, v60, s24
	v_cmp_lt_i16_e64 s24, -1, v60
	v_and_b32_e32 v61, 0xffff, v61
	s_delay_alu instid0(VALU_DEP_2) | instskip(NEXT) | instid1(VALU_DEP_1)
	v_cndmask_b32_e64 v140, 0xffff8000, -1, s24
	v_dual_lshrrev_b32 v61, s49, v61 :: v_dual_bitop2_b32 v60, v140, v60 bitop3:0x14
	s_delay_alu instid0(VALU_DEP_1) | instskip(NEXT) | instid1(VALU_DEP_1)
	v_and_b32_e32 v61, s52, v61
	v_lshlrev_b32_e32 v61, 2, v61
	ds_load_b32 v61, v61
	s_wait_dscnt 0x0
	v_add_nc_u32_e32 v61, v61, v76
	global_store_b16 v61, v60, s[40:41] scale_offset
	s_wait_xcnt 0x0
	s_or_b32 exec_lo, exec_lo, s25
	v_cmp_lt_u32_e64 s24, v77, v139
	s_and_saveexec_b32 s26, s24
	s_cbranch_execz .LBB1862_1068
.LBB1862_1136:                          ;   in Loop: Header=BB1862_979 Depth=2
	ds_load_u16 v60, v93 offset:6144
	s_wait_dscnt 0x0
	v_cmp_ne_u16_e64 s25, 0x7fff, v60
	s_delay_alu instid0(VALU_DEP_1) | instskip(SKIP_1) | instid1(VALU_DEP_2)
	v_cndmask_b32_e64 v61, 0xffff8000, v60, s25
	v_cmp_lt_i16_e64 s25, -1, v60
	v_and_b32_e32 v61, 0xffff, v61
	s_delay_alu instid0(VALU_DEP_2) | instskip(NEXT) | instid1(VALU_DEP_1)
	v_cndmask_b32_e64 v140, 0xffff8000, -1, s25
	v_dual_lshrrev_b32 v61, s49, v61 :: v_dual_bitop2_b32 v60, v140, v60 bitop3:0x14
	s_delay_alu instid0(VALU_DEP_1) | instskip(NEXT) | instid1(VALU_DEP_1)
	v_and_b32_e32 v61, s52, v61
	v_lshlrev_b32_e32 v61, 2, v61
	ds_load_b32 v61, v61
	s_wait_dscnt 0x0
	v_add_nc_u32_e32 v61, v61, v77
	global_store_b16 v61, v60, s[40:41] scale_offset
	s_wait_xcnt 0x0
	s_or_b32 exec_lo, exec_lo, s26
	v_cmp_lt_u32_e64 s25, v78, v139
	s_and_saveexec_b32 s27, s25
	s_cbranch_execz .LBB1862_1069
.LBB1862_1137:                          ;   in Loop: Header=BB1862_979 Depth=2
	ds_load_u16 v60, v93 offset:6656
	s_wait_dscnt 0x0
	v_cmp_ne_u16_e64 s26, 0x7fff, v60
	s_delay_alu instid0(VALU_DEP_1) | instskip(SKIP_1) | instid1(VALU_DEP_2)
	v_cndmask_b32_e64 v61, 0xffff8000, v60, s26
	v_cmp_lt_i16_e64 s26, -1, v60
	v_and_b32_e32 v61, 0xffff, v61
	s_delay_alu instid0(VALU_DEP_2) | instskip(NEXT) | instid1(VALU_DEP_1)
	v_cndmask_b32_e64 v140, 0xffff8000, -1, s26
	v_dual_lshrrev_b32 v61, s49, v61 :: v_dual_bitop2_b32 v60, v140, v60 bitop3:0x14
	s_delay_alu instid0(VALU_DEP_1) | instskip(NEXT) | instid1(VALU_DEP_1)
	v_and_b32_e32 v61, s52, v61
	v_lshlrev_b32_e32 v61, 2, v61
	ds_load_b32 v61, v61
	s_wait_dscnt 0x0
	v_add_nc_u32_e32 v61, v61, v78
	global_store_b16 v61, v60, s[40:41] scale_offset
	s_wait_xcnt 0x0
	s_or_b32 exec_lo, exec_lo, s27
	v_cmp_lt_u32_e64 s26, v79, v139
	s_and_saveexec_b32 s28, s26
	s_cbranch_execz .LBB1862_1070
.LBB1862_1138:                          ;   in Loop: Header=BB1862_979 Depth=2
	ds_load_u16 v60, v93 offset:7168
	s_wait_dscnt 0x0
	v_cmp_ne_u16_e64 s27, 0x7fff, v60
	s_delay_alu instid0(VALU_DEP_1) | instskip(SKIP_1) | instid1(VALU_DEP_2)
	v_cndmask_b32_e64 v61, 0xffff8000, v60, s27
	v_cmp_lt_i16_e64 s27, -1, v60
	v_and_b32_e32 v61, 0xffff, v61
	s_delay_alu instid0(VALU_DEP_2) | instskip(NEXT) | instid1(VALU_DEP_1)
	v_cndmask_b32_e64 v140, 0xffff8000, -1, s27
	v_dual_lshrrev_b32 v61, s49, v61 :: v_dual_bitop2_b32 v60, v140, v60 bitop3:0x14
	s_delay_alu instid0(VALU_DEP_1) | instskip(NEXT) | instid1(VALU_DEP_1)
	v_and_b32_e32 v61, s52, v61
	v_lshlrev_b32_e32 v61, 2, v61
	ds_load_b32 v61, v61
	s_wait_dscnt 0x0
	v_add_nc_u32_e32 v61, v61, v79
	global_store_b16 v61, v60, s[40:41] scale_offset
	s_wait_xcnt 0x0
	s_or_b32 exec_lo, exec_lo, s28
	v_cmp_lt_u32_e64 s27, v80, v139
	s_and_saveexec_b32 s29, s27
	s_cbranch_execz .LBB1862_1071
.LBB1862_1139:                          ;   in Loop: Header=BB1862_979 Depth=2
	ds_load_u16 v60, v93 offset:7680
	s_wait_dscnt 0x0
	v_cmp_ne_u16_e64 s28, 0x7fff, v60
	s_delay_alu instid0(VALU_DEP_1) | instskip(SKIP_1) | instid1(VALU_DEP_2)
	v_cndmask_b32_e64 v61, 0xffff8000, v60, s28
	v_cmp_lt_i16_e64 s28, -1, v60
	v_and_b32_e32 v61, 0xffff, v61
	s_delay_alu instid0(VALU_DEP_2) | instskip(NEXT) | instid1(VALU_DEP_1)
	v_cndmask_b32_e64 v140, 0xffff8000, -1, s28
	v_dual_lshrrev_b32 v61, s49, v61 :: v_dual_bitop2_b32 v60, v140, v60 bitop3:0x14
	s_delay_alu instid0(VALU_DEP_1) | instskip(NEXT) | instid1(VALU_DEP_1)
	v_and_b32_e32 v61, s52, v61
	v_lshlrev_b32_e32 v61, 2, v61
	ds_load_b32 v61, v61
	s_wait_dscnt 0x0
	v_add_nc_u32_e32 v61, v61, v80
	global_store_b16 v61, v60, s[40:41] scale_offset
	s_wait_xcnt 0x0
	s_or_b32 exec_lo, exec_lo, s29
	v_cmp_lt_u32_e64 s28, v81, v139
	s_and_saveexec_b32 s30, s28
	s_cbranch_execz .LBB1862_1072
.LBB1862_1140:                          ;   in Loop: Header=BB1862_979 Depth=2
	ds_load_u16 v60, v93 offset:8192
	s_wait_dscnt 0x0
	v_cmp_ne_u16_e64 s29, 0x7fff, v60
	s_delay_alu instid0(VALU_DEP_1) | instskip(SKIP_1) | instid1(VALU_DEP_2)
	v_cndmask_b32_e64 v61, 0xffff8000, v60, s29
	v_cmp_lt_i16_e64 s29, -1, v60
	v_and_b32_e32 v61, 0xffff, v61
	s_delay_alu instid0(VALU_DEP_2) | instskip(NEXT) | instid1(VALU_DEP_1)
	v_cndmask_b32_e64 v140, 0xffff8000, -1, s29
	v_dual_lshrrev_b32 v61, s49, v61 :: v_dual_bitop2_b32 v60, v140, v60 bitop3:0x14
	s_delay_alu instid0(VALU_DEP_1) | instskip(NEXT) | instid1(VALU_DEP_1)
	v_and_b32_e32 v61, s52, v61
	v_lshlrev_b32_e32 v61, 2, v61
	ds_load_b32 v61, v61
	s_wait_dscnt 0x0
	v_add_nc_u32_e32 v61, v61, v81
	global_store_b16 v61, v60, s[40:41] scale_offset
	s_wait_xcnt 0x0
	s_or_b32 exec_lo, exec_lo, s30
	v_cmp_lt_u32_e64 s29, v82, v139
	s_and_saveexec_b32 s58, s29
	s_cbranch_execnz .LBB1862_1073
	s_branch .LBB1862_1074
.LBB1862_1141:                          ;   in Loop: Header=BB1862_979 Depth=2
	global_load_b64 v[58:59], v[60:61], off
	s_wait_xcnt 0x0
	s_or_b32 exec_lo, exec_lo, s30
	s_delay_alu instid0(SALU_CYCLE_1)
	s_mov_b32 s42, exec_lo
	v_cmpx_lt_u32_e64 v103, v139
	s_cbranch_execz .LBB1862_1076
.LBB1862_1142:                          ;   in Loop: Header=BB1862_979 Depth=2
	global_load_b64 v[56:57], v[60:61], off offset:256
	s_wait_xcnt 0x0
	s_or_b32 exec_lo, exec_lo, s42
	s_delay_alu instid0(SALU_CYCLE_1)
	s_mov_b32 s42, exec_lo
	v_cmpx_lt_u32_e64 v104, v139
	s_cbranch_execz .LBB1862_1077
.LBB1862_1143:                          ;   in Loop: Header=BB1862_979 Depth=2
	global_load_b64 v[54:55], v[60:61], off offset:512
	s_wait_xcnt 0x0
	s_or_b32 exec_lo, exec_lo, s42
	s_delay_alu instid0(SALU_CYCLE_1)
	s_mov_b32 s42, exec_lo
	v_cmpx_lt_u32_e64 v105, v139
	s_cbranch_execz .LBB1862_1078
.LBB1862_1144:                          ;   in Loop: Header=BB1862_979 Depth=2
	global_load_b64 v[52:53], v[60:61], off offset:768
	s_wait_xcnt 0x0
	s_or_b32 exec_lo, exec_lo, s42
	s_delay_alu instid0(SALU_CYCLE_1)
	s_mov_b32 s42, exec_lo
	v_cmpx_lt_u32_e64 v106, v139
	s_cbranch_execz .LBB1862_1079
.LBB1862_1145:                          ;   in Loop: Header=BB1862_979 Depth=2
	global_load_b64 v[50:51], v[60:61], off offset:1024
	s_wait_xcnt 0x0
	s_or_b32 exec_lo, exec_lo, s42
	s_delay_alu instid0(SALU_CYCLE_1)
	s_mov_b32 s42, exec_lo
	v_cmpx_lt_u32_e64 v107, v139
	s_cbranch_execz .LBB1862_1080
.LBB1862_1146:                          ;   in Loop: Header=BB1862_979 Depth=2
	global_load_b64 v[48:49], v[60:61], off offset:1280
	s_wait_xcnt 0x0
	s_or_b32 exec_lo, exec_lo, s42
	s_delay_alu instid0(SALU_CYCLE_1)
	s_mov_b32 s42, exec_lo
	v_cmpx_lt_u32_e64 v108, v139
	s_cbranch_execz .LBB1862_1081
.LBB1862_1147:                          ;   in Loop: Header=BB1862_979 Depth=2
	global_load_b64 v[46:47], v[60:61], off offset:1536
	s_wait_xcnt 0x0
	s_or_b32 exec_lo, exec_lo, s42
	s_delay_alu instid0(SALU_CYCLE_1)
	s_mov_b32 s42, exec_lo
	v_cmpx_lt_u32_e64 v109, v139
	s_cbranch_execz .LBB1862_1082
.LBB1862_1148:                          ;   in Loop: Header=BB1862_979 Depth=2
	global_load_b64 v[44:45], v[60:61], off offset:1792
	s_wait_xcnt 0x0
	s_or_b32 exec_lo, exec_lo, s42
	s_delay_alu instid0(SALU_CYCLE_1)
	s_mov_b32 s42, exec_lo
	v_cmpx_lt_u32_e64 v110, v139
	s_cbranch_execz .LBB1862_1083
.LBB1862_1149:                          ;   in Loop: Header=BB1862_979 Depth=2
	global_load_b64 v[42:43], v[60:61], off offset:2048
	s_wait_xcnt 0x0
	s_or_b32 exec_lo, exec_lo, s42
	s_delay_alu instid0(SALU_CYCLE_1)
	s_mov_b32 s42, exec_lo
	v_cmpx_lt_u32_e64 v111, v139
	s_cbranch_execz .LBB1862_1084
.LBB1862_1150:                          ;   in Loop: Header=BB1862_979 Depth=2
	global_load_b64 v[40:41], v[60:61], off offset:2304
	s_wait_xcnt 0x0
	s_or_b32 exec_lo, exec_lo, s42
	s_delay_alu instid0(SALU_CYCLE_1)
	s_mov_b32 s42, exec_lo
	v_cmpx_lt_u32_e64 v112, v139
	s_cbranch_execz .LBB1862_1085
.LBB1862_1151:                          ;   in Loop: Header=BB1862_979 Depth=2
	global_load_b64 v[38:39], v[60:61], off offset:2560
	s_wait_xcnt 0x0
	s_or_b32 exec_lo, exec_lo, s42
	s_delay_alu instid0(SALU_CYCLE_1)
	s_mov_b32 s42, exec_lo
	v_cmpx_lt_u32_e64 v113, v139
	s_cbranch_execz .LBB1862_1086
.LBB1862_1152:                          ;   in Loop: Header=BB1862_979 Depth=2
	global_load_b64 v[36:37], v[60:61], off offset:2816
	s_wait_xcnt 0x0
	s_or_b32 exec_lo, exec_lo, s42
	s_delay_alu instid0(SALU_CYCLE_1)
	s_mov_b32 s42, exec_lo
	v_cmpx_lt_u32_e64 v114, v139
	s_cbranch_execz .LBB1862_1087
.LBB1862_1153:                          ;   in Loop: Header=BB1862_979 Depth=2
	global_load_b64 v[34:35], v[60:61], off offset:3072
	s_wait_xcnt 0x0
	s_or_b32 exec_lo, exec_lo, s42
	s_delay_alu instid0(SALU_CYCLE_1)
	s_mov_b32 s42, exec_lo
	v_cmpx_lt_u32_e64 v115, v139
	s_cbranch_execz .LBB1862_1088
.LBB1862_1154:                          ;   in Loop: Header=BB1862_979 Depth=2
	global_load_b64 v[32:33], v[60:61], off offset:3328
	s_wait_xcnt 0x0
	s_or_b32 exec_lo, exec_lo, s42
	s_delay_alu instid0(SALU_CYCLE_1)
	s_mov_b32 s42, exec_lo
	v_cmpx_lt_u32_e64 v116, v139
	s_cbranch_execz .LBB1862_1089
.LBB1862_1155:                          ;   in Loop: Header=BB1862_979 Depth=2
	global_load_b64 v[30:31], v[60:61], off offset:3584
	s_wait_xcnt 0x0
	s_or_b32 exec_lo, exec_lo, s42
	s_delay_alu instid0(SALU_CYCLE_1)
	s_mov_b32 s42, exec_lo
	v_cmpx_lt_u32_e64 v117, v139
	s_cbranch_execz .LBB1862_1090
.LBB1862_1156:                          ;   in Loop: Header=BB1862_979 Depth=2
	global_load_b64 v[28:29], v[60:61], off offset:3840
	s_wait_xcnt 0x0
	s_or_b32 exec_lo, exec_lo, s42
	s_and_saveexec_b32 s42, vcc_lo
	s_cbranch_execz .LBB1862_1091
.LBB1862_1157:                          ;   in Loop: Header=BB1862_979 Depth=2
	ds_load_u16 v60, v93 offset:1024
	s_wait_dscnt 0x0
	v_cmp_ne_u16_e64 s30, 0x7fff, v60
	s_delay_alu instid0(VALU_DEP_1) | instskip(NEXT) | instid1(VALU_DEP_1)
	v_cndmask_b32_e64 v60, 0xffff8000, v60, s30
	v_and_b32_e32 v60, 0xffff, v60
	s_delay_alu instid0(VALU_DEP_1) | instskip(NEXT) | instid1(VALU_DEP_1)
	v_lshrrev_b32_e32 v60, s49, v60
	v_and_b32_e32 v138, s52, v60
	s_or_b32 exec_lo, exec_lo, s42
	s_and_saveexec_b32 s42, s15
	s_cbranch_execz .LBB1862_1092
.LBB1862_1158:                          ;   in Loop: Header=BB1862_979 Depth=2
	ds_load_u16 v60, v93 offset:1536
	s_wait_dscnt 0x0
	v_cmp_ne_u16_e64 s30, 0x7fff, v60
	s_delay_alu instid0(VALU_DEP_1) | instskip(NEXT) | instid1(VALU_DEP_1)
	v_cndmask_b32_e64 v60, 0xffff8000, v60, s30
	v_and_b32_e32 v60, 0xffff, v60
	s_delay_alu instid0(VALU_DEP_1) | instskip(NEXT) | instid1(VALU_DEP_1)
	v_lshrrev_b32_e32 v60, s49, v60
	v_and_b32_e32 v137, s52, v60
	s_or_b32 exec_lo, exec_lo, s42
	s_and_saveexec_b32 s42, s16
	s_cbranch_execz .LBB1862_1093
.LBB1862_1159:                          ;   in Loop: Header=BB1862_979 Depth=2
	ds_load_u16 v60, v93 offset:2048
	s_wait_dscnt 0x0
	v_cmp_ne_u16_e64 s30, 0x7fff, v60
	s_delay_alu instid0(VALU_DEP_1) | instskip(NEXT) | instid1(VALU_DEP_1)
	v_cndmask_b32_e64 v60, 0xffff8000, v60, s30
	v_and_b32_e32 v60, 0xffff, v60
	s_delay_alu instid0(VALU_DEP_1) | instskip(NEXT) | instid1(VALU_DEP_1)
	v_lshrrev_b32_e32 v60, s49, v60
	v_and_b32_e32 v136, s52, v60
	s_or_b32 exec_lo, exec_lo, s42
	s_and_saveexec_b32 s42, s17
	s_cbranch_execz .LBB1862_1094
.LBB1862_1160:                          ;   in Loop: Header=BB1862_979 Depth=2
	ds_load_u16 v60, v93 offset:2560
	s_wait_dscnt 0x0
	v_cmp_ne_u16_e64 s30, 0x7fff, v60
	s_delay_alu instid0(VALU_DEP_1) | instskip(NEXT) | instid1(VALU_DEP_1)
	v_cndmask_b32_e64 v60, 0xffff8000, v60, s30
	v_and_b32_e32 v60, 0xffff, v60
	s_delay_alu instid0(VALU_DEP_1) | instskip(NEXT) | instid1(VALU_DEP_1)
	v_lshrrev_b32_e32 v60, s49, v60
	v_and_b32_e32 v135, s52, v60
	s_or_b32 exec_lo, exec_lo, s42
	s_and_saveexec_b32 s42, s18
	s_cbranch_execz .LBB1862_1095
.LBB1862_1161:                          ;   in Loop: Header=BB1862_979 Depth=2
	ds_load_u16 v60, v93 offset:3072
	s_wait_dscnt 0x0
	v_cmp_ne_u16_e64 s30, 0x7fff, v60
	s_delay_alu instid0(VALU_DEP_1) | instskip(NEXT) | instid1(VALU_DEP_1)
	v_cndmask_b32_e64 v60, 0xffff8000, v60, s30
	v_and_b32_e32 v60, 0xffff, v60
	s_delay_alu instid0(VALU_DEP_1) | instskip(NEXT) | instid1(VALU_DEP_1)
	v_lshrrev_b32_e32 v60, s49, v60
	v_and_b32_e32 v134, s52, v60
	s_or_b32 exec_lo, exec_lo, s42
	s_and_saveexec_b32 s42, s19
	s_cbranch_execz .LBB1862_1096
.LBB1862_1162:                          ;   in Loop: Header=BB1862_979 Depth=2
	ds_load_u16 v60, v93 offset:3584
	s_wait_dscnt 0x0
	v_cmp_ne_u16_e64 s30, 0x7fff, v60
	s_delay_alu instid0(VALU_DEP_1) | instskip(NEXT) | instid1(VALU_DEP_1)
	v_cndmask_b32_e64 v60, 0xffff8000, v60, s30
	v_and_b32_e32 v60, 0xffff, v60
	s_delay_alu instid0(VALU_DEP_1) | instskip(NEXT) | instid1(VALU_DEP_1)
	v_lshrrev_b32_e32 v60, s49, v60
	v_and_b32_e32 v133, s52, v60
	s_or_b32 exec_lo, exec_lo, s42
	s_and_saveexec_b32 s42, s20
	s_cbranch_execz .LBB1862_1097
.LBB1862_1163:                          ;   in Loop: Header=BB1862_979 Depth=2
	ds_load_u16 v60, v93 offset:4096
	s_wait_dscnt 0x0
	v_cmp_ne_u16_e64 s30, 0x7fff, v60
	s_delay_alu instid0(VALU_DEP_1) | instskip(NEXT) | instid1(VALU_DEP_1)
	v_cndmask_b32_e64 v60, 0xffff8000, v60, s30
	v_and_b32_e32 v60, 0xffff, v60
	s_delay_alu instid0(VALU_DEP_1) | instskip(NEXT) | instid1(VALU_DEP_1)
	v_lshrrev_b32_e32 v60, s49, v60
	v_and_b32_e32 v132, s52, v60
	s_or_b32 exec_lo, exec_lo, s42
	s_and_saveexec_b32 s42, s21
	s_cbranch_execz .LBB1862_1098
.LBB1862_1164:                          ;   in Loop: Header=BB1862_979 Depth=2
	ds_load_u16 v60, v93 offset:4608
	s_wait_dscnt 0x0
	v_cmp_ne_u16_e64 s30, 0x7fff, v60
	s_delay_alu instid0(VALU_DEP_1) | instskip(NEXT) | instid1(VALU_DEP_1)
	v_cndmask_b32_e64 v60, 0xffff8000, v60, s30
	v_and_b32_e32 v60, 0xffff, v60
	s_delay_alu instid0(VALU_DEP_1) | instskip(NEXT) | instid1(VALU_DEP_1)
	v_lshrrev_b32_e32 v60, s49, v60
	v_and_b32_e32 v131, s52, v60
	s_or_b32 exec_lo, exec_lo, s42
	s_and_saveexec_b32 s42, s22
	s_cbranch_execz .LBB1862_1099
.LBB1862_1165:                          ;   in Loop: Header=BB1862_979 Depth=2
	ds_load_u16 v60, v93 offset:5120
	s_wait_dscnt 0x0
	v_cmp_ne_u16_e64 s30, 0x7fff, v60
	s_delay_alu instid0(VALU_DEP_1) | instskip(NEXT) | instid1(VALU_DEP_1)
	v_cndmask_b32_e64 v60, 0xffff8000, v60, s30
	v_and_b32_e32 v60, 0xffff, v60
	s_delay_alu instid0(VALU_DEP_1) | instskip(NEXT) | instid1(VALU_DEP_1)
	v_lshrrev_b32_e32 v60, s49, v60
	v_and_b32_e32 v130, s52, v60
	s_or_b32 exec_lo, exec_lo, s42
	s_and_saveexec_b32 s42, s23
	s_cbranch_execz .LBB1862_1100
.LBB1862_1166:                          ;   in Loop: Header=BB1862_979 Depth=2
	ds_load_u16 v60, v93 offset:5632
	s_wait_dscnt 0x0
	v_cmp_ne_u16_e64 s30, 0x7fff, v60
	s_delay_alu instid0(VALU_DEP_1) | instskip(NEXT) | instid1(VALU_DEP_1)
	v_cndmask_b32_e64 v60, 0xffff8000, v60, s30
	v_and_b32_e32 v60, 0xffff, v60
	s_delay_alu instid0(VALU_DEP_1) | instskip(NEXT) | instid1(VALU_DEP_1)
	v_lshrrev_b32_e32 v60, s49, v60
	v_and_b32_e32 v129, s52, v60
	s_or_b32 exec_lo, exec_lo, s42
	s_and_saveexec_b32 s42, s24
	s_cbranch_execz .LBB1862_1101
.LBB1862_1167:                          ;   in Loop: Header=BB1862_979 Depth=2
	ds_load_u16 v60, v93 offset:6144
	s_wait_dscnt 0x0
	v_cmp_ne_u16_e64 s30, 0x7fff, v60
	s_delay_alu instid0(VALU_DEP_1) | instskip(NEXT) | instid1(VALU_DEP_1)
	v_cndmask_b32_e64 v60, 0xffff8000, v60, s30
	v_and_b32_e32 v60, 0xffff, v60
	s_delay_alu instid0(VALU_DEP_1) | instskip(NEXT) | instid1(VALU_DEP_1)
	v_lshrrev_b32_e32 v60, s49, v60
	v_and_b32_e32 v128, s52, v60
	s_or_b32 exec_lo, exec_lo, s42
	s_and_saveexec_b32 s42, s25
	s_cbranch_execz .LBB1862_1102
.LBB1862_1168:                          ;   in Loop: Header=BB1862_979 Depth=2
	ds_load_u16 v60, v93 offset:6656
	s_wait_dscnt 0x0
	v_cmp_ne_u16_e64 s30, 0x7fff, v60
	s_delay_alu instid0(VALU_DEP_1) | instskip(NEXT) | instid1(VALU_DEP_1)
	v_cndmask_b32_e64 v60, 0xffff8000, v60, s30
	v_and_b32_e32 v60, 0xffff, v60
	s_delay_alu instid0(VALU_DEP_1) | instskip(NEXT) | instid1(VALU_DEP_1)
	v_lshrrev_b32_e32 v60, s49, v60
	v_and_b32_e32 v127, s52, v60
	s_or_b32 exec_lo, exec_lo, s42
	s_and_saveexec_b32 s42, s26
	s_cbranch_execz .LBB1862_1103
.LBB1862_1169:                          ;   in Loop: Header=BB1862_979 Depth=2
	ds_load_u16 v60, v93 offset:7168
	s_wait_dscnt 0x0
	v_cmp_ne_u16_e64 s30, 0x7fff, v60
	s_delay_alu instid0(VALU_DEP_1) | instskip(NEXT) | instid1(VALU_DEP_1)
	v_cndmask_b32_e64 v60, 0xffff8000, v60, s30
	v_and_b32_e32 v60, 0xffff, v60
	s_delay_alu instid0(VALU_DEP_1) | instskip(NEXT) | instid1(VALU_DEP_1)
	v_lshrrev_b32_e32 v60, s49, v60
	v_and_b32_e32 v126, s52, v60
	s_or_b32 exec_lo, exec_lo, s42
	s_and_saveexec_b32 s42, s27
	s_cbranch_execz .LBB1862_1104
.LBB1862_1170:                          ;   in Loop: Header=BB1862_979 Depth=2
	ds_load_u16 v60, v93 offset:7680
	s_wait_dscnt 0x0
	v_cmp_ne_u16_e64 s30, 0x7fff, v60
	s_delay_alu instid0(VALU_DEP_1) | instskip(NEXT) | instid1(VALU_DEP_1)
	v_cndmask_b32_e64 v60, 0xffff8000, v60, s30
	v_and_b32_e32 v60, 0xffff, v60
	s_delay_alu instid0(VALU_DEP_1) | instskip(NEXT) | instid1(VALU_DEP_1)
	v_lshrrev_b32_e32 v60, s49, v60
	v_and_b32_e32 v125, s52, v60
	s_or_b32 exec_lo, exec_lo, s42
	s_and_saveexec_b32 s42, s28
	s_cbranch_execz .LBB1862_1105
.LBB1862_1171:                          ;   in Loop: Header=BB1862_979 Depth=2
	ds_load_u16 v60, v93 offset:8192
	s_wait_dscnt 0x0
	v_cmp_ne_u16_e64 s30, 0x7fff, v60
	s_delay_alu instid0(VALU_DEP_1) | instskip(NEXT) | instid1(VALU_DEP_1)
	v_cndmask_b32_e64 v60, 0xffff8000, v60, s30
	v_and_b32_e32 v60, 0xffff, v60
	s_delay_alu instid0(VALU_DEP_1) | instskip(NEXT) | instid1(VALU_DEP_1)
	v_lshrrev_b32_e32 v60, s49, v60
	v_and_b32_e32 v124, s52, v60
	s_or_b32 exec_lo, exec_lo, s42
	s_and_saveexec_b32 s42, s29
	s_cbranch_execnz .LBB1862_1106
	s_branch .LBB1862_1107
.LBB1862_1172:                          ;   in Loop: Header=BB1862_979 Depth=2
	v_lshlrev_b32_e32 v61, 2, v138
	ds_load_b32 v61, v61
	ds_load_b64 v[64:65], v60 offset:1024
	s_wait_dscnt 0x1
	v_add_nc_u32_e32 v61, v61, v2
	s_wait_dscnt 0x0
	global_store_b64 v61, v[64:65], s[46:47] scale_offset
	s_wait_xcnt 0x0
	s_or_b32 exec_lo, exec_lo, s30
	s_and_saveexec_b32 s30, s15
	s_cbranch_execz .LBB1862_1109
.LBB1862_1173:                          ;   in Loop: Header=BB1862_979 Depth=2
	v_lshlrev_b32_e32 v61, 2, v137
	ds_load_b32 v61, v61
	ds_load_b64 v[64:65], v60 offset:3072
	s_wait_dscnt 0x1
	v_add_nc_u32_e32 v61, v61, v68
	s_wait_dscnt 0x0
	global_store_b64 v61, v[64:65], s[46:47] scale_offset
	s_wait_xcnt 0x0
	s_or_b32 exec_lo, exec_lo, s30
	s_and_saveexec_b32 s15, s16
	s_cbranch_execz .LBB1862_1110
.LBB1862_1174:                          ;   in Loop: Header=BB1862_979 Depth=2
	v_lshlrev_b32_e32 v61, 2, v136
	ds_load_b32 v61, v61
	ds_load_b64 v[64:65], v60 offset:5120
	s_wait_dscnt 0x1
	v_add_nc_u32_e32 v61, v61, v69
	s_wait_dscnt 0x0
	global_store_b64 v61, v[64:65], s[46:47] scale_offset
	s_wait_xcnt 0x0
	s_or_b32 exec_lo, exec_lo, s15
	s_and_saveexec_b32 s15, s17
	s_cbranch_execz .LBB1862_1111
.LBB1862_1175:                          ;   in Loop: Header=BB1862_979 Depth=2
	v_lshlrev_b32_e32 v61, 2, v135
	ds_load_b32 v61, v61
	ds_load_b64 v[64:65], v60 offset:7168
	s_wait_dscnt 0x1
	v_add_nc_u32_e32 v61, v61, v70
	s_wait_dscnt 0x0
	global_store_b64 v61, v[64:65], s[46:47] scale_offset
	s_wait_xcnt 0x0
	s_or_b32 exec_lo, exec_lo, s15
	s_and_saveexec_b32 s15, s18
	s_cbranch_execz .LBB1862_1112
.LBB1862_1176:                          ;   in Loop: Header=BB1862_979 Depth=2
	v_lshlrev_b32_e32 v61, 2, v134
	ds_load_b32 v61, v61
	ds_load_b64 v[64:65], v60 offset:9216
	s_wait_dscnt 0x1
	v_add_nc_u32_e32 v61, v61, v71
	s_wait_dscnt 0x0
	global_store_b64 v61, v[64:65], s[46:47] scale_offset
	s_wait_xcnt 0x0
	s_or_b32 exec_lo, exec_lo, s15
	s_and_saveexec_b32 s15, s19
	s_cbranch_execz .LBB1862_1113
.LBB1862_1177:                          ;   in Loop: Header=BB1862_979 Depth=2
	v_lshlrev_b32_e32 v61, 2, v133
	ds_load_b32 v61, v61
	ds_load_b64 v[64:65], v60 offset:11264
	s_wait_dscnt 0x1
	v_add_nc_u32_e32 v61, v61, v72
	s_wait_dscnt 0x0
	global_store_b64 v61, v[64:65], s[46:47] scale_offset
	s_wait_xcnt 0x0
	s_or_b32 exec_lo, exec_lo, s15
	s_and_saveexec_b32 s15, s20
	s_cbranch_execz .LBB1862_1114
.LBB1862_1178:                          ;   in Loop: Header=BB1862_979 Depth=2
	v_lshlrev_b32_e32 v61, 2, v132
	ds_load_b32 v61, v61
	ds_load_b64 v[64:65], v60 offset:13312
	s_wait_dscnt 0x1
	v_add_nc_u32_e32 v61, v61, v73
	s_wait_dscnt 0x0
	global_store_b64 v61, v[64:65], s[46:47] scale_offset
	s_wait_xcnt 0x0
	s_or_b32 exec_lo, exec_lo, s15
	s_and_saveexec_b32 s15, s21
	s_cbranch_execz .LBB1862_1115
.LBB1862_1179:                          ;   in Loop: Header=BB1862_979 Depth=2
	v_lshlrev_b32_e32 v61, 2, v131
	ds_load_b32 v61, v61
	ds_load_b64 v[64:65], v60 offset:15360
	s_wait_dscnt 0x1
	v_add_nc_u32_e32 v61, v61, v74
	s_wait_dscnt 0x0
	global_store_b64 v61, v[64:65], s[46:47] scale_offset
	s_wait_xcnt 0x0
	s_or_b32 exec_lo, exec_lo, s15
	s_and_saveexec_b32 s15, s22
	s_cbranch_execz .LBB1862_1116
.LBB1862_1180:                          ;   in Loop: Header=BB1862_979 Depth=2
	v_lshlrev_b32_e32 v61, 2, v130
	ds_load_b32 v61, v61
	ds_load_b64 v[64:65], v60 offset:17408
	s_wait_dscnt 0x1
	v_add_nc_u32_e32 v61, v61, v75
	s_wait_dscnt 0x0
	global_store_b64 v61, v[64:65], s[46:47] scale_offset
	s_wait_xcnt 0x0
	s_or_b32 exec_lo, exec_lo, s15
	s_and_saveexec_b32 s15, s23
	s_cbranch_execz .LBB1862_1117
.LBB1862_1181:                          ;   in Loop: Header=BB1862_979 Depth=2
	v_lshlrev_b32_e32 v61, 2, v129
	ds_load_b32 v61, v61
	ds_load_b64 v[64:65], v60 offset:19456
	s_wait_dscnt 0x1
	v_add_nc_u32_e32 v61, v61, v76
	s_wait_dscnt 0x0
	global_store_b64 v61, v[64:65], s[46:47] scale_offset
	s_wait_xcnt 0x0
	s_or_b32 exec_lo, exec_lo, s15
	s_and_saveexec_b32 s15, s24
	s_cbranch_execz .LBB1862_1118
.LBB1862_1182:                          ;   in Loop: Header=BB1862_979 Depth=2
	v_lshlrev_b32_e32 v61, 2, v128
	ds_load_b32 v61, v61
	ds_load_b64 v[64:65], v60 offset:21504
	s_wait_dscnt 0x1
	v_add_nc_u32_e32 v61, v61, v77
	s_wait_dscnt 0x0
	global_store_b64 v61, v[64:65], s[46:47] scale_offset
	s_wait_xcnt 0x0
	s_or_b32 exec_lo, exec_lo, s15
	s_and_saveexec_b32 s15, s25
	s_cbranch_execz .LBB1862_1119
.LBB1862_1183:                          ;   in Loop: Header=BB1862_979 Depth=2
	v_lshlrev_b32_e32 v61, 2, v127
	ds_load_b32 v61, v61
	ds_load_b64 v[64:65], v60 offset:23552
	s_wait_dscnt 0x1
	v_add_nc_u32_e32 v61, v61, v78
	s_wait_dscnt 0x0
	global_store_b64 v61, v[64:65], s[46:47] scale_offset
	s_wait_xcnt 0x0
	s_or_b32 exec_lo, exec_lo, s15
	s_and_saveexec_b32 s15, s26
	s_cbranch_execz .LBB1862_1120
.LBB1862_1184:                          ;   in Loop: Header=BB1862_979 Depth=2
	v_lshlrev_b32_e32 v61, 2, v126
	ds_load_b32 v61, v61
	ds_load_b64 v[64:65], v60 offset:25600
	s_wait_dscnt 0x1
	v_add_nc_u32_e32 v61, v61, v79
	s_wait_dscnt 0x0
	global_store_b64 v61, v[64:65], s[46:47] scale_offset
	s_wait_xcnt 0x0
	s_or_b32 exec_lo, exec_lo, s15
	s_and_saveexec_b32 s15, s27
	s_cbranch_execz .LBB1862_1121
.LBB1862_1185:                          ;   in Loop: Header=BB1862_979 Depth=2
	v_lshlrev_b32_e32 v61, 2, v125
	ds_load_b32 v61, v61
	ds_load_b64 v[64:65], v60 offset:27648
	s_wait_dscnt 0x1
	v_add_nc_u32_e32 v61, v61, v80
	s_wait_dscnt 0x0
	global_store_b64 v61, v[64:65], s[46:47] scale_offset
	s_wait_xcnt 0x0
	s_or_b32 exec_lo, exec_lo, s15
	s_and_saveexec_b32 s15, s28
	s_cbranch_execz .LBB1862_1122
.LBB1862_1186:                          ;   in Loop: Header=BB1862_979 Depth=2
	v_lshlrev_b32_e32 v61, 2, v124
	ds_load_b32 v61, v61
	ds_load_b64 v[64:65], v60 offset:29696
	s_wait_dscnt 0x1
	v_add_nc_u32_e32 v61, v61, v81
	s_wait_dscnt 0x0
	global_store_b64 v61, v[64:65], s[46:47] scale_offset
	s_wait_xcnt 0x0
	s_or_b32 exec_lo, exec_lo, s15
	s_and_saveexec_b32 s15, s29
	s_cbranch_execnz .LBB1862_1123
	s_branch .LBB1862_1124
.LBB1862_1187:
	s_endpgm
	.section	.rodata,"a",@progbits
	.p2align	6, 0x0
	.amdhsa_kernel _ZN7rocprim17ROCPRIM_400000_NS6detail17trampoline_kernelINS0_14default_configENS1_36segmented_radix_sort_config_selectorI6__halflEEZNS1_25segmented_radix_sort_implIS3_Lb0EPKS5_PS5_PKlPlN2at6native12_GLOBAL__N_18offset_tEEE10hipError_tPvRmT1_PNSt15iterator_traitsISL_E10value_typeET2_T3_PNSM_ISR_E10value_typeET4_jRbjT5_SX_jjP12ihipStream_tbEUlT_E2_NS1_11comp_targetILNS1_3genE0ELNS1_11target_archE4294967295ELNS1_3gpuE0ELNS1_3repE0EEENS1_30default_config_static_selectorELNS0_4arch9wavefront6targetE0EEEvSL_
		.amdhsa_group_segment_fixed_size 33824
		.amdhsa_private_segment_fixed_size 0
		.amdhsa_kernarg_size 336
		.amdhsa_user_sgpr_count 4
		.amdhsa_user_sgpr_dispatch_ptr 0
		.amdhsa_user_sgpr_queue_ptr 1
		.amdhsa_user_sgpr_kernarg_segment_ptr 1
		.amdhsa_user_sgpr_dispatch_id 0
		.amdhsa_user_sgpr_kernarg_preload_length 0
		.amdhsa_user_sgpr_kernarg_preload_offset 0
		.amdhsa_user_sgpr_private_segment_size 0
		.amdhsa_wavefront_size32 1
		.amdhsa_uses_dynamic_stack 0
		.amdhsa_enable_private_segment 0
		.amdhsa_system_sgpr_workgroup_id_x 1
		.amdhsa_system_sgpr_workgroup_id_y 1
		.amdhsa_system_sgpr_workgroup_id_z 0
		.amdhsa_system_sgpr_workgroup_info 0
		.amdhsa_system_vgpr_workitem_id 2
		.amdhsa_next_free_vgpr 304
		.amdhsa_next_free_sgpr 59
		.amdhsa_named_barrier_count 0
		.amdhsa_reserve_vcc 1
		.amdhsa_float_round_mode_32 0
		.amdhsa_float_round_mode_16_64 0
		.amdhsa_float_denorm_mode_32 3
		.amdhsa_float_denorm_mode_16_64 3
		.amdhsa_fp16_overflow 0
		.amdhsa_memory_ordered 1
		.amdhsa_forward_progress 1
		.amdhsa_inst_pref_size 255
		.amdhsa_round_robin_scheduling 0
		.amdhsa_exception_fp_ieee_invalid_op 0
		.amdhsa_exception_fp_denorm_src 0
		.amdhsa_exception_fp_ieee_div_zero 0
		.amdhsa_exception_fp_ieee_overflow 0
		.amdhsa_exception_fp_ieee_underflow 0
		.amdhsa_exception_fp_ieee_inexact 0
		.amdhsa_exception_int_div_zero 0
	.end_amdhsa_kernel
	.section	.text._ZN7rocprim17ROCPRIM_400000_NS6detail17trampoline_kernelINS0_14default_configENS1_36segmented_radix_sort_config_selectorI6__halflEEZNS1_25segmented_radix_sort_implIS3_Lb0EPKS5_PS5_PKlPlN2at6native12_GLOBAL__N_18offset_tEEE10hipError_tPvRmT1_PNSt15iterator_traitsISL_E10value_typeET2_T3_PNSM_ISR_E10value_typeET4_jRbjT5_SX_jjP12ihipStream_tbEUlT_E2_NS1_11comp_targetILNS1_3genE0ELNS1_11target_archE4294967295ELNS1_3gpuE0ELNS1_3repE0EEENS1_30default_config_static_selectorELNS0_4arch9wavefront6targetE0EEEvSL_,"axG",@progbits,_ZN7rocprim17ROCPRIM_400000_NS6detail17trampoline_kernelINS0_14default_configENS1_36segmented_radix_sort_config_selectorI6__halflEEZNS1_25segmented_radix_sort_implIS3_Lb0EPKS5_PS5_PKlPlN2at6native12_GLOBAL__N_18offset_tEEE10hipError_tPvRmT1_PNSt15iterator_traitsISL_E10value_typeET2_T3_PNSM_ISR_E10value_typeET4_jRbjT5_SX_jjP12ihipStream_tbEUlT_E2_NS1_11comp_targetILNS1_3genE0ELNS1_11target_archE4294967295ELNS1_3gpuE0ELNS1_3repE0EEENS1_30default_config_static_selectorELNS0_4arch9wavefront6targetE0EEEvSL_,comdat
.Lfunc_end1862:
	.size	_ZN7rocprim17ROCPRIM_400000_NS6detail17trampoline_kernelINS0_14default_configENS1_36segmented_radix_sort_config_selectorI6__halflEEZNS1_25segmented_radix_sort_implIS3_Lb0EPKS5_PS5_PKlPlN2at6native12_GLOBAL__N_18offset_tEEE10hipError_tPvRmT1_PNSt15iterator_traitsISL_E10value_typeET2_T3_PNSM_ISR_E10value_typeET4_jRbjT5_SX_jjP12ihipStream_tbEUlT_E2_NS1_11comp_targetILNS1_3genE0ELNS1_11target_archE4294967295ELNS1_3gpuE0ELNS1_3repE0EEENS1_30default_config_static_selectorELNS0_4arch9wavefront6targetE0EEEvSL_, .Lfunc_end1862-_ZN7rocprim17ROCPRIM_400000_NS6detail17trampoline_kernelINS0_14default_configENS1_36segmented_radix_sort_config_selectorI6__halflEEZNS1_25segmented_radix_sort_implIS3_Lb0EPKS5_PS5_PKlPlN2at6native12_GLOBAL__N_18offset_tEEE10hipError_tPvRmT1_PNSt15iterator_traitsISL_E10value_typeET2_T3_PNSM_ISR_E10value_typeET4_jRbjT5_SX_jjP12ihipStream_tbEUlT_E2_NS1_11comp_targetILNS1_3genE0ELNS1_11target_archE4294967295ELNS1_3gpuE0ELNS1_3repE0EEENS1_30default_config_static_selectorELNS0_4arch9wavefront6targetE0EEEvSL_
                                        ; -- End function
	.set _ZN7rocprim17ROCPRIM_400000_NS6detail17trampoline_kernelINS0_14default_configENS1_36segmented_radix_sort_config_selectorI6__halflEEZNS1_25segmented_radix_sort_implIS3_Lb0EPKS5_PS5_PKlPlN2at6native12_GLOBAL__N_18offset_tEEE10hipError_tPvRmT1_PNSt15iterator_traitsISL_E10value_typeET2_T3_PNSM_ISR_E10value_typeET4_jRbjT5_SX_jjP12ihipStream_tbEUlT_E2_NS1_11comp_targetILNS1_3genE0ELNS1_11target_archE4294967295ELNS1_3gpuE0ELNS1_3repE0EEENS1_30default_config_static_selectorELNS0_4arch9wavefront6targetE0EEEvSL_.num_vgpr, max(206, .L_ZN7rocprim17ROCPRIM_400000_NS6detail26segmented_warp_sort_helperINS1_20WarpSortHelperConfigILj8ELj4ELj256EEE6__halflLi256ELb0EvE4sortIPKS5_PS5_PKlPlEEvT_SA_T0_T1_SD_T2_bjjjjRNS6_12storage_typeE.num_vgpr, .L_ZN7rocprim17ROCPRIM_400000_NS6detail40segmented_radix_sort_single_block_helperI6__halflLj256ELj16ELb0EE4sortIPKS3_PS3_PKlPlEEbT_T0_T1_T2_jjjjRNS4_12storage_typeE.num_vgpr)
	.set _ZN7rocprim17ROCPRIM_400000_NS6detail17trampoline_kernelINS0_14default_configENS1_36segmented_radix_sort_config_selectorI6__halflEEZNS1_25segmented_radix_sort_implIS3_Lb0EPKS5_PS5_PKlPlN2at6native12_GLOBAL__N_18offset_tEEE10hipError_tPvRmT1_PNSt15iterator_traitsISL_E10value_typeET2_T3_PNSM_ISR_E10value_typeET4_jRbjT5_SX_jjP12ihipStream_tbEUlT_E2_NS1_11comp_targetILNS1_3genE0ELNS1_11target_archE4294967295ELNS1_3gpuE0ELNS1_3repE0EEENS1_30default_config_static_selectorELNS0_4arch9wavefront6targetE0EEEvSL_.num_agpr, max(0, .L_ZN7rocprim17ROCPRIM_400000_NS6detail26segmented_warp_sort_helperINS1_20WarpSortHelperConfigILj8ELj4ELj256EEE6__halflLi256ELb0EvE4sortIPKS5_PS5_PKlPlEEvT_SA_T0_T1_SD_T2_bjjjjRNS6_12storage_typeE.num_agpr, .L_ZN7rocprim17ROCPRIM_400000_NS6detail40segmented_radix_sort_single_block_helperI6__halflLj256ELj16ELb0EE4sortIPKS3_PS3_PKlPlEEbT_T0_T1_T2_jjjjRNS4_12storage_typeE.num_agpr)
	.set _ZN7rocprim17ROCPRIM_400000_NS6detail17trampoline_kernelINS0_14default_configENS1_36segmented_radix_sort_config_selectorI6__halflEEZNS1_25segmented_radix_sort_implIS3_Lb0EPKS5_PS5_PKlPlN2at6native12_GLOBAL__N_18offset_tEEE10hipError_tPvRmT1_PNSt15iterator_traitsISL_E10value_typeET2_T3_PNSM_ISR_E10value_typeET4_jRbjT5_SX_jjP12ihipStream_tbEUlT_E2_NS1_11comp_targetILNS1_3genE0ELNS1_11target_archE4294967295ELNS1_3gpuE0ELNS1_3repE0EEENS1_30default_config_static_selectorELNS0_4arch9wavefront6targetE0EEEvSL_.numbered_sgpr, max(59, .L_ZN7rocprim17ROCPRIM_400000_NS6detail26segmented_warp_sort_helperINS1_20WarpSortHelperConfigILj8ELj4ELj256EEE6__halflLi256ELb0EvE4sortIPKS5_PS5_PKlPlEEvT_SA_T0_T1_SD_T2_bjjjjRNS6_12storage_typeE.numbered_sgpr, .L_ZN7rocprim17ROCPRIM_400000_NS6detail40segmented_radix_sort_single_block_helperI6__halflLj256ELj16ELb0EE4sortIPKS3_PS3_PKlPlEEbT_T0_T1_T2_jjjjRNS4_12storage_typeE.numbered_sgpr)
	.set _ZN7rocprim17ROCPRIM_400000_NS6detail17trampoline_kernelINS0_14default_configENS1_36segmented_radix_sort_config_selectorI6__halflEEZNS1_25segmented_radix_sort_implIS3_Lb0EPKS5_PS5_PKlPlN2at6native12_GLOBAL__N_18offset_tEEE10hipError_tPvRmT1_PNSt15iterator_traitsISL_E10value_typeET2_T3_PNSM_ISR_E10value_typeET4_jRbjT5_SX_jjP12ihipStream_tbEUlT_E2_NS1_11comp_targetILNS1_3genE0ELNS1_11target_archE4294967295ELNS1_3gpuE0ELNS1_3repE0EEENS1_30default_config_static_selectorELNS0_4arch9wavefront6targetE0EEEvSL_.num_named_barrier, max(0, .L_ZN7rocprim17ROCPRIM_400000_NS6detail26segmented_warp_sort_helperINS1_20WarpSortHelperConfigILj8ELj4ELj256EEE6__halflLi256ELb0EvE4sortIPKS5_PS5_PKlPlEEvT_SA_T0_T1_SD_T2_bjjjjRNS6_12storage_typeE.num_named_barrier, .L_ZN7rocprim17ROCPRIM_400000_NS6detail40segmented_radix_sort_single_block_helperI6__halflLj256ELj16ELb0EE4sortIPKS3_PS3_PKlPlEEbT_T0_T1_T2_jjjjRNS4_12storage_typeE.num_named_barrier)
	.set _ZN7rocprim17ROCPRIM_400000_NS6detail17trampoline_kernelINS0_14default_configENS1_36segmented_radix_sort_config_selectorI6__halflEEZNS1_25segmented_radix_sort_implIS3_Lb0EPKS5_PS5_PKlPlN2at6native12_GLOBAL__N_18offset_tEEE10hipError_tPvRmT1_PNSt15iterator_traitsISL_E10value_typeET2_T3_PNSM_ISR_E10value_typeET4_jRbjT5_SX_jjP12ihipStream_tbEUlT_E2_NS1_11comp_targetILNS1_3genE0ELNS1_11target_archE4294967295ELNS1_3gpuE0ELNS1_3repE0EEENS1_30default_config_static_selectorELNS0_4arch9wavefront6targetE0EEEvSL_.private_seg_size, 0+max(.L_ZN7rocprim17ROCPRIM_400000_NS6detail26segmented_warp_sort_helperINS1_20WarpSortHelperConfigILj8ELj4ELj256EEE6__halflLi256ELb0EvE4sortIPKS5_PS5_PKlPlEEvT_SA_T0_T1_SD_T2_bjjjjRNS6_12storage_typeE.private_seg_size, .L_ZN7rocprim17ROCPRIM_400000_NS6detail40segmented_radix_sort_single_block_helperI6__halflLj256ELj16ELb0EE4sortIPKS3_PS3_PKlPlEEbT_T0_T1_T2_jjjjRNS4_12storage_typeE.private_seg_size)
	.set _ZN7rocprim17ROCPRIM_400000_NS6detail17trampoline_kernelINS0_14default_configENS1_36segmented_radix_sort_config_selectorI6__halflEEZNS1_25segmented_radix_sort_implIS3_Lb0EPKS5_PS5_PKlPlN2at6native12_GLOBAL__N_18offset_tEEE10hipError_tPvRmT1_PNSt15iterator_traitsISL_E10value_typeET2_T3_PNSM_ISR_E10value_typeET4_jRbjT5_SX_jjP12ihipStream_tbEUlT_E2_NS1_11comp_targetILNS1_3genE0ELNS1_11target_archE4294967295ELNS1_3gpuE0ELNS1_3repE0EEENS1_30default_config_static_selectorELNS0_4arch9wavefront6targetE0EEEvSL_.uses_vcc, or(1, .L_ZN7rocprim17ROCPRIM_400000_NS6detail26segmented_warp_sort_helperINS1_20WarpSortHelperConfigILj8ELj4ELj256EEE6__halflLi256ELb0EvE4sortIPKS5_PS5_PKlPlEEvT_SA_T0_T1_SD_T2_bjjjjRNS6_12storage_typeE.uses_vcc, .L_ZN7rocprim17ROCPRIM_400000_NS6detail40segmented_radix_sort_single_block_helperI6__halflLj256ELj16ELb0EE4sortIPKS3_PS3_PKlPlEEbT_T0_T1_T2_jjjjRNS4_12storage_typeE.uses_vcc)
	.set _ZN7rocprim17ROCPRIM_400000_NS6detail17trampoline_kernelINS0_14default_configENS1_36segmented_radix_sort_config_selectorI6__halflEEZNS1_25segmented_radix_sort_implIS3_Lb0EPKS5_PS5_PKlPlN2at6native12_GLOBAL__N_18offset_tEEE10hipError_tPvRmT1_PNSt15iterator_traitsISL_E10value_typeET2_T3_PNSM_ISR_E10value_typeET4_jRbjT5_SX_jjP12ihipStream_tbEUlT_E2_NS1_11comp_targetILNS1_3genE0ELNS1_11target_archE4294967295ELNS1_3gpuE0ELNS1_3repE0EEENS1_30default_config_static_selectorELNS0_4arch9wavefront6targetE0EEEvSL_.uses_flat_scratch, or(0, .L_ZN7rocprim17ROCPRIM_400000_NS6detail26segmented_warp_sort_helperINS1_20WarpSortHelperConfigILj8ELj4ELj256EEE6__halflLi256ELb0EvE4sortIPKS5_PS5_PKlPlEEvT_SA_T0_T1_SD_T2_bjjjjRNS6_12storage_typeE.uses_flat_scratch, .L_ZN7rocprim17ROCPRIM_400000_NS6detail40segmented_radix_sort_single_block_helperI6__halflLj256ELj16ELb0EE4sortIPKS3_PS3_PKlPlEEbT_T0_T1_T2_jjjjRNS4_12storage_typeE.uses_flat_scratch)
	.set _ZN7rocprim17ROCPRIM_400000_NS6detail17trampoline_kernelINS0_14default_configENS1_36segmented_radix_sort_config_selectorI6__halflEEZNS1_25segmented_radix_sort_implIS3_Lb0EPKS5_PS5_PKlPlN2at6native12_GLOBAL__N_18offset_tEEE10hipError_tPvRmT1_PNSt15iterator_traitsISL_E10value_typeET2_T3_PNSM_ISR_E10value_typeET4_jRbjT5_SX_jjP12ihipStream_tbEUlT_E2_NS1_11comp_targetILNS1_3genE0ELNS1_11target_archE4294967295ELNS1_3gpuE0ELNS1_3repE0EEENS1_30default_config_static_selectorELNS0_4arch9wavefront6targetE0EEEvSL_.has_dyn_sized_stack, or(0, .L_ZN7rocprim17ROCPRIM_400000_NS6detail26segmented_warp_sort_helperINS1_20WarpSortHelperConfigILj8ELj4ELj256EEE6__halflLi256ELb0EvE4sortIPKS5_PS5_PKlPlEEvT_SA_T0_T1_SD_T2_bjjjjRNS6_12storage_typeE.has_dyn_sized_stack, .L_ZN7rocprim17ROCPRIM_400000_NS6detail40segmented_radix_sort_single_block_helperI6__halflLj256ELj16ELb0EE4sortIPKS3_PS3_PKlPlEEbT_T0_T1_T2_jjjjRNS4_12storage_typeE.has_dyn_sized_stack)
	.set _ZN7rocprim17ROCPRIM_400000_NS6detail17trampoline_kernelINS0_14default_configENS1_36segmented_radix_sort_config_selectorI6__halflEEZNS1_25segmented_radix_sort_implIS3_Lb0EPKS5_PS5_PKlPlN2at6native12_GLOBAL__N_18offset_tEEE10hipError_tPvRmT1_PNSt15iterator_traitsISL_E10value_typeET2_T3_PNSM_ISR_E10value_typeET4_jRbjT5_SX_jjP12ihipStream_tbEUlT_E2_NS1_11comp_targetILNS1_3genE0ELNS1_11target_archE4294967295ELNS1_3gpuE0ELNS1_3repE0EEENS1_30default_config_static_selectorELNS0_4arch9wavefront6targetE0EEEvSL_.has_recursion, or(0, .L_ZN7rocprim17ROCPRIM_400000_NS6detail26segmented_warp_sort_helperINS1_20WarpSortHelperConfigILj8ELj4ELj256EEE6__halflLi256ELb0EvE4sortIPKS5_PS5_PKlPlEEvT_SA_T0_T1_SD_T2_bjjjjRNS6_12storage_typeE.has_recursion, .L_ZN7rocprim17ROCPRIM_400000_NS6detail40segmented_radix_sort_single_block_helperI6__halflLj256ELj16ELb0EE4sortIPKS3_PS3_PKlPlEEbT_T0_T1_T2_jjjjRNS4_12storage_typeE.has_recursion)
	.set _ZN7rocprim17ROCPRIM_400000_NS6detail17trampoline_kernelINS0_14default_configENS1_36segmented_radix_sort_config_selectorI6__halflEEZNS1_25segmented_radix_sort_implIS3_Lb0EPKS5_PS5_PKlPlN2at6native12_GLOBAL__N_18offset_tEEE10hipError_tPvRmT1_PNSt15iterator_traitsISL_E10value_typeET2_T3_PNSM_ISR_E10value_typeET4_jRbjT5_SX_jjP12ihipStream_tbEUlT_E2_NS1_11comp_targetILNS1_3genE0ELNS1_11target_archE4294967295ELNS1_3gpuE0ELNS1_3repE0EEENS1_30default_config_static_selectorELNS0_4arch9wavefront6targetE0EEEvSL_.has_indirect_call, or(0, .L_ZN7rocprim17ROCPRIM_400000_NS6detail26segmented_warp_sort_helperINS1_20WarpSortHelperConfigILj8ELj4ELj256EEE6__halflLi256ELb0EvE4sortIPKS5_PS5_PKlPlEEvT_SA_T0_T1_SD_T2_bjjjjRNS6_12storage_typeE.has_indirect_call, .L_ZN7rocprim17ROCPRIM_400000_NS6detail40segmented_radix_sort_single_block_helperI6__halflLj256ELj16ELb0EE4sortIPKS3_PS3_PKlPlEEbT_T0_T1_T2_jjjjRNS4_12storage_typeE.has_indirect_call)
	.section	.AMDGPU.csdata,"",@progbits
; Kernel info:
; codeLenInByte = 80980
; TotalNumSgprs: 61
; NumVgprs: 304
; ScratchSize: 0
; MemoryBound: 0
; FloatMode: 240
; IeeeMode: 1
; LDSByteSize: 33824 bytes/workgroup (compile time only)
; SGPRBlocks: 0
; VGPRBlocks: 18
; NumSGPRsForWavesPerEU: 61
; NumVGPRsForWavesPerEU: 304
; NamedBarCnt: 0
; Occupancy: 3
; WaveLimiterHint : 1
; COMPUTE_PGM_RSRC2:SCRATCH_EN: 0
; COMPUTE_PGM_RSRC2:USER_SGPR: 4
; COMPUTE_PGM_RSRC2:TRAP_HANDLER: 0
; COMPUTE_PGM_RSRC2:TGID_X_EN: 1
; COMPUTE_PGM_RSRC2:TGID_Y_EN: 1
; COMPUTE_PGM_RSRC2:TGID_Z_EN: 0
; COMPUTE_PGM_RSRC2:TIDIG_COMP_CNT: 2
	.section	.text._ZN7rocprim17ROCPRIM_400000_NS6detail17trampoline_kernelINS0_14default_configENS1_36segmented_radix_sort_config_selectorI6__halflEEZNS1_25segmented_radix_sort_implIS3_Lb0EPKS5_PS5_PKlPlN2at6native12_GLOBAL__N_18offset_tEEE10hipError_tPvRmT1_PNSt15iterator_traitsISL_E10value_typeET2_T3_PNSM_ISR_E10value_typeET4_jRbjT5_SX_jjP12ihipStream_tbEUlT_E2_NS1_11comp_targetILNS1_3genE5ELNS1_11target_archE942ELNS1_3gpuE9ELNS1_3repE0EEENS1_30default_config_static_selectorELNS0_4arch9wavefront6targetE0EEEvSL_,"axG",@progbits,_ZN7rocprim17ROCPRIM_400000_NS6detail17trampoline_kernelINS0_14default_configENS1_36segmented_radix_sort_config_selectorI6__halflEEZNS1_25segmented_radix_sort_implIS3_Lb0EPKS5_PS5_PKlPlN2at6native12_GLOBAL__N_18offset_tEEE10hipError_tPvRmT1_PNSt15iterator_traitsISL_E10value_typeET2_T3_PNSM_ISR_E10value_typeET4_jRbjT5_SX_jjP12ihipStream_tbEUlT_E2_NS1_11comp_targetILNS1_3genE5ELNS1_11target_archE942ELNS1_3gpuE9ELNS1_3repE0EEENS1_30default_config_static_selectorELNS0_4arch9wavefront6targetE0EEEvSL_,comdat
	.globl	_ZN7rocprim17ROCPRIM_400000_NS6detail17trampoline_kernelINS0_14default_configENS1_36segmented_radix_sort_config_selectorI6__halflEEZNS1_25segmented_radix_sort_implIS3_Lb0EPKS5_PS5_PKlPlN2at6native12_GLOBAL__N_18offset_tEEE10hipError_tPvRmT1_PNSt15iterator_traitsISL_E10value_typeET2_T3_PNSM_ISR_E10value_typeET4_jRbjT5_SX_jjP12ihipStream_tbEUlT_E2_NS1_11comp_targetILNS1_3genE5ELNS1_11target_archE942ELNS1_3gpuE9ELNS1_3repE0EEENS1_30default_config_static_selectorELNS0_4arch9wavefront6targetE0EEEvSL_ ; -- Begin function _ZN7rocprim17ROCPRIM_400000_NS6detail17trampoline_kernelINS0_14default_configENS1_36segmented_radix_sort_config_selectorI6__halflEEZNS1_25segmented_radix_sort_implIS3_Lb0EPKS5_PS5_PKlPlN2at6native12_GLOBAL__N_18offset_tEEE10hipError_tPvRmT1_PNSt15iterator_traitsISL_E10value_typeET2_T3_PNSM_ISR_E10value_typeET4_jRbjT5_SX_jjP12ihipStream_tbEUlT_E2_NS1_11comp_targetILNS1_3genE5ELNS1_11target_archE942ELNS1_3gpuE9ELNS1_3repE0EEENS1_30default_config_static_selectorELNS0_4arch9wavefront6targetE0EEEvSL_
	.p2align	8
	.type	_ZN7rocprim17ROCPRIM_400000_NS6detail17trampoline_kernelINS0_14default_configENS1_36segmented_radix_sort_config_selectorI6__halflEEZNS1_25segmented_radix_sort_implIS3_Lb0EPKS5_PS5_PKlPlN2at6native12_GLOBAL__N_18offset_tEEE10hipError_tPvRmT1_PNSt15iterator_traitsISL_E10value_typeET2_T3_PNSM_ISR_E10value_typeET4_jRbjT5_SX_jjP12ihipStream_tbEUlT_E2_NS1_11comp_targetILNS1_3genE5ELNS1_11target_archE942ELNS1_3gpuE9ELNS1_3repE0EEENS1_30default_config_static_selectorELNS0_4arch9wavefront6targetE0EEEvSL_,@function
_ZN7rocprim17ROCPRIM_400000_NS6detail17trampoline_kernelINS0_14default_configENS1_36segmented_radix_sort_config_selectorI6__halflEEZNS1_25segmented_radix_sort_implIS3_Lb0EPKS5_PS5_PKlPlN2at6native12_GLOBAL__N_18offset_tEEE10hipError_tPvRmT1_PNSt15iterator_traitsISL_E10value_typeET2_T3_PNSM_ISR_E10value_typeET4_jRbjT5_SX_jjP12ihipStream_tbEUlT_E2_NS1_11comp_targetILNS1_3genE5ELNS1_11target_archE942ELNS1_3gpuE9ELNS1_3repE0EEENS1_30default_config_static_selectorELNS0_4arch9wavefront6targetE0EEEvSL_: ; @_ZN7rocprim17ROCPRIM_400000_NS6detail17trampoline_kernelINS0_14default_configENS1_36segmented_radix_sort_config_selectorI6__halflEEZNS1_25segmented_radix_sort_implIS3_Lb0EPKS5_PS5_PKlPlN2at6native12_GLOBAL__N_18offset_tEEE10hipError_tPvRmT1_PNSt15iterator_traitsISL_E10value_typeET2_T3_PNSM_ISR_E10value_typeET4_jRbjT5_SX_jjP12ihipStream_tbEUlT_E2_NS1_11comp_targetILNS1_3genE5ELNS1_11target_archE942ELNS1_3gpuE9ELNS1_3repE0EEENS1_30default_config_static_selectorELNS0_4arch9wavefront6targetE0EEEvSL_
; %bb.0:
	.section	.rodata,"a",@progbits
	.p2align	6, 0x0
	.amdhsa_kernel _ZN7rocprim17ROCPRIM_400000_NS6detail17trampoline_kernelINS0_14default_configENS1_36segmented_radix_sort_config_selectorI6__halflEEZNS1_25segmented_radix_sort_implIS3_Lb0EPKS5_PS5_PKlPlN2at6native12_GLOBAL__N_18offset_tEEE10hipError_tPvRmT1_PNSt15iterator_traitsISL_E10value_typeET2_T3_PNSM_ISR_E10value_typeET4_jRbjT5_SX_jjP12ihipStream_tbEUlT_E2_NS1_11comp_targetILNS1_3genE5ELNS1_11target_archE942ELNS1_3gpuE9ELNS1_3repE0EEENS1_30default_config_static_selectorELNS0_4arch9wavefront6targetE0EEEvSL_
		.amdhsa_group_segment_fixed_size 0
		.amdhsa_private_segment_fixed_size 0
		.amdhsa_kernarg_size 80
		.amdhsa_user_sgpr_count 2
		.amdhsa_user_sgpr_dispatch_ptr 0
		.amdhsa_user_sgpr_queue_ptr 0
		.amdhsa_user_sgpr_kernarg_segment_ptr 1
		.amdhsa_user_sgpr_dispatch_id 0
		.amdhsa_user_sgpr_kernarg_preload_length 0
		.amdhsa_user_sgpr_kernarg_preload_offset 0
		.amdhsa_user_sgpr_private_segment_size 0
		.amdhsa_wavefront_size32 1
		.amdhsa_uses_dynamic_stack 0
		.amdhsa_enable_private_segment 0
		.amdhsa_system_sgpr_workgroup_id_x 1
		.amdhsa_system_sgpr_workgroup_id_y 0
		.amdhsa_system_sgpr_workgroup_id_z 0
		.amdhsa_system_sgpr_workgroup_info 0
		.amdhsa_system_vgpr_workitem_id 0
		.amdhsa_next_free_vgpr 1
		.amdhsa_next_free_sgpr 1
		.amdhsa_named_barrier_count 0
		.amdhsa_reserve_vcc 0
		.amdhsa_float_round_mode_32 0
		.amdhsa_float_round_mode_16_64 0
		.amdhsa_float_denorm_mode_32 3
		.amdhsa_float_denorm_mode_16_64 3
		.amdhsa_fp16_overflow 0
		.amdhsa_memory_ordered 1
		.amdhsa_forward_progress 1
		.amdhsa_inst_pref_size 0
		.amdhsa_round_robin_scheduling 0
		.amdhsa_exception_fp_ieee_invalid_op 0
		.amdhsa_exception_fp_denorm_src 0
		.amdhsa_exception_fp_ieee_div_zero 0
		.amdhsa_exception_fp_ieee_overflow 0
		.amdhsa_exception_fp_ieee_underflow 0
		.amdhsa_exception_fp_ieee_inexact 0
		.amdhsa_exception_int_div_zero 0
	.end_amdhsa_kernel
	.section	.text._ZN7rocprim17ROCPRIM_400000_NS6detail17trampoline_kernelINS0_14default_configENS1_36segmented_radix_sort_config_selectorI6__halflEEZNS1_25segmented_radix_sort_implIS3_Lb0EPKS5_PS5_PKlPlN2at6native12_GLOBAL__N_18offset_tEEE10hipError_tPvRmT1_PNSt15iterator_traitsISL_E10value_typeET2_T3_PNSM_ISR_E10value_typeET4_jRbjT5_SX_jjP12ihipStream_tbEUlT_E2_NS1_11comp_targetILNS1_3genE5ELNS1_11target_archE942ELNS1_3gpuE9ELNS1_3repE0EEENS1_30default_config_static_selectorELNS0_4arch9wavefront6targetE0EEEvSL_,"axG",@progbits,_ZN7rocprim17ROCPRIM_400000_NS6detail17trampoline_kernelINS0_14default_configENS1_36segmented_radix_sort_config_selectorI6__halflEEZNS1_25segmented_radix_sort_implIS3_Lb0EPKS5_PS5_PKlPlN2at6native12_GLOBAL__N_18offset_tEEE10hipError_tPvRmT1_PNSt15iterator_traitsISL_E10value_typeET2_T3_PNSM_ISR_E10value_typeET4_jRbjT5_SX_jjP12ihipStream_tbEUlT_E2_NS1_11comp_targetILNS1_3genE5ELNS1_11target_archE942ELNS1_3gpuE9ELNS1_3repE0EEENS1_30default_config_static_selectorELNS0_4arch9wavefront6targetE0EEEvSL_,comdat
.Lfunc_end1863:
	.size	_ZN7rocprim17ROCPRIM_400000_NS6detail17trampoline_kernelINS0_14default_configENS1_36segmented_radix_sort_config_selectorI6__halflEEZNS1_25segmented_radix_sort_implIS3_Lb0EPKS5_PS5_PKlPlN2at6native12_GLOBAL__N_18offset_tEEE10hipError_tPvRmT1_PNSt15iterator_traitsISL_E10value_typeET2_T3_PNSM_ISR_E10value_typeET4_jRbjT5_SX_jjP12ihipStream_tbEUlT_E2_NS1_11comp_targetILNS1_3genE5ELNS1_11target_archE942ELNS1_3gpuE9ELNS1_3repE0EEENS1_30default_config_static_selectorELNS0_4arch9wavefront6targetE0EEEvSL_, .Lfunc_end1863-_ZN7rocprim17ROCPRIM_400000_NS6detail17trampoline_kernelINS0_14default_configENS1_36segmented_radix_sort_config_selectorI6__halflEEZNS1_25segmented_radix_sort_implIS3_Lb0EPKS5_PS5_PKlPlN2at6native12_GLOBAL__N_18offset_tEEE10hipError_tPvRmT1_PNSt15iterator_traitsISL_E10value_typeET2_T3_PNSM_ISR_E10value_typeET4_jRbjT5_SX_jjP12ihipStream_tbEUlT_E2_NS1_11comp_targetILNS1_3genE5ELNS1_11target_archE942ELNS1_3gpuE9ELNS1_3repE0EEENS1_30default_config_static_selectorELNS0_4arch9wavefront6targetE0EEEvSL_
                                        ; -- End function
	.set _ZN7rocprim17ROCPRIM_400000_NS6detail17trampoline_kernelINS0_14default_configENS1_36segmented_radix_sort_config_selectorI6__halflEEZNS1_25segmented_radix_sort_implIS3_Lb0EPKS5_PS5_PKlPlN2at6native12_GLOBAL__N_18offset_tEEE10hipError_tPvRmT1_PNSt15iterator_traitsISL_E10value_typeET2_T3_PNSM_ISR_E10value_typeET4_jRbjT5_SX_jjP12ihipStream_tbEUlT_E2_NS1_11comp_targetILNS1_3genE5ELNS1_11target_archE942ELNS1_3gpuE9ELNS1_3repE0EEENS1_30default_config_static_selectorELNS0_4arch9wavefront6targetE0EEEvSL_.num_vgpr, 0
	.set _ZN7rocprim17ROCPRIM_400000_NS6detail17trampoline_kernelINS0_14default_configENS1_36segmented_radix_sort_config_selectorI6__halflEEZNS1_25segmented_radix_sort_implIS3_Lb0EPKS5_PS5_PKlPlN2at6native12_GLOBAL__N_18offset_tEEE10hipError_tPvRmT1_PNSt15iterator_traitsISL_E10value_typeET2_T3_PNSM_ISR_E10value_typeET4_jRbjT5_SX_jjP12ihipStream_tbEUlT_E2_NS1_11comp_targetILNS1_3genE5ELNS1_11target_archE942ELNS1_3gpuE9ELNS1_3repE0EEENS1_30default_config_static_selectorELNS0_4arch9wavefront6targetE0EEEvSL_.num_agpr, 0
	.set _ZN7rocprim17ROCPRIM_400000_NS6detail17trampoline_kernelINS0_14default_configENS1_36segmented_radix_sort_config_selectorI6__halflEEZNS1_25segmented_radix_sort_implIS3_Lb0EPKS5_PS5_PKlPlN2at6native12_GLOBAL__N_18offset_tEEE10hipError_tPvRmT1_PNSt15iterator_traitsISL_E10value_typeET2_T3_PNSM_ISR_E10value_typeET4_jRbjT5_SX_jjP12ihipStream_tbEUlT_E2_NS1_11comp_targetILNS1_3genE5ELNS1_11target_archE942ELNS1_3gpuE9ELNS1_3repE0EEENS1_30default_config_static_selectorELNS0_4arch9wavefront6targetE0EEEvSL_.numbered_sgpr, 0
	.set _ZN7rocprim17ROCPRIM_400000_NS6detail17trampoline_kernelINS0_14default_configENS1_36segmented_radix_sort_config_selectorI6__halflEEZNS1_25segmented_radix_sort_implIS3_Lb0EPKS5_PS5_PKlPlN2at6native12_GLOBAL__N_18offset_tEEE10hipError_tPvRmT1_PNSt15iterator_traitsISL_E10value_typeET2_T3_PNSM_ISR_E10value_typeET4_jRbjT5_SX_jjP12ihipStream_tbEUlT_E2_NS1_11comp_targetILNS1_3genE5ELNS1_11target_archE942ELNS1_3gpuE9ELNS1_3repE0EEENS1_30default_config_static_selectorELNS0_4arch9wavefront6targetE0EEEvSL_.num_named_barrier, 0
	.set _ZN7rocprim17ROCPRIM_400000_NS6detail17trampoline_kernelINS0_14default_configENS1_36segmented_radix_sort_config_selectorI6__halflEEZNS1_25segmented_radix_sort_implIS3_Lb0EPKS5_PS5_PKlPlN2at6native12_GLOBAL__N_18offset_tEEE10hipError_tPvRmT1_PNSt15iterator_traitsISL_E10value_typeET2_T3_PNSM_ISR_E10value_typeET4_jRbjT5_SX_jjP12ihipStream_tbEUlT_E2_NS1_11comp_targetILNS1_3genE5ELNS1_11target_archE942ELNS1_3gpuE9ELNS1_3repE0EEENS1_30default_config_static_selectorELNS0_4arch9wavefront6targetE0EEEvSL_.private_seg_size, 0
	.set _ZN7rocprim17ROCPRIM_400000_NS6detail17trampoline_kernelINS0_14default_configENS1_36segmented_radix_sort_config_selectorI6__halflEEZNS1_25segmented_radix_sort_implIS3_Lb0EPKS5_PS5_PKlPlN2at6native12_GLOBAL__N_18offset_tEEE10hipError_tPvRmT1_PNSt15iterator_traitsISL_E10value_typeET2_T3_PNSM_ISR_E10value_typeET4_jRbjT5_SX_jjP12ihipStream_tbEUlT_E2_NS1_11comp_targetILNS1_3genE5ELNS1_11target_archE942ELNS1_3gpuE9ELNS1_3repE0EEENS1_30default_config_static_selectorELNS0_4arch9wavefront6targetE0EEEvSL_.uses_vcc, 0
	.set _ZN7rocprim17ROCPRIM_400000_NS6detail17trampoline_kernelINS0_14default_configENS1_36segmented_radix_sort_config_selectorI6__halflEEZNS1_25segmented_radix_sort_implIS3_Lb0EPKS5_PS5_PKlPlN2at6native12_GLOBAL__N_18offset_tEEE10hipError_tPvRmT1_PNSt15iterator_traitsISL_E10value_typeET2_T3_PNSM_ISR_E10value_typeET4_jRbjT5_SX_jjP12ihipStream_tbEUlT_E2_NS1_11comp_targetILNS1_3genE5ELNS1_11target_archE942ELNS1_3gpuE9ELNS1_3repE0EEENS1_30default_config_static_selectorELNS0_4arch9wavefront6targetE0EEEvSL_.uses_flat_scratch, 0
	.set _ZN7rocprim17ROCPRIM_400000_NS6detail17trampoline_kernelINS0_14default_configENS1_36segmented_radix_sort_config_selectorI6__halflEEZNS1_25segmented_radix_sort_implIS3_Lb0EPKS5_PS5_PKlPlN2at6native12_GLOBAL__N_18offset_tEEE10hipError_tPvRmT1_PNSt15iterator_traitsISL_E10value_typeET2_T3_PNSM_ISR_E10value_typeET4_jRbjT5_SX_jjP12ihipStream_tbEUlT_E2_NS1_11comp_targetILNS1_3genE5ELNS1_11target_archE942ELNS1_3gpuE9ELNS1_3repE0EEENS1_30default_config_static_selectorELNS0_4arch9wavefront6targetE0EEEvSL_.has_dyn_sized_stack, 0
	.set _ZN7rocprim17ROCPRIM_400000_NS6detail17trampoline_kernelINS0_14default_configENS1_36segmented_radix_sort_config_selectorI6__halflEEZNS1_25segmented_radix_sort_implIS3_Lb0EPKS5_PS5_PKlPlN2at6native12_GLOBAL__N_18offset_tEEE10hipError_tPvRmT1_PNSt15iterator_traitsISL_E10value_typeET2_T3_PNSM_ISR_E10value_typeET4_jRbjT5_SX_jjP12ihipStream_tbEUlT_E2_NS1_11comp_targetILNS1_3genE5ELNS1_11target_archE942ELNS1_3gpuE9ELNS1_3repE0EEENS1_30default_config_static_selectorELNS0_4arch9wavefront6targetE0EEEvSL_.has_recursion, 0
	.set _ZN7rocprim17ROCPRIM_400000_NS6detail17trampoline_kernelINS0_14default_configENS1_36segmented_radix_sort_config_selectorI6__halflEEZNS1_25segmented_radix_sort_implIS3_Lb0EPKS5_PS5_PKlPlN2at6native12_GLOBAL__N_18offset_tEEE10hipError_tPvRmT1_PNSt15iterator_traitsISL_E10value_typeET2_T3_PNSM_ISR_E10value_typeET4_jRbjT5_SX_jjP12ihipStream_tbEUlT_E2_NS1_11comp_targetILNS1_3genE5ELNS1_11target_archE942ELNS1_3gpuE9ELNS1_3repE0EEENS1_30default_config_static_selectorELNS0_4arch9wavefront6targetE0EEEvSL_.has_indirect_call, 0
	.section	.AMDGPU.csdata,"",@progbits
; Kernel info:
; codeLenInByte = 0
; TotalNumSgprs: 0
; NumVgprs: 0
; ScratchSize: 0
; MemoryBound: 0
; FloatMode: 240
; IeeeMode: 1
; LDSByteSize: 0 bytes/workgroup (compile time only)
; SGPRBlocks: 0
; VGPRBlocks: 0
; NumSGPRsForWavesPerEU: 1
; NumVGPRsForWavesPerEU: 1
; NamedBarCnt: 0
; Occupancy: 16
; WaveLimiterHint : 0
; COMPUTE_PGM_RSRC2:SCRATCH_EN: 0
; COMPUTE_PGM_RSRC2:USER_SGPR: 2
; COMPUTE_PGM_RSRC2:TRAP_HANDLER: 0
; COMPUTE_PGM_RSRC2:TGID_X_EN: 1
; COMPUTE_PGM_RSRC2:TGID_Y_EN: 0
; COMPUTE_PGM_RSRC2:TGID_Z_EN: 0
; COMPUTE_PGM_RSRC2:TIDIG_COMP_CNT: 0
	.section	.text._ZN7rocprim17ROCPRIM_400000_NS6detail17trampoline_kernelINS0_14default_configENS1_36segmented_radix_sort_config_selectorI6__halflEEZNS1_25segmented_radix_sort_implIS3_Lb0EPKS5_PS5_PKlPlN2at6native12_GLOBAL__N_18offset_tEEE10hipError_tPvRmT1_PNSt15iterator_traitsISL_E10value_typeET2_T3_PNSM_ISR_E10value_typeET4_jRbjT5_SX_jjP12ihipStream_tbEUlT_E2_NS1_11comp_targetILNS1_3genE4ELNS1_11target_archE910ELNS1_3gpuE8ELNS1_3repE0EEENS1_30default_config_static_selectorELNS0_4arch9wavefront6targetE0EEEvSL_,"axG",@progbits,_ZN7rocprim17ROCPRIM_400000_NS6detail17trampoline_kernelINS0_14default_configENS1_36segmented_radix_sort_config_selectorI6__halflEEZNS1_25segmented_radix_sort_implIS3_Lb0EPKS5_PS5_PKlPlN2at6native12_GLOBAL__N_18offset_tEEE10hipError_tPvRmT1_PNSt15iterator_traitsISL_E10value_typeET2_T3_PNSM_ISR_E10value_typeET4_jRbjT5_SX_jjP12ihipStream_tbEUlT_E2_NS1_11comp_targetILNS1_3genE4ELNS1_11target_archE910ELNS1_3gpuE8ELNS1_3repE0EEENS1_30default_config_static_selectorELNS0_4arch9wavefront6targetE0EEEvSL_,comdat
	.globl	_ZN7rocprim17ROCPRIM_400000_NS6detail17trampoline_kernelINS0_14default_configENS1_36segmented_radix_sort_config_selectorI6__halflEEZNS1_25segmented_radix_sort_implIS3_Lb0EPKS5_PS5_PKlPlN2at6native12_GLOBAL__N_18offset_tEEE10hipError_tPvRmT1_PNSt15iterator_traitsISL_E10value_typeET2_T3_PNSM_ISR_E10value_typeET4_jRbjT5_SX_jjP12ihipStream_tbEUlT_E2_NS1_11comp_targetILNS1_3genE4ELNS1_11target_archE910ELNS1_3gpuE8ELNS1_3repE0EEENS1_30default_config_static_selectorELNS0_4arch9wavefront6targetE0EEEvSL_ ; -- Begin function _ZN7rocprim17ROCPRIM_400000_NS6detail17trampoline_kernelINS0_14default_configENS1_36segmented_radix_sort_config_selectorI6__halflEEZNS1_25segmented_radix_sort_implIS3_Lb0EPKS5_PS5_PKlPlN2at6native12_GLOBAL__N_18offset_tEEE10hipError_tPvRmT1_PNSt15iterator_traitsISL_E10value_typeET2_T3_PNSM_ISR_E10value_typeET4_jRbjT5_SX_jjP12ihipStream_tbEUlT_E2_NS1_11comp_targetILNS1_3genE4ELNS1_11target_archE910ELNS1_3gpuE8ELNS1_3repE0EEENS1_30default_config_static_selectorELNS0_4arch9wavefront6targetE0EEEvSL_
	.p2align	8
	.type	_ZN7rocprim17ROCPRIM_400000_NS6detail17trampoline_kernelINS0_14default_configENS1_36segmented_radix_sort_config_selectorI6__halflEEZNS1_25segmented_radix_sort_implIS3_Lb0EPKS5_PS5_PKlPlN2at6native12_GLOBAL__N_18offset_tEEE10hipError_tPvRmT1_PNSt15iterator_traitsISL_E10value_typeET2_T3_PNSM_ISR_E10value_typeET4_jRbjT5_SX_jjP12ihipStream_tbEUlT_E2_NS1_11comp_targetILNS1_3genE4ELNS1_11target_archE910ELNS1_3gpuE8ELNS1_3repE0EEENS1_30default_config_static_selectorELNS0_4arch9wavefront6targetE0EEEvSL_,@function
_ZN7rocprim17ROCPRIM_400000_NS6detail17trampoline_kernelINS0_14default_configENS1_36segmented_radix_sort_config_selectorI6__halflEEZNS1_25segmented_radix_sort_implIS3_Lb0EPKS5_PS5_PKlPlN2at6native12_GLOBAL__N_18offset_tEEE10hipError_tPvRmT1_PNSt15iterator_traitsISL_E10value_typeET2_T3_PNSM_ISR_E10value_typeET4_jRbjT5_SX_jjP12ihipStream_tbEUlT_E2_NS1_11comp_targetILNS1_3genE4ELNS1_11target_archE910ELNS1_3gpuE8ELNS1_3repE0EEENS1_30default_config_static_selectorELNS0_4arch9wavefront6targetE0EEEvSL_: ; @_ZN7rocprim17ROCPRIM_400000_NS6detail17trampoline_kernelINS0_14default_configENS1_36segmented_radix_sort_config_selectorI6__halflEEZNS1_25segmented_radix_sort_implIS3_Lb0EPKS5_PS5_PKlPlN2at6native12_GLOBAL__N_18offset_tEEE10hipError_tPvRmT1_PNSt15iterator_traitsISL_E10value_typeET2_T3_PNSM_ISR_E10value_typeET4_jRbjT5_SX_jjP12ihipStream_tbEUlT_E2_NS1_11comp_targetILNS1_3genE4ELNS1_11target_archE910ELNS1_3gpuE8ELNS1_3repE0EEENS1_30default_config_static_selectorELNS0_4arch9wavefront6targetE0EEEvSL_
; %bb.0:
	.section	.rodata,"a",@progbits
	.p2align	6, 0x0
	.amdhsa_kernel _ZN7rocprim17ROCPRIM_400000_NS6detail17trampoline_kernelINS0_14default_configENS1_36segmented_radix_sort_config_selectorI6__halflEEZNS1_25segmented_radix_sort_implIS3_Lb0EPKS5_PS5_PKlPlN2at6native12_GLOBAL__N_18offset_tEEE10hipError_tPvRmT1_PNSt15iterator_traitsISL_E10value_typeET2_T3_PNSM_ISR_E10value_typeET4_jRbjT5_SX_jjP12ihipStream_tbEUlT_E2_NS1_11comp_targetILNS1_3genE4ELNS1_11target_archE910ELNS1_3gpuE8ELNS1_3repE0EEENS1_30default_config_static_selectorELNS0_4arch9wavefront6targetE0EEEvSL_
		.amdhsa_group_segment_fixed_size 0
		.amdhsa_private_segment_fixed_size 0
		.amdhsa_kernarg_size 80
		.amdhsa_user_sgpr_count 2
		.amdhsa_user_sgpr_dispatch_ptr 0
		.amdhsa_user_sgpr_queue_ptr 0
		.amdhsa_user_sgpr_kernarg_segment_ptr 1
		.amdhsa_user_sgpr_dispatch_id 0
		.amdhsa_user_sgpr_kernarg_preload_length 0
		.amdhsa_user_sgpr_kernarg_preload_offset 0
		.amdhsa_user_sgpr_private_segment_size 0
		.amdhsa_wavefront_size32 1
		.amdhsa_uses_dynamic_stack 0
		.amdhsa_enable_private_segment 0
		.amdhsa_system_sgpr_workgroup_id_x 1
		.amdhsa_system_sgpr_workgroup_id_y 0
		.amdhsa_system_sgpr_workgroup_id_z 0
		.amdhsa_system_sgpr_workgroup_info 0
		.amdhsa_system_vgpr_workitem_id 0
		.amdhsa_next_free_vgpr 1
		.amdhsa_next_free_sgpr 1
		.amdhsa_named_barrier_count 0
		.amdhsa_reserve_vcc 0
		.amdhsa_float_round_mode_32 0
		.amdhsa_float_round_mode_16_64 0
		.amdhsa_float_denorm_mode_32 3
		.amdhsa_float_denorm_mode_16_64 3
		.amdhsa_fp16_overflow 0
		.amdhsa_memory_ordered 1
		.amdhsa_forward_progress 1
		.amdhsa_inst_pref_size 0
		.amdhsa_round_robin_scheduling 0
		.amdhsa_exception_fp_ieee_invalid_op 0
		.amdhsa_exception_fp_denorm_src 0
		.amdhsa_exception_fp_ieee_div_zero 0
		.amdhsa_exception_fp_ieee_overflow 0
		.amdhsa_exception_fp_ieee_underflow 0
		.amdhsa_exception_fp_ieee_inexact 0
		.amdhsa_exception_int_div_zero 0
	.end_amdhsa_kernel
	.section	.text._ZN7rocprim17ROCPRIM_400000_NS6detail17trampoline_kernelINS0_14default_configENS1_36segmented_radix_sort_config_selectorI6__halflEEZNS1_25segmented_radix_sort_implIS3_Lb0EPKS5_PS5_PKlPlN2at6native12_GLOBAL__N_18offset_tEEE10hipError_tPvRmT1_PNSt15iterator_traitsISL_E10value_typeET2_T3_PNSM_ISR_E10value_typeET4_jRbjT5_SX_jjP12ihipStream_tbEUlT_E2_NS1_11comp_targetILNS1_3genE4ELNS1_11target_archE910ELNS1_3gpuE8ELNS1_3repE0EEENS1_30default_config_static_selectorELNS0_4arch9wavefront6targetE0EEEvSL_,"axG",@progbits,_ZN7rocprim17ROCPRIM_400000_NS6detail17trampoline_kernelINS0_14default_configENS1_36segmented_radix_sort_config_selectorI6__halflEEZNS1_25segmented_radix_sort_implIS3_Lb0EPKS5_PS5_PKlPlN2at6native12_GLOBAL__N_18offset_tEEE10hipError_tPvRmT1_PNSt15iterator_traitsISL_E10value_typeET2_T3_PNSM_ISR_E10value_typeET4_jRbjT5_SX_jjP12ihipStream_tbEUlT_E2_NS1_11comp_targetILNS1_3genE4ELNS1_11target_archE910ELNS1_3gpuE8ELNS1_3repE0EEENS1_30default_config_static_selectorELNS0_4arch9wavefront6targetE0EEEvSL_,comdat
.Lfunc_end1864:
	.size	_ZN7rocprim17ROCPRIM_400000_NS6detail17trampoline_kernelINS0_14default_configENS1_36segmented_radix_sort_config_selectorI6__halflEEZNS1_25segmented_radix_sort_implIS3_Lb0EPKS5_PS5_PKlPlN2at6native12_GLOBAL__N_18offset_tEEE10hipError_tPvRmT1_PNSt15iterator_traitsISL_E10value_typeET2_T3_PNSM_ISR_E10value_typeET4_jRbjT5_SX_jjP12ihipStream_tbEUlT_E2_NS1_11comp_targetILNS1_3genE4ELNS1_11target_archE910ELNS1_3gpuE8ELNS1_3repE0EEENS1_30default_config_static_selectorELNS0_4arch9wavefront6targetE0EEEvSL_, .Lfunc_end1864-_ZN7rocprim17ROCPRIM_400000_NS6detail17trampoline_kernelINS0_14default_configENS1_36segmented_radix_sort_config_selectorI6__halflEEZNS1_25segmented_radix_sort_implIS3_Lb0EPKS5_PS5_PKlPlN2at6native12_GLOBAL__N_18offset_tEEE10hipError_tPvRmT1_PNSt15iterator_traitsISL_E10value_typeET2_T3_PNSM_ISR_E10value_typeET4_jRbjT5_SX_jjP12ihipStream_tbEUlT_E2_NS1_11comp_targetILNS1_3genE4ELNS1_11target_archE910ELNS1_3gpuE8ELNS1_3repE0EEENS1_30default_config_static_selectorELNS0_4arch9wavefront6targetE0EEEvSL_
                                        ; -- End function
	.set _ZN7rocprim17ROCPRIM_400000_NS6detail17trampoline_kernelINS0_14default_configENS1_36segmented_radix_sort_config_selectorI6__halflEEZNS1_25segmented_radix_sort_implIS3_Lb0EPKS5_PS5_PKlPlN2at6native12_GLOBAL__N_18offset_tEEE10hipError_tPvRmT1_PNSt15iterator_traitsISL_E10value_typeET2_T3_PNSM_ISR_E10value_typeET4_jRbjT5_SX_jjP12ihipStream_tbEUlT_E2_NS1_11comp_targetILNS1_3genE4ELNS1_11target_archE910ELNS1_3gpuE8ELNS1_3repE0EEENS1_30default_config_static_selectorELNS0_4arch9wavefront6targetE0EEEvSL_.num_vgpr, 0
	.set _ZN7rocprim17ROCPRIM_400000_NS6detail17trampoline_kernelINS0_14default_configENS1_36segmented_radix_sort_config_selectorI6__halflEEZNS1_25segmented_radix_sort_implIS3_Lb0EPKS5_PS5_PKlPlN2at6native12_GLOBAL__N_18offset_tEEE10hipError_tPvRmT1_PNSt15iterator_traitsISL_E10value_typeET2_T3_PNSM_ISR_E10value_typeET4_jRbjT5_SX_jjP12ihipStream_tbEUlT_E2_NS1_11comp_targetILNS1_3genE4ELNS1_11target_archE910ELNS1_3gpuE8ELNS1_3repE0EEENS1_30default_config_static_selectorELNS0_4arch9wavefront6targetE0EEEvSL_.num_agpr, 0
	.set _ZN7rocprim17ROCPRIM_400000_NS6detail17trampoline_kernelINS0_14default_configENS1_36segmented_radix_sort_config_selectorI6__halflEEZNS1_25segmented_radix_sort_implIS3_Lb0EPKS5_PS5_PKlPlN2at6native12_GLOBAL__N_18offset_tEEE10hipError_tPvRmT1_PNSt15iterator_traitsISL_E10value_typeET2_T3_PNSM_ISR_E10value_typeET4_jRbjT5_SX_jjP12ihipStream_tbEUlT_E2_NS1_11comp_targetILNS1_3genE4ELNS1_11target_archE910ELNS1_3gpuE8ELNS1_3repE0EEENS1_30default_config_static_selectorELNS0_4arch9wavefront6targetE0EEEvSL_.numbered_sgpr, 0
	.set _ZN7rocprim17ROCPRIM_400000_NS6detail17trampoline_kernelINS0_14default_configENS1_36segmented_radix_sort_config_selectorI6__halflEEZNS1_25segmented_radix_sort_implIS3_Lb0EPKS5_PS5_PKlPlN2at6native12_GLOBAL__N_18offset_tEEE10hipError_tPvRmT1_PNSt15iterator_traitsISL_E10value_typeET2_T3_PNSM_ISR_E10value_typeET4_jRbjT5_SX_jjP12ihipStream_tbEUlT_E2_NS1_11comp_targetILNS1_3genE4ELNS1_11target_archE910ELNS1_3gpuE8ELNS1_3repE0EEENS1_30default_config_static_selectorELNS0_4arch9wavefront6targetE0EEEvSL_.num_named_barrier, 0
	.set _ZN7rocprim17ROCPRIM_400000_NS6detail17trampoline_kernelINS0_14default_configENS1_36segmented_radix_sort_config_selectorI6__halflEEZNS1_25segmented_radix_sort_implIS3_Lb0EPKS5_PS5_PKlPlN2at6native12_GLOBAL__N_18offset_tEEE10hipError_tPvRmT1_PNSt15iterator_traitsISL_E10value_typeET2_T3_PNSM_ISR_E10value_typeET4_jRbjT5_SX_jjP12ihipStream_tbEUlT_E2_NS1_11comp_targetILNS1_3genE4ELNS1_11target_archE910ELNS1_3gpuE8ELNS1_3repE0EEENS1_30default_config_static_selectorELNS0_4arch9wavefront6targetE0EEEvSL_.private_seg_size, 0
	.set _ZN7rocprim17ROCPRIM_400000_NS6detail17trampoline_kernelINS0_14default_configENS1_36segmented_radix_sort_config_selectorI6__halflEEZNS1_25segmented_radix_sort_implIS3_Lb0EPKS5_PS5_PKlPlN2at6native12_GLOBAL__N_18offset_tEEE10hipError_tPvRmT1_PNSt15iterator_traitsISL_E10value_typeET2_T3_PNSM_ISR_E10value_typeET4_jRbjT5_SX_jjP12ihipStream_tbEUlT_E2_NS1_11comp_targetILNS1_3genE4ELNS1_11target_archE910ELNS1_3gpuE8ELNS1_3repE0EEENS1_30default_config_static_selectorELNS0_4arch9wavefront6targetE0EEEvSL_.uses_vcc, 0
	.set _ZN7rocprim17ROCPRIM_400000_NS6detail17trampoline_kernelINS0_14default_configENS1_36segmented_radix_sort_config_selectorI6__halflEEZNS1_25segmented_radix_sort_implIS3_Lb0EPKS5_PS5_PKlPlN2at6native12_GLOBAL__N_18offset_tEEE10hipError_tPvRmT1_PNSt15iterator_traitsISL_E10value_typeET2_T3_PNSM_ISR_E10value_typeET4_jRbjT5_SX_jjP12ihipStream_tbEUlT_E2_NS1_11comp_targetILNS1_3genE4ELNS1_11target_archE910ELNS1_3gpuE8ELNS1_3repE0EEENS1_30default_config_static_selectorELNS0_4arch9wavefront6targetE0EEEvSL_.uses_flat_scratch, 0
	.set _ZN7rocprim17ROCPRIM_400000_NS6detail17trampoline_kernelINS0_14default_configENS1_36segmented_radix_sort_config_selectorI6__halflEEZNS1_25segmented_radix_sort_implIS3_Lb0EPKS5_PS5_PKlPlN2at6native12_GLOBAL__N_18offset_tEEE10hipError_tPvRmT1_PNSt15iterator_traitsISL_E10value_typeET2_T3_PNSM_ISR_E10value_typeET4_jRbjT5_SX_jjP12ihipStream_tbEUlT_E2_NS1_11comp_targetILNS1_3genE4ELNS1_11target_archE910ELNS1_3gpuE8ELNS1_3repE0EEENS1_30default_config_static_selectorELNS0_4arch9wavefront6targetE0EEEvSL_.has_dyn_sized_stack, 0
	.set _ZN7rocprim17ROCPRIM_400000_NS6detail17trampoline_kernelINS0_14default_configENS1_36segmented_radix_sort_config_selectorI6__halflEEZNS1_25segmented_radix_sort_implIS3_Lb0EPKS5_PS5_PKlPlN2at6native12_GLOBAL__N_18offset_tEEE10hipError_tPvRmT1_PNSt15iterator_traitsISL_E10value_typeET2_T3_PNSM_ISR_E10value_typeET4_jRbjT5_SX_jjP12ihipStream_tbEUlT_E2_NS1_11comp_targetILNS1_3genE4ELNS1_11target_archE910ELNS1_3gpuE8ELNS1_3repE0EEENS1_30default_config_static_selectorELNS0_4arch9wavefront6targetE0EEEvSL_.has_recursion, 0
	.set _ZN7rocprim17ROCPRIM_400000_NS6detail17trampoline_kernelINS0_14default_configENS1_36segmented_radix_sort_config_selectorI6__halflEEZNS1_25segmented_radix_sort_implIS3_Lb0EPKS5_PS5_PKlPlN2at6native12_GLOBAL__N_18offset_tEEE10hipError_tPvRmT1_PNSt15iterator_traitsISL_E10value_typeET2_T3_PNSM_ISR_E10value_typeET4_jRbjT5_SX_jjP12ihipStream_tbEUlT_E2_NS1_11comp_targetILNS1_3genE4ELNS1_11target_archE910ELNS1_3gpuE8ELNS1_3repE0EEENS1_30default_config_static_selectorELNS0_4arch9wavefront6targetE0EEEvSL_.has_indirect_call, 0
	.section	.AMDGPU.csdata,"",@progbits
; Kernel info:
; codeLenInByte = 0
; TotalNumSgprs: 0
; NumVgprs: 0
; ScratchSize: 0
; MemoryBound: 0
; FloatMode: 240
; IeeeMode: 1
; LDSByteSize: 0 bytes/workgroup (compile time only)
; SGPRBlocks: 0
; VGPRBlocks: 0
; NumSGPRsForWavesPerEU: 1
; NumVGPRsForWavesPerEU: 1
; NamedBarCnt: 0
; Occupancy: 16
; WaveLimiterHint : 0
; COMPUTE_PGM_RSRC2:SCRATCH_EN: 0
; COMPUTE_PGM_RSRC2:USER_SGPR: 2
; COMPUTE_PGM_RSRC2:TRAP_HANDLER: 0
; COMPUTE_PGM_RSRC2:TGID_X_EN: 1
; COMPUTE_PGM_RSRC2:TGID_Y_EN: 0
; COMPUTE_PGM_RSRC2:TGID_Z_EN: 0
; COMPUTE_PGM_RSRC2:TIDIG_COMP_CNT: 0
	.section	.text._ZN7rocprim17ROCPRIM_400000_NS6detail17trampoline_kernelINS0_14default_configENS1_36segmented_radix_sort_config_selectorI6__halflEEZNS1_25segmented_radix_sort_implIS3_Lb0EPKS5_PS5_PKlPlN2at6native12_GLOBAL__N_18offset_tEEE10hipError_tPvRmT1_PNSt15iterator_traitsISL_E10value_typeET2_T3_PNSM_ISR_E10value_typeET4_jRbjT5_SX_jjP12ihipStream_tbEUlT_E2_NS1_11comp_targetILNS1_3genE3ELNS1_11target_archE908ELNS1_3gpuE7ELNS1_3repE0EEENS1_30default_config_static_selectorELNS0_4arch9wavefront6targetE0EEEvSL_,"axG",@progbits,_ZN7rocprim17ROCPRIM_400000_NS6detail17trampoline_kernelINS0_14default_configENS1_36segmented_radix_sort_config_selectorI6__halflEEZNS1_25segmented_radix_sort_implIS3_Lb0EPKS5_PS5_PKlPlN2at6native12_GLOBAL__N_18offset_tEEE10hipError_tPvRmT1_PNSt15iterator_traitsISL_E10value_typeET2_T3_PNSM_ISR_E10value_typeET4_jRbjT5_SX_jjP12ihipStream_tbEUlT_E2_NS1_11comp_targetILNS1_3genE3ELNS1_11target_archE908ELNS1_3gpuE7ELNS1_3repE0EEENS1_30default_config_static_selectorELNS0_4arch9wavefront6targetE0EEEvSL_,comdat
	.globl	_ZN7rocprim17ROCPRIM_400000_NS6detail17trampoline_kernelINS0_14default_configENS1_36segmented_radix_sort_config_selectorI6__halflEEZNS1_25segmented_radix_sort_implIS3_Lb0EPKS5_PS5_PKlPlN2at6native12_GLOBAL__N_18offset_tEEE10hipError_tPvRmT1_PNSt15iterator_traitsISL_E10value_typeET2_T3_PNSM_ISR_E10value_typeET4_jRbjT5_SX_jjP12ihipStream_tbEUlT_E2_NS1_11comp_targetILNS1_3genE3ELNS1_11target_archE908ELNS1_3gpuE7ELNS1_3repE0EEENS1_30default_config_static_selectorELNS0_4arch9wavefront6targetE0EEEvSL_ ; -- Begin function _ZN7rocprim17ROCPRIM_400000_NS6detail17trampoline_kernelINS0_14default_configENS1_36segmented_radix_sort_config_selectorI6__halflEEZNS1_25segmented_radix_sort_implIS3_Lb0EPKS5_PS5_PKlPlN2at6native12_GLOBAL__N_18offset_tEEE10hipError_tPvRmT1_PNSt15iterator_traitsISL_E10value_typeET2_T3_PNSM_ISR_E10value_typeET4_jRbjT5_SX_jjP12ihipStream_tbEUlT_E2_NS1_11comp_targetILNS1_3genE3ELNS1_11target_archE908ELNS1_3gpuE7ELNS1_3repE0EEENS1_30default_config_static_selectorELNS0_4arch9wavefront6targetE0EEEvSL_
	.p2align	8
	.type	_ZN7rocprim17ROCPRIM_400000_NS6detail17trampoline_kernelINS0_14default_configENS1_36segmented_radix_sort_config_selectorI6__halflEEZNS1_25segmented_radix_sort_implIS3_Lb0EPKS5_PS5_PKlPlN2at6native12_GLOBAL__N_18offset_tEEE10hipError_tPvRmT1_PNSt15iterator_traitsISL_E10value_typeET2_T3_PNSM_ISR_E10value_typeET4_jRbjT5_SX_jjP12ihipStream_tbEUlT_E2_NS1_11comp_targetILNS1_3genE3ELNS1_11target_archE908ELNS1_3gpuE7ELNS1_3repE0EEENS1_30default_config_static_selectorELNS0_4arch9wavefront6targetE0EEEvSL_,@function
_ZN7rocprim17ROCPRIM_400000_NS6detail17trampoline_kernelINS0_14default_configENS1_36segmented_radix_sort_config_selectorI6__halflEEZNS1_25segmented_radix_sort_implIS3_Lb0EPKS5_PS5_PKlPlN2at6native12_GLOBAL__N_18offset_tEEE10hipError_tPvRmT1_PNSt15iterator_traitsISL_E10value_typeET2_T3_PNSM_ISR_E10value_typeET4_jRbjT5_SX_jjP12ihipStream_tbEUlT_E2_NS1_11comp_targetILNS1_3genE3ELNS1_11target_archE908ELNS1_3gpuE7ELNS1_3repE0EEENS1_30default_config_static_selectorELNS0_4arch9wavefront6targetE0EEEvSL_: ; @_ZN7rocprim17ROCPRIM_400000_NS6detail17trampoline_kernelINS0_14default_configENS1_36segmented_radix_sort_config_selectorI6__halflEEZNS1_25segmented_radix_sort_implIS3_Lb0EPKS5_PS5_PKlPlN2at6native12_GLOBAL__N_18offset_tEEE10hipError_tPvRmT1_PNSt15iterator_traitsISL_E10value_typeET2_T3_PNSM_ISR_E10value_typeET4_jRbjT5_SX_jjP12ihipStream_tbEUlT_E2_NS1_11comp_targetILNS1_3genE3ELNS1_11target_archE908ELNS1_3gpuE7ELNS1_3repE0EEENS1_30default_config_static_selectorELNS0_4arch9wavefront6targetE0EEEvSL_
; %bb.0:
	.section	.rodata,"a",@progbits
	.p2align	6, 0x0
	.amdhsa_kernel _ZN7rocprim17ROCPRIM_400000_NS6detail17trampoline_kernelINS0_14default_configENS1_36segmented_radix_sort_config_selectorI6__halflEEZNS1_25segmented_radix_sort_implIS3_Lb0EPKS5_PS5_PKlPlN2at6native12_GLOBAL__N_18offset_tEEE10hipError_tPvRmT1_PNSt15iterator_traitsISL_E10value_typeET2_T3_PNSM_ISR_E10value_typeET4_jRbjT5_SX_jjP12ihipStream_tbEUlT_E2_NS1_11comp_targetILNS1_3genE3ELNS1_11target_archE908ELNS1_3gpuE7ELNS1_3repE0EEENS1_30default_config_static_selectorELNS0_4arch9wavefront6targetE0EEEvSL_
		.amdhsa_group_segment_fixed_size 0
		.amdhsa_private_segment_fixed_size 0
		.amdhsa_kernarg_size 80
		.amdhsa_user_sgpr_count 2
		.amdhsa_user_sgpr_dispatch_ptr 0
		.amdhsa_user_sgpr_queue_ptr 0
		.amdhsa_user_sgpr_kernarg_segment_ptr 1
		.amdhsa_user_sgpr_dispatch_id 0
		.amdhsa_user_sgpr_kernarg_preload_length 0
		.amdhsa_user_sgpr_kernarg_preload_offset 0
		.amdhsa_user_sgpr_private_segment_size 0
		.amdhsa_wavefront_size32 1
		.amdhsa_uses_dynamic_stack 0
		.amdhsa_enable_private_segment 0
		.amdhsa_system_sgpr_workgroup_id_x 1
		.amdhsa_system_sgpr_workgroup_id_y 0
		.amdhsa_system_sgpr_workgroup_id_z 0
		.amdhsa_system_sgpr_workgroup_info 0
		.amdhsa_system_vgpr_workitem_id 0
		.amdhsa_next_free_vgpr 1
		.amdhsa_next_free_sgpr 1
		.amdhsa_named_barrier_count 0
		.amdhsa_reserve_vcc 0
		.amdhsa_float_round_mode_32 0
		.amdhsa_float_round_mode_16_64 0
		.amdhsa_float_denorm_mode_32 3
		.amdhsa_float_denorm_mode_16_64 3
		.amdhsa_fp16_overflow 0
		.amdhsa_memory_ordered 1
		.amdhsa_forward_progress 1
		.amdhsa_inst_pref_size 0
		.amdhsa_round_robin_scheduling 0
		.amdhsa_exception_fp_ieee_invalid_op 0
		.amdhsa_exception_fp_denorm_src 0
		.amdhsa_exception_fp_ieee_div_zero 0
		.amdhsa_exception_fp_ieee_overflow 0
		.amdhsa_exception_fp_ieee_underflow 0
		.amdhsa_exception_fp_ieee_inexact 0
		.amdhsa_exception_int_div_zero 0
	.end_amdhsa_kernel
	.section	.text._ZN7rocprim17ROCPRIM_400000_NS6detail17trampoline_kernelINS0_14default_configENS1_36segmented_radix_sort_config_selectorI6__halflEEZNS1_25segmented_radix_sort_implIS3_Lb0EPKS5_PS5_PKlPlN2at6native12_GLOBAL__N_18offset_tEEE10hipError_tPvRmT1_PNSt15iterator_traitsISL_E10value_typeET2_T3_PNSM_ISR_E10value_typeET4_jRbjT5_SX_jjP12ihipStream_tbEUlT_E2_NS1_11comp_targetILNS1_3genE3ELNS1_11target_archE908ELNS1_3gpuE7ELNS1_3repE0EEENS1_30default_config_static_selectorELNS0_4arch9wavefront6targetE0EEEvSL_,"axG",@progbits,_ZN7rocprim17ROCPRIM_400000_NS6detail17trampoline_kernelINS0_14default_configENS1_36segmented_radix_sort_config_selectorI6__halflEEZNS1_25segmented_radix_sort_implIS3_Lb0EPKS5_PS5_PKlPlN2at6native12_GLOBAL__N_18offset_tEEE10hipError_tPvRmT1_PNSt15iterator_traitsISL_E10value_typeET2_T3_PNSM_ISR_E10value_typeET4_jRbjT5_SX_jjP12ihipStream_tbEUlT_E2_NS1_11comp_targetILNS1_3genE3ELNS1_11target_archE908ELNS1_3gpuE7ELNS1_3repE0EEENS1_30default_config_static_selectorELNS0_4arch9wavefront6targetE0EEEvSL_,comdat
.Lfunc_end1865:
	.size	_ZN7rocprim17ROCPRIM_400000_NS6detail17trampoline_kernelINS0_14default_configENS1_36segmented_radix_sort_config_selectorI6__halflEEZNS1_25segmented_radix_sort_implIS3_Lb0EPKS5_PS5_PKlPlN2at6native12_GLOBAL__N_18offset_tEEE10hipError_tPvRmT1_PNSt15iterator_traitsISL_E10value_typeET2_T3_PNSM_ISR_E10value_typeET4_jRbjT5_SX_jjP12ihipStream_tbEUlT_E2_NS1_11comp_targetILNS1_3genE3ELNS1_11target_archE908ELNS1_3gpuE7ELNS1_3repE0EEENS1_30default_config_static_selectorELNS0_4arch9wavefront6targetE0EEEvSL_, .Lfunc_end1865-_ZN7rocprim17ROCPRIM_400000_NS6detail17trampoline_kernelINS0_14default_configENS1_36segmented_radix_sort_config_selectorI6__halflEEZNS1_25segmented_radix_sort_implIS3_Lb0EPKS5_PS5_PKlPlN2at6native12_GLOBAL__N_18offset_tEEE10hipError_tPvRmT1_PNSt15iterator_traitsISL_E10value_typeET2_T3_PNSM_ISR_E10value_typeET4_jRbjT5_SX_jjP12ihipStream_tbEUlT_E2_NS1_11comp_targetILNS1_3genE3ELNS1_11target_archE908ELNS1_3gpuE7ELNS1_3repE0EEENS1_30default_config_static_selectorELNS0_4arch9wavefront6targetE0EEEvSL_
                                        ; -- End function
	.set _ZN7rocprim17ROCPRIM_400000_NS6detail17trampoline_kernelINS0_14default_configENS1_36segmented_radix_sort_config_selectorI6__halflEEZNS1_25segmented_radix_sort_implIS3_Lb0EPKS5_PS5_PKlPlN2at6native12_GLOBAL__N_18offset_tEEE10hipError_tPvRmT1_PNSt15iterator_traitsISL_E10value_typeET2_T3_PNSM_ISR_E10value_typeET4_jRbjT5_SX_jjP12ihipStream_tbEUlT_E2_NS1_11comp_targetILNS1_3genE3ELNS1_11target_archE908ELNS1_3gpuE7ELNS1_3repE0EEENS1_30default_config_static_selectorELNS0_4arch9wavefront6targetE0EEEvSL_.num_vgpr, 0
	.set _ZN7rocprim17ROCPRIM_400000_NS6detail17trampoline_kernelINS0_14default_configENS1_36segmented_radix_sort_config_selectorI6__halflEEZNS1_25segmented_radix_sort_implIS3_Lb0EPKS5_PS5_PKlPlN2at6native12_GLOBAL__N_18offset_tEEE10hipError_tPvRmT1_PNSt15iterator_traitsISL_E10value_typeET2_T3_PNSM_ISR_E10value_typeET4_jRbjT5_SX_jjP12ihipStream_tbEUlT_E2_NS1_11comp_targetILNS1_3genE3ELNS1_11target_archE908ELNS1_3gpuE7ELNS1_3repE0EEENS1_30default_config_static_selectorELNS0_4arch9wavefront6targetE0EEEvSL_.num_agpr, 0
	.set _ZN7rocprim17ROCPRIM_400000_NS6detail17trampoline_kernelINS0_14default_configENS1_36segmented_radix_sort_config_selectorI6__halflEEZNS1_25segmented_radix_sort_implIS3_Lb0EPKS5_PS5_PKlPlN2at6native12_GLOBAL__N_18offset_tEEE10hipError_tPvRmT1_PNSt15iterator_traitsISL_E10value_typeET2_T3_PNSM_ISR_E10value_typeET4_jRbjT5_SX_jjP12ihipStream_tbEUlT_E2_NS1_11comp_targetILNS1_3genE3ELNS1_11target_archE908ELNS1_3gpuE7ELNS1_3repE0EEENS1_30default_config_static_selectorELNS0_4arch9wavefront6targetE0EEEvSL_.numbered_sgpr, 0
	.set _ZN7rocprim17ROCPRIM_400000_NS6detail17trampoline_kernelINS0_14default_configENS1_36segmented_radix_sort_config_selectorI6__halflEEZNS1_25segmented_radix_sort_implIS3_Lb0EPKS5_PS5_PKlPlN2at6native12_GLOBAL__N_18offset_tEEE10hipError_tPvRmT1_PNSt15iterator_traitsISL_E10value_typeET2_T3_PNSM_ISR_E10value_typeET4_jRbjT5_SX_jjP12ihipStream_tbEUlT_E2_NS1_11comp_targetILNS1_3genE3ELNS1_11target_archE908ELNS1_3gpuE7ELNS1_3repE0EEENS1_30default_config_static_selectorELNS0_4arch9wavefront6targetE0EEEvSL_.num_named_barrier, 0
	.set _ZN7rocprim17ROCPRIM_400000_NS6detail17trampoline_kernelINS0_14default_configENS1_36segmented_radix_sort_config_selectorI6__halflEEZNS1_25segmented_radix_sort_implIS3_Lb0EPKS5_PS5_PKlPlN2at6native12_GLOBAL__N_18offset_tEEE10hipError_tPvRmT1_PNSt15iterator_traitsISL_E10value_typeET2_T3_PNSM_ISR_E10value_typeET4_jRbjT5_SX_jjP12ihipStream_tbEUlT_E2_NS1_11comp_targetILNS1_3genE3ELNS1_11target_archE908ELNS1_3gpuE7ELNS1_3repE0EEENS1_30default_config_static_selectorELNS0_4arch9wavefront6targetE0EEEvSL_.private_seg_size, 0
	.set _ZN7rocprim17ROCPRIM_400000_NS6detail17trampoline_kernelINS0_14default_configENS1_36segmented_radix_sort_config_selectorI6__halflEEZNS1_25segmented_radix_sort_implIS3_Lb0EPKS5_PS5_PKlPlN2at6native12_GLOBAL__N_18offset_tEEE10hipError_tPvRmT1_PNSt15iterator_traitsISL_E10value_typeET2_T3_PNSM_ISR_E10value_typeET4_jRbjT5_SX_jjP12ihipStream_tbEUlT_E2_NS1_11comp_targetILNS1_3genE3ELNS1_11target_archE908ELNS1_3gpuE7ELNS1_3repE0EEENS1_30default_config_static_selectorELNS0_4arch9wavefront6targetE0EEEvSL_.uses_vcc, 0
	.set _ZN7rocprim17ROCPRIM_400000_NS6detail17trampoline_kernelINS0_14default_configENS1_36segmented_radix_sort_config_selectorI6__halflEEZNS1_25segmented_radix_sort_implIS3_Lb0EPKS5_PS5_PKlPlN2at6native12_GLOBAL__N_18offset_tEEE10hipError_tPvRmT1_PNSt15iterator_traitsISL_E10value_typeET2_T3_PNSM_ISR_E10value_typeET4_jRbjT5_SX_jjP12ihipStream_tbEUlT_E2_NS1_11comp_targetILNS1_3genE3ELNS1_11target_archE908ELNS1_3gpuE7ELNS1_3repE0EEENS1_30default_config_static_selectorELNS0_4arch9wavefront6targetE0EEEvSL_.uses_flat_scratch, 0
	.set _ZN7rocprim17ROCPRIM_400000_NS6detail17trampoline_kernelINS0_14default_configENS1_36segmented_radix_sort_config_selectorI6__halflEEZNS1_25segmented_radix_sort_implIS3_Lb0EPKS5_PS5_PKlPlN2at6native12_GLOBAL__N_18offset_tEEE10hipError_tPvRmT1_PNSt15iterator_traitsISL_E10value_typeET2_T3_PNSM_ISR_E10value_typeET4_jRbjT5_SX_jjP12ihipStream_tbEUlT_E2_NS1_11comp_targetILNS1_3genE3ELNS1_11target_archE908ELNS1_3gpuE7ELNS1_3repE0EEENS1_30default_config_static_selectorELNS0_4arch9wavefront6targetE0EEEvSL_.has_dyn_sized_stack, 0
	.set _ZN7rocprim17ROCPRIM_400000_NS6detail17trampoline_kernelINS0_14default_configENS1_36segmented_radix_sort_config_selectorI6__halflEEZNS1_25segmented_radix_sort_implIS3_Lb0EPKS5_PS5_PKlPlN2at6native12_GLOBAL__N_18offset_tEEE10hipError_tPvRmT1_PNSt15iterator_traitsISL_E10value_typeET2_T3_PNSM_ISR_E10value_typeET4_jRbjT5_SX_jjP12ihipStream_tbEUlT_E2_NS1_11comp_targetILNS1_3genE3ELNS1_11target_archE908ELNS1_3gpuE7ELNS1_3repE0EEENS1_30default_config_static_selectorELNS0_4arch9wavefront6targetE0EEEvSL_.has_recursion, 0
	.set _ZN7rocprim17ROCPRIM_400000_NS6detail17trampoline_kernelINS0_14default_configENS1_36segmented_radix_sort_config_selectorI6__halflEEZNS1_25segmented_radix_sort_implIS3_Lb0EPKS5_PS5_PKlPlN2at6native12_GLOBAL__N_18offset_tEEE10hipError_tPvRmT1_PNSt15iterator_traitsISL_E10value_typeET2_T3_PNSM_ISR_E10value_typeET4_jRbjT5_SX_jjP12ihipStream_tbEUlT_E2_NS1_11comp_targetILNS1_3genE3ELNS1_11target_archE908ELNS1_3gpuE7ELNS1_3repE0EEENS1_30default_config_static_selectorELNS0_4arch9wavefront6targetE0EEEvSL_.has_indirect_call, 0
	.section	.AMDGPU.csdata,"",@progbits
; Kernel info:
; codeLenInByte = 0
; TotalNumSgprs: 0
; NumVgprs: 0
; ScratchSize: 0
; MemoryBound: 0
; FloatMode: 240
; IeeeMode: 1
; LDSByteSize: 0 bytes/workgroup (compile time only)
; SGPRBlocks: 0
; VGPRBlocks: 0
; NumSGPRsForWavesPerEU: 1
; NumVGPRsForWavesPerEU: 1
; NamedBarCnt: 0
; Occupancy: 16
; WaveLimiterHint : 0
; COMPUTE_PGM_RSRC2:SCRATCH_EN: 0
; COMPUTE_PGM_RSRC2:USER_SGPR: 2
; COMPUTE_PGM_RSRC2:TRAP_HANDLER: 0
; COMPUTE_PGM_RSRC2:TGID_X_EN: 1
; COMPUTE_PGM_RSRC2:TGID_Y_EN: 0
; COMPUTE_PGM_RSRC2:TGID_Z_EN: 0
; COMPUTE_PGM_RSRC2:TIDIG_COMP_CNT: 0
	.section	.text._ZN7rocprim17ROCPRIM_400000_NS6detail17trampoline_kernelINS0_14default_configENS1_36segmented_radix_sort_config_selectorI6__halflEEZNS1_25segmented_radix_sort_implIS3_Lb0EPKS5_PS5_PKlPlN2at6native12_GLOBAL__N_18offset_tEEE10hipError_tPvRmT1_PNSt15iterator_traitsISL_E10value_typeET2_T3_PNSM_ISR_E10value_typeET4_jRbjT5_SX_jjP12ihipStream_tbEUlT_E2_NS1_11comp_targetILNS1_3genE2ELNS1_11target_archE906ELNS1_3gpuE6ELNS1_3repE0EEENS1_30default_config_static_selectorELNS0_4arch9wavefront6targetE0EEEvSL_,"axG",@progbits,_ZN7rocprim17ROCPRIM_400000_NS6detail17trampoline_kernelINS0_14default_configENS1_36segmented_radix_sort_config_selectorI6__halflEEZNS1_25segmented_radix_sort_implIS3_Lb0EPKS5_PS5_PKlPlN2at6native12_GLOBAL__N_18offset_tEEE10hipError_tPvRmT1_PNSt15iterator_traitsISL_E10value_typeET2_T3_PNSM_ISR_E10value_typeET4_jRbjT5_SX_jjP12ihipStream_tbEUlT_E2_NS1_11comp_targetILNS1_3genE2ELNS1_11target_archE906ELNS1_3gpuE6ELNS1_3repE0EEENS1_30default_config_static_selectorELNS0_4arch9wavefront6targetE0EEEvSL_,comdat
	.globl	_ZN7rocprim17ROCPRIM_400000_NS6detail17trampoline_kernelINS0_14default_configENS1_36segmented_radix_sort_config_selectorI6__halflEEZNS1_25segmented_radix_sort_implIS3_Lb0EPKS5_PS5_PKlPlN2at6native12_GLOBAL__N_18offset_tEEE10hipError_tPvRmT1_PNSt15iterator_traitsISL_E10value_typeET2_T3_PNSM_ISR_E10value_typeET4_jRbjT5_SX_jjP12ihipStream_tbEUlT_E2_NS1_11comp_targetILNS1_3genE2ELNS1_11target_archE906ELNS1_3gpuE6ELNS1_3repE0EEENS1_30default_config_static_selectorELNS0_4arch9wavefront6targetE0EEEvSL_ ; -- Begin function _ZN7rocprim17ROCPRIM_400000_NS6detail17trampoline_kernelINS0_14default_configENS1_36segmented_radix_sort_config_selectorI6__halflEEZNS1_25segmented_radix_sort_implIS3_Lb0EPKS5_PS5_PKlPlN2at6native12_GLOBAL__N_18offset_tEEE10hipError_tPvRmT1_PNSt15iterator_traitsISL_E10value_typeET2_T3_PNSM_ISR_E10value_typeET4_jRbjT5_SX_jjP12ihipStream_tbEUlT_E2_NS1_11comp_targetILNS1_3genE2ELNS1_11target_archE906ELNS1_3gpuE6ELNS1_3repE0EEENS1_30default_config_static_selectorELNS0_4arch9wavefront6targetE0EEEvSL_
	.p2align	8
	.type	_ZN7rocprim17ROCPRIM_400000_NS6detail17trampoline_kernelINS0_14default_configENS1_36segmented_radix_sort_config_selectorI6__halflEEZNS1_25segmented_radix_sort_implIS3_Lb0EPKS5_PS5_PKlPlN2at6native12_GLOBAL__N_18offset_tEEE10hipError_tPvRmT1_PNSt15iterator_traitsISL_E10value_typeET2_T3_PNSM_ISR_E10value_typeET4_jRbjT5_SX_jjP12ihipStream_tbEUlT_E2_NS1_11comp_targetILNS1_3genE2ELNS1_11target_archE906ELNS1_3gpuE6ELNS1_3repE0EEENS1_30default_config_static_selectorELNS0_4arch9wavefront6targetE0EEEvSL_,@function
_ZN7rocprim17ROCPRIM_400000_NS6detail17trampoline_kernelINS0_14default_configENS1_36segmented_radix_sort_config_selectorI6__halflEEZNS1_25segmented_radix_sort_implIS3_Lb0EPKS5_PS5_PKlPlN2at6native12_GLOBAL__N_18offset_tEEE10hipError_tPvRmT1_PNSt15iterator_traitsISL_E10value_typeET2_T3_PNSM_ISR_E10value_typeET4_jRbjT5_SX_jjP12ihipStream_tbEUlT_E2_NS1_11comp_targetILNS1_3genE2ELNS1_11target_archE906ELNS1_3gpuE6ELNS1_3repE0EEENS1_30default_config_static_selectorELNS0_4arch9wavefront6targetE0EEEvSL_: ; @_ZN7rocprim17ROCPRIM_400000_NS6detail17trampoline_kernelINS0_14default_configENS1_36segmented_radix_sort_config_selectorI6__halflEEZNS1_25segmented_radix_sort_implIS3_Lb0EPKS5_PS5_PKlPlN2at6native12_GLOBAL__N_18offset_tEEE10hipError_tPvRmT1_PNSt15iterator_traitsISL_E10value_typeET2_T3_PNSM_ISR_E10value_typeET4_jRbjT5_SX_jjP12ihipStream_tbEUlT_E2_NS1_11comp_targetILNS1_3genE2ELNS1_11target_archE906ELNS1_3gpuE6ELNS1_3repE0EEENS1_30default_config_static_selectorELNS0_4arch9wavefront6targetE0EEEvSL_
; %bb.0:
	.section	.rodata,"a",@progbits
	.p2align	6, 0x0
	.amdhsa_kernel _ZN7rocprim17ROCPRIM_400000_NS6detail17trampoline_kernelINS0_14default_configENS1_36segmented_radix_sort_config_selectorI6__halflEEZNS1_25segmented_radix_sort_implIS3_Lb0EPKS5_PS5_PKlPlN2at6native12_GLOBAL__N_18offset_tEEE10hipError_tPvRmT1_PNSt15iterator_traitsISL_E10value_typeET2_T3_PNSM_ISR_E10value_typeET4_jRbjT5_SX_jjP12ihipStream_tbEUlT_E2_NS1_11comp_targetILNS1_3genE2ELNS1_11target_archE906ELNS1_3gpuE6ELNS1_3repE0EEENS1_30default_config_static_selectorELNS0_4arch9wavefront6targetE0EEEvSL_
		.amdhsa_group_segment_fixed_size 0
		.amdhsa_private_segment_fixed_size 0
		.amdhsa_kernarg_size 80
		.amdhsa_user_sgpr_count 2
		.amdhsa_user_sgpr_dispatch_ptr 0
		.amdhsa_user_sgpr_queue_ptr 0
		.amdhsa_user_sgpr_kernarg_segment_ptr 1
		.amdhsa_user_sgpr_dispatch_id 0
		.amdhsa_user_sgpr_kernarg_preload_length 0
		.amdhsa_user_sgpr_kernarg_preload_offset 0
		.amdhsa_user_sgpr_private_segment_size 0
		.amdhsa_wavefront_size32 1
		.amdhsa_uses_dynamic_stack 0
		.amdhsa_enable_private_segment 0
		.amdhsa_system_sgpr_workgroup_id_x 1
		.amdhsa_system_sgpr_workgroup_id_y 0
		.amdhsa_system_sgpr_workgroup_id_z 0
		.amdhsa_system_sgpr_workgroup_info 0
		.amdhsa_system_vgpr_workitem_id 0
		.amdhsa_next_free_vgpr 1
		.amdhsa_next_free_sgpr 1
		.amdhsa_named_barrier_count 0
		.amdhsa_reserve_vcc 0
		.amdhsa_float_round_mode_32 0
		.amdhsa_float_round_mode_16_64 0
		.amdhsa_float_denorm_mode_32 3
		.amdhsa_float_denorm_mode_16_64 3
		.amdhsa_fp16_overflow 0
		.amdhsa_memory_ordered 1
		.amdhsa_forward_progress 1
		.amdhsa_inst_pref_size 0
		.amdhsa_round_robin_scheduling 0
		.amdhsa_exception_fp_ieee_invalid_op 0
		.amdhsa_exception_fp_denorm_src 0
		.amdhsa_exception_fp_ieee_div_zero 0
		.amdhsa_exception_fp_ieee_overflow 0
		.amdhsa_exception_fp_ieee_underflow 0
		.amdhsa_exception_fp_ieee_inexact 0
		.amdhsa_exception_int_div_zero 0
	.end_amdhsa_kernel
	.section	.text._ZN7rocprim17ROCPRIM_400000_NS6detail17trampoline_kernelINS0_14default_configENS1_36segmented_radix_sort_config_selectorI6__halflEEZNS1_25segmented_radix_sort_implIS3_Lb0EPKS5_PS5_PKlPlN2at6native12_GLOBAL__N_18offset_tEEE10hipError_tPvRmT1_PNSt15iterator_traitsISL_E10value_typeET2_T3_PNSM_ISR_E10value_typeET4_jRbjT5_SX_jjP12ihipStream_tbEUlT_E2_NS1_11comp_targetILNS1_3genE2ELNS1_11target_archE906ELNS1_3gpuE6ELNS1_3repE0EEENS1_30default_config_static_selectorELNS0_4arch9wavefront6targetE0EEEvSL_,"axG",@progbits,_ZN7rocprim17ROCPRIM_400000_NS6detail17trampoline_kernelINS0_14default_configENS1_36segmented_radix_sort_config_selectorI6__halflEEZNS1_25segmented_radix_sort_implIS3_Lb0EPKS5_PS5_PKlPlN2at6native12_GLOBAL__N_18offset_tEEE10hipError_tPvRmT1_PNSt15iterator_traitsISL_E10value_typeET2_T3_PNSM_ISR_E10value_typeET4_jRbjT5_SX_jjP12ihipStream_tbEUlT_E2_NS1_11comp_targetILNS1_3genE2ELNS1_11target_archE906ELNS1_3gpuE6ELNS1_3repE0EEENS1_30default_config_static_selectorELNS0_4arch9wavefront6targetE0EEEvSL_,comdat
.Lfunc_end1866:
	.size	_ZN7rocprim17ROCPRIM_400000_NS6detail17trampoline_kernelINS0_14default_configENS1_36segmented_radix_sort_config_selectorI6__halflEEZNS1_25segmented_radix_sort_implIS3_Lb0EPKS5_PS5_PKlPlN2at6native12_GLOBAL__N_18offset_tEEE10hipError_tPvRmT1_PNSt15iterator_traitsISL_E10value_typeET2_T3_PNSM_ISR_E10value_typeET4_jRbjT5_SX_jjP12ihipStream_tbEUlT_E2_NS1_11comp_targetILNS1_3genE2ELNS1_11target_archE906ELNS1_3gpuE6ELNS1_3repE0EEENS1_30default_config_static_selectorELNS0_4arch9wavefront6targetE0EEEvSL_, .Lfunc_end1866-_ZN7rocprim17ROCPRIM_400000_NS6detail17trampoline_kernelINS0_14default_configENS1_36segmented_radix_sort_config_selectorI6__halflEEZNS1_25segmented_radix_sort_implIS3_Lb0EPKS5_PS5_PKlPlN2at6native12_GLOBAL__N_18offset_tEEE10hipError_tPvRmT1_PNSt15iterator_traitsISL_E10value_typeET2_T3_PNSM_ISR_E10value_typeET4_jRbjT5_SX_jjP12ihipStream_tbEUlT_E2_NS1_11comp_targetILNS1_3genE2ELNS1_11target_archE906ELNS1_3gpuE6ELNS1_3repE0EEENS1_30default_config_static_selectorELNS0_4arch9wavefront6targetE0EEEvSL_
                                        ; -- End function
	.set _ZN7rocprim17ROCPRIM_400000_NS6detail17trampoline_kernelINS0_14default_configENS1_36segmented_radix_sort_config_selectorI6__halflEEZNS1_25segmented_radix_sort_implIS3_Lb0EPKS5_PS5_PKlPlN2at6native12_GLOBAL__N_18offset_tEEE10hipError_tPvRmT1_PNSt15iterator_traitsISL_E10value_typeET2_T3_PNSM_ISR_E10value_typeET4_jRbjT5_SX_jjP12ihipStream_tbEUlT_E2_NS1_11comp_targetILNS1_3genE2ELNS1_11target_archE906ELNS1_3gpuE6ELNS1_3repE0EEENS1_30default_config_static_selectorELNS0_4arch9wavefront6targetE0EEEvSL_.num_vgpr, 0
	.set _ZN7rocprim17ROCPRIM_400000_NS6detail17trampoline_kernelINS0_14default_configENS1_36segmented_radix_sort_config_selectorI6__halflEEZNS1_25segmented_radix_sort_implIS3_Lb0EPKS5_PS5_PKlPlN2at6native12_GLOBAL__N_18offset_tEEE10hipError_tPvRmT1_PNSt15iterator_traitsISL_E10value_typeET2_T3_PNSM_ISR_E10value_typeET4_jRbjT5_SX_jjP12ihipStream_tbEUlT_E2_NS1_11comp_targetILNS1_3genE2ELNS1_11target_archE906ELNS1_3gpuE6ELNS1_3repE0EEENS1_30default_config_static_selectorELNS0_4arch9wavefront6targetE0EEEvSL_.num_agpr, 0
	.set _ZN7rocprim17ROCPRIM_400000_NS6detail17trampoline_kernelINS0_14default_configENS1_36segmented_radix_sort_config_selectorI6__halflEEZNS1_25segmented_radix_sort_implIS3_Lb0EPKS5_PS5_PKlPlN2at6native12_GLOBAL__N_18offset_tEEE10hipError_tPvRmT1_PNSt15iterator_traitsISL_E10value_typeET2_T3_PNSM_ISR_E10value_typeET4_jRbjT5_SX_jjP12ihipStream_tbEUlT_E2_NS1_11comp_targetILNS1_3genE2ELNS1_11target_archE906ELNS1_3gpuE6ELNS1_3repE0EEENS1_30default_config_static_selectorELNS0_4arch9wavefront6targetE0EEEvSL_.numbered_sgpr, 0
	.set _ZN7rocprim17ROCPRIM_400000_NS6detail17trampoline_kernelINS0_14default_configENS1_36segmented_radix_sort_config_selectorI6__halflEEZNS1_25segmented_radix_sort_implIS3_Lb0EPKS5_PS5_PKlPlN2at6native12_GLOBAL__N_18offset_tEEE10hipError_tPvRmT1_PNSt15iterator_traitsISL_E10value_typeET2_T3_PNSM_ISR_E10value_typeET4_jRbjT5_SX_jjP12ihipStream_tbEUlT_E2_NS1_11comp_targetILNS1_3genE2ELNS1_11target_archE906ELNS1_3gpuE6ELNS1_3repE0EEENS1_30default_config_static_selectorELNS0_4arch9wavefront6targetE0EEEvSL_.num_named_barrier, 0
	.set _ZN7rocprim17ROCPRIM_400000_NS6detail17trampoline_kernelINS0_14default_configENS1_36segmented_radix_sort_config_selectorI6__halflEEZNS1_25segmented_radix_sort_implIS3_Lb0EPKS5_PS5_PKlPlN2at6native12_GLOBAL__N_18offset_tEEE10hipError_tPvRmT1_PNSt15iterator_traitsISL_E10value_typeET2_T3_PNSM_ISR_E10value_typeET4_jRbjT5_SX_jjP12ihipStream_tbEUlT_E2_NS1_11comp_targetILNS1_3genE2ELNS1_11target_archE906ELNS1_3gpuE6ELNS1_3repE0EEENS1_30default_config_static_selectorELNS0_4arch9wavefront6targetE0EEEvSL_.private_seg_size, 0
	.set _ZN7rocprim17ROCPRIM_400000_NS6detail17trampoline_kernelINS0_14default_configENS1_36segmented_radix_sort_config_selectorI6__halflEEZNS1_25segmented_radix_sort_implIS3_Lb0EPKS5_PS5_PKlPlN2at6native12_GLOBAL__N_18offset_tEEE10hipError_tPvRmT1_PNSt15iterator_traitsISL_E10value_typeET2_T3_PNSM_ISR_E10value_typeET4_jRbjT5_SX_jjP12ihipStream_tbEUlT_E2_NS1_11comp_targetILNS1_3genE2ELNS1_11target_archE906ELNS1_3gpuE6ELNS1_3repE0EEENS1_30default_config_static_selectorELNS0_4arch9wavefront6targetE0EEEvSL_.uses_vcc, 0
	.set _ZN7rocprim17ROCPRIM_400000_NS6detail17trampoline_kernelINS0_14default_configENS1_36segmented_radix_sort_config_selectorI6__halflEEZNS1_25segmented_radix_sort_implIS3_Lb0EPKS5_PS5_PKlPlN2at6native12_GLOBAL__N_18offset_tEEE10hipError_tPvRmT1_PNSt15iterator_traitsISL_E10value_typeET2_T3_PNSM_ISR_E10value_typeET4_jRbjT5_SX_jjP12ihipStream_tbEUlT_E2_NS1_11comp_targetILNS1_3genE2ELNS1_11target_archE906ELNS1_3gpuE6ELNS1_3repE0EEENS1_30default_config_static_selectorELNS0_4arch9wavefront6targetE0EEEvSL_.uses_flat_scratch, 0
	.set _ZN7rocprim17ROCPRIM_400000_NS6detail17trampoline_kernelINS0_14default_configENS1_36segmented_radix_sort_config_selectorI6__halflEEZNS1_25segmented_radix_sort_implIS3_Lb0EPKS5_PS5_PKlPlN2at6native12_GLOBAL__N_18offset_tEEE10hipError_tPvRmT1_PNSt15iterator_traitsISL_E10value_typeET2_T3_PNSM_ISR_E10value_typeET4_jRbjT5_SX_jjP12ihipStream_tbEUlT_E2_NS1_11comp_targetILNS1_3genE2ELNS1_11target_archE906ELNS1_3gpuE6ELNS1_3repE0EEENS1_30default_config_static_selectorELNS0_4arch9wavefront6targetE0EEEvSL_.has_dyn_sized_stack, 0
	.set _ZN7rocprim17ROCPRIM_400000_NS6detail17trampoline_kernelINS0_14default_configENS1_36segmented_radix_sort_config_selectorI6__halflEEZNS1_25segmented_radix_sort_implIS3_Lb0EPKS5_PS5_PKlPlN2at6native12_GLOBAL__N_18offset_tEEE10hipError_tPvRmT1_PNSt15iterator_traitsISL_E10value_typeET2_T3_PNSM_ISR_E10value_typeET4_jRbjT5_SX_jjP12ihipStream_tbEUlT_E2_NS1_11comp_targetILNS1_3genE2ELNS1_11target_archE906ELNS1_3gpuE6ELNS1_3repE0EEENS1_30default_config_static_selectorELNS0_4arch9wavefront6targetE0EEEvSL_.has_recursion, 0
	.set _ZN7rocprim17ROCPRIM_400000_NS6detail17trampoline_kernelINS0_14default_configENS1_36segmented_radix_sort_config_selectorI6__halflEEZNS1_25segmented_radix_sort_implIS3_Lb0EPKS5_PS5_PKlPlN2at6native12_GLOBAL__N_18offset_tEEE10hipError_tPvRmT1_PNSt15iterator_traitsISL_E10value_typeET2_T3_PNSM_ISR_E10value_typeET4_jRbjT5_SX_jjP12ihipStream_tbEUlT_E2_NS1_11comp_targetILNS1_3genE2ELNS1_11target_archE906ELNS1_3gpuE6ELNS1_3repE0EEENS1_30default_config_static_selectorELNS0_4arch9wavefront6targetE0EEEvSL_.has_indirect_call, 0
	.section	.AMDGPU.csdata,"",@progbits
; Kernel info:
; codeLenInByte = 0
; TotalNumSgprs: 0
; NumVgprs: 0
; ScratchSize: 0
; MemoryBound: 0
; FloatMode: 240
; IeeeMode: 1
; LDSByteSize: 0 bytes/workgroup (compile time only)
; SGPRBlocks: 0
; VGPRBlocks: 0
; NumSGPRsForWavesPerEU: 1
; NumVGPRsForWavesPerEU: 1
; NamedBarCnt: 0
; Occupancy: 16
; WaveLimiterHint : 0
; COMPUTE_PGM_RSRC2:SCRATCH_EN: 0
; COMPUTE_PGM_RSRC2:USER_SGPR: 2
; COMPUTE_PGM_RSRC2:TRAP_HANDLER: 0
; COMPUTE_PGM_RSRC2:TGID_X_EN: 1
; COMPUTE_PGM_RSRC2:TGID_Y_EN: 0
; COMPUTE_PGM_RSRC2:TGID_Z_EN: 0
; COMPUTE_PGM_RSRC2:TIDIG_COMP_CNT: 0
	.section	.text._ZN7rocprim17ROCPRIM_400000_NS6detail17trampoline_kernelINS0_14default_configENS1_36segmented_radix_sort_config_selectorI6__halflEEZNS1_25segmented_radix_sort_implIS3_Lb0EPKS5_PS5_PKlPlN2at6native12_GLOBAL__N_18offset_tEEE10hipError_tPvRmT1_PNSt15iterator_traitsISL_E10value_typeET2_T3_PNSM_ISR_E10value_typeET4_jRbjT5_SX_jjP12ihipStream_tbEUlT_E2_NS1_11comp_targetILNS1_3genE10ELNS1_11target_archE1201ELNS1_3gpuE5ELNS1_3repE0EEENS1_30default_config_static_selectorELNS0_4arch9wavefront6targetE0EEEvSL_,"axG",@progbits,_ZN7rocprim17ROCPRIM_400000_NS6detail17trampoline_kernelINS0_14default_configENS1_36segmented_radix_sort_config_selectorI6__halflEEZNS1_25segmented_radix_sort_implIS3_Lb0EPKS5_PS5_PKlPlN2at6native12_GLOBAL__N_18offset_tEEE10hipError_tPvRmT1_PNSt15iterator_traitsISL_E10value_typeET2_T3_PNSM_ISR_E10value_typeET4_jRbjT5_SX_jjP12ihipStream_tbEUlT_E2_NS1_11comp_targetILNS1_3genE10ELNS1_11target_archE1201ELNS1_3gpuE5ELNS1_3repE0EEENS1_30default_config_static_selectorELNS0_4arch9wavefront6targetE0EEEvSL_,comdat
	.globl	_ZN7rocprim17ROCPRIM_400000_NS6detail17trampoline_kernelINS0_14default_configENS1_36segmented_radix_sort_config_selectorI6__halflEEZNS1_25segmented_radix_sort_implIS3_Lb0EPKS5_PS5_PKlPlN2at6native12_GLOBAL__N_18offset_tEEE10hipError_tPvRmT1_PNSt15iterator_traitsISL_E10value_typeET2_T3_PNSM_ISR_E10value_typeET4_jRbjT5_SX_jjP12ihipStream_tbEUlT_E2_NS1_11comp_targetILNS1_3genE10ELNS1_11target_archE1201ELNS1_3gpuE5ELNS1_3repE0EEENS1_30default_config_static_selectorELNS0_4arch9wavefront6targetE0EEEvSL_ ; -- Begin function _ZN7rocprim17ROCPRIM_400000_NS6detail17trampoline_kernelINS0_14default_configENS1_36segmented_radix_sort_config_selectorI6__halflEEZNS1_25segmented_radix_sort_implIS3_Lb0EPKS5_PS5_PKlPlN2at6native12_GLOBAL__N_18offset_tEEE10hipError_tPvRmT1_PNSt15iterator_traitsISL_E10value_typeET2_T3_PNSM_ISR_E10value_typeET4_jRbjT5_SX_jjP12ihipStream_tbEUlT_E2_NS1_11comp_targetILNS1_3genE10ELNS1_11target_archE1201ELNS1_3gpuE5ELNS1_3repE0EEENS1_30default_config_static_selectorELNS0_4arch9wavefront6targetE0EEEvSL_
	.p2align	8
	.type	_ZN7rocprim17ROCPRIM_400000_NS6detail17trampoline_kernelINS0_14default_configENS1_36segmented_radix_sort_config_selectorI6__halflEEZNS1_25segmented_radix_sort_implIS3_Lb0EPKS5_PS5_PKlPlN2at6native12_GLOBAL__N_18offset_tEEE10hipError_tPvRmT1_PNSt15iterator_traitsISL_E10value_typeET2_T3_PNSM_ISR_E10value_typeET4_jRbjT5_SX_jjP12ihipStream_tbEUlT_E2_NS1_11comp_targetILNS1_3genE10ELNS1_11target_archE1201ELNS1_3gpuE5ELNS1_3repE0EEENS1_30default_config_static_selectorELNS0_4arch9wavefront6targetE0EEEvSL_,@function
_ZN7rocprim17ROCPRIM_400000_NS6detail17trampoline_kernelINS0_14default_configENS1_36segmented_radix_sort_config_selectorI6__halflEEZNS1_25segmented_radix_sort_implIS3_Lb0EPKS5_PS5_PKlPlN2at6native12_GLOBAL__N_18offset_tEEE10hipError_tPvRmT1_PNSt15iterator_traitsISL_E10value_typeET2_T3_PNSM_ISR_E10value_typeET4_jRbjT5_SX_jjP12ihipStream_tbEUlT_E2_NS1_11comp_targetILNS1_3genE10ELNS1_11target_archE1201ELNS1_3gpuE5ELNS1_3repE0EEENS1_30default_config_static_selectorELNS0_4arch9wavefront6targetE0EEEvSL_: ; @_ZN7rocprim17ROCPRIM_400000_NS6detail17trampoline_kernelINS0_14default_configENS1_36segmented_radix_sort_config_selectorI6__halflEEZNS1_25segmented_radix_sort_implIS3_Lb0EPKS5_PS5_PKlPlN2at6native12_GLOBAL__N_18offset_tEEE10hipError_tPvRmT1_PNSt15iterator_traitsISL_E10value_typeET2_T3_PNSM_ISR_E10value_typeET4_jRbjT5_SX_jjP12ihipStream_tbEUlT_E2_NS1_11comp_targetILNS1_3genE10ELNS1_11target_archE1201ELNS1_3gpuE5ELNS1_3repE0EEENS1_30default_config_static_selectorELNS0_4arch9wavefront6targetE0EEEvSL_
; %bb.0:
	.section	.rodata,"a",@progbits
	.p2align	6, 0x0
	.amdhsa_kernel _ZN7rocprim17ROCPRIM_400000_NS6detail17trampoline_kernelINS0_14default_configENS1_36segmented_radix_sort_config_selectorI6__halflEEZNS1_25segmented_radix_sort_implIS3_Lb0EPKS5_PS5_PKlPlN2at6native12_GLOBAL__N_18offset_tEEE10hipError_tPvRmT1_PNSt15iterator_traitsISL_E10value_typeET2_T3_PNSM_ISR_E10value_typeET4_jRbjT5_SX_jjP12ihipStream_tbEUlT_E2_NS1_11comp_targetILNS1_3genE10ELNS1_11target_archE1201ELNS1_3gpuE5ELNS1_3repE0EEENS1_30default_config_static_selectorELNS0_4arch9wavefront6targetE0EEEvSL_
		.amdhsa_group_segment_fixed_size 0
		.amdhsa_private_segment_fixed_size 0
		.amdhsa_kernarg_size 80
		.amdhsa_user_sgpr_count 2
		.amdhsa_user_sgpr_dispatch_ptr 0
		.amdhsa_user_sgpr_queue_ptr 0
		.amdhsa_user_sgpr_kernarg_segment_ptr 1
		.amdhsa_user_sgpr_dispatch_id 0
		.amdhsa_user_sgpr_kernarg_preload_length 0
		.amdhsa_user_sgpr_kernarg_preload_offset 0
		.amdhsa_user_sgpr_private_segment_size 0
		.amdhsa_wavefront_size32 1
		.amdhsa_uses_dynamic_stack 0
		.amdhsa_enable_private_segment 0
		.amdhsa_system_sgpr_workgroup_id_x 1
		.amdhsa_system_sgpr_workgroup_id_y 0
		.amdhsa_system_sgpr_workgroup_id_z 0
		.amdhsa_system_sgpr_workgroup_info 0
		.amdhsa_system_vgpr_workitem_id 0
		.amdhsa_next_free_vgpr 1
		.amdhsa_next_free_sgpr 1
		.amdhsa_named_barrier_count 0
		.amdhsa_reserve_vcc 0
		.amdhsa_float_round_mode_32 0
		.amdhsa_float_round_mode_16_64 0
		.amdhsa_float_denorm_mode_32 3
		.amdhsa_float_denorm_mode_16_64 3
		.amdhsa_fp16_overflow 0
		.amdhsa_memory_ordered 1
		.amdhsa_forward_progress 1
		.amdhsa_inst_pref_size 0
		.amdhsa_round_robin_scheduling 0
		.amdhsa_exception_fp_ieee_invalid_op 0
		.amdhsa_exception_fp_denorm_src 0
		.amdhsa_exception_fp_ieee_div_zero 0
		.amdhsa_exception_fp_ieee_overflow 0
		.amdhsa_exception_fp_ieee_underflow 0
		.amdhsa_exception_fp_ieee_inexact 0
		.amdhsa_exception_int_div_zero 0
	.end_amdhsa_kernel
	.section	.text._ZN7rocprim17ROCPRIM_400000_NS6detail17trampoline_kernelINS0_14default_configENS1_36segmented_radix_sort_config_selectorI6__halflEEZNS1_25segmented_radix_sort_implIS3_Lb0EPKS5_PS5_PKlPlN2at6native12_GLOBAL__N_18offset_tEEE10hipError_tPvRmT1_PNSt15iterator_traitsISL_E10value_typeET2_T3_PNSM_ISR_E10value_typeET4_jRbjT5_SX_jjP12ihipStream_tbEUlT_E2_NS1_11comp_targetILNS1_3genE10ELNS1_11target_archE1201ELNS1_3gpuE5ELNS1_3repE0EEENS1_30default_config_static_selectorELNS0_4arch9wavefront6targetE0EEEvSL_,"axG",@progbits,_ZN7rocprim17ROCPRIM_400000_NS6detail17trampoline_kernelINS0_14default_configENS1_36segmented_radix_sort_config_selectorI6__halflEEZNS1_25segmented_radix_sort_implIS3_Lb0EPKS5_PS5_PKlPlN2at6native12_GLOBAL__N_18offset_tEEE10hipError_tPvRmT1_PNSt15iterator_traitsISL_E10value_typeET2_T3_PNSM_ISR_E10value_typeET4_jRbjT5_SX_jjP12ihipStream_tbEUlT_E2_NS1_11comp_targetILNS1_3genE10ELNS1_11target_archE1201ELNS1_3gpuE5ELNS1_3repE0EEENS1_30default_config_static_selectorELNS0_4arch9wavefront6targetE0EEEvSL_,comdat
.Lfunc_end1867:
	.size	_ZN7rocprim17ROCPRIM_400000_NS6detail17trampoline_kernelINS0_14default_configENS1_36segmented_radix_sort_config_selectorI6__halflEEZNS1_25segmented_radix_sort_implIS3_Lb0EPKS5_PS5_PKlPlN2at6native12_GLOBAL__N_18offset_tEEE10hipError_tPvRmT1_PNSt15iterator_traitsISL_E10value_typeET2_T3_PNSM_ISR_E10value_typeET4_jRbjT5_SX_jjP12ihipStream_tbEUlT_E2_NS1_11comp_targetILNS1_3genE10ELNS1_11target_archE1201ELNS1_3gpuE5ELNS1_3repE0EEENS1_30default_config_static_selectorELNS0_4arch9wavefront6targetE0EEEvSL_, .Lfunc_end1867-_ZN7rocprim17ROCPRIM_400000_NS6detail17trampoline_kernelINS0_14default_configENS1_36segmented_radix_sort_config_selectorI6__halflEEZNS1_25segmented_radix_sort_implIS3_Lb0EPKS5_PS5_PKlPlN2at6native12_GLOBAL__N_18offset_tEEE10hipError_tPvRmT1_PNSt15iterator_traitsISL_E10value_typeET2_T3_PNSM_ISR_E10value_typeET4_jRbjT5_SX_jjP12ihipStream_tbEUlT_E2_NS1_11comp_targetILNS1_3genE10ELNS1_11target_archE1201ELNS1_3gpuE5ELNS1_3repE0EEENS1_30default_config_static_selectorELNS0_4arch9wavefront6targetE0EEEvSL_
                                        ; -- End function
	.set _ZN7rocprim17ROCPRIM_400000_NS6detail17trampoline_kernelINS0_14default_configENS1_36segmented_radix_sort_config_selectorI6__halflEEZNS1_25segmented_radix_sort_implIS3_Lb0EPKS5_PS5_PKlPlN2at6native12_GLOBAL__N_18offset_tEEE10hipError_tPvRmT1_PNSt15iterator_traitsISL_E10value_typeET2_T3_PNSM_ISR_E10value_typeET4_jRbjT5_SX_jjP12ihipStream_tbEUlT_E2_NS1_11comp_targetILNS1_3genE10ELNS1_11target_archE1201ELNS1_3gpuE5ELNS1_3repE0EEENS1_30default_config_static_selectorELNS0_4arch9wavefront6targetE0EEEvSL_.num_vgpr, 0
	.set _ZN7rocprim17ROCPRIM_400000_NS6detail17trampoline_kernelINS0_14default_configENS1_36segmented_radix_sort_config_selectorI6__halflEEZNS1_25segmented_radix_sort_implIS3_Lb0EPKS5_PS5_PKlPlN2at6native12_GLOBAL__N_18offset_tEEE10hipError_tPvRmT1_PNSt15iterator_traitsISL_E10value_typeET2_T3_PNSM_ISR_E10value_typeET4_jRbjT5_SX_jjP12ihipStream_tbEUlT_E2_NS1_11comp_targetILNS1_3genE10ELNS1_11target_archE1201ELNS1_3gpuE5ELNS1_3repE0EEENS1_30default_config_static_selectorELNS0_4arch9wavefront6targetE0EEEvSL_.num_agpr, 0
	.set _ZN7rocprim17ROCPRIM_400000_NS6detail17trampoline_kernelINS0_14default_configENS1_36segmented_radix_sort_config_selectorI6__halflEEZNS1_25segmented_radix_sort_implIS3_Lb0EPKS5_PS5_PKlPlN2at6native12_GLOBAL__N_18offset_tEEE10hipError_tPvRmT1_PNSt15iterator_traitsISL_E10value_typeET2_T3_PNSM_ISR_E10value_typeET4_jRbjT5_SX_jjP12ihipStream_tbEUlT_E2_NS1_11comp_targetILNS1_3genE10ELNS1_11target_archE1201ELNS1_3gpuE5ELNS1_3repE0EEENS1_30default_config_static_selectorELNS0_4arch9wavefront6targetE0EEEvSL_.numbered_sgpr, 0
	.set _ZN7rocprim17ROCPRIM_400000_NS6detail17trampoline_kernelINS0_14default_configENS1_36segmented_radix_sort_config_selectorI6__halflEEZNS1_25segmented_radix_sort_implIS3_Lb0EPKS5_PS5_PKlPlN2at6native12_GLOBAL__N_18offset_tEEE10hipError_tPvRmT1_PNSt15iterator_traitsISL_E10value_typeET2_T3_PNSM_ISR_E10value_typeET4_jRbjT5_SX_jjP12ihipStream_tbEUlT_E2_NS1_11comp_targetILNS1_3genE10ELNS1_11target_archE1201ELNS1_3gpuE5ELNS1_3repE0EEENS1_30default_config_static_selectorELNS0_4arch9wavefront6targetE0EEEvSL_.num_named_barrier, 0
	.set _ZN7rocprim17ROCPRIM_400000_NS6detail17trampoline_kernelINS0_14default_configENS1_36segmented_radix_sort_config_selectorI6__halflEEZNS1_25segmented_radix_sort_implIS3_Lb0EPKS5_PS5_PKlPlN2at6native12_GLOBAL__N_18offset_tEEE10hipError_tPvRmT1_PNSt15iterator_traitsISL_E10value_typeET2_T3_PNSM_ISR_E10value_typeET4_jRbjT5_SX_jjP12ihipStream_tbEUlT_E2_NS1_11comp_targetILNS1_3genE10ELNS1_11target_archE1201ELNS1_3gpuE5ELNS1_3repE0EEENS1_30default_config_static_selectorELNS0_4arch9wavefront6targetE0EEEvSL_.private_seg_size, 0
	.set _ZN7rocprim17ROCPRIM_400000_NS6detail17trampoline_kernelINS0_14default_configENS1_36segmented_radix_sort_config_selectorI6__halflEEZNS1_25segmented_radix_sort_implIS3_Lb0EPKS5_PS5_PKlPlN2at6native12_GLOBAL__N_18offset_tEEE10hipError_tPvRmT1_PNSt15iterator_traitsISL_E10value_typeET2_T3_PNSM_ISR_E10value_typeET4_jRbjT5_SX_jjP12ihipStream_tbEUlT_E2_NS1_11comp_targetILNS1_3genE10ELNS1_11target_archE1201ELNS1_3gpuE5ELNS1_3repE0EEENS1_30default_config_static_selectorELNS0_4arch9wavefront6targetE0EEEvSL_.uses_vcc, 0
	.set _ZN7rocprim17ROCPRIM_400000_NS6detail17trampoline_kernelINS0_14default_configENS1_36segmented_radix_sort_config_selectorI6__halflEEZNS1_25segmented_radix_sort_implIS3_Lb0EPKS5_PS5_PKlPlN2at6native12_GLOBAL__N_18offset_tEEE10hipError_tPvRmT1_PNSt15iterator_traitsISL_E10value_typeET2_T3_PNSM_ISR_E10value_typeET4_jRbjT5_SX_jjP12ihipStream_tbEUlT_E2_NS1_11comp_targetILNS1_3genE10ELNS1_11target_archE1201ELNS1_3gpuE5ELNS1_3repE0EEENS1_30default_config_static_selectorELNS0_4arch9wavefront6targetE0EEEvSL_.uses_flat_scratch, 0
	.set _ZN7rocprim17ROCPRIM_400000_NS6detail17trampoline_kernelINS0_14default_configENS1_36segmented_radix_sort_config_selectorI6__halflEEZNS1_25segmented_radix_sort_implIS3_Lb0EPKS5_PS5_PKlPlN2at6native12_GLOBAL__N_18offset_tEEE10hipError_tPvRmT1_PNSt15iterator_traitsISL_E10value_typeET2_T3_PNSM_ISR_E10value_typeET4_jRbjT5_SX_jjP12ihipStream_tbEUlT_E2_NS1_11comp_targetILNS1_3genE10ELNS1_11target_archE1201ELNS1_3gpuE5ELNS1_3repE0EEENS1_30default_config_static_selectorELNS0_4arch9wavefront6targetE0EEEvSL_.has_dyn_sized_stack, 0
	.set _ZN7rocprim17ROCPRIM_400000_NS6detail17trampoline_kernelINS0_14default_configENS1_36segmented_radix_sort_config_selectorI6__halflEEZNS1_25segmented_radix_sort_implIS3_Lb0EPKS5_PS5_PKlPlN2at6native12_GLOBAL__N_18offset_tEEE10hipError_tPvRmT1_PNSt15iterator_traitsISL_E10value_typeET2_T3_PNSM_ISR_E10value_typeET4_jRbjT5_SX_jjP12ihipStream_tbEUlT_E2_NS1_11comp_targetILNS1_3genE10ELNS1_11target_archE1201ELNS1_3gpuE5ELNS1_3repE0EEENS1_30default_config_static_selectorELNS0_4arch9wavefront6targetE0EEEvSL_.has_recursion, 0
	.set _ZN7rocprim17ROCPRIM_400000_NS6detail17trampoline_kernelINS0_14default_configENS1_36segmented_radix_sort_config_selectorI6__halflEEZNS1_25segmented_radix_sort_implIS3_Lb0EPKS5_PS5_PKlPlN2at6native12_GLOBAL__N_18offset_tEEE10hipError_tPvRmT1_PNSt15iterator_traitsISL_E10value_typeET2_T3_PNSM_ISR_E10value_typeET4_jRbjT5_SX_jjP12ihipStream_tbEUlT_E2_NS1_11comp_targetILNS1_3genE10ELNS1_11target_archE1201ELNS1_3gpuE5ELNS1_3repE0EEENS1_30default_config_static_selectorELNS0_4arch9wavefront6targetE0EEEvSL_.has_indirect_call, 0
	.section	.AMDGPU.csdata,"",@progbits
; Kernel info:
; codeLenInByte = 0
; TotalNumSgprs: 0
; NumVgprs: 0
; ScratchSize: 0
; MemoryBound: 0
; FloatMode: 240
; IeeeMode: 1
; LDSByteSize: 0 bytes/workgroup (compile time only)
; SGPRBlocks: 0
; VGPRBlocks: 0
; NumSGPRsForWavesPerEU: 1
; NumVGPRsForWavesPerEU: 1
; NamedBarCnt: 0
; Occupancy: 16
; WaveLimiterHint : 0
; COMPUTE_PGM_RSRC2:SCRATCH_EN: 0
; COMPUTE_PGM_RSRC2:USER_SGPR: 2
; COMPUTE_PGM_RSRC2:TRAP_HANDLER: 0
; COMPUTE_PGM_RSRC2:TGID_X_EN: 1
; COMPUTE_PGM_RSRC2:TGID_Y_EN: 0
; COMPUTE_PGM_RSRC2:TGID_Z_EN: 0
; COMPUTE_PGM_RSRC2:TIDIG_COMP_CNT: 0
	.section	.text._ZN7rocprim17ROCPRIM_400000_NS6detail17trampoline_kernelINS0_14default_configENS1_36segmented_radix_sort_config_selectorI6__halflEEZNS1_25segmented_radix_sort_implIS3_Lb0EPKS5_PS5_PKlPlN2at6native12_GLOBAL__N_18offset_tEEE10hipError_tPvRmT1_PNSt15iterator_traitsISL_E10value_typeET2_T3_PNSM_ISR_E10value_typeET4_jRbjT5_SX_jjP12ihipStream_tbEUlT_E2_NS1_11comp_targetILNS1_3genE10ELNS1_11target_archE1200ELNS1_3gpuE4ELNS1_3repE0EEENS1_30default_config_static_selectorELNS0_4arch9wavefront6targetE0EEEvSL_,"axG",@progbits,_ZN7rocprim17ROCPRIM_400000_NS6detail17trampoline_kernelINS0_14default_configENS1_36segmented_radix_sort_config_selectorI6__halflEEZNS1_25segmented_radix_sort_implIS3_Lb0EPKS5_PS5_PKlPlN2at6native12_GLOBAL__N_18offset_tEEE10hipError_tPvRmT1_PNSt15iterator_traitsISL_E10value_typeET2_T3_PNSM_ISR_E10value_typeET4_jRbjT5_SX_jjP12ihipStream_tbEUlT_E2_NS1_11comp_targetILNS1_3genE10ELNS1_11target_archE1200ELNS1_3gpuE4ELNS1_3repE0EEENS1_30default_config_static_selectorELNS0_4arch9wavefront6targetE0EEEvSL_,comdat
	.globl	_ZN7rocprim17ROCPRIM_400000_NS6detail17trampoline_kernelINS0_14default_configENS1_36segmented_radix_sort_config_selectorI6__halflEEZNS1_25segmented_radix_sort_implIS3_Lb0EPKS5_PS5_PKlPlN2at6native12_GLOBAL__N_18offset_tEEE10hipError_tPvRmT1_PNSt15iterator_traitsISL_E10value_typeET2_T3_PNSM_ISR_E10value_typeET4_jRbjT5_SX_jjP12ihipStream_tbEUlT_E2_NS1_11comp_targetILNS1_3genE10ELNS1_11target_archE1200ELNS1_3gpuE4ELNS1_3repE0EEENS1_30default_config_static_selectorELNS0_4arch9wavefront6targetE0EEEvSL_ ; -- Begin function _ZN7rocprim17ROCPRIM_400000_NS6detail17trampoline_kernelINS0_14default_configENS1_36segmented_radix_sort_config_selectorI6__halflEEZNS1_25segmented_radix_sort_implIS3_Lb0EPKS5_PS5_PKlPlN2at6native12_GLOBAL__N_18offset_tEEE10hipError_tPvRmT1_PNSt15iterator_traitsISL_E10value_typeET2_T3_PNSM_ISR_E10value_typeET4_jRbjT5_SX_jjP12ihipStream_tbEUlT_E2_NS1_11comp_targetILNS1_3genE10ELNS1_11target_archE1200ELNS1_3gpuE4ELNS1_3repE0EEENS1_30default_config_static_selectorELNS0_4arch9wavefront6targetE0EEEvSL_
	.p2align	8
	.type	_ZN7rocprim17ROCPRIM_400000_NS6detail17trampoline_kernelINS0_14default_configENS1_36segmented_radix_sort_config_selectorI6__halflEEZNS1_25segmented_radix_sort_implIS3_Lb0EPKS5_PS5_PKlPlN2at6native12_GLOBAL__N_18offset_tEEE10hipError_tPvRmT1_PNSt15iterator_traitsISL_E10value_typeET2_T3_PNSM_ISR_E10value_typeET4_jRbjT5_SX_jjP12ihipStream_tbEUlT_E2_NS1_11comp_targetILNS1_3genE10ELNS1_11target_archE1200ELNS1_3gpuE4ELNS1_3repE0EEENS1_30default_config_static_selectorELNS0_4arch9wavefront6targetE0EEEvSL_,@function
_ZN7rocprim17ROCPRIM_400000_NS6detail17trampoline_kernelINS0_14default_configENS1_36segmented_radix_sort_config_selectorI6__halflEEZNS1_25segmented_radix_sort_implIS3_Lb0EPKS5_PS5_PKlPlN2at6native12_GLOBAL__N_18offset_tEEE10hipError_tPvRmT1_PNSt15iterator_traitsISL_E10value_typeET2_T3_PNSM_ISR_E10value_typeET4_jRbjT5_SX_jjP12ihipStream_tbEUlT_E2_NS1_11comp_targetILNS1_3genE10ELNS1_11target_archE1200ELNS1_3gpuE4ELNS1_3repE0EEENS1_30default_config_static_selectorELNS0_4arch9wavefront6targetE0EEEvSL_: ; @_ZN7rocprim17ROCPRIM_400000_NS6detail17trampoline_kernelINS0_14default_configENS1_36segmented_radix_sort_config_selectorI6__halflEEZNS1_25segmented_radix_sort_implIS3_Lb0EPKS5_PS5_PKlPlN2at6native12_GLOBAL__N_18offset_tEEE10hipError_tPvRmT1_PNSt15iterator_traitsISL_E10value_typeET2_T3_PNSM_ISR_E10value_typeET4_jRbjT5_SX_jjP12ihipStream_tbEUlT_E2_NS1_11comp_targetILNS1_3genE10ELNS1_11target_archE1200ELNS1_3gpuE4ELNS1_3repE0EEENS1_30default_config_static_selectorELNS0_4arch9wavefront6targetE0EEEvSL_
; %bb.0:
	.section	.rodata,"a",@progbits
	.p2align	6, 0x0
	.amdhsa_kernel _ZN7rocprim17ROCPRIM_400000_NS6detail17trampoline_kernelINS0_14default_configENS1_36segmented_radix_sort_config_selectorI6__halflEEZNS1_25segmented_radix_sort_implIS3_Lb0EPKS5_PS5_PKlPlN2at6native12_GLOBAL__N_18offset_tEEE10hipError_tPvRmT1_PNSt15iterator_traitsISL_E10value_typeET2_T3_PNSM_ISR_E10value_typeET4_jRbjT5_SX_jjP12ihipStream_tbEUlT_E2_NS1_11comp_targetILNS1_3genE10ELNS1_11target_archE1200ELNS1_3gpuE4ELNS1_3repE0EEENS1_30default_config_static_selectorELNS0_4arch9wavefront6targetE0EEEvSL_
		.amdhsa_group_segment_fixed_size 0
		.amdhsa_private_segment_fixed_size 0
		.amdhsa_kernarg_size 80
		.amdhsa_user_sgpr_count 2
		.amdhsa_user_sgpr_dispatch_ptr 0
		.amdhsa_user_sgpr_queue_ptr 0
		.amdhsa_user_sgpr_kernarg_segment_ptr 1
		.amdhsa_user_sgpr_dispatch_id 0
		.amdhsa_user_sgpr_kernarg_preload_length 0
		.amdhsa_user_sgpr_kernarg_preload_offset 0
		.amdhsa_user_sgpr_private_segment_size 0
		.amdhsa_wavefront_size32 1
		.amdhsa_uses_dynamic_stack 0
		.amdhsa_enable_private_segment 0
		.amdhsa_system_sgpr_workgroup_id_x 1
		.amdhsa_system_sgpr_workgroup_id_y 0
		.amdhsa_system_sgpr_workgroup_id_z 0
		.amdhsa_system_sgpr_workgroup_info 0
		.amdhsa_system_vgpr_workitem_id 0
		.amdhsa_next_free_vgpr 1
		.amdhsa_next_free_sgpr 1
		.amdhsa_named_barrier_count 0
		.amdhsa_reserve_vcc 0
		.amdhsa_float_round_mode_32 0
		.amdhsa_float_round_mode_16_64 0
		.amdhsa_float_denorm_mode_32 3
		.amdhsa_float_denorm_mode_16_64 3
		.amdhsa_fp16_overflow 0
		.amdhsa_memory_ordered 1
		.amdhsa_forward_progress 1
		.amdhsa_inst_pref_size 0
		.amdhsa_round_robin_scheduling 0
		.amdhsa_exception_fp_ieee_invalid_op 0
		.amdhsa_exception_fp_denorm_src 0
		.amdhsa_exception_fp_ieee_div_zero 0
		.amdhsa_exception_fp_ieee_overflow 0
		.amdhsa_exception_fp_ieee_underflow 0
		.amdhsa_exception_fp_ieee_inexact 0
		.amdhsa_exception_int_div_zero 0
	.end_amdhsa_kernel
	.section	.text._ZN7rocprim17ROCPRIM_400000_NS6detail17trampoline_kernelINS0_14default_configENS1_36segmented_radix_sort_config_selectorI6__halflEEZNS1_25segmented_radix_sort_implIS3_Lb0EPKS5_PS5_PKlPlN2at6native12_GLOBAL__N_18offset_tEEE10hipError_tPvRmT1_PNSt15iterator_traitsISL_E10value_typeET2_T3_PNSM_ISR_E10value_typeET4_jRbjT5_SX_jjP12ihipStream_tbEUlT_E2_NS1_11comp_targetILNS1_3genE10ELNS1_11target_archE1200ELNS1_3gpuE4ELNS1_3repE0EEENS1_30default_config_static_selectorELNS0_4arch9wavefront6targetE0EEEvSL_,"axG",@progbits,_ZN7rocprim17ROCPRIM_400000_NS6detail17trampoline_kernelINS0_14default_configENS1_36segmented_radix_sort_config_selectorI6__halflEEZNS1_25segmented_radix_sort_implIS3_Lb0EPKS5_PS5_PKlPlN2at6native12_GLOBAL__N_18offset_tEEE10hipError_tPvRmT1_PNSt15iterator_traitsISL_E10value_typeET2_T3_PNSM_ISR_E10value_typeET4_jRbjT5_SX_jjP12ihipStream_tbEUlT_E2_NS1_11comp_targetILNS1_3genE10ELNS1_11target_archE1200ELNS1_3gpuE4ELNS1_3repE0EEENS1_30default_config_static_selectorELNS0_4arch9wavefront6targetE0EEEvSL_,comdat
.Lfunc_end1868:
	.size	_ZN7rocprim17ROCPRIM_400000_NS6detail17trampoline_kernelINS0_14default_configENS1_36segmented_radix_sort_config_selectorI6__halflEEZNS1_25segmented_radix_sort_implIS3_Lb0EPKS5_PS5_PKlPlN2at6native12_GLOBAL__N_18offset_tEEE10hipError_tPvRmT1_PNSt15iterator_traitsISL_E10value_typeET2_T3_PNSM_ISR_E10value_typeET4_jRbjT5_SX_jjP12ihipStream_tbEUlT_E2_NS1_11comp_targetILNS1_3genE10ELNS1_11target_archE1200ELNS1_3gpuE4ELNS1_3repE0EEENS1_30default_config_static_selectorELNS0_4arch9wavefront6targetE0EEEvSL_, .Lfunc_end1868-_ZN7rocprim17ROCPRIM_400000_NS6detail17trampoline_kernelINS0_14default_configENS1_36segmented_radix_sort_config_selectorI6__halflEEZNS1_25segmented_radix_sort_implIS3_Lb0EPKS5_PS5_PKlPlN2at6native12_GLOBAL__N_18offset_tEEE10hipError_tPvRmT1_PNSt15iterator_traitsISL_E10value_typeET2_T3_PNSM_ISR_E10value_typeET4_jRbjT5_SX_jjP12ihipStream_tbEUlT_E2_NS1_11comp_targetILNS1_3genE10ELNS1_11target_archE1200ELNS1_3gpuE4ELNS1_3repE0EEENS1_30default_config_static_selectorELNS0_4arch9wavefront6targetE0EEEvSL_
                                        ; -- End function
	.set _ZN7rocprim17ROCPRIM_400000_NS6detail17trampoline_kernelINS0_14default_configENS1_36segmented_radix_sort_config_selectorI6__halflEEZNS1_25segmented_radix_sort_implIS3_Lb0EPKS5_PS5_PKlPlN2at6native12_GLOBAL__N_18offset_tEEE10hipError_tPvRmT1_PNSt15iterator_traitsISL_E10value_typeET2_T3_PNSM_ISR_E10value_typeET4_jRbjT5_SX_jjP12ihipStream_tbEUlT_E2_NS1_11comp_targetILNS1_3genE10ELNS1_11target_archE1200ELNS1_3gpuE4ELNS1_3repE0EEENS1_30default_config_static_selectorELNS0_4arch9wavefront6targetE0EEEvSL_.num_vgpr, 0
	.set _ZN7rocprim17ROCPRIM_400000_NS6detail17trampoline_kernelINS0_14default_configENS1_36segmented_radix_sort_config_selectorI6__halflEEZNS1_25segmented_radix_sort_implIS3_Lb0EPKS5_PS5_PKlPlN2at6native12_GLOBAL__N_18offset_tEEE10hipError_tPvRmT1_PNSt15iterator_traitsISL_E10value_typeET2_T3_PNSM_ISR_E10value_typeET4_jRbjT5_SX_jjP12ihipStream_tbEUlT_E2_NS1_11comp_targetILNS1_3genE10ELNS1_11target_archE1200ELNS1_3gpuE4ELNS1_3repE0EEENS1_30default_config_static_selectorELNS0_4arch9wavefront6targetE0EEEvSL_.num_agpr, 0
	.set _ZN7rocprim17ROCPRIM_400000_NS6detail17trampoline_kernelINS0_14default_configENS1_36segmented_radix_sort_config_selectorI6__halflEEZNS1_25segmented_radix_sort_implIS3_Lb0EPKS5_PS5_PKlPlN2at6native12_GLOBAL__N_18offset_tEEE10hipError_tPvRmT1_PNSt15iterator_traitsISL_E10value_typeET2_T3_PNSM_ISR_E10value_typeET4_jRbjT5_SX_jjP12ihipStream_tbEUlT_E2_NS1_11comp_targetILNS1_3genE10ELNS1_11target_archE1200ELNS1_3gpuE4ELNS1_3repE0EEENS1_30default_config_static_selectorELNS0_4arch9wavefront6targetE0EEEvSL_.numbered_sgpr, 0
	.set _ZN7rocprim17ROCPRIM_400000_NS6detail17trampoline_kernelINS0_14default_configENS1_36segmented_radix_sort_config_selectorI6__halflEEZNS1_25segmented_radix_sort_implIS3_Lb0EPKS5_PS5_PKlPlN2at6native12_GLOBAL__N_18offset_tEEE10hipError_tPvRmT1_PNSt15iterator_traitsISL_E10value_typeET2_T3_PNSM_ISR_E10value_typeET4_jRbjT5_SX_jjP12ihipStream_tbEUlT_E2_NS1_11comp_targetILNS1_3genE10ELNS1_11target_archE1200ELNS1_3gpuE4ELNS1_3repE0EEENS1_30default_config_static_selectorELNS0_4arch9wavefront6targetE0EEEvSL_.num_named_barrier, 0
	.set _ZN7rocprim17ROCPRIM_400000_NS6detail17trampoline_kernelINS0_14default_configENS1_36segmented_radix_sort_config_selectorI6__halflEEZNS1_25segmented_radix_sort_implIS3_Lb0EPKS5_PS5_PKlPlN2at6native12_GLOBAL__N_18offset_tEEE10hipError_tPvRmT1_PNSt15iterator_traitsISL_E10value_typeET2_T3_PNSM_ISR_E10value_typeET4_jRbjT5_SX_jjP12ihipStream_tbEUlT_E2_NS1_11comp_targetILNS1_3genE10ELNS1_11target_archE1200ELNS1_3gpuE4ELNS1_3repE0EEENS1_30default_config_static_selectorELNS0_4arch9wavefront6targetE0EEEvSL_.private_seg_size, 0
	.set _ZN7rocprim17ROCPRIM_400000_NS6detail17trampoline_kernelINS0_14default_configENS1_36segmented_radix_sort_config_selectorI6__halflEEZNS1_25segmented_radix_sort_implIS3_Lb0EPKS5_PS5_PKlPlN2at6native12_GLOBAL__N_18offset_tEEE10hipError_tPvRmT1_PNSt15iterator_traitsISL_E10value_typeET2_T3_PNSM_ISR_E10value_typeET4_jRbjT5_SX_jjP12ihipStream_tbEUlT_E2_NS1_11comp_targetILNS1_3genE10ELNS1_11target_archE1200ELNS1_3gpuE4ELNS1_3repE0EEENS1_30default_config_static_selectorELNS0_4arch9wavefront6targetE0EEEvSL_.uses_vcc, 0
	.set _ZN7rocprim17ROCPRIM_400000_NS6detail17trampoline_kernelINS0_14default_configENS1_36segmented_radix_sort_config_selectorI6__halflEEZNS1_25segmented_radix_sort_implIS3_Lb0EPKS5_PS5_PKlPlN2at6native12_GLOBAL__N_18offset_tEEE10hipError_tPvRmT1_PNSt15iterator_traitsISL_E10value_typeET2_T3_PNSM_ISR_E10value_typeET4_jRbjT5_SX_jjP12ihipStream_tbEUlT_E2_NS1_11comp_targetILNS1_3genE10ELNS1_11target_archE1200ELNS1_3gpuE4ELNS1_3repE0EEENS1_30default_config_static_selectorELNS0_4arch9wavefront6targetE0EEEvSL_.uses_flat_scratch, 0
	.set _ZN7rocprim17ROCPRIM_400000_NS6detail17trampoline_kernelINS0_14default_configENS1_36segmented_radix_sort_config_selectorI6__halflEEZNS1_25segmented_radix_sort_implIS3_Lb0EPKS5_PS5_PKlPlN2at6native12_GLOBAL__N_18offset_tEEE10hipError_tPvRmT1_PNSt15iterator_traitsISL_E10value_typeET2_T3_PNSM_ISR_E10value_typeET4_jRbjT5_SX_jjP12ihipStream_tbEUlT_E2_NS1_11comp_targetILNS1_3genE10ELNS1_11target_archE1200ELNS1_3gpuE4ELNS1_3repE0EEENS1_30default_config_static_selectorELNS0_4arch9wavefront6targetE0EEEvSL_.has_dyn_sized_stack, 0
	.set _ZN7rocprim17ROCPRIM_400000_NS6detail17trampoline_kernelINS0_14default_configENS1_36segmented_radix_sort_config_selectorI6__halflEEZNS1_25segmented_radix_sort_implIS3_Lb0EPKS5_PS5_PKlPlN2at6native12_GLOBAL__N_18offset_tEEE10hipError_tPvRmT1_PNSt15iterator_traitsISL_E10value_typeET2_T3_PNSM_ISR_E10value_typeET4_jRbjT5_SX_jjP12ihipStream_tbEUlT_E2_NS1_11comp_targetILNS1_3genE10ELNS1_11target_archE1200ELNS1_3gpuE4ELNS1_3repE0EEENS1_30default_config_static_selectorELNS0_4arch9wavefront6targetE0EEEvSL_.has_recursion, 0
	.set _ZN7rocprim17ROCPRIM_400000_NS6detail17trampoline_kernelINS0_14default_configENS1_36segmented_radix_sort_config_selectorI6__halflEEZNS1_25segmented_radix_sort_implIS3_Lb0EPKS5_PS5_PKlPlN2at6native12_GLOBAL__N_18offset_tEEE10hipError_tPvRmT1_PNSt15iterator_traitsISL_E10value_typeET2_T3_PNSM_ISR_E10value_typeET4_jRbjT5_SX_jjP12ihipStream_tbEUlT_E2_NS1_11comp_targetILNS1_3genE10ELNS1_11target_archE1200ELNS1_3gpuE4ELNS1_3repE0EEENS1_30default_config_static_selectorELNS0_4arch9wavefront6targetE0EEEvSL_.has_indirect_call, 0
	.section	.AMDGPU.csdata,"",@progbits
; Kernel info:
; codeLenInByte = 0
; TotalNumSgprs: 0
; NumVgprs: 0
; ScratchSize: 0
; MemoryBound: 0
; FloatMode: 240
; IeeeMode: 1
; LDSByteSize: 0 bytes/workgroup (compile time only)
; SGPRBlocks: 0
; VGPRBlocks: 0
; NumSGPRsForWavesPerEU: 1
; NumVGPRsForWavesPerEU: 1
; NamedBarCnt: 0
; Occupancy: 16
; WaveLimiterHint : 0
; COMPUTE_PGM_RSRC2:SCRATCH_EN: 0
; COMPUTE_PGM_RSRC2:USER_SGPR: 2
; COMPUTE_PGM_RSRC2:TRAP_HANDLER: 0
; COMPUTE_PGM_RSRC2:TGID_X_EN: 1
; COMPUTE_PGM_RSRC2:TGID_Y_EN: 0
; COMPUTE_PGM_RSRC2:TGID_Z_EN: 0
; COMPUTE_PGM_RSRC2:TIDIG_COMP_CNT: 0
	.section	.text._ZN7rocprim17ROCPRIM_400000_NS6detail17trampoline_kernelINS0_14default_configENS1_36segmented_radix_sort_config_selectorI6__halflEEZNS1_25segmented_radix_sort_implIS3_Lb0EPKS5_PS5_PKlPlN2at6native12_GLOBAL__N_18offset_tEEE10hipError_tPvRmT1_PNSt15iterator_traitsISL_E10value_typeET2_T3_PNSM_ISR_E10value_typeET4_jRbjT5_SX_jjP12ihipStream_tbEUlT_E2_NS1_11comp_targetILNS1_3genE9ELNS1_11target_archE1100ELNS1_3gpuE3ELNS1_3repE0EEENS1_30default_config_static_selectorELNS0_4arch9wavefront6targetE0EEEvSL_,"axG",@progbits,_ZN7rocprim17ROCPRIM_400000_NS6detail17trampoline_kernelINS0_14default_configENS1_36segmented_radix_sort_config_selectorI6__halflEEZNS1_25segmented_radix_sort_implIS3_Lb0EPKS5_PS5_PKlPlN2at6native12_GLOBAL__N_18offset_tEEE10hipError_tPvRmT1_PNSt15iterator_traitsISL_E10value_typeET2_T3_PNSM_ISR_E10value_typeET4_jRbjT5_SX_jjP12ihipStream_tbEUlT_E2_NS1_11comp_targetILNS1_3genE9ELNS1_11target_archE1100ELNS1_3gpuE3ELNS1_3repE0EEENS1_30default_config_static_selectorELNS0_4arch9wavefront6targetE0EEEvSL_,comdat
	.globl	_ZN7rocprim17ROCPRIM_400000_NS6detail17trampoline_kernelINS0_14default_configENS1_36segmented_radix_sort_config_selectorI6__halflEEZNS1_25segmented_radix_sort_implIS3_Lb0EPKS5_PS5_PKlPlN2at6native12_GLOBAL__N_18offset_tEEE10hipError_tPvRmT1_PNSt15iterator_traitsISL_E10value_typeET2_T3_PNSM_ISR_E10value_typeET4_jRbjT5_SX_jjP12ihipStream_tbEUlT_E2_NS1_11comp_targetILNS1_3genE9ELNS1_11target_archE1100ELNS1_3gpuE3ELNS1_3repE0EEENS1_30default_config_static_selectorELNS0_4arch9wavefront6targetE0EEEvSL_ ; -- Begin function _ZN7rocprim17ROCPRIM_400000_NS6detail17trampoline_kernelINS0_14default_configENS1_36segmented_radix_sort_config_selectorI6__halflEEZNS1_25segmented_radix_sort_implIS3_Lb0EPKS5_PS5_PKlPlN2at6native12_GLOBAL__N_18offset_tEEE10hipError_tPvRmT1_PNSt15iterator_traitsISL_E10value_typeET2_T3_PNSM_ISR_E10value_typeET4_jRbjT5_SX_jjP12ihipStream_tbEUlT_E2_NS1_11comp_targetILNS1_3genE9ELNS1_11target_archE1100ELNS1_3gpuE3ELNS1_3repE0EEENS1_30default_config_static_selectorELNS0_4arch9wavefront6targetE0EEEvSL_
	.p2align	8
	.type	_ZN7rocprim17ROCPRIM_400000_NS6detail17trampoline_kernelINS0_14default_configENS1_36segmented_radix_sort_config_selectorI6__halflEEZNS1_25segmented_radix_sort_implIS3_Lb0EPKS5_PS5_PKlPlN2at6native12_GLOBAL__N_18offset_tEEE10hipError_tPvRmT1_PNSt15iterator_traitsISL_E10value_typeET2_T3_PNSM_ISR_E10value_typeET4_jRbjT5_SX_jjP12ihipStream_tbEUlT_E2_NS1_11comp_targetILNS1_3genE9ELNS1_11target_archE1100ELNS1_3gpuE3ELNS1_3repE0EEENS1_30default_config_static_selectorELNS0_4arch9wavefront6targetE0EEEvSL_,@function
_ZN7rocprim17ROCPRIM_400000_NS6detail17trampoline_kernelINS0_14default_configENS1_36segmented_radix_sort_config_selectorI6__halflEEZNS1_25segmented_radix_sort_implIS3_Lb0EPKS5_PS5_PKlPlN2at6native12_GLOBAL__N_18offset_tEEE10hipError_tPvRmT1_PNSt15iterator_traitsISL_E10value_typeET2_T3_PNSM_ISR_E10value_typeET4_jRbjT5_SX_jjP12ihipStream_tbEUlT_E2_NS1_11comp_targetILNS1_3genE9ELNS1_11target_archE1100ELNS1_3gpuE3ELNS1_3repE0EEENS1_30default_config_static_selectorELNS0_4arch9wavefront6targetE0EEEvSL_: ; @_ZN7rocprim17ROCPRIM_400000_NS6detail17trampoline_kernelINS0_14default_configENS1_36segmented_radix_sort_config_selectorI6__halflEEZNS1_25segmented_radix_sort_implIS3_Lb0EPKS5_PS5_PKlPlN2at6native12_GLOBAL__N_18offset_tEEE10hipError_tPvRmT1_PNSt15iterator_traitsISL_E10value_typeET2_T3_PNSM_ISR_E10value_typeET4_jRbjT5_SX_jjP12ihipStream_tbEUlT_E2_NS1_11comp_targetILNS1_3genE9ELNS1_11target_archE1100ELNS1_3gpuE3ELNS1_3repE0EEENS1_30default_config_static_selectorELNS0_4arch9wavefront6targetE0EEEvSL_
; %bb.0:
	.section	.rodata,"a",@progbits
	.p2align	6, 0x0
	.amdhsa_kernel _ZN7rocprim17ROCPRIM_400000_NS6detail17trampoline_kernelINS0_14default_configENS1_36segmented_radix_sort_config_selectorI6__halflEEZNS1_25segmented_radix_sort_implIS3_Lb0EPKS5_PS5_PKlPlN2at6native12_GLOBAL__N_18offset_tEEE10hipError_tPvRmT1_PNSt15iterator_traitsISL_E10value_typeET2_T3_PNSM_ISR_E10value_typeET4_jRbjT5_SX_jjP12ihipStream_tbEUlT_E2_NS1_11comp_targetILNS1_3genE9ELNS1_11target_archE1100ELNS1_3gpuE3ELNS1_3repE0EEENS1_30default_config_static_selectorELNS0_4arch9wavefront6targetE0EEEvSL_
		.amdhsa_group_segment_fixed_size 0
		.amdhsa_private_segment_fixed_size 0
		.amdhsa_kernarg_size 80
		.amdhsa_user_sgpr_count 2
		.amdhsa_user_sgpr_dispatch_ptr 0
		.amdhsa_user_sgpr_queue_ptr 0
		.amdhsa_user_sgpr_kernarg_segment_ptr 1
		.amdhsa_user_sgpr_dispatch_id 0
		.amdhsa_user_sgpr_kernarg_preload_length 0
		.amdhsa_user_sgpr_kernarg_preload_offset 0
		.amdhsa_user_sgpr_private_segment_size 0
		.amdhsa_wavefront_size32 1
		.amdhsa_uses_dynamic_stack 0
		.amdhsa_enable_private_segment 0
		.amdhsa_system_sgpr_workgroup_id_x 1
		.amdhsa_system_sgpr_workgroup_id_y 0
		.amdhsa_system_sgpr_workgroup_id_z 0
		.amdhsa_system_sgpr_workgroup_info 0
		.amdhsa_system_vgpr_workitem_id 0
		.amdhsa_next_free_vgpr 1
		.amdhsa_next_free_sgpr 1
		.amdhsa_named_barrier_count 0
		.amdhsa_reserve_vcc 0
		.amdhsa_float_round_mode_32 0
		.amdhsa_float_round_mode_16_64 0
		.amdhsa_float_denorm_mode_32 3
		.amdhsa_float_denorm_mode_16_64 3
		.amdhsa_fp16_overflow 0
		.amdhsa_memory_ordered 1
		.amdhsa_forward_progress 1
		.amdhsa_inst_pref_size 0
		.amdhsa_round_robin_scheduling 0
		.amdhsa_exception_fp_ieee_invalid_op 0
		.amdhsa_exception_fp_denorm_src 0
		.amdhsa_exception_fp_ieee_div_zero 0
		.amdhsa_exception_fp_ieee_overflow 0
		.amdhsa_exception_fp_ieee_underflow 0
		.amdhsa_exception_fp_ieee_inexact 0
		.amdhsa_exception_int_div_zero 0
	.end_amdhsa_kernel
	.section	.text._ZN7rocprim17ROCPRIM_400000_NS6detail17trampoline_kernelINS0_14default_configENS1_36segmented_radix_sort_config_selectorI6__halflEEZNS1_25segmented_radix_sort_implIS3_Lb0EPKS5_PS5_PKlPlN2at6native12_GLOBAL__N_18offset_tEEE10hipError_tPvRmT1_PNSt15iterator_traitsISL_E10value_typeET2_T3_PNSM_ISR_E10value_typeET4_jRbjT5_SX_jjP12ihipStream_tbEUlT_E2_NS1_11comp_targetILNS1_3genE9ELNS1_11target_archE1100ELNS1_3gpuE3ELNS1_3repE0EEENS1_30default_config_static_selectorELNS0_4arch9wavefront6targetE0EEEvSL_,"axG",@progbits,_ZN7rocprim17ROCPRIM_400000_NS6detail17trampoline_kernelINS0_14default_configENS1_36segmented_radix_sort_config_selectorI6__halflEEZNS1_25segmented_radix_sort_implIS3_Lb0EPKS5_PS5_PKlPlN2at6native12_GLOBAL__N_18offset_tEEE10hipError_tPvRmT1_PNSt15iterator_traitsISL_E10value_typeET2_T3_PNSM_ISR_E10value_typeET4_jRbjT5_SX_jjP12ihipStream_tbEUlT_E2_NS1_11comp_targetILNS1_3genE9ELNS1_11target_archE1100ELNS1_3gpuE3ELNS1_3repE0EEENS1_30default_config_static_selectorELNS0_4arch9wavefront6targetE0EEEvSL_,comdat
.Lfunc_end1869:
	.size	_ZN7rocprim17ROCPRIM_400000_NS6detail17trampoline_kernelINS0_14default_configENS1_36segmented_radix_sort_config_selectorI6__halflEEZNS1_25segmented_radix_sort_implIS3_Lb0EPKS5_PS5_PKlPlN2at6native12_GLOBAL__N_18offset_tEEE10hipError_tPvRmT1_PNSt15iterator_traitsISL_E10value_typeET2_T3_PNSM_ISR_E10value_typeET4_jRbjT5_SX_jjP12ihipStream_tbEUlT_E2_NS1_11comp_targetILNS1_3genE9ELNS1_11target_archE1100ELNS1_3gpuE3ELNS1_3repE0EEENS1_30default_config_static_selectorELNS0_4arch9wavefront6targetE0EEEvSL_, .Lfunc_end1869-_ZN7rocprim17ROCPRIM_400000_NS6detail17trampoline_kernelINS0_14default_configENS1_36segmented_radix_sort_config_selectorI6__halflEEZNS1_25segmented_radix_sort_implIS3_Lb0EPKS5_PS5_PKlPlN2at6native12_GLOBAL__N_18offset_tEEE10hipError_tPvRmT1_PNSt15iterator_traitsISL_E10value_typeET2_T3_PNSM_ISR_E10value_typeET4_jRbjT5_SX_jjP12ihipStream_tbEUlT_E2_NS1_11comp_targetILNS1_3genE9ELNS1_11target_archE1100ELNS1_3gpuE3ELNS1_3repE0EEENS1_30default_config_static_selectorELNS0_4arch9wavefront6targetE0EEEvSL_
                                        ; -- End function
	.set _ZN7rocprim17ROCPRIM_400000_NS6detail17trampoline_kernelINS0_14default_configENS1_36segmented_radix_sort_config_selectorI6__halflEEZNS1_25segmented_radix_sort_implIS3_Lb0EPKS5_PS5_PKlPlN2at6native12_GLOBAL__N_18offset_tEEE10hipError_tPvRmT1_PNSt15iterator_traitsISL_E10value_typeET2_T3_PNSM_ISR_E10value_typeET4_jRbjT5_SX_jjP12ihipStream_tbEUlT_E2_NS1_11comp_targetILNS1_3genE9ELNS1_11target_archE1100ELNS1_3gpuE3ELNS1_3repE0EEENS1_30default_config_static_selectorELNS0_4arch9wavefront6targetE0EEEvSL_.num_vgpr, 0
	.set _ZN7rocprim17ROCPRIM_400000_NS6detail17trampoline_kernelINS0_14default_configENS1_36segmented_radix_sort_config_selectorI6__halflEEZNS1_25segmented_radix_sort_implIS3_Lb0EPKS5_PS5_PKlPlN2at6native12_GLOBAL__N_18offset_tEEE10hipError_tPvRmT1_PNSt15iterator_traitsISL_E10value_typeET2_T3_PNSM_ISR_E10value_typeET4_jRbjT5_SX_jjP12ihipStream_tbEUlT_E2_NS1_11comp_targetILNS1_3genE9ELNS1_11target_archE1100ELNS1_3gpuE3ELNS1_3repE0EEENS1_30default_config_static_selectorELNS0_4arch9wavefront6targetE0EEEvSL_.num_agpr, 0
	.set _ZN7rocprim17ROCPRIM_400000_NS6detail17trampoline_kernelINS0_14default_configENS1_36segmented_radix_sort_config_selectorI6__halflEEZNS1_25segmented_radix_sort_implIS3_Lb0EPKS5_PS5_PKlPlN2at6native12_GLOBAL__N_18offset_tEEE10hipError_tPvRmT1_PNSt15iterator_traitsISL_E10value_typeET2_T3_PNSM_ISR_E10value_typeET4_jRbjT5_SX_jjP12ihipStream_tbEUlT_E2_NS1_11comp_targetILNS1_3genE9ELNS1_11target_archE1100ELNS1_3gpuE3ELNS1_3repE0EEENS1_30default_config_static_selectorELNS0_4arch9wavefront6targetE0EEEvSL_.numbered_sgpr, 0
	.set _ZN7rocprim17ROCPRIM_400000_NS6detail17trampoline_kernelINS0_14default_configENS1_36segmented_radix_sort_config_selectorI6__halflEEZNS1_25segmented_radix_sort_implIS3_Lb0EPKS5_PS5_PKlPlN2at6native12_GLOBAL__N_18offset_tEEE10hipError_tPvRmT1_PNSt15iterator_traitsISL_E10value_typeET2_T3_PNSM_ISR_E10value_typeET4_jRbjT5_SX_jjP12ihipStream_tbEUlT_E2_NS1_11comp_targetILNS1_3genE9ELNS1_11target_archE1100ELNS1_3gpuE3ELNS1_3repE0EEENS1_30default_config_static_selectorELNS0_4arch9wavefront6targetE0EEEvSL_.num_named_barrier, 0
	.set _ZN7rocprim17ROCPRIM_400000_NS6detail17trampoline_kernelINS0_14default_configENS1_36segmented_radix_sort_config_selectorI6__halflEEZNS1_25segmented_radix_sort_implIS3_Lb0EPKS5_PS5_PKlPlN2at6native12_GLOBAL__N_18offset_tEEE10hipError_tPvRmT1_PNSt15iterator_traitsISL_E10value_typeET2_T3_PNSM_ISR_E10value_typeET4_jRbjT5_SX_jjP12ihipStream_tbEUlT_E2_NS1_11comp_targetILNS1_3genE9ELNS1_11target_archE1100ELNS1_3gpuE3ELNS1_3repE0EEENS1_30default_config_static_selectorELNS0_4arch9wavefront6targetE0EEEvSL_.private_seg_size, 0
	.set _ZN7rocprim17ROCPRIM_400000_NS6detail17trampoline_kernelINS0_14default_configENS1_36segmented_radix_sort_config_selectorI6__halflEEZNS1_25segmented_radix_sort_implIS3_Lb0EPKS5_PS5_PKlPlN2at6native12_GLOBAL__N_18offset_tEEE10hipError_tPvRmT1_PNSt15iterator_traitsISL_E10value_typeET2_T3_PNSM_ISR_E10value_typeET4_jRbjT5_SX_jjP12ihipStream_tbEUlT_E2_NS1_11comp_targetILNS1_3genE9ELNS1_11target_archE1100ELNS1_3gpuE3ELNS1_3repE0EEENS1_30default_config_static_selectorELNS0_4arch9wavefront6targetE0EEEvSL_.uses_vcc, 0
	.set _ZN7rocprim17ROCPRIM_400000_NS6detail17trampoline_kernelINS0_14default_configENS1_36segmented_radix_sort_config_selectorI6__halflEEZNS1_25segmented_radix_sort_implIS3_Lb0EPKS5_PS5_PKlPlN2at6native12_GLOBAL__N_18offset_tEEE10hipError_tPvRmT1_PNSt15iterator_traitsISL_E10value_typeET2_T3_PNSM_ISR_E10value_typeET4_jRbjT5_SX_jjP12ihipStream_tbEUlT_E2_NS1_11comp_targetILNS1_3genE9ELNS1_11target_archE1100ELNS1_3gpuE3ELNS1_3repE0EEENS1_30default_config_static_selectorELNS0_4arch9wavefront6targetE0EEEvSL_.uses_flat_scratch, 0
	.set _ZN7rocprim17ROCPRIM_400000_NS6detail17trampoline_kernelINS0_14default_configENS1_36segmented_radix_sort_config_selectorI6__halflEEZNS1_25segmented_radix_sort_implIS3_Lb0EPKS5_PS5_PKlPlN2at6native12_GLOBAL__N_18offset_tEEE10hipError_tPvRmT1_PNSt15iterator_traitsISL_E10value_typeET2_T3_PNSM_ISR_E10value_typeET4_jRbjT5_SX_jjP12ihipStream_tbEUlT_E2_NS1_11comp_targetILNS1_3genE9ELNS1_11target_archE1100ELNS1_3gpuE3ELNS1_3repE0EEENS1_30default_config_static_selectorELNS0_4arch9wavefront6targetE0EEEvSL_.has_dyn_sized_stack, 0
	.set _ZN7rocprim17ROCPRIM_400000_NS6detail17trampoline_kernelINS0_14default_configENS1_36segmented_radix_sort_config_selectorI6__halflEEZNS1_25segmented_radix_sort_implIS3_Lb0EPKS5_PS5_PKlPlN2at6native12_GLOBAL__N_18offset_tEEE10hipError_tPvRmT1_PNSt15iterator_traitsISL_E10value_typeET2_T3_PNSM_ISR_E10value_typeET4_jRbjT5_SX_jjP12ihipStream_tbEUlT_E2_NS1_11comp_targetILNS1_3genE9ELNS1_11target_archE1100ELNS1_3gpuE3ELNS1_3repE0EEENS1_30default_config_static_selectorELNS0_4arch9wavefront6targetE0EEEvSL_.has_recursion, 0
	.set _ZN7rocprim17ROCPRIM_400000_NS6detail17trampoline_kernelINS0_14default_configENS1_36segmented_radix_sort_config_selectorI6__halflEEZNS1_25segmented_radix_sort_implIS3_Lb0EPKS5_PS5_PKlPlN2at6native12_GLOBAL__N_18offset_tEEE10hipError_tPvRmT1_PNSt15iterator_traitsISL_E10value_typeET2_T3_PNSM_ISR_E10value_typeET4_jRbjT5_SX_jjP12ihipStream_tbEUlT_E2_NS1_11comp_targetILNS1_3genE9ELNS1_11target_archE1100ELNS1_3gpuE3ELNS1_3repE0EEENS1_30default_config_static_selectorELNS0_4arch9wavefront6targetE0EEEvSL_.has_indirect_call, 0
	.section	.AMDGPU.csdata,"",@progbits
; Kernel info:
; codeLenInByte = 0
; TotalNumSgprs: 0
; NumVgprs: 0
; ScratchSize: 0
; MemoryBound: 0
; FloatMode: 240
; IeeeMode: 1
; LDSByteSize: 0 bytes/workgroup (compile time only)
; SGPRBlocks: 0
; VGPRBlocks: 0
; NumSGPRsForWavesPerEU: 1
; NumVGPRsForWavesPerEU: 1
; NamedBarCnt: 0
; Occupancy: 16
; WaveLimiterHint : 0
; COMPUTE_PGM_RSRC2:SCRATCH_EN: 0
; COMPUTE_PGM_RSRC2:USER_SGPR: 2
; COMPUTE_PGM_RSRC2:TRAP_HANDLER: 0
; COMPUTE_PGM_RSRC2:TGID_X_EN: 1
; COMPUTE_PGM_RSRC2:TGID_Y_EN: 0
; COMPUTE_PGM_RSRC2:TGID_Z_EN: 0
; COMPUTE_PGM_RSRC2:TIDIG_COMP_CNT: 0
	.section	.text._ZN7rocprim17ROCPRIM_400000_NS6detail17trampoline_kernelINS0_14default_configENS1_36segmented_radix_sort_config_selectorI6__halflEEZNS1_25segmented_radix_sort_implIS3_Lb0EPKS5_PS5_PKlPlN2at6native12_GLOBAL__N_18offset_tEEE10hipError_tPvRmT1_PNSt15iterator_traitsISL_E10value_typeET2_T3_PNSM_ISR_E10value_typeET4_jRbjT5_SX_jjP12ihipStream_tbEUlT_E2_NS1_11comp_targetILNS1_3genE8ELNS1_11target_archE1030ELNS1_3gpuE2ELNS1_3repE0EEENS1_30default_config_static_selectorELNS0_4arch9wavefront6targetE0EEEvSL_,"axG",@progbits,_ZN7rocprim17ROCPRIM_400000_NS6detail17trampoline_kernelINS0_14default_configENS1_36segmented_radix_sort_config_selectorI6__halflEEZNS1_25segmented_radix_sort_implIS3_Lb0EPKS5_PS5_PKlPlN2at6native12_GLOBAL__N_18offset_tEEE10hipError_tPvRmT1_PNSt15iterator_traitsISL_E10value_typeET2_T3_PNSM_ISR_E10value_typeET4_jRbjT5_SX_jjP12ihipStream_tbEUlT_E2_NS1_11comp_targetILNS1_3genE8ELNS1_11target_archE1030ELNS1_3gpuE2ELNS1_3repE0EEENS1_30default_config_static_selectorELNS0_4arch9wavefront6targetE0EEEvSL_,comdat
	.globl	_ZN7rocprim17ROCPRIM_400000_NS6detail17trampoline_kernelINS0_14default_configENS1_36segmented_radix_sort_config_selectorI6__halflEEZNS1_25segmented_radix_sort_implIS3_Lb0EPKS5_PS5_PKlPlN2at6native12_GLOBAL__N_18offset_tEEE10hipError_tPvRmT1_PNSt15iterator_traitsISL_E10value_typeET2_T3_PNSM_ISR_E10value_typeET4_jRbjT5_SX_jjP12ihipStream_tbEUlT_E2_NS1_11comp_targetILNS1_3genE8ELNS1_11target_archE1030ELNS1_3gpuE2ELNS1_3repE0EEENS1_30default_config_static_selectorELNS0_4arch9wavefront6targetE0EEEvSL_ ; -- Begin function _ZN7rocprim17ROCPRIM_400000_NS6detail17trampoline_kernelINS0_14default_configENS1_36segmented_radix_sort_config_selectorI6__halflEEZNS1_25segmented_radix_sort_implIS3_Lb0EPKS5_PS5_PKlPlN2at6native12_GLOBAL__N_18offset_tEEE10hipError_tPvRmT1_PNSt15iterator_traitsISL_E10value_typeET2_T3_PNSM_ISR_E10value_typeET4_jRbjT5_SX_jjP12ihipStream_tbEUlT_E2_NS1_11comp_targetILNS1_3genE8ELNS1_11target_archE1030ELNS1_3gpuE2ELNS1_3repE0EEENS1_30default_config_static_selectorELNS0_4arch9wavefront6targetE0EEEvSL_
	.p2align	8
	.type	_ZN7rocprim17ROCPRIM_400000_NS6detail17trampoline_kernelINS0_14default_configENS1_36segmented_radix_sort_config_selectorI6__halflEEZNS1_25segmented_radix_sort_implIS3_Lb0EPKS5_PS5_PKlPlN2at6native12_GLOBAL__N_18offset_tEEE10hipError_tPvRmT1_PNSt15iterator_traitsISL_E10value_typeET2_T3_PNSM_ISR_E10value_typeET4_jRbjT5_SX_jjP12ihipStream_tbEUlT_E2_NS1_11comp_targetILNS1_3genE8ELNS1_11target_archE1030ELNS1_3gpuE2ELNS1_3repE0EEENS1_30default_config_static_selectorELNS0_4arch9wavefront6targetE0EEEvSL_,@function
_ZN7rocprim17ROCPRIM_400000_NS6detail17trampoline_kernelINS0_14default_configENS1_36segmented_radix_sort_config_selectorI6__halflEEZNS1_25segmented_radix_sort_implIS3_Lb0EPKS5_PS5_PKlPlN2at6native12_GLOBAL__N_18offset_tEEE10hipError_tPvRmT1_PNSt15iterator_traitsISL_E10value_typeET2_T3_PNSM_ISR_E10value_typeET4_jRbjT5_SX_jjP12ihipStream_tbEUlT_E2_NS1_11comp_targetILNS1_3genE8ELNS1_11target_archE1030ELNS1_3gpuE2ELNS1_3repE0EEENS1_30default_config_static_selectorELNS0_4arch9wavefront6targetE0EEEvSL_: ; @_ZN7rocprim17ROCPRIM_400000_NS6detail17trampoline_kernelINS0_14default_configENS1_36segmented_radix_sort_config_selectorI6__halflEEZNS1_25segmented_radix_sort_implIS3_Lb0EPKS5_PS5_PKlPlN2at6native12_GLOBAL__N_18offset_tEEE10hipError_tPvRmT1_PNSt15iterator_traitsISL_E10value_typeET2_T3_PNSM_ISR_E10value_typeET4_jRbjT5_SX_jjP12ihipStream_tbEUlT_E2_NS1_11comp_targetILNS1_3genE8ELNS1_11target_archE1030ELNS1_3gpuE2ELNS1_3repE0EEENS1_30default_config_static_selectorELNS0_4arch9wavefront6targetE0EEEvSL_
; %bb.0:
	.section	.rodata,"a",@progbits
	.p2align	6, 0x0
	.amdhsa_kernel _ZN7rocprim17ROCPRIM_400000_NS6detail17trampoline_kernelINS0_14default_configENS1_36segmented_radix_sort_config_selectorI6__halflEEZNS1_25segmented_radix_sort_implIS3_Lb0EPKS5_PS5_PKlPlN2at6native12_GLOBAL__N_18offset_tEEE10hipError_tPvRmT1_PNSt15iterator_traitsISL_E10value_typeET2_T3_PNSM_ISR_E10value_typeET4_jRbjT5_SX_jjP12ihipStream_tbEUlT_E2_NS1_11comp_targetILNS1_3genE8ELNS1_11target_archE1030ELNS1_3gpuE2ELNS1_3repE0EEENS1_30default_config_static_selectorELNS0_4arch9wavefront6targetE0EEEvSL_
		.amdhsa_group_segment_fixed_size 0
		.amdhsa_private_segment_fixed_size 0
		.amdhsa_kernarg_size 80
		.amdhsa_user_sgpr_count 2
		.amdhsa_user_sgpr_dispatch_ptr 0
		.amdhsa_user_sgpr_queue_ptr 0
		.amdhsa_user_sgpr_kernarg_segment_ptr 1
		.amdhsa_user_sgpr_dispatch_id 0
		.amdhsa_user_sgpr_kernarg_preload_length 0
		.amdhsa_user_sgpr_kernarg_preload_offset 0
		.amdhsa_user_sgpr_private_segment_size 0
		.amdhsa_wavefront_size32 1
		.amdhsa_uses_dynamic_stack 0
		.amdhsa_enable_private_segment 0
		.amdhsa_system_sgpr_workgroup_id_x 1
		.amdhsa_system_sgpr_workgroup_id_y 0
		.amdhsa_system_sgpr_workgroup_id_z 0
		.amdhsa_system_sgpr_workgroup_info 0
		.amdhsa_system_vgpr_workitem_id 0
		.amdhsa_next_free_vgpr 1
		.amdhsa_next_free_sgpr 1
		.amdhsa_named_barrier_count 0
		.amdhsa_reserve_vcc 0
		.amdhsa_float_round_mode_32 0
		.amdhsa_float_round_mode_16_64 0
		.amdhsa_float_denorm_mode_32 3
		.amdhsa_float_denorm_mode_16_64 3
		.amdhsa_fp16_overflow 0
		.amdhsa_memory_ordered 1
		.amdhsa_forward_progress 1
		.amdhsa_inst_pref_size 0
		.amdhsa_round_robin_scheduling 0
		.amdhsa_exception_fp_ieee_invalid_op 0
		.amdhsa_exception_fp_denorm_src 0
		.amdhsa_exception_fp_ieee_div_zero 0
		.amdhsa_exception_fp_ieee_overflow 0
		.amdhsa_exception_fp_ieee_underflow 0
		.amdhsa_exception_fp_ieee_inexact 0
		.amdhsa_exception_int_div_zero 0
	.end_amdhsa_kernel
	.section	.text._ZN7rocprim17ROCPRIM_400000_NS6detail17trampoline_kernelINS0_14default_configENS1_36segmented_radix_sort_config_selectorI6__halflEEZNS1_25segmented_radix_sort_implIS3_Lb0EPKS5_PS5_PKlPlN2at6native12_GLOBAL__N_18offset_tEEE10hipError_tPvRmT1_PNSt15iterator_traitsISL_E10value_typeET2_T3_PNSM_ISR_E10value_typeET4_jRbjT5_SX_jjP12ihipStream_tbEUlT_E2_NS1_11comp_targetILNS1_3genE8ELNS1_11target_archE1030ELNS1_3gpuE2ELNS1_3repE0EEENS1_30default_config_static_selectorELNS0_4arch9wavefront6targetE0EEEvSL_,"axG",@progbits,_ZN7rocprim17ROCPRIM_400000_NS6detail17trampoline_kernelINS0_14default_configENS1_36segmented_radix_sort_config_selectorI6__halflEEZNS1_25segmented_radix_sort_implIS3_Lb0EPKS5_PS5_PKlPlN2at6native12_GLOBAL__N_18offset_tEEE10hipError_tPvRmT1_PNSt15iterator_traitsISL_E10value_typeET2_T3_PNSM_ISR_E10value_typeET4_jRbjT5_SX_jjP12ihipStream_tbEUlT_E2_NS1_11comp_targetILNS1_3genE8ELNS1_11target_archE1030ELNS1_3gpuE2ELNS1_3repE0EEENS1_30default_config_static_selectorELNS0_4arch9wavefront6targetE0EEEvSL_,comdat
.Lfunc_end1870:
	.size	_ZN7rocprim17ROCPRIM_400000_NS6detail17trampoline_kernelINS0_14default_configENS1_36segmented_radix_sort_config_selectorI6__halflEEZNS1_25segmented_radix_sort_implIS3_Lb0EPKS5_PS5_PKlPlN2at6native12_GLOBAL__N_18offset_tEEE10hipError_tPvRmT1_PNSt15iterator_traitsISL_E10value_typeET2_T3_PNSM_ISR_E10value_typeET4_jRbjT5_SX_jjP12ihipStream_tbEUlT_E2_NS1_11comp_targetILNS1_3genE8ELNS1_11target_archE1030ELNS1_3gpuE2ELNS1_3repE0EEENS1_30default_config_static_selectorELNS0_4arch9wavefront6targetE0EEEvSL_, .Lfunc_end1870-_ZN7rocprim17ROCPRIM_400000_NS6detail17trampoline_kernelINS0_14default_configENS1_36segmented_radix_sort_config_selectorI6__halflEEZNS1_25segmented_radix_sort_implIS3_Lb0EPKS5_PS5_PKlPlN2at6native12_GLOBAL__N_18offset_tEEE10hipError_tPvRmT1_PNSt15iterator_traitsISL_E10value_typeET2_T3_PNSM_ISR_E10value_typeET4_jRbjT5_SX_jjP12ihipStream_tbEUlT_E2_NS1_11comp_targetILNS1_3genE8ELNS1_11target_archE1030ELNS1_3gpuE2ELNS1_3repE0EEENS1_30default_config_static_selectorELNS0_4arch9wavefront6targetE0EEEvSL_
                                        ; -- End function
	.set _ZN7rocprim17ROCPRIM_400000_NS6detail17trampoline_kernelINS0_14default_configENS1_36segmented_radix_sort_config_selectorI6__halflEEZNS1_25segmented_radix_sort_implIS3_Lb0EPKS5_PS5_PKlPlN2at6native12_GLOBAL__N_18offset_tEEE10hipError_tPvRmT1_PNSt15iterator_traitsISL_E10value_typeET2_T3_PNSM_ISR_E10value_typeET4_jRbjT5_SX_jjP12ihipStream_tbEUlT_E2_NS1_11comp_targetILNS1_3genE8ELNS1_11target_archE1030ELNS1_3gpuE2ELNS1_3repE0EEENS1_30default_config_static_selectorELNS0_4arch9wavefront6targetE0EEEvSL_.num_vgpr, 0
	.set _ZN7rocprim17ROCPRIM_400000_NS6detail17trampoline_kernelINS0_14default_configENS1_36segmented_radix_sort_config_selectorI6__halflEEZNS1_25segmented_radix_sort_implIS3_Lb0EPKS5_PS5_PKlPlN2at6native12_GLOBAL__N_18offset_tEEE10hipError_tPvRmT1_PNSt15iterator_traitsISL_E10value_typeET2_T3_PNSM_ISR_E10value_typeET4_jRbjT5_SX_jjP12ihipStream_tbEUlT_E2_NS1_11comp_targetILNS1_3genE8ELNS1_11target_archE1030ELNS1_3gpuE2ELNS1_3repE0EEENS1_30default_config_static_selectorELNS0_4arch9wavefront6targetE0EEEvSL_.num_agpr, 0
	.set _ZN7rocprim17ROCPRIM_400000_NS6detail17trampoline_kernelINS0_14default_configENS1_36segmented_radix_sort_config_selectorI6__halflEEZNS1_25segmented_radix_sort_implIS3_Lb0EPKS5_PS5_PKlPlN2at6native12_GLOBAL__N_18offset_tEEE10hipError_tPvRmT1_PNSt15iterator_traitsISL_E10value_typeET2_T3_PNSM_ISR_E10value_typeET4_jRbjT5_SX_jjP12ihipStream_tbEUlT_E2_NS1_11comp_targetILNS1_3genE8ELNS1_11target_archE1030ELNS1_3gpuE2ELNS1_3repE0EEENS1_30default_config_static_selectorELNS0_4arch9wavefront6targetE0EEEvSL_.numbered_sgpr, 0
	.set _ZN7rocprim17ROCPRIM_400000_NS6detail17trampoline_kernelINS0_14default_configENS1_36segmented_radix_sort_config_selectorI6__halflEEZNS1_25segmented_radix_sort_implIS3_Lb0EPKS5_PS5_PKlPlN2at6native12_GLOBAL__N_18offset_tEEE10hipError_tPvRmT1_PNSt15iterator_traitsISL_E10value_typeET2_T3_PNSM_ISR_E10value_typeET4_jRbjT5_SX_jjP12ihipStream_tbEUlT_E2_NS1_11comp_targetILNS1_3genE8ELNS1_11target_archE1030ELNS1_3gpuE2ELNS1_3repE0EEENS1_30default_config_static_selectorELNS0_4arch9wavefront6targetE0EEEvSL_.num_named_barrier, 0
	.set _ZN7rocprim17ROCPRIM_400000_NS6detail17trampoline_kernelINS0_14default_configENS1_36segmented_radix_sort_config_selectorI6__halflEEZNS1_25segmented_radix_sort_implIS3_Lb0EPKS5_PS5_PKlPlN2at6native12_GLOBAL__N_18offset_tEEE10hipError_tPvRmT1_PNSt15iterator_traitsISL_E10value_typeET2_T3_PNSM_ISR_E10value_typeET4_jRbjT5_SX_jjP12ihipStream_tbEUlT_E2_NS1_11comp_targetILNS1_3genE8ELNS1_11target_archE1030ELNS1_3gpuE2ELNS1_3repE0EEENS1_30default_config_static_selectorELNS0_4arch9wavefront6targetE0EEEvSL_.private_seg_size, 0
	.set _ZN7rocprim17ROCPRIM_400000_NS6detail17trampoline_kernelINS0_14default_configENS1_36segmented_radix_sort_config_selectorI6__halflEEZNS1_25segmented_radix_sort_implIS3_Lb0EPKS5_PS5_PKlPlN2at6native12_GLOBAL__N_18offset_tEEE10hipError_tPvRmT1_PNSt15iterator_traitsISL_E10value_typeET2_T3_PNSM_ISR_E10value_typeET4_jRbjT5_SX_jjP12ihipStream_tbEUlT_E2_NS1_11comp_targetILNS1_3genE8ELNS1_11target_archE1030ELNS1_3gpuE2ELNS1_3repE0EEENS1_30default_config_static_selectorELNS0_4arch9wavefront6targetE0EEEvSL_.uses_vcc, 0
	.set _ZN7rocprim17ROCPRIM_400000_NS6detail17trampoline_kernelINS0_14default_configENS1_36segmented_radix_sort_config_selectorI6__halflEEZNS1_25segmented_radix_sort_implIS3_Lb0EPKS5_PS5_PKlPlN2at6native12_GLOBAL__N_18offset_tEEE10hipError_tPvRmT1_PNSt15iterator_traitsISL_E10value_typeET2_T3_PNSM_ISR_E10value_typeET4_jRbjT5_SX_jjP12ihipStream_tbEUlT_E2_NS1_11comp_targetILNS1_3genE8ELNS1_11target_archE1030ELNS1_3gpuE2ELNS1_3repE0EEENS1_30default_config_static_selectorELNS0_4arch9wavefront6targetE0EEEvSL_.uses_flat_scratch, 0
	.set _ZN7rocprim17ROCPRIM_400000_NS6detail17trampoline_kernelINS0_14default_configENS1_36segmented_radix_sort_config_selectorI6__halflEEZNS1_25segmented_radix_sort_implIS3_Lb0EPKS5_PS5_PKlPlN2at6native12_GLOBAL__N_18offset_tEEE10hipError_tPvRmT1_PNSt15iterator_traitsISL_E10value_typeET2_T3_PNSM_ISR_E10value_typeET4_jRbjT5_SX_jjP12ihipStream_tbEUlT_E2_NS1_11comp_targetILNS1_3genE8ELNS1_11target_archE1030ELNS1_3gpuE2ELNS1_3repE0EEENS1_30default_config_static_selectorELNS0_4arch9wavefront6targetE0EEEvSL_.has_dyn_sized_stack, 0
	.set _ZN7rocprim17ROCPRIM_400000_NS6detail17trampoline_kernelINS0_14default_configENS1_36segmented_radix_sort_config_selectorI6__halflEEZNS1_25segmented_radix_sort_implIS3_Lb0EPKS5_PS5_PKlPlN2at6native12_GLOBAL__N_18offset_tEEE10hipError_tPvRmT1_PNSt15iterator_traitsISL_E10value_typeET2_T3_PNSM_ISR_E10value_typeET4_jRbjT5_SX_jjP12ihipStream_tbEUlT_E2_NS1_11comp_targetILNS1_3genE8ELNS1_11target_archE1030ELNS1_3gpuE2ELNS1_3repE0EEENS1_30default_config_static_selectorELNS0_4arch9wavefront6targetE0EEEvSL_.has_recursion, 0
	.set _ZN7rocprim17ROCPRIM_400000_NS6detail17trampoline_kernelINS0_14default_configENS1_36segmented_radix_sort_config_selectorI6__halflEEZNS1_25segmented_radix_sort_implIS3_Lb0EPKS5_PS5_PKlPlN2at6native12_GLOBAL__N_18offset_tEEE10hipError_tPvRmT1_PNSt15iterator_traitsISL_E10value_typeET2_T3_PNSM_ISR_E10value_typeET4_jRbjT5_SX_jjP12ihipStream_tbEUlT_E2_NS1_11comp_targetILNS1_3genE8ELNS1_11target_archE1030ELNS1_3gpuE2ELNS1_3repE0EEENS1_30default_config_static_selectorELNS0_4arch9wavefront6targetE0EEEvSL_.has_indirect_call, 0
	.section	.AMDGPU.csdata,"",@progbits
; Kernel info:
; codeLenInByte = 0
; TotalNumSgprs: 0
; NumVgprs: 0
; ScratchSize: 0
; MemoryBound: 0
; FloatMode: 240
; IeeeMode: 1
; LDSByteSize: 0 bytes/workgroup (compile time only)
; SGPRBlocks: 0
; VGPRBlocks: 0
; NumSGPRsForWavesPerEU: 1
; NumVGPRsForWavesPerEU: 1
; NamedBarCnt: 0
; Occupancy: 16
; WaveLimiterHint : 0
; COMPUTE_PGM_RSRC2:SCRATCH_EN: 0
; COMPUTE_PGM_RSRC2:USER_SGPR: 2
; COMPUTE_PGM_RSRC2:TRAP_HANDLER: 0
; COMPUTE_PGM_RSRC2:TGID_X_EN: 1
; COMPUTE_PGM_RSRC2:TGID_Y_EN: 0
; COMPUTE_PGM_RSRC2:TGID_Z_EN: 0
; COMPUTE_PGM_RSRC2:TIDIG_COMP_CNT: 0
	.section	.text._ZN2at6native12_GLOBAL__N_123sort_postprocess_kernelIN3c108BFloat16EEEvPKT_PS5_PlPK15HIP_vector_typeIiLj2EEii,"axG",@progbits,_ZN2at6native12_GLOBAL__N_123sort_postprocess_kernelIN3c108BFloat16EEEvPKT_PS5_PlPK15HIP_vector_typeIiLj2EEii,comdat
	.globl	_ZN2at6native12_GLOBAL__N_123sort_postprocess_kernelIN3c108BFloat16EEEvPKT_PS5_PlPK15HIP_vector_typeIiLj2EEii ; -- Begin function _ZN2at6native12_GLOBAL__N_123sort_postprocess_kernelIN3c108BFloat16EEEvPKT_PS5_PlPK15HIP_vector_typeIiLj2EEii
	.p2align	8
	.type	_ZN2at6native12_GLOBAL__N_123sort_postprocess_kernelIN3c108BFloat16EEEvPKT_PS5_PlPK15HIP_vector_typeIiLj2EEii,@function
_ZN2at6native12_GLOBAL__N_123sort_postprocess_kernelIN3c108BFloat16EEEvPKT_PS5_PlPK15HIP_vector_typeIiLj2EEii: ; @_ZN2at6native12_GLOBAL__N_123sort_postprocess_kernelIN3c108BFloat16EEEvPKT_PS5_PlPK15HIP_vector_typeIiLj2EEii
; %bb.0:
	s_clause 0x1
	s_load_b32 s2, s[0:1], 0x34
	s_load_b64 s[4:5], s[0:1], 0x20
	s_bfe_u32 s7, ttmp6, 0x4000c
	s_and_b32 s6, ttmp6, 15
	s_add_co_i32 s7, s7, 1
	s_getreg_b32 s8, hwreg(HW_REG_IB_STS2, 6, 4)
	s_mul_i32 s7, ttmp9, s7
	s_mov_b32 s3, 0
	s_add_co_i32 s6, s6, s7
	s_cmp_eq_u32 s8, 0
	v_mov_b32_e32 v1, 0
	s_mov_b32 s19, s3
	s_cselect_b32 s18, ttmp9, s6
	s_mov_b32 s17, s3
	s_wait_kmcnt 0x0
	s_and_b32 s16, s2, 0xffff
	s_mul_i32 s14, s5, s4
	s_mul_u64 s[12:13], s[16:17], s[18:19]
	s_ashr_i32 s15, s14, 31
	v_add_nc_u64_e32 v[2:3], s[12:13], v[0:1]
	s_mov_b32 s2, exec_lo
	s_delay_alu instid0(VALU_DEP_1)
	v_cmpx_gt_i64_e64 s[14:15], v[2:3]
	s_cbranch_execz .LBB1871_3
; %bb.1:
	s_abs_i32 s17, s5
	s_add_nc_u64 s[20:21], s[0:1], 40
	s_cvt_f32_u32 s2, s17
	s_sub_co_i32 s19, 0, s17
	s_mul_i32 s18, s18, s16
	s_delay_alu instid0(SALU_CYCLE_1)
	v_rcp_iflag_f32_e32 v2, s2
	s_load_b32 s2, s[20:21], 0x0
	s_load_b256 s[4:11], s[0:1], 0x0
	s_wait_xcnt 0x0
	s_mov_b32 s1, s3
	v_nop
	s_delay_alu instid0(TRANS32_DEP_1) | instskip(SKIP_2) | instid1(SALU_CYCLE_3)
	v_readfirstlane_b32 s0, v2
	v_mov_b64_e32 v[2:3], v[0:1]
	s_mul_f32 s0, s0, 0x4f7ffffe
	s_cvt_u32_f32 s0, s0
	s_wait_kmcnt 0x0
	s_mul_i32 s2, s2, s16
	s_delay_alu instid0(SALU_CYCLE_1) | instskip(SKIP_2) | instid1(SALU_CYCLE_1)
	s_mul_i32 s19, s19, s0
	s_mov_b32 s16, s3
	s_mul_hi_u32 s19, s0, s19
	s_add_co_i32 s0, s0, s19
.LBB1871_2:                             ; =>This Inner Loop Header: Depth=1
	v_add_nc_u32_e32 v6, s18, v2
	v_add_nc_u64_e32 v[2:3], s[2:3], v[2:3]
	s_delay_alu instid0(VALU_DEP_2) | instskip(NEXT) | instid1(VALU_DEP_1)
	v_sub_nc_u32_e32 v0, 0, v6
	v_max_i32_e32 v0, v6, v0
	s_delay_alu instid0(VALU_DEP_1) | instskip(NEXT) | instid1(VALU_DEP_1)
	v_mul_u64_e32 v[4:5], s[0:1], v[0:1]
	v_mul_lo_u32 v4, v5, s17
	s_delay_alu instid0(VALU_DEP_1) | instskip(NEXT) | instid1(VALU_DEP_1)
	v_dual_sub_nc_u32 v0, v0, v4 :: v_dual_ashrrev_i32 v7, 31, v6
	v_subrev_nc_u32_e32 v4, s17, v0
	v_cmp_le_u32_e32 vcc_lo, s17, v0
	s_delay_alu instid0(VALU_DEP_2) | instskip(NEXT) | instid1(VALU_DEP_1)
	v_cndmask_b32_e32 v0, v0, v4, vcc_lo
	v_subrev_nc_u32_e32 v4, s17, v0
	v_cmp_le_u32_e32 vcc_lo, s17, v0
	s_delay_alu instid0(VALU_DEP_2) | instskip(NEXT) | instid1(VALU_DEP_1)
	v_dual_cndmask_b32 v0, v0, v4, vcc_lo :: v_dual_add_nc_u32 v4, v6, v7
	v_xor_b32_e32 v0, v0, v7
	s_delay_alu instid0(VALU_DEP_1) | instskip(NEXT) | instid1(VALU_DEP_1)
	v_sub_nc_u32_e32 v4, v4, v0
	v_dual_sub_nc_u32 v6, v0, v7 :: v_dual_ashrrev_i32 v5, 31, v4
	s_delay_alu instid0(VALU_DEP_1) | instskip(NEXT) | instid1(VALU_DEP_2)
	v_ashrrev_i32_e32 v7, 31, v6
	v_lshlrev_b64_e32 v[8:9], 3, v[4:5]
	s_delay_alu instid0(VALU_DEP_2) | instskip(SKIP_1) | instid1(VALU_DEP_3)
	v_lshlrev_b64_e32 v[10:11], 3, v[6:7]
	v_lshlrev_b64_e32 v[4:5], 1, v[4:5]
	v_add_nc_u64_e32 v[12:13], s[10:11], v[8:9]
	v_add_nc_u64_e32 v[8:9], s[8:9], v[8:9]
	s_delay_alu instid0(VALU_DEP_3) | instskip(SKIP_1) | instid1(VALU_DEP_4)
	v_add_nc_u64_e32 v[14:15], s[4:5], v[4:5]
	v_add_nc_u64_e32 v[4:5], s[6:7], v[4:5]
	v_add_nc_u64_e32 v[12:13], v[12:13], v[10:11]
	s_delay_alu instid0(VALU_DEP_4) | instskip(NEXT) | instid1(VALU_DEP_3)
	v_add_nc_u64_e32 v[8:9], v[8:9], v[10:11]
	v_lshl_add_u64 v[4:5], v[6:7], 1, v[4:5]
	global_load_b32 v12, v[12:13], off offset:4
	s_wait_loadcnt 0x0
	s_wait_xcnt 0x0
	v_ashrrev_i32_e32 v13, 31, v12
	s_delay_alu instid0(VALU_DEP_1)
	v_lshl_add_u64 v[14:15], v[12:13], 1, v[14:15]
	global_load_u16 v0, v[14:15], off
	s_wait_xcnt 0x0
	v_add_nc_u64_e32 v[14:15], s[12:13], v[2:3]
	global_store_b64 v[8:9], v[12:13], off
	s_wait_loadcnt 0x0
	global_store_b16 v[4:5], v0, off
	v_cmp_le_i64_e32 vcc_lo, s[14:15], v[14:15]
	s_or_b32 s16, vcc_lo, s16
	s_wait_xcnt 0x0
	s_and_not1_b32 exec_lo, exec_lo, s16
	s_cbranch_execnz .LBB1871_2
.LBB1871_3:
	s_endpgm
	.section	.rodata,"a",@progbits
	.p2align	6, 0x0
	.amdhsa_kernel _ZN2at6native12_GLOBAL__N_123sort_postprocess_kernelIN3c108BFloat16EEEvPKT_PS5_PlPK15HIP_vector_typeIiLj2EEii
		.amdhsa_group_segment_fixed_size 0
		.amdhsa_private_segment_fixed_size 0
		.amdhsa_kernarg_size 296
		.amdhsa_user_sgpr_count 2
		.amdhsa_user_sgpr_dispatch_ptr 0
		.amdhsa_user_sgpr_queue_ptr 0
		.amdhsa_user_sgpr_kernarg_segment_ptr 1
		.amdhsa_user_sgpr_dispatch_id 0
		.amdhsa_user_sgpr_kernarg_preload_length 0
		.amdhsa_user_sgpr_kernarg_preload_offset 0
		.amdhsa_user_sgpr_private_segment_size 0
		.amdhsa_wavefront_size32 1
		.amdhsa_uses_dynamic_stack 0
		.amdhsa_enable_private_segment 0
		.amdhsa_system_sgpr_workgroup_id_x 1
		.amdhsa_system_sgpr_workgroup_id_y 0
		.amdhsa_system_sgpr_workgroup_id_z 0
		.amdhsa_system_sgpr_workgroup_info 0
		.amdhsa_system_vgpr_workitem_id 0
		.amdhsa_next_free_vgpr 16
		.amdhsa_next_free_sgpr 22
		.amdhsa_named_barrier_count 0
		.amdhsa_reserve_vcc 1
		.amdhsa_float_round_mode_32 0
		.amdhsa_float_round_mode_16_64 0
		.amdhsa_float_denorm_mode_32 3
		.amdhsa_float_denorm_mode_16_64 3
		.amdhsa_fp16_overflow 0
		.amdhsa_memory_ordered 1
		.amdhsa_forward_progress 1
		.amdhsa_inst_pref_size 5
		.amdhsa_round_robin_scheduling 0
		.amdhsa_exception_fp_ieee_invalid_op 0
		.amdhsa_exception_fp_denorm_src 0
		.amdhsa_exception_fp_ieee_div_zero 0
		.amdhsa_exception_fp_ieee_overflow 0
		.amdhsa_exception_fp_ieee_underflow 0
		.amdhsa_exception_fp_ieee_inexact 0
		.amdhsa_exception_int_div_zero 0
	.end_amdhsa_kernel
	.section	.text._ZN2at6native12_GLOBAL__N_123sort_postprocess_kernelIN3c108BFloat16EEEvPKT_PS5_PlPK15HIP_vector_typeIiLj2EEii,"axG",@progbits,_ZN2at6native12_GLOBAL__N_123sort_postprocess_kernelIN3c108BFloat16EEEvPKT_PS5_PlPK15HIP_vector_typeIiLj2EEii,comdat
.Lfunc_end1871:
	.size	_ZN2at6native12_GLOBAL__N_123sort_postprocess_kernelIN3c108BFloat16EEEvPKT_PS5_PlPK15HIP_vector_typeIiLj2EEii, .Lfunc_end1871-_ZN2at6native12_GLOBAL__N_123sort_postprocess_kernelIN3c108BFloat16EEEvPKT_PS5_PlPK15HIP_vector_typeIiLj2EEii
                                        ; -- End function
	.set _ZN2at6native12_GLOBAL__N_123sort_postprocess_kernelIN3c108BFloat16EEEvPKT_PS5_PlPK15HIP_vector_typeIiLj2EEii.num_vgpr, 16
	.set _ZN2at6native12_GLOBAL__N_123sort_postprocess_kernelIN3c108BFloat16EEEvPKT_PS5_PlPK15HIP_vector_typeIiLj2EEii.num_agpr, 0
	.set _ZN2at6native12_GLOBAL__N_123sort_postprocess_kernelIN3c108BFloat16EEEvPKT_PS5_PlPK15HIP_vector_typeIiLj2EEii.numbered_sgpr, 22
	.set _ZN2at6native12_GLOBAL__N_123sort_postprocess_kernelIN3c108BFloat16EEEvPKT_PS5_PlPK15HIP_vector_typeIiLj2EEii.num_named_barrier, 0
	.set _ZN2at6native12_GLOBAL__N_123sort_postprocess_kernelIN3c108BFloat16EEEvPKT_PS5_PlPK15HIP_vector_typeIiLj2EEii.private_seg_size, 0
	.set _ZN2at6native12_GLOBAL__N_123sort_postprocess_kernelIN3c108BFloat16EEEvPKT_PS5_PlPK15HIP_vector_typeIiLj2EEii.uses_vcc, 1
	.set _ZN2at6native12_GLOBAL__N_123sort_postprocess_kernelIN3c108BFloat16EEEvPKT_PS5_PlPK15HIP_vector_typeIiLj2EEii.uses_flat_scratch, 0
	.set _ZN2at6native12_GLOBAL__N_123sort_postprocess_kernelIN3c108BFloat16EEEvPKT_PS5_PlPK15HIP_vector_typeIiLj2EEii.has_dyn_sized_stack, 0
	.set _ZN2at6native12_GLOBAL__N_123sort_postprocess_kernelIN3c108BFloat16EEEvPKT_PS5_PlPK15HIP_vector_typeIiLj2EEii.has_recursion, 0
	.set _ZN2at6native12_GLOBAL__N_123sort_postprocess_kernelIN3c108BFloat16EEEvPKT_PS5_PlPK15HIP_vector_typeIiLj2EEii.has_indirect_call, 0
	.section	.AMDGPU.csdata,"",@progbits
; Kernel info:
; codeLenInByte = 516
; TotalNumSgprs: 24
; NumVgprs: 16
; ScratchSize: 0
; MemoryBound: 0
; FloatMode: 240
; IeeeMode: 1
; LDSByteSize: 0 bytes/workgroup (compile time only)
; SGPRBlocks: 0
; VGPRBlocks: 0
; NumSGPRsForWavesPerEU: 24
; NumVGPRsForWavesPerEU: 16
; NamedBarCnt: 0
; Occupancy: 16
; WaveLimiterHint : 1
; COMPUTE_PGM_RSRC2:SCRATCH_EN: 0
; COMPUTE_PGM_RSRC2:USER_SGPR: 2
; COMPUTE_PGM_RSRC2:TRAP_HANDLER: 0
; COMPUTE_PGM_RSRC2:TGID_X_EN: 1
; COMPUTE_PGM_RSRC2:TGID_Y_EN: 0
; COMPUTE_PGM_RSRC2:TGID_Z_EN: 0
; COMPUTE_PGM_RSRC2:TIDIG_COMP_CNT: 0
	.section	.text._ZN7rocprim17ROCPRIM_400000_NS6detail17trampoline_kernelINS0_13select_configILj256ELj13ELNS0_17block_load_methodE3ELS4_3ELS4_3ELNS0_20block_scan_algorithmE0ELj4294967295EEENS1_25partition_config_selectorILNS1_17partition_subalgoE4EjNS0_10empty_typeEbEEZZNS1_14partition_implILS8_4ELb0ES6_15HIP_vector_typeIjLj2EENS0_17counting_iteratorIjlEEPS9_SG_NS0_5tupleIJPjSI_NS0_16reverse_iteratorISI_EEEEENSH_IJSG_SG_SG_EEES9_SI_JZNS1_25segmented_radix_sort_implINS0_14default_configELb1EPK12hip_bfloat16PSP_PKlPlN2at6native12_GLOBAL__N_18offset_tEEE10hipError_tPvRmT1_PNSt15iterator_traitsIS13_E10value_typeET2_T3_PNS14_IS19_E10value_typeET4_jRbjT5_S1F_jjP12ihipStream_tbEUljE_ZNSN_ISO_Lb1ESR_SS_SU_SV_SZ_EES10_S11_S12_S13_S17_S18_S19_S1C_S1D_jS1E_jS1F_S1F_jjS1H_bEUljE0_EEES10_S11_S12_S19_S1D_S1F_T6_T7_T9_mT8_S1H_bDpT10_ENKUlT_T0_E_clISt17integral_constantIbLb0EES1V_EEDaS1Q_S1R_EUlS1Q_E_NS1_11comp_targetILNS1_3genE0ELNS1_11target_archE4294967295ELNS1_3gpuE0ELNS1_3repE0EEENS1_30default_config_static_selectorELNS0_4arch9wavefront6targetE0EEEvS13_,"axG",@progbits,_ZN7rocprim17ROCPRIM_400000_NS6detail17trampoline_kernelINS0_13select_configILj256ELj13ELNS0_17block_load_methodE3ELS4_3ELS4_3ELNS0_20block_scan_algorithmE0ELj4294967295EEENS1_25partition_config_selectorILNS1_17partition_subalgoE4EjNS0_10empty_typeEbEEZZNS1_14partition_implILS8_4ELb0ES6_15HIP_vector_typeIjLj2EENS0_17counting_iteratorIjlEEPS9_SG_NS0_5tupleIJPjSI_NS0_16reverse_iteratorISI_EEEEENSH_IJSG_SG_SG_EEES9_SI_JZNS1_25segmented_radix_sort_implINS0_14default_configELb1EPK12hip_bfloat16PSP_PKlPlN2at6native12_GLOBAL__N_18offset_tEEE10hipError_tPvRmT1_PNSt15iterator_traitsIS13_E10value_typeET2_T3_PNS14_IS19_E10value_typeET4_jRbjT5_S1F_jjP12ihipStream_tbEUljE_ZNSN_ISO_Lb1ESR_SS_SU_SV_SZ_EES10_S11_S12_S13_S17_S18_S19_S1C_S1D_jS1E_jS1F_S1F_jjS1H_bEUljE0_EEES10_S11_S12_S19_S1D_S1F_T6_T7_T9_mT8_S1H_bDpT10_ENKUlT_T0_E_clISt17integral_constantIbLb0EES1V_EEDaS1Q_S1R_EUlS1Q_E_NS1_11comp_targetILNS1_3genE0ELNS1_11target_archE4294967295ELNS1_3gpuE0ELNS1_3repE0EEENS1_30default_config_static_selectorELNS0_4arch9wavefront6targetE0EEEvS13_,comdat
	.globl	_ZN7rocprim17ROCPRIM_400000_NS6detail17trampoline_kernelINS0_13select_configILj256ELj13ELNS0_17block_load_methodE3ELS4_3ELS4_3ELNS0_20block_scan_algorithmE0ELj4294967295EEENS1_25partition_config_selectorILNS1_17partition_subalgoE4EjNS0_10empty_typeEbEEZZNS1_14partition_implILS8_4ELb0ES6_15HIP_vector_typeIjLj2EENS0_17counting_iteratorIjlEEPS9_SG_NS0_5tupleIJPjSI_NS0_16reverse_iteratorISI_EEEEENSH_IJSG_SG_SG_EEES9_SI_JZNS1_25segmented_radix_sort_implINS0_14default_configELb1EPK12hip_bfloat16PSP_PKlPlN2at6native12_GLOBAL__N_18offset_tEEE10hipError_tPvRmT1_PNSt15iterator_traitsIS13_E10value_typeET2_T3_PNS14_IS19_E10value_typeET4_jRbjT5_S1F_jjP12ihipStream_tbEUljE_ZNSN_ISO_Lb1ESR_SS_SU_SV_SZ_EES10_S11_S12_S13_S17_S18_S19_S1C_S1D_jS1E_jS1F_S1F_jjS1H_bEUljE0_EEES10_S11_S12_S19_S1D_S1F_T6_T7_T9_mT8_S1H_bDpT10_ENKUlT_T0_E_clISt17integral_constantIbLb0EES1V_EEDaS1Q_S1R_EUlS1Q_E_NS1_11comp_targetILNS1_3genE0ELNS1_11target_archE4294967295ELNS1_3gpuE0ELNS1_3repE0EEENS1_30default_config_static_selectorELNS0_4arch9wavefront6targetE0EEEvS13_ ; -- Begin function _ZN7rocprim17ROCPRIM_400000_NS6detail17trampoline_kernelINS0_13select_configILj256ELj13ELNS0_17block_load_methodE3ELS4_3ELS4_3ELNS0_20block_scan_algorithmE0ELj4294967295EEENS1_25partition_config_selectorILNS1_17partition_subalgoE4EjNS0_10empty_typeEbEEZZNS1_14partition_implILS8_4ELb0ES6_15HIP_vector_typeIjLj2EENS0_17counting_iteratorIjlEEPS9_SG_NS0_5tupleIJPjSI_NS0_16reverse_iteratorISI_EEEEENSH_IJSG_SG_SG_EEES9_SI_JZNS1_25segmented_radix_sort_implINS0_14default_configELb1EPK12hip_bfloat16PSP_PKlPlN2at6native12_GLOBAL__N_18offset_tEEE10hipError_tPvRmT1_PNSt15iterator_traitsIS13_E10value_typeET2_T3_PNS14_IS19_E10value_typeET4_jRbjT5_S1F_jjP12ihipStream_tbEUljE_ZNSN_ISO_Lb1ESR_SS_SU_SV_SZ_EES10_S11_S12_S13_S17_S18_S19_S1C_S1D_jS1E_jS1F_S1F_jjS1H_bEUljE0_EEES10_S11_S12_S19_S1D_S1F_T6_T7_T9_mT8_S1H_bDpT10_ENKUlT_T0_E_clISt17integral_constantIbLb0EES1V_EEDaS1Q_S1R_EUlS1Q_E_NS1_11comp_targetILNS1_3genE0ELNS1_11target_archE4294967295ELNS1_3gpuE0ELNS1_3repE0EEENS1_30default_config_static_selectorELNS0_4arch9wavefront6targetE0EEEvS13_
	.p2align	8
	.type	_ZN7rocprim17ROCPRIM_400000_NS6detail17trampoline_kernelINS0_13select_configILj256ELj13ELNS0_17block_load_methodE3ELS4_3ELS4_3ELNS0_20block_scan_algorithmE0ELj4294967295EEENS1_25partition_config_selectorILNS1_17partition_subalgoE4EjNS0_10empty_typeEbEEZZNS1_14partition_implILS8_4ELb0ES6_15HIP_vector_typeIjLj2EENS0_17counting_iteratorIjlEEPS9_SG_NS0_5tupleIJPjSI_NS0_16reverse_iteratorISI_EEEEENSH_IJSG_SG_SG_EEES9_SI_JZNS1_25segmented_radix_sort_implINS0_14default_configELb1EPK12hip_bfloat16PSP_PKlPlN2at6native12_GLOBAL__N_18offset_tEEE10hipError_tPvRmT1_PNSt15iterator_traitsIS13_E10value_typeET2_T3_PNS14_IS19_E10value_typeET4_jRbjT5_S1F_jjP12ihipStream_tbEUljE_ZNSN_ISO_Lb1ESR_SS_SU_SV_SZ_EES10_S11_S12_S13_S17_S18_S19_S1C_S1D_jS1E_jS1F_S1F_jjS1H_bEUljE0_EEES10_S11_S12_S19_S1D_S1F_T6_T7_T9_mT8_S1H_bDpT10_ENKUlT_T0_E_clISt17integral_constantIbLb0EES1V_EEDaS1Q_S1R_EUlS1Q_E_NS1_11comp_targetILNS1_3genE0ELNS1_11target_archE4294967295ELNS1_3gpuE0ELNS1_3repE0EEENS1_30default_config_static_selectorELNS0_4arch9wavefront6targetE0EEEvS13_,@function
_ZN7rocprim17ROCPRIM_400000_NS6detail17trampoline_kernelINS0_13select_configILj256ELj13ELNS0_17block_load_methodE3ELS4_3ELS4_3ELNS0_20block_scan_algorithmE0ELj4294967295EEENS1_25partition_config_selectorILNS1_17partition_subalgoE4EjNS0_10empty_typeEbEEZZNS1_14partition_implILS8_4ELb0ES6_15HIP_vector_typeIjLj2EENS0_17counting_iteratorIjlEEPS9_SG_NS0_5tupleIJPjSI_NS0_16reverse_iteratorISI_EEEEENSH_IJSG_SG_SG_EEES9_SI_JZNS1_25segmented_radix_sort_implINS0_14default_configELb1EPK12hip_bfloat16PSP_PKlPlN2at6native12_GLOBAL__N_18offset_tEEE10hipError_tPvRmT1_PNSt15iterator_traitsIS13_E10value_typeET2_T3_PNS14_IS19_E10value_typeET4_jRbjT5_S1F_jjP12ihipStream_tbEUljE_ZNSN_ISO_Lb1ESR_SS_SU_SV_SZ_EES10_S11_S12_S13_S17_S18_S19_S1C_S1D_jS1E_jS1F_S1F_jjS1H_bEUljE0_EEES10_S11_S12_S19_S1D_S1F_T6_T7_T9_mT8_S1H_bDpT10_ENKUlT_T0_E_clISt17integral_constantIbLb0EES1V_EEDaS1Q_S1R_EUlS1Q_E_NS1_11comp_targetILNS1_3genE0ELNS1_11target_archE4294967295ELNS1_3gpuE0ELNS1_3repE0EEENS1_30default_config_static_selectorELNS0_4arch9wavefront6targetE0EEEvS13_: ; @_ZN7rocprim17ROCPRIM_400000_NS6detail17trampoline_kernelINS0_13select_configILj256ELj13ELNS0_17block_load_methodE3ELS4_3ELS4_3ELNS0_20block_scan_algorithmE0ELj4294967295EEENS1_25partition_config_selectorILNS1_17partition_subalgoE4EjNS0_10empty_typeEbEEZZNS1_14partition_implILS8_4ELb0ES6_15HIP_vector_typeIjLj2EENS0_17counting_iteratorIjlEEPS9_SG_NS0_5tupleIJPjSI_NS0_16reverse_iteratorISI_EEEEENSH_IJSG_SG_SG_EEES9_SI_JZNS1_25segmented_radix_sort_implINS0_14default_configELb1EPK12hip_bfloat16PSP_PKlPlN2at6native12_GLOBAL__N_18offset_tEEE10hipError_tPvRmT1_PNSt15iterator_traitsIS13_E10value_typeET2_T3_PNS14_IS19_E10value_typeET4_jRbjT5_S1F_jjP12ihipStream_tbEUljE_ZNSN_ISO_Lb1ESR_SS_SU_SV_SZ_EES10_S11_S12_S13_S17_S18_S19_S1C_S1D_jS1E_jS1F_S1F_jjS1H_bEUljE0_EEES10_S11_S12_S19_S1D_S1F_T6_T7_T9_mT8_S1H_bDpT10_ENKUlT_T0_E_clISt17integral_constantIbLb0EES1V_EEDaS1Q_S1R_EUlS1Q_E_NS1_11comp_targetILNS1_3genE0ELNS1_11target_archE4294967295ELNS1_3gpuE0ELNS1_3repE0EEENS1_30default_config_static_selectorELNS0_4arch9wavefront6targetE0EEEvS13_
; %bb.0:
	s_clause 0x4
	s_load_b128 s[24:27], s[0:1], 0x58
	s_load_b32 s4, s[0:1], 0x80
	s_load_b64 s[34:35], s[0:1], 0x10
	s_load_b64 s[2:3], s[0:1], 0x68
	s_load_b32 s8, s[0:1], 0x8
	s_bfe_u32 s5, ttmp6, 0x4000c
	s_and_b32 s6, ttmp6, 15
	s_add_co_i32 s5, s5, 1
	s_getreg_b32 s7, hwreg(HW_REG_IB_STS2, 6, 4)
	s_mul_i32 s5, ttmp9, s5
	s_load_b64 s[42:43], s[0:1], 0xa8
	s_add_co_i32 s6, s6, s5
	s_cmp_eq_u32 s7, 0
	s_load_b256 s[16:23], s[0:1], 0x88
	s_cselect_b32 s33, ttmp9, s6
	s_mov_b32 s5, 0
	s_mul_i32 s40, s33, 0xd00
	s_wait_kmcnt 0x0
	s_add_co_i32 s9, s4, -1
	s_mulk_i32 s4, 0xd00
	s_load_b128 s[28:31], s[26:27], 0x0
	s_cmp_eq_u32 s33, s9
	s_add_nc_u64 s[6:7], s[34:35], s[4:5]
	s_cselect_b32 s15, -1, 0
	s_cmp_lg_u32 s33, s9
	v_cmp_gt_u64_e64 s3, s[2:3], s[6:7]
	s_cselect_b32 s5, -1, 0
	s_add_co_i32 s6, s8, s40
	s_delay_alu instid0(SALU_CYCLE_1) | instskip(NEXT) | instid1(SALU_CYCLE_1)
	s_add_co_i32 s6, s6, s34
	v_add_nc_u32_e32 v1, s6, v0
	s_or_b32 s3, s5, s3
	s_mov_b32 s5, -1
	s_and_b32 vcc_lo, exec_lo, s3
	s_delay_alu instid0(VALU_DEP_1)
	v_add_nc_u32_e32 v2, 0x100, v1
	v_add_nc_u32_e32 v3, 0x200, v1
	;; [unrolled: 1-line block ×12, first 2 shown]
	s_cbranch_vccz .LBB1872_2
; %bb.1:
	v_lshlrev_b32_e32 v14, 2, v0
	s_mov_b32 s5, 0
	ds_store_2addr_stride64_b32 v14, v1, v2 offset1:4
	ds_store_2addr_stride64_b32 v14, v3, v4 offset0:8 offset1:12
	ds_store_2addr_stride64_b32 v14, v5, v6 offset0:16 offset1:20
	;; [unrolled: 1-line block ×5, first 2 shown]
	ds_store_b32 v14, v13 offset:12288
	s_wait_dscnt 0x0
	s_barrier_signal -1
	s_barrier_wait -1
.LBB1872_2:
	s_and_not1_b32 vcc_lo, exec_lo, s5
	s_add_co_i32 s4, s4, s34
	s_cbranch_vccnz .LBB1872_4
; %bb.3:
	v_lshlrev_b32_e32 v14, 2, v0
	ds_store_2addr_stride64_b32 v14, v1, v2 offset1:4
	ds_store_2addr_stride64_b32 v14, v3, v4 offset0:8 offset1:12
	ds_store_2addr_stride64_b32 v14, v5, v6 offset0:16 offset1:20
	;; [unrolled: 1-line block ×5, first 2 shown]
	ds_store_b32 v14, v13 offset:12288
	s_wait_dscnt 0x0
	s_barrier_signal -1
	s_barrier_wait -1
.LBB1872_4:
	v_mul_u32_u24_e32 v30, 13, v0
	s_load_b128 s[36:39], s[0:1], 0x28
	s_wait_xcnt 0x0
	s_load_b64 s[26:27], s[0:1], 0x38
	v_cndmask_b32_e64 v29, 0, 1, s3
	s_sub_co_i32 s41, s2, s4
	v_lshlrev_b32_e32 v1, 2, v30
	s_and_not1_b32 vcc_lo, exec_lo, s3
	ds_load_b32 v28, v1 offset:48
	ds_load_2addr_b32 v[10:11], v1 offset0:10 offset1:11
	ds_load_2addr_b32 v[12:13], v1 offset0:8 offset1:9
	;; [unrolled: 1-line block ×4, first 2 shown]
	ds_load_2addr_b32 v[20:21], v1 offset1:1
	ds_load_2addr_b32 v[18:19], v1 offset0:2 offset1:3
	s_wait_dscnt 0x0
	s_barrier_signal -1
	s_barrier_wait -1
	s_cbranch_vccnz .LBB1872_32
; %bb.5:
	v_dual_add_nc_u32 v1, s17, v20 :: v_dual_add_nc_u32 v2, s19, v20
	s_mov_b32 s45, 0
	s_mov_b32 s44, 0
	s_mov_b32 s3, exec_lo
	s_delay_alu instid0(VALU_DEP_1) | instskip(SKIP_1) | instid1(VALU_DEP_1)
	v_mul_lo_u32 v1, v1, s16
	v_mul_lo_u32 v2, v2, s18
	v_sub_nc_u32_e32 v1, v1, v2
	s_delay_alu instid0(VALU_DEP_1)
	v_cmp_lt_u32_e32 vcc_lo, s20, v1
	v_cmpx_ge_u32_e64 s20, v1
	s_cbranch_execz .LBB1872_7
; %bb.6:
	v_dual_add_nc_u32 v1, s22, v20 :: v_dual_add_nc_u32 v2, s42, v20
	s_delay_alu instid0(VALU_DEP_1) | instskip(NEXT) | instid1(VALU_DEP_2)
	v_mul_lo_u32 v1, v1, s21
	v_mul_lo_u32 v2, v2, s23
	s_delay_alu instid0(VALU_DEP_1) | instskip(NEXT) | instid1(VALU_DEP_1)
	v_sub_nc_u32_e32 v1, v1, v2
	v_cmp_lt_u32_e64 s2, s43, v1
	s_and_b32 s44, s2, exec_lo
.LBB1872_7:
	s_or_b32 exec_lo, exec_lo, s3
	v_dual_add_nc_u32 v1, s17, v21 :: v_dual_add_nc_u32 v2, s19, v21
	s_mov_b32 s4, exec_lo
	s_delay_alu instid0(VALU_DEP_1) | instskip(NEXT) | instid1(VALU_DEP_2)
	v_mul_lo_u32 v1, v1, s16
	v_mul_lo_u32 v2, v2, s18
	s_delay_alu instid0(VALU_DEP_1) | instskip(NEXT) | instid1(VALU_DEP_1)
	v_sub_nc_u32_e32 v1, v1, v2
	v_cmp_lt_u32_e64 s2, s20, v1
	v_cmpx_ge_u32_e64 s20, v1
	s_cbranch_execz .LBB1872_9
; %bb.8:
	v_dual_add_nc_u32 v1, s22, v21 :: v_dual_add_nc_u32 v2, s42, v21
	s_delay_alu instid0(VALU_DEP_1) | instskip(NEXT) | instid1(VALU_DEP_2)
	v_mul_lo_u32 v1, v1, s21
	v_mul_lo_u32 v2, v2, s23
	s_delay_alu instid0(VALU_DEP_1) | instskip(NEXT) | instid1(VALU_DEP_1)
	v_sub_nc_u32_e32 v1, v1, v2
	v_cmp_lt_u32_e64 s3, s43, v1
	s_and_b32 s45, s3, exec_lo
.LBB1872_9:
	s_or_b32 exec_lo, exec_lo, s4
	v_dual_add_nc_u32 v1, s17, v18 :: v_dual_add_nc_u32 v2, s19, v18
	s_mov_b32 s47, 0
	s_mov_b32 s46, 0
	s_mov_b32 s5, exec_lo
	s_delay_alu instid0(VALU_DEP_1) | instskip(SKIP_1) | instid1(VALU_DEP_1)
	v_mul_lo_u32 v1, v1, s16
	v_mul_lo_u32 v2, v2, s18
	v_sub_nc_u32_e32 v1, v1, v2
	s_delay_alu instid0(VALU_DEP_1)
	v_cmp_lt_u32_e64 s3, s20, v1
	v_cmpx_ge_u32_e64 s20, v1
	s_cbranch_execz .LBB1872_11
; %bb.10:
	v_dual_add_nc_u32 v1, s22, v18 :: v_dual_add_nc_u32 v2, s42, v18
	s_delay_alu instid0(VALU_DEP_1) | instskip(NEXT) | instid1(VALU_DEP_2)
	v_mul_lo_u32 v1, v1, s21
	v_mul_lo_u32 v2, v2, s23
	s_delay_alu instid0(VALU_DEP_1) | instskip(NEXT) | instid1(VALU_DEP_1)
	v_sub_nc_u32_e32 v1, v1, v2
	v_cmp_lt_u32_e64 s4, s43, v1
	s_and_b32 s46, s4, exec_lo
.LBB1872_11:
	s_or_b32 exec_lo, exec_lo, s5
	v_dual_add_nc_u32 v1, s17, v19 :: v_dual_add_nc_u32 v2, s19, v19
	s_mov_b32 s6, exec_lo
	s_delay_alu instid0(VALU_DEP_1) | instskip(NEXT) | instid1(VALU_DEP_2)
	v_mul_lo_u32 v1, v1, s16
	v_mul_lo_u32 v2, v2, s18
	s_delay_alu instid0(VALU_DEP_1) | instskip(NEXT) | instid1(VALU_DEP_1)
	v_sub_nc_u32_e32 v1, v1, v2
	v_cmp_lt_u32_e64 s4, s20, v1
	v_cmpx_ge_u32_e64 s20, v1
	s_cbranch_execz .LBB1872_13
; %bb.12:
	v_dual_add_nc_u32 v1, s22, v19 :: v_dual_add_nc_u32 v2, s42, v19
	s_delay_alu instid0(VALU_DEP_1) | instskip(NEXT) | instid1(VALU_DEP_2)
	v_mul_lo_u32 v1, v1, s21
	v_mul_lo_u32 v2, v2, s23
	s_delay_alu instid0(VALU_DEP_1) | instskip(NEXT) | instid1(VALU_DEP_1)
	v_sub_nc_u32_e32 v1, v1, v2
	v_cmp_lt_u32_e64 s5, s43, v1
	s_and_b32 s47, s5, exec_lo
.LBB1872_13:
	s_or_b32 exec_lo, exec_lo, s6
	v_dual_add_nc_u32 v1, s17, v16 :: v_dual_add_nc_u32 v2, s19, v16
	s_mov_b32 s49, 0
	s_mov_b32 s48, 0
	s_mov_b32 s7, exec_lo
	s_delay_alu instid0(VALU_DEP_1) | instskip(SKIP_1) | instid1(VALU_DEP_1)
	v_mul_lo_u32 v1, v1, s16
	v_mul_lo_u32 v2, v2, s18
	v_sub_nc_u32_e32 v1, v1, v2
	s_delay_alu instid0(VALU_DEP_1)
	v_cmp_lt_u32_e64 s5, s20, v1
	;; [unrolled: 44-line block ×6, first 2 shown]
	v_cmpx_ge_u32_e64 s20, v1
	s_cbranch_execz .LBB1872_31
; %bb.30:
	v_dual_add_nc_u32 v1, s22, v28 :: v_dual_add_nc_u32 v2, s42, v28
	s_delay_alu instid0(VALU_DEP_1) | instskip(NEXT) | instid1(VALU_DEP_2)
	v_mul_lo_u32 v1, v1, s21
	v_mul_lo_u32 v2, v2, s23
	s_delay_alu instid0(VALU_DEP_1) | instskip(NEXT) | instid1(VALU_DEP_1)
	v_sub_nc_u32_e32 v1, v1, v2
	v_cmp_lt_u32_e64 s14, s43, v1
	s_and_b32 s57, s14, exec_lo
.LBB1872_31:
	s_or_b32 exec_lo, exec_lo, s58
	v_cndmask_b32_e64 v2, 0, 1, s2
	v_cndmask_b32_e64 v4, 0, 1, s4
	v_cndmask_b32_e64 v1, 0, 1, vcc_lo
	v_cndmask_b32_e64 v3, 0, 1, s3
	v_cndmask_b32_e64 v6, 0, 1, s6
	v_lshlrev_b16 v2, 8, v2
	v_lshlrev_b16 v4, 8, v4
	v_cndmask_b32_e64 v8, 0, 1, s8
	v_cndmask_b32_e64 v22, 0, 1, s10
	v_cndmask_b32_e64 v25, 0, 1, s13
	v_or_b32_e32 v1, v1, v2
	v_or_b32_e32 v2, v3, v4
	v_cndmask_b32_e64 v4, 0, 1, s46
	v_cndmask_b32_e64 v5, 0, 1, s5
	;; [unrolled: 1-line block ×4, first 2 shown]
	v_lshlrev_b32_e32 v2, 16, v2
	v_and_b32_e32 v1, 0xffff, v1
	v_cndmask_b32_e64 v33, 0, 1, s50
	v_cndmask_b32_e64 v36, 0, 1, s48
	;; [unrolled: 1-line block ×4, first 2 shown]
	v_or_b32_e32 v31, v1, v2
	v_lshlrev_b16 v1, 8, v6
	v_lshlrev_b16 v2, 8, v8
	v_lshlrev_b16 v6, 8, v22
	v_lshlrev_b16 v8, 8, v25
	v_lshlrev_b16 v4, 8, v4
	v_cndmask_b32_e64 v7, 0, 1, s7
	v_cndmask_b32_e64 v24, 0, 1, s56
	v_cndmask_b32_e64 v27, 0, 1, s53
	v_cndmask_b32_e64 v35, 0, 1, s49
	v_cndmask_b32_e64 v3, 0, 1, s47
	v_cndmask_b32_e64 v40, 0, 1, s12
	v_lshlrev_b16 v22, 8, v39
	v_or_b32_e32 v4, v37, v4
	v_or_b32_e32 v1, v5, v1
	;; [unrolled: 1-line block ×4, first 2 shown]
	v_lshlrev_b16 v8, 8, v36
	v_lshlrev_b16 v9, 8, v33
	v_cndmask_b32_e64 v26, 0, 1, s54
	v_cndmask_b32_e64 v32, 0, 1, s51
	v_lshlrev_b16 v23, 8, v24
	v_or_b32_e32 v3, v3, v8
	v_or_b32_e32 v8, v35, v9
	;; [unrolled: 1-line block ×4, first 2 shown]
	v_lshlrev_b16 v22, 8, v27
	v_and_b32_e32 v5, 0xffff, v5
	v_lshlrev_b32_e32 v4, 16, v4
	v_and_b32_e32 v1, 0xffff, v1
	v_and_b32_e32 v7, 0xffff, v7
	v_or_b32_e32 v9, v32, v22
	v_or_b32_e32 v22, v26, v23
	v_and_b32_e32 v3, 0xffff, v3
	v_dual_lshlrev_b32 v8, 16, v8 :: v_dual_lshlrev_b32 v2, 16, v2
	s_delay_alu instid0(VALU_DEP_4) | instskip(NEXT) | instid1(VALU_DEP_4)
	v_and_b32_e32 v9, 0xffff, v9
	v_lshlrev_b32_e32 v22, 16, v22
	v_lshlrev_b32_e32 v6, 16, v6
	v_cndmask_b32_e64 v34, 0, 1, s55
	v_cndmask_b32_e64 v38, 0, 1, s57
	v_or_b32_e32 v33, v1, v2
	v_or_b32_e32 v37, v7, v4
	;; [unrolled: 1-line block ×5, first 2 shown]
	s_load_b64 s[4:5], s[0:1], 0x78
	s_and_b32 vcc_lo, exec_lo, s52
	s_add_co_i32 s6, s41, 0xd00
	s_cbranch_vccnz .LBB1872_33
	s_branch .LBB1872_110
.LBB1872_32:
                                        ; implicit-def: $vgpr38
                                        ; implicit-def: $vgpr34
                                        ; implicit-def: $vgpr35
                                        ; implicit-def: $vgpr32
                                        ; implicit-def: $vgpr37
                                        ; implicit-def: $vgpr36
                                        ; implicit-def: $vgpr33
                                        ; implicit-def: $vgpr31
	s_load_b64 s[4:5], s[0:1], 0x78
	s_add_co_i32 s6, s41, 0xd00
	s_cbranch_execz .LBB1872_110
.LBB1872_33:
	v_dual_mov_b32 v2, 0 :: v_dual_mov_b32 v1, 0
	s_wait_xcnt 0x0
	s_mov_b32 s1, exec_lo
	v_cmpx_gt_u32_e64 s6, v30
	s_cbranch_execz .LBB1872_37
; %bb.34:
	v_dual_add_nc_u32 v1, s17, v20 :: v_dual_add_nc_u32 v2, s19, v20
	s_mov_b32 s3, 0
	s_mov_b32 s2, exec_lo
	s_delay_alu instid0(VALU_DEP_1) | instskip(NEXT) | instid1(VALU_DEP_2)
	v_mul_lo_u32 v1, v1, s16
	v_mul_lo_u32 v2, v2, s18
	s_delay_alu instid0(VALU_DEP_1) | instskip(NEXT) | instid1(VALU_DEP_1)
	v_sub_nc_u32_e32 v1, v1, v2
	v_cmp_lt_u32_e32 vcc_lo, s20, v1
	v_cmpx_ge_u32_e64 s20, v1
	s_cbranch_execz .LBB1872_36
; %bb.35:
	v_dual_add_nc_u32 v1, s22, v20 :: v_dual_add_nc_u32 v2, s42, v20
	s_delay_alu instid0(VALU_DEP_1) | instskip(NEXT) | instid1(VALU_DEP_2)
	v_mul_lo_u32 v1, v1, s21
	v_mul_lo_u32 v2, v2, s23
	s_delay_alu instid0(VALU_DEP_1) | instskip(NEXT) | instid1(VALU_DEP_1)
	v_sub_nc_u32_e32 v1, v1, v2
	v_cmp_lt_u32_e64 s0, s43, v1
	s_and_b32 s3, s0, exec_lo
.LBB1872_36:
	s_or_b32 exec_lo, exec_lo, s2
	v_cndmask_b32_e64 v2, 0, 1, s3
	v_cndmask_b32_e64 v1, 0, 1, vcc_lo
.LBB1872_37:
	s_or_b32 exec_lo, exec_lo, s1
	s_delay_alu instid0(VALU_DEP_2) | instskip(SKIP_2) | instid1(VALU_DEP_3)
	v_lshlrev_b16 v2, 8, v2
	v_add_nc_u32_e32 v3, 1, v30
	v_lshlrev_b16 v9, 8, 0
                                        ; implicit-def: $vgpr5
                                        ; implicit-def: $vgpr7
                                        ; implicit-def: $vgpr4
                                        ; implicit-def: $vgpr8
	v_and_b32_e32 v6, 0xffff, v2
	s_delay_alu instid0(VALU_DEP_3) | instskip(NEXT) | instid1(VALU_DEP_2)
	v_cmp_le_u32_e32 vcc_lo, s6, v3
                                        ; implicit-def: $vgpr3
                                        ; implicit-def: $vgpr2
	v_lshrrev_b32_e32 v22, 8, v6
	s_and_saveexec_b32 s0, vcc_lo
	s_delay_alu instid0(SALU_CYCLE_1)
	s_xor_b32 s0, exec_lo, s0
	s_cbranch_execz .LBB1872_39
; %bb.38:
	s_delay_alu instid0(VALU_DEP_1) | instskip(SKIP_3) | instid1(VALU_DEP_4)
	v_lshlrev_b16 v2, 8, v22
	v_bitop3_b16 v3, 0, v9, 0xff bitop3:0xec
	v_and_b32_e32 v8, 0xff, v1
                                        ; implicit-def: $vgpr1
                                        ; implicit-def: $vgpr9
                                        ; implicit-def: $vgpr22
	v_mov_b32_e32 v5, 0
	v_bitop3_b16 v6, v6, v2, 0xff bitop3:0xec
	v_mov_b32_e32 v2, 0
	v_and_b32_e32 v4, 0xffff, v3
	v_and_b32_e32 v3, 0xffff, v3
	s_delay_alu instid0(VALU_DEP_4)
	v_and_b32_e32 v7, 0xffff, v6
                                        ; implicit-def: $vgpr6
.LBB1872_39:
	s_and_not1_saveexec_b32 s1, s0
	s_cbranch_execz .LBB1872_43
; %bb.40:
	v_dual_add_nc_u32 v2, s17, v21 :: v_dual_add_nc_u32 v3, s19, v21
	s_mov_b32 s2, 0
	s_mov_b32 s3, exec_lo
	s_delay_alu instid0(VALU_DEP_1) | instskip(NEXT) | instid1(VALU_DEP_2)
	v_mul_lo_u32 v2, v2, s16
	v_mul_lo_u32 v3, v3, s18
	s_delay_alu instid0(VALU_DEP_1) | instskip(NEXT) | instid1(VALU_DEP_1)
	v_sub_nc_u32_e32 v2, v2, v3
	v_cmp_lt_u32_e32 vcc_lo, s20, v2
	v_cmpx_ge_u32_e64 s20, v2
	s_cbranch_execz .LBB1872_42
; %bb.41:
	v_dual_add_nc_u32 v2, s22, v21 :: v_dual_add_nc_u32 v3, s42, v21
	s_delay_alu instid0(VALU_DEP_1) | instskip(NEXT) | instid1(VALU_DEP_2)
	v_mul_lo_u32 v2, v2, s21
	v_mul_lo_u32 v3, v3, s23
	s_delay_alu instid0(VALU_DEP_1) | instskip(NEXT) | instid1(VALU_DEP_1)
	v_sub_nc_u32_e32 v2, v2, v3
	v_cmp_lt_u32_e64 s0, s43, v2
	s_and_b32 s2, s0, exec_lo
.LBB1872_42:
	s_or_b32 exec_lo, exec_lo, s3
	v_cndmask_b32_e64 v2, 0, 1, vcc_lo
	v_lshlrev_b16 v3, 8, v22
	v_cndmask_b32_e64 v7, 0, 1, s2
	v_mov_b32_e32 v5, 0
	s_delay_alu instid0(VALU_DEP_4) | instskip(NEXT) | instid1(VALU_DEP_4)
	v_lshlrev_b16 v2, 8, v2
	v_bitop3_b16 v3, v6, v3, 0xff bitop3:0xec
	v_bitop3_b16 v6, 0, v9, 0xff bitop3:0xec
	s_delay_alu instid0(VALU_DEP_3) | instskip(NEXT) | instid1(VALU_DEP_3)
	v_bitop3_b16 v1, v1, v2, 0xff bitop3:0xec
	v_and_b32_e32 v3, 0xffff, v3
	v_mov_b32_e32 v2, 0
	s_delay_alu instid0(VALU_DEP_4) | instskip(NEXT) | instid1(VALU_DEP_4)
	v_and_b32_e32 v4, 0xffff, v6
	v_and_b32_e32 v8, 0xffff, v1
	s_delay_alu instid0(VALU_DEP_4)
	v_lshl_or_b32 v7, v7, 16, v3
	v_and_b32_e32 v3, 0xffff, v6
.LBB1872_43:
	s_or_b32 exec_lo, exec_lo, s1
	s_delay_alu instid0(VALU_DEP_3) | instskip(NEXT) | instid1(VALU_DEP_1)
	v_dual_add_nc_u32 v1, 2, v30 :: v_dual_lshrrev_b32 v9, 8, v8
                                        ; implicit-def: $vgpr6
	v_cmp_le_u32_e32 vcc_lo, s6, v1
                                        ; implicit-def: $vgpr1
	s_and_saveexec_b32 s0, vcc_lo
	s_delay_alu instid0(SALU_CYCLE_1)
	s_xor_b32 s0, exec_lo, s0
	s_cbranch_execz .LBB1872_45
; %bb.44:
	v_lshlrev_b16 v1, 8, v9
	v_and_b32_e32 v9, 0xff0000, v7
	v_perm_b32 v4, v4, v4, 0x3060504
	s_delay_alu instid0(VALU_DEP_3) | instskip(NEXT) | instid1(VALU_DEP_1)
	v_bitop3_b16 v1, v8, v1, 0xff bitop3:0xec
	v_and_b32_e32 v1, 0xffff, v1
	s_delay_alu instid0(VALU_DEP_1)
	v_and_or_b32 v6, 0xff000000, v8, v1
	v_perm_b32 v1, v7, v9, 0x3020504
                                        ; implicit-def: $vgpr9
                                        ; implicit-def: $vgpr8
                                        ; implicit-def: $vgpr7
.LBB1872_45:
	s_and_not1_saveexec_b32 s1, s0
	s_cbranch_execz .LBB1872_49
; %bb.46:
	v_dual_add_nc_u32 v1, s17, v18 :: v_dual_add_nc_u32 v6, s19, v18
	s_mov_b32 s2, 0
	s_mov_b32 s3, exec_lo
	s_delay_alu instid0(VALU_DEP_1) | instskip(NEXT) | instid1(VALU_DEP_2)
	v_mul_lo_u32 v1, v1, s16
	v_mul_lo_u32 v6, v6, s18
	s_delay_alu instid0(VALU_DEP_1) | instskip(NEXT) | instid1(VALU_DEP_1)
	v_sub_nc_u32_e32 v1, v1, v6
	v_cmp_lt_u32_e32 vcc_lo, s20, v1
	v_cmpx_ge_u32_e64 s20, v1
	s_cbranch_execz .LBB1872_48
; %bb.47:
	v_dual_add_nc_u32 v1, s22, v18 :: v_dual_add_nc_u32 v6, s42, v18
	s_delay_alu instid0(VALU_DEP_1) | instskip(NEXT) | instid1(VALU_DEP_2)
	v_mul_lo_u32 v1, v1, s21
	v_mul_lo_u32 v6, v6, s23
	s_delay_alu instid0(VALU_DEP_1) | instskip(NEXT) | instid1(VALU_DEP_1)
	v_sub_nc_u32_e32 v1, v1, v6
	v_cmp_lt_u32_e64 s0, s43, v1
	s_and_b32 s2, s0, exec_lo
.LBB1872_48:
	s_or_b32 exec_lo, exec_lo, s3
	v_dual_lshrrev_b32 v1, 24, v8 :: v_dual_lshrrev_b32 v23, 8, v7
	v_cndmask_b32_e64 v6, 0, 1, s2
	v_cndmask_b32_e64 v22, 0, 1, vcc_lo
	v_lshlrev_b16 v9, 8, v9
	s_delay_alu instid0(VALU_DEP_4)
	v_lshlrev_b16 v1, 8, v1
	v_lshrrev_b32_e32 v24, 16, v7
	v_lshlrev_b16 v6, 8, v6
	v_lshlrev_b16 v23, 8, v23
	v_bitop3_b16 v8, v8, v9, 0xff bitop3:0xec
	v_or_b32_e32 v1, v22, v1
	s_delay_alu instid0(VALU_DEP_4) | instskip(NEXT) | instid1(VALU_DEP_4)
	v_bitop3_b16 v6, v24, v6, 0xff bitop3:0xec
	v_bitop3_b16 v7, v7, v23, 0xff bitop3:0xec
	s_delay_alu instid0(VALU_DEP_4) | instskip(NEXT) | instid1(VALU_DEP_3)
	v_and_b32_e32 v8, 0xffff, v8
	v_dual_lshlrev_b32 v1, 16, v1 :: v_dual_lshlrev_b32 v9, 16, v6
	s_delay_alu instid0(VALU_DEP_3) | instskip(NEXT) | instid1(VALU_DEP_2)
	v_and_b32_e32 v7, 0xffff, v7
	v_or_b32_e32 v6, v8, v1
	s_delay_alu instid0(VALU_DEP_2)
	v_or_b32_e32 v1, v7, v9
.LBB1872_49:
	s_or_b32 exec_lo, exec_lo, s1
	v_dual_add_nc_u32 v8, 3, v30 :: v_dual_lshrrev_b32 v9, 24, v5
	v_lshrrev_b32_e32 v7, 16, v5
                                        ; implicit-def: $vgpr31
	s_delay_alu instid0(VALU_DEP_2) | instskip(SKIP_2) | instid1(SALU_CYCLE_1)
	v_cmp_le_u32_e32 vcc_lo, s6, v8
	v_lshrrev_b32_e32 v8, 8, v5
                                        ; implicit-def: $vgpr5
	s_and_saveexec_b32 s0, vcc_lo
	s_xor_b32 s0, exec_lo, s0
	s_cbranch_execz .LBB1872_51
; %bb.50:
	v_lshlrev_b16 v5, 8, v9
	v_lshlrev_b16 v8, 8, v8
	v_perm_b32 v4, v4, v4, 0x3060504
	v_perm_b32 v3, v3, v3, 0x3060504
                                        ; implicit-def: $vgpr9
	s_delay_alu instid0(VALU_DEP_4) | instskip(SKIP_2) | instid1(VALU_DEP_3)
	v_bitop3_b16 v5, v7, v5, 0xff bitop3:0xec
	v_and_b32_e32 v7, 0xff0000, v6
	v_and_b32_e32 v8, 0xffff, v8
	v_lshlrev_b32_e32 v5, 16, v5
	s_delay_alu instid0(VALU_DEP_3) | instskip(NEXT) | instid1(VALU_DEP_2)
	v_perm_b32 v31, v6, v7, 0x3020504
                                        ; implicit-def: $vgpr6
                                        ; implicit-def: $vgpr7
	v_or_b32_e32 v5, v8, v5
                                        ; implicit-def: $vgpr8
.LBB1872_51:
	s_and_not1_saveexec_b32 s1, s0
	s_cbranch_execz .LBB1872_55
; %bb.52:
	v_dual_add_nc_u32 v5, s17, v19 :: v_dual_add_nc_u32 v22, s19, v19
	s_mov_b32 s2, 0
	s_mov_b32 s3, exec_lo
	s_delay_alu instid0(VALU_DEP_1) | instskip(NEXT) | instid1(VALU_DEP_2)
	v_mul_lo_u32 v5, v5, s16
	v_mul_lo_u32 v22, v22, s18
	s_delay_alu instid0(VALU_DEP_1) | instskip(NEXT) | instid1(VALU_DEP_1)
	v_sub_nc_u32_e32 v5, v5, v22
	v_cmp_lt_u32_e32 vcc_lo, s20, v5
	v_cmpx_ge_u32_e64 s20, v5
	s_cbranch_execz .LBB1872_54
; %bb.53:
	v_dual_add_nc_u32 v5, s22, v19 :: v_dual_add_nc_u32 v22, s42, v19
	s_delay_alu instid0(VALU_DEP_1) | instskip(NEXT) | instid1(VALU_DEP_2)
	v_mul_lo_u32 v5, v5, s21
	v_mul_lo_u32 v22, v22, s23
	s_delay_alu instid0(VALU_DEP_1) | instskip(NEXT) | instid1(VALU_DEP_1)
	v_sub_nc_u32_e32 v5, v5, v22
	v_cmp_lt_u32_e64 s0, s43, v5
	s_and_b32 s2, s0, exec_lo
.LBB1872_54:
	s_or_b32 exec_lo, exec_lo, s3
	v_cndmask_b32_e64 v5, 0, 1, vcc_lo
	v_dual_lshrrev_b32 v22, 8, v6 :: v_dual_lshrrev_b32 v24, 16, v6
	v_cndmask_b32_e64 v23, 0, 1, s2
	v_lshlrev_b16 v9, 8, v9
	s_delay_alu instid0(VALU_DEP_4) | instskip(NEXT) | instid1(VALU_DEP_4)
	v_lshlrev_b16 v5, 8, v5
	v_lshlrev_b16 v22, 8, v22
	;; [unrolled: 1-line block ×3, first 2 shown]
	s_delay_alu instid0(VALU_DEP_4) | instskip(NEXT) | instid1(VALU_DEP_4)
	v_bitop3_b16 v7, v7, v9, 0xff bitop3:0xec
	v_bitop3_b16 v5, v24, v5, 0xff bitop3:0xec
	s_delay_alu instid0(VALU_DEP_4) | instskip(NEXT) | instid1(VALU_DEP_3)
	v_bitop3_b16 v6, v6, v22, 0xff bitop3:0xec
	v_dual_lshlrev_b32 v7, 16, v7 :: v_dual_bitop2_b32 v8, v23, v8 bitop3:0x54
	s_delay_alu instid0(VALU_DEP_3) | instskip(NEXT) | instid1(VALU_DEP_3)
	v_lshlrev_b32_e32 v5, 16, v5
	v_and_b32_e32 v6, 0xffff, v6
	s_delay_alu instid0(VALU_DEP_3) | instskip(NEXT) | instid1(VALU_DEP_2)
	v_and_b32_e32 v8, 0xffff, v8
	v_or_b32_e32 v31, v6, v5
	s_delay_alu instid0(VALU_DEP_2)
	v_or_b32_e32 v5, v8, v7
.LBB1872_55:
	s_or_b32 exec_lo, exec_lo, s1
	v_dual_add_nc_u32 v6, 4, v30 :: v_dual_lshrrev_b32 v22, 8, v4
	v_dual_lshrrev_b32 v7, 16, v4 :: v_dual_lshrrev_b32 v23, 24, v4
	s_delay_alu instid0(VALU_DEP_3) | instskip(NEXT) | instid1(VALU_DEP_3)
	v_dual_lshrrev_b32 v9, 24, v5 :: v_dual_lshrrev_b32 v8, 16, v5
	v_cmp_le_u32_e32 vcc_lo, s6, v6
                                        ; implicit-def: $vgpr4
                                        ; implicit-def: $vgpr6
	s_and_saveexec_b32 s0, vcc_lo
	s_delay_alu instid0(SALU_CYCLE_1)
	s_xor_b32 s0, exec_lo, s0
	s_cbranch_execz .LBB1872_57
; %bb.56:
	v_lshlrev_b16 v4, 8, v23
	v_lshlrev_b16 v6, 8, v22
	;; [unrolled: 1-line block ×3, first 2 shown]
	v_perm_b32 v3, v3, v3, 0x3060504
                                        ; implicit-def: $vgpr22
                                        ; implicit-def: $vgpr23
	s_delay_alu instid0(VALU_DEP_4) | instskip(NEXT) | instid1(VALU_DEP_4)
	v_bitop3_b16 v4, v7, v4, 0xff bitop3:0xec
	v_and_b32_e32 v6, 0xffff, v6
	s_delay_alu instid0(VALU_DEP_4) | instskip(NEXT) | instid1(VALU_DEP_3)
	v_bitop3_b16 v7, v8, v9, 0xff bitop3:0xec
                                        ; implicit-def: $vgpr9
	v_lshlrev_b32_e32 v8, 16, v4
	s_delay_alu instid0(VALU_DEP_2) | instskip(NEXT) | instid1(VALU_DEP_2)
	v_perm_b32 v4, v7, v5, 0x5040c00
                                        ; implicit-def: $vgpr5
                                        ; implicit-def: $vgpr7
	v_or_b32_e32 v6, v6, v8
                                        ; implicit-def: $vgpr8
.LBB1872_57:
	s_and_not1_saveexec_b32 s1, s0
	s_cbranch_execz .LBB1872_61
; %bb.58:
	v_dual_add_nc_u32 v4, s17, v16 :: v_dual_add_nc_u32 v6, s19, v16
	s_mov_b32 s2, 0
	s_mov_b32 s3, exec_lo
	s_delay_alu instid0(VALU_DEP_1) | instskip(NEXT) | instid1(VALU_DEP_2)
	v_mul_lo_u32 v4, v4, s16
	v_mul_lo_u32 v6, v6, s18
	s_delay_alu instid0(VALU_DEP_1) | instskip(NEXT) | instid1(VALU_DEP_1)
	v_sub_nc_u32_e32 v4, v4, v6
	v_cmp_lt_u32_e32 vcc_lo, s20, v4
	v_cmpx_ge_u32_e64 s20, v4
	s_cbranch_execz .LBB1872_60
; %bb.59:
	v_dual_add_nc_u32 v4, s22, v16 :: v_dual_add_nc_u32 v6, s42, v16
	s_delay_alu instid0(VALU_DEP_1) | instskip(NEXT) | instid1(VALU_DEP_2)
	v_mul_lo_u32 v4, v4, s21
	v_mul_lo_u32 v6, v6, s23
	s_delay_alu instid0(VALU_DEP_1) | instskip(NEXT) | instid1(VALU_DEP_1)
	v_sub_nc_u32_e32 v4, v4, v6
	v_cmp_lt_u32_e64 s0, s43, v4
	s_and_b32 s2, s0, exec_lo
.LBB1872_60:
	s_or_b32 exec_lo, exec_lo, s3
	v_cndmask_b32_e64 v4, 0, 1, s2
	v_cndmask_b32_e64 v6, 0, 1, vcc_lo
	v_lshlrev_b16 v23, 8, v23
	v_lshlrev_b16 v22, 8, v22
	;; [unrolled: 1-line block ×4, first 2 shown]
	s_delay_alu instid0(VALU_DEP_4) | instskip(NEXT) | instid1(VALU_DEP_4)
	v_bitop3_b16 v7, v7, v23, 0xff bitop3:0xec
	v_or_b32_e32 v6, v6, v22
	s_delay_alu instid0(VALU_DEP_4) | instskip(NEXT) | instid1(VALU_DEP_4)
	v_bitop3_b16 v8, v8, v9, 0xff bitop3:0xec
	v_bitop3_b16 v4, v5, v4, 0xff bitop3:0xec
	s_delay_alu instid0(VALU_DEP_4) | instskip(NEXT) | instid1(VALU_DEP_4)
	v_lshlrev_b32_e32 v5, 16, v7
	v_and_b32_e32 v6, 0xffff, v6
	s_delay_alu instid0(VALU_DEP_4) | instskip(NEXT) | instid1(VALU_DEP_4)
	v_lshlrev_b32_e32 v7, 16, v8
	v_and_b32_e32 v4, 0xffff, v4
	s_delay_alu instid0(VALU_DEP_3) | instskip(NEXT) | instid1(VALU_DEP_2)
	v_or_b32_e32 v6, v6, v5
	v_or_b32_e32 v4, v4, v7
.LBB1872_61:
	s_or_b32 exec_lo, exec_lo, s1
	s_delay_alu instid0(VALU_DEP_1) | instskip(NEXT) | instid1(VALU_DEP_2)
	v_dual_add_nc_u32 v5, 5, v30 :: v_dual_lshrrev_b32 v22, 8, v4
	v_dual_lshrrev_b32 v8, 16, v6 :: v_dual_lshrrev_b32 v9, 24, v6
                                        ; implicit-def: $vgpr7
	s_delay_alu instid0(VALU_DEP_2) | instskip(SKIP_1) | instid1(SALU_CYCLE_1)
	v_cmp_le_u32_e32 vcc_lo, s6, v5
                                        ; implicit-def: $vgpr5
	s_and_saveexec_b32 s0, vcc_lo
	s_xor_b32 s0, exec_lo, s0
	s_cbranch_execz .LBB1872_63
; %bb.62:
	v_lshlrev_b16 v5, 8, v22
	v_lshlrev_b16 v7, 8, v9
	v_perm_b32 v3, v3, v3, 0x3060504
                                        ; implicit-def: $vgpr9
                                        ; implicit-def: $vgpr22
	s_delay_alu instid0(VALU_DEP_3) | instskip(NEXT) | instid1(VALU_DEP_3)
	v_bitop3_b16 v5, v4, v5, 0xff bitop3:0xec
	v_bitop3_b16 v7, v8, v7, 0xff bitop3:0xec
                                        ; implicit-def: $vgpr8
	s_delay_alu instid0(VALU_DEP_2) | instskip(NEXT) | instid1(VALU_DEP_2)
	v_and_b32_e32 v5, 0xffff, v5
	v_perm_b32 v7, v7, v6, 0x5040c00
                                        ; implicit-def: $vgpr6
	s_delay_alu instid0(VALU_DEP_2)
	v_and_or_b32 v5, 0xff000000, v4, v5
                                        ; implicit-def: $vgpr4
.LBB1872_63:
	s_and_not1_saveexec_b32 s1, s0
	s_cbranch_execz .LBB1872_67
; %bb.64:
	v_dual_add_nc_u32 v5, s17, v17 :: v_dual_add_nc_u32 v7, s19, v17
	s_mov_b32 s2, 0
	s_mov_b32 s3, exec_lo
	s_delay_alu instid0(VALU_DEP_1) | instskip(NEXT) | instid1(VALU_DEP_2)
	v_mul_lo_u32 v5, v5, s16
	v_mul_lo_u32 v7, v7, s18
	s_delay_alu instid0(VALU_DEP_1) | instskip(NEXT) | instid1(VALU_DEP_1)
	v_sub_nc_u32_e32 v5, v5, v7
	v_cmp_lt_u32_e32 vcc_lo, s20, v5
	v_cmpx_ge_u32_e64 s20, v5
	s_cbranch_execz .LBB1872_66
; %bb.65:
	v_dual_add_nc_u32 v5, s22, v17 :: v_dual_add_nc_u32 v7, s42, v17
	s_delay_alu instid0(VALU_DEP_1) | instskip(NEXT) | instid1(VALU_DEP_2)
	v_mul_lo_u32 v5, v5, s21
	v_mul_lo_u32 v7, v7, s23
	s_delay_alu instid0(VALU_DEP_1) | instskip(NEXT) | instid1(VALU_DEP_1)
	v_sub_nc_u32_e32 v5, v5, v7
	v_cmp_lt_u32_e64 s0, s43, v5
	s_and_b32 s2, s0, exec_lo
.LBB1872_66:
	s_or_b32 exec_lo, exec_lo, s3
	v_cndmask_b32_e64 v5, 0, 1, vcc_lo
	v_lshrrev_b32_e32 v7, 24, v4
	v_cndmask_b32_e64 v23, 0, 1, s2
	v_lshlrev_b16 v9, 8, v9
	v_lshlrev_b16 v22, 8, v22
	v_lshlrev_b16 v5, 8, v5
	v_lshlrev_b16 v7, 8, v7
	s_delay_alu instid0(VALU_DEP_4) | instskip(NEXT) | instid1(VALU_DEP_4)
	v_bitop3_b16 v8, v8, v9, 0xff bitop3:0xec
	v_bitop3_b16 v4, v4, v22, 0xff bitop3:0xec
	s_delay_alu instid0(VALU_DEP_4) | instskip(NEXT) | instid1(VALU_DEP_3)
	v_bitop3_b16 v5, v6, v5, 0xff bitop3:0xec
	v_dual_lshlrev_b32 v7, 16, v8 :: v_dual_bitop2_b32 v6, v23, v7 bitop3:0x54
	s_delay_alu instid0(VALU_DEP_3) | instskip(NEXT) | instid1(VALU_DEP_3)
	v_and_b32_e32 v4, 0xffff, v4
	v_and_b32_e32 v5, 0xffff, v5
	s_delay_alu instid0(VALU_DEP_1) | instskip(NEXT) | instid1(VALU_DEP_1)
	v_dual_lshlrev_b32 v6, 16, v6 :: v_dual_bitop2_b32 v7, v5, v7 bitop3:0x54
	v_or_b32_e32 v5, v4, v6
.LBB1872_67:
	s_or_b32 exec_lo, exec_lo, s1
	s_delay_alu instid0(VALU_DEP_2) | instskip(NEXT) | instid1(VALU_DEP_1)
	v_dual_add_nc_u32 v4, 6, v30 :: v_dual_lshrrev_b32 v6, 8, v7
                                        ; implicit-def: $vgpr32
	v_cmp_le_u32_e32 vcc_lo, s6, v4
                                        ; implicit-def: $vgpr4
	s_and_saveexec_b32 s0, vcc_lo
	s_delay_alu instid0(SALU_CYCLE_1)
	s_xor_b32 s0, exec_lo, s0
	s_cbranch_execz .LBB1872_69
; %bb.68:
	v_lshlrev_b16 v4, 8, v6
	v_and_b32_e32 v6, 0xff0000, v5
	v_perm_b32 v3, v3, v3, 0x3060504
	s_delay_alu instid0(VALU_DEP_3) | instskip(NEXT) | instid1(VALU_DEP_3)
	v_bitop3_b16 v4, v7, v4, 0xff bitop3:0xec
	v_perm_b32 v32, v5, v6, 0x3020504
                                        ; implicit-def: $vgpr6
                                        ; implicit-def: $vgpr5
	s_delay_alu instid0(VALU_DEP_2) | instskip(NEXT) | instid1(VALU_DEP_1)
	v_and_b32_e32 v4, 0xffff, v4
	v_and_or_b32 v4, 0xff000000, v7, v4
                                        ; implicit-def: $vgpr7
.LBB1872_69:
	s_and_not1_saveexec_b32 s1, s0
	s_cbranch_execz .LBB1872_73
; %bb.70:
	v_dual_add_nc_u32 v4, s17, v14 :: v_dual_add_nc_u32 v8, s19, v14
	s_mov_b32 s2, 0
	s_mov_b32 s3, exec_lo
	s_delay_alu instid0(VALU_DEP_1) | instskip(NEXT) | instid1(VALU_DEP_2)
	v_mul_lo_u32 v4, v4, s16
	v_mul_lo_u32 v8, v8, s18
	s_delay_alu instid0(VALU_DEP_1) | instskip(NEXT) | instid1(VALU_DEP_1)
	v_sub_nc_u32_e32 v4, v4, v8
	v_cmp_lt_u32_e32 vcc_lo, s20, v4
	v_cmpx_ge_u32_e64 s20, v4
	s_cbranch_execz .LBB1872_72
; %bb.71:
	v_dual_add_nc_u32 v4, s22, v14 :: v_dual_add_nc_u32 v8, s42, v14
	s_delay_alu instid0(VALU_DEP_1) | instskip(NEXT) | instid1(VALU_DEP_2)
	v_mul_lo_u32 v4, v4, s21
	v_mul_lo_u32 v8, v8, s23
	s_delay_alu instid0(VALU_DEP_1) | instskip(NEXT) | instid1(VALU_DEP_1)
	v_sub_nc_u32_e32 v4, v4, v8
	v_cmp_lt_u32_e64 s0, s43, v4
	s_and_b32 s2, s0, exec_lo
.LBB1872_72:
	s_or_b32 exec_lo, exec_lo, s3
	v_dual_lshrrev_b32 v4, 24, v7 :: v_dual_lshrrev_b32 v22, 8, v5
	v_cndmask_b32_e64 v8, 0, 1, s2
	v_cndmask_b32_e64 v9, 0, 1, vcc_lo
	v_lshlrev_b16 v6, 8, v6
	s_delay_alu instid0(VALU_DEP_4)
	v_lshlrev_b16 v4, 8, v4
	v_lshrrev_b32_e32 v23, 16, v5
	v_lshlrev_b16 v8, 8, v8
	v_lshlrev_b16 v22, 8, v22
	v_bitop3_b16 v6, v7, v6, 0xff bitop3:0xec
	v_or_b32_e32 v4, v9, v4
	s_delay_alu instid0(VALU_DEP_4) | instskip(NEXT) | instid1(VALU_DEP_4)
	v_bitop3_b16 v7, v23, v8, 0xff bitop3:0xec
	v_bitop3_b16 v5, v5, v22, 0xff bitop3:0xec
	s_delay_alu instid0(VALU_DEP_4) | instskip(NEXT) | instid1(VALU_DEP_3)
	v_and_b32_e32 v6, 0xffff, v6
	v_dual_lshlrev_b32 v4, 16, v4 :: v_dual_lshlrev_b32 v7, 16, v7
	s_delay_alu instid0(VALU_DEP_3) | instskip(NEXT) | instid1(VALU_DEP_2)
	v_and_b32_e32 v5, 0xffff, v5
	v_or_b32_e32 v4, v6, v4
	s_delay_alu instid0(VALU_DEP_2)
	v_or_b32_e32 v32, v5, v7
.LBB1872_73:
	s_or_b32 exec_lo, exec_lo, s1
	v_dual_add_nc_u32 v7, 7, v30 :: v_dual_lshrrev_b32 v5, 8, v3
	v_lshrrev_b32_e32 v6, 16, v3
                                        ; implicit-def: $vgpr33
	s_delay_alu instid0(VALU_DEP_2) | instskip(SKIP_2) | instid1(SALU_CYCLE_1)
	v_cmp_le_u32_e32 vcc_lo, s6, v7
	v_lshrrev_b32_e32 v7, 24, v3
                                        ; implicit-def: $vgpr3
	s_and_saveexec_b32 s0, vcc_lo
	s_xor_b32 s0, exec_lo, s0
	s_cbranch_execz .LBB1872_75
; %bb.74:
	s_delay_alu instid0(VALU_DEP_1) | instskip(SKIP_1) | instid1(VALU_DEP_2)
	v_lshlrev_b16 v3, 8, v7
	v_lshlrev_b16 v5, 8, v5
                                        ; implicit-def: $vgpr7
	v_bitop3_b16 v3, v6, v3, 0xff bitop3:0xec
	v_and_b32_e32 v6, 0xff0000, v4
	s_delay_alu instid0(VALU_DEP_3) | instskip(NEXT) | instid1(VALU_DEP_3)
	v_and_b32_e32 v5, 0xffff, v5
	v_lshlrev_b32_e32 v3, 16, v3
	s_delay_alu instid0(VALU_DEP_3) | instskip(NEXT) | instid1(VALU_DEP_2)
	v_perm_b32 v33, v4, v6, 0x3020504
                                        ; implicit-def: $vgpr4
                                        ; implicit-def: $vgpr6
	v_or_b32_e32 v3, v5, v3
                                        ; implicit-def: $vgpr5
.LBB1872_75:
	s_and_not1_saveexec_b32 s1, s0
	s_cbranch_execz .LBB1872_79
; %bb.76:
	v_dual_add_nc_u32 v3, s17, v15 :: v_dual_add_nc_u32 v8, s19, v15
	s_mov_b32 s2, 0
	s_mov_b32 s3, exec_lo
	s_delay_alu instid0(VALU_DEP_1) | instskip(NEXT) | instid1(VALU_DEP_2)
	v_mul_lo_u32 v3, v3, s16
	v_mul_lo_u32 v8, v8, s18
	s_delay_alu instid0(VALU_DEP_1) | instskip(NEXT) | instid1(VALU_DEP_1)
	v_sub_nc_u32_e32 v3, v3, v8
	v_cmp_lt_u32_e32 vcc_lo, s20, v3
	v_cmpx_ge_u32_e64 s20, v3
	s_cbranch_execz .LBB1872_78
; %bb.77:
	v_dual_add_nc_u32 v3, s22, v15 :: v_dual_add_nc_u32 v8, s42, v15
	s_delay_alu instid0(VALU_DEP_1) | instskip(NEXT) | instid1(VALU_DEP_2)
	v_mul_lo_u32 v3, v3, s21
	v_mul_lo_u32 v8, v8, s23
	s_delay_alu instid0(VALU_DEP_1) | instskip(NEXT) | instid1(VALU_DEP_1)
	v_sub_nc_u32_e32 v3, v3, v8
	v_cmp_lt_u32_e64 s0, s43, v3
	s_and_b32 s2, s0, exec_lo
.LBB1872_78:
	s_or_b32 exec_lo, exec_lo, s3
	v_cndmask_b32_e64 v3, 0, 1, vcc_lo
	v_dual_lshrrev_b32 v8, 8, v4 :: v_dual_lshrrev_b32 v22, 16, v4
	v_cndmask_b32_e64 v9, 0, 1, s2
	v_lshlrev_b16 v7, 8, v7
	s_delay_alu instid0(VALU_DEP_4) | instskip(NEXT) | instid1(VALU_DEP_4)
	v_lshlrev_b16 v3, 8, v3
	v_lshlrev_b16 v8, 8, v8
	;; [unrolled: 1-line block ×3, first 2 shown]
	s_delay_alu instid0(VALU_DEP_4) | instskip(NEXT) | instid1(VALU_DEP_4)
	v_bitop3_b16 v6, v6, v7, 0xff bitop3:0xec
	v_bitop3_b16 v3, v22, v3, 0xff bitop3:0xec
	s_delay_alu instid0(VALU_DEP_4) | instskip(NEXT) | instid1(VALU_DEP_3)
	v_bitop3_b16 v4, v4, v8, 0xff bitop3:0xec
	v_dual_lshlrev_b32 v6, 16, v6 :: v_dual_bitop2_b32 v5, v9, v5 bitop3:0x54
	s_delay_alu instid0(VALU_DEP_3) | instskip(NEXT) | instid1(VALU_DEP_3)
	v_lshlrev_b32_e32 v3, 16, v3
	v_and_b32_e32 v4, 0xffff, v4
	s_delay_alu instid0(VALU_DEP_3) | instskip(NEXT) | instid1(VALU_DEP_2)
	v_and_b32_e32 v5, 0xffff, v5
	v_or_b32_e32 v33, v4, v3
	s_delay_alu instid0(VALU_DEP_2)
	v_or_b32_e32 v3, v5, v6
.LBB1872_79:
	s_or_b32 exec_lo, exec_lo, s1
	s_delay_alu instid0(VALU_DEP_1) | instskip(SKIP_2) | instid1(VALU_DEP_3)
	v_dual_add_nc_u32 v4, 8, v30 :: v_dual_lshrrev_b32 v5, 16, v3
	v_dual_lshrrev_b32 v6, 24, v3 :: v_dual_lshrrev_b32 v9, 24, v2
	v_dual_lshrrev_b32 v7, 16, v2 :: v_dual_lshrrev_b32 v8, 8, v2
	v_cmp_le_u32_e32 vcc_lo, s6, v4
                                        ; implicit-def: $vgpr2
                                        ; implicit-def: $vgpr4
	s_and_saveexec_b32 s0, vcc_lo
	s_delay_alu instid0(SALU_CYCLE_1)
	s_xor_b32 s0, exec_lo, s0
	s_cbranch_execz .LBB1872_81
; %bb.80:
	v_lshlrev_b16 v2, 8, v9
	v_lshlrev_b16 v4, 8, v8
	;; [unrolled: 1-line block ×3, first 2 shown]
	v_perm_b32 v1, v1, v1, 0x3060504
                                        ; implicit-def: $vgpr9
                                        ; implicit-def: $vgpr8
	s_delay_alu instid0(VALU_DEP_4) | instskip(NEXT) | instid1(VALU_DEP_4)
	v_bitop3_b16 v2, v7, v2, 0xff bitop3:0xec
	v_and_b32_e32 v4, 0xffff, v4
	s_delay_alu instid0(VALU_DEP_4) | instskip(NEXT) | instid1(VALU_DEP_3)
	v_bitop3_b16 v5, v5, v6, 0xff bitop3:0xec
                                        ; implicit-def: $vgpr6
                                        ; implicit-def: $vgpr7
	v_lshlrev_b32_e32 v2, 16, v2
	s_delay_alu instid0(VALU_DEP_1) | instskip(NEXT) | instid1(VALU_DEP_3)
	v_or_b32_e32 v4, v4, v2
	v_perm_b32 v2, v5, v3, 0x5040c00
                                        ; implicit-def: $vgpr3
                                        ; implicit-def: $vgpr5
.LBB1872_81:
	s_and_not1_saveexec_b32 s1, s0
	s_cbranch_execz .LBB1872_85
; %bb.82:
	v_dual_add_nc_u32 v2, s17, v12 :: v_dual_add_nc_u32 v4, s19, v12
	s_mov_b32 s2, 0
	s_mov_b32 s3, exec_lo
	s_delay_alu instid0(VALU_DEP_1) | instskip(NEXT) | instid1(VALU_DEP_2)
	v_mul_lo_u32 v2, v2, s16
	v_mul_lo_u32 v4, v4, s18
	s_delay_alu instid0(VALU_DEP_1) | instskip(NEXT) | instid1(VALU_DEP_1)
	v_sub_nc_u32_e32 v2, v2, v4
	v_cmp_lt_u32_e32 vcc_lo, s20, v2
	v_cmpx_ge_u32_e64 s20, v2
	s_cbranch_execz .LBB1872_84
; %bb.83:
	v_dual_add_nc_u32 v2, s22, v12 :: v_dual_add_nc_u32 v4, s42, v12
	s_delay_alu instid0(VALU_DEP_1) | instskip(NEXT) | instid1(VALU_DEP_2)
	v_mul_lo_u32 v2, v2, s21
	v_mul_lo_u32 v4, v4, s23
	s_delay_alu instid0(VALU_DEP_1) | instskip(NEXT) | instid1(VALU_DEP_1)
	v_sub_nc_u32_e32 v2, v2, v4
	v_cmp_lt_u32_e64 s0, s43, v2
	s_and_b32 s2, s0, exec_lo
.LBB1872_84:
	s_or_b32 exec_lo, exec_lo, s3
	v_cndmask_b32_e64 v2, 0, 1, s2
	v_cndmask_b32_e64 v4, 0, 1, vcc_lo
	v_lshlrev_b16 v9, 8, v9
	v_lshlrev_b16 v8, 8, v8
	;; [unrolled: 1-line block ×4, first 2 shown]
	s_delay_alu instid0(VALU_DEP_4) | instskip(NEXT) | instid1(VALU_DEP_4)
	v_bitop3_b16 v7, v7, v9, 0xff bitop3:0xec
	v_or_b32_e32 v4, v4, v8
	s_delay_alu instid0(VALU_DEP_4) | instskip(NEXT) | instid1(VALU_DEP_4)
	v_bitop3_b16 v5, v5, v6, 0xff bitop3:0xec
	v_bitop3_b16 v2, v3, v2, 0xff bitop3:0xec
	s_delay_alu instid0(VALU_DEP_4) | instskip(NEXT) | instid1(VALU_DEP_4)
	v_lshlrev_b32_e32 v3, 16, v7
	v_and_b32_e32 v4, 0xffff, v4
	s_delay_alu instid0(VALU_DEP_4) | instskip(NEXT) | instid1(VALU_DEP_4)
	v_lshlrev_b32_e32 v5, 16, v5
	v_and_b32_e32 v2, 0xffff, v2
	s_delay_alu instid0(VALU_DEP_3) | instskip(NEXT) | instid1(VALU_DEP_2)
	v_or_b32_e32 v4, v4, v3
	v_or_b32_e32 v2, v2, v5
.LBB1872_85:
	s_or_b32 exec_lo, exec_lo, s1
	s_delay_alu instid0(VALU_DEP_2) | instskip(NEXT) | instid1(VALU_DEP_2)
	v_dual_add_nc_u32 v3, 9, v30 :: v_dual_lshrrev_b32 v8, 24, v4
	v_dual_lshrrev_b32 v7, 8, v2 :: v_dual_lshrrev_b32 v6, 16, v4
                                        ; implicit-def: $vgpr5
	s_delay_alu instid0(VALU_DEP_2) | instskip(SKIP_1) | instid1(SALU_CYCLE_1)
	v_cmp_le_u32_e32 vcc_lo, s6, v3
                                        ; implicit-def: $vgpr3
	s_and_saveexec_b32 s0, vcc_lo
	s_xor_b32 s0, exec_lo, s0
	s_cbranch_execz .LBB1872_87
; %bb.86:
	v_lshlrev_b16 v3, 8, v7
	v_lshlrev_b16 v5, 8, v8
	v_perm_b32 v1, v1, v1, 0x3060504
                                        ; implicit-def: $vgpr7
                                        ; implicit-def: $vgpr8
	s_delay_alu instid0(VALU_DEP_3) | instskip(NEXT) | instid1(VALU_DEP_3)
	v_bitop3_b16 v3, v2, v3, 0xff bitop3:0xec
	v_bitop3_b16 v5, v6, v5, 0xff bitop3:0xec
                                        ; implicit-def: $vgpr6
	s_delay_alu instid0(VALU_DEP_2) | instskip(NEXT) | instid1(VALU_DEP_2)
	v_and_b32_e32 v3, 0xffff, v3
	v_perm_b32 v5, v5, v4, 0x5040c00
                                        ; implicit-def: $vgpr4
	s_delay_alu instid0(VALU_DEP_2)
	v_and_or_b32 v3, 0xff000000, v2, v3
                                        ; implicit-def: $vgpr2
.LBB1872_87:
	s_and_not1_saveexec_b32 s1, s0
	s_cbranch_execz .LBB1872_91
; %bb.88:
	v_dual_add_nc_u32 v3, s17, v13 :: v_dual_add_nc_u32 v5, s19, v13
	s_mov_b32 s2, 0
	s_mov_b32 s3, exec_lo
	s_delay_alu instid0(VALU_DEP_1) | instskip(NEXT) | instid1(VALU_DEP_2)
	v_mul_lo_u32 v3, v3, s16
	v_mul_lo_u32 v5, v5, s18
	s_delay_alu instid0(VALU_DEP_1) | instskip(NEXT) | instid1(VALU_DEP_1)
	v_sub_nc_u32_e32 v3, v3, v5
	v_cmp_lt_u32_e32 vcc_lo, s20, v3
	v_cmpx_ge_u32_e64 s20, v3
	s_cbranch_execz .LBB1872_90
; %bb.89:
	v_dual_add_nc_u32 v3, s22, v13 :: v_dual_add_nc_u32 v5, s42, v13
	s_delay_alu instid0(VALU_DEP_1) | instskip(NEXT) | instid1(VALU_DEP_2)
	v_mul_lo_u32 v3, v3, s21
	v_mul_lo_u32 v5, v5, s23
	s_delay_alu instid0(VALU_DEP_1) | instskip(NEXT) | instid1(VALU_DEP_1)
	v_sub_nc_u32_e32 v3, v3, v5
	v_cmp_lt_u32_e64 s0, s43, v3
	s_and_b32 s2, s0, exec_lo
.LBB1872_90:
	s_or_b32 exec_lo, exec_lo, s3
	v_cndmask_b32_e64 v3, 0, 1, vcc_lo
	v_lshrrev_b32_e32 v5, 24, v2
	v_cndmask_b32_e64 v9, 0, 1, s2
	v_lshlrev_b16 v8, 8, v8
	v_lshlrev_b16 v7, 8, v7
	;; [unrolled: 1-line block ×4, first 2 shown]
	s_delay_alu instid0(VALU_DEP_4) | instskip(NEXT) | instid1(VALU_DEP_4)
	v_bitop3_b16 v6, v6, v8, 0xff bitop3:0xec
	v_bitop3_b16 v2, v2, v7, 0xff bitop3:0xec
	s_delay_alu instid0(VALU_DEP_4) | instskip(NEXT) | instid1(VALU_DEP_3)
	v_bitop3_b16 v3, v4, v3, 0xff bitop3:0xec
	v_dual_lshlrev_b32 v5, 16, v6 :: v_dual_bitop2_b32 v4, v9, v5 bitop3:0x54
	s_delay_alu instid0(VALU_DEP_3) | instskip(NEXT) | instid1(VALU_DEP_3)
	v_and_b32_e32 v2, 0xffff, v2
	v_and_b32_e32 v3, 0xffff, v3
	s_delay_alu instid0(VALU_DEP_1) | instskip(NEXT) | instid1(VALU_DEP_1)
	v_dual_lshlrev_b32 v4, 16, v4 :: v_dual_bitop2_b32 v5, v3, v5 bitop3:0x54
	v_or_b32_e32 v3, v2, v4
.LBB1872_91:
	s_or_b32 exec_lo, exec_lo, s1
	s_delay_alu instid0(VALU_DEP_2) | instskip(NEXT) | instid1(VALU_DEP_1)
	v_dual_add_nc_u32 v2, 10, v30 :: v_dual_lshrrev_b32 v4, 8, v5
                                        ; implicit-def: $vgpr35
	v_cmp_le_u32_e32 vcc_lo, s6, v2
                                        ; implicit-def: $vgpr2
	s_and_saveexec_b32 s0, vcc_lo
	s_delay_alu instid0(SALU_CYCLE_1)
	s_xor_b32 s0, exec_lo, s0
	s_cbranch_execz .LBB1872_93
; %bb.92:
	v_lshlrev_b16 v2, 8, v4
	v_and_b32_e32 v4, 0xff0000, v3
	v_perm_b32 v1, v1, v1, 0x3060504
	s_delay_alu instid0(VALU_DEP_3) | instskip(NEXT) | instid1(VALU_DEP_3)
	v_bitop3_b16 v2, v5, v2, 0xff bitop3:0xec
	v_perm_b32 v35, v3, v4, 0x3020504
                                        ; implicit-def: $vgpr4
                                        ; implicit-def: $vgpr3
	s_delay_alu instid0(VALU_DEP_2) | instskip(NEXT) | instid1(VALU_DEP_1)
	v_and_b32_e32 v2, 0xffff, v2
	v_and_or_b32 v2, 0xff000000, v5, v2
                                        ; implicit-def: $vgpr5
.LBB1872_93:
	s_and_not1_saveexec_b32 s1, s0
	s_cbranch_execz .LBB1872_97
; %bb.94:
	v_dual_add_nc_u32 v2, s17, v10 :: v_dual_add_nc_u32 v6, s19, v10
	s_mov_b32 s2, 0
	s_mov_b32 s3, exec_lo
	s_delay_alu instid0(VALU_DEP_1) | instskip(NEXT) | instid1(VALU_DEP_2)
	v_mul_lo_u32 v2, v2, s16
	v_mul_lo_u32 v6, v6, s18
	s_delay_alu instid0(VALU_DEP_1) | instskip(NEXT) | instid1(VALU_DEP_1)
	v_sub_nc_u32_e32 v2, v2, v6
	v_cmp_lt_u32_e32 vcc_lo, s20, v2
	v_cmpx_ge_u32_e64 s20, v2
	s_cbranch_execz .LBB1872_96
; %bb.95:
	v_dual_add_nc_u32 v2, s22, v10 :: v_dual_add_nc_u32 v6, s42, v10
	s_delay_alu instid0(VALU_DEP_1) | instskip(NEXT) | instid1(VALU_DEP_2)
	v_mul_lo_u32 v2, v2, s21
	v_mul_lo_u32 v6, v6, s23
	s_delay_alu instid0(VALU_DEP_1) | instskip(NEXT) | instid1(VALU_DEP_1)
	v_sub_nc_u32_e32 v2, v2, v6
	v_cmp_lt_u32_e64 s0, s43, v2
	s_and_b32 s2, s0, exec_lo
.LBB1872_96:
	s_or_b32 exec_lo, exec_lo, s3
	v_dual_lshrrev_b32 v2, 24, v5 :: v_dual_lshrrev_b32 v8, 8, v3
	v_cndmask_b32_e64 v6, 0, 1, s2
	v_cndmask_b32_e64 v7, 0, 1, vcc_lo
	v_lshlrev_b16 v4, 8, v4
	s_delay_alu instid0(VALU_DEP_4)
	v_lshlrev_b16 v2, 8, v2
	v_lshrrev_b32_e32 v9, 16, v3
	v_lshlrev_b16 v6, 8, v6
	v_lshlrev_b16 v8, 8, v8
	v_bitop3_b16 v4, v5, v4, 0xff bitop3:0xec
	v_or_b32_e32 v2, v7, v2
	s_delay_alu instid0(VALU_DEP_4) | instskip(NEXT) | instid1(VALU_DEP_4)
	v_bitop3_b16 v5, v9, v6, 0xff bitop3:0xec
	v_bitop3_b16 v3, v3, v8, 0xff bitop3:0xec
	s_delay_alu instid0(VALU_DEP_4) | instskip(NEXT) | instid1(VALU_DEP_3)
	v_and_b32_e32 v4, 0xffff, v4
	v_dual_lshlrev_b32 v2, 16, v2 :: v_dual_lshlrev_b32 v5, 16, v5
	s_delay_alu instid0(VALU_DEP_3) | instskip(NEXT) | instid1(VALU_DEP_2)
	v_and_b32_e32 v3, 0xffff, v3
	v_or_b32_e32 v2, v4, v2
	s_delay_alu instid0(VALU_DEP_2)
	v_or_b32_e32 v35, v3, v5
.LBB1872_97:
	s_or_b32 exec_lo, exec_lo, s1
	v_dual_mov_b32 v34, 0 :: v_dual_add_nc_u32 v3, 11, v30
	s_mov_b32 s0, exec_lo
                                        ; implicit-def: $vgpr36
	s_delay_alu instid0(VALU_DEP_1)
	v_cmpx_le_u32_e64 s6, v3
	s_xor_b32 s0, exec_lo, s0
; %bb.98:
	v_and_b32_e32 v3, 0xff0000, v2
	v_perm_b32 v1, v1, v1, 0x3060504
	s_delay_alu instid0(VALU_DEP_2)
	v_perm_b32 v36, v2, v3, 0x3020504
                                        ; implicit-def: $vgpr2
; %bb.99:
	s_and_not1_saveexec_b32 s1, s0
	s_cbranch_execz .LBB1872_103
; %bb.100:
	v_dual_add_nc_u32 v3, s17, v11 :: v_dual_add_nc_u32 v4, s19, v11
	s_mov_b32 s2, 0
	s_mov_b32 s3, exec_lo
	s_delay_alu instid0(VALU_DEP_1) | instskip(NEXT) | instid1(VALU_DEP_2)
	v_mul_lo_u32 v3, v3, s16
	v_mul_lo_u32 v4, v4, s18
	s_delay_alu instid0(VALU_DEP_1) | instskip(NEXT) | instid1(VALU_DEP_1)
	v_sub_nc_u32_e32 v3, v3, v4
	v_cmp_lt_u32_e32 vcc_lo, s20, v3
	v_cmpx_ge_u32_e64 s20, v3
	s_cbranch_execz .LBB1872_102
; %bb.101:
	v_dual_add_nc_u32 v3, s22, v11 :: v_dual_add_nc_u32 v4, s42, v11
	s_delay_alu instid0(VALU_DEP_1) | instskip(NEXT) | instid1(VALU_DEP_2)
	v_mul_lo_u32 v3, v3, s21
	v_mul_lo_u32 v4, v4, s23
	s_delay_alu instid0(VALU_DEP_1) | instskip(NEXT) | instid1(VALU_DEP_1)
	v_sub_nc_u32_e32 v3, v3, v4
	v_cmp_lt_u32_e64 s0, s43, v3
	s_and_b32 s2, s0, exec_lo
.LBB1872_102:
	s_or_b32 exec_lo, exec_lo, s3
	v_cndmask_b32_e64 v3, 0, 1, vcc_lo
	v_dual_lshrrev_b32 v4, 8, v2 :: v_dual_lshrrev_b32 v5, 16, v2
	v_cndmask_b32_e64 v34, 0, 1, s2
	s_delay_alu instid0(VALU_DEP_3) | instskip(NEXT) | instid1(VALU_DEP_3)
	v_lshlrev_b16 v3, 8, v3
	v_lshlrev_b16 v4, 8, v4
	s_delay_alu instid0(VALU_DEP_2) | instskip(NEXT) | instid1(VALU_DEP_2)
	v_bitop3_b16 v3, v5, v3, 0xff bitop3:0xec
	v_bitop3_b16 v2, v2, v4, 0xff bitop3:0xec
	s_delay_alu instid0(VALU_DEP_2) | instskip(NEXT) | instid1(VALU_DEP_2)
	v_lshlrev_b32_e32 v3, 16, v3
	v_and_b32_e32 v2, 0xffff, v2
	s_delay_alu instid0(VALU_DEP_1)
	v_or_b32_e32 v36, v2, v3
.LBB1872_103:
	s_or_b32 exec_lo, exec_lo, s1
	v_dual_add_nc_u32 v4, 12, v30 :: v_dual_lshrrev_b32 v2, 8, v1
	v_dual_lshrrev_b32 v3, 16, v1 :: v_dual_lshrrev_b32 v1, 24, v1
	s_mov_b32 s0, exec_lo
                                        ; implicit-def: $vgpr37
	s_delay_alu instid0(VALU_DEP_2)
	v_cmpx_le_u32_e64 s6, v4
	s_xor_b32 s0, exec_lo, s0
; %bb.104:
	s_delay_alu instid0(VALU_DEP_2) | instskip(SKIP_1) | instid1(VALU_DEP_2)
	v_lshlrev_b16 v1, 8, v1
	v_lshlrev_b16 v2, 8, v2
	v_bitop3_b16 v1, v3, v1, 0xff bitop3:0xec
	s_delay_alu instid0(VALU_DEP_2) | instskip(NEXT) | instid1(VALU_DEP_2)
	v_and_b32_e32 v2, 0xffff, v2
                                        ; implicit-def: $vgpr3
	v_lshlrev_b32_e32 v1, 16, v1
	s_delay_alu instid0(VALU_DEP_1)
	v_or_b32_e32 v37, v2, v1
                                        ; implicit-def: $vgpr1
                                        ; implicit-def: $vgpr2
; %bb.105:
	s_or_saveexec_b32 s1, s0
	v_mov_b32_e32 v38, 0
	s_xor_b32 exec_lo, exec_lo, s1
	s_cbranch_execz .LBB1872_109
; %bb.106:
	v_dual_add_nc_u32 v4, s19, v28 :: v_dual_add_nc_u32 v5, s17, v28
	s_mov_b32 s2, 0
	s_mov_b32 s3, exec_lo
	s_delay_alu instid0(VALU_DEP_1) | instskip(NEXT) | instid1(VALU_DEP_2)
	v_mul_lo_u32 v4, v4, s18
	v_mul_lo_u32 v5, v5, s16
	s_delay_alu instid0(VALU_DEP_1) | instskip(NEXT) | instid1(VALU_DEP_1)
	v_sub_nc_u32_e32 v4, v5, v4
	v_cmp_lt_u32_e32 vcc_lo, s20, v4
	v_cmpx_ge_u32_e64 s20, v4
	s_cbranch_execz .LBB1872_108
; %bb.107:
	v_dual_add_nc_u32 v4, s42, v28 :: v_dual_add_nc_u32 v5, s22, v28
	s_delay_alu instid0(VALU_DEP_1) | instskip(NEXT) | instid1(VALU_DEP_2)
	v_mul_lo_u32 v4, v4, s23
	v_mul_lo_u32 v5, v5, s21
	s_delay_alu instid0(VALU_DEP_1) | instskip(NEXT) | instid1(VALU_DEP_1)
	v_sub_nc_u32_e32 v4, v5, v4
	v_cmp_lt_u32_e64 s0, s43, v4
	s_and_b32 s2, s0, exec_lo
.LBB1872_108:
	s_or_b32 exec_lo, exec_lo, s3
	v_cndmask_b32_e64 v4, 0, 1, vcc_lo
	v_lshlrev_b16 v1, 8, v1
	v_lshlrev_b16 v2, 8, v2
	v_cndmask_b32_e64 v38, 0, 1, s2
	s_delay_alu instid0(VALU_DEP_3) | instskip(NEXT) | instid1(VALU_DEP_1)
	v_bitop3_b16 v1, v3, v1, 0xff bitop3:0xec
	v_dual_lshlrev_b32 v1, 16, v1 :: v_dual_bitop2_b32 v2, v4, v2 bitop3:0x54
	s_delay_alu instid0(VALU_DEP_1) | instskip(NEXT) | instid1(VALU_DEP_1)
	v_and_b32_e32 v2, 0xffff, v2
	v_or_b32_e32 v37, v2, v1
.LBB1872_109:
	s_or_b32 exec_lo, exec_lo, s1
.LBB1872_110:
	v_and_b32_e32 v61, 0xff, v31
	s_delay_alu instid0(VALU_DEP_2)
	v_bfe_u32 v62, v37, 8, 8
	v_bfe_u32 v59, v31, 8, 8
	;; [unrolled: 1-line block ×4, first 2 shown]
	v_dual_lshrrev_b32 v44, 24, v37 :: v_dual_lshrrev_b32 v43, 24, v31
	v_and_b32_e32 v57, 0xff, v32
	v_and_b32_e32 v55, 0xff, v33
	v_bfe_u32 v56, v32, 8, 8
	v_add3_u32 v1, v59, v61, v58
	v_add3_u32 v2, v60, v62, v44
	v_bfe_u32 v53, v33, 8, 8
	v_bfe_u32 v54, v32, 16, 8
	;; [unrolled: 1-line block ×3, first 2 shown]
	v_dual_lshrrev_b32 v42, 24, v32 :: v_dual_lshrrev_b32 v41, 24, v33
	v_add3_u32 v1, v1, v43, v55
	v_add3_u32 v2, v2, v57, v56
	v_and_b32_e32 v52, 0xff, v35
	v_and_b32_e32 v48, 0xff, v36
	v_bfe_u32 v50, v35, 8, 8
	v_add3_u32 v1, v1, v53, v51
	v_add3_u32 v2, v2, v54, v42
	v_bfe_u32 v47, v36, 8, 8
	v_bfe_u32 v49, v35, 16, 8
	;; [unrolled: 1-line block ×3, first 2 shown]
	v_dual_lshrrev_b32 v40, 24, v35 :: v_dual_lshrrev_b32 v39, 24, v36
	v_add3_u32 v1, v1, v41, v48
	v_add3_u32 v2, v2, v52, v50
	v_mbcnt_lo_u32_b32 v63, -1, 0
	v_and_b32_e32 v45, 0xff, v34
	v_and_b32_e32 v3, 0xff, v37
	;; [unrolled: 1-line block ×3, first 2 shown]
	v_add3_u32 v1, v1, v47, v46
	v_add3_u32 v2, v2, v49, v40
	v_dual_lshrrev_b32 v64, 5, v0 :: v_dual_bitop2_b32 v65, 15, v63 bitop3:0x40
	v_and_b32_e32 v67, 16, v63
	s_delay_alu instid0(VALU_DEP_4) | instskip(NEXT) | instid1(VALU_DEP_4)
	v_add3_u32 v68, v1, v39, v3
	v_add3_u32 v69, v2, v45, v4
	s_wait_xcnt 0x0
	v_cmp_eq_u32_e64 s1, 0, v65
	v_cmp_lt_u32_e64 s0, 1, v65
	v_cmp_lt_u32_e64 s2, 3, v65
	v_or_b32_e32 v66, 31, v0
	s_cmp_lg_u32 s33, 0
	s_mov_b32 s3, -1
	v_cmp_lt_u32_e32 vcc_lo, 7, v65
	s_cbranch_scc0 .LBB1872_131
; %bb.111:
	v_mov_b32_dpp v1, v69 row_shr:1 row_mask:0xf bank_mask:0xf
	v_mov_b32_dpp v2, v68 row_shr:1 row_mask:0xf bank_mask:0xf
	s_mov_b32 s3, exec_lo
	s_delay_alu instid0(VALU_DEP_1) | instskip(NEXT) | instid1(VALU_DEP_1)
	v_dual_add_nc_u32 v1, v1, v69 :: v_dual_add_nc_u32 v2, v2, v68
	v_dual_cndmask_b32 v1, v1, v69, s1 :: v_dual_cndmask_b32 v2, v2, v68, s1
	s_delay_alu instid0(VALU_DEP_1) | instskip(NEXT) | instid1(VALU_DEP_2)
	v_mov_b32_dpp v3, v1 row_shr:2 row_mask:0xf bank_mask:0xf
	v_mov_b32_dpp v4, v2 row_shr:2 row_mask:0xf bank_mask:0xf
	s_delay_alu instid0(VALU_DEP_1) | instskip(NEXT) | instid1(VALU_DEP_1)
	v_dual_add_nc_u32 v3, v1, v3 :: v_dual_add_nc_u32 v4, v2, v4
	v_dual_cndmask_b32 v1, v1, v3, s0 :: v_dual_cndmask_b32 v2, v2, v4, s0
	s_delay_alu instid0(VALU_DEP_1) | instskip(NEXT) | instid1(VALU_DEP_2)
	v_mov_b32_dpp v3, v1 row_shr:4 row_mask:0xf bank_mask:0xf
	v_mov_b32_dpp v4, v2 row_shr:4 row_mask:0xf bank_mask:0xf
	;; [unrolled: 6-line block ×3, first 2 shown]
	s_delay_alu instid0(VALU_DEP_1) | instskip(NEXT) | instid1(VALU_DEP_1)
	v_dual_add_nc_u32 v3, v1, v3 :: v_dual_add_nc_u32 v4, v2, v4
	v_dual_cndmask_b32 v1, v1, v3 :: v_dual_cndmask_b32 v2, v2, v4
	v_cmp_eq_u32_e32 vcc_lo, 0, v67
	ds_swizzle_b32 v3, v1 offset:swizzle(BROADCAST,32,15)
	ds_swizzle_b32 v4, v2 offset:swizzle(BROADCAST,32,15)
	s_wait_dscnt 0x0
	v_dual_add_nc_u32 v3, v1, v3 :: v_dual_add_nc_u32 v4, v2, v4
	v_cmpx_eq_u32_e64 v0, v66
; %bb.112:
	s_delay_alu instid0(VALU_DEP_2) | instskip(NEXT) | instid1(VALU_DEP_3)
	v_dual_lshlrev_b32 v5, 3, v64 :: v_dual_cndmask_b32 v7, v3, v1, vcc_lo
	v_cndmask_b32_e32 v6, v4, v2, vcc_lo
	ds_store_b64 v5, v[6:7]
; %bb.113:
	s_or_b32 exec_lo, exec_lo, s3
	s_delay_alu instid0(SALU_CYCLE_1)
	s_mov_b32 s3, exec_lo
	s_wait_dscnt 0x0
	s_barrier_signal -1
	s_barrier_wait -1
	v_cmpx_gt_u32_e32 8, v0
	s_cbranch_execz .LBB1872_115
; %bb.114:
	v_dual_lshlrev_b32 v5, 3, v0 :: v_dual_bitop2_b32 v22, 7, v63 bitop3:0x40
	ds_load_b64 v[6:7], v5
	v_cmp_eq_u32_e64 s2, 0, v22
	s_wait_dscnt 0x0
	v_mov_b32_dpp v8, v6 row_shr:1 row_mask:0xf bank_mask:0xf
	v_mov_b32_dpp v9, v7 row_shr:1 row_mask:0xf bank_mask:0xf
	s_delay_alu instid0(VALU_DEP_1) | instskip(NEXT) | instid1(VALU_DEP_1)
	v_dual_add_nc_u32 v8, v8, v6 :: v_dual_add_nc_u32 v9, v9, v7
	v_dual_cndmask_b32 v6, v8, v6, s2 :: v_dual_cndmask_b32 v7, v9, v7, s2
	v_cmp_lt_u32_e64 s2, 1, v22
	s_delay_alu instid0(VALU_DEP_2) | instskip(NEXT) | instid1(VALU_DEP_3)
	v_mov_b32_dpp v8, v6 row_shr:2 row_mask:0xf bank_mask:0xf
	v_mov_b32_dpp v9, v7 row_shr:2 row_mask:0xf bank_mask:0xf
	s_delay_alu instid0(VALU_DEP_1) | instskip(NEXT) | instid1(VALU_DEP_1)
	v_dual_add_nc_u32 v8, v6, v8 :: v_dual_add_nc_u32 v9, v7, v9
	v_dual_cndmask_b32 v6, v6, v8, s2 :: v_dual_cndmask_b32 v7, v7, v9, s2
	v_cmp_lt_u32_e64 s2, 3, v22
	s_delay_alu instid0(VALU_DEP_2) | instskip(NEXT) | instid1(VALU_DEP_3)
	v_mov_b32_dpp v8, v6 row_shr:4 row_mask:0xf bank_mask:0xf
	v_mov_b32_dpp v9, v7 row_shr:4 row_mask:0xf bank_mask:0xf
	s_delay_alu instid0(VALU_DEP_1) | instskip(NEXT) | instid1(VALU_DEP_1)
	v_dual_cndmask_b32 v8, 0, v8, s2 :: v_dual_cndmask_b32 v9, 0, v9, s2
	v_dual_add_nc_u32 v6, v8, v6 :: v_dual_add_nc_u32 v7, v9, v7
	ds_store_b64 v5, v[6:7]
.LBB1872_115:
	s_or_b32 exec_lo, exec_lo, s3
	v_dual_cndmask_b32 v1, v3, v1 :: v_dual_cndmask_b32 v2, v4, v2
	s_mov_b32 s3, exec_lo
	v_cmp_gt_u32_e32 vcc_lo, 32, v0
	s_wait_dscnt 0x0
	s_barrier_signal -1
	s_barrier_wait -1
                                        ; implicit-def: $vgpr22
	v_cmpx_lt_u32_e32 31, v0
	s_cbranch_execz .LBB1872_117
; %bb.116:
	v_lshl_add_u32 v3, v64, 3, -8
	ds_load_b64 v[22:23], v3
	s_wait_dscnt 0x0
	v_dual_add_nc_u32 v1, v23, v1 :: v_dual_add_nc_u32 v2, v22, v2
.LBB1872_117:
	s_or_b32 exec_lo, exec_lo, s3
	v_sub_co_u32 v3, s2, v63, 1
	s_delay_alu instid0(VALU_DEP_1) | instskip(NEXT) | instid1(VALU_DEP_1)
	v_cmp_gt_i32_e64 s3, 0, v3
	v_cndmask_b32_e64 v3, v3, v63, s3
	s_delay_alu instid0(VALU_DEP_1)
	v_lshlrev_b32_e32 v3, 2, v3
	ds_bpermute_b32 v70, v3, v2
	ds_bpermute_b32 v1, v3, v1
	s_and_saveexec_b32 s3, vcc_lo
	s_cbranch_execz .LBB1872_136
; %bb.118:
	v_mov_b32_e32 v5, 0
	ds_load_b64 v[2:3], v5 offset:56
	s_and_saveexec_b32 s7, s2
	s_cbranch_execz .LBB1872_120
; %bb.119:
	s_add_co_i32 s8, s33, 32
	s_mov_b32 s9, 0
	v_mov_b32_e32 v4, 1
	s_lshl_b64 s[8:9], s[8:9], 4
	s_wait_kmcnt 0x0
	s_add_nc_u64 s[8:9], s[4:5], s[8:9]
	s_delay_alu instid0(SALU_CYCLE_1)
	v_mov_b64_e32 v[6:7], s[8:9]
	s_wait_dscnt 0x0
	;;#ASMSTART
	global_store_b128 v[6:7], v[2:5] off scope:SCOPE_DEV	
s_wait_storecnt 0x0
	;;#ASMEND
.LBB1872_120:
	s_or_b32 exec_lo, exec_lo, s7
	v_xad_u32 v24, v63, -1, s33
	s_mov_b32 s8, 0
	s_mov_b32 s7, exec_lo
	s_delay_alu instid0(VALU_DEP_1) | instskip(SKIP_1) | instid1(VALU_DEP_1)
	v_add_nc_u32_e32 v4, 32, v24
	s_wait_kmcnt 0x0
	v_lshl_add_u64 v[4:5], v[4:5], 4, s[4:5]
	;;#ASMSTART
	global_load_b128 v[6:9], v[4:5] off scope:SCOPE_DEV	
s_wait_loadcnt 0x0
	;;#ASMEND
	v_and_b32_e32 v9, 0xff, v8
	s_delay_alu instid0(VALU_DEP_1)
	v_cmpx_eq_u16_e32 0, v9
	s_cbranch_execz .LBB1872_123
.LBB1872_121:                           ; =>This Inner Loop Header: Depth=1
	;;#ASMSTART
	global_load_b128 v[6:9], v[4:5] off scope:SCOPE_DEV	
s_wait_loadcnt 0x0
	;;#ASMEND
	v_and_b32_e32 v9, 0xff, v8
	s_delay_alu instid0(VALU_DEP_1) | instskip(SKIP_1) | instid1(SALU_CYCLE_1)
	v_cmp_ne_u16_e32 vcc_lo, 0, v9
	s_or_b32 s8, vcc_lo, s8
	s_and_not1_b32 exec_lo, exec_lo, s8
	s_cbranch_execnz .LBB1872_121
; %bb.122:
	s_or_b32 exec_lo, exec_lo, s8
.LBB1872_123:
	s_delay_alu instid0(SALU_CYCLE_1)
	s_or_b32 exec_lo, exec_lo, s7
	v_cmp_ne_u32_e32 vcc_lo, 31, v63
	v_lshlrev_b32_e64 v72, v63, -1
	v_lshl_or_b32 v79, v63, 2, 64
	v_dual_add_nc_u32 v76, 4, v63 :: v_dual_add_nc_u32 v80, 16, v63
	v_add_co_ci_u32_e64 v4, null, 0, v63, vcc_lo
	s_delay_alu instid0(VALU_DEP_1)
	v_lshlrev_b32_e32 v71, 2, v4
	v_and_b32_e32 v4, 0xff, v8
	ds_bpermute_b32 v5, v71, v7
	v_cmp_eq_u16_e32 vcc_lo, 2, v4
	s_wait_dscnt 0x0
	v_add_nc_u32_e32 v5, v5, v7
	ds_bpermute_b32 v4, v71, v6
	v_and_b32_e32 v9, vcc_lo, v72
	v_cmp_gt_u32_e32 vcc_lo, 30, v63
	v_cndmask_b32_e64 v25, 0, 2, vcc_lo
	s_delay_alu instid0(VALU_DEP_1) | instskip(SKIP_3) | instid1(VALU_DEP_1)
	v_add_lshl_u32 v73, v25, v63, 2
	s_wait_dscnt 0x0
	v_add_nc_u32_e32 v4, v4, v6
	v_or_b32_e32 v9, 0x80000000, v9
	v_ctz_i32_b32_e32 v9, v9
	s_delay_alu instid0(VALU_DEP_1) | instskip(NEXT) | instid1(VALU_DEP_4)
	v_cmp_lt_u32_e32 vcc_lo, v63, v9
	v_dual_cndmask_b32 v5, v7, v5 :: v_dual_cndmask_b32 v4, v6, v4
	v_cmp_gt_u32_e32 vcc_lo, 28, v63
	ds_bpermute_b32 v6, v73, v5
	ds_bpermute_b32 v7, v73, v4
	v_add_nc_u32_e32 v74, 2, v63
	v_cndmask_b32_e64 v25, 0, 4, vcc_lo
	s_delay_alu instid0(VALU_DEP_1) | instskip(SKIP_4) | instid1(VALU_DEP_2)
	v_add_lshl_u32 v75, v25, v63, 2
	s_wait_dscnt 0x1
	v_add_nc_u32_e32 v6, v5, v6
	v_cmp_gt_u32_e32 vcc_lo, v74, v9
	s_wait_dscnt 0x0
	v_dual_add_nc_u32 v7, v4, v7 :: v_dual_cndmask_b32 v5, v6, v5, vcc_lo
	s_delay_alu instid0(VALU_DEP_1)
	v_cndmask_b32_e32 v4, v7, v4, vcc_lo
	v_cmp_gt_u32_e32 vcc_lo, 24, v63
	ds_bpermute_b32 v6, v75, v5
	ds_bpermute_b32 v7, v75, v4
	v_cndmask_b32_e64 v25, 0, 8, vcc_lo
	v_cmp_gt_u32_e32 vcc_lo, v76, v9
	s_delay_alu instid0(VALU_DEP_2) | instskip(SKIP_3) | instid1(VALU_DEP_1)
	v_add_lshl_u32 v77, v25, v63, 2
	s_wait_dscnt 0x1
	v_dual_mov_b32 v25, 0 :: v_dual_add_nc_u32 v6, v5, v6
	s_wait_dscnt 0x0
	v_dual_add_nc_u32 v7, v4, v7 :: v_dual_cndmask_b32 v5, v6, v5, vcc_lo
	s_delay_alu instid0(VALU_DEP_1) | instskip(SKIP_4) | instid1(VALU_DEP_1)
	v_cndmask_b32_e32 v4, v7, v4, vcc_lo
	ds_bpermute_b32 v6, v77, v5
	ds_bpermute_b32 v7, v77, v4
	s_wait_dscnt 0x1
	v_dual_add_nc_u32 v78, 8, v63 :: v_dual_add_nc_u32 v6, v5, v6
	v_cmp_gt_u32_e32 vcc_lo, v78, v9
	s_wait_dscnt 0x0
	s_delay_alu instid0(VALU_DEP_2) | instskip(NEXT) | instid1(VALU_DEP_1)
	v_dual_add_nc_u32 v7, v4, v7 :: v_dual_cndmask_b32 v5, v6, v5, vcc_lo
	v_cndmask_b32_e32 v4, v7, v4, vcc_lo
	v_cmp_le_u32_e32 vcc_lo, v80, v9
	ds_bpermute_b32 v7, v79, v5
	ds_bpermute_b32 v6, v79, v4
	s_wait_dscnt 0x0
	v_dual_cndmask_b32 v7, 0, v7 :: v_dual_cndmask_b32 v6, 0, v6
	s_delay_alu instid0(VALU_DEP_1)
	v_dual_add_nc_u32 v7, v7, v5 :: v_dual_add_nc_u32 v6, v6, v4
	s_branch .LBB1872_127
.LBB1872_124:                           ;   in Loop: Header=BB1872_127 Depth=1
	s_or_b32 exec_lo, exec_lo, s8
.LBB1872_125:                           ;   in Loop: Header=BB1872_127 Depth=1
	s_delay_alu instid0(SALU_CYCLE_1)
	s_or_b32 exec_lo, exec_lo, s7
	ds_bpermute_b32 v9, v71, v6
	ds_bpermute_b32 v26, v71, v7
	v_and_b32_e32 v27, 0xff, v8
	v_subrev_nc_u32_e32 v24, 32, v24
	s_mov_b32 s7, 0
	s_delay_alu instid0(VALU_DEP_2) | instskip(SKIP_1) | instid1(VALU_DEP_1)
	v_cmp_eq_u16_e32 vcc_lo, 2, v27
	v_and_or_b32 v27, vcc_lo, v72, 0x80000000
	v_ctz_i32_b32_e32 v27, v27
	s_wait_dscnt 0x0
	v_dual_add_nc_u32 v9, v9, v6 :: v_dual_add_nc_u32 v26, v26, v7
	s_delay_alu instid0(VALU_DEP_2) | instskip(NEXT) | instid1(VALU_DEP_2)
	v_cmp_lt_u32_e32 vcc_lo, v63, v27
	v_dual_cndmask_b32 v7, v7, v26 :: v_dual_cndmask_b32 v6, v6, v9
	v_cmp_gt_u32_e32 vcc_lo, v74, v27
	ds_bpermute_b32 v26, v73, v7
	ds_bpermute_b32 v9, v73, v6
	s_wait_dscnt 0x0
	v_dual_add_nc_u32 v26, v7, v26 :: v_dual_add_nc_u32 v9, v6, v9
	s_delay_alu instid0(VALU_DEP_1)
	v_dual_cndmask_b32 v7, v26, v7 :: v_dual_cndmask_b32 v6, v9, v6
	v_cmp_gt_u32_e32 vcc_lo, v76, v27
	ds_bpermute_b32 v26, v75, v7
	ds_bpermute_b32 v9, v75, v6
	s_wait_dscnt 0x0
	v_dual_add_nc_u32 v26, v7, v26 :: v_dual_add_nc_u32 v9, v6, v9
	s_delay_alu instid0(VALU_DEP_1)
	;; [unrolled: 7-line block ×3, first 2 shown]
	v_dual_cndmask_b32 v7, v26, v7 :: v_dual_cndmask_b32 v6, v9, v6
	v_cmp_le_u32_e32 vcc_lo, v80, v27
	ds_bpermute_b32 v26, v79, v7
	ds_bpermute_b32 v9, v79, v6
	s_wait_dscnt 0x0
	v_dual_cndmask_b32 v26, 0, v26 :: v_dual_cndmask_b32 v9, 0, v9
	s_delay_alu instid0(VALU_DEP_1) | instskip(NEXT) | instid1(VALU_DEP_2)
	v_add3_u32 v7, v7, v5, v26
	v_add3_u32 v6, v6, v4, v9
.LBB1872_126:                           ;   in Loop: Header=BB1872_127 Depth=1
	s_and_b32 vcc_lo, exec_lo, s7
	s_cbranch_vccnz .LBB1872_132
.LBB1872_127:                           ; =>This Loop Header: Depth=1
                                        ;     Child Loop BB1872_130 Depth 2
	v_and_b32_e32 v4, 0xff, v8
	s_mov_b32 s7, -1
                                        ; implicit-def: $vgpr8
	s_delay_alu instid0(VALU_DEP_1)
	v_cmp_ne_u16_e32 vcc_lo, 2, v4
	v_mov_b64_e32 v[4:5], v[6:7]
                                        ; implicit-def: $vgpr6_vgpr7
	s_cmp_lg_u32 vcc_lo, exec_lo
	s_cbranch_scc1 .LBB1872_126
; %bb.128:                              ;   in Loop: Header=BB1872_127 Depth=1
	v_lshl_add_u64 v[26:27], v[24:25], 4, s[4:5]
	;;#ASMSTART
	global_load_b128 v[6:9], v[26:27] off scope:SCOPE_DEV	
s_wait_loadcnt 0x0
	;;#ASMEND
	v_and_b32_e32 v9, 0xff, v8
	s_mov_b32 s7, exec_lo
	s_delay_alu instid0(VALU_DEP_1)
	v_cmpx_eq_u16_e32 0, v9
	s_cbranch_execz .LBB1872_125
; %bb.129:                              ;   in Loop: Header=BB1872_127 Depth=1
	s_mov_b32 s8, 0
.LBB1872_130:                           ;   Parent Loop BB1872_127 Depth=1
                                        ; =>  This Inner Loop Header: Depth=2
	;;#ASMSTART
	global_load_b128 v[6:9], v[26:27] off scope:SCOPE_DEV	
s_wait_loadcnt 0x0
	;;#ASMEND
	v_and_b32_e32 v9, 0xff, v8
	s_delay_alu instid0(VALU_DEP_1) | instskip(SKIP_1) | instid1(SALU_CYCLE_1)
	v_cmp_ne_u16_e32 vcc_lo, 0, v9
	s_or_b32 s8, vcc_lo, s8
	s_and_not1_b32 exec_lo, exec_lo, s8
	s_cbranch_execnz .LBB1872_130
	s_branch .LBB1872_124
.LBB1872_131:
                                        ; implicit-def: $vgpr1
                                        ; implicit-def: $vgpr4
                                        ; implicit-def: $vgpr6
                                        ; implicit-def: $vgpr8
                                        ; implicit-def: $vgpr22
	s_and_b32 vcc_lo, exec_lo, s3
	s_cbranch_vccnz .LBB1872_137
	s_branch .LBB1872_146
.LBB1872_132:
	s_and_saveexec_b32 s7, s2
	s_cbranch_execz .LBB1872_134
; %bb.133:
	s_add_co_i32 s8, s33, 32
	s_mov_b32 s9, 0
	v_dual_mov_b32 v8, 2 :: v_dual_mov_b32 v9, 0
	s_lshl_b64 s[8:9], s[8:9], 4
	v_dual_add_nc_u32 v7, v5, v3 :: v_dual_add_nc_u32 v6, v4, v2
	s_add_nc_u64 s[8:9], s[4:5], s[8:9]
	s_delay_alu instid0(SALU_CYCLE_1)
	v_mov_b64_e32 v[24:25], s[8:9]
	;;#ASMSTART
	global_store_b128 v[24:25], v[6:9] off scope:SCOPE_DEV	
s_wait_storecnt 0x0
	;;#ASMEND
	ds_store_b128 v9, v[2:5] offset:13312
.LBB1872_134:
	s_or_b32 exec_lo, exec_lo, s7
	v_cmp_eq_u32_e32 vcc_lo, 0, v0
	s_and_b32 exec_lo, exec_lo, vcc_lo
; %bb.135:
	v_mov_b32_e32 v2, 0
	ds_store_b64 v2, v[4:5] offset:56
.LBB1872_136:
	s_or_b32 exec_lo, exec_lo, s3
	s_wait_dscnt 0x0
	v_dual_mov_b32 v2, 0 :: v_dual_cndmask_b32 v1, v1, v23, s2
	s_barrier_signal -1
	s_barrier_wait -1
	ds_load_b64 v[8:9], v2 offset:56
	s_wait_dscnt 0x0
	s_barrier_signal -1
	s_barrier_wait -1
	ds_load_b128 v[2:5], v2 offset:13312
	v_cndmask_b32_e64 v6, v70, v22, s2
	v_cmp_eq_u32_e32 vcc_lo, 0, v0
	s_delay_alu instid0(VALU_DEP_2) | instskip(SKIP_2) | instid1(VALU_DEP_2)
	v_dual_add_nc_u32 v1, v9, v1 :: v_dual_add_nc_u32 v7, v8, v6
	s_wait_dscnt 0x0
	v_mov_b32_e32 v6, v5
	v_dual_cndmask_b32 v1, v1, v9 :: v_dual_cndmask_b32 v22, v7, v8
	v_mov_b32_e32 v8, v3
	s_branch .LBB1872_146
.LBB1872_137:
	v_mov_b32_dpp v1, v68 row_shr:1 row_mask:0xf bank_mask:0xf
	v_mov_b32_dpp v2, v69 row_shr:1 row_mask:0xf bank_mask:0xf
	v_cmp_lt_u32_e32 vcc_lo, 3, v65
	s_delay_alu instid0(VALU_DEP_2) | instskip(NEXT) | instid1(VALU_DEP_1)
	v_dual_add_nc_u32 v1, v1, v68 :: v_dual_add_nc_u32 v2, v2, v69
	v_dual_cndmask_b32 v1, v1, v68, s1 :: v_dual_cndmask_b32 v2, v2, v69, s1
	s_mov_b32 s1, exec_lo
	s_delay_alu instid0(VALU_DEP_1) | instskip(NEXT) | instid1(VALU_DEP_2)
	v_mov_b32_dpp v3, v1 row_shr:2 row_mask:0xf bank_mask:0xf
	v_mov_b32_dpp v4, v2 row_shr:2 row_mask:0xf bank_mask:0xf
	s_delay_alu instid0(VALU_DEP_1) | instskip(NEXT) | instid1(VALU_DEP_1)
	v_dual_add_nc_u32 v3, v1, v3 :: v_dual_add_nc_u32 v4, v2, v4
	v_dual_cndmask_b32 v1, v1, v3, s0 :: v_dual_cndmask_b32 v2, v2, v4, s0
	s_delay_alu instid0(VALU_DEP_1) | instskip(NEXT) | instid1(VALU_DEP_2)
	v_mov_b32_dpp v3, v1 row_shr:4 row_mask:0xf bank_mask:0xf
	v_mov_b32_dpp v4, v2 row_shr:4 row_mask:0xf bank_mask:0xf
	s_delay_alu instid0(VALU_DEP_1) | instskip(NEXT) | instid1(VALU_DEP_1)
	v_dual_add_nc_u32 v3, v1, v3 :: v_dual_add_nc_u32 v4, v2, v4
	v_dual_cndmask_b32 v3, v1, v3 :: v_dual_cndmask_b32 v2, v2, v4
	v_cmp_lt_u32_e32 vcc_lo, 7, v65
	s_delay_alu instid0(VALU_DEP_2) | instskip(NEXT) | instid1(VALU_DEP_3)
	v_mov_b32_dpp v1, v3 row_shr:8 row_mask:0xf bank_mask:0xf
	v_mov_b32_dpp v4, v2 row_shr:8 row_mask:0xf bank_mask:0xf
	s_delay_alu instid0(VALU_DEP_1) | instskip(NEXT) | instid1(VALU_DEP_1)
	v_dual_add_nc_u32 v5, v3, v1 :: v_dual_add_nc_u32 v1, v2, v4
	v_cndmask_b32_e32 v1, v2, v1, vcc_lo
	s_delay_alu instid0(VALU_DEP_2)
	v_cndmask_b32_e32 v2, v3, v5, vcc_lo
	v_cmp_eq_u32_e32 vcc_lo, 0, v67
	ds_swizzle_b32 v4, v2 offset:swizzle(BROADCAST,32,15)
	s_wait_dscnt 0x0
	v_add_nc_u32_e32 v4, v2, v4
	ds_swizzle_b32 v3, v1 offset:swizzle(BROADCAST,32,15)
	s_wait_dscnt 0x0
	v_add_nc_u32_e32 v3, v1, v3
	v_cmpx_eq_u32_e64 v0, v66
; %bb.138:
	s_delay_alu instid0(VALU_DEP_2)
	v_dual_cndmask_b32 v6, v4, v2 :: v_dual_cndmask_b32 v7, v3, v1
	v_lshlrev_b32_e32 v5, 3, v64
	ds_store_b64 v5, v[6:7]
; %bb.139:
	s_or_b32 exec_lo, exec_lo, s1
	s_delay_alu instid0(SALU_CYCLE_1)
	s_mov_b32 s1, exec_lo
	s_wait_dscnt 0x0
	s_barrier_signal -1
	s_barrier_wait -1
	v_cmpx_gt_u32_e32 8, v0
	s_cbranch_execz .LBB1872_141
; %bb.140:
	v_dual_lshlrev_b32 v5, 3, v0 :: v_dual_bitop2_b32 v22, 7, v63 bitop3:0x40
	ds_load_b64 v[6:7], v5
	v_cmp_eq_u32_e64 s0, 0, v22
	s_wait_dscnt 0x0
	v_mov_b32_dpp v8, v6 row_shr:1 row_mask:0xf bank_mask:0xf
	v_mov_b32_dpp v9, v7 row_shr:1 row_mask:0xf bank_mask:0xf
	s_delay_alu instid0(VALU_DEP_1) | instskip(NEXT) | instid1(VALU_DEP_1)
	v_dual_add_nc_u32 v8, v8, v6 :: v_dual_add_nc_u32 v9, v9, v7
	v_dual_cndmask_b32 v6, v8, v6, s0 :: v_dual_cndmask_b32 v7, v9, v7, s0
	v_cmp_lt_u32_e64 s0, 1, v22
	s_delay_alu instid0(VALU_DEP_2) | instskip(NEXT) | instid1(VALU_DEP_3)
	v_mov_b32_dpp v8, v6 row_shr:2 row_mask:0xf bank_mask:0xf
	v_mov_b32_dpp v9, v7 row_shr:2 row_mask:0xf bank_mask:0xf
	s_delay_alu instid0(VALU_DEP_1) | instskip(NEXT) | instid1(VALU_DEP_1)
	v_dual_add_nc_u32 v8, v6, v8 :: v_dual_add_nc_u32 v9, v7, v9
	v_dual_cndmask_b32 v6, v6, v8, s0 :: v_dual_cndmask_b32 v7, v7, v9, s0
	v_cmp_lt_u32_e64 s0, 3, v22
	s_delay_alu instid0(VALU_DEP_2) | instskip(NEXT) | instid1(VALU_DEP_3)
	v_mov_b32_dpp v8, v6 row_shr:4 row_mask:0xf bank_mask:0xf
	v_mov_b32_dpp v9, v7 row_shr:4 row_mask:0xf bank_mask:0xf
	s_delay_alu instid0(VALU_DEP_1) | instskip(NEXT) | instid1(VALU_DEP_1)
	v_dual_cndmask_b32 v8, 0, v8, s0 :: v_dual_cndmask_b32 v9, 0, v9, s0
	v_dual_add_nc_u32 v6, v8, v6 :: v_dual_add_nc_u32 v7, v9, v7
	ds_store_b64 v5, v[6:7]
.LBB1872_141:
	s_or_b32 exec_lo, exec_lo, s1
	v_dual_mov_b32 v5, 0 :: v_dual_mov_b32 v6, 0
	v_mov_b32_e32 v7, 0
	s_mov_b32 s1, exec_lo
	s_wait_dscnt 0x0
	s_barrier_signal -1
	s_barrier_wait -1
	v_cmpx_lt_u32_e32 31, v0
; %bb.142:
	v_lshl_add_u32 v6, v64, 3, -8
	ds_load_b64 v[6:7], v6
; %bb.143:
	s_or_b32 exec_lo, exec_lo, s1
	v_sub_co_u32 v8, s0, v63, 1
	v_dual_cndmask_b32 v2, v4, v2 :: v_dual_cndmask_b32 v1, v3, v1
	v_cmp_eq_u32_e32 vcc_lo, 0, v0
	s_delay_alu instid0(VALU_DEP_3) | instskip(SKIP_1) | instid1(VALU_DEP_1)
	v_cmp_gt_i32_e64 s1, 0, v8
	s_wait_dscnt 0x0
	v_dual_add_nc_u32 v2, v6, v2 :: v_dual_cndmask_b32 v4, v8, v63, s1
	s_delay_alu instid0(VALU_DEP_1)
	v_dual_lshlrev_b32 v3, 2, v4 :: v_dual_add_nc_u32 v4, v7, v1
	ds_bpermute_b32 v1, v3, v2
	ds_bpermute_b32 v8, v3, v4
	ds_load_b64 v[2:3], v5 offset:56
	s_and_saveexec_b32 s1, vcc_lo
	s_cbranch_execz .LBB1872_145
; %bb.144:
	s_wait_kmcnt 0x0
	s_add_nc_u64 s[2:3], s[4:5], 0x200
	v_dual_mov_b32 v4, 2 :: v_dual_mov_b32 v5, 0
	v_mov_b64_e32 v[22:23], s[2:3]
	s_wait_dscnt 0x0
	;;#ASMSTART
	global_store_b128 v[22:23], v[2:5] off scope:SCOPE_DEV	
s_wait_storecnt 0x0
	;;#ASMEND
.LBB1872_145:
	s_or_b32 exec_lo, exec_lo, s1
	s_wait_dscnt 0x1
	v_dual_cndmask_b32 v5, v8, v7, s0 :: v_dual_cndmask_b32 v7, v1, v6, s0
	v_dual_mov_b32 v6, 0 :: v_dual_mov_b32 v4, 0
	s_wait_dscnt 0x0
	v_mov_b32_e32 v8, v3
	s_delay_alu instid0(VALU_DEP_3)
	v_cndmask_b32_e64 v1, v5, 0, vcc_lo
	v_cndmask_b32_e64 v22, v7, 0, vcc_lo
	s_barrier_signal -1
	s_barrier_wait -1
.LBB1872_146:
	s_delay_alu instid0(VALU_DEP_1) | instskip(SKIP_1) | instid1(VALU_DEP_2)
	v_dual_add_nc_u32 v62, v1, v62 :: v_dual_add_nc_u32 v70, v22, v61
	v_dual_mov_b32 v5, 0 :: v_dual_lshrrev_b32 v68, 16, v37
	v_dual_lshrrev_b32 v3, 8, v37 :: v_dual_add_nc_u32 v71, v62, v60
	s_delay_alu instid0(VALU_DEP_3) | instskip(SKIP_1) | instid1(VALU_DEP_3)
	v_dual_add_nc_u32 v59, v70, v59 :: v_dual_lshlrev_b32 v60, 1, v2
	v_dual_sub_nc_u32 v72, v22, v4 :: v_dual_sub_nc_u32 v1, v1, v6
	v_dual_add_nc_u32 v73, v71, v44 :: v_dual_bitop2_b32 v74, 1, v31 bitop3:0x40
	s_delay_alu instid0(VALU_DEP_3) | instskip(NEXT) | instid1(VALU_DEP_3)
	v_dual_add_nc_u32 v58, v59, v58 :: v_dual_bitop2_b32 v75, 1, v3 bitop3:0x40
	v_dual_add_nc_u32 v1, v1, v2 :: v_dual_sub_nc_u32 v70, v70, v4
	s_delay_alu instid0(VALU_DEP_2)
	v_dual_add_nc_u32 v57, v73, v57 :: v_dual_add_nc_u32 v76, v58, v43
	v_mov_b32_e32 v61, v5
	s_wait_kmcnt 0x0
	v_add_nc_u64_e32 v[22:23], s[28:29], v[4:5]
	v_dual_mov_b32 v3, v5 :: v_dual_mov_b32 v7, v5
	v_dual_add_nc_u32 v55, v76, v55 :: v_dual_add_nc_u32 v56, v57, v56
	v_cmp_eq_u32_e32 vcc_lo, 1, v75
	v_dual_lshrrev_b32 v69, 8, v31 :: v_dual_lshrrev_b32 v67, 16, v31
	s_delay_alu instid0(VALU_DEP_3) | instskip(NEXT) | instid1(VALU_DEP_4)
	v_dual_add_nc_u32 v53, v55, v53 :: v_dual_mov_b32 v9, v5
	v_add_nc_u32_e32 v54, v56, v54
	v_add3_u32 v5, v60, v8, v30
	s_delay_alu instid0(VALU_DEP_3) | instskip(NEXT) | instid1(VALU_DEP_3)
	v_dual_sub_nc_u32 v62, v62, v6 :: v_dual_add_nc_u32 v51, v53, v51
	v_dual_add_nc_u32 v78, v72, v1 :: v_dual_add_nc_u32 v77, v54, v42
	s_delay_alu instid0(VALU_DEP_2) | instskip(NEXT) | instid1(VALU_DEP_2)
	v_dual_sub_nc_u32 v59, v59, v4 :: v_dual_add_nc_u32 v62, v62, v2
	v_dual_add_nc_u32 v79, v51, v41 :: v_dual_sub_nc_u32 v78, v5, v78
	s_delay_alu instid0(VALU_DEP_3) | instskip(SKIP_1) | instid1(VALU_DEP_3)
	v_add_nc_u32_e32 v52, v77, v52
	v_dual_sub_nc_u32 v73, v73, v6 :: v_dual_sub_nc_u32 v58, v58, v4
	v_add_nc_u32_e32 v48, v79, v48
	s_delay_alu instid0(VALU_DEP_4) | instskip(SKIP_2) | instid1(VALU_DEP_4)
	v_dual_sub_nc_u32 v71, v71, v6 :: v_dual_cndmask_b32 v1, v78, v1, vcc_lo
	v_cmp_eq_u32_e32 vcc_lo, 1, v74
	v_add_nc_u32_e32 v50, v52, v50
	v_dual_add_nc_u32 v80, v62, v70 :: v_dual_add_nc_u32 v47, v48, v47
	v_dual_lshrrev_b32 v66, 8, v32 :: v_dual_lshrrev_b32 v65, 16, v32
	v_dual_cndmask_b32 v1, v1, v72, vcc_lo :: v_dual_add_nc_u32 v71, v71, v2
	s_delay_alu instid0(VALU_DEP_3) | instskip(NEXT) | instid1(VALU_DEP_4)
	v_dual_add_nc_u32 v49, v50, v49 :: v_dual_add_nc_u32 v46, v47, v46
	v_sub_nc_u32_e32 v74, v5, v80
	s_delay_alu instid0(VALU_DEP_3) | instskip(NEXT) | instid1(VALU_DEP_3)
	v_dual_add_nc_u32 v75, v71, v59 :: v_dual_bitop2_b32 v68, 1, v68 bitop3:0x40
	v_dual_add_nc_u32 v72, v49, v40 :: v_dual_bitop2_b32 v69, 1, v69 bitop3:0x40
	s_delay_alu instid0(VALU_DEP_3) | instskip(NEXT) | instid1(VALU_DEP_3)
	v_add_nc_u32_e32 v74, 1, v74
	v_cmp_eq_u32_e32 vcc_lo, 1, v68
	s_delay_alu instid0(VALU_DEP_3) | instskip(SKIP_1) | instid1(VALU_DEP_4)
	v_dual_sub_nc_u32 v75, v5, v75 :: v_dual_add_nc_u32 v45, v72, v45
	v_dual_add_nc_u32 v68, v73, v2 :: v_dual_bitop2_b32 v44, 1, v44 bitop3:0x40
	v_cndmask_b32_e32 v62, v74, v62, vcc_lo
	v_cmp_eq_u32_e32 vcc_lo, 1, v69
	s_delay_alu instid0(VALU_DEP_3)
	v_dual_add_nc_u32 v73, 2, v75 :: v_dual_add_nc_u32 v69, v58, v68
	v_dual_lshlrev_b32 v1, 2, v1 :: v_dual_bitop2_b32 v67, 1, v67 bitop3:0x40
	v_add_nc_u32_e32 v78, v46, v39
	v_cndmask_b32_e32 v62, v62, v70, vcc_lo
	v_cmp_eq_u32_e32 vcc_lo, 1, v44
	v_dual_sub_nc_u32 v57, v57, v6 :: v_dual_bitop2_b32 v43, 1, v43 bitop3:0x40
	ds_store_b32 v1, v20
	v_dual_lshlrev_b32 v20, 2, v62 :: v_dual_cndmask_b32 v44, v73, v71, vcc_lo
	v_cmp_eq_u32_e32 vcc_lo, 1, v67
	v_sub_nc_u32_e32 v1, v5, v69
	v_dual_lshrrev_b32 v63, 16, v33 :: v_dual_lshrrev_b32 v64, 8, v33
	ds_store_b32 v20, v21
	v_dual_cndmask_b32 v44, v44, v59, vcc_lo :: v_dual_bitop2_b32 v32, 1, v32 bitop3:0x40
	v_dual_add_nc_u32 v1, 3, v1 :: v_dual_add_nc_u32 v57, v57, v2
	v_dual_sub_nc_u32 v54, v54, v6 :: v_dual_lshrrev_b32 v25, 16, v35
	v_lshrrev_b32_e32 v27, 8, v35
	s_delay_alu instid0(VALU_DEP_4)
	v_cmp_eq_u32_e32 vcc_lo, 1, v32
	v_sub_nc_u32_e32 v56, v56, v6
	v_sub_nc_u32_e32 v32, v76, v4
	v_dual_lshrrev_b32 v26, 8, v36 :: v_dual_lshrrev_b32 v24, 16, v36
	v_cndmask_b32_e32 v1, v1, v68, vcc_lo
	v_cmp_eq_u32_e32 vcc_lo, 1, v43
	v_dual_sub_nc_u32 v55, v55, v4 :: v_dual_add_nc_u32 v56, v56, v2
	v_dual_add_nc_u32 v43, v32, v57 :: v_dual_lshlrev_b32 v21, 2, v44
	s_delay_alu instid0(VALU_DEP_4) | instskip(NEXT) | instid1(VALU_DEP_2)
	v_dual_cndmask_b32 v1, v1, v58, vcc_lo :: v_dual_bitop2_b32 v58, 1, v65 bitop3:0x40
	v_dual_add_nc_u32 v20, v55, v56 :: v_dual_sub_nc_u32 v43, v5, v43
	s_delay_alu instid0(VALU_DEP_2) | instskip(NEXT) | instid1(VALU_DEP_2)
	v_dual_lshlrev_b32 v1, 2, v1 :: v_dual_bitop2_b32 v44, 1, v66 bitop3:0x40
	v_dual_sub_nc_u32 v20, v5, v20 :: v_dual_bitop2_b32 v33, 1, v33 bitop3:0x40
	s_delay_alu instid0(VALU_DEP_3) | instskip(NEXT) | instid1(VALU_DEP_3)
	v_add_nc_u32_e32 v43, 4, v43
	v_cmp_eq_u32_e32 vcc_lo, 1, v44
	v_dual_sub_nc_u32 v53, v53, v4 :: v_dual_add_nc_u32 v54, v54, v2
	s_delay_alu instid0(VALU_DEP_4)
	v_add_nc_u32_e32 v20, 5, v20
	ds_store_b32 v21, v18
	v_cndmask_b32_e32 v43, v43, v57, vcc_lo
	v_cmp_eq_u32_e32 vcc_lo, 1, v58
	v_and_b32_e32 v44, 1, v64
	ds_store_b32 v1, v19
	v_and_b32_e32 v21, 1, v63
	v_sub_nc_u64_e32 v[30:31], s[30:31], v[2:3]
	v_dual_cndmask_b32 v20, v20, v56, vcc_lo :: v_dual_add_nc_u32 v56, v53, v54
	v_cmp_eq_u32_e32 vcc_lo, 1, v33
	v_sub_nc_u32_e32 v33, v52, v6
	s_mov_b32 s41, 0
	s_delay_alu instid0(VALU_DEP_3)
	v_dual_sub_nc_u32 v18, v5, v56 :: v_dual_bitop2_b32 v27, 1, v27 bitop3:0x40
	v_cndmask_b32_e32 v32, v43, v32, vcc_lo
	v_cmp_eq_u32_e32 vcc_lo, 1, v44
	v_add_nc_u64_e32 v[30:31], v[30:31], v[6:7]
	s_add_nc_u64 s[0:1], s[34:35], s[40:41]
	v_dual_add_nc_u32 v18, 6, v18 :: v_dual_cndmask_b32 v20, v20, v55, vcc_lo
	v_dual_lshlrev_b32 v1, 2, v32 :: v_dual_sub_nc_u32 v32, v77, v6
	s_delay_alu instid0(VALU_DEP_2)
	v_dual_lshlrev_b32 v19, 2, v20 :: v_dual_bitop2_b32 v20, 1, v42 bitop3:0x40
	v_sub_nc_u32_e32 v42, v79, v4
	ds_store_b32 v1, v16
	ds_store_b32 v19, v17
	v_cmp_eq_u32_e32 vcc_lo, 1, v20
	v_dual_sub_nc_u32 v20, v51, v4 :: v_dual_add_nc_u32 v32, v32, v2
	v_dual_add_nc_u32 v33, v33, v2 :: v_dual_bitop2_b32 v19, 1, v35 bitop3:0x40
	v_cndmask_b32_e32 v18, v18, v54, vcc_lo
	v_cmp_eq_u32_e32 vcc_lo, 1, v21
	s_delay_alu instid0(VALU_DEP_4) | instskip(NEXT) | instid1(VALU_DEP_3)
	v_add_nc_u32_e32 v21, v20, v32
	v_dual_cndmask_b32 v18, v18, v53 :: v_dual_sub_nc_u32 v35, v48, v4
	v_add_nc_u32_e32 v1, v42, v33
	s_delay_alu instid0(VALU_DEP_3) | instskip(SKIP_1) | instid1(VALU_DEP_4)
	v_dual_sub_nc_u32 v17, v5, v21 :: v_dual_sub_nc_u32 v21, v50, v6
	v_cmp_eq_u32_e32 vcc_lo, 1, v19
	v_dual_lshlrev_b32 v16, 2, v18 :: v_dual_bitop2_b32 v18, 1, v41 bitop3:0x40
	s_delay_alu instid0(VALU_DEP_4) | instskip(NEXT) | instid1(VALU_DEP_4)
	v_sub_nc_u32_e32 v1, v5, v1
	v_dual_add_nc_u32 v17, 7, v17 :: v_dual_add_nc_u32 v21, v21, v2
	ds_store_b32 v16, v14
	v_dual_add_nc_u32 v1, 8, v1 :: v_dual_cndmask_b32 v17, v17, v32, vcc_lo
	v_cmp_eq_u32_e32 vcc_lo, 1, v27
	v_dual_add_nc_u32 v27, v35, v21 :: v_dual_bitop2_b32 v19, 1, v36 bitop3:0x40
	s_delay_alu instid0(VALU_DEP_3) | instskip(SKIP_1) | instid1(VALU_DEP_3)
	v_cndmask_b32_e32 v1, v1, v33, vcc_lo
	v_cmp_eq_u32_e32 vcc_lo, 1, v18
	v_dual_sub_nc_u32 v14, v5, v27 :: v_dual_bitop2_b32 v18, 1, v25 bitop3:0x40
	v_cndmask_b32_e32 v17, v17, v20, vcc_lo
	v_cmp_eq_u32_e32 vcc_lo, 1, v19
	v_dual_sub_nc_u32 v19, v47, v4 :: v_dual_cndmask_b32 v1, v1, v42, vcc_lo
	s_delay_alu instid0(VALU_DEP_4) | instskip(NEXT) | instid1(VALU_DEP_2)
	v_cmp_eq_u32_e32 vcc_lo, 1, v18
	v_lshlrev_b32_e32 v1, 2, v1
	v_dual_lshlrev_b32 v16, 2, v17 :: v_dual_sub_nc_u32 v17, v49, v6
	ds_store_b32 v16, v15
	v_add_nc_u32_e32 v17, v17, v2
	v_add_nc_u32_e32 v14, 9, v14
	ds_store_b32 v1, v12
	v_dual_sub_nc_u32 v16, v45, v6 :: v_dual_add_nc_u32 v15, v19, v17
	v_dual_cndmask_b32 v14, v14, v21, vcc_lo :: v_dual_bitop2_b32 v20, 1, v26 bitop3:0x40
	v_sub_nc_u32_e32 v12, v72, v6
	s_delay_alu instid0(VALU_DEP_3) | instskip(NEXT) | instid1(VALU_DEP_3)
	v_add_nc_u32_e32 v16, v16, v2
	v_cmp_eq_u32_e32 vcc_lo, 1, v20
	v_sub_nc_u32_e32 v20, v78, v4
	v_cndmask_b32_e32 v1, v14, v35, vcc_lo
	v_dual_sub_nc_u32 v14, v5, v15 :: v_dual_bitop2_b32 v15, 1, v40 bitop3:0x40
	v_dual_sub_nc_u32 v18, v46, v4 :: v_dual_add_nc_u32 v12, v12, v2
	s_delay_alu instid0(VALU_DEP_2) | instskip(NEXT) | instid1(VALU_DEP_3)
	v_dual_add_nc_u32 v14, 10, v14 :: v_dual_bitop2_b32 v4, 1, v24 bitop3:0x40
	v_cmp_eq_u32_e32 vcc_lo, 1, v15
	v_add_nc_u32_e32 v15, v20, v16
	s_delay_alu instid0(VALU_DEP_4) | instskip(NEXT) | instid1(VALU_DEP_4)
	v_dual_add_nc_u32 v21, v18, v12 :: v_dual_lshlrev_b32 v1, 2, v1
	v_cndmask_b32_e32 v14, v14, v17, vcc_lo
	v_cmp_eq_u32_e32 vcc_lo, 1, v4
	s_delay_alu instid0(VALU_DEP_3) | instskip(SKIP_4) | instid1(VALU_DEP_3)
	v_dual_sub_nc_u32 v17, v5, v21 :: v_dual_sub_nc_u32 v4, v5, v15
	ds_store_b32 v1, v13
	v_dual_cndmask_b32 v14, v14, v19, vcc_lo :: v_dual_bitop2_b32 v19, 1, v34 bitop3:0x40
	v_dual_add_nc_u32 v17, 11, v17 :: v_dual_bitop2_b32 v15, 1, v39 bitop3:0x40
	v_dual_add_nc_u32 v24, 12, v4 :: v_dual_bitop2_b32 v21, 1, v38 bitop3:0x40
	v_cmp_eq_u32_e32 vcc_lo, 1, v19
	v_add_nc_u64_e32 v[4:5], v[8:9], v[60:61]
	s_delay_alu instid0(VALU_DEP_4) | instskip(SKIP_2) | instid1(VALU_DEP_4)
	v_dual_lshlrev_b32 v14, 2, v14 :: v_dual_cndmask_b32 v12, v17, v12, vcc_lo
	v_and_b32_e32 v17, 1, v37
	v_cmp_eq_u32_e32 vcc_lo, 1, v21
	v_add_nc_u64_e32 v[4:5], v[4:5], v[30:31]
	ds_store_b32 v14, v10
	v_cndmask_b32_e32 v16, v24, v16, vcc_lo
	v_cmp_eq_u32_e32 vcc_lo, 1, v15
	v_add_nc_u64_e32 v[4:5], v[4:5], v[22:23]
	v_cndmask_b32_e32 v12, v12, v18, vcc_lo
	v_cmp_eq_u32_e32 vcc_lo, 1, v17
	v_cndmask_b32_e32 v15, v16, v20, vcc_lo
	v_cmp_ne_u32_e32 vcc_lo, 1, v29
	s_delay_alu instid0(VALU_DEP_2)
	v_dual_lshlrev_b32 v10, 2, v15 :: v_dual_lshlrev_b32 v1, 2, v12
	v_lshlrev_b64_e32 v[12:13], 2, v[30:31]
	v_lshlrev_b64_e32 v[14:15], 2, v[22:23]
	s_and_b32 vcc_lo, exec_lo, vcc_lo
	ds_store_b32 v1, v11
	ds_store_b32 v10, v28
	v_sub_nc_u64_e32 v[10:11], s[0:1], v[4:5]
	v_add_nc_u64_e32 v[4:5], s[38:39], v[12:13]
	v_add_nc_u64_e32 v[12:13], s[36:37], v[14:15]
	v_add_nc_u32_e32 v14, v2, v8
	s_mov_b32 s0, -1
	s_wait_dscnt 0x0
	s_barrier_signal -1
	s_barrier_wait -1
	s_cbranch_vccz .LBB1872_150
; %bb.147:
	s_and_b32 vcc_lo, exec_lo, s0
	s_cbranch_vccnz .LBB1872_255
.LBB1872_148:
	v_cmp_eq_u32_e32 vcc_lo, 0, v0
	s_and_b32 s0, vcc_lo, s15
	s_delay_alu instid0(SALU_CYCLE_1)
	s_and_saveexec_b32 s1, s0
	s_cbranch_execnz .LBB1872_373
.LBB1872_149:
	s_sendmsg sendmsg(MSG_DEALLOC_VGPRS)
	s_endpgm
.LBB1872_150:
	s_mov_b32 s0, exec_lo
	v_cmpx_ge_u32_e64 v0, v2
	s_xor_b32 s0, exec_lo, s0
	s_cbranch_execz .LBB1872_156
; %bb.151:
	v_mov_b32_e32 v1, 0
	s_mov_b32 s1, exec_lo
	v_cmpx_ge_u32_e64 v0, v14
	s_xor_b32 s1, exec_lo, s1
	s_cbranch_execz .LBB1872_153
; %bb.152:
	v_lshlrev_b32_e32 v15, 2, v0
	v_add_nc_u64_e32 v[16:17], v[10:11], v[0:1]
	ds_load_b32 v1, v15
	v_lshlrev_b64_e32 v[16:17], 2, v[16:17]
	s_delay_alu instid0(VALU_DEP_1)
	v_sub_nc_u64_e32 v[16:17], s[26:27], v[16:17]
	s_wait_dscnt 0x0
	global_store_b32 v[16:17], v1, off offset:-4
.LBB1872_153:
	s_wait_xcnt 0x0
	s_and_not1_saveexec_b32 s1, s1
	s_cbranch_execz .LBB1872_155
; %bb.154:
	v_lshlrev_b32_e32 v1, 2, v0
	v_readfirstlane_b32 s2, v4
	v_readfirstlane_b32 s3, v5
	ds_load_b32 v1, v1
	s_wait_dscnt 0x0
	global_store_b32 v0, v1, s[2:3] scale_offset
.LBB1872_155:
	s_wait_xcnt 0x0
	s_or_b32 exec_lo, exec_lo, s1
.LBB1872_156:
	s_and_not1_saveexec_b32 s0, s0
	s_cbranch_execz .LBB1872_158
; %bb.157:
	v_lshlrev_b32_e32 v1, 2, v0
	v_readfirstlane_b32 s2, v12
	v_readfirstlane_b32 s3, v13
	ds_load_b32 v1, v1
	s_wait_dscnt 0x0
	global_store_b32 v0, v1, s[2:3] scale_offset
.LBB1872_158:
	s_wait_xcnt 0x0
	s_or_b32 exec_lo, exec_lo, s0
	v_or_b32_e32 v1, 0x100, v0
	s_mov_b32 s0, exec_lo
	s_delay_alu instid0(VALU_DEP_1)
	v_cmpx_ge_u32_e64 v1, v2
	s_xor_b32 s0, exec_lo, s0
	s_cbranch_execz .LBB1872_164
; %bb.159:
	s_mov_b32 s1, exec_lo
	v_cmpx_ge_u32_e64 v1, v14
	s_xor_b32 s1, exec_lo, s1
	s_cbranch_execz .LBB1872_161
; %bb.160:
	v_dual_mov_b32 v1, 0 :: v_dual_lshlrev_b32 v15, 2, v0
	s_delay_alu instid0(VALU_DEP_1) | instskip(SKIP_2) | instid1(VALU_DEP_1)
	v_add_nc_u64_e32 v[16:17], v[10:11], v[0:1]
	ds_load_b32 v1, v15 offset:1024
	v_lshlrev_b64_e32 v[16:17], 2, v[16:17]
	v_sub_nc_u64_e32 v[16:17], s[26:27], v[16:17]
	s_wait_dscnt 0x0
	global_store_b32 v[16:17], v1, off offset:-1028
.LBB1872_161:
	s_wait_xcnt 0x0
	s_and_not1_saveexec_b32 s1, s1
	s_cbranch_execz .LBB1872_163
; %bb.162:
	v_lshlrev_b32_e32 v1, 2, v0
	v_readfirstlane_b32 s2, v4
	v_readfirstlane_b32 s3, v5
	ds_load_b32 v1, v1 offset:1024
	s_wait_dscnt 0x0
	global_store_b32 v0, v1, s[2:3] offset:1024 scale_offset
.LBB1872_163:
	s_wait_xcnt 0x0
	s_or_b32 exec_lo, exec_lo, s1
.LBB1872_164:
	s_and_not1_saveexec_b32 s0, s0
	s_cbranch_execz .LBB1872_166
; %bb.165:
	v_lshlrev_b32_e32 v1, 2, v0
	v_readfirstlane_b32 s2, v12
	v_readfirstlane_b32 s3, v13
	ds_load_b32 v1, v1 offset:1024
	s_wait_dscnt 0x0
	global_store_b32 v0, v1, s[2:3] offset:1024 scale_offset
.LBB1872_166:
	s_wait_xcnt 0x0
	s_or_b32 exec_lo, exec_lo, s0
	v_or_b32_e32 v1, 0x200, v0
	s_mov_b32 s0, exec_lo
	s_delay_alu instid0(VALU_DEP_1)
	v_cmpx_ge_u32_e64 v1, v2
	s_xor_b32 s0, exec_lo, s0
	s_cbranch_execz .LBB1872_172
; %bb.167:
	s_mov_b32 s1, exec_lo
	v_cmpx_ge_u32_e64 v1, v14
	s_xor_b32 s1, exec_lo, s1
	s_cbranch_execz .LBB1872_169
; %bb.168:
	v_dual_mov_b32 v1, 0 :: v_dual_lshlrev_b32 v15, 2, v0
	s_delay_alu instid0(VALU_DEP_1) | instskip(SKIP_2) | instid1(VALU_DEP_1)
	v_add_nc_u64_e32 v[16:17], v[10:11], v[0:1]
	ds_load_b32 v1, v15 offset:2048
	v_lshlrev_b64_e32 v[16:17], 2, v[16:17]
	v_sub_nc_u64_e32 v[16:17], s[26:27], v[16:17]
	s_wait_dscnt 0x0
	global_store_b32 v[16:17], v1, off offset:-2052
.LBB1872_169:
	s_wait_xcnt 0x0
	s_and_not1_saveexec_b32 s1, s1
	s_cbranch_execz .LBB1872_171
; %bb.170:
	v_lshlrev_b32_e32 v1, 2, v0
	v_readfirstlane_b32 s2, v4
	v_readfirstlane_b32 s3, v5
	ds_load_b32 v1, v1 offset:2048
	s_wait_dscnt 0x0
	global_store_b32 v0, v1, s[2:3] offset:2048 scale_offset
.LBB1872_171:
	s_wait_xcnt 0x0
	s_or_b32 exec_lo, exec_lo, s1
.LBB1872_172:
	s_and_not1_saveexec_b32 s0, s0
	s_cbranch_execz .LBB1872_174
; %bb.173:
	v_lshlrev_b32_e32 v1, 2, v0
	v_readfirstlane_b32 s2, v12
	v_readfirstlane_b32 s3, v13
	ds_load_b32 v1, v1 offset:2048
	s_wait_dscnt 0x0
	global_store_b32 v0, v1, s[2:3] offset:2048 scale_offset
.LBB1872_174:
	;; [unrolled: 47-line block ×12, first 2 shown]
	s_wait_xcnt 0x0
	s_or_b32 exec_lo, exec_lo, s0
	s_branch .LBB1872_148
.LBB1872_255:
	s_mov_b32 s0, exec_lo
	v_cmpx_gt_u32_e64 s6, v0
	s_cbranch_execz .LBB1872_264
; %bb.256:
	s_mov_b32 s1, exec_lo
	v_cmpx_ge_u32_e64 v0, v2
	s_xor_b32 s1, exec_lo, s1
	s_cbranch_execz .LBB1872_262
; %bb.257:
	v_mov_b32_e32 v1, 0
	s_mov_b32 s2, exec_lo
	v_cmpx_ge_u32_e64 v0, v14
	s_xor_b32 s2, exec_lo, s2
	s_cbranch_execz .LBB1872_259
; %bb.258:
	v_lshlrev_b32_e32 v15, 2, v0
	v_add_nc_u64_e32 v[16:17], v[10:11], v[0:1]
	ds_load_b32 v1, v15
	v_lshlrev_b64_e32 v[16:17], 2, v[16:17]
	s_delay_alu instid0(VALU_DEP_1)
	v_sub_nc_u64_e32 v[16:17], s[26:27], v[16:17]
	s_wait_dscnt 0x0
	global_store_b32 v[16:17], v1, off offset:-4
.LBB1872_259:
	s_wait_xcnt 0x0
	s_and_not1_saveexec_b32 s2, s2
	s_cbranch_execz .LBB1872_261
; %bb.260:
	v_lshlrev_b32_e32 v1, 2, v0
	v_readfirstlane_b32 s4, v4
	v_readfirstlane_b32 s5, v5
	ds_load_b32 v1, v1
	s_wait_dscnt 0x0
	global_store_b32 v0, v1, s[4:5] scale_offset
.LBB1872_261:
	s_wait_xcnt 0x0
	s_or_b32 exec_lo, exec_lo, s2
.LBB1872_262:
	s_and_not1_saveexec_b32 s1, s1
	s_cbranch_execz .LBB1872_264
; %bb.263:
	v_lshlrev_b32_e32 v1, 2, v0
	v_readfirstlane_b32 s2, v12
	v_readfirstlane_b32 s3, v13
	ds_load_b32 v1, v1
	s_wait_dscnt 0x0
	global_store_b32 v0, v1, s[2:3] scale_offset
.LBB1872_264:
	s_wait_xcnt 0x0
	s_or_b32 exec_lo, exec_lo, s0
	v_or_b32_e32 v1, 0x100, v0
	s_mov_b32 s0, exec_lo
	s_delay_alu instid0(VALU_DEP_1)
	v_cmpx_gt_u32_e64 s6, v1
	s_cbranch_execz .LBB1872_273
; %bb.265:
	s_mov_b32 s1, exec_lo
	v_cmpx_ge_u32_e64 v1, v2
	s_xor_b32 s1, exec_lo, s1
	s_cbranch_execz .LBB1872_271
; %bb.266:
	s_mov_b32 s2, exec_lo
	v_cmpx_ge_u32_e64 v1, v14
	s_xor_b32 s2, exec_lo, s2
	s_cbranch_execz .LBB1872_268
; %bb.267:
	v_dual_mov_b32 v1, 0 :: v_dual_lshlrev_b32 v15, 2, v0
	s_delay_alu instid0(VALU_DEP_1) | instskip(SKIP_2) | instid1(VALU_DEP_1)
	v_add_nc_u64_e32 v[16:17], v[10:11], v[0:1]
	ds_load_b32 v1, v15 offset:1024
	v_lshlrev_b64_e32 v[16:17], 2, v[16:17]
	v_sub_nc_u64_e32 v[16:17], s[26:27], v[16:17]
	s_wait_dscnt 0x0
	global_store_b32 v[16:17], v1, off offset:-1028
.LBB1872_268:
	s_wait_xcnt 0x0
	s_and_not1_saveexec_b32 s2, s2
	s_cbranch_execz .LBB1872_270
; %bb.269:
	v_lshlrev_b32_e32 v1, 2, v0
	v_readfirstlane_b32 s4, v4
	v_readfirstlane_b32 s5, v5
	ds_load_b32 v1, v1 offset:1024
	s_wait_dscnt 0x0
	global_store_b32 v0, v1, s[4:5] offset:1024 scale_offset
.LBB1872_270:
	s_wait_xcnt 0x0
	s_or_b32 exec_lo, exec_lo, s2
.LBB1872_271:
	s_and_not1_saveexec_b32 s1, s1
	s_cbranch_execz .LBB1872_273
; %bb.272:
	v_lshlrev_b32_e32 v1, 2, v0
	v_readfirstlane_b32 s2, v12
	v_readfirstlane_b32 s3, v13
	ds_load_b32 v1, v1 offset:1024
	s_wait_dscnt 0x0
	global_store_b32 v0, v1, s[2:3] offset:1024 scale_offset
.LBB1872_273:
	s_wait_xcnt 0x0
	s_or_b32 exec_lo, exec_lo, s0
	v_or_b32_e32 v1, 0x200, v0
	s_mov_b32 s0, exec_lo
	s_delay_alu instid0(VALU_DEP_1)
	v_cmpx_gt_u32_e64 s6, v1
	s_cbranch_execz .LBB1872_282
; %bb.274:
	s_mov_b32 s1, exec_lo
	v_cmpx_ge_u32_e64 v1, v2
	s_xor_b32 s1, exec_lo, s1
	s_cbranch_execz .LBB1872_280
; %bb.275:
	s_mov_b32 s2, exec_lo
	v_cmpx_ge_u32_e64 v1, v14
	s_xor_b32 s2, exec_lo, s2
	s_cbranch_execz .LBB1872_277
; %bb.276:
	v_dual_mov_b32 v1, 0 :: v_dual_lshlrev_b32 v15, 2, v0
	s_delay_alu instid0(VALU_DEP_1) | instskip(SKIP_2) | instid1(VALU_DEP_1)
	v_add_nc_u64_e32 v[16:17], v[10:11], v[0:1]
	ds_load_b32 v1, v15 offset:2048
	v_lshlrev_b64_e32 v[16:17], 2, v[16:17]
	v_sub_nc_u64_e32 v[16:17], s[26:27], v[16:17]
	s_wait_dscnt 0x0
	global_store_b32 v[16:17], v1, off offset:-2052
.LBB1872_277:
	s_wait_xcnt 0x0
	s_and_not1_saveexec_b32 s2, s2
	s_cbranch_execz .LBB1872_279
; %bb.278:
	v_lshlrev_b32_e32 v1, 2, v0
	v_readfirstlane_b32 s4, v4
	v_readfirstlane_b32 s5, v5
	ds_load_b32 v1, v1 offset:2048
	s_wait_dscnt 0x0
	global_store_b32 v0, v1, s[4:5] offset:2048 scale_offset
.LBB1872_279:
	s_wait_xcnt 0x0
	s_or_b32 exec_lo, exec_lo, s2
.LBB1872_280:
	s_and_not1_saveexec_b32 s1, s1
	s_cbranch_execz .LBB1872_282
; %bb.281:
	v_lshlrev_b32_e32 v1, 2, v0
	v_readfirstlane_b32 s2, v12
	v_readfirstlane_b32 s3, v13
	ds_load_b32 v1, v1 offset:2048
	s_wait_dscnt 0x0
	global_store_b32 v0, v1, s[2:3] offset:2048 scale_offset
.LBB1872_282:
	s_wait_xcnt 0x0
	s_or_b32 exec_lo, exec_lo, s0
	v_or_b32_e32 v1, 0x300, v0
	s_mov_b32 s0, exec_lo
	s_delay_alu instid0(VALU_DEP_1)
	v_cmpx_gt_u32_e64 s6, v1
	s_cbranch_execz .LBB1872_291
; %bb.283:
	s_mov_b32 s1, exec_lo
	v_cmpx_ge_u32_e64 v1, v2
	s_xor_b32 s1, exec_lo, s1
	s_cbranch_execz .LBB1872_289
; %bb.284:
	s_mov_b32 s2, exec_lo
	v_cmpx_ge_u32_e64 v1, v14
	s_xor_b32 s2, exec_lo, s2
	s_cbranch_execz .LBB1872_286
; %bb.285:
	v_dual_mov_b32 v1, 0 :: v_dual_lshlrev_b32 v15, 2, v0
	s_delay_alu instid0(VALU_DEP_1) | instskip(SKIP_2) | instid1(VALU_DEP_1)
	v_add_nc_u64_e32 v[16:17], v[10:11], v[0:1]
	ds_load_b32 v1, v15 offset:3072
	v_lshlrev_b64_e32 v[16:17], 2, v[16:17]
	v_sub_nc_u64_e32 v[16:17], s[26:27], v[16:17]
	s_wait_dscnt 0x0
	global_store_b32 v[16:17], v1, off offset:-3076
.LBB1872_286:
	s_wait_xcnt 0x0
	s_and_not1_saveexec_b32 s2, s2
	s_cbranch_execz .LBB1872_288
; %bb.287:
	v_lshlrev_b32_e32 v1, 2, v0
	v_readfirstlane_b32 s4, v4
	v_readfirstlane_b32 s5, v5
	ds_load_b32 v1, v1 offset:3072
	s_wait_dscnt 0x0
	global_store_b32 v0, v1, s[4:5] offset:3072 scale_offset
.LBB1872_288:
	s_wait_xcnt 0x0
	s_or_b32 exec_lo, exec_lo, s2
.LBB1872_289:
	s_and_not1_saveexec_b32 s1, s1
	s_cbranch_execz .LBB1872_291
; %bb.290:
	v_lshlrev_b32_e32 v1, 2, v0
	v_readfirstlane_b32 s2, v12
	v_readfirstlane_b32 s3, v13
	ds_load_b32 v1, v1 offset:3072
	s_wait_dscnt 0x0
	global_store_b32 v0, v1, s[2:3] offset:3072 scale_offset
.LBB1872_291:
	s_wait_xcnt 0x0
	s_or_b32 exec_lo, exec_lo, s0
	v_or_b32_e32 v1, 0x400, v0
	s_mov_b32 s0, exec_lo
	s_delay_alu instid0(VALU_DEP_1)
	v_cmpx_gt_u32_e64 s6, v1
	s_cbranch_execz .LBB1872_300
; %bb.292:
	s_mov_b32 s1, exec_lo
	v_cmpx_ge_u32_e64 v1, v2
	s_xor_b32 s1, exec_lo, s1
	s_cbranch_execz .LBB1872_298
; %bb.293:
	s_mov_b32 s2, exec_lo
	v_cmpx_ge_u32_e64 v1, v14
	s_xor_b32 s2, exec_lo, s2
	s_cbranch_execz .LBB1872_295
; %bb.294:
	v_dual_mov_b32 v1, 0 :: v_dual_lshlrev_b32 v15, 2, v0
	s_delay_alu instid0(VALU_DEP_1) | instskip(SKIP_2) | instid1(VALU_DEP_1)
	v_add_nc_u64_e32 v[16:17], v[10:11], v[0:1]
	ds_load_b32 v1, v15 offset:4096
	v_lshlrev_b64_e32 v[16:17], 2, v[16:17]
	v_sub_nc_u64_e32 v[16:17], s[26:27], v[16:17]
	s_wait_dscnt 0x0
	global_store_b32 v[16:17], v1, off offset:-4100
.LBB1872_295:
	s_wait_xcnt 0x0
	s_and_not1_saveexec_b32 s2, s2
	s_cbranch_execz .LBB1872_297
; %bb.296:
	v_lshlrev_b32_e32 v1, 2, v0
	v_readfirstlane_b32 s4, v4
	v_readfirstlane_b32 s5, v5
	ds_load_b32 v1, v1 offset:4096
	s_wait_dscnt 0x0
	global_store_b32 v0, v1, s[4:5] offset:4096 scale_offset
.LBB1872_297:
	s_wait_xcnt 0x0
	s_or_b32 exec_lo, exec_lo, s2
.LBB1872_298:
	s_and_not1_saveexec_b32 s1, s1
	s_cbranch_execz .LBB1872_300
; %bb.299:
	v_lshlrev_b32_e32 v1, 2, v0
	v_readfirstlane_b32 s2, v12
	v_readfirstlane_b32 s3, v13
	ds_load_b32 v1, v1 offset:4096
	s_wait_dscnt 0x0
	global_store_b32 v0, v1, s[2:3] offset:4096 scale_offset
.LBB1872_300:
	s_wait_xcnt 0x0
	s_or_b32 exec_lo, exec_lo, s0
	v_or_b32_e32 v1, 0x500, v0
	s_mov_b32 s0, exec_lo
	s_delay_alu instid0(VALU_DEP_1)
	v_cmpx_gt_u32_e64 s6, v1
	s_cbranch_execz .LBB1872_309
; %bb.301:
	s_mov_b32 s1, exec_lo
	v_cmpx_ge_u32_e64 v1, v2
	s_xor_b32 s1, exec_lo, s1
	s_cbranch_execz .LBB1872_307
; %bb.302:
	s_mov_b32 s2, exec_lo
	v_cmpx_ge_u32_e64 v1, v14
	s_xor_b32 s2, exec_lo, s2
	s_cbranch_execz .LBB1872_304
; %bb.303:
	v_dual_mov_b32 v1, 0 :: v_dual_lshlrev_b32 v15, 2, v0
	s_delay_alu instid0(VALU_DEP_1) | instskip(SKIP_2) | instid1(VALU_DEP_1)
	v_add_nc_u64_e32 v[16:17], v[10:11], v[0:1]
	ds_load_b32 v1, v15 offset:5120
	v_lshlrev_b64_e32 v[16:17], 2, v[16:17]
	v_sub_nc_u64_e32 v[16:17], s[26:27], v[16:17]
	s_wait_dscnt 0x0
	global_store_b32 v[16:17], v1, off offset:-5124
.LBB1872_304:
	s_wait_xcnt 0x0
	s_and_not1_saveexec_b32 s2, s2
	s_cbranch_execz .LBB1872_306
; %bb.305:
	v_lshlrev_b32_e32 v1, 2, v0
	v_readfirstlane_b32 s4, v4
	v_readfirstlane_b32 s5, v5
	ds_load_b32 v1, v1 offset:5120
	s_wait_dscnt 0x0
	global_store_b32 v0, v1, s[4:5] offset:5120 scale_offset
.LBB1872_306:
	s_wait_xcnt 0x0
	s_or_b32 exec_lo, exec_lo, s2
.LBB1872_307:
	s_and_not1_saveexec_b32 s1, s1
	s_cbranch_execz .LBB1872_309
; %bb.308:
	v_lshlrev_b32_e32 v1, 2, v0
	v_readfirstlane_b32 s2, v12
	v_readfirstlane_b32 s3, v13
	ds_load_b32 v1, v1 offset:5120
	s_wait_dscnt 0x0
	global_store_b32 v0, v1, s[2:3] offset:5120 scale_offset
.LBB1872_309:
	s_wait_xcnt 0x0
	s_or_b32 exec_lo, exec_lo, s0
	v_or_b32_e32 v1, 0x600, v0
	s_mov_b32 s0, exec_lo
	s_delay_alu instid0(VALU_DEP_1)
	v_cmpx_gt_u32_e64 s6, v1
	s_cbranch_execz .LBB1872_318
; %bb.310:
	s_mov_b32 s1, exec_lo
	v_cmpx_ge_u32_e64 v1, v2
	s_xor_b32 s1, exec_lo, s1
	s_cbranch_execz .LBB1872_316
; %bb.311:
	s_mov_b32 s2, exec_lo
	v_cmpx_ge_u32_e64 v1, v14
	s_xor_b32 s2, exec_lo, s2
	s_cbranch_execz .LBB1872_313
; %bb.312:
	v_dual_mov_b32 v1, 0 :: v_dual_lshlrev_b32 v15, 2, v0
	s_delay_alu instid0(VALU_DEP_1) | instskip(SKIP_2) | instid1(VALU_DEP_1)
	v_add_nc_u64_e32 v[16:17], v[10:11], v[0:1]
	ds_load_b32 v1, v15 offset:6144
	v_lshlrev_b64_e32 v[16:17], 2, v[16:17]
	v_sub_nc_u64_e32 v[16:17], s[26:27], v[16:17]
	s_wait_dscnt 0x0
	global_store_b32 v[16:17], v1, off offset:-6148
.LBB1872_313:
	s_wait_xcnt 0x0
	s_and_not1_saveexec_b32 s2, s2
	s_cbranch_execz .LBB1872_315
; %bb.314:
	v_lshlrev_b32_e32 v1, 2, v0
	v_readfirstlane_b32 s4, v4
	v_readfirstlane_b32 s5, v5
	ds_load_b32 v1, v1 offset:6144
	s_wait_dscnt 0x0
	global_store_b32 v0, v1, s[4:5] offset:6144 scale_offset
.LBB1872_315:
	s_wait_xcnt 0x0
	s_or_b32 exec_lo, exec_lo, s2
.LBB1872_316:
	s_and_not1_saveexec_b32 s1, s1
	s_cbranch_execz .LBB1872_318
; %bb.317:
	v_lshlrev_b32_e32 v1, 2, v0
	v_readfirstlane_b32 s2, v12
	v_readfirstlane_b32 s3, v13
	ds_load_b32 v1, v1 offset:6144
	s_wait_dscnt 0x0
	global_store_b32 v0, v1, s[2:3] offset:6144 scale_offset
.LBB1872_318:
	s_wait_xcnt 0x0
	s_or_b32 exec_lo, exec_lo, s0
	v_or_b32_e32 v1, 0x700, v0
	s_mov_b32 s0, exec_lo
	s_delay_alu instid0(VALU_DEP_1)
	v_cmpx_gt_u32_e64 s6, v1
	s_cbranch_execz .LBB1872_327
; %bb.319:
	s_mov_b32 s1, exec_lo
	v_cmpx_ge_u32_e64 v1, v2
	s_xor_b32 s1, exec_lo, s1
	s_cbranch_execz .LBB1872_325
; %bb.320:
	s_mov_b32 s2, exec_lo
	v_cmpx_ge_u32_e64 v1, v14
	s_xor_b32 s2, exec_lo, s2
	s_cbranch_execz .LBB1872_322
; %bb.321:
	v_dual_mov_b32 v1, 0 :: v_dual_lshlrev_b32 v15, 2, v0
	s_delay_alu instid0(VALU_DEP_1) | instskip(SKIP_2) | instid1(VALU_DEP_1)
	v_add_nc_u64_e32 v[16:17], v[10:11], v[0:1]
	ds_load_b32 v1, v15 offset:7168
	v_lshlrev_b64_e32 v[16:17], 2, v[16:17]
	v_sub_nc_u64_e32 v[16:17], s[26:27], v[16:17]
	s_wait_dscnt 0x0
	global_store_b32 v[16:17], v1, off offset:-7172
.LBB1872_322:
	s_wait_xcnt 0x0
	s_and_not1_saveexec_b32 s2, s2
	s_cbranch_execz .LBB1872_324
; %bb.323:
	v_lshlrev_b32_e32 v1, 2, v0
	v_readfirstlane_b32 s4, v4
	v_readfirstlane_b32 s5, v5
	ds_load_b32 v1, v1 offset:7168
	s_wait_dscnt 0x0
	global_store_b32 v0, v1, s[4:5] offset:7168 scale_offset
.LBB1872_324:
	s_wait_xcnt 0x0
	s_or_b32 exec_lo, exec_lo, s2
.LBB1872_325:
	s_and_not1_saveexec_b32 s1, s1
	s_cbranch_execz .LBB1872_327
; %bb.326:
	v_lshlrev_b32_e32 v1, 2, v0
	v_readfirstlane_b32 s2, v12
	v_readfirstlane_b32 s3, v13
	ds_load_b32 v1, v1 offset:7168
	s_wait_dscnt 0x0
	global_store_b32 v0, v1, s[2:3] offset:7168 scale_offset
.LBB1872_327:
	s_wait_xcnt 0x0
	s_or_b32 exec_lo, exec_lo, s0
	v_or_b32_e32 v1, 0x800, v0
	s_mov_b32 s0, exec_lo
	s_delay_alu instid0(VALU_DEP_1)
	v_cmpx_gt_u32_e64 s6, v1
	s_cbranch_execz .LBB1872_336
; %bb.328:
	s_mov_b32 s1, exec_lo
	v_cmpx_ge_u32_e64 v1, v2
	s_xor_b32 s1, exec_lo, s1
	s_cbranch_execz .LBB1872_334
; %bb.329:
	s_mov_b32 s2, exec_lo
	v_cmpx_ge_u32_e64 v1, v14
	s_xor_b32 s2, exec_lo, s2
	s_cbranch_execz .LBB1872_331
; %bb.330:
	v_dual_mov_b32 v1, 0 :: v_dual_lshlrev_b32 v15, 2, v0
	s_delay_alu instid0(VALU_DEP_1) | instskip(SKIP_2) | instid1(VALU_DEP_1)
	v_add_nc_u64_e32 v[16:17], v[10:11], v[0:1]
	ds_load_b32 v1, v15 offset:8192
	v_lshlrev_b64_e32 v[16:17], 2, v[16:17]
	v_sub_nc_u64_e32 v[16:17], s[26:27], v[16:17]
	s_wait_dscnt 0x0
	global_store_b32 v[16:17], v1, off offset:-8196
.LBB1872_331:
	s_wait_xcnt 0x0
	s_and_not1_saveexec_b32 s2, s2
	s_cbranch_execz .LBB1872_333
; %bb.332:
	v_lshlrev_b32_e32 v1, 2, v0
	v_readfirstlane_b32 s4, v4
	v_readfirstlane_b32 s5, v5
	ds_load_b32 v1, v1 offset:8192
	s_wait_dscnt 0x0
	global_store_b32 v0, v1, s[4:5] offset:8192 scale_offset
.LBB1872_333:
	s_wait_xcnt 0x0
	s_or_b32 exec_lo, exec_lo, s2
.LBB1872_334:
	s_and_not1_saveexec_b32 s1, s1
	s_cbranch_execz .LBB1872_336
; %bb.335:
	v_lshlrev_b32_e32 v1, 2, v0
	v_readfirstlane_b32 s2, v12
	v_readfirstlane_b32 s3, v13
	ds_load_b32 v1, v1 offset:8192
	s_wait_dscnt 0x0
	global_store_b32 v0, v1, s[2:3] offset:8192 scale_offset
.LBB1872_336:
	s_wait_xcnt 0x0
	s_or_b32 exec_lo, exec_lo, s0
	v_or_b32_e32 v1, 0x900, v0
	s_mov_b32 s0, exec_lo
	s_delay_alu instid0(VALU_DEP_1)
	v_cmpx_gt_u32_e64 s6, v1
	s_cbranch_execz .LBB1872_345
; %bb.337:
	s_mov_b32 s1, exec_lo
	v_cmpx_ge_u32_e64 v1, v2
	s_xor_b32 s1, exec_lo, s1
	s_cbranch_execz .LBB1872_343
; %bb.338:
	s_mov_b32 s2, exec_lo
	v_cmpx_ge_u32_e64 v1, v14
	s_xor_b32 s2, exec_lo, s2
	s_cbranch_execz .LBB1872_340
; %bb.339:
	v_dual_mov_b32 v1, 0 :: v_dual_lshlrev_b32 v15, 2, v0
	s_delay_alu instid0(VALU_DEP_1) | instskip(SKIP_2) | instid1(VALU_DEP_1)
	v_add_nc_u64_e32 v[16:17], v[10:11], v[0:1]
	ds_load_b32 v1, v15 offset:9216
	v_lshlrev_b64_e32 v[16:17], 2, v[16:17]
	v_sub_nc_u64_e32 v[16:17], s[26:27], v[16:17]
	s_wait_dscnt 0x0
	global_store_b32 v[16:17], v1, off offset:-9220
.LBB1872_340:
	s_wait_xcnt 0x0
	s_and_not1_saveexec_b32 s2, s2
	s_cbranch_execz .LBB1872_342
; %bb.341:
	v_lshlrev_b32_e32 v1, 2, v0
	v_readfirstlane_b32 s4, v4
	v_readfirstlane_b32 s5, v5
	ds_load_b32 v1, v1 offset:9216
	s_wait_dscnt 0x0
	global_store_b32 v0, v1, s[4:5] offset:9216 scale_offset
.LBB1872_342:
	s_wait_xcnt 0x0
	s_or_b32 exec_lo, exec_lo, s2
.LBB1872_343:
	s_and_not1_saveexec_b32 s1, s1
	s_cbranch_execz .LBB1872_345
; %bb.344:
	v_lshlrev_b32_e32 v1, 2, v0
	v_readfirstlane_b32 s2, v12
	v_readfirstlane_b32 s3, v13
	ds_load_b32 v1, v1 offset:9216
	s_wait_dscnt 0x0
	global_store_b32 v0, v1, s[2:3] offset:9216 scale_offset
.LBB1872_345:
	s_wait_xcnt 0x0
	s_or_b32 exec_lo, exec_lo, s0
	v_or_b32_e32 v1, 0xa00, v0
	s_mov_b32 s0, exec_lo
	s_delay_alu instid0(VALU_DEP_1)
	v_cmpx_gt_u32_e64 s6, v1
	s_cbranch_execz .LBB1872_354
; %bb.346:
	s_mov_b32 s1, exec_lo
	v_cmpx_ge_u32_e64 v1, v2
	s_xor_b32 s1, exec_lo, s1
	s_cbranch_execz .LBB1872_352
; %bb.347:
	s_mov_b32 s2, exec_lo
	v_cmpx_ge_u32_e64 v1, v14
	s_xor_b32 s2, exec_lo, s2
	s_cbranch_execz .LBB1872_349
; %bb.348:
	v_dual_mov_b32 v1, 0 :: v_dual_lshlrev_b32 v15, 2, v0
	s_delay_alu instid0(VALU_DEP_1) | instskip(SKIP_2) | instid1(VALU_DEP_1)
	v_add_nc_u64_e32 v[16:17], v[10:11], v[0:1]
	ds_load_b32 v1, v15 offset:10240
	v_lshlrev_b64_e32 v[16:17], 2, v[16:17]
	v_sub_nc_u64_e32 v[16:17], s[26:27], v[16:17]
	s_wait_dscnt 0x0
	global_store_b32 v[16:17], v1, off offset:-10244
.LBB1872_349:
	s_wait_xcnt 0x0
	s_and_not1_saveexec_b32 s2, s2
	s_cbranch_execz .LBB1872_351
; %bb.350:
	v_lshlrev_b32_e32 v1, 2, v0
	v_readfirstlane_b32 s4, v4
	v_readfirstlane_b32 s5, v5
	ds_load_b32 v1, v1 offset:10240
	s_wait_dscnt 0x0
	global_store_b32 v0, v1, s[4:5] offset:10240 scale_offset
.LBB1872_351:
	s_wait_xcnt 0x0
	s_or_b32 exec_lo, exec_lo, s2
.LBB1872_352:
	s_and_not1_saveexec_b32 s1, s1
	s_cbranch_execz .LBB1872_354
; %bb.353:
	v_lshlrev_b32_e32 v1, 2, v0
	v_readfirstlane_b32 s2, v12
	v_readfirstlane_b32 s3, v13
	ds_load_b32 v1, v1 offset:10240
	s_wait_dscnt 0x0
	global_store_b32 v0, v1, s[2:3] offset:10240 scale_offset
.LBB1872_354:
	s_wait_xcnt 0x0
	s_or_b32 exec_lo, exec_lo, s0
	v_or_b32_e32 v1, 0xb00, v0
	s_mov_b32 s0, exec_lo
	s_delay_alu instid0(VALU_DEP_1)
	v_cmpx_gt_u32_e64 s6, v1
	s_cbranch_execz .LBB1872_363
; %bb.355:
	s_mov_b32 s1, exec_lo
	v_cmpx_ge_u32_e64 v1, v2
	s_xor_b32 s1, exec_lo, s1
	s_cbranch_execz .LBB1872_361
; %bb.356:
	s_mov_b32 s2, exec_lo
	v_cmpx_ge_u32_e64 v1, v14
	s_xor_b32 s2, exec_lo, s2
	s_cbranch_execz .LBB1872_358
; %bb.357:
	v_dual_mov_b32 v1, 0 :: v_dual_lshlrev_b32 v15, 2, v0
	s_delay_alu instid0(VALU_DEP_1) | instskip(SKIP_2) | instid1(VALU_DEP_1)
	v_add_nc_u64_e32 v[16:17], v[10:11], v[0:1]
	ds_load_b32 v1, v15 offset:11264
	v_lshlrev_b64_e32 v[16:17], 2, v[16:17]
	v_sub_nc_u64_e32 v[16:17], s[26:27], v[16:17]
	s_wait_dscnt 0x0
	global_store_b32 v[16:17], v1, off offset:-11268
.LBB1872_358:
	s_wait_xcnt 0x0
	s_and_not1_saveexec_b32 s2, s2
	s_cbranch_execz .LBB1872_360
; %bb.359:
	v_lshlrev_b32_e32 v1, 2, v0
	v_readfirstlane_b32 s4, v4
	v_readfirstlane_b32 s5, v5
	ds_load_b32 v1, v1 offset:11264
	s_wait_dscnt 0x0
	global_store_b32 v0, v1, s[4:5] offset:11264 scale_offset
.LBB1872_360:
	s_wait_xcnt 0x0
	s_or_b32 exec_lo, exec_lo, s2
.LBB1872_361:
	s_and_not1_saveexec_b32 s1, s1
	s_cbranch_execz .LBB1872_363
; %bb.362:
	v_lshlrev_b32_e32 v1, 2, v0
	v_readfirstlane_b32 s2, v12
	v_readfirstlane_b32 s3, v13
	ds_load_b32 v1, v1 offset:11264
	s_wait_dscnt 0x0
	global_store_b32 v0, v1, s[2:3] offset:11264 scale_offset
.LBB1872_363:
	s_wait_xcnt 0x0
	s_or_b32 exec_lo, exec_lo, s0
	v_or_b32_e32 v1, 0xc00, v0
	s_mov_b32 s0, exec_lo
	s_delay_alu instid0(VALU_DEP_1)
	v_cmpx_gt_u32_e64 s6, v1
	s_cbranch_execz .LBB1872_372
; %bb.364:
	s_mov_b32 s1, exec_lo
	v_cmpx_ge_u32_e64 v1, v2
	s_xor_b32 s1, exec_lo, s1
	s_cbranch_execz .LBB1872_370
; %bb.365:
	s_mov_b32 s2, exec_lo
	v_cmpx_ge_u32_e64 v1, v14
	s_xor_b32 s2, exec_lo, s2
	s_cbranch_execz .LBB1872_367
; %bb.366:
	v_dual_mov_b32 v1, 0 :: v_dual_lshlrev_b32 v12, 2, v0
	s_delay_alu instid0(VALU_DEP_1) | instskip(SKIP_2) | instid1(VALU_DEP_1)
	v_add_nc_u64_e32 v[4:5], v[10:11], v[0:1]
	ds_load_b32 v1, v12 offset:12288
	v_lshlrev_b64_e32 v[4:5], 2, v[4:5]
	v_sub_nc_u64_e32 v[4:5], s[26:27], v[4:5]
	s_wait_dscnt 0x0
	global_store_b32 v[4:5], v1, off offset:-12292
                                        ; implicit-def: $vgpr4_vgpr5
.LBB1872_367:
	s_wait_xcnt 0x0
	s_and_not1_saveexec_b32 s2, s2
	s_cbranch_execz .LBB1872_369
; %bb.368:
	v_lshlrev_b32_e32 v1, 2, v0
	v_readfirstlane_b32 s4, v4
	v_readfirstlane_b32 s5, v5
	ds_load_b32 v1, v1 offset:12288
	s_wait_dscnt 0x0
	global_store_b32 v0, v1, s[4:5] offset:12288 scale_offset
.LBB1872_369:
	s_wait_xcnt 0x0
	s_or_b32 exec_lo, exec_lo, s2
                                        ; implicit-def: $vgpr12_vgpr13
.LBB1872_370:
	s_and_not1_saveexec_b32 s1, s1
	s_cbranch_execz .LBB1872_372
; %bb.371:
	v_lshlrev_b32_e32 v1, 2, v0
	v_readfirstlane_b32 s2, v12
	v_readfirstlane_b32 s3, v13
	ds_load_b32 v1, v1 offset:12288
	s_wait_dscnt 0x0
	global_store_b32 v0, v1, s[2:3] offset:12288 scale_offset
.LBB1872_372:
	s_wait_xcnt 0x0
	s_or_b32 exec_lo, exec_lo, s0
	v_cmp_eq_u32_e32 vcc_lo, 0, v0
	s_and_b32 s0, vcc_lo, s15
	s_delay_alu instid0(SALU_CYCLE_1)
	s_and_saveexec_b32 s1, s0
	s_cbranch_execz .LBB1872_149
.LBB1872_373:
	v_add_nc_u64_e32 v[0:1], s[30:31], v[8:9]
	v_add_nc_u64_e32 v[2:3], v[22:23], v[2:3]
	s_delay_alu instid0(VALU_DEP_2)
	v_add_nc_u64_e32 v[4:5], v[0:1], v[6:7]
	v_mov_b32_e32 v0, 0
	global_store_b128 v0, v[2:5], s[24:25]
	s_sendmsg sendmsg(MSG_DEALLOC_VGPRS)
	s_endpgm
	.section	.rodata,"a",@progbits
	.p2align	6, 0x0
	.amdhsa_kernel _ZN7rocprim17ROCPRIM_400000_NS6detail17trampoline_kernelINS0_13select_configILj256ELj13ELNS0_17block_load_methodE3ELS4_3ELS4_3ELNS0_20block_scan_algorithmE0ELj4294967295EEENS1_25partition_config_selectorILNS1_17partition_subalgoE4EjNS0_10empty_typeEbEEZZNS1_14partition_implILS8_4ELb0ES6_15HIP_vector_typeIjLj2EENS0_17counting_iteratorIjlEEPS9_SG_NS0_5tupleIJPjSI_NS0_16reverse_iteratorISI_EEEEENSH_IJSG_SG_SG_EEES9_SI_JZNS1_25segmented_radix_sort_implINS0_14default_configELb1EPK12hip_bfloat16PSP_PKlPlN2at6native12_GLOBAL__N_18offset_tEEE10hipError_tPvRmT1_PNSt15iterator_traitsIS13_E10value_typeET2_T3_PNS14_IS19_E10value_typeET4_jRbjT5_S1F_jjP12ihipStream_tbEUljE_ZNSN_ISO_Lb1ESR_SS_SU_SV_SZ_EES10_S11_S12_S13_S17_S18_S19_S1C_S1D_jS1E_jS1F_S1F_jjS1H_bEUljE0_EEES10_S11_S12_S19_S1D_S1F_T6_T7_T9_mT8_S1H_bDpT10_ENKUlT_T0_E_clISt17integral_constantIbLb0EES1V_EEDaS1Q_S1R_EUlS1Q_E_NS1_11comp_targetILNS1_3genE0ELNS1_11target_archE4294967295ELNS1_3gpuE0ELNS1_3repE0EEENS1_30default_config_static_selectorELNS0_4arch9wavefront6targetE0EEEvS13_
		.amdhsa_group_segment_fixed_size 13328
		.amdhsa_private_segment_fixed_size 0
		.amdhsa_kernarg_size 176
		.amdhsa_user_sgpr_count 2
		.amdhsa_user_sgpr_dispatch_ptr 0
		.amdhsa_user_sgpr_queue_ptr 0
		.amdhsa_user_sgpr_kernarg_segment_ptr 1
		.amdhsa_user_sgpr_dispatch_id 0
		.amdhsa_user_sgpr_kernarg_preload_length 0
		.amdhsa_user_sgpr_kernarg_preload_offset 0
		.amdhsa_user_sgpr_private_segment_size 0
		.amdhsa_wavefront_size32 1
		.amdhsa_uses_dynamic_stack 0
		.amdhsa_enable_private_segment 0
		.amdhsa_system_sgpr_workgroup_id_x 1
		.amdhsa_system_sgpr_workgroup_id_y 0
		.amdhsa_system_sgpr_workgroup_id_z 0
		.amdhsa_system_sgpr_workgroup_info 0
		.amdhsa_system_vgpr_workitem_id 0
		.amdhsa_next_free_vgpr 81
		.amdhsa_next_free_sgpr 59
		.amdhsa_named_barrier_count 0
		.amdhsa_reserve_vcc 1
		.amdhsa_float_round_mode_32 0
		.amdhsa_float_round_mode_16_64 0
		.amdhsa_float_denorm_mode_32 3
		.amdhsa_float_denorm_mode_16_64 3
		.amdhsa_fp16_overflow 0
		.amdhsa_memory_ordered 1
		.amdhsa_forward_progress 1
		.amdhsa_inst_pref_size 139
		.amdhsa_round_robin_scheduling 0
		.amdhsa_exception_fp_ieee_invalid_op 0
		.amdhsa_exception_fp_denorm_src 0
		.amdhsa_exception_fp_ieee_div_zero 0
		.amdhsa_exception_fp_ieee_overflow 0
		.amdhsa_exception_fp_ieee_underflow 0
		.amdhsa_exception_fp_ieee_inexact 0
		.amdhsa_exception_int_div_zero 0
	.end_amdhsa_kernel
	.section	.text._ZN7rocprim17ROCPRIM_400000_NS6detail17trampoline_kernelINS0_13select_configILj256ELj13ELNS0_17block_load_methodE3ELS4_3ELS4_3ELNS0_20block_scan_algorithmE0ELj4294967295EEENS1_25partition_config_selectorILNS1_17partition_subalgoE4EjNS0_10empty_typeEbEEZZNS1_14partition_implILS8_4ELb0ES6_15HIP_vector_typeIjLj2EENS0_17counting_iteratorIjlEEPS9_SG_NS0_5tupleIJPjSI_NS0_16reverse_iteratorISI_EEEEENSH_IJSG_SG_SG_EEES9_SI_JZNS1_25segmented_radix_sort_implINS0_14default_configELb1EPK12hip_bfloat16PSP_PKlPlN2at6native12_GLOBAL__N_18offset_tEEE10hipError_tPvRmT1_PNSt15iterator_traitsIS13_E10value_typeET2_T3_PNS14_IS19_E10value_typeET4_jRbjT5_S1F_jjP12ihipStream_tbEUljE_ZNSN_ISO_Lb1ESR_SS_SU_SV_SZ_EES10_S11_S12_S13_S17_S18_S19_S1C_S1D_jS1E_jS1F_S1F_jjS1H_bEUljE0_EEES10_S11_S12_S19_S1D_S1F_T6_T7_T9_mT8_S1H_bDpT10_ENKUlT_T0_E_clISt17integral_constantIbLb0EES1V_EEDaS1Q_S1R_EUlS1Q_E_NS1_11comp_targetILNS1_3genE0ELNS1_11target_archE4294967295ELNS1_3gpuE0ELNS1_3repE0EEENS1_30default_config_static_selectorELNS0_4arch9wavefront6targetE0EEEvS13_,"axG",@progbits,_ZN7rocprim17ROCPRIM_400000_NS6detail17trampoline_kernelINS0_13select_configILj256ELj13ELNS0_17block_load_methodE3ELS4_3ELS4_3ELNS0_20block_scan_algorithmE0ELj4294967295EEENS1_25partition_config_selectorILNS1_17partition_subalgoE4EjNS0_10empty_typeEbEEZZNS1_14partition_implILS8_4ELb0ES6_15HIP_vector_typeIjLj2EENS0_17counting_iteratorIjlEEPS9_SG_NS0_5tupleIJPjSI_NS0_16reverse_iteratorISI_EEEEENSH_IJSG_SG_SG_EEES9_SI_JZNS1_25segmented_radix_sort_implINS0_14default_configELb1EPK12hip_bfloat16PSP_PKlPlN2at6native12_GLOBAL__N_18offset_tEEE10hipError_tPvRmT1_PNSt15iterator_traitsIS13_E10value_typeET2_T3_PNS14_IS19_E10value_typeET4_jRbjT5_S1F_jjP12ihipStream_tbEUljE_ZNSN_ISO_Lb1ESR_SS_SU_SV_SZ_EES10_S11_S12_S13_S17_S18_S19_S1C_S1D_jS1E_jS1F_S1F_jjS1H_bEUljE0_EEES10_S11_S12_S19_S1D_S1F_T6_T7_T9_mT8_S1H_bDpT10_ENKUlT_T0_E_clISt17integral_constantIbLb0EES1V_EEDaS1Q_S1R_EUlS1Q_E_NS1_11comp_targetILNS1_3genE0ELNS1_11target_archE4294967295ELNS1_3gpuE0ELNS1_3repE0EEENS1_30default_config_static_selectorELNS0_4arch9wavefront6targetE0EEEvS13_,comdat
.Lfunc_end1872:
	.size	_ZN7rocprim17ROCPRIM_400000_NS6detail17trampoline_kernelINS0_13select_configILj256ELj13ELNS0_17block_load_methodE3ELS4_3ELS4_3ELNS0_20block_scan_algorithmE0ELj4294967295EEENS1_25partition_config_selectorILNS1_17partition_subalgoE4EjNS0_10empty_typeEbEEZZNS1_14partition_implILS8_4ELb0ES6_15HIP_vector_typeIjLj2EENS0_17counting_iteratorIjlEEPS9_SG_NS0_5tupleIJPjSI_NS0_16reverse_iteratorISI_EEEEENSH_IJSG_SG_SG_EEES9_SI_JZNS1_25segmented_radix_sort_implINS0_14default_configELb1EPK12hip_bfloat16PSP_PKlPlN2at6native12_GLOBAL__N_18offset_tEEE10hipError_tPvRmT1_PNSt15iterator_traitsIS13_E10value_typeET2_T3_PNS14_IS19_E10value_typeET4_jRbjT5_S1F_jjP12ihipStream_tbEUljE_ZNSN_ISO_Lb1ESR_SS_SU_SV_SZ_EES10_S11_S12_S13_S17_S18_S19_S1C_S1D_jS1E_jS1F_S1F_jjS1H_bEUljE0_EEES10_S11_S12_S19_S1D_S1F_T6_T7_T9_mT8_S1H_bDpT10_ENKUlT_T0_E_clISt17integral_constantIbLb0EES1V_EEDaS1Q_S1R_EUlS1Q_E_NS1_11comp_targetILNS1_3genE0ELNS1_11target_archE4294967295ELNS1_3gpuE0ELNS1_3repE0EEENS1_30default_config_static_selectorELNS0_4arch9wavefront6targetE0EEEvS13_, .Lfunc_end1872-_ZN7rocprim17ROCPRIM_400000_NS6detail17trampoline_kernelINS0_13select_configILj256ELj13ELNS0_17block_load_methodE3ELS4_3ELS4_3ELNS0_20block_scan_algorithmE0ELj4294967295EEENS1_25partition_config_selectorILNS1_17partition_subalgoE4EjNS0_10empty_typeEbEEZZNS1_14partition_implILS8_4ELb0ES6_15HIP_vector_typeIjLj2EENS0_17counting_iteratorIjlEEPS9_SG_NS0_5tupleIJPjSI_NS0_16reverse_iteratorISI_EEEEENSH_IJSG_SG_SG_EEES9_SI_JZNS1_25segmented_radix_sort_implINS0_14default_configELb1EPK12hip_bfloat16PSP_PKlPlN2at6native12_GLOBAL__N_18offset_tEEE10hipError_tPvRmT1_PNSt15iterator_traitsIS13_E10value_typeET2_T3_PNS14_IS19_E10value_typeET4_jRbjT5_S1F_jjP12ihipStream_tbEUljE_ZNSN_ISO_Lb1ESR_SS_SU_SV_SZ_EES10_S11_S12_S13_S17_S18_S19_S1C_S1D_jS1E_jS1F_S1F_jjS1H_bEUljE0_EEES10_S11_S12_S19_S1D_S1F_T6_T7_T9_mT8_S1H_bDpT10_ENKUlT_T0_E_clISt17integral_constantIbLb0EES1V_EEDaS1Q_S1R_EUlS1Q_E_NS1_11comp_targetILNS1_3genE0ELNS1_11target_archE4294967295ELNS1_3gpuE0ELNS1_3repE0EEENS1_30default_config_static_selectorELNS0_4arch9wavefront6targetE0EEEvS13_
                                        ; -- End function
	.set _ZN7rocprim17ROCPRIM_400000_NS6detail17trampoline_kernelINS0_13select_configILj256ELj13ELNS0_17block_load_methodE3ELS4_3ELS4_3ELNS0_20block_scan_algorithmE0ELj4294967295EEENS1_25partition_config_selectorILNS1_17partition_subalgoE4EjNS0_10empty_typeEbEEZZNS1_14partition_implILS8_4ELb0ES6_15HIP_vector_typeIjLj2EENS0_17counting_iteratorIjlEEPS9_SG_NS0_5tupleIJPjSI_NS0_16reverse_iteratorISI_EEEEENSH_IJSG_SG_SG_EEES9_SI_JZNS1_25segmented_radix_sort_implINS0_14default_configELb1EPK12hip_bfloat16PSP_PKlPlN2at6native12_GLOBAL__N_18offset_tEEE10hipError_tPvRmT1_PNSt15iterator_traitsIS13_E10value_typeET2_T3_PNS14_IS19_E10value_typeET4_jRbjT5_S1F_jjP12ihipStream_tbEUljE_ZNSN_ISO_Lb1ESR_SS_SU_SV_SZ_EES10_S11_S12_S13_S17_S18_S19_S1C_S1D_jS1E_jS1F_S1F_jjS1H_bEUljE0_EEES10_S11_S12_S19_S1D_S1F_T6_T7_T9_mT8_S1H_bDpT10_ENKUlT_T0_E_clISt17integral_constantIbLb0EES1V_EEDaS1Q_S1R_EUlS1Q_E_NS1_11comp_targetILNS1_3genE0ELNS1_11target_archE4294967295ELNS1_3gpuE0ELNS1_3repE0EEENS1_30default_config_static_selectorELNS0_4arch9wavefront6targetE0EEEvS13_.num_vgpr, 81
	.set _ZN7rocprim17ROCPRIM_400000_NS6detail17trampoline_kernelINS0_13select_configILj256ELj13ELNS0_17block_load_methodE3ELS4_3ELS4_3ELNS0_20block_scan_algorithmE0ELj4294967295EEENS1_25partition_config_selectorILNS1_17partition_subalgoE4EjNS0_10empty_typeEbEEZZNS1_14partition_implILS8_4ELb0ES6_15HIP_vector_typeIjLj2EENS0_17counting_iteratorIjlEEPS9_SG_NS0_5tupleIJPjSI_NS0_16reverse_iteratorISI_EEEEENSH_IJSG_SG_SG_EEES9_SI_JZNS1_25segmented_radix_sort_implINS0_14default_configELb1EPK12hip_bfloat16PSP_PKlPlN2at6native12_GLOBAL__N_18offset_tEEE10hipError_tPvRmT1_PNSt15iterator_traitsIS13_E10value_typeET2_T3_PNS14_IS19_E10value_typeET4_jRbjT5_S1F_jjP12ihipStream_tbEUljE_ZNSN_ISO_Lb1ESR_SS_SU_SV_SZ_EES10_S11_S12_S13_S17_S18_S19_S1C_S1D_jS1E_jS1F_S1F_jjS1H_bEUljE0_EEES10_S11_S12_S19_S1D_S1F_T6_T7_T9_mT8_S1H_bDpT10_ENKUlT_T0_E_clISt17integral_constantIbLb0EES1V_EEDaS1Q_S1R_EUlS1Q_E_NS1_11comp_targetILNS1_3genE0ELNS1_11target_archE4294967295ELNS1_3gpuE0ELNS1_3repE0EEENS1_30default_config_static_selectorELNS0_4arch9wavefront6targetE0EEEvS13_.num_agpr, 0
	.set _ZN7rocprim17ROCPRIM_400000_NS6detail17trampoline_kernelINS0_13select_configILj256ELj13ELNS0_17block_load_methodE3ELS4_3ELS4_3ELNS0_20block_scan_algorithmE0ELj4294967295EEENS1_25partition_config_selectorILNS1_17partition_subalgoE4EjNS0_10empty_typeEbEEZZNS1_14partition_implILS8_4ELb0ES6_15HIP_vector_typeIjLj2EENS0_17counting_iteratorIjlEEPS9_SG_NS0_5tupleIJPjSI_NS0_16reverse_iteratorISI_EEEEENSH_IJSG_SG_SG_EEES9_SI_JZNS1_25segmented_radix_sort_implINS0_14default_configELb1EPK12hip_bfloat16PSP_PKlPlN2at6native12_GLOBAL__N_18offset_tEEE10hipError_tPvRmT1_PNSt15iterator_traitsIS13_E10value_typeET2_T3_PNS14_IS19_E10value_typeET4_jRbjT5_S1F_jjP12ihipStream_tbEUljE_ZNSN_ISO_Lb1ESR_SS_SU_SV_SZ_EES10_S11_S12_S13_S17_S18_S19_S1C_S1D_jS1E_jS1F_S1F_jjS1H_bEUljE0_EEES10_S11_S12_S19_S1D_S1F_T6_T7_T9_mT8_S1H_bDpT10_ENKUlT_T0_E_clISt17integral_constantIbLb0EES1V_EEDaS1Q_S1R_EUlS1Q_E_NS1_11comp_targetILNS1_3genE0ELNS1_11target_archE4294967295ELNS1_3gpuE0ELNS1_3repE0EEENS1_30default_config_static_selectorELNS0_4arch9wavefront6targetE0EEEvS13_.numbered_sgpr, 59
	.set _ZN7rocprim17ROCPRIM_400000_NS6detail17trampoline_kernelINS0_13select_configILj256ELj13ELNS0_17block_load_methodE3ELS4_3ELS4_3ELNS0_20block_scan_algorithmE0ELj4294967295EEENS1_25partition_config_selectorILNS1_17partition_subalgoE4EjNS0_10empty_typeEbEEZZNS1_14partition_implILS8_4ELb0ES6_15HIP_vector_typeIjLj2EENS0_17counting_iteratorIjlEEPS9_SG_NS0_5tupleIJPjSI_NS0_16reverse_iteratorISI_EEEEENSH_IJSG_SG_SG_EEES9_SI_JZNS1_25segmented_radix_sort_implINS0_14default_configELb1EPK12hip_bfloat16PSP_PKlPlN2at6native12_GLOBAL__N_18offset_tEEE10hipError_tPvRmT1_PNSt15iterator_traitsIS13_E10value_typeET2_T3_PNS14_IS19_E10value_typeET4_jRbjT5_S1F_jjP12ihipStream_tbEUljE_ZNSN_ISO_Lb1ESR_SS_SU_SV_SZ_EES10_S11_S12_S13_S17_S18_S19_S1C_S1D_jS1E_jS1F_S1F_jjS1H_bEUljE0_EEES10_S11_S12_S19_S1D_S1F_T6_T7_T9_mT8_S1H_bDpT10_ENKUlT_T0_E_clISt17integral_constantIbLb0EES1V_EEDaS1Q_S1R_EUlS1Q_E_NS1_11comp_targetILNS1_3genE0ELNS1_11target_archE4294967295ELNS1_3gpuE0ELNS1_3repE0EEENS1_30default_config_static_selectorELNS0_4arch9wavefront6targetE0EEEvS13_.num_named_barrier, 0
	.set _ZN7rocprim17ROCPRIM_400000_NS6detail17trampoline_kernelINS0_13select_configILj256ELj13ELNS0_17block_load_methodE3ELS4_3ELS4_3ELNS0_20block_scan_algorithmE0ELj4294967295EEENS1_25partition_config_selectorILNS1_17partition_subalgoE4EjNS0_10empty_typeEbEEZZNS1_14partition_implILS8_4ELb0ES6_15HIP_vector_typeIjLj2EENS0_17counting_iteratorIjlEEPS9_SG_NS0_5tupleIJPjSI_NS0_16reverse_iteratorISI_EEEEENSH_IJSG_SG_SG_EEES9_SI_JZNS1_25segmented_radix_sort_implINS0_14default_configELb1EPK12hip_bfloat16PSP_PKlPlN2at6native12_GLOBAL__N_18offset_tEEE10hipError_tPvRmT1_PNSt15iterator_traitsIS13_E10value_typeET2_T3_PNS14_IS19_E10value_typeET4_jRbjT5_S1F_jjP12ihipStream_tbEUljE_ZNSN_ISO_Lb1ESR_SS_SU_SV_SZ_EES10_S11_S12_S13_S17_S18_S19_S1C_S1D_jS1E_jS1F_S1F_jjS1H_bEUljE0_EEES10_S11_S12_S19_S1D_S1F_T6_T7_T9_mT8_S1H_bDpT10_ENKUlT_T0_E_clISt17integral_constantIbLb0EES1V_EEDaS1Q_S1R_EUlS1Q_E_NS1_11comp_targetILNS1_3genE0ELNS1_11target_archE4294967295ELNS1_3gpuE0ELNS1_3repE0EEENS1_30default_config_static_selectorELNS0_4arch9wavefront6targetE0EEEvS13_.private_seg_size, 0
	.set _ZN7rocprim17ROCPRIM_400000_NS6detail17trampoline_kernelINS0_13select_configILj256ELj13ELNS0_17block_load_methodE3ELS4_3ELS4_3ELNS0_20block_scan_algorithmE0ELj4294967295EEENS1_25partition_config_selectorILNS1_17partition_subalgoE4EjNS0_10empty_typeEbEEZZNS1_14partition_implILS8_4ELb0ES6_15HIP_vector_typeIjLj2EENS0_17counting_iteratorIjlEEPS9_SG_NS0_5tupleIJPjSI_NS0_16reverse_iteratorISI_EEEEENSH_IJSG_SG_SG_EEES9_SI_JZNS1_25segmented_radix_sort_implINS0_14default_configELb1EPK12hip_bfloat16PSP_PKlPlN2at6native12_GLOBAL__N_18offset_tEEE10hipError_tPvRmT1_PNSt15iterator_traitsIS13_E10value_typeET2_T3_PNS14_IS19_E10value_typeET4_jRbjT5_S1F_jjP12ihipStream_tbEUljE_ZNSN_ISO_Lb1ESR_SS_SU_SV_SZ_EES10_S11_S12_S13_S17_S18_S19_S1C_S1D_jS1E_jS1F_S1F_jjS1H_bEUljE0_EEES10_S11_S12_S19_S1D_S1F_T6_T7_T9_mT8_S1H_bDpT10_ENKUlT_T0_E_clISt17integral_constantIbLb0EES1V_EEDaS1Q_S1R_EUlS1Q_E_NS1_11comp_targetILNS1_3genE0ELNS1_11target_archE4294967295ELNS1_3gpuE0ELNS1_3repE0EEENS1_30default_config_static_selectorELNS0_4arch9wavefront6targetE0EEEvS13_.uses_vcc, 1
	.set _ZN7rocprim17ROCPRIM_400000_NS6detail17trampoline_kernelINS0_13select_configILj256ELj13ELNS0_17block_load_methodE3ELS4_3ELS4_3ELNS0_20block_scan_algorithmE0ELj4294967295EEENS1_25partition_config_selectorILNS1_17partition_subalgoE4EjNS0_10empty_typeEbEEZZNS1_14partition_implILS8_4ELb0ES6_15HIP_vector_typeIjLj2EENS0_17counting_iteratorIjlEEPS9_SG_NS0_5tupleIJPjSI_NS0_16reverse_iteratorISI_EEEEENSH_IJSG_SG_SG_EEES9_SI_JZNS1_25segmented_radix_sort_implINS0_14default_configELb1EPK12hip_bfloat16PSP_PKlPlN2at6native12_GLOBAL__N_18offset_tEEE10hipError_tPvRmT1_PNSt15iterator_traitsIS13_E10value_typeET2_T3_PNS14_IS19_E10value_typeET4_jRbjT5_S1F_jjP12ihipStream_tbEUljE_ZNSN_ISO_Lb1ESR_SS_SU_SV_SZ_EES10_S11_S12_S13_S17_S18_S19_S1C_S1D_jS1E_jS1F_S1F_jjS1H_bEUljE0_EEES10_S11_S12_S19_S1D_S1F_T6_T7_T9_mT8_S1H_bDpT10_ENKUlT_T0_E_clISt17integral_constantIbLb0EES1V_EEDaS1Q_S1R_EUlS1Q_E_NS1_11comp_targetILNS1_3genE0ELNS1_11target_archE4294967295ELNS1_3gpuE0ELNS1_3repE0EEENS1_30default_config_static_selectorELNS0_4arch9wavefront6targetE0EEEvS13_.uses_flat_scratch, 0
	.set _ZN7rocprim17ROCPRIM_400000_NS6detail17trampoline_kernelINS0_13select_configILj256ELj13ELNS0_17block_load_methodE3ELS4_3ELS4_3ELNS0_20block_scan_algorithmE0ELj4294967295EEENS1_25partition_config_selectorILNS1_17partition_subalgoE4EjNS0_10empty_typeEbEEZZNS1_14partition_implILS8_4ELb0ES6_15HIP_vector_typeIjLj2EENS0_17counting_iteratorIjlEEPS9_SG_NS0_5tupleIJPjSI_NS0_16reverse_iteratorISI_EEEEENSH_IJSG_SG_SG_EEES9_SI_JZNS1_25segmented_radix_sort_implINS0_14default_configELb1EPK12hip_bfloat16PSP_PKlPlN2at6native12_GLOBAL__N_18offset_tEEE10hipError_tPvRmT1_PNSt15iterator_traitsIS13_E10value_typeET2_T3_PNS14_IS19_E10value_typeET4_jRbjT5_S1F_jjP12ihipStream_tbEUljE_ZNSN_ISO_Lb1ESR_SS_SU_SV_SZ_EES10_S11_S12_S13_S17_S18_S19_S1C_S1D_jS1E_jS1F_S1F_jjS1H_bEUljE0_EEES10_S11_S12_S19_S1D_S1F_T6_T7_T9_mT8_S1H_bDpT10_ENKUlT_T0_E_clISt17integral_constantIbLb0EES1V_EEDaS1Q_S1R_EUlS1Q_E_NS1_11comp_targetILNS1_3genE0ELNS1_11target_archE4294967295ELNS1_3gpuE0ELNS1_3repE0EEENS1_30default_config_static_selectorELNS0_4arch9wavefront6targetE0EEEvS13_.has_dyn_sized_stack, 0
	.set _ZN7rocprim17ROCPRIM_400000_NS6detail17trampoline_kernelINS0_13select_configILj256ELj13ELNS0_17block_load_methodE3ELS4_3ELS4_3ELNS0_20block_scan_algorithmE0ELj4294967295EEENS1_25partition_config_selectorILNS1_17partition_subalgoE4EjNS0_10empty_typeEbEEZZNS1_14partition_implILS8_4ELb0ES6_15HIP_vector_typeIjLj2EENS0_17counting_iteratorIjlEEPS9_SG_NS0_5tupleIJPjSI_NS0_16reverse_iteratorISI_EEEEENSH_IJSG_SG_SG_EEES9_SI_JZNS1_25segmented_radix_sort_implINS0_14default_configELb1EPK12hip_bfloat16PSP_PKlPlN2at6native12_GLOBAL__N_18offset_tEEE10hipError_tPvRmT1_PNSt15iterator_traitsIS13_E10value_typeET2_T3_PNS14_IS19_E10value_typeET4_jRbjT5_S1F_jjP12ihipStream_tbEUljE_ZNSN_ISO_Lb1ESR_SS_SU_SV_SZ_EES10_S11_S12_S13_S17_S18_S19_S1C_S1D_jS1E_jS1F_S1F_jjS1H_bEUljE0_EEES10_S11_S12_S19_S1D_S1F_T6_T7_T9_mT8_S1H_bDpT10_ENKUlT_T0_E_clISt17integral_constantIbLb0EES1V_EEDaS1Q_S1R_EUlS1Q_E_NS1_11comp_targetILNS1_3genE0ELNS1_11target_archE4294967295ELNS1_3gpuE0ELNS1_3repE0EEENS1_30default_config_static_selectorELNS0_4arch9wavefront6targetE0EEEvS13_.has_recursion, 0
	.set _ZN7rocprim17ROCPRIM_400000_NS6detail17trampoline_kernelINS0_13select_configILj256ELj13ELNS0_17block_load_methodE3ELS4_3ELS4_3ELNS0_20block_scan_algorithmE0ELj4294967295EEENS1_25partition_config_selectorILNS1_17partition_subalgoE4EjNS0_10empty_typeEbEEZZNS1_14partition_implILS8_4ELb0ES6_15HIP_vector_typeIjLj2EENS0_17counting_iteratorIjlEEPS9_SG_NS0_5tupleIJPjSI_NS0_16reverse_iteratorISI_EEEEENSH_IJSG_SG_SG_EEES9_SI_JZNS1_25segmented_radix_sort_implINS0_14default_configELb1EPK12hip_bfloat16PSP_PKlPlN2at6native12_GLOBAL__N_18offset_tEEE10hipError_tPvRmT1_PNSt15iterator_traitsIS13_E10value_typeET2_T3_PNS14_IS19_E10value_typeET4_jRbjT5_S1F_jjP12ihipStream_tbEUljE_ZNSN_ISO_Lb1ESR_SS_SU_SV_SZ_EES10_S11_S12_S13_S17_S18_S19_S1C_S1D_jS1E_jS1F_S1F_jjS1H_bEUljE0_EEES10_S11_S12_S19_S1D_S1F_T6_T7_T9_mT8_S1H_bDpT10_ENKUlT_T0_E_clISt17integral_constantIbLb0EES1V_EEDaS1Q_S1R_EUlS1Q_E_NS1_11comp_targetILNS1_3genE0ELNS1_11target_archE4294967295ELNS1_3gpuE0ELNS1_3repE0EEENS1_30default_config_static_selectorELNS0_4arch9wavefront6targetE0EEEvS13_.has_indirect_call, 0
	.section	.AMDGPU.csdata,"",@progbits
; Kernel info:
; codeLenInByte = 17784
; TotalNumSgprs: 61
; NumVgprs: 81
; ScratchSize: 0
; MemoryBound: 0
; FloatMode: 240
; IeeeMode: 1
; LDSByteSize: 13328 bytes/workgroup (compile time only)
; SGPRBlocks: 0
; VGPRBlocks: 5
; NumSGPRsForWavesPerEU: 61
; NumVGPRsForWavesPerEU: 81
; NamedBarCnt: 0
; Occupancy: 10
; WaveLimiterHint : 1
; COMPUTE_PGM_RSRC2:SCRATCH_EN: 0
; COMPUTE_PGM_RSRC2:USER_SGPR: 2
; COMPUTE_PGM_RSRC2:TRAP_HANDLER: 0
; COMPUTE_PGM_RSRC2:TGID_X_EN: 1
; COMPUTE_PGM_RSRC2:TGID_Y_EN: 0
; COMPUTE_PGM_RSRC2:TGID_Z_EN: 0
; COMPUTE_PGM_RSRC2:TIDIG_COMP_CNT: 0
	.section	.text._ZN7rocprim17ROCPRIM_400000_NS6detail17trampoline_kernelINS0_13select_configILj256ELj13ELNS0_17block_load_methodE3ELS4_3ELS4_3ELNS0_20block_scan_algorithmE0ELj4294967295EEENS1_25partition_config_selectorILNS1_17partition_subalgoE4EjNS0_10empty_typeEbEEZZNS1_14partition_implILS8_4ELb0ES6_15HIP_vector_typeIjLj2EENS0_17counting_iteratorIjlEEPS9_SG_NS0_5tupleIJPjSI_NS0_16reverse_iteratorISI_EEEEENSH_IJSG_SG_SG_EEES9_SI_JZNS1_25segmented_radix_sort_implINS0_14default_configELb1EPK12hip_bfloat16PSP_PKlPlN2at6native12_GLOBAL__N_18offset_tEEE10hipError_tPvRmT1_PNSt15iterator_traitsIS13_E10value_typeET2_T3_PNS14_IS19_E10value_typeET4_jRbjT5_S1F_jjP12ihipStream_tbEUljE_ZNSN_ISO_Lb1ESR_SS_SU_SV_SZ_EES10_S11_S12_S13_S17_S18_S19_S1C_S1D_jS1E_jS1F_S1F_jjS1H_bEUljE0_EEES10_S11_S12_S19_S1D_S1F_T6_T7_T9_mT8_S1H_bDpT10_ENKUlT_T0_E_clISt17integral_constantIbLb0EES1V_EEDaS1Q_S1R_EUlS1Q_E_NS1_11comp_targetILNS1_3genE5ELNS1_11target_archE942ELNS1_3gpuE9ELNS1_3repE0EEENS1_30default_config_static_selectorELNS0_4arch9wavefront6targetE0EEEvS13_,"axG",@progbits,_ZN7rocprim17ROCPRIM_400000_NS6detail17trampoline_kernelINS0_13select_configILj256ELj13ELNS0_17block_load_methodE3ELS4_3ELS4_3ELNS0_20block_scan_algorithmE0ELj4294967295EEENS1_25partition_config_selectorILNS1_17partition_subalgoE4EjNS0_10empty_typeEbEEZZNS1_14partition_implILS8_4ELb0ES6_15HIP_vector_typeIjLj2EENS0_17counting_iteratorIjlEEPS9_SG_NS0_5tupleIJPjSI_NS0_16reverse_iteratorISI_EEEEENSH_IJSG_SG_SG_EEES9_SI_JZNS1_25segmented_radix_sort_implINS0_14default_configELb1EPK12hip_bfloat16PSP_PKlPlN2at6native12_GLOBAL__N_18offset_tEEE10hipError_tPvRmT1_PNSt15iterator_traitsIS13_E10value_typeET2_T3_PNS14_IS19_E10value_typeET4_jRbjT5_S1F_jjP12ihipStream_tbEUljE_ZNSN_ISO_Lb1ESR_SS_SU_SV_SZ_EES10_S11_S12_S13_S17_S18_S19_S1C_S1D_jS1E_jS1F_S1F_jjS1H_bEUljE0_EEES10_S11_S12_S19_S1D_S1F_T6_T7_T9_mT8_S1H_bDpT10_ENKUlT_T0_E_clISt17integral_constantIbLb0EES1V_EEDaS1Q_S1R_EUlS1Q_E_NS1_11comp_targetILNS1_3genE5ELNS1_11target_archE942ELNS1_3gpuE9ELNS1_3repE0EEENS1_30default_config_static_selectorELNS0_4arch9wavefront6targetE0EEEvS13_,comdat
	.globl	_ZN7rocprim17ROCPRIM_400000_NS6detail17trampoline_kernelINS0_13select_configILj256ELj13ELNS0_17block_load_methodE3ELS4_3ELS4_3ELNS0_20block_scan_algorithmE0ELj4294967295EEENS1_25partition_config_selectorILNS1_17partition_subalgoE4EjNS0_10empty_typeEbEEZZNS1_14partition_implILS8_4ELb0ES6_15HIP_vector_typeIjLj2EENS0_17counting_iteratorIjlEEPS9_SG_NS0_5tupleIJPjSI_NS0_16reverse_iteratorISI_EEEEENSH_IJSG_SG_SG_EEES9_SI_JZNS1_25segmented_radix_sort_implINS0_14default_configELb1EPK12hip_bfloat16PSP_PKlPlN2at6native12_GLOBAL__N_18offset_tEEE10hipError_tPvRmT1_PNSt15iterator_traitsIS13_E10value_typeET2_T3_PNS14_IS19_E10value_typeET4_jRbjT5_S1F_jjP12ihipStream_tbEUljE_ZNSN_ISO_Lb1ESR_SS_SU_SV_SZ_EES10_S11_S12_S13_S17_S18_S19_S1C_S1D_jS1E_jS1F_S1F_jjS1H_bEUljE0_EEES10_S11_S12_S19_S1D_S1F_T6_T7_T9_mT8_S1H_bDpT10_ENKUlT_T0_E_clISt17integral_constantIbLb0EES1V_EEDaS1Q_S1R_EUlS1Q_E_NS1_11comp_targetILNS1_3genE5ELNS1_11target_archE942ELNS1_3gpuE9ELNS1_3repE0EEENS1_30default_config_static_selectorELNS0_4arch9wavefront6targetE0EEEvS13_ ; -- Begin function _ZN7rocprim17ROCPRIM_400000_NS6detail17trampoline_kernelINS0_13select_configILj256ELj13ELNS0_17block_load_methodE3ELS4_3ELS4_3ELNS0_20block_scan_algorithmE0ELj4294967295EEENS1_25partition_config_selectorILNS1_17partition_subalgoE4EjNS0_10empty_typeEbEEZZNS1_14partition_implILS8_4ELb0ES6_15HIP_vector_typeIjLj2EENS0_17counting_iteratorIjlEEPS9_SG_NS0_5tupleIJPjSI_NS0_16reverse_iteratorISI_EEEEENSH_IJSG_SG_SG_EEES9_SI_JZNS1_25segmented_radix_sort_implINS0_14default_configELb1EPK12hip_bfloat16PSP_PKlPlN2at6native12_GLOBAL__N_18offset_tEEE10hipError_tPvRmT1_PNSt15iterator_traitsIS13_E10value_typeET2_T3_PNS14_IS19_E10value_typeET4_jRbjT5_S1F_jjP12ihipStream_tbEUljE_ZNSN_ISO_Lb1ESR_SS_SU_SV_SZ_EES10_S11_S12_S13_S17_S18_S19_S1C_S1D_jS1E_jS1F_S1F_jjS1H_bEUljE0_EEES10_S11_S12_S19_S1D_S1F_T6_T7_T9_mT8_S1H_bDpT10_ENKUlT_T0_E_clISt17integral_constantIbLb0EES1V_EEDaS1Q_S1R_EUlS1Q_E_NS1_11comp_targetILNS1_3genE5ELNS1_11target_archE942ELNS1_3gpuE9ELNS1_3repE0EEENS1_30default_config_static_selectorELNS0_4arch9wavefront6targetE0EEEvS13_
	.p2align	8
	.type	_ZN7rocprim17ROCPRIM_400000_NS6detail17trampoline_kernelINS0_13select_configILj256ELj13ELNS0_17block_load_methodE3ELS4_3ELS4_3ELNS0_20block_scan_algorithmE0ELj4294967295EEENS1_25partition_config_selectorILNS1_17partition_subalgoE4EjNS0_10empty_typeEbEEZZNS1_14partition_implILS8_4ELb0ES6_15HIP_vector_typeIjLj2EENS0_17counting_iteratorIjlEEPS9_SG_NS0_5tupleIJPjSI_NS0_16reverse_iteratorISI_EEEEENSH_IJSG_SG_SG_EEES9_SI_JZNS1_25segmented_radix_sort_implINS0_14default_configELb1EPK12hip_bfloat16PSP_PKlPlN2at6native12_GLOBAL__N_18offset_tEEE10hipError_tPvRmT1_PNSt15iterator_traitsIS13_E10value_typeET2_T3_PNS14_IS19_E10value_typeET4_jRbjT5_S1F_jjP12ihipStream_tbEUljE_ZNSN_ISO_Lb1ESR_SS_SU_SV_SZ_EES10_S11_S12_S13_S17_S18_S19_S1C_S1D_jS1E_jS1F_S1F_jjS1H_bEUljE0_EEES10_S11_S12_S19_S1D_S1F_T6_T7_T9_mT8_S1H_bDpT10_ENKUlT_T0_E_clISt17integral_constantIbLb0EES1V_EEDaS1Q_S1R_EUlS1Q_E_NS1_11comp_targetILNS1_3genE5ELNS1_11target_archE942ELNS1_3gpuE9ELNS1_3repE0EEENS1_30default_config_static_selectorELNS0_4arch9wavefront6targetE0EEEvS13_,@function
_ZN7rocprim17ROCPRIM_400000_NS6detail17trampoline_kernelINS0_13select_configILj256ELj13ELNS0_17block_load_methodE3ELS4_3ELS4_3ELNS0_20block_scan_algorithmE0ELj4294967295EEENS1_25partition_config_selectorILNS1_17partition_subalgoE4EjNS0_10empty_typeEbEEZZNS1_14partition_implILS8_4ELb0ES6_15HIP_vector_typeIjLj2EENS0_17counting_iteratorIjlEEPS9_SG_NS0_5tupleIJPjSI_NS0_16reverse_iteratorISI_EEEEENSH_IJSG_SG_SG_EEES9_SI_JZNS1_25segmented_radix_sort_implINS0_14default_configELb1EPK12hip_bfloat16PSP_PKlPlN2at6native12_GLOBAL__N_18offset_tEEE10hipError_tPvRmT1_PNSt15iterator_traitsIS13_E10value_typeET2_T3_PNS14_IS19_E10value_typeET4_jRbjT5_S1F_jjP12ihipStream_tbEUljE_ZNSN_ISO_Lb1ESR_SS_SU_SV_SZ_EES10_S11_S12_S13_S17_S18_S19_S1C_S1D_jS1E_jS1F_S1F_jjS1H_bEUljE0_EEES10_S11_S12_S19_S1D_S1F_T6_T7_T9_mT8_S1H_bDpT10_ENKUlT_T0_E_clISt17integral_constantIbLb0EES1V_EEDaS1Q_S1R_EUlS1Q_E_NS1_11comp_targetILNS1_3genE5ELNS1_11target_archE942ELNS1_3gpuE9ELNS1_3repE0EEENS1_30default_config_static_selectorELNS0_4arch9wavefront6targetE0EEEvS13_: ; @_ZN7rocprim17ROCPRIM_400000_NS6detail17trampoline_kernelINS0_13select_configILj256ELj13ELNS0_17block_load_methodE3ELS4_3ELS4_3ELNS0_20block_scan_algorithmE0ELj4294967295EEENS1_25partition_config_selectorILNS1_17partition_subalgoE4EjNS0_10empty_typeEbEEZZNS1_14partition_implILS8_4ELb0ES6_15HIP_vector_typeIjLj2EENS0_17counting_iteratorIjlEEPS9_SG_NS0_5tupleIJPjSI_NS0_16reverse_iteratorISI_EEEEENSH_IJSG_SG_SG_EEES9_SI_JZNS1_25segmented_radix_sort_implINS0_14default_configELb1EPK12hip_bfloat16PSP_PKlPlN2at6native12_GLOBAL__N_18offset_tEEE10hipError_tPvRmT1_PNSt15iterator_traitsIS13_E10value_typeET2_T3_PNS14_IS19_E10value_typeET4_jRbjT5_S1F_jjP12ihipStream_tbEUljE_ZNSN_ISO_Lb1ESR_SS_SU_SV_SZ_EES10_S11_S12_S13_S17_S18_S19_S1C_S1D_jS1E_jS1F_S1F_jjS1H_bEUljE0_EEES10_S11_S12_S19_S1D_S1F_T6_T7_T9_mT8_S1H_bDpT10_ENKUlT_T0_E_clISt17integral_constantIbLb0EES1V_EEDaS1Q_S1R_EUlS1Q_E_NS1_11comp_targetILNS1_3genE5ELNS1_11target_archE942ELNS1_3gpuE9ELNS1_3repE0EEENS1_30default_config_static_selectorELNS0_4arch9wavefront6targetE0EEEvS13_
; %bb.0:
	.section	.rodata,"a",@progbits
	.p2align	6, 0x0
	.amdhsa_kernel _ZN7rocprim17ROCPRIM_400000_NS6detail17trampoline_kernelINS0_13select_configILj256ELj13ELNS0_17block_load_methodE3ELS4_3ELS4_3ELNS0_20block_scan_algorithmE0ELj4294967295EEENS1_25partition_config_selectorILNS1_17partition_subalgoE4EjNS0_10empty_typeEbEEZZNS1_14partition_implILS8_4ELb0ES6_15HIP_vector_typeIjLj2EENS0_17counting_iteratorIjlEEPS9_SG_NS0_5tupleIJPjSI_NS0_16reverse_iteratorISI_EEEEENSH_IJSG_SG_SG_EEES9_SI_JZNS1_25segmented_radix_sort_implINS0_14default_configELb1EPK12hip_bfloat16PSP_PKlPlN2at6native12_GLOBAL__N_18offset_tEEE10hipError_tPvRmT1_PNSt15iterator_traitsIS13_E10value_typeET2_T3_PNS14_IS19_E10value_typeET4_jRbjT5_S1F_jjP12ihipStream_tbEUljE_ZNSN_ISO_Lb1ESR_SS_SU_SV_SZ_EES10_S11_S12_S13_S17_S18_S19_S1C_S1D_jS1E_jS1F_S1F_jjS1H_bEUljE0_EEES10_S11_S12_S19_S1D_S1F_T6_T7_T9_mT8_S1H_bDpT10_ENKUlT_T0_E_clISt17integral_constantIbLb0EES1V_EEDaS1Q_S1R_EUlS1Q_E_NS1_11comp_targetILNS1_3genE5ELNS1_11target_archE942ELNS1_3gpuE9ELNS1_3repE0EEENS1_30default_config_static_selectorELNS0_4arch9wavefront6targetE0EEEvS13_
		.amdhsa_group_segment_fixed_size 0
		.amdhsa_private_segment_fixed_size 0
		.amdhsa_kernarg_size 176
		.amdhsa_user_sgpr_count 2
		.amdhsa_user_sgpr_dispatch_ptr 0
		.amdhsa_user_sgpr_queue_ptr 0
		.amdhsa_user_sgpr_kernarg_segment_ptr 1
		.amdhsa_user_sgpr_dispatch_id 0
		.amdhsa_user_sgpr_kernarg_preload_length 0
		.amdhsa_user_sgpr_kernarg_preload_offset 0
		.amdhsa_user_sgpr_private_segment_size 0
		.amdhsa_wavefront_size32 1
		.amdhsa_uses_dynamic_stack 0
		.amdhsa_enable_private_segment 0
		.amdhsa_system_sgpr_workgroup_id_x 1
		.amdhsa_system_sgpr_workgroup_id_y 0
		.amdhsa_system_sgpr_workgroup_id_z 0
		.amdhsa_system_sgpr_workgroup_info 0
		.amdhsa_system_vgpr_workitem_id 0
		.amdhsa_next_free_vgpr 1
		.amdhsa_next_free_sgpr 1
		.amdhsa_named_barrier_count 0
		.amdhsa_reserve_vcc 0
		.amdhsa_float_round_mode_32 0
		.amdhsa_float_round_mode_16_64 0
		.amdhsa_float_denorm_mode_32 3
		.amdhsa_float_denorm_mode_16_64 3
		.amdhsa_fp16_overflow 0
		.amdhsa_memory_ordered 1
		.amdhsa_forward_progress 1
		.amdhsa_inst_pref_size 0
		.amdhsa_round_robin_scheduling 0
		.amdhsa_exception_fp_ieee_invalid_op 0
		.amdhsa_exception_fp_denorm_src 0
		.amdhsa_exception_fp_ieee_div_zero 0
		.amdhsa_exception_fp_ieee_overflow 0
		.amdhsa_exception_fp_ieee_underflow 0
		.amdhsa_exception_fp_ieee_inexact 0
		.amdhsa_exception_int_div_zero 0
	.end_amdhsa_kernel
	.section	.text._ZN7rocprim17ROCPRIM_400000_NS6detail17trampoline_kernelINS0_13select_configILj256ELj13ELNS0_17block_load_methodE3ELS4_3ELS4_3ELNS0_20block_scan_algorithmE0ELj4294967295EEENS1_25partition_config_selectorILNS1_17partition_subalgoE4EjNS0_10empty_typeEbEEZZNS1_14partition_implILS8_4ELb0ES6_15HIP_vector_typeIjLj2EENS0_17counting_iteratorIjlEEPS9_SG_NS0_5tupleIJPjSI_NS0_16reverse_iteratorISI_EEEEENSH_IJSG_SG_SG_EEES9_SI_JZNS1_25segmented_radix_sort_implINS0_14default_configELb1EPK12hip_bfloat16PSP_PKlPlN2at6native12_GLOBAL__N_18offset_tEEE10hipError_tPvRmT1_PNSt15iterator_traitsIS13_E10value_typeET2_T3_PNS14_IS19_E10value_typeET4_jRbjT5_S1F_jjP12ihipStream_tbEUljE_ZNSN_ISO_Lb1ESR_SS_SU_SV_SZ_EES10_S11_S12_S13_S17_S18_S19_S1C_S1D_jS1E_jS1F_S1F_jjS1H_bEUljE0_EEES10_S11_S12_S19_S1D_S1F_T6_T7_T9_mT8_S1H_bDpT10_ENKUlT_T0_E_clISt17integral_constantIbLb0EES1V_EEDaS1Q_S1R_EUlS1Q_E_NS1_11comp_targetILNS1_3genE5ELNS1_11target_archE942ELNS1_3gpuE9ELNS1_3repE0EEENS1_30default_config_static_selectorELNS0_4arch9wavefront6targetE0EEEvS13_,"axG",@progbits,_ZN7rocprim17ROCPRIM_400000_NS6detail17trampoline_kernelINS0_13select_configILj256ELj13ELNS0_17block_load_methodE3ELS4_3ELS4_3ELNS0_20block_scan_algorithmE0ELj4294967295EEENS1_25partition_config_selectorILNS1_17partition_subalgoE4EjNS0_10empty_typeEbEEZZNS1_14partition_implILS8_4ELb0ES6_15HIP_vector_typeIjLj2EENS0_17counting_iteratorIjlEEPS9_SG_NS0_5tupleIJPjSI_NS0_16reverse_iteratorISI_EEEEENSH_IJSG_SG_SG_EEES9_SI_JZNS1_25segmented_radix_sort_implINS0_14default_configELb1EPK12hip_bfloat16PSP_PKlPlN2at6native12_GLOBAL__N_18offset_tEEE10hipError_tPvRmT1_PNSt15iterator_traitsIS13_E10value_typeET2_T3_PNS14_IS19_E10value_typeET4_jRbjT5_S1F_jjP12ihipStream_tbEUljE_ZNSN_ISO_Lb1ESR_SS_SU_SV_SZ_EES10_S11_S12_S13_S17_S18_S19_S1C_S1D_jS1E_jS1F_S1F_jjS1H_bEUljE0_EEES10_S11_S12_S19_S1D_S1F_T6_T7_T9_mT8_S1H_bDpT10_ENKUlT_T0_E_clISt17integral_constantIbLb0EES1V_EEDaS1Q_S1R_EUlS1Q_E_NS1_11comp_targetILNS1_3genE5ELNS1_11target_archE942ELNS1_3gpuE9ELNS1_3repE0EEENS1_30default_config_static_selectorELNS0_4arch9wavefront6targetE0EEEvS13_,comdat
.Lfunc_end1873:
	.size	_ZN7rocprim17ROCPRIM_400000_NS6detail17trampoline_kernelINS0_13select_configILj256ELj13ELNS0_17block_load_methodE3ELS4_3ELS4_3ELNS0_20block_scan_algorithmE0ELj4294967295EEENS1_25partition_config_selectorILNS1_17partition_subalgoE4EjNS0_10empty_typeEbEEZZNS1_14partition_implILS8_4ELb0ES6_15HIP_vector_typeIjLj2EENS0_17counting_iteratorIjlEEPS9_SG_NS0_5tupleIJPjSI_NS0_16reverse_iteratorISI_EEEEENSH_IJSG_SG_SG_EEES9_SI_JZNS1_25segmented_radix_sort_implINS0_14default_configELb1EPK12hip_bfloat16PSP_PKlPlN2at6native12_GLOBAL__N_18offset_tEEE10hipError_tPvRmT1_PNSt15iterator_traitsIS13_E10value_typeET2_T3_PNS14_IS19_E10value_typeET4_jRbjT5_S1F_jjP12ihipStream_tbEUljE_ZNSN_ISO_Lb1ESR_SS_SU_SV_SZ_EES10_S11_S12_S13_S17_S18_S19_S1C_S1D_jS1E_jS1F_S1F_jjS1H_bEUljE0_EEES10_S11_S12_S19_S1D_S1F_T6_T7_T9_mT8_S1H_bDpT10_ENKUlT_T0_E_clISt17integral_constantIbLb0EES1V_EEDaS1Q_S1R_EUlS1Q_E_NS1_11comp_targetILNS1_3genE5ELNS1_11target_archE942ELNS1_3gpuE9ELNS1_3repE0EEENS1_30default_config_static_selectorELNS0_4arch9wavefront6targetE0EEEvS13_, .Lfunc_end1873-_ZN7rocprim17ROCPRIM_400000_NS6detail17trampoline_kernelINS0_13select_configILj256ELj13ELNS0_17block_load_methodE3ELS4_3ELS4_3ELNS0_20block_scan_algorithmE0ELj4294967295EEENS1_25partition_config_selectorILNS1_17partition_subalgoE4EjNS0_10empty_typeEbEEZZNS1_14partition_implILS8_4ELb0ES6_15HIP_vector_typeIjLj2EENS0_17counting_iteratorIjlEEPS9_SG_NS0_5tupleIJPjSI_NS0_16reverse_iteratorISI_EEEEENSH_IJSG_SG_SG_EEES9_SI_JZNS1_25segmented_radix_sort_implINS0_14default_configELb1EPK12hip_bfloat16PSP_PKlPlN2at6native12_GLOBAL__N_18offset_tEEE10hipError_tPvRmT1_PNSt15iterator_traitsIS13_E10value_typeET2_T3_PNS14_IS19_E10value_typeET4_jRbjT5_S1F_jjP12ihipStream_tbEUljE_ZNSN_ISO_Lb1ESR_SS_SU_SV_SZ_EES10_S11_S12_S13_S17_S18_S19_S1C_S1D_jS1E_jS1F_S1F_jjS1H_bEUljE0_EEES10_S11_S12_S19_S1D_S1F_T6_T7_T9_mT8_S1H_bDpT10_ENKUlT_T0_E_clISt17integral_constantIbLb0EES1V_EEDaS1Q_S1R_EUlS1Q_E_NS1_11comp_targetILNS1_3genE5ELNS1_11target_archE942ELNS1_3gpuE9ELNS1_3repE0EEENS1_30default_config_static_selectorELNS0_4arch9wavefront6targetE0EEEvS13_
                                        ; -- End function
	.set _ZN7rocprim17ROCPRIM_400000_NS6detail17trampoline_kernelINS0_13select_configILj256ELj13ELNS0_17block_load_methodE3ELS4_3ELS4_3ELNS0_20block_scan_algorithmE0ELj4294967295EEENS1_25partition_config_selectorILNS1_17partition_subalgoE4EjNS0_10empty_typeEbEEZZNS1_14partition_implILS8_4ELb0ES6_15HIP_vector_typeIjLj2EENS0_17counting_iteratorIjlEEPS9_SG_NS0_5tupleIJPjSI_NS0_16reverse_iteratorISI_EEEEENSH_IJSG_SG_SG_EEES9_SI_JZNS1_25segmented_radix_sort_implINS0_14default_configELb1EPK12hip_bfloat16PSP_PKlPlN2at6native12_GLOBAL__N_18offset_tEEE10hipError_tPvRmT1_PNSt15iterator_traitsIS13_E10value_typeET2_T3_PNS14_IS19_E10value_typeET4_jRbjT5_S1F_jjP12ihipStream_tbEUljE_ZNSN_ISO_Lb1ESR_SS_SU_SV_SZ_EES10_S11_S12_S13_S17_S18_S19_S1C_S1D_jS1E_jS1F_S1F_jjS1H_bEUljE0_EEES10_S11_S12_S19_S1D_S1F_T6_T7_T9_mT8_S1H_bDpT10_ENKUlT_T0_E_clISt17integral_constantIbLb0EES1V_EEDaS1Q_S1R_EUlS1Q_E_NS1_11comp_targetILNS1_3genE5ELNS1_11target_archE942ELNS1_3gpuE9ELNS1_3repE0EEENS1_30default_config_static_selectorELNS0_4arch9wavefront6targetE0EEEvS13_.num_vgpr, 0
	.set _ZN7rocprim17ROCPRIM_400000_NS6detail17trampoline_kernelINS0_13select_configILj256ELj13ELNS0_17block_load_methodE3ELS4_3ELS4_3ELNS0_20block_scan_algorithmE0ELj4294967295EEENS1_25partition_config_selectorILNS1_17partition_subalgoE4EjNS0_10empty_typeEbEEZZNS1_14partition_implILS8_4ELb0ES6_15HIP_vector_typeIjLj2EENS0_17counting_iteratorIjlEEPS9_SG_NS0_5tupleIJPjSI_NS0_16reverse_iteratorISI_EEEEENSH_IJSG_SG_SG_EEES9_SI_JZNS1_25segmented_radix_sort_implINS0_14default_configELb1EPK12hip_bfloat16PSP_PKlPlN2at6native12_GLOBAL__N_18offset_tEEE10hipError_tPvRmT1_PNSt15iterator_traitsIS13_E10value_typeET2_T3_PNS14_IS19_E10value_typeET4_jRbjT5_S1F_jjP12ihipStream_tbEUljE_ZNSN_ISO_Lb1ESR_SS_SU_SV_SZ_EES10_S11_S12_S13_S17_S18_S19_S1C_S1D_jS1E_jS1F_S1F_jjS1H_bEUljE0_EEES10_S11_S12_S19_S1D_S1F_T6_T7_T9_mT8_S1H_bDpT10_ENKUlT_T0_E_clISt17integral_constantIbLb0EES1V_EEDaS1Q_S1R_EUlS1Q_E_NS1_11comp_targetILNS1_3genE5ELNS1_11target_archE942ELNS1_3gpuE9ELNS1_3repE0EEENS1_30default_config_static_selectorELNS0_4arch9wavefront6targetE0EEEvS13_.num_agpr, 0
	.set _ZN7rocprim17ROCPRIM_400000_NS6detail17trampoline_kernelINS0_13select_configILj256ELj13ELNS0_17block_load_methodE3ELS4_3ELS4_3ELNS0_20block_scan_algorithmE0ELj4294967295EEENS1_25partition_config_selectorILNS1_17partition_subalgoE4EjNS0_10empty_typeEbEEZZNS1_14partition_implILS8_4ELb0ES6_15HIP_vector_typeIjLj2EENS0_17counting_iteratorIjlEEPS9_SG_NS0_5tupleIJPjSI_NS0_16reverse_iteratorISI_EEEEENSH_IJSG_SG_SG_EEES9_SI_JZNS1_25segmented_radix_sort_implINS0_14default_configELb1EPK12hip_bfloat16PSP_PKlPlN2at6native12_GLOBAL__N_18offset_tEEE10hipError_tPvRmT1_PNSt15iterator_traitsIS13_E10value_typeET2_T3_PNS14_IS19_E10value_typeET4_jRbjT5_S1F_jjP12ihipStream_tbEUljE_ZNSN_ISO_Lb1ESR_SS_SU_SV_SZ_EES10_S11_S12_S13_S17_S18_S19_S1C_S1D_jS1E_jS1F_S1F_jjS1H_bEUljE0_EEES10_S11_S12_S19_S1D_S1F_T6_T7_T9_mT8_S1H_bDpT10_ENKUlT_T0_E_clISt17integral_constantIbLb0EES1V_EEDaS1Q_S1R_EUlS1Q_E_NS1_11comp_targetILNS1_3genE5ELNS1_11target_archE942ELNS1_3gpuE9ELNS1_3repE0EEENS1_30default_config_static_selectorELNS0_4arch9wavefront6targetE0EEEvS13_.numbered_sgpr, 0
	.set _ZN7rocprim17ROCPRIM_400000_NS6detail17trampoline_kernelINS0_13select_configILj256ELj13ELNS0_17block_load_methodE3ELS4_3ELS4_3ELNS0_20block_scan_algorithmE0ELj4294967295EEENS1_25partition_config_selectorILNS1_17partition_subalgoE4EjNS0_10empty_typeEbEEZZNS1_14partition_implILS8_4ELb0ES6_15HIP_vector_typeIjLj2EENS0_17counting_iteratorIjlEEPS9_SG_NS0_5tupleIJPjSI_NS0_16reverse_iteratorISI_EEEEENSH_IJSG_SG_SG_EEES9_SI_JZNS1_25segmented_radix_sort_implINS0_14default_configELb1EPK12hip_bfloat16PSP_PKlPlN2at6native12_GLOBAL__N_18offset_tEEE10hipError_tPvRmT1_PNSt15iterator_traitsIS13_E10value_typeET2_T3_PNS14_IS19_E10value_typeET4_jRbjT5_S1F_jjP12ihipStream_tbEUljE_ZNSN_ISO_Lb1ESR_SS_SU_SV_SZ_EES10_S11_S12_S13_S17_S18_S19_S1C_S1D_jS1E_jS1F_S1F_jjS1H_bEUljE0_EEES10_S11_S12_S19_S1D_S1F_T6_T7_T9_mT8_S1H_bDpT10_ENKUlT_T0_E_clISt17integral_constantIbLb0EES1V_EEDaS1Q_S1R_EUlS1Q_E_NS1_11comp_targetILNS1_3genE5ELNS1_11target_archE942ELNS1_3gpuE9ELNS1_3repE0EEENS1_30default_config_static_selectorELNS0_4arch9wavefront6targetE0EEEvS13_.num_named_barrier, 0
	.set _ZN7rocprim17ROCPRIM_400000_NS6detail17trampoline_kernelINS0_13select_configILj256ELj13ELNS0_17block_load_methodE3ELS4_3ELS4_3ELNS0_20block_scan_algorithmE0ELj4294967295EEENS1_25partition_config_selectorILNS1_17partition_subalgoE4EjNS0_10empty_typeEbEEZZNS1_14partition_implILS8_4ELb0ES6_15HIP_vector_typeIjLj2EENS0_17counting_iteratorIjlEEPS9_SG_NS0_5tupleIJPjSI_NS0_16reverse_iteratorISI_EEEEENSH_IJSG_SG_SG_EEES9_SI_JZNS1_25segmented_radix_sort_implINS0_14default_configELb1EPK12hip_bfloat16PSP_PKlPlN2at6native12_GLOBAL__N_18offset_tEEE10hipError_tPvRmT1_PNSt15iterator_traitsIS13_E10value_typeET2_T3_PNS14_IS19_E10value_typeET4_jRbjT5_S1F_jjP12ihipStream_tbEUljE_ZNSN_ISO_Lb1ESR_SS_SU_SV_SZ_EES10_S11_S12_S13_S17_S18_S19_S1C_S1D_jS1E_jS1F_S1F_jjS1H_bEUljE0_EEES10_S11_S12_S19_S1D_S1F_T6_T7_T9_mT8_S1H_bDpT10_ENKUlT_T0_E_clISt17integral_constantIbLb0EES1V_EEDaS1Q_S1R_EUlS1Q_E_NS1_11comp_targetILNS1_3genE5ELNS1_11target_archE942ELNS1_3gpuE9ELNS1_3repE0EEENS1_30default_config_static_selectorELNS0_4arch9wavefront6targetE0EEEvS13_.private_seg_size, 0
	.set _ZN7rocprim17ROCPRIM_400000_NS6detail17trampoline_kernelINS0_13select_configILj256ELj13ELNS0_17block_load_methodE3ELS4_3ELS4_3ELNS0_20block_scan_algorithmE0ELj4294967295EEENS1_25partition_config_selectorILNS1_17partition_subalgoE4EjNS0_10empty_typeEbEEZZNS1_14partition_implILS8_4ELb0ES6_15HIP_vector_typeIjLj2EENS0_17counting_iteratorIjlEEPS9_SG_NS0_5tupleIJPjSI_NS0_16reverse_iteratorISI_EEEEENSH_IJSG_SG_SG_EEES9_SI_JZNS1_25segmented_radix_sort_implINS0_14default_configELb1EPK12hip_bfloat16PSP_PKlPlN2at6native12_GLOBAL__N_18offset_tEEE10hipError_tPvRmT1_PNSt15iterator_traitsIS13_E10value_typeET2_T3_PNS14_IS19_E10value_typeET4_jRbjT5_S1F_jjP12ihipStream_tbEUljE_ZNSN_ISO_Lb1ESR_SS_SU_SV_SZ_EES10_S11_S12_S13_S17_S18_S19_S1C_S1D_jS1E_jS1F_S1F_jjS1H_bEUljE0_EEES10_S11_S12_S19_S1D_S1F_T6_T7_T9_mT8_S1H_bDpT10_ENKUlT_T0_E_clISt17integral_constantIbLb0EES1V_EEDaS1Q_S1R_EUlS1Q_E_NS1_11comp_targetILNS1_3genE5ELNS1_11target_archE942ELNS1_3gpuE9ELNS1_3repE0EEENS1_30default_config_static_selectorELNS0_4arch9wavefront6targetE0EEEvS13_.uses_vcc, 0
	.set _ZN7rocprim17ROCPRIM_400000_NS6detail17trampoline_kernelINS0_13select_configILj256ELj13ELNS0_17block_load_methodE3ELS4_3ELS4_3ELNS0_20block_scan_algorithmE0ELj4294967295EEENS1_25partition_config_selectorILNS1_17partition_subalgoE4EjNS0_10empty_typeEbEEZZNS1_14partition_implILS8_4ELb0ES6_15HIP_vector_typeIjLj2EENS0_17counting_iteratorIjlEEPS9_SG_NS0_5tupleIJPjSI_NS0_16reverse_iteratorISI_EEEEENSH_IJSG_SG_SG_EEES9_SI_JZNS1_25segmented_radix_sort_implINS0_14default_configELb1EPK12hip_bfloat16PSP_PKlPlN2at6native12_GLOBAL__N_18offset_tEEE10hipError_tPvRmT1_PNSt15iterator_traitsIS13_E10value_typeET2_T3_PNS14_IS19_E10value_typeET4_jRbjT5_S1F_jjP12ihipStream_tbEUljE_ZNSN_ISO_Lb1ESR_SS_SU_SV_SZ_EES10_S11_S12_S13_S17_S18_S19_S1C_S1D_jS1E_jS1F_S1F_jjS1H_bEUljE0_EEES10_S11_S12_S19_S1D_S1F_T6_T7_T9_mT8_S1H_bDpT10_ENKUlT_T0_E_clISt17integral_constantIbLb0EES1V_EEDaS1Q_S1R_EUlS1Q_E_NS1_11comp_targetILNS1_3genE5ELNS1_11target_archE942ELNS1_3gpuE9ELNS1_3repE0EEENS1_30default_config_static_selectorELNS0_4arch9wavefront6targetE0EEEvS13_.uses_flat_scratch, 0
	.set _ZN7rocprim17ROCPRIM_400000_NS6detail17trampoline_kernelINS0_13select_configILj256ELj13ELNS0_17block_load_methodE3ELS4_3ELS4_3ELNS0_20block_scan_algorithmE0ELj4294967295EEENS1_25partition_config_selectorILNS1_17partition_subalgoE4EjNS0_10empty_typeEbEEZZNS1_14partition_implILS8_4ELb0ES6_15HIP_vector_typeIjLj2EENS0_17counting_iteratorIjlEEPS9_SG_NS0_5tupleIJPjSI_NS0_16reverse_iteratorISI_EEEEENSH_IJSG_SG_SG_EEES9_SI_JZNS1_25segmented_radix_sort_implINS0_14default_configELb1EPK12hip_bfloat16PSP_PKlPlN2at6native12_GLOBAL__N_18offset_tEEE10hipError_tPvRmT1_PNSt15iterator_traitsIS13_E10value_typeET2_T3_PNS14_IS19_E10value_typeET4_jRbjT5_S1F_jjP12ihipStream_tbEUljE_ZNSN_ISO_Lb1ESR_SS_SU_SV_SZ_EES10_S11_S12_S13_S17_S18_S19_S1C_S1D_jS1E_jS1F_S1F_jjS1H_bEUljE0_EEES10_S11_S12_S19_S1D_S1F_T6_T7_T9_mT8_S1H_bDpT10_ENKUlT_T0_E_clISt17integral_constantIbLb0EES1V_EEDaS1Q_S1R_EUlS1Q_E_NS1_11comp_targetILNS1_3genE5ELNS1_11target_archE942ELNS1_3gpuE9ELNS1_3repE0EEENS1_30default_config_static_selectorELNS0_4arch9wavefront6targetE0EEEvS13_.has_dyn_sized_stack, 0
	.set _ZN7rocprim17ROCPRIM_400000_NS6detail17trampoline_kernelINS0_13select_configILj256ELj13ELNS0_17block_load_methodE3ELS4_3ELS4_3ELNS0_20block_scan_algorithmE0ELj4294967295EEENS1_25partition_config_selectorILNS1_17partition_subalgoE4EjNS0_10empty_typeEbEEZZNS1_14partition_implILS8_4ELb0ES6_15HIP_vector_typeIjLj2EENS0_17counting_iteratorIjlEEPS9_SG_NS0_5tupleIJPjSI_NS0_16reverse_iteratorISI_EEEEENSH_IJSG_SG_SG_EEES9_SI_JZNS1_25segmented_radix_sort_implINS0_14default_configELb1EPK12hip_bfloat16PSP_PKlPlN2at6native12_GLOBAL__N_18offset_tEEE10hipError_tPvRmT1_PNSt15iterator_traitsIS13_E10value_typeET2_T3_PNS14_IS19_E10value_typeET4_jRbjT5_S1F_jjP12ihipStream_tbEUljE_ZNSN_ISO_Lb1ESR_SS_SU_SV_SZ_EES10_S11_S12_S13_S17_S18_S19_S1C_S1D_jS1E_jS1F_S1F_jjS1H_bEUljE0_EEES10_S11_S12_S19_S1D_S1F_T6_T7_T9_mT8_S1H_bDpT10_ENKUlT_T0_E_clISt17integral_constantIbLb0EES1V_EEDaS1Q_S1R_EUlS1Q_E_NS1_11comp_targetILNS1_3genE5ELNS1_11target_archE942ELNS1_3gpuE9ELNS1_3repE0EEENS1_30default_config_static_selectorELNS0_4arch9wavefront6targetE0EEEvS13_.has_recursion, 0
	.set _ZN7rocprim17ROCPRIM_400000_NS6detail17trampoline_kernelINS0_13select_configILj256ELj13ELNS0_17block_load_methodE3ELS4_3ELS4_3ELNS0_20block_scan_algorithmE0ELj4294967295EEENS1_25partition_config_selectorILNS1_17partition_subalgoE4EjNS0_10empty_typeEbEEZZNS1_14partition_implILS8_4ELb0ES6_15HIP_vector_typeIjLj2EENS0_17counting_iteratorIjlEEPS9_SG_NS0_5tupleIJPjSI_NS0_16reverse_iteratorISI_EEEEENSH_IJSG_SG_SG_EEES9_SI_JZNS1_25segmented_radix_sort_implINS0_14default_configELb1EPK12hip_bfloat16PSP_PKlPlN2at6native12_GLOBAL__N_18offset_tEEE10hipError_tPvRmT1_PNSt15iterator_traitsIS13_E10value_typeET2_T3_PNS14_IS19_E10value_typeET4_jRbjT5_S1F_jjP12ihipStream_tbEUljE_ZNSN_ISO_Lb1ESR_SS_SU_SV_SZ_EES10_S11_S12_S13_S17_S18_S19_S1C_S1D_jS1E_jS1F_S1F_jjS1H_bEUljE0_EEES10_S11_S12_S19_S1D_S1F_T6_T7_T9_mT8_S1H_bDpT10_ENKUlT_T0_E_clISt17integral_constantIbLb0EES1V_EEDaS1Q_S1R_EUlS1Q_E_NS1_11comp_targetILNS1_3genE5ELNS1_11target_archE942ELNS1_3gpuE9ELNS1_3repE0EEENS1_30default_config_static_selectorELNS0_4arch9wavefront6targetE0EEEvS13_.has_indirect_call, 0
	.section	.AMDGPU.csdata,"",@progbits
; Kernel info:
; codeLenInByte = 0
; TotalNumSgprs: 0
; NumVgprs: 0
; ScratchSize: 0
; MemoryBound: 0
; FloatMode: 240
; IeeeMode: 1
; LDSByteSize: 0 bytes/workgroup (compile time only)
; SGPRBlocks: 0
; VGPRBlocks: 0
; NumSGPRsForWavesPerEU: 1
; NumVGPRsForWavesPerEU: 1
; NamedBarCnt: 0
; Occupancy: 16
; WaveLimiterHint : 0
; COMPUTE_PGM_RSRC2:SCRATCH_EN: 0
; COMPUTE_PGM_RSRC2:USER_SGPR: 2
; COMPUTE_PGM_RSRC2:TRAP_HANDLER: 0
; COMPUTE_PGM_RSRC2:TGID_X_EN: 1
; COMPUTE_PGM_RSRC2:TGID_Y_EN: 0
; COMPUTE_PGM_RSRC2:TGID_Z_EN: 0
; COMPUTE_PGM_RSRC2:TIDIG_COMP_CNT: 0
	.section	.text._ZN7rocprim17ROCPRIM_400000_NS6detail17trampoline_kernelINS0_13select_configILj256ELj13ELNS0_17block_load_methodE3ELS4_3ELS4_3ELNS0_20block_scan_algorithmE0ELj4294967295EEENS1_25partition_config_selectorILNS1_17partition_subalgoE4EjNS0_10empty_typeEbEEZZNS1_14partition_implILS8_4ELb0ES6_15HIP_vector_typeIjLj2EENS0_17counting_iteratorIjlEEPS9_SG_NS0_5tupleIJPjSI_NS0_16reverse_iteratorISI_EEEEENSH_IJSG_SG_SG_EEES9_SI_JZNS1_25segmented_radix_sort_implINS0_14default_configELb1EPK12hip_bfloat16PSP_PKlPlN2at6native12_GLOBAL__N_18offset_tEEE10hipError_tPvRmT1_PNSt15iterator_traitsIS13_E10value_typeET2_T3_PNS14_IS19_E10value_typeET4_jRbjT5_S1F_jjP12ihipStream_tbEUljE_ZNSN_ISO_Lb1ESR_SS_SU_SV_SZ_EES10_S11_S12_S13_S17_S18_S19_S1C_S1D_jS1E_jS1F_S1F_jjS1H_bEUljE0_EEES10_S11_S12_S19_S1D_S1F_T6_T7_T9_mT8_S1H_bDpT10_ENKUlT_T0_E_clISt17integral_constantIbLb0EES1V_EEDaS1Q_S1R_EUlS1Q_E_NS1_11comp_targetILNS1_3genE4ELNS1_11target_archE910ELNS1_3gpuE8ELNS1_3repE0EEENS1_30default_config_static_selectorELNS0_4arch9wavefront6targetE0EEEvS13_,"axG",@progbits,_ZN7rocprim17ROCPRIM_400000_NS6detail17trampoline_kernelINS0_13select_configILj256ELj13ELNS0_17block_load_methodE3ELS4_3ELS4_3ELNS0_20block_scan_algorithmE0ELj4294967295EEENS1_25partition_config_selectorILNS1_17partition_subalgoE4EjNS0_10empty_typeEbEEZZNS1_14partition_implILS8_4ELb0ES6_15HIP_vector_typeIjLj2EENS0_17counting_iteratorIjlEEPS9_SG_NS0_5tupleIJPjSI_NS0_16reverse_iteratorISI_EEEEENSH_IJSG_SG_SG_EEES9_SI_JZNS1_25segmented_radix_sort_implINS0_14default_configELb1EPK12hip_bfloat16PSP_PKlPlN2at6native12_GLOBAL__N_18offset_tEEE10hipError_tPvRmT1_PNSt15iterator_traitsIS13_E10value_typeET2_T3_PNS14_IS19_E10value_typeET4_jRbjT5_S1F_jjP12ihipStream_tbEUljE_ZNSN_ISO_Lb1ESR_SS_SU_SV_SZ_EES10_S11_S12_S13_S17_S18_S19_S1C_S1D_jS1E_jS1F_S1F_jjS1H_bEUljE0_EEES10_S11_S12_S19_S1D_S1F_T6_T7_T9_mT8_S1H_bDpT10_ENKUlT_T0_E_clISt17integral_constantIbLb0EES1V_EEDaS1Q_S1R_EUlS1Q_E_NS1_11comp_targetILNS1_3genE4ELNS1_11target_archE910ELNS1_3gpuE8ELNS1_3repE0EEENS1_30default_config_static_selectorELNS0_4arch9wavefront6targetE0EEEvS13_,comdat
	.globl	_ZN7rocprim17ROCPRIM_400000_NS6detail17trampoline_kernelINS0_13select_configILj256ELj13ELNS0_17block_load_methodE3ELS4_3ELS4_3ELNS0_20block_scan_algorithmE0ELj4294967295EEENS1_25partition_config_selectorILNS1_17partition_subalgoE4EjNS0_10empty_typeEbEEZZNS1_14partition_implILS8_4ELb0ES6_15HIP_vector_typeIjLj2EENS0_17counting_iteratorIjlEEPS9_SG_NS0_5tupleIJPjSI_NS0_16reverse_iteratorISI_EEEEENSH_IJSG_SG_SG_EEES9_SI_JZNS1_25segmented_radix_sort_implINS0_14default_configELb1EPK12hip_bfloat16PSP_PKlPlN2at6native12_GLOBAL__N_18offset_tEEE10hipError_tPvRmT1_PNSt15iterator_traitsIS13_E10value_typeET2_T3_PNS14_IS19_E10value_typeET4_jRbjT5_S1F_jjP12ihipStream_tbEUljE_ZNSN_ISO_Lb1ESR_SS_SU_SV_SZ_EES10_S11_S12_S13_S17_S18_S19_S1C_S1D_jS1E_jS1F_S1F_jjS1H_bEUljE0_EEES10_S11_S12_S19_S1D_S1F_T6_T7_T9_mT8_S1H_bDpT10_ENKUlT_T0_E_clISt17integral_constantIbLb0EES1V_EEDaS1Q_S1R_EUlS1Q_E_NS1_11comp_targetILNS1_3genE4ELNS1_11target_archE910ELNS1_3gpuE8ELNS1_3repE0EEENS1_30default_config_static_selectorELNS0_4arch9wavefront6targetE0EEEvS13_ ; -- Begin function _ZN7rocprim17ROCPRIM_400000_NS6detail17trampoline_kernelINS0_13select_configILj256ELj13ELNS0_17block_load_methodE3ELS4_3ELS4_3ELNS0_20block_scan_algorithmE0ELj4294967295EEENS1_25partition_config_selectorILNS1_17partition_subalgoE4EjNS0_10empty_typeEbEEZZNS1_14partition_implILS8_4ELb0ES6_15HIP_vector_typeIjLj2EENS0_17counting_iteratorIjlEEPS9_SG_NS0_5tupleIJPjSI_NS0_16reverse_iteratorISI_EEEEENSH_IJSG_SG_SG_EEES9_SI_JZNS1_25segmented_radix_sort_implINS0_14default_configELb1EPK12hip_bfloat16PSP_PKlPlN2at6native12_GLOBAL__N_18offset_tEEE10hipError_tPvRmT1_PNSt15iterator_traitsIS13_E10value_typeET2_T3_PNS14_IS19_E10value_typeET4_jRbjT5_S1F_jjP12ihipStream_tbEUljE_ZNSN_ISO_Lb1ESR_SS_SU_SV_SZ_EES10_S11_S12_S13_S17_S18_S19_S1C_S1D_jS1E_jS1F_S1F_jjS1H_bEUljE0_EEES10_S11_S12_S19_S1D_S1F_T6_T7_T9_mT8_S1H_bDpT10_ENKUlT_T0_E_clISt17integral_constantIbLb0EES1V_EEDaS1Q_S1R_EUlS1Q_E_NS1_11comp_targetILNS1_3genE4ELNS1_11target_archE910ELNS1_3gpuE8ELNS1_3repE0EEENS1_30default_config_static_selectorELNS0_4arch9wavefront6targetE0EEEvS13_
	.p2align	8
	.type	_ZN7rocprim17ROCPRIM_400000_NS6detail17trampoline_kernelINS0_13select_configILj256ELj13ELNS0_17block_load_methodE3ELS4_3ELS4_3ELNS0_20block_scan_algorithmE0ELj4294967295EEENS1_25partition_config_selectorILNS1_17partition_subalgoE4EjNS0_10empty_typeEbEEZZNS1_14partition_implILS8_4ELb0ES6_15HIP_vector_typeIjLj2EENS0_17counting_iteratorIjlEEPS9_SG_NS0_5tupleIJPjSI_NS0_16reverse_iteratorISI_EEEEENSH_IJSG_SG_SG_EEES9_SI_JZNS1_25segmented_radix_sort_implINS0_14default_configELb1EPK12hip_bfloat16PSP_PKlPlN2at6native12_GLOBAL__N_18offset_tEEE10hipError_tPvRmT1_PNSt15iterator_traitsIS13_E10value_typeET2_T3_PNS14_IS19_E10value_typeET4_jRbjT5_S1F_jjP12ihipStream_tbEUljE_ZNSN_ISO_Lb1ESR_SS_SU_SV_SZ_EES10_S11_S12_S13_S17_S18_S19_S1C_S1D_jS1E_jS1F_S1F_jjS1H_bEUljE0_EEES10_S11_S12_S19_S1D_S1F_T6_T7_T9_mT8_S1H_bDpT10_ENKUlT_T0_E_clISt17integral_constantIbLb0EES1V_EEDaS1Q_S1R_EUlS1Q_E_NS1_11comp_targetILNS1_3genE4ELNS1_11target_archE910ELNS1_3gpuE8ELNS1_3repE0EEENS1_30default_config_static_selectorELNS0_4arch9wavefront6targetE0EEEvS13_,@function
_ZN7rocprim17ROCPRIM_400000_NS6detail17trampoline_kernelINS0_13select_configILj256ELj13ELNS0_17block_load_methodE3ELS4_3ELS4_3ELNS0_20block_scan_algorithmE0ELj4294967295EEENS1_25partition_config_selectorILNS1_17partition_subalgoE4EjNS0_10empty_typeEbEEZZNS1_14partition_implILS8_4ELb0ES6_15HIP_vector_typeIjLj2EENS0_17counting_iteratorIjlEEPS9_SG_NS0_5tupleIJPjSI_NS0_16reverse_iteratorISI_EEEEENSH_IJSG_SG_SG_EEES9_SI_JZNS1_25segmented_radix_sort_implINS0_14default_configELb1EPK12hip_bfloat16PSP_PKlPlN2at6native12_GLOBAL__N_18offset_tEEE10hipError_tPvRmT1_PNSt15iterator_traitsIS13_E10value_typeET2_T3_PNS14_IS19_E10value_typeET4_jRbjT5_S1F_jjP12ihipStream_tbEUljE_ZNSN_ISO_Lb1ESR_SS_SU_SV_SZ_EES10_S11_S12_S13_S17_S18_S19_S1C_S1D_jS1E_jS1F_S1F_jjS1H_bEUljE0_EEES10_S11_S12_S19_S1D_S1F_T6_T7_T9_mT8_S1H_bDpT10_ENKUlT_T0_E_clISt17integral_constantIbLb0EES1V_EEDaS1Q_S1R_EUlS1Q_E_NS1_11comp_targetILNS1_3genE4ELNS1_11target_archE910ELNS1_3gpuE8ELNS1_3repE0EEENS1_30default_config_static_selectorELNS0_4arch9wavefront6targetE0EEEvS13_: ; @_ZN7rocprim17ROCPRIM_400000_NS6detail17trampoline_kernelINS0_13select_configILj256ELj13ELNS0_17block_load_methodE3ELS4_3ELS4_3ELNS0_20block_scan_algorithmE0ELj4294967295EEENS1_25partition_config_selectorILNS1_17partition_subalgoE4EjNS0_10empty_typeEbEEZZNS1_14partition_implILS8_4ELb0ES6_15HIP_vector_typeIjLj2EENS0_17counting_iteratorIjlEEPS9_SG_NS0_5tupleIJPjSI_NS0_16reverse_iteratorISI_EEEEENSH_IJSG_SG_SG_EEES9_SI_JZNS1_25segmented_radix_sort_implINS0_14default_configELb1EPK12hip_bfloat16PSP_PKlPlN2at6native12_GLOBAL__N_18offset_tEEE10hipError_tPvRmT1_PNSt15iterator_traitsIS13_E10value_typeET2_T3_PNS14_IS19_E10value_typeET4_jRbjT5_S1F_jjP12ihipStream_tbEUljE_ZNSN_ISO_Lb1ESR_SS_SU_SV_SZ_EES10_S11_S12_S13_S17_S18_S19_S1C_S1D_jS1E_jS1F_S1F_jjS1H_bEUljE0_EEES10_S11_S12_S19_S1D_S1F_T6_T7_T9_mT8_S1H_bDpT10_ENKUlT_T0_E_clISt17integral_constantIbLb0EES1V_EEDaS1Q_S1R_EUlS1Q_E_NS1_11comp_targetILNS1_3genE4ELNS1_11target_archE910ELNS1_3gpuE8ELNS1_3repE0EEENS1_30default_config_static_selectorELNS0_4arch9wavefront6targetE0EEEvS13_
; %bb.0:
	.section	.rodata,"a",@progbits
	.p2align	6, 0x0
	.amdhsa_kernel _ZN7rocprim17ROCPRIM_400000_NS6detail17trampoline_kernelINS0_13select_configILj256ELj13ELNS0_17block_load_methodE3ELS4_3ELS4_3ELNS0_20block_scan_algorithmE0ELj4294967295EEENS1_25partition_config_selectorILNS1_17partition_subalgoE4EjNS0_10empty_typeEbEEZZNS1_14partition_implILS8_4ELb0ES6_15HIP_vector_typeIjLj2EENS0_17counting_iteratorIjlEEPS9_SG_NS0_5tupleIJPjSI_NS0_16reverse_iteratorISI_EEEEENSH_IJSG_SG_SG_EEES9_SI_JZNS1_25segmented_radix_sort_implINS0_14default_configELb1EPK12hip_bfloat16PSP_PKlPlN2at6native12_GLOBAL__N_18offset_tEEE10hipError_tPvRmT1_PNSt15iterator_traitsIS13_E10value_typeET2_T3_PNS14_IS19_E10value_typeET4_jRbjT5_S1F_jjP12ihipStream_tbEUljE_ZNSN_ISO_Lb1ESR_SS_SU_SV_SZ_EES10_S11_S12_S13_S17_S18_S19_S1C_S1D_jS1E_jS1F_S1F_jjS1H_bEUljE0_EEES10_S11_S12_S19_S1D_S1F_T6_T7_T9_mT8_S1H_bDpT10_ENKUlT_T0_E_clISt17integral_constantIbLb0EES1V_EEDaS1Q_S1R_EUlS1Q_E_NS1_11comp_targetILNS1_3genE4ELNS1_11target_archE910ELNS1_3gpuE8ELNS1_3repE0EEENS1_30default_config_static_selectorELNS0_4arch9wavefront6targetE0EEEvS13_
		.amdhsa_group_segment_fixed_size 0
		.amdhsa_private_segment_fixed_size 0
		.amdhsa_kernarg_size 176
		.amdhsa_user_sgpr_count 2
		.amdhsa_user_sgpr_dispatch_ptr 0
		.amdhsa_user_sgpr_queue_ptr 0
		.amdhsa_user_sgpr_kernarg_segment_ptr 1
		.amdhsa_user_sgpr_dispatch_id 0
		.amdhsa_user_sgpr_kernarg_preload_length 0
		.amdhsa_user_sgpr_kernarg_preload_offset 0
		.amdhsa_user_sgpr_private_segment_size 0
		.amdhsa_wavefront_size32 1
		.amdhsa_uses_dynamic_stack 0
		.amdhsa_enable_private_segment 0
		.amdhsa_system_sgpr_workgroup_id_x 1
		.amdhsa_system_sgpr_workgroup_id_y 0
		.amdhsa_system_sgpr_workgroup_id_z 0
		.amdhsa_system_sgpr_workgroup_info 0
		.amdhsa_system_vgpr_workitem_id 0
		.amdhsa_next_free_vgpr 1
		.amdhsa_next_free_sgpr 1
		.amdhsa_named_barrier_count 0
		.amdhsa_reserve_vcc 0
		.amdhsa_float_round_mode_32 0
		.amdhsa_float_round_mode_16_64 0
		.amdhsa_float_denorm_mode_32 3
		.amdhsa_float_denorm_mode_16_64 3
		.amdhsa_fp16_overflow 0
		.amdhsa_memory_ordered 1
		.amdhsa_forward_progress 1
		.amdhsa_inst_pref_size 0
		.amdhsa_round_robin_scheduling 0
		.amdhsa_exception_fp_ieee_invalid_op 0
		.amdhsa_exception_fp_denorm_src 0
		.amdhsa_exception_fp_ieee_div_zero 0
		.amdhsa_exception_fp_ieee_overflow 0
		.amdhsa_exception_fp_ieee_underflow 0
		.amdhsa_exception_fp_ieee_inexact 0
		.amdhsa_exception_int_div_zero 0
	.end_amdhsa_kernel
	.section	.text._ZN7rocprim17ROCPRIM_400000_NS6detail17trampoline_kernelINS0_13select_configILj256ELj13ELNS0_17block_load_methodE3ELS4_3ELS4_3ELNS0_20block_scan_algorithmE0ELj4294967295EEENS1_25partition_config_selectorILNS1_17partition_subalgoE4EjNS0_10empty_typeEbEEZZNS1_14partition_implILS8_4ELb0ES6_15HIP_vector_typeIjLj2EENS0_17counting_iteratorIjlEEPS9_SG_NS0_5tupleIJPjSI_NS0_16reverse_iteratorISI_EEEEENSH_IJSG_SG_SG_EEES9_SI_JZNS1_25segmented_radix_sort_implINS0_14default_configELb1EPK12hip_bfloat16PSP_PKlPlN2at6native12_GLOBAL__N_18offset_tEEE10hipError_tPvRmT1_PNSt15iterator_traitsIS13_E10value_typeET2_T3_PNS14_IS19_E10value_typeET4_jRbjT5_S1F_jjP12ihipStream_tbEUljE_ZNSN_ISO_Lb1ESR_SS_SU_SV_SZ_EES10_S11_S12_S13_S17_S18_S19_S1C_S1D_jS1E_jS1F_S1F_jjS1H_bEUljE0_EEES10_S11_S12_S19_S1D_S1F_T6_T7_T9_mT8_S1H_bDpT10_ENKUlT_T0_E_clISt17integral_constantIbLb0EES1V_EEDaS1Q_S1R_EUlS1Q_E_NS1_11comp_targetILNS1_3genE4ELNS1_11target_archE910ELNS1_3gpuE8ELNS1_3repE0EEENS1_30default_config_static_selectorELNS0_4arch9wavefront6targetE0EEEvS13_,"axG",@progbits,_ZN7rocprim17ROCPRIM_400000_NS6detail17trampoline_kernelINS0_13select_configILj256ELj13ELNS0_17block_load_methodE3ELS4_3ELS4_3ELNS0_20block_scan_algorithmE0ELj4294967295EEENS1_25partition_config_selectorILNS1_17partition_subalgoE4EjNS0_10empty_typeEbEEZZNS1_14partition_implILS8_4ELb0ES6_15HIP_vector_typeIjLj2EENS0_17counting_iteratorIjlEEPS9_SG_NS0_5tupleIJPjSI_NS0_16reverse_iteratorISI_EEEEENSH_IJSG_SG_SG_EEES9_SI_JZNS1_25segmented_radix_sort_implINS0_14default_configELb1EPK12hip_bfloat16PSP_PKlPlN2at6native12_GLOBAL__N_18offset_tEEE10hipError_tPvRmT1_PNSt15iterator_traitsIS13_E10value_typeET2_T3_PNS14_IS19_E10value_typeET4_jRbjT5_S1F_jjP12ihipStream_tbEUljE_ZNSN_ISO_Lb1ESR_SS_SU_SV_SZ_EES10_S11_S12_S13_S17_S18_S19_S1C_S1D_jS1E_jS1F_S1F_jjS1H_bEUljE0_EEES10_S11_S12_S19_S1D_S1F_T6_T7_T9_mT8_S1H_bDpT10_ENKUlT_T0_E_clISt17integral_constantIbLb0EES1V_EEDaS1Q_S1R_EUlS1Q_E_NS1_11comp_targetILNS1_3genE4ELNS1_11target_archE910ELNS1_3gpuE8ELNS1_3repE0EEENS1_30default_config_static_selectorELNS0_4arch9wavefront6targetE0EEEvS13_,comdat
.Lfunc_end1874:
	.size	_ZN7rocprim17ROCPRIM_400000_NS6detail17trampoline_kernelINS0_13select_configILj256ELj13ELNS0_17block_load_methodE3ELS4_3ELS4_3ELNS0_20block_scan_algorithmE0ELj4294967295EEENS1_25partition_config_selectorILNS1_17partition_subalgoE4EjNS0_10empty_typeEbEEZZNS1_14partition_implILS8_4ELb0ES6_15HIP_vector_typeIjLj2EENS0_17counting_iteratorIjlEEPS9_SG_NS0_5tupleIJPjSI_NS0_16reverse_iteratorISI_EEEEENSH_IJSG_SG_SG_EEES9_SI_JZNS1_25segmented_radix_sort_implINS0_14default_configELb1EPK12hip_bfloat16PSP_PKlPlN2at6native12_GLOBAL__N_18offset_tEEE10hipError_tPvRmT1_PNSt15iterator_traitsIS13_E10value_typeET2_T3_PNS14_IS19_E10value_typeET4_jRbjT5_S1F_jjP12ihipStream_tbEUljE_ZNSN_ISO_Lb1ESR_SS_SU_SV_SZ_EES10_S11_S12_S13_S17_S18_S19_S1C_S1D_jS1E_jS1F_S1F_jjS1H_bEUljE0_EEES10_S11_S12_S19_S1D_S1F_T6_T7_T9_mT8_S1H_bDpT10_ENKUlT_T0_E_clISt17integral_constantIbLb0EES1V_EEDaS1Q_S1R_EUlS1Q_E_NS1_11comp_targetILNS1_3genE4ELNS1_11target_archE910ELNS1_3gpuE8ELNS1_3repE0EEENS1_30default_config_static_selectorELNS0_4arch9wavefront6targetE0EEEvS13_, .Lfunc_end1874-_ZN7rocprim17ROCPRIM_400000_NS6detail17trampoline_kernelINS0_13select_configILj256ELj13ELNS0_17block_load_methodE3ELS4_3ELS4_3ELNS0_20block_scan_algorithmE0ELj4294967295EEENS1_25partition_config_selectorILNS1_17partition_subalgoE4EjNS0_10empty_typeEbEEZZNS1_14partition_implILS8_4ELb0ES6_15HIP_vector_typeIjLj2EENS0_17counting_iteratorIjlEEPS9_SG_NS0_5tupleIJPjSI_NS0_16reverse_iteratorISI_EEEEENSH_IJSG_SG_SG_EEES9_SI_JZNS1_25segmented_radix_sort_implINS0_14default_configELb1EPK12hip_bfloat16PSP_PKlPlN2at6native12_GLOBAL__N_18offset_tEEE10hipError_tPvRmT1_PNSt15iterator_traitsIS13_E10value_typeET2_T3_PNS14_IS19_E10value_typeET4_jRbjT5_S1F_jjP12ihipStream_tbEUljE_ZNSN_ISO_Lb1ESR_SS_SU_SV_SZ_EES10_S11_S12_S13_S17_S18_S19_S1C_S1D_jS1E_jS1F_S1F_jjS1H_bEUljE0_EEES10_S11_S12_S19_S1D_S1F_T6_T7_T9_mT8_S1H_bDpT10_ENKUlT_T0_E_clISt17integral_constantIbLb0EES1V_EEDaS1Q_S1R_EUlS1Q_E_NS1_11comp_targetILNS1_3genE4ELNS1_11target_archE910ELNS1_3gpuE8ELNS1_3repE0EEENS1_30default_config_static_selectorELNS0_4arch9wavefront6targetE0EEEvS13_
                                        ; -- End function
	.set _ZN7rocprim17ROCPRIM_400000_NS6detail17trampoline_kernelINS0_13select_configILj256ELj13ELNS0_17block_load_methodE3ELS4_3ELS4_3ELNS0_20block_scan_algorithmE0ELj4294967295EEENS1_25partition_config_selectorILNS1_17partition_subalgoE4EjNS0_10empty_typeEbEEZZNS1_14partition_implILS8_4ELb0ES6_15HIP_vector_typeIjLj2EENS0_17counting_iteratorIjlEEPS9_SG_NS0_5tupleIJPjSI_NS0_16reverse_iteratorISI_EEEEENSH_IJSG_SG_SG_EEES9_SI_JZNS1_25segmented_radix_sort_implINS0_14default_configELb1EPK12hip_bfloat16PSP_PKlPlN2at6native12_GLOBAL__N_18offset_tEEE10hipError_tPvRmT1_PNSt15iterator_traitsIS13_E10value_typeET2_T3_PNS14_IS19_E10value_typeET4_jRbjT5_S1F_jjP12ihipStream_tbEUljE_ZNSN_ISO_Lb1ESR_SS_SU_SV_SZ_EES10_S11_S12_S13_S17_S18_S19_S1C_S1D_jS1E_jS1F_S1F_jjS1H_bEUljE0_EEES10_S11_S12_S19_S1D_S1F_T6_T7_T9_mT8_S1H_bDpT10_ENKUlT_T0_E_clISt17integral_constantIbLb0EES1V_EEDaS1Q_S1R_EUlS1Q_E_NS1_11comp_targetILNS1_3genE4ELNS1_11target_archE910ELNS1_3gpuE8ELNS1_3repE0EEENS1_30default_config_static_selectorELNS0_4arch9wavefront6targetE0EEEvS13_.num_vgpr, 0
	.set _ZN7rocprim17ROCPRIM_400000_NS6detail17trampoline_kernelINS0_13select_configILj256ELj13ELNS0_17block_load_methodE3ELS4_3ELS4_3ELNS0_20block_scan_algorithmE0ELj4294967295EEENS1_25partition_config_selectorILNS1_17partition_subalgoE4EjNS0_10empty_typeEbEEZZNS1_14partition_implILS8_4ELb0ES6_15HIP_vector_typeIjLj2EENS0_17counting_iteratorIjlEEPS9_SG_NS0_5tupleIJPjSI_NS0_16reverse_iteratorISI_EEEEENSH_IJSG_SG_SG_EEES9_SI_JZNS1_25segmented_radix_sort_implINS0_14default_configELb1EPK12hip_bfloat16PSP_PKlPlN2at6native12_GLOBAL__N_18offset_tEEE10hipError_tPvRmT1_PNSt15iterator_traitsIS13_E10value_typeET2_T3_PNS14_IS19_E10value_typeET4_jRbjT5_S1F_jjP12ihipStream_tbEUljE_ZNSN_ISO_Lb1ESR_SS_SU_SV_SZ_EES10_S11_S12_S13_S17_S18_S19_S1C_S1D_jS1E_jS1F_S1F_jjS1H_bEUljE0_EEES10_S11_S12_S19_S1D_S1F_T6_T7_T9_mT8_S1H_bDpT10_ENKUlT_T0_E_clISt17integral_constantIbLb0EES1V_EEDaS1Q_S1R_EUlS1Q_E_NS1_11comp_targetILNS1_3genE4ELNS1_11target_archE910ELNS1_3gpuE8ELNS1_3repE0EEENS1_30default_config_static_selectorELNS0_4arch9wavefront6targetE0EEEvS13_.num_agpr, 0
	.set _ZN7rocprim17ROCPRIM_400000_NS6detail17trampoline_kernelINS0_13select_configILj256ELj13ELNS0_17block_load_methodE3ELS4_3ELS4_3ELNS0_20block_scan_algorithmE0ELj4294967295EEENS1_25partition_config_selectorILNS1_17partition_subalgoE4EjNS0_10empty_typeEbEEZZNS1_14partition_implILS8_4ELb0ES6_15HIP_vector_typeIjLj2EENS0_17counting_iteratorIjlEEPS9_SG_NS0_5tupleIJPjSI_NS0_16reverse_iteratorISI_EEEEENSH_IJSG_SG_SG_EEES9_SI_JZNS1_25segmented_radix_sort_implINS0_14default_configELb1EPK12hip_bfloat16PSP_PKlPlN2at6native12_GLOBAL__N_18offset_tEEE10hipError_tPvRmT1_PNSt15iterator_traitsIS13_E10value_typeET2_T3_PNS14_IS19_E10value_typeET4_jRbjT5_S1F_jjP12ihipStream_tbEUljE_ZNSN_ISO_Lb1ESR_SS_SU_SV_SZ_EES10_S11_S12_S13_S17_S18_S19_S1C_S1D_jS1E_jS1F_S1F_jjS1H_bEUljE0_EEES10_S11_S12_S19_S1D_S1F_T6_T7_T9_mT8_S1H_bDpT10_ENKUlT_T0_E_clISt17integral_constantIbLb0EES1V_EEDaS1Q_S1R_EUlS1Q_E_NS1_11comp_targetILNS1_3genE4ELNS1_11target_archE910ELNS1_3gpuE8ELNS1_3repE0EEENS1_30default_config_static_selectorELNS0_4arch9wavefront6targetE0EEEvS13_.numbered_sgpr, 0
	.set _ZN7rocprim17ROCPRIM_400000_NS6detail17trampoline_kernelINS0_13select_configILj256ELj13ELNS0_17block_load_methodE3ELS4_3ELS4_3ELNS0_20block_scan_algorithmE0ELj4294967295EEENS1_25partition_config_selectorILNS1_17partition_subalgoE4EjNS0_10empty_typeEbEEZZNS1_14partition_implILS8_4ELb0ES6_15HIP_vector_typeIjLj2EENS0_17counting_iteratorIjlEEPS9_SG_NS0_5tupleIJPjSI_NS0_16reverse_iteratorISI_EEEEENSH_IJSG_SG_SG_EEES9_SI_JZNS1_25segmented_radix_sort_implINS0_14default_configELb1EPK12hip_bfloat16PSP_PKlPlN2at6native12_GLOBAL__N_18offset_tEEE10hipError_tPvRmT1_PNSt15iterator_traitsIS13_E10value_typeET2_T3_PNS14_IS19_E10value_typeET4_jRbjT5_S1F_jjP12ihipStream_tbEUljE_ZNSN_ISO_Lb1ESR_SS_SU_SV_SZ_EES10_S11_S12_S13_S17_S18_S19_S1C_S1D_jS1E_jS1F_S1F_jjS1H_bEUljE0_EEES10_S11_S12_S19_S1D_S1F_T6_T7_T9_mT8_S1H_bDpT10_ENKUlT_T0_E_clISt17integral_constantIbLb0EES1V_EEDaS1Q_S1R_EUlS1Q_E_NS1_11comp_targetILNS1_3genE4ELNS1_11target_archE910ELNS1_3gpuE8ELNS1_3repE0EEENS1_30default_config_static_selectorELNS0_4arch9wavefront6targetE0EEEvS13_.num_named_barrier, 0
	.set _ZN7rocprim17ROCPRIM_400000_NS6detail17trampoline_kernelINS0_13select_configILj256ELj13ELNS0_17block_load_methodE3ELS4_3ELS4_3ELNS0_20block_scan_algorithmE0ELj4294967295EEENS1_25partition_config_selectorILNS1_17partition_subalgoE4EjNS0_10empty_typeEbEEZZNS1_14partition_implILS8_4ELb0ES6_15HIP_vector_typeIjLj2EENS0_17counting_iteratorIjlEEPS9_SG_NS0_5tupleIJPjSI_NS0_16reverse_iteratorISI_EEEEENSH_IJSG_SG_SG_EEES9_SI_JZNS1_25segmented_radix_sort_implINS0_14default_configELb1EPK12hip_bfloat16PSP_PKlPlN2at6native12_GLOBAL__N_18offset_tEEE10hipError_tPvRmT1_PNSt15iterator_traitsIS13_E10value_typeET2_T3_PNS14_IS19_E10value_typeET4_jRbjT5_S1F_jjP12ihipStream_tbEUljE_ZNSN_ISO_Lb1ESR_SS_SU_SV_SZ_EES10_S11_S12_S13_S17_S18_S19_S1C_S1D_jS1E_jS1F_S1F_jjS1H_bEUljE0_EEES10_S11_S12_S19_S1D_S1F_T6_T7_T9_mT8_S1H_bDpT10_ENKUlT_T0_E_clISt17integral_constantIbLb0EES1V_EEDaS1Q_S1R_EUlS1Q_E_NS1_11comp_targetILNS1_3genE4ELNS1_11target_archE910ELNS1_3gpuE8ELNS1_3repE0EEENS1_30default_config_static_selectorELNS0_4arch9wavefront6targetE0EEEvS13_.private_seg_size, 0
	.set _ZN7rocprim17ROCPRIM_400000_NS6detail17trampoline_kernelINS0_13select_configILj256ELj13ELNS0_17block_load_methodE3ELS4_3ELS4_3ELNS0_20block_scan_algorithmE0ELj4294967295EEENS1_25partition_config_selectorILNS1_17partition_subalgoE4EjNS0_10empty_typeEbEEZZNS1_14partition_implILS8_4ELb0ES6_15HIP_vector_typeIjLj2EENS0_17counting_iteratorIjlEEPS9_SG_NS0_5tupleIJPjSI_NS0_16reverse_iteratorISI_EEEEENSH_IJSG_SG_SG_EEES9_SI_JZNS1_25segmented_radix_sort_implINS0_14default_configELb1EPK12hip_bfloat16PSP_PKlPlN2at6native12_GLOBAL__N_18offset_tEEE10hipError_tPvRmT1_PNSt15iterator_traitsIS13_E10value_typeET2_T3_PNS14_IS19_E10value_typeET4_jRbjT5_S1F_jjP12ihipStream_tbEUljE_ZNSN_ISO_Lb1ESR_SS_SU_SV_SZ_EES10_S11_S12_S13_S17_S18_S19_S1C_S1D_jS1E_jS1F_S1F_jjS1H_bEUljE0_EEES10_S11_S12_S19_S1D_S1F_T6_T7_T9_mT8_S1H_bDpT10_ENKUlT_T0_E_clISt17integral_constantIbLb0EES1V_EEDaS1Q_S1R_EUlS1Q_E_NS1_11comp_targetILNS1_3genE4ELNS1_11target_archE910ELNS1_3gpuE8ELNS1_3repE0EEENS1_30default_config_static_selectorELNS0_4arch9wavefront6targetE0EEEvS13_.uses_vcc, 0
	.set _ZN7rocprim17ROCPRIM_400000_NS6detail17trampoline_kernelINS0_13select_configILj256ELj13ELNS0_17block_load_methodE3ELS4_3ELS4_3ELNS0_20block_scan_algorithmE0ELj4294967295EEENS1_25partition_config_selectorILNS1_17partition_subalgoE4EjNS0_10empty_typeEbEEZZNS1_14partition_implILS8_4ELb0ES6_15HIP_vector_typeIjLj2EENS0_17counting_iteratorIjlEEPS9_SG_NS0_5tupleIJPjSI_NS0_16reverse_iteratorISI_EEEEENSH_IJSG_SG_SG_EEES9_SI_JZNS1_25segmented_radix_sort_implINS0_14default_configELb1EPK12hip_bfloat16PSP_PKlPlN2at6native12_GLOBAL__N_18offset_tEEE10hipError_tPvRmT1_PNSt15iterator_traitsIS13_E10value_typeET2_T3_PNS14_IS19_E10value_typeET4_jRbjT5_S1F_jjP12ihipStream_tbEUljE_ZNSN_ISO_Lb1ESR_SS_SU_SV_SZ_EES10_S11_S12_S13_S17_S18_S19_S1C_S1D_jS1E_jS1F_S1F_jjS1H_bEUljE0_EEES10_S11_S12_S19_S1D_S1F_T6_T7_T9_mT8_S1H_bDpT10_ENKUlT_T0_E_clISt17integral_constantIbLb0EES1V_EEDaS1Q_S1R_EUlS1Q_E_NS1_11comp_targetILNS1_3genE4ELNS1_11target_archE910ELNS1_3gpuE8ELNS1_3repE0EEENS1_30default_config_static_selectorELNS0_4arch9wavefront6targetE0EEEvS13_.uses_flat_scratch, 0
	.set _ZN7rocprim17ROCPRIM_400000_NS6detail17trampoline_kernelINS0_13select_configILj256ELj13ELNS0_17block_load_methodE3ELS4_3ELS4_3ELNS0_20block_scan_algorithmE0ELj4294967295EEENS1_25partition_config_selectorILNS1_17partition_subalgoE4EjNS0_10empty_typeEbEEZZNS1_14partition_implILS8_4ELb0ES6_15HIP_vector_typeIjLj2EENS0_17counting_iteratorIjlEEPS9_SG_NS0_5tupleIJPjSI_NS0_16reverse_iteratorISI_EEEEENSH_IJSG_SG_SG_EEES9_SI_JZNS1_25segmented_radix_sort_implINS0_14default_configELb1EPK12hip_bfloat16PSP_PKlPlN2at6native12_GLOBAL__N_18offset_tEEE10hipError_tPvRmT1_PNSt15iterator_traitsIS13_E10value_typeET2_T3_PNS14_IS19_E10value_typeET4_jRbjT5_S1F_jjP12ihipStream_tbEUljE_ZNSN_ISO_Lb1ESR_SS_SU_SV_SZ_EES10_S11_S12_S13_S17_S18_S19_S1C_S1D_jS1E_jS1F_S1F_jjS1H_bEUljE0_EEES10_S11_S12_S19_S1D_S1F_T6_T7_T9_mT8_S1H_bDpT10_ENKUlT_T0_E_clISt17integral_constantIbLb0EES1V_EEDaS1Q_S1R_EUlS1Q_E_NS1_11comp_targetILNS1_3genE4ELNS1_11target_archE910ELNS1_3gpuE8ELNS1_3repE0EEENS1_30default_config_static_selectorELNS0_4arch9wavefront6targetE0EEEvS13_.has_dyn_sized_stack, 0
	.set _ZN7rocprim17ROCPRIM_400000_NS6detail17trampoline_kernelINS0_13select_configILj256ELj13ELNS0_17block_load_methodE3ELS4_3ELS4_3ELNS0_20block_scan_algorithmE0ELj4294967295EEENS1_25partition_config_selectorILNS1_17partition_subalgoE4EjNS0_10empty_typeEbEEZZNS1_14partition_implILS8_4ELb0ES6_15HIP_vector_typeIjLj2EENS0_17counting_iteratorIjlEEPS9_SG_NS0_5tupleIJPjSI_NS0_16reverse_iteratorISI_EEEEENSH_IJSG_SG_SG_EEES9_SI_JZNS1_25segmented_radix_sort_implINS0_14default_configELb1EPK12hip_bfloat16PSP_PKlPlN2at6native12_GLOBAL__N_18offset_tEEE10hipError_tPvRmT1_PNSt15iterator_traitsIS13_E10value_typeET2_T3_PNS14_IS19_E10value_typeET4_jRbjT5_S1F_jjP12ihipStream_tbEUljE_ZNSN_ISO_Lb1ESR_SS_SU_SV_SZ_EES10_S11_S12_S13_S17_S18_S19_S1C_S1D_jS1E_jS1F_S1F_jjS1H_bEUljE0_EEES10_S11_S12_S19_S1D_S1F_T6_T7_T9_mT8_S1H_bDpT10_ENKUlT_T0_E_clISt17integral_constantIbLb0EES1V_EEDaS1Q_S1R_EUlS1Q_E_NS1_11comp_targetILNS1_3genE4ELNS1_11target_archE910ELNS1_3gpuE8ELNS1_3repE0EEENS1_30default_config_static_selectorELNS0_4arch9wavefront6targetE0EEEvS13_.has_recursion, 0
	.set _ZN7rocprim17ROCPRIM_400000_NS6detail17trampoline_kernelINS0_13select_configILj256ELj13ELNS0_17block_load_methodE3ELS4_3ELS4_3ELNS0_20block_scan_algorithmE0ELj4294967295EEENS1_25partition_config_selectorILNS1_17partition_subalgoE4EjNS0_10empty_typeEbEEZZNS1_14partition_implILS8_4ELb0ES6_15HIP_vector_typeIjLj2EENS0_17counting_iteratorIjlEEPS9_SG_NS0_5tupleIJPjSI_NS0_16reverse_iteratorISI_EEEEENSH_IJSG_SG_SG_EEES9_SI_JZNS1_25segmented_radix_sort_implINS0_14default_configELb1EPK12hip_bfloat16PSP_PKlPlN2at6native12_GLOBAL__N_18offset_tEEE10hipError_tPvRmT1_PNSt15iterator_traitsIS13_E10value_typeET2_T3_PNS14_IS19_E10value_typeET4_jRbjT5_S1F_jjP12ihipStream_tbEUljE_ZNSN_ISO_Lb1ESR_SS_SU_SV_SZ_EES10_S11_S12_S13_S17_S18_S19_S1C_S1D_jS1E_jS1F_S1F_jjS1H_bEUljE0_EEES10_S11_S12_S19_S1D_S1F_T6_T7_T9_mT8_S1H_bDpT10_ENKUlT_T0_E_clISt17integral_constantIbLb0EES1V_EEDaS1Q_S1R_EUlS1Q_E_NS1_11comp_targetILNS1_3genE4ELNS1_11target_archE910ELNS1_3gpuE8ELNS1_3repE0EEENS1_30default_config_static_selectorELNS0_4arch9wavefront6targetE0EEEvS13_.has_indirect_call, 0
	.section	.AMDGPU.csdata,"",@progbits
; Kernel info:
; codeLenInByte = 0
; TotalNumSgprs: 0
; NumVgprs: 0
; ScratchSize: 0
; MemoryBound: 0
; FloatMode: 240
; IeeeMode: 1
; LDSByteSize: 0 bytes/workgroup (compile time only)
; SGPRBlocks: 0
; VGPRBlocks: 0
; NumSGPRsForWavesPerEU: 1
; NumVGPRsForWavesPerEU: 1
; NamedBarCnt: 0
; Occupancy: 16
; WaveLimiterHint : 0
; COMPUTE_PGM_RSRC2:SCRATCH_EN: 0
; COMPUTE_PGM_RSRC2:USER_SGPR: 2
; COMPUTE_PGM_RSRC2:TRAP_HANDLER: 0
; COMPUTE_PGM_RSRC2:TGID_X_EN: 1
; COMPUTE_PGM_RSRC2:TGID_Y_EN: 0
; COMPUTE_PGM_RSRC2:TGID_Z_EN: 0
; COMPUTE_PGM_RSRC2:TIDIG_COMP_CNT: 0
	.section	.text._ZN7rocprim17ROCPRIM_400000_NS6detail17trampoline_kernelINS0_13select_configILj256ELj13ELNS0_17block_load_methodE3ELS4_3ELS4_3ELNS0_20block_scan_algorithmE0ELj4294967295EEENS1_25partition_config_selectorILNS1_17partition_subalgoE4EjNS0_10empty_typeEbEEZZNS1_14partition_implILS8_4ELb0ES6_15HIP_vector_typeIjLj2EENS0_17counting_iteratorIjlEEPS9_SG_NS0_5tupleIJPjSI_NS0_16reverse_iteratorISI_EEEEENSH_IJSG_SG_SG_EEES9_SI_JZNS1_25segmented_radix_sort_implINS0_14default_configELb1EPK12hip_bfloat16PSP_PKlPlN2at6native12_GLOBAL__N_18offset_tEEE10hipError_tPvRmT1_PNSt15iterator_traitsIS13_E10value_typeET2_T3_PNS14_IS19_E10value_typeET4_jRbjT5_S1F_jjP12ihipStream_tbEUljE_ZNSN_ISO_Lb1ESR_SS_SU_SV_SZ_EES10_S11_S12_S13_S17_S18_S19_S1C_S1D_jS1E_jS1F_S1F_jjS1H_bEUljE0_EEES10_S11_S12_S19_S1D_S1F_T6_T7_T9_mT8_S1H_bDpT10_ENKUlT_T0_E_clISt17integral_constantIbLb0EES1V_EEDaS1Q_S1R_EUlS1Q_E_NS1_11comp_targetILNS1_3genE3ELNS1_11target_archE908ELNS1_3gpuE7ELNS1_3repE0EEENS1_30default_config_static_selectorELNS0_4arch9wavefront6targetE0EEEvS13_,"axG",@progbits,_ZN7rocprim17ROCPRIM_400000_NS6detail17trampoline_kernelINS0_13select_configILj256ELj13ELNS0_17block_load_methodE3ELS4_3ELS4_3ELNS0_20block_scan_algorithmE0ELj4294967295EEENS1_25partition_config_selectorILNS1_17partition_subalgoE4EjNS0_10empty_typeEbEEZZNS1_14partition_implILS8_4ELb0ES6_15HIP_vector_typeIjLj2EENS0_17counting_iteratorIjlEEPS9_SG_NS0_5tupleIJPjSI_NS0_16reverse_iteratorISI_EEEEENSH_IJSG_SG_SG_EEES9_SI_JZNS1_25segmented_radix_sort_implINS0_14default_configELb1EPK12hip_bfloat16PSP_PKlPlN2at6native12_GLOBAL__N_18offset_tEEE10hipError_tPvRmT1_PNSt15iterator_traitsIS13_E10value_typeET2_T3_PNS14_IS19_E10value_typeET4_jRbjT5_S1F_jjP12ihipStream_tbEUljE_ZNSN_ISO_Lb1ESR_SS_SU_SV_SZ_EES10_S11_S12_S13_S17_S18_S19_S1C_S1D_jS1E_jS1F_S1F_jjS1H_bEUljE0_EEES10_S11_S12_S19_S1D_S1F_T6_T7_T9_mT8_S1H_bDpT10_ENKUlT_T0_E_clISt17integral_constantIbLb0EES1V_EEDaS1Q_S1R_EUlS1Q_E_NS1_11comp_targetILNS1_3genE3ELNS1_11target_archE908ELNS1_3gpuE7ELNS1_3repE0EEENS1_30default_config_static_selectorELNS0_4arch9wavefront6targetE0EEEvS13_,comdat
	.globl	_ZN7rocprim17ROCPRIM_400000_NS6detail17trampoline_kernelINS0_13select_configILj256ELj13ELNS0_17block_load_methodE3ELS4_3ELS4_3ELNS0_20block_scan_algorithmE0ELj4294967295EEENS1_25partition_config_selectorILNS1_17partition_subalgoE4EjNS0_10empty_typeEbEEZZNS1_14partition_implILS8_4ELb0ES6_15HIP_vector_typeIjLj2EENS0_17counting_iteratorIjlEEPS9_SG_NS0_5tupleIJPjSI_NS0_16reverse_iteratorISI_EEEEENSH_IJSG_SG_SG_EEES9_SI_JZNS1_25segmented_radix_sort_implINS0_14default_configELb1EPK12hip_bfloat16PSP_PKlPlN2at6native12_GLOBAL__N_18offset_tEEE10hipError_tPvRmT1_PNSt15iterator_traitsIS13_E10value_typeET2_T3_PNS14_IS19_E10value_typeET4_jRbjT5_S1F_jjP12ihipStream_tbEUljE_ZNSN_ISO_Lb1ESR_SS_SU_SV_SZ_EES10_S11_S12_S13_S17_S18_S19_S1C_S1D_jS1E_jS1F_S1F_jjS1H_bEUljE0_EEES10_S11_S12_S19_S1D_S1F_T6_T7_T9_mT8_S1H_bDpT10_ENKUlT_T0_E_clISt17integral_constantIbLb0EES1V_EEDaS1Q_S1R_EUlS1Q_E_NS1_11comp_targetILNS1_3genE3ELNS1_11target_archE908ELNS1_3gpuE7ELNS1_3repE0EEENS1_30default_config_static_selectorELNS0_4arch9wavefront6targetE0EEEvS13_ ; -- Begin function _ZN7rocprim17ROCPRIM_400000_NS6detail17trampoline_kernelINS0_13select_configILj256ELj13ELNS0_17block_load_methodE3ELS4_3ELS4_3ELNS0_20block_scan_algorithmE0ELj4294967295EEENS1_25partition_config_selectorILNS1_17partition_subalgoE4EjNS0_10empty_typeEbEEZZNS1_14partition_implILS8_4ELb0ES6_15HIP_vector_typeIjLj2EENS0_17counting_iteratorIjlEEPS9_SG_NS0_5tupleIJPjSI_NS0_16reverse_iteratorISI_EEEEENSH_IJSG_SG_SG_EEES9_SI_JZNS1_25segmented_radix_sort_implINS0_14default_configELb1EPK12hip_bfloat16PSP_PKlPlN2at6native12_GLOBAL__N_18offset_tEEE10hipError_tPvRmT1_PNSt15iterator_traitsIS13_E10value_typeET2_T3_PNS14_IS19_E10value_typeET4_jRbjT5_S1F_jjP12ihipStream_tbEUljE_ZNSN_ISO_Lb1ESR_SS_SU_SV_SZ_EES10_S11_S12_S13_S17_S18_S19_S1C_S1D_jS1E_jS1F_S1F_jjS1H_bEUljE0_EEES10_S11_S12_S19_S1D_S1F_T6_T7_T9_mT8_S1H_bDpT10_ENKUlT_T0_E_clISt17integral_constantIbLb0EES1V_EEDaS1Q_S1R_EUlS1Q_E_NS1_11comp_targetILNS1_3genE3ELNS1_11target_archE908ELNS1_3gpuE7ELNS1_3repE0EEENS1_30default_config_static_selectorELNS0_4arch9wavefront6targetE0EEEvS13_
	.p2align	8
	.type	_ZN7rocprim17ROCPRIM_400000_NS6detail17trampoline_kernelINS0_13select_configILj256ELj13ELNS0_17block_load_methodE3ELS4_3ELS4_3ELNS0_20block_scan_algorithmE0ELj4294967295EEENS1_25partition_config_selectorILNS1_17partition_subalgoE4EjNS0_10empty_typeEbEEZZNS1_14partition_implILS8_4ELb0ES6_15HIP_vector_typeIjLj2EENS0_17counting_iteratorIjlEEPS9_SG_NS0_5tupleIJPjSI_NS0_16reverse_iteratorISI_EEEEENSH_IJSG_SG_SG_EEES9_SI_JZNS1_25segmented_radix_sort_implINS0_14default_configELb1EPK12hip_bfloat16PSP_PKlPlN2at6native12_GLOBAL__N_18offset_tEEE10hipError_tPvRmT1_PNSt15iterator_traitsIS13_E10value_typeET2_T3_PNS14_IS19_E10value_typeET4_jRbjT5_S1F_jjP12ihipStream_tbEUljE_ZNSN_ISO_Lb1ESR_SS_SU_SV_SZ_EES10_S11_S12_S13_S17_S18_S19_S1C_S1D_jS1E_jS1F_S1F_jjS1H_bEUljE0_EEES10_S11_S12_S19_S1D_S1F_T6_T7_T9_mT8_S1H_bDpT10_ENKUlT_T0_E_clISt17integral_constantIbLb0EES1V_EEDaS1Q_S1R_EUlS1Q_E_NS1_11comp_targetILNS1_3genE3ELNS1_11target_archE908ELNS1_3gpuE7ELNS1_3repE0EEENS1_30default_config_static_selectorELNS0_4arch9wavefront6targetE0EEEvS13_,@function
_ZN7rocprim17ROCPRIM_400000_NS6detail17trampoline_kernelINS0_13select_configILj256ELj13ELNS0_17block_load_methodE3ELS4_3ELS4_3ELNS0_20block_scan_algorithmE0ELj4294967295EEENS1_25partition_config_selectorILNS1_17partition_subalgoE4EjNS0_10empty_typeEbEEZZNS1_14partition_implILS8_4ELb0ES6_15HIP_vector_typeIjLj2EENS0_17counting_iteratorIjlEEPS9_SG_NS0_5tupleIJPjSI_NS0_16reverse_iteratorISI_EEEEENSH_IJSG_SG_SG_EEES9_SI_JZNS1_25segmented_radix_sort_implINS0_14default_configELb1EPK12hip_bfloat16PSP_PKlPlN2at6native12_GLOBAL__N_18offset_tEEE10hipError_tPvRmT1_PNSt15iterator_traitsIS13_E10value_typeET2_T3_PNS14_IS19_E10value_typeET4_jRbjT5_S1F_jjP12ihipStream_tbEUljE_ZNSN_ISO_Lb1ESR_SS_SU_SV_SZ_EES10_S11_S12_S13_S17_S18_S19_S1C_S1D_jS1E_jS1F_S1F_jjS1H_bEUljE0_EEES10_S11_S12_S19_S1D_S1F_T6_T7_T9_mT8_S1H_bDpT10_ENKUlT_T0_E_clISt17integral_constantIbLb0EES1V_EEDaS1Q_S1R_EUlS1Q_E_NS1_11comp_targetILNS1_3genE3ELNS1_11target_archE908ELNS1_3gpuE7ELNS1_3repE0EEENS1_30default_config_static_selectorELNS0_4arch9wavefront6targetE0EEEvS13_: ; @_ZN7rocprim17ROCPRIM_400000_NS6detail17trampoline_kernelINS0_13select_configILj256ELj13ELNS0_17block_load_methodE3ELS4_3ELS4_3ELNS0_20block_scan_algorithmE0ELj4294967295EEENS1_25partition_config_selectorILNS1_17partition_subalgoE4EjNS0_10empty_typeEbEEZZNS1_14partition_implILS8_4ELb0ES6_15HIP_vector_typeIjLj2EENS0_17counting_iteratorIjlEEPS9_SG_NS0_5tupleIJPjSI_NS0_16reverse_iteratorISI_EEEEENSH_IJSG_SG_SG_EEES9_SI_JZNS1_25segmented_radix_sort_implINS0_14default_configELb1EPK12hip_bfloat16PSP_PKlPlN2at6native12_GLOBAL__N_18offset_tEEE10hipError_tPvRmT1_PNSt15iterator_traitsIS13_E10value_typeET2_T3_PNS14_IS19_E10value_typeET4_jRbjT5_S1F_jjP12ihipStream_tbEUljE_ZNSN_ISO_Lb1ESR_SS_SU_SV_SZ_EES10_S11_S12_S13_S17_S18_S19_S1C_S1D_jS1E_jS1F_S1F_jjS1H_bEUljE0_EEES10_S11_S12_S19_S1D_S1F_T6_T7_T9_mT8_S1H_bDpT10_ENKUlT_T0_E_clISt17integral_constantIbLb0EES1V_EEDaS1Q_S1R_EUlS1Q_E_NS1_11comp_targetILNS1_3genE3ELNS1_11target_archE908ELNS1_3gpuE7ELNS1_3repE0EEENS1_30default_config_static_selectorELNS0_4arch9wavefront6targetE0EEEvS13_
; %bb.0:
	.section	.rodata,"a",@progbits
	.p2align	6, 0x0
	.amdhsa_kernel _ZN7rocprim17ROCPRIM_400000_NS6detail17trampoline_kernelINS0_13select_configILj256ELj13ELNS0_17block_load_methodE3ELS4_3ELS4_3ELNS0_20block_scan_algorithmE0ELj4294967295EEENS1_25partition_config_selectorILNS1_17partition_subalgoE4EjNS0_10empty_typeEbEEZZNS1_14partition_implILS8_4ELb0ES6_15HIP_vector_typeIjLj2EENS0_17counting_iteratorIjlEEPS9_SG_NS0_5tupleIJPjSI_NS0_16reverse_iteratorISI_EEEEENSH_IJSG_SG_SG_EEES9_SI_JZNS1_25segmented_radix_sort_implINS0_14default_configELb1EPK12hip_bfloat16PSP_PKlPlN2at6native12_GLOBAL__N_18offset_tEEE10hipError_tPvRmT1_PNSt15iterator_traitsIS13_E10value_typeET2_T3_PNS14_IS19_E10value_typeET4_jRbjT5_S1F_jjP12ihipStream_tbEUljE_ZNSN_ISO_Lb1ESR_SS_SU_SV_SZ_EES10_S11_S12_S13_S17_S18_S19_S1C_S1D_jS1E_jS1F_S1F_jjS1H_bEUljE0_EEES10_S11_S12_S19_S1D_S1F_T6_T7_T9_mT8_S1H_bDpT10_ENKUlT_T0_E_clISt17integral_constantIbLb0EES1V_EEDaS1Q_S1R_EUlS1Q_E_NS1_11comp_targetILNS1_3genE3ELNS1_11target_archE908ELNS1_3gpuE7ELNS1_3repE0EEENS1_30default_config_static_selectorELNS0_4arch9wavefront6targetE0EEEvS13_
		.amdhsa_group_segment_fixed_size 0
		.amdhsa_private_segment_fixed_size 0
		.amdhsa_kernarg_size 176
		.amdhsa_user_sgpr_count 2
		.amdhsa_user_sgpr_dispatch_ptr 0
		.amdhsa_user_sgpr_queue_ptr 0
		.amdhsa_user_sgpr_kernarg_segment_ptr 1
		.amdhsa_user_sgpr_dispatch_id 0
		.amdhsa_user_sgpr_kernarg_preload_length 0
		.amdhsa_user_sgpr_kernarg_preload_offset 0
		.amdhsa_user_sgpr_private_segment_size 0
		.amdhsa_wavefront_size32 1
		.amdhsa_uses_dynamic_stack 0
		.amdhsa_enable_private_segment 0
		.amdhsa_system_sgpr_workgroup_id_x 1
		.amdhsa_system_sgpr_workgroup_id_y 0
		.amdhsa_system_sgpr_workgroup_id_z 0
		.amdhsa_system_sgpr_workgroup_info 0
		.amdhsa_system_vgpr_workitem_id 0
		.amdhsa_next_free_vgpr 1
		.amdhsa_next_free_sgpr 1
		.amdhsa_named_barrier_count 0
		.amdhsa_reserve_vcc 0
		.amdhsa_float_round_mode_32 0
		.amdhsa_float_round_mode_16_64 0
		.amdhsa_float_denorm_mode_32 3
		.amdhsa_float_denorm_mode_16_64 3
		.amdhsa_fp16_overflow 0
		.amdhsa_memory_ordered 1
		.amdhsa_forward_progress 1
		.amdhsa_inst_pref_size 0
		.amdhsa_round_robin_scheduling 0
		.amdhsa_exception_fp_ieee_invalid_op 0
		.amdhsa_exception_fp_denorm_src 0
		.amdhsa_exception_fp_ieee_div_zero 0
		.amdhsa_exception_fp_ieee_overflow 0
		.amdhsa_exception_fp_ieee_underflow 0
		.amdhsa_exception_fp_ieee_inexact 0
		.amdhsa_exception_int_div_zero 0
	.end_amdhsa_kernel
	.section	.text._ZN7rocprim17ROCPRIM_400000_NS6detail17trampoline_kernelINS0_13select_configILj256ELj13ELNS0_17block_load_methodE3ELS4_3ELS4_3ELNS0_20block_scan_algorithmE0ELj4294967295EEENS1_25partition_config_selectorILNS1_17partition_subalgoE4EjNS0_10empty_typeEbEEZZNS1_14partition_implILS8_4ELb0ES6_15HIP_vector_typeIjLj2EENS0_17counting_iteratorIjlEEPS9_SG_NS0_5tupleIJPjSI_NS0_16reverse_iteratorISI_EEEEENSH_IJSG_SG_SG_EEES9_SI_JZNS1_25segmented_radix_sort_implINS0_14default_configELb1EPK12hip_bfloat16PSP_PKlPlN2at6native12_GLOBAL__N_18offset_tEEE10hipError_tPvRmT1_PNSt15iterator_traitsIS13_E10value_typeET2_T3_PNS14_IS19_E10value_typeET4_jRbjT5_S1F_jjP12ihipStream_tbEUljE_ZNSN_ISO_Lb1ESR_SS_SU_SV_SZ_EES10_S11_S12_S13_S17_S18_S19_S1C_S1D_jS1E_jS1F_S1F_jjS1H_bEUljE0_EEES10_S11_S12_S19_S1D_S1F_T6_T7_T9_mT8_S1H_bDpT10_ENKUlT_T0_E_clISt17integral_constantIbLb0EES1V_EEDaS1Q_S1R_EUlS1Q_E_NS1_11comp_targetILNS1_3genE3ELNS1_11target_archE908ELNS1_3gpuE7ELNS1_3repE0EEENS1_30default_config_static_selectorELNS0_4arch9wavefront6targetE0EEEvS13_,"axG",@progbits,_ZN7rocprim17ROCPRIM_400000_NS6detail17trampoline_kernelINS0_13select_configILj256ELj13ELNS0_17block_load_methodE3ELS4_3ELS4_3ELNS0_20block_scan_algorithmE0ELj4294967295EEENS1_25partition_config_selectorILNS1_17partition_subalgoE4EjNS0_10empty_typeEbEEZZNS1_14partition_implILS8_4ELb0ES6_15HIP_vector_typeIjLj2EENS0_17counting_iteratorIjlEEPS9_SG_NS0_5tupleIJPjSI_NS0_16reverse_iteratorISI_EEEEENSH_IJSG_SG_SG_EEES9_SI_JZNS1_25segmented_radix_sort_implINS0_14default_configELb1EPK12hip_bfloat16PSP_PKlPlN2at6native12_GLOBAL__N_18offset_tEEE10hipError_tPvRmT1_PNSt15iterator_traitsIS13_E10value_typeET2_T3_PNS14_IS19_E10value_typeET4_jRbjT5_S1F_jjP12ihipStream_tbEUljE_ZNSN_ISO_Lb1ESR_SS_SU_SV_SZ_EES10_S11_S12_S13_S17_S18_S19_S1C_S1D_jS1E_jS1F_S1F_jjS1H_bEUljE0_EEES10_S11_S12_S19_S1D_S1F_T6_T7_T9_mT8_S1H_bDpT10_ENKUlT_T0_E_clISt17integral_constantIbLb0EES1V_EEDaS1Q_S1R_EUlS1Q_E_NS1_11comp_targetILNS1_3genE3ELNS1_11target_archE908ELNS1_3gpuE7ELNS1_3repE0EEENS1_30default_config_static_selectorELNS0_4arch9wavefront6targetE0EEEvS13_,comdat
.Lfunc_end1875:
	.size	_ZN7rocprim17ROCPRIM_400000_NS6detail17trampoline_kernelINS0_13select_configILj256ELj13ELNS0_17block_load_methodE3ELS4_3ELS4_3ELNS0_20block_scan_algorithmE0ELj4294967295EEENS1_25partition_config_selectorILNS1_17partition_subalgoE4EjNS0_10empty_typeEbEEZZNS1_14partition_implILS8_4ELb0ES6_15HIP_vector_typeIjLj2EENS0_17counting_iteratorIjlEEPS9_SG_NS0_5tupleIJPjSI_NS0_16reverse_iteratorISI_EEEEENSH_IJSG_SG_SG_EEES9_SI_JZNS1_25segmented_radix_sort_implINS0_14default_configELb1EPK12hip_bfloat16PSP_PKlPlN2at6native12_GLOBAL__N_18offset_tEEE10hipError_tPvRmT1_PNSt15iterator_traitsIS13_E10value_typeET2_T3_PNS14_IS19_E10value_typeET4_jRbjT5_S1F_jjP12ihipStream_tbEUljE_ZNSN_ISO_Lb1ESR_SS_SU_SV_SZ_EES10_S11_S12_S13_S17_S18_S19_S1C_S1D_jS1E_jS1F_S1F_jjS1H_bEUljE0_EEES10_S11_S12_S19_S1D_S1F_T6_T7_T9_mT8_S1H_bDpT10_ENKUlT_T0_E_clISt17integral_constantIbLb0EES1V_EEDaS1Q_S1R_EUlS1Q_E_NS1_11comp_targetILNS1_3genE3ELNS1_11target_archE908ELNS1_3gpuE7ELNS1_3repE0EEENS1_30default_config_static_selectorELNS0_4arch9wavefront6targetE0EEEvS13_, .Lfunc_end1875-_ZN7rocprim17ROCPRIM_400000_NS6detail17trampoline_kernelINS0_13select_configILj256ELj13ELNS0_17block_load_methodE3ELS4_3ELS4_3ELNS0_20block_scan_algorithmE0ELj4294967295EEENS1_25partition_config_selectorILNS1_17partition_subalgoE4EjNS0_10empty_typeEbEEZZNS1_14partition_implILS8_4ELb0ES6_15HIP_vector_typeIjLj2EENS0_17counting_iteratorIjlEEPS9_SG_NS0_5tupleIJPjSI_NS0_16reverse_iteratorISI_EEEEENSH_IJSG_SG_SG_EEES9_SI_JZNS1_25segmented_radix_sort_implINS0_14default_configELb1EPK12hip_bfloat16PSP_PKlPlN2at6native12_GLOBAL__N_18offset_tEEE10hipError_tPvRmT1_PNSt15iterator_traitsIS13_E10value_typeET2_T3_PNS14_IS19_E10value_typeET4_jRbjT5_S1F_jjP12ihipStream_tbEUljE_ZNSN_ISO_Lb1ESR_SS_SU_SV_SZ_EES10_S11_S12_S13_S17_S18_S19_S1C_S1D_jS1E_jS1F_S1F_jjS1H_bEUljE0_EEES10_S11_S12_S19_S1D_S1F_T6_T7_T9_mT8_S1H_bDpT10_ENKUlT_T0_E_clISt17integral_constantIbLb0EES1V_EEDaS1Q_S1R_EUlS1Q_E_NS1_11comp_targetILNS1_3genE3ELNS1_11target_archE908ELNS1_3gpuE7ELNS1_3repE0EEENS1_30default_config_static_selectorELNS0_4arch9wavefront6targetE0EEEvS13_
                                        ; -- End function
	.set _ZN7rocprim17ROCPRIM_400000_NS6detail17trampoline_kernelINS0_13select_configILj256ELj13ELNS0_17block_load_methodE3ELS4_3ELS4_3ELNS0_20block_scan_algorithmE0ELj4294967295EEENS1_25partition_config_selectorILNS1_17partition_subalgoE4EjNS0_10empty_typeEbEEZZNS1_14partition_implILS8_4ELb0ES6_15HIP_vector_typeIjLj2EENS0_17counting_iteratorIjlEEPS9_SG_NS0_5tupleIJPjSI_NS0_16reverse_iteratorISI_EEEEENSH_IJSG_SG_SG_EEES9_SI_JZNS1_25segmented_radix_sort_implINS0_14default_configELb1EPK12hip_bfloat16PSP_PKlPlN2at6native12_GLOBAL__N_18offset_tEEE10hipError_tPvRmT1_PNSt15iterator_traitsIS13_E10value_typeET2_T3_PNS14_IS19_E10value_typeET4_jRbjT5_S1F_jjP12ihipStream_tbEUljE_ZNSN_ISO_Lb1ESR_SS_SU_SV_SZ_EES10_S11_S12_S13_S17_S18_S19_S1C_S1D_jS1E_jS1F_S1F_jjS1H_bEUljE0_EEES10_S11_S12_S19_S1D_S1F_T6_T7_T9_mT8_S1H_bDpT10_ENKUlT_T0_E_clISt17integral_constantIbLb0EES1V_EEDaS1Q_S1R_EUlS1Q_E_NS1_11comp_targetILNS1_3genE3ELNS1_11target_archE908ELNS1_3gpuE7ELNS1_3repE0EEENS1_30default_config_static_selectorELNS0_4arch9wavefront6targetE0EEEvS13_.num_vgpr, 0
	.set _ZN7rocprim17ROCPRIM_400000_NS6detail17trampoline_kernelINS0_13select_configILj256ELj13ELNS0_17block_load_methodE3ELS4_3ELS4_3ELNS0_20block_scan_algorithmE0ELj4294967295EEENS1_25partition_config_selectorILNS1_17partition_subalgoE4EjNS0_10empty_typeEbEEZZNS1_14partition_implILS8_4ELb0ES6_15HIP_vector_typeIjLj2EENS0_17counting_iteratorIjlEEPS9_SG_NS0_5tupleIJPjSI_NS0_16reverse_iteratorISI_EEEEENSH_IJSG_SG_SG_EEES9_SI_JZNS1_25segmented_radix_sort_implINS0_14default_configELb1EPK12hip_bfloat16PSP_PKlPlN2at6native12_GLOBAL__N_18offset_tEEE10hipError_tPvRmT1_PNSt15iterator_traitsIS13_E10value_typeET2_T3_PNS14_IS19_E10value_typeET4_jRbjT5_S1F_jjP12ihipStream_tbEUljE_ZNSN_ISO_Lb1ESR_SS_SU_SV_SZ_EES10_S11_S12_S13_S17_S18_S19_S1C_S1D_jS1E_jS1F_S1F_jjS1H_bEUljE0_EEES10_S11_S12_S19_S1D_S1F_T6_T7_T9_mT8_S1H_bDpT10_ENKUlT_T0_E_clISt17integral_constantIbLb0EES1V_EEDaS1Q_S1R_EUlS1Q_E_NS1_11comp_targetILNS1_3genE3ELNS1_11target_archE908ELNS1_3gpuE7ELNS1_3repE0EEENS1_30default_config_static_selectorELNS0_4arch9wavefront6targetE0EEEvS13_.num_agpr, 0
	.set _ZN7rocprim17ROCPRIM_400000_NS6detail17trampoline_kernelINS0_13select_configILj256ELj13ELNS0_17block_load_methodE3ELS4_3ELS4_3ELNS0_20block_scan_algorithmE0ELj4294967295EEENS1_25partition_config_selectorILNS1_17partition_subalgoE4EjNS0_10empty_typeEbEEZZNS1_14partition_implILS8_4ELb0ES6_15HIP_vector_typeIjLj2EENS0_17counting_iteratorIjlEEPS9_SG_NS0_5tupleIJPjSI_NS0_16reverse_iteratorISI_EEEEENSH_IJSG_SG_SG_EEES9_SI_JZNS1_25segmented_radix_sort_implINS0_14default_configELb1EPK12hip_bfloat16PSP_PKlPlN2at6native12_GLOBAL__N_18offset_tEEE10hipError_tPvRmT1_PNSt15iterator_traitsIS13_E10value_typeET2_T3_PNS14_IS19_E10value_typeET4_jRbjT5_S1F_jjP12ihipStream_tbEUljE_ZNSN_ISO_Lb1ESR_SS_SU_SV_SZ_EES10_S11_S12_S13_S17_S18_S19_S1C_S1D_jS1E_jS1F_S1F_jjS1H_bEUljE0_EEES10_S11_S12_S19_S1D_S1F_T6_T7_T9_mT8_S1H_bDpT10_ENKUlT_T0_E_clISt17integral_constantIbLb0EES1V_EEDaS1Q_S1R_EUlS1Q_E_NS1_11comp_targetILNS1_3genE3ELNS1_11target_archE908ELNS1_3gpuE7ELNS1_3repE0EEENS1_30default_config_static_selectorELNS0_4arch9wavefront6targetE0EEEvS13_.numbered_sgpr, 0
	.set _ZN7rocprim17ROCPRIM_400000_NS6detail17trampoline_kernelINS0_13select_configILj256ELj13ELNS0_17block_load_methodE3ELS4_3ELS4_3ELNS0_20block_scan_algorithmE0ELj4294967295EEENS1_25partition_config_selectorILNS1_17partition_subalgoE4EjNS0_10empty_typeEbEEZZNS1_14partition_implILS8_4ELb0ES6_15HIP_vector_typeIjLj2EENS0_17counting_iteratorIjlEEPS9_SG_NS0_5tupleIJPjSI_NS0_16reverse_iteratorISI_EEEEENSH_IJSG_SG_SG_EEES9_SI_JZNS1_25segmented_radix_sort_implINS0_14default_configELb1EPK12hip_bfloat16PSP_PKlPlN2at6native12_GLOBAL__N_18offset_tEEE10hipError_tPvRmT1_PNSt15iterator_traitsIS13_E10value_typeET2_T3_PNS14_IS19_E10value_typeET4_jRbjT5_S1F_jjP12ihipStream_tbEUljE_ZNSN_ISO_Lb1ESR_SS_SU_SV_SZ_EES10_S11_S12_S13_S17_S18_S19_S1C_S1D_jS1E_jS1F_S1F_jjS1H_bEUljE0_EEES10_S11_S12_S19_S1D_S1F_T6_T7_T9_mT8_S1H_bDpT10_ENKUlT_T0_E_clISt17integral_constantIbLb0EES1V_EEDaS1Q_S1R_EUlS1Q_E_NS1_11comp_targetILNS1_3genE3ELNS1_11target_archE908ELNS1_3gpuE7ELNS1_3repE0EEENS1_30default_config_static_selectorELNS0_4arch9wavefront6targetE0EEEvS13_.num_named_barrier, 0
	.set _ZN7rocprim17ROCPRIM_400000_NS6detail17trampoline_kernelINS0_13select_configILj256ELj13ELNS0_17block_load_methodE3ELS4_3ELS4_3ELNS0_20block_scan_algorithmE0ELj4294967295EEENS1_25partition_config_selectorILNS1_17partition_subalgoE4EjNS0_10empty_typeEbEEZZNS1_14partition_implILS8_4ELb0ES6_15HIP_vector_typeIjLj2EENS0_17counting_iteratorIjlEEPS9_SG_NS0_5tupleIJPjSI_NS0_16reverse_iteratorISI_EEEEENSH_IJSG_SG_SG_EEES9_SI_JZNS1_25segmented_radix_sort_implINS0_14default_configELb1EPK12hip_bfloat16PSP_PKlPlN2at6native12_GLOBAL__N_18offset_tEEE10hipError_tPvRmT1_PNSt15iterator_traitsIS13_E10value_typeET2_T3_PNS14_IS19_E10value_typeET4_jRbjT5_S1F_jjP12ihipStream_tbEUljE_ZNSN_ISO_Lb1ESR_SS_SU_SV_SZ_EES10_S11_S12_S13_S17_S18_S19_S1C_S1D_jS1E_jS1F_S1F_jjS1H_bEUljE0_EEES10_S11_S12_S19_S1D_S1F_T6_T7_T9_mT8_S1H_bDpT10_ENKUlT_T0_E_clISt17integral_constantIbLb0EES1V_EEDaS1Q_S1R_EUlS1Q_E_NS1_11comp_targetILNS1_3genE3ELNS1_11target_archE908ELNS1_3gpuE7ELNS1_3repE0EEENS1_30default_config_static_selectorELNS0_4arch9wavefront6targetE0EEEvS13_.private_seg_size, 0
	.set _ZN7rocprim17ROCPRIM_400000_NS6detail17trampoline_kernelINS0_13select_configILj256ELj13ELNS0_17block_load_methodE3ELS4_3ELS4_3ELNS0_20block_scan_algorithmE0ELj4294967295EEENS1_25partition_config_selectorILNS1_17partition_subalgoE4EjNS0_10empty_typeEbEEZZNS1_14partition_implILS8_4ELb0ES6_15HIP_vector_typeIjLj2EENS0_17counting_iteratorIjlEEPS9_SG_NS0_5tupleIJPjSI_NS0_16reverse_iteratorISI_EEEEENSH_IJSG_SG_SG_EEES9_SI_JZNS1_25segmented_radix_sort_implINS0_14default_configELb1EPK12hip_bfloat16PSP_PKlPlN2at6native12_GLOBAL__N_18offset_tEEE10hipError_tPvRmT1_PNSt15iterator_traitsIS13_E10value_typeET2_T3_PNS14_IS19_E10value_typeET4_jRbjT5_S1F_jjP12ihipStream_tbEUljE_ZNSN_ISO_Lb1ESR_SS_SU_SV_SZ_EES10_S11_S12_S13_S17_S18_S19_S1C_S1D_jS1E_jS1F_S1F_jjS1H_bEUljE0_EEES10_S11_S12_S19_S1D_S1F_T6_T7_T9_mT8_S1H_bDpT10_ENKUlT_T0_E_clISt17integral_constantIbLb0EES1V_EEDaS1Q_S1R_EUlS1Q_E_NS1_11comp_targetILNS1_3genE3ELNS1_11target_archE908ELNS1_3gpuE7ELNS1_3repE0EEENS1_30default_config_static_selectorELNS0_4arch9wavefront6targetE0EEEvS13_.uses_vcc, 0
	.set _ZN7rocprim17ROCPRIM_400000_NS6detail17trampoline_kernelINS0_13select_configILj256ELj13ELNS0_17block_load_methodE3ELS4_3ELS4_3ELNS0_20block_scan_algorithmE0ELj4294967295EEENS1_25partition_config_selectorILNS1_17partition_subalgoE4EjNS0_10empty_typeEbEEZZNS1_14partition_implILS8_4ELb0ES6_15HIP_vector_typeIjLj2EENS0_17counting_iteratorIjlEEPS9_SG_NS0_5tupleIJPjSI_NS0_16reverse_iteratorISI_EEEEENSH_IJSG_SG_SG_EEES9_SI_JZNS1_25segmented_radix_sort_implINS0_14default_configELb1EPK12hip_bfloat16PSP_PKlPlN2at6native12_GLOBAL__N_18offset_tEEE10hipError_tPvRmT1_PNSt15iterator_traitsIS13_E10value_typeET2_T3_PNS14_IS19_E10value_typeET4_jRbjT5_S1F_jjP12ihipStream_tbEUljE_ZNSN_ISO_Lb1ESR_SS_SU_SV_SZ_EES10_S11_S12_S13_S17_S18_S19_S1C_S1D_jS1E_jS1F_S1F_jjS1H_bEUljE0_EEES10_S11_S12_S19_S1D_S1F_T6_T7_T9_mT8_S1H_bDpT10_ENKUlT_T0_E_clISt17integral_constantIbLb0EES1V_EEDaS1Q_S1R_EUlS1Q_E_NS1_11comp_targetILNS1_3genE3ELNS1_11target_archE908ELNS1_3gpuE7ELNS1_3repE0EEENS1_30default_config_static_selectorELNS0_4arch9wavefront6targetE0EEEvS13_.uses_flat_scratch, 0
	.set _ZN7rocprim17ROCPRIM_400000_NS6detail17trampoline_kernelINS0_13select_configILj256ELj13ELNS0_17block_load_methodE3ELS4_3ELS4_3ELNS0_20block_scan_algorithmE0ELj4294967295EEENS1_25partition_config_selectorILNS1_17partition_subalgoE4EjNS0_10empty_typeEbEEZZNS1_14partition_implILS8_4ELb0ES6_15HIP_vector_typeIjLj2EENS0_17counting_iteratorIjlEEPS9_SG_NS0_5tupleIJPjSI_NS0_16reverse_iteratorISI_EEEEENSH_IJSG_SG_SG_EEES9_SI_JZNS1_25segmented_radix_sort_implINS0_14default_configELb1EPK12hip_bfloat16PSP_PKlPlN2at6native12_GLOBAL__N_18offset_tEEE10hipError_tPvRmT1_PNSt15iterator_traitsIS13_E10value_typeET2_T3_PNS14_IS19_E10value_typeET4_jRbjT5_S1F_jjP12ihipStream_tbEUljE_ZNSN_ISO_Lb1ESR_SS_SU_SV_SZ_EES10_S11_S12_S13_S17_S18_S19_S1C_S1D_jS1E_jS1F_S1F_jjS1H_bEUljE0_EEES10_S11_S12_S19_S1D_S1F_T6_T7_T9_mT8_S1H_bDpT10_ENKUlT_T0_E_clISt17integral_constantIbLb0EES1V_EEDaS1Q_S1R_EUlS1Q_E_NS1_11comp_targetILNS1_3genE3ELNS1_11target_archE908ELNS1_3gpuE7ELNS1_3repE0EEENS1_30default_config_static_selectorELNS0_4arch9wavefront6targetE0EEEvS13_.has_dyn_sized_stack, 0
	.set _ZN7rocprim17ROCPRIM_400000_NS6detail17trampoline_kernelINS0_13select_configILj256ELj13ELNS0_17block_load_methodE3ELS4_3ELS4_3ELNS0_20block_scan_algorithmE0ELj4294967295EEENS1_25partition_config_selectorILNS1_17partition_subalgoE4EjNS0_10empty_typeEbEEZZNS1_14partition_implILS8_4ELb0ES6_15HIP_vector_typeIjLj2EENS0_17counting_iteratorIjlEEPS9_SG_NS0_5tupleIJPjSI_NS0_16reverse_iteratorISI_EEEEENSH_IJSG_SG_SG_EEES9_SI_JZNS1_25segmented_radix_sort_implINS0_14default_configELb1EPK12hip_bfloat16PSP_PKlPlN2at6native12_GLOBAL__N_18offset_tEEE10hipError_tPvRmT1_PNSt15iterator_traitsIS13_E10value_typeET2_T3_PNS14_IS19_E10value_typeET4_jRbjT5_S1F_jjP12ihipStream_tbEUljE_ZNSN_ISO_Lb1ESR_SS_SU_SV_SZ_EES10_S11_S12_S13_S17_S18_S19_S1C_S1D_jS1E_jS1F_S1F_jjS1H_bEUljE0_EEES10_S11_S12_S19_S1D_S1F_T6_T7_T9_mT8_S1H_bDpT10_ENKUlT_T0_E_clISt17integral_constantIbLb0EES1V_EEDaS1Q_S1R_EUlS1Q_E_NS1_11comp_targetILNS1_3genE3ELNS1_11target_archE908ELNS1_3gpuE7ELNS1_3repE0EEENS1_30default_config_static_selectorELNS0_4arch9wavefront6targetE0EEEvS13_.has_recursion, 0
	.set _ZN7rocprim17ROCPRIM_400000_NS6detail17trampoline_kernelINS0_13select_configILj256ELj13ELNS0_17block_load_methodE3ELS4_3ELS4_3ELNS0_20block_scan_algorithmE0ELj4294967295EEENS1_25partition_config_selectorILNS1_17partition_subalgoE4EjNS0_10empty_typeEbEEZZNS1_14partition_implILS8_4ELb0ES6_15HIP_vector_typeIjLj2EENS0_17counting_iteratorIjlEEPS9_SG_NS0_5tupleIJPjSI_NS0_16reverse_iteratorISI_EEEEENSH_IJSG_SG_SG_EEES9_SI_JZNS1_25segmented_radix_sort_implINS0_14default_configELb1EPK12hip_bfloat16PSP_PKlPlN2at6native12_GLOBAL__N_18offset_tEEE10hipError_tPvRmT1_PNSt15iterator_traitsIS13_E10value_typeET2_T3_PNS14_IS19_E10value_typeET4_jRbjT5_S1F_jjP12ihipStream_tbEUljE_ZNSN_ISO_Lb1ESR_SS_SU_SV_SZ_EES10_S11_S12_S13_S17_S18_S19_S1C_S1D_jS1E_jS1F_S1F_jjS1H_bEUljE0_EEES10_S11_S12_S19_S1D_S1F_T6_T7_T9_mT8_S1H_bDpT10_ENKUlT_T0_E_clISt17integral_constantIbLb0EES1V_EEDaS1Q_S1R_EUlS1Q_E_NS1_11comp_targetILNS1_3genE3ELNS1_11target_archE908ELNS1_3gpuE7ELNS1_3repE0EEENS1_30default_config_static_selectorELNS0_4arch9wavefront6targetE0EEEvS13_.has_indirect_call, 0
	.section	.AMDGPU.csdata,"",@progbits
; Kernel info:
; codeLenInByte = 0
; TotalNumSgprs: 0
; NumVgprs: 0
; ScratchSize: 0
; MemoryBound: 0
; FloatMode: 240
; IeeeMode: 1
; LDSByteSize: 0 bytes/workgroup (compile time only)
; SGPRBlocks: 0
; VGPRBlocks: 0
; NumSGPRsForWavesPerEU: 1
; NumVGPRsForWavesPerEU: 1
; NamedBarCnt: 0
; Occupancy: 16
; WaveLimiterHint : 0
; COMPUTE_PGM_RSRC2:SCRATCH_EN: 0
; COMPUTE_PGM_RSRC2:USER_SGPR: 2
; COMPUTE_PGM_RSRC2:TRAP_HANDLER: 0
; COMPUTE_PGM_RSRC2:TGID_X_EN: 1
; COMPUTE_PGM_RSRC2:TGID_Y_EN: 0
; COMPUTE_PGM_RSRC2:TGID_Z_EN: 0
; COMPUTE_PGM_RSRC2:TIDIG_COMP_CNT: 0
	.section	.text._ZN7rocprim17ROCPRIM_400000_NS6detail17trampoline_kernelINS0_13select_configILj256ELj13ELNS0_17block_load_methodE3ELS4_3ELS4_3ELNS0_20block_scan_algorithmE0ELj4294967295EEENS1_25partition_config_selectorILNS1_17partition_subalgoE4EjNS0_10empty_typeEbEEZZNS1_14partition_implILS8_4ELb0ES6_15HIP_vector_typeIjLj2EENS0_17counting_iteratorIjlEEPS9_SG_NS0_5tupleIJPjSI_NS0_16reverse_iteratorISI_EEEEENSH_IJSG_SG_SG_EEES9_SI_JZNS1_25segmented_radix_sort_implINS0_14default_configELb1EPK12hip_bfloat16PSP_PKlPlN2at6native12_GLOBAL__N_18offset_tEEE10hipError_tPvRmT1_PNSt15iterator_traitsIS13_E10value_typeET2_T3_PNS14_IS19_E10value_typeET4_jRbjT5_S1F_jjP12ihipStream_tbEUljE_ZNSN_ISO_Lb1ESR_SS_SU_SV_SZ_EES10_S11_S12_S13_S17_S18_S19_S1C_S1D_jS1E_jS1F_S1F_jjS1H_bEUljE0_EEES10_S11_S12_S19_S1D_S1F_T6_T7_T9_mT8_S1H_bDpT10_ENKUlT_T0_E_clISt17integral_constantIbLb0EES1V_EEDaS1Q_S1R_EUlS1Q_E_NS1_11comp_targetILNS1_3genE2ELNS1_11target_archE906ELNS1_3gpuE6ELNS1_3repE0EEENS1_30default_config_static_selectorELNS0_4arch9wavefront6targetE0EEEvS13_,"axG",@progbits,_ZN7rocprim17ROCPRIM_400000_NS6detail17trampoline_kernelINS0_13select_configILj256ELj13ELNS0_17block_load_methodE3ELS4_3ELS4_3ELNS0_20block_scan_algorithmE0ELj4294967295EEENS1_25partition_config_selectorILNS1_17partition_subalgoE4EjNS0_10empty_typeEbEEZZNS1_14partition_implILS8_4ELb0ES6_15HIP_vector_typeIjLj2EENS0_17counting_iteratorIjlEEPS9_SG_NS0_5tupleIJPjSI_NS0_16reverse_iteratorISI_EEEEENSH_IJSG_SG_SG_EEES9_SI_JZNS1_25segmented_radix_sort_implINS0_14default_configELb1EPK12hip_bfloat16PSP_PKlPlN2at6native12_GLOBAL__N_18offset_tEEE10hipError_tPvRmT1_PNSt15iterator_traitsIS13_E10value_typeET2_T3_PNS14_IS19_E10value_typeET4_jRbjT5_S1F_jjP12ihipStream_tbEUljE_ZNSN_ISO_Lb1ESR_SS_SU_SV_SZ_EES10_S11_S12_S13_S17_S18_S19_S1C_S1D_jS1E_jS1F_S1F_jjS1H_bEUljE0_EEES10_S11_S12_S19_S1D_S1F_T6_T7_T9_mT8_S1H_bDpT10_ENKUlT_T0_E_clISt17integral_constantIbLb0EES1V_EEDaS1Q_S1R_EUlS1Q_E_NS1_11comp_targetILNS1_3genE2ELNS1_11target_archE906ELNS1_3gpuE6ELNS1_3repE0EEENS1_30default_config_static_selectorELNS0_4arch9wavefront6targetE0EEEvS13_,comdat
	.globl	_ZN7rocprim17ROCPRIM_400000_NS6detail17trampoline_kernelINS0_13select_configILj256ELj13ELNS0_17block_load_methodE3ELS4_3ELS4_3ELNS0_20block_scan_algorithmE0ELj4294967295EEENS1_25partition_config_selectorILNS1_17partition_subalgoE4EjNS0_10empty_typeEbEEZZNS1_14partition_implILS8_4ELb0ES6_15HIP_vector_typeIjLj2EENS0_17counting_iteratorIjlEEPS9_SG_NS0_5tupleIJPjSI_NS0_16reverse_iteratorISI_EEEEENSH_IJSG_SG_SG_EEES9_SI_JZNS1_25segmented_radix_sort_implINS0_14default_configELb1EPK12hip_bfloat16PSP_PKlPlN2at6native12_GLOBAL__N_18offset_tEEE10hipError_tPvRmT1_PNSt15iterator_traitsIS13_E10value_typeET2_T3_PNS14_IS19_E10value_typeET4_jRbjT5_S1F_jjP12ihipStream_tbEUljE_ZNSN_ISO_Lb1ESR_SS_SU_SV_SZ_EES10_S11_S12_S13_S17_S18_S19_S1C_S1D_jS1E_jS1F_S1F_jjS1H_bEUljE0_EEES10_S11_S12_S19_S1D_S1F_T6_T7_T9_mT8_S1H_bDpT10_ENKUlT_T0_E_clISt17integral_constantIbLb0EES1V_EEDaS1Q_S1R_EUlS1Q_E_NS1_11comp_targetILNS1_3genE2ELNS1_11target_archE906ELNS1_3gpuE6ELNS1_3repE0EEENS1_30default_config_static_selectorELNS0_4arch9wavefront6targetE0EEEvS13_ ; -- Begin function _ZN7rocprim17ROCPRIM_400000_NS6detail17trampoline_kernelINS0_13select_configILj256ELj13ELNS0_17block_load_methodE3ELS4_3ELS4_3ELNS0_20block_scan_algorithmE0ELj4294967295EEENS1_25partition_config_selectorILNS1_17partition_subalgoE4EjNS0_10empty_typeEbEEZZNS1_14partition_implILS8_4ELb0ES6_15HIP_vector_typeIjLj2EENS0_17counting_iteratorIjlEEPS9_SG_NS0_5tupleIJPjSI_NS0_16reverse_iteratorISI_EEEEENSH_IJSG_SG_SG_EEES9_SI_JZNS1_25segmented_radix_sort_implINS0_14default_configELb1EPK12hip_bfloat16PSP_PKlPlN2at6native12_GLOBAL__N_18offset_tEEE10hipError_tPvRmT1_PNSt15iterator_traitsIS13_E10value_typeET2_T3_PNS14_IS19_E10value_typeET4_jRbjT5_S1F_jjP12ihipStream_tbEUljE_ZNSN_ISO_Lb1ESR_SS_SU_SV_SZ_EES10_S11_S12_S13_S17_S18_S19_S1C_S1D_jS1E_jS1F_S1F_jjS1H_bEUljE0_EEES10_S11_S12_S19_S1D_S1F_T6_T7_T9_mT8_S1H_bDpT10_ENKUlT_T0_E_clISt17integral_constantIbLb0EES1V_EEDaS1Q_S1R_EUlS1Q_E_NS1_11comp_targetILNS1_3genE2ELNS1_11target_archE906ELNS1_3gpuE6ELNS1_3repE0EEENS1_30default_config_static_selectorELNS0_4arch9wavefront6targetE0EEEvS13_
	.p2align	8
	.type	_ZN7rocprim17ROCPRIM_400000_NS6detail17trampoline_kernelINS0_13select_configILj256ELj13ELNS0_17block_load_methodE3ELS4_3ELS4_3ELNS0_20block_scan_algorithmE0ELj4294967295EEENS1_25partition_config_selectorILNS1_17partition_subalgoE4EjNS0_10empty_typeEbEEZZNS1_14partition_implILS8_4ELb0ES6_15HIP_vector_typeIjLj2EENS0_17counting_iteratorIjlEEPS9_SG_NS0_5tupleIJPjSI_NS0_16reverse_iteratorISI_EEEEENSH_IJSG_SG_SG_EEES9_SI_JZNS1_25segmented_radix_sort_implINS0_14default_configELb1EPK12hip_bfloat16PSP_PKlPlN2at6native12_GLOBAL__N_18offset_tEEE10hipError_tPvRmT1_PNSt15iterator_traitsIS13_E10value_typeET2_T3_PNS14_IS19_E10value_typeET4_jRbjT5_S1F_jjP12ihipStream_tbEUljE_ZNSN_ISO_Lb1ESR_SS_SU_SV_SZ_EES10_S11_S12_S13_S17_S18_S19_S1C_S1D_jS1E_jS1F_S1F_jjS1H_bEUljE0_EEES10_S11_S12_S19_S1D_S1F_T6_T7_T9_mT8_S1H_bDpT10_ENKUlT_T0_E_clISt17integral_constantIbLb0EES1V_EEDaS1Q_S1R_EUlS1Q_E_NS1_11comp_targetILNS1_3genE2ELNS1_11target_archE906ELNS1_3gpuE6ELNS1_3repE0EEENS1_30default_config_static_selectorELNS0_4arch9wavefront6targetE0EEEvS13_,@function
_ZN7rocprim17ROCPRIM_400000_NS6detail17trampoline_kernelINS0_13select_configILj256ELj13ELNS0_17block_load_methodE3ELS4_3ELS4_3ELNS0_20block_scan_algorithmE0ELj4294967295EEENS1_25partition_config_selectorILNS1_17partition_subalgoE4EjNS0_10empty_typeEbEEZZNS1_14partition_implILS8_4ELb0ES6_15HIP_vector_typeIjLj2EENS0_17counting_iteratorIjlEEPS9_SG_NS0_5tupleIJPjSI_NS0_16reverse_iteratorISI_EEEEENSH_IJSG_SG_SG_EEES9_SI_JZNS1_25segmented_radix_sort_implINS0_14default_configELb1EPK12hip_bfloat16PSP_PKlPlN2at6native12_GLOBAL__N_18offset_tEEE10hipError_tPvRmT1_PNSt15iterator_traitsIS13_E10value_typeET2_T3_PNS14_IS19_E10value_typeET4_jRbjT5_S1F_jjP12ihipStream_tbEUljE_ZNSN_ISO_Lb1ESR_SS_SU_SV_SZ_EES10_S11_S12_S13_S17_S18_S19_S1C_S1D_jS1E_jS1F_S1F_jjS1H_bEUljE0_EEES10_S11_S12_S19_S1D_S1F_T6_T7_T9_mT8_S1H_bDpT10_ENKUlT_T0_E_clISt17integral_constantIbLb0EES1V_EEDaS1Q_S1R_EUlS1Q_E_NS1_11comp_targetILNS1_3genE2ELNS1_11target_archE906ELNS1_3gpuE6ELNS1_3repE0EEENS1_30default_config_static_selectorELNS0_4arch9wavefront6targetE0EEEvS13_: ; @_ZN7rocprim17ROCPRIM_400000_NS6detail17trampoline_kernelINS0_13select_configILj256ELj13ELNS0_17block_load_methodE3ELS4_3ELS4_3ELNS0_20block_scan_algorithmE0ELj4294967295EEENS1_25partition_config_selectorILNS1_17partition_subalgoE4EjNS0_10empty_typeEbEEZZNS1_14partition_implILS8_4ELb0ES6_15HIP_vector_typeIjLj2EENS0_17counting_iteratorIjlEEPS9_SG_NS0_5tupleIJPjSI_NS0_16reverse_iteratorISI_EEEEENSH_IJSG_SG_SG_EEES9_SI_JZNS1_25segmented_radix_sort_implINS0_14default_configELb1EPK12hip_bfloat16PSP_PKlPlN2at6native12_GLOBAL__N_18offset_tEEE10hipError_tPvRmT1_PNSt15iterator_traitsIS13_E10value_typeET2_T3_PNS14_IS19_E10value_typeET4_jRbjT5_S1F_jjP12ihipStream_tbEUljE_ZNSN_ISO_Lb1ESR_SS_SU_SV_SZ_EES10_S11_S12_S13_S17_S18_S19_S1C_S1D_jS1E_jS1F_S1F_jjS1H_bEUljE0_EEES10_S11_S12_S19_S1D_S1F_T6_T7_T9_mT8_S1H_bDpT10_ENKUlT_T0_E_clISt17integral_constantIbLb0EES1V_EEDaS1Q_S1R_EUlS1Q_E_NS1_11comp_targetILNS1_3genE2ELNS1_11target_archE906ELNS1_3gpuE6ELNS1_3repE0EEENS1_30default_config_static_selectorELNS0_4arch9wavefront6targetE0EEEvS13_
; %bb.0:
	.section	.rodata,"a",@progbits
	.p2align	6, 0x0
	.amdhsa_kernel _ZN7rocprim17ROCPRIM_400000_NS6detail17trampoline_kernelINS0_13select_configILj256ELj13ELNS0_17block_load_methodE3ELS4_3ELS4_3ELNS0_20block_scan_algorithmE0ELj4294967295EEENS1_25partition_config_selectorILNS1_17partition_subalgoE4EjNS0_10empty_typeEbEEZZNS1_14partition_implILS8_4ELb0ES6_15HIP_vector_typeIjLj2EENS0_17counting_iteratorIjlEEPS9_SG_NS0_5tupleIJPjSI_NS0_16reverse_iteratorISI_EEEEENSH_IJSG_SG_SG_EEES9_SI_JZNS1_25segmented_radix_sort_implINS0_14default_configELb1EPK12hip_bfloat16PSP_PKlPlN2at6native12_GLOBAL__N_18offset_tEEE10hipError_tPvRmT1_PNSt15iterator_traitsIS13_E10value_typeET2_T3_PNS14_IS19_E10value_typeET4_jRbjT5_S1F_jjP12ihipStream_tbEUljE_ZNSN_ISO_Lb1ESR_SS_SU_SV_SZ_EES10_S11_S12_S13_S17_S18_S19_S1C_S1D_jS1E_jS1F_S1F_jjS1H_bEUljE0_EEES10_S11_S12_S19_S1D_S1F_T6_T7_T9_mT8_S1H_bDpT10_ENKUlT_T0_E_clISt17integral_constantIbLb0EES1V_EEDaS1Q_S1R_EUlS1Q_E_NS1_11comp_targetILNS1_3genE2ELNS1_11target_archE906ELNS1_3gpuE6ELNS1_3repE0EEENS1_30default_config_static_selectorELNS0_4arch9wavefront6targetE0EEEvS13_
		.amdhsa_group_segment_fixed_size 0
		.amdhsa_private_segment_fixed_size 0
		.amdhsa_kernarg_size 176
		.amdhsa_user_sgpr_count 2
		.amdhsa_user_sgpr_dispatch_ptr 0
		.amdhsa_user_sgpr_queue_ptr 0
		.amdhsa_user_sgpr_kernarg_segment_ptr 1
		.amdhsa_user_sgpr_dispatch_id 0
		.amdhsa_user_sgpr_kernarg_preload_length 0
		.amdhsa_user_sgpr_kernarg_preload_offset 0
		.amdhsa_user_sgpr_private_segment_size 0
		.amdhsa_wavefront_size32 1
		.amdhsa_uses_dynamic_stack 0
		.amdhsa_enable_private_segment 0
		.amdhsa_system_sgpr_workgroup_id_x 1
		.amdhsa_system_sgpr_workgroup_id_y 0
		.amdhsa_system_sgpr_workgroup_id_z 0
		.amdhsa_system_sgpr_workgroup_info 0
		.amdhsa_system_vgpr_workitem_id 0
		.amdhsa_next_free_vgpr 1
		.amdhsa_next_free_sgpr 1
		.amdhsa_named_barrier_count 0
		.amdhsa_reserve_vcc 0
		.amdhsa_float_round_mode_32 0
		.amdhsa_float_round_mode_16_64 0
		.amdhsa_float_denorm_mode_32 3
		.amdhsa_float_denorm_mode_16_64 3
		.amdhsa_fp16_overflow 0
		.amdhsa_memory_ordered 1
		.amdhsa_forward_progress 1
		.amdhsa_inst_pref_size 0
		.amdhsa_round_robin_scheduling 0
		.amdhsa_exception_fp_ieee_invalid_op 0
		.amdhsa_exception_fp_denorm_src 0
		.amdhsa_exception_fp_ieee_div_zero 0
		.amdhsa_exception_fp_ieee_overflow 0
		.amdhsa_exception_fp_ieee_underflow 0
		.amdhsa_exception_fp_ieee_inexact 0
		.amdhsa_exception_int_div_zero 0
	.end_amdhsa_kernel
	.section	.text._ZN7rocprim17ROCPRIM_400000_NS6detail17trampoline_kernelINS0_13select_configILj256ELj13ELNS0_17block_load_methodE3ELS4_3ELS4_3ELNS0_20block_scan_algorithmE0ELj4294967295EEENS1_25partition_config_selectorILNS1_17partition_subalgoE4EjNS0_10empty_typeEbEEZZNS1_14partition_implILS8_4ELb0ES6_15HIP_vector_typeIjLj2EENS0_17counting_iteratorIjlEEPS9_SG_NS0_5tupleIJPjSI_NS0_16reverse_iteratorISI_EEEEENSH_IJSG_SG_SG_EEES9_SI_JZNS1_25segmented_radix_sort_implINS0_14default_configELb1EPK12hip_bfloat16PSP_PKlPlN2at6native12_GLOBAL__N_18offset_tEEE10hipError_tPvRmT1_PNSt15iterator_traitsIS13_E10value_typeET2_T3_PNS14_IS19_E10value_typeET4_jRbjT5_S1F_jjP12ihipStream_tbEUljE_ZNSN_ISO_Lb1ESR_SS_SU_SV_SZ_EES10_S11_S12_S13_S17_S18_S19_S1C_S1D_jS1E_jS1F_S1F_jjS1H_bEUljE0_EEES10_S11_S12_S19_S1D_S1F_T6_T7_T9_mT8_S1H_bDpT10_ENKUlT_T0_E_clISt17integral_constantIbLb0EES1V_EEDaS1Q_S1R_EUlS1Q_E_NS1_11comp_targetILNS1_3genE2ELNS1_11target_archE906ELNS1_3gpuE6ELNS1_3repE0EEENS1_30default_config_static_selectorELNS0_4arch9wavefront6targetE0EEEvS13_,"axG",@progbits,_ZN7rocprim17ROCPRIM_400000_NS6detail17trampoline_kernelINS0_13select_configILj256ELj13ELNS0_17block_load_methodE3ELS4_3ELS4_3ELNS0_20block_scan_algorithmE0ELj4294967295EEENS1_25partition_config_selectorILNS1_17partition_subalgoE4EjNS0_10empty_typeEbEEZZNS1_14partition_implILS8_4ELb0ES6_15HIP_vector_typeIjLj2EENS0_17counting_iteratorIjlEEPS9_SG_NS0_5tupleIJPjSI_NS0_16reverse_iteratorISI_EEEEENSH_IJSG_SG_SG_EEES9_SI_JZNS1_25segmented_radix_sort_implINS0_14default_configELb1EPK12hip_bfloat16PSP_PKlPlN2at6native12_GLOBAL__N_18offset_tEEE10hipError_tPvRmT1_PNSt15iterator_traitsIS13_E10value_typeET2_T3_PNS14_IS19_E10value_typeET4_jRbjT5_S1F_jjP12ihipStream_tbEUljE_ZNSN_ISO_Lb1ESR_SS_SU_SV_SZ_EES10_S11_S12_S13_S17_S18_S19_S1C_S1D_jS1E_jS1F_S1F_jjS1H_bEUljE0_EEES10_S11_S12_S19_S1D_S1F_T6_T7_T9_mT8_S1H_bDpT10_ENKUlT_T0_E_clISt17integral_constantIbLb0EES1V_EEDaS1Q_S1R_EUlS1Q_E_NS1_11comp_targetILNS1_3genE2ELNS1_11target_archE906ELNS1_3gpuE6ELNS1_3repE0EEENS1_30default_config_static_selectorELNS0_4arch9wavefront6targetE0EEEvS13_,comdat
.Lfunc_end1876:
	.size	_ZN7rocprim17ROCPRIM_400000_NS6detail17trampoline_kernelINS0_13select_configILj256ELj13ELNS0_17block_load_methodE3ELS4_3ELS4_3ELNS0_20block_scan_algorithmE0ELj4294967295EEENS1_25partition_config_selectorILNS1_17partition_subalgoE4EjNS0_10empty_typeEbEEZZNS1_14partition_implILS8_4ELb0ES6_15HIP_vector_typeIjLj2EENS0_17counting_iteratorIjlEEPS9_SG_NS0_5tupleIJPjSI_NS0_16reverse_iteratorISI_EEEEENSH_IJSG_SG_SG_EEES9_SI_JZNS1_25segmented_radix_sort_implINS0_14default_configELb1EPK12hip_bfloat16PSP_PKlPlN2at6native12_GLOBAL__N_18offset_tEEE10hipError_tPvRmT1_PNSt15iterator_traitsIS13_E10value_typeET2_T3_PNS14_IS19_E10value_typeET4_jRbjT5_S1F_jjP12ihipStream_tbEUljE_ZNSN_ISO_Lb1ESR_SS_SU_SV_SZ_EES10_S11_S12_S13_S17_S18_S19_S1C_S1D_jS1E_jS1F_S1F_jjS1H_bEUljE0_EEES10_S11_S12_S19_S1D_S1F_T6_T7_T9_mT8_S1H_bDpT10_ENKUlT_T0_E_clISt17integral_constantIbLb0EES1V_EEDaS1Q_S1R_EUlS1Q_E_NS1_11comp_targetILNS1_3genE2ELNS1_11target_archE906ELNS1_3gpuE6ELNS1_3repE0EEENS1_30default_config_static_selectorELNS0_4arch9wavefront6targetE0EEEvS13_, .Lfunc_end1876-_ZN7rocprim17ROCPRIM_400000_NS6detail17trampoline_kernelINS0_13select_configILj256ELj13ELNS0_17block_load_methodE3ELS4_3ELS4_3ELNS0_20block_scan_algorithmE0ELj4294967295EEENS1_25partition_config_selectorILNS1_17partition_subalgoE4EjNS0_10empty_typeEbEEZZNS1_14partition_implILS8_4ELb0ES6_15HIP_vector_typeIjLj2EENS0_17counting_iteratorIjlEEPS9_SG_NS0_5tupleIJPjSI_NS0_16reverse_iteratorISI_EEEEENSH_IJSG_SG_SG_EEES9_SI_JZNS1_25segmented_radix_sort_implINS0_14default_configELb1EPK12hip_bfloat16PSP_PKlPlN2at6native12_GLOBAL__N_18offset_tEEE10hipError_tPvRmT1_PNSt15iterator_traitsIS13_E10value_typeET2_T3_PNS14_IS19_E10value_typeET4_jRbjT5_S1F_jjP12ihipStream_tbEUljE_ZNSN_ISO_Lb1ESR_SS_SU_SV_SZ_EES10_S11_S12_S13_S17_S18_S19_S1C_S1D_jS1E_jS1F_S1F_jjS1H_bEUljE0_EEES10_S11_S12_S19_S1D_S1F_T6_T7_T9_mT8_S1H_bDpT10_ENKUlT_T0_E_clISt17integral_constantIbLb0EES1V_EEDaS1Q_S1R_EUlS1Q_E_NS1_11comp_targetILNS1_3genE2ELNS1_11target_archE906ELNS1_3gpuE6ELNS1_3repE0EEENS1_30default_config_static_selectorELNS0_4arch9wavefront6targetE0EEEvS13_
                                        ; -- End function
	.set _ZN7rocprim17ROCPRIM_400000_NS6detail17trampoline_kernelINS0_13select_configILj256ELj13ELNS0_17block_load_methodE3ELS4_3ELS4_3ELNS0_20block_scan_algorithmE0ELj4294967295EEENS1_25partition_config_selectorILNS1_17partition_subalgoE4EjNS0_10empty_typeEbEEZZNS1_14partition_implILS8_4ELb0ES6_15HIP_vector_typeIjLj2EENS0_17counting_iteratorIjlEEPS9_SG_NS0_5tupleIJPjSI_NS0_16reverse_iteratorISI_EEEEENSH_IJSG_SG_SG_EEES9_SI_JZNS1_25segmented_radix_sort_implINS0_14default_configELb1EPK12hip_bfloat16PSP_PKlPlN2at6native12_GLOBAL__N_18offset_tEEE10hipError_tPvRmT1_PNSt15iterator_traitsIS13_E10value_typeET2_T3_PNS14_IS19_E10value_typeET4_jRbjT5_S1F_jjP12ihipStream_tbEUljE_ZNSN_ISO_Lb1ESR_SS_SU_SV_SZ_EES10_S11_S12_S13_S17_S18_S19_S1C_S1D_jS1E_jS1F_S1F_jjS1H_bEUljE0_EEES10_S11_S12_S19_S1D_S1F_T6_T7_T9_mT8_S1H_bDpT10_ENKUlT_T0_E_clISt17integral_constantIbLb0EES1V_EEDaS1Q_S1R_EUlS1Q_E_NS1_11comp_targetILNS1_3genE2ELNS1_11target_archE906ELNS1_3gpuE6ELNS1_3repE0EEENS1_30default_config_static_selectorELNS0_4arch9wavefront6targetE0EEEvS13_.num_vgpr, 0
	.set _ZN7rocprim17ROCPRIM_400000_NS6detail17trampoline_kernelINS0_13select_configILj256ELj13ELNS0_17block_load_methodE3ELS4_3ELS4_3ELNS0_20block_scan_algorithmE0ELj4294967295EEENS1_25partition_config_selectorILNS1_17partition_subalgoE4EjNS0_10empty_typeEbEEZZNS1_14partition_implILS8_4ELb0ES6_15HIP_vector_typeIjLj2EENS0_17counting_iteratorIjlEEPS9_SG_NS0_5tupleIJPjSI_NS0_16reverse_iteratorISI_EEEEENSH_IJSG_SG_SG_EEES9_SI_JZNS1_25segmented_radix_sort_implINS0_14default_configELb1EPK12hip_bfloat16PSP_PKlPlN2at6native12_GLOBAL__N_18offset_tEEE10hipError_tPvRmT1_PNSt15iterator_traitsIS13_E10value_typeET2_T3_PNS14_IS19_E10value_typeET4_jRbjT5_S1F_jjP12ihipStream_tbEUljE_ZNSN_ISO_Lb1ESR_SS_SU_SV_SZ_EES10_S11_S12_S13_S17_S18_S19_S1C_S1D_jS1E_jS1F_S1F_jjS1H_bEUljE0_EEES10_S11_S12_S19_S1D_S1F_T6_T7_T9_mT8_S1H_bDpT10_ENKUlT_T0_E_clISt17integral_constantIbLb0EES1V_EEDaS1Q_S1R_EUlS1Q_E_NS1_11comp_targetILNS1_3genE2ELNS1_11target_archE906ELNS1_3gpuE6ELNS1_3repE0EEENS1_30default_config_static_selectorELNS0_4arch9wavefront6targetE0EEEvS13_.num_agpr, 0
	.set _ZN7rocprim17ROCPRIM_400000_NS6detail17trampoline_kernelINS0_13select_configILj256ELj13ELNS0_17block_load_methodE3ELS4_3ELS4_3ELNS0_20block_scan_algorithmE0ELj4294967295EEENS1_25partition_config_selectorILNS1_17partition_subalgoE4EjNS0_10empty_typeEbEEZZNS1_14partition_implILS8_4ELb0ES6_15HIP_vector_typeIjLj2EENS0_17counting_iteratorIjlEEPS9_SG_NS0_5tupleIJPjSI_NS0_16reverse_iteratorISI_EEEEENSH_IJSG_SG_SG_EEES9_SI_JZNS1_25segmented_radix_sort_implINS0_14default_configELb1EPK12hip_bfloat16PSP_PKlPlN2at6native12_GLOBAL__N_18offset_tEEE10hipError_tPvRmT1_PNSt15iterator_traitsIS13_E10value_typeET2_T3_PNS14_IS19_E10value_typeET4_jRbjT5_S1F_jjP12ihipStream_tbEUljE_ZNSN_ISO_Lb1ESR_SS_SU_SV_SZ_EES10_S11_S12_S13_S17_S18_S19_S1C_S1D_jS1E_jS1F_S1F_jjS1H_bEUljE0_EEES10_S11_S12_S19_S1D_S1F_T6_T7_T9_mT8_S1H_bDpT10_ENKUlT_T0_E_clISt17integral_constantIbLb0EES1V_EEDaS1Q_S1R_EUlS1Q_E_NS1_11comp_targetILNS1_3genE2ELNS1_11target_archE906ELNS1_3gpuE6ELNS1_3repE0EEENS1_30default_config_static_selectorELNS0_4arch9wavefront6targetE0EEEvS13_.numbered_sgpr, 0
	.set _ZN7rocprim17ROCPRIM_400000_NS6detail17trampoline_kernelINS0_13select_configILj256ELj13ELNS0_17block_load_methodE3ELS4_3ELS4_3ELNS0_20block_scan_algorithmE0ELj4294967295EEENS1_25partition_config_selectorILNS1_17partition_subalgoE4EjNS0_10empty_typeEbEEZZNS1_14partition_implILS8_4ELb0ES6_15HIP_vector_typeIjLj2EENS0_17counting_iteratorIjlEEPS9_SG_NS0_5tupleIJPjSI_NS0_16reverse_iteratorISI_EEEEENSH_IJSG_SG_SG_EEES9_SI_JZNS1_25segmented_radix_sort_implINS0_14default_configELb1EPK12hip_bfloat16PSP_PKlPlN2at6native12_GLOBAL__N_18offset_tEEE10hipError_tPvRmT1_PNSt15iterator_traitsIS13_E10value_typeET2_T3_PNS14_IS19_E10value_typeET4_jRbjT5_S1F_jjP12ihipStream_tbEUljE_ZNSN_ISO_Lb1ESR_SS_SU_SV_SZ_EES10_S11_S12_S13_S17_S18_S19_S1C_S1D_jS1E_jS1F_S1F_jjS1H_bEUljE0_EEES10_S11_S12_S19_S1D_S1F_T6_T7_T9_mT8_S1H_bDpT10_ENKUlT_T0_E_clISt17integral_constantIbLb0EES1V_EEDaS1Q_S1R_EUlS1Q_E_NS1_11comp_targetILNS1_3genE2ELNS1_11target_archE906ELNS1_3gpuE6ELNS1_3repE0EEENS1_30default_config_static_selectorELNS0_4arch9wavefront6targetE0EEEvS13_.num_named_barrier, 0
	.set _ZN7rocprim17ROCPRIM_400000_NS6detail17trampoline_kernelINS0_13select_configILj256ELj13ELNS0_17block_load_methodE3ELS4_3ELS4_3ELNS0_20block_scan_algorithmE0ELj4294967295EEENS1_25partition_config_selectorILNS1_17partition_subalgoE4EjNS0_10empty_typeEbEEZZNS1_14partition_implILS8_4ELb0ES6_15HIP_vector_typeIjLj2EENS0_17counting_iteratorIjlEEPS9_SG_NS0_5tupleIJPjSI_NS0_16reverse_iteratorISI_EEEEENSH_IJSG_SG_SG_EEES9_SI_JZNS1_25segmented_radix_sort_implINS0_14default_configELb1EPK12hip_bfloat16PSP_PKlPlN2at6native12_GLOBAL__N_18offset_tEEE10hipError_tPvRmT1_PNSt15iterator_traitsIS13_E10value_typeET2_T3_PNS14_IS19_E10value_typeET4_jRbjT5_S1F_jjP12ihipStream_tbEUljE_ZNSN_ISO_Lb1ESR_SS_SU_SV_SZ_EES10_S11_S12_S13_S17_S18_S19_S1C_S1D_jS1E_jS1F_S1F_jjS1H_bEUljE0_EEES10_S11_S12_S19_S1D_S1F_T6_T7_T9_mT8_S1H_bDpT10_ENKUlT_T0_E_clISt17integral_constantIbLb0EES1V_EEDaS1Q_S1R_EUlS1Q_E_NS1_11comp_targetILNS1_3genE2ELNS1_11target_archE906ELNS1_3gpuE6ELNS1_3repE0EEENS1_30default_config_static_selectorELNS0_4arch9wavefront6targetE0EEEvS13_.private_seg_size, 0
	.set _ZN7rocprim17ROCPRIM_400000_NS6detail17trampoline_kernelINS0_13select_configILj256ELj13ELNS0_17block_load_methodE3ELS4_3ELS4_3ELNS0_20block_scan_algorithmE0ELj4294967295EEENS1_25partition_config_selectorILNS1_17partition_subalgoE4EjNS0_10empty_typeEbEEZZNS1_14partition_implILS8_4ELb0ES6_15HIP_vector_typeIjLj2EENS0_17counting_iteratorIjlEEPS9_SG_NS0_5tupleIJPjSI_NS0_16reverse_iteratorISI_EEEEENSH_IJSG_SG_SG_EEES9_SI_JZNS1_25segmented_radix_sort_implINS0_14default_configELb1EPK12hip_bfloat16PSP_PKlPlN2at6native12_GLOBAL__N_18offset_tEEE10hipError_tPvRmT1_PNSt15iterator_traitsIS13_E10value_typeET2_T3_PNS14_IS19_E10value_typeET4_jRbjT5_S1F_jjP12ihipStream_tbEUljE_ZNSN_ISO_Lb1ESR_SS_SU_SV_SZ_EES10_S11_S12_S13_S17_S18_S19_S1C_S1D_jS1E_jS1F_S1F_jjS1H_bEUljE0_EEES10_S11_S12_S19_S1D_S1F_T6_T7_T9_mT8_S1H_bDpT10_ENKUlT_T0_E_clISt17integral_constantIbLb0EES1V_EEDaS1Q_S1R_EUlS1Q_E_NS1_11comp_targetILNS1_3genE2ELNS1_11target_archE906ELNS1_3gpuE6ELNS1_3repE0EEENS1_30default_config_static_selectorELNS0_4arch9wavefront6targetE0EEEvS13_.uses_vcc, 0
	.set _ZN7rocprim17ROCPRIM_400000_NS6detail17trampoline_kernelINS0_13select_configILj256ELj13ELNS0_17block_load_methodE3ELS4_3ELS4_3ELNS0_20block_scan_algorithmE0ELj4294967295EEENS1_25partition_config_selectorILNS1_17partition_subalgoE4EjNS0_10empty_typeEbEEZZNS1_14partition_implILS8_4ELb0ES6_15HIP_vector_typeIjLj2EENS0_17counting_iteratorIjlEEPS9_SG_NS0_5tupleIJPjSI_NS0_16reverse_iteratorISI_EEEEENSH_IJSG_SG_SG_EEES9_SI_JZNS1_25segmented_radix_sort_implINS0_14default_configELb1EPK12hip_bfloat16PSP_PKlPlN2at6native12_GLOBAL__N_18offset_tEEE10hipError_tPvRmT1_PNSt15iterator_traitsIS13_E10value_typeET2_T3_PNS14_IS19_E10value_typeET4_jRbjT5_S1F_jjP12ihipStream_tbEUljE_ZNSN_ISO_Lb1ESR_SS_SU_SV_SZ_EES10_S11_S12_S13_S17_S18_S19_S1C_S1D_jS1E_jS1F_S1F_jjS1H_bEUljE0_EEES10_S11_S12_S19_S1D_S1F_T6_T7_T9_mT8_S1H_bDpT10_ENKUlT_T0_E_clISt17integral_constantIbLb0EES1V_EEDaS1Q_S1R_EUlS1Q_E_NS1_11comp_targetILNS1_3genE2ELNS1_11target_archE906ELNS1_3gpuE6ELNS1_3repE0EEENS1_30default_config_static_selectorELNS0_4arch9wavefront6targetE0EEEvS13_.uses_flat_scratch, 0
	.set _ZN7rocprim17ROCPRIM_400000_NS6detail17trampoline_kernelINS0_13select_configILj256ELj13ELNS0_17block_load_methodE3ELS4_3ELS4_3ELNS0_20block_scan_algorithmE0ELj4294967295EEENS1_25partition_config_selectorILNS1_17partition_subalgoE4EjNS0_10empty_typeEbEEZZNS1_14partition_implILS8_4ELb0ES6_15HIP_vector_typeIjLj2EENS0_17counting_iteratorIjlEEPS9_SG_NS0_5tupleIJPjSI_NS0_16reverse_iteratorISI_EEEEENSH_IJSG_SG_SG_EEES9_SI_JZNS1_25segmented_radix_sort_implINS0_14default_configELb1EPK12hip_bfloat16PSP_PKlPlN2at6native12_GLOBAL__N_18offset_tEEE10hipError_tPvRmT1_PNSt15iterator_traitsIS13_E10value_typeET2_T3_PNS14_IS19_E10value_typeET4_jRbjT5_S1F_jjP12ihipStream_tbEUljE_ZNSN_ISO_Lb1ESR_SS_SU_SV_SZ_EES10_S11_S12_S13_S17_S18_S19_S1C_S1D_jS1E_jS1F_S1F_jjS1H_bEUljE0_EEES10_S11_S12_S19_S1D_S1F_T6_T7_T9_mT8_S1H_bDpT10_ENKUlT_T0_E_clISt17integral_constantIbLb0EES1V_EEDaS1Q_S1R_EUlS1Q_E_NS1_11comp_targetILNS1_3genE2ELNS1_11target_archE906ELNS1_3gpuE6ELNS1_3repE0EEENS1_30default_config_static_selectorELNS0_4arch9wavefront6targetE0EEEvS13_.has_dyn_sized_stack, 0
	.set _ZN7rocprim17ROCPRIM_400000_NS6detail17trampoline_kernelINS0_13select_configILj256ELj13ELNS0_17block_load_methodE3ELS4_3ELS4_3ELNS0_20block_scan_algorithmE0ELj4294967295EEENS1_25partition_config_selectorILNS1_17partition_subalgoE4EjNS0_10empty_typeEbEEZZNS1_14partition_implILS8_4ELb0ES6_15HIP_vector_typeIjLj2EENS0_17counting_iteratorIjlEEPS9_SG_NS0_5tupleIJPjSI_NS0_16reverse_iteratorISI_EEEEENSH_IJSG_SG_SG_EEES9_SI_JZNS1_25segmented_radix_sort_implINS0_14default_configELb1EPK12hip_bfloat16PSP_PKlPlN2at6native12_GLOBAL__N_18offset_tEEE10hipError_tPvRmT1_PNSt15iterator_traitsIS13_E10value_typeET2_T3_PNS14_IS19_E10value_typeET4_jRbjT5_S1F_jjP12ihipStream_tbEUljE_ZNSN_ISO_Lb1ESR_SS_SU_SV_SZ_EES10_S11_S12_S13_S17_S18_S19_S1C_S1D_jS1E_jS1F_S1F_jjS1H_bEUljE0_EEES10_S11_S12_S19_S1D_S1F_T6_T7_T9_mT8_S1H_bDpT10_ENKUlT_T0_E_clISt17integral_constantIbLb0EES1V_EEDaS1Q_S1R_EUlS1Q_E_NS1_11comp_targetILNS1_3genE2ELNS1_11target_archE906ELNS1_3gpuE6ELNS1_3repE0EEENS1_30default_config_static_selectorELNS0_4arch9wavefront6targetE0EEEvS13_.has_recursion, 0
	.set _ZN7rocprim17ROCPRIM_400000_NS6detail17trampoline_kernelINS0_13select_configILj256ELj13ELNS0_17block_load_methodE3ELS4_3ELS4_3ELNS0_20block_scan_algorithmE0ELj4294967295EEENS1_25partition_config_selectorILNS1_17partition_subalgoE4EjNS0_10empty_typeEbEEZZNS1_14partition_implILS8_4ELb0ES6_15HIP_vector_typeIjLj2EENS0_17counting_iteratorIjlEEPS9_SG_NS0_5tupleIJPjSI_NS0_16reverse_iteratorISI_EEEEENSH_IJSG_SG_SG_EEES9_SI_JZNS1_25segmented_radix_sort_implINS0_14default_configELb1EPK12hip_bfloat16PSP_PKlPlN2at6native12_GLOBAL__N_18offset_tEEE10hipError_tPvRmT1_PNSt15iterator_traitsIS13_E10value_typeET2_T3_PNS14_IS19_E10value_typeET4_jRbjT5_S1F_jjP12ihipStream_tbEUljE_ZNSN_ISO_Lb1ESR_SS_SU_SV_SZ_EES10_S11_S12_S13_S17_S18_S19_S1C_S1D_jS1E_jS1F_S1F_jjS1H_bEUljE0_EEES10_S11_S12_S19_S1D_S1F_T6_T7_T9_mT8_S1H_bDpT10_ENKUlT_T0_E_clISt17integral_constantIbLb0EES1V_EEDaS1Q_S1R_EUlS1Q_E_NS1_11comp_targetILNS1_3genE2ELNS1_11target_archE906ELNS1_3gpuE6ELNS1_3repE0EEENS1_30default_config_static_selectorELNS0_4arch9wavefront6targetE0EEEvS13_.has_indirect_call, 0
	.section	.AMDGPU.csdata,"",@progbits
; Kernel info:
; codeLenInByte = 0
; TotalNumSgprs: 0
; NumVgprs: 0
; ScratchSize: 0
; MemoryBound: 0
; FloatMode: 240
; IeeeMode: 1
; LDSByteSize: 0 bytes/workgroup (compile time only)
; SGPRBlocks: 0
; VGPRBlocks: 0
; NumSGPRsForWavesPerEU: 1
; NumVGPRsForWavesPerEU: 1
; NamedBarCnt: 0
; Occupancy: 16
; WaveLimiterHint : 0
; COMPUTE_PGM_RSRC2:SCRATCH_EN: 0
; COMPUTE_PGM_RSRC2:USER_SGPR: 2
; COMPUTE_PGM_RSRC2:TRAP_HANDLER: 0
; COMPUTE_PGM_RSRC2:TGID_X_EN: 1
; COMPUTE_PGM_RSRC2:TGID_Y_EN: 0
; COMPUTE_PGM_RSRC2:TGID_Z_EN: 0
; COMPUTE_PGM_RSRC2:TIDIG_COMP_CNT: 0
	.section	.text._ZN7rocprim17ROCPRIM_400000_NS6detail17trampoline_kernelINS0_13select_configILj256ELj13ELNS0_17block_load_methodE3ELS4_3ELS4_3ELNS0_20block_scan_algorithmE0ELj4294967295EEENS1_25partition_config_selectorILNS1_17partition_subalgoE4EjNS0_10empty_typeEbEEZZNS1_14partition_implILS8_4ELb0ES6_15HIP_vector_typeIjLj2EENS0_17counting_iteratorIjlEEPS9_SG_NS0_5tupleIJPjSI_NS0_16reverse_iteratorISI_EEEEENSH_IJSG_SG_SG_EEES9_SI_JZNS1_25segmented_radix_sort_implINS0_14default_configELb1EPK12hip_bfloat16PSP_PKlPlN2at6native12_GLOBAL__N_18offset_tEEE10hipError_tPvRmT1_PNSt15iterator_traitsIS13_E10value_typeET2_T3_PNS14_IS19_E10value_typeET4_jRbjT5_S1F_jjP12ihipStream_tbEUljE_ZNSN_ISO_Lb1ESR_SS_SU_SV_SZ_EES10_S11_S12_S13_S17_S18_S19_S1C_S1D_jS1E_jS1F_S1F_jjS1H_bEUljE0_EEES10_S11_S12_S19_S1D_S1F_T6_T7_T9_mT8_S1H_bDpT10_ENKUlT_T0_E_clISt17integral_constantIbLb0EES1V_EEDaS1Q_S1R_EUlS1Q_E_NS1_11comp_targetILNS1_3genE10ELNS1_11target_archE1200ELNS1_3gpuE4ELNS1_3repE0EEENS1_30default_config_static_selectorELNS0_4arch9wavefront6targetE0EEEvS13_,"axG",@progbits,_ZN7rocprim17ROCPRIM_400000_NS6detail17trampoline_kernelINS0_13select_configILj256ELj13ELNS0_17block_load_methodE3ELS4_3ELS4_3ELNS0_20block_scan_algorithmE0ELj4294967295EEENS1_25partition_config_selectorILNS1_17partition_subalgoE4EjNS0_10empty_typeEbEEZZNS1_14partition_implILS8_4ELb0ES6_15HIP_vector_typeIjLj2EENS0_17counting_iteratorIjlEEPS9_SG_NS0_5tupleIJPjSI_NS0_16reverse_iteratorISI_EEEEENSH_IJSG_SG_SG_EEES9_SI_JZNS1_25segmented_radix_sort_implINS0_14default_configELb1EPK12hip_bfloat16PSP_PKlPlN2at6native12_GLOBAL__N_18offset_tEEE10hipError_tPvRmT1_PNSt15iterator_traitsIS13_E10value_typeET2_T3_PNS14_IS19_E10value_typeET4_jRbjT5_S1F_jjP12ihipStream_tbEUljE_ZNSN_ISO_Lb1ESR_SS_SU_SV_SZ_EES10_S11_S12_S13_S17_S18_S19_S1C_S1D_jS1E_jS1F_S1F_jjS1H_bEUljE0_EEES10_S11_S12_S19_S1D_S1F_T6_T7_T9_mT8_S1H_bDpT10_ENKUlT_T0_E_clISt17integral_constantIbLb0EES1V_EEDaS1Q_S1R_EUlS1Q_E_NS1_11comp_targetILNS1_3genE10ELNS1_11target_archE1200ELNS1_3gpuE4ELNS1_3repE0EEENS1_30default_config_static_selectorELNS0_4arch9wavefront6targetE0EEEvS13_,comdat
	.globl	_ZN7rocprim17ROCPRIM_400000_NS6detail17trampoline_kernelINS0_13select_configILj256ELj13ELNS0_17block_load_methodE3ELS4_3ELS4_3ELNS0_20block_scan_algorithmE0ELj4294967295EEENS1_25partition_config_selectorILNS1_17partition_subalgoE4EjNS0_10empty_typeEbEEZZNS1_14partition_implILS8_4ELb0ES6_15HIP_vector_typeIjLj2EENS0_17counting_iteratorIjlEEPS9_SG_NS0_5tupleIJPjSI_NS0_16reverse_iteratorISI_EEEEENSH_IJSG_SG_SG_EEES9_SI_JZNS1_25segmented_radix_sort_implINS0_14default_configELb1EPK12hip_bfloat16PSP_PKlPlN2at6native12_GLOBAL__N_18offset_tEEE10hipError_tPvRmT1_PNSt15iterator_traitsIS13_E10value_typeET2_T3_PNS14_IS19_E10value_typeET4_jRbjT5_S1F_jjP12ihipStream_tbEUljE_ZNSN_ISO_Lb1ESR_SS_SU_SV_SZ_EES10_S11_S12_S13_S17_S18_S19_S1C_S1D_jS1E_jS1F_S1F_jjS1H_bEUljE0_EEES10_S11_S12_S19_S1D_S1F_T6_T7_T9_mT8_S1H_bDpT10_ENKUlT_T0_E_clISt17integral_constantIbLb0EES1V_EEDaS1Q_S1R_EUlS1Q_E_NS1_11comp_targetILNS1_3genE10ELNS1_11target_archE1200ELNS1_3gpuE4ELNS1_3repE0EEENS1_30default_config_static_selectorELNS0_4arch9wavefront6targetE0EEEvS13_ ; -- Begin function _ZN7rocprim17ROCPRIM_400000_NS6detail17trampoline_kernelINS0_13select_configILj256ELj13ELNS0_17block_load_methodE3ELS4_3ELS4_3ELNS0_20block_scan_algorithmE0ELj4294967295EEENS1_25partition_config_selectorILNS1_17partition_subalgoE4EjNS0_10empty_typeEbEEZZNS1_14partition_implILS8_4ELb0ES6_15HIP_vector_typeIjLj2EENS0_17counting_iteratorIjlEEPS9_SG_NS0_5tupleIJPjSI_NS0_16reverse_iteratorISI_EEEEENSH_IJSG_SG_SG_EEES9_SI_JZNS1_25segmented_radix_sort_implINS0_14default_configELb1EPK12hip_bfloat16PSP_PKlPlN2at6native12_GLOBAL__N_18offset_tEEE10hipError_tPvRmT1_PNSt15iterator_traitsIS13_E10value_typeET2_T3_PNS14_IS19_E10value_typeET4_jRbjT5_S1F_jjP12ihipStream_tbEUljE_ZNSN_ISO_Lb1ESR_SS_SU_SV_SZ_EES10_S11_S12_S13_S17_S18_S19_S1C_S1D_jS1E_jS1F_S1F_jjS1H_bEUljE0_EEES10_S11_S12_S19_S1D_S1F_T6_T7_T9_mT8_S1H_bDpT10_ENKUlT_T0_E_clISt17integral_constantIbLb0EES1V_EEDaS1Q_S1R_EUlS1Q_E_NS1_11comp_targetILNS1_3genE10ELNS1_11target_archE1200ELNS1_3gpuE4ELNS1_3repE0EEENS1_30default_config_static_selectorELNS0_4arch9wavefront6targetE0EEEvS13_
	.p2align	8
	.type	_ZN7rocprim17ROCPRIM_400000_NS6detail17trampoline_kernelINS0_13select_configILj256ELj13ELNS0_17block_load_methodE3ELS4_3ELS4_3ELNS0_20block_scan_algorithmE0ELj4294967295EEENS1_25partition_config_selectorILNS1_17partition_subalgoE4EjNS0_10empty_typeEbEEZZNS1_14partition_implILS8_4ELb0ES6_15HIP_vector_typeIjLj2EENS0_17counting_iteratorIjlEEPS9_SG_NS0_5tupleIJPjSI_NS0_16reverse_iteratorISI_EEEEENSH_IJSG_SG_SG_EEES9_SI_JZNS1_25segmented_radix_sort_implINS0_14default_configELb1EPK12hip_bfloat16PSP_PKlPlN2at6native12_GLOBAL__N_18offset_tEEE10hipError_tPvRmT1_PNSt15iterator_traitsIS13_E10value_typeET2_T3_PNS14_IS19_E10value_typeET4_jRbjT5_S1F_jjP12ihipStream_tbEUljE_ZNSN_ISO_Lb1ESR_SS_SU_SV_SZ_EES10_S11_S12_S13_S17_S18_S19_S1C_S1D_jS1E_jS1F_S1F_jjS1H_bEUljE0_EEES10_S11_S12_S19_S1D_S1F_T6_T7_T9_mT8_S1H_bDpT10_ENKUlT_T0_E_clISt17integral_constantIbLb0EES1V_EEDaS1Q_S1R_EUlS1Q_E_NS1_11comp_targetILNS1_3genE10ELNS1_11target_archE1200ELNS1_3gpuE4ELNS1_3repE0EEENS1_30default_config_static_selectorELNS0_4arch9wavefront6targetE0EEEvS13_,@function
_ZN7rocprim17ROCPRIM_400000_NS6detail17trampoline_kernelINS0_13select_configILj256ELj13ELNS0_17block_load_methodE3ELS4_3ELS4_3ELNS0_20block_scan_algorithmE0ELj4294967295EEENS1_25partition_config_selectorILNS1_17partition_subalgoE4EjNS0_10empty_typeEbEEZZNS1_14partition_implILS8_4ELb0ES6_15HIP_vector_typeIjLj2EENS0_17counting_iteratorIjlEEPS9_SG_NS0_5tupleIJPjSI_NS0_16reverse_iteratorISI_EEEEENSH_IJSG_SG_SG_EEES9_SI_JZNS1_25segmented_radix_sort_implINS0_14default_configELb1EPK12hip_bfloat16PSP_PKlPlN2at6native12_GLOBAL__N_18offset_tEEE10hipError_tPvRmT1_PNSt15iterator_traitsIS13_E10value_typeET2_T3_PNS14_IS19_E10value_typeET4_jRbjT5_S1F_jjP12ihipStream_tbEUljE_ZNSN_ISO_Lb1ESR_SS_SU_SV_SZ_EES10_S11_S12_S13_S17_S18_S19_S1C_S1D_jS1E_jS1F_S1F_jjS1H_bEUljE0_EEES10_S11_S12_S19_S1D_S1F_T6_T7_T9_mT8_S1H_bDpT10_ENKUlT_T0_E_clISt17integral_constantIbLb0EES1V_EEDaS1Q_S1R_EUlS1Q_E_NS1_11comp_targetILNS1_3genE10ELNS1_11target_archE1200ELNS1_3gpuE4ELNS1_3repE0EEENS1_30default_config_static_selectorELNS0_4arch9wavefront6targetE0EEEvS13_: ; @_ZN7rocprim17ROCPRIM_400000_NS6detail17trampoline_kernelINS0_13select_configILj256ELj13ELNS0_17block_load_methodE3ELS4_3ELS4_3ELNS0_20block_scan_algorithmE0ELj4294967295EEENS1_25partition_config_selectorILNS1_17partition_subalgoE4EjNS0_10empty_typeEbEEZZNS1_14partition_implILS8_4ELb0ES6_15HIP_vector_typeIjLj2EENS0_17counting_iteratorIjlEEPS9_SG_NS0_5tupleIJPjSI_NS0_16reverse_iteratorISI_EEEEENSH_IJSG_SG_SG_EEES9_SI_JZNS1_25segmented_radix_sort_implINS0_14default_configELb1EPK12hip_bfloat16PSP_PKlPlN2at6native12_GLOBAL__N_18offset_tEEE10hipError_tPvRmT1_PNSt15iterator_traitsIS13_E10value_typeET2_T3_PNS14_IS19_E10value_typeET4_jRbjT5_S1F_jjP12ihipStream_tbEUljE_ZNSN_ISO_Lb1ESR_SS_SU_SV_SZ_EES10_S11_S12_S13_S17_S18_S19_S1C_S1D_jS1E_jS1F_S1F_jjS1H_bEUljE0_EEES10_S11_S12_S19_S1D_S1F_T6_T7_T9_mT8_S1H_bDpT10_ENKUlT_T0_E_clISt17integral_constantIbLb0EES1V_EEDaS1Q_S1R_EUlS1Q_E_NS1_11comp_targetILNS1_3genE10ELNS1_11target_archE1200ELNS1_3gpuE4ELNS1_3repE0EEENS1_30default_config_static_selectorELNS0_4arch9wavefront6targetE0EEEvS13_
; %bb.0:
	.section	.rodata,"a",@progbits
	.p2align	6, 0x0
	.amdhsa_kernel _ZN7rocprim17ROCPRIM_400000_NS6detail17trampoline_kernelINS0_13select_configILj256ELj13ELNS0_17block_load_methodE3ELS4_3ELS4_3ELNS0_20block_scan_algorithmE0ELj4294967295EEENS1_25partition_config_selectorILNS1_17partition_subalgoE4EjNS0_10empty_typeEbEEZZNS1_14partition_implILS8_4ELb0ES6_15HIP_vector_typeIjLj2EENS0_17counting_iteratorIjlEEPS9_SG_NS0_5tupleIJPjSI_NS0_16reverse_iteratorISI_EEEEENSH_IJSG_SG_SG_EEES9_SI_JZNS1_25segmented_radix_sort_implINS0_14default_configELb1EPK12hip_bfloat16PSP_PKlPlN2at6native12_GLOBAL__N_18offset_tEEE10hipError_tPvRmT1_PNSt15iterator_traitsIS13_E10value_typeET2_T3_PNS14_IS19_E10value_typeET4_jRbjT5_S1F_jjP12ihipStream_tbEUljE_ZNSN_ISO_Lb1ESR_SS_SU_SV_SZ_EES10_S11_S12_S13_S17_S18_S19_S1C_S1D_jS1E_jS1F_S1F_jjS1H_bEUljE0_EEES10_S11_S12_S19_S1D_S1F_T6_T7_T9_mT8_S1H_bDpT10_ENKUlT_T0_E_clISt17integral_constantIbLb0EES1V_EEDaS1Q_S1R_EUlS1Q_E_NS1_11comp_targetILNS1_3genE10ELNS1_11target_archE1200ELNS1_3gpuE4ELNS1_3repE0EEENS1_30default_config_static_selectorELNS0_4arch9wavefront6targetE0EEEvS13_
		.amdhsa_group_segment_fixed_size 0
		.amdhsa_private_segment_fixed_size 0
		.amdhsa_kernarg_size 176
		.amdhsa_user_sgpr_count 2
		.amdhsa_user_sgpr_dispatch_ptr 0
		.amdhsa_user_sgpr_queue_ptr 0
		.amdhsa_user_sgpr_kernarg_segment_ptr 1
		.amdhsa_user_sgpr_dispatch_id 0
		.amdhsa_user_sgpr_kernarg_preload_length 0
		.amdhsa_user_sgpr_kernarg_preload_offset 0
		.amdhsa_user_sgpr_private_segment_size 0
		.amdhsa_wavefront_size32 1
		.amdhsa_uses_dynamic_stack 0
		.amdhsa_enable_private_segment 0
		.amdhsa_system_sgpr_workgroup_id_x 1
		.amdhsa_system_sgpr_workgroup_id_y 0
		.amdhsa_system_sgpr_workgroup_id_z 0
		.amdhsa_system_sgpr_workgroup_info 0
		.amdhsa_system_vgpr_workitem_id 0
		.amdhsa_next_free_vgpr 1
		.amdhsa_next_free_sgpr 1
		.amdhsa_named_barrier_count 0
		.amdhsa_reserve_vcc 0
		.amdhsa_float_round_mode_32 0
		.amdhsa_float_round_mode_16_64 0
		.amdhsa_float_denorm_mode_32 3
		.amdhsa_float_denorm_mode_16_64 3
		.amdhsa_fp16_overflow 0
		.amdhsa_memory_ordered 1
		.amdhsa_forward_progress 1
		.amdhsa_inst_pref_size 0
		.amdhsa_round_robin_scheduling 0
		.amdhsa_exception_fp_ieee_invalid_op 0
		.amdhsa_exception_fp_denorm_src 0
		.amdhsa_exception_fp_ieee_div_zero 0
		.amdhsa_exception_fp_ieee_overflow 0
		.amdhsa_exception_fp_ieee_underflow 0
		.amdhsa_exception_fp_ieee_inexact 0
		.amdhsa_exception_int_div_zero 0
	.end_amdhsa_kernel
	.section	.text._ZN7rocprim17ROCPRIM_400000_NS6detail17trampoline_kernelINS0_13select_configILj256ELj13ELNS0_17block_load_methodE3ELS4_3ELS4_3ELNS0_20block_scan_algorithmE0ELj4294967295EEENS1_25partition_config_selectorILNS1_17partition_subalgoE4EjNS0_10empty_typeEbEEZZNS1_14partition_implILS8_4ELb0ES6_15HIP_vector_typeIjLj2EENS0_17counting_iteratorIjlEEPS9_SG_NS0_5tupleIJPjSI_NS0_16reverse_iteratorISI_EEEEENSH_IJSG_SG_SG_EEES9_SI_JZNS1_25segmented_radix_sort_implINS0_14default_configELb1EPK12hip_bfloat16PSP_PKlPlN2at6native12_GLOBAL__N_18offset_tEEE10hipError_tPvRmT1_PNSt15iterator_traitsIS13_E10value_typeET2_T3_PNS14_IS19_E10value_typeET4_jRbjT5_S1F_jjP12ihipStream_tbEUljE_ZNSN_ISO_Lb1ESR_SS_SU_SV_SZ_EES10_S11_S12_S13_S17_S18_S19_S1C_S1D_jS1E_jS1F_S1F_jjS1H_bEUljE0_EEES10_S11_S12_S19_S1D_S1F_T6_T7_T9_mT8_S1H_bDpT10_ENKUlT_T0_E_clISt17integral_constantIbLb0EES1V_EEDaS1Q_S1R_EUlS1Q_E_NS1_11comp_targetILNS1_3genE10ELNS1_11target_archE1200ELNS1_3gpuE4ELNS1_3repE0EEENS1_30default_config_static_selectorELNS0_4arch9wavefront6targetE0EEEvS13_,"axG",@progbits,_ZN7rocprim17ROCPRIM_400000_NS6detail17trampoline_kernelINS0_13select_configILj256ELj13ELNS0_17block_load_methodE3ELS4_3ELS4_3ELNS0_20block_scan_algorithmE0ELj4294967295EEENS1_25partition_config_selectorILNS1_17partition_subalgoE4EjNS0_10empty_typeEbEEZZNS1_14partition_implILS8_4ELb0ES6_15HIP_vector_typeIjLj2EENS0_17counting_iteratorIjlEEPS9_SG_NS0_5tupleIJPjSI_NS0_16reverse_iteratorISI_EEEEENSH_IJSG_SG_SG_EEES9_SI_JZNS1_25segmented_radix_sort_implINS0_14default_configELb1EPK12hip_bfloat16PSP_PKlPlN2at6native12_GLOBAL__N_18offset_tEEE10hipError_tPvRmT1_PNSt15iterator_traitsIS13_E10value_typeET2_T3_PNS14_IS19_E10value_typeET4_jRbjT5_S1F_jjP12ihipStream_tbEUljE_ZNSN_ISO_Lb1ESR_SS_SU_SV_SZ_EES10_S11_S12_S13_S17_S18_S19_S1C_S1D_jS1E_jS1F_S1F_jjS1H_bEUljE0_EEES10_S11_S12_S19_S1D_S1F_T6_T7_T9_mT8_S1H_bDpT10_ENKUlT_T0_E_clISt17integral_constantIbLb0EES1V_EEDaS1Q_S1R_EUlS1Q_E_NS1_11comp_targetILNS1_3genE10ELNS1_11target_archE1200ELNS1_3gpuE4ELNS1_3repE0EEENS1_30default_config_static_selectorELNS0_4arch9wavefront6targetE0EEEvS13_,comdat
.Lfunc_end1877:
	.size	_ZN7rocprim17ROCPRIM_400000_NS6detail17trampoline_kernelINS0_13select_configILj256ELj13ELNS0_17block_load_methodE3ELS4_3ELS4_3ELNS0_20block_scan_algorithmE0ELj4294967295EEENS1_25partition_config_selectorILNS1_17partition_subalgoE4EjNS0_10empty_typeEbEEZZNS1_14partition_implILS8_4ELb0ES6_15HIP_vector_typeIjLj2EENS0_17counting_iteratorIjlEEPS9_SG_NS0_5tupleIJPjSI_NS0_16reverse_iteratorISI_EEEEENSH_IJSG_SG_SG_EEES9_SI_JZNS1_25segmented_radix_sort_implINS0_14default_configELb1EPK12hip_bfloat16PSP_PKlPlN2at6native12_GLOBAL__N_18offset_tEEE10hipError_tPvRmT1_PNSt15iterator_traitsIS13_E10value_typeET2_T3_PNS14_IS19_E10value_typeET4_jRbjT5_S1F_jjP12ihipStream_tbEUljE_ZNSN_ISO_Lb1ESR_SS_SU_SV_SZ_EES10_S11_S12_S13_S17_S18_S19_S1C_S1D_jS1E_jS1F_S1F_jjS1H_bEUljE0_EEES10_S11_S12_S19_S1D_S1F_T6_T7_T9_mT8_S1H_bDpT10_ENKUlT_T0_E_clISt17integral_constantIbLb0EES1V_EEDaS1Q_S1R_EUlS1Q_E_NS1_11comp_targetILNS1_3genE10ELNS1_11target_archE1200ELNS1_3gpuE4ELNS1_3repE0EEENS1_30default_config_static_selectorELNS0_4arch9wavefront6targetE0EEEvS13_, .Lfunc_end1877-_ZN7rocprim17ROCPRIM_400000_NS6detail17trampoline_kernelINS0_13select_configILj256ELj13ELNS0_17block_load_methodE3ELS4_3ELS4_3ELNS0_20block_scan_algorithmE0ELj4294967295EEENS1_25partition_config_selectorILNS1_17partition_subalgoE4EjNS0_10empty_typeEbEEZZNS1_14partition_implILS8_4ELb0ES6_15HIP_vector_typeIjLj2EENS0_17counting_iteratorIjlEEPS9_SG_NS0_5tupleIJPjSI_NS0_16reverse_iteratorISI_EEEEENSH_IJSG_SG_SG_EEES9_SI_JZNS1_25segmented_radix_sort_implINS0_14default_configELb1EPK12hip_bfloat16PSP_PKlPlN2at6native12_GLOBAL__N_18offset_tEEE10hipError_tPvRmT1_PNSt15iterator_traitsIS13_E10value_typeET2_T3_PNS14_IS19_E10value_typeET4_jRbjT5_S1F_jjP12ihipStream_tbEUljE_ZNSN_ISO_Lb1ESR_SS_SU_SV_SZ_EES10_S11_S12_S13_S17_S18_S19_S1C_S1D_jS1E_jS1F_S1F_jjS1H_bEUljE0_EEES10_S11_S12_S19_S1D_S1F_T6_T7_T9_mT8_S1H_bDpT10_ENKUlT_T0_E_clISt17integral_constantIbLb0EES1V_EEDaS1Q_S1R_EUlS1Q_E_NS1_11comp_targetILNS1_3genE10ELNS1_11target_archE1200ELNS1_3gpuE4ELNS1_3repE0EEENS1_30default_config_static_selectorELNS0_4arch9wavefront6targetE0EEEvS13_
                                        ; -- End function
	.set _ZN7rocprim17ROCPRIM_400000_NS6detail17trampoline_kernelINS0_13select_configILj256ELj13ELNS0_17block_load_methodE3ELS4_3ELS4_3ELNS0_20block_scan_algorithmE0ELj4294967295EEENS1_25partition_config_selectorILNS1_17partition_subalgoE4EjNS0_10empty_typeEbEEZZNS1_14partition_implILS8_4ELb0ES6_15HIP_vector_typeIjLj2EENS0_17counting_iteratorIjlEEPS9_SG_NS0_5tupleIJPjSI_NS0_16reverse_iteratorISI_EEEEENSH_IJSG_SG_SG_EEES9_SI_JZNS1_25segmented_radix_sort_implINS0_14default_configELb1EPK12hip_bfloat16PSP_PKlPlN2at6native12_GLOBAL__N_18offset_tEEE10hipError_tPvRmT1_PNSt15iterator_traitsIS13_E10value_typeET2_T3_PNS14_IS19_E10value_typeET4_jRbjT5_S1F_jjP12ihipStream_tbEUljE_ZNSN_ISO_Lb1ESR_SS_SU_SV_SZ_EES10_S11_S12_S13_S17_S18_S19_S1C_S1D_jS1E_jS1F_S1F_jjS1H_bEUljE0_EEES10_S11_S12_S19_S1D_S1F_T6_T7_T9_mT8_S1H_bDpT10_ENKUlT_T0_E_clISt17integral_constantIbLb0EES1V_EEDaS1Q_S1R_EUlS1Q_E_NS1_11comp_targetILNS1_3genE10ELNS1_11target_archE1200ELNS1_3gpuE4ELNS1_3repE0EEENS1_30default_config_static_selectorELNS0_4arch9wavefront6targetE0EEEvS13_.num_vgpr, 0
	.set _ZN7rocprim17ROCPRIM_400000_NS6detail17trampoline_kernelINS0_13select_configILj256ELj13ELNS0_17block_load_methodE3ELS4_3ELS4_3ELNS0_20block_scan_algorithmE0ELj4294967295EEENS1_25partition_config_selectorILNS1_17partition_subalgoE4EjNS0_10empty_typeEbEEZZNS1_14partition_implILS8_4ELb0ES6_15HIP_vector_typeIjLj2EENS0_17counting_iteratorIjlEEPS9_SG_NS0_5tupleIJPjSI_NS0_16reverse_iteratorISI_EEEEENSH_IJSG_SG_SG_EEES9_SI_JZNS1_25segmented_radix_sort_implINS0_14default_configELb1EPK12hip_bfloat16PSP_PKlPlN2at6native12_GLOBAL__N_18offset_tEEE10hipError_tPvRmT1_PNSt15iterator_traitsIS13_E10value_typeET2_T3_PNS14_IS19_E10value_typeET4_jRbjT5_S1F_jjP12ihipStream_tbEUljE_ZNSN_ISO_Lb1ESR_SS_SU_SV_SZ_EES10_S11_S12_S13_S17_S18_S19_S1C_S1D_jS1E_jS1F_S1F_jjS1H_bEUljE0_EEES10_S11_S12_S19_S1D_S1F_T6_T7_T9_mT8_S1H_bDpT10_ENKUlT_T0_E_clISt17integral_constantIbLb0EES1V_EEDaS1Q_S1R_EUlS1Q_E_NS1_11comp_targetILNS1_3genE10ELNS1_11target_archE1200ELNS1_3gpuE4ELNS1_3repE0EEENS1_30default_config_static_selectorELNS0_4arch9wavefront6targetE0EEEvS13_.num_agpr, 0
	.set _ZN7rocprim17ROCPRIM_400000_NS6detail17trampoline_kernelINS0_13select_configILj256ELj13ELNS0_17block_load_methodE3ELS4_3ELS4_3ELNS0_20block_scan_algorithmE0ELj4294967295EEENS1_25partition_config_selectorILNS1_17partition_subalgoE4EjNS0_10empty_typeEbEEZZNS1_14partition_implILS8_4ELb0ES6_15HIP_vector_typeIjLj2EENS0_17counting_iteratorIjlEEPS9_SG_NS0_5tupleIJPjSI_NS0_16reverse_iteratorISI_EEEEENSH_IJSG_SG_SG_EEES9_SI_JZNS1_25segmented_radix_sort_implINS0_14default_configELb1EPK12hip_bfloat16PSP_PKlPlN2at6native12_GLOBAL__N_18offset_tEEE10hipError_tPvRmT1_PNSt15iterator_traitsIS13_E10value_typeET2_T3_PNS14_IS19_E10value_typeET4_jRbjT5_S1F_jjP12ihipStream_tbEUljE_ZNSN_ISO_Lb1ESR_SS_SU_SV_SZ_EES10_S11_S12_S13_S17_S18_S19_S1C_S1D_jS1E_jS1F_S1F_jjS1H_bEUljE0_EEES10_S11_S12_S19_S1D_S1F_T6_T7_T9_mT8_S1H_bDpT10_ENKUlT_T0_E_clISt17integral_constantIbLb0EES1V_EEDaS1Q_S1R_EUlS1Q_E_NS1_11comp_targetILNS1_3genE10ELNS1_11target_archE1200ELNS1_3gpuE4ELNS1_3repE0EEENS1_30default_config_static_selectorELNS0_4arch9wavefront6targetE0EEEvS13_.numbered_sgpr, 0
	.set _ZN7rocprim17ROCPRIM_400000_NS6detail17trampoline_kernelINS0_13select_configILj256ELj13ELNS0_17block_load_methodE3ELS4_3ELS4_3ELNS0_20block_scan_algorithmE0ELj4294967295EEENS1_25partition_config_selectorILNS1_17partition_subalgoE4EjNS0_10empty_typeEbEEZZNS1_14partition_implILS8_4ELb0ES6_15HIP_vector_typeIjLj2EENS0_17counting_iteratorIjlEEPS9_SG_NS0_5tupleIJPjSI_NS0_16reverse_iteratorISI_EEEEENSH_IJSG_SG_SG_EEES9_SI_JZNS1_25segmented_radix_sort_implINS0_14default_configELb1EPK12hip_bfloat16PSP_PKlPlN2at6native12_GLOBAL__N_18offset_tEEE10hipError_tPvRmT1_PNSt15iterator_traitsIS13_E10value_typeET2_T3_PNS14_IS19_E10value_typeET4_jRbjT5_S1F_jjP12ihipStream_tbEUljE_ZNSN_ISO_Lb1ESR_SS_SU_SV_SZ_EES10_S11_S12_S13_S17_S18_S19_S1C_S1D_jS1E_jS1F_S1F_jjS1H_bEUljE0_EEES10_S11_S12_S19_S1D_S1F_T6_T7_T9_mT8_S1H_bDpT10_ENKUlT_T0_E_clISt17integral_constantIbLb0EES1V_EEDaS1Q_S1R_EUlS1Q_E_NS1_11comp_targetILNS1_3genE10ELNS1_11target_archE1200ELNS1_3gpuE4ELNS1_3repE0EEENS1_30default_config_static_selectorELNS0_4arch9wavefront6targetE0EEEvS13_.num_named_barrier, 0
	.set _ZN7rocprim17ROCPRIM_400000_NS6detail17trampoline_kernelINS0_13select_configILj256ELj13ELNS0_17block_load_methodE3ELS4_3ELS4_3ELNS0_20block_scan_algorithmE0ELj4294967295EEENS1_25partition_config_selectorILNS1_17partition_subalgoE4EjNS0_10empty_typeEbEEZZNS1_14partition_implILS8_4ELb0ES6_15HIP_vector_typeIjLj2EENS0_17counting_iteratorIjlEEPS9_SG_NS0_5tupleIJPjSI_NS0_16reverse_iteratorISI_EEEEENSH_IJSG_SG_SG_EEES9_SI_JZNS1_25segmented_radix_sort_implINS0_14default_configELb1EPK12hip_bfloat16PSP_PKlPlN2at6native12_GLOBAL__N_18offset_tEEE10hipError_tPvRmT1_PNSt15iterator_traitsIS13_E10value_typeET2_T3_PNS14_IS19_E10value_typeET4_jRbjT5_S1F_jjP12ihipStream_tbEUljE_ZNSN_ISO_Lb1ESR_SS_SU_SV_SZ_EES10_S11_S12_S13_S17_S18_S19_S1C_S1D_jS1E_jS1F_S1F_jjS1H_bEUljE0_EEES10_S11_S12_S19_S1D_S1F_T6_T7_T9_mT8_S1H_bDpT10_ENKUlT_T0_E_clISt17integral_constantIbLb0EES1V_EEDaS1Q_S1R_EUlS1Q_E_NS1_11comp_targetILNS1_3genE10ELNS1_11target_archE1200ELNS1_3gpuE4ELNS1_3repE0EEENS1_30default_config_static_selectorELNS0_4arch9wavefront6targetE0EEEvS13_.private_seg_size, 0
	.set _ZN7rocprim17ROCPRIM_400000_NS6detail17trampoline_kernelINS0_13select_configILj256ELj13ELNS0_17block_load_methodE3ELS4_3ELS4_3ELNS0_20block_scan_algorithmE0ELj4294967295EEENS1_25partition_config_selectorILNS1_17partition_subalgoE4EjNS0_10empty_typeEbEEZZNS1_14partition_implILS8_4ELb0ES6_15HIP_vector_typeIjLj2EENS0_17counting_iteratorIjlEEPS9_SG_NS0_5tupleIJPjSI_NS0_16reverse_iteratorISI_EEEEENSH_IJSG_SG_SG_EEES9_SI_JZNS1_25segmented_radix_sort_implINS0_14default_configELb1EPK12hip_bfloat16PSP_PKlPlN2at6native12_GLOBAL__N_18offset_tEEE10hipError_tPvRmT1_PNSt15iterator_traitsIS13_E10value_typeET2_T3_PNS14_IS19_E10value_typeET4_jRbjT5_S1F_jjP12ihipStream_tbEUljE_ZNSN_ISO_Lb1ESR_SS_SU_SV_SZ_EES10_S11_S12_S13_S17_S18_S19_S1C_S1D_jS1E_jS1F_S1F_jjS1H_bEUljE0_EEES10_S11_S12_S19_S1D_S1F_T6_T7_T9_mT8_S1H_bDpT10_ENKUlT_T0_E_clISt17integral_constantIbLb0EES1V_EEDaS1Q_S1R_EUlS1Q_E_NS1_11comp_targetILNS1_3genE10ELNS1_11target_archE1200ELNS1_3gpuE4ELNS1_3repE0EEENS1_30default_config_static_selectorELNS0_4arch9wavefront6targetE0EEEvS13_.uses_vcc, 0
	.set _ZN7rocprim17ROCPRIM_400000_NS6detail17trampoline_kernelINS0_13select_configILj256ELj13ELNS0_17block_load_methodE3ELS4_3ELS4_3ELNS0_20block_scan_algorithmE0ELj4294967295EEENS1_25partition_config_selectorILNS1_17partition_subalgoE4EjNS0_10empty_typeEbEEZZNS1_14partition_implILS8_4ELb0ES6_15HIP_vector_typeIjLj2EENS0_17counting_iteratorIjlEEPS9_SG_NS0_5tupleIJPjSI_NS0_16reverse_iteratorISI_EEEEENSH_IJSG_SG_SG_EEES9_SI_JZNS1_25segmented_radix_sort_implINS0_14default_configELb1EPK12hip_bfloat16PSP_PKlPlN2at6native12_GLOBAL__N_18offset_tEEE10hipError_tPvRmT1_PNSt15iterator_traitsIS13_E10value_typeET2_T3_PNS14_IS19_E10value_typeET4_jRbjT5_S1F_jjP12ihipStream_tbEUljE_ZNSN_ISO_Lb1ESR_SS_SU_SV_SZ_EES10_S11_S12_S13_S17_S18_S19_S1C_S1D_jS1E_jS1F_S1F_jjS1H_bEUljE0_EEES10_S11_S12_S19_S1D_S1F_T6_T7_T9_mT8_S1H_bDpT10_ENKUlT_T0_E_clISt17integral_constantIbLb0EES1V_EEDaS1Q_S1R_EUlS1Q_E_NS1_11comp_targetILNS1_3genE10ELNS1_11target_archE1200ELNS1_3gpuE4ELNS1_3repE0EEENS1_30default_config_static_selectorELNS0_4arch9wavefront6targetE0EEEvS13_.uses_flat_scratch, 0
	.set _ZN7rocprim17ROCPRIM_400000_NS6detail17trampoline_kernelINS0_13select_configILj256ELj13ELNS0_17block_load_methodE3ELS4_3ELS4_3ELNS0_20block_scan_algorithmE0ELj4294967295EEENS1_25partition_config_selectorILNS1_17partition_subalgoE4EjNS0_10empty_typeEbEEZZNS1_14partition_implILS8_4ELb0ES6_15HIP_vector_typeIjLj2EENS0_17counting_iteratorIjlEEPS9_SG_NS0_5tupleIJPjSI_NS0_16reverse_iteratorISI_EEEEENSH_IJSG_SG_SG_EEES9_SI_JZNS1_25segmented_radix_sort_implINS0_14default_configELb1EPK12hip_bfloat16PSP_PKlPlN2at6native12_GLOBAL__N_18offset_tEEE10hipError_tPvRmT1_PNSt15iterator_traitsIS13_E10value_typeET2_T3_PNS14_IS19_E10value_typeET4_jRbjT5_S1F_jjP12ihipStream_tbEUljE_ZNSN_ISO_Lb1ESR_SS_SU_SV_SZ_EES10_S11_S12_S13_S17_S18_S19_S1C_S1D_jS1E_jS1F_S1F_jjS1H_bEUljE0_EEES10_S11_S12_S19_S1D_S1F_T6_T7_T9_mT8_S1H_bDpT10_ENKUlT_T0_E_clISt17integral_constantIbLb0EES1V_EEDaS1Q_S1R_EUlS1Q_E_NS1_11comp_targetILNS1_3genE10ELNS1_11target_archE1200ELNS1_3gpuE4ELNS1_3repE0EEENS1_30default_config_static_selectorELNS0_4arch9wavefront6targetE0EEEvS13_.has_dyn_sized_stack, 0
	.set _ZN7rocprim17ROCPRIM_400000_NS6detail17trampoline_kernelINS0_13select_configILj256ELj13ELNS0_17block_load_methodE3ELS4_3ELS4_3ELNS0_20block_scan_algorithmE0ELj4294967295EEENS1_25partition_config_selectorILNS1_17partition_subalgoE4EjNS0_10empty_typeEbEEZZNS1_14partition_implILS8_4ELb0ES6_15HIP_vector_typeIjLj2EENS0_17counting_iteratorIjlEEPS9_SG_NS0_5tupleIJPjSI_NS0_16reverse_iteratorISI_EEEEENSH_IJSG_SG_SG_EEES9_SI_JZNS1_25segmented_radix_sort_implINS0_14default_configELb1EPK12hip_bfloat16PSP_PKlPlN2at6native12_GLOBAL__N_18offset_tEEE10hipError_tPvRmT1_PNSt15iterator_traitsIS13_E10value_typeET2_T3_PNS14_IS19_E10value_typeET4_jRbjT5_S1F_jjP12ihipStream_tbEUljE_ZNSN_ISO_Lb1ESR_SS_SU_SV_SZ_EES10_S11_S12_S13_S17_S18_S19_S1C_S1D_jS1E_jS1F_S1F_jjS1H_bEUljE0_EEES10_S11_S12_S19_S1D_S1F_T6_T7_T9_mT8_S1H_bDpT10_ENKUlT_T0_E_clISt17integral_constantIbLb0EES1V_EEDaS1Q_S1R_EUlS1Q_E_NS1_11comp_targetILNS1_3genE10ELNS1_11target_archE1200ELNS1_3gpuE4ELNS1_3repE0EEENS1_30default_config_static_selectorELNS0_4arch9wavefront6targetE0EEEvS13_.has_recursion, 0
	.set _ZN7rocprim17ROCPRIM_400000_NS6detail17trampoline_kernelINS0_13select_configILj256ELj13ELNS0_17block_load_methodE3ELS4_3ELS4_3ELNS0_20block_scan_algorithmE0ELj4294967295EEENS1_25partition_config_selectorILNS1_17partition_subalgoE4EjNS0_10empty_typeEbEEZZNS1_14partition_implILS8_4ELb0ES6_15HIP_vector_typeIjLj2EENS0_17counting_iteratorIjlEEPS9_SG_NS0_5tupleIJPjSI_NS0_16reverse_iteratorISI_EEEEENSH_IJSG_SG_SG_EEES9_SI_JZNS1_25segmented_radix_sort_implINS0_14default_configELb1EPK12hip_bfloat16PSP_PKlPlN2at6native12_GLOBAL__N_18offset_tEEE10hipError_tPvRmT1_PNSt15iterator_traitsIS13_E10value_typeET2_T3_PNS14_IS19_E10value_typeET4_jRbjT5_S1F_jjP12ihipStream_tbEUljE_ZNSN_ISO_Lb1ESR_SS_SU_SV_SZ_EES10_S11_S12_S13_S17_S18_S19_S1C_S1D_jS1E_jS1F_S1F_jjS1H_bEUljE0_EEES10_S11_S12_S19_S1D_S1F_T6_T7_T9_mT8_S1H_bDpT10_ENKUlT_T0_E_clISt17integral_constantIbLb0EES1V_EEDaS1Q_S1R_EUlS1Q_E_NS1_11comp_targetILNS1_3genE10ELNS1_11target_archE1200ELNS1_3gpuE4ELNS1_3repE0EEENS1_30default_config_static_selectorELNS0_4arch9wavefront6targetE0EEEvS13_.has_indirect_call, 0
	.section	.AMDGPU.csdata,"",@progbits
; Kernel info:
; codeLenInByte = 0
; TotalNumSgprs: 0
; NumVgprs: 0
; ScratchSize: 0
; MemoryBound: 0
; FloatMode: 240
; IeeeMode: 1
; LDSByteSize: 0 bytes/workgroup (compile time only)
; SGPRBlocks: 0
; VGPRBlocks: 0
; NumSGPRsForWavesPerEU: 1
; NumVGPRsForWavesPerEU: 1
; NamedBarCnt: 0
; Occupancy: 16
; WaveLimiterHint : 0
; COMPUTE_PGM_RSRC2:SCRATCH_EN: 0
; COMPUTE_PGM_RSRC2:USER_SGPR: 2
; COMPUTE_PGM_RSRC2:TRAP_HANDLER: 0
; COMPUTE_PGM_RSRC2:TGID_X_EN: 1
; COMPUTE_PGM_RSRC2:TGID_Y_EN: 0
; COMPUTE_PGM_RSRC2:TGID_Z_EN: 0
; COMPUTE_PGM_RSRC2:TIDIG_COMP_CNT: 0
	.section	.text._ZN7rocprim17ROCPRIM_400000_NS6detail17trampoline_kernelINS0_13select_configILj256ELj13ELNS0_17block_load_methodE3ELS4_3ELS4_3ELNS0_20block_scan_algorithmE0ELj4294967295EEENS1_25partition_config_selectorILNS1_17partition_subalgoE4EjNS0_10empty_typeEbEEZZNS1_14partition_implILS8_4ELb0ES6_15HIP_vector_typeIjLj2EENS0_17counting_iteratorIjlEEPS9_SG_NS0_5tupleIJPjSI_NS0_16reverse_iteratorISI_EEEEENSH_IJSG_SG_SG_EEES9_SI_JZNS1_25segmented_radix_sort_implINS0_14default_configELb1EPK12hip_bfloat16PSP_PKlPlN2at6native12_GLOBAL__N_18offset_tEEE10hipError_tPvRmT1_PNSt15iterator_traitsIS13_E10value_typeET2_T3_PNS14_IS19_E10value_typeET4_jRbjT5_S1F_jjP12ihipStream_tbEUljE_ZNSN_ISO_Lb1ESR_SS_SU_SV_SZ_EES10_S11_S12_S13_S17_S18_S19_S1C_S1D_jS1E_jS1F_S1F_jjS1H_bEUljE0_EEES10_S11_S12_S19_S1D_S1F_T6_T7_T9_mT8_S1H_bDpT10_ENKUlT_T0_E_clISt17integral_constantIbLb0EES1V_EEDaS1Q_S1R_EUlS1Q_E_NS1_11comp_targetILNS1_3genE9ELNS1_11target_archE1100ELNS1_3gpuE3ELNS1_3repE0EEENS1_30default_config_static_selectorELNS0_4arch9wavefront6targetE0EEEvS13_,"axG",@progbits,_ZN7rocprim17ROCPRIM_400000_NS6detail17trampoline_kernelINS0_13select_configILj256ELj13ELNS0_17block_load_methodE3ELS4_3ELS4_3ELNS0_20block_scan_algorithmE0ELj4294967295EEENS1_25partition_config_selectorILNS1_17partition_subalgoE4EjNS0_10empty_typeEbEEZZNS1_14partition_implILS8_4ELb0ES6_15HIP_vector_typeIjLj2EENS0_17counting_iteratorIjlEEPS9_SG_NS0_5tupleIJPjSI_NS0_16reverse_iteratorISI_EEEEENSH_IJSG_SG_SG_EEES9_SI_JZNS1_25segmented_radix_sort_implINS0_14default_configELb1EPK12hip_bfloat16PSP_PKlPlN2at6native12_GLOBAL__N_18offset_tEEE10hipError_tPvRmT1_PNSt15iterator_traitsIS13_E10value_typeET2_T3_PNS14_IS19_E10value_typeET4_jRbjT5_S1F_jjP12ihipStream_tbEUljE_ZNSN_ISO_Lb1ESR_SS_SU_SV_SZ_EES10_S11_S12_S13_S17_S18_S19_S1C_S1D_jS1E_jS1F_S1F_jjS1H_bEUljE0_EEES10_S11_S12_S19_S1D_S1F_T6_T7_T9_mT8_S1H_bDpT10_ENKUlT_T0_E_clISt17integral_constantIbLb0EES1V_EEDaS1Q_S1R_EUlS1Q_E_NS1_11comp_targetILNS1_3genE9ELNS1_11target_archE1100ELNS1_3gpuE3ELNS1_3repE0EEENS1_30default_config_static_selectorELNS0_4arch9wavefront6targetE0EEEvS13_,comdat
	.globl	_ZN7rocprim17ROCPRIM_400000_NS6detail17trampoline_kernelINS0_13select_configILj256ELj13ELNS0_17block_load_methodE3ELS4_3ELS4_3ELNS0_20block_scan_algorithmE0ELj4294967295EEENS1_25partition_config_selectorILNS1_17partition_subalgoE4EjNS0_10empty_typeEbEEZZNS1_14partition_implILS8_4ELb0ES6_15HIP_vector_typeIjLj2EENS0_17counting_iteratorIjlEEPS9_SG_NS0_5tupleIJPjSI_NS0_16reverse_iteratorISI_EEEEENSH_IJSG_SG_SG_EEES9_SI_JZNS1_25segmented_radix_sort_implINS0_14default_configELb1EPK12hip_bfloat16PSP_PKlPlN2at6native12_GLOBAL__N_18offset_tEEE10hipError_tPvRmT1_PNSt15iterator_traitsIS13_E10value_typeET2_T3_PNS14_IS19_E10value_typeET4_jRbjT5_S1F_jjP12ihipStream_tbEUljE_ZNSN_ISO_Lb1ESR_SS_SU_SV_SZ_EES10_S11_S12_S13_S17_S18_S19_S1C_S1D_jS1E_jS1F_S1F_jjS1H_bEUljE0_EEES10_S11_S12_S19_S1D_S1F_T6_T7_T9_mT8_S1H_bDpT10_ENKUlT_T0_E_clISt17integral_constantIbLb0EES1V_EEDaS1Q_S1R_EUlS1Q_E_NS1_11comp_targetILNS1_3genE9ELNS1_11target_archE1100ELNS1_3gpuE3ELNS1_3repE0EEENS1_30default_config_static_selectorELNS0_4arch9wavefront6targetE0EEEvS13_ ; -- Begin function _ZN7rocprim17ROCPRIM_400000_NS6detail17trampoline_kernelINS0_13select_configILj256ELj13ELNS0_17block_load_methodE3ELS4_3ELS4_3ELNS0_20block_scan_algorithmE0ELj4294967295EEENS1_25partition_config_selectorILNS1_17partition_subalgoE4EjNS0_10empty_typeEbEEZZNS1_14partition_implILS8_4ELb0ES6_15HIP_vector_typeIjLj2EENS0_17counting_iteratorIjlEEPS9_SG_NS0_5tupleIJPjSI_NS0_16reverse_iteratorISI_EEEEENSH_IJSG_SG_SG_EEES9_SI_JZNS1_25segmented_radix_sort_implINS0_14default_configELb1EPK12hip_bfloat16PSP_PKlPlN2at6native12_GLOBAL__N_18offset_tEEE10hipError_tPvRmT1_PNSt15iterator_traitsIS13_E10value_typeET2_T3_PNS14_IS19_E10value_typeET4_jRbjT5_S1F_jjP12ihipStream_tbEUljE_ZNSN_ISO_Lb1ESR_SS_SU_SV_SZ_EES10_S11_S12_S13_S17_S18_S19_S1C_S1D_jS1E_jS1F_S1F_jjS1H_bEUljE0_EEES10_S11_S12_S19_S1D_S1F_T6_T7_T9_mT8_S1H_bDpT10_ENKUlT_T0_E_clISt17integral_constantIbLb0EES1V_EEDaS1Q_S1R_EUlS1Q_E_NS1_11comp_targetILNS1_3genE9ELNS1_11target_archE1100ELNS1_3gpuE3ELNS1_3repE0EEENS1_30default_config_static_selectorELNS0_4arch9wavefront6targetE0EEEvS13_
	.p2align	8
	.type	_ZN7rocprim17ROCPRIM_400000_NS6detail17trampoline_kernelINS0_13select_configILj256ELj13ELNS0_17block_load_methodE3ELS4_3ELS4_3ELNS0_20block_scan_algorithmE0ELj4294967295EEENS1_25partition_config_selectorILNS1_17partition_subalgoE4EjNS0_10empty_typeEbEEZZNS1_14partition_implILS8_4ELb0ES6_15HIP_vector_typeIjLj2EENS0_17counting_iteratorIjlEEPS9_SG_NS0_5tupleIJPjSI_NS0_16reverse_iteratorISI_EEEEENSH_IJSG_SG_SG_EEES9_SI_JZNS1_25segmented_radix_sort_implINS0_14default_configELb1EPK12hip_bfloat16PSP_PKlPlN2at6native12_GLOBAL__N_18offset_tEEE10hipError_tPvRmT1_PNSt15iterator_traitsIS13_E10value_typeET2_T3_PNS14_IS19_E10value_typeET4_jRbjT5_S1F_jjP12ihipStream_tbEUljE_ZNSN_ISO_Lb1ESR_SS_SU_SV_SZ_EES10_S11_S12_S13_S17_S18_S19_S1C_S1D_jS1E_jS1F_S1F_jjS1H_bEUljE0_EEES10_S11_S12_S19_S1D_S1F_T6_T7_T9_mT8_S1H_bDpT10_ENKUlT_T0_E_clISt17integral_constantIbLb0EES1V_EEDaS1Q_S1R_EUlS1Q_E_NS1_11comp_targetILNS1_3genE9ELNS1_11target_archE1100ELNS1_3gpuE3ELNS1_3repE0EEENS1_30default_config_static_selectorELNS0_4arch9wavefront6targetE0EEEvS13_,@function
_ZN7rocprim17ROCPRIM_400000_NS6detail17trampoline_kernelINS0_13select_configILj256ELj13ELNS0_17block_load_methodE3ELS4_3ELS4_3ELNS0_20block_scan_algorithmE0ELj4294967295EEENS1_25partition_config_selectorILNS1_17partition_subalgoE4EjNS0_10empty_typeEbEEZZNS1_14partition_implILS8_4ELb0ES6_15HIP_vector_typeIjLj2EENS0_17counting_iteratorIjlEEPS9_SG_NS0_5tupleIJPjSI_NS0_16reverse_iteratorISI_EEEEENSH_IJSG_SG_SG_EEES9_SI_JZNS1_25segmented_radix_sort_implINS0_14default_configELb1EPK12hip_bfloat16PSP_PKlPlN2at6native12_GLOBAL__N_18offset_tEEE10hipError_tPvRmT1_PNSt15iterator_traitsIS13_E10value_typeET2_T3_PNS14_IS19_E10value_typeET4_jRbjT5_S1F_jjP12ihipStream_tbEUljE_ZNSN_ISO_Lb1ESR_SS_SU_SV_SZ_EES10_S11_S12_S13_S17_S18_S19_S1C_S1D_jS1E_jS1F_S1F_jjS1H_bEUljE0_EEES10_S11_S12_S19_S1D_S1F_T6_T7_T9_mT8_S1H_bDpT10_ENKUlT_T0_E_clISt17integral_constantIbLb0EES1V_EEDaS1Q_S1R_EUlS1Q_E_NS1_11comp_targetILNS1_3genE9ELNS1_11target_archE1100ELNS1_3gpuE3ELNS1_3repE0EEENS1_30default_config_static_selectorELNS0_4arch9wavefront6targetE0EEEvS13_: ; @_ZN7rocprim17ROCPRIM_400000_NS6detail17trampoline_kernelINS0_13select_configILj256ELj13ELNS0_17block_load_methodE3ELS4_3ELS4_3ELNS0_20block_scan_algorithmE0ELj4294967295EEENS1_25partition_config_selectorILNS1_17partition_subalgoE4EjNS0_10empty_typeEbEEZZNS1_14partition_implILS8_4ELb0ES6_15HIP_vector_typeIjLj2EENS0_17counting_iteratorIjlEEPS9_SG_NS0_5tupleIJPjSI_NS0_16reverse_iteratorISI_EEEEENSH_IJSG_SG_SG_EEES9_SI_JZNS1_25segmented_radix_sort_implINS0_14default_configELb1EPK12hip_bfloat16PSP_PKlPlN2at6native12_GLOBAL__N_18offset_tEEE10hipError_tPvRmT1_PNSt15iterator_traitsIS13_E10value_typeET2_T3_PNS14_IS19_E10value_typeET4_jRbjT5_S1F_jjP12ihipStream_tbEUljE_ZNSN_ISO_Lb1ESR_SS_SU_SV_SZ_EES10_S11_S12_S13_S17_S18_S19_S1C_S1D_jS1E_jS1F_S1F_jjS1H_bEUljE0_EEES10_S11_S12_S19_S1D_S1F_T6_T7_T9_mT8_S1H_bDpT10_ENKUlT_T0_E_clISt17integral_constantIbLb0EES1V_EEDaS1Q_S1R_EUlS1Q_E_NS1_11comp_targetILNS1_3genE9ELNS1_11target_archE1100ELNS1_3gpuE3ELNS1_3repE0EEENS1_30default_config_static_selectorELNS0_4arch9wavefront6targetE0EEEvS13_
; %bb.0:
	.section	.rodata,"a",@progbits
	.p2align	6, 0x0
	.amdhsa_kernel _ZN7rocprim17ROCPRIM_400000_NS6detail17trampoline_kernelINS0_13select_configILj256ELj13ELNS0_17block_load_methodE3ELS4_3ELS4_3ELNS0_20block_scan_algorithmE0ELj4294967295EEENS1_25partition_config_selectorILNS1_17partition_subalgoE4EjNS0_10empty_typeEbEEZZNS1_14partition_implILS8_4ELb0ES6_15HIP_vector_typeIjLj2EENS0_17counting_iteratorIjlEEPS9_SG_NS0_5tupleIJPjSI_NS0_16reverse_iteratorISI_EEEEENSH_IJSG_SG_SG_EEES9_SI_JZNS1_25segmented_radix_sort_implINS0_14default_configELb1EPK12hip_bfloat16PSP_PKlPlN2at6native12_GLOBAL__N_18offset_tEEE10hipError_tPvRmT1_PNSt15iterator_traitsIS13_E10value_typeET2_T3_PNS14_IS19_E10value_typeET4_jRbjT5_S1F_jjP12ihipStream_tbEUljE_ZNSN_ISO_Lb1ESR_SS_SU_SV_SZ_EES10_S11_S12_S13_S17_S18_S19_S1C_S1D_jS1E_jS1F_S1F_jjS1H_bEUljE0_EEES10_S11_S12_S19_S1D_S1F_T6_T7_T9_mT8_S1H_bDpT10_ENKUlT_T0_E_clISt17integral_constantIbLb0EES1V_EEDaS1Q_S1R_EUlS1Q_E_NS1_11comp_targetILNS1_3genE9ELNS1_11target_archE1100ELNS1_3gpuE3ELNS1_3repE0EEENS1_30default_config_static_selectorELNS0_4arch9wavefront6targetE0EEEvS13_
		.amdhsa_group_segment_fixed_size 0
		.amdhsa_private_segment_fixed_size 0
		.amdhsa_kernarg_size 176
		.amdhsa_user_sgpr_count 2
		.amdhsa_user_sgpr_dispatch_ptr 0
		.amdhsa_user_sgpr_queue_ptr 0
		.amdhsa_user_sgpr_kernarg_segment_ptr 1
		.amdhsa_user_sgpr_dispatch_id 0
		.amdhsa_user_sgpr_kernarg_preload_length 0
		.amdhsa_user_sgpr_kernarg_preload_offset 0
		.amdhsa_user_sgpr_private_segment_size 0
		.amdhsa_wavefront_size32 1
		.amdhsa_uses_dynamic_stack 0
		.amdhsa_enable_private_segment 0
		.amdhsa_system_sgpr_workgroup_id_x 1
		.amdhsa_system_sgpr_workgroup_id_y 0
		.amdhsa_system_sgpr_workgroup_id_z 0
		.amdhsa_system_sgpr_workgroup_info 0
		.amdhsa_system_vgpr_workitem_id 0
		.amdhsa_next_free_vgpr 1
		.amdhsa_next_free_sgpr 1
		.amdhsa_named_barrier_count 0
		.amdhsa_reserve_vcc 0
		.amdhsa_float_round_mode_32 0
		.amdhsa_float_round_mode_16_64 0
		.amdhsa_float_denorm_mode_32 3
		.amdhsa_float_denorm_mode_16_64 3
		.amdhsa_fp16_overflow 0
		.amdhsa_memory_ordered 1
		.amdhsa_forward_progress 1
		.amdhsa_inst_pref_size 0
		.amdhsa_round_robin_scheduling 0
		.amdhsa_exception_fp_ieee_invalid_op 0
		.amdhsa_exception_fp_denorm_src 0
		.amdhsa_exception_fp_ieee_div_zero 0
		.amdhsa_exception_fp_ieee_overflow 0
		.amdhsa_exception_fp_ieee_underflow 0
		.amdhsa_exception_fp_ieee_inexact 0
		.amdhsa_exception_int_div_zero 0
	.end_amdhsa_kernel
	.section	.text._ZN7rocprim17ROCPRIM_400000_NS6detail17trampoline_kernelINS0_13select_configILj256ELj13ELNS0_17block_load_methodE3ELS4_3ELS4_3ELNS0_20block_scan_algorithmE0ELj4294967295EEENS1_25partition_config_selectorILNS1_17partition_subalgoE4EjNS0_10empty_typeEbEEZZNS1_14partition_implILS8_4ELb0ES6_15HIP_vector_typeIjLj2EENS0_17counting_iteratorIjlEEPS9_SG_NS0_5tupleIJPjSI_NS0_16reverse_iteratorISI_EEEEENSH_IJSG_SG_SG_EEES9_SI_JZNS1_25segmented_radix_sort_implINS0_14default_configELb1EPK12hip_bfloat16PSP_PKlPlN2at6native12_GLOBAL__N_18offset_tEEE10hipError_tPvRmT1_PNSt15iterator_traitsIS13_E10value_typeET2_T3_PNS14_IS19_E10value_typeET4_jRbjT5_S1F_jjP12ihipStream_tbEUljE_ZNSN_ISO_Lb1ESR_SS_SU_SV_SZ_EES10_S11_S12_S13_S17_S18_S19_S1C_S1D_jS1E_jS1F_S1F_jjS1H_bEUljE0_EEES10_S11_S12_S19_S1D_S1F_T6_T7_T9_mT8_S1H_bDpT10_ENKUlT_T0_E_clISt17integral_constantIbLb0EES1V_EEDaS1Q_S1R_EUlS1Q_E_NS1_11comp_targetILNS1_3genE9ELNS1_11target_archE1100ELNS1_3gpuE3ELNS1_3repE0EEENS1_30default_config_static_selectorELNS0_4arch9wavefront6targetE0EEEvS13_,"axG",@progbits,_ZN7rocprim17ROCPRIM_400000_NS6detail17trampoline_kernelINS0_13select_configILj256ELj13ELNS0_17block_load_methodE3ELS4_3ELS4_3ELNS0_20block_scan_algorithmE0ELj4294967295EEENS1_25partition_config_selectorILNS1_17partition_subalgoE4EjNS0_10empty_typeEbEEZZNS1_14partition_implILS8_4ELb0ES6_15HIP_vector_typeIjLj2EENS0_17counting_iteratorIjlEEPS9_SG_NS0_5tupleIJPjSI_NS0_16reverse_iteratorISI_EEEEENSH_IJSG_SG_SG_EEES9_SI_JZNS1_25segmented_radix_sort_implINS0_14default_configELb1EPK12hip_bfloat16PSP_PKlPlN2at6native12_GLOBAL__N_18offset_tEEE10hipError_tPvRmT1_PNSt15iterator_traitsIS13_E10value_typeET2_T3_PNS14_IS19_E10value_typeET4_jRbjT5_S1F_jjP12ihipStream_tbEUljE_ZNSN_ISO_Lb1ESR_SS_SU_SV_SZ_EES10_S11_S12_S13_S17_S18_S19_S1C_S1D_jS1E_jS1F_S1F_jjS1H_bEUljE0_EEES10_S11_S12_S19_S1D_S1F_T6_T7_T9_mT8_S1H_bDpT10_ENKUlT_T0_E_clISt17integral_constantIbLb0EES1V_EEDaS1Q_S1R_EUlS1Q_E_NS1_11comp_targetILNS1_3genE9ELNS1_11target_archE1100ELNS1_3gpuE3ELNS1_3repE0EEENS1_30default_config_static_selectorELNS0_4arch9wavefront6targetE0EEEvS13_,comdat
.Lfunc_end1878:
	.size	_ZN7rocprim17ROCPRIM_400000_NS6detail17trampoline_kernelINS0_13select_configILj256ELj13ELNS0_17block_load_methodE3ELS4_3ELS4_3ELNS0_20block_scan_algorithmE0ELj4294967295EEENS1_25partition_config_selectorILNS1_17partition_subalgoE4EjNS0_10empty_typeEbEEZZNS1_14partition_implILS8_4ELb0ES6_15HIP_vector_typeIjLj2EENS0_17counting_iteratorIjlEEPS9_SG_NS0_5tupleIJPjSI_NS0_16reverse_iteratorISI_EEEEENSH_IJSG_SG_SG_EEES9_SI_JZNS1_25segmented_radix_sort_implINS0_14default_configELb1EPK12hip_bfloat16PSP_PKlPlN2at6native12_GLOBAL__N_18offset_tEEE10hipError_tPvRmT1_PNSt15iterator_traitsIS13_E10value_typeET2_T3_PNS14_IS19_E10value_typeET4_jRbjT5_S1F_jjP12ihipStream_tbEUljE_ZNSN_ISO_Lb1ESR_SS_SU_SV_SZ_EES10_S11_S12_S13_S17_S18_S19_S1C_S1D_jS1E_jS1F_S1F_jjS1H_bEUljE0_EEES10_S11_S12_S19_S1D_S1F_T6_T7_T9_mT8_S1H_bDpT10_ENKUlT_T0_E_clISt17integral_constantIbLb0EES1V_EEDaS1Q_S1R_EUlS1Q_E_NS1_11comp_targetILNS1_3genE9ELNS1_11target_archE1100ELNS1_3gpuE3ELNS1_3repE0EEENS1_30default_config_static_selectorELNS0_4arch9wavefront6targetE0EEEvS13_, .Lfunc_end1878-_ZN7rocprim17ROCPRIM_400000_NS6detail17trampoline_kernelINS0_13select_configILj256ELj13ELNS0_17block_load_methodE3ELS4_3ELS4_3ELNS0_20block_scan_algorithmE0ELj4294967295EEENS1_25partition_config_selectorILNS1_17partition_subalgoE4EjNS0_10empty_typeEbEEZZNS1_14partition_implILS8_4ELb0ES6_15HIP_vector_typeIjLj2EENS0_17counting_iteratorIjlEEPS9_SG_NS0_5tupleIJPjSI_NS0_16reverse_iteratorISI_EEEEENSH_IJSG_SG_SG_EEES9_SI_JZNS1_25segmented_radix_sort_implINS0_14default_configELb1EPK12hip_bfloat16PSP_PKlPlN2at6native12_GLOBAL__N_18offset_tEEE10hipError_tPvRmT1_PNSt15iterator_traitsIS13_E10value_typeET2_T3_PNS14_IS19_E10value_typeET4_jRbjT5_S1F_jjP12ihipStream_tbEUljE_ZNSN_ISO_Lb1ESR_SS_SU_SV_SZ_EES10_S11_S12_S13_S17_S18_S19_S1C_S1D_jS1E_jS1F_S1F_jjS1H_bEUljE0_EEES10_S11_S12_S19_S1D_S1F_T6_T7_T9_mT8_S1H_bDpT10_ENKUlT_T0_E_clISt17integral_constantIbLb0EES1V_EEDaS1Q_S1R_EUlS1Q_E_NS1_11comp_targetILNS1_3genE9ELNS1_11target_archE1100ELNS1_3gpuE3ELNS1_3repE0EEENS1_30default_config_static_selectorELNS0_4arch9wavefront6targetE0EEEvS13_
                                        ; -- End function
	.set _ZN7rocprim17ROCPRIM_400000_NS6detail17trampoline_kernelINS0_13select_configILj256ELj13ELNS0_17block_load_methodE3ELS4_3ELS4_3ELNS0_20block_scan_algorithmE0ELj4294967295EEENS1_25partition_config_selectorILNS1_17partition_subalgoE4EjNS0_10empty_typeEbEEZZNS1_14partition_implILS8_4ELb0ES6_15HIP_vector_typeIjLj2EENS0_17counting_iteratorIjlEEPS9_SG_NS0_5tupleIJPjSI_NS0_16reverse_iteratorISI_EEEEENSH_IJSG_SG_SG_EEES9_SI_JZNS1_25segmented_radix_sort_implINS0_14default_configELb1EPK12hip_bfloat16PSP_PKlPlN2at6native12_GLOBAL__N_18offset_tEEE10hipError_tPvRmT1_PNSt15iterator_traitsIS13_E10value_typeET2_T3_PNS14_IS19_E10value_typeET4_jRbjT5_S1F_jjP12ihipStream_tbEUljE_ZNSN_ISO_Lb1ESR_SS_SU_SV_SZ_EES10_S11_S12_S13_S17_S18_S19_S1C_S1D_jS1E_jS1F_S1F_jjS1H_bEUljE0_EEES10_S11_S12_S19_S1D_S1F_T6_T7_T9_mT8_S1H_bDpT10_ENKUlT_T0_E_clISt17integral_constantIbLb0EES1V_EEDaS1Q_S1R_EUlS1Q_E_NS1_11comp_targetILNS1_3genE9ELNS1_11target_archE1100ELNS1_3gpuE3ELNS1_3repE0EEENS1_30default_config_static_selectorELNS0_4arch9wavefront6targetE0EEEvS13_.num_vgpr, 0
	.set _ZN7rocprim17ROCPRIM_400000_NS6detail17trampoline_kernelINS0_13select_configILj256ELj13ELNS0_17block_load_methodE3ELS4_3ELS4_3ELNS0_20block_scan_algorithmE0ELj4294967295EEENS1_25partition_config_selectorILNS1_17partition_subalgoE4EjNS0_10empty_typeEbEEZZNS1_14partition_implILS8_4ELb0ES6_15HIP_vector_typeIjLj2EENS0_17counting_iteratorIjlEEPS9_SG_NS0_5tupleIJPjSI_NS0_16reverse_iteratorISI_EEEEENSH_IJSG_SG_SG_EEES9_SI_JZNS1_25segmented_radix_sort_implINS0_14default_configELb1EPK12hip_bfloat16PSP_PKlPlN2at6native12_GLOBAL__N_18offset_tEEE10hipError_tPvRmT1_PNSt15iterator_traitsIS13_E10value_typeET2_T3_PNS14_IS19_E10value_typeET4_jRbjT5_S1F_jjP12ihipStream_tbEUljE_ZNSN_ISO_Lb1ESR_SS_SU_SV_SZ_EES10_S11_S12_S13_S17_S18_S19_S1C_S1D_jS1E_jS1F_S1F_jjS1H_bEUljE0_EEES10_S11_S12_S19_S1D_S1F_T6_T7_T9_mT8_S1H_bDpT10_ENKUlT_T0_E_clISt17integral_constantIbLb0EES1V_EEDaS1Q_S1R_EUlS1Q_E_NS1_11comp_targetILNS1_3genE9ELNS1_11target_archE1100ELNS1_3gpuE3ELNS1_3repE0EEENS1_30default_config_static_selectorELNS0_4arch9wavefront6targetE0EEEvS13_.num_agpr, 0
	.set _ZN7rocprim17ROCPRIM_400000_NS6detail17trampoline_kernelINS0_13select_configILj256ELj13ELNS0_17block_load_methodE3ELS4_3ELS4_3ELNS0_20block_scan_algorithmE0ELj4294967295EEENS1_25partition_config_selectorILNS1_17partition_subalgoE4EjNS0_10empty_typeEbEEZZNS1_14partition_implILS8_4ELb0ES6_15HIP_vector_typeIjLj2EENS0_17counting_iteratorIjlEEPS9_SG_NS0_5tupleIJPjSI_NS0_16reverse_iteratorISI_EEEEENSH_IJSG_SG_SG_EEES9_SI_JZNS1_25segmented_radix_sort_implINS0_14default_configELb1EPK12hip_bfloat16PSP_PKlPlN2at6native12_GLOBAL__N_18offset_tEEE10hipError_tPvRmT1_PNSt15iterator_traitsIS13_E10value_typeET2_T3_PNS14_IS19_E10value_typeET4_jRbjT5_S1F_jjP12ihipStream_tbEUljE_ZNSN_ISO_Lb1ESR_SS_SU_SV_SZ_EES10_S11_S12_S13_S17_S18_S19_S1C_S1D_jS1E_jS1F_S1F_jjS1H_bEUljE0_EEES10_S11_S12_S19_S1D_S1F_T6_T7_T9_mT8_S1H_bDpT10_ENKUlT_T0_E_clISt17integral_constantIbLb0EES1V_EEDaS1Q_S1R_EUlS1Q_E_NS1_11comp_targetILNS1_3genE9ELNS1_11target_archE1100ELNS1_3gpuE3ELNS1_3repE0EEENS1_30default_config_static_selectorELNS0_4arch9wavefront6targetE0EEEvS13_.numbered_sgpr, 0
	.set _ZN7rocprim17ROCPRIM_400000_NS6detail17trampoline_kernelINS0_13select_configILj256ELj13ELNS0_17block_load_methodE3ELS4_3ELS4_3ELNS0_20block_scan_algorithmE0ELj4294967295EEENS1_25partition_config_selectorILNS1_17partition_subalgoE4EjNS0_10empty_typeEbEEZZNS1_14partition_implILS8_4ELb0ES6_15HIP_vector_typeIjLj2EENS0_17counting_iteratorIjlEEPS9_SG_NS0_5tupleIJPjSI_NS0_16reverse_iteratorISI_EEEEENSH_IJSG_SG_SG_EEES9_SI_JZNS1_25segmented_radix_sort_implINS0_14default_configELb1EPK12hip_bfloat16PSP_PKlPlN2at6native12_GLOBAL__N_18offset_tEEE10hipError_tPvRmT1_PNSt15iterator_traitsIS13_E10value_typeET2_T3_PNS14_IS19_E10value_typeET4_jRbjT5_S1F_jjP12ihipStream_tbEUljE_ZNSN_ISO_Lb1ESR_SS_SU_SV_SZ_EES10_S11_S12_S13_S17_S18_S19_S1C_S1D_jS1E_jS1F_S1F_jjS1H_bEUljE0_EEES10_S11_S12_S19_S1D_S1F_T6_T7_T9_mT8_S1H_bDpT10_ENKUlT_T0_E_clISt17integral_constantIbLb0EES1V_EEDaS1Q_S1R_EUlS1Q_E_NS1_11comp_targetILNS1_3genE9ELNS1_11target_archE1100ELNS1_3gpuE3ELNS1_3repE0EEENS1_30default_config_static_selectorELNS0_4arch9wavefront6targetE0EEEvS13_.num_named_barrier, 0
	.set _ZN7rocprim17ROCPRIM_400000_NS6detail17trampoline_kernelINS0_13select_configILj256ELj13ELNS0_17block_load_methodE3ELS4_3ELS4_3ELNS0_20block_scan_algorithmE0ELj4294967295EEENS1_25partition_config_selectorILNS1_17partition_subalgoE4EjNS0_10empty_typeEbEEZZNS1_14partition_implILS8_4ELb0ES6_15HIP_vector_typeIjLj2EENS0_17counting_iteratorIjlEEPS9_SG_NS0_5tupleIJPjSI_NS0_16reverse_iteratorISI_EEEEENSH_IJSG_SG_SG_EEES9_SI_JZNS1_25segmented_radix_sort_implINS0_14default_configELb1EPK12hip_bfloat16PSP_PKlPlN2at6native12_GLOBAL__N_18offset_tEEE10hipError_tPvRmT1_PNSt15iterator_traitsIS13_E10value_typeET2_T3_PNS14_IS19_E10value_typeET4_jRbjT5_S1F_jjP12ihipStream_tbEUljE_ZNSN_ISO_Lb1ESR_SS_SU_SV_SZ_EES10_S11_S12_S13_S17_S18_S19_S1C_S1D_jS1E_jS1F_S1F_jjS1H_bEUljE0_EEES10_S11_S12_S19_S1D_S1F_T6_T7_T9_mT8_S1H_bDpT10_ENKUlT_T0_E_clISt17integral_constantIbLb0EES1V_EEDaS1Q_S1R_EUlS1Q_E_NS1_11comp_targetILNS1_3genE9ELNS1_11target_archE1100ELNS1_3gpuE3ELNS1_3repE0EEENS1_30default_config_static_selectorELNS0_4arch9wavefront6targetE0EEEvS13_.private_seg_size, 0
	.set _ZN7rocprim17ROCPRIM_400000_NS6detail17trampoline_kernelINS0_13select_configILj256ELj13ELNS0_17block_load_methodE3ELS4_3ELS4_3ELNS0_20block_scan_algorithmE0ELj4294967295EEENS1_25partition_config_selectorILNS1_17partition_subalgoE4EjNS0_10empty_typeEbEEZZNS1_14partition_implILS8_4ELb0ES6_15HIP_vector_typeIjLj2EENS0_17counting_iteratorIjlEEPS9_SG_NS0_5tupleIJPjSI_NS0_16reverse_iteratorISI_EEEEENSH_IJSG_SG_SG_EEES9_SI_JZNS1_25segmented_radix_sort_implINS0_14default_configELb1EPK12hip_bfloat16PSP_PKlPlN2at6native12_GLOBAL__N_18offset_tEEE10hipError_tPvRmT1_PNSt15iterator_traitsIS13_E10value_typeET2_T3_PNS14_IS19_E10value_typeET4_jRbjT5_S1F_jjP12ihipStream_tbEUljE_ZNSN_ISO_Lb1ESR_SS_SU_SV_SZ_EES10_S11_S12_S13_S17_S18_S19_S1C_S1D_jS1E_jS1F_S1F_jjS1H_bEUljE0_EEES10_S11_S12_S19_S1D_S1F_T6_T7_T9_mT8_S1H_bDpT10_ENKUlT_T0_E_clISt17integral_constantIbLb0EES1V_EEDaS1Q_S1R_EUlS1Q_E_NS1_11comp_targetILNS1_3genE9ELNS1_11target_archE1100ELNS1_3gpuE3ELNS1_3repE0EEENS1_30default_config_static_selectorELNS0_4arch9wavefront6targetE0EEEvS13_.uses_vcc, 0
	.set _ZN7rocprim17ROCPRIM_400000_NS6detail17trampoline_kernelINS0_13select_configILj256ELj13ELNS0_17block_load_methodE3ELS4_3ELS4_3ELNS0_20block_scan_algorithmE0ELj4294967295EEENS1_25partition_config_selectorILNS1_17partition_subalgoE4EjNS0_10empty_typeEbEEZZNS1_14partition_implILS8_4ELb0ES6_15HIP_vector_typeIjLj2EENS0_17counting_iteratorIjlEEPS9_SG_NS0_5tupleIJPjSI_NS0_16reverse_iteratorISI_EEEEENSH_IJSG_SG_SG_EEES9_SI_JZNS1_25segmented_radix_sort_implINS0_14default_configELb1EPK12hip_bfloat16PSP_PKlPlN2at6native12_GLOBAL__N_18offset_tEEE10hipError_tPvRmT1_PNSt15iterator_traitsIS13_E10value_typeET2_T3_PNS14_IS19_E10value_typeET4_jRbjT5_S1F_jjP12ihipStream_tbEUljE_ZNSN_ISO_Lb1ESR_SS_SU_SV_SZ_EES10_S11_S12_S13_S17_S18_S19_S1C_S1D_jS1E_jS1F_S1F_jjS1H_bEUljE0_EEES10_S11_S12_S19_S1D_S1F_T6_T7_T9_mT8_S1H_bDpT10_ENKUlT_T0_E_clISt17integral_constantIbLb0EES1V_EEDaS1Q_S1R_EUlS1Q_E_NS1_11comp_targetILNS1_3genE9ELNS1_11target_archE1100ELNS1_3gpuE3ELNS1_3repE0EEENS1_30default_config_static_selectorELNS0_4arch9wavefront6targetE0EEEvS13_.uses_flat_scratch, 0
	.set _ZN7rocprim17ROCPRIM_400000_NS6detail17trampoline_kernelINS0_13select_configILj256ELj13ELNS0_17block_load_methodE3ELS4_3ELS4_3ELNS0_20block_scan_algorithmE0ELj4294967295EEENS1_25partition_config_selectorILNS1_17partition_subalgoE4EjNS0_10empty_typeEbEEZZNS1_14partition_implILS8_4ELb0ES6_15HIP_vector_typeIjLj2EENS0_17counting_iteratorIjlEEPS9_SG_NS0_5tupleIJPjSI_NS0_16reverse_iteratorISI_EEEEENSH_IJSG_SG_SG_EEES9_SI_JZNS1_25segmented_radix_sort_implINS0_14default_configELb1EPK12hip_bfloat16PSP_PKlPlN2at6native12_GLOBAL__N_18offset_tEEE10hipError_tPvRmT1_PNSt15iterator_traitsIS13_E10value_typeET2_T3_PNS14_IS19_E10value_typeET4_jRbjT5_S1F_jjP12ihipStream_tbEUljE_ZNSN_ISO_Lb1ESR_SS_SU_SV_SZ_EES10_S11_S12_S13_S17_S18_S19_S1C_S1D_jS1E_jS1F_S1F_jjS1H_bEUljE0_EEES10_S11_S12_S19_S1D_S1F_T6_T7_T9_mT8_S1H_bDpT10_ENKUlT_T0_E_clISt17integral_constantIbLb0EES1V_EEDaS1Q_S1R_EUlS1Q_E_NS1_11comp_targetILNS1_3genE9ELNS1_11target_archE1100ELNS1_3gpuE3ELNS1_3repE0EEENS1_30default_config_static_selectorELNS0_4arch9wavefront6targetE0EEEvS13_.has_dyn_sized_stack, 0
	.set _ZN7rocprim17ROCPRIM_400000_NS6detail17trampoline_kernelINS0_13select_configILj256ELj13ELNS0_17block_load_methodE3ELS4_3ELS4_3ELNS0_20block_scan_algorithmE0ELj4294967295EEENS1_25partition_config_selectorILNS1_17partition_subalgoE4EjNS0_10empty_typeEbEEZZNS1_14partition_implILS8_4ELb0ES6_15HIP_vector_typeIjLj2EENS0_17counting_iteratorIjlEEPS9_SG_NS0_5tupleIJPjSI_NS0_16reverse_iteratorISI_EEEEENSH_IJSG_SG_SG_EEES9_SI_JZNS1_25segmented_radix_sort_implINS0_14default_configELb1EPK12hip_bfloat16PSP_PKlPlN2at6native12_GLOBAL__N_18offset_tEEE10hipError_tPvRmT1_PNSt15iterator_traitsIS13_E10value_typeET2_T3_PNS14_IS19_E10value_typeET4_jRbjT5_S1F_jjP12ihipStream_tbEUljE_ZNSN_ISO_Lb1ESR_SS_SU_SV_SZ_EES10_S11_S12_S13_S17_S18_S19_S1C_S1D_jS1E_jS1F_S1F_jjS1H_bEUljE0_EEES10_S11_S12_S19_S1D_S1F_T6_T7_T9_mT8_S1H_bDpT10_ENKUlT_T0_E_clISt17integral_constantIbLb0EES1V_EEDaS1Q_S1R_EUlS1Q_E_NS1_11comp_targetILNS1_3genE9ELNS1_11target_archE1100ELNS1_3gpuE3ELNS1_3repE0EEENS1_30default_config_static_selectorELNS0_4arch9wavefront6targetE0EEEvS13_.has_recursion, 0
	.set _ZN7rocprim17ROCPRIM_400000_NS6detail17trampoline_kernelINS0_13select_configILj256ELj13ELNS0_17block_load_methodE3ELS4_3ELS4_3ELNS0_20block_scan_algorithmE0ELj4294967295EEENS1_25partition_config_selectorILNS1_17partition_subalgoE4EjNS0_10empty_typeEbEEZZNS1_14partition_implILS8_4ELb0ES6_15HIP_vector_typeIjLj2EENS0_17counting_iteratorIjlEEPS9_SG_NS0_5tupleIJPjSI_NS0_16reverse_iteratorISI_EEEEENSH_IJSG_SG_SG_EEES9_SI_JZNS1_25segmented_radix_sort_implINS0_14default_configELb1EPK12hip_bfloat16PSP_PKlPlN2at6native12_GLOBAL__N_18offset_tEEE10hipError_tPvRmT1_PNSt15iterator_traitsIS13_E10value_typeET2_T3_PNS14_IS19_E10value_typeET4_jRbjT5_S1F_jjP12ihipStream_tbEUljE_ZNSN_ISO_Lb1ESR_SS_SU_SV_SZ_EES10_S11_S12_S13_S17_S18_S19_S1C_S1D_jS1E_jS1F_S1F_jjS1H_bEUljE0_EEES10_S11_S12_S19_S1D_S1F_T6_T7_T9_mT8_S1H_bDpT10_ENKUlT_T0_E_clISt17integral_constantIbLb0EES1V_EEDaS1Q_S1R_EUlS1Q_E_NS1_11comp_targetILNS1_3genE9ELNS1_11target_archE1100ELNS1_3gpuE3ELNS1_3repE0EEENS1_30default_config_static_selectorELNS0_4arch9wavefront6targetE0EEEvS13_.has_indirect_call, 0
	.section	.AMDGPU.csdata,"",@progbits
; Kernel info:
; codeLenInByte = 0
; TotalNumSgprs: 0
; NumVgprs: 0
; ScratchSize: 0
; MemoryBound: 0
; FloatMode: 240
; IeeeMode: 1
; LDSByteSize: 0 bytes/workgroup (compile time only)
; SGPRBlocks: 0
; VGPRBlocks: 0
; NumSGPRsForWavesPerEU: 1
; NumVGPRsForWavesPerEU: 1
; NamedBarCnt: 0
; Occupancy: 16
; WaveLimiterHint : 0
; COMPUTE_PGM_RSRC2:SCRATCH_EN: 0
; COMPUTE_PGM_RSRC2:USER_SGPR: 2
; COMPUTE_PGM_RSRC2:TRAP_HANDLER: 0
; COMPUTE_PGM_RSRC2:TGID_X_EN: 1
; COMPUTE_PGM_RSRC2:TGID_Y_EN: 0
; COMPUTE_PGM_RSRC2:TGID_Z_EN: 0
; COMPUTE_PGM_RSRC2:TIDIG_COMP_CNT: 0
	.section	.text._ZN7rocprim17ROCPRIM_400000_NS6detail17trampoline_kernelINS0_13select_configILj256ELj13ELNS0_17block_load_methodE3ELS4_3ELS4_3ELNS0_20block_scan_algorithmE0ELj4294967295EEENS1_25partition_config_selectorILNS1_17partition_subalgoE4EjNS0_10empty_typeEbEEZZNS1_14partition_implILS8_4ELb0ES6_15HIP_vector_typeIjLj2EENS0_17counting_iteratorIjlEEPS9_SG_NS0_5tupleIJPjSI_NS0_16reverse_iteratorISI_EEEEENSH_IJSG_SG_SG_EEES9_SI_JZNS1_25segmented_radix_sort_implINS0_14default_configELb1EPK12hip_bfloat16PSP_PKlPlN2at6native12_GLOBAL__N_18offset_tEEE10hipError_tPvRmT1_PNSt15iterator_traitsIS13_E10value_typeET2_T3_PNS14_IS19_E10value_typeET4_jRbjT5_S1F_jjP12ihipStream_tbEUljE_ZNSN_ISO_Lb1ESR_SS_SU_SV_SZ_EES10_S11_S12_S13_S17_S18_S19_S1C_S1D_jS1E_jS1F_S1F_jjS1H_bEUljE0_EEES10_S11_S12_S19_S1D_S1F_T6_T7_T9_mT8_S1H_bDpT10_ENKUlT_T0_E_clISt17integral_constantIbLb0EES1V_EEDaS1Q_S1R_EUlS1Q_E_NS1_11comp_targetILNS1_3genE8ELNS1_11target_archE1030ELNS1_3gpuE2ELNS1_3repE0EEENS1_30default_config_static_selectorELNS0_4arch9wavefront6targetE0EEEvS13_,"axG",@progbits,_ZN7rocprim17ROCPRIM_400000_NS6detail17trampoline_kernelINS0_13select_configILj256ELj13ELNS0_17block_load_methodE3ELS4_3ELS4_3ELNS0_20block_scan_algorithmE0ELj4294967295EEENS1_25partition_config_selectorILNS1_17partition_subalgoE4EjNS0_10empty_typeEbEEZZNS1_14partition_implILS8_4ELb0ES6_15HIP_vector_typeIjLj2EENS0_17counting_iteratorIjlEEPS9_SG_NS0_5tupleIJPjSI_NS0_16reverse_iteratorISI_EEEEENSH_IJSG_SG_SG_EEES9_SI_JZNS1_25segmented_radix_sort_implINS0_14default_configELb1EPK12hip_bfloat16PSP_PKlPlN2at6native12_GLOBAL__N_18offset_tEEE10hipError_tPvRmT1_PNSt15iterator_traitsIS13_E10value_typeET2_T3_PNS14_IS19_E10value_typeET4_jRbjT5_S1F_jjP12ihipStream_tbEUljE_ZNSN_ISO_Lb1ESR_SS_SU_SV_SZ_EES10_S11_S12_S13_S17_S18_S19_S1C_S1D_jS1E_jS1F_S1F_jjS1H_bEUljE0_EEES10_S11_S12_S19_S1D_S1F_T6_T7_T9_mT8_S1H_bDpT10_ENKUlT_T0_E_clISt17integral_constantIbLb0EES1V_EEDaS1Q_S1R_EUlS1Q_E_NS1_11comp_targetILNS1_3genE8ELNS1_11target_archE1030ELNS1_3gpuE2ELNS1_3repE0EEENS1_30default_config_static_selectorELNS0_4arch9wavefront6targetE0EEEvS13_,comdat
	.globl	_ZN7rocprim17ROCPRIM_400000_NS6detail17trampoline_kernelINS0_13select_configILj256ELj13ELNS0_17block_load_methodE3ELS4_3ELS4_3ELNS0_20block_scan_algorithmE0ELj4294967295EEENS1_25partition_config_selectorILNS1_17partition_subalgoE4EjNS0_10empty_typeEbEEZZNS1_14partition_implILS8_4ELb0ES6_15HIP_vector_typeIjLj2EENS0_17counting_iteratorIjlEEPS9_SG_NS0_5tupleIJPjSI_NS0_16reverse_iteratorISI_EEEEENSH_IJSG_SG_SG_EEES9_SI_JZNS1_25segmented_radix_sort_implINS0_14default_configELb1EPK12hip_bfloat16PSP_PKlPlN2at6native12_GLOBAL__N_18offset_tEEE10hipError_tPvRmT1_PNSt15iterator_traitsIS13_E10value_typeET2_T3_PNS14_IS19_E10value_typeET4_jRbjT5_S1F_jjP12ihipStream_tbEUljE_ZNSN_ISO_Lb1ESR_SS_SU_SV_SZ_EES10_S11_S12_S13_S17_S18_S19_S1C_S1D_jS1E_jS1F_S1F_jjS1H_bEUljE0_EEES10_S11_S12_S19_S1D_S1F_T6_T7_T9_mT8_S1H_bDpT10_ENKUlT_T0_E_clISt17integral_constantIbLb0EES1V_EEDaS1Q_S1R_EUlS1Q_E_NS1_11comp_targetILNS1_3genE8ELNS1_11target_archE1030ELNS1_3gpuE2ELNS1_3repE0EEENS1_30default_config_static_selectorELNS0_4arch9wavefront6targetE0EEEvS13_ ; -- Begin function _ZN7rocprim17ROCPRIM_400000_NS6detail17trampoline_kernelINS0_13select_configILj256ELj13ELNS0_17block_load_methodE3ELS4_3ELS4_3ELNS0_20block_scan_algorithmE0ELj4294967295EEENS1_25partition_config_selectorILNS1_17partition_subalgoE4EjNS0_10empty_typeEbEEZZNS1_14partition_implILS8_4ELb0ES6_15HIP_vector_typeIjLj2EENS0_17counting_iteratorIjlEEPS9_SG_NS0_5tupleIJPjSI_NS0_16reverse_iteratorISI_EEEEENSH_IJSG_SG_SG_EEES9_SI_JZNS1_25segmented_radix_sort_implINS0_14default_configELb1EPK12hip_bfloat16PSP_PKlPlN2at6native12_GLOBAL__N_18offset_tEEE10hipError_tPvRmT1_PNSt15iterator_traitsIS13_E10value_typeET2_T3_PNS14_IS19_E10value_typeET4_jRbjT5_S1F_jjP12ihipStream_tbEUljE_ZNSN_ISO_Lb1ESR_SS_SU_SV_SZ_EES10_S11_S12_S13_S17_S18_S19_S1C_S1D_jS1E_jS1F_S1F_jjS1H_bEUljE0_EEES10_S11_S12_S19_S1D_S1F_T6_T7_T9_mT8_S1H_bDpT10_ENKUlT_T0_E_clISt17integral_constantIbLb0EES1V_EEDaS1Q_S1R_EUlS1Q_E_NS1_11comp_targetILNS1_3genE8ELNS1_11target_archE1030ELNS1_3gpuE2ELNS1_3repE0EEENS1_30default_config_static_selectorELNS0_4arch9wavefront6targetE0EEEvS13_
	.p2align	8
	.type	_ZN7rocprim17ROCPRIM_400000_NS6detail17trampoline_kernelINS0_13select_configILj256ELj13ELNS0_17block_load_methodE3ELS4_3ELS4_3ELNS0_20block_scan_algorithmE0ELj4294967295EEENS1_25partition_config_selectorILNS1_17partition_subalgoE4EjNS0_10empty_typeEbEEZZNS1_14partition_implILS8_4ELb0ES6_15HIP_vector_typeIjLj2EENS0_17counting_iteratorIjlEEPS9_SG_NS0_5tupleIJPjSI_NS0_16reverse_iteratorISI_EEEEENSH_IJSG_SG_SG_EEES9_SI_JZNS1_25segmented_radix_sort_implINS0_14default_configELb1EPK12hip_bfloat16PSP_PKlPlN2at6native12_GLOBAL__N_18offset_tEEE10hipError_tPvRmT1_PNSt15iterator_traitsIS13_E10value_typeET2_T3_PNS14_IS19_E10value_typeET4_jRbjT5_S1F_jjP12ihipStream_tbEUljE_ZNSN_ISO_Lb1ESR_SS_SU_SV_SZ_EES10_S11_S12_S13_S17_S18_S19_S1C_S1D_jS1E_jS1F_S1F_jjS1H_bEUljE0_EEES10_S11_S12_S19_S1D_S1F_T6_T7_T9_mT8_S1H_bDpT10_ENKUlT_T0_E_clISt17integral_constantIbLb0EES1V_EEDaS1Q_S1R_EUlS1Q_E_NS1_11comp_targetILNS1_3genE8ELNS1_11target_archE1030ELNS1_3gpuE2ELNS1_3repE0EEENS1_30default_config_static_selectorELNS0_4arch9wavefront6targetE0EEEvS13_,@function
_ZN7rocprim17ROCPRIM_400000_NS6detail17trampoline_kernelINS0_13select_configILj256ELj13ELNS0_17block_load_methodE3ELS4_3ELS4_3ELNS0_20block_scan_algorithmE0ELj4294967295EEENS1_25partition_config_selectorILNS1_17partition_subalgoE4EjNS0_10empty_typeEbEEZZNS1_14partition_implILS8_4ELb0ES6_15HIP_vector_typeIjLj2EENS0_17counting_iteratorIjlEEPS9_SG_NS0_5tupleIJPjSI_NS0_16reverse_iteratorISI_EEEEENSH_IJSG_SG_SG_EEES9_SI_JZNS1_25segmented_radix_sort_implINS0_14default_configELb1EPK12hip_bfloat16PSP_PKlPlN2at6native12_GLOBAL__N_18offset_tEEE10hipError_tPvRmT1_PNSt15iterator_traitsIS13_E10value_typeET2_T3_PNS14_IS19_E10value_typeET4_jRbjT5_S1F_jjP12ihipStream_tbEUljE_ZNSN_ISO_Lb1ESR_SS_SU_SV_SZ_EES10_S11_S12_S13_S17_S18_S19_S1C_S1D_jS1E_jS1F_S1F_jjS1H_bEUljE0_EEES10_S11_S12_S19_S1D_S1F_T6_T7_T9_mT8_S1H_bDpT10_ENKUlT_T0_E_clISt17integral_constantIbLb0EES1V_EEDaS1Q_S1R_EUlS1Q_E_NS1_11comp_targetILNS1_3genE8ELNS1_11target_archE1030ELNS1_3gpuE2ELNS1_3repE0EEENS1_30default_config_static_selectorELNS0_4arch9wavefront6targetE0EEEvS13_: ; @_ZN7rocprim17ROCPRIM_400000_NS6detail17trampoline_kernelINS0_13select_configILj256ELj13ELNS0_17block_load_methodE3ELS4_3ELS4_3ELNS0_20block_scan_algorithmE0ELj4294967295EEENS1_25partition_config_selectorILNS1_17partition_subalgoE4EjNS0_10empty_typeEbEEZZNS1_14partition_implILS8_4ELb0ES6_15HIP_vector_typeIjLj2EENS0_17counting_iteratorIjlEEPS9_SG_NS0_5tupleIJPjSI_NS0_16reverse_iteratorISI_EEEEENSH_IJSG_SG_SG_EEES9_SI_JZNS1_25segmented_radix_sort_implINS0_14default_configELb1EPK12hip_bfloat16PSP_PKlPlN2at6native12_GLOBAL__N_18offset_tEEE10hipError_tPvRmT1_PNSt15iterator_traitsIS13_E10value_typeET2_T3_PNS14_IS19_E10value_typeET4_jRbjT5_S1F_jjP12ihipStream_tbEUljE_ZNSN_ISO_Lb1ESR_SS_SU_SV_SZ_EES10_S11_S12_S13_S17_S18_S19_S1C_S1D_jS1E_jS1F_S1F_jjS1H_bEUljE0_EEES10_S11_S12_S19_S1D_S1F_T6_T7_T9_mT8_S1H_bDpT10_ENKUlT_T0_E_clISt17integral_constantIbLb0EES1V_EEDaS1Q_S1R_EUlS1Q_E_NS1_11comp_targetILNS1_3genE8ELNS1_11target_archE1030ELNS1_3gpuE2ELNS1_3repE0EEENS1_30default_config_static_selectorELNS0_4arch9wavefront6targetE0EEEvS13_
; %bb.0:
	.section	.rodata,"a",@progbits
	.p2align	6, 0x0
	.amdhsa_kernel _ZN7rocprim17ROCPRIM_400000_NS6detail17trampoline_kernelINS0_13select_configILj256ELj13ELNS0_17block_load_methodE3ELS4_3ELS4_3ELNS0_20block_scan_algorithmE0ELj4294967295EEENS1_25partition_config_selectorILNS1_17partition_subalgoE4EjNS0_10empty_typeEbEEZZNS1_14partition_implILS8_4ELb0ES6_15HIP_vector_typeIjLj2EENS0_17counting_iteratorIjlEEPS9_SG_NS0_5tupleIJPjSI_NS0_16reverse_iteratorISI_EEEEENSH_IJSG_SG_SG_EEES9_SI_JZNS1_25segmented_radix_sort_implINS0_14default_configELb1EPK12hip_bfloat16PSP_PKlPlN2at6native12_GLOBAL__N_18offset_tEEE10hipError_tPvRmT1_PNSt15iterator_traitsIS13_E10value_typeET2_T3_PNS14_IS19_E10value_typeET4_jRbjT5_S1F_jjP12ihipStream_tbEUljE_ZNSN_ISO_Lb1ESR_SS_SU_SV_SZ_EES10_S11_S12_S13_S17_S18_S19_S1C_S1D_jS1E_jS1F_S1F_jjS1H_bEUljE0_EEES10_S11_S12_S19_S1D_S1F_T6_T7_T9_mT8_S1H_bDpT10_ENKUlT_T0_E_clISt17integral_constantIbLb0EES1V_EEDaS1Q_S1R_EUlS1Q_E_NS1_11comp_targetILNS1_3genE8ELNS1_11target_archE1030ELNS1_3gpuE2ELNS1_3repE0EEENS1_30default_config_static_selectorELNS0_4arch9wavefront6targetE0EEEvS13_
		.amdhsa_group_segment_fixed_size 0
		.amdhsa_private_segment_fixed_size 0
		.amdhsa_kernarg_size 176
		.amdhsa_user_sgpr_count 2
		.amdhsa_user_sgpr_dispatch_ptr 0
		.amdhsa_user_sgpr_queue_ptr 0
		.amdhsa_user_sgpr_kernarg_segment_ptr 1
		.amdhsa_user_sgpr_dispatch_id 0
		.amdhsa_user_sgpr_kernarg_preload_length 0
		.amdhsa_user_sgpr_kernarg_preload_offset 0
		.amdhsa_user_sgpr_private_segment_size 0
		.amdhsa_wavefront_size32 1
		.amdhsa_uses_dynamic_stack 0
		.amdhsa_enable_private_segment 0
		.amdhsa_system_sgpr_workgroup_id_x 1
		.amdhsa_system_sgpr_workgroup_id_y 0
		.amdhsa_system_sgpr_workgroup_id_z 0
		.amdhsa_system_sgpr_workgroup_info 0
		.amdhsa_system_vgpr_workitem_id 0
		.amdhsa_next_free_vgpr 1
		.amdhsa_next_free_sgpr 1
		.amdhsa_named_barrier_count 0
		.amdhsa_reserve_vcc 0
		.amdhsa_float_round_mode_32 0
		.amdhsa_float_round_mode_16_64 0
		.amdhsa_float_denorm_mode_32 3
		.amdhsa_float_denorm_mode_16_64 3
		.amdhsa_fp16_overflow 0
		.amdhsa_memory_ordered 1
		.amdhsa_forward_progress 1
		.amdhsa_inst_pref_size 0
		.amdhsa_round_robin_scheduling 0
		.amdhsa_exception_fp_ieee_invalid_op 0
		.amdhsa_exception_fp_denorm_src 0
		.amdhsa_exception_fp_ieee_div_zero 0
		.amdhsa_exception_fp_ieee_overflow 0
		.amdhsa_exception_fp_ieee_underflow 0
		.amdhsa_exception_fp_ieee_inexact 0
		.amdhsa_exception_int_div_zero 0
	.end_amdhsa_kernel
	.section	.text._ZN7rocprim17ROCPRIM_400000_NS6detail17trampoline_kernelINS0_13select_configILj256ELj13ELNS0_17block_load_methodE3ELS4_3ELS4_3ELNS0_20block_scan_algorithmE0ELj4294967295EEENS1_25partition_config_selectorILNS1_17partition_subalgoE4EjNS0_10empty_typeEbEEZZNS1_14partition_implILS8_4ELb0ES6_15HIP_vector_typeIjLj2EENS0_17counting_iteratorIjlEEPS9_SG_NS0_5tupleIJPjSI_NS0_16reverse_iteratorISI_EEEEENSH_IJSG_SG_SG_EEES9_SI_JZNS1_25segmented_radix_sort_implINS0_14default_configELb1EPK12hip_bfloat16PSP_PKlPlN2at6native12_GLOBAL__N_18offset_tEEE10hipError_tPvRmT1_PNSt15iterator_traitsIS13_E10value_typeET2_T3_PNS14_IS19_E10value_typeET4_jRbjT5_S1F_jjP12ihipStream_tbEUljE_ZNSN_ISO_Lb1ESR_SS_SU_SV_SZ_EES10_S11_S12_S13_S17_S18_S19_S1C_S1D_jS1E_jS1F_S1F_jjS1H_bEUljE0_EEES10_S11_S12_S19_S1D_S1F_T6_T7_T9_mT8_S1H_bDpT10_ENKUlT_T0_E_clISt17integral_constantIbLb0EES1V_EEDaS1Q_S1R_EUlS1Q_E_NS1_11comp_targetILNS1_3genE8ELNS1_11target_archE1030ELNS1_3gpuE2ELNS1_3repE0EEENS1_30default_config_static_selectorELNS0_4arch9wavefront6targetE0EEEvS13_,"axG",@progbits,_ZN7rocprim17ROCPRIM_400000_NS6detail17trampoline_kernelINS0_13select_configILj256ELj13ELNS0_17block_load_methodE3ELS4_3ELS4_3ELNS0_20block_scan_algorithmE0ELj4294967295EEENS1_25partition_config_selectorILNS1_17partition_subalgoE4EjNS0_10empty_typeEbEEZZNS1_14partition_implILS8_4ELb0ES6_15HIP_vector_typeIjLj2EENS0_17counting_iteratorIjlEEPS9_SG_NS0_5tupleIJPjSI_NS0_16reverse_iteratorISI_EEEEENSH_IJSG_SG_SG_EEES9_SI_JZNS1_25segmented_radix_sort_implINS0_14default_configELb1EPK12hip_bfloat16PSP_PKlPlN2at6native12_GLOBAL__N_18offset_tEEE10hipError_tPvRmT1_PNSt15iterator_traitsIS13_E10value_typeET2_T3_PNS14_IS19_E10value_typeET4_jRbjT5_S1F_jjP12ihipStream_tbEUljE_ZNSN_ISO_Lb1ESR_SS_SU_SV_SZ_EES10_S11_S12_S13_S17_S18_S19_S1C_S1D_jS1E_jS1F_S1F_jjS1H_bEUljE0_EEES10_S11_S12_S19_S1D_S1F_T6_T7_T9_mT8_S1H_bDpT10_ENKUlT_T0_E_clISt17integral_constantIbLb0EES1V_EEDaS1Q_S1R_EUlS1Q_E_NS1_11comp_targetILNS1_3genE8ELNS1_11target_archE1030ELNS1_3gpuE2ELNS1_3repE0EEENS1_30default_config_static_selectorELNS0_4arch9wavefront6targetE0EEEvS13_,comdat
.Lfunc_end1879:
	.size	_ZN7rocprim17ROCPRIM_400000_NS6detail17trampoline_kernelINS0_13select_configILj256ELj13ELNS0_17block_load_methodE3ELS4_3ELS4_3ELNS0_20block_scan_algorithmE0ELj4294967295EEENS1_25partition_config_selectorILNS1_17partition_subalgoE4EjNS0_10empty_typeEbEEZZNS1_14partition_implILS8_4ELb0ES6_15HIP_vector_typeIjLj2EENS0_17counting_iteratorIjlEEPS9_SG_NS0_5tupleIJPjSI_NS0_16reverse_iteratorISI_EEEEENSH_IJSG_SG_SG_EEES9_SI_JZNS1_25segmented_radix_sort_implINS0_14default_configELb1EPK12hip_bfloat16PSP_PKlPlN2at6native12_GLOBAL__N_18offset_tEEE10hipError_tPvRmT1_PNSt15iterator_traitsIS13_E10value_typeET2_T3_PNS14_IS19_E10value_typeET4_jRbjT5_S1F_jjP12ihipStream_tbEUljE_ZNSN_ISO_Lb1ESR_SS_SU_SV_SZ_EES10_S11_S12_S13_S17_S18_S19_S1C_S1D_jS1E_jS1F_S1F_jjS1H_bEUljE0_EEES10_S11_S12_S19_S1D_S1F_T6_T7_T9_mT8_S1H_bDpT10_ENKUlT_T0_E_clISt17integral_constantIbLb0EES1V_EEDaS1Q_S1R_EUlS1Q_E_NS1_11comp_targetILNS1_3genE8ELNS1_11target_archE1030ELNS1_3gpuE2ELNS1_3repE0EEENS1_30default_config_static_selectorELNS0_4arch9wavefront6targetE0EEEvS13_, .Lfunc_end1879-_ZN7rocprim17ROCPRIM_400000_NS6detail17trampoline_kernelINS0_13select_configILj256ELj13ELNS0_17block_load_methodE3ELS4_3ELS4_3ELNS0_20block_scan_algorithmE0ELj4294967295EEENS1_25partition_config_selectorILNS1_17partition_subalgoE4EjNS0_10empty_typeEbEEZZNS1_14partition_implILS8_4ELb0ES6_15HIP_vector_typeIjLj2EENS0_17counting_iteratorIjlEEPS9_SG_NS0_5tupleIJPjSI_NS0_16reverse_iteratorISI_EEEEENSH_IJSG_SG_SG_EEES9_SI_JZNS1_25segmented_radix_sort_implINS0_14default_configELb1EPK12hip_bfloat16PSP_PKlPlN2at6native12_GLOBAL__N_18offset_tEEE10hipError_tPvRmT1_PNSt15iterator_traitsIS13_E10value_typeET2_T3_PNS14_IS19_E10value_typeET4_jRbjT5_S1F_jjP12ihipStream_tbEUljE_ZNSN_ISO_Lb1ESR_SS_SU_SV_SZ_EES10_S11_S12_S13_S17_S18_S19_S1C_S1D_jS1E_jS1F_S1F_jjS1H_bEUljE0_EEES10_S11_S12_S19_S1D_S1F_T6_T7_T9_mT8_S1H_bDpT10_ENKUlT_T0_E_clISt17integral_constantIbLb0EES1V_EEDaS1Q_S1R_EUlS1Q_E_NS1_11comp_targetILNS1_3genE8ELNS1_11target_archE1030ELNS1_3gpuE2ELNS1_3repE0EEENS1_30default_config_static_selectorELNS0_4arch9wavefront6targetE0EEEvS13_
                                        ; -- End function
	.set _ZN7rocprim17ROCPRIM_400000_NS6detail17trampoline_kernelINS0_13select_configILj256ELj13ELNS0_17block_load_methodE3ELS4_3ELS4_3ELNS0_20block_scan_algorithmE0ELj4294967295EEENS1_25partition_config_selectorILNS1_17partition_subalgoE4EjNS0_10empty_typeEbEEZZNS1_14partition_implILS8_4ELb0ES6_15HIP_vector_typeIjLj2EENS0_17counting_iteratorIjlEEPS9_SG_NS0_5tupleIJPjSI_NS0_16reverse_iteratorISI_EEEEENSH_IJSG_SG_SG_EEES9_SI_JZNS1_25segmented_radix_sort_implINS0_14default_configELb1EPK12hip_bfloat16PSP_PKlPlN2at6native12_GLOBAL__N_18offset_tEEE10hipError_tPvRmT1_PNSt15iterator_traitsIS13_E10value_typeET2_T3_PNS14_IS19_E10value_typeET4_jRbjT5_S1F_jjP12ihipStream_tbEUljE_ZNSN_ISO_Lb1ESR_SS_SU_SV_SZ_EES10_S11_S12_S13_S17_S18_S19_S1C_S1D_jS1E_jS1F_S1F_jjS1H_bEUljE0_EEES10_S11_S12_S19_S1D_S1F_T6_T7_T9_mT8_S1H_bDpT10_ENKUlT_T0_E_clISt17integral_constantIbLb0EES1V_EEDaS1Q_S1R_EUlS1Q_E_NS1_11comp_targetILNS1_3genE8ELNS1_11target_archE1030ELNS1_3gpuE2ELNS1_3repE0EEENS1_30default_config_static_selectorELNS0_4arch9wavefront6targetE0EEEvS13_.num_vgpr, 0
	.set _ZN7rocprim17ROCPRIM_400000_NS6detail17trampoline_kernelINS0_13select_configILj256ELj13ELNS0_17block_load_methodE3ELS4_3ELS4_3ELNS0_20block_scan_algorithmE0ELj4294967295EEENS1_25partition_config_selectorILNS1_17partition_subalgoE4EjNS0_10empty_typeEbEEZZNS1_14partition_implILS8_4ELb0ES6_15HIP_vector_typeIjLj2EENS0_17counting_iteratorIjlEEPS9_SG_NS0_5tupleIJPjSI_NS0_16reverse_iteratorISI_EEEEENSH_IJSG_SG_SG_EEES9_SI_JZNS1_25segmented_radix_sort_implINS0_14default_configELb1EPK12hip_bfloat16PSP_PKlPlN2at6native12_GLOBAL__N_18offset_tEEE10hipError_tPvRmT1_PNSt15iterator_traitsIS13_E10value_typeET2_T3_PNS14_IS19_E10value_typeET4_jRbjT5_S1F_jjP12ihipStream_tbEUljE_ZNSN_ISO_Lb1ESR_SS_SU_SV_SZ_EES10_S11_S12_S13_S17_S18_S19_S1C_S1D_jS1E_jS1F_S1F_jjS1H_bEUljE0_EEES10_S11_S12_S19_S1D_S1F_T6_T7_T9_mT8_S1H_bDpT10_ENKUlT_T0_E_clISt17integral_constantIbLb0EES1V_EEDaS1Q_S1R_EUlS1Q_E_NS1_11comp_targetILNS1_3genE8ELNS1_11target_archE1030ELNS1_3gpuE2ELNS1_3repE0EEENS1_30default_config_static_selectorELNS0_4arch9wavefront6targetE0EEEvS13_.num_agpr, 0
	.set _ZN7rocprim17ROCPRIM_400000_NS6detail17trampoline_kernelINS0_13select_configILj256ELj13ELNS0_17block_load_methodE3ELS4_3ELS4_3ELNS0_20block_scan_algorithmE0ELj4294967295EEENS1_25partition_config_selectorILNS1_17partition_subalgoE4EjNS0_10empty_typeEbEEZZNS1_14partition_implILS8_4ELb0ES6_15HIP_vector_typeIjLj2EENS0_17counting_iteratorIjlEEPS9_SG_NS0_5tupleIJPjSI_NS0_16reverse_iteratorISI_EEEEENSH_IJSG_SG_SG_EEES9_SI_JZNS1_25segmented_radix_sort_implINS0_14default_configELb1EPK12hip_bfloat16PSP_PKlPlN2at6native12_GLOBAL__N_18offset_tEEE10hipError_tPvRmT1_PNSt15iterator_traitsIS13_E10value_typeET2_T3_PNS14_IS19_E10value_typeET4_jRbjT5_S1F_jjP12ihipStream_tbEUljE_ZNSN_ISO_Lb1ESR_SS_SU_SV_SZ_EES10_S11_S12_S13_S17_S18_S19_S1C_S1D_jS1E_jS1F_S1F_jjS1H_bEUljE0_EEES10_S11_S12_S19_S1D_S1F_T6_T7_T9_mT8_S1H_bDpT10_ENKUlT_T0_E_clISt17integral_constantIbLb0EES1V_EEDaS1Q_S1R_EUlS1Q_E_NS1_11comp_targetILNS1_3genE8ELNS1_11target_archE1030ELNS1_3gpuE2ELNS1_3repE0EEENS1_30default_config_static_selectorELNS0_4arch9wavefront6targetE0EEEvS13_.numbered_sgpr, 0
	.set _ZN7rocprim17ROCPRIM_400000_NS6detail17trampoline_kernelINS0_13select_configILj256ELj13ELNS0_17block_load_methodE3ELS4_3ELS4_3ELNS0_20block_scan_algorithmE0ELj4294967295EEENS1_25partition_config_selectorILNS1_17partition_subalgoE4EjNS0_10empty_typeEbEEZZNS1_14partition_implILS8_4ELb0ES6_15HIP_vector_typeIjLj2EENS0_17counting_iteratorIjlEEPS9_SG_NS0_5tupleIJPjSI_NS0_16reverse_iteratorISI_EEEEENSH_IJSG_SG_SG_EEES9_SI_JZNS1_25segmented_radix_sort_implINS0_14default_configELb1EPK12hip_bfloat16PSP_PKlPlN2at6native12_GLOBAL__N_18offset_tEEE10hipError_tPvRmT1_PNSt15iterator_traitsIS13_E10value_typeET2_T3_PNS14_IS19_E10value_typeET4_jRbjT5_S1F_jjP12ihipStream_tbEUljE_ZNSN_ISO_Lb1ESR_SS_SU_SV_SZ_EES10_S11_S12_S13_S17_S18_S19_S1C_S1D_jS1E_jS1F_S1F_jjS1H_bEUljE0_EEES10_S11_S12_S19_S1D_S1F_T6_T7_T9_mT8_S1H_bDpT10_ENKUlT_T0_E_clISt17integral_constantIbLb0EES1V_EEDaS1Q_S1R_EUlS1Q_E_NS1_11comp_targetILNS1_3genE8ELNS1_11target_archE1030ELNS1_3gpuE2ELNS1_3repE0EEENS1_30default_config_static_selectorELNS0_4arch9wavefront6targetE0EEEvS13_.num_named_barrier, 0
	.set _ZN7rocprim17ROCPRIM_400000_NS6detail17trampoline_kernelINS0_13select_configILj256ELj13ELNS0_17block_load_methodE3ELS4_3ELS4_3ELNS0_20block_scan_algorithmE0ELj4294967295EEENS1_25partition_config_selectorILNS1_17partition_subalgoE4EjNS0_10empty_typeEbEEZZNS1_14partition_implILS8_4ELb0ES6_15HIP_vector_typeIjLj2EENS0_17counting_iteratorIjlEEPS9_SG_NS0_5tupleIJPjSI_NS0_16reverse_iteratorISI_EEEEENSH_IJSG_SG_SG_EEES9_SI_JZNS1_25segmented_radix_sort_implINS0_14default_configELb1EPK12hip_bfloat16PSP_PKlPlN2at6native12_GLOBAL__N_18offset_tEEE10hipError_tPvRmT1_PNSt15iterator_traitsIS13_E10value_typeET2_T3_PNS14_IS19_E10value_typeET4_jRbjT5_S1F_jjP12ihipStream_tbEUljE_ZNSN_ISO_Lb1ESR_SS_SU_SV_SZ_EES10_S11_S12_S13_S17_S18_S19_S1C_S1D_jS1E_jS1F_S1F_jjS1H_bEUljE0_EEES10_S11_S12_S19_S1D_S1F_T6_T7_T9_mT8_S1H_bDpT10_ENKUlT_T0_E_clISt17integral_constantIbLb0EES1V_EEDaS1Q_S1R_EUlS1Q_E_NS1_11comp_targetILNS1_3genE8ELNS1_11target_archE1030ELNS1_3gpuE2ELNS1_3repE0EEENS1_30default_config_static_selectorELNS0_4arch9wavefront6targetE0EEEvS13_.private_seg_size, 0
	.set _ZN7rocprim17ROCPRIM_400000_NS6detail17trampoline_kernelINS0_13select_configILj256ELj13ELNS0_17block_load_methodE3ELS4_3ELS4_3ELNS0_20block_scan_algorithmE0ELj4294967295EEENS1_25partition_config_selectorILNS1_17partition_subalgoE4EjNS0_10empty_typeEbEEZZNS1_14partition_implILS8_4ELb0ES6_15HIP_vector_typeIjLj2EENS0_17counting_iteratorIjlEEPS9_SG_NS0_5tupleIJPjSI_NS0_16reverse_iteratorISI_EEEEENSH_IJSG_SG_SG_EEES9_SI_JZNS1_25segmented_radix_sort_implINS0_14default_configELb1EPK12hip_bfloat16PSP_PKlPlN2at6native12_GLOBAL__N_18offset_tEEE10hipError_tPvRmT1_PNSt15iterator_traitsIS13_E10value_typeET2_T3_PNS14_IS19_E10value_typeET4_jRbjT5_S1F_jjP12ihipStream_tbEUljE_ZNSN_ISO_Lb1ESR_SS_SU_SV_SZ_EES10_S11_S12_S13_S17_S18_S19_S1C_S1D_jS1E_jS1F_S1F_jjS1H_bEUljE0_EEES10_S11_S12_S19_S1D_S1F_T6_T7_T9_mT8_S1H_bDpT10_ENKUlT_T0_E_clISt17integral_constantIbLb0EES1V_EEDaS1Q_S1R_EUlS1Q_E_NS1_11comp_targetILNS1_3genE8ELNS1_11target_archE1030ELNS1_3gpuE2ELNS1_3repE0EEENS1_30default_config_static_selectorELNS0_4arch9wavefront6targetE0EEEvS13_.uses_vcc, 0
	.set _ZN7rocprim17ROCPRIM_400000_NS6detail17trampoline_kernelINS0_13select_configILj256ELj13ELNS0_17block_load_methodE3ELS4_3ELS4_3ELNS0_20block_scan_algorithmE0ELj4294967295EEENS1_25partition_config_selectorILNS1_17partition_subalgoE4EjNS0_10empty_typeEbEEZZNS1_14partition_implILS8_4ELb0ES6_15HIP_vector_typeIjLj2EENS0_17counting_iteratorIjlEEPS9_SG_NS0_5tupleIJPjSI_NS0_16reverse_iteratorISI_EEEEENSH_IJSG_SG_SG_EEES9_SI_JZNS1_25segmented_radix_sort_implINS0_14default_configELb1EPK12hip_bfloat16PSP_PKlPlN2at6native12_GLOBAL__N_18offset_tEEE10hipError_tPvRmT1_PNSt15iterator_traitsIS13_E10value_typeET2_T3_PNS14_IS19_E10value_typeET4_jRbjT5_S1F_jjP12ihipStream_tbEUljE_ZNSN_ISO_Lb1ESR_SS_SU_SV_SZ_EES10_S11_S12_S13_S17_S18_S19_S1C_S1D_jS1E_jS1F_S1F_jjS1H_bEUljE0_EEES10_S11_S12_S19_S1D_S1F_T6_T7_T9_mT8_S1H_bDpT10_ENKUlT_T0_E_clISt17integral_constantIbLb0EES1V_EEDaS1Q_S1R_EUlS1Q_E_NS1_11comp_targetILNS1_3genE8ELNS1_11target_archE1030ELNS1_3gpuE2ELNS1_3repE0EEENS1_30default_config_static_selectorELNS0_4arch9wavefront6targetE0EEEvS13_.uses_flat_scratch, 0
	.set _ZN7rocprim17ROCPRIM_400000_NS6detail17trampoline_kernelINS0_13select_configILj256ELj13ELNS0_17block_load_methodE3ELS4_3ELS4_3ELNS0_20block_scan_algorithmE0ELj4294967295EEENS1_25partition_config_selectorILNS1_17partition_subalgoE4EjNS0_10empty_typeEbEEZZNS1_14partition_implILS8_4ELb0ES6_15HIP_vector_typeIjLj2EENS0_17counting_iteratorIjlEEPS9_SG_NS0_5tupleIJPjSI_NS0_16reverse_iteratorISI_EEEEENSH_IJSG_SG_SG_EEES9_SI_JZNS1_25segmented_radix_sort_implINS0_14default_configELb1EPK12hip_bfloat16PSP_PKlPlN2at6native12_GLOBAL__N_18offset_tEEE10hipError_tPvRmT1_PNSt15iterator_traitsIS13_E10value_typeET2_T3_PNS14_IS19_E10value_typeET4_jRbjT5_S1F_jjP12ihipStream_tbEUljE_ZNSN_ISO_Lb1ESR_SS_SU_SV_SZ_EES10_S11_S12_S13_S17_S18_S19_S1C_S1D_jS1E_jS1F_S1F_jjS1H_bEUljE0_EEES10_S11_S12_S19_S1D_S1F_T6_T7_T9_mT8_S1H_bDpT10_ENKUlT_T0_E_clISt17integral_constantIbLb0EES1V_EEDaS1Q_S1R_EUlS1Q_E_NS1_11comp_targetILNS1_3genE8ELNS1_11target_archE1030ELNS1_3gpuE2ELNS1_3repE0EEENS1_30default_config_static_selectorELNS0_4arch9wavefront6targetE0EEEvS13_.has_dyn_sized_stack, 0
	.set _ZN7rocprim17ROCPRIM_400000_NS6detail17trampoline_kernelINS0_13select_configILj256ELj13ELNS0_17block_load_methodE3ELS4_3ELS4_3ELNS0_20block_scan_algorithmE0ELj4294967295EEENS1_25partition_config_selectorILNS1_17partition_subalgoE4EjNS0_10empty_typeEbEEZZNS1_14partition_implILS8_4ELb0ES6_15HIP_vector_typeIjLj2EENS0_17counting_iteratorIjlEEPS9_SG_NS0_5tupleIJPjSI_NS0_16reverse_iteratorISI_EEEEENSH_IJSG_SG_SG_EEES9_SI_JZNS1_25segmented_radix_sort_implINS0_14default_configELb1EPK12hip_bfloat16PSP_PKlPlN2at6native12_GLOBAL__N_18offset_tEEE10hipError_tPvRmT1_PNSt15iterator_traitsIS13_E10value_typeET2_T3_PNS14_IS19_E10value_typeET4_jRbjT5_S1F_jjP12ihipStream_tbEUljE_ZNSN_ISO_Lb1ESR_SS_SU_SV_SZ_EES10_S11_S12_S13_S17_S18_S19_S1C_S1D_jS1E_jS1F_S1F_jjS1H_bEUljE0_EEES10_S11_S12_S19_S1D_S1F_T6_T7_T9_mT8_S1H_bDpT10_ENKUlT_T0_E_clISt17integral_constantIbLb0EES1V_EEDaS1Q_S1R_EUlS1Q_E_NS1_11comp_targetILNS1_3genE8ELNS1_11target_archE1030ELNS1_3gpuE2ELNS1_3repE0EEENS1_30default_config_static_selectorELNS0_4arch9wavefront6targetE0EEEvS13_.has_recursion, 0
	.set _ZN7rocprim17ROCPRIM_400000_NS6detail17trampoline_kernelINS0_13select_configILj256ELj13ELNS0_17block_load_methodE3ELS4_3ELS4_3ELNS0_20block_scan_algorithmE0ELj4294967295EEENS1_25partition_config_selectorILNS1_17partition_subalgoE4EjNS0_10empty_typeEbEEZZNS1_14partition_implILS8_4ELb0ES6_15HIP_vector_typeIjLj2EENS0_17counting_iteratorIjlEEPS9_SG_NS0_5tupleIJPjSI_NS0_16reverse_iteratorISI_EEEEENSH_IJSG_SG_SG_EEES9_SI_JZNS1_25segmented_radix_sort_implINS0_14default_configELb1EPK12hip_bfloat16PSP_PKlPlN2at6native12_GLOBAL__N_18offset_tEEE10hipError_tPvRmT1_PNSt15iterator_traitsIS13_E10value_typeET2_T3_PNS14_IS19_E10value_typeET4_jRbjT5_S1F_jjP12ihipStream_tbEUljE_ZNSN_ISO_Lb1ESR_SS_SU_SV_SZ_EES10_S11_S12_S13_S17_S18_S19_S1C_S1D_jS1E_jS1F_S1F_jjS1H_bEUljE0_EEES10_S11_S12_S19_S1D_S1F_T6_T7_T9_mT8_S1H_bDpT10_ENKUlT_T0_E_clISt17integral_constantIbLb0EES1V_EEDaS1Q_S1R_EUlS1Q_E_NS1_11comp_targetILNS1_3genE8ELNS1_11target_archE1030ELNS1_3gpuE2ELNS1_3repE0EEENS1_30default_config_static_selectorELNS0_4arch9wavefront6targetE0EEEvS13_.has_indirect_call, 0
	.section	.AMDGPU.csdata,"",@progbits
; Kernel info:
; codeLenInByte = 0
; TotalNumSgprs: 0
; NumVgprs: 0
; ScratchSize: 0
; MemoryBound: 0
; FloatMode: 240
; IeeeMode: 1
; LDSByteSize: 0 bytes/workgroup (compile time only)
; SGPRBlocks: 0
; VGPRBlocks: 0
; NumSGPRsForWavesPerEU: 1
; NumVGPRsForWavesPerEU: 1
; NamedBarCnt: 0
; Occupancy: 16
; WaveLimiterHint : 0
; COMPUTE_PGM_RSRC2:SCRATCH_EN: 0
; COMPUTE_PGM_RSRC2:USER_SGPR: 2
; COMPUTE_PGM_RSRC2:TRAP_HANDLER: 0
; COMPUTE_PGM_RSRC2:TGID_X_EN: 1
; COMPUTE_PGM_RSRC2:TGID_Y_EN: 0
; COMPUTE_PGM_RSRC2:TGID_Z_EN: 0
; COMPUTE_PGM_RSRC2:TIDIG_COMP_CNT: 0
	.section	.text._ZN7rocprim17ROCPRIM_400000_NS6detail17trampoline_kernelINS0_13select_configILj256ELj13ELNS0_17block_load_methodE3ELS4_3ELS4_3ELNS0_20block_scan_algorithmE0ELj4294967295EEENS1_25partition_config_selectorILNS1_17partition_subalgoE4EjNS0_10empty_typeEbEEZZNS1_14partition_implILS8_4ELb0ES6_15HIP_vector_typeIjLj2EENS0_17counting_iteratorIjlEEPS9_SG_NS0_5tupleIJPjSI_NS0_16reverse_iteratorISI_EEEEENSH_IJSG_SG_SG_EEES9_SI_JZNS1_25segmented_radix_sort_implINS0_14default_configELb1EPK12hip_bfloat16PSP_PKlPlN2at6native12_GLOBAL__N_18offset_tEEE10hipError_tPvRmT1_PNSt15iterator_traitsIS13_E10value_typeET2_T3_PNS14_IS19_E10value_typeET4_jRbjT5_S1F_jjP12ihipStream_tbEUljE_ZNSN_ISO_Lb1ESR_SS_SU_SV_SZ_EES10_S11_S12_S13_S17_S18_S19_S1C_S1D_jS1E_jS1F_S1F_jjS1H_bEUljE0_EEES10_S11_S12_S19_S1D_S1F_T6_T7_T9_mT8_S1H_bDpT10_ENKUlT_T0_E_clISt17integral_constantIbLb1EES1V_EEDaS1Q_S1R_EUlS1Q_E_NS1_11comp_targetILNS1_3genE0ELNS1_11target_archE4294967295ELNS1_3gpuE0ELNS1_3repE0EEENS1_30default_config_static_selectorELNS0_4arch9wavefront6targetE0EEEvS13_,"axG",@progbits,_ZN7rocprim17ROCPRIM_400000_NS6detail17trampoline_kernelINS0_13select_configILj256ELj13ELNS0_17block_load_methodE3ELS4_3ELS4_3ELNS0_20block_scan_algorithmE0ELj4294967295EEENS1_25partition_config_selectorILNS1_17partition_subalgoE4EjNS0_10empty_typeEbEEZZNS1_14partition_implILS8_4ELb0ES6_15HIP_vector_typeIjLj2EENS0_17counting_iteratorIjlEEPS9_SG_NS0_5tupleIJPjSI_NS0_16reverse_iteratorISI_EEEEENSH_IJSG_SG_SG_EEES9_SI_JZNS1_25segmented_radix_sort_implINS0_14default_configELb1EPK12hip_bfloat16PSP_PKlPlN2at6native12_GLOBAL__N_18offset_tEEE10hipError_tPvRmT1_PNSt15iterator_traitsIS13_E10value_typeET2_T3_PNS14_IS19_E10value_typeET4_jRbjT5_S1F_jjP12ihipStream_tbEUljE_ZNSN_ISO_Lb1ESR_SS_SU_SV_SZ_EES10_S11_S12_S13_S17_S18_S19_S1C_S1D_jS1E_jS1F_S1F_jjS1H_bEUljE0_EEES10_S11_S12_S19_S1D_S1F_T6_T7_T9_mT8_S1H_bDpT10_ENKUlT_T0_E_clISt17integral_constantIbLb1EES1V_EEDaS1Q_S1R_EUlS1Q_E_NS1_11comp_targetILNS1_3genE0ELNS1_11target_archE4294967295ELNS1_3gpuE0ELNS1_3repE0EEENS1_30default_config_static_selectorELNS0_4arch9wavefront6targetE0EEEvS13_,comdat
	.globl	_ZN7rocprim17ROCPRIM_400000_NS6detail17trampoline_kernelINS0_13select_configILj256ELj13ELNS0_17block_load_methodE3ELS4_3ELS4_3ELNS0_20block_scan_algorithmE0ELj4294967295EEENS1_25partition_config_selectorILNS1_17partition_subalgoE4EjNS0_10empty_typeEbEEZZNS1_14partition_implILS8_4ELb0ES6_15HIP_vector_typeIjLj2EENS0_17counting_iteratorIjlEEPS9_SG_NS0_5tupleIJPjSI_NS0_16reverse_iteratorISI_EEEEENSH_IJSG_SG_SG_EEES9_SI_JZNS1_25segmented_radix_sort_implINS0_14default_configELb1EPK12hip_bfloat16PSP_PKlPlN2at6native12_GLOBAL__N_18offset_tEEE10hipError_tPvRmT1_PNSt15iterator_traitsIS13_E10value_typeET2_T3_PNS14_IS19_E10value_typeET4_jRbjT5_S1F_jjP12ihipStream_tbEUljE_ZNSN_ISO_Lb1ESR_SS_SU_SV_SZ_EES10_S11_S12_S13_S17_S18_S19_S1C_S1D_jS1E_jS1F_S1F_jjS1H_bEUljE0_EEES10_S11_S12_S19_S1D_S1F_T6_T7_T9_mT8_S1H_bDpT10_ENKUlT_T0_E_clISt17integral_constantIbLb1EES1V_EEDaS1Q_S1R_EUlS1Q_E_NS1_11comp_targetILNS1_3genE0ELNS1_11target_archE4294967295ELNS1_3gpuE0ELNS1_3repE0EEENS1_30default_config_static_selectorELNS0_4arch9wavefront6targetE0EEEvS13_ ; -- Begin function _ZN7rocprim17ROCPRIM_400000_NS6detail17trampoline_kernelINS0_13select_configILj256ELj13ELNS0_17block_load_methodE3ELS4_3ELS4_3ELNS0_20block_scan_algorithmE0ELj4294967295EEENS1_25partition_config_selectorILNS1_17partition_subalgoE4EjNS0_10empty_typeEbEEZZNS1_14partition_implILS8_4ELb0ES6_15HIP_vector_typeIjLj2EENS0_17counting_iteratorIjlEEPS9_SG_NS0_5tupleIJPjSI_NS0_16reverse_iteratorISI_EEEEENSH_IJSG_SG_SG_EEES9_SI_JZNS1_25segmented_radix_sort_implINS0_14default_configELb1EPK12hip_bfloat16PSP_PKlPlN2at6native12_GLOBAL__N_18offset_tEEE10hipError_tPvRmT1_PNSt15iterator_traitsIS13_E10value_typeET2_T3_PNS14_IS19_E10value_typeET4_jRbjT5_S1F_jjP12ihipStream_tbEUljE_ZNSN_ISO_Lb1ESR_SS_SU_SV_SZ_EES10_S11_S12_S13_S17_S18_S19_S1C_S1D_jS1E_jS1F_S1F_jjS1H_bEUljE0_EEES10_S11_S12_S19_S1D_S1F_T6_T7_T9_mT8_S1H_bDpT10_ENKUlT_T0_E_clISt17integral_constantIbLb1EES1V_EEDaS1Q_S1R_EUlS1Q_E_NS1_11comp_targetILNS1_3genE0ELNS1_11target_archE4294967295ELNS1_3gpuE0ELNS1_3repE0EEENS1_30default_config_static_selectorELNS0_4arch9wavefront6targetE0EEEvS13_
	.p2align	8
	.type	_ZN7rocprim17ROCPRIM_400000_NS6detail17trampoline_kernelINS0_13select_configILj256ELj13ELNS0_17block_load_methodE3ELS4_3ELS4_3ELNS0_20block_scan_algorithmE0ELj4294967295EEENS1_25partition_config_selectorILNS1_17partition_subalgoE4EjNS0_10empty_typeEbEEZZNS1_14partition_implILS8_4ELb0ES6_15HIP_vector_typeIjLj2EENS0_17counting_iteratorIjlEEPS9_SG_NS0_5tupleIJPjSI_NS0_16reverse_iteratorISI_EEEEENSH_IJSG_SG_SG_EEES9_SI_JZNS1_25segmented_radix_sort_implINS0_14default_configELb1EPK12hip_bfloat16PSP_PKlPlN2at6native12_GLOBAL__N_18offset_tEEE10hipError_tPvRmT1_PNSt15iterator_traitsIS13_E10value_typeET2_T3_PNS14_IS19_E10value_typeET4_jRbjT5_S1F_jjP12ihipStream_tbEUljE_ZNSN_ISO_Lb1ESR_SS_SU_SV_SZ_EES10_S11_S12_S13_S17_S18_S19_S1C_S1D_jS1E_jS1F_S1F_jjS1H_bEUljE0_EEES10_S11_S12_S19_S1D_S1F_T6_T7_T9_mT8_S1H_bDpT10_ENKUlT_T0_E_clISt17integral_constantIbLb1EES1V_EEDaS1Q_S1R_EUlS1Q_E_NS1_11comp_targetILNS1_3genE0ELNS1_11target_archE4294967295ELNS1_3gpuE0ELNS1_3repE0EEENS1_30default_config_static_selectorELNS0_4arch9wavefront6targetE0EEEvS13_,@function
_ZN7rocprim17ROCPRIM_400000_NS6detail17trampoline_kernelINS0_13select_configILj256ELj13ELNS0_17block_load_methodE3ELS4_3ELS4_3ELNS0_20block_scan_algorithmE0ELj4294967295EEENS1_25partition_config_selectorILNS1_17partition_subalgoE4EjNS0_10empty_typeEbEEZZNS1_14partition_implILS8_4ELb0ES6_15HIP_vector_typeIjLj2EENS0_17counting_iteratorIjlEEPS9_SG_NS0_5tupleIJPjSI_NS0_16reverse_iteratorISI_EEEEENSH_IJSG_SG_SG_EEES9_SI_JZNS1_25segmented_radix_sort_implINS0_14default_configELb1EPK12hip_bfloat16PSP_PKlPlN2at6native12_GLOBAL__N_18offset_tEEE10hipError_tPvRmT1_PNSt15iterator_traitsIS13_E10value_typeET2_T3_PNS14_IS19_E10value_typeET4_jRbjT5_S1F_jjP12ihipStream_tbEUljE_ZNSN_ISO_Lb1ESR_SS_SU_SV_SZ_EES10_S11_S12_S13_S17_S18_S19_S1C_S1D_jS1E_jS1F_S1F_jjS1H_bEUljE0_EEES10_S11_S12_S19_S1D_S1F_T6_T7_T9_mT8_S1H_bDpT10_ENKUlT_T0_E_clISt17integral_constantIbLb1EES1V_EEDaS1Q_S1R_EUlS1Q_E_NS1_11comp_targetILNS1_3genE0ELNS1_11target_archE4294967295ELNS1_3gpuE0ELNS1_3repE0EEENS1_30default_config_static_selectorELNS0_4arch9wavefront6targetE0EEEvS13_: ; @_ZN7rocprim17ROCPRIM_400000_NS6detail17trampoline_kernelINS0_13select_configILj256ELj13ELNS0_17block_load_methodE3ELS4_3ELS4_3ELNS0_20block_scan_algorithmE0ELj4294967295EEENS1_25partition_config_selectorILNS1_17partition_subalgoE4EjNS0_10empty_typeEbEEZZNS1_14partition_implILS8_4ELb0ES6_15HIP_vector_typeIjLj2EENS0_17counting_iteratorIjlEEPS9_SG_NS0_5tupleIJPjSI_NS0_16reverse_iteratorISI_EEEEENSH_IJSG_SG_SG_EEES9_SI_JZNS1_25segmented_radix_sort_implINS0_14default_configELb1EPK12hip_bfloat16PSP_PKlPlN2at6native12_GLOBAL__N_18offset_tEEE10hipError_tPvRmT1_PNSt15iterator_traitsIS13_E10value_typeET2_T3_PNS14_IS19_E10value_typeET4_jRbjT5_S1F_jjP12ihipStream_tbEUljE_ZNSN_ISO_Lb1ESR_SS_SU_SV_SZ_EES10_S11_S12_S13_S17_S18_S19_S1C_S1D_jS1E_jS1F_S1F_jjS1H_bEUljE0_EEES10_S11_S12_S19_S1D_S1F_T6_T7_T9_mT8_S1H_bDpT10_ENKUlT_T0_E_clISt17integral_constantIbLb1EES1V_EEDaS1Q_S1R_EUlS1Q_E_NS1_11comp_targetILNS1_3genE0ELNS1_11target_archE4294967295ELNS1_3gpuE0ELNS1_3repE0EEENS1_30default_config_static_selectorELNS0_4arch9wavefront6targetE0EEEvS13_
; %bb.0:
	s_endpgm
	.section	.rodata,"a",@progbits
	.p2align	6, 0x0
	.amdhsa_kernel _ZN7rocprim17ROCPRIM_400000_NS6detail17trampoline_kernelINS0_13select_configILj256ELj13ELNS0_17block_load_methodE3ELS4_3ELS4_3ELNS0_20block_scan_algorithmE0ELj4294967295EEENS1_25partition_config_selectorILNS1_17partition_subalgoE4EjNS0_10empty_typeEbEEZZNS1_14partition_implILS8_4ELb0ES6_15HIP_vector_typeIjLj2EENS0_17counting_iteratorIjlEEPS9_SG_NS0_5tupleIJPjSI_NS0_16reverse_iteratorISI_EEEEENSH_IJSG_SG_SG_EEES9_SI_JZNS1_25segmented_radix_sort_implINS0_14default_configELb1EPK12hip_bfloat16PSP_PKlPlN2at6native12_GLOBAL__N_18offset_tEEE10hipError_tPvRmT1_PNSt15iterator_traitsIS13_E10value_typeET2_T3_PNS14_IS19_E10value_typeET4_jRbjT5_S1F_jjP12ihipStream_tbEUljE_ZNSN_ISO_Lb1ESR_SS_SU_SV_SZ_EES10_S11_S12_S13_S17_S18_S19_S1C_S1D_jS1E_jS1F_S1F_jjS1H_bEUljE0_EEES10_S11_S12_S19_S1D_S1F_T6_T7_T9_mT8_S1H_bDpT10_ENKUlT_T0_E_clISt17integral_constantIbLb1EES1V_EEDaS1Q_S1R_EUlS1Q_E_NS1_11comp_targetILNS1_3genE0ELNS1_11target_archE4294967295ELNS1_3gpuE0ELNS1_3repE0EEENS1_30default_config_static_selectorELNS0_4arch9wavefront6targetE0EEEvS13_
		.amdhsa_group_segment_fixed_size 0
		.amdhsa_private_segment_fixed_size 0
		.amdhsa_kernarg_size 184
		.amdhsa_user_sgpr_count 2
		.amdhsa_user_sgpr_dispatch_ptr 0
		.amdhsa_user_sgpr_queue_ptr 0
		.amdhsa_user_sgpr_kernarg_segment_ptr 1
		.amdhsa_user_sgpr_dispatch_id 0
		.amdhsa_user_sgpr_kernarg_preload_length 0
		.amdhsa_user_sgpr_kernarg_preload_offset 0
		.amdhsa_user_sgpr_private_segment_size 0
		.amdhsa_wavefront_size32 1
		.amdhsa_uses_dynamic_stack 0
		.amdhsa_enable_private_segment 0
		.amdhsa_system_sgpr_workgroup_id_x 1
		.amdhsa_system_sgpr_workgroup_id_y 0
		.amdhsa_system_sgpr_workgroup_id_z 0
		.amdhsa_system_sgpr_workgroup_info 0
		.amdhsa_system_vgpr_workitem_id 0
		.amdhsa_next_free_vgpr 1
		.amdhsa_next_free_sgpr 1
		.amdhsa_named_barrier_count 0
		.amdhsa_reserve_vcc 0
		.amdhsa_float_round_mode_32 0
		.amdhsa_float_round_mode_16_64 0
		.amdhsa_float_denorm_mode_32 3
		.amdhsa_float_denorm_mode_16_64 3
		.amdhsa_fp16_overflow 0
		.amdhsa_memory_ordered 1
		.amdhsa_forward_progress 1
		.amdhsa_inst_pref_size 1
		.amdhsa_round_robin_scheduling 0
		.amdhsa_exception_fp_ieee_invalid_op 0
		.amdhsa_exception_fp_denorm_src 0
		.amdhsa_exception_fp_ieee_div_zero 0
		.amdhsa_exception_fp_ieee_overflow 0
		.amdhsa_exception_fp_ieee_underflow 0
		.amdhsa_exception_fp_ieee_inexact 0
		.amdhsa_exception_int_div_zero 0
	.end_amdhsa_kernel
	.section	.text._ZN7rocprim17ROCPRIM_400000_NS6detail17trampoline_kernelINS0_13select_configILj256ELj13ELNS0_17block_load_methodE3ELS4_3ELS4_3ELNS0_20block_scan_algorithmE0ELj4294967295EEENS1_25partition_config_selectorILNS1_17partition_subalgoE4EjNS0_10empty_typeEbEEZZNS1_14partition_implILS8_4ELb0ES6_15HIP_vector_typeIjLj2EENS0_17counting_iteratorIjlEEPS9_SG_NS0_5tupleIJPjSI_NS0_16reverse_iteratorISI_EEEEENSH_IJSG_SG_SG_EEES9_SI_JZNS1_25segmented_radix_sort_implINS0_14default_configELb1EPK12hip_bfloat16PSP_PKlPlN2at6native12_GLOBAL__N_18offset_tEEE10hipError_tPvRmT1_PNSt15iterator_traitsIS13_E10value_typeET2_T3_PNS14_IS19_E10value_typeET4_jRbjT5_S1F_jjP12ihipStream_tbEUljE_ZNSN_ISO_Lb1ESR_SS_SU_SV_SZ_EES10_S11_S12_S13_S17_S18_S19_S1C_S1D_jS1E_jS1F_S1F_jjS1H_bEUljE0_EEES10_S11_S12_S19_S1D_S1F_T6_T7_T9_mT8_S1H_bDpT10_ENKUlT_T0_E_clISt17integral_constantIbLb1EES1V_EEDaS1Q_S1R_EUlS1Q_E_NS1_11comp_targetILNS1_3genE0ELNS1_11target_archE4294967295ELNS1_3gpuE0ELNS1_3repE0EEENS1_30default_config_static_selectorELNS0_4arch9wavefront6targetE0EEEvS13_,"axG",@progbits,_ZN7rocprim17ROCPRIM_400000_NS6detail17trampoline_kernelINS0_13select_configILj256ELj13ELNS0_17block_load_methodE3ELS4_3ELS4_3ELNS0_20block_scan_algorithmE0ELj4294967295EEENS1_25partition_config_selectorILNS1_17partition_subalgoE4EjNS0_10empty_typeEbEEZZNS1_14partition_implILS8_4ELb0ES6_15HIP_vector_typeIjLj2EENS0_17counting_iteratorIjlEEPS9_SG_NS0_5tupleIJPjSI_NS0_16reverse_iteratorISI_EEEEENSH_IJSG_SG_SG_EEES9_SI_JZNS1_25segmented_radix_sort_implINS0_14default_configELb1EPK12hip_bfloat16PSP_PKlPlN2at6native12_GLOBAL__N_18offset_tEEE10hipError_tPvRmT1_PNSt15iterator_traitsIS13_E10value_typeET2_T3_PNS14_IS19_E10value_typeET4_jRbjT5_S1F_jjP12ihipStream_tbEUljE_ZNSN_ISO_Lb1ESR_SS_SU_SV_SZ_EES10_S11_S12_S13_S17_S18_S19_S1C_S1D_jS1E_jS1F_S1F_jjS1H_bEUljE0_EEES10_S11_S12_S19_S1D_S1F_T6_T7_T9_mT8_S1H_bDpT10_ENKUlT_T0_E_clISt17integral_constantIbLb1EES1V_EEDaS1Q_S1R_EUlS1Q_E_NS1_11comp_targetILNS1_3genE0ELNS1_11target_archE4294967295ELNS1_3gpuE0ELNS1_3repE0EEENS1_30default_config_static_selectorELNS0_4arch9wavefront6targetE0EEEvS13_,comdat
.Lfunc_end1880:
	.size	_ZN7rocprim17ROCPRIM_400000_NS6detail17trampoline_kernelINS0_13select_configILj256ELj13ELNS0_17block_load_methodE3ELS4_3ELS4_3ELNS0_20block_scan_algorithmE0ELj4294967295EEENS1_25partition_config_selectorILNS1_17partition_subalgoE4EjNS0_10empty_typeEbEEZZNS1_14partition_implILS8_4ELb0ES6_15HIP_vector_typeIjLj2EENS0_17counting_iteratorIjlEEPS9_SG_NS0_5tupleIJPjSI_NS0_16reverse_iteratorISI_EEEEENSH_IJSG_SG_SG_EEES9_SI_JZNS1_25segmented_radix_sort_implINS0_14default_configELb1EPK12hip_bfloat16PSP_PKlPlN2at6native12_GLOBAL__N_18offset_tEEE10hipError_tPvRmT1_PNSt15iterator_traitsIS13_E10value_typeET2_T3_PNS14_IS19_E10value_typeET4_jRbjT5_S1F_jjP12ihipStream_tbEUljE_ZNSN_ISO_Lb1ESR_SS_SU_SV_SZ_EES10_S11_S12_S13_S17_S18_S19_S1C_S1D_jS1E_jS1F_S1F_jjS1H_bEUljE0_EEES10_S11_S12_S19_S1D_S1F_T6_T7_T9_mT8_S1H_bDpT10_ENKUlT_T0_E_clISt17integral_constantIbLb1EES1V_EEDaS1Q_S1R_EUlS1Q_E_NS1_11comp_targetILNS1_3genE0ELNS1_11target_archE4294967295ELNS1_3gpuE0ELNS1_3repE0EEENS1_30default_config_static_selectorELNS0_4arch9wavefront6targetE0EEEvS13_, .Lfunc_end1880-_ZN7rocprim17ROCPRIM_400000_NS6detail17trampoline_kernelINS0_13select_configILj256ELj13ELNS0_17block_load_methodE3ELS4_3ELS4_3ELNS0_20block_scan_algorithmE0ELj4294967295EEENS1_25partition_config_selectorILNS1_17partition_subalgoE4EjNS0_10empty_typeEbEEZZNS1_14partition_implILS8_4ELb0ES6_15HIP_vector_typeIjLj2EENS0_17counting_iteratorIjlEEPS9_SG_NS0_5tupleIJPjSI_NS0_16reverse_iteratorISI_EEEEENSH_IJSG_SG_SG_EEES9_SI_JZNS1_25segmented_radix_sort_implINS0_14default_configELb1EPK12hip_bfloat16PSP_PKlPlN2at6native12_GLOBAL__N_18offset_tEEE10hipError_tPvRmT1_PNSt15iterator_traitsIS13_E10value_typeET2_T3_PNS14_IS19_E10value_typeET4_jRbjT5_S1F_jjP12ihipStream_tbEUljE_ZNSN_ISO_Lb1ESR_SS_SU_SV_SZ_EES10_S11_S12_S13_S17_S18_S19_S1C_S1D_jS1E_jS1F_S1F_jjS1H_bEUljE0_EEES10_S11_S12_S19_S1D_S1F_T6_T7_T9_mT8_S1H_bDpT10_ENKUlT_T0_E_clISt17integral_constantIbLb1EES1V_EEDaS1Q_S1R_EUlS1Q_E_NS1_11comp_targetILNS1_3genE0ELNS1_11target_archE4294967295ELNS1_3gpuE0ELNS1_3repE0EEENS1_30default_config_static_selectorELNS0_4arch9wavefront6targetE0EEEvS13_
                                        ; -- End function
	.set _ZN7rocprim17ROCPRIM_400000_NS6detail17trampoline_kernelINS0_13select_configILj256ELj13ELNS0_17block_load_methodE3ELS4_3ELS4_3ELNS0_20block_scan_algorithmE0ELj4294967295EEENS1_25partition_config_selectorILNS1_17partition_subalgoE4EjNS0_10empty_typeEbEEZZNS1_14partition_implILS8_4ELb0ES6_15HIP_vector_typeIjLj2EENS0_17counting_iteratorIjlEEPS9_SG_NS0_5tupleIJPjSI_NS0_16reverse_iteratorISI_EEEEENSH_IJSG_SG_SG_EEES9_SI_JZNS1_25segmented_radix_sort_implINS0_14default_configELb1EPK12hip_bfloat16PSP_PKlPlN2at6native12_GLOBAL__N_18offset_tEEE10hipError_tPvRmT1_PNSt15iterator_traitsIS13_E10value_typeET2_T3_PNS14_IS19_E10value_typeET4_jRbjT5_S1F_jjP12ihipStream_tbEUljE_ZNSN_ISO_Lb1ESR_SS_SU_SV_SZ_EES10_S11_S12_S13_S17_S18_S19_S1C_S1D_jS1E_jS1F_S1F_jjS1H_bEUljE0_EEES10_S11_S12_S19_S1D_S1F_T6_T7_T9_mT8_S1H_bDpT10_ENKUlT_T0_E_clISt17integral_constantIbLb1EES1V_EEDaS1Q_S1R_EUlS1Q_E_NS1_11comp_targetILNS1_3genE0ELNS1_11target_archE4294967295ELNS1_3gpuE0ELNS1_3repE0EEENS1_30default_config_static_selectorELNS0_4arch9wavefront6targetE0EEEvS13_.num_vgpr, 0
	.set _ZN7rocprim17ROCPRIM_400000_NS6detail17trampoline_kernelINS0_13select_configILj256ELj13ELNS0_17block_load_methodE3ELS4_3ELS4_3ELNS0_20block_scan_algorithmE0ELj4294967295EEENS1_25partition_config_selectorILNS1_17partition_subalgoE4EjNS0_10empty_typeEbEEZZNS1_14partition_implILS8_4ELb0ES6_15HIP_vector_typeIjLj2EENS0_17counting_iteratorIjlEEPS9_SG_NS0_5tupleIJPjSI_NS0_16reverse_iteratorISI_EEEEENSH_IJSG_SG_SG_EEES9_SI_JZNS1_25segmented_radix_sort_implINS0_14default_configELb1EPK12hip_bfloat16PSP_PKlPlN2at6native12_GLOBAL__N_18offset_tEEE10hipError_tPvRmT1_PNSt15iterator_traitsIS13_E10value_typeET2_T3_PNS14_IS19_E10value_typeET4_jRbjT5_S1F_jjP12ihipStream_tbEUljE_ZNSN_ISO_Lb1ESR_SS_SU_SV_SZ_EES10_S11_S12_S13_S17_S18_S19_S1C_S1D_jS1E_jS1F_S1F_jjS1H_bEUljE0_EEES10_S11_S12_S19_S1D_S1F_T6_T7_T9_mT8_S1H_bDpT10_ENKUlT_T0_E_clISt17integral_constantIbLb1EES1V_EEDaS1Q_S1R_EUlS1Q_E_NS1_11comp_targetILNS1_3genE0ELNS1_11target_archE4294967295ELNS1_3gpuE0ELNS1_3repE0EEENS1_30default_config_static_selectorELNS0_4arch9wavefront6targetE0EEEvS13_.num_agpr, 0
	.set _ZN7rocprim17ROCPRIM_400000_NS6detail17trampoline_kernelINS0_13select_configILj256ELj13ELNS0_17block_load_methodE3ELS4_3ELS4_3ELNS0_20block_scan_algorithmE0ELj4294967295EEENS1_25partition_config_selectorILNS1_17partition_subalgoE4EjNS0_10empty_typeEbEEZZNS1_14partition_implILS8_4ELb0ES6_15HIP_vector_typeIjLj2EENS0_17counting_iteratorIjlEEPS9_SG_NS0_5tupleIJPjSI_NS0_16reverse_iteratorISI_EEEEENSH_IJSG_SG_SG_EEES9_SI_JZNS1_25segmented_radix_sort_implINS0_14default_configELb1EPK12hip_bfloat16PSP_PKlPlN2at6native12_GLOBAL__N_18offset_tEEE10hipError_tPvRmT1_PNSt15iterator_traitsIS13_E10value_typeET2_T3_PNS14_IS19_E10value_typeET4_jRbjT5_S1F_jjP12ihipStream_tbEUljE_ZNSN_ISO_Lb1ESR_SS_SU_SV_SZ_EES10_S11_S12_S13_S17_S18_S19_S1C_S1D_jS1E_jS1F_S1F_jjS1H_bEUljE0_EEES10_S11_S12_S19_S1D_S1F_T6_T7_T9_mT8_S1H_bDpT10_ENKUlT_T0_E_clISt17integral_constantIbLb1EES1V_EEDaS1Q_S1R_EUlS1Q_E_NS1_11comp_targetILNS1_3genE0ELNS1_11target_archE4294967295ELNS1_3gpuE0ELNS1_3repE0EEENS1_30default_config_static_selectorELNS0_4arch9wavefront6targetE0EEEvS13_.numbered_sgpr, 0
	.set _ZN7rocprim17ROCPRIM_400000_NS6detail17trampoline_kernelINS0_13select_configILj256ELj13ELNS0_17block_load_methodE3ELS4_3ELS4_3ELNS0_20block_scan_algorithmE0ELj4294967295EEENS1_25partition_config_selectorILNS1_17partition_subalgoE4EjNS0_10empty_typeEbEEZZNS1_14partition_implILS8_4ELb0ES6_15HIP_vector_typeIjLj2EENS0_17counting_iteratorIjlEEPS9_SG_NS0_5tupleIJPjSI_NS0_16reverse_iteratorISI_EEEEENSH_IJSG_SG_SG_EEES9_SI_JZNS1_25segmented_radix_sort_implINS0_14default_configELb1EPK12hip_bfloat16PSP_PKlPlN2at6native12_GLOBAL__N_18offset_tEEE10hipError_tPvRmT1_PNSt15iterator_traitsIS13_E10value_typeET2_T3_PNS14_IS19_E10value_typeET4_jRbjT5_S1F_jjP12ihipStream_tbEUljE_ZNSN_ISO_Lb1ESR_SS_SU_SV_SZ_EES10_S11_S12_S13_S17_S18_S19_S1C_S1D_jS1E_jS1F_S1F_jjS1H_bEUljE0_EEES10_S11_S12_S19_S1D_S1F_T6_T7_T9_mT8_S1H_bDpT10_ENKUlT_T0_E_clISt17integral_constantIbLb1EES1V_EEDaS1Q_S1R_EUlS1Q_E_NS1_11comp_targetILNS1_3genE0ELNS1_11target_archE4294967295ELNS1_3gpuE0ELNS1_3repE0EEENS1_30default_config_static_selectorELNS0_4arch9wavefront6targetE0EEEvS13_.num_named_barrier, 0
	.set _ZN7rocprim17ROCPRIM_400000_NS6detail17trampoline_kernelINS0_13select_configILj256ELj13ELNS0_17block_load_methodE3ELS4_3ELS4_3ELNS0_20block_scan_algorithmE0ELj4294967295EEENS1_25partition_config_selectorILNS1_17partition_subalgoE4EjNS0_10empty_typeEbEEZZNS1_14partition_implILS8_4ELb0ES6_15HIP_vector_typeIjLj2EENS0_17counting_iteratorIjlEEPS9_SG_NS0_5tupleIJPjSI_NS0_16reverse_iteratorISI_EEEEENSH_IJSG_SG_SG_EEES9_SI_JZNS1_25segmented_radix_sort_implINS0_14default_configELb1EPK12hip_bfloat16PSP_PKlPlN2at6native12_GLOBAL__N_18offset_tEEE10hipError_tPvRmT1_PNSt15iterator_traitsIS13_E10value_typeET2_T3_PNS14_IS19_E10value_typeET4_jRbjT5_S1F_jjP12ihipStream_tbEUljE_ZNSN_ISO_Lb1ESR_SS_SU_SV_SZ_EES10_S11_S12_S13_S17_S18_S19_S1C_S1D_jS1E_jS1F_S1F_jjS1H_bEUljE0_EEES10_S11_S12_S19_S1D_S1F_T6_T7_T9_mT8_S1H_bDpT10_ENKUlT_T0_E_clISt17integral_constantIbLb1EES1V_EEDaS1Q_S1R_EUlS1Q_E_NS1_11comp_targetILNS1_3genE0ELNS1_11target_archE4294967295ELNS1_3gpuE0ELNS1_3repE0EEENS1_30default_config_static_selectorELNS0_4arch9wavefront6targetE0EEEvS13_.private_seg_size, 0
	.set _ZN7rocprim17ROCPRIM_400000_NS6detail17trampoline_kernelINS0_13select_configILj256ELj13ELNS0_17block_load_methodE3ELS4_3ELS4_3ELNS0_20block_scan_algorithmE0ELj4294967295EEENS1_25partition_config_selectorILNS1_17partition_subalgoE4EjNS0_10empty_typeEbEEZZNS1_14partition_implILS8_4ELb0ES6_15HIP_vector_typeIjLj2EENS0_17counting_iteratorIjlEEPS9_SG_NS0_5tupleIJPjSI_NS0_16reverse_iteratorISI_EEEEENSH_IJSG_SG_SG_EEES9_SI_JZNS1_25segmented_radix_sort_implINS0_14default_configELb1EPK12hip_bfloat16PSP_PKlPlN2at6native12_GLOBAL__N_18offset_tEEE10hipError_tPvRmT1_PNSt15iterator_traitsIS13_E10value_typeET2_T3_PNS14_IS19_E10value_typeET4_jRbjT5_S1F_jjP12ihipStream_tbEUljE_ZNSN_ISO_Lb1ESR_SS_SU_SV_SZ_EES10_S11_S12_S13_S17_S18_S19_S1C_S1D_jS1E_jS1F_S1F_jjS1H_bEUljE0_EEES10_S11_S12_S19_S1D_S1F_T6_T7_T9_mT8_S1H_bDpT10_ENKUlT_T0_E_clISt17integral_constantIbLb1EES1V_EEDaS1Q_S1R_EUlS1Q_E_NS1_11comp_targetILNS1_3genE0ELNS1_11target_archE4294967295ELNS1_3gpuE0ELNS1_3repE0EEENS1_30default_config_static_selectorELNS0_4arch9wavefront6targetE0EEEvS13_.uses_vcc, 0
	.set _ZN7rocprim17ROCPRIM_400000_NS6detail17trampoline_kernelINS0_13select_configILj256ELj13ELNS0_17block_load_methodE3ELS4_3ELS4_3ELNS0_20block_scan_algorithmE0ELj4294967295EEENS1_25partition_config_selectorILNS1_17partition_subalgoE4EjNS0_10empty_typeEbEEZZNS1_14partition_implILS8_4ELb0ES6_15HIP_vector_typeIjLj2EENS0_17counting_iteratorIjlEEPS9_SG_NS0_5tupleIJPjSI_NS0_16reverse_iteratorISI_EEEEENSH_IJSG_SG_SG_EEES9_SI_JZNS1_25segmented_radix_sort_implINS0_14default_configELb1EPK12hip_bfloat16PSP_PKlPlN2at6native12_GLOBAL__N_18offset_tEEE10hipError_tPvRmT1_PNSt15iterator_traitsIS13_E10value_typeET2_T3_PNS14_IS19_E10value_typeET4_jRbjT5_S1F_jjP12ihipStream_tbEUljE_ZNSN_ISO_Lb1ESR_SS_SU_SV_SZ_EES10_S11_S12_S13_S17_S18_S19_S1C_S1D_jS1E_jS1F_S1F_jjS1H_bEUljE0_EEES10_S11_S12_S19_S1D_S1F_T6_T7_T9_mT8_S1H_bDpT10_ENKUlT_T0_E_clISt17integral_constantIbLb1EES1V_EEDaS1Q_S1R_EUlS1Q_E_NS1_11comp_targetILNS1_3genE0ELNS1_11target_archE4294967295ELNS1_3gpuE0ELNS1_3repE0EEENS1_30default_config_static_selectorELNS0_4arch9wavefront6targetE0EEEvS13_.uses_flat_scratch, 0
	.set _ZN7rocprim17ROCPRIM_400000_NS6detail17trampoline_kernelINS0_13select_configILj256ELj13ELNS0_17block_load_methodE3ELS4_3ELS4_3ELNS0_20block_scan_algorithmE0ELj4294967295EEENS1_25partition_config_selectorILNS1_17partition_subalgoE4EjNS0_10empty_typeEbEEZZNS1_14partition_implILS8_4ELb0ES6_15HIP_vector_typeIjLj2EENS0_17counting_iteratorIjlEEPS9_SG_NS0_5tupleIJPjSI_NS0_16reverse_iteratorISI_EEEEENSH_IJSG_SG_SG_EEES9_SI_JZNS1_25segmented_radix_sort_implINS0_14default_configELb1EPK12hip_bfloat16PSP_PKlPlN2at6native12_GLOBAL__N_18offset_tEEE10hipError_tPvRmT1_PNSt15iterator_traitsIS13_E10value_typeET2_T3_PNS14_IS19_E10value_typeET4_jRbjT5_S1F_jjP12ihipStream_tbEUljE_ZNSN_ISO_Lb1ESR_SS_SU_SV_SZ_EES10_S11_S12_S13_S17_S18_S19_S1C_S1D_jS1E_jS1F_S1F_jjS1H_bEUljE0_EEES10_S11_S12_S19_S1D_S1F_T6_T7_T9_mT8_S1H_bDpT10_ENKUlT_T0_E_clISt17integral_constantIbLb1EES1V_EEDaS1Q_S1R_EUlS1Q_E_NS1_11comp_targetILNS1_3genE0ELNS1_11target_archE4294967295ELNS1_3gpuE0ELNS1_3repE0EEENS1_30default_config_static_selectorELNS0_4arch9wavefront6targetE0EEEvS13_.has_dyn_sized_stack, 0
	.set _ZN7rocprim17ROCPRIM_400000_NS6detail17trampoline_kernelINS0_13select_configILj256ELj13ELNS0_17block_load_methodE3ELS4_3ELS4_3ELNS0_20block_scan_algorithmE0ELj4294967295EEENS1_25partition_config_selectorILNS1_17partition_subalgoE4EjNS0_10empty_typeEbEEZZNS1_14partition_implILS8_4ELb0ES6_15HIP_vector_typeIjLj2EENS0_17counting_iteratorIjlEEPS9_SG_NS0_5tupleIJPjSI_NS0_16reverse_iteratorISI_EEEEENSH_IJSG_SG_SG_EEES9_SI_JZNS1_25segmented_radix_sort_implINS0_14default_configELb1EPK12hip_bfloat16PSP_PKlPlN2at6native12_GLOBAL__N_18offset_tEEE10hipError_tPvRmT1_PNSt15iterator_traitsIS13_E10value_typeET2_T3_PNS14_IS19_E10value_typeET4_jRbjT5_S1F_jjP12ihipStream_tbEUljE_ZNSN_ISO_Lb1ESR_SS_SU_SV_SZ_EES10_S11_S12_S13_S17_S18_S19_S1C_S1D_jS1E_jS1F_S1F_jjS1H_bEUljE0_EEES10_S11_S12_S19_S1D_S1F_T6_T7_T9_mT8_S1H_bDpT10_ENKUlT_T0_E_clISt17integral_constantIbLb1EES1V_EEDaS1Q_S1R_EUlS1Q_E_NS1_11comp_targetILNS1_3genE0ELNS1_11target_archE4294967295ELNS1_3gpuE0ELNS1_3repE0EEENS1_30default_config_static_selectorELNS0_4arch9wavefront6targetE0EEEvS13_.has_recursion, 0
	.set _ZN7rocprim17ROCPRIM_400000_NS6detail17trampoline_kernelINS0_13select_configILj256ELj13ELNS0_17block_load_methodE3ELS4_3ELS4_3ELNS0_20block_scan_algorithmE0ELj4294967295EEENS1_25partition_config_selectorILNS1_17partition_subalgoE4EjNS0_10empty_typeEbEEZZNS1_14partition_implILS8_4ELb0ES6_15HIP_vector_typeIjLj2EENS0_17counting_iteratorIjlEEPS9_SG_NS0_5tupleIJPjSI_NS0_16reverse_iteratorISI_EEEEENSH_IJSG_SG_SG_EEES9_SI_JZNS1_25segmented_radix_sort_implINS0_14default_configELb1EPK12hip_bfloat16PSP_PKlPlN2at6native12_GLOBAL__N_18offset_tEEE10hipError_tPvRmT1_PNSt15iterator_traitsIS13_E10value_typeET2_T3_PNS14_IS19_E10value_typeET4_jRbjT5_S1F_jjP12ihipStream_tbEUljE_ZNSN_ISO_Lb1ESR_SS_SU_SV_SZ_EES10_S11_S12_S13_S17_S18_S19_S1C_S1D_jS1E_jS1F_S1F_jjS1H_bEUljE0_EEES10_S11_S12_S19_S1D_S1F_T6_T7_T9_mT8_S1H_bDpT10_ENKUlT_T0_E_clISt17integral_constantIbLb1EES1V_EEDaS1Q_S1R_EUlS1Q_E_NS1_11comp_targetILNS1_3genE0ELNS1_11target_archE4294967295ELNS1_3gpuE0ELNS1_3repE0EEENS1_30default_config_static_selectorELNS0_4arch9wavefront6targetE0EEEvS13_.has_indirect_call, 0
	.section	.AMDGPU.csdata,"",@progbits
; Kernel info:
; codeLenInByte = 4
; TotalNumSgprs: 0
; NumVgprs: 0
; ScratchSize: 0
; MemoryBound: 0
; FloatMode: 240
; IeeeMode: 1
; LDSByteSize: 0 bytes/workgroup (compile time only)
; SGPRBlocks: 0
; VGPRBlocks: 0
; NumSGPRsForWavesPerEU: 1
; NumVGPRsForWavesPerEU: 1
; NamedBarCnt: 0
; Occupancy: 16
; WaveLimiterHint : 0
; COMPUTE_PGM_RSRC2:SCRATCH_EN: 0
; COMPUTE_PGM_RSRC2:USER_SGPR: 2
; COMPUTE_PGM_RSRC2:TRAP_HANDLER: 0
; COMPUTE_PGM_RSRC2:TGID_X_EN: 1
; COMPUTE_PGM_RSRC2:TGID_Y_EN: 0
; COMPUTE_PGM_RSRC2:TGID_Z_EN: 0
; COMPUTE_PGM_RSRC2:TIDIG_COMP_CNT: 0
	.section	.text._ZN7rocprim17ROCPRIM_400000_NS6detail17trampoline_kernelINS0_13select_configILj256ELj13ELNS0_17block_load_methodE3ELS4_3ELS4_3ELNS0_20block_scan_algorithmE0ELj4294967295EEENS1_25partition_config_selectorILNS1_17partition_subalgoE4EjNS0_10empty_typeEbEEZZNS1_14partition_implILS8_4ELb0ES6_15HIP_vector_typeIjLj2EENS0_17counting_iteratorIjlEEPS9_SG_NS0_5tupleIJPjSI_NS0_16reverse_iteratorISI_EEEEENSH_IJSG_SG_SG_EEES9_SI_JZNS1_25segmented_radix_sort_implINS0_14default_configELb1EPK12hip_bfloat16PSP_PKlPlN2at6native12_GLOBAL__N_18offset_tEEE10hipError_tPvRmT1_PNSt15iterator_traitsIS13_E10value_typeET2_T3_PNS14_IS19_E10value_typeET4_jRbjT5_S1F_jjP12ihipStream_tbEUljE_ZNSN_ISO_Lb1ESR_SS_SU_SV_SZ_EES10_S11_S12_S13_S17_S18_S19_S1C_S1D_jS1E_jS1F_S1F_jjS1H_bEUljE0_EEES10_S11_S12_S19_S1D_S1F_T6_T7_T9_mT8_S1H_bDpT10_ENKUlT_T0_E_clISt17integral_constantIbLb1EES1V_EEDaS1Q_S1R_EUlS1Q_E_NS1_11comp_targetILNS1_3genE5ELNS1_11target_archE942ELNS1_3gpuE9ELNS1_3repE0EEENS1_30default_config_static_selectorELNS0_4arch9wavefront6targetE0EEEvS13_,"axG",@progbits,_ZN7rocprim17ROCPRIM_400000_NS6detail17trampoline_kernelINS0_13select_configILj256ELj13ELNS0_17block_load_methodE3ELS4_3ELS4_3ELNS0_20block_scan_algorithmE0ELj4294967295EEENS1_25partition_config_selectorILNS1_17partition_subalgoE4EjNS0_10empty_typeEbEEZZNS1_14partition_implILS8_4ELb0ES6_15HIP_vector_typeIjLj2EENS0_17counting_iteratorIjlEEPS9_SG_NS0_5tupleIJPjSI_NS0_16reverse_iteratorISI_EEEEENSH_IJSG_SG_SG_EEES9_SI_JZNS1_25segmented_radix_sort_implINS0_14default_configELb1EPK12hip_bfloat16PSP_PKlPlN2at6native12_GLOBAL__N_18offset_tEEE10hipError_tPvRmT1_PNSt15iterator_traitsIS13_E10value_typeET2_T3_PNS14_IS19_E10value_typeET4_jRbjT5_S1F_jjP12ihipStream_tbEUljE_ZNSN_ISO_Lb1ESR_SS_SU_SV_SZ_EES10_S11_S12_S13_S17_S18_S19_S1C_S1D_jS1E_jS1F_S1F_jjS1H_bEUljE0_EEES10_S11_S12_S19_S1D_S1F_T6_T7_T9_mT8_S1H_bDpT10_ENKUlT_T0_E_clISt17integral_constantIbLb1EES1V_EEDaS1Q_S1R_EUlS1Q_E_NS1_11comp_targetILNS1_3genE5ELNS1_11target_archE942ELNS1_3gpuE9ELNS1_3repE0EEENS1_30default_config_static_selectorELNS0_4arch9wavefront6targetE0EEEvS13_,comdat
	.globl	_ZN7rocprim17ROCPRIM_400000_NS6detail17trampoline_kernelINS0_13select_configILj256ELj13ELNS0_17block_load_methodE3ELS4_3ELS4_3ELNS0_20block_scan_algorithmE0ELj4294967295EEENS1_25partition_config_selectorILNS1_17partition_subalgoE4EjNS0_10empty_typeEbEEZZNS1_14partition_implILS8_4ELb0ES6_15HIP_vector_typeIjLj2EENS0_17counting_iteratorIjlEEPS9_SG_NS0_5tupleIJPjSI_NS0_16reverse_iteratorISI_EEEEENSH_IJSG_SG_SG_EEES9_SI_JZNS1_25segmented_radix_sort_implINS0_14default_configELb1EPK12hip_bfloat16PSP_PKlPlN2at6native12_GLOBAL__N_18offset_tEEE10hipError_tPvRmT1_PNSt15iterator_traitsIS13_E10value_typeET2_T3_PNS14_IS19_E10value_typeET4_jRbjT5_S1F_jjP12ihipStream_tbEUljE_ZNSN_ISO_Lb1ESR_SS_SU_SV_SZ_EES10_S11_S12_S13_S17_S18_S19_S1C_S1D_jS1E_jS1F_S1F_jjS1H_bEUljE0_EEES10_S11_S12_S19_S1D_S1F_T6_T7_T9_mT8_S1H_bDpT10_ENKUlT_T0_E_clISt17integral_constantIbLb1EES1V_EEDaS1Q_S1R_EUlS1Q_E_NS1_11comp_targetILNS1_3genE5ELNS1_11target_archE942ELNS1_3gpuE9ELNS1_3repE0EEENS1_30default_config_static_selectorELNS0_4arch9wavefront6targetE0EEEvS13_ ; -- Begin function _ZN7rocprim17ROCPRIM_400000_NS6detail17trampoline_kernelINS0_13select_configILj256ELj13ELNS0_17block_load_methodE3ELS4_3ELS4_3ELNS0_20block_scan_algorithmE0ELj4294967295EEENS1_25partition_config_selectorILNS1_17partition_subalgoE4EjNS0_10empty_typeEbEEZZNS1_14partition_implILS8_4ELb0ES6_15HIP_vector_typeIjLj2EENS0_17counting_iteratorIjlEEPS9_SG_NS0_5tupleIJPjSI_NS0_16reverse_iteratorISI_EEEEENSH_IJSG_SG_SG_EEES9_SI_JZNS1_25segmented_radix_sort_implINS0_14default_configELb1EPK12hip_bfloat16PSP_PKlPlN2at6native12_GLOBAL__N_18offset_tEEE10hipError_tPvRmT1_PNSt15iterator_traitsIS13_E10value_typeET2_T3_PNS14_IS19_E10value_typeET4_jRbjT5_S1F_jjP12ihipStream_tbEUljE_ZNSN_ISO_Lb1ESR_SS_SU_SV_SZ_EES10_S11_S12_S13_S17_S18_S19_S1C_S1D_jS1E_jS1F_S1F_jjS1H_bEUljE0_EEES10_S11_S12_S19_S1D_S1F_T6_T7_T9_mT8_S1H_bDpT10_ENKUlT_T0_E_clISt17integral_constantIbLb1EES1V_EEDaS1Q_S1R_EUlS1Q_E_NS1_11comp_targetILNS1_3genE5ELNS1_11target_archE942ELNS1_3gpuE9ELNS1_3repE0EEENS1_30default_config_static_selectorELNS0_4arch9wavefront6targetE0EEEvS13_
	.p2align	8
	.type	_ZN7rocprim17ROCPRIM_400000_NS6detail17trampoline_kernelINS0_13select_configILj256ELj13ELNS0_17block_load_methodE3ELS4_3ELS4_3ELNS0_20block_scan_algorithmE0ELj4294967295EEENS1_25partition_config_selectorILNS1_17partition_subalgoE4EjNS0_10empty_typeEbEEZZNS1_14partition_implILS8_4ELb0ES6_15HIP_vector_typeIjLj2EENS0_17counting_iteratorIjlEEPS9_SG_NS0_5tupleIJPjSI_NS0_16reverse_iteratorISI_EEEEENSH_IJSG_SG_SG_EEES9_SI_JZNS1_25segmented_radix_sort_implINS0_14default_configELb1EPK12hip_bfloat16PSP_PKlPlN2at6native12_GLOBAL__N_18offset_tEEE10hipError_tPvRmT1_PNSt15iterator_traitsIS13_E10value_typeET2_T3_PNS14_IS19_E10value_typeET4_jRbjT5_S1F_jjP12ihipStream_tbEUljE_ZNSN_ISO_Lb1ESR_SS_SU_SV_SZ_EES10_S11_S12_S13_S17_S18_S19_S1C_S1D_jS1E_jS1F_S1F_jjS1H_bEUljE0_EEES10_S11_S12_S19_S1D_S1F_T6_T7_T9_mT8_S1H_bDpT10_ENKUlT_T0_E_clISt17integral_constantIbLb1EES1V_EEDaS1Q_S1R_EUlS1Q_E_NS1_11comp_targetILNS1_3genE5ELNS1_11target_archE942ELNS1_3gpuE9ELNS1_3repE0EEENS1_30default_config_static_selectorELNS0_4arch9wavefront6targetE0EEEvS13_,@function
_ZN7rocprim17ROCPRIM_400000_NS6detail17trampoline_kernelINS0_13select_configILj256ELj13ELNS0_17block_load_methodE3ELS4_3ELS4_3ELNS0_20block_scan_algorithmE0ELj4294967295EEENS1_25partition_config_selectorILNS1_17partition_subalgoE4EjNS0_10empty_typeEbEEZZNS1_14partition_implILS8_4ELb0ES6_15HIP_vector_typeIjLj2EENS0_17counting_iteratorIjlEEPS9_SG_NS0_5tupleIJPjSI_NS0_16reverse_iteratorISI_EEEEENSH_IJSG_SG_SG_EEES9_SI_JZNS1_25segmented_radix_sort_implINS0_14default_configELb1EPK12hip_bfloat16PSP_PKlPlN2at6native12_GLOBAL__N_18offset_tEEE10hipError_tPvRmT1_PNSt15iterator_traitsIS13_E10value_typeET2_T3_PNS14_IS19_E10value_typeET4_jRbjT5_S1F_jjP12ihipStream_tbEUljE_ZNSN_ISO_Lb1ESR_SS_SU_SV_SZ_EES10_S11_S12_S13_S17_S18_S19_S1C_S1D_jS1E_jS1F_S1F_jjS1H_bEUljE0_EEES10_S11_S12_S19_S1D_S1F_T6_T7_T9_mT8_S1H_bDpT10_ENKUlT_T0_E_clISt17integral_constantIbLb1EES1V_EEDaS1Q_S1R_EUlS1Q_E_NS1_11comp_targetILNS1_3genE5ELNS1_11target_archE942ELNS1_3gpuE9ELNS1_3repE0EEENS1_30default_config_static_selectorELNS0_4arch9wavefront6targetE0EEEvS13_: ; @_ZN7rocprim17ROCPRIM_400000_NS6detail17trampoline_kernelINS0_13select_configILj256ELj13ELNS0_17block_load_methodE3ELS4_3ELS4_3ELNS0_20block_scan_algorithmE0ELj4294967295EEENS1_25partition_config_selectorILNS1_17partition_subalgoE4EjNS0_10empty_typeEbEEZZNS1_14partition_implILS8_4ELb0ES6_15HIP_vector_typeIjLj2EENS0_17counting_iteratorIjlEEPS9_SG_NS0_5tupleIJPjSI_NS0_16reverse_iteratorISI_EEEEENSH_IJSG_SG_SG_EEES9_SI_JZNS1_25segmented_radix_sort_implINS0_14default_configELb1EPK12hip_bfloat16PSP_PKlPlN2at6native12_GLOBAL__N_18offset_tEEE10hipError_tPvRmT1_PNSt15iterator_traitsIS13_E10value_typeET2_T3_PNS14_IS19_E10value_typeET4_jRbjT5_S1F_jjP12ihipStream_tbEUljE_ZNSN_ISO_Lb1ESR_SS_SU_SV_SZ_EES10_S11_S12_S13_S17_S18_S19_S1C_S1D_jS1E_jS1F_S1F_jjS1H_bEUljE0_EEES10_S11_S12_S19_S1D_S1F_T6_T7_T9_mT8_S1H_bDpT10_ENKUlT_T0_E_clISt17integral_constantIbLb1EES1V_EEDaS1Q_S1R_EUlS1Q_E_NS1_11comp_targetILNS1_3genE5ELNS1_11target_archE942ELNS1_3gpuE9ELNS1_3repE0EEENS1_30default_config_static_selectorELNS0_4arch9wavefront6targetE0EEEvS13_
; %bb.0:
	.section	.rodata,"a",@progbits
	.p2align	6, 0x0
	.amdhsa_kernel _ZN7rocprim17ROCPRIM_400000_NS6detail17trampoline_kernelINS0_13select_configILj256ELj13ELNS0_17block_load_methodE3ELS4_3ELS4_3ELNS0_20block_scan_algorithmE0ELj4294967295EEENS1_25partition_config_selectorILNS1_17partition_subalgoE4EjNS0_10empty_typeEbEEZZNS1_14partition_implILS8_4ELb0ES6_15HIP_vector_typeIjLj2EENS0_17counting_iteratorIjlEEPS9_SG_NS0_5tupleIJPjSI_NS0_16reverse_iteratorISI_EEEEENSH_IJSG_SG_SG_EEES9_SI_JZNS1_25segmented_radix_sort_implINS0_14default_configELb1EPK12hip_bfloat16PSP_PKlPlN2at6native12_GLOBAL__N_18offset_tEEE10hipError_tPvRmT1_PNSt15iterator_traitsIS13_E10value_typeET2_T3_PNS14_IS19_E10value_typeET4_jRbjT5_S1F_jjP12ihipStream_tbEUljE_ZNSN_ISO_Lb1ESR_SS_SU_SV_SZ_EES10_S11_S12_S13_S17_S18_S19_S1C_S1D_jS1E_jS1F_S1F_jjS1H_bEUljE0_EEES10_S11_S12_S19_S1D_S1F_T6_T7_T9_mT8_S1H_bDpT10_ENKUlT_T0_E_clISt17integral_constantIbLb1EES1V_EEDaS1Q_S1R_EUlS1Q_E_NS1_11comp_targetILNS1_3genE5ELNS1_11target_archE942ELNS1_3gpuE9ELNS1_3repE0EEENS1_30default_config_static_selectorELNS0_4arch9wavefront6targetE0EEEvS13_
		.amdhsa_group_segment_fixed_size 0
		.amdhsa_private_segment_fixed_size 0
		.amdhsa_kernarg_size 184
		.amdhsa_user_sgpr_count 2
		.amdhsa_user_sgpr_dispatch_ptr 0
		.amdhsa_user_sgpr_queue_ptr 0
		.amdhsa_user_sgpr_kernarg_segment_ptr 1
		.amdhsa_user_sgpr_dispatch_id 0
		.amdhsa_user_sgpr_kernarg_preload_length 0
		.amdhsa_user_sgpr_kernarg_preload_offset 0
		.amdhsa_user_sgpr_private_segment_size 0
		.amdhsa_wavefront_size32 1
		.amdhsa_uses_dynamic_stack 0
		.amdhsa_enable_private_segment 0
		.amdhsa_system_sgpr_workgroup_id_x 1
		.amdhsa_system_sgpr_workgroup_id_y 0
		.amdhsa_system_sgpr_workgroup_id_z 0
		.amdhsa_system_sgpr_workgroup_info 0
		.amdhsa_system_vgpr_workitem_id 0
		.amdhsa_next_free_vgpr 1
		.amdhsa_next_free_sgpr 1
		.amdhsa_named_barrier_count 0
		.amdhsa_reserve_vcc 0
		.amdhsa_float_round_mode_32 0
		.amdhsa_float_round_mode_16_64 0
		.amdhsa_float_denorm_mode_32 3
		.amdhsa_float_denorm_mode_16_64 3
		.amdhsa_fp16_overflow 0
		.amdhsa_memory_ordered 1
		.amdhsa_forward_progress 1
		.amdhsa_inst_pref_size 0
		.amdhsa_round_robin_scheduling 0
		.amdhsa_exception_fp_ieee_invalid_op 0
		.amdhsa_exception_fp_denorm_src 0
		.amdhsa_exception_fp_ieee_div_zero 0
		.amdhsa_exception_fp_ieee_overflow 0
		.amdhsa_exception_fp_ieee_underflow 0
		.amdhsa_exception_fp_ieee_inexact 0
		.amdhsa_exception_int_div_zero 0
	.end_amdhsa_kernel
	.section	.text._ZN7rocprim17ROCPRIM_400000_NS6detail17trampoline_kernelINS0_13select_configILj256ELj13ELNS0_17block_load_methodE3ELS4_3ELS4_3ELNS0_20block_scan_algorithmE0ELj4294967295EEENS1_25partition_config_selectorILNS1_17partition_subalgoE4EjNS0_10empty_typeEbEEZZNS1_14partition_implILS8_4ELb0ES6_15HIP_vector_typeIjLj2EENS0_17counting_iteratorIjlEEPS9_SG_NS0_5tupleIJPjSI_NS0_16reverse_iteratorISI_EEEEENSH_IJSG_SG_SG_EEES9_SI_JZNS1_25segmented_radix_sort_implINS0_14default_configELb1EPK12hip_bfloat16PSP_PKlPlN2at6native12_GLOBAL__N_18offset_tEEE10hipError_tPvRmT1_PNSt15iterator_traitsIS13_E10value_typeET2_T3_PNS14_IS19_E10value_typeET4_jRbjT5_S1F_jjP12ihipStream_tbEUljE_ZNSN_ISO_Lb1ESR_SS_SU_SV_SZ_EES10_S11_S12_S13_S17_S18_S19_S1C_S1D_jS1E_jS1F_S1F_jjS1H_bEUljE0_EEES10_S11_S12_S19_S1D_S1F_T6_T7_T9_mT8_S1H_bDpT10_ENKUlT_T0_E_clISt17integral_constantIbLb1EES1V_EEDaS1Q_S1R_EUlS1Q_E_NS1_11comp_targetILNS1_3genE5ELNS1_11target_archE942ELNS1_3gpuE9ELNS1_3repE0EEENS1_30default_config_static_selectorELNS0_4arch9wavefront6targetE0EEEvS13_,"axG",@progbits,_ZN7rocprim17ROCPRIM_400000_NS6detail17trampoline_kernelINS0_13select_configILj256ELj13ELNS0_17block_load_methodE3ELS4_3ELS4_3ELNS0_20block_scan_algorithmE0ELj4294967295EEENS1_25partition_config_selectorILNS1_17partition_subalgoE4EjNS0_10empty_typeEbEEZZNS1_14partition_implILS8_4ELb0ES6_15HIP_vector_typeIjLj2EENS0_17counting_iteratorIjlEEPS9_SG_NS0_5tupleIJPjSI_NS0_16reverse_iteratorISI_EEEEENSH_IJSG_SG_SG_EEES9_SI_JZNS1_25segmented_radix_sort_implINS0_14default_configELb1EPK12hip_bfloat16PSP_PKlPlN2at6native12_GLOBAL__N_18offset_tEEE10hipError_tPvRmT1_PNSt15iterator_traitsIS13_E10value_typeET2_T3_PNS14_IS19_E10value_typeET4_jRbjT5_S1F_jjP12ihipStream_tbEUljE_ZNSN_ISO_Lb1ESR_SS_SU_SV_SZ_EES10_S11_S12_S13_S17_S18_S19_S1C_S1D_jS1E_jS1F_S1F_jjS1H_bEUljE0_EEES10_S11_S12_S19_S1D_S1F_T6_T7_T9_mT8_S1H_bDpT10_ENKUlT_T0_E_clISt17integral_constantIbLb1EES1V_EEDaS1Q_S1R_EUlS1Q_E_NS1_11comp_targetILNS1_3genE5ELNS1_11target_archE942ELNS1_3gpuE9ELNS1_3repE0EEENS1_30default_config_static_selectorELNS0_4arch9wavefront6targetE0EEEvS13_,comdat
.Lfunc_end1881:
	.size	_ZN7rocprim17ROCPRIM_400000_NS6detail17trampoline_kernelINS0_13select_configILj256ELj13ELNS0_17block_load_methodE3ELS4_3ELS4_3ELNS0_20block_scan_algorithmE0ELj4294967295EEENS1_25partition_config_selectorILNS1_17partition_subalgoE4EjNS0_10empty_typeEbEEZZNS1_14partition_implILS8_4ELb0ES6_15HIP_vector_typeIjLj2EENS0_17counting_iteratorIjlEEPS9_SG_NS0_5tupleIJPjSI_NS0_16reverse_iteratorISI_EEEEENSH_IJSG_SG_SG_EEES9_SI_JZNS1_25segmented_radix_sort_implINS0_14default_configELb1EPK12hip_bfloat16PSP_PKlPlN2at6native12_GLOBAL__N_18offset_tEEE10hipError_tPvRmT1_PNSt15iterator_traitsIS13_E10value_typeET2_T3_PNS14_IS19_E10value_typeET4_jRbjT5_S1F_jjP12ihipStream_tbEUljE_ZNSN_ISO_Lb1ESR_SS_SU_SV_SZ_EES10_S11_S12_S13_S17_S18_S19_S1C_S1D_jS1E_jS1F_S1F_jjS1H_bEUljE0_EEES10_S11_S12_S19_S1D_S1F_T6_T7_T9_mT8_S1H_bDpT10_ENKUlT_T0_E_clISt17integral_constantIbLb1EES1V_EEDaS1Q_S1R_EUlS1Q_E_NS1_11comp_targetILNS1_3genE5ELNS1_11target_archE942ELNS1_3gpuE9ELNS1_3repE0EEENS1_30default_config_static_selectorELNS0_4arch9wavefront6targetE0EEEvS13_, .Lfunc_end1881-_ZN7rocprim17ROCPRIM_400000_NS6detail17trampoline_kernelINS0_13select_configILj256ELj13ELNS0_17block_load_methodE3ELS4_3ELS4_3ELNS0_20block_scan_algorithmE0ELj4294967295EEENS1_25partition_config_selectorILNS1_17partition_subalgoE4EjNS0_10empty_typeEbEEZZNS1_14partition_implILS8_4ELb0ES6_15HIP_vector_typeIjLj2EENS0_17counting_iteratorIjlEEPS9_SG_NS0_5tupleIJPjSI_NS0_16reverse_iteratorISI_EEEEENSH_IJSG_SG_SG_EEES9_SI_JZNS1_25segmented_radix_sort_implINS0_14default_configELb1EPK12hip_bfloat16PSP_PKlPlN2at6native12_GLOBAL__N_18offset_tEEE10hipError_tPvRmT1_PNSt15iterator_traitsIS13_E10value_typeET2_T3_PNS14_IS19_E10value_typeET4_jRbjT5_S1F_jjP12ihipStream_tbEUljE_ZNSN_ISO_Lb1ESR_SS_SU_SV_SZ_EES10_S11_S12_S13_S17_S18_S19_S1C_S1D_jS1E_jS1F_S1F_jjS1H_bEUljE0_EEES10_S11_S12_S19_S1D_S1F_T6_T7_T9_mT8_S1H_bDpT10_ENKUlT_T0_E_clISt17integral_constantIbLb1EES1V_EEDaS1Q_S1R_EUlS1Q_E_NS1_11comp_targetILNS1_3genE5ELNS1_11target_archE942ELNS1_3gpuE9ELNS1_3repE0EEENS1_30default_config_static_selectorELNS0_4arch9wavefront6targetE0EEEvS13_
                                        ; -- End function
	.set _ZN7rocprim17ROCPRIM_400000_NS6detail17trampoline_kernelINS0_13select_configILj256ELj13ELNS0_17block_load_methodE3ELS4_3ELS4_3ELNS0_20block_scan_algorithmE0ELj4294967295EEENS1_25partition_config_selectorILNS1_17partition_subalgoE4EjNS0_10empty_typeEbEEZZNS1_14partition_implILS8_4ELb0ES6_15HIP_vector_typeIjLj2EENS0_17counting_iteratorIjlEEPS9_SG_NS0_5tupleIJPjSI_NS0_16reverse_iteratorISI_EEEEENSH_IJSG_SG_SG_EEES9_SI_JZNS1_25segmented_radix_sort_implINS0_14default_configELb1EPK12hip_bfloat16PSP_PKlPlN2at6native12_GLOBAL__N_18offset_tEEE10hipError_tPvRmT1_PNSt15iterator_traitsIS13_E10value_typeET2_T3_PNS14_IS19_E10value_typeET4_jRbjT5_S1F_jjP12ihipStream_tbEUljE_ZNSN_ISO_Lb1ESR_SS_SU_SV_SZ_EES10_S11_S12_S13_S17_S18_S19_S1C_S1D_jS1E_jS1F_S1F_jjS1H_bEUljE0_EEES10_S11_S12_S19_S1D_S1F_T6_T7_T9_mT8_S1H_bDpT10_ENKUlT_T0_E_clISt17integral_constantIbLb1EES1V_EEDaS1Q_S1R_EUlS1Q_E_NS1_11comp_targetILNS1_3genE5ELNS1_11target_archE942ELNS1_3gpuE9ELNS1_3repE0EEENS1_30default_config_static_selectorELNS0_4arch9wavefront6targetE0EEEvS13_.num_vgpr, 0
	.set _ZN7rocprim17ROCPRIM_400000_NS6detail17trampoline_kernelINS0_13select_configILj256ELj13ELNS0_17block_load_methodE3ELS4_3ELS4_3ELNS0_20block_scan_algorithmE0ELj4294967295EEENS1_25partition_config_selectorILNS1_17partition_subalgoE4EjNS0_10empty_typeEbEEZZNS1_14partition_implILS8_4ELb0ES6_15HIP_vector_typeIjLj2EENS0_17counting_iteratorIjlEEPS9_SG_NS0_5tupleIJPjSI_NS0_16reverse_iteratorISI_EEEEENSH_IJSG_SG_SG_EEES9_SI_JZNS1_25segmented_radix_sort_implINS0_14default_configELb1EPK12hip_bfloat16PSP_PKlPlN2at6native12_GLOBAL__N_18offset_tEEE10hipError_tPvRmT1_PNSt15iterator_traitsIS13_E10value_typeET2_T3_PNS14_IS19_E10value_typeET4_jRbjT5_S1F_jjP12ihipStream_tbEUljE_ZNSN_ISO_Lb1ESR_SS_SU_SV_SZ_EES10_S11_S12_S13_S17_S18_S19_S1C_S1D_jS1E_jS1F_S1F_jjS1H_bEUljE0_EEES10_S11_S12_S19_S1D_S1F_T6_T7_T9_mT8_S1H_bDpT10_ENKUlT_T0_E_clISt17integral_constantIbLb1EES1V_EEDaS1Q_S1R_EUlS1Q_E_NS1_11comp_targetILNS1_3genE5ELNS1_11target_archE942ELNS1_3gpuE9ELNS1_3repE0EEENS1_30default_config_static_selectorELNS0_4arch9wavefront6targetE0EEEvS13_.num_agpr, 0
	.set _ZN7rocprim17ROCPRIM_400000_NS6detail17trampoline_kernelINS0_13select_configILj256ELj13ELNS0_17block_load_methodE3ELS4_3ELS4_3ELNS0_20block_scan_algorithmE0ELj4294967295EEENS1_25partition_config_selectorILNS1_17partition_subalgoE4EjNS0_10empty_typeEbEEZZNS1_14partition_implILS8_4ELb0ES6_15HIP_vector_typeIjLj2EENS0_17counting_iteratorIjlEEPS9_SG_NS0_5tupleIJPjSI_NS0_16reverse_iteratorISI_EEEEENSH_IJSG_SG_SG_EEES9_SI_JZNS1_25segmented_radix_sort_implINS0_14default_configELb1EPK12hip_bfloat16PSP_PKlPlN2at6native12_GLOBAL__N_18offset_tEEE10hipError_tPvRmT1_PNSt15iterator_traitsIS13_E10value_typeET2_T3_PNS14_IS19_E10value_typeET4_jRbjT5_S1F_jjP12ihipStream_tbEUljE_ZNSN_ISO_Lb1ESR_SS_SU_SV_SZ_EES10_S11_S12_S13_S17_S18_S19_S1C_S1D_jS1E_jS1F_S1F_jjS1H_bEUljE0_EEES10_S11_S12_S19_S1D_S1F_T6_T7_T9_mT8_S1H_bDpT10_ENKUlT_T0_E_clISt17integral_constantIbLb1EES1V_EEDaS1Q_S1R_EUlS1Q_E_NS1_11comp_targetILNS1_3genE5ELNS1_11target_archE942ELNS1_3gpuE9ELNS1_3repE0EEENS1_30default_config_static_selectorELNS0_4arch9wavefront6targetE0EEEvS13_.numbered_sgpr, 0
	.set _ZN7rocprim17ROCPRIM_400000_NS6detail17trampoline_kernelINS0_13select_configILj256ELj13ELNS0_17block_load_methodE3ELS4_3ELS4_3ELNS0_20block_scan_algorithmE0ELj4294967295EEENS1_25partition_config_selectorILNS1_17partition_subalgoE4EjNS0_10empty_typeEbEEZZNS1_14partition_implILS8_4ELb0ES6_15HIP_vector_typeIjLj2EENS0_17counting_iteratorIjlEEPS9_SG_NS0_5tupleIJPjSI_NS0_16reverse_iteratorISI_EEEEENSH_IJSG_SG_SG_EEES9_SI_JZNS1_25segmented_radix_sort_implINS0_14default_configELb1EPK12hip_bfloat16PSP_PKlPlN2at6native12_GLOBAL__N_18offset_tEEE10hipError_tPvRmT1_PNSt15iterator_traitsIS13_E10value_typeET2_T3_PNS14_IS19_E10value_typeET4_jRbjT5_S1F_jjP12ihipStream_tbEUljE_ZNSN_ISO_Lb1ESR_SS_SU_SV_SZ_EES10_S11_S12_S13_S17_S18_S19_S1C_S1D_jS1E_jS1F_S1F_jjS1H_bEUljE0_EEES10_S11_S12_S19_S1D_S1F_T6_T7_T9_mT8_S1H_bDpT10_ENKUlT_T0_E_clISt17integral_constantIbLb1EES1V_EEDaS1Q_S1R_EUlS1Q_E_NS1_11comp_targetILNS1_3genE5ELNS1_11target_archE942ELNS1_3gpuE9ELNS1_3repE0EEENS1_30default_config_static_selectorELNS0_4arch9wavefront6targetE0EEEvS13_.num_named_barrier, 0
	.set _ZN7rocprim17ROCPRIM_400000_NS6detail17trampoline_kernelINS0_13select_configILj256ELj13ELNS0_17block_load_methodE3ELS4_3ELS4_3ELNS0_20block_scan_algorithmE0ELj4294967295EEENS1_25partition_config_selectorILNS1_17partition_subalgoE4EjNS0_10empty_typeEbEEZZNS1_14partition_implILS8_4ELb0ES6_15HIP_vector_typeIjLj2EENS0_17counting_iteratorIjlEEPS9_SG_NS0_5tupleIJPjSI_NS0_16reverse_iteratorISI_EEEEENSH_IJSG_SG_SG_EEES9_SI_JZNS1_25segmented_radix_sort_implINS0_14default_configELb1EPK12hip_bfloat16PSP_PKlPlN2at6native12_GLOBAL__N_18offset_tEEE10hipError_tPvRmT1_PNSt15iterator_traitsIS13_E10value_typeET2_T3_PNS14_IS19_E10value_typeET4_jRbjT5_S1F_jjP12ihipStream_tbEUljE_ZNSN_ISO_Lb1ESR_SS_SU_SV_SZ_EES10_S11_S12_S13_S17_S18_S19_S1C_S1D_jS1E_jS1F_S1F_jjS1H_bEUljE0_EEES10_S11_S12_S19_S1D_S1F_T6_T7_T9_mT8_S1H_bDpT10_ENKUlT_T0_E_clISt17integral_constantIbLb1EES1V_EEDaS1Q_S1R_EUlS1Q_E_NS1_11comp_targetILNS1_3genE5ELNS1_11target_archE942ELNS1_3gpuE9ELNS1_3repE0EEENS1_30default_config_static_selectorELNS0_4arch9wavefront6targetE0EEEvS13_.private_seg_size, 0
	.set _ZN7rocprim17ROCPRIM_400000_NS6detail17trampoline_kernelINS0_13select_configILj256ELj13ELNS0_17block_load_methodE3ELS4_3ELS4_3ELNS0_20block_scan_algorithmE0ELj4294967295EEENS1_25partition_config_selectorILNS1_17partition_subalgoE4EjNS0_10empty_typeEbEEZZNS1_14partition_implILS8_4ELb0ES6_15HIP_vector_typeIjLj2EENS0_17counting_iteratorIjlEEPS9_SG_NS0_5tupleIJPjSI_NS0_16reverse_iteratorISI_EEEEENSH_IJSG_SG_SG_EEES9_SI_JZNS1_25segmented_radix_sort_implINS0_14default_configELb1EPK12hip_bfloat16PSP_PKlPlN2at6native12_GLOBAL__N_18offset_tEEE10hipError_tPvRmT1_PNSt15iterator_traitsIS13_E10value_typeET2_T3_PNS14_IS19_E10value_typeET4_jRbjT5_S1F_jjP12ihipStream_tbEUljE_ZNSN_ISO_Lb1ESR_SS_SU_SV_SZ_EES10_S11_S12_S13_S17_S18_S19_S1C_S1D_jS1E_jS1F_S1F_jjS1H_bEUljE0_EEES10_S11_S12_S19_S1D_S1F_T6_T7_T9_mT8_S1H_bDpT10_ENKUlT_T0_E_clISt17integral_constantIbLb1EES1V_EEDaS1Q_S1R_EUlS1Q_E_NS1_11comp_targetILNS1_3genE5ELNS1_11target_archE942ELNS1_3gpuE9ELNS1_3repE0EEENS1_30default_config_static_selectorELNS0_4arch9wavefront6targetE0EEEvS13_.uses_vcc, 0
	.set _ZN7rocprim17ROCPRIM_400000_NS6detail17trampoline_kernelINS0_13select_configILj256ELj13ELNS0_17block_load_methodE3ELS4_3ELS4_3ELNS0_20block_scan_algorithmE0ELj4294967295EEENS1_25partition_config_selectorILNS1_17partition_subalgoE4EjNS0_10empty_typeEbEEZZNS1_14partition_implILS8_4ELb0ES6_15HIP_vector_typeIjLj2EENS0_17counting_iteratorIjlEEPS9_SG_NS0_5tupleIJPjSI_NS0_16reverse_iteratorISI_EEEEENSH_IJSG_SG_SG_EEES9_SI_JZNS1_25segmented_radix_sort_implINS0_14default_configELb1EPK12hip_bfloat16PSP_PKlPlN2at6native12_GLOBAL__N_18offset_tEEE10hipError_tPvRmT1_PNSt15iterator_traitsIS13_E10value_typeET2_T3_PNS14_IS19_E10value_typeET4_jRbjT5_S1F_jjP12ihipStream_tbEUljE_ZNSN_ISO_Lb1ESR_SS_SU_SV_SZ_EES10_S11_S12_S13_S17_S18_S19_S1C_S1D_jS1E_jS1F_S1F_jjS1H_bEUljE0_EEES10_S11_S12_S19_S1D_S1F_T6_T7_T9_mT8_S1H_bDpT10_ENKUlT_T0_E_clISt17integral_constantIbLb1EES1V_EEDaS1Q_S1R_EUlS1Q_E_NS1_11comp_targetILNS1_3genE5ELNS1_11target_archE942ELNS1_3gpuE9ELNS1_3repE0EEENS1_30default_config_static_selectorELNS0_4arch9wavefront6targetE0EEEvS13_.uses_flat_scratch, 0
	.set _ZN7rocprim17ROCPRIM_400000_NS6detail17trampoline_kernelINS0_13select_configILj256ELj13ELNS0_17block_load_methodE3ELS4_3ELS4_3ELNS0_20block_scan_algorithmE0ELj4294967295EEENS1_25partition_config_selectorILNS1_17partition_subalgoE4EjNS0_10empty_typeEbEEZZNS1_14partition_implILS8_4ELb0ES6_15HIP_vector_typeIjLj2EENS0_17counting_iteratorIjlEEPS9_SG_NS0_5tupleIJPjSI_NS0_16reverse_iteratorISI_EEEEENSH_IJSG_SG_SG_EEES9_SI_JZNS1_25segmented_radix_sort_implINS0_14default_configELb1EPK12hip_bfloat16PSP_PKlPlN2at6native12_GLOBAL__N_18offset_tEEE10hipError_tPvRmT1_PNSt15iterator_traitsIS13_E10value_typeET2_T3_PNS14_IS19_E10value_typeET4_jRbjT5_S1F_jjP12ihipStream_tbEUljE_ZNSN_ISO_Lb1ESR_SS_SU_SV_SZ_EES10_S11_S12_S13_S17_S18_S19_S1C_S1D_jS1E_jS1F_S1F_jjS1H_bEUljE0_EEES10_S11_S12_S19_S1D_S1F_T6_T7_T9_mT8_S1H_bDpT10_ENKUlT_T0_E_clISt17integral_constantIbLb1EES1V_EEDaS1Q_S1R_EUlS1Q_E_NS1_11comp_targetILNS1_3genE5ELNS1_11target_archE942ELNS1_3gpuE9ELNS1_3repE0EEENS1_30default_config_static_selectorELNS0_4arch9wavefront6targetE0EEEvS13_.has_dyn_sized_stack, 0
	.set _ZN7rocprim17ROCPRIM_400000_NS6detail17trampoline_kernelINS0_13select_configILj256ELj13ELNS0_17block_load_methodE3ELS4_3ELS4_3ELNS0_20block_scan_algorithmE0ELj4294967295EEENS1_25partition_config_selectorILNS1_17partition_subalgoE4EjNS0_10empty_typeEbEEZZNS1_14partition_implILS8_4ELb0ES6_15HIP_vector_typeIjLj2EENS0_17counting_iteratorIjlEEPS9_SG_NS0_5tupleIJPjSI_NS0_16reverse_iteratorISI_EEEEENSH_IJSG_SG_SG_EEES9_SI_JZNS1_25segmented_radix_sort_implINS0_14default_configELb1EPK12hip_bfloat16PSP_PKlPlN2at6native12_GLOBAL__N_18offset_tEEE10hipError_tPvRmT1_PNSt15iterator_traitsIS13_E10value_typeET2_T3_PNS14_IS19_E10value_typeET4_jRbjT5_S1F_jjP12ihipStream_tbEUljE_ZNSN_ISO_Lb1ESR_SS_SU_SV_SZ_EES10_S11_S12_S13_S17_S18_S19_S1C_S1D_jS1E_jS1F_S1F_jjS1H_bEUljE0_EEES10_S11_S12_S19_S1D_S1F_T6_T7_T9_mT8_S1H_bDpT10_ENKUlT_T0_E_clISt17integral_constantIbLb1EES1V_EEDaS1Q_S1R_EUlS1Q_E_NS1_11comp_targetILNS1_3genE5ELNS1_11target_archE942ELNS1_3gpuE9ELNS1_3repE0EEENS1_30default_config_static_selectorELNS0_4arch9wavefront6targetE0EEEvS13_.has_recursion, 0
	.set _ZN7rocprim17ROCPRIM_400000_NS6detail17trampoline_kernelINS0_13select_configILj256ELj13ELNS0_17block_load_methodE3ELS4_3ELS4_3ELNS0_20block_scan_algorithmE0ELj4294967295EEENS1_25partition_config_selectorILNS1_17partition_subalgoE4EjNS0_10empty_typeEbEEZZNS1_14partition_implILS8_4ELb0ES6_15HIP_vector_typeIjLj2EENS0_17counting_iteratorIjlEEPS9_SG_NS0_5tupleIJPjSI_NS0_16reverse_iteratorISI_EEEEENSH_IJSG_SG_SG_EEES9_SI_JZNS1_25segmented_radix_sort_implINS0_14default_configELb1EPK12hip_bfloat16PSP_PKlPlN2at6native12_GLOBAL__N_18offset_tEEE10hipError_tPvRmT1_PNSt15iterator_traitsIS13_E10value_typeET2_T3_PNS14_IS19_E10value_typeET4_jRbjT5_S1F_jjP12ihipStream_tbEUljE_ZNSN_ISO_Lb1ESR_SS_SU_SV_SZ_EES10_S11_S12_S13_S17_S18_S19_S1C_S1D_jS1E_jS1F_S1F_jjS1H_bEUljE0_EEES10_S11_S12_S19_S1D_S1F_T6_T7_T9_mT8_S1H_bDpT10_ENKUlT_T0_E_clISt17integral_constantIbLb1EES1V_EEDaS1Q_S1R_EUlS1Q_E_NS1_11comp_targetILNS1_3genE5ELNS1_11target_archE942ELNS1_3gpuE9ELNS1_3repE0EEENS1_30default_config_static_selectorELNS0_4arch9wavefront6targetE0EEEvS13_.has_indirect_call, 0
	.section	.AMDGPU.csdata,"",@progbits
; Kernel info:
; codeLenInByte = 0
; TotalNumSgprs: 0
; NumVgprs: 0
; ScratchSize: 0
; MemoryBound: 0
; FloatMode: 240
; IeeeMode: 1
; LDSByteSize: 0 bytes/workgroup (compile time only)
; SGPRBlocks: 0
; VGPRBlocks: 0
; NumSGPRsForWavesPerEU: 1
; NumVGPRsForWavesPerEU: 1
; NamedBarCnt: 0
; Occupancy: 16
; WaveLimiterHint : 0
; COMPUTE_PGM_RSRC2:SCRATCH_EN: 0
; COMPUTE_PGM_RSRC2:USER_SGPR: 2
; COMPUTE_PGM_RSRC2:TRAP_HANDLER: 0
; COMPUTE_PGM_RSRC2:TGID_X_EN: 1
; COMPUTE_PGM_RSRC2:TGID_Y_EN: 0
; COMPUTE_PGM_RSRC2:TGID_Z_EN: 0
; COMPUTE_PGM_RSRC2:TIDIG_COMP_CNT: 0
	.section	.text._ZN7rocprim17ROCPRIM_400000_NS6detail17trampoline_kernelINS0_13select_configILj256ELj13ELNS0_17block_load_methodE3ELS4_3ELS4_3ELNS0_20block_scan_algorithmE0ELj4294967295EEENS1_25partition_config_selectorILNS1_17partition_subalgoE4EjNS0_10empty_typeEbEEZZNS1_14partition_implILS8_4ELb0ES6_15HIP_vector_typeIjLj2EENS0_17counting_iteratorIjlEEPS9_SG_NS0_5tupleIJPjSI_NS0_16reverse_iteratorISI_EEEEENSH_IJSG_SG_SG_EEES9_SI_JZNS1_25segmented_radix_sort_implINS0_14default_configELb1EPK12hip_bfloat16PSP_PKlPlN2at6native12_GLOBAL__N_18offset_tEEE10hipError_tPvRmT1_PNSt15iterator_traitsIS13_E10value_typeET2_T3_PNS14_IS19_E10value_typeET4_jRbjT5_S1F_jjP12ihipStream_tbEUljE_ZNSN_ISO_Lb1ESR_SS_SU_SV_SZ_EES10_S11_S12_S13_S17_S18_S19_S1C_S1D_jS1E_jS1F_S1F_jjS1H_bEUljE0_EEES10_S11_S12_S19_S1D_S1F_T6_T7_T9_mT8_S1H_bDpT10_ENKUlT_T0_E_clISt17integral_constantIbLb1EES1V_EEDaS1Q_S1R_EUlS1Q_E_NS1_11comp_targetILNS1_3genE4ELNS1_11target_archE910ELNS1_3gpuE8ELNS1_3repE0EEENS1_30default_config_static_selectorELNS0_4arch9wavefront6targetE0EEEvS13_,"axG",@progbits,_ZN7rocprim17ROCPRIM_400000_NS6detail17trampoline_kernelINS0_13select_configILj256ELj13ELNS0_17block_load_methodE3ELS4_3ELS4_3ELNS0_20block_scan_algorithmE0ELj4294967295EEENS1_25partition_config_selectorILNS1_17partition_subalgoE4EjNS0_10empty_typeEbEEZZNS1_14partition_implILS8_4ELb0ES6_15HIP_vector_typeIjLj2EENS0_17counting_iteratorIjlEEPS9_SG_NS0_5tupleIJPjSI_NS0_16reverse_iteratorISI_EEEEENSH_IJSG_SG_SG_EEES9_SI_JZNS1_25segmented_radix_sort_implINS0_14default_configELb1EPK12hip_bfloat16PSP_PKlPlN2at6native12_GLOBAL__N_18offset_tEEE10hipError_tPvRmT1_PNSt15iterator_traitsIS13_E10value_typeET2_T3_PNS14_IS19_E10value_typeET4_jRbjT5_S1F_jjP12ihipStream_tbEUljE_ZNSN_ISO_Lb1ESR_SS_SU_SV_SZ_EES10_S11_S12_S13_S17_S18_S19_S1C_S1D_jS1E_jS1F_S1F_jjS1H_bEUljE0_EEES10_S11_S12_S19_S1D_S1F_T6_T7_T9_mT8_S1H_bDpT10_ENKUlT_T0_E_clISt17integral_constantIbLb1EES1V_EEDaS1Q_S1R_EUlS1Q_E_NS1_11comp_targetILNS1_3genE4ELNS1_11target_archE910ELNS1_3gpuE8ELNS1_3repE0EEENS1_30default_config_static_selectorELNS0_4arch9wavefront6targetE0EEEvS13_,comdat
	.globl	_ZN7rocprim17ROCPRIM_400000_NS6detail17trampoline_kernelINS0_13select_configILj256ELj13ELNS0_17block_load_methodE3ELS4_3ELS4_3ELNS0_20block_scan_algorithmE0ELj4294967295EEENS1_25partition_config_selectorILNS1_17partition_subalgoE4EjNS0_10empty_typeEbEEZZNS1_14partition_implILS8_4ELb0ES6_15HIP_vector_typeIjLj2EENS0_17counting_iteratorIjlEEPS9_SG_NS0_5tupleIJPjSI_NS0_16reverse_iteratorISI_EEEEENSH_IJSG_SG_SG_EEES9_SI_JZNS1_25segmented_radix_sort_implINS0_14default_configELb1EPK12hip_bfloat16PSP_PKlPlN2at6native12_GLOBAL__N_18offset_tEEE10hipError_tPvRmT1_PNSt15iterator_traitsIS13_E10value_typeET2_T3_PNS14_IS19_E10value_typeET4_jRbjT5_S1F_jjP12ihipStream_tbEUljE_ZNSN_ISO_Lb1ESR_SS_SU_SV_SZ_EES10_S11_S12_S13_S17_S18_S19_S1C_S1D_jS1E_jS1F_S1F_jjS1H_bEUljE0_EEES10_S11_S12_S19_S1D_S1F_T6_T7_T9_mT8_S1H_bDpT10_ENKUlT_T0_E_clISt17integral_constantIbLb1EES1V_EEDaS1Q_S1R_EUlS1Q_E_NS1_11comp_targetILNS1_3genE4ELNS1_11target_archE910ELNS1_3gpuE8ELNS1_3repE0EEENS1_30default_config_static_selectorELNS0_4arch9wavefront6targetE0EEEvS13_ ; -- Begin function _ZN7rocprim17ROCPRIM_400000_NS6detail17trampoline_kernelINS0_13select_configILj256ELj13ELNS0_17block_load_methodE3ELS4_3ELS4_3ELNS0_20block_scan_algorithmE0ELj4294967295EEENS1_25partition_config_selectorILNS1_17partition_subalgoE4EjNS0_10empty_typeEbEEZZNS1_14partition_implILS8_4ELb0ES6_15HIP_vector_typeIjLj2EENS0_17counting_iteratorIjlEEPS9_SG_NS0_5tupleIJPjSI_NS0_16reverse_iteratorISI_EEEEENSH_IJSG_SG_SG_EEES9_SI_JZNS1_25segmented_radix_sort_implINS0_14default_configELb1EPK12hip_bfloat16PSP_PKlPlN2at6native12_GLOBAL__N_18offset_tEEE10hipError_tPvRmT1_PNSt15iterator_traitsIS13_E10value_typeET2_T3_PNS14_IS19_E10value_typeET4_jRbjT5_S1F_jjP12ihipStream_tbEUljE_ZNSN_ISO_Lb1ESR_SS_SU_SV_SZ_EES10_S11_S12_S13_S17_S18_S19_S1C_S1D_jS1E_jS1F_S1F_jjS1H_bEUljE0_EEES10_S11_S12_S19_S1D_S1F_T6_T7_T9_mT8_S1H_bDpT10_ENKUlT_T0_E_clISt17integral_constantIbLb1EES1V_EEDaS1Q_S1R_EUlS1Q_E_NS1_11comp_targetILNS1_3genE4ELNS1_11target_archE910ELNS1_3gpuE8ELNS1_3repE0EEENS1_30default_config_static_selectorELNS0_4arch9wavefront6targetE0EEEvS13_
	.p2align	8
	.type	_ZN7rocprim17ROCPRIM_400000_NS6detail17trampoline_kernelINS0_13select_configILj256ELj13ELNS0_17block_load_methodE3ELS4_3ELS4_3ELNS0_20block_scan_algorithmE0ELj4294967295EEENS1_25partition_config_selectorILNS1_17partition_subalgoE4EjNS0_10empty_typeEbEEZZNS1_14partition_implILS8_4ELb0ES6_15HIP_vector_typeIjLj2EENS0_17counting_iteratorIjlEEPS9_SG_NS0_5tupleIJPjSI_NS0_16reverse_iteratorISI_EEEEENSH_IJSG_SG_SG_EEES9_SI_JZNS1_25segmented_radix_sort_implINS0_14default_configELb1EPK12hip_bfloat16PSP_PKlPlN2at6native12_GLOBAL__N_18offset_tEEE10hipError_tPvRmT1_PNSt15iterator_traitsIS13_E10value_typeET2_T3_PNS14_IS19_E10value_typeET4_jRbjT5_S1F_jjP12ihipStream_tbEUljE_ZNSN_ISO_Lb1ESR_SS_SU_SV_SZ_EES10_S11_S12_S13_S17_S18_S19_S1C_S1D_jS1E_jS1F_S1F_jjS1H_bEUljE0_EEES10_S11_S12_S19_S1D_S1F_T6_T7_T9_mT8_S1H_bDpT10_ENKUlT_T0_E_clISt17integral_constantIbLb1EES1V_EEDaS1Q_S1R_EUlS1Q_E_NS1_11comp_targetILNS1_3genE4ELNS1_11target_archE910ELNS1_3gpuE8ELNS1_3repE0EEENS1_30default_config_static_selectorELNS0_4arch9wavefront6targetE0EEEvS13_,@function
_ZN7rocprim17ROCPRIM_400000_NS6detail17trampoline_kernelINS0_13select_configILj256ELj13ELNS0_17block_load_methodE3ELS4_3ELS4_3ELNS0_20block_scan_algorithmE0ELj4294967295EEENS1_25partition_config_selectorILNS1_17partition_subalgoE4EjNS0_10empty_typeEbEEZZNS1_14partition_implILS8_4ELb0ES6_15HIP_vector_typeIjLj2EENS0_17counting_iteratorIjlEEPS9_SG_NS0_5tupleIJPjSI_NS0_16reverse_iteratorISI_EEEEENSH_IJSG_SG_SG_EEES9_SI_JZNS1_25segmented_radix_sort_implINS0_14default_configELb1EPK12hip_bfloat16PSP_PKlPlN2at6native12_GLOBAL__N_18offset_tEEE10hipError_tPvRmT1_PNSt15iterator_traitsIS13_E10value_typeET2_T3_PNS14_IS19_E10value_typeET4_jRbjT5_S1F_jjP12ihipStream_tbEUljE_ZNSN_ISO_Lb1ESR_SS_SU_SV_SZ_EES10_S11_S12_S13_S17_S18_S19_S1C_S1D_jS1E_jS1F_S1F_jjS1H_bEUljE0_EEES10_S11_S12_S19_S1D_S1F_T6_T7_T9_mT8_S1H_bDpT10_ENKUlT_T0_E_clISt17integral_constantIbLb1EES1V_EEDaS1Q_S1R_EUlS1Q_E_NS1_11comp_targetILNS1_3genE4ELNS1_11target_archE910ELNS1_3gpuE8ELNS1_3repE0EEENS1_30default_config_static_selectorELNS0_4arch9wavefront6targetE0EEEvS13_: ; @_ZN7rocprim17ROCPRIM_400000_NS6detail17trampoline_kernelINS0_13select_configILj256ELj13ELNS0_17block_load_methodE3ELS4_3ELS4_3ELNS0_20block_scan_algorithmE0ELj4294967295EEENS1_25partition_config_selectorILNS1_17partition_subalgoE4EjNS0_10empty_typeEbEEZZNS1_14partition_implILS8_4ELb0ES6_15HIP_vector_typeIjLj2EENS0_17counting_iteratorIjlEEPS9_SG_NS0_5tupleIJPjSI_NS0_16reverse_iteratorISI_EEEEENSH_IJSG_SG_SG_EEES9_SI_JZNS1_25segmented_radix_sort_implINS0_14default_configELb1EPK12hip_bfloat16PSP_PKlPlN2at6native12_GLOBAL__N_18offset_tEEE10hipError_tPvRmT1_PNSt15iterator_traitsIS13_E10value_typeET2_T3_PNS14_IS19_E10value_typeET4_jRbjT5_S1F_jjP12ihipStream_tbEUljE_ZNSN_ISO_Lb1ESR_SS_SU_SV_SZ_EES10_S11_S12_S13_S17_S18_S19_S1C_S1D_jS1E_jS1F_S1F_jjS1H_bEUljE0_EEES10_S11_S12_S19_S1D_S1F_T6_T7_T9_mT8_S1H_bDpT10_ENKUlT_T0_E_clISt17integral_constantIbLb1EES1V_EEDaS1Q_S1R_EUlS1Q_E_NS1_11comp_targetILNS1_3genE4ELNS1_11target_archE910ELNS1_3gpuE8ELNS1_3repE0EEENS1_30default_config_static_selectorELNS0_4arch9wavefront6targetE0EEEvS13_
; %bb.0:
	.section	.rodata,"a",@progbits
	.p2align	6, 0x0
	.amdhsa_kernel _ZN7rocprim17ROCPRIM_400000_NS6detail17trampoline_kernelINS0_13select_configILj256ELj13ELNS0_17block_load_methodE3ELS4_3ELS4_3ELNS0_20block_scan_algorithmE0ELj4294967295EEENS1_25partition_config_selectorILNS1_17partition_subalgoE4EjNS0_10empty_typeEbEEZZNS1_14partition_implILS8_4ELb0ES6_15HIP_vector_typeIjLj2EENS0_17counting_iteratorIjlEEPS9_SG_NS0_5tupleIJPjSI_NS0_16reverse_iteratorISI_EEEEENSH_IJSG_SG_SG_EEES9_SI_JZNS1_25segmented_radix_sort_implINS0_14default_configELb1EPK12hip_bfloat16PSP_PKlPlN2at6native12_GLOBAL__N_18offset_tEEE10hipError_tPvRmT1_PNSt15iterator_traitsIS13_E10value_typeET2_T3_PNS14_IS19_E10value_typeET4_jRbjT5_S1F_jjP12ihipStream_tbEUljE_ZNSN_ISO_Lb1ESR_SS_SU_SV_SZ_EES10_S11_S12_S13_S17_S18_S19_S1C_S1D_jS1E_jS1F_S1F_jjS1H_bEUljE0_EEES10_S11_S12_S19_S1D_S1F_T6_T7_T9_mT8_S1H_bDpT10_ENKUlT_T0_E_clISt17integral_constantIbLb1EES1V_EEDaS1Q_S1R_EUlS1Q_E_NS1_11comp_targetILNS1_3genE4ELNS1_11target_archE910ELNS1_3gpuE8ELNS1_3repE0EEENS1_30default_config_static_selectorELNS0_4arch9wavefront6targetE0EEEvS13_
		.amdhsa_group_segment_fixed_size 0
		.amdhsa_private_segment_fixed_size 0
		.amdhsa_kernarg_size 184
		.amdhsa_user_sgpr_count 2
		.amdhsa_user_sgpr_dispatch_ptr 0
		.amdhsa_user_sgpr_queue_ptr 0
		.amdhsa_user_sgpr_kernarg_segment_ptr 1
		.amdhsa_user_sgpr_dispatch_id 0
		.amdhsa_user_sgpr_kernarg_preload_length 0
		.amdhsa_user_sgpr_kernarg_preload_offset 0
		.amdhsa_user_sgpr_private_segment_size 0
		.amdhsa_wavefront_size32 1
		.amdhsa_uses_dynamic_stack 0
		.amdhsa_enable_private_segment 0
		.amdhsa_system_sgpr_workgroup_id_x 1
		.amdhsa_system_sgpr_workgroup_id_y 0
		.amdhsa_system_sgpr_workgroup_id_z 0
		.amdhsa_system_sgpr_workgroup_info 0
		.amdhsa_system_vgpr_workitem_id 0
		.amdhsa_next_free_vgpr 1
		.amdhsa_next_free_sgpr 1
		.amdhsa_named_barrier_count 0
		.amdhsa_reserve_vcc 0
		.amdhsa_float_round_mode_32 0
		.amdhsa_float_round_mode_16_64 0
		.amdhsa_float_denorm_mode_32 3
		.amdhsa_float_denorm_mode_16_64 3
		.amdhsa_fp16_overflow 0
		.amdhsa_memory_ordered 1
		.amdhsa_forward_progress 1
		.amdhsa_inst_pref_size 0
		.amdhsa_round_robin_scheduling 0
		.amdhsa_exception_fp_ieee_invalid_op 0
		.amdhsa_exception_fp_denorm_src 0
		.amdhsa_exception_fp_ieee_div_zero 0
		.amdhsa_exception_fp_ieee_overflow 0
		.amdhsa_exception_fp_ieee_underflow 0
		.amdhsa_exception_fp_ieee_inexact 0
		.amdhsa_exception_int_div_zero 0
	.end_amdhsa_kernel
	.section	.text._ZN7rocprim17ROCPRIM_400000_NS6detail17trampoline_kernelINS0_13select_configILj256ELj13ELNS0_17block_load_methodE3ELS4_3ELS4_3ELNS0_20block_scan_algorithmE0ELj4294967295EEENS1_25partition_config_selectorILNS1_17partition_subalgoE4EjNS0_10empty_typeEbEEZZNS1_14partition_implILS8_4ELb0ES6_15HIP_vector_typeIjLj2EENS0_17counting_iteratorIjlEEPS9_SG_NS0_5tupleIJPjSI_NS0_16reverse_iteratorISI_EEEEENSH_IJSG_SG_SG_EEES9_SI_JZNS1_25segmented_radix_sort_implINS0_14default_configELb1EPK12hip_bfloat16PSP_PKlPlN2at6native12_GLOBAL__N_18offset_tEEE10hipError_tPvRmT1_PNSt15iterator_traitsIS13_E10value_typeET2_T3_PNS14_IS19_E10value_typeET4_jRbjT5_S1F_jjP12ihipStream_tbEUljE_ZNSN_ISO_Lb1ESR_SS_SU_SV_SZ_EES10_S11_S12_S13_S17_S18_S19_S1C_S1D_jS1E_jS1F_S1F_jjS1H_bEUljE0_EEES10_S11_S12_S19_S1D_S1F_T6_T7_T9_mT8_S1H_bDpT10_ENKUlT_T0_E_clISt17integral_constantIbLb1EES1V_EEDaS1Q_S1R_EUlS1Q_E_NS1_11comp_targetILNS1_3genE4ELNS1_11target_archE910ELNS1_3gpuE8ELNS1_3repE0EEENS1_30default_config_static_selectorELNS0_4arch9wavefront6targetE0EEEvS13_,"axG",@progbits,_ZN7rocprim17ROCPRIM_400000_NS6detail17trampoline_kernelINS0_13select_configILj256ELj13ELNS0_17block_load_methodE3ELS4_3ELS4_3ELNS0_20block_scan_algorithmE0ELj4294967295EEENS1_25partition_config_selectorILNS1_17partition_subalgoE4EjNS0_10empty_typeEbEEZZNS1_14partition_implILS8_4ELb0ES6_15HIP_vector_typeIjLj2EENS0_17counting_iteratorIjlEEPS9_SG_NS0_5tupleIJPjSI_NS0_16reverse_iteratorISI_EEEEENSH_IJSG_SG_SG_EEES9_SI_JZNS1_25segmented_radix_sort_implINS0_14default_configELb1EPK12hip_bfloat16PSP_PKlPlN2at6native12_GLOBAL__N_18offset_tEEE10hipError_tPvRmT1_PNSt15iterator_traitsIS13_E10value_typeET2_T3_PNS14_IS19_E10value_typeET4_jRbjT5_S1F_jjP12ihipStream_tbEUljE_ZNSN_ISO_Lb1ESR_SS_SU_SV_SZ_EES10_S11_S12_S13_S17_S18_S19_S1C_S1D_jS1E_jS1F_S1F_jjS1H_bEUljE0_EEES10_S11_S12_S19_S1D_S1F_T6_T7_T9_mT8_S1H_bDpT10_ENKUlT_T0_E_clISt17integral_constantIbLb1EES1V_EEDaS1Q_S1R_EUlS1Q_E_NS1_11comp_targetILNS1_3genE4ELNS1_11target_archE910ELNS1_3gpuE8ELNS1_3repE0EEENS1_30default_config_static_selectorELNS0_4arch9wavefront6targetE0EEEvS13_,comdat
.Lfunc_end1882:
	.size	_ZN7rocprim17ROCPRIM_400000_NS6detail17trampoline_kernelINS0_13select_configILj256ELj13ELNS0_17block_load_methodE3ELS4_3ELS4_3ELNS0_20block_scan_algorithmE0ELj4294967295EEENS1_25partition_config_selectorILNS1_17partition_subalgoE4EjNS0_10empty_typeEbEEZZNS1_14partition_implILS8_4ELb0ES6_15HIP_vector_typeIjLj2EENS0_17counting_iteratorIjlEEPS9_SG_NS0_5tupleIJPjSI_NS0_16reverse_iteratorISI_EEEEENSH_IJSG_SG_SG_EEES9_SI_JZNS1_25segmented_radix_sort_implINS0_14default_configELb1EPK12hip_bfloat16PSP_PKlPlN2at6native12_GLOBAL__N_18offset_tEEE10hipError_tPvRmT1_PNSt15iterator_traitsIS13_E10value_typeET2_T3_PNS14_IS19_E10value_typeET4_jRbjT5_S1F_jjP12ihipStream_tbEUljE_ZNSN_ISO_Lb1ESR_SS_SU_SV_SZ_EES10_S11_S12_S13_S17_S18_S19_S1C_S1D_jS1E_jS1F_S1F_jjS1H_bEUljE0_EEES10_S11_S12_S19_S1D_S1F_T6_T7_T9_mT8_S1H_bDpT10_ENKUlT_T0_E_clISt17integral_constantIbLb1EES1V_EEDaS1Q_S1R_EUlS1Q_E_NS1_11comp_targetILNS1_3genE4ELNS1_11target_archE910ELNS1_3gpuE8ELNS1_3repE0EEENS1_30default_config_static_selectorELNS0_4arch9wavefront6targetE0EEEvS13_, .Lfunc_end1882-_ZN7rocprim17ROCPRIM_400000_NS6detail17trampoline_kernelINS0_13select_configILj256ELj13ELNS0_17block_load_methodE3ELS4_3ELS4_3ELNS0_20block_scan_algorithmE0ELj4294967295EEENS1_25partition_config_selectorILNS1_17partition_subalgoE4EjNS0_10empty_typeEbEEZZNS1_14partition_implILS8_4ELb0ES6_15HIP_vector_typeIjLj2EENS0_17counting_iteratorIjlEEPS9_SG_NS0_5tupleIJPjSI_NS0_16reverse_iteratorISI_EEEEENSH_IJSG_SG_SG_EEES9_SI_JZNS1_25segmented_radix_sort_implINS0_14default_configELb1EPK12hip_bfloat16PSP_PKlPlN2at6native12_GLOBAL__N_18offset_tEEE10hipError_tPvRmT1_PNSt15iterator_traitsIS13_E10value_typeET2_T3_PNS14_IS19_E10value_typeET4_jRbjT5_S1F_jjP12ihipStream_tbEUljE_ZNSN_ISO_Lb1ESR_SS_SU_SV_SZ_EES10_S11_S12_S13_S17_S18_S19_S1C_S1D_jS1E_jS1F_S1F_jjS1H_bEUljE0_EEES10_S11_S12_S19_S1D_S1F_T6_T7_T9_mT8_S1H_bDpT10_ENKUlT_T0_E_clISt17integral_constantIbLb1EES1V_EEDaS1Q_S1R_EUlS1Q_E_NS1_11comp_targetILNS1_3genE4ELNS1_11target_archE910ELNS1_3gpuE8ELNS1_3repE0EEENS1_30default_config_static_selectorELNS0_4arch9wavefront6targetE0EEEvS13_
                                        ; -- End function
	.set _ZN7rocprim17ROCPRIM_400000_NS6detail17trampoline_kernelINS0_13select_configILj256ELj13ELNS0_17block_load_methodE3ELS4_3ELS4_3ELNS0_20block_scan_algorithmE0ELj4294967295EEENS1_25partition_config_selectorILNS1_17partition_subalgoE4EjNS0_10empty_typeEbEEZZNS1_14partition_implILS8_4ELb0ES6_15HIP_vector_typeIjLj2EENS0_17counting_iteratorIjlEEPS9_SG_NS0_5tupleIJPjSI_NS0_16reverse_iteratorISI_EEEEENSH_IJSG_SG_SG_EEES9_SI_JZNS1_25segmented_radix_sort_implINS0_14default_configELb1EPK12hip_bfloat16PSP_PKlPlN2at6native12_GLOBAL__N_18offset_tEEE10hipError_tPvRmT1_PNSt15iterator_traitsIS13_E10value_typeET2_T3_PNS14_IS19_E10value_typeET4_jRbjT5_S1F_jjP12ihipStream_tbEUljE_ZNSN_ISO_Lb1ESR_SS_SU_SV_SZ_EES10_S11_S12_S13_S17_S18_S19_S1C_S1D_jS1E_jS1F_S1F_jjS1H_bEUljE0_EEES10_S11_S12_S19_S1D_S1F_T6_T7_T9_mT8_S1H_bDpT10_ENKUlT_T0_E_clISt17integral_constantIbLb1EES1V_EEDaS1Q_S1R_EUlS1Q_E_NS1_11comp_targetILNS1_3genE4ELNS1_11target_archE910ELNS1_3gpuE8ELNS1_3repE0EEENS1_30default_config_static_selectorELNS0_4arch9wavefront6targetE0EEEvS13_.num_vgpr, 0
	.set _ZN7rocprim17ROCPRIM_400000_NS6detail17trampoline_kernelINS0_13select_configILj256ELj13ELNS0_17block_load_methodE3ELS4_3ELS4_3ELNS0_20block_scan_algorithmE0ELj4294967295EEENS1_25partition_config_selectorILNS1_17partition_subalgoE4EjNS0_10empty_typeEbEEZZNS1_14partition_implILS8_4ELb0ES6_15HIP_vector_typeIjLj2EENS0_17counting_iteratorIjlEEPS9_SG_NS0_5tupleIJPjSI_NS0_16reverse_iteratorISI_EEEEENSH_IJSG_SG_SG_EEES9_SI_JZNS1_25segmented_radix_sort_implINS0_14default_configELb1EPK12hip_bfloat16PSP_PKlPlN2at6native12_GLOBAL__N_18offset_tEEE10hipError_tPvRmT1_PNSt15iterator_traitsIS13_E10value_typeET2_T3_PNS14_IS19_E10value_typeET4_jRbjT5_S1F_jjP12ihipStream_tbEUljE_ZNSN_ISO_Lb1ESR_SS_SU_SV_SZ_EES10_S11_S12_S13_S17_S18_S19_S1C_S1D_jS1E_jS1F_S1F_jjS1H_bEUljE0_EEES10_S11_S12_S19_S1D_S1F_T6_T7_T9_mT8_S1H_bDpT10_ENKUlT_T0_E_clISt17integral_constantIbLb1EES1V_EEDaS1Q_S1R_EUlS1Q_E_NS1_11comp_targetILNS1_3genE4ELNS1_11target_archE910ELNS1_3gpuE8ELNS1_3repE0EEENS1_30default_config_static_selectorELNS0_4arch9wavefront6targetE0EEEvS13_.num_agpr, 0
	.set _ZN7rocprim17ROCPRIM_400000_NS6detail17trampoline_kernelINS0_13select_configILj256ELj13ELNS0_17block_load_methodE3ELS4_3ELS4_3ELNS0_20block_scan_algorithmE0ELj4294967295EEENS1_25partition_config_selectorILNS1_17partition_subalgoE4EjNS0_10empty_typeEbEEZZNS1_14partition_implILS8_4ELb0ES6_15HIP_vector_typeIjLj2EENS0_17counting_iteratorIjlEEPS9_SG_NS0_5tupleIJPjSI_NS0_16reverse_iteratorISI_EEEEENSH_IJSG_SG_SG_EEES9_SI_JZNS1_25segmented_radix_sort_implINS0_14default_configELb1EPK12hip_bfloat16PSP_PKlPlN2at6native12_GLOBAL__N_18offset_tEEE10hipError_tPvRmT1_PNSt15iterator_traitsIS13_E10value_typeET2_T3_PNS14_IS19_E10value_typeET4_jRbjT5_S1F_jjP12ihipStream_tbEUljE_ZNSN_ISO_Lb1ESR_SS_SU_SV_SZ_EES10_S11_S12_S13_S17_S18_S19_S1C_S1D_jS1E_jS1F_S1F_jjS1H_bEUljE0_EEES10_S11_S12_S19_S1D_S1F_T6_T7_T9_mT8_S1H_bDpT10_ENKUlT_T0_E_clISt17integral_constantIbLb1EES1V_EEDaS1Q_S1R_EUlS1Q_E_NS1_11comp_targetILNS1_3genE4ELNS1_11target_archE910ELNS1_3gpuE8ELNS1_3repE0EEENS1_30default_config_static_selectorELNS0_4arch9wavefront6targetE0EEEvS13_.numbered_sgpr, 0
	.set _ZN7rocprim17ROCPRIM_400000_NS6detail17trampoline_kernelINS0_13select_configILj256ELj13ELNS0_17block_load_methodE3ELS4_3ELS4_3ELNS0_20block_scan_algorithmE0ELj4294967295EEENS1_25partition_config_selectorILNS1_17partition_subalgoE4EjNS0_10empty_typeEbEEZZNS1_14partition_implILS8_4ELb0ES6_15HIP_vector_typeIjLj2EENS0_17counting_iteratorIjlEEPS9_SG_NS0_5tupleIJPjSI_NS0_16reverse_iteratorISI_EEEEENSH_IJSG_SG_SG_EEES9_SI_JZNS1_25segmented_radix_sort_implINS0_14default_configELb1EPK12hip_bfloat16PSP_PKlPlN2at6native12_GLOBAL__N_18offset_tEEE10hipError_tPvRmT1_PNSt15iterator_traitsIS13_E10value_typeET2_T3_PNS14_IS19_E10value_typeET4_jRbjT5_S1F_jjP12ihipStream_tbEUljE_ZNSN_ISO_Lb1ESR_SS_SU_SV_SZ_EES10_S11_S12_S13_S17_S18_S19_S1C_S1D_jS1E_jS1F_S1F_jjS1H_bEUljE0_EEES10_S11_S12_S19_S1D_S1F_T6_T7_T9_mT8_S1H_bDpT10_ENKUlT_T0_E_clISt17integral_constantIbLb1EES1V_EEDaS1Q_S1R_EUlS1Q_E_NS1_11comp_targetILNS1_3genE4ELNS1_11target_archE910ELNS1_3gpuE8ELNS1_3repE0EEENS1_30default_config_static_selectorELNS0_4arch9wavefront6targetE0EEEvS13_.num_named_barrier, 0
	.set _ZN7rocprim17ROCPRIM_400000_NS6detail17trampoline_kernelINS0_13select_configILj256ELj13ELNS0_17block_load_methodE3ELS4_3ELS4_3ELNS0_20block_scan_algorithmE0ELj4294967295EEENS1_25partition_config_selectorILNS1_17partition_subalgoE4EjNS0_10empty_typeEbEEZZNS1_14partition_implILS8_4ELb0ES6_15HIP_vector_typeIjLj2EENS0_17counting_iteratorIjlEEPS9_SG_NS0_5tupleIJPjSI_NS0_16reverse_iteratorISI_EEEEENSH_IJSG_SG_SG_EEES9_SI_JZNS1_25segmented_radix_sort_implINS0_14default_configELb1EPK12hip_bfloat16PSP_PKlPlN2at6native12_GLOBAL__N_18offset_tEEE10hipError_tPvRmT1_PNSt15iterator_traitsIS13_E10value_typeET2_T3_PNS14_IS19_E10value_typeET4_jRbjT5_S1F_jjP12ihipStream_tbEUljE_ZNSN_ISO_Lb1ESR_SS_SU_SV_SZ_EES10_S11_S12_S13_S17_S18_S19_S1C_S1D_jS1E_jS1F_S1F_jjS1H_bEUljE0_EEES10_S11_S12_S19_S1D_S1F_T6_T7_T9_mT8_S1H_bDpT10_ENKUlT_T0_E_clISt17integral_constantIbLb1EES1V_EEDaS1Q_S1R_EUlS1Q_E_NS1_11comp_targetILNS1_3genE4ELNS1_11target_archE910ELNS1_3gpuE8ELNS1_3repE0EEENS1_30default_config_static_selectorELNS0_4arch9wavefront6targetE0EEEvS13_.private_seg_size, 0
	.set _ZN7rocprim17ROCPRIM_400000_NS6detail17trampoline_kernelINS0_13select_configILj256ELj13ELNS0_17block_load_methodE3ELS4_3ELS4_3ELNS0_20block_scan_algorithmE0ELj4294967295EEENS1_25partition_config_selectorILNS1_17partition_subalgoE4EjNS0_10empty_typeEbEEZZNS1_14partition_implILS8_4ELb0ES6_15HIP_vector_typeIjLj2EENS0_17counting_iteratorIjlEEPS9_SG_NS0_5tupleIJPjSI_NS0_16reverse_iteratorISI_EEEEENSH_IJSG_SG_SG_EEES9_SI_JZNS1_25segmented_radix_sort_implINS0_14default_configELb1EPK12hip_bfloat16PSP_PKlPlN2at6native12_GLOBAL__N_18offset_tEEE10hipError_tPvRmT1_PNSt15iterator_traitsIS13_E10value_typeET2_T3_PNS14_IS19_E10value_typeET4_jRbjT5_S1F_jjP12ihipStream_tbEUljE_ZNSN_ISO_Lb1ESR_SS_SU_SV_SZ_EES10_S11_S12_S13_S17_S18_S19_S1C_S1D_jS1E_jS1F_S1F_jjS1H_bEUljE0_EEES10_S11_S12_S19_S1D_S1F_T6_T7_T9_mT8_S1H_bDpT10_ENKUlT_T0_E_clISt17integral_constantIbLb1EES1V_EEDaS1Q_S1R_EUlS1Q_E_NS1_11comp_targetILNS1_3genE4ELNS1_11target_archE910ELNS1_3gpuE8ELNS1_3repE0EEENS1_30default_config_static_selectorELNS0_4arch9wavefront6targetE0EEEvS13_.uses_vcc, 0
	.set _ZN7rocprim17ROCPRIM_400000_NS6detail17trampoline_kernelINS0_13select_configILj256ELj13ELNS0_17block_load_methodE3ELS4_3ELS4_3ELNS0_20block_scan_algorithmE0ELj4294967295EEENS1_25partition_config_selectorILNS1_17partition_subalgoE4EjNS0_10empty_typeEbEEZZNS1_14partition_implILS8_4ELb0ES6_15HIP_vector_typeIjLj2EENS0_17counting_iteratorIjlEEPS9_SG_NS0_5tupleIJPjSI_NS0_16reverse_iteratorISI_EEEEENSH_IJSG_SG_SG_EEES9_SI_JZNS1_25segmented_radix_sort_implINS0_14default_configELb1EPK12hip_bfloat16PSP_PKlPlN2at6native12_GLOBAL__N_18offset_tEEE10hipError_tPvRmT1_PNSt15iterator_traitsIS13_E10value_typeET2_T3_PNS14_IS19_E10value_typeET4_jRbjT5_S1F_jjP12ihipStream_tbEUljE_ZNSN_ISO_Lb1ESR_SS_SU_SV_SZ_EES10_S11_S12_S13_S17_S18_S19_S1C_S1D_jS1E_jS1F_S1F_jjS1H_bEUljE0_EEES10_S11_S12_S19_S1D_S1F_T6_T7_T9_mT8_S1H_bDpT10_ENKUlT_T0_E_clISt17integral_constantIbLb1EES1V_EEDaS1Q_S1R_EUlS1Q_E_NS1_11comp_targetILNS1_3genE4ELNS1_11target_archE910ELNS1_3gpuE8ELNS1_3repE0EEENS1_30default_config_static_selectorELNS0_4arch9wavefront6targetE0EEEvS13_.uses_flat_scratch, 0
	.set _ZN7rocprim17ROCPRIM_400000_NS6detail17trampoline_kernelINS0_13select_configILj256ELj13ELNS0_17block_load_methodE3ELS4_3ELS4_3ELNS0_20block_scan_algorithmE0ELj4294967295EEENS1_25partition_config_selectorILNS1_17partition_subalgoE4EjNS0_10empty_typeEbEEZZNS1_14partition_implILS8_4ELb0ES6_15HIP_vector_typeIjLj2EENS0_17counting_iteratorIjlEEPS9_SG_NS0_5tupleIJPjSI_NS0_16reverse_iteratorISI_EEEEENSH_IJSG_SG_SG_EEES9_SI_JZNS1_25segmented_radix_sort_implINS0_14default_configELb1EPK12hip_bfloat16PSP_PKlPlN2at6native12_GLOBAL__N_18offset_tEEE10hipError_tPvRmT1_PNSt15iterator_traitsIS13_E10value_typeET2_T3_PNS14_IS19_E10value_typeET4_jRbjT5_S1F_jjP12ihipStream_tbEUljE_ZNSN_ISO_Lb1ESR_SS_SU_SV_SZ_EES10_S11_S12_S13_S17_S18_S19_S1C_S1D_jS1E_jS1F_S1F_jjS1H_bEUljE0_EEES10_S11_S12_S19_S1D_S1F_T6_T7_T9_mT8_S1H_bDpT10_ENKUlT_T0_E_clISt17integral_constantIbLb1EES1V_EEDaS1Q_S1R_EUlS1Q_E_NS1_11comp_targetILNS1_3genE4ELNS1_11target_archE910ELNS1_3gpuE8ELNS1_3repE0EEENS1_30default_config_static_selectorELNS0_4arch9wavefront6targetE0EEEvS13_.has_dyn_sized_stack, 0
	.set _ZN7rocprim17ROCPRIM_400000_NS6detail17trampoline_kernelINS0_13select_configILj256ELj13ELNS0_17block_load_methodE3ELS4_3ELS4_3ELNS0_20block_scan_algorithmE0ELj4294967295EEENS1_25partition_config_selectorILNS1_17partition_subalgoE4EjNS0_10empty_typeEbEEZZNS1_14partition_implILS8_4ELb0ES6_15HIP_vector_typeIjLj2EENS0_17counting_iteratorIjlEEPS9_SG_NS0_5tupleIJPjSI_NS0_16reverse_iteratorISI_EEEEENSH_IJSG_SG_SG_EEES9_SI_JZNS1_25segmented_radix_sort_implINS0_14default_configELb1EPK12hip_bfloat16PSP_PKlPlN2at6native12_GLOBAL__N_18offset_tEEE10hipError_tPvRmT1_PNSt15iterator_traitsIS13_E10value_typeET2_T3_PNS14_IS19_E10value_typeET4_jRbjT5_S1F_jjP12ihipStream_tbEUljE_ZNSN_ISO_Lb1ESR_SS_SU_SV_SZ_EES10_S11_S12_S13_S17_S18_S19_S1C_S1D_jS1E_jS1F_S1F_jjS1H_bEUljE0_EEES10_S11_S12_S19_S1D_S1F_T6_T7_T9_mT8_S1H_bDpT10_ENKUlT_T0_E_clISt17integral_constantIbLb1EES1V_EEDaS1Q_S1R_EUlS1Q_E_NS1_11comp_targetILNS1_3genE4ELNS1_11target_archE910ELNS1_3gpuE8ELNS1_3repE0EEENS1_30default_config_static_selectorELNS0_4arch9wavefront6targetE0EEEvS13_.has_recursion, 0
	.set _ZN7rocprim17ROCPRIM_400000_NS6detail17trampoline_kernelINS0_13select_configILj256ELj13ELNS0_17block_load_methodE3ELS4_3ELS4_3ELNS0_20block_scan_algorithmE0ELj4294967295EEENS1_25partition_config_selectorILNS1_17partition_subalgoE4EjNS0_10empty_typeEbEEZZNS1_14partition_implILS8_4ELb0ES6_15HIP_vector_typeIjLj2EENS0_17counting_iteratorIjlEEPS9_SG_NS0_5tupleIJPjSI_NS0_16reverse_iteratorISI_EEEEENSH_IJSG_SG_SG_EEES9_SI_JZNS1_25segmented_radix_sort_implINS0_14default_configELb1EPK12hip_bfloat16PSP_PKlPlN2at6native12_GLOBAL__N_18offset_tEEE10hipError_tPvRmT1_PNSt15iterator_traitsIS13_E10value_typeET2_T3_PNS14_IS19_E10value_typeET4_jRbjT5_S1F_jjP12ihipStream_tbEUljE_ZNSN_ISO_Lb1ESR_SS_SU_SV_SZ_EES10_S11_S12_S13_S17_S18_S19_S1C_S1D_jS1E_jS1F_S1F_jjS1H_bEUljE0_EEES10_S11_S12_S19_S1D_S1F_T6_T7_T9_mT8_S1H_bDpT10_ENKUlT_T0_E_clISt17integral_constantIbLb1EES1V_EEDaS1Q_S1R_EUlS1Q_E_NS1_11comp_targetILNS1_3genE4ELNS1_11target_archE910ELNS1_3gpuE8ELNS1_3repE0EEENS1_30default_config_static_selectorELNS0_4arch9wavefront6targetE0EEEvS13_.has_indirect_call, 0
	.section	.AMDGPU.csdata,"",@progbits
; Kernel info:
; codeLenInByte = 0
; TotalNumSgprs: 0
; NumVgprs: 0
; ScratchSize: 0
; MemoryBound: 0
; FloatMode: 240
; IeeeMode: 1
; LDSByteSize: 0 bytes/workgroup (compile time only)
; SGPRBlocks: 0
; VGPRBlocks: 0
; NumSGPRsForWavesPerEU: 1
; NumVGPRsForWavesPerEU: 1
; NamedBarCnt: 0
; Occupancy: 16
; WaveLimiterHint : 0
; COMPUTE_PGM_RSRC2:SCRATCH_EN: 0
; COMPUTE_PGM_RSRC2:USER_SGPR: 2
; COMPUTE_PGM_RSRC2:TRAP_HANDLER: 0
; COMPUTE_PGM_RSRC2:TGID_X_EN: 1
; COMPUTE_PGM_RSRC2:TGID_Y_EN: 0
; COMPUTE_PGM_RSRC2:TGID_Z_EN: 0
; COMPUTE_PGM_RSRC2:TIDIG_COMP_CNT: 0
	.section	.text._ZN7rocprim17ROCPRIM_400000_NS6detail17trampoline_kernelINS0_13select_configILj256ELj13ELNS0_17block_load_methodE3ELS4_3ELS4_3ELNS0_20block_scan_algorithmE0ELj4294967295EEENS1_25partition_config_selectorILNS1_17partition_subalgoE4EjNS0_10empty_typeEbEEZZNS1_14partition_implILS8_4ELb0ES6_15HIP_vector_typeIjLj2EENS0_17counting_iteratorIjlEEPS9_SG_NS0_5tupleIJPjSI_NS0_16reverse_iteratorISI_EEEEENSH_IJSG_SG_SG_EEES9_SI_JZNS1_25segmented_radix_sort_implINS0_14default_configELb1EPK12hip_bfloat16PSP_PKlPlN2at6native12_GLOBAL__N_18offset_tEEE10hipError_tPvRmT1_PNSt15iterator_traitsIS13_E10value_typeET2_T3_PNS14_IS19_E10value_typeET4_jRbjT5_S1F_jjP12ihipStream_tbEUljE_ZNSN_ISO_Lb1ESR_SS_SU_SV_SZ_EES10_S11_S12_S13_S17_S18_S19_S1C_S1D_jS1E_jS1F_S1F_jjS1H_bEUljE0_EEES10_S11_S12_S19_S1D_S1F_T6_T7_T9_mT8_S1H_bDpT10_ENKUlT_T0_E_clISt17integral_constantIbLb1EES1V_EEDaS1Q_S1R_EUlS1Q_E_NS1_11comp_targetILNS1_3genE3ELNS1_11target_archE908ELNS1_3gpuE7ELNS1_3repE0EEENS1_30default_config_static_selectorELNS0_4arch9wavefront6targetE0EEEvS13_,"axG",@progbits,_ZN7rocprim17ROCPRIM_400000_NS6detail17trampoline_kernelINS0_13select_configILj256ELj13ELNS0_17block_load_methodE3ELS4_3ELS4_3ELNS0_20block_scan_algorithmE0ELj4294967295EEENS1_25partition_config_selectorILNS1_17partition_subalgoE4EjNS0_10empty_typeEbEEZZNS1_14partition_implILS8_4ELb0ES6_15HIP_vector_typeIjLj2EENS0_17counting_iteratorIjlEEPS9_SG_NS0_5tupleIJPjSI_NS0_16reverse_iteratorISI_EEEEENSH_IJSG_SG_SG_EEES9_SI_JZNS1_25segmented_radix_sort_implINS0_14default_configELb1EPK12hip_bfloat16PSP_PKlPlN2at6native12_GLOBAL__N_18offset_tEEE10hipError_tPvRmT1_PNSt15iterator_traitsIS13_E10value_typeET2_T3_PNS14_IS19_E10value_typeET4_jRbjT5_S1F_jjP12ihipStream_tbEUljE_ZNSN_ISO_Lb1ESR_SS_SU_SV_SZ_EES10_S11_S12_S13_S17_S18_S19_S1C_S1D_jS1E_jS1F_S1F_jjS1H_bEUljE0_EEES10_S11_S12_S19_S1D_S1F_T6_T7_T9_mT8_S1H_bDpT10_ENKUlT_T0_E_clISt17integral_constantIbLb1EES1V_EEDaS1Q_S1R_EUlS1Q_E_NS1_11comp_targetILNS1_3genE3ELNS1_11target_archE908ELNS1_3gpuE7ELNS1_3repE0EEENS1_30default_config_static_selectorELNS0_4arch9wavefront6targetE0EEEvS13_,comdat
	.globl	_ZN7rocprim17ROCPRIM_400000_NS6detail17trampoline_kernelINS0_13select_configILj256ELj13ELNS0_17block_load_methodE3ELS4_3ELS4_3ELNS0_20block_scan_algorithmE0ELj4294967295EEENS1_25partition_config_selectorILNS1_17partition_subalgoE4EjNS0_10empty_typeEbEEZZNS1_14partition_implILS8_4ELb0ES6_15HIP_vector_typeIjLj2EENS0_17counting_iteratorIjlEEPS9_SG_NS0_5tupleIJPjSI_NS0_16reverse_iteratorISI_EEEEENSH_IJSG_SG_SG_EEES9_SI_JZNS1_25segmented_radix_sort_implINS0_14default_configELb1EPK12hip_bfloat16PSP_PKlPlN2at6native12_GLOBAL__N_18offset_tEEE10hipError_tPvRmT1_PNSt15iterator_traitsIS13_E10value_typeET2_T3_PNS14_IS19_E10value_typeET4_jRbjT5_S1F_jjP12ihipStream_tbEUljE_ZNSN_ISO_Lb1ESR_SS_SU_SV_SZ_EES10_S11_S12_S13_S17_S18_S19_S1C_S1D_jS1E_jS1F_S1F_jjS1H_bEUljE0_EEES10_S11_S12_S19_S1D_S1F_T6_T7_T9_mT8_S1H_bDpT10_ENKUlT_T0_E_clISt17integral_constantIbLb1EES1V_EEDaS1Q_S1R_EUlS1Q_E_NS1_11comp_targetILNS1_3genE3ELNS1_11target_archE908ELNS1_3gpuE7ELNS1_3repE0EEENS1_30default_config_static_selectorELNS0_4arch9wavefront6targetE0EEEvS13_ ; -- Begin function _ZN7rocprim17ROCPRIM_400000_NS6detail17trampoline_kernelINS0_13select_configILj256ELj13ELNS0_17block_load_methodE3ELS4_3ELS4_3ELNS0_20block_scan_algorithmE0ELj4294967295EEENS1_25partition_config_selectorILNS1_17partition_subalgoE4EjNS0_10empty_typeEbEEZZNS1_14partition_implILS8_4ELb0ES6_15HIP_vector_typeIjLj2EENS0_17counting_iteratorIjlEEPS9_SG_NS0_5tupleIJPjSI_NS0_16reverse_iteratorISI_EEEEENSH_IJSG_SG_SG_EEES9_SI_JZNS1_25segmented_radix_sort_implINS0_14default_configELb1EPK12hip_bfloat16PSP_PKlPlN2at6native12_GLOBAL__N_18offset_tEEE10hipError_tPvRmT1_PNSt15iterator_traitsIS13_E10value_typeET2_T3_PNS14_IS19_E10value_typeET4_jRbjT5_S1F_jjP12ihipStream_tbEUljE_ZNSN_ISO_Lb1ESR_SS_SU_SV_SZ_EES10_S11_S12_S13_S17_S18_S19_S1C_S1D_jS1E_jS1F_S1F_jjS1H_bEUljE0_EEES10_S11_S12_S19_S1D_S1F_T6_T7_T9_mT8_S1H_bDpT10_ENKUlT_T0_E_clISt17integral_constantIbLb1EES1V_EEDaS1Q_S1R_EUlS1Q_E_NS1_11comp_targetILNS1_3genE3ELNS1_11target_archE908ELNS1_3gpuE7ELNS1_3repE0EEENS1_30default_config_static_selectorELNS0_4arch9wavefront6targetE0EEEvS13_
	.p2align	8
	.type	_ZN7rocprim17ROCPRIM_400000_NS6detail17trampoline_kernelINS0_13select_configILj256ELj13ELNS0_17block_load_methodE3ELS4_3ELS4_3ELNS0_20block_scan_algorithmE0ELj4294967295EEENS1_25partition_config_selectorILNS1_17partition_subalgoE4EjNS0_10empty_typeEbEEZZNS1_14partition_implILS8_4ELb0ES6_15HIP_vector_typeIjLj2EENS0_17counting_iteratorIjlEEPS9_SG_NS0_5tupleIJPjSI_NS0_16reverse_iteratorISI_EEEEENSH_IJSG_SG_SG_EEES9_SI_JZNS1_25segmented_radix_sort_implINS0_14default_configELb1EPK12hip_bfloat16PSP_PKlPlN2at6native12_GLOBAL__N_18offset_tEEE10hipError_tPvRmT1_PNSt15iterator_traitsIS13_E10value_typeET2_T3_PNS14_IS19_E10value_typeET4_jRbjT5_S1F_jjP12ihipStream_tbEUljE_ZNSN_ISO_Lb1ESR_SS_SU_SV_SZ_EES10_S11_S12_S13_S17_S18_S19_S1C_S1D_jS1E_jS1F_S1F_jjS1H_bEUljE0_EEES10_S11_S12_S19_S1D_S1F_T6_T7_T9_mT8_S1H_bDpT10_ENKUlT_T0_E_clISt17integral_constantIbLb1EES1V_EEDaS1Q_S1R_EUlS1Q_E_NS1_11comp_targetILNS1_3genE3ELNS1_11target_archE908ELNS1_3gpuE7ELNS1_3repE0EEENS1_30default_config_static_selectorELNS0_4arch9wavefront6targetE0EEEvS13_,@function
_ZN7rocprim17ROCPRIM_400000_NS6detail17trampoline_kernelINS0_13select_configILj256ELj13ELNS0_17block_load_methodE3ELS4_3ELS4_3ELNS0_20block_scan_algorithmE0ELj4294967295EEENS1_25partition_config_selectorILNS1_17partition_subalgoE4EjNS0_10empty_typeEbEEZZNS1_14partition_implILS8_4ELb0ES6_15HIP_vector_typeIjLj2EENS0_17counting_iteratorIjlEEPS9_SG_NS0_5tupleIJPjSI_NS0_16reverse_iteratorISI_EEEEENSH_IJSG_SG_SG_EEES9_SI_JZNS1_25segmented_radix_sort_implINS0_14default_configELb1EPK12hip_bfloat16PSP_PKlPlN2at6native12_GLOBAL__N_18offset_tEEE10hipError_tPvRmT1_PNSt15iterator_traitsIS13_E10value_typeET2_T3_PNS14_IS19_E10value_typeET4_jRbjT5_S1F_jjP12ihipStream_tbEUljE_ZNSN_ISO_Lb1ESR_SS_SU_SV_SZ_EES10_S11_S12_S13_S17_S18_S19_S1C_S1D_jS1E_jS1F_S1F_jjS1H_bEUljE0_EEES10_S11_S12_S19_S1D_S1F_T6_T7_T9_mT8_S1H_bDpT10_ENKUlT_T0_E_clISt17integral_constantIbLb1EES1V_EEDaS1Q_S1R_EUlS1Q_E_NS1_11comp_targetILNS1_3genE3ELNS1_11target_archE908ELNS1_3gpuE7ELNS1_3repE0EEENS1_30default_config_static_selectorELNS0_4arch9wavefront6targetE0EEEvS13_: ; @_ZN7rocprim17ROCPRIM_400000_NS6detail17trampoline_kernelINS0_13select_configILj256ELj13ELNS0_17block_load_methodE3ELS4_3ELS4_3ELNS0_20block_scan_algorithmE0ELj4294967295EEENS1_25partition_config_selectorILNS1_17partition_subalgoE4EjNS0_10empty_typeEbEEZZNS1_14partition_implILS8_4ELb0ES6_15HIP_vector_typeIjLj2EENS0_17counting_iteratorIjlEEPS9_SG_NS0_5tupleIJPjSI_NS0_16reverse_iteratorISI_EEEEENSH_IJSG_SG_SG_EEES9_SI_JZNS1_25segmented_radix_sort_implINS0_14default_configELb1EPK12hip_bfloat16PSP_PKlPlN2at6native12_GLOBAL__N_18offset_tEEE10hipError_tPvRmT1_PNSt15iterator_traitsIS13_E10value_typeET2_T3_PNS14_IS19_E10value_typeET4_jRbjT5_S1F_jjP12ihipStream_tbEUljE_ZNSN_ISO_Lb1ESR_SS_SU_SV_SZ_EES10_S11_S12_S13_S17_S18_S19_S1C_S1D_jS1E_jS1F_S1F_jjS1H_bEUljE0_EEES10_S11_S12_S19_S1D_S1F_T6_T7_T9_mT8_S1H_bDpT10_ENKUlT_T0_E_clISt17integral_constantIbLb1EES1V_EEDaS1Q_S1R_EUlS1Q_E_NS1_11comp_targetILNS1_3genE3ELNS1_11target_archE908ELNS1_3gpuE7ELNS1_3repE0EEENS1_30default_config_static_selectorELNS0_4arch9wavefront6targetE0EEEvS13_
; %bb.0:
	.section	.rodata,"a",@progbits
	.p2align	6, 0x0
	.amdhsa_kernel _ZN7rocprim17ROCPRIM_400000_NS6detail17trampoline_kernelINS0_13select_configILj256ELj13ELNS0_17block_load_methodE3ELS4_3ELS4_3ELNS0_20block_scan_algorithmE0ELj4294967295EEENS1_25partition_config_selectorILNS1_17partition_subalgoE4EjNS0_10empty_typeEbEEZZNS1_14partition_implILS8_4ELb0ES6_15HIP_vector_typeIjLj2EENS0_17counting_iteratorIjlEEPS9_SG_NS0_5tupleIJPjSI_NS0_16reverse_iteratorISI_EEEEENSH_IJSG_SG_SG_EEES9_SI_JZNS1_25segmented_radix_sort_implINS0_14default_configELb1EPK12hip_bfloat16PSP_PKlPlN2at6native12_GLOBAL__N_18offset_tEEE10hipError_tPvRmT1_PNSt15iterator_traitsIS13_E10value_typeET2_T3_PNS14_IS19_E10value_typeET4_jRbjT5_S1F_jjP12ihipStream_tbEUljE_ZNSN_ISO_Lb1ESR_SS_SU_SV_SZ_EES10_S11_S12_S13_S17_S18_S19_S1C_S1D_jS1E_jS1F_S1F_jjS1H_bEUljE0_EEES10_S11_S12_S19_S1D_S1F_T6_T7_T9_mT8_S1H_bDpT10_ENKUlT_T0_E_clISt17integral_constantIbLb1EES1V_EEDaS1Q_S1R_EUlS1Q_E_NS1_11comp_targetILNS1_3genE3ELNS1_11target_archE908ELNS1_3gpuE7ELNS1_3repE0EEENS1_30default_config_static_selectorELNS0_4arch9wavefront6targetE0EEEvS13_
		.amdhsa_group_segment_fixed_size 0
		.amdhsa_private_segment_fixed_size 0
		.amdhsa_kernarg_size 184
		.amdhsa_user_sgpr_count 2
		.amdhsa_user_sgpr_dispatch_ptr 0
		.amdhsa_user_sgpr_queue_ptr 0
		.amdhsa_user_sgpr_kernarg_segment_ptr 1
		.amdhsa_user_sgpr_dispatch_id 0
		.amdhsa_user_sgpr_kernarg_preload_length 0
		.amdhsa_user_sgpr_kernarg_preload_offset 0
		.amdhsa_user_sgpr_private_segment_size 0
		.amdhsa_wavefront_size32 1
		.amdhsa_uses_dynamic_stack 0
		.amdhsa_enable_private_segment 0
		.amdhsa_system_sgpr_workgroup_id_x 1
		.amdhsa_system_sgpr_workgroup_id_y 0
		.amdhsa_system_sgpr_workgroup_id_z 0
		.amdhsa_system_sgpr_workgroup_info 0
		.amdhsa_system_vgpr_workitem_id 0
		.amdhsa_next_free_vgpr 1
		.amdhsa_next_free_sgpr 1
		.amdhsa_named_barrier_count 0
		.amdhsa_reserve_vcc 0
		.amdhsa_float_round_mode_32 0
		.amdhsa_float_round_mode_16_64 0
		.amdhsa_float_denorm_mode_32 3
		.amdhsa_float_denorm_mode_16_64 3
		.amdhsa_fp16_overflow 0
		.amdhsa_memory_ordered 1
		.amdhsa_forward_progress 1
		.amdhsa_inst_pref_size 0
		.amdhsa_round_robin_scheduling 0
		.amdhsa_exception_fp_ieee_invalid_op 0
		.amdhsa_exception_fp_denorm_src 0
		.amdhsa_exception_fp_ieee_div_zero 0
		.amdhsa_exception_fp_ieee_overflow 0
		.amdhsa_exception_fp_ieee_underflow 0
		.amdhsa_exception_fp_ieee_inexact 0
		.amdhsa_exception_int_div_zero 0
	.end_amdhsa_kernel
	.section	.text._ZN7rocprim17ROCPRIM_400000_NS6detail17trampoline_kernelINS0_13select_configILj256ELj13ELNS0_17block_load_methodE3ELS4_3ELS4_3ELNS0_20block_scan_algorithmE0ELj4294967295EEENS1_25partition_config_selectorILNS1_17partition_subalgoE4EjNS0_10empty_typeEbEEZZNS1_14partition_implILS8_4ELb0ES6_15HIP_vector_typeIjLj2EENS0_17counting_iteratorIjlEEPS9_SG_NS0_5tupleIJPjSI_NS0_16reverse_iteratorISI_EEEEENSH_IJSG_SG_SG_EEES9_SI_JZNS1_25segmented_radix_sort_implINS0_14default_configELb1EPK12hip_bfloat16PSP_PKlPlN2at6native12_GLOBAL__N_18offset_tEEE10hipError_tPvRmT1_PNSt15iterator_traitsIS13_E10value_typeET2_T3_PNS14_IS19_E10value_typeET4_jRbjT5_S1F_jjP12ihipStream_tbEUljE_ZNSN_ISO_Lb1ESR_SS_SU_SV_SZ_EES10_S11_S12_S13_S17_S18_S19_S1C_S1D_jS1E_jS1F_S1F_jjS1H_bEUljE0_EEES10_S11_S12_S19_S1D_S1F_T6_T7_T9_mT8_S1H_bDpT10_ENKUlT_T0_E_clISt17integral_constantIbLb1EES1V_EEDaS1Q_S1R_EUlS1Q_E_NS1_11comp_targetILNS1_3genE3ELNS1_11target_archE908ELNS1_3gpuE7ELNS1_3repE0EEENS1_30default_config_static_selectorELNS0_4arch9wavefront6targetE0EEEvS13_,"axG",@progbits,_ZN7rocprim17ROCPRIM_400000_NS6detail17trampoline_kernelINS0_13select_configILj256ELj13ELNS0_17block_load_methodE3ELS4_3ELS4_3ELNS0_20block_scan_algorithmE0ELj4294967295EEENS1_25partition_config_selectorILNS1_17partition_subalgoE4EjNS0_10empty_typeEbEEZZNS1_14partition_implILS8_4ELb0ES6_15HIP_vector_typeIjLj2EENS0_17counting_iteratorIjlEEPS9_SG_NS0_5tupleIJPjSI_NS0_16reverse_iteratorISI_EEEEENSH_IJSG_SG_SG_EEES9_SI_JZNS1_25segmented_radix_sort_implINS0_14default_configELb1EPK12hip_bfloat16PSP_PKlPlN2at6native12_GLOBAL__N_18offset_tEEE10hipError_tPvRmT1_PNSt15iterator_traitsIS13_E10value_typeET2_T3_PNS14_IS19_E10value_typeET4_jRbjT5_S1F_jjP12ihipStream_tbEUljE_ZNSN_ISO_Lb1ESR_SS_SU_SV_SZ_EES10_S11_S12_S13_S17_S18_S19_S1C_S1D_jS1E_jS1F_S1F_jjS1H_bEUljE0_EEES10_S11_S12_S19_S1D_S1F_T6_T7_T9_mT8_S1H_bDpT10_ENKUlT_T0_E_clISt17integral_constantIbLb1EES1V_EEDaS1Q_S1R_EUlS1Q_E_NS1_11comp_targetILNS1_3genE3ELNS1_11target_archE908ELNS1_3gpuE7ELNS1_3repE0EEENS1_30default_config_static_selectorELNS0_4arch9wavefront6targetE0EEEvS13_,comdat
.Lfunc_end1883:
	.size	_ZN7rocprim17ROCPRIM_400000_NS6detail17trampoline_kernelINS0_13select_configILj256ELj13ELNS0_17block_load_methodE3ELS4_3ELS4_3ELNS0_20block_scan_algorithmE0ELj4294967295EEENS1_25partition_config_selectorILNS1_17partition_subalgoE4EjNS0_10empty_typeEbEEZZNS1_14partition_implILS8_4ELb0ES6_15HIP_vector_typeIjLj2EENS0_17counting_iteratorIjlEEPS9_SG_NS0_5tupleIJPjSI_NS0_16reverse_iteratorISI_EEEEENSH_IJSG_SG_SG_EEES9_SI_JZNS1_25segmented_radix_sort_implINS0_14default_configELb1EPK12hip_bfloat16PSP_PKlPlN2at6native12_GLOBAL__N_18offset_tEEE10hipError_tPvRmT1_PNSt15iterator_traitsIS13_E10value_typeET2_T3_PNS14_IS19_E10value_typeET4_jRbjT5_S1F_jjP12ihipStream_tbEUljE_ZNSN_ISO_Lb1ESR_SS_SU_SV_SZ_EES10_S11_S12_S13_S17_S18_S19_S1C_S1D_jS1E_jS1F_S1F_jjS1H_bEUljE0_EEES10_S11_S12_S19_S1D_S1F_T6_T7_T9_mT8_S1H_bDpT10_ENKUlT_T0_E_clISt17integral_constantIbLb1EES1V_EEDaS1Q_S1R_EUlS1Q_E_NS1_11comp_targetILNS1_3genE3ELNS1_11target_archE908ELNS1_3gpuE7ELNS1_3repE0EEENS1_30default_config_static_selectorELNS0_4arch9wavefront6targetE0EEEvS13_, .Lfunc_end1883-_ZN7rocprim17ROCPRIM_400000_NS6detail17trampoline_kernelINS0_13select_configILj256ELj13ELNS0_17block_load_methodE3ELS4_3ELS4_3ELNS0_20block_scan_algorithmE0ELj4294967295EEENS1_25partition_config_selectorILNS1_17partition_subalgoE4EjNS0_10empty_typeEbEEZZNS1_14partition_implILS8_4ELb0ES6_15HIP_vector_typeIjLj2EENS0_17counting_iteratorIjlEEPS9_SG_NS0_5tupleIJPjSI_NS0_16reverse_iteratorISI_EEEEENSH_IJSG_SG_SG_EEES9_SI_JZNS1_25segmented_radix_sort_implINS0_14default_configELb1EPK12hip_bfloat16PSP_PKlPlN2at6native12_GLOBAL__N_18offset_tEEE10hipError_tPvRmT1_PNSt15iterator_traitsIS13_E10value_typeET2_T3_PNS14_IS19_E10value_typeET4_jRbjT5_S1F_jjP12ihipStream_tbEUljE_ZNSN_ISO_Lb1ESR_SS_SU_SV_SZ_EES10_S11_S12_S13_S17_S18_S19_S1C_S1D_jS1E_jS1F_S1F_jjS1H_bEUljE0_EEES10_S11_S12_S19_S1D_S1F_T6_T7_T9_mT8_S1H_bDpT10_ENKUlT_T0_E_clISt17integral_constantIbLb1EES1V_EEDaS1Q_S1R_EUlS1Q_E_NS1_11comp_targetILNS1_3genE3ELNS1_11target_archE908ELNS1_3gpuE7ELNS1_3repE0EEENS1_30default_config_static_selectorELNS0_4arch9wavefront6targetE0EEEvS13_
                                        ; -- End function
	.set _ZN7rocprim17ROCPRIM_400000_NS6detail17trampoline_kernelINS0_13select_configILj256ELj13ELNS0_17block_load_methodE3ELS4_3ELS4_3ELNS0_20block_scan_algorithmE0ELj4294967295EEENS1_25partition_config_selectorILNS1_17partition_subalgoE4EjNS0_10empty_typeEbEEZZNS1_14partition_implILS8_4ELb0ES6_15HIP_vector_typeIjLj2EENS0_17counting_iteratorIjlEEPS9_SG_NS0_5tupleIJPjSI_NS0_16reverse_iteratorISI_EEEEENSH_IJSG_SG_SG_EEES9_SI_JZNS1_25segmented_radix_sort_implINS0_14default_configELb1EPK12hip_bfloat16PSP_PKlPlN2at6native12_GLOBAL__N_18offset_tEEE10hipError_tPvRmT1_PNSt15iterator_traitsIS13_E10value_typeET2_T3_PNS14_IS19_E10value_typeET4_jRbjT5_S1F_jjP12ihipStream_tbEUljE_ZNSN_ISO_Lb1ESR_SS_SU_SV_SZ_EES10_S11_S12_S13_S17_S18_S19_S1C_S1D_jS1E_jS1F_S1F_jjS1H_bEUljE0_EEES10_S11_S12_S19_S1D_S1F_T6_T7_T9_mT8_S1H_bDpT10_ENKUlT_T0_E_clISt17integral_constantIbLb1EES1V_EEDaS1Q_S1R_EUlS1Q_E_NS1_11comp_targetILNS1_3genE3ELNS1_11target_archE908ELNS1_3gpuE7ELNS1_3repE0EEENS1_30default_config_static_selectorELNS0_4arch9wavefront6targetE0EEEvS13_.num_vgpr, 0
	.set _ZN7rocprim17ROCPRIM_400000_NS6detail17trampoline_kernelINS0_13select_configILj256ELj13ELNS0_17block_load_methodE3ELS4_3ELS4_3ELNS0_20block_scan_algorithmE0ELj4294967295EEENS1_25partition_config_selectorILNS1_17partition_subalgoE4EjNS0_10empty_typeEbEEZZNS1_14partition_implILS8_4ELb0ES6_15HIP_vector_typeIjLj2EENS0_17counting_iteratorIjlEEPS9_SG_NS0_5tupleIJPjSI_NS0_16reverse_iteratorISI_EEEEENSH_IJSG_SG_SG_EEES9_SI_JZNS1_25segmented_radix_sort_implINS0_14default_configELb1EPK12hip_bfloat16PSP_PKlPlN2at6native12_GLOBAL__N_18offset_tEEE10hipError_tPvRmT1_PNSt15iterator_traitsIS13_E10value_typeET2_T3_PNS14_IS19_E10value_typeET4_jRbjT5_S1F_jjP12ihipStream_tbEUljE_ZNSN_ISO_Lb1ESR_SS_SU_SV_SZ_EES10_S11_S12_S13_S17_S18_S19_S1C_S1D_jS1E_jS1F_S1F_jjS1H_bEUljE0_EEES10_S11_S12_S19_S1D_S1F_T6_T7_T9_mT8_S1H_bDpT10_ENKUlT_T0_E_clISt17integral_constantIbLb1EES1V_EEDaS1Q_S1R_EUlS1Q_E_NS1_11comp_targetILNS1_3genE3ELNS1_11target_archE908ELNS1_3gpuE7ELNS1_3repE0EEENS1_30default_config_static_selectorELNS0_4arch9wavefront6targetE0EEEvS13_.num_agpr, 0
	.set _ZN7rocprim17ROCPRIM_400000_NS6detail17trampoline_kernelINS0_13select_configILj256ELj13ELNS0_17block_load_methodE3ELS4_3ELS4_3ELNS0_20block_scan_algorithmE0ELj4294967295EEENS1_25partition_config_selectorILNS1_17partition_subalgoE4EjNS0_10empty_typeEbEEZZNS1_14partition_implILS8_4ELb0ES6_15HIP_vector_typeIjLj2EENS0_17counting_iteratorIjlEEPS9_SG_NS0_5tupleIJPjSI_NS0_16reverse_iteratorISI_EEEEENSH_IJSG_SG_SG_EEES9_SI_JZNS1_25segmented_radix_sort_implINS0_14default_configELb1EPK12hip_bfloat16PSP_PKlPlN2at6native12_GLOBAL__N_18offset_tEEE10hipError_tPvRmT1_PNSt15iterator_traitsIS13_E10value_typeET2_T3_PNS14_IS19_E10value_typeET4_jRbjT5_S1F_jjP12ihipStream_tbEUljE_ZNSN_ISO_Lb1ESR_SS_SU_SV_SZ_EES10_S11_S12_S13_S17_S18_S19_S1C_S1D_jS1E_jS1F_S1F_jjS1H_bEUljE0_EEES10_S11_S12_S19_S1D_S1F_T6_T7_T9_mT8_S1H_bDpT10_ENKUlT_T0_E_clISt17integral_constantIbLb1EES1V_EEDaS1Q_S1R_EUlS1Q_E_NS1_11comp_targetILNS1_3genE3ELNS1_11target_archE908ELNS1_3gpuE7ELNS1_3repE0EEENS1_30default_config_static_selectorELNS0_4arch9wavefront6targetE0EEEvS13_.numbered_sgpr, 0
	.set _ZN7rocprim17ROCPRIM_400000_NS6detail17trampoline_kernelINS0_13select_configILj256ELj13ELNS0_17block_load_methodE3ELS4_3ELS4_3ELNS0_20block_scan_algorithmE0ELj4294967295EEENS1_25partition_config_selectorILNS1_17partition_subalgoE4EjNS0_10empty_typeEbEEZZNS1_14partition_implILS8_4ELb0ES6_15HIP_vector_typeIjLj2EENS0_17counting_iteratorIjlEEPS9_SG_NS0_5tupleIJPjSI_NS0_16reverse_iteratorISI_EEEEENSH_IJSG_SG_SG_EEES9_SI_JZNS1_25segmented_radix_sort_implINS0_14default_configELb1EPK12hip_bfloat16PSP_PKlPlN2at6native12_GLOBAL__N_18offset_tEEE10hipError_tPvRmT1_PNSt15iterator_traitsIS13_E10value_typeET2_T3_PNS14_IS19_E10value_typeET4_jRbjT5_S1F_jjP12ihipStream_tbEUljE_ZNSN_ISO_Lb1ESR_SS_SU_SV_SZ_EES10_S11_S12_S13_S17_S18_S19_S1C_S1D_jS1E_jS1F_S1F_jjS1H_bEUljE0_EEES10_S11_S12_S19_S1D_S1F_T6_T7_T9_mT8_S1H_bDpT10_ENKUlT_T0_E_clISt17integral_constantIbLb1EES1V_EEDaS1Q_S1R_EUlS1Q_E_NS1_11comp_targetILNS1_3genE3ELNS1_11target_archE908ELNS1_3gpuE7ELNS1_3repE0EEENS1_30default_config_static_selectorELNS0_4arch9wavefront6targetE0EEEvS13_.num_named_barrier, 0
	.set _ZN7rocprim17ROCPRIM_400000_NS6detail17trampoline_kernelINS0_13select_configILj256ELj13ELNS0_17block_load_methodE3ELS4_3ELS4_3ELNS0_20block_scan_algorithmE0ELj4294967295EEENS1_25partition_config_selectorILNS1_17partition_subalgoE4EjNS0_10empty_typeEbEEZZNS1_14partition_implILS8_4ELb0ES6_15HIP_vector_typeIjLj2EENS0_17counting_iteratorIjlEEPS9_SG_NS0_5tupleIJPjSI_NS0_16reverse_iteratorISI_EEEEENSH_IJSG_SG_SG_EEES9_SI_JZNS1_25segmented_radix_sort_implINS0_14default_configELb1EPK12hip_bfloat16PSP_PKlPlN2at6native12_GLOBAL__N_18offset_tEEE10hipError_tPvRmT1_PNSt15iterator_traitsIS13_E10value_typeET2_T3_PNS14_IS19_E10value_typeET4_jRbjT5_S1F_jjP12ihipStream_tbEUljE_ZNSN_ISO_Lb1ESR_SS_SU_SV_SZ_EES10_S11_S12_S13_S17_S18_S19_S1C_S1D_jS1E_jS1F_S1F_jjS1H_bEUljE0_EEES10_S11_S12_S19_S1D_S1F_T6_T7_T9_mT8_S1H_bDpT10_ENKUlT_T0_E_clISt17integral_constantIbLb1EES1V_EEDaS1Q_S1R_EUlS1Q_E_NS1_11comp_targetILNS1_3genE3ELNS1_11target_archE908ELNS1_3gpuE7ELNS1_3repE0EEENS1_30default_config_static_selectorELNS0_4arch9wavefront6targetE0EEEvS13_.private_seg_size, 0
	.set _ZN7rocprim17ROCPRIM_400000_NS6detail17trampoline_kernelINS0_13select_configILj256ELj13ELNS0_17block_load_methodE3ELS4_3ELS4_3ELNS0_20block_scan_algorithmE0ELj4294967295EEENS1_25partition_config_selectorILNS1_17partition_subalgoE4EjNS0_10empty_typeEbEEZZNS1_14partition_implILS8_4ELb0ES6_15HIP_vector_typeIjLj2EENS0_17counting_iteratorIjlEEPS9_SG_NS0_5tupleIJPjSI_NS0_16reverse_iteratorISI_EEEEENSH_IJSG_SG_SG_EEES9_SI_JZNS1_25segmented_radix_sort_implINS0_14default_configELb1EPK12hip_bfloat16PSP_PKlPlN2at6native12_GLOBAL__N_18offset_tEEE10hipError_tPvRmT1_PNSt15iterator_traitsIS13_E10value_typeET2_T3_PNS14_IS19_E10value_typeET4_jRbjT5_S1F_jjP12ihipStream_tbEUljE_ZNSN_ISO_Lb1ESR_SS_SU_SV_SZ_EES10_S11_S12_S13_S17_S18_S19_S1C_S1D_jS1E_jS1F_S1F_jjS1H_bEUljE0_EEES10_S11_S12_S19_S1D_S1F_T6_T7_T9_mT8_S1H_bDpT10_ENKUlT_T0_E_clISt17integral_constantIbLb1EES1V_EEDaS1Q_S1R_EUlS1Q_E_NS1_11comp_targetILNS1_3genE3ELNS1_11target_archE908ELNS1_3gpuE7ELNS1_3repE0EEENS1_30default_config_static_selectorELNS0_4arch9wavefront6targetE0EEEvS13_.uses_vcc, 0
	.set _ZN7rocprim17ROCPRIM_400000_NS6detail17trampoline_kernelINS0_13select_configILj256ELj13ELNS0_17block_load_methodE3ELS4_3ELS4_3ELNS0_20block_scan_algorithmE0ELj4294967295EEENS1_25partition_config_selectorILNS1_17partition_subalgoE4EjNS0_10empty_typeEbEEZZNS1_14partition_implILS8_4ELb0ES6_15HIP_vector_typeIjLj2EENS0_17counting_iteratorIjlEEPS9_SG_NS0_5tupleIJPjSI_NS0_16reverse_iteratorISI_EEEEENSH_IJSG_SG_SG_EEES9_SI_JZNS1_25segmented_radix_sort_implINS0_14default_configELb1EPK12hip_bfloat16PSP_PKlPlN2at6native12_GLOBAL__N_18offset_tEEE10hipError_tPvRmT1_PNSt15iterator_traitsIS13_E10value_typeET2_T3_PNS14_IS19_E10value_typeET4_jRbjT5_S1F_jjP12ihipStream_tbEUljE_ZNSN_ISO_Lb1ESR_SS_SU_SV_SZ_EES10_S11_S12_S13_S17_S18_S19_S1C_S1D_jS1E_jS1F_S1F_jjS1H_bEUljE0_EEES10_S11_S12_S19_S1D_S1F_T6_T7_T9_mT8_S1H_bDpT10_ENKUlT_T0_E_clISt17integral_constantIbLb1EES1V_EEDaS1Q_S1R_EUlS1Q_E_NS1_11comp_targetILNS1_3genE3ELNS1_11target_archE908ELNS1_3gpuE7ELNS1_3repE0EEENS1_30default_config_static_selectorELNS0_4arch9wavefront6targetE0EEEvS13_.uses_flat_scratch, 0
	.set _ZN7rocprim17ROCPRIM_400000_NS6detail17trampoline_kernelINS0_13select_configILj256ELj13ELNS0_17block_load_methodE3ELS4_3ELS4_3ELNS0_20block_scan_algorithmE0ELj4294967295EEENS1_25partition_config_selectorILNS1_17partition_subalgoE4EjNS0_10empty_typeEbEEZZNS1_14partition_implILS8_4ELb0ES6_15HIP_vector_typeIjLj2EENS0_17counting_iteratorIjlEEPS9_SG_NS0_5tupleIJPjSI_NS0_16reverse_iteratorISI_EEEEENSH_IJSG_SG_SG_EEES9_SI_JZNS1_25segmented_radix_sort_implINS0_14default_configELb1EPK12hip_bfloat16PSP_PKlPlN2at6native12_GLOBAL__N_18offset_tEEE10hipError_tPvRmT1_PNSt15iterator_traitsIS13_E10value_typeET2_T3_PNS14_IS19_E10value_typeET4_jRbjT5_S1F_jjP12ihipStream_tbEUljE_ZNSN_ISO_Lb1ESR_SS_SU_SV_SZ_EES10_S11_S12_S13_S17_S18_S19_S1C_S1D_jS1E_jS1F_S1F_jjS1H_bEUljE0_EEES10_S11_S12_S19_S1D_S1F_T6_T7_T9_mT8_S1H_bDpT10_ENKUlT_T0_E_clISt17integral_constantIbLb1EES1V_EEDaS1Q_S1R_EUlS1Q_E_NS1_11comp_targetILNS1_3genE3ELNS1_11target_archE908ELNS1_3gpuE7ELNS1_3repE0EEENS1_30default_config_static_selectorELNS0_4arch9wavefront6targetE0EEEvS13_.has_dyn_sized_stack, 0
	.set _ZN7rocprim17ROCPRIM_400000_NS6detail17trampoline_kernelINS0_13select_configILj256ELj13ELNS0_17block_load_methodE3ELS4_3ELS4_3ELNS0_20block_scan_algorithmE0ELj4294967295EEENS1_25partition_config_selectorILNS1_17partition_subalgoE4EjNS0_10empty_typeEbEEZZNS1_14partition_implILS8_4ELb0ES6_15HIP_vector_typeIjLj2EENS0_17counting_iteratorIjlEEPS9_SG_NS0_5tupleIJPjSI_NS0_16reverse_iteratorISI_EEEEENSH_IJSG_SG_SG_EEES9_SI_JZNS1_25segmented_radix_sort_implINS0_14default_configELb1EPK12hip_bfloat16PSP_PKlPlN2at6native12_GLOBAL__N_18offset_tEEE10hipError_tPvRmT1_PNSt15iterator_traitsIS13_E10value_typeET2_T3_PNS14_IS19_E10value_typeET4_jRbjT5_S1F_jjP12ihipStream_tbEUljE_ZNSN_ISO_Lb1ESR_SS_SU_SV_SZ_EES10_S11_S12_S13_S17_S18_S19_S1C_S1D_jS1E_jS1F_S1F_jjS1H_bEUljE0_EEES10_S11_S12_S19_S1D_S1F_T6_T7_T9_mT8_S1H_bDpT10_ENKUlT_T0_E_clISt17integral_constantIbLb1EES1V_EEDaS1Q_S1R_EUlS1Q_E_NS1_11comp_targetILNS1_3genE3ELNS1_11target_archE908ELNS1_3gpuE7ELNS1_3repE0EEENS1_30default_config_static_selectorELNS0_4arch9wavefront6targetE0EEEvS13_.has_recursion, 0
	.set _ZN7rocprim17ROCPRIM_400000_NS6detail17trampoline_kernelINS0_13select_configILj256ELj13ELNS0_17block_load_methodE3ELS4_3ELS4_3ELNS0_20block_scan_algorithmE0ELj4294967295EEENS1_25partition_config_selectorILNS1_17partition_subalgoE4EjNS0_10empty_typeEbEEZZNS1_14partition_implILS8_4ELb0ES6_15HIP_vector_typeIjLj2EENS0_17counting_iteratorIjlEEPS9_SG_NS0_5tupleIJPjSI_NS0_16reverse_iteratorISI_EEEEENSH_IJSG_SG_SG_EEES9_SI_JZNS1_25segmented_radix_sort_implINS0_14default_configELb1EPK12hip_bfloat16PSP_PKlPlN2at6native12_GLOBAL__N_18offset_tEEE10hipError_tPvRmT1_PNSt15iterator_traitsIS13_E10value_typeET2_T3_PNS14_IS19_E10value_typeET4_jRbjT5_S1F_jjP12ihipStream_tbEUljE_ZNSN_ISO_Lb1ESR_SS_SU_SV_SZ_EES10_S11_S12_S13_S17_S18_S19_S1C_S1D_jS1E_jS1F_S1F_jjS1H_bEUljE0_EEES10_S11_S12_S19_S1D_S1F_T6_T7_T9_mT8_S1H_bDpT10_ENKUlT_T0_E_clISt17integral_constantIbLb1EES1V_EEDaS1Q_S1R_EUlS1Q_E_NS1_11comp_targetILNS1_3genE3ELNS1_11target_archE908ELNS1_3gpuE7ELNS1_3repE0EEENS1_30default_config_static_selectorELNS0_4arch9wavefront6targetE0EEEvS13_.has_indirect_call, 0
	.section	.AMDGPU.csdata,"",@progbits
; Kernel info:
; codeLenInByte = 0
; TotalNumSgprs: 0
; NumVgprs: 0
; ScratchSize: 0
; MemoryBound: 0
; FloatMode: 240
; IeeeMode: 1
; LDSByteSize: 0 bytes/workgroup (compile time only)
; SGPRBlocks: 0
; VGPRBlocks: 0
; NumSGPRsForWavesPerEU: 1
; NumVGPRsForWavesPerEU: 1
; NamedBarCnt: 0
; Occupancy: 16
; WaveLimiterHint : 0
; COMPUTE_PGM_RSRC2:SCRATCH_EN: 0
; COMPUTE_PGM_RSRC2:USER_SGPR: 2
; COMPUTE_PGM_RSRC2:TRAP_HANDLER: 0
; COMPUTE_PGM_RSRC2:TGID_X_EN: 1
; COMPUTE_PGM_RSRC2:TGID_Y_EN: 0
; COMPUTE_PGM_RSRC2:TGID_Z_EN: 0
; COMPUTE_PGM_RSRC2:TIDIG_COMP_CNT: 0
	.section	.text._ZN7rocprim17ROCPRIM_400000_NS6detail17trampoline_kernelINS0_13select_configILj256ELj13ELNS0_17block_load_methodE3ELS4_3ELS4_3ELNS0_20block_scan_algorithmE0ELj4294967295EEENS1_25partition_config_selectorILNS1_17partition_subalgoE4EjNS0_10empty_typeEbEEZZNS1_14partition_implILS8_4ELb0ES6_15HIP_vector_typeIjLj2EENS0_17counting_iteratorIjlEEPS9_SG_NS0_5tupleIJPjSI_NS0_16reverse_iteratorISI_EEEEENSH_IJSG_SG_SG_EEES9_SI_JZNS1_25segmented_radix_sort_implINS0_14default_configELb1EPK12hip_bfloat16PSP_PKlPlN2at6native12_GLOBAL__N_18offset_tEEE10hipError_tPvRmT1_PNSt15iterator_traitsIS13_E10value_typeET2_T3_PNS14_IS19_E10value_typeET4_jRbjT5_S1F_jjP12ihipStream_tbEUljE_ZNSN_ISO_Lb1ESR_SS_SU_SV_SZ_EES10_S11_S12_S13_S17_S18_S19_S1C_S1D_jS1E_jS1F_S1F_jjS1H_bEUljE0_EEES10_S11_S12_S19_S1D_S1F_T6_T7_T9_mT8_S1H_bDpT10_ENKUlT_T0_E_clISt17integral_constantIbLb1EES1V_EEDaS1Q_S1R_EUlS1Q_E_NS1_11comp_targetILNS1_3genE2ELNS1_11target_archE906ELNS1_3gpuE6ELNS1_3repE0EEENS1_30default_config_static_selectorELNS0_4arch9wavefront6targetE0EEEvS13_,"axG",@progbits,_ZN7rocprim17ROCPRIM_400000_NS6detail17trampoline_kernelINS0_13select_configILj256ELj13ELNS0_17block_load_methodE3ELS4_3ELS4_3ELNS0_20block_scan_algorithmE0ELj4294967295EEENS1_25partition_config_selectorILNS1_17partition_subalgoE4EjNS0_10empty_typeEbEEZZNS1_14partition_implILS8_4ELb0ES6_15HIP_vector_typeIjLj2EENS0_17counting_iteratorIjlEEPS9_SG_NS0_5tupleIJPjSI_NS0_16reverse_iteratorISI_EEEEENSH_IJSG_SG_SG_EEES9_SI_JZNS1_25segmented_radix_sort_implINS0_14default_configELb1EPK12hip_bfloat16PSP_PKlPlN2at6native12_GLOBAL__N_18offset_tEEE10hipError_tPvRmT1_PNSt15iterator_traitsIS13_E10value_typeET2_T3_PNS14_IS19_E10value_typeET4_jRbjT5_S1F_jjP12ihipStream_tbEUljE_ZNSN_ISO_Lb1ESR_SS_SU_SV_SZ_EES10_S11_S12_S13_S17_S18_S19_S1C_S1D_jS1E_jS1F_S1F_jjS1H_bEUljE0_EEES10_S11_S12_S19_S1D_S1F_T6_T7_T9_mT8_S1H_bDpT10_ENKUlT_T0_E_clISt17integral_constantIbLb1EES1V_EEDaS1Q_S1R_EUlS1Q_E_NS1_11comp_targetILNS1_3genE2ELNS1_11target_archE906ELNS1_3gpuE6ELNS1_3repE0EEENS1_30default_config_static_selectorELNS0_4arch9wavefront6targetE0EEEvS13_,comdat
	.globl	_ZN7rocprim17ROCPRIM_400000_NS6detail17trampoline_kernelINS0_13select_configILj256ELj13ELNS0_17block_load_methodE3ELS4_3ELS4_3ELNS0_20block_scan_algorithmE0ELj4294967295EEENS1_25partition_config_selectorILNS1_17partition_subalgoE4EjNS0_10empty_typeEbEEZZNS1_14partition_implILS8_4ELb0ES6_15HIP_vector_typeIjLj2EENS0_17counting_iteratorIjlEEPS9_SG_NS0_5tupleIJPjSI_NS0_16reverse_iteratorISI_EEEEENSH_IJSG_SG_SG_EEES9_SI_JZNS1_25segmented_radix_sort_implINS0_14default_configELb1EPK12hip_bfloat16PSP_PKlPlN2at6native12_GLOBAL__N_18offset_tEEE10hipError_tPvRmT1_PNSt15iterator_traitsIS13_E10value_typeET2_T3_PNS14_IS19_E10value_typeET4_jRbjT5_S1F_jjP12ihipStream_tbEUljE_ZNSN_ISO_Lb1ESR_SS_SU_SV_SZ_EES10_S11_S12_S13_S17_S18_S19_S1C_S1D_jS1E_jS1F_S1F_jjS1H_bEUljE0_EEES10_S11_S12_S19_S1D_S1F_T6_T7_T9_mT8_S1H_bDpT10_ENKUlT_T0_E_clISt17integral_constantIbLb1EES1V_EEDaS1Q_S1R_EUlS1Q_E_NS1_11comp_targetILNS1_3genE2ELNS1_11target_archE906ELNS1_3gpuE6ELNS1_3repE0EEENS1_30default_config_static_selectorELNS0_4arch9wavefront6targetE0EEEvS13_ ; -- Begin function _ZN7rocprim17ROCPRIM_400000_NS6detail17trampoline_kernelINS0_13select_configILj256ELj13ELNS0_17block_load_methodE3ELS4_3ELS4_3ELNS0_20block_scan_algorithmE0ELj4294967295EEENS1_25partition_config_selectorILNS1_17partition_subalgoE4EjNS0_10empty_typeEbEEZZNS1_14partition_implILS8_4ELb0ES6_15HIP_vector_typeIjLj2EENS0_17counting_iteratorIjlEEPS9_SG_NS0_5tupleIJPjSI_NS0_16reverse_iteratorISI_EEEEENSH_IJSG_SG_SG_EEES9_SI_JZNS1_25segmented_radix_sort_implINS0_14default_configELb1EPK12hip_bfloat16PSP_PKlPlN2at6native12_GLOBAL__N_18offset_tEEE10hipError_tPvRmT1_PNSt15iterator_traitsIS13_E10value_typeET2_T3_PNS14_IS19_E10value_typeET4_jRbjT5_S1F_jjP12ihipStream_tbEUljE_ZNSN_ISO_Lb1ESR_SS_SU_SV_SZ_EES10_S11_S12_S13_S17_S18_S19_S1C_S1D_jS1E_jS1F_S1F_jjS1H_bEUljE0_EEES10_S11_S12_S19_S1D_S1F_T6_T7_T9_mT8_S1H_bDpT10_ENKUlT_T0_E_clISt17integral_constantIbLb1EES1V_EEDaS1Q_S1R_EUlS1Q_E_NS1_11comp_targetILNS1_3genE2ELNS1_11target_archE906ELNS1_3gpuE6ELNS1_3repE0EEENS1_30default_config_static_selectorELNS0_4arch9wavefront6targetE0EEEvS13_
	.p2align	8
	.type	_ZN7rocprim17ROCPRIM_400000_NS6detail17trampoline_kernelINS0_13select_configILj256ELj13ELNS0_17block_load_methodE3ELS4_3ELS4_3ELNS0_20block_scan_algorithmE0ELj4294967295EEENS1_25partition_config_selectorILNS1_17partition_subalgoE4EjNS0_10empty_typeEbEEZZNS1_14partition_implILS8_4ELb0ES6_15HIP_vector_typeIjLj2EENS0_17counting_iteratorIjlEEPS9_SG_NS0_5tupleIJPjSI_NS0_16reverse_iteratorISI_EEEEENSH_IJSG_SG_SG_EEES9_SI_JZNS1_25segmented_radix_sort_implINS0_14default_configELb1EPK12hip_bfloat16PSP_PKlPlN2at6native12_GLOBAL__N_18offset_tEEE10hipError_tPvRmT1_PNSt15iterator_traitsIS13_E10value_typeET2_T3_PNS14_IS19_E10value_typeET4_jRbjT5_S1F_jjP12ihipStream_tbEUljE_ZNSN_ISO_Lb1ESR_SS_SU_SV_SZ_EES10_S11_S12_S13_S17_S18_S19_S1C_S1D_jS1E_jS1F_S1F_jjS1H_bEUljE0_EEES10_S11_S12_S19_S1D_S1F_T6_T7_T9_mT8_S1H_bDpT10_ENKUlT_T0_E_clISt17integral_constantIbLb1EES1V_EEDaS1Q_S1R_EUlS1Q_E_NS1_11comp_targetILNS1_3genE2ELNS1_11target_archE906ELNS1_3gpuE6ELNS1_3repE0EEENS1_30default_config_static_selectorELNS0_4arch9wavefront6targetE0EEEvS13_,@function
_ZN7rocprim17ROCPRIM_400000_NS6detail17trampoline_kernelINS0_13select_configILj256ELj13ELNS0_17block_load_methodE3ELS4_3ELS4_3ELNS0_20block_scan_algorithmE0ELj4294967295EEENS1_25partition_config_selectorILNS1_17partition_subalgoE4EjNS0_10empty_typeEbEEZZNS1_14partition_implILS8_4ELb0ES6_15HIP_vector_typeIjLj2EENS0_17counting_iteratorIjlEEPS9_SG_NS0_5tupleIJPjSI_NS0_16reverse_iteratorISI_EEEEENSH_IJSG_SG_SG_EEES9_SI_JZNS1_25segmented_radix_sort_implINS0_14default_configELb1EPK12hip_bfloat16PSP_PKlPlN2at6native12_GLOBAL__N_18offset_tEEE10hipError_tPvRmT1_PNSt15iterator_traitsIS13_E10value_typeET2_T3_PNS14_IS19_E10value_typeET4_jRbjT5_S1F_jjP12ihipStream_tbEUljE_ZNSN_ISO_Lb1ESR_SS_SU_SV_SZ_EES10_S11_S12_S13_S17_S18_S19_S1C_S1D_jS1E_jS1F_S1F_jjS1H_bEUljE0_EEES10_S11_S12_S19_S1D_S1F_T6_T7_T9_mT8_S1H_bDpT10_ENKUlT_T0_E_clISt17integral_constantIbLb1EES1V_EEDaS1Q_S1R_EUlS1Q_E_NS1_11comp_targetILNS1_3genE2ELNS1_11target_archE906ELNS1_3gpuE6ELNS1_3repE0EEENS1_30default_config_static_selectorELNS0_4arch9wavefront6targetE0EEEvS13_: ; @_ZN7rocprim17ROCPRIM_400000_NS6detail17trampoline_kernelINS0_13select_configILj256ELj13ELNS0_17block_load_methodE3ELS4_3ELS4_3ELNS0_20block_scan_algorithmE0ELj4294967295EEENS1_25partition_config_selectorILNS1_17partition_subalgoE4EjNS0_10empty_typeEbEEZZNS1_14partition_implILS8_4ELb0ES6_15HIP_vector_typeIjLj2EENS0_17counting_iteratorIjlEEPS9_SG_NS0_5tupleIJPjSI_NS0_16reverse_iteratorISI_EEEEENSH_IJSG_SG_SG_EEES9_SI_JZNS1_25segmented_radix_sort_implINS0_14default_configELb1EPK12hip_bfloat16PSP_PKlPlN2at6native12_GLOBAL__N_18offset_tEEE10hipError_tPvRmT1_PNSt15iterator_traitsIS13_E10value_typeET2_T3_PNS14_IS19_E10value_typeET4_jRbjT5_S1F_jjP12ihipStream_tbEUljE_ZNSN_ISO_Lb1ESR_SS_SU_SV_SZ_EES10_S11_S12_S13_S17_S18_S19_S1C_S1D_jS1E_jS1F_S1F_jjS1H_bEUljE0_EEES10_S11_S12_S19_S1D_S1F_T6_T7_T9_mT8_S1H_bDpT10_ENKUlT_T0_E_clISt17integral_constantIbLb1EES1V_EEDaS1Q_S1R_EUlS1Q_E_NS1_11comp_targetILNS1_3genE2ELNS1_11target_archE906ELNS1_3gpuE6ELNS1_3repE0EEENS1_30default_config_static_selectorELNS0_4arch9wavefront6targetE0EEEvS13_
; %bb.0:
	.section	.rodata,"a",@progbits
	.p2align	6, 0x0
	.amdhsa_kernel _ZN7rocprim17ROCPRIM_400000_NS6detail17trampoline_kernelINS0_13select_configILj256ELj13ELNS0_17block_load_methodE3ELS4_3ELS4_3ELNS0_20block_scan_algorithmE0ELj4294967295EEENS1_25partition_config_selectorILNS1_17partition_subalgoE4EjNS0_10empty_typeEbEEZZNS1_14partition_implILS8_4ELb0ES6_15HIP_vector_typeIjLj2EENS0_17counting_iteratorIjlEEPS9_SG_NS0_5tupleIJPjSI_NS0_16reverse_iteratorISI_EEEEENSH_IJSG_SG_SG_EEES9_SI_JZNS1_25segmented_radix_sort_implINS0_14default_configELb1EPK12hip_bfloat16PSP_PKlPlN2at6native12_GLOBAL__N_18offset_tEEE10hipError_tPvRmT1_PNSt15iterator_traitsIS13_E10value_typeET2_T3_PNS14_IS19_E10value_typeET4_jRbjT5_S1F_jjP12ihipStream_tbEUljE_ZNSN_ISO_Lb1ESR_SS_SU_SV_SZ_EES10_S11_S12_S13_S17_S18_S19_S1C_S1D_jS1E_jS1F_S1F_jjS1H_bEUljE0_EEES10_S11_S12_S19_S1D_S1F_T6_T7_T9_mT8_S1H_bDpT10_ENKUlT_T0_E_clISt17integral_constantIbLb1EES1V_EEDaS1Q_S1R_EUlS1Q_E_NS1_11comp_targetILNS1_3genE2ELNS1_11target_archE906ELNS1_3gpuE6ELNS1_3repE0EEENS1_30default_config_static_selectorELNS0_4arch9wavefront6targetE0EEEvS13_
		.amdhsa_group_segment_fixed_size 0
		.amdhsa_private_segment_fixed_size 0
		.amdhsa_kernarg_size 184
		.amdhsa_user_sgpr_count 2
		.amdhsa_user_sgpr_dispatch_ptr 0
		.amdhsa_user_sgpr_queue_ptr 0
		.amdhsa_user_sgpr_kernarg_segment_ptr 1
		.amdhsa_user_sgpr_dispatch_id 0
		.amdhsa_user_sgpr_kernarg_preload_length 0
		.amdhsa_user_sgpr_kernarg_preload_offset 0
		.amdhsa_user_sgpr_private_segment_size 0
		.amdhsa_wavefront_size32 1
		.amdhsa_uses_dynamic_stack 0
		.amdhsa_enable_private_segment 0
		.amdhsa_system_sgpr_workgroup_id_x 1
		.amdhsa_system_sgpr_workgroup_id_y 0
		.amdhsa_system_sgpr_workgroup_id_z 0
		.amdhsa_system_sgpr_workgroup_info 0
		.amdhsa_system_vgpr_workitem_id 0
		.amdhsa_next_free_vgpr 1
		.amdhsa_next_free_sgpr 1
		.amdhsa_named_barrier_count 0
		.amdhsa_reserve_vcc 0
		.amdhsa_float_round_mode_32 0
		.amdhsa_float_round_mode_16_64 0
		.amdhsa_float_denorm_mode_32 3
		.amdhsa_float_denorm_mode_16_64 3
		.amdhsa_fp16_overflow 0
		.amdhsa_memory_ordered 1
		.amdhsa_forward_progress 1
		.amdhsa_inst_pref_size 0
		.amdhsa_round_robin_scheduling 0
		.amdhsa_exception_fp_ieee_invalid_op 0
		.amdhsa_exception_fp_denorm_src 0
		.amdhsa_exception_fp_ieee_div_zero 0
		.amdhsa_exception_fp_ieee_overflow 0
		.amdhsa_exception_fp_ieee_underflow 0
		.amdhsa_exception_fp_ieee_inexact 0
		.amdhsa_exception_int_div_zero 0
	.end_amdhsa_kernel
	.section	.text._ZN7rocprim17ROCPRIM_400000_NS6detail17trampoline_kernelINS0_13select_configILj256ELj13ELNS0_17block_load_methodE3ELS4_3ELS4_3ELNS0_20block_scan_algorithmE0ELj4294967295EEENS1_25partition_config_selectorILNS1_17partition_subalgoE4EjNS0_10empty_typeEbEEZZNS1_14partition_implILS8_4ELb0ES6_15HIP_vector_typeIjLj2EENS0_17counting_iteratorIjlEEPS9_SG_NS0_5tupleIJPjSI_NS0_16reverse_iteratorISI_EEEEENSH_IJSG_SG_SG_EEES9_SI_JZNS1_25segmented_radix_sort_implINS0_14default_configELb1EPK12hip_bfloat16PSP_PKlPlN2at6native12_GLOBAL__N_18offset_tEEE10hipError_tPvRmT1_PNSt15iterator_traitsIS13_E10value_typeET2_T3_PNS14_IS19_E10value_typeET4_jRbjT5_S1F_jjP12ihipStream_tbEUljE_ZNSN_ISO_Lb1ESR_SS_SU_SV_SZ_EES10_S11_S12_S13_S17_S18_S19_S1C_S1D_jS1E_jS1F_S1F_jjS1H_bEUljE0_EEES10_S11_S12_S19_S1D_S1F_T6_T7_T9_mT8_S1H_bDpT10_ENKUlT_T0_E_clISt17integral_constantIbLb1EES1V_EEDaS1Q_S1R_EUlS1Q_E_NS1_11comp_targetILNS1_3genE2ELNS1_11target_archE906ELNS1_3gpuE6ELNS1_3repE0EEENS1_30default_config_static_selectorELNS0_4arch9wavefront6targetE0EEEvS13_,"axG",@progbits,_ZN7rocprim17ROCPRIM_400000_NS6detail17trampoline_kernelINS0_13select_configILj256ELj13ELNS0_17block_load_methodE3ELS4_3ELS4_3ELNS0_20block_scan_algorithmE0ELj4294967295EEENS1_25partition_config_selectorILNS1_17partition_subalgoE4EjNS0_10empty_typeEbEEZZNS1_14partition_implILS8_4ELb0ES6_15HIP_vector_typeIjLj2EENS0_17counting_iteratorIjlEEPS9_SG_NS0_5tupleIJPjSI_NS0_16reverse_iteratorISI_EEEEENSH_IJSG_SG_SG_EEES9_SI_JZNS1_25segmented_radix_sort_implINS0_14default_configELb1EPK12hip_bfloat16PSP_PKlPlN2at6native12_GLOBAL__N_18offset_tEEE10hipError_tPvRmT1_PNSt15iterator_traitsIS13_E10value_typeET2_T3_PNS14_IS19_E10value_typeET4_jRbjT5_S1F_jjP12ihipStream_tbEUljE_ZNSN_ISO_Lb1ESR_SS_SU_SV_SZ_EES10_S11_S12_S13_S17_S18_S19_S1C_S1D_jS1E_jS1F_S1F_jjS1H_bEUljE0_EEES10_S11_S12_S19_S1D_S1F_T6_T7_T9_mT8_S1H_bDpT10_ENKUlT_T0_E_clISt17integral_constantIbLb1EES1V_EEDaS1Q_S1R_EUlS1Q_E_NS1_11comp_targetILNS1_3genE2ELNS1_11target_archE906ELNS1_3gpuE6ELNS1_3repE0EEENS1_30default_config_static_selectorELNS0_4arch9wavefront6targetE0EEEvS13_,comdat
.Lfunc_end1884:
	.size	_ZN7rocprim17ROCPRIM_400000_NS6detail17trampoline_kernelINS0_13select_configILj256ELj13ELNS0_17block_load_methodE3ELS4_3ELS4_3ELNS0_20block_scan_algorithmE0ELj4294967295EEENS1_25partition_config_selectorILNS1_17partition_subalgoE4EjNS0_10empty_typeEbEEZZNS1_14partition_implILS8_4ELb0ES6_15HIP_vector_typeIjLj2EENS0_17counting_iteratorIjlEEPS9_SG_NS0_5tupleIJPjSI_NS0_16reverse_iteratorISI_EEEEENSH_IJSG_SG_SG_EEES9_SI_JZNS1_25segmented_radix_sort_implINS0_14default_configELb1EPK12hip_bfloat16PSP_PKlPlN2at6native12_GLOBAL__N_18offset_tEEE10hipError_tPvRmT1_PNSt15iterator_traitsIS13_E10value_typeET2_T3_PNS14_IS19_E10value_typeET4_jRbjT5_S1F_jjP12ihipStream_tbEUljE_ZNSN_ISO_Lb1ESR_SS_SU_SV_SZ_EES10_S11_S12_S13_S17_S18_S19_S1C_S1D_jS1E_jS1F_S1F_jjS1H_bEUljE0_EEES10_S11_S12_S19_S1D_S1F_T6_T7_T9_mT8_S1H_bDpT10_ENKUlT_T0_E_clISt17integral_constantIbLb1EES1V_EEDaS1Q_S1R_EUlS1Q_E_NS1_11comp_targetILNS1_3genE2ELNS1_11target_archE906ELNS1_3gpuE6ELNS1_3repE0EEENS1_30default_config_static_selectorELNS0_4arch9wavefront6targetE0EEEvS13_, .Lfunc_end1884-_ZN7rocprim17ROCPRIM_400000_NS6detail17trampoline_kernelINS0_13select_configILj256ELj13ELNS0_17block_load_methodE3ELS4_3ELS4_3ELNS0_20block_scan_algorithmE0ELj4294967295EEENS1_25partition_config_selectorILNS1_17partition_subalgoE4EjNS0_10empty_typeEbEEZZNS1_14partition_implILS8_4ELb0ES6_15HIP_vector_typeIjLj2EENS0_17counting_iteratorIjlEEPS9_SG_NS0_5tupleIJPjSI_NS0_16reverse_iteratorISI_EEEEENSH_IJSG_SG_SG_EEES9_SI_JZNS1_25segmented_radix_sort_implINS0_14default_configELb1EPK12hip_bfloat16PSP_PKlPlN2at6native12_GLOBAL__N_18offset_tEEE10hipError_tPvRmT1_PNSt15iterator_traitsIS13_E10value_typeET2_T3_PNS14_IS19_E10value_typeET4_jRbjT5_S1F_jjP12ihipStream_tbEUljE_ZNSN_ISO_Lb1ESR_SS_SU_SV_SZ_EES10_S11_S12_S13_S17_S18_S19_S1C_S1D_jS1E_jS1F_S1F_jjS1H_bEUljE0_EEES10_S11_S12_S19_S1D_S1F_T6_T7_T9_mT8_S1H_bDpT10_ENKUlT_T0_E_clISt17integral_constantIbLb1EES1V_EEDaS1Q_S1R_EUlS1Q_E_NS1_11comp_targetILNS1_3genE2ELNS1_11target_archE906ELNS1_3gpuE6ELNS1_3repE0EEENS1_30default_config_static_selectorELNS0_4arch9wavefront6targetE0EEEvS13_
                                        ; -- End function
	.set _ZN7rocprim17ROCPRIM_400000_NS6detail17trampoline_kernelINS0_13select_configILj256ELj13ELNS0_17block_load_methodE3ELS4_3ELS4_3ELNS0_20block_scan_algorithmE0ELj4294967295EEENS1_25partition_config_selectorILNS1_17partition_subalgoE4EjNS0_10empty_typeEbEEZZNS1_14partition_implILS8_4ELb0ES6_15HIP_vector_typeIjLj2EENS0_17counting_iteratorIjlEEPS9_SG_NS0_5tupleIJPjSI_NS0_16reverse_iteratorISI_EEEEENSH_IJSG_SG_SG_EEES9_SI_JZNS1_25segmented_radix_sort_implINS0_14default_configELb1EPK12hip_bfloat16PSP_PKlPlN2at6native12_GLOBAL__N_18offset_tEEE10hipError_tPvRmT1_PNSt15iterator_traitsIS13_E10value_typeET2_T3_PNS14_IS19_E10value_typeET4_jRbjT5_S1F_jjP12ihipStream_tbEUljE_ZNSN_ISO_Lb1ESR_SS_SU_SV_SZ_EES10_S11_S12_S13_S17_S18_S19_S1C_S1D_jS1E_jS1F_S1F_jjS1H_bEUljE0_EEES10_S11_S12_S19_S1D_S1F_T6_T7_T9_mT8_S1H_bDpT10_ENKUlT_T0_E_clISt17integral_constantIbLb1EES1V_EEDaS1Q_S1R_EUlS1Q_E_NS1_11comp_targetILNS1_3genE2ELNS1_11target_archE906ELNS1_3gpuE6ELNS1_3repE0EEENS1_30default_config_static_selectorELNS0_4arch9wavefront6targetE0EEEvS13_.num_vgpr, 0
	.set _ZN7rocprim17ROCPRIM_400000_NS6detail17trampoline_kernelINS0_13select_configILj256ELj13ELNS0_17block_load_methodE3ELS4_3ELS4_3ELNS0_20block_scan_algorithmE0ELj4294967295EEENS1_25partition_config_selectorILNS1_17partition_subalgoE4EjNS0_10empty_typeEbEEZZNS1_14partition_implILS8_4ELb0ES6_15HIP_vector_typeIjLj2EENS0_17counting_iteratorIjlEEPS9_SG_NS0_5tupleIJPjSI_NS0_16reverse_iteratorISI_EEEEENSH_IJSG_SG_SG_EEES9_SI_JZNS1_25segmented_radix_sort_implINS0_14default_configELb1EPK12hip_bfloat16PSP_PKlPlN2at6native12_GLOBAL__N_18offset_tEEE10hipError_tPvRmT1_PNSt15iterator_traitsIS13_E10value_typeET2_T3_PNS14_IS19_E10value_typeET4_jRbjT5_S1F_jjP12ihipStream_tbEUljE_ZNSN_ISO_Lb1ESR_SS_SU_SV_SZ_EES10_S11_S12_S13_S17_S18_S19_S1C_S1D_jS1E_jS1F_S1F_jjS1H_bEUljE0_EEES10_S11_S12_S19_S1D_S1F_T6_T7_T9_mT8_S1H_bDpT10_ENKUlT_T0_E_clISt17integral_constantIbLb1EES1V_EEDaS1Q_S1R_EUlS1Q_E_NS1_11comp_targetILNS1_3genE2ELNS1_11target_archE906ELNS1_3gpuE6ELNS1_3repE0EEENS1_30default_config_static_selectorELNS0_4arch9wavefront6targetE0EEEvS13_.num_agpr, 0
	.set _ZN7rocprim17ROCPRIM_400000_NS6detail17trampoline_kernelINS0_13select_configILj256ELj13ELNS0_17block_load_methodE3ELS4_3ELS4_3ELNS0_20block_scan_algorithmE0ELj4294967295EEENS1_25partition_config_selectorILNS1_17partition_subalgoE4EjNS0_10empty_typeEbEEZZNS1_14partition_implILS8_4ELb0ES6_15HIP_vector_typeIjLj2EENS0_17counting_iteratorIjlEEPS9_SG_NS0_5tupleIJPjSI_NS0_16reverse_iteratorISI_EEEEENSH_IJSG_SG_SG_EEES9_SI_JZNS1_25segmented_radix_sort_implINS0_14default_configELb1EPK12hip_bfloat16PSP_PKlPlN2at6native12_GLOBAL__N_18offset_tEEE10hipError_tPvRmT1_PNSt15iterator_traitsIS13_E10value_typeET2_T3_PNS14_IS19_E10value_typeET4_jRbjT5_S1F_jjP12ihipStream_tbEUljE_ZNSN_ISO_Lb1ESR_SS_SU_SV_SZ_EES10_S11_S12_S13_S17_S18_S19_S1C_S1D_jS1E_jS1F_S1F_jjS1H_bEUljE0_EEES10_S11_S12_S19_S1D_S1F_T6_T7_T9_mT8_S1H_bDpT10_ENKUlT_T0_E_clISt17integral_constantIbLb1EES1V_EEDaS1Q_S1R_EUlS1Q_E_NS1_11comp_targetILNS1_3genE2ELNS1_11target_archE906ELNS1_3gpuE6ELNS1_3repE0EEENS1_30default_config_static_selectorELNS0_4arch9wavefront6targetE0EEEvS13_.numbered_sgpr, 0
	.set _ZN7rocprim17ROCPRIM_400000_NS6detail17trampoline_kernelINS0_13select_configILj256ELj13ELNS0_17block_load_methodE3ELS4_3ELS4_3ELNS0_20block_scan_algorithmE0ELj4294967295EEENS1_25partition_config_selectorILNS1_17partition_subalgoE4EjNS0_10empty_typeEbEEZZNS1_14partition_implILS8_4ELb0ES6_15HIP_vector_typeIjLj2EENS0_17counting_iteratorIjlEEPS9_SG_NS0_5tupleIJPjSI_NS0_16reverse_iteratorISI_EEEEENSH_IJSG_SG_SG_EEES9_SI_JZNS1_25segmented_radix_sort_implINS0_14default_configELb1EPK12hip_bfloat16PSP_PKlPlN2at6native12_GLOBAL__N_18offset_tEEE10hipError_tPvRmT1_PNSt15iterator_traitsIS13_E10value_typeET2_T3_PNS14_IS19_E10value_typeET4_jRbjT5_S1F_jjP12ihipStream_tbEUljE_ZNSN_ISO_Lb1ESR_SS_SU_SV_SZ_EES10_S11_S12_S13_S17_S18_S19_S1C_S1D_jS1E_jS1F_S1F_jjS1H_bEUljE0_EEES10_S11_S12_S19_S1D_S1F_T6_T7_T9_mT8_S1H_bDpT10_ENKUlT_T0_E_clISt17integral_constantIbLb1EES1V_EEDaS1Q_S1R_EUlS1Q_E_NS1_11comp_targetILNS1_3genE2ELNS1_11target_archE906ELNS1_3gpuE6ELNS1_3repE0EEENS1_30default_config_static_selectorELNS0_4arch9wavefront6targetE0EEEvS13_.num_named_barrier, 0
	.set _ZN7rocprim17ROCPRIM_400000_NS6detail17trampoline_kernelINS0_13select_configILj256ELj13ELNS0_17block_load_methodE3ELS4_3ELS4_3ELNS0_20block_scan_algorithmE0ELj4294967295EEENS1_25partition_config_selectorILNS1_17partition_subalgoE4EjNS0_10empty_typeEbEEZZNS1_14partition_implILS8_4ELb0ES6_15HIP_vector_typeIjLj2EENS0_17counting_iteratorIjlEEPS9_SG_NS0_5tupleIJPjSI_NS0_16reverse_iteratorISI_EEEEENSH_IJSG_SG_SG_EEES9_SI_JZNS1_25segmented_radix_sort_implINS0_14default_configELb1EPK12hip_bfloat16PSP_PKlPlN2at6native12_GLOBAL__N_18offset_tEEE10hipError_tPvRmT1_PNSt15iterator_traitsIS13_E10value_typeET2_T3_PNS14_IS19_E10value_typeET4_jRbjT5_S1F_jjP12ihipStream_tbEUljE_ZNSN_ISO_Lb1ESR_SS_SU_SV_SZ_EES10_S11_S12_S13_S17_S18_S19_S1C_S1D_jS1E_jS1F_S1F_jjS1H_bEUljE0_EEES10_S11_S12_S19_S1D_S1F_T6_T7_T9_mT8_S1H_bDpT10_ENKUlT_T0_E_clISt17integral_constantIbLb1EES1V_EEDaS1Q_S1R_EUlS1Q_E_NS1_11comp_targetILNS1_3genE2ELNS1_11target_archE906ELNS1_3gpuE6ELNS1_3repE0EEENS1_30default_config_static_selectorELNS0_4arch9wavefront6targetE0EEEvS13_.private_seg_size, 0
	.set _ZN7rocprim17ROCPRIM_400000_NS6detail17trampoline_kernelINS0_13select_configILj256ELj13ELNS0_17block_load_methodE3ELS4_3ELS4_3ELNS0_20block_scan_algorithmE0ELj4294967295EEENS1_25partition_config_selectorILNS1_17partition_subalgoE4EjNS0_10empty_typeEbEEZZNS1_14partition_implILS8_4ELb0ES6_15HIP_vector_typeIjLj2EENS0_17counting_iteratorIjlEEPS9_SG_NS0_5tupleIJPjSI_NS0_16reverse_iteratorISI_EEEEENSH_IJSG_SG_SG_EEES9_SI_JZNS1_25segmented_radix_sort_implINS0_14default_configELb1EPK12hip_bfloat16PSP_PKlPlN2at6native12_GLOBAL__N_18offset_tEEE10hipError_tPvRmT1_PNSt15iterator_traitsIS13_E10value_typeET2_T3_PNS14_IS19_E10value_typeET4_jRbjT5_S1F_jjP12ihipStream_tbEUljE_ZNSN_ISO_Lb1ESR_SS_SU_SV_SZ_EES10_S11_S12_S13_S17_S18_S19_S1C_S1D_jS1E_jS1F_S1F_jjS1H_bEUljE0_EEES10_S11_S12_S19_S1D_S1F_T6_T7_T9_mT8_S1H_bDpT10_ENKUlT_T0_E_clISt17integral_constantIbLb1EES1V_EEDaS1Q_S1R_EUlS1Q_E_NS1_11comp_targetILNS1_3genE2ELNS1_11target_archE906ELNS1_3gpuE6ELNS1_3repE0EEENS1_30default_config_static_selectorELNS0_4arch9wavefront6targetE0EEEvS13_.uses_vcc, 0
	.set _ZN7rocprim17ROCPRIM_400000_NS6detail17trampoline_kernelINS0_13select_configILj256ELj13ELNS0_17block_load_methodE3ELS4_3ELS4_3ELNS0_20block_scan_algorithmE0ELj4294967295EEENS1_25partition_config_selectorILNS1_17partition_subalgoE4EjNS0_10empty_typeEbEEZZNS1_14partition_implILS8_4ELb0ES6_15HIP_vector_typeIjLj2EENS0_17counting_iteratorIjlEEPS9_SG_NS0_5tupleIJPjSI_NS0_16reverse_iteratorISI_EEEEENSH_IJSG_SG_SG_EEES9_SI_JZNS1_25segmented_radix_sort_implINS0_14default_configELb1EPK12hip_bfloat16PSP_PKlPlN2at6native12_GLOBAL__N_18offset_tEEE10hipError_tPvRmT1_PNSt15iterator_traitsIS13_E10value_typeET2_T3_PNS14_IS19_E10value_typeET4_jRbjT5_S1F_jjP12ihipStream_tbEUljE_ZNSN_ISO_Lb1ESR_SS_SU_SV_SZ_EES10_S11_S12_S13_S17_S18_S19_S1C_S1D_jS1E_jS1F_S1F_jjS1H_bEUljE0_EEES10_S11_S12_S19_S1D_S1F_T6_T7_T9_mT8_S1H_bDpT10_ENKUlT_T0_E_clISt17integral_constantIbLb1EES1V_EEDaS1Q_S1R_EUlS1Q_E_NS1_11comp_targetILNS1_3genE2ELNS1_11target_archE906ELNS1_3gpuE6ELNS1_3repE0EEENS1_30default_config_static_selectorELNS0_4arch9wavefront6targetE0EEEvS13_.uses_flat_scratch, 0
	.set _ZN7rocprim17ROCPRIM_400000_NS6detail17trampoline_kernelINS0_13select_configILj256ELj13ELNS0_17block_load_methodE3ELS4_3ELS4_3ELNS0_20block_scan_algorithmE0ELj4294967295EEENS1_25partition_config_selectorILNS1_17partition_subalgoE4EjNS0_10empty_typeEbEEZZNS1_14partition_implILS8_4ELb0ES6_15HIP_vector_typeIjLj2EENS0_17counting_iteratorIjlEEPS9_SG_NS0_5tupleIJPjSI_NS0_16reverse_iteratorISI_EEEEENSH_IJSG_SG_SG_EEES9_SI_JZNS1_25segmented_radix_sort_implINS0_14default_configELb1EPK12hip_bfloat16PSP_PKlPlN2at6native12_GLOBAL__N_18offset_tEEE10hipError_tPvRmT1_PNSt15iterator_traitsIS13_E10value_typeET2_T3_PNS14_IS19_E10value_typeET4_jRbjT5_S1F_jjP12ihipStream_tbEUljE_ZNSN_ISO_Lb1ESR_SS_SU_SV_SZ_EES10_S11_S12_S13_S17_S18_S19_S1C_S1D_jS1E_jS1F_S1F_jjS1H_bEUljE0_EEES10_S11_S12_S19_S1D_S1F_T6_T7_T9_mT8_S1H_bDpT10_ENKUlT_T0_E_clISt17integral_constantIbLb1EES1V_EEDaS1Q_S1R_EUlS1Q_E_NS1_11comp_targetILNS1_3genE2ELNS1_11target_archE906ELNS1_3gpuE6ELNS1_3repE0EEENS1_30default_config_static_selectorELNS0_4arch9wavefront6targetE0EEEvS13_.has_dyn_sized_stack, 0
	.set _ZN7rocprim17ROCPRIM_400000_NS6detail17trampoline_kernelINS0_13select_configILj256ELj13ELNS0_17block_load_methodE3ELS4_3ELS4_3ELNS0_20block_scan_algorithmE0ELj4294967295EEENS1_25partition_config_selectorILNS1_17partition_subalgoE4EjNS0_10empty_typeEbEEZZNS1_14partition_implILS8_4ELb0ES6_15HIP_vector_typeIjLj2EENS0_17counting_iteratorIjlEEPS9_SG_NS0_5tupleIJPjSI_NS0_16reverse_iteratorISI_EEEEENSH_IJSG_SG_SG_EEES9_SI_JZNS1_25segmented_radix_sort_implINS0_14default_configELb1EPK12hip_bfloat16PSP_PKlPlN2at6native12_GLOBAL__N_18offset_tEEE10hipError_tPvRmT1_PNSt15iterator_traitsIS13_E10value_typeET2_T3_PNS14_IS19_E10value_typeET4_jRbjT5_S1F_jjP12ihipStream_tbEUljE_ZNSN_ISO_Lb1ESR_SS_SU_SV_SZ_EES10_S11_S12_S13_S17_S18_S19_S1C_S1D_jS1E_jS1F_S1F_jjS1H_bEUljE0_EEES10_S11_S12_S19_S1D_S1F_T6_T7_T9_mT8_S1H_bDpT10_ENKUlT_T0_E_clISt17integral_constantIbLb1EES1V_EEDaS1Q_S1R_EUlS1Q_E_NS1_11comp_targetILNS1_3genE2ELNS1_11target_archE906ELNS1_3gpuE6ELNS1_3repE0EEENS1_30default_config_static_selectorELNS0_4arch9wavefront6targetE0EEEvS13_.has_recursion, 0
	.set _ZN7rocprim17ROCPRIM_400000_NS6detail17trampoline_kernelINS0_13select_configILj256ELj13ELNS0_17block_load_methodE3ELS4_3ELS4_3ELNS0_20block_scan_algorithmE0ELj4294967295EEENS1_25partition_config_selectorILNS1_17partition_subalgoE4EjNS0_10empty_typeEbEEZZNS1_14partition_implILS8_4ELb0ES6_15HIP_vector_typeIjLj2EENS0_17counting_iteratorIjlEEPS9_SG_NS0_5tupleIJPjSI_NS0_16reverse_iteratorISI_EEEEENSH_IJSG_SG_SG_EEES9_SI_JZNS1_25segmented_radix_sort_implINS0_14default_configELb1EPK12hip_bfloat16PSP_PKlPlN2at6native12_GLOBAL__N_18offset_tEEE10hipError_tPvRmT1_PNSt15iterator_traitsIS13_E10value_typeET2_T3_PNS14_IS19_E10value_typeET4_jRbjT5_S1F_jjP12ihipStream_tbEUljE_ZNSN_ISO_Lb1ESR_SS_SU_SV_SZ_EES10_S11_S12_S13_S17_S18_S19_S1C_S1D_jS1E_jS1F_S1F_jjS1H_bEUljE0_EEES10_S11_S12_S19_S1D_S1F_T6_T7_T9_mT8_S1H_bDpT10_ENKUlT_T0_E_clISt17integral_constantIbLb1EES1V_EEDaS1Q_S1R_EUlS1Q_E_NS1_11comp_targetILNS1_3genE2ELNS1_11target_archE906ELNS1_3gpuE6ELNS1_3repE0EEENS1_30default_config_static_selectorELNS0_4arch9wavefront6targetE0EEEvS13_.has_indirect_call, 0
	.section	.AMDGPU.csdata,"",@progbits
; Kernel info:
; codeLenInByte = 0
; TotalNumSgprs: 0
; NumVgprs: 0
; ScratchSize: 0
; MemoryBound: 0
; FloatMode: 240
; IeeeMode: 1
; LDSByteSize: 0 bytes/workgroup (compile time only)
; SGPRBlocks: 0
; VGPRBlocks: 0
; NumSGPRsForWavesPerEU: 1
; NumVGPRsForWavesPerEU: 1
; NamedBarCnt: 0
; Occupancy: 16
; WaveLimiterHint : 0
; COMPUTE_PGM_RSRC2:SCRATCH_EN: 0
; COMPUTE_PGM_RSRC2:USER_SGPR: 2
; COMPUTE_PGM_RSRC2:TRAP_HANDLER: 0
; COMPUTE_PGM_RSRC2:TGID_X_EN: 1
; COMPUTE_PGM_RSRC2:TGID_Y_EN: 0
; COMPUTE_PGM_RSRC2:TGID_Z_EN: 0
; COMPUTE_PGM_RSRC2:TIDIG_COMP_CNT: 0
	.section	.text._ZN7rocprim17ROCPRIM_400000_NS6detail17trampoline_kernelINS0_13select_configILj256ELj13ELNS0_17block_load_methodE3ELS4_3ELS4_3ELNS0_20block_scan_algorithmE0ELj4294967295EEENS1_25partition_config_selectorILNS1_17partition_subalgoE4EjNS0_10empty_typeEbEEZZNS1_14partition_implILS8_4ELb0ES6_15HIP_vector_typeIjLj2EENS0_17counting_iteratorIjlEEPS9_SG_NS0_5tupleIJPjSI_NS0_16reverse_iteratorISI_EEEEENSH_IJSG_SG_SG_EEES9_SI_JZNS1_25segmented_radix_sort_implINS0_14default_configELb1EPK12hip_bfloat16PSP_PKlPlN2at6native12_GLOBAL__N_18offset_tEEE10hipError_tPvRmT1_PNSt15iterator_traitsIS13_E10value_typeET2_T3_PNS14_IS19_E10value_typeET4_jRbjT5_S1F_jjP12ihipStream_tbEUljE_ZNSN_ISO_Lb1ESR_SS_SU_SV_SZ_EES10_S11_S12_S13_S17_S18_S19_S1C_S1D_jS1E_jS1F_S1F_jjS1H_bEUljE0_EEES10_S11_S12_S19_S1D_S1F_T6_T7_T9_mT8_S1H_bDpT10_ENKUlT_T0_E_clISt17integral_constantIbLb1EES1V_EEDaS1Q_S1R_EUlS1Q_E_NS1_11comp_targetILNS1_3genE10ELNS1_11target_archE1200ELNS1_3gpuE4ELNS1_3repE0EEENS1_30default_config_static_selectorELNS0_4arch9wavefront6targetE0EEEvS13_,"axG",@progbits,_ZN7rocprim17ROCPRIM_400000_NS6detail17trampoline_kernelINS0_13select_configILj256ELj13ELNS0_17block_load_methodE3ELS4_3ELS4_3ELNS0_20block_scan_algorithmE0ELj4294967295EEENS1_25partition_config_selectorILNS1_17partition_subalgoE4EjNS0_10empty_typeEbEEZZNS1_14partition_implILS8_4ELb0ES6_15HIP_vector_typeIjLj2EENS0_17counting_iteratorIjlEEPS9_SG_NS0_5tupleIJPjSI_NS0_16reverse_iteratorISI_EEEEENSH_IJSG_SG_SG_EEES9_SI_JZNS1_25segmented_radix_sort_implINS0_14default_configELb1EPK12hip_bfloat16PSP_PKlPlN2at6native12_GLOBAL__N_18offset_tEEE10hipError_tPvRmT1_PNSt15iterator_traitsIS13_E10value_typeET2_T3_PNS14_IS19_E10value_typeET4_jRbjT5_S1F_jjP12ihipStream_tbEUljE_ZNSN_ISO_Lb1ESR_SS_SU_SV_SZ_EES10_S11_S12_S13_S17_S18_S19_S1C_S1D_jS1E_jS1F_S1F_jjS1H_bEUljE0_EEES10_S11_S12_S19_S1D_S1F_T6_T7_T9_mT8_S1H_bDpT10_ENKUlT_T0_E_clISt17integral_constantIbLb1EES1V_EEDaS1Q_S1R_EUlS1Q_E_NS1_11comp_targetILNS1_3genE10ELNS1_11target_archE1200ELNS1_3gpuE4ELNS1_3repE0EEENS1_30default_config_static_selectorELNS0_4arch9wavefront6targetE0EEEvS13_,comdat
	.globl	_ZN7rocprim17ROCPRIM_400000_NS6detail17trampoline_kernelINS0_13select_configILj256ELj13ELNS0_17block_load_methodE3ELS4_3ELS4_3ELNS0_20block_scan_algorithmE0ELj4294967295EEENS1_25partition_config_selectorILNS1_17partition_subalgoE4EjNS0_10empty_typeEbEEZZNS1_14partition_implILS8_4ELb0ES6_15HIP_vector_typeIjLj2EENS0_17counting_iteratorIjlEEPS9_SG_NS0_5tupleIJPjSI_NS0_16reverse_iteratorISI_EEEEENSH_IJSG_SG_SG_EEES9_SI_JZNS1_25segmented_radix_sort_implINS0_14default_configELb1EPK12hip_bfloat16PSP_PKlPlN2at6native12_GLOBAL__N_18offset_tEEE10hipError_tPvRmT1_PNSt15iterator_traitsIS13_E10value_typeET2_T3_PNS14_IS19_E10value_typeET4_jRbjT5_S1F_jjP12ihipStream_tbEUljE_ZNSN_ISO_Lb1ESR_SS_SU_SV_SZ_EES10_S11_S12_S13_S17_S18_S19_S1C_S1D_jS1E_jS1F_S1F_jjS1H_bEUljE0_EEES10_S11_S12_S19_S1D_S1F_T6_T7_T9_mT8_S1H_bDpT10_ENKUlT_T0_E_clISt17integral_constantIbLb1EES1V_EEDaS1Q_S1R_EUlS1Q_E_NS1_11comp_targetILNS1_3genE10ELNS1_11target_archE1200ELNS1_3gpuE4ELNS1_3repE0EEENS1_30default_config_static_selectorELNS0_4arch9wavefront6targetE0EEEvS13_ ; -- Begin function _ZN7rocprim17ROCPRIM_400000_NS6detail17trampoline_kernelINS0_13select_configILj256ELj13ELNS0_17block_load_methodE3ELS4_3ELS4_3ELNS0_20block_scan_algorithmE0ELj4294967295EEENS1_25partition_config_selectorILNS1_17partition_subalgoE4EjNS0_10empty_typeEbEEZZNS1_14partition_implILS8_4ELb0ES6_15HIP_vector_typeIjLj2EENS0_17counting_iteratorIjlEEPS9_SG_NS0_5tupleIJPjSI_NS0_16reverse_iteratorISI_EEEEENSH_IJSG_SG_SG_EEES9_SI_JZNS1_25segmented_radix_sort_implINS0_14default_configELb1EPK12hip_bfloat16PSP_PKlPlN2at6native12_GLOBAL__N_18offset_tEEE10hipError_tPvRmT1_PNSt15iterator_traitsIS13_E10value_typeET2_T3_PNS14_IS19_E10value_typeET4_jRbjT5_S1F_jjP12ihipStream_tbEUljE_ZNSN_ISO_Lb1ESR_SS_SU_SV_SZ_EES10_S11_S12_S13_S17_S18_S19_S1C_S1D_jS1E_jS1F_S1F_jjS1H_bEUljE0_EEES10_S11_S12_S19_S1D_S1F_T6_T7_T9_mT8_S1H_bDpT10_ENKUlT_T0_E_clISt17integral_constantIbLb1EES1V_EEDaS1Q_S1R_EUlS1Q_E_NS1_11comp_targetILNS1_3genE10ELNS1_11target_archE1200ELNS1_3gpuE4ELNS1_3repE0EEENS1_30default_config_static_selectorELNS0_4arch9wavefront6targetE0EEEvS13_
	.p2align	8
	.type	_ZN7rocprim17ROCPRIM_400000_NS6detail17trampoline_kernelINS0_13select_configILj256ELj13ELNS0_17block_load_methodE3ELS4_3ELS4_3ELNS0_20block_scan_algorithmE0ELj4294967295EEENS1_25partition_config_selectorILNS1_17partition_subalgoE4EjNS0_10empty_typeEbEEZZNS1_14partition_implILS8_4ELb0ES6_15HIP_vector_typeIjLj2EENS0_17counting_iteratorIjlEEPS9_SG_NS0_5tupleIJPjSI_NS0_16reverse_iteratorISI_EEEEENSH_IJSG_SG_SG_EEES9_SI_JZNS1_25segmented_radix_sort_implINS0_14default_configELb1EPK12hip_bfloat16PSP_PKlPlN2at6native12_GLOBAL__N_18offset_tEEE10hipError_tPvRmT1_PNSt15iterator_traitsIS13_E10value_typeET2_T3_PNS14_IS19_E10value_typeET4_jRbjT5_S1F_jjP12ihipStream_tbEUljE_ZNSN_ISO_Lb1ESR_SS_SU_SV_SZ_EES10_S11_S12_S13_S17_S18_S19_S1C_S1D_jS1E_jS1F_S1F_jjS1H_bEUljE0_EEES10_S11_S12_S19_S1D_S1F_T6_T7_T9_mT8_S1H_bDpT10_ENKUlT_T0_E_clISt17integral_constantIbLb1EES1V_EEDaS1Q_S1R_EUlS1Q_E_NS1_11comp_targetILNS1_3genE10ELNS1_11target_archE1200ELNS1_3gpuE4ELNS1_3repE0EEENS1_30default_config_static_selectorELNS0_4arch9wavefront6targetE0EEEvS13_,@function
_ZN7rocprim17ROCPRIM_400000_NS6detail17trampoline_kernelINS0_13select_configILj256ELj13ELNS0_17block_load_methodE3ELS4_3ELS4_3ELNS0_20block_scan_algorithmE0ELj4294967295EEENS1_25partition_config_selectorILNS1_17partition_subalgoE4EjNS0_10empty_typeEbEEZZNS1_14partition_implILS8_4ELb0ES6_15HIP_vector_typeIjLj2EENS0_17counting_iteratorIjlEEPS9_SG_NS0_5tupleIJPjSI_NS0_16reverse_iteratorISI_EEEEENSH_IJSG_SG_SG_EEES9_SI_JZNS1_25segmented_radix_sort_implINS0_14default_configELb1EPK12hip_bfloat16PSP_PKlPlN2at6native12_GLOBAL__N_18offset_tEEE10hipError_tPvRmT1_PNSt15iterator_traitsIS13_E10value_typeET2_T3_PNS14_IS19_E10value_typeET4_jRbjT5_S1F_jjP12ihipStream_tbEUljE_ZNSN_ISO_Lb1ESR_SS_SU_SV_SZ_EES10_S11_S12_S13_S17_S18_S19_S1C_S1D_jS1E_jS1F_S1F_jjS1H_bEUljE0_EEES10_S11_S12_S19_S1D_S1F_T6_T7_T9_mT8_S1H_bDpT10_ENKUlT_T0_E_clISt17integral_constantIbLb1EES1V_EEDaS1Q_S1R_EUlS1Q_E_NS1_11comp_targetILNS1_3genE10ELNS1_11target_archE1200ELNS1_3gpuE4ELNS1_3repE0EEENS1_30default_config_static_selectorELNS0_4arch9wavefront6targetE0EEEvS13_: ; @_ZN7rocprim17ROCPRIM_400000_NS6detail17trampoline_kernelINS0_13select_configILj256ELj13ELNS0_17block_load_methodE3ELS4_3ELS4_3ELNS0_20block_scan_algorithmE0ELj4294967295EEENS1_25partition_config_selectorILNS1_17partition_subalgoE4EjNS0_10empty_typeEbEEZZNS1_14partition_implILS8_4ELb0ES6_15HIP_vector_typeIjLj2EENS0_17counting_iteratorIjlEEPS9_SG_NS0_5tupleIJPjSI_NS0_16reverse_iteratorISI_EEEEENSH_IJSG_SG_SG_EEES9_SI_JZNS1_25segmented_radix_sort_implINS0_14default_configELb1EPK12hip_bfloat16PSP_PKlPlN2at6native12_GLOBAL__N_18offset_tEEE10hipError_tPvRmT1_PNSt15iterator_traitsIS13_E10value_typeET2_T3_PNS14_IS19_E10value_typeET4_jRbjT5_S1F_jjP12ihipStream_tbEUljE_ZNSN_ISO_Lb1ESR_SS_SU_SV_SZ_EES10_S11_S12_S13_S17_S18_S19_S1C_S1D_jS1E_jS1F_S1F_jjS1H_bEUljE0_EEES10_S11_S12_S19_S1D_S1F_T6_T7_T9_mT8_S1H_bDpT10_ENKUlT_T0_E_clISt17integral_constantIbLb1EES1V_EEDaS1Q_S1R_EUlS1Q_E_NS1_11comp_targetILNS1_3genE10ELNS1_11target_archE1200ELNS1_3gpuE4ELNS1_3repE0EEENS1_30default_config_static_selectorELNS0_4arch9wavefront6targetE0EEEvS13_
; %bb.0:
	.section	.rodata,"a",@progbits
	.p2align	6, 0x0
	.amdhsa_kernel _ZN7rocprim17ROCPRIM_400000_NS6detail17trampoline_kernelINS0_13select_configILj256ELj13ELNS0_17block_load_methodE3ELS4_3ELS4_3ELNS0_20block_scan_algorithmE0ELj4294967295EEENS1_25partition_config_selectorILNS1_17partition_subalgoE4EjNS0_10empty_typeEbEEZZNS1_14partition_implILS8_4ELb0ES6_15HIP_vector_typeIjLj2EENS0_17counting_iteratorIjlEEPS9_SG_NS0_5tupleIJPjSI_NS0_16reverse_iteratorISI_EEEEENSH_IJSG_SG_SG_EEES9_SI_JZNS1_25segmented_radix_sort_implINS0_14default_configELb1EPK12hip_bfloat16PSP_PKlPlN2at6native12_GLOBAL__N_18offset_tEEE10hipError_tPvRmT1_PNSt15iterator_traitsIS13_E10value_typeET2_T3_PNS14_IS19_E10value_typeET4_jRbjT5_S1F_jjP12ihipStream_tbEUljE_ZNSN_ISO_Lb1ESR_SS_SU_SV_SZ_EES10_S11_S12_S13_S17_S18_S19_S1C_S1D_jS1E_jS1F_S1F_jjS1H_bEUljE0_EEES10_S11_S12_S19_S1D_S1F_T6_T7_T9_mT8_S1H_bDpT10_ENKUlT_T0_E_clISt17integral_constantIbLb1EES1V_EEDaS1Q_S1R_EUlS1Q_E_NS1_11comp_targetILNS1_3genE10ELNS1_11target_archE1200ELNS1_3gpuE4ELNS1_3repE0EEENS1_30default_config_static_selectorELNS0_4arch9wavefront6targetE0EEEvS13_
		.amdhsa_group_segment_fixed_size 0
		.amdhsa_private_segment_fixed_size 0
		.amdhsa_kernarg_size 184
		.amdhsa_user_sgpr_count 2
		.amdhsa_user_sgpr_dispatch_ptr 0
		.amdhsa_user_sgpr_queue_ptr 0
		.amdhsa_user_sgpr_kernarg_segment_ptr 1
		.amdhsa_user_sgpr_dispatch_id 0
		.amdhsa_user_sgpr_kernarg_preload_length 0
		.amdhsa_user_sgpr_kernarg_preload_offset 0
		.amdhsa_user_sgpr_private_segment_size 0
		.amdhsa_wavefront_size32 1
		.amdhsa_uses_dynamic_stack 0
		.amdhsa_enable_private_segment 0
		.amdhsa_system_sgpr_workgroup_id_x 1
		.amdhsa_system_sgpr_workgroup_id_y 0
		.amdhsa_system_sgpr_workgroup_id_z 0
		.amdhsa_system_sgpr_workgroup_info 0
		.amdhsa_system_vgpr_workitem_id 0
		.amdhsa_next_free_vgpr 1
		.amdhsa_next_free_sgpr 1
		.amdhsa_named_barrier_count 0
		.amdhsa_reserve_vcc 0
		.amdhsa_float_round_mode_32 0
		.amdhsa_float_round_mode_16_64 0
		.amdhsa_float_denorm_mode_32 3
		.amdhsa_float_denorm_mode_16_64 3
		.amdhsa_fp16_overflow 0
		.amdhsa_memory_ordered 1
		.amdhsa_forward_progress 1
		.amdhsa_inst_pref_size 0
		.amdhsa_round_robin_scheduling 0
		.amdhsa_exception_fp_ieee_invalid_op 0
		.amdhsa_exception_fp_denorm_src 0
		.amdhsa_exception_fp_ieee_div_zero 0
		.amdhsa_exception_fp_ieee_overflow 0
		.amdhsa_exception_fp_ieee_underflow 0
		.amdhsa_exception_fp_ieee_inexact 0
		.amdhsa_exception_int_div_zero 0
	.end_amdhsa_kernel
	.section	.text._ZN7rocprim17ROCPRIM_400000_NS6detail17trampoline_kernelINS0_13select_configILj256ELj13ELNS0_17block_load_methodE3ELS4_3ELS4_3ELNS0_20block_scan_algorithmE0ELj4294967295EEENS1_25partition_config_selectorILNS1_17partition_subalgoE4EjNS0_10empty_typeEbEEZZNS1_14partition_implILS8_4ELb0ES6_15HIP_vector_typeIjLj2EENS0_17counting_iteratorIjlEEPS9_SG_NS0_5tupleIJPjSI_NS0_16reverse_iteratorISI_EEEEENSH_IJSG_SG_SG_EEES9_SI_JZNS1_25segmented_radix_sort_implINS0_14default_configELb1EPK12hip_bfloat16PSP_PKlPlN2at6native12_GLOBAL__N_18offset_tEEE10hipError_tPvRmT1_PNSt15iterator_traitsIS13_E10value_typeET2_T3_PNS14_IS19_E10value_typeET4_jRbjT5_S1F_jjP12ihipStream_tbEUljE_ZNSN_ISO_Lb1ESR_SS_SU_SV_SZ_EES10_S11_S12_S13_S17_S18_S19_S1C_S1D_jS1E_jS1F_S1F_jjS1H_bEUljE0_EEES10_S11_S12_S19_S1D_S1F_T6_T7_T9_mT8_S1H_bDpT10_ENKUlT_T0_E_clISt17integral_constantIbLb1EES1V_EEDaS1Q_S1R_EUlS1Q_E_NS1_11comp_targetILNS1_3genE10ELNS1_11target_archE1200ELNS1_3gpuE4ELNS1_3repE0EEENS1_30default_config_static_selectorELNS0_4arch9wavefront6targetE0EEEvS13_,"axG",@progbits,_ZN7rocprim17ROCPRIM_400000_NS6detail17trampoline_kernelINS0_13select_configILj256ELj13ELNS0_17block_load_methodE3ELS4_3ELS4_3ELNS0_20block_scan_algorithmE0ELj4294967295EEENS1_25partition_config_selectorILNS1_17partition_subalgoE4EjNS0_10empty_typeEbEEZZNS1_14partition_implILS8_4ELb0ES6_15HIP_vector_typeIjLj2EENS0_17counting_iteratorIjlEEPS9_SG_NS0_5tupleIJPjSI_NS0_16reverse_iteratorISI_EEEEENSH_IJSG_SG_SG_EEES9_SI_JZNS1_25segmented_radix_sort_implINS0_14default_configELb1EPK12hip_bfloat16PSP_PKlPlN2at6native12_GLOBAL__N_18offset_tEEE10hipError_tPvRmT1_PNSt15iterator_traitsIS13_E10value_typeET2_T3_PNS14_IS19_E10value_typeET4_jRbjT5_S1F_jjP12ihipStream_tbEUljE_ZNSN_ISO_Lb1ESR_SS_SU_SV_SZ_EES10_S11_S12_S13_S17_S18_S19_S1C_S1D_jS1E_jS1F_S1F_jjS1H_bEUljE0_EEES10_S11_S12_S19_S1D_S1F_T6_T7_T9_mT8_S1H_bDpT10_ENKUlT_T0_E_clISt17integral_constantIbLb1EES1V_EEDaS1Q_S1R_EUlS1Q_E_NS1_11comp_targetILNS1_3genE10ELNS1_11target_archE1200ELNS1_3gpuE4ELNS1_3repE0EEENS1_30default_config_static_selectorELNS0_4arch9wavefront6targetE0EEEvS13_,comdat
.Lfunc_end1885:
	.size	_ZN7rocprim17ROCPRIM_400000_NS6detail17trampoline_kernelINS0_13select_configILj256ELj13ELNS0_17block_load_methodE3ELS4_3ELS4_3ELNS0_20block_scan_algorithmE0ELj4294967295EEENS1_25partition_config_selectorILNS1_17partition_subalgoE4EjNS0_10empty_typeEbEEZZNS1_14partition_implILS8_4ELb0ES6_15HIP_vector_typeIjLj2EENS0_17counting_iteratorIjlEEPS9_SG_NS0_5tupleIJPjSI_NS0_16reverse_iteratorISI_EEEEENSH_IJSG_SG_SG_EEES9_SI_JZNS1_25segmented_radix_sort_implINS0_14default_configELb1EPK12hip_bfloat16PSP_PKlPlN2at6native12_GLOBAL__N_18offset_tEEE10hipError_tPvRmT1_PNSt15iterator_traitsIS13_E10value_typeET2_T3_PNS14_IS19_E10value_typeET4_jRbjT5_S1F_jjP12ihipStream_tbEUljE_ZNSN_ISO_Lb1ESR_SS_SU_SV_SZ_EES10_S11_S12_S13_S17_S18_S19_S1C_S1D_jS1E_jS1F_S1F_jjS1H_bEUljE0_EEES10_S11_S12_S19_S1D_S1F_T6_T7_T9_mT8_S1H_bDpT10_ENKUlT_T0_E_clISt17integral_constantIbLb1EES1V_EEDaS1Q_S1R_EUlS1Q_E_NS1_11comp_targetILNS1_3genE10ELNS1_11target_archE1200ELNS1_3gpuE4ELNS1_3repE0EEENS1_30default_config_static_selectorELNS0_4arch9wavefront6targetE0EEEvS13_, .Lfunc_end1885-_ZN7rocprim17ROCPRIM_400000_NS6detail17trampoline_kernelINS0_13select_configILj256ELj13ELNS0_17block_load_methodE3ELS4_3ELS4_3ELNS0_20block_scan_algorithmE0ELj4294967295EEENS1_25partition_config_selectorILNS1_17partition_subalgoE4EjNS0_10empty_typeEbEEZZNS1_14partition_implILS8_4ELb0ES6_15HIP_vector_typeIjLj2EENS0_17counting_iteratorIjlEEPS9_SG_NS0_5tupleIJPjSI_NS0_16reverse_iteratorISI_EEEEENSH_IJSG_SG_SG_EEES9_SI_JZNS1_25segmented_radix_sort_implINS0_14default_configELb1EPK12hip_bfloat16PSP_PKlPlN2at6native12_GLOBAL__N_18offset_tEEE10hipError_tPvRmT1_PNSt15iterator_traitsIS13_E10value_typeET2_T3_PNS14_IS19_E10value_typeET4_jRbjT5_S1F_jjP12ihipStream_tbEUljE_ZNSN_ISO_Lb1ESR_SS_SU_SV_SZ_EES10_S11_S12_S13_S17_S18_S19_S1C_S1D_jS1E_jS1F_S1F_jjS1H_bEUljE0_EEES10_S11_S12_S19_S1D_S1F_T6_T7_T9_mT8_S1H_bDpT10_ENKUlT_T0_E_clISt17integral_constantIbLb1EES1V_EEDaS1Q_S1R_EUlS1Q_E_NS1_11comp_targetILNS1_3genE10ELNS1_11target_archE1200ELNS1_3gpuE4ELNS1_3repE0EEENS1_30default_config_static_selectorELNS0_4arch9wavefront6targetE0EEEvS13_
                                        ; -- End function
	.set _ZN7rocprim17ROCPRIM_400000_NS6detail17trampoline_kernelINS0_13select_configILj256ELj13ELNS0_17block_load_methodE3ELS4_3ELS4_3ELNS0_20block_scan_algorithmE0ELj4294967295EEENS1_25partition_config_selectorILNS1_17partition_subalgoE4EjNS0_10empty_typeEbEEZZNS1_14partition_implILS8_4ELb0ES6_15HIP_vector_typeIjLj2EENS0_17counting_iteratorIjlEEPS9_SG_NS0_5tupleIJPjSI_NS0_16reverse_iteratorISI_EEEEENSH_IJSG_SG_SG_EEES9_SI_JZNS1_25segmented_radix_sort_implINS0_14default_configELb1EPK12hip_bfloat16PSP_PKlPlN2at6native12_GLOBAL__N_18offset_tEEE10hipError_tPvRmT1_PNSt15iterator_traitsIS13_E10value_typeET2_T3_PNS14_IS19_E10value_typeET4_jRbjT5_S1F_jjP12ihipStream_tbEUljE_ZNSN_ISO_Lb1ESR_SS_SU_SV_SZ_EES10_S11_S12_S13_S17_S18_S19_S1C_S1D_jS1E_jS1F_S1F_jjS1H_bEUljE0_EEES10_S11_S12_S19_S1D_S1F_T6_T7_T9_mT8_S1H_bDpT10_ENKUlT_T0_E_clISt17integral_constantIbLb1EES1V_EEDaS1Q_S1R_EUlS1Q_E_NS1_11comp_targetILNS1_3genE10ELNS1_11target_archE1200ELNS1_3gpuE4ELNS1_3repE0EEENS1_30default_config_static_selectorELNS0_4arch9wavefront6targetE0EEEvS13_.num_vgpr, 0
	.set _ZN7rocprim17ROCPRIM_400000_NS6detail17trampoline_kernelINS0_13select_configILj256ELj13ELNS0_17block_load_methodE3ELS4_3ELS4_3ELNS0_20block_scan_algorithmE0ELj4294967295EEENS1_25partition_config_selectorILNS1_17partition_subalgoE4EjNS0_10empty_typeEbEEZZNS1_14partition_implILS8_4ELb0ES6_15HIP_vector_typeIjLj2EENS0_17counting_iteratorIjlEEPS9_SG_NS0_5tupleIJPjSI_NS0_16reverse_iteratorISI_EEEEENSH_IJSG_SG_SG_EEES9_SI_JZNS1_25segmented_radix_sort_implINS0_14default_configELb1EPK12hip_bfloat16PSP_PKlPlN2at6native12_GLOBAL__N_18offset_tEEE10hipError_tPvRmT1_PNSt15iterator_traitsIS13_E10value_typeET2_T3_PNS14_IS19_E10value_typeET4_jRbjT5_S1F_jjP12ihipStream_tbEUljE_ZNSN_ISO_Lb1ESR_SS_SU_SV_SZ_EES10_S11_S12_S13_S17_S18_S19_S1C_S1D_jS1E_jS1F_S1F_jjS1H_bEUljE0_EEES10_S11_S12_S19_S1D_S1F_T6_T7_T9_mT8_S1H_bDpT10_ENKUlT_T0_E_clISt17integral_constantIbLb1EES1V_EEDaS1Q_S1R_EUlS1Q_E_NS1_11comp_targetILNS1_3genE10ELNS1_11target_archE1200ELNS1_3gpuE4ELNS1_3repE0EEENS1_30default_config_static_selectorELNS0_4arch9wavefront6targetE0EEEvS13_.num_agpr, 0
	.set _ZN7rocprim17ROCPRIM_400000_NS6detail17trampoline_kernelINS0_13select_configILj256ELj13ELNS0_17block_load_methodE3ELS4_3ELS4_3ELNS0_20block_scan_algorithmE0ELj4294967295EEENS1_25partition_config_selectorILNS1_17partition_subalgoE4EjNS0_10empty_typeEbEEZZNS1_14partition_implILS8_4ELb0ES6_15HIP_vector_typeIjLj2EENS0_17counting_iteratorIjlEEPS9_SG_NS0_5tupleIJPjSI_NS0_16reverse_iteratorISI_EEEEENSH_IJSG_SG_SG_EEES9_SI_JZNS1_25segmented_radix_sort_implINS0_14default_configELb1EPK12hip_bfloat16PSP_PKlPlN2at6native12_GLOBAL__N_18offset_tEEE10hipError_tPvRmT1_PNSt15iterator_traitsIS13_E10value_typeET2_T3_PNS14_IS19_E10value_typeET4_jRbjT5_S1F_jjP12ihipStream_tbEUljE_ZNSN_ISO_Lb1ESR_SS_SU_SV_SZ_EES10_S11_S12_S13_S17_S18_S19_S1C_S1D_jS1E_jS1F_S1F_jjS1H_bEUljE0_EEES10_S11_S12_S19_S1D_S1F_T6_T7_T9_mT8_S1H_bDpT10_ENKUlT_T0_E_clISt17integral_constantIbLb1EES1V_EEDaS1Q_S1R_EUlS1Q_E_NS1_11comp_targetILNS1_3genE10ELNS1_11target_archE1200ELNS1_3gpuE4ELNS1_3repE0EEENS1_30default_config_static_selectorELNS0_4arch9wavefront6targetE0EEEvS13_.numbered_sgpr, 0
	.set _ZN7rocprim17ROCPRIM_400000_NS6detail17trampoline_kernelINS0_13select_configILj256ELj13ELNS0_17block_load_methodE3ELS4_3ELS4_3ELNS0_20block_scan_algorithmE0ELj4294967295EEENS1_25partition_config_selectorILNS1_17partition_subalgoE4EjNS0_10empty_typeEbEEZZNS1_14partition_implILS8_4ELb0ES6_15HIP_vector_typeIjLj2EENS0_17counting_iteratorIjlEEPS9_SG_NS0_5tupleIJPjSI_NS0_16reverse_iteratorISI_EEEEENSH_IJSG_SG_SG_EEES9_SI_JZNS1_25segmented_radix_sort_implINS0_14default_configELb1EPK12hip_bfloat16PSP_PKlPlN2at6native12_GLOBAL__N_18offset_tEEE10hipError_tPvRmT1_PNSt15iterator_traitsIS13_E10value_typeET2_T3_PNS14_IS19_E10value_typeET4_jRbjT5_S1F_jjP12ihipStream_tbEUljE_ZNSN_ISO_Lb1ESR_SS_SU_SV_SZ_EES10_S11_S12_S13_S17_S18_S19_S1C_S1D_jS1E_jS1F_S1F_jjS1H_bEUljE0_EEES10_S11_S12_S19_S1D_S1F_T6_T7_T9_mT8_S1H_bDpT10_ENKUlT_T0_E_clISt17integral_constantIbLb1EES1V_EEDaS1Q_S1R_EUlS1Q_E_NS1_11comp_targetILNS1_3genE10ELNS1_11target_archE1200ELNS1_3gpuE4ELNS1_3repE0EEENS1_30default_config_static_selectorELNS0_4arch9wavefront6targetE0EEEvS13_.num_named_barrier, 0
	.set _ZN7rocprim17ROCPRIM_400000_NS6detail17trampoline_kernelINS0_13select_configILj256ELj13ELNS0_17block_load_methodE3ELS4_3ELS4_3ELNS0_20block_scan_algorithmE0ELj4294967295EEENS1_25partition_config_selectorILNS1_17partition_subalgoE4EjNS0_10empty_typeEbEEZZNS1_14partition_implILS8_4ELb0ES6_15HIP_vector_typeIjLj2EENS0_17counting_iteratorIjlEEPS9_SG_NS0_5tupleIJPjSI_NS0_16reverse_iteratorISI_EEEEENSH_IJSG_SG_SG_EEES9_SI_JZNS1_25segmented_radix_sort_implINS0_14default_configELb1EPK12hip_bfloat16PSP_PKlPlN2at6native12_GLOBAL__N_18offset_tEEE10hipError_tPvRmT1_PNSt15iterator_traitsIS13_E10value_typeET2_T3_PNS14_IS19_E10value_typeET4_jRbjT5_S1F_jjP12ihipStream_tbEUljE_ZNSN_ISO_Lb1ESR_SS_SU_SV_SZ_EES10_S11_S12_S13_S17_S18_S19_S1C_S1D_jS1E_jS1F_S1F_jjS1H_bEUljE0_EEES10_S11_S12_S19_S1D_S1F_T6_T7_T9_mT8_S1H_bDpT10_ENKUlT_T0_E_clISt17integral_constantIbLb1EES1V_EEDaS1Q_S1R_EUlS1Q_E_NS1_11comp_targetILNS1_3genE10ELNS1_11target_archE1200ELNS1_3gpuE4ELNS1_3repE0EEENS1_30default_config_static_selectorELNS0_4arch9wavefront6targetE0EEEvS13_.private_seg_size, 0
	.set _ZN7rocprim17ROCPRIM_400000_NS6detail17trampoline_kernelINS0_13select_configILj256ELj13ELNS0_17block_load_methodE3ELS4_3ELS4_3ELNS0_20block_scan_algorithmE0ELj4294967295EEENS1_25partition_config_selectorILNS1_17partition_subalgoE4EjNS0_10empty_typeEbEEZZNS1_14partition_implILS8_4ELb0ES6_15HIP_vector_typeIjLj2EENS0_17counting_iteratorIjlEEPS9_SG_NS0_5tupleIJPjSI_NS0_16reverse_iteratorISI_EEEEENSH_IJSG_SG_SG_EEES9_SI_JZNS1_25segmented_radix_sort_implINS0_14default_configELb1EPK12hip_bfloat16PSP_PKlPlN2at6native12_GLOBAL__N_18offset_tEEE10hipError_tPvRmT1_PNSt15iterator_traitsIS13_E10value_typeET2_T3_PNS14_IS19_E10value_typeET4_jRbjT5_S1F_jjP12ihipStream_tbEUljE_ZNSN_ISO_Lb1ESR_SS_SU_SV_SZ_EES10_S11_S12_S13_S17_S18_S19_S1C_S1D_jS1E_jS1F_S1F_jjS1H_bEUljE0_EEES10_S11_S12_S19_S1D_S1F_T6_T7_T9_mT8_S1H_bDpT10_ENKUlT_T0_E_clISt17integral_constantIbLb1EES1V_EEDaS1Q_S1R_EUlS1Q_E_NS1_11comp_targetILNS1_3genE10ELNS1_11target_archE1200ELNS1_3gpuE4ELNS1_3repE0EEENS1_30default_config_static_selectorELNS0_4arch9wavefront6targetE0EEEvS13_.uses_vcc, 0
	.set _ZN7rocprim17ROCPRIM_400000_NS6detail17trampoline_kernelINS0_13select_configILj256ELj13ELNS0_17block_load_methodE3ELS4_3ELS4_3ELNS0_20block_scan_algorithmE0ELj4294967295EEENS1_25partition_config_selectorILNS1_17partition_subalgoE4EjNS0_10empty_typeEbEEZZNS1_14partition_implILS8_4ELb0ES6_15HIP_vector_typeIjLj2EENS0_17counting_iteratorIjlEEPS9_SG_NS0_5tupleIJPjSI_NS0_16reverse_iteratorISI_EEEEENSH_IJSG_SG_SG_EEES9_SI_JZNS1_25segmented_radix_sort_implINS0_14default_configELb1EPK12hip_bfloat16PSP_PKlPlN2at6native12_GLOBAL__N_18offset_tEEE10hipError_tPvRmT1_PNSt15iterator_traitsIS13_E10value_typeET2_T3_PNS14_IS19_E10value_typeET4_jRbjT5_S1F_jjP12ihipStream_tbEUljE_ZNSN_ISO_Lb1ESR_SS_SU_SV_SZ_EES10_S11_S12_S13_S17_S18_S19_S1C_S1D_jS1E_jS1F_S1F_jjS1H_bEUljE0_EEES10_S11_S12_S19_S1D_S1F_T6_T7_T9_mT8_S1H_bDpT10_ENKUlT_T0_E_clISt17integral_constantIbLb1EES1V_EEDaS1Q_S1R_EUlS1Q_E_NS1_11comp_targetILNS1_3genE10ELNS1_11target_archE1200ELNS1_3gpuE4ELNS1_3repE0EEENS1_30default_config_static_selectorELNS0_4arch9wavefront6targetE0EEEvS13_.uses_flat_scratch, 0
	.set _ZN7rocprim17ROCPRIM_400000_NS6detail17trampoline_kernelINS0_13select_configILj256ELj13ELNS0_17block_load_methodE3ELS4_3ELS4_3ELNS0_20block_scan_algorithmE0ELj4294967295EEENS1_25partition_config_selectorILNS1_17partition_subalgoE4EjNS0_10empty_typeEbEEZZNS1_14partition_implILS8_4ELb0ES6_15HIP_vector_typeIjLj2EENS0_17counting_iteratorIjlEEPS9_SG_NS0_5tupleIJPjSI_NS0_16reverse_iteratorISI_EEEEENSH_IJSG_SG_SG_EEES9_SI_JZNS1_25segmented_radix_sort_implINS0_14default_configELb1EPK12hip_bfloat16PSP_PKlPlN2at6native12_GLOBAL__N_18offset_tEEE10hipError_tPvRmT1_PNSt15iterator_traitsIS13_E10value_typeET2_T3_PNS14_IS19_E10value_typeET4_jRbjT5_S1F_jjP12ihipStream_tbEUljE_ZNSN_ISO_Lb1ESR_SS_SU_SV_SZ_EES10_S11_S12_S13_S17_S18_S19_S1C_S1D_jS1E_jS1F_S1F_jjS1H_bEUljE0_EEES10_S11_S12_S19_S1D_S1F_T6_T7_T9_mT8_S1H_bDpT10_ENKUlT_T0_E_clISt17integral_constantIbLb1EES1V_EEDaS1Q_S1R_EUlS1Q_E_NS1_11comp_targetILNS1_3genE10ELNS1_11target_archE1200ELNS1_3gpuE4ELNS1_3repE0EEENS1_30default_config_static_selectorELNS0_4arch9wavefront6targetE0EEEvS13_.has_dyn_sized_stack, 0
	.set _ZN7rocprim17ROCPRIM_400000_NS6detail17trampoline_kernelINS0_13select_configILj256ELj13ELNS0_17block_load_methodE3ELS4_3ELS4_3ELNS0_20block_scan_algorithmE0ELj4294967295EEENS1_25partition_config_selectorILNS1_17partition_subalgoE4EjNS0_10empty_typeEbEEZZNS1_14partition_implILS8_4ELb0ES6_15HIP_vector_typeIjLj2EENS0_17counting_iteratorIjlEEPS9_SG_NS0_5tupleIJPjSI_NS0_16reverse_iteratorISI_EEEEENSH_IJSG_SG_SG_EEES9_SI_JZNS1_25segmented_radix_sort_implINS0_14default_configELb1EPK12hip_bfloat16PSP_PKlPlN2at6native12_GLOBAL__N_18offset_tEEE10hipError_tPvRmT1_PNSt15iterator_traitsIS13_E10value_typeET2_T3_PNS14_IS19_E10value_typeET4_jRbjT5_S1F_jjP12ihipStream_tbEUljE_ZNSN_ISO_Lb1ESR_SS_SU_SV_SZ_EES10_S11_S12_S13_S17_S18_S19_S1C_S1D_jS1E_jS1F_S1F_jjS1H_bEUljE0_EEES10_S11_S12_S19_S1D_S1F_T6_T7_T9_mT8_S1H_bDpT10_ENKUlT_T0_E_clISt17integral_constantIbLb1EES1V_EEDaS1Q_S1R_EUlS1Q_E_NS1_11comp_targetILNS1_3genE10ELNS1_11target_archE1200ELNS1_3gpuE4ELNS1_3repE0EEENS1_30default_config_static_selectorELNS0_4arch9wavefront6targetE0EEEvS13_.has_recursion, 0
	.set _ZN7rocprim17ROCPRIM_400000_NS6detail17trampoline_kernelINS0_13select_configILj256ELj13ELNS0_17block_load_methodE3ELS4_3ELS4_3ELNS0_20block_scan_algorithmE0ELj4294967295EEENS1_25partition_config_selectorILNS1_17partition_subalgoE4EjNS0_10empty_typeEbEEZZNS1_14partition_implILS8_4ELb0ES6_15HIP_vector_typeIjLj2EENS0_17counting_iteratorIjlEEPS9_SG_NS0_5tupleIJPjSI_NS0_16reverse_iteratorISI_EEEEENSH_IJSG_SG_SG_EEES9_SI_JZNS1_25segmented_radix_sort_implINS0_14default_configELb1EPK12hip_bfloat16PSP_PKlPlN2at6native12_GLOBAL__N_18offset_tEEE10hipError_tPvRmT1_PNSt15iterator_traitsIS13_E10value_typeET2_T3_PNS14_IS19_E10value_typeET4_jRbjT5_S1F_jjP12ihipStream_tbEUljE_ZNSN_ISO_Lb1ESR_SS_SU_SV_SZ_EES10_S11_S12_S13_S17_S18_S19_S1C_S1D_jS1E_jS1F_S1F_jjS1H_bEUljE0_EEES10_S11_S12_S19_S1D_S1F_T6_T7_T9_mT8_S1H_bDpT10_ENKUlT_T0_E_clISt17integral_constantIbLb1EES1V_EEDaS1Q_S1R_EUlS1Q_E_NS1_11comp_targetILNS1_3genE10ELNS1_11target_archE1200ELNS1_3gpuE4ELNS1_3repE0EEENS1_30default_config_static_selectorELNS0_4arch9wavefront6targetE0EEEvS13_.has_indirect_call, 0
	.section	.AMDGPU.csdata,"",@progbits
; Kernel info:
; codeLenInByte = 0
; TotalNumSgprs: 0
; NumVgprs: 0
; ScratchSize: 0
; MemoryBound: 0
; FloatMode: 240
; IeeeMode: 1
; LDSByteSize: 0 bytes/workgroup (compile time only)
; SGPRBlocks: 0
; VGPRBlocks: 0
; NumSGPRsForWavesPerEU: 1
; NumVGPRsForWavesPerEU: 1
; NamedBarCnt: 0
; Occupancy: 16
; WaveLimiterHint : 0
; COMPUTE_PGM_RSRC2:SCRATCH_EN: 0
; COMPUTE_PGM_RSRC2:USER_SGPR: 2
; COMPUTE_PGM_RSRC2:TRAP_HANDLER: 0
; COMPUTE_PGM_RSRC2:TGID_X_EN: 1
; COMPUTE_PGM_RSRC2:TGID_Y_EN: 0
; COMPUTE_PGM_RSRC2:TGID_Z_EN: 0
; COMPUTE_PGM_RSRC2:TIDIG_COMP_CNT: 0
	.section	.text._ZN7rocprim17ROCPRIM_400000_NS6detail17trampoline_kernelINS0_13select_configILj256ELj13ELNS0_17block_load_methodE3ELS4_3ELS4_3ELNS0_20block_scan_algorithmE0ELj4294967295EEENS1_25partition_config_selectorILNS1_17partition_subalgoE4EjNS0_10empty_typeEbEEZZNS1_14partition_implILS8_4ELb0ES6_15HIP_vector_typeIjLj2EENS0_17counting_iteratorIjlEEPS9_SG_NS0_5tupleIJPjSI_NS0_16reverse_iteratorISI_EEEEENSH_IJSG_SG_SG_EEES9_SI_JZNS1_25segmented_radix_sort_implINS0_14default_configELb1EPK12hip_bfloat16PSP_PKlPlN2at6native12_GLOBAL__N_18offset_tEEE10hipError_tPvRmT1_PNSt15iterator_traitsIS13_E10value_typeET2_T3_PNS14_IS19_E10value_typeET4_jRbjT5_S1F_jjP12ihipStream_tbEUljE_ZNSN_ISO_Lb1ESR_SS_SU_SV_SZ_EES10_S11_S12_S13_S17_S18_S19_S1C_S1D_jS1E_jS1F_S1F_jjS1H_bEUljE0_EEES10_S11_S12_S19_S1D_S1F_T6_T7_T9_mT8_S1H_bDpT10_ENKUlT_T0_E_clISt17integral_constantIbLb1EES1V_EEDaS1Q_S1R_EUlS1Q_E_NS1_11comp_targetILNS1_3genE9ELNS1_11target_archE1100ELNS1_3gpuE3ELNS1_3repE0EEENS1_30default_config_static_selectorELNS0_4arch9wavefront6targetE0EEEvS13_,"axG",@progbits,_ZN7rocprim17ROCPRIM_400000_NS6detail17trampoline_kernelINS0_13select_configILj256ELj13ELNS0_17block_load_methodE3ELS4_3ELS4_3ELNS0_20block_scan_algorithmE0ELj4294967295EEENS1_25partition_config_selectorILNS1_17partition_subalgoE4EjNS0_10empty_typeEbEEZZNS1_14partition_implILS8_4ELb0ES6_15HIP_vector_typeIjLj2EENS0_17counting_iteratorIjlEEPS9_SG_NS0_5tupleIJPjSI_NS0_16reverse_iteratorISI_EEEEENSH_IJSG_SG_SG_EEES9_SI_JZNS1_25segmented_radix_sort_implINS0_14default_configELb1EPK12hip_bfloat16PSP_PKlPlN2at6native12_GLOBAL__N_18offset_tEEE10hipError_tPvRmT1_PNSt15iterator_traitsIS13_E10value_typeET2_T3_PNS14_IS19_E10value_typeET4_jRbjT5_S1F_jjP12ihipStream_tbEUljE_ZNSN_ISO_Lb1ESR_SS_SU_SV_SZ_EES10_S11_S12_S13_S17_S18_S19_S1C_S1D_jS1E_jS1F_S1F_jjS1H_bEUljE0_EEES10_S11_S12_S19_S1D_S1F_T6_T7_T9_mT8_S1H_bDpT10_ENKUlT_T0_E_clISt17integral_constantIbLb1EES1V_EEDaS1Q_S1R_EUlS1Q_E_NS1_11comp_targetILNS1_3genE9ELNS1_11target_archE1100ELNS1_3gpuE3ELNS1_3repE0EEENS1_30default_config_static_selectorELNS0_4arch9wavefront6targetE0EEEvS13_,comdat
	.globl	_ZN7rocprim17ROCPRIM_400000_NS6detail17trampoline_kernelINS0_13select_configILj256ELj13ELNS0_17block_load_methodE3ELS4_3ELS4_3ELNS0_20block_scan_algorithmE0ELj4294967295EEENS1_25partition_config_selectorILNS1_17partition_subalgoE4EjNS0_10empty_typeEbEEZZNS1_14partition_implILS8_4ELb0ES6_15HIP_vector_typeIjLj2EENS0_17counting_iteratorIjlEEPS9_SG_NS0_5tupleIJPjSI_NS0_16reverse_iteratorISI_EEEEENSH_IJSG_SG_SG_EEES9_SI_JZNS1_25segmented_radix_sort_implINS0_14default_configELb1EPK12hip_bfloat16PSP_PKlPlN2at6native12_GLOBAL__N_18offset_tEEE10hipError_tPvRmT1_PNSt15iterator_traitsIS13_E10value_typeET2_T3_PNS14_IS19_E10value_typeET4_jRbjT5_S1F_jjP12ihipStream_tbEUljE_ZNSN_ISO_Lb1ESR_SS_SU_SV_SZ_EES10_S11_S12_S13_S17_S18_S19_S1C_S1D_jS1E_jS1F_S1F_jjS1H_bEUljE0_EEES10_S11_S12_S19_S1D_S1F_T6_T7_T9_mT8_S1H_bDpT10_ENKUlT_T0_E_clISt17integral_constantIbLb1EES1V_EEDaS1Q_S1R_EUlS1Q_E_NS1_11comp_targetILNS1_3genE9ELNS1_11target_archE1100ELNS1_3gpuE3ELNS1_3repE0EEENS1_30default_config_static_selectorELNS0_4arch9wavefront6targetE0EEEvS13_ ; -- Begin function _ZN7rocprim17ROCPRIM_400000_NS6detail17trampoline_kernelINS0_13select_configILj256ELj13ELNS0_17block_load_methodE3ELS4_3ELS4_3ELNS0_20block_scan_algorithmE0ELj4294967295EEENS1_25partition_config_selectorILNS1_17partition_subalgoE4EjNS0_10empty_typeEbEEZZNS1_14partition_implILS8_4ELb0ES6_15HIP_vector_typeIjLj2EENS0_17counting_iteratorIjlEEPS9_SG_NS0_5tupleIJPjSI_NS0_16reverse_iteratorISI_EEEEENSH_IJSG_SG_SG_EEES9_SI_JZNS1_25segmented_radix_sort_implINS0_14default_configELb1EPK12hip_bfloat16PSP_PKlPlN2at6native12_GLOBAL__N_18offset_tEEE10hipError_tPvRmT1_PNSt15iterator_traitsIS13_E10value_typeET2_T3_PNS14_IS19_E10value_typeET4_jRbjT5_S1F_jjP12ihipStream_tbEUljE_ZNSN_ISO_Lb1ESR_SS_SU_SV_SZ_EES10_S11_S12_S13_S17_S18_S19_S1C_S1D_jS1E_jS1F_S1F_jjS1H_bEUljE0_EEES10_S11_S12_S19_S1D_S1F_T6_T7_T9_mT8_S1H_bDpT10_ENKUlT_T0_E_clISt17integral_constantIbLb1EES1V_EEDaS1Q_S1R_EUlS1Q_E_NS1_11comp_targetILNS1_3genE9ELNS1_11target_archE1100ELNS1_3gpuE3ELNS1_3repE0EEENS1_30default_config_static_selectorELNS0_4arch9wavefront6targetE0EEEvS13_
	.p2align	8
	.type	_ZN7rocprim17ROCPRIM_400000_NS6detail17trampoline_kernelINS0_13select_configILj256ELj13ELNS0_17block_load_methodE3ELS4_3ELS4_3ELNS0_20block_scan_algorithmE0ELj4294967295EEENS1_25partition_config_selectorILNS1_17partition_subalgoE4EjNS0_10empty_typeEbEEZZNS1_14partition_implILS8_4ELb0ES6_15HIP_vector_typeIjLj2EENS0_17counting_iteratorIjlEEPS9_SG_NS0_5tupleIJPjSI_NS0_16reverse_iteratorISI_EEEEENSH_IJSG_SG_SG_EEES9_SI_JZNS1_25segmented_radix_sort_implINS0_14default_configELb1EPK12hip_bfloat16PSP_PKlPlN2at6native12_GLOBAL__N_18offset_tEEE10hipError_tPvRmT1_PNSt15iterator_traitsIS13_E10value_typeET2_T3_PNS14_IS19_E10value_typeET4_jRbjT5_S1F_jjP12ihipStream_tbEUljE_ZNSN_ISO_Lb1ESR_SS_SU_SV_SZ_EES10_S11_S12_S13_S17_S18_S19_S1C_S1D_jS1E_jS1F_S1F_jjS1H_bEUljE0_EEES10_S11_S12_S19_S1D_S1F_T6_T7_T9_mT8_S1H_bDpT10_ENKUlT_T0_E_clISt17integral_constantIbLb1EES1V_EEDaS1Q_S1R_EUlS1Q_E_NS1_11comp_targetILNS1_3genE9ELNS1_11target_archE1100ELNS1_3gpuE3ELNS1_3repE0EEENS1_30default_config_static_selectorELNS0_4arch9wavefront6targetE0EEEvS13_,@function
_ZN7rocprim17ROCPRIM_400000_NS6detail17trampoline_kernelINS0_13select_configILj256ELj13ELNS0_17block_load_methodE3ELS4_3ELS4_3ELNS0_20block_scan_algorithmE0ELj4294967295EEENS1_25partition_config_selectorILNS1_17partition_subalgoE4EjNS0_10empty_typeEbEEZZNS1_14partition_implILS8_4ELb0ES6_15HIP_vector_typeIjLj2EENS0_17counting_iteratorIjlEEPS9_SG_NS0_5tupleIJPjSI_NS0_16reverse_iteratorISI_EEEEENSH_IJSG_SG_SG_EEES9_SI_JZNS1_25segmented_radix_sort_implINS0_14default_configELb1EPK12hip_bfloat16PSP_PKlPlN2at6native12_GLOBAL__N_18offset_tEEE10hipError_tPvRmT1_PNSt15iterator_traitsIS13_E10value_typeET2_T3_PNS14_IS19_E10value_typeET4_jRbjT5_S1F_jjP12ihipStream_tbEUljE_ZNSN_ISO_Lb1ESR_SS_SU_SV_SZ_EES10_S11_S12_S13_S17_S18_S19_S1C_S1D_jS1E_jS1F_S1F_jjS1H_bEUljE0_EEES10_S11_S12_S19_S1D_S1F_T6_T7_T9_mT8_S1H_bDpT10_ENKUlT_T0_E_clISt17integral_constantIbLb1EES1V_EEDaS1Q_S1R_EUlS1Q_E_NS1_11comp_targetILNS1_3genE9ELNS1_11target_archE1100ELNS1_3gpuE3ELNS1_3repE0EEENS1_30default_config_static_selectorELNS0_4arch9wavefront6targetE0EEEvS13_: ; @_ZN7rocprim17ROCPRIM_400000_NS6detail17trampoline_kernelINS0_13select_configILj256ELj13ELNS0_17block_load_methodE3ELS4_3ELS4_3ELNS0_20block_scan_algorithmE0ELj4294967295EEENS1_25partition_config_selectorILNS1_17partition_subalgoE4EjNS0_10empty_typeEbEEZZNS1_14partition_implILS8_4ELb0ES6_15HIP_vector_typeIjLj2EENS0_17counting_iteratorIjlEEPS9_SG_NS0_5tupleIJPjSI_NS0_16reverse_iteratorISI_EEEEENSH_IJSG_SG_SG_EEES9_SI_JZNS1_25segmented_radix_sort_implINS0_14default_configELb1EPK12hip_bfloat16PSP_PKlPlN2at6native12_GLOBAL__N_18offset_tEEE10hipError_tPvRmT1_PNSt15iterator_traitsIS13_E10value_typeET2_T3_PNS14_IS19_E10value_typeET4_jRbjT5_S1F_jjP12ihipStream_tbEUljE_ZNSN_ISO_Lb1ESR_SS_SU_SV_SZ_EES10_S11_S12_S13_S17_S18_S19_S1C_S1D_jS1E_jS1F_S1F_jjS1H_bEUljE0_EEES10_S11_S12_S19_S1D_S1F_T6_T7_T9_mT8_S1H_bDpT10_ENKUlT_T0_E_clISt17integral_constantIbLb1EES1V_EEDaS1Q_S1R_EUlS1Q_E_NS1_11comp_targetILNS1_3genE9ELNS1_11target_archE1100ELNS1_3gpuE3ELNS1_3repE0EEENS1_30default_config_static_selectorELNS0_4arch9wavefront6targetE0EEEvS13_
; %bb.0:
	.section	.rodata,"a",@progbits
	.p2align	6, 0x0
	.amdhsa_kernel _ZN7rocprim17ROCPRIM_400000_NS6detail17trampoline_kernelINS0_13select_configILj256ELj13ELNS0_17block_load_methodE3ELS4_3ELS4_3ELNS0_20block_scan_algorithmE0ELj4294967295EEENS1_25partition_config_selectorILNS1_17partition_subalgoE4EjNS0_10empty_typeEbEEZZNS1_14partition_implILS8_4ELb0ES6_15HIP_vector_typeIjLj2EENS0_17counting_iteratorIjlEEPS9_SG_NS0_5tupleIJPjSI_NS0_16reverse_iteratorISI_EEEEENSH_IJSG_SG_SG_EEES9_SI_JZNS1_25segmented_radix_sort_implINS0_14default_configELb1EPK12hip_bfloat16PSP_PKlPlN2at6native12_GLOBAL__N_18offset_tEEE10hipError_tPvRmT1_PNSt15iterator_traitsIS13_E10value_typeET2_T3_PNS14_IS19_E10value_typeET4_jRbjT5_S1F_jjP12ihipStream_tbEUljE_ZNSN_ISO_Lb1ESR_SS_SU_SV_SZ_EES10_S11_S12_S13_S17_S18_S19_S1C_S1D_jS1E_jS1F_S1F_jjS1H_bEUljE0_EEES10_S11_S12_S19_S1D_S1F_T6_T7_T9_mT8_S1H_bDpT10_ENKUlT_T0_E_clISt17integral_constantIbLb1EES1V_EEDaS1Q_S1R_EUlS1Q_E_NS1_11comp_targetILNS1_3genE9ELNS1_11target_archE1100ELNS1_3gpuE3ELNS1_3repE0EEENS1_30default_config_static_selectorELNS0_4arch9wavefront6targetE0EEEvS13_
		.amdhsa_group_segment_fixed_size 0
		.amdhsa_private_segment_fixed_size 0
		.amdhsa_kernarg_size 184
		.amdhsa_user_sgpr_count 2
		.amdhsa_user_sgpr_dispatch_ptr 0
		.amdhsa_user_sgpr_queue_ptr 0
		.amdhsa_user_sgpr_kernarg_segment_ptr 1
		.amdhsa_user_sgpr_dispatch_id 0
		.amdhsa_user_sgpr_kernarg_preload_length 0
		.amdhsa_user_sgpr_kernarg_preload_offset 0
		.amdhsa_user_sgpr_private_segment_size 0
		.amdhsa_wavefront_size32 1
		.amdhsa_uses_dynamic_stack 0
		.amdhsa_enable_private_segment 0
		.amdhsa_system_sgpr_workgroup_id_x 1
		.amdhsa_system_sgpr_workgroup_id_y 0
		.amdhsa_system_sgpr_workgroup_id_z 0
		.amdhsa_system_sgpr_workgroup_info 0
		.amdhsa_system_vgpr_workitem_id 0
		.amdhsa_next_free_vgpr 1
		.amdhsa_next_free_sgpr 1
		.amdhsa_named_barrier_count 0
		.amdhsa_reserve_vcc 0
		.amdhsa_float_round_mode_32 0
		.amdhsa_float_round_mode_16_64 0
		.amdhsa_float_denorm_mode_32 3
		.amdhsa_float_denorm_mode_16_64 3
		.amdhsa_fp16_overflow 0
		.amdhsa_memory_ordered 1
		.amdhsa_forward_progress 1
		.amdhsa_inst_pref_size 0
		.amdhsa_round_robin_scheduling 0
		.amdhsa_exception_fp_ieee_invalid_op 0
		.amdhsa_exception_fp_denorm_src 0
		.amdhsa_exception_fp_ieee_div_zero 0
		.amdhsa_exception_fp_ieee_overflow 0
		.amdhsa_exception_fp_ieee_underflow 0
		.amdhsa_exception_fp_ieee_inexact 0
		.amdhsa_exception_int_div_zero 0
	.end_amdhsa_kernel
	.section	.text._ZN7rocprim17ROCPRIM_400000_NS6detail17trampoline_kernelINS0_13select_configILj256ELj13ELNS0_17block_load_methodE3ELS4_3ELS4_3ELNS0_20block_scan_algorithmE0ELj4294967295EEENS1_25partition_config_selectorILNS1_17partition_subalgoE4EjNS0_10empty_typeEbEEZZNS1_14partition_implILS8_4ELb0ES6_15HIP_vector_typeIjLj2EENS0_17counting_iteratorIjlEEPS9_SG_NS0_5tupleIJPjSI_NS0_16reverse_iteratorISI_EEEEENSH_IJSG_SG_SG_EEES9_SI_JZNS1_25segmented_radix_sort_implINS0_14default_configELb1EPK12hip_bfloat16PSP_PKlPlN2at6native12_GLOBAL__N_18offset_tEEE10hipError_tPvRmT1_PNSt15iterator_traitsIS13_E10value_typeET2_T3_PNS14_IS19_E10value_typeET4_jRbjT5_S1F_jjP12ihipStream_tbEUljE_ZNSN_ISO_Lb1ESR_SS_SU_SV_SZ_EES10_S11_S12_S13_S17_S18_S19_S1C_S1D_jS1E_jS1F_S1F_jjS1H_bEUljE0_EEES10_S11_S12_S19_S1D_S1F_T6_T7_T9_mT8_S1H_bDpT10_ENKUlT_T0_E_clISt17integral_constantIbLb1EES1V_EEDaS1Q_S1R_EUlS1Q_E_NS1_11comp_targetILNS1_3genE9ELNS1_11target_archE1100ELNS1_3gpuE3ELNS1_3repE0EEENS1_30default_config_static_selectorELNS0_4arch9wavefront6targetE0EEEvS13_,"axG",@progbits,_ZN7rocprim17ROCPRIM_400000_NS6detail17trampoline_kernelINS0_13select_configILj256ELj13ELNS0_17block_load_methodE3ELS4_3ELS4_3ELNS0_20block_scan_algorithmE0ELj4294967295EEENS1_25partition_config_selectorILNS1_17partition_subalgoE4EjNS0_10empty_typeEbEEZZNS1_14partition_implILS8_4ELb0ES6_15HIP_vector_typeIjLj2EENS0_17counting_iteratorIjlEEPS9_SG_NS0_5tupleIJPjSI_NS0_16reverse_iteratorISI_EEEEENSH_IJSG_SG_SG_EEES9_SI_JZNS1_25segmented_radix_sort_implINS0_14default_configELb1EPK12hip_bfloat16PSP_PKlPlN2at6native12_GLOBAL__N_18offset_tEEE10hipError_tPvRmT1_PNSt15iterator_traitsIS13_E10value_typeET2_T3_PNS14_IS19_E10value_typeET4_jRbjT5_S1F_jjP12ihipStream_tbEUljE_ZNSN_ISO_Lb1ESR_SS_SU_SV_SZ_EES10_S11_S12_S13_S17_S18_S19_S1C_S1D_jS1E_jS1F_S1F_jjS1H_bEUljE0_EEES10_S11_S12_S19_S1D_S1F_T6_T7_T9_mT8_S1H_bDpT10_ENKUlT_T0_E_clISt17integral_constantIbLb1EES1V_EEDaS1Q_S1R_EUlS1Q_E_NS1_11comp_targetILNS1_3genE9ELNS1_11target_archE1100ELNS1_3gpuE3ELNS1_3repE0EEENS1_30default_config_static_selectorELNS0_4arch9wavefront6targetE0EEEvS13_,comdat
.Lfunc_end1886:
	.size	_ZN7rocprim17ROCPRIM_400000_NS6detail17trampoline_kernelINS0_13select_configILj256ELj13ELNS0_17block_load_methodE3ELS4_3ELS4_3ELNS0_20block_scan_algorithmE0ELj4294967295EEENS1_25partition_config_selectorILNS1_17partition_subalgoE4EjNS0_10empty_typeEbEEZZNS1_14partition_implILS8_4ELb0ES6_15HIP_vector_typeIjLj2EENS0_17counting_iteratorIjlEEPS9_SG_NS0_5tupleIJPjSI_NS0_16reverse_iteratorISI_EEEEENSH_IJSG_SG_SG_EEES9_SI_JZNS1_25segmented_radix_sort_implINS0_14default_configELb1EPK12hip_bfloat16PSP_PKlPlN2at6native12_GLOBAL__N_18offset_tEEE10hipError_tPvRmT1_PNSt15iterator_traitsIS13_E10value_typeET2_T3_PNS14_IS19_E10value_typeET4_jRbjT5_S1F_jjP12ihipStream_tbEUljE_ZNSN_ISO_Lb1ESR_SS_SU_SV_SZ_EES10_S11_S12_S13_S17_S18_S19_S1C_S1D_jS1E_jS1F_S1F_jjS1H_bEUljE0_EEES10_S11_S12_S19_S1D_S1F_T6_T7_T9_mT8_S1H_bDpT10_ENKUlT_T0_E_clISt17integral_constantIbLb1EES1V_EEDaS1Q_S1R_EUlS1Q_E_NS1_11comp_targetILNS1_3genE9ELNS1_11target_archE1100ELNS1_3gpuE3ELNS1_3repE0EEENS1_30default_config_static_selectorELNS0_4arch9wavefront6targetE0EEEvS13_, .Lfunc_end1886-_ZN7rocprim17ROCPRIM_400000_NS6detail17trampoline_kernelINS0_13select_configILj256ELj13ELNS0_17block_load_methodE3ELS4_3ELS4_3ELNS0_20block_scan_algorithmE0ELj4294967295EEENS1_25partition_config_selectorILNS1_17partition_subalgoE4EjNS0_10empty_typeEbEEZZNS1_14partition_implILS8_4ELb0ES6_15HIP_vector_typeIjLj2EENS0_17counting_iteratorIjlEEPS9_SG_NS0_5tupleIJPjSI_NS0_16reverse_iteratorISI_EEEEENSH_IJSG_SG_SG_EEES9_SI_JZNS1_25segmented_radix_sort_implINS0_14default_configELb1EPK12hip_bfloat16PSP_PKlPlN2at6native12_GLOBAL__N_18offset_tEEE10hipError_tPvRmT1_PNSt15iterator_traitsIS13_E10value_typeET2_T3_PNS14_IS19_E10value_typeET4_jRbjT5_S1F_jjP12ihipStream_tbEUljE_ZNSN_ISO_Lb1ESR_SS_SU_SV_SZ_EES10_S11_S12_S13_S17_S18_S19_S1C_S1D_jS1E_jS1F_S1F_jjS1H_bEUljE0_EEES10_S11_S12_S19_S1D_S1F_T6_T7_T9_mT8_S1H_bDpT10_ENKUlT_T0_E_clISt17integral_constantIbLb1EES1V_EEDaS1Q_S1R_EUlS1Q_E_NS1_11comp_targetILNS1_3genE9ELNS1_11target_archE1100ELNS1_3gpuE3ELNS1_3repE0EEENS1_30default_config_static_selectorELNS0_4arch9wavefront6targetE0EEEvS13_
                                        ; -- End function
	.set _ZN7rocprim17ROCPRIM_400000_NS6detail17trampoline_kernelINS0_13select_configILj256ELj13ELNS0_17block_load_methodE3ELS4_3ELS4_3ELNS0_20block_scan_algorithmE0ELj4294967295EEENS1_25partition_config_selectorILNS1_17partition_subalgoE4EjNS0_10empty_typeEbEEZZNS1_14partition_implILS8_4ELb0ES6_15HIP_vector_typeIjLj2EENS0_17counting_iteratorIjlEEPS9_SG_NS0_5tupleIJPjSI_NS0_16reverse_iteratorISI_EEEEENSH_IJSG_SG_SG_EEES9_SI_JZNS1_25segmented_radix_sort_implINS0_14default_configELb1EPK12hip_bfloat16PSP_PKlPlN2at6native12_GLOBAL__N_18offset_tEEE10hipError_tPvRmT1_PNSt15iterator_traitsIS13_E10value_typeET2_T3_PNS14_IS19_E10value_typeET4_jRbjT5_S1F_jjP12ihipStream_tbEUljE_ZNSN_ISO_Lb1ESR_SS_SU_SV_SZ_EES10_S11_S12_S13_S17_S18_S19_S1C_S1D_jS1E_jS1F_S1F_jjS1H_bEUljE0_EEES10_S11_S12_S19_S1D_S1F_T6_T7_T9_mT8_S1H_bDpT10_ENKUlT_T0_E_clISt17integral_constantIbLb1EES1V_EEDaS1Q_S1R_EUlS1Q_E_NS1_11comp_targetILNS1_3genE9ELNS1_11target_archE1100ELNS1_3gpuE3ELNS1_3repE0EEENS1_30default_config_static_selectorELNS0_4arch9wavefront6targetE0EEEvS13_.num_vgpr, 0
	.set _ZN7rocprim17ROCPRIM_400000_NS6detail17trampoline_kernelINS0_13select_configILj256ELj13ELNS0_17block_load_methodE3ELS4_3ELS4_3ELNS0_20block_scan_algorithmE0ELj4294967295EEENS1_25partition_config_selectorILNS1_17partition_subalgoE4EjNS0_10empty_typeEbEEZZNS1_14partition_implILS8_4ELb0ES6_15HIP_vector_typeIjLj2EENS0_17counting_iteratorIjlEEPS9_SG_NS0_5tupleIJPjSI_NS0_16reverse_iteratorISI_EEEEENSH_IJSG_SG_SG_EEES9_SI_JZNS1_25segmented_radix_sort_implINS0_14default_configELb1EPK12hip_bfloat16PSP_PKlPlN2at6native12_GLOBAL__N_18offset_tEEE10hipError_tPvRmT1_PNSt15iterator_traitsIS13_E10value_typeET2_T3_PNS14_IS19_E10value_typeET4_jRbjT5_S1F_jjP12ihipStream_tbEUljE_ZNSN_ISO_Lb1ESR_SS_SU_SV_SZ_EES10_S11_S12_S13_S17_S18_S19_S1C_S1D_jS1E_jS1F_S1F_jjS1H_bEUljE0_EEES10_S11_S12_S19_S1D_S1F_T6_T7_T9_mT8_S1H_bDpT10_ENKUlT_T0_E_clISt17integral_constantIbLb1EES1V_EEDaS1Q_S1R_EUlS1Q_E_NS1_11comp_targetILNS1_3genE9ELNS1_11target_archE1100ELNS1_3gpuE3ELNS1_3repE0EEENS1_30default_config_static_selectorELNS0_4arch9wavefront6targetE0EEEvS13_.num_agpr, 0
	.set _ZN7rocprim17ROCPRIM_400000_NS6detail17trampoline_kernelINS0_13select_configILj256ELj13ELNS0_17block_load_methodE3ELS4_3ELS4_3ELNS0_20block_scan_algorithmE0ELj4294967295EEENS1_25partition_config_selectorILNS1_17partition_subalgoE4EjNS0_10empty_typeEbEEZZNS1_14partition_implILS8_4ELb0ES6_15HIP_vector_typeIjLj2EENS0_17counting_iteratorIjlEEPS9_SG_NS0_5tupleIJPjSI_NS0_16reverse_iteratorISI_EEEEENSH_IJSG_SG_SG_EEES9_SI_JZNS1_25segmented_radix_sort_implINS0_14default_configELb1EPK12hip_bfloat16PSP_PKlPlN2at6native12_GLOBAL__N_18offset_tEEE10hipError_tPvRmT1_PNSt15iterator_traitsIS13_E10value_typeET2_T3_PNS14_IS19_E10value_typeET4_jRbjT5_S1F_jjP12ihipStream_tbEUljE_ZNSN_ISO_Lb1ESR_SS_SU_SV_SZ_EES10_S11_S12_S13_S17_S18_S19_S1C_S1D_jS1E_jS1F_S1F_jjS1H_bEUljE0_EEES10_S11_S12_S19_S1D_S1F_T6_T7_T9_mT8_S1H_bDpT10_ENKUlT_T0_E_clISt17integral_constantIbLb1EES1V_EEDaS1Q_S1R_EUlS1Q_E_NS1_11comp_targetILNS1_3genE9ELNS1_11target_archE1100ELNS1_3gpuE3ELNS1_3repE0EEENS1_30default_config_static_selectorELNS0_4arch9wavefront6targetE0EEEvS13_.numbered_sgpr, 0
	.set _ZN7rocprim17ROCPRIM_400000_NS6detail17trampoline_kernelINS0_13select_configILj256ELj13ELNS0_17block_load_methodE3ELS4_3ELS4_3ELNS0_20block_scan_algorithmE0ELj4294967295EEENS1_25partition_config_selectorILNS1_17partition_subalgoE4EjNS0_10empty_typeEbEEZZNS1_14partition_implILS8_4ELb0ES6_15HIP_vector_typeIjLj2EENS0_17counting_iteratorIjlEEPS9_SG_NS0_5tupleIJPjSI_NS0_16reverse_iteratorISI_EEEEENSH_IJSG_SG_SG_EEES9_SI_JZNS1_25segmented_radix_sort_implINS0_14default_configELb1EPK12hip_bfloat16PSP_PKlPlN2at6native12_GLOBAL__N_18offset_tEEE10hipError_tPvRmT1_PNSt15iterator_traitsIS13_E10value_typeET2_T3_PNS14_IS19_E10value_typeET4_jRbjT5_S1F_jjP12ihipStream_tbEUljE_ZNSN_ISO_Lb1ESR_SS_SU_SV_SZ_EES10_S11_S12_S13_S17_S18_S19_S1C_S1D_jS1E_jS1F_S1F_jjS1H_bEUljE0_EEES10_S11_S12_S19_S1D_S1F_T6_T7_T9_mT8_S1H_bDpT10_ENKUlT_T0_E_clISt17integral_constantIbLb1EES1V_EEDaS1Q_S1R_EUlS1Q_E_NS1_11comp_targetILNS1_3genE9ELNS1_11target_archE1100ELNS1_3gpuE3ELNS1_3repE0EEENS1_30default_config_static_selectorELNS0_4arch9wavefront6targetE0EEEvS13_.num_named_barrier, 0
	.set _ZN7rocprim17ROCPRIM_400000_NS6detail17trampoline_kernelINS0_13select_configILj256ELj13ELNS0_17block_load_methodE3ELS4_3ELS4_3ELNS0_20block_scan_algorithmE0ELj4294967295EEENS1_25partition_config_selectorILNS1_17partition_subalgoE4EjNS0_10empty_typeEbEEZZNS1_14partition_implILS8_4ELb0ES6_15HIP_vector_typeIjLj2EENS0_17counting_iteratorIjlEEPS9_SG_NS0_5tupleIJPjSI_NS0_16reverse_iteratorISI_EEEEENSH_IJSG_SG_SG_EEES9_SI_JZNS1_25segmented_radix_sort_implINS0_14default_configELb1EPK12hip_bfloat16PSP_PKlPlN2at6native12_GLOBAL__N_18offset_tEEE10hipError_tPvRmT1_PNSt15iterator_traitsIS13_E10value_typeET2_T3_PNS14_IS19_E10value_typeET4_jRbjT5_S1F_jjP12ihipStream_tbEUljE_ZNSN_ISO_Lb1ESR_SS_SU_SV_SZ_EES10_S11_S12_S13_S17_S18_S19_S1C_S1D_jS1E_jS1F_S1F_jjS1H_bEUljE0_EEES10_S11_S12_S19_S1D_S1F_T6_T7_T9_mT8_S1H_bDpT10_ENKUlT_T0_E_clISt17integral_constantIbLb1EES1V_EEDaS1Q_S1R_EUlS1Q_E_NS1_11comp_targetILNS1_3genE9ELNS1_11target_archE1100ELNS1_3gpuE3ELNS1_3repE0EEENS1_30default_config_static_selectorELNS0_4arch9wavefront6targetE0EEEvS13_.private_seg_size, 0
	.set _ZN7rocprim17ROCPRIM_400000_NS6detail17trampoline_kernelINS0_13select_configILj256ELj13ELNS0_17block_load_methodE3ELS4_3ELS4_3ELNS0_20block_scan_algorithmE0ELj4294967295EEENS1_25partition_config_selectorILNS1_17partition_subalgoE4EjNS0_10empty_typeEbEEZZNS1_14partition_implILS8_4ELb0ES6_15HIP_vector_typeIjLj2EENS0_17counting_iteratorIjlEEPS9_SG_NS0_5tupleIJPjSI_NS0_16reverse_iteratorISI_EEEEENSH_IJSG_SG_SG_EEES9_SI_JZNS1_25segmented_radix_sort_implINS0_14default_configELb1EPK12hip_bfloat16PSP_PKlPlN2at6native12_GLOBAL__N_18offset_tEEE10hipError_tPvRmT1_PNSt15iterator_traitsIS13_E10value_typeET2_T3_PNS14_IS19_E10value_typeET4_jRbjT5_S1F_jjP12ihipStream_tbEUljE_ZNSN_ISO_Lb1ESR_SS_SU_SV_SZ_EES10_S11_S12_S13_S17_S18_S19_S1C_S1D_jS1E_jS1F_S1F_jjS1H_bEUljE0_EEES10_S11_S12_S19_S1D_S1F_T6_T7_T9_mT8_S1H_bDpT10_ENKUlT_T0_E_clISt17integral_constantIbLb1EES1V_EEDaS1Q_S1R_EUlS1Q_E_NS1_11comp_targetILNS1_3genE9ELNS1_11target_archE1100ELNS1_3gpuE3ELNS1_3repE0EEENS1_30default_config_static_selectorELNS0_4arch9wavefront6targetE0EEEvS13_.uses_vcc, 0
	.set _ZN7rocprim17ROCPRIM_400000_NS6detail17trampoline_kernelINS0_13select_configILj256ELj13ELNS0_17block_load_methodE3ELS4_3ELS4_3ELNS0_20block_scan_algorithmE0ELj4294967295EEENS1_25partition_config_selectorILNS1_17partition_subalgoE4EjNS0_10empty_typeEbEEZZNS1_14partition_implILS8_4ELb0ES6_15HIP_vector_typeIjLj2EENS0_17counting_iteratorIjlEEPS9_SG_NS0_5tupleIJPjSI_NS0_16reverse_iteratorISI_EEEEENSH_IJSG_SG_SG_EEES9_SI_JZNS1_25segmented_radix_sort_implINS0_14default_configELb1EPK12hip_bfloat16PSP_PKlPlN2at6native12_GLOBAL__N_18offset_tEEE10hipError_tPvRmT1_PNSt15iterator_traitsIS13_E10value_typeET2_T3_PNS14_IS19_E10value_typeET4_jRbjT5_S1F_jjP12ihipStream_tbEUljE_ZNSN_ISO_Lb1ESR_SS_SU_SV_SZ_EES10_S11_S12_S13_S17_S18_S19_S1C_S1D_jS1E_jS1F_S1F_jjS1H_bEUljE0_EEES10_S11_S12_S19_S1D_S1F_T6_T7_T9_mT8_S1H_bDpT10_ENKUlT_T0_E_clISt17integral_constantIbLb1EES1V_EEDaS1Q_S1R_EUlS1Q_E_NS1_11comp_targetILNS1_3genE9ELNS1_11target_archE1100ELNS1_3gpuE3ELNS1_3repE0EEENS1_30default_config_static_selectorELNS0_4arch9wavefront6targetE0EEEvS13_.uses_flat_scratch, 0
	.set _ZN7rocprim17ROCPRIM_400000_NS6detail17trampoline_kernelINS0_13select_configILj256ELj13ELNS0_17block_load_methodE3ELS4_3ELS4_3ELNS0_20block_scan_algorithmE0ELj4294967295EEENS1_25partition_config_selectorILNS1_17partition_subalgoE4EjNS0_10empty_typeEbEEZZNS1_14partition_implILS8_4ELb0ES6_15HIP_vector_typeIjLj2EENS0_17counting_iteratorIjlEEPS9_SG_NS0_5tupleIJPjSI_NS0_16reverse_iteratorISI_EEEEENSH_IJSG_SG_SG_EEES9_SI_JZNS1_25segmented_radix_sort_implINS0_14default_configELb1EPK12hip_bfloat16PSP_PKlPlN2at6native12_GLOBAL__N_18offset_tEEE10hipError_tPvRmT1_PNSt15iterator_traitsIS13_E10value_typeET2_T3_PNS14_IS19_E10value_typeET4_jRbjT5_S1F_jjP12ihipStream_tbEUljE_ZNSN_ISO_Lb1ESR_SS_SU_SV_SZ_EES10_S11_S12_S13_S17_S18_S19_S1C_S1D_jS1E_jS1F_S1F_jjS1H_bEUljE0_EEES10_S11_S12_S19_S1D_S1F_T6_T7_T9_mT8_S1H_bDpT10_ENKUlT_T0_E_clISt17integral_constantIbLb1EES1V_EEDaS1Q_S1R_EUlS1Q_E_NS1_11comp_targetILNS1_3genE9ELNS1_11target_archE1100ELNS1_3gpuE3ELNS1_3repE0EEENS1_30default_config_static_selectorELNS0_4arch9wavefront6targetE0EEEvS13_.has_dyn_sized_stack, 0
	.set _ZN7rocprim17ROCPRIM_400000_NS6detail17trampoline_kernelINS0_13select_configILj256ELj13ELNS0_17block_load_methodE3ELS4_3ELS4_3ELNS0_20block_scan_algorithmE0ELj4294967295EEENS1_25partition_config_selectorILNS1_17partition_subalgoE4EjNS0_10empty_typeEbEEZZNS1_14partition_implILS8_4ELb0ES6_15HIP_vector_typeIjLj2EENS0_17counting_iteratorIjlEEPS9_SG_NS0_5tupleIJPjSI_NS0_16reverse_iteratorISI_EEEEENSH_IJSG_SG_SG_EEES9_SI_JZNS1_25segmented_radix_sort_implINS0_14default_configELb1EPK12hip_bfloat16PSP_PKlPlN2at6native12_GLOBAL__N_18offset_tEEE10hipError_tPvRmT1_PNSt15iterator_traitsIS13_E10value_typeET2_T3_PNS14_IS19_E10value_typeET4_jRbjT5_S1F_jjP12ihipStream_tbEUljE_ZNSN_ISO_Lb1ESR_SS_SU_SV_SZ_EES10_S11_S12_S13_S17_S18_S19_S1C_S1D_jS1E_jS1F_S1F_jjS1H_bEUljE0_EEES10_S11_S12_S19_S1D_S1F_T6_T7_T9_mT8_S1H_bDpT10_ENKUlT_T0_E_clISt17integral_constantIbLb1EES1V_EEDaS1Q_S1R_EUlS1Q_E_NS1_11comp_targetILNS1_3genE9ELNS1_11target_archE1100ELNS1_3gpuE3ELNS1_3repE0EEENS1_30default_config_static_selectorELNS0_4arch9wavefront6targetE0EEEvS13_.has_recursion, 0
	.set _ZN7rocprim17ROCPRIM_400000_NS6detail17trampoline_kernelINS0_13select_configILj256ELj13ELNS0_17block_load_methodE3ELS4_3ELS4_3ELNS0_20block_scan_algorithmE0ELj4294967295EEENS1_25partition_config_selectorILNS1_17partition_subalgoE4EjNS0_10empty_typeEbEEZZNS1_14partition_implILS8_4ELb0ES6_15HIP_vector_typeIjLj2EENS0_17counting_iteratorIjlEEPS9_SG_NS0_5tupleIJPjSI_NS0_16reverse_iteratorISI_EEEEENSH_IJSG_SG_SG_EEES9_SI_JZNS1_25segmented_radix_sort_implINS0_14default_configELb1EPK12hip_bfloat16PSP_PKlPlN2at6native12_GLOBAL__N_18offset_tEEE10hipError_tPvRmT1_PNSt15iterator_traitsIS13_E10value_typeET2_T3_PNS14_IS19_E10value_typeET4_jRbjT5_S1F_jjP12ihipStream_tbEUljE_ZNSN_ISO_Lb1ESR_SS_SU_SV_SZ_EES10_S11_S12_S13_S17_S18_S19_S1C_S1D_jS1E_jS1F_S1F_jjS1H_bEUljE0_EEES10_S11_S12_S19_S1D_S1F_T6_T7_T9_mT8_S1H_bDpT10_ENKUlT_T0_E_clISt17integral_constantIbLb1EES1V_EEDaS1Q_S1R_EUlS1Q_E_NS1_11comp_targetILNS1_3genE9ELNS1_11target_archE1100ELNS1_3gpuE3ELNS1_3repE0EEENS1_30default_config_static_selectorELNS0_4arch9wavefront6targetE0EEEvS13_.has_indirect_call, 0
	.section	.AMDGPU.csdata,"",@progbits
; Kernel info:
; codeLenInByte = 0
; TotalNumSgprs: 0
; NumVgprs: 0
; ScratchSize: 0
; MemoryBound: 0
; FloatMode: 240
; IeeeMode: 1
; LDSByteSize: 0 bytes/workgroup (compile time only)
; SGPRBlocks: 0
; VGPRBlocks: 0
; NumSGPRsForWavesPerEU: 1
; NumVGPRsForWavesPerEU: 1
; NamedBarCnt: 0
; Occupancy: 16
; WaveLimiterHint : 0
; COMPUTE_PGM_RSRC2:SCRATCH_EN: 0
; COMPUTE_PGM_RSRC2:USER_SGPR: 2
; COMPUTE_PGM_RSRC2:TRAP_HANDLER: 0
; COMPUTE_PGM_RSRC2:TGID_X_EN: 1
; COMPUTE_PGM_RSRC2:TGID_Y_EN: 0
; COMPUTE_PGM_RSRC2:TGID_Z_EN: 0
; COMPUTE_PGM_RSRC2:TIDIG_COMP_CNT: 0
	.section	.text._ZN7rocprim17ROCPRIM_400000_NS6detail17trampoline_kernelINS0_13select_configILj256ELj13ELNS0_17block_load_methodE3ELS4_3ELS4_3ELNS0_20block_scan_algorithmE0ELj4294967295EEENS1_25partition_config_selectorILNS1_17partition_subalgoE4EjNS0_10empty_typeEbEEZZNS1_14partition_implILS8_4ELb0ES6_15HIP_vector_typeIjLj2EENS0_17counting_iteratorIjlEEPS9_SG_NS0_5tupleIJPjSI_NS0_16reverse_iteratorISI_EEEEENSH_IJSG_SG_SG_EEES9_SI_JZNS1_25segmented_radix_sort_implINS0_14default_configELb1EPK12hip_bfloat16PSP_PKlPlN2at6native12_GLOBAL__N_18offset_tEEE10hipError_tPvRmT1_PNSt15iterator_traitsIS13_E10value_typeET2_T3_PNS14_IS19_E10value_typeET4_jRbjT5_S1F_jjP12ihipStream_tbEUljE_ZNSN_ISO_Lb1ESR_SS_SU_SV_SZ_EES10_S11_S12_S13_S17_S18_S19_S1C_S1D_jS1E_jS1F_S1F_jjS1H_bEUljE0_EEES10_S11_S12_S19_S1D_S1F_T6_T7_T9_mT8_S1H_bDpT10_ENKUlT_T0_E_clISt17integral_constantIbLb1EES1V_EEDaS1Q_S1R_EUlS1Q_E_NS1_11comp_targetILNS1_3genE8ELNS1_11target_archE1030ELNS1_3gpuE2ELNS1_3repE0EEENS1_30default_config_static_selectorELNS0_4arch9wavefront6targetE0EEEvS13_,"axG",@progbits,_ZN7rocprim17ROCPRIM_400000_NS6detail17trampoline_kernelINS0_13select_configILj256ELj13ELNS0_17block_load_methodE3ELS4_3ELS4_3ELNS0_20block_scan_algorithmE0ELj4294967295EEENS1_25partition_config_selectorILNS1_17partition_subalgoE4EjNS0_10empty_typeEbEEZZNS1_14partition_implILS8_4ELb0ES6_15HIP_vector_typeIjLj2EENS0_17counting_iteratorIjlEEPS9_SG_NS0_5tupleIJPjSI_NS0_16reverse_iteratorISI_EEEEENSH_IJSG_SG_SG_EEES9_SI_JZNS1_25segmented_radix_sort_implINS0_14default_configELb1EPK12hip_bfloat16PSP_PKlPlN2at6native12_GLOBAL__N_18offset_tEEE10hipError_tPvRmT1_PNSt15iterator_traitsIS13_E10value_typeET2_T3_PNS14_IS19_E10value_typeET4_jRbjT5_S1F_jjP12ihipStream_tbEUljE_ZNSN_ISO_Lb1ESR_SS_SU_SV_SZ_EES10_S11_S12_S13_S17_S18_S19_S1C_S1D_jS1E_jS1F_S1F_jjS1H_bEUljE0_EEES10_S11_S12_S19_S1D_S1F_T6_T7_T9_mT8_S1H_bDpT10_ENKUlT_T0_E_clISt17integral_constantIbLb1EES1V_EEDaS1Q_S1R_EUlS1Q_E_NS1_11comp_targetILNS1_3genE8ELNS1_11target_archE1030ELNS1_3gpuE2ELNS1_3repE0EEENS1_30default_config_static_selectorELNS0_4arch9wavefront6targetE0EEEvS13_,comdat
	.globl	_ZN7rocprim17ROCPRIM_400000_NS6detail17trampoline_kernelINS0_13select_configILj256ELj13ELNS0_17block_load_methodE3ELS4_3ELS4_3ELNS0_20block_scan_algorithmE0ELj4294967295EEENS1_25partition_config_selectorILNS1_17partition_subalgoE4EjNS0_10empty_typeEbEEZZNS1_14partition_implILS8_4ELb0ES6_15HIP_vector_typeIjLj2EENS0_17counting_iteratorIjlEEPS9_SG_NS0_5tupleIJPjSI_NS0_16reverse_iteratorISI_EEEEENSH_IJSG_SG_SG_EEES9_SI_JZNS1_25segmented_radix_sort_implINS0_14default_configELb1EPK12hip_bfloat16PSP_PKlPlN2at6native12_GLOBAL__N_18offset_tEEE10hipError_tPvRmT1_PNSt15iterator_traitsIS13_E10value_typeET2_T3_PNS14_IS19_E10value_typeET4_jRbjT5_S1F_jjP12ihipStream_tbEUljE_ZNSN_ISO_Lb1ESR_SS_SU_SV_SZ_EES10_S11_S12_S13_S17_S18_S19_S1C_S1D_jS1E_jS1F_S1F_jjS1H_bEUljE0_EEES10_S11_S12_S19_S1D_S1F_T6_T7_T9_mT8_S1H_bDpT10_ENKUlT_T0_E_clISt17integral_constantIbLb1EES1V_EEDaS1Q_S1R_EUlS1Q_E_NS1_11comp_targetILNS1_3genE8ELNS1_11target_archE1030ELNS1_3gpuE2ELNS1_3repE0EEENS1_30default_config_static_selectorELNS0_4arch9wavefront6targetE0EEEvS13_ ; -- Begin function _ZN7rocprim17ROCPRIM_400000_NS6detail17trampoline_kernelINS0_13select_configILj256ELj13ELNS0_17block_load_methodE3ELS4_3ELS4_3ELNS0_20block_scan_algorithmE0ELj4294967295EEENS1_25partition_config_selectorILNS1_17partition_subalgoE4EjNS0_10empty_typeEbEEZZNS1_14partition_implILS8_4ELb0ES6_15HIP_vector_typeIjLj2EENS0_17counting_iteratorIjlEEPS9_SG_NS0_5tupleIJPjSI_NS0_16reverse_iteratorISI_EEEEENSH_IJSG_SG_SG_EEES9_SI_JZNS1_25segmented_radix_sort_implINS0_14default_configELb1EPK12hip_bfloat16PSP_PKlPlN2at6native12_GLOBAL__N_18offset_tEEE10hipError_tPvRmT1_PNSt15iterator_traitsIS13_E10value_typeET2_T3_PNS14_IS19_E10value_typeET4_jRbjT5_S1F_jjP12ihipStream_tbEUljE_ZNSN_ISO_Lb1ESR_SS_SU_SV_SZ_EES10_S11_S12_S13_S17_S18_S19_S1C_S1D_jS1E_jS1F_S1F_jjS1H_bEUljE0_EEES10_S11_S12_S19_S1D_S1F_T6_T7_T9_mT8_S1H_bDpT10_ENKUlT_T0_E_clISt17integral_constantIbLb1EES1V_EEDaS1Q_S1R_EUlS1Q_E_NS1_11comp_targetILNS1_3genE8ELNS1_11target_archE1030ELNS1_3gpuE2ELNS1_3repE0EEENS1_30default_config_static_selectorELNS0_4arch9wavefront6targetE0EEEvS13_
	.p2align	8
	.type	_ZN7rocprim17ROCPRIM_400000_NS6detail17trampoline_kernelINS0_13select_configILj256ELj13ELNS0_17block_load_methodE3ELS4_3ELS4_3ELNS0_20block_scan_algorithmE0ELj4294967295EEENS1_25partition_config_selectorILNS1_17partition_subalgoE4EjNS0_10empty_typeEbEEZZNS1_14partition_implILS8_4ELb0ES6_15HIP_vector_typeIjLj2EENS0_17counting_iteratorIjlEEPS9_SG_NS0_5tupleIJPjSI_NS0_16reverse_iteratorISI_EEEEENSH_IJSG_SG_SG_EEES9_SI_JZNS1_25segmented_radix_sort_implINS0_14default_configELb1EPK12hip_bfloat16PSP_PKlPlN2at6native12_GLOBAL__N_18offset_tEEE10hipError_tPvRmT1_PNSt15iterator_traitsIS13_E10value_typeET2_T3_PNS14_IS19_E10value_typeET4_jRbjT5_S1F_jjP12ihipStream_tbEUljE_ZNSN_ISO_Lb1ESR_SS_SU_SV_SZ_EES10_S11_S12_S13_S17_S18_S19_S1C_S1D_jS1E_jS1F_S1F_jjS1H_bEUljE0_EEES10_S11_S12_S19_S1D_S1F_T6_T7_T9_mT8_S1H_bDpT10_ENKUlT_T0_E_clISt17integral_constantIbLb1EES1V_EEDaS1Q_S1R_EUlS1Q_E_NS1_11comp_targetILNS1_3genE8ELNS1_11target_archE1030ELNS1_3gpuE2ELNS1_3repE0EEENS1_30default_config_static_selectorELNS0_4arch9wavefront6targetE0EEEvS13_,@function
_ZN7rocprim17ROCPRIM_400000_NS6detail17trampoline_kernelINS0_13select_configILj256ELj13ELNS0_17block_load_methodE3ELS4_3ELS4_3ELNS0_20block_scan_algorithmE0ELj4294967295EEENS1_25partition_config_selectorILNS1_17partition_subalgoE4EjNS0_10empty_typeEbEEZZNS1_14partition_implILS8_4ELb0ES6_15HIP_vector_typeIjLj2EENS0_17counting_iteratorIjlEEPS9_SG_NS0_5tupleIJPjSI_NS0_16reverse_iteratorISI_EEEEENSH_IJSG_SG_SG_EEES9_SI_JZNS1_25segmented_radix_sort_implINS0_14default_configELb1EPK12hip_bfloat16PSP_PKlPlN2at6native12_GLOBAL__N_18offset_tEEE10hipError_tPvRmT1_PNSt15iterator_traitsIS13_E10value_typeET2_T3_PNS14_IS19_E10value_typeET4_jRbjT5_S1F_jjP12ihipStream_tbEUljE_ZNSN_ISO_Lb1ESR_SS_SU_SV_SZ_EES10_S11_S12_S13_S17_S18_S19_S1C_S1D_jS1E_jS1F_S1F_jjS1H_bEUljE0_EEES10_S11_S12_S19_S1D_S1F_T6_T7_T9_mT8_S1H_bDpT10_ENKUlT_T0_E_clISt17integral_constantIbLb1EES1V_EEDaS1Q_S1R_EUlS1Q_E_NS1_11comp_targetILNS1_3genE8ELNS1_11target_archE1030ELNS1_3gpuE2ELNS1_3repE0EEENS1_30default_config_static_selectorELNS0_4arch9wavefront6targetE0EEEvS13_: ; @_ZN7rocprim17ROCPRIM_400000_NS6detail17trampoline_kernelINS0_13select_configILj256ELj13ELNS0_17block_load_methodE3ELS4_3ELS4_3ELNS0_20block_scan_algorithmE0ELj4294967295EEENS1_25partition_config_selectorILNS1_17partition_subalgoE4EjNS0_10empty_typeEbEEZZNS1_14partition_implILS8_4ELb0ES6_15HIP_vector_typeIjLj2EENS0_17counting_iteratorIjlEEPS9_SG_NS0_5tupleIJPjSI_NS0_16reverse_iteratorISI_EEEEENSH_IJSG_SG_SG_EEES9_SI_JZNS1_25segmented_radix_sort_implINS0_14default_configELb1EPK12hip_bfloat16PSP_PKlPlN2at6native12_GLOBAL__N_18offset_tEEE10hipError_tPvRmT1_PNSt15iterator_traitsIS13_E10value_typeET2_T3_PNS14_IS19_E10value_typeET4_jRbjT5_S1F_jjP12ihipStream_tbEUljE_ZNSN_ISO_Lb1ESR_SS_SU_SV_SZ_EES10_S11_S12_S13_S17_S18_S19_S1C_S1D_jS1E_jS1F_S1F_jjS1H_bEUljE0_EEES10_S11_S12_S19_S1D_S1F_T6_T7_T9_mT8_S1H_bDpT10_ENKUlT_T0_E_clISt17integral_constantIbLb1EES1V_EEDaS1Q_S1R_EUlS1Q_E_NS1_11comp_targetILNS1_3genE8ELNS1_11target_archE1030ELNS1_3gpuE2ELNS1_3repE0EEENS1_30default_config_static_selectorELNS0_4arch9wavefront6targetE0EEEvS13_
; %bb.0:
	.section	.rodata,"a",@progbits
	.p2align	6, 0x0
	.amdhsa_kernel _ZN7rocprim17ROCPRIM_400000_NS6detail17trampoline_kernelINS0_13select_configILj256ELj13ELNS0_17block_load_methodE3ELS4_3ELS4_3ELNS0_20block_scan_algorithmE0ELj4294967295EEENS1_25partition_config_selectorILNS1_17partition_subalgoE4EjNS0_10empty_typeEbEEZZNS1_14partition_implILS8_4ELb0ES6_15HIP_vector_typeIjLj2EENS0_17counting_iteratorIjlEEPS9_SG_NS0_5tupleIJPjSI_NS0_16reverse_iteratorISI_EEEEENSH_IJSG_SG_SG_EEES9_SI_JZNS1_25segmented_radix_sort_implINS0_14default_configELb1EPK12hip_bfloat16PSP_PKlPlN2at6native12_GLOBAL__N_18offset_tEEE10hipError_tPvRmT1_PNSt15iterator_traitsIS13_E10value_typeET2_T3_PNS14_IS19_E10value_typeET4_jRbjT5_S1F_jjP12ihipStream_tbEUljE_ZNSN_ISO_Lb1ESR_SS_SU_SV_SZ_EES10_S11_S12_S13_S17_S18_S19_S1C_S1D_jS1E_jS1F_S1F_jjS1H_bEUljE0_EEES10_S11_S12_S19_S1D_S1F_T6_T7_T9_mT8_S1H_bDpT10_ENKUlT_T0_E_clISt17integral_constantIbLb1EES1V_EEDaS1Q_S1R_EUlS1Q_E_NS1_11comp_targetILNS1_3genE8ELNS1_11target_archE1030ELNS1_3gpuE2ELNS1_3repE0EEENS1_30default_config_static_selectorELNS0_4arch9wavefront6targetE0EEEvS13_
		.amdhsa_group_segment_fixed_size 0
		.amdhsa_private_segment_fixed_size 0
		.amdhsa_kernarg_size 184
		.amdhsa_user_sgpr_count 2
		.amdhsa_user_sgpr_dispatch_ptr 0
		.amdhsa_user_sgpr_queue_ptr 0
		.amdhsa_user_sgpr_kernarg_segment_ptr 1
		.amdhsa_user_sgpr_dispatch_id 0
		.amdhsa_user_sgpr_kernarg_preload_length 0
		.amdhsa_user_sgpr_kernarg_preload_offset 0
		.amdhsa_user_sgpr_private_segment_size 0
		.amdhsa_wavefront_size32 1
		.amdhsa_uses_dynamic_stack 0
		.amdhsa_enable_private_segment 0
		.amdhsa_system_sgpr_workgroup_id_x 1
		.amdhsa_system_sgpr_workgroup_id_y 0
		.amdhsa_system_sgpr_workgroup_id_z 0
		.amdhsa_system_sgpr_workgroup_info 0
		.amdhsa_system_vgpr_workitem_id 0
		.amdhsa_next_free_vgpr 1
		.amdhsa_next_free_sgpr 1
		.amdhsa_named_barrier_count 0
		.amdhsa_reserve_vcc 0
		.amdhsa_float_round_mode_32 0
		.amdhsa_float_round_mode_16_64 0
		.amdhsa_float_denorm_mode_32 3
		.amdhsa_float_denorm_mode_16_64 3
		.amdhsa_fp16_overflow 0
		.amdhsa_memory_ordered 1
		.amdhsa_forward_progress 1
		.amdhsa_inst_pref_size 0
		.amdhsa_round_robin_scheduling 0
		.amdhsa_exception_fp_ieee_invalid_op 0
		.amdhsa_exception_fp_denorm_src 0
		.amdhsa_exception_fp_ieee_div_zero 0
		.amdhsa_exception_fp_ieee_overflow 0
		.amdhsa_exception_fp_ieee_underflow 0
		.amdhsa_exception_fp_ieee_inexact 0
		.amdhsa_exception_int_div_zero 0
	.end_amdhsa_kernel
	.section	.text._ZN7rocprim17ROCPRIM_400000_NS6detail17trampoline_kernelINS0_13select_configILj256ELj13ELNS0_17block_load_methodE3ELS4_3ELS4_3ELNS0_20block_scan_algorithmE0ELj4294967295EEENS1_25partition_config_selectorILNS1_17partition_subalgoE4EjNS0_10empty_typeEbEEZZNS1_14partition_implILS8_4ELb0ES6_15HIP_vector_typeIjLj2EENS0_17counting_iteratorIjlEEPS9_SG_NS0_5tupleIJPjSI_NS0_16reverse_iteratorISI_EEEEENSH_IJSG_SG_SG_EEES9_SI_JZNS1_25segmented_radix_sort_implINS0_14default_configELb1EPK12hip_bfloat16PSP_PKlPlN2at6native12_GLOBAL__N_18offset_tEEE10hipError_tPvRmT1_PNSt15iterator_traitsIS13_E10value_typeET2_T3_PNS14_IS19_E10value_typeET4_jRbjT5_S1F_jjP12ihipStream_tbEUljE_ZNSN_ISO_Lb1ESR_SS_SU_SV_SZ_EES10_S11_S12_S13_S17_S18_S19_S1C_S1D_jS1E_jS1F_S1F_jjS1H_bEUljE0_EEES10_S11_S12_S19_S1D_S1F_T6_T7_T9_mT8_S1H_bDpT10_ENKUlT_T0_E_clISt17integral_constantIbLb1EES1V_EEDaS1Q_S1R_EUlS1Q_E_NS1_11comp_targetILNS1_3genE8ELNS1_11target_archE1030ELNS1_3gpuE2ELNS1_3repE0EEENS1_30default_config_static_selectorELNS0_4arch9wavefront6targetE0EEEvS13_,"axG",@progbits,_ZN7rocprim17ROCPRIM_400000_NS6detail17trampoline_kernelINS0_13select_configILj256ELj13ELNS0_17block_load_methodE3ELS4_3ELS4_3ELNS0_20block_scan_algorithmE0ELj4294967295EEENS1_25partition_config_selectorILNS1_17partition_subalgoE4EjNS0_10empty_typeEbEEZZNS1_14partition_implILS8_4ELb0ES6_15HIP_vector_typeIjLj2EENS0_17counting_iteratorIjlEEPS9_SG_NS0_5tupleIJPjSI_NS0_16reverse_iteratorISI_EEEEENSH_IJSG_SG_SG_EEES9_SI_JZNS1_25segmented_radix_sort_implINS0_14default_configELb1EPK12hip_bfloat16PSP_PKlPlN2at6native12_GLOBAL__N_18offset_tEEE10hipError_tPvRmT1_PNSt15iterator_traitsIS13_E10value_typeET2_T3_PNS14_IS19_E10value_typeET4_jRbjT5_S1F_jjP12ihipStream_tbEUljE_ZNSN_ISO_Lb1ESR_SS_SU_SV_SZ_EES10_S11_S12_S13_S17_S18_S19_S1C_S1D_jS1E_jS1F_S1F_jjS1H_bEUljE0_EEES10_S11_S12_S19_S1D_S1F_T6_T7_T9_mT8_S1H_bDpT10_ENKUlT_T0_E_clISt17integral_constantIbLb1EES1V_EEDaS1Q_S1R_EUlS1Q_E_NS1_11comp_targetILNS1_3genE8ELNS1_11target_archE1030ELNS1_3gpuE2ELNS1_3repE0EEENS1_30default_config_static_selectorELNS0_4arch9wavefront6targetE0EEEvS13_,comdat
.Lfunc_end1887:
	.size	_ZN7rocprim17ROCPRIM_400000_NS6detail17trampoline_kernelINS0_13select_configILj256ELj13ELNS0_17block_load_methodE3ELS4_3ELS4_3ELNS0_20block_scan_algorithmE0ELj4294967295EEENS1_25partition_config_selectorILNS1_17partition_subalgoE4EjNS0_10empty_typeEbEEZZNS1_14partition_implILS8_4ELb0ES6_15HIP_vector_typeIjLj2EENS0_17counting_iteratorIjlEEPS9_SG_NS0_5tupleIJPjSI_NS0_16reverse_iteratorISI_EEEEENSH_IJSG_SG_SG_EEES9_SI_JZNS1_25segmented_radix_sort_implINS0_14default_configELb1EPK12hip_bfloat16PSP_PKlPlN2at6native12_GLOBAL__N_18offset_tEEE10hipError_tPvRmT1_PNSt15iterator_traitsIS13_E10value_typeET2_T3_PNS14_IS19_E10value_typeET4_jRbjT5_S1F_jjP12ihipStream_tbEUljE_ZNSN_ISO_Lb1ESR_SS_SU_SV_SZ_EES10_S11_S12_S13_S17_S18_S19_S1C_S1D_jS1E_jS1F_S1F_jjS1H_bEUljE0_EEES10_S11_S12_S19_S1D_S1F_T6_T7_T9_mT8_S1H_bDpT10_ENKUlT_T0_E_clISt17integral_constantIbLb1EES1V_EEDaS1Q_S1R_EUlS1Q_E_NS1_11comp_targetILNS1_3genE8ELNS1_11target_archE1030ELNS1_3gpuE2ELNS1_3repE0EEENS1_30default_config_static_selectorELNS0_4arch9wavefront6targetE0EEEvS13_, .Lfunc_end1887-_ZN7rocprim17ROCPRIM_400000_NS6detail17trampoline_kernelINS0_13select_configILj256ELj13ELNS0_17block_load_methodE3ELS4_3ELS4_3ELNS0_20block_scan_algorithmE0ELj4294967295EEENS1_25partition_config_selectorILNS1_17partition_subalgoE4EjNS0_10empty_typeEbEEZZNS1_14partition_implILS8_4ELb0ES6_15HIP_vector_typeIjLj2EENS0_17counting_iteratorIjlEEPS9_SG_NS0_5tupleIJPjSI_NS0_16reverse_iteratorISI_EEEEENSH_IJSG_SG_SG_EEES9_SI_JZNS1_25segmented_radix_sort_implINS0_14default_configELb1EPK12hip_bfloat16PSP_PKlPlN2at6native12_GLOBAL__N_18offset_tEEE10hipError_tPvRmT1_PNSt15iterator_traitsIS13_E10value_typeET2_T3_PNS14_IS19_E10value_typeET4_jRbjT5_S1F_jjP12ihipStream_tbEUljE_ZNSN_ISO_Lb1ESR_SS_SU_SV_SZ_EES10_S11_S12_S13_S17_S18_S19_S1C_S1D_jS1E_jS1F_S1F_jjS1H_bEUljE0_EEES10_S11_S12_S19_S1D_S1F_T6_T7_T9_mT8_S1H_bDpT10_ENKUlT_T0_E_clISt17integral_constantIbLb1EES1V_EEDaS1Q_S1R_EUlS1Q_E_NS1_11comp_targetILNS1_3genE8ELNS1_11target_archE1030ELNS1_3gpuE2ELNS1_3repE0EEENS1_30default_config_static_selectorELNS0_4arch9wavefront6targetE0EEEvS13_
                                        ; -- End function
	.set _ZN7rocprim17ROCPRIM_400000_NS6detail17trampoline_kernelINS0_13select_configILj256ELj13ELNS0_17block_load_methodE3ELS4_3ELS4_3ELNS0_20block_scan_algorithmE0ELj4294967295EEENS1_25partition_config_selectorILNS1_17partition_subalgoE4EjNS0_10empty_typeEbEEZZNS1_14partition_implILS8_4ELb0ES6_15HIP_vector_typeIjLj2EENS0_17counting_iteratorIjlEEPS9_SG_NS0_5tupleIJPjSI_NS0_16reverse_iteratorISI_EEEEENSH_IJSG_SG_SG_EEES9_SI_JZNS1_25segmented_radix_sort_implINS0_14default_configELb1EPK12hip_bfloat16PSP_PKlPlN2at6native12_GLOBAL__N_18offset_tEEE10hipError_tPvRmT1_PNSt15iterator_traitsIS13_E10value_typeET2_T3_PNS14_IS19_E10value_typeET4_jRbjT5_S1F_jjP12ihipStream_tbEUljE_ZNSN_ISO_Lb1ESR_SS_SU_SV_SZ_EES10_S11_S12_S13_S17_S18_S19_S1C_S1D_jS1E_jS1F_S1F_jjS1H_bEUljE0_EEES10_S11_S12_S19_S1D_S1F_T6_T7_T9_mT8_S1H_bDpT10_ENKUlT_T0_E_clISt17integral_constantIbLb1EES1V_EEDaS1Q_S1R_EUlS1Q_E_NS1_11comp_targetILNS1_3genE8ELNS1_11target_archE1030ELNS1_3gpuE2ELNS1_3repE0EEENS1_30default_config_static_selectorELNS0_4arch9wavefront6targetE0EEEvS13_.num_vgpr, 0
	.set _ZN7rocprim17ROCPRIM_400000_NS6detail17trampoline_kernelINS0_13select_configILj256ELj13ELNS0_17block_load_methodE3ELS4_3ELS4_3ELNS0_20block_scan_algorithmE0ELj4294967295EEENS1_25partition_config_selectorILNS1_17partition_subalgoE4EjNS0_10empty_typeEbEEZZNS1_14partition_implILS8_4ELb0ES6_15HIP_vector_typeIjLj2EENS0_17counting_iteratorIjlEEPS9_SG_NS0_5tupleIJPjSI_NS0_16reverse_iteratorISI_EEEEENSH_IJSG_SG_SG_EEES9_SI_JZNS1_25segmented_radix_sort_implINS0_14default_configELb1EPK12hip_bfloat16PSP_PKlPlN2at6native12_GLOBAL__N_18offset_tEEE10hipError_tPvRmT1_PNSt15iterator_traitsIS13_E10value_typeET2_T3_PNS14_IS19_E10value_typeET4_jRbjT5_S1F_jjP12ihipStream_tbEUljE_ZNSN_ISO_Lb1ESR_SS_SU_SV_SZ_EES10_S11_S12_S13_S17_S18_S19_S1C_S1D_jS1E_jS1F_S1F_jjS1H_bEUljE0_EEES10_S11_S12_S19_S1D_S1F_T6_T7_T9_mT8_S1H_bDpT10_ENKUlT_T0_E_clISt17integral_constantIbLb1EES1V_EEDaS1Q_S1R_EUlS1Q_E_NS1_11comp_targetILNS1_3genE8ELNS1_11target_archE1030ELNS1_3gpuE2ELNS1_3repE0EEENS1_30default_config_static_selectorELNS0_4arch9wavefront6targetE0EEEvS13_.num_agpr, 0
	.set _ZN7rocprim17ROCPRIM_400000_NS6detail17trampoline_kernelINS0_13select_configILj256ELj13ELNS0_17block_load_methodE3ELS4_3ELS4_3ELNS0_20block_scan_algorithmE0ELj4294967295EEENS1_25partition_config_selectorILNS1_17partition_subalgoE4EjNS0_10empty_typeEbEEZZNS1_14partition_implILS8_4ELb0ES6_15HIP_vector_typeIjLj2EENS0_17counting_iteratorIjlEEPS9_SG_NS0_5tupleIJPjSI_NS0_16reverse_iteratorISI_EEEEENSH_IJSG_SG_SG_EEES9_SI_JZNS1_25segmented_radix_sort_implINS0_14default_configELb1EPK12hip_bfloat16PSP_PKlPlN2at6native12_GLOBAL__N_18offset_tEEE10hipError_tPvRmT1_PNSt15iterator_traitsIS13_E10value_typeET2_T3_PNS14_IS19_E10value_typeET4_jRbjT5_S1F_jjP12ihipStream_tbEUljE_ZNSN_ISO_Lb1ESR_SS_SU_SV_SZ_EES10_S11_S12_S13_S17_S18_S19_S1C_S1D_jS1E_jS1F_S1F_jjS1H_bEUljE0_EEES10_S11_S12_S19_S1D_S1F_T6_T7_T9_mT8_S1H_bDpT10_ENKUlT_T0_E_clISt17integral_constantIbLb1EES1V_EEDaS1Q_S1R_EUlS1Q_E_NS1_11comp_targetILNS1_3genE8ELNS1_11target_archE1030ELNS1_3gpuE2ELNS1_3repE0EEENS1_30default_config_static_selectorELNS0_4arch9wavefront6targetE0EEEvS13_.numbered_sgpr, 0
	.set _ZN7rocprim17ROCPRIM_400000_NS6detail17trampoline_kernelINS0_13select_configILj256ELj13ELNS0_17block_load_methodE3ELS4_3ELS4_3ELNS0_20block_scan_algorithmE0ELj4294967295EEENS1_25partition_config_selectorILNS1_17partition_subalgoE4EjNS0_10empty_typeEbEEZZNS1_14partition_implILS8_4ELb0ES6_15HIP_vector_typeIjLj2EENS0_17counting_iteratorIjlEEPS9_SG_NS0_5tupleIJPjSI_NS0_16reverse_iteratorISI_EEEEENSH_IJSG_SG_SG_EEES9_SI_JZNS1_25segmented_radix_sort_implINS0_14default_configELb1EPK12hip_bfloat16PSP_PKlPlN2at6native12_GLOBAL__N_18offset_tEEE10hipError_tPvRmT1_PNSt15iterator_traitsIS13_E10value_typeET2_T3_PNS14_IS19_E10value_typeET4_jRbjT5_S1F_jjP12ihipStream_tbEUljE_ZNSN_ISO_Lb1ESR_SS_SU_SV_SZ_EES10_S11_S12_S13_S17_S18_S19_S1C_S1D_jS1E_jS1F_S1F_jjS1H_bEUljE0_EEES10_S11_S12_S19_S1D_S1F_T6_T7_T9_mT8_S1H_bDpT10_ENKUlT_T0_E_clISt17integral_constantIbLb1EES1V_EEDaS1Q_S1R_EUlS1Q_E_NS1_11comp_targetILNS1_3genE8ELNS1_11target_archE1030ELNS1_3gpuE2ELNS1_3repE0EEENS1_30default_config_static_selectorELNS0_4arch9wavefront6targetE0EEEvS13_.num_named_barrier, 0
	.set _ZN7rocprim17ROCPRIM_400000_NS6detail17trampoline_kernelINS0_13select_configILj256ELj13ELNS0_17block_load_methodE3ELS4_3ELS4_3ELNS0_20block_scan_algorithmE0ELj4294967295EEENS1_25partition_config_selectorILNS1_17partition_subalgoE4EjNS0_10empty_typeEbEEZZNS1_14partition_implILS8_4ELb0ES6_15HIP_vector_typeIjLj2EENS0_17counting_iteratorIjlEEPS9_SG_NS0_5tupleIJPjSI_NS0_16reverse_iteratorISI_EEEEENSH_IJSG_SG_SG_EEES9_SI_JZNS1_25segmented_radix_sort_implINS0_14default_configELb1EPK12hip_bfloat16PSP_PKlPlN2at6native12_GLOBAL__N_18offset_tEEE10hipError_tPvRmT1_PNSt15iterator_traitsIS13_E10value_typeET2_T3_PNS14_IS19_E10value_typeET4_jRbjT5_S1F_jjP12ihipStream_tbEUljE_ZNSN_ISO_Lb1ESR_SS_SU_SV_SZ_EES10_S11_S12_S13_S17_S18_S19_S1C_S1D_jS1E_jS1F_S1F_jjS1H_bEUljE0_EEES10_S11_S12_S19_S1D_S1F_T6_T7_T9_mT8_S1H_bDpT10_ENKUlT_T0_E_clISt17integral_constantIbLb1EES1V_EEDaS1Q_S1R_EUlS1Q_E_NS1_11comp_targetILNS1_3genE8ELNS1_11target_archE1030ELNS1_3gpuE2ELNS1_3repE0EEENS1_30default_config_static_selectorELNS0_4arch9wavefront6targetE0EEEvS13_.private_seg_size, 0
	.set _ZN7rocprim17ROCPRIM_400000_NS6detail17trampoline_kernelINS0_13select_configILj256ELj13ELNS0_17block_load_methodE3ELS4_3ELS4_3ELNS0_20block_scan_algorithmE0ELj4294967295EEENS1_25partition_config_selectorILNS1_17partition_subalgoE4EjNS0_10empty_typeEbEEZZNS1_14partition_implILS8_4ELb0ES6_15HIP_vector_typeIjLj2EENS0_17counting_iteratorIjlEEPS9_SG_NS0_5tupleIJPjSI_NS0_16reverse_iteratorISI_EEEEENSH_IJSG_SG_SG_EEES9_SI_JZNS1_25segmented_radix_sort_implINS0_14default_configELb1EPK12hip_bfloat16PSP_PKlPlN2at6native12_GLOBAL__N_18offset_tEEE10hipError_tPvRmT1_PNSt15iterator_traitsIS13_E10value_typeET2_T3_PNS14_IS19_E10value_typeET4_jRbjT5_S1F_jjP12ihipStream_tbEUljE_ZNSN_ISO_Lb1ESR_SS_SU_SV_SZ_EES10_S11_S12_S13_S17_S18_S19_S1C_S1D_jS1E_jS1F_S1F_jjS1H_bEUljE0_EEES10_S11_S12_S19_S1D_S1F_T6_T7_T9_mT8_S1H_bDpT10_ENKUlT_T0_E_clISt17integral_constantIbLb1EES1V_EEDaS1Q_S1R_EUlS1Q_E_NS1_11comp_targetILNS1_3genE8ELNS1_11target_archE1030ELNS1_3gpuE2ELNS1_3repE0EEENS1_30default_config_static_selectorELNS0_4arch9wavefront6targetE0EEEvS13_.uses_vcc, 0
	.set _ZN7rocprim17ROCPRIM_400000_NS6detail17trampoline_kernelINS0_13select_configILj256ELj13ELNS0_17block_load_methodE3ELS4_3ELS4_3ELNS0_20block_scan_algorithmE0ELj4294967295EEENS1_25partition_config_selectorILNS1_17partition_subalgoE4EjNS0_10empty_typeEbEEZZNS1_14partition_implILS8_4ELb0ES6_15HIP_vector_typeIjLj2EENS0_17counting_iteratorIjlEEPS9_SG_NS0_5tupleIJPjSI_NS0_16reverse_iteratorISI_EEEEENSH_IJSG_SG_SG_EEES9_SI_JZNS1_25segmented_radix_sort_implINS0_14default_configELb1EPK12hip_bfloat16PSP_PKlPlN2at6native12_GLOBAL__N_18offset_tEEE10hipError_tPvRmT1_PNSt15iterator_traitsIS13_E10value_typeET2_T3_PNS14_IS19_E10value_typeET4_jRbjT5_S1F_jjP12ihipStream_tbEUljE_ZNSN_ISO_Lb1ESR_SS_SU_SV_SZ_EES10_S11_S12_S13_S17_S18_S19_S1C_S1D_jS1E_jS1F_S1F_jjS1H_bEUljE0_EEES10_S11_S12_S19_S1D_S1F_T6_T7_T9_mT8_S1H_bDpT10_ENKUlT_T0_E_clISt17integral_constantIbLb1EES1V_EEDaS1Q_S1R_EUlS1Q_E_NS1_11comp_targetILNS1_3genE8ELNS1_11target_archE1030ELNS1_3gpuE2ELNS1_3repE0EEENS1_30default_config_static_selectorELNS0_4arch9wavefront6targetE0EEEvS13_.uses_flat_scratch, 0
	.set _ZN7rocprim17ROCPRIM_400000_NS6detail17trampoline_kernelINS0_13select_configILj256ELj13ELNS0_17block_load_methodE3ELS4_3ELS4_3ELNS0_20block_scan_algorithmE0ELj4294967295EEENS1_25partition_config_selectorILNS1_17partition_subalgoE4EjNS0_10empty_typeEbEEZZNS1_14partition_implILS8_4ELb0ES6_15HIP_vector_typeIjLj2EENS0_17counting_iteratorIjlEEPS9_SG_NS0_5tupleIJPjSI_NS0_16reverse_iteratorISI_EEEEENSH_IJSG_SG_SG_EEES9_SI_JZNS1_25segmented_radix_sort_implINS0_14default_configELb1EPK12hip_bfloat16PSP_PKlPlN2at6native12_GLOBAL__N_18offset_tEEE10hipError_tPvRmT1_PNSt15iterator_traitsIS13_E10value_typeET2_T3_PNS14_IS19_E10value_typeET4_jRbjT5_S1F_jjP12ihipStream_tbEUljE_ZNSN_ISO_Lb1ESR_SS_SU_SV_SZ_EES10_S11_S12_S13_S17_S18_S19_S1C_S1D_jS1E_jS1F_S1F_jjS1H_bEUljE0_EEES10_S11_S12_S19_S1D_S1F_T6_T7_T9_mT8_S1H_bDpT10_ENKUlT_T0_E_clISt17integral_constantIbLb1EES1V_EEDaS1Q_S1R_EUlS1Q_E_NS1_11comp_targetILNS1_3genE8ELNS1_11target_archE1030ELNS1_3gpuE2ELNS1_3repE0EEENS1_30default_config_static_selectorELNS0_4arch9wavefront6targetE0EEEvS13_.has_dyn_sized_stack, 0
	.set _ZN7rocprim17ROCPRIM_400000_NS6detail17trampoline_kernelINS0_13select_configILj256ELj13ELNS0_17block_load_methodE3ELS4_3ELS4_3ELNS0_20block_scan_algorithmE0ELj4294967295EEENS1_25partition_config_selectorILNS1_17partition_subalgoE4EjNS0_10empty_typeEbEEZZNS1_14partition_implILS8_4ELb0ES6_15HIP_vector_typeIjLj2EENS0_17counting_iteratorIjlEEPS9_SG_NS0_5tupleIJPjSI_NS0_16reverse_iteratorISI_EEEEENSH_IJSG_SG_SG_EEES9_SI_JZNS1_25segmented_radix_sort_implINS0_14default_configELb1EPK12hip_bfloat16PSP_PKlPlN2at6native12_GLOBAL__N_18offset_tEEE10hipError_tPvRmT1_PNSt15iterator_traitsIS13_E10value_typeET2_T3_PNS14_IS19_E10value_typeET4_jRbjT5_S1F_jjP12ihipStream_tbEUljE_ZNSN_ISO_Lb1ESR_SS_SU_SV_SZ_EES10_S11_S12_S13_S17_S18_S19_S1C_S1D_jS1E_jS1F_S1F_jjS1H_bEUljE0_EEES10_S11_S12_S19_S1D_S1F_T6_T7_T9_mT8_S1H_bDpT10_ENKUlT_T0_E_clISt17integral_constantIbLb1EES1V_EEDaS1Q_S1R_EUlS1Q_E_NS1_11comp_targetILNS1_3genE8ELNS1_11target_archE1030ELNS1_3gpuE2ELNS1_3repE0EEENS1_30default_config_static_selectorELNS0_4arch9wavefront6targetE0EEEvS13_.has_recursion, 0
	.set _ZN7rocprim17ROCPRIM_400000_NS6detail17trampoline_kernelINS0_13select_configILj256ELj13ELNS0_17block_load_methodE3ELS4_3ELS4_3ELNS0_20block_scan_algorithmE0ELj4294967295EEENS1_25partition_config_selectorILNS1_17partition_subalgoE4EjNS0_10empty_typeEbEEZZNS1_14partition_implILS8_4ELb0ES6_15HIP_vector_typeIjLj2EENS0_17counting_iteratorIjlEEPS9_SG_NS0_5tupleIJPjSI_NS0_16reverse_iteratorISI_EEEEENSH_IJSG_SG_SG_EEES9_SI_JZNS1_25segmented_radix_sort_implINS0_14default_configELb1EPK12hip_bfloat16PSP_PKlPlN2at6native12_GLOBAL__N_18offset_tEEE10hipError_tPvRmT1_PNSt15iterator_traitsIS13_E10value_typeET2_T3_PNS14_IS19_E10value_typeET4_jRbjT5_S1F_jjP12ihipStream_tbEUljE_ZNSN_ISO_Lb1ESR_SS_SU_SV_SZ_EES10_S11_S12_S13_S17_S18_S19_S1C_S1D_jS1E_jS1F_S1F_jjS1H_bEUljE0_EEES10_S11_S12_S19_S1D_S1F_T6_T7_T9_mT8_S1H_bDpT10_ENKUlT_T0_E_clISt17integral_constantIbLb1EES1V_EEDaS1Q_S1R_EUlS1Q_E_NS1_11comp_targetILNS1_3genE8ELNS1_11target_archE1030ELNS1_3gpuE2ELNS1_3repE0EEENS1_30default_config_static_selectorELNS0_4arch9wavefront6targetE0EEEvS13_.has_indirect_call, 0
	.section	.AMDGPU.csdata,"",@progbits
; Kernel info:
; codeLenInByte = 0
; TotalNumSgprs: 0
; NumVgprs: 0
; ScratchSize: 0
; MemoryBound: 0
; FloatMode: 240
; IeeeMode: 1
; LDSByteSize: 0 bytes/workgroup (compile time only)
; SGPRBlocks: 0
; VGPRBlocks: 0
; NumSGPRsForWavesPerEU: 1
; NumVGPRsForWavesPerEU: 1
; NamedBarCnt: 0
; Occupancy: 16
; WaveLimiterHint : 0
; COMPUTE_PGM_RSRC2:SCRATCH_EN: 0
; COMPUTE_PGM_RSRC2:USER_SGPR: 2
; COMPUTE_PGM_RSRC2:TRAP_HANDLER: 0
; COMPUTE_PGM_RSRC2:TGID_X_EN: 1
; COMPUTE_PGM_RSRC2:TGID_Y_EN: 0
; COMPUTE_PGM_RSRC2:TGID_Z_EN: 0
; COMPUTE_PGM_RSRC2:TIDIG_COMP_CNT: 0
	.section	.text._ZN7rocprim17ROCPRIM_400000_NS6detail17trampoline_kernelINS0_13select_configILj256ELj13ELNS0_17block_load_methodE3ELS4_3ELS4_3ELNS0_20block_scan_algorithmE0ELj4294967295EEENS1_25partition_config_selectorILNS1_17partition_subalgoE4EjNS0_10empty_typeEbEEZZNS1_14partition_implILS8_4ELb0ES6_15HIP_vector_typeIjLj2EENS0_17counting_iteratorIjlEEPS9_SG_NS0_5tupleIJPjSI_NS0_16reverse_iteratorISI_EEEEENSH_IJSG_SG_SG_EEES9_SI_JZNS1_25segmented_radix_sort_implINS0_14default_configELb1EPK12hip_bfloat16PSP_PKlPlN2at6native12_GLOBAL__N_18offset_tEEE10hipError_tPvRmT1_PNSt15iterator_traitsIS13_E10value_typeET2_T3_PNS14_IS19_E10value_typeET4_jRbjT5_S1F_jjP12ihipStream_tbEUljE_ZNSN_ISO_Lb1ESR_SS_SU_SV_SZ_EES10_S11_S12_S13_S17_S18_S19_S1C_S1D_jS1E_jS1F_S1F_jjS1H_bEUljE0_EEES10_S11_S12_S19_S1D_S1F_T6_T7_T9_mT8_S1H_bDpT10_ENKUlT_T0_E_clISt17integral_constantIbLb1EES1U_IbLb0EEEEDaS1Q_S1R_EUlS1Q_E_NS1_11comp_targetILNS1_3genE0ELNS1_11target_archE4294967295ELNS1_3gpuE0ELNS1_3repE0EEENS1_30default_config_static_selectorELNS0_4arch9wavefront6targetE0EEEvS13_,"axG",@progbits,_ZN7rocprim17ROCPRIM_400000_NS6detail17trampoline_kernelINS0_13select_configILj256ELj13ELNS0_17block_load_methodE3ELS4_3ELS4_3ELNS0_20block_scan_algorithmE0ELj4294967295EEENS1_25partition_config_selectorILNS1_17partition_subalgoE4EjNS0_10empty_typeEbEEZZNS1_14partition_implILS8_4ELb0ES6_15HIP_vector_typeIjLj2EENS0_17counting_iteratorIjlEEPS9_SG_NS0_5tupleIJPjSI_NS0_16reverse_iteratorISI_EEEEENSH_IJSG_SG_SG_EEES9_SI_JZNS1_25segmented_radix_sort_implINS0_14default_configELb1EPK12hip_bfloat16PSP_PKlPlN2at6native12_GLOBAL__N_18offset_tEEE10hipError_tPvRmT1_PNSt15iterator_traitsIS13_E10value_typeET2_T3_PNS14_IS19_E10value_typeET4_jRbjT5_S1F_jjP12ihipStream_tbEUljE_ZNSN_ISO_Lb1ESR_SS_SU_SV_SZ_EES10_S11_S12_S13_S17_S18_S19_S1C_S1D_jS1E_jS1F_S1F_jjS1H_bEUljE0_EEES10_S11_S12_S19_S1D_S1F_T6_T7_T9_mT8_S1H_bDpT10_ENKUlT_T0_E_clISt17integral_constantIbLb1EES1U_IbLb0EEEEDaS1Q_S1R_EUlS1Q_E_NS1_11comp_targetILNS1_3genE0ELNS1_11target_archE4294967295ELNS1_3gpuE0ELNS1_3repE0EEENS1_30default_config_static_selectorELNS0_4arch9wavefront6targetE0EEEvS13_,comdat
	.globl	_ZN7rocprim17ROCPRIM_400000_NS6detail17trampoline_kernelINS0_13select_configILj256ELj13ELNS0_17block_load_methodE3ELS4_3ELS4_3ELNS0_20block_scan_algorithmE0ELj4294967295EEENS1_25partition_config_selectorILNS1_17partition_subalgoE4EjNS0_10empty_typeEbEEZZNS1_14partition_implILS8_4ELb0ES6_15HIP_vector_typeIjLj2EENS0_17counting_iteratorIjlEEPS9_SG_NS0_5tupleIJPjSI_NS0_16reverse_iteratorISI_EEEEENSH_IJSG_SG_SG_EEES9_SI_JZNS1_25segmented_radix_sort_implINS0_14default_configELb1EPK12hip_bfloat16PSP_PKlPlN2at6native12_GLOBAL__N_18offset_tEEE10hipError_tPvRmT1_PNSt15iterator_traitsIS13_E10value_typeET2_T3_PNS14_IS19_E10value_typeET4_jRbjT5_S1F_jjP12ihipStream_tbEUljE_ZNSN_ISO_Lb1ESR_SS_SU_SV_SZ_EES10_S11_S12_S13_S17_S18_S19_S1C_S1D_jS1E_jS1F_S1F_jjS1H_bEUljE0_EEES10_S11_S12_S19_S1D_S1F_T6_T7_T9_mT8_S1H_bDpT10_ENKUlT_T0_E_clISt17integral_constantIbLb1EES1U_IbLb0EEEEDaS1Q_S1R_EUlS1Q_E_NS1_11comp_targetILNS1_3genE0ELNS1_11target_archE4294967295ELNS1_3gpuE0ELNS1_3repE0EEENS1_30default_config_static_selectorELNS0_4arch9wavefront6targetE0EEEvS13_ ; -- Begin function _ZN7rocprim17ROCPRIM_400000_NS6detail17trampoline_kernelINS0_13select_configILj256ELj13ELNS0_17block_load_methodE3ELS4_3ELS4_3ELNS0_20block_scan_algorithmE0ELj4294967295EEENS1_25partition_config_selectorILNS1_17partition_subalgoE4EjNS0_10empty_typeEbEEZZNS1_14partition_implILS8_4ELb0ES6_15HIP_vector_typeIjLj2EENS0_17counting_iteratorIjlEEPS9_SG_NS0_5tupleIJPjSI_NS0_16reverse_iteratorISI_EEEEENSH_IJSG_SG_SG_EEES9_SI_JZNS1_25segmented_radix_sort_implINS0_14default_configELb1EPK12hip_bfloat16PSP_PKlPlN2at6native12_GLOBAL__N_18offset_tEEE10hipError_tPvRmT1_PNSt15iterator_traitsIS13_E10value_typeET2_T3_PNS14_IS19_E10value_typeET4_jRbjT5_S1F_jjP12ihipStream_tbEUljE_ZNSN_ISO_Lb1ESR_SS_SU_SV_SZ_EES10_S11_S12_S13_S17_S18_S19_S1C_S1D_jS1E_jS1F_S1F_jjS1H_bEUljE0_EEES10_S11_S12_S19_S1D_S1F_T6_T7_T9_mT8_S1H_bDpT10_ENKUlT_T0_E_clISt17integral_constantIbLb1EES1U_IbLb0EEEEDaS1Q_S1R_EUlS1Q_E_NS1_11comp_targetILNS1_3genE0ELNS1_11target_archE4294967295ELNS1_3gpuE0ELNS1_3repE0EEENS1_30default_config_static_selectorELNS0_4arch9wavefront6targetE0EEEvS13_
	.p2align	8
	.type	_ZN7rocprim17ROCPRIM_400000_NS6detail17trampoline_kernelINS0_13select_configILj256ELj13ELNS0_17block_load_methodE3ELS4_3ELS4_3ELNS0_20block_scan_algorithmE0ELj4294967295EEENS1_25partition_config_selectorILNS1_17partition_subalgoE4EjNS0_10empty_typeEbEEZZNS1_14partition_implILS8_4ELb0ES6_15HIP_vector_typeIjLj2EENS0_17counting_iteratorIjlEEPS9_SG_NS0_5tupleIJPjSI_NS0_16reverse_iteratorISI_EEEEENSH_IJSG_SG_SG_EEES9_SI_JZNS1_25segmented_radix_sort_implINS0_14default_configELb1EPK12hip_bfloat16PSP_PKlPlN2at6native12_GLOBAL__N_18offset_tEEE10hipError_tPvRmT1_PNSt15iterator_traitsIS13_E10value_typeET2_T3_PNS14_IS19_E10value_typeET4_jRbjT5_S1F_jjP12ihipStream_tbEUljE_ZNSN_ISO_Lb1ESR_SS_SU_SV_SZ_EES10_S11_S12_S13_S17_S18_S19_S1C_S1D_jS1E_jS1F_S1F_jjS1H_bEUljE0_EEES10_S11_S12_S19_S1D_S1F_T6_T7_T9_mT8_S1H_bDpT10_ENKUlT_T0_E_clISt17integral_constantIbLb1EES1U_IbLb0EEEEDaS1Q_S1R_EUlS1Q_E_NS1_11comp_targetILNS1_3genE0ELNS1_11target_archE4294967295ELNS1_3gpuE0ELNS1_3repE0EEENS1_30default_config_static_selectorELNS0_4arch9wavefront6targetE0EEEvS13_,@function
_ZN7rocprim17ROCPRIM_400000_NS6detail17trampoline_kernelINS0_13select_configILj256ELj13ELNS0_17block_load_methodE3ELS4_3ELS4_3ELNS0_20block_scan_algorithmE0ELj4294967295EEENS1_25partition_config_selectorILNS1_17partition_subalgoE4EjNS0_10empty_typeEbEEZZNS1_14partition_implILS8_4ELb0ES6_15HIP_vector_typeIjLj2EENS0_17counting_iteratorIjlEEPS9_SG_NS0_5tupleIJPjSI_NS0_16reverse_iteratorISI_EEEEENSH_IJSG_SG_SG_EEES9_SI_JZNS1_25segmented_radix_sort_implINS0_14default_configELb1EPK12hip_bfloat16PSP_PKlPlN2at6native12_GLOBAL__N_18offset_tEEE10hipError_tPvRmT1_PNSt15iterator_traitsIS13_E10value_typeET2_T3_PNS14_IS19_E10value_typeET4_jRbjT5_S1F_jjP12ihipStream_tbEUljE_ZNSN_ISO_Lb1ESR_SS_SU_SV_SZ_EES10_S11_S12_S13_S17_S18_S19_S1C_S1D_jS1E_jS1F_S1F_jjS1H_bEUljE0_EEES10_S11_S12_S19_S1D_S1F_T6_T7_T9_mT8_S1H_bDpT10_ENKUlT_T0_E_clISt17integral_constantIbLb1EES1U_IbLb0EEEEDaS1Q_S1R_EUlS1Q_E_NS1_11comp_targetILNS1_3genE0ELNS1_11target_archE4294967295ELNS1_3gpuE0ELNS1_3repE0EEENS1_30default_config_static_selectorELNS0_4arch9wavefront6targetE0EEEvS13_: ; @_ZN7rocprim17ROCPRIM_400000_NS6detail17trampoline_kernelINS0_13select_configILj256ELj13ELNS0_17block_load_methodE3ELS4_3ELS4_3ELNS0_20block_scan_algorithmE0ELj4294967295EEENS1_25partition_config_selectorILNS1_17partition_subalgoE4EjNS0_10empty_typeEbEEZZNS1_14partition_implILS8_4ELb0ES6_15HIP_vector_typeIjLj2EENS0_17counting_iteratorIjlEEPS9_SG_NS0_5tupleIJPjSI_NS0_16reverse_iteratorISI_EEEEENSH_IJSG_SG_SG_EEES9_SI_JZNS1_25segmented_radix_sort_implINS0_14default_configELb1EPK12hip_bfloat16PSP_PKlPlN2at6native12_GLOBAL__N_18offset_tEEE10hipError_tPvRmT1_PNSt15iterator_traitsIS13_E10value_typeET2_T3_PNS14_IS19_E10value_typeET4_jRbjT5_S1F_jjP12ihipStream_tbEUljE_ZNSN_ISO_Lb1ESR_SS_SU_SV_SZ_EES10_S11_S12_S13_S17_S18_S19_S1C_S1D_jS1E_jS1F_S1F_jjS1H_bEUljE0_EEES10_S11_S12_S19_S1D_S1F_T6_T7_T9_mT8_S1H_bDpT10_ENKUlT_T0_E_clISt17integral_constantIbLb1EES1U_IbLb0EEEEDaS1Q_S1R_EUlS1Q_E_NS1_11comp_targetILNS1_3genE0ELNS1_11target_archE4294967295ELNS1_3gpuE0ELNS1_3repE0EEENS1_30default_config_static_selectorELNS0_4arch9wavefront6targetE0EEEvS13_
; %bb.0:
	s_endpgm
	.section	.rodata,"a",@progbits
	.p2align	6, 0x0
	.amdhsa_kernel _ZN7rocprim17ROCPRIM_400000_NS6detail17trampoline_kernelINS0_13select_configILj256ELj13ELNS0_17block_load_methodE3ELS4_3ELS4_3ELNS0_20block_scan_algorithmE0ELj4294967295EEENS1_25partition_config_selectorILNS1_17partition_subalgoE4EjNS0_10empty_typeEbEEZZNS1_14partition_implILS8_4ELb0ES6_15HIP_vector_typeIjLj2EENS0_17counting_iteratorIjlEEPS9_SG_NS0_5tupleIJPjSI_NS0_16reverse_iteratorISI_EEEEENSH_IJSG_SG_SG_EEES9_SI_JZNS1_25segmented_radix_sort_implINS0_14default_configELb1EPK12hip_bfloat16PSP_PKlPlN2at6native12_GLOBAL__N_18offset_tEEE10hipError_tPvRmT1_PNSt15iterator_traitsIS13_E10value_typeET2_T3_PNS14_IS19_E10value_typeET4_jRbjT5_S1F_jjP12ihipStream_tbEUljE_ZNSN_ISO_Lb1ESR_SS_SU_SV_SZ_EES10_S11_S12_S13_S17_S18_S19_S1C_S1D_jS1E_jS1F_S1F_jjS1H_bEUljE0_EEES10_S11_S12_S19_S1D_S1F_T6_T7_T9_mT8_S1H_bDpT10_ENKUlT_T0_E_clISt17integral_constantIbLb1EES1U_IbLb0EEEEDaS1Q_S1R_EUlS1Q_E_NS1_11comp_targetILNS1_3genE0ELNS1_11target_archE4294967295ELNS1_3gpuE0ELNS1_3repE0EEENS1_30default_config_static_selectorELNS0_4arch9wavefront6targetE0EEEvS13_
		.amdhsa_group_segment_fixed_size 0
		.amdhsa_private_segment_fixed_size 0
		.amdhsa_kernarg_size 176
		.amdhsa_user_sgpr_count 2
		.amdhsa_user_sgpr_dispatch_ptr 0
		.amdhsa_user_sgpr_queue_ptr 0
		.amdhsa_user_sgpr_kernarg_segment_ptr 1
		.amdhsa_user_sgpr_dispatch_id 0
		.amdhsa_user_sgpr_kernarg_preload_length 0
		.amdhsa_user_sgpr_kernarg_preload_offset 0
		.amdhsa_user_sgpr_private_segment_size 0
		.amdhsa_wavefront_size32 1
		.amdhsa_uses_dynamic_stack 0
		.amdhsa_enable_private_segment 0
		.amdhsa_system_sgpr_workgroup_id_x 1
		.amdhsa_system_sgpr_workgroup_id_y 0
		.amdhsa_system_sgpr_workgroup_id_z 0
		.amdhsa_system_sgpr_workgroup_info 0
		.amdhsa_system_vgpr_workitem_id 0
		.amdhsa_next_free_vgpr 1
		.amdhsa_next_free_sgpr 1
		.amdhsa_named_barrier_count 0
		.amdhsa_reserve_vcc 0
		.amdhsa_float_round_mode_32 0
		.amdhsa_float_round_mode_16_64 0
		.amdhsa_float_denorm_mode_32 3
		.amdhsa_float_denorm_mode_16_64 3
		.amdhsa_fp16_overflow 0
		.amdhsa_memory_ordered 1
		.amdhsa_forward_progress 1
		.amdhsa_inst_pref_size 1
		.amdhsa_round_robin_scheduling 0
		.amdhsa_exception_fp_ieee_invalid_op 0
		.amdhsa_exception_fp_denorm_src 0
		.amdhsa_exception_fp_ieee_div_zero 0
		.amdhsa_exception_fp_ieee_overflow 0
		.amdhsa_exception_fp_ieee_underflow 0
		.amdhsa_exception_fp_ieee_inexact 0
		.amdhsa_exception_int_div_zero 0
	.end_amdhsa_kernel
	.section	.text._ZN7rocprim17ROCPRIM_400000_NS6detail17trampoline_kernelINS0_13select_configILj256ELj13ELNS0_17block_load_methodE3ELS4_3ELS4_3ELNS0_20block_scan_algorithmE0ELj4294967295EEENS1_25partition_config_selectorILNS1_17partition_subalgoE4EjNS0_10empty_typeEbEEZZNS1_14partition_implILS8_4ELb0ES6_15HIP_vector_typeIjLj2EENS0_17counting_iteratorIjlEEPS9_SG_NS0_5tupleIJPjSI_NS0_16reverse_iteratorISI_EEEEENSH_IJSG_SG_SG_EEES9_SI_JZNS1_25segmented_radix_sort_implINS0_14default_configELb1EPK12hip_bfloat16PSP_PKlPlN2at6native12_GLOBAL__N_18offset_tEEE10hipError_tPvRmT1_PNSt15iterator_traitsIS13_E10value_typeET2_T3_PNS14_IS19_E10value_typeET4_jRbjT5_S1F_jjP12ihipStream_tbEUljE_ZNSN_ISO_Lb1ESR_SS_SU_SV_SZ_EES10_S11_S12_S13_S17_S18_S19_S1C_S1D_jS1E_jS1F_S1F_jjS1H_bEUljE0_EEES10_S11_S12_S19_S1D_S1F_T6_T7_T9_mT8_S1H_bDpT10_ENKUlT_T0_E_clISt17integral_constantIbLb1EES1U_IbLb0EEEEDaS1Q_S1R_EUlS1Q_E_NS1_11comp_targetILNS1_3genE0ELNS1_11target_archE4294967295ELNS1_3gpuE0ELNS1_3repE0EEENS1_30default_config_static_selectorELNS0_4arch9wavefront6targetE0EEEvS13_,"axG",@progbits,_ZN7rocprim17ROCPRIM_400000_NS6detail17trampoline_kernelINS0_13select_configILj256ELj13ELNS0_17block_load_methodE3ELS4_3ELS4_3ELNS0_20block_scan_algorithmE0ELj4294967295EEENS1_25partition_config_selectorILNS1_17partition_subalgoE4EjNS0_10empty_typeEbEEZZNS1_14partition_implILS8_4ELb0ES6_15HIP_vector_typeIjLj2EENS0_17counting_iteratorIjlEEPS9_SG_NS0_5tupleIJPjSI_NS0_16reverse_iteratorISI_EEEEENSH_IJSG_SG_SG_EEES9_SI_JZNS1_25segmented_radix_sort_implINS0_14default_configELb1EPK12hip_bfloat16PSP_PKlPlN2at6native12_GLOBAL__N_18offset_tEEE10hipError_tPvRmT1_PNSt15iterator_traitsIS13_E10value_typeET2_T3_PNS14_IS19_E10value_typeET4_jRbjT5_S1F_jjP12ihipStream_tbEUljE_ZNSN_ISO_Lb1ESR_SS_SU_SV_SZ_EES10_S11_S12_S13_S17_S18_S19_S1C_S1D_jS1E_jS1F_S1F_jjS1H_bEUljE0_EEES10_S11_S12_S19_S1D_S1F_T6_T7_T9_mT8_S1H_bDpT10_ENKUlT_T0_E_clISt17integral_constantIbLb1EES1U_IbLb0EEEEDaS1Q_S1R_EUlS1Q_E_NS1_11comp_targetILNS1_3genE0ELNS1_11target_archE4294967295ELNS1_3gpuE0ELNS1_3repE0EEENS1_30default_config_static_selectorELNS0_4arch9wavefront6targetE0EEEvS13_,comdat
.Lfunc_end1888:
	.size	_ZN7rocprim17ROCPRIM_400000_NS6detail17trampoline_kernelINS0_13select_configILj256ELj13ELNS0_17block_load_methodE3ELS4_3ELS4_3ELNS0_20block_scan_algorithmE0ELj4294967295EEENS1_25partition_config_selectorILNS1_17partition_subalgoE4EjNS0_10empty_typeEbEEZZNS1_14partition_implILS8_4ELb0ES6_15HIP_vector_typeIjLj2EENS0_17counting_iteratorIjlEEPS9_SG_NS0_5tupleIJPjSI_NS0_16reverse_iteratorISI_EEEEENSH_IJSG_SG_SG_EEES9_SI_JZNS1_25segmented_radix_sort_implINS0_14default_configELb1EPK12hip_bfloat16PSP_PKlPlN2at6native12_GLOBAL__N_18offset_tEEE10hipError_tPvRmT1_PNSt15iterator_traitsIS13_E10value_typeET2_T3_PNS14_IS19_E10value_typeET4_jRbjT5_S1F_jjP12ihipStream_tbEUljE_ZNSN_ISO_Lb1ESR_SS_SU_SV_SZ_EES10_S11_S12_S13_S17_S18_S19_S1C_S1D_jS1E_jS1F_S1F_jjS1H_bEUljE0_EEES10_S11_S12_S19_S1D_S1F_T6_T7_T9_mT8_S1H_bDpT10_ENKUlT_T0_E_clISt17integral_constantIbLb1EES1U_IbLb0EEEEDaS1Q_S1R_EUlS1Q_E_NS1_11comp_targetILNS1_3genE0ELNS1_11target_archE4294967295ELNS1_3gpuE0ELNS1_3repE0EEENS1_30default_config_static_selectorELNS0_4arch9wavefront6targetE0EEEvS13_, .Lfunc_end1888-_ZN7rocprim17ROCPRIM_400000_NS6detail17trampoline_kernelINS0_13select_configILj256ELj13ELNS0_17block_load_methodE3ELS4_3ELS4_3ELNS0_20block_scan_algorithmE0ELj4294967295EEENS1_25partition_config_selectorILNS1_17partition_subalgoE4EjNS0_10empty_typeEbEEZZNS1_14partition_implILS8_4ELb0ES6_15HIP_vector_typeIjLj2EENS0_17counting_iteratorIjlEEPS9_SG_NS0_5tupleIJPjSI_NS0_16reverse_iteratorISI_EEEEENSH_IJSG_SG_SG_EEES9_SI_JZNS1_25segmented_radix_sort_implINS0_14default_configELb1EPK12hip_bfloat16PSP_PKlPlN2at6native12_GLOBAL__N_18offset_tEEE10hipError_tPvRmT1_PNSt15iterator_traitsIS13_E10value_typeET2_T3_PNS14_IS19_E10value_typeET4_jRbjT5_S1F_jjP12ihipStream_tbEUljE_ZNSN_ISO_Lb1ESR_SS_SU_SV_SZ_EES10_S11_S12_S13_S17_S18_S19_S1C_S1D_jS1E_jS1F_S1F_jjS1H_bEUljE0_EEES10_S11_S12_S19_S1D_S1F_T6_T7_T9_mT8_S1H_bDpT10_ENKUlT_T0_E_clISt17integral_constantIbLb1EES1U_IbLb0EEEEDaS1Q_S1R_EUlS1Q_E_NS1_11comp_targetILNS1_3genE0ELNS1_11target_archE4294967295ELNS1_3gpuE0ELNS1_3repE0EEENS1_30default_config_static_selectorELNS0_4arch9wavefront6targetE0EEEvS13_
                                        ; -- End function
	.set _ZN7rocprim17ROCPRIM_400000_NS6detail17trampoline_kernelINS0_13select_configILj256ELj13ELNS0_17block_load_methodE3ELS4_3ELS4_3ELNS0_20block_scan_algorithmE0ELj4294967295EEENS1_25partition_config_selectorILNS1_17partition_subalgoE4EjNS0_10empty_typeEbEEZZNS1_14partition_implILS8_4ELb0ES6_15HIP_vector_typeIjLj2EENS0_17counting_iteratorIjlEEPS9_SG_NS0_5tupleIJPjSI_NS0_16reverse_iteratorISI_EEEEENSH_IJSG_SG_SG_EEES9_SI_JZNS1_25segmented_radix_sort_implINS0_14default_configELb1EPK12hip_bfloat16PSP_PKlPlN2at6native12_GLOBAL__N_18offset_tEEE10hipError_tPvRmT1_PNSt15iterator_traitsIS13_E10value_typeET2_T3_PNS14_IS19_E10value_typeET4_jRbjT5_S1F_jjP12ihipStream_tbEUljE_ZNSN_ISO_Lb1ESR_SS_SU_SV_SZ_EES10_S11_S12_S13_S17_S18_S19_S1C_S1D_jS1E_jS1F_S1F_jjS1H_bEUljE0_EEES10_S11_S12_S19_S1D_S1F_T6_T7_T9_mT8_S1H_bDpT10_ENKUlT_T0_E_clISt17integral_constantIbLb1EES1U_IbLb0EEEEDaS1Q_S1R_EUlS1Q_E_NS1_11comp_targetILNS1_3genE0ELNS1_11target_archE4294967295ELNS1_3gpuE0ELNS1_3repE0EEENS1_30default_config_static_selectorELNS0_4arch9wavefront6targetE0EEEvS13_.num_vgpr, 0
	.set _ZN7rocprim17ROCPRIM_400000_NS6detail17trampoline_kernelINS0_13select_configILj256ELj13ELNS0_17block_load_methodE3ELS4_3ELS4_3ELNS0_20block_scan_algorithmE0ELj4294967295EEENS1_25partition_config_selectorILNS1_17partition_subalgoE4EjNS0_10empty_typeEbEEZZNS1_14partition_implILS8_4ELb0ES6_15HIP_vector_typeIjLj2EENS0_17counting_iteratorIjlEEPS9_SG_NS0_5tupleIJPjSI_NS0_16reverse_iteratorISI_EEEEENSH_IJSG_SG_SG_EEES9_SI_JZNS1_25segmented_radix_sort_implINS0_14default_configELb1EPK12hip_bfloat16PSP_PKlPlN2at6native12_GLOBAL__N_18offset_tEEE10hipError_tPvRmT1_PNSt15iterator_traitsIS13_E10value_typeET2_T3_PNS14_IS19_E10value_typeET4_jRbjT5_S1F_jjP12ihipStream_tbEUljE_ZNSN_ISO_Lb1ESR_SS_SU_SV_SZ_EES10_S11_S12_S13_S17_S18_S19_S1C_S1D_jS1E_jS1F_S1F_jjS1H_bEUljE0_EEES10_S11_S12_S19_S1D_S1F_T6_T7_T9_mT8_S1H_bDpT10_ENKUlT_T0_E_clISt17integral_constantIbLb1EES1U_IbLb0EEEEDaS1Q_S1R_EUlS1Q_E_NS1_11comp_targetILNS1_3genE0ELNS1_11target_archE4294967295ELNS1_3gpuE0ELNS1_3repE0EEENS1_30default_config_static_selectorELNS0_4arch9wavefront6targetE0EEEvS13_.num_agpr, 0
	.set _ZN7rocprim17ROCPRIM_400000_NS6detail17trampoline_kernelINS0_13select_configILj256ELj13ELNS0_17block_load_methodE3ELS4_3ELS4_3ELNS0_20block_scan_algorithmE0ELj4294967295EEENS1_25partition_config_selectorILNS1_17partition_subalgoE4EjNS0_10empty_typeEbEEZZNS1_14partition_implILS8_4ELb0ES6_15HIP_vector_typeIjLj2EENS0_17counting_iteratorIjlEEPS9_SG_NS0_5tupleIJPjSI_NS0_16reverse_iteratorISI_EEEEENSH_IJSG_SG_SG_EEES9_SI_JZNS1_25segmented_radix_sort_implINS0_14default_configELb1EPK12hip_bfloat16PSP_PKlPlN2at6native12_GLOBAL__N_18offset_tEEE10hipError_tPvRmT1_PNSt15iterator_traitsIS13_E10value_typeET2_T3_PNS14_IS19_E10value_typeET4_jRbjT5_S1F_jjP12ihipStream_tbEUljE_ZNSN_ISO_Lb1ESR_SS_SU_SV_SZ_EES10_S11_S12_S13_S17_S18_S19_S1C_S1D_jS1E_jS1F_S1F_jjS1H_bEUljE0_EEES10_S11_S12_S19_S1D_S1F_T6_T7_T9_mT8_S1H_bDpT10_ENKUlT_T0_E_clISt17integral_constantIbLb1EES1U_IbLb0EEEEDaS1Q_S1R_EUlS1Q_E_NS1_11comp_targetILNS1_3genE0ELNS1_11target_archE4294967295ELNS1_3gpuE0ELNS1_3repE0EEENS1_30default_config_static_selectorELNS0_4arch9wavefront6targetE0EEEvS13_.numbered_sgpr, 0
	.set _ZN7rocprim17ROCPRIM_400000_NS6detail17trampoline_kernelINS0_13select_configILj256ELj13ELNS0_17block_load_methodE3ELS4_3ELS4_3ELNS0_20block_scan_algorithmE0ELj4294967295EEENS1_25partition_config_selectorILNS1_17partition_subalgoE4EjNS0_10empty_typeEbEEZZNS1_14partition_implILS8_4ELb0ES6_15HIP_vector_typeIjLj2EENS0_17counting_iteratorIjlEEPS9_SG_NS0_5tupleIJPjSI_NS0_16reverse_iteratorISI_EEEEENSH_IJSG_SG_SG_EEES9_SI_JZNS1_25segmented_radix_sort_implINS0_14default_configELb1EPK12hip_bfloat16PSP_PKlPlN2at6native12_GLOBAL__N_18offset_tEEE10hipError_tPvRmT1_PNSt15iterator_traitsIS13_E10value_typeET2_T3_PNS14_IS19_E10value_typeET4_jRbjT5_S1F_jjP12ihipStream_tbEUljE_ZNSN_ISO_Lb1ESR_SS_SU_SV_SZ_EES10_S11_S12_S13_S17_S18_S19_S1C_S1D_jS1E_jS1F_S1F_jjS1H_bEUljE0_EEES10_S11_S12_S19_S1D_S1F_T6_T7_T9_mT8_S1H_bDpT10_ENKUlT_T0_E_clISt17integral_constantIbLb1EES1U_IbLb0EEEEDaS1Q_S1R_EUlS1Q_E_NS1_11comp_targetILNS1_3genE0ELNS1_11target_archE4294967295ELNS1_3gpuE0ELNS1_3repE0EEENS1_30default_config_static_selectorELNS0_4arch9wavefront6targetE0EEEvS13_.num_named_barrier, 0
	.set _ZN7rocprim17ROCPRIM_400000_NS6detail17trampoline_kernelINS0_13select_configILj256ELj13ELNS0_17block_load_methodE3ELS4_3ELS4_3ELNS0_20block_scan_algorithmE0ELj4294967295EEENS1_25partition_config_selectorILNS1_17partition_subalgoE4EjNS0_10empty_typeEbEEZZNS1_14partition_implILS8_4ELb0ES6_15HIP_vector_typeIjLj2EENS0_17counting_iteratorIjlEEPS9_SG_NS0_5tupleIJPjSI_NS0_16reverse_iteratorISI_EEEEENSH_IJSG_SG_SG_EEES9_SI_JZNS1_25segmented_radix_sort_implINS0_14default_configELb1EPK12hip_bfloat16PSP_PKlPlN2at6native12_GLOBAL__N_18offset_tEEE10hipError_tPvRmT1_PNSt15iterator_traitsIS13_E10value_typeET2_T3_PNS14_IS19_E10value_typeET4_jRbjT5_S1F_jjP12ihipStream_tbEUljE_ZNSN_ISO_Lb1ESR_SS_SU_SV_SZ_EES10_S11_S12_S13_S17_S18_S19_S1C_S1D_jS1E_jS1F_S1F_jjS1H_bEUljE0_EEES10_S11_S12_S19_S1D_S1F_T6_T7_T9_mT8_S1H_bDpT10_ENKUlT_T0_E_clISt17integral_constantIbLb1EES1U_IbLb0EEEEDaS1Q_S1R_EUlS1Q_E_NS1_11comp_targetILNS1_3genE0ELNS1_11target_archE4294967295ELNS1_3gpuE0ELNS1_3repE0EEENS1_30default_config_static_selectorELNS0_4arch9wavefront6targetE0EEEvS13_.private_seg_size, 0
	.set _ZN7rocprim17ROCPRIM_400000_NS6detail17trampoline_kernelINS0_13select_configILj256ELj13ELNS0_17block_load_methodE3ELS4_3ELS4_3ELNS0_20block_scan_algorithmE0ELj4294967295EEENS1_25partition_config_selectorILNS1_17partition_subalgoE4EjNS0_10empty_typeEbEEZZNS1_14partition_implILS8_4ELb0ES6_15HIP_vector_typeIjLj2EENS0_17counting_iteratorIjlEEPS9_SG_NS0_5tupleIJPjSI_NS0_16reverse_iteratorISI_EEEEENSH_IJSG_SG_SG_EEES9_SI_JZNS1_25segmented_radix_sort_implINS0_14default_configELb1EPK12hip_bfloat16PSP_PKlPlN2at6native12_GLOBAL__N_18offset_tEEE10hipError_tPvRmT1_PNSt15iterator_traitsIS13_E10value_typeET2_T3_PNS14_IS19_E10value_typeET4_jRbjT5_S1F_jjP12ihipStream_tbEUljE_ZNSN_ISO_Lb1ESR_SS_SU_SV_SZ_EES10_S11_S12_S13_S17_S18_S19_S1C_S1D_jS1E_jS1F_S1F_jjS1H_bEUljE0_EEES10_S11_S12_S19_S1D_S1F_T6_T7_T9_mT8_S1H_bDpT10_ENKUlT_T0_E_clISt17integral_constantIbLb1EES1U_IbLb0EEEEDaS1Q_S1R_EUlS1Q_E_NS1_11comp_targetILNS1_3genE0ELNS1_11target_archE4294967295ELNS1_3gpuE0ELNS1_3repE0EEENS1_30default_config_static_selectorELNS0_4arch9wavefront6targetE0EEEvS13_.uses_vcc, 0
	.set _ZN7rocprim17ROCPRIM_400000_NS6detail17trampoline_kernelINS0_13select_configILj256ELj13ELNS0_17block_load_methodE3ELS4_3ELS4_3ELNS0_20block_scan_algorithmE0ELj4294967295EEENS1_25partition_config_selectorILNS1_17partition_subalgoE4EjNS0_10empty_typeEbEEZZNS1_14partition_implILS8_4ELb0ES6_15HIP_vector_typeIjLj2EENS0_17counting_iteratorIjlEEPS9_SG_NS0_5tupleIJPjSI_NS0_16reverse_iteratorISI_EEEEENSH_IJSG_SG_SG_EEES9_SI_JZNS1_25segmented_radix_sort_implINS0_14default_configELb1EPK12hip_bfloat16PSP_PKlPlN2at6native12_GLOBAL__N_18offset_tEEE10hipError_tPvRmT1_PNSt15iterator_traitsIS13_E10value_typeET2_T3_PNS14_IS19_E10value_typeET4_jRbjT5_S1F_jjP12ihipStream_tbEUljE_ZNSN_ISO_Lb1ESR_SS_SU_SV_SZ_EES10_S11_S12_S13_S17_S18_S19_S1C_S1D_jS1E_jS1F_S1F_jjS1H_bEUljE0_EEES10_S11_S12_S19_S1D_S1F_T6_T7_T9_mT8_S1H_bDpT10_ENKUlT_T0_E_clISt17integral_constantIbLb1EES1U_IbLb0EEEEDaS1Q_S1R_EUlS1Q_E_NS1_11comp_targetILNS1_3genE0ELNS1_11target_archE4294967295ELNS1_3gpuE0ELNS1_3repE0EEENS1_30default_config_static_selectorELNS0_4arch9wavefront6targetE0EEEvS13_.uses_flat_scratch, 0
	.set _ZN7rocprim17ROCPRIM_400000_NS6detail17trampoline_kernelINS0_13select_configILj256ELj13ELNS0_17block_load_methodE3ELS4_3ELS4_3ELNS0_20block_scan_algorithmE0ELj4294967295EEENS1_25partition_config_selectorILNS1_17partition_subalgoE4EjNS0_10empty_typeEbEEZZNS1_14partition_implILS8_4ELb0ES6_15HIP_vector_typeIjLj2EENS0_17counting_iteratorIjlEEPS9_SG_NS0_5tupleIJPjSI_NS0_16reverse_iteratorISI_EEEEENSH_IJSG_SG_SG_EEES9_SI_JZNS1_25segmented_radix_sort_implINS0_14default_configELb1EPK12hip_bfloat16PSP_PKlPlN2at6native12_GLOBAL__N_18offset_tEEE10hipError_tPvRmT1_PNSt15iterator_traitsIS13_E10value_typeET2_T3_PNS14_IS19_E10value_typeET4_jRbjT5_S1F_jjP12ihipStream_tbEUljE_ZNSN_ISO_Lb1ESR_SS_SU_SV_SZ_EES10_S11_S12_S13_S17_S18_S19_S1C_S1D_jS1E_jS1F_S1F_jjS1H_bEUljE0_EEES10_S11_S12_S19_S1D_S1F_T6_T7_T9_mT8_S1H_bDpT10_ENKUlT_T0_E_clISt17integral_constantIbLb1EES1U_IbLb0EEEEDaS1Q_S1R_EUlS1Q_E_NS1_11comp_targetILNS1_3genE0ELNS1_11target_archE4294967295ELNS1_3gpuE0ELNS1_3repE0EEENS1_30default_config_static_selectorELNS0_4arch9wavefront6targetE0EEEvS13_.has_dyn_sized_stack, 0
	.set _ZN7rocprim17ROCPRIM_400000_NS6detail17trampoline_kernelINS0_13select_configILj256ELj13ELNS0_17block_load_methodE3ELS4_3ELS4_3ELNS0_20block_scan_algorithmE0ELj4294967295EEENS1_25partition_config_selectorILNS1_17partition_subalgoE4EjNS0_10empty_typeEbEEZZNS1_14partition_implILS8_4ELb0ES6_15HIP_vector_typeIjLj2EENS0_17counting_iteratorIjlEEPS9_SG_NS0_5tupleIJPjSI_NS0_16reverse_iteratorISI_EEEEENSH_IJSG_SG_SG_EEES9_SI_JZNS1_25segmented_radix_sort_implINS0_14default_configELb1EPK12hip_bfloat16PSP_PKlPlN2at6native12_GLOBAL__N_18offset_tEEE10hipError_tPvRmT1_PNSt15iterator_traitsIS13_E10value_typeET2_T3_PNS14_IS19_E10value_typeET4_jRbjT5_S1F_jjP12ihipStream_tbEUljE_ZNSN_ISO_Lb1ESR_SS_SU_SV_SZ_EES10_S11_S12_S13_S17_S18_S19_S1C_S1D_jS1E_jS1F_S1F_jjS1H_bEUljE0_EEES10_S11_S12_S19_S1D_S1F_T6_T7_T9_mT8_S1H_bDpT10_ENKUlT_T0_E_clISt17integral_constantIbLb1EES1U_IbLb0EEEEDaS1Q_S1R_EUlS1Q_E_NS1_11comp_targetILNS1_3genE0ELNS1_11target_archE4294967295ELNS1_3gpuE0ELNS1_3repE0EEENS1_30default_config_static_selectorELNS0_4arch9wavefront6targetE0EEEvS13_.has_recursion, 0
	.set _ZN7rocprim17ROCPRIM_400000_NS6detail17trampoline_kernelINS0_13select_configILj256ELj13ELNS0_17block_load_methodE3ELS4_3ELS4_3ELNS0_20block_scan_algorithmE0ELj4294967295EEENS1_25partition_config_selectorILNS1_17partition_subalgoE4EjNS0_10empty_typeEbEEZZNS1_14partition_implILS8_4ELb0ES6_15HIP_vector_typeIjLj2EENS0_17counting_iteratorIjlEEPS9_SG_NS0_5tupleIJPjSI_NS0_16reverse_iteratorISI_EEEEENSH_IJSG_SG_SG_EEES9_SI_JZNS1_25segmented_radix_sort_implINS0_14default_configELb1EPK12hip_bfloat16PSP_PKlPlN2at6native12_GLOBAL__N_18offset_tEEE10hipError_tPvRmT1_PNSt15iterator_traitsIS13_E10value_typeET2_T3_PNS14_IS19_E10value_typeET4_jRbjT5_S1F_jjP12ihipStream_tbEUljE_ZNSN_ISO_Lb1ESR_SS_SU_SV_SZ_EES10_S11_S12_S13_S17_S18_S19_S1C_S1D_jS1E_jS1F_S1F_jjS1H_bEUljE0_EEES10_S11_S12_S19_S1D_S1F_T6_T7_T9_mT8_S1H_bDpT10_ENKUlT_T0_E_clISt17integral_constantIbLb1EES1U_IbLb0EEEEDaS1Q_S1R_EUlS1Q_E_NS1_11comp_targetILNS1_3genE0ELNS1_11target_archE4294967295ELNS1_3gpuE0ELNS1_3repE0EEENS1_30default_config_static_selectorELNS0_4arch9wavefront6targetE0EEEvS13_.has_indirect_call, 0
	.section	.AMDGPU.csdata,"",@progbits
; Kernel info:
; codeLenInByte = 4
; TotalNumSgprs: 0
; NumVgprs: 0
; ScratchSize: 0
; MemoryBound: 0
; FloatMode: 240
; IeeeMode: 1
; LDSByteSize: 0 bytes/workgroup (compile time only)
; SGPRBlocks: 0
; VGPRBlocks: 0
; NumSGPRsForWavesPerEU: 1
; NumVGPRsForWavesPerEU: 1
; NamedBarCnt: 0
; Occupancy: 16
; WaveLimiterHint : 0
; COMPUTE_PGM_RSRC2:SCRATCH_EN: 0
; COMPUTE_PGM_RSRC2:USER_SGPR: 2
; COMPUTE_PGM_RSRC2:TRAP_HANDLER: 0
; COMPUTE_PGM_RSRC2:TGID_X_EN: 1
; COMPUTE_PGM_RSRC2:TGID_Y_EN: 0
; COMPUTE_PGM_RSRC2:TGID_Z_EN: 0
; COMPUTE_PGM_RSRC2:TIDIG_COMP_CNT: 0
	.section	.text._ZN7rocprim17ROCPRIM_400000_NS6detail17trampoline_kernelINS0_13select_configILj256ELj13ELNS0_17block_load_methodE3ELS4_3ELS4_3ELNS0_20block_scan_algorithmE0ELj4294967295EEENS1_25partition_config_selectorILNS1_17partition_subalgoE4EjNS0_10empty_typeEbEEZZNS1_14partition_implILS8_4ELb0ES6_15HIP_vector_typeIjLj2EENS0_17counting_iteratorIjlEEPS9_SG_NS0_5tupleIJPjSI_NS0_16reverse_iteratorISI_EEEEENSH_IJSG_SG_SG_EEES9_SI_JZNS1_25segmented_radix_sort_implINS0_14default_configELb1EPK12hip_bfloat16PSP_PKlPlN2at6native12_GLOBAL__N_18offset_tEEE10hipError_tPvRmT1_PNSt15iterator_traitsIS13_E10value_typeET2_T3_PNS14_IS19_E10value_typeET4_jRbjT5_S1F_jjP12ihipStream_tbEUljE_ZNSN_ISO_Lb1ESR_SS_SU_SV_SZ_EES10_S11_S12_S13_S17_S18_S19_S1C_S1D_jS1E_jS1F_S1F_jjS1H_bEUljE0_EEES10_S11_S12_S19_S1D_S1F_T6_T7_T9_mT8_S1H_bDpT10_ENKUlT_T0_E_clISt17integral_constantIbLb1EES1U_IbLb0EEEEDaS1Q_S1R_EUlS1Q_E_NS1_11comp_targetILNS1_3genE5ELNS1_11target_archE942ELNS1_3gpuE9ELNS1_3repE0EEENS1_30default_config_static_selectorELNS0_4arch9wavefront6targetE0EEEvS13_,"axG",@progbits,_ZN7rocprim17ROCPRIM_400000_NS6detail17trampoline_kernelINS0_13select_configILj256ELj13ELNS0_17block_load_methodE3ELS4_3ELS4_3ELNS0_20block_scan_algorithmE0ELj4294967295EEENS1_25partition_config_selectorILNS1_17partition_subalgoE4EjNS0_10empty_typeEbEEZZNS1_14partition_implILS8_4ELb0ES6_15HIP_vector_typeIjLj2EENS0_17counting_iteratorIjlEEPS9_SG_NS0_5tupleIJPjSI_NS0_16reverse_iteratorISI_EEEEENSH_IJSG_SG_SG_EEES9_SI_JZNS1_25segmented_radix_sort_implINS0_14default_configELb1EPK12hip_bfloat16PSP_PKlPlN2at6native12_GLOBAL__N_18offset_tEEE10hipError_tPvRmT1_PNSt15iterator_traitsIS13_E10value_typeET2_T3_PNS14_IS19_E10value_typeET4_jRbjT5_S1F_jjP12ihipStream_tbEUljE_ZNSN_ISO_Lb1ESR_SS_SU_SV_SZ_EES10_S11_S12_S13_S17_S18_S19_S1C_S1D_jS1E_jS1F_S1F_jjS1H_bEUljE0_EEES10_S11_S12_S19_S1D_S1F_T6_T7_T9_mT8_S1H_bDpT10_ENKUlT_T0_E_clISt17integral_constantIbLb1EES1U_IbLb0EEEEDaS1Q_S1R_EUlS1Q_E_NS1_11comp_targetILNS1_3genE5ELNS1_11target_archE942ELNS1_3gpuE9ELNS1_3repE0EEENS1_30default_config_static_selectorELNS0_4arch9wavefront6targetE0EEEvS13_,comdat
	.globl	_ZN7rocprim17ROCPRIM_400000_NS6detail17trampoline_kernelINS0_13select_configILj256ELj13ELNS0_17block_load_methodE3ELS4_3ELS4_3ELNS0_20block_scan_algorithmE0ELj4294967295EEENS1_25partition_config_selectorILNS1_17partition_subalgoE4EjNS0_10empty_typeEbEEZZNS1_14partition_implILS8_4ELb0ES6_15HIP_vector_typeIjLj2EENS0_17counting_iteratorIjlEEPS9_SG_NS0_5tupleIJPjSI_NS0_16reverse_iteratorISI_EEEEENSH_IJSG_SG_SG_EEES9_SI_JZNS1_25segmented_radix_sort_implINS0_14default_configELb1EPK12hip_bfloat16PSP_PKlPlN2at6native12_GLOBAL__N_18offset_tEEE10hipError_tPvRmT1_PNSt15iterator_traitsIS13_E10value_typeET2_T3_PNS14_IS19_E10value_typeET4_jRbjT5_S1F_jjP12ihipStream_tbEUljE_ZNSN_ISO_Lb1ESR_SS_SU_SV_SZ_EES10_S11_S12_S13_S17_S18_S19_S1C_S1D_jS1E_jS1F_S1F_jjS1H_bEUljE0_EEES10_S11_S12_S19_S1D_S1F_T6_T7_T9_mT8_S1H_bDpT10_ENKUlT_T0_E_clISt17integral_constantIbLb1EES1U_IbLb0EEEEDaS1Q_S1R_EUlS1Q_E_NS1_11comp_targetILNS1_3genE5ELNS1_11target_archE942ELNS1_3gpuE9ELNS1_3repE0EEENS1_30default_config_static_selectorELNS0_4arch9wavefront6targetE0EEEvS13_ ; -- Begin function _ZN7rocprim17ROCPRIM_400000_NS6detail17trampoline_kernelINS0_13select_configILj256ELj13ELNS0_17block_load_methodE3ELS4_3ELS4_3ELNS0_20block_scan_algorithmE0ELj4294967295EEENS1_25partition_config_selectorILNS1_17partition_subalgoE4EjNS0_10empty_typeEbEEZZNS1_14partition_implILS8_4ELb0ES6_15HIP_vector_typeIjLj2EENS0_17counting_iteratorIjlEEPS9_SG_NS0_5tupleIJPjSI_NS0_16reverse_iteratorISI_EEEEENSH_IJSG_SG_SG_EEES9_SI_JZNS1_25segmented_radix_sort_implINS0_14default_configELb1EPK12hip_bfloat16PSP_PKlPlN2at6native12_GLOBAL__N_18offset_tEEE10hipError_tPvRmT1_PNSt15iterator_traitsIS13_E10value_typeET2_T3_PNS14_IS19_E10value_typeET4_jRbjT5_S1F_jjP12ihipStream_tbEUljE_ZNSN_ISO_Lb1ESR_SS_SU_SV_SZ_EES10_S11_S12_S13_S17_S18_S19_S1C_S1D_jS1E_jS1F_S1F_jjS1H_bEUljE0_EEES10_S11_S12_S19_S1D_S1F_T6_T7_T9_mT8_S1H_bDpT10_ENKUlT_T0_E_clISt17integral_constantIbLb1EES1U_IbLb0EEEEDaS1Q_S1R_EUlS1Q_E_NS1_11comp_targetILNS1_3genE5ELNS1_11target_archE942ELNS1_3gpuE9ELNS1_3repE0EEENS1_30default_config_static_selectorELNS0_4arch9wavefront6targetE0EEEvS13_
	.p2align	8
	.type	_ZN7rocprim17ROCPRIM_400000_NS6detail17trampoline_kernelINS0_13select_configILj256ELj13ELNS0_17block_load_methodE3ELS4_3ELS4_3ELNS0_20block_scan_algorithmE0ELj4294967295EEENS1_25partition_config_selectorILNS1_17partition_subalgoE4EjNS0_10empty_typeEbEEZZNS1_14partition_implILS8_4ELb0ES6_15HIP_vector_typeIjLj2EENS0_17counting_iteratorIjlEEPS9_SG_NS0_5tupleIJPjSI_NS0_16reverse_iteratorISI_EEEEENSH_IJSG_SG_SG_EEES9_SI_JZNS1_25segmented_radix_sort_implINS0_14default_configELb1EPK12hip_bfloat16PSP_PKlPlN2at6native12_GLOBAL__N_18offset_tEEE10hipError_tPvRmT1_PNSt15iterator_traitsIS13_E10value_typeET2_T3_PNS14_IS19_E10value_typeET4_jRbjT5_S1F_jjP12ihipStream_tbEUljE_ZNSN_ISO_Lb1ESR_SS_SU_SV_SZ_EES10_S11_S12_S13_S17_S18_S19_S1C_S1D_jS1E_jS1F_S1F_jjS1H_bEUljE0_EEES10_S11_S12_S19_S1D_S1F_T6_T7_T9_mT8_S1H_bDpT10_ENKUlT_T0_E_clISt17integral_constantIbLb1EES1U_IbLb0EEEEDaS1Q_S1R_EUlS1Q_E_NS1_11comp_targetILNS1_3genE5ELNS1_11target_archE942ELNS1_3gpuE9ELNS1_3repE0EEENS1_30default_config_static_selectorELNS0_4arch9wavefront6targetE0EEEvS13_,@function
_ZN7rocprim17ROCPRIM_400000_NS6detail17trampoline_kernelINS0_13select_configILj256ELj13ELNS0_17block_load_methodE3ELS4_3ELS4_3ELNS0_20block_scan_algorithmE0ELj4294967295EEENS1_25partition_config_selectorILNS1_17partition_subalgoE4EjNS0_10empty_typeEbEEZZNS1_14partition_implILS8_4ELb0ES6_15HIP_vector_typeIjLj2EENS0_17counting_iteratorIjlEEPS9_SG_NS0_5tupleIJPjSI_NS0_16reverse_iteratorISI_EEEEENSH_IJSG_SG_SG_EEES9_SI_JZNS1_25segmented_radix_sort_implINS0_14default_configELb1EPK12hip_bfloat16PSP_PKlPlN2at6native12_GLOBAL__N_18offset_tEEE10hipError_tPvRmT1_PNSt15iterator_traitsIS13_E10value_typeET2_T3_PNS14_IS19_E10value_typeET4_jRbjT5_S1F_jjP12ihipStream_tbEUljE_ZNSN_ISO_Lb1ESR_SS_SU_SV_SZ_EES10_S11_S12_S13_S17_S18_S19_S1C_S1D_jS1E_jS1F_S1F_jjS1H_bEUljE0_EEES10_S11_S12_S19_S1D_S1F_T6_T7_T9_mT8_S1H_bDpT10_ENKUlT_T0_E_clISt17integral_constantIbLb1EES1U_IbLb0EEEEDaS1Q_S1R_EUlS1Q_E_NS1_11comp_targetILNS1_3genE5ELNS1_11target_archE942ELNS1_3gpuE9ELNS1_3repE0EEENS1_30default_config_static_selectorELNS0_4arch9wavefront6targetE0EEEvS13_: ; @_ZN7rocprim17ROCPRIM_400000_NS6detail17trampoline_kernelINS0_13select_configILj256ELj13ELNS0_17block_load_methodE3ELS4_3ELS4_3ELNS0_20block_scan_algorithmE0ELj4294967295EEENS1_25partition_config_selectorILNS1_17partition_subalgoE4EjNS0_10empty_typeEbEEZZNS1_14partition_implILS8_4ELb0ES6_15HIP_vector_typeIjLj2EENS0_17counting_iteratorIjlEEPS9_SG_NS0_5tupleIJPjSI_NS0_16reverse_iteratorISI_EEEEENSH_IJSG_SG_SG_EEES9_SI_JZNS1_25segmented_radix_sort_implINS0_14default_configELb1EPK12hip_bfloat16PSP_PKlPlN2at6native12_GLOBAL__N_18offset_tEEE10hipError_tPvRmT1_PNSt15iterator_traitsIS13_E10value_typeET2_T3_PNS14_IS19_E10value_typeET4_jRbjT5_S1F_jjP12ihipStream_tbEUljE_ZNSN_ISO_Lb1ESR_SS_SU_SV_SZ_EES10_S11_S12_S13_S17_S18_S19_S1C_S1D_jS1E_jS1F_S1F_jjS1H_bEUljE0_EEES10_S11_S12_S19_S1D_S1F_T6_T7_T9_mT8_S1H_bDpT10_ENKUlT_T0_E_clISt17integral_constantIbLb1EES1U_IbLb0EEEEDaS1Q_S1R_EUlS1Q_E_NS1_11comp_targetILNS1_3genE5ELNS1_11target_archE942ELNS1_3gpuE9ELNS1_3repE0EEENS1_30default_config_static_selectorELNS0_4arch9wavefront6targetE0EEEvS13_
; %bb.0:
	.section	.rodata,"a",@progbits
	.p2align	6, 0x0
	.amdhsa_kernel _ZN7rocprim17ROCPRIM_400000_NS6detail17trampoline_kernelINS0_13select_configILj256ELj13ELNS0_17block_load_methodE3ELS4_3ELS4_3ELNS0_20block_scan_algorithmE0ELj4294967295EEENS1_25partition_config_selectorILNS1_17partition_subalgoE4EjNS0_10empty_typeEbEEZZNS1_14partition_implILS8_4ELb0ES6_15HIP_vector_typeIjLj2EENS0_17counting_iteratorIjlEEPS9_SG_NS0_5tupleIJPjSI_NS0_16reverse_iteratorISI_EEEEENSH_IJSG_SG_SG_EEES9_SI_JZNS1_25segmented_radix_sort_implINS0_14default_configELb1EPK12hip_bfloat16PSP_PKlPlN2at6native12_GLOBAL__N_18offset_tEEE10hipError_tPvRmT1_PNSt15iterator_traitsIS13_E10value_typeET2_T3_PNS14_IS19_E10value_typeET4_jRbjT5_S1F_jjP12ihipStream_tbEUljE_ZNSN_ISO_Lb1ESR_SS_SU_SV_SZ_EES10_S11_S12_S13_S17_S18_S19_S1C_S1D_jS1E_jS1F_S1F_jjS1H_bEUljE0_EEES10_S11_S12_S19_S1D_S1F_T6_T7_T9_mT8_S1H_bDpT10_ENKUlT_T0_E_clISt17integral_constantIbLb1EES1U_IbLb0EEEEDaS1Q_S1R_EUlS1Q_E_NS1_11comp_targetILNS1_3genE5ELNS1_11target_archE942ELNS1_3gpuE9ELNS1_3repE0EEENS1_30default_config_static_selectorELNS0_4arch9wavefront6targetE0EEEvS13_
		.amdhsa_group_segment_fixed_size 0
		.amdhsa_private_segment_fixed_size 0
		.amdhsa_kernarg_size 176
		.amdhsa_user_sgpr_count 2
		.amdhsa_user_sgpr_dispatch_ptr 0
		.amdhsa_user_sgpr_queue_ptr 0
		.amdhsa_user_sgpr_kernarg_segment_ptr 1
		.amdhsa_user_sgpr_dispatch_id 0
		.amdhsa_user_sgpr_kernarg_preload_length 0
		.amdhsa_user_sgpr_kernarg_preload_offset 0
		.amdhsa_user_sgpr_private_segment_size 0
		.amdhsa_wavefront_size32 1
		.amdhsa_uses_dynamic_stack 0
		.amdhsa_enable_private_segment 0
		.amdhsa_system_sgpr_workgroup_id_x 1
		.amdhsa_system_sgpr_workgroup_id_y 0
		.amdhsa_system_sgpr_workgroup_id_z 0
		.amdhsa_system_sgpr_workgroup_info 0
		.amdhsa_system_vgpr_workitem_id 0
		.amdhsa_next_free_vgpr 1
		.amdhsa_next_free_sgpr 1
		.amdhsa_named_barrier_count 0
		.amdhsa_reserve_vcc 0
		.amdhsa_float_round_mode_32 0
		.amdhsa_float_round_mode_16_64 0
		.amdhsa_float_denorm_mode_32 3
		.amdhsa_float_denorm_mode_16_64 3
		.amdhsa_fp16_overflow 0
		.amdhsa_memory_ordered 1
		.amdhsa_forward_progress 1
		.amdhsa_inst_pref_size 0
		.amdhsa_round_robin_scheduling 0
		.amdhsa_exception_fp_ieee_invalid_op 0
		.amdhsa_exception_fp_denorm_src 0
		.amdhsa_exception_fp_ieee_div_zero 0
		.amdhsa_exception_fp_ieee_overflow 0
		.amdhsa_exception_fp_ieee_underflow 0
		.amdhsa_exception_fp_ieee_inexact 0
		.amdhsa_exception_int_div_zero 0
	.end_amdhsa_kernel
	.section	.text._ZN7rocprim17ROCPRIM_400000_NS6detail17trampoline_kernelINS0_13select_configILj256ELj13ELNS0_17block_load_methodE3ELS4_3ELS4_3ELNS0_20block_scan_algorithmE0ELj4294967295EEENS1_25partition_config_selectorILNS1_17partition_subalgoE4EjNS0_10empty_typeEbEEZZNS1_14partition_implILS8_4ELb0ES6_15HIP_vector_typeIjLj2EENS0_17counting_iteratorIjlEEPS9_SG_NS0_5tupleIJPjSI_NS0_16reverse_iteratorISI_EEEEENSH_IJSG_SG_SG_EEES9_SI_JZNS1_25segmented_radix_sort_implINS0_14default_configELb1EPK12hip_bfloat16PSP_PKlPlN2at6native12_GLOBAL__N_18offset_tEEE10hipError_tPvRmT1_PNSt15iterator_traitsIS13_E10value_typeET2_T3_PNS14_IS19_E10value_typeET4_jRbjT5_S1F_jjP12ihipStream_tbEUljE_ZNSN_ISO_Lb1ESR_SS_SU_SV_SZ_EES10_S11_S12_S13_S17_S18_S19_S1C_S1D_jS1E_jS1F_S1F_jjS1H_bEUljE0_EEES10_S11_S12_S19_S1D_S1F_T6_T7_T9_mT8_S1H_bDpT10_ENKUlT_T0_E_clISt17integral_constantIbLb1EES1U_IbLb0EEEEDaS1Q_S1R_EUlS1Q_E_NS1_11comp_targetILNS1_3genE5ELNS1_11target_archE942ELNS1_3gpuE9ELNS1_3repE0EEENS1_30default_config_static_selectorELNS0_4arch9wavefront6targetE0EEEvS13_,"axG",@progbits,_ZN7rocprim17ROCPRIM_400000_NS6detail17trampoline_kernelINS0_13select_configILj256ELj13ELNS0_17block_load_methodE3ELS4_3ELS4_3ELNS0_20block_scan_algorithmE0ELj4294967295EEENS1_25partition_config_selectorILNS1_17partition_subalgoE4EjNS0_10empty_typeEbEEZZNS1_14partition_implILS8_4ELb0ES6_15HIP_vector_typeIjLj2EENS0_17counting_iteratorIjlEEPS9_SG_NS0_5tupleIJPjSI_NS0_16reverse_iteratorISI_EEEEENSH_IJSG_SG_SG_EEES9_SI_JZNS1_25segmented_radix_sort_implINS0_14default_configELb1EPK12hip_bfloat16PSP_PKlPlN2at6native12_GLOBAL__N_18offset_tEEE10hipError_tPvRmT1_PNSt15iterator_traitsIS13_E10value_typeET2_T3_PNS14_IS19_E10value_typeET4_jRbjT5_S1F_jjP12ihipStream_tbEUljE_ZNSN_ISO_Lb1ESR_SS_SU_SV_SZ_EES10_S11_S12_S13_S17_S18_S19_S1C_S1D_jS1E_jS1F_S1F_jjS1H_bEUljE0_EEES10_S11_S12_S19_S1D_S1F_T6_T7_T9_mT8_S1H_bDpT10_ENKUlT_T0_E_clISt17integral_constantIbLb1EES1U_IbLb0EEEEDaS1Q_S1R_EUlS1Q_E_NS1_11comp_targetILNS1_3genE5ELNS1_11target_archE942ELNS1_3gpuE9ELNS1_3repE0EEENS1_30default_config_static_selectorELNS0_4arch9wavefront6targetE0EEEvS13_,comdat
.Lfunc_end1889:
	.size	_ZN7rocprim17ROCPRIM_400000_NS6detail17trampoline_kernelINS0_13select_configILj256ELj13ELNS0_17block_load_methodE3ELS4_3ELS4_3ELNS0_20block_scan_algorithmE0ELj4294967295EEENS1_25partition_config_selectorILNS1_17partition_subalgoE4EjNS0_10empty_typeEbEEZZNS1_14partition_implILS8_4ELb0ES6_15HIP_vector_typeIjLj2EENS0_17counting_iteratorIjlEEPS9_SG_NS0_5tupleIJPjSI_NS0_16reverse_iteratorISI_EEEEENSH_IJSG_SG_SG_EEES9_SI_JZNS1_25segmented_radix_sort_implINS0_14default_configELb1EPK12hip_bfloat16PSP_PKlPlN2at6native12_GLOBAL__N_18offset_tEEE10hipError_tPvRmT1_PNSt15iterator_traitsIS13_E10value_typeET2_T3_PNS14_IS19_E10value_typeET4_jRbjT5_S1F_jjP12ihipStream_tbEUljE_ZNSN_ISO_Lb1ESR_SS_SU_SV_SZ_EES10_S11_S12_S13_S17_S18_S19_S1C_S1D_jS1E_jS1F_S1F_jjS1H_bEUljE0_EEES10_S11_S12_S19_S1D_S1F_T6_T7_T9_mT8_S1H_bDpT10_ENKUlT_T0_E_clISt17integral_constantIbLb1EES1U_IbLb0EEEEDaS1Q_S1R_EUlS1Q_E_NS1_11comp_targetILNS1_3genE5ELNS1_11target_archE942ELNS1_3gpuE9ELNS1_3repE0EEENS1_30default_config_static_selectorELNS0_4arch9wavefront6targetE0EEEvS13_, .Lfunc_end1889-_ZN7rocprim17ROCPRIM_400000_NS6detail17trampoline_kernelINS0_13select_configILj256ELj13ELNS0_17block_load_methodE3ELS4_3ELS4_3ELNS0_20block_scan_algorithmE0ELj4294967295EEENS1_25partition_config_selectorILNS1_17partition_subalgoE4EjNS0_10empty_typeEbEEZZNS1_14partition_implILS8_4ELb0ES6_15HIP_vector_typeIjLj2EENS0_17counting_iteratorIjlEEPS9_SG_NS0_5tupleIJPjSI_NS0_16reverse_iteratorISI_EEEEENSH_IJSG_SG_SG_EEES9_SI_JZNS1_25segmented_radix_sort_implINS0_14default_configELb1EPK12hip_bfloat16PSP_PKlPlN2at6native12_GLOBAL__N_18offset_tEEE10hipError_tPvRmT1_PNSt15iterator_traitsIS13_E10value_typeET2_T3_PNS14_IS19_E10value_typeET4_jRbjT5_S1F_jjP12ihipStream_tbEUljE_ZNSN_ISO_Lb1ESR_SS_SU_SV_SZ_EES10_S11_S12_S13_S17_S18_S19_S1C_S1D_jS1E_jS1F_S1F_jjS1H_bEUljE0_EEES10_S11_S12_S19_S1D_S1F_T6_T7_T9_mT8_S1H_bDpT10_ENKUlT_T0_E_clISt17integral_constantIbLb1EES1U_IbLb0EEEEDaS1Q_S1R_EUlS1Q_E_NS1_11comp_targetILNS1_3genE5ELNS1_11target_archE942ELNS1_3gpuE9ELNS1_3repE0EEENS1_30default_config_static_selectorELNS0_4arch9wavefront6targetE0EEEvS13_
                                        ; -- End function
	.set _ZN7rocprim17ROCPRIM_400000_NS6detail17trampoline_kernelINS0_13select_configILj256ELj13ELNS0_17block_load_methodE3ELS4_3ELS4_3ELNS0_20block_scan_algorithmE0ELj4294967295EEENS1_25partition_config_selectorILNS1_17partition_subalgoE4EjNS0_10empty_typeEbEEZZNS1_14partition_implILS8_4ELb0ES6_15HIP_vector_typeIjLj2EENS0_17counting_iteratorIjlEEPS9_SG_NS0_5tupleIJPjSI_NS0_16reverse_iteratorISI_EEEEENSH_IJSG_SG_SG_EEES9_SI_JZNS1_25segmented_radix_sort_implINS0_14default_configELb1EPK12hip_bfloat16PSP_PKlPlN2at6native12_GLOBAL__N_18offset_tEEE10hipError_tPvRmT1_PNSt15iterator_traitsIS13_E10value_typeET2_T3_PNS14_IS19_E10value_typeET4_jRbjT5_S1F_jjP12ihipStream_tbEUljE_ZNSN_ISO_Lb1ESR_SS_SU_SV_SZ_EES10_S11_S12_S13_S17_S18_S19_S1C_S1D_jS1E_jS1F_S1F_jjS1H_bEUljE0_EEES10_S11_S12_S19_S1D_S1F_T6_T7_T9_mT8_S1H_bDpT10_ENKUlT_T0_E_clISt17integral_constantIbLb1EES1U_IbLb0EEEEDaS1Q_S1R_EUlS1Q_E_NS1_11comp_targetILNS1_3genE5ELNS1_11target_archE942ELNS1_3gpuE9ELNS1_3repE0EEENS1_30default_config_static_selectorELNS0_4arch9wavefront6targetE0EEEvS13_.num_vgpr, 0
	.set _ZN7rocprim17ROCPRIM_400000_NS6detail17trampoline_kernelINS0_13select_configILj256ELj13ELNS0_17block_load_methodE3ELS4_3ELS4_3ELNS0_20block_scan_algorithmE0ELj4294967295EEENS1_25partition_config_selectorILNS1_17partition_subalgoE4EjNS0_10empty_typeEbEEZZNS1_14partition_implILS8_4ELb0ES6_15HIP_vector_typeIjLj2EENS0_17counting_iteratorIjlEEPS9_SG_NS0_5tupleIJPjSI_NS0_16reverse_iteratorISI_EEEEENSH_IJSG_SG_SG_EEES9_SI_JZNS1_25segmented_radix_sort_implINS0_14default_configELb1EPK12hip_bfloat16PSP_PKlPlN2at6native12_GLOBAL__N_18offset_tEEE10hipError_tPvRmT1_PNSt15iterator_traitsIS13_E10value_typeET2_T3_PNS14_IS19_E10value_typeET4_jRbjT5_S1F_jjP12ihipStream_tbEUljE_ZNSN_ISO_Lb1ESR_SS_SU_SV_SZ_EES10_S11_S12_S13_S17_S18_S19_S1C_S1D_jS1E_jS1F_S1F_jjS1H_bEUljE0_EEES10_S11_S12_S19_S1D_S1F_T6_T7_T9_mT8_S1H_bDpT10_ENKUlT_T0_E_clISt17integral_constantIbLb1EES1U_IbLb0EEEEDaS1Q_S1R_EUlS1Q_E_NS1_11comp_targetILNS1_3genE5ELNS1_11target_archE942ELNS1_3gpuE9ELNS1_3repE0EEENS1_30default_config_static_selectorELNS0_4arch9wavefront6targetE0EEEvS13_.num_agpr, 0
	.set _ZN7rocprim17ROCPRIM_400000_NS6detail17trampoline_kernelINS0_13select_configILj256ELj13ELNS0_17block_load_methodE3ELS4_3ELS4_3ELNS0_20block_scan_algorithmE0ELj4294967295EEENS1_25partition_config_selectorILNS1_17partition_subalgoE4EjNS0_10empty_typeEbEEZZNS1_14partition_implILS8_4ELb0ES6_15HIP_vector_typeIjLj2EENS0_17counting_iteratorIjlEEPS9_SG_NS0_5tupleIJPjSI_NS0_16reverse_iteratorISI_EEEEENSH_IJSG_SG_SG_EEES9_SI_JZNS1_25segmented_radix_sort_implINS0_14default_configELb1EPK12hip_bfloat16PSP_PKlPlN2at6native12_GLOBAL__N_18offset_tEEE10hipError_tPvRmT1_PNSt15iterator_traitsIS13_E10value_typeET2_T3_PNS14_IS19_E10value_typeET4_jRbjT5_S1F_jjP12ihipStream_tbEUljE_ZNSN_ISO_Lb1ESR_SS_SU_SV_SZ_EES10_S11_S12_S13_S17_S18_S19_S1C_S1D_jS1E_jS1F_S1F_jjS1H_bEUljE0_EEES10_S11_S12_S19_S1D_S1F_T6_T7_T9_mT8_S1H_bDpT10_ENKUlT_T0_E_clISt17integral_constantIbLb1EES1U_IbLb0EEEEDaS1Q_S1R_EUlS1Q_E_NS1_11comp_targetILNS1_3genE5ELNS1_11target_archE942ELNS1_3gpuE9ELNS1_3repE0EEENS1_30default_config_static_selectorELNS0_4arch9wavefront6targetE0EEEvS13_.numbered_sgpr, 0
	.set _ZN7rocprim17ROCPRIM_400000_NS6detail17trampoline_kernelINS0_13select_configILj256ELj13ELNS0_17block_load_methodE3ELS4_3ELS4_3ELNS0_20block_scan_algorithmE0ELj4294967295EEENS1_25partition_config_selectorILNS1_17partition_subalgoE4EjNS0_10empty_typeEbEEZZNS1_14partition_implILS8_4ELb0ES6_15HIP_vector_typeIjLj2EENS0_17counting_iteratorIjlEEPS9_SG_NS0_5tupleIJPjSI_NS0_16reverse_iteratorISI_EEEEENSH_IJSG_SG_SG_EEES9_SI_JZNS1_25segmented_radix_sort_implINS0_14default_configELb1EPK12hip_bfloat16PSP_PKlPlN2at6native12_GLOBAL__N_18offset_tEEE10hipError_tPvRmT1_PNSt15iterator_traitsIS13_E10value_typeET2_T3_PNS14_IS19_E10value_typeET4_jRbjT5_S1F_jjP12ihipStream_tbEUljE_ZNSN_ISO_Lb1ESR_SS_SU_SV_SZ_EES10_S11_S12_S13_S17_S18_S19_S1C_S1D_jS1E_jS1F_S1F_jjS1H_bEUljE0_EEES10_S11_S12_S19_S1D_S1F_T6_T7_T9_mT8_S1H_bDpT10_ENKUlT_T0_E_clISt17integral_constantIbLb1EES1U_IbLb0EEEEDaS1Q_S1R_EUlS1Q_E_NS1_11comp_targetILNS1_3genE5ELNS1_11target_archE942ELNS1_3gpuE9ELNS1_3repE0EEENS1_30default_config_static_selectorELNS0_4arch9wavefront6targetE0EEEvS13_.num_named_barrier, 0
	.set _ZN7rocprim17ROCPRIM_400000_NS6detail17trampoline_kernelINS0_13select_configILj256ELj13ELNS0_17block_load_methodE3ELS4_3ELS4_3ELNS0_20block_scan_algorithmE0ELj4294967295EEENS1_25partition_config_selectorILNS1_17partition_subalgoE4EjNS0_10empty_typeEbEEZZNS1_14partition_implILS8_4ELb0ES6_15HIP_vector_typeIjLj2EENS0_17counting_iteratorIjlEEPS9_SG_NS0_5tupleIJPjSI_NS0_16reverse_iteratorISI_EEEEENSH_IJSG_SG_SG_EEES9_SI_JZNS1_25segmented_radix_sort_implINS0_14default_configELb1EPK12hip_bfloat16PSP_PKlPlN2at6native12_GLOBAL__N_18offset_tEEE10hipError_tPvRmT1_PNSt15iterator_traitsIS13_E10value_typeET2_T3_PNS14_IS19_E10value_typeET4_jRbjT5_S1F_jjP12ihipStream_tbEUljE_ZNSN_ISO_Lb1ESR_SS_SU_SV_SZ_EES10_S11_S12_S13_S17_S18_S19_S1C_S1D_jS1E_jS1F_S1F_jjS1H_bEUljE0_EEES10_S11_S12_S19_S1D_S1F_T6_T7_T9_mT8_S1H_bDpT10_ENKUlT_T0_E_clISt17integral_constantIbLb1EES1U_IbLb0EEEEDaS1Q_S1R_EUlS1Q_E_NS1_11comp_targetILNS1_3genE5ELNS1_11target_archE942ELNS1_3gpuE9ELNS1_3repE0EEENS1_30default_config_static_selectorELNS0_4arch9wavefront6targetE0EEEvS13_.private_seg_size, 0
	.set _ZN7rocprim17ROCPRIM_400000_NS6detail17trampoline_kernelINS0_13select_configILj256ELj13ELNS0_17block_load_methodE3ELS4_3ELS4_3ELNS0_20block_scan_algorithmE0ELj4294967295EEENS1_25partition_config_selectorILNS1_17partition_subalgoE4EjNS0_10empty_typeEbEEZZNS1_14partition_implILS8_4ELb0ES6_15HIP_vector_typeIjLj2EENS0_17counting_iteratorIjlEEPS9_SG_NS0_5tupleIJPjSI_NS0_16reverse_iteratorISI_EEEEENSH_IJSG_SG_SG_EEES9_SI_JZNS1_25segmented_radix_sort_implINS0_14default_configELb1EPK12hip_bfloat16PSP_PKlPlN2at6native12_GLOBAL__N_18offset_tEEE10hipError_tPvRmT1_PNSt15iterator_traitsIS13_E10value_typeET2_T3_PNS14_IS19_E10value_typeET4_jRbjT5_S1F_jjP12ihipStream_tbEUljE_ZNSN_ISO_Lb1ESR_SS_SU_SV_SZ_EES10_S11_S12_S13_S17_S18_S19_S1C_S1D_jS1E_jS1F_S1F_jjS1H_bEUljE0_EEES10_S11_S12_S19_S1D_S1F_T6_T7_T9_mT8_S1H_bDpT10_ENKUlT_T0_E_clISt17integral_constantIbLb1EES1U_IbLb0EEEEDaS1Q_S1R_EUlS1Q_E_NS1_11comp_targetILNS1_3genE5ELNS1_11target_archE942ELNS1_3gpuE9ELNS1_3repE0EEENS1_30default_config_static_selectorELNS0_4arch9wavefront6targetE0EEEvS13_.uses_vcc, 0
	.set _ZN7rocprim17ROCPRIM_400000_NS6detail17trampoline_kernelINS0_13select_configILj256ELj13ELNS0_17block_load_methodE3ELS4_3ELS4_3ELNS0_20block_scan_algorithmE0ELj4294967295EEENS1_25partition_config_selectorILNS1_17partition_subalgoE4EjNS0_10empty_typeEbEEZZNS1_14partition_implILS8_4ELb0ES6_15HIP_vector_typeIjLj2EENS0_17counting_iteratorIjlEEPS9_SG_NS0_5tupleIJPjSI_NS0_16reverse_iteratorISI_EEEEENSH_IJSG_SG_SG_EEES9_SI_JZNS1_25segmented_radix_sort_implINS0_14default_configELb1EPK12hip_bfloat16PSP_PKlPlN2at6native12_GLOBAL__N_18offset_tEEE10hipError_tPvRmT1_PNSt15iterator_traitsIS13_E10value_typeET2_T3_PNS14_IS19_E10value_typeET4_jRbjT5_S1F_jjP12ihipStream_tbEUljE_ZNSN_ISO_Lb1ESR_SS_SU_SV_SZ_EES10_S11_S12_S13_S17_S18_S19_S1C_S1D_jS1E_jS1F_S1F_jjS1H_bEUljE0_EEES10_S11_S12_S19_S1D_S1F_T6_T7_T9_mT8_S1H_bDpT10_ENKUlT_T0_E_clISt17integral_constantIbLb1EES1U_IbLb0EEEEDaS1Q_S1R_EUlS1Q_E_NS1_11comp_targetILNS1_3genE5ELNS1_11target_archE942ELNS1_3gpuE9ELNS1_3repE0EEENS1_30default_config_static_selectorELNS0_4arch9wavefront6targetE0EEEvS13_.uses_flat_scratch, 0
	.set _ZN7rocprim17ROCPRIM_400000_NS6detail17trampoline_kernelINS0_13select_configILj256ELj13ELNS0_17block_load_methodE3ELS4_3ELS4_3ELNS0_20block_scan_algorithmE0ELj4294967295EEENS1_25partition_config_selectorILNS1_17partition_subalgoE4EjNS0_10empty_typeEbEEZZNS1_14partition_implILS8_4ELb0ES6_15HIP_vector_typeIjLj2EENS0_17counting_iteratorIjlEEPS9_SG_NS0_5tupleIJPjSI_NS0_16reverse_iteratorISI_EEEEENSH_IJSG_SG_SG_EEES9_SI_JZNS1_25segmented_radix_sort_implINS0_14default_configELb1EPK12hip_bfloat16PSP_PKlPlN2at6native12_GLOBAL__N_18offset_tEEE10hipError_tPvRmT1_PNSt15iterator_traitsIS13_E10value_typeET2_T3_PNS14_IS19_E10value_typeET4_jRbjT5_S1F_jjP12ihipStream_tbEUljE_ZNSN_ISO_Lb1ESR_SS_SU_SV_SZ_EES10_S11_S12_S13_S17_S18_S19_S1C_S1D_jS1E_jS1F_S1F_jjS1H_bEUljE0_EEES10_S11_S12_S19_S1D_S1F_T6_T7_T9_mT8_S1H_bDpT10_ENKUlT_T0_E_clISt17integral_constantIbLb1EES1U_IbLb0EEEEDaS1Q_S1R_EUlS1Q_E_NS1_11comp_targetILNS1_3genE5ELNS1_11target_archE942ELNS1_3gpuE9ELNS1_3repE0EEENS1_30default_config_static_selectorELNS0_4arch9wavefront6targetE0EEEvS13_.has_dyn_sized_stack, 0
	.set _ZN7rocprim17ROCPRIM_400000_NS6detail17trampoline_kernelINS0_13select_configILj256ELj13ELNS0_17block_load_methodE3ELS4_3ELS4_3ELNS0_20block_scan_algorithmE0ELj4294967295EEENS1_25partition_config_selectorILNS1_17partition_subalgoE4EjNS0_10empty_typeEbEEZZNS1_14partition_implILS8_4ELb0ES6_15HIP_vector_typeIjLj2EENS0_17counting_iteratorIjlEEPS9_SG_NS0_5tupleIJPjSI_NS0_16reverse_iteratorISI_EEEEENSH_IJSG_SG_SG_EEES9_SI_JZNS1_25segmented_radix_sort_implINS0_14default_configELb1EPK12hip_bfloat16PSP_PKlPlN2at6native12_GLOBAL__N_18offset_tEEE10hipError_tPvRmT1_PNSt15iterator_traitsIS13_E10value_typeET2_T3_PNS14_IS19_E10value_typeET4_jRbjT5_S1F_jjP12ihipStream_tbEUljE_ZNSN_ISO_Lb1ESR_SS_SU_SV_SZ_EES10_S11_S12_S13_S17_S18_S19_S1C_S1D_jS1E_jS1F_S1F_jjS1H_bEUljE0_EEES10_S11_S12_S19_S1D_S1F_T6_T7_T9_mT8_S1H_bDpT10_ENKUlT_T0_E_clISt17integral_constantIbLb1EES1U_IbLb0EEEEDaS1Q_S1R_EUlS1Q_E_NS1_11comp_targetILNS1_3genE5ELNS1_11target_archE942ELNS1_3gpuE9ELNS1_3repE0EEENS1_30default_config_static_selectorELNS0_4arch9wavefront6targetE0EEEvS13_.has_recursion, 0
	.set _ZN7rocprim17ROCPRIM_400000_NS6detail17trampoline_kernelINS0_13select_configILj256ELj13ELNS0_17block_load_methodE3ELS4_3ELS4_3ELNS0_20block_scan_algorithmE0ELj4294967295EEENS1_25partition_config_selectorILNS1_17partition_subalgoE4EjNS0_10empty_typeEbEEZZNS1_14partition_implILS8_4ELb0ES6_15HIP_vector_typeIjLj2EENS0_17counting_iteratorIjlEEPS9_SG_NS0_5tupleIJPjSI_NS0_16reverse_iteratorISI_EEEEENSH_IJSG_SG_SG_EEES9_SI_JZNS1_25segmented_radix_sort_implINS0_14default_configELb1EPK12hip_bfloat16PSP_PKlPlN2at6native12_GLOBAL__N_18offset_tEEE10hipError_tPvRmT1_PNSt15iterator_traitsIS13_E10value_typeET2_T3_PNS14_IS19_E10value_typeET4_jRbjT5_S1F_jjP12ihipStream_tbEUljE_ZNSN_ISO_Lb1ESR_SS_SU_SV_SZ_EES10_S11_S12_S13_S17_S18_S19_S1C_S1D_jS1E_jS1F_S1F_jjS1H_bEUljE0_EEES10_S11_S12_S19_S1D_S1F_T6_T7_T9_mT8_S1H_bDpT10_ENKUlT_T0_E_clISt17integral_constantIbLb1EES1U_IbLb0EEEEDaS1Q_S1R_EUlS1Q_E_NS1_11comp_targetILNS1_3genE5ELNS1_11target_archE942ELNS1_3gpuE9ELNS1_3repE0EEENS1_30default_config_static_selectorELNS0_4arch9wavefront6targetE0EEEvS13_.has_indirect_call, 0
	.section	.AMDGPU.csdata,"",@progbits
; Kernel info:
; codeLenInByte = 0
; TotalNumSgprs: 0
; NumVgprs: 0
; ScratchSize: 0
; MemoryBound: 0
; FloatMode: 240
; IeeeMode: 1
; LDSByteSize: 0 bytes/workgroup (compile time only)
; SGPRBlocks: 0
; VGPRBlocks: 0
; NumSGPRsForWavesPerEU: 1
; NumVGPRsForWavesPerEU: 1
; NamedBarCnt: 0
; Occupancy: 16
; WaveLimiterHint : 0
; COMPUTE_PGM_RSRC2:SCRATCH_EN: 0
; COMPUTE_PGM_RSRC2:USER_SGPR: 2
; COMPUTE_PGM_RSRC2:TRAP_HANDLER: 0
; COMPUTE_PGM_RSRC2:TGID_X_EN: 1
; COMPUTE_PGM_RSRC2:TGID_Y_EN: 0
; COMPUTE_PGM_RSRC2:TGID_Z_EN: 0
; COMPUTE_PGM_RSRC2:TIDIG_COMP_CNT: 0
	.section	.text._ZN7rocprim17ROCPRIM_400000_NS6detail17trampoline_kernelINS0_13select_configILj256ELj13ELNS0_17block_load_methodE3ELS4_3ELS4_3ELNS0_20block_scan_algorithmE0ELj4294967295EEENS1_25partition_config_selectorILNS1_17partition_subalgoE4EjNS0_10empty_typeEbEEZZNS1_14partition_implILS8_4ELb0ES6_15HIP_vector_typeIjLj2EENS0_17counting_iteratorIjlEEPS9_SG_NS0_5tupleIJPjSI_NS0_16reverse_iteratorISI_EEEEENSH_IJSG_SG_SG_EEES9_SI_JZNS1_25segmented_radix_sort_implINS0_14default_configELb1EPK12hip_bfloat16PSP_PKlPlN2at6native12_GLOBAL__N_18offset_tEEE10hipError_tPvRmT1_PNSt15iterator_traitsIS13_E10value_typeET2_T3_PNS14_IS19_E10value_typeET4_jRbjT5_S1F_jjP12ihipStream_tbEUljE_ZNSN_ISO_Lb1ESR_SS_SU_SV_SZ_EES10_S11_S12_S13_S17_S18_S19_S1C_S1D_jS1E_jS1F_S1F_jjS1H_bEUljE0_EEES10_S11_S12_S19_S1D_S1F_T6_T7_T9_mT8_S1H_bDpT10_ENKUlT_T0_E_clISt17integral_constantIbLb1EES1U_IbLb0EEEEDaS1Q_S1R_EUlS1Q_E_NS1_11comp_targetILNS1_3genE4ELNS1_11target_archE910ELNS1_3gpuE8ELNS1_3repE0EEENS1_30default_config_static_selectorELNS0_4arch9wavefront6targetE0EEEvS13_,"axG",@progbits,_ZN7rocprim17ROCPRIM_400000_NS6detail17trampoline_kernelINS0_13select_configILj256ELj13ELNS0_17block_load_methodE3ELS4_3ELS4_3ELNS0_20block_scan_algorithmE0ELj4294967295EEENS1_25partition_config_selectorILNS1_17partition_subalgoE4EjNS0_10empty_typeEbEEZZNS1_14partition_implILS8_4ELb0ES6_15HIP_vector_typeIjLj2EENS0_17counting_iteratorIjlEEPS9_SG_NS0_5tupleIJPjSI_NS0_16reverse_iteratorISI_EEEEENSH_IJSG_SG_SG_EEES9_SI_JZNS1_25segmented_radix_sort_implINS0_14default_configELb1EPK12hip_bfloat16PSP_PKlPlN2at6native12_GLOBAL__N_18offset_tEEE10hipError_tPvRmT1_PNSt15iterator_traitsIS13_E10value_typeET2_T3_PNS14_IS19_E10value_typeET4_jRbjT5_S1F_jjP12ihipStream_tbEUljE_ZNSN_ISO_Lb1ESR_SS_SU_SV_SZ_EES10_S11_S12_S13_S17_S18_S19_S1C_S1D_jS1E_jS1F_S1F_jjS1H_bEUljE0_EEES10_S11_S12_S19_S1D_S1F_T6_T7_T9_mT8_S1H_bDpT10_ENKUlT_T0_E_clISt17integral_constantIbLb1EES1U_IbLb0EEEEDaS1Q_S1R_EUlS1Q_E_NS1_11comp_targetILNS1_3genE4ELNS1_11target_archE910ELNS1_3gpuE8ELNS1_3repE0EEENS1_30default_config_static_selectorELNS0_4arch9wavefront6targetE0EEEvS13_,comdat
	.globl	_ZN7rocprim17ROCPRIM_400000_NS6detail17trampoline_kernelINS0_13select_configILj256ELj13ELNS0_17block_load_methodE3ELS4_3ELS4_3ELNS0_20block_scan_algorithmE0ELj4294967295EEENS1_25partition_config_selectorILNS1_17partition_subalgoE4EjNS0_10empty_typeEbEEZZNS1_14partition_implILS8_4ELb0ES6_15HIP_vector_typeIjLj2EENS0_17counting_iteratorIjlEEPS9_SG_NS0_5tupleIJPjSI_NS0_16reverse_iteratorISI_EEEEENSH_IJSG_SG_SG_EEES9_SI_JZNS1_25segmented_radix_sort_implINS0_14default_configELb1EPK12hip_bfloat16PSP_PKlPlN2at6native12_GLOBAL__N_18offset_tEEE10hipError_tPvRmT1_PNSt15iterator_traitsIS13_E10value_typeET2_T3_PNS14_IS19_E10value_typeET4_jRbjT5_S1F_jjP12ihipStream_tbEUljE_ZNSN_ISO_Lb1ESR_SS_SU_SV_SZ_EES10_S11_S12_S13_S17_S18_S19_S1C_S1D_jS1E_jS1F_S1F_jjS1H_bEUljE0_EEES10_S11_S12_S19_S1D_S1F_T6_T7_T9_mT8_S1H_bDpT10_ENKUlT_T0_E_clISt17integral_constantIbLb1EES1U_IbLb0EEEEDaS1Q_S1R_EUlS1Q_E_NS1_11comp_targetILNS1_3genE4ELNS1_11target_archE910ELNS1_3gpuE8ELNS1_3repE0EEENS1_30default_config_static_selectorELNS0_4arch9wavefront6targetE0EEEvS13_ ; -- Begin function _ZN7rocprim17ROCPRIM_400000_NS6detail17trampoline_kernelINS0_13select_configILj256ELj13ELNS0_17block_load_methodE3ELS4_3ELS4_3ELNS0_20block_scan_algorithmE0ELj4294967295EEENS1_25partition_config_selectorILNS1_17partition_subalgoE4EjNS0_10empty_typeEbEEZZNS1_14partition_implILS8_4ELb0ES6_15HIP_vector_typeIjLj2EENS0_17counting_iteratorIjlEEPS9_SG_NS0_5tupleIJPjSI_NS0_16reverse_iteratorISI_EEEEENSH_IJSG_SG_SG_EEES9_SI_JZNS1_25segmented_radix_sort_implINS0_14default_configELb1EPK12hip_bfloat16PSP_PKlPlN2at6native12_GLOBAL__N_18offset_tEEE10hipError_tPvRmT1_PNSt15iterator_traitsIS13_E10value_typeET2_T3_PNS14_IS19_E10value_typeET4_jRbjT5_S1F_jjP12ihipStream_tbEUljE_ZNSN_ISO_Lb1ESR_SS_SU_SV_SZ_EES10_S11_S12_S13_S17_S18_S19_S1C_S1D_jS1E_jS1F_S1F_jjS1H_bEUljE0_EEES10_S11_S12_S19_S1D_S1F_T6_T7_T9_mT8_S1H_bDpT10_ENKUlT_T0_E_clISt17integral_constantIbLb1EES1U_IbLb0EEEEDaS1Q_S1R_EUlS1Q_E_NS1_11comp_targetILNS1_3genE4ELNS1_11target_archE910ELNS1_3gpuE8ELNS1_3repE0EEENS1_30default_config_static_selectorELNS0_4arch9wavefront6targetE0EEEvS13_
	.p2align	8
	.type	_ZN7rocprim17ROCPRIM_400000_NS6detail17trampoline_kernelINS0_13select_configILj256ELj13ELNS0_17block_load_methodE3ELS4_3ELS4_3ELNS0_20block_scan_algorithmE0ELj4294967295EEENS1_25partition_config_selectorILNS1_17partition_subalgoE4EjNS0_10empty_typeEbEEZZNS1_14partition_implILS8_4ELb0ES6_15HIP_vector_typeIjLj2EENS0_17counting_iteratorIjlEEPS9_SG_NS0_5tupleIJPjSI_NS0_16reverse_iteratorISI_EEEEENSH_IJSG_SG_SG_EEES9_SI_JZNS1_25segmented_radix_sort_implINS0_14default_configELb1EPK12hip_bfloat16PSP_PKlPlN2at6native12_GLOBAL__N_18offset_tEEE10hipError_tPvRmT1_PNSt15iterator_traitsIS13_E10value_typeET2_T3_PNS14_IS19_E10value_typeET4_jRbjT5_S1F_jjP12ihipStream_tbEUljE_ZNSN_ISO_Lb1ESR_SS_SU_SV_SZ_EES10_S11_S12_S13_S17_S18_S19_S1C_S1D_jS1E_jS1F_S1F_jjS1H_bEUljE0_EEES10_S11_S12_S19_S1D_S1F_T6_T7_T9_mT8_S1H_bDpT10_ENKUlT_T0_E_clISt17integral_constantIbLb1EES1U_IbLb0EEEEDaS1Q_S1R_EUlS1Q_E_NS1_11comp_targetILNS1_3genE4ELNS1_11target_archE910ELNS1_3gpuE8ELNS1_3repE0EEENS1_30default_config_static_selectorELNS0_4arch9wavefront6targetE0EEEvS13_,@function
_ZN7rocprim17ROCPRIM_400000_NS6detail17trampoline_kernelINS0_13select_configILj256ELj13ELNS0_17block_load_methodE3ELS4_3ELS4_3ELNS0_20block_scan_algorithmE0ELj4294967295EEENS1_25partition_config_selectorILNS1_17partition_subalgoE4EjNS0_10empty_typeEbEEZZNS1_14partition_implILS8_4ELb0ES6_15HIP_vector_typeIjLj2EENS0_17counting_iteratorIjlEEPS9_SG_NS0_5tupleIJPjSI_NS0_16reverse_iteratorISI_EEEEENSH_IJSG_SG_SG_EEES9_SI_JZNS1_25segmented_radix_sort_implINS0_14default_configELb1EPK12hip_bfloat16PSP_PKlPlN2at6native12_GLOBAL__N_18offset_tEEE10hipError_tPvRmT1_PNSt15iterator_traitsIS13_E10value_typeET2_T3_PNS14_IS19_E10value_typeET4_jRbjT5_S1F_jjP12ihipStream_tbEUljE_ZNSN_ISO_Lb1ESR_SS_SU_SV_SZ_EES10_S11_S12_S13_S17_S18_S19_S1C_S1D_jS1E_jS1F_S1F_jjS1H_bEUljE0_EEES10_S11_S12_S19_S1D_S1F_T6_T7_T9_mT8_S1H_bDpT10_ENKUlT_T0_E_clISt17integral_constantIbLb1EES1U_IbLb0EEEEDaS1Q_S1R_EUlS1Q_E_NS1_11comp_targetILNS1_3genE4ELNS1_11target_archE910ELNS1_3gpuE8ELNS1_3repE0EEENS1_30default_config_static_selectorELNS0_4arch9wavefront6targetE0EEEvS13_: ; @_ZN7rocprim17ROCPRIM_400000_NS6detail17trampoline_kernelINS0_13select_configILj256ELj13ELNS0_17block_load_methodE3ELS4_3ELS4_3ELNS0_20block_scan_algorithmE0ELj4294967295EEENS1_25partition_config_selectorILNS1_17partition_subalgoE4EjNS0_10empty_typeEbEEZZNS1_14partition_implILS8_4ELb0ES6_15HIP_vector_typeIjLj2EENS0_17counting_iteratorIjlEEPS9_SG_NS0_5tupleIJPjSI_NS0_16reverse_iteratorISI_EEEEENSH_IJSG_SG_SG_EEES9_SI_JZNS1_25segmented_radix_sort_implINS0_14default_configELb1EPK12hip_bfloat16PSP_PKlPlN2at6native12_GLOBAL__N_18offset_tEEE10hipError_tPvRmT1_PNSt15iterator_traitsIS13_E10value_typeET2_T3_PNS14_IS19_E10value_typeET4_jRbjT5_S1F_jjP12ihipStream_tbEUljE_ZNSN_ISO_Lb1ESR_SS_SU_SV_SZ_EES10_S11_S12_S13_S17_S18_S19_S1C_S1D_jS1E_jS1F_S1F_jjS1H_bEUljE0_EEES10_S11_S12_S19_S1D_S1F_T6_T7_T9_mT8_S1H_bDpT10_ENKUlT_T0_E_clISt17integral_constantIbLb1EES1U_IbLb0EEEEDaS1Q_S1R_EUlS1Q_E_NS1_11comp_targetILNS1_3genE4ELNS1_11target_archE910ELNS1_3gpuE8ELNS1_3repE0EEENS1_30default_config_static_selectorELNS0_4arch9wavefront6targetE0EEEvS13_
; %bb.0:
	.section	.rodata,"a",@progbits
	.p2align	6, 0x0
	.amdhsa_kernel _ZN7rocprim17ROCPRIM_400000_NS6detail17trampoline_kernelINS0_13select_configILj256ELj13ELNS0_17block_load_methodE3ELS4_3ELS4_3ELNS0_20block_scan_algorithmE0ELj4294967295EEENS1_25partition_config_selectorILNS1_17partition_subalgoE4EjNS0_10empty_typeEbEEZZNS1_14partition_implILS8_4ELb0ES6_15HIP_vector_typeIjLj2EENS0_17counting_iteratorIjlEEPS9_SG_NS0_5tupleIJPjSI_NS0_16reverse_iteratorISI_EEEEENSH_IJSG_SG_SG_EEES9_SI_JZNS1_25segmented_radix_sort_implINS0_14default_configELb1EPK12hip_bfloat16PSP_PKlPlN2at6native12_GLOBAL__N_18offset_tEEE10hipError_tPvRmT1_PNSt15iterator_traitsIS13_E10value_typeET2_T3_PNS14_IS19_E10value_typeET4_jRbjT5_S1F_jjP12ihipStream_tbEUljE_ZNSN_ISO_Lb1ESR_SS_SU_SV_SZ_EES10_S11_S12_S13_S17_S18_S19_S1C_S1D_jS1E_jS1F_S1F_jjS1H_bEUljE0_EEES10_S11_S12_S19_S1D_S1F_T6_T7_T9_mT8_S1H_bDpT10_ENKUlT_T0_E_clISt17integral_constantIbLb1EES1U_IbLb0EEEEDaS1Q_S1R_EUlS1Q_E_NS1_11comp_targetILNS1_3genE4ELNS1_11target_archE910ELNS1_3gpuE8ELNS1_3repE0EEENS1_30default_config_static_selectorELNS0_4arch9wavefront6targetE0EEEvS13_
		.amdhsa_group_segment_fixed_size 0
		.amdhsa_private_segment_fixed_size 0
		.amdhsa_kernarg_size 176
		.amdhsa_user_sgpr_count 2
		.amdhsa_user_sgpr_dispatch_ptr 0
		.amdhsa_user_sgpr_queue_ptr 0
		.amdhsa_user_sgpr_kernarg_segment_ptr 1
		.amdhsa_user_sgpr_dispatch_id 0
		.amdhsa_user_sgpr_kernarg_preload_length 0
		.amdhsa_user_sgpr_kernarg_preload_offset 0
		.amdhsa_user_sgpr_private_segment_size 0
		.amdhsa_wavefront_size32 1
		.amdhsa_uses_dynamic_stack 0
		.amdhsa_enable_private_segment 0
		.amdhsa_system_sgpr_workgroup_id_x 1
		.amdhsa_system_sgpr_workgroup_id_y 0
		.amdhsa_system_sgpr_workgroup_id_z 0
		.amdhsa_system_sgpr_workgroup_info 0
		.amdhsa_system_vgpr_workitem_id 0
		.amdhsa_next_free_vgpr 1
		.amdhsa_next_free_sgpr 1
		.amdhsa_named_barrier_count 0
		.amdhsa_reserve_vcc 0
		.amdhsa_float_round_mode_32 0
		.amdhsa_float_round_mode_16_64 0
		.amdhsa_float_denorm_mode_32 3
		.amdhsa_float_denorm_mode_16_64 3
		.amdhsa_fp16_overflow 0
		.amdhsa_memory_ordered 1
		.amdhsa_forward_progress 1
		.amdhsa_inst_pref_size 0
		.amdhsa_round_robin_scheduling 0
		.amdhsa_exception_fp_ieee_invalid_op 0
		.amdhsa_exception_fp_denorm_src 0
		.amdhsa_exception_fp_ieee_div_zero 0
		.amdhsa_exception_fp_ieee_overflow 0
		.amdhsa_exception_fp_ieee_underflow 0
		.amdhsa_exception_fp_ieee_inexact 0
		.amdhsa_exception_int_div_zero 0
	.end_amdhsa_kernel
	.section	.text._ZN7rocprim17ROCPRIM_400000_NS6detail17trampoline_kernelINS0_13select_configILj256ELj13ELNS0_17block_load_methodE3ELS4_3ELS4_3ELNS0_20block_scan_algorithmE0ELj4294967295EEENS1_25partition_config_selectorILNS1_17partition_subalgoE4EjNS0_10empty_typeEbEEZZNS1_14partition_implILS8_4ELb0ES6_15HIP_vector_typeIjLj2EENS0_17counting_iteratorIjlEEPS9_SG_NS0_5tupleIJPjSI_NS0_16reverse_iteratorISI_EEEEENSH_IJSG_SG_SG_EEES9_SI_JZNS1_25segmented_radix_sort_implINS0_14default_configELb1EPK12hip_bfloat16PSP_PKlPlN2at6native12_GLOBAL__N_18offset_tEEE10hipError_tPvRmT1_PNSt15iterator_traitsIS13_E10value_typeET2_T3_PNS14_IS19_E10value_typeET4_jRbjT5_S1F_jjP12ihipStream_tbEUljE_ZNSN_ISO_Lb1ESR_SS_SU_SV_SZ_EES10_S11_S12_S13_S17_S18_S19_S1C_S1D_jS1E_jS1F_S1F_jjS1H_bEUljE0_EEES10_S11_S12_S19_S1D_S1F_T6_T7_T9_mT8_S1H_bDpT10_ENKUlT_T0_E_clISt17integral_constantIbLb1EES1U_IbLb0EEEEDaS1Q_S1R_EUlS1Q_E_NS1_11comp_targetILNS1_3genE4ELNS1_11target_archE910ELNS1_3gpuE8ELNS1_3repE0EEENS1_30default_config_static_selectorELNS0_4arch9wavefront6targetE0EEEvS13_,"axG",@progbits,_ZN7rocprim17ROCPRIM_400000_NS6detail17trampoline_kernelINS0_13select_configILj256ELj13ELNS0_17block_load_methodE3ELS4_3ELS4_3ELNS0_20block_scan_algorithmE0ELj4294967295EEENS1_25partition_config_selectorILNS1_17partition_subalgoE4EjNS0_10empty_typeEbEEZZNS1_14partition_implILS8_4ELb0ES6_15HIP_vector_typeIjLj2EENS0_17counting_iteratorIjlEEPS9_SG_NS0_5tupleIJPjSI_NS0_16reverse_iteratorISI_EEEEENSH_IJSG_SG_SG_EEES9_SI_JZNS1_25segmented_radix_sort_implINS0_14default_configELb1EPK12hip_bfloat16PSP_PKlPlN2at6native12_GLOBAL__N_18offset_tEEE10hipError_tPvRmT1_PNSt15iterator_traitsIS13_E10value_typeET2_T3_PNS14_IS19_E10value_typeET4_jRbjT5_S1F_jjP12ihipStream_tbEUljE_ZNSN_ISO_Lb1ESR_SS_SU_SV_SZ_EES10_S11_S12_S13_S17_S18_S19_S1C_S1D_jS1E_jS1F_S1F_jjS1H_bEUljE0_EEES10_S11_S12_S19_S1D_S1F_T6_T7_T9_mT8_S1H_bDpT10_ENKUlT_T0_E_clISt17integral_constantIbLb1EES1U_IbLb0EEEEDaS1Q_S1R_EUlS1Q_E_NS1_11comp_targetILNS1_3genE4ELNS1_11target_archE910ELNS1_3gpuE8ELNS1_3repE0EEENS1_30default_config_static_selectorELNS0_4arch9wavefront6targetE0EEEvS13_,comdat
.Lfunc_end1890:
	.size	_ZN7rocprim17ROCPRIM_400000_NS6detail17trampoline_kernelINS0_13select_configILj256ELj13ELNS0_17block_load_methodE3ELS4_3ELS4_3ELNS0_20block_scan_algorithmE0ELj4294967295EEENS1_25partition_config_selectorILNS1_17partition_subalgoE4EjNS0_10empty_typeEbEEZZNS1_14partition_implILS8_4ELb0ES6_15HIP_vector_typeIjLj2EENS0_17counting_iteratorIjlEEPS9_SG_NS0_5tupleIJPjSI_NS0_16reverse_iteratorISI_EEEEENSH_IJSG_SG_SG_EEES9_SI_JZNS1_25segmented_radix_sort_implINS0_14default_configELb1EPK12hip_bfloat16PSP_PKlPlN2at6native12_GLOBAL__N_18offset_tEEE10hipError_tPvRmT1_PNSt15iterator_traitsIS13_E10value_typeET2_T3_PNS14_IS19_E10value_typeET4_jRbjT5_S1F_jjP12ihipStream_tbEUljE_ZNSN_ISO_Lb1ESR_SS_SU_SV_SZ_EES10_S11_S12_S13_S17_S18_S19_S1C_S1D_jS1E_jS1F_S1F_jjS1H_bEUljE0_EEES10_S11_S12_S19_S1D_S1F_T6_T7_T9_mT8_S1H_bDpT10_ENKUlT_T0_E_clISt17integral_constantIbLb1EES1U_IbLb0EEEEDaS1Q_S1R_EUlS1Q_E_NS1_11comp_targetILNS1_3genE4ELNS1_11target_archE910ELNS1_3gpuE8ELNS1_3repE0EEENS1_30default_config_static_selectorELNS0_4arch9wavefront6targetE0EEEvS13_, .Lfunc_end1890-_ZN7rocprim17ROCPRIM_400000_NS6detail17trampoline_kernelINS0_13select_configILj256ELj13ELNS0_17block_load_methodE3ELS4_3ELS4_3ELNS0_20block_scan_algorithmE0ELj4294967295EEENS1_25partition_config_selectorILNS1_17partition_subalgoE4EjNS0_10empty_typeEbEEZZNS1_14partition_implILS8_4ELb0ES6_15HIP_vector_typeIjLj2EENS0_17counting_iteratorIjlEEPS9_SG_NS0_5tupleIJPjSI_NS0_16reverse_iteratorISI_EEEEENSH_IJSG_SG_SG_EEES9_SI_JZNS1_25segmented_radix_sort_implINS0_14default_configELb1EPK12hip_bfloat16PSP_PKlPlN2at6native12_GLOBAL__N_18offset_tEEE10hipError_tPvRmT1_PNSt15iterator_traitsIS13_E10value_typeET2_T3_PNS14_IS19_E10value_typeET4_jRbjT5_S1F_jjP12ihipStream_tbEUljE_ZNSN_ISO_Lb1ESR_SS_SU_SV_SZ_EES10_S11_S12_S13_S17_S18_S19_S1C_S1D_jS1E_jS1F_S1F_jjS1H_bEUljE0_EEES10_S11_S12_S19_S1D_S1F_T6_T7_T9_mT8_S1H_bDpT10_ENKUlT_T0_E_clISt17integral_constantIbLb1EES1U_IbLb0EEEEDaS1Q_S1R_EUlS1Q_E_NS1_11comp_targetILNS1_3genE4ELNS1_11target_archE910ELNS1_3gpuE8ELNS1_3repE0EEENS1_30default_config_static_selectorELNS0_4arch9wavefront6targetE0EEEvS13_
                                        ; -- End function
	.set _ZN7rocprim17ROCPRIM_400000_NS6detail17trampoline_kernelINS0_13select_configILj256ELj13ELNS0_17block_load_methodE3ELS4_3ELS4_3ELNS0_20block_scan_algorithmE0ELj4294967295EEENS1_25partition_config_selectorILNS1_17partition_subalgoE4EjNS0_10empty_typeEbEEZZNS1_14partition_implILS8_4ELb0ES6_15HIP_vector_typeIjLj2EENS0_17counting_iteratorIjlEEPS9_SG_NS0_5tupleIJPjSI_NS0_16reverse_iteratorISI_EEEEENSH_IJSG_SG_SG_EEES9_SI_JZNS1_25segmented_radix_sort_implINS0_14default_configELb1EPK12hip_bfloat16PSP_PKlPlN2at6native12_GLOBAL__N_18offset_tEEE10hipError_tPvRmT1_PNSt15iterator_traitsIS13_E10value_typeET2_T3_PNS14_IS19_E10value_typeET4_jRbjT5_S1F_jjP12ihipStream_tbEUljE_ZNSN_ISO_Lb1ESR_SS_SU_SV_SZ_EES10_S11_S12_S13_S17_S18_S19_S1C_S1D_jS1E_jS1F_S1F_jjS1H_bEUljE0_EEES10_S11_S12_S19_S1D_S1F_T6_T7_T9_mT8_S1H_bDpT10_ENKUlT_T0_E_clISt17integral_constantIbLb1EES1U_IbLb0EEEEDaS1Q_S1R_EUlS1Q_E_NS1_11comp_targetILNS1_3genE4ELNS1_11target_archE910ELNS1_3gpuE8ELNS1_3repE0EEENS1_30default_config_static_selectorELNS0_4arch9wavefront6targetE0EEEvS13_.num_vgpr, 0
	.set _ZN7rocprim17ROCPRIM_400000_NS6detail17trampoline_kernelINS0_13select_configILj256ELj13ELNS0_17block_load_methodE3ELS4_3ELS4_3ELNS0_20block_scan_algorithmE0ELj4294967295EEENS1_25partition_config_selectorILNS1_17partition_subalgoE4EjNS0_10empty_typeEbEEZZNS1_14partition_implILS8_4ELb0ES6_15HIP_vector_typeIjLj2EENS0_17counting_iteratorIjlEEPS9_SG_NS0_5tupleIJPjSI_NS0_16reverse_iteratorISI_EEEEENSH_IJSG_SG_SG_EEES9_SI_JZNS1_25segmented_radix_sort_implINS0_14default_configELb1EPK12hip_bfloat16PSP_PKlPlN2at6native12_GLOBAL__N_18offset_tEEE10hipError_tPvRmT1_PNSt15iterator_traitsIS13_E10value_typeET2_T3_PNS14_IS19_E10value_typeET4_jRbjT5_S1F_jjP12ihipStream_tbEUljE_ZNSN_ISO_Lb1ESR_SS_SU_SV_SZ_EES10_S11_S12_S13_S17_S18_S19_S1C_S1D_jS1E_jS1F_S1F_jjS1H_bEUljE0_EEES10_S11_S12_S19_S1D_S1F_T6_T7_T9_mT8_S1H_bDpT10_ENKUlT_T0_E_clISt17integral_constantIbLb1EES1U_IbLb0EEEEDaS1Q_S1R_EUlS1Q_E_NS1_11comp_targetILNS1_3genE4ELNS1_11target_archE910ELNS1_3gpuE8ELNS1_3repE0EEENS1_30default_config_static_selectorELNS0_4arch9wavefront6targetE0EEEvS13_.num_agpr, 0
	.set _ZN7rocprim17ROCPRIM_400000_NS6detail17trampoline_kernelINS0_13select_configILj256ELj13ELNS0_17block_load_methodE3ELS4_3ELS4_3ELNS0_20block_scan_algorithmE0ELj4294967295EEENS1_25partition_config_selectorILNS1_17partition_subalgoE4EjNS0_10empty_typeEbEEZZNS1_14partition_implILS8_4ELb0ES6_15HIP_vector_typeIjLj2EENS0_17counting_iteratorIjlEEPS9_SG_NS0_5tupleIJPjSI_NS0_16reverse_iteratorISI_EEEEENSH_IJSG_SG_SG_EEES9_SI_JZNS1_25segmented_radix_sort_implINS0_14default_configELb1EPK12hip_bfloat16PSP_PKlPlN2at6native12_GLOBAL__N_18offset_tEEE10hipError_tPvRmT1_PNSt15iterator_traitsIS13_E10value_typeET2_T3_PNS14_IS19_E10value_typeET4_jRbjT5_S1F_jjP12ihipStream_tbEUljE_ZNSN_ISO_Lb1ESR_SS_SU_SV_SZ_EES10_S11_S12_S13_S17_S18_S19_S1C_S1D_jS1E_jS1F_S1F_jjS1H_bEUljE0_EEES10_S11_S12_S19_S1D_S1F_T6_T7_T9_mT8_S1H_bDpT10_ENKUlT_T0_E_clISt17integral_constantIbLb1EES1U_IbLb0EEEEDaS1Q_S1R_EUlS1Q_E_NS1_11comp_targetILNS1_3genE4ELNS1_11target_archE910ELNS1_3gpuE8ELNS1_3repE0EEENS1_30default_config_static_selectorELNS0_4arch9wavefront6targetE0EEEvS13_.numbered_sgpr, 0
	.set _ZN7rocprim17ROCPRIM_400000_NS6detail17trampoline_kernelINS0_13select_configILj256ELj13ELNS0_17block_load_methodE3ELS4_3ELS4_3ELNS0_20block_scan_algorithmE0ELj4294967295EEENS1_25partition_config_selectorILNS1_17partition_subalgoE4EjNS0_10empty_typeEbEEZZNS1_14partition_implILS8_4ELb0ES6_15HIP_vector_typeIjLj2EENS0_17counting_iteratorIjlEEPS9_SG_NS0_5tupleIJPjSI_NS0_16reverse_iteratorISI_EEEEENSH_IJSG_SG_SG_EEES9_SI_JZNS1_25segmented_radix_sort_implINS0_14default_configELb1EPK12hip_bfloat16PSP_PKlPlN2at6native12_GLOBAL__N_18offset_tEEE10hipError_tPvRmT1_PNSt15iterator_traitsIS13_E10value_typeET2_T3_PNS14_IS19_E10value_typeET4_jRbjT5_S1F_jjP12ihipStream_tbEUljE_ZNSN_ISO_Lb1ESR_SS_SU_SV_SZ_EES10_S11_S12_S13_S17_S18_S19_S1C_S1D_jS1E_jS1F_S1F_jjS1H_bEUljE0_EEES10_S11_S12_S19_S1D_S1F_T6_T7_T9_mT8_S1H_bDpT10_ENKUlT_T0_E_clISt17integral_constantIbLb1EES1U_IbLb0EEEEDaS1Q_S1R_EUlS1Q_E_NS1_11comp_targetILNS1_3genE4ELNS1_11target_archE910ELNS1_3gpuE8ELNS1_3repE0EEENS1_30default_config_static_selectorELNS0_4arch9wavefront6targetE0EEEvS13_.num_named_barrier, 0
	.set _ZN7rocprim17ROCPRIM_400000_NS6detail17trampoline_kernelINS0_13select_configILj256ELj13ELNS0_17block_load_methodE3ELS4_3ELS4_3ELNS0_20block_scan_algorithmE0ELj4294967295EEENS1_25partition_config_selectorILNS1_17partition_subalgoE4EjNS0_10empty_typeEbEEZZNS1_14partition_implILS8_4ELb0ES6_15HIP_vector_typeIjLj2EENS0_17counting_iteratorIjlEEPS9_SG_NS0_5tupleIJPjSI_NS0_16reverse_iteratorISI_EEEEENSH_IJSG_SG_SG_EEES9_SI_JZNS1_25segmented_radix_sort_implINS0_14default_configELb1EPK12hip_bfloat16PSP_PKlPlN2at6native12_GLOBAL__N_18offset_tEEE10hipError_tPvRmT1_PNSt15iterator_traitsIS13_E10value_typeET2_T3_PNS14_IS19_E10value_typeET4_jRbjT5_S1F_jjP12ihipStream_tbEUljE_ZNSN_ISO_Lb1ESR_SS_SU_SV_SZ_EES10_S11_S12_S13_S17_S18_S19_S1C_S1D_jS1E_jS1F_S1F_jjS1H_bEUljE0_EEES10_S11_S12_S19_S1D_S1F_T6_T7_T9_mT8_S1H_bDpT10_ENKUlT_T0_E_clISt17integral_constantIbLb1EES1U_IbLb0EEEEDaS1Q_S1R_EUlS1Q_E_NS1_11comp_targetILNS1_3genE4ELNS1_11target_archE910ELNS1_3gpuE8ELNS1_3repE0EEENS1_30default_config_static_selectorELNS0_4arch9wavefront6targetE0EEEvS13_.private_seg_size, 0
	.set _ZN7rocprim17ROCPRIM_400000_NS6detail17trampoline_kernelINS0_13select_configILj256ELj13ELNS0_17block_load_methodE3ELS4_3ELS4_3ELNS0_20block_scan_algorithmE0ELj4294967295EEENS1_25partition_config_selectorILNS1_17partition_subalgoE4EjNS0_10empty_typeEbEEZZNS1_14partition_implILS8_4ELb0ES6_15HIP_vector_typeIjLj2EENS0_17counting_iteratorIjlEEPS9_SG_NS0_5tupleIJPjSI_NS0_16reverse_iteratorISI_EEEEENSH_IJSG_SG_SG_EEES9_SI_JZNS1_25segmented_radix_sort_implINS0_14default_configELb1EPK12hip_bfloat16PSP_PKlPlN2at6native12_GLOBAL__N_18offset_tEEE10hipError_tPvRmT1_PNSt15iterator_traitsIS13_E10value_typeET2_T3_PNS14_IS19_E10value_typeET4_jRbjT5_S1F_jjP12ihipStream_tbEUljE_ZNSN_ISO_Lb1ESR_SS_SU_SV_SZ_EES10_S11_S12_S13_S17_S18_S19_S1C_S1D_jS1E_jS1F_S1F_jjS1H_bEUljE0_EEES10_S11_S12_S19_S1D_S1F_T6_T7_T9_mT8_S1H_bDpT10_ENKUlT_T0_E_clISt17integral_constantIbLb1EES1U_IbLb0EEEEDaS1Q_S1R_EUlS1Q_E_NS1_11comp_targetILNS1_3genE4ELNS1_11target_archE910ELNS1_3gpuE8ELNS1_3repE0EEENS1_30default_config_static_selectorELNS0_4arch9wavefront6targetE0EEEvS13_.uses_vcc, 0
	.set _ZN7rocprim17ROCPRIM_400000_NS6detail17trampoline_kernelINS0_13select_configILj256ELj13ELNS0_17block_load_methodE3ELS4_3ELS4_3ELNS0_20block_scan_algorithmE0ELj4294967295EEENS1_25partition_config_selectorILNS1_17partition_subalgoE4EjNS0_10empty_typeEbEEZZNS1_14partition_implILS8_4ELb0ES6_15HIP_vector_typeIjLj2EENS0_17counting_iteratorIjlEEPS9_SG_NS0_5tupleIJPjSI_NS0_16reverse_iteratorISI_EEEEENSH_IJSG_SG_SG_EEES9_SI_JZNS1_25segmented_radix_sort_implINS0_14default_configELb1EPK12hip_bfloat16PSP_PKlPlN2at6native12_GLOBAL__N_18offset_tEEE10hipError_tPvRmT1_PNSt15iterator_traitsIS13_E10value_typeET2_T3_PNS14_IS19_E10value_typeET4_jRbjT5_S1F_jjP12ihipStream_tbEUljE_ZNSN_ISO_Lb1ESR_SS_SU_SV_SZ_EES10_S11_S12_S13_S17_S18_S19_S1C_S1D_jS1E_jS1F_S1F_jjS1H_bEUljE0_EEES10_S11_S12_S19_S1D_S1F_T6_T7_T9_mT8_S1H_bDpT10_ENKUlT_T0_E_clISt17integral_constantIbLb1EES1U_IbLb0EEEEDaS1Q_S1R_EUlS1Q_E_NS1_11comp_targetILNS1_3genE4ELNS1_11target_archE910ELNS1_3gpuE8ELNS1_3repE0EEENS1_30default_config_static_selectorELNS0_4arch9wavefront6targetE0EEEvS13_.uses_flat_scratch, 0
	.set _ZN7rocprim17ROCPRIM_400000_NS6detail17trampoline_kernelINS0_13select_configILj256ELj13ELNS0_17block_load_methodE3ELS4_3ELS4_3ELNS0_20block_scan_algorithmE0ELj4294967295EEENS1_25partition_config_selectorILNS1_17partition_subalgoE4EjNS0_10empty_typeEbEEZZNS1_14partition_implILS8_4ELb0ES6_15HIP_vector_typeIjLj2EENS0_17counting_iteratorIjlEEPS9_SG_NS0_5tupleIJPjSI_NS0_16reverse_iteratorISI_EEEEENSH_IJSG_SG_SG_EEES9_SI_JZNS1_25segmented_radix_sort_implINS0_14default_configELb1EPK12hip_bfloat16PSP_PKlPlN2at6native12_GLOBAL__N_18offset_tEEE10hipError_tPvRmT1_PNSt15iterator_traitsIS13_E10value_typeET2_T3_PNS14_IS19_E10value_typeET4_jRbjT5_S1F_jjP12ihipStream_tbEUljE_ZNSN_ISO_Lb1ESR_SS_SU_SV_SZ_EES10_S11_S12_S13_S17_S18_S19_S1C_S1D_jS1E_jS1F_S1F_jjS1H_bEUljE0_EEES10_S11_S12_S19_S1D_S1F_T6_T7_T9_mT8_S1H_bDpT10_ENKUlT_T0_E_clISt17integral_constantIbLb1EES1U_IbLb0EEEEDaS1Q_S1R_EUlS1Q_E_NS1_11comp_targetILNS1_3genE4ELNS1_11target_archE910ELNS1_3gpuE8ELNS1_3repE0EEENS1_30default_config_static_selectorELNS0_4arch9wavefront6targetE0EEEvS13_.has_dyn_sized_stack, 0
	.set _ZN7rocprim17ROCPRIM_400000_NS6detail17trampoline_kernelINS0_13select_configILj256ELj13ELNS0_17block_load_methodE3ELS4_3ELS4_3ELNS0_20block_scan_algorithmE0ELj4294967295EEENS1_25partition_config_selectorILNS1_17partition_subalgoE4EjNS0_10empty_typeEbEEZZNS1_14partition_implILS8_4ELb0ES6_15HIP_vector_typeIjLj2EENS0_17counting_iteratorIjlEEPS9_SG_NS0_5tupleIJPjSI_NS0_16reverse_iteratorISI_EEEEENSH_IJSG_SG_SG_EEES9_SI_JZNS1_25segmented_radix_sort_implINS0_14default_configELb1EPK12hip_bfloat16PSP_PKlPlN2at6native12_GLOBAL__N_18offset_tEEE10hipError_tPvRmT1_PNSt15iterator_traitsIS13_E10value_typeET2_T3_PNS14_IS19_E10value_typeET4_jRbjT5_S1F_jjP12ihipStream_tbEUljE_ZNSN_ISO_Lb1ESR_SS_SU_SV_SZ_EES10_S11_S12_S13_S17_S18_S19_S1C_S1D_jS1E_jS1F_S1F_jjS1H_bEUljE0_EEES10_S11_S12_S19_S1D_S1F_T6_T7_T9_mT8_S1H_bDpT10_ENKUlT_T0_E_clISt17integral_constantIbLb1EES1U_IbLb0EEEEDaS1Q_S1R_EUlS1Q_E_NS1_11comp_targetILNS1_3genE4ELNS1_11target_archE910ELNS1_3gpuE8ELNS1_3repE0EEENS1_30default_config_static_selectorELNS0_4arch9wavefront6targetE0EEEvS13_.has_recursion, 0
	.set _ZN7rocprim17ROCPRIM_400000_NS6detail17trampoline_kernelINS0_13select_configILj256ELj13ELNS0_17block_load_methodE3ELS4_3ELS4_3ELNS0_20block_scan_algorithmE0ELj4294967295EEENS1_25partition_config_selectorILNS1_17partition_subalgoE4EjNS0_10empty_typeEbEEZZNS1_14partition_implILS8_4ELb0ES6_15HIP_vector_typeIjLj2EENS0_17counting_iteratorIjlEEPS9_SG_NS0_5tupleIJPjSI_NS0_16reverse_iteratorISI_EEEEENSH_IJSG_SG_SG_EEES9_SI_JZNS1_25segmented_radix_sort_implINS0_14default_configELb1EPK12hip_bfloat16PSP_PKlPlN2at6native12_GLOBAL__N_18offset_tEEE10hipError_tPvRmT1_PNSt15iterator_traitsIS13_E10value_typeET2_T3_PNS14_IS19_E10value_typeET4_jRbjT5_S1F_jjP12ihipStream_tbEUljE_ZNSN_ISO_Lb1ESR_SS_SU_SV_SZ_EES10_S11_S12_S13_S17_S18_S19_S1C_S1D_jS1E_jS1F_S1F_jjS1H_bEUljE0_EEES10_S11_S12_S19_S1D_S1F_T6_T7_T9_mT8_S1H_bDpT10_ENKUlT_T0_E_clISt17integral_constantIbLb1EES1U_IbLb0EEEEDaS1Q_S1R_EUlS1Q_E_NS1_11comp_targetILNS1_3genE4ELNS1_11target_archE910ELNS1_3gpuE8ELNS1_3repE0EEENS1_30default_config_static_selectorELNS0_4arch9wavefront6targetE0EEEvS13_.has_indirect_call, 0
	.section	.AMDGPU.csdata,"",@progbits
; Kernel info:
; codeLenInByte = 0
; TotalNumSgprs: 0
; NumVgprs: 0
; ScratchSize: 0
; MemoryBound: 0
; FloatMode: 240
; IeeeMode: 1
; LDSByteSize: 0 bytes/workgroup (compile time only)
; SGPRBlocks: 0
; VGPRBlocks: 0
; NumSGPRsForWavesPerEU: 1
; NumVGPRsForWavesPerEU: 1
; NamedBarCnt: 0
; Occupancy: 16
; WaveLimiterHint : 0
; COMPUTE_PGM_RSRC2:SCRATCH_EN: 0
; COMPUTE_PGM_RSRC2:USER_SGPR: 2
; COMPUTE_PGM_RSRC2:TRAP_HANDLER: 0
; COMPUTE_PGM_RSRC2:TGID_X_EN: 1
; COMPUTE_PGM_RSRC2:TGID_Y_EN: 0
; COMPUTE_PGM_RSRC2:TGID_Z_EN: 0
; COMPUTE_PGM_RSRC2:TIDIG_COMP_CNT: 0
	.section	.text._ZN7rocprim17ROCPRIM_400000_NS6detail17trampoline_kernelINS0_13select_configILj256ELj13ELNS0_17block_load_methodE3ELS4_3ELS4_3ELNS0_20block_scan_algorithmE0ELj4294967295EEENS1_25partition_config_selectorILNS1_17partition_subalgoE4EjNS0_10empty_typeEbEEZZNS1_14partition_implILS8_4ELb0ES6_15HIP_vector_typeIjLj2EENS0_17counting_iteratorIjlEEPS9_SG_NS0_5tupleIJPjSI_NS0_16reverse_iteratorISI_EEEEENSH_IJSG_SG_SG_EEES9_SI_JZNS1_25segmented_radix_sort_implINS0_14default_configELb1EPK12hip_bfloat16PSP_PKlPlN2at6native12_GLOBAL__N_18offset_tEEE10hipError_tPvRmT1_PNSt15iterator_traitsIS13_E10value_typeET2_T3_PNS14_IS19_E10value_typeET4_jRbjT5_S1F_jjP12ihipStream_tbEUljE_ZNSN_ISO_Lb1ESR_SS_SU_SV_SZ_EES10_S11_S12_S13_S17_S18_S19_S1C_S1D_jS1E_jS1F_S1F_jjS1H_bEUljE0_EEES10_S11_S12_S19_S1D_S1F_T6_T7_T9_mT8_S1H_bDpT10_ENKUlT_T0_E_clISt17integral_constantIbLb1EES1U_IbLb0EEEEDaS1Q_S1R_EUlS1Q_E_NS1_11comp_targetILNS1_3genE3ELNS1_11target_archE908ELNS1_3gpuE7ELNS1_3repE0EEENS1_30default_config_static_selectorELNS0_4arch9wavefront6targetE0EEEvS13_,"axG",@progbits,_ZN7rocprim17ROCPRIM_400000_NS6detail17trampoline_kernelINS0_13select_configILj256ELj13ELNS0_17block_load_methodE3ELS4_3ELS4_3ELNS0_20block_scan_algorithmE0ELj4294967295EEENS1_25partition_config_selectorILNS1_17partition_subalgoE4EjNS0_10empty_typeEbEEZZNS1_14partition_implILS8_4ELb0ES6_15HIP_vector_typeIjLj2EENS0_17counting_iteratorIjlEEPS9_SG_NS0_5tupleIJPjSI_NS0_16reverse_iteratorISI_EEEEENSH_IJSG_SG_SG_EEES9_SI_JZNS1_25segmented_radix_sort_implINS0_14default_configELb1EPK12hip_bfloat16PSP_PKlPlN2at6native12_GLOBAL__N_18offset_tEEE10hipError_tPvRmT1_PNSt15iterator_traitsIS13_E10value_typeET2_T3_PNS14_IS19_E10value_typeET4_jRbjT5_S1F_jjP12ihipStream_tbEUljE_ZNSN_ISO_Lb1ESR_SS_SU_SV_SZ_EES10_S11_S12_S13_S17_S18_S19_S1C_S1D_jS1E_jS1F_S1F_jjS1H_bEUljE0_EEES10_S11_S12_S19_S1D_S1F_T6_T7_T9_mT8_S1H_bDpT10_ENKUlT_T0_E_clISt17integral_constantIbLb1EES1U_IbLb0EEEEDaS1Q_S1R_EUlS1Q_E_NS1_11comp_targetILNS1_3genE3ELNS1_11target_archE908ELNS1_3gpuE7ELNS1_3repE0EEENS1_30default_config_static_selectorELNS0_4arch9wavefront6targetE0EEEvS13_,comdat
	.globl	_ZN7rocprim17ROCPRIM_400000_NS6detail17trampoline_kernelINS0_13select_configILj256ELj13ELNS0_17block_load_methodE3ELS4_3ELS4_3ELNS0_20block_scan_algorithmE0ELj4294967295EEENS1_25partition_config_selectorILNS1_17partition_subalgoE4EjNS0_10empty_typeEbEEZZNS1_14partition_implILS8_4ELb0ES6_15HIP_vector_typeIjLj2EENS0_17counting_iteratorIjlEEPS9_SG_NS0_5tupleIJPjSI_NS0_16reverse_iteratorISI_EEEEENSH_IJSG_SG_SG_EEES9_SI_JZNS1_25segmented_radix_sort_implINS0_14default_configELb1EPK12hip_bfloat16PSP_PKlPlN2at6native12_GLOBAL__N_18offset_tEEE10hipError_tPvRmT1_PNSt15iterator_traitsIS13_E10value_typeET2_T3_PNS14_IS19_E10value_typeET4_jRbjT5_S1F_jjP12ihipStream_tbEUljE_ZNSN_ISO_Lb1ESR_SS_SU_SV_SZ_EES10_S11_S12_S13_S17_S18_S19_S1C_S1D_jS1E_jS1F_S1F_jjS1H_bEUljE0_EEES10_S11_S12_S19_S1D_S1F_T6_T7_T9_mT8_S1H_bDpT10_ENKUlT_T0_E_clISt17integral_constantIbLb1EES1U_IbLb0EEEEDaS1Q_S1R_EUlS1Q_E_NS1_11comp_targetILNS1_3genE3ELNS1_11target_archE908ELNS1_3gpuE7ELNS1_3repE0EEENS1_30default_config_static_selectorELNS0_4arch9wavefront6targetE0EEEvS13_ ; -- Begin function _ZN7rocprim17ROCPRIM_400000_NS6detail17trampoline_kernelINS0_13select_configILj256ELj13ELNS0_17block_load_methodE3ELS4_3ELS4_3ELNS0_20block_scan_algorithmE0ELj4294967295EEENS1_25partition_config_selectorILNS1_17partition_subalgoE4EjNS0_10empty_typeEbEEZZNS1_14partition_implILS8_4ELb0ES6_15HIP_vector_typeIjLj2EENS0_17counting_iteratorIjlEEPS9_SG_NS0_5tupleIJPjSI_NS0_16reverse_iteratorISI_EEEEENSH_IJSG_SG_SG_EEES9_SI_JZNS1_25segmented_radix_sort_implINS0_14default_configELb1EPK12hip_bfloat16PSP_PKlPlN2at6native12_GLOBAL__N_18offset_tEEE10hipError_tPvRmT1_PNSt15iterator_traitsIS13_E10value_typeET2_T3_PNS14_IS19_E10value_typeET4_jRbjT5_S1F_jjP12ihipStream_tbEUljE_ZNSN_ISO_Lb1ESR_SS_SU_SV_SZ_EES10_S11_S12_S13_S17_S18_S19_S1C_S1D_jS1E_jS1F_S1F_jjS1H_bEUljE0_EEES10_S11_S12_S19_S1D_S1F_T6_T7_T9_mT8_S1H_bDpT10_ENKUlT_T0_E_clISt17integral_constantIbLb1EES1U_IbLb0EEEEDaS1Q_S1R_EUlS1Q_E_NS1_11comp_targetILNS1_3genE3ELNS1_11target_archE908ELNS1_3gpuE7ELNS1_3repE0EEENS1_30default_config_static_selectorELNS0_4arch9wavefront6targetE0EEEvS13_
	.p2align	8
	.type	_ZN7rocprim17ROCPRIM_400000_NS6detail17trampoline_kernelINS0_13select_configILj256ELj13ELNS0_17block_load_methodE3ELS4_3ELS4_3ELNS0_20block_scan_algorithmE0ELj4294967295EEENS1_25partition_config_selectorILNS1_17partition_subalgoE4EjNS0_10empty_typeEbEEZZNS1_14partition_implILS8_4ELb0ES6_15HIP_vector_typeIjLj2EENS0_17counting_iteratorIjlEEPS9_SG_NS0_5tupleIJPjSI_NS0_16reverse_iteratorISI_EEEEENSH_IJSG_SG_SG_EEES9_SI_JZNS1_25segmented_radix_sort_implINS0_14default_configELb1EPK12hip_bfloat16PSP_PKlPlN2at6native12_GLOBAL__N_18offset_tEEE10hipError_tPvRmT1_PNSt15iterator_traitsIS13_E10value_typeET2_T3_PNS14_IS19_E10value_typeET4_jRbjT5_S1F_jjP12ihipStream_tbEUljE_ZNSN_ISO_Lb1ESR_SS_SU_SV_SZ_EES10_S11_S12_S13_S17_S18_S19_S1C_S1D_jS1E_jS1F_S1F_jjS1H_bEUljE0_EEES10_S11_S12_S19_S1D_S1F_T6_T7_T9_mT8_S1H_bDpT10_ENKUlT_T0_E_clISt17integral_constantIbLb1EES1U_IbLb0EEEEDaS1Q_S1R_EUlS1Q_E_NS1_11comp_targetILNS1_3genE3ELNS1_11target_archE908ELNS1_3gpuE7ELNS1_3repE0EEENS1_30default_config_static_selectorELNS0_4arch9wavefront6targetE0EEEvS13_,@function
_ZN7rocprim17ROCPRIM_400000_NS6detail17trampoline_kernelINS0_13select_configILj256ELj13ELNS0_17block_load_methodE3ELS4_3ELS4_3ELNS0_20block_scan_algorithmE0ELj4294967295EEENS1_25partition_config_selectorILNS1_17partition_subalgoE4EjNS0_10empty_typeEbEEZZNS1_14partition_implILS8_4ELb0ES6_15HIP_vector_typeIjLj2EENS0_17counting_iteratorIjlEEPS9_SG_NS0_5tupleIJPjSI_NS0_16reverse_iteratorISI_EEEEENSH_IJSG_SG_SG_EEES9_SI_JZNS1_25segmented_radix_sort_implINS0_14default_configELb1EPK12hip_bfloat16PSP_PKlPlN2at6native12_GLOBAL__N_18offset_tEEE10hipError_tPvRmT1_PNSt15iterator_traitsIS13_E10value_typeET2_T3_PNS14_IS19_E10value_typeET4_jRbjT5_S1F_jjP12ihipStream_tbEUljE_ZNSN_ISO_Lb1ESR_SS_SU_SV_SZ_EES10_S11_S12_S13_S17_S18_S19_S1C_S1D_jS1E_jS1F_S1F_jjS1H_bEUljE0_EEES10_S11_S12_S19_S1D_S1F_T6_T7_T9_mT8_S1H_bDpT10_ENKUlT_T0_E_clISt17integral_constantIbLb1EES1U_IbLb0EEEEDaS1Q_S1R_EUlS1Q_E_NS1_11comp_targetILNS1_3genE3ELNS1_11target_archE908ELNS1_3gpuE7ELNS1_3repE0EEENS1_30default_config_static_selectorELNS0_4arch9wavefront6targetE0EEEvS13_: ; @_ZN7rocprim17ROCPRIM_400000_NS6detail17trampoline_kernelINS0_13select_configILj256ELj13ELNS0_17block_load_methodE3ELS4_3ELS4_3ELNS0_20block_scan_algorithmE0ELj4294967295EEENS1_25partition_config_selectorILNS1_17partition_subalgoE4EjNS0_10empty_typeEbEEZZNS1_14partition_implILS8_4ELb0ES6_15HIP_vector_typeIjLj2EENS0_17counting_iteratorIjlEEPS9_SG_NS0_5tupleIJPjSI_NS0_16reverse_iteratorISI_EEEEENSH_IJSG_SG_SG_EEES9_SI_JZNS1_25segmented_radix_sort_implINS0_14default_configELb1EPK12hip_bfloat16PSP_PKlPlN2at6native12_GLOBAL__N_18offset_tEEE10hipError_tPvRmT1_PNSt15iterator_traitsIS13_E10value_typeET2_T3_PNS14_IS19_E10value_typeET4_jRbjT5_S1F_jjP12ihipStream_tbEUljE_ZNSN_ISO_Lb1ESR_SS_SU_SV_SZ_EES10_S11_S12_S13_S17_S18_S19_S1C_S1D_jS1E_jS1F_S1F_jjS1H_bEUljE0_EEES10_S11_S12_S19_S1D_S1F_T6_T7_T9_mT8_S1H_bDpT10_ENKUlT_T0_E_clISt17integral_constantIbLb1EES1U_IbLb0EEEEDaS1Q_S1R_EUlS1Q_E_NS1_11comp_targetILNS1_3genE3ELNS1_11target_archE908ELNS1_3gpuE7ELNS1_3repE0EEENS1_30default_config_static_selectorELNS0_4arch9wavefront6targetE0EEEvS13_
; %bb.0:
	.section	.rodata,"a",@progbits
	.p2align	6, 0x0
	.amdhsa_kernel _ZN7rocprim17ROCPRIM_400000_NS6detail17trampoline_kernelINS0_13select_configILj256ELj13ELNS0_17block_load_methodE3ELS4_3ELS4_3ELNS0_20block_scan_algorithmE0ELj4294967295EEENS1_25partition_config_selectorILNS1_17partition_subalgoE4EjNS0_10empty_typeEbEEZZNS1_14partition_implILS8_4ELb0ES6_15HIP_vector_typeIjLj2EENS0_17counting_iteratorIjlEEPS9_SG_NS0_5tupleIJPjSI_NS0_16reverse_iteratorISI_EEEEENSH_IJSG_SG_SG_EEES9_SI_JZNS1_25segmented_radix_sort_implINS0_14default_configELb1EPK12hip_bfloat16PSP_PKlPlN2at6native12_GLOBAL__N_18offset_tEEE10hipError_tPvRmT1_PNSt15iterator_traitsIS13_E10value_typeET2_T3_PNS14_IS19_E10value_typeET4_jRbjT5_S1F_jjP12ihipStream_tbEUljE_ZNSN_ISO_Lb1ESR_SS_SU_SV_SZ_EES10_S11_S12_S13_S17_S18_S19_S1C_S1D_jS1E_jS1F_S1F_jjS1H_bEUljE0_EEES10_S11_S12_S19_S1D_S1F_T6_T7_T9_mT8_S1H_bDpT10_ENKUlT_T0_E_clISt17integral_constantIbLb1EES1U_IbLb0EEEEDaS1Q_S1R_EUlS1Q_E_NS1_11comp_targetILNS1_3genE3ELNS1_11target_archE908ELNS1_3gpuE7ELNS1_3repE0EEENS1_30default_config_static_selectorELNS0_4arch9wavefront6targetE0EEEvS13_
		.amdhsa_group_segment_fixed_size 0
		.amdhsa_private_segment_fixed_size 0
		.amdhsa_kernarg_size 176
		.amdhsa_user_sgpr_count 2
		.amdhsa_user_sgpr_dispatch_ptr 0
		.amdhsa_user_sgpr_queue_ptr 0
		.amdhsa_user_sgpr_kernarg_segment_ptr 1
		.amdhsa_user_sgpr_dispatch_id 0
		.amdhsa_user_sgpr_kernarg_preload_length 0
		.amdhsa_user_sgpr_kernarg_preload_offset 0
		.amdhsa_user_sgpr_private_segment_size 0
		.amdhsa_wavefront_size32 1
		.amdhsa_uses_dynamic_stack 0
		.amdhsa_enable_private_segment 0
		.amdhsa_system_sgpr_workgroup_id_x 1
		.amdhsa_system_sgpr_workgroup_id_y 0
		.amdhsa_system_sgpr_workgroup_id_z 0
		.amdhsa_system_sgpr_workgroup_info 0
		.amdhsa_system_vgpr_workitem_id 0
		.amdhsa_next_free_vgpr 1
		.amdhsa_next_free_sgpr 1
		.amdhsa_named_barrier_count 0
		.amdhsa_reserve_vcc 0
		.amdhsa_float_round_mode_32 0
		.amdhsa_float_round_mode_16_64 0
		.amdhsa_float_denorm_mode_32 3
		.amdhsa_float_denorm_mode_16_64 3
		.amdhsa_fp16_overflow 0
		.amdhsa_memory_ordered 1
		.amdhsa_forward_progress 1
		.amdhsa_inst_pref_size 0
		.amdhsa_round_robin_scheduling 0
		.amdhsa_exception_fp_ieee_invalid_op 0
		.amdhsa_exception_fp_denorm_src 0
		.amdhsa_exception_fp_ieee_div_zero 0
		.amdhsa_exception_fp_ieee_overflow 0
		.amdhsa_exception_fp_ieee_underflow 0
		.amdhsa_exception_fp_ieee_inexact 0
		.amdhsa_exception_int_div_zero 0
	.end_amdhsa_kernel
	.section	.text._ZN7rocprim17ROCPRIM_400000_NS6detail17trampoline_kernelINS0_13select_configILj256ELj13ELNS0_17block_load_methodE3ELS4_3ELS4_3ELNS0_20block_scan_algorithmE0ELj4294967295EEENS1_25partition_config_selectorILNS1_17partition_subalgoE4EjNS0_10empty_typeEbEEZZNS1_14partition_implILS8_4ELb0ES6_15HIP_vector_typeIjLj2EENS0_17counting_iteratorIjlEEPS9_SG_NS0_5tupleIJPjSI_NS0_16reverse_iteratorISI_EEEEENSH_IJSG_SG_SG_EEES9_SI_JZNS1_25segmented_radix_sort_implINS0_14default_configELb1EPK12hip_bfloat16PSP_PKlPlN2at6native12_GLOBAL__N_18offset_tEEE10hipError_tPvRmT1_PNSt15iterator_traitsIS13_E10value_typeET2_T3_PNS14_IS19_E10value_typeET4_jRbjT5_S1F_jjP12ihipStream_tbEUljE_ZNSN_ISO_Lb1ESR_SS_SU_SV_SZ_EES10_S11_S12_S13_S17_S18_S19_S1C_S1D_jS1E_jS1F_S1F_jjS1H_bEUljE0_EEES10_S11_S12_S19_S1D_S1F_T6_T7_T9_mT8_S1H_bDpT10_ENKUlT_T0_E_clISt17integral_constantIbLb1EES1U_IbLb0EEEEDaS1Q_S1R_EUlS1Q_E_NS1_11comp_targetILNS1_3genE3ELNS1_11target_archE908ELNS1_3gpuE7ELNS1_3repE0EEENS1_30default_config_static_selectorELNS0_4arch9wavefront6targetE0EEEvS13_,"axG",@progbits,_ZN7rocprim17ROCPRIM_400000_NS6detail17trampoline_kernelINS0_13select_configILj256ELj13ELNS0_17block_load_methodE3ELS4_3ELS4_3ELNS0_20block_scan_algorithmE0ELj4294967295EEENS1_25partition_config_selectorILNS1_17partition_subalgoE4EjNS0_10empty_typeEbEEZZNS1_14partition_implILS8_4ELb0ES6_15HIP_vector_typeIjLj2EENS0_17counting_iteratorIjlEEPS9_SG_NS0_5tupleIJPjSI_NS0_16reverse_iteratorISI_EEEEENSH_IJSG_SG_SG_EEES9_SI_JZNS1_25segmented_radix_sort_implINS0_14default_configELb1EPK12hip_bfloat16PSP_PKlPlN2at6native12_GLOBAL__N_18offset_tEEE10hipError_tPvRmT1_PNSt15iterator_traitsIS13_E10value_typeET2_T3_PNS14_IS19_E10value_typeET4_jRbjT5_S1F_jjP12ihipStream_tbEUljE_ZNSN_ISO_Lb1ESR_SS_SU_SV_SZ_EES10_S11_S12_S13_S17_S18_S19_S1C_S1D_jS1E_jS1F_S1F_jjS1H_bEUljE0_EEES10_S11_S12_S19_S1D_S1F_T6_T7_T9_mT8_S1H_bDpT10_ENKUlT_T0_E_clISt17integral_constantIbLb1EES1U_IbLb0EEEEDaS1Q_S1R_EUlS1Q_E_NS1_11comp_targetILNS1_3genE3ELNS1_11target_archE908ELNS1_3gpuE7ELNS1_3repE0EEENS1_30default_config_static_selectorELNS0_4arch9wavefront6targetE0EEEvS13_,comdat
.Lfunc_end1891:
	.size	_ZN7rocprim17ROCPRIM_400000_NS6detail17trampoline_kernelINS0_13select_configILj256ELj13ELNS0_17block_load_methodE3ELS4_3ELS4_3ELNS0_20block_scan_algorithmE0ELj4294967295EEENS1_25partition_config_selectorILNS1_17partition_subalgoE4EjNS0_10empty_typeEbEEZZNS1_14partition_implILS8_4ELb0ES6_15HIP_vector_typeIjLj2EENS0_17counting_iteratorIjlEEPS9_SG_NS0_5tupleIJPjSI_NS0_16reverse_iteratorISI_EEEEENSH_IJSG_SG_SG_EEES9_SI_JZNS1_25segmented_radix_sort_implINS0_14default_configELb1EPK12hip_bfloat16PSP_PKlPlN2at6native12_GLOBAL__N_18offset_tEEE10hipError_tPvRmT1_PNSt15iterator_traitsIS13_E10value_typeET2_T3_PNS14_IS19_E10value_typeET4_jRbjT5_S1F_jjP12ihipStream_tbEUljE_ZNSN_ISO_Lb1ESR_SS_SU_SV_SZ_EES10_S11_S12_S13_S17_S18_S19_S1C_S1D_jS1E_jS1F_S1F_jjS1H_bEUljE0_EEES10_S11_S12_S19_S1D_S1F_T6_T7_T9_mT8_S1H_bDpT10_ENKUlT_T0_E_clISt17integral_constantIbLb1EES1U_IbLb0EEEEDaS1Q_S1R_EUlS1Q_E_NS1_11comp_targetILNS1_3genE3ELNS1_11target_archE908ELNS1_3gpuE7ELNS1_3repE0EEENS1_30default_config_static_selectorELNS0_4arch9wavefront6targetE0EEEvS13_, .Lfunc_end1891-_ZN7rocprim17ROCPRIM_400000_NS6detail17trampoline_kernelINS0_13select_configILj256ELj13ELNS0_17block_load_methodE3ELS4_3ELS4_3ELNS0_20block_scan_algorithmE0ELj4294967295EEENS1_25partition_config_selectorILNS1_17partition_subalgoE4EjNS0_10empty_typeEbEEZZNS1_14partition_implILS8_4ELb0ES6_15HIP_vector_typeIjLj2EENS0_17counting_iteratorIjlEEPS9_SG_NS0_5tupleIJPjSI_NS0_16reverse_iteratorISI_EEEEENSH_IJSG_SG_SG_EEES9_SI_JZNS1_25segmented_radix_sort_implINS0_14default_configELb1EPK12hip_bfloat16PSP_PKlPlN2at6native12_GLOBAL__N_18offset_tEEE10hipError_tPvRmT1_PNSt15iterator_traitsIS13_E10value_typeET2_T3_PNS14_IS19_E10value_typeET4_jRbjT5_S1F_jjP12ihipStream_tbEUljE_ZNSN_ISO_Lb1ESR_SS_SU_SV_SZ_EES10_S11_S12_S13_S17_S18_S19_S1C_S1D_jS1E_jS1F_S1F_jjS1H_bEUljE0_EEES10_S11_S12_S19_S1D_S1F_T6_T7_T9_mT8_S1H_bDpT10_ENKUlT_T0_E_clISt17integral_constantIbLb1EES1U_IbLb0EEEEDaS1Q_S1R_EUlS1Q_E_NS1_11comp_targetILNS1_3genE3ELNS1_11target_archE908ELNS1_3gpuE7ELNS1_3repE0EEENS1_30default_config_static_selectorELNS0_4arch9wavefront6targetE0EEEvS13_
                                        ; -- End function
	.set _ZN7rocprim17ROCPRIM_400000_NS6detail17trampoline_kernelINS0_13select_configILj256ELj13ELNS0_17block_load_methodE3ELS4_3ELS4_3ELNS0_20block_scan_algorithmE0ELj4294967295EEENS1_25partition_config_selectorILNS1_17partition_subalgoE4EjNS0_10empty_typeEbEEZZNS1_14partition_implILS8_4ELb0ES6_15HIP_vector_typeIjLj2EENS0_17counting_iteratorIjlEEPS9_SG_NS0_5tupleIJPjSI_NS0_16reverse_iteratorISI_EEEEENSH_IJSG_SG_SG_EEES9_SI_JZNS1_25segmented_radix_sort_implINS0_14default_configELb1EPK12hip_bfloat16PSP_PKlPlN2at6native12_GLOBAL__N_18offset_tEEE10hipError_tPvRmT1_PNSt15iterator_traitsIS13_E10value_typeET2_T3_PNS14_IS19_E10value_typeET4_jRbjT5_S1F_jjP12ihipStream_tbEUljE_ZNSN_ISO_Lb1ESR_SS_SU_SV_SZ_EES10_S11_S12_S13_S17_S18_S19_S1C_S1D_jS1E_jS1F_S1F_jjS1H_bEUljE0_EEES10_S11_S12_S19_S1D_S1F_T6_T7_T9_mT8_S1H_bDpT10_ENKUlT_T0_E_clISt17integral_constantIbLb1EES1U_IbLb0EEEEDaS1Q_S1R_EUlS1Q_E_NS1_11comp_targetILNS1_3genE3ELNS1_11target_archE908ELNS1_3gpuE7ELNS1_3repE0EEENS1_30default_config_static_selectorELNS0_4arch9wavefront6targetE0EEEvS13_.num_vgpr, 0
	.set _ZN7rocprim17ROCPRIM_400000_NS6detail17trampoline_kernelINS0_13select_configILj256ELj13ELNS0_17block_load_methodE3ELS4_3ELS4_3ELNS0_20block_scan_algorithmE0ELj4294967295EEENS1_25partition_config_selectorILNS1_17partition_subalgoE4EjNS0_10empty_typeEbEEZZNS1_14partition_implILS8_4ELb0ES6_15HIP_vector_typeIjLj2EENS0_17counting_iteratorIjlEEPS9_SG_NS0_5tupleIJPjSI_NS0_16reverse_iteratorISI_EEEEENSH_IJSG_SG_SG_EEES9_SI_JZNS1_25segmented_radix_sort_implINS0_14default_configELb1EPK12hip_bfloat16PSP_PKlPlN2at6native12_GLOBAL__N_18offset_tEEE10hipError_tPvRmT1_PNSt15iterator_traitsIS13_E10value_typeET2_T3_PNS14_IS19_E10value_typeET4_jRbjT5_S1F_jjP12ihipStream_tbEUljE_ZNSN_ISO_Lb1ESR_SS_SU_SV_SZ_EES10_S11_S12_S13_S17_S18_S19_S1C_S1D_jS1E_jS1F_S1F_jjS1H_bEUljE0_EEES10_S11_S12_S19_S1D_S1F_T6_T7_T9_mT8_S1H_bDpT10_ENKUlT_T0_E_clISt17integral_constantIbLb1EES1U_IbLb0EEEEDaS1Q_S1R_EUlS1Q_E_NS1_11comp_targetILNS1_3genE3ELNS1_11target_archE908ELNS1_3gpuE7ELNS1_3repE0EEENS1_30default_config_static_selectorELNS0_4arch9wavefront6targetE0EEEvS13_.num_agpr, 0
	.set _ZN7rocprim17ROCPRIM_400000_NS6detail17trampoline_kernelINS0_13select_configILj256ELj13ELNS0_17block_load_methodE3ELS4_3ELS4_3ELNS0_20block_scan_algorithmE0ELj4294967295EEENS1_25partition_config_selectorILNS1_17partition_subalgoE4EjNS0_10empty_typeEbEEZZNS1_14partition_implILS8_4ELb0ES6_15HIP_vector_typeIjLj2EENS0_17counting_iteratorIjlEEPS9_SG_NS0_5tupleIJPjSI_NS0_16reverse_iteratorISI_EEEEENSH_IJSG_SG_SG_EEES9_SI_JZNS1_25segmented_radix_sort_implINS0_14default_configELb1EPK12hip_bfloat16PSP_PKlPlN2at6native12_GLOBAL__N_18offset_tEEE10hipError_tPvRmT1_PNSt15iterator_traitsIS13_E10value_typeET2_T3_PNS14_IS19_E10value_typeET4_jRbjT5_S1F_jjP12ihipStream_tbEUljE_ZNSN_ISO_Lb1ESR_SS_SU_SV_SZ_EES10_S11_S12_S13_S17_S18_S19_S1C_S1D_jS1E_jS1F_S1F_jjS1H_bEUljE0_EEES10_S11_S12_S19_S1D_S1F_T6_T7_T9_mT8_S1H_bDpT10_ENKUlT_T0_E_clISt17integral_constantIbLb1EES1U_IbLb0EEEEDaS1Q_S1R_EUlS1Q_E_NS1_11comp_targetILNS1_3genE3ELNS1_11target_archE908ELNS1_3gpuE7ELNS1_3repE0EEENS1_30default_config_static_selectorELNS0_4arch9wavefront6targetE0EEEvS13_.numbered_sgpr, 0
	.set _ZN7rocprim17ROCPRIM_400000_NS6detail17trampoline_kernelINS0_13select_configILj256ELj13ELNS0_17block_load_methodE3ELS4_3ELS4_3ELNS0_20block_scan_algorithmE0ELj4294967295EEENS1_25partition_config_selectorILNS1_17partition_subalgoE4EjNS0_10empty_typeEbEEZZNS1_14partition_implILS8_4ELb0ES6_15HIP_vector_typeIjLj2EENS0_17counting_iteratorIjlEEPS9_SG_NS0_5tupleIJPjSI_NS0_16reverse_iteratorISI_EEEEENSH_IJSG_SG_SG_EEES9_SI_JZNS1_25segmented_radix_sort_implINS0_14default_configELb1EPK12hip_bfloat16PSP_PKlPlN2at6native12_GLOBAL__N_18offset_tEEE10hipError_tPvRmT1_PNSt15iterator_traitsIS13_E10value_typeET2_T3_PNS14_IS19_E10value_typeET4_jRbjT5_S1F_jjP12ihipStream_tbEUljE_ZNSN_ISO_Lb1ESR_SS_SU_SV_SZ_EES10_S11_S12_S13_S17_S18_S19_S1C_S1D_jS1E_jS1F_S1F_jjS1H_bEUljE0_EEES10_S11_S12_S19_S1D_S1F_T6_T7_T9_mT8_S1H_bDpT10_ENKUlT_T0_E_clISt17integral_constantIbLb1EES1U_IbLb0EEEEDaS1Q_S1R_EUlS1Q_E_NS1_11comp_targetILNS1_3genE3ELNS1_11target_archE908ELNS1_3gpuE7ELNS1_3repE0EEENS1_30default_config_static_selectorELNS0_4arch9wavefront6targetE0EEEvS13_.num_named_barrier, 0
	.set _ZN7rocprim17ROCPRIM_400000_NS6detail17trampoline_kernelINS0_13select_configILj256ELj13ELNS0_17block_load_methodE3ELS4_3ELS4_3ELNS0_20block_scan_algorithmE0ELj4294967295EEENS1_25partition_config_selectorILNS1_17partition_subalgoE4EjNS0_10empty_typeEbEEZZNS1_14partition_implILS8_4ELb0ES6_15HIP_vector_typeIjLj2EENS0_17counting_iteratorIjlEEPS9_SG_NS0_5tupleIJPjSI_NS0_16reverse_iteratorISI_EEEEENSH_IJSG_SG_SG_EEES9_SI_JZNS1_25segmented_radix_sort_implINS0_14default_configELb1EPK12hip_bfloat16PSP_PKlPlN2at6native12_GLOBAL__N_18offset_tEEE10hipError_tPvRmT1_PNSt15iterator_traitsIS13_E10value_typeET2_T3_PNS14_IS19_E10value_typeET4_jRbjT5_S1F_jjP12ihipStream_tbEUljE_ZNSN_ISO_Lb1ESR_SS_SU_SV_SZ_EES10_S11_S12_S13_S17_S18_S19_S1C_S1D_jS1E_jS1F_S1F_jjS1H_bEUljE0_EEES10_S11_S12_S19_S1D_S1F_T6_T7_T9_mT8_S1H_bDpT10_ENKUlT_T0_E_clISt17integral_constantIbLb1EES1U_IbLb0EEEEDaS1Q_S1R_EUlS1Q_E_NS1_11comp_targetILNS1_3genE3ELNS1_11target_archE908ELNS1_3gpuE7ELNS1_3repE0EEENS1_30default_config_static_selectorELNS0_4arch9wavefront6targetE0EEEvS13_.private_seg_size, 0
	.set _ZN7rocprim17ROCPRIM_400000_NS6detail17trampoline_kernelINS0_13select_configILj256ELj13ELNS0_17block_load_methodE3ELS4_3ELS4_3ELNS0_20block_scan_algorithmE0ELj4294967295EEENS1_25partition_config_selectorILNS1_17partition_subalgoE4EjNS0_10empty_typeEbEEZZNS1_14partition_implILS8_4ELb0ES6_15HIP_vector_typeIjLj2EENS0_17counting_iteratorIjlEEPS9_SG_NS0_5tupleIJPjSI_NS0_16reverse_iteratorISI_EEEEENSH_IJSG_SG_SG_EEES9_SI_JZNS1_25segmented_radix_sort_implINS0_14default_configELb1EPK12hip_bfloat16PSP_PKlPlN2at6native12_GLOBAL__N_18offset_tEEE10hipError_tPvRmT1_PNSt15iterator_traitsIS13_E10value_typeET2_T3_PNS14_IS19_E10value_typeET4_jRbjT5_S1F_jjP12ihipStream_tbEUljE_ZNSN_ISO_Lb1ESR_SS_SU_SV_SZ_EES10_S11_S12_S13_S17_S18_S19_S1C_S1D_jS1E_jS1F_S1F_jjS1H_bEUljE0_EEES10_S11_S12_S19_S1D_S1F_T6_T7_T9_mT8_S1H_bDpT10_ENKUlT_T0_E_clISt17integral_constantIbLb1EES1U_IbLb0EEEEDaS1Q_S1R_EUlS1Q_E_NS1_11comp_targetILNS1_3genE3ELNS1_11target_archE908ELNS1_3gpuE7ELNS1_3repE0EEENS1_30default_config_static_selectorELNS0_4arch9wavefront6targetE0EEEvS13_.uses_vcc, 0
	.set _ZN7rocprim17ROCPRIM_400000_NS6detail17trampoline_kernelINS0_13select_configILj256ELj13ELNS0_17block_load_methodE3ELS4_3ELS4_3ELNS0_20block_scan_algorithmE0ELj4294967295EEENS1_25partition_config_selectorILNS1_17partition_subalgoE4EjNS0_10empty_typeEbEEZZNS1_14partition_implILS8_4ELb0ES6_15HIP_vector_typeIjLj2EENS0_17counting_iteratorIjlEEPS9_SG_NS0_5tupleIJPjSI_NS0_16reverse_iteratorISI_EEEEENSH_IJSG_SG_SG_EEES9_SI_JZNS1_25segmented_radix_sort_implINS0_14default_configELb1EPK12hip_bfloat16PSP_PKlPlN2at6native12_GLOBAL__N_18offset_tEEE10hipError_tPvRmT1_PNSt15iterator_traitsIS13_E10value_typeET2_T3_PNS14_IS19_E10value_typeET4_jRbjT5_S1F_jjP12ihipStream_tbEUljE_ZNSN_ISO_Lb1ESR_SS_SU_SV_SZ_EES10_S11_S12_S13_S17_S18_S19_S1C_S1D_jS1E_jS1F_S1F_jjS1H_bEUljE0_EEES10_S11_S12_S19_S1D_S1F_T6_T7_T9_mT8_S1H_bDpT10_ENKUlT_T0_E_clISt17integral_constantIbLb1EES1U_IbLb0EEEEDaS1Q_S1R_EUlS1Q_E_NS1_11comp_targetILNS1_3genE3ELNS1_11target_archE908ELNS1_3gpuE7ELNS1_3repE0EEENS1_30default_config_static_selectorELNS0_4arch9wavefront6targetE0EEEvS13_.uses_flat_scratch, 0
	.set _ZN7rocprim17ROCPRIM_400000_NS6detail17trampoline_kernelINS0_13select_configILj256ELj13ELNS0_17block_load_methodE3ELS4_3ELS4_3ELNS0_20block_scan_algorithmE0ELj4294967295EEENS1_25partition_config_selectorILNS1_17partition_subalgoE4EjNS0_10empty_typeEbEEZZNS1_14partition_implILS8_4ELb0ES6_15HIP_vector_typeIjLj2EENS0_17counting_iteratorIjlEEPS9_SG_NS0_5tupleIJPjSI_NS0_16reverse_iteratorISI_EEEEENSH_IJSG_SG_SG_EEES9_SI_JZNS1_25segmented_radix_sort_implINS0_14default_configELb1EPK12hip_bfloat16PSP_PKlPlN2at6native12_GLOBAL__N_18offset_tEEE10hipError_tPvRmT1_PNSt15iterator_traitsIS13_E10value_typeET2_T3_PNS14_IS19_E10value_typeET4_jRbjT5_S1F_jjP12ihipStream_tbEUljE_ZNSN_ISO_Lb1ESR_SS_SU_SV_SZ_EES10_S11_S12_S13_S17_S18_S19_S1C_S1D_jS1E_jS1F_S1F_jjS1H_bEUljE0_EEES10_S11_S12_S19_S1D_S1F_T6_T7_T9_mT8_S1H_bDpT10_ENKUlT_T0_E_clISt17integral_constantIbLb1EES1U_IbLb0EEEEDaS1Q_S1R_EUlS1Q_E_NS1_11comp_targetILNS1_3genE3ELNS1_11target_archE908ELNS1_3gpuE7ELNS1_3repE0EEENS1_30default_config_static_selectorELNS0_4arch9wavefront6targetE0EEEvS13_.has_dyn_sized_stack, 0
	.set _ZN7rocprim17ROCPRIM_400000_NS6detail17trampoline_kernelINS0_13select_configILj256ELj13ELNS0_17block_load_methodE3ELS4_3ELS4_3ELNS0_20block_scan_algorithmE0ELj4294967295EEENS1_25partition_config_selectorILNS1_17partition_subalgoE4EjNS0_10empty_typeEbEEZZNS1_14partition_implILS8_4ELb0ES6_15HIP_vector_typeIjLj2EENS0_17counting_iteratorIjlEEPS9_SG_NS0_5tupleIJPjSI_NS0_16reverse_iteratorISI_EEEEENSH_IJSG_SG_SG_EEES9_SI_JZNS1_25segmented_radix_sort_implINS0_14default_configELb1EPK12hip_bfloat16PSP_PKlPlN2at6native12_GLOBAL__N_18offset_tEEE10hipError_tPvRmT1_PNSt15iterator_traitsIS13_E10value_typeET2_T3_PNS14_IS19_E10value_typeET4_jRbjT5_S1F_jjP12ihipStream_tbEUljE_ZNSN_ISO_Lb1ESR_SS_SU_SV_SZ_EES10_S11_S12_S13_S17_S18_S19_S1C_S1D_jS1E_jS1F_S1F_jjS1H_bEUljE0_EEES10_S11_S12_S19_S1D_S1F_T6_T7_T9_mT8_S1H_bDpT10_ENKUlT_T0_E_clISt17integral_constantIbLb1EES1U_IbLb0EEEEDaS1Q_S1R_EUlS1Q_E_NS1_11comp_targetILNS1_3genE3ELNS1_11target_archE908ELNS1_3gpuE7ELNS1_3repE0EEENS1_30default_config_static_selectorELNS0_4arch9wavefront6targetE0EEEvS13_.has_recursion, 0
	.set _ZN7rocprim17ROCPRIM_400000_NS6detail17trampoline_kernelINS0_13select_configILj256ELj13ELNS0_17block_load_methodE3ELS4_3ELS4_3ELNS0_20block_scan_algorithmE0ELj4294967295EEENS1_25partition_config_selectorILNS1_17partition_subalgoE4EjNS0_10empty_typeEbEEZZNS1_14partition_implILS8_4ELb0ES6_15HIP_vector_typeIjLj2EENS0_17counting_iteratorIjlEEPS9_SG_NS0_5tupleIJPjSI_NS0_16reverse_iteratorISI_EEEEENSH_IJSG_SG_SG_EEES9_SI_JZNS1_25segmented_radix_sort_implINS0_14default_configELb1EPK12hip_bfloat16PSP_PKlPlN2at6native12_GLOBAL__N_18offset_tEEE10hipError_tPvRmT1_PNSt15iterator_traitsIS13_E10value_typeET2_T3_PNS14_IS19_E10value_typeET4_jRbjT5_S1F_jjP12ihipStream_tbEUljE_ZNSN_ISO_Lb1ESR_SS_SU_SV_SZ_EES10_S11_S12_S13_S17_S18_S19_S1C_S1D_jS1E_jS1F_S1F_jjS1H_bEUljE0_EEES10_S11_S12_S19_S1D_S1F_T6_T7_T9_mT8_S1H_bDpT10_ENKUlT_T0_E_clISt17integral_constantIbLb1EES1U_IbLb0EEEEDaS1Q_S1R_EUlS1Q_E_NS1_11comp_targetILNS1_3genE3ELNS1_11target_archE908ELNS1_3gpuE7ELNS1_3repE0EEENS1_30default_config_static_selectorELNS0_4arch9wavefront6targetE0EEEvS13_.has_indirect_call, 0
	.section	.AMDGPU.csdata,"",@progbits
; Kernel info:
; codeLenInByte = 0
; TotalNumSgprs: 0
; NumVgprs: 0
; ScratchSize: 0
; MemoryBound: 0
; FloatMode: 240
; IeeeMode: 1
; LDSByteSize: 0 bytes/workgroup (compile time only)
; SGPRBlocks: 0
; VGPRBlocks: 0
; NumSGPRsForWavesPerEU: 1
; NumVGPRsForWavesPerEU: 1
; NamedBarCnt: 0
; Occupancy: 16
; WaveLimiterHint : 0
; COMPUTE_PGM_RSRC2:SCRATCH_EN: 0
; COMPUTE_PGM_RSRC2:USER_SGPR: 2
; COMPUTE_PGM_RSRC2:TRAP_HANDLER: 0
; COMPUTE_PGM_RSRC2:TGID_X_EN: 1
; COMPUTE_PGM_RSRC2:TGID_Y_EN: 0
; COMPUTE_PGM_RSRC2:TGID_Z_EN: 0
; COMPUTE_PGM_RSRC2:TIDIG_COMP_CNT: 0
	.section	.text._ZN7rocprim17ROCPRIM_400000_NS6detail17trampoline_kernelINS0_13select_configILj256ELj13ELNS0_17block_load_methodE3ELS4_3ELS4_3ELNS0_20block_scan_algorithmE0ELj4294967295EEENS1_25partition_config_selectorILNS1_17partition_subalgoE4EjNS0_10empty_typeEbEEZZNS1_14partition_implILS8_4ELb0ES6_15HIP_vector_typeIjLj2EENS0_17counting_iteratorIjlEEPS9_SG_NS0_5tupleIJPjSI_NS0_16reverse_iteratorISI_EEEEENSH_IJSG_SG_SG_EEES9_SI_JZNS1_25segmented_radix_sort_implINS0_14default_configELb1EPK12hip_bfloat16PSP_PKlPlN2at6native12_GLOBAL__N_18offset_tEEE10hipError_tPvRmT1_PNSt15iterator_traitsIS13_E10value_typeET2_T3_PNS14_IS19_E10value_typeET4_jRbjT5_S1F_jjP12ihipStream_tbEUljE_ZNSN_ISO_Lb1ESR_SS_SU_SV_SZ_EES10_S11_S12_S13_S17_S18_S19_S1C_S1D_jS1E_jS1F_S1F_jjS1H_bEUljE0_EEES10_S11_S12_S19_S1D_S1F_T6_T7_T9_mT8_S1H_bDpT10_ENKUlT_T0_E_clISt17integral_constantIbLb1EES1U_IbLb0EEEEDaS1Q_S1R_EUlS1Q_E_NS1_11comp_targetILNS1_3genE2ELNS1_11target_archE906ELNS1_3gpuE6ELNS1_3repE0EEENS1_30default_config_static_selectorELNS0_4arch9wavefront6targetE0EEEvS13_,"axG",@progbits,_ZN7rocprim17ROCPRIM_400000_NS6detail17trampoline_kernelINS0_13select_configILj256ELj13ELNS0_17block_load_methodE3ELS4_3ELS4_3ELNS0_20block_scan_algorithmE0ELj4294967295EEENS1_25partition_config_selectorILNS1_17partition_subalgoE4EjNS0_10empty_typeEbEEZZNS1_14partition_implILS8_4ELb0ES6_15HIP_vector_typeIjLj2EENS0_17counting_iteratorIjlEEPS9_SG_NS0_5tupleIJPjSI_NS0_16reverse_iteratorISI_EEEEENSH_IJSG_SG_SG_EEES9_SI_JZNS1_25segmented_radix_sort_implINS0_14default_configELb1EPK12hip_bfloat16PSP_PKlPlN2at6native12_GLOBAL__N_18offset_tEEE10hipError_tPvRmT1_PNSt15iterator_traitsIS13_E10value_typeET2_T3_PNS14_IS19_E10value_typeET4_jRbjT5_S1F_jjP12ihipStream_tbEUljE_ZNSN_ISO_Lb1ESR_SS_SU_SV_SZ_EES10_S11_S12_S13_S17_S18_S19_S1C_S1D_jS1E_jS1F_S1F_jjS1H_bEUljE0_EEES10_S11_S12_S19_S1D_S1F_T6_T7_T9_mT8_S1H_bDpT10_ENKUlT_T0_E_clISt17integral_constantIbLb1EES1U_IbLb0EEEEDaS1Q_S1R_EUlS1Q_E_NS1_11comp_targetILNS1_3genE2ELNS1_11target_archE906ELNS1_3gpuE6ELNS1_3repE0EEENS1_30default_config_static_selectorELNS0_4arch9wavefront6targetE0EEEvS13_,comdat
	.globl	_ZN7rocprim17ROCPRIM_400000_NS6detail17trampoline_kernelINS0_13select_configILj256ELj13ELNS0_17block_load_methodE3ELS4_3ELS4_3ELNS0_20block_scan_algorithmE0ELj4294967295EEENS1_25partition_config_selectorILNS1_17partition_subalgoE4EjNS0_10empty_typeEbEEZZNS1_14partition_implILS8_4ELb0ES6_15HIP_vector_typeIjLj2EENS0_17counting_iteratorIjlEEPS9_SG_NS0_5tupleIJPjSI_NS0_16reverse_iteratorISI_EEEEENSH_IJSG_SG_SG_EEES9_SI_JZNS1_25segmented_radix_sort_implINS0_14default_configELb1EPK12hip_bfloat16PSP_PKlPlN2at6native12_GLOBAL__N_18offset_tEEE10hipError_tPvRmT1_PNSt15iterator_traitsIS13_E10value_typeET2_T3_PNS14_IS19_E10value_typeET4_jRbjT5_S1F_jjP12ihipStream_tbEUljE_ZNSN_ISO_Lb1ESR_SS_SU_SV_SZ_EES10_S11_S12_S13_S17_S18_S19_S1C_S1D_jS1E_jS1F_S1F_jjS1H_bEUljE0_EEES10_S11_S12_S19_S1D_S1F_T6_T7_T9_mT8_S1H_bDpT10_ENKUlT_T0_E_clISt17integral_constantIbLb1EES1U_IbLb0EEEEDaS1Q_S1R_EUlS1Q_E_NS1_11comp_targetILNS1_3genE2ELNS1_11target_archE906ELNS1_3gpuE6ELNS1_3repE0EEENS1_30default_config_static_selectorELNS0_4arch9wavefront6targetE0EEEvS13_ ; -- Begin function _ZN7rocprim17ROCPRIM_400000_NS6detail17trampoline_kernelINS0_13select_configILj256ELj13ELNS0_17block_load_methodE3ELS4_3ELS4_3ELNS0_20block_scan_algorithmE0ELj4294967295EEENS1_25partition_config_selectorILNS1_17partition_subalgoE4EjNS0_10empty_typeEbEEZZNS1_14partition_implILS8_4ELb0ES6_15HIP_vector_typeIjLj2EENS0_17counting_iteratorIjlEEPS9_SG_NS0_5tupleIJPjSI_NS0_16reverse_iteratorISI_EEEEENSH_IJSG_SG_SG_EEES9_SI_JZNS1_25segmented_radix_sort_implINS0_14default_configELb1EPK12hip_bfloat16PSP_PKlPlN2at6native12_GLOBAL__N_18offset_tEEE10hipError_tPvRmT1_PNSt15iterator_traitsIS13_E10value_typeET2_T3_PNS14_IS19_E10value_typeET4_jRbjT5_S1F_jjP12ihipStream_tbEUljE_ZNSN_ISO_Lb1ESR_SS_SU_SV_SZ_EES10_S11_S12_S13_S17_S18_S19_S1C_S1D_jS1E_jS1F_S1F_jjS1H_bEUljE0_EEES10_S11_S12_S19_S1D_S1F_T6_T7_T9_mT8_S1H_bDpT10_ENKUlT_T0_E_clISt17integral_constantIbLb1EES1U_IbLb0EEEEDaS1Q_S1R_EUlS1Q_E_NS1_11comp_targetILNS1_3genE2ELNS1_11target_archE906ELNS1_3gpuE6ELNS1_3repE0EEENS1_30default_config_static_selectorELNS0_4arch9wavefront6targetE0EEEvS13_
	.p2align	8
	.type	_ZN7rocprim17ROCPRIM_400000_NS6detail17trampoline_kernelINS0_13select_configILj256ELj13ELNS0_17block_load_methodE3ELS4_3ELS4_3ELNS0_20block_scan_algorithmE0ELj4294967295EEENS1_25partition_config_selectorILNS1_17partition_subalgoE4EjNS0_10empty_typeEbEEZZNS1_14partition_implILS8_4ELb0ES6_15HIP_vector_typeIjLj2EENS0_17counting_iteratorIjlEEPS9_SG_NS0_5tupleIJPjSI_NS0_16reverse_iteratorISI_EEEEENSH_IJSG_SG_SG_EEES9_SI_JZNS1_25segmented_radix_sort_implINS0_14default_configELb1EPK12hip_bfloat16PSP_PKlPlN2at6native12_GLOBAL__N_18offset_tEEE10hipError_tPvRmT1_PNSt15iterator_traitsIS13_E10value_typeET2_T3_PNS14_IS19_E10value_typeET4_jRbjT5_S1F_jjP12ihipStream_tbEUljE_ZNSN_ISO_Lb1ESR_SS_SU_SV_SZ_EES10_S11_S12_S13_S17_S18_S19_S1C_S1D_jS1E_jS1F_S1F_jjS1H_bEUljE0_EEES10_S11_S12_S19_S1D_S1F_T6_T7_T9_mT8_S1H_bDpT10_ENKUlT_T0_E_clISt17integral_constantIbLb1EES1U_IbLb0EEEEDaS1Q_S1R_EUlS1Q_E_NS1_11comp_targetILNS1_3genE2ELNS1_11target_archE906ELNS1_3gpuE6ELNS1_3repE0EEENS1_30default_config_static_selectorELNS0_4arch9wavefront6targetE0EEEvS13_,@function
_ZN7rocprim17ROCPRIM_400000_NS6detail17trampoline_kernelINS0_13select_configILj256ELj13ELNS0_17block_load_methodE3ELS4_3ELS4_3ELNS0_20block_scan_algorithmE0ELj4294967295EEENS1_25partition_config_selectorILNS1_17partition_subalgoE4EjNS0_10empty_typeEbEEZZNS1_14partition_implILS8_4ELb0ES6_15HIP_vector_typeIjLj2EENS0_17counting_iteratorIjlEEPS9_SG_NS0_5tupleIJPjSI_NS0_16reverse_iteratorISI_EEEEENSH_IJSG_SG_SG_EEES9_SI_JZNS1_25segmented_radix_sort_implINS0_14default_configELb1EPK12hip_bfloat16PSP_PKlPlN2at6native12_GLOBAL__N_18offset_tEEE10hipError_tPvRmT1_PNSt15iterator_traitsIS13_E10value_typeET2_T3_PNS14_IS19_E10value_typeET4_jRbjT5_S1F_jjP12ihipStream_tbEUljE_ZNSN_ISO_Lb1ESR_SS_SU_SV_SZ_EES10_S11_S12_S13_S17_S18_S19_S1C_S1D_jS1E_jS1F_S1F_jjS1H_bEUljE0_EEES10_S11_S12_S19_S1D_S1F_T6_T7_T9_mT8_S1H_bDpT10_ENKUlT_T0_E_clISt17integral_constantIbLb1EES1U_IbLb0EEEEDaS1Q_S1R_EUlS1Q_E_NS1_11comp_targetILNS1_3genE2ELNS1_11target_archE906ELNS1_3gpuE6ELNS1_3repE0EEENS1_30default_config_static_selectorELNS0_4arch9wavefront6targetE0EEEvS13_: ; @_ZN7rocprim17ROCPRIM_400000_NS6detail17trampoline_kernelINS0_13select_configILj256ELj13ELNS0_17block_load_methodE3ELS4_3ELS4_3ELNS0_20block_scan_algorithmE0ELj4294967295EEENS1_25partition_config_selectorILNS1_17partition_subalgoE4EjNS0_10empty_typeEbEEZZNS1_14partition_implILS8_4ELb0ES6_15HIP_vector_typeIjLj2EENS0_17counting_iteratorIjlEEPS9_SG_NS0_5tupleIJPjSI_NS0_16reverse_iteratorISI_EEEEENSH_IJSG_SG_SG_EEES9_SI_JZNS1_25segmented_radix_sort_implINS0_14default_configELb1EPK12hip_bfloat16PSP_PKlPlN2at6native12_GLOBAL__N_18offset_tEEE10hipError_tPvRmT1_PNSt15iterator_traitsIS13_E10value_typeET2_T3_PNS14_IS19_E10value_typeET4_jRbjT5_S1F_jjP12ihipStream_tbEUljE_ZNSN_ISO_Lb1ESR_SS_SU_SV_SZ_EES10_S11_S12_S13_S17_S18_S19_S1C_S1D_jS1E_jS1F_S1F_jjS1H_bEUljE0_EEES10_S11_S12_S19_S1D_S1F_T6_T7_T9_mT8_S1H_bDpT10_ENKUlT_T0_E_clISt17integral_constantIbLb1EES1U_IbLb0EEEEDaS1Q_S1R_EUlS1Q_E_NS1_11comp_targetILNS1_3genE2ELNS1_11target_archE906ELNS1_3gpuE6ELNS1_3repE0EEENS1_30default_config_static_selectorELNS0_4arch9wavefront6targetE0EEEvS13_
; %bb.0:
	.section	.rodata,"a",@progbits
	.p2align	6, 0x0
	.amdhsa_kernel _ZN7rocprim17ROCPRIM_400000_NS6detail17trampoline_kernelINS0_13select_configILj256ELj13ELNS0_17block_load_methodE3ELS4_3ELS4_3ELNS0_20block_scan_algorithmE0ELj4294967295EEENS1_25partition_config_selectorILNS1_17partition_subalgoE4EjNS0_10empty_typeEbEEZZNS1_14partition_implILS8_4ELb0ES6_15HIP_vector_typeIjLj2EENS0_17counting_iteratorIjlEEPS9_SG_NS0_5tupleIJPjSI_NS0_16reverse_iteratorISI_EEEEENSH_IJSG_SG_SG_EEES9_SI_JZNS1_25segmented_radix_sort_implINS0_14default_configELb1EPK12hip_bfloat16PSP_PKlPlN2at6native12_GLOBAL__N_18offset_tEEE10hipError_tPvRmT1_PNSt15iterator_traitsIS13_E10value_typeET2_T3_PNS14_IS19_E10value_typeET4_jRbjT5_S1F_jjP12ihipStream_tbEUljE_ZNSN_ISO_Lb1ESR_SS_SU_SV_SZ_EES10_S11_S12_S13_S17_S18_S19_S1C_S1D_jS1E_jS1F_S1F_jjS1H_bEUljE0_EEES10_S11_S12_S19_S1D_S1F_T6_T7_T9_mT8_S1H_bDpT10_ENKUlT_T0_E_clISt17integral_constantIbLb1EES1U_IbLb0EEEEDaS1Q_S1R_EUlS1Q_E_NS1_11comp_targetILNS1_3genE2ELNS1_11target_archE906ELNS1_3gpuE6ELNS1_3repE0EEENS1_30default_config_static_selectorELNS0_4arch9wavefront6targetE0EEEvS13_
		.amdhsa_group_segment_fixed_size 0
		.amdhsa_private_segment_fixed_size 0
		.amdhsa_kernarg_size 176
		.amdhsa_user_sgpr_count 2
		.amdhsa_user_sgpr_dispatch_ptr 0
		.amdhsa_user_sgpr_queue_ptr 0
		.amdhsa_user_sgpr_kernarg_segment_ptr 1
		.amdhsa_user_sgpr_dispatch_id 0
		.amdhsa_user_sgpr_kernarg_preload_length 0
		.amdhsa_user_sgpr_kernarg_preload_offset 0
		.amdhsa_user_sgpr_private_segment_size 0
		.amdhsa_wavefront_size32 1
		.amdhsa_uses_dynamic_stack 0
		.amdhsa_enable_private_segment 0
		.amdhsa_system_sgpr_workgroup_id_x 1
		.amdhsa_system_sgpr_workgroup_id_y 0
		.amdhsa_system_sgpr_workgroup_id_z 0
		.amdhsa_system_sgpr_workgroup_info 0
		.amdhsa_system_vgpr_workitem_id 0
		.amdhsa_next_free_vgpr 1
		.amdhsa_next_free_sgpr 1
		.amdhsa_named_barrier_count 0
		.amdhsa_reserve_vcc 0
		.amdhsa_float_round_mode_32 0
		.amdhsa_float_round_mode_16_64 0
		.amdhsa_float_denorm_mode_32 3
		.amdhsa_float_denorm_mode_16_64 3
		.amdhsa_fp16_overflow 0
		.amdhsa_memory_ordered 1
		.amdhsa_forward_progress 1
		.amdhsa_inst_pref_size 0
		.amdhsa_round_robin_scheduling 0
		.amdhsa_exception_fp_ieee_invalid_op 0
		.amdhsa_exception_fp_denorm_src 0
		.amdhsa_exception_fp_ieee_div_zero 0
		.amdhsa_exception_fp_ieee_overflow 0
		.amdhsa_exception_fp_ieee_underflow 0
		.amdhsa_exception_fp_ieee_inexact 0
		.amdhsa_exception_int_div_zero 0
	.end_amdhsa_kernel
	.section	.text._ZN7rocprim17ROCPRIM_400000_NS6detail17trampoline_kernelINS0_13select_configILj256ELj13ELNS0_17block_load_methodE3ELS4_3ELS4_3ELNS0_20block_scan_algorithmE0ELj4294967295EEENS1_25partition_config_selectorILNS1_17partition_subalgoE4EjNS0_10empty_typeEbEEZZNS1_14partition_implILS8_4ELb0ES6_15HIP_vector_typeIjLj2EENS0_17counting_iteratorIjlEEPS9_SG_NS0_5tupleIJPjSI_NS0_16reverse_iteratorISI_EEEEENSH_IJSG_SG_SG_EEES9_SI_JZNS1_25segmented_radix_sort_implINS0_14default_configELb1EPK12hip_bfloat16PSP_PKlPlN2at6native12_GLOBAL__N_18offset_tEEE10hipError_tPvRmT1_PNSt15iterator_traitsIS13_E10value_typeET2_T3_PNS14_IS19_E10value_typeET4_jRbjT5_S1F_jjP12ihipStream_tbEUljE_ZNSN_ISO_Lb1ESR_SS_SU_SV_SZ_EES10_S11_S12_S13_S17_S18_S19_S1C_S1D_jS1E_jS1F_S1F_jjS1H_bEUljE0_EEES10_S11_S12_S19_S1D_S1F_T6_T7_T9_mT8_S1H_bDpT10_ENKUlT_T0_E_clISt17integral_constantIbLb1EES1U_IbLb0EEEEDaS1Q_S1R_EUlS1Q_E_NS1_11comp_targetILNS1_3genE2ELNS1_11target_archE906ELNS1_3gpuE6ELNS1_3repE0EEENS1_30default_config_static_selectorELNS0_4arch9wavefront6targetE0EEEvS13_,"axG",@progbits,_ZN7rocprim17ROCPRIM_400000_NS6detail17trampoline_kernelINS0_13select_configILj256ELj13ELNS0_17block_load_methodE3ELS4_3ELS4_3ELNS0_20block_scan_algorithmE0ELj4294967295EEENS1_25partition_config_selectorILNS1_17partition_subalgoE4EjNS0_10empty_typeEbEEZZNS1_14partition_implILS8_4ELb0ES6_15HIP_vector_typeIjLj2EENS0_17counting_iteratorIjlEEPS9_SG_NS0_5tupleIJPjSI_NS0_16reverse_iteratorISI_EEEEENSH_IJSG_SG_SG_EEES9_SI_JZNS1_25segmented_radix_sort_implINS0_14default_configELb1EPK12hip_bfloat16PSP_PKlPlN2at6native12_GLOBAL__N_18offset_tEEE10hipError_tPvRmT1_PNSt15iterator_traitsIS13_E10value_typeET2_T3_PNS14_IS19_E10value_typeET4_jRbjT5_S1F_jjP12ihipStream_tbEUljE_ZNSN_ISO_Lb1ESR_SS_SU_SV_SZ_EES10_S11_S12_S13_S17_S18_S19_S1C_S1D_jS1E_jS1F_S1F_jjS1H_bEUljE0_EEES10_S11_S12_S19_S1D_S1F_T6_T7_T9_mT8_S1H_bDpT10_ENKUlT_T0_E_clISt17integral_constantIbLb1EES1U_IbLb0EEEEDaS1Q_S1R_EUlS1Q_E_NS1_11comp_targetILNS1_3genE2ELNS1_11target_archE906ELNS1_3gpuE6ELNS1_3repE0EEENS1_30default_config_static_selectorELNS0_4arch9wavefront6targetE0EEEvS13_,comdat
.Lfunc_end1892:
	.size	_ZN7rocprim17ROCPRIM_400000_NS6detail17trampoline_kernelINS0_13select_configILj256ELj13ELNS0_17block_load_methodE3ELS4_3ELS4_3ELNS0_20block_scan_algorithmE0ELj4294967295EEENS1_25partition_config_selectorILNS1_17partition_subalgoE4EjNS0_10empty_typeEbEEZZNS1_14partition_implILS8_4ELb0ES6_15HIP_vector_typeIjLj2EENS0_17counting_iteratorIjlEEPS9_SG_NS0_5tupleIJPjSI_NS0_16reverse_iteratorISI_EEEEENSH_IJSG_SG_SG_EEES9_SI_JZNS1_25segmented_radix_sort_implINS0_14default_configELb1EPK12hip_bfloat16PSP_PKlPlN2at6native12_GLOBAL__N_18offset_tEEE10hipError_tPvRmT1_PNSt15iterator_traitsIS13_E10value_typeET2_T3_PNS14_IS19_E10value_typeET4_jRbjT5_S1F_jjP12ihipStream_tbEUljE_ZNSN_ISO_Lb1ESR_SS_SU_SV_SZ_EES10_S11_S12_S13_S17_S18_S19_S1C_S1D_jS1E_jS1F_S1F_jjS1H_bEUljE0_EEES10_S11_S12_S19_S1D_S1F_T6_T7_T9_mT8_S1H_bDpT10_ENKUlT_T0_E_clISt17integral_constantIbLb1EES1U_IbLb0EEEEDaS1Q_S1R_EUlS1Q_E_NS1_11comp_targetILNS1_3genE2ELNS1_11target_archE906ELNS1_3gpuE6ELNS1_3repE0EEENS1_30default_config_static_selectorELNS0_4arch9wavefront6targetE0EEEvS13_, .Lfunc_end1892-_ZN7rocprim17ROCPRIM_400000_NS6detail17trampoline_kernelINS0_13select_configILj256ELj13ELNS0_17block_load_methodE3ELS4_3ELS4_3ELNS0_20block_scan_algorithmE0ELj4294967295EEENS1_25partition_config_selectorILNS1_17partition_subalgoE4EjNS0_10empty_typeEbEEZZNS1_14partition_implILS8_4ELb0ES6_15HIP_vector_typeIjLj2EENS0_17counting_iteratorIjlEEPS9_SG_NS0_5tupleIJPjSI_NS0_16reverse_iteratorISI_EEEEENSH_IJSG_SG_SG_EEES9_SI_JZNS1_25segmented_radix_sort_implINS0_14default_configELb1EPK12hip_bfloat16PSP_PKlPlN2at6native12_GLOBAL__N_18offset_tEEE10hipError_tPvRmT1_PNSt15iterator_traitsIS13_E10value_typeET2_T3_PNS14_IS19_E10value_typeET4_jRbjT5_S1F_jjP12ihipStream_tbEUljE_ZNSN_ISO_Lb1ESR_SS_SU_SV_SZ_EES10_S11_S12_S13_S17_S18_S19_S1C_S1D_jS1E_jS1F_S1F_jjS1H_bEUljE0_EEES10_S11_S12_S19_S1D_S1F_T6_T7_T9_mT8_S1H_bDpT10_ENKUlT_T0_E_clISt17integral_constantIbLb1EES1U_IbLb0EEEEDaS1Q_S1R_EUlS1Q_E_NS1_11comp_targetILNS1_3genE2ELNS1_11target_archE906ELNS1_3gpuE6ELNS1_3repE0EEENS1_30default_config_static_selectorELNS0_4arch9wavefront6targetE0EEEvS13_
                                        ; -- End function
	.set _ZN7rocprim17ROCPRIM_400000_NS6detail17trampoline_kernelINS0_13select_configILj256ELj13ELNS0_17block_load_methodE3ELS4_3ELS4_3ELNS0_20block_scan_algorithmE0ELj4294967295EEENS1_25partition_config_selectorILNS1_17partition_subalgoE4EjNS0_10empty_typeEbEEZZNS1_14partition_implILS8_4ELb0ES6_15HIP_vector_typeIjLj2EENS0_17counting_iteratorIjlEEPS9_SG_NS0_5tupleIJPjSI_NS0_16reverse_iteratorISI_EEEEENSH_IJSG_SG_SG_EEES9_SI_JZNS1_25segmented_radix_sort_implINS0_14default_configELb1EPK12hip_bfloat16PSP_PKlPlN2at6native12_GLOBAL__N_18offset_tEEE10hipError_tPvRmT1_PNSt15iterator_traitsIS13_E10value_typeET2_T3_PNS14_IS19_E10value_typeET4_jRbjT5_S1F_jjP12ihipStream_tbEUljE_ZNSN_ISO_Lb1ESR_SS_SU_SV_SZ_EES10_S11_S12_S13_S17_S18_S19_S1C_S1D_jS1E_jS1F_S1F_jjS1H_bEUljE0_EEES10_S11_S12_S19_S1D_S1F_T6_T7_T9_mT8_S1H_bDpT10_ENKUlT_T0_E_clISt17integral_constantIbLb1EES1U_IbLb0EEEEDaS1Q_S1R_EUlS1Q_E_NS1_11comp_targetILNS1_3genE2ELNS1_11target_archE906ELNS1_3gpuE6ELNS1_3repE0EEENS1_30default_config_static_selectorELNS0_4arch9wavefront6targetE0EEEvS13_.num_vgpr, 0
	.set _ZN7rocprim17ROCPRIM_400000_NS6detail17trampoline_kernelINS0_13select_configILj256ELj13ELNS0_17block_load_methodE3ELS4_3ELS4_3ELNS0_20block_scan_algorithmE0ELj4294967295EEENS1_25partition_config_selectorILNS1_17partition_subalgoE4EjNS0_10empty_typeEbEEZZNS1_14partition_implILS8_4ELb0ES6_15HIP_vector_typeIjLj2EENS0_17counting_iteratorIjlEEPS9_SG_NS0_5tupleIJPjSI_NS0_16reverse_iteratorISI_EEEEENSH_IJSG_SG_SG_EEES9_SI_JZNS1_25segmented_radix_sort_implINS0_14default_configELb1EPK12hip_bfloat16PSP_PKlPlN2at6native12_GLOBAL__N_18offset_tEEE10hipError_tPvRmT1_PNSt15iterator_traitsIS13_E10value_typeET2_T3_PNS14_IS19_E10value_typeET4_jRbjT5_S1F_jjP12ihipStream_tbEUljE_ZNSN_ISO_Lb1ESR_SS_SU_SV_SZ_EES10_S11_S12_S13_S17_S18_S19_S1C_S1D_jS1E_jS1F_S1F_jjS1H_bEUljE0_EEES10_S11_S12_S19_S1D_S1F_T6_T7_T9_mT8_S1H_bDpT10_ENKUlT_T0_E_clISt17integral_constantIbLb1EES1U_IbLb0EEEEDaS1Q_S1R_EUlS1Q_E_NS1_11comp_targetILNS1_3genE2ELNS1_11target_archE906ELNS1_3gpuE6ELNS1_3repE0EEENS1_30default_config_static_selectorELNS0_4arch9wavefront6targetE0EEEvS13_.num_agpr, 0
	.set _ZN7rocprim17ROCPRIM_400000_NS6detail17trampoline_kernelINS0_13select_configILj256ELj13ELNS0_17block_load_methodE3ELS4_3ELS4_3ELNS0_20block_scan_algorithmE0ELj4294967295EEENS1_25partition_config_selectorILNS1_17partition_subalgoE4EjNS0_10empty_typeEbEEZZNS1_14partition_implILS8_4ELb0ES6_15HIP_vector_typeIjLj2EENS0_17counting_iteratorIjlEEPS9_SG_NS0_5tupleIJPjSI_NS0_16reverse_iteratorISI_EEEEENSH_IJSG_SG_SG_EEES9_SI_JZNS1_25segmented_radix_sort_implINS0_14default_configELb1EPK12hip_bfloat16PSP_PKlPlN2at6native12_GLOBAL__N_18offset_tEEE10hipError_tPvRmT1_PNSt15iterator_traitsIS13_E10value_typeET2_T3_PNS14_IS19_E10value_typeET4_jRbjT5_S1F_jjP12ihipStream_tbEUljE_ZNSN_ISO_Lb1ESR_SS_SU_SV_SZ_EES10_S11_S12_S13_S17_S18_S19_S1C_S1D_jS1E_jS1F_S1F_jjS1H_bEUljE0_EEES10_S11_S12_S19_S1D_S1F_T6_T7_T9_mT8_S1H_bDpT10_ENKUlT_T0_E_clISt17integral_constantIbLb1EES1U_IbLb0EEEEDaS1Q_S1R_EUlS1Q_E_NS1_11comp_targetILNS1_3genE2ELNS1_11target_archE906ELNS1_3gpuE6ELNS1_3repE0EEENS1_30default_config_static_selectorELNS0_4arch9wavefront6targetE0EEEvS13_.numbered_sgpr, 0
	.set _ZN7rocprim17ROCPRIM_400000_NS6detail17trampoline_kernelINS0_13select_configILj256ELj13ELNS0_17block_load_methodE3ELS4_3ELS4_3ELNS0_20block_scan_algorithmE0ELj4294967295EEENS1_25partition_config_selectorILNS1_17partition_subalgoE4EjNS0_10empty_typeEbEEZZNS1_14partition_implILS8_4ELb0ES6_15HIP_vector_typeIjLj2EENS0_17counting_iteratorIjlEEPS9_SG_NS0_5tupleIJPjSI_NS0_16reverse_iteratorISI_EEEEENSH_IJSG_SG_SG_EEES9_SI_JZNS1_25segmented_radix_sort_implINS0_14default_configELb1EPK12hip_bfloat16PSP_PKlPlN2at6native12_GLOBAL__N_18offset_tEEE10hipError_tPvRmT1_PNSt15iterator_traitsIS13_E10value_typeET2_T3_PNS14_IS19_E10value_typeET4_jRbjT5_S1F_jjP12ihipStream_tbEUljE_ZNSN_ISO_Lb1ESR_SS_SU_SV_SZ_EES10_S11_S12_S13_S17_S18_S19_S1C_S1D_jS1E_jS1F_S1F_jjS1H_bEUljE0_EEES10_S11_S12_S19_S1D_S1F_T6_T7_T9_mT8_S1H_bDpT10_ENKUlT_T0_E_clISt17integral_constantIbLb1EES1U_IbLb0EEEEDaS1Q_S1R_EUlS1Q_E_NS1_11comp_targetILNS1_3genE2ELNS1_11target_archE906ELNS1_3gpuE6ELNS1_3repE0EEENS1_30default_config_static_selectorELNS0_4arch9wavefront6targetE0EEEvS13_.num_named_barrier, 0
	.set _ZN7rocprim17ROCPRIM_400000_NS6detail17trampoline_kernelINS0_13select_configILj256ELj13ELNS0_17block_load_methodE3ELS4_3ELS4_3ELNS0_20block_scan_algorithmE0ELj4294967295EEENS1_25partition_config_selectorILNS1_17partition_subalgoE4EjNS0_10empty_typeEbEEZZNS1_14partition_implILS8_4ELb0ES6_15HIP_vector_typeIjLj2EENS0_17counting_iteratorIjlEEPS9_SG_NS0_5tupleIJPjSI_NS0_16reverse_iteratorISI_EEEEENSH_IJSG_SG_SG_EEES9_SI_JZNS1_25segmented_radix_sort_implINS0_14default_configELb1EPK12hip_bfloat16PSP_PKlPlN2at6native12_GLOBAL__N_18offset_tEEE10hipError_tPvRmT1_PNSt15iterator_traitsIS13_E10value_typeET2_T3_PNS14_IS19_E10value_typeET4_jRbjT5_S1F_jjP12ihipStream_tbEUljE_ZNSN_ISO_Lb1ESR_SS_SU_SV_SZ_EES10_S11_S12_S13_S17_S18_S19_S1C_S1D_jS1E_jS1F_S1F_jjS1H_bEUljE0_EEES10_S11_S12_S19_S1D_S1F_T6_T7_T9_mT8_S1H_bDpT10_ENKUlT_T0_E_clISt17integral_constantIbLb1EES1U_IbLb0EEEEDaS1Q_S1R_EUlS1Q_E_NS1_11comp_targetILNS1_3genE2ELNS1_11target_archE906ELNS1_3gpuE6ELNS1_3repE0EEENS1_30default_config_static_selectorELNS0_4arch9wavefront6targetE0EEEvS13_.private_seg_size, 0
	.set _ZN7rocprim17ROCPRIM_400000_NS6detail17trampoline_kernelINS0_13select_configILj256ELj13ELNS0_17block_load_methodE3ELS4_3ELS4_3ELNS0_20block_scan_algorithmE0ELj4294967295EEENS1_25partition_config_selectorILNS1_17partition_subalgoE4EjNS0_10empty_typeEbEEZZNS1_14partition_implILS8_4ELb0ES6_15HIP_vector_typeIjLj2EENS0_17counting_iteratorIjlEEPS9_SG_NS0_5tupleIJPjSI_NS0_16reverse_iteratorISI_EEEEENSH_IJSG_SG_SG_EEES9_SI_JZNS1_25segmented_radix_sort_implINS0_14default_configELb1EPK12hip_bfloat16PSP_PKlPlN2at6native12_GLOBAL__N_18offset_tEEE10hipError_tPvRmT1_PNSt15iterator_traitsIS13_E10value_typeET2_T3_PNS14_IS19_E10value_typeET4_jRbjT5_S1F_jjP12ihipStream_tbEUljE_ZNSN_ISO_Lb1ESR_SS_SU_SV_SZ_EES10_S11_S12_S13_S17_S18_S19_S1C_S1D_jS1E_jS1F_S1F_jjS1H_bEUljE0_EEES10_S11_S12_S19_S1D_S1F_T6_T7_T9_mT8_S1H_bDpT10_ENKUlT_T0_E_clISt17integral_constantIbLb1EES1U_IbLb0EEEEDaS1Q_S1R_EUlS1Q_E_NS1_11comp_targetILNS1_3genE2ELNS1_11target_archE906ELNS1_3gpuE6ELNS1_3repE0EEENS1_30default_config_static_selectorELNS0_4arch9wavefront6targetE0EEEvS13_.uses_vcc, 0
	.set _ZN7rocprim17ROCPRIM_400000_NS6detail17trampoline_kernelINS0_13select_configILj256ELj13ELNS0_17block_load_methodE3ELS4_3ELS4_3ELNS0_20block_scan_algorithmE0ELj4294967295EEENS1_25partition_config_selectorILNS1_17partition_subalgoE4EjNS0_10empty_typeEbEEZZNS1_14partition_implILS8_4ELb0ES6_15HIP_vector_typeIjLj2EENS0_17counting_iteratorIjlEEPS9_SG_NS0_5tupleIJPjSI_NS0_16reverse_iteratorISI_EEEEENSH_IJSG_SG_SG_EEES9_SI_JZNS1_25segmented_radix_sort_implINS0_14default_configELb1EPK12hip_bfloat16PSP_PKlPlN2at6native12_GLOBAL__N_18offset_tEEE10hipError_tPvRmT1_PNSt15iterator_traitsIS13_E10value_typeET2_T3_PNS14_IS19_E10value_typeET4_jRbjT5_S1F_jjP12ihipStream_tbEUljE_ZNSN_ISO_Lb1ESR_SS_SU_SV_SZ_EES10_S11_S12_S13_S17_S18_S19_S1C_S1D_jS1E_jS1F_S1F_jjS1H_bEUljE0_EEES10_S11_S12_S19_S1D_S1F_T6_T7_T9_mT8_S1H_bDpT10_ENKUlT_T0_E_clISt17integral_constantIbLb1EES1U_IbLb0EEEEDaS1Q_S1R_EUlS1Q_E_NS1_11comp_targetILNS1_3genE2ELNS1_11target_archE906ELNS1_3gpuE6ELNS1_3repE0EEENS1_30default_config_static_selectorELNS0_4arch9wavefront6targetE0EEEvS13_.uses_flat_scratch, 0
	.set _ZN7rocprim17ROCPRIM_400000_NS6detail17trampoline_kernelINS0_13select_configILj256ELj13ELNS0_17block_load_methodE3ELS4_3ELS4_3ELNS0_20block_scan_algorithmE0ELj4294967295EEENS1_25partition_config_selectorILNS1_17partition_subalgoE4EjNS0_10empty_typeEbEEZZNS1_14partition_implILS8_4ELb0ES6_15HIP_vector_typeIjLj2EENS0_17counting_iteratorIjlEEPS9_SG_NS0_5tupleIJPjSI_NS0_16reverse_iteratorISI_EEEEENSH_IJSG_SG_SG_EEES9_SI_JZNS1_25segmented_radix_sort_implINS0_14default_configELb1EPK12hip_bfloat16PSP_PKlPlN2at6native12_GLOBAL__N_18offset_tEEE10hipError_tPvRmT1_PNSt15iterator_traitsIS13_E10value_typeET2_T3_PNS14_IS19_E10value_typeET4_jRbjT5_S1F_jjP12ihipStream_tbEUljE_ZNSN_ISO_Lb1ESR_SS_SU_SV_SZ_EES10_S11_S12_S13_S17_S18_S19_S1C_S1D_jS1E_jS1F_S1F_jjS1H_bEUljE0_EEES10_S11_S12_S19_S1D_S1F_T6_T7_T9_mT8_S1H_bDpT10_ENKUlT_T0_E_clISt17integral_constantIbLb1EES1U_IbLb0EEEEDaS1Q_S1R_EUlS1Q_E_NS1_11comp_targetILNS1_3genE2ELNS1_11target_archE906ELNS1_3gpuE6ELNS1_3repE0EEENS1_30default_config_static_selectorELNS0_4arch9wavefront6targetE0EEEvS13_.has_dyn_sized_stack, 0
	.set _ZN7rocprim17ROCPRIM_400000_NS6detail17trampoline_kernelINS0_13select_configILj256ELj13ELNS0_17block_load_methodE3ELS4_3ELS4_3ELNS0_20block_scan_algorithmE0ELj4294967295EEENS1_25partition_config_selectorILNS1_17partition_subalgoE4EjNS0_10empty_typeEbEEZZNS1_14partition_implILS8_4ELb0ES6_15HIP_vector_typeIjLj2EENS0_17counting_iteratorIjlEEPS9_SG_NS0_5tupleIJPjSI_NS0_16reverse_iteratorISI_EEEEENSH_IJSG_SG_SG_EEES9_SI_JZNS1_25segmented_radix_sort_implINS0_14default_configELb1EPK12hip_bfloat16PSP_PKlPlN2at6native12_GLOBAL__N_18offset_tEEE10hipError_tPvRmT1_PNSt15iterator_traitsIS13_E10value_typeET2_T3_PNS14_IS19_E10value_typeET4_jRbjT5_S1F_jjP12ihipStream_tbEUljE_ZNSN_ISO_Lb1ESR_SS_SU_SV_SZ_EES10_S11_S12_S13_S17_S18_S19_S1C_S1D_jS1E_jS1F_S1F_jjS1H_bEUljE0_EEES10_S11_S12_S19_S1D_S1F_T6_T7_T9_mT8_S1H_bDpT10_ENKUlT_T0_E_clISt17integral_constantIbLb1EES1U_IbLb0EEEEDaS1Q_S1R_EUlS1Q_E_NS1_11comp_targetILNS1_3genE2ELNS1_11target_archE906ELNS1_3gpuE6ELNS1_3repE0EEENS1_30default_config_static_selectorELNS0_4arch9wavefront6targetE0EEEvS13_.has_recursion, 0
	.set _ZN7rocprim17ROCPRIM_400000_NS6detail17trampoline_kernelINS0_13select_configILj256ELj13ELNS0_17block_load_methodE3ELS4_3ELS4_3ELNS0_20block_scan_algorithmE0ELj4294967295EEENS1_25partition_config_selectorILNS1_17partition_subalgoE4EjNS0_10empty_typeEbEEZZNS1_14partition_implILS8_4ELb0ES6_15HIP_vector_typeIjLj2EENS0_17counting_iteratorIjlEEPS9_SG_NS0_5tupleIJPjSI_NS0_16reverse_iteratorISI_EEEEENSH_IJSG_SG_SG_EEES9_SI_JZNS1_25segmented_radix_sort_implINS0_14default_configELb1EPK12hip_bfloat16PSP_PKlPlN2at6native12_GLOBAL__N_18offset_tEEE10hipError_tPvRmT1_PNSt15iterator_traitsIS13_E10value_typeET2_T3_PNS14_IS19_E10value_typeET4_jRbjT5_S1F_jjP12ihipStream_tbEUljE_ZNSN_ISO_Lb1ESR_SS_SU_SV_SZ_EES10_S11_S12_S13_S17_S18_S19_S1C_S1D_jS1E_jS1F_S1F_jjS1H_bEUljE0_EEES10_S11_S12_S19_S1D_S1F_T6_T7_T9_mT8_S1H_bDpT10_ENKUlT_T0_E_clISt17integral_constantIbLb1EES1U_IbLb0EEEEDaS1Q_S1R_EUlS1Q_E_NS1_11comp_targetILNS1_3genE2ELNS1_11target_archE906ELNS1_3gpuE6ELNS1_3repE0EEENS1_30default_config_static_selectorELNS0_4arch9wavefront6targetE0EEEvS13_.has_indirect_call, 0
	.section	.AMDGPU.csdata,"",@progbits
; Kernel info:
; codeLenInByte = 0
; TotalNumSgprs: 0
; NumVgprs: 0
; ScratchSize: 0
; MemoryBound: 0
; FloatMode: 240
; IeeeMode: 1
; LDSByteSize: 0 bytes/workgroup (compile time only)
; SGPRBlocks: 0
; VGPRBlocks: 0
; NumSGPRsForWavesPerEU: 1
; NumVGPRsForWavesPerEU: 1
; NamedBarCnt: 0
; Occupancy: 16
; WaveLimiterHint : 0
; COMPUTE_PGM_RSRC2:SCRATCH_EN: 0
; COMPUTE_PGM_RSRC2:USER_SGPR: 2
; COMPUTE_PGM_RSRC2:TRAP_HANDLER: 0
; COMPUTE_PGM_RSRC2:TGID_X_EN: 1
; COMPUTE_PGM_RSRC2:TGID_Y_EN: 0
; COMPUTE_PGM_RSRC2:TGID_Z_EN: 0
; COMPUTE_PGM_RSRC2:TIDIG_COMP_CNT: 0
	.section	.text._ZN7rocprim17ROCPRIM_400000_NS6detail17trampoline_kernelINS0_13select_configILj256ELj13ELNS0_17block_load_methodE3ELS4_3ELS4_3ELNS0_20block_scan_algorithmE0ELj4294967295EEENS1_25partition_config_selectorILNS1_17partition_subalgoE4EjNS0_10empty_typeEbEEZZNS1_14partition_implILS8_4ELb0ES6_15HIP_vector_typeIjLj2EENS0_17counting_iteratorIjlEEPS9_SG_NS0_5tupleIJPjSI_NS0_16reverse_iteratorISI_EEEEENSH_IJSG_SG_SG_EEES9_SI_JZNS1_25segmented_radix_sort_implINS0_14default_configELb1EPK12hip_bfloat16PSP_PKlPlN2at6native12_GLOBAL__N_18offset_tEEE10hipError_tPvRmT1_PNSt15iterator_traitsIS13_E10value_typeET2_T3_PNS14_IS19_E10value_typeET4_jRbjT5_S1F_jjP12ihipStream_tbEUljE_ZNSN_ISO_Lb1ESR_SS_SU_SV_SZ_EES10_S11_S12_S13_S17_S18_S19_S1C_S1D_jS1E_jS1F_S1F_jjS1H_bEUljE0_EEES10_S11_S12_S19_S1D_S1F_T6_T7_T9_mT8_S1H_bDpT10_ENKUlT_T0_E_clISt17integral_constantIbLb1EES1U_IbLb0EEEEDaS1Q_S1R_EUlS1Q_E_NS1_11comp_targetILNS1_3genE10ELNS1_11target_archE1200ELNS1_3gpuE4ELNS1_3repE0EEENS1_30default_config_static_selectorELNS0_4arch9wavefront6targetE0EEEvS13_,"axG",@progbits,_ZN7rocprim17ROCPRIM_400000_NS6detail17trampoline_kernelINS0_13select_configILj256ELj13ELNS0_17block_load_methodE3ELS4_3ELS4_3ELNS0_20block_scan_algorithmE0ELj4294967295EEENS1_25partition_config_selectorILNS1_17partition_subalgoE4EjNS0_10empty_typeEbEEZZNS1_14partition_implILS8_4ELb0ES6_15HIP_vector_typeIjLj2EENS0_17counting_iteratorIjlEEPS9_SG_NS0_5tupleIJPjSI_NS0_16reverse_iteratorISI_EEEEENSH_IJSG_SG_SG_EEES9_SI_JZNS1_25segmented_radix_sort_implINS0_14default_configELb1EPK12hip_bfloat16PSP_PKlPlN2at6native12_GLOBAL__N_18offset_tEEE10hipError_tPvRmT1_PNSt15iterator_traitsIS13_E10value_typeET2_T3_PNS14_IS19_E10value_typeET4_jRbjT5_S1F_jjP12ihipStream_tbEUljE_ZNSN_ISO_Lb1ESR_SS_SU_SV_SZ_EES10_S11_S12_S13_S17_S18_S19_S1C_S1D_jS1E_jS1F_S1F_jjS1H_bEUljE0_EEES10_S11_S12_S19_S1D_S1F_T6_T7_T9_mT8_S1H_bDpT10_ENKUlT_T0_E_clISt17integral_constantIbLb1EES1U_IbLb0EEEEDaS1Q_S1R_EUlS1Q_E_NS1_11comp_targetILNS1_3genE10ELNS1_11target_archE1200ELNS1_3gpuE4ELNS1_3repE0EEENS1_30default_config_static_selectorELNS0_4arch9wavefront6targetE0EEEvS13_,comdat
	.globl	_ZN7rocprim17ROCPRIM_400000_NS6detail17trampoline_kernelINS0_13select_configILj256ELj13ELNS0_17block_load_methodE3ELS4_3ELS4_3ELNS0_20block_scan_algorithmE0ELj4294967295EEENS1_25partition_config_selectorILNS1_17partition_subalgoE4EjNS0_10empty_typeEbEEZZNS1_14partition_implILS8_4ELb0ES6_15HIP_vector_typeIjLj2EENS0_17counting_iteratorIjlEEPS9_SG_NS0_5tupleIJPjSI_NS0_16reverse_iteratorISI_EEEEENSH_IJSG_SG_SG_EEES9_SI_JZNS1_25segmented_radix_sort_implINS0_14default_configELb1EPK12hip_bfloat16PSP_PKlPlN2at6native12_GLOBAL__N_18offset_tEEE10hipError_tPvRmT1_PNSt15iterator_traitsIS13_E10value_typeET2_T3_PNS14_IS19_E10value_typeET4_jRbjT5_S1F_jjP12ihipStream_tbEUljE_ZNSN_ISO_Lb1ESR_SS_SU_SV_SZ_EES10_S11_S12_S13_S17_S18_S19_S1C_S1D_jS1E_jS1F_S1F_jjS1H_bEUljE0_EEES10_S11_S12_S19_S1D_S1F_T6_T7_T9_mT8_S1H_bDpT10_ENKUlT_T0_E_clISt17integral_constantIbLb1EES1U_IbLb0EEEEDaS1Q_S1R_EUlS1Q_E_NS1_11comp_targetILNS1_3genE10ELNS1_11target_archE1200ELNS1_3gpuE4ELNS1_3repE0EEENS1_30default_config_static_selectorELNS0_4arch9wavefront6targetE0EEEvS13_ ; -- Begin function _ZN7rocprim17ROCPRIM_400000_NS6detail17trampoline_kernelINS0_13select_configILj256ELj13ELNS0_17block_load_methodE3ELS4_3ELS4_3ELNS0_20block_scan_algorithmE0ELj4294967295EEENS1_25partition_config_selectorILNS1_17partition_subalgoE4EjNS0_10empty_typeEbEEZZNS1_14partition_implILS8_4ELb0ES6_15HIP_vector_typeIjLj2EENS0_17counting_iteratorIjlEEPS9_SG_NS0_5tupleIJPjSI_NS0_16reverse_iteratorISI_EEEEENSH_IJSG_SG_SG_EEES9_SI_JZNS1_25segmented_radix_sort_implINS0_14default_configELb1EPK12hip_bfloat16PSP_PKlPlN2at6native12_GLOBAL__N_18offset_tEEE10hipError_tPvRmT1_PNSt15iterator_traitsIS13_E10value_typeET2_T3_PNS14_IS19_E10value_typeET4_jRbjT5_S1F_jjP12ihipStream_tbEUljE_ZNSN_ISO_Lb1ESR_SS_SU_SV_SZ_EES10_S11_S12_S13_S17_S18_S19_S1C_S1D_jS1E_jS1F_S1F_jjS1H_bEUljE0_EEES10_S11_S12_S19_S1D_S1F_T6_T7_T9_mT8_S1H_bDpT10_ENKUlT_T0_E_clISt17integral_constantIbLb1EES1U_IbLb0EEEEDaS1Q_S1R_EUlS1Q_E_NS1_11comp_targetILNS1_3genE10ELNS1_11target_archE1200ELNS1_3gpuE4ELNS1_3repE0EEENS1_30default_config_static_selectorELNS0_4arch9wavefront6targetE0EEEvS13_
	.p2align	8
	.type	_ZN7rocprim17ROCPRIM_400000_NS6detail17trampoline_kernelINS0_13select_configILj256ELj13ELNS0_17block_load_methodE3ELS4_3ELS4_3ELNS0_20block_scan_algorithmE0ELj4294967295EEENS1_25partition_config_selectorILNS1_17partition_subalgoE4EjNS0_10empty_typeEbEEZZNS1_14partition_implILS8_4ELb0ES6_15HIP_vector_typeIjLj2EENS0_17counting_iteratorIjlEEPS9_SG_NS0_5tupleIJPjSI_NS0_16reverse_iteratorISI_EEEEENSH_IJSG_SG_SG_EEES9_SI_JZNS1_25segmented_radix_sort_implINS0_14default_configELb1EPK12hip_bfloat16PSP_PKlPlN2at6native12_GLOBAL__N_18offset_tEEE10hipError_tPvRmT1_PNSt15iterator_traitsIS13_E10value_typeET2_T3_PNS14_IS19_E10value_typeET4_jRbjT5_S1F_jjP12ihipStream_tbEUljE_ZNSN_ISO_Lb1ESR_SS_SU_SV_SZ_EES10_S11_S12_S13_S17_S18_S19_S1C_S1D_jS1E_jS1F_S1F_jjS1H_bEUljE0_EEES10_S11_S12_S19_S1D_S1F_T6_T7_T9_mT8_S1H_bDpT10_ENKUlT_T0_E_clISt17integral_constantIbLb1EES1U_IbLb0EEEEDaS1Q_S1R_EUlS1Q_E_NS1_11comp_targetILNS1_3genE10ELNS1_11target_archE1200ELNS1_3gpuE4ELNS1_3repE0EEENS1_30default_config_static_selectorELNS0_4arch9wavefront6targetE0EEEvS13_,@function
_ZN7rocprim17ROCPRIM_400000_NS6detail17trampoline_kernelINS0_13select_configILj256ELj13ELNS0_17block_load_methodE3ELS4_3ELS4_3ELNS0_20block_scan_algorithmE0ELj4294967295EEENS1_25partition_config_selectorILNS1_17partition_subalgoE4EjNS0_10empty_typeEbEEZZNS1_14partition_implILS8_4ELb0ES6_15HIP_vector_typeIjLj2EENS0_17counting_iteratorIjlEEPS9_SG_NS0_5tupleIJPjSI_NS0_16reverse_iteratorISI_EEEEENSH_IJSG_SG_SG_EEES9_SI_JZNS1_25segmented_radix_sort_implINS0_14default_configELb1EPK12hip_bfloat16PSP_PKlPlN2at6native12_GLOBAL__N_18offset_tEEE10hipError_tPvRmT1_PNSt15iterator_traitsIS13_E10value_typeET2_T3_PNS14_IS19_E10value_typeET4_jRbjT5_S1F_jjP12ihipStream_tbEUljE_ZNSN_ISO_Lb1ESR_SS_SU_SV_SZ_EES10_S11_S12_S13_S17_S18_S19_S1C_S1D_jS1E_jS1F_S1F_jjS1H_bEUljE0_EEES10_S11_S12_S19_S1D_S1F_T6_T7_T9_mT8_S1H_bDpT10_ENKUlT_T0_E_clISt17integral_constantIbLb1EES1U_IbLb0EEEEDaS1Q_S1R_EUlS1Q_E_NS1_11comp_targetILNS1_3genE10ELNS1_11target_archE1200ELNS1_3gpuE4ELNS1_3repE0EEENS1_30default_config_static_selectorELNS0_4arch9wavefront6targetE0EEEvS13_: ; @_ZN7rocprim17ROCPRIM_400000_NS6detail17trampoline_kernelINS0_13select_configILj256ELj13ELNS0_17block_load_methodE3ELS4_3ELS4_3ELNS0_20block_scan_algorithmE0ELj4294967295EEENS1_25partition_config_selectorILNS1_17partition_subalgoE4EjNS0_10empty_typeEbEEZZNS1_14partition_implILS8_4ELb0ES6_15HIP_vector_typeIjLj2EENS0_17counting_iteratorIjlEEPS9_SG_NS0_5tupleIJPjSI_NS0_16reverse_iteratorISI_EEEEENSH_IJSG_SG_SG_EEES9_SI_JZNS1_25segmented_radix_sort_implINS0_14default_configELb1EPK12hip_bfloat16PSP_PKlPlN2at6native12_GLOBAL__N_18offset_tEEE10hipError_tPvRmT1_PNSt15iterator_traitsIS13_E10value_typeET2_T3_PNS14_IS19_E10value_typeET4_jRbjT5_S1F_jjP12ihipStream_tbEUljE_ZNSN_ISO_Lb1ESR_SS_SU_SV_SZ_EES10_S11_S12_S13_S17_S18_S19_S1C_S1D_jS1E_jS1F_S1F_jjS1H_bEUljE0_EEES10_S11_S12_S19_S1D_S1F_T6_T7_T9_mT8_S1H_bDpT10_ENKUlT_T0_E_clISt17integral_constantIbLb1EES1U_IbLb0EEEEDaS1Q_S1R_EUlS1Q_E_NS1_11comp_targetILNS1_3genE10ELNS1_11target_archE1200ELNS1_3gpuE4ELNS1_3repE0EEENS1_30default_config_static_selectorELNS0_4arch9wavefront6targetE0EEEvS13_
; %bb.0:
	.section	.rodata,"a",@progbits
	.p2align	6, 0x0
	.amdhsa_kernel _ZN7rocprim17ROCPRIM_400000_NS6detail17trampoline_kernelINS0_13select_configILj256ELj13ELNS0_17block_load_methodE3ELS4_3ELS4_3ELNS0_20block_scan_algorithmE0ELj4294967295EEENS1_25partition_config_selectorILNS1_17partition_subalgoE4EjNS0_10empty_typeEbEEZZNS1_14partition_implILS8_4ELb0ES6_15HIP_vector_typeIjLj2EENS0_17counting_iteratorIjlEEPS9_SG_NS0_5tupleIJPjSI_NS0_16reverse_iteratorISI_EEEEENSH_IJSG_SG_SG_EEES9_SI_JZNS1_25segmented_radix_sort_implINS0_14default_configELb1EPK12hip_bfloat16PSP_PKlPlN2at6native12_GLOBAL__N_18offset_tEEE10hipError_tPvRmT1_PNSt15iterator_traitsIS13_E10value_typeET2_T3_PNS14_IS19_E10value_typeET4_jRbjT5_S1F_jjP12ihipStream_tbEUljE_ZNSN_ISO_Lb1ESR_SS_SU_SV_SZ_EES10_S11_S12_S13_S17_S18_S19_S1C_S1D_jS1E_jS1F_S1F_jjS1H_bEUljE0_EEES10_S11_S12_S19_S1D_S1F_T6_T7_T9_mT8_S1H_bDpT10_ENKUlT_T0_E_clISt17integral_constantIbLb1EES1U_IbLb0EEEEDaS1Q_S1R_EUlS1Q_E_NS1_11comp_targetILNS1_3genE10ELNS1_11target_archE1200ELNS1_3gpuE4ELNS1_3repE0EEENS1_30default_config_static_selectorELNS0_4arch9wavefront6targetE0EEEvS13_
		.amdhsa_group_segment_fixed_size 0
		.amdhsa_private_segment_fixed_size 0
		.amdhsa_kernarg_size 176
		.amdhsa_user_sgpr_count 2
		.amdhsa_user_sgpr_dispatch_ptr 0
		.amdhsa_user_sgpr_queue_ptr 0
		.amdhsa_user_sgpr_kernarg_segment_ptr 1
		.amdhsa_user_sgpr_dispatch_id 0
		.amdhsa_user_sgpr_kernarg_preload_length 0
		.amdhsa_user_sgpr_kernarg_preload_offset 0
		.amdhsa_user_sgpr_private_segment_size 0
		.amdhsa_wavefront_size32 1
		.amdhsa_uses_dynamic_stack 0
		.amdhsa_enable_private_segment 0
		.amdhsa_system_sgpr_workgroup_id_x 1
		.amdhsa_system_sgpr_workgroup_id_y 0
		.amdhsa_system_sgpr_workgroup_id_z 0
		.amdhsa_system_sgpr_workgroup_info 0
		.amdhsa_system_vgpr_workitem_id 0
		.amdhsa_next_free_vgpr 1
		.amdhsa_next_free_sgpr 1
		.amdhsa_named_barrier_count 0
		.amdhsa_reserve_vcc 0
		.amdhsa_float_round_mode_32 0
		.amdhsa_float_round_mode_16_64 0
		.amdhsa_float_denorm_mode_32 3
		.amdhsa_float_denorm_mode_16_64 3
		.amdhsa_fp16_overflow 0
		.amdhsa_memory_ordered 1
		.amdhsa_forward_progress 1
		.amdhsa_inst_pref_size 0
		.amdhsa_round_robin_scheduling 0
		.amdhsa_exception_fp_ieee_invalid_op 0
		.amdhsa_exception_fp_denorm_src 0
		.amdhsa_exception_fp_ieee_div_zero 0
		.amdhsa_exception_fp_ieee_overflow 0
		.amdhsa_exception_fp_ieee_underflow 0
		.amdhsa_exception_fp_ieee_inexact 0
		.amdhsa_exception_int_div_zero 0
	.end_amdhsa_kernel
	.section	.text._ZN7rocprim17ROCPRIM_400000_NS6detail17trampoline_kernelINS0_13select_configILj256ELj13ELNS0_17block_load_methodE3ELS4_3ELS4_3ELNS0_20block_scan_algorithmE0ELj4294967295EEENS1_25partition_config_selectorILNS1_17partition_subalgoE4EjNS0_10empty_typeEbEEZZNS1_14partition_implILS8_4ELb0ES6_15HIP_vector_typeIjLj2EENS0_17counting_iteratorIjlEEPS9_SG_NS0_5tupleIJPjSI_NS0_16reverse_iteratorISI_EEEEENSH_IJSG_SG_SG_EEES9_SI_JZNS1_25segmented_radix_sort_implINS0_14default_configELb1EPK12hip_bfloat16PSP_PKlPlN2at6native12_GLOBAL__N_18offset_tEEE10hipError_tPvRmT1_PNSt15iterator_traitsIS13_E10value_typeET2_T3_PNS14_IS19_E10value_typeET4_jRbjT5_S1F_jjP12ihipStream_tbEUljE_ZNSN_ISO_Lb1ESR_SS_SU_SV_SZ_EES10_S11_S12_S13_S17_S18_S19_S1C_S1D_jS1E_jS1F_S1F_jjS1H_bEUljE0_EEES10_S11_S12_S19_S1D_S1F_T6_T7_T9_mT8_S1H_bDpT10_ENKUlT_T0_E_clISt17integral_constantIbLb1EES1U_IbLb0EEEEDaS1Q_S1R_EUlS1Q_E_NS1_11comp_targetILNS1_3genE10ELNS1_11target_archE1200ELNS1_3gpuE4ELNS1_3repE0EEENS1_30default_config_static_selectorELNS0_4arch9wavefront6targetE0EEEvS13_,"axG",@progbits,_ZN7rocprim17ROCPRIM_400000_NS6detail17trampoline_kernelINS0_13select_configILj256ELj13ELNS0_17block_load_methodE3ELS4_3ELS4_3ELNS0_20block_scan_algorithmE0ELj4294967295EEENS1_25partition_config_selectorILNS1_17partition_subalgoE4EjNS0_10empty_typeEbEEZZNS1_14partition_implILS8_4ELb0ES6_15HIP_vector_typeIjLj2EENS0_17counting_iteratorIjlEEPS9_SG_NS0_5tupleIJPjSI_NS0_16reverse_iteratorISI_EEEEENSH_IJSG_SG_SG_EEES9_SI_JZNS1_25segmented_radix_sort_implINS0_14default_configELb1EPK12hip_bfloat16PSP_PKlPlN2at6native12_GLOBAL__N_18offset_tEEE10hipError_tPvRmT1_PNSt15iterator_traitsIS13_E10value_typeET2_T3_PNS14_IS19_E10value_typeET4_jRbjT5_S1F_jjP12ihipStream_tbEUljE_ZNSN_ISO_Lb1ESR_SS_SU_SV_SZ_EES10_S11_S12_S13_S17_S18_S19_S1C_S1D_jS1E_jS1F_S1F_jjS1H_bEUljE0_EEES10_S11_S12_S19_S1D_S1F_T6_T7_T9_mT8_S1H_bDpT10_ENKUlT_T0_E_clISt17integral_constantIbLb1EES1U_IbLb0EEEEDaS1Q_S1R_EUlS1Q_E_NS1_11comp_targetILNS1_3genE10ELNS1_11target_archE1200ELNS1_3gpuE4ELNS1_3repE0EEENS1_30default_config_static_selectorELNS0_4arch9wavefront6targetE0EEEvS13_,comdat
.Lfunc_end1893:
	.size	_ZN7rocprim17ROCPRIM_400000_NS6detail17trampoline_kernelINS0_13select_configILj256ELj13ELNS0_17block_load_methodE3ELS4_3ELS4_3ELNS0_20block_scan_algorithmE0ELj4294967295EEENS1_25partition_config_selectorILNS1_17partition_subalgoE4EjNS0_10empty_typeEbEEZZNS1_14partition_implILS8_4ELb0ES6_15HIP_vector_typeIjLj2EENS0_17counting_iteratorIjlEEPS9_SG_NS0_5tupleIJPjSI_NS0_16reverse_iteratorISI_EEEEENSH_IJSG_SG_SG_EEES9_SI_JZNS1_25segmented_radix_sort_implINS0_14default_configELb1EPK12hip_bfloat16PSP_PKlPlN2at6native12_GLOBAL__N_18offset_tEEE10hipError_tPvRmT1_PNSt15iterator_traitsIS13_E10value_typeET2_T3_PNS14_IS19_E10value_typeET4_jRbjT5_S1F_jjP12ihipStream_tbEUljE_ZNSN_ISO_Lb1ESR_SS_SU_SV_SZ_EES10_S11_S12_S13_S17_S18_S19_S1C_S1D_jS1E_jS1F_S1F_jjS1H_bEUljE0_EEES10_S11_S12_S19_S1D_S1F_T6_T7_T9_mT8_S1H_bDpT10_ENKUlT_T0_E_clISt17integral_constantIbLb1EES1U_IbLb0EEEEDaS1Q_S1R_EUlS1Q_E_NS1_11comp_targetILNS1_3genE10ELNS1_11target_archE1200ELNS1_3gpuE4ELNS1_3repE0EEENS1_30default_config_static_selectorELNS0_4arch9wavefront6targetE0EEEvS13_, .Lfunc_end1893-_ZN7rocprim17ROCPRIM_400000_NS6detail17trampoline_kernelINS0_13select_configILj256ELj13ELNS0_17block_load_methodE3ELS4_3ELS4_3ELNS0_20block_scan_algorithmE0ELj4294967295EEENS1_25partition_config_selectorILNS1_17partition_subalgoE4EjNS0_10empty_typeEbEEZZNS1_14partition_implILS8_4ELb0ES6_15HIP_vector_typeIjLj2EENS0_17counting_iteratorIjlEEPS9_SG_NS0_5tupleIJPjSI_NS0_16reverse_iteratorISI_EEEEENSH_IJSG_SG_SG_EEES9_SI_JZNS1_25segmented_radix_sort_implINS0_14default_configELb1EPK12hip_bfloat16PSP_PKlPlN2at6native12_GLOBAL__N_18offset_tEEE10hipError_tPvRmT1_PNSt15iterator_traitsIS13_E10value_typeET2_T3_PNS14_IS19_E10value_typeET4_jRbjT5_S1F_jjP12ihipStream_tbEUljE_ZNSN_ISO_Lb1ESR_SS_SU_SV_SZ_EES10_S11_S12_S13_S17_S18_S19_S1C_S1D_jS1E_jS1F_S1F_jjS1H_bEUljE0_EEES10_S11_S12_S19_S1D_S1F_T6_T7_T9_mT8_S1H_bDpT10_ENKUlT_T0_E_clISt17integral_constantIbLb1EES1U_IbLb0EEEEDaS1Q_S1R_EUlS1Q_E_NS1_11comp_targetILNS1_3genE10ELNS1_11target_archE1200ELNS1_3gpuE4ELNS1_3repE0EEENS1_30default_config_static_selectorELNS0_4arch9wavefront6targetE0EEEvS13_
                                        ; -- End function
	.set _ZN7rocprim17ROCPRIM_400000_NS6detail17trampoline_kernelINS0_13select_configILj256ELj13ELNS0_17block_load_methodE3ELS4_3ELS4_3ELNS0_20block_scan_algorithmE0ELj4294967295EEENS1_25partition_config_selectorILNS1_17partition_subalgoE4EjNS0_10empty_typeEbEEZZNS1_14partition_implILS8_4ELb0ES6_15HIP_vector_typeIjLj2EENS0_17counting_iteratorIjlEEPS9_SG_NS0_5tupleIJPjSI_NS0_16reverse_iteratorISI_EEEEENSH_IJSG_SG_SG_EEES9_SI_JZNS1_25segmented_radix_sort_implINS0_14default_configELb1EPK12hip_bfloat16PSP_PKlPlN2at6native12_GLOBAL__N_18offset_tEEE10hipError_tPvRmT1_PNSt15iterator_traitsIS13_E10value_typeET2_T3_PNS14_IS19_E10value_typeET4_jRbjT5_S1F_jjP12ihipStream_tbEUljE_ZNSN_ISO_Lb1ESR_SS_SU_SV_SZ_EES10_S11_S12_S13_S17_S18_S19_S1C_S1D_jS1E_jS1F_S1F_jjS1H_bEUljE0_EEES10_S11_S12_S19_S1D_S1F_T6_T7_T9_mT8_S1H_bDpT10_ENKUlT_T0_E_clISt17integral_constantIbLb1EES1U_IbLb0EEEEDaS1Q_S1R_EUlS1Q_E_NS1_11comp_targetILNS1_3genE10ELNS1_11target_archE1200ELNS1_3gpuE4ELNS1_3repE0EEENS1_30default_config_static_selectorELNS0_4arch9wavefront6targetE0EEEvS13_.num_vgpr, 0
	.set _ZN7rocprim17ROCPRIM_400000_NS6detail17trampoline_kernelINS0_13select_configILj256ELj13ELNS0_17block_load_methodE3ELS4_3ELS4_3ELNS0_20block_scan_algorithmE0ELj4294967295EEENS1_25partition_config_selectorILNS1_17partition_subalgoE4EjNS0_10empty_typeEbEEZZNS1_14partition_implILS8_4ELb0ES6_15HIP_vector_typeIjLj2EENS0_17counting_iteratorIjlEEPS9_SG_NS0_5tupleIJPjSI_NS0_16reverse_iteratorISI_EEEEENSH_IJSG_SG_SG_EEES9_SI_JZNS1_25segmented_radix_sort_implINS0_14default_configELb1EPK12hip_bfloat16PSP_PKlPlN2at6native12_GLOBAL__N_18offset_tEEE10hipError_tPvRmT1_PNSt15iterator_traitsIS13_E10value_typeET2_T3_PNS14_IS19_E10value_typeET4_jRbjT5_S1F_jjP12ihipStream_tbEUljE_ZNSN_ISO_Lb1ESR_SS_SU_SV_SZ_EES10_S11_S12_S13_S17_S18_S19_S1C_S1D_jS1E_jS1F_S1F_jjS1H_bEUljE0_EEES10_S11_S12_S19_S1D_S1F_T6_T7_T9_mT8_S1H_bDpT10_ENKUlT_T0_E_clISt17integral_constantIbLb1EES1U_IbLb0EEEEDaS1Q_S1R_EUlS1Q_E_NS1_11comp_targetILNS1_3genE10ELNS1_11target_archE1200ELNS1_3gpuE4ELNS1_3repE0EEENS1_30default_config_static_selectorELNS0_4arch9wavefront6targetE0EEEvS13_.num_agpr, 0
	.set _ZN7rocprim17ROCPRIM_400000_NS6detail17trampoline_kernelINS0_13select_configILj256ELj13ELNS0_17block_load_methodE3ELS4_3ELS4_3ELNS0_20block_scan_algorithmE0ELj4294967295EEENS1_25partition_config_selectorILNS1_17partition_subalgoE4EjNS0_10empty_typeEbEEZZNS1_14partition_implILS8_4ELb0ES6_15HIP_vector_typeIjLj2EENS0_17counting_iteratorIjlEEPS9_SG_NS0_5tupleIJPjSI_NS0_16reverse_iteratorISI_EEEEENSH_IJSG_SG_SG_EEES9_SI_JZNS1_25segmented_radix_sort_implINS0_14default_configELb1EPK12hip_bfloat16PSP_PKlPlN2at6native12_GLOBAL__N_18offset_tEEE10hipError_tPvRmT1_PNSt15iterator_traitsIS13_E10value_typeET2_T3_PNS14_IS19_E10value_typeET4_jRbjT5_S1F_jjP12ihipStream_tbEUljE_ZNSN_ISO_Lb1ESR_SS_SU_SV_SZ_EES10_S11_S12_S13_S17_S18_S19_S1C_S1D_jS1E_jS1F_S1F_jjS1H_bEUljE0_EEES10_S11_S12_S19_S1D_S1F_T6_T7_T9_mT8_S1H_bDpT10_ENKUlT_T0_E_clISt17integral_constantIbLb1EES1U_IbLb0EEEEDaS1Q_S1R_EUlS1Q_E_NS1_11comp_targetILNS1_3genE10ELNS1_11target_archE1200ELNS1_3gpuE4ELNS1_3repE0EEENS1_30default_config_static_selectorELNS0_4arch9wavefront6targetE0EEEvS13_.numbered_sgpr, 0
	.set _ZN7rocprim17ROCPRIM_400000_NS6detail17trampoline_kernelINS0_13select_configILj256ELj13ELNS0_17block_load_methodE3ELS4_3ELS4_3ELNS0_20block_scan_algorithmE0ELj4294967295EEENS1_25partition_config_selectorILNS1_17partition_subalgoE4EjNS0_10empty_typeEbEEZZNS1_14partition_implILS8_4ELb0ES6_15HIP_vector_typeIjLj2EENS0_17counting_iteratorIjlEEPS9_SG_NS0_5tupleIJPjSI_NS0_16reverse_iteratorISI_EEEEENSH_IJSG_SG_SG_EEES9_SI_JZNS1_25segmented_radix_sort_implINS0_14default_configELb1EPK12hip_bfloat16PSP_PKlPlN2at6native12_GLOBAL__N_18offset_tEEE10hipError_tPvRmT1_PNSt15iterator_traitsIS13_E10value_typeET2_T3_PNS14_IS19_E10value_typeET4_jRbjT5_S1F_jjP12ihipStream_tbEUljE_ZNSN_ISO_Lb1ESR_SS_SU_SV_SZ_EES10_S11_S12_S13_S17_S18_S19_S1C_S1D_jS1E_jS1F_S1F_jjS1H_bEUljE0_EEES10_S11_S12_S19_S1D_S1F_T6_T7_T9_mT8_S1H_bDpT10_ENKUlT_T0_E_clISt17integral_constantIbLb1EES1U_IbLb0EEEEDaS1Q_S1R_EUlS1Q_E_NS1_11comp_targetILNS1_3genE10ELNS1_11target_archE1200ELNS1_3gpuE4ELNS1_3repE0EEENS1_30default_config_static_selectorELNS0_4arch9wavefront6targetE0EEEvS13_.num_named_barrier, 0
	.set _ZN7rocprim17ROCPRIM_400000_NS6detail17trampoline_kernelINS0_13select_configILj256ELj13ELNS0_17block_load_methodE3ELS4_3ELS4_3ELNS0_20block_scan_algorithmE0ELj4294967295EEENS1_25partition_config_selectorILNS1_17partition_subalgoE4EjNS0_10empty_typeEbEEZZNS1_14partition_implILS8_4ELb0ES6_15HIP_vector_typeIjLj2EENS0_17counting_iteratorIjlEEPS9_SG_NS0_5tupleIJPjSI_NS0_16reverse_iteratorISI_EEEEENSH_IJSG_SG_SG_EEES9_SI_JZNS1_25segmented_radix_sort_implINS0_14default_configELb1EPK12hip_bfloat16PSP_PKlPlN2at6native12_GLOBAL__N_18offset_tEEE10hipError_tPvRmT1_PNSt15iterator_traitsIS13_E10value_typeET2_T3_PNS14_IS19_E10value_typeET4_jRbjT5_S1F_jjP12ihipStream_tbEUljE_ZNSN_ISO_Lb1ESR_SS_SU_SV_SZ_EES10_S11_S12_S13_S17_S18_S19_S1C_S1D_jS1E_jS1F_S1F_jjS1H_bEUljE0_EEES10_S11_S12_S19_S1D_S1F_T6_T7_T9_mT8_S1H_bDpT10_ENKUlT_T0_E_clISt17integral_constantIbLb1EES1U_IbLb0EEEEDaS1Q_S1R_EUlS1Q_E_NS1_11comp_targetILNS1_3genE10ELNS1_11target_archE1200ELNS1_3gpuE4ELNS1_3repE0EEENS1_30default_config_static_selectorELNS0_4arch9wavefront6targetE0EEEvS13_.private_seg_size, 0
	.set _ZN7rocprim17ROCPRIM_400000_NS6detail17trampoline_kernelINS0_13select_configILj256ELj13ELNS0_17block_load_methodE3ELS4_3ELS4_3ELNS0_20block_scan_algorithmE0ELj4294967295EEENS1_25partition_config_selectorILNS1_17partition_subalgoE4EjNS0_10empty_typeEbEEZZNS1_14partition_implILS8_4ELb0ES6_15HIP_vector_typeIjLj2EENS0_17counting_iteratorIjlEEPS9_SG_NS0_5tupleIJPjSI_NS0_16reverse_iteratorISI_EEEEENSH_IJSG_SG_SG_EEES9_SI_JZNS1_25segmented_radix_sort_implINS0_14default_configELb1EPK12hip_bfloat16PSP_PKlPlN2at6native12_GLOBAL__N_18offset_tEEE10hipError_tPvRmT1_PNSt15iterator_traitsIS13_E10value_typeET2_T3_PNS14_IS19_E10value_typeET4_jRbjT5_S1F_jjP12ihipStream_tbEUljE_ZNSN_ISO_Lb1ESR_SS_SU_SV_SZ_EES10_S11_S12_S13_S17_S18_S19_S1C_S1D_jS1E_jS1F_S1F_jjS1H_bEUljE0_EEES10_S11_S12_S19_S1D_S1F_T6_T7_T9_mT8_S1H_bDpT10_ENKUlT_T0_E_clISt17integral_constantIbLb1EES1U_IbLb0EEEEDaS1Q_S1R_EUlS1Q_E_NS1_11comp_targetILNS1_3genE10ELNS1_11target_archE1200ELNS1_3gpuE4ELNS1_3repE0EEENS1_30default_config_static_selectorELNS0_4arch9wavefront6targetE0EEEvS13_.uses_vcc, 0
	.set _ZN7rocprim17ROCPRIM_400000_NS6detail17trampoline_kernelINS0_13select_configILj256ELj13ELNS0_17block_load_methodE3ELS4_3ELS4_3ELNS0_20block_scan_algorithmE0ELj4294967295EEENS1_25partition_config_selectorILNS1_17partition_subalgoE4EjNS0_10empty_typeEbEEZZNS1_14partition_implILS8_4ELb0ES6_15HIP_vector_typeIjLj2EENS0_17counting_iteratorIjlEEPS9_SG_NS0_5tupleIJPjSI_NS0_16reverse_iteratorISI_EEEEENSH_IJSG_SG_SG_EEES9_SI_JZNS1_25segmented_radix_sort_implINS0_14default_configELb1EPK12hip_bfloat16PSP_PKlPlN2at6native12_GLOBAL__N_18offset_tEEE10hipError_tPvRmT1_PNSt15iterator_traitsIS13_E10value_typeET2_T3_PNS14_IS19_E10value_typeET4_jRbjT5_S1F_jjP12ihipStream_tbEUljE_ZNSN_ISO_Lb1ESR_SS_SU_SV_SZ_EES10_S11_S12_S13_S17_S18_S19_S1C_S1D_jS1E_jS1F_S1F_jjS1H_bEUljE0_EEES10_S11_S12_S19_S1D_S1F_T6_T7_T9_mT8_S1H_bDpT10_ENKUlT_T0_E_clISt17integral_constantIbLb1EES1U_IbLb0EEEEDaS1Q_S1R_EUlS1Q_E_NS1_11comp_targetILNS1_3genE10ELNS1_11target_archE1200ELNS1_3gpuE4ELNS1_3repE0EEENS1_30default_config_static_selectorELNS0_4arch9wavefront6targetE0EEEvS13_.uses_flat_scratch, 0
	.set _ZN7rocprim17ROCPRIM_400000_NS6detail17trampoline_kernelINS0_13select_configILj256ELj13ELNS0_17block_load_methodE3ELS4_3ELS4_3ELNS0_20block_scan_algorithmE0ELj4294967295EEENS1_25partition_config_selectorILNS1_17partition_subalgoE4EjNS0_10empty_typeEbEEZZNS1_14partition_implILS8_4ELb0ES6_15HIP_vector_typeIjLj2EENS0_17counting_iteratorIjlEEPS9_SG_NS0_5tupleIJPjSI_NS0_16reverse_iteratorISI_EEEEENSH_IJSG_SG_SG_EEES9_SI_JZNS1_25segmented_radix_sort_implINS0_14default_configELb1EPK12hip_bfloat16PSP_PKlPlN2at6native12_GLOBAL__N_18offset_tEEE10hipError_tPvRmT1_PNSt15iterator_traitsIS13_E10value_typeET2_T3_PNS14_IS19_E10value_typeET4_jRbjT5_S1F_jjP12ihipStream_tbEUljE_ZNSN_ISO_Lb1ESR_SS_SU_SV_SZ_EES10_S11_S12_S13_S17_S18_S19_S1C_S1D_jS1E_jS1F_S1F_jjS1H_bEUljE0_EEES10_S11_S12_S19_S1D_S1F_T6_T7_T9_mT8_S1H_bDpT10_ENKUlT_T0_E_clISt17integral_constantIbLb1EES1U_IbLb0EEEEDaS1Q_S1R_EUlS1Q_E_NS1_11comp_targetILNS1_3genE10ELNS1_11target_archE1200ELNS1_3gpuE4ELNS1_3repE0EEENS1_30default_config_static_selectorELNS0_4arch9wavefront6targetE0EEEvS13_.has_dyn_sized_stack, 0
	.set _ZN7rocprim17ROCPRIM_400000_NS6detail17trampoline_kernelINS0_13select_configILj256ELj13ELNS0_17block_load_methodE3ELS4_3ELS4_3ELNS0_20block_scan_algorithmE0ELj4294967295EEENS1_25partition_config_selectorILNS1_17partition_subalgoE4EjNS0_10empty_typeEbEEZZNS1_14partition_implILS8_4ELb0ES6_15HIP_vector_typeIjLj2EENS0_17counting_iteratorIjlEEPS9_SG_NS0_5tupleIJPjSI_NS0_16reverse_iteratorISI_EEEEENSH_IJSG_SG_SG_EEES9_SI_JZNS1_25segmented_radix_sort_implINS0_14default_configELb1EPK12hip_bfloat16PSP_PKlPlN2at6native12_GLOBAL__N_18offset_tEEE10hipError_tPvRmT1_PNSt15iterator_traitsIS13_E10value_typeET2_T3_PNS14_IS19_E10value_typeET4_jRbjT5_S1F_jjP12ihipStream_tbEUljE_ZNSN_ISO_Lb1ESR_SS_SU_SV_SZ_EES10_S11_S12_S13_S17_S18_S19_S1C_S1D_jS1E_jS1F_S1F_jjS1H_bEUljE0_EEES10_S11_S12_S19_S1D_S1F_T6_T7_T9_mT8_S1H_bDpT10_ENKUlT_T0_E_clISt17integral_constantIbLb1EES1U_IbLb0EEEEDaS1Q_S1R_EUlS1Q_E_NS1_11comp_targetILNS1_3genE10ELNS1_11target_archE1200ELNS1_3gpuE4ELNS1_3repE0EEENS1_30default_config_static_selectorELNS0_4arch9wavefront6targetE0EEEvS13_.has_recursion, 0
	.set _ZN7rocprim17ROCPRIM_400000_NS6detail17trampoline_kernelINS0_13select_configILj256ELj13ELNS0_17block_load_methodE3ELS4_3ELS4_3ELNS0_20block_scan_algorithmE0ELj4294967295EEENS1_25partition_config_selectorILNS1_17partition_subalgoE4EjNS0_10empty_typeEbEEZZNS1_14partition_implILS8_4ELb0ES6_15HIP_vector_typeIjLj2EENS0_17counting_iteratorIjlEEPS9_SG_NS0_5tupleIJPjSI_NS0_16reverse_iteratorISI_EEEEENSH_IJSG_SG_SG_EEES9_SI_JZNS1_25segmented_radix_sort_implINS0_14default_configELb1EPK12hip_bfloat16PSP_PKlPlN2at6native12_GLOBAL__N_18offset_tEEE10hipError_tPvRmT1_PNSt15iterator_traitsIS13_E10value_typeET2_T3_PNS14_IS19_E10value_typeET4_jRbjT5_S1F_jjP12ihipStream_tbEUljE_ZNSN_ISO_Lb1ESR_SS_SU_SV_SZ_EES10_S11_S12_S13_S17_S18_S19_S1C_S1D_jS1E_jS1F_S1F_jjS1H_bEUljE0_EEES10_S11_S12_S19_S1D_S1F_T6_T7_T9_mT8_S1H_bDpT10_ENKUlT_T0_E_clISt17integral_constantIbLb1EES1U_IbLb0EEEEDaS1Q_S1R_EUlS1Q_E_NS1_11comp_targetILNS1_3genE10ELNS1_11target_archE1200ELNS1_3gpuE4ELNS1_3repE0EEENS1_30default_config_static_selectorELNS0_4arch9wavefront6targetE0EEEvS13_.has_indirect_call, 0
	.section	.AMDGPU.csdata,"",@progbits
; Kernel info:
; codeLenInByte = 0
; TotalNumSgprs: 0
; NumVgprs: 0
; ScratchSize: 0
; MemoryBound: 0
; FloatMode: 240
; IeeeMode: 1
; LDSByteSize: 0 bytes/workgroup (compile time only)
; SGPRBlocks: 0
; VGPRBlocks: 0
; NumSGPRsForWavesPerEU: 1
; NumVGPRsForWavesPerEU: 1
; NamedBarCnt: 0
; Occupancy: 16
; WaveLimiterHint : 0
; COMPUTE_PGM_RSRC2:SCRATCH_EN: 0
; COMPUTE_PGM_RSRC2:USER_SGPR: 2
; COMPUTE_PGM_RSRC2:TRAP_HANDLER: 0
; COMPUTE_PGM_RSRC2:TGID_X_EN: 1
; COMPUTE_PGM_RSRC2:TGID_Y_EN: 0
; COMPUTE_PGM_RSRC2:TGID_Z_EN: 0
; COMPUTE_PGM_RSRC2:TIDIG_COMP_CNT: 0
	.section	.text._ZN7rocprim17ROCPRIM_400000_NS6detail17trampoline_kernelINS0_13select_configILj256ELj13ELNS0_17block_load_methodE3ELS4_3ELS4_3ELNS0_20block_scan_algorithmE0ELj4294967295EEENS1_25partition_config_selectorILNS1_17partition_subalgoE4EjNS0_10empty_typeEbEEZZNS1_14partition_implILS8_4ELb0ES6_15HIP_vector_typeIjLj2EENS0_17counting_iteratorIjlEEPS9_SG_NS0_5tupleIJPjSI_NS0_16reverse_iteratorISI_EEEEENSH_IJSG_SG_SG_EEES9_SI_JZNS1_25segmented_radix_sort_implINS0_14default_configELb1EPK12hip_bfloat16PSP_PKlPlN2at6native12_GLOBAL__N_18offset_tEEE10hipError_tPvRmT1_PNSt15iterator_traitsIS13_E10value_typeET2_T3_PNS14_IS19_E10value_typeET4_jRbjT5_S1F_jjP12ihipStream_tbEUljE_ZNSN_ISO_Lb1ESR_SS_SU_SV_SZ_EES10_S11_S12_S13_S17_S18_S19_S1C_S1D_jS1E_jS1F_S1F_jjS1H_bEUljE0_EEES10_S11_S12_S19_S1D_S1F_T6_T7_T9_mT8_S1H_bDpT10_ENKUlT_T0_E_clISt17integral_constantIbLb1EES1U_IbLb0EEEEDaS1Q_S1R_EUlS1Q_E_NS1_11comp_targetILNS1_3genE9ELNS1_11target_archE1100ELNS1_3gpuE3ELNS1_3repE0EEENS1_30default_config_static_selectorELNS0_4arch9wavefront6targetE0EEEvS13_,"axG",@progbits,_ZN7rocprim17ROCPRIM_400000_NS6detail17trampoline_kernelINS0_13select_configILj256ELj13ELNS0_17block_load_methodE3ELS4_3ELS4_3ELNS0_20block_scan_algorithmE0ELj4294967295EEENS1_25partition_config_selectorILNS1_17partition_subalgoE4EjNS0_10empty_typeEbEEZZNS1_14partition_implILS8_4ELb0ES6_15HIP_vector_typeIjLj2EENS0_17counting_iteratorIjlEEPS9_SG_NS0_5tupleIJPjSI_NS0_16reverse_iteratorISI_EEEEENSH_IJSG_SG_SG_EEES9_SI_JZNS1_25segmented_radix_sort_implINS0_14default_configELb1EPK12hip_bfloat16PSP_PKlPlN2at6native12_GLOBAL__N_18offset_tEEE10hipError_tPvRmT1_PNSt15iterator_traitsIS13_E10value_typeET2_T3_PNS14_IS19_E10value_typeET4_jRbjT5_S1F_jjP12ihipStream_tbEUljE_ZNSN_ISO_Lb1ESR_SS_SU_SV_SZ_EES10_S11_S12_S13_S17_S18_S19_S1C_S1D_jS1E_jS1F_S1F_jjS1H_bEUljE0_EEES10_S11_S12_S19_S1D_S1F_T6_T7_T9_mT8_S1H_bDpT10_ENKUlT_T0_E_clISt17integral_constantIbLb1EES1U_IbLb0EEEEDaS1Q_S1R_EUlS1Q_E_NS1_11comp_targetILNS1_3genE9ELNS1_11target_archE1100ELNS1_3gpuE3ELNS1_3repE0EEENS1_30default_config_static_selectorELNS0_4arch9wavefront6targetE0EEEvS13_,comdat
	.globl	_ZN7rocprim17ROCPRIM_400000_NS6detail17trampoline_kernelINS0_13select_configILj256ELj13ELNS0_17block_load_methodE3ELS4_3ELS4_3ELNS0_20block_scan_algorithmE0ELj4294967295EEENS1_25partition_config_selectorILNS1_17partition_subalgoE4EjNS0_10empty_typeEbEEZZNS1_14partition_implILS8_4ELb0ES6_15HIP_vector_typeIjLj2EENS0_17counting_iteratorIjlEEPS9_SG_NS0_5tupleIJPjSI_NS0_16reverse_iteratorISI_EEEEENSH_IJSG_SG_SG_EEES9_SI_JZNS1_25segmented_radix_sort_implINS0_14default_configELb1EPK12hip_bfloat16PSP_PKlPlN2at6native12_GLOBAL__N_18offset_tEEE10hipError_tPvRmT1_PNSt15iterator_traitsIS13_E10value_typeET2_T3_PNS14_IS19_E10value_typeET4_jRbjT5_S1F_jjP12ihipStream_tbEUljE_ZNSN_ISO_Lb1ESR_SS_SU_SV_SZ_EES10_S11_S12_S13_S17_S18_S19_S1C_S1D_jS1E_jS1F_S1F_jjS1H_bEUljE0_EEES10_S11_S12_S19_S1D_S1F_T6_T7_T9_mT8_S1H_bDpT10_ENKUlT_T0_E_clISt17integral_constantIbLb1EES1U_IbLb0EEEEDaS1Q_S1R_EUlS1Q_E_NS1_11comp_targetILNS1_3genE9ELNS1_11target_archE1100ELNS1_3gpuE3ELNS1_3repE0EEENS1_30default_config_static_selectorELNS0_4arch9wavefront6targetE0EEEvS13_ ; -- Begin function _ZN7rocprim17ROCPRIM_400000_NS6detail17trampoline_kernelINS0_13select_configILj256ELj13ELNS0_17block_load_methodE3ELS4_3ELS4_3ELNS0_20block_scan_algorithmE0ELj4294967295EEENS1_25partition_config_selectorILNS1_17partition_subalgoE4EjNS0_10empty_typeEbEEZZNS1_14partition_implILS8_4ELb0ES6_15HIP_vector_typeIjLj2EENS0_17counting_iteratorIjlEEPS9_SG_NS0_5tupleIJPjSI_NS0_16reverse_iteratorISI_EEEEENSH_IJSG_SG_SG_EEES9_SI_JZNS1_25segmented_radix_sort_implINS0_14default_configELb1EPK12hip_bfloat16PSP_PKlPlN2at6native12_GLOBAL__N_18offset_tEEE10hipError_tPvRmT1_PNSt15iterator_traitsIS13_E10value_typeET2_T3_PNS14_IS19_E10value_typeET4_jRbjT5_S1F_jjP12ihipStream_tbEUljE_ZNSN_ISO_Lb1ESR_SS_SU_SV_SZ_EES10_S11_S12_S13_S17_S18_S19_S1C_S1D_jS1E_jS1F_S1F_jjS1H_bEUljE0_EEES10_S11_S12_S19_S1D_S1F_T6_T7_T9_mT8_S1H_bDpT10_ENKUlT_T0_E_clISt17integral_constantIbLb1EES1U_IbLb0EEEEDaS1Q_S1R_EUlS1Q_E_NS1_11comp_targetILNS1_3genE9ELNS1_11target_archE1100ELNS1_3gpuE3ELNS1_3repE0EEENS1_30default_config_static_selectorELNS0_4arch9wavefront6targetE0EEEvS13_
	.p2align	8
	.type	_ZN7rocprim17ROCPRIM_400000_NS6detail17trampoline_kernelINS0_13select_configILj256ELj13ELNS0_17block_load_methodE3ELS4_3ELS4_3ELNS0_20block_scan_algorithmE0ELj4294967295EEENS1_25partition_config_selectorILNS1_17partition_subalgoE4EjNS0_10empty_typeEbEEZZNS1_14partition_implILS8_4ELb0ES6_15HIP_vector_typeIjLj2EENS0_17counting_iteratorIjlEEPS9_SG_NS0_5tupleIJPjSI_NS0_16reverse_iteratorISI_EEEEENSH_IJSG_SG_SG_EEES9_SI_JZNS1_25segmented_radix_sort_implINS0_14default_configELb1EPK12hip_bfloat16PSP_PKlPlN2at6native12_GLOBAL__N_18offset_tEEE10hipError_tPvRmT1_PNSt15iterator_traitsIS13_E10value_typeET2_T3_PNS14_IS19_E10value_typeET4_jRbjT5_S1F_jjP12ihipStream_tbEUljE_ZNSN_ISO_Lb1ESR_SS_SU_SV_SZ_EES10_S11_S12_S13_S17_S18_S19_S1C_S1D_jS1E_jS1F_S1F_jjS1H_bEUljE0_EEES10_S11_S12_S19_S1D_S1F_T6_T7_T9_mT8_S1H_bDpT10_ENKUlT_T0_E_clISt17integral_constantIbLb1EES1U_IbLb0EEEEDaS1Q_S1R_EUlS1Q_E_NS1_11comp_targetILNS1_3genE9ELNS1_11target_archE1100ELNS1_3gpuE3ELNS1_3repE0EEENS1_30default_config_static_selectorELNS0_4arch9wavefront6targetE0EEEvS13_,@function
_ZN7rocprim17ROCPRIM_400000_NS6detail17trampoline_kernelINS0_13select_configILj256ELj13ELNS0_17block_load_methodE3ELS4_3ELS4_3ELNS0_20block_scan_algorithmE0ELj4294967295EEENS1_25partition_config_selectorILNS1_17partition_subalgoE4EjNS0_10empty_typeEbEEZZNS1_14partition_implILS8_4ELb0ES6_15HIP_vector_typeIjLj2EENS0_17counting_iteratorIjlEEPS9_SG_NS0_5tupleIJPjSI_NS0_16reverse_iteratorISI_EEEEENSH_IJSG_SG_SG_EEES9_SI_JZNS1_25segmented_radix_sort_implINS0_14default_configELb1EPK12hip_bfloat16PSP_PKlPlN2at6native12_GLOBAL__N_18offset_tEEE10hipError_tPvRmT1_PNSt15iterator_traitsIS13_E10value_typeET2_T3_PNS14_IS19_E10value_typeET4_jRbjT5_S1F_jjP12ihipStream_tbEUljE_ZNSN_ISO_Lb1ESR_SS_SU_SV_SZ_EES10_S11_S12_S13_S17_S18_S19_S1C_S1D_jS1E_jS1F_S1F_jjS1H_bEUljE0_EEES10_S11_S12_S19_S1D_S1F_T6_T7_T9_mT8_S1H_bDpT10_ENKUlT_T0_E_clISt17integral_constantIbLb1EES1U_IbLb0EEEEDaS1Q_S1R_EUlS1Q_E_NS1_11comp_targetILNS1_3genE9ELNS1_11target_archE1100ELNS1_3gpuE3ELNS1_3repE0EEENS1_30default_config_static_selectorELNS0_4arch9wavefront6targetE0EEEvS13_: ; @_ZN7rocprim17ROCPRIM_400000_NS6detail17trampoline_kernelINS0_13select_configILj256ELj13ELNS0_17block_load_methodE3ELS4_3ELS4_3ELNS0_20block_scan_algorithmE0ELj4294967295EEENS1_25partition_config_selectorILNS1_17partition_subalgoE4EjNS0_10empty_typeEbEEZZNS1_14partition_implILS8_4ELb0ES6_15HIP_vector_typeIjLj2EENS0_17counting_iteratorIjlEEPS9_SG_NS0_5tupleIJPjSI_NS0_16reverse_iteratorISI_EEEEENSH_IJSG_SG_SG_EEES9_SI_JZNS1_25segmented_radix_sort_implINS0_14default_configELb1EPK12hip_bfloat16PSP_PKlPlN2at6native12_GLOBAL__N_18offset_tEEE10hipError_tPvRmT1_PNSt15iterator_traitsIS13_E10value_typeET2_T3_PNS14_IS19_E10value_typeET4_jRbjT5_S1F_jjP12ihipStream_tbEUljE_ZNSN_ISO_Lb1ESR_SS_SU_SV_SZ_EES10_S11_S12_S13_S17_S18_S19_S1C_S1D_jS1E_jS1F_S1F_jjS1H_bEUljE0_EEES10_S11_S12_S19_S1D_S1F_T6_T7_T9_mT8_S1H_bDpT10_ENKUlT_T0_E_clISt17integral_constantIbLb1EES1U_IbLb0EEEEDaS1Q_S1R_EUlS1Q_E_NS1_11comp_targetILNS1_3genE9ELNS1_11target_archE1100ELNS1_3gpuE3ELNS1_3repE0EEENS1_30default_config_static_selectorELNS0_4arch9wavefront6targetE0EEEvS13_
; %bb.0:
	.section	.rodata,"a",@progbits
	.p2align	6, 0x0
	.amdhsa_kernel _ZN7rocprim17ROCPRIM_400000_NS6detail17trampoline_kernelINS0_13select_configILj256ELj13ELNS0_17block_load_methodE3ELS4_3ELS4_3ELNS0_20block_scan_algorithmE0ELj4294967295EEENS1_25partition_config_selectorILNS1_17partition_subalgoE4EjNS0_10empty_typeEbEEZZNS1_14partition_implILS8_4ELb0ES6_15HIP_vector_typeIjLj2EENS0_17counting_iteratorIjlEEPS9_SG_NS0_5tupleIJPjSI_NS0_16reverse_iteratorISI_EEEEENSH_IJSG_SG_SG_EEES9_SI_JZNS1_25segmented_radix_sort_implINS0_14default_configELb1EPK12hip_bfloat16PSP_PKlPlN2at6native12_GLOBAL__N_18offset_tEEE10hipError_tPvRmT1_PNSt15iterator_traitsIS13_E10value_typeET2_T3_PNS14_IS19_E10value_typeET4_jRbjT5_S1F_jjP12ihipStream_tbEUljE_ZNSN_ISO_Lb1ESR_SS_SU_SV_SZ_EES10_S11_S12_S13_S17_S18_S19_S1C_S1D_jS1E_jS1F_S1F_jjS1H_bEUljE0_EEES10_S11_S12_S19_S1D_S1F_T6_T7_T9_mT8_S1H_bDpT10_ENKUlT_T0_E_clISt17integral_constantIbLb1EES1U_IbLb0EEEEDaS1Q_S1R_EUlS1Q_E_NS1_11comp_targetILNS1_3genE9ELNS1_11target_archE1100ELNS1_3gpuE3ELNS1_3repE0EEENS1_30default_config_static_selectorELNS0_4arch9wavefront6targetE0EEEvS13_
		.amdhsa_group_segment_fixed_size 0
		.amdhsa_private_segment_fixed_size 0
		.amdhsa_kernarg_size 176
		.amdhsa_user_sgpr_count 2
		.amdhsa_user_sgpr_dispatch_ptr 0
		.amdhsa_user_sgpr_queue_ptr 0
		.amdhsa_user_sgpr_kernarg_segment_ptr 1
		.amdhsa_user_sgpr_dispatch_id 0
		.amdhsa_user_sgpr_kernarg_preload_length 0
		.amdhsa_user_sgpr_kernarg_preload_offset 0
		.amdhsa_user_sgpr_private_segment_size 0
		.amdhsa_wavefront_size32 1
		.amdhsa_uses_dynamic_stack 0
		.amdhsa_enable_private_segment 0
		.amdhsa_system_sgpr_workgroup_id_x 1
		.amdhsa_system_sgpr_workgroup_id_y 0
		.amdhsa_system_sgpr_workgroup_id_z 0
		.amdhsa_system_sgpr_workgroup_info 0
		.amdhsa_system_vgpr_workitem_id 0
		.amdhsa_next_free_vgpr 1
		.amdhsa_next_free_sgpr 1
		.amdhsa_named_barrier_count 0
		.amdhsa_reserve_vcc 0
		.amdhsa_float_round_mode_32 0
		.amdhsa_float_round_mode_16_64 0
		.amdhsa_float_denorm_mode_32 3
		.amdhsa_float_denorm_mode_16_64 3
		.amdhsa_fp16_overflow 0
		.amdhsa_memory_ordered 1
		.amdhsa_forward_progress 1
		.amdhsa_inst_pref_size 0
		.amdhsa_round_robin_scheduling 0
		.amdhsa_exception_fp_ieee_invalid_op 0
		.amdhsa_exception_fp_denorm_src 0
		.amdhsa_exception_fp_ieee_div_zero 0
		.amdhsa_exception_fp_ieee_overflow 0
		.amdhsa_exception_fp_ieee_underflow 0
		.amdhsa_exception_fp_ieee_inexact 0
		.amdhsa_exception_int_div_zero 0
	.end_amdhsa_kernel
	.section	.text._ZN7rocprim17ROCPRIM_400000_NS6detail17trampoline_kernelINS0_13select_configILj256ELj13ELNS0_17block_load_methodE3ELS4_3ELS4_3ELNS0_20block_scan_algorithmE0ELj4294967295EEENS1_25partition_config_selectorILNS1_17partition_subalgoE4EjNS0_10empty_typeEbEEZZNS1_14partition_implILS8_4ELb0ES6_15HIP_vector_typeIjLj2EENS0_17counting_iteratorIjlEEPS9_SG_NS0_5tupleIJPjSI_NS0_16reverse_iteratorISI_EEEEENSH_IJSG_SG_SG_EEES9_SI_JZNS1_25segmented_radix_sort_implINS0_14default_configELb1EPK12hip_bfloat16PSP_PKlPlN2at6native12_GLOBAL__N_18offset_tEEE10hipError_tPvRmT1_PNSt15iterator_traitsIS13_E10value_typeET2_T3_PNS14_IS19_E10value_typeET4_jRbjT5_S1F_jjP12ihipStream_tbEUljE_ZNSN_ISO_Lb1ESR_SS_SU_SV_SZ_EES10_S11_S12_S13_S17_S18_S19_S1C_S1D_jS1E_jS1F_S1F_jjS1H_bEUljE0_EEES10_S11_S12_S19_S1D_S1F_T6_T7_T9_mT8_S1H_bDpT10_ENKUlT_T0_E_clISt17integral_constantIbLb1EES1U_IbLb0EEEEDaS1Q_S1R_EUlS1Q_E_NS1_11comp_targetILNS1_3genE9ELNS1_11target_archE1100ELNS1_3gpuE3ELNS1_3repE0EEENS1_30default_config_static_selectorELNS0_4arch9wavefront6targetE0EEEvS13_,"axG",@progbits,_ZN7rocprim17ROCPRIM_400000_NS6detail17trampoline_kernelINS0_13select_configILj256ELj13ELNS0_17block_load_methodE3ELS4_3ELS4_3ELNS0_20block_scan_algorithmE0ELj4294967295EEENS1_25partition_config_selectorILNS1_17partition_subalgoE4EjNS0_10empty_typeEbEEZZNS1_14partition_implILS8_4ELb0ES6_15HIP_vector_typeIjLj2EENS0_17counting_iteratorIjlEEPS9_SG_NS0_5tupleIJPjSI_NS0_16reverse_iteratorISI_EEEEENSH_IJSG_SG_SG_EEES9_SI_JZNS1_25segmented_radix_sort_implINS0_14default_configELb1EPK12hip_bfloat16PSP_PKlPlN2at6native12_GLOBAL__N_18offset_tEEE10hipError_tPvRmT1_PNSt15iterator_traitsIS13_E10value_typeET2_T3_PNS14_IS19_E10value_typeET4_jRbjT5_S1F_jjP12ihipStream_tbEUljE_ZNSN_ISO_Lb1ESR_SS_SU_SV_SZ_EES10_S11_S12_S13_S17_S18_S19_S1C_S1D_jS1E_jS1F_S1F_jjS1H_bEUljE0_EEES10_S11_S12_S19_S1D_S1F_T6_T7_T9_mT8_S1H_bDpT10_ENKUlT_T0_E_clISt17integral_constantIbLb1EES1U_IbLb0EEEEDaS1Q_S1R_EUlS1Q_E_NS1_11comp_targetILNS1_3genE9ELNS1_11target_archE1100ELNS1_3gpuE3ELNS1_3repE0EEENS1_30default_config_static_selectorELNS0_4arch9wavefront6targetE0EEEvS13_,comdat
.Lfunc_end1894:
	.size	_ZN7rocprim17ROCPRIM_400000_NS6detail17trampoline_kernelINS0_13select_configILj256ELj13ELNS0_17block_load_methodE3ELS4_3ELS4_3ELNS0_20block_scan_algorithmE0ELj4294967295EEENS1_25partition_config_selectorILNS1_17partition_subalgoE4EjNS0_10empty_typeEbEEZZNS1_14partition_implILS8_4ELb0ES6_15HIP_vector_typeIjLj2EENS0_17counting_iteratorIjlEEPS9_SG_NS0_5tupleIJPjSI_NS0_16reverse_iteratorISI_EEEEENSH_IJSG_SG_SG_EEES9_SI_JZNS1_25segmented_radix_sort_implINS0_14default_configELb1EPK12hip_bfloat16PSP_PKlPlN2at6native12_GLOBAL__N_18offset_tEEE10hipError_tPvRmT1_PNSt15iterator_traitsIS13_E10value_typeET2_T3_PNS14_IS19_E10value_typeET4_jRbjT5_S1F_jjP12ihipStream_tbEUljE_ZNSN_ISO_Lb1ESR_SS_SU_SV_SZ_EES10_S11_S12_S13_S17_S18_S19_S1C_S1D_jS1E_jS1F_S1F_jjS1H_bEUljE0_EEES10_S11_S12_S19_S1D_S1F_T6_T7_T9_mT8_S1H_bDpT10_ENKUlT_T0_E_clISt17integral_constantIbLb1EES1U_IbLb0EEEEDaS1Q_S1R_EUlS1Q_E_NS1_11comp_targetILNS1_3genE9ELNS1_11target_archE1100ELNS1_3gpuE3ELNS1_3repE0EEENS1_30default_config_static_selectorELNS0_4arch9wavefront6targetE0EEEvS13_, .Lfunc_end1894-_ZN7rocprim17ROCPRIM_400000_NS6detail17trampoline_kernelINS0_13select_configILj256ELj13ELNS0_17block_load_methodE3ELS4_3ELS4_3ELNS0_20block_scan_algorithmE0ELj4294967295EEENS1_25partition_config_selectorILNS1_17partition_subalgoE4EjNS0_10empty_typeEbEEZZNS1_14partition_implILS8_4ELb0ES6_15HIP_vector_typeIjLj2EENS0_17counting_iteratorIjlEEPS9_SG_NS0_5tupleIJPjSI_NS0_16reverse_iteratorISI_EEEEENSH_IJSG_SG_SG_EEES9_SI_JZNS1_25segmented_radix_sort_implINS0_14default_configELb1EPK12hip_bfloat16PSP_PKlPlN2at6native12_GLOBAL__N_18offset_tEEE10hipError_tPvRmT1_PNSt15iterator_traitsIS13_E10value_typeET2_T3_PNS14_IS19_E10value_typeET4_jRbjT5_S1F_jjP12ihipStream_tbEUljE_ZNSN_ISO_Lb1ESR_SS_SU_SV_SZ_EES10_S11_S12_S13_S17_S18_S19_S1C_S1D_jS1E_jS1F_S1F_jjS1H_bEUljE0_EEES10_S11_S12_S19_S1D_S1F_T6_T7_T9_mT8_S1H_bDpT10_ENKUlT_T0_E_clISt17integral_constantIbLb1EES1U_IbLb0EEEEDaS1Q_S1R_EUlS1Q_E_NS1_11comp_targetILNS1_3genE9ELNS1_11target_archE1100ELNS1_3gpuE3ELNS1_3repE0EEENS1_30default_config_static_selectorELNS0_4arch9wavefront6targetE0EEEvS13_
                                        ; -- End function
	.set _ZN7rocprim17ROCPRIM_400000_NS6detail17trampoline_kernelINS0_13select_configILj256ELj13ELNS0_17block_load_methodE3ELS4_3ELS4_3ELNS0_20block_scan_algorithmE0ELj4294967295EEENS1_25partition_config_selectorILNS1_17partition_subalgoE4EjNS0_10empty_typeEbEEZZNS1_14partition_implILS8_4ELb0ES6_15HIP_vector_typeIjLj2EENS0_17counting_iteratorIjlEEPS9_SG_NS0_5tupleIJPjSI_NS0_16reverse_iteratorISI_EEEEENSH_IJSG_SG_SG_EEES9_SI_JZNS1_25segmented_radix_sort_implINS0_14default_configELb1EPK12hip_bfloat16PSP_PKlPlN2at6native12_GLOBAL__N_18offset_tEEE10hipError_tPvRmT1_PNSt15iterator_traitsIS13_E10value_typeET2_T3_PNS14_IS19_E10value_typeET4_jRbjT5_S1F_jjP12ihipStream_tbEUljE_ZNSN_ISO_Lb1ESR_SS_SU_SV_SZ_EES10_S11_S12_S13_S17_S18_S19_S1C_S1D_jS1E_jS1F_S1F_jjS1H_bEUljE0_EEES10_S11_S12_S19_S1D_S1F_T6_T7_T9_mT8_S1H_bDpT10_ENKUlT_T0_E_clISt17integral_constantIbLb1EES1U_IbLb0EEEEDaS1Q_S1R_EUlS1Q_E_NS1_11comp_targetILNS1_3genE9ELNS1_11target_archE1100ELNS1_3gpuE3ELNS1_3repE0EEENS1_30default_config_static_selectorELNS0_4arch9wavefront6targetE0EEEvS13_.num_vgpr, 0
	.set _ZN7rocprim17ROCPRIM_400000_NS6detail17trampoline_kernelINS0_13select_configILj256ELj13ELNS0_17block_load_methodE3ELS4_3ELS4_3ELNS0_20block_scan_algorithmE0ELj4294967295EEENS1_25partition_config_selectorILNS1_17partition_subalgoE4EjNS0_10empty_typeEbEEZZNS1_14partition_implILS8_4ELb0ES6_15HIP_vector_typeIjLj2EENS0_17counting_iteratorIjlEEPS9_SG_NS0_5tupleIJPjSI_NS0_16reverse_iteratorISI_EEEEENSH_IJSG_SG_SG_EEES9_SI_JZNS1_25segmented_radix_sort_implINS0_14default_configELb1EPK12hip_bfloat16PSP_PKlPlN2at6native12_GLOBAL__N_18offset_tEEE10hipError_tPvRmT1_PNSt15iterator_traitsIS13_E10value_typeET2_T3_PNS14_IS19_E10value_typeET4_jRbjT5_S1F_jjP12ihipStream_tbEUljE_ZNSN_ISO_Lb1ESR_SS_SU_SV_SZ_EES10_S11_S12_S13_S17_S18_S19_S1C_S1D_jS1E_jS1F_S1F_jjS1H_bEUljE0_EEES10_S11_S12_S19_S1D_S1F_T6_T7_T9_mT8_S1H_bDpT10_ENKUlT_T0_E_clISt17integral_constantIbLb1EES1U_IbLb0EEEEDaS1Q_S1R_EUlS1Q_E_NS1_11comp_targetILNS1_3genE9ELNS1_11target_archE1100ELNS1_3gpuE3ELNS1_3repE0EEENS1_30default_config_static_selectorELNS0_4arch9wavefront6targetE0EEEvS13_.num_agpr, 0
	.set _ZN7rocprim17ROCPRIM_400000_NS6detail17trampoline_kernelINS0_13select_configILj256ELj13ELNS0_17block_load_methodE3ELS4_3ELS4_3ELNS0_20block_scan_algorithmE0ELj4294967295EEENS1_25partition_config_selectorILNS1_17partition_subalgoE4EjNS0_10empty_typeEbEEZZNS1_14partition_implILS8_4ELb0ES6_15HIP_vector_typeIjLj2EENS0_17counting_iteratorIjlEEPS9_SG_NS0_5tupleIJPjSI_NS0_16reverse_iteratorISI_EEEEENSH_IJSG_SG_SG_EEES9_SI_JZNS1_25segmented_radix_sort_implINS0_14default_configELb1EPK12hip_bfloat16PSP_PKlPlN2at6native12_GLOBAL__N_18offset_tEEE10hipError_tPvRmT1_PNSt15iterator_traitsIS13_E10value_typeET2_T3_PNS14_IS19_E10value_typeET4_jRbjT5_S1F_jjP12ihipStream_tbEUljE_ZNSN_ISO_Lb1ESR_SS_SU_SV_SZ_EES10_S11_S12_S13_S17_S18_S19_S1C_S1D_jS1E_jS1F_S1F_jjS1H_bEUljE0_EEES10_S11_S12_S19_S1D_S1F_T6_T7_T9_mT8_S1H_bDpT10_ENKUlT_T0_E_clISt17integral_constantIbLb1EES1U_IbLb0EEEEDaS1Q_S1R_EUlS1Q_E_NS1_11comp_targetILNS1_3genE9ELNS1_11target_archE1100ELNS1_3gpuE3ELNS1_3repE0EEENS1_30default_config_static_selectorELNS0_4arch9wavefront6targetE0EEEvS13_.numbered_sgpr, 0
	.set _ZN7rocprim17ROCPRIM_400000_NS6detail17trampoline_kernelINS0_13select_configILj256ELj13ELNS0_17block_load_methodE3ELS4_3ELS4_3ELNS0_20block_scan_algorithmE0ELj4294967295EEENS1_25partition_config_selectorILNS1_17partition_subalgoE4EjNS0_10empty_typeEbEEZZNS1_14partition_implILS8_4ELb0ES6_15HIP_vector_typeIjLj2EENS0_17counting_iteratorIjlEEPS9_SG_NS0_5tupleIJPjSI_NS0_16reverse_iteratorISI_EEEEENSH_IJSG_SG_SG_EEES9_SI_JZNS1_25segmented_radix_sort_implINS0_14default_configELb1EPK12hip_bfloat16PSP_PKlPlN2at6native12_GLOBAL__N_18offset_tEEE10hipError_tPvRmT1_PNSt15iterator_traitsIS13_E10value_typeET2_T3_PNS14_IS19_E10value_typeET4_jRbjT5_S1F_jjP12ihipStream_tbEUljE_ZNSN_ISO_Lb1ESR_SS_SU_SV_SZ_EES10_S11_S12_S13_S17_S18_S19_S1C_S1D_jS1E_jS1F_S1F_jjS1H_bEUljE0_EEES10_S11_S12_S19_S1D_S1F_T6_T7_T9_mT8_S1H_bDpT10_ENKUlT_T0_E_clISt17integral_constantIbLb1EES1U_IbLb0EEEEDaS1Q_S1R_EUlS1Q_E_NS1_11comp_targetILNS1_3genE9ELNS1_11target_archE1100ELNS1_3gpuE3ELNS1_3repE0EEENS1_30default_config_static_selectorELNS0_4arch9wavefront6targetE0EEEvS13_.num_named_barrier, 0
	.set _ZN7rocprim17ROCPRIM_400000_NS6detail17trampoline_kernelINS0_13select_configILj256ELj13ELNS0_17block_load_methodE3ELS4_3ELS4_3ELNS0_20block_scan_algorithmE0ELj4294967295EEENS1_25partition_config_selectorILNS1_17partition_subalgoE4EjNS0_10empty_typeEbEEZZNS1_14partition_implILS8_4ELb0ES6_15HIP_vector_typeIjLj2EENS0_17counting_iteratorIjlEEPS9_SG_NS0_5tupleIJPjSI_NS0_16reverse_iteratorISI_EEEEENSH_IJSG_SG_SG_EEES9_SI_JZNS1_25segmented_radix_sort_implINS0_14default_configELb1EPK12hip_bfloat16PSP_PKlPlN2at6native12_GLOBAL__N_18offset_tEEE10hipError_tPvRmT1_PNSt15iterator_traitsIS13_E10value_typeET2_T3_PNS14_IS19_E10value_typeET4_jRbjT5_S1F_jjP12ihipStream_tbEUljE_ZNSN_ISO_Lb1ESR_SS_SU_SV_SZ_EES10_S11_S12_S13_S17_S18_S19_S1C_S1D_jS1E_jS1F_S1F_jjS1H_bEUljE0_EEES10_S11_S12_S19_S1D_S1F_T6_T7_T9_mT8_S1H_bDpT10_ENKUlT_T0_E_clISt17integral_constantIbLb1EES1U_IbLb0EEEEDaS1Q_S1R_EUlS1Q_E_NS1_11comp_targetILNS1_3genE9ELNS1_11target_archE1100ELNS1_3gpuE3ELNS1_3repE0EEENS1_30default_config_static_selectorELNS0_4arch9wavefront6targetE0EEEvS13_.private_seg_size, 0
	.set _ZN7rocprim17ROCPRIM_400000_NS6detail17trampoline_kernelINS0_13select_configILj256ELj13ELNS0_17block_load_methodE3ELS4_3ELS4_3ELNS0_20block_scan_algorithmE0ELj4294967295EEENS1_25partition_config_selectorILNS1_17partition_subalgoE4EjNS0_10empty_typeEbEEZZNS1_14partition_implILS8_4ELb0ES6_15HIP_vector_typeIjLj2EENS0_17counting_iteratorIjlEEPS9_SG_NS0_5tupleIJPjSI_NS0_16reverse_iteratorISI_EEEEENSH_IJSG_SG_SG_EEES9_SI_JZNS1_25segmented_radix_sort_implINS0_14default_configELb1EPK12hip_bfloat16PSP_PKlPlN2at6native12_GLOBAL__N_18offset_tEEE10hipError_tPvRmT1_PNSt15iterator_traitsIS13_E10value_typeET2_T3_PNS14_IS19_E10value_typeET4_jRbjT5_S1F_jjP12ihipStream_tbEUljE_ZNSN_ISO_Lb1ESR_SS_SU_SV_SZ_EES10_S11_S12_S13_S17_S18_S19_S1C_S1D_jS1E_jS1F_S1F_jjS1H_bEUljE0_EEES10_S11_S12_S19_S1D_S1F_T6_T7_T9_mT8_S1H_bDpT10_ENKUlT_T0_E_clISt17integral_constantIbLb1EES1U_IbLb0EEEEDaS1Q_S1R_EUlS1Q_E_NS1_11comp_targetILNS1_3genE9ELNS1_11target_archE1100ELNS1_3gpuE3ELNS1_3repE0EEENS1_30default_config_static_selectorELNS0_4arch9wavefront6targetE0EEEvS13_.uses_vcc, 0
	.set _ZN7rocprim17ROCPRIM_400000_NS6detail17trampoline_kernelINS0_13select_configILj256ELj13ELNS0_17block_load_methodE3ELS4_3ELS4_3ELNS0_20block_scan_algorithmE0ELj4294967295EEENS1_25partition_config_selectorILNS1_17partition_subalgoE4EjNS0_10empty_typeEbEEZZNS1_14partition_implILS8_4ELb0ES6_15HIP_vector_typeIjLj2EENS0_17counting_iteratorIjlEEPS9_SG_NS0_5tupleIJPjSI_NS0_16reverse_iteratorISI_EEEEENSH_IJSG_SG_SG_EEES9_SI_JZNS1_25segmented_radix_sort_implINS0_14default_configELb1EPK12hip_bfloat16PSP_PKlPlN2at6native12_GLOBAL__N_18offset_tEEE10hipError_tPvRmT1_PNSt15iterator_traitsIS13_E10value_typeET2_T3_PNS14_IS19_E10value_typeET4_jRbjT5_S1F_jjP12ihipStream_tbEUljE_ZNSN_ISO_Lb1ESR_SS_SU_SV_SZ_EES10_S11_S12_S13_S17_S18_S19_S1C_S1D_jS1E_jS1F_S1F_jjS1H_bEUljE0_EEES10_S11_S12_S19_S1D_S1F_T6_T7_T9_mT8_S1H_bDpT10_ENKUlT_T0_E_clISt17integral_constantIbLb1EES1U_IbLb0EEEEDaS1Q_S1R_EUlS1Q_E_NS1_11comp_targetILNS1_3genE9ELNS1_11target_archE1100ELNS1_3gpuE3ELNS1_3repE0EEENS1_30default_config_static_selectorELNS0_4arch9wavefront6targetE0EEEvS13_.uses_flat_scratch, 0
	.set _ZN7rocprim17ROCPRIM_400000_NS6detail17trampoline_kernelINS0_13select_configILj256ELj13ELNS0_17block_load_methodE3ELS4_3ELS4_3ELNS0_20block_scan_algorithmE0ELj4294967295EEENS1_25partition_config_selectorILNS1_17partition_subalgoE4EjNS0_10empty_typeEbEEZZNS1_14partition_implILS8_4ELb0ES6_15HIP_vector_typeIjLj2EENS0_17counting_iteratorIjlEEPS9_SG_NS0_5tupleIJPjSI_NS0_16reverse_iteratorISI_EEEEENSH_IJSG_SG_SG_EEES9_SI_JZNS1_25segmented_radix_sort_implINS0_14default_configELb1EPK12hip_bfloat16PSP_PKlPlN2at6native12_GLOBAL__N_18offset_tEEE10hipError_tPvRmT1_PNSt15iterator_traitsIS13_E10value_typeET2_T3_PNS14_IS19_E10value_typeET4_jRbjT5_S1F_jjP12ihipStream_tbEUljE_ZNSN_ISO_Lb1ESR_SS_SU_SV_SZ_EES10_S11_S12_S13_S17_S18_S19_S1C_S1D_jS1E_jS1F_S1F_jjS1H_bEUljE0_EEES10_S11_S12_S19_S1D_S1F_T6_T7_T9_mT8_S1H_bDpT10_ENKUlT_T0_E_clISt17integral_constantIbLb1EES1U_IbLb0EEEEDaS1Q_S1R_EUlS1Q_E_NS1_11comp_targetILNS1_3genE9ELNS1_11target_archE1100ELNS1_3gpuE3ELNS1_3repE0EEENS1_30default_config_static_selectorELNS0_4arch9wavefront6targetE0EEEvS13_.has_dyn_sized_stack, 0
	.set _ZN7rocprim17ROCPRIM_400000_NS6detail17trampoline_kernelINS0_13select_configILj256ELj13ELNS0_17block_load_methodE3ELS4_3ELS4_3ELNS0_20block_scan_algorithmE0ELj4294967295EEENS1_25partition_config_selectorILNS1_17partition_subalgoE4EjNS0_10empty_typeEbEEZZNS1_14partition_implILS8_4ELb0ES6_15HIP_vector_typeIjLj2EENS0_17counting_iteratorIjlEEPS9_SG_NS0_5tupleIJPjSI_NS0_16reverse_iteratorISI_EEEEENSH_IJSG_SG_SG_EEES9_SI_JZNS1_25segmented_radix_sort_implINS0_14default_configELb1EPK12hip_bfloat16PSP_PKlPlN2at6native12_GLOBAL__N_18offset_tEEE10hipError_tPvRmT1_PNSt15iterator_traitsIS13_E10value_typeET2_T3_PNS14_IS19_E10value_typeET4_jRbjT5_S1F_jjP12ihipStream_tbEUljE_ZNSN_ISO_Lb1ESR_SS_SU_SV_SZ_EES10_S11_S12_S13_S17_S18_S19_S1C_S1D_jS1E_jS1F_S1F_jjS1H_bEUljE0_EEES10_S11_S12_S19_S1D_S1F_T6_T7_T9_mT8_S1H_bDpT10_ENKUlT_T0_E_clISt17integral_constantIbLb1EES1U_IbLb0EEEEDaS1Q_S1R_EUlS1Q_E_NS1_11comp_targetILNS1_3genE9ELNS1_11target_archE1100ELNS1_3gpuE3ELNS1_3repE0EEENS1_30default_config_static_selectorELNS0_4arch9wavefront6targetE0EEEvS13_.has_recursion, 0
	.set _ZN7rocprim17ROCPRIM_400000_NS6detail17trampoline_kernelINS0_13select_configILj256ELj13ELNS0_17block_load_methodE3ELS4_3ELS4_3ELNS0_20block_scan_algorithmE0ELj4294967295EEENS1_25partition_config_selectorILNS1_17partition_subalgoE4EjNS0_10empty_typeEbEEZZNS1_14partition_implILS8_4ELb0ES6_15HIP_vector_typeIjLj2EENS0_17counting_iteratorIjlEEPS9_SG_NS0_5tupleIJPjSI_NS0_16reverse_iteratorISI_EEEEENSH_IJSG_SG_SG_EEES9_SI_JZNS1_25segmented_radix_sort_implINS0_14default_configELb1EPK12hip_bfloat16PSP_PKlPlN2at6native12_GLOBAL__N_18offset_tEEE10hipError_tPvRmT1_PNSt15iterator_traitsIS13_E10value_typeET2_T3_PNS14_IS19_E10value_typeET4_jRbjT5_S1F_jjP12ihipStream_tbEUljE_ZNSN_ISO_Lb1ESR_SS_SU_SV_SZ_EES10_S11_S12_S13_S17_S18_S19_S1C_S1D_jS1E_jS1F_S1F_jjS1H_bEUljE0_EEES10_S11_S12_S19_S1D_S1F_T6_T7_T9_mT8_S1H_bDpT10_ENKUlT_T0_E_clISt17integral_constantIbLb1EES1U_IbLb0EEEEDaS1Q_S1R_EUlS1Q_E_NS1_11comp_targetILNS1_3genE9ELNS1_11target_archE1100ELNS1_3gpuE3ELNS1_3repE0EEENS1_30default_config_static_selectorELNS0_4arch9wavefront6targetE0EEEvS13_.has_indirect_call, 0
	.section	.AMDGPU.csdata,"",@progbits
; Kernel info:
; codeLenInByte = 0
; TotalNumSgprs: 0
; NumVgprs: 0
; ScratchSize: 0
; MemoryBound: 0
; FloatMode: 240
; IeeeMode: 1
; LDSByteSize: 0 bytes/workgroup (compile time only)
; SGPRBlocks: 0
; VGPRBlocks: 0
; NumSGPRsForWavesPerEU: 1
; NumVGPRsForWavesPerEU: 1
; NamedBarCnt: 0
; Occupancy: 16
; WaveLimiterHint : 0
; COMPUTE_PGM_RSRC2:SCRATCH_EN: 0
; COMPUTE_PGM_RSRC2:USER_SGPR: 2
; COMPUTE_PGM_RSRC2:TRAP_HANDLER: 0
; COMPUTE_PGM_RSRC2:TGID_X_EN: 1
; COMPUTE_PGM_RSRC2:TGID_Y_EN: 0
; COMPUTE_PGM_RSRC2:TGID_Z_EN: 0
; COMPUTE_PGM_RSRC2:TIDIG_COMP_CNT: 0
	.section	.text._ZN7rocprim17ROCPRIM_400000_NS6detail17trampoline_kernelINS0_13select_configILj256ELj13ELNS0_17block_load_methodE3ELS4_3ELS4_3ELNS0_20block_scan_algorithmE0ELj4294967295EEENS1_25partition_config_selectorILNS1_17partition_subalgoE4EjNS0_10empty_typeEbEEZZNS1_14partition_implILS8_4ELb0ES6_15HIP_vector_typeIjLj2EENS0_17counting_iteratorIjlEEPS9_SG_NS0_5tupleIJPjSI_NS0_16reverse_iteratorISI_EEEEENSH_IJSG_SG_SG_EEES9_SI_JZNS1_25segmented_radix_sort_implINS0_14default_configELb1EPK12hip_bfloat16PSP_PKlPlN2at6native12_GLOBAL__N_18offset_tEEE10hipError_tPvRmT1_PNSt15iterator_traitsIS13_E10value_typeET2_T3_PNS14_IS19_E10value_typeET4_jRbjT5_S1F_jjP12ihipStream_tbEUljE_ZNSN_ISO_Lb1ESR_SS_SU_SV_SZ_EES10_S11_S12_S13_S17_S18_S19_S1C_S1D_jS1E_jS1F_S1F_jjS1H_bEUljE0_EEES10_S11_S12_S19_S1D_S1F_T6_T7_T9_mT8_S1H_bDpT10_ENKUlT_T0_E_clISt17integral_constantIbLb1EES1U_IbLb0EEEEDaS1Q_S1R_EUlS1Q_E_NS1_11comp_targetILNS1_3genE8ELNS1_11target_archE1030ELNS1_3gpuE2ELNS1_3repE0EEENS1_30default_config_static_selectorELNS0_4arch9wavefront6targetE0EEEvS13_,"axG",@progbits,_ZN7rocprim17ROCPRIM_400000_NS6detail17trampoline_kernelINS0_13select_configILj256ELj13ELNS0_17block_load_methodE3ELS4_3ELS4_3ELNS0_20block_scan_algorithmE0ELj4294967295EEENS1_25partition_config_selectorILNS1_17partition_subalgoE4EjNS0_10empty_typeEbEEZZNS1_14partition_implILS8_4ELb0ES6_15HIP_vector_typeIjLj2EENS0_17counting_iteratorIjlEEPS9_SG_NS0_5tupleIJPjSI_NS0_16reverse_iteratorISI_EEEEENSH_IJSG_SG_SG_EEES9_SI_JZNS1_25segmented_radix_sort_implINS0_14default_configELb1EPK12hip_bfloat16PSP_PKlPlN2at6native12_GLOBAL__N_18offset_tEEE10hipError_tPvRmT1_PNSt15iterator_traitsIS13_E10value_typeET2_T3_PNS14_IS19_E10value_typeET4_jRbjT5_S1F_jjP12ihipStream_tbEUljE_ZNSN_ISO_Lb1ESR_SS_SU_SV_SZ_EES10_S11_S12_S13_S17_S18_S19_S1C_S1D_jS1E_jS1F_S1F_jjS1H_bEUljE0_EEES10_S11_S12_S19_S1D_S1F_T6_T7_T9_mT8_S1H_bDpT10_ENKUlT_T0_E_clISt17integral_constantIbLb1EES1U_IbLb0EEEEDaS1Q_S1R_EUlS1Q_E_NS1_11comp_targetILNS1_3genE8ELNS1_11target_archE1030ELNS1_3gpuE2ELNS1_3repE0EEENS1_30default_config_static_selectorELNS0_4arch9wavefront6targetE0EEEvS13_,comdat
	.globl	_ZN7rocprim17ROCPRIM_400000_NS6detail17trampoline_kernelINS0_13select_configILj256ELj13ELNS0_17block_load_methodE3ELS4_3ELS4_3ELNS0_20block_scan_algorithmE0ELj4294967295EEENS1_25partition_config_selectorILNS1_17partition_subalgoE4EjNS0_10empty_typeEbEEZZNS1_14partition_implILS8_4ELb0ES6_15HIP_vector_typeIjLj2EENS0_17counting_iteratorIjlEEPS9_SG_NS0_5tupleIJPjSI_NS0_16reverse_iteratorISI_EEEEENSH_IJSG_SG_SG_EEES9_SI_JZNS1_25segmented_radix_sort_implINS0_14default_configELb1EPK12hip_bfloat16PSP_PKlPlN2at6native12_GLOBAL__N_18offset_tEEE10hipError_tPvRmT1_PNSt15iterator_traitsIS13_E10value_typeET2_T3_PNS14_IS19_E10value_typeET4_jRbjT5_S1F_jjP12ihipStream_tbEUljE_ZNSN_ISO_Lb1ESR_SS_SU_SV_SZ_EES10_S11_S12_S13_S17_S18_S19_S1C_S1D_jS1E_jS1F_S1F_jjS1H_bEUljE0_EEES10_S11_S12_S19_S1D_S1F_T6_T7_T9_mT8_S1H_bDpT10_ENKUlT_T0_E_clISt17integral_constantIbLb1EES1U_IbLb0EEEEDaS1Q_S1R_EUlS1Q_E_NS1_11comp_targetILNS1_3genE8ELNS1_11target_archE1030ELNS1_3gpuE2ELNS1_3repE0EEENS1_30default_config_static_selectorELNS0_4arch9wavefront6targetE0EEEvS13_ ; -- Begin function _ZN7rocprim17ROCPRIM_400000_NS6detail17trampoline_kernelINS0_13select_configILj256ELj13ELNS0_17block_load_methodE3ELS4_3ELS4_3ELNS0_20block_scan_algorithmE0ELj4294967295EEENS1_25partition_config_selectorILNS1_17partition_subalgoE4EjNS0_10empty_typeEbEEZZNS1_14partition_implILS8_4ELb0ES6_15HIP_vector_typeIjLj2EENS0_17counting_iteratorIjlEEPS9_SG_NS0_5tupleIJPjSI_NS0_16reverse_iteratorISI_EEEEENSH_IJSG_SG_SG_EEES9_SI_JZNS1_25segmented_radix_sort_implINS0_14default_configELb1EPK12hip_bfloat16PSP_PKlPlN2at6native12_GLOBAL__N_18offset_tEEE10hipError_tPvRmT1_PNSt15iterator_traitsIS13_E10value_typeET2_T3_PNS14_IS19_E10value_typeET4_jRbjT5_S1F_jjP12ihipStream_tbEUljE_ZNSN_ISO_Lb1ESR_SS_SU_SV_SZ_EES10_S11_S12_S13_S17_S18_S19_S1C_S1D_jS1E_jS1F_S1F_jjS1H_bEUljE0_EEES10_S11_S12_S19_S1D_S1F_T6_T7_T9_mT8_S1H_bDpT10_ENKUlT_T0_E_clISt17integral_constantIbLb1EES1U_IbLb0EEEEDaS1Q_S1R_EUlS1Q_E_NS1_11comp_targetILNS1_3genE8ELNS1_11target_archE1030ELNS1_3gpuE2ELNS1_3repE0EEENS1_30default_config_static_selectorELNS0_4arch9wavefront6targetE0EEEvS13_
	.p2align	8
	.type	_ZN7rocprim17ROCPRIM_400000_NS6detail17trampoline_kernelINS0_13select_configILj256ELj13ELNS0_17block_load_methodE3ELS4_3ELS4_3ELNS0_20block_scan_algorithmE0ELj4294967295EEENS1_25partition_config_selectorILNS1_17partition_subalgoE4EjNS0_10empty_typeEbEEZZNS1_14partition_implILS8_4ELb0ES6_15HIP_vector_typeIjLj2EENS0_17counting_iteratorIjlEEPS9_SG_NS0_5tupleIJPjSI_NS0_16reverse_iteratorISI_EEEEENSH_IJSG_SG_SG_EEES9_SI_JZNS1_25segmented_radix_sort_implINS0_14default_configELb1EPK12hip_bfloat16PSP_PKlPlN2at6native12_GLOBAL__N_18offset_tEEE10hipError_tPvRmT1_PNSt15iterator_traitsIS13_E10value_typeET2_T3_PNS14_IS19_E10value_typeET4_jRbjT5_S1F_jjP12ihipStream_tbEUljE_ZNSN_ISO_Lb1ESR_SS_SU_SV_SZ_EES10_S11_S12_S13_S17_S18_S19_S1C_S1D_jS1E_jS1F_S1F_jjS1H_bEUljE0_EEES10_S11_S12_S19_S1D_S1F_T6_T7_T9_mT8_S1H_bDpT10_ENKUlT_T0_E_clISt17integral_constantIbLb1EES1U_IbLb0EEEEDaS1Q_S1R_EUlS1Q_E_NS1_11comp_targetILNS1_3genE8ELNS1_11target_archE1030ELNS1_3gpuE2ELNS1_3repE0EEENS1_30default_config_static_selectorELNS0_4arch9wavefront6targetE0EEEvS13_,@function
_ZN7rocprim17ROCPRIM_400000_NS6detail17trampoline_kernelINS0_13select_configILj256ELj13ELNS0_17block_load_methodE3ELS4_3ELS4_3ELNS0_20block_scan_algorithmE0ELj4294967295EEENS1_25partition_config_selectorILNS1_17partition_subalgoE4EjNS0_10empty_typeEbEEZZNS1_14partition_implILS8_4ELb0ES6_15HIP_vector_typeIjLj2EENS0_17counting_iteratorIjlEEPS9_SG_NS0_5tupleIJPjSI_NS0_16reverse_iteratorISI_EEEEENSH_IJSG_SG_SG_EEES9_SI_JZNS1_25segmented_radix_sort_implINS0_14default_configELb1EPK12hip_bfloat16PSP_PKlPlN2at6native12_GLOBAL__N_18offset_tEEE10hipError_tPvRmT1_PNSt15iterator_traitsIS13_E10value_typeET2_T3_PNS14_IS19_E10value_typeET4_jRbjT5_S1F_jjP12ihipStream_tbEUljE_ZNSN_ISO_Lb1ESR_SS_SU_SV_SZ_EES10_S11_S12_S13_S17_S18_S19_S1C_S1D_jS1E_jS1F_S1F_jjS1H_bEUljE0_EEES10_S11_S12_S19_S1D_S1F_T6_T7_T9_mT8_S1H_bDpT10_ENKUlT_T0_E_clISt17integral_constantIbLb1EES1U_IbLb0EEEEDaS1Q_S1R_EUlS1Q_E_NS1_11comp_targetILNS1_3genE8ELNS1_11target_archE1030ELNS1_3gpuE2ELNS1_3repE0EEENS1_30default_config_static_selectorELNS0_4arch9wavefront6targetE0EEEvS13_: ; @_ZN7rocprim17ROCPRIM_400000_NS6detail17trampoline_kernelINS0_13select_configILj256ELj13ELNS0_17block_load_methodE3ELS4_3ELS4_3ELNS0_20block_scan_algorithmE0ELj4294967295EEENS1_25partition_config_selectorILNS1_17partition_subalgoE4EjNS0_10empty_typeEbEEZZNS1_14partition_implILS8_4ELb0ES6_15HIP_vector_typeIjLj2EENS0_17counting_iteratorIjlEEPS9_SG_NS0_5tupleIJPjSI_NS0_16reverse_iteratorISI_EEEEENSH_IJSG_SG_SG_EEES9_SI_JZNS1_25segmented_radix_sort_implINS0_14default_configELb1EPK12hip_bfloat16PSP_PKlPlN2at6native12_GLOBAL__N_18offset_tEEE10hipError_tPvRmT1_PNSt15iterator_traitsIS13_E10value_typeET2_T3_PNS14_IS19_E10value_typeET4_jRbjT5_S1F_jjP12ihipStream_tbEUljE_ZNSN_ISO_Lb1ESR_SS_SU_SV_SZ_EES10_S11_S12_S13_S17_S18_S19_S1C_S1D_jS1E_jS1F_S1F_jjS1H_bEUljE0_EEES10_S11_S12_S19_S1D_S1F_T6_T7_T9_mT8_S1H_bDpT10_ENKUlT_T0_E_clISt17integral_constantIbLb1EES1U_IbLb0EEEEDaS1Q_S1R_EUlS1Q_E_NS1_11comp_targetILNS1_3genE8ELNS1_11target_archE1030ELNS1_3gpuE2ELNS1_3repE0EEENS1_30default_config_static_selectorELNS0_4arch9wavefront6targetE0EEEvS13_
; %bb.0:
	.section	.rodata,"a",@progbits
	.p2align	6, 0x0
	.amdhsa_kernel _ZN7rocprim17ROCPRIM_400000_NS6detail17trampoline_kernelINS0_13select_configILj256ELj13ELNS0_17block_load_methodE3ELS4_3ELS4_3ELNS0_20block_scan_algorithmE0ELj4294967295EEENS1_25partition_config_selectorILNS1_17partition_subalgoE4EjNS0_10empty_typeEbEEZZNS1_14partition_implILS8_4ELb0ES6_15HIP_vector_typeIjLj2EENS0_17counting_iteratorIjlEEPS9_SG_NS0_5tupleIJPjSI_NS0_16reverse_iteratorISI_EEEEENSH_IJSG_SG_SG_EEES9_SI_JZNS1_25segmented_radix_sort_implINS0_14default_configELb1EPK12hip_bfloat16PSP_PKlPlN2at6native12_GLOBAL__N_18offset_tEEE10hipError_tPvRmT1_PNSt15iterator_traitsIS13_E10value_typeET2_T3_PNS14_IS19_E10value_typeET4_jRbjT5_S1F_jjP12ihipStream_tbEUljE_ZNSN_ISO_Lb1ESR_SS_SU_SV_SZ_EES10_S11_S12_S13_S17_S18_S19_S1C_S1D_jS1E_jS1F_S1F_jjS1H_bEUljE0_EEES10_S11_S12_S19_S1D_S1F_T6_T7_T9_mT8_S1H_bDpT10_ENKUlT_T0_E_clISt17integral_constantIbLb1EES1U_IbLb0EEEEDaS1Q_S1R_EUlS1Q_E_NS1_11comp_targetILNS1_3genE8ELNS1_11target_archE1030ELNS1_3gpuE2ELNS1_3repE0EEENS1_30default_config_static_selectorELNS0_4arch9wavefront6targetE0EEEvS13_
		.amdhsa_group_segment_fixed_size 0
		.amdhsa_private_segment_fixed_size 0
		.amdhsa_kernarg_size 176
		.amdhsa_user_sgpr_count 2
		.amdhsa_user_sgpr_dispatch_ptr 0
		.amdhsa_user_sgpr_queue_ptr 0
		.amdhsa_user_sgpr_kernarg_segment_ptr 1
		.amdhsa_user_sgpr_dispatch_id 0
		.amdhsa_user_sgpr_kernarg_preload_length 0
		.amdhsa_user_sgpr_kernarg_preload_offset 0
		.amdhsa_user_sgpr_private_segment_size 0
		.amdhsa_wavefront_size32 1
		.amdhsa_uses_dynamic_stack 0
		.amdhsa_enable_private_segment 0
		.amdhsa_system_sgpr_workgroup_id_x 1
		.amdhsa_system_sgpr_workgroup_id_y 0
		.amdhsa_system_sgpr_workgroup_id_z 0
		.amdhsa_system_sgpr_workgroup_info 0
		.amdhsa_system_vgpr_workitem_id 0
		.amdhsa_next_free_vgpr 1
		.amdhsa_next_free_sgpr 1
		.amdhsa_named_barrier_count 0
		.amdhsa_reserve_vcc 0
		.amdhsa_float_round_mode_32 0
		.amdhsa_float_round_mode_16_64 0
		.amdhsa_float_denorm_mode_32 3
		.amdhsa_float_denorm_mode_16_64 3
		.amdhsa_fp16_overflow 0
		.amdhsa_memory_ordered 1
		.amdhsa_forward_progress 1
		.amdhsa_inst_pref_size 0
		.amdhsa_round_robin_scheduling 0
		.amdhsa_exception_fp_ieee_invalid_op 0
		.amdhsa_exception_fp_denorm_src 0
		.amdhsa_exception_fp_ieee_div_zero 0
		.amdhsa_exception_fp_ieee_overflow 0
		.amdhsa_exception_fp_ieee_underflow 0
		.amdhsa_exception_fp_ieee_inexact 0
		.amdhsa_exception_int_div_zero 0
	.end_amdhsa_kernel
	.section	.text._ZN7rocprim17ROCPRIM_400000_NS6detail17trampoline_kernelINS0_13select_configILj256ELj13ELNS0_17block_load_methodE3ELS4_3ELS4_3ELNS0_20block_scan_algorithmE0ELj4294967295EEENS1_25partition_config_selectorILNS1_17partition_subalgoE4EjNS0_10empty_typeEbEEZZNS1_14partition_implILS8_4ELb0ES6_15HIP_vector_typeIjLj2EENS0_17counting_iteratorIjlEEPS9_SG_NS0_5tupleIJPjSI_NS0_16reverse_iteratorISI_EEEEENSH_IJSG_SG_SG_EEES9_SI_JZNS1_25segmented_radix_sort_implINS0_14default_configELb1EPK12hip_bfloat16PSP_PKlPlN2at6native12_GLOBAL__N_18offset_tEEE10hipError_tPvRmT1_PNSt15iterator_traitsIS13_E10value_typeET2_T3_PNS14_IS19_E10value_typeET4_jRbjT5_S1F_jjP12ihipStream_tbEUljE_ZNSN_ISO_Lb1ESR_SS_SU_SV_SZ_EES10_S11_S12_S13_S17_S18_S19_S1C_S1D_jS1E_jS1F_S1F_jjS1H_bEUljE0_EEES10_S11_S12_S19_S1D_S1F_T6_T7_T9_mT8_S1H_bDpT10_ENKUlT_T0_E_clISt17integral_constantIbLb1EES1U_IbLb0EEEEDaS1Q_S1R_EUlS1Q_E_NS1_11comp_targetILNS1_3genE8ELNS1_11target_archE1030ELNS1_3gpuE2ELNS1_3repE0EEENS1_30default_config_static_selectorELNS0_4arch9wavefront6targetE0EEEvS13_,"axG",@progbits,_ZN7rocprim17ROCPRIM_400000_NS6detail17trampoline_kernelINS0_13select_configILj256ELj13ELNS0_17block_load_methodE3ELS4_3ELS4_3ELNS0_20block_scan_algorithmE0ELj4294967295EEENS1_25partition_config_selectorILNS1_17partition_subalgoE4EjNS0_10empty_typeEbEEZZNS1_14partition_implILS8_4ELb0ES6_15HIP_vector_typeIjLj2EENS0_17counting_iteratorIjlEEPS9_SG_NS0_5tupleIJPjSI_NS0_16reverse_iteratorISI_EEEEENSH_IJSG_SG_SG_EEES9_SI_JZNS1_25segmented_radix_sort_implINS0_14default_configELb1EPK12hip_bfloat16PSP_PKlPlN2at6native12_GLOBAL__N_18offset_tEEE10hipError_tPvRmT1_PNSt15iterator_traitsIS13_E10value_typeET2_T3_PNS14_IS19_E10value_typeET4_jRbjT5_S1F_jjP12ihipStream_tbEUljE_ZNSN_ISO_Lb1ESR_SS_SU_SV_SZ_EES10_S11_S12_S13_S17_S18_S19_S1C_S1D_jS1E_jS1F_S1F_jjS1H_bEUljE0_EEES10_S11_S12_S19_S1D_S1F_T6_T7_T9_mT8_S1H_bDpT10_ENKUlT_T0_E_clISt17integral_constantIbLb1EES1U_IbLb0EEEEDaS1Q_S1R_EUlS1Q_E_NS1_11comp_targetILNS1_3genE8ELNS1_11target_archE1030ELNS1_3gpuE2ELNS1_3repE0EEENS1_30default_config_static_selectorELNS0_4arch9wavefront6targetE0EEEvS13_,comdat
.Lfunc_end1895:
	.size	_ZN7rocprim17ROCPRIM_400000_NS6detail17trampoline_kernelINS0_13select_configILj256ELj13ELNS0_17block_load_methodE3ELS4_3ELS4_3ELNS0_20block_scan_algorithmE0ELj4294967295EEENS1_25partition_config_selectorILNS1_17partition_subalgoE4EjNS0_10empty_typeEbEEZZNS1_14partition_implILS8_4ELb0ES6_15HIP_vector_typeIjLj2EENS0_17counting_iteratorIjlEEPS9_SG_NS0_5tupleIJPjSI_NS0_16reverse_iteratorISI_EEEEENSH_IJSG_SG_SG_EEES9_SI_JZNS1_25segmented_radix_sort_implINS0_14default_configELb1EPK12hip_bfloat16PSP_PKlPlN2at6native12_GLOBAL__N_18offset_tEEE10hipError_tPvRmT1_PNSt15iterator_traitsIS13_E10value_typeET2_T3_PNS14_IS19_E10value_typeET4_jRbjT5_S1F_jjP12ihipStream_tbEUljE_ZNSN_ISO_Lb1ESR_SS_SU_SV_SZ_EES10_S11_S12_S13_S17_S18_S19_S1C_S1D_jS1E_jS1F_S1F_jjS1H_bEUljE0_EEES10_S11_S12_S19_S1D_S1F_T6_T7_T9_mT8_S1H_bDpT10_ENKUlT_T0_E_clISt17integral_constantIbLb1EES1U_IbLb0EEEEDaS1Q_S1R_EUlS1Q_E_NS1_11comp_targetILNS1_3genE8ELNS1_11target_archE1030ELNS1_3gpuE2ELNS1_3repE0EEENS1_30default_config_static_selectorELNS0_4arch9wavefront6targetE0EEEvS13_, .Lfunc_end1895-_ZN7rocprim17ROCPRIM_400000_NS6detail17trampoline_kernelINS0_13select_configILj256ELj13ELNS0_17block_load_methodE3ELS4_3ELS4_3ELNS0_20block_scan_algorithmE0ELj4294967295EEENS1_25partition_config_selectorILNS1_17partition_subalgoE4EjNS0_10empty_typeEbEEZZNS1_14partition_implILS8_4ELb0ES6_15HIP_vector_typeIjLj2EENS0_17counting_iteratorIjlEEPS9_SG_NS0_5tupleIJPjSI_NS0_16reverse_iteratorISI_EEEEENSH_IJSG_SG_SG_EEES9_SI_JZNS1_25segmented_radix_sort_implINS0_14default_configELb1EPK12hip_bfloat16PSP_PKlPlN2at6native12_GLOBAL__N_18offset_tEEE10hipError_tPvRmT1_PNSt15iterator_traitsIS13_E10value_typeET2_T3_PNS14_IS19_E10value_typeET4_jRbjT5_S1F_jjP12ihipStream_tbEUljE_ZNSN_ISO_Lb1ESR_SS_SU_SV_SZ_EES10_S11_S12_S13_S17_S18_S19_S1C_S1D_jS1E_jS1F_S1F_jjS1H_bEUljE0_EEES10_S11_S12_S19_S1D_S1F_T6_T7_T9_mT8_S1H_bDpT10_ENKUlT_T0_E_clISt17integral_constantIbLb1EES1U_IbLb0EEEEDaS1Q_S1R_EUlS1Q_E_NS1_11comp_targetILNS1_3genE8ELNS1_11target_archE1030ELNS1_3gpuE2ELNS1_3repE0EEENS1_30default_config_static_selectorELNS0_4arch9wavefront6targetE0EEEvS13_
                                        ; -- End function
	.set _ZN7rocprim17ROCPRIM_400000_NS6detail17trampoline_kernelINS0_13select_configILj256ELj13ELNS0_17block_load_methodE3ELS4_3ELS4_3ELNS0_20block_scan_algorithmE0ELj4294967295EEENS1_25partition_config_selectorILNS1_17partition_subalgoE4EjNS0_10empty_typeEbEEZZNS1_14partition_implILS8_4ELb0ES6_15HIP_vector_typeIjLj2EENS0_17counting_iteratorIjlEEPS9_SG_NS0_5tupleIJPjSI_NS0_16reverse_iteratorISI_EEEEENSH_IJSG_SG_SG_EEES9_SI_JZNS1_25segmented_radix_sort_implINS0_14default_configELb1EPK12hip_bfloat16PSP_PKlPlN2at6native12_GLOBAL__N_18offset_tEEE10hipError_tPvRmT1_PNSt15iterator_traitsIS13_E10value_typeET2_T3_PNS14_IS19_E10value_typeET4_jRbjT5_S1F_jjP12ihipStream_tbEUljE_ZNSN_ISO_Lb1ESR_SS_SU_SV_SZ_EES10_S11_S12_S13_S17_S18_S19_S1C_S1D_jS1E_jS1F_S1F_jjS1H_bEUljE0_EEES10_S11_S12_S19_S1D_S1F_T6_T7_T9_mT8_S1H_bDpT10_ENKUlT_T0_E_clISt17integral_constantIbLb1EES1U_IbLb0EEEEDaS1Q_S1R_EUlS1Q_E_NS1_11comp_targetILNS1_3genE8ELNS1_11target_archE1030ELNS1_3gpuE2ELNS1_3repE0EEENS1_30default_config_static_selectorELNS0_4arch9wavefront6targetE0EEEvS13_.num_vgpr, 0
	.set _ZN7rocprim17ROCPRIM_400000_NS6detail17trampoline_kernelINS0_13select_configILj256ELj13ELNS0_17block_load_methodE3ELS4_3ELS4_3ELNS0_20block_scan_algorithmE0ELj4294967295EEENS1_25partition_config_selectorILNS1_17partition_subalgoE4EjNS0_10empty_typeEbEEZZNS1_14partition_implILS8_4ELb0ES6_15HIP_vector_typeIjLj2EENS0_17counting_iteratorIjlEEPS9_SG_NS0_5tupleIJPjSI_NS0_16reverse_iteratorISI_EEEEENSH_IJSG_SG_SG_EEES9_SI_JZNS1_25segmented_radix_sort_implINS0_14default_configELb1EPK12hip_bfloat16PSP_PKlPlN2at6native12_GLOBAL__N_18offset_tEEE10hipError_tPvRmT1_PNSt15iterator_traitsIS13_E10value_typeET2_T3_PNS14_IS19_E10value_typeET4_jRbjT5_S1F_jjP12ihipStream_tbEUljE_ZNSN_ISO_Lb1ESR_SS_SU_SV_SZ_EES10_S11_S12_S13_S17_S18_S19_S1C_S1D_jS1E_jS1F_S1F_jjS1H_bEUljE0_EEES10_S11_S12_S19_S1D_S1F_T6_T7_T9_mT8_S1H_bDpT10_ENKUlT_T0_E_clISt17integral_constantIbLb1EES1U_IbLb0EEEEDaS1Q_S1R_EUlS1Q_E_NS1_11comp_targetILNS1_3genE8ELNS1_11target_archE1030ELNS1_3gpuE2ELNS1_3repE0EEENS1_30default_config_static_selectorELNS0_4arch9wavefront6targetE0EEEvS13_.num_agpr, 0
	.set _ZN7rocprim17ROCPRIM_400000_NS6detail17trampoline_kernelINS0_13select_configILj256ELj13ELNS0_17block_load_methodE3ELS4_3ELS4_3ELNS0_20block_scan_algorithmE0ELj4294967295EEENS1_25partition_config_selectorILNS1_17partition_subalgoE4EjNS0_10empty_typeEbEEZZNS1_14partition_implILS8_4ELb0ES6_15HIP_vector_typeIjLj2EENS0_17counting_iteratorIjlEEPS9_SG_NS0_5tupleIJPjSI_NS0_16reverse_iteratorISI_EEEEENSH_IJSG_SG_SG_EEES9_SI_JZNS1_25segmented_radix_sort_implINS0_14default_configELb1EPK12hip_bfloat16PSP_PKlPlN2at6native12_GLOBAL__N_18offset_tEEE10hipError_tPvRmT1_PNSt15iterator_traitsIS13_E10value_typeET2_T3_PNS14_IS19_E10value_typeET4_jRbjT5_S1F_jjP12ihipStream_tbEUljE_ZNSN_ISO_Lb1ESR_SS_SU_SV_SZ_EES10_S11_S12_S13_S17_S18_S19_S1C_S1D_jS1E_jS1F_S1F_jjS1H_bEUljE0_EEES10_S11_S12_S19_S1D_S1F_T6_T7_T9_mT8_S1H_bDpT10_ENKUlT_T0_E_clISt17integral_constantIbLb1EES1U_IbLb0EEEEDaS1Q_S1R_EUlS1Q_E_NS1_11comp_targetILNS1_3genE8ELNS1_11target_archE1030ELNS1_3gpuE2ELNS1_3repE0EEENS1_30default_config_static_selectorELNS0_4arch9wavefront6targetE0EEEvS13_.numbered_sgpr, 0
	.set _ZN7rocprim17ROCPRIM_400000_NS6detail17trampoline_kernelINS0_13select_configILj256ELj13ELNS0_17block_load_methodE3ELS4_3ELS4_3ELNS0_20block_scan_algorithmE0ELj4294967295EEENS1_25partition_config_selectorILNS1_17partition_subalgoE4EjNS0_10empty_typeEbEEZZNS1_14partition_implILS8_4ELb0ES6_15HIP_vector_typeIjLj2EENS0_17counting_iteratorIjlEEPS9_SG_NS0_5tupleIJPjSI_NS0_16reverse_iteratorISI_EEEEENSH_IJSG_SG_SG_EEES9_SI_JZNS1_25segmented_radix_sort_implINS0_14default_configELb1EPK12hip_bfloat16PSP_PKlPlN2at6native12_GLOBAL__N_18offset_tEEE10hipError_tPvRmT1_PNSt15iterator_traitsIS13_E10value_typeET2_T3_PNS14_IS19_E10value_typeET4_jRbjT5_S1F_jjP12ihipStream_tbEUljE_ZNSN_ISO_Lb1ESR_SS_SU_SV_SZ_EES10_S11_S12_S13_S17_S18_S19_S1C_S1D_jS1E_jS1F_S1F_jjS1H_bEUljE0_EEES10_S11_S12_S19_S1D_S1F_T6_T7_T9_mT8_S1H_bDpT10_ENKUlT_T0_E_clISt17integral_constantIbLb1EES1U_IbLb0EEEEDaS1Q_S1R_EUlS1Q_E_NS1_11comp_targetILNS1_3genE8ELNS1_11target_archE1030ELNS1_3gpuE2ELNS1_3repE0EEENS1_30default_config_static_selectorELNS0_4arch9wavefront6targetE0EEEvS13_.num_named_barrier, 0
	.set _ZN7rocprim17ROCPRIM_400000_NS6detail17trampoline_kernelINS0_13select_configILj256ELj13ELNS0_17block_load_methodE3ELS4_3ELS4_3ELNS0_20block_scan_algorithmE0ELj4294967295EEENS1_25partition_config_selectorILNS1_17partition_subalgoE4EjNS0_10empty_typeEbEEZZNS1_14partition_implILS8_4ELb0ES6_15HIP_vector_typeIjLj2EENS0_17counting_iteratorIjlEEPS9_SG_NS0_5tupleIJPjSI_NS0_16reverse_iteratorISI_EEEEENSH_IJSG_SG_SG_EEES9_SI_JZNS1_25segmented_radix_sort_implINS0_14default_configELb1EPK12hip_bfloat16PSP_PKlPlN2at6native12_GLOBAL__N_18offset_tEEE10hipError_tPvRmT1_PNSt15iterator_traitsIS13_E10value_typeET2_T3_PNS14_IS19_E10value_typeET4_jRbjT5_S1F_jjP12ihipStream_tbEUljE_ZNSN_ISO_Lb1ESR_SS_SU_SV_SZ_EES10_S11_S12_S13_S17_S18_S19_S1C_S1D_jS1E_jS1F_S1F_jjS1H_bEUljE0_EEES10_S11_S12_S19_S1D_S1F_T6_T7_T9_mT8_S1H_bDpT10_ENKUlT_T0_E_clISt17integral_constantIbLb1EES1U_IbLb0EEEEDaS1Q_S1R_EUlS1Q_E_NS1_11comp_targetILNS1_3genE8ELNS1_11target_archE1030ELNS1_3gpuE2ELNS1_3repE0EEENS1_30default_config_static_selectorELNS0_4arch9wavefront6targetE0EEEvS13_.private_seg_size, 0
	.set _ZN7rocprim17ROCPRIM_400000_NS6detail17trampoline_kernelINS0_13select_configILj256ELj13ELNS0_17block_load_methodE3ELS4_3ELS4_3ELNS0_20block_scan_algorithmE0ELj4294967295EEENS1_25partition_config_selectorILNS1_17partition_subalgoE4EjNS0_10empty_typeEbEEZZNS1_14partition_implILS8_4ELb0ES6_15HIP_vector_typeIjLj2EENS0_17counting_iteratorIjlEEPS9_SG_NS0_5tupleIJPjSI_NS0_16reverse_iteratorISI_EEEEENSH_IJSG_SG_SG_EEES9_SI_JZNS1_25segmented_radix_sort_implINS0_14default_configELb1EPK12hip_bfloat16PSP_PKlPlN2at6native12_GLOBAL__N_18offset_tEEE10hipError_tPvRmT1_PNSt15iterator_traitsIS13_E10value_typeET2_T3_PNS14_IS19_E10value_typeET4_jRbjT5_S1F_jjP12ihipStream_tbEUljE_ZNSN_ISO_Lb1ESR_SS_SU_SV_SZ_EES10_S11_S12_S13_S17_S18_S19_S1C_S1D_jS1E_jS1F_S1F_jjS1H_bEUljE0_EEES10_S11_S12_S19_S1D_S1F_T6_T7_T9_mT8_S1H_bDpT10_ENKUlT_T0_E_clISt17integral_constantIbLb1EES1U_IbLb0EEEEDaS1Q_S1R_EUlS1Q_E_NS1_11comp_targetILNS1_3genE8ELNS1_11target_archE1030ELNS1_3gpuE2ELNS1_3repE0EEENS1_30default_config_static_selectorELNS0_4arch9wavefront6targetE0EEEvS13_.uses_vcc, 0
	.set _ZN7rocprim17ROCPRIM_400000_NS6detail17trampoline_kernelINS0_13select_configILj256ELj13ELNS0_17block_load_methodE3ELS4_3ELS4_3ELNS0_20block_scan_algorithmE0ELj4294967295EEENS1_25partition_config_selectorILNS1_17partition_subalgoE4EjNS0_10empty_typeEbEEZZNS1_14partition_implILS8_4ELb0ES6_15HIP_vector_typeIjLj2EENS0_17counting_iteratorIjlEEPS9_SG_NS0_5tupleIJPjSI_NS0_16reverse_iteratorISI_EEEEENSH_IJSG_SG_SG_EEES9_SI_JZNS1_25segmented_radix_sort_implINS0_14default_configELb1EPK12hip_bfloat16PSP_PKlPlN2at6native12_GLOBAL__N_18offset_tEEE10hipError_tPvRmT1_PNSt15iterator_traitsIS13_E10value_typeET2_T3_PNS14_IS19_E10value_typeET4_jRbjT5_S1F_jjP12ihipStream_tbEUljE_ZNSN_ISO_Lb1ESR_SS_SU_SV_SZ_EES10_S11_S12_S13_S17_S18_S19_S1C_S1D_jS1E_jS1F_S1F_jjS1H_bEUljE0_EEES10_S11_S12_S19_S1D_S1F_T6_T7_T9_mT8_S1H_bDpT10_ENKUlT_T0_E_clISt17integral_constantIbLb1EES1U_IbLb0EEEEDaS1Q_S1R_EUlS1Q_E_NS1_11comp_targetILNS1_3genE8ELNS1_11target_archE1030ELNS1_3gpuE2ELNS1_3repE0EEENS1_30default_config_static_selectorELNS0_4arch9wavefront6targetE0EEEvS13_.uses_flat_scratch, 0
	.set _ZN7rocprim17ROCPRIM_400000_NS6detail17trampoline_kernelINS0_13select_configILj256ELj13ELNS0_17block_load_methodE3ELS4_3ELS4_3ELNS0_20block_scan_algorithmE0ELj4294967295EEENS1_25partition_config_selectorILNS1_17partition_subalgoE4EjNS0_10empty_typeEbEEZZNS1_14partition_implILS8_4ELb0ES6_15HIP_vector_typeIjLj2EENS0_17counting_iteratorIjlEEPS9_SG_NS0_5tupleIJPjSI_NS0_16reverse_iteratorISI_EEEEENSH_IJSG_SG_SG_EEES9_SI_JZNS1_25segmented_radix_sort_implINS0_14default_configELb1EPK12hip_bfloat16PSP_PKlPlN2at6native12_GLOBAL__N_18offset_tEEE10hipError_tPvRmT1_PNSt15iterator_traitsIS13_E10value_typeET2_T3_PNS14_IS19_E10value_typeET4_jRbjT5_S1F_jjP12ihipStream_tbEUljE_ZNSN_ISO_Lb1ESR_SS_SU_SV_SZ_EES10_S11_S12_S13_S17_S18_S19_S1C_S1D_jS1E_jS1F_S1F_jjS1H_bEUljE0_EEES10_S11_S12_S19_S1D_S1F_T6_T7_T9_mT8_S1H_bDpT10_ENKUlT_T0_E_clISt17integral_constantIbLb1EES1U_IbLb0EEEEDaS1Q_S1R_EUlS1Q_E_NS1_11comp_targetILNS1_3genE8ELNS1_11target_archE1030ELNS1_3gpuE2ELNS1_3repE0EEENS1_30default_config_static_selectorELNS0_4arch9wavefront6targetE0EEEvS13_.has_dyn_sized_stack, 0
	.set _ZN7rocprim17ROCPRIM_400000_NS6detail17trampoline_kernelINS0_13select_configILj256ELj13ELNS0_17block_load_methodE3ELS4_3ELS4_3ELNS0_20block_scan_algorithmE0ELj4294967295EEENS1_25partition_config_selectorILNS1_17partition_subalgoE4EjNS0_10empty_typeEbEEZZNS1_14partition_implILS8_4ELb0ES6_15HIP_vector_typeIjLj2EENS0_17counting_iteratorIjlEEPS9_SG_NS0_5tupleIJPjSI_NS0_16reverse_iteratorISI_EEEEENSH_IJSG_SG_SG_EEES9_SI_JZNS1_25segmented_radix_sort_implINS0_14default_configELb1EPK12hip_bfloat16PSP_PKlPlN2at6native12_GLOBAL__N_18offset_tEEE10hipError_tPvRmT1_PNSt15iterator_traitsIS13_E10value_typeET2_T3_PNS14_IS19_E10value_typeET4_jRbjT5_S1F_jjP12ihipStream_tbEUljE_ZNSN_ISO_Lb1ESR_SS_SU_SV_SZ_EES10_S11_S12_S13_S17_S18_S19_S1C_S1D_jS1E_jS1F_S1F_jjS1H_bEUljE0_EEES10_S11_S12_S19_S1D_S1F_T6_T7_T9_mT8_S1H_bDpT10_ENKUlT_T0_E_clISt17integral_constantIbLb1EES1U_IbLb0EEEEDaS1Q_S1R_EUlS1Q_E_NS1_11comp_targetILNS1_3genE8ELNS1_11target_archE1030ELNS1_3gpuE2ELNS1_3repE0EEENS1_30default_config_static_selectorELNS0_4arch9wavefront6targetE0EEEvS13_.has_recursion, 0
	.set _ZN7rocprim17ROCPRIM_400000_NS6detail17trampoline_kernelINS0_13select_configILj256ELj13ELNS0_17block_load_methodE3ELS4_3ELS4_3ELNS0_20block_scan_algorithmE0ELj4294967295EEENS1_25partition_config_selectorILNS1_17partition_subalgoE4EjNS0_10empty_typeEbEEZZNS1_14partition_implILS8_4ELb0ES6_15HIP_vector_typeIjLj2EENS0_17counting_iteratorIjlEEPS9_SG_NS0_5tupleIJPjSI_NS0_16reverse_iteratorISI_EEEEENSH_IJSG_SG_SG_EEES9_SI_JZNS1_25segmented_radix_sort_implINS0_14default_configELb1EPK12hip_bfloat16PSP_PKlPlN2at6native12_GLOBAL__N_18offset_tEEE10hipError_tPvRmT1_PNSt15iterator_traitsIS13_E10value_typeET2_T3_PNS14_IS19_E10value_typeET4_jRbjT5_S1F_jjP12ihipStream_tbEUljE_ZNSN_ISO_Lb1ESR_SS_SU_SV_SZ_EES10_S11_S12_S13_S17_S18_S19_S1C_S1D_jS1E_jS1F_S1F_jjS1H_bEUljE0_EEES10_S11_S12_S19_S1D_S1F_T6_T7_T9_mT8_S1H_bDpT10_ENKUlT_T0_E_clISt17integral_constantIbLb1EES1U_IbLb0EEEEDaS1Q_S1R_EUlS1Q_E_NS1_11comp_targetILNS1_3genE8ELNS1_11target_archE1030ELNS1_3gpuE2ELNS1_3repE0EEENS1_30default_config_static_selectorELNS0_4arch9wavefront6targetE0EEEvS13_.has_indirect_call, 0
	.section	.AMDGPU.csdata,"",@progbits
; Kernel info:
; codeLenInByte = 0
; TotalNumSgprs: 0
; NumVgprs: 0
; ScratchSize: 0
; MemoryBound: 0
; FloatMode: 240
; IeeeMode: 1
; LDSByteSize: 0 bytes/workgroup (compile time only)
; SGPRBlocks: 0
; VGPRBlocks: 0
; NumSGPRsForWavesPerEU: 1
; NumVGPRsForWavesPerEU: 1
; NamedBarCnt: 0
; Occupancy: 16
; WaveLimiterHint : 0
; COMPUTE_PGM_RSRC2:SCRATCH_EN: 0
; COMPUTE_PGM_RSRC2:USER_SGPR: 2
; COMPUTE_PGM_RSRC2:TRAP_HANDLER: 0
; COMPUTE_PGM_RSRC2:TGID_X_EN: 1
; COMPUTE_PGM_RSRC2:TGID_Y_EN: 0
; COMPUTE_PGM_RSRC2:TGID_Z_EN: 0
; COMPUTE_PGM_RSRC2:TIDIG_COMP_CNT: 0
	.section	.text._ZN7rocprim17ROCPRIM_400000_NS6detail17trampoline_kernelINS0_13select_configILj256ELj13ELNS0_17block_load_methodE3ELS4_3ELS4_3ELNS0_20block_scan_algorithmE0ELj4294967295EEENS1_25partition_config_selectorILNS1_17partition_subalgoE4EjNS0_10empty_typeEbEEZZNS1_14partition_implILS8_4ELb0ES6_15HIP_vector_typeIjLj2EENS0_17counting_iteratorIjlEEPS9_SG_NS0_5tupleIJPjSI_NS0_16reverse_iteratorISI_EEEEENSH_IJSG_SG_SG_EEES9_SI_JZNS1_25segmented_radix_sort_implINS0_14default_configELb1EPK12hip_bfloat16PSP_PKlPlN2at6native12_GLOBAL__N_18offset_tEEE10hipError_tPvRmT1_PNSt15iterator_traitsIS13_E10value_typeET2_T3_PNS14_IS19_E10value_typeET4_jRbjT5_S1F_jjP12ihipStream_tbEUljE_ZNSN_ISO_Lb1ESR_SS_SU_SV_SZ_EES10_S11_S12_S13_S17_S18_S19_S1C_S1D_jS1E_jS1F_S1F_jjS1H_bEUljE0_EEES10_S11_S12_S19_S1D_S1F_T6_T7_T9_mT8_S1H_bDpT10_ENKUlT_T0_E_clISt17integral_constantIbLb0EES1U_IbLb1EEEEDaS1Q_S1R_EUlS1Q_E_NS1_11comp_targetILNS1_3genE0ELNS1_11target_archE4294967295ELNS1_3gpuE0ELNS1_3repE0EEENS1_30default_config_static_selectorELNS0_4arch9wavefront6targetE0EEEvS13_,"axG",@progbits,_ZN7rocprim17ROCPRIM_400000_NS6detail17trampoline_kernelINS0_13select_configILj256ELj13ELNS0_17block_load_methodE3ELS4_3ELS4_3ELNS0_20block_scan_algorithmE0ELj4294967295EEENS1_25partition_config_selectorILNS1_17partition_subalgoE4EjNS0_10empty_typeEbEEZZNS1_14partition_implILS8_4ELb0ES6_15HIP_vector_typeIjLj2EENS0_17counting_iteratorIjlEEPS9_SG_NS0_5tupleIJPjSI_NS0_16reverse_iteratorISI_EEEEENSH_IJSG_SG_SG_EEES9_SI_JZNS1_25segmented_radix_sort_implINS0_14default_configELb1EPK12hip_bfloat16PSP_PKlPlN2at6native12_GLOBAL__N_18offset_tEEE10hipError_tPvRmT1_PNSt15iterator_traitsIS13_E10value_typeET2_T3_PNS14_IS19_E10value_typeET4_jRbjT5_S1F_jjP12ihipStream_tbEUljE_ZNSN_ISO_Lb1ESR_SS_SU_SV_SZ_EES10_S11_S12_S13_S17_S18_S19_S1C_S1D_jS1E_jS1F_S1F_jjS1H_bEUljE0_EEES10_S11_S12_S19_S1D_S1F_T6_T7_T9_mT8_S1H_bDpT10_ENKUlT_T0_E_clISt17integral_constantIbLb0EES1U_IbLb1EEEEDaS1Q_S1R_EUlS1Q_E_NS1_11comp_targetILNS1_3genE0ELNS1_11target_archE4294967295ELNS1_3gpuE0ELNS1_3repE0EEENS1_30default_config_static_selectorELNS0_4arch9wavefront6targetE0EEEvS13_,comdat
	.globl	_ZN7rocprim17ROCPRIM_400000_NS6detail17trampoline_kernelINS0_13select_configILj256ELj13ELNS0_17block_load_methodE3ELS4_3ELS4_3ELNS0_20block_scan_algorithmE0ELj4294967295EEENS1_25partition_config_selectorILNS1_17partition_subalgoE4EjNS0_10empty_typeEbEEZZNS1_14partition_implILS8_4ELb0ES6_15HIP_vector_typeIjLj2EENS0_17counting_iteratorIjlEEPS9_SG_NS0_5tupleIJPjSI_NS0_16reverse_iteratorISI_EEEEENSH_IJSG_SG_SG_EEES9_SI_JZNS1_25segmented_radix_sort_implINS0_14default_configELb1EPK12hip_bfloat16PSP_PKlPlN2at6native12_GLOBAL__N_18offset_tEEE10hipError_tPvRmT1_PNSt15iterator_traitsIS13_E10value_typeET2_T3_PNS14_IS19_E10value_typeET4_jRbjT5_S1F_jjP12ihipStream_tbEUljE_ZNSN_ISO_Lb1ESR_SS_SU_SV_SZ_EES10_S11_S12_S13_S17_S18_S19_S1C_S1D_jS1E_jS1F_S1F_jjS1H_bEUljE0_EEES10_S11_S12_S19_S1D_S1F_T6_T7_T9_mT8_S1H_bDpT10_ENKUlT_T0_E_clISt17integral_constantIbLb0EES1U_IbLb1EEEEDaS1Q_S1R_EUlS1Q_E_NS1_11comp_targetILNS1_3genE0ELNS1_11target_archE4294967295ELNS1_3gpuE0ELNS1_3repE0EEENS1_30default_config_static_selectorELNS0_4arch9wavefront6targetE0EEEvS13_ ; -- Begin function _ZN7rocprim17ROCPRIM_400000_NS6detail17trampoline_kernelINS0_13select_configILj256ELj13ELNS0_17block_load_methodE3ELS4_3ELS4_3ELNS0_20block_scan_algorithmE0ELj4294967295EEENS1_25partition_config_selectorILNS1_17partition_subalgoE4EjNS0_10empty_typeEbEEZZNS1_14partition_implILS8_4ELb0ES6_15HIP_vector_typeIjLj2EENS0_17counting_iteratorIjlEEPS9_SG_NS0_5tupleIJPjSI_NS0_16reverse_iteratorISI_EEEEENSH_IJSG_SG_SG_EEES9_SI_JZNS1_25segmented_radix_sort_implINS0_14default_configELb1EPK12hip_bfloat16PSP_PKlPlN2at6native12_GLOBAL__N_18offset_tEEE10hipError_tPvRmT1_PNSt15iterator_traitsIS13_E10value_typeET2_T3_PNS14_IS19_E10value_typeET4_jRbjT5_S1F_jjP12ihipStream_tbEUljE_ZNSN_ISO_Lb1ESR_SS_SU_SV_SZ_EES10_S11_S12_S13_S17_S18_S19_S1C_S1D_jS1E_jS1F_S1F_jjS1H_bEUljE0_EEES10_S11_S12_S19_S1D_S1F_T6_T7_T9_mT8_S1H_bDpT10_ENKUlT_T0_E_clISt17integral_constantIbLb0EES1U_IbLb1EEEEDaS1Q_S1R_EUlS1Q_E_NS1_11comp_targetILNS1_3genE0ELNS1_11target_archE4294967295ELNS1_3gpuE0ELNS1_3repE0EEENS1_30default_config_static_selectorELNS0_4arch9wavefront6targetE0EEEvS13_
	.p2align	8
	.type	_ZN7rocprim17ROCPRIM_400000_NS6detail17trampoline_kernelINS0_13select_configILj256ELj13ELNS0_17block_load_methodE3ELS4_3ELS4_3ELNS0_20block_scan_algorithmE0ELj4294967295EEENS1_25partition_config_selectorILNS1_17partition_subalgoE4EjNS0_10empty_typeEbEEZZNS1_14partition_implILS8_4ELb0ES6_15HIP_vector_typeIjLj2EENS0_17counting_iteratorIjlEEPS9_SG_NS0_5tupleIJPjSI_NS0_16reverse_iteratorISI_EEEEENSH_IJSG_SG_SG_EEES9_SI_JZNS1_25segmented_radix_sort_implINS0_14default_configELb1EPK12hip_bfloat16PSP_PKlPlN2at6native12_GLOBAL__N_18offset_tEEE10hipError_tPvRmT1_PNSt15iterator_traitsIS13_E10value_typeET2_T3_PNS14_IS19_E10value_typeET4_jRbjT5_S1F_jjP12ihipStream_tbEUljE_ZNSN_ISO_Lb1ESR_SS_SU_SV_SZ_EES10_S11_S12_S13_S17_S18_S19_S1C_S1D_jS1E_jS1F_S1F_jjS1H_bEUljE0_EEES10_S11_S12_S19_S1D_S1F_T6_T7_T9_mT8_S1H_bDpT10_ENKUlT_T0_E_clISt17integral_constantIbLb0EES1U_IbLb1EEEEDaS1Q_S1R_EUlS1Q_E_NS1_11comp_targetILNS1_3genE0ELNS1_11target_archE4294967295ELNS1_3gpuE0ELNS1_3repE0EEENS1_30default_config_static_selectorELNS0_4arch9wavefront6targetE0EEEvS13_,@function
_ZN7rocprim17ROCPRIM_400000_NS6detail17trampoline_kernelINS0_13select_configILj256ELj13ELNS0_17block_load_methodE3ELS4_3ELS4_3ELNS0_20block_scan_algorithmE0ELj4294967295EEENS1_25partition_config_selectorILNS1_17partition_subalgoE4EjNS0_10empty_typeEbEEZZNS1_14partition_implILS8_4ELb0ES6_15HIP_vector_typeIjLj2EENS0_17counting_iteratorIjlEEPS9_SG_NS0_5tupleIJPjSI_NS0_16reverse_iteratorISI_EEEEENSH_IJSG_SG_SG_EEES9_SI_JZNS1_25segmented_radix_sort_implINS0_14default_configELb1EPK12hip_bfloat16PSP_PKlPlN2at6native12_GLOBAL__N_18offset_tEEE10hipError_tPvRmT1_PNSt15iterator_traitsIS13_E10value_typeET2_T3_PNS14_IS19_E10value_typeET4_jRbjT5_S1F_jjP12ihipStream_tbEUljE_ZNSN_ISO_Lb1ESR_SS_SU_SV_SZ_EES10_S11_S12_S13_S17_S18_S19_S1C_S1D_jS1E_jS1F_S1F_jjS1H_bEUljE0_EEES10_S11_S12_S19_S1D_S1F_T6_T7_T9_mT8_S1H_bDpT10_ENKUlT_T0_E_clISt17integral_constantIbLb0EES1U_IbLb1EEEEDaS1Q_S1R_EUlS1Q_E_NS1_11comp_targetILNS1_3genE0ELNS1_11target_archE4294967295ELNS1_3gpuE0ELNS1_3repE0EEENS1_30default_config_static_selectorELNS0_4arch9wavefront6targetE0EEEvS13_: ; @_ZN7rocprim17ROCPRIM_400000_NS6detail17trampoline_kernelINS0_13select_configILj256ELj13ELNS0_17block_load_methodE3ELS4_3ELS4_3ELNS0_20block_scan_algorithmE0ELj4294967295EEENS1_25partition_config_selectorILNS1_17partition_subalgoE4EjNS0_10empty_typeEbEEZZNS1_14partition_implILS8_4ELb0ES6_15HIP_vector_typeIjLj2EENS0_17counting_iteratorIjlEEPS9_SG_NS0_5tupleIJPjSI_NS0_16reverse_iteratorISI_EEEEENSH_IJSG_SG_SG_EEES9_SI_JZNS1_25segmented_radix_sort_implINS0_14default_configELb1EPK12hip_bfloat16PSP_PKlPlN2at6native12_GLOBAL__N_18offset_tEEE10hipError_tPvRmT1_PNSt15iterator_traitsIS13_E10value_typeET2_T3_PNS14_IS19_E10value_typeET4_jRbjT5_S1F_jjP12ihipStream_tbEUljE_ZNSN_ISO_Lb1ESR_SS_SU_SV_SZ_EES10_S11_S12_S13_S17_S18_S19_S1C_S1D_jS1E_jS1F_S1F_jjS1H_bEUljE0_EEES10_S11_S12_S19_S1D_S1F_T6_T7_T9_mT8_S1H_bDpT10_ENKUlT_T0_E_clISt17integral_constantIbLb0EES1U_IbLb1EEEEDaS1Q_S1R_EUlS1Q_E_NS1_11comp_targetILNS1_3genE0ELNS1_11target_archE4294967295ELNS1_3gpuE0ELNS1_3repE0EEENS1_30default_config_static_selectorELNS0_4arch9wavefront6targetE0EEEvS13_
; %bb.0:
	s_clause 0x7
	s_load_b64 s[34:35], s[0:1], 0x10
	s_load_b128 s[28:31], s[0:1], 0x28
	s_load_b64 s[14:15], s[0:1], 0x38
	s_load_b128 s[24:27], s[0:1], 0x58
	s_load_b64 s[4:5], s[0:1], 0x68
	s_load_b64 s[36:37], s[0:1], 0x78
	;; [unrolled: 1-line block ×3, first 2 shown]
	s_load_b256 s[16:23], s[0:1], 0x90
	v_cmp_eq_u32_e64 s2, 0, v0
	s_and_saveexec_b32 s3, s2
	s_cbranch_execz .LBB1896_4
; %bb.1:
	s_mov_b32 s7, exec_lo
	s_mov_b32 s6, exec_lo
	v_mbcnt_lo_u32_b32 v1, s7, 0
                                        ; implicit-def: $vgpr2
	s_delay_alu instid0(VALU_DEP_1)
	v_cmpx_eq_u32_e32 0, v1
	s_cbranch_execz .LBB1896_3
; %bb.2:
	s_load_b64 s[8:9], s[0:1], 0x88
	s_bcnt1_i32_b32 s7, s7
	s_delay_alu instid0(SALU_CYCLE_1)
	v_dual_mov_b32 v2, 0 :: v_dual_mov_b32 v3, s7
	s_wait_xcnt 0x0
	s_wait_kmcnt 0x0
	global_atomic_add_u32 v2, v2, v3, s[8:9] th:TH_ATOMIC_RETURN scope:SCOPE_DEV
.LBB1896_3:
	s_wait_xcnt 0x0
	s_or_b32 exec_lo, exec_lo, s6
	s_wait_loadcnt 0x0
	v_readfirstlane_b32 s6, v2
	s_delay_alu instid0(VALU_DEP_1)
	v_dual_mov_b32 v2, 0 :: v_dual_add_nc_u32 v1, s6, v1
	ds_store_b32 v2, v1
.LBB1896_4:
	s_or_b32 exec_lo, exec_lo, s3
	v_mov_b32_e32 v1, 0
	s_clause 0x1
	s_load_b32 s3, s[0:1], 0x8
	s_load_b32 s6, s[0:1], 0x80
	s_wait_dscnt 0x0
	s_barrier_signal -1
	s_barrier_wait -1
	ds_load_b32 v6, v1
	s_wait_dscnt 0x0
	s_barrier_signal -1
	s_barrier_wait -1
	s_wait_kmcnt 0x0
	global_load_b128 v[2:5], v1, s[26:27]
	s_mov_b32 s1, 0
	s_add_co_i32 s3, s3, s34
	s_mul_i32 s0, s6, 0xd00
	s_add_co_i32 s6, s6, -1
	s_add_nc_u64 s[8:9], s[34:35], s[0:1]
	s_delay_alu instid0(SALU_CYCLE_1)
	v_cmp_gt_u64_e64 s1, s[4:5], s[8:9]
	v_mul_lo_u32 v14, 0xd00, v6
	s_wait_xcnt 0x0
	v_readfirstlane_b32 s27, v6
	v_cmp_ne_u32_e32 vcc_lo, s6, v6
	s_cmp_eq_u32 s27, s6
	s_cselect_b32 s26, -1, 0
	s_or_b32 s1, s1, vcc_lo
	v_add3_u32 v1, v14, s3, v0
	s_and_b32 vcc_lo, exec_lo, s1
	s_mov_b32 s3, -1
	s_delay_alu instid0(VALU_DEP_1)
	v_add_nc_u32_e32 v6, 0x100, v1
	v_add_nc_u32_e32 v7, 0x200, v1
	;; [unrolled: 1-line block ×12, first 2 shown]
	s_cbranch_vccz .LBB1896_6
; %bb.5:
	v_lshlrev_b32_e32 v19, 2, v0
	s_mov_b32 s3, 0
	ds_store_2addr_stride64_b32 v19, v1, v6 offset1:4
	ds_store_2addr_stride64_b32 v19, v7, v8 offset0:8 offset1:12
	ds_store_2addr_stride64_b32 v19, v9, v10 offset0:16 offset1:20
	;; [unrolled: 1-line block ×5, first 2 shown]
	ds_store_b32 v19, v18 offset:12288
	s_wait_loadcnt_dscnt 0x0
	s_barrier_signal -1
	s_barrier_wait -1
.LBB1896_6:
	s_and_not1_b32 vcc_lo, exec_lo, s3
	s_add_co_i32 s0, s0, s34
	s_cbranch_vccnz .LBB1896_8
; %bb.7:
	v_lshlrev_b32_e32 v19, 2, v0
	ds_store_2addr_stride64_b32 v19, v1, v6 offset1:4
	ds_store_2addr_stride64_b32 v19, v7, v8 offset0:8 offset1:12
	ds_store_2addr_stride64_b32 v19, v9, v10 offset0:16 offset1:20
	;; [unrolled: 1-line block ×5, first 2 shown]
	ds_store_b32 v19, v18 offset:12288
	s_wait_loadcnt_dscnt 0x0
	s_barrier_signal -1
	s_barrier_wait -1
.LBB1896_8:
	v_mul_u32_u24_e32 v15, 13, v0
	s_wait_loadcnt 0x0
	v_cndmask_b32_e64 v35, 0, 1, s1
	s_sub_co_i32 s33, s4, s0
	s_and_not1_b32 vcc_lo, exec_lo, s1
	v_lshlrev_b32_e32 v1, 2, v15
	ds_load_b32 v34, v1 offset:48
	ds_load_2addr_b32 v[16:17], v1 offset0:10 offset1:11
	ds_load_2addr_b32 v[18:19], v1 offset0:8 offset1:9
	;; [unrolled: 1-line block ×4, first 2 shown]
	ds_load_2addr_b32 v[26:27], v1 offset1:1
	ds_load_2addr_b32 v[24:25], v1 offset0:2 offset1:3
	s_wait_dscnt 0x0
	s_barrier_signal -1
	s_barrier_wait -1
	s_cbranch_vccnz .LBB1896_36
; %bb.9:
	v_dual_add_nc_u32 v1, s17, v26 :: v_dual_add_nc_u32 v6, s19, v26
	s_mov_b32 s41, 0
	s_mov_b32 s40, 0
	s_mov_b32 s1, exec_lo
	s_delay_alu instid0(VALU_DEP_1) | instskip(SKIP_1) | instid1(VALU_DEP_1)
	v_mul_lo_u32 v1, v1, s16
	v_mul_lo_u32 v6, v6, s18
	v_sub_nc_u32_e32 v1, v1, v6
	s_delay_alu instid0(VALU_DEP_1)
	v_cmp_lt_u32_e32 vcc_lo, s20, v1
	v_cmpx_ge_u32_e64 s20, v1
	s_cbranch_execz .LBB1896_11
; %bb.10:
	v_dual_add_nc_u32 v1, s22, v26 :: v_dual_add_nc_u32 v6, s38, v26
	s_delay_alu instid0(VALU_DEP_1) | instskip(NEXT) | instid1(VALU_DEP_2)
	v_mul_lo_u32 v1, v1, s21
	v_mul_lo_u32 v6, v6, s23
	s_delay_alu instid0(VALU_DEP_1) | instskip(NEXT) | instid1(VALU_DEP_1)
	v_sub_nc_u32_e32 v1, v1, v6
	v_cmp_lt_u32_e64 s0, s39, v1
	s_and_b32 s40, s0, exec_lo
.LBB1896_11:
	s_or_b32 exec_lo, exec_lo, s1
	v_dual_add_nc_u32 v1, s17, v27 :: v_dual_add_nc_u32 v6, s19, v27
	s_mov_b32 s3, exec_lo
	s_delay_alu instid0(VALU_DEP_1) | instskip(NEXT) | instid1(VALU_DEP_2)
	v_mul_lo_u32 v1, v1, s16
	v_mul_lo_u32 v6, v6, s18
	s_delay_alu instid0(VALU_DEP_1) | instskip(NEXT) | instid1(VALU_DEP_1)
	v_sub_nc_u32_e32 v1, v1, v6
	v_cmp_lt_u32_e64 s0, s20, v1
	v_cmpx_ge_u32_e64 s20, v1
	s_cbranch_execz .LBB1896_13
; %bb.12:
	v_dual_add_nc_u32 v1, s22, v27 :: v_dual_add_nc_u32 v6, s38, v27
	s_delay_alu instid0(VALU_DEP_1) | instskip(NEXT) | instid1(VALU_DEP_2)
	v_mul_lo_u32 v1, v1, s21
	v_mul_lo_u32 v6, v6, s23
	s_delay_alu instid0(VALU_DEP_1) | instskip(NEXT) | instid1(VALU_DEP_1)
	v_sub_nc_u32_e32 v1, v1, v6
	v_cmp_lt_u32_e64 s1, s39, v1
	s_and_b32 s41, s1, exec_lo
.LBB1896_13:
	s_or_b32 exec_lo, exec_lo, s3
	v_dual_add_nc_u32 v1, s17, v24 :: v_dual_add_nc_u32 v6, s19, v24
	s_mov_b32 s43, 0
	s_mov_b32 s42, 0
	s_mov_b32 s4, exec_lo
	s_delay_alu instid0(VALU_DEP_1) | instskip(SKIP_1) | instid1(VALU_DEP_1)
	v_mul_lo_u32 v1, v1, s16
	v_mul_lo_u32 v6, v6, s18
	v_sub_nc_u32_e32 v1, v1, v6
	s_delay_alu instid0(VALU_DEP_1)
	v_cmp_lt_u32_e64 s1, s20, v1
	v_cmpx_ge_u32_e64 s20, v1
	s_cbranch_execz .LBB1896_15
; %bb.14:
	v_dual_add_nc_u32 v1, s22, v24 :: v_dual_add_nc_u32 v6, s38, v24
	s_delay_alu instid0(VALU_DEP_1) | instskip(NEXT) | instid1(VALU_DEP_2)
	v_mul_lo_u32 v1, v1, s21
	v_mul_lo_u32 v6, v6, s23
	s_delay_alu instid0(VALU_DEP_1) | instskip(NEXT) | instid1(VALU_DEP_1)
	v_sub_nc_u32_e32 v1, v1, v6
	v_cmp_lt_u32_e64 s3, s39, v1
	s_and_b32 s42, s3, exec_lo
.LBB1896_15:
	s_or_b32 exec_lo, exec_lo, s4
	v_dual_add_nc_u32 v1, s17, v25 :: v_dual_add_nc_u32 v6, s19, v25
	s_mov_b32 s5, exec_lo
	s_delay_alu instid0(VALU_DEP_1) | instskip(NEXT) | instid1(VALU_DEP_2)
	v_mul_lo_u32 v1, v1, s16
	v_mul_lo_u32 v6, v6, s18
	s_delay_alu instid0(VALU_DEP_1) | instskip(NEXT) | instid1(VALU_DEP_1)
	v_sub_nc_u32_e32 v1, v1, v6
	v_cmp_lt_u32_e64 s3, s20, v1
	v_cmpx_ge_u32_e64 s20, v1
	s_cbranch_execz .LBB1896_17
; %bb.16:
	v_dual_add_nc_u32 v1, s22, v25 :: v_dual_add_nc_u32 v6, s38, v25
	s_delay_alu instid0(VALU_DEP_1) | instskip(NEXT) | instid1(VALU_DEP_2)
	v_mul_lo_u32 v1, v1, s21
	v_mul_lo_u32 v6, v6, s23
	s_delay_alu instid0(VALU_DEP_1) | instskip(NEXT) | instid1(VALU_DEP_1)
	v_sub_nc_u32_e32 v1, v1, v6
	v_cmp_lt_u32_e64 s4, s39, v1
	s_and_b32 s43, s4, exec_lo
.LBB1896_17:
	s_or_b32 exec_lo, exec_lo, s5
	v_dual_add_nc_u32 v1, s17, v22 :: v_dual_add_nc_u32 v6, s19, v22
	s_mov_b32 s45, 0
	s_mov_b32 s44, 0
	s_mov_b32 s6, exec_lo
	s_delay_alu instid0(VALU_DEP_1) | instskip(SKIP_1) | instid1(VALU_DEP_1)
	v_mul_lo_u32 v1, v1, s16
	v_mul_lo_u32 v6, v6, s18
	v_sub_nc_u32_e32 v1, v1, v6
	s_delay_alu instid0(VALU_DEP_1)
	v_cmp_lt_u32_e64 s4, s20, v1
	;; [unrolled: 44-line block ×6, first 2 shown]
	v_cmpx_ge_u32_e64 s20, v1
	s_cbranch_execz .LBB1896_35
; %bb.34:
	v_dual_add_nc_u32 v1, s22, v34 :: v_dual_add_nc_u32 v6, s38, v34
	s_delay_alu instid0(VALU_DEP_1) | instskip(NEXT) | instid1(VALU_DEP_2)
	v_mul_lo_u32 v1, v1, s21
	v_mul_lo_u32 v6, v6, s23
	s_delay_alu instid0(VALU_DEP_1) | instskip(NEXT) | instid1(VALU_DEP_1)
	v_sub_nc_u32_e32 v1, v1, v6
	v_cmp_lt_u32_e64 s13, s39, v1
	s_and_b32 s53, s13, exec_lo
.LBB1896_35:
	s_or_b32 exec_lo, exec_lo, s54
	v_cndmask_b32_e64 v6, 0, 1, s0
	v_cndmask_b32_e64 v8, 0, 1, s3
	v_cndmask_b32_e64 v1, 0, 1, vcc_lo
	v_cndmask_b32_e64 v7, 0, 1, s1
	v_cndmask_b32_e64 v10, 0, 1, s5
	v_lshlrev_b16 v6, 8, v6
	v_lshlrev_b16 v8, 8, v8
	v_cndmask_b32_e64 v12, 0, 1, s7
	v_cndmask_b32_e64 v28, 0, 1, s9
	;; [unrolled: 1-line block ×3, first 2 shown]
	v_or_b32_e32 v1, v1, v6
	v_or_b32_e32 v6, v7, v8
	v_cndmask_b32_e64 v8, 0, 1, s42
	v_cndmask_b32_e64 v9, 0, 1, s4
	;; [unrolled: 1-line block ×4, first 2 shown]
	v_lshlrev_b32_e32 v6, 16, v6
	v_and_b32_e32 v1, 0xffff, v1
	v_cndmask_b32_e64 v38, 0, 1, s46
	v_cndmask_b32_e64 v41, 0, 1, s44
	;; [unrolled: 1-line block ×4, first 2 shown]
	v_or_b32_e32 v36, v1, v6
	v_lshlrev_b16 v1, 8, v10
	v_lshlrev_b16 v6, 8, v12
	v_lshlrev_b16 v10, 8, v28
	v_lshlrev_b16 v12, 8, v31
	v_lshlrev_b16 v8, 8, v8
	v_cndmask_b32_e64 v11, 0, 1, s6
	v_cndmask_b32_e64 v30, 0, 1, s52
	;; [unrolled: 1-line block ×6, first 2 shown]
	v_lshlrev_b16 v28, 8, v44
	v_or_b32_e32 v8, v42, v8
	v_or_b32_e32 v1, v9, v1
	;; [unrolled: 1-line block ×4, first 2 shown]
	v_lshlrev_b16 v12, 8, v41
	v_lshlrev_b16 v13, 8, v38
	v_cndmask_b32_e64 v32, 0, 1, s50
	v_cndmask_b32_e64 v37, 0, 1, s47
	v_lshlrev_b16 v29, 8, v30
	v_or_b32_e32 v7, v7, v12
	v_or_b32_e32 v12, v40, v13
	;; [unrolled: 1-line block ×4, first 2 shown]
	v_lshlrev_b16 v28, 8, v33
	v_dual_lshlrev_b32 v10, 16, v10 :: v_dual_lshlrev_b32 v8, 16, v8
	v_and_b32_e32 v1, 0xffff, v1
	s_delay_alu instid0(VALU_DEP_4) | instskip(NEXT) | instid1(VALU_DEP_4)
	v_and_b32_e32 v11, 0xffff, v11
	v_or_b32_e32 v13, v37, v28
	v_or_b32_e32 v28, v32, v29
	v_and_b32_e32 v7, 0xffff, v7
	v_dual_lshlrev_b32 v12, 16, v12 :: v_dual_lshlrev_b32 v6, 16, v6
	s_delay_alu instid0(VALU_DEP_4) | instskip(NEXT) | instid1(VALU_DEP_4)
	v_and_b32_e32 v13, 0xffff, v13
	v_lshlrev_b32_e32 v28, 16, v28
	v_and_b32_e32 v9, 0xffff, v9
	v_cndmask_b32_e64 v39, 0, 1, s51
	v_cndmask_b32_e64 v43, 0, 1, s53
	v_or_b32_e32 v38, v1, v6
	v_or_b32_e32 v42, v11, v8
	;; [unrolled: 1-line block ×5, first 2 shown]
	s_and_b32 vcc_lo, exec_lo, s48
	s_add_co_i32 s5, s33, 0xd00
	s_cbranch_vccnz .LBB1896_37
	s_branch .LBB1896_114
.LBB1896_36:
                                        ; implicit-def: $vgpr43
                                        ; implicit-def: $vgpr39
                                        ; implicit-def: $vgpr40
                                        ; implicit-def: $vgpr37
                                        ; implicit-def: $vgpr42
                                        ; implicit-def: $vgpr41
                                        ; implicit-def: $vgpr38
                                        ; implicit-def: $vgpr36
	s_add_co_i32 s5, s33, 0xd00
	s_cbranch_execz .LBB1896_114
.LBB1896_37:
	v_dual_mov_b32 v6, 0 :: v_dual_mov_b32 v1, 0
	s_mov_b32 s1, exec_lo
	v_cmpx_gt_u32_e64 s5, v15
	s_cbranch_execz .LBB1896_41
; %bb.38:
	v_dual_add_nc_u32 v1, s17, v26 :: v_dual_add_nc_u32 v6, s19, v26
	s_mov_b32 s4, 0
	s_mov_b32 s3, exec_lo
	s_delay_alu instid0(VALU_DEP_1) | instskip(NEXT) | instid1(VALU_DEP_2)
	v_mul_lo_u32 v1, v1, s16
	v_mul_lo_u32 v6, v6, s18
	s_delay_alu instid0(VALU_DEP_1) | instskip(NEXT) | instid1(VALU_DEP_1)
	v_sub_nc_u32_e32 v1, v1, v6
	v_cmp_lt_u32_e32 vcc_lo, s20, v1
	v_cmpx_ge_u32_e64 s20, v1
	s_cbranch_execz .LBB1896_40
; %bb.39:
	v_dual_add_nc_u32 v1, s22, v26 :: v_dual_add_nc_u32 v6, s38, v26
	s_delay_alu instid0(VALU_DEP_1) | instskip(NEXT) | instid1(VALU_DEP_2)
	v_mul_lo_u32 v1, v1, s21
	v_mul_lo_u32 v6, v6, s23
	s_delay_alu instid0(VALU_DEP_1) | instskip(NEXT) | instid1(VALU_DEP_1)
	v_sub_nc_u32_e32 v1, v1, v6
	v_cmp_lt_u32_e64 s0, s39, v1
	s_and_b32 s4, s0, exec_lo
.LBB1896_40:
	s_or_b32 exec_lo, exec_lo, s3
	v_cndmask_b32_e64 v6, 0, 1, s4
	v_cndmask_b32_e64 v1, 0, 1, vcc_lo
.LBB1896_41:
	s_or_b32 exec_lo, exec_lo, s1
	s_delay_alu instid0(VALU_DEP_2) | instskip(SKIP_1) | instid1(VALU_DEP_2)
	v_lshlrev_b16 v6, 8, v6
	v_lshlrev_b16 v13, 8, 0
                                        ; implicit-def: $vgpr9
                                        ; implicit-def: $vgpr11
                                        ; implicit-def: $vgpr8
                                        ; implicit-def: $vgpr12
	v_and_b32_e32 v10, 0xffff, v6
	v_add_nc_u32_e32 v7, 1, v15
                                        ; implicit-def: $vgpr6
	s_delay_alu instid0(VALU_DEP_2) | instskip(NEXT) | instid1(VALU_DEP_2)
	v_lshrrev_b32_e32 v28, 8, v10
	v_cmp_le_u32_e32 vcc_lo, s5, v7
                                        ; implicit-def: $vgpr7
	s_and_saveexec_b32 s0, vcc_lo
	s_delay_alu instid0(SALU_CYCLE_1)
	s_xor_b32 s0, exec_lo, s0
	s_cbranch_execz .LBB1896_43
; %bb.42:
	v_lshlrev_b16 v6, 8, v28
	v_bitop3_b16 v7, 0, v13, 0xff bitop3:0xec
	v_and_b32_e32 v12, 0xff, v1
                                        ; implicit-def: $vgpr1
                                        ; implicit-def: $vgpr13
                                        ; implicit-def: $vgpr28
	v_mov_b32_e32 v9, 0
	s_delay_alu instid0(VALU_DEP_4) | instskip(SKIP_3) | instid1(VALU_DEP_4)
	v_bitop3_b16 v10, v10, v6, 0xff bitop3:0xec
	v_mov_b32_e32 v6, 0
	v_and_b32_e32 v8, 0xffff, v7
	v_and_b32_e32 v7, 0xffff, v7
	;; [unrolled: 1-line block ×3, first 2 shown]
                                        ; implicit-def: $vgpr10
.LBB1896_43:
	s_and_not1_saveexec_b32 s1, s0
	s_cbranch_execz .LBB1896_47
; %bb.44:
	v_dual_add_nc_u32 v6, s17, v27 :: v_dual_add_nc_u32 v7, s19, v27
	s_mov_b32 s3, 0
	s_mov_b32 s4, exec_lo
	s_delay_alu instid0(VALU_DEP_1) | instskip(NEXT) | instid1(VALU_DEP_2)
	v_mul_lo_u32 v6, v6, s16
	v_mul_lo_u32 v7, v7, s18
	s_delay_alu instid0(VALU_DEP_1) | instskip(NEXT) | instid1(VALU_DEP_1)
	v_sub_nc_u32_e32 v6, v6, v7
	v_cmp_lt_u32_e32 vcc_lo, s20, v6
	v_cmpx_ge_u32_e64 s20, v6
	s_cbranch_execz .LBB1896_46
; %bb.45:
	v_dual_add_nc_u32 v6, s22, v27 :: v_dual_add_nc_u32 v7, s38, v27
	s_delay_alu instid0(VALU_DEP_1) | instskip(NEXT) | instid1(VALU_DEP_2)
	v_mul_lo_u32 v6, v6, s21
	v_mul_lo_u32 v7, v7, s23
	s_delay_alu instid0(VALU_DEP_1) | instskip(NEXT) | instid1(VALU_DEP_1)
	v_sub_nc_u32_e32 v6, v6, v7
	v_cmp_lt_u32_e64 s0, s39, v6
	s_and_b32 s3, s0, exec_lo
.LBB1896_46:
	s_or_b32 exec_lo, exec_lo, s4
	v_cndmask_b32_e64 v6, 0, 1, vcc_lo
	v_lshlrev_b16 v7, 8, v28
	v_cndmask_b32_e64 v11, 0, 1, s3
	v_mov_b32_e32 v9, 0
	s_delay_alu instid0(VALU_DEP_4) | instskip(NEXT) | instid1(VALU_DEP_4)
	v_lshlrev_b16 v6, 8, v6
	v_bitop3_b16 v7, v10, v7, 0xff bitop3:0xec
	v_bitop3_b16 v10, 0, v13, 0xff bitop3:0xec
	s_delay_alu instid0(VALU_DEP_3) | instskip(NEXT) | instid1(VALU_DEP_3)
	v_bitop3_b16 v1, v1, v6, 0xff bitop3:0xec
	v_and_b32_e32 v7, 0xffff, v7
	v_mov_b32_e32 v6, 0
	s_delay_alu instid0(VALU_DEP_4) | instskip(NEXT) | instid1(VALU_DEP_4)
	v_and_b32_e32 v8, 0xffff, v10
	v_and_b32_e32 v12, 0xffff, v1
	s_delay_alu instid0(VALU_DEP_4)
	v_lshl_or_b32 v11, v11, 16, v7
	v_and_b32_e32 v7, 0xffff, v10
.LBB1896_47:
	s_or_b32 exec_lo, exec_lo, s1
	s_delay_alu instid0(VALU_DEP_3) | instskip(NEXT) | instid1(VALU_DEP_1)
	v_dual_add_nc_u32 v1, 2, v15 :: v_dual_lshrrev_b32 v13, 8, v12
                                        ; implicit-def: $vgpr10
	v_cmp_le_u32_e32 vcc_lo, s5, v1
                                        ; implicit-def: $vgpr1
	s_and_saveexec_b32 s0, vcc_lo
	s_delay_alu instid0(SALU_CYCLE_1)
	s_xor_b32 s0, exec_lo, s0
	s_cbranch_execz .LBB1896_49
; %bb.48:
	v_lshlrev_b16 v1, 8, v13
	v_and_b32_e32 v13, 0xff0000, v11
	v_perm_b32 v8, v8, v8, 0x3060504
	s_delay_alu instid0(VALU_DEP_3) | instskip(NEXT) | instid1(VALU_DEP_1)
	v_bitop3_b16 v1, v12, v1, 0xff bitop3:0xec
	v_and_b32_e32 v1, 0xffff, v1
	s_delay_alu instid0(VALU_DEP_1)
	v_and_or_b32 v10, 0xff000000, v12, v1
	v_perm_b32 v1, v11, v13, 0x3020504
                                        ; implicit-def: $vgpr13
                                        ; implicit-def: $vgpr12
                                        ; implicit-def: $vgpr11
.LBB1896_49:
	s_and_not1_saveexec_b32 s1, s0
	s_cbranch_execz .LBB1896_53
; %bb.50:
	v_dual_add_nc_u32 v1, s17, v24 :: v_dual_add_nc_u32 v10, s19, v24
	s_mov_b32 s3, 0
	s_mov_b32 s4, exec_lo
	s_delay_alu instid0(VALU_DEP_1) | instskip(NEXT) | instid1(VALU_DEP_2)
	v_mul_lo_u32 v1, v1, s16
	v_mul_lo_u32 v10, v10, s18
	s_delay_alu instid0(VALU_DEP_1) | instskip(NEXT) | instid1(VALU_DEP_1)
	v_sub_nc_u32_e32 v1, v1, v10
	v_cmp_lt_u32_e32 vcc_lo, s20, v1
	v_cmpx_ge_u32_e64 s20, v1
	s_cbranch_execz .LBB1896_52
; %bb.51:
	v_dual_add_nc_u32 v1, s22, v24 :: v_dual_add_nc_u32 v10, s38, v24
	s_delay_alu instid0(VALU_DEP_1) | instskip(NEXT) | instid1(VALU_DEP_2)
	v_mul_lo_u32 v1, v1, s21
	v_mul_lo_u32 v10, v10, s23
	s_delay_alu instid0(VALU_DEP_1) | instskip(NEXT) | instid1(VALU_DEP_1)
	v_sub_nc_u32_e32 v1, v1, v10
	v_cmp_lt_u32_e64 s0, s39, v1
	s_and_b32 s3, s0, exec_lo
.LBB1896_52:
	s_or_b32 exec_lo, exec_lo, s4
	v_dual_lshrrev_b32 v1, 24, v12 :: v_dual_lshrrev_b32 v29, 8, v11
	v_cndmask_b32_e64 v10, 0, 1, s3
	v_cndmask_b32_e64 v28, 0, 1, vcc_lo
	v_lshlrev_b16 v13, 8, v13
	s_delay_alu instid0(VALU_DEP_4)
	v_lshlrev_b16 v1, 8, v1
	v_lshrrev_b32_e32 v30, 16, v11
	v_lshlrev_b16 v10, 8, v10
	v_lshlrev_b16 v29, 8, v29
	v_bitop3_b16 v12, v12, v13, 0xff bitop3:0xec
	v_or_b32_e32 v1, v28, v1
	s_delay_alu instid0(VALU_DEP_4) | instskip(NEXT) | instid1(VALU_DEP_4)
	v_bitop3_b16 v10, v30, v10, 0xff bitop3:0xec
	v_bitop3_b16 v11, v11, v29, 0xff bitop3:0xec
	s_delay_alu instid0(VALU_DEP_4) | instskip(NEXT) | instid1(VALU_DEP_3)
	v_and_b32_e32 v12, 0xffff, v12
	v_dual_lshlrev_b32 v1, 16, v1 :: v_dual_lshlrev_b32 v13, 16, v10
	s_delay_alu instid0(VALU_DEP_3) | instskip(NEXT) | instid1(VALU_DEP_2)
	v_and_b32_e32 v11, 0xffff, v11
	v_or_b32_e32 v10, v12, v1
	s_delay_alu instid0(VALU_DEP_2)
	v_or_b32_e32 v1, v11, v13
.LBB1896_53:
	s_or_b32 exec_lo, exec_lo, s1
	v_dual_add_nc_u32 v12, 3, v15 :: v_dual_lshrrev_b32 v13, 24, v9
	v_lshrrev_b32_e32 v11, 16, v9
                                        ; implicit-def: $vgpr36
	s_delay_alu instid0(VALU_DEP_2) | instskip(SKIP_2) | instid1(SALU_CYCLE_1)
	v_cmp_le_u32_e32 vcc_lo, s5, v12
	v_lshrrev_b32_e32 v12, 8, v9
                                        ; implicit-def: $vgpr9
	s_and_saveexec_b32 s0, vcc_lo
	s_xor_b32 s0, exec_lo, s0
	s_cbranch_execz .LBB1896_55
; %bb.54:
	v_lshlrev_b16 v9, 8, v13
	v_lshlrev_b16 v12, 8, v12
	v_perm_b32 v8, v8, v8, 0x3060504
	v_perm_b32 v7, v7, v7, 0x3060504
                                        ; implicit-def: $vgpr13
	s_delay_alu instid0(VALU_DEP_4) | instskip(SKIP_2) | instid1(VALU_DEP_3)
	v_bitop3_b16 v9, v11, v9, 0xff bitop3:0xec
	v_and_b32_e32 v11, 0xff0000, v10
	v_and_b32_e32 v12, 0xffff, v12
	v_lshlrev_b32_e32 v9, 16, v9
	s_delay_alu instid0(VALU_DEP_3) | instskip(NEXT) | instid1(VALU_DEP_2)
	v_perm_b32 v36, v10, v11, 0x3020504
                                        ; implicit-def: $vgpr10
                                        ; implicit-def: $vgpr11
	v_or_b32_e32 v9, v12, v9
                                        ; implicit-def: $vgpr12
.LBB1896_55:
	s_and_not1_saveexec_b32 s1, s0
	s_cbranch_execz .LBB1896_59
; %bb.56:
	v_dual_add_nc_u32 v9, s17, v25 :: v_dual_add_nc_u32 v28, s19, v25
	s_mov_b32 s3, 0
	s_mov_b32 s4, exec_lo
	s_delay_alu instid0(VALU_DEP_1) | instskip(NEXT) | instid1(VALU_DEP_2)
	v_mul_lo_u32 v9, v9, s16
	v_mul_lo_u32 v28, v28, s18
	s_delay_alu instid0(VALU_DEP_1) | instskip(NEXT) | instid1(VALU_DEP_1)
	v_sub_nc_u32_e32 v9, v9, v28
	v_cmp_lt_u32_e32 vcc_lo, s20, v9
	v_cmpx_ge_u32_e64 s20, v9
	s_cbranch_execz .LBB1896_58
; %bb.57:
	v_dual_add_nc_u32 v9, s22, v25 :: v_dual_add_nc_u32 v28, s38, v25
	s_delay_alu instid0(VALU_DEP_1) | instskip(NEXT) | instid1(VALU_DEP_2)
	v_mul_lo_u32 v9, v9, s21
	v_mul_lo_u32 v28, v28, s23
	s_delay_alu instid0(VALU_DEP_1) | instskip(NEXT) | instid1(VALU_DEP_1)
	v_sub_nc_u32_e32 v9, v9, v28
	v_cmp_lt_u32_e64 s0, s39, v9
	s_and_b32 s3, s0, exec_lo
.LBB1896_58:
	s_or_b32 exec_lo, exec_lo, s4
	v_cndmask_b32_e64 v9, 0, 1, vcc_lo
	v_dual_lshrrev_b32 v28, 8, v10 :: v_dual_lshrrev_b32 v30, 16, v10
	v_cndmask_b32_e64 v29, 0, 1, s3
	v_lshlrev_b16 v13, 8, v13
	s_delay_alu instid0(VALU_DEP_4) | instskip(NEXT) | instid1(VALU_DEP_4)
	v_lshlrev_b16 v9, 8, v9
	v_lshlrev_b16 v28, 8, v28
	;; [unrolled: 1-line block ×3, first 2 shown]
	s_delay_alu instid0(VALU_DEP_4) | instskip(NEXT) | instid1(VALU_DEP_4)
	v_bitop3_b16 v11, v11, v13, 0xff bitop3:0xec
	v_bitop3_b16 v9, v30, v9, 0xff bitop3:0xec
	s_delay_alu instid0(VALU_DEP_4) | instskip(NEXT) | instid1(VALU_DEP_3)
	v_bitop3_b16 v10, v10, v28, 0xff bitop3:0xec
	v_dual_lshlrev_b32 v11, 16, v11 :: v_dual_bitop2_b32 v12, v29, v12 bitop3:0x54
	s_delay_alu instid0(VALU_DEP_3) | instskip(NEXT) | instid1(VALU_DEP_3)
	v_lshlrev_b32_e32 v9, 16, v9
	v_and_b32_e32 v10, 0xffff, v10
	s_delay_alu instid0(VALU_DEP_3) | instskip(NEXT) | instid1(VALU_DEP_2)
	v_and_b32_e32 v12, 0xffff, v12
	v_or_b32_e32 v36, v10, v9
	s_delay_alu instid0(VALU_DEP_2)
	v_or_b32_e32 v9, v12, v11
.LBB1896_59:
	s_or_b32 exec_lo, exec_lo, s1
	v_dual_add_nc_u32 v10, 4, v15 :: v_dual_lshrrev_b32 v28, 8, v8
	v_dual_lshrrev_b32 v11, 16, v8 :: v_dual_lshrrev_b32 v29, 24, v8
	s_delay_alu instid0(VALU_DEP_3) | instskip(NEXT) | instid1(VALU_DEP_3)
	v_dual_lshrrev_b32 v13, 24, v9 :: v_dual_lshrrev_b32 v12, 16, v9
	v_cmp_le_u32_e32 vcc_lo, s5, v10
                                        ; implicit-def: $vgpr8
                                        ; implicit-def: $vgpr10
	s_and_saveexec_b32 s0, vcc_lo
	s_delay_alu instid0(SALU_CYCLE_1)
	s_xor_b32 s0, exec_lo, s0
	s_cbranch_execz .LBB1896_61
; %bb.60:
	v_lshlrev_b16 v8, 8, v29
	v_lshlrev_b16 v10, 8, v28
	;; [unrolled: 1-line block ×3, first 2 shown]
	v_perm_b32 v7, v7, v7, 0x3060504
                                        ; implicit-def: $vgpr28
                                        ; implicit-def: $vgpr29
	s_delay_alu instid0(VALU_DEP_4) | instskip(NEXT) | instid1(VALU_DEP_4)
	v_bitop3_b16 v8, v11, v8, 0xff bitop3:0xec
	v_and_b32_e32 v10, 0xffff, v10
	s_delay_alu instid0(VALU_DEP_4) | instskip(NEXT) | instid1(VALU_DEP_3)
	v_bitop3_b16 v11, v12, v13, 0xff bitop3:0xec
                                        ; implicit-def: $vgpr13
	v_lshlrev_b32_e32 v12, 16, v8
	s_delay_alu instid0(VALU_DEP_2) | instskip(NEXT) | instid1(VALU_DEP_2)
	v_perm_b32 v8, v11, v9, 0x5040c00
                                        ; implicit-def: $vgpr9
                                        ; implicit-def: $vgpr11
	v_or_b32_e32 v10, v10, v12
                                        ; implicit-def: $vgpr12
.LBB1896_61:
	s_and_not1_saveexec_b32 s1, s0
	s_cbranch_execz .LBB1896_65
; %bb.62:
	v_dual_add_nc_u32 v8, s17, v22 :: v_dual_add_nc_u32 v10, s19, v22
	s_mov_b32 s3, 0
	s_mov_b32 s4, exec_lo
	s_delay_alu instid0(VALU_DEP_1) | instskip(NEXT) | instid1(VALU_DEP_2)
	v_mul_lo_u32 v8, v8, s16
	v_mul_lo_u32 v10, v10, s18
	s_delay_alu instid0(VALU_DEP_1) | instskip(NEXT) | instid1(VALU_DEP_1)
	v_sub_nc_u32_e32 v8, v8, v10
	v_cmp_lt_u32_e32 vcc_lo, s20, v8
	v_cmpx_ge_u32_e64 s20, v8
	s_cbranch_execz .LBB1896_64
; %bb.63:
	v_dual_add_nc_u32 v8, s22, v22 :: v_dual_add_nc_u32 v10, s38, v22
	s_delay_alu instid0(VALU_DEP_1) | instskip(NEXT) | instid1(VALU_DEP_2)
	v_mul_lo_u32 v8, v8, s21
	v_mul_lo_u32 v10, v10, s23
	s_delay_alu instid0(VALU_DEP_1) | instskip(NEXT) | instid1(VALU_DEP_1)
	v_sub_nc_u32_e32 v8, v8, v10
	v_cmp_lt_u32_e64 s0, s39, v8
	s_and_b32 s3, s0, exec_lo
.LBB1896_64:
	s_or_b32 exec_lo, exec_lo, s4
	v_cndmask_b32_e64 v8, 0, 1, s3
	v_cndmask_b32_e64 v10, 0, 1, vcc_lo
	v_lshlrev_b16 v29, 8, v29
	v_lshlrev_b16 v28, 8, v28
	;; [unrolled: 1-line block ×4, first 2 shown]
	s_delay_alu instid0(VALU_DEP_4) | instskip(NEXT) | instid1(VALU_DEP_4)
	v_bitop3_b16 v11, v11, v29, 0xff bitop3:0xec
	v_or_b32_e32 v10, v10, v28
	s_delay_alu instid0(VALU_DEP_4) | instskip(NEXT) | instid1(VALU_DEP_4)
	v_bitop3_b16 v12, v12, v13, 0xff bitop3:0xec
	v_bitop3_b16 v8, v9, v8, 0xff bitop3:0xec
	s_delay_alu instid0(VALU_DEP_4) | instskip(NEXT) | instid1(VALU_DEP_4)
	v_lshlrev_b32_e32 v9, 16, v11
	v_and_b32_e32 v10, 0xffff, v10
	s_delay_alu instid0(VALU_DEP_4) | instskip(NEXT) | instid1(VALU_DEP_4)
	v_lshlrev_b32_e32 v11, 16, v12
	v_and_b32_e32 v8, 0xffff, v8
	s_delay_alu instid0(VALU_DEP_3) | instskip(NEXT) | instid1(VALU_DEP_2)
	v_or_b32_e32 v10, v10, v9
	v_or_b32_e32 v8, v8, v11
.LBB1896_65:
	s_or_b32 exec_lo, exec_lo, s1
	s_delay_alu instid0(VALU_DEP_1) | instskip(NEXT) | instid1(VALU_DEP_2)
	v_dual_add_nc_u32 v9, 5, v15 :: v_dual_lshrrev_b32 v12, 16, v10
	v_dual_lshrrev_b32 v13, 24, v10 :: v_dual_lshrrev_b32 v28, 8, v8
                                        ; implicit-def: $vgpr11
	s_delay_alu instid0(VALU_DEP_2) | instskip(SKIP_1) | instid1(SALU_CYCLE_1)
	v_cmp_le_u32_e32 vcc_lo, s5, v9
                                        ; implicit-def: $vgpr9
	s_and_saveexec_b32 s0, vcc_lo
	s_xor_b32 s0, exec_lo, s0
	s_cbranch_execz .LBB1896_67
; %bb.66:
	v_lshlrev_b16 v9, 8, v28
	v_lshlrev_b16 v11, 8, v13
	v_perm_b32 v7, v7, v7, 0x3060504
                                        ; implicit-def: $vgpr13
                                        ; implicit-def: $vgpr28
	s_delay_alu instid0(VALU_DEP_3) | instskip(NEXT) | instid1(VALU_DEP_3)
	v_bitop3_b16 v9, v8, v9, 0xff bitop3:0xec
	v_bitop3_b16 v11, v12, v11, 0xff bitop3:0xec
                                        ; implicit-def: $vgpr12
	s_delay_alu instid0(VALU_DEP_2) | instskip(NEXT) | instid1(VALU_DEP_2)
	v_and_b32_e32 v9, 0xffff, v9
	v_perm_b32 v11, v11, v10, 0x5040c00
                                        ; implicit-def: $vgpr10
	s_delay_alu instid0(VALU_DEP_2)
	v_and_or_b32 v9, 0xff000000, v8, v9
                                        ; implicit-def: $vgpr8
.LBB1896_67:
	s_and_not1_saveexec_b32 s1, s0
	s_cbranch_execz .LBB1896_71
; %bb.68:
	v_dual_add_nc_u32 v9, s17, v23 :: v_dual_add_nc_u32 v11, s19, v23
	s_mov_b32 s3, 0
	s_mov_b32 s4, exec_lo
	s_delay_alu instid0(VALU_DEP_1) | instskip(NEXT) | instid1(VALU_DEP_2)
	v_mul_lo_u32 v9, v9, s16
	v_mul_lo_u32 v11, v11, s18
	s_delay_alu instid0(VALU_DEP_1) | instskip(NEXT) | instid1(VALU_DEP_1)
	v_sub_nc_u32_e32 v9, v9, v11
	v_cmp_lt_u32_e32 vcc_lo, s20, v9
	v_cmpx_ge_u32_e64 s20, v9
	s_cbranch_execz .LBB1896_70
; %bb.69:
	v_dual_add_nc_u32 v9, s22, v23 :: v_dual_add_nc_u32 v11, s38, v23
	s_delay_alu instid0(VALU_DEP_1) | instskip(NEXT) | instid1(VALU_DEP_2)
	v_mul_lo_u32 v9, v9, s21
	v_mul_lo_u32 v11, v11, s23
	s_delay_alu instid0(VALU_DEP_1) | instskip(NEXT) | instid1(VALU_DEP_1)
	v_sub_nc_u32_e32 v9, v9, v11
	v_cmp_lt_u32_e64 s0, s39, v9
	s_and_b32 s3, s0, exec_lo
.LBB1896_70:
	s_or_b32 exec_lo, exec_lo, s4
	v_cndmask_b32_e64 v9, 0, 1, vcc_lo
	v_lshrrev_b32_e32 v11, 24, v8
	v_cndmask_b32_e64 v29, 0, 1, s3
	v_lshlrev_b16 v13, 8, v13
	v_lshlrev_b16 v28, 8, v28
	;; [unrolled: 1-line block ×4, first 2 shown]
	s_delay_alu instid0(VALU_DEP_4) | instskip(NEXT) | instid1(VALU_DEP_4)
	v_bitop3_b16 v12, v12, v13, 0xff bitop3:0xec
	v_bitop3_b16 v8, v8, v28, 0xff bitop3:0xec
	s_delay_alu instid0(VALU_DEP_4) | instskip(NEXT) | instid1(VALU_DEP_3)
	v_bitop3_b16 v9, v10, v9, 0xff bitop3:0xec
	v_dual_lshlrev_b32 v11, 16, v12 :: v_dual_bitop2_b32 v10, v29, v11 bitop3:0x54
	s_delay_alu instid0(VALU_DEP_3) | instskip(NEXT) | instid1(VALU_DEP_3)
	v_and_b32_e32 v8, 0xffff, v8
	v_and_b32_e32 v9, 0xffff, v9
	s_delay_alu instid0(VALU_DEP_1) | instskip(NEXT) | instid1(VALU_DEP_1)
	v_dual_lshlrev_b32 v10, 16, v10 :: v_dual_bitop2_b32 v11, v9, v11 bitop3:0x54
	v_or_b32_e32 v9, v8, v10
.LBB1896_71:
	s_or_b32 exec_lo, exec_lo, s1
	v_add_nc_u32_e32 v8, 6, v15
	s_delay_alu instid0(VALU_DEP_3) | instskip(NEXT) | instid1(VALU_DEP_2)
	v_lshrrev_b32_e32 v10, 8, v11
                                        ; implicit-def: $vgpr37
	v_cmp_le_u32_e32 vcc_lo, s5, v8
                                        ; implicit-def: $vgpr8
	s_and_saveexec_b32 s0, vcc_lo
	s_delay_alu instid0(SALU_CYCLE_1)
	s_xor_b32 s0, exec_lo, s0
	s_cbranch_execz .LBB1896_73
; %bb.72:
	v_lshlrev_b16 v8, 8, v10
	v_and_b32_e32 v10, 0xff0000, v9
	v_perm_b32 v7, v7, v7, 0x3060504
	s_delay_alu instid0(VALU_DEP_3) | instskip(NEXT) | instid1(VALU_DEP_3)
	v_bitop3_b16 v8, v11, v8, 0xff bitop3:0xec
	v_perm_b32 v37, v9, v10, 0x3020504
                                        ; implicit-def: $vgpr10
                                        ; implicit-def: $vgpr9
	s_delay_alu instid0(VALU_DEP_2) | instskip(NEXT) | instid1(VALU_DEP_1)
	v_and_b32_e32 v8, 0xffff, v8
	v_and_or_b32 v8, 0xff000000, v11, v8
                                        ; implicit-def: $vgpr11
.LBB1896_73:
	s_and_not1_saveexec_b32 s1, s0
	s_cbranch_execz .LBB1896_77
; %bb.74:
	v_dual_add_nc_u32 v8, s17, v20 :: v_dual_add_nc_u32 v12, s19, v20
	s_mov_b32 s3, 0
	s_mov_b32 s4, exec_lo
	s_delay_alu instid0(VALU_DEP_1) | instskip(NEXT) | instid1(VALU_DEP_2)
	v_mul_lo_u32 v8, v8, s16
	v_mul_lo_u32 v12, v12, s18
	s_delay_alu instid0(VALU_DEP_1) | instskip(NEXT) | instid1(VALU_DEP_1)
	v_sub_nc_u32_e32 v8, v8, v12
	v_cmp_lt_u32_e32 vcc_lo, s20, v8
	v_cmpx_ge_u32_e64 s20, v8
	s_cbranch_execz .LBB1896_76
; %bb.75:
	v_dual_add_nc_u32 v8, s22, v20 :: v_dual_add_nc_u32 v12, s38, v20
	s_delay_alu instid0(VALU_DEP_1) | instskip(NEXT) | instid1(VALU_DEP_2)
	v_mul_lo_u32 v8, v8, s21
	v_mul_lo_u32 v12, v12, s23
	s_delay_alu instid0(VALU_DEP_1) | instskip(NEXT) | instid1(VALU_DEP_1)
	v_sub_nc_u32_e32 v8, v8, v12
	v_cmp_lt_u32_e64 s0, s39, v8
	s_and_b32 s3, s0, exec_lo
.LBB1896_76:
	s_or_b32 exec_lo, exec_lo, s4
	v_dual_lshrrev_b32 v8, 24, v11 :: v_dual_lshrrev_b32 v28, 8, v9
	v_cndmask_b32_e64 v12, 0, 1, s3
	v_cndmask_b32_e64 v13, 0, 1, vcc_lo
	v_lshlrev_b16 v10, 8, v10
	s_delay_alu instid0(VALU_DEP_4)
	v_lshlrev_b16 v8, 8, v8
	v_lshrrev_b32_e32 v29, 16, v9
	v_lshlrev_b16 v12, 8, v12
	v_lshlrev_b16 v28, 8, v28
	v_bitop3_b16 v10, v11, v10, 0xff bitop3:0xec
	v_or_b32_e32 v8, v13, v8
	s_delay_alu instid0(VALU_DEP_4) | instskip(NEXT) | instid1(VALU_DEP_4)
	v_bitop3_b16 v11, v29, v12, 0xff bitop3:0xec
	v_bitop3_b16 v9, v9, v28, 0xff bitop3:0xec
	s_delay_alu instid0(VALU_DEP_4) | instskip(NEXT) | instid1(VALU_DEP_3)
	v_and_b32_e32 v10, 0xffff, v10
	v_dual_lshlrev_b32 v8, 16, v8 :: v_dual_lshlrev_b32 v11, 16, v11
	s_delay_alu instid0(VALU_DEP_3) | instskip(NEXT) | instid1(VALU_DEP_2)
	v_and_b32_e32 v9, 0xffff, v9
	v_or_b32_e32 v8, v10, v8
	s_delay_alu instid0(VALU_DEP_2)
	v_or_b32_e32 v37, v9, v11
.LBB1896_77:
	s_or_b32 exec_lo, exec_lo, s1
	v_add_nc_u32_e32 v11, 7, v15
	v_dual_lshrrev_b32 v9, 8, v7 :: v_dual_lshrrev_b32 v10, 16, v7
                                        ; implicit-def: $vgpr38
	s_delay_alu instid0(VALU_DEP_2) | instskip(SKIP_2) | instid1(SALU_CYCLE_1)
	v_cmp_le_u32_e32 vcc_lo, s5, v11
	v_lshrrev_b32_e32 v11, 24, v7
                                        ; implicit-def: $vgpr7
	s_and_saveexec_b32 s0, vcc_lo
	s_xor_b32 s0, exec_lo, s0
	s_cbranch_execz .LBB1896_79
; %bb.78:
	s_delay_alu instid0(VALU_DEP_1) | instskip(SKIP_1) | instid1(VALU_DEP_2)
	v_lshlrev_b16 v7, 8, v11
	v_lshlrev_b16 v9, 8, v9
                                        ; implicit-def: $vgpr11
	v_bitop3_b16 v7, v10, v7, 0xff bitop3:0xec
	v_and_b32_e32 v10, 0xff0000, v8
	s_delay_alu instid0(VALU_DEP_3) | instskip(NEXT) | instid1(VALU_DEP_3)
	v_and_b32_e32 v9, 0xffff, v9
	v_lshlrev_b32_e32 v7, 16, v7
	s_delay_alu instid0(VALU_DEP_3) | instskip(NEXT) | instid1(VALU_DEP_2)
	v_perm_b32 v38, v8, v10, 0x3020504
                                        ; implicit-def: $vgpr8
                                        ; implicit-def: $vgpr10
	v_or_b32_e32 v7, v9, v7
                                        ; implicit-def: $vgpr9
.LBB1896_79:
	s_and_not1_saveexec_b32 s1, s0
	s_cbranch_execz .LBB1896_83
; %bb.80:
	v_dual_add_nc_u32 v7, s17, v21 :: v_dual_add_nc_u32 v12, s19, v21
	s_mov_b32 s3, 0
	s_mov_b32 s4, exec_lo
	s_delay_alu instid0(VALU_DEP_1) | instskip(NEXT) | instid1(VALU_DEP_2)
	v_mul_lo_u32 v7, v7, s16
	v_mul_lo_u32 v12, v12, s18
	s_delay_alu instid0(VALU_DEP_1) | instskip(NEXT) | instid1(VALU_DEP_1)
	v_sub_nc_u32_e32 v7, v7, v12
	v_cmp_lt_u32_e32 vcc_lo, s20, v7
	v_cmpx_ge_u32_e64 s20, v7
	s_cbranch_execz .LBB1896_82
; %bb.81:
	v_dual_add_nc_u32 v7, s22, v21 :: v_dual_add_nc_u32 v12, s38, v21
	s_delay_alu instid0(VALU_DEP_1) | instskip(NEXT) | instid1(VALU_DEP_2)
	v_mul_lo_u32 v7, v7, s21
	v_mul_lo_u32 v12, v12, s23
	s_delay_alu instid0(VALU_DEP_1) | instskip(NEXT) | instid1(VALU_DEP_1)
	v_sub_nc_u32_e32 v7, v7, v12
	v_cmp_lt_u32_e64 s0, s39, v7
	s_and_b32 s3, s0, exec_lo
.LBB1896_82:
	s_or_b32 exec_lo, exec_lo, s4
	v_cndmask_b32_e64 v7, 0, 1, vcc_lo
	v_dual_lshrrev_b32 v12, 8, v8 :: v_dual_lshrrev_b32 v28, 16, v8
	v_cndmask_b32_e64 v13, 0, 1, s3
	v_lshlrev_b16 v11, 8, v11
	s_delay_alu instid0(VALU_DEP_4) | instskip(NEXT) | instid1(VALU_DEP_4)
	v_lshlrev_b16 v7, 8, v7
	v_lshlrev_b16 v12, 8, v12
	;; [unrolled: 1-line block ×3, first 2 shown]
	s_delay_alu instid0(VALU_DEP_4) | instskip(NEXT) | instid1(VALU_DEP_4)
	v_bitop3_b16 v10, v10, v11, 0xff bitop3:0xec
	v_bitop3_b16 v7, v28, v7, 0xff bitop3:0xec
	s_delay_alu instid0(VALU_DEP_4) | instskip(NEXT) | instid1(VALU_DEP_3)
	v_bitop3_b16 v8, v8, v12, 0xff bitop3:0xec
	v_dual_lshlrev_b32 v10, 16, v10 :: v_dual_bitop2_b32 v9, v13, v9 bitop3:0x54
	s_delay_alu instid0(VALU_DEP_3) | instskip(NEXT) | instid1(VALU_DEP_3)
	v_lshlrev_b32_e32 v7, 16, v7
	v_and_b32_e32 v8, 0xffff, v8
	s_delay_alu instid0(VALU_DEP_3) | instskip(NEXT) | instid1(VALU_DEP_2)
	v_and_b32_e32 v9, 0xffff, v9
	v_or_b32_e32 v38, v8, v7
	s_delay_alu instid0(VALU_DEP_2)
	v_or_b32_e32 v7, v9, v10
.LBB1896_83:
	s_or_b32 exec_lo, exec_lo, s1
	v_dual_add_nc_u32 v8, 8, v15 :: v_dual_lshrrev_b32 v13, 24, v6
	s_delay_alu instid0(VALU_DEP_2) | instskip(SKIP_1) | instid1(VALU_DEP_3)
	v_dual_lshrrev_b32 v9, 16, v7 :: v_dual_lshrrev_b32 v10, 24, v7
	v_dual_lshrrev_b32 v11, 16, v6 :: v_dual_lshrrev_b32 v12, 8, v6
	v_cmp_le_u32_e32 vcc_lo, s5, v8
                                        ; implicit-def: $vgpr6
                                        ; implicit-def: $vgpr8
	s_and_saveexec_b32 s0, vcc_lo
	s_delay_alu instid0(SALU_CYCLE_1)
	s_xor_b32 s0, exec_lo, s0
	s_cbranch_execz .LBB1896_85
; %bb.84:
	v_lshlrev_b16 v6, 8, v13
	v_lshlrev_b16 v8, 8, v12
	;; [unrolled: 1-line block ×3, first 2 shown]
	v_perm_b32 v1, v1, v1, 0x3060504
                                        ; implicit-def: $vgpr13
                                        ; implicit-def: $vgpr12
	s_delay_alu instid0(VALU_DEP_4) | instskip(NEXT) | instid1(VALU_DEP_4)
	v_bitop3_b16 v6, v11, v6, 0xff bitop3:0xec
	v_and_b32_e32 v8, 0xffff, v8
	s_delay_alu instid0(VALU_DEP_4) | instskip(NEXT) | instid1(VALU_DEP_3)
	v_bitop3_b16 v9, v9, v10, 0xff bitop3:0xec
                                        ; implicit-def: $vgpr10
                                        ; implicit-def: $vgpr11
	v_lshlrev_b32_e32 v6, 16, v6
	s_delay_alu instid0(VALU_DEP_1) | instskip(NEXT) | instid1(VALU_DEP_3)
	v_or_b32_e32 v8, v8, v6
	v_perm_b32 v6, v9, v7, 0x5040c00
                                        ; implicit-def: $vgpr7
                                        ; implicit-def: $vgpr9
.LBB1896_85:
	s_and_not1_saveexec_b32 s1, s0
	s_cbranch_execz .LBB1896_89
; %bb.86:
	v_dual_add_nc_u32 v6, s17, v18 :: v_dual_add_nc_u32 v8, s19, v18
	s_mov_b32 s3, 0
	s_mov_b32 s4, exec_lo
	s_delay_alu instid0(VALU_DEP_1) | instskip(NEXT) | instid1(VALU_DEP_2)
	v_mul_lo_u32 v6, v6, s16
	v_mul_lo_u32 v8, v8, s18
	s_delay_alu instid0(VALU_DEP_1) | instskip(NEXT) | instid1(VALU_DEP_1)
	v_sub_nc_u32_e32 v6, v6, v8
	v_cmp_lt_u32_e32 vcc_lo, s20, v6
	v_cmpx_ge_u32_e64 s20, v6
	s_cbranch_execz .LBB1896_88
; %bb.87:
	v_dual_add_nc_u32 v6, s22, v18 :: v_dual_add_nc_u32 v8, s38, v18
	s_delay_alu instid0(VALU_DEP_1) | instskip(NEXT) | instid1(VALU_DEP_2)
	v_mul_lo_u32 v6, v6, s21
	v_mul_lo_u32 v8, v8, s23
	s_delay_alu instid0(VALU_DEP_1) | instskip(NEXT) | instid1(VALU_DEP_1)
	v_sub_nc_u32_e32 v6, v6, v8
	v_cmp_lt_u32_e64 s0, s39, v6
	s_and_b32 s3, s0, exec_lo
.LBB1896_88:
	s_or_b32 exec_lo, exec_lo, s4
	v_cndmask_b32_e64 v6, 0, 1, s3
	v_cndmask_b32_e64 v8, 0, 1, vcc_lo
	v_lshlrev_b16 v13, 8, v13
	v_lshlrev_b16 v12, 8, v12
	;; [unrolled: 1-line block ×4, first 2 shown]
	s_delay_alu instid0(VALU_DEP_4) | instskip(NEXT) | instid1(VALU_DEP_4)
	v_bitop3_b16 v11, v11, v13, 0xff bitop3:0xec
	v_or_b32_e32 v8, v8, v12
	s_delay_alu instid0(VALU_DEP_4) | instskip(NEXT) | instid1(VALU_DEP_4)
	v_bitop3_b16 v9, v9, v10, 0xff bitop3:0xec
	v_bitop3_b16 v6, v7, v6, 0xff bitop3:0xec
	s_delay_alu instid0(VALU_DEP_4) | instskip(NEXT) | instid1(VALU_DEP_4)
	v_lshlrev_b32_e32 v7, 16, v11
	v_and_b32_e32 v8, 0xffff, v8
	s_delay_alu instid0(VALU_DEP_4) | instskip(NEXT) | instid1(VALU_DEP_4)
	v_lshlrev_b32_e32 v9, 16, v9
	v_and_b32_e32 v6, 0xffff, v6
	s_delay_alu instid0(VALU_DEP_3) | instskip(NEXT) | instid1(VALU_DEP_2)
	v_or_b32_e32 v8, v8, v7
	v_or_b32_e32 v6, v6, v9
.LBB1896_89:
	s_or_b32 exec_lo, exec_lo, s1
	s_delay_alu instid0(VALU_DEP_1) | instskip(NEXT) | instid1(VALU_DEP_3)
	v_dual_add_nc_u32 v7, 9, v15 :: v_dual_lshrrev_b32 v11, 8, v6
	v_dual_lshrrev_b32 v12, 24, v8 :: v_dual_lshrrev_b32 v10, 16, v8
                                        ; implicit-def: $vgpr9
	s_delay_alu instid0(VALU_DEP_2) | instskip(SKIP_1) | instid1(SALU_CYCLE_1)
	v_cmp_le_u32_e32 vcc_lo, s5, v7
                                        ; implicit-def: $vgpr7
	s_and_saveexec_b32 s0, vcc_lo
	s_xor_b32 s0, exec_lo, s0
	s_cbranch_execz .LBB1896_91
; %bb.90:
	v_lshlrev_b16 v7, 8, v11
	v_lshlrev_b16 v9, 8, v12
	v_perm_b32 v1, v1, v1, 0x3060504
                                        ; implicit-def: $vgpr11
                                        ; implicit-def: $vgpr12
	s_delay_alu instid0(VALU_DEP_3) | instskip(NEXT) | instid1(VALU_DEP_3)
	v_bitop3_b16 v7, v6, v7, 0xff bitop3:0xec
	v_bitop3_b16 v9, v10, v9, 0xff bitop3:0xec
                                        ; implicit-def: $vgpr10
	s_delay_alu instid0(VALU_DEP_2) | instskip(NEXT) | instid1(VALU_DEP_2)
	v_and_b32_e32 v7, 0xffff, v7
	v_perm_b32 v9, v9, v8, 0x5040c00
                                        ; implicit-def: $vgpr8
	s_delay_alu instid0(VALU_DEP_2)
	v_and_or_b32 v7, 0xff000000, v6, v7
                                        ; implicit-def: $vgpr6
.LBB1896_91:
	s_and_not1_saveexec_b32 s1, s0
	s_cbranch_execz .LBB1896_95
; %bb.92:
	v_dual_add_nc_u32 v7, s17, v19 :: v_dual_add_nc_u32 v9, s19, v19
	s_mov_b32 s3, 0
	s_mov_b32 s4, exec_lo
	s_delay_alu instid0(VALU_DEP_1) | instskip(NEXT) | instid1(VALU_DEP_2)
	v_mul_lo_u32 v7, v7, s16
	v_mul_lo_u32 v9, v9, s18
	s_delay_alu instid0(VALU_DEP_1) | instskip(NEXT) | instid1(VALU_DEP_1)
	v_sub_nc_u32_e32 v7, v7, v9
	v_cmp_lt_u32_e32 vcc_lo, s20, v7
	v_cmpx_ge_u32_e64 s20, v7
	s_cbranch_execz .LBB1896_94
; %bb.93:
	v_dual_add_nc_u32 v7, s22, v19 :: v_dual_add_nc_u32 v9, s38, v19
	s_delay_alu instid0(VALU_DEP_1) | instskip(NEXT) | instid1(VALU_DEP_2)
	v_mul_lo_u32 v7, v7, s21
	v_mul_lo_u32 v9, v9, s23
	s_delay_alu instid0(VALU_DEP_1) | instskip(NEXT) | instid1(VALU_DEP_1)
	v_sub_nc_u32_e32 v7, v7, v9
	v_cmp_lt_u32_e64 s0, s39, v7
	s_and_b32 s3, s0, exec_lo
.LBB1896_94:
	s_or_b32 exec_lo, exec_lo, s4
	v_cndmask_b32_e64 v7, 0, 1, vcc_lo
	v_lshrrev_b32_e32 v9, 24, v6
	v_cndmask_b32_e64 v13, 0, 1, s3
	v_lshlrev_b16 v12, 8, v12
	v_lshlrev_b16 v11, 8, v11
	;; [unrolled: 1-line block ×4, first 2 shown]
	s_delay_alu instid0(VALU_DEP_4) | instskip(NEXT) | instid1(VALU_DEP_4)
	v_bitop3_b16 v10, v10, v12, 0xff bitop3:0xec
	v_bitop3_b16 v6, v6, v11, 0xff bitop3:0xec
	s_delay_alu instid0(VALU_DEP_4) | instskip(NEXT) | instid1(VALU_DEP_3)
	v_bitop3_b16 v7, v8, v7, 0xff bitop3:0xec
	v_dual_lshlrev_b32 v9, 16, v10 :: v_dual_bitop2_b32 v8, v13, v9 bitop3:0x54
	s_delay_alu instid0(VALU_DEP_3) | instskip(NEXT) | instid1(VALU_DEP_3)
	v_and_b32_e32 v6, 0xffff, v6
	v_and_b32_e32 v7, 0xffff, v7
	s_delay_alu instid0(VALU_DEP_1) | instskip(NEXT) | instid1(VALU_DEP_1)
	v_dual_lshlrev_b32 v8, 16, v8 :: v_dual_bitop2_b32 v9, v7, v9 bitop3:0x54
	v_or_b32_e32 v7, v6, v8
.LBB1896_95:
	s_or_b32 exec_lo, exec_lo, s1
	s_delay_alu instid0(VALU_DEP_2) | instskip(NEXT) | instid1(VALU_DEP_1)
	v_dual_add_nc_u32 v6, 10, v15 :: v_dual_lshrrev_b32 v8, 8, v9
                                        ; implicit-def: $vgpr40
	v_cmp_le_u32_e32 vcc_lo, s5, v6
                                        ; implicit-def: $vgpr6
	s_and_saveexec_b32 s0, vcc_lo
	s_delay_alu instid0(SALU_CYCLE_1)
	s_xor_b32 s0, exec_lo, s0
	s_cbranch_execz .LBB1896_97
; %bb.96:
	v_lshlrev_b16 v6, 8, v8
	v_and_b32_e32 v8, 0xff0000, v7
	v_perm_b32 v1, v1, v1, 0x3060504
	s_delay_alu instid0(VALU_DEP_3) | instskip(NEXT) | instid1(VALU_DEP_3)
	v_bitop3_b16 v6, v9, v6, 0xff bitop3:0xec
	v_perm_b32 v40, v7, v8, 0x3020504
                                        ; implicit-def: $vgpr8
                                        ; implicit-def: $vgpr7
	s_delay_alu instid0(VALU_DEP_2) | instskip(NEXT) | instid1(VALU_DEP_1)
	v_and_b32_e32 v6, 0xffff, v6
	v_and_or_b32 v6, 0xff000000, v9, v6
                                        ; implicit-def: $vgpr9
.LBB1896_97:
	s_and_not1_saveexec_b32 s1, s0
	s_cbranch_execz .LBB1896_101
; %bb.98:
	v_dual_add_nc_u32 v6, s17, v16 :: v_dual_add_nc_u32 v10, s19, v16
	s_mov_b32 s3, 0
	s_mov_b32 s4, exec_lo
	s_delay_alu instid0(VALU_DEP_1) | instskip(NEXT) | instid1(VALU_DEP_2)
	v_mul_lo_u32 v6, v6, s16
	v_mul_lo_u32 v10, v10, s18
	s_delay_alu instid0(VALU_DEP_1) | instskip(NEXT) | instid1(VALU_DEP_1)
	v_sub_nc_u32_e32 v6, v6, v10
	v_cmp_lt_u32_e32 vcc_lo, s20, v6
	v_cmpx_ge_u32_e64 s20, v6
	s_cbranch_execz .LBB1896_100
; %bb.99:
	v_dual_add_nc_u32 v6, s22, v16 :: v_dual_add_nc_u32 v10, s38, v16
	s_delay_alu instid0(VALU_DEP_1) | instskip(NEXT) | instid1(VALU_DEP_2)
	v_mul_lo_u32 v6, v6, s21
	v_mul_lo_u32 v10, v10, s23
	s_delay_alu instid0(VALU_DEP_1) | instskip(NEXT) | instid1(VALU_DEP_1)
	v_sub_nc_u32_e32 v6, v6, v10
	v_cmp_lt_u32_e64 s0, s39, v6
	s_and_b32 s3, s0, exec_lo
.LBB1896_100:
	s_or_b32 exec_lo, exec_lo, s4
	v_dual_lshrrev_b32 v6, 24, v9 :: v_dual_lshrrev_b32 v12, 8, v7
	v_cndmask_b32_e64 v10, 0, 1, s3
	v_cndmask_b32_e64 v11, 0, 1, vcc_lo
	v_lshlrev_b16 v8, 8, v8
	s_delay_alu instid0(VALU_DEP_4)
	v_lshlrev_b16 v6, 8, v6
	v_lshrrev_b32_e32 v13, 16, v7
	v_lshlrev_b16 v10, 8, v10
	v_lshlrev_b16 v12, 8, v12
	v_bitop3_b16 v8, v9, v8, 0xff bitop3:0xec
	v_or_b32_e32 v6, v11, v6
	s_delay_alu instid0(VALU_DEP_4) | instskip(NEXT) | instid1(VALU_DEP_4)
	v_bitop3_b16 v9, v13, v10, 0xff bitop3:0xec
	v_bitop3_b16 v7, v7, v12, 0xff bitop3:0xec
	s_delay_alu instid0(VALU_DEP_4) | instskip(NEXT) | instid1(VALU_DEP_3)
	v_and_b32_e32 v8, 0xffff, v8
	v_dual_lshlrev_b32 v6, 16, v6 :: v_dual_lshlrev_b32 v9, 16, v9
	s_delay_alu instid0(VALU_DEP_3) | instskip(NEXT) | instid1(VALU_DEP_2)
	v_and_b32_e32 v7, 0xffff, v7
	v_or_b32_e32 v6, v8, v6
	s_delay_alu instid0(VALU_DEP_2)
	v_or_b32_e32 v40, v7, v9
.LBB1896_101:
	s_or_b32 exec_lo, exec_lo, s1
	v_dual_add_nc_u32 v7, 11, v15 :: v_dual_mov_b32 v39, 0
	s_mov_b32 s0, exec_lo
                                        ; implicit-def: $vgpr41
	s_delay_alu instid0(VALU_DEP_1)
	v_cmpx_le_u32_e64 s5, v7
	s_xor_b32 s0, exec_lo, s0
; %bb.102:
	v_and_b32_e32 v7, 0xff0000, v6
	v_perm_b32 v1, v1, v1, 0x3060504
	s_delay_alu instid0(VALU_DEP_2)
	v_perm_b32 v41, v6, v7, 0x3020504
                                        ; implicit-def: $vgpr6
; %bb.103:
	s_and_not1_saveexec_b32 s1, s0
	s_cbranch_execz .LBB1896_107
; %bb.104:
	v_dual_add_nc_u32 v7, s17, v17 :: v_dual_add_nc_u32 v8, s19, v17
	s_mov_b32 s3, 0
	s_mov_b32 s4, exec_lo
	s_delay_alu instid0(VALU_DEP_1) | instskip(NEXT) | instid1(VALU_DEP_2)
	v_mul_lo_u32 v7, v7, s16
	v_mul_lo_u32 v8, v8, s18
	s_delay_alu instid0(VALU_DEP_1) | instskip(NEXT) | instid1(VALU_DEP_1)
	v_sub_nc_u32_e32 v7, v7, v8
	v_cmp_lt_u32_e32 vcc_lo, s20, v7
	v_cmpx_ge_u32_e64 s20, v7
	s_cbranch_execz .LBB1896_106
; %bb.105:
	v_dual_add_nc_u32 v7, s22, v17 :: v_dual_add_nc_u32 v8, s38, v17
	s_delay_alu instid0(VALU_DEP_1) | instskip(NEXT) | instid1(VALU_DEP_2)
	v_mul_lo_u32 v7, v7, s21
	v_mul_lo_u32 v8, v8, s23
	s_delay_alu instid0(VALU_DEP_1) | instskip(NEXT) | instid1(VALU_DEP_1)
	v_sub_nc_u32_e32 v7, v7, v8
	v_cmp_lt_u32_e64 s0, s39, v7
	s_and_b32 s3, s0, exec_lo
.LBB1896_106:
	s_or_b32 exec_lo, exec_lo, s4
	v_cndmask_b32_e64 v7, 0, 1, vcc_lo
	v_dual_lshrrev_b32 v8, 8, v6 :: v_dual_lshrrev_b32 v9, 16, v6
	v_cndmask_b32_e64 v39, 0, 1, s3
	s_delay_alu instid0(VALU_DEP_3) | instskip(NEXT) | instid1(VALU_DEP_3)
	v_lshlrev_b16 v7, 8, v7
	v_lshlrev_b16 v8, 8, v8
	s_delay_alu instid0(VALU_DEP_2) | instskip(NEXT) | instid1(VALU_DEP_2)
	v_bitop3_b16 v7, v9, v7, 0xff bitop3:0xec
	v_bitop3_b16 v6, v6, v8, 0xff bitop3:0xec
	s_delay_alu instid0(VALU_DEP_2) | instskip(NEXT) | instid1(VALU_DEP_2)
	v_lshlrev_b32_e32 v7, 16, v7
	v_and_b32_e32 v6, 0xffff, v6
	s_delay_alu instid0(VALU_DEP_1)
	v_or_b32_e32 v41, v6, v7
.LBB1896_107:
	s_or_b32 exec_lo, exec_lo, s1
	v_dual_add_nc_u32 v8, 12, v15 :: v_dual_lshrrev_b32 v6, 8, v1
	v_dual_lshrrev_b32 v7, 16, v1 :: v_dual_lshrrev_b32 v1, 24, v1
	s_mov_b32 s0, exec_lo
                                        ; implicit-def: $vgpr42
	s_delay_alu instid0(VALU_DEP_2)
	v_cmpx_le_u32_e64 s5, v8
	s_xor_b32 s0, exec_lo, s0
; %bb.108:
	s_delay_alu instid0(VALU_DEP_2) | instskip(SKIP_1) | instid1(VALU_DEP_2)
	v_lshlrev_b16 v1, 8, v1
	v_lshlrev_b16 v6, 8, v6
	v_bitop3_b16 v1, v7, v1, 0xff bitop3:0xec
	s_delay_alu instid0(VALU_DEP_2) | instskip(NEXT) | instid1(VALU_DEP_2)
	v_and_b32_e32 v6, 0xffff, v6
                                        ; implicit-def: $vgpr7
	v_lshlrev_b32_e32 v1, 16, v1
	s_delay_alu instid0(VALU_DEP_1)
	v_or_b32_e32 v42, v6, v1
                                        ; implicit-def: $vgpr1
                                        ; implicit-def: $vgpr6
; %bb.109:
	s_or_saveexec_b32 s1, s0
	v_mov_b32_e32 v43, 0
	s_xor_b32 exec_lo, exec_lo, s1
	s_cbranch_execz .LBB1896_113
; %bb.110:
	v_dual_add_nc_u32 v8, s19, v34 :: v_dual_add_nc_u32 v9, s17, v34
	s_mov_b32 s3, 0
	s_mov_b32 s4, exec_lo
	s_delay_alu instid0(VALU_DEP_1) | instskip(NEXT) | instid1(VALU_DEP_2)
	v_mul_lo_u32 v8, v8, s18
	v_mul_lo_u32 v9, v9, s16
	s_delay_alu instid0(VALU_DEP_1) | instskip(NEXT) | instid1(VALU_DEP_1)
	v_sub_nc_u32_e32 v8, v9, v8
	v_cmp_lt_u32_e32 vcc_lo, s20, v8
	v_cmpx_ge_u32_e64 s20, v8
	s_cbranch_execz .LBB1896_112
; %bb.111:
	v_dual_add_nc_u32 v8, s38, v34 :: v_dual_add_nc_u32 v9, s22, v34
	s_delay_alu instid0(VALU_DEP_1) | instskip(NEXT) | instid1(VALU_DEP_2)
	v_mul_lo_u32 v8, v8, s23
	v_mul_lo_u32 v9, v9, s21
	s_delay_alu instid0(VALU_DEP_1) | instskip(NEXT) | instid1(VALU_DEP_1)
	v_sub_nc_u32_e32 v8, v9, v8
	v_cmp_lt_u32_e64 s0, s39, v8
	s_and_b32 s3, s0, exec_lo
.LBB1896_112:
	s_or_b32 exec_lo, exec_lo, s4
	v_cndmask_b32_e64 v8, 0, 1, vcc_lo
	v_lshlrev_b16 v1, 8, v1
	v_lshlrev_b16 v6, 8, v6
	v_cndmask_b32_e64 v43, 0, 1, s3
	s_delay_alu instid0(VALU_DEP_3) | instskip(NEXT) | instid1(VALU_DEP_1)
	v_bitop3_b16 v1, v7, v1, 0xff bitop3:0xec
	v_dual_lshlrev_b32 v1, 16, v1 :: v_dual_bitop2_b32 v6, v8, v6 bitop3:0x54
	s_delay_alu instid0(VALU_DEP_1) | instskip(NEXT) | instid1(VALU_DEP_1)
	v_and_b32_e32 v6, 0xffff, v6
	v_or_b32_e32 v42, v6, v1
.LBB1896_113:
	s_or_b32 exec_lo, exec_lo, s1
.LBB1896_114:
	v_and_b32_e32 v66, 0xff, v36
	s_delay_alu instid0(VALU_DEP_2)
	v_bfe_u32 v67, v42, 8, 8
	v_bfe_u32 v64, v36, 8, 8
	;; [unrolled: 1-line block ×4, first 2 shown]
	v_dual_lshrrev_b32 v49, 24, v42 :: v_dual_lshrrev_b32 v48, 24, v36
	v_and_b32_e32 v62, 0xff, v37
	v_and_b32_e32 v60, 0xff, v38
	v_bfe_u32 v61, v37, 8, 8
	v_add3_u32 v1, v64, v66, v63
	v_add3_u32 v6, v65, v67, v49
	v_bfe_u32 v58, v38, 8, 8
	v_bfe_u32 v59, v37, 16, 8
	;; [unrolled: 1-line block ×3, first 2 shown]
	v_dual_lshrrev_b32 v47, 24, v37 :: v_dual_lshrrev_b32 v46, 24, v38
	v_add3_u32 v1, v1, v48, v60
	v_add3_u32 v6, v6, v62, v61
	v_and_b32_e32 v57, 0xff, v40
	v_and_b32_e32 v53, 0xff, v41
	v_bfe_u32 v55, v40, 8, 8
	v_add3_u32 v1, v1, v58, v56
	v_add3_u32 v6, v6, v59, v47
	v_bfe_u32 v52, v41, 8, 8
	v_bfe_u32 v54, v40, 16, 8
	;; [unrolled: 1-line block ×3, first 2 shown]
	v_dual_lshrrev_b32 v45, 24, v40 :: v_dual_lshrrev_b32 v44, 24, v41
	v_add3_u32 v1, v1, v46, v53
	v_add3_u32 v6, v6, v57, v55
	v_mbcnt_lo_u32_b32 v68, -1, 0
	v_and_b32_e32 v50, 0xff, v39
	v_and_b32_e32 v7, 0xff, v42
	;; [unrolled: 1-line block ×3, first 2 shown]
	v_add3_u32 v1, v1, v52, v51
	v_add3_u32 v6, v6, v54, v45
	v_and_b32_e32 v70, 15, v68
	v_and_b32_e32 v72, 16, v68
	v_dual_lshrrev_b32 v69, 5, v0 :: v_dual_bitop2_b32 v71, 31, v0 bitop3:0x54
	v_add3_u32 v73, v1, v44, v7
	v_add3_u32 v74, v6, v50, v8
	v_cmp_eq_u32_e64 s1, 0, v70
	v_cmp_lt_u32_e64 s0, 1, v70
	v_cmp_lt_u32_e64 s3, 3, v70
	s_cmp_lg_u32 s27, 0
	s_mov_b32 s4, -1
	v_cmp_lt_u32_e32 vcc_lo, 7, v70
	s_cbranch_scc0 .LBB1896_135
; %bb.115:
	v_mov_b32_dpp v1, v74 row_shr:1 row_mask:0xf bank_mask:0xf
	v_mov_b32_dpp v6, v73 row_shr:1 row_mask:0xf bank_mask:0xf
	s_mov_b32 s4, exec_lo
	s_delay_alu instid0(VALU_DEP_1) | instskip(NEXT) | instid1(VALU_DEP_1)
	v_dual_add_nc_u32 v1, v1, v74 :: v_dual_add_nc_u32 v6, v6, v73
	v_dual_cndmask_b32 v1, v1, v74, s1 :: v_dual_cndmask_b32 v6, v6, v73, s1
	s_delay_alu instid0(VALU_DEP_1) | instskip(NEXT) | instid1(VALU_DEP_2)
	v_mov_b32_dpp v7, v1 row_shr:2 row_mask:0xf bank_mask:0xf
	v_mov_b32_dpp v8, v6 row_shr:2 row_mask:0xf bank_mask:0xf
	s_delay_alu instid0(VALU_DEP_1) | instskip(NEXT) | instid1(VALU_DEP_1)
	v_dual_add_nc_u32 v7, v1, v7 :: v_dual_add_nc_u32 v8, v6, v8
	v_dual_cndmask_b32 v1, v1, v7, s0 :: v_dual_cndmask_b32 v6, v6, v8, s0
	s_delay_alu instid0(VALU_DEP_1) | instskip(NEXT) | instid1(VALU_DEP_2)
	v_mov_b32_dpp v7, v1 row_shr:4 row_mask:0xf bank_mask:0xf
	v_mov_b32_dpp v8, v6 row_shr:4 row_mask:0xf bank_mask:0xf
	;; [unrolled: 6-line block ×3, first 2 shown]
	s_delay_alu instid0(VALU_DEP_1) | instskip(NEXT) | instid1(VALU_DEP_1)
	v_dual_add_nc_u32 v7, v1, v7 :: v_dual_add_nc_u32 v8, v6, v8
	v_dual_cndmask_b32 v1, v1, v7 :: v_dual_cndmask_b32 v6, v6, v8
	v_cmp_eq_u32_e32 vcc_lo, 0, v72
	ds_swizzle_b32 v7, v1 offset:swizzle(BROADCAST,32,15)
	ds_swizzle_b32 v8, v6 offset:swizzle(BROADCAST,32,15)
	s_wait_dscnt 0x0
	v_dual_add_nc_u32 v7, v1, v7 :: v_dual_add_nc_u32 v8, v6, v8
	v_cmpx_eq_u32_e64 v0, v71
; %bb.116:
	s_delay_alu instid0(VALU_DEP_2) | instskip(NEXT) | instid1(VALU_DEP_3)
	v_dual_cndmask_b32 v10, v8, v6 :: v_dual_lshlrev_b32 v9, 3, v69
	v_cndmask_b32_e32 v11, v7, v1, vcc_lo
	ds_store_b64 v9, v[10:11]
; %bb.117:
	s_or_b32 exec_lo, exec_lo, s4
	s_delay_alu instid0(SALU_CYCLE_1)
	s_mov_b32 s4, exec_lo
	s_wait_dscnt 0x0
	s_barrier_signal -1
	s_barrier_wait -1
	v_cmpx_gt_u32_e32 8, v0
	s_cbranch_execz .LBB1896_119
; %bb.118:
	v_lshlrev_b32_e32 v9, 3, v0
	ds_load_b64 v[10:11], v9
	s_wait_dscnt 0x0
	v_mov_b32_dpp v12, v10 row_shr:1 row_mask:0xf bank_mask:0xf
	v_mov_b32_dpp v13, v11 row_shr:1 row_mask:0xf bank_mask:0xf
	s_delay_alu instid0(VALU_DEP_2) | instskip(NEXT) | instid1(VALU_DEP_2)
	v_dual_add_nc_u32 v12, v12, v10 :: v_dual_bitop2_b32 v28, 7, v68 bitop3:0x40
	v_add_nc_u32_e32 v13, v13, v11
	s_delay_alu instid0(VALU_DEP_2) | instskip(NEXT) | instid1(VALU_DEP_1)
	v_cmp_eq_u32_e64 s3, 0, v28
	v_dual_cndmask_b32 v11, v13, v11, s3 :: v_dual_cndmask_b32 v10, v12, v10, s3
	v_cmp_lt_u32_e64 s3, 1, v28
	s_delay_alu instid0(VALU_DEP_2) | instskip(NEXT) | instid1(VALU_DEP_3)
	v_mov_b32_dpp v13, v11 row_shr:2 row_mask:0xf bank_mask:0xf
	v_mov_b32_dpp v12, v10 row_shr:2 row_mask:0xf bank_mask:0xf
	s_delay_alu instid0(VALU_DEP_1) | instskip(NEXT) | instid1(VALU_DEP_1)
	v_dual_add_nc_u32 v13, v11, v13 :: v_dual_add_nc_u32 v12, v10, v12
	v_dual_cndmask_b32 v11, v11, v13, s3 :: v_dual_cndmask_b32 v10, v10, v12, s3
	v_cmp_lt_u32_e64 s3, 3, v28
	s_delay_alu instid0(VALU_DEP_2) | instskip(NEXT) | instid1(VALU_DEP_3)
	v_mov_b32_dpp v13, v11 row_shr:4 row_mask:0xf bank_mask:0xf
	v_mov_b32_dpp v12, v10 row_shr:4 row_mask:0xf bank_mask:0xf
	s_delay_alu instid0(VALU_DEP_1) | instskip(NEXT) | instid1(VALU_DEP_1)
	v_dual_cndmask_b32 v13, 0, v13, s3 :: v_dual_cndmask_b32 v12, 0, v12, s3
	v_dual_add_nc_u32 v11, v13, v11 :: v_dual_add_nc_u32 v10, v12, v10
	ds_store_b64 v9, v[10:11]
.LBB1896_119:
	s_or_b32 exec_lo, exec_lo, s4
	v_dual_cndmask_b32 v1, v7, v1 :: v_dual_cndmask_b32 v6, v8, v6
	s_mov_b32 s4, exec_lo
	v_cmp_gt_u32_e32 vcc_lo, 32, v0
	s_wait_dscnt 0x0
	s_barrier_signal -1
	s_barrier_wait -1
                                        ; implicit-def: $vgpr28
	v_cmpx_lt_u32_e32 31, v0
	s_cbranch_execz .LBB1896_121
; %bb.120:
	v_lshl_add_u32 v7, v69, 3, -8
	ds_load_b64 v[28:29], v7
	s_wait_dscnt 0x0
	v_dual_add_nc_u32 v1, v29, v1 :: v_dual_add_nc_u32 v6, v28, v6
.LBB1896_121:
	s_or_b32 exec_lo, exec_lo, s4
	v_sub_co_u32 v7, s3, v68, 1
	s_delay_alu instid0(VALU_DEP_1) | instskip(NEXT) | instid1(VALU_DEP_1)
	v_cmp_gt_i32_e64 s4, 0, v7
	v_cndmask_b32_e64 v7, v7, v68, s4
	s_delay_alu instid0(VALU_DEP_1)
	v_lshlrev_b32_e32 v7, 2, v7
	ds_bpermute_b32 v75, v7, v6
	ds_bpermute_b32 v1, v7, v1
	s_and_saveexec_b32 s4, vcc_lo
	s_cbranch_execz .LBB1896_140
; %bb.122:
	v_mov_b32_e32 v9, 0
	ds_load_b64 v[6:7], v9 offset:56
	s_and_saveexec_b32 s6, s3
	s_cbranch_execz .LBB1896_124
; %bb.123:
	s_add_co_i32 s8, s27, 32
	s_mov_b32 s9, 0
	v_mov_b32_e32 v8, 1
	s_lshl_b64 s[8:9], s[8:9], 4
	s_delay_alu instid0(SALU_CYCLE_1) | instskip(NEXT) | instid1(SALU_CYCLE_1)
	s_add_nc_u64 s[8:9], s[36:37], s[8:9]
	v_mov_b64_e32 v[10:11], s[8:9]
	s_wait_dscnt 0x0
	;;#ASMSTART
	global_store_b128 v[10:11], v[6:9] off scope:SCOPE_DEV	
s_wait_storecnt 0x0
	;;#ASMEND
.LBB1896_124:
	s_or_b32 exec_lo, exec_lo, s6
	v_xad_u32 v30, v68, -1, s27
	s_mov_b32 s7, 0
	s_mov_b32 s6, exec_lo
	s_delay_alu instid0(VALU_DEP_1) | instskip(NEXT) | instid1(VALU_DEP_1)
	v_add_nc_u32_e32 v8, 32, v30
	v_lshl_add_u64 v[8:9], v[8:9], 4, s[36:37]
	;;#ASMSTART
	global_load_b128 v[10:13], v[8:9] off scope:SCOPE_DEV	
s_wait_loadcnt 0x0
	;;#ASMEND
	v_and_b32_e32 v13, 0xff, v12
	s_delay_alu instid0(VALU_DEP_1)
	v_cmpx_eq_u16_e32 0, v13
	s_cbranch_execz .LBB1896_127
.LBB1896_125:                           ; =>This Inner Loop Header: Depth=1
	;;#ASMSTART
	global_load_b128 v[10:13], v[8:9] off scope:SCOPE_DEV	
s_wait_loadcnt 0x0
	;;#ASMEND
	v_and_b32_e32 v13, 0xff, v12
	s_delay_alu instid0(VALU_DEP_1) | instskip(SKIP_1) | instid1(SALU_CYCLE_1)
	v_cmp_ne_u16_e32 vcc_lo, 0, v13
	s_or_b32 s7, vcc_lo, s7
	s_and_not1_b32 exec_lo, exec_lo, s7
	s_cbranch_execnz .LBB1896_125
; %bb.126:
	s_or_b32 exec_lo, exec_lo, s7
.LBB1896_127:
	s_delay_alu instid0(SALU_CYCLE_1) | instskip(SKIP_4) | instid1(VALU_DEP_1)
	s_or_b32 exec_lo, exec_lo, s6
	v_cmp_ne_u32_e32 vcc_lo, 31, v68
	v_lshlrev_b32_e64 v77, v68, -1
	v_lshl_or_b32 v84, v68, 2, 64
	v_add_co_ci_u32_e64 v8, null, 0, v68, vcc_lo
	v_lshlrev_b32_e32 v76, 2, v8
	v_and_b32_e32 v8, 0xff, v12
	s_delay_alu instid0(VALU_DEP_1)
	v_cmp_eq_u16_e32 vcc_lo, 2, v8
	v_and_b32_e32 v13, vcc_lo, v77
	ds_bpermute_b32 v9, v76, v11
	ds_bpermute_b32 v8, v76, v10
	v_cmp_gt_u32_e32 vcc_lo, 30, v68
	v_or_b32_e32 v13, 0x80000000, v13
	v_cndmask_b32_e64 v31, 0, 2, vcc_lo
	s_delay_alu instid0(VALU_DEP_2) | instskip(NEXT) | instid1(VALU_DEP_2)
	v_ctz_i32_b32_e32 v13, v13
	v_add_lshl_u32 v78, v31, v68, 2
	s_delay_alu instid0(VALU_DEP_2) | instskip(SKIP_2) | instid1(VALU_DEP_1)
	v_cmp_lt_u32_e32 vcc_lo, v68, v13
	s_wait_dscnt 0x0
	v_dual_add_nc_u32 v9, v9, v11 :: v_dual_add_nc_u32 v8, v8, v10
	v_dual_cndmask_b32 v9, v11, v9 :: v_dual_cndmask_b32 v8, v10, v8
	v_cmp_gt_u32_e32 vcc_lo, 28, v68
	ds_bpermute_b32 v10, v78, v9
	ds_bpermute_b32 v11, v78, v8
	v_add_nc_u32_e32 v79, 2, v68
	v_cndmask_b32_e64 v31, 0, 4, vcc_lo
	s_delay_alu instid0(VALU_DEP_1) | instskip(SKIP_4) | instid1(VALU_DEP_2)
	v_add_lshl_u32 v80, v31, v68, 2
	s_wait_dscnt 0x1
	v_add_nc_u32_e32 v10, v9, v10
	v_cmp_gt_u32_e32 vcc_lo, v79, v13
	s_wait_dscnt 0x0
	v_dual_add_nc_u32 v11, v8, v11 :: v_dual_cndmask_b32 v9, v10, v9, vcc_lo
	ds_bpermute_b32 v10, v80, v9
	v_cndmask_b32_e32 v8, v11, v8, vcc_lo
	v_cmp_gt_u32_e32 vcc_lo, 24, v68
	v_cndmask_b32_e64 v31, 0, 8, vcc_lo
	s_delay_alu instid0(VALU_DEP_1)
	v_add_lshl_u32 v82, v31, v68, 2
	s_wait_dscnt 0x0
	v_dual_mov_b32 v31, 0 :: v_dual_add_nc_u32 v10, v9, v10
	ds_bpermute_b32 v11, v80, v8
	s_wait_dscnt 0x0
	v_dual_add_nc_u32 v81, 4, v68 :: v_dual_add_nc_u32 v11, v8, v11
	s_delay_alu instid0(VALU_DEP_1) | instskip(NEXT) | instid1(VALU_DEP_2)
	v_cmp_gt_u32_e32 vcc_lo, v81, v13
	v_dual_cndmask_b32 v9, v10, v9 :: v_dual_cndmask_b32 v8, v11, v8
	ds_bpermute_b32 v10, v82, v9
	ds_bpermute_b32 v11, v82, v8
	s_wait_dscnt 0x1
	v_dual_add_nc_u32 v83, 8, v68 :: v_dual_add_nc_u32 v10, v9, v10
	s_delay_alu instid0(VALU_DEP_1) | instskip(SKIP_1) | instid1(VALU_DEP_2)
	v_cmp_gt_u32_e32 vcc_lo, v83, v13
	s_wait_dscnt 0x0
	v_dual_add_nc_u32 v11, v8, v11 :: v_dual_cndmask_b32 v9, v10, v9, vcc_lo
	s_delay_alu instid0(VALU_DEP_1) | instskip(SKIP_3) | instid1(VALU_DEP_1)
	v_cndmask_b32_e32 v8, v11, v8, vcc_lo
	ds_bpermute_b32 v11, v84, v9
	ds_bpermute_b32 v10, v84, v8
	v_add_nc_u32_e32 v85, 16, v68
	v_cmp_le_u32_e32 vcc_lo, v85, v13
	s_wait_dscnt 0x0
	v_dual_cndmask_b32 v11, 0, v11 :: v_dual_cndmask_b32 v10, 0, v10
	s_delay_alu instid0(VALU_DEP_1)
	v_dual_add_nc_u32 v11, v11, v9 :: v_dual_add_nc_u32 v10, v10, v8
	s_branch .LBB1896_131
.LBB1896_128:                           ;   in Loop: Header=BB1896_131 Depth=1
	s_or_b32 exec_lo, exec_lo, s7
.LBB1896_129:                           ;   in Loop: Header=BB1896_131 Depth=1
	s_delay_alu instid0(SALU_CYCLE_1)
	s_or_b32 exec_lo, exec_lo, s6
	ds_bpermute_b32 v13, v76, v10
	ds_bpermute_b32 v32, v76, v11
	v_and_b32_e32 v33, 0xff, v12
	v_subrev_nc_u32_e32 v30, 32, v30
	s_mov_b32 s6, 0
	s_delay_alu instid0(VALU_DEP_2) | instskip(SKIP_1) | instid1(VALU_DEP_1)
	v_cmp_eq_u16_e32 vcc_lo, 2, v33
	v_and_or_b32 v33, vcc_lo, v77, 0x80000000
	v_ctz_i32_b32_e32 v33, v33
	s_wait_dscnt 0x0
	v_dual_add_nc_u32 v13, v13, v10 :: v_dual_add_nc_u32 v32, v32, v11
	s_delay_alu instid0(VALU_DEP_2) | instskip(NEXT) | instid1(VALU_DEP_2)
	v_cmp_lt_u32_e32 vcc_lo, v68, v33
	v_dual_cndmask_b32 v11, v11, v32 :: v_dual_cndmask_b32 v10, v10, v13
	v_cmp_gt_u32_e32 vcc_lo, v79, v33
	ds_bpermute_b32 v32, v78, v11
	ds_bpermute_b32 v13, v78, v10
	s_wait_dscnt 0x0
	v_dual_add_nc_u32 v32, v11, v32 :: v_dual_add_nc_u32 v13, v10, v13
	s_delay_alu instid0(VALU_DEP_1)
	v_dual_cndmask_b32 v11, v32, v11 :: v_dual_cndmask_b32 v10, v13, v10
	v_cmp_gt_u32_e32 vcc_lo, v81, v33
	ds_bpermute_b32 v32, v80, v11
	ds_bpermute_b32 v13, v80, v10
	s_wait_dscnt 0x0
	v_dual_add_nc_u32 v32, v11, v32 :: v_dual_add_nc_u32 v13, v10, v13
	s_delay_alu instid0(VALU_DEP_1)
	;; [unrolled: 7-line block ×3, first 2 shown]
	v_dual_cndmask_b32 v11, v32, v11 :: v_dual_cndmask_b32 v10, v13, v10
	v_cmp_le_u32_e32 vcc_lo, v85, v33
	ds_bpermute_b32 v32, v84, v11
	ds_bpermute_b32 v13, v84, v10
	s_wait_dscnt 0x0
	v_dual_cndmask_b32 v32, 0, v32 :: v_dual_cndmask_b32 v13, 0, v13
	s_delay_alu instid0(VALU_DEP_1) | instskip(NEXT) | instid1(VALU_DEP_2)
	v_add3_u32 v11, v11, v9, v32
	v_add3_u32 v10, v10, v8, v13
.LBB1896_130:                           ;   in Loop: Header=BB1896_131 Depth=1
	s_and_b32 vcc_lo, exec_lo, s6
	s_cbranch_vccnz .LBB1896_136
.LBB1896_131:                           ; =>This Loop Header: Depth=1
                                        ;     Child Loop BB1896_134 Depth 2
	v_and_b32_e32 v8, 0xff, v12
	s_mov_b32 s6, -1
                                        ; implicit-def: $vgpr12
	s_delay_alu instid0(VALU_DEP_1)
	v_cmp_ne_u16_e32 vcc_lo, 2, v8
	v_mov_b64_e32 v[8:9], v[10:11]
                                        ; implicit-def: $vgpr10_vgpr11
	s_cmp_lg_u32 vcc_lo, exec_lo
	s_cbranch_scc1 .LBB1896_130
; %bb.132:                              ;   in Loop: Header=BB1896_131 Depth=1
	v_lshl_add_u64 v[32:33], v[30:31], 4, s[36:37]
	;;#ASMSTART
	global_load_b128 v[10:13], v[32:33] off scope:SCOPE_DEV	
s_wait_loadcnt 0x0
	;;#ASMEND
	v_and_b32_e32 v13, 0xff, v12
	s_mov_b32 s6, exec_lo
	s_delay_alu instid0(VALU_DEP_1)
	v_cmpx_eq_u16_e32 0, v13
	s_cbranch_execz .LBB1896_129
; %bb.133:                              ;   in Loop: Header=BB1896_131 Depth=1
	s_mov_b32 s7, 0
.LBB1896_134:                           ;   Parent Loop BB1896_131 Depth=1
                                        ; =>  This Inner Loop Header: Depth=2
	;;#ASMSTART
	global_load_b128 v[10:13], v[32:33] off scope:SCOPE_DEV	
s_wait_loadcnt 0x0
	;;#ASMEND
	v_and_b32_e32 v13, 0xff, v12
	s_delay_alu instid0(VALU_DEP_1) | instskip(SKIP_1) | instid1(SALU_CYCLE_1)
	v_cmp_ne_u16_e32 vcc_lo, 0, v13
	s_or_b32 s7, vcc_lo, s7
	s_and_not1_b32 exec_lo, exec_lo, s7
	s_cbranch_execnz .LBB1896_134
	s_branch .LBB1896_128
.LBB1896_135:
                                        ; implicit-def: $vgpr1
                                        ; implicit-def: $vgpr8
                                        ; implicit-def: $vgpr10
                                        ; implicit-def: $vgpr12
                                        ; implicit-def: $vgpr28
	s_and_b32 vcc_lo, exec_lo, s4
	s_cbranch_vccnz .LBB1896_141
	s_branch .LBB1896_150
.LBB1896_136:
	s_and_saveexec_b32 s6, s3
	s_cbranch_execz .LBB1896_138
; %bb.137:
	s_add_co_i32 s8, s27, 32
	s_mov_b32 s9, 0
	v_dual_mov_b32 v12, 2 :: v_dual_mov_b32 v13, 0
	s_lshl_b64 s[8:9], s[8:9], 4
	v_dual_add_nc_u32 v11, v9, v7 :: v_dual_add_nc_u32 v10, v8, v6
	s_add_nc_u64 s[8:9], s[36:37], s[8:9]
	s_delay_alu instid0(SALU_CYCLE_1)
	v_mov_b64_e32 v[30:31], s[8:9]
	;;#ASMSTART
	global_store_b128 v[30:31], v[10:13] off scope:SCOPE_DEV	
s_wait_storecnt 0x0
	;;#ASMEND
	ds_store_b128 v13, v[6:9] offset:13312
.LBB1896_138:
	s_or_b32 exec_lo, exec_lo, s6
	s_delay_alu instid0(SALU_CYCLE_1)
	s_and_b32 exec_lo, exec_lo, s2
; %bb.139:
	v_mov_b32_e32 v6, 0
	ds_store_b64 v6, v[8:9] offset:56
.LBB1896_140:
	s_or_b32 exec_lo, exec_lo, s4
	s_wait_dscnt 0x0
	v_dual_mov_b32 v6, 0 :: v_dual_cndmask_b32 v1, v1, v29, s3
	s_barrier_signal -1
	s_barrier_wait -1
	ds_load_b64 v[12:13], v6 offset:56
	s_wait_dscnt 0x0
	s_barrier_signal -1
	s_barrier_wait -1
	ds_load_b128 v[6:9], v6 offset:13312
	v_cndmask_b32_e64 v10, v75, v28, s3
	s_delay_alu instid0(VALU_DEP_1) | instskip(SKIP_2) | instid1(VALU_DEP_2)
	v_dual_add_nc_u32 v1, v13, v1 :: v_dual_add_nc_u32 v11, v12, v10
	s_wait_dscnt 0x0
	v_mov_b32_e32 v10, v9
	v_dual_cndmask_b32 v1, v1, v13, s2 :: v_dual_cndmask_b32 v28, v11, v12, s2
	v_mov_b32_e32 v12, v7
	s_branch .LBB1896_150
.LBB1896_141:
	v_mov_b32_dpp v1, v73 row_shr:1 row_mask:0xf bank_mask:0xf
	v_mov_b32_dpp v6, v74 row_shr:1 row_mask:0xf bank_mask:0xf
	v_cmp_lt_u32_e32 vcc_lo, 3, v70
	s_delay_alu instid0(VALU_DEP_2) | instskip(NEXT) | instid1(VALU_DEP_1)
	v_dual_add_nc_u32 v1, v1, v73 :: v_dual_add_nc_u32 v6, v6, v74
	v_dual_cndmask_b32 v1, v1, v73, s1 :: v_dual_cndmask_b32 v6, v6, v74, s1
	s_mov_b32 s1, exec_lo
	s_delay_alu instid0(VALU_DEP_1) | instskip(NEXT) | instid1(VALU_DEP_2)
	v_mov_b32_dpp v7, v1 row_shr:2 row_mask:0xf bank_mask:0xf
	v_mov_b32_dpp v8, v6 row_shr:2 row_mask:0xf bank_mask:0xf
	s_delay_alu instid0(VALU_DEP_1) | instskip(NEXT) | instid1(VALU_DEP_1)
	v_dual_add_nc_u32 v7, v1, v7 :: v_dual_add_nc_u32 v8, v6, v8
	v_dual_cndmask_b32 v1, v1, v7, s0 :: v_dual_cndmask_b32 v6, v6, v8, s0
	s_delay_alu instid0(VALU_DEP_1) | instskip(NEXT) | instid1(VALU_DEP_2)
	v_mov_b32_dpp v7, v1 row_shr:4 row_mask:0xf bank_mask:0xf
	v_mov_b32_dpp v8, v6 row_shr:4 row_mask:0xf bank_mask:0xf
	s_delay_alu instid0(VALU_DEP_1) | instskip(NEXT) | instid1(VALU_DEP_1)
	v_dual_add_nc_u32 v7, v1, v7 :: v_dual_add_nc_u32 v8, v6, v8
	v_dual_cndmask_b32 v7, v1, v7 :: v_dual_cndmask_b32 v6, v6, v8
	v_cmp_lt_u32_e32 vcc_lo, 7, v70
	s_delay_alu instid0(VALU_DEP_2) | instskip(NEXT) | instid1(VALU_DEP_3)
	v_mov_b32_dpp v1, v7 row_shr:8 row_mask:0xf bank_mask:0xf
	v_mov_b32_dpp v8, v6 row_shr:8 row_mask:0xf bank_mask:0xf
	s_delay_alu instid0(VALU_DEP_1) | instskip(NEXT) | instid1(VALU_DEP_1)
	v_dual_add_nc_u32 v9, v7, v1 :: v_dual_add_nc_u32 v1, v6, v8
	v_cndmask_b32_e32 v1, v6, v1, vcc_lo
	s_delay_alu instid0(VALU_DEP_2)
	v_cndmask_b32_e32 v6, v7, v9, vcc_lo
	v_cmp_eq_u32_e32 vcc_lo, 0, v72
	ds_swizzle_b32 v8, v6 offset:swizzle(BROADCAST,32,15)
	s_wait_dscnt 0x0
	v_add_nc_u32_e32 v8, v6, v8
	ds_swizzle_b32 v7, v1 offset:swizzle(BROADCAST,32,15)
	s_wait_dscnt 0x0
	v_add_nc_u32_e32 v7, v1, v7
	v_cmpx_eq_u32_e64 v0, v71
; %bb.142:
	s_delay_alu instid0(VALU_DEP_2)
	v_dual_cndmask_b32 v10, v8, v6 :: v_dual_cndmask_b32 v11, v7, v1
	v_lshlrev_b32_e32 v9, 3, v69
	ds_store_b64 v9, v[10:11]
; %bb.143:
	s_or_b32 exec_lo, exec_lo, s1
	s_delay_alu instid0(SALU_CYCLE_1)
	s_mov_b32 s1, exec_lo
	s_wait_dscnt 0x0
	s_barrier_signal -1
	s_barrier_wait -1
	v_cmpx_gt_u32_e32 8, v0
	s_cbranch_execz .LBB1896_145
; %bb.144:
	v_lshlrev_b32_e32 v9, 3, v0
	ds_load_b64 v[10:11], v9
	s_wait_dscnt 0x0
	v_mov_b32_dpp v12, v10 row_shr:1 row_mask:0xf bank_mask:0xf
	v_mov_b32_dpp v13, v11 row_shr:1 row_mask:0xf bank_mask:0xf
	s_delay_alu instid0(VALU_DEP_2) | instskip(NEXT) | instid1(VALU_DEP_2)
	v_dual_add_nc_u32 v12, v12, v10 :: v_dual_bitop2_b32 v28, 7, v68 bitop3:0x40
	v_add_nc_u32_e32 v13, v13, v11
	s_delay_alu instid0(VALU_DEP_2) | instskip(NEXT) | instid1(VALU_DEP_1)
	v_cmp_eq_u32_e64 s0, 0, v28
	v_dual_cndmask_b32 v11, v13, v11, s0 :: v_dual_cndmask_b32 v10, v12, v10, s0
	v_cmp_lt_u32_e64 s0, 1, v28
	s_delay_alu instid0(VALU_DEP_2) | instskip(NEXT) | instid1(VALU_DEP_3)
	v_mov_b32_dpp v13, v11 row_shr:2 row_mask:0xf bank_mask:0xf
	v_mov_b32_dpp v12, v10 row_shr:2 row_mask:0xf bank_mask:0xf
	s_delay_alu instid0(VALU_DEP_1) | instskip(NEXT) | instid1(VALU_DEP_1)
	v_dual_add_nc_u32 v13, v11, v13 :: v_dual_add_nc_u32 v12, v10, v12
	v_dual_cndmask_b32 v11, v11, v13, s0 :: v_dual_cndmask_b32 v10, v10, v12, s0
	v_cmp_lt_u32_e64 s0, 3, v28
	s_delay_alu instid0(VALU_DEP_2) | instskip(NEXT) | instid1(VALU_DEP_3)
	v_mov_b32_dpp v13, v11 row_shr:4 row_mask:0xf bank_mask:0xf
	v_mov_b32_dpp v12, v10 row_shr:4 row_mask:0xf bank_mask:0xf
	s_delay_alu instid0(VALU_DEP_1) | instskip(NEXT) | instid1(VALU_DEP_1)
	v_dual_cndmask_b32 v13, 0, v13, s0 :: v_dual_cndmask_b32 v12, 0, v12, s0
	v_dual_add_nc_u32 v11, v13, v11 :: v_dual_add_nc_u32 v10, v12, v10
	ds_store_b64 v9, v[10:11]
.LBB1896_145:
	s_or_b32 exec_lo, exec_lo, s1
	v_dual_mov_b32 v9, 0 :: v_dual_mov_b32 v10, 0
	v_mov_b32_e32 v11, 0
	s_mov_b32 s1, exec_lo
	s_wait_dscnt 0x0
	s_barrier_signal -1
	s_barrier_wait -1
	v_cmpx_lt_u32_e32 31, v0
; %bb.146:
	v_lshl_add_u32 v10, v69, 3, -8
	ds_load_b64 v[10:11], v10
; %bb.147:
	s_or_b32 exec_lo, exec_lo, s1
	v_sub_co_u32 v12, s0, v68, 1
	v_dual_cndmask_b32 v6, v8, v6 :: v_dual_cndmask_b32 v1, v7, v1
	s_delay_alu instid0(VALU_DEP_2) | instskip(SKIP_1) | instid1(VALU_DEP_1)
	v_cmp_gt_i32_e64 s1, 0, v12
	s_wait_dscnt 0x0
	v_dual_add_nc_u32 v6, v10, v6 :: v_dual_cndmask_b32 v8, v12, v68, s1
	s_delay_alu instid0(VALU_DEP_1)
	v_dual_lshlrev_b32 v7, 2, v8 :: v_dual_add_nc_u32 v8, v11, v1
	ds_bpermute_b32 v1, v7, v6
	ds_bpermute_b32 v12, v7, v8
	ds_load_b64 v[6:7], v9 offset:56
	s_and_saveexec_b32 s1, s2
	s_cbranch_execz .LBB1896_149
; %bb.148:
	s_add_nc_u64 s[6:7], s[36:37], 0x200
	v_dual_mov_b32 v8, 2 :: v_dual_mov_b32 v9, 0
	v_mov_b64_e32 v[28:29], s[6:7]
	s_wait_dscnt 0x0
	;;#ASMSTART
	global_store_b128 v[28:29], v[6:9] off scope:SCOPE_DEV	
s_wait_storecnt 0x0
	;;#ASMEND
.LBB1896_149:
	s_or_b32 exec_lo, exec_lo, s1
	s_wait_dscnt 0x1
	v_dual_cndmask_b32 v9, v12, v11, s0 :: v_dual_cndmask_b32 v11, v1, v10, s0
	v_dual_mov_b32 v10, 0 :: v_dual_mov_b32 v8, 0
	s_wait_dscnt 0x0
	v_mov_b32_e32 v12, v7
	s_delay_alu instid0(VALU_DEP_3)
	v_cndmask_b32_e64 v1, v9, 0, s2
	v_cndmask_b32_e64 v28, v11, 0, s2
	s_barrier_signal -1
	s_barrier_wait -1
.LBB1896_150:
	s_delay_alu instid0(VALU_DEP_1) | instskip(SKIP_2) | instid1(VALU_DEP_3)
	v_dual_add_nc_u32 v74, v1, v67 :: v_dual_add_nc_u32 v75, v28, v66
	v_dual_lshrrev_b32 v72, 16, v42 :: v_dual_lshrrev_b32 v7, 8, v42
	v_dual_lshrrev_b32 v73, 8, v36 :: v_dual_lshrrev_b32 v71, 16, v36
	v_dual_add_nc_u32 v65, v74, v65 :: v_dual_add_nc_u32 v64, v75, v64
	v_dual_mov_b32 v9, 0 :: v_dual_lshlrev_b32 v66, 1, v6
	s_delay_alu instid0(VALU_DEP_2) | instskip(NEXT) | instid1(VALU_DEP_3)
	v_dual_add_nc_u32 v76, v65, v49 :: v_dual_bitop2_b32 v36, 1, v36 bitop3:0x40
	v_add_nc_u32_e32 v63, v64, v63
	v_dual_sub_nc_u32 v28, v28, v8 :: v_dual_sub_nc_u32 v1, v1, v10
	s_delay_alu instid0(VALU_DEP_3) | instskip(NEXT) | instid1(VALU_DEP_3)
	v_dual_add_nc_u32 v62, v76, v62 :: v_dual_bitop2_b32 v77, 1, v7 bitop3:0x40
	v_dual_mov_b32 v7, v9 :: v_dual_add_nc_u32 v78, v63, v48
	v_mov_b32_e32 v11, v9
	s_delay_alu instid0(VALU_DEP_3) | instskip(SKIP_1) | instid1(VALU_DEP_4)
	v_dual_add_nc_u32 v1, v1, v6 :: v_dual_add_nc_u32 v61, v62, v61
	v_add3_u32 v15, v66, v12, v15
	v_add_nc_u32_e32 v60, v78, v60
	s_delay_alu instid0(VALU_DEP_3) | instskip(NEXT) | instid1(VALU_DEP_4)
	v_dual_sub_nc_u32 v74, v74, v10 :: v_dual_add_nc_u32 v81, v28, v1
	v_dual_add_nc_u32 v79, v61, v59 :: v_dual_sub_nc_u32 v75, v75, v8
	s_delay_alu instid0(VALU_DEP_3) | instskip(SKIP_1) | instid1(VALU_DEP_4)
	v_add_nc_u32_e32 v80, v60, v58
	v_cmp_eq_u32_e32 vcc_lo, 1, v77
	v_dual_add_nc_u32 v74, v74, v6 :: v_dual_sub_nc_u32 v64, v64, v8
	s_delay_alu instid0(VALU_DEP_3) | instskip(SKIP_2) | instid1(VALU_DEP_3)
	v_dual_add_nc_u32 v82, v79, v47 :: v_dual_add_nc_u32 v56, v80, v56
	v_dual_sub_nc_u32 v81, v15, v81 :: v_dual_sub_nc_u32 v65, v65, v10
	v_sub_nc_u64_e32 v[58:59], v[4:5], v[6:7]
	v_dual_add_nc_u32 v57, v82, v57 :: v_dual_add_nc_u32 v83, v56, v46
	s_delay_alu instid0(VALU_DEP_3) | instskip(SKIP_1) | instid1(VALU_DEP_3)
	v_dual_cndmask_b32 v1, v81, v1, vcc_lo :: v_dual_add_nc_u32 v81, v74, v75
	v_cmp_eq_u32_e32 vcc_lo, 1, v36
	v_dual_add_nc_u32 v55, v57, v55 :: v_dual_add_nc_u32 v77, v83, v53
	v_and_b32_e32 v72, 1, v72
	v_dual_sub_nc_u32 v63, v63, v8 :: v_dual_bitop2_b32 v49, 1, v49 bitop3:0x40
	s_delay_alu instid0(VALU_DEP_3) | instskip(NEXT) | instid1(VALU_DEP_4)
	v_dual_cndmask_b32 v1, v1, v28 :: v_dual_add_nc_u32 v28, v55, v54
	v_add_nc_u32_e32 v36, v77, v52
	v_add_nc_u32_e32 v54, v65, v6
	v_add_nc_u64_e32 v[52:53], v[58:59], v[10:11]
	s_delay_alu instid0(VALU_DEP_4)
	v_lshlrev_b32_e32 v1, 2, v1
	v_add_nc_u32_e32 v58, v28, v45
	v_dual_add_nc_u32 v51, v36, v51 :: v_dual_sub_nc_u32 v59, v15, v81
	v_add_nc_u32_e32 v65, v54, v64
	ds_store_b32 v1, v26
	v_dual_add_nc_u32 v1, v58, v50 :: v_dual_add_nc_u32 v26, v51, v44
	v_dual_sub_nc_u32 v73, v76, v10 :: v_dual_bitop2_b32 v50, 1, v73 bitop3:0x40
	v_dual_sub_nc_u32 v65, v15, v65 :: v_dual_add_nc_u32 v59, 1, v59
	v_cmp_eq_u32_e32 vcc_lo, 1, v72
	s_delay_alu instid0(VALU_DEP_3) | instskip(NEXT) | instid1(VALU_DEP_3)
	v_dual_add_nc_u32 v73, v73, v6 :: v_dual_bitop2_b32 v71, 1, v71 bitop3:0x40
	v_add_nc_u32_e32 v65, 2, v65
	v_dual_lshrrev_b32 v70, 8, v37 :: v_dual_lshrrev_b32 v69, 16, v37
	v_cndmask_b32_e32 v59, v59, v74, vcc_lo
	v_cmp_eq_u32_e32 vcc_lo, 1, v49
	v_dual_add_nc_u32 v72, v63, v73 :: v_dual_lshrrev_b32 v33, 16, v38
	v_dual_lshrrev_b32 v68, 8, v38 :: v_dual_lshrrev_b32 v31, 16, v40
	v_dual_cndmask_b32 v49, v65, v54 :: v_dual_lshrrev_b32 v32, 8, v40
	v_cmp_eq_u32_e32 vcc_lo, 1, v50
	s_delay_alu instid0(VALU_DEP_4)
	v_dual_sub_nc_u32 v54, v15, v72 :: v_dual_lshrrev_b32 v30, 8, v41
	v_dual_lshrrev_b32 v29, 16, v41 :: v_dual_sub_nc_u32 v1, v1, v10
	v_cndmask_b32_e32 v50, v59, v75, vcc_lo
	v_cmp_eq_u32_e32 vcc_lo, 1, v71
	v_dual_sub_nc_u32 v59, v62, v10 :: v_dual_bitop2_b32 v37, 1, v37 bitop3:0x40
	v_dual_add_nc_u32 v54, 3, v54 :: v_dual_bitop2_b32 v48, 1, v48 bitop3:0x40
	v_cndmask_b32_e32 v49, v49, v64, vcc_lo
	v_dual_sub_nc_u32 v62, v78, v8 :: v_dual_lshlrev_b32 v50, 2, v50
	s_delay_alu instid0(VALU_DEP_4) | instskip(SKIP_1) | instid1(VALU_DEP_4)
	v_add_nc_u32_e32 v59, v59, v6
	v_cmp_eq_u32_e32 vcc_lo, 1, v37
	v_lshlrev_b32_e32 v49, 2, v49
	v_add_nc_u64_e32 v[2:3], v[2:3], v[8:9]
	ds_store_b32 v50, v27
	v_dual_sub_nc_u32 v27, v61, v10 :: v_dual_cndmask_b32 v37, v54, v73, vcc_lo
	v_add_nc_u32_e32 v54, v62, v59
	v_cmp_eq_u32_e32 vcc_lo, 1, v48
	ds_store_b32 v49, v24
	v_dual_sub_nc_u32 v48, v60, v8 :: v_dual_sub_nc_u32 v50, v79, v10
	v_dual_cndmask_b32 v37, v37, v63 :: v_dual_sub_nc_u32 v24, v15, v54
	v_dual_add_nc_u32 v27, v27, v6 :: v_dual_mov_b32 v67, v9
	s_delay_alu instid0(VALU_DEP_2) | instskip(NEXT) | instid1(VALU_DEP_3)
	v_dual_mov_b32 v13, v9 :: v_dual_add_nc_u32 v24, 4, v24
	v_dual_lshlrev_b32 v37, 2, v37 :: v_dual_bitop2_b32 v49, 1, v70 bitop3:0x40
	s_delay_alu instid0(VALU_DEP_3)
	v_add_nc_u32_e32 v54, v48, v27
	s_mov_b32 s0, -1
	v_and_b32_e32 v40, 1, v40
	ds_store_b32 v37, v25
	v_cmp_eq_u32_e32 vcc_lo, 1, v49
	v_dual_sub_nc_u32 v49, v80, v8 :: v_dual_bitop2_b32 v38, 1, v38 bitop3:0x40
	v_dual_add_nc_u32 v50, v50, v6 :: v_dual_bitop2_b32 v37, 1, v69 bitop3:0x40
	v_cndmask_b32_e32 v24, v24, v59, vcc_lo
	s_delay_alu instid0(VALU_DEP_3) | instskip(SKIP_1) | instid1(VALU_DEP_3)
	v_cmp_eq_u32_e32 vcc_lo, 1, v38
	v_and_b32_e32 v32, 1, v32
	v_dual_cndmask_b32 v24, v24, v62, vcc_lo :: v_dual_bitop2_b32 v31, 1, v31 bitop3:0x40
	v_sub_nc_u32_e32 v54, v15, v54
	v_cmp_eq_u32_e32 vcc_lo, 1, v37
	s_delay_alu instid0(VALU_DEP_3) | instskip(NEXT) | instid1(VALU_DEP_3)
	v_dual_sub_nc_u32 v37, v57, v10 :: v_dual_lshlrev_b32 v24, 2, v24
	v_add_nc_u32_e32 v38, 5, v54
	v_dual_add_nc_u32 v25, v49, v50 :: v_dual_bitop2_b32 v54, 1, v68 bitop3:0x40
	ds_store_b32 v24, v22
	v_dual_cndmask_b32 v27, v38, v27, vcc_lo :: v_dual_sub_nc_u32 v25, v15, v25
	v_and_b32_e32 v22, 1, v47
	v_cmp_eq_u32_e32 vcc_lo, 1, v54
	v_dual_sub_nc_u32 v38, v55, v10 :: v_dual_sub_nc_u32 v47, v77, v8
	s_delay_alu instid0(VALU_DEP_4) | instskip(SKIP_3) | instid1(VALU_DEP_3)
	v_dual_cndmask_b32 v25, v27, v48 :: v_dual_add_nc_u32 v24, 6, v25
	v_sub_nc_u32_e32 v27, v82, v10
	v_cmp_eq_u32_e32 vcc_lo, 1, v22
	v_and_b32_e32 v33, 1, v33
	v_dual_lshlrev_b32 v25, 2, v25 :: v_dual_add_nc_u32 v27, v27, v6
	v_cndmask_b32_e32 v22, v24, v50, vcc_lo
	v_sub_nc_u32_e32 v24, v56, v8
	s_delay_alu instid0(VALU_DEP_4)
	v_cmp_eq_u32_e32 vcc_lo, 1, v33
	ds_store_b32 v25, v23
	v_dual_sub_nc_u32 v23, v83, v8 :: v_dual_add_nc_u32 v25, v37, v6
	v_dual_cndmask_b32 v22, v22, v49 :: v_dual_add_nc_u32 v33, v24, v27
	v_and_b32_e32 v37, 1, v46
	v_cmp_eq_u32_e32 vcc_lo, 1, v40
	s_delay_alu instid0(VALU_DEP_4) | instskip(NEXT) | instid1(VALU_DEP_4)
	v_add_nc_u32_e32 v46, v23, v25
	v_dual_sub_nc_u32 v33, v15, v33 :: v_dual_lshlrev_b32 v22, 2, v22
	s_delay_alu instid0(VALU_DEP_1)
	v_dual_sub_nc_u32 v46, v15, v46 :: v_dual_add_nc_u32 v33, 7, v33
	v_add_nc_u32_e32 v38, v38, v6
	ds_store_b32 v22, v20
	v_dual_cndmask_b32 v27, v33, v27, vcc_lo :: v_dual_bitop2_b32 v22, 1, v45 bitop3:0x40
	v_cmp_eq_u32_e32 vcc_lo, 1, v37
	v_add_nc_u32_e32 v33, v47, v38
	s_delay_alu instid0(VALU_DEP_3) | instskip(SKIP_2) | instid1(VALU_DEP_3)
	v_dual_add_nc_u32 v40, 8, v46 :: v_dual_cndmask_b32 v24, v27, v24, vcc_lo
	v_and_b32_e32 v27, 1, v41
	v_cmp_eq_u32_e32 vcc_lo, 1, v32
	v_dual_sub_nc_u32 v33, v15, v33 :: v_dual_lshlrev_b32 v24, 2, v24
	s_delay_alu instid0(VALU_DEP_4) | instskip(NEXT) | instid1(VALU_DEP_4)
	v_cndmask_b32_e32 v25, v40, v25, vcc_lo
	v_cmp_eq_u32_e32 vcc_lo, 1, v27
	s_delay_alu instid0(VALU_DEP_3) | instskip(NEXT) | instid1(VALU_DEP_3)
	v_dual_add_nc_u32 v32, 9, v33 :: v_dual_bitop2_b32 v27, 1, v30 bitop3:0x40
	v_dual_cndmask_b32 v23, v25, v23 :: v_dual_sub_nc_u32 v30, v36, v8
	v_sub_nc_u32_e32 v25, v28, v10
	v_cmp_eq_u32_e32 vcc_lo, 1, v31
	s_delay_alu instid0(VALU_DEP_2)
	v_dual_lshlrev_b32 v23, 2, v23 :: v_dual_add_nc_u32 v25, v25, v6
	v_cndmask_b32_e32 v28, v32, v38, vcc_lo
	v_cmp_eq_u32_e32 vcc_lo, 1, v27
	ds_store_b32 v24, v21
	ds_store_b32 v23, v18
	v_sub_nc_u32_e32 v21, v58, v10
	v_dual_add_nc_u32 v20, v30, v25 :: v_dual_sub_nc_u32 v23, v51, v8
	v_dual_cndmask_b32 v27, v28, v47 :: v_dual_sub_nc_u32 v8, v26, v8
	s_delay_alu instid0(VALU_DEP_2) | instskip(NEXT) | instid1(VALU_DEP_2)
	v_dual_add_nc_u32 v1, v1, v6 :: v_dual_sub_nc_u32 v20, v15, v20
	v_dual_add_nc_u32 v21, v21, v6 :: v_dual_lshlrev_b32 v18, 2, v27
	v_cmp_eq_u32_e32 vcc_lo, 1, v22
	s_delay_alu instid0(VALU_DEP_3) | instskip(SKIP_3) | instid1(VALU_DEP_1)
	v_dual_add_nc_u32 v22, v8, v1 :: v_dual_add_nc_u32 v20, 10, v20
	ds_store_b32 v18, v19
	v_cndmask_b32_e32 v20, v20, v25, vcc_lo
	v_add_nc_u32_e32 v26, v23, v21
	v_dual_sub_nc_u32 v18, v15, v26 :: v_dual_bitop2_b32 v24, 1, v29 bitop3:0x40
	s_delay_alu instid0(VALU_DEP_1) | instskip(SKIP_1) | instid1(VALU_DEP_3)
	v_cmp_eq_u32_e32 vcc_lo, 1, v24
	v_dual_sub_nc_u32 v15, v15, v22 :: v_dual_bitop2_b32 v24, 1, v39 bitop3:0x40
	v_dual_add_nc_u32 v25, 11, v18 :: v_dual_bitop2_b32 v22, 1, v44 bitop3:0x40
	v_cndmask_b32_e32 v20, v20, v30, vcc_lo
	s_delay_alu instid0(VALU_DEP_3) | instskip(SKIP_4) | instid1(VALU_DEP_4)
	v_cmp_eq_u32_e32 vcc_lo, 1, v24
	v_and_b32_e32 v26, 1, v43
	v_dual_add_nc_u32 v15, 12, v15 :: v_dual_bitop2_b32 v24, 1, v42 bitop3:0x40
	v_add_nc_u64_e32 v[18:19], v[12:13], v[66:67]
	v_cndmask_b32_e32 v21, v25, v21, vcc_lo
	v_cmp_eq_u32_e32 vcc_lo, 1, v26
	s_delay_alu instid0(VALU_DEP_4)
	v_dual_cndmask_b32 v1, v15, v1 :: v_dual_lshlrev_b32 v20, 2, v20
	v_cmp_eq_u32_e32 vcc_lo, 1, v22
	v_add_nc_u64_e32 v[18:19], v[18:19], v[52:53]
	v_mov_b32_e32 v15, v9
	ds_store_b32 v20, v16
	v_cndmask_b32_e32 v21, v21, v23, vcc_lo
	v_cmp_eq_u32_e32 vcc_lo, 1, v24
	s_delay_alu instid0(VALU_DEP_2)
	v_dual_cndmask_b32 v1, v1, v8 :: v_dual_lshlrev_b32 v22, 2, v21
	v_add_nc_u64_e32 v[8:9], s[34:35], v[14:15]
	v_add_nc_u64_e32 v[14:15], v[18:19], v[2:3]
	v_lshlrev_b64_e32 v[18:19], 2, v[52:53]
	v_lshlrev_b64_e32 v[20:21], 2, v[2:3]
	v_lshlrev_b32_e32 v1, 2, v1
	v_cmp_ne_u32_e32 vcc_lo, 1, v35
	v_sub_nc_u64_e32 v[14:15], v[8:9], v[14:15]
	v_add_nc_u64_e32 v[8:9], s[30:31], v[18:19]
	v_add_nc_u32_e32 v18, v6, v12
	ds_store_b32 v22, v17
	ds_store_b32 v1, v34
	v_add_nc_u64_e32 v[16:17], s[28:29], v[20:21]
	s_wait_dscnt 0x0
	s_barrier_signal -1
	s_barrier_wait -1
	s_cbranch_vccz .LBB1896_154
; %bb.151:
	s_and_b32 vcc_lo, exec_lo, s0
	s_cbranch_vccnz .LBB1896_259
.LBB1896_152:
	s_and_b32 s0, s2, s26
	s_delay_alu instid0(SALU_CYCLE_1)
	s_and_saveexec_b32 s1, s0
	s_cbranch_execnz .LBB1896_377
.LBB1896_153:
	s_sendmsg sendmsg(MSG_DEALLOC_VGPRS)
	s_endpgm
.LBB1896_154:
	s_mov_b32 s0, exec_lo
	v_cmpx_ge_u32_e64 v0, v6
	s_xor_b32 s0, exec_lo, s0
	s_cbranch_execz .LBB1896_160
; %bb.155:
	v_mov_b32_e32 v1, 0
	s_mov_b32 s1, exec_lo
	v_cmpx_ge_u32_e64 v0, v18
	s_xor_b32 s1, exec_lo, s1
	s_cbranch_execz .LBB1896_157
; %bb.156:
	v_lshlrev_b32_e32 v19, 2, v0
	v_add_nc_u64_e32 v[20:21], v[14:15], v[0:1]
	ds_load_b32 v1, v19
	v_lshlrev_b64_e32 v[20:21], 2, v[20:21]
	s_delay_alu instid0(VALU_DEP_1)
	v_sub_nc_u64_e32 v[20:21], s[14:15], v[20:21]
	s_wait_dscnt 0x0
	global_store_b32 v[20:21], v1, off offset:-4
.LBB1896_157:
	s_wait_xcnt 0x0
	s_and_not1_saveexec_b32 s1, s1
	s_cbranch_execz .LBB1896_159
; %bb.158:
	v_lshlrev_b32_e32 v1, 2, v0
	v_readfirstlane_b32 s6, v8
	v_readfirstlane_b32 s7, v9
	ds_load_b32 v1, v1
	s_wait_dscnt 0x0
	global_store_b32 v0, v1, s[6:7] scale_offset
.LBB1896_159:
	s_wait_xcnt 0x0
	s_or_b32 exec_lo, exec_lo, s1
.LBB1896_160:
	s_and_not1_saveexec_b32 s0, s0
	s_cbranch_execz .LBB1896_162
; %bb.161:
	v_lshlrev_b32_e32 v1, 2, v0
	v_readfirstlane_b32 s6, v16
	v_readfirstlane_b32 s7, v17
	ds_load_b32 v1, v1
	s_wait_dscnt 0x0
	global_store_b32 v0, v1, s[6:7] scale_offset
.LBB1896_162:
	s_wait_xcnt 0x0
	s_or_b32 exec_lo, exec_lo, s0
	v_or_b32_e32 v1, 0x100, v0
	s_mov_b32 s0, exec_lo
	s_delay_alu instid0(VALU_DEP_1)
	v_cmpx_ge_u32_e64 v1, v6
	s_xor_b32 s0, exec_lo, s0
	s_cbranch_execz .LBB1896_168
; %bb.163:
	s_mov_b32 s1, exec_lo
	v_cmpx_ge_u32_e64 v1, v18
	s_xor_b32 s1, exec_lo, s1
	s_cbranch_execz .LBB1896_165
; %bb.164:
	v_dual_mov_b32 v1, 0 :: v_dual_lshlrev_b32 v19, 2, v0
	s_delay_alu instid0(VALU_DEP_1) | instskip(SKIP_2) | instid1(VALU_DEP_1)
	v_add_nc_u64_e32 v[20:21], v[14:15], v[0:1]
	ds_load_b32 v1, v19 offset:1024
	v_lshlrev_b64_e32 v[20:21], 2, v[20:21]
	v_sub_nc_u64_e32 v[20:21], s[14:15], v[20:21]
	s_wait_dscnt 0x0
	global_store_b32 v[20:21], v1, off offset:-1028
.LBB1896_165:
	s_wait_xcnt 0x0
	s_and_not1_saveexec_b32 s1, s1
	s_cbranch_execz .LBB1896_167
; %bb.166:
	v_lshlrev_b32_e32 v1, 2, v0
	v_readfirstlane_b32 s6, v8
	v_readfirstlane_b32 s7, v9
	ds_load_b32 v1, v1 offset:1024
	s_wait_dscnt 0x0
	global_store_b32 v0, v1, s[6:7] offset:1024 scale_offset
.LBB1896_167:
	s_wait_xcnt 0x0
	s_or_b32 exec_lo, exec_lo, s1
.LBB1896_168:
	s_and_not1_saveexec_b32 s0, s0
	s_cbranch_execz .LBB1896_170
; %bb.169:
	v_lshlrev_b32_e32 v1, 2, v0
	v_readfirstlane_b32 s6, v16
	v_readfirstlane_b32 s7, v17
	ds_load_b32 v1, v1 offset:1024
	s_wait_dscnt 0x0
	global_store_b32 v0, v1, s[6:7] offset:1024 scale_offset
.LBB1896_170:
	s_wait_xcnt 0x0
	s_or_b32 exec_lo, exec_lo, s0
	v_or_b32_e32 v1, 0x200, v0
	s_mov_b32 s0, exec_lo
	s_delay_alu instid0(VALU_DEP_1)
	v_cmpx_ge_u32_e64 v1, v6
	s_xor_b32 s0, exec_lo, s0
	s_cbranch_execz .LBB1896_176
; %bb.171:
	s_mov_b32 s1, exec_lo
	v_cmpx_ge_u32_e64 v1, v18
	s_xor_b32 s1, exec_lo, s1
	s_cbranch_execz .LBB1896_173
; %bb.172:
	v_dual_mov_b32 v1, 0 :: v_dual_lshlrev_b32 v19, 2, v0
	s_delay_alu instid0(VALU_DEP_1) | instskip(SKIP_2) | instid1(VALU_DEP_1)
	v_add_nc_u64_e32 v[20:21], v[14:15], v[0:1]
	ds_load_b32 v1, v19 offset:2048
	v_lshlrev_b64_e32 v[20:21], 2, v[20:21]
	v_sub_nc_u64_e32 v[20:21], s[14:15], v[20:21]
	s_wait_dscnt 0x0
	global_store_b32 v[20:21], v1, off offset:-2052
.LBB1896_173:
	s_wait_xcnt 0x0
	s_and_not1_saveexec_b32 s1, s1
	s_cbranch_execz .LBB1896_175
; %bb.174:
	v_lshlrev_b32_e32 v1, 2, v0
	v_readfirstlane_b32 s6, v8
	v_readfirstlane_b32 s7, v9
	ds_load_b32 v1, v1 offset:2048
	s_wait_dscnt 0x0
	global_store_b32 v0, v1, s[6:7] offset:2048 scale_offset
.LBB1896_175:
	s_wait_xcnt 0x0
	s_or_b32 exec_lo, exec_lo, s1
.LBB1896_176:
	s_and_not1_saveexec_b32 s0, s0
	s_cbranch_execz .LBB1896_178
; %bb.177:
	v_lshlrev_b32_e32 v1, 2, v0
	v_readfirstlane_b32 s6, v16
	v_readfirstlane_b32 s7, v17
	ds_load_b32 v1, v1 offset:2048
	s_wait_dscnt 0x0
	global_store_b32 v0, v1, s[6:7] offset:2048 scale_offset
.LBB1896_178:
	;; [unrolled: 47-line block ×12, first 2 shown]
	s_wait_xcnt 0x0
	s_or_b32 exec_lo, exec_lo, s0
	s_branch .LBB1896_152
.LBB1896_259:
	s_mov_b32 s0, exec_lo
	v_cmpx_gt_u32_e64 s5, v0
	s_cbranch_execz .LBB1896_268
; %bb.260:
	s_mov_b32 s1, exec_lo
	v_cmpx_ge_u32_e64 v0, v6
	s_xor_b32 s1, exec_lo, s1
	s_cbranch_execz .LBB1896_266
; %bb.261:
	v_mov_b32_e32 v1, 0
	s_mov_b32 s3, exec_lo
	v_cmpx_ge_u32_e64 v0, v18
	s_xor_b32 s3, exec_lo, s3
	s_cbranch_execz .LBB1896_263
; %bb.262:
	v_lshlrev_b32_e32 v19, 2, v0
	v_add_nc_u64_e32 v[20:21], v[14:15], v[0:1]
	ds_load_b32 v1, v19
	v_lshlrev_b64_e32 v[20:21], 2, v[20:21]
	s_delay_alu instid0(VALU_DEP_1)
	v_sub_nc_u64_e32 v[20:21], s[14:15], v[20:21]
	s_wait_dscnt 0x0
	global_store_b32 v[20:21], v1, off offset:-4
.LBB1896_263:
	s_wait_xcnt 0x0
	s_and_not1_saveexec_b32 s3, s3
	s_cbranch_execz .LBB1896_265
; %bb.264:
	v_lshlrev_b32_e32 v1, 2, v0
	v_readfirstlane_b32 s6, v8
	v_readfirstlane_b32 s7, v9
	ds_load_b32 v1, v1
	s_wait_dscnt 0x0
	global_store_b32 v0, v1, s[6:7] scale_offset
.LBB1896_265:
	s_wait_xcnt 0x0
	s_or_b32 exec_lo, exec_lo, s3
.LBB1896_266:
	s_and_not1_saveexec_b32 s1, s1
	s_cbranch_execz .LBB1896_268
; %bb.267:
	v_lshlrev_b32_e32 v1, 2, v0
	v_readfirstlane_b32 s6, v16
	v_readfirstlane_b32 s7, v17
	ds_load_b32 v1, v1
	s_wait_dscnt 0x0
	global_store_b32 v0, v1, s[6:7] scale_offset
.LBB1896_268:
	s_wait_xcnt 0x0
	s_or_b32 exec_lo, exec_lo, s0
	v_or_b32_e32 v1, 0x100, v0
	s_mov_b32 s0, exec_lo
	s_delay_alu instid0(VALU_DEP_1)
	v_cmpx_gt_u32_e64 s5, v1
	s_cbranch_execz .LBB1896_277
; %bb.269:
	s_mov_b32 s1, exec_lo
	v_cmpx_ge_u32_e64 v1, v6
	s_xor_b32 s1, exec_lo, s1
	s_cbranch_execz .LBB1896_275
; %bb.270:
	s_mov_b32 s3, exec_lo
	v_cmpx_ge_u32_e64 v1, v18
	s_xor_b32 s3, exec_lo, s3
	s_cbranch_execz .LBB1896_272
; %bb.271:
	v_dual_mov_b32 v1, 0 :: v_dual_lshlrev_b32 v19, 2, v0
	s_delay_alu instid0(VALU_DEP_1) | instskip(SKIP_2) | instid1(VALU_DEP_1)
	v_add_nc_u64_e32 v[20:21], v[14:15], v[0:1]
	ds_load_b32 v1, v19 offset:1024
	v_lshlrev_b64_e32 v[20:21], 2, v[20:21]
	v_sub_nc_u64_e32 v[20:21], s[14:15], v[20:21]
	s_wait_dscnt 0x0
	global_store_b32 v[20:21], v1, off offset:-1028
.LBB1896_272:
	s_wait_xcnt 0x0
	s_and_not1_saveexec_b32 s3, s3
	s_cbranch_execz .LBB1896_274
; %bb.273:
	v_lshlrev_b32_e32 v1, 2, v0
	v_readfirstlane_b32 s6, v8
	v_readfirstlane_b32 s7, v9
	ds_load_b32 v1, v1 offset:1024
	s_wait_dscnt 0x0
	global_store_b32 v0, v1, s[6:7] offset:1024 scale_offset
.LBB1896_274:
	s_wait_xcnt 0x0
	s_or_b32 exec_lo, exec_lo, s3
.LBB1896_275:
	s_and_not1_saveexec_b32 s1, s1
	s_cbranch_execz .LBB1896_277
; %bb.276:
	v_lshlrev_b32_e32 v1, 2, v0
	v_readfirstlane_b32 s6, v16
	v_readfirstlane_b32 s7, v17
	ds_load_b32 v1, v1 offset:1024
	s_wait_dscnt 0x0
	global_store_b32 v0, v1, s[6:7] offset:1024 scale_offset
.LBB1896_277:
	s_wait_xcnt 0x0
	s_or_b32 exec_lo, exec_lo, s0
	v_or_b32_e32 v1, 0x200, v0
	s_mov_b32 s0, exec_lo
	s_delay_alu instid0(VALU_DEP_1)
	v_cmpx_gt_u32_e64 s5, v1
	s_cbranch_execz .LBB1896_286
; %bb.278:
	s_mov_b32 s1, exec_lo
	v_cmpx_ge_u32_e64 v1, v6
	s_xor_b32 s1, exec_lo, s1
	s_cbranch_execz .LBB1896_284
; %bb.279:
	s_mov_b32 s3, exec_lo
	v_cmpx_ge_u32_e64 v1, v18
	s_xor_b32 s3, exec_lo, s3
	s_cbranch_execz .LBB1896_281
; %bb.280:
	v_dual_mov_b32 v1, 0 :: v_dual_lshlrev_b32 v19, 2, v0
	s_delay_alu instid0(VALU_DEP_1) | instskip(SKIP_2) | instid1(VALU_DEP_1)
	v_add_nc_u64_e32 v[20:21], v[14:15], v[0:1]
	ds_load_b32 v1, v19 offset:2048
	v_lshlrev_b64_e32 v[20:21], 2, v[20:21]
	v_sub_nc_u64_e32 v[20:21], s[14:15], v[20:21]
	s_wait_dscnt 0x0
	global_store_b32 v[20:21], v1, off offset:-2052
.LBB1896_281:
	s_wait_xcnt 0x0
	s_and_not1_saveexec_b32 s3, s3
	s_cbranch_execz .LBB1896_283
; %bb.282:
	v_lshlrev_b32_e32 v1, 2, v0
	v_readfirstlane_b32 s6, v8
	v_readfirstlane_b32 s7, v9
	ds_load_b32 v1, v1 offset:2048
	s_wait_dscnt 0x0
	global_store_b32 v0, v1, s[6:7] offset:2048 scale_offset
.LBB1896_283:
	s_wait_xcnt 0x0
	s_or_b32 exec_lo, exec_lo, s3
.LBB1896_284:
	s_and_not1_saveexec_b32 s1, s1
	s_cbranch_execz .LBB1896_286
; %bb.285:
	v_lshlrev_b32_e32 v1, 2, v0
	v_readfirstlane_b32 s6, v16
	v_readfirstlane_b32 s7, v17
	ds_load_b32 v1, v1 offset:2048
	s_wait_dscnt 0x0
	global_store_b32 v0, v1, s[6:7] offset:2048 scale_offset
.LBB1896_286:
	;; [unrolled: 51-line block ×11, first 2 shown]
	s_wait_xcnt 0x0
	s_or_b32 exec_lo, exec_lo, s0
	v_or_b32_e32 v1, 0xc00, v0
	s_mov_b32 s0, exec_lo
	s_delay_alu instid0(VALU_DEP_1)
	v_cmpx_gt_u32_e64 s5, v1
	s_cbranch_execz .LBB1896_376
; %bb.368:
	s_mov_b32 s1, exec_lo
	v_cmpx_ge_u32_e64 v1, v6
	s_xor_b32 s1, exec_lo, s1
	s_cbranch_execz .LBB1896_374
; %bb.369:
	s_mov_b32 s3, exec_lo
	v_cmpx_ge_u32_e64 v1, v18
	s_xor_b32 s3, exec_lo, s3
	s_cbranch_execz .LBB1896_371
; %bb.370:
	v_dual_mov_b32 v1, 0 :: v_dual_lshlrev_b32 v8, 2, v0
	s_delay_alu instid0(VALU_DEP_1) | instskip(SKIP_2) | instid1(VALU_DEP_1)
	v_add_nc_u64_e32 v[0:1], v[14:15], v[0:1]
	ds_load_b32 v8, v8 offset:12288
	v_lshlrev_b64_e32 v[0:1], 2, v[0:1]
	v_sub_nc_u64_e32 v[0:1], s[14:15], v[0:1]
	s_wait_dscnt 0x0
	global_store_b32 v[0:1], v8, off offset:-12292
                                        ; implicit-def: $vgpr0
                                        ; implicit-def: $vgpr8_vgpr9
.LBB1896_371:
	s_wait_xcnt 0x0
	s_and_not1_saveexec_b32 s3, s3
	s_cbranch_execz .LBB1896_373
; %bb.372:
	v_lshlrev_b32_e32 v1, 2, v0
	v_readfirstlane_b32 s4, v8
	v_readfirstlane_b32 s5, v9
	ds_load_b32 v1, v1 offset:12288
	s_wait_dscnt 0x0
	global_store_b32 v0, v1, s[4:5] offset:12288 scale_offset
.LBB1896_373:
	s_wait_xcnt 0x0
	s_or_b32 exec_lo, exec_lo, s3
                                        ; implicit-def: $vgpr0
                                        ; implicit-def: $vgpr16_vgpr17
.LBB1896_374:
	s_and_not1_saveexec_b32 s1, s1
	s_cbranch_execz .LBB1896_376
; %bb.375:
	v_lshlrev_b32_e32 v1, 2, v0
	v_readfirstlane_b32 s4, v16
	v_readfirstlane_b32 s5, v17
	ds_load_b32 v1, v1 offset:12288
	s_wait_dscnt 0x0
	global_store_b32 v0, v1, s[4:5] offset:12288 scale_offset
.LBB1896_376:
	s_wait_xcnt 0x0
	s_or_b32 exec_lo, exec_lo, s0
	s_and_b32 s0, s2, s26
	s_delay_alu instid0(SALU_CYCLE_1)
	s_and_saveexec_b32 s1, s0
	s_cbranch_execz .LBB1896_153
.LBB1896_377:
	v_add_nc_u64_e32 v[0:1], v[4:5], v[12:13]
	v_add_nc_u64_e32 v[2:3], v[2:3], v[6:7]
	s_delay_alu instid0(VALU_DEP_2)
	v_add_nc_u64_e32 v[4:5], v[0:1], v[10:11]
	v_mov_b32_e32 v0, 0
	global_store_b128 v0, v[2:5], s[24:25]
	s_sendmsg sendmsg(MSG_DEALLOC_VGPRS)
	s_endpgm
	.section	.rodata,"a",@progbits
	.p2align	6, 0x0
	.amdhsa_kernel _ZN7rocprim17ROCPRIM_400000_NS6detail17trampoline_kernelINS0_13select_configILj256ELj13ELNS0_17block_load_methodE3ELS4_3ELS4_3ELNS0_20block_scan_algorithmE0ELj4294967295EEENS1_25partition_config_selectorILNS1_17partition_subalgoE4EjNS0_10empty_typeEbEEZZNS1_14partition_implILS8_4ELb0ES6_15HIP_vector_typeIjLj2EENS0_17counting_iteratorIjlEEPS9_SG_NS0_5tupleIJPjSI_NS0_16reverse_iteratorISI_EEEEENSH_IJSG_SG_SG_EEES9_SI_JZNS1_25segmented_radix_sort_implINS0_14default_configELb1EPK12hip_bfloat16PSP_PKlPlN2at6native12_GLOBAL__N_18offset_tEEE10hipError_tPvRmT1_PNSt15iterator_traitsIS13_E10value_typeET2_T3_PNS14_IS19_E10value_typeET4_jRbjT5_S1F_jjP12ihipStream_tbEUljE_ZNSN_ISO_Lb1ESR_SS_SU_SV_SZ_EES10_S11_S12_S13_S17_S18_S19_S1C_S1D_jS1E_jS1F_S1F_jjS1H_bEUljE0_EEES10_S11_S12_S19_S1D_S1F_T6_T7_T9_mT8_S1H_bDpT10_ENKUlT_T0_E_clISt17integral_constantIbLb0EES1U_IbLb1EEEEDaS1Q_S1R_EUlS1Q_E_NS1_11comp_targetILNS1_3genE0ELNS1_11target_archE4294967295ELNS1_3gpuE0ELNS1_3repE0EEENS1_30default_config_static_selectorELNS0_4arch9wavefront6targetE0EEEvS13_
		.amdhsa_group_segment_fixed_size 13328
		.amdhsa_private_segment_fixed_size 0
		.amdhsa_kernarg_size 184
		.amdhsa_user_sgpr_count 2
		.amdhsa_user_sgpr_dispatch_ptr 0
		.amdhsa_user_sgpr_queue_ptr 0
		.amdhsa_user_sgpr_kernarg_segment_ptr 1
		.amdhsa_user_sgpr_dispatch_id 0
		.amdhsa_user_sgpr_kernarg_preload_length 0
		.amdhsa_user_sgpr_kernarg_preload_offset 0
		.amdhsa_user_sgpr_private_segment_size 0
		.amdhsa_wavefront_size32 1
		.amdhsa_uses_dynamic_stack 0
		.amdhsa_enable_private_segment 0
		.amdhsa_system_sgpr_workgroup_id_x 1
		.amdhsa_system_sgpr_workgroup_id_y 0
		.amdhsa_system_sgpr_workgroup_id_z 0
		.amdhsa_system_sgpr_workgroup_info 0
		.amdhsa_system_vgpr_workitem_id 0
		.amdhsa_next_free_vgpr 86
		.amdhsa_next_free_sgpr 55
		.amdhsa_named_barrier_count 0
		.amdhsa_reserve_vcc 1
		.amdhsa_float_round_mode_32 0
		.amdhsa_float_round_mode_16_64 0
		.amdhsa_float_denorm_mode_32 3
		.amdhsa_float_denorm_mode_16_64 3
		.amdhsa_fp16_overflow 0
		.amdhsa_memory_ordered 1
		.amdhsa_forward_progress 1
		.amdhsa_inst_pref_size 140
		.amdhsa_round_robin_scheduling 0
		.amdhsa_exception_fp_ieee_invalid_op 0
		.amdhsa_exception_fp_denorm_src 0
		.amdhsa_exception_fp_ieee_div_zero 0
		.amdhsa_exception_fp_ieee_overflow 0
		.amdhsa_exception_fp_ieee_underflow 0
		.amdhsa_exception_fp_ieee_inexact 0
		.amdhsa_exception_int_div_zero 0
	.end_amdhsa_kernel
	.section	.text._ZN7rocprim17ROCPRIM_400000_NS6detail17trampoline_kernelINS0_13select_configILj256ELj13ELNS0_17block_load_methodE3ELS4_3ELS4_3ELNS0_20block_scan_algorithmE0ELj4294967295EEENS1_25partition_config_selectorILNS1_17partition_subalgoE4EjNS0_10empty_typeEbEEZZNS1_14partition_implILS8_4ELb0ES6_15HIP_vector_typeIjLj2EENS0_17counting_iteratorIjlEEPS9_SG_NS0_5tupleIJPjSI_NS0_16reverse_iteratorISI_EEEEENSH_IJSG_SG_SG_EEES9_SI_JZNS1_25segmented_radix_sort_implINS0_14default_configELb1EPK12hip_bfloat16PSP_PKlPlN2at6native12_GLOBAL__N_18offset_tEEE10hipError_tPvRmT1_PNSt15iterator_traitsIS13_E10value_typeET2_T3_PNS14_IS19_E10value_typeET4_jRbjT5_S1F_jjP12ihipStream_tbEUljE_ZNSN_ISO_Lb1ESR_SS_SU_SV_SZ_EES10_S11_S12_S13_S17_S18_S19_S1C_S1D_jS1E_jS1F_S1F_jjS1H_bEUljE0_EEES10_S11_S12_S19_S1D_S1F_T6_T7_T9_mT8_S1H_bDpT10_ENKUlT_T0_E_clISt17integral_constantIbLb0EES1U_IbLb1EEEEDaS1Q_S1R_EUlS1Q_E_NS1_11comp_targetILNS1_3genE0ELNS1_11target_archE4294967295ELNS1_3gpuE0ELNS1_3repE0EEENS1_30default_config_static_selectorELNS0_4arch9wavefront6targetE0EEEvS13_,"axG",@progbits,_ZN7rocprim17ROCPRIM_400000_NS6detail17trampoline_kernelINS0_13select_configILj256ELj13ELNS0_17block_load_methodE3ELS4_3ELS4_3ELNS0_20block_scan_algorithmE0ELj4294967295EEENS1_25partition_config_selectorILNS1_17partition_subalgoE4EjNS0_10empty_typeEbEEZZNS1_14partition_implILS8_4ELb0ES6_15HIP_vector_typeIjLj2EENS0_17counting_iteratorIjlEEPS9_SG_NS0_5tupleIJPjSI_NS0_16reverse_iteratorISI_EEEEENSH_IJSG_SG_SG_EEES9_SI_JZNS1_25segmented_radix_sort_implINS0_14default_configELb1EPK12hip_bfloat16PSP_PKlPlN2at6native12_GLOBAL__N_18offset_tEEE10hipError_tPvRmT1_PNSt15iterator_traitsIS13_E10value_typeET2_T3_PNS14_IS19_E10value_typeET4_jRbjT5_S1F_jjP12ihipStream_tbEUljE_ZNSN_ISO_Lb1ESR_SS_SU_SV_SZ_EES10_S11_S12_S13_S17_S18_S19_S1C_S1D_jS1E_jS1F_S1F_jjS1H_bEUljE0_EEES10_S11_S12_S19_S1D_S1F_T6_T7_T9_mT8_S1H_bDpT10_ENKUlT_T0_E_clISt17integral_constantIbLb0EES1U_IbLb1EEEEDaS1Q_S1R_EUlS1Q_E_NS1_11comp_targetILNS1_3genE0ELNS1_11target_archE4294967295ELNS1_3gpuE0ELNS1_3repE0EEENS1_30default_config_static_selectorELNS0_4arch9wavefront6targetE0EEEvS13_,comdat
.Lfunc_end1896:
	.size	_ZN7rocprim17ROCPRIM_400000_NS6detail17trampoline_kernelINS0_13select_configILj256ELj13ELNS0_17block_load_methodE3ELS4_3ELS4_3ELNS0_20block_scan_algorithmE0ELj4294967295EEENS1_25partition_config_selectorILNS1_17partition_subalgoE4EjNS0_10empty_typeEbEEZZNS1_14partition_implILS8_4ELb0ES6_15HIP_vector_typeIjLj2EENS0_17counting_iteratorIjlEEPS9_SG_NS0_5tupleIJPjSI_NS0_16reverse_iteratorISI_EEEEENSH_IJSG_SG_SG_EEES9_SI_JZNS1_25segmented_radix_sort_implINS0_14default_configELb1EPK12hip_bfloat16PSP_PKlPlN2at6native12_GLOBAL__N_18offset_tEEE10hipError_tPvRmT1_PNSt15iterator_traitsIS13_E10value_typeET2_T3_PNS14_IS19_E10value_typeET4_jRbjT5_S1F_jjP12ihipStream_tbEUljE_ZNSN_ISO_Lb1ESR_SS_SU_SV_SZ_EES10_S11_S12_S13_S17_S18_S19_S1C_S1D_jS1E_jS1F_S1F_jjS1H_bEUljE0_EEES10_S11_S12_S19_S1D_S1F_T6_T7_T9_mT8_S1H_bDpT10_ENKUlT_T0_E_clISt17integral_constantIbLb0EES1U_IbLb1EEEEDaS1Q_S1R_EUlS1Q_E_NS1_11comp_targetILNS1_3genE0ELNS1_11target_archE4294967295ELNS1_3gpuE0ELNS1_3repE0EEENS1_30default_config_static_selectorELNS0_4arch9wavefront6targetE0EEEvS13_, .Lfunc_end1896-_ZN7rocprim17ROCPRIM_400000_NS6detail17trampoline_kernelINS0_13select_configILj256ELj13ELNS0_17block_load_methodE3ELS4_3ELS4_3ELNS0_20block_scan_algorithmE0ELj4294967295EEENS1_25partition_config_selectorILNS1_17partition_subalgoE4EjNS0_10empty_typeEbEEZZNS1_14partition_implILS8_4ELb0ES6_15HIP_vector_typeIjLj2EENS0_17counting_iteratorIjlEEPS9_SG_NS0_5tupleIJPjSI_NS0_16reverse_iteratorISI_EEEEENSH_IJSG_SG_SG_EEES9_SI_JZNS1_25segmented_radix_sort_implINS0_14default_configELb1EPK12hip_bfloat16PSP_PKlPlN2at6native12_GLOBAL__N_18offset_tEEE10hipError_tPvRmT1_PNSt15iterator_traitsIS13_E10value_typeET2_T3_PNS14_IS19_E10value_typeET4_jRbjT5_S1F_jjP12ihipStream_tbEUljE_ZNSN_ISO_Lb1ESR_SS_SU_SV_SZ_EES10_S11_S12_S13_S17_S18_S19_S1C_S1D_jS1E_jS1F_S1F_jjS1H_bEUljE0_EEES10_S11_S12_S19_S1D_S1F_T6_T7_T9_mT8_S1H_bDpT10_ENKUlT_T0_E_clISt17integral_constantIbLb0EES1U_IbLb1EEEEDaS1Q_S1R_EUlS1Q_E_NS1_11comp_targetILNS1_3genE0ELNS1_11target_archE4294967295ELNS1_3gpuE0ELNS1_3repE0EEENS1_30default_config_static_selectorELNS0_4arch9wavefront6targetE0EEEvS13_
                                        ; -- End function
	.set _ZN7rocprim17ROCPRIM_400000_NS6detail17trampoline_kernelINS0_13select_configILj256ELj13ELNS0_17block_load_methodE3ELS4_3ELS4_3ELNS0_20block_scan_algorithmE0ELj4294967295EEENS1_25partition_config_selectorILNS1_17partition_subalgoE4EjNS0_10empty_typeEbEEZZNS1_14partition_implILS8_4ELb0ES6_15HIP_vector_typeIjLj2EENS0_17counting_iteratorIjlEEPS9_SG_NS0_5tupleIJPjSI_NS0_16reverse_iteratorISI_EEEEENSH_IJSG_SG_SG_EEES9_SI_JZNS1_25segmented_radix_sort_implINS0_14default_configELb1EPK12hip_bfloat16PSP_PKlPlN2at6native12_GLOBAL__N_18offset_tEEE10hipError_tPvRmT1_PNSt15iterator_traitsIS13_E10value_typeET2_T3_PNS14_IS19_E10value_typeET4_jRbjT5_S1F_jjP12ihipStream_tbEUljE_ZNSN_ISO_Lb1ESR_SS_SU_SV_SZ_EES10_S11_S12_S13_S17_S18_S19_S1C_S1D_jS1E_jS1F_S1F_jjS1H_bEUljE0_EEES10_S11_S12_S19_S1D_S1F_T6_T7_T9_mT8_S1H_bDpT10_ENKUlT_T0_E_clISt17integral_constantIbLb0EES1U_IbLb1EEEEDaS1Q_S1R_EUlS1Q_E_NS1_11comp_targetILNS1_3genE0ELNS1_11target_archE4294967295ELNS1_3gpuE0ELNS1_3repE0EEENS1_30default_config_static_selectorELNS0_4arch9wavefront6targetE0EEEvS13_.num_vgpr, 86
	.set _ZN7rocprim17ROCPRIM_400000_NS6detail17trampoline_kernelINS0_13select_configILj256ELj13ELNS0_17block_load_methodE3ELS4_3ELS4_3ELNS0_20block_scan_algorithmE0ELj4294967295EEENS1_25partition_config_selectorILNS1_17partition_subalgoE4EjNS0_10empty_typeEbEEZZNS1_14partition_implILS8_4ELb0ES6_15HIP_vector_typeIjLj2EENS0_17counting_iteratorIjlEEPS9_SG_NS0_5tupleIJPjSI_NS0_16reverse_iteratorISI_EEEEENSH_IJSG_SG_SG_EEES9_SI_JZNS1_25segmented_radix_sort_implINS0_14default_configELb1EPK12hip_bfloat16PSP_PKlPlN2at6native12_GLOBAL__N_18offset_tEEE10hipError_tPvRmT1_PNSt15iterator_traitsIS13_E10value_typeET2_T3_PNS14_IS19_E10value_typeET4_jRbjT5_S1F_jjP12ihipStream_tbEUljE_ZNSN_ISO_Lb1ESR_SS_SU_SV_SZ_EES10_S11_S12_S13_S17_S18_S19_S1C_S1D_jS1E_jS1F_S1F_jjS1H_bEUljE0_EEES10_S11_S12_S19_S1D_S1F_T6_T7_T9_mT8_S1H_bDpT10_ENKUlT_T0_E_clISt17integral_constantIbLb0EES1U_IbLb1EEEEDaS1Q_S1R_EUlS1Q_E_NS1_11comp_targetILNS1_3genE0ELNS1_11target_archE4294967295ELNS1_3gpuE0ELNS1_3repE0EEENS1_30default_config_static_selectorELNS0_4arch9wavefront6targetE0EEEvS13_.num_agpr, 0
	.set _ZN7rocprim17ROCPRIM_400000_NS6detail17trampoline_kernelINS0_13select_configILj256ELj13ELNS0_17block_load_methodE3ELS4_3ELS4_3ELNS0_20block_scan_algorithmE0ELj4294967295EEENS1_25partition_config_selectorILNS1_17partition_subalgoE4EjNS0_10empty_typeEbEEZZNS1_14partition_implILS8_4ELb0ES6_15HIP_vector_typeIjLj2EENS0_17counting_iteratorIjlEEPS9_SG_NS0_5tupleIJPjSI_NS0_16reverse_iteratorISI_EEEEENSH_IJSG_SG_SG_EEES9_SI_JZNS1_25segmented_radix_sort_implINS0_14default_configELb1EPK12hip_bfloat16PSP_PKlPlN2at6native12_GLOBAL__N_18offset_tEEE10hipError_tPvRmT1_PNSt15iterator_traitsIS13_E10value_typeET2_T3_PNS14_IS19_E10value_typeET4_jRbjT5_S1F_jjP12ihipStream_tbEUljE_ZNSN_ISO_Lb1ESR_SS_SU_SV_SZ_EES10_S11_S12_S13_S17_S18_S19_S1C_S1D_jS1E_jS1F_S1F_jjS1H_bEUljE0_EEES10_S11_S12_S19_S1D_S1F_T6_T7_T9_mT8_S1H_bDpT10_ENKUlT_T0_E_clISt17integral_constantIbLb0EES1U_IbLb1EEEEDaS1Q_S1R_EUlS1Q_E_NS1_11comp_targetILNS1_3genE0ELNS1_11target_archE4294967295ELNS1_3gpuE0ELNS1_3repE0EEENS1_30default_config_static_selectorELNS0_4arch9wavefront6targetE0EEEvS13_.numbered_sgpr, 55
	.set _ZN7rocprim17ROCPRIM_400000_NS6detail17trampoline_kernelINS0_13select_configILj256ELj13ELNS0_17block_load_methodE3ELS4_3ELS4_3ELNS0_20block_scan_algorithmE0ELj4294967295EEENS1_25partition_config_selectorILNS1_17partition_subalgoE4EjNS0_10empty_typeEbEEZZNS1_14partition_implILS8_4ELb0ES6_15HIP_vector_typeIjLj2EENS0_17counting_iteratorIjlEEPS9_SG_NS0_5tupleIJPjSI_NS0_16reverse_iteratorISI_EEEEENSH_IJSG_SG_SG_EEES9_SI_JZNS1_25segmented_radix_sort_implINS0_14default_configELb1EPK12hip_bfloat16PSP_PKlPlN2at6native12_GLOBAL__N_18offset_tEEE10hipError_tPvRmT1_PNSt15iterator_traitsIS13_E10value_typeET2_T3_PNS14_IS19_E10value_typeET4_jRbjT5_S1F_jjP12ihipStream_tbEUljE_ZNSN_ISO_Lb1ESR_SS_SU_SV_SZ_EES10_S11_S12_S13_S17_S18_S19_S1C_S1D_jS1E_jS1F_S1F_jjS1H_bEUljE0_EEES10_S11_S12_S19_S1D_S1F_T6_T7_T9_mT8_S1H_bDpT10_ENKUlT_T0_E_clISt17integral_constantIbLb0EES1U_IbLb1EEEEDaS1Q_S1R_EUlS1Q_E_NS1_11comp_targetILNS1_3genE0ELNS1_11target_archE4294967295ELNS1_3gpuE0ELNS1_3repE0EEENS1_30default_config_static_selectorELNS0_4arch9wavefront6targetE0EEEvS13_.num_named_barrier, 0
	.set _ZN7rocprim17ROCPRIM_400000_NS6detail17trampoline_kernelINS0_13select_configILj256ELj13ELNS0_17block_load_methodE3ELS4_3ELS4_3ELNS0_20block_scan_algorithmE0ELj4294967295EEENS1_25partition_config_selectorILNS1_17partition_subalgoE4EjNS0_10empty_typeEbEEZZNS1_14partition_implILS8_4ELb0ES6_15HIP_vector_typeIjLj2EENS0_17counting_iteratorIjlEEPS9_SG_NS0_5tupleIJPjSI_NS0_16reverse_iteratorISI_EEEEENSH_IJSG_SG_SG_EEES9_SI_JZNS1_25segmented_radix_sort_implINS0_14default_configELb1EPK12hip_bfloat16PSP_PKlPlN2at6native12_GLOBAL__N_18offset_tEEE10hipError_tPvRmT1_PNSt15iterator_traitsIS13_E10value_typeET2_T3_PNS14_IS19_E10value_typeET4_jRbjT5_S1F_jjP12ihipStream_tbEUljE_ZNSN_ISO_Lb1ESR_SS_SU_SV_SZ_EES10_S11_S12_S13_S17_S18_S19_S1C_S1D_jS1E_jS1F_S1F_jjS1H_bEUljE0_EEES10_S11_S12_S19_S1D_S1F_T6_T7_T9_mT8_S1H_bDpT10_ENKUlT_T0_E_clISt17integral_constantIbLb0EES1U_IbLb1EEEEDaS1Q_S1R_EUlS1Q_E_NS1_11comp_targetILNS1_3genE0ELNS1_11target_archE4294967295ELNS1_3gpuE0ELNS1_3repE0EEENS1_30default_config_static_selectorELNS0_4arch9wavefront6targetE0EEEvS13_.private_seg_size, 0
	.set _ZN7rocprim17ROCPRIM_400000_NS6detail17trampoline_kernelINS0_13select_configILj256ELj13ELNS0_17block_load_methodE3ELS4_3ELS4_3ELNS0_20block_scan_algorithmE0ELj4294967295EEENS1_25partition_config_selectorILNS1_17partition_subalgoE4EjNS0_10empty_typeEbEEZZNS1_14partition_implILS8_4ELb0ES6_15HIP_vector_typeIjLj2EENS0_17counting_iteratorIjlEEPS9_SG_NS0_5tupleIJPjSI_NS0_16reverse_iteratorISI_EEEEENSH_IJSG_SG_SG_EEES9_SI_JZNS1_25segmented_radix_sort_implINS0_14default_configELb1EPK12hip_bfloat16PSP_PKlPlN2at6native12_GLOBAL__N_18offset_tEEE10hipError_tPvRmT1_PNSt15iterator_traitsIS13_E10value_typeET2_T3_PNS14_IS19_E10value_typeET4_jRbjT5_S1F_jjP12ihipStream_tbEUljE_ZNSN_ISO_Lb1ESR_SS_SU_SV_SZ_EES10_S11_S12_S13_S17_S18_S19_S1C_S1D_jS1E_jS1F_S1F_jjS1H_bEUljE0_EEES10_S11_S12_S19_S1D_S1F_T6_T7_T9_mT8_S1H_bDpT10_ENKUlT_T0_E_clISt17integral_constantIbLb0EES1U_IbLb1EEEEDaS1Q_S1R_EUlS1Q_E_NS1_11comp_targetILNS1_3genE0ELNS1_11target_archE4294967295ELNS1_3gpuE0ELNS1_3repE0EEENS1_30default_config_static_selectorELNS0_4arch9wavefront6targetE0EEEvS13_.uses_vcc, 1
	.set _ZN7rocprim17ROCPRIM_400000_NS6detail17trampoline_kernelINS0_13select_configILj256ELj13ELNS0_17block_load_methodE3ELS4_3ELS4_3ELNS0_20block_scan_algorithmE0ELj4294967295EEENS1_25partition_config_selectorILNS1_17partition_subalgoE4EjNS0_10empty_typeEbEEZZNS1_14partition_implILS8_4ELb0ES6_15HIP_vector_typeIjLj2EENS0_17counting_iteratorIjlEEPS9_SG_NS0_5tupleIJPjSI_NS0_16reverse_iteratorISI_EEEEENSH_IJSG_SG_SG_EEES9_SI_JZNS1_25segmented_radix_sort_implINS0_14default_configELb1EPK12hip_bfloat16PSP_PKlPlN2at6native12_GLOBAL__N_18offset_tEEE10hipError_tPvRmT1_PNSt15iterator_traitsIS13_E10value_typeET2_T3_PNS14_IS19_E10value_typeET4_jRbjT5_S1F_jjP12ihipStream_tbEUljE_ZNSN_ISO_Lb1ESR_SS_SU_SV_SZ_EES10_S11_S12_S13_S17_S18_S19_S1C_S1D_jS1E_jS1F_S1F_jjS1H_bEUljE0_EEES10_S11_S12_S19_S1D_S1F_T6_T7_T9_mT8_S1H_bDpT10_ENKUlT_T0_E_clISt17integral_constantIbLb0EES1U_IbLb1EEEEDaS1Q_S1R_EUlS1Q_E_NS1_11comp_targetILNS1_3genE0ELNS1_11target_archE4294967295ELNS1_3gpuE0ELNS1_3repE0EEENS1_30default_config_static_selectorELNS0_4arch9wavefront6targetE0EEEvS13_.uses_flat_scratch, 0
	.set _ZN7rocprim17ROCPRIM_400000_NS6detail17trampoline_kernelINS0_13select_configILj256ELj13ELNS0_17block_load_methodE3ELS4_3ELS4_3ELNS0_20block_scan_algorithmE0ELj4294967295EEENS1_25partition_config_selectorILNS1_17partition_subalgoE4EjNS0_10empty_typeEbEEZZNS1_14partition_implILS8_4ELb0ES6_15HIP_vector_typeIjLj2EENS0_17counting_iteratorIjlEEPS9_SG_NS0_5tupleIJPjSI_NS0_16reverse_iteratorISI_EEEEENSH_IJSG_SG_SG_EEES9_SI_JZNS1_25segmented_radix_sort_implINS0_14default_configELb1EPK12hip_bfloat16PSP_PKlPlN2at6native12_GLOBAL__N_18offset_tEEE10hipError_tPvRmT1_PNSt15iterator_traitsIS13_E10value_typeET2_T3_PNS14_IS19_E10value_typeET4_jRbjT5_S1F_jjP12ihipStream_tbEUljE_ZNSN_ISO_Lb1ESR_SS_SU_SV_SZ_EES10_S11_S12_S13_S17_S18_S19_S1C_S1D_jS1E_jS1F_S1F_jjS1H_bEUljE0_EEES10_S11_S12_S19_S1D_S1F_T6_T7_T9_mT8_S1H_bDpT10_ENKUlT_T0_E_clISt17integral_constantIbLb0EES1U_IbLb1EEEEDaS1Q_S1R_EUlS1Q_E_NS1_11comp_targetILNS1_3genE0ELNS1_11target_archE4294967295ELNS1_3gpuE0ELNS1_3repE0EEENS1_30default_config_static_selectorELNS0_4arch9wavefront6targetE0EEEvS13_.has_dyn_sized_stack, 0
	.set _ZN7rocprim17ROCPRIM_400000_NS6detail17trampoline_kernelINS0_13select_configILj256ELj13ELNS0_17block_load_methodE3ELS4_3ELS4_3ELNS0_20block_scan_algorithmE0ELj4294967295EEENS1_25partition_config_selectorILNS1_17partition_subalgoE4EjNS0_10empty_typeEbEEZZNS1_14partition_implILS8_4ELb0ES6_15HIP_vector_typeIjLj2EENS0_17counting_iteratorIjlEEPS9_SG_NS0_5tupleIJPjSI_NS0_16reverse_iteratorISI_EEEEENSH_IJSG_SG_SG_EEES9_SI_JZNS1_25segmented_radix_sort_implINS0_14default_configELb1EPK12hip_bfloat16PSP_PKlPlN2at6native12_GLOBAL__N_18offset_tEEE10hipError_tPvRmT1_PNSt15iterator_traitsIS13_E10value_typeET2_T3_PNS14_IS19_E10value_typeET4_jRbjT5_S1F_jjP12ihipStream_tbEUljE_ZNSN_ISO_Lb1ESR_SS_SU_SV_SZ_EES10_S11_S12_S13_S17_S18_S19_S1C_S1D_jS1E_jS1F_S1F_jjS1H_bEUljE0_EEES10_S11_S12_S19_S1D_S1F_T6_T7_T9_mT8_S1H_bDpT10_ENKUlT_T0_E_clISt17integral_constantIbLb0EES1U_IbLb1EEEEDaS1Q_S1R_EUlS1Q_E_NS1_11comp_targetILNS1_3genE0ELNS1_11target_archE4294967295ELNS1_3gpuE0ELNS1_3repE0EEENS1_30default_config_static_selectorELNS0_4arch9wavefront6targetE0EEEvS13_.has_recursion, 0
	.set _ZN7rocprim17ROCPRIM_400000_NS6detail17trampoline_kernelINS0_13select_configILj256ELj13ELNS0_17block_load_methodE3ELS4_3ELS4_3ELNS0_20block_scan_algorithmE0ELj4294967295EEENS1_25partition_config_selectorILNS1_17partition_subalgoE4EjNS0_10empty_typeEbEEZZNS1_14partition_implILS8_4ELb0ES6_15HIP_vector_typeIjLj2EENS0_17counting_iteratorIjlEEPS9_SG_NS0_5tupleIJPjSI_NS0_16reverse_iteratorISI_EEEEENSH_IJSG_SG_SG_EEES9_SI_JZNS1_25segmented_radix_sort_implINS0_14default_configELb1EPK12hip_bfloat16PSP_PKlPlN2at6native12_GLOBAL__N_18offset_tEEE10hipError_tPvRmT1_PNSt15iterator_traitsIS13_E10value_typeET2_T3_PNS14_IS19_E10value_typeET4_jRbjT5_S1F_jjP12ihipStream_tbEUljE_ZNSN_ISO_Lb1ESR_SS_SU_SV_SZ_EES10_S11_S12_S13_S17_S18_S19_S1C_S1D_jS1E_jS1F_S1F_jjS1H_bEUljE0_EEES10_S11_S12_S19_S1D_S1F_T6_T7_T9_mT8_S1H_bDpT10_ENKUlT_T0_E_clISt17integral_constantIbLb0EES1U_IbLb1EEEEDaS1Q_S1R_EUlS1Q_E_NS1_11comp_targetILNS1_3genE0ELNS1_11target_archE4294967295ELNS1_3gpuE0ELNS1_3repE0EEENS1_30default_config_static_selectorELNS0_4arch9wavefront6targetE0EEEvS13_.has_indirect_call, 0
	.section	.AMDGPU.csdata,"",@progbits
; Kernel info:
; codeLenInByte = 17828
; TotalNumSgprs: 57
; NumVgprs: 86
; ScratchSize: 0
; MemoryBound: 0
; FloatMode: 240
; IeeeMode: 1
; LDSByteSize: 13328 bytes/workgroup (compile time only)
; SGPRBlocks: 0
; VGPRBlocks: 5
; NumSGPRsForWavesPerEU: 57
; NumVGPRsForWavesPerEU: 86
; NamedBarCnt: 0
; Occupancy: 10
; WaveLimiterHint : 1
; COMPUTE_PGM_RSRC2:SCRATCH_EN: 0
; COMPUTE_PGM_RSRC2:USER_SGPR: 2
; COMPUTE_PGM_RSRC2:TRAP_HANDLER: 0
; COMPUTE_PGM_RSRC2:TGID_X_EN: 1
; COMPUTE_PGM_RSRC2:TGID_Y_EN: 0
; COMPUTE_PGM_RSRC2:TGID_Z_EN: 0
; COMPUTE_PGM_RSRC2:TIDIG_COMP_CNT: 0
	.section	.text._ZN7rocprim17ROCPRIM_400000_NS6detail17trampoline_kernelINS0_13select_configILj256ELj13ELNS0_17block_load_methodE3ELS4_3ELS4_3ELNS0_20block_scan_algorithmE0ELj4294967295EEENS1_25partition_config_selectorILNS1_17partition_subalgoE4EjNS0_10empty_typeEbEEZZNS1_14partition_implILS8_4ELb0ES6_15HIP_vector_typeIjLj2EENS0_17counting_iteratorIjlEEPS9_SG_NS0_5tupleIJPjSI_NS0_16reverse_iteratorISI_EEEEENSH_IJSG_SG_SG_EEES9_SI_JZNS1_25segmented_radix_sort_implINS0_14default_configELb1EPK12hip_bfloat16PSP_PKlPlN2at6native12_GLOBAL__N_18offset_tEEE10hipError_tPvRmT1_PNSt15iterator_traitsIS13_E10value_typeET2_T3_PNS14_IS19_E10value_typeET4_jRbjT5_S1F_jjP12ihipStream_tbEUljE_ZNSN_ISO_Lb1ESR_SS_SU_SV_SZ_EES10_S11_S12_S13_S17_S18_S19_S1C_S1D_jS1E_jS1F_S1F_jjS1H_bEUljE0_EEES10_S11_S12_S19_S1D_S1F_T6_T7_T9_mT8_S1H_bDpT10_ENKUlT_T0_E_clISt17integral_constantIbLb0EES1U_IbLb1EEEEDaS1Q_S1R_EUlS1Q_E_NS1_11comp_targetILNS1_3genE5ELNS1_11target_archE942ELNS1_3gpuE9ELNS1_3repE0EEENS1_30default_config_static_selectorELNS0_4arch9wavefront6targetE0EEEvS13_,"axG",@progbits,_ZN7rocprim17ROCPRIM_400000_NS6detail17trampoline_kernelINS0_13select_configILj256ELj13ELNS0_17block_load_methodE3ELS4_3ELS4_3ELNS0_20block_scan_algorithmE0ELj4294967295EEENS1_25partition_config_selectorILNS1_17partition_subalgoE4EjNS0_10empty_typeEbEEZZNS1_14partition_implILS8_4ELb0ES6_15HIP_vector_typeIjLj2EENS0_17counting_iteratorIjlEEPS9_SG_NS0_5tupleIJPjSI_NS0_16reverse_iteratorISI_EEEEENSH_IJSG_SG_SG_EEES9_SI_JZNS1_25segmented_radix_sort_implINS0_14default_configELb1EPK12hip_bfloat16PSP_PKlPlN2at6native12_GLOBAL__N_18offset_tEEE10hipError_tPvRmT1_PNSt15iterator_traitsIS13_E10value_typeET2_T3_PNS14_IS19_E10value_typeET4_jRbjT5_S1F_jjP12ihipStream_tbEUljE_ZNSN_ISO_Lb1ESR_SS_SU_SV_SZ_EES10_S11_S12_S13_S17_S18_S19_S1C_S1D_jS1E_jS1F_S1F_jjS1H_bEUljE0_EEES10_S11_S12_S19_S1D_S1F_T6_T7_T9_mT8_S1H_bDpT10_ENKUlT_T0_E_clISt17integral_constantIbLb0EES1U_IbLb1EEEEDaS1Q_S1R_EUlS1Q_E_NS1_11comp_targetILNS1_3genE5ELNS1_11target_archE942ELNS1_3gpuE9ELNS1_3repE0EEENS1_30default_config_static_selectorELNS0_4arch9wavefront6targetE0EEEvS13_,comdat
	.globl	_ZN7rocprim17ROCPRIM_400000_NS6detail17trampoline_kernelINS0_13select_configILj256ELj13ELNS0_17block_load_methodE3ELS4_3ELS4_3ELNS0_20block_scan_algorithmE0ELj4294967295EEENS1_25partition_config_selectorILNS1_17partition_subalgoE4EjNS0_10empty_typeEbEEZZNS1_14partition_implILS8_4ELb0ES6_15HIP_vector_typeIjLj2EENS0_17counting_iteratorIjlEEPS9_SG_NS0_5tupleIJPjSI_NS0_16reverse_iteratorISI_EEEEENSH_IJSG_SG_SG_EEES9_SI_JZNS1_25segmented_radix_sort_implINS0_14default_configELb1EPK12hip_bfloat16PSP_PKlPlN2at6native12_GLOBAL__N_18offset_tEEE10hipError_tPvRmT1_PNSt15iterator_traitsIS13_E10value_typeET2_T3_PNS14_IS19_E10value_typeET4_jRbjT5_S1F_jjP12ihipStream_tbEUljE_ZNSN_ISO_Lb1ESR_SS_SU_SV_SZ_EES10_S11_S12_S13_S17_S18_S19_S1C_S1D_jS1E_jS1F_S1F_jjS1H_bEUljE0_EEES10_S11_S12_S19_S1D_S1F_T6_T7_T9_mT8_S1H_bDpT10_ENKUlT_T0_E_clISt17integral_constantIbLb0EES1U_IbLb1EEEEDaS1Q_S1R_EUlS1Q_E_NS1_11comp_targetILNS1_3genE5ELNS1_11target_archE942ELNS1_3gpuE9ELNS1_3repE0EEENS1_30default_config_static_selectorELNS0_4arch9wavefront6targetE0EEEvS13_ ; -- Begin function _ZN7rocprim17ROCPRIM_400000_NS6detail17trampoline_kernelINS0_13select_configILj256ELj13ELNS0_17block_load_methodE3ELS4_3ELS4_3ELNS0_20block_scan_algorithmE0ELj4294967295EEENS1_25partition_config_selectorILNS1_17partition_subalgoE4EjNS0_10empty_typeEbEEZZNS1_14partition_implILS8_4ELb0ES6_15HIP_vector_typeIjLj2EENS0_17counting_iteratorIjlEEPS9_SG_NS0_5tupleIJPjSI_NS0_16reverse_iteratorISI_EEEEENSH_IJSG_SG_SG_EEES9_SI_JZNS1_25segmented_radix_sort_implINS0_14default_configELb1EPK12hip_bfloat16PSP_PKlPlN2at6native12_GLOBAL__N_18offset_tEEE10hipError_tPvRmT1_PNSt15iterator_traitsIS13_E10value_typeET2_T3_PNS14_IS19_E10value_typeET4_jRbjT5_S1F_jjP12ihipStream_tbEUljE_ZNSN_ISO_Lb1ESR_SS_SU_SV_SZ_EES10_S11_S12_S13_S17_S18_S19_S1C_S1D_jS1E_jS1F_S1F_jjS1H_bEUljE0_EEES10_S11_S12_S19_S1D_S1F_T6_T7_T9_mT8_S1H_bDpT10_ENKUlT_T0_E_clISt17integral_constantIbLb0EES1U_IbLb1EEEEDaS1Q_S1R_EUlS1Q_E_NS1_11comp_targetILNS1_3genE5ELNS1_11target_archE942ELNS1_3gpuE9ELNS1_3repE0EEENS1_30default_config_static_selectorELNS0_4arch9wavefront6targetE0EEEvS13_
	.p2align	8
	.type	_ZN7rocprim17ROCPRIM_400000_NS6detail17trampoline_kernelINS0_13select_configILj256ELj13ELNS0_17block_load_methodE3ELS4_3ELS4_3ELNS0_20block_scan_algorithmE0ELj4294967295EEENS1_25partition_config_selectorILNS1_17partition_subalgoE4EjNS0_10empty_typeEbEEZZNS1_14partition_implILS8_4ELb0ES6_15HIP_vector_typeIjLj2EENS0_17counting_iteratorIjlEEPS9_SG_NS0_5tupleIJPjSI_NS0_16reverse_iteratorISI_EEEEENSH_IJSG_SG_SG_EEES9_SI_JZNS1_25segmented_radix_sort_implINS0_14default_configELb1EPK12hip_bfloat16PSP_PKlPlN2at6native12_GLOBAL__N_18offset_tEEE10hipError_tPvRmT1_PNSt15iterator_traitsIS13_E10value_typeET2_T3_PNS14_IS19_E10value_typeET4_jRbjT5_S1F_jjP12ihipStream_tbEUljE_ZNSN_ISO_Lb1ESR_SS_SU_SV_SZ_EES10_S11_S12_S13_S17_S18_S19_S1C_S1D_jS1E_jS1F_S1F_jjS1H_bEUljE0_EEES10_S11_S12_S19_S1D_S1F_T6_T7_T9_mT8_S1H_bDpT10_ENKUlT_T0_E_clISt17integral_constantIbLb0EES1U_IbLb1EEEEDaS1Q_S1R_EUlS1Q_E_NS1_11comp_targetILNS1_3genE5ELNS1_11target_archE942ELNS1_3gpuE9ELNS1_3repE0EEENS1_30default_config_static_selectorELNS0_4arch9wavefront6targetE0EEEvS13_,@function
_ZN7rocprim17ROCPRIM_400000_NS6detail17trampoline_kernelINS0_13select_configILj256ELj13ELNS0_17block_load_methodE3ELS4_3ELS4_3ELNS0_20block_scan_algorithmE0ELj4294967295EEENS1_25partition_config_selectorILNS1_17partition_subalgoE4EjNS0_10empty_typeEbEEZZNS1_14partition_implILS8_4ELb0ES6_15HIP_vector_typeIjLj2EENS0_17counting_iteratorIjlEEPS9_SG_NS0_5tupleIJPjSI_NS0_16reverse_iteratorISI_EEEEENSH_IJSG_SG_SG_EEES9_SI_JZNS1_25segmented_radix_sort_implINS0_14default_configELb1EPK12hip_bfloat16PSP_PKlPlN2at6native12_GLOBAL__N_18offset_tEEE10hipError_tPvRmT1_PNSt15iterator_traitsIS13_E10value_typeET2_T3_PNS14_IS19_E10value_typeET4_jRbjT5_S1F_jjP12ihipStream_tbEUljE_ZNSN_ISO_Lb1ESR_SS_SU_SV_SZ_EES10_S11_S12_S13_S17_S18_S19_S1C_S1D_jS1E_jS1F_S1F_jjS1H_bEUljE0_EEES10_S11_S12_S19_S1D_S1F_T6_T7_T9_mT8_S1H_bDpT10_ENKUlT_T0_E_clISt17integral_constantIbLb0EES1U_IbLb1EEEEDaS1Q_S1R_EUlS1Q_E_NS1_11comp_targetILNS1_3genE5ELNS1_11target_archE942ELNS1_3gpuE9ELNS1_3repE0EEENS1_30default_config_static_selectorELNS0_4arch9wavefront6targetE0EEEvS13_: ; @_ZN7rocprim17ROCPRIM_400000_NS6detail17trampoline_kernelINS0_13select_configILj256ELj13ELNS0_17block_load_methodE3ELS4_3ELS4_3ELNS0_20block_scan_algorithmE0ELj4294967295EEENS1_25partition_config_selectorILNS1_17partition_subalgoE4EjNS0_10empty_typeEbEEZZNS1_14partition_implILS8_4ELb0ES6_15HIP_vector_typeIjLj2EENS0_17counting_iteratorIjlEEPS9_SG_NS0_5tupleIJPjSI_NS0_16reverse_iteratorISI_EEEEENSH_IJSG_SG_SG_EEES9_SI_JZNS1_25segmented_radix_sort_implINS0_14default_configELb1EPK12hip_bfloat16PSP_PKlPlN2at6native12_GLOBAL__N_18offset_tEEE10hipError_tPvRmT1_PNSt15iterator_traitsIS13_E10value_typeET2_T3_PNS14_IS19_E10value_typeET4_jRbjT5_S1F_jjP12ihipStream_tbEUljE_ZNSN_ISO_Lb1ESR_SS_SU_SV_SZ_EES10_S11_S12_S13_S17_S18_S19_S1C_S1D_jS1E_jS1F_S1F_jjS1H_bEUljE0_EEES10_S11_S12_S19_S1D_S1F_T6_T7_T9_mT8_S1H_bDpT10_ENKUlT_T0_E_clISt17integral_constantIbLb0EES1U_IbLb1EEEEDaS1Q_S1R_EUlS1Q_E_NS1_11comp_targetILNS1_3genE5ELNS1_11target_archE942ELNS1_3gpuE9ELNS1_3repE0EEENS1_30default_config_static_selectorELNS0_4arch9wavefront6targetE0EEEvS13_
; %bb.0:
	.section	.rodata,"a",@progbits
	.p2align	6, 0x0
	.amdhsa_kernel _ZN7rocprim17ROCPRIM_400000_NS6detail17trampoline_kernelINS0_13select_configILj256ELj13ELNS0_17block_load_methodE3ELS4_3ELS4_3ELNS0_20block_scan_algorithmE0ELj4294967295EEENS1_25partition_config_selectorILNS1_17partition_subalgoE4EjNS0_10empty_typeEbEEZZNS1_14partition_implILS8_4ELb0ES6_15HIP_vector_typeIjLj2EENS0_17counting_iteratorIjlEEPS9_SG_NS0_5tupleIJPjSI_NS0_16reverse_iteratorISI_EEEEENSH_IJSG_SG_SG_EEES9_SI_JZNS1_25segmented_radix_sort_implINS0_14default_configELb1EPK12hip_bfloat16PSP_PKlPlN2at6native12_GLOBAL__N_18offset_tEEE10hipError_tPvRmT1_PNSt15iterator_traitsIS13_E10value_typeET2_T3_PNS14_IS19_E10value_typeET4_jRbjT5_S1F_jjP12ihipStream_tbEUljE_ZNSN_ISO_Lb1ESR_SS_SU_SV_SZ_EES10_S11_S12_S13_S17_S18_S19_S1C_S1D_jS1E_jS1F_S1F_jjS1H_bEUljE0_EEES10_S11_S12_S19_S1D_S1F_T6_T7_T9_mT8_S1H_bDpT10_ENKUlT_T0_E_clISt17integral_constantIbLb0EES1U_IbLb1EEEEDaS1Q_S1R_EUlS1Q_E_NS1_11comp_targetILNS1_3genE5ELNS1_11target_archE942ELNS1_3gpuE9ELNS1_3repE0EEENS1_30default_config_static_selectorELNS0_4arch9wavefront6targetE0EEEvS13_
		.amdhsa_group_segment_fixed_size 0
		.amdhsa_private_segment_fixed_size 0
		.amdhsa_kernarg_size 184
		.amdhsa_user_sgpr_count 2
		.amdhsa_user_sgpr_dispatch_ptr 0
		.amdhsa_user_sgpr_queue_ptr 0
		.amdhsa_user_sgpr_kernarg_segment_ptr 1
		.amdhsa_user_sgpr_dispatch_id 0
		.amdhsa_user_sgpr_kernarg_preload_length 0
		.amdhsa_user_sgpr_kernarg_preload_offset 0
		.amdhsa_user_sgpr_private_segment_size 0
		.amdhsa_wavefront_size32 1
		.amdhsa_uses_dynamic_stack 0
		.amdhsa_enable_private_segment 0
		.amdhsa_system_sgpr_workgroup_id_x 1
		.amdhsa_system_sgpr_workgroup_id_y 0
		.amdhsa_system_sgpr_workgroup_id_z 0
		.amdhsa_system_sgpr_workgroup_info 0
		.amdhsa_system_vgpr_workitem_id 0
		.amdhsa_next_free_vgpr 1
		.amdhsa_next_free_sgpr 1
		.amdhsa_named_barrier_count 0
		.amdhsa_reserve_vcc 0
		.amdhsa_float_round_mode_32 0
		.amdhsa_float_round_mode_16_64 0
		.amdhsa_float_denorm_mode_32 3
		.amdhsa_float_denorm_mode_16_64 3
		.amdhsa_fp16_overflow 0
		.amdhsa_memory_ordered 1
		.amdhsa_forward_progress 1
		.amdhsa_inst_pref_size 0
		.amdhsa_round_robin_scheduling 0
		.amdhsa_exception_fp_ieee_invalid_op 0
		.amdhsa_exception_fp_denorm_src 0
		.amdhsa_exception_fp_ieee_div_zero 0
		.amdhsa_exception_fp_ieee_overflow 0
		.amdhsa_exception_fp_ieee_underflow 0
		.amdhsa_exception_fp_ieee_inexact 0
		.amdhsa_exception_int_div_zero 0
	.end_amdhsa_kernel
	.section	.text._ZN7rocprim17ROCPRIM_400000_NS6detail17trampoline_kernelINS0_13select_configILj256ELj13ELNS0_17block_load_methodE3ELS4_3ELS4_3ELNS0_20block_scan_algorithmE0ELj4294967295EEENS1_25partition_config_selectorILNS1_17partition_subalgoE4EjNS0_10empty_typeEbEEZZNS1_14partition_implILS8_4ELb0ES6_15HIP_vector_typeIjLj2EENS0_17counting_iteratorIjlEEPS9_SG_NS0_5tupleIJPjSI_NS0_16reverse_iteratorISI_EEEEENSH_IJSG_SG_SG_EEES9_SI_JZNS1_25segmented_radix_sort_implINS0_14default_configELb1EPK12hip_bfloat16PSP_PKlPlN2at6native12_GLOBAL__N_18offset_tEEE10hipError_tPvRmT1_PNSt15iterator_traitsIS13_E10value_typeET2_T3_PNS14_IS19_E10value_typeET4_jRbjT5_S1F_jjP12ihipStream_tbEUljE_ZNSN_ISO_Lb1ESR_SS_SU_SV_SZ_EES10_S11_S12_S13_S17_S18_S19_S1C_S1D_jS1E_jS1F_S1F_jjS1H_bEUljE0_EEES10_S11_S12_S19_S1D_S1F_T6_T7_T9_mT8_S1H_bDpT10_ENKUlT_T0_E_clISt17integral_constantIbLb0EES1U_IbLb1EEEEDaS1Q_S1R_EUlS1Q_E_NS1_11comp_targetILNS1_3genE5ELNS1_11target_archE942ELNS1_3gpuE9ELNS1_3repE0EEENS1_30default_config_static_selectorELNS0_4arch9wavefront6targetE0EEEvS13_,"axG",@progbits,_ZN7rocprim17ROCPRIM_400000_NS6detail17trampoline_kernelINS0_13select_configILj256ELj13ELNS0_17block_load_methodE3ELS4_3ELS4_3ELNS0_20block_scan_algorithmE0ELj4294967295EEENS1_25partition_config_selectorILNS1_17partition_subalgoE4EjNS0_10empty_typeEbEEZZNS1_14partition_implILS8_4ELb0ES6_15HIP_vector_typeIjLj2EENS0_17counting_iteratorIjlEEPS9_SG_NS0_5tupleIJPjSI_NS0_16reverse_iteratorISI_EEEEENSH_IJSG_SG_SG_EEES9_SI_JZNS1_25segmented_radix_sort_implINS0_14default_configELb1EPK12hip_bfloat16PSP_PKlPlN2at6native12_GLOBAL__N_18offset_tEEE10hipError_tPvRmT1_PNSt15iterator_traitsIS13_E10value_typeET2_T3_PNS14_IS19_E10value_typeET4_jRbjT5_S1F_jjP12ihipStream_tbEUljE_ZNSN_ISO_Lb1ESR_SS_SU_SV_SZ_EES10_S11_S12_S13_S17_S18_S19_S1C_S1D_jS1E_jS1F_S1F_jjS1H_bEUljE0_EEES10_S11_S12_S19_S1D_S1F_T6_T7_T9_mT8_S1H_bDpT10_ENKUlT_T0_E_clISt17integral_constantIbLb0EES1U_IbLb1EEEEDaS1Q_S1R_EUlS1Q_E_NS1_11comp_targetILNS1_3genE5ELNS1_11target_archE942ELNS1_3gpuE9ELNS1_3repE0EEENS1_30default_config_static_selectorELNS0_4arch9wavefront6targetE0EEEvS13_,comdat
.Lfunc_end1897:
	.size	_ZN7rocprim17ROCPRIM_400000_NS6detail17trampoline_kernelINS0_13select_configILj256ELj13ELNS0_17block_load_methodE3ELS4_3ELS4_3ELNS0_20block_scan_algorithmE0ELj4294967295EEENS1_25partition_config_selectorILNS1_17partition_subalgoE4EjNS0_10empty_typeEbEEZZNS1_14partition_implILS8_4ELb0ES6_15HIP_vector_typeIjLj2EENS0_17counting_iteratorIjlEEPS9_SG_NS0_5tupleIJPjSI_NS0_16reverse_iteratorISI_EEEEENSH_IJSG_SG_SG_EEES9_SI_JZNS1_25segmented_radix_sort_implINS0_14default_configELb1EPK12hip_bfloat16PSP_PKlPlN2at6native12_GLOBAL__N_18offset_tEEE10hipError_tPvRmT1_PNSt15iterator_traitsIS13_E10value_typeET2_T3_PNS14_IS19_E10value_typeET4_jRbjT5_S1F_jjP12ihipStream_tbEUljE_ZNSN_ISO_Lb1ESR_SS_SU_SV_SZ_EES10_S11_S12_S13_S17_S18_S19_S1C_S1D_jS1E_jS1F_S1F_jjS1H_bEUljE0_EEES10_S11_S12_S19_S1D_S1F_T6_T7_T9_mT8_S1H_bDpT10_ENKUlT_T0_E_clISt17integral_constantIbLb0EES1U_IbLb1EEEEDaS1Q_S1R_EUlS1Q_E_NS1_11comp_targetILNS1_3genE5ELNS1_11target_archE942ELNS1_3gpuE9ELNS1_3repE0EEENS1_30default_config_static_selectorELNS0_4arch9wavefront6targetE0EEEvS13_, .Lfunc_end1897-_ZN7rocprim17ROCPRIM_400000_NS6detail17trampoline_kernelINS0_13select_configILj256ELj13ELNS0_17block_load_methodE3ELS4_3ELS4_3ELNS0_20block_scan_algorithmE0ELj4294967295EEENS1_25partition_config_selectorILNS1_17partition_subalgoE4EjNS0_10empty_typeEbEEZZNS1_14partition_implILS8_4ELb0ES6_15HIP_vector_typeIjLj2EENS0_17counting_iteratorIjlEEPS9_SG_NS0_5tupleIJPjSI_NS0_16reverse_iteratorISI_EEEEENSH_IJSG_SG_SG_EEES9_SI_JZNS1_25segmented_radix_sort_implINS0_14default_configELb1EPK12hip_bfloat16PSP_PKlPlN2at6native12_GLOBAL__N_18offset_tEEE10hipError_tPvRmT1_PNSt15iterator_traitsIS13_E10value_typeET2_T3_PNS14_IS19_E10value_typeET4_jRbjT5_S1F_jjP12ihipStream_tbEUljE_ZNSN_ISO_Lb1ESR_SS_SU_SV_SZ_EES10_S11_S12_S13_S17_S18_S19_S1C_S1D_jS1E_jS1F_S1F_jjS1H_bEUljE0_EEES10_S11_S12_S19_S1D_S1F_T6_T7_T9_mT8_S1H_bDpT10_ENKUlT_T0_E_clISt17integral_constantIbLb0EES1U_IbLb1EEEEDaS1Q_S1R_EUlS1Q_E_NS1_11comp_targetILNS1_3genE5ELNS1_11target_archE942ELNS1_3gpuE9ELNS1_3repE0EEENS1_30default_config_static_selectorELNS0_4arch9wavefront6targetE0EEEvS13_
                                        ; -- End function
	.set _ZN7rocprim17ROCPRIM_400000_NS6detail17trampoline_kernelINS0_13select_configILj256ELj13ELNS0_17block_load_methodE3ELS4_3ELS4_3ELNS0_20block_scan_algorithmE0ELj4294967295EEENS1_25partition_config_selectorILNS1_17partition_subalgoE4EjNS0_10empty_typeEbEEZZNS1_14partition_implILS8_4ELb0ES6_15HIP_vector_typeIjLj2EENS0_17counting_iteratorIjlEEPS9_SG_NS0_5tupleIJPjSI_NS0_16reverse_iteratorISI_EEEEENSH_IJSG_SG_SG_EEES9_SI_JZNS1_25segmented_radix_sort_implINS0_14default_configELb1EPK12hip_bfloat16PSP_PKlPlN2at6native12_GLOBAL__N_18offset_tEEE10hipError_tPvRmT1_PNSt15iterator_traitsIS13_E10value_typeET2_T3_PNS14_IS19_E10value_typeET4_jRbjT5_S1F_jjP12ihipStream_tbEUljE_ZNSN_ISO_Lb1ESR_SS_SU_SV_SZ_EES10_S11_S12_S13_S17_S18_S19_S1C_S1D_jS1E_jS1F_S1F_jjS1H_bEUljE0_EEES10_S11_S12_S19_S1D_S1F_T6_T7_T9_mT8_S1H_bDpT10_ENKUlT_T0_E_clISt17integral_constantIbLb0EES1U_IbLb1EEEEDaS1Q_S1R_EUlS1Q_E_NS1_11comp_targetILNS1_3genE5ELNS1_11target_archE942ELNS1_3gpuE9ELNS1_3repE0EEENS1_30default_config_static_selectorELNS0_4arch9wavefront6targetE0EEEvS13_.num_vgpr, 0
	.set _ZN7rocprim17ROCPRIM_400000_NS6detail17trampoline_kernelINS0_13select_configILj256ELj13ELNS0_17block_load_methodE3ELS4_3ELS4_3ELNS0_20block_scan_algorithmE0ELj4294967295EEENS1_25partition_config_selectorILNS1_17partition_subalgoE4EjNS0_10empty_typeEbEEZZNS1_14partition_implILS8_4ELb0ES6_15HIP_vector_typeIjLj2EENS0_17counting_iteratorIjlEEPS9_SG_NS0_5tupleIJPjSI_NS0_16reverse_iteratorISI_EEEEENSH_IJSG_SG_SG_EEES9_SI_JZNS1_25segmented_radix_sort_implINS0_14default_configELb1EPK12hip_bfloat16PSP_PKlPlN2at6native12_GLOBAL__N_18offset_tEEE10hipError_tPvRmT1_PNSt15iterator_traitsIS13_E10value_typeET2_T3_PNS14_IS19_E10value_typeET4_jRbjT5_S1F_jjP12ihipStream_tbEUljE_ZNSN_ISO_Lb1ESR_SS_SU_SV_SZ_EES10_S11_S12_S13_S17_S18_S19_S1C_S1D_jS1E_jS1F_S1F_jjS1H_bEUljE0_EEES10_S11_S12_S19_S1D_S1F_T6_T7_T9_mT8_S1H_bDpT10_ENKUlT_T0_E_clISt17integral_constantIbLb0EES1U_IbLb1EEEEDaS1Q_S1R_EUlS1Q_E_NS1_11comp_targetILNS1_3genE5ELNS1_11target_archE942ELNS1_3gpuE9ELNS1_3repE0EEENS1_30default_config_static_selectorELNS0_4arch9wavefront6targetE0EEEvS13_.num_agpr, 0
	.set _ZN7rocprim17ROCPRIM_400000_NS6detail17trampoline_kernelINS0_13select_configILj256ELj13ELNS0_17block_load_methodE3ELS4_3ELS4_3ELNS0_20block_scan_algorithmE0ELj4294967295EEENS1_25partition_config_selectorILNS1_17partition_subalgoE4EjNS0_10empty_typeEbEEZZNS1_14partition_implILS8_4ELb0ES6_15HIP_vector_typeIjLj2EENS0_17counting_iteratorIjlEEPS9_SG_NS0_5tupleIJPjSI_NS0_16reverse_iteratorISI_EEEEENSH_IJSG_SG_SG_EEES9_SI_JZNS1_25segmented_radix_sort_implINS0_14default_configELb1EPK12hip_bfloat16PSP_PKlPlN2at6native12_GLOBAL__N_18offset_tEEE10hipError_tPvRmT1_PNSt15iterator_traitsIS13_E10value_typeET2_T3_PNS14_IS19_E10value_typeET4_jRbjT5_S1F_jjP12ihipStream_tbEUljE_ZNSN_ISO_Lb1ESR_SS_SU_SV_SZ_EES10_S11_S12_S13_S17_S18_S19_S1C_S1D_jS1E_jS1F_S1F_jjS1H_bEUljE0_EEES10_S11_S12_S19_S1D_S1F_T6_T7_T9_mT8_S1H_bDpT10_ENKUlT_T0_E_clISt17integral_constantIbLb0EES1U_IbLb1EEEEDaS1Q_S1R_EUlS1Q_E_NS1_11comp_targetILNS1_3genE5ELNS1_11target_archE942ELNS1_3gpuE9ELNS1_3repE0EEENS1_30default_config_static_selectorELNS0_4arch9wavefront6targetE0EEEvS13_.numbered_sgpr, 0
	.set _ZN7rocprim17ROCPRIM_400000_NS6detail17trampoline_kernelINS0_13select_configILj256ELj13ELNS0_17block_load_methodE3ELS4_3ELS4_3ELNS0_20block_scan_algorithmE0ELj4294967295EEENS1_25partition_config_selectorILNS1_17partition_subalgoE4EjNS0_10empty_typeEbEEZZNS1_14partition_implILS8_4ELb0ES6_15HIP_vector_typeIjLj2EENS0_17counting_iteratorIjlEEPS9_SG_NS0_5tupleIJPjSI_NS0_16reverse_iteratorISI_EEEEENSH_IJSG_SG_SG_EEES9_SI_JZNS1_25segmented_radix_sort_implINS0_14default_configELb1EPK12hip_bfloat16PSP_PKlPlN2at6native12_GLOBAL__N_18offset_tEEE10hipError_tPvRmT1_PNSt15iterator_traitsIS13_E10value_typeET2_T3_PNS14_IS19_E10value_typeET4_jRbjT5_S1F_jjP12ihipStream_tbEUljE_ZNSN_ISO_Lb1ESR_SS_SU_SV_SZ_EES10_S11_S12_S13_S17_S18_S19_S1C_S1D_jS1E_jS1F_S1F_jjS1H_bEUljE0_EEES10_S11_S12_S19_S1D_S1F_T6_T7_T9_mT8_S1H_bDpT10_ENKUlT_T0_E_clISt17integral_constantIbLb0EES1U_IbLb1EEEEDaS1Q_S1R_EUlS1Q_E_NS1_11comp_targetILNS1_3genE5ELNS1_11target_archE942ELNS1_3gpuE9ELNS1_3repE0EEENS1_30default_config_static_selectorELNS0_4arch9wavefront6targetE0EEEvS13_.num_named_barrier, 0
	.set _ZN7rocprim17ROCPRIM_400000_NS6detail17trampoline_kernelINS0_13select_configILj256ELj13ELNS0_17block_load_methodE3ELS4_3ELS4_3ELNS0_20block_scan_algorithmE0ELj4294967295EEENS1_25partition_config_selectorILNS1_17partition_subalgoE4EjNS0_10empty_typeEbEEZZNS1_14partition_implILS8_4ELb0ES6_15HIP_vector_typeIjLj2EENS0_17counting_iteratorIjlEEPS9_SG_NS0_5tupleIJPjSI_NS0_16reverse_iteratorISI_EEEEENSH_IJSG_SG_SG_EEES9_SI_JZNS1_25segmented_radix_sort_implINS0_14default_configELb1EPK12hip_bfloat16PSP_PKlPlN2at6native12_GLOBAL__N_18offset_tEEE10hipError_tPvRmT1_PNSt15iterator_traitsIS13_E10value_typeET2_T3_PNS14_IS19_E10value_typeET4_jRbjT5_S1F_jjP12ihipStream_tbEUljE_ZNSN_ISO_Lb1ESR_SS_SU_SV_SZ_EES10_S11_S12_S13_S17_S18_S19_S1C_S1D_jS1E_jS1F_S1F_jjS1H_bEUljE0_EEES10_S11_S12_S19_S1D_S1F_T6_T7_T9_mT8_S1H_bDpT10_ENKUlT_T0_E_clISt17integral_constantIbLb0EES1U_IbLb1EEEEDaS1Q_S1R_EUlS1Q_E_NS1_11comp_targetILNS1_3genE5ELNS1_11target_archE942ELNS1_3gpuE9ELNS1_3repE0EEENS1_30default_config_static_selectorELNS0_4arch9wavefront6targetE0EEEvS13_.private_seg_size, 0
	.set _ZN7rocprim17ROCPRIM_400000_NS6detail17trampoline_kernelINS0_13select_configILj256ELj13ELNS0_17block_load_methodE3ELS4_3ELS4_3ELNS0_20block_scan_algorithmE0ELj4294967295EEENS1_25partition_config_selectorILNS1_17partition_subalgoE4EjNS0_10empty_typeEbEEZZNS1_14partition_implILS8_4ELb0ES6_15HIP_vector_typeIjLj2EENS0_17counting_iteratorIjlEEPS9_SG_NS0_5tupleIJPjSI_NS0_16reverse_iteratorISI_EEEEENSH_IJSG_SG_SG_EEES9_SI_JZNS1_25segmented_radix_sort_implINS0_14default_configELb1EPK12hip_bfloat16PSP_PKlPlN2at6native12_GLOBAL__N_18offset_tEEE10hipError_tPvRmT1_PNSt15iterator_traitsIS13_E10value_typeET2_T3_PNS14_IS19_E10value_typeET4_jRbjT5_S1F_jjP12ihipStream_tbEUljE_ZNSN_ISO_Lb1ESR_SS_SU_SV_SZ_EES10_S11_S12_S13_S17_S18_S19_S1C_S1D_jS1E_jS1F_S1F_jjS1H_bEUljE0_EEES10_S11_S12_S19_S1D_S1F_T6_T7_T9_mT8_S1H_bDpT10_ENKUlT_T0_E_clISt17integral_constantIbLb0EES1U_IbLb1EEEEDaS1Q_S1R_EUlS1Q_E_NS1_11comp_targetILNS1_3genE5ELNS1_11target_archE942ELNS1_3gpuE9ELNS1_3repE0EEENS1_30default_config_static_selectorELNS0_4arch9wavefront6targetE0EEEvS13_.uses_vcc, 0
	.set _ZN7rocprim17ROCPRIM_400000_NS6detail17trampoline_kernelINS0_13select_configILj256ELj13ELNS0_17block_load_methodE3ELS4_3ELS4_3ELNS0_20block_scan_algorithmE0ELj4294967295EEENS1_25partition_config_selectorILNS1_17partition_subalgoE4EjNS0_10empty_typeEbEEZZNS1_14partition_implILS8_4ELb0ES6_15HIP_vector_typeIjLj2EENS0_17counting_iteratorIjlEEPS9_SG_NS0_5tupleIJPjSI_NS0_16reverse_iteratorISI_EEEEENSH_IJSG_SG_SG_EEES9_SI_JZNS1_25segmented_radix_sort_implINS0_14default_configELb1EPK12hip_bfloat16PSP_PKlPlN2at6native12_GLOBAL__N_18offset_tEEE10hipError_tPvRmT1_PNSt15iterator_traitsIS13_E10value_typeET2_T3_PNS14_IS19_E10value_typeET4_jRbjT5_S1F_jjP12ihipStream_tbEUljE_ZNSN_ISO_Lb1ESR_SS_SU_SV_SZ_EES10_S11_S12_S13_S17_S18_S19_S1C_S1D_jS1E_jS1F_S1F_jjS1H_bEUljE0_EEES10_S11_S12_S19_S1D_S1F_T6_T7_T9_mT8_S1H_bDpT10_ENKUlT_T0_E_clISt17integral_constantIbLb0EES1U_IbLb1EEEEDaS1Q_S1R_EUlS1Q_E_NS1_11comp_targetILNS1_3genE5ELNS1_11target_archE942ELNS1_3gpuE9ELNS1_3repE0EEENS1_30default_config_static_selectorELNS0_4arch9wavefront6targetE0EEEvS13_.uses_flat_scratch, 0
	.set _ZN7rocprim17ROCPRIM_400000_NS6detail17trampoline_kernelINS0_13select_configILj256ELj13ELNS0_17block_load_methodE3ELS4_3ELS4_3ELNS0_20block_scan_algorithmE0ELj4294967295EEENS1_25partition_config_selectorILNS1_17partition_subalgoE4EjNS0_10empty_typeEbEEZZNS1_14partition_implILS8_4ELb0ES6_15HIP_vector_typeIjLj2EENS0_17counting_iteratorIjlEEPS9_SG_NS0_5tupleIJPjSI_NS0_16reverse_iteratorISI_EEEEENSH_IJSG_SG_SG_EEES9_SI_JZNS1_25segmented_radix_sort_implINS0_14default_configELb1EPK12hip_bfloat16PSP_PKlPlN2at6native12_GLOBAL__N_18offset_tEEE10hipError_tPvRmT1_PNSt15iterator_traitsIS13_E10value_typeET2_T3_PNS14_IS19_E10value_typeET4_jRbjT5_S1F_jjP12ihipStream_tbEUljE_ZNSN_ISO_Lb1ESR_SS_SU_SV_SZ_EES10_S11_S12_S13_S17_S18_S19_S1C_S1D_jS1E_jS1F_S1F_jjS1H_bEUljE0_EEES10_S11_S12_S19_S1D_S1F_T6_T7_T9_mT8_S1H_bDpT10_ENKUlT_T0_E_clISt17integral_constantIbLb0EES1U_IbLb1EEEEDaS1Q_S1R_EUlS1Q_E_NS1_11comp_targetILNS1_3genE5ELNS1_11target_archE942ELNS1_3gpuE9ELNS1_3repE0EEENS1_30default_config_static_selectorELNS0_4arch9wavefront6targetE0EEEvS13_.has_dyn_sized_stack, 0
	.set _ZN7rocprim17ROCPRIM_400000_NS6detail17trampoline_kernelINS0_13select_configILj256ELj13ELNS0_17block_load_methodE3ELS4_3ELS4_3ELNS0_20block_scan_algorithmE0ELj4294967295EEENS1_25partition_config_selectorILNS1_17partition_subalgoE4EjNS0_10empty_typeEbEEZZNS1_14partition_implILS8_4ELb0ES6_15HIP_vector_typeIjLj2EENS0_17counting_iteratorIjlEEPS9_SG_NS0_5tupleIJPjSI_NS0_16reverse_iteratorISI_EEEEENSH_IJSG_SG_SG_EEES9_SI_JZNS1_25segmented_radix_sort_implINS0_14default_configELb1EPK12hip_bfloat16PSP_PKlPlN2at6native12_GLOBAL__N_18offset_tEEE10hipError_tPvRmT1_PNSt15iterator_traitsIS13_E10value_typeET2_T3_PNS14_IS19_E10value_typeET4_jRbjT5_S1F_jjP12ihipStream_tbEUljE_ZNSN_ISO_Lb1ESR_SS_SU_SV_SZ_EES10_S11_S12_S13_S17_S18_S19_S1C_S1D_jS1E_jS1F_S1F_jjS1H_bEUljE0_EEES10_S11_S12_S19_S1D_S1F_T6_T7_T9_mT8_S1H_bDpT10_ENKUlT_T0_E_clISt17integral_constantIbLb0EES1U_IbLb1EEEEDaS1Q_S1R_EUlS1Q_E_NS1_11comp_targetILNS1_3genE5ELNS1_11target_archE942ELNS1_3gpuE9ELNS1_3repE0EEENS1_30default_config_static_selectorELNS0_4arch9wavefront6targetE0EEEvS13_.has_recursion, 0
	.set _ZN7rocprim17ROCPRIM_400000_NS6detail17trampoline_kernelINS0_13select_configILj256ELj13ELNS0_17block_load_methodE3ELS4_3ELS4_3ELNS0_20block_scan_algorithmE0ELj4294967295EEENS1_25partition_config_selectorILNS1_17partition_subalgoE4EjNS0_10empty_typeEbEEZZNS1_14partition_implILS8_4ELb0ES6_15HIP_vector_typeIjLj2EENS0_17counting_iteratorIjlEEPS9_SG_NS0_5tupleIJPjSI_NS0_16reverse_iteratorISI_EEEEENSH_IJSG_SG_SG_EEES9_SI_JZNS1_25segmented_radix_sort_implINS0_14default_configELb1EPK12hip_bfloat16PSP_PKlPlN2at6native12_GLOBAL__N_18offset_tEEE10hipError_tPvRmT1_PNSt15iterator_traitsIS13_E10value_typeET2_T3_PNS14_IS19_E10value_typeET4_jRbjT5_S1F_jjP12ihipStream_tbEUljE_ZNSN_ISO_Lb1ESR_SS_SU_SV_SZ_EES10_S11_S12_S13_S17_S18_S19_S1C_S1D_jS1E_jS1F_S1F_jjS1H_bEUljE0_EEES10_S11_S12_S19_S1D_S1F_T6_T7_T9_mT8_S1H_bDpT10_ENKUlT_T0_E_clISt17integral_constantIbLb0EES1U_IbLb1EEEEDaS1Q_S1R_EUlS1Q_E_NS1_11comp_targetILNS1_3genE5ELNS1_11target_archE942ELNS1_3gpuE9ELNS1_3repE0EEENS1_30default_config_static_selectorELNS0_4arch9wavefront6targetE0EEEvS13_.has_indirect_call, 0
	.section	.AMDGPU.csdata,"",@progbits
; Kernel info:
; codeLenInByte = 0
; TotalNumSgprs: 0
; NumVgprs: 0
; ScratchSize: 0
; MemoryBound: 0
; FloatMode: 240
; IeeeMode: 1
; LDSByteSize: 0 bytes/workgroup (compile time only)
; SGPRBlocks: 0
; VGPRBlocks: 0
; NumSGPRsForWavesPerEU: 1
; NumVGPRsForWavesPerEU: 1
; NamedBarCnt: 0
; Occupancy: 16
; WaveLimiterHint : 0
; COMPUTE_PGM_RSRC2:SCRATCH_EN: 0
; COMPUTE_PGM_RSRC2:USER_SGPR: 2
; COMPUTE_PGM_RSRC2:TRAP_HANDLER: 0
; COMPUTE_PGM_RSRC2:TGID_X_EN: 1
; COMPUTE_PGM_RSRC2:TGID_Y_EN: 0
; COMPUTE_PGM_RSRC2:TGID_Z_EN: 0
; COMPUTE_PGM_RSRC2:TIDIG_COMP_CNT: 0
	.section	.text._ZN7rocprim17ROCPRIM_400000_NS6detail17trampoline_kernelINS0_13select_configILj256ELj13ELNS0_17block_load_methodE3ELS4_3ELS4_3ELNS0_20block_scan_algorithmE0ELj4294967295EEENS1_25partition_config_selectorILNS1_17partition_subalgoE4EjNS0_10empty_typeEbEEZZNS1_14partition_implILS8_4ELb0ES6_15HIP_vector_typeIjLj2EENS0_17counting_iteratorIjlEEPS9_SG_NS0_5tupleIJPjSI_NS0_16reverse_iteratorISI_EEEEENSH_IJSG_SG_SG_EEES9_SI_JZNS1_25segmented_radix_sort_implINS0_14default_configELb1EPK12hip_bfloat16PSP_PKlPlN2at6native12_GLOBAL__N_18offset_tEEE10hipError_tPvRmT1_PNSt15iterator_traitsIS13_E10value_typeET2_T3_PNS14_IS19_E10value_typeET4_jRbjT5_S1F_jjP12ihipStream_tbEUljE_ZNSN_ISO_Lb1ESR_SS_SU_SV_SZ_EES10_S11_S12_S13_S17_S18_S19_S1C_S1D_jS1E_jS1F_S1F_jjS1H_bEUljE0_EEES10_S11_S12_S19_S1D_S1F_T6_T7_T9_mT8_S1H_bDpT10_ENKUlT_T0_E_clISt17integral_constantIbLb0EES1U_IbLb1EEEEDaS1Q_S1R_EUlS1Q_E_NS1_11comp_targetILNS1_3genE4ELNS1_11target_archE910ELNS1_3gpuE8ELNS1_3repE0EEENS1_30default_config_static_selectorELNS0_4arch9wavefront6targetE0EEEvS13_,"axG",@progbits,_ZN7rocprim17ROCPRIM_400000_NS6detail17trampoline_kernelINS0_13select_configILj256ELj13ELNS0_17block_load_methodE3ELS4_3ELS4_3ELNS0_20block_scan_algorithmE0ELj4294967295EEENS1_25partition_config_selectorILNS1_17partition_subalgoE4EjNS0_10empty_typeEbEEZZNS1_14partition_implILS8_4ELb0ES6_15HIP_vector_typeIjLj2EENS0_17counting_iteratorIjlEEPS9_SG_NS0_5tupleIJPjSI_NS0_16reverse_iteratorISI_EEEEENSH_IJSG_SG_SG_EEES9_SI_JZNS1_25segmented_radix_sort_implINS0_14default_configELb1EPK12hip_bfloat16PSP_PKlPlN2at6native12_GLOBAL__N_18offset_tEEE10hipError_tPvRmT1_PNSt15iterator_traitsIS13_E10value_typeET2_T3_PNS14_IS19_E10value_typeET4_jRbjT5_S1F_jjP12ihipStream_tbEUljE_ZNSN_ISO_Lb1ESR_SS_SU_SV_SZ_EES10_S11_S12_S13_S17_S18_S19_S1C_S1D_jS1E_jS1F_S1F_jjS1H_bEUljE0_EEES10_S11_S12_S19_S1D_S1F_T6_T7_T9_mT8_S1H_bDpT10_ENKUlT_T0_E_clISt17integral_constantIbLb0EES1U_IbLb1EEEEDaS1Q_S1R_EUlS1Q_E_NS1_11comp_targetILNS1_3genE4ELNS1_11target_archE910ELNS1_3gpuE8ELNS1_3repE0EEENS1_30default_config_static_selectorELNS0_4arch9wavefront6targetE0EEEvS13_,comdat
	.globl	_ZN7rocprim17ROCPRIM_400000_NS6detail17trampoline_kernelINS0_13select_configILj256ELj13ELNS0_17block_load_methodE3ELS4_3ELS4_3ELNS0_20block_scan_algorithmE0ELj4294967295EEENS1_25partition_config_selectorILNS1_17partition_subalgoE4EjNS0_10empty_typeEbEEZZNS1_14partition_implILS8_4ELb0ES6_15HIP_vector_typeIjLj2EENS0_17counting_iteratorIjlEEPS9_SG_NS0_5tupleIJPjSI_NS0_16reverse_iteratorISI_EEEEENSH_IJSG_SG_SG_EEES9_SI_JZNS1_25segmented_radix_sort_implINS0_14default_configELb1EPK12hip_bfloat16PSP_PKlPlN2at6native12_GLOBAL__N_18offset_tEEE10hipError_tPvRmT1_PNSt15iterator_traitsIS13_E10value_typeET2_T3_PNS14_IS19_E10value_typeET4_jRbjT5_S1F_jjP12ihipStream_tbEUljE_ZNSN_ISO_Lb1ESR_SS_SU_SV_SZ_EES10_S11_S12_S13_S17_S18_S19_S1C_S1D_jS1E_jS1F_S1F_jjS1H_bEUljE0_EEES10_S11_S12_S19_S1D_S1F_T6_T7_T9_mT8_S1H_bDpT10_ENKUlT_T0_E_clISt17integral_constantIbLb0EES1U_IbLb1EEEEDaS1Q_S1R_EUlS1Q_E_NS1_11comp_targetILNS1_3genE4ELNS1_11target_archE910ELNS1_3gpuE8ELNS1_3repE0EEENS1_30default_config_static_selectorELNS0_4arch9wavefront6targetE0EEEvS13_ ; -- Begin function _ZN7rocprim17ROCPRIM_400000_NS6detail17trampoline_kernelINS0_13select_configILj256ELj13ELNS0_17block_load_methodE3ELS4_3ELS4_3ELNS0_20block_scan_algorithmE0ELj4294967295EEENS1_25partition_config_selectorILNS1_17partition_subalgoE4EjNS0_10empty_typeEbEEZZNS1_14partition_implILS8_4ELb0ES6_15HIP_vector_typeIjLj2EENS0_17counting_iteratorIjlEEPS9_SG_NS0_5tupleIJPjSI_NS0_16reverse_iteratorISI_EEEEENSH_IJSG_SG_SG_EEES9_SI_JZNS1_25segmented_radix_sort_implINS0_14default_configELb1EPK12hip_bfloat16PSP_PKlPlN2at6native12_GLOBAL__N_18offset_tEEE10hipError_tPvRmT1_PNSt15iterator_traitsIS13_E10value_typeET2_T3_PNS14_IS19_E10value_typeET4_jRbjT5_S1F_jjP12ihipStream_tbEUljE_ZNSN_ISO_Lb1ESR_SS_SU_SV_SZ_EES10_S11_S12_S13_S17_S18_S19_S1C_S1D_jS1E_jS1F_S1F_jjS1H_bEUljE0_EEES10_S11_S12_S19_S1D_S1F_T6_T7_T9_mT8_S1H_bDpT10_ENKUlT_T0_E_clISt17integral_constantIbLb0EES1U_IbLb1EEEEDaS1Q_S1R_EUlS1Q_E_NS1_11comp_targetILNS1_3genE4ELNS1_11target_archE910ELNS1_3gpuE8ELNS1_3repE0EEENS1_30default_config_static_selectorELNS0_4arch9wavefront6targetE0EEEvS13_
	.p2align	8
	.type	_ZN7rocprim17ROCPRIM_400000_NS6detail17trampoline_kernelINS0_13select_configILj256ELj13ELNS0_17block_load_methodE3ELS4_3ELS4_3ELNS0_20block_scan_algorithmE0ELj4294967295EEENS1_25partition_config_selectorILNS1_17partition_subalgoE4EjNS0_10empty_typeEbEEZZNS1_14partition_implILS8_4ELb0ES6_15HIP_vector_typeIjLj2EENS0_17counting_iteratorIjlEEPS9_SG_NS0_5tupleIJPjSI_NS0_16reverse_iteratorISI_EEEEENSH_IJSG_SG_SG_EEES9_SI_JZNS1_25segmented_radix_sort_implINS0_14default_configELb1EPK12hip_bfloat16PSP_PKlPlN2at6native12_GLOBAL__N_18offset_tEEE10hipError_tPvRmT1_PNSt15iterator_traitsIS13_E10value_typeET2_T3_PNS14_IS19_E10value_typeET4_jRbjT5_S1F_jjP12ihipStream_tbEUljE_ZNSN_ISO_Lb1ESR_SS_SU_SV_SZ_EES10_S11_S12_S13_S17_S18_S19_S1C_S1D_jS1E_jS1F_S1F_jjS1H_bEUljE0_EEES10_S11_S12_S19_S1D_S1F_T6_T7_T9_mT8_S1H_bDpT10_ENKUlT_T0_E_clISt17integral_constantIbLb0EES1U_IbLb1EEEEDaS1Q_S1R_EUlS1Q_E_NS1_11comp_targetILNS1_3genE4ELNS1_11target_archE910ELNS1_3gpuE8ELNS1_3repE0EEENS1_30default_config_static_selectorELNS0_4arch9wavefront6targetE0EEEvS13_,@function
_ZN7rocprim17ROCPRIM_400000_NS6detail17trampoline_kernelINS0_13select_configILj256ELj13ELNS0_17block_load_methodE3ELS4_3ELS4_3ELNS0_20block_scan_algorithmE0ELj4294967295EEENS1_25partition_config_selectorILNS1_17partition_subalgoE4EjNS0_10empty_typeEbEEZZNS1_14partition_implILS8_4ELb0ES6_15HIP_vector_typeIjLj2EENS0_17counting_iteratorIjlEEPS9_SG_NS0_5tupleIJPjSI_NS0_16reverse_iteratorISI_EEEEENSH_IJSG_SG_SG_EEES9_SI_JZNS1_25segmented_radix_sort_implINS0_14default_configELb1EPK12hip_bfloat16PSP_PKlPlN2at6native12_GLOBAL__N_18offset_tEEE10hipError_tPvRmT1_PNSt15iterator_traitsIS13_E10value_typeET2_T3_PNS14_IS19_E10value_typeET4_jRbjT5_S1F_jjP12ihipStream_tbEUljE_ZNSN_ISO_Lb1ESR_SS_SU_SV_SZ_EES10_S11_S12_S13_S17_S18_S19_S1C_S1D_jS1E_jS1F_S1F_jjS1H_bEUljE0_EEES10_S11_S12_S19_S1D_S1F_T6_T7_T9_mT8_S1H_bDpT10_ENKUlT_T0_E_clISt17integral_constantIbLb0EES1U_IbLb1EEEEDaS1Q_S1R_EUlS1Q_E_NS1_11comp_targetILNS1_3genE4ELNS1_11target_archE910ELNS1_3gpuE8ELNS1_3repE0EEENS1_30default_config_static_selectorELNS0_4arch9wavefront6targetE0EEEvS13_: ; @_ZN7rocprim17ROCPRIM_400000_NS6detail17trampoline_kernelINS0_13select_configILj256ELj13ELNS0_17block_load_methodE3ELS4_3ELS4_3ELNS0_20block_scan_algorithmE0ELj4294967295EEENS1_25partition_config_selectorILNS1_17partition_subalgoE4EjNS0_10empty_typeEbEEZZNS1_14partition_implILS8_4ELb0ES6_15HIP_vector_typeIjLj2EENS0_17counting_iteratorIjlEEPS9_SG_NS0_5tupleIJPjSI_NS0_16reverse_iteratorISI_EEEEENSH_IJSG_SG_SG_EEES9_SI_JZNS1_25segmented_radix_sort_implINS0_14default_configELb1EPK12hip_bfloat16PSP_PKlPlN2at6native12_GLOBAL__N_18offset_tEEE10hipError_tPvRmT1_PNSt15iterator_traitsIS13_E10value_typeET2_T3_PNS14_IS19_E10value_typeET4_jRbjT5_S1F_jjP12ihipStream_tbEUljE_ZNSN_ISO_Lb1ESR_SS_SU_SV_SZ_EES10_S11_S12_S13_S17_S18_S19_S1C_S1D_jS1E_jS1F_S1F_jjS1H_bEUljE0_EEES10_S11_S12_S19_S1D_S1F_T6_T7_T9_mT8_S1H_bDpT10_ENKUlT_T0_E_clISt17integral_constantIbLb0EES1U_IbLb1EEEEDaS1Q_S1R_EUlS1Q_E_NS1_11comp_targetILNS1_3genE4ELNS1_11target_archE910ELNS1_3gpuE8ELNS1_3repE0EEENS1_30default_config_static_selectorELNS0_4arch9wavefront6targetE0EEEvS13_
; %bb.0:
	.section	.rodata,"a",@progbits
	.p2align	6, 0x0
	.amdhsa_kernel _ZN7rocprim17ROCPRIM_400000_NS6detail17trampoline_kernelINS0_13select_configILj256ELj13ELNS0_17block_load_methodE3ELS4_3ELS4_3ELNS0_20block_scan_algorithmE0ELj4294967295EEENS1_25partition_config_selectorILNS1_17partition_subalgoE4EjNS0_10empty_typeEbEEZZNS1_14partition_implILS8_4ELb0ES6_15HIP_vector_typeIjLj2EENS0_17counting_iteratorIjlEEPS9_SG_NS0_5tupleIJPjSI_NS0_16reverse_iteratorISI_EEEEENSH_IJSG_SG_SG_EEES9_SI_JZNS1_25segmented_radix_sort_implINS0_14default_configELb1EPK12hip_bfloat16PSP_PKlPlN2at6native12_GLOBAL__N_18offset_tEEE10hipError_tPvRmT1_PNSt15iterator_traitsIS13_E10value_typeET2_T3_PNS14_IS19_E10value_typeET4_jRbjT5_S1F_jjP12ihipStream_tbEUljE_ZNSN_ISO_Lb1ESR_SS_SU_SV_SZ_EES10_S11_S12_S13_S17_S18_S19_S1C_S1D_jS1E_jS1F_S1F_jjS1H_bEUljE0_EEES10_S11_S12_S19_S1D_S1F_T6_T7_T9_mT8_S1H_bDpT10_ENKUlT_T0_E_clISt17integral_constantIbLb0EES1U_IbLb1EEEEDaS1Q_S1R_EUlS1Q_E_NS1_11comp_targetILNS1_3genE4ELNS1_11target_archE910ELNS1_3gpuE8ELNS1_3repE0EEENS1_30default_config_static_selectorELNS0_4arch9wavefront6targetE0EEEvS13_
		.amdhsa_group_segment_fixed_size 0
		.amdhsa_private_segment_fixed_size 0
		.amdhsa_kernarg_size 184
		.amdhsa_user_sgpr_count 2
		.amdhsa_user_sgpr_dispatch_ptr 0
		.amdhsa_user_sgpr_queue_ptr 0
		.amdhsa_user_sgpr_kernarg_segment_ptr 1
		.amdhsa_user_sgpr_dispatch_id 0
		.amdhsa_user_sgpr_kernarg_preload_length 0
		.amdhsa_user_sgpr_kernarg_preload_offset 0
		.amdhsa_user_sgpr_private_segment_size 0
		.amdhsa_wavefront_size32 1
		.amdhsa_uses_dynamic_stack 0
		.amdhsa_enable_private_segment 0
		.amdhsa_system_sgpr_workgroup_id_x 1
		.amdhsa_system_sgpr_workgroup_id_y 0
		.amdhsa_system_sgpr_workgroup_id_z 0
		.amdhsa_system_sgpr_workgroup_info 0
		.amdhsa_system_vgpr_workitem_id 0
		.amdhsa_next_free_vgpr 1
		.amdhsa_next_free_sgpr 1
		.amdhsa_named_barrier_count 0
		.amdhsa_reserve_vcc 0
		.amdhsa_float_round_mode_32 0
		.amdhsa_float_round_mode_16_64 0
		.amdhsa_float_denorm_mode_32 3
		.amdhsa_float_denorm_mode_16_64 3
		.amdhsa_fp16_overflow 0
		.amdhsa_memory_ordered 1
		.amdhsa_forward_progress 1
		.amdhsa_inst_pref_size 0
		.amdhsa_round_robin_scheduling 0
		.amdhsa_exception_fp_ieee_invalid_op 0
		.amdhsa_exception_fp_denorm_src 0
		.amdhsa_exception_fp_ieee_div_zero 0
		.amdhsa_exception_fp_ieee_overflow 0
		.amdhsa_exception_fp_ieee_underflow 0
		.amdhsa_exception_fp_ieee_inexact 0
		.amdhsa_exception_int_div_zero 0
	.end_amdhsa_kernel
	.section	.text._ZN7rocprim17ROCPRIM_400000_NS6detail17trampoline_kernelINS0_13select_configILj256ELj13ELNS0_17block_load_methodE3ELS4_3ELS4_3ELNS0_20block_scan_algorithmE0ELj4294967295EEENS1_25partition_config_selectorILNS1_17partition_subalgoE4EjNS0_10empty_typeEbEEZZNS1_14partition_implILS8_4ELb0ES6_15HIP_vector_typeIjLj2EENS0_17counting_iteratorIjlEEPS9_SG_NS0_5tupleIJPjSI_NS0_16reverse_iteratorISI_EEEEENSH_IJSG_SG_SG_EEES9_SI_JZNS1_25segmented_radix_sort_implINS0_14default_configELb1EPK12hip_bfloat16PSP_PKlPlN2at6native12_GLOBAL__N_18offset_tEEE10hipError_tPvRmT1_PNSt15iterator_traitsIS13_E10value_typeET2_T3_PNS14_IS19_E10value_typeET4_jRbjT5_S1F_jjP12ihipStream_tbEUljE_ZNSN_ISO_Lb1ESR_SS_SU_SV_SZ_EES10_S11_S12_S13_S17_S18_S19_S1C_S1D_jS1E_jS1F_S1F_jjS1H_bEUljE0_EEES10_S11_S12_S19_S1D_S1F_T6_T7_T9_mT8_S1H_bDpT10_ENKUlT_T0_E_clISt17integral_constantIbLb0EES1U_IbLb1EEEEDaS1Q_S1R_EUlS1Q_E_NS1_11comp_targetILNS1_3genE4ELNS1_11target_archE910ELNS1_3gpuE8ELNS1_3repE0EEENS1_30default_config_static_selectorELNS0_4arch9wavefront6targetE0EEEvS13_,"axG",@progbits,_ZN7rocprim17ROCPRIM_400000_NS6detail17trampoline_kernelINS0_13select_configILj256ELj13ELNS0_17block_load_methodE3ELS4_3ELS4_3ELNS0_20block_scan_algorithmE0ELj4294967295EEENS1_25partition_config_selectorILNS1_17partition_subalgoE4EjNS0_10empty_typeEbEEZZNS1_14partition_implILS8_4ELb0ES6_15HIP_vector_typeIjLj2EENS0_17counting_iteratorIjlEEPS9_SG_NS0_5tupleIJPjSI_NS0_16reverse_iteratorISI_EEEEENSH_IJSG_SG_SG_EEES9_SI_JZNS1_25segmented_radix_sort_implINS0_14default_configELb1EPK12hip_bfloat16PSP_PKlPlN2at6native12_GLOBAL__N_18offset_tEEE10hipError_tPvRmT1_PNSt15iterator_traitsIS13_E10value_typeET2_T3_PNS14_IS19_E10value_typeET4_jRbjT5_S1F_jjP12ihipStream_tbEUljE_ZNSN_ISO_Lb1ESR_SS_SU_SV_SZ_EES10_S11_S12_S13_S17_S18_S19_S1C_S1D_jS1E_jS1F_S1F_jjS1H_bEUljE0_EEES10_S11_S12_S19_S1D_S1F_T6_T7_T9_mT8_S1H_bDpT10_ENKUlT_T0_E_clISt17integral_constantIbLb0EES1U_IbLb1EEEEDaS1Q_S1R_EUlS1Q_E_NS1_11comp_targetILNS1_3genE4ELNS1_11target_archE910ELNS1_3gpuE8ELNS1_3repE0EEENS1_30default_config_static_selectorELNS0_4arch9wavefront6targetE0EEEvS13_,comdat
.Lfunc_end1898:
	.size	_ZN7rocprim17ROCPRIM_400000_NS6detail17trampoline_kernelINS0_13select_configILj256ELj13ELNS0_17block_load_methodE3ELS4_3ELS4_3ELNS0_20block_scan_algorithmE0ELj4294967295EEENS1_25partition_config_selectorILNS1_17partition_subalgoE4EjNS0_10empty_typeEbEEZZNS1_14partition_implILS8_4ELb0ES6_15HIP_vector_typeIjLj2EENS0_17counting_iteratorIjlEEPS9_SG_NS0_5tupleIJPjSI_NS0_16reverse_iteratorISI_EEEEENSH_IJSG_SG_SG_EEES9_SI_JZNS1_25segmented_radix_sort_implINS0_14default_configELb1EPK12hip_bfloat16PSP_PKlPlN2at6native12_GLOBAL__N_18offset_tEEE10hipError_tPvRmT1_PNSt15iterator_traitsIS13_E10value_typeET2_T3_PNS14_IS19_E10value_typeET4_jRbjT5_S1F_jjP12ihipStream_tbEUljE_ZNSN_ISO_Lb1ESR_SS_SU_SV_SZ_EES10_S11_S12_S13_S17_S18_S19_S1C_S1D_jS1E_jS1F_S1F_jjS1H_bEUljE0_EEES10_S11_S12_S19_S1D_S1F_T6_T7_T9_mT8_S1H_bDpT10_ENKUlT_T0_E_clISt17integral_constantIbLb0EES1U_IbLb1EEEEDaS1Q_S1R_EUlS1Q_E_NS1_11comp_targetILNS1_3genE4ELNS1_11target_archE910ELNS1_3gpuE8ELNS1_3repE0EEENS1_30default_config_static_selectorELNS0_4arch9wavefront6targetE0EEEvS13_, .Lfunc_end1898-_ZN7rocprim17ROCPRIM_400000_NS6detail17trampoline_kernelINS0_13select_configILj256ELj13ELNS0_17block_load_methodE3ELS4_3ELS4_3ELNS0_20block_scan_algorithmE0ELj4294967295EEENS1_25partition_config_selectorILNS1_17partition_subalgoE4EjNS0_10empty_typeEbEEZZNS1_14partition_implILS8_4ELb0ES6_15HIP_vector_typeIjLj2EENS0_17counting_iteratorIjlEEPS9_SG_NS0_5tupleIJPjSI_NS0_16reverse_iteratorISI_EEEEENSH_IJSG_SG_SG_EEES9_SI_JZNS1_25segmented_radix_sort_implINS0_14default_configELb1EPK12hip_bfloat16PSP_PKlPlN2at6native12_GLOBAL__N_18offset_tEEE10hipError_tPvRmT1_PNSt15iterator_traitsIS13_E10value_typeET2_T3_PNS14_IS19_E10value_typeET4_jRbjT5_S1F_jjP12ihipStream_tbEUljE_ZNSN_ISO_Lb1ESR_SS_SU_SV_SZ_EES10_S11_S12_S13_S17_S18_S19_S1C_S1D_jS1E_jS1F_S1F_jjS1H_bEUljE0_EEES10_S11_S12_S19_S1D_S1F_T6_T7_T9_mT8_S1H_bDpT10_ENKUlT_T0_E_clISt17integral_constantIbLb0EES1U_IbLb1EEEEDaS1Q_S1R_EUlS1Q_E_NS1_11comp_targetILNS1_3genE4ELNS1_11target_archE910ELNS1_3gpuE8ELNS1_3repE0EEENS1_30default_config_static_selectorELNS0_4arch9wavefront6targetE0EEEvS13_
                                        ; -- End function
	.set _ZN7rocprim17ROCPRIM_400000_NS6detail17trampoline_kernelINS0_13select_configILj256ELj13ELNS0_17block_load_methodE3ELS4_3ELS4_3ELNS0_20block_scan_algorithmE0ELj4294967295EEENS1_25partition_config_selectorILNS1_17partition_subalgoE4EjNS0_10empty_typeEbEEZZNS1_14partition_implILS8_4ELb0ES6_15HIP_vector_typeIjLj2EENS0_17counting_iteratorIjlEEPS9_SG_NS0_5tupleIJPjSI_NS0_16reverse_iteratorISI_EEEEENSH_IJSG_SG_SG_EEES9_SI_JZNS1_25segmented_radix_sort_implINS0_14default_configELb1EPK12hip_bfloat16PSP_PKlPlN2at6native12_GLOBAL__N_18offset_tEEE10hipError_tPvRmT1_PNSt15iterator_traitsIS13_E10value_typeET2_T3_PNS14_IS19_E10value_typeET4_jRbjT5_S1F_jjP12ihipStream_tbEUljE_ZNSN_ISO_Lb1ESR_SS_SU_SV_SZ_EES10_S11_S12_S13_S17_S18_S19_S1C_S1D_jS1E_jS1F_S1F_jjS1H_bEUljE0_EEES10_S11_S12_S19_S1D_S1F_T6_T7_T9_mT8_S1H_bDpT10_ENKUlT_T0_E_clISt17integral_constantIbLb0EES1U_IbLb1EEEEDaS1Q_S1R_EUlS1Q_E_NS1_11comp_targetILNS1_3genE4ELNS1_11target_archE910ELNS1_3gpuE8ELNS1_3repE0EEENS1_30default_config_static_selectorELNS0_4arch9wavefront6targetE0EEEvS13_.num_vgpr, 0
	.set _ZN7rocprim17ROCPRIM_400000_NS6detail17trampoline_kernelINS0_13select_configILj256ELj13ELNS0_17block_load_methodE3ELS4_3ELS4_3ELNS0_20block_scan_algorithmE0ELj4294967295EEENS1_25partition_config_selectorILNS1_17partition_subalgoE4EjNS0_10empty_typeEbEEZZNS1_14partition_implILS8_4ELb0ES6_15HIP_vector_typeIjLj2EENS0_17counting_iteratorIjlEEPS9_SG_NS0_5tupleIJPjSI_NS0_16reverse_iteratorISI_EEEEENSH_IJSG_SG_SG_EEES9_SI_JZNS1_25segmented_radix_sort_implINS0_14default_configELb1EPK12hip_bfloat16PSP_PKlPlN2at6native12_GLOBAL__N_18offset_tEEE10hipError_tPvRmT1_PNSt15iterator_traitsIS13_E10value_typeET2_T3_PNS14_IS19_E10value_typeET4_jRbjT5_S1F_jjP12ihipStream_tbEUljE_ZNSN_ISO_Lb1ESR_SS_SU_SV_SZ_EES10_S11_S12_S13_S17_S18_S19_S1C_S1D_jS1E_jS1F_S1F_jjS1H_bEUljE0_EEES10_S11_S12_S19_S1D_S1F_T6_T7_T9_mT8_S1H_bDpT10_ENKUlT_T0_E_clISt17integral_constantIbLb0EES1U_IbLb1EEEEDaS1Q_S1R_EUlS1Q_E_NS1_11comp_targetILNS1_3genE4ELNS1_11target_archE910ELNS1_3gpuE8ELNS1_3repE0EEENS1_30default_config_static_selectorELNS0_4arch9wavefront6targetE0EEEvS13_.num_agpr, 0
	.set _ZN7rocprim17ROCPRIM_400000_NS6detail17trampoline_kernelINS0_13select_configILj256ELj13ELNS0_17block_load_methodE3ELS4_3ELS4_3ELNS0_20block_scan_algorithmE0ELj4294967295EEENS1_25partition_config_selectorILNS1_17partition_subalgoE4EjNS0_10empty_typeEbEEZZNS1_14partition_implILS8_4ELb0ES6_15HIP_vector_typeIjLj2EENS0_17counting_iteratorIjlEEPS9_SG_NS0_5tupleIJPjSI_NS0_16reverse_iteratorISI_EEEEENSH_IJSG_SG_SG_EEES9_SI_JZNS1_25segmented_radix_sort_implINS0_14default_configELb1EPK12hip_bfloat16PSP_PKlPlN2at6native12_GLOBAL__N_18offset_tEEE10hipError_tPvRmT1_PNSt15iterator_traitsIS13_E10value_typeET2_T3_PNS14_IS19_E10value_typeET4_jRbjT5_S1F_jjP12ihipStream_tbEUljE_ZNSN_ISO_Lb1ESR_SS_SU_SV_SZ_EES10_S11_S12_S13_S17_S18_S19_S1C_S1D_jS1E_jS1F_S1F_jjS1H_bEUljE0_EEES10_S11_S12_S19_S1D_S1F_T6_T7_T9_mT8_S1H_bDpT10_ENKUlT_T0_E_clISt17integral_constantIbLb0EES1U_IbLb1EEEEDaS1Q_S1R_EUlS1Q_E_NS1_11comp_targetILNS1_3genE4ELNS1_11target_archE910ELNS1_3gpuE8ELNS1_3repE0EEENS1_30default_config_static_selectorELNS0_4arch9wavefront6targetE0EEEvS13_.numbered_sgpr, 0
	.set _ZN7rocprim17ROCPRIM_400000_NS6detail17trampoline_kernelINS0_13select_configILj256ELj13ELNS0_17block_load_methodE3ELS4_3ELS4_3ELNS0_20block_scan_algorithmE0ELj4294967295EEENS1_25partition_config_selectorILNS1_17partition_subalgoE4EjNS0_10empty_typeEbEEZZNS1_14partition_implILS8_4ELb0ES6_15HIP_vector_typeIjLj2EENS0_17counting_iteratorIjlEEPS9_SG_NS0_5tupleIJPjSI_NS0_16reverse_iteratorISI_EEEEENSH_IJSG_SG_SG_EEES9_SI_JZNS1_25segmented_radix_sort_implINS0_14default_configELb1EPK12hip_bfloat16PSP_PKlPlN2at6native12_GLOBAL__N_18offset_tEEE10hipError_tPvRmT1_PNSt15iterator_traitsIS13_E10value_typeET2_T3_PNS14_IS19_E10value_typeET4_jRbjT5_S1F_jjP12ihipStream_tbEUljE_ZNSN_ISO_Lb1ESR_SS_SU_SV_SZ_EES10_S11_S12_S13_S17_S18_S19_S1C_S1D_jS1E_jS1F_S1F_jjS1H_bEUljE0_EEES10_S11_S12_S19_S1D_S1F_T6_T7_T9_mT8_S1H_bDpT10_ENKUlT_T0_E_clISt17integral_constantIbLb0EES1U_IbLb1EEEEDaS1Q_S1R_EUlS1Q_E_NS1_11comp_targetILNS1_3genE4ELNS1_11target_archE910ELNS1_3gpuE8ELNS1_3repE0EEENS1_30default_config_static_selectorELNS0_4arch9wavefront6targetE0EEEvS13_.num_named_barrier, 0
	.set _ZN7rocprim17ROCPRIM_400000_NS6detail17trampoline_kernelINS0_13select_configILj256ELj13ELNS0_17block_load_methodE3ELS4_3ELS4_3ELNS0_20block_scan_algorithmE0ELj4294967295EEENS1_25partition_config_selectorILNS1_17partition_subalgoE4EjNS0_10empty_typeEbEEZZNS1_14partition_implILS8_4ELb0ES6_15HIP_vector_typeIjLj2EENS0_17counting_iteratorIjlEEPS9_SG_NS0_5tupleIJPjSI_NS0_16reverse_iteratorISI_EEEEENSH_IJSG_SG_SG_EEES9_SI_JZNS1_25segmented_radix_sort_implINS0_14default_configELb1EPK12hip_bfloat16PSP_PKlPlN2at6native12_GLOBAL__N_18offset_tEEE10hipError_tPvRmT1_PNSt15iterator_traitsIS13_E10value_typeET2_T3_PNS14_IS19_E10value_typeET4_jRbjT5_S1F_jjP12ihipStream_tbEUljE_ZNSN_ISO_Lb1ESR_SS_SU_SV_SZ_EES10_S11_S12_S13_S17_S18_S19_S1C_S1D_jS1E_jS1F_S1F_jjS1H_bEUljE0_EEES10_S11_S12_S19_S1D_S1F_T6_T7_T9_mT8_S1H_bDpT10_ENKUlT_T0_E_clISt17integral_constantIbLb0EES1U_IbLb1EEEEDaS1Q_S1R_EUlS1Q_E_NS1_11comp_targetILNS1_3genE4ELNS1_11target_archE910ELNS1_3gpuE8ELNS1_3repE0EEENS1_30default_config_static_selectorELNS0_4arch9wavefront6targetE0EEEvS13_.private_seg_size, 0
	.set _ZN7rocprim17ROCPRIM_400000_NS6detail17trampoline_kernelINS0_13select_configILj256ELj13ELNS0_17block_load_methodE3ELS4_3ELS4_3ELNS0_20block_scan_algorithmE0ELj4294967295EEENS1_25partition_config_selectorILNS1_17partition_subalgoE4EjNS0_10empty_typeEbEEZZNS1_14partition_implILS8_4ELb0ES6_15HIP_vector_typeIjLj2EENS0_17counting_iteratorIjlEEPS9_SG_NS0_5tupleIJPjSI_NS0_16reverse_iteratorISI_EEEEENSH_IJSG_SG_SG_EEES9_SI_JZNS1_25segmented_radix_sort_implINS0_14default_configELb1EPK12hip_bfloat16PSP_PKlPlN2at6native12_GLOBAL__N_18offset_tEEE10hipError_tPvRmT1_PNSt15iterator_traitsIS13_E10value_typeET2_T3_PNS14_IS19_E10value_typeET4_jRbjT5_S1F_jjP12ihipStream_tbEUljE_ZNSN_ISO_Lb1ESR_SS_SU_SV_SZ_EES10_S11_S12_S13_S17_S18_S19_S1C_S1D_jS1E_jS1F_S1F_jjS1H_bEUljE0_EEES10_S11_S12_S19_S1D_S1F_T6_T7_T9_mT8_S1H_bDpT10_ENKUlT_T0_E_clISt17integral_constantIbLb0EES1U_IbLb1EEEEDaS1Q_S1R_EUlS1Q_E_NS1_11comp_targetILNS1_3genE4ELNS1_11target_archE910ELNS1_3gpuE8ELNS1_3repE0EEENS1_30default_config_static_selectorELNS0_4arch9wavefront6targetE0EEEvS13_.uses_vcc, 0
	.set _ZN7rocprim17ROCPRIM_400000_NS6detail17trampoline_kernelINS0_13select_configILj256ELj13ELNS0_17block_load_methodE3ELS4_3ELS4_3ELNS0_20block_scan_algorithmE0ELj4294967295EEENS1_25partition_config_selectorILNS1_17partition_subalgoE4EjNS0_10empty_typeEbEEZZNS1_14partition_implILS8_4ELb0ES6_15HIP_vector_typeIjLj2EENS0_17counting_iteratorIjlEEPS9_SG_NS0_5tupleIJPjSI_NS0_16reverse_iteratorISI_EEEEENSH_IJSG_SG_SG_EEES9_SI_JZNS1_25segmented_radix_sort_implINS0_14default_configELb1EPK12hip_bfloat16PSP_PKlPlN2at6native12_GLOBAL__N_18offset_tEEE10hipError_tPvRmT1_PNSt15iterator_traitsIS13_E10value_typeET2_T3_PNS14_IS19_E10value_typeET4_jRbjT5_S1F_jjP12ihipStream_tbEUljE_ZNSN_ISO_Lb1ESR_SS_SU_SV_SZ_EES10_S11_S12_S13_S17_S18_S19_S1C_S1D_jS1E_jS1F_S1F_jjS1H_bEUljE0_EEES10_S11_S12_S19_S1D_S1F_T6_T7_T9_mT8_S1H_bDpT10_ENKUlT_T0_E_clISt17integral_constantIbLb0EES1U_IbLb1EEEEDaS1Q_S1R_EUlS1Q_E_NS1_11comp_targetILNS1_3genE4ELNS1_11target_archE910ELNS1_3gpuE8ELNS1_3repE0EEENS1_30default_config_static_selectorELNS0_4arch9wavefront6targetE0EEEvS13_.uses_flat_scratch, 0
	.set _ZN7rocprim17ROCPRIM_400000_NS6detail17trampoline_kernelINS0_13select_configILj256ELj13ELNS0_17block_load_methodE3ELS4_3ELS4_3ELNS0_20block_scan_algorithmE0ELj4294967295EEENS1_25partition_config_selectorILNS1_17partition_subalgoE4EjNS0_10empty_typeEbEEZZNS1_14partition_implILS8_4ELb0ES6_15HIP_vector_typeIjLj2EENS0_17counting_iteratorIjlEEPS9_SG_NS0_5tupleIJPjSI_NS0_16reverse_iteratorISI_EEEEENSH_IJSG_SG_SG_EEES9_SI_JZNS1_25segmented_radix_sort_implINS0_14default_configELb1EPK12hip_bfloat16PSP_PKlPlN2at6native12_GLOBAL__N_18offset_tEEE10hipError_tPvRmT1_PNSt15iterator_traitsIS13_E10value_typeET2_T3_PNS14_IS19_E10value_typeET4_jRbjT5_S1F_jjP12ihipStream_tbEUljE_ZNSN_ISO_Lb1ESR_SS_SU_SV_SZ_EES10_S11_S12_S13_S17_S18_S19_S1C_S1D_jS1E_jS1F_S1F_jjS1H_bEUljE0_EEES10_S11_S12_S19_S1D_S1F_T6_T7_T9_mT8_S1H_bDpT10_ENKUlT_T0_E_clISt17integral_constantIbLb0EES1U_IbLb1EEEEDaS1Q_S1R_EUlS1Q_E_NS1_11comp_targetILNS1_3genE4ELNS1_11target_archE910ELNS1_3gpuE8ELNS1_3repE0EEENS1_30default_config_static_selectorELNS0_4arch9wavefront6targetE0EEEvS13_.has_dyn_sized_stack, 0
	.set _ZN7rocprim17ROCPRIM_400000_NS6detail17trampoline_kernelINS0_13select_configILj256ELj13ELNS0_17block_load_methodE3ELS4_3ELS4_3ELNS0_20block_scan_algorithmE0ELj4294967295EEENS1_25partition_config_selectorILNS1_17partition_subalgoE4EjNS0_10empty_typeEbEEZZNS1_14partition_implILS8_4ELb0ES6_15HIP_vector_typeIjLj2EENS0_17counting_iteratorIjlEEPS9_SG_NS0_5tupleIJPjSI_NS0_16reverse_iteratorISI_EEEEENSH_IJSG_SG_SG_EEES9_SI_JZNS1_25segmented_radix_sort_implINS0_14default_configELb1EPK12hip_bfloat16PSP_PKlPlN2at6native12_GLOBAL__N_18offset_tEEE10hipError_tPvRmT1_PNSt15iterator_traitsIS13_E10value_typeET2_T3_PNS14_IS19_E10value_typeET4_jRbjT5_S1F_jjP12ihipStream_tbEUljE_ZNSN_ISO_Lb1ESR_SS_SU_SV_SZ_EES10_S11_S12_S13_S17_S18_S19_S1C_S1D_jS1E_jS1F_S1F_jjS1H_bEUljE0_EEES10_S11_S12_S19_S1D_S1F_T6_T7_T9_mT8_S1H_bDpT10_ENKUlT_T0_E_clISt17integral_constantIbLb0EES1U_IbLb1EEEEDaS1Q_S1R_EUlS1Q_E_NS1_11comp_targetILNS1_3genE4ELNS1_11target_archE910ELNS1_3gpuE8ELNS1_3repE0EEENS1_30default_config_static_selectorELNS0_4arch9wavefront6targetE0EEEvS13_.has_recursion, 0
	.set _ZN7rocprim17ROCPRIM_400000_NS6detail17trampoline_kernelINS0_13select_configILj256ELj13ELNS0_17block_load_methodE3ELS4_3ELS4_3ELNS0_20block_scan_algorithmE0ELj4294967295EEENS1_25partition_config_selectorILNS1_17partition_subalgoE4EjNS0_10empty_typeEbEEZZNS1_14partition_implILS8_4ELb0ES6_15HIP_vector_typeIjLj2EENS0_17counting_iteratorIjlEEPS9_SG_NS0_5tupleIJPjSI_NS0_16reverse_iteratorISI_EEEEENSH_IJSG_SG_SG_EEES9_SI_JZNS1_25segmented_radix_sort_implINS0_14default_configELb1EPK12hip_bfloat16PSP_PKlPlN2at6native12_GLOBAL__N_18offset_tEEE10hipError_tPvRmT1_PNSt15iterator_traitsIS13_E10value_typeET2_T3_PNS14_IS19_E10value_typeET4_jRbjT5_S1F_jjP12ihipStream_tbEUljE_ZNSN_ISO_Lb1ESR_SS_SU_SV_SZ_EES10_S11_S12_S13_S17_S18_S19_S1C_S1D_jS1E_jS1F_S1F_jjS1H_bEUljE0_EEES10_S11_S12_S19_S1D_S1F_T6_T7_T9_mT8_S1H_bDpT10_ENKUlT_T0_E_clISt17integral_constantIbLb0EES1U_IbLb1EEEEDaS1Q_S1R_EUlS1Q_E_NS1_11comp_targetILNS1_3genE4ELNS1_11target_archE910ELNS1_3gpuE8ELNS1_3repE0EEENS1_30default_config_static_selectorELNS0_4arch9wavefront6targetE0EEEvS13_.has_indirect_call, 0
	.section	.AMDGPU.csdata,"",@progbits
; Kernel info:
; codeLenInByte = 0
; TotalNumSgprs: 0
; NumVgprs: 0
; ScratchSize: 0
; MemoryBound: 0
; FloatMode: 240
; IeeeMode: 1
; LDSByteSize: 0 bytes/workgroup (compile time only)
; SGPRBlocks: 0
; VGPRBlocks: 0
; NumSGPRsForWavesPerEU: 1
; NumVGPRsForWavesPerEU: 1
; NamedBarCnt: 0
; Occupancy: 16
; WaveLimiterHint : 0
; COMPUTE_PGM_RSRC2:SCRATCH_EN: 0
; COMPUTE_PGM_RSRC2:USER_SGPR: 2
; COMPUTE_PGM_RSRC2:TRAP_HANDLER: 0
; COMPUTE_PGM_RSRC2:TGID_X_EN: 1
; COMPUTE_PGM_RSRC2:TGID_Y_EN: 0
; COMPUTE_PGM_RSRC2:TGID_Z_EN: 0
; COMPUTE_PGM_RSRC2:TIDIG_COMP_CNT: 0
	.section	.text._ZN7rocprim17ROCPRIM_400000_NS6detail17trampoline_kernelINS0_13select_configILj256ELj13ELNS0_17block_load_methodE3ELS4_3ELS4_3ELNS0_20block_scan_algorithmE0ELj4294967295EEENS1_25partition_config_selectorILNS1_17partition_subalgoE4EjNS0_10empty_typeEbEEZZNS1_14partition_implILS8_4ELb0ES6_15HIP_vector_typeIjLj2EENS0_17counting_iteratorIjlEEPS9_SG_NS0_5tupleIJPjSI_NS0_16reverse_iteratorISI_EEEEENSH_IJSG_SG_SG_EEES9_SI_JZNS1_25segmented_radix_sort_implINS0_14default_configELb1EPK12hip_bfloat16PSP_PKlPlN2at6native12_GLOBAL__N_18offset_tEEE10hipError_tPvRmT1_PNSt15iterator_traitsIS13_E10value_typeET2_T3_PNS14_IS19_E10value_typeET4_jRbjT5_S1F_jjP12ihipStream_tbEUljE_ZNSN_ISO_Lb1ESR_SS_SU_SV_SZ_EES10_S11_S12_S13_S17_S18_S19_S1C_S1D_jS1E_jS1F_S1F_jjS1H_bEUljE0_EEES10_S11_S12_S19_S1D_S1F_T6_T7_T9_mT8_S1H_bDpT10_ENKUlT_T0_E_clISt17integral_constantIbLb0EES1U_IbLb1EEEEDaS1Q_S1R_EUlS1Q_E_NS1_11comp_targetILNS1_3genE3ELNS1_11target_archE908ELNS1_3gpuE7ELNS1_3repE0EEENS1_30default_config_static_selectorELNS0_4arch9wavefront6targetE0EEEvS13_,"axG",@progbits,_ZN7rocprim17ROCPRIM_400000_NS6detail17trampoline_kernelINS0_13select_configILj256ELj13ELNS0_17block_load_methodE3ELS4_3ELS4_3ELNS0_20block_scan_algorithmE0ELj4294967295EEENS1_25partition_config_selectorILNS1_17partition_subalgoE4EjNS0_10empty_typeEbEEZZNS1_14partition_implILS8_4ELb0ES6_15HIP_vector_typeIjLj2EENS0_17counting_iteratorIjlEEPS9_SG_NS0_5tupleIJPjSI_NS0_16reverse_iteratorISI_EEEEENSH_IJSG_SG_SG_EEES9_SI_JZNS1_25segmented_radix_sort_implINS0_14default_configELb1EPK12hip_bfloat16PSP_PKlPlN2at6native12_GLOBAL__N_18offset_tEEE10hipError_tPvRmT1_PNSt15iterator_traitsIS13_E10value_typeET2_T3_PNS14_IS19_E10value_typeET4_jRbjT5_S1F_jjP12ihipStream_tbEUljE_ZNSN_ISO_Lb1ESR_SS_SU_SV_SZ_EES10_S11_S12_S13_S17_S18_S19_S1C_S1D_jS1E_jS1F_S1F_jjS1H_bEUljE0_EEES10_S11_S12_S19_S1D_S1F_T6_T7_T9_mT8_S1H_bDpT10_ENKUlT_T0_E_clISt17integral_constantIbLb0EES1U_IbLb1EEEEDaS1Q_S1R_EUlS1Q_E_NS1_11comp_targetILNS1_3genE3ELNS1_11target_archE908ELNS1_3gpuE7ELNS1_3repE0EEENS1_30default_config_static_selectorELNS0_4arch9wavefront6targetE0EEEvS13_,comdat
	.globl	_ZN7rocprim17ROCPRIM_400000_NS6detail17trampoline_kernelINS0_13select_configILj256ELj13ELNS0_17block_load_methodE3ELS4_3ELS4_3ELNS0_20block_scan_algorithmE0ELj4294967295EEENS1_25partition_config_selectorILNS1_17partition_subalgoE4EjNS0_10empty_typeEbEEZZNS1_14partition_implILS8_4ELb0ES6_15HIP_vector_typeIjLj2EENS0_17counting_iteratorIjlEEPS9_SG_NS0_5tupleIJPjSI_NS0_16reverse_iteratorISI_EEEEENSH_IJSG_SG_SG_EEES9_SI_JZNS1_25segmented_radix_sort_implINS0_14default_configELb1EPK12hip_bfloat16PSP_PKlPlN2at6native12_GLOBAL__N_18offset_tEEE10hipError_tPvRmT1_PNSt15iterator_traitsIS13_E10value_typeET2_T3_PNS14_IS19_E10value_typeET4_jRbjT5_S1F_jjP12ihipStream_tbEUljE_ZNSN_ISO_Lb1ESR_SS_SU_SV_SZ_EES10_S11_S12_S13_S17_S18_S19_S1C_S1D_jS1E_jS1F_S1F_jjS1H_bEUljE0_EEES10_S11_S12_S19_S1D_S1F_T6_T7_T9_mT8_S1H_bDpT10_ENKUlT_T0_E_clISt17integral_constantIbLb0EES1U_IbLb1EEEEDaS1Q_S1R_EUlS1Q_E_NS1_11comp_targetILNS1_3genE3ELNS1_11target_archE908ELNS1_3gpuE7ELNS1_3repE0EEENS1_30default_config_static_selectorELNS0_4arch9wavefront6targetE0EEEvS13_ ; -- Begin function _ZN7rocprim17ROCPRIM_400000_NS6detail17trampoline_kernelINS0_13select_configILj256ELj13ELNS0_17block_load_methodE3ELS4_3ELS4_3ELNS0_20block_scan_algorithmE0ELj4294967295EEENS1_25partition_config_selectorILNS1_17partition_subalgoE4EjNS0_10empty_typeEbEEZZNS1_14partition_implILS8_4ELb0ES6_15HIP_vector_typeIjLj2EENS0_17counting_iteratorIjlEEPS9_SG_NS0_5tupleIJPjSI_NS0_16reverse_iteratorISI_EEEEENSH_IJSG_SG_SG_EEES9_SI_JZNS1_25segmented_radix_sort_implINS0_14default_configELb1EPK12hip_bfloat16PSP_PKlPlN2at6native12_GLOBAL__N_18offset_tEEE10hipError_tPvRmT1_PNSt15iterator_traitsIS13_E10value_typeET2_T3_PNS14_IS19_E10value_typeET4_jRbjT5_S1F_jjP12ihipStream_tbEUljE_ZNSN_ISO_Lb1ESR_SS_SU_SV_SZ_EES10_S11_S12_S13_S17_S18_S19_S1C_S1D_jS1E_jS1F_S1F_jjS1H_bEUljE0_EEES10_S11_S12_S19_S1D_S1F_T6_T7_T9_mT8_S1H_bDpT10_ENKUlT_T0_E_clISt17integral_constantIbLb0EES1U_IbLb1EEEEDaS1Q_S1R_EUlS1Q_E_NS1_11comp_targetILNS1_3genE3ELNS1_11target_archE908ELNS1_3gpuE7ELNS1_3repE0EEENS1_30default_config_static_selectorELNS0_4arch9wavefront6targetE0EEEvS13_
	.p2align	8
	.type	_ZN7rocprim17ROCPRIM_400000_NS6detail17trampoline_kernelINS0_13select_configILj256ELj13ELNS0_17block_load_methodE3ELS4_3ELS4_3ELNS0_20block_scan_algorithmE0ELj4294967295EEENS1_25partition_config_selectorILNS1_17partition_subalgoE4EjNS0_10empty_typeEbEEZZNS1_14partition_implILS8_4ELb0ES6_15HIP_vector_typeIjLj2EENS0_17counting_iteratorIjlEEPS9_SG_NS0_5tupleIJPjSI_NS0_16reverse_iteratorISI_EEEEENSH_IJSG_SG_SG_EEES9_SI_JZNS1_25segmented_radix_sort_implINS0_14default_configELb1EPK12hip_bfloat16PSP_PKlPlN2at6native12_GLOBAL__N_18offset_tEEE10hipError_tPvRmT1_PNSt15iterator_traitsIS13_E10value_typeET2_T3_PNS14_IS19_E10value_typeET4_jRbjT5_S1F_jjP12ihipStream_tbEUljE_ZNSN_ISO_Lb1ESR_SS_SU_SV_SZ_EES10_S11_S12_S13_S17_S18_S19_S1C_S1D_jS1E_jS1F_S1F_jjS1H_bEUljE0_EEES10_S11_S12_S19_S1D_S1F_T6_T7_T9_mT8_S1H_bDpT10_ENKUlT_T0_E_clISt17integral_constantIbLb0EES1U_IbLb1EEEEDaS1Q_S1R_EUlS1Q_E_NS1_11comp_targetILNS1_3genE3ELNS1_11target_archE908ELNS1_3gpuE7ELNS1_3repE0EEENS1_30default_config_static_selectorELNS0_4arch9wavefront6targetE0EEEvS13_,@function
_ZN7rocprim17ROCPRIM_400000_NS6detail17trampoline_kernelINS0_13select_configILj256ELj13ELNS0_17block_load_methodE3ELS4_3ELS4_3ELNS0_20block_scan_algorithmE0ELj4294967295EEENS1_25partition_config_selectorILNS1_17partition_subalgoE4EjNS0_10empty_typeEbEEZZNS1_14partition_implILS8_4ELb0ES6_15HIP_vector_typeIjLj2EENS0_17counting_iteratorIjlEEPS9_SG_NS0_5tupleIJPjSI_NS0_16reverse_iteratorISI_EEEEENSH_IJSG_SG_SG_EEES9_SI_JZNS1_25segmented_radix_sort_implINS0_14default_configELb1EPK12hip_bfloat16PSP_PKlPlN2at6native12_GLOBAL__N_18offset_tEEE10hipError_tPvRmT1_PNSt15iterator_traitsIS13_E10value_typeET2_T3_PNS14_IS19_E10value_typeET4_jRbjT5_S1F_jjP12ihipStream_tbEUljE_ZNSN_ISO_Lb1ESR_SS_SU_SV_SZ_EES10_S11_S12_S13_S17_S18_S19_S1C_S1D_jS1E_jS1F_S1F_jjS1H_bEUljE0_EEES10_S11_S12_S19_S1D_S1F_T6_T7_T9_mT8_S1H_bDpT10_ENKUlT_T0_E_clISt17integral_constantIbLb0EES1U_IbLb1EEEEDaS1Q_S1R_EUlS1Q_E_NS1_11comp_targetILNS1_3genE3ELNS1_11target_archE908ELNS1_3gpuE7ELNS1_3repE0EEENS1_30default_config_static_selectorELNS0_4arch9wavefront6targetE0EEEvS13_: ; @_ZN7rocprim17ROCPRIM_400000_NS6detail17trampoline_kernelINS0_13select_configILj256ELj13ELNS0_17block_load_methodE3ELS4_3ELS4_3ELNS0_20block_scan_algorithmE0ELj4294967295EEENS1_25partition_config_selectorILNS1_17partition_subalgoE4EjNS0_10empty_typeEbEEZZNS1_14partition_implILS8_4ELb0ES6_15HIP_vector_typeIjLj2EENS0_17counting_iteratorIjlEEPS9_SG_NS0_5tupleIJPjSI_NS0_16reverse_iteratorISI_EEEEENSH_IJSG_SG_SG_EEES9_SI_JZNS1_25segmented_radix_sort_implINS0_14default_configELb1EPK12hip_bfloat16PSP_PKlPlN2at6native12_GLOBAL__N_18offset_tEEE10hipError_tPvRmT1_PNSt15iterator_traitsIS13_E10value_typeET2_T3_PNS14_IS19_E10value_typeET4_jRbjT5_S1F_jjP12ihipStream_tbEUljE_ZNSN_ISO_Lb1ESR_SS_SU_SV_SZ_EES10_S11_S12_S13_S17_S18_S19_S1C_S1D_jS1E_jS1F_S1F_jjS1H_bEUljE0_EEES10_S11_S12_S19_S1D_S1F_T6_T7_T9_mT8_S1H_bDpT10_ENKUlT_T0_E_clISt17integral_constantIbLb0EES1U_IbLb1EEEEDaS1Q_S1R_EUlS1Q_E_NS1_11comp_targetILNS1_3genE3ELNS1_11target_archE908ELNS1_3gpuE7ELNS1_3repE0EEENS1_30default_config_static_selectorELNS0_4arch9wavefront6targetE0EEEvS13_
; %bb.0:
	.section	.rodata,"a",@progbits
	.p2align	6, 0x0
	.amdhsa_kernel _ZN7rocprim17ROCPRIM_400000_NS6detail17trampoline_kernelINS0_13select_configILj256ELj13ELNS0_17block_load_methodE3ELS4_3ELS4_3ELNS0_20block_scan_algorithmE0ELj4294967295EEENS1_25partition_config_selectorILNS1_17partition_subalgoE4EjNS0_10empty_typeEbEEZZNS1_14partition_implILS8_4ELb0ES6_15HIP_vector_typeIjLj2EENS0_17counting_iteratorIjlEEPS9_SG_NS0_5tupleIJPjSI_NS0_16reverse_iteratorISI_EEEEENSH_IJSG_SG_SG_EEES9_SI_JZNS1_25segmented_radix_sort_implINS0_14default_configELb1EPK12hip_bfloat16PSP_PKlPlN2at6native12_GLOBAL__N_18offset_tEEE10hipError_tPvRmT1_PNSt15iterator_traitsIS13_E10value_typeET2_T3_PNS14_IS19_E10value_typeET4_jRbjT5_S1F_jjP12ihipStream_tbEUljE_ZNSN_ISO_Lb1ESR_SS_SU_SV_SZ_EES10_S11_S12_S13_S17_S18_S19_S1C_S1D_jS1E_jS1F_S1F_jjS1H_bEUljE0_EEES10_S11_S12_S19_S1D_S1F_T6_T7_T9_mT8_S1H_bDpT10_ENKUlT_T0_E_clISt17integral_constantIbLb0EES1U_IbLb1EEEEDaS1Q_S1R_EUlS1Q_E_NS1_11comp_targetILNS1_3genE3ELNS1_11target_archE908ELNS1_3gpuE7ELNS1_3repE0EEENS1_30default_config_static_selectorELNS0_4arch9wavefront6targetE0EEEvS13_
		.amdhsa_group_segment_fixed_size 0
		.amdhsa_private_segment_fixed_size 0
		.amdhsa_kernarg_size 184
		.amdhsa_user_sgpr_count 2
		.amdhsa_user_sgpr_dispatch_ptr 0
		.amdhsa_user_sgpr_queue_ptr 0
		.amdhsa_user_sgpr_kernarg_segment_ptr 1
		.amdhsa_user_sgpr_dispatch_id 0
		.amdhsa_user_sgpr_kernarg_preload_length 0
		.amdhsa_user_sgpr_kernarg_preload_offset 0
		.amdhsa_user_sgpr_private_segment_size 0
		.amdhsa_wavefront_size32 1
		.amdhsa_uses_dynamic_stack 0
		.amdhsa_enable_private_segment 0
		.amdhsa_system_sgpr_workgroup_id_x 1
		.amdhsa_system_sgpr_workgroup_id_y 0
		.amdhsa_system_sgpr_workgroup_id_z 0
		.amdhsa_system_sgpr_workgroup_info 0
		.amdhsa_system_vgpr_workitem_id 0
		.amdhsa_next_free_vgpr 1
		.amdhsa_next_free_sgpr 1
		.amdhsa_named_barrier_count 0
		.amdhsa_reserve_vcc 0
		.amdhsa_float_round_mode_32 0
		.amdhsa_float_round_mode_16_64 0
		.amdhsa_float_denorm_mode_32 3
		.amdhsa_float_denorm_mode_16_64 3
		.amdhsa_fp16_overflow 0
		.amdhsa_memory_ordered 1
		.amdhsa_forward_progress 1
		.amdhsa_inst_pref_size 0
		.amdhsa_round_robin_scheduling 0
		.amdhsa_exception_fp_ieee_invalid_op 0
		.amdhsa_exception_fp_denorm_src 0
		.amdhsa_exception_fp_ieee_div_zero 0
		.amdhsa_exception_fp_ieee_overflow 0
		.amdhsa_exception_fp_ieee_underflow 0
		.amdhsa_exception_fp_ieee_inexact 0
		.amdhsa_exception_int_div_zero 0
	.end_amdhsa_kernel
	.section	.text._ZN7rocprim17ROCPRIM_400000_NS6detail17trampoline_kernelINS0_13select_configILj256ELj13ELNS0_17block_load_methodE3ELS4_3ELS4_3ELNS0_20block_scan_algorithmE0ELj4294967295EEENS1_25partition_config_selectorILNS1_17partition_subalgoE4EjNS0_10empty_typeEbEEZZNS1_14partition_implILS8_4ELb0ES6_15HIP_vector_typeIjLj2EENS0_17counting_iteratorIjlEEPS9_SG_NS0_5tupleIJPjSI_NS0_16reverse_iteratorISI_EEEEENSH_IJSG_SG_SG_EEES9_SI_JZNS1_25segmented_radix_sort_implINS0_14default_configELb1EPK12hip_bfloat16PSP_PKlPlN2at6native12_GLOBAL__N_18offset_tEEE10hipError_tPvRmT1_PNSt15iterator_traitsIS13_E10value_typeET2_T3_PNS14_IS19_E10value_typeET4_jRbjT5_S1F_jjP12ihipStream_tbEUljE_ZNSN_ISO_Lb1ESR_SS_SU_SV_SZ_EES10_S11_S12_S13_S17_S18_S19_S1C_S1D_jS1E_jS1F_S1F_jjS1H_bEUljE0_EEES10_S11_S12_S19_S1D_S1F_T6_T7_T9_mT8_S1H_bDpT10_ENKUlT_T0_E_clISt17integral_constantIbLb0EES1U_IbLb1EEEEDaS1Q_S1R_EUlS1Q_E_NS1_11comp_targetILNS1_3genE3ELNS1_11target_archE908ELNS1_3gpuE7ELNS1_3repE0EEENS1_30default_config_static_selectorELNS0_4arch9wavefront6targetE0EEEvS13_,"axG",@progbits,_ZN7rocprim17ROCPRIM_400000_NS6detail17trampoline_kernelINS0_13select_configILj256ELj13ELNS0_17block_load_methodE3ELS4_3ELS4_3ELNS0_20block_scan_algorithmE0ELj4294967295EEENS1_25partition_config_selectorILNS1_17partition_subalgoE4EjNS0_10empty_typeEbEEZZNS1_14partition_implILS8_4ELb0ES6_15HIP_vector_typeIjLj2EENS0_17counting_iteratorIjlEEPS9_SG_NS0_5tupleIJPjSI_NS0_16reverse_iteratorISI_EEEEENSH_IJSG_SG_SG_EEES9_SI_JZNS1_25segmented_radix_sort_implINS0_14default_configELb1EPK12hip_bfloat16PSP_PKlPlN2at6native12_GLOBAL__N_18offset_tEEE10hipError_tPvRmT1_PNSt15iterator_traitsIS13_E10value_typeET2_T3_PNS14_IS19_E10value_typeET4_jRbjT5_S1F_jjP12ihipStream_tbEUljE_ZNSN_ISO_Lb1ESR_SS_SU_SV_SZ_EES10_S11_S12_S13_S17_S18_S19_S1C_S1D_jS1E_jS1F_S1F_jjS1H_bEUljE0_EEES10_S11_S12_S19_S1D_S1F_T6_T7_T9_mT8_S1H_bDpT10_ENKUlT_T0_E_clISt17integral_constantIbLb0EES1U_IbLb1EEEEDaS1Q_S1R_EUlS1Q_E_NS1_11comp_targetILNS1_3genE3ELNS1_11target_archE908ELNS1_3gpuE7ELNS1_3repE0EEENS1_30default_config_static_selectorELNS0_4arch9wavefront6targetE0EEEvS13_,comdat
.Lfunc_end1899:
	.size	_ZN7rocprim17ROCPRIM_400000_NS6detail17trampoline_kernelINS0_13select_configILj256ELj13ELNS0_17block_load_methodE3ELS4_3ELS4_3ELNS0_20block_scan_algorithmE0ELj4294967295EEENS1_25partition_config_selectorILNS1_17partition_subalgoE4EjNS0_10empty_typeEbEEZZNS1_14partition_implILS8_4ELb0ES6_15HIP_vector_typeIjLj2EENS0_17counting_iteratorIjlEEPS9_SG_NS0_5tupleIJPjSI_NS0_16reverse_iteratorISI_EEEEENSH_IJSG_SG_SG_EEES9_SI_JZNS1_25segmented_radix_sort_implINS0_14default_configELb1EPK12hip_bfloat16PSP_PKlPlN2at6native12_GLOBAL__N_18offset_tEEE10hipError_tPvRmT1_PNSt15iterator_traitsIS13_E10value_typeET2_T3_PNS14_IS19_E10value_typeET4_jRbjT5_S1F_jjP12ihipStream_tbEUljE_ZNSN_ISO_Lb1ESR_SS_SU_SV_SZ_EES10_S11_S12_S13_S17_S18_S19_S1C_S1D_jS1E_jS1F_S1F_jjS1H_bEUljE0_EEES10_S11_S12_S19_S1D_S1F_T6_T7_T9_mT8_S1H_bDpT10_ENKUlT_T0_E_clISt17integral_constantIbLb0EES1U_IbLb1EEEEDaS1Q_S1R_EUlS1Q_E_NS1_11comp_targetILNS1_3genE3ELNS1_11target_archE908ELNS1_3gpuE7ELNS1_3repE0EEENS1_30default_config_static_selectorELNS0_4arch9wavefront6targetE0EEEvS13_, .Lfunc_end1899-_ZN7rocprim17ROCPRIM_400000_NS6detail17trampoline_kernelINS0_13select_configILj256ELj13ELNS0_17block_load_methodE3ELS4_3ELS4_3ELNS0_20block_scan_algorithmE0ELj4294967295EEENS1_25partition_config_selectorILNS1_17partition_subalgoE4EjNS0_10empty_typeEbEEZZNS1_14partition_implILS8_4ELb0ES6_15HIP_vector_typeIjLj2EENS0_17counting_iteratorIjlEEPS9_SG_NS0_5tupleIJPjSI_NS0_16reverse_iteratorISI_EEEEENSH_IJSG_SG_SG_EEES9_SI_JZNS1_25segmented_radix_sort_implINS0_14default_configELb1EPK12hip_bfloat16PSP_PKlPlN2at6native12_GLOBAL__N_18offset_tEEE10hipError_tPvRmT1_PNSt15iterator_traitsIS13_E10value_typeET2_T3_PNS14_IS19_E10value_typeET4_jRbjT5_S1F_jjP12ihipStream_tbEUljE_ZNSN_ISO_Lb1ESR_SS_SU_SV_SZ_EES10_S11_S12_S13_S17_S18_S19_S1C_S1D_jS1E_jS1F_S1F_jjS1H_bEUljE0_EEES10_S11_S12_S19_S1D_S1F_T6_T7_T9_mT8_S1H_bDpT10_ENKUlT_T0_E_clISt17integral_constantIbLb0EES1U_IbLb1EEEEDaS1Q_S1R_EUlS1Q_E_NS1_11comp_targetILNS1_3genE3ELNS1_11target_archE908ELNS1_3gpuE7ELNS1_3repE0EEENS1_30default_config_static_selectorELNS0_4arch9wavefront6targetE0EEEvS13_
                                        ; -- End function
	.set _ZN7rocprim17ROCPRIM_400000_NS6detail17trampoline_kernelINS0_13select_configILj256ELj13ELNS0_17block_load_methodE3ELS4_3ELS4_3ELNS0_20block_scan_algorithmE0ELj4294967295EEENS1_25partition_config_selectorILNS1_17partition_subalgoE4EjNS0_10empty_typeEbEEZZNS1_14partition_implILS8_4ELb0ES6_15HIP_vector_typeIjLj2EENS0_17counting_iteratorIjlEEPS9_SG_NS0_5tupleIJPjSI_NS0_16reverse_iteratorISI_EEEEENSH_IJSG_SG_SG_EEES9_SI_JZNS1_25segmented_radix_sort_implINS0_14default_configELb1EPK12hip_bfloat16PSP_PKlPlN2at6native12_GLOBAL__N_18offset_tEEE10hipError_tPvRmT1_PNSt15iterator_traitsIS13_E10value_typeET2_T3_PNS14_IS19_E10value_typeET4_jRbjT5_S1F_jjP12ihipStream_tbEUljE_ZNSN_ISO_Lb1ESR_SS_SU_SV_SZ_EES10_S11_S12_S13_S17_S18_S19_S1C_S1D_jS1E_jS1F_S1F_jjS1H_bEUljE0_EEES10_S11_S12_S19_S1D_S1F_T6_T7_T9_mT8_S1H_bDpT10_ENKUlT_T0_E_clISt17integral_constantIbLb0EES1U_IbLb1EEEEDaS1Q_S1R_EUlS1Q_E_NS1_11comp_targetILNS1_3genE3ELNS1_11target_archE908ELNS1_3gpuE7ELNS1_3repE0EEENS1_30default_config_static_selectorELNS0_4arch9wavefront6targetE0EEEvS13_.num_vgpr, 0
	.set _ZN7rocprim17ROCPRIM_400000_NS6detail17trampoline_kernelINS0_13select_configILj256ELj13ELNS0_17block_load_methodE3ELS4_3ELS4_3ELNS0_20block_scan_algorithmE0ELj4294967295EEENS1_25partition_config_selectorILNS1_17partition_subalgoE4EjNS0_10empty_typeEbEEZZNS1_14partition_implILS8_4ELb0ES6_15HIP_vector_typeIjLj2EENS0_17counting_iteratorIjlEEPS9_SG_NS0_5tupleIJPjSI_NS0_16reverse_iteratorISI_EEEEENSH_IJSG_SG_SG_EEES9_SI_JZNS1_25segmented_radix_sort_implINS0_14default_configELb1EPK12hip_bfloat16PSP_PKlPlN2at6native12_GLOBAL__N_18offset_tEEE10hipError_tPvRmT1_PNSt15iterator_traitsIS13_E10value_typeET2_T3_PNS14_IS19_E10value_typeET4_jRbjT5_S1F_jjP12ihipStream_tbEUljE_ZNSN_ISO_Lb1ESR_SS_SU_SV_SZ_EES10_S11_S12_S13_S17_S18_S19_S1C_S1D_jS1E_jS1F_S1F_jjS1H_bEUljE0_EEES10_S11_S12_S19_S1D_S1F_T6_T7_T9_mT8_S1H_bDpT10_ENKUlT_T0_E_clISt17integral_constantIbLb0EES1U_IbLb1EEEEDaS1Q_S1R_EUlS1Q_E_NS1_11comp_targetILNS1_3genE3ELNS1_11target_archE908ELNS1_3gpuE7ELNS1_3repE0EEENS1_30default_config_static_selectorELNS0_4arch9wavefront6targetE0EEEvS13_.num_agpr, 0
	.set _ZN7rocprim17ROCPRIM_400000_NS6detail17trampoline_kernelINS0_13select_configILj256ELj13ELNS0_17block_load_methodE3ELS4_3ELS4_3ELNS0_20block_scan_algorithmE0ELj4294967295EEENS1_25partition_config_selectorILNS1_17partition_subalgoE4EjNS0_10empty_typeEbEEZZNS1_14partition_implILS8_4ELb0ES6_15HIP_vector_typeIjLj2EENS0_17counting_iteratorIjlEEPS9_SG_NS0_5tupleIJPjSI_NS0_16reverse_iteratorISI_EEEEENSH_IJSG_SG_SG_EEES9_SI_JZNS1_25segmented_radix_sort_implINS0_14default_configELb1EPK12hip_bfloat16PSP_PKlPlN2at6native12_GLOBAL__N_18offset_tEEE10hipError_tPvRmT1_PNSt15iterator_traitsIS13_E10value_typeET2_T3_PNS14_IS19_E10value_typeET4_jRbjT5_S1F_jjP12ihipStream_tbEUljE_ZNSN_ISO_Lb1ESR_SS_SU_SV_SZ_EES10_S11_S12_S13_S17_S18_S19_S1C_S1D_jS1E_jS1F_S1F_jjS1H_bEUljE0_EEES10_S11_S12_S19_S1D_S1F_T6_T7_T9_mT8_S1H_bDpT10_ENKUlT_T0_E_clISt17integral_constantIbLb0EES1U_IbLb1EEEEDaS1Q_S1R_EUlS1Q_E_NS1_11comp_targetILNS1_3genE3ELNS1_11target_archE908ELNS1_3gpuE7ELNS1_3repE0EEENS1_30default_config_static_selectorELNS0_4arch9wavefront6targetE0EEEvS13_.numbered_sgpr, 0
	.set _ZN7rocprim17ROCPRIM_400000_NS6detail17trampoline_kernelINS0_13select_configILj256ELj13ELNS0_17block_load_methodE3ELS4_3ELS4_3ELNS0_20block_scan_algorithmE0ELj4294967295EEENS1_25partition_config_selectorILNS1_17partition_subalgoE4EjNS0_10empty_typeEbEEZZNS1_14partition_implILS8_4ELb0ES6_15HIP_vector_typeIjLj2EENS0_17counting_iteratorIjlEEPS9_SG_NS0_5tupleIJPjSI_NS0_16reverse_iteratorISI_EEEEENSH_IJSG_SG_SG_EEES9_SI_JZNS1_25segmented_radix_sort_implINS0_14default_configELb1EPK12hip_bfloat16PSP_PKlPlN2at6native12_GLOBAL__N_18offset_tEEE10hipError_tPvRmT1_PNSt15iterator_traitsIS13_E10value_typeET2_T3_PNS14_IS19_E10value_typeET4_jRbjT5_S1F_jjP12ihipStream_tbEUljE_ZNSN_ISO_Lb1ESR_SS_SU_SV_SZ_EES10_S11_S12_S13_S17_S18_S19_S1C_S1D_jS1E_jS1F_S1F_jjS1H_bEUljE0_EEES10_S11_S12_S19_S1D_S1F_T6_T7_T9_mT8_S1H_bDpT10_ENKUlT_T0_E_clISt17integral_constantIbLb0EES1U_IbLb1EEEEDaS1Q_S1R_EUlS1Q_E_NS1_11comp_targetILNS1_3genE3ELNS1_11target_archE908ELNS1_3gpuE7ELNS1_3repE0EEENS1_30default_config_static_selectorELNS0_4arch9wavefront6targetE0EEEvS13_.num_named_barrier, 0
	.set _ZN7rocprim17ROCPRIM_400000_NS6detail17trampoline_kernelINS0_13select_configILj256ELj13ELNS0_17block_load_methodE3ELS4_3ELS4_3ELNS0_20block_scan_algorithmE0ELj4294967295EEENS1_25partition_config_selectorILNS1_17partition_subalgoE4EjNS0_10empty_typeEbEEZZNS1_14partition_implILS8_4ELb0ES6_15HIP_vector_typeIjLj2EENS0_17counting_iteratorIjlEEPS9_SG_NS0_5tupleIJPjSI_NS0_16reverse_iteratorISI_EEEEENSH_IJSG_SG_SG_EEES9_SI_JZNS1_25segmented_radix_sort_implINS0_14default_configELb1EPK12hip_bfloat16PSP_PKlPlN2at6native12_GLOBAL__N_18offset_tEEE10hipError_tPvRmT1_PNSt15iterator_traitsIS13_E10value_typeET2_T3_PNS14_IS19_E10value_typeET4_jRbjT5_S1F_jjP12ihipStream_tbEUljE_ZNSN_ISO_Lb1ESR_SS_SU_SV_SZ_EES10_S11_S12_S13_S17_S18_S19_S1C_S1D_jS1E_jS1F_S1F_jjS1H_bEUljE0_EEES10_S11_S12_S19_S1D_S1F_T6_T7_T9_mT8_S1H_bDpT10_ENKUlT_T0_E_clISt17integral_constantIbLb0EES1U_IbLb1EEEEDaS1Q_S1R_EUlS1Q_E_NS1_11comp_targetILNS1_3genE3ELNS1_11target_archE908ELNS1_3gpuE7ELNS1_3repE0EEENS1_30default_config_static_selectorELNS0_4arch9wavefront6targetE0EEEvS13_.private_seg_size, 0
	.set _ZN7rocprim17ROCPRIM_400000_NS6detail17trampoline_kernelINS0_13select_configILj256ELj13ELNS0_17block_load_methodE3ELS4_3ELS4_3ELNS0_20block_scan_algorithmE0ELj4294967295EEENS1_25partition_config_selectorILNS1_17partition_subalgoE4EjNS0_10empty_typeEbEEZZNS1_14partition_implILS8_4ELb0ES6_15HIP_vector_typeIjLj2EENS0_17counting_iteratorIjlEEPS9_SG_NS0_5tupleIJPjSI_NS0_16reverse_iteratorISI_EEEEENSH_IJSG_SG_SG_EEES9_SI_JZNS1_25segmented_radix_sort_implINS0_14default_configELb1EPK12hip_bfloat16PSP_PKlPlN2at6native12_GLOBAL__N_18offset_tEEE10hipError_tPvRmT1_PNSt15iterator_traitsIS13_E10value_typeET2_T3_PNS14_IS19_E10value_typeET4_jRbjT5_S1F_jjP12ihipStream_tbEUljE_ZNSN_ISO_Lb1ESR_SS_SU_SV_SZ_EES10_S11_S12_S13_S17_S18_S19_S1C_S1D_jS1E_jS1F_S1F_jjS1H_bEUljE0_EEES10_S11_S12_S19_S1D_S1F_T6_T7_T9_mT8_S1H_bDpT10_ENKUlT_T0_E_clISt17integral_constantIbLb0EES1U_IbLb1EEEEDaS1Q_S1R_EUlS1Q_E_NS1_11comp_targetILNS1_3genE3ELNS1_11target_archE908ELNS1_3gpuE7ELNS1_3repE0EEENS1_30default_config_static_selectorELNS0_4arch9wavefront6targetE0EEEvS13_.uses_vcc, 0
	.set _ZN7rocprim17ROCPRIM_400000_NS6detail17trampoline_kernelINS0_13select_configILj256ELj13ELNS0_17block_load_methodE3ELS4_3ELS4_3ELNS0_20block_scan_algorithmE0ELj4294967295EEENS1_25partition_config_selectorILNS1_17partition_subalgoE4EjNS0_10empty_typeEbEEZZNS1_14partition_implILS8_4ELb0ES6_15HIP_vector_typeIjLj2EENS0_17counting_iteratorIjlEEPS9_SG_NS0_5tupleIJPjSI_NS0_16reverse_iteratorISI_EEEEENSH_IJSG_SG_SG_EEES9_SI_JZNS1_25segmented_radix_sort_implINS0_14default_configELb1EPK12hip_bfloat16PSP_PKlPlN2at6native12_GLOBAL__N_18offset_tEEE10hipError_tPvRmT1_PNSt15iterator_traitsIS13_E10value_typeET2_T3_PNS14_IS19_E10value_typeET4_jRbjT5_S1F_jjP12ihipStream_tbEUljE_ZNSN_ISO_Lb1ESR_SS_SU_SV_SZ_EES10_S11_S12_S13_S17_S18_S19_S1C_S1D_jS1E_jS1F_S1F_jjS1H_bEUljE0_EEES10_S11_S12_S19_S1D_S1F_T6_T7_T9_mT8_S1H_bDpT10_ENKUlT_T0_E_clISt17integral_constantIbLb0EES1U_IbLb1EEEEDaS1Q_S1R_EUlS1Q_E_NS1_11comp_targetILNS1_3genE3ELNS1_11target_archE908ELNS1_3gpuE7ELNS1_3repE0EEENS1_30default_config_static_selectorELNS0_4arch9wavefront6targetE0EEEvS13_.uses_flat_scratch, 0
	.set _ZN7rocprim17ROCPRIM_400000_NS6detail17trampoline_kernelINS0_13select_configILj256ELj13ELNS0_17block_load_methodE3ELS4_3ELS4_3ELNS0_20block_scan_algorithmE0ELj4294967295EEENS1_25partition_config_selectorILNS1_17partition_subalgoE4EjNS0_10empty_typeEbEEZZNS1_14partition_implILS8_4ELb0ES6_15HIP_vector_typeIjLj2EENS0_17counting_iteratorIjlEEPS9_SG_NS0_5tupleIJPjSI_NS0_16reverse_iteratorISI_EEEEENSH_IJSG_SG_SG_EEES9_SI_JZNS1_25segmented_radix_sort_implINS0_14default_configELb1EPK12hip_bfloat16PSP_PKlPlN2at6native12_GLOBAL__N_18offset_tEEE10hipError_tPvRmT1_PNSt15iterator_traitsIS13_E10value_typeET2_T3_PNS14_IS19_E10value_typeET4_jRbjT5_S1F_jjP12ihipStream_tbEUljE_ZNSN_ISO_Lb1ESR_SS_SU_SV_SZ_EES10_S11_S12_S13_S17_S18_S19_S1C_S1D_jS1E_jS1F_S1F_jjS1H_bEUljE0_EEES10_S11_S12_S19_S1D_S1F_T6_T7_T9_mT8_S1H_bDpT10_ENKUlT_T0_E_clISt17integral_constantIbLb0EES1U_IbLb1EEEEDaS1Q_S1R_EUlS1Q_E_NS1_11comp_targetILNS1_3genE3ELNS1_11target_archE908ELNS1_3gpuE7ELNS1_3repE0EEENS1_30default_config_static_selectorELNS0_4arch9wavefront6targetE0EEEvS13_.has_dyn_sized_stack, 0
	.set _ZN7rocprim17ROCPRIM_400000_NS6detail17trampoline_kernelINS0_13select_configILj256ELj13ELNS0_17block_load_methodE3ELS4_3ELS4_3ELNS0_20block_scan_algorithmE0ELj4294967295EEENS1_25partition_config_selectorILNS1_17partition_subalgoE4EjNS0_10empty_typeEbEEZZNS1_14partition_implILS8_4ELb0ES6_15HIP_vector_typeIjLj2EENS0_17counting_iteratorIjlEEPS9_SG_NS0_5tupleIJPjSI_NS0_16reverse_iteratorISI_EEEEENSH_IJSG_SG_SG_EEES9_SI_JZNS1_25segmented_radix_sort_implINS0_14default_configELb1EPK12hip_bfloat16PSP_PKlPlN2at6native12_GLOBAL__N_18offset_tEEE10hipError_tPvRmT1_PNSt15iterator_traitsIS13_E10value_typeET2_T3_PNS14_IS19_E10value_typeET4_jRbjT5_S1F_jjP12ihipStream_tbEUljE_ZNSN_ISO_Lb1ESR_SS_SU_SV_SZ_EES10_S11_S12_S13_S17_S18_S19_S1C_S1D_jS1E_jS1F_S1F_jjS1H_bEUljE0_EEES10_S11_S12_S19_S1D_S1F_T6_T7_T9_mT8_S1H_bDpT10_ENKUlT_T0_E_clISt17integral_constantIbLb0EES1U_IbLb1EEEEDaS1Q_S1R_EUlS1Q_E_NS1_11comp_targetILNS1_3genE3ELNS1_11target_archE908ELNS1_3gpuE7ELNS1_3repE0EEENS1_30default_config_static_selectorELNS0_4arch9wavefront6targetE0EEEvS13_.has_recursion, 0
	.set _ZN7rocprim17ROCPRIM_400000_NS6detail17trampoline_kernelINS0_13select_configILj256ELj13ELNS0_17block_load_methodE3ELS4_3ELS4_3ELNS0_20block_scan_algorithmE0ELj4294967295EEENS1_25partition_config_selectorILNS1_17partition_subalgoE4EjNS0_10empty_typeEbEEZZNS1_14partition_implILS8_4ELb0ES6_15HIP_vector_typeIjLj2EENS0_17counting_iteratorIjlEEPS9_SG_NS0_5tupleIJPjSI_NS0_16reverse_iteratorISI_EEEEENSH_IJSG_SG_SG_EEES9_SI_JZNS1_25segmented_radix_sort_implINS0_14default_configELb1EPK12hip_bfloat16PSP_PKlPlN2at6native12_GLOBAL__N_18offset_tEEE10hipError_tPvRmT1_PNSt15iterator_traitsIS13_E10value_typeET2_T3_PNS14_IS19_E10value_typeET4_jRbjT5_S1F_jjP12ihipStream_tbEUljE_ZNSN_ISO_Lb1ESR_SS_SU_SV_SZ_EES10_S11_S12_S13_S17_S18_S19_S1C_S1D_jS1E_jS1F_S1F_jjS1H_bEUljE0_EEES10_S11_S12_S19_S1D_S1F_T6_T7_T9_mT8_S1H_bDpT10_ENKUlT_T0_E_clISt17integral_constantIbLb0EES1U_IbLb1EEEEDaS1Q_S1R_EUlS1Q_E_NS1_11comp_targetILNS1_3genE3ELNS1_11target_archE908ELNS1_3gpuE7ELNS1_3repE0EEENS1_30default_config_static_selectorELNS0_4arch9wavefront6targetE0EEEvS13_.has_indirect_call, 0
	.section	.AMDGPU.csdata,"",@progbits
; Kernel info:
; codeLenInByte = 0
; TotalNumSgprs: 0
; NumVgprs: 0
; ScratchSize: 0
; MemoryBound: 0
; FloatMode: 240
; IeeeMode: 1
; LDSByteSize: 0 bytes/workgroup (compile time only)
; SGPRBlocks: 0
; VGPRBlocks: 0
; NumSGPRsForWavesPerEU: 1
; NumVGPRsForWavesPerEU: 1
; NamedBarCnt: 0
; Occupancy: 16
; WaveLimiterHint : 0
; COMPUTE_PGM_RSRC2:SCRATCH_EN: 0
; COMPUTE_PGM_RSRC2:USER_SGPR: 2
; COMPUTE_PGM_RSRC2:TRAP_HANDLER: 0
; COMPUTE_PGM_RSRC2:TGID_X_EN: 1
; COMPUTE_PGM_RSRC2:TGID_Y_EN: 0
; COMPUTE_PGM_RSRC2:TGID_Z_EN: 0
; COMPUTE_PGM_RSRC2:TIDIG_COMP_CNT: 0
	.section	.text._ZN7rocprim17ROCPRIM_400000_NS6detail17trampoline_kernelINS0_13select_configILj256ELj13ELNS0_17block_load_methodE3ELS4_3ELS4_3ELNS0_20block_scan_algorithmE0ELj4294967295EEENS1_25partition_config_selectorILNS1_17partition_subalgoE4EjNS0_10empty_typeEbEEZZNS1_14partition_implILS8_4ELb0ES6_15HIP_vector_typeIjLj2EENS0_17counting_iteratorIjlEEPS9_SG_NS0_5tupleIJPjSI_NS0_16reverse_iteratorISI_EEEEENSH_IJSG_SG_SG_EEES9_SI_JZNS1_25segmented_radix_sort_implINS0_14default_configELb1EPK12hip_bfloat16PSP_PKlPlN2at6native12_GLOBAL__N_18offset_tEEE10hipError_tPvRmT1_PNSt15iterator_traitsIS13_E10value_typeET2_T3_PNS14_IS19_E10value_typeET4_jRbjT5_S1F_jjP12ihipStream_tbEUljE_ZNSN_ISO_Lb1ESR_SS_SU_SV_SZ_EES10_S11_S12_S13_S17_S18_S19_S1C_S1D_jS1E_jS1F_S1F_jjS1H_bEUljE0_EEES10_S11_S12_S19_S1D_S1F_T6_T7_T9_mT8_S1H_bDpT10_ENKUlT_T0_E_clISt17integral_constantIbLb0EES1U_IbLb1EEEEDaS1Q_S1R_EUlS1Q_E_NS1_11comp_targetILNS1_3genE2ELNS1_11target_archE906ELNS1_3gpuE6ELNS1_3repE0EEENS1_30default_config_static_selectorELNS0_4arch9wavefront6targetE0EEEvS13_,"axG",@progbits,_ZN7rocprim17ROCPRIM_400000_NS6detail17trampoline_kernelINS0_13select_configILj256ELj13ELNS0_17block_load_methodE3ELS4_3ELS4_3ELNS0_20block_scan_algorithmE0ELj4294967295EEENS1_25partition_config_selectorILNS1_17partition_subalgoE4EjNS0_10empty_typeEbEEZZNS1_14partition_implILS8_4ELb0ES6_15HIP_vector_typeIjLj2EENS0_17counting_iteratorIjlEEPS9_SG_NS0_5tupleIJPjSI_NS0_16reverse_iteratorISI_EEEEENSH_IJSG_SG_SG_EEES9_SI_JZNS1_25segmented_radix_sort_implINS0_14default_configELb1EPK12hip_bfloat16PSP_PKlPlN2at6native12_GLOBAL__N_18offset_tEEE10hipError_tPvRmT1_PNSt15iterator_traitsIS13_E10value_typeET2_T3_PNS14_IS19_E10value_typeET4_jRbjT5_S1F_jjP12ihipStream_tbEUljE_ZNSN_ISO_Lb1ESR_SS_SU_SV_SZ_EES10_S11_S12_S13_S17_S18_S19_S1C_S1D_jS1E_jS1F_S1F_jjS1H_bEUljE0_EEES10_S11_S12_S19_S1D_S1F_T6_T7_T9_mT8_S1H_bDpT10_ENKUlT_T0_E_clISt17integral_constantIbLb0EES1U_IbLb1EEEEDaS1Q_S1R_EUlS1Q_E_NS1_11comp_targetILNS1_3genE2ELNS1_11target_archE906ELNS1_3gpuE6ELNS1_3repE0EEENS1_30default_config_static_selectorELNS0_4arch9wavefront6targetE0EEEvS13_,comdat
	.globl	_ZN7rocprim17ROCPRIM_400000_NS6detail17trampoline_kernelINS0_13select_configILj256ELj13ELNS0_17block_load_methodE3ELS4_3ELS4_3ELNS0_20block_scan_algorithmE0ELj4294967295EEENS1_25partition_config_selectorILNS1_17partition_subalgoE4EjNS0_10empty_typeEbEEZZNS1_14partition_implILS8_4ELb0ES6_15HIP_vector_typeIjLj2EENS0_17counting_iteratorIjlEEPS9_SG_NS0_5tupleIJPjSI_NS0_16reverse_iteratorISI_EEEEENSH_IJSG_SG_SG_EEES9_SI_JZNS1_25segmented_radix_sort_implINS0_14default_configELb1EPK12hip_bfloat16PSP_PKlPlN2at6native12_GLOBAL__N_18offset_tEEE10hipError_tPvRmT1_PNSt15iterator_traitsIS13_E10value_typeET2_T3_PNS14_IS19_E10value_typeET4_jRbjT5_S1F_jjP12ihipStream_tbEUljE_ZNSN_ISO_Lb1ESR_SS_SU_SV_SZ_EES10_S11_S12_S13_S17_S18_S19_S1C_S1D_jS1E_jS1F_S1F_jjS1H_bEUljE0_EEES10_S11_S12_S19_S1D_S1F_T6_T7_T9_mT8_S1H_bDpT10_ENKUlT_T0_E_clISt17integral_constantIbLb0EES1U_IbLb1EEEEDaS1Q_S1R_EUlS1Q_E_NS1_11comp_targetILNS1_3genE2ELNS1_11target_archE906ELNS1_3gpuE6ELNS1_3repE0EEENS1_30default_config_static_selectorELNS0_4arch9wavefront6targetE0EEEvS13_ ; -- Begin function _ZN7rocprim17ROCPRIM_400000_NS6detail17trampoline_kernelINS0_13select_configILj256ELj13ELNS0_17block_load_methodE3ELS4_3ELS4_3ELNS0_20block_scan_algorithmE0ELj4294967295EEENS1_25partition_config_selectorILNS1_17partition_subalgoE4EjNS0_10empty_typeEbEEZZNS1_14partition_implILS8_4ELb0ES6_15HIP_vector_typeIjLj2EENS0_17counting_iteratorIjlEEPS9_SG_NS0_5tupleIJPjSI_NS0_16reverse_iteratorISI_EEEEENSH_IJSG_SG_SG_EEES9_SI_JZNS1_25segmented_radix_sort_implINS0_14default_configELb1EPK12hip_bfloat16PSP_PKlPlN2at6native12_GLOBAL__N_18offset_tEEE10hipError_tPvRmT1_PNSt15iterator_traitsIS13_E10value_typeET2_T3_PNS14_IS19_E10value_typeET4_jRbjT5_S1F_jjP12ihipStream_tbEUljE_ZNSN_ISO_Lb1ESR_SS_SU_SV_SZ_EES10_S11_S12_S13_S17_S18_S19_S1C_S1D_jS1E_jS1F_S1F_jjS1H_bEUljE0_EEES10_S11_S12_S19_S1D_S1F_T6_T7_T9_mT8_S1H_bDpT10_ENKUlT_T0_E_clISt17integral_constantIbLb0EES1U_IbLb1EEEEDaS1Q_S1R_EUlS1Q_E_NS1_11comp_targetILNS1_3genE2ELNS1_11target_archE906ELNS1_3gpuE6ELNS1_3repE0EEENS1_30default_config_static_selectorELNS0_4arch9wavefront6targetE0EEEvS13_
	.p2align	8
	.type	_ZN7rocprim17ROCPRIM_400000_NS6detail17trampoline_kernelINS0_13select_configILj256ELj13ELNS0_17block_load_methodE3ELS4_3ELS4_3ELNS0_20block_scan_algorithmE0ELj4294967295EEENS1_25partition_config_selectorILNS1_17partition_subalgoE4EjNS0_10empty_typeEbEEZZNS1_14partition_implILS8_4ELb0ES6_15HIP_vector_typeIjLj2EENS0_17counting_iteratorIjlEEPS9_SG_NS0_5tupleIJPjSI_NS0_16reverse_iteratorISI_EEEEENSH_IJSG_SG_SG_EEES9_SI_JZNS1_25segmented_radix_sort_implINS0_14default_configELb1EPK12hip_bfloat16PSP_PKlPlN2at6native12_GLOBAL__N_18offset_tEEE10hipError_tPvRmT1_PNSt15iterator_traitsIS13_E10value_typeET2_T3_PNS14_IS19_E10value_typeET4_jRbjT5_S1F_jjP12ihipStream_tbEUljE_ZNSN_ISO_Lb1ESR_SS_SU_SV_SZ_EES10_S11_S12_S13_S17_S18_S19_S1C_S1D_jS1E_jS1F_S1F_jjS1H_bEUljE0_EEES10_S11_S12_S19_S1D_S1F_T6_T7_T9_mT8_S1H_bDpT10_ENKUlT_T0_E_clISt17integral_constantIbLb0EES1U_IbLb1EEEEDaS1Q_S1R_EUlS1Q_E_NS1_11comp_targetILNS1_3genE2ELNS1_11target_archE906ELNS1_3gpuE6ELNS1_3repE0EEENS1_30default_config_static_selectorELNS0_4arch9wavefront6targetE0EEEvS13_,@function
_ZN7rocprim17ROCPRIM_400000_NS6detail17trampoline_kernelINS0_13select_configILj256ELj13ELNS0_17block_load_methodE3ELS4_3ELS4_3ELNS0_20block_scan_algorithmE0ELj4294967295EEENS1_25partition_config_selectorILNS1_17partition_subalgoE4EjNS0_10empty_typeEbEEZZNS1_14partition_implILS8_4ELb0ES6_15HIP_vector_typeIjLj2EENS0_17counting_iteratorIjlEEPS9_SG_NS0_5tupleIJPjSI_NS0_16reverse_iteratorISI_EEEEENSH_IJSG_SG_SG_EEES9_SI_JZNS1_25segmented_radix_sort_implINS0_14default_configELb1EPK12hip_bfloat16PSP_PKlPlN2at6native12_GLOBAL__N_18offset_tEEE10hipError_tPvRmT1_PNSt15iterator_traitsIS13_E10value_typeET2_T3_PNS14_IS19_E10value_typeET4_jRbjT5_S1F_jjP12ihipStream_tbEUljE_ZNSN_ISO_Lb1ESR_SS_SU_SV_SZ_EES10_S11_S12_S13_S17_S18_S19_S1C_S1D_jS1E_jS1F_S1F_jjS1H_bEUljE0_EEES10_S11_S12_S19_S1D_S1F_T6_T7_T9_mT8_S1H_bDpT10_ENKUlT_T0_E_clISt17integral_constantIbLb0EES1U_IbLb1EEEEDaS1Q_S1R_EUlS1Q_E_NS1_11comp_targetILNS1_3genE2ELNS1_11target_archE906ELNS1_3gpuE6ELNS1_3repE0EEENS1_30default_config_static_selectorELNS0_4arch9wavefront6targetE0EEEvS13_: ; @_ZN7rocprim17ROCPRIM_400000_NS6detail17trampoline_kernelINS0_13select_configILj256ELj13ELNS0_17block_load_methodE3ELS4_3ELS4_3ELNS0_20block_scan_algorithmE0ELj4294967295EEENS1_25partition_config_selectorILNS1_17partition_subalgoE4EjNS0_10empty_typeEbEEZZNS1_14partition_implILS8_4ELb0ES6_15HIP_vector_typeIjLj2EENS0_17counting_iteratorIjlEEPS9_SG_NS0_5tupleIJPjSI_NS0_16reverse_iteratorISI_EEEEENSH_IJSG_SG_SG_EEES9_SI_JZNS1_25segmented_radix_sort_implINS0_14default_configELb1EPK12hip_bfloat16PSP_PKlPlN2at6native12_GLOBAL__N_18offset_tEEE10hipError_tPvRmT1_PNSt15iterator_traitsIS13_E10value_typeET2_T3_PNS14_IS19_E10value_typeET4_jRbjT5_S1F_jjP12ihipStream_tbEUljE_ZNSN_ISO_Lb1ESR_SS_SU_SV_SZ_EES10_S11_S12_S13_S17_S18_S19_S1C_S1D_jS1E_jS1F_S1F_jjS1H_bEUljE0_EEES10_S11_S12_S19_S1D_S1F_T6_T7_T9_mT8_S1H_bDpT10_ENKUlT_T0_E_clISt17integral_constantIbLb0EES1U_IbLb1EEEEDaS1Q_S1R_EUlS1Q_E_NS1_11comp_targetILNS1_3genE2ELNS1_11target_archE906ELNS1_3gpuE6ELNS1_3repE0EEENS1_30default_config_static_selectorELNS0_4arch9wavefront6targetE0EEEvS13_
; %bb.0:
	.section	.rodata,"a",@progbits
	.p2align	6, 0x0
	.amdhsa_kernel _ZN7rocprim17ROCPRIM_400000_NS6detail17trampoline_kernelINS0_13select_configILj256ELj13ELNS0_17block_load_methodE3ELS4_3ELS4_3ELNS0_20block_scan_algorithmE0ELj4294967295EEENS1_25partition_config_selectorILNS1_17partition_subalgoE4EjNS0_10empty_typeEbEEZZNS1_14partition_implILS8_4ELb0ES6_15HIP_vector_typeIjLj2EENS0_17counting_iteratorIjlEEPS9_SG_NS0_5tupleIJPjSI_NS0_16reverse_iteratorISI_EEEEENSH_IJSG_SG_SG_EEES9_SI_JZNS1_25segmented_radix_sort_implINS0_14default_configELb1EPK12hip_bfloat16PSP_PKlPlN2at6native12_GLOBAL__N_18offset_tEEE10hipError_tPvRmT1_PNSt15iterator_traitsIS13_E10value_typeET2_T3_PNS14_IS19_E10value_typeET4_jRbjT5_S1F_jjP12ihipStream_tbEUljE_ZNSN_ISO_Lb1ESR_SS_SU_SV_SZ_EES10_S11_S12_S13_S17_S18_S19_S1C_S1D_jS1E_jS1F_S1F_jjS1H_bEUljE0_EEES10_S11_S12_S19_S1D_S1F_T6_T7_T9_mT8_S1H_bDpT10_ENKUlT_T0_E_clISt17integral_constantIbLb0EES1U_IbLb1EEEEDaS1Q_S1R_EUlS1Q_E_NS1_11comp_targetILNS1_3genE2ELNS1_11target_archE906ELNS1_3gpuE6ELNS1_3repE0EEENS1_30default_config_static_selectorELNS0_4arch9wavefront6targetE0EEEvS13_
		.amdhsa_group_segment_fixed_size 0
		.amdhsa_private_segment_fixed_size 0
		.amdhsa_kernarg_size 184
		.amdhsa_user_sgpr_count 2
		.amdhsa_user_sgpr_dispatch_ptr 0
		.amdhsa_user_sgpr_queue_ptr 0
		.amdhsa_user_sgpr_kernarg_segment_ptr 1
		.amdhsa_user_sgpr_dispatch_id 0
		.amdhsa_user_sgpr_kernarg_preload_length 0
		.amdhsa_user_sgpr_kernarg_preload_offset 0
		.amdhsa_user_sgpr_private_segment_size 0
		.amdhsa_wavefront_size32 1
		.amdhsa_uses_dynamic_stack 0
		.amdhsa_enable_private_segment 0
		.amdhsa_system_sgpr_workgroup_id_x 1
		.amdhsa_system_sgpr_workgroup_id_y 0
		.amdhsa_system_sgpr_workgroup_id_z 0
		.amdhsa_system_sgpr_workgroup_info 0
		.amdhsa_system_vgpr_workitem_id 0
		.amdhsa_next_free_vgpr 1
		.amdhsa_next_free_sgpr 1
		.amdhsa_named_barrier_count 0
		.amdhsa_reserve_vcc 0
		.amdhsa_float_round_mode_32 0
		.amdhsa_float_round_mode_16_64 0
		.amdhsa_float_denorm_mode_32 3
		.amdhsa_float_denorm_mode_16_64 3
		.amdhsa_fp16_overflow 0
		.amdhsa_memory_ordered 1
		.amdhsa_forward_progress 1
		.amdhsa_inst_pref_size 0
		.amdhsa_round_robin_scheduling 0
		.amdhsa_exception_fp_ieee_invalid_op 0
		.amdhsa_exception_fp_denorm_src 0
		.amdhsa_exception_fp_ieee_div_zero 0
		.amdhsa_exception_fp_ieee_overflow 0
		.amdhsa_exception_fp_ieee_underflow 0
		.amdhsa_exception_fp_ieee_inexact 0
		.amdhsa_exception_int_div_zero 0
	.end_amdhsa_kernel
	.section	.text._ZN7rocprim17ROCPRIM_400000_NS6detail17trampoline_kernelINS0_13select_configILj256ELj13ELNS0_17block_load_methodE3ELS4_3ELS4_3ELNS0_20block_scan_algorithmE0ELj4294967295EEENS1_25partition_config_selectorILNS1_17partition_subalgoE4EjNS0_10empty_typeEbEEZZNS1_14partition_implILS8_4ELb0ES6_15HIP_vector_typeIjLj2EENS0_17counting_iteratorIjlEEPS9_SG_NS0_5tupleIJPjSI_NS0_16reverse_iteratorISI_EEEEENSH_IJSG_SG_SG_EEES9_SI_JZNS1_25segmented_radix_sort_implINS0_14default_configELb1EPK12hip_bfloat16PSP_PKlPlN2at6native12_GLOBAL__N_18offset_tEEE10hipError_tPvRmT1_PNSt15iterator_traitsIS13_E10value_typeET2_T3_PNS14_IS19_E10value_typeET4_jRbjT5_S1F_jjP12ihipStream_tbEUljE_ZNSN_ISO_Lb1ESR_SS_SU_SV_SZ_EES10_S11_S12_S13_S17_S18_S19_S1C_S1D_jS1E_jS1F_S1F_jjS1H_bEUljE0_EEES10_S11_S12_S19_S1D_S1F_T6_T7_T9_mT8_S1H_bDpT10_ENKUlT_T0_E_clISt17integral_constantIbLb0EES1U_IbLb1EEEEDaS1Q_S1R_EUlS1Q_E_NS1_11comp_targetILNS1_3genE2ELNS1_11target_archE906ELNS1_3gpuE6ELNS1_3repE0EEENS1_30default_config_static_selectorELNS0_4arch9wavefront6targetE0EEEvS13_,"axG",@progbits,_ZN7rocprim17ROCPRIM_400000_NS6detail17trampoline_kernelINS0_13select_configILj256ELj13ELNS0_17block_load_methodE3ELS4_3ELS4_3ELNS0_20block_scan_algorithmE0ELj4294967295EEENS1_25partition_config_selectorILNS1_17partition_subalgoE4EjNS0_10empty_typeEbEEZZNS1_14partition_implILS8_4ELb0ES6_15HIP_vector_typeIjLj2EENS0_17counting_iteratorIjlEEPS9_SG_NS0_5tupleIJPjSI_NS0_16reverse_iteratorISI_EEEEENSH_IJSG_SG_SG_EEES9_SI_JZNS1_25segmented_radix_sort_implINS0_14default_configELb1EPK12hip_bfloat16PSP_PKlPlN2at6native12_GLOBAL__N_18offset_tEEE10hipError_tPvRmT1_PNSt15iterator_traitsIS13_E10value_typeET2_T3_PNS14_IS19_E10value_typeET4_jRbjT5_S1F_jjP12ihipStream_tbEUljE_ZNSN_ISO_Lb1ESR_SS_SU_SV_SZ_EES10_S11_S12_S13_S17_S18_S19_S1C_S1D_jS1E_jS1F_S1F_jjS1H_bEUljE0_EEES10_S11_S12_S19_S1D_S1F_T6_T7_T9_mT8_S1H_bDpT10_ENKUlT_T0_E_clISt17integral_constantIbLb0EES1U_IbLb1EEEEDaS1Q_S1R_EUlS1Q_E_NS1_11comp_targetILNS1_3genE2ELNS1_11target_archE906ELNS1_3gpuE6ELNS1_3repE0EEENS1_30default_config_static_selectorELNS0_4arch9wavefront6targetE0EEEvS13_,comdat
.Lfunc_end1900:
	.size	_ZN7rocprim17ROCPRIM_400000_NS6detail17trampoline_kernelINS0_13select_configILj256ELj13ELNS0_17block_load_methodE3ELS4_3ELS4_3ELNS0_20block_scan_algorithmE0ELj4294967295EEENS1_25partition_config_selectorILNS1_17partition_subalgoE4EjNS0_10empty_typeEbEEZZNS1_14partition_implILS8_4ELb0ES6_15HIP_vector_typeIjLj2EENS0_17counting_iteratorIjlEEPS9_SG_NS0_5tupleIJPjSI_NS0_16reverse_iteratorISI_EEEEENSH_IJSG_SG_SG_EEES9_SI_JZNS1_25segmented_radix_sort_implINS0_14default_configELb1EPK12hip_bfloat16PSP_PKlPlN2at6native12_GLOBAL__N_18offset_tEEE10hipError_tPvRmT1_PNSt15iterator_traitsIS13_E10value_typeET2_T3_PNS14_IS19_E10value_typeET4_jRbjT5_S1F_jjP12ihipStream_tbEUljE_ZNSN_ISO_Lb1ESR_SS_SU_SV_SZ_EES10_S11_S12_S13_S17_S18_S19_S1C_S1D_jS1E_jS1F_S1F_jjS1H_bEUljE0_EEES10_S11_S12_S19_S1D_S1F_T6_T7_T9_mT8_S1H_bDpT10_ENKUlT_T0_E_clISt17integral_constantIbLb0EES1U_IbLb1EEEEDaS1Q_S1R_EUlS1Q_E_NS1_11comp_targetILNS1_3genE2ELNS1_11target_archE906ELNS1_3gpuE6ELNS1_3repE0EEENS1_30default_config_static_selectorELNS0_4arch9wavefront6targetE0EEEvS13_, .Lfunc_end1900-_ZN7rocprim17ROCPRIM_400000_NS6detail17trampoline_kernelINS0_13select_configILj256ELj13ELNS0_17block_load_methodE3ELS4_3ELS4_3ELNS0_20block_scan_algorithmE0ELj4294967295EEENS1_25partition_config_selectorILNS1_17partition_subalgoE4EjNS0_10empty_typeEbEEZZNS1_14partition_implILS8_4ELb0ES6_15HIP_vector_typeIjLj2EENS0_17counting_iteratorIjlEEPS9_SG_NS0_5tupleIJPjSI_NS0_16reverse_iteratorISI_EEEEENSH_IJSG_SG_SG_EEES9_SI_JZNS1_25segmented_radix_sort_implINS0_14default_configELb1EPK12hip_bfloat16PSP_PKlPlN2at6native12_GLOBAL__N_18offset_tEEE10hipError_tPvRmT1_PNSt15iterator_traitsIS13_E10value_typeET2_T3_PNS14_IS19_E10value_typeET4_jRbjT5_S1F_jjP12ihipStream_tbEUljE_ZNSN_ISO_Lb1ESR_SS_SU_SV_SZ_EES10_S11_S12_S13_S17_S18_S19_S1C_S1D_jS1E_jS1F_S1F_jjS1H_bEUljE0_EEES10_S11_S12_S19_S1D_S1F_T6_T7_T9_mT8_S1H_bDpT10_ENKUlT_T0_E_clISt17integral_constantIbLb0EES1U_IbLb1EEEEDaS1Q_S1R_EUlS1Q_E_NS1_11comp_targetILNS1_3genE2ELNS1_11target_archE906ELNS1_3gpuE6ELNS1_3repE0EEENS1_30default_config_static_selectorELNS0_4arch9wavefront6targetE0EEEvS13_
                                        ; -- End function
	.set _ZN7rocprim17ROCPRIM_400000_NS6detail17trampoline_kernelINS0_13select_configILj256ELj13ELNS0_17block_load_methodE3ELS4_3ELS4_3ELNS0_20block_scan_algorithmE0ELj4294967295EEENS1_25partition_config_selectorILNS1_17partition_subalgoE4EjNS0_10empty_typeEbEEZZNS1_14partition_implILS8_4ELb0ES6_15HIP_vector_typeIjLj2EENS0_17counting_iteratorIjlEEPS9_SG_NS0_5tupleIJPjSI_NS0_16reverse_iteratorISI_EEEEENSH_IJSG_SG_SG_EEES9_SI_JZNS1_25segmented_radix_sort_implINS0_14default_configELb1EPK12hip_bfloat16PSP_PKlPlN2at6native12_GLOBAL__N_18offset_tEEE10hipError_tPvRmT1_PNSt15iterator_traitsIS13_E10value_typeET2_T3_PNS14_IS19_E10value_typeET4_jRbjT5_S1F_jjP12ihipStream_tbEUljE_ZNSN_ISO_Lb1ESR_SS_SU_SV_SZ_EES10_S11_S12_S13_S17_S18_S19_S1C_S1D_jS1E_jS1F_S1F_jjS1H_bEUljE0_EEES10_S11_S12_S19_S1D_S1F_T6_T7_T9_mT8_S1H_bDpT10_ENKUlT_T0_E_clISt17integral_constantIbLb0EES1U_IbLb1EEEEDaS1Q_S1R_EUlS1Q_E_NS1_11comp_targetILNS1_3genE2ELNS1_11target_archE906ELNS1_3gpuE6ELNS1_3repE0EEENS1_30default_config_static_selectorELNS0_4arch9wavefront6targetE0EEEvS13_.num_vgpr, 0
	.set _ZN7rocprim17ROCPRIM_400000_NS6detail17trampoline_kernelINS0_13select_configILj256ELj13ELNS0_17block_load_methodE3ELS4_3ELS4_3ELNS0_20block_scan_algorithmE0ELj4294967295EEENS1_25partition_config_selectorILNS1_17partition_subalgoE4EjNS0_10empty_typeEbEEZZNS1_14partition_implILS8_4ELb0ES6_15HIP_vector_typeIjLj2EENS0_17counting_iteratorIjlEEPS9_SG_NS0_5tupleIJPjSI_NS0_16reverse_iteratorISI_EEEEENSH_IJSG_SG_SG_EEES9_SI_JZNS1_25segmented_radix_sort_implINS0_14default_configELb1EPK12hip_bfloat16PSP_PKlPlN2at6native12_GLOBAL__N_18offset_tEEE10hipError_tPvRmT1_PNSt15iterator_traitsIS13_E10value_typeET2_T3_PNS14_IS19_E10value_typeET4_jRbjT5_S1F_jjP12ihipStream_tbEUljE_ZNSN_ISO_Lb1ESR_SS_SU_SV_SZ_EES10_S11_S12_S13_S17_S18_S19_S1C_S1D_jS1E_jS1F_S1F_jjS1H_bEUljE0_EEES10_S11_S12_S19_S1D_S1F_T6_T7_T9_mT8_S1H_bDpT10_ENKUlT_T0_E_clISt17integral_constantIbLb0EES1U_IbLb1EEEEDaS1Q_S1R_EUlS1Q_E_NS1_11comp_targetILNS1_3genE2ELNS1_11target_archE906ELNS1_3gpuE6ELNS1_3repE0EEENS1_30default_config_static_selectorELNS0_4arch9wavefront6targetE0EEEvS13_.num_agpr, 0
	.set _ZN7rocprim17ROCPRIM_400000_NS6detail17trampoline_kernelINS0_13select_configILj256ELj13ELNS0_17block_load_methodE3ELS4_3ELS4_3ELNS0_20block_scan_algorithmE0ELj4294967295EEENS1_25partition_config_selectorILNS1_17partition_subalgoE4EjNS0_10empty_typeEbEEZZNS1_14partition_implILS8_4ELb0ES6_15HIP_vector_typeIjLj2EENS0_17counting_iteratorIjlEEPS9_SG_NS0_5tupleIJPjSI_NS0_16reverse_iteratorISI_EEEEENSH_IJSG_SG_SG_EEES9_SI_JZNS1_25segmented_radix_sort_implINS0_14default_configELb1EPK12hip_bfloat16PSP_PKlPlN2at6native12_GLOBAL__N_18offset_tEEE10hipError_tPvRmT1_PNSt15iterator_traitsIS13_E10value_typeET2_T3_PNS14_IS19_E10value_typeET4_jRbjT5_S1F_jjP12ihipStream_tbEUljE_ZNSN_ISO_Lb1ESR_SS_SU_SV_SZ_EES10_S11_S12_S13_S17_S18_S19_S1C_S1D_jS1E_jS1F_S1F_jjS1H_bEUljE0_EEES10_S11_S12_S19_S1D_S1F_T6_T7_T9_mT8_S1H_bDpT10_ENKUlT_T0_E_clISt17integral_constantIbLb0EES1U_IbLb1EEEEDaS1Q_S1R_EUlS1Q_E_NS1_11comp_targetILNS1_3genE2ELNS1_11target_archE906ELNS1_3gpuE6ELNS1_3repE0EEENS1_30default_config_static_selectorELNS0_4arch9wavefront6targetE0EEEvS13_.numbered_sgpr, 0
	.set _ZN7rocprim17ROCPRIM_400000_NS6detail17trampoline_kernelINS0_13select_configILj256ELj13ELNS0_17block_load_methodE3ELS4_3ELS4_3ELNS0_20block_scan_algorithmE0ELj4294967295EEENS1_25partition_config_selectorILNS1_17partition_subalgoE4EjNS0_10empty_typeEbEEZZNS1_14partition_implILS8_4ELb0ES6_15HIP_vector_typeIjLj2EENS0_17counting_iteratorIjlEEPS9_SG_NS0_5tupleIJPjSI_NS0_16reverse_iteratorISI_EEEEENSH_IJSG_SG_SG_EEES9_SI_JZNS1_25segmented_radix_sort_implINS0_14default_configELb1EPK12hip_bfloat16PSP_PKlPlN2at6native12_GLOBAL__N_18offset_tEEE10hipError_tPvRmT1_PNSt15iterator_traitsIS13_E10value_typeET2_T3_PNS14_IS19_E10value_typeET4_jRbjT5_S1F_jjP12ihipStream_tbEUljE_ZNSN_ISO_Lb1ESR_SS_SU_SV_SZ_EES10_S11_S12_S13_S17_S18_S19_S1C_S1D_jS1E_jS1F_S1F_jjS1H_bEUljE0_EEES10_S11_S12_S19_S1D_S1F_T6_T7_T9_mT8_S1H_bDpT10_ENKUlT_T0_E_clISt17integral_constantIbLb0EES1U_IbLb1EEEEDaS1Q_S1R_EUlS1Q_E_NS1_11comp_targetILNS1_3genE2ELNS1_11target_archE906ELNS1_3gpuE6ELNS1_3repE0EEENS1_30default_config_static_selectorELNS0_4arch9wavefront6targetE0EEEvS13_.num_named_barrier, 0
	.set _ZN7rocprim17ROCPRIM_400000_NS6detail17trampoline_kernelINS0_13select_configILj256ELj13ELNS0_17block_load_methodE3ELS4_3ELS4_3ELNS0_20block_scan_algorithmE0ELj4294967295EEENS1_25partition_config_selectorILNS1_17partition_subalgoE4EjNS0_10empty_typeEbEEZZNS1_14partition_implILS8_4ELb0ES6_15HIP_vector_typeIjLj2EENS0_17counting_iteratorIjlEEPS9_SG_NS0_5tupleIJPjSI_NS0_16reverse_iteratorISI_EEEEENSH_IJSG_SG_SG_EEES9_SI_JZNS1_25segmented_radix_sort_implINS0_14default_configELb1EPK12hip_bfloat16PSP_PKlPlN2at6native12_GLOBAL__N_18offset_tEEE10hipError_tPvRmT1_PNSt15iterator_traitsIS13_E10value_typeET2_T3_PNS14_IS19_E10value_typeET4_jRbjT5_S1F_jjP12ihipStream_tbEUljE_ZNSN_ISO_Lb1ESR_SS_SU_SV_SZ_EES10_S11_S12_S13_S17_S18_S19_S1C_S1D_jS1E_jS1F_S1F_jjS1H_bEUljE0_EEES10_S11_S12_S19_S1D_S1F_T6_T7_T9_mT8_S1H_bDpT10_ENKUlT_T0_E_clISt17integral_constantIbLb0EES1U_IbLb1EEEEDaS1Q_S1R_EUlS1Q_E_NS1_11comp_targetILNS1_3genE2ELNS1_11target_archE906ELNS1_3gpuE6ELNS1_3repE0EEENS1_30default_config_static_selectorELNS0_4arch9wavefront6targetE0EEEvS13_.private_seg_size, 0
	.set _ZN7rocprim17ROCPRIM_400000_NS6detail17trampoline_kernelINS0_13select_configILj256ELj13ELNS0_17block_load_methodE3ELS4_3ELS4_3ELNS0_20block_scan_algorithmE0ELj4294967295EEENS1_25partition_config_selectorILNS1_17partition_subalgoE4EjNS0_10empty_typeEbEEZZNS1_14partition_implILS8_4ELb0ES6_15HIP_vector_typeIjLj2EENS0_17counting_iteratorIjlEEPS9_SG_NS0_5tupleIJPjSI_NS0_16reverse_iteratorISI_EEEEENSH_IJSG_SG_SG_EEES9_SI_JZNS1_25segmented_radix_sort_implINS0_14default_configELb1EPK12hip_bfloat16PSP_PKlPlN2at6native12_GLOBAL__N_18offset_tEEE10hipError_tPvRmT1_PNSt15iterator_traitsIS13_E10value_typeET2_T3_PNS14_IS19_E10value_typeET4_jRbjT5_S1F_jjP12ihipStream_tbEUljE_ZNSN_ISO_Lb1ESR_SS_SU_SV_SZ_EES10_S11_S12_S13_S17_S18_S19_S1C_S1D_jS1E_jS1F_S1F_jjS1H_bEUljE0_EEES10_S11_S12_S19_S1D_S1F_T6_T7_T9_mT8_S1H_bDpT10_ENKUlT_T0_E_clISt17integral_constantIbLb0EES1U_IbLb1EEEEDaS1Q_S1R_EUlS1Q_E_NS1_11comp_targetILNS1_3genE2ELNS1_11target_archE906ELNS1_3gpuE6ELNS1_3repE0EEENS1_30default_config_static_selectorELNS0_4arch9wavefront6targetE0EEEvS13_.uses_vcc, 0
	.set _ZN7rocprim17ROCPRIM_400000_NS6detail17trampoline_kernelINS0_13select_configILj256ELj13ELNS0_17block_load_methodE3ELS4_3ELS4_3ELNS0_20block_scan_algorithmE0ELj4294967295EEENS1_25partition_config_selectorILNS1_17partition_subalgoE4EjNS0_10empty_typeEbEEZZNS1_14partition_implILS8_4ELb0ES6_15HIP_vector_typeIjLj2EENS0_17counting_iteratorIjlEEPS9_SG_NS0_5tupleIJPjSI_NS0_16reverse_iteratorISI_EEEEENSH_IJSG_SG_SG_EEES9_SI_JZNS1_25segmented_radix_sort_implINS0_14default_configELb1EPK12hip_bfloat16PSP_PKlPlN2at6native12_GLOBAL__N_18offset_tEEE10hipError_tPvRmT1_PNSt15iterator_traitsIS13_E10value_typeET2_T3_PNS14_IS19_E10value_typeET4_jRbjT5_S1F_jjP12ihipStream_tbEUljE_ZNSN_ISO_Lb1ESR_SS_SU_SV_SZ_EES10_S11_S12_S13_S17_S18_S19_S1C_S1D_jS1E_jS1F_S1F_jjS1H_bEUljE0_EEES10_S11_S12_S19_S1D_S1F_T6_T7_T9_mT8_S1H_bDpT10_ENKUlT_T0_E_clISt17integral_constantIbLb0EES1U_IbLb1EEEEDaS1Q_S1R_EUlS1Q_E_NS1_11comp_targetILNS1_3genE2ELNS1_11target_archE906ELNS1_3gpuE6ELNS1_3repE0EEENS1_30default_config_static_selectorELNS0_4arch9wavefront6targetE0EEEvS13_.uses_flat_scratch, 0
	.set _ZN7rocprim17ROCPRIM_400000_NS6detail17trampoline_kernelINS0_13select_configILj256ELj13ELNS0_17block_load_methodE3ELS4_3ELS4_3ELNS0_20block_scan_algorithmE0ELj4294967295EEENS1_25partition_config_selectorILNS1_17partition_subalgoE4EjNS0_10empty_typeEbEEZZNS1_14partition_implILS8_4ELb0ES6_15HIP_vector_typeIjLj2EENS0_17counting_iteratorIjlEEPS9_SG_NS0_5tupleIJPjSI_NS0_16reverse_iteratorISI_EEEEENSH_IJSG_SG_SG_EEES9_SI_JZNS1_25segmented_radix_sort_implINS0_14default_configELb1EPK12hip_bfloat16PSP_PKlPlN2at6native12_GLOBAL__N_18offset_tEEE10hipError_tPvRmT1_PNSt15iterator_traitsIS13_E10value_typeET2_T3_PNS14_IS19_E10value_typeET4_jRbjT5_S1F_jjP12ihipStream_tbEUljE_ZNSN_ISO_Lb1ESR_SS_SU_SV_SZ_EES10_S11_S12_S13_S17_S18_S19_S1C_S1D_jS1E_jS1F_S1F_jjS1H_bEUljE0_EEES10_S11_S12_S19_S1D_S1F_T6_T7_T9_mT8_S1H_bDpT10_ENKUlT_T0_E_clISt17integral_constantIbLb0EES1U_IbLb1EEEEDaS1Q_S1R_EUlS1Q_E_NS1_11comp_targetILNS1_3genE2ELNS1_11target_archE906ELNS1_3gpuE6ELNS1_3repE0EEENS1_30default_config_static_selectorELNS0_4arch9wavefront6targetE0EEEvS13_.has_dyn_sized_stack, 0
	.set _ZN7rocprim17ROCPRIM_400000_NS6detail17trampoline_kernelINS0_13select_configILj256ELj13ELNS0_17block_load_methodE3ELS4_3ELS4_3ELNS0_20block_scan_algorithmE0ELj4294967295EEENS1_25partition_config_selectorILNS1_17partition_subalgoE4EjNS0_10empty_typeEbEEZZNS1_14partition_implILS8_4ELb0ES6_15HIP_vector_typeIjLj2EENS0_17counting_iteratorIjlEEPS9_SG_NS0_5tupleIJPjSI_NS0_16reverse_iteratorISI_EEEEENSH_IJSG_SG_SG_EEES9_SI_JZNS1_25segmented_radix_sort_implINS0_14default_configELb1EPK12hip_bfloat16PSP_PKlPlN2at6native12_GLOBAL__N_18offset_tEEE10hipError_tPvRmT1_PNSt15iterator_traitsIS13_E10value_typeET2_T3_PNS14_IS19_E10value_typeET4_jRbjT5_S1F_jjP12ihipStream_tbEUljE_ZNSN_ISO_Lb1ESR_SS_SU_SV_SZ_EES10_S11_S12_S13_S17_S18_S19_S1C_S1D_jS1E_jS1F_S1F_jjS1H_bEUljE0_EEES10_S11_S12_S19_S1D_S1F_T6_T7_T9_mT8_S1H_bDpT10_ENKUlT_T0_E_clISt17integral_constantIbLb0EES1U_IbLb1EEEEDaS1Q_S1R_EUlS1Q_E_NS1_11comp_targetILNS1_3genE2ELNS1_11target_archE906ELNS1_3gpuE6ELNS1_3repE0EEENS1_30default_config_static_selectorELNS0_4arch9wavefront6targetE0EEEvS13_.has_recursion, 0
	.set _ZN7rocprim17ROCPRIM_400000_NS6detail17trampoline_kernelINS0_13select_configILj256ELj13ELNS0_17block_load_methodE3ELS4_3ELS4_3ELNS0_20block_scan_algorithmE0ELj4294967295EEENS1_25partition_config_selectorILNS1_17partition_subalgoE4EjNS0_10empty_typeEbEEZZNS1_14partition_implILS8_4ELb0ES6_15HIP_vector_typeIjLj2EENS0_17counting_iteratorIjlEEPS9_SG_NS0_5tupleIJPjSI_NS0_16reverse_iteratorISI_EEEEENSH_IJSG_SG_SG_EEES9_SI_JZNS1_25segmented_radix_sort_implINS0_14default_configELb1EPK12hip_bfloat16PSP_PKlPlN2at6native12_GLOBAL__N_18offset_tEEE10hipError_tPvRmT1_PNSt15iterator_traitsIS13_E10value_typeET2_T3_PNS14_IS19_E10value_typeET4_jRbjT5_S1F_jjP12ihipStream_tbEUljE_ZNSN_ISO_Lb1ESR_SS_SU_SV_SZ_EES10_S11_S12_S13_S17_S18_S19_S1C_S1D_jS1E_jS1F_S1F_jjS1H_bEUljE0_EEES10_S11_S12_S19_S1D_S1F_T6_T7_T9_mT8_S1H_bDpT10_ENKUlT_T0_E_clISt17integral_constantIbLb0EES1U_IbLb1EEEEDaS1Q_S1R_EUlS1Q_E_NS1_11comp_targetILNS1_3genE2ELNS1_11target_archE906ELNS1_3gpuE6ELNS1_3repE0EEENS1_30default_config_static_selectorELNS0_4arch9wavefront6targetE0EEEvS13_.has_indirect_call, 0
	.section	.AMDGPU.csdata,"",@progbits
; Kernel info:
; codeLenInByte = 0
; TotalNumSgprs: 0
; NumVgprs: 0
; ScratchSize: 0
; MemoryBound: 0
; FloatMode: 240
; IeeeMode: 1
; LDSByteSize: 0 bytes/workgroup (compile time only)
; SGPRBlocks: 0
; VGPRBlocks: 0
; NumSGPRsForWavesPerEU: 1
; NumVGPRsForWavesPerEU: 1
; NamedBarCnt: 0
; Occupancy: 16
; WaveLimiterHint : 0
; COMPUTE_PGM_RSRC2:SCRATCH_EN: 0
; COMPUTE_PGM_RSRC2:USER_SGPR: 2
; COMPUTE_PGM_RSRC2:TRAP_HANDLER: 0
; COMPUTE_PGM_RSRC2:TGID_X_EN: 1
; COMPUTE_PGM_RSRC2:TGID_Y_EN: 0
; COMPUTE_PGM_RSRC2:TGID_Z_EN: 0
; COMPUTE_PGM_RSRC2:TIDIG_COMP_CNT: 0
	.section	.text._ZN7rocprim17ROCPRIM_400000_NS6detail17trampoline_kernelINS0_13select_configILj256ELj13ELNS0_17block_load_methodE3ELS4_3ELS4_3ELNS0_20block_scan_algorithmE0ELj4294967295EEENS1_25partition_config_selectorILNS1_17partition_subalgoE4EjNS0_10empty_typeEbEEZZNS1_14partition_implILS8_4ELb0ES6_15HIP_vector_typeIjLj2EENS0_17counting_iteratorIjlEEPS9_SG_NS0_5tupleIJPjSI_NS0_16reverse_iteratorISI_EEEEENSH_IJSG_SG_SG_EEES9_SI_JZNS1_25segmented_radix_sort_implINS0_14default_configELb1EPK12hip_bfloat16PSP_PKlPlN2at6native12_GLOBAL__N_18offset_tEEE10hipError_tPvRmT1_PNSt15iterator_traitsIS13_E10value_typeET2_T3_PNS14_IS19_E10value_typeET4_jRbjT5_S1F_jjP12ihipStream_tbEUljE_ZNSN_ISO_Lb1ESR_SS_SU_SV_SZ_EES10_S11_S12_S13_S17_S18_S19_S1C_S1D_jS1E_jS1F_S1F_jjS1H_bEUljE0_EEES10_S11_S12_S19_S1D_S1F_T6_T7_T9_mT8_S1H_bDpT10_ENKUlT_T0_E_clISt17integral_constantIbLb0EES1U_IbLb1EEEEDaS1Q_S1R_EUlS1Q_E_NS1_11comp_targetILNS1_3genE10ELNS1_11target_archE1200ELNS1_3gpuE4ELNS1_3repE0EEENS1_30default_config_static_selectorELNS0_4arch9wavefront6targetE0EEEvS13_,"axG",@progbits,_ZN7rocprim17ROCPRIM_400000_NS6detail17trampoline_kernelINS0_13select_configILj256ELj13ELNS0_17block_load_methodE3ELS4_3ELS4_3ELNS0_20block_scan_algorithmE0ELj4294967295EEENS1_25partition_config_selectorILNS1_17partition_subalgoE4EjNS0_10empty_typeEbEEZZNS1_14partition_implILS8_4ELb0ES6_15HIP_vector_typeIjLj2EENS0_17counting_iteratorIjlEEPS9_SG_NS0_5tupleIJPjSI_NS0_16reverse_iteratorISI_EEEEENSH_IJSG_SG_SG_EEES9_SI_JZNS1_25segmented_radix_sort_implINS0_14default_configELb1EPK12hip_bfloat16PSP_PKlPlN2at6native12_GLOBAL__N_18offset_tEEE10hipError_tPvRmT1_PNSt15iterator_traitsIS13_E10value_typeET2_T3_PNS14_IS19_E10value_typeET4_jRbjT5_S1F_jjP12ihipStream_tbEUljE_ZNSN_ISO_Lb1ESR_SS_SU_SV_SZ_EES10_S11_S12_S13_S17_S18_S19_S1C_S1D_jS1E_jS1F_S1F_jjS1H_bEUljE0_EEES10_S11_S12_S19_S1D_S1F_T6_T7_T9_mT8_S1H_bDpT10_ENKUlT_T0_E_clISt17integral_constantIbLb0EES1U_IbLb1EEEEDaS1Q_S1R_EUlS1Q_E_NS1_11comp_targetILNS1_3genE10ELNS1_11target_archE1200ELNS1_3gpuE4ELNS1_3repE0EEENS1_30default_config_static_selectorELNS0_4arch9wavefront6targetE0EEEvS13_,comdat
	.globl	_ZN7rocprim17ROCPRIM_400000_NS6detail17trampoline_kernelINS0_13select_configILj256ELj13ELNS0_17block_load_methodE3ELS4_3ELS4_3ELNS0_20block_scan_algorithmE0ELj4294967295EEENS1_25partition_config_selectorILNS1_17partition_subalgoE4EjNS0_10empty_typeEbEEZZNS1_14partition_implILS8_4ELb0ES6_15HIP_vector_typeIjLj2EENS0_17counting_iteratorIjlEEPS9_SG_NS0_5tupleIJPjSI_NS0_16reverse_iteratorISI_EEEEENSH_IJSG_SG_SG_EEES9_SI_JZNS1_25segmented_radix_sort_implINS0_14default_configELb1EPK12hip_bfloat16PSP_PKlPlN2at6native12_GLOBAL__N_18offset_tEEE10hipError_tPvRmT1_PNSt15iterator_traitsIS13_E10value_typeET2_T3_PNS14_IS19_E10value_typeET4_jRbjT5_S1F_jjP12ihipStream_tbEUljE_ZNSN_ISO_Lb1ESR_SS_SU_SV_SZ_EES10_S11_S12_S13_S17_S18_S19_S1C_S1D_jS1E_jS1F_S1F_jjS1H_bEUljE0_EEES10_S11_S12_S19_S1D_S1F_T6_T7_T9_mT8_S1H_bDpT10_ENKUlT_T0_E_clISt17integral_constantIbLb0EES1U_IbLb1EEEEDaS1Q_S1R_EUlS1Q_E_NS1_11comp_targetILNS1_3genE10ELNS1_11target_archE1200ELNS1_3gpuE4ELNS1_3repE0EEENS1_30default_config_static_selectorELNS0_4arch9wavefront6targetE0EEEvS13_ ; -- Begin function _ZN7rocprim17ROCPRIM_400000_NS6detail17trampoline_kernelINS0_13select_configILj256ELj13ELNS0_17block_load_methodE3ELS4_3ELS4_3ELNS0_20block_scan_algorithmE0ELj4294967295EEENS1_25partition_config_selectorILNS1_17partition_subalgoE4EjNS0_10empty_typeEbEEZZNS1_14partition_implILS8_4ELb0ES6_15HIP_vector_typeIjLj2EENS0_17counting_iteratorIjlEEPS9_SG_NS0_5tupleIJPjSI_NS0_16reverse_iteratorISI_EEEEENSH_IJSG_SG_SG_EEES9_SI_JZNS1_25segmented_radix_sort_implINS0_14default_configELb1EPK12hip_bfloat16PSP_PKlPlN2at6native12_GLOBAL__N_18offset_tEEE10hipError_tPvRmT1_PNSt15iterator_traitsIS13_E10value_typeET2_T3_PNS14_IS19_E10value_typeET4_jRbjT5_S1F_jjP12ihipStream_tbEUljE_ZNSN_ISO_Lb1ESR_SS_SU_SV_SZ_EES10_S11_S12_S13_S17_S18_S19_S1C_S1D_jS1E_jS1F_S1F_jjS1H_bEUljE0_EEES10_S11_S12_S19_S1D_S1F_T6_T7_T9_mT8_S1H_bDpT10_ENKUlT_T0_E_clISt17integral_constantIbLb0EES1U_IbLb1EEEEDaS1Q_S1R_EUlS1Q_E_NS1_11comp_targetILNS1_3genE10ELNS1_11target_archE1200ELNS1_3gpuE4ELNS1_3repE0EEENS1_30default_config_static_selectorELNS0_4arch9wavefront6targetE0EEEvS13_
	.p2align	8
	.type	_ZN7rocprim17ROCPRIM_400000_NS6detail17trampoline_kernelINS0_13select_configILj256ELj13ELNS0_17block_load_methodE3ELS4_3ELS4_3ELNS0_20block_scan_algorithmE0ELj4294967295EEENS1_25partition_config_selectorILNS1_17partition_subalgoE4EjNS0_10empty_typeEbEEZZNS1_14partition_implILS8_4ELb0ES6_15HIP_vector_typeIjLj2EENS0_17counting_iteratorIjlEEPS9_SG_NS0_5tupleIJPjSI_NS0_16reverse_iteratorISI_EEEEENSH_IJSG_SG_SG_EEES9_SI_JZNS1_25segmented_radix_sort_implINS0_14default_configELb1EPK12hip_bfloat16PSP_PKlPlN2at6native12_GLOBAL__N_18offset_tEEE10hipError_tPvRmT1_PNSt15iterator_traitsIS13_E10value_typeET2_T3_PNS14_IS19_E10value_typeET4_jRbjT5_S1F_jjP12ihipStream_tbEUljE_ZNSN_ISO_Lb1ESR_SS_SU_SV_SZ_EES10_S11_S12_S13_S17_S18_S19_S1C_S1D_jS1E_jS1F_S1F_jjS1H_bEUljE0_EEES10_S11_S12_S19_S1D_S1F_T6_T7_T9_mT8_S1H_bDpT10_ENKUlT_T0_E_clISt17integral_constantIbLb0EES1U_IbLb1EEEEDaS1Q_S1R_EUlS1Q_E_NS1_11comp_targetILNS1_3genE10ELNS1_11target_archE1200ELNS1_3gpuE4ELNS1_3repE0EEENS1_30default_config_static_selectorELNS0_4arch9wavefront6targetE0EEEvS13_,@function
_ZN7rocprim17ROCPRIM_400000_NS6detail17trampoline_kernelINS0_13select_configILj256ELj13ELNS0_17block_load_methodE3ELS4_3ELS4_3ELNS0_20block_scan_algorithmE0ELj4294967295EEENS1_25partition_config_selectorILNS1_17partition_subalgoE4EjNS0_10empty_typeEbEEZZNS1_14partition_implILS8_4ELb0ES6_15HIP_vector_typeIjLj2EENS0_17counting_iteratorIjlEEPS9_SG_NS0_5tupleIJPjSI_NS0_16reverse_iteratorISI_EEEEENSH_IJSG_SG_SG_EEES9_SI_JZNS1_25segmented_radix_sort_implINS0_14default_configELb1EPK12hip_bfloat16PSP_PKlPlN2at6native12_GLOBAL__N_18offset_tEEE10hipError_tPvRmT1_PNSt15iterator_traitsIS13_E10value_typeET2_T3_PNS14_IS19_E10value_typeET4_jRbjT5_S1F_jjP12ihipStream_tbEUljE_ZNSN_ISO_Lb1ESR_SS_SU_SV_SZ_EES10_S11_S12_S13_S17_S18_S19_S1C_S1D_jS1E_jS1F_S1F_jjS1H_bEUljE0_EEES10_S11_S12_S19_S1D_S1F_T6_T7_T9_mT8_S1H_bDpT10_ENKUlT_T0_E_clISt17integral_constantIbLb0EES1U_IbLb1EEEEDaS1Q_S1R_EUlS1Q_E_NS1_11comp_targetILNS1_3genE10ELNS1_11target_archE1200ELNS1_3gpuE4ELNS1_3repE0EEENS1_30default_config_static_selectorELNS0_4arch9wavefront6targetE0EEEvS13_: ; @_ZN7rocprim17ROCPRIM_400000_NS6detail17trampoline_kernelINS0_13select_configILj256ELj13ELNS0_17block_load_methodE3ELS4_3ELS4_3ELNS0_20block_scan_algorithmE0ELj4294967295EEENS1_25partition_config_selectorILNS1_17partition_subalgoE4EjNS0_10empty_typeEbEEZZNS1_14partition_implILS8_4ELb0ES6_15HIP_vector_typeIjLj2EENS0_17counting_iteratorIjlEEPS9_SG_NS0_5tupleIJPjSI_NS0_16reverse_iteratorISI_EEEEENSH_IJSG_SG_SG_EEES9_SI_JZNS1_25segmented_radix_sort_implINS0_14default_configELb1EPK12hip_bfloat16PSP_PKlPlN2at6native12_GLOBAL__N_18offset_tEEE10hipError_tPvRmT1_PNSt15iterator_traitsIS13_E10value_typeET2_T3_PNS14_IS19_E10value_typeET4_jRbjT5_S1F_jjP12ihipStream_tbEUljE_ZNSN_ISO_Lb1ESR_SS_SU_SV_SZ_EES10_S11_S12_S13_S17_S18_S19_S1C_S1D_jS1E_jS1F_S1F_jjS1H_bEUljE0_EEES10_S11_S12_S19_S1D_S1F_T6_T7_T9_mT8_S1H_bDpT10_ENKUlT_T0_E_clISt17integral_constantIbLb0EES1U_IbLb1EEEEDaS1Q_S1R_EUlS1Q_E_NS1_11comp_targetILNS1_3genE10ELNS1_11target_archE1200ELNS1_3gpuE4ELNS1_3repE0EEENS1_30default_config_static_selectorELNS0_4arch9wavefront6targetE0EEEvS13_
; %bb.0:
	.section	.rodata,"a",@progbits
	.p2align	6, 0x0
	.amdhsa_kernel _ZN7rocprim17ROCPRIM_400000_NS6detail17trampoline_kernelINS0_13select_configILj256ELj13ELNS0_17block_load_methodE3ELS4_3ELS4_3ELNS0_20block_scan_algorithmE0ELj4294967295EEENS1_25partition_config_selectorILNS1_17partition_subalgoE4EjNS0_10empty_typeEbEEZZNS1_14partition_implILS8_4ELb0ES6_15HIP_vector_typeIjLj2EENS0_17counting_iteratorIjlEEPS9_SG_NS0_5tupleIJPjSI_NS0_16reverse_iteratorISI_EEEEENSH_IJSG_SG_SG_EEES9_SI_JZNS1_25segmented_radix_sort_implINS0_14default_configELb1EPK12hip_bfloat16PSP_PKlPlN2at6native12_GLOBAL__N_18offset_tEEE10hipError_tPvRmT1_PNSt15iterator_traitsIS13_E10value_typeET2_T3_PNS14_IS19_E10value_typeET4_jRbjT5_S1F_jjP12ihipStream_tbEUljE_ZNSN_ISO_Lb1ESR_SS_SU_SV_SZ_EES10_S11_S12_S13_S17_S18_S19_S1C_S1D_jS1E_jS1F_S1F_jjS1H_bEUljE0_EEES10_S11_S12_S19_S1D_S1F_T6_T7_T9_mT8_S1H_bDpT10_ENKUlT_T0_E_clISt17integral_constantIbLb0EES1U_IbLb1EEEEDaS1Q_S1R_EUlS1Q_E_NS1_11comp_targetILNS1_3genE10ELNS1_11target_archE1200ELNS1_3gpuE4ELNS1_3repE0EEENS1_30default_config_static_selectorELNS0_4arch9wavefront6targetE0EEEvS13_
		.amdhsa_group_segment_fixed_size 0
		.amdhsa_private_segment_fixed_size 0
		.amdhsa_kernarg_size 184
		.amdhsa_user_sgpr_count 2
		.amdhsa_user_sgpr_dispatch_ptr 0
		.amdhsa_user_sgpr_queue_ptr 0
		.amdhsa_user_sgpr_kernarg_segment_ptr 1
		.amdhsa_user_sgpr_dispatch_id 0
		.amdhsa_user_sgpr_kernarg_preload_length 0
		.amdhsa_user_sgpr_kernarg_preload_offset 0
		.amdhsa_user_sgpr_private_segment_size 0
		.amdhsa_wavefront_size32 1
		.amdhsa_uses_dynamic_stack 0
		.amdhsa_enable_private_segment 0
		.amdhsa_system_sgpr_workgroup_id_x 1
		.amdhsa_system_sgpr_workgroup_id_y 0
		.amdhsa_system_sgpr_workgroup_id_z 0
		.amdhsa_system_sgpr_workgroup_info 0
		.amdhsa_system_vgpr_workitem_id 0
		.amdhsa_next_free_vgpr 1
		.amdhsa_next_free_sgpr 1
		.amdhsa_named_barrier_count 0
		.amdhsa_reserve_vcc 0
		.amdhsa_float_round_mode_32 0
		.amdhsa_float_round_mode_16_64 0
		.amdhsa_float_denorm_mode_32 3
		.amdhsa_float_denorm_mode_16_64 3
		.amdhsa_fp16_overflow 0
		.amdhsa_memory_ordered 1
		.amdhsa_forward_progress 1
		.amdhsa_inst_pref_size 0
		.amdhsa_round_robin_scheduling 0
		.amdhsa_exception_fp_ieee_invalid_op 0
		.amdhsa_exception_fp_denorm_src 0
		.amdhsa_exception_fp_ieee_div_zero 0
		.amdhsa_exception_fp_ieee_overflow 0
		.amdhsa_exception_fp_ieee_underflow 0
		.amdhsa_exception_fp_ieee_inexact 0
		.amdhsa_exception_int_div_zero 0
	.end_amdhsa_kernel
	.section	.text._ZN7rocprim17ROCPRIM_400000_NS6detail17trampoline_kernelINS0_13select_configILj256ELj13ELNS0_17block_load_methodE3ELS4_3ELS4_3ELNS0_20block_scan_algorithmE0ELj4294967295EEENS1_25partition_config_selectorILNS1_17partition_subalgoE4EjNS0_10empty_typeEbEEZZNS1_14partition_implILS8_4ELb0ES6_15HIP_vector_typeIjLj2EENS0_17counting_iteratorIjlEEPS9_SG_NS0_5tupleIJPjSI_NS0_16reverse_iteratorISI_EEEEENSH_IJSG_SG_SG_EEES9_SI_JZNS1_25segmented_radix_sort_implINS0_14default_configELb1EPK12hip_bfloat16PSP_PKlPlN2at6native12_GLOBAL__N_18offset_tEEE10hipError_tPvRmT1_PNSt15iterator_traitsIS13_E10value_typeET2_T3_PNS14_IS19_E10value_typeET4_jRbjT5_S1F_jjP12ihipStream_tbEUljE_ZNSN_ISO_Lb1ESR_SS_SU_SV_SZ_EES10_S11_S12_S13_S17_S18_S19_S1C_S1D_jS1E_jS1F_S1F_jjS1H_bEUljE0_EEES10_S11_S12_S19_S1D_S1F_T6_T7_T9_mT8_S1H_bDpT10_ENKUlT_T0_E_clISt17integral_constantIbLb0EES1U_IbLb1EEEEDaS1Q_S1R_EUlS1Q_E_NS1_11comp_targetILNS1_3genE10ELNS1_11target_archE1200ELNS1_3gpuE4ELNS1_3repE0EEENS1_30default_config_static_selectorELNS0_4arch9wavefront6targetE0EEEvS13_,"axG",@progbits,_ZN7rocprim17ROCPRIM_400000_NS6detail17trampoline_kernelINS0_13select_configILj256ELj13ELNS0_17block_load_methodE3ELS4_3ELS4_3ELNS0_20block_scan_algorithmE0ELj4294967295EEENS1_25partition_config_selectorILNS1_17partition_subalgoE4EjNS0_10empty_typeEbEEZZNS1_14partition_implILS8_4ELb0ES6_15HIP_vector_typeIjLj2EENS0_17counting_iteratorIjlEEPS9_SG_NS0_5tupleIJPjSI_NS0_16reverse_iteratorISI_EEEEENSH_IJSG_SG_SG_EEES9_SI_JZNS1_25segmented_radix_sort_implINS0_14default_configELb1EPK12hip_bfloat16PSP_PKlPlN2at6native12_GLOBAL__N_18offset_tEEE10hipError_tPvRmT1_PNSt15iterator_traitsIS13_E10value_typeET2_T3_PNS14_IS19_E10value_typeET4_jRbjT5_S1F_jjP12ihipStream_tbEUljE_ZNSN_ISO_Lb1ESR_SS_SU_SV_SZ_EES10_S11_S12_S13_S17_S18_S19_S1C_S1D_jS1E_jS1F_S1F_jjS1H_bEUljE0_EEES10_S11_S12_S19_S1D_S1F_T6_T7_T9_mT8_S1H_bDpT10_ENKUlT_T0_E_clISt17integral_constantIbLb0EES1U_IbLb1EEEEDaS1Q_S1R_EUlS1Q_E_NS1_11comp_targetILNS1_3genE10ELNS1_11target_archE1200ELNS1_3gpuE4ELNS1_3repE0EEENS1_30default_config_static_selectorELNS0_4arch9wavefront6targetE0EEEvS13_,comdat
.Lfunc_end1901:
	.size	_ZN7rocprim17ROCPRIM_400000_NS6detail17trampoline_kernelINS0_13select_configILj256ELj13ELNS0_17block_load_methodE3ELS4_3ELS4_3ELNS0_20block_scan_algorithmE0ELj4294967295EEENS1_25partition_config_selectorILNS1_17partition_subalgoE4EjNS0_10empty_typeEbEEZZNS1_14partition_implILS8_4ELb0ES6_15HIP_vector_typeIjLj2EENS0_17counting_iteratorIjlEEPS9_SG_NS0_5tupleIJPjSI_NS0_16reverse_iteratorISI_EEEEENSH_IJSG_SG_SG_EEES9_SI_JZNS1_25segmented_radix_sort_implINS0_14default_configELb1EPK12hip_bfloat16PSP_PKlPlN2at6native12_GLOBAL__N_18offset_tEEE10hipError_tPvRmT1_PNSt15iterator_traitsIS13_E10value_typeET2_T3_PNS14_IS19_E10value_typeET4_jRbjT5_S1F_jjP12ihipStream_tbEUljE_ZNSN_ISO_Lb1ESR_SS_SU_SV_SZ_EES10_S11_S12_S13_S17_S18_S19_S1C_S1D_jS1E_jS1F_S1F_jjS1H_bEUljE0_EEES10_S11_S12_S19_S1D_S1F_T6_T7_T9_mT8_S1H_bDpT10_ENKUlT_T0_E_clISt17integral_constantIbLb0EES1U_IbLb1EEEEDaS1Q_S1R_EUlS1Q_E_NS1_11comp_targetILNS1_3genE10ELNS1_11target_archE1200ELNS1_3gpuE4ELNS1_3repE0EEENS1_30default_config_static_selectorELNS0_4arch9wavefront6targetE0EEEvS13_, .Lfunc_end1901-_ZN7rocprim17ROCPRIM_400000_NS6detail17trampoline_kernelINS0_13select_configILj256ELj13ELNS0_17block_load_methodE3ELS4_3ELS4_3ELNS0_20block_scan_algorithmE0ELj4294967295EEENS1_25partition_config_selectorILNS1_17partition_subalgoE4EjNS0_10empty_typeEbEEZZNS1_14partition_implILS8_4ELb0ES6_15HIP_vector_typeIjLj2EENS0_17counting_iteratorIjlEEPS9_SG_NS0_5tupleIJPjSI_NS0_16reverse_iteratorISI_EEEEENSH_IJSG_SG_SG_EEES9_SI_JZNS1_25segmented_radix_sort_implINS0_14default_configELb1EPK12hip_bfloat16PSP_PKlPlN2at6native12_GLOBAL__N_18offset_tEEE10hipError_tPvRmT1_PNSt15iterator_traitsIS13_E10value_typeET2_T3_PNS14_IS19_E10value_typeET4_jRbjT5_S1F_jjP12ihipStream_tbEUljE_ZNSN_ISO_Lb1ESR_SS_SU_SV_SZ_EES10_S11_S12_S13_S17_S18_S19_S1C_S1D_jS1E_jS1F_S1F_jjS1H_bEUljE0_EEES10_S11_S12_S19_S1D_S1F_T6_T7_T9_mT8_S1H_bDpT10_ENKUlT_T0_E_clISt17integral_constantIbLb0EES1U_IbLb1EEEEDaS1Q_S1R_EUlS1Q_E_NS1_11comp_targetILNS1_3genE10ELNS1_11target_archE1200ELNS1_3gpuE4ELNS1_3repE0EEENS1_30default_config_static_selectorELNS0_4arch9wavefront6targetE0EEEvS13_
                                        ; -- End function
	.set _ZN7rocprim17ROCPRIM_400000_NS6detail17trampoline_kernelINS0_13select_configILj256ELj13ELNS0_17block_load_methodE3ELS4_3ELS4_3ELNS0_20block_scan_algorithmE0ELj4294967295EEENS1_25partition_config_selectorILNS1_17partition_subalgoE4EjNS0_10empty_typeEbEEZZNS1_14partition_implILS8_4ELb0ES6_15HIP_vector_typeIjLj2EENS0_17counting_iteratorIjlEEPS9_SG_NS0_5tupleIJPjSI_NS0_16reverse_iteratorISI_EEEEENSH_IJSG_SG_SG_EEES9_SI_JZNS1_25segmented_radix_sort_implINS0_14default_configELb1EPK12hip_bfloat16PSP_PKlPlN2at6native12_GLOBAL__N_18offset_tEEE10hipError_tPvRmT1_PNSt15iterator_traitsIS13_E10value_typeET2_T3_PNS14_IS19_E10value_typeET4_jRbjT5_S1F_jjP12ihipStream_tbEUljE_ZNSN_ISO_Lb1ESR_SS_SU_SV_SZ_EES10_S11_S12_S13_S17_S18_S19_S1C_S1D_jS1E_jS1F_S1F_jjS1H_bEUljE0_EEES10_S11_S12_S19_S1D_S1F_T6_T7_T9_mT8_S1H_bDpT10_ENKUlT_T0_E_clISt17integral_constantIbLb0EES1U_IbLb1EEEEDaS1Q_S1R_EUlS1Q_E_NS1_11comp_targetILNS1_3genE10ELNS1_11target_archE1200ELNS1_3gpuE4ELNS1_3repE0EEENS1_30default_config_static_selectorELNS0_4arch9wavefront6targetE0EEEvS13_.num_vgpr, 0
	.set _ZN7rocprim17ROCPRIM_400000_NS6detail17trampoline_kernelINS0_13select_configILj256ELj13ELNS0_17block_load_methodE3ELS4_3ELS4_3ELNS0_20block_scan_algorithmE0ELj4294967295EEENS1_25partition_config_selectorILNS1_17partition_subalgoE4EjNS0_10empty_typeEbEEZZNS1_14partition_implILS8_4ELb0ES6_15HIP_vector_typeIjLj2EENS0_17counting_iteratorIjlEEPS9_SG_NS0_5tupleIJPjSI_NS0_16reverse_iteratorISI_EEEEENSH_IJSG_SG_SG_EEES9_SI_JZNS1_25segmented_radix_sort_implINS0_14default_configELb1EPK12hip_bfloat16PSP_PKlPlN2at6native12_GLOBAL__N_18offset_tEEE10hipError_tPvRmT1_PNSt15iterator_traitsIS13_E10value_typeET2_T3_PNS14_IS19_E10value_typeET4_jRbjT5_S1F_jjP12ihipStream_tbEUljE_ZNSN_ISO_Lb1ESR_SS_SU_SV_SZ_EES10_S11_S12_S13_S17_S18_S19_S1C_S1D_jS1E_jS1F_S1F_jjS1H_bEUljE0_EEES10_S11_S12_S19_S1D_S1F_T6_T7_T9_mT8_S1H_bDpT10_ENKUlT_T0_E_clISt17integral_constantIbLb0EES1U_IbLb1EEEEDaS1Q_S1R_EUlS1Q_E_NS1_11comp_targetILNS1_3genE10ELNS1_11target_archE1200ELNS1_3gpuE4ELNS1_3repE0EEENS1_30default_config_static_selectorELNS0_4arch9wavefront6targetE0EEEvS13_.num_agpr, 0
	.set _ZN7rocprim17ROCPRIM_400000_NS6detail17trampoline_kernelINS0_13select_configILj256ELj13ELNS0_17block_load_methodE3ELS4_3ELS4_3ELNS0_20block_scan_algorithmE0ELj4294967295EEENS1_25partition_config_selectorILNS1_17partition_subalgoE4EjNS0_10empty_typeEbEEZZNS1_14partition_implILS8_4ELb0ES6_15HIP_vector_typeIjLj2EENS0_17counting_iteratorIjlEEPS9_SG_NS0_5tupleIJPjSI_NS0_16reverse_iteratorISI_EEEEENSH_IJSG_SG_SG_EEES9_SI_JZNS1_25segmented_radix_sort_implINS0_14default_configELb1EPK12hip_bfloat16PSP_PKlPlN2at6native12_GLOBAL__N_18offset_tEEE10hipError_tPvRmT1_PNSt15iterator_traitsIS13_E10value_typeET2_T3_PNS14_IS19_E10value_typeET4_jRbjT5_S1F_jjP12ihipStream_tbEUljE_ZNSN_ISO_Lb1ESR_SS_SU_SV_SZ_EES10_S11_S12_S13_S17_S18_S19_S1C_S1D_jS1E_jS1F_S1F_jjS1H_bEUljE0_EEES10_S11_S12_S19_S1D_S1F_T6_T7_T9_mT8_S1H_bDpT10_ENKUlT_T0_E_clISt17integral_constantIbLb0EES1U_IbLb1EEEEDaS1Q_S1R_EUlS1Q_E_NS1_11comp_targetILNS1_3genE10ELNS1_11target_archE1200ELNS1_3gpuE4ELNS1_3repE0EEENS1_30default_config_static_selectorELNS0_4arch9wavefront6targetE0EEEvS13_.numbered_sgpr, 0
	.set _ZN7rocprim17ROCPRIM_400000_NS6detail17trampoline_kernelINS0_13select_configILj256ELj13ELNS0_17block_load_methodE3ELS4_3ELS4_3ELNS0_20block_scan_algorithmE0ELj4294967295EEENS1_25partition_config_selectorILNS1_17partition_subalgoE4EjNS0_10empty_typeEbEEZZNS1_14partition_implILS8_4ELb0ES6_15HIP_vector_typeIjLj2EENS0_17counting_iteratorIjlEEPS9_SG_NS0_5tupleIJPjSI_NS0_16reverse_iteratorISI_EEEEENSH_IJSG_SG_SG_EEES9_SI_JZNS1_25segmented_radix_sort_implINS0_14default_configELb1EPK12hip_bfloat16PSP_PKlPlN2at6native12_GLOBAL__N_18offset_tEEE10hipError_tPvRmT1_PNSt15iterator_traitsIS13_E10value_typeET2_T3_PNS14_IS19_E10value_typeET4_jRbjT5_S1F_jjP12ihipStream_tbEUljE_ZNSN_ISO_Lb1ESR_SS_SU_SV_SZ_EES10_S11_S12_S13_S17_S18_S19_S1C_S1D_jS1E_jS1F_S1F_jjS1H_bEUljE0_EEES10_S11_S12_S19_S1D_S1F_T6_T7_T9_mT8_S1H_bDpT10_ENKUlT_T0_E_clISt17integral_constantIbLb0EES1U_IbLb1EEEEDaS1Q_S1R_EUlS1Q_E_NS1_11comp_targetILNS1_3genE10ELNS1_11target_archE1200ELNS1_3gpuE4ELNS1_3repE0EEENS1_30default_config_static_selectorELNS0_4arch9wavefront6targetE0EEEvS13_.num_named_barrier, 0
	.set _ZN7rocprim17ROCPRIM_400000_NS6detail17trampoline_kernelINS0_13select_configILj256ELj13ELNS0_17block_load_methodE3ELS4_3ELS4_3ELNS0_20block_scan_algorithmE0ELj4294967295EEENS1_25partition_config_selectorILNS1_17partition_subalgoE4EjNS0_10empty_typeEbEEZZNS1_14partition_implILS8_4ELb0ES6_15HIP_vector_typeIjLj2EENS0_17counting_iteratorIjlEEPS9_SG_NS0_5tupleIJPjSI_NS0_16reverse_iteratorISI_EEEEENSH_IJSG_SG_SG_EEES9_SI_JZNS1_25segmented_radix_sort_implINS0_14default_configELb1EPK12hip_bfloat16PSP_PKlPlN2at6native12_GLOBAL__N_18offset_tEEE10hipError_tPvRmT1_PNSt15iterator_traitsIS13_E10value_typeET2_T3_PNS14_IS19_E10value_typeET4_jRbjT5_S1F_jjP12ihipStream_tbEUljE_ZNSN_ISO_Lb1ESR_SS_SU_SV_SZ_EES10_S11_S12_S13_S17_S18_S19_S1C_S1D_jS1E_jS1F_S1F_jjS1H_bEUljE0_EEES10_S11_S12_S19_S1D_S1F_T6_T7_T9_mT8_S1H_bDpT10_ENKUlT_T0_E_clISt17integral_constantIbLb0EES1U_IbLb1EEEEDaS1Q_S1R_EUlS1Q_E_NS1_11comp_targetILNS1_3genE10ELNS1_11target_archE1200ELNS1_3gpuE4ELNS1_3repE0EEENS1_30default_config_static_selectorELNS0_4arch9wavefront6targetE0EEEvS13_.private_seg_size, 0
	.set _ZN7rocprim17ROCPRIM_400000_NS6detail17trampoline_kernelINS0_13select_configILj256ELj13ELNS0_17block_load_methodE3ELS4_3ELS4_3ELNS0_20block_scan_algorithmE0ELj4294967295EEENS1_25partition_config_selectorILNS1_17partition_subalgoE4EjNS0_10empty_typeEbEEZZNS1_14partition_implILS8_4ELb0ES6_15HIP_vector_typeIjLj2EENS0_17counting_iteratorIjlEEPS9_SG_NS0_5tupleIJPjSI_NS0_16reverse_iteratorISI_EEEEENSH_IJSG_SG_SG_EEES9_SI_JZNS1_25segmented_radix_sort_implINS0_14default_configELb1EPK12hip_bfloat16PSP_PKlPlN2at6native12_GLOBAL__N_18offset_tEEE10hipError_tPvRmT1_PNSt15iterator_traitsIS13_E10value_typeET2_T3_PNS14_IS19_E10value_typeET4_jRbjT5_S1F_jjP12ihipStream_tbEUljE_ZNSN_ISO_Lb1ESR_SS_SU_SV_SZ_EES10_S11_S12_S13_S17_S18_S19_S1C_S1D_jS1E_jS1F_S1F_jjS1H_bEUljE0_EEES10_S11_S12_S19_S1D_S1F_T6_T7_T9_mT8_S1H_bDpT10_ENKUlT_T0_E_clISt17integral_constantIbLb0EES1U_IbLb1EEEEDaS1Q_S1R_EUlS1Q_E_NS1_11comp_targetILNS1_3genE10ELNS1_11target_archE1200ELNS1_3gpuE4ELNS1_3repE0EEENS1_30default_config_static_selectorELNS0_4arch9wavefront6targetE0EEEvS13_.uses_vcc, 0
	.set _ZN7rocprim17ROCPRIM_400000_NS6detail17trampoline_kernelINS0_13select_configILj256ELj13ELNS0_17block_load_methodE3ELS4_3ELS4_3ELNS0_20block_scan_algorithmE0ELj4294967295EEENS1_25partition_config_selectorILNS1_17partition_subalgoE4EjNS0_10empty_typeEbEEZZNS1_14partition_implILS8_4ELb0ES6_15HIP_vector_typeIjLj2EENS0_17counting_iteratorIjlEEPS9_SG_NS0_5tupleIJPjSI_NS0_16reverse_iteratorISI_EEEEENSH_IJSG_SG_SG_EEES9_SI_JZNS1_25segmented_radix_sort_implINS0_14default_configELb1EPK12hip_bfloat16PSP_PKlPlN2at6native12_GLOBAL__N_18offset_tEEE10hipError_tPvRmT1_PNSt15iterator_traitsIS13_E10value_typeET2_T3_PNS14_IS19_E10value_typeET4_jRbjT5_S1F_jjP12ihipStream_tbEUljE_ZNSN_ISO_Lb1ESR_SS_SU_SV_SZ_EES10_S11_S12_S13_S17_S18_S19_S1C_S1D_jS1E_jS1F_S1F_jjS1H_bEUljE0_EEES10_S11_S12_S19_S1D_S1F_T6_T7_T9_mT8_S1H_bDpT10_ENKUlT_T0_E_clISt17integral_constantIbLb0EES1U_IbLb1EEEEDaS1Q_S1R_EUlS1Q_E_NS1_11comp_targetILNS1_3genE10ELNS1_11target_archE1200ELNS1_3gpuE4ELNS1_3repE0EEENS1_30default_config_static_selectorELNS0_4arch9wavefront6targetE0EEEvS13_.uses_flat_scratch, 0
	.set _ZN7rocprim17ROCPRIM_400000_NS6detail17trampoline_kernelINS0_13select_configILj256ELj13ELNS0_17block_load_methodE3ELS4_3ELS4_3ELNS0_20block_scan_algorithmE0ELj4294967295EEENS1_25partition_config_selectorILNS1_17partition_subalgoE4EjNS0_10empty_typeEbEEZZNS1_14partition_implILS8_4ELb0ES6_15HIP_vector_typeIjLj2EENS0_17counting_iteratorIjlEEPS9_SG_NS0_5tupleIJPjSI_NS0_16reverse_iteratorISI_EEEEENSH_IJSG_SG_SG_EEES9_SI_JZNS1_25segmented_radix_sort_implINS0_14default_configELb1EPK12hip_bfloat16PSP_PKlPlN2at6native12_GLOBAL__N_18offset_tEEE10hipError_tPvRmT1_PNSt15iterator_traitsIS13_E10value_typeET2_T3_PNS14_IS19_E10value_typeET4_jRbjT5_S1F_jjP12ihipStream_tbEUljE_ZNSN_ISO_Lb1ESR_SS_SU_SV_SZ_EES10_S11_S12_S13_S17_S18_S19_S1C_S1D_jS1E_jS1F_S1F_jjS1H_bEUljE0_EEES10_S11_S12_S19_S1D_S1F_T6_T7_T9_mT8_S1H_bDpT10_ENKUlT_T0_E_clISt17integral_constantIbLb0EES1U_IbLb1EEEEDaS1Q_S1R_EUlS1Q_E_NS1_11comp_targetILNS1_3genE10ELNS1_11target_archE1200ELNS1_3gpuE4ELNS1_3repE0EEENS1_30default_config_static_selectorELNS0_4arch9wavefront6targetE0EEEvS13_.has_dyn_sized_stack, 0
	.set _ZN7rocprim17ROCPRIM_400000_NS6detail17trampoline_kernelINS0_13select_configILj256ELj13ELNS0_17block_load_methodE3ELS4_3ELS4_3ELNS0_20block_scan_algorithmE0ELj4294967295EEENS1_25partition_config_selectorILNS1_17partition_subalgoE4EjNS0_10empty_typeEbEEZZNS1_14partition_implILS8_4ELb0ES6_15HIP_vector_typeIjLj2EENS0_17counting_iteratorIjlEEPS9_SG_NS0_5tupleIJPjSI_NS0_16reverse_iteratorISI_EEEEENSH_IJSG_SG_SG_EEES9_SI_JZNS1_25segmented_radix_sort_implINS0_14default_configELb1EPK12hip_bfloat16PSP_PKlPlN2at6native12_GLOBAL__N_18offset_tEEE10hipError_tPvRmT1_PNSt15iterator_traitsIS13_E10value_typeET2_T3_PNS14_IS19_E10value_typeET4_jRbjT5_S1F_jjP12ihipStream_tbEUljE_ZNSN_ISO_Lb1ESR_SS_SU_SV_SZ_EES10_S11_S12_S13_S17_S18_S19_S1C_S1D_jS1E_jS1F_S1F_jjS1H_bEUljE0_EEES10_S11_S12_S19_S1D_S1F_T6_T7_T9_mT8_S1H_bDpT10_ENKUlT_T0_E_clISt17integral_constantIbLb0EES1U_IbLb1EEEEDaS1Q_S1R_EUlS1Q_E_NS1_11comp_targetILNS1_3genE10ELNS1_11target_archE1200ELNS1_3gpuE4ELNS1_3repE0EEENS1_30default_config_static_selectorELNS0_4arch9wavefront6targetE0EEEvS13_.has_recursion, 0
	.set _ZN7rocprim17ROCPRIM_400000_NS6detail17trampoline_kernelINS0_13select_configILj256ELj13ELNS0_17block_load_methodE3ELS4_3ELS4_3ELNS0_20block_scan_algorithmE0ELj4294967295EEENS1_25partition_config_selectorILNS1_17partition_subalgoE4EjNS0_10empty_typeEbEEZZNS1_14partition_implILS8_4ELb0ES6_15HIP_vector_typeIjLj2EENS0_17counting_iteratorIjlEEPS9_SG_NS0_5tupleIJPjSI_NS0_16reverse_iteratorISI_EEEEENSH_IJSG_SG_SG_EEES9_SI_JZNS1_25segmented_radix_sort_implINS0_14default_configELb1EPK12hip_bfloat16PSP_PKlPlN2at6native12_GLOBAL__N_18offset_tEEE10hipError_tPvRmT1_PNSt15iterator_traitsIS13_E10value_typeET2_T3_PNS14_IS19_E10value_typeET4_jRbjT5_S1F_jjP12ihipStream_tbEUljE_ZNSN_ISO_Lb1ESR_SS_SU_SV_SZ_EES10_S11_S12_S13_S17_S18_S19_S1C_S1D_jS1E_jS1F_S1F_jjS1H_bEUljE0_EEES10_S11_S12_S19_S1D_S1F_T6_T7_T9_mT8_S1H_bDpT10_ENKUlT_T0_E_clISt17integral_constantIbLb0EES1U_IbLb1EEEEDaS1Q_S1R_EUlS1Q_E_NS1_11comp_targetILNS1_3genE10ELNS1_11target_archE1200ELNS1_3gpuE4ELNS1_3repE0EEENS1_30default_config_static_selectorELNS0_4arch9wavefront6targetE0EEEvS13_.has_indirect_call, 0
	.section	.AMDGPU.csdata,"",@progbits
; Kernel info:
; codeLenInByte = 0
; TotalNumSgprs: 0
; NumVgprs: 0
; ScratchSize: 0
; MemoryBound: 0
; FloatMode: 240
; IeeeMode: 1
; LDSByteSize: 0 bytes/workgroup (compile time only)
; SGPRBlocks: 0
; VGPRBlocks: 0
; NumSGPRsForWavesPerEU: 1
; NumVGPRsForWavesPerEU: 1
; NamedBarCnt: 0
; Occupancy: 16
; WaveLimiterHint : 0
; COMPUTE_PGM_RSRC2:SCRATCH_EN: 0
; COMPUTE_PGM_RSRC2:USER_SGPR: 2
; COMPUTE_PGM_RSRC2:TRAP_HANDLER: 0
; COMPUTE_PGM_RSRC2:TGID_X_EN: 1
; COMPUTE_PGM_RSRC2:TGID_Y_EN: 0
; COMPUTE_PGM_RSRC2:TGID_Z_EN: 0
; COMPUTE_PGM_RSRC2:TIDIG_COMP_CNT: 0
	.section	.text._ZN7rocprim17ROCPRIM_400000_NS6detail17trampoline_kernelINS0_13select_configILj256ELj13ELNS0_17block_load_methodE3ELS4_3ELS4_3ELNS0_20block_scan_algorithmE0ELj4294967295EEENS1_25partition_config_selectorILNS1_17partition_subalgoE4EjNS0_10empty_typeEbEEZZNS1_14partition_implILS8_4ELb0ES6_15HIP_vector_typeIjLj2EENS0_17counting_iteratorIjlEEPS9_SG_NS0_5tupleIJPjSI_NS0_16reverse_iteratorISI_EEEEENSH_IJSG_SG_SG_EEES9_SI_JZNS1_25segmented_radix_sort_implINS0_14default_configELb1EPK12hip_bfloat16PSP_PKlPlN2at6native12_GLOBAL__N_18offset_tEEE10hipError_tPvRmT1_PNSt15iterator_traitsIS13_E10value_typeET2_T3_PNS14_IS19_E10value_typeET4_jRbjT5_S1F_jjP12ihipStream_tbEUljE_ZNSN_ISO_Lb1ESR_SS_SU_SV_SZ_EES10_S11_S12_S13_S17_S18_S19_S1C_S1D_jS1E_jS1F_S1F_jjS1H_bEUljE0_EEES10_S11_S12_S19_S1D_S1F_T6_T7_T9_mT8_S1H_bDpT10_ENKUlT_T0_E_clISt17integral_constantIbLb0EES1U_IbLb1EEEEDaS1Q_S1R_EUlS1Q_E_NS1_11comp_targetILNS1_3genE9ELNS1_11target_archE1100ELNS1_3gpuE3ELNS1_3repE0EEENS1_30default_config_static_selectorELNS0_4arch9wavefront6targetE0EEEvS13_,"axG",@progbits,_ZN7rocprim17ROCPRIM_400000_NS6detail17trampoline_kernelINS0_13select_configILj256ELj13ELNS0_17block_load_methodE3ELS4_3ELS4_3ELNS0_20block_scan_algorithmE0ELj4294967295EEENS1_25partition_config_selectorILNS1_17partition_subalgoE4EjNS0_10empty_typeEbEEZZNS1_14partition_implILS8_4ELb0ES6_15HIP_vector_typeIjLj2EENS0_17counting_iteratorIjlEEPS9_SG_NS0_5tupleIJPjSI_NS0_16reverse_iteratorISI_EEEEENSH_IJSG_SG_SG_EEES9_SI_JZNS1_25segmented_radix_sort_implINS0_14default_configELb1EPK12hip_bfloat16PSP_PKlPlN2at6native12_GLOBAL__N_18offset_tEEE10hipError_tPvRmT1_PNSt15iterator_traitsIS13_E10value_typeET2_T3_PNS14_IS19_E10value_typeET4_jRbjT5_S1F_jjP12ihipStream_tbEUljE_ZNSN_ISO_Lb1ESR_SS_SU_SV_SZ_EES10_S11_S12_S13_S17_S18_S19_S1C_S1D_jS1E_jS1F_S1F_jjS1H_bEUljE0_EEES10_S11_S12_S19_S1D_S1F_T6_T7_T9_mT8_S1H_bDpT10_ENKUlT_T0_E_clISt17integral_constantIbLb0EES1U_IbLb1EEEEDaS1Q_S1R_EUlS1Q_E_NS1_11comp_targetILNS1_3genE9ELNS1_11target_archE1100ELNS1_3gpuE3ELNS1_3repE0EEENS1_30default_config_static_selectorELNS0_4arch9wavefront6targetE0EEEvS13_,comdat
	.globl	_ZN7rocprim17ROCPRIM_400000_NS6detail17trampoline_kernelINS0_13select_configILj256ELj13ELNS0_17block_load_methodE3ELS4_3ELS4_3ELNS0_20block_scan_algorithmE0ELj4294967295EEENS1_25partition_config_selectorILNS1_17partition_subalgoE4EjNS0_10empty_typeEbEEZZNS1_14partition_implILS8_4ELb0ES6_15HIP_vector_typeIjLj2EENS0_17counting_iteratorIjlEEPS9_SG_NS0_5tupleIJPjSI_NS0_16reverse_iteratorISI_EEEEENSH_IJSG_SG_SG_EEES9_SI_JZNS1_25segmented_radix_sort_implINS0_14default_configELb1EPK12hip_bfloat16PSP_PKlPlN2at6native12_GLOBAL__N_18offset_tEEE10hipError_tPvRmT1_PNSt15iterator_traitsIS13_E10value_typeET2_T3_PNS14_IS19_E10value_typeET4_jRbjT5_S1F_jjP12ihipStream_tbEUljE_ZNSN_ISO_Lb1ESR_SS_SU_SV_SZ_EES10_S11_S12_S13_S17_S18_S19_S1C_S1D_jS1E_jS1F_S1F_jjS1H_bEUljE0_EEES10_S11_S12_S19_S1D_S1F_T6_T7_T9_mT8_S1H_bDpT10_ENKUlT_T0_E_clISt17integral_constantIbLb0EES1U_IbLb1EEEEDaS1Q_S1R_EUlS1Q_E_NS1_11comp_targetILNS1_3genE9ELNS1_11target_archE1100ELNS1_3gpuE3ELNS1_3repE0EEENS1_30default_config_static_selectorELNS0_4arch9wavefront6targetE0EEEvS13_ ; -- Begin function _ZN7rocprim17ROCPRIM_400000_NS6detail17trampoline_kernelINS0_13select_configILj256ELj13ELNS0_17block_load_methodE3ELS4_3ELS4_3ELNS0_20block_scan_algorithmE0ELj4294967295EEENS1_25partition_config_selectorILNS1_17partition_subalgoE4EjNS0_10empty_typeEbEEZZNS1_14partition_implILS8_4ELb0ES6_15HIP_vector_typeIjLj2EENS0_17counting_iteratorIjlEEPS9_SG_NS0_5tupleIJPjSI_NS0_16reverse_iteratorISI_EEEEENSH_IJSG_SG_SG_EEES9_SI_JZNS1_25segmented_radix_sort_implINS0_14default_configELb1EPK12hip_bfloat16PSP_PKlPlN2at6native12_GLOBAL__N_18offset_tEEE10hipError_tPvRmT1_PNSt15iterator_traitsIS13_E10value_typeET2_T3_PNS14_IS19_E10value_typeET4_jRbjT5_S1F_jjP12ihipStream_tbEUljE_ZNSN_ISO_Lb1ESR_SS_SU_SV_SZ_EES10_S11_S12_S13_S17_S18_S19_S1C_S1D_jS1E_jS1F_S1F_jjS1H_bEUljE0_EEES10_S11_S12_S19_S1D_S1F_T6_T7_T9_mT8_S1H_bDpT10_ENKUlT_T0_E_clISt17integral_constantIbLb0EES1U_IbLb1EEEEDaS1Q_S1R_EUlS1Q_E_NS1_11comp_targetILNS1_3genE9ELNS1_11target_archE1100ELNS1_3gpuE3ELNS1_3repE0EEENS1_30default_config_static_selectorELNS0_4arch9wavefront6targetE0EEEvS13_
	.p2align	8
	.type	_ZN7rocprim17ROCPRIM_400000_NS6detail17trampoline_kernelINS0_13select_configILj256ELj13ELNS0_17block_load_methodE3ELS4_3ELS4_3ELNS0_20block_scan_algorithmE0ELj4294967295EEENS1_25partition_config_selectorILNS1_17partition_subalgoE4EjNS0_10empty_typeEbEEZZNS1_14partition_implILS8_4ELb0ES6_15HIP_vector_typeIjLj2EENS0_17counting_iteratorIjlEEPS9_SG_NS0_5tupleIJPjSI_NS0_16reverse_iteratorISI_EEEEENSH_IJSG_SG_SG_EEES9_SI_JZNS1_25segmented_radix_sort_implINS0_14default_configELb1EPK12hip_bfloat16PSP_PKlPlN2at6native12_GLOBAL__N_18offset_tEEE10hipError_tPvRmT1_PNSt15iterator_traitsIS13_E10value_typeET2_T3_PNS14_IS19_E10value_typeET4_jRbjT5_S1F_jjP12ihipStream_tbEUljE_ZNSN_ISO_Lb1ESR_SS_SU_SV_SZ_EES10_S11_S12_S13_S17_S18_S19_S1C_S1D_jS1E_jS1F_S1F_jjS1H_bEUljE0_EEES10_S11_S12_S19_S1D_S1F_T6_T7_T9_mT8_S1H_bDpT10_ENKUlT_T0_E_clISt17integral_constantIbLb0EES1U_IbLb1EEEEDaS1Q_S1R_EUlS1Q_E_NS1_11comp_targetILNS1_3genE9ELNS1_11target_archE1100ELNS1_3gpuE3ELNS1_3repE0EEENS1_30default_config_static_selectorELNS0_4arch9wavefront6targetE0EEEvS13_,@function
_ZN7rocprim17ROCPRIM_400000_NS6detail17trampoline_kernelINS0_13select_configILj256ELj13ELNS0_17block_load_methodE3ELS4_3ELS4_3ELNS0_20block_scan_algorithmE0ELj4294967295EEENS1_25partition_config_selectorILNS1_17partition_subalgoE4EjNS0_10empty_typeEbEEZZNS1_14partition_implILS8_4ELb0ES6_15HIP_vector_typeIjLj2EENS0_17counting_iteratorIjlEEPS9_SG_NS0_5tupleIJPjSI_NS0_16reverse_iteratorISI_EEEEENSH_IJSG_SG_SG_EEES9_SI_JZNS1_25segmented_radix_sort_implINS0_14default_configELb1EPK12hip_bfloat16PSP_PKlPlN2at6native12_GLOBAL__N_18offset_tEEE10hipError_tPvRmT1_PNSt15iterator_traitsIS13_E10value_typeET2_T3_PNS14_IS19_E10value_typeET4_jRbjT5_S1F_jjP12ihipStream_tbEUljE_ZNSN_ISO_Lb1ESR_SS_SU_SV_SZ_EES10_S11_S12_S13_S17_S18_S19_S1C_S1D_jS1E_jS1F_S1F_jjS1H_bEUljE0_EEES10_S11_S12_S19_S1D_S1F_T6_T7_T9_mT8_S1H_bDpT10_ENKUlT_T0_E_clISt17integral_constantIbLb0EES1U_IbLb1EEEEDaS1Q_S1R_EUlS1Q_E_NS1_11comp_targetILNS1_3genE9ELNS1_11target_archE1100ELNS1_3gpuE3ELNS1_3repE0EEENS1_30default_config_static_selectorELNS0_4arch9wavefront6targetE0EEEvS13_: ; @_ZN7rocprim17ROCPRIM_400000_NS6detail17trampoline_kernelINS0_13select_configILj256ELj13ELNS0_17block_load_methodE3ELS4_3ELS4_3ELNS0_20block_scan_algorithmE0ELj4294967295EEENS1_25partition_config_selectorILNS1_17partition_subalgoE4EjNS0_10empty_typeEbEEZZNS1_14partition_implILS8_4ELb0ES6_15HIP_vector_typeIjLj2EENS0_17counting_iteratorIjlEEPS9_SG_NS0_5tupleIJPjSI_NS0_16reverse_iteratorISI_EEEEENSH_IJSG_SG_SG_EEES9_SI_JZNS1_25segmented_radix_sort_implINS0_14default_configELb1EPK12hip_bfloat16PSP_PKlPlN2at6native12_GLOBAL__N_18offset_tEEE10hipError_tPvRmT1_PNSt15iterator_traitsIS13_E10value_typeET2_T3_PNS14_IS19_E10value_typeET4_jRbjT5_S1F_jjP12ihipStream_tbEUljE_ZNSN_ISO_Lb1ESR_SS_SU_SV_SZ_EES10_S11_S12_S13_S17_S18_S19_S1C_S1D_jS1E_jS1F_S1F_jjS1H_bEUljE0_EEES10_S11_S12_S19_S1D_S1F_T6_T7_T9_mT8_S1H_bDpT10_ENKUlT_T0_E_clISt17integral_constantIbLb0EES1U_IbLb1EEEEDaS1Q_S1R_EUlS1Q_E_NS1_11comp_targetILNS1_3genE9ELNS1_11target_archE1100ELNS1_3gpuE3ELNS1_3repE0EEENS1_30default_config_static_selectorELNS0_4arch9wavefront6targetE0EEEvS13_
; %bb.0:
	.section	.rodata,"a",@progbits
	.p2align	6, 0x0
	.amdhsa_kernel _ZN7rocprim17ROCPRIM_400000_NS6detail17trampoline_kernelINS0_13select_configILj256ELj13ELNS0_17block_load_methodE3ELS4_3ELS4_3ELNS0_20block_scan_algorithmE0ELj4294967295EEENS1_25partition_config_selectorILNS1_17partition_subalgoE4EjNS0_10empty_typeEbEEZZNS1_14partition_implILS8_4ELb0ES6_15HIP_vector_typeIjLj2EENS0_17counting_iteratorIjlEEPS9_SG_NS0_5tupleIJPjSI_NS0_16reverse_iteratorISI_EEEEENSH_IJSG_SG_SG_EEES9_SI_JZNS1_25segmented_radix_sort_implINS0_14default_configELb1EPK12hip_bfloat16PSP_PKlPlN2at6native12_GLOBAL__N_18offset_tEEE10hipError_tPvRmT1_PNSt15iterator_traitsIS13_E10value_typeET2_T3_PNS14_IS19_E10value_typeET4_jRbjT5_S1F_jjP12ihipStream_tbEUljE_ZNSN_ISO_Lb1ESR_SS_SU_SV_SZ_EES10_S11_S12_S13_S17_S18_S19_S1C_S1D_jS1E_jS1F_S1F_jjS1H_bEUljE0_EEES10_S11_S12_S19_S1D_S1F_T6_T7_T9_mT8_S1H_bDpT10_ENKUlT_T0_E_clISt17integral_constantIbLb0EES1U_IbLb1EEEEDaS1Q_S1R_EUlS1Q_E_NS1_11comp_targetILNS1_3genE9ELNS1_11target_archE1100ELNS1_3gpuE3ELNS1_3repE0EEENS1_30default_config_static_selectorELNS0_4arch9wavefront6targetE0EEEvS13_
		.amdhsa_group_segment_fixed_size 0
		.amdhsa_private_segment_fixed_size 0
		.amdhsa_kernarg_size 184
		.amdhsa_user_sgpr_count 2
		.amdhsa_user_sgpr_dispatch_ptr 0
		.amdhsa_user_sgpr_queue_ptr 0
		.amdhsa_user_sgpr_kernarg_segment_ptr 1
		.amdhsa_user_sgpr_dispatch_id 0
		.amdhsa_user_sgpr_kernarg_preload_length 0
		.amdhsa_user_sgpr_kernarg_preload_offset 0
		.amdhsa_user_sgpr_private_segment_size 0
		.amdhsa_wavefront_size32 1
		.amdhsa_uses_dynamic_stack 0
		.amdhsa_enable_private_segment 0
		.amdhsa_system_sgpr_workgroup_id_x 1
		.amdhsa_system_sgpr_workgroup_id_y 0
		.amdhsa_system_sgpr_workgroup_id_z 0
		.amdhsa_system_sgpr_workgroup_info 0
		.amdhsa_system_vgpr_workitem_id 0
		.amdhsa_next_free_vgpr 1
		.amdhsa_next_free_sgpr 1
		.amdhsa_named_barrier_count 0
		.amdhsa_reserve_vcc 0
		.amdhsa_float_round_mode_32 0
		.amdhsa_float_round_mode_16_64 0
		.amdhsa_float_denorm_mode_32 3
		.amdhsa_float_denorm_mode_16_64 3
		.amdhsa_fp16_overflow 0
		.amdhsa_memory_ordered 1
		.amdhsa_forward_progress 1
		.amdhsa_inst_pref_size 0
		.amdhsa_round_robin_scheduling 0
		.amdhsa_exception_fp_ieee_invalid_op 0
		.amdhsa_exception_fp_denorm_src 0
		.amdhsa_exception_fp_ieee_div_zero 0
		.amdhsa_exception_fp_ieee_overflow 0
		.amdhsa_exception_fp_ieee_underflow 0
		.amdhsa_exception_fp_ieee_inexact 0
		.amdhsa_exception_int_div_zero 0
	.end_amdhsa_kernel
	.section	.text._ZN7rocprim17ROCPRIM_400000_NS6detail17trampoline_kernelINS0_13select_configILj256ELj13ELNS0_17block_load_methodE3ELS4_3ELS4_3ELNS0_20block_scan_algorithmE0ELj4294967295EEENS1_25partition_config_selectorILNS1_17partition_subalgoE4EjNS0_10empty_typeEbEEZZNS1_14partition_implILS8_4ELb0ES6_15HIP_vector_typeIjLj2EENS0_17counting_iteratorIjlEEPS9_SG_NS0_5tupleIJPjSI_NS0_16reverse_iteratorISI_EEEEENSH_IJSG_SG_SG_EEES9_SI_JZNS1_25segmented_radix_sort_implINS0_14default_configELb1EPK12hip_bfloat16PSP_PKlPlN2at6native12_GLOBAL__N_18offset_tEEE10hipError_tPvRmT1_PNSt15iterator_traitsIS13_E10value_typeET2_T3_PNS14_IS19_E10value_typeET4_jRbjT5_S1F_jjP12ihipStream_tbEUljE_ZNSN_ISO_Lb1ESR_SS_SU_SV_SZ_EES10_S11_S12_S13_S17_S18_S19_S1C_S1D_jS1E_jS1F_S1F_jjS1H_bEUljE0_EEES10_S11_S12_S19_S1D_S1F_T6_T7_T9_mT8_S1H_bDpT10_ENKUlT_T0_E_clISt17integral_constantIbLb0EES1U_IbLb1EEEEDaS1Q_S1R_EUlS1Q_E_NS1_11comp_targetILNS1_3genE9ELNS1_11target_archE1100ELNS1_3gpuE3ELNS1_3repE0EEENS1_30default_config_static_selectorELNS0_4arch9wavefront6targetE0EEEvS13_,"axG",@progbits,_ZN7rocprim17ROCPRIM_400000_NS6detail17trampoline_kernelINS0_13select_configILj256ELj13ELNS0_17block_load_methodE3ELS4_3ELS4_3ELNS0_20block_scan_algorithmE0ELj4294967295EEENS1_25partition_config_selectorILNS1_17partition_subalgoE4EjNS0_10empty_typeEbEEZZNS1_14partition_implILS8_4ELb0ES6_15HIP_vector_typeIjLj2EENS0_17counting_iteratorIjlEEPS9_SG_NS0_5tupleIJPjSI_NS0_16reverse_iteratorISI_EEEEENSH_IJSG_SG_SG_EEES9_SI_JZNS1_25segmented_radix_sort_implINS0_14default_configELb1EPK12hip_bfloat16PSP_PKlPlN2at6native12_GLOBAL__N_18offset_tEEE10hipError_tPvRmT1_PNSt15iterator_traitsIS13_E10value_typeET2_T3_PNS14_IS19_E10value_typeET4_jRbjT5_S1F_jjP12ihipStream_tbEUljE_ZNSN_ISO_Lb1ESR_SS_SU_SV_SZ_EES10_S11_S12_S13_S17_S18_S19_S1C_S1D_jS1E_jS1F_S1F_jjS1H_bEUljE0_EEES10_S11_S12_S19_S1D_S1F_T6_T7_T9_mT8_S1H_bDpT10_ENKUlT_T0_E_clISt17integral_constantIbLb0EES1U_IbLb1EEEEDaS1Q_S1R_EUlS1Q_E_NS1_11comp_targetILNS1_3genE9ELNS1_11target_archE1100ELNS1_3gpuE3ELNS1_3repE0EEENS1_30default_config_static_selectorELNS0_4arch9wavefront6targetE0EEEvS13_,comdat
.Lfunc_end1902:
	.size	_ZN7rocprim17ROCPRIM_400000_NS6detail17trampoline_kernelINS0_13select_configILj256ELj13ELNS0_17block_load_methodE3ELS4_3ELS4_3ELNS0_20block_scan_algorithmE0ELj4294967295EEENS1_25partition_config_selectorILNS1_17partition_subalgoE4EjNS0_10empty_typeEbEEZZNS1_14partition_implILS8_4ELb0ES6_15HIP_vector_typeIjLj2EENS0_17counting_iteratorIjlEEPS9_SG_NS0_5tupleIJPjSI_NS0_16reverse_iteratorISI_EEEEENSH_IJSG_SG_SG_EEES9_SI_JZNS1_25segmented_radix_sort_implINS0_14default_configELb1EPK12hip_bfloat16PSP_PKlPlN2at6native12_GLOBAL__N_18offset_tEEE10hipError_tPvRmT1_PNSt15iterator_traitsIS13_E10value_typeET2_T3_PNS14_IS19_E10value_typeET4_jRbjT5_S1F_jjP12ihipStream_tbEUljE_ZNSN_ISO_Lb1ESR_SS_SU_SV_SZ_EES10_S11_S12_S13_S17_S18_S19_S1C_S1D_jS1E_jS1F_S1F_jjS1H_bEUljE0_EEES10_S11_S12_S19_S1D_S1F_T6_T7_T9_mT8_S1H_bDpT10_ENKUlT_T0_E_clISt17integral_constantIbLb0EES1U_IbLb1EEEEDaS1Q_S1R_EUlS1Q_E_NS1_11comp_targetILNS1_3genE9ELNS1_11target_archE1100ELNS1_3gpuE3ELNS1_3repE0EEENS1_30default_config_static_selectorELNS0_4arch9wavefront6targetE0EEEvS13_, .Lfunc_end1902-_ZN7rocprim17ROCPRIM_400000_NS6detail17trampoline_kernelINS0_13select_configILj256ELj13ELNS0_17block_load_methodE3ELS4_3ELS4_3ELNS0_20block_scan_algorithmE0ELj4294967295EEENS1_25partition_config_selectorILNS1_17partition_subalgoE4EjNS0_10empty_typeEbEEZZNS1_14partition_implILS8_4ELb0ES6_15HIP_vector_typeIjLj2EENS0_17counting_iteratorIjlEEPS9_SG_NS0_5tupleIJPjSI_NS0_16reverse_iteratorISI_EEEEENSH_IJSG_SG_SG_EEES9_SI_JZNS1_25segmented_radix_sort_implINS0_14default_configELb1EPK12hip_bfloat16PSP_PKlPlN2at6native12_GLOBAL__N_18offset_tEEE10hipError_tPvRmT1_PNSt15iterator_traitsIS13_E10value_typeET2_T3_PNS14_IS19_E10value_typeET4_jRbjT5_S1F_jjP12ihipStream_tbEUljE_ZNSN_ISO_Lb1ESR_SS_SU_SV_SZ_EES10_S11_S12_S13_S17_S18_S19_S1C_S1D_jS1E_jS1F_S1F_jjS1H_bEUljE0_EEES10_S11_S12_S19_S1D_S1F_T6_T7_T9_mT8_S1H_bDpT10_ENKUlT_T0_E_clISt17integral_constantIbLb0EES1U_IbLb1EEEEDaS1Q_S1R_EUlS1Q_E_NS1_11comp_targetILNS1_3genE9ELNS1_11target_archE1100ELNS1_3gpuE3ELNS1_3repE0EEENS1_30default_config_static_selectorELNS0_4arch9wavefront6targetE0EEEvS13_
                                        ; -- End function
	.set _ZN7rocprim17ROCPRIM_400000_NS6detail17trampoline_kernelINS0_13select_configILj256ELj13ELNS0_17block_load_methodE3ELS4_3ELS4_3ELNS0_20block_scan_algorithmE0ELj4294967295EEENS1_25partition_config_selectorILNS1_17partition_subalgoE4EjNS0_10empty_typeEbEEZZNS1_14partition_implILS8_4ELb0ES6_15HIP_vector_typeIjLj2EENS0_17counting_iteratorIjlEEPS9_SG_NS0_5tupleIJPjSI_NS0_16reverse_iteratorISI_EEEEENSH_IJSG_SG_SG_EEES9_SI_JZNS1_25segmented_radix_sort_implINS0_14default_configELb1EPK12hip_bfloat16PSP_PKlPlN2at6native12_GLOBAL__N_18offset_tEEE10hipError_tPvRmT1_PNSt15iterator_traitsIS13_E10value_typeET2_T3_PNS14_IS19_E10value_typeET4_jRbjT5_S1F_jjP12ihipStream_tbEUljE_ZNSN_ISO_Lb1ESR_SS_SU_SV_SZ_EES10_S11_S12_S13_S17_S18_S19_S1C_S1D_jS1E_jS1F_S1F_jjS1H_bEUljE0_EEES10_S11_S12_S19_S1D_S1F_T6_T7_T9_mT8_S1H_bDpT10_ENKUlT_T0_E_clISt17integral_constantIbLb0EES1U_IbLb1EEEEDaS1Q_S1R_EUlS1Q_E_NS1_11comp_targetILNS1_3genE9ELNS1_11target_archE1100ELNS1_3gpuE3ELNS1_3repE0EEENS1_30default_config_static_selectorELNS0_4arch9wavefront6targetE0EEEvS13_.num_vgpr, 0
	.set _ZN7rocprim17ROCPRIM_400000_NS6detail17trampoline_kernelINS0_13select_configILj256ELj13ELNS0_17block_load_methodE3ELS4_3ELS4_3ELNS0_20block_scan_algorithmE0ELj4294967295EEENS1_25partition_config_selectorILNS1_17partition_subalgoE4EjNS0_10empty_typeEbEEZZNS1_14partition_implILS8_4ELb0ES6_15HIP_vector_typeIjLj2EENS0_17counting_iteratorIjlEEPS9_SG_NS0_5tupleIJPjSI_NS0_16reverse_iteratorISI_EEEEENSH_IJSG_SG_SG_EEES9_SI_JZNS1_25segmented_radix_sort_implINS0_14default_configELb1EPK12hip_bfloat16PSP_PKlPlN2at6native12_GLOBAL__N_18offset_tEEE10hipError_tPvRmT1_PNSt15iterator_traitsIS13_E10value_typeET2_T3_PNS14_IS19_E10value_typeET4_jRbjT5_S1F_jjP12ihipStream_tbEUljE_ZNSN_ISO_Lb1ESR_SS_SU_SV_SZ_EES10_S11_S12_S13_S17_S18_S19_S1C_S1D_jS1E_jS1F_S1F_jjS1H_bEUljE0_EEES10_S11_S12_S19_S1D_S1F_T6_T7_T9_mT8_S1H_bDpT10_ENKUlT_T0_E_clISt17integral_constantIbLb0EES1U_IbLb1EEEEDaS1Q_S1R_EUlS1Q_E_NS1_11comp_targetILNS1_3genE9ELNS1_11target_archE1100ELNS1_3gpuE3ELNS1_3repE0EEENS1_30default_config_static_selectorELNS0_4arch9wavefront6targetE0EEEvS13_.num_agpr, 0
	.set _ZN7rocprim17ROCPRIM_400000_NS6detail17trampoline_kernelINS0_13select_configILj256ELj13ELNS0_17block_load_methodE3ELS4_3ELS4_3ELNS0_20block_scan_algorithmE0ELj4294967295EEENS1_25partition_config_selectorILNS1_17partition_subalgoE4EjNS0_10empty_typeEbEEZZNS1_14partition_implILS8_4ELb0ES6_15HIP_vector_typeIjLj2EENS0_17counting_iteratorIjlEEPS9_SG_NS0_5tupleIJPjSI_NS0_16reverse_iteratorISI_EEEEENSH_IJSG_SG_SG_EEES9_SI_JZNS1_25segmented_radix_sort_implINS0_14default_configELb1EPK12hip_bfloat16PSP_PKlPlN2at6native12_GLOBAL__N_18offset_tEEE10hipError_tPvRmT1_PNSt15iterator_traitsIS13_E10value_typeET2_T3_PNS14_IS19_E10value_typeET4_jRbjT5_S1F_jjP12ihipStream_tbEUljE_ZNSN_ISO_Lb1ESR_SS_SU_SV_SZ_EES10_S11_S12_S13_S17_S18_S19_S1C_S1D_jS1E_jS1F_S1F_jjS1H_bEUljE0_EEES10_S11_S12_S19_S1D_S1F_T6_T7_T9_mT8_S1H_bDpT10_ENKUlT_T0_E_clISt17integral_constantIbLb0EES1U_IbLb1EEEEDaS1Q_S1R_EUlS1Q_E_NS1_11comp_targetILNS1_3genE9ELNS1_11target_archE1100ELNS1_3gpuE3ELNS1_3repE0EEENS1_30default_config_static_selectorELNS0_4arch9wavefront6targetE0EEEvS13_.numbered_sgpr, 0
	.set _ZN7rocprim17ROCPRIM_400000_NS6detail17trampoline_kernelINS0_13select_configILj256ELj13ELNS0_17block_load_methodE3ELS4_3ELS4_3ELNS0_20block_scan_algorithmE0ELj4294967295EEENS1_25partition_config_selectorILNS1_17partition_subalgoE4EjNS0_10empty_typeEbEEZZNS1_14partition_implILS8_4ELb0ES6_15HIP_vector_typeIjLj2EENS0_17counting_iteratorIjlEEPS9_SG_NS0_5tupleIJPjSI_NS0_16reverse_iteratorISI_EEEEENSH_IJSG_SG_SG_EEES9_SI_JZNS1_25segmented_radix_sort_implINS0_14default_configELb1EPK12hip_bfloat16PSP_PKlPlN2at6native12_GLOBAL__N_18offset_tEEE10hipError_tPvRmT1_PNSt15iterator_traitsIS13_E10value_typeET2_T3_PNS14_IS19_E10value_typeET4_jRbjT5_S1F_jjP12ihipStream_tbEUljE_ZNSN_ISO_Lb1ESR_SS_SU_SV_SZ_EES10_S11_S12_S13_S17_S18_S19_S1C_S1D_jS1E_jS1F_S1F_jjS1H_bEUljE0_EEES10_S11_S12_S19_S1D_S1F_T6_T7_T9_mT8_S1H_bDpT10_ENKUlT_T0_E_clISt17integral_constantIbLb0EES1U_IbLb1EEEEDaS1Q_S1R_EUlS1Q_E_NS1_11comp_targetILNS1_3genE9ELNS1_11target_archE1100ELNS1_3gpuE3ELNS1_3repE0EEENS1_30default_config_static_selectorELNS0_4arch9wavefront6targetE0EEEvS13_.num_named_barrier, 0
	.set _ZN7rocprim17ROCPRIM_400000_NS6detail17trampoline_kernelINS0_13select_configILj256ELj13ELNS0_17block_load_methodE3ELS4_3ELS4_3ELNS0_20block_scan_algorithmE0ELj4294967295EEENS1_25partition_config_selectorILNS1_17partition_subalgoE4EjNS0_10empty_typeEbEEZZNS1_14partition_implILS8_4ELb0ES6_15HIP_vector_typeIjLj2EENS0_17counting_iteratorIjlEEPS9_SG_NS0_5tupleIJPjSI_NS0_16reverse_iteratorISI_EEEEENSH_IJSG_SG_SG_EEES9_SI_JZNS1_25segmented_radix_sort_implINS0_14default_configELb1EPK12hip_bfloat16PSP_PKlPlN2at6native12_GLOBAL__N_18offset_tEEE10hipError_tPvRmT1_PNSt15iterator_traitsIS13_E10value_typeET2_T3_PNS14_IS19_E10value_typeET4_jRbjT5_S1F_jjP12ihipStream_tbEUljE_ZNSN_ISO_Lb1ESR_SS_SU_SV_SZ_EES10_S11_S12_S13_S17_S18_S19_S1C_S1D_jS1E_jS1F_S1F_jjS1H_bEUljE0_EEES10_S11_S12_S19_S1D_S1F_T6_T7_T9_mT8_S1H_bDpT10_ENKUlT_T0_E_clISt17integral_constantIbLb0EES1U_IbLb1EEEEDaS1Q_S1R_EUlS1Q_E_NS1_11comp_targetILNS1_3genE9ELNS1_11target_archE1100ELNS1_3gpuE3ELNS1_3repE0EEENS1_30default_config_static_selectorELNS0_4arch9wavefront6targetE0EEEvS13_.private_seg_size, 0
	.set _ZN7rocprim17ROCPRIM_400000_NS6detail17trampoline_kernelINS0_13select_configILj256ELj13ELNS0_17block_load_methodE3ELS4_3ELS4_3ELNS0_20block_scan_algorithmE0ELj4294967295EEENS1_25partition_config_selectorILNS1_17partition_subalgoE4EjNS0_10empty_typeEbEEZZNS1_14partition_implILS8_4ELb0ES6_15HIP_vector_typeIjLj2EENS0_17counting_iteratorIjlEEPS9_SG_NS0_5tupleIJPjSI_NS0_16reverse_iteratorISI_EEEEENSH_IJSG_SG_SG_EEES9_SI_JZNS1_25segmented_radix_sort_implINS0_14default_configELb1EPK12hip_bfloat16PSP_PKlPlN2at6native12_GLOBAL__N_18offset_tEEE10hipError_tPvRmT1_PNSt15iterator_traitsIS13_E10value_typeET2_T3_PNS14_IS19_E10value_typeET4_jRbjT5_S1F_jjP12ihipStream_tbEUljE_ZNSN_ISO_Lb1ESR_SS_SU_SV_SZ_EES10_S11_S12_S13_S17_S18_S19_S1C_S1D_jS1E_jS1F_S1F_jjS1H_bEUljE0_EEES10_S11_S12_S19_S1D_S1F_T6_T7_T9_mT8_S1H_bDpT10_ENKUlT_T0_E_clISt17integral_constantIbLb0EES1U_IbLb1EEEEDaS1Q_S1R_EUlS1Q_E_NS1_11comp_targetILNS1_3genE9ELNS1_11target_archE1100ELNS1_3gpuE3ELNS1_3repE0EEENS1_30default_config_static_selectorELNS0_4arch9wavefront6targetE0EEEvS13_.uses_vcc, 0
	.set _ZN7rocprim17ROCPRIM_400000_NS6detail17trampoline_kernelINS0_13select_configILj256ELj13ELNS0_17block_load_methodE3ELS4_3ELS4_3ELNS0_20block_scan_algorithmE0ELj4294967295EEENS1_25partition_config_selectorILNS1_17partition_subalgoE4EjNS0_10empty_typeEbEEZZNS1_14partition_implILS8_4ELb0ES6_15HIP_vector_typeIjLj2EENS0_17counting_iteratorIjlEEPS9_SG_NS0_5tupleIJPjSI_NS0_16reverse_iteratorISI_EEEEENSH_IJSG_SG_SG_EEES9_SI_JZNS1_25segmented_radix_sort_implINS0_14default_configELb1EPK12hip_bfloat16PSP_PKlPlN2at6native12_GLOBAL__N_18offset_tEEE10hipError_tPvRmT1_PNSt15iterator_traitsIS13_E10value_typeET2_T3_PNS14_IS19_E10value_typeET4_jRbjT5_S1F_jjP12ihipStream_tbEUljE_ZNSN_ISO_Lb1ESR_SS_SU_SV_SZ_EES10_S11_S12_S13_S17_S18_S19_S1C_S1D_jS1E_jS1F_S1F_jjS1H_bEUljE0_EEES10_S11_S12_S19_S1D_S1F_T6_T7_T9_mT8_S1H_bDpT10_ENKUlT_T0_E_clISt17integral_constantIbLb0EES1U_IbLb1EEEEDaS1Q_S1R_EUlS1Q_E_NS1_11comp_targetILNS1_3genE9ELNS1_11target_archE1100ELNS1_3gpuE3ELNS1_3repE0EEENS1_30default_config_static_selectorELNS0_4arch9wavefront6targetE0EEEvS13_.uses_flat_scratch, 0
	.set _ZN7rocprim17ROCPRIM_400000_NS6detail17trampoline_kernelINS0_13select_configILj256ELj13ELNS0_17block_load_methodE3ELS4_3ELS4_3ELNS0_20block_scan_algorithmE0ELj4294967295EEENS1_25partition_config_selectorILNS1_17partition_subalgoE4EjNS0_10empty_typeEbEEZZNS1_14partition_implILS8_4ELb0ES6_15HIP_vector_typeIjLj2EENS0_17counting_iteratorIjlEEPS9_SG_NS0_5tupleIJPjSI_NS0_16reverse_iteratorISI_EEEEENSH_IJSG_SG_SG_EEES9_SI_JZNS1_25segmented_radix_sort_implINS0_14default_configELb1EPK12hip_bfloat16PSP_PKlPlN2at6native12_GLOBAL__N_18offset_tEEE10hipError_tPvRmT1_PNSt15iterator_traitsIS13_E10value_typeET2_T3_PNS14_IS19_E10value_typeET4_jRbjT5_S1F_jjP12ihipStream_tbEUljE_ZNSN_ISO_Lb1ESR_SS_SU_SV_SZ_EES10_S11_S12_S13_S17_S18_S19_S1C_S1D_jS1E_jS1F_S1F_jjS1H_bEUljE0_EEES10_S11_S12_S19_S1D_S1F_T6_T7_T9_mT8_S1H_bDpT10_ENKUlT_T0_E_clISt17integral_constantIbLb0EES1U_IbLb1EEEEDaS1Q_S1R_EUlS1Q_E_NS1_11comp_targetILNS1_3genE9ELNS1_11target_archE1100ELNS1_3gpuE3ELNS1_3repE0EEENS1_30default_config_static_selectorELNS0_4arch9wavefront6targetE0EEEvS13_.has_dyn_sized_stack, 0
	.set _ZN7rocprim17ROCPRIM_400000_NS6detail17trampoline_kernelINS0_13select_configILj256ELj13ELNS0_17block_load_methodE3ELS4_3ELS4_3ELNS0_20block_scan_algorithmE0ELj4294967295EEENS1_25partition_config_selectorILNS1_17partition_subalgoE4EjNS0_10empty_typeEbEEZZNS1_14partition_implILS8_4ELb0ES6_15HIP_vector_typeIjLj2EENS0_17counting_iteratorIjlEEPS9_SG_NS0_5tupleIJPjSI_NS0_16reverse_iteratorISI_EEEEENSH_IJSG_SG_SG_EEES9_SI_JZNS1_25segmented_radix_sort_implINS0_14default_configELb1EPK12hip_bfloat16PSP_PKlPlN2at6native12_GLOBAL__N_18offset_tEEE10hipError_tPvRmT1_PNSt15iterator_traitsIS13_E10value_typeET2_T3_PNS14_IS19_E10value_typeET4_jRbjT5_S1F_jjP12ihipStream_tbEUljE_ZNSN_ISO_Lb1ESR_SS_SU_SV_SZ_EES10_S11_S12_S13_S17_S18_S19_S1C_S1D_jS1E_jS1F_S1F_jjS1H_bEUljE0_EEES10_S11_S12_S19_S1D_S1F_T6_T7_T9_mT8_S1H_bDpT10_ENKUlT_T0_E_clISt17integral_constantIbLb0EES1U_IbLb1EEEEDaS1Q_S1R_EUlS1Q_E_NS1_11comp_targetILNS1_3genE9ELNS1_11target_archE1100ELNS1_3gpuE3ELNS1_3repE0EEENS1_30default_config_static_selectorELNS0_4arch9wavefront6targetE0EEEvS13_.has_recursion, 0
	.set _ZN7rocprim17ROCPRIM_400000_NS6detail17trampoline_kernelINS0_13select_configILj256ELj13ELNS0_17block_load_methodE3ELS4_3ELS4_3ELNS0_20block_scan_algorithmE0ELj4294967295EEENS1_25partition_config_selectorILNS1_17partition_subalgoE4EjNS0_10empty_typeEbEEZZNS1_14partition_implILS8_4ELb0ES6_15HIP_vector_typeIjLj2EENS0_17counting_iteratorIjlEEPS9_SG_NS0_5tupleIJPjSI_NS0_16reverse_iteratorISI_EEEEENSH_IJSG_SG_SG_EEES9_SI_JZNS1_25segmented_radix_sort_implINS0_14default_configELb1EPK12hip_bfloat16PSP_PKlPlN2at6native12_GLOBAL__N_18offset_tEEE10hipError_tPvRmT1_PNSt15iterator_traitsIS13_E10value_typeET2_T3_PNS14_IS19_E10value_typeET4_jRbjT5_S1F_jjP12ihipStream_tbEUljE_ZNSN_ISO_Lb1ESR_SS_SU_SV_SZ_EES10_S11_S12_S13_S17_S18_S19_S1C_S1D_jS1E_jS1F_S1F_jjS1H_bEUljE0_EEES10_S11_S12_S19_S1D_S1F_T6_T7_T9_mT8_S1H_bDpT10_ENKUlT_T0_E_clISt17integral_constantIbLb0EES1U_IbLb1EEEEDaS1Q_S1R_EUlS1Q_E_NS1_11comp_targetILNS1_3genE9ELNS1_11target_archE1100ELNS1_3gpuE3ELNS1_3repE0EEENS1_30default_config_static_selectorELNS0_4arch9wavefront6targetE0EEEvS13_.has_indirect_call, 0
	.section	.AMDGPU.csdata,"",@progbits
; Kernel info:
; codeLenInByte = 0
; TotalNumSgprs: 0
; NumVgprs: 0
; ScratchSize: 0
; MemoryBound: 0
; FloatMode: 240
; IeeeMode: 1
; LDSByteSize: 0 bytes/workgroup (compile time only)
; SGPRBlocks: 0
; VGPRBlocks: 0
; NumSGPRsForWavesPerEU: 1
; NumVGPRsForWavesPerEU: 1
; NamedBarCnt: 0
; Occupancy: 16
; WaveLimiterHint : 0
; COMPUTE_PGM_RSRC2:SCRATCH_EN: 0
; COMPUTE_PGM_RSRC2:USER_SGPR: 2
; COMPUTE_PGM_RSRC2:TRAP_HANDLER: 0
; COMPUTE_PGM_RSRC2:TGID_X_EN: 1
; COMPUTE_PGM_RSRC2:TGID_Y_EN: 0
; COMPUTE_PGM_RSRC2:TGID_Z_EN: 0
; COMPUTE_PGM_RSRC2:TIDIG_COMP_CNT: 0
	.section	.text._ZN7rocprim17ROCPRIM_400000_NS6detail17trampoline_kernelINS0_13select_configILj256ELj13ELNS0_17block_load_methodE3ELS4_3ELS4_3ELNS0_20block_scan_algorithmE0ELj4294967295EEENS1_25partition_config_selectorILNS1_17partition_subalgoE4EjNS0_10empty_typeEbEEZZNS1_14partition_implILS8_4ELb0ES6_15HIP_vector_typeIjLj2EENS0_17counting_iteratorIjlEEPS9_SG_NS0_5tupleIJPjSI_NS0_16reverse_iteratorISI_EEEEENSH_IJSG_SG_SG_EEES9_SI_JZNS1_25segmented_radix_sort_implINS0_14default_configELb1EPK12hip_bfloat16PSP_PKlPlN2at6native12_GLOBAL__N_18offset_tEEE10hipError_tPvRmT1_PNSt15iterator_traitsIS13_E10value_typeET2_T3_PNS14_IS19_E10value_typeET4_jRbjT5_S1F_jjP12ihipStream_tbEUljE_ZNSN_ISO_Lb1ESR_SS_SU_SV_SZ_EES10_S11_S12_S13_S17_S18_S19_S1C_S1D_jS1E_jS1F_S1F_jjS1H_bEUljE0_EEES10_S11_S12_S19_S1D_S1F_T6_T7_T9_mT8_S1H_bDpT10_ENKUlT_T0_E_clISt17integral_constantIbLb0EES1U_IbLb1EEEEDaS1Q_S1R_EUlS1Q_E_NS1_11comp_targetILNS1_3genE8ELNS1_11target_archE1030ELNS1_3gpuE2ELNS1_3repE0EEENS1_30default_config_static_selectorELNS0_4arch9wavefront6targetE0EEEvS13_,"axG",@progbits,_ZN7rocprim17ROCPRIM_400000_NS6detail17trampoline_kernelINS0_13select_configILj256ELj13ELNS0_17block_load_methodE3ELS4_3ELS4_3ELNS0_20block_scan_algorithmE0ELj4294967295EEENS1_25partition_config_selectorILNS1_17partition_subalgoE4EjNS0_10empty_typeEbEEZZNS1_14partition_implILS8_4ELb0ES6_15HIP_vector_typeIjLj2EENS0_17counting_iteratorIjlEEPS9_SG_NS0_5tupleIJPjSI_NS0_16reverse_iteratorISI_EEEEENSH_IJSG_SG_SG_EEES9_SI_JZNS1_25segmented_radix_sort_implINS0_14default_configELb1EPK12hip_bfloat16PSP_PKlPlN2at6native12_GLOBAL__N_18offset_tEEE10hipError_tPvRmT1_PNSt15iterator_traitsIS13_E10value_typeET2_T3_PNS14_IS19_E10value_typeET4_jRbjT5_S1F_jjP12ihipStream_tbEUljE_ZNSN_ISO_Lb1ESR_SS_SU_SV_SZ_EES10_S11_S12_S13_S17_S18_S19_S1C_S1D_jS1E_jS1F_S1F_jjS1H_bEUljE0_EEES10_S11_S12_S19_S1D_S1F_T6_T7_T9_mT8_S1H_bDpT10_ENKUlT_T0_E_clISt17integral_constantIbLb0EES1U_IbLb1EEEEDaS1Q_S1R_EUlS1Q_E_NS1_11comp_targetILNS1_3genE8ELNS1_11target_archE1030ELNS1_3gpuE2ELNS1_3repE0EEENS1_30default_config_static_selectorELNS0_4arch9wavefront6targetE0EEEvS13_,comdat
	.globl	_ZN7rocprim17ROCPRIM_400000_NS6detail17trampoline_kernelINS0_13select_configILj256ELj13ELNS0_17block_load_methodE3ELS4_3ELS4_3ELNS0_20block_scan_algorithmE0ELj4294967295EEENS1_25partition_config_selectorILNS1_17partition_subalgoE4EjNS0_10empty_typeEbEEZZNS1_14partition_implILS8_4ELb0ES6_15HIP_vector_typeIjLj2EENS0_17counting_iteratorIjlEEPS9_SG_NS0_5tupleIJPjSI_NS0_16reverse_iteratorISI_EEEEENSH_IJSG_SG_SG_EEES9_SI_JZNS1_25segmented_radix_sort_implINS0_14default_configELb1EPK12hip_bfloat16PSP_PKlPlN2at6native12_GLOBAL__N_18offset_tEEE10hipError_tPvRmT1_PNSt15iterator_traitsIS13_E10value_typeET2_T3_PNS14_IS19_E10value_typeET4_jRbjT5_S1F_jjP12ihipStream_tbEUljE_ZNSN_ISO_Lb1ESR_SS_SU_SV_SZ_EES10_S11_S12_S13_S17_S18_S19_S1C_S1D_jS1E_jS1F_S1F_jjS1H_bEUljE0_EEES10_S11_S12_S19_S1D_S1F_T6_T7_T9_mT8_S1H_bDpT10_ENKUlT_T0_E_clISt17integral_constantIbLb0EES1U_IbLb1EEEEDaS1Q_S1R_EUlS1Q_E_NS1_11comp_targetILNS1_3genE8ELNS1_11target_archE1030ELNS1_3gpuE2ELNS1_3repE0EEENS1_30default_config_static_selectorELNS0_4arch9wavefront6targetE0EEEvS13_ ; -- Begin function _ZN7rocprim17ROCPRIM_400000_NS6detail17trampoline_kernelINS0_13select_configILj256ELj13ELNS0_17block_load_methodE3ELS4_3ELS4_3ELNS0_20block_scan_algorithmE0ELj4294967295EEENS1_25partition_config_selectorILNS1_17partition_subalgoE4EjNS0_10empty_typeEbEEZZNS1_14partition_implILS8_4ELb0ES6_15HIP_vector_typeIjLj2EENS0_17counting_iteratorIjlEEPS9_SG_NS0_5tupleIJPjSI_NS0_16reverse_iteratorISI_EEEEENSH_IJSG_SG_SG_EEES9_SI_JZNS1_25segmented_radix_sort_implINS0_14default_configELb1EPK12hip_bfloat16PSP_PKlPlN2at6native12_GLOBAL__N_18offset_tEEE10hipError_tPvRmT1_PNSt15iterator_traitsIS13_E10value_typeET2_T3_PNS14_IS19_E10value_typeET4_jRbjT5_S1F_jjP12ihipStream_tbEUljE_ZNSN_ISO_Lb1ESR_SS_SU_SV_SZ_EES10_S11_S12_S13_S17_S18_S19_S1C_S1D_jS1E_jS1F_S1F_jjS1H_bEUljE0_EEES10_S11_S12_S19_S1D_S1F_T6_T7_T9_mT8_S1H_bDpT10_ENKUlT_T0_E_clISt17integral_constantIbLb0EES1U_IbLb1EEEEDaS1Q_S1R_EUlS1Q_E_NS1_11comp_targetILNS1_3genE8ELNS1_11target_archE1030ELNS1_3gpuE2ELNS1_3repE0EEENS1_30default_config_static_selectorELNS0_4arch9wavefront6targetE0EEEvS13_
	.p2align	8
	.type	_ZN7rocprim17ROCPRIM_400000_NS6detail17trampoline_kernelINS0_13select_configILj256ELj13ELNS0_17block_load_methodE3ELS4_3ELS4_3ELNS0_20block_scan_algorithmE0ELj4294967295EEENS1_25partition_config_selectorILNS1_17partition_subalgoE4EjNS0_10empty_typeEbEEZZNS1_14partition_implILS8_4ELb0ES6_15HIP_vector_typeIjLj2EENS0_17counting_iteratorIjlEEPS9_SG_NS0_5tupleIJPjSI_NS0_16reverse_iteratorISI_EEEEENSH_IJSG_SG_SG_EEES9_SI_JZNS1_25segmented_radix_sort_implINS0_14default_configELb1EPK12hip_bfloat16PSP_PKlPlN2at6native12_GLOBAL__N_18offset_tEEE10hipError_tPvRmT1_PNSt15iterator_traitsIS13_E10value_typeET2_T3_PNS14_IS19_E10value_typeET4_jRbjT5_S1F_jjP12ihipStream_tbEUljE_ZNSN_ISO_Lb1ESR_SS_SU_SV_SZ_EES10_S11_S12_S13_S17_S18_S19_S1C_S1D_jS1E_jS1F_S1F_jjS1H_bEUljE0_EEES10_S11_S12_S19_S1D_S1F_T6_T7_T9_mT8_S1H_bDpT10_ENKUlT_T0_E_clISt17integral_constantIbLb0EES1U_IbLb1EEEEDaS1Q_S1R_EUlS1Q_E_NS1_11comp_targetILNS1_3genE8ELNS1_11target_archE1030ELNS1_3gpuE2ELNS1_3repE0EEENS1_30default_config_static_selectorELNS0_4arch9wavefront6targetE0EEEvS13_,@function
_ZN7rocprim17ROCPRIM_400000_NS6detail17trampoline_kernelINS0_13select_configILj256ELj13ELNS0_17block_load_methodE3ELS4_3ELS4_3ELNS0_20block_scan_algorithmE0ELj4294967295EEENS1_25partition_config_selectorILNS1_17partition_subalgoE4EjNS0_10empty_typeEbEEZZNS1_14partition_implILS8_4ELb0ES6_15HIP_vector_typeIjLj2EENS0_17counting_iteratorIjlEEPS9_SG_NS0_5tupleIJPjSI_NS0_16reverse_iteratorISI_EEEEENSH_IJSG_SG_SG_EEES9_SI_JZNS1_25segmented_radix_sort_implINS0_14default_configELb1EPK12hip_bfloat16PSP_PKlPlN2at6native12_GLOBAL__N_18offset_tEEE10hipError_tPvRmT1_PNSt15iterator_traitsIS13_E10value_typeET2_T3_PNS14_IS19_E10value_typeET4_jRbjT5_S1F_jjP12ihipStream_tbEUljE_ZNSN_ISO_Lb1ESR_SS_SU_SV_SZ_EES10_S11_S12_S13_S17_S18_S19_S1C_S1D_jS1E_jS1F_S1F_jjS1H_bEUljE0_EEES10_S11_S12_S19_S1D_S1F_T6_T7_T9_mT8_S1H_bDpT10_ENKUlT_T0_E_clISt17integral_constantIbLb0EES1U_IbLb1EEEEDaS1Q_S1R_EUlS1Q_E_NS1_11comp_targetILNS1_3genE8ELNS1_11target_archE1030ELNS1_3gpuE2ELNS1_3repE0EEENS1_30default_config_static_selectorELNS0_4arch9wavefront6targetE0EEEvS13_: ; @_ZN7rocprim17ROCPRIM_400000_NS6detail17trampoline_kernelINS0_13select_configILj256ELj13ELNS0_17block_load_methodE3ELS4_3ELS4_3ELNS0_20block_scan_algorithmE0ELj4294967295EEENS1_25partition_config_selectorILNS1_17partition_subalgoE4EjNS0_10empty_typeEbEEZZNS1_14partition_implILS8_4ELb0ES6_15HIP_vector_typeIjLj2EENS0_17counting_iteratorIjlEEPS9_SG_NS0_5tupleIJPjSI_NS0_16reverse_iteratorISI_EEEEENSH_IJSG_SG_SG_EEES9_SI_JZNS1_25segmented_radix_sort_implINS0_14default_configELb1EPK12hip_bfloat16PSP_PKlPlN2at6native12_GLOBAL__N_18offset_tEEE10hipError_tPvRmT1_PNSt15iterator_traitsIS13_E10value_typeET2_T3_PNS14_IS19_E10value_typeET4_jRbjT5_S1F_jjP12ihipStream_tbEUljE_ZNSN_ISO_Lb1ESR_SS_SU_SV_SZ_EES10_S11_S12_S13_S17_S18_S19_S1C_S1D_jS1E_jS1F_S1F_jjS1H_bEUljE0_EEES10_S11_S12_S19_S1D_S1F_T6_T7_T9_mT8_S1H_bDpT10_ENKUlT_T0_E_clISt17integral_constantIbLb0EES1U_IbLb1EEEEDaS1Q_S1R_EUlS1Q_E_NS1_11comp_targetILNS1_3genE8ELNS1_11target_archE1030ELNS1_3gpuE2ELNS1_3repE0EEENS1_30default_config_static_selectorELNS0_4arch9wavefront6targetE0EEEvS13_
; %bb.0:
	.section	.rodata,"a",@progbits
	.p2align	6, 0x0
	.amdhsa_kernel _ZN7rocprim17ROCPRIM_400000_NS6detail17trampoline_kernelINS0_13select_configILj256ELj13ELNS0_17block_load_methodE3ELS4_3ELS4_3ELNS0_20block_scan_algorithmE0ELj4294967295EEENS1_25partition_config_selectorILNS1_17partition_subalgoE4EjNS0_10empty_typeEbEEZZNS1_14partition_implILS8_4ELb0ES6_15HIP_vector_typeIjLj2EENS0_17counting_iteratorIjlEEPS9_SG_NS0_5tupleIJPjSI_NS0_16reverse_iteratorISI_EEEEENSH_IJSG_SG_SG_EEES9_SI_JZNS1_25segmented_radix_sort_implINS0_14default_configELb1EPK12hip_bfloat16PSP_PKlPlN2at6native12_GLOBAL__N_18offset_tEEE10hipError_tPvRmT1_PNSt15iterator_traitsIS13_E10value_typeET2_T3_PNS14_IS19_E10value_typeET4_jRbjT5_S1F_jjP12ihipStream_tbEUljE_ZNSN_ISO_Lb1ESR_SS_SU_SV_SZ_EES10_S11_S12_S13_S17_S18_S19_S1C_S1D_jS1E_jS1F_S1F_jjS1H_bEUljE0_EEES10_S11_S12_S19_S1D_S1F_T6_T7_T9_mT8_S1H_bDpT10_ENKUlT_T0_E_clISt17integral_constantIbLb0EES1U_IbLb1EEEEDaS1Q_S1R_EUlS1Q_E_NS1_11comp_targetILNS1_3genE8ELNS1_11target_archE1030ELNS1_3gpuE2ELNS1_3repE0EEENS1_30default_config_static_selectorELNS0_4arch9wavefront6targetE0EEEvS13_
		.amdhsa_group_segment_fixed_size 0
		.amdhsa_private_segment_fixed_size 0
		.amdhsa_kernarg_size 184
		.amdhsa_user_sgpr_count 2
		.amdhsa_user_sgpr_dispatch_ptr 0
		.amdhsa_user_sgpr_queue_ptr 0
		.amdhsa_user_sgpr_kernarg_segment_ptr 1
		.amdhsa_user_sgpr_dispatch_id 0
		.amdhsa_user_sgpr_kernarg_preload_length 0
		.amdhsa_user_sgpr_kernarg_preload_offset 0
		.amdhsa_user_sgpr_private_segment_size 0
		.amdhsa_wavefront_size32 1
		.amdhsa_uses_dynamic_stack 0
		.amdhsa_enable_private_segment 0
		.amdhsa_system_sgpr_workgroup_id_x 1
		.amdhsa_system_sgpr_workgroup_id_y 0
		.amdhsa_system_sgpr_workgroup_id_z 0
		.amdhsa_system_sgpr_workgroup_info 0
		.amdhsa_system_vgpr_workitem_id 0
		.amdhsa_next_free_vgpr 1
		.amdhsa_next_free_sgpr 1
		.amdhsa_named_barrier_count 0
		.amdhsa_reserve_vcc 0
		.amdhsa_float_round_mode_32 0
		.amdhsa_float_round_mode_16_64 0
		.amdhsa_float_denorm_mode_32 3
		.amdhsa_float_denorm_mode_16_64 3
		.amdhsa_fp16_overflow 0
		.amdhsa_memory_ordered 1
		.amdhsa_forward_progress 1
		.amdhsa_inst_pref_size 0
		.amdhsa_round_robin_scheduling 0
		.amdhsa_exception_fp_ieee_invalid_op 0
		.amdhsa_exception_fp_denorm_src 0
		.amdhsa_exception_fp_ieee_div_zero 0
		.amdhsa_exception_fp_ieee_overflow 0
		.amdhsa_exception_fp_ieee_underflow 0
		.amdhsa_exception_fp_ieee_inexact 0
		.amdhsa_exception_int_div_zero 0
	.end_amdhsa_kernel
	.section	.text._ZN7rocprim17ROCPRIM_400000_NS6detail17trampoline_kernelINS0_13select_configILj256ELj13ELNS0_17block_load_methodE3ELS4_3ELS4_3ELNS0_20block_scan_algorithmE0ELj4294967295EEENS1_25partition_config_selectorILNS1_17partition_subalgoE4EjNS0_10empty_typeEbEEZZNS1_14partition_implILS8_4ELb0ES6_15HIP_vector_typeIjLj2EENS0_17counting_iteratorIjlEEPS9_SG_NS0_5tupleIJPjSI_NS0_16reverse_iteratorISI_EEEEENSH_IJSG_SG_SG_EEES9_SI_JZNS1_25segmented_radix_sort_implINS0_14default_configELb1EPK12hip_bfloat16PSP_PKlPlN2at6native12_GLOBAL__N_18offset_tEEE10hipError_tPvRmT1_PNSt15iterator_traitsIS13_E10value_typeET2_T3_PNS14_IS19_E10value_typeET4_jRbjT5_S1F_jjP12ihipStream_tbEUljE_ZNSN_ISO_Lb1ESR_SS_SU_SV_SZ_EES10_S11_S12_S13_S17_S18_S19_S1C_S1D_jS1E_jS1F_S1F_jjS1H_bEUljE0_EEES10_S11_S12_S19_S1D_S1F_T6_T7_T9_mT8_S1H_bDpT10_ENKUlT_T0_E_clISt17integral_constantIbLb0EES1U_IbLb1EEEEDaS1Q_S1R_EUlS1Q_E_NS1_11comp_targetILNS1_3genE8ELNS1_11target_archE1030ELNS1_3gpuE2ELNS1_3repE0EEENS1_30default_config_static_selectorELNS0_4arch9wavefront6targetE0EEEvS13_,"axG",@progbits,_ZN7rocprim17ROCPRIM_400000_NS6detail17trampoline_kernelINS0_13select_configILj256ELj13ELNS0_17block_load_methodE3ELS4_3ELS4_3ELNS0_20block_scan_algorithmE0ELj4294967295EEENS1_25partition_config_selectorILNS1_17partition_subalgoE4EjNS0_10empty_typeEbEEZZNS1_14partition_implILS8_4ELb0ES6_15HIP_vector_typeIjLj2EENS0_17counting_iteratorIjlEEPS9_SG_NS0_5tupleIJPjSI_NS0_16reverse_iteratorISI_EEEEENSH_IJSG_SG_SG_EEES9_SI_JZNS1_25segmented_radix_sort_implINS0_14default_configELb1EPK12hip_bfloat16PSP_PKlPlN2at6native12_GLOBAL__N_18offset_tEEE10hipError_tPvRmT1_PNSt15iterator_traitsIS13_E10value_typeET2_T3_PNS14_IS19_E10value_typeET4_jRbjT5_S1F_jjP12ihipStream_tbEUljE_ZNSN_ISO_Lb1ESR_SS_SU_SV_SZ_EES10_S11_S12_S13_S17_S18_S19_S1C_S1D_jS1E_jS1F_S1F_jjS1H_bEUljE0_EEES10_S11_S12_S19_S1D_S1F_T6_T7_T9_mT8_S1H_bDpT10_ENKUlT_T0_E_clISt17integral_constantIbLb0EES1U_IbLb1EEEEDaS1Q_S1R_EUlS1Q_E_NS1_11comp_targetILNS1_3genE8ELNS1_11target_archE1030ELNS1_3gpuE2ELNS1_3repE0EEENS1_30default_config_static_selectorELNS0_4arch9wavefront6targetE0EEEvS13_,comdat
.Lfunc_end1903:
	.size	_ZN7rocprim17ROCPRIM_400000_NS6detail17trampoline_kernelINS0_13select_configILj256ELj13ELNS0_17block_load_methodE3ELS4_3ELS4_3ELNS0_20block_scan_algorithmE0ELj4294967295EEENS1_25partition_config_selectorILNS1_17partition_subalgoE4EjNS0_10empty_typeEbEEZZNS1_14partition_implILS8_4ELb0ES6_15HIP_vector_typeIjLj2EENS0_17counting_iteratorIjlEEPS9_SG_NS0_5tupleIJPjSI_NS0_16reverse_iteratorISI_EEEEENSH_IJSG_SG_SG_EEES9_SI_JZNS1_25segmented_radix_sort_implINS0_14default_configELb1EPK12hip_bfloat16PSP_PKlPlN2at6native12_GLOBAL__N_18offset_tEEE10hipError_tPvRmT1_PNSt15iterator_traitsIS13_E10value_typeET2_T3_PNS14_IS19_E10value_typeET4_jRbjT5_S1F_jjP12ihipStream_tbEUljE_ZNSN_ISO_Lb1ESR_SS_SU_SV_SZ_EES10_S11_S12_S13_S17_S18_S19_S1C_S1D_jS1E_jS1F_S1F_jjS1H_bEUljE0_EEES10_S11_S12_S19_S1D_S1F_T6_T7_T9_mT8_S1H_bDpT10_ENKUlT_T0_E_clISt17integral_constantIbLb0EES1U_IbLb1EEEEDaS1Q_S1R_EUlS1Q_E_NS1_11comp_targetILNS1_3genE8ELNS1_11target_archE1030ELNS1_3gpuE2ELNS1_3repE0EEENS1_30default_config_static_selectorELNS0_4arch9wavefront6targetE0EEEvS13_, .Lfunc_end1903-_ZN7rocprim17ROCPRIM_400000_NS6detail17trampoline_kernelINS0_13select_configILj256ELj13ELNS0_17block_load_methodE3ELS4_3ELS4_3ELNS0_20block_scan_algorithmE0ELj4294967295EEENS1_25partition_config_selectorILNS1_17partition_subalgoE4EjNS0_10empty_typeEbEEZZNS1_14partition_implILS8_4ELb0ES6_15HIP_vector_typeIjLj2EENS0_17counting_iteratorIjlEEPS9_SG_NS0_5tupleIJPjSI_NS0_16reverse_iteratorISI_EEEEENSH_IJSG_SG_SG_EEES9_SI_JZNS1_25segmented_radix_sort_implINS0_14default_configELb1EPK12hip_bfloat16PSP_PKlPlN2at6native12_GLOBAL__N_18offset_tEEE10hipError_tPvRmT1_PNSt15iterator_traitsIS13_E10value_typeET2_T3_PNS14_IS19_E10value_typeET4_jRbjT5_S1F_jjP12ihipStream_tbEUljE_ZNSN_ISO_Lb1ESR_SS_SU_SV_SZ_EES10_S11_S12_S13_S17_S18_S19_S1C_S1D_jS1E_jS1F_S1F_jjS1H_bEUljE0_EEES10_S11_S12_S19_S1D_S1F_T6_T7_T9_mT8_S1H_bDpT10_ENKUlT_T0_E_clISt17integral_constantIbLb0EES1U_IbLb1EEEEDaS1Q_S1R_EUlS1Q_E_NS1_11comp_targetILNS1_3genE8ELNS1_11target_archE1030ELNS1_3gpuE2ELNS1_3repE0EEENS1_30default_config_static_selectorELNS0_4arch9wavefront6targetE0EEEvS13_
                                        ; -- End function
	.set _ZN7rocprim17ROCPRIM_400000_NS6detail17trampoline_kernelINS0_13select_configILj256ELj13ELNS0_17block_load_methodE3ELS4_3ELS4_3ELNS0_20block_scan_algorithmE0ELj4294967295EEENS1_25partition_config_selectorILNS1_17partition_subalgoE4EjNS0_10empty_typeEbEEZZNS1_14partition_implILS8_4ELb0ES6_15HIP_vector_typeIjLj2EENS0_17counting_iteratorIjlEEPS9_SG_NS0_5tupleIJPjSI_NS0_16reverse_iteratorISI_EEEEENSH_IJSG_SG_SG_EEES9_SI_JZNS1_25segmented_radix_sort_implINS0_14default_configELb1EPK12hip_bfloat16PSP_PKlPlN2at6native12_GLOBAL__N_18offset_tEEE10hipError_tPvRmT1_PNSt15iterator_traitsIS13_E10value_typeET2_T3_PNS14_IS19_E10value_typeET4_jRbjT5_S1F_jjP12ihipStream_tbEUljE_ZNSN_ISO_Lb1ESR_SS_SU_SV_SZ_EES10_S11_S12_S13_S17_S18_S19_S1C_S1D_jS1E_jS1F_S1F_jjS1H_bEUljE0_EEES10_S11_S12_S19_S1D_S1F_T6_T7_T9_mT8_S1H_bDpT10_ENKUlT_T0_E_clISt17integral_constantIbLb0EES1U_IbLb1EEEEDaS1Q_S1R_EUlS1Q_E_NS1_11comp_targetILNS1_3genE8ELNS1_11target_archE1030ELNS1_3gpuE2ELNS1_3repE0EEENS1_30default_config_static_selectorELNS0_4arch9wavefront6targetE0EEEvS13_.num_vgpr, 0
	.set _ZN7rocprim17ROCPRIM_400000_NS6detail17trampoline_kernelINS0_13select_configILj256ELj13ELNS0_17block_load_methodE3ELS4_3ELS4_3ELNS0_20block_scan_algorithmE0ELj4294967295EEENS1_25partition_config_selectorILNS1_17partition_subalgoE4EjNS0_10empty_typeEbEEZZNS1_14partition_implILS8_4ELb0ES6_15HIP_vector_typeIjLj2EENS0_17counting_iteratorIjlEEPS9_SG_NS0_5tupleIJPjSI_NS0_16reverse_iteratorISI_EEEEENSH_IJSG_SG_SG_EEES9_SI_JZNS1_25segmented_radix_sort_implINS0_14default_configELb1EPK12hip_bfloat16PSP_PKlPlN2at6native12_GLOBAL__N_18offset_tEEE10hipError_tPvRmT1_PNSt15iterator_traitsIS13_E10value_typeET2_T3_PNS14_IS19_E10value_typeET4_jRbjT5_S1F_jjP12ihipStream_tbEUljE_ZNSN_ISO_Lb1ESR_SS_SU_SV_SZ_EES10_S11_S12_S13_S17_S18_S19_S1C_S1D_jS1E_jS1F_S1F_jjS1H_bEUljE0_EEES10_S11_S12_S19_S1D_S1F_T6_T7_T9_mT8_S1H_bDpT10_ENKUlT_T0_E_clISt17integral_constantIbLb0EES1U_IbLb1EEEEDaS1Q_S1R_EUlS1Q_E_NS1_11comp_targetILNS1_3genE8ELNS1_11target_archE1030ELNS1_3gpuE2ELNS1_3repE0EEENS1_30default_config_static_selectorELNS0_4arch9wavefront6targetE0EEEvS13_.num_agpr, 0
	.set _ZN7rocprim17ROCPRIM_400000_NS6detail17trampoline_kernelINS0_13select_configILj256ELj13ELNS0_17block_load_methodE3ELS4_3ELS4_3ELNS0_20block_scan_algorithmE0ELj4294967295EEENS1_25partition_config_selectorILNS1_17partition_subalgoE4EjNS0_10empty_typeEbEEZZNS1_14partition_implILS8_4ELb0ES6_15HIP_vector_typeIjLj2EENS0_17counting_iteratorIjlEEPS9_SG_NS0_5tupleIJPjSI_NS0_16reverse_iteratorISI_EEEEENSH_IJSG_SG_SG_EEES9_SI_JZNS1_25segmented_radix_sort_implINS0_14default_configELb1EPK12hip_bfloat16PSP_PKlPlN2at6native12_GLOBAL__N_18offset_tEEE10hipError_tPvRmT1_PNSt15iterator_traitsIS13_E10value_typeET2_T3_PNS14_IS19_E10value_typeET4_jRbjT5_S1F_jjP12ihipStream_tbEUljE_ZNSN_ISO_Lb1ESR_SS_SU_SV_SZ_EES10_S11_S12_S13_S17_S18_S19_S1C_S1D_jS1E_jS1F_S1F_jjS1H_bEUljE0_EEES10_S11_S12_S19_S1D_S1F_T6_T7_T9_mT8_S1H_bDpT10_ENKUlT_T0_E_clISt17integral_constantIbLb0EES1U_IbLb1EEEEDaS1Q_S1R_EUlS1Q_E_NS1_11comp_targetILNS1_3genE8ELNS1_11target_archE1030ELNS1_3gpuE2ELNS1_3repE0EEENS1_30default_config_static_selectorELNS0_4arch9wavefront6targetE0EEEvS13_.numbered_sgpr, 0
	.set _ZN7rocprim17ROCPRIM_400000_NS6detail17trampoline_kernelINS0_13select_configILj256ELj13ELNS0_17block_load_methodE3ELS4_3ELS4_3ELNS0_20block_scan_algorithmE0ELj4294967295EEENS1_25partition_config_selectorILNS1_17partition_subalgoE4EjNS0_10empty_typeEbEEZZNS1_14partition_implILS8_4ELb0ES6_15HIP_vector_typeIjLj2EENS0_17counting_iteratorIjlEEPS9_SG_NS0_5tupleIJPjSI_NS0_16reverse_iteratorISI_EEEEENSH_IJSG_SG_SG_EEES9_SI_JZNS1_25segmented_radix_sort_implINS0_14default_configELb1EPK12hip_bfloat16PSP_PKlPlN2at6native12_GLOBAL__N_18offset_tEEE10hipError_tPvRmT1_PNSt15iterator_traitsIS13_E10value_typeET2_T3_PNS14_IS19_E10value_typeET4_jRbjT5_S1F_jjP12ihipStream_tbEUljE_ZNSN_ISO_Lb1ESR_SS_SU_SV_SZ_EES10_S11_S12_S13_S17_S18_S19_S1C_S1D_jS1E_jS1F_S1F_jjS1H_bEUljE0_EEES10_S11_S12_S19_S1D_S1F_T6_T7_T9_mT8_S1H_bDpT10_ENKUlT_T0_E_clISt17integral_constantIbLb0EES1U_IbLb1EEEEDaS1Q_S1R_EUlS1Q_E_NS1_11comp_targetILNS1_3genE8ELNS1_11target_archE1030ELNS1_3gpuE2ELNS1_3repE0EEENS1_30default_config_static_selectorELNS0_4arch9wavefront6targetE0EEEvS13_.num_named_barrier, 0
	.set _ZN7rocprim17ROCPRIM_400000_NS6detail17trampoline_kernelINS0_13select_configILj256ELj13ELNS0_17block_load_methodE3ELS4_3ELS4_3ELNS0_20block_scan_algorithmE0ELj4294967295EEENS1_25partition_config_selectorILNS1_17partition_subalgoE4EjNS0_10empty_typeEbEEZZNS1_14partition_implILS8_4ELb0ES6_15HIP_vector_typeIjLj2EENS0_17counting_iteratorIjlEEPS9_SG_NS0_5tupleIJPjSI_NS0_16reverse_iteratorISI_EEEEENSH_IJSG_SG_SG_EEES9_SI_JZNS1_25segmented_radix_sort_implINS0_14default_configELb1EPK12hip_bfloat16PSP_PKlPlN2at6native12_GLOBAL__N_18offset_tEEE10hipError_tPvRmT1_PNSt15iterator_traitsIS13_E10value_typeET2_T3_PNS14_IS19_E10value_typeET4_jRbjT5_S1F_jjP12ihipStream_tbEUljE_ZNSN_ISO_Lb1ESR_SS_SU_SV_SZ_EES10_S11_S12_S13_S17_S18_S19_S1C_S1D_jS1E_jS1F_S1F_jjS1H_bEUljE0_EEES10_S11_S12_S19_S1D_S1F_T6_T7_T9_mT8_S1H_bDpT10_ENKUlT_T0_E_clISt17integral_constantIbLb0EES1U_IbLb1EEEEDaS1Q_S1R_EUlS1Q_E_NS1_11comp_targetILNS1_3genE8ELNS1_11target_archE1030ELNS1_3gpuE2ELNS1_3repE0EEENS1_30default_config_static_selectorELNS0_4arch9wavefront6targetE0EEEvS13_.private_seg_size, 0
	.set _ZN7rocprim17ROCPRIM_400000_NS6detail17trampoline_kernelINS0_13select_configILj256ELj13ELNS0_17block_load_methodE3ELS4_3ELS4_3ELNS0_20block_scan_algorithmE0ELj4294967295EEENS1_25partition_config_selectorILNS1_17partition_subalgoE4EjNS0_10empty_typeEbEEZZNS1_14partition_implILS8_4ELb0ES6_15HIP_vector_typeIjLj2EENS0_17counting_iteratorIjlEEPS9_SG_NS0_5tupleIJPjSI_NS0_16reverse_iteratorISI_EEEEENSH_IJSG_SG_SG_EEES9_SI_JZNS1_25segmented_radix_sort_implINS0_14default_configELb1EPK12hip_bfloat16PSP_PKlPlN2at6native12_GLOBAL__N_18offset_tEEE10hipError_tPvRmT1_PNSt15iterator_traitsIS13_E10value_typeET2_T3_PNS14_IS19_E10value_typeET4_jRbjT5_S1F_jjP12ihipStream_tbEUljE_ZNSN_ISO_Lb1ESR_SS_SU_SV_SZ_EES10_S11_S12_S13_S17_S18_S19_S1C_S1D_jS1E_jS1F_S1F_jjS1H_bEUljE0_EEES10_S11_S12_S19_S1D_S1F_T6_T7_T9_mT8_S1H_bDpT10_ENKUlT_T0_E_clISt17integral_constantIbLb0EES1U_IbLb1EEEEDaS1Q_S1R_EUlS1Q_E_NS1_11comp_targetILNS1_3genE8ELNS1_11target_archE1030ELNS1_3gpuE2ELNS1_3repE0EEENS1_30default_config_static_selectorELNS0_4arch9wavefront6targetE0EEEvS13_.uses_vcc, 0
	.set _ZN7rocprim17ROCPRIM_400000_NS6detail17trampoline_kernelINS0_13select_configILj256ELj13ELNS0_17block_load_methodE3ELS4_3ELS4_3ELNS0_20block_scan_algorithmE0ELj4294967295EEENS1_25partition_config_selectorILNS1_17partition_subalgoE4EjNS0_10empty_typeEbEEZZNS1_14partition_implILS8_4ELb0ES6_15HIP_vector_typeIjLj2EENS0_17counting_iteratorIjlEEPS9_SG_NS0_5tupleIJPjSI_NS0_16reverse_iteratorISI_EEEEENSH_IJSG_SG_SG_EEES9_SI_JZNS1_25segmented_radix_sort_implINS0_14default_configELb1EPK12hip_bfloat16PSP_PKlPlN2at6native12_GLOBAL__N_18offset_tEEE10hipError_tPvRmT1_PNSt15iterator_traitsIS13_E10value_typeET2_T3_PNS14_IS19_E10value_typeET4_jRbjT5_S1F_jjP12ihipStream_tbEUljE_ZNSN_ISO_Lb1ESR_SS_SU_SV_SZ_EES10_S11_S12_S13_S17_S18_S19_S1C_S1D_jS1E_jS1F_S1F_jjS1H_bEUljE0_EEES10_S11_S12_S19_S1D_S1F_T6_T7_T9_mT8_S1H_bDpT10_ENKUlT_T0_E_clISt17integral_constantIbLb0EES1U_IbLb1EEEEDaS1Q_S1R_EUlS1Q_E_NS1_11comp_targetILNS1_3genE8ELNS1_11target_archE1030ELNS1_3gpuE2ELNS1_3repE0EEENS1_30default_config_static_selectorELNS0_4arch9wavefront6targetE0EEEvS13_.uses_flat_scratch, 0
	.set _ZN7rocprim17ROCPRIM_400000_NS6detail17trampoline_kernelINS0_13select_configILj256ELj13ELNS0_17block_load_methodE3ELS4_3ELS4_3ELNS0_20block_scan_algorithmE0ELj4294967295EEENS1_25partition_config_selectorILNS1_17partition_subalgoE4EjNS0_10empty_typeEbEEZZNS1_14partition_implILS8_4ELb0ES6_15HIP_vector_typeIjLj2EENS0_17counting_iteratorIjlEEPS9_SG_NS0_5tupleIJPjSI_NS0_16reverse_iteratorISI_EEEEENSH_IJSG_SG_SG_EEES9_SI_JZNS1_25segmented_radix_sort_implINS0_14default_configELb1EPK12hip_bfloat16PSP_PKlPlN2at6native12_GLOBAL__N_18offset_tEEE10hipError_tPvRmT1_PNSt15iterator_traitsIS13_E10value_typeET2_T3_PNS14_IS19_E10value_typeET4_jRbjT5_S1F_jjP12ihipStream_tbEUljE_ZNSN_ISO_Lb1ESR_SS_SU_SV_SZ_EES10_S11_S12_S13_S17_S18_S19_S1C_S1D_jS1E_jS1F_S1F_jjS1H_bEUljE0_EEES10_S11_S12_S19_S1D_S1F_T6_T7_T9_mT8_S1H_bDpT10_ENKUlT_T0_E_clISt17integral_constantIbLb0EES1U_IbLb1EEEEDaS1Q_S1R_EUlS1Q_E_NS1_11comp_targetILNS1_3genE8ELNS1_11target_archE1030ELNS1_3gpuE2ELNS1_3repE0EEENS1_30default_config_static_selectorELNS0_4arch9wavefront6targetE0EEEvS13_.has_dyn_sized_stack, 0
	.set _ZN7rocprim17ROCPRIM_400000_NS6detail17trampoline_kernelINS0_13select_configILj256ELj13ELNS0_17block_load_methodE3ELS4_3ELS4_3ELNS0_20block_scan_algorithmE0ELj4294967295EEENS1_25partition_config_selectorILNS1_17partition_subalgoE4EjNS0_10empty_typeEbEEZZNS1_14partition_implILS8_4ELb0ES6_15HIP_vector_typeIjLj2EENS0_17counting_iteratorIjlEEPS9_SG_NS0_5tupleIJPjSI_NS0_16reverse_iteratorISI_EEEEENSH_IJSG_SG_SG_EEES9_SI_JZNS1_25segmented_radix_sort_implINS0_14default_configELb1EPK12hip_bfloat16PSP_PKlPlN2at6native12_GLOBAL__N_18offset_tEEE10hipError_tPvRmT1_PNSt15iterator_traitsIS13_E10value_typeET2_T3_PNS14_IS19_E10value_typeET4_jRbjT5_S1F_jjP12ihipStream_tbEUljE_ZNSN_ISO_Lb1ESR_SS_SU_SV_SZ_EES10_S11_S12_S13_S17_S18_S19_S1C_S1D_jS1E_jS1F_S1F_jjS1H_bEUljE0_EEES10_S11_S12_S19_S1D_S1F_T6_T7_T9_mT8_S1H_bDpT10_ENKUlT_T0_E_clISt17integral_constantIbLb0EES1U_IbLb1EEEEDaS1Q_S1R_EUlS1Q_E_NS1_11comp_targetILNS1_3genE8ELNS1_11target_archE1030ELNS1_3gpuE2ELNS1_3repE0EEENS1_30default_config_static_selectorELNS0_4arch9wavefront6targetE0EEEvS13_.has_recursion, 0
	.set _ZN7rocprim17ROCPRIM_400000_NS6detail17trampoline_kernelINS0_13select_configILj256ELj13ELNS0_17block_load_methodE3ELS4_3ELS4_3ELNS0_20block_scan_algorithmE0ELj4294967295EEENS1_25partition_config_selectorILNS1_17partition_subalgoE4EjNS0_10empty_typeEbEEZZNS1_14partition_implILS8_4ELb0ES6_15HIP_vector_typeIjLj2EENS0_17counting_iteratorIjlEEPS9_SG_NS0_5tupleIJPjSI_NS0_16reverse_iteratorISI_EEEEENSH_IJSG_SG_SG_EEES9_SI_JZNS1_25segmented_radix_sort_implINS0_14default_configELb1EPK12hip_bfloat16PSP_PKlPlN2at6native12_GLOBAL__N_18offset_tEEE10hipError_tPvRmT1_PNSt15iterator_traitsIS13_E10value_typeET2_T3_PNS14_IS19_E10value_typeET4_jRbjT5_S1F_jjP12ihipStream_tbEUljE_ZNSN_ISO_Lb1ESR_SS_SU_SV_SZ_EES10_S11_S12_S13_S17_S18_S19_S1C_S1D_jS1E_jS1F_S1F_jjS1H_bEUljE0_EEES10_S11_S12_S19_S1D_S1F_T6_T7_T9_mT8_S1H_bDpT10_ENKUlT_T0_E_clISt17integral_constantIbLb0EES1U_IbLb1EEEEDaS1Q_S1R_EUlS1Q_E_NS1_11comp_targetILNS1_3genE8ELNS1_11target_archE1030ELNS1_3gpuE2ELNS1_3repE0EEENS1_30default_config_static_selectorELNS0_4arch9wavefront6targetE0EEEvS13_.has_indirect_call, 0
	.section	.AMDGPU.csdata,"",@progbits
; Kernel info:
; codeLenInByte = 0
; TotalNumSgprs: 0
; NumVgprs: 0
; ScratchSize: 0
; MemoryBound: 0
; FloatMode: 240
; IeeeMode: 1
; LDSByteSize: 0 bytes/workgroup (compile time only)
; SGPRBlocks: 0
; VGPRBlocks: 0
; NumSGPRsForWavesPerEU: 1
; NumVGPRsForWavesPerEU: 1
; NamedBarCnt: 0
; Occupancy: 16
; WaveLimiterHint : 0
; COMPUTE_PGM_RSRC2:SCRATCH_EN: 0
; COMPUTE_PGM_RSRC2:USER_SGPR: 2
; COMPUTE_PGM_RSRC2:TRAP_HANDLER: 0
; COMPUTE_PGM_RSRC2:TGID_X_EN: 1
; COMPUTE_PGM_RSRC2:TGID_Y_EN: 0
; COMPUTE_PGM_RSRC2:TGID_Z_EN: 0
; COMPUTE_PGM_RSRC2:TIDIG_COMP_CNT: 0
	.section	.text._ZN7rocprim17ROCPRIM_400000_NS6detail17trampoline_kernelINS0_13select_configILj256ELj13ELNS0_17block_load_methodE3ELS4_3ELS4_3ELNS0_20block_scan_algorithmE0ELj4294967295EEENS1_25partition_config_selectorILNS1_17partition_subalgoE3EjNS0_10empty_typeEbEEZZNS1_14partition_implILS8_3ELb0ES6_jNS0_17counting_iteratorIjlEEPS9_SE_NS0_5tupleIJPjSE_EEENSF_IJSE_SE_EEES9_SG_JZNS1_25segmented_radix_sort_implINS0_14default_configELb1EPK12hip_bfloat16PSL_PKlPlN2at6native12_GLOBAL__N_18offset_tEEE10hipError_tPvRmT1_PNSt15iterator_traitsISZ_E10value_typeET2_T3_PNS10_IS15_E10value_typeET4_jRbjT5_S1B_jjP12ihipStream_tbEUljE_EEESW_SX_SY_S15_S19_S1B_T6_T7_T9_mT8_S1D_bDpT10_ENKUlT_T0_E_clISt17integral_constantIbLb0EES1Q_EEDaS1L_S1M_EUlS1L_E_NS1_11comp_targetILNS1_3genE0ELNS1_11target_archE4294967295ELNS1_3gpuE0ELNS1_3repE0EEENS1_30default_config_static_selectorELNS0_4arch9wavefront6targetE0EEEvSZ_,"axG",@progbits,_ZN7rocprim17ROCPRIM_400000_NS6detail17trampoline_kernelINS0_13select_configILj256ELj13ELNS0_17block_load_methodE3ELS4_3ELS4_3ELNS0_20block_scan_algorithmE0ELj4294967295EEENS1_25partition_config_selectorILNS1_17partition_subalgoE3EjNS0_10empty_typeEbEEZZNS1_14partition_implILS8_3ELb0ES6_jNS0_17counting_iteratorIjlEEPS9_SE_NS0_5tupleIJPjSE_EEENSF_IJSE_SE_EEES9_SG_JZNS1_25segmented_radix_sort_implINS0_14default_configELb1EPK12hip_bfloat16PSL_PKlPlN2at6native12_GLOBAL__N_18offset_tEEE10hipError_tPvRmT1_PNSt15iterator_traitsISZ_E10value_typeET2_T3_PNS10_IS15_E10value_typeET4_jRbjT5_S1B_jjP12ihipStream_tbEUljE_EEESW_SX_SY_S15_S19_S1B_T6_T7_T9_mT8_S1D_bDpT10_ENKUlT_T0_E_clISt17integral_constantIbLb0EES1Q_EEDaS1L_S1M_EUlS1L_E_NS1_11comp_targetILNS1_3genE0ELNS1_11target_archE4294967295ELNS1_3gpuE0ELNS1_3repE0EEENS1_30default_config_static_selectorELNS0_4arch9wavefront6targetE0EEEvSZ_,comdat
	.globl	_ZN7rocprim17ROCPRIM_400000_NS6detail17trampoline_kernelINS0_13select_configILj256ELj13ELNS0_17block_load_methodE3ELS4_3ELS4_3ELNS0_20block_scan_algorithmE0ELj4294967295EEENS1_25partition_config_selectorILNS1_17partition_subalgoE3EjNS0_10empty_typeEbEEZZNS1_14partition_implILS8_3ELb0ES6_jNS0_17counting_iteratorIjlEEPS9_SE_NS0_5tupleIJPjSE_EEENSF_IJSE_SE_EEES9_SG_JZNS1_25segmented_radix_sort_implINS0_14default_configELb1EPK12hip_bfloat16PSL_PKlPlN2at6native12_GLOBAL__N_18offset_tEEE10hipError_tPvRmT1_PNSt15iterator_traitsISZ_E10value_typeET2_T3_PNS10_IS15_E10value_typeET4_jRbjT5_S1B_jjP12ihipStream_tbEUljE_EEESW_SX_SY_S15_S19_S1B_T6_T7_T9_mT8_S1D_bDpT10_ENKUlT_T0_E_clISt17integral_constantIbLb0EES1Q_EEDaS1L_S1M_EUlS1L_E_NS1_11comp_targetILNS1_3genE0ELNS1_11target_archE4294967295ELNS1_3gpuE0ELNS1_3repE0EEENS1_30default_config_static_selectorELNS0_4arch9wavefront6targetE0EEEvSZ_ ; -- Begin function _ZN7rocprim17ROCPRIM_400000_NS6detail17trampoline_kernelINS0_13select_configILj256ELj13ELNS0_17block_load_methodE3ELS4_3ELS4_3ELNS0_20block_scan_algorithmE0ELj4294967295EEENS1_25partition_config_selectorILNS1_17partition_subalgoE3EjNS0_10empty_typeEbEEZZNS1_14partition_implILS8_3ELb0ES6_jNS0_17counting_iteratorIjlEEPS9_SE_NS0_5tupleIJPjSE_EEENSF_IJSE_SE_EEES9_SG_JZNS1_25segmented_radix_sort_implINS0_14default_configELb1EPK12hip_bfloat16PSL_PKlPlN2at6native12_GLOBAL__N_18offset_tEEE10hipError_tPvRmT1_PNSt15iterator_traitsISZ_E10value_typeET2_T3_PNS10_IS15_E10value_typeET4_jRbjT5_S1B_jjP12ihipStream_tbEUljE_EEESW_SX_SY_S15_S19_S1B_T6_T7_T9_mT8_S1D_bDpT10_ENKUlT_T0_E_clISt17integral_constantIbLb0EES1Q_EEDaS1L_S1M_EUlS1L_E_NS1_11comp_targetILNS1_3genE0ELNS1_11target_archE4294967295ELNS1_3gpuE0ELNS1_3repE0EEENS1_30default_config_static_selectorELNS0_4arch9wavefront6targetE0EEEvSZ_
	.p2align	8
	.type	_ZN7rocprim17ROCPRIM_400000_NS6detail17trampoline_kernelINS0_13select_configILj256ELj13ELNS0_17block_load_methodE3ELS4_3ELS4_3ELNS0_20block_scan_algorithmE0ELj4294967295EEENS1_25partition_config_selectorILNS1_17partition_subalgoE3EjNS0_10empty_typeEbEEZZNS1_14partition_implILS8_3ELb0ES6_jNS0_17counting_iteratorIjlEEPS9_SE_NS0_5tupleIJPjSE_EEENSF_IJSE_SE_EEES9_SG_JZNS1_25segmented_radix_sort_implINS0_14default_configELb1EPK12hip_bfloat16PSL_PKlPlN2at6native12_GLOBAL__N_18offset_tEEE10hipError_tPvRmT1_PNSt15iterator_traitsISZ_E10value_typeET2_T3_PNS10_IS15_E10value_typeET4_jRbjT5_S1B_jjP12ihipStream_tbEUljE_EEESW_SX_SY_S15_S19_S1B_T6_T7_T9_mT8_S1D_bDpT10_ENKUlT_T0_E_clISt17integral_constantIbLb0EES1Q_EEDaS1L_S1M_EUlS1L_E_NS1_11comp_targetILNS1_3genE0ELNS1_11target_archE4294967295ELNS1_3gpuE0ELNS1_3repE0EEENS1_30default_config_static_selectorELNS0_4arch9wavefront6targetE0EEEvSZ_,@function
_ZN7rocprim17ROCPRIM_400000_NS6detail17trampoline_kernelINS0_13select_configILj256ELj13ELNS0_17block_load_methodE3ELS4_3ELS4_3ELNS0_20block_scan_algorithmE0ELj4294967295EEENS1_25partition_config_selectorILNS1_17partition_subalgoE3EjNS0_10empty_typeEbEEZZNS1_14partition_implILS8_3ELb0ES6_jNS0_17counting_iteratorIjlEEPS9_SE_NS0_5tupleIJPjSE_EEENSF_IJSE_SE_EEES9_SG_JZNS1_25segmented_radix_sort_implINS0_14default_configELb1EPK12hip_bfloat16PSL_PKlPlN2at6native12_GLOBAL__N_18offset_tEEE10hipError_tPvRmT1_PNSt15iterator_traitsISZ_E10value_typeET2_T3_PNS10_IS15_E10value_typeET4_jRbjT5_S1B_jjP12ihipStream_tbEUljE_EEESW_SX_SY_S15_S19_S1B_T6_T7_T9_mT8_S1D_bDpT10_ENKUlT_T0_E_clISt17integral_constantIbLb0EES1Q_EEDaS1L_S1M_EUlS1L_E_NS1_11comp_targetILNS1_3genE0ELNS1_11target_archE4294967295ELNS1_3gpuE0ELNS1_3repE0EEENS1_30default_config_static_selectorELNS0_4arch9wavefront6targetE0EEEvSZ_: ; @_ZN7rocprim17ROCPRIM_400000_NS6detail17trampoline_kernelINS0_13select_configILj256ELj13ELNS0_17block_load_methodE3ELS4_3ELS4_3ELNS0_20block_scan_algorithmE0ELj4294967295EEENS1_25partition_config_selectorILNS1_17partition_subalgoE3EjNS0_10empty_typeEbEEZZNS1_14partition_implILS8_3ELb0ES6_jNS0_17counting_iteratorIjlEEPS9_SE_NS0_5tupleIJPjSE_EEENSF_IJSE_SE_EEES9_SG_JZNS1_25segmented_radix_sort_implINS0_14default_configELb1EPK12hip_bfloat16PSL_PKlPlN2at6native12_GLOBAL__N_18offset_tEEE10hipError_tPvRmT1_PNSt15iterator_traitsISZ_E10value_typeET2_T3_PNS10_IS15_E10value_typeET4_jRbjT5_S1B_jjP12ihipStream_tbEUljE_EEESW_SX_SY_S15_S19_S1B_T6_T7_T9_mT8_S1D_bDpT10_ENKUlT_T0_E_clISt17integral_constantIbLb0EES1Q_EEDaS1L_S1M_EUlS1L_E_NS1_11comp_targetILNS1_3genE0ELNS1_11target_archE4294967295ELNS1_3gpuE0ELNS1_3repE0EEENS1_30default_config_static_selectorELNS0_4arch9wavefront6targetE0EEEvSZ_
; %bb.0:
	s_clause 0x4
	s_load_b128 s[8:11], s[0:1], 0x48
	s_load_b32 s2, s[0:1], 0x70
	s_load_b64 s[12:13], s[0:1], 0x10
	s_load_b64 s[14:15], s[0:1], 0x58
	s_load_b32 s20, s[0:1], 0x8
	s_bfe_u32 s3, ttmp6, 0x4000c
	s_and_b32 s4, ttmp6, 15
	s_add_co_i32 s3, s3, 1
	s_getreg_b32 s5, hwreg(HW_REG_IB_STS2, 6, 4)
	s_mul_i32 s3, ttmp9, s3
	s_mov_b32 s17, 0
	s_add_co_i32 s16, s4, s3
	s_cmp_eq_u32 s5, 0
	s_clause 0x1
	s_load_b32 s3, s[0:1], 0x88
	s_load_b128 s[4:7], s[0:1], 0x78
	s_cselect_b32 s24, ttmp9, s16
	v_lshlrev_b32_e32 v19, 2, v0
	s_wait_kmcnt 0x0
	s_load_b64 s[18:19], s[10:11], 0x0
	s_mul_i32 s16, s2, 0xd00
	s_add_co_i32 s2, s2, -1
	s_add_co_i32 s21, s16, s12
	s_wait_xcnt 0x0
	s_add_nc_u64 s[10:11], s[12:13], s[16:17]
	s_sub_co_i32 s23, s14, s21
	v_cmp_gt_u64_e64 s11, s[14:15], s[10:11]
	s_addk_co_i32 s23, 0xd00
	s_cmp_eq_u32 s24, s2
	s_mul_i32 s10, s24, 0xd00
	s_cselect_b32 s22, -1, 0
	s_cmp_lg_u32 s24, s2
	s_mov_b32 s17, -1
	s_cselect_b32 s2, -1, 0
	s_add_co_i32 s16, s20, s10
	s_or_b32 s11, s2, s11
	s_add_co_i32 s16, s16, s12
	s_and_b32 vcc_lo, exec_lo, s11
	v_add_nc_u32_e32 v1, s16, v0
	s_cbranch_vccz .LBB1904_2
; %bb.1:
	s_delay_alu instid0(VALU_DEP_1)
	v_add_nc_u32_e32 v2, 0x100, v1
	v_add_nc_u32_e32 v3, 0x200, v1
	;; [unrolled: 1-line block ×12, first 2 shown]
	ds_store_2addr_stride64_b32 v19, v1, v2 offset1:4
	ds_store_2addr_stride64_b32 v19, v3, v4 offset0:8 offset1:12
	ds_store_2addr_stride64_b32 v19, v5, v6 offset0:16 offset1:20
	;; [unrolled: 1-line block ×5, first 2 shown]
	ds_store_b32 v19, v13 offset:12288
	s_wait_dscnt 0x0
	s_barrier_signal -1
	s_mov_b32 s17, 0
	s_barrier_wait -1
.LBB1904_2:
	v_cmp_gt_u32_e64 s2, s23, v0
	v_or_b32_e32 v40, 0x100, v0
	v_or_b32_e32 v38, 0x200, v0
	;; [unrolled: 1-line block ×12, first 2 shown]
	s_and_not1_b32 vcc_lo, exec_lo, s17
	s_cbranch_vccnz .LBB1904_4
; %bb.3:
	v_dual_add_nc_u32 v2, s16, v40 :: v_dual_cndmask_b32 v1, 0, v1, s2
	v_cmp_gt_u32_e32 vcc_lo, s23, v40
	v_dual_add_nc_u32 v3, s16, v38 :: v_dual_add_nc_u32 v4, s16, v36
	v_dual_add_nc_u32 v7, s16, v30 :: v_dual_add_nc_u32 v8, s16, v28
	s_delay_alu instid0(VALU_DEP_4)
	v_cndmask_b32_e32 v2, 0, v2, vcc_lo
	v_cmp_gt_u32_e32 vcc_lo, s23, v38
	v_dual_add_nc_u32 v11, s16, v22 :: v_dual_add_nc_u32 v12, s16, v20
	v_cndmask_b32_e32 v3, 0, v3, vcc_lo
	v_cmp_gt_u32_e32 vcc_lo, s23, v36
	v_dual_cndmask_b32 v4, 0, v4 :: v_dual_add_nc_u32 v5, s16, v34
	v_cmp_gt_u32_e32 vcc_lo, s23, v34
	s_delay_alu instid0(VALU_DEP_2) | instskip(SKIP_1) | instid1(VALU_DEP_2)
	v_dual_cndmask_b32 v5, 0, v5 :: v_dual_add_nc_u32 v6, s16, v32
	v_cmp_gt_u32_e32 vcc_lo, s23, v32
	v_cndmask_b32_e32 v6, 0, v6, vcc_lo
	v_cmp_gt_u32_e32 vcc_lo, s23, v30
	v_cndmask_b32_e32 v7, 0, v7, vcc_lo
	v_cmp_gt_u32_e32 vcc_lo, s23, v28
	v_dual_cndmask_b32 v8, 0, v8 :: v_dual_add_nc_u32 v9, s16, v26
	v_cmp_gt_u32_e32 vcc_lo, s23, v26
	s_delay_alu instid0(VALU_DEP_2) | instskip(SKIP_1) | instid1(VALU_DEP_2)
	v_dual_cndmask_b32 v9, 0, v9 :: v_dual_add_nc_u32 v10, s16, v24
	v_cmp_gt_u32_e32 vcc_lo, s23, v24
	v_cndmask_b32_e32 v10, 0, v10, vcc_lo
	v_cmp_gt_u32_e32 vcc_lo, s23, v22
	v_cndmask_b32_e32 v11, 0, v11, vcc_lo
	v_cmp_gt_u32_e32 vcc_lo, s23, v20
	v_dual_cndmask_b32 v12, 0, v12 :: v_dual_add_nc_u32 v13, s16, v18
	v_cmp_gt_u32_e32 vcc_lo, s23, v18
	s_delay_alu instid0(VALU_DEP_2)
	v_cndmask_b32_e32 v13, 0, v13, vcc_lo
	ds_store_2addr_stride64_b32 v19, v1, v2 offset1:4
	ds_store_2addr_stride64_b32 v19, v3, v4 offset0:8 offset1:12
	ds_store_2addr_stride64_b32 v19, v5, v6 offset0:16 offset1:20
	;; [unrolled: 1-line block ×5, first 2 shown]
	ds_store_b32 v19, v13 offset:12288
	s_wait_dscnt 0x0
	s_barrier_signal -1
	s_barrier_wait -1
.LBB1904_4:
	v_mul_u32_u24_e32 v23, 13, v0
	v_cndmask_b32_e64 v21, 0, 1, s11
	s_and_not1_b32 vcc_lo, exec_lo, s11
	s_delay_alu instid0(VALU_DEP_2)
	v_lshlrev_b32_e32 v2, 2, v23
	ds_load_2addr_b32 v[50:51], v2 offset0:2 offset1:3
	ds_load_2addr_b32 v[46:47], v2 offset0:6 offset1:7
	ds_load_2addr_b32 v[48:49], v2 offset0:4 offset1:5
	ds_load_2addr_b32 v[52:53], v2 offset1:1
	ds_load_2addr_b32 v[42:43], v2 offset0:10 offset1:11
	ds_load_b32 v1, v2 offset:48
	ds_load_2addr_b32 v[44:45], v2 offset0:8 offset1:9
	s_wait_dscnt 0x0
	s_barrier_signal -1
	s_barrier_wait -1
	s_cbranch_vccnz .LBB1904_6
; %bb.5:
	v_dual_add_nc_u32 v2, s5, v51 :: v_dual_add_nc_u32 v3, s5, v53
	v_dual_add_nc_u32 v4, s5, v52 :: v_dual_add_nc_u32 v5, s5, v50
	;; [unrolled: 1-line block ×4, first 2 shown]
	s_delay_alu instid0(VALU_DEP_3) | instskip(NEXT) | instid1(VALU_DEP_4)
	v_mul_lo_u32 v5, v5, s4
	v_mul_lo_u32 v4, v4, s4
	;; [unrolled: 1-line block ×8, first 2 shown]
	v_dual_add_nc_u32 v10, s5, v48 :: v_dual_add_nc_u32 v11, s7, v48
	v_dual_add_nc_u32 v14, s7, v43 :: v_dual_add_nc_u32 v15, s5, v42
	;; [unrolled: 1-line block ×3, first 2 shown]
	s_delay_alu instid0(VALU_DEP_3)
	v_mul_lo_u32 v10, v10, s4
	v_dual_sub_nc_u32 v2, v2, v6 :: v_dual_sub_nc_u32 v3, v3, v7
	v_dual_sub_nc_u32 v4, v4, v8 :: v_dual_sub_nc_u32 v5, v5, v9
	v_dual_add_nc_u32 v6, s5, v49 :: v_dual_add_nc_u32 v7, s7, v49
	v_dual_add_nc_u32 v8, s5, v47 :: v_dual_add_nc_u32 v9, s7, v47
	v_mul_lo_u32 v11, v11, s6
	s_delay_alu instid0(VALU_DEP_3) | instskip(NEXT) | instid1(VALU_DEP_4)
	v_mul_lo_u32 v6, v6, s4
	v_mul_lo_u32 v7, v7, s6
	s_delay_alu instid0(VALU_DEP_4)
	v_mul_lo_u32 v8, v8, s4
	v_mul_lo_u32 v9, v9, s6
	v_cmp_lt_u32_e32 vcc_lo, s3, v2
	v_dual_add_nc_u32 v12, s5, v46 :: v_dual_add_nc_u32 v13, s5, v44
	v_mul_lo_u32 v14, v14, s6
	v_mul_lo_u32 v16, v16, s6
	v_cndmask_b32_e64 v2, 0, 1, vcc_lo
	v_cmp_lt_u32_e32 vcc_lo, s3, v3
	v_mul_lo_u32 v13, v13, s4
	v_dual_sub_nc_u32 v6, v6, v7 :: v_dual_add_nc_u32 v7, s7, v46
	v_dual_sub_nc_u32 v8, v8, v9 :: v_dual_sub_nc_u32 v9, v10, v11
	v_dual_add_nc_u32 v11, s5, v45 :: v_dual_add_nc_u32 v10, s5, v43
	v_cndmask_b32_e64 v3, 0, 1, vcc_lo
	s_delay_alu instid0(VALU_DEP_4)
	v_cmp_lt_u32_e32 vcc_lo, s3, v6
	v_mul_lo_u32 v12, v12, s4
	v_mul_lo_u32 v7, v7, s6
	;; [unrolled: 1-line block ×4, first 2 shown]
	v_cndmask_b32_e64 v6, 0, 1, vcc_lo
	v_cmp_lt_u32_e32 vcc_lo, s3, v8
	v_lshlrev_b16 v3, 8, v3
	v_add_nc_u32_e32 v25, s7, v42
	v_mul_lo_u32 v17, v17, s6
	v_lshlrev_b16 v6, 8, v6
	v_cndmask_b32_e64 v8, 0, 1, vcc_lo
	v_cmp_lt_u32_e32 vcc_lo, s3, v4
	v_dual_sub_nc_u32 v7, v12, v7 :: v_dual_sub_nc_u32 v10, v10, v14
	v_mul_lo_u32 v12, v15, s4
	v_mul_lo_u32 v15, v25, s6
	v_dual_add_nc_u32 v25, s7, v1 :: v_dual_lshrrev_b32 v3, 8, v3
	v_sub_nc_u32_e32 v11, v11, v16
	v_cndmask_b32_e64 v4, 0, 1, vcc_lo
	v_cmp_lt_u32_e32 vcc_lo, s3, v10
	v_dual_lshrrev_b32 v6, 8, v6 :: v_dual_add_nc_u32 v14, s5, v1
	v_mul_lo_u32 v16, v25, s6
	v_lshlrev_b16 v2, 8, v2
	v_cndmask_b32_e64 v10, 0, 1, vcc_lo
	v_cmp_lt_u32_e32 vcc_lo, s3, v11
	v_mul_lo_u32 v14, v14, s4
	v_dual_sub_nc_u32 v13, v13, v17 :: v_dual_sub_nc_u32 v12, v12, v15
	v_lshlrev_b16 v3, 8, v3
	v_cndmask_b32_e64 v11, 0, 1, vcc_lo
	v_cmp_lt_u32_e32 vcc_lo, s3, v5
	v_lshrrev_b32_e32 v2, 8, v2
	v_lshlrev_b16 v8, 8, v8
	v_or_b32_e32 v3, v4, v3
	v_lshlrev_b16 v4, 8, v10
	v_cndmask_b32_e64 v5, 0, 1, vcc_lo
	v_cmp_lt_u32_e32 vcc_lo, s3, v9
	v_lshlrev_b16 v10, 8, v11
	v_sub_nc_u32_e32 v11, v14, v16
	v_lshlrev_b16 v2, 8, v2
	v_lshrrev_b32_e32 v4, 8, v4
	v_cndmask_b32_e64 v9, 0, 1, vcc_lo
	v_cmp_lt_u32_e32 vcc_lo, s3, v7
	v_lshrrev_b32_e32 v10, 8, v10
	v_lshlrev_b16 v6, 8, v6
	v_or_b32_e32 v2, v5, v2
	v_lshlrev_b16 v4, 8, v4
	v_cndmask_b32_e64 v7, 0, 1, vcc_lo
	v_cmp_lt_u32_e32 vcc_lo, s3, v13
	v_lshlrev_b16 v10, 8, v10
	v_or_b32_e32 v5, v9, v6
	v_and_b32_e32 v3, 0xffff, v3
	v_dual_lshlrev_b32 v2, 16, v2 :: v_dual_bitop2_b32 v6, v7, v8 bitop3:0x54
	v_cndmask_b32_e64 v13, 0, 1, vcc_lo
	v_cmp_lt_u32_e32 vcc_lo, s3, v12
	s_delay_alu instid0(VALU_DEP_3) | instskip(SKIP_4) | instid1(VALU_DEP_4)
	v_lshlrev_b32_e32 v6, 16, v6
	v_and_b32_e32 v5, 0xffff, v5
	v_or_b32_e32 v35, v3, v2
	v_cndmask_b32_e64 v12, 0, 1, vcc_lo
	v_cmp_lt_u32_e32 vcc_lo, s3, v11
	v_or_b32_e32 v31, v5, v6
	s_delay_alu instid0(VALU_DEP_3) | instskip(SKIP_2) | instid1(VALU_DEP_3)
	v_or_b32_e32 v4, v12, v4
	v_or_b32_e32 v7, v13, v10
	v_cndmask_b32_e64 v25, 0, 1, vcc_lo
	v_lshlrev_b32_e32 v4, 16, v4
	s_delay_alu instid0(VALU_DEP_3) | instskip(NEXT) | instid1(VALU_DEP_1)
	v_and_b32_e32 v7, 0xffff, v7
	v_or_b32_e32 v27, v7, v4
	s_load_b64 s[20:21], s[0:1], 0x68
	s_cbranch_execz .LBB1904_7
	s_branch .LBB1904_34
.LBB1904_6:
                                        ; implicit-def: $vgpr25
                                        ; implicit-def: $vgpr27
                                        ; implicit-def: $vgpr31
                                        ; implicit-def: $vgpr35
	s_load_b64 s[20:21], s[0:1], 0x68
.LBB1904_7:
	v_dual_mov_b32 v3, 0 :: v_dual_mov_b32 v2, 0
	s_mov_b32 s2, exec_lo
	v_cmpx_gt_u32_e64 s23, v23
	s_cbranch_execz .LBB1904_9
; %bb.8:
	v_dual_add_nc_u32 v2, s5, v52 :: v_dual_add_nc_u32 v4, s7, v52
	s_delay_alu instid0(VALU_DEP_1) | instskip(NEXT) | instid1(VALU_DEP_2)
	v_mul_lo_u32 v2, v2, s4
	v_mul_lo_u32 v4, v4, s6
	s_delay_alu instid0(VALU_DEP_1) | instskip(NEXT) | instid1(VALU_DEP_1)
	v_sub_nc_u32_e32 v2, v2, v4
	v_cmp_lt_u32_e32 vcc_lo, s3, v2
	v_cndmask_b32_e64 v2, 0, 1, vcc_lo
.LBB1904_9:
	s_or_b32 exec_lo, exec_lo, s2
	v_add_nc_u32_e32 v4, 1, v23
	s_mov_b32 s2, exec_lo
	s_delay_alu instid0(VALU_DEP_1)
	v_cmpx_gt_u32_e64 s23, v4
	s_cbranch_execz .LBB1904_11
; %bb.10:
	v_dual_add_nc_u32 v3, s5, v53 :: v_dual_add_nc_u32 v4, s7, v53
	s_delay_alu instid0(VALU_DEP_1) | instskip(NEXT) | instid1(VALU_DEP_2)
	v_mul_lo_u32 v3, v3, s4
	v_mul_lo_u32 v4, v4, s6
	s_delay_alu instid0(VALU_DEP_1) | instskip(NEXT) | instid1(VALU_DEP_1)
	v_sub_nc_u32_e32 v3, v3, v4
	v_cmp_lt_u32_e32 vcc_lo, s3, v3
	v_cndmask_b32_e64 v3, 0, 1, vcc_lo
.LBB1904_11:
	s_or_b32 exec_lo, exec_lo, s2
	v_dual_mov_b32 v5, 0 :: v_dual_add_nc_u32 v4, 2, v23
	s_delay_alu instid0(VALU_DEP_1)
	v_cmp_gt_u32_e32 vcc_lo, s23, v4
	v_mov_b32_e32 v4, 0
	s_and_saveexec_b32 s2, vcc_lo
	s_cbranch_execz .LBB1904_13
; %bb.12:
	v_dual_add_nc_u32 v4, s5, v50 :: v_dual_add_nc_u32 v6, s7, v50
	s_delay_alu instid0(VALU_DEP_1) | instskip(NEXT) | instid1(VALU_DEP_2)
	v_mul_lo_u32 v4, v4, s4
	v_mul_lo_u32 v6, v6, s6
	s_delay_alu instid0(VALU_DEP_1) | instskip(NEXT) | instid1(VALU_DEP_1)
	v_sub_nc_u32_e32 v4, v4, v6
	v_cmp_lt_u32_e32 vcc_lo, s3, v4
	v_cndmask_b32_e64 v4, 0, 1, vcc_lo
.LBB1904_13:
	s_or_b32 exec_lo, exec_lo, s2
	v_add_nc_u32_e32 v6, 3, v23
	s_mov_b32 s2, exec_lo
	s_delay_alu instid0(VALU_DEP_1)
	v_cmpx_gt_u32_e64 s23, v6
	s_cbranch_execz .LBB1904_15
; %bb.14:
	v_dual_add_nc_u32 v5, s5, v51 :: v_dual_add_nc_u32 v6, s7, v51
	s_delay_alu instid0(VALU_DEP_1) | instskip(NEXT) | instid1(VALU_DEP_2)
	v_mul_lo_u32 v5, v5, s4
	v_mul_lo_u32 v6, v6, s6
	s_delay_alu instid0(VALU_DEP_1) | instskip(NEXT) | instid1(VALU_DEP_1)
	v_sub_nc_u32_e32 v5, v5, v6
	v_cmp_lt_u32_e32 vcc_lo, s3, v5
	v_cndmask_b32_e64 v5, 0, 1, vcc_lo
.LBB1904_15:
	s_or_b32 exec_lo, exec_lo, s2
	v_dual_mov_b32 v7, 0 :: v_dual_add_nc_u32 v6, 4, v23
	s_delay_alu instid0(VALU_DEP_1)
	v_cmp_gt_u32_e32 vcc_lo, s23, v6
	v_mov_b32_e32 v6, 0
	s_and_saveexec_b32 s2, vcc_lo
	;; [unrolled: 33-line block ×5, first 2 shown]
	s_cbranch_execz .LBB1904_29
; %bb.28:
	v_dual_add_nc_u32 v12, s5, v42 :: v_dual_add_nc_u32 v14, s7, v42
	s_delay_alu instid0(VALU_DEP_1) | instskip(NEXT) | instid1(VALU_DEP_2)
	v_mul_lo_u32 v12, v12, s4
	v_mul_lo_u32 v14, v14, s6
	s_delay_alu instid0(VALU_DEP_1) | instskip(NEXT) | instid1(VALU_DEP_1)
	v_sub_nc_u32_e32 v12, v12, v14
	v_cmp_lt_u32_e32 vcc_lo, s3, v12
	v_cndmask_b32_e64 v12, 0, 1, vcc_lo
.LBB1904_29:
	s_or_b32 exec_lo, exec_lo, s2
	v_add_nc_u32_e32 v14, 11, v23
	s_mov_b32 s2, exec_lo
	s_delay_alu instid0(VALU_DEP_1)
	v_cmpx_gt_u32_e64 s23, v14
	s_cbranch_execz .LBB1904_31
; %bb.30:
	v_dual_add_nc_u32 v13, s5, v43 :: v_dual_add_nc_u32 v14, s7, v43
	s_delay_alu instid0(VALU_DEP_1) | instskip(NEXT) | instid1(VALU_DEP_2)
	v_mul_lo_u32 v13, v13, s4
	v_mul_lo_u32 v14, v14, s6
	s_delay_alu instid0(VALU_DEP_1) | instskip(NEXT) | instid1(VALU_DEP_1)
	v_sub_nc_u32_e32 v13, v13, v14
	v_cmp_lt_u32_e32 vcc_lo, s3, v13
	v_cndmask_b32_e64 v13, 0, 1, vcc_lo
.LBB1904_31:
	s_or_b32 exec_lo, exec_lo, s2
	v_dual_mov_b32 v25, 0 :: v_dual_add_nc_u32 v14, 12, v23
	s_mov_b32 s2, exec_lo
	s_delay_alu instid0(VALU_DEP_1)
	v_cmpx_gt_u32_e64 s23, v14
	s_cbranch_execz .LBB1904_33
; %bb.32:
	v_dual_add_nc_u32 v14, s7, v1 :: v_dual_add_nc_u32 v15, s5, v1
	s_delay_alu instid0(VALU_DEP_1) | instskip(NEXT) | instid1(VALU_DEP_2)
	v_mul_lo_u32 v14, v14, s6
	v_mul_lo_u32 v15, v15, s4
	s_delay_alu instid0(VALU_DEP_1) | instskip(NEXT) | instid1(VALU_DEP_1)
	v_sub_nc_u32_e32 v14, v15, v14
	v_cmp_lt_u32_e32 vcc_lo, s3, v14
	v_cndmask_b32_e64 v25, 0, 1, vcc_lo
.LBB1904_33:
	s_or_b32 exec_lo, exec_lo, s2
	v_lshlrev_b16 v5, 8, v5
	v_lshlrev_b16 v7, 8, v7
	;; [unrolled: 1-line block ×5, first 2 shown]
	v_or_b32_e32 v4, v4, v5
	v_or_b32_e32 v5, v6, v7
	;; [unrolled: 1-line block ×3, first 2 shown]
	s_delay_alu instid0(VALU_DEP_4) | instskip(NEXT) | instid1(VALU_DEP_3)
	v_or_b32_e32 v7, v10, v11
	v_and_b32_e32 v5, 0xffff, v5
	s_delay_alu instid0(VALU_DEP_3) | instskip(SKIP_3) | instid1(VALU_DEP_4)
	v_dual_lshlrev_b32 v6, 16, v6 :: v_dual_bitop2_b32 v2, v2, v3 bitop3:0x54
	v_lshlrev_b32_e32 v4, 16, v4
	v_lshlrev_b16 v3, 8, v13
	v_and_b32_e32 v7, 0xffff, v7
	v_or_b32_e32 v31, v5, v6
	v_and_b32_e32 v2, 0xffff, v2
	s_delay_alu instid0(VALU_DEP_4) | instskip(NEXT) | instid1(VALU_DEP_1)
	v_or_b32_e32 v3, v12, v3
	v_dual_lshlrev_b32 v3, 16, v3 :: v_dual_bitop2_b32 v35, v2, v4 bitop3:0x54
	s_delay_alu instid0(VALU_DEP_1)
	v_or_b32_e32 v27, v7, v3
.LBB1904_34:
	s_delay_alu instid0(VALU_DEP_2)
	v_bfe_u32 v39, v35, 16, 8
	v_bfe_u32 v41, v35, 8, 8
	v_and_b32_e32 v55, 0xff, v35
	v_and_b32_e32 v56, 0xff, v31
	v_mbcnt_lo_u32_b32 v62, -1, 0
	v_lshrrev_b32_e32 v37, 24, v35
	v_bfe_u32 v57, v31, 16, 8
	v_add3_u32 v2, v41, v55, v39
	v_bfe_u32 v58, v31, 8, 8
	v_and_b32_e32 v4, 15, v62
	s_load_b64 s[16:17], s[0:1], 0x28
	v_dual_lshrrev_b32 v33, 24, v31 :: v_dual_lshrrev_b32 v63, 5, v0
	v_add3_u32 v2, v2, v37, v56
	v_and_b32_e32 v59, 0xff, v27
	v_bfe_u32 v60, v27, 16, 8
	v_bfe_u32 v61, v27, 8, 8
	v_dual_lshrrev_b32 v29, 24, v27 :: v_dual_bitop2_b32 v5, 31, v0 bitop3:0x54
	v_add3_u32 v2, v2, v58, v57
	v_and_b32_e32 v3, 0xff, v25
	v_and_b32_e32 v6, 16, v62
	v_cmp_eq_u32_e64 s5, 0, v4
	v_cmp_lt_u32_e64 s4, 1, v4
	v_add3_u32 v2, v2, v33, v59
	v_cmp_lt_u32_e64 s3, 3, v4
	v_cmp_lt_u32_e64 s2, 7, v4
	s_wait_xcnt 0x0
	v_cmp_eq_u32_e64 s1, 0, v6
	v_cmp_eq_u32_e64 s0, v0, v5
	v_add3_u32 v2, v2, v61, v60
	s_cmp_lg_u32 s24, 0
	s_mov_b32 s6, -1
	s_delay_alu instid0(VALU_DEP_1)
	v_add3_u32 v64, v2, v29, v3
	s_cbranch_scc0 .LBB1904_56
; %bb.35:
	s_delay_alu instid0(VALU_DEP_1) | instskip(NEXT) | instid1(VALU_DEP_1)
	v_mov_b32_dpp v2, v64 row_shr:1 row_mask:0xf bank_mask:0xf
	v_cndmask_b32_e64 v2, v2, 0, s5
	s_delay_alu instid0(VALU_DEP_1) | instskip(NEXT) | instid1(VALU_DEP_1)
	v_add_nc_u32_e32 v2, v2, v64
	v_mov_b32_dpp v3, v2 row_shr:2 row_mask:0xf bank_mask:0xf
	s_delay_alu instid0(VALU_DEP_1) | instskip(NEXT) | instid1(VALU_DEP_1)
	v_cndmask_b32_e64 v3, 0, v3, s4
	v_add_nc_u32_e32 v2, v2, v3
	s_delay_alu instid0(VALU_DEP_1) | instskip(NEXT) | instid1(VALU_DEP_1)
	v_mov_b32_dpp v3, v2 row_shr:4 row_mask:0xf bank_mask:0xf
	v_cndmask_b32_e64 v3, 0, v3, s3
	s_delay_alu instid0(VALU_DEP_1) | instskip(NEXT) | instid1(VALU_DEP_1)
	v_add_nc_u32_e32 v2, v2, v3
	v_mov_b32_dpp v3, v2 row_shr:8 row_mask:0xf bank_mask:0xf
	s_delay_alu instid0(VALU_DEP_1) | instskip(NEXT) | instid1(VALU_DEP_1)
	v_cndmask_b32_e64 v3, 0, v3, s2
	v_add_nc_u32_e32 v2, v2, v3
	ds_swizzle_b32 v3, v2 offset:swizzle(BROADCAST,32,15)
	s_wait_dscnt 0x0
	v_cndmask_b32_e64 v3, v3, 0, s1
	s_delay_alu instid0(VALU_DEP_1)
	v_add_nc_u32_e32 v2, v2, v3
	s_and_saveexec_b32 s6, s0
; %bb.36:
	v_lshlrev_b32_e32 v3, 2, v63
	ds_store_b32 v3, v2
; %bb.37:
	s_or_b32 exec_lo, exec_lo, s6
	s_delay_alu instid0(SALU_CYCLE_1)
	s_mov_b32 s6, exec_lo
	s_wait_dscnt 0x0
	s_barrier_signal -1
	s_barrier_wait -1
	v_cmpx_gt_u32_e32 8, v0
	s_cbranch_execz .LBB1904_39
; %bb.38:
	ds_load_b32 v3, v19
	s_wait_dscnt 0x0
	v_mov_b32_dpp v5, v3 row_shr:1 row_mask:0xf bank_mask:0xf
	v_and_b32_e32 v4, 7, v62
	s_delay_alu instid0(VALU_DEP_1) | instskip(NEXT) | instid1(VALU_DEP_3)
	v_cmp_ne_u32_e32 vcc_lo, 0, v4
	v_cndmask_b32_e32 v5, 0, v5, vcc_lo
	v_cmp_lt_u32_e32 vcc_lo, 1, v4
	s_delay_alu instid0(VALU_DEP_2) | instskip(NEXT) | instid1(VALU_DEP_1)
	v_add_nc_u32_e32 v3, v5, v3
	v_mov_b32_dpp v5, v3 row_shr:2 row_mask:0xf bank_mask:0xf
	s_delay_alu instid0(VALU_DEP_1) | instskip(SKIP_1) | instid1(VALU_DEP_2)
	v_cndmask_b32_e32 v5, 0, v5, vcc_lo
	v_cmp_lt_u32_e32 vcc_lo, 3, v4
	v_add_nc_u32_e32 v3, v3, v5
	s_delay_alu instid0(VALU_DEP_1) | instskip(NEXT) | instid1(VALU_DEP_1)
	v_mov_b32_dpp v5, v3 row_shr:4 row_mask:0xf bank_mask:0xf
	v_cndmask_b32_e32 v4, 0, v5, vcc_lo
	s_delay_alu instid0(VALU_DEP_1)
	v_add_nc_u32_e32 v3, v3, v4
	ds_store_b32 v19, v3
.LBB1904_39:
	s_or_b32 exec_lo, exec_lo, s6
	s_delay_alu instid0(SALU_CYCLE_1)
	s_mov_b32 s7, exec_lo
	v_cmp_gt_u32_e32 vcc_lo, 32, v0
	s_wait_dscnt 0x0
	s_barrier_signal -1
	s_barrier_wait -1
                                        ; implicit-def: $vgpr10
	v_cmpx_lt_u32_e32 31, v0
	s_cbranch_execz .LBB1904_41
; %bb.40:
	v_lshl_add_u32 v3, v63, 2, -4
	ds_load_b32 v10, v3
	s_wait_dscnt 0x0
	v_add_nc_u32_e32 v2, v10, v2
.LBB1904_41:
	s_or_b32 exec_lo, exec_lo, s7
	v_sub_co_u32 v3, s6, v62, 1
	s_delay_alu instid0(VALU_DEP_1) | instskip(NEXT) | instid1(VALU_DEP_1)
	v_cmp_gt_i32_e64 s7, 0, v3
	v_cndmask_b32_e64 v3, v3, v62, s7
	s_delay_alu instid0(VALU_DEP_1)
	v_lshlrev_b32_e32 v3, 2, v3
	ds_bpermute_b32 v11, v3, v2
	s_and_saveexec_b32 s7, vcc_lo
	s_cbranch_execz .LBB1904_61
; %bb.42:
	v_mov_b32_e32 v9, 0
	ds_load_b32 v2, v9 offset:28
	s_and_saveexec_b32 s11, s6
	s_cbranch_execz .LBB1904_44
; %bb.43:
	s_add_co_i32 s25, s24, 32
	s_delay_alu instid0(SALU_CYCLE_1)
	v_dual_mov_b32 v3, 1 :: v_dual_mov_b32 v4, s25
	s_wait_dscnt 0x0
	s_wait_kmcnt 0x0
	global_store_b64 v4, v[2:3], s[20:21] scale_offset scope:SCOPE_DEV
.LBB1904_44:
	s_wait_xcnt 0x0
	s_or_b32 exec_lo, exec_lo, s11
	v_xad_u32 v4, v62, -1, s24
	s_mov_b32 s25, 0
	s_mov_b32 s11, exec_lo
	s_delay_alu instid0(VALU_DEP_1)
	v_add_nc_u32_e32 v8, 32, v4
	s_wait_kmcnt 0x0
	global_load_b64 v[6:7], v8, s[20:21] scale_offset scope:SCOPE_DEV
	s_wait_loadcnt 0x0
	v_and_b32_e32 v3, 0xff, v7
	s_wait_xcnt 0x0
	s_delay_alu instid0(VALU_DEP_1)
	v_cmpx_eq_u16_e32 0, v3
	s_cbranch_execz .LBB1904_48
; %bb.45:
	v_lshl_add_u64 v[8:9], v[8:9], 3, s[20:21]
.LBB1904_46:                            ; =>This Inner Loop Header: Depth=1
	global_load_b64 v[6:7], v[8:9], off scope:SCOPE_DEV
	s_wait_loadcnt 0x0
	v_and_b32_e32 v3, 0xff, v7
	s_delay_alu instid0(VALU_DEP_1)
	v_cmp_ne_u16_e32 vcc_lo, 0, v3
	s_or_b32 s25, vcc_lo, s25
	s_wait_xcnt 0x0
	s_and_not1_b32 exec_lo, exec_lo, s25
	s_cbranch_execnz .LBB1904_46
; %bb.47:
	s_or_b32 exec_lo, exec_lo, s25
.LBB1904_48:
	s_delay_alu instid0(SALU_CYCLE_1)
	s_or_b32 exec_lo, exec_lo, s11
	v_cmp_ne_u32_e32 vcc_lo, 31, v62
	v_lshlrev_b32_e64 v13, v62, -1
	v_dual_add_nc_u32 v15, 2, v62 :: v_dual_add_nc_u32 v17, 4, v62
	v_dual_add_nc_u32 v65, 8, v62 :: v_dual_add_nc_u32 v67, 16, v62
	v_add_co_ci_u32_e64 v3, null, 0, v62, vcc_lo
	v_lshl_or_b32 v66, v62, 2, 64
	s_delay_alu instid0(VALU_DEP_2)
	v_lshlrev_b32_e32 v12, 2, v3
	v_and_b32_e32 v3, 0xff, v7
	ds_bpermute_b32 v5, v12, v6
	v_cmp_eq_u16_e32 vcc_lo, 2, v3
	v_and_or_b32 v3, vcc_lo, v13, 0x80000000
	v_cmp_gt_u32_e32 vcc_lo, 30, v62
	s_delay_alu instid0(VALU_DEP_2) | instskip(SKIP_1) | instid1(VALU_DEP_2)
	v_ctz_i32_b32_e32 v3, v3
	v_cndmask_b32_e64 v8, 0, 2, vcc_lo
	v_cmp_lt_u32_e32 vcc_lo, v62, v3
	s_delay_alu instid0(VALU_DEP_2)
	v_add_lshl_u32 v14, v8, v62, 2
	s_wait_dscnt 0x0
	v_cndmask_b32_e32 v5, 0, v5, vcc_lo
	v_cmp_gt_u32_e32 vcc_lo, 28, v62
	v_cndmask_b32_e64 v8, 0, 4, vcc_lo
	v_cmp_le_u32_e32 vcc_lo, v15, v3
	s_delay_alu instid0(VALU_DEP_4) | instskip(NEXT) | instid1(VALU_DEP_3)
	v_add_nc_u32_e32 v5, v5, v6
	v_add_lshl_u32 v16, v8, v62, 2
	ds_bpermute_b32 v6, v14, v5
	s_wait_dscnt 0x0
	v_cndmask_b32_e32 v6, 0, v6, vcc_lo
	v_cmp_gt_u32_e32 vcc_lo, 24, v62
	v_cndmask_b32_e64 v8, 0, 8, vcc_lo
	v_cmp_le_u32_e32 vcc_lo, v17, v3
	s_delay_alu instid0(VALU_DEP_4) | instskip(NEXT) | instid1(VALU_DEP_3)
	v_add_nc_u32_e32 v5, v5, v6
	v_add_lshl_u32 v54, v8, v62, 2
	ds_bpermute_b32 v6, v16, v5
	s_wait_dscnt 0x0
	v_cndmask_b32_e32 v6, 0, v6, vcc_lo
	v_cmp_le_u32_e32 vcc_lo, v65, v3
	s_delay_alu instid0(VALU_DEP_2) | instskip(SKIP_4) | instid1(VALU_DEP_2)
	v_add_nc_u32_e32 v5, v5, v6
	ds_bpermute_b32 v6, v54, v5
	s_wait_dscnt 0x0
	v_cndmask_b32_e32 v6, 0, v6, vcc_lo
	v_cmp_le_u32_e32 vcc_lo, v67, v3
	v_add_nc_u32_e32 v5, v5, v6
	ds_bpermute_b32 v6, v66, v5
	s_wait_dscnt 0x0
	v_cndmask_b32_e32 v3, 0, v6, vcc_lo
	s_delay_alu instid0(VALU_DEP_1)
	v_dual_mov_b32 v5, 0 :: v_dual_add_nc_u32 v6, v5, v3
	s_branch .LBB1904_52
.LBB1904_49:                            ;   in Loop: Header=BB1904_52 Depth=1
	s_or_b32 exec_lo, exec_lo, s25
.LBB1904_50:                            ;   in Loop: Header=BB1904_52 Depth=1
	s_delay_alu instid0(SALU_CYCLE_1)
	s_or_b32 exec_lo, exec_lo, s11
	v_and_b32_e32 v8, 0xff, v7
	ds_bpermute_b32 v9, v12, v6
	v_subrev_nc_u32_e32 v4, 32, v4
	s_mov_b32 s11, 0
	v_cmp_eq_u16_e32 vcc_lo, 2, v8
	v_and_or_b32 v8, vcc_lo, v13, 0x80000000
	s_delay_alu instid0(VALU_DEP_1) | instskip(NEXT) | instid1(VALU_DEP_1)
	v_ctz_i32_b32_e32 v8, v8
	v_cmp_lt_u32_e32 vcc_lo, v62, v8
	s_wait_dscnt 0x0
	v_cndmask_b32_e32 v9, 0, v9, vcc_lo
	v_cmp_le_u32_e32 vcc_lo, v15, v8
	s_delay_alu instid0(VALU_DEP_2) | instskip(SKIP_4) | instid1(VALU_DEP_2)
	v_add_nc_u32_e32 v6, v9, v6
	ds_bpermute_b32 v9, v14, v6
	s_wait_dscnt 0x0
	v_cndmask_b32_e32 v9, 0, v9, vcc_lo
	v_cmp_le_u32_e32 vcc_lo, v17, v8
	v_add_nc_u32_e32 v6, v6, v9
	ds_bpermute_b32 v9, v16, v6
	s_wait_dscnt 0x0
	v_cndmask_b32_e32 v9, 0, v9, vcc_lo
	v_cmp_le_u32_e32 vcc_lo, v65, v8
	s_delay_alu instid0(VALU_DEP_2) | instskip(SKIP_4) | instid1(VALU_DEP_2)
	v_add_nc_u32_e32 v6, v6, v9
	ds_bpermute_b32 v9, v54, v6
	s_wait_dscnt 0x0
	v_cndmask_b32_e32 v9, 0, v9, vcc_lo
	v_cmp_le_u32_e32 vcc_lo, v67, v8
	v_add_nc_u32_e32 v6, v6, v9
	ds_bpermute_b32 v9, v66, v6
	s_wait_dscnt 0x0
	v_cndmask_b32_e32 v8, 0, v9, vcc_lo
	s_delay_alu instid0(VALU_DEP_1)
	v_add3_u32 v6, v8, v3, v6
.LBB1904_51:                            ;   in Loop: Header=BB1904_52 Depth=1
	s_and_b32 vcc_lo, exec_lo, s11
	s_cbranch_vccnz .LBB1904_57
.LBB1904_52:                            ; =>This Loop Header: Depth=1
                                        ;     Child Loop BB1904_55 Depth 2
	v_and_b32_e32 v3, 0xff, v7
	s_mov_b32 s11, -1
                                        ; implicit-def: $vgpr7
	s_delay_alu instid0(VALU_DEP_1)
	v_cmp_ne_u16_e32 vcc_lo, 2, v3
	v_mov_b32_e32 v3, v6
                                        ; implicit-def: $vgpr6
	s_cmp_lg_u32 vcc_lo, exec_lo
	s_cbranch_scc1 .LBB1904_51
; %bb.53:                               ;   in Loop: Header=BB1904_52 Depth=1
	global_load_b64 v[6:7], v4, s[20:21] scale_offset scope:SCOPE_DEV
	s_mov_b32 s11, exec_lo
	s_wait_loadcnt 0x0
	v_and_b32_e32 v8, 0xff, v7
	s_wait_xcnt 0x0
	s_delay_alu instid0(VALU_DEP_1)
	v_cmpx_eq_u16_e32 0, v8
	s_cbranch_execz .LBB1904_50
; %bb.54:                               ;   in Loop: Header=BB1904_52 Depth=1
	v_lshl_add_u64 v[8:9], v[4:5], 3, s[20:21]
	s_mov_b32 s25, 0
.LBB1904_55:                            ;   Parent Loop BB1904_52 Depth=1
                                        ; =>  This Inner Loop Header: Depth=2
	global_load_b64 v[6:7], v[8:9], off scope:SCOPE_DEV
	s_wait_loadcnt 0x0
	v_and_b32_e32 v68, 0xff, v7
	s_delay_alu instid0(VALU_DEP_1)
	v_cmp_ne_u16_e32 vcc_lo, 0, v68
	s_or_b32 s25, vcc_lo, s25
	s_wait_xcnt 0x0
	s_and_not1_b32 exec_lo, exec_lo, s25
	s_cbranch_execnz .LBB1904_55
	s_branch .LBB1904_49
.LBB1904_56:
                                        ; implicit-def: $vgpr2_vgpr3_vgpr4_vgpr5_vgpr6_vgpr7_vgpr8_vgpr9_vgpr10_vgpr11_vgpr12_vgpr13_vgpr14_vgpr15_vgpr16_vgpr17
                                        ; implicit-def: $vgpr54
                                        ; implicit-def: $vgpr16
	s_and_b32 vcc_lo, exec_lo, s6
	s_cbranch_vccnz .LBB1904_62
	s_branch .LBB1904_71
.LBB1904_57:
	s_and_saveexec_b32 s11, s6
	s_cbranch_execz .LBB1904_59
; %bb.58:
	s_add_co_i32 s24, s24, 32
	v_dual_mov_b32 v5, 2 :: v_dual_add_nc_u32 v4, v3, v2
	v_dual_mov_b32 v6, s24 :: v_dual_mov_b32 v7, 0
	global_store_b64 v6, v[4:5], s[20:21] scale_offset scope:SCOPE_DEV
	ds_store_b64 v7, v[2:3] offset:13312
.LBB1904_59:
	s_wait_xcnt 0x0
	s_or_b32 exec_lo, exec_lo, s11
	v_cmp_eq_u32_e32 vcc_lo, 0, v0
	s_and_b32 exec_lo, exec_lo, vcc_lo
; %bb.60:
	v_mov_b32_e32 v2, 0
	ds_store_b32 v2, v3 offset:28
.LBB1904_61:
	s_or_b32 exec_lo, exec_lo, s7
	s_wait_dscnt 0x0
	v_dual_mov_b32 v12, 0 :: v_dual_cndmask_b32 v3, v11, v10, s6
	s_wait_storecnt 0x0
	s_barrier_signal -1
	s_barrier_wait -1
	ds_load_b32 v2, v12 offset:28
	v_cmp_ne_u32_e32 vcc_lo, 0, v0
	s_wait_dscnt 0x0
	s_barrier_signal -1
	s_barrier_wait -1
	v_cndmask_b32_e32 v3, 0, v3, vcc_lo
	ds_load_b64 v[16:17], v12 offset:13312
	v_add_nc_u32_e32 v2, v2, v3
	s_wait_dscnt 0x0
	s_delay_alu instid0(VALU_DEP_1) | instskip(NEXT) | instid1(VALU_DEP_1)
	v_dual_mov_b32 v54, v17 :: v_dual_add_nc_u32 v3, v2, v55
	v_add_nc_u32_e32 v4, v3, v41
	s_delay_alu instid0(VALU_DEP_1) | instskip(NEXT) | instid1(VALU_DEP_1)
	v_add_nc_u32_e32 v5, v4, v39
	v_add_nc_u32_e32 v6, v5, v37
	s_delay_alu instid0(VALU_DEP_1) | instskip(NEXT) | instid1(VALU_DEP_1)
	v_add_nc_u32_e32 v7, v6, v56
	v_add_nc_u32_e32 v8, v7, v58
	s_delay_alu instid0(VALU_DEP_1) | instskip(NEXT) | instid1(VALU_DEP_1)
	v_add_nc_u32_e32 v9, v8, v57
	v_add_nc_u32_e32 v10, v9, v33
	s_delay_alu instid0(VALU_DEP_1) | instskip(NEXT) | instid1(VALU_DEP_1)
	v_add_nc_u32_e32 v11, v10, v59
	v_add_nc_u32_e32 v12, v11, v61
	s_delay_alu instid0(VALU_DEP_1) | instskip(NEXT) | instid1(VALU_DEP_1)
	v_add_nc_u32_e32 v13, v12, v60
	v_add_nc_u32_e32 v14, v13, v29
	s_branch .LBB1904_71
.LBB1904_62:
	v_mov_b32_dpp v2, v64 row_shr:1 row_mask:0xf bank_mask:0xf
	s_delay_alu instid0(VALU_DEP_1) | instskip(NEXT) | instid1(VALU_DEP_1)
	v_cndmask_b32_e64 v2, v2, 0, s5
	v_add_nc_u32_e32 v2, v2, v64
	s_delay_alu instid0(VALU_DEP_1) | instskip(NEXT) | instid1(VALU_DEP_1)
	v_mov_b32_dpp v3, v2 row_shr:2 row_mask:0xf bank_mask:0xf
	v_cndmask_b32_e64 v3, 0, v3, s4
	s_delay_alu instid0(VALU_DEP_1) | instskip(NEXT) | instid1(VALU_DEP_1)
	v_add_nc_u32_e32 v2, v2, v3
	v_mov_b32_dpp v3, v2 row_shr:4 row_mask:0xf bank_mask:0xf
	s_delay_alu instid0(VALU_DEP_1) | instskip(NEXT) | instid1(VALU_DEP_1)
	v_cndmask_b32_e64 v3, 0, v3, s3
	v_add_nc_u32_e32 v2, v2, v3
	s_delay_alu instid0(VALU_DEP_1) | instskip(NEXT) | instid1(VALU_DEP_1)
	v_mov_b32_dpp v3, v2 row_shr:8 row_mask:0xf bank_mask:0xf
	v_cndmask_b32_e64 v3, 0, v3, s2
	s_delay_alu instid0(VALU_DEP_1) | instskip(SKIP_3) | instid1(VALU_DEP_1)
	v_add_nc_u32_e32 v2, v2, v3
	ds_swizzle_b32 v3, v2 offset:swizzle(BROADCAST,32,15)
	s_wait_dscnt 0x0
	v_cndmask_b32_e64 v3, v3, 0, s1
	v_add_nc_u32_e32 v2, v2, v3
	s_and_saveexec_b32 s1, s0
; %bb.63:
	v_lshlrev_b32_e32 v3, 2, v63
	ds_store_b32 v3, v2
; %bb.64:
	s_or_b32 exec_lo, exec_lo, s1
	s_delay_alu instid0(SALU_CYCLE_1)
	s_mov_b32 s0, exec_lo
	s_wait_dscnt 0x0
	s_barrier_signal -1
	s_barrier_wait -1
	v_cmpx_gt_u32_e32 8, v0
	s_cbranch_execz .LBB1904_66
; %bb.65:
	ds_load_b32 v3, v19
	s_wait_dscnt 0x0
	v_mov_b32_dpp v5, v3 row_shr:1 row_mask:0xf bank_mask:0xf
	v_and_b32_e32 v4, 7, v62
	s_delay_alu instid0(VALU_DEP_1) | instskip(NEXT) | instid1(VALU_DEP_3)
	v_cmp_ne_u32_e32 vcc_lo, 0, v4
	v_cndmask_b32_e32 v5, 0, v5, vcc_lo
	v_cmp_lt_u32_e32 vcc_lo, 1, v4
	s_delay_alu instid0(VALU_DEP_2) | instskip(NEXT) | instid1(VALU_DEP_1)
	v_add_nc_u32_e32 v3, v5, v3
	v_mov_b32_dpp v5, v3 row_shr:2 row_mask:0xf bank_mask:0xf
	s_delay_alu instid0(VALU_DEP_1) | instskip(SKIP_1) | instid1(VALU_DEP_2)
	v_cndmask_b32_e32 v5, 0, v5, vcc_lo
	v_cmp_lt_u32_e32 vcc_lo, 3, v4
	v_add_nc_u32_e32 v3, v3, v5
	s_delay_alu instid0(VALU_DEP_1) | instskip(NEXT) | instid1(VALU_DEP_1)
	v_mov_b32_dpp v5, v3 row_shr:4 row_mask:0xf bank_mask:0xf
	v_cndmask_b32_e32 v4, 0, v5, vcc_lo
	s_delay_alu instid0(VALU_DEP_1)
	v_add_nc_u32_e32 v3, v3, v4
	ds_store_b32 v19, v3
.LBB1904_66:
	s_or_b32 exec_lo, exec_lo, s0
	v_dual_mov_b32 v4, 0 :: v_dual_mov_b32 v3, 0
	s_mov_b32 s0, exec_lo
	s_wait_dscnt 0x0
	s_barrier_signal -1
	s_barrier_wait -1
	v_cmpx_lt_u32_e32 31, v0
; %bb.67:
	v_lshl_add_u32 v3, v63, 2, -4
	ds_load_b32 v3, v3
; %bb.68:
	s_or_b32 exec_lo, exec_lo, s0
	v_sub_co_u32 v5, vcc_lo, v62, 1
	ds_load_b32 v16, v4 offset:28
	v_cmp_gt_i32_e64 s0, 0, v5
	s_delay_alu instid0(VALU_DEP_1) | instskip(SKIP_3) | instid1(VALU_DEP_3)
	v_cndmask_b32_e64 v5, v5, v62, s0
	s_wait_dscnt 0x1
	v_add_nc_u32_e32 v2, v3, v2
	v_cmp_eq_u32_e64 s0, 0, v0
	v_lshlrev_b32_e32 v5, 2, v5
	ds_bpermute_b32 v2, v5, v2
	s_and_saveexec_b32 s1, s0
	s_cbranch_execz .LBB1904_70
; %bb.69:
	v_dual_mov_b32 v4, 0 :: v_dual_mov_b32 v17, 2
	s_wait_dscnt 0x1
	s_wait_kmcnt 0x0
	global_store_b64 v4, v[16:17], s[20:21] offset:256 scope:SCOPE_DEV
.LBB1904_70:
	s_wait_xcnt 0x0
	s_or_b32 exec_lo, exec_lo, s1
	s_wait_dscnt 0x0
	v_cndmask_b32_e32 v2, v2, v3, vcc_lo
	s_wait_storecnt 0x0
	s_barrier_signal -1
	s_barrier_wait -1
	s_delay_alu instid0(VALU_DEP_1) | instskip(NEXT) | instid1(VALU_DEP_1)
	v_cndmask_b32_e64 v2, v2, 0, s0
	v_dual_mov_b32 v54, 0 :: v_dual_add_nc_u32 v3, v2, v55
	s_delay_alu instid0(VALU_DEP_1) | instskip(NEXT) | instid1(VALU_DEP_1)
	v_add_nc_u32_e32 v4, v3, v41
	v_add_nc_u32_e32 v5, v4, v39
	s_delay_alu instid0(VALU_DEP_1) | instskip(NEXT) | instid1(VALU_DEP_1)
	v_add_nc_u32_e32 v6, v5, v37
	v_add_nc_u32_e32 v7, v6, v56
	;; [unrolled: 3-line block ×5, first 2 shown]
	s_delay_alu instid0(VALU_DEP_1)
	v_add_nc_u32_e32 v14, v13, v29
.LBB1904_71:
	v_dual_lshrrev_b32 v55, 16, v35 :: v_dual_lshrrev_b32 v56, 8, v35
	v_dual_add_nc_u32 v23, v16, v23 :: v_dual_sub_nc_u32 v3, v3, v54
	v_dual_sub_nc_u32 v2, v2, v54 :: v_dual_bitop2_b32 v35, 1, v35 bitop3:0x40
	s_delay_alu instid0(VALU_DEP_3) | instskip(NEXT) | instid1(VALU_DEP_4)
	v_dual_sub_nc_u32 v4, v4, v54 :: v_dual_bitop2_b32 v56, 1, v56 bitop3:0x40
	v_and_b32_e32 v55, 1, v55
	s_delay_alu instid0(VALU_DEP_3) | instskip(NEXT) | instid1(VALU_DEP_4)
	v_dual_sub_nc_u32 v57, v23, v3 :: v_dual_sub_nc_u32 v58, v23, v2
	v_cmp_eq_u32_e32 vcc_lo, 1, v35
	s_delay_alu instid0(VALU_DEP_4) | instskip(NEXT) | instid1(VALU_DEP_3)
	v_dual_sub_nc_u32 v5, v5, v54 :: v_dual_sub_nc_u32 v59, v23, v4
	v_dual_add_nc_u32 v57, 1, v57 :: v_dual_sub_nc_u32 v6, v6, v54
	s_delay_alu instid0(VALU_DEP_4) | instskip(SKIP_1) | instid1(VALU_DEP_4)
	v_cndmask_b32_e32 v2, v58, v2, vcc_lo
	v_cmp_eq_u32_e32 vcc_lo, 1, v56
	v_dual_sub_nc_u32 v35, v23, v5 :: v_dual_add_nc_u32 v56, 2, v59
	v_dual_lshrrev_b32 v41, 8, v31 :: v_dual_lshrrev_b32 v39, 16, v31
	v_dual_cndmask_b32 v3, v57, v3, vcc_lo :: v_dual_bitop2_b32 v37, 1, v37 bitop3:0x40
	v_lshlrev_b32_e32 v2, 2, v2
	v_cmp_eq_u32_e32 vcc_lo, 1, v55
	v_add_nc_u32_e32 v35, 3, v35
	s_delay_alu instid0(VALU_DEP_4)
	v_lshlrev_b32_e32 v3, 2, v3
	v_dual_lshrrev_b32 v15, 16, v27 :: v_dual_lshrrev_b32 v17, 8, v27
	v_cndmask_b32_e32 v4, v56, v4, vcc_lo
	v_cmp_eq_u32_e32 vcc_lo, 1, v37
	ds_store_b32 v2, v52
	ds_store_b32 v3, v53
	v_dual_lshlrev_b32 v3, 2, v4 :: v_dual_cndmask_b32 v5, v35, v5, vcc_lo
	s_delay_alu instid0(VALU_DEP_1) | instskip(SKIP_1) | instid1(VALU_DEP_2)
	v_dual_sub_nc_u32 v2, v23, v6 :: v_dual_lshlrev_b32 v4, 2, v5
	v_dual_sub_nc_u32 v5, v7, v54 :: v_dual_bitop2_b32 v7, 1, v31 bitop3:0x40
	v_add_nc_u32_e32 v2, 4, v2
	ds_store_b32 v3, v50
	ds_store_b32 v4, v51
	v_sub_nc_u32_e32 v3, v23, v5
	v_cmp_eq_u32_e32 vcc_lo, 1, v7
	s_delay_alu instid0(VALU_DEP_2) | instskip(SKIP_1) | instid1(VALU_DEP_2)
	v_dual_sub_nc_u32 v4, v8, v54 :: v_dual_add_nc_u32 v3, 5, v3
	v_dual_cndmask_b32 v2, v2, v6, vcc_lo :: v_dual_bitop2_b32 v6, 1, v41 bitop3:0x40
	v_dual_sub_nc_u32 v7, v9, v54 :: v_dual_sub_nc_u32 v8, v23, v4
	s_delay_alu instid0(VALU_DEP_2) | instskip(NEXT) | instid1(VALU_DEP_2)
	v_cmp_eq_u32_e32 vcc_lo, 1, v6
	v_dual_lshlrev_b32 v2, 2, v2 :: v_dual_add_nc_u32 v8, 6, v8
	v_cndmask_b32_e32 v3, v3, v5, vcc_lo
	s_delay_alu instid0(VALU_DEP_4)
	v_sub_nc_u32_e32 v5, v23, v7
	v_and_b32_e32 v6, 1, v39
	ds_store_b32 v2, v48
	v_dual_lshlrev_b32 v3, 2, v3 :: v_dual_add_nc_u32 v5, 7, v5
	v_cmp_eq_u32_e32 vcc_lo, 1, v6
	v_dual_sub_nc_u32 v6, v11, v54 :: v_dual_bitop2_b32 v2, 1, v33 bitop3:0x40
	ds_store_b32 v3, v49
	v_cndmask_b32_e32 v4, v8, v4, vcc_lo
	v_cmp_eq_u32_e32 vcc_lo, 1, v2
	s_delay_alu instid0(VALU_DEP_2)
	v_dual_lshlrev_b32 v4, 2, v4 :: v_dual_cndmask_b32 v2, v5, v7, vcc_lo
	v_dual_sub_nc_u32 v5, v10, v54 :: v_dual_bitop2_b32 v7, 1, v17 bitop3:0x40
	v_sub_nc_u32_e32 v3, v23, v6
	ds_store_b32 v4, v46
	v_dual_sub_nc_u32 v4, v23, v5 :: v_dual_lshlrev_b32 v2, 2, v2
	v_add_nc_u32_e32 v3, 9, v3
	v_cmp_eq_u32_e32 vcc_lo, 1, v7
	s_delay_alu instid0(VALU_DEP_3) | instskip(SKIP_3) | instid1(VALU_DEP_2)
	v_dual_sub_nc_u32 v7, v12, v54 :: v_dual_add_nc_u32 v4, 8, v4
	ds_store_b32 v2, v47
	v_dual_cndmask_b32 v3, v3, v6, vcc_lo :: v_dual_bitop2_b32 v2, 1, v27 bitop3:0x40
	v_dual_sub_nc_u32 v6, v13, v54 :: v_dual_sub_nc_u32 v8, v14, v54
	v_cmp_eq_u32_e32 vcc_lo, 1, v2
	v_dual_cndmask_b32 v2, v4, v5 :: v_dual_sub_nc_u32 v5, v23, v7
	s_delay_alu instid0(VALU_DEP_3) | instskip(SKIP_1) | instid1(VALU_DEP_3)
	v_dual_sub_nc_u32 v4, v23, v6 :: v_dual_sub_nc_u32 v9, v23, v8
	v_and_b32_e32 v10, 1, v15
	v_dual_lshlrev_b32 v2, 2, v2 :: v_dual_bitop2_b32 v12, 1, v25 bitop3:0x40
	s_delay_alu instid0(VALU_DEP_3) | instskip(NEXT) | instid1(VALU_DEP_1)
	v_dual_add_nc_u32 v4, 11, v4 :: v_dual_bitop2_b32 v11, 1, v29 bitop3:0x40
	v_cmp_eq_u32_e32 vcc_lo, 1, v11
	s_delay_alu instid0(VALU_DEP_2) | instskip(SKIP_3) | instid1(VALU_DEP_1)
	v_cndmask_b32_e32 v4, v4, v6, vcc_lo
	v_cmp_eq_u32_e32 vcc_lo, 1, v10
	v_add_nc_u32_e32 v9, 12, v9
	v_add_nc_u32_e32 v5, 10, v5
	v_cndmask_b32_e32 v5, v5, v7, vcc_lo
	v_cmp_eq_u32_e32 vcc_lo, 1, v12
	s_delay_alu instid0(VALU_DEP_2) | instskip(SKIP_3) | instid1(VALU_DEP_3)
	v_dual_lshlrev_b32 v3, 2, v3 :: v_dual_lshlrev_b32 v5, 2, v5
	v_cndmask_b32_e32 v6, v9, v8, vcc_lo
	v_lshlrev_b32_e32 v4, 2, v4
	v_cmp_ne_u32_e32 vcc_lo, 1, v21
	v_lshlrev_b32_e32 v6, 2, v6
	ds_store_b32 v2, v44
	ds_store_b32 v3, v45
	;; [unrolled: 1-line block ×5, first 2 shown]
	s_wait_dscnt 0x0
	s_barrier_signal -1
	s_barrier_wait -1
	ds_load_2addr_stride64_b32 v[14:15], v19 offset1:4
	ds_load_2addr_stride64_b32 v[12:13], v19 offset0:8 offset1:12
	ds_load_2addr_stride64_b32 v[10:11], v19 offset0:16 offset1:20
	;; [unrolled: 1-line block ×5, first 2 shown]
	ds_load_b32 v46, v19 offset:12288
	v_mov_b32_e32 v1, 0
	s_and_b32 vcc_lo, exec_lo, vcc_lo
	s_delay_alu instid0(VALU_DEP_1) | instskip(SKIP_3) | instid1(VALU_DEP_3)
	v_dual_mov_b32 v29, v1 :: v_dual_mov_b32 v55, v1
	v_dual_mov_b32 v41, v1 :: v_dual_mov_b32 v39, v1
	;; [unrolled: 1-line block ×3, first 2 shown]
	s_wait_kmcnt 0x0
	v_add_nc_u64_e32 v[2:3], s[18:19], v[54:55]
	v_dual_mov_b32 v33, v1 :: v_dual_mov_b32 v31, v1
	v_dual_mov_b32 v27, v1 :: v_dual_mov_b32 v25, v1
	;; [unrolled: 1-line block ×3, first 2 shown]
	v_mov_b32_e32 v19, v1
	s_cbranch_vccnz .LBB1904_125
; %bb.72:
	v_mov_b32_e32 v17, v1
	s_mov_b32 s11, 0
	v_sub_nc_u64_e64 v[42:43], v[2:3], s[12:13]
	s_sub_nc_u64 s[0:1], s[14:15], s[10:11]
	s_delay_alu instid0(VALU_DEP_2) | instid1(SALU_CYCLE_1)
	v_add_nc_u64_e32 v[44:45], s[0:1], v[16:17]
	s_mov_b32 s0, exec_lo
	s_delay_alu instid0(VALU_DEP_1)
	v_add_nc_u64_e32 v[42:43], v[44:45], v[42:43]
                                        ; implicit-def: $vgpr44_vgpr45
	v_cmpx_ge_u32_e64 v0, v16
	s_xor_b32 s0, exec_lo, s0
; %bb.73:
	v_not_b32_e32 v44, v0
	s_delay_alu instid0(VALU_DEP_1) | instskip(NEXT) | instid1(VALU_DEP_1)
	v_ashrrev_i32_e32 v45, 31, v44
	v_add_nc_u64_e32 v[44:45], v[42:43], v[44:45]
; %bb.74:
	s_and_not1_saveexec_b32 s0, s0
; %bb.75:
	v_add_nc_u64_e32 v[44:45], v[2:3], v[0:1]
; %bb.76:
	s_or_b32 exec_lo, exec_lo, s0
	s_delay_alu instid0(VALU_DEP_1)
	v_lshl_add_u64 v[44:45], v[44:45], 2, s[16:17]
	s_mov_b32 s0, exec_lo
	s_wait_dscnt 0x6
	global_store_b32 v[44:45], v14, off
                                        ; implicit-def: $vgpr44_vgpr45
	s_wait_xcnt 0x0
	v_cmpx_ge_u32_e64 v40, v16
	s_xor_b32 s0, exec_lo, s0
; %bb.77:
	v_xor_b32_e32 v44, 0xfffffeff, v0
	s_delay_alu instid0(VALU_DEP_1) | instskip(NEXT) | instid1(VALU_DEP_1)
	v_ashrrev_i32_e32 v45, 31, v44
	v_add_nc_u64_e32 v[44:45], v[42:43], v[44:45]
; %bb.78:
	s_and_not1_saveexec_b32 s0, s0
; %bb.79:
	v_add_nc_u64_e32 v[44:45], v[2:3], v[40:41]
; %bb.80:
	s_or_b32 exec_lo, exec_lo, s0
	s_delay_alu instid0(VALU_DEP_1)
	v_lshl_add_u64 v[44:45], v[44:45], 2, s[16:17]
	s_mov_b32 s0, exec_lo
	global_store_b32 v[44:45], v15, off
                                        ; implicit-def: $vgpr44_vgpr45
	s_wait_xcnt 0x0
	v_cmpx_ge_u32_e64 v38, v16
	s_xor_b32 s0, exec_lo, s0
; %bb.81:
	v_xor_b32_e32 v44, 0xfffffdff, v0
	s_delay_alu instid0(VALU_DEP_1) | instskip(NEXT) | instid1(VALU_DEP_1)
	v_ashrrev_i32_e32 v45, 31, v44
	v_add_nc_u64_e32 v[44:45], v[42:43], v[44:45]
; %bb.82:
	s_and_not1_saveexec_b32 s0, s0
; %bb.83:
	v_add_nc_u64_e32 v[44:45], v[2:3], v[38:39]
; %bb.84:
	s_or_b32 exec_lo, exec_lo, s0
	s_delay_alu instid0(VALU_DEP_1)
	v_lshl_add_u64 v[44:45], v[44:45], 2, s[16:17]
	s_mov_b32 s0, exec_lo
	s_wait_dscnt 0x5
	global_store_b32 v[44:45], v12, off
                                        ; implicit-def: $vgpr44_vgpr45
	s_wait_xcnt 0x0
	v_cmpx_ge_u32_e64 v36, v16
	s_xor_b32 s0, exec_lo, s0
; %bb.85:
	v_xor_b32_e32 v44, 0xfffffcff, v0
	s_delay_alu instid0(VALU_DEP_1) | instskip(NEXT) | instid1(VALU_DEP_1)
	v_ashrrev_i32_e32 v45, 31, v44
	v_add_nc_u64_e32 v[44:45], v[42:43], v[44:45]
; %bb.86:
	s_and_not1_saveexec_b32 s0, s0
; %bb.87:
	v_add_nc_u64_e32 v[44:45], v[2:3], v[36:37]
; %bb.88:
	s_or_b32 exec_lo, exec_lo, s0
	s_delay_alu instid0(VALU_DEP_1)
	v_lshl_add_u64 v[44:45], v[44:45], 2, s[16:17]
	s_mov_b32 s0, exec_lo
	global_store_b32 v[44:45], v13, off
                                        ; implicit-def: $vgpr44_vgpr45
	s_wait_xcnt 0x0
	v_cmpx_ge_u32_e64 v34, v16
	s_xor_b32 s0, exec_lo, s0
; %bb.89:
	v_xor_b32_e32 v44, 0xfffffbff, v0
	;; [unrolled: 39-line block ×6, first 2 shown]
	s_delay_alu instid0(VALU_DEP_1) | instskip(NEXT) | instid1(VALU_DEP_1)
	v_ashrrev_i32_e32 v45, 31, v44
	v_add_nc_u64_e32 v[44:45], v[42:43], v[44:45]
; %bb.122:
	s_and_not1_saveexec_b32 s0, s0
; %bb.123:
	v_add_nc_u64_e32 v[44:45], v[2:3], v[18:19]
; %bb.124:
	s_or_b32 exec_lo, exec_lo, s0
	s_mov_b32 s0, -1
	s_branch .LBB1904_205
.LBB1904_125:
	s_mov_b32 s0, 0
                                        ; implicit-def: $vgpr44_vgpr45
	s_cbranch_execz .LBB1904_205
; %bb.126:
	s_mov_b32 s11, 0
	v_mov_b32_e32 v17, 0
	s_add_nc_u64 s[2:3], s[12:13], s[10:11]
	s_mov_b32 s1, exec_lo
	s_sub_nc_u64 s[2:3], s[14:15], s[2:3]
	s_delay_alu instid0(VALU_DEP_1) | instid1(SALU_CYCLE_1)
	v_add_nc_u64_e32 v[42:43], s[2:3], v[16:17]
	s_delay_alu instid0(VALU_DEP_1)
	v_add_nc_u64_e32 v[42:43], v[42:43], v[2:3]
	v_cmpx_gt_u32_e64 s23, v0
	s_cbranch_execz .LBB1904_162
; %bb.127:
	s_mov_b32 s2, exec_lo
                                        ; implicit-def: $vgpr44_vgpr45
	v_cmpx_ge_u32_e64 v0, v16
	s_xor_b32 s2, exec_lo, s2
; %bb.128:
	v_not_b32_e32 v44, v0
	s_delay_alu instid0(VALU_DEP_1) | instskip(NEXT) | instid1(VALU_DEP_1)
	v_ashrrev_i32_e32 v45, 31, v44
	v_add_nc_u64_e32 v[44:45], v[42:43], v[44:45]
; %bb.129:
	s_and_not1_saveexec_b32 s2, s2
; %bb.130:
	v_add_nc_u64_e32 v[44:45], v[2:3], v[0:1]
; %bb.131:
	s_or_b32 exec_lo, exec_lo, s2
	s_delay_alu instid0(VALU_DEP_1) | instskip(SKIP_4) | instid1(SALU_CYCLE_1)
	v_lshl_add_u64 v[44:45], v[44:45], 2, s[16:17]
	s_wait_dscnt 0x6
	global_store_b32 v[44:45], v14, off
	s_wait_xcnt 0x0
	s_or_b32 exec_lo, exec_lo, s1
	s_mov_b32 s1, exec_lo
	v_cmpx_gt_u32_e64 s23, v40
	s_cbranch_execnz .LBB1904_163
.LBB1904_132:
	s_or_b32 exec_lo, exec_lo, s1
	s_delay_alu instid0(SALU_CYCLE_1)
	s_mov_b32 s1, exec_lo
	v_cmpx_gt_u32_e64 s23, v38
	s_cbranch_execz .LBB1904_168
.LBB1904_133:
	s_mov_b32 s2, exec_lo
                                        ; implicit-def: $vgpr14_vgpr15
	v_cmpx_ge_u32_e64 v38, v16
	s_xor_b32 s2, exec_lo, s2
	s_cbranch_execz .LBB1904_135
; %bb.134:
	s_wait_dscnt 0x6
	v_xor_b32_e32 v14, 0xfffffdff, v0
                                        ; implicit-def: $vgpr38_vgpr39
	s_delay_alu instid0(VALU_DEP_1) | instskip(NEXT) | instid1(VALU_DEP_1)
	v_ashrrev_i32_e32 v15, 31, v14
	v_add_nc_u64_e32 v[14:15], v[42:43], v[14:15]
.LBB1904_135:
	s_and_not1_saveexec_b32 s2, s2
	s_cbranch_execz .LBB1904_137
; %bb.136:
	s_wait_dscnt 0x6
	v_add_nc_u64_e32 v[14:15], v[2:3], v[38:39]
.LBB1904_137:
	s_or_b32 exec_lo, exec_lo, s2
	s_wait_dscnt 0x6
	s_delay_alu instid0(VALU_DEP_1) | instskip(SKIP_4) | instid1(SALU_CYCLE_1)
	v_lshl_add_u64 v[14:15], v[14:15], 2, s[16:17]
	s_wait_dscnt 0x5
	global_store_b32 v[14:15], v12, off
	s_wait_xcnt 0x0
	s_or_b32 exec_lo, exec_lo, s1
	s_mov_b32 s1, exec_lo
	v_cmpx_gt_u32_e64 s23, v36
	s_cbranch_execnz .LBB1904_169
.LBB1904_138:
	s_or_b32 exec_lo, exec_lo, s1
	s_delay_alu instid0(SALU_CYCLE_1)
	s_mov_b32 s1, exec_lo
	v_cmpx_gt_u32_e64 s23, v34
	s_cbranch_execz .LBB1904_174
.LBB1904_139:
	s_mov_b32 s2, exec_lo
                                        ; implicit-def: $vgpr12_vgpr13
	v_cmpx_ge_u32_e64 v34, v16
	s_xor_b32 s2, exec_lo, s2
	s_cbranch_execz .LBB1904_141
; %bb.140:
	s_wait_dscnt 0x5
	v_xor_b32_e32 v12, 0xfffffbff, v0
                                        ; implicit-def: $vgpr34_vgpr35
	s_delay_alu instid0(VALU_DEP_1) | instskip(NEXT) | instid1(VALU_DEP_1)
	v_ashrrev_i32_e32 v13, 31, v12
	v_add_nc_u64_e32 v[12:13], v[42:43], v[12:13]
.LBB1904_141:
	s_and_not1_saveexec_b32 s2, s2
	s_cbranch_execz .LBB1904_143
; %bb.142:
	s_wait_dscnt 0x5
	v_add_nc_u64_e32 v[12:13], v[2:3], v[34:35]
.LBB1904_143:
	s_or_b32 exec_lo, exec_lo, s2
	s_wait_dscnt 0x5
	s_delay_alu instid0(VALU_DEP_1) | instskip(SKIP_4) | instid1(SALU_CYCLE_1)
	v_lshl_add_u64 v[12:13], v[12:13], 2, s[16:17]
	s_wait_dscnt 0x4
	global_store_b32 v[12:13], v10, off
	s_wait_xcnt 0x0
	s_or_b32 exec_lo, exec_lo, s1
	s_mov_b32 s1, exec_lo
	v_cmpx_gt_u32_e64 s23, v32
	s_cbranch_execnz .LBB1904_175
.LBB1904_144:
	s_or_b32 exec_lo, exec_lo, s1
	s_delay_alu instid0(SALU_CYCLE_1)
	s_mov_b32 s1, exec_lo
	v_cmpx_gt_u32_e64 s23, v30
	s_cbranch_execz .LBB1904_180
.LBB1904_145:
	s_mov_b32 s2, exec_lo
                                        ; implicit-def: $vgpr10_vgpr11
	v_cmpx_ge_u32_e64 v30, v16
	s_xor_b32 s2, exec_lo, s2
	s_cbranch_execz .LBB1904_147
; %bb.146:
	s_wait_dscnt 0x4
	v_xor_b32_e32 v10, 0xfffff9ff, v0
                                        ; implicit-def: $vgpr30_vgpr31
	s_delay_alu instid0(VALU_DEP_1) | instskip(NEXT) | instid1(VALU_DEP_1)
	v_ashrrev_i32_e32 v11, 31, v10
	v_add_nc_u64_e32 v[10:11], v[42:43], v[10:11]
.LBB1904_147:
	s_and_not1_saveexec_b32 s2, s2
	s_cbranch_execz .LBB1904_149
; %bb.148:
	s_wait_dscnt 0x4
	v_add_nc_u64_e32 v[10:11], v[2:3], v[30:31]
.LBB1904_149:
	s_or_b32 exec_lo, exec_lo, s2
	s_wait_dscnt 0x4
	s_delay_alu instid0(VALU_DEP_1) | instskip(SKIP_4) | instid1(SALU_CYCLE_1)
	v_lshl_add_u64 v[10:11], v[10:11], 2, s[16:17]
	s_wait_dscnt 0x3
	global_store_b32 v[10:11], v8, off
	s_wait_xcnt 0x0
	s_or_b32 exec_lo, exec_lo, s1
	s_mov_b32 s1, exec_lo
	v_cmpx_gt_u32_e64 s23, v28
	s_cbranch_execnz .LBB1904_181
.LBB1904_150:
	s_or_b32 exec_lo, exec_lo, s1
	s_delay_alu instid0(SALU_CYCLE_1)
	s_mov_b32 s1, exec_lo
	v_cmpx_gt_u32_e64 s23, v26
	s_cbranch_execz .LBB1904_186
.LBB1904_151:
	s_mov_b32 s2, exec_lo
                                        ; implicit-def: $vgpr8_vgpr9
	v_cmpx_ge_u32_e64 v26, v16
	s_xor_b32 s2, exec_lo, s2
	s_cbranch_execz .LBB1904_153
; %bb.152:
	s_wait_dscnt 0x3
	v_xor_b32_e32 v8, 0xfffff7ff, v0
                                        ; implicit-def: $vgpr26_vgpr27
	s_delay_alu instid0(VALU_DEP_1) | instskip(NEXT) | instid1(VALU_DEP_1)
	v_ashrrev_i32_e32 v9, 31, v8
	v_add_nc_u64_e32 v[8:9], v[42:43], v[8:9]
.LBB1904_153:
	s_and_not1_saveexec_b32 s2, s2
	s_cbranch_execz .LBB1904_155
; %bb.154:
	s_wait_dscnt 0x3
	v_add_nc_u64_e32 v[8:9], v[2:3], v[26:27]
.LBB1904_155:
	s_or_b32 exec_lo, exec_lo, s2
	s_wait_dscnt 0x3
	s_delay_alu instid0(VALU_DEP_1) | instskip(SKIP_4) | instid1(SALU_CYCLE_1)
	v_lshl_add_u64 v[8:9], v[8:9], 2, s[16:17]
	s_wait_dscnt 0x2
	global_store_b32 v[8:9], v6, off
	s_wait_xcnt 0x0
	s_or_b32 exec_lo, exec_lo, s1
	s_mov_b32 s1, exec_lo
	v_cmpx_gt_u32_e64 s23, v24
	s_cbranch_execnz .LBB1904_187
.LBB1904_156:
	s_or_b32 exec_lo, exec_lo, s1
	s_delay_alu instid0(SALU_CYCLE_1)
	s_mov_b32 s1, exec_lo
	v_cmpx_gt_u32_e64 s23, v22
	s_cbranch_execz .LBB1904_192
.LBB1904_157:
	s_mov_b32 s2, exec_lo
                                        ; implicit-def: $vgpr6_vgpr7
	v_cmpx_ge_u32_e64 v22, v16
	s_xor_b32 s2, exec_lo, s2
	s_cbranch_execz .LBB1904_159
; %bb.158:
	s_wait_dscnt 0x2
	v_xor_b32_e32 v6, 0xfffff5ff, v0
                                        ; implicit-def: $vgpr22_vgpr23
	s_delay_alu instid0(VALU_DEP_1) | instskip(NEXT) | instid1(VALU_DEP_1)
	v_ashrrev_i32_e32 v7, 31, v6
	v_add_nc_u64_e32 v[6:7], v[42:43], v[6:7]
.LBB1904_159:
	s_and_not1_saveexec_b32 s2, s2
	s_cbranch_execz .LBB1904_161
; %bb.160:
	s_wait_dscnt 0x2
	v_add_nc_u64_e32 v[6:7], v[2:3], v[22:23]
.LBB1904_161:
	s_or_b32 exec_lo, exec_lo, s2
	s_wait_dscnt 0x2
	s_delay_alu instid0(VALU_DEP_1) | instskip(SKIP_4) | instid1(SALU_CYCLE_1)
	v_lshl_add_u64 v[6:7], v[6:7], 2, s[16:17]
	s_wait_dscnt 0x1
	global_store_b32 v[6:7], v4, off
	s_wait_xcnt 0x0
	s_or_b32 exec_lo, exec_lo, s1
	s_mov_b32 s1, exec_lo
	v_cmpx_gt_u32_e64 s23, v20
	s_cbranch_execz .LBB1904_198
	s_branch .LBB1904_193
.LBB1904_162:
	s_or_b32 exec_lo, exec_lo, s1
	s_delay_alu instid0(SALU_CYCLE_1)
	s_mov_b32 s1, exec_lo
	v_cmpx_gt_u32_e64 s23, v40
	s_cbranch_execz .LBB1904_132
.LBB1904_163:
	s_mov_b32 s2, exec_lo
                                        ; implicit-def: $vgpr44_vgpr45
	v_cmpx_ge_u32_e64 v40, v16
	s_xor_b32 s2, exec_lo, s2
; %bb.164:
	v_xor_b32_e32 v40, 0xfffffeff, v0
	s_delay_alu instid0(VALU_DEP_1) | instskip(NEXT) | instid1(VALU_DEP_1)
	v_ashrrev_i32_e32 v41, 31, v40
	v_add_nc_u64_e32 v[44:45], v[42:43], v[40:41]
                                        ; implicit-def: $vgpr40_vgpr41
; %bb.165:
	s_and_not1_saveexec_b32 s2, s2
; %bb.166:
	v_add_nc_u64_e32 v[44:45], v[2:3], v[40:41]
; %bb.167:
	s_or_b32 exec_lo, exec_lo, s2
	s_delay_alu instid0(VALU_DEP_1) | instskip(SKIP_4) | instid1(SALU_CYCLE_1)
	v_lshl_add_u64 v[40:41], v[44:45], 2, s[16:17]
	s_wait_dscnt 0x6
	global_store_b32 v[40:41], v15, off
	s_wait_xcnt 0x0
	s_or_b32 exec_lo, exec_lo, s1
	s_mov_b32 s1, exec_lo
	v_cmpx_gt_u32_e64 s23, v38
	s_cbranch_execnz .LBB1904_133
.LBB1904_168:
	s_or_b32 exec_lo, exec_lo, s1
	s_delay_alu instid0(SALU_CYCLE_1)
	s_mov_b32 s1, exec_lo
	v_cmpx_gt_u32_e64 s23, v36
	s_cbranch_execz .LBB1904_138
.LBB1904_169:
	s_mov_b32 s2, exec_lo
                                        ; implicit-def: $vgpr14_vgpr15
	v_cmpx_ge_u32_e64 v36, v16
	s_xor_b32 s2, exec_lo, s2
	s_cbranch_execz .LBB1904_171
; %bb.170:
	s_wait_dscnt 0x6
	v_xor_b32_e32 v14, 0xfffffcff, v0
                                        ; implicit-def: $vgpr36_vgpr37
	s_delay_alu instid0(VALU_DEP_1) | instskip(NEXT) | instid1(VALU_DEP_1)
	v_ashrrev_i32_e32 v15, 31, v14
	v_add_nc_u64_e32 v[14:15], v[42:43], v[14:15]
.LBB1904_171:
	s_and_not1_saveexec_b32 s2, s2
	s_cbranch_execz .LBB1904_173
; %bb.172:
	s_wait_dscnt 0x6
	v_add_nc_u64_e32 v[14:15], v[2:3], v[36:37]
.LBB1904_173:
	s_or_b32 exec_lo, exec_lo, s2
	s_wait_dscnt 0x6
	s_delay_alu instid0(VALU_DEP_1) | instskip(SKIP_4) | instid1(SALU_CYCLE_1)
	v_lshl_add_u64 v[14:15], v[14:15], 2, s[16:17]
	s_wait_dscnt 0x5
	global_store_b32 v[14:15], v13, off
	s_wait_xcnt 0x0
	s_or_b32 exec_lo, exec_lo, s1
	s_mov_b32 s1, exec_lo
	v_cmpx_gt_u32_e64 s23, v34
	s_cbranch_execnz .LBB1904_139
.LBB1904_174:
	s_or_b32 exec_lo, exec_lo, s1
	s_delay_alu instid0(SALU_CYCLE_1)
	s_mov_b32 s1, exec_lo
	v_cmpx_gt_u32_e64 s23, v32
	s_cbranch_execz .LBB1904_144
.LBB1904_175:
	s_mov_b32 s2, exec_lo
                                        ; implicit-def: $vgpr12_vgpr13
	v_cmpx_ge_u32_e64 v32, v16
	s_xor_b32 s2, exec_lo, s2
	s_cbranch_execz .LBB1904_177
; %bb.176:
	s_wait_dscnt 0x5
	v_xor_b32_e32 v12, 0xfffffaff, v0
                                        ; implicit-def: $vgpr32_vgpr33
	s_delay_alu instid0(VALU_DEP_1) | instskip(NEXT) | instid1(VALU_DEP_1)
	v_ashrrev_i32_e32 v13, 31, v12
	v_add_nc_u64_e32 v[12:13], v[42:43], v[12:13]
.LBB1904_177:
	s_and_not1_saveexec_b32 s2, s2
	s_cbranch_execz .LBB1904_179
; %bb.178:
	s_wait_dscnt 0x5
	v_add_nc_u64_e32 v[12:13], v[2:3], v[32:33]
.LBB1904_179:
	s_or_b32 exec_lo, exec_lo, s2
	s_wait_dscnt 0x5
	s_delay_alu instid0(VALU_DEP_1) | instskip(SKIP_4) | instid1(SALU_CYCLE_1)
	v_lshl_add_u64 v[12:13], v[12:13], 2, s[16:17]
	s_wait_dscnt 0x4
	global_store_b32 v[12:13], v11, off
	s_wait_xcnt 0x0
	s_or_b32 exec_lo, exec_lo, s1
	s_mov_b32 s1, exec_lo
	v_cmpx_gt_u32_e64 s23, v30
	s_cbranch_execnz .LBB1904_145
.LBB1904_180:
	s_or_b32 exec_lo, exec_lo, s1
	s_delay_alu instid0(SALU_CYCLE_1)
	s_mov_b32 s1, exec_lo
	v_cmpx_gt_u32_e64 s23, v28
	s_cbranch_execz .LBB1904_150
.LBB1904_181:
	s_mov_b32 s2, exec_lo
                                        ; implicit-def: $vgpr10_vgpr11
	v_cmpx_ge_u32_e64 v28, v16
	s_xor_b32 s2, exec_lo, s2
	s_cbranch_execz .LBB1904_183
; %bb.182:
	s_wait_dscnt 0x4
	v_xor_b32_e32 v10, 0xfffff8ff, v0
                                        ; implicit-def: $vgpr28_vgpr29
	s_delay_alu instid0(VALU_DEP_1) | instskip(NEXT) | instid1(VALU_DEP_1)
	v_ashrrev_i32_e32 v11, 31, v10
	v_add_nc_u64_e32 v[10:11], v[42:43], v[10:11]
.LBB1904_183:
	s_and_not1_saveexec_b32 s2, s2
	s_cbranch_execz .LBB1904_185
; %bb.184:
	s_wait_dscnt 0x4
	v_add_nc_u64_e32 v[10:11], v[2:3], v[28:29]
.LBB1904_185:
	s_or_b32 exec_lo, exec_lo, s2
	s_wait_dscnt 0x4
	s_delay_alu instid0(VALU_DEP_1) | instskip(SKIP_4) | instid1(SALU_CYCLE_1)
	v_lshl_add_u64 v[10:11], v[10:11], 2, s[16:17]
	s_wait_dscnt 0x3
	global_store_b32 v[10:11], v9, off
	s_wait_xcnt 0x0
	s_or_b32 exec_lo, exec_lo, s1
	s_mov_b32 s1, exec_lo
	v_cmpx_gt_u32_e64 s23, v26
	s_cbranch_execnz .LBB1904_151
.LBB1904_186:
	s_or_b32 exec_lo, exec_lo, s1
	s_delay_alu instid0(SALU_CYCLE_1)
	s_mov_b32 s1, exec_lo
	v_cmpx_gt_u32_e64 s23, v24
	s_cbranch_execz .LBB1904_156
.LBB1904_187:
	s_mov_b32 s2, exec_lo
                                        ; implicit-def: $vgpr8_vgpr9
	v_cmpx_ge_u32_e64 v24, v16
	s_xor_b32 s2, exec_lo, s2
	s_cbranch_execz .LBB1904_189
; %bb.188:
	s_wait_dscnt 0x3
	v_xor_b32_e32 v8, 0xfffff6ff, v0
                                        ; implicit-def: $vgpr24_vgpr25
	s_delay_alu instid0(VALU_DEP_1) | instskip(NEXT) | instid1(VALU_DEP_1)
	v_ashrrev_i32_e32 v9, 31, v8
	v_add_nc_u64_e32 v[8:9], v[42:43], v[8:9]
.LBB1904_189:
	s_and_not1_saveexec_b32 s2, s2
	s_cbranch_execz .LBB1904_191
; %bb.190:
	s_wait_dscnt 0x3
	v_add_nc_u64_e32 v[8:9], v[2:3], v[24:25]
.LBB1904_191:
	s_or_b32 exec_lo, exec_lo, s2
	s_wait_dscnt 0x3
	s_delay_alu instid0(VALU_DEP_1) | instskip(SKIP_4) | instid1(SALU_CYCLE_1)
	v_lshl_add_u64 v[8:9], v[8:9], 2, s[16:17]
	s_wait_dscnt 0x2
	global_store_b32 v[8:9], v7, off
	s_wait_xcnt 0x0
	s_or_b32 exec_lo, exec_lo, s1
	s_mov_b32 s1, exec_lo
	v_cmpx_gt_u32_e64 s23, v22
	s_cbranch_execnz .LBB1904_157
.LBB1904_192:
	s_or_b32 exec_lo, exec_lo, s1
	s_delay_alu instid0(SALU_CYCLE_1)
	s_mov_b32 s1, exec_lo
	v_cmpx_gt_u32_e64 s23, v20
	s_cbranch_execz .LBB1904_198
.LBB1904_193:
	s_mov_b32 s2, exec_lo
                                        ; implicit-def: $vgpr6_vgpr7
	v_cmpx_ge_u32_e64 v20, v16
	s_xor_b32 s2, exec_lo, s2
	s_cbranch_execz .LBB1904_195
; %bb.194:
	s_wait_dscnt 0x2
	v_xor_b32_e32 v6, 0xfffff4ff, v0
                                        ; implicit-def: $vgpr20_vgpr21
	s_delay_alu instid0(VALU_DEP_1) | instskip(NEXT) | instid1(VALU_DEP_1)
	v_ashrrev_i32_e32 v7, 31, v6
	v_add_nc_u64_e32 v[6:7], v[42:43], v[6:7]
.LBB1904_195:
	s_and_not1_saveexec_b32 s2, s2
	s_cbranch_execz .LBB1904_197
; %bb.196:
	s_wait_dscnt 0x2
	v_add_nc_u64_e32 v[6:7], v[2:3], v[20:21]
.LBB1904_197:
	s_or_b32 exec_lo, exec_lo, s2
	s_wait_dscnt 0x2
	s_delay_alu instid0(VALU_DEP_1)
	v_lshl_add_u64 v[6:7], v[6:7], 2, s[16:17]
	s_wait_dscnt 0x1
	global_store_b32 v[6:7], v5, off
.LBB1904_198:
	s_wait_xcnt 0x0
	s_or_b32 exec_lo, exec_lo, s1
	s_delay_alu instid0(SALU_CYCLE_1)
	s_mov_b32 s1, exec_lo
                                        ; implicit-def: $vgpr44_vgpr45
	v_cmpx_gt_u32_e64 s23, v18
	s_cbranch_execz .LBB1904_204
; %bb.199:
	s_mov_b32 s2, exec_lo
                                        ; implicit-def: $vgpr44_vgpr45
	v_cmpx_ge_u32_e64 v18, v16
	s_xor_b32 s2, exec_lo, s2
	s_cbranch_execz .LBB1904_201
; %bb.200:
	s_wait_dscnt 0x1
	v_xor_b32_e32 v4, 0xfffff3ff, v0
                                        ; implicit-def: $vgpr18_vgpr19
	s_delay_alu instid0(VALU_DEP_1) | instskip(NEXT) | instid1(VALU_DEP_1)
	v_ashrrev_i32_e32 v5, 31, v4
	v_add_nc_u64_e32 v[44:45], v[42:43], v[4:5]
.LBB1904_201:
	s_and_not1_saveexec_b32 s2, s2
; %bb.202:
	v_add_nc_u64_e32 v[44:45], v[2:3], v[18:19]
; %bb.203:
	s_or_b32 exec_lo, exec_lo, s2
	s_delay_alu instid0(SALU_CYCLE_1)
	s_or_b32 s0, s0, exec_lo
.LBB1904_204:
	s_or_b32 exec_lo, exec_lo, s1
.LBB1904_205:
	s_and_saveexec_b32 s1, s0
	s_cbranch_execz .LBB1904_207
; %bb.206:
	s_wait_dscnt 0x1
	v_lshl_add_u64 v[4:5], v[44:45], 2, s[16:17]
	s_wait_dscnt 0x0
	global_store_b32 v[4:5], v46, off
.LBB1904_207:
	s_wait_xcnt 0x0
	s_or_b32 exec_lo, exec_lo, s1
	v_cmp_eq_u32_e32 vcc_lo, 0, v0
	s_and_b32 s0, vcc_lo, s22
	s_delay_alu instid0(SALU_CYCLE_1)
	s_and_saveexec_b32 s1, s0
	s_cbranch_execz .LBB1904_209
; %bb.208:
	v_mov_b32_e32 v17, 0
	s_delay_alu instid0(VALU_DEP_1)
	v_add_nc_u64_e32 v[0:1], v[2:3], v[16:17]
	global_store_b64 v17, v[0:1], s[8:9]
.LBB1904_209:
	s_sendmsg sendmsg(MSG_DEALLOC_VGPRS)
	s_endpgm
	.section	.rodata,"a",@progbits
	.p2align	6, 0x0
	.amdhsa_kernel _ZN7rocprim17ROCPRIM_400000_NS6detail17trampoline_kernelINS0_13select_configILj256ELj13ELNS0_17block_load_methodE3ELS4_3ELS4_3ELNS0_20block_scan_algorithmE0ELj4294967295EEENS1_25partition_config_selectorILNS1_17partition_subalgoE3EjNS0_10empty_typeEbEEZZNS1_14partition_implILS8_3ELb0ES6_jNS0_17counting_iteratorIjlEEPS9_SE_NS0_5tupleIJPjSE_EEENSF_IJSE_SE_EEES9_SG_JZNS1_25segmented_radix_sort_implINS0_14default_configELb1EPK12hip_bfloat16PSL_PKlPlN2at6native12_GLOBAL__N_18offset_tEEE10hipError_tPvRmT1_PNSt15iterator_traitsISZ_E10value_typeET2_T3_PNS10_IS15_E10value_typeET4_jRbjT5_S1B_jjP12ihipStream_tbEUljE_EEESW_SX_SY_S15_S19_S1B_T6_T7_T9_mT8_S1D_bDpT10_ENKUlT_T0_E_clISt17integral_constantIbLb0EES1Q_EEDaS1L_S1M_EUlS1L_E_NS1_11comp_targetILNS1_3genE0ELNS1_11target_archE4294967295ELNS1_3gpuE0ELNS1_3repE0EEENS1_30default_config_static_selectorELNS0_4arch9wavefront6targetE0EEEvSZ_
		.amdhsa_group_segment_fixed_size 13320
		.amdhsa_private_segment_fixed_size 0
		.amdhsa_kernarg_size 144
		.amdhsa_user_sgpr_count 2
		.amdhsa_user_sgpr_dispatch_ptr 0
		.amdhsa_user_sgpr_queue_ptr 0
		.amdhsa_user_sgpr_kernarg_segment_ptr 1
		.amdhsa_user_sgpr_dispatch_id 0
		.amdhsa_user_sgpr_kernarg_preload_length 0
		.amdhsa_user_sgpr_kernarg_preload_offset 0
		.amdhsa_user_sgpr_private_segment_size 0
		.amdhsa_wavefront_size32 1
		.amdhsa_uses_dynamic_stack 0
		.amdhsa_enable_private_segment 0
		.amdhsa_system_sgpr_workgroup_id_x 1
		.amdhsa_system_sgpr_workgroup_id_y 0
		.amdhsa_system_sgpr_workgroup_id_z 0
		.amdhsa_system_sgpr_workgroup_info 0
		.amdhsa_system_vgpr_workitem_id 0
		.amdhsa_next_free_vgpr 69
		.amdhsa_next_free_sgpr 26
		.amdhsa_named_barrier_count 0
		.amdhsa_reserve_vcc 1
		.amdhsa_float_round_mode_32 0
		.amdhsa_float_round_mode_16_64 0
		.amdhsa_float_denorm_mode_32 3
		.amdhsa_float_denorm_mode_16_64 3
		.amdhsa_fp16_overflow 0
		.amdhsa_memory_ordered 1
		.amdhsa_forward_progress 1
		.amdhsa_inst_pref_size 70
		.amdhsa_round_robin_scheduling 0
		.amdhsa_exception_fp_ieee_invalid_op 0
		.amdhsa_exception_fp_denorm_src 0
		.amdhsa_exception_fp_ieee_div_zero 0
		.amdhsa_exception_fp_ieee_overflow 0
		.amdhsa_exception_fp_ieee_underflow 0
		.amdhsa_exception_fp_ieee_inexact 0
		.amdhsa_exception_int_div_zero 0
	.end_amdhsa_kernel
	.section	.text._ZN7rocprim17ROCPRIM_400000_NS6detail17trampoline_kernelINS0_13select_configILj256ELj13ELNS0_17block_load_methodE3ELS4_3ELS4_3ELNS0_20block_scan_algorithmE0ELj4294967295EEENS1_25partition_config_selectorILNS1_17partition_subalgoE3EjNS0_10empty_typeEbEEZZNS1_14partition_implILS8_3ELb0ES6_jNS0_17counting_iteratorIjlEEPS9_SE_NS0_5tupleIJPjSE_EEENSF_IJSE_SE_EEES9_SG_JZNS1_25segmented_radix_sort_implINS0_14default_configELb1EPK12hip_bfloat16PSL_PKlPlN2at6native12_GLOBAL__N_18offset_tEEE10hipError_tPvRmT1_PNSt15iterator_traitsISZ_E10value_typeET2_T3_PNS10_IS15_E10value_typeET4_jRbjT5_S1B_jjP12ihipStream_tbEUljE_EEESW_SX_SY_S15_S19_S1B_T6_T7_T9_mT8_S1D_bDpT10_ENKUlT_T0_E_clISt17integral_constantIbLb0EES1Q_EEDaS1L_S1M_EUlS1L_E_NS1_11comp_targetILNS1_3genE0ELNS1_11target_archE4294967295ELNS1_3gpuE0ELNS1_3repE0EEENS1_30default_config_static_selectorELNS0_4arch9wavefront6targetE0EEEvSZ_,"axG",@progbits,_ZN7rocprim17ROCPRIM_400000_NS6detail17trampoline_kernelINS0_13select_configILj256ELj13ELNS0_17block_load_methodE3ELS4_3ELS4_3ELNS0_20block_scan_algorithmE0ELj4294967295EEENS1_25partition_config_selectorILNS1_17partition_subalgoE3EjNS0_10empty_typeEbEEZZNS1_14partition_implILS8_3ELb0ES6_jNS0_17counting_iteratorIjlEEPS9_SE_NS0_5tupleIJPjSE_EEENSF_IJSE_SE_EEES9_SG_JZNS1_25segmented_radix_sort_implINS0_14default_configELb1EPK12hip_bfloat16PSL_PKlPlN2at6native12_GLOBAL__N_18offset_tEEE10hipError_tPvRmT1_PNSt15iterator_traitsISZ_E10value_typeET2_T3_PNS10_IS15_E10value_typeET4_jRbjT5_S1B_jjP12ihipStream_tbEUljE_EEESW_SX_SY_S15_S19_S1B_T6_T7_T9_mT8_S1D_bDpT10_ENKUlT_T0_E_clISt17integral_constantIbLb0EES1Q_EEDaS1L_S1M_EUlS1L_E_NS1_11comp_targetILNS1_3genE0ELNS1_11target_archE4294967295ELNS1_3gpuE0ELNS1_3repE0EEENS1_30default_config_static_selectorELNS0_4arch9wavefront6targetE0EEEvSZ_,comdat
.Lfunc_end1904:
	.size	_ZN7rocprim17ROCPRIM_400000_NS6detail17trampoline_kernelINS0_13select_configILj256ELj13ELNS0_17block_load_methodE3ELS4_3ELS4_3ELNS0_20block_scan_algorithmE0ELj4294967295EEENS1_25partition_config_selectorILNS1_17partition_subalgoE3EjNS0_10empty_typeEbEEZZNS1_14partition_implILS8_3ELb0ES6_jNS0_17counting_iteratorIjlEEPS9_SE_NS0_5tupleIJPjSE_EEENSF_IJSE_SE_EEES9_SG_JZNS1_25segmented_radix_sort_implINS0_14default_configELb1EPK12hip_bfloat16PSL_PKlPlN2at6native12_GLOBAL__N_18offset_tEEE10hipError_tPvRmT1_PNSt15iterator_traitsISZ_E10value_typeET2_T3_PNS10_IS15_E10value_typeET4_jRbjT5_S1B_jjP12ihipStream_tbEUljE_EEESW_SX_SY_S15_S19_S1B_T6_T7_T9_mT8_S1D_bDpT10_ENKUlT_T0_E_clISt17integral_constantIbLb0EES1Q_EEDaS1L_S1M_EUlS1L_E_NS1_11comp_targetILNS1_3genE0ELNS1_11target_archE4294967295ELNS1_3gpuE0ELNS1_3repE0EEENS1_30default_config_static_selectorELNS0_4arch9wavefront6targetE0EEEvSZ_, .Lfunc_end1904-_ZN7rocprim17ROCPRIM_400000_NS6detail17trampoline_kernelINS0_13select_configILj256ELj13ELNS0_17block_load_methodE3ELS4_3ELS4_3ELNS0_20block_scan_algorithmE0ELj4294967295EEENS1_25partition_config_selectorILNS1_17partition_subalgoE3EjNS0_10empty_typeEbEEZZNS1_14partition_implILS8_3ELb0ES6_jNS0_17counting_iteratorIjlEEPS9_SE_NS0_5tupleIJPjSE_EEENSF_IJSE_SE_EEES9_SG_JZNS1_25segmented_radix_sort_implINS0_14default_configELb1EPK12hip_bfloat16PSL_PKlPlN2at6native12_GLOBAL__N_18offset_tEEE10hipError_tPvRmT1_PNSt15iterator_traitsISZ_E10value_typeET2_T3_PNS10_IS15_E10value_typeET4_jRbjT5_S1B_jjP12ihipStream_tbEUljE_EEESW_SX_SY_S15_S19_S1B_T6_T7_T9_mT8_S1D_bDpT10_ENKUlT_T0_E_clISt17integral_constantIbLb0EES1Q_EEDaS1L_S1M_EUlS1L_E_NS1_11comp_targetILNS1_3genE0ELNS1_11target_archE4294967295ELNS1_3gpuE0ELNS1_3repE0EEENS1_30default_config_static_selectorELNS0_4arch9wavefront6targetE0EEEvSZ_
                                        ; -- End function
	.set _ZN7rocprim17ROCPRIM_400000_NS6detail17trampoline_kernelINS0_13select_configILj256ELj13ELNS0_17block_load_methodE3ELS4_3ELS4_3ELNS0_20block_scan_algorithmE0ELj4294967295EEENS1_25partition_config_selectorILNS1_17partition_subalgoE3EjNS0_10empty_typeEbEEZZNS1_14partition_implILS8_3ELb0ES6_jNS0_17counting_iteratorIjlEEPS9_SE_NS0_5tupleIJPjSE_EEENSF_IJSE_SE_EEES9_SG_JZNS1_25segmented_radix_sort_implINS0_14default_configELb1EPK12hip_bfloat16PSL_PKlPlN2at6native12_GLOBAL__N_18offset_tEEE10hipError_tPvRmT1_PNSt15iterator_traitsISZ_E10value_typeET2_T3_PNS10_IS15_E10value_typeET4_jRbjT5_S1B_jjP12ihipStream_tbEUljE_EEESW_SX_SY_S15_S19_S1B_T6_T7_T9_mT8_S1D_bDpT10_ENKUlT_T0_E_clISt17integral_constantIbLb0EES1Q_EEDaS1L_S1M_EUlS1L_E_NS1_11comp_targetILNS1_3genE0ELNS1_11target_archE4294967295ELNS1_3gpuE0ELNS1_3repE0EEENS1_30default_config_static_selectorELNS0_4arch9wavefront6targetE0EEEvSZ_.num_vgpr, 69
	.set _ZN7rocprim17ROCPRIM_400000_NS6detail17trampoline_kernelINS0_13select_configILj256ELj13ELNS0_17block_load_methodE3ELS4_3ELS4_3ELNS0_20block_scan_algorithmE0ELj4294967295EEENS1_25partition_config_selectorILNS1_17partition_subalgoE3EjNS0_10empty_typeEbEEZZNS1_14partition_implILS8_3ELb0ES6_jNS0_17counting_iteratorIjlEEPS9_SE_NS0_5tupleIJPjSE_EEENSF_IJSE_SE_EEES9_SG_JZNS1_25segmented_radix_sort_implINS0_14default_configELb1EPK12hip_bfloat16PSL_PKlPlN2at6native12_GLOBAL__N_18offset_tEEE10hipError_tPvRmT1_PNSt15iterator_traitsISZ_E10value_typeET2_T3_PNS10_IS15_E10value_typeET4_jRbjT5_S1B_jjP12ihipStream_tbEUljE_EEESW_SX_SY_S15_S19_S1B_T6_T7_T9_mT8_S1D_bDpT10_ENKUlT_T0_E_clISt17integral_constantIbLb0EES1Q_EEDaS1L_S1M_EUlS1L_E_NS1_11comp_targetILNS1_3genE0ELNS1_11target_archE4294967295ELNS1_3gpuE0ELNS1_3repE0EEENS1_30default_config_static_selectorELNS0_4arch9wavefront6targetE0EEEvSZ_.num_agpr, 0
	.set _ZN7rocprim17ROCPRIM_400000_NS6detail17trampoline_kernelINS0_13select_configILj256ELj13ELNS0_17block_load_methodE3ELS4_3ELS4_3ELNS0_20block_scan_algorithmE0ELj4294967295EEENS1_25partition_config_selectorILNS1_17partition_subalgoE3EjNS0_10empty_typeEbEEZZNS1_14partition_implILS8_3ELb0ES6_jNS0_17counting_iteratorIjlEEPS9_SE_NS0_5tupleIJPjSE_EEENSF_IJSE_SE_EEES9_SG_JZNS1_25segmented_radix_sort_implINS0_14default_configELb1EPK12hip_bfloat16PSL_PKlPlN2at6native12_GLOBAL__N_18offset_tEEE10hipError_tPvRmT1_PNSt15iterator_traitsISZ_E10value_typeET2_T3_PNS10_IS15_E10value_typeET4_jRbjT5_S1B_jjP12ihipStream_tbEUljE_EEESW_SX_SY_S15_S19_S1B_T6_T7_T9_mT8_S1D_bDpT10_ENKUlT_T0_E_clISt17integral_constantIbLb0EES1Q_EEDaS1L_S1M_EUlS1L_E_NS1_11comp_targetILNS1_3genE0ELNS1_11target_archE4294967295ELNS1_3gpuE0ELNS1_3repE0EEENS1_30default_config_static_selectorELNS0_4arch9wavefront6targetE0EEEvSZ_.numbered_sgpr, 26
	.set _ZN7rocprim17ROCPRIM_400000_NS6detail17trampoline_kernelINS0_13select_configILj256ELj13ELNS0_17block_load_methodE3ELS4_3ELS4_3ELNS0_20block_scan_algorithmE0ELj4294967295EEENS1_25partition_config_selectorILNS1_17partition_subalgoE3EjNS0_10empty_typeEbEEZZNS1_14partition_implILS8_3ELb0ES6_jNS0_17counting_iteratorIjlEEPS9_SE_NS0_5tupleIJPjSE_EEENSF_IJSE_SE_EEES9_SG_JZNS1_25segmented_radix_sort_implINS0_14default_configELb1EPK12hip_bfloat16PSL_PKlPlN2at6native12_GLOBAL__N_18offset_tEEE10hipError_tPvRmT1_PNSt15iterator_traitsISZ_E10value_typeET2_T3_PNS10_IS15_E10value_typeET4_jRbjT5_S1B_jjP12ihipStream_tbEUljE_EEESW_SX_SY_S15_S19_S1B_T6_T7_T9_mT8_S1D_bDpT10_ENKUlT_T0_E_clISt17integral_constantIbLb0EES1Q_EEDaS1L_S1M_EUlS1L_E_NS1_11comp_targetILNS1_3genE0ELNS1_11target_archE4294967295ELNS1_3gpuE0ELNS1_3repE0EEENS1_30default_config_static_selectorELNS0_4arch9wavefront6targetE0EEEvSZ_.num_named_barrier, 0
	.set _ZN7rocprim17ROCPRIM_400000_NS6detail17trampoline_kernelINS0_13select_configILj256ELj13ELNS0_17block_load_methodE3ELS4_3ELS4_3ELNS0_20block_scan_algorithmE0ELj4294967295EEENS1_25partition_config_selectorILNS1_17partition_subalgoE3EjNS0_10empty_typeEbEEZZNS1_14partition_implILS8_3ELb0ES6_jNS0_17counting_iteratorIjlEEPS9_SE_NS0_5tupleIJPjSE_EEENSF_IJSE_SE_EEES9_SG_JZNS1_25segmented_radix_sort_implINS0_14default_configELb1EPK12hip_bfloat16PSL_PKlPlN2at6native12_GLOBAL__N_18offset_tEEE10hipError_tPvRmT1_PNSt15iterator_traitsISZ_E10value_typeET2_T3_PNS10_IS15_E10value_typeET4_jRbjT5_S1B_jjP12ihipStream_tbEUljE_EEESW_SX_SY_S15_S19_S1B_T6_T7_T9_mT8_S1D_bDpT10_ENKUlT_T0_E_clISt17integral_constantIbLb0EES1Q_EEDaS1L_S1M_EUlS1L_E_NS1_11comp_targetILNS1_3genE0ELNS1_11target_archE4294967295ELNS1_3gpuE0ELNS1_3repE0EEENS1_30default_config_static_selectorELNS0_4arch9wavefront6targetE0EEEvSZ_.private_seg_size, 0
	.set _ZN7rocprim17ROCPRIM_400000_NS6detail17trampoline_kernelINS0_13select_configILj256ELj13ELNS0_17block_load_methodE3ELS4_3ELS4_3ELNS0_20block_scan_algorithmE0ELj4294967295EEENS1_25partition_config_selectorILNS1_17partition_subalgoE3EjNS0_10empty_typeEbEEZZNS1_14partition_implILS8_3ELb0ES6_jNS0_17counting_iteratorIjlEEPS9_SE_NS0_5tupleIJPjSE_EEENSF_IJSE_SE_EEES9_SG_JZNS1_25segmented_radix_sort_implINS0_14default_configELb1EPK12hip_bfloat16PSL_PKlPlN2at6native12_GLOBAL__N_18offset_tEEE10hipError_tPvRmT1_PNSt15iterator_traitsISZ_E10value_typeET2_T3_PNS10_IS15_E10value_typeET4_jRbjT5_S1B_jjP12ihipStream_tbEUljE_EEESW_SX_SY_S15_S19_S1B_T6_T7_T9_mT8_S1D_bDpT10_ENKUlT_T0_E_clISt17integral_constantIbLb0EES1Q_EEDaS1L_S1M_EUlS1L_E_NS1_11comp_targetILNS1_3genE0ELNS1_11target_archE4294967295ELNS1_3gpuE0ELNS1_3repE0EEENS1_30default_config_static_selectorELNS0_4arch9wavefront6targetE0EEEvSZ_.uses_vcc, 1
	.set _ZN7rocprim17ROCPRIM_400000_NS6detail17trampoline_kernelINS0_13select_configILj256ELj13ELNS0_17block_load_methodE3ELS4_3ELS4_3ELNS0_20block_scan_algorithmE0ELj4294967295EEENS1_25partition_config_selectorILNS1_17partition_subalgoE3EjNS0_10empty_typeEbEEZZNS1_14partition_implILS8_3ELb0ES6_jNS0_17counting_iteratorIjlEEPS9_SE_NS0_5tupleIJPjSE_EEENSF_IJSE_SE_EEES9_SG_JZNS1_25segmented_radix_sort_implINS0_14default_configELb1EPK12hip_bfloat16PSL_PKlPlN2at6native12_GLOBAL__N_18offset_tEEE10hipError_tPvRmT1_PNSt15iterator_traitsISZ_E10value_typeET2_T3_PNS10_IS15_E10value_typeET4_jRbjT5_S1B_jjP12ihipStream_tbEUljE_EEESW_SX_SY_S15_S19_S1B_T6_T7_T9_mT8_S1D_bDpT10_ENKUlT_T0_E_clISt17integral_constantIbLb0EES1Q_EEDaS1L_S1M_EUlS1L_E_NS1_11comp_targetILNS1_3genE0ELNS1_11target_archE4294967295ELNS1_3gpuE0ELNS1_3repE0EEENS1_30default_config_static_selectorELNS0_4arch9wavefront6targetE0EEEvSZ_.uses_flat_scratch, 0
	.set _ZN7rocprim17ROCPRIM_400000_NS6detail17trampoline_kernelINS0_13select_configILj256ELj13ELNS0_17block_load_methodE3ELS4_3ELS4_3ELNS0_20block_scan_algorithmE0ELj4294967295EEENS1_25partition_config_selectorILNS1_17partition_subalgoE3EjNS0_10empty_typeEbEEZZNS1_14partition_implILS8_3ELb0ES6_jNS0_17counting_iteratorIjlEEPS9_SE_NS0_5tupleIJPjSE_EEENSF_IJSE_SE_EEES9_SG_JZNS1_25segmented_radix_sort_implINS0_14default_configELb1EPK12hip_bfloat16PSL_PKlPlN2at6native12_GLOBAL__N_18offset_tEEE10hipError_tPvRmT1_PNSt15iterator_traitsISZ_E10value_typeET2_T3_PNS10_IS15_E10value_typeET4_jRbjT5_S1B_jjP12ihipStream_tbEUljE_EEESW_SX_SY_S15_S19_S1B_T6_T7_T9_mT8_S1D_bDpT10_ENKUlT_T0_E_clISt17integral_constantIbLb0EES1Q_EEDaS1L_S1M_EUlS1L_E_NS1_11comp_targetILNS1_3genE0ELNS1_11target_archE4294967295ELNS1_3gpuE0ELNS1_3repE0EEENS1_30default_config_static_selectorELNS0_4arch9wavefront6targetE0EEEvSZ_.has_dyn_sized_stack, 0
	.set _ZN7rocprim17ROCPRIM_400000_NS6detail17trampoline_kernelINS0_13select_configILj256ELj13ELNS0_17block_load_methodE3ELS4_3ELS4_3ELNS0_20block_scan_algorithmE0ELj4294967295EEENS1_25partition_config_selectorILNS1_17partition_subalgoE3EjNS0_10empty_typeEbEEZZNS1_14partition_implILS8_3ELb0ES6_jNS0_17counting_iteratorIjlEEPS9_SE_NS0_5tupleIJPjSE_EEENSF_IJSE_SE_EEES9_SG_JZNS1_25segmented_radix_sort_implINS0_14default_configELb1EPK12hip_bfloat16PSL_PKlPlN2at6native12_GLOBAL__N_18offset_tEEE10hipError_tPvRmT1_PNSt15iterator_traitsISZ_E10value_typeET2_T3_PNS10_IS15_E10value_typeET4_jRbjT5_S1B_jjP12ihipStream_tbEUljE_EEESW_SX_SY_S15_S19_S1B_T6_T7_T9_mT8_S1D_bDpT10_ENKUlT_T0_E_clISt17integral_constantIbLb0EES1Q_EEDaS1L_S1M_EUlS1L_E_NS1_11comp_targetILNS1_3genE0ELNS1_11target_archE4294967295ELNS1_3gpuE0ELNS1_3repE0EEENS1_30default_config_static_selectorELNS0_4arch9wavefront6targetE0EEEvSZ_.has_recursion, 0
	.set _ZN7rocprim17ROCPRIM_400000_NS6detail17trampoline_kernelINS0_13select_configILj256ELj13ELNS0_17block_load_methodE3ELS4_3ELS4_3ELNS0_20block_scan_algorithmE0ELj4294967295EEENS1_25partition_config_selectorILNS1_17partition_subalgoE3EjNS0_10empty_typeEbEEZZNS1_14partition_implILS8_3ELb0ES6_jNS0_17counting_iteratorIjlEEPS9_SE_NS0_5tupleIJPjSE_EEENSF_IJSE_SE_EEES9_SG_JZNS1_25segmented_radix_sort_implINS0_14default_configELb1EPK12hip_bfloat16PSL_PKlPlN2at6native12_GLOBAL__N_18offset_tEEE10hipError_tPvRmT1_PNSt15iterator_traitsISZ_E10value_typeET2_T3_PNS10_IS15_E10value_typeET4_jRbjT5_S1B_jjP12ihipStream_tbEUljE_EEESW_SX_SY_S15_S19_S1B_T6_T7_T9_mT8_S1D_bDpT10_ENKUlT_T0_E_clISt17integral_constantIbLb0EES1Q_EEDaS1L_S1M_EUlS1L_E_NS1_11comp_targetILNS1_3genE0ELNS1_11target_archE4294967295ELNS1_3gpuE0ELNS1_3repE0EEENS1_30default_config_static_selectorELNS0_4arch9wavefront6targetE0EEEvSZ_.has_indirect_call, 0
	.section	.AMDGPU.csdata,"",@progbits
; Kernel info:
; codeLenInByte = 8920
; TotalNumSgprs: 28
; NumVgprs: 69
; ScratchSize: 0
; MemoryBound: 0
; FloatMode: 240
; IeeeMode: 1
; LDSByteSize: 13320 bytes/workgroup (compile time only)
; SGPRBlocks: 0
; VGPRBlocks: 4
; NumSGPRsForWavesPerEU: 28
; NumVGPRsForWavesPerEU: 69
; NamedBarCnt: 0
; Occupancy: 12
; WaveLimiterHint : 0
; COMPUTE_PGM_RSRC2:SCRATCH_EN: 0
; COMPUTE_PGM_RSRC2:USER_SGPR: 2
; COMPUTE_PGM_RSRC2:TRAP_HANDLER: 0
; COMPUTE_PGM_RSRC2:TGID_X_EN: 1
; COMPUTE_PGM_RSRC2:TGID_Y_EN: 0
; COMPUTE_PGM_RSRC2:TGID_Z_EN: 0
; COMPUTE_PGM_RSRC2:TIDIG_COMP_CNT: 0
	.section	.text._ZN7rocprim17ROCPRIM_400000_NS6detail17trampoline_kernelINS0_13select_configILj256ELj13ELNS0_17block_load_methodE3ELS4_3ELS4_3ELNS0_20block_scan_algorithmE0ELj4294967295EEENS1_25partition_config_selectorILNS1_17partition_subalgoE3EjNS0_10empty_typeEbEEZZNS1_14partition_implILS8_3ELb0ES6_jNS0_17counting_iteratorIjlEEPS9_SE_NS0_5tupleIJPjSE_EEENSF_IJSE_SE_EEES9_SG_JZNS1_25segmented_radix_sort_implINS0_14default_configELb1EPK12hip_bfloat16PSL_PKlPlN2at6native12_GLOBAL__N_18offset_tEEE10hipError_tPvRmT1_PNSt15iterator_traitsISZ_E10value_typeET2_T3_PNS10_IS15_E10value_typeET4_jRbjT5_S1B_jjP12ihipStream_tbEUljE_EEESW_SX_SY_S15_S19_S1B_T6_T7_T9_mT8_S1D_bDpT10_ENKUlT_T0_E_clISt17integral_constantIbLb0EES1Q_EEDaS1L_S1M_EUlS1L_E_NS1_11comp_targetILNS1_3genE5ELNS1_11target_archE942ELNS1_3gpuE9ELNS1_3repE0EEENS1_30default_config_static_selectorELNS0_4arch9wavefront6targetE0EEEvSZ_,"axG",@progbits,_ZN7rocprim17ROCPRIM_400000_NS6detail17trampoline_kernelINS0_13select_configILj256ELj13ELNS0_17block_load_methodE3ELS4_3ELS4_3ELNS0_20block_scan_algorithmE0ELj4294967295EEENS1_25partition_config_selectorILNS1_17partition_subalgoE3EjNS0_10empty_typeEbEEZZNS1_14partition_implILS8_3ELb0ES6_jNS0_17counting_iteratorIjlEEPS9_SE_NS0_5tupleIJPjSE_EEENSF_IJSE_SE_EEES9_SG_JZNS1_25segmented_radix_sort_implINS0_14default_configELb1EPK12hip_bfloat16PSL_PKlPlN2at6native12_GLOBAL__N_18offset_tEEE10hipError_tPvRmT1_PNSt15iterator_traitsISZ_E10value_typeET2_T3_PNS10_IS15_E10value_typeET4_jRbjT5_S1B_jjP12ihipStream_tbEUljE_EEESW_SX_SY_S15_S19_S1B_T6_T7_T9_mT8_S1D_bDpT10_ENKUlT_T0_E_clISt17integral_constantIbLb0EES1Q_EEDaS1L_S1M_EUlS1L_E_NS1_11comp_targetILNS1_3genE5ELNS1_11target_archE942ELNS1_3gpuE9ELNS1_3repE0EEENS1_30default_config_static_selectorELNS0_4arch9wavefront6targetE0EEEvSZ_,comdat
	.globl	_ZN7rocprim17ROCPRIM_400000_NS6detail17trampoline_kernelINS0_13select_configILj256ELj13ELNS0_17block_load_methodE3ELS4_3ELS4_3ELNS0_20block_scan_algorithmE0ELj4294967295EEENS1_25partition_config_selectorILNS1_17partition_subalgoE3EjNS0_10empty_typeEbEEZZNS1_14partition_implILS8_3ELb0ES6_jNS0_17counting_iteratorIjlEEPS9_SE_NS0_5tupleIJPjSE_EEENSF_IJSE_SE_EEES9_SG_JZNS1_25segmented_radix_sort_implINS0_14default_configELb1EPK12hip_bfloat16PSL_PKlPlN2at6native12_GLOBAL__N_18offset_tEEE10hipError_tPvRmT1_PNSt15iterator_traitsISZ_E10value_typeET2_T3_PNS10_IS15_E10value_typeET4_jRbjT5_S1B_jjP12ihipStream_tbEUljE_EEESW_SX_SY_S15_S19_S1B_T6_T7_T9_mT8_S1D_bDpT10_ENKUlT_T0_E_clISt17integral_constantIbLb0EES1Q_EEDaS1L_S1M_EUlS1L_E_NS1_11comp_targetILNS1_3genE5ELNS1_11target_archE942ELNS1_3gpuE9ELNS1_3repE0EEENS1_30default_config_static_selectorELNS0_4arch9wavefront6targetE0EEEvSZ_ ; -- Begin function _ZN7rocprim17ROCPRIM_400000_NS6detail17trampoline_kernelINS0_13select_configILj256ELj13ELNS0_17block_load_methodE3ELS4_3ELS4_3ELNS0_20block_scan_algorithmE0ELj4294967295EEENS1_25partition_config_selectorILNS1_17partition_subalgoE3EjNS0_10empty_typeEbEEZZNS1_14partition_implILS8_3ELb0ES6_jNS0_17counting_iteratorIjlEEPS9_SE_NS0_5tupleIJPjSE_EEENSF_IJSE_SE_EEES9_SG_JZNS1_25segmented_radix_sort_implINS0_14default_configELb1EPK12hip_bfloat16PSL_PKlPlN2at6native12_GLOBAL__N_18offset_tEEE10hipError_tPvRmT1_PNSt15iterator_traitsISZ_E10value_typeET2_T3_PNS10_IS15_E10value_typeET4_jRbjT5_S1B_jjP12ihipStream_tbEUljE_EEESW_SX_SY_S15_S19_S1B_T6_T7_T9_mT8_S1D_bDpT10_ENKUlT_T0_E_clISt17integral_constantIbLb0EES1Q_EEDaS1L_S1M_EUlS1L_E_NS1_11comp_targetILNS1_3genE5ELNS1_11target_archE942ELNS1_3gpuE9ELNS1_3repE0EEENS1_30default_config_static_selectorELNS0_4arch9wavefront6targetE0EEEvSZ_
	.p2align	8
	.type	_ZN7rocprim17ROCPRIM_400000_NS6detail17trampoline_kernelINS0_13select_configILj256ELj13ELNS0_17block_load_methodE3ELS4_3ELS4_3ELNS0_20block_scan_algorithmE0ELj4294967295EEENS1_25partition_config_selectorILNS1_17partition_subalgoE3EjNS0_10empty_typeEbEEZZNS1_14partition_implILS8_3ELb0ES6_jNS0_17counting_iteratorIjlEEPS9_SE_NS0_5tupleIJPjSE_EEENSF_IJSE_SE_EEES9_SG_JZNS1_25segmented_radix_sort_implINS0_14default_configELb1EPK12hip_bfloat16PSL_PKlPlN2at6native12_GLOBAL__N_18offset_tEEE10hipError_tPvRmT1_PNSt15iterator_traitsISZ_E10value_typeET2_T3_PNS10_IS15_E10value_typeET4_jRbjT5_S1B_jjP12ihipStream_tbEUljE_EEESW_SX_SY_S15_S19_S1B_T6_T7_T9_mT8_S1D_bDpT10_ENKUlT_T0_E_clISt17integral_constantIbLb0EES1Q_EEDaS1L_S1M_EUlS1L_E_NS1_11comp_targetILNS1_3genE5ELNS1_11target_archE942ELNS1_3gpuE9ELNS1_3repE0EEENS1_30default_config_static_selectorELNS0_4arch9wavefront6targetE0EEEvSZ_,@function
_ZN7rocprim17ROCPRIM_400000_NS6detail17trampoline_kernelINS0_13select_configILj256ELj13ELNS0_17block_load_methodE3ELS4_3ELS4_3ELNS0_20block_scan_algorithmE0ELj4294967295EEENS1_25partition_config_selectorILNS1_17partition_subalgoE3EjNS0_10empty_typeEbEEZZNS1_14partition_implILS8_3ELb0ES6_jNS0_17counting_iteratorIjlEEPS9_SE_NS0_5tupleIJPjSE_EEENSF_IJSE_SE_EEES9_SG_JZNS1_25segmented_radix_sort_implINS0_14default_configELb1EPK12hip_bfloat16PSL_PKlPlN2at6native12_GLOBAL__N_18offset_tEEE10hipError_tPvRmT1_PNSt15iterator_traitsISZ_E10value_typeET2_T3_PNS10_IS15_E10value_typeET4_jRbjT5_S1B_jjP12ihipStream_tbEUljE_EEESW_SX_SY_S15_S19_S1B_T6_T7_T9_mT8_S1D_bDpT10_ENKUlT_T0_E_clISt17integral_constantIbLb0EES1Q_EEDaS1L_S1M_EUlS1L_E_NS1_11comp_targetILNS1_3genE5ELNS1_11target_archE942ELNS1_3gpuE9ELNS1_3repE0EEENS1_30default_config_static_selectorELNS0_4arch9wavefront6targetE0EEEvSZ_: ; @_ZN7rocprim17ROCPRIM_400000_NS6detail17trampoline_kernelINS0_13select_configILj256ELj13ELNS0_17block_load_methodE3ELS4_3ELS4_3ELNS0_20block_scan_algorithmE0ELj4294967295EEENS1_25partition_config_selectorILNS1_17partition_subalgoE3EjNS0_10empty_typeEbEEZZNS1_14partition_implILS8_3ELb0ES6_jNS0_17counting_iteratorIjlEEPS9_SE_NS0_5tupleIJPjSE_EEENSF_IJSE_SE_EEES9_SG_JZNS1_25segmented_radix_sort_implINS0_14default_configELb1EPK12hip_bfloat16PSL_PKlPlN2at6native12_GLOBAL__N_18offset_tEEE10hipError_tPvRmT1_PNSt15iterator_traitsISZ_E10value_typeET2_T3_PNS10_IS15_E10value_typeET4_jRbjT5_S1B_jjP12ihipStream_tbEUljE_EEESW_SX_SY_S15_S19_S1B_T6_T7_T9_mT8_S1D_bDpT10_ENKUlT_T0_E_clISt17integral_constantIbLb0EES1Q_EEDaS1L_S1M_EUlS1L_E_NS1_11comp_targetILNS1_3genE5ELNS1_11target_archE942ELNS1_3gpuE9ELNS1_3repE0EEENS1_30default_config_static_selectorELNS0_4arch9wavefront6targetE0EEEvSZ_
; %bb.0:
	.section	.rodata,"a",@progbits
	.p2align	6, 0x0
	.amdhsa_kernel _ZN7rocprim17ROCPRIM_400000_NS6detail17trampoline_kernelINS0_13select_configILj256ELj13ELNS0_17block_load_methodE3ELS4_3ELS4_3ELNS0_20block_scan_algorithmE0ELj4294967295EEENS1_25partition_config_selectorILNS1_17partition_subalgoE3EjNS0_10empty_typeEbEEZZNS1_14partition_implILS8_3ELb0ES6_jNS0_17counting_iteratorIjlEEPS9_SE_NS0_5tupleIJPjSE_EEENSF_IJSE_SE_EEES9_SG_JZNS1_25segmented_radix_sort_implINS0_14default_configELb1EPK12hip_bfloat16PSL_PKlPlN2at6native12_GLOBAL__N_18offset_tEEE10hipError_tPvRmT1_PNSt15iterator_traitsISZ_E10value_typeET2_T3_PNS10_IS15_E10value_typeET4_jRbjT5_S1B_jjP12ihipStream_tbEUljE_EEESW_SX_SY_S15_S19_S1B_T6_T7_T9_mT8_S1D_bDpT10_ENKUlT_T0_E_clISt17integral_constantIbLb0EES1Q_EEDaS1L_S1M_EUlS1L_E_NS1_11comp_targetILNS1_3genE5ELNS1_11target_archE942ELNS1_3gpuE9ELNS1_3repE0EEENS1_30default_config_static_selectorELNS0_4arch9wavefront6targetE0EEEvSZ_
		.amdhsa_group_segment_fixed_size 0
		.amdhsa_private_segment_fixed_size 0
		.amdhsa_kernarg_size 144
		.amdhsa_user_sgpr_count 2
		.amdhsa_user_sgpr_dispatch_ptr 0
		.amdhsa_user_sgpr_queue_ptr 0
		.amdhsa_user_sgpr_kernarg_segment_ptr 1
		.amdhsa_user_sgpr_dispatch_id 0
		.amdhsa_user_sgpr_kernarg_preload_length 0
		.amdhsa_user_sgpr_kernarg_preload_offset 0
		.amdhsa_user_sgpr_private_segment_size 0
		.amdhsa_wavefront_size32 1
		.amdhsa_uses_dynamic_stack 0
		.amdhsa_enable_private_segment 0
		.amdhsa_system_sgpr_workgroup_id_x 1
		.amdhsa_system_sgpr_workgroup_id_y 0
		.amdhsa_system_sgpr_workgroup_id_z 0
		.amdhsa_system_sgpr_workgroup_info 0
		.amdhsa_system_vgpr_workitem_id 0
		.amdhsa_next_free_vgpr 1
		.amdhsa_next_free_sgpr 1
		.amdhsa_named_barrier_count 0
		.amdhsa_reserve_vcc 0
		.amdhsa_float_round_mode_32 0
		.amdhsa_float_round_mode_16_64 0
		.amdhsa_float_denorm_mode_32 3
		.amdhsa_float_denorm_mode_16_64 3
		.amdhsa_fp16_overflow 0
		.amdhsa_memory_ordered 1
		.amdhsa_forward_progress 1
		.amdhsa_inst_pref_size 0
		.amdhsa_round_robin_scheduling 0
		.amdhsa_exception_fp_ieee_invalid_op 0
		.amdhsa_exception_fp_denorm_src 0
		.amdhsa_exception_fp_ieee_div_zero 0
		.amdhsa_exception_fp_ieee_overflow 0
		.amdhsa_exception_fp_ieee_underflow 0
		.amdhsa_exception_fp_ieee_inexact 0
		.amdhsa_exception_int_div_zero 0
	.end_amdhsa_kernel
	.section	.text._ZN7rocprim17ROCPRIM_400000_NS6detail17trampoline_kernelINS0_13select_configILj256ELj13ELNS0_17block_load_methodE3ELS4_3ELS4_3ELNS0_20block_scan_algorithmE0ELj4294967295EEENS1_25partition_config_selectorILNS1_17partition_subalgoE3EjNS0_10empty_typeEbEEZZNS1_14partition_implILS8_3ELb0ES6_jNS0_17counting_iteratorIjlEEPS9_SE_NS0_5tupleIJPjSE_EEENSF_IJSE_SE_EEES9_SG_JZNS1_25segmented_radix_sort_implINS0_14default_configELb1EPK12hip_bfloat16PSL_PKlPlN2at6native12_GLOBAL__N_18offset_tEEE10hipError_tPvRmT1_PNSt15iterator_traitsISZ_E10value_typeET2_T3_PNS10_IS15_E10value_typeET4_jRbjT5_S1B_jjP12ihipStream_tbEUljE_EEESW_SX_SY_S15_S19_S1B_T6_T7_T9_mT8_S1D_bDpT10_ENKUlT_T0_E_clISt17integral_constantIbLb0EES1Q_EEDaS1L_S1M_EUlS1L_E_NS1_11comp_targetILNS1_3genE5ELNS1_11target_archE942ELNS1_3gpuE9ELNS1_3repE0EEENS1_30default_config_static_selectorELNS0_4arch9wavefront6targetE0EEEvSZ_,"axG",@progbits,_ZN7rocprim17ROCPRIM_400000_NS6detail17trampoline_kernelINS0_13select_configILj256ELj13ELNS0_17block_load_methodE3ELS4_3ELS4_3ELNS0_20block_scan_algorithmE0ELj4294967295EEENS1_25partition_config_selectorILNS1_17partition_subalgoE3EjNS0_10empty_typeEbEEZZNS1_14partition_implILS8_3ELb0ES6_jNS0_17counting_iteratorIjlEEPS9_SE_NS0_5tupleIJPjSE_EEENSF_IJSE_SE_EEES9_SG_JZNS1_25segmented_radix_sort_implINS0_14default_configELb1EPK12hip_bfloat16PSL_PKlPlN2at6native12_GLOBAL__N_18offset_tEEE10hipError_tPvRmT1_PNSt15iterator_traitsISZ_E10value_typeET2_T3_PNS10_IS15_E10value_typeET4_jRbjT5_S1B_jjP12ihipStream_tbEUljE_EEESW_SX_SY_S15_S19_S1B_T6_T7_T9_mT8_S1D_bDpT10_ENKUlT_T0_E_clISt17integral_constantIbLb0EES1Q_EEDaS1L_S1M_EUlS1L_E_NS1_11comp_targetILNS1_3genE5ELNS1_11target_archE942ELNS1_3gpuE9ELNS1_3repE0EEENS1_30default_config_static_selectorELNS0_4arch9wavefront6targetE0EEEvSZ_,comdat
.Lfunc_end1905:
	.size	_ZN7rocprim17ROCPRIM_400000_NS6detail17trampoline_kernelINS0_13select_configILj256ELj13ELNS0_17block_load_methodE3ELS4_3ELS4_3ELNS0_20block_scan_algorithmE0ELj4294967295EEENS1_25partition_config_selectorILNS1_17partition_subalgoE3EjNS0_10empty_typeEbEEZZNS1_14partition_implILS8_3ELb0ES6_jNS0_17counting_iteratorIjlEEPS9_SE_NS0_5tupleIJPjSE_EEENSF_IJSE_SE_EEES9_SG_JZNS1_25segmented_radix_sort_implINS0_14default_configELb1EPK12hip_bfloat16PSL_PKlPlN2at6native12_GLOBAL__N_18offset_tEEE10hipError_tPvRmT1_PNSt15iterator_traitsISZ_E10value_typeET2_T3_PNS10_IS15_E10value_typeET4_jRbjT5_S1B_jjP12ihipStream_tbEUljE_EEESW_SX_SY_S15_S19_S1B_T6_T7_T9_mT8_S1D_bDpT10_ENKUlT_T0_E_clISt17integral_constantIbLb0EES1Q_EEDaS1L_S1M_EUlS1L_E_NS1_11comp_targetILNS1_3genE5ELNS1_11target_archE942ELNS1_3gpuE9ELNS1_3repE0EEENS1_30default_config_static_selectorELNS0_4arch9wavefront6targetE0EEEvSZ_, .Lfunc_end1905-_ZN7rocprim17ROCPRIM_400000_NS6detail17trampoline_kernelINS0_13select_configILj256ELj13ELNS0_17block_load_methodE3ELS4_3ELS4_3ELNS0_20block_scan_algorithmE0ELj4294967295EEENS1_25partition_config_selectorILNS1_17partition_subalgoE3EjNS0_10empty_typeEbEEZZNS1_14partition_implILS8_3ELb0ES6_jNS0_17counting_iteratorIjlEEPS9_SE_NS0_5tupleIJPjSE_EEENSF_IJSE_SE_EEES9_SG_JZNS1_25segmented_radix_sort_implINS0_14default_configELb1EPK12hip_bfloat16PSL_PKlPlN2at6native12_GLOBAL__N_18offset_tEEE10hipError_tPvRmT1_PNSt15iterator_traitsISZ_E10value_typeET2_T3_PNS10_IS15_E10value_typeET4_jRbjT5_S1B_jjP12ihipStream_tbEUljE_EEESW_SX_SY_S15_S19_S1B_T6_T7_T9_mT8_S1D_bDpT10_ENKUlT_T0_E_clISt17integral_constantIbLb0EES1Q_EEDaS1L_S1M_EUlS1L_E_NS1_11comp_targetILNS1_3genE5ELNS1_11target_archE942ELNS1_3gpuE9ELNS1_3repE0EEENS1_30default_config_static_selectorELNS0_4arch9wavefront6targetE0EEEvSZ_
                                        ; -- End function
	.set _ZN7rocprim17ROCPRIM_400000_NS6detail17trampoline_kernelINS0_13select_configILj256ELj13ELNS0_17block_load_methodE3ELS4_3ELS4_3ELNS0_20block_scan_algorithmE0ELj4294967295EEENS1_25partition_config_selectorILNS1_17partition_subalgoE3EjNS0_10empty_typeEbEEZZNS1_14partition_implILS8_3ELb0ES6_jNS0_17counting_iteratorIjlEEPS9_SE_NS0_5tupleIJPjSE_EEENSF_IJSE_SE_EEES9_SG_JZNS1_25segmented_radix_sort_implINS0_14default_configELb1EPK12hip_bfloat16PSL_PKlPlN2at6native12_GLOBAL__N_18offset_tEEE10hipError_tPvRmT1_PNSt15iterator_traitsISZ_E10value_typeET2_T3_PNS10_IS15_E10value_typeET4_jRbjT5_S1B_jjP12ihipStream_tbEUljE_EEESW_SX_SY_S15_S19_S1B_T6_T7_T9_mT8_S1D_bDpT10_ENKUlT_T0_E_clISt17integral_constantIbLb0EES1Q_EEDaS1L_S1M_EUlS1L_E_NS1_11comp_targetILNS1_3genE5ELNS1_11target_archE942ELNS1_3gpuE9ELNS1_3repE0EEENS1_30default_config_static_selectorELNS0_4arch9wavefront6targetE0EEEvSZ_.num_vgpr, 0
	.set _ZN7rocprim17ROCPRIM_400000_NS6detail17trampoline_kernelINS0_13select_configILj256ELj13ELNS0_17block_load_methodE3ELS4_3ELS4_3ELNS0_20block_scan_algorithmE0ELj4294967295EEENS1_25partition_config_selectorILNS1_17partition_subalgoE3EjNS0_10empty_typeEbEEZZNS1_14partition_implILS8_3ELb0ES6_jNS0_17counting_iteratorIjlEEPS9_SE_NS0_5tupleIJPjSE_EEENSF_IJSE_SE_EEES9_SG_JZNS1_25segmented_radix_sort_implINS0_14default_configELb1EPK12hip_bfloat16PSL_PKlPlN2at6native12_GLOBAL__N_18offset_tEEE10hipError_tPvRmT1_PNSt15iterator_traitsISZ_E10value_typeET2_T3_PNS10_IS15_E10value_typeET4_jRbjT5_S1B_jjP12ihipStream_tbEUljE_EEESW_SX_SY_S15_S19_S1B_T6_T7_T9_mT8_S1D_bDpT10_ENKUlT_T0_E_clISt17integral_constantIbLb0EES1Q_EEDaS1L_S1M_EUlS1L_E_NS1_11comp_targetILNS1_3genE5ELNS1_11target_archE942ELNS1_3gpuE9ELNS1_3repE0EEENS1_30default_config_static_selectorELNS0_4arch9wavefront6targetE0EEEvSZ_.num_agpr, 0
	.set _ZN7rocprim17ROCPRIM_400000_NS6detail17trampoline_kernelINS0_13select_configILj256ELj13ELNS0_17block_load_methodE3ELS4_3ELS4_3ELNS0_20block_scan_algorithmE0ELj4294967295EEENS1_25partition_config_selectorILNS1_17partition_subalgoE3EjNS0_10empty_typeEbEEZZNS1_14partition_implILS8_3ELb0ES6_jNS0_17counting_iteratorIjlEEPS9_SE_NS0_5tupleIJPjSE_EEENSF_IJSE_SE_EEES9_SG_JZNS1_25segmented_radix_sort_implINS0_14default_configELb1EPK12hip_bfloat16PSL_PKlPlN2at6native12_GLOBAL__N_18offset_tEEE10hipError_tPvRmT1_PNSt15iterator_traitsISZ_E10value_typeET2_T3_PNS10_IS15_E10value_typeET4_jRbjT5_S1B_jjP12ihipStream_tbEUljE_EEESW_SX_SY_S15_S19_S1B_T6_T7_T9_mT8_S1D_bDpT10_ENKUlT_T0_E_clISt17integral_constantIbLb0EES1Q_EEDaS1L_S1M_EUlS1L_E_NS1_11comp_targetILNS1_3genE5ELNS1_11target_archE942ELNS1_3gpuE9ELNS1_3repE0EEENS1_30default_config_static_selectorELNS0_4arch9wavefront6targetE0EEEvSZ_.numbered_sgpr, 0
	.set _ZN7rocprim17ROCPRIM_400000_NS6detail17trampoline_kernelINS0_13select_configILj256ELj13ELNS0_17block_load_methodE3ELS4_3ELS4_3ELNS0_20block_scan_algorithmE0ELj4294967295EEENS1_25partition_config_selectorILNS1_17partition_subalgoE3EjNS0_10empty_typeEbEEZZNS1_14partition_implILS8_3ELb0ES6_jNS0_17counting_iteratorIjlEEPS9_SE_NS0_5tupleIJPjSE_EEENSF_IJSE_SE_EEES9_SG_JZNS1_25segmented_radix_sort_implINS0_14default_configELb1EPK12hip_bfloat16PSL_PKlPlN2at6native12_GLOBAL__N_18offset_tEEE10hipError_tPvRmT1_PNSt15iterator_traitsISZ_E10value_typeET2_T3_PNS10_IS15_E10value_typeET4_jRbjT5_S1B_jjP12ihipStream_tbEUljE_EEESW_SX_SY_S15_S19_S1B_T6_T7_T9_mT8_S1D_bDpT10_ENKUlT_T0_E_clISt17integral_constantIbLb0EES1Q_EEDaS1L_S1M_EUlS1L_E_NS1_11comp_targetILNS1_3genE5ELNS1_11target_archE942ELNS1_3gpuE9ELNS1_3repE0EEENS1_30default_config_static_selectorELNS0_4arch9wavefront6targetE0EEEvSZ_.num_named_barrier, 0
	.set _ZN7rocprim17ROCPRIM_400000_NS6detail17trampoline_kernelINS0_13select_configILj256ELj13ELNS0_17block_load_methodE3ELS4_3ELS4_3ELNS0_20block_scan_algorithmE0ELj4294967295EEENS1_25partition_config_selectorILNS1_17partition_subalgoE3EjNS0_10empty_typeEbEEZZNS1_14partition_implILS8_3ELb0ES6_jNS0_17counting_iteratorIjlEEPS9_SE_NS0_5tupleIJPjSE_EEENSF_IJSE_SE_EEES9_SG_JZNS1_25segmented_radix_sort_implINS0_14default_configELb1EPK12hip_bfloat16PSL_PKlPlN2at6native12_GLOBAL__N_18offset_tEEE10hipError_tPvRmT1_PNSt15iterator_traitsISZ_E10value_typeET2_T3_PNS10_IS15_E10value_typeET4_jRbjT5_S1B_jjP12ihipStream_tbEUljE_EEESW_SX_SY_S15_S19_S1B_T6_T7_T9_mT8_S1D_bDpT10_ENKUlT_T0_E_clISt17integral_constantIbLb0EES1Q_EEDaS1L_S1M_EUlS1L_E_NS1_11comp_targetILNS1_3genE5ELNS1_11target_archE942ELNS1_3gpuE9ELNS1_3repE0EEENS1_30default_config_static_selectorELNS0_4arch9wavefront6targetE0EEEvSZ_.private_seg_size, 0
	.set _ZN7rocprim17ROCPRIM_400000_NS6detail17trampoline_kernelINS0_13select_configILj256ELj13ELNS0_17block_load_methodE3ELS4_3ELS4_3ELNS0_20block_scan_algorithmE0ELj4294967295EEENS1_25partition_config_selectorILNS1_17partition_subalgoE3EjNS0_10empty_typeEbEEZZNS1_14partition_implILS8_3ELb0ES6_jNS0_17counting_iteratorIjlEEPS9_SE_NS0_5tupleIJPjSE_EEENSF_IJSE_SE_EEES9_SG_JZNS1_25segmented_radix_sort_implINS0_14default_configELb1EPK12hip_bfloat16PSL_PKlPlN2at6native12_GLOBAL__N_18offset_tEEE10hipError_tPvRmT1_PNSt15iterator_traitsISZ_E10value_typeET2_T3_PNS10_IS15_E10value_typeET4_jRbjT5_S1B_jjP12ihipStream_tbEUljE_EEESW_SX_SY_S15_S19_S1B_T6_T7_T9_mT8_S1D_bDpT10_ENKUlT_T0_E_clISt17integral_constantIbLb0EES1Q_EEDaS1L_S1M_EUlS1L_E_NS1_11comp_targetILNS1_3genE5ELNS1_11target_archE942ELNS1_3gpuE9ELNS1_3repE0EEENS1_30default_config_static_selectorELNS0_4arch9wavefront6targetE0EEEvSZ_.uses_vcc, 0
	.set _ZN7rocprim17ROCPRIM_400000_NS6detail17trampoline_kernelINS0_13select_configILj256ELj13ELNS0_17block_load_methodE3ELS4_3ELS4_3ELNS0_20block_scan_algorithmE0ELj4294967295EEENS1_25partition_config_selectorILNS1_17partition_subalgoE3EjNS0_10empty_typeEbEEZZNS1_14partition_implILS8_3ELb0ES6_jNS0_17counting_iteratorIjlEEPS9_SE_NS0_5tupleIJPjSE_EEENSF_IJSE_SE_EEES9_SG_JZNS1_25segmented_radix_sort_implINS0_14default_configELb1EPK12hip_bfloat16PSL_PKlPlN2at6native12_GLOBAL__N_18offset_tEEE10hipError_tPvRmT1_PNSt15iterator_traitsISZ_E10value_typeET2_T3_PNS10_IS15_E10value_typeET4_jRbjT5_S1B_jjP12ihipStream_tbEUljE_EEESW_SX_SY_S15_S19_S1B_T6_T7_T9_mT8_S1D_bDpT10_ENKUlT_T0_E_clISt17integral_constantIbLb0EES1Q_EEDaS1L_S1M_EUlS1L_E_NS1_11comp_targetILNS1_3genE5ELNS1_11target_archE942ELNS1_3gpuE9ELNS1_3repE0EEENS1_30default_config_static_selectorELNS0_4arch9wavefront6targetE0EEEvSZ_.uses_flat_scratch, 0
	.set _ZN7rocprim17ROCPRIM_400000_NS6detail17trampoline_kernelINS0_13select_configILj256ELj13ELNS0_17block_load_methodE3ELS4_3ELS4_3ELNS0_20block_scan_algorithmE0ELj4294967295EEENS1_25partition_config_selectorILNS1_17partition_subalgoE3EjNS0_10empty_typeEbEEZZNS1_14partition_implILS8_3ELb0ES6_jNS0_17counting_iteratorIjlEEPS9_SE_NS0_5tupleIJPjSE_EEENSF_IJSE_SE_EEES9_SG_JZNS1_25segmented_radix_sort_implINS0_14default_configELb1EPK12hip_bfloat16PSL_PKlPlN2at6native12_GLOBAL__N_18offset_tEEE10hipError_tPvRmT1_PNSt15iterator_traitsISZ_E10value_typeET2_T3_PNS10_IS15_E10value_typeET4_jRbjT5_S1B_jjP12ihipStream_tbEUljE_EEESW_SX_SY_S15_S19_S1B_T6_T7_T9_mT8_S1D_bDpT10_ENKUlT_T0_E_clISt17integral_constantIbLb0EES1Q_EEDaS1L_S1M_EUlS1L_E_NS1_11comp_targetILNS1_3genE5ELNS1_11target_archE942ELNS1_3gpuE9ELNS1_3repE0EEENS1_30default_config_static_selectorELNS0_4arch9wavefront6targetE0EEEvSZ_.has_dyn_sized_stack, 0
	.set _ZN7rocprim17ROCPRIM_400000_NS6detail17trampoline_kernelINS0_13select_configILj256ELj13ELNS0_17block_load_methodE3ELS4_3ELS4_3ELNS0_20block_scan_algorithmE0ELj4294967295EEENS1_25partition_config_selectorILNS1_17partition_subalgoE3EjNS0_10empty_typeEbEEZZNS1_14partition_implILS8_3ELb0ES6_jNS0_17counting_iteratorIjlEEPS9_SE_NS0_5tupleIJPjSE_EEENSF_IJSE_SE_EEES9_SG_JZNS1_25segmented_radix_sort_implINS0_14default_configELb1EPK12hip_bfloat16PSL_PKlPlN2at6native12_GLOBAL__N_18offset_tEEE10hipError_tPvRmT1_PNSt15iterator_traitsISZ_E10value_typeET2_T3_PNS10_IS15_E10value_typeET4_jRbjT5_S1B_jjP12ihipStream_tbEUljE_EEESW_SX_SY_S15_S19_S1B_T6_T7_T9_mT8_S1D_bDpT10_ENKUlT_T0_E_clISt17integral_constantIbLb0EES1Q_EEDaS1L_S1M_EUlS1L_E_NS1_11comp_targetILNS1_3genE5ELNS1_11target_archE942ELNS1_3gpuE9ELNS1_3repE0EEENS1_30default_config_static_selectorELNS0_4arch9wavefront6targetE0EEEvSZ_.has_recursion, 0
	.set _ZN7rocprim17ROCPRIM_400000_NS6detail17trampoline_kernelINS0_13select_configILj256ELj13ELNS0_17block_load_methodE3ELS4_3ELS4_3ELNS0_20block_scan_algorithmE0ELj4294967295EEENS1_25partition_config_selectorILNS1_17partition_subalgoE3EjNS0_10empty_typeEbEEZZNS1_14partition_implILS8_3ELb0ES6_jNS0_17counting_iteratorIjlEEPS9_SE_NS0_5tupleIJPjSE_EEENSF_IJSE_SE_EEES9_SG_JZNS1_25segmented_radix_sort_implINS0_14default_configELb1EPK12hip_bfloat16PSL_PKlPlN2at6native12_GLOBAL__N_18offset_tEEE10hipError_tPvRmT1_PNSt15iterator_traitsISZ_E10value_typeET2_T3_PNS10_IS15_E10value_typeET4_jRbjT5_S1B_jjP12ihipStream_tbEUljE_EEESW_SX_SY_S15_S19_S1B_T6_T7_T9_mT8_S1D_bDpT10_ENKUlT_T0_E_clISt17integral_constantIbLb0EES1Q_EEDaS1L_S1M_EUlS1L_E_NS1_11comp_targetILNS1_3genE5ELNS1_11target_archE942ELNS1_3gpuE9ELNS1_3repE0EEENS1_30default_config_static_selectorELNS0_4arch9wavefront6targetE0EEEvSZ_.has_indirect_call, 0
	.section	.AMDGPU.csdata,"",@progbits
; Kernel info:
; codeLenInByte = 0
; TotalNumSgprs: 0
; NumVgprs: 0
; ScratchSize: 0
; MemoryBound: 0
; FloatMode: 240
; IeeeMode: 1
; LDSByteSize: 0 bytes/workgroup (compile time only)
; SGPRBlocks: 0
; VGPRBlocks: 0
; NumSGPRsForWavesPerEU: 1
; NumVGPRsForWavesPerEU: 1
; NamedBarCnt: 0
; Occupancy: 16
; WaveLimiterHint : 0
; COMPUTE_PGM_RSRC2:SCRATCH_EN: 0
; COMPUTE_PGM_RSRC2:USER_SGPR: 2
; COMPUTE_PGM_RSRC2:TRAP_HANDLER: 0
; COMPUTE_PGM_RSRC2:TGID_X_EN: 1
; COMPUTE_PGM_RSRC2:TGID_Y_EN: 0
; COMPUTE_PGM_RSRC2:TGID_Z_EN: 0
; COMPUTE_PGM_RSRC2:TIDIG_COMP_CNT: 0
	.section	.text._ZN7rocprim17ROCPRIM_400000_NS6detail17trampoline_kernelINS0_13select_configILj256ELj13ELNS0_17block_load_methodE3ELS4_3ELS4_3ELNS0_20block_scan_algorithmE0ELj4294967295EEENS1_25partition_config_selectorILNS1_17partition_subalgoE3EjNS0_10empty_typeEbEEZZNS1_14partition_implILS8_3ELb0ES6_jNS0_17counting_iteratorIjlEEPS9_SE_NS0_5tupleIJPjSE_EEENSF_IJSE_SE_EEES9_SG_JZNS1_25segmented_radix_sort_implINS0_14default_configELb1EPK12hip_bfloat16PSL_PKlPlN2at6native12_GLOBAL__N_18offset_tEEE10hipError_tPvRmT1_PNSt15iterator_traitsISZ_E10value_typeET2_T3_PNS10_IS15_E10value_typeET4_jRbjT5_S1B_jjP12ihipStream_tbEUljE_EEESW_SX_SY_S15_S19_S1B_T6_T7_T9_mT8_S1D_bDpT10_ENKUlT_T0_E_clISt17integral_constantIbLb0EES1Q_EEDaS1L_S1M_EUlS1L_E_NS1_11comp_targetILNS1_3genE4ELNS1_11target_archE910ELNS1_3gpuE8ELNS1_3repE0EEENS1_30default_config_static_selectorELNS0_4arch9wavefront6targetE0EEEvSZ_,"axG",@progbits,_ZN7rocprim17ROCPRIM_400000_NS6detail17trampoline_kernelINS0_13select_configILj256ELj13ELNS0_17block_load_methodE3ELS4_3ELS4_3ELNS0_20block_scan_algorithmE0ELj4294967295EEENS1_25partition_config_selectorILNS1_17partition_subalgoE3EjNS0_10empty_typeEbEEZZNS1_14partition_implILS8_3ELb0ES6_jNS0_17counting_iteratorIjlEEPS9_SE_NS0_5tupleIJPjSE_EEENSF_IJSE_SE_EEES9_SG_JZNS1_25segmented_radix_sort_implINS0_14default_configELb1EPK12hip_bfloat16PSL_PKlPlN2at6native12_GLOBAL__N_18offset_tEEE10hipError_tPvRmT1_PNSt15iterator_traitsISZ_E10value_typeET2_T3_PNS10_IS15_E10value_typeET4_jRbjT5_S1B_jjP12ihipStream_tbEUljE_EEESW_SX_SY_S15_S19_S1B_T6_T7_T9_mT8_S1D_bDpT10_ENKUlT_T0_E_clISt17integral_constantIbLb0EES1Q_EEDaS1L_S1M_EUlS1L_E_NS1_11comp_targetILNS1_3genE4ELNS1_11target_archE910ELNS1_3gpuE8ELNS1_3repE0EEENS1_30default_config_static_selectorELNS0_4arch9wavefront6targetE0EEEvSZ_,comdat
	.globl	_ZN7rocprim17ROCPRIM_400000_NS6detail17trampoline_kernelINS0_13select_configILj256ELj13ELNS0_17block_load_methodE3ELS4_3ELS4_3ELNS0_20block_scan_algorithmE0ELj4294967295EEENS1_25partition_config_selectorILNS1_17partition_subalgoE3EjNS0_10empty_typeEbEEZZNS1_14partition_implILS8_3ELb0ES6_jNS0_17counting_iteratorIjlEEPS9_SE_NS0_5tupleIJPjSE_EEENSF_IJSE_SE_EEES9_SG_JZNS1_25segmented_radix_sort_implINS0_14default_configELb1EPK12hip_bfloat16PSL_PKlPlN2at6native12_GLOBAL__N_18offset_tEEE10hipError_tPvRmT1_PNSt15iterator_traitsISZ_E10value_typeET2_T3_PNS10_IS15_E10value_typeET4_jRbjT5_S1B_jjP12ihipStream_tbEUljE_EEESW_SX_SY_S15_S19_S1B_T6_T7_T9_mT8_S1D_bDpT10_ENKUlT_T0_E_clISt17integral_constantIbLb0EES1Q_EEDaS1L_S1M_EUlS1L_E_NS1_11comp_targetILNS1_3genE4ELNS1_11target_archE910ELNS1_3gpuE8ELNS1_3repE0EEENS1_30default_config_static_selectorELNS0_4arch9wavefront6targetE0EEEvSZ_ ; -- Begin function _ZN7rocprim17ROCPRIM_400000_NS6detail17trampoline_kernelINS0_13select_configILj256ELj13ELNS0_17block_load_methodE3ELS4_3ELS4_3ELNS0_20block_scan_algorithmE0ELj4294967295EEENS1_25partition_config_selectorILNS1_17partition_subalgoE3EjNS0_10empty_typeEbEEZZNS1_14partition_implILS8_3ELb0ES6_jNS0_17counting_iteratorIjlEEPS9_SE_NS0_5tupleIJPjSE_EEENSF_IJSE_SE_EEES9_SG_JZNS1_25segmented_radix_sort_implINS0_14default_configELb1EPK12hip_bfloat16PSL_PKlPlN2at6native12_GLOBAL__N_18offset_tEEE10hipError_tPvRmT1_PNSt15iterator_traitsISZ_E10value_typeET2_T3_PNS10_IS15_E10value_typeET4_jRbjT5_S1B_jjP12ihipStream_tbEUljE_EEESW_SX_SY_S15_S19_S1B_T6_T7_T9_mT8_S1D_bDpT10_ENKUlT_T0_E_clISt17integral_constantIbLb0EES1Q_EEDaS1L_S1M_EUlS1L_E_NS1_11comp_targetILNS1_3genE4ELNS1_11target_archE910ELNS1_3gpuE8ELNS1_3repE0EEENS1_30default_config_static_selectorELNS0_4arch9wavefront6targetE0EEEvSZ_
	.p2align	8
	.type	_ZN7rocprim17ROCPRIM_400000_NS6detail17trampoline_kernelINS0_13select_configILj256ELj13ELNS0_17block_load_methodE3ELS4_3ELS4_3ELNS0_20block_scan_algorithmE0ELj4294967295EEENS1_25partition_config_selectorILNS1_17partition_subalgoE3EjNS0_10empty_typeEbEEZZNS1_14partition_implILS8_3ELb0ES6_jNS0_17counting_iteratorIjlEEPS9_SE_NS0_5tupleIJPjSE_EEENSF_IJSE_SE_EEES9_SG_JZNS1_25segmented_radix_sort_implINS0_14default_configELb1EPK12hip_bfloat16PSL_PKlPlN2at6native12_GLOBAL__N_18offset_tEEE10hipError_tPvRmT1_PNSt15iterator_traitsISZ_E10value_typeET2_T3_PNS10_IS15_E10value_typeET4_jRbjT5_S1B_jjP12ihipStream_tbEUljE_EEESW_SX_SY_S15_S19_S1B_T6_T7_T9_mT8_S1D_bDpT10_ENKUlT_T0_E_clISt17integral_constantIbLb0EES1Q_EEDaS1L_S1M_EUlS1L_E_NS1_11comp_targetILNS1_3genE4ELNS1_11target_archE910ELNS1_3gpuE8ELNS1_3repE0EEENS1_30default_config_static_selectorELNS0_4arch9wavefront6targetE0EEEvSZ_,@function
_ZN7rocprim17ROCPRIM_400000_NS6detail17trampoline_kernelINS0_13select_configILj256ELj13ELNS0_17block_load_methodE3ELS4_3ELS4_3ELNS0_20block_scan_algorithmE0ELj4294967295EEENS1_25partition_config_selectorILNS1_17partition_subalgoE3EjNS0_10empty_typeEbEEZZNS1_14partition_implILS8_3ELb0ES6_jNS0_17counting_iteratorIjlEEPS9_SE_NS0_5tupleIJPjSE_EEENSF_IJSE_SE_EEES9_SG_JZNS1_25segmented_radix_sort_implINS0_14default_configELb1EPK12hip_bfloat16PSL_PKlPlN2at6native12_GLOBAL__N_18offset_tEEE10hipError_tPvRmT1_PNSt15iterator_traitsISZ_E10value_typeET2_T3_PNS10_IS15_E10value_typeET4_jRbjT5_S1B_jjP12ihipStream_tbEUljE_EEESW_SX_SY_S15_S19_S1B_T6_T7_T9_mT8_S1D_bDpT10_ENKUlT_T0_E_clISt17integral_constantIbLb0EES1Q_EEDaS1L_S1M_EUlS1L_E_NS1_11comp_targetILNS1_3genE4ELNS1_11target_archE910ELNS1_3gpuE8ELNS1_3repE0EEENS1_30default_config_static_selectorELNS0_4arch9wavefront6targetE0EEEvSZ_: ; @_ZN7rocprim17ROCPRIM_400000_NS6detail17trampoline_kernelINS0_13select_configILj256ELj13ELNS0_17block_load_methodE3ELS4_3ELS4_3ELNS0_20block_scan_algorithmE0ELj4294967295EEENS1_25partition_config_selectorILNS1_17partition_subalgoE3EjNS0_10empty_typeEbEEZZNS1_14partition_implILS8_3ELb0ES6_jNS0_17counting_iteratorIjlEEPS9_SE_NS0_5tupleIJPjSE_EEENSF_IJSE_SE_EEES9_SG_JZNS1_25segmented_radix_sort_implINS0_14default_configELb1EPK12hip_bfloat16PSL_PKlPlN2at6native12_GLOBAL__N_18offset_tEEE10hipError_tPvRmT1_PNSt15iterator_traitsISZ_E10value_typeET2_T3_PNS10_IS15_E10value_typeET4_jRbjT5_S1B_jjP12ihipStream_tbEUljE_EEESW_SX_SY_S15_S19_S1B_T6_T7_T9_mT8_S1D_bDpT10_ENKUlT_T0_E_clISt17integral_constantIbLb0EES1Q_EEDaS1L_S1M_EUlS1L_E_NS1_11comp_targetILNS1_3genE4ELNS1_11target_archE910ELNS1_3gpuE8ELNS1_3repE0EEENS1_30default_config_static_selectorELNS0_4arch9wavefront6targetE0EEEvSZ_
; %bb.0:
	.section	.rodata,"a",@progbits
	.p2align	6, 0x0
	.amdhsa_kernel _ZN7rocprim17ROCPRIM_400000_NS6detail17trampoline_kernelINS0_13select_configILj256ELj13ELNS0_17block_load_methodE3ELS4_3ELS4_3ELNS0_20block_scan_algorithmE0ELj4294967295EEENS1_25partition_config_selectorILNS1_17partition_subalgoE3EjNS0_10empty_typeEbEEZZNS1_14partition_implILS8_3ELb0ES6_jNS0_17counting_iteratorIjlEEPS9_SE_NS0_5tupleIJPjSE_EEENSF_IJSE_SE_EEES9_SG_JZNS1_25segmented_radix_sort_implINS0_14default_configELb1EPK12hip_bfloat16PSL_PKlPlN2at6native12_GLOBAL__N_18offset_tEEE10hipError_tPvRmT1_PNSt15iterator_traitsISZ_E10value_typeET2_T3_PNS10_IS15_E10value_typeET4_jRbjT5_S1B_jjP12ihipStream_tbEUljE_EEESW_SX_SY_S15_S19_S1B_T6_T7_T9_mT8_S1D_bDpT10_ENKUlT_T0_E_clISt17integral_constantIbLb0EES1Q_EEDaS1L_S1M_EUlS1L_E_NS1_11comp_targetILNS1_3genE4ELNS1_11target_archE910ELNS1_3gpuE8ELNS1_3repE0EEENS1_30default_config_static_selectorELNS0_4arch9wavefront6targetE0EEEvSZ_
		.amdhsa_group_segment_fixed_size 0
		.amdhsa_private_segment_fixed_size 0
		.amdhsa_kernarg_size 144
		.amdhsa_user_sgpr_count 2
		.amdhsa_user_sgpr_dispatch_ptr 0
		.amdhsa_user_sgpr_queue_ptr 0
		.amdhsa_user_sgpr_kernarg_segment_ptr 1
		.amdhsa_user_sgpr_dispatch_id 0
		.amdhsa_user_sgpr_kernarg_preload_length 0
		.amdhsa_user_sgpr_kernarg_preload_offset 0
		.amdhsa_user_sgpr_private_segment_size 0
		.amdhsa_wavefront_size32 1
		.amdhsa_uses_dynamic_stack 0
		.amdhsa_enable_private_segment 0
		.amdhsa_system_sgpr_workgroup_id_x 1
		.amdhsa_system_sgpr_workgroup_id_y 0
		.amdhsa_system_sgpr_workgroup_id_z 0
		.amdhsa_system_sgpr_workgroup_info 0
		.amdhsa_system_vgpr_workitem_id 0
		.amdhsa_next_free_vgpr 1
		.amdhsa_next_free_sgpr 1
		.amdhsa_named_barrier_count 0
		.amdhsa_reserve_vcc 0
		.amdhsa_float_round_mode_32 0
		.amdhsa_float_round_mode_16_64 0
		.amdhsa_float_denorm_mode_32 3
		.amdhsa_float_denorm_mode_16_64 3
		.amdhsa_fp16_overflow 0
		.amdhsa_memory_ordered 1
		.amdhsa_forward_progress 1
		.amdhsa_inst_pref_size 0
		.amdhsa_round_robin_scheduling 0
		.amdhsa_exception_fp_ieee_invalid_op 0
		.amdhsa_exception_fp_denorm_src 0
		.amdhsa_exception_fp_ieee_div_zero 0
		.amdhsa_exception_fp_ieee_overflow 0
		.amdhsa_exception_fp_ieee_underflow 0
		.amdhsa_exception_fp_ieee_inexact 0
		.amdhsa_exception_int_div_zero 0
	.end_amdhsa_kernel
	.section	.text._ZN7rocprim17ROCPRIM_400000_NS6detail17trampoline_kernelINS0_13select_configILj256ELj13ELNS0_17block_load_methodE3ELS4_3ELS4_3ELNS0_20block_scan_algorithmE0ELj4294967295EEENS1_25partition_config_selectorILNS1_17partition_subalgoE3EjNS0_10empty_typeEbEEZZNS1_14partition_implILS8_3ELb0ES6_jNS0_17counting_iteratorIjlEEPS9_SE_NS0_5tupleIJPjSE_EEENSF_IJSE_SE_EEES9_SG_JZNS1_25segmented_radix_sort_implINS0_14default_configELb1EPK12hip_bfloat16PSL_PKlPlN2at6native12_GLOBAL__N_18offset_tEEE10hipError_tPvRmT1_PNSt15iterator_traitsISZ_E10value_typeET2_T3_PNS10_IS15_E10value_typeET4_jRbjT5_S1B_jjP12ihipStream_tbEUljE_EEESW_SX_SY_S15_S19_S1B_T6_T7_T9_mT8_S1D_bDpT10_ENKUlT_T0_E_clISt17integral_constantIbLb0EES1Q_EEDaS1L_S1M_EUlS1L_E_NS1_11comp_targetILNS1_3genE4ELNS1_11target_archE910ELNS1_3gpuE8ELNS1_3repE0EEENS1_30default_config_static_selectorELNS0_4arch9wavefront6targetE0EEEvSZ_,"axG",@progbits,_ZN7rocprim17ROCPRIM_400000_NS6detail17trampoline_kernelINS0_13select_configILj256ELj13ELNS0_17block_load_methodE3ELS4_3ELS4_3ELNS0_20block_scan_algorithmE0ELj4294967295EEENS1_25partition_config_selectorILNS1_17partition_subalgoE3EjNS0_10empty_typeEbEEZZNS1_14partition_implILS8_3ELb0ES6_jNS0_17counting_iteratorIjlEEPS9_SE_NS0_5tupleIJPjSE_EEENSF_IJSE_SE_EEES9_SG_JZNS1_25segmented_radix_sort_implINS0_14default_configELb1EPK12hip_bfloat16PSL_PKlPlN2at6native12_GLOBAL__N_18offset_tEEE10hipError_tPvRmT1_PNSt15iterator_traitsISZ_E10value_typeET2_T3_PNS10_IS15_E10value_typeET4_jRbjT5_S1B_jjP12ihipStream_tbEUljE_EEESW_SX_SY_S15_S19_S1B_T6_T7_T9_mT8_S1D_bDpT10_ENKUlT_T0_E_clISt17integral_constantIbLb0EES1Q_EEDaS1L_S1M_EUlS1L_E_NS1_11comp_targetILNS1_3genE4ELNS1_11target_archE910ELNS1_3gpuE8ELNS1_3repE0EEENS1_30default_config_static_selectorELNS0_4arch9wavefront6targetE0EEEvSZ_,comdat
.Lfunc_end1906:
	.size	_ZN7rocprim17ROCPRIM_400000_NS6detail17trampoline_kernelINS0_13select_configILj256ELj13ELNS0_17block_load_methodE3ELS4_3ELS4_3ELNS0_20block_scan_algorithmE0ELj4294967295EEENS1_25partition_config_selectorILNS1_17partition_subalgoE3EjNS0_10empty_typeEbEEZZNS1_14partition_implILS8_3ELb0ES6_jNS0_17counting_iteratorIjlEEPS9_SE_NS0_5tupleIJPjSE_EEENSF_IJSE_SE_EEES9_SG_JZNS1_25segmented_radix_sort_implINS0_14default_configELb1EPK12hip_bfloat16PSL_PKlPlN2at6native12_GLOBAL__N_18offset_tEEE10hipError_tPvRmT1_PNSt15iterator_traitsISZ_E10value_typeET2_T3_PNS10_IS15_E10value_typeET4_jRbjT5_S1B_jjP12ihipStream_tbEUljE_EEESW_SX_SY_S15_S19_S1B_T6_T7_T9_mT8_S1D_bDpT10_ENKUlT_T0_E_clISt17integral_constantIbLb0EES1Q_EEDaS1L_S1M_EUlS1L_E_NS1_11comp_targetILNS1_3genE4ELNS1_11target_archE910ELNS1_3gpuE8ELNS1_3repE0EEENS1_30default_config_static_selectorELNS0_4arch9wavefront6targetE0EEEvSZ_, .Lfunc_end1906-_ZN7rocprim17ROCPRIM_400000_NS6detail17trampoline_kernelINS0_13select_configILj256ELj13ELNS0_17block_load_methodE3ELS4_3ELS4_3ELNS0_20block_scan_algorithmE0ELj4294967295EEENS1_25partition_config_selectorILNS1_17partition_subalgoE3EjNS0_10empty_typeEbEEZZNS1_14partition_implILS8_3ELb0ES6_jNS0_17counting_iteratorIjlEEPS9_SE_NS0_5tupleIJPjSE_EEENSF_IJSE_SE_EEES9_SG_JZNS1_25segmented_radix_sort_implINS0_14default_configELb1EPK12hip_bfloat16PSL_PKlPlN2at6native12_GLOBAL__N_18offset_tEEE10hipError_tPvRmT1_PNSt15iterator_traitsISZ_E10value_typeET2_T3_PNS10_IS15_E10value_typeET4_jRbjT5_S1B_jjP12ihipStream_tbEUljE_EEESW_SX_SY_S15_S19_S1B_T6_T7_T9_mT8_S1D_bDpT10_ENKUlT_T0_E_clISt17integral_constantIbLb0EES1Q_EEDaS1L_S1M_EUlS1L_E_NS1_11comp_targetILNS1_3genE4ELNS1_11target_archE910ELNS1_3gpuE8ELNS1_3repE0EEENS1_30default_config_static_selectorELNS0_4arch9wavefront6targetE0EEEvSZ_
                                        ; -- End function
	.set _ZN7rocprim17ROCPRIM_400000_NS6detail17trampoline_kernelINS0_13select_configILj256ELj13ELNS0_17block_load_methodE3ELS4_3ELS4_3ELNS0_20block_scan_algorithmE0ELj4294967295EEENS1_25partition_config_selectorILNS1_17partition_subalgoE3EjNS0_10empty_typeEbEEZZNS1_14partition_implILS8_3ELb0ES6_jNS0_17counting_iteratorIjlEEPS9_SE_NS0_5tupleIJPjSE_EEENSF_IJSE_SE_EEES9_SG_JZNS1_25segmented_radix_sort_implINS0_14default_configELb1EPK12hip_bfloat16PSL_PKlPlN2at6native12_GLOBAL__N_18offset_tEEE10hipError_tPvRmT1_PNSt15iterator_traitsISZ_E10value_typeET2_T3_PNS10_IS15_E10value_typeET4_jRbjT5_S1B_jjP12ihipStream_tbEUljE_EEESW_SX_SY_S15_S19_S1B_T6_T7_T9_mT8_S1D_bDpT10_ENKUlT_T0_E_clISt17integral_constantIbLb0EES1Q_EEDaS1L_S1M_EUlS1L_E_NS1_11comp_targetILNS1_3genE4ELNS1_11target_archE910ELNS1_3gpuE8ELNS1_3repE0EEENS1_30default_config_static_selectorELNS0_4arch9wavefront6targetE0EEEvSZ_.num_vgpr, 0
	.set _ZN7rocprim17ROCPRIM_400000_NS6detail17trampoline_kernelINS0_13select_configILj256ELj13ELNS0_17block_load_methodE3ELS4_3ELS4_3ELNS0_20block_scan_algorithmE0ELj4294967295EEENS1_25partition_config_selectorILNS1_17partition_subalgoE3EjNS0_10empty_typeEbEEZZNS1_14partition_implILS8_3ELb0ES6_jNS0_17counting_iteratorIjlEEPS9_SE_NS0_5tupleIJPjSE_EEENSF_IJSE_SE_EEES9_SG_JZNS1_25segmented_radix_sort_implINS0_14default_configELb1EPK12hip_bfloat16PSL_PKlPlN2at6native12_GLOBAL__N_18offset_tEEE10hipError_tPvRmT1_PNSt15iterator_traitsISZ_E10value_typeET2_T3_PNS10_IS15_E10value_typeET4_jRbjT5_S1B_jjP12ihipStream_tbEUljE_EEESW_SX_SY_S15_S19_S1B_T6_T7_T9_mT8_S1D_bDpT10_ENKUlT_T0_E_clISt17integral_constantIbLb0EES1Q_EEDaS1L_S1M_EUlS1L_E_NS1_11comp_targetILNS1_3genE4ELNS1_11target_archE910ELNS1_3gpuE8ELNS1_3repE0EEENS1_30default_config_static_selectorELNS0_4arch9wavefront6targetE0EEEvSZ_.num_agpr, 0
	.set _ZN7rocprim17ROCPRIM_400000_NS6detail17trampoline_kernelINS0_13select_configILj256ELj13ELNS0_17block_load_methodE3ELS4_3ELS4_3ELNS0_20block_scan_algorithmE0ELj4294967295EEENS1_25partition_config_selectorILNS1_17partition_subalgoE3EjNS0_10empty_typeEbEEZZNS1_14partition_implILS8_3ELb0ES6_jNS0_17counting_iteratorIjlEEPS9_SE_NS0_5tupleIJPjSE_EEENSF_IJSE_SE_EEES9_SG_JZNS1_25segmented_radix_sort_implINS0_14default_configELb1EPK12hip_bfloat16PSL_PKlPlN2at6native12_GLOBAL__N_18offset_tEEE10hipError_tPvRmT1_PNSt15iterator_traitsISZ_E10value_typeET2_T3_PNS10_IS15_E10value_typeET4_jRbjT5_S1B_jjP12ihipStream_tbEUljE_EEESW_SX_SY_S15_S19_S1B_T6_T7_T9_mT8_S1D_bDpT10_ENKUlT_T0_E_clISt17integral_constantIbLb0EES1Q_EEDaS1L_S1M_EUlS1L_E_NS1_11comp_targetILNS1_3genE4ELNS1_11target_archE910ELNS1_3gpuE8ELNS1_3repE0EEENS1_30default_config_static_selectorELNS0_4arch9wavefront6targetE0EEEvSZ_.numbered_sgpr, 0
	.set _ZN7rocprim17ROCPRIM_400000_NS6detail17trampoline_kernelINS0_13select_configILj256ELj13ELNS0_17block_load_methodE3ELS4_3ELS4_3ELNS0_20block_scan_algorithmE0ELj4294967295EEENS1_25partition_config_selectorILNS1_17partition_subalgoE3EjNS0_10empty_typeEbEEZZNS1_14partition_implILS8_3ELb0ES6_jNS0_17counting_iteratorIjlEEPS9_SE_NS0_5tupleIJPjSE_EEENSF_IJSE_SE_EEES9_SG_JZNS1_25segmented_radix_sort_implINS0_14default_configELb1EPK12hip_bfloat16PSL_PKlPlN2at6native12_GLOBAL__N_18offset_tEEE10hipError_tPvRmT1_PNSt15iterator_traitsISZ_E10value_typeET2_T3_PNS10_IS15_E10value_typeET4_jRbjT5_S1B_jjP12ihipStream_tbEUljE_EEESW_SX_SY_S15_S19_S1B_T6_T7_T9_mT8_S1D_bDpT10_ENKUlT_T0_E_clISt17integral_constantIbLb0EES1Q_EEDaS1L_S1M_EUlS1L_E_NS1_11comp_targetILNS1_3genE4ELNS1_11target_archE910ELNS1_3gpuE8ELNS1_3repE0EEENS1_30default_config_static_selectorELNS0_4arch9wavefront6targetE0EEEvSZ_.num_named_barrier, 0
	.set _ZN7rocprim17ROCPRIM_400000_NS6detail17trampoline_kernelINS0_13select_configILj256ELj13ELNS0_17block_load_methodE3ELS4_3ELS4_3ELNS0_20block_scan_algorithmE0ELj4294967295EEENS1_25partition_config_selectorILNS1_17partition_subalgoE3EjNS0_10empty_typeEbEEZZNS1_14partition_implILS8_3ELb0ES6_jNS0_17counting_iteratorIjlEEPS9_SE_NS0_5tupleIJPjSE_EEENSF_IJSE_SE_EEES9_SG_JZNS1_25segmented_radix_sort_implINS0_14default_configELb1EPK12hip_bfloat16PSL_PKlPlN2at6native12_GLOBAL__N_18offset_tEEE10hipError_tPvRmT1_PNSt15iterator_traitsISZ_E10value_typeET2_T3_PNS10_IS15_E10value_typeET4_jRbjT5_S1B_jjP12ihipStream_tbEUljE_EEESW_SX_SY_S15_S19_S1B_T6_T7_T9_mT8_S1D_bDpT10_ENKUlT_T0_E_clISt17integral_constantIbLb0EES1Q_EEDaS1L_S1M_EUlS1L_E_NS1_11comp_targetILNS1_3genE4ELNS1_11target_archE910ELNS1_3gpuE8ELNS1_3repE0EEENS1_30default_config_static_selectorELNS0_4arch9wavefront6targetE0EEEvSZ_.private_seg_size, 0
	.set _ZN7rocprim17ROCPRIM_400000_NS6detail17trampoline_kernelINS0_13select_configILj256ELj13ELNS0_17block_load_methodE3ELS4_3ELS4_3ELNS0_20block_scan_algorithmE0ELj4294967295EEENS1_25partition_config_selectorILNS1_17partition_subalgoE3EjNS0_10empty_typeEbEEZZNS1_14partition_implILS8_3ELb0ES6_jNS0_17counting_iteratorIjlEEPS9_SE_NS0_5tupleIJPjSE_EEENSF_IJSE_SE_EEES9_SG_JZNS1_25segmented_radix_sort_implINS0_14default_configELb1EPK12hip_bfloat16PSL_PKlPlN2at6native12_GLOBAL__N_18offset_tEEE10hipError_tPvRmT1_PNSt15iterator_traitsISZ_E10value_typeET2_T3_PNS10_IS15_E10value_typeET4_jRbjT5_S1B_jjP12ihipStream_tbEUljE_EEESW_SX_SY_S15_S19_S1B_T6_T7_T9_mT8_S1D_bDpT10_ENKUlT_T0_E_clISt17integral_constantIbLb0EES1Q_EEDaS1L_S1M_EUlS1L_E_NS1_11comp_targetILNS1_3genE4ELNS1_11target_archE910ELNS1_3gpuE8ELNS1_3repE0EEENS1_30default_config_static_selectorELNS0_4arch9wavefront6targetE0EEEvSZ_.uses_vcc, 0
	.set _ZN7rocprim17ROCPRIM_400000_NS6detail17trampoline_kernelINS0_13select_configILj256ELj13ELNS0_17block_load_methodE3ELS4_3ELS4_3ELNS0_20block_scan_algorithmE0ELj4294967295EEENS1_25partition_config_selectorILNS1_17partition_subalgoE3EjNS0_10empty_typeEbEEZZNS1_14partition_implILS8_3ELb0ES6_jNS0_17counting_iteratorIjlEEPS9_SE_NS0_5tupleIJPjSE_EEENSF_IJSE_SE_EEES9_SG_JZNS1_25segmented_radix_sort_implINS0_14default_configELb1EPK12hip_bfloat16PSL_PKlPlN2at6native12_GLOBAL__N_18offset_tEEE10hipError_tPvRmT1_PNSt15iterator_traitsISZ_E10value_typeET2_T3_PNS10_IS15_E10value_typeET4_jRbjT5_S1B_jjP12ihipStream_tbEUljE_EEESW_SX_SY_S15_S19_S1B_T6_T7_T9_mT8_S1D_bDpT10_ENKUlT_T0_E_clISt17integral_constantIbLb0EES1Q_EEDaS1L_S1M_EUlS1L_E_NS1_11comp_targetILNS1_3genE4ELNS1_11target_archE910ELNS1_3gpuE8ELNS1_3repE0EEENS1_30default_config_static_selectorELNS0_4arch9wavefront6targetE0EEEvSZ_.uses_flat_scratch, 0
	.set _ZN7rocprim17ROCPRIM_400000_NS6detail17trampoline_kernelINS0_13select_configILj256ELj13ELNS0_17block_load_methodE3ELS4_3ELS4_3ELNS0_20block_scan_algorithmE0ELj4294967295EEENS1_25partition_config_selectorILNS1_17partition_subalgoE3EjNS0_10empty_typeEbEEZZNS1_14partition_implILS8_3ELb0ES6_jNS0_17counting_iteratorIjlEEPS9_SE_NS0_5tupleIJPjSE_EEENSF_IJSE_SE_EEES9_SG_JZNS1_25segmented_radix_sort_implINS0_14default_configELb1EPK12hip_bfloat16PSL_PKlPlN2at6native12_GLOBAL__N_18offset_tEEE10hipError_tPvRmT1_PNSt15iterator_traitsISZ_E10value_typeET2_T3_PNS10_IS15_E10value_typeET4_jRbjT5_S1B_jjP12ihipStream_tbEUljE_EEESW_SX_SY_S15_S19_S1B_T6_T7_T9_mT8_S1D_bDpT10_ENKUlT_T0_E_clISt17integral_constantIbLb0EES1Q_EEDaS1L_S1M_EUlS1L_E_NS1_11comp_targetILNS1_3genE4ELNS1_11target_archE910ELNS1_3gpuE8ELNS1_3repE0EEENS1_30default_config_static_selectorELNS0_4arch9wavefront6targetE0EEEvSZ_.has_dyn_sized_stack, 0
	.set _ZN7rocprim17ROCPRIM_400000_NS6detail17trampoline_kernelINS0_13select_configILj256ELj13ELNS0_17block_load_methodE3ELS4_3ELS4_3ELNS0_20block_scan_algorithmE0ELj4294967295EEENS1_25partition_config_selectorILNS1_17partition_subalgoE3EjNS0_10empty_typeEbEEZZNS1_14partition_implILS8_3ELb0ES6_jNS0_17counting_iteratorIjlEEPS9_SE_NS0_5tupleIJPjSE_EEENSF_IJSE_SE_EEES9_SG_JZNS1_25segmented_radix_sort_implINS0_14default_configELb1EPK12hip_bfloat16PSL_PKlPlN2at6native12_GLOBAL__N_18offset_tEEE10hipError_tPvRmT1_PNSt15iterator_traitsISZ_E10value_typeET2_T3_PNS10_IS15_E10value_typeET4_jRbjT5_S1B_jjP12ihipStream_tbEUljE_EEESW_SX_SY_S15_S19_S1B_T6_T7_T9_mT8_S1D_bDpT10_ENKUlT_T0_E_clISt17integral_constantIbLb0EES1Q_EEDaS1L_S1M_EUlS1L_E_NS1_11comp_targetILNS1_3genE4ELNS1_11target_archE910ELNS1_3gpuE8ELNS1_3repE0EEENS1_30default_config_static_selectorELNS0_4arch9wavefront6targetE0EEEvSZ_.has_recursion, 0
	.set _ZN7rocprim17ROCPRIM_400000_NS6detail17trampoline_kernelINS0_13select_configILj256ELj13ELNS0_17block_load_methodE3ELS4_3ELS4_3ELNS0_20block_scan_algorithmE0ELj4294967295EEENS1_25partition_config_selectorILNS1_17partition_subalgoE3EjNS0_10empty_typeEbEEZZNS1_14partition_implILS8_3ELb0ES6_jNS0_17counting_iteratorIjlEEPS9_SE_NS0_5tupleIJPjSE_EEENSF_IJSE_SE_EEES9_SG_JZNS1_25segmented_radix_sort_implINS0_14default_configELb1EPK12hip_bfloat16PSL_PKlPlN2at6native12_GLOBAL__N_18offset_tEEE10hipError_tPvRmT1_PNSt15iterator_traitsISZ_E10value_typeET2_T3_PNS10_IS15_E10value_typeET4_jRbjT5_S1B_jjP12ihipStream_tbEUljE_EEESW_SX_SY_S15_S19_S1B_T6_T7_T9_mT8_S1D_bDpT10_ENKUlT_T0_E_clISt17integral_constantIbLb0EES1Q_EEDaS1L_S1M_EUlS1L_E_NS1_11comp_targetILNS1_3genE4ELNS1_11target_archE910ELNS1_3gpuE8ELNS1_3repE0EEENS1_30default_config_static_selectorELNS0_4arch9wavefront6targetE0EEEvSZ_.has_indirect_call, 0
	.section	.AMDGPU.csdata,"",@progbits
; Kernel info:
; codeLenInByte = 0
; TotalNumSgprs: 0
; NumVgprs: 0
; ScratchSize: 0
; MemoryBound: 0
; FloatMode: 240
; IeeeMode: 1
; LDSByteSize: 0 bytes/workgroup (compile time only)
; SGPRBlocks: 0
; VGPRBlocks: 0
; NumSGPRsForWavesPerEU: 1
; NumVGPRsForWavesPerEU: 1
; NamedBarCnt: 0
; Occupancy: 16
; WaveLimiterHint : 0
; COMPUTE_PGM_RSRC2:SCRATCH_EN: 0
; COMPUTE_PGM_RSRC2:USER_SGPR: 2
; COMPUTE_PGM_RSRC2:TRAP_HANDLER: 0
; COMPUTE_PGM_RSRC2:TGID_X_EN: 1
; COMPUTE_PGM_RSRC2:TGID_Y_EN: 0
; COMPUTE_PGM_RSRC2:TGID_Z_EN: 0
; COMPUTE_PGM_RSRC2:TIDIG_COMP_CNT: 0
	.section	.text._ZN7rocprim17ROCPRIM_400000_NS6detail17trampoline_kernelINS0_13select_configILj256ELj13ELNS0_17block_load_methodE3ELS4_3ELS4_3ELNS0_20block_scan_algorithmE0ELj4294967295EEENS1_25partition_config_selectorILNS1_17partition_subalgoE3EjNS0_10empty_typeEbEEZZNS1_14partition_implILS8_3ELb0ES6_jNS0_17counting_iteratorIjlEEPS9_SE_NS0_5tupleIJPjSE_EEENSF_IJSE_SE_EEES9_SG_JZNS1_25segmented_radix_sort_implINS0_14default_configELb1EPK12hip_bfloat16PSL_PKlPlN2at6native12_GLOBAL__N_18offset_tEEE10hipError_tPvRmT1_PNSt15iterator_traitsISZ_E10value_typeET2_T3_PNS10_IS15_E10value_typeET4_jRbjT5_S1B_jjP12ihipStream_tbEUljE_EEESW_SX_SY_S15_S19_S1B_T6_T7_T9_mT8_S1D_bDpT10_ENKUlT_T0_E_clISt17integral_constantIbLb0EES1Q_EEDaS1L_S1M_EUlS1L_E_NS1_11comp_targetILNS1_3genE3ELNS1_11target_archE908ELNS1_3gpuE7ELNS1_3repE0EEENS1_30default_config_static_selectorELNS0_4arch9wavefront6targetE0EEEvSZ_,"axG",@progbits,_ZN7rocprim17ROCPRIM_400000_NS6detail17trampoline_kernelINS0_13select_configILj256ELj13ELNS0_17block_load_methodE3ELS4_3ELS4_3ELNS0_20block_scan_algorithmE0ELj4294967295EEENS1_25partition_config_selectorILNS1_17partition_subalgoE3EjNS0_10empty_typeEbEEZZNS1_14partition_implILS8_3ELb0ES6_jNS0_17counting_iteratorIjlEEPS9_SE_NS0_5tupleIJPjSE_EEENSF_IJSE_SE_EEES9_SG_JZNS1_25segmented_radix_sort_implINS0_14default_configELb1EPK12hip_bfloat16PSL_PKlPlN2at6native12_GLOBAL__N_18offset_tEEE10hipError_tPvRmT1_PNSt15iterator_traitsISZ_E10value_typeET2_T3_PNS10_IS15_E10value_typeET4_jRbjT5_S1B_jjP12ihipStream_tbEUljE_EEESW_SX_SY_S15_S19_S1B_T6_T7_T9_mT8_S1D_bDpT10_ENKUlT_T0_E_clISt17integral_constantIbLb0EES1Q_EEDaS1L_S1M_EUlS1L_E_NS1_11comp_targetILNS1_3genE3ELNS1_11target_archE908ELNS1_3gpuE7ELNS1_3repE0EEENS1_30default_config_static_selectorELNS0_4arch9wavefront6targetE0EEEvSZ_,comdat
	.globl	_ZN7rocprim17ROCPRIM_400000_NS6detail17trampoline_kernelINS0_13select_configILj256ELj13ELNS0_17block_load_methodE3ELS4_3ELS4_3ELNS0_20block_scan_algorithmE0ELj4294967295EEENS1_25partition_config_selectorILNS1_17partition_subalgoE3EjNS0_10empty_typeEbEEZZNS1_14partition_implILS8_3ELb0ES6_jNS0_17counting_iteratorIjlEEPS9_SE_NS0_5tupleIJPjSE_EEENSF_IJSE_SE_EEES9_SG_JZNS1_25segmented_radix_sort_implINS0_14default_configELb1EPK12hip_bfloat16PSL_PKlPlN2at6native12_GLOBAL__N_18offset_tEEE10hipError_tPvRmT1_PNSt15iterator_traitsISZ_E10value_typeET2_T3_PNS10_IS15_E10value_typeET4_jRbjT5_S1B_jjP12ihipStream_tbEUljE_EEESW_SX_SY_S15_S19_S1B_T6_T7_T9_mT8_S1D_bDpT10_ENKUlT_T0_E_clISt17integral_constantIbLb0EES1Q_EEDaS1L_S1M_EUlS1L_E_NS1_11comp_targetILNS1_3genE3ELNS1_11target_archE908ELNS1_3gpuE7ELNS1_3repE0EEENS1_30default_config_static_selectorELNS0_4arch9wavefront6targetE0EEEvSZ_ ; -- Begin function _ZN7rocprim17ROCPRIM_400000_NS6detail17trampoline_kernelINS0_13select_configILj256ELj13ELNS0_17block_load_methodE3ELS4_3ELS4_3ELNS0_20block_scan_algorithmE0ELj4294967295EEENS1_25partition_config_selectorILNS1_17partition_subalgoE3EjNS0_10empty_typeEbEEZZNS1_14partition_implILS8_3ELb0ES6_jNS0_17counting_iteratorIjlEEPS9_SE_NS0_5tupleIJPjSE_EEENSF_IJSE_SE_EEES9_SG_JZNS1_25segmented_radix_sort_implINS0_14default_configELb1EPK12hip_bfloat16PSL_PKlPlN2at6native12_GLOBAL__N_18offset_tEEE10hipError_tPvRmT1_PNSt15iterator_traitsISZ_E10value_typeET2_T3_PNS10_IS15_E10value_typeET4_jRbjT5_S1B_jjP12ihipStream_tbEUljE_EEESW_SX_SY_S15_S19_S1B_T6_T7_T9_mT8_S1D_bDpT10_ENKUlT_T0_E_clISt17integral_constantIbLb0EES1Q_EEDaS1L_S1M_EUlS1L_E_NS1_11comp_targetILNS1_3genE3ELNS1_11target_archE908ELNS1_3gpuE7ELNS1_3repE0EEENS1_30default_config_static_selectorELNS0_4arch9wavefront6targetE0EEEvSZ_
	.p2align	8
	.type	_ZN7rocprim17ROCPRIM_400000_NS6detail17trampoline_kernelINS0_13select_configILj256ELj13ELNS0_17block_load_methodE3ELS4_3ELS4_3ELNS0_20block_scan_algorithmE0ELj4294967295EEENS1_25partition_config_selectorILNS1_17partition_subalgoE3EjNS0_10empty_typeEbEEZZNS1_14partition_implILS8_3ELb0ES6_jNS0_17counting_iteratorIjlEEPS9_SE_NS0_5tupleIJPjSE_EEENSF_IJSE_SE_EEES9_SG_JZNS1_25segmented_radix_sort_implINS0_14default_configELb1EPK12hip_bfloat16PSL_PKlPlN2at6native12_GLOBAL__N_18offset_tEEE10hipError_tPvRmT1_PNSt15iterator_traitsISZ_E10value_typeET2_T3_PNS10_IS15_E10value_typeET4_jRbjT5_S1B_jjP12ihipStream_tbEUljE_EEESW_SX_SY_S15_S19_S1B_T6_T7_T9_mT8_S1D_bDpT10_ENKUlT_T0_E_clISt17integral_constantIbLb0EES1Q_EEDaS1L_S1M_EUlS1L_E_NS1_11comp_targetILNS1_3genE3ELNS1_11target_archE908ELNS1_3gpuE7ELNS1_3repE0EEENS1_30default_config_static_selectorELNS0_4arch9wavefront6targetE0EEEvSZ_,@function
_ZN7rocprim17ROCPRIM_400000_NS6detail17trampoline_kernelINS0_13select_configILj256ELj13ELNS0_17block_load_methodE3ELS4_3ELS4_3ELNS0_20block_scan_algorithmE0ELj4294967295EEENS1_25partition_config_selectorILNS1_17partition_subalgoE3EjNS0_10empty_typeEbEEZZNS1_14partition_implILS8_3ELb0ES6_jNS0_17counting_iteratorIjlEEPS9_SE_NS0_5tupleIJPjSE_EEENSF_IJSE_SE_EEES9_SG_JZNS1_25segmented_radix_sort_implINS0_14default_configELb1EPK12hip_bfloat16PSL_PKlPlN2at6native12_GLOBAL__N_18offset_tEEE10hipError_tPvRmT1_PNSt15iterator_traitsISZ_E10value_typeET2_T3_PNS10_IS15_E10value_typeET4_jRbjT5_S1B_jjP12ihipStream_tbEUljE_EEESW_SX_SY_S15_S19_S1B_T6_T7_T9_mT8_S1D_bDpT10_ENKUlT_T0_E_clISt17integral_constantIbLb0EES1Q_EEDaS1L_S1M_EUlS1L_E_NS1_11comp_targetILNS1_3genE3ELNS1_11target_archE908ELNS1_3gpuE7ELNS1_3repE0EEENS1_30default_config_static_selectorELNS0_4arch9wavefront6targetE0EEEvSZ_: ; @_ZN7rocprim17ROCPRIM_400000_NS6detail17trampoline_kernelINS0_13select_configILj256ELj13ELNS0_17block_load_methodE3ELS4_3ELS4_3ELNS0_20block_scan_algorithmE0ELj4294967295EEENS1_25partition_config_selectorILNS1_17partition_subalgoE3EjNS0_10empty_typeEbEEZZNS1_14partition_implILS8_3ELb0ES6_jNS0_17counting_iteratorIjlEEPS9_SE_NS0_5tupleIJPjSE_EEENSF_IJSE_SE_EEES9_SG_JZNS1_25segmented_radix_sort_implINS0_14default_configELb1EPK12hip_bfloat16PSL_PKlPlN2at6native12_GLOBAL__N_18offset_tEEE10hipError_tPvRmT1_PNSt15iterator_traitsISZ_E10value_typeET2_T3_PNS10_IS15_E10value_typeET4_jRbjT5_S1B_jjP12ihipStream_tbEUljE_EEESW_SX_SY_S15_S19_S1B_T6_T7_T9_mT8_S1D_bDpT10_ENKUlT_T0_E_clISt17integral_constantIbLb0EES1Q_EEDaS1L_S1M_EUlS1L_E_NS1_11comp_targetILNS1_3genE3ELNS1_11target_archE908ELNS1_3gpuE7ELNS1_3repE0EEENS1_30default_config_static_selectorELNS0_4arch9wavefront6targetE0EEEvSZ_
; %bb.0:
	.section	.rodata,"a",@progbits
	.p2align	6, 0x0
	.amdhsa_kernel _ZN7rocprim17ROCPRIM_400000_NS6detail17trampoline_kernelINS0_13select_configILj256ELj13ELNS0_17block_load_methodE3ELS4_3ELS4_3ELNS0_20block_scan_algorithmE0ELj4294967295EEENS1_25partition_config_selectorILNS1_17partition_subalgoE3EjNS0_10empty_typeEbEEZZNS1_14partition_implILS8_3ELb0ES6_jNS0_17counting_iteratorIjlEEPS9_SE_NS0_5tupleIJPjSE_EEENSF_IJSE_SE_EEES9_SG_JZNS1_25segmented_radix_sort_implINS0_14default_configELb1EPK12hip_bfloat16PSL_PKlPlN2at6native12_GLOBAL__N_18offset_tEEE10hipError_tPvRmT1_PNSt15iterator_traitsISZ_E10value_typeET2_T3_PNS10_IS15_E10value_typeET4_jRbjT5_S1B_jjP12ihipStream_tbEUljE_EEESW_SX_SY_S15_S19_S1B_T6_T7_T9_mT8_S1D_bDpT10_ENKUlT_T0_E_clISt17integral_constantIbLb0EES1Q_EEDaS1L_S1M_EUlS1L_E_NS1_11comp_targetILNS1_3genE3ELNS1_11target_archE908ELNS1_3gpuE7ELNS1_3repE0EEENS1_30default_config_static_selectorELNS0_4arch9wavefront6targetE0EEEvSZ_
		.amdhsa_group_segment_fixed_size 0
		.amdhsa_private_segment_fixed_size 0
		.amdhsa_kernarg_size 144
		.amdhsa_user_sgpr_count 2
		.amdhsa_user_sgpr_dispatch_ptr 0
		.amdhsa_user_sgpr_queue_ptr 0
		.amdhsa_user_sgpr_kernarg_segment_ptr 1
		.amdhsa_user_sgpr_dispatch_id 0
		.amdhsa_user_sgpr_kernarg_preload_length 0
		.amdhsa_user_sgpr_kernarg_preload_offset 0
		.amdhsa_user_sgpr_private_segment_size 0
		.amdhsa_wavefront_size32 1
		.amdhsa_uses_dynamic_stack 0
		.amdhsa_enable_private_segment 0
		.amdhsa_system_sgpr_workgroup_id_x 1
		.amdhsa_system_sgpr_workgroup_id_y 0
		.amdhsa_system_sgpr_workgroup_id_z 0
		.amdhsa_system_sgpr_workgroup_info 0
		.amdhsa_system_vgpr_workitem_id 0
		.amdhsa_next_free_vgpr 1
		.amdhsa_next_free_sgpr 1
		.amdhsa_named_barrier_count 0
		.amdhsa_reserve_vcc 0
		.amdhsa_float_round_mode_32 0
		.amdhsa_float_round_mode_16_64 0
		.amdhsa_float_denorm_mode_32 3
		.amdhsa_float_denorm_mode_16_64 3
		.amdhsa_fp16_overflow 0
		.amdhsa_memory_ordered 1
		.amdhsa_forward_progress 1
		.amdhsa_inst_pref_size 0
		.amdhsa_round_robin_scheduling 0
		.amdhsa_exception_fp_ieee_invalid_op 0
		.amdhsa_exception_fp_denorm_src 0
		.amdhsa_exception_fp_ieee_div_zero 0
		.amdhsa_exception_fp_ieee_overflow 0
		.amdhsa_exception_fp_ieee_underflow 0
		.amdhsa_exception_fp_ieee_inexact 0
		.amdhsa_exception_int_div_zero 0
	.end_amdhsa_kernel
	.section	.text._ZN7rocprim17ROCPRIM_400000_NS6detail17trampoline_kernelINS0_13select_configILj256ELj13ELNS0_17block_load_methodE3ELS4_3ELS4_3ELNS0_20block_scan_algorithmE0ELj4294967295EEENS1_25partition_config_selectorILNS1_17partition_subalgoE3EjNS0_10empty_typeEbEEZZNS1_14partition_implILS8_3ELb0ES6_jNS0_17counting_iteratorIjlEEPS9_SE_NS0_5tupleIJPjSE_EEENSF_IJSE_SE_EEES9_SG_JZNS1_25segmented_radix_sort_implINS0_14default_configELb1EPK12hip_bfloat16PSL_PKlPlN2at6native12_GLOBAL__N_18offset_tEEE10hipError_tPvRmT1_PNSt15iterator_traitsISZ_E10value_typeET2_T3_PNS10_IS15_E10value_typeET4_jRbjT5_S1B_jjP12ihipStream_tbEUljE_EEESW_SX_SY_S15_S19_S1B_T6_T7_T9_mT8_S1D_bDpT10_ENKUlT_T0_E_clISt17integral_constantIbLb0EES1Q_EEDaS1L_S1M_EUlS1L_E_NS1_11comp_targetILNS1_3genE3ELNS1_11target_archE908ELNS1_3gpuE7ELNS1_3repE0EEENS1_30default_config_static_selectorELNS0_4arch9wavefront6targetE0EEEvSZ_,"axG",@progbits,_ZN7rocprim17ROCPRIM_400000_NS6detail17trampoline_kernelINS0_13select_configILj256ELj13ELNS0_17block_load_methodE3ELS4_3ELS4_3ELNS0_20block_scan_algorithmE0ELj4294967295EEENS1_25partition_config_selectorILNS1_17partition_subalgoE3EjNS0_10empty_typeEbEEZZNS1_14partition_implILS8_3ELb0ES6_jNS0_17counting_iteratorIjlEEPS9_SE_NS0_5tupleIJPjSE_EEENSF_IJSE_SE_EEES9_SG_JZNS1_25segmented_radix_sort_implINS0_14default_configELb1EPK12hip_bfloat16PSL_PKlPlN2at6native12_GLOBAL__N_18offset_tEEE10hipError_tPvRmT1_PNSt15iterator_traitsISZ_E10value_typeET2_T3_PNS10_IS15_E10value_typeET4_jRbjT5_S1B_jjP12ihipStream_tbEUljE_EEESW_SX_SY_S15_S19_S1B_T6_T7_T9_mT8_S1D_bDpT10_ENKUlT_T0_E_clISt17integral_constantIbLb0EES1Q_EEDaS1L_S1M_EUlS1L_E_NS1_11comp_targetILNS1_3genE3ELNS1_11target_archE908ELNS1_3gpuE7ELNS1_3repE0EEENS1_30default_config_static_selectorELNS0_4arch9wavefront6targetE0EEEvSZ_,comdat
.Lfunc_end1907:
	.size	_ZN7rocprim17ROCPRIM_400000_NS6detail17trampoline_kernelINS0_13select_configILj256ELj13ELNS0_17block_load_methodE3ELS4_3ELS4_3ELNS0_20block_scan_algorithmE0ELj4294967295EEENS1_25partition_config_selectorILNS1_17partition_subalgoE3EjNS0_10empty_typeEbEEZZNS1_14partition_implILS8_3ELb0ES6_jNS0_17counting_iteratorIjlEEPS9_SE_NS0_5tupleIJPjSE_EEENSF_IJSE_SE_EEES9_SG_JZNS1_25segmented_radix_sort_implINS0_14default_configELb1EPK12hip_bfloat16PSL_PKlPlN2at6native12_GLOBAL__N_18offset_tEEE10hipError_tPvRmT1_PNSt15iterator_traitsISZ_E10value_typeET2_T3_PNS10_IS15_E10value_typeET4_jRbjT5_S1B_jjP12ihipStream_tbEUljE_EEESW_SX_SY_S15_S19_S1B_T6_T7_T9_mT8_S1D_bDpT10_ENKUlT_T0_E_clISt17integral_constantIbLb0EES1Q_EEDaS1L_S1M_EUlS1L_E_NS1_11comp_targetILNS1_3genE3ELNS1_11target_archE908ELNS1_3gpuE7ELNS1_3repE0EEENS1_30default_config_static_selectorELNS0_4arch9wavefront6targetE0EEEvSZ_, .Lfunc_end1907-_ZN7rocprim17ROCPRIM_400000_NS6detail17trampoline_kernelINS0_13select_configILj256ELj13ELNS0_17block_load_methodE3ELS4_3ELS4_3ELNS0_20block_scan_algorithmE0ELj4294967295EEENS1_25partition_config_selectorILNS1_17partition_subalgoE3EjNS0_10empty_typeEbEEZZNS1_14partition_implILS8_3ELb0ES6_jNS0_17counting_iteratorIjlEEPS9_SE_NS0_5tupleIJPjSE_EEENSF_IJSE_SE_EEES9_SG_JZNS1_25segmented_radix_sort_implINS0_14default_configELb1EPK12hip_bfloat16PSL_PKlPlN2at6native12_GLOBAL__N_18offset_tEEE10hipError_tPvRmT1_PNSt15iterator_traitsISZ_E10value_typeET2_T3_PNS10_IS15_E10value_typeET4_jRbjT5_S1B_jjP12ihipStream_tbEUljE_EEESW_SX_SY_S15_S19_S1B_T6_T7_T9_mT8_S1D_bDpT10_ENKUlT_T0_E_clISt17integral_constantIbLb0EES1Q_EEDaS1L_S1M_EUlS1L_E_NS1_11comp_targetILNS1_3genE3ELNS1_11target_archE908ELNS1_3gpuE7ELNS1_3repE0EEENS1_30default_config_static_selectorELNS0_4arch9wavefront6targetE0EEEvSZ_
                                        ; -- End function
	.set _ZN7rocprim17ROCPRIM_400000_NS6detail17trampoline_kernelINS0_13select_configILj256ELj13ELNS0_17block_load_methodE3ELS4_3ELS4_3ELNS0_20block_scan_algorithmE0ELj4294967295EEENS1_25partition_config_selectorILNS1_17partition_subalgoE3EjNS0_10empty_typeEbEEZZNS1_14partition_implILS8_3ELb0ES6_jNS0_17counting_iteratorIjlEEPS9_SE_NS0_5tupleIJPjSE_EEENSF_IJSE_SE_EEES9_SG_JZNS1_25segmented_radix_sort_implINS0_14default_configELb1EPK12hip_bfloat16PSL_PKlPlN2at6native12_GLOBAL__N_18offset_tEEE10hipError_tPvRmT1_PNSt15iterator_traitsISZ_E10value_typeET2_T3_PNS10_IS15_E10value_typeET4_jRbjT5_S1B_jjP12ihipStream_tbEUljE_EEESW_SX_SY_S15_S19_S1B_T6_T7_T9_mT8_S1D_bDpT10_ENKUlT_T0_E_clISt17integral_constantIbLb0EES1Q_EEDaS1L_S1M_EUlS1L_E_NS1_11comp_targetILNS1_3genE3ELNS1_11target_archE908ELNS1_3gpuE7ELNS1_3repE0EEENS1_30default_config_static_selectorELNS0_4arch9wavefront6targetE0EEEvSZ_.num_vgpr, 0
	.set _ZN7rocprim17ROCPRIM_400000_NS6detail17trampoline_kernelINS0_13select_configILj256ELj13ELNS0_17block_load_methodE3ELS4_3ELS4_3ELNS0_20block_scan_algorithmE0ELj4294967295EEENS1_25partition_config_selectorILNS1_17partition_subalgoE3EjNS0_10empty_typeEbEEZZNS1_14partition_implILS8_3ELb0ES6_jNS0_17counting_iteratorIjlEEPS9_SE_NS0_5tupleIJPjSE_EEENSF_IJSE_SE_EEES9_SG_JZNS1_25segmented_radix_sort_implINS0_14default_configELb1EPK12hip_bfloat16PSL_PKlPlN2at6native12_GLOBAL__N_18offset_tEEE10hipError_tPvRmT1_PNSt15iterator_traitsISZ_E10value_typeET2_T3_PNS10_IS15_E10value_typeET4_jRbjT5_S1B_jjP12ihipStream_tbEUljE_EEESW_SX_SY_S15_S19_S1B_T6_T7_T9_mT8_S1D_bDpT10_ENKUlT_T0_E_clISt17integral_constantIbLb0EES1Q_EEDaS1L_S1M_EUlS1L_E_NS1_11comp_targetILNS1_3genE3ELNS1_11target_archE908ELNS1_3gpuE7ELNS1_3repE0EEENS1_30default_config_static_selectorELNS0_4arch9wavefront6targetE0EEEvSZ_.num_agpr, 0
	.set _ZN7rocprim17ROCPRIM_400000_NS6detail17trampoline_kernelINS0_13select_configILj256ELj13ELNS0_17block_load_methodE3ELS4_3ELS4_3ELNS0_20block_scan_algorithmE0ELj4294967295EEENS1_25partition_config_selectorILNS1_17partition_subalgoE3EjNS0_10empty_typeEbEEZZNS1_14partition_implILS8_3ELb0ES6_jNS0_17counting_iteratorIjlEEPS9_SE_NS0_5tupleIJPjSE_EEENSF_IJSE_SE_EEES9_SG_JZNS1_25segmented_radix_sort_implINS0_14default_configELb1EPK12hip_bfloat16PSL_PKlPlN2at6native12_GLOBAL__N_18offset_tEEE10hipError_tPvRmT1_PNSt15iterator_traitsISZ_E10value_typeET2_T3_PNS10_IS15_E10value_typeET4_jRbjT5_S1B_jjP12ihipStream_tbEUljE_EEESW_SX_SY_S15_S19_S1B_T6_T7_T9_mT8_S1D_bDpT10_ENKUlT_T0_E_clISt17integral_constantIbLb0EES1Q_EEDaS1L_S1M_EUlS1L_E_NS1_11comp_targetILNS1_3genE3ELNS1_11target_archE908ELNS1_3gpuE7ELNS1_3repE0EEENS1_30default_config_static_selectorELNS0_4arch9wavefront6targetE0EEEvSZ_.numbered_sgpr, 0
	.set _ZN7rocprim17ROCPRIM_400000_NS6detail17trampoline_kernelINS0_13select_configILj256ELj13ELNS0_17block_load_methodE3ELS4_3ELS4_3ELNS0_20block_scan_algorithmE0ELj4294967295EEENS1_25partition_config_selectorILNS1_17partition_subalgoE3EjNS0_10empty_typeEbEEZZNS1_14partition_implILS8_3ELb0ES6_jNS0_17counting_iteratorIjlEEPS9_SE_NS0_5tupleIJPjSE_EEENSF_IJSE_SE_EEES9_SG_JZNS1_25segmented_radix_sort_implINS0_14default_configELb1EPK12hip_bfloat16PSL_PKlPlN2at6native12_GLOBAL__N_18offset_tEEE10hipError_tPvRmT1_PNSt15iterator_traitsISZ_E10value_typeET2_T3_PNS10_IS15_E10value_typeET4_jRbjT5_S1B_jjP12ihipStream_tbEUljE_EEESW_SX_SY_S15_S19_S1B_T6_T7_T9_mT8_S1D_bDpT10_ENKUlT_T0_E_clISt17integral_constantIbLb0EES1Q_EEDaS1L_S1M_EUlS1L_E_NS1_11comp_targetILNS1_3genE3ELNS1_11target_archE908ELNS1_3gpuE7ELNS1_3repE0EEENS1_30default_config_static_selectorELNS0_4arch9wavefront6targetE0EEEvSZ_.num_named_barrier, 0
	.set _ZN7rocprim17ROCPRIM_400000_NS6detail17trampoline_kernelINS0_13select_configILj256ELj13ELNS0_17block_load_methodE3ELS4_3ELS4_3ELNS0_20block_scan_algorithmE0ELj4294967295EEENS1_25partition_config_selectorILNS1_17partition_subalgoE3EjNS0_10empty_typeEbEEZZNS1_14partition_implILS8_3ELb0ES6_jNS0_17counting_iteratorIjlEEPS9_SE_NS0_5tupleIJPjSE_EEENSF_IJSE_SE_EEES9_SG_JZNS1_25segmented_radix_sort_implINS0_14default_configELb1EPK12hip_bfloat16PSL_PKlPlN2at6native12_GLOBAL__N_18offset_tEEE10hipError_tPvRmT1_PNSt15iterator_traitsISZ_E10value_typeET2_T3_PNS10_IS15_E10value_typeET4_jRbjT5_S1B_jjP12ihipStream_tbEUljE_EEESW_SX_SY_S15_S19_S1B_T6_T7_T9_mT8_S1D_bDpT10_ENKUlT_T0_E_clISt17integral_constantIbLb0EES1Q_EEDaS1L_S1M_EUlS1L_E_NS1_11comp_targetILNS1_3genE3ELNS1_11target_archE908ELNS1_3gpuE7ELNS1_3repE0EEENS1_30default_config_static_selectorELNS0_4arch9wavefront6targetE0EEEvSZ_.private_seg_size, 0
	.set _ZN7rocprim17ROCPRIM_400000_NS6detail17trampoline_kernelINS0_13select_configILj256ELj13ELNS0_17block_load_methodE3ELS4_3ELS4_3ELNS0_20block_scan_algorithmE0ELj4294967295EEENS1_25partition_config_selectorILNS1_17partition_subalgoE3EjNS0_10empty_typeEbEEZZNS1_14partition_implILS8_3ELb0ES6_jNS0_17counting_iteratorIjlEEPS9_SE_NS0_5tupleIJPjSE_EEENSF_IJSE_SE_EEES9_SG_JZNS1_25segmented_radix_sort_implINS0_14default_configELb1EPK12hip_bfloat16PSL_PKlPlN2at6native12_GLOBAL__N_18offset_tEEE10hipError_tPvRmT1_PNSt15iterator_traitsISZ_E10value_typeET2_T3_PNS10_IS15_E10value_typeET4_jRbjT5_S1B_jjP12ihipStream_tbEUljE_EEESW_SX_SY_S15_S19_S1B_T6_T7_T9_mT8_S1D_bDpT10_ENKUlT_T0_E_clISt17integral_constantIbLb0EES1Q_EEDaS1L_S1M_EUlS1L_E_NS1_11comp_targetILNS1_3genE3ELNS1_11target_archE908ELNS1_3gpuE7ELNS1_3repE0EEENS1_30default_config_static_selectorELNS0_4arch9wavefront6targetE0EEEvSZ_.uses_vcc, 0
	.set _ZN7rocprim17ROCPRIM_400000_NS6detail17trampoline_kernelINS0_13select_configILj256ELj13ELNS0_17block_load_methodE3ELS4_3ELS4_3ELNS0_20block_scan_algorithmE0ELj4294967295EEENS1_25partition_config_selectorILNS1_17partition_subalgoE3EjNS0_10empty_typeEbEEZZNS1_14partition_implILS8_3ELb0ES6_jNS0_17counting_iteratorIjlEEPS9_SE_NS0_5tupleIJPjSE_EEENSF_IJSE_SE_EEES9_SG_JZNS1_25segmented_radix_sort_implINS0_14default_configELb1EPK12hip_bfloat16PSL_PKlPlN2at6native12_GLOBAL__N_18offset_tEEE10hipError_tPvRmT1_PNSt15iterator_traitsISZ_E10value_typeET2_T3_PNS10_IS15_E10value_typeET4_jRbjT5_S1B_jjP12ihipStream_tbEUljE_EEESW_SX_SY_S15_S19_S1B_T6_T7_T9_mT8_S1D_bDpT10_ENKUlT_T0_E_clISt17integral_constantIbLb0EES1Q_EEDaS1L_S1M_EUlS1L_E_NS1_11comp_targetILNS1_3genE3ELNS1_11target_archE908ELNS1_3gpuE7ELNS1_3repE0EEENS1_30default_config_static_selectorELNS0_4arch9wavefront6targetE0EEEvSZ_.uses_flat_scratch, 0
	.set _ZN7rocprim17ROCPRIM_400000_NS6detail17trampoline_kernelINS0_13select_configILj256ELj13ELNS0_17block_load_methodE3ELS4_3ELS4_3ELNS0_20block_scan_algorithmE0ELj4294967295EEENS1_25partition_config_selectorILNS1_17partition_subalgoE3EjNS0_10empty_typeEbEEZZNS1_14partition_implILS8_3ELb0ES6_jNS0_17counting_iteratorIjlEEPS9_SE_NS0_5tupleIJPjSE_EEENSF_IJSE_SE_EEES9_SG_JZNS1_25segmented_radix_sort_implINS0_14default_configELb1EPK12hip_bfloat16PSL_PKlPlN2at6native12_GLOBAL__N_18offset_tEEE10hipError_tPvRmT1_PNSt15iterator_traitsISZ_E10value_typeET2_T3_PNS10_IS15_E10value_typeET4_jRbjT5_S1B_jjP12ihipStream_tbEUljE_EEESW_SX_SY_S15_S19_S1B_T6_T7_T9_mT8_S1D_bDpT10_ENKUlT_T0_E_clISt17integral_constantIbLb0EES1Q_EEDaS1L_S1M_EUlS1L_E_NS1_11comp_targetILNS1_3genE3ELNS1_11target_archE908ELNS1_3gpuE7ELNS1_3repE0EEENS1_30default_config_static_selectorELNS0_4arch9wavefront6targetE0EEEvSZ_.has_dyn_sized_stack, 0
	.set _ZN7rocprim17ROCPRIM_400000_NS6detail17trampoline_kernelINS0_13select_configILj256ELj13ELNS0_17block_load_methodE3ELS4_3ELS4_3ELNS0_20block_scan_algorithmE0ELj4294967295EEENS1_25partition_config_selectorILNS1_17partition_subalgoE3EjNS0_10empty_typeEbEEZZNS1_14partition_implILS8_3ELb0ES6_jNS0_17counting_iteratorIjlEEPS9_SE_NS0_5tupleIJPjSE_EEENSF_IJSE_SE_EEES9_SG_JZNS1_25segmented_radix_sort_implINS0_14default_configELb1EPK12hip_bfloat16PSL_PKlPlN2at6native12_GLOBAL__N_18offset_tEEE10hipError_tPvRmT1_PNSt15iterator_traitsISZ_E10value_typeET2_T3_PNS10_IS15_E10value_typeET4_jRbjT5_S1B_jjP12ihipStream_tbEUljE_EEESW_SX_SY_S15_S19_S1B_T6_T7_T9_mT8_S1D_bDpT10_ENKUlT_T0_E_clISt17integral_constantIbLb0EES1Q_EEDaS1L_S1M_EUlS1L_E_NS1_11comp_targetILNS1_3genE3ELNS1_11target_archE908ELNS1_3gpuE7ELNS1_3repE0EEENS1_30default_config_static_selectorELNS0_4arch9wavefront6targetE0EEEvSZ_.has_recursion, 0
	.set _ZN7rocprim17ROCPRIM_400000_NS6detail17trampoline_kernelINS0_13select_configILj256ELj13ELNS0_17block_load_methodE3ELS4_3ELS4_3ELNS0_20block_scan_algorithmE0ELj4294967295EEENS1_25partition_config_selectorILNS1_17partition_subalgoE3EjNS0_10empty_typeEbEEZZNS1_14partition_implILS8_3ELb0ES6_jNS0_17counting_iteratorIjlEEPS9_SE_NS0_5tupleIJPjSE_EEENSF_IJSE_SE_EEES9_SG_JZNS1_25segmented_radix_sort_implINS0_14default_configELb1EPK12hip_bfloat16PSL_PKlPlN2at6native12_GLOBAL__N_18offset_tEEE10hipError_tPvRmT1_PNSt15iterator_traitsISZ_E10value_typeET2_T3_PNS10_IS15_E10value_typeET4_jRbjT5_S1B_jjP12ihipStream_tbEUljE_EEESW_SX_SY_S15_S19_S1B_T6_T7_T9_mT8_S1D_bDpT10_ENKUlT_T0_E_clISt17integral_constantIbLb0EES1Q_EEDaS1L_S1M_EUlS1L_E_NS1_11comp_targetILNS1_3genE3ELNS1_11target_archE908ELNS1_3gpuE7ELNS1_3repE0EEENS1_30default_config_static_selectorELNS0_4arch9wavefront6targetE0EEEvSZ_.has_indirect_call, 0
	.section	.AMDGPU.csdata,"",@progbits
; Kernel info:
; codeLenInByte = 0
; TotalNumSgprs: 0
; NumVgprs: 0
; ScratchSize: 0
; MemoryBound: 0
; FloatMode: 240
; IeeeMode: 1
; LDSByteSize: 0 bytes/workgroup (compile time only)
; SGPRBlocks: 0
; VGPRBlocks: 0
; NumSGPRsForWavesPerEU: 1
; NumVGPRsForWavesPerEU: 1
; NamedBarCnt: 0
; Occupancy: 16
; WaveLimiterHint : 0
; COMPUTE_PGM_RSRC2:SCRATCH_EN: 0
; COMPUTE_PGM_RSRC2:USER_SGPR: 2
; COMPUTE_PGM_RSRC2:TRAP_HANDLER: 0
; COMPUTE_PGM_RSRC2:TGID_X_EN: 1
; COMPUTE_PGM_RSRC2:TGID_Y_EN: 0
; COMPUTE_PGM_RSRC2:TGID_Z_EN: 0
; COMPUTE_PGM_RSRC2:TIDIG_COMP_CNT: 0
	.section	.text._ZN7rocprim17ROCPRIM_400000_NS6detail17trampoline_kernelINS0_13select_configILj256ELj13ELNS0_17block_load_methodE3ELS4_3ELS4_3ELNS0_20block_scan_algorithmE0ELj4294967295EEENS1_25partition_config_selectorILNS1_17partition_subalgoE3EjNS0_10empty_typeEbEEZZNS1_14partition_implILS8_3ELb0ES6_jNS0_17counting_iteratorIjlEEPS9_SE_NS0_5tupleIJPjSE_EEENSF_IJSE_SE_EEES9_SG_JZNS1_25segmented_radix_sort_implINS0_14default_configELb1EPK12hip_bfloat16PSL_PKlPlN2at6native12_GLOBAL__N_18offset_tEEE10hipError_tPvRmT1_PNSt15iterator_traitsISZ_E10value_typeET2_T3_PNS10_IS15_E10value_typeET4_jRbjT5_S1B_jjP12ihipStream_tbEUljE_EEESW_SX_SY_S15_S19_S1B_T6_T7_T9_mT8_S1D_bDpT10_ENKUlT_T0_E_clISt17integral_constantIbLb0EES1Q_EEDaS1L_S1M_EUlS1L_E_NS1_11comp_targetILNS1_3genE2ELNS1_11target_archE906ELNS1_3gpuE6ELNS1_3repE0EEENS1_30default_config_static_selectorELNS0_4arch9wavefront6targetE0EEEvSZ_,"axG",@progbits,_ZN7rocprim17ROCPRIM_400000_NS6detail17trampoline_kernelINS0_13select_configILj256ELj13ELNS0_17block_load_methodE3ELS4_3ELS4_3ELNS0_20block_scan_algorithmE0ELj4294967295EEENS1_25partition_config_selectorILNS1_17partition_subalgoE3EjNS0_10empty_typeEbEEZZNS1_14partition_implILS8_3ELb0ES6_jNS0_17counting_iteratorIjlEEPS9_SE_NS0_5tupleIJPjSE_EEENSF_IJSE_SE_EEES9_SG_JZNS1_25segmented_radix_sort_implINS0_14default_configELb1EPK12hip_bfloat16PSL_PKlPlN2at6native12_GLOBAL__N_18offset_tEEE10hipError_tPvRmT1_PNSt15iterator_traitsISZ_E10value_typeET2_T3_PNS10_IS15_E10value_typeET4_jRbjT5_S1B_jjP12ihipStream_tbEUljE_EEESW_SX_SY_S15_S19_S1B_T6_T7_T9_mT8_S1D_bDpT10_ENKUlT_T0_E_clISt17integral_constantIbLb0EES1Q_EEDaS1L_S1M_EUlS1L_E_NS1_11comp_targetILNS1_3genE2ELNS1_11target_archE906ELNS1_3gpuE6ELNS1_3repE0EEENS1_30default_config_static_selectorELNS0_4arch9wavefront6targetE0EEEvSZ_,comdat
	.globl	_ZN7rocprim17ROCPRIM_400000_NS6detail17trampoline_kernelINS0_13select_configILj256ELj13ELNS0_17block_load_methodE3ELS4_3ELS4_3ELNS0_20block_scan_algorithmE0ELj4294967295EEENS1_25partition_config_selectorILNS1_17partition_subalgoE3EjNS0_10empty_typeEbEEZZNS1_14partition_implILS8_3ELb0ES6_jNS0_17counting_iteratorIjlEEPS9_SE_NS0_5tupleIJPjSE_EEENSF_IJSE_SE_EEES9_SG_JZNS1_25segmented_radix_sort_implINS0_14default_configELb1EPK12hip_bfloat16PSL_PKlPlN2at6native12_GLOBAL__N_18offset_tEEE10hipError_tPvRmT1_PNSt15iterator_traitsISZ_E10value_typeET2_T3_PNS10_IS15_E10value_typeET4_jRbjT5_S1B_jjP12ihipStream_tbEUljE_EEESW_SX_SY_S15_S19_S1B_T6_T7_T9_mT8_S1D_bDpT10_ENKUlT_T0_E_clISt17integral_constantIbLb0EES1Q_EEDaS1L_S1M_EUlS1L_E_NS1_11comp_targetILNS1_3genE2ELNS1_11target_archE906ELNS1_3gpuE6ELNS1_3repE0EEENS1_30default_config_static_selectorELNS0_4arch9wavefront6targetE0EEEvSZ_ ; -- Begin function _ZN7rocprim17ROCPRIM_400000_NS6detail17trampoline_kernelINS0_13select_configILj256ELj13ELNS0_17block_load_methodE3ELS4_3ELS4_3ELNS0_20block_scan_algorithmE0ELj4294967295EEENS1_25partition_config_selectorILNS1_17partition_subalgoE3EjNS0_10empty_typeEbEEZZNS1_14partition_implILS8_3ELb0ES6_jNS0_17counting_iteratorIjlEEPS9_SE_NS0_5tupleIJPjSE_EEENSF_IJSE_SE_EEES9_SG_JZNS1_25segmented_radix_sort_implINS0_14default_configELb1EPK12hip_bfloat16PSL_PKlPlN2at6native12_GLOBAL__N_18offset_tEEE10hipError_tPvRmT1_PNSt15iterator_traitsISZ_E10value_typeET2_T3_PNS10_IS15_E10value_typeET4_jRbjT5_S1B_jjP12ihipStream_tbEUljE_EEESW_SX_SY_S15_S19_S1B_T6_T7_T9_mT8_S1D_bDpT10_ENKUlT_T0_E_clISt17integral_constantIbLb0EES1Q_EEDaS1L_S1M_EUlS1L_E_NS1_11comp_targetILNS1_3genE2ELNS1_11target_archE906ELNS1_3gpuE6ELNS1_3repE0EEENS1_30default_config_static_selectorELNS0_4arch9wavefront6targetE0EEEvSZ_
	.p2align	8
	.type	_ZN7rocprim17ROCPRIM_400000_NS6detail17trampoline_kernelINS0_13select_configILj256ELj13ELNS0_17block_load_methodE3ELS4_3ELS4_3ELNS0_20block_scan_algorithmE0ELj4294967295EEENS1_25partition_config_selectorILNS1_17partition_subalgoE3EjNS0_10empty_typeEbEEZZNS1_14partition_implILS8_3ELb0ES6_jNS0_17counting_iteratorIjlEEPS9_SE_NS0_5tupleIJPjSE_EEENSF_IJSE_SE_EEES9_SG_JZNS1_25segmented_radix_sort_implINS0_14default_configELb1EPK12hip_bfloat16PSL_PKlPlN2at6native12_GLOBAL__N_18offset_tEEE10hipError_tPvRmT1_PNSt15iterator_traitsISZ_E10value_typeET2_T3_PNS10_IS15_E10value_typeET4_jRbjT5_S1B_jjP12ihipStream_tbEUljE_EEESW_SX_SY_S15_S19_S1B_T6_T7_T9_mT8_S1D_bDpT10_ENKUlT_T0_E_clISt17integral_constantIbLb0EES1Q_EEDaS1L_S1M_EUlS1L_E_NS1_11comp_targetILNS1_3genE2ELNS1_11target_archE906ELNS1_3gpuE6ELNS1_3repE0EEENS1_30default_config_static_selectorELNS0_4arch9wavefront6targetE0EEEvSZ_,@function
_ZN7rocprim17ROCPRIM_400000_NS6detail17trampoline_kernelINS0_13select_configILj256ELj13ELNS0_17block_load_methodE3ELS4_3ELS4_3ELNS0_20block_scan_algorithmE0ELj4294967295EEENS1_25partition_config_selectorILNS1_17partition_subalgoE3EjNS0_10empty_typeEbEEZZNS1_14partition_implILS8_3ELb0ES6_jNS0_17counting_iteratorIjlEEPS9_SE_NS0_5tupleIJPjSE_EEENSF_IJSE_SE_EEES9_SG_JZNS1_25segmented_radix_sort_implINS0_14default_configELb1EPK12hip_bfloat16PSL_PKlPlN2at6native12_GLOBAL__N_18offset_tEEE10hipError_tPvRmT1_PNSt15iterator_traitsISZ_E10value_typeET2_T3_PNS10_IS15_E10value_typeET4_jRbjT5_S1B_jjP12ihipStream_tbEUljE_EEESW_SX_SY_S15_S19_S1B_T6_T7_T9_mT8_S1D_bDpT10_ENKUlT_T0_E_clISt17integral_constantIbLb0EES1Q_EEDaS1L_S1M_EUlS1L_E_NS1_11comp_targetILNS1_3genE2ELNS1_11target_archE906ELNS1_3gpuE6ELNS1_3repE0EEENS1_30default_config_static_selectorELNS0_4arch9wavefront6targetE0EEEvSZ_: ; @_ZN7rocprim17ROCPRIM_400000_NS6detail17trampoline_kernelINS0_13select_configILj256ELj13ELNS0_17block_load_methodE3ELS4_3ELS4_3ELNS0_20block_scan_algorithmE0ELj4294967295EEENS1_25partition_config_selectorILNS1_17partition_subalgoE3EjNS0_10empty_typeEbEEZZNS1_14partition_implILS8_3ELb0ES6_jNS0_17counting_iteratorIjlEEPS9_SE_NS0_5tupleIJPjSE_EEENSF_IJSE_SE_EEES9_SG_JZNS1_25segmented_radix_sort_implINS0_14default_configELb1EPK12hip_bfloat16PSL_PKlPlN2at6native12_GLOBAL__N_18offset_tEEE10hipError_tPvRmT1_PNSt15iterator_traitsISZ_E10value_typeET2_T3_PNS10_IS15_E10value_typeET4_jRbjT5_S1B_jjP12ihipStream_tbEUljE_EEESW_SX_SY_S15_S19_S1B_T6_T7_T9_mT8_S1D_bDpT10_ENKUlT_T0_E_clISt17integral_constantIbLb0EES1Q_EEDaS1L_S1M_EUlS1L_E_NS1_11comp_targetILNS1_3genE2ELNS1_11target_archE906ELNS1_3gpuE6ELNS1_3repE0EEENS1_30default_config_static_selectorELNS0_4arch9wavefront6targetE0EEEvSZ_
; %bb.0:
	.section	.rodata,"a",@progbits
	.p2align	6, 0x0
	.amdhsa_kernel _ZN7rocprim17ROCPRIM_400000_NS6detail17trampoline_kernelINS0_13select_configILj256ELj13ELNS0_17block_load_methodE3ELS4_3ELS4_3ELNS0_20block_scan_algorithmE0ELj4294967295EEENS1_25partition_config_selectorILNS1_17partition_subalgoE3EjNS0_10empty_typeEbEEZZNS1_14partition_implILS8_3ELb0ES6_jNS0_17counting_iteratorIjlEEPS9_SE_NS0_5tupleIJPjSE_EEENSF_IJSE_SE_EEES9_SG_JZNS1_25segmented_radix_sort_implINS0_14default_configELb1EPK12hip_bfloat16PSL_PKlPlN2at6native12_GLOBAL__N_18offset_tEEE10hipError_tPvRmT1_PNSt15iterator_traitsISZ_E10value_typeET2_T3_PNS10_IS15_E10value_typeET4_jRbjT5_S1B_jjP12ihipStream_tbEUljE_EEESW_SX_SY_S15_S19_S1B_T6_T7_T9_mT8_S1D_bDpT10_ENKUlT_T0_E_clISt17integral_constantIbLb0EES1Q_EEDaS1L_S1M_EUlS1L_E_NS1_11comp_targetILNS1_3genE2ELNS1_11target_archE906ELNS1_3gpuE6ELNS1_3repE0EEENS1_30default_config_static_selectorELNS0_4arch9wavefront6targetE0EEEvSZ_
		.amdhsa_group_segment_fixed_size 0
		.amdhsa_private_segment_fixed_size 0
		.amdhsa_kernarg_size 144
		.amdhsa_user_sgpr_count 2
		.amdhsa_user_sgpr_dispatch_ptr 0
		.amdhsa_user_sgpr_queue_ptr 0
		.amdhsa_user_sgpr_kernarg_segment_ptr 1
		.amdhsa_user_sgpr_dispatch_id 0
		.amdhsa_user_sgpr_kernarg_preload_length 0
		.amdhsa_user_sgpr_kernarg_preload_offset 0
		.amdhsa_user_sgpr_private_segment_size 0
		.amdhsa_wavefront_size32 1
		.amdhsa_uses_dynamic_stack 0
		.amdhsa_enable_private_segment 0
		.amdhsa_system_sgpr_workgroup_id_x 1
		.amdhsa_system_sgpr_workgroup_id_y 0
		.amdhsa_system_sgpr_workgroup_id_z 0
		.amdhsa_system_sgpr_workgroup_info 0
		.amdhsa_system_vgpr_workitem_id 0
		.amdhsa_next_free_vgpr 1
		.amdhsa_next_free_sgpr 1
		.amdhsa_named_barrier_count 0
		.amdhsa_reserve_vcc 0
		.amdhsa_float_round_mode_32 0
		.amdhsa_float_round_mode_16_64 0
		.amdhsa_float_denorm_mode_32 3
		.amdhsa_float_denorm_mode_16_64 3
		.amdhsa_fp16_overflow 0
		.amdhsa_memory_ordered 1
		.amdhsa_forward_progress 1
		.amdhsa_inst_pref_size 0
		.amdhsa_round_robin_scheduling 0
		.amdhsa_exception_fp_ieee_invalid_op 0
		.amdhsa_exception_fp_denorm_src 0
		.amdhsa_exception_fp_ieee_div_zero 0
		.amdhsa_exception_fp_ieee_overflow 0
		.amdhsa_exception_fp_ieee_underflow 0
		.amdhsa_exception_fp_ieee_inexact 0
		.amdhsa_exception_int_div_zero 0
	.end_amdhsa_kernel
	.section	.text._ZN7rocprim17ROCPRIM_400000_NS6detail17trampoline_kernelINS0_13select_configILj256ELj13ELNS0_17block_load_methodE3ELS4_3ELS4_3ELNS0_20block_scan_algorithmE0ELj4294967295EEENS1_25partition_config_selectorILNS1_17partition_subalgoE3EjNS0_10empty_typeEbEEZZNS1_14partition_implILS8_3ELb0ES6_jNS0_17counting_iteratorIjlEEPS9_SE_NS0_5tupleIJPjSE_EEENSF_IJSE_SE_EEES9_SG_JZNS1_25segmented_radix_sort_implINS0_14default_configELb1EPK12hip_bfloat16PSL_PKlPlN2at6native12_GLOBAL__N_18offset_tEEE10hipError_tPvRmT1_PNSt15iterator_traitsISZ_E10value_typeET2_T3_PNS10_IS15_E10value_typeET4_jRbjT5_S1B_jjP12ihipStream_tbEUljE_EEESW_SX_SY_S15_S19_S1B_T6_T7_T9_mT8_S1D_bDpT10_ENKUlT_T0_E_clISt17integral_constantIbLb0EES1Q_EEDaS1L_S1M_EUlS1L_E_NS1_11comp_targetILNS1_3genE2ELNS1_11target_archE906ELNS1_3gpuE6ELNS1_3repE0EEENS1_30default_config_static_selectorELNS0_4arch9wavefront6targetE0EEEvSZ_,"axG",@progbits,_ZN7rocprim17ROCPRIM_400000_NS6detail17trampoline_kernelINS0_13select_configILj256ELj13ELNS0_17block_load_methodE3ELS4_3ELS4_3ELNS0_20block_scan_algorithmE0ELj4294967295EEENS1_25partition_config_selectorILNS1_17partition_subalgoE3EjNS0_10empty_typeEbEEZZNS1_14partition_implILS8_3ELb0ES6_jNS0_17counting_iteratorIjlEEPS9_SE_NS0_5tupleIJPjSE_EEENSF_IJSE_SE_EEES9_SG_JZNS1_25segmented_radix_sort_implINS0_14default_configELb1EPK12hip_bfloat16PSL_PKlPlN2at6native12_GLOBAL__N_18offset_tEEE10hipError_tPvRmT1_PNSt15iterator_traitsISZ_E10value_typeET2_T3_PNS10_IS15_E10value_typeET4_jRbjT5_S1B_jjP12ihipStream_tbEUljE_EEESW_SX_SY_S15_S19_S1B_T6_T7_T9_mT8_S1D_bDpT10_ENKUlT_T0_E_clISt17integral_constantIbLb0EES1Q_EEDaS1L_S1M_EUlS1L_E_NS1_11comp_targetILNS1_3genE2ELNS1_11target_archE906ELNS1_3gpuE6ELNS1_3repE0EEENS1_30default_config_static_selectorELNS0_4arch9wavefront6targetE0EEEvSZ_,comdat
.Lfunc_end1908:
	.size	_ZN7rocprim17ROCPRIM_400000_NS6detail17trampoline_kernelINS0_13select_configILj256ELj13ELNS0_17block_load_methodE3ELS4_3ELS4_3ELNS0_20block_scan_algorithmE0ELj4294967295EEENS1_25partition_config_selectorILNS1_17partition_subalgoE3EjNS0_10empty_typeEbEEZZNS1_14partition_implILS8_3ELb0ES6_jNS0_17counting_iteratorIjlEEPS9_SE_NS0_5tupleIJPjSE_EEENSF_IJSE_SE_EEES9_SG_JZNS1_25segmented_radix_sort_implINS0_14default_configELb1EPK12hip_bfloat16PSL_PKlPlN2at6native12_GLOBAL__N_18offset_tEEE10hipError_tPvRmT1_PNSt15iterator_traitsISZ_E10value_typeET2_T3_PNS10_IS15_E10value_typeET4_jRbjT5_S1B_jjP12ihipStream_tbEUljE_EEESW_SX_SY_S15_S19_S1B_T6_T7_T9_mT8_S1D_bDpT10_ENKUlT_T0_E_clISt17integral_constantIbLb0EES1Q_EEDaS1L_S1M_EUlS1L_E_NS1_11comp_targetILNS1_3genE2ELNS1_11target_archE906ELNS1_3gpuE6ELNS1_3repE0EEENS1_30default_config_static_selectorELNS0_4arch9wavefront6targetE0EEEvSZ_, .Lfunc_end1908-_ZN7rocprim17ROCPRIM_400000_NS6detail17trampoline_kernelINS0_13select_configILj256ELj13ELNS0_17block_load_methodE3ELS4_3ELS4_3ELNS0_20block_scan_algorithmE0ELj4294967295EEENS1_25partition_config_selectorILNS1_17partition_subalgoE3EjNS0_10empty_typeEbEEZZNS1_14partition_implILS8_3ELb0ES6_jNS0_17counting_iteratorIjlEEPS9_SE_NS0_5tupleIJPjSE_EEENSF_IJSE_SE_EEES9_SG_JZNS1_25segmented_radix_sort_implINS0_14default_configELb1EPK12hip_bfloat16PSL_PKlPlN2at6native12_GLOBAL__N_18offset_tEEE10hipError_tPvRmT1_PNSt15iterator_traitsISZ_E10value_typeET2_T3_PNS10_IS15_E10value_typeET4_jRbjT5_S1B_jjP12ihipStream_tbEUljE_EEESW_SX_SY_S15_S19_S1B_T6_T7_T9_mT8_S1D_bDpT10_ENKUlT_T0_E_clISt17integral_constantIbLb0EES1Q_EEDaS1L_S1M_EUlS1L_E_NS1_11comp_targetILNS1_3genE2ELNS1_11target_archE906ELNS1_3gpuE6ELNS1_3repE0EEENS1_30default_config_static_selectorELNS0_4arch9wavefront6targetE0EEEvSZ_
                                        ; -- End function
	.set _ZN7rocprim17ROCPRIM_400000_NS6detail17trampoline_kernelINS0_13select_configILj256ELj13ELNS0_17block_load_methodE3ELS4_3ELS4_3ELNS0_20block_scan_algorithmE0ELj4294967295EEENS1_25partition_config_selectorILNS1_17partition_subalgoE3EjNS0_10empty_typeEbEEZZNS1_14partition_implILS8_3ELb0ES6_jNS0_17counting_iteratorIjlEEPS9_SE_NS0_5tupleIJPjSE_EEENSF_IJSE_SE_EEES9_SG_JZNS1_25segmented_radix_sort_implINS0_14default_configELb1EPK12hip_bfloat16PSL_PKlPlN2at6native12_GLOBAL__N_18offset_tEEE10hipError_tPvRmT1_PNSt15iterator_traitsISZ_E10value_typeET2_T3_PNS10_IS15_E10value_typeET4_jRbjT5_S1B_jjP12ihipStream_tbEUljE_EEESW_SX_SY_S15_S19_S1B_T6_T7_T9_mT8_S1D_bDpT10_ENKUlT_T0_E_clISt17integral_constantIbLb0EES1Q_EEDaS1L_S1M_EUlS1L_E_NS1_11comp_targetILNS1_3genE2ELNS1_11target_archE906ELNS1_3gpuE6ELNS1_3repE0EEENS1_30default_config_static_selectorELNS0_4arch9wavefront6targetE0EEEvSZ_.num_vgpr, 0
	.set _ZN7rocprim17ROCPRIM_400000_NS6detail17trampoline_kernelINS0_13select_configILj256ELj13ELNS0_17block_load_methodE3ELS4_3ELS4_3ELNS0_20block_scan_algorithmE0ELj4294967295EEENS1_25partition_config_selectorILNS1_17partition_subalgoE3EjNS0_10empty_typeEbEEZZNS1_14partition_implILS8_3ELb0ES6_jNS0_17counting_iteratorIjlEEPS9_SE_NS0_5tupleIJPjSE_EEENSF_IJSE_SE_EEES9_SG_JZNS1_25segmented_radix_sort_implINS0_14default_configELb1EPK12hip_bfloat16PSL_PKlPlN2at6native12_GLOBAL__N_18offset_tEEE10hipError_tPvRmT1_PNSt15iterator_traitsISZ_E10value_typeET2_T3_PNS10_IS15_E10value_typeET4_jRbjT5_S1B_jjP12ihipStream_tbEUljE_EEESW_SX_SY_S15_S19_S1B_T6_T7_T9_mT8_S1D_bDpT10_ENKUlT_T0_E_clISt17integral_constantIbLb0EES1Q_EEDaS1L_S1M_EUlS1L_E_NS1_11comp_targetILNS1_3genE2ELNS1_11target_archE906ELNS1_3gpuE6ELNS1_3repE0EEENS1_30default_config_static_selectorELNS0_4arch9wavefront6targetE0EEEvSZ_.num_agpr, 0
	.set _ZN7rocprim17ROCPRIM_400000_NS6detail17trampoline_kernelINS0_13select_configILj256ELj13ELNS0_17block_load_methodE3ELS4_3ELS4_3ELNS0_20block_scan_algorithmE0ELj4294967295EEENS1_25partition_config_selectorILNS1_17partition_subalgoE3EjNS0_10empty_typeEbEEZZNS1_14partition_implILS8_3ELb0ES6_jNS0_17counting_iteratorIjlEEPS9_SE_NS0_5tupleIJPjSE_EEENSF_IJSE_SE_EEES9_SG_JZNS1_25segmented_radix_sort_implINS0_14default_configELb1EPK12hip_bfloat16PSL_PKlPlN2at6native12_GLOBAL__N_18offset_tEEE10hipError_tPvRmT1_PNSt15iterator_traitsISZ_E10value_typeET2_T3_PNS10_IS15_E10value_typeET4_jRbjT5_S1B_jjP12ihipStream_tbEUljE_EEESW_SX_SY_S15_S19_S1B_T6_T7_T9_mT8_S1D_bDpT10_ENKUlT_T0_E_clISt17integral_constantIbLb0EES1Q_EEDaS1L_S1M_EUlS1L_E_NS1_11comp_targetILNS1_3genE2ELNS1_11target_archE906ELNS1_3gpuE6ELNS1_3repE0EEENS1_30default_config_static_selectorELNS0_4arch9wavefront6targetE0EEEvSZ_.numbered_sgpr, 0
	.set _ZN7rocprim17ROCPRIM_400000_NS6detail17trampoline_kernelINS0_13select_configILj256ELj13ELNS0_17block_load_methodE3ELS4_3ELS4_3ELNS0_20block_scan_algorithmE0ELj4294967295EEENS1_25partition_config_selectorILNS1_17partition_subalgoE3EjNS0_10empty_typeEbEEZZNS1_14partition_implILS8_3ELb0ES6_jNS0_17counting_iteratorIjlEEPS9_SE_NS0_5tupleIJPjSE_EEENSF_IJSE_SE_EEES9_SG_JZNS1_25segmented_radix_sort_implINS0_14default_configELb1EPK12hip_bfloat16PSL_PKlPlN2at6native12_GLOBAL__N_18offset_tEEE10hipError_tPvRmT1_PNSt15iterator_traitsISZ_E10value_typeET2_T3_PNS10_IS15_E10value_typeET4_jRbjT5_S1B_jjP12ihipStream_tbEUljE_EEESW_SX_SY_S15_S19_S1B_T6_T7_T9_mT8_S1D_bDpT10_ENKUlT_T0_E_clISt17integral_constantIbLb0EES1Q_EEDaS1L_S1M_EUlS1L_E_NS1_11comp_targetILNS1_3genE2ELNS1_11target_archE906ELNS1_3gpuE6ELNS1_3repE0EEENS1_30default_config_static_selectorELNS0_4arch9wavefront6targetE0EEEvSZ_.num_named_barrier, 0
	.set _ZN7rocprim17ROCPRIM_400000_NS6detail17trampoline_kernelINS0_13select_configILj256ELj13ELNS0_17block_load_methodE3ELS4_3ELS4_3ELNS0_20block_scan_algorithmE0ELj4294967295EEENS1_25partition_config_selectorILNS1_17partition_subalgoE3EjNS0_10empty_typeEbEEZZNS1_14partition_implILS8_3ELb0ES6_jNS0_17counting_iteratorIjlEEPS9_SE_NS0_5tupleIJPjSE_EEENSF_IJSE_SE_EEES9_SG_JZNS1_25segmented_radix_sort_implINS0_14default_configELb1EPK12hip_bfloat16PSL_PKlPlN2at6native12_GLOBAL__N_18offset_tEEE10hipError_tPvRmT1_PNSt15iterator_traitsISZ_E10value_typeET2_T3_PNS10_IS15_E10value_typeET4_jRbjT5_S1B_jjP12ihipStream_tbEUljE_EEESW_SX_SY_S15_S19_S1B_T6_T7_T9_mT8_S1D_bDpT10_ENKUlT_T0_E_clISt17integral_constantIbLb0EES1Q_EEDaS1L_S1M_EUlS1L_E_NS1_11comp_targetILNS1_3genE2ELNS1_11target_archE906ELNS1_3gpuE6ELNS1_3repE0EEENS1_30default_config_static_selectorELNS0_4arch9wavefront6targetE0EEEvSZ_.private_seg_size, 0
	.set _ZN7rocprim17ROCPRIM_400000_NS6detail17trampoline_kernelINS0_13select_configILj256ELj13ELNS0_17block_load_methodE3ELS4_3ELS4_3ELNS0_20block_scan_algorithmE0ELj4294967295EEENS1_25partition_config_selectorILNS1_17partition_subalgoE3EjNS0_10empty_typeEbEEZZNS1_14partition_implILS8_3ELb0ES6_jNS0_17counting_iteratorIjlEEPS9_SE_NS0_5tupleIJPjSE_EEENSF_IJSE_SE_EEES9_SG_JZNS1_25segmented_radix_sort_implINS0_14default_configELb1EPK12hip_bfloat16PSL_PKlPlN2at6native12_GLOBAL__N_18offset_tEEE10hipError_tPvRmT1_PNSt15iterator_traitsISZ_E10value_typeET2_T3_PNS10_IS15_E10value_typeET4_jRbjT5_S1B_jjP12ihipStream_tbEUljE_EEESW_SX_SY_S15_S19_S1B_T6_T7_T9_mT8_S1D_bDpT10_ENKUlT_T0_E_clISt17integral_constantIbLb0EES1Q_EEDaS1L_S1M_EUlS1L_E_NS1_11comp_targetILNS1_3genE2ELNS1_11target_archE906ELNS1_3gpuE6ELNS1_3repE0EEENS1_30default_config_static_selectorELNS0_4arch9wavefront6targetE0EEEvSZ_.uses_vcc, 0
	.set _ZN7rocprim17ROCPRIM_400000_NS6detail17trampoline_kernelINS0_13select_configILj256ELj13ELNS0_17block_load_methodE3ELS4_3ELS4_3ELNS0_20block_scan_algorithmE0ELj4294967295EEENS1_25partition_config_selectorILNS1_17partition_subalgoE3EjNS0_10empty_typeEbEEZZNS1_14partition_implILS8_3ELb0ES6_jNS0_17counting_iteratorIjlEEPS9_SE_NS0_5tupleIJPjSE_EEENSF_IJSE_SE_EEES9_SG_JZNS1_25segmented_radix_sort_implINS0_14default_configELb1EPK12hip_bfloat16PSL_PKlPlN2at6native12_GLOBAL__N_18offset_tEEE10hipError_tPvRmT1_PNSt15iterator_traitsISZ_E10value_typeET2_T3_PNS10_IS15_E10value_typeET4_jRbjT5_S1B_jjP12ihipStream_tbEUljE_EEESW_SX_SY_S15_S19_S1B_T6_T7_T9_mT8_S1D_bDpT10_ENKUlT_T0_E_clISt17integral_constantIbLb0EES1Q_EEDaS1L_S1M_EUlS1L_E_NS1_11comp_targetILNS1_3genE2ELNS1_11target_archE906ELNS1_3gpuE6ELNS1_3repE0EEENS1_30default_config_static_selectorELNS0_4arch9wavefront6targetE0EEEvSZ_.uses_flat_scratch, 0
	.set _ZN7rocprim17ROCPRIM_400000_NS6detail17trampoline_kernelINS0_13select_configILj256ELj13ELNS0_17block_load_methodE3ELS4_3ELS4_3ELNS0_20block_scan_algorithmE0ELj4294967295EEENS1_25partition_config_selectorILNS1_17partition_subalgoE3EjNS0_10empty_typeEbEEZZNS1_14partition_implILS8_3ELb0ES6_jNS0_17counting_iteratorIjlEEPS9_SE_NS0_5tupleIJPjSE_EEENSF_IJSE_SE_EEES9_SG_JZNS1_25segmented_radix_sort_implINS0_14default_configELb1EPK12hip_bfloat16PSL_PKlPlN2at6native12_GLOBAL__N_18offset_tEEE10hipError_tPvRmT1_PNSt15iterator_traitsISZ_E10value_typeET2_T3_PNS10_IS15_E10value_typeET4_jRbjT5_S1B_jjP12ihipStream_tbEUljE_EEESW_SX_SY_S15_S19_S1B_T6_T7_T9_mT8_S1D_bDpT10_ENKUlT_T0_E_clISt17integral_constantIbLb0EES1Q_EEDaS1L_S1M_EUlS1L_E_NS1_11comp_targetILNS1_3genE2ELNS1_11target_archE906ELNS1_3gpuE6ELNS1_3repE0EEENS1_30default_config_static_selectorELNS0_4arch9wavefront6targetE0EEEvSZ_.has_dyn_sized_stack, 0
	.set _ZN7rocprim17ROCPRIM_400000_NS6detail17trampoline_kernelINS0_13select_configILj256ELj13ELNS0_17block_load_methodE3ELS4_3ELS4_3ELNS0_20block_scan_algorithmE0ELj4294967295EEENS1_25partition_config_selectorILNS1_17partition_subalgoE3EjNS0_10empty_typeEbEEZZNS1_14partition_implILS8_3ELb0ES6_jNS0_17counting_iteratorIjlEEPS9_SE_NS0_5tupleIJPjSE_EEENSF_IJSE_SE_EEES9_SG_JZNS1_25segmented_radix_sort_implINS0_14default_configELb1EPK12hip_bfloat16PSL_PKlPlN2at6native12_GLOBAL__N_18offset_tEEE10hipError_tPvRmT1_PNSt15iterator_traitsISZ_E10value_typeET2_T3_PNS10_IS15_E10value_typeET4_jRbjT5_S1B_jjP12ihipStream_tbEUljE_EEESW_SX_SY_S15_S19_S1B_T6_T7_T9_mT8_S1D_bDpT10_ENKUlT_T0_E_clISt17integral_constantIbLb0EES1Q_EEDaS1L_S1M_EUlS1L_E_NS1_11comp_targetILNS1_3genE2ELNS1_11target_archE906ELNS1_3gpuE6ELNS1_3repE0EEENS1_30default_config_static_selectorELNS0_4arch9wavefront6targetE0EEEvSZ_.has_recursion, 0
	.set _ZN7rocprim17ROCPRIM_400000_NS6detail17trampoline_kernelINS0_13select_configILj256ELj13ELNS0_17block_load_methodE3ELS4_3ELS4_3ELNS0_20block_scan_algorithmE0ELj4294967295EEENS1_25partition_config_selectorILNS1_17partition_subalgoE3EjNS0_10empty_typeEbEEZZNS1_14partition_implILS8_3ELb0ES6_jNS0_17counting_iteratorIjlEEPS9_SE_NS0_5tupleIJPjSE_EEENSF_IJSE_SE_EEES9_SG_JZNS1_25segmented_radix_sort_implINS0_14default_configELb1EPK12hip_bfloat16PSL_PKlPlN2at6native12_GLOBAL__N_18offset_tEEE10hipError_tPvRmT1_PNSt15iterator_traitsISZ_E10value_typeET2_T3_PNS10_IS15_E10value_typeET4_jRbjT5_S1B_jjP12ihipStream_tbEUljE_EEESW_SX_SY_S15_S19_S1B_T6_T7_T9_mT8_S1D_bDpT10_ENKUlT_T0_E_clISt17integral_constantIbLb0EES1Q_EEDaS1L_S1M_EUlS1L_E_NS1_11comp_targetILNS1_3genE2ELNS1_11target_archE906ELNS1_3gpuE6ELNS1_3repE0EEENS1_30default_config_static_selectorELNS0_4arch9wavefront6targetE0EEEvSZ_.has_indirect_call, 0
	.section	.AMDGPU.csdata,"",@progbits
; Kernel info:
; codeLenInByte = 0
; TotalNumSgprs: 0
; NumVgprs: 0
; ScratchSize: 0
; MemoryBound: 0
; FloatMode: 240
; IeeeMode: 1
; LDSByteSize: 0 bytes/workgroup (compile time only)
; SGPRBlocks: 0
; VGPRBlocks: 0
; NumSGPRsForWavesPerEU: 1
; NumVGPRsForWavesPerEU: 1
; NamedBarCnt: 0
; Occupancy: 16
; WaveLimiterHint : 0
; COMPUTE_PGM_RSRC2:SCRATCH_EN: 0
; COMPUTE_PGM_RSRC2:USER_SGPR: 2
; COMPUTE_PGM_RSRC2:TRAP_HANDLER: 0
; COMPUTE_PGM_RSRC2:TGID_X_EN: 1
; COMPUTE_PGM_RSRC2:TGID_Y_EN: 0
; COMPUTE_PGM_RSRC2:TGID_Z_EN: 0
; COMPUTE_PGM_RSRC2:TIDIG_COMP_CNT: 0
	.section	.text._ZN7rocprim17ROCPRIM_400000_NS6detail17trampoline_kernelINS0_13select_configILj256ELj13ELNS0_17block_load_methodE3ELS4_3ELS4_3ELNS0_20block_scan_algorithmE0ELj4294967295EEENS1_25partition_config_selectorILNS1_17partition_subalgoE3EjNS0_10empty_typeEbEEZZNS1_14partition_implILS8_3ELb0ES6_jNS0_17counting_iteratorIjlEEPS9_SE_NS0_5tupleIJPjSE_EEENSF_IJSE_SE_EEES9_SG_JZNS1_25segmented_radix_sort_implINS0_14default_configELb1EPK12hip_bfloat16PSL_PKlPlN2at6native12_GLOBAL__N_18offset_tEEE10hipError_tPvRmT1_PNSt15iterator_traitsISZ_E10value_typeET2_T3_PNS10_IS15_E10value_typeET4_jRbjT5_S1B_jjP12ihipStream_tbEUljE_EEESW_SX_SY_S15_S19_S1B_T6_T7_T9_mT8_S1D_bDpT10_ENKUlT_T0_E_clISt17integral_constantIbLb0EES1Q_EEDaS1L_S1M_EUlS1L_E_NS1_11comp_targetILNS1_3genE10ELNS1_11target_archE1200ELNS1_3gpuE4ELNS1_3repE0EEENS1_30default_config_static_selectorELNS0_4arch9wavefront6targetE0EEEvSZ_,"axG",@progbits,_ZN7rocprim17ROCPRIM_400000_NS6detail17trampoline_kernelINS0_13select_configILj256ELj13ELNS0_17block_load_methodE3ELS4_3ELS4_3ELNS0_20block_scan_algorithmE0ELj4294967295EEENS1_25partition_config_selectorILNS1_17partition_subalgoE3EjNS0_10empty_typeEbEEZZNS1_14partition_implILS8_3ELb0ES6_jNS0_17counting_iteratorIjlEEPS9_SE_NS0_5tupleIJPjSE_EEENSF_IJSE_SE_EEES9_SG_JZNS1_25segmented_radix_sort_implINS0_14default_configELb1EPK12hip_bfloat16PSL_PKlPlN2at6native12_GLOBAL__N_18offset_tEEE10hipError_tPvRmT1_PNSt15iterator_traitsISZ_E10value_typeET2_T3_PNS10_IS15_E10value_typeET4_jRbjT5_S1B_jjP12ihipStream_tbEUljE_EEESW_SX_SY_S15_S19_S1B_T6_T7_T9_mT8_S1D_bDpT10_ENKUlT_T0_E_clISt17integral_constantIbLb0EES1Q_EEDaS1L_S1M_EUlS1L_E_NS1_11comp_targetILNS1_3genE10ELNS1_11target_archE1200ELNS1_3gpuE4ELNS1_3repE0EEENS1_30default_config_static_selectorELNS0_4arch9wavefront6targetE0EEEvSZ_,comdat
	.globl	_ZN7rocprim17ROCPRIM_400000_NS6detail17trampoline_kernelINS0_13select_configILj256ELj13ELNS0_17block_load_methodE3ELS4_3ELS4_3ELNS0_20block_scan_algorithmE0ELj4294967295EEENS1_25partition_config_selectorILNS1_17partition_subalgoE3EjNS0_10empty_typeEbEEZZNS1_14partition_implILS8_3ELb0ES6_jNS0_17counting_iteratorIjlEEPS9_SE_NS0_5tupleIJPjSE_EEENSF_IJSE_SE_EEES9_SG_JZNS1_25segmented_radix_sort_implINS0_14default_configELb1EPK12hip_bfloat16PSL_PKlPlN2at6native12_GLOBAL__N_18offset_tEEE10hipError_tPvRmT1_PNSt15iterator_traitsISZ_E10value_typeET2_T3_PNS10_IS15_E10value_typeET4_jRbjT5_S1B_jjP12ihipStream_tbEUljE_EEESW_SX_SY_S15_S19_S1B_T6_T7_T9_mT8_S1D_bDpT10_ENKUlT_T0_E_clISt17integral_constantIbLb0EES1Q_EEDaS1L_S1M_EUlS1L_E_NS1_11comp_targetILNS1_3genE10ELNS1_11target_archE1200ELNS1_3gpuE4ELNS1_3repE0EEENS1_30default_config_static_selectorELNS0_4arch9wavefront6targetE0EEEvSZ_ ; -- Begin function _ZN7rocprim17ROCPRIM_400000_NS6detail17trampoline_kernelINS0_13select_configILj256ELj13ELNS0_17block_load_methodE3ELS4_3ELS4_3ELNS0_20block_scan_algorithmE0ELj4294967295EEENS1_25partition_config_selectorILNS1_17partition_subalgoE3EjNS0_10empty_typeEbEEZZNS1_14partition_implILS8_3ELb0ES6_jNS0_17counting_iteratorIjlEEPS9_SE_NS0_5tupleIJPjSE_EEENSF_IJSE_SE_EEES9_SG_JZNS1_25segmented_radix_sort_implINS0_14default_configELb1EPK12hip_bfloat16PSL_PKlPlN2at6native12_GLOBAL__N_18offset_tEEE10hipError_tPvRmT1_PNSt15iterator_traitsISZ_E10value_typeET2_T3_PNS10_IS15_E10value_typeET4_jRbjT5_S1B_jjP12ihipStream_tbEUljE_EEESW_SX_SY_S15_S19_S1B_T6_T7_T9_mT8_S1D_bDpT10_ENKUlT_T0_E_clISt17integral_constantIbLb0EES1Q_EEDaS1L_S1M_EUlS1L_E_NS1_11comp_targetILNS1_3genE10ELNS1_11target_archE1200ELNS1_3gpuE4ELNS1_3repE0EEENS1_30default_config_static_selectorELNS0_4arch9wavefront6targetE0EEEvSZ_
	.p2align	8
	.type	_ZN7rocprim17ROCPRIM_400000_NS6detail17trampoline_kernelINS0_13select_configILj256ELj13ELNS0_17block_load_methodE3ELS4_3ELS4_3ELNS0_20block_scan_algorithmE0ELj4294967295EEENS1_25partition_config_selectorILNS1_17partition_subalgoE3EjNS0_10empty_typeEbEEZZNS1_14partition_implILS8_3ELb0ES6_jNS0_17counting_iteratorIjlEEPS9_SE_NS0_5tupleIJPjSE_EEENSF_IJSE_SE_EEES9_SG_JZNS1_25segmented_radix_sort_implINS0_14default_configELb1EPK12hip_bfloat16PSL_PKlPlN2at6native12_GLOBAL__N_18offset_tEEE10hipError_tPvRmT1_PNSt15iterator_traitsISZ_E10value_typeET2_T3_PNS10_IS15_E10value_typeET4_jRbjT5_S1B_jjP12ihipStream_tbEUljE_EEESW_SX_SY_S15_S19_S1B_T6_T7_T9_mT8_S1D_bDpT10_ENKUlT_T0_E_clISt17integral_constantIbLb0EES1Q_EEDaS1L_S1M_EUlS1L_E_NS1_11comp_targetILNS1_3genE10ELNS1_11target_archE1200ELNS1_3gpuE4ELNS1_3repE0EEENS1_30default_config_static_selectorELNS0_4arch9wavefront6targetE0EEEvSZ_,@function
_ZN7rocprim17ROCPRIM_400000_NS6detail17trampoline_kernelINS0_13select_configILj256ELj13ELNS0_17block_load_methodE3ELS4_3ELS4_3ELNS0_20block_scan_algorithmE0ELj4294967295EEENS1_25partition_config_selectorILNS1_17partition_subalgoE3EjNS0_10empty_typeEbEEZZNS1_14partition_implILS8_3ELb0ES6_jNS0_17counting_iteratorIjlEEPS9_SE_NS0_5tupleIJPjSE_EEENSF_IJSE_SE_EEES9_SG_JZNS1_25segmented_radix_sort_implINS0_14default_configELb1EPK12hip_bfloat16PSL_PKlPlN2at6native12_GLOBAL__N_18offset_tEEE10hipError_tPvRmT1_PNSt15iterator_traitsISZ_E10value_typeET2_T3_PNS10_IS15_E10value_typeET4_jRbjT5_S1B_jjP12ihipStream_tbEUljE_EEESW_SX_SY_S15_S19_S1B_T6_T7_T9_mT8_S1D_bDpT10_ENKUlT_T0_E_clISt17integral_constantIbLb0EES1Q_EEDaS1L_S1M_EUlS1L_E_NS1_11comp_targetILNS1_3genE10ELNS1_11target_archE1200ELNS1_3gpuE4ELNS1_3repE0EEENS1_30default_config_static_selectorELNS0_4arch9wavefront6targetE0EEEvSZ_: ; @_ZN7rocprim17ROCPRIM_400000_NS6detail17trampoline_kernelINS0_13select_configILj256ELj13ELNS0_17block_load_methodE3ELS4_3ELS4_3ELNS0_20block_scan_algorithmE0ELj4294967295EEENS1_25partition_config_selectorILNS1_17partition_subalgoE3EjNS0_10empty_typeEbEEZZNS1_14partition_implILS8_3ELb0ES6_jNS0_17counting_iteratorIjlEEPS9_SE_NS0_5tupleIJPjSE_EEENSF_IJSE_SE_EEES9_SG_JZNS1_25segmented_radix_sort_implINS0_14default_configELb1EPK12hip_bfloat16PSL_PKlPlN2at6native12_GLOBAL__N_18offset_tEEE10hipError_tPvRmT1_PNSt15iterator_traitsISZ_E10value_typeET2_T3_PNS10_IS15_E10value_typeET4_jRbjT5_S1B_jjP12ihipStream_tbEUljE_EEESW_SX_SY_S15_S19_S1B_T6_T7_T9_mT8_S1D_bDpT10_ENKUlT_T0_E_clISt17integral_constantIbLb0EES1Q_EEDaS1L_S1M_EUlS1L_E_NS1_11comp_targetILNS1_3genE10ELNS1_11target_archE1200ELNS1_3gpuE4ELNS1_3repE0EEENS1_30default_config_static_selectorELNS0_4arch9wavefront6targetE0EEEvSZ_
; %bb.0:
	.section	.rodata,"a",@progbits
	.p2align	6, 0x0
	.amdhsa_kernel _ZN7rocprim17ROCPRIM_400000_NS6detail17trampoline_kernelINS0_13select_configILj256ELj13ELNS0_17block_load_methodE3ELS4_3ELS4_3ELNS0_20block_scan_algorithmE0ELj4294967295EEENS1_25partition_config_selectorILNS1_17partition_subalgoE3EjNS0_10empty_typeEbEEZZNS1_14partition_implILS8_3ELb0ES6_jNS0_17counting_iteratorIjlEEPS9_SE_NS0_5tupleIJPjSE_EEENSF_IJSE_SE_EEES9_SG_JZNS1_25segmented_radix_sort_implINS0_14default_configELb1EPK12hip_bfloat16PSL_PKlPlN2at6native12_GLOBAL__N_18offset_tEEE10hipError_tPvRmT1_PNSt15iterator_traitsISZ_E10value_typeET2_T3_PNS10_IS15_E10value_typeET4_jRbjT5_S1B_jjP12ihipStream_tbEUljE_EEESW_SX_SY_S15_S19_S1B_T6_T7_T9_mT8_S1D_bDpT10_ENKUlT_T0_E_clISt17integral_constantIbLb0EES1Q_EEDaS1L_S1M_EUlS1L_E_NS1_11comp_targetILNS1_3genE10ELNS1_11target_archE1200ELNS1_3gpuE4ELNS1_3repE0EEENS1_30default_config_static_selectorELNS0_4arch9wavefront6targetE0EEEvSZ_
		.amdhsa_group_segment_fixed_size 0
		.amdhsa_private_segment_fixed_size 0
		.amdhsa_kernarg_size 144
		.amdhsa_user_sgpr_count 2
		.amdhsa_user_sgpr_dispatch_ptr 0
		.amdhsa_user_sgpr_queue_ptr 0
		.amdhsa_user_sgpr_kernarg_segment_ptr 1
		.amdhsa_user_sgpr_dispatch_id 0
		.amdhsa_user_sgpr_kernarg_preload_length 0
		.amdhsa_user_sgpr_kernarg_preload_offset 0
		.amdhsa_user_sgpr_private_segment_size 0
		.amdhsa_wavefront_size32 1
		.amdhsa_uses_dynamic_stack 0
		.amdhsa_enable_private_segment 0
		.amdhsa_system_sgpr_workgroup_id_x 1
		.amdhsa_system_sgpr_workgroup_id_y 0
		.amdhsa_system_sgpr_workgroup_id_z 0
		.amdhsa_system_sgpr_workgroup_info 0
		.amdhsa_system_vgpr_workitem_id 0
		.amdhsa_next_free_vgpr 1
		.amdhsa_next_free_sgpr 1
		.amdhsa_named_barrier_count 0
		.amdhsa_reserve_vcc 0
		.amdhsa_float_round_mode_32 0
		.amdhsa_float_round_mode_16_64 0
		.amdhsa_float_denorm_mode_32 3
		.amdhsa_float_denorm_mode_16_64 3
		.amdhsa_fp16_overflow 0
		.amdhsa_memory_ordered 1
		.amdhsa_forward_progress 1
		.amdhsa_inst_pref_size 0
		.amdhsa_round_robin_scheduling 0
		.amdhsa_exception_fp_ieee_invalid_op 0
		.amdhsa_exception_fp_denorm_src 0
		.amdhsa_exception_fp_ieee_div_zero 0
		.amdhsa_exception_fp_ieee_overflow 0
		.amdhsa_exception_fp_ieee_underflow 0
		.amdhsa_exception_fp_ieee_inexact 0
		.amdhsa_exception_int_div_zero 0
	.end_amdhsa_kernel
	.section	.text._ZN7rocprim17ROCPRIM_400000_NS6detail17trampoline_kernelINS0_13select_configILj256ELj13ELNS0_17block_load_methodE3ELS4_3ELS4_3ELNS0_20block_scan_algorithmE0ELj4294967295EEENS1_25partition_config_selectorILNS1_17partition_subalgoE3EjNS0_10empty_typeEbEEZZNS1_14partition_implILS8_3ELb0ES6_jNS0_17counting_iteratorIjlEEPS9_SE_NS0_5tupleIJPjSE_EEENSF_IJSE_SE_EEES9_SG_JZNS1_25segmented_radix_sort_implINS0_14default_configELb1EPK12hip_bfloat16PSL_PKlPlN2at6native12_GLOBAL__N_18offset_tEEE10hipError_tPvRmT1_PNSt15iterator_traitsISZ_E10value_typeET2_T3_PNS10_IS15_E10value_typeET4_jRbjT5_S1B_jjP12ihipStream_tbEUljE_EEESW_SX_SY_S15_S19_S1B_T6_T7_T9_mT8_S1D_bDpT10_ENKUlT_T0_E_clISt17integral_constantIbLb0EES1Q_EEDaS1L_S1M_EUlS1L_E_NS1_11comp_targetILNS1_3genE10ELNS1_11target_archE1200ELNS1_3gpuE4ELNS1_3repE0EEENS1_30default_config_static_selectorELNS0_4arch9wavefront6targetE0EEEvSZ_,"axG",@progbits,_ZN7rocprim17ROCPRIM_400000_NS6detail17trampoline_kernelINS0_13select_configILj256ELj13ELNS0_17block_load_methodE3ELS4_3ELS4_3ELNS0_20block_scan_algorithmE0ELj4294967295EEENS1_25partition_config_selectorILNS1_17partition_subalgoE3EjNS0_10empty_typeEbEEZZNS1_14partition_implILS8_3ELb0ES6_jNS0_17counting_iteratorIjlEEPS9_SE_NS0_5tupleIJPjSE_EEENSF_IJSE_SE_EEES9_SG_JZNS1_25segmented_radix_sort_implINS0_14default_configELb1EPK12hip_bfloat16PSL_PKlPlN2at6native12_GLOBAL__N_18offset_tEEE10hipError_tPvRmT1_PNSt15iterator_traitsISZ_E10value_typeET2_T3_PNS10_IS15_E10value_typeET4_jRbjT5_S1B_jjP12ihipStream_tbEUljE_EEESW_SX_SY_S15_S19_S1B_T6_T7_T9_mT8_S1D_bDpT10_ENKUlT_T0_E_clISt17integral_constantIbLb0EES1Q_EEDaS1L_S1M_EUlS1L_E_NS1_11comp_targetILNS1_3genE10ELNS1_11target_archE1200ELNS1_3gpuE4ELNS1_3repE0EEENS1_30default_config_static_selectorELNS0_4arch9wavefront6targetE0EEEvSZ_,comdat
.Lfunc_end1909:
	.size	_ZN7rocprim17ROCPRIM_400000_NS6detail17trampoline_kernelINS0_13select_configILj256ELj13ELNS0_17block_load_methodE3ELS4_3ELS4_3ELNS0_20block_scan_algorithmE0ELj4294967295EEENS1_25partition_config_selectorILNS1_17partition_subalgoE3EjNS0_10empty_typeEbEEZZNS1_14partition_implILS8_3ELb0ES6_jNS0_17counting_iteratorIjlEEPS9_SE_NS0_5tupleIJPjSE_EEENSF_IJSE_SE_EEES9_SG_JZNS1_25segmented_radix_sort_implINS0_14default_configELb1EPK12hip_bfloat16PSL_PKlPlN2at6native12_GLOBAL__N_18offset_tEEE10hipError_tPvRmT1_PNSt15iterator_traitsISZ_E10value_typeET2_T3_PNS10_IS15_E10value_typeET4_jRbjT5_S1B_jjP12ihipStream_tbEUljE_EEESW_SX_SY_S15_S19_S1B_T6_T7_T9_mT8_S1D_bDpT10_ENKUlT_T0_E_clISt17integral_constantIbLb0EES1Q_EEDaS1L_S1M_EUlS1L_E_NS1_11comp_targetILNS1_3genE10ELNS1_11target_archE1200ELNS1_3gpuE4ELNS1_3repE0EEENS1_30default_config_static_selectorELNS0_4arch9wavefront6targetE0EEEvSZ_, .Lfunc_end1909-_ZN7rocprim17ROCPRIM_400000_NS6detail17trampoline_kernelINS0_13select_configILj256ELj13ELNS0_17block_load_methodE3ELS4_3ELS4_3ELNS0_20block_scan_algorithmE0ELj4294967295EEENS1_25partition_config_selectorILNS1_17partition_subalgoE3EjNS0_10empty_typeEbEEZZNS1_14partition_implILS8_3ELb0ES6_jNS0_17counting_iteratorIjlEEPS9_SE_NS0_5tupleIJPjSE_EEENSF_IJSE_SE_EEES9_SG_JZNS1_25segmented_radix_sort_implINS0_14default_configELb1EPK12hip_bfloat16PSL_PKlPlN2at6native12_GLOBAL__N_18offset_tEEE10hipError_tPvRmT1_PNSt15iterator_traitsISZ_E10value_typeET2_T3_PNS10_IS15_E10value_typeET4_jRbjT5_S1B_jjP12ihipStream_tbEUljE_EEESW_SX_SY_S15_S19_S1B_T6_T7_T9_mT8_S1D_bDpT10_ENKUlT_T0_E_clISt17integral_constantIbLb0EES1Q_EEDaS1L_S1M_EUlS1L_E_NS1_11comp_targetILNS1_3genE10ELNS1_11target_archE1200ELNS1_3gpuE4ELNS1_3repE0EEENS1_30default_config_static_selectorELNS0_4arch9wavefront6targetE0EEEvSZ_
                                        ; -- End function
	.set _ZN7rocprim17ROCPRIM_400000_NS6detail17trampoline_kernelINS0_13select_configILj256ELj13ELNS0_17block_load_methodE3ELS4_3ELS4_3ELNS0_20block_scan_algorithmE0ELj4294967295EEENS1_25partition_config_selectorILNS1_17partition_subalgoE3EjNS0_10empty_typeEbEEZZNS1_14partition_implILS8_3ELb0ES6_jNS0_17counting_iteratorIjlEEPS9_SE_NS0_5tupleIJPjSE_EEENSF_IJSE_SE_EEES9_SG_JZNS1_25segmented_radix_sort_implINS0_14default_configELb1EPK12hip_bfloat16PSL_PKlPlN2at6native12_GLOBAL__N_18offset_tEEE10hipError_tPvRmT1_PNSt15iterator_traitsISZ_E10value_typeET2_T3_PNS10_IS15_E10value_typeET4_jRbjT5_S1B_jjP12ihipStream_tbEUljE_EEESW_SX_SY_S15_S19_S1B_T6_T7_T9_mT8_S1D_bDpT10_ENKUlT_T0_E_clISt17integral_constantIbLb0EES1Q_EEDaS1L_S1M_EUlS1L_E_NS1_11comp_targetILNS1_3genE10ELNS1_11target_archE1200ELNS1_3gpuE4ELNS1_3repE0EEENS1_30default_config_static_selectorELNS0_4arch9wavefront6targetE0EEEvSZ_.num_vgpr, 0
	.set _ZN7rocprim17ROCPRIM_400000_NS6detail17trampoline_kernelINS0_13select_configILj256ELj13ELNS0_17block_load_methodE3ELS4_3ELS4_3ELNS0_20block_scan_algorithmE0ELj4294967295EEENS1_25partition_config_selectorILNS1_17partition_subalgoE3EjNS0_10empty_typeEbEEZZNS1_14partition_implILS8_3ELb0ES6_jNS0_17counting_iteratorIjlEEPS9_SE_NS0_5tupleIJPjSE_EEENSF_IJSE_SE_EEES9_SG_JZNS1_25segmented_radix_sort_implINS0_14default_configELb1EPK12hip_bfloat16PSL_PKlPlN2at6native12_GLOBAL__N_18offset_tEEE10hipError_tPvRmT1_PNSt15iterator_traitsISZ_E10value_typeET2_T3_PNS10_IS15_E10value_typeET4_jRbjT5_S1B_jjP12ihipStream_tbEUljE_EEESW_SX_SY_S15_S19_S1B_T6_T7_T9_mT8_S1D_bDpT10_ENKUlT_T0_E_clISt17integral_constantIbLb0EES1Q_EEDaS1L_S1M_EUlS1L_E_NS1_11comp_targetILNS1_3genE10ELNS1_11target_archE1200ELNS1_3gpuE4ELNS1_3repE0EEENS1_30default_config_static_selectorELNS0_4arch9wavefront6targetE0EEEvSZ_.num_agpr, 0
	.set _ZN7rocprim17ROCPRIM_400000_NS6detail17trampoline_kernelINS0_13select_configILj256ELj13ELNS0_17block_load_methodE3ELS4_3ELS4_3ELNS0_20block_scan_algorithmE0ELj4294967295EEENS1_25partition_config_selectorILNS1_17partition_subalgoE3EjNS0_10empty_typeEbEEZZNS1_14partition_implILS8_3ELb0ES6_jNS0_17counting_iteratorIjlEEPS9_SE_NS0_5tupleIJPjSE_EEENSF_IJSE_SE_EEES9_SG_JZNS1_25segmented_radix_sort_implINS0_14default_configELb1EPK12hip_bfloat16PSL_PKlPlN2at6native12_GLOBAL__N_18offset_tEEE10hipError_tPvRmT1_PNSt15iterator_traitsISZ_E10value_typeET2_T3_PNS10_IS15_E10value_typeET4_jRbjT5_S1B_jjP12ihipStream_tbEUljE_EEESW_SX_SY_S15_S19_S1B_T6_T7_T9_mT8_S1D_bDpT10_ENKUlT_T0_E_clISt17integral_constantIbLb0EES1Q_EEDaS1L_S1M_EUlS1L_E_NS1_11comp_targetILNS1_3genE10ELNS1_11target_archE1200ELNS1_3gpuE4ELNS1_3repE0EEENS1_30default_config_static_selectorELNS0_4arch9wavefront6targetE0EEEvSZ_.numbered_sgpr, 0
	.set _ZN7rocprim17ROCPRIM_400000_NS6detail17trampoline_kernelINS0_13select_configILj256ELj13ELNS0_17block_load_methodE3ELS4_3ELS4_3ELNS0_20block_scan_algorithmE0ELj4294967295EEENS1_25partition_config_selectorILNS1_17partition_subalgoE3EjNS0_10empty_typeEbEEZZNS1_14partition_implILS8_3ELb0ES6_jNS0_17counting_iteratorIjlEEPS9_SE_NS0_5tupleIJPjSE_EEENSF_IJSE_SE_EEES9_SG_JZNS1_25segmented_radix_sort_implINS0_14default_configELb1EPK12hip_bfloat16PSL_PKlPlN2at6native12_GLOBAL__N_18offset_tEEE10hipError_tPvRmT1_PNSt15iterator_traitsISZ_E10value_typeET2_T3_PNS10_IS15_E10value_typeET4_jRbjT5_S1B_jjP12ihipStream_tbEUljE_EEESW_SX_SY_S15_S19_S1B_T6_T7_T9_mT8_S1D_bDpT10_ENKUlT_T0_E_clISt17integral_constantIbLb0EES1Q_EEDaS1L_S1M_EUlS1L_E_NS1_11comp_targetILNS1_3genE10ELNS1_11target_archE1200ELNS1_3gpuE4ELNS1_3repE0EEENS1_30default_config_static_selectorELNS0_4arch9wavefront6targetE0EEEvSZ_.num_named_barrier, 0
	.set _ZN7rocprim17ROCPRIM_400000_NS6detail17trampoline_kernelINS0_13select_configILj256ELj13ELNS0_17block_load_methodE3ELS4_3ELS4_3ELNS0_20block_scan_algorithmE0ELj4294967295EEENS1_25partition_config_selectorILNS1_17partition_subalgoE3EjNS0_10empty_typeEbEEZZNS1_14partition_implILS8_3ELb0ES6_jNS0_17counting_iteratorIjlEEPS9_SE_NS0_5tupleIJPjSE_EEENSF_IJSE_SE_EEES9_SG_JZNS1_25segmented_radix_sort_implINS0_14default_configELb1EPK12hip_bfloat16PSL_PKlPlN2at6native12_GLOBAL__N_18offset_tEEE10hipError_tPvRmT1_PNSt15iterator_traitsISZ_E10value_typeET2_T3_PNS10_IS15_E10value_typeET4_jRbjT5_S1B_jjP12ihipStream_tbEUljE_EEESW_SX_SY_S15_S19_S1B_T6_T7_T9_mT8_S1D_bDpT10_ENKUlT_T0_E_clISt17integral_constantIbLb0EES1Q_EEDaS1L_S1M_EUlS1L_E_NS1_11comp_targetILNS1_3genE10ELNS1_11target_archE1200ELNS1_3gpuE4ELNS1_3repE0EEENS1_30default_config_static_selectorELNS0_4arch9wavefront6targetE0EEEvSZ_.private_seg_size, 0
	.set _ZN7rocprim17ROCPRIM_400000_NS6detail17trampoline_kernelINS0_13select_configILj256ELj13ELNS0_17block_load_methodE3ELS4_3ELS4_3ELNS0_20block_scan_algorithmE0ELj4294967295EEENS1_25partition_config_selectorILNS1_17partition_subalgoE3EjNS0_10empty_typeEbEEZZNS1_14partition_implILS8_3ELb0ES6_jNS0_17counting_iteratorIjlEEPS9_SE_NS0_5tupleIJPjSE_EEENSF_IJSE_SE_EEES9_SG_JZNS1_25segmented_radix_sort_implINS0_14default_configELb1EPK12hip_bfloat16PSL_PKlPlN2at6native12_GLOBAL__N_18offset_tEEE10hipError_tPvRmT1_PNSt15iterator_traitsISZ_E10value_typeET2_T3_PNS10_IS15_E10value_typeET4_jRbjT5_S1B_jjP12ihipStream_tbEUljE_EEESW_SX_SY_S15_S19_S1B_T6_T7_T9_mT8_S1D_bDpT10_ENKUlT_T0_E_clISt17integral_constantIbLb0EES1Q_EEDaS1L_S1M_EUlS1L_E_NS1_11comp_targetILNS1_3genE10ELNS1_11target_archE1200ELNS1_3gpuE4ELNS1_3repE0EEENS1_30default_config_static_selectorELNS0_4arch9wavefront6targetE0EEEvSZ_.uses_vcc, 0
	.set _ZN7rocprim17ROCPRIM_400000_NS6detail17trampoline_kernelINS0_13select_configILj256ELj13ELNS0_17block_load_methodE3ELS4_3ELS4_3ELNS0_20block_scan_algorithmE0ELj4294967295EEENS1_25partition_config_selectorILNS1_17partition_subalgoE3EjNS0_10empty_typeEbEEZZNS1_14partition_implILS8_3ELb0ES6_jNS0_17counting_iteratorIjlEEPS9_SE_NS0_5tupleIJPjSE_EEENSF_IJSE_SE_EEES9_SG_JZNS1_25segmented_radix_sort_implINS0_14default_configELb1EPK12hip_bfloat16PSL_PKlPlN2at6native12_GLOBAL__N_18offset_tEEE10hipError_tPvRmT1_PNSt15iterator_traitsISZ_E10value_typeET2_T3_PNS10_IS15_E10value_typeET4_jRbjT5_S1B_jjP12ihipStream_tbEUljE_EEESW_SX_SY_S15_S19_S1B_T6_T7_T9_mT8_S1D_bDpT10_ENKUlT_T0_E_clISt17integral_constantIbLb0EES1Q_EEDaS1L_S1M_EUlS1L_E_NS1_11comp_targetILNS1_3genE10ELNS1_11target_archE1200ELNS1_3gpuE4ELNS1_3repE0EEENS1_30default_config_static_selectorELNS0_4arch9wavefront6targetE0EEEvSZ_.uses_flat_scratch, 0
	.set _ZN7rocprim17ROCPRIM_400000_NS6detail17trampoline_kernelINS0_13select_configILj256ELj13ELNS0_17block_load_methodE3ELS4_3ELS4_3ELNS0_20block_scan_algorithmE0ELj4294967295EEENS1_25partition_config_selectorILNS1_17partition_subalgoE3EjNS0_10empty_typeEbEEZZNS1_14partition_implILS8_3ELb0ES6_jNS0_17counting_iteratorIjlEEPS9_SE_NS0_5tupleIJPjSE_EEENSF_IJSE_SE_EEES9_SG_JZNS1_25segmented_radix_sort_implINS0_14default_configELb1EPK12hip_bfloat16PSL_PKlPlN2at6native12_GLOBAL__N_18offset_tEEE10hipError_tPvRmT1_PNSt15iterator_traitsISZ_E10value_typeET2_T3_PNS10_IS15_E10value_typeET4_jRbjT5_S1B_jjP12ihipStream_tbEUljE_EEESW_SX_SY_S15_S19_S1B_T6_T7_T9_mT8_S1D_bDpT10_ENKUlT_T0_E_clISt17integral_constantIbLb0EES1Q_EEDaS1L_S1M_EUlS1L_E_NS1_11comp_targetILNS1_3genE10ELNS1_11target_archE1200ELNS1_3gpuE4ELNS1_3repE0EEENS1_30default_config_static_selectorELNS0_4arch9wavefront6targetE0EEEvSZ_.has_dyn_sized_stack, 0
	.set _ZN7rocprim17ROCPRIM_400000_NS6detail17trampoline_kernelINS0_13select_configILj256ELj13ELNS0_17block_load_methodE3ELS4_3ELS4_3ELNS0_20block_scan_algorithmE0ELj4294967295EEENS1_25partition_config_selectorILNS1_17partition_subalgoE3EjNS0_10empty_typeEbEEZZNS1_14partition_implILS8_3ELb0ES6_jNS0_17counting_iteratorIjlEEPS9_SE_NS0_5tupleIJPjSE_EEENSF_IJSE_SE_EEES9_SG_JZNS1_25segmented_radix_sort_implINS0_14default_configELb1EPK12hip_bfloat16PSL_PKlPlN2at6native12_GLOBAL__N_18offset_tEEE10hipError_tPvRmT1_PNSt15iterator_traitsISZ_E10value_typeET2_T3_PNS10_IS15_E10value_typeET4_jRbjT5_S1B_jjP12ihipStream_tbEUljE_EEESW_SX_SY_S15_S19_S1B_T6_T7_T9_mT8_S1D_bDpT10_ENKUlT_T0_E_clISt17integral_constantIbLb0EES1Q_EEDaS1L_S1M_EUlS1L_E_NS1_11comp_targetILNS1_3genE10ELNS1_11target_archE1200ELNS1_3gpuE4ELNS1_3repE0EEENS1_30default_config_static_selectorELNS0_4arch9wavefront6targetE0EEEvSZ_.has_recursion, 0
	.set _ZN7rocprim17ROCPRIM_400000_NS6detail17trampoline_kernelINS0_13select_configILj256ELj13ELNS0_17block_load_methodE3ELS4_3ELS4_3ELNS0_20block_scan_algorithmE0ELj4294967295EEENS1_25partition_config_selectorILNS1_17partition_subalgoE3EjNS0_10empty_typeEbEEZZNS1_14partition_implILS8_3ELb0ES6_jNS0_17counting_iteratorIjlEEPS9_SE_NS0_5tupleIJPjSE_EEENSF_IJSE_SE_EEES9_SG_JZNS1_25segmented_radix_sort_implINS0_14default_configELb1EPK12hip_bfloat16PSL_PKlPlN2at6native12_GLOBAL__N_18offset_tEEE10hipError_tPvRmT1_PNSt15iterator_traitsISZ_E10value_typeET2_T3_PNS10_IS15_E10value_typeET4_jRbjT5_S1B_jjP12ihipStream_tbEUljE_EEESW_SX_SY_S15_S19_S1B_T6_T7_T9_mT8_S1D_bDpT10_ENKUlT_T0_E_clISt17integral_constantIbLb0EES1Q_EEDaS1L_S1M_EUlS1L_E_NS1_11comp_targetILNS1_3genE10ELNS1_11target_archE1200ELNS1_3gpuE4ELNS1_3repE0EEENS1_30default_config_static_selectorELNS0_4arch9wavefront6targetE0EEEvSZ_.has_indirect_call, 0
	.section	.AMDGPU.csdata,"",@progbits
; Kernel info:
; codeLenInByte = 0
; TotalNumSgprs: 0
; NumVgprs: 0
; ScratchSize: 0
; MemoryBound: 0
; FloatMode: 240
; IeeeMode: 1
; LDSByteSize: 0 bytes/workgroup (compile time only)
; SGPRBlocks: 0
; VGPRBlocks: 0
; NumSGPRsForWavesPerEU: 1
; NumVGPRsForWavesPerEU: 1
; NamedBarCnt: 0
; Occupancy: 16
; WaveLimiterHint : 0
; COMPUTE_PGM_RSRC2:SCRATCH_EN: 0
; COMPUTE_PGM_RSRC2:USER_SGPR: 2
; COMPUTE_PGM_RSRC2:TRAP_HANDLER: 0
; COMPUTE_PGM_RSRC2:TGID_X_EN: 1
; COMPUTE_PGM_RSRC2:TGID_Y_EN: 0
; COMPUTE_PGM_RSRC2:TGID_Z_EN: 0
; COMPUTE_PGM_RSRC2:TIDIG_COMP_CNT: 0
	.section	.text._ZN7rocprim17ROCPRIM_400000_NS6detail17trampoline_kernelINS0_13select_configILj256ELj13ELNS0_17block_load_methodE3ELS4_3ELS4_3ELNS0_20block_scan_algorithmE0ELj4294967295EEENS1_25partition_config_selectorILNS1_17partition_subalgoE3EjNS0_10empty_typeEbEEZZNS1_14partition_implILS8_3ELb0ES6_jNS0_17counting_iteratorIjlEEPS9_SE_NS0_5tupleIJPjSE_EEENSF_IJSE_SE_EEES9_SG_JZNS1_25segmented_radix_sort_implINS0_14default_configELb1EPK12hip_bfloat16PSL_PKlPlN2at6native12_GLOBAL__N_18offset_tEEE10hipError_tPvRmT1_PNSt15iterator_traitsISZ_E10value_typeET2_T3_PNS10_IS15_E10value_typeET4_jRbjT5_S1B_jjP12ihipStream_tbEUljE_EEESW_SX_SY_S15_S19_S1B_T6_T7_T9_mT8_S1D_bDpT10_ENKUlT_T0_E_clISt17integral_constantIbLb0EES1Q_EEDaS1L_S1M_EUlS1L_E_NS1_11comp_targetILNS1_3genE9ELNS1_11target_archE1100ELNS1_3gpuE3ELNS1_3repE0EEENS1_30default_config_static_selectorELNS0_4arch9wavefront6targetE0EEEvSZ_,"axG",@progbits,_ZN7rocprim17ROCPRIM_400000_NS6detail17trampoline_kernelINS0_13select_configILj256ELj13ELNS0_17block_load_methodE3ELS4_3ELS4_3ELNS0_20block_scan_algorithmE0ELj4294967295EEENS1_25partition_config_selectorILNS1_17partition_subalgoE3EjNS0_10empty_typeEbEEZZNS1_14partition_implILS8_3ELb0ES6_jNS0_17counting_iteratorIjlEEPS9_SE_NS0_5tupleIJPjSE_EEENSF_IJSE_SE_EEES9_SG_JZNS1_25segmented_radix_sort_implINS0_14default_configELb1EPK12hip_bfloat16PSL_PKlPlN2at6native12_GLOBAL__N_18offset_tEEE10hipError_tPvRmT1_PNSt15iterator_traitsISZ_E10value_typeET2_T3_PNS10_IS15_E10value_typeET4_jRbjT5_S1B_jjP12ihipStream_tbEUljE_EEESW_SX_SY_S15_S19_S1B_T6_T7_T9_mT8_S1D_bDpT10_ENKUlT_T0_E_clISt17integral_constantIbLb0EES1Q_EEDaS1L_S1M_EUlS1L_E_NS1_11comp_targetILNS1_3genE9ELNS1_11target_archE1100ELNS1_3gpuE3ELNS1_3repE0EEENS1_30default_config_static_selectorELNS0_4arch9wavefront6targetE0EEEvSZ_,comdat
	.globl	_ZN7rocprim17ROCPRIM_400000_NS6detail17trampoline_kernelINS0_13select_configILj256ELj13ELNS0_17block_load_methodE3ELS4_3ELS4_3ELNS0_20block_scan_algorithmE0ELj4294967295EEENS1_25partition_config_selectorILNS1_17partition_subalgoE3EjNS0_10empty_typeEbEEZZNS1_14partition_implILS8_3ELb0ES6_jNS0_17counting_iteratorIjlEEPS9_SE_NS0_5tupleIJPjSE_EEENSF_IJSE_SE_EEES9_SG_JZNS1_25segmented_radix_sort_implINS0_14default_configELb1EPK12hip_bfloat16PSL_PKlPlN2at6native12_GLOBAL__N_18offset_tEEE10hipError_tPvRmT1_PNSt15iterator_traitsISZ_E10value_typeET2_T3_PNS10_IS15_E10value_typeET4_jRbjT5_S1B_jjP12ihipStream_tbEUljE_EEESW_SX_SY_S15_S19_S1B_T6_T7_T9_mT8_S1D_bDpT10_ENKUlT_T0_E_clISt17integral_constantIbLb0EES1Q_EEDaS1L_S1M_EUlS1L_E_NS1_11comp_targetILNS1_3genE9ELNS1_11target_archE1100ELNS1_3gpuE3ELNS1_3repE0EEENS1_30default_config_static_selectorELNS0_4arch9wavefront6targetE0EEEvSZ_ ; -- Begin function _ZN7rocprim17ROCPRIM_400000_NS6detail17trampoline_kernelINS0_13select_configILj256ELj13ELNS0_17block_load_methodE3ELS4_3ELS4_3ELNS0_20block_scan_algorithmE0ELj4294967295EEENS1_25partition_config_selectorILNS1_17partition_subalgoE3EjNS0_10empty_typeEbEEZZNS1_14partition_implILS8_3ELb0ES6_jNS0_17counting_iteratorIjlEEPS9_SE_NS0_5tupleIJPjSE_EEENSF_IJSE_SE_EEES9_SG_JZNS1_25segmented_radix_sort_implINS0_14default_configELb1EPK12hip_bfloat16PSL_PKlPlN2at6native12_GLOBAL__N_18offset_tEEE10hipError_tPvRmT1_PNSt15iterator_traitsISZ_E10value_typeET2_T3_PNS10_IS15_E10value_typeET4_jRbjT5_S1B_jjP12ihipStream_tbEUljE_EEESW_SX_SY_S15_S19_S1B_T6_T7_T9_mT8_S1D_bDpT10_ENKUlT_T0_E_clISt17integral_constantIbLb0EES1Q_EEDaS1L_S1M_EUlS1L_E_NS1_11comp_targetILNS1_3genE9ELNS1_11target_archE1100ELNS1_3gpuE3ELNS1_3repE0EEENS1_30default_config_static_selectorELNS0_4arch9wavefront6targetE0EEEvSZ_
	.p2align	8
	.type	_ZN7rocprim17ROCPRIM_400000_NS6detail17trampoline_kernelINS0_13select_configILj256ELj13ELNS0_17block_load_methodE3ELS4_3ELS4_3ELNS0_20block_scan_algorithmE0ELj4294967295EEENS1_25partition_config_selectorILNS1_17partition_subalgoE3EjNS0_10empty_typeEbEEZZNS1_14partition_implILS8_3ELb0ES6_jNS0_17counting_iteratorIjlEEPS9_SE_NS0_5tupleIJPjSE_EEENSF_IJSE_SE_EEES9_SG_JZNS1_25segmented_radix_sort_implINS0_14default_configELb1EPK12hip_bfloat16PSL_PKlPlN2at6native12_GLOBAL__N_18offset_tEEE10hipError_tPvRmT1_PNSt15iterator_traitsISZ_E10value_typeET2_T3_PNS10_IS15_E10value_typeET4_jRbjT5_S1B_jjP12ihipStream_tbEUljE_EEESW_SX_SY_S15_S19_S1B_T6_T7_T9_mT8_S1D_bDpT10_ENKUlT_T0_E_clISt17integral_constantIbLb0EES1Q_EEDaS1L_S1M_EUlS1L_E_NS1_11comp_targetILNS1_3genE9ELNS1_11target_archE1100ELNS1_3gpuE3ELNS1_3repE0EEENS1_30default_config_static_selectorELNS0_4arch9wavefront6targetE0EEEvSZ_,@function
_ZN7rocprim17ROCPRIM_400000_NS6detail17trampoline_kernelINS0_13select_configILj256ELj13ELNS0_17block_load_methodE3ELS4_3ELS4_3ELNS0_20block_scan_algorithmE0ELj4294967295EEENS1_25partition_config_selectorILNS1_17partition_subalgoE3EjNS0_10empty_typeEbEEZZNS1_14partition_implILS8_3ELb0ES6_jNS0_17counting_iteratorIjlEEPS9_SE_NS0_5tupleIJPjSE_EEENSF_IJSE_SE_EEES9_SG_JZNS1_25segmented_radix_sort_implINS0_14default_configELb1EPK12hip_bfloat16PSL_PKlPlN2at6native12_GLOBAL__N_18offset_tEEE10hipError_tPvRmT1_PNSt15iterator_traitsISZ_E10value_typeET2_T3_PNS10_IS15_E10value_typeET4_jRbjT5_S1B_jjP12ihipStream_tbEUljE_EEESW_SX_SY_S15_S19_S1B_T6_T7_T9_mT8_S1D_bDpT10_ENKUlT_T0_E_clISt17integral_constantIbLb0EES1Q_EEDaS1L_S1M_EUlS1L_E_NS1_11comp_targetILNS1_3genE9ELNS1_11target_archE1100ELNS1_3gpuE3ELNS1_3repE0EEENS1_30default_config_static_selectorELNS0_4arch9wavefront6targetE0EEEvSZ_: ; @_ZN7rocprim17ROCPRIM_400000_NS6detail17trampoline_kernelINS0_13select_configILj256ELj13ELNS0_17block_load_methodE3ELS4_3ELS4_3ELNS0_20block_scan_algorithmE0ELj4294967295EEENS1_25partition_config_selectorILNS1_17partition_subalgoE3EjNS0_10empty_typeEbEEZZNS1_14partition_implILS8_3ELb0ES6_jNS0_17counting_iteratorIjlEEPS9_SE_NS0_5tupleIJPjSE_EEENSF_IJSE_SE_EEES9_SG_JZNS1_25segmented_radix_sort_implINS0_14default_configELb1EPK12hip_bfloat16PSL_PKlPlN2at6native12_GLOBAL__N_18offset_tEEE10hipError_tPvRmT1_PNSt15iterator_traitsISZ_E10value_typeET2_T3_PNS10_IS15_E10value_typeET4_jRbjT5_S1B_jjP12ihipStream_tbEUljE_EEESW_SX_SY_S15_S19_S1B_T6_T7_T9_mT8_S1D_bDpT10_ENKUlT_T0_E_clISt17integral_constantIbLb0EES1Q_EEDaS1L_S1M_EUlS1L_E_NS1_11comp_targetILNS1_3genE9ELNS1_11target_archE1100ELNS1_3gpuE3ELNS1_3repE0EEENS1_30default_config_static_selectorELNS0_4arch9wavefront6targetE0EEEvSZ_
; %bb.0:
	.section	.rodata,"a",@progbits
	.p2align	6, 0x0
	.amdhsa_kernel _ZN7rocprim17ROCPRIM_400000_NS6detail17trampoline_kernelINS0_13select_configILj256ELj13ELNS0_17block_load_methodE3ELS4_3ELS4_3ELNS0_20block_scan_algorithmE0ELj4294967295EEENS1_25partition_config_selectorILNS1_17partition_subalgoE3EjNS0_10empty_typeEbEEZZNS1_14partition_implILS8_3ELb0ES6_jNS0_17counting_iteratorIjlEEPS9_SE_NS0_5tupleIJPjSE_EEENSF_IJSE_SE_EEES9_SG_JZNS1_25segmented_radix_sort_implINS0_14default_configELb1EPK12hip_bfloat16PSL_PKlPlN2at6native12_GLOBAL__N_18offset_tEEE10hipError_tPvRmT1_PNSt15iterator_traitsISZ_E10value_typeET2_T3_PNS10_IS15_E10value_typeET4_jRbjT5_S1B_jjP12ihipStream_tbEUljE_EEESW_SX_SY_S15_S19_S1B_T6_T7_T9_mT8_S1D_bDpT10_ENKUlT_T0_E_clISt17integral_constantIbLb0EES1Q_EEDaS1L_S1M_EUlS1L_E_NS1_11comp_targetILNS1_3genE9ELNS1_11target_archE1100ELNS1_3gpuE3ELNS1_3repE0EEENS1_30default_config_static_selectorELNS0_4arch9wavefront6targetE0EEEvSZ_
		.amdhsa_group_segment_fixed_size 0
		.amdhsa_private_segment_fixed_size 0
		.amdhsa_kernarg_size 144
		.amdhsa_user_sgpr_count 2
		.amdhsa_user_sgpr_dispatch_ptr 0
		.amdhsa_user_sgpr_queue_ptr 0
		.amdhsa_user_sgpr_kernarg_segment_ptr 1
		.amdhsa_user_sgpr_dispatch_id 0
		.amdhsa_user_sgpr_kernarg_preload_length 0
		.amdhsa_user_sgpr_kernarg_preload_offset 0
		.amdhsa_user_sgpr_private_segment_size 0
		.amdhsa_wavefront_size32 1
		.amdhsa_uses_dynamic_stack 0
		.amdhsa_enable_private_segment 0
		.amdhsa_system_sgpr_workgroup_id_x 1
		.amdhsa_system_sgpr_workgroup_id_y 0
		.amdhsa_system_sgpr_workgroup_id_z 0
		.amdhsa_system_sgpr_workgroup_info 0
		.amdhsa_system_vgpr_workitem_id 0
		.amdhsa_next_free_vgpr 1
		.amdhsa_next_free_sgpr 1
		.amdhsa_named_barrier_count 0
		.amdhsa_reserve_vcc 0
		.amdhsa_float_round_mode_32 0
		.amdhsa_float_round_mode_16_64 0
		.amdhsa_float_denorm_mode_32 3
		.amdhsa_float_denorm_mode_16_64 3
		.amdhsa_fp16_overflow 0
		.amdhsa_memory_ordered 1
		.amdhsa_forward_progress 1
		.amdhsa_inst_pref_size 0
		.amdhsa_round_robin_scheduling 0
		.amdhsa_exception_fp_ieee_invalid_op 0
		.amdhsa_exception_fp_denorm_src 0
		.amdhsa_exception_fp_ieee_div_zero 0
		.amdhsa_exception_fp_ieee_overflow 0
		.amdhsa_exception_fp_ieee_underflow 0
		.amdhsa_exception_fp_ieee_inexact 0
		.amdhsa_exception_int_div_zero 0
	.end_amdhsa_kernel
	.section	.text._ZN7rocprim17ROCPRIM_400000_NS6detail17trampoline_kernelINS0_13select_configILj256ELj13ELNS0_17block_load_methodE3ELS4_3ELS4_3ELNS0_20block_scan_algorithmE0ELj4294967295EEENS1_25partition_config_selectorILNS1_17partition_subalgoE3EjNS0_10empty_typeEbEEZZNS1_14partition_implILS8_3ELb0ES6_jNS0_17counting_iteratorIjlEEPS9_SE_NS0_5tupleIJPjSE_EEENSF_IJSE_SE_EEES9_SG_JZNS1_25segmented_radix_sort_implINS0_14default_configELb1EPK12hip_bfloat16PSL_PKlPlN2at6native12_GLOBAL__N_18offset_tEEE10hipError_tPvRmT1_PNSt15iterator_traitsISZ_E10value_typeET2_T3_PNS10_IS15_E10value_typeET4_jRbjT5_S1B_jjP12ihipStream_tbEUljE_EEESW_SX_SY_S15_S19_S1B_T6_T7_T9_mT8_S1D_bDpT10_ENKUlT_T0_E_clISt17integral_constantIbLb0EES1Q_EEDaS1L_S1M_EUlS1L_E_NS1_11comp_targetILNS1_3genE9ELNS1_11target_archE1100ELNS1_3gpuE3ELNS1_3repE0EEENS1_30default_config_static_selectorELNS0_4arch9wavefront6targetE0EEEvSZ_,"axG",@progbits,_ZN7rocprim17ROCPRIM_400000_NS6detail17trampoline_kernelINS0_13select_configILj256ELj13ELNS0_17block_load_methodE3ELS4_3ELS4_3ELNS0_20block_scan_algorithmE0ELj4294967295EEENS1_25partition_config_selectorILNS1_17partition_subalgoE3EjNS0_10empty_typeEbEEZZNS1_14partition_implILS8_3ELb0ES6_jNS0_17counting_iteratorIjlEEPS9_SE_NS0_5tupleIJPjSE_EEENSF_IJSE_SE_EEES9_SG_JZNS1_25segmented_radix_sort_implINS0_14default_configELb1EPK12hip_bfloat16PSL_PKlPlN2at6native12_GLOBAL__N_18offset_tEEE10hipError_tPvRmT1_PNSt15iterator_traitsISZ_E10value_typeET2_T3_PNS10_IS15_E10value_typeET4_jRbjT5_S1B_jjP12ihipStream_tbEUljE_EEESW_SX_SY_S15_S19_S1B_T6_T7_T9_mT8_S1D_bDpT10_ENKUlT_T0_E_clISt17integral_constantIbLb0EES1Q_EEDaS1L_S1M_EUlS1L_E_NS1_11comp_targetILNS1_3genE9ELNS1_11target_archE1100ELNS1_3gpuE3ELNS1_3repE0EEENS1_30default_config_static_selectorELNS0_4arch9wavefront6targetE0EEEvSZ_,comdat
.Lfunc_end1910:
	.size	_ZN7rocprim17ROCPRIM_400000_NS6detail17trampoline_kernelINS0_13select_configILj256ELj13ELNS0_17block_load_methodE3ELS4_3ELS4_3ELNS0_20block_scan_algorithmE0ELj4294967295EEENS1_25partition_config_selectorILNS1_17partition_subalgoE3EjNS0_10empty_typeEbEEZZNS1_14partition_implILS8_3ELb0ES6_jNS0_17counting_iteratorIjlEEPS9_SE_NS0_5tupleIJPjSE_EEENSF_IJSE_SE_EEES9_SG_JZNS1_25segmented_radix_sort_implINS0_14default_configELb1EPK12hip_bfloat16PSL_PKlPlN2at6native12_GLOBAL__N_18offset_tEEE10hipError_tPvRmT1_PNSt15iterator_traitsISZ_E10value_typeET2_T3_PNS10_IS15_E10value_typeET4_jRbjT5_S1B_jjP12ihipStream_tbEUljE_EEESW_SX_SY_S15_S19_S1B_T6_T7_T9_mT8_S1D_bDpT10_ENKUlT_T0_E_clISt17integral_constantIbLb0EES1Q_EEDaS1L_S1M_EUlS1L_E_NS1_11comp_targetILNS1_3genE9ELNS1_11target_archE1100ELNS1_3gpuE3ELNS1_3repE0EEENS1_30default_config_static_selectorELNS0_4arch9wavefront6targetE0EEEvSZ_, .Lfunc_end1910-_ZN7rocprim17ROCPRIM_400000_NS6detail17trampoline_kernelINS0_13select_configILj256ELj13ELNS0_17block_load_methodE3ELS4_3ELS4_3ELNS0_20block_scan_algorithmE0ELj4294967295EEENS1_25partition_config_selectorILNS1_17partition_subalgoE3EjNS0_10empty_typeEbEEZZNS1_14partition_implILS8_3ELb0ES6_jNS0_17counting_iteratorIjlEEPS9_SE_NS0_5tupleIJPjSE_EEENSF_IJSE_SE_EEES9_SG_JZNS1_25segmented_radix_sort_implINS0_14default_configELb1EPK12hip_bfloat16PSL_PKlPlN2at6native12_GLOBAL__N_18offset_tEEE10hipError_tPvRmT1_PNSt15iterator_traitsISZ_E10value_typeET2_T3_PNS10_IS15_E10value_typeET4_jRbjT5_S1B_jjP12ihipStream_tbEUljE_EEESW_SX_SY_S15_S19_S1B_T6_T7_T9_mT8_S1D_bDpT10_ENKUlT_T0_E_clISt17integral_constantIbLb0EES1Q_EEDaS1L_S1M_EUlS1L_E_NS1_11comp_targetILNS1_3genE9ELNS1_11target_archE1100ELNS1_3gpuE3ELNS1_3repE0EEENS1_30default_config_static_selectorELNS0_4arch9wavefront6targetE0EEEvSZ_
                                        ; -- End function
	.set _ZN7rocprim17ROCPRIM_400000_NS6detail17trampoline_kernelINS0_13select_configILj256ELj13ELNS0_17block_load_methodE3ELS4_3ELS4_3ELNS0_20block_scan_algorithmE0ELj4294967295EEENS1_25partition_config_selectorILNS1_17partition_subalgoE3EjNS0_10empty_typeEbEEZZNS1_14partition_implILS8_3ELb0ES6_jNS0_17counting_iteratorIjlEEPS9_SE_NS0_5tupleIJPjSE_EEENSF_IJSE_SE_EEES9_SG_JZNS1_25segmented_radix_sort_implINS0_14default_configELb1EPK12hip_bfloat16PSL_PKlPlN2at6native12_GLOBAL__N_18offset_tEEE10hipError_tPvRmT1_PNSt15iterator_traitsISZ_E10value_typeET2_T3_PNS10_IS15_E10value_typeET4_jRbjT5_S1B_jjP12ihipStream_tbEUljE_EEESW_SX_SY_S15_S19_S1B_T6_T7_T9_mT8_S1D_bDpT10_ENKUlT_T0_E_clISt17integral_constantIbLb0EES1Q_EEDaS1L_S1M_EUlS1L_E_NS1_11comp_targetILNS1_3genE9ELNS1_11target_archE1100ELNS1_3gpuE3ELNS1_3repE0EEENS1_30default_config_static_selectorELNS0_4arch9wavefront6targetE0EEEvSZ_.num_vgpr, 0
	.set _ZN7rocprim17ROCPRIM_400000_NS6detail17trampoline_kernelINS0_13select_configILj256ELj13ELNS0_17block_load_methodE3ELS4_3ELS4_3ELNS0_20block_scan_algorithmE0ELj4294967295EEENS1_25partition_config_selectorILNS1_17partition_subalgoE3EjNS0_10empty_typeEbEEZZNS1_14partition_implILS8_3ELb0ES6_jNS0_17counting_iteratorIjlEEPS9_SE_NS0_5tupleIJPjSE_EEENSF_IJSE_SE_EEES9_SG_JZNS1_25segmented_radix_sort_implINS0_14default_configELb1EPK12hip_bfloat16PSL_PKlPlN2at6native12_GLOBAL__N_18offset_tEEE10hipError_tPvRmT1_PNSt15iterator_traitsISZ_E10value_typeET2_T3_PNS10_IS15_E10value_typeET4_jRbjT5_S1B_jjP12ihipStream_tbEUljE_EEESW_SX_SY_S15_S19_S1B_T6_T7_T9_mT8_S1D_bDpT10_ENKUlT_T0_E_clISt17integral_constantIbLb0EES1Q_EEDaS1L_S1M_EUlS1L_E_NS1_11comp_targetILNS1_3genE9ELNS1_11target_archE1100ELNS1_3gpuE3ELNS1_3repE0EEENS1_30default_config_static_selectorELNS0_4arch9wavefront6targetE0EEEvSZ_.num_agpr, 0
	.set _ZN7rocprim17ROCPRIM_400000_NS6detail17trampoline_kernelINS0_13select_configILj256ELj13ELNS0_17block_load_methodE3ELS4_3ELS4_3ELNS0_20block_scan_algorithmE0ELj4294967295EEENS1_25partition_config_selectorILNS1_17partition_subalgoE3EjNS0_10empty_typeEbEEZZNS1_14partition_implILS8_3ELb0ES6_jNS0_17counting_iteratorIjlEEPS9_SE_NS0_5tupleIJPjSE_EEENSF_IJSE_SE_EEES9_SG_JZNS1_25segmented_radix_sort_implINS0_14default_configELb1EPK12hip_bfloat16PSL_PKlPlN2at6native12_GLOBAL__N_18offset_tEEE10hipError_tPvRmT1_PNSt15iterator_traitsISZ_E10value_typeET2_T3_PNS10_IS15_E10value_typeET4_jRbjT5_S1B_jjP12ihipStream_tbEUljE_EEESW_SX_SY_S15_S19_S1B_T6_T7_T9_mT8_S1D_bDpT10_ENKUlT_T0_E_clISt17integral_constantIbLb0EES1Q_EEDaS1L_S1M_EUlS1L_E_NS1_11comp_targetILNS1_3genE9ELNS1_11target_archE1100ELNS1_3gpuE3ELNS1_3repE0EEENS1_30default_config_static_selectorELNS0_4arch9wavefront6targetE0EEEvSZ_.numbered_sgpr, 0
	.set _ZN7rocprim17ROCPRIM_400000_NS6detail17trampoline_kernelINS0_13select_configILj256ELj13ELNS0_17block_load_methodE3ELS4_3ELS4_3ELNS0_20block_scan_algorithmE0ELj4294967295EEENS1_25partition_config_selectorILNS1_17partition_subalgoE3EjNS0_10empty_typeEbEEZZNS1_14partition_implILS8_3ELb0ES6_jNS0_17counting_iteratorIjlEEPS9_SE_NS0_5tupleIJPjSE_EEENSF_IJSE_SE_EEES9_SG_JZNS1_25segmented_radix_sort_implINS0_14default_configELb1EPK12hip_bfloat16PSL_PKlPlN2at6native12_GLOBAL__N_18offset_tEEE10hipError_tPvRmT1_PNSt15iterator_traitsISZ_E10value_typeET2_T3_PNS10_IS15_E10value_typeET4_jRbjT5_S1B_jjP12ihipStream_tbEUljE_EEESW_SX_SY_S15_S19_S1B_T6_T7_T9_mT8_S1D_bDpT10_ENKUlT_T0_E_clISt17integral_constantIbLb0EES1Q_EEDaS1L_S1M_EUlS1L_E_NS1_11comp_targetILNS1_3genE9ELNS1_11target_archE1100ELNS1_3gpuE3ELNS1_3repE0EEENS1_30default_config_static_selectorELNS0_4arch9wavefront6targetE0EEEvSZ_.num_named_barrier, 0
	.set _ZN7rocprim17ROCPRIM_400000_NS6detail17trampoline_kernelINS0_13select_configILj256ELj13ELNS0_17block_load_methodE3ELS4_3ELS4_3ELNS0_20block_scan_algorithmE0ELj4294967295EEENS1_25partition_config_selectorILNS1_17partition_subalgoE3EjNS0_10empty_typeEbEEZZNS1_14partition_implILS8_3ELb0ES6_jNS0_17counting_iteratorIjlEEPS9_SE_NS0_5tupleIJPjSE_EEENSF_IJSE_SE_EEES9_SG_JZNS1_25segmented_radix_sort_implINS0_14default_configELb1EPK12hip_bfloat16PSL_PKlPlN2at6native12_GLOBAL__N_18offset_tEEE10hipError_tPvRmT1_PNSt15iterator_traitsISZ_E10value_typeET2_T3_PNS10_IS15_E10value_typeET4_jRbjT5_S1B_jjP12ihipStream_tbEUljE_EEESW_SX_SY_S15_S19_S1B_T6_T7_T9_mT8_S1D_bDpT10_ENKUlT_T0_E_clISt17integral_constantIbLb0EES1Q_EEDaS1L_S1M_EUlS1L_E_NS1_11comp_targetILNS1_3genE9ELNS1_11target_archE1100ELNS1_3gpuE3ELNS1_3repE0EEENS1_30default_config_static_selectorELNS0_4arch9wavefront6targetE0EEEvSZ_.private_seg_size, 0
	.set _ZN7rocprim17ROCPRIM_400000_NS6detail17trampoline_kernelINS0_13select_configILj256ELj13ELNS0_17block_load_methodE3ELS4_3ELS4_3ELNS0_20block_scan_algorithmE0ELj4294967295EEENS1_25partition_config_selectorILNS1_17partition_subalgoE3EjNS0_10empty_typeEbEEZZNS1_14partition_implILS8_3ELb0ES6_jNS0_17counting_iteratorIjlEEPS9_SE_NS0_5tupleIJPjSE_EEENSF_IJSE_SE_EEES9_SG_JZNS1_25segmented_radix_sort_implINS0_14default_configELb1EPK12hip_bfloat16PSL_PKlPlN2at6native12_GLOBAL__N_18offset_tEEE10hipError_tPvRmT1_PNSt15iterator_traitsISZ_E10value_typeET2_T3_PNS10_IS15_E10value_typeET4_jRbjT5_S1B_jjP12ihipStream_tbEUljE_EEESW_SX_SY_S15_S19_S1B_T6_T7_T9_mT8_S1D_bDpT10_ENKUlT_T0_E_clISt17integral_constantIbLb0EES1Q_EEDaS1L_S1M_EUlS1L_E_NS1_11comp_targetILNS1_3genE9ELNS1_11target_archE1100ELNS1_3gpuE3ELNS1_3repE0EEENS1_30default_config_static_selectorELNS0_4arch9wavefront6targetE0EEEvSZ_.uses_vcc, 0
	.set _ZN7rocprim17ROCPRIM_400000_NS6detail17trampoline_kernelINS0_13select_configILj256ELj13ELNS0_17block_load_methodE3ELS4_3ELS4_3ELNS0_20block_scan_algorithmE0ELj4294967295EEENS1_25partition_config_selectorILNS1_17partition_subalgoE3EjNS0_10empty_typeEbEEZZNS1_14partition_implILS8_3ELb0ES6_jNS0_17counting_iteratorIjlEEPS9_SE_NS0_5tupleIJPjSE_EEENSF_IJSE_SE_EEES9_SG_JZNS1_25segmented_radix_sort_implINS0_14default_configELb1EPK12hip_bfloat16PSL_PKlPlN2at6native12_GLOBAL__N_18offset_tEEE10hipError_tPvRmT1_PNSt15iterator_traitsISZ_E10value_typeET2_T3_PNS10_IS15_E10value_typeET4_jRbjT5_S1B_jjP12ihipStream_tbEUljE_EEESW_SX_SY_S15_S19_S1B_T6_T7_T9_mT8_S1D_bDpT10_ENKUlT_T0_E_clISt17integral_constantIbLb0EES1Q_EEDaS1L_S1M_EUlS1L_E_NS1_11comp_targetILNS1_3genE9ELNS1_11target_archE1100ELNS1_3gpuE3ELNS1_3repE0EEENS1_30default_config_static_selectorELNS0_4arch9wavefront6targetE0EEEvSZ_.uses_flat_scratch, 0
	.set _ZN7rocprim17ROCPRIM_400000_NS6detail17trampoline_kernelINS0_13select_configILj256ELj13ELNS0_17block_load_methodE3ELS4_3ELS4_3ELNS0_20block_scan_algorithmE0ELj4294967295EEENS1_25partition_config_selectorILNS1_17partition_subalgoE3EjNS0_10empty_typeEbEEZZNS1_14partition_implILS8_3ELb0ES6_jNS0_17counting_iteratorIjlEEPS9_SE_NS0_5tupleIJPjSE_EEENSF_IJSE_SE_EEES9_SG_JZNS1_25segmented_radix_sort_implINS0_14default_configELb1EPK12hip_bfloat16PSL_PKlPlN2at6native12_GLOBAL__N_18offset_tEEE10hipError_tPvRmT1_PNSt15iterator_traitsISZ_E10value_typeET2_T3_PNS10_IS15_E10value_typeET4_jRbjT5_S1B_jjP12ihipStream_tbEUljE_EEESW_SX_SY_S15_S19_S1B_T6_T7_T9_mT8_S1D_bDpT10_ENKUlT_T0_E_clISt17integral_constantIbLb0EES1Q_EEDaS1L_S1M_EUlS1L_E_NS1_11comp_targetILNS1_3genE9ELNS1_11target_archE1100ELNS1_3gpuE3ELNS1_3repE0EEENS1_30default_config_static_selectorELNS0_4arch9wavefront6targetE0EEEvSZ_.has_dyn_sized_stack, 0
	.set _ZN7rocprim17ROCPRIM_400000_NS6detail17trampoline_kernelINS0_13select_configILj256ELj13ELNS0_17block_load_methodE3ELS4_3ELS4_3ELNS0_20block_scan_algorithmE0ELj4294967295EEENS1_25partition_config_selectorILNS1_17partition_subalgoE3EjNS0_10empty_typeEbEEZZNS1_14partition_implILS8_3ELb0ES6_jNS0_17counting_iteratorIjlEEPS9_SE_NS0_5tupleIJPjSE_EEENSF_IJSE_SE_EEES9_SG_JZNS1_25segmented_radix_sort_implINS0_14default_configELb1EPK12hip_bfloat16PSL_PKlPlN2at6native12_GLOBAL__N_18offset_tEEE10hipError_tPvRmT1_PNSt15iterator_traitsISZ_E10value_typeET2_T3_PNS10_IS15_E10value_typeET4_jRbjT5_S1B_jjP12ihipStream_tbEUljE_EEESW_SX_SY_S15_S19_S1B_T6_T7_T9_mT8_S1D_bDpT10_ENKUlT_T0_E_clISt17integral_constantIbLb0EES1Q_EEDaS1L_S1M_EUlS1L_E_NS1_11comp_targetILNS1_3genE9ELNS1_11target_archE1100ELNS1_3gpuE3ELNS1_3repE0EEENS1_30default_config_static_selectorELNS0_4arch9wavefront6targetE0EEEvSZ_.has_recursion, 0
	.set _ZN7rocprim17ROCPRIM_400000_NS6detail17trampoline_kernelINS0_13select_configILj256ELj13ELNS0_17block_load_methodE3ELS4_3ELS4_3ELNS0_20block_scan_algorithmE0ELj4294967295EEENS1_25partition_config_selectorILNS1_17partition_subalgoE3EjNS0_10empty_typeEbEEZZNS1_14partition_implILS8_3ELb0ES6_jNS0_17counting_iteratorIjlEEPS9_SE_NS0_5tupleIJPjSE_EEENSF_IJSE_SE_EEES9_SG_JZNS1_25segmented_radix_sort_implINS0_14default_configELb1EPK12hip_bfloat16PSL_PKlPlN2at6native12_GLOBAL__N_18offset_tEEE10hipError_tPvRmT1_PNSt15iterator_traitsISZ_E10value_typeET2_T3_PNS10_IS15_E10value_typeET4_jRbjT5_S1B_jjP12ihipStream_tbEUljE_EEESW_SX_SY_S15_S19_S1B_T6_T7_T9_mT8_S1D_bDpT10_ENKUlT_T0_E_clISt17integral_constantIbLb0EES1Q_EEDaS1L_S1M_EUlS1L_E_NS1_11comp_targetILNS1_3genE9ELNS1_11target_archE1100ELNS1_3gpuE3ELNS1_3repE0EEENS1_30default_config_static_selectorELNS0_4arch9wavefront6targetE0EEEvSZ_.has_indirect_call, 0
	.section	.AMDGPU.csdata,"",@progbits
; Kernel info:
; codeLenInByte = 0
; TotalNumSgprs: 0
; NumVgprs: 0
; ScratchSize: 0
; MemoryBound: 0
; FloatMode: 240
; IeeeMode: 1
; LDSByteSize: 0 bytes/workgroup (compile time only)
; SGPRBlocks: 0
; VGPRBlocks: 0
; NumSGPRsForWavesPerEU: 1
; NumVGPRsForWavesPerEU: 1
; NamedBarCnt: 0
; Occupancy: 16
; WaveLimiterHint : 0
; COMPUTE_PGM_RSRC2:SCRATCH_EN: 0
; COMPUTE_PGM_RSRC2:USER_SGPR: 2
; COMPUTE_PGM_RSRC2:TRAP_HANDLER: 0
; COMPUTE_PGM_RSRC2:TGID_X_EN: 1
; COMPUTE_PGM_RSRC2:TGID_Y_EN: 0
; COMPUTE_PGM_RSRC2:TGID_Z_EN: 0
; COMPUTE_PGM_RSRC2:TIDIG_COMP_CNT: 0
	.section	.text._ZN7rocprim17ROCPRIM_400000_NS6detail17trampoline_kernelINS0_13select_configILj256ELj13ELNS0_17block_load_methodE3ELS4_3ELS4_3ELNS0_20block_scan_algorithmE0ELj4294967295EEENS1_25partition_config_selectorILNS1_17partition_subalgoE3EjNS0_10empty_typeEbEEZZNS1_14partition_implILS8_3ELb0ES6_jNS0_17counting_iteratorIjlEEPS9_SE_NS0_5tupleIJPjSE_EEENSF_IJSE_SE_EEES9_SG_JZNS1_25segmented_radix_sort_implINS0_14default_configELb1EPK12hip_bfloat16PSL_PKlPlN2at6native12_GLOBAL__N_18offset_tEEE10hipError_tPvRmT1_PNSt15iterator_traitsISZ_E10value_typeET2_T3_PNS10_IS15_E10value_typeET4_jRbjT5_S1B_jjP12ihipStream_tbEUljE_EEESW_SX_SY_S15_S19_S1B_T6_T7_T9_mT8_S1D_bDpT10_ENKUlT_T0_E_clISt17integral_constantIbLb0EES1Q_EEDaS1L_S1M_EUlS1L_E_NS1_11comp_targetILNS1_3genE8ELNS1_11target_archE1030ELNS1_3gpuE2ELNS1_3repE0EEENS1_30default_config_static_selectorELNS0_4arch9wavefront6targetE0EEEvSZ_,"axG",@progbits,_ZN7rocprim17ROCPRIM_400000_NS6detail17trampoline_kernelINS0_13select_configILj256ELj13ELNS0_17block_load_methodE3ELS4_3ELS4_3ELNS0_20block_scan_algorithmE0ELj4294967295EEENS1_25partition_config_selectorILNS1_17partition_subalgoE3EjNS0_10empty_typeEbEEZZNS1_14partition_implILS8_3ELb0ES6_jNS0_17counting_iteratorIjlEEPS9_SE_NS0_5tupleIJPjSE_EEENSF_IJSE_SE_EEES9_SG_JZNS1_25segmented_radix_sort_implINS0_14default_configELb1EPK12hip_bfloat16PSL_PKlPlN2at6native12_GLOBAL__N_18offset_tEEE10hipError_tPvRmT1_PNSt15iterator_traitsISZ_E10value_typeET2_T3_PNS10_IS15_E10value_typeET4_jRbjT5_S1B_jjP12ihipStream_tbEUljE_EEESW_SX_SY_S15_S19_S1B_T6_T7_T9_mT8_S1D_bDpT10_ENKUlT_T0_E_clISt17integral_constantIbLb0EES1Q_EEDaS1L_S1M_EUlS1L_E_NS1_11comp_targetILNS1_3genE8ELNS1_11target_archE1030ELNS1_3gpuE2ELNS1_3repE0EEENS1_30default_config_static_selectorELNS0_4arch9wavefront6targetE0EEEvSZ_,comdat
	.globl	_ZN7rocprim17ROCPRIM_400000_NS6detail17trampoline_kernelINS0_13select_configILj256ELj13ELNS0_17block_load_methodE3ELS4_3ELS4_3ELNS0_20block_scan_algorithmE0ELj4294967295EEENS1_25partition_config_selectorILNS1_17partition_subalgoE3EjNS0_10empty_typeEbEEZZNS1_14partition_implILS8_3ELb0ES6_jNS0_17counting_iteratorIjlEEPS9_SE_NS0_5tupleIJPjSE_EEENSF_IJSE_SE_EEES9_SG_JZNS1_25segmented_radix_sort_implINS0_14default_configELb1EPK12hip_bfloat16PSL_PKlPlN2at6native12_GLOBAL__N_18offset_tEEE10hipError_tPvRmT1_PNSt15iterator_traitsISZ_E10value_typeET2_T3_PNS10_IS15_E10value_typeET4_jRbjT5_S1B_jjP12ihipStream_tbEUljE_EEESW_SX_SY_S15_S19_S1B_T6_T7_T9_mT8_S1D_bDpT10_ENKUlT_T0_E_clISt17integral_constantIbLb0EES1Q_EEDaS1L_S1M_EUlS1L_E_NS1_11comp_targetILNS1_3genE8ELNS1_11target_archE1030ELNS1_3gpuE2ELNS1_3repE0EEENS1_30default_config_static_selectorELNS0_4arch9wavefront6targetE0EEEvSZ_ ; -- Begin function _ZN7rocprim17ROCPRIM_400000_NS6detail17trampoline_kernelINS0_13select_configILj256ELj13ELNS0_17block_load_methodE3ELS4_3ELS4_3ELNS0_20block_scan_algorithmE0ELj4294967295EEENS1_25partition_config_selectorILNS1_17partition_subalgoE3EjNS0_10empty_typeEbEEZZNS1_14partition_implILS8_3ELb0ES6_jNS0_17counting_iteratorIjlEEPS9_SE_NS0_5tupleIJPjSE_EEENSF_IJSE_SE_EEES9_SG_JZNS1_25segmented_radix_sort_implINS0_14default_configELb1EPK12hip_bfloat16PSL_PKlPlN2at6native12_GLOBAL__N_18offset_tEEE10hipError_tPvRmT1_PNSt15iterator_traitsISZ_E10value_typeET2_T3_PNS10_IS15_E10value_typeET4_jRbjT5_S1B_jjP12ihipStream_tbEUljE_EEESW_SX_SY_S15_S19_S1B_T6_T7_T9_mT8_S1D_bDpT10_ENKUlT_T0_E_clISt17integral_constantIbLb0EES1Q_EEDaS1L_S1M_EUlS1L_E_NS1_11comp_targetILNS1_3genE8ELNS1_11target_archE1030ELNS1_3gpuE2ELNS1_3repE0EEENS1_30default_config_static_selectorELNS0_4arch9wavefront6targetE0EEEvSZ_
	.p2align	8
	.type	_ZN7rocprim17ROCPRIM_400000_NS6detail17trampoline_kernelINS0_13select_configILj256ELj13ELNS0_17block_load_methodE3ELS4_3ELS4_3ELNS0_20block_scan_algorithmE0ELj4294967295EEENS1_25partition_config_selectorILNS1_17partition_subalgoE3EjNS0_10empty_typeEbEEZZNS1_14partition_implILS8_3ELb0ES6_jNS0_17counting_iteratorIjlEEPS9_SE_NS0_5tupleIJPjSE_EEENSF_IJSE_SE_EEES9_SG_JZNS1_25segmented_radix_sort_implINS0_14default_configELb1EPK12hip_bfloat16PSL_PKlPlN2at6native12_GLOBAL__N_18offset_tEEE10hipError_tPvRmT1_PNSt15iterator_traitsISZ_E10value_typeET2_T3_PNS10_IS15_E10value_typeET4_jRbjT5_S1B_jjP12ihipStream_tbEUljE_EEESW_SX_SY_S15_S19_S1B_T6_T7_T9_mT8_S1D_bDpT10_ENKUlT_T0_E_clISt17integral_constantIbLb0EES1Q_EEDaS1L_S1M_EUlS1L_E_NS1_11comp_targetILNS1_3genE8ELNS1_11target_archE1030ELNS1_3gpuE2ELNS1_3repE0EEENS1_30default_config_static_selectorELNS0_4arch9wavefront6targetE0EEEvSZ_,@function
_ZN7rocprim17ROCPRIM_400000_NS6detail17trampoline_kernelINS0_13select_configILj256ELj13ELNS0_17block_load_methodE3ELS4_3ELS4_3ELNS0_20block_scan_algorithmE0ELj4294967295EEENS1_25partition_config_selectorILNS1_17partition_subalgoE3EjNS0_10empty_typeEbEEZZNS1_14partition_implILS8_3ELb0ES6_jNS0_17counting_iteratorIjlEEPS9_SE_NS0_5tupleIJPjSE_EEENSF_IJSE_SE_EEES9_SG_JZNS1_25segmented_radix_sort_implINS0_14default_configELb1EPK12hip_bfloat16PSL_PKlPlN2at6native12_GLOBAL__N_18offset_tEEE10hipError_tPvRmT1_PNSt15iterator_traitsISZ_E10value_typeET2_T3_PNS10_IS15_E10value_typeET4_jRbjT5_S1B_jjP12ihipStream_tbEUljE_EEESW_SX_SY_S15_S19_S1B_T6_T7_T9_mT8_S1D_bDpT10_ENKUlT_T0_E_clISt17integral_constantIbLb0EES1Q_EEDaS1L_S1M_EUlS1L_E_NS1_11comp_targetILNS1_3genE8ELNS1_11target_archE1030ELNS1_3gpuE2ELNS1_3repE0EEENS1_30default_config_static_selectorELNS0_4arch9wavefront6targetE0EEEvSZ_: ; @_ZN7rocprim17ROCPRIM_400000_NS6detail17trampoline_kernelINS0_13select_configILj256ELj13ELNS0_17block_load_methodE3ELS4_3ELS4_3ELNS0_20block_scan_algorithmE0ELj4294967295EEENS1_25partition_config_selectorILNS1_17partition_subalgoE3EjNS0_10empty_typeEbEEZZNS1_14partition_implILS8_3ELb0ES6_jNS0_17counting_iteratorIjlEEPS9_SE_NS0_5tupleIJPjSE_EEENSF_IJSE_SE_EEES9_SG_JZNS1_25segmented_radix_sort_implINS0_14default_configELb1EPK12hip_bfloat16PSL_PKlPlN2at6native12_GLOBAL__N_18offset_tEEE10hipError_tPvRmT1_PNSt15iterator_traitsISZ_E10value_typeET2_T3_PNS10_IS15_E10value_typeET4_jRbjT5_S1B_jjP12ihipStream_tbEUljE_EEESW_SX_SY_S15_S19_S1B_T6_T7_T9_mT8_S1D_bDpT10_ENKUlT_T0_E_clISt17integral_constantIbLb0EES1Q_EEDaS1L_S1M_EUlS1L_E_NS1_11comp_targetILNS1_3genE8ELNS1_11target_archE1030ELNS1_3gpuE2ELNS1_3repE0EEENS1_30default_config_static_selectorELNS0_4arch9wavefront6targetE0EEEvSZ_
; %bb.0:
	.section	.rodata,"a",@progbits
	.p2align	6, 0x0
	.amdhsa_kernel _ZN7rocprim17ROCPRIM_400000_NS6detail17trampoline_kernelINS0_13select_configILj256ELj13ELNS0_17block_load_methodE3ELS4_3ELS4_3ELNS0_20block_scan_algorithmE0ELj4294967295EEENS1_25partition_config_selectorILNS1_17partition_subalgoE3EjNS0_10empty_typeEbEEZZNS1_14partition_implILS8_3ELb0ES6_jNS0_17counting_iteratorIjlEEPS9_SE_NS0_5tupleIJPjSE_EEENSF_IJSE_SE_EEES9_SG_JZNS1_25segmented_radix_sort_implINS0_14default_configELb1EPK12hip_bfloat16PSL_PKlPlN2at6native12_GLOBAL__N_18offset_tEEE10hipError_tPvRmT1_PNSt15iterator_traitsISZ_E10value_typeET2_T3_PNS10_IS15_E10value_typeET4_jRbjT5_S1B_jjP12ihipStream_tbEUljE_EEESW_SX_SY_S15_S19_S1B_T6_T7_T9_mT8_S1D_bDpT10_ENKUlT_T0_E_clISt17integral_constantIbLb0EES1Q_EEDaS1L_S1M_EUlS1L_E_NS1_11comp_targetILNS1_3genE8ELNS1_11target_archE1030ELNS1_3gpuE2ELNS1_3repE0EEENS1_30default_config_static_selectorELNS0_4arch9wavefront6targetE0EEEvSZ_
		.amdhsa_group_segment_fixed_size 0
		.amdhsa_private_segment_fixed_size 0
		.amdhsa_kernarg_size 144
		.amdhsa_user_sgpr_count 2
		.amdhsa_user_sgpr_dispatch_ptr 0
		.amdhsa_user_sgpr_queue_ptr 0
		.amdhsa_user_sgpr_kernarg_segment_ptr 1
		.amdhsa_user_sgpr_dispatch_id 0
		.amdhsa_user_sgpr_kernarg_preload_length 0
		.amdhsa_user_sgpr_kernarg_preload_offset 0
		.amdhsa_user_sgpr_private_segment_size 0
		.amdhsa_wavefront_size32 1
		.amdhsa_uses_dynamic_stack 0
		.amdhsa_enable_private_segment 0
		.amdhsa_system_sgpr_workgroup_id_x 1
		.amdhsa_system_sgpr_workgroup_id_y 0
		.amdhsa_system_sgpr_workgroup_id_z 0
		.amdhsa_system_sgpr_workgroup_info 0
		.amdhsa_system_vgpr_workitem_id 0
		.amdhsa_next_free_vgpr 1
		.amdhsa_next_free_sgpr 1
		.amdhsa_named_barrier_count 0
		.amdhsa_reserve_vcc 0
		.amdhsa_float_round_mode_32 0
		.amdhsa_float_round_mode_16_64 0
		.amdhsa_float_denorm_mode_32 3
		.amdhsa_float_denorm_mode_16_64 3
		.amdhsa_fp16_overflow 0
		.amdhsa_memory_ordered 1
		.amdhsa_forward_progress 1
		.amdhsa_inst_pref_size 0
		.amdhsa_round_robin_scheduling 0
		.amdhsa_exception_fp_ieee_invalid_op 0
		.amdhsa_exception_fp_denorm_src 0
		.amdhsa_exception_fp_ieee_div_zero 0
		.amdhsa_exception_fp_ieee_overflow 0
		.amdhsa_exception_fp_ieee_underflow 0
		.amdhsa_exception_fp_ieee_inexact 0
		.amdhsa_exception_int_div_zero 0
	.end_amdhsa_kernel
	.section	.text._ZN7rocprim17ROCPRIM_400000_NS6detail17trampoline_kernelINS0_13select_configILj256ELj13ELNS0_17block_load_methodE3ELS4_3ELS4_3ELNS0_20block_scan_algorithmE0ELj4294967295EEENS1_25partition_config_selectorILNS1_17partition_subalgoE3EjNS0_10empty_typeEbEEZZNS1_14partition_implILS8_3ELb0ES6_jNS0_17counting_iteratorIjlEEPS9_SE_NS0_5tupleIJPjSE_EEENSF_IJSE_SE_EEES9_SG_JZNS1_25segmented_radix_sort_implINS0_14default_configELb1EPK12hip_bfloat16PSL_PKlPlN2at6native12_GLOBAL__N_18offset_tEEE10hipError_tPvRmT1_PNSt15iterator_traitsISZ_E10value_typeET2_T3_PNS10_IS15_E10value_typeET4_jRbjT5_S1B_jjP12ihipStream_tbEUljE_EEESW_SX_SY_S15_S19_S1B_T6_T7_T9_mT8_S1D_bDpT10_ENKUlT_T0_E_clISt17integral_constantIbLb0EES1Q_EEDaS1L_S1M_EUlS1L_E_NS1_11comp_targetILNS1_3genE8ELNS1_11target_archE1030ELNS1_3gpuE2ELNS1_3repE0EEENS1_30default_config_static_selectorELNS0_4arch9wavefront6targetE0EEEvSZ_,"axG",@progbits,_ZN7rocprim17ROCPRIM_400000_NS6detail17trampoline_kernelINS0_13select_configILj256ELj13ELNS0_17block_load_methodE3ELS4_3ELS4_3ELNS0_20block_scan_algorithmE0ELj4294967295EEENS1_25partition_config_selectorILNS1_17partition_subalgoE3EjNS0_10empty_typeEbEEZZNS1_14partition_implILS8_3ELb0ES6_jNS0_17counting_iteratorIjlEEPS9_SE_NS0_5tupleIJPjSE_EEENSF_IJSE_SE_EEES9_SG_JZNS1_25segmented_radix_sort_implINS0_14default_configELb1EPK12hip_bfloat16PSL_PKlPlN2at6native12_GLOBAL__N_18offset_tEEE10hipError_tPvRmT1_PNSt15iterator_traitsISZ_E10value_typeET2_T3_PNS10_IS15_E10value_typeET4_jRbjT5_S1B_jjP12ihipStream_tbEUljE_EEESW_SX_SY_S15_S19_S1B_T6_T7_T9_mT8_S1D_bDpT10_ENKUlT_T0_E_clISt17integral_constantIbLb0EES1Q_EEDaS1L_S1M_EUlS1L_E_NS1_11comp_targetILNS1_3genE8ELNS1_11target_archE1030ELNS1_3gpuE2ELNS1_3repE0EEENS1_30default_config_static_selectorELNS0_4arch9wavefront6targetE0EEEvSZ_,comdat
.Lfunc_end1911:
	.size	_ZN7rocprim17ROCPRIM_400000_NS6detail17trampoline_kernelINS0_13select_configILj256ELj13ELNS0_17block_load_methodE3ELS4_3ELS4_3ELNS0_20block_scan_algorithmE0ELj4294967295EEENS1_25partition_config_selectorILNS1_17partition_subalgoE3EjNS0_10empty_typeEbEEZZNS1_14partition_implILS8_3ELb0ES6_jNS0_17counting_iteratorIjlEEPS9_SE_NS0_5tupleIJPjSE_EEENSF_IJSE_SE_EEES9_SG_JZNS1_25segmented_radix_sort_implINS0_14default_configELb1EPK12hip_bfloat16PSL_PKlPlN2at6native12_GLOBAL__N_18offset_tEEE10hipError_tPvRmT1_PNSt15iterator_traitsISZ_E10value_typeET2_T3_PNS10_IS15_E10value_typeET4_jRbjT5_S1B_jjP12ihipStream_tbEUljE_EEESW_SX_SY_S15_S19_S1B_T6_T7_T9_mT8_S1D_bDpT10_ENKUlT_T0_E_clISt17integral_constantIbLb0EES1Q_EEDaS1L_S1M_EUlS1L_E_NS1_11comp_targetILNS1_3genE8ELNS1_11target_archE1030ELNS1_3gpuE2ELNS1_3repE0EEENS1_30default_config_static_selectorELNS0_4arch9wavefront6targetE0EEEvSZ_, .Lfunc_end1911-_ZN7rocprim17ROCPRIM_400000_NS6detail17trampoline_kernelINS0_13select_configILj256ELj13ELNS0_17block_load_methodE3ELS4_3ELS4_3ELNS0_20block_scan_algorithmE0ELj4294967295EEENS1_25partition_config_selectorILNS1_17partition_subalgoE3EjNS0_10empty_typeEbEEZZNS1_14partition_implILS8_3ELb0ES6_jNS0_17counting_iteratorIjlEEPS9_SE_NS0_5tupleIJPjSE_EEENSF_IJSE_SE_EEES9_SG_JZNS1_25segmented_radix_sort_implINS0_14default_configELb1EPK12hip_bfloat16PSL_PKlPlN2at6native12_GLOBAL__N_18offset_tEEE10hipError_tPvRmT1_PNSt15iterator_traitsISZ_E10value_typeET2_T3_PNS10_IS15_E10value_typeET4_jRbjT5_S1B_jjP12ihipStream_tbEUljE_EEESW_SX_SY_S15_S19_S1B_T6_T7_T9_mT8_S1D_bDpT10_ENKUlT_T0_E_clISt17integral_constantIbLb0EES1Q_EEDaS1L_S1M_EUlS1L_E_NS1_11comp_targetILNS1_3genE8ELNS1_11target_archE1030ELNS1_3gpuE2ELNS1_3repE0EEENS1_30default_config_static_selectorELNS0_4arch9wavefront6targetE0EEEvSZ_
                                        ; -- End function
	.set _ZN7rocprim17ROCPRIM_400000_NS6detail17trampoline_kernelINS0_13select_configILj256ELj13ELNS0_17block_load_methodE3ELS4_3ELS4_3ELNS0_20block_scan_algorithmE0ELj4294967295EEENS1_25partition_config_selectorILNS1_17partition_subalgoE3EjNS0_10empty_typeEbEEZZNS1_14partition_implILS8_3ELb0ES6_jNS0_17counting_iteratorIjlEEPS9_SE_NS0_5tupleIJPjSE_EEENSF_IJSE_SE_EEES9_SG_JZNS1_25segmented_radix_sort_implINS0_14default_configELb1EPK12hip_bfloat16PSL_PKlPlN2at6native12_GLOBAL__N_18offset_tEEE10hipError_tPvRmT1_PNSt15iterator_traitsISZ_E10value_typeET2_T3_PNS10_IS15_E10value_typeET4_jRbjT5_S1B_jjP12ihipStream_tbEUljE_EEESW_SX_SY_S15_S19_S1B_T6_T7_T9_mT8_S1D_bDpT10_ENKUlT_T0_E_clISt17integral_constantIbLb0EES1Q_EEDaS1L_S1M_EUlS1L_E_NS1_11comp_targetILNS1_3genE8ELNS1_11target_archE1030ELNS1_3gpuE2ELNS1_3repE0EEENS1_30default_config_static_selectorELNS0_4arch9wavefront6targetE0EEEvSZ_.num_vgpr, 0
	.set _ZN7rocprim17ROCPRIM_400000_NS6detail17trampoline_kernelINS0_13select_configILj256ELj13ELNS0_17block_load_methodE3ELS4_3ELS4_3ELNS0_20block_scan_algorithmE0ELj4294967295EEENS1_25partition_config_selectorILNS1_17partition_subalgoE3EjNS0_10empty_typeEbEEZZNS1_14partition_implILS8_3ELb0ES6_jNS0_17counting_iteratorIjlEEPS9_SE_NS0_5tupleIJPjSE_EEENSF_IJSE_SE_EEES9_SG_JZNS1_25segmented_radix_sort_implINS0_14default_configELb1EPK12hip_bfloat16PSL_PKlPlN2at6native12_GLOBAL__N_18offset_tEEE10hipError_tPvRmT1_PNSt15iterator_traitsISZ_E10value_typeET2_T3_PNS10_IS15_E10value_typeET4_jRbjT5_S1B_jjP12ihipStream_tbEUljE_EEESW_SX_SY_S15_S19_S1B_T6_T7_T9_mT8_S1D_bDpT10_ENKUlT_T0_E_clISt17integral_constantIbLb0EES1Q_EEDaS1L_S1M_EUlS1L_E_NS1_11comp_targetILNS1_3genE8ELNS1_11target_archE1030ELNS1_3gpuE2ELNS1_3repE0EEENS1_30default_config_static_selectorELNS0_4arch9wavefront6targetE0EEEvSZ_.num_agpr, 0
	.set _ZN7rocprim17ROCPRIM_400000_NS6detail17trampoline_kernelINS0_13select_configILj256ELj13ELNS0_17block_load_methodE3ELS4_3ELS4_3ELNS0_20block_scan_algorithmE0ELj4294967295EEENS1_25partition_config_selectorILNS1_17partition_subalgoE3EjNS0_10empty_typeEbEEZZNS1_14partition_implILS8_3ELb0ES6_jNS0_17counting_iteratorIjlEEPS9_SE_NS0_5tupleIJPjSE_EEENSF_IJSE_SE_EEES9_SG_JZNS1_25segmented_radix_sort_implINS0_14default_configELb1EPK12hip_bfloat16PSL_PKlPlN2at6native12_GLOBAL__N_18offset_tEEE10hipError_tPvRmT1_PNSt15iterator_traitsISZ_E10value_typeET2_T3_PNS10_IS15_E10value_typeET4_jRbjT5_S1B_jjP12ihipStream_tbEUljE_EEESW_SX_SY_S15_S19_S1B_T6_T7_T9_mT8_S1D_bDpT10_ENKUlT_T0_E_clISt17integral_constantIbLb0EES1Q_EEDaS1L_S1M_EUlS1L_E_NS1_11comp_targetILNS1_3genE8ELNS1_11target_archE1030ELNS1_3gpuE2ELNS1_3repE0EEENS1_30default_config_static_selectorELNS0_4arch9wavefront6targetE0EEEvSZ_.numbered_sgpr, 0
	.set _ZN7rocprim17ROCPRIM_400000_NS6detail17trampoline_kernelINS0_13select_configILj256ELj13ELNS0_17block_load_methodE3ELS4_3ELS4_3ELNS0_20block_scan_algorithmE0ELj4294967295EEENS1_25partition_config_selectorILNS1_17partition_subalgoE3EjNS0_10empty_typeEbEEZZNS1_14partition_implILS8_3ELb0ES6_jNS0_17counting_iteratorIjlEEPS9_SE_NS0_5tupleIJPjSE_EEENSF_IJSE_SE_EEES9_SG_JZNS1_25segmented_radix_sort_implINS0_14default_configELb1EPK12hip_bfloat16PSL_PKlPlN2at6native12_GLOBAL__N_18offset_tEEE10hipError_tPvRmT1_PNSt15iterator_traitsISZ_E10value_typeET2_T3_PNS10_IS15_E10value_typeET4_jRbjT5_S1B_jjP12ihipStream_tbEUljE_EEESW_SX_SY_S15_S19_S1B_T6_T7_T9_mT8_S1D_bDpT10_ENKUlT_T0_E_clISt17integral_constantIbLb0EES1Q_EEDaS1L_S1M_EUlS1L_E_NS1_11comp_targetILNS1_3genE8ELNS1_11target_archE1030ELNS1_3gpuE2ELNS1_3repE0EEENS1_30default_config_static_selectorELNS0_4arch9wavefront6targetE0EEEvSZ_.num_named_barrier, 0
	.set _ZN7rocprim17ROCPRIM_400000_NS6detail17trampoline_kernelINS0_13select_configILj256ELj13ELNS0_17block_load_methodE3ELS4_3ELS4_3ELNS0_20block_scan_algorithmE0ELj4294967295EEENS1_25partition_config_selectorILNS1_17partition_subalgoE3EjNS0_10empty_typeEbEEZZNS1_14partition_implILS8_3ELb0ES6_jNS0_17counting_iteratorIjlEEPS9_SE_NS0_5tupleIJPjSE_EEENSF_IJSE_SE_EEES9_SG_JZNS1_25segmented_radix_sort_implINS0_14default_configELb1EPK12hip_bfloat16PSL_PKlPlN2at6native12_GLOBAL__N_18offset_tEEE10hipError_tPvRmT1_PNSt15iterator_traitsISZ_E10value_typeET2_T3_PNS10_IS15_E10value_typeET4_jRbjT5_S1B_jjP12ihipStream_tbEUljE_EEESW_SX_SY_S15_S19_S1B_T6_T7_T9_mT8_S1D_bDpT10_ENKUlT_T0_E_clISt17integral_constantIbLb0EES1Q_EEDaS1L_S1M_EUlS1L_E_NS1_11comp_targetILNS1_3genE8ELNS1_11target_archE1030ELNS1_3gpuE2ELNS1_3repE0EEENS1_30default_config_static_selectorELNS0_4arch9wavefront6targetE0EEEvSZ_.private_seg_size, 0
	.set _ZN7rocprim17ROCPRIM_400000_NS6detail17trampoline_kernelINS0_13select_configILj256ELj13ELNS0_17block_load_methodE3ELS4_3ELS4_3ELNS0_20block_scan_algorithmE0ELj4294967295EEENS1_25partition_config_selectorILNS1_17partition_subalgoE3EjNS0_10empty_typeEbEEZZNS1_14partition_implILS8_3ELb0ES6_jNS0_17counting_iteratorIjlEEPS9_SE_NS0_5tupleIJPjSE_EEENSF_IJSE_SE_EEES9_SG_JZNS1_25segmented_radix_sort_implINS0_14default_configELb1EPK12hip_bfloat16PSL_PKlPlN2at6native12_GLOBAL__N_18offset_tEEE10hipError_tPvRmT1_PNSt15iterator_traitsISZ_E10value_typeET2_T3_PNS10_IS15_E10value_typeET4_jRbjT5_S1B_jjP12ihipStream_tbEUljE_EEESW_SX_SY_S15_S19_S1B_T6_T7_T9_mT8_S1D_bDpT10_ENKUlT_T0_E_clISt17integral_constantIbLb0EES1Q_EEDaS1L_S1M_EUlS1L_E_NS1_11comp_targetILNS1_3genE8ELNS1_11target_archE1030ELNS1_3gpuE2ELNS1_3repE0EEENS1_30default_config_static_selectorELNS0_4arch9wavefront6targetE0EEEvSZ_.uses_vcc, 0
	.set _ZN7rocprim17ROCPRIM_400000_NS6detail17trampoline_kernelINS0_13select_configILj256ELj13ELNS0_17block_load_methodE3ELS4_3ELS4_3ELNS0_20block_scan_algorithmE0ELj4294967295EEENS1_25partition_config_selectorILNS1_17partition_subalgoE3EjNS0_10empty_typeEbEEZZNS1_14partition_implILS8_3ELb0ES6_jNS0_17counting_iteratorIjlEEPS9_SE_NS0_5tupleIJPjSE_EEENSF_IJSE_SE_EEES9_SG_JZNS1_25segmented_radix_sort_implINS0_14default_configELb1EPK12hip_bfloat16PSL_PKlPlN2at6native12_GLOBAL__N_18offset_tEEE10hipError_tPvRmT1_PNSt15iterator_traitsISZ_E10value_typeET2_T3_PNS10_IS15_E10value_typeET4_jRbjT5_S1B_jjP12ihipStream_tbEUljE_EEESW_SX_SY_S15_S19_S1B_T6_T7_T9_mT8_S1D_bDpT10_ENKUlT_T0_E_clISt17integral_constantIbLb0EES1Q_EEDaS1L_S1M_EUlS1L_E_NS1_11comp_targetILNS1_3genE8ELNS1_11target_archE1030ELNS1_3gpuE2ELNS1_3repE0EEENS1_30default_config_static_selectorELNS0_4arch9wavefront6targetE0EEEvSZ_.uses_flat_scratch, 0
	.set _ZN7rocprim17ROCPRIM_400000_NS6detail17trampoline_kernelINS0_13select_configILj256ELj13ELNS0_17block_load_methodE3ELS4_3ELS4_3ELNS0_20block_scan_algorithmE0ELj4294967295EEENS1_25partition_config_selectorILNS1_17partition_subalgoE3EjNS0_10empty_typeEbEEZZNS1_14partition_implILS8_3ELb0ES6_jNS0_17counting_iteratorIjlEEPS9_SE_NS0_5tupleIJPjSE_EEENSF_IJSE_SE_EEES9_SG_JZNS1_25segmented_radix_sort_implINS0_14default_configELb1EPK12hip_bfloat16PSL_PKlPlN2at6native12_GLOBAL__N_18offset_tEEE10hipError_tPvRmT1_PNSt15iterator_traitsISZ_E10value_typeET2_T3_PNS10_IS15_E10value_typeET4_jRbjT5_S1B_jjP12ihipStream_tbEUljE_EEESW_SX_SY_S15_S19_S1B_T6_T7_T9_mT8_S1D_bDpT10_ENKUlT_T0_E_clISt17integral_constantIbLb0EES1Q_EEDaS1L_S1M_EUlS1L_E_NS1_11comp_targetILNS1_3genE8ELNS1_11target_archE1030ELNS1_3gpuE2ELNS1_3repE0EEENS1_30default_config_static_selectorELNS0_4arch9wavefront6targetE0EEEvSZ_.has_dyn_sized_stack, 0
	.set _ZN7rocprim17ROCPRIM_400000_NS6detail17trampoline_kernelINS0_13select_configILj256ELj13ELNS0_17block_load_methodE3ELS4_3ELS4_3ELNS0_20block_scan_algorithmE0ELj4294967295EEENS1_25partition_config_selectorILNS1_17partition_subalgoE3EjNS0_10empty_typeEbEEZZNS1_14partition_implILS8_3ELb0ES6_jNS0_17counting_iteratorIjlEEPS9_SE_NS0_5tupleIJPjSE_EEENSF_IJSE_SE_EEES9_SG_JZNS1_25segmented_radix_sort_implINS0_14default_configELb1EPK12hip_bfloat16PSL_PKlPlN2at6native12_GLOBAL__N_18offset_tEEE10hipError_tPvRmT1_PNSt15iterator_traitsISZ_E10value_typeET2_T3_PNS10_IS15_E10value_typeET4_jRbjT5_S1B_jjP12ihipStream_tbEUljE_EEESW_SX_SY_S15_S19_S1B_T6_T7_T9_mT8_S1D_bDpT10_ENKUlT_T0_E_clISt17integral_constantIbLb0EES1Q_EEDaS1L_S1M_EUlS1L_E_NS1_11comp_targetILNS1_3genE8ELNS1_11target_archE1030ELNS1_3gpuE2ELNS1_3repE0EEENS1_30default_config_static_selectorELNS0_4arch9wavefront6targetE0EEEvSZ_.has_recursion, 0
	.set _ZN7rocprim17ROCPRIM_400000_NS6detail17trampoline_kernelINS0_13select_configILj256ELj13ELNS0_17block_load_methodE3ELS4_3ELS4_3ELNS0_20block_scan_algorithmE0ELj4294967295EEENS1_25partition_config_selectorILNS1_17partition_subalgoE3EjNS0_10empty_typeEbEEZZNS1_14partition_implILS8_3ELb0ES6_jNS0_17counting_iteratorIjlEEPS9_SE_NS0_5tupleIJPjSE_EEENSF_IJSE_SE_EEES9_SG_JZNS1_25segmented_radix_sort_implINS0_14default_configELb1EPK12hip_bfloat16PSL_PKlPlN2at6native12_GLOBAL__N_18offset_tEEE10hipError_tPvRmT1_PNSt15iterator_traitsISZ_E10value_typeET2_T3_PNS10_IS15_E10value_typeET4_jRbjT5_S1B_jjP12ihipStream_tbEUljE_EEESW_SX_SY_S15_S19_S1B_T6_T7_T9_mT8_S1D_bDpT10_ENKUlT_T0_E_clISt17integral_constantIbLb0EES1Q_EEDaS1L_S1M_EUlS1L_E_NS1_11comp_targetILNS1_3genE8ELNS1_11target_archE1030ELNS1_3gpuE2ELNS1_3repE0EEENS1_30default_config_static_selectorELNS0_4arch9wavefront6targetE0EEEvSZ_.has_indirect_call, 0
	.section	.AMDGPU.csdata,"",@progbits
; Kernel info:
; codeLenInByte = 0
; TotalNumSgprs: 0
; NumVgprs: 0
; ScratchSize: 0
; MemoryBound: 0
; FloatMode: 240
; IeeeMode: 1
; LDSByteSize: 0 bytes/workgroup (compile time only)
; SGPRBlocks: 0
; VGPRBlocks: 0
; NumSGPRsForWavesPerEU: 1
; NumVGPRsForWavesPerEU: 1
; NamedBarCnt: 0
; Occupancy: 16
; WaveLimiterHint : 0
; COMPUTE_PGM_RSRC2:SCRATCH_EN: 0
; COMPUTE_PGM_RSRC2:USER_SGPR: 2
; COMPUTE_PGM_RSRC2:TRAP_HANDLER: 0
; COMPUTE_PGM_RSRC2:TGID_X_EN: 1
; COMPUTE_PGM_RSRC2:TGID_Y_EN: 0
; COMPUTE_PGM_RSRC2:TGID_Z_EN: 0
; COMPUTE_PGM_RSRC2:TIDIG_COMP_CNT: 0
	.section	.text._ZN7rocprim17ROCPRIM_400000_NS6detail17trampoline_kernelINS0_13select_configILj256ELj13ELNS0_17block_load_methodE3ELS4_3ELS4_3ELNS0_20block_scan_algorithmE0ELj4294967295EEENS1_25partition_config_selectorILNS1_17partition_subalgoE3EjNS0_10empty_typeEbEEZZNS1_14partition_implILS8_3ELb0ES6_jNS0_17counting_iteratorIjlEEPS9_SE_NS0_5tupleIJPjSE_EEENSF_IJSE_SE_EEES9_SG_JZNS1_25segmented_radix_sort_implINS0_14default_configELb1EPK12hip_bfloat16PSL_PKlPlN2at6native12_GLOBAL__N_18offset_tEEE10hipError_tPvRmT1_PNSt15iterator_traitsISZ_E10value_typeET2_T3_PNS10_IS15_E10value_typeET4_jRbjT5_S1B_jjP12ihipStream_tbEUljE_EEESW_SX_SY_S15_S19_S1B_T6_T7_T9_mT8_S1D_bDpT10_ENKUlT_T0_E_clISt17integral_constantIbLb1EES1Q_EEDaS1L_S1M_EUlS1L_E_NS1_11comp_targetILNS1_3genE0ELNS1_11target_archE4294967295ELNS1_3gpuE0ELNS1_3repE0EEENS1_30default_config_static_selectorELNS0_4arch9wavefront6targetE0EEEvSZ_,"axG",@progbits,_ZN7rocprim17ROCPRIM_400000_NS6detail17trampoline_kernelINS0_13select_configILj256ELj13ELNS0_17block_load_methodE3ELS4_3ELS4_3ELNS0_20block_scan_algorithmE0ELj4294967295EEENS1_25partition_config_selectorILNS1_17partition_subalgoE3EjNS0_10empty_typeEbEEZZNS1_14partition_implILS8_3ELb0ES6_jNS0_17counting_iteratorIjlEEPS9_SE_NS0_5tupleIJPjSE_EEENSF_IJSE_SE_EEES9_SG_JZNS1_25segmented_radix_sort_implINS0_14default_configELb1EPK12hip_bfloat16PSL_PKlPlN2at6native12_GLOBAL__N_18offset_tEEE10hipError_tPvRmT1_PNSt15iterator_traitsISZ_E10value_typeET2_T3_PNS10_IS15_E10value_typeET4_jRbjT5_S1B_jjP12ihipStream_tbEUljE_EEESW_SX_SY_S15_S19_S1B_T6_T7_T9_mT8_S1D_bDpT10_ENKUlT_T0_E_clISt17integral_constantIbLb1EES1Q_EEDaS1L_S1M_EUlS1L_E_NS1_11comp_targetILNS1_3genE0ELNS1_11target_archE4294967295ELNS1_3gpuE0ELNS1_3repE0EEENS1_30default_config_static_selectorELNS0_4arch9wavefront6targetE0EEEvSZ_,comdat
	.globl	_ZN7rocprim17ROCPRIM_400000_NS6detail17trampoline_kernelINS0_13select_configILj256ELj13ELNS0_17block_load_methodE3ELS4_3ELS4_3ELNS0_20block_scan_algorithmE0ELj4294967295EEENS1_25partition_config_selectorILNS1_17partition_subalgoE3EjNS0_10empty_typeEbEEZZNS1_14partition_implILS8_3ELb0ES6_jNS0_17counting_iteratorIjlEEPS9_SE_NS0_5tupleIJPjSE_EEENSF_IJSE_SE_EEES9_SG_JZNS1_25segmented_radix_sort_implINS0_14default_configELb1EPK12hip_bfloat16PSL_PKlPlN2at6native12_GLOBAL__N_18offset_tEEE10hipError_tPvRmT1_PNSt15iterator_traitsISZ_E10value_typeET2_T3_PNS10_IS15_E10value_typeET4_jRbjT5_S1B_jjP12ihipStream_tbEUljE_EEESW_SX_SY_S15_S19_S1B_T6_T7_T9_mT8_S1D_bDpT10_ENKUlT_T0_E_clISt17integral_constantIbLb1EES1Q_EEDaS1L_S1M_EUlS1L_E_NS1_11comp_targetILNS1_3genE0ELNS1_11target_archE4294967295ELNS1_3gpuE0ELNS1_3repE0EEENS1_30default_config_static_selectorELNS0_4arch9wavefront6targetE0EEEvSZ_ ; -- Begin function _ZN7rocprim17ROCPRIM_400000_NS6detail17trampoline_kernelINS0_13select_configILj256ELj13ELNS0_17block_load_methodE3ELS4_3ELS4_3ELNS0_20block_scan_algorithmE0ELj4294967295EEENS1_25partition_config_selectorILNS1_17partition_subalgoE3EjNS0_10empty_typeEbEEZZNS1_14partition_implILS8_3ELb0ES6_jNS0_17counting_iteratorIjlEEPS9_SE_NS0_5tupleIJPjSE_EEENSF_IJSE_SE_EEES9_SG_JZNS1_25segmented_radix_sort_implINS0_14default_configELb1EPK12hip_bfloat16PSL_PKlPlN2at6native12_GLOBAL__N_18offset_tEEE10hipError_tPvRmT1_PNSt15iterator_traitsISZ_E10value_typeET2_T3_PNS10_IS15_E10value_typeET4_jRbjT5_S1B_jjP12ihipStream_tbEUljE_EEESW_SX_SY_S15_S19_S1B_T6_T7_T9_mT8_S1D_bDpT10_ENKUlT_T0_E_clISt17integral_constantIbLb1EES1Q_EEDaS1L_S1M_EUlS1L_E_NS1_11comp_targetILNS1_3genE0ELNS1_11target_archE4294967295ELNS1_3gpuE0ELNS1_3repE0EEENS1_30default_config_static_selectorELNS0_4arch9wavefront6targetE0EEEvSZ_
	.p2align	8
	.type	_ZN7rocprim17ROCPRIM_400000_NS6detail17trampoline_kernelINS0_13select_configILj256ELj13ELNS0_17block_load_methodE3ELS4_3ELS4_3ELNS0_20block_scan_algorithmE0ELj4294967295EEENS1_25partition_config_selectorILNS1_17partition_subalgoE3EjNS0_10empty_typeEbEEZZNS1_14partition_implILS8_3ELb0ES6_jNS0_17counting_iteratorIjlEEPS9_SE_NS0_5tupleIJPjSE_EEENSF_IJSE_SE_EEES9_SG_JZNS1_25segmented_radix_sort_implINS0_14default_configELb1EPK12hip_bfloat16PSL_PKlPlN2at6native12_GLOBAL__N_18offset_tEEE10hipError_tPvRmT1_PNSt15iterator_traitsISZ_E10value_typeET2_T3_PNS10_IS15_E10value_typeET4_jRbjT5_S1B_jjP12ihipStream_tbEUljE_EEESW_SX_SY_S15_S19_S1B_T6_T7_T9_mT8_S1D_bDpT10_ENKUlT_T0_E_clISt17integral_constantIbLb1EES1Q_EEDaS1L_S1M_EUlS1L_E_NS1_11comp_targetILNS1_3genE0ELNS1_11target_archE4294967295ELNS1_3gpuE0ELNS1_3repE0EEENS1_30default_config_static_selectorELNS0_4arch9wavefront6targetE0EEEvSZ_,@function
_ZN7rocprim17ROCPRIM_400000_NS6detail17trampoline_kernelINS0_13select_configILj256ELj13ELNS0_17block_load_methodE3ELS4_3ELS4_3ELNS0_20block_scan_algorithmE0ELj4294967295EEENS1_25partition_config_selectorILNS1_17partition_subalgoE3EjNS0_10empty_typeEbEEZZNS1_14partition_implILS8_3ELb0ES6_jNS0_17counting_iteratorIjlEEPS9_SE_NS0_5tupleIJPjSE_EEENSF_IJSE_SE_EEES9_SG_JZNS1_25segmented_radix_sort_implINS0_14default_configELb1EPK12hip_bfloat16PSL_PKlPlN2at6native12_GLOBAL__N_18offset_tEEE10hipError_tPvRmT1_PNSt15iterator_traitsISZ_E10value_typeET2_T3_PNS10_IS15_E10value_typeET4_jRbjT5_S1B_jjP12ihipStream_tbEUljE_EEESW_SX_SY_S15_S19_S1B_T6_T7_T9_mT8_S1D_bDpT10_ENKUlT_T0_E_clISt17integral_constantIbLb1EES1Q_EEDaS1L_S1M_EUlS1L_E_NS1_11comp_targetILNS1_3genE0ELNS1_11target_archE4294967295ELNS1_3gpuE0ELNS1_3repE0EEENS1_30default_config_static_selectorELNS0_4arch9wavefront6targetE0EEEvSZ_: ; @_ZN7rocprim17ROCPRIM_400000_NS6detail17trampoline_kernelINS0_13select_configILj256ELj13ELNS0_17block_load_methodE3ELS4_3ELS4_3ELNS0_20block_scan_algorithmE0ELj4294967295EEENS1_25partition_config_selectorILNS1_17partition_subalgoE3EjNS0_10empty_typeEbEEZZNS1_14partition_implILS8_3ELb0ES6_jNS0_17counting_iteratorIjlEEPS9_SE_NS0_5tupleIJPjSE_EEENSF_IJSE_SE_EEES9_SG_JZNS1_25segmented_radix_sort_implINS0_14default_configELb1EPK12hip_bfloat16PSL_PKlPlN2at6native12_GLOBAL__N_18offset_tEEE10hipError_tPvRmT1_PNSt15iterator_traitsISZ_E10value_typeET2_T3_PNS10_IS15_E10value_typeET4_jRbjT5_S1B_jjP12ihipStream_tbEUljE_EEESW_SX_SY_S15_S19_S1B_T6_T7_T9_mT8_S1D_bDpT10_ENKUlT_T0_E_clISt17integral_constantIbLb1EES1Q_EEDaS1L_S1M_EUlS1L_E_NS1_11comp_targetILNS1_3genE0ELNS1_11target_archE4294967295ELNS1_3gpuE0ELNS1_3repE0EEENS1_30default_config_static_selectorELNS0_4arch9wavefront6targetE0EEEvSZ_
; %bb.0:
	s_endpgm
	.section	.rodata,"a",@progbits
	.p2align	6, 0x0
	.amdhsa_kernel _ZN7rocprim17ROCPRIM_400000_NS6detail17trampoline_kernelINS0_13select_configILj256ELj13ELNS0_17block_load_methodE3ELS4_3ELS4_3ELNS0_20block_scan_algorithmE0ELj4294967295EEENS1_25partition_config_selectorILNS1_17partition_subalgoE3EjNS0_10empty_typeEbEEZZNS1_14partition_implILS8_3ELb0ES6_jNS0_17counting_iteratorIjlEEPS9_SE_NS0_5tupleIJPjSE_EEENSF_IJSE_SE_EEES9_SG_JZNS1_25segmented_radix_sort_implINS0_14default_configELb1EPK12hip_bfloat16PSL_PKlPlN2at6native12_GLOBAL__N_18offset_tEEE10hipError_tPvRmT1_PNSt15iterator_traitsISZ_E10value_typeET2_T3_PNS10_IS15_E10value_typeET4_jRbjT5_S1B_jjP12ihipStream_tbEUljE_EEESW_SX_SY_S15_S19_S1B_T6_T7_T9_mT8_S1D_bDpT10_ENKUlT_T0_E_clISt17integral_constantIbLb1EES1Q_EEDaS1L_S1M_EUlS1L_E_NS1_11comp_targetILNS1_3genE0ELNS1_11target_archE4294967295ELNS1_3gpuE0ELNS1_3repE0EEENS1_30default_config_static_selectorELNS0_4arch9wavefront6targetE0EEEvSZ_
		.amdhsa_group_segment_fixed_size 0
		.amdhsa_private_segment_fixed_size 0
		.amdhsa_kernarg_size 152
		.amdhsa_user_sgpr_count 2
		.amdhsa_user_sgpr_dispatch_ptr 0
		.amdhsa_user_sgpr_queue_ptr 0
		.amdhsa_user_sgpr_kernarg_segment_ptr 1
		.amdhsa_user_sgpr_dispatch_id 0
		.amdhsa_user_sgpr_kernarg_preload_length 0
		.amdhsa_user_sgpr_kernarg_preload_offset 0
		.amdhsa_user_sgpr_private_segment_size 0
		.amdhsa_wavefront_size32 1
		.amdhsa_uses_dynamic_stack 0
		.amdhsa_enable_private_segment 0
		.amdhsa_system_sgpr_workgroup_id_x 1
		.amdhsa_system_sgpr_workgroup_id_y 0
		.amdhsa_system_sgpr_workgroup_id_z 0
		.amdhsa_system_sgpr_workgroup_info 0
		.amdhsa_system_vgpr_workitem_id 0
		.amdhsa_next_free_vgpr 1
		.amdhsa_next_free_sgpr 1
		.amdhsa_named_barrier_count 0
		.amdhsa_reserve_vcc 0
		.amdhsa_float_round_mode_32 0
		.amdhsa_float_round_mode_16_64 0
		.amdhsa_float_denorm_mode_32 3
		.amdhsa_float_denorm_mode_16_64 3
		.amdhsa_fp16_overflow 0
		.amdhsa_memory_ordered 1
		.amdhsa_forward_progress 1
		.amdhsa_inst_pref_size 1
		.amdhsa_round_robin_scheduling 0
		.amdhsa_exception_fp_ieee_invalid_op 0
		.amdhsa_exception_fp_denorm_src 0
		.amdhsa_exception_fp_ieee_div_zero 0
		.amdhsa_exception_fp_ieee_overflow 0
		.amdhsa_exception_fp_ieee_underflow 0
		.amdhsa_exception_fp_ieee_inexact 0
		.amdhsa_exception_int_div_zero 0
	.end_amdhsa_kernel
	.section	.text._ZN7rocprim17ROCPRIM_400000_NS6detail17trampoline_kernelINS0_13select_configILj256ELj13ELNS0_17block_load_methodE3ELS4_3ELS4_3ELNS0_20block_scan_algorithmE0ELj4294967295EEENS1_25partition_config_selectorILNS1_17partition_subalgoE3EjNS0_10empty_typeEbEEZZNS1_14partition_implILS8_3ELb0ES6_jNS0_17counting_iteratorIjlEEPS9_SE_NS0_5tupleIJPjSE_EEENSF_IJSE_SE_EEES9_SG_JZNS1_25segmented_radix_sort_implINS0_14default_configELb1EPK12hip_bfloat16PSL_PKlPlN2at6native12_GLOBAL__N_18offset_tEEE10hipError_tPvRmT1_PNSt15iterator_traitsISZ_E10value_typeET2_T3_PNS10_IS15_E10value_typeET4_jRbjT5_S1B_jjP12ihipStream_tbEUljE_EEESW_SX_SY_S15_S19_S1B_T6_T7_T9_mT8_S1D_bDpT10_ENKUlT_T0_E_clISt17integral_constantIbLb1EES1Q_EEDaS1L_S1M_EUlS1L_E_NS1_11comp_targetILNS1_3genE0ELNS1_11target_archE4294967295ELNS1_3gpuE0ELNS1_3repE0EEENS1_30default_config_static_selectorELNS0_4arch9wavefront6targetE0EEEvSZ_,"axG",@progbits,_ZN7rocprim17ROCPRIM_400000_NS6detail17trampoline_kernelINS0_13select_configILj256ELj13ELNS0_17block_load_methodE3ELS4_3ELS4_3ELNS0_20block_scan_algorithmE0ELj4294967295EEENS1_25partition_config_selectorILNS1_17partition_subalgoE3EjNS0_10empty_typeEbEEZZNS1_14partition_implILS8_3ELb0ES6_jNS0_17counting_iteratorIjlEEPS9_SE_NS0_5tupleIJPjSE_EEENSF_IJSE_SE_EEES9_SG_JZNS1_25segmented_radix_sort_implINS0_14default_configELb1EPK12hip_bfloat16PSL_PKlPlN2at6native12_GLOBAL__N_18offset_tEEE10hipError_tPvRmT1_PNSt15iterator_traitsISZ_E10value_typeET2_T3_PNS10_IS15_E10value_typeET4_jRbjT5_S1B_jjP12ihipStream_tbEUljE_EEESW_SX_SY_S15_S19_S1B_T6_T7_T9_mT8_S1D_bDpT10_ENKUlT_T0_E_clISt17integral_constantIbLb1EES1Q_EEDaS1L_S1M_EUlS1L_E_NS1_11comp_targetILNS1_3genE0ELNS1_11target_archE4294967295ELNS1_3gpuE0ELNS1_3repE0EEENS1_30default_config_static_selectorELNS0_4arch9wavefront6targetE0EEEvSZ_,comdat
.Lfunc_end1912:
	.size	_ZN7rocprim17ROCPRIM_400000_NS6detail17trampoline_kernelINS0_13select_configILj256ELj13ELNS0_17block_load_methodE3ELS4_3ELS4_3ELNS0_20block_scan_algorithmE0ELj4294967295EEENS1_25partition_config_selectorILNS1_17partition_subalgoE3EjNS0_10empty_typeEbEEZZNS1_14partition_implILS8_3ELb0ES6_jNS0_17counting_iteratorIjlEEPS9_SE_NS0_5tupleIJPjSE_EEENSF_IJSE_SE_EEES9_SG_JZNS1_25segmented_radix_sort_implINS0_14default_configELb1EPK12hip_bfloat16PSL_PKlPlN2at6native12_GLOBAL__N_18offset_tEEE10hipError_tPvRmT1_PNSt15iterator_traitsISZ_E10value_typeET2_T3_PNS10_IS15_E10value_typeET4_jRbjT5_S1B_jjP12ihipStream_tbEUljE_EEESW_SX_SY_S15_S19_S1B_T6_T7_T9_mT8_S1D_bDpT10_ENKUlT_T0_E_clISt17integral_constantIbLb1EES1Q_EEDaS1L_S1M_EUlS1L_E_NS1_11comp_targetILNS1_3genE0ELNS1_11target_archE4294967295ELNS1_3gpuE0ELNS1_3repE0EEENS1_30default_config_static_selectorELNS0_4arch9wavefront6targetE0EEEvSZ_, .Lfunc_end1912-_ZN7rocprim17ROCPRIM_400000_NS6detail17trampoline_kernelINS0_13select_configILj256ELj13ELNS0_17block_load_methodE3ELS4_3ELS4_3ELNS0_20block_scan_algorithmE0ELj4294967295EEENS1_25partition_config_selectorILNS1_17partition_subalgoE3EjNS0_10empty_typeEbEEZZNS1_14partition_implILS8_3ELb0ES6_jNS0_17counting_iteratorIjlEEPS9_SE_NS0_5tupleIJPjSE_EEENSF_IJSE_SE_EEES9_SG_JZNS1_25segmented_radix_sort_implINS0_14default_configELb1EPK12hip_bfloat16PSL_PKlPlN2at6native12_GLOBAL__N_18offset_tEEE10hipError_tPvRmT1_PNSt15iterator_traitsISZ_E10value_typeET2_T3_PNS10_IS15_E10value_typeET4_jRbjT5_S1B_jjP12ihipStream_tbEUljE_EEESW_SX_SY_S15_S19_S1B_T6_T7_T9_mT8_S1D_bDpT10_ENKUlT_T0_E_clISt17integral_constantIbLb1EES1Q_EEDaS1L_S1M_EUlS1L_E_NS1_11comp_targetILNS1_3genE0ELNS1_11target_archE4294967295ELNS1_3gpuE0ELNS1_3repE0EEENS1_30default_config_static_selectorELNS0_4arch9wavefront6targetE0EEEvSZ_
                                        ; -- End function
	.set _ZN7rocprim17ROCPRIM_400000_NS6detail17trampoline_kernelINS0_13select_configILj256ELj13ELNS0_17block_load_methodE3ELS4_3ELS4_3ELNS0_20block_scan_algorithmE0ELj4294967295EEENS1_25partition_config_selectorILNS1_17partition_subalgoE3EjNS0_10empty_typeEbEEZZNS1_14partition_implILS8_3ELb0ES6_jNS0_17counting_iteratorIjlEEPS9_SE_NS0_5tupleIJPjSE_EEENSF_IJSE_SE_EEES9_SG_JZNS1_25segmented_radix_sort_implINS0_14default_configELb1EPK12hip_bfloat16PSL_PKlPlN2at6native12_GLOBAL__N_18offset_tEEE10hipError_tPvRmT1_PNSt15iterator_traitsISZ_E10value_typeET2_T3_PNS10_IS15_E10value_typeET4_jRbjT5_S1B_jjP12ihipStream_tbEUljE_EEESW_SX_SY_S15_S19_S1B_T6_T7_T9_mT8_S1D_bDpT10_ENKUlT_T0_E_clISt17integral_constantIbLb1EES1Q_EEDaS1L_S1M_EUlS1L_E_NS1_11comp_targetILNS1_3genE0ELNS1_11target_archE4294967295ELNS1_3gpuE0ELNS1_3repE0EEENS1_30default_config_static_selectorELNS0_4arch9wavefront6targetE0EEEvSZ_.num_vgpr, 0
	.set _ZN7rocprim17ROCPRIM_400000_NS6detail17trampoline_kernelINS0_13select_configILj256ELj13ELNS0_17block_load_methodE3ELS4_3ELS4_3ELNS0_20block_scan_algorithmE0ELj4294967295EEENS1_25partition_config_selectorILNS1_17partition_subalgoE3EjNS0_10empty_typeEbEEZZNS1_14partition_implILS8_3ELb0ES6_jNS0_17counting_iteratorIjlEEPS9_SE_NS0_5tupleIJPjSE_EEENSF_IJSE_SE_EEES9_SG_JZNS1_25segmented_radix_sort_implINS0_14default_configELb1EPK12hip_bfloat16PSL_PKlPlN2at6native12_GLOBAL__N_18offset_tEEE10hipError_tPvRmT1_PNSt15iterator_traitsISZ_E10value_typeET2_T3_PNS10_IS15_E10value_typeET4_jRbjT5_S1B_jjP12ihipStream_tbEUljE_EEESW_SX_SY_S15_S19_S1B_T6_T7_T9_mT8_S1D_bDpT10_ENKUlT_T0_E_clISt17integral_constantIbLb1EES1Q_EEDaS1L_S1M_EUlS1L_E_NS1_11comp_targetILNS1_3genE0ELNS1_11target_archE4294967295ELNS1_3gpuE0ELNS1_3repE0EEENS1_30default_config_static_selectorELNS0_4arch9wavefront6targetE0EEEvSZ_.num_agpr, 0
	.set _ZN7rocprim17ROCPRIM_400000_NS6detail17trampoline_kernelINS0_13select_configILj256ELj13ELNS0_17block_load_methodE3ELS4_3ELS4_3ELNS0_20block_scan_algorithmE0ELj4294967295EEENS1_25partition_config_selectorILNS1_17partition_subalgoE3EjNS0_10empty_typeEbEEZZNS1_14partition_implILS8_3ELb0ES6_jNS0_17counting_iteratorIjlEEPS9_SE_NS0_5tupleIJPjSE_EEENSF_IJSE_SE_EEES9_SG_JZNS1_25segmented_radix_sort_implINS0_14default_configELb1EPK12hip_bfloat16PSL_PKlPlN2at6native12_GLOBAL__N_18offset_tEEE10hipError_tPvRmT1_PNSt15iterator_traitsISZ_E10value_typeET2_T3_PNS10_IS15_E10value_typeET4_jRbjT5_S1B_jjP12ihipStream_tbEUljE_EEESW_SX_SY_S15_S19_S1B_T6_T7_T9_mT8_S1D_bDpT10_ENKUlT_T0_E_clISt17integral_constantIbLb1EES1Q_EEDaS1L_S1M_EUlS1L_E_NS1_11comp_targetILNS1_3genE0ELNS1_11target_archE4294967295ELNS1_3gpuE0ELNS1_3repE0EEENS1_30default_config_static_selectorELNS0_4arch9wavefront6targetE0EEEvSZ_.numbered_sgpr, 0
	.set _ZN7rocprim17ROCPRIM_400000_NS6detail17trampoline_kernelINS0_13select_configILj256ELj13ELNS0_17block_load_methodE3ELS4_3ELS4_3ELNS0_20block_scan_algorithmE0ELj4294967295EEENS1_25partition_config_selectorILNS1_17partition_subalgoE3EjNS0_10empty_typeEbEEZZNS1_14partition_implILS8_3ELb0ES6_jNS0_17counting_iteratorIjlEEPS9_SE_NS0_5tupleIJPjSE_EEENSF_IJSE_SE_EEES9_SG_JZNS1_25segmented_radix_sort_implINS0_14default_configELb1EPK12hip_bfloat16PSL_PKlPlN2at6native12_GLOBAL__N_18offset_tEEE10hipError_tPvRmT1_PNSt15iterator_traitsISZ_E10value_typeET2_T3_PNS10_IS15_E10value_typeET4_jRbjT5_S1B_jjP12ihipStream_tbEUljE_EEESW_SX_SY_S15_S19_S1B_T6_T7_T9_mT8_S1D_bDpT10_ENKUlT_T0_E_clISt17integral_constantIbLb1EES1Q_EEDaS1L_S1M_EUlS1L_E_NS1_11comp_targetILNS1_3genE0ELNS1_11target_archE4294967295ELNS1_3gpuE0ELNS1_3repE0EEENS1_30default_config_static_selectorELNS0_4arch9wavefront6targetE0EEEvSZ_.num_named_barrier, 0
	.set _ZN7rocprim17ROCPRIM_400000_NS6detail17trampoline_kernelINS0_13select_configILj256ELj13ELNS0_17block_load_methodE3ELS4_3ELS4_3ELNS0_20block_scan_algorithmE0ELj4294967295EEENS1_25partition_config_selectorILNS1_17partition_subalgoE3EjNS0_10empty_typeEbEEZZNS1_14partition_implILS8_3ELb0ES6_jNS0_17counting_iteratorIjlEEPS9_SE_NS0_5tupleIJPjSE_EEENSF_IJSE_SE_EEES9_SG_JZNS1_25segmented_radix_sort_implINS0_14default_configELb1EPK12hip_bfloat16PSL_PKlPlN2at6native12_GLOBAL__N_18offset_tEEE10hipError_tPvRmT1_PNSt15iterator_traitsISZ_E10value_typeET2_T3_PNS10_IS15_E10value_typeET4_jRbjT5_S1B_jjP12ihipStream_tbEUljE_EEESW_SX_SY_S15_S19_S1B_T6_T7_T9_mT8_S1D_bDpT10_ENKUlT_T0_E_clISt17integral_constantIbLb1EES1Q_EEDaS1L_S1M_EUlS1L_E_NS1_11comp_targetILNS1_3genE0ELNS1_11target_archE4294967295ELNS1_3gpuE0ELNS1_3repE0EEENS1_30default_config_static_selectorELNS0_4arch9wavefront6targetE0EEEvSZ_.private_seg_size, 0
	.set _ZN7rocprim17ROCPRIM_400000_NS6detail17trampoline_kernelINS0_13select_configILj256ELj13ELNS0_17block_load_methodE3ELS4_3ELS4_3ELNS0_20block_scan_algorithmE0ELj4294967295EEENS1_25partition_config_selectorILNS1_17partition_subalgoE3EjNS0_10empty_typeEbEEZZNS1_14partition_implILS8_3ELb0ES6_jNS0_17counting_iteratorIjlEEPS9_SE_NS0_5tupleIJPjSE_EEENSF_IJSE_SE_EEES9_SG_JZNS1_25segmented_radix_sort_implINS0_14default_configELb1EPK12hip_bfloat16PSL_PKlPlN2at6native12_GLOBAL__N_18offset_tEEE10hipError_tPvRmT1_PNSt15iterator_traitsISZ_E10value_typeET2_T3_PNS10_IS15_E10value_typeET4_jRbjT5_S1B_jjP12ihipStream_tbEUljE_EEESW_SX_SY_S15_S19_S1B_T6_T7_T9_mT8_S1D_bDpT10_ENKUlT_T0_E_clISt17integral_constantIbLb1EES1Q_EEDaS1L_S1M_EUlS1L_E_NS1_11comp_targetILNS1_3genE0ELNS1_11target_archE4294967295ELNS1_3gpuE0ELNS1_3repE0EEENS1_30default_config_static_selectorELNS0_4arch9wavefront6targetE0EEEvSZ_.uses_vcc, 0
	.set _ZN7rocprim17ROCPRIM_400000_NS6detail17trampoline_kernelINS0_13select_configILj256ELj13ELNS0_17block_load_methodE3ELS4_3ELS4_3ELNS0_20block_scan_algorithmE0ELj4294967295EEENS1_25partition_config_selectorILNS1_17partition_subalgoE3EjNS0_10empty_typeEbEEZZNS1_14partition_implILS8_3ELb0ES6_jNS0_17counting_iteratorIjlEEPS9_SE_NS0_5tupleIJPjSE_EEENSF_IJSE_SE_EEES9_SG_JZNS1_25segmented_radix_sort_implINS0_14default_configELb1EPK12hip_bfloat16PSL_PKlPlN2at6native12_GLOBAL__N_18offset_tEEE10hipError_tPvRmT1_PNSt15iterator_traitsISZ_E10value_typeET2_T3_PNS10_IS15_E10value_typeET4_jRbjT5_S1B_jjP12ihipStream_tbEUljE_EEESW_SX_SY_S15_S19_S1B_T6_T7_T9_mT8_S1D_bDpT10_ENKUlT_T0_E_clISt17integral_constantIbLb1EES1Q_EEDaS1L_S1M_EUlS1L_E_NS1_11comp_targetILNS1_3genE0ELNS1_11target_archE4294967295ELNS1_3gpuE0ELNS1_3repE0EEENS1_30default_config_static_selectorELNS0_4arch9wavefront6targetE0EEEvSZ_.uses_flat_scratch, 0
	.set _ZN7rocprim17ROCPRIM_400000_NS6detail17trampoline_kernelINS0_13select_configILj256ELj13ELNS0_17block_load_methodE3ELS4_3ELS4_3ELNS0_20block_scan_algorithmE0ELj4294967295EEENS1_25partition_config_selectorILNS1_17partition_subalgoE3EjNS0_10empty_typeEbEEZZNS1_14partition_implILS8_3ELb0ES6_jNS0_17counting_iteratorIjlEEPS9_SE_NS0_5tupleIJPjSE_EEENSF_IJSE_SE_EEES9_SG_JZNS1_25segmented_radix_sort_implINS0_14default_configELb1EPK12hip_bfloat16PSL_PKlPlN2at6native12_GLOBAL__N_18offset_tEEE10hipError_tPvRmT1_PNSt15iterator_traitsISZ_E10value_typeET2_T3_PNS10_IS15_E10value_typeET4_jRbjT5_S1B_jjP12ihipStream_tbEUljE_EEESW_SX_SY_S15_S19_S1B_T6_T7_T9_mT8_S1D_bDpT10_ENKUlT_T0_E_clISt17integral_constantIbLb1EES1Q_EEDaS1L_S1M_EUlS1L_E_NS1_11comp_targetILNS1_3genE0ELNS1_11target_archE4294967295ELNS1_3gpuE0ELNS1_3repE0EEENS1_30default_config_static_selectorELNS0_4arch9wavefront6targetE0EEEvSZ_.has_dyn_sized_stack, 0
	.set _ZN7rocprim17ROCPRIM_400000_NS6detail17trampoline_kernelINS0_13select_configILj256ELj13ELNS0_17block_load_methodE3ELS4_3ELS4_3ELNS0_20block_scan_algorithmE0ELj4294967295EEENS1_25partition_config_selectorILNS1_17partition_subalgoE3EjNS0_10empty_typeEbEEZZNS1_14partition_implILS8_3ELb0ES6_jNS0_17counting_iteratorIjlEEPS9_SE_NS0_5tupleIJPjSE_EEENSF_IJSE_SE_EEES9_SG_JZNS1_25segmented_radix_sort_implINS0_14default_configELb1EPK12hip_bfloat16PSL_PKlPlN2at6native12_GLOBAL__N_18offset_tEEE10hipError_tPvRmT1_PNSt15iterator_traitsISZ_E10value_typeET2_T3_PNS10_IS15_E10value_typeET4_jRbjT5_S1B_jjP12ihipStream_tbEUljE_EEESW_SX_SY_S15_S19_S1B_T6_T7_T9_mT8_S1D_bDpT10_ENKUlT_T0_E_clISt17integral_constantIbLb1EES1Q_EEDaS1L_S1M_EUlS1L_E_NS1_11comp_targetILNS1_3genE0ELNS1_11target_archE4294967295ELNS1_3gpuE0ELNS1_3repE0EEENS1_30default_config_static_selectorELNS0_4arch9wavefront6targetE0EEEvSZ_.has_recursion, 0
	.set _ZN7rocprim17ROCPRIM_400000_NS6detail17trampoline_kernelINS0_13select_configILj256ELj13ELNS0_17block_load_methodE3ELS4_3ELS4_3ELNS0_20block_scan_algorithmE0ELj4294967295EEENS1_25partition_config_selectorILNS1_17partition_subalgoE3EjNS0_10empty_typeEbEEZZNS1_14partition_implILS8_3ELb0ES6_jNS0_17counting_iteratorIjlEEPS9_SE_NS0_5tupleIJPjSE_EEENSF_IJSE_SE_EEES9_SG_JZNS1_25segmented_radix_sort_implINS0_14default_configELb1EPK12hip_bfloat16PSL_PKlPlN2at6native12_GLOBAL__N_18offset_tEEE10hipError_tPvRmT1_PNSt15iterator_traitsISZ_E10value_typeET2_T3_PNS10_IS15_E10value_typeET4_jRbjT5_S1B_jjP12ihipStream_tbEUljE_EEESW_SX_SY_S15_S19_S1B_T6_T7_T9_mT8_S1D_bDpT10_ENKUlT_T0_E_clISt17integral_constantIbLb1EES1Q_EEDaS1L_S1M_EUlS1L_E_NS1_11comp_targetILNS1_3genE0ELNS1_11target_archE4294967295ELNS1_3gpuE0ELNS1_3repE0EEENS1_30default_config_static_selectorELNS0_4arch9wavefront6targetE0EEEvSZ_.has_indirect_call, 0
	.section	.AMDGPU.csdata,"",@progbits
; Kernel info:
; codeLenInByte = 4
; TotalNumSgprs: 0
; NumVgprs: 0
; ScratchSize: 0
; MemoryBound: 0
; FloatMode: 240
; IeeeMode: 1
; LDSByteSize: 0 bytes/workgroup (compile time only)
; SGPRBlocks: 0
; VGPRBlocks: 0
; NumSGPRsForWavesPerEU: 1
; NumVGPRsForWavesPerEU: 1
; NamedBarCnt: 0
; Occupancy: 16
; WaveLimiterHint : 0
; COMPUTE_PGM_RSRC2:SCRATCH_EN: 0
; COMPUTE_PGM_RSRC2:USER_SGPR: 2
; COMPUTE_PGM_RSRC2:TRAP_HANDLER: 0
; COMPUTE_PGM_RSRC2:TGID_X_EN: 1
; COMPUTE_PGM_RSRC2:TGID_Y_EN: 0
; COMPUTE_PGM_RSRC2:TGID_Z_EN: 0
; COMPUTE_PGM_RSRC2:TIDIG_COMP_CNT: 0
	.section	.text._ZN7rocprim17ROCPRIM_400000_NS6detail17trampoline_kernelINS0_13select_configILj256ELj13ELNS0_17block_load_methodE3ELS4_3ELS4_3ELNS0_20block_scan_algorithmE0ELj4294967295EEENS1_25partition_config_selectorILNS1_17partition_subalgoE3EjNS0_10empty_typeEbEEZZNS1_14partition_implILS8_3ELb0ES6_jNS0_17counting_iteratorIjlEEPS9_SE_NS0_5tupleIJPjSE_EEENSF_IJSE_SE_EEES9_SG_JZNS1_25segmented_radix_sort_implINS0_14default_configELb1EPK12hip_bfloat16PSL_PKlPlN2at6native12_GLOBAL__N_18offset_tEEE10hipError_tPvRmT1_PNSt15iterator_traitsISZ_E10value_typeET2_T3_PNS10_IS15_E10value_typeET4_jRbjT5_S1B_jjP12ihipStream_tbEUljE_EEESW_SX_SY_S15_S19_S1B_T6_T7_T9_mT8_S1D_bDpT10_ENKUlT_T0_E_clISt17integral_constantIbLb1EES1Q_EEDaS1L_S1M_EUlS1L_E_NS1_11comp_targetILNS1_3genE5ELNS1_11target_archE942ELNS1_3gpuE9ELNS1_3repE0EEENS1_30default_config_static_selectorELNS0_4arch9wavefront6targetE0EEEvSZ_,"axG",@progbits,_ZN7rocprim17ROCPRIM_400000_NS6detail17trampoline_kernelINS0_13select_configILj256ELj13ELNS0_17block_load_methodE3ELS4_3ELS4_3ELNS0_20block_scan_algorithmE0ELj4294967295EEENS1_25partition_config_selectorILNS1_17partition_subalgoE3EjNS0_10empty_typeEbEEZZNS1_14partition_implILS8_3ELb0ES6_jNS0_17counting_iteratorIjlEEPS9_SE_NS0_5tupleIJPjSE_EEENSF_IJSE_SE_EEES9_SG_JZNS1_25segmented_radix_sort_implINS0_14default_configELb1EPK12hip_bfloat16PSL_PKlPlN2at6native12_GLOBAL__N_18offset_tEEE10hipError_tPvRmT1_PNSt15iterator_traitsISZ_E10value_typeET2_T3_PNS10_IS15_E10value_typeET4_jRbjT5_S1B_jjP12ihipStream_tbEUljE_EEESW_SX_SY_S15_S19_S1B_T6_T7_T9_mT8_S1D_bDpT10_ENKUlT_T0_E_clISt17integral_constantIbLb1EES1Q_EEDaS1L_S1M_EUlS1L_E_NS1_11comp_targetILNS1_3genE5ELNS1_11target_archE942ELNS1_3gpuE9ELNS1_3repE0EEENS1_30default_config_static_selectorELNS0_4arch9wavefront6targetE0EEEvSZ_,comdat
	.globl	_ZN7rocprim17ROCPRIM_400000_NS6detail17trampoline_kernelINS0_13select_configILj256ELj13ELNS0_17block_load_methodE3ELS4_3ELS4_3ELNS0_20block_scan_algorithmE0ELj4294967295EEENS1_25partition_config_selectorILNS1_17partition_subalgoE3EjNS0_10empty_typeEbEEZZNS1_14partition_implILS8_3ELb0ES6_jNS0_17counting_iteratorIjlEEPS9_SE_NS0_5tupleIJPjSE_EEENSF_IJSE_SE_EEES9_SG_JZNS1_25segmented_radix_sort_implINS0_14default_configELb1EPK12hip_bfloat16PSL_PKlPlN2at6native12_GLOBAL__N_18offset_tEEE10hipError_tPvRmT1_PNSt15iterator_traitsISZ_E10value_typeET2_T3_PNS10_IS15_E10value_typeET4_jRbjT5_S1B_jjP12ihipStream_tbEUljE_EEESW_SX_SY_S15_S19_S1B_T6_T7_T9_mT8_S1D_bDpT10_ENKUlT_T0_E_clISt17integral_constantIbLb1EES1Q_EEDaS1L_S1M_EUlS1L_E_NS1_11comp_targetILNS1_3genE5ELNS1_11target_archE942ELNS1_3gpuE9ELNS1_3repE0EEENS1_30default_config_static_selectorELNS0_4arch9wavefront6targetE0EEEvSZ_ ; -- Begin function _ZN7rocprim17ROCPRIM_400000_NS6detail17trampoline_kernelINS0_13select_configILj256ELj13ELNS0_17block_load_methodE3ELS4_3ELS4_3ELNS0_20block_scan_algorithmE0ELj4294967295EEENS1_25partition_config_selectorILNS1_17partition_subalgoE3EjNS0_10empty_typeEbEEZZNS1_14partition_implILS8_3ELb0ES6_jNS0_17counting_iteratorIjlEEPS9_SE_NS0_5tupleIJPjSE_EEENSF_IJSE_SE_EEES9_SG_JZNS1_25segmented_radix_sort_implINS0_14default_configELb1EPK12hip_bfloat16PSL_PKlPlN2at6native12_GLOBAL__N_18offset_tEEE10hipError_tPvRmT1_PNSt15iterator_traitsISZ_E10value_typeET2_T3_PNS10_IS15_E10value_typeET4_jRbjT5_S1B_jjP12ihipStream_tbEUljE_EEESW_SX_SY_S15_S19_S1B_T6_T7_T9_mT8_S1D_bDpT10_ENKUlT_T0_E_clISt17integral_constantIbLb1EES1Q_EEDaS1L_S1M_EUlS1L_E_NS1_11comp_targetILNS1_3genE5ELNS1_11target_archE942ELNS1_3gpuE9ELNS1_3repE0EEENS1_30default_config_static_selectorELNS0_4arch9wavefront6targetE0EEEvSZ_
	.p2align	8
	.type	_ZN7rocprim17ROCPRIM_400000_NS6detail17trampoline_kernelINS0_13select_configILj256ELj13ELNS0_17block_load_methodE3ELS4_3ELS4_3ELNS0_20block_scan_algorithmE0ELj4294967295EEENS1_25partition_config_selectorILNS1_17partition_subalgoE3EjNS0_10empty_typeEbEEZZNS1_14partition_implILS8_3ELb0ES6_jNS0_17counting_iteratorIjlEEPS9_SE_NS0_5tupleIJPjSE_EEENSF_IJSE_SE_EEES9_SG_JZNS1_25segmented_radix_sort_implINS0_14default_configELb1EPK12hip_bfloat16PSL_PKlPlN2at6native12_GLOBAL__N_18offset_tEEE10hipError_tPvRmT1_PNSt15iterator_traitsISZ_E10value_typeET2_T3_PNS10_IS15_E10value_typeET4_jRbjT5_S1B_jjP12ihipStream_tbEUljE_EEESW_SX_SY_S15_S19_S1B_T6_T7_T9_mT8_S1D_bDpT10_ENKUlT_T0_E_clISt17integral_constantIbLb1EES1Q_EEDaS1L_S1M_EUlS1L_E_NS1_11comp_targetILNS1_3genE5ELNS1_11target_archE942ELNS1_3gpuE9ELNS1_3repE0EEENS1_30default_config_static_selectorELNS0_4arch9wavefront6targetE0EEEvSZ_,@function
_ZN7rocprim17ROCPRIM_400000_NS6detail17trampoline_kernelINS0_13select_configILj256ELj13ELNS0_17block_load_methodE3ELS4_3ELS4_3ELNS0_20block_scan_algorithmE0ELj4294967295EEENS1_25partition_config_selectorILNS1_17partition_subalgoE3EjNS0_10empty_typeEbEEZZNS1_14partition_implILS8_3ELb0ES6_jNS0_17counting_iteratorIjlEEPS9_SE_NS0_5tupleIJPjSE_EEENSF_IJSE_SE_EEES9_SG_JZNS1_25segmented_radix_sort_implINS0_14default_configELb1EPK12hip_bfloat16PSL_PKlPlN2at6native12_GLOBAL__N_18offset_tEEE10hipError_tPvRmT1_PNSt15iterator_traitsISZ_E10value_typeET2_T3_PNS10_IS15_E10value_typeET4_jRbjT5_S1B_jjP12ihipStream_tbEUljE_EEESW_SX_SY_S15_S19_S1B_T6_T7_T9_mT8_S1D_bDpT10_ENKUlT_T0_E_clISt17integral_constantIbLb1EES1Q_EEDaS1L_S1M_EUlS1L_E_NS1_11comp_targetILNS1_3genE5ELNS1_11target_archE942ELNS1_3gpuE9ELNS1_3repE0EEENS1_30default_config_static_selectorELNS0_4arch9wavefront6targetE0EEEvSZ_: ; @_ZN7rocprim17ROCPRIM_400000_NS6detail17trampoline_kernelINS0_13select_configILj256ELj13ELNS0_17block_load_methodE3ELS4_3ELS4_3ELNS0_20block_scan_algorithmE0ELj4294967295EEENS1_25partition_config_selectorILNS1_17partition_subalgoE3EjNS0_10empty_typeEbEEZZNS1_14partition_implILS8_3ELb0ES6_jNS0_17counting_iteratorIjlEEPS9_SE_NS0_5tupleIJPjSE_EEENSF_IJSE_SE_EEES9_SG_JZNS1_25segmented_radix_sort_implINS0_14default_configELb1EPK12hip_bfloat16PSL_PKlPlN2at6native12_GLOBAL__N_18offset_tEEE10hipError_tPvRmT1_PNSt15iterator_traitsISZ_E10value_typeET2_T3_PNS10_IS15_E10value_typeET4_jRbjT5_S1B_jjP12ihipStream_tbEUljE_EEESW_SX_SY_S15_S19_S1B_T6_T7_T9_mT8_S1D_bDpT10_ENKUlT_T0_E_clISt17integral_constantIbLb1EES1Q_EEDaS1L_S1M_EUlS1L_E_NS1_11comp_targetILNS1_3genE5ELNS1_11target_archE942ELNS1_3gpuE9ELNS1_3repE0EEENS1_30default_config_static_selectorELNS0_4arch9wavefront6targetE0EEEvSZ_
; %bb.0:
	.section	.rodata,"a",@progbits
	.p2align	6, 0x0
	.amdhsa_kernel _ZN7rocprim17ROCPRIM_400000_NS6detail17trampoline_kernelINS0_13select_configILj256ELj13ELNS0_17block_load_methodE3ELS4_3ELS4_3ELNS0_20block_scan_algorithmE0ELj4294967295EEENS1_25partition_config_selectorILNS1_17partition_subalgoE3EjNS0_10empty_typeEbEEZZNS1_14partition_implILS8_3ELb0ES6_jNS0_17counting_iteratorIjlEEPS9_SE_NS0_5tupleIJPjSE_EEENSF_IJSE_SE_EEES9_SG_JZNS1_25segmented_radix_sort_implINS0_14default_configELb1EPK12hip_bfloat16PSL_PKlPlN2at6native12_GLOBAL__N_18offset_tEEE10hipError_tPvRmT1_PNSt15iterator_traitsISZ_E10value_typeET2_T3_PNS10_IS15_E10value_typeET4_jRbjT5_S1B_jjP12ihipStream_tbEUljE_EEESW_SX_SY_S15_S19_S1B_T6_T7_T9_mT8_S1D_bDpT10_ENKUlT_T0_E_clISt17integral_constantIbLb1EES1Q_EEDaS1L_S1M_EUlS1L_E_NS1_11comp_targetILNS1_3genE5ELNS1_11target_archE942ELNS1_3gpuE9ELNS1_3repE0EEENS1_30default_config_static_selectorELNS0_4arch9wavefront6targetE0EEEvSZ_
		.amdhsa_group_segment_fixed_size 0
		.amdhsa_private_segment_fixed_size 0
		.amdhsa_kernarg_size 152
		.amdhsa_user_sgpr_count 2
		.amdhsa_user_sgpr_dispatch_ptr 0
		.amdhsa_user_sgpr_queue_ptr 0
		.amdhsa_user_sgpr_kernarg_segment_ptr 1
		.amdhsa_user_sgpr_dispatch_id 0
		.amdhsa_user_sgpr_kernarg_preload_length 0
		.amdhsa_user_sgpr_kernarg_preload_offset 0
		.amdhsa_user_sgpr_private_segment_size 0
		.amdhsa_wavefront_size32 1
		.amdhsa_uses_dynamic_stack 0
		.amdhsa_enable_private_segment 0
		.amdhsa_system_sgpr_workgroup_id_x 1
		.amdhsa_system_sgpr_workgroup_id_y 0
		.amdhsa_system_sgpr_workgroup_id_z 0
		.amdhsa_system_sgpr_workgroup_info 0
		.amdhsa_system_vgpr_workitem_id 0
		.amdhsa_next_free_vgpr 1
		.amdhsa_next_free_sgpr 1
		.amdhsa_named_barrier_count 0
		.amdhsa_reserve_vcc 0
		.amdhsa_float_round_mode_32 0
		.amdhsa_float_round_mode_16_64 0
		.amdhsa_float_denorm_mode_32 3
		.amdhsa_float_denorm_mode_16_64 3
		.amdhsa_fp16_overflow 0
		.amdhsa_memory_ordered 1
		.amdhsa_forward_progress 1
		.amdhsa_inst_pref_size 0
		.amdhsa_round_robin_scheduling 0
		.amdhsa_exception_fp_ieee_invalid_op 0
		.amdhsa_exception_fp_denorm_src 0
		.amdhsa_exception_fp_ieee_div_zero 0
		.amdhsa_exception_fp_ieee_overflow 0
		.amdhsa_exception_fp_ieee_underflow 0
		.amdhsa_exception_fp_ieee_inexact 0
		.amdhsa_exception_int_div_zero 0
	.end_amdhsa_kernel
	.section	.text._ZN7rocprim17ROCPRIM_400000_NS6detail17trampoline_kernelINS0_13select_configILj256ELj13ELNS0_17block_load_methodE3ELS4_3ELS4_3ELNS0_20block_scan_algorithmE0ELj4294967295EEENS1_25partition_config_selectorILNS1_17partition_subalgoE3EjNS0_10empty_typeEbEEZZNS1_14partition_implILS8_3ELb0ES6_jNS0_17counting_iteratorIjlEEPS9_SE_NS0_5tupleIJPjSE_EEENSF_IJSE_SE_EEES9_SG_JZNS1_25segmented_radix_sort_implINS0_14default_configELb1EPK12hip_bfloat16PSL_PKlPlN2at6native12_GLOBAL__N_18offset_tEEE10hipError_tPvRmT1_PNSt15iterator_traitsISZ_E10value_typeET2_T3_PNS10_IS15_E10value_typeET4_jRbjT5_S1B_jjP12ihipStream_tbEUljE_EEESW_SX_SY_S15_S19_S1B_T6_T7_T9_mT8_S1D_bDpT10_ENKUlT_T0_E_clISt17integral_constantIbLb1EES1Q_EEDaS1L_S1M_EUlS1L_E_NS1_11comp_targetILNS1_3genE5ELNS1_11target_archE942ELNS1_3gpuE9ELNS1_3repE0EEENS1_30default_config_static_selectorELNS0_4arch9wavefront6targetE0EEEvSZ_,"axG",@progbits,_ZN7rocprim17ROCPRIM_400000_NS6detail17trampoline_kernelINS0_13select_configILj256ELj13ELNS0_17block_load_methodE3ELS4_3ELS4_3ELNS0_20block_scan_algorithmE0ELj4294967295EEENS1_25partition_config_selectorILNS1_17partition_subalgoE3EjNS0_10empty_typeEbEEZZNS1_14partition_implILS8_3ELb0ES6_jNS0_17counting_iteratorIjlEEPS9_SE_NS0_5tupleIJPjSE_EEENSF_IJSE_SE_EEES9_SG_JZNS1_25segmented_radix_sort_implINS0_14default_configELb1EPK12hip_bfloat16PSL_PKlPlN2at6native12_GLOBAL__N_18offset_tEEE10hipError_tPvRmT1_PNSt15iterator_traitsISZ_E10value_typeET2_T3_PNS10_IS15_E10value_typeET4_jRbjT5_S1B_jjP12ihipStream_tbEUljE_EEESW_SX_SY_S15_S19_S1B_T6_T7_T9_mT8_S1D_bDpT10_ENKUlT_T0_E_clISt17integral_constantIbLb1EES1Q_EEDaS1L_S1M_EUlS1L_E_NS1_11comp_targetILNS1_3genE5ELNS1_11target_archE942ELNS1_3gpuE9ELNS1_3repE0EEENS1_30default_config_static_selectorELNS0_4arch9wavefront6targetE0EEEvSZ_,comdat
.Lfunc_end1913:
	.size	_ZN7rocprim17ROCPRIM_400000_NS6detail17trampoline_kernelINS0_13select_configILj256ELj13ELNS0_17block_load_methodE3ELS4_3ELS4_3ELNS0_20block_scan_algorithmE0ELj4294967295EEENS1_25partition_config_selectorILNS1_17partition_subalgoE3EjNS0_10empty_typeEbEEZZNS1_14partition_implILS8_3ELb0ES6_jNS0_17counting_iteratorIjlEEPS9_SE_NS0_5tupleIJPjSE_EEENSF_IJSE_SE_EEES9_SG_JZNS1_25segmented_radix_sort_implINS0_14default_configELb1EPK12hip_bfloat16PSL_PKlPlN2at6native12_GLOBAL__N_18offset_tEEE10hipError_tPvRmT1_PNSt15iterator_traitsISZ_E10value_typeET2_T3_PNS10_IS15_E10value_typeET4_jRbjT5_S1B_jjP12ihipStream_tbEUljE_EEESW_SX_SY_S15_S19_S1B_T6_T7_T9_mT8_S1D_bDpT10_ENKUlT_T0_E_clISt17integral_constantIbLb1EES1Q_EEDaS1L_S1M_EUlS1L_E_NS1_11comp_targetILNS1_3genE5ELNS1_11target_archE942ELNS1_3gpuE9ELNS1_3repE0EEENS1_30default_config_static_selectorELNS0_4arch9wavefront6targetE0EEEvSZ_, .Lfunc_end1913-_ZN7rocprim17ROCPRIM_400000_NS6detail17trampoline_kernelINS0_13select_configILj256ELj13ELNS0_17block_load_methodE3ELS4_3ELS4_3ELNS0_20block_scan_algorithmE0ELj4294967295EEENS1_25partition_config_selectorILNS1_17partition_subalgoE3EjNS0_10empty_typeEbEEZZNS1_14partition_implILS8_3ELb0ES6_jNS0_17counting_iteratorIjlEEPS9_SE_NS0_5tupleIJPjSE_EEENSF_IJSE_SE_EEES9_SG_JZNS1_25segmented_radix_sort_implINS0_14default_configELb1EPK12hip_bfloat16PSL_PKlPlN2at6native12_GLOBAL__N_18offset_tEEE10hipError_tPvRmT1_PNSt15iterator_traitsISZ_E10value_typeET2_T3_PNS10_IS15_E10value_typeET4_jRbjT5_S1B_jjP12ihipStream_tbEUljE_EEESW_SX_SY_S15_S19_S1B_T6_T7_T9_mT8_S1D_bDpT10_ENKUlT_T0_E_clISt17integral_constantIbLb1EES1Q_EEDaS1L_S1M_EUlS1L_E_NS1_11comp_targetILNS1_3genE5ELNS1_11target_archE942ELNS1_3gpuE9ELNS1_3repE0EEENS1_30default_config_static_selectorELNS0_4arch9wavefront6targetE0EEEvSZ_
                                        ; -- End function
	.set _ZN7rocprim17ROCPRIM_400000_NS6detail17trampoline_kernelINS0_13select_configILj256ELj13ELNS0_17block_load_methodE3ELS4_3ELS4_3ELNS0_20block_scan_algorithmE0ELj4294967295EEENS1_25partition_config_selectorILNS1_17partition_subalgoE3EjNS0_10empty_typeEbEEZZNS1_14partition_implILS8_3ELb0ES6_jNS0_17counting_iteratorIjlEEPS9_SE_NS0_5tupleIJPjSE_EEENSF_IJSE_SE_EEES9_SG_JZNS1_25segmented_radix_sort_implINS0_14default_configELb1EPK12hip_bfloat16PSL_PKlPlN2at6native12_GLOBAL__N_18offset_tEEE10hipError_tPvRmT1_PNSt15iterator_traitsISZ_E10value_typeET2_T3_PNS10_IS15_E10value_typeET4_jRbjT5_S1B_jjP12ihipStream_tbEUljE_EEESW_SX_SY_S15_S19_S1B_T6_T7_T9_mT8_S1D_bDpT10_ENKUlT_T0_E_clISt17integral_constantIbLb1EES1Q_EEDaS1L_S1M_EUlS1L_E_NS1_11comp_targetILNS1_3genE5ELNS1_11target_archE942ELNS1_3gpuE9ELNS1_3repE0EEENS1_30default_config_static_selectorELNS0_4arch9wavefront6targetE0EEEvSZ_.num_vgpr, 0
	.set _ZN7rocprim17ROCPRIM_400000_NS6detail17trampoline_kernelINS0_13select_configILj256ELj13ELNS0_17block_load_methodE3ELS4_3ELS4_3ELNS0_20block_scan_algorithmE0ELj4294967295EEENS1_25partition_config_selectorILNS1_17partition_subalgoE3EjNS0_10empty_typeEbEEZZNS1_14partition_implILS8_3ELb0ES6_jNS0_17counting_iteratorIjlEEPS9_SE_NS0_5tupleIJPjSE_EEENSF_IJSE_SE_EEES9_SG_JZNS1_25segmented_radix_sort_implINS0_14default_configELb1EPK12hip_bfloat16PSL_PKlPlN2at6native12_GLOBAL__N_18offset_tEEE10hipError_tPvRmT1_PNSt15iterator_traitsISZ_E10value_typeET2_T3_PNS10_IS15_E10value_typeET4_jRbjT5_S1B_jjP12ihipStream_tbEUljE_EEESW_SX_SY_S15_S19_S1B_T6_T7_T9_mT8_S1D_bDpT10_ENKUlT_T0_E_clISt17integral_constantIbLb1EES1Q_EEDaS1L_S1M_EUlS1L_E_NS1_11comp_targetILNS1_3genE5ELNS1_11target_archE942ELNS1_3gpuE9ELNS1_3repE0EEENS1_30default_config_static_selectorELNS0_4arch9wavefront6targetE0EEEvSZ_.num_agpr, 0
	.set _ZN7rocprim17ROCPRIM_400000_NS6detail17trampoline_kernelINS0_13select_configILj256ELj13ELNS0_17block_load_methodE3ELS4_3ELS4_3ELNS0_20block_scan_algorithmE0ELj4294967295EEENS1_25partition_config_selectorILNS1_17partition_subalgoE3EjNS0_10empty_typeEbEEZZNS1_14partition_implILS8_3ELb0ES6_jNS0_17counting_iteratorIjlEEPS9_SE_NS0_5tupleIJPjSE_EEENSF_IJSE_SE_EEES9_SG_JZNS1_25segmented_radix_sort_implINS0_14default_configELb1EPK12hip_bfloat16PSL_PKlPlN2at6native12_GLOBAL__N_18offset_tEEE10hipError_tPvRmT1_PNSt15iterator_traitsISZ_E10value_typeET2_T3_PNS10_IS15_E10value_typeET4_jRbjT5_S1B_jjP12ihipStream_tbEUljE_EEESW_SX_SY_S15_S19_S1B_T6_T7_T9_mT8_S1D_bDpT10_ENKUlT_T0_E_clISt17integral_constantIbLb1EES1Q_EEDaS1L_S1M_EUlS1L_E_NS1_11comp_targetILNS1_3genE5ELNS1_11target_archE942ELNS1_3gpuE9ELNS1_3repE0EEENS1_30default_config_static_selectorELNS0_4arch9wavefront6targetE0EEEvSZ_.numbered_sgpr, 0
	.set _ZN7rocprim17ROCPRIM_400000_NS6detail17trampoline_kernelINS0_13select_configILj256ELj13ELNS0_17block_load_methodE3ELS4_3ELS4_3ELNS0_20block_scan_algorithmE0ELj4294967295EEENS1_25partition_config_selectorILNS1_17partition_subalgoE3EjNS0_10empty_typeEbEEZZNS1_14partition_implILS8_3ELb0ES6_jNS0_17counting_iteratorIjlEEPS9_SE_NS0_5tupleIJPjSE_EEENSF_IJSE_SE_EEES9_SG_JZNS1_25segmented_radix_sort_implINS0_14default_configELb1EPK12hip_bfloat16PSL_PKlPlN2at6native12_GLOBAL__N_18offset_tEEE10hipError_tPvRmT1_PNSt15iterator_traitsISZ_E10value_typeET2_T3_PNS10_IS15_E10value_typeET4_jRbjT5_S1B_jjP12ihipStream_tbEUljE_EEESW_SX_SY_S15_S19_S1B_T6_T7_T9_mT8_S1D_bDpT10_ENKUlT_T0_E_clISt17integral_constantIbLb1EES1Q_EEDaS1L_S1M_EUlS1L_E_NS1_11comp_targetILNS1_3genE5ELNS1_11target_archE942ELNS1_3gpuE9ELNS1_3repE0EEENS1_30default_config_static_selectorELNS0_4arch9wavefront6targetE0EEEvSZ_.num_named_barrier, 0
	.set _ZN7rocprim17ROCPRIM_400000_NS6detail17trampoline_kernelINS0_13select_configILj256ELj13ELNS0_17block_load_methodE3ELS4_3ELS4_3ELNS0_20block_scan_algorithmE0ELj4294967295EEENS1_25partition_config_selectorILNS1_17partition_subalgoE3EjNS0_10empty_typeEbEEZZNS1_14partition_implILS8_3ELb0ES6_jNS0_17counting_iteratorIjlEEPS9_SE_NS0_5tupleIJPjSE_EEENSF_IJSE_SE_EEES9_SG_JZNS1_25segmented_radix_sort_implINS0_14default_configELb1EPK12hip_bfloat16PSL_PKlPlN2at6native12_GLOBAL__N_18offset_tEEE10hipError_tPvRmT1_PNSt15iterator_traitsISZ_E10value_typeET2_T3_PNS10_IS15_E10value_typeET4_jRbjT5_S1B_jjP12ihipStream_tbEUljE_EEESW_SX_SY_S15_S19_S1B_T6_T7_T9_mT8_S1D_bDpT10_ENKUlT_T0_E_clISt17integral_constantIbLb1EES1Q_EEDaS1L_S1M_EUlS1L_E_NS1_11comp_targetILNS1_3genE5ELNS1_11target_archE942ELNS1_3gpuE9ELNS1_3repE0EEENS1_30default_config_static_selectorELNS0_4arch9wavefront6targetE0EEEvSZ_.private_seg_size, 0
	.set _ZN7rocprim17ROCPRIM_400000_NS6detail17trampoline_kernelINS0_13select_configILj256ELj13ELNS0_17block_load_methodE3ELS4_3ELS4_3ELNS0_20block_scan_algorithmE0ELj4294967295EEENS1_25partition_config_selectorILNS1_17partition_subalgoE3EjNS0_10empty_typeEbEEZZNS1_14partition_implILS8_3ELb0ES6_jNS0_17counting_iteratorIjlEEPS9_SE_NS0_5tupleIJPjSE_EEENSF_IJSE_SE_EEES9_SG_JZNS1_25segmented_radix_sort_implINS0_14default_configELb1EPK12hip_bfloat16PSL_PKlPlN2at6native12_GLOBAL__N_18offset_tEEE10hipError_tPvRmT1_PNSt15iterator_traitsISZ_E10value_typeET2_T3_PNS10_IS15_E10value_typeET4_jRbjT5_S1B_jjP12ihipStream_tbEUljE_EEESW_SX_SY_S15_S19_S1B_T6_T7_T9_mT8_S1D_bDpT10_ENKUlT_T0_E_clISt17integral_constantIbLb1EES1Q_EEDaS1L_S1M_EUlS1L_E_NS1_11comp_targetILNS1_3genE5ELNS1_11target_archE942ELNS1_3gpuE9ELNS1_3repE0EEENS1_30default_config_static_selectorELNS0_4arch9wavefront6targetE0EEEvSZ_.uses_vcc, 0
	.set _ZN7rocprim17ROCPRIM_400000_NS6detail17trampoline_kernelINS0_13select_configILj256ELj13ELNS0_17block_load_methodE3ELS4_3ELS4_3ELNS0_20block_scan_algorithmE0ELj4294967295EEENS1_25partition_config_selectorILNS1_17partition_subalgoE3EjNS0_10empty_typeEbEEZZNS1_14partition_implILS8_3ELb0ES6_jNS0_17counting_iteratorIjlEEPS9_SE_NS0_5tupleIJPjSE_EEENSF_IJSE_SE_EEES9_SG_JZNS1_25segmented_radix_sort_implINS0_14default_configELb1EPK12hip_bfloat16PSL_PKlPlN2at6native12_GLOBAL__N_18offset_tEEE10hipError_tPvRmT1_PNSt15iterator_traitsISZ_E10value_typeET2_T3_PNS10_IS15_E10value_typeET4_jRbjT5_S1B_jjP12ihipStream_tbEUljE_EEESW_SX_SY_S15_S19_S1B_T6_T7_T9_mT8_S1D_bDpT10_ENKUlT_T0_E_clISt17integral_constantIbLb1EES1Q_EEDaS1L_S1M_EUlS1L_E_NS1_11comp_targetILNS1_3genE5ELNS1_11target_archE942ELNS1_3gpuE9ELNS1_3repE0EEENS1_30default_config_static_selectorELNS0_4arch9wavefront6targetE0EEEvSZ_.uses_flat_scratch, 0
	.set _ZN7rocprim17ROCPRIM_400000_NS6detail17trampoline_kernelINS0_13select_configILj256ELj13ELNS0_17block_load_methodE3ELS4_3ELS4_3ELNS0_20block_scan_algorithmE0ELj4294967295EEENS1_25partition_config_selectorILNS1_17partition_subalgoE3EjNS0_10empty_typeEbEEZZNS1_14partition_implILS8_3ELb0ES6_jNS0_17counting_iteratorIjlEEPS9_SE_NS0_5tupleIJPjSE_EEENSF_IJSE_SE_EEES9_SG_JZNS1_25segmented_radix_sort_implINS0_14default_configELb1EPK12hip_bfloat16PSL_PKlPlN2at6native12_GLOBAL__N_18offset_tEEE10hipError_tPvRmT1_PNSt15iterator_traitsISZ_E10value_typeET2_T3_PNS10_IS15_E10value_typeET4_jRbjT5_S1B_jjP12ihipStream_tbEUljE_EEESW_SX_SY_S15_S19_S1B_T6_T7_T9_mT8_S1D_bDpT10_ENKUlT_T0_E_clISt17integral_constantIbLb1EES1Q_EEDaS1L_S1M_EUlS1L_E_NS1_11comp_targetILNS1_3genE5ELNS1_11target_archE942ELNS1_3gpuE9ELNS1_3repE0EEENS1_30default_config_static_selectorELNS0_4arch9wavefront6targetE0EEEvSZ_.has_dyn_sized_stack, 0
	.set _ZN7rocprim17ROCPRIM_400000_NS6detail17trampoline_kernelINS0_13select_configILj256ELj13ELNS0_17block_load_methodE3ELS4_3ELS4_3ELNS0_20block_scan_algorithmE0ELj4294967295EEENS1_25partition_config_selectorILNS1_17partition_subalgoE3EjNS0_10empty_typeEbEEZZNS1_14partition_implILS8_3ELb0ES6_jNS0_17counting_iteratorIjlEEPS9_SE_NS0_5tupleIJPjSE_EEENSF_IJSE_SE_EEES9_SG_JZNS1_25segmented_radix_sort_implINS0_14default_configELb1EPK12hip_bfloat16PSL_PKlPlN2at6native12_GLOBAL__N_18offset_tEEE10hipError_tPvRmT1_PNSt15iterator_traitsISZ_E10value_typeET2_T3_PNS10_IS15_E10value_typeET4_jRbjT5_S1B_jjP12ihipStream_tbEUljE_EEESW_SX_SY_S15_S19_S1B_T6_T7_T9_mT8_S1D_bDpT10_ENKUlT_T0_E_clISt17integral_constantIbLb1EES1Q_EEDaS1L_S1M_EUlS1L_E_NS1_11comp_targetILNS1_3genE5ELNS1_11target_archE942ELNS1_3gpuE9ELNS1_3repE0EEENS1_30default_config_static_selectorELNS0_4arch9wavefront6targetE0EEEvSZ_.has_recursion, 0
	.set _ZN7rocprim17ROCPRIM_400000_NS6detail17trampoline_kernelINS0_13select_configILj256ELj13ELNS0_17block_load_methodE3ELS4_3ELS4_3ELNS0_20block_scan_algorithmE0ELj4294967295EEENS1_25partition_config_selectorILNS1_17partition_subalgoE3EjNS0_10empty_typeEbEEZZNS1_14partition_implILS8_3ELb0ES6_jNS0_17counting_iteratorIjlEEPS9_SE_NS0_5tupleIJPjSE_EEENSF_IJSE_SE_EEES9_SG_JZNS1_25segmented_radix_sort_implINS0_14default_configELb1EPK12hip_bfloat16PSL_PKlPlN2at6native12_GLOBAL__N_18offset_tEEE10hipError_tPvRmT1_PNSt15iterator_traitsISZ_E10value_typeET2_T3_PNS10_IS15_E10value_typeET4_jRbjT5_S1B_jjP12ihipStream_tbEUljE_EEESW_SX_SY_S15_S19_S1B_T6_T7_T9_mT8_S1D_bDpT10_ENKUlT_T0_E_clISt17integral_constantIbLb1EES1Q_EEDaS1L_S1M_EUlS1L_E_NS1_11comp_targetILNS1_3genE5ELNS1_11target_archE942ELNS1_3gpuE9ELNS1_3repE0EEENS1_30default_config_static_selectorELNS0_4arch9wavefront6targetE0EEEvSZ_.has_indirect_call, 0
	.section	.AMDGPU.csdata,"",@progbits
; Kernel info:
; codeLenInByte = 0
; TotalNumSgprs: 0
; NumVgprs: 0
; ScratchSize: 0
; MemoryBound: 0
; FloatMode: 240
; IeeeMode: 1
; LDSByteSize: 0 bytes/workgroup (compile time only)
; SGPRBlocks: 0
; VGPRBlocks: 0
; NumSGPRsForWavesPerEU: 1
; NumVGPRsForWavesPerEU: 1
; NamedBarCnt: 0
; Occupancy: 16
; WaveLimiterHint : 0
; COMPUTE_PGM_RSRC2:SCRATCH_EN: 0
; COMPUTE_PGM_RSRC2:USER_SGPR: 2
; COMPUTE_PGM_RSRC2:TRAP_HANDLER: 0
; COMPUTE_PGM_RSRC2:TGID_X_EN: 1
; COMPUTE_PGM_RSRC2:TGID_Y_EN: 0
; COMPUTE_PGM_RSRC2:TGID_Z_EN: 0
; COMPUTE_PGM_RSRC2:TIDIG_COMP_CNT: 0
	.section	.text._ZN7rocprim17ROCPRIM_400000_NS6detail17trampoline_kernelINS0_13select_configILj256ELj13ELNS0_17block_load_methodE3ELS4_3ELS4_3ELNS0_20block_scan_algorithmE0ELj4294967295EEENS1_25partition_config_selectorILNS1_17partition_subalgoE3EjNS0_10empty_typeEbEEZZNS1_14partition_implILS8_3ELb0ES6_jNS0_17counting_iteratorIjlEEPS9_SE_NS0_5tupleIJPjSE_EEENSF_IJSE_SE_EEES9_SG_JZNS1_25segmented_radix_sort_implINS0_14default_configELb1EPK12hip_bfloat16PSL_PKlPlN2at6native12_GLOBAL__N_18offset_tEEE10hipError_tPvRmT1_PNSt15iterator_traitsISZ_E10value_typeET2_T3_PNS10_IS15_E10value_typeET4_jRbjT5_S1B_jjP12ihipStream_tbEUljE_EEESW_SX_SY_S15_S19_S1B_T6_T7_T9_mT8_S1D_bDpT10_ENKUlT_T0_E_clISt17integral_constantIbLb1EES1Q_EEDaS1L_S1M_EUlS1L_E_NS1_11comp_targetILNS1_3genE4ELNS1_11target_archE910ELNS1_3gpuE8ELNS1_3repE0EEENS1_30default_config_static_selectorELNS0_4arch9wavefront6targetE0EEEvSZ_,"axG",@progbits,_ZN7rocprim17ROCPRIM_400000_NS6detail17trampoline_kernelINS0_13select_configILj256ELj13ELNS0_17block_load_methodE3ELS4_3ELS4_3ELNS0_20block_scan_algorithmE0ELj4294967295EEENS1_25partition_config_selectorILNS1_17partition_subalgoE3EjNS0_10empty_typeEbEEZZNS1_14partition_implILS8_3ELb0ES6_jNS0_17counting_iteratorIjlEEPS9_SE_NS0_5tupleIJPjSE_EEENSF_IJSE_SE_EEES9_SG_JZNS1_25segmented_radix_sort_implINS0_14default_configELb1EPK12hip_bfloat16PSL_PKlPlN2at6native12_GLOBAL__N_18offset_tEEE10hipError_tPvRmT1_PNSt15iterator_traitsISZ_E10value_typeET2_T3_PNS10_IS15_E10value_typeET4_jRbjT5_S1B_jjP12ihipStream_tbEUljE_EEESW_SX_SY_S15_S19_S1B_T6_T7_T9_mT8_S1D_bDpT10_ENKUlT_T0_E_clISt17integral_constantIbLb1EES1Q_EEDaS1L_S1M_EUlS1L_E_NS1_11comp_targetILNS1_3genE4ELNS1_11target_archE910ELNS1_3gpuE8ELNS1_3repE0EEENS1_30default_config_static_selectorELNS0_4arch9wavefront6targetE0EEEvSZ_,comdat
	.globl	_ZN7rocprim17ROCPRIM_400000_NS6detail17trampoline_kernelINS0_13select_configILj256ELj13ELNS0_17block_load_methodE3ELS4_3ELS4_3ELNS0_20block_scan_algorithmE0ELj4294967295EEENS1_25partition_config_selectorILNS1_17partition_subalgoE3EjNS0_10empty_typeEbEEZZNS1_14partition_implILS8_3ELb0ES6_jNS0_17counting_iteratorIjlEEPS9_SE_NS0_5tupleIJPjSE_EEENSF_IJSE_SE_EEES9_SG_JZNS1_25segmented_radix_sort_implINS0_14default_configELb1EPK12hip_bfloat16PSL_PKlPlN2at6native12_GLOBAL__N_18offset_tEEE10hipError_tPvRmT1_PNSt15iterator_traitsISZ_E10value_typeET2_T3_PNS10_IS15_E10value_typeET4_jRbjT5_S1B_jjP12ihipStream_tbEUljE_EEESW_SX_SY_S15_S19_S1B_T6_T7_T9_mT8_S1D_bDpT10_ENKUlT_T0_E_clISt17integral_constantIbLb1EES1Q_EEDaS1L_S1M_EUlS1L_E_NS1_11comp_targetILNS1_3genE4ELNS1_11target_archE910ELNS1_3gpuE8ELNS1_3repE0EEENS1_30default_config_static_selectorELNS0_4arch9wavefront6targetE0EEEvSZ_ ; -- Begin function _ZN7rocprim17ROCPRIM_400000_NS6detail17trampoline_kernelINS0_13select_configILj256ELj13ELNS0_17block_load_methodE3ELS4_3ELS4_3ELNS0_20block_scan_algorithmE0ELj4294967295EEENS1_25partition_config_selectorILNS1_17partition_subalgoE3EjNS0_10empty_typeEbEEZZNS1_14partition_implILS8_3ELb0ES6_jNS0_17counting_iteratorIjlEEPS9_SE_NS0_5tupleIJPjSE_EEENSF_IJSE_SE_EEES9_SG_JZNS1_25segmented_radix_sort_implINS0_14default_configELb1EPK12hip_bfloat16PSL_PKlPlN2at6native12_GLOBAL__N_18offset_tEEE10hipError_tPvRmT1_PNSt15iterator_traitsISZ_E10value_typeET2_T3_PNS10_IS15_E10value_typeET4_jRbjT5_S1B_jjP12ihipStream_tbEUljE_EEESW_SX_SY_S15_S19_S1B_T6_T7_T9_mT8_S1D_bDpT10_ENKUlT_T0_E_clISt17integral_constantIbLb1EES1Q_EEDaS1L_S1M_EUlS1L_E_NS1_11comp_targetILNS1_3genE4ELNS1_11target_archE910ELNS1_3gpuE8ELNS1_3repE0EEENS1_30default_config_static_selectorELNS0_4arch9wavefront6targetE0EEEvSZ_
	.p2align	8
	.type	_ZN7rocprim17ROCPRIM_400000_NS6detail17trampoline_kernelINS0_13select_configILj256ELj13ELNS0_17block_load_methodE3ELS4_3ELS4_3ELNS0_20block_scan_algorithmE0ELj4294967295EEENS1_25partition_config_selectorILNS1_17partition_subalgoE3EjNS0_10empty_typeEbEEZZNS1_14partition_implILS8_3ELb0ES6_jNS0_17counting_iteratorIjlEEPS9_SE_NS0_5tupleIJPjSE_EEENSF_IJSE_SE_EEES9_SG_JZNS1_25segmented_radix_sort_implINS0_14default_configELb1EPK12hip_bfloat16PSL_PKlPlN2at6native12_GLOBAL__N_18offset_tEEE10hipError_tPvRmT1_PNSt15iterator_traitsISZ_E10value_typeET2_T3_PNS10_IS15_E10value_typeET4_jRbjT5_S1B_jjP12ihipStream_tbEUljE_EEESW_SX_SY_S15_S19_S1B_T6_T7_T9_mT8_S1D_bDpT10_ENKUlT_T0_E_clISt17integral_constantIbLb1EES1Q_EEDaS1L_S1M_EUlS1L_E_NS1_11comp_targetILNS1_3genE4ELNS1_11target_archE910ELNS1_3gpuE8ELNS1_3repE0EEENS1_30default_config_static_selectorELNS0_4arch9wavefront6targetE0EEEvSZ_,@function
_ZN7rocprim17ROCPRIM_400000_NS6detail17trampoline_kernelINS0_13select_configILj256ELj13ELNS0_17block_load_methodE3ELS4_3ELS4_3ELNS0_20block_scan_algorithmE0ELj4294967295EEENS1_25partition_config_selectorILNS1_17partition_subalgoE3EjNS0_10empty_typeEbEEZZNS1_14partition_implILS8_3ELb0ES6_jNS0_17counting_iteratorIjlEEPS9_SE_NS0_5tupleIJPjSE_EEENSF_IJSE_SE_EEES9_SG_JZNS1_25segmented_radix_sort_implINS0_14default_configELb1EPK12hip_bfloat16PSL_PKlPlN2at6native12_GLOBAL__N_18offset_tEEE10hipError_tPvRmT1_PNSt15iterator_traitsISZ_E10value_typeET2_T3_PNS10_IS15_E10value_typeET4_jRbjT5_S1B_jjP12ihipStream_tbEUljE_EEESW_SX_SY_S15_S19_S1B_T6_T7_T9_mT8_S1D_bDpT10_ENKUlT_T0_E_clISt17integral_constantIbLb1EES1Q_EEDaS1L_S1M_EUlS1L_E_NS1_11comp_targetILNS1_3genE4ELNS1_11target_archE910ELNS1_3gpuE8ELNS1_3repE0EEENS1_30default_config_static_selectorELNS0_4arch9wavefront6targetE0EEEvSZ_: ; @_ZN7rocprim17ROCPRIM_400000_NS6detail17trampoline_kernelINS0_13select_configILj256ELj13ELNS0_17block_load_methodE3ELS4_3ELS4_3ELNS0_20block_scan_algorithmE0ELj4294967295EEENS1_25partition_config_selectorILNS1_17partition_subalgoE3EjNS0_10empty_typeEbEEZZNS1_14partition_implILS8_3ELb0ES6_jNS0_17counting_iteratorIjlEEPS9_SE_NS0_5tupleIJPjSE_EEENSF_IJSE_SE_EEES9_SG_JZNS1_25segmented_radix_sort_implINS0_14default_configELb1EPK12hip_bfloat16PSL_PKlPlN2at6native12_GLOBAL__N_18offset_tEEE10hipError_tPvRmT1_PNSt15iterator_traitsISZ_E10value_typeET2_T3_PNS10_IS15_E10value_typeET4_jRbjT5_S1B_jjP12ihipStream_tbEUljE_EEESW_SX_SY_S15_S19_S1B_T6_T7_T9_mT8_S1D_bDpT10_ENKUlT_T0_E_clISt17integral_constantIbLb1EES1Q_EEDaS1L_S1M_EUlS1L_E_NS1_11comp_targetILNS1_3genE4ELNS1_11target_archE910ELNS1_3gpuE8ELNS1_3repE0EEENS1_30default_config_static_selectorELNS0_4arch9wavefront6targetE0EEEvSZ_
; %bb.0:
	.section	.rodata,"a",@progbits
	.p2align	6, 0x0
	.amdhsa_kernel _ZN7rocprim17ROCPRIM_400000_NS6detail17trampoline_kernelINS0_13select_configILj256ELj13ELNS0_17block_load_methodE3ELS4_3ELS4_3ELNS0_20block_scan_algorithmE0ELj4294967295EEENS1_25partition_config_selectorILNS1_17partition_subalgoE3EjNS0_10empty_typeEbEEZZNS1_14partition_implILS8_3ELb0ES6_jNS0_17counting_iteratorIjlEEPS9_SE_NS0_5tupleIJPjSE_EEENSF_IJSE_SE_EEES9_SG_JZNS1_25segmented_radix_sort_implINS0_14default_configELb1EPK12hip_bfloat16PSL_PKlPlN2at6native12_GLOBAL__N_18offset_tEEE10hipError_tPvRmT1_PNSt15iterator_traitsISZ_E10value_typeET2_T3_PNS10_IS15_E10value_typeET4_jRbjT5_S1B_jjP12ihipStream_tbEUljE_EEESW_SX_SY_S15_S19_S1B_T6_T7_T9_mT8_S1D_bDpT10_ENKUlT_T0_E_clISt17integral_constantIbLb1EES1Q_EEDaS1L_S1M_EUlS1L_E_NS1_11comp_targetILNS1_3genE4ELNS1_11target_archE910ELNS1_3gpuE8ELNS1_3repE0EEENS1_30default_config_static_selectorELNS0_4arch9wavefront6targetE0EEEvSZ_
		.amdhsa_group_segment_fixed_size 0
		.amdhsa_private_segment_fixed_size 0
		.amdhsa_kernarg_size 152
		.amdhsa_user_sgpr_count 2
		.amdhsa_user_sgpr_dispatch_ptr 0
		.amdhsa_user_sgpr_queue_ptr 0
		.amdhsa_user_sgpr_kernarg_segment_ptr 1
		.amdhsa_user_sgpr_dispatch_id 0
		.amdhsa_user_sgpr_kernarg_preload_length 0
		.amdhsa_user_sgpr_kernarg_preload_offset 0
		.amdhsa_user_sgpr_private_segment_size 0
		.amdhsa_wavefront_size32 1
		.amdhsa_uses_dynamic_stack 0
		.amdhsa_enable_private_segment 0
		.amdhsa_system_sgpr_workgroup_id_x 1
		.amdhsa_system_sgpr_workgroup_id_y 0
		.amdhsa_system_sgpr_workgroup_id_z 0
		.amdhsa_system_sgpr_workgroup_info 0
		.amdhsa_system_vgpr_workitem_id 0
		.amdhsa_next_free_vgpr 1
		.amdhsa_next_free_sgpr 1
		.amdhsa_named_barrier_count 0
		.amdhsa_reserve_vcc 0
		.amdhsa_float_round_mode_32 0
		.amdhsa_float_round_mode_16_64 0
		.amdhsa_float_denorm_mode_32 3
		.amdhsa_float_denorm_mode_16_64 3
		.amdhsa_fp16_overflow 0
		.amdhsa_memory_ordered 1
		.amdhsa_forward_progress 1
		.amdhsa_inst_pref_size 0
		.amdhsa_round_robin_scheduling 0
		.amdhsa_exception_fp_ieee_invalid_op 0
		.amdhsa_exception_fp_denorm_src 0
		.amdhsa_exception_fp_ieee_div_zero 0
		.amdhsa_exception_fp_ieee_overflow 0
		.amdhsa_exception_fp_ieee_underflow 0
		.amdhsa_exception_fp_ieee_inexact 0
		.amdhsa_exception_int_div_zero 0
	.end_amdhsa_kernel
	.section	.text._ZN7rocprim17ROCPRIM_400000_NS6detail17trampoline_kernelINS0_13select_configILj256ELj13ELNS0_17block_load_methodE3ELS4_3ELS4_3ELNS0_20block_scan_algorithmE0ELj4294967295EEENS1_25partition_config_selectorILNS1_17partition_subalgoE3EjNS0_10empty_typeEbEEZZNS1_14partition_implILS8_3ELb0ES6_jNS0_17counting_iteratorIjlEEPS9_SE_NS0_5tupleIJPjSE_EEENSF_IJSE_SE_EEES9_SG_JZNS1_25segmented_radix_sort_implINS0_14default_configELb1EPK12hip_bfloat16PSL_PKlPlN2at6native12_GLOBAL__N_18offset_tEEE10hipError_tPvRmT1_PNSt15iterator_traitsISZ_E10value_typeET2_T3_PNS10_IS15_E10value_typeET4_jRbjT5_S1B_jjP12ihipStream_tbEUljE_EEESW_SX_SY_S15_S19_S1B_T6_T7_T9_mT8_S1D_bDpT10_ENKUlT_T0_E_clISt17integral_constantIbLb1EES1Q_EEDaS1L_S1M_EUlS1L_E_NS1_11comp_targetILNS1_3genE4ELNS1_11target_archE910ELNS1_3gpuE8ELNS1_3repE0EEENS1_30default_config_static_selectorELNS0_4arch9wavefront6targetE0EEEvSZ_,"axG",@progbits,_ZN7rocprim17ROCPRIM_400000_NS6detail17trampoline_kernelINS0_13select_configILj256ELj13ELNS0_17block_load_methodE3ELS4_3ELS4_3ELNS0_20block_scan_algorithmE0ELj4294967295EEENS1_25partition_config_selectorILNS1_17partition_subalgoE3EjNS0_10empty_typeEbEEZZNS1_14partition_implILS8_3ELb0ES6_jNS0_17counting_iteratorIjlEEPS9_SE_NS0_5tupleIJPjSE_EEENSF_IJSE_SE_EEES9_SG_JZNS1_25segmented_radix_sort_implINS0_14default_configELb1EPK12hip_bfloat16PSL_PKlPlN2at6native12_GLOBAL__N_18offset_tEEE10hipError_tPvRmT1_PNSt15iterator_traitsISZ_E10value_typeET2_T3_PNS10_IS15_E10value_typeET4_jRbjT5_S1B_jjP12ihipStream_tbEUljE_EEESW_SX_SY_S15_S19_S1B_T6_T7_T9_mT8_S1D_bDpT10_ENKUlT_T0_E_clISt17integral_constantIbLb1EES1Q_EEDaS1L_S1M_EUlS1L_E_NS1_11comp_targetILNS1_3genE4ELNS1_11target_archE910ELNS1_3gpuE8ELNS1_3repE0EEENS1_30default_config_static_selectorELNS0_4arch9wavefront6targetE0EEEvSZ_,comdat
.Lfunc_end1914:
	.size	_ZN7rocprim17ROCPRIM_400000_NS6detail17trampoline_kernelINS0_13select_configILj256ELj13ELNS0_17block_load_methodE3ELS4_3ELS4_3ELNS0_20block_scan_algorithmE0ELj4294967295EEENS1_25partition_config_selectorILNS1_17partition_subalgoE3EjNS0_10empty_typeEbEEZZNS1_14partition_implILS8_3ELb0ES6_jNS0_17counting_iteratorIjlEEPS9_SE_NS0_5tupleIJPjSE_EEENSF_IJSE_SE_EEES9_SG_JZNS1_25segmented_radix_sort_implINS0_14default_configELb1EPK12hip_bfloat16PSL_PKlPlN2at6native12_GLOBAL__N_18offset_tEEE10hipError_tPvRmT1_PNSt15iterator_traitsISZ_E10value_typeET2_T3_PNS10_IS15_E10value_typeET4_jRbjT5_S1B_jjP12ihipStream_tbEUljE_EEESW_SX_SY_S15_S19_S1B_T6_T7_T9_mT8_S1D_bDpT10_ENKUlT_T0_E_clISt17integral_constantIbLb1EES1Q_EEDaS1L_S1M_EUlS1L_E_NS1_11comp_targetILNS1_3genE4ELNS1_11target_archE910ELNS1_3gpuE8ELNS1_3repE0EEENS1_30default_config_static_selectorELNS0_4arch9wavefront6targetE0EEEvSZ_, .Lfunc_end1914-_ZN7rocprim17ROCPRIM_400000_NS6detail17trampoline_kernelINS0_13select_configILj256ELj13ELNS0_17block_load_methodE3ELS4_3ELS4_3ELNS0_20block_scan_algorithmE0ELj4294967295EEENS1_25partition_config_selectorILNS1_17partition_subalgoE3EjNS0_10empty_typeEbEEZZNS1_14partition_implILS8_3ELb0ES6_jNS0_17counting_iteratorIjlEEPS9_SE_NS0_5tupleIJPjSE_EEENSF_IJSE_SE_EEES9_SG_JZNS1_25segmented_radix_sort_implINS0_14default_configELb1EPK12hip_bfloat16PSL_PKlPlN2at6native12_GLOBAL__N_18offset_tEEE10hipError_tPvRmT1_PNSt15iterator_traitsISZ_E10value_typeET2_T3_PNS10_IS15_E10value_typeET4_jRbjT5_S1B_jjP12ihipStream_tbEUljE_EEESW_SX_SY_S15_S19_S1B_T6_T7_T9_mT8_S1D_bDpT10_ENKUlT_T0_E_clISt17integral_constantIbLb1EES1Q_EEDaS1L_S1M_EUlS1L_E_NS1_11comp_targetILNS1_3genE4ELNS1_11target_archE910ELNS1_3gpuE8ELNS1_3repE0EEENS1_30default_config_static_selectorELNS0_4arch9wavefront6targetE0EEEvSZ_
                                        ; -- End function
	.set _ZN7rocprim17ROCPRIM_400000_NS6detail17trampoline_kernelINS0_13select_configILj256ELj13ELNS0_17block_load_methodE3ELS4_3ELS4_3ELNS0_20block_scan_algorithmE0ELj4294967295EEENS1_25partition_config_selectorILNS1_17partition_subalgoE3EjNS0_10empty_typeEbEEZZNS1_14partition_implILS8_3ELb0ES6_jNS0_17counting_iteratorIjlEEPS9_SE_NS0_5tupleIJPjSE_EEENSF_IJSE_SE_EEES9_SG_JZNS1_25segmented_radix_sort_implINS0_14default_configELb1EPK12hip_bfloat16PSL_PKlPlN2at6native12_GLOBAL__N_18offset_tEEE10hipError_tPvRmT1_PNSt15iterator_traitsISZ_E10value_typeET2_T3_PNS10_IS15_E10value_typeET4_jRbjT5_S1B_jjP12ihipStream_tbEUljE_EEESW_SX_SY_S15_S19_S1B_T6_T7_T9_mT8_S1D_bDpT10_ENKUlT_T0_E_clISt17integral_constantIbLb1EES1Q_EEDaS1L_S1M_EUlS1L_E_NS1_11comp_targetILNS1_3genE4ELNS1_11target_archE910ELNS1_3gpuE8ELNS1_3repE0EEENS1_30default_config_static_selectorELNS0_4arch9wavefront6targetE0EEEvSZ_.num_vgpr, 0
	.set _ZN7rocprim17ROCPRIM_400000_NS6detail17trampoline_kernelINS0_13select_configILj256ELj13ELNS0_17block_load_methodE3ELS4_3ELS4_3ELNS0_20block_scan_algorithmE0ELj4294967295EEENS1_25partition_config_selectorILNS1_17partition_subalgoE3EjNS0_10empty_typeEbEEZZNS1_14partition_implILS8_3ELb0ES6_jNS0_17counting_iteratorIjlEEPS9_SE_NS0_5tupleIJPjSE_EEENSF_IJSE_SE_EEES9_SG_JZNS1_25segmented_radix_sort_implINS0_14default_configELb1EPK12hip_bfloat16PSL_PKlPlN2at6native12_GLOBAL__N_18offset_tEEE10hipError_tPvRmT1_PNSt15iterator_traitsISZ_E10value_typeET2_T3_PNS10_IS15_E10value_typeET4_jRbjT5_S1B_jjP12ihipStream_tbEUljE_EEESW_SX_SY_S15_S19_S1B_T6_T7_T9_mT8_S1D_bDpT10_ENKUlT_T0_E_clISt17integral_constantIbLb1EES1Q_EEDaS1L_S1M_EUlS1L_E_NS1_11comp_targetILNS1_3genE4ELNS1_11target_archE910ELNS1_3gpuE8ELNS1_3repE0EEENS1_30default_config_static_selectorELNS0_4arch9wavefront6targetE0EEEvSZ_.num_agpr, 0
	.set _ZN7rocprim17ROCPRIM_400000_NS6detail17trampoline_kernelINS0_13select_configILj256ELj13ELNS0_17block_load_methodE3ELS4_3ELS4_3ELNS0_20block_scan_algorithmE0ELj4294967295EEENS1_25partition_config_selectorILNS1_17partition_subalgoE3EjNS0_10empty_typeEbEEZZNS1_14partition_implILS8_3ELb0ES6_jNS0_17counting_iteratorIjlEEPS9_SE_NS0_5tupleIJPjSE_EEENSF_IJSE_SE_EEES9_SG_JZNS1_25segmented_radix_sort_implINS0_14default_configELb1EPK12hip_bfloat16PSL_PKlPlN2at6native12_GLOBAL__N_18offset_tEEE10hipError_tPvRmT1_PNSt15iterator_traitsISZ_E10value_typeET2_T3_PNS10_IS15_E10value_typeET4_jRbjT5_S1B_jjP12ihipStream_tbEUljE_EEESW_SX_SY_S15_S19_S1B_T6_T7_T9_mT8_S1D_bDpT10_ENKUlT_T0_E_clISt17integral_constantIbLb1EES1Q_EEDaS1L_S1M_EUlS1L_E_NS1_11comp_targetILNS1_3genE4ELNS1_11target_archE910ELNS1_3gpuE8ELNS1_3repE0EEENS1_30default_config_static_selectorELNS0_4arch9wavefront6targetE0EEEvSZ_.numbered_sgpr, 0
	.set _ZN7rocprim17ROCPRIM_400000_NS6detail17trampoline_kernelINS0_13select_configILj256ELj13ELNS0_17block_load_methodE3ELS4_3ELS4_3ELNS0_20block_scan_algorithmE0ELj4294967295EEENS1_25partition_config_selectorILNS1_17partition_subalgoE3EjNS0_10empty_typeEbEEZZNS1_14partition_implILS8_3ELb0ES6_jNS0_17counting_iteratorIjlEEPS9_SE_NS0_5tupleIJPjSE_EEENSF_IJSE_SE_EEES9_SG_JZNS1_25segmented_radix_sort_implINS0_14default_configELb1EPK12hip_bfloat16PSL_PKlPlN2at6native12_GLOBAL__N_18offset_tEEE10hipError_tPvRmT1_PNSt15iterator_traitsISZ_E10value_typeET2_T3_PNS10_IS15_E10value_typeET4_jRbjT5_S1B_jjP12ihipStream_tbEUljE_EEESW_SX_SY_S15_S19_S1B_T6_T7_T9_mT8_S1D_bDpT10_ENKUlT_T0_E_clISt17integral_constantIbLb1EES1Q_EEDaS1L_S1M_EUlS1L_E_NS1_11comp_targetILNS1_3genE4ELNS1_11target_archE910ELNS1_3gpuE8ELNS1_3repE0EEENS1_30default_config_static_selectorELNS0_4arch9wavefront6targetE0EEEvSZ_.num_named_barrier, 0
	.set _ZN7rocprim17ROCPRIM_400000_NS6detail17trampoline_kernelINS0_13select_configILj256ELj13ELNS0_17block_load_methodE3ELS4_3ELS4_3ELNS0_20block_scan_algorithmE0ELj4294967295EEENS1_25partition_config_selectorILNS1_17partition_subalgoE3EjNS0_10empty_typeEbEEZZNS1_14partition_implILS8_3ELb0ES6_jNS0_17counting_iteratorIjlEEPS9_SE_NS0_5tupleIJPjSE_EEENSF_IJSE_SE_EEES9_SG_JZNS1_25segmented_radix_sort_implINS0_14default_configELb1EPK12hip_bfloat16PSL_PKlPlN2at6native12_GLOBAL__N_18offset_tEEE10hipError_tPvRmT1_PNSt15iterator_traitsISZ_E10value_typeET2_T3_PNS10_IS15_E10value_typeET4_jRbjT5_S1B_jjP12ihipStream_tbEUljE_EEESW_SX_SY_S15_S19_S1B_T6_T7_T9_mT8_S1D_bDpT10_ENKUlT_T0_E_clISt17integral_constantIbLb1EES1Q_EEDaS1L_S1M_EUlS1L_E_NS1_11comp_targetILNS1_3genE4ELNS1_11target_archE910ELNS1_3gpuE8ELNS1_3repE0EEENS1_30default_config_static_selectorELNS0_4arch9wavefront6targetE0EEEvSZ_.private_seg_size, 0
	.set _ZN7rocprim17ROCPRIM_400000_NS6detail17trampoline_kernelINS0_13select_configILj256ELj13ELNS0_17block_load_methodE3ELS4_3ELS4_3ELNS0_20block_scan_algorithmE0ELj4294967295EEENS1_25partition_config_selectorILNS1_17partition_subalgoE3EjNS0_10empty_typeEbEEZZNS1_14partition_implILS8_3ELb0ES6_jNS0_17counting_iteratorIjlEEPS9_SE_NS0_5tupleIJPjSE_EEENSF_IJSE_SE_EEES9_SG_JZNS1_25segmented_radix_sort_implINS0_14default_configELb1EPK12hip_bfloat16PSL_PKlPlN2at6native12_GLOBAL__N_18offset_tEEE10hipError_tPvRmT1_PNSt15iterator_traitsISZ_E10value_typeET2_T3_PNS10_IS15_E10value_typeET4_jRbjT5_S1B_jjP12ihipStream_tbEUljE_EEESW_SX_SY_S15_S19_S1B_T6_T7_T9_mT8_S1D_bDpT10_ENKUlT_T0_E_clISt17integral_constantIbLb1EES1Q_EEDaS1L_S1M_EUlS1L_E_NS1_11comp_targetILNS1_3genE4ELNS1_11target_archE910ELNS1_3gpuE8ELNS1_3repE0EEENS1_30default_config_static_selectorELNS0_4arch9wavefront6targetE0EEEvSZ_.uses_vcc, 0
	.set _ZN7rocprim17ROCPRIM_400000_NS6detail17trampoline_kernelINS0_13select_configILj256ELj13ELNS0_17block_load_methodE3ELS4_3ELS4_3ELNS0_20block_scan_algorithmE0ELj4294967295EEENS1_25partition_config_selectorILNS1_17partition_subalgoE3EjNS0_10empty_typeEbEEZZNS1_14partition_implILS8_3ELb0ES6_jNS0_17counting_iteratorIjlEEPS9_SE_NS0_5tupleIJPjSE_EEENSF_IJSE_SE_EEES9_SG_JZNS1_25segmented_radix_sort_implINS0_14default_configELb1EPK12hip_bfloat16PSL_PKlPlN2at6native12_GLOBAL__N_18offset_tEEE10hipError_tPvRmT1_PNSt15iterator_traitsISZ_E10value_typeET2_T3_PNS10_IS15_E10value_typeET4_jRbjT5_S1B_jjP12ihipStream_tbEUljE_EEESW_SX_SY_S15_S19_S1B_T6_T7_T9_mT8_S1D_bDpT10_ENKUlT_T0_E_clISt17integral_constantIbLb1EES1Q_EEDaS1L_S1M_EUlS1L_E_NS1_11comp_targetILNS1_3genE4ELNS1_11target_archE910ELNS1_3gpuE8ELNS1_3repE0EEENS1_30default_config_static_selectorELNS0_4arch9wavefront6targetE0EEEvSZ_.uses_flat_scratch, 0
	.set _ZN7rocprim17ROCPRIM_400000_NS6detail17trampoline_kernelINS0_13select_configILj256ELj13ELNS0_17block_load_methodE3ELS4_3ELS4_3ELNS0_20block_scan_algorithmE0ELj4294967295EEENS1_25partition_config_selectorILNS1_17partition_subalgoE3EjNS0_10empty_typeEbEEZZNS1_14partition_implILS8_3ELb0ES6_jNS0_17counting_iteratorIjlEEPS9_SE_NS0_5tupleIJPjSE_EEENSF_IJSE_SE_EEES9_SG_JZNS1_25segmented_radix_sort_implINS0_14default_configELb1EPK12hip_bfloat16PSL_PKlPlN2at6native12_GLOBAL__N_18offset_tEEE10hipError_tPvRmT1_PNSt15iterator_traitsISZ_E10value_typeET2_T3_PNS10_IS15_E10value_typeET4_jRbjT5_S1B_jjP12ihipStream_tbEUljE_EEESW_SX_SY_S15_S19_S1B_T6_T7_T9_mT8_S1D_bDpT10_ENKUlT_T0_E_clISt17integral_constantIbLb1EES1Q_EEDaS1L_S1M_EUlS1L_E_NS1_11comp_targetILNS1_3genE4ELNS1_11target_archE910ELNS1_3gpuE8ELNS1_3repE0EEENS1_30default_config_static_selectorELNS0_4arch9wavefront6targetE0EEEvSZ_.has_dyn_sized_stack, 0
	.set _ZN7rocprim17ROCPRIM_400000_NS6detail17trampoline_kernelINS0_13select_configILj256ELj13ELNS0_17block_load_methodE3ELS4_3ELS4_3ELNS0_20block_scan_algorithmE0ELj4294967295EEENS1_25partition_config_selectorILNS1_17partition_subalgoE3EjNS0_10empty_typeEbEEZZNS1_14partition_implILS8_3ELb0ES6_jNS0_17counting_iteratorIjlEEPS9_SE_NS0_5tupleIJPjSE_EEENSF_IJSE_SE_EEES9_SG_JZNS1_25segmented_radix_sort_implINS0_14default_configELb1EPK12hip_bfloat16PSL_PKlPlN2at6native12_GLOBAL__N_18offset_tEEE10hipError_tPvRmT1_PNSt15iterator_traitsISZ_E10value_typeET2_T3_PNS10_IS15_E10value_typeET4_jRbjT5_S1B_jjP12ihipStream_tbEUljE_EEESW_SX_SY_S15_S19_S1B_T6_T7_T9_mT8_S1D_bDpT10_ENKUlT_T0_E_clISt17integral_constantIbLb1EES1Q_EEDaS1L_S1M_EUlS1L_E_NS1_11comp_targetILNS1_3genE4ELNS1_11target_archE910ELNS1_3gpuE8ELNS1_3repE0EEENS1_30default_config_static_selectorELNS0_4arch9wavefront6targetE0EEEvSZ_.has_recursion, 0
	.set _ZN7rocprim17ROCPRIM_400000_NS6detail17trampoline_kernelINS0_13select_configILj256ELj13ELNS0_17block_load_methodE3ELS4_3ELS4_3ELNS0_20block_scan_algorithmE0ELj4294967295EEENS1_25partition_config_selectorILNS1_17partition_subalgoE3EjNS0_10empty_typeEbEEZZNS1_14partition_implILS8_3ELb0ES6_jNS0_17counting_iteratorIjlEEPS9_SE_NS0_5tupleIJPjSE_EEENSF_IJSE_SE_EEES9_SG_JZNS1_25segmented_radix_sort_implINS0_14default_configELb1EPK12hip_bfloat16PSL_PKlPlN2at6native12_GLOBAL__N_18offset_tEEE10hipError_tPvRmT1_PNSt15iterator_traitsISZ_E10value_typeET2_T3_PNS10_IS15_E10value_typeET4_jRbjT5_S1B_jjP12ihipStream_tbEUljE_EEESW_SX_SY_S15_S19_S1B_T6_T7_T9_mT8_S1D_bDpT10_ENKUlT_T0_E_clISt17integral_constantIbLb1EES1Q_EEDaS1L_S1M_EUlS1L_E_NS1_11comp_targetILNS1_3genE4ELNS1_11target_archE910ELNS1_3gpuE8ELNS1_3repE0EEENS1_30default_config_static_selectorELNS0_4arch9wavefront6targetE0EEEvSZ_.has_indirect_call, 0
	.section	.AMDGPU.csdata,"",@progbits
; Kernel info:
; codeLenInByte = 0
; TotalNumSgprs: 0
; NumVgprs: 0
; ScratchSize: 0
; MemoryBound: 0
; FloatMode: 240
; IeeeMode: 1
; LDSByteSize: 0 bytes/workgroup (compile time only)
; SGPRBlocks: 0
; VGPRBlocks: 0
; NumSGPRsForWavesPerEU: 1
; NumVGPRsForWavesPerEU: 1
; NamedBarCnt: 0
; Occupancy: 16
; WaveLimiterHint : 0
; COMPUTE_PGM_RSRC2:SCRATCH_EN: 0
; COMPUTE_PGM_RSRC2:USER_SGPR: 2
; COMPUTE_PGM_RSRC2:TRAP_HANDLER: 0
; COMPUTE_PGM_RSRC2:TGID_X_EN: 1
; COMPUTE_PGM_RSRC2:TGID_Y_EN: 0
; COMPUTE_PGM_RSRC2:TGID_Z_EN: 0
; COMPUTE_PGM_RSRC2:TIDIG_COMP_CNT: 0
	.section	.text._ZN7rocprim17ROCPRIM_400000_NS6detail17trampoline_kernelINS0_13select_configILj256ELj13ELNS0_17block_load_methodE3ELS4_3ELS4_3ELNS0_20block_scan_algorithmE0ELj4294967295EEENS1_25partition_config_selectorILNS1_17partition_subalgoE3EjNS0_10empty_typeEbEEZZNS1_14partition_implILS8_3ELb0ES6_jNS0_17counting_iteratorIjlEEPS9_SE_NS0_5tupleIJPjSE_EEENSF_IJSE_SE_EEES9_SG_JZNS1_25segmented_radix_sort_implINS0_14default_configELb1EPK12hip_bfloat16PSL_PKlPlN2at6native12_GLOBAL__N_18offset_tEEE10hipError_tPvRmT1_PNSt15iterator_traitsISZ_E10value_typeET2_T3_PNS10_IS15_E10value_typeET4_jRbjT5_S1B_jjP12ihipStream_tbEUljE_EEESW_SX_SY_S15_S19_S1B_T6_T7_T9_mT8_S1D_bDpT10_ENKUlT_T0_E_clISt17integral_constantIbLb1EES1Q_EEDaS1L_S1M_EUlS1L_E_NS1_11comp_targetILNS1_3genE3ELNS1_11target_archE908ELNS1_3gpuE7ELNS1_3repE0EEENS1_30default_config_static_selectorELNS0_4arch9wavefront6targetE0EEEvSZ_,"axG",@progbits,_ZN7rocprim17ROCPRIM_400000_NS6detail17trampoline_kernelINS0_13select_configILj256ELj13ELNS0_17block_load_methodE3ELS4_3ELS4_3ELNS0_20block_scan_algorithmE0ELj4294967295EEENS1_25partition_config_selectorILNS1_17partition_subalgoE3EjNS0_10empty_typeEbEEZZNS1_14partition_implILS8_3ELb0ES6_jNS0_17counting_iteratorIjlEEPS9_SE_NS0_5tupleIJPjSE_EEENSF_IJSE_SE_EEES9_SG_JZNS1_25segmented_radix_sort_implINS0_14default_configELb1EPK12hip_bfloat16PSL_PKlPlN2at6native12_GLOBAL__N_18offset_tEEE10hipError_tPvRmT1_PNSt15iterator_traitsISZ_E10value_typeET2_T3_PNS10_IS15_E10value_typeET4_jRbjT5_S1B_jjP12ihipStream_tbEUljE_EEESW_SX_SY_S15_S19_S1B_T6_T7_T9_mT8_S1D_bDpT10_ENKUlT_T0_E_clISt17integral_constantIbLb1EES1Q_EEDaS1L_S1M_EUlS1L_E_NS1_11comp_targetILNS1_3genE3ELNS1_11target_archE908ELNS1_3gpuE7ELNS1_3repE0EEENS1_30default_config_static_selectorELNS0_4arch9wavefront6targetE0EEEvSZ_,comdat
	.globl	_ZN7rocprim17ROCPRIM_400000_NS6detail17trampoline_kernelINS0_13select_configILj256ELj13ELNS0_17block_load_methodE3ELS4_3ELS4_3ELNS0_20block_scan_algorithmE0ELj4294967295EEENS1_25partition_config_selectorILNS1_17partition_subalgoE3EjNS0_10empty_typeEbEEZZNS1_14partition_implILS8_3ELb0ES6_jNS0_17counting_iteratorIjlEEPS9_SE_NS0_5tupleIJPjSE_EEENSF_IJSE_SE_EEES9_SG_JZNS1_25segmented_radix_sort_implINS0_14default_configELb1EPK12hip_bfloat16PSL_PKlPlN2at6native12_GLOBAL__N_18offset_tEEE10hipError_tPvRmT1_PNSt15iterator_traitsISZ_E10value_typeET2_T3_PNS10_IS15_E10value_typeET4_jRbjT5_S1B_jjP12ihipStream_tbEUljE_EEESW_SX_SY_S15_S19_S1B_T6_T7_T9_mT8_S1D_bDpT10_ENKUlT_T0_E_clISt17integral_constantIbLb1EES1Q_EEDaS1L_S1M_EUlS1L_E_NS1_11comp_targetILNS1_3genE3ELNS1_11target_archE908ELNS1_3gpuE7ELNS1_3repE0EEENS1_30default_config_static_selectorELNS0_4arch9wavefront6targetE0EEEvSZ_ ; -- Begin function _ZN7rocprim17ROCPRIM_400000_NS6detail17trampoline_kernelINS0_13select_configILj256ELj13ELNS0_17block_load_methodE3ELS4_3ELS4_3ELNS0_20block_scan_algorithmE0ELj4294967295EEENS1_25partition_config_selectorILNS1_17partition_subalgoE3EjNS0_10empty_typeEbEEZZNS1_14partition_implILS8_3ELb0ES6_jNS0_17counting_iteratorIjlEEPS9_SE_NS0_5tupleIJPjSE_EEENSF_IJSE_SE_EEES9_SG_JZNS1_25segmented_radix_sort_implINS0_14default_configELb1EPK12hip_bfloat16PSL_PKlPlN2at6native12_GLOBAL__N_18offset_tEEE10hipError_tPvRmT1_PNSt15iterator_traitsISZ_E10value_typeET2_T3_PNS10_IS15_E10value_typeET4_jRbjT5_S1B_jjP12ihipStream_tbEUljE_EEESW_SX_SY_S15_S19_S1B_T6_T7_T9_mT8_S1D_bDpT10_ENKUlT_T0_E_clISt17integral_constantIbLb1EES1Q_EEDaS1L_S1M_EUlS1L_E_NS1_11comp_targetILNS1_3genE3ELNS1_11target_archE908ELNS1_3gpuE7ELNS1_3repE0EEENS1_30default_config_static_selectorELNS0_4arch9wavefront6targetE0EEEvSZ_
	.p2align	8
	.type	_ZN7rocprim17ROCPRIM_400000_NS6detail17trampoline_kernelINS0_13select_configILj256ELj13ELNS0_17block_load_methodE3ELS4_3ELS4_3ELNS0_20block_scan_algorithmE0ELj4294967295EEENS1_25partition_config_selectorILNS1_17partition_subalgoE3EjNS0_10empty_typeEbEEZZNS1_14partition_implILS8_3ELb0ES6_jNS0_17counting_iteratorIjlEEPS9_SE_NS0_5tupleIJPjSE_EEENSF_IJSE_SE_EEES9_SG_JZNS1_25segmented_radix_sort_implINS0_14default_configELb1EPK12hip_bfloat16PSL_PKlPlN2at6native12_GLOBAL__N_18offset_tEEE10hipError_tPvRmT1_PNSt15iterator_traitsISZ_E10value_typeET2_T3_PNS10_IS15_E10value_typeET4_jRbjT5_S1B_jjP12ihipStream_tbEUljE_EEESW_SX_SY_S15_S19_S1B_T6_T7_T9_mT8_S1D_bDpT10_ENKUlT_T0_E_clISt17integral_constantIbLb1EES1Q_EEDaS1L_S1M_EUlS1L_E_NS1_11comp_targetILNS1_3genE3ELNS1_11target_archE908ELNS1_3gpuE7ELNS1_3repE0EEENS1_30default_config_static_selectorELNS0_4arch9wavefront6targetE0EEEvSZ_,@function
_ZN7rocprim17ROCPRIM_400000_NS6detail17trampoline_kernelINS0_13select_configILj256ELj13ELNS0_17block_load_methodE3ELS4_3ELS4_3ELNS0_20block_scan_algorithmE0ELj4294967295EEENS1_25partition_config_selectorILNS1_17partition_subalgoE3EjNS0_10empty_typeEbEEZZNS1_14partition_implILS8_3ELb0ES6_jNS0_17counting_iteratorIjlEEPS9_SE_NS0_5tupleIJPjSE_EEENSF_IJSE_SE_EEES9_SG_JZNS1_25segmented_radix_sort_implINS0_14default_configELb1EPK12hip_bfloat16PSL_PKlPlN2at6native12_GLOBAL__N_18offset_tEEE10hipError_tPvRmT1_PNSt15iterator_traitsISZ_E10value_typeET2_T3_PNS10_IS15_E10value_typeET4_jRbjT5_S1B_jjP12ihipStream_tbEUljE_EEESW_SX_SY_S15_S19_S1B_T6_T7_T9_mT8_S1D_bDpT10_ENKUlT_T0_E_clISt17integral_constantIbLb1EES1Q_EEDaS1L_S1M_EUlS1L_E_NS1_11comp_targetILNS1_3genE3ELNS1_11target_archE908ELNS1_3gpuE7ELNS1_3repE0EEENS1_30default_config_static_selectorELNS0_4arch9wavefront6targetE0EEEvSZ_: ; @_ZN7rocprim17ROCPRIM_400000_NS6detail17trampoline_kernelINS0_13select_configILj256ELj13ELNS0_17block_load_methodE3ELS4_3ELS4_3ELNS0_20block_scan_algorithmE0ELj4294967295EEENS1_25partition_config_selectorILNS1_17partition_subalgoE3EjNS0_10empty_typeEbEEZZNS1_14partition_implILS8_3ELb0ES6_jNS0_17counting_iteratorIjlEEPS9_SE_NS0_5tupleIJPjSE_EEENSF_IJSE_SE_EEES9_SG_JZNS1_25segmented_radix_sort_implINS0_14default_configELb1EPK12hip_bfloat16PSL_PKlPlN2at6native12_GLOBAL__N_18offset_tEEE10hipError_tPvRmT1_PNSt15iterator_traitsISZ_E10value_typeET2_T3_PNS10_IS15_E10value_typeET4_jRbjT5_S1B_jjP12ihipStream_tbEUljE_EEESW_SX_SY_S15_S19_S1B_T6_T7_T9_mT8_S1D_bDpT10_ENKUlT_T0_E_clISt17integral_constantIbLb1EES1Q_EEDaS1L_S1M_EUlS1L_E_NS1_11comp_targetILNS1_3genE3ELNS1_11target_archE908ELNS1_3gpuE7ELNS1_3repE0EEENS1_30default_config_static_selectorELNS0_4arch9wavefront6targetE0EEEvSZ_
; %bb.0:
	.section	.rodata,"a",@progbits
	.p2align	6, 0x0
	.amdhsa_kernel _ZN7rocprim17ROCPRIM_400000_NS6detail17trampoline_kernelINS0_13select_configILj256ELj13ELNS0_17block_load_methodE3ELS4_3ELS4_3ELNS0_20block_scan_algorithmE0ELj4294967295EEENS1_25partition_config_selectorILNS1_17partition_subalgoE3EjNS0_10empty_typeEbEEZZNS1_14partition_implILS8_3ELb0ES6_jNS0_17counting_iteratorIjlEEPS9_SE_NS0_5tupleIJPjSE_EEENSF_IJSE_SE_EEES9_SG_JZNS1_25segmented_radix_sort_implINS0_14default_configELb1EPK12hip_bfloat16PSL_PKlPlN2at6native12_GLOBAL__N_18offset_tEEE10hipError_tPvRmT1_PNSt15iterator_traitsISZ_E10value_typeET2_T3_PNS10_IS15_E10value_typeET4_jRbjT5_S1B_jjP12ihipStream_tbEUljE_EEESW_SX_SY_S15_S19_S1B_T6_T7_T9_mT8_S1D_bDpT10_ENKUlT_T0_E_clISt17integral_constantIbLb1EES1Q_EEDaS1L_S1M_EUlS1L_E_NS1_11comp_targetILNS1_3genE3ELNS1_11target_archE908ELNS1_3gpuE7ELNS1_3repE0EEENS1_30default_config_static_selectorELNS0_4arch9wavefront6targetE0EEEvSZ_
		.amdhsa_group_segment_fixed_size 0
		.amdhsa_private_segment_fixed_size 0
		.amdhsa_kernarg_size 152
		.amdhsa_user_sgpr_count 2
		.amdhsa_user_sgpr_dispatch_ptr 0
		.amdhsa_user_sgpr_queue_ptr 0
		.amdhsa_user_sgpr_kernarg_segment_ptr 1
		.amdhsa_user_sgpr_dispatch_id 0
		.amdhsa_user_sgpr_kernarg_preload_length 0
		.amdhsa_user_sgpr_kernarg_preload_offset 0
		.amdhsa_user_sgpr_private_segment_size 0
		.amdhsa_wavefront_size32 1
		.amdhsa_uses_dynamic_stack 0
		.amdhsa_enable_private_segment 0
		.amdhsa_system_sgpr_workgroup_id_x 1
		.amdhsa_system_sgpr_workgroup_id_y 0
		.amdhsa_system_sgpr_workgroup_id_z 0
		.amdhsa_system_sgpr_workgroup_info 0
		.amdhsa_system_vgpr_workitem_id 0
		.amdhsa_next_free_vgpr 1
		.amdhsa_next_free_sgpr 1
		.amdhsa_named_barrier_count 0
		.amdhsa_reserve_vcc 0
		.amdhsa_float_round_mode_32 0
		.amdhsa_float_round_mode_16_64 0
		.amdhsa_float_denorm_mode_32 3
		.amdhsa_float_denorm_mode_16_64 3
		.amdhsa_fp16_overflow 0
		.amdhsa_memory_ordered 1
		.amdhsa_forward_progress 1
		.amdhsa_inst_pref_size 0
		.amdhsa_round_robin_scheduling 0
		.amdhsa_exception_fp_ieee_invalid_op 0
		.amdhsa_exception_fp_denorm_src 0
		.amdhsa_exception_fp_ieee_div_zero 0
		.amdhsa_exception_fp_ieee_overflow 0
		.amdhsa_exception_fp_ieee_underflow 0
		.amdhsa_exception_fp_ieee_inexact 0
		.amdhsa_exception_int_div_zero 0
	.end_amdhsa_kernel
	.section	.text._ZN7rocprim17ROCPRIM_400000_NS6detail17trampoline_kernelINS0_13select_configILj256ELj13ELNS0_17block_load_methodE3ELS4_3ELS4_3ELNS0_20block_scan_algorithmE0ELj4294967295EEENS1_25partition_config_selectorILNS1_17partition_subalgoE3EjNS0_10empty_typeEbEEZZNS1_14partition_implILS8_3ELb0ES6_jNS0_17counting_iteratorIjlEEPS9_SE_NS0_5tupleIJPjSE_EEENSF_IJSE_SE_EEES9_SG_JZNS1_25segmented_radix_sort_implINS0_14default_configELb1EPK12hip_bfloat16PSL_PKlPlN2at6native12_GLOBAL__N_18offset_tEEE10hipError_tPvRmT1_PNSt15iterator_traitsISZ_E10value_typeET2_T3_PNS10_IS15_E10value_typeET4_jRbjT5_S1B_jjP12ihipStream_tbEUljE_EEESW_SX_SY_S15_S19_S1B_T6_T7_T9_mT8_S1D_bDpT10_ENKUlT_T0_E_clISt17integral_constantIbLb1EES1Q_EEDaS1L_S1M_EUlS1L_E_NS1_11comp_targetILNS1_3genE3ELNS1_11target_archE908ELNS1_3gpuE7ELNS1_3repE0EEENS1_30default_config_static_selectorELNS0_4arch9wavefront6targetE0EEEvSZ_,"axG",@progbits,_ZN7rocprim17ROCPRIM_400000_NS6detail17trampoline_kernelINS0_13select_configILj256ELj13ELNS0_17block_load_methodE3ELS4_3ELS4_3ELNS0_20block_scan_algorithmE0ELj4294967295EEENS1_25partition_config_selectorILNS1_17partition_subalgoE3EjNS0_10empty_typeEbEEZZNS1_14partition_implILS8_3ELb0ES6_jNS0_17counting_iteratorIjlEEPS9_SE_NS0_5tupleIJPjSE_EEENSF_IJSE_SE_EEES9_SG_JZNS1_25segmented_radix_sort_implINS0_14default_configELb1EPK12hip_bfloat16PSL_PKlPlN2at6native12_GLOBAL__N_18offset_tEEE10hipError_tPvRmT1_PNSt15iterator_traitsISZ_E10value_typeET2_T3_PNS10_IS15_E10value_typeET4_jRbjT5_S1B_jjP12ihipStream_tbEUljE_EEESW_SX_SY_S15_S19_S1B_T6_T7_T9_mT8_S1D_bDpT10_ENKUlT_T0_E_clISt17integral_constantIbLb1EES1Q_EEDaS1L_S1M_EUlS1L_E_NS1_11comp_targetILNS1_3genE3ELNS1_11target_archE908ELNS1_3gpuE7ELNS1_3repE0EEENS1_30default_config_static_selectorELNS0_4arch9wavefront6targetE0EEEvSZ_,comdat
.Lfunc_end1915:
	.size	_ZN7rocprim17ROCPRIM_400000_NS6detail17trampoline_kernelINS0_13select_configILj256ELj13ELNS0_17block_load_methodE3ELS4_3ELS4_3ELNS0_20block_scan_algorithmE0ELj4294967295EEENS1_25partition_config_selectorILNS1_17partition_subalgoE3EjNS0_10empty_typeEbEEZZNS1_14partition_implILS8_3ELb0ES6_jNS0_17counting_iteratorIjlEEPS9_SE_NS0_5tupleIJPjSE_EEENSF_IJSE_SE_EEES9_SG_JZNS1_25segmented_radix_sort_implINS0_14default_configELb1EPK12hip_bfloat16PSL_PKlPlN2at6native12_GLOBAL__N_18offset_tEEE10hipError_tPvRmT1_PNSt15iterator_traitsISZ_E10value_typeET2_T3_PNS10_IS15_E10value_typeET4_jRbjT5_S1B_jjP12ihipStream_tbEUljE_EEESW_SX_SY_S15_S19_S1B_T6_T7_T9_mT8_S1D_bDpT10_ENKUlT_T0_E_clISt17integral_constantIbLb1EES1Q_EEDaS1L_S1M_EUlS1L_E_NS1_11comp_targetILNS1_3genE3ELNS1_11target_archE908ELNS1_3gpuE7ELNS1_3repE0EEENS1_30default_config_static_selectorELNS0_4arch9wavefront6targetE0EEEvSZ_, .Lfunc_end1915-_ZN7rocprim17ROCPRIM_400000_NS6detail17trampoline_kernelINS0_13select_configILj256ELj13ELNS0_17block_load_methodE3ELS4_3ELS4_3ELNS0_20block_scan_algorithmE0ELj4294967295EEENS1_25partition_config_selectorILNS1_17partition_subalgoE3EjNS0_10empty_typeEbEEZZNS1_14partition_implILS8_3ELb0ES6_jNS0_17counting_iteratorIjlEEPS9_SE_NS0_5tupleIJPjSE_EEENSF_IJSE_SE_EEES9_SG_JZNS1_25segmented_radix_sort_implINS0_14default_configELb1EPK12hip_bfloat16PSL_PKlPlN2at6native12_GLOBAL__N_18offset_tEEE10hipError_tPvRmT1_PNSt15iterator_traitsISZ_E10value_typeET2_T3_PNS10_IS15_E10value_typeET4_jRbjT5_S1B_jjP12ihipStream_tbEUljE_EEESW_SX_SY_S15_S19_S1B_T6_T7_T9_mT8_S1D_bDpT10_ENKUlT_T0_E_clISt17integral_constantIbLb1EES1Q_EEDaS1L_S1M_EUlS1L_E_NS1_11comp_targetILNS1_3genE3ELNS1_11target_archE908ELNS1_3gpuE7ELNS1_3repE0EEENS1_30default_config_static_selectorELNS0_4arch9wavefront6targetE0EEEvSZ_
                                        ; -- End function
	.set _ZN7rocprim17ROCPRIM_400000_NS6detail17trampoline_kernelINS0_13select_configILj256ELj13ELNS0_17block_load_methodE3ELS4_3ELS4_3ELNS0_20block_scan_algorithmE0ELj4294967295EEENS1_25partition_config_selectorILNS1_17partition_subalgoE3EjNS0_10empty_typeEbEEZZNS1_14partition_implILS8_3ELb0ES6_jNS0_17counting_iteratorIjlEEPS9_SE_NS0_5tupleIJPjSE_EEENSF_IJSE_SE_EEES9_SG_JZNS1_25segmented_radix_sort_implINS0_14default_configELb1EPK12hip_bfloat16PSL_PKlPlN2at6native12_GLOBAL__N_18offset_tEEE10hipError_tPvRmT1_PNSt15iterator_traitsISZ_E10value_typeET2_T3_PNS10_IS15_E10value_typeET4_jRbjT5_S1B_jjP12ihipStream_tbEUljE_EEESW_SX_SY_S15_S19_S1B_T6_T7_T9_mT8_S1D_bDpT10_ENKUlT_T0_E_clISt17integral_constantIbLb1EES1Q_EEDaS1L_S1M_EUlS1L_E_NS1_11comp_targetILNS1_3genE3ELNS1_11target_archE908ELNS1_3gpuE7ELNS1_3repE0EEENS1_30default_config_static_selectorELNS0_4arch9wavefront6targetE0EEEvSZ_.num_vgpr, 0
	.set _ZN7rocprim17ROCPRIM_400000_NS6detail17trampoline_kernelINS0_13select_configILj256ELj13ELNS0_17block_load_methodE3ELS4_3ELS4_3ELNS0_20block_scan_algorithmE0ELj4294967295EEENS1_25partition_config_selectorILNS1_17partition_subalgoE3EjNS0_10empty_typeEbEEZZNS1_14partition_implILS8_3ELb0ES6_jNS0_17counting_iteratorIjlEEPS9_SE_NS0_5tupleIJPjSE_EEENSF_IJSE_SE_EEES9_SG_JZNS1_25segmented_radix_sort_implINS0_14default_configELb1EPK12hip_bfloat16PSL_PKlPlN2at6native12_GLOBAL__N_18offset_tEEE10hipError_tPvRmT1_PNSt15iterator_traitsISZ_E10value_typeET2_T3_PNS10_IS15_E10value_typeET4_jRbjT5_S1B_jjP12ihipStream_tbEUljE_EEESW_SX_SY_S15_S19_S1B_T6_T7_T9_mT8_S1D_bDpT10_ENKUlT_T0_E_clISt17integral_constantIbLb1EES1Q_EEDaS1L_S1M_EUlS1L_E_NS1_11comp_targetILNS1_3genE3ELNS1_11target_archE908ELNS1_3gpuE7ELNS1_3repE0EEENS1_30default_config_static_selectorELNS0_4arch9wavefront6targetE0EEEvSZ_.num_agpr, 0
	.set _ZN7rocprim17ROCPRIM_400000_NS6detail17trampoline_kernelINS0_13select_configILj256ELj13ELNS0_17block_load_methodE3ELS4_3ELS4_3ELNS0_20block_scan_algorithmE0ELj4294967295EEENS1_25partition_config_selectorILNS1_17partition_subalgoE3EjNS0_10empty_typeEbEEZZNS1_14partition_implILS8_3ELb0ES6_jNS0_17counting_iteratorIjlEEPS9_SE_NS0_5tupleIJPjSE_EEENSF_IJSE_SE_EEES9_SG_JZNS1_25segmented_radix_sort_implINS0_14default_configELb1EPK12hip_bfloat16PSL_PKlPlN2at6native12_GLOBAL__N_18offset_tEEE10hipError_tPvRmT1_PNSt15iterator_traitsISZ_E10value_typeET2_T3_PNS10_IS15_E10value_typeET4_jRbjT5_S1B_jjP12ihipStream_tbEUljE_EEESW_SX_SY_S15_S19_S1B_T6_T7_T9_mT8_S1D_bDpT10_ENKUlT_T0_E_clISt17integral_constantIbLb1EES1Q_EEDaS1L_S1M_EUlS1L_E_NS1_11comp_targetILNS1_3genE3ELNS1_11target_archE908ELNS1_3gpuE7ELNS1_3repE0EEENS1_30default_config_static_selectorELNS0_4arch9wavefront6targetE0EEEvSZ_.numbered_sgpr, 0
	.set _ZN7rocprim17ROCPRIM_400000_NS6detail17trampoline_kernelINS0_13select_configILj256ELj13ELNS0_17block_load_methodE3ELS4_3ELS4_3ELNS0_20block_scan_algorithmE0ELj4294967295EEENS1_25partition_config_selectorILNS1_17partition_subalgoE3EjNS0_10empty_typeEbEEZZNS1_14partition_implILS8_3ELb0ES6_jNS0_17counting_iteratorIjlEEPS9_SE_NS0_5tupleIJPjSE_EEENSF_IJSE_SE_EEES9_SG_JZNS1_25segmented_radix_sort_implINS0_14default_configELb1EPK12hip_bfloat16PSL_PKlPlN2at6native12_GLOBAL__N_18offset_tEEE10hipError_tPvRmT1_PNSt15iterator_traitsISZ_E10value_typeET2_T3_PNS10_IS15_E10value_typeET4_jRbjT5_S1B_jjP12ihipStream_tbEUljE_EEESW_SX_SY_S15_S19_S1B_T6_T7_T9_mT8_S1D_bDpT10_ENKUlT_T0_E_clISt17integral_constantIbLb1EES1Q_EEDaS1L_S1M_EUlS1L_E_NS1_11comp_targetILNS1_3genE3ELNS1_11target_archE908ELNS1_3gpuE7ELNS1_3repE0EEENS1_30default_config_static_selectorELNS0_4arch9wavefront6targetE0EEEvSZ_.num_named_barrier, 0
	.set _ZN7rocprim17ROCPRIM_400000_NS6detail17trampoline_kernelINS0_13select_configILj256ELj13ELNS0_17block_load_methodE3ELS4_3ELS4_3ELNS0_20block_scan_algorithmE0ELj4294967295EEENS1_25partition_config_selectorILNS1_17partition_subalgoE3EjNS0_10empty_typeEbEEZZNS1_14partition_implILS8_3ELb0ES6_jNS0_17counting_iteratorIjlEEPS9_SE_NS0_5tupleIJPjSE_EEENSF_IJSE_SE_EEES9_SG_JZNS1_25segmented_radix_sort_implINS0_14default_configELb1EPK12hip_bfloat16PSL_PKlPlN2at6native12_GLOBAL__N_18offset_tEEE10hipError_tPvRmT1_PNSt15iterator_traitsISZ_E10value_typeET2_T3_PNS10_IS15_E10value_typeET4_jRbjT5_S1B_jjP12ihipStream_tbEUljE_EEESW_SX_SY_S15_S19_S1B_T6_T7_T9_mT8_S1D_bDpT10_ENKUlT_T0_E_clISt17integral_constantIbLb1EES1Q_EEDaS1L_S1M_EUlS1L_E_NS1_11comp_targetILNS1_3genE3ELNS1_11target_archE908ELNS1_3gpuE7ELNS1_3repE0EEENS1_30default_config_static_selectorELNS0_4arch9wavefront6targetE0EEEvSZ_.private_seg_size, 0
	.set _ZN7rocprim17ROCPRIM_400000_NS6detail17trampoline_kernelINS0_13select_configILj256ELj13ELNS0_17block_load_methodE3ELS4_3ELS4_3ELNS0_20block_scan_algorithmE0ELj4294967295EEENS1_25partition_config_selectorILNS1_17partition_subalgoE3EjNS0_10empty_typeEbEEZZNS1_14partition_implILS8_3ELb0ES6_jNS0_17counting_iteratorIjlEEPS9_SE_NS0_5tupleIJPjSE_EEENSF_IJSE_SE_EEES9_SG_JZNS1_25segmented_radix_sort_implINS0_14default_configELb1EPK12hip_bfloat16PSL_PKlPlN2at6native12_GLOBAL__N_18offset_tEEE10hipError_tPvRmT1_PNSt15iterator_traitsISZ_E10value_typeET2_T3_PNS10_IS15_E10value_typeET4_jRbjT5_S1B_jjP12ihipStream_tbEUljE_EEESW_SX_SY_S15_S19_S1B_T6_T7_T9_mT8_S1D_bDpT10_ENKUlT_T0_E_clISt17integral_constantIbLb1EES1Q_EEDaS1L_S1M_EUlS1L_E_NS1_11comp_targetILNS1_3genE3ELNS1_11target_archE908ELNS1_3gpuE7ELNS1_3repE0EEENS1_30default_config_static_selectorELNS0_4arch9wavefront6targetE0EEEvSZ_.uses_vcc, 0
	.set _ZN7rocprim17ROCPRIM_400000_NS6detail17trampoline_kernelINS0_13select_configILj256ELj13ELNS0_17block_load_methodE3ELS4_3ELS4_3ELNS0_20block_scan_algorithmE0ELj4294967295EEENS1_25partition_config_selectorILNS1_17partition_subalgoE3EjNS0_10empty_typeEbEEZZNS1_14partition_implILS8_3ELb0ES6_jNS0_17counting_iteratorIjlEEPS9_SE_NS0_5tupleIJPjSE_EEENSF_IJSE_SE_EEES9_SG_JZNS1_25segmented_radix_sort_implINS0_14default_configELb1EPK12hip_bfloat16PSL_PKlPlN2at6native12_GLOBAL__N_18offset_tEEE10hipError_tPvRmT1_PNSt15iterator_traitsISZ_E10value_typeET2_T3_PNS10_IS15_E10value_typeET4_jRbjT5_S1B_jjP12ihipStream_tbEUljE_EEESW_SX_SY_S15_S19_S1B_T6_T7_T9_mT8_S1D_bDpT10_ENKUlT_T0_E_clISt17integral_constantIbLb1EES1Q_EEDaS1L_S1M_EUlS1L_E_NS1_11comp_targetILNS1_3genE3ELNS1_11target_archE908ELNS1_3gpuE7ELNS1_3repE0EEENS1_30default_config_static_selectorELNS0_4arch9wavefront6targetE0EEEvSZ_.uses_flat_scratch, 0
	.set _ZN7rocprim17ROCPRIM_400000_NS6detail17trampoline_kernelINS0_13select_configILj256ELj13ELNS0_17block_load_methodE3ELS4_3ELS4_3ELNS0_20block_scan_algorithmE0ELj4294967295EEENS1_25partition_config_selectorILNS1_17partition_subalgoE3EjNS0_10empty_typeEbEEZZNS1_14partition_implILS8_3ELb0ES6_jNS0_17counting_iteratorIjlEEPS9_SE_NS0_5tupleIJPjSE_EEENSF_IJSE_SE_EEES9_SG_JZNS1_25segmented_radix_sort_implINS0_14default_configELb1EPK12hip_bfloat16PSL_PKlPlN2at6native12_GLOBAL__N_18offset_tEEE10hipError_tPvRmT1_PNSt15iterator_traitsISZ_E10value_typeET2_T3_PNS10_IS15_E10value_typeET4_jRbjT5_S1B_jjP12ihipStream_tbEUljE_EEESW_SX_SY_S15_S19_S1B_T6_T7_T9_mT8_S1D_bDpT10_ENKUlT_T0_E_clISt17integral_constantIbLb1EES1Q_EEDaS1L_S1M_EUlS1L_E_NS1_11comp_targetILNS1_3genE3ELNS1_11target_archE908ELNS1_3gpuE7ELNS1_3repE0EEENS1_30default_config_static_selectorELNS0_4arch9wavefront6targetE0EEEvSZ_.has_dyn_sized_stack, 0
	.set _ZN7rocprim17ROCPRIM_400000_NS6detail17trampoline_kernelINS0_13select_configILj256ELj13ELNS0_17block_load_methodE3ELS4_3ELS4_3ELNS0_20block_scan_algorithmE0ELj4294967295EEENS1_25partition_config_selectorILNS1_17partition_subalgoE3EjNS0_10empty_typeEbEEZZNS1_14partition_implILS8_3ELb0ES6_jNS0_17counting_iteratorIjlEEPS9_SE_NS0_5tupleIJPjSE_EEENSF_IJSE_SE_EEES9_SG_JZNS1_25segmented_radix_sort_implINS0_14default_configELb1EPK12hip_bfloat16PSL_PKlPlN2at6native12_GLOBAL__N_18offset_tEEE10hipError_tPvRmT1_PNSt15iterator_traitsISZ_E10value_typeET2_T3_PNS10_IS15_E10value_typeET4_jRbjT5_S1B_jjP12ihipStream_tbEUljE_EEESW_SX_SY_S15_S19_S1B_T6_T7_T9_mT8_S1D_bDpT10_ENKUlT_T0_E_clISt17integral_constantIbLb1EES1Q_EEDaS1L_S1M_EUlS1L_E_NS1_11comp_targetILNS1_3genE3ELNS1_11target_archE908ELNS1_3gpuE7ELNS1_3repE0EEENS1_30default_config_static_selectorELNS0_4arch9wavefront6targetE0EEEvSZ_.has_recursion, 0
	.set _ZN7rocprim17ROCPRIM_400000_NS6detail17trampoline_kernelINS0_13select_configILj256ELj13ELNS0_17block_load_methodE3ELS4_3ELS4_3ELNS0_20block_scan_algorithmE0ELj4294967295EEENS1_25partition_config_selectorILNS1_17partition_subalgoE3EjNS0_10empty_typeEbEEZZNS1_14partition_implILS8_3ELb0ES6_jNS0_17counting_iteratorIjlEEPS9_SE_NS0_5tupleIJPjSE_EEENSF_IJSE_SE_EEES9_SG_JZNS1_25segmented_radix_sort_implINS0_14default_configELb1EPK12hip_bfloat16PSL_PKlPlN2at6native12_GLOBAL__N_18offset_tEEE10hipError_tPvRmT1_PNSt15iterator_traitsISZ_E10value_typeET2_T3_PNS10_IS15_E10value_typeET4_jRbjT5_S1B_jjP12ihipStream_tbEUljE_EEESW_SX_SY_S15_S19_S1B_T6_T7_T9_mT8_S1D_bDpT10_ENKUlT_T0_E_clISt17integral_constantIbLb1EES1Q_EEDaS1L_S1M_EUlS1L_E_NS1_11comp_targetILNS1_3genE3ELNS1_11target_archE908ELNS1_3gpuE7ELNS1_3repE0EEENS1_30default_config_static_selectorELNS0_4arch9wavefront6targetE0EEEvSZ_.has_indirect_call, 0
	.section	.AMDGPU.csdata,"",@progbits
; Kernel info:
; codeLenInByte = 0
; TotalNumSgprs: 0
; NumVgprs: 0
; ScratchSize: 0
; MemoryBound: 0
; FloatMode: 240
; IeeeMode: 1
; LDSByteSize: 0 bytes/workgroup (compile time only)
; SGPRBlocks: 0
; VGPRBlocks: 0
; NumSGPRsForWavesPerEU: 1
; NumVGPRsForWavesPerEU: 1
; NamedBarCnt: 0
; Occupancy: 16
; WaveLimiterHint : 0
; COMPUTE_PGM_RSRC2:SCRATCH_EN: 0
; COMPUTE_PGM_RSRC2:USER_SGPR: 2
; COMPUTE_PGM_RSRC2:TRAP_HANDLER: 0
; COMPUTE_PGM_RSRC2:TGID_X_EN: 1
; COMPUTE_PGM_RSRC2:TGID_Y_EN: 0
; COMPUTE_PGM_RSRC2:TGID_Z_EN: 0
; COMPUTE_PGM_RSRC2:TIDIG_COMP_CNT: 0
	.section	.text._ZN7rocprim17ROCPRIM_400000_NS6detail17trampoline_kernelINS0_13select_configILj256ELj13ELNS0_17block_load_methodE3ELS4_3ELS4_3ELNS0_20block_scan_algorithmE0ELj4294967295EEENS1_25partition_config_selectorILNS1_17partition_subalgoE3EjNS0_10empty_typeEbEEZZNS1_14partition_implILS8_3ELb0ES6_jNS0_17counting_iteratorIjlEEPS9_SE_NS0_5tupleIJPjSE_EEENSF_IJSE_SE_EEES9_SG_JZNS1_25segmented_radix_sort_implINS0_14default_configELb1EPK12hip_bfloat16PSL_PKlPlN2at6native12_GLOBAL__N_18offset_tEEE10hipError_tPvRmT1_PNSt15iterator_traitsISZ_E10value_typeET2_T3_PNS10_IS15_E10value_typeET4_jRbjT5_S1B_jjP12ihipStream_tbEUljE_EEESW_SX_SY_S15_S19_S1B_T6_T7_T9_mT8_S1D_bDpT10_ENKUlT_T0_E_clISt17integral_constantIbLb1EES1Q_EEDaS1L_S1M_EUlS1L_E_NS1_11comp_targetILNS1_3genE2ELNS1_11target_archE906ELNS1_3gpuE6ELNS1_3repE0EEENS1_30default_config_static_selectorELNS0_4arch9wavefront6targetE0EEEvSZ_,"axG",@progbits,_ZN7rocprim17ROCPRIM_400000_NS6detail17trampoline_kernelINS0_13select_configILj256ELj13ELNS0_17block_load_methodE3ELS4_3ELS4_3ELNS0_20block_scan_algorithmE0ELj4294967295EEENS1_25partition_config_selectorILNS1_17partition_subalgoE3EjNS0_10empty_typeEbEEZZNS1_14partition_implILS8_3ELb0ES6_jNS0_17counting_iteratorIjlEEPS9_SE_NS0_5tupleIJPjSE_EEENSF_IJSE_SE_EEES9_SG_JZNS1_25segmented_radix_sort_implINS0_14default_configELb1EPK12hip_bfloat16PSL_PKlPlN2at6native12_GLOBAL__N_18offset_tEEE10hipError_tPvRmT1_PNSt15iterator_traitsISZ_E10value_typeET2_T3_PNS10_IS15_E10value_typeET4_jRbjT5_S1B_jjP12ihipStream_tbEUljE_EEESW_SX_SY_S15_S19_S1B_T6_T7_T9_mT8_S1D_bDpT10_ENKUlT_T0_E_clISt17integral_constantIbLb1EES1Q_EEDaS1L_S1M_EUlS1L_E_NS1_11comp_targetILNS1_3genE2ELNS1_11target_archE906ELNS1_3gpuE6ELNS1_3repE0EEENS1_30default_config_static_selectorELNS0_4arch9wavefront6targetE0EEEvSZ_,comdat
	.globl	_ZN7rocprim17ROCPRIM_400000_NS6detail17trampoline_kernelINS0_13select_configILj256ELj13ELNS0_17block_load_methodE3ELS4_3ELS4_3ELNS0_20block_scan_algorithmE0ELj4294967295EEENS1_25partition_config_selectorILNS1_17partition_subalgoE3EjNS0_10empty_typeEbEEZZNS1_14partition_implILS8_3ELb0ES6_jNS0_17counting_iteratorIjlEEPS9_SE_NS0_5tupleIJPjSE_EEENSF_IJSE_SE_EEES9_SG_JZNS1_25segmented_radix_sort_implINS0_14default_configELb1EPK12hip_bfloat16PSL_PKlPlN2at6native12_GLOBAL__N_18offset_tEEE10hipError_tPvRmT1_PNSt15iterator_traitsISZ_E10value_typeET2_T3_PNS10_IS15_E10value_typeET4_jRbjT5_S1B_jjP12ihipStream_tbEUljE_EEESW_SX_SY_S15_S19_S1B_T6_T7_T9_mT8_S1D_bDpT10_ENKUlT_T0_E_clISt17integral_constantIbLb1EES1Q_EEDaS1L_S1M_EUlS1L_E_NS1_11comp_targetILNS1_3genE2ELNS1_11target_archE906ELNS1_3gpuE6ELNS1_3repE0EEENS1_30default_config_static_selectorELNS0_4arch9wavefront6targetE0EEEvSZ_ ; -- Begin function _ZN7rocprim17ROCPRIM_400000_NS6detail17trampoline_kernelINS0_13select_configILj256ELj13ELNS0_17block_load_methodE3ELS4_3ELS4_3ELNS0_20block_scan_algorithmE0ELj4294967295EEENS1_25partition_config_selectorILNS1_17partition_subalgoE3EjNS0_10empty_typeEbEEZZNS1_14partition_implILS8_3ELb0ES6_jNS0_17counting_iteratorIjlEEPS9_SE_NS0_5tupleIJPjSE_EEENSF_IJSE_SE_EEES9_SG_JZNS1_25segmented_radix_sort_implINS0_14default_configELb1EPK12hip_bfloat16PSL_PKlPlN2at6native12_GLOBAL__N_18offset_tEEE10hipError_tPvRmT1_PNSt15iterator_traitsISZ_E10value_typeET2_T3_PNS10_IS15_E10value_typeET4_jRbjT5_S1B_jjP12ihipStream_tbEUljE_EEESW_SX_SY_S15_S19_S1B_T6_T7_T9_mT8_S1D_bDpT10_ENKUlT_T0_E_clISt17integral_constantIbLb1EES1Q_EEDaS1L_S1M_EUlS1L_E_NS1_11comp_targetILNS1_3genE2ELNS1_11target_archE906ELNS1_3gpuE6ELNS1_3repE0EEENS1_30default_config_static_selectorELNS0_4arch9wavefront6targetE0EEEvSZ_
	.p2align	8
	.type	_ZN7rocprim17ROCPRIM_400000_NS6detail17trampoline_kernelINS0_13select_configILj256ELj13ELNS0_17block_load_methodE3ELS4_3ELS4_3ELNS0_20block_scan_algorithmE0ELj4294967295EEENS1_25partition_config_selectorILNS1_17partition_subalgoE3EjNS0_10empty_typeEbEEZZNS1_14partition_implILS8_3ELb0ES6_jNS0_17counting_iteratorIjlEEPS9_SE_NS0_5tupleIJPjSE_EEENSF_IJSE_SE_EEES9_SG_JZNS1_25segmented_radix_sort_implINS0_14default_configELb1EPK12hip_bfloat16PSL_PKlPlN2at6native12_GLOBAL__N_18offset_tEEE10hipError_tPvRmT1_PNSt15iterator_traitsISZ_E10value_typeET2_T3_PNS10_IS15_E10value_typeET4_jRbjT5_S1B_jjP12ihipStream_tbEUljE_EEESW_SX_SY_S15_S19_S1B_T6_T7_T9_mT8_S1D_bDpT10_ENKUlT_T0_E_clISt17integral_constantIbLb1EES1Q_EEDaS1L_S1M_EUlS1L_E_NS1_11comp_targetILNS1_3genE2ELNS1_11target_archE906ELNS1_3gpuE6ELNS1_3repE0EEENS1_30default_config_static_selectorELNS0_4arch9wavefront6targetE0EEEvSZ_,@function
_ZN7rocprim17ROCPRIM_400000_NS6detail17trampoline_kernelINS0_13select_configILj256ELj13ELNS0_17block_load_methodE3ELS4_3ELS4_3ELNS0_20block_scan_algorithmE0ELj4294967295EEENS1_25partition_config_selectorILNS1_17partition_subalgoE3EjNS0_10empty_typeEbEEZZNS1_14partition_implILS8_3ELb0ES6_jNS0_17counting_iteratorIjlEEPS9_SE_NS0_5tupleIJPjSE_EEENSF_IJSE_SE_EEES9_SG_JZNS1_25segmented_radix_sort_implINS0_14default_configELb1EPK12hip_bfloat16PSL_PKlPlN2at6native12_GLOBAL__N_18offset_tEEE10hipError_tPvRmT1_PNSt15iterator_traitsISZ_E10value_typeET2_T3_PNS10_IS15_E10value_typeET4_jRbjT5_S1B_jjP12ihipStream_tbEUljE_EEESW_SX_SY_S15_S19_S1B_T6_T7_T9_mT8_S1D_bDpT10_ENKUlT_T0_E_clISt17integral_constantIbLb1EES1Q_EEDaS1L_S1M_EUlS1L_E_NS1_11comp_targetILNS1_3genE2ELNS1_11target_archE906ELNS1_3gpuE6ELNS1_3repE0EEENS1_30default_config_static_selectorELNS0_4arch9wavefront6targetE0EEEvSZ_: ; @_ZN7rocprim17ROCPRIM_400000_NS6detail17trampoline_kernelINS0_13select_configILj256ELj13ELNS0_17block_load_methodE3ELS4_3ELS4_3ELNS0_20block_scan_algorithmE0ELj4294967295EEENS1_25partition_config_selectorILNS1_17partition_subalgoE3EjNS0_10empty_typeEbEEZZNS1_14partition_implILS8_3ELb0ES6_jNS0_17counting_iteratorIjlEEPS9_SE_NS0_5tupleIJPjSE_EEENSF_IJSE_SE_EEES9_SG_JZNS1_25segmented_radix_sort_implINS0_14default_configELb1EPK12hip_bfloat16PSL_PKlPlN2at6native12_GLOBAL__N_18offset_tEEE10hipError_tPvRmT1_PNSt15iterator_traitsISZ_E10value_typeET2_T3_PNS10_IS15_E10value_typeET4_jRbjT5_S1B_jjP12ihipStream_tbEUljE_EEESW_SX_SY_S15_S19_S1B_T6_T7_T9_mT8_S1D_bDpT10_ENKUlT_T0_E_clISt17integral_constantIbLb1EES1Q_EEDaS1L_S1M_EUlS1L_E_NS1_11comp_targetILNS1_3genE2ELNS1_11target_archE906ELNS1_3gpuE6ELNS1_3repE0EEENS1_30default_config_static_selectorELNS0_4arch9wavefront6targetE0EEEvSZ_
; %bb.0:
	.section	.rodata,"a",@progbits
	.p2align	6, 0x0
	.amdhsa_kernel _ZN7rocprim17ROCPRIM_400000_NS6detail17trampoline_kernelINS0_13select_configILj256ELj13ELNS0_17block_load_methodE3ELS4_3ELS4_3ELNS0_20block_scan_algorithmE0ELj4294967295EEENS1_25partition_config_selectorILNS1_17partition_subalgoE3EjNS0_10empty_typeEbEEZZNS1_14partition_implILS8_3ELb0ES6_jNS0_17counting_iteratorIjlEEPS9_SE_NS0_5tupleIJPjSE_EEENSF_IJSE_SE_EEES9_SG_JZNS1_25segmented_radix_sort_implINS0_14default_configELb1EPK12hip_bfloat16PSL_PKlPlN2at6native12_GLOBAL__N_18offset_tEEE10hipError_tPvRmT1_PNSt15iterator_traitsISZ_E10value_typeET2_T3_PNS10_IS15_E10value_typeET4_jRbjT5_S1B_jjP12ihipStream_tbEUljE_EEESW_SX_SY_S15_S19_S1B_T6_T7_T9_mT8_S1D_bDpT10_ENKUlT_T0_E_clISt17integral_constantIbLb1EES1Q_EEDaS1L_S1M_EUlS1L_E_NS1_11comp_targetILNS1_3genE2ELNS1_11target_archE906ELNS1_3gpuE6ELNS1_3repE0EEENS1_30default_config_static_selectorELNS0_4arch9wavefront6targetE0EEEvSZ_
		.amdhsa_group_segment_fixed_size 0
		.amdhsa_private_segment_fixed_size 0
		.amdhsa_kernarg_size 152
		.amdhsa_user_sgpr_count 2
		.amdhsa_user_sgpr_dispatch_ptr 0
		.amdhsa_user_sgpr_queue_ptr 0
		.amdhsa_user_sgpr_kernarg_segment_ptr 1
		.amdhsa_user_sgpr_dispatch_id 0
		.amdhsa_user_sgpr_kernarg_preload_length 0
		.amdhsa_user_sgpr_kernarg_preload_offset 0
		.amdhsa_user_sgpr_private_segment_size 0
		.amdhsa_wavefront_size32 1
		.amdhsa_uses_dynamic_stack 0
		.amdhsa_enable_private_segment 0
		.amdhsa_system_sgpr_workgroup_id_x 1
		.amdhsa_system_sgpr_workgroup_id_y 0
		.amdhsa_system_sgpr_workgroup_id_z 0
		.amdhsa_system_sgpr_workgroup_info 0
		.amdhsa_system_vgpr_workitem_id 0
		.amdhsa_next_free_vgpr 1
		.amdhsa_next_free_sgpr 1
		.amdhsa_named_barrier_count 0
		.amdhsa_reserve_vcc 0
		.amdhsa_float_round_mode_32 0
		.amdhsa_float_round_mode_16_64 0
		.amdhsa_float_denorm_mode_32 3
		.amdhsa_float_denorm_mode_16_64 3
		.amdhsa_fp16_overflow 0
		.amdhsa_memory_ordered 1
		.amdhsa_forward_progress 1
		.amdhsa_inst_pref_size 0
		.amdhsa_round_robin_scheduling 0
		.amdhsa_exception_fp_ieee_invalid_op 0
		.amdhsa_exception_fp_denorm_src 0
		.amdhsa_exception_fp_ieee_div_zero 0
		.amdhsa_exception_fp_ieee_overflow 0
		.amdhsa_exception_fp_ieee_underflow 0
		.amdhsa_exception_fp_ieee_inexact 0
		.amdhsa_exception_int_div_zero 0
	.end_amdhsa_kernel
	.section	.text._ZN7rocprim17ROCPRIM_400000_NS6detail17trampoline_kernelINS0_13select_configILj256ELj13ELNS0_17block_load_methodE3ELS4_3ELS4_3ELNS0_20block_scan_algorithmE0ELj4294967295EEENS1_25partition_config_selectorILNS1_17partition_subalgoE3EjNS0_10empty_typeEbEEZZNS1_14partition_implILS8_3ELb0ES6_jNS0_17counting_iteratorIjlEEPS9_SE_NS0_5tupleIJPjSE_EEENSF_IJSE_SE_EEES9_SG_JZNS1_25segmented_radix_sort_implINS0_14default_configELb1EPK12hip_bfloat16PSL_PKlPlN2at6native12_GLOBAL__N_18offset_tEEE10hipError_tPvRmT1_PNSt15iterator_traitsISZ_E10value_typeET2_T3_PNS10_IS15_E10value_typeET4_jRbjT5_S1B_jjP12ihipStream_tbEUljE_EEESW_SX_SY_S15_S19_S1B_T6_T7_T9_mT8_S1D_bDpT10_ENKUlT_T0_E_clISt17integral_constantIbLb1EES1Q_EEDaS1L_S1M_EUlS1L_E_NS1_11comp_targetILNS1_3genE2ELNS1_11target_archE906ELNS1_3gpuE6ELNS1_3repE0EEENS1_30default_config_static_selectorELNS0_4arch9wavefront6targetE0EEEvSZ_,"axG",@progbits,_ZN7rocprim17ROCPRIM_400000_NS6detail17trampoline_kernelINS0_13select_configILj256ELj13ELNS0_17block_load_methodE3ELS4_3ELS4_3ELNS0_20block_scan_algorithmE0ELj4294967295EEENS1_25partition_config_selectorILNS1_17partition_subalgoE3EjNS0_10empty_typeEbEEZZNS1_14partition_implILS8_3ELb0ES6_jNS0_17counting_iteratorIjlEEPS9_SE_NS0_5tupleIJPjSE_EEENSF_IJSE_SE_EEES9_SG_JZNS1_25segmented_radix_sort_implINS0_14default_configELb1EPK12hip_bfloat16PSL_PKlPlN2at6native12_GLOBAL__N_18offset_tEEE10hipError_tPvRmT1_PNSt15iterator_traitsISZ_E10value_typeET2_T3_PNS10_IS15_E10value_typeET4_jRbjT5_S1B_jjP12ihipStream_tbEUljE_EEESW_SX_SY_S15_S19_S1B_T6_T7_T9_mT8_S1D_bDpT10_ENKUlT_T0_E_clISt17integral_constantIbLb1EES1Q_EEDaS1L_S1M_EUlS1L_E_NS1_11comp_targetILNS1_3genE2ELNS1_11target_archE906ELNS1_3gpuE6ELNS1_3repE0EEENS1_30default_config_static_selectorELNS0_4arch9wavefront6targetE0EEEvSZ_,comdat
.Lfunc_end1916:
	.size	_ZN7rocprim17ROCPRIM_400000_NS6detail17trampoline_kernelINS0_13select_configILj256ELj13ELNS0_17block_load_methodE3ELS4_3ELS4_3ELNS0_20block_scan_algorithmE0ELj4294967295EEENS1_25partition_config_selectorILNS1_17partition_subalgoE3EjNS0_10empty_typeEbEEZZNS1_14partition_implILS8_3ELb0ES6_jNS0_17counting_iteratorIjlEEPS9_SE_NS0_5tupleIJPjSE_EEENSF_IJSE_SE_EEES9_SG_JZNS1_25segmented_radix_sort_implINS0_14default_configELb1EPK12hip_bfloat16PSL_PKlPlN2at6native12_GLOBAL__N_18offset_tEEE10hipError_tPvRmT1_PNSt15iterator_traitsISZ_E10value_typeET2_T3_PNS10_IS15_E10value_typeET4_jRbjT5_S1B_jjP12ihipStream_tbEUljE_EEESW_SX_SY_S15_S19_S1B_T6_T7_T9_mT8_S1D_bDpT10_ENKUlT_T0_E_clISt17integral_constantIbLb1EES1Q_EEDaS1L_S1M_EUlS1L_E_NS1_11comp_targetILNS1_3genE2ELNS1_11target_archE906ELNS1_3gpuE6ELNS1_3repE0EEENS1_30default_config_static_selectorELNS0_4arch9wavefront6targetE0EEEvSZ_, .Lfunc_end1916-_ZN7rocprim17ROCPRIM_400000_NS6detail17trampoline_kernelINS0_13select_configILj256ELj13ELNS0_17block_load_methodE3ELS4_3ELS4_3ELNS0_20block_scan_algorithmE0ELj4294967295EEENS1_25partition_config_selectorILNS1_17partition_subalgoE3EjNS0_10empty_typeEbEEZZNS1_14partition_implILS8_3ELb0ES6_jNS0_17counting_iteratorIjlEEPS9_SE_NS0_5tupleIJPjSE_EEENSF_IJSE_SE_EEES9_SG_JZNS1_25segmented_radix_sort_implINS0_14default_configELb1EPK12hip_bfloat16PSL_PKlPlN2at6native12_GLOBAL__N_18offset_tEEE10hipError_tPvRmT1_PNSt15iterator_traitsISZ_E10value_typeET2_T3_PNS10_IS15_E10value_typeET4_jRbjT5_S1B_jjP12ihipStream_tbEUljE_EEESW_SX_SY_S15_S19_S1B_T6_T7_T9_mT8_S1D_bDpT10_ENKUlT_T0_E_clISt17integral_constantIbLb1EES1Q_EEDaS1L_S1M_EUlS1L_E_NS1_11comp_targetILNS1_3genE2ELNS1_11target_archE906ELNS1_3gpuE6ELNS1_3repE0EEENS1_30default_config_static_selectorELNS0_4arch9wavefront6targetE0EEEvSZ_
                                        ; -- End function
	.set _ZN7rocprim17ROCPRIM_400000_NS6detail17trampoline_kernelINS0_13select_configILj256ELj13ELNS0_17block_load_methodE3ELS4_3ELS4_3ELNS0_20block_scan_algorithmE0ELj4294967295EEENS1_25partition_config_selectorILNS1_17partition_subalgoE3EjNS0_10empty_typeEbEEZZNS1_14partition_implILS8_3ELb0ES6_jNS0_17counting_iteratorIjlEEPS9_SE_NS0_5tupleIJPjSE_EEENSF_IJSE_SE_EEES9_SG_JZNS1_25segmented_radix_sort_implINS0_14default_configELb1EPK12hip_bfloat16PSL_PKlPlN2at6native12_GLOBAL__N_18offset_tEEE10hipError_tPvRmT1_PNSt15iterator_traitsISZ_E10value_typeET2_T3_PNS10_IS15_E10value_typeET4_jRbjT5_S1B_jjP12ihipStream_tbEUljE_EEESW_SX_SY_S15_S19_S1B_T6_T7_T9_mT8_S1D_bDpT10_ENKUlT_T0_E_clISt17integral_constantIbLb1EES1Q_EEDaS1L_S1M_EUlS1L_E_NS1_11comp_targetILNS1_3genE2ELNS1_11target_archE906ELNS1_3gpuE6ELNS1_3repE0EEENS1_30default_config_static_selectorELNS0_4arch9wavefront6targetE0EEEvSZ_.num_vgpr, 0
	.set _ZN7rocprim17ROCPRIM_400000_NS6detail17trampoline_kernelINS0_13select_configILj256ELj13ELNS0_17block_load_methodE3ELS4_3ELS4_3ELNS0_20block_scan_algorithmE0ELj4294967295EEENS1_25partition_config_selectorILNS1_17partition_subalgoE3EjNS0_10empty_typeEbEEZZNS1_14partition_implILS8_3ELb0ES6_jNS0_17counting_iteratorIjlEEPS9_SE_NS0_5tupleIJPjSE_EEENSF_IJSE_SE_EEES9_SG_JZNS1_25segmented_radix_sort_implINS0_14default_configELb1EPK12hip_bfloat16PSL_PKlPlN2at6native12_GLOBAL__N_18offset_tEEE10hipError_tPvRmT1_PNSt15iterator_traitsISZ_E10value_typeET2_T3_PNS10_IS15_E10value_typeET4_jRbjT5_S1B_jjP12ihipStream_tbEUljE_EEESW_SX_SY_S15_S19_S1B_T6_T7_T9_mT8_S1D_bDpT10_ENKUlT_T0_E_clISt17integral_constantIbLb1EES1Q_EEDaS1L_S1M_EUlS1L_E_NS1_11comp_targetILNS1_3genE2ELNS1_11target_archE906ELNS1_3gpuE6ELNS1_3repE0EEENS1_30default_config_static_selectorELNS0_4arch9wavefront6targetE0EEEvSZ_.num_agpr, 0
	.set _ZN7rocprim17ROCPRIM_400000_NS6detail17trampoline_kernelINS0_13select_configILj256ELj13ELNS0_17block_load_methodE3ELS4_3ELS4_3ELNS0_20block_scan_algorithmE0ELj4294967295EEENS1_25partition_config_selectorILNS1_17partition_subalgoE3EjNS0_10empty_typeEbEEZZNS1_14partition_implILS8_3ELb0ES6_jNS0_17counting_iteratorIjlEEPS9_SE_NS0_5tupleIJPjSE_EEENSF_IJSE_SE_EEES9_SG_JZNS1_25segmented_radix_sort_implINS0_14default_configELb1EPK12hip_bfloat16PSL_PKlPlN2at6native12_GLOBAL__N_18offset_tEEE10hipError_tPvRmT1_PNSt15iterator_traitsISZ_E10value_typeET2_T3_PNS10_IS15_E10value_typeET4_jRbjT5_S1B_jjP12ihipStream_tbEUljE_EEESW_SX_SY_S15_S19_S1B_T6_T7_T9_mT8_S1D_bDpT10_ENKUlT_T0_E_clISt17integral_constantIbLb1EES1Q_EEDaS1L_S1M_EUlS1L_E_NS1_11comp_targetILNS1_3genE2ELNS1_11target_archE906ELNS1_3gpuE6ELNS1_3repE0EEENS1_30default_config_static_selectorELNS0_4arch9wavefront6targetE0EEEvSZ_.numbered_sgpr, 0
	.set _ZN7rocprim17ROCPRIM_400000_NS6detail17trampoline_kernelINS0_13select_configILj256ELj13ELNS0_17block_load_methodE3ELS4_3ELS4_3ELNS0_20block_scan_algorithmE0ELj4294967295EEENS1_25partition_config_selectorILNS1_17partition_subalgoE3EjNS0_10empty_typeEbEEZZNS1_14partition_implILS8_3ELb0ES6_jNS0_17counting_iteratorIjlEEPS9_SE_NS0_5tupleIJPjSE_EEENSF_IJSE_SE_EEES9_SG_JZNS1_25segmented_radix_sort_implINS0_14default_configELb1EPK12hip_bfloat16PSL_PKlPlN2at6native12_GLOBAL__N_18offset_tEEE10hipError_tPvRmT1_PNSt15iterator_traitsISZ_E10value_typeET2_T3_PNS10_IS15_E10value_typeET4_jRbjT5_S1B_jjP12ihipStream_tbEUljE_EEESW_SX_SY_S15_S19_S1B_T6_T7_T9_mT8_S1D_bDpT10_ENKUlT_T0_E_clISt17integral_constantIbLb1EES1Q_EEDaS1L_S1M_EUlS1L_E_NS1_11comp_targetILNS1_3genE2ELNS1_11target_archE906ELNS1_3gpuE6ELNS1_3repE0EEENS1_30default_config_static_selectorELNS0_4arch9wavefront6targetE0EEEvSZ_.num_named_barrier, 0
	.set _ZN7rocprim17ROCPRIM_400000_NS6detail17trampoline_kernelINS0_13select_configILj256ELj13ELNS0_17block_load_methodE3ELS4_3ELS4_3ELNS0_20block_scan_algorithmE0ELj4294967295EEENS1_25partition_config_selectorILNS1_17partition_subalgoE3EjNS0_10empty_typeEbEEZZNS1_14partition_implILS8_3ELb0ES6_jNS0_17counting_iteratorIjlEEPS9_SE_NS0_5tupleIJPjSE_EEENSF_IJSE_SE_EEES9_SG_JZNS1_25segmented_radix_sort_implINS0_14default_configELb1EPK12hip_bfloat16PSL_PKlPlN2at6native12_GLOBAL__N_18offset_tEEE10hipError_tPvRmT1_PNSt15iterator_traitsISZ_E10value_typeET2_T3_PNS10_IS15_E10value_typeET4_jRbjT5_S1B_jjP12ihipStream_tbEUljE_EEESW_SX_SY_S15_S19_S1B_T6_T7_T9_mT8_S1D_bDpT10_ENKUlT_T0_E_clISt17integral_constantIbLb1EES1Q_EEDaS1L_S1M_EUlS1L_E_NS1_11comp_targetILNS1_3genE2ELNS1_11target_archE906ELNS1_3gpuE6ELNS1_3repE0EEENS1_30default_config_static_selectorELNS0_4arch9wavefront6targetE0EEEvSZ_.private_seg_size, 0
	.set _ZN7rocprim17ROCPRIM_400000_NS6detail17trampoline_kernelINS0_13select_configILj256ELj13ELNS0_17block_load_methodE3ELS4_3ELS4_3ELNS0_20block_scan_algorithmE0ELj4294967295EEENS1_25partition_config_selectorILNS1_17partition_subalgoE3EjNS0_10empty_typeEbEEZZNS1_14partition_implILS8_3ELb0ES6_jNS0_17counting_iteratorIjlEEPS9_SE_NS0_5tupleIJPjSE_EEENSF_IJSE_SE_EEES9_SG_JZNS1_25segmented_radix_sort_implINS0_14default_configELb1EPK12hip_bfloat16PSL_PKlPlN2at6native12_GLOBAL__N_18offset_tEEE10hipError_tPvRmT1_PNSt15iterator_traitsISZ_E10value_typeET2_T3_PNS10_IS15_E10value_typeET4_jRbjT5_S1B_jjP12ihipStream_tbEUljE_EEESW_SX_SY_S15_S19_S1B_T6_T7_T9_mT8_S1D_bDpT10_ENKUlT_T0_E_clISt17integral_constantIbLb1EES1Q_EEDaS1L_S1M_EUlS1L_E_NS1_11comp_targetILNS1_3genE2ELNS1_11target_archE906ELNS1_3gpuE6ELNS1_3repE0EEENS1_30default_config_static_selectorELNS0_4arch9wavefront6targetE0EEEvSZ_.uses_vcc, 0
	.set _ZN7rocprim17ROCPRIM_400000_NS6detail17trampoline_kernelINS0_13select_configILj256ELj13ELNS0_17block_load_methodE3ELS4_3ELS4_3ELNS0_20block_scan_algorithmE0ELj4294967295EEENS1_25partition_config_selectorILNS1_17partition_subalgoE3EjNS0_10empty_typeEbEEZZNS1_14partition_implILS8_3ELb0ES6_jNS0_17counting_iteratorIjlEEPS9_SE_NS0_5tupleIJPjSE_EEENSF_IJSE_SE_EEES9_SG_JZNS1_25segmented_radix_sort_implINS0_14default_configELb1EPK12hip_bfloat16PSL_PKlPlN2at6native12_GLOBAL__N_18offset_tEEE10hipError_tPvRmT1_PNSt15iterator_traitsISZ_E10value_typeET2_T3_PNS10_IS15_E10value_typeET4_jRbjT5_S1B_jjP12ihipStream_tbEUljE_EEESW_SX_SY_S15_S19_S1B_T6_T7_T9_mT8_S1D_bDpT10_ENKUlT_T0_E_clISt17integral_constantIbLb1EES1Q_EEDaS1L_S1M_EUlS1L_E_NS1_11comp_targetILNS1_3genE2ELNS1_11target_archE906ELNS1_3gpuE6ELNS1_3repE0EEENS1_30default_config_static_selectorELNS0_4arch9wavefront6targetE0EEEvSZ_.uses_flat_scratch, 0
	.set _ZN7rocprim17ROCPRIM_400000_NS6detail17trampoline_kernelINS0_13select_configILj256ELj13ELNS0_17block_load_methodE3ELS4_3ELS4_3ELNS0_20block_scan_algorithmE0ELj4294967295EEENS1_25partition_config_selectorILNS1_17partition_subalgoE3EjNS0_10empty_typeEbEEZZNS1_14partition_implILS8_3ELb0ES6_jNS0_17counting_iteratorIjlEEPS9_SE_NS0_5tupleIJPjSE_EEENSF_IJSE_SE_EEES9_SG_JZNS1_25segmented_radix_sort_implINS0_14default_configELb1EPK12hip_bfloat16PSL_PKlPlN2at6native12_GLOBAL__N_18offset_tEEE10hipError_tPvRmT1_PNSt15iterator_traitsISZ_E10value_typeET2_T3_PNS10_IS15_E10value_typeET4_jRbjT5_S1B_jjP12ihipStream_tbEUljE_EEESW_SX_SY_S15_S19_S1B_T6_T7_T9_mT8_S1D_bDpT10_ENKUlT_T0_E_clISt17integral_constantIbLb1EES1Q_EEDaS1L_S1M_EUlS1L_E_NS1_11comp_targetILNS1_3genE2ELNS1_11target_archE906ELNS1_3gpuE6ELNS1_3repE0EEENS1_30default_config_static_selectorELNS0_4arch9wavefront6targetE0EEEvSZ_.has_dyn_sized_stack, 0
	.set _ZN7rocprim17ROCPRIM_400000_NS6detail17trampoline_kernelINS0_13select_configILj256ELj13ELNS0_17block_load_methodE3ELS4_3ELS4_3ELNS0_20block_scan_algorithmE0ELj4294967295EEENS1_25partition_config_selectorILNS1_17partition_subalgoE3EjNS0_10empty_typeEbEEZZNS1_14partition_implILS8_3ELb0ES6_jNS0_17counting_iteratorIjlEEPS9_SE_NS0_5tupleIJPjSE_EEENSF_IJSE_SE_EEES9_SG_JZNS1_25segmented_radix_sort_implINS0_14default_configELb1EPK12hip_bfloat16PSL_PKlPlN2at6native12_GLOBAL__N_18offset_tEEE10hipError_tPvRmT1_PNSt15iterator_traitsISZ_E10value_typeET2_T3_PNS10_IS15_E10value_typeET4_jRbjT5_S1B_jjP12ihipStream_tbEUljE_EEESW_SX_SY_S15_S19_S1B_T6_T7_T9_mT8_S1D_bDpT10_ENKUlT_T0_E_clISt17integral_constantIbLb1EES1Q_EEDaS1L_S1M_EUlS1L_E_NS1_11comp_targetILNS1_3genE2ELNS1_11target_archE906ELNS1_3gpuE6ELNS1_3repE0EEENS1_30default_config_static_selectorELNS0_4arch9wavefront6targetE0EEEvSZ_.has_recursion, 0
	.set _ZN7rocprim17ROCPRIM_400000_NS6detail17trampoline_kernelINS0_13select_configILj256ELj13ELNS0_17block_load_methodE3ELS4_3ELS4_3ELNS0_20block_scan_algorithmE0ELj4294967295EEENS1_25partition_config_selectorILNS1_17partition_subalgoE3EjNS0_10empty_typeEbEEZZNS1_14partition_implILS8_3ELb0ES6_jNS0_17counting_iteratorIjlEEPS9_SE_NS0_5tupleIJPjSE_EEENSF_IJSE_SE_EEES9_SG_JZNS1_25segmented_radix_sort_implINS0_14default_configELb1EPK12hip_bfloat16PSL_PKlPlN2at6native12_GLOBAL__N_18offset_tEEE10hipError_tPvRmT1_PNSt15iterator_traitsISZ_E10value_typeET2_T3_PNS10_IS15_E10value_typeET4_jRbjT5_S1B_jjP12ihipStream_tbEUljE_EEESW_SX_SY_S15_S19_S1B_T6_T7_T9_mT8_S1D_bDpT10_ENKUlT_T0_E_clISt17integral_constantIbLb1EES1Q_EEDaS1L_S1M_EUlS1L_E_NS1_11comp_targetILNS1_3genE2ELNS1_11target_archE906ELNS1_3gpuE6ELNS1_3repE0EEENS1_30default_config_static_selectorELNS0_4arch9wavefront6targetE0EEEvSZ_.has_indirect_call, 0
	.section	.AMDGPU.csdata,"",@progbits
; Kernel info:
; codeLenInByte = 0
; TotalNumSgprs: 0
; NumVgprs: 0
; ScratchSize: 0
; MemoryBound: 0
; FloatMode: 240
; IeeeMode: 1
; LDSByteSize: 0 bytes/workgroup (compile time only)
; SGPRBlocks: 0
; VGPRBlocks: 0
; NumSGPRsForWavesPerEU: 1
; NumVGPRsForWavesPerEU: 1
; NamedBarCnt: 0
; Occupancy: 16
; WaveLimiterHint : 0
; COMPUTE_PGM_RSRC2:SCRATCH_EN: 0
; COMPUTE_PGM_RSRC2:USER_SGPR: 2
; COMPUTE_PGM_RSRC2:TRAP_HANDLER: 0
; COMPUTE_PGM_RSRC2:TGID_X_EN: 1
; COMPUTE_PGM_RSRC2:TGID_Y_EN: 0
; COMPUTE_PGM_RSRC2:TGID_Z_EN: 0
; COMPUTE_PGM_RSRC2:TIDIG_COMP_CNT: 0
	.section	.text._ZN7rocprim17ROCPRIM_400000_NS6detail17trampoline_kernelINS0_13select_configILj256ELj13ELNS0_17block_load_methodE3ELS4_3ELS4_3ELNS0_20block_scan_algorithmE0ELj4294967295EEENS1_25partition_config_selectorILNS1_17partition_subalgoE3EjNS0_10empty_typeEbEEZZNS1_14partition_implILS8_3ELb0ES6_jNS0_17counting_iteratorIjlEEPS9_SE_NS0_5tupleIJPjSE_EEENSF_IJSE_SE_EEES9_SG_JZNS1_25segmented_radix_sort_implINS0_14default_configELb1EPK12hip_bfloat16PSL_PKlPlN2at6native12_GLOBAL__N_18offset_tEEE10hipError_tPvRmT1_PNSt15iterator_traitsISZ_E10value_typeET2_T3_PNS10_IS15_E10value_typeET4_jRbjT5_S1B_jjP12ihipStream_tbEUljE_EEESW_SX_SY_S15_S19_S1B_T6_T7_T9_mT8_S1D_bDpT10_ENKUlT_T0_E_clISt17integral_constantIbLb1EES1Q_EEDaS1L_S1M_EUlS1L_E_NS1_11comp_targetILNS1_3genE10ELNS1_11target_archE1200ELNS1_3gpuE4ELNS1_3repE0EEENS1_30default_config_static_selectorELNS0_4arch9wavefront6targetE0EEEvSZ_,"axG",@progbits,_ZN7rocprim17ROCPRIM_400000_NS6detail17trampoline_kernelINS0_13select_configILj256ELj13ELNS0_17block_load_methodE3ELS4_3ELS4_3ELNS0_20block_scan_algorithmE0ELj4294967295EEENS1_25partition_config_selectorILNS1_17partition_subalgoE3EjNS0_10empty_typeEbEEZZNS1_14partition_implILS8_3ELb0ES6_jNS0_17counting_iteratorIjlEEPS9_SE_NS0_5tupleIJPjSE_EEENSF_IJSE_SE_EEES9_SG_JZNS1_25segmented_radix_sort_implINS0_14default_configELb1EPK12hip_bfloat16PSL_PKlPlN2at6native12_GLOBAL__N_18offset_tEEE10hipError_tPvRmT1_PNSt15iterator_traitsISZ_E10value_typeET2_T3_PNS10_IS15_E10value_typeET4_jRbjT5_S1B_jjP12ihipStream_tbEUljE_EEESW_SX_SY_S15_S19_S1B_T6_T7_T9_mT8_S1D_bDpT10_ENKUlT_T0_E_clISt17integral_constantIbLb1EES1Q_EEDaS1L_S1M_EUlS1L_E_NS1_11comp_targetILNS1_3genE10ELNS1_11target_archE1200ELNS1_3gpuE4ELNS1_3repE0EEENS1_30default_config_static_selectorELNS0_4arch9wavefront6targetE0EEEvSZ_,comdat
	.globl	_ZN7rocprim17ROCPRIM_400000_NS6detail17trampoline_kernelINS0_13select_configILj256ELj13ELNS0_17block_load_methodE3ELS4_3ELS4_3ELNS0_20block_scan_algorithmE0ELj4294967295EEENS1_25partition_config_selectorILNS1_17partition_subalgoE3EjNS0_10empty_typeEbEEZZNS1_14partition_implILS8_3ELb0ES6_jNS0_17counting_iteratorIjlEEPS9_SE_NS0_5tupleIJPjSE_EEENSF_IJSE_SE_EEES9_SG_JZNS1_25segmented_radix_sort_implINS0_14default_configELb1EPK12hip_bfloat16PSL_PKlPlN2at6native12_GLOBAL__N_18offset_tEEE10hipError_tPvRmT1_PNSt15iterator_traitsISZ_E10value_typeET2_T3_PNS10_IS15_E10value_typeET4_jRbjT5_S1B_jjP12ihipStream_tbEUljE_EEESW_SX_SY_S15_S19_S1B_T6_T7_T9_mT8_S1D_bDpT10_ENKUlT_T0_E_clISt17integral_constantIbLb1EES1Q_EEDaS1L_S1M_EUlS1L_E_NS1_11comp_targetILNS1_3genE10ELNS1_11target_archE1200ELNS1_3gpuE4ELNS1_3repE0EEENS1_30default_config_static_selectorELNS0_4arch9wavefront6targetE0EEEvSZ_ ; -- Begin function _ZN7rocprim17ROCPRIM_400000_NS6detail17trampoline_kernelINS0_13select_configILj256ELj13ELNS0_17block_load_methodE3ELS4_3ELS4_3ELNS0_20block_scan_algorithmE0ELj4294967295EEENS1_25partition_config_selectorILNS1_17partition_subalgoE3EjNS0_10empty_typeEbEEZZNS1_14partition_implILS8_3ELb0ES6_jNS0_17counting_iteratorIjlEEPS9_SE_NS0_5tupleIJPjSE_EEENSF_IJSE_SE_EEES9_SG_JZNS1_25segmented_radix_sort_implINS0_14default_configELb1EPK12hip_bfloat16PSL_PKlPlN2at6native12_GLOBAL__N_18offset_tEEE10hipError_tPvRmT1_PNSt15iterator_traitsISZ_E10value_typeET2_T3_PNS10_IS15_E10value_typeET4_jRbjT5_S1B_jjP12ihipStream_tbEUljE_EEESW_SX_SY_S15_S19_S1B_T6_T7_T9_mT8_S1D_bDpT10_ENKUlT_T0_E_clISt17integral_constantIbLb1EES1Q_EEDaS1L_S1M_EUlS1L_E_NS1_11comp_targetILNS1_3genE10ELNS1_11target_archE1200ELNS1_3gpuE4ELNS1_3repE0EEENS1_30default_config_static_selectorELNS0_4arch9wavefront6targetE0EEEvSZ_
	.p2align	8
	.type	_ZN7rocprim17ROCPRIM_400000_NS6detail17trampoline_kernelINS0_13select_configILj256ELj13ELNS0_17block_load_methodE3ELS4_3ELS4_3ELNS0_20block_scan_algorithmE0ELj4294967295EEENS1_25partition_config_selectorILNS1_17partition_subalgoE3EjNS0_10empty_typeEbEEZZNS1_14partition_implILS8_3ELb0ES6_jNS0_17counting_iteratorIjlEEPS9_SE_NS0_5tupleIJPjSE_EEENSF_IJSE_SE_EEES9_SG_JZNS1_25segmented_radix_sort_implINS0_14default_configELb1EPK12hip_bfloat16PSL_PKlPlN2at6native12_GLOBAL__N_18offset_tEEE10hipError_tPvRmT1_PNSt15iterator_traitsISZ_E10value_typeET2_T3_PNS10_IS15_E10value_typeET4_jRbjT5_S1B_jjP12ihipStream_tbEUljE_EEESW_SX_SY_S15_S19_S1B_T6_T7_T9_mT8_S1D_bDpT10_ENKUlT_T0_E_clISt17integral_constantIbLb1EES1Q_EEDaS1L_S1M_EUlS1L_E_NS1_11comp_targetILNS1_3genE10ELNS1_11target_archE1200ELNS1_3gpuE4ELNS1_3repE0EEENS1_30default_config_static_selectorELNS0_4arch9wavefront6targetE0EEEvSZ_,@function
_ZN7rocprim17ROCPRIM_400000_NS6detail17trampoline_kernelINS0_13select_configILj256ELj13ELNS0_17block_load_methodE3ELS4_3ELS4_3ELNS0_20block_scan_algorithmE0ELj4294967295EEENS1_25partition_config_selectorILNS1_17partition_subalgoE3EjNS0_10empty_typeEbEEZZNS1_14partition_implILS8_3ELb0ES6_jNS0_17counting_iteratorIjlEEPS9_SE_NS0_5tupleIJPjSE_EEENSF_IJSE_SE_EEES9_SG_JZNS1_25segmented_radix_sort_implINS0_14default_configELb1EPK12hip_bfloat16PSL_PKlPlN2at6native12_GLOBAL__N_18offset_tEEE10hipError_tPvRmT1_PNSt15iterator_traitsISZ_E10value_typeET2_T3_PNS10_IS15_E10value_typeET4_jRbjT5_S1B_jjP12ihipStream_tbEUljE_EEESW_SX_SY_S15_S19_S1B_T6_T7_T9_mT8_S1D_bDpT10_ENKUlT_T0_E_clISt17integral_constantIbLb1EES1Q_EEDaS1L_S1M_EUlS1L_E_NS1_11comp_targetILNS1_3genE10ELNS1_11target_archE1200ELNS1_3gpuE4ELNS1_3repE0EEENS1_30default_config_static_selectorELNS0_4arch9wavefront6targetE0EEEvSZ_: ; @_ZN7rocprim17ROCPRIM_400000_NS6detail17trampoline_kernelINS0_13select_configILj256ELj13ELNS0_17block_load_methodE3ELS4_3ELS4_3ELNS0_20block_scan_algorithmE0ELj4294967295EEENS1_25partition_config_selectorILNS1_17partition_subalgoE3EjNS0_10empty_typeEbEEZZNS1_14partition_implILS8_3ELb0ES6_jNS0_17counting_iteratorIjlEEPS9_SE_NS0_5tupleIJPjSE_EEENSF_IJSE_SE_EEES9_SG_JZNS1_25segmented_radix_sort_implINS0_14default_configELb1EPK12hip_bfloat16PSL_PKlPlN2at6native12_GLOBAL__N_18offset_tEEE10hipError_tPvRmT1_PNSt15iterator_traitsISZ_E10value_typeET2_T3_PNS10_IS15_E10value_typeET4_jRbjT5_S1B_jjP12ihipStream_tbEUljE_EEESW_SX_SY_S15_S19_S1B_T6_T7_T9_mT8_S1D_bDpT10_ENKUlT_T0_E_clISt17integral_constantIbLb1EES1Q_EEDaS1L_S1M_EUlS1L_E_NS1_11comp_targetILNS1_3genE10ELNS1_11target_archE1200ELNS1_3gpuE4ELNS1_3repE0EEENS1_30default_config_static_selectorELNS0_4arch9wavefront6targetE0EEEvSZ_
; %bb.0:
	.section	.rodata,"a",@progbits
	.p2align	6, 0x0
	.amdhsa_kernel _ZN7rocprim17ROCPRIM_400000_NS6detail17trampoline_kernelINS0_13select_configILj256ELj13ELNS0_17block_load_methodE3ELS4_3ELS4_3ELNS0_20block_scan_algorithmE0ELj4294967295EEENS1_25partition_config_selectorILNS1_17partition_subalgoE3EjNS0_10empty_typeEbEEZZNS1_14partition_implILS8_3ELb0ES6_jNS0_17counting_iteratorIjlEEPS9_SE_NS0_5tupleIJPjSE_EEENSF_IJSE_SE_EEES9_SG_JZNS1_25segmented_radix_sort_implINS0_14default_configELb1EPK12hip_bfloat16PSL_PKlPlN2at6native12_GLOBAL__N_18offset_tEEE10hipError_tPvRmT1_PNSt15iterator_traitsISZ_E10value_typeET2_T3_PNS10_IS15_E10value_typeET4_jRbjT5_S1B_jjP12ihipStream_tbEUljE_EEESW_SX_SY_S15_S19_S1B_T6_T7_T9_mT8_S1D_bDpT10_ENKUlT_T0_E_clISt17integral_constantIbLb1EES1Q_EEDaS1L_S1M_EUlS1L_E_NS1_11comp_targetILNS1_3genE10ELNS1_11target_archE1200ELNS1_3gpuE4ELNS1_3repE0EEENS1_30default_config_static_selectorELNS0_4arch9wavefront6targetE0EEEvSZ_
		.amdhsa_group_segment_fixed_size 0
		.amdhsa_private_segment_fixed_size 0
		.amdhsa_kernarg_size 152
		.amdhsa_user_sgpr_count 2
		.amdhsa_user_sgpr_dispatch_ptr 0
		.amdhsa_user_sgpr_queue_ptr 0
		.amdhsa_user_sgpr_kernarg_segment_ptr 1
		.amdhsa_user_sgpr_dispatch_id 0
		.amdhsa_user_sgpr_kernarg_preload_length 0
		.amdhsa_user_sgpr_kernarg_preload_offset 0
		.amdhsa_user_sgpr_private_segment_size 0
		.amdhsa_wavefront_size32 1
		.amdhsa_uses_dynamic_stack 0
		.amdhsa_enable_private_segment 0
		.amdhsa_system_sgpr_workgroup_id_x 1
		.amdhsa_system_sgpr_workgroup_id_y 0
		.amdhsa_system_sgpr_workgroup_id_z 0
		.amdhsa_system_sgpr_workgroup_info 0
		.amdhsa_system_vgpr_workitem_id 0
		.amdhsa_next_free_vgpr 1
		.amdhsa_next_free_sgpr 1
		.amdhsa_named_barrier_count 0
		.amdhsa_reserve_vcc 0
		.amdhsa_float_round_mode_32 0
		.amdhsa_float_round_mode_16_64 0
		.amdhsa_float_denorm_mode_32 3
		.amdhsa_float_denorm_mode_16_64 3
		.amdhsa_fp16_overflow 0
		.amdhsa_memory_ordered 1
		.amdhsa_forward_progress 1
		.amdhsa_inst_pref_size 0
		.amdhsa_round_robin_scheduling 0
		.amdhsa_exception_fp_ieee_invalid_op 0
		.amdhsa_exception_fp_denorm_src 0
		.amdhsa_exception_fp_ieee_div_zero 0
		.amdhsa_exception_fp_ieee_overflow 0
		.amdhsa_exception_fp_ieee_underflow 0
		.amdhsa_exception_fp_ieee_inexact 0
		.amdhsa_exception_int_div_zero 0
	.end_amdhsa_kernel
	.section	.text._ZN7rocprim17ROCPRIM_400000_NS6detail17trampoline_kernelINS0_13select_configILj256ELj13ELNS0_17block_load_methodE3ELS4_3ELS4_3ELNS0_20block_scan_algorithmE0ELj4294967295EEENS1_25partition_config_selectorILNS1_17partition_subalgoE3EjNS0_10empty_typeEbEEZZNS1_14partition_implILS8_3ELb0ES6_jNS0_17counting_iteratorIjlEEPS9_SE_NS0_5tupleIJPjSE_EEENSF_IJSE_SE_EEES9_SG_JZNS1_25segmented_radix_sort_implINS0_14default_configELb1EPK12hip_bfloat16PSL_PKlPlN2at6native12_GLOBAL__N_18offset_tEEE10hipError_tPvRmT1_PNSt15iterator_traitsISZ_E10value_typeET2_T3_PNS10_IS15_E10value_typeET4_jRbjT5_S1B_jjP12ihipStream_tbEUljE_EEESW_SX_SY_S15_S19_S1B_T6_T7_T9_mT8_S1D_bDpT10_ENKUlT_T0_E_clISt17integral_constantIbLb1EES1Q_EEDaS1L_S1M_EUlS1L_E_NS1_11comp_targetILNS1_3genE10ELNS1_11target_archE1200ELNS1_3gpuE4ELNS1_3repE0EEENS1_30default_config_static_selectorELNS0_4arch9wavefront6targetE0EEEvSZ_,"axG",@progbits,_ZN7rocprim17ROCPRIM_400000_NS6detail17trampoline_kernelINS0_13select_configILj256ELj13ELNS0_17block_load_methodE3ELS4_3ELS4_3ELNS0_20block_scan_algorithmE0ELj4294967295EEENS1_25partition_config_selectorILNS1_17partition_subalgoE3EjNS0_10empty_typeEbEEZZNS1_14partition_implILS8_3ELb0ES6_jNS0_17counting_iteratorIjlEEPS9_SE_NS0_5tupleIJPjSE_EEENSF_IJSE_SE_EEES9_SG_JZNS1_25segmented_radix_sort_implINS0_14default_configELb1EPK12hip_bfloat16PSL_PKlPlN2at6native12_GLOBAL__N_18offset_tEEE10hipError_tPvRmT1_PNSt15iterator_traitsISZ_E10value_typeET2_T3_PNS10_IS15_E10value_typeET4_jRbjT5_S1B_jjP12ihipStream_tbEUljE_EEESW_SX_SY_S15_S19_S1B_T6_T7_T9_mT8_S1D_bDpT10_ENKUlT_T0_E_clISt17integral_constantIbLb1EES1Q_EEDaS1L_S1M_EUlS1L_E_NS1_11comp_targetILNS1_3genE10ELNS1_11target_archE1200ELNS1_3gpuE4ELNS1_3repE0EEENS1_30default_config_static_selectorELNS0_4arch9wavefront6targetE0EEEvSZ_,comdat
.Lfunc_end1917:
	.size	_ZN7rocprim17ROCPRIM_400000_NS6detail17trampoline_kernelINS0_13select_configILj256ELj13ELNS0_17block_load_methodE3ELS4_3ELS4_3ELNS0_20block_scan_algorithmE0ELj4294967295EEENS1_25partition_config_selectorILNS1_17partition_subalgoE3EjNS0_10empty_typeEbEEZZNS1_14partition_implILS8_3ELb0ES6_jNS0_17counting_iteratorIjlEEPS9_SE_NS0_5tupleIJPjSE_EEENSF_IJSE_SE_EEES9_SG_JZNS1_25segmented_radix_sort_implINS0_14default_configELb1EPK12hip_bfloat16PSL_PKlPlN2at6native12_GLOBAL__N_18offset_tEEE10hipError_tPvRmT1_PNSt15iterator_traitsISZ_E10value_typeET2_T3_PNS10_IS15_E10value_typeET4_jRbjT5_S1B_jjP12ihipStream_tbEUljE_EEESW_SX_SY_S15_S19_S1B_T6_T7_T9_mT8_S1D_bDpT10_ENKUlT_T0_E_clISt17integral_constantIbLb1EES1Q_EEDaS1L_S1M_EUlS1L_E_NS1_11comp_targetILNS1_3genE10ELNS1_11target_archE1200ELNS1_3gpuE4ELNS1_3repE0EEENS1_30default_config_static_selectorELNS0_4arch9wavefront6targetE0EEEvSZ_, .Lfunc_end1917-_ZN7rocprim17ROCPRIM_400000_NS6detail17trampoline_kernelINS0_13select_configILj256ELj13ELNS0_17block_load_methodE3ELS4_3ELS4_3ELNS0_20block_scan_algorithmE0ELj4294967295EEENS1_25partition_config_selectorILNS1_17partition_subalgoE3EjNS0_10empty_typeEbEEZZNS1_14partition_implILS8_3ELb0ES6_jNS0_17counting_iteratorIjlEEPS9_SE_NS0_5tupleIJPjSE_EEENSF_IJSE_SE_EEES9_SG_JZNS1_25segmented_radix_sort_implINS0_14default_configELb1EPK12hip_bfloat16PSL_PKlPlN2at6native12_GLOBAL__N_18offset_tEEE10hipError_tPvRmT1_PNSt15iterator_traitsISZ_E10value_typeET2_T3_PNS10_IS15_E10value_typeET4_jRbjT5_S1B_jjP12ihipStream_tbEUljE_EEESW_SX_SY_S15_S19_S1B_T6_T7_T9_mT8_S1D_bDpT10_ENKUlT_T0_E_clISt17integral_constantIbLb1EES1Q_EEDaS1L_S1M_EUlS1L_E_NS1_11comp_targetILNS1_3genE10ELNS1_11target_archE1200ELNS1_3gpuE4ELNS1_3repE0EEENS1_30default_config_static_selectorELNS0_4arch9wavefront6targetE0EEEvSZ_
                                        ; -- End function
	.set _ZN7rocprim17ROCPRIM_400000_NS6detail17trampoline_kernelINS0_13select_configILj256ELj13ELNS0_17block_load_methodE3ELS4_3ELS4_3ELNS0_20block_scan_algorithmE0ELj4294967295EEENS1_25partition_config_selectorILNS1_17partition_subalgoE3EjNS0_10empty_typeEbEEZZNS1_14partition_implILS8_3ELb0ES6_jNS0_17counting_iteratorIjlEEPS9_SE_NS0_5tupleIJPjSE_EEENSF_IJSE_SE_EEES9_SG_JZNS1_25segmented_radix_sort_implINS0_14default_configELb1EPK12hip_bfloat16PSL_PKlPlN2at6native12_GLOBAL__N_18offset_tEEE10hipError_tPvRmT1_PNSt15iterator_traitsISZ_E10value_typeET2_T3_PNS10_IS15_E10value_typeET4_jRbjT5_S1B_jjP12ihipStream_tbEUljE_EEESW_SX_SY_S15_S19_S1B_T6_T7_T9_mT8_S1D_bDpT10_ENKUlT_T0_E_clISt17integral_constantIbLb1EES1Q_EEDaS1L_S1M_EUlS1L_E_NS1_11comp_targetILNS1_3genE10ELNS1_11target_archE1200ELNS1_3gpuE4ELNS1_3repE0EEENS1_30default_config_static_selectorELNS0_4arch9wavefront6targetE0EEEvSZ_.num_vgpr, 0
	.set _ZN7rocprim17ROCPRIM_400000_NS6detail17trampoline_kernelINS0_13select_configILj256ELj13ELNS0_17block_load_methodE3ELS4_3ELS4_3ELNS0_20block_scan_algorithmE0ELj4294967295EEENS1_25partition_config_selectorILNS1_17partition_subalgoE3EjNS0_10empty_typeEbEEZZNS1_14partition_implILS8_3ELb0ES6_jNS0_17counting_iteratorIjlEEPS9_SE_NS0_5tupleIJPjSE_EEENSF_IJSE_SE_EEES9_SG_JZNS1_25segmented_radix_sort_implINS0_14default_configELb1EPK12hip_bfloat16PSL_PKlPlN2at6native12_GLOBAL__N_18offset_tEEE10hipError_tPvRmT1_PNSt15iterator_traitsISZ_E10value_typeET2_T3_PNS10_IS15_E10value_typeET4_jRbjT5_S1B_jjP12ihipStream_tbEUljE_EEESW_SX_SY_S15_S19_S1B_T6_T7_T9_mT8_S1D_bDpT10_ENKUlT_T0_E_clISt17integral_constantIbLb1EES1Q_EEDaS1L_S1M_EUlS1L_E_NS1_11comp_targetILNS1_3genE10ELNS1_11target_archE1200ELNS1_3gpuE4ELNS1_3repE0EEENS1_30default_config_static_selectorELNS0_4arch9wavefront6targetE0EEEvSZ_.num_agpr, 0
	.set _ZN7rocprim17ROCPRIM_400000_NS6detail17trampoline_kernelINS0_13select_configILj256ELj13ELNS0_17block_load_methodE3ELS4_3ELS4_3ELNS0_20block_scan_algorithmE0ELj4294967295EEENS1_25partition_config_selectorILNS1_17partition_subalgoE3EjNS0_10empty_typeEbEEZZNS1_14partition_implILS8_3ELb0ES6_jNS0_17counting_iteratorIjlEEPS9_SE_NS0_5tupleIJPjSE_EEENSF_IJSE_SE_EEES9_SG_JZNS1_25segmented_radix_sort_implINS0_14default_configELb1EPK12hip_bfloat16PSL_PKlPlN2at6native12_GLOBAL__N_18offset_tEEE10hipError_tPvRmT1_PNSt15iterator_traitsISZ_E10value_typeET2_T3_PNS10_IS15_E10value_typeET4_jRbjT5_S1B_jjP12ihipStream_tbEUljE_EEESW_SX_SY_S15_S19_S1B_T6_T7_T9_mT8_S1D_bDpT10_ENKUlT_T0_E_clISt17integral_constantIbLb1EES1Q_EEDaS1L_S1M_EUlS1L_E_NS1_11comp_targetILNS1_3genE10ELNS1_11target_archE1200ELNS1_3gpuE4ELNS1_3repE0EEENS1_30default_config_static_selectorELNS0_4arch9wavefront6targetE0EEEvSZ_.numbered_sgpr, 0
	.set _ZN7rocprim17ROCPRIM_400000_NS6detail17trampoline_kernelINS0_13select_configILj256ELj13ELNS0_17block_load_methodE3ELS4_3ELS4_3ELNS0_20block_scan_algorithmE0ELj4294967295EEENS1_25partition_config_selectorILNS1_17partition_subalgoE3EjNS0_10empty_typeEbEEZZNS1_14partition_implILS8_3ELb0ES6_jNS0_17counting_iteratorIjlEEPS9_SE_NS0_5tupleIJPjSE_EEENSF_IJSE_SE_EEES9_SG_JZNS1_25segmented_radix_sort_implINS0_14default_configELb1EPK12hip_bfloat16PSL_PKlPlN2at6native12_GLOBAL__N_18offset_tEEE10hipError_tPvRmT1_PNSt15iterator_traitsISZ_E10value_typeET2_T3_PNS10_IS15_E10value_typeET4_jRbjT5_S1B_jjP12ihipStream_tbEUljE_EEESW_SX_SY_S15_S19_S1B_T6_T7_T9_mT8_S1D_bDpT10_ENKUlT_T0_E_clISt17integral_constantIbLb1EES1Q_EEDaS1L_S1M_EUlS1L_E_NS1_11comp_targetILNS1_3genE10ELNS1_11target_archE1200ELNS1_3gpuE4ELNS1_3repE0EEENS1_30default_config_static_selectorELNS0_4arch9wavefront6targetE0EEEvSZ_.num_named_barrier, 0
	.set _ZN7rocprim17ROCPRIM_400000_NS6detail17trampoline_kernelINS0_13select_configILj256ELj13ELNS0_17block_load_methodE3ELS4_3ELS4_3ELNS0_20block_scan_algorithmE0ELj4294967295EEENS1_25partition_config_selectorILNS1_17partition_subalgoE3EjNS0_10empty_typeEbEEZZNS1_14partition_implILS8_3ELb0ES6_jNS0_17counting_iteratorIjlEEPS9_SE_NS0_5tupleIJPjSE_EEENSF_IJSE_SE_EEES9_SG_JZNS1_25segmented_radix_sort_implINS0_14default_configELb1EPK12hip_bfloat16PSL_PKlPlN2at6native12_GLOBAL__N_18offset_tEEE10hipError_tPvRmT1_PNSt15iterator_traitsISZ_E10value_typeET2_T3_PNS10_IS15_E10value_typeET4_jRbjT5_S1B_jjP12ihipStream_tbEUljE_EEESW_SX_SY_S15_S19_S1B_T6_T7_T9_mT8_S1D_bDpT10_ENKUlT_T0_E_clISt17integral_constantIbLb1EES1Q_EEDaS1L_S1M_EUlS1L_E_NS1_11comp_targetILNS1_3genE10ELNS1_11target_archE1200ELNS1_3gpuE4ELNS1_3repE0EEENS1_30default_config_static_selectorELNS0_4arch9wavefront6targetE0EEEvSZ_.private_seg_size, 0
	.set _ZN7rocprim17ROCPRIM_400000_NS6detail17trampoline_kernelINS0_13select_configILj256ELj13ELNS0_17block_load_methodE3ELS4_3ELS4_3ELNS0_20block_scan_algorithmE0ELj4294967295EEENS1_25partition_config_selectorILNS1_17partition_subalgoE3EjNS0_10empty_typeEbEEZZNS1_14partition_implILS8_3ELb0ES6_jNS0_17counting_iteratorIjlEEPS9_SE_NS0_5tupleIJPjSE_EEENSF_IJSE_SE_EEES9_SG_JZNS1_25segmented_radix_sort_implINS0_14default_configELb1EPK12hip_bfloat16PSL_PKlPlN2at6native12_GLOBAL__N_18offset_tEEE10hipError_tPvRmT1_PNSt15iterator_traitsISZ_E10value_typeET2_T3_PNS10_IS15_E10value_typeET4_jRbjT5_S1B_jjP12ihipStream_tbEUljE_EEESW_SX_SY_S15_S19_S1B_T6_T7_T9_mT8_S1D_bDpT10_ENKUlT_T0_E_clISt17integral_constantIbLb1EES1Q_EEDaS1L_S1M_EUlS1L_E_NS1_11comp_targetILNS1_3genE10ELNS1_11target_archE1200ELNS1_3gpuE4ELNS1_3repE0EEENS1_30default_config_static_selectorELNS0_4arch9wavefront6targetE0EEEvSZ_.uses_vcc, 0
	.set _ZN7rocprim17ROCPRIM_400000_NS6detail17trampoline_kernelINS0_13select_configILj256ELj13ELNS0_17block_load_methodE3ELS4_3ELS4_3ELNS0_20block_scan_algorithmE0ELj4294967295EEENS1_25partition_config_selectorILNS1_17partition_subalgoE3EjNS0_10empty_typeEbEEZZNS1_14partition_implILS8_3ELb0ES6_jNS0_17counting_iteratorIjlEEPS9_SE_NS0_5tupleIJPjSE_EEENSF_IJSE_SE_EEES9_SG_JZNS1_25segmented_radix_sort_implINS0_14default_configELb1EPK12hip_bfloat16PSL_PKlPlN2at6native12_GLOBAL__N_18offset_tEEE10hipError_tPvRmT1_PNSt15iterator_traitsISZ_E10value_typeET2_T3_PNS10_IS15_E10value_typeET4_jRbjT5_S1B_jjP12ihipStream_tbEUljE_EEESW_SX_SY_S15_S19_S1B_T6_T7_T9_mT8_S1D_bDpT10_ENKUlT_T0_E_clISt17integral_constantIbLb1EES1Q_EEDaS1L_S1M_EUlS1L_E_NS1_11comp_targetILNS1_3genE10ELNS1_11target_archE1200ELNS1_3gpuE4ELNS1_3repE0EEENS1_30default_config_static_selectorELNS0_4arch9wavefront6targetE0EEEvSZ_.uses_flat_scratch, 0
	.set _ZN7rocprim17ROCPRIM_400000_NS6detail17trampoline_kernelINS0_13select_configILj256ELj13ELNS0_17block_load_methodE3ELS4_3ELS4_3ELNS0_20block_scan_algorithmE0ELj4294967295EEENS1_25partition_config_selectorILNS1_17partition_subalgoE3EjNS0_10empty_typeEbEEZZNS1_14partition_implILS8_3ELb0ES6_jNS0_17counting_iteratorIjlEEPS9_SE_NS0_5tupleIJPjSE_EEENSF_IJSE_SE_EEES9_SG_JZNS1_25segmented_radix_sort_implINS0_14default_configELb1EPK12hip_bfloat16PSL_PKlPlN2at6native12_GLOBAL__N_18offset_tEEE10hipError_tPvRmT1_PNSt15iterator_traitsISZ_E10value_typeET2_T3_PNS10_IS15_E10value_typeET4_jRbjT5_S1B_jjP12ihipStream_tbEUljE_EEESW_SX_SY_S15_S19_S1B_T6_T7_T9_mT8_S1D_bDpT10_ENKUlT_T0_E_clISt17integral_constantIbLb1EES1Q_EEDaS1L_S1M_EUlS1L_E_NS1_11comp_targetILNS1_3genE10ELNS1_11target_archE1200ELNS1_3gpuE4ELNS1_3repE0EEENS1_30default_config_static_selectorELNS0_4arch9wavefront6targetE0EEEvSZ_.has_dyn_sized_stack, 0
	.set _ZN7rocprim17ROCPRIM_400000_NS6detail17trampoline_kernelINS0_13select_configILj256ELj13ELNS0_17block_load_methodE3ELS4_3ELS4_3ELNS0_20block_scan_algorithmE0ELj4294967295EEENS1_25partition_config_selectorILNS1_17partition_subalgoE3EjNS0_10empty_typeEbEEZZNS1_14partition_implILS8_3ELb0ES6_jNS0_17counting_iteratorIjlEEPS9_SE_NS0_5tupleIJPjSE_EEENSF_IJSE_SE_EEES9_SG_JZNS1_25segmented_radix_sort_implINS0_14default_configELb1EPK12hip_bfloat16PSL_PKlPlN2at6native12_GLOBAL__N_18offset_tEEE10hipError_tPvRmT1_PNSt15iterator_traitsISZ_E10value_typeET2_T3_PNS10_IS15_E10value_typeET4_jRbjT5_S1B_jjP12ihipStream_tbEUljE_EEESW_SX_SY_S15_S19_S1B_T6_T7_T9_mT8_S1D_bDpT10_ENKUlT_T0_E_clISt17integral_constantIbLb1EES1Q_EEDaS1L_S1M_EUlS1L_E_NS1_11comp_targetILNS1_3genE10ELNS1_11target_archE1200ELNS1_3gpuE4ELNS1_3repE0EEENS1_30default_config_static_selectorELNS0_4arch9wavefront6targetE0EEEvSZ_.has_recursion, 0
	.set _ZN7rocprim17ROCPRIM_400000_NS6detail17trampoline_kernelINS0_13select_configILj256ELj13ELNS0_17block_load_methodE3ELS4_3ELS4_3ELNS0_20block_scan_algorithmE0ELj4294967295EEENS1_25partition_config_selectorILNS1_17partition_subalgoE3EjNS0_10empty_typeEbEEZZNS1_14partition_implILS8_3ELb0ES6_jNS0_17counting_iteratorIjlEEPS9_SE_NS0_5tupleIJPjSE_EEENSF_IJSE_SE_EEES9_SG_JZNS1_25segmented_radix_sort_implINS0_14default_configELb1EPK12hip_bfloat16PSL_PKlPlN2at6native12_GLOBAL__N_18offset_tEEE10hipError_tPvRmT1_PNSt15iterator_traitsISZ_E10value_typeET2_T3_PNS10_IS15_E10value_typeET4_jRbjT5_S1B_jjP12ihipStream_tbEUljE_EEESW_SX_SY_S15_S19_S1B_T6_T7_T9_mT8_S1D_bDpT10_ENKUlT_T0_E_clISt17integral_constantIbLb1EES1Q_EEDaS1L_S1M_EUlS1L_E_NS1_11comp_targetILNS1_3genE10ELNS1_11target_archE1200ELNS1_3gpuE4ELNS1_3repE0EEENS1_30default_config_static_selectorELNS0_4arch9wavefront6targetE0EEEvSZ_.has_indirect_call, 0
	.section	.AMDGPU.csdata,"",@progbits
; Kernel info:
; codeLenInByte = 0
; TotalNumSgprs: 0
; NumVgprs: 0
; ScratchSize: 0
; MemoryBound: 0
; FloatMode: 240
; IeeeMode: 1
; LDSByteSize: 0 bytes/workgroup (compile time only)
; SGPRBlocks: 0
; VGPRBlocks: 0
; NumSGPRsForWavesPerEU: 1
; NumVGPRsForWavesPerEU: 1
; NamedBarCnt: 0
; Occupancy: 16
; WaveLimiterHint : 0
; COMPUTE_PGM_RSRC2:SCRATCH_EN: 0
; COMPUTE_PGM_RSRC2:USER_SGPR: 2
; COMPUTE_PGM_RSRC2:TRAP_HANDLER: 0
; COMPUTE_PGM_RSRC2:TGID_X_EN: 1
; COMPUTE_PGM_RSRC2:TGID_Y_EN: 0
; COMPUTE_PGM_RSRC2:TGID_Z_EN: 0
; COMPUTE_PGM_RSRC2:TIDIG_COMP_CNT: 0
	.section	.text._ZN7rocprim17ROCPRIM_400000_NS6detail17trampoline_kernelINS0_13select_configILj256ELj13ELNS0_17block_load_methodE3ELS4_3ELS4_3ELNS0_20block_scan_algorithmE0ELj4294967295EEENS1_25partition_config_selectorILNS1_17partition_subalgoE3EjNS0_10empty_typeEbEEZZNS1_14partition_implILS8_3ELb0ES6_jNS0_17counting_iteratorIjlEEPS9_SE_NS0_5tupleIJPjSE_EEENSF_IJSE_SE_EEES9_SG_JZNS1_25segmented_radix_sort_implINS0_14default_configELb1EPK12hip_bfloat16PSL_PKlPlN2at6native12_GLOBAL__N_18offset_tEEE10hipError_tPvRmT1_PNSt15iterator_traitsISZ_E10value_typeET2_T3_PNS10_IS15_E10value_typeET4_jRbjT5_S1B_jjP12ihipStream_tbEUljE_EEESW_SX_SY_S15_S19_S1B_T6_T7_T9_mT8_S1D_bDpT10_ENKUlT_T0_E_clISt17integral_constantIbLb1EES1Q_EEDaS1L_S1M_EUlS1L_E_NS1_11comp_targetILNS1_3genE9ELNS1_11target_archE1100ELNS1_3gpuE3ELNS1_3repE0EEENS1_30default_config_static_selectorELNS0_4arch9wavefront6targetE0EEEvSZ_,"axG",@progbits,_ZN7rocprim17ROCPRIM_400000_NS6detail17trampoline_kernelINS0_13select_configILj256ELj13ELNS0_17block_load_methodE3ELS4_3ELS4_3ELNS0_20block_scan_algorithmE0ELj4294967295EEENS1_25partition_config_selectorILNS1_17partition_subalgoE3EjNS0_10empty_typeEbEEZZNS1_14partition_implILS8_3ELb0ES6_jNS0_17counting_iteratorIjlEEPS9_SE_NS0_5tupleIJPjSE_EEENSF_IJSE_SE_EEES9_SG_JZNS1_25segmented_radix_sort_implINS0_14default_configELb1EPK12hip_bfloat16PSL_PKlPlN2at6native12_GLOBAL__N_18offset_tEEE10hipError_tPvRmT1_PNSt15iterator_traitsISZ_E10value_typeET2_T3_PNS10_IS15_E10value_typeET4_jRbjT5_S1B_jjP12ihipStream_tbEUljE_EEESW_SX_SY_S15_S19_S1B_T6_T7_T9_mT8_S1D_bDpT10_ENKUlT_T0_E_clISt17integral_constantIbLb1EES1Q_EEDaS1L_S1M_EUlS1L_E_NS1_11comp_targetILNS1_3genE9ELNS1_11target_archE1100ELNS1_3gpuE3ELNS1_3repE0EEENS1_30default_config_static_selectorELNS0_4arch9wavefront6targetE0EEEvSZ_,comdat
	.globl	_ZN7rocprim17ROCPRIM_400000_NS6detail17trampoline_kernelINS0_13select_configILj256ELj13ELNS0_17block_load_methodE3ELS4_3ELS4_3ELNS0_20block_scan_algorithmE0ELj4294967295EEENS1_25partition_config_selectorILNS1_17partition_subalgoE3EjNS0_10empty_typeEbEEZZNS1_14partition_implILS8_3ELb0ES6_jNS0_17counting_iteratorIjlEEPS9_SE_NS0_5tupleIJPjSE_EEENSF_IJSE_SE_EEES9_SG_JZNS1_25segmented_radix_sort_implINS0_14default_configELb1EPK12hip_bfloat16PSL_PKlPlN2at6native12_GLOBAL__N_18offset_tEEE10hipError_tPvRmT1_PNSt15iterator_traitsISZ_E10value_typeET2_T3_PNS10_IS15_E10value_typeET4_jRbjT5_S1B_jjP12ihipStream_tbEUljE_EEESW_SX_SY_S15_S19_S1B_T6_T7_T9_mT8_S1D_bDpT10_ENKUlT_T0_E_clISt17integral_constantIbLb1EES1Q_EEDaS1L_S1M_EUlS1L_E_NS1_11comp_targetILNS1_3genE9ELNS1_11target_archE1100ELNS1_3gpuE3ELNS1_3repE0EEENS1_30default_config_static_selectorELNS0_4arch9wavefront6targetE0EEEvSZ_ ; -- Begin function _ZN7rocprim17ROCPRIM_400000_NS6detail17trampoline_kernelINS0_13select_configILj256ELj13ELNS0_17block_load_methodE3ELS4_3ELS4_3ELNS0_20block_scan_algorithmE0ELj4294967295EEENS1_25partition_config_selectorILNS1_17partition_subalgoE3EjNS0_10empty_typeEbEEZZNS1_14partition_implILS8_3ELb0ES6_jNS0_17counting_iteratorIjlEEPS9_SE_NS0_5tupleIJPjSE_EEENSF_IJSE_SE_EEES9_SG_JZNS1_25segmented_radix_sort_implINS0_14default_configELb1EPK12hip_bfloat16PSL_PKlPlN2at6native12_GLOBAL__N_18offset_tEEE10hipError_tPvRmT1_PNSt15iterator_traitsISZ_E10value_typeET2_T3_PNS10_IS15_E10value_typeET4_jRbjT5_S1B_jjP12ihipStream_tbEUljE_EEESW_SX_SY_S15_S19_S1B_T6_T7_T9_mT8_S1D_bDpT10_ENKUlT_T0_E_clISt17integral_constantIbLb1EES1Q_EEDaS1L_S1M_EUlS1L_E_NS1_11comp_targetILNS1_3genE9ELNS1_11target_archE1100ELNS1_3gpuE3ELNS1_3repE0EEENS1_30default_config_static_selectorELNS0_4arch9wavefront6targetE0EEEvSZ_
	.p2align	8
	.type	_ZN7rocprim17ROCPRIM_400000_NS6detail17trampoline_kernelINS0_13select_configILj256ELj13ELNS0_17block_load_methodE3ELS4_3ELS4_3ELNS0_20block_scan_algorithmE0ELj4294967295EEENS1_25partition_config_selectorILNS1_17partition_subalgoE3EjNS0_10empty_typeEbEEZZNS1_14partition_implILS8_3ELb0ES6_jNS0_17counting_iteratorIjlEEPS9_SE_NS0_5tupleIJPjSE_EEENSF_IJSE_SE_EEES9_SG_JZNS1_25segmented_radix_sort_implINS0_14default_configELb1EPK12hip_bfloat16PSL_PKlPlN2at6native12_GLOBAL__N_18offset_tEEE10hipError_tPvRmT1_PNSt15iterator_traitsISZ_E10value_typeET2_T3_PNS10_IS15_E10value_typeET4_jRbjT5_S1B_jjP12ihipStream_tbEUljE_EEESW_SX_SY_S15_S19_S1B_T6_T7_T9_mT8_S1D_bDpT10_ENKUlT_T0_E_clISt17integral_constantIbLb1EES1Q_EEDaS1L_S1M_EUlS1L_E_NS1_11comp_targetILNS1_3genE9ELNS1_11target_archE1100ELNS1_3gpuE3ELNS1_3repE0EEENS1_30default_config_static_selectorELNS0_4arch9wavefront6targetE0EEEvSZ_,@function
_ZN7rocprim17ROCPRIM_400000_NS6detail17trampoline_kernelINS0_13select_configILj256ELj13ELNS0_17block_load_methodE3ELS4_3ELS4_3ELNS0_20block_scan_algorithmE0ELj4294967295EEENS1_25partition_config_selectorILNS1_17partition_subalgoE3EjNS0_10empty_typeEbEEZZNS1_14partition_implILS8_3ELb0ES6_jNS0_17counting_iteratorIjlEEPS9_SE_NS0_5tupleIJPjSE_EEENSF_IJSE_SE_EEES9_SG_JZNS1_25segmented_radix_sort_implINS0_14default_configELb1EPK12hip_bfloat16PSL_PKlPlN2at6native12_GLOBAL__N_18offset_tEEE10hipError_tPvRmT1_PNSt15iterator_traitsISZ_E10value_typeET2_T3_PNS10_IS15_E10value_typeET4_jRbjT5_S1B_jjP12ihipStream_tbEUljE_EEESW_SX_SY_S15_S19_S1B_T6_T7_T9_mT8_S1D_bDpT10_ENKUlT_T0_E_clISt17integral_constantIbLb1EES1Q_EEDaS1L_S1M_EUlS1L_E_NS1_11comp_targetILNS1_3genE9ELNS1_11target_archE1100ELNS1_3gpuE3ELNS1_3repE0EEENS1_30default_config_static_selectorELNS0_4arch9wavefront6targetE0EEEvSZ_: ; @_ZN7rocprim17ROCPRIM_400000_NS6detail17trampoline_kernelINS0_13select_configILj256ELj13ELNS0_17block_load_methodE3ELS4_3ELS4_3ELNS0_20block_scan_algorithmE0ELj4294967295EEENS1_25partition_config_selectorILNS1_17partition_subalgoE3EjNS0_10empty_typeEbEEZZNS1_14partition_implILS8_3ELb0ES6_jNS0_17counting_iteratorIjlEEPS9_SE_NS0_5tupleIJPjSE_EEENSF_IJSE_SE_EEES9_SG_JZNS1_25segmented_radix_sort_implINS0_14default_configELb1EPK12hip_bfloat16PSL_PKlPlN2at6native12_GLOBAL__N_18offset_tEEE10hipError_tPvRmT1_PNSt15iterator_traitsISZ_E10value_typeET2_T3_PNS10_IS15_E10value_typeET4_jRbjT5_S1B_jjP12ihipStream_tbEUljE_EEESW_SX_SY_S15_S19_S1B_T6_T7_T9_mT8_S1D_bDpT10_ENKUlT_T0_E_clISt17integral_constantIbLb1EES1Q_EEDaS1L_S1M_EUlS1L_E_NS1_11comp_targetILNS1_3genE9ELNS1_11target_archE1100ELNS1_3gpuE3ELNS1_3repE0EEENS1_30default_config_static_selectorELNS0_4arch9wavefront6targetE0EEEvSZ_
; %bb.0:
	.section	.rodata,"a",@progbits
	.p2align	6, 0x0
	.amdhsa_kernel _ZN7rocprim17ROCPRIM_400000_NS6detail17trampoline_kernelINS0_13select_configILj256ELj13ELNS0_17block_load_methodE3ELS4_3ELS4_3ELNS0_20block_scan_algorithmE0ELj4294967295EEENS1_25partition_config_selectorILNS1_17partition_subalgoE3EjNS0_10empty_typeEbEEZZNS1_14partition_implILS8_3ELb0ES6_jNS0_17counting_iteratorIjlEEPS9_SE_NS0_5tupleIJPjSE_EEENSF_IJSE_SE_EEES9_SG_JZNS1_25segmented_radix_sort_implINS0_14default_configELb1EPK12hip_bfloat16PSL_PKlPlN2at6native12_GLOBAL__N_18offset_tEEE10hipError_tPvRmT1_PNSt15iterator_traitsISZ_E10value_typeET2_T3_PNS10_IS15_E10value_typeET4_jRbjT5_S1B_jjP12ihipStream_tbEUljE_EEESW_SX_SY_S15_S19_S1B_T6_T7_T9_mT8_S1D_bDpT10_ENKUlT_T0_E_clISt17integral_constantIbLb1EES1Q_EEDaS1L_S1M_EUlS1L_E_NS1_11comp_targetILNS1_3genE9ELNS1_11target_archE1100ELNS1_3gpuE3ELNS1_3repE0EEENS1_30default_config_static_selectorELNS0_4arch9wavefront6targetE0EEEvSZ_
		.amdhsa_group_segment_fixed_size 0
		.amdhsa_private_segment_fixed_size 0
		.amdhsa_kernarg_size 152
		.amdhsa_user_sgpr_count 2
		.amdhsa_user_sgpr_dispatch_ptr 0
		.amdhsa_user_sgpr_queue_ptr 0
		.amdhsa_user_sgpr_kernarg_segment_ptr 1
		.amdhsa_user_sgpr_dispatch_id 0
		.amdhsa_user_sgpr_kernarg_preload_length 0
		.amdhsa_user_sgpr_kernarg_preload_offset 0
		.amdhsa_user_sgpr_private_segment_size 0
		.amdhsa_wavefront_size32 1
		.amdhsa_uses_dynamic_stack 0
		.amdhsa_enable_private_segment 0
		.amdhsa_system_sgpr_workgroup_id_x 1
		.amdhsa_system_sgpr_workgroup_id_y 0
		.amdhsa_system_sgpr_workgroup_id_z 0
		.amdhsa_system_sgpr_workgroup_info 0
		.amdhsa_system_vgpr_workitem_id 0
		.amdhsa_next_free_vgpr 1
		.amdhsa_next_free_sgpr 1
		.amdhsa_named_barrier_count 0
		.amdhsa_reserve_vcc 0
		.amdhsa_float_round_mode_32 0
		.amdhsa_float_round_mode_16_64 0
		.amdhsa_float_denorm_mode_32 3
		.amdhsa_float_denorm_mode_16_64 3
		.amdhsa_fp16_overflow 0
		.amdhsa_memory_ordered 1
		.amdhsa_forward_progress 1
		.amdhsa_inst_pref_size 0
		.amdhsa_round_robin_scheduling 0
		.amdhsa_exception_fp_ieee_invalid_op 0
		.amdhsa_exception_fp_denorm_src 0
		.amdhsa_exception_fp_ieee_div_zero 0
		.amdhsa_exception_fp_ieee_overflow 0
		.amdhsa_exception_fp_ieee_underflow 0
		.amdhsa_exception_fp_ieee_inexact 0
		.amdhsa_exception_int_div_zero 0
	.end_amdhsa_kernel
	.section	.text._ZN7rocprim17ROCPRIM_400000_NS6detail17trampoline_kernelINS0_13select_configILj256ELj13ELNS0_17block_load_methodE3ELS4_3ELS4_3ELNS0_20block_scan_algorithmE0ELj4294967295EEENS1_25partition_config_selectorILNS1_17partition_subalgoE3EjNS0_10empty_typeEbEEZZNS1_14partition_implILS8_3ELb0ES6_jNS0_17counting_iteratorIjlEEPS9_SE_NS0_5tupleIJPjSE_EEENSF_IJSE_SE_EEES9_SG_JZNS1_25segmented_radix_sort_implINS0_14default_configELb1EPK12hip_bfloat16PSL_PKlPlN2at6native12_GLOBAL__N_18offset_tEEE10hipError_tPvRmT1_PNSt15iterator_traitsISZ_E10value_typeET2_T3_PNS10_IS15_E10value_typeET4_jRbjT5_S1B_jjP12ihipStream_tbEUljE_EEESW_SX_SY_S15_S19_S1B_T6_T7_T9_mT8_S1D_bDpT10_ENKUlT_T0_E_clISt17integral_constantIbLb1EES1Q_EEDaS1L_S1M_EUlS1L_E_NS1_11comp_targetILNS1_3genE9ELNS1_11target_archE1100ELNS1_3gpuE3ELNS1_3repE0EEENS1_30default_config_static_selectorELNS0_4arch9wavefront6targetE0EEEvSZ_,"axG",@progbits,_ZN7rocprim17ROCPRIM_400000_NS6detail17trampoline_kernelINS0_13select_configILj256ELj13ELNS0_17block_load_methodE3ELS4_3ELS4_3ELNS0_20block_scan_algorithmE0ELj4294967295EEENS1_25partition_config_selectorILNS1_17partition_subalgoE3EjNS0_10empty_typeEbEEZZNS1_14partition_implILS8_3ELb0ES6_jNS0_17counting_iteratorIjlEEPS9_SE_NS0_5tupleIJPjSE_EEENSF_IJSE_SE_EEES9_SG_JZNS1_25segmented_radix_sort_implINS0_14default_configELb1EPK12hip_bfloat16PSL_PKlPlN2at6native12_GLOBAL__N_18offset_tEEE10hipError_tPvRmT1_PNSt15iterator_traitsISZ_E10value_typeET2_T3_PNS10_IS15_E10value_typeET4_jRbjT5_S1B_jjP12ihipStream_tbEUljE_EEESW_SX_SY_S15_S19_S1B_T6_T7_T9_mT8_S1D_bDpT10_ENKUlT_T0_E_clISt17integral_constantIbLb1EES1Q_EEDaS1L_S1M_EUlS1L_E_NS1_11comp_targetILNS1_3genE9ELNS1_11target_archE1100ELNS1_3gpuE3ELNS1_3repE0EEENS1_30default_config_static_selectorELNS0_4arch9wavefront6targetE0EEEvSZ_,comdat
.Lfunc_end1918:
	.size	_ZN7rocprim17ROCPRIM_400000_NS6detail17trampoline_kernelINS0_13select_configILj256ELj13ELNS0_17block_load_methodE3ELS4_3ELS4_3ELNS0_20block_scan_algorithmE0ELj4294967295EEENS1_25partition_config_selectorILNS1_17partition_subalgoE3EjNS0_10empty_typeEbEEZZNS1_14partition_implILS8_3ELb0ES6_jNS0_17counting_iteratorIjlEEPS9_SE_NS0_5tupleIJPjSE_EEENSF_IJSE_SE_EEES9_SG_JZNS1_25segmented_radix_sort_implINS0_14default_configELb1EPK12hip_bfloat16PSL_PKlPlN2at6native12_GLOBAL__N_18offset_tEEE10hipError_tPvRmT1_PNSt15iterator_traitsISZ_E10value_typeET2_T3_PNS10_IS15_E10value_typeET4_jRbjT5_S1B_jjP12ihipStream_tbEUljE_EEESW_SX_SY_S15_S19_S1B_T6_T7_T9_mT8_S1D_bDpT10_ENKUlT_T0_E_clISt17integral_constantIbLb1EES1Q_EEDaS1L_S1M_EUlS1L_E_NS1_11comp_targetILNS1_3genE9ELNS1_11target_archE1100ELNS1_3gpuE3ELNS1_3repE0EEENS1_30default_config_static_selectorELNS0_4arch9wavefront6targetE0EEEvSZ_, .Lfunc_end1918-_ZN7rocprim17ROCPRIM_400000_NS6detail17trampoline_kernelINS0_13select_configILj256ELj13ELNS0_17block_load_methodE3ELS4_3ELS4_3ELNS0_20block_scan_algorithmE0ELj4294967295EEENS1_25partition_config_selectorILNS1_17partition_subalgoE3EjNS0_10empty_typeEbEEZZNS1_14partition_implILS8_3ELb0ES6_jNS0_17counting_iteratorIjlEEPS9_SE_NS0_5tupleIJPjSE_EEENSF_IJSE_SE_EEES9_SG_JZNS1_25segmented_radix_sort_implINS0_14default_configELb1EPK12hip_bfloat16PSL_PKlPlN2at6native12_GLOBAL__N_18offset_tEEE10hipError_tPvRmT1_PNSt15iterator_traitsISZ_E10value_typeET2_T3_PNS10_IS15_E10value_typeET4_jRbjT5_S1B_jjP12ihipStream_tbEUljE_EEESW_SX_SY_S15_S19_S1B_T6_T7_T9_mT8_S1D_bDpT10_ENKUlT_T0_E_clISt17integral_constantIbLb1EES1Q_EEDaS1L_S1M_EUlS1L_E_NS1_11comp_targetILNS1_3genE9ELNS1_11target_archE1100ELNS1_3gpuE3ELNS1_3repE0EEENS1_30default_config_static_selectorELNS0_4arch9wavefront6targetE0EEEvSZ_
                                        ; -- End function
	.set _ZN7rocprim17ROCPRIM_400000_NS6detail17trampoline_kernelINS0_13select_configILj256ELj13ELNS0_17block_load_methodE3ELS4_3ELS4_3ELNS0_20block_scan_algorithmE0ELj4294967295EEENS1_25partition_config_selectorILNS1_17partition_subalgoE3EjNS0_10empty_typeEbEEZZNS1_14partition_implILS8_3ELb0ES6_jNS0_17counting_iteratorIjlEEPS9_SE_NS0_5tupleIJPjSE_EEENSF_IJSE_SE_EEES9_SG_JZNS1_25segmented_radix_sort_implINS0_14default_configELb1EPK12hip_bfloat16PSL_PKlPlN2at6native12_GLOBAL__N_18offset_tEEE10hipError_tPvRmT1_PNSt15iterator_traitsISZ_E10value_typeET2_T3_PNS10_IS15_E10value_typeET4_jRbjT5_S1B_jjP12ihipStream_tbEUljE_EEESW_SX_SY_S15_S19_S1B_T6_T7_T9_mT8_S1D_bDpT10_ENKUlT_T0_E_clISt17integral_constantIbLb1EES1Q_EEDaS1L_S1M_EUlS1L_E_NS1_11comp_targetILNS1_3genE9ELNS1_11target_archE1100ELNS1_3gpuE3ELNS1_3repE0EEENS1_30default_config_static_selectorELNS0_4arch9wavefront6targetE0EEEvSZ_.num_vgpr, 0
	.set _ZN7rocprim17ROCPRIM_400000_NS6detail17trampoline_kernelINS0_13select_configILj256ELj13ELNS0_17block_load_methodE3ELS4_3ELS4_3ELNS0_20block_scan_algorithmE0ELj4294967295EEENS1_25partition_config_selectorILNS1_17partition_subalgoE3EjNS0_10empty_typeEbEEZZNS1_14partition_implILS8_3ELb0ES6_jNS0_17counting_iteratorIjlEEPS9_SE_NS0_5tupleIJPjSE_EEENSF_IJSE_SE_EEES9_SG_JZNS1_25segmented_radix_sort_implINS0_14default_configELb1EPK12hip_bfloat16PSL_PKlPlN2at6native12_GLOBAL__N_18offset_tEEE10hipError_tPvRmT1_PNSt15iterator_traitsISZ_E10value_typeET2_T3_PNS10_IS15_E10value_typeET4_jRbjT5_S1B_jjP12ihipStream_tbEUljE_EEESW_SX_SY_S15_S19_S1B_T6_T7_T9_mT8_S1D_bDpT10_ENKUlT_T0_E_clISt17integral_constantIbLb1EES1Q_EEDaS1L_S1M_EUlS1L_E_NS1_11comp_targetILNS1_3genE9ELNS1_11target_archE1100ELNS1_3gpuE3ELNS1_3repE0EEENS1_30default_config_static_selectorELNS0_4arch9wavefront6targetE0EEEvSZ_.num_agpr, 0
	.set _ZN7rocprim17ROCPRIM_400000_NS6detail17trampoline_kernelINS0_13select_configILj256ELj13ELNS0_17block_load_methodE3ELS4_3ELS4_3ELNS0_20block_scan_algorithmE0ELj4294967295EEENS1_25partition_config_selectorILNS1_17partition_subalgoE3EjNS0_10empty_typeEbEEZZNS1_14partition_implILS8_3ELb0ES6_jNS0_17counting_iteratorIjlEEPS9_SE_NS0_5tupleIJPjSE_EEENSF_IJSE_SE_EEES9_SG_JZNS1_25segmented_radix_sort_implINS0_14default_configELb1EPK12hip_bfloat16PSL_PKlPlN2at6native12_GLOBAL__N_18offset_tEEE10hipError_tPvRmT1_PNSt15iterator_traitsISZ_E10value_typeET2_T3_PNS10_IS15_E10value_typeET4_jRbjT5_S1B_jjP12ihipStream_tbEUljE_EEESW_SX_SY_S15_S19_S1B_T6_T7_T9_mT8_S1D_bDpT10_ENKUlT_T0_E_clISt17integral_constantIbLb1EES1Q_EEDaS1L_S1M_EUlS1L_E_NS1_11comp_targetILNS1_3genE9ELNS1_11target_archE1100ELNS1_3gpuE3ELNS1_3repE0EEENS1_30default_config_static_selectorELNS0_4arch9wavefront6targetE0EEEvSZ_.numbered_sgpr, 0
	.set _ZN7rocprim17ROCPRIM_400000_NS6detail17trampoline_kernelINS0_13select_configILj256ELj13ELNS0_17block_load_methodE3ELS4_3ELS4_3ELNS0_20block_scan_algorithmE0ELj4294967295EEENS1_25partition_config_selectorILNS1_17partition_subalgoE3EjNS0_10empty_typeEbEEZZNS1_14partition_implILS8_3ELb0ES6_jNS0_17counting_iteratorIjlEEPS9_SE_NS0_5tupleIJPjSE_EEENSF_IJSE_SE_EEES9_SG_JZNS1_25segmented_radix_sort_implINS0_14default_configELb1EPK12hip_bfloat16PSL_PKlPlN2at6native12_GLOBAL__N_18offset_tEEE10hipError_tPvRmT1_PNSt15iterator_traitsISZ_E10value_typeET2_T3_PNS10_IS15_E10value_typeET4_jRbjT5_S1B_jjP12ihipStream_tbEUljE_EEESW_SX_SY_S15_S19_S1B_T6_T7_T9_mT8_S1D_bDpT10_ENKUlT_T0_E_clISt17integral_constantIbLb1EES1Q_EEDaS1L_S1M_EUlS1L_E_NS1_11comp_targetILNS1_3genE9ELNS1_11target_archE1100ELNS1_3gpuE3ELNS1_3repE0EEENS1_30default_config_static_selectorELNS0_4arch9wavefront6targetE0EEEvSZ_.num_named_barrier, 0
	.set _ZN7rocprim17ROCPRIM_400000_NS6detail17trampoline_kernelINS0_13select_configILj256ELj13ELNS0_17block_load_methodE3ELS4_3ELS4_3ELNS0_20block_scan_algorithmE0ELj4294967295EEENS1_25partition_config_selectorILNS1_17partition_subalgoE3EjNS0_10empty_typeEbEEZZNS1_14partition_implILS8_3ELb0ES6_jNS0_17counting_iteratorIjlEEPS9_SE_NS0_5tupleIJPjSE_EEENSF_IJSE_SE_EEES9_SG_JZNS1_25segmented_radix_sort_implINS0_14default_configELb1EPK12hip_bfloat16PSL_PKlPlN2at6native12_GLOBAL__N_18offset_tEEE10hipError_tPvRmT1_PNSt15iterator_traitsISZ_E10value_typeET2_T3_PNS10_IS15_E10value_typeET4_jRbjT5_S1B_jjP12ihipStream_tbEUljE_EEESW_SX_SY_S15_S19_S1B_T6_T7_T9_mT8_S1D_bDpT10_ENKUlT_T0_E_clISt17integral_constantIbLb1EES1Q_EEDaS1L_S1M_EUlS1L_E_NS1_11comp_targetILNS1_3genE9ELNS1_11target_archE1100ELNS1_3gpuE3ELNS1_3repE0EEENS1_30default_config_static_selectorELNS0_4arch9wavefront6targetE0EEEvSZ_.private_seg_size, 0
	.set _ZN7rocprim17ROCPRIM_400000_NS6detail17trampoline_kernelINS0_13select_configILj256ELj13ELNS0_17block_load_methodE3ELS4_3ELS4_3ELNS0_20block_scan_algorithmE0ELj4294967295EEENS1_25partition_config_selectorILNS1_17partition_subalgoE3EjNS0_10empty_typeEbEEZZNS1_14partition_implILS8_3ELb0ES6_jNS0_17counting_iteratorIjlEEPS9_SE_NS0_5tupleIJPjSE_EEENSF_IJSE_SE_EEES9_SG_JZNS1_25segmented_radix_sort_implINS0_14default_configELb1EPK12hip_bfloat16PSL_PKlPlN2at6native12_GLOBAL__N_18offset_tEEE10hipError_tPvRmT1_PNSt15iterator_traitsISZ_E10value_typeET2_T3_PNS10_IS15_E10value_typeET4_jRbjT5_S1B_jjP12ihipStream_tbEUljE_EEESW_SX_SY_S15_S19_S1B_T6_T7_T9_mT8_S1D_bDpT10_ENKUlT_T0_E_clISt17integral_constantIbLb1EES1Q_EEDaS1L_S1M_EUlS1L_E_NS1_11comp_targetILNS1_3genE9ELNS1_11target_archE1100ELNS1_3gpuE3ELNS1_3repE0EEENS1_30default_config_static_selectorELNS0_4arch9wavefront6targetE0EEEvSZ_.uses_vcc, 0
	.set _ZN7rocprim17ROCPRIM_400000_NS6detail17trampoline_kernelINS0_13select_configILj256ELj13ELNS0_17block_load_methodE3ELS4_3ELS4_3ELNS0_20block_scan_algorithmE0ELj4294967295EEENS1_25partition_config_selectorILNS1_17partition_subalgoE3EjNS0_10empty_typeEbEEZZNS1_14partition_implILS8_3ELb0ES6_jNS0_17counting_iteratorIjlEEPS9_SE_NS0_5tupleIJPjSE_EEENSF_IJSE_SE_EEES9_SG_JZNS1_25segmented_radix_sort_implINS0_14default_configELb1EPK12hip_bfloat16PSL_PKlPlN2at6native12_GLOBAL__N_18offset_tEEE10hipError_tPvRmT1_PNSt15iterator_traitsISZ_E10value_typeET2_T3_PNS10_IS15_E10value_typeET4_jRbjT5_S1B_jjP12ihipStream_tbEUljE_EEESW_SX_SY_S15_S19_S1B_T6_T7_T9_mT8_S1D_bDpT10_ENKUlT_T0_E_clISt17integral_constantIbLb1EES1Q_EEDaS1L_S1M_EUlS1L_E_NS1_11comp_targetILNS1_3genE9ELNS1_11target_archE1100ELNS1_3gpuE3ELNS1_3repE0EEENS1_30default_config_static_selectorELNS0_4arch9wavefront6targetE0EEEvSZ_.uses_flat_scratch, 0
	.set _ZN7rocprim17ROCPRIM_400000_NS6detail17trampoline_kernelINS0_13select_configILj256ELj13ELNS0_17block_load_methodE3ELS4_3ELS4_3ELNS0_20block_scan_algorithmE0ELj4294967295EEENS1_25partition_config_selectorILNS1_17partition_subalgoE3EjNS0_10empty_typeEbEEZZNS1_14partition_implILS8_3ELb0ES6_jNS0_17counting_iteratorIjlEEPS9_SE_NS0_5tupleIJPjSE_EEENSF_IJSE_SE_EEES9_SG_JZNS1_25segmented_radix_sort_implINS0_14default_configELb1EPK12hip_bfloat16PSL_PKlPlN2at6native12_GLOBAL__N_18offset_tEEE10hipError_tPvRmT1_PNSt15iterator_traitsISZ_E10value_typeET2_T3_PNS10_IS15_E10value_typeET4_jRbjT5_S1B_jjP12ihipStream_tbEUljE_EEESW_SX_SY_S15_S19_S1B_T6_T7_T9_mT8_S1D_bDpT10_ENKUlT_T0_E_clISt17integral_constantIbLb1EES1Q_EEDaS1L_S1M_EUlS1L_E_NS1_11comp_targetILNS1_3genE9ELNS1_11target_archE1100ELNS1_3gpuE3ELNS1_3repE0EEENS1_30default_config_static_selectorELNS0_4arch9wavefront6targetE0EEEvSZ_.has_dyn_sized_stack, 0
	.set _ZN7rocprim17ROCPRIM_400000_NS6detail17trampoline_kernelINS0_13select_configILj256ELj13ELNS0_17block_load_methodE3ELS4_3ELS4_3ELNS0_20block_scan_algorithmE0ELj4294967295EEENS1_25partition_config_selectorILNS1_17partition_subalgoE3EjNS0_10empty_typeEbEEZZNS1_14partition_implILS8_3ELb0ES6_jNS0_17counting_iteratorIjlEEPS9_SE_NS0_5tupleIJPjSE_EEENSF_IJSE_SE_EEES9_SG_JZNS1_25segmented_radix_sort_implINS0_14default_configELb1EPK12hip_bfloat16PSL_PKlPlN2at6native12_GLOBAL__N_18offset_tEEE10hipError_tPvRmT1_PNSt15iterator_traitsISZ_E10value_typeET2_T3_PNS10_IS15_E10value_typeET4_jRbjT5_S1B_jjP12ihipStream_tbEUljE_EEESW_SX_SY_S15_S19_S1B_T6_T7_T9_mT8_S1D_bDpT10_ENKUlT_T0_E_clISt17integral_constantIbLb1EES1Q_EEDaS1L_S1M_EUlS1L_E_NS1_11comp_targetILNS1_3genE9ELNS1_11target_archE1100ELNS1_3gpuE3ELNS1_3repE0EEENS1_30default_config_static_selectorELNS0_4arch9wavefront6targetE0EEEvSZ_.has_recursion, 0
	.set _ZN7rocprim17ROCPRIM_400000_NS6detail17trampoline_kernelINS0_13select_configILj256ELj13ELNS0_17block_load_methodE3ELS4_3ELS4_3ELNS0_20block_scan_algorithmE0ELj4294967295EEENS1_25partition_config_selectorILNS1_17partition_subalgoE3EjNS0_10empty_typeEbEEZZNS1_14partition_implILS8_3ELb0ES6_jNS0_17counting_iteratorIjlEEPS9_SE_NS0_5tupleIJPjSE_EEENSF_IJSE_SE_EEES9_SG_JZNS1_25segmented_radix_sort_implINS0_14default_configELb1EPK12hip_bfloat16PSL_PKlPlN2at6native12_GLOBAL__N_18offset_tEEE10hipError_tPvRmT1_PNSt15iterator_traitsISZ_E10value_typeET2_T3_PNS10_IS15_E10value_typeET4_jRbjT5_S1B_jjP12ihipStream_tbEUljE_EEESW_SX_SY_S15_S19_S1B_T6_T7_T9_mT8_S1D_bDpT10_ENKUlT_T0_E_clISt17integral_constantIbLb1EES1Q_EEDaS1L_S1M_EUlS1L_E_NS1_11comp_targetILNS1_3genE9ELNS1_11target_archE1100ELNS1_3gpuE3ELNS1_3repE0EEENS1_30default_config_static_selectorELNS0_4arch9wavefront6targetE0EEEvSZ_.has_indirect_call, 0
	.section	.AMDGPU.csdata,"",@progbits
; Kernel info:
; codeLenInByte = 0
; TotalNumSgprs: 0
; NumVgprs: 0
; ScratchSize: 0
; MemoryBound: 0
; FloatMode: 240
; IeeeMode: 1
; LDSByteSize: 0 bytes/workgroup (compile time only)
; SGPRBlocks: 0
; VGPRBlocks: 0
; NumSGPRsForWavesPerEU: 1
; NumVGPRsForWavesPerEU: 1
; NamedBarCnt: 0
; Occupancy: 16
; WaveLimiterHint : 0
; COMPUTE_PGM_RSRC2:SCRATCH_EN: 0
; COMPUTE_PGM_RSRC2:USER_SGPR: 2
; COMPUTE_PGM_RSRC2:TRAP_HANDLER: 0
; COMPUTE_PGM_RSRC2:TGID_X_EN: 1
; COMPUTE_PGM_RSRC2:TGID_Y_EN: 0
; COMPUTE_PGM_RSRC2:TGID_Z_EN: 0
; COMPUTE_PGM_RSRC2:TIDIG_COMP_CNT: 0
	.section	.text._ZN7rocprim17ROCPRIM_400000_NS6detail17trampoline_kernelINS0_13select_configILj256ELj13ELNS0_17block_load_methodE3ELS4_3ELS4_3ELNS0_20block_scan_algorithmE0ELj4294967295EEENS1_25partition_config_selectorILNS1_17partition_subalgoE3EjNS0_10empty_typeEbEEZZNS1_14partition_implILS8_3ELb0ES6_jNS0_17counting_iteratorIjlEEPS9_SE_NS0_5tupleIJPjSE_EEENSF_IJSE_SE_EEES9_SG_JZNS1_25segmented_radix_sort_implINS0_14default_configELb1EPK12hip_bfloat16PSL_PKlPlN2at6native12_GLOBAL__N_18offset_tEEE10hipError_tPvRmT1_PNSt15iterator_traitsISZ_E10value_typeET2_T3_PNS10_IS15_E10value_typeET4_jRbjT5_S1B_jjP12ihipStream_tbEUljE_EEESW_SX_SY_S15_S19_S1B_T6_T7_T9_mT8_S1D_bDpT10_ENKUlT_T0_E_clISt17integral_constantIbLb1EES1Q_EEDaS1L_S1M_EUlS1L_E_NS1_11comp_targetILNS1_3genE8ELNS1_11target_archE1030ELNS1_3gpuE2ELNS1_3repE0EEENS1_30default_config_static_selectorELNS0_4arch9wavefront6targetE0EEEvSZ_,"axG",@progbits,_ZN7rocprim17ROCPRIM_400000_NS6detail17trampoline_kernelINS0_13select_configILj256ELj13ELNS0_17block_load_methodE3ELS4_3ELS4_3ELNS0_20block_scan_algorithmE0ELj4294967295EEENS1_25partition_config_selectorILNS1_17partition_subalgoE3EjNS0_10empty_typeEbEEZZNS1_14partition_implILS8_3ELb0ES6_jNS0_17counting_iteratorIjlEEPS9_SE_NS0_5tupleIJPjSE_EEENSF_IJSE_SE_EEES9_SG_JZNS1_25segmented_radix_sort_implINS0_14default_configELb1EPK12hip_bfloat16PSL_PKlPlN2at6native12_GLOBAL__N_18offset_tEEE10hipError_tPvRmT1_PNSt15iterator_traitsISZ_E10value_typeET2_T3_PNS10_IS15_E10value_typeET4_jRbjT5_S1B_jjP12ihipStream_tbEUljE_EEESW_SX_SY_S15_S19_S1B_T6_T7_T9_mT8_S1D_bDpT10_ENKUlT_T0_E_clISt17integral_constantIbLb1EES1Q_EEDaS1L_S1M_EUlS1L_E_NS1_11comp_targetILNS1_3genE8ELNS1_11target_archE1030ELNS1_3gpuE2ELNS1_3repE0EEENS1_30default_config_static_selectorELNS0_4arch9wavefront6targetE0EEEvSZ_,comdat
	.globl	_ZN7rocprim17ROCPRIM_400000_NS6detail17trampoline_kernelINS0_13select_configILj256ELj13ELNS0_17block_load_methodE3ELS4_3ELS4_3ELNS0_20block_scan_algorithmE0ELj4294967295EEENS1_25partition_config_selectorILNS1_17partition_subalgoE3EjNS0_10empty_typeEbEEZZNS1_14partition_implILS8_3ELb0ES6_jNS0_17counting_iteratorIjlEEPS9_SE_NS0_5tupleIJPjSE_EEENSF_IJSE_SE_EEES9_SG_JZNS1_25segmented_radix_sort_implINS0_14default_configELb1EPK12hip_bfloat16PSL_PKlPlN2at6native12_GLOBAL__N_18offset_tEEE10hipError_tPvRmT1_PNSt15iterator_traitsISZ_E10value_typeET2_T3_PNS10_IS15_E10value_typeET4_jRbjT5_S1B_jjP12ihipStream_tbEUljE_EEESW_SX_SY_S15_S19_S1B_T6_T7_T9_mT8_S1D_bDpT10_ENKUlT_T0_E_clISt17integral_constantIbLb1EES1Q_EEDaS1L_S1M_EUlS1L_E_NS1_11comp_targetILNS1_3genE8ELNS1_11target_archE1030ELNS1_3gpuE2ELNS1_3repE0EEENS1_30default_config_static_selectorELNS0_4arch9wavefront6targetE0EEEvSZ_ ; -- Begin function _ZN7rocprim17ROCPRIM_400000_NS6detail17trampoline_kernelINS0_13select_configILj256ELj13ELNS0_17block_load_methodE3ELS4_3ELS4_3ELNS0_20block_scan_algorithmE0ELj4294967295EEENS1_25partition_config_selectorILNS1_17partition_subalgoE3EjNS0_10empty_typeEbEEZZNS1_14partition_implILS8_3ELb0ES6_jNS0_17counting_iteratorIjlEEPS9_SE_NS0_5tupleIJPjSE_EEENSF_IJSE_SE_EEES9_SG_JZNS1_25segmented_radix_sort_implINS0_14default_configELb1EPK12hip_bfloat16PSL_PKlPlN2at6native12_GLOBAL__N_18offset_tEEE10hipError_tPvRmT1_PNSt15iterator_traitsISZ_E10value_typeET2_T3_PNS10_IS15_E10value_typeET4_jRbjT5_S1B_jjP12ihipStream_tbEUljE_EEESW_SX_SY_S15_S19_S1B_T6_T7_T9_mT8_S1D_bDpT10_ENKUlT_T0_E_clISt17integral_constantIbLb1EES1Q_EEDaS1L_S1M_EUlS1L_E_NS1_11comp_targetILNS1_3genE8ELNS1_11target_archE1030ELNS1_3gpuE2ELNS1_3repE0EEENS1_30default_config_static_selectorELNS0_4arch9wavefront6targetE0EEEvSZ_
	.p2align	8
	.type	_ZN7rocprim17ROCPRIM_400000_NS6detail17trampoline_kernelINS0_13select_configILj256ELj13ELNS0_17block_load_methodE3ELS4_3ELS4_3ELNS0_20block_scan_algorithmE0ELj4294967295EEENS1_25partition_config_selectorILNS1_17partition_subalgoE3EjNS0_10empty_typeEbEEZZNS1_14partition_implILS8_3ELb0ES6_jNS0_17counting_iteratorIjlEEPS9_SE_NS0_5tupleIJPjSE_EEENSF_IJSE_SE_EEES9_SG_JZNS1_25segmented_radix_sort_implINS0_14default_configELb1EPK12hip_bfloat16PSL_PKlPlN2at6native12_GLOBAL__N_18offset_tEEE10hipError_tPvRmT1_PNSt15iterator_traitsISZ_E10value_typeET2_T3_PNS10_IS15_E10value_typeET4_jRbjT5_S1B_jjP12ihipStream_tbEUljE_EEESW_SX_SY_S15_S19_S1B_T6_T7_T9_mT8_S1D_bDpT10_ENKUlT_T0_E_clISt17integral_constantIbLb1EES1Q_EEDaS1L_S1M_EUlS1L_E_NS1_11comp_targetILNS1_3genE8ELNS1_11target_archE1030ELNS1_3gpuE2ELNS1_3repE0EEENS1_30default_config_static_selectorELNS0_4arch9wavefront6targetE0EEEvSZ_,@function
_ZN7rocprim17ROCPRIM_400000_NS6detail17trampoline_kernelINS0_13select_configILj256ELj13ELNS0_17block_load_methodE3ELS4_3ELS4_3ELNS0_20block_scan_algorithmE0ELj4294967295EEENS1_25partition_config_selectorILNS1_17partition_subalgoE3EjNS0_10empty_typeEbEEZZNS1_14partition_implILS8_3ELb0ES6_jNS0_17counting_iteratorIjlEEPS9_SE_NS0_5tupleIJPjSE_EEENSF_IJSE_SE_EEES9_SG_JZNS1_25segmented_radix_sort_implINS0_14default_configELb1EPK12hip_bfloat16PSL_PKlPlN2at6native12_GLOBAL__N_18offset_tEEE10hipError_tPvRmT1_PNSt15iterator_traitsISZ_E10value_typeET2_T3_PNS10_IS15_E10value_typeET4_jRbjT5_S1B_jjP12ihipStream_tbEUljE_EEESW_SX_SY_S15_S19_S1B_T6_T7_T9_mT8_S1D_bDpT10_ENKUlT_T0_E_clISt17integral_constantIbLb1EES1Q_EEDaS1L_S1M_EUlS1L_E_NS1_11comp_targetILNS1_3genE8ELNS1_11target_archE1030ELNS1_3gpuE2ELNS1_3repE0EEENS1_30default_config_static_selectorELNS0_4arch9wavefront6targetE0EEEvSZ_: ; @_ZN7rocprim17ROCPRIM_400000_NS6detail17trampoline_kernelINS0_13select_configILj256ELj13ELNS0_17block_load_methodE3ELS4_3ELS4_3ELNS0_20block_scan_algorithmE0ELj4294967295EEENS1_25partition_config_selectorILNS1_17partition_subalgoE3EjNS0_10empty_typeEbEEZZNS1_14partition_implILS8_3ELb0ES6_jNS0_17counting_iteratorIjlEEPS9_SE_NS0_5tupleIJPjSE_EEENSF_IJSE_SE_EEES9_SG_JZNS1_25segmented_radix_sort_implINS0_14default_configELb1EPK12hip_bfloat16PSL_PKlPlN2at6native12_GLOBAL__N_18offset_tEEE10hipError_tPvRmT1_PNSt15iterator_traitsISZ_E10value_typeET2_T3_PNS10_IS15_E10value_typeET4_jRbjT5_S1B_jjP12ihipStream_tbEUljE_EEESW_SX_SY_S15_S19_S1B_T6_T7_T9_mT8_S1D_bDpT10_ENKUlT_T0_E_clISt17integral_constantIbLb1EES1Q_EEDaS1L_S1M_EUlS1L_E_NS1_11comp_targetILNS1_3genE8ELNS1_11target_archE1030ELNS1_3gpuE2ELNS1_3repE0EEENS1_30default_config_static_selectorELNS0_4arch9wavefront6targetE0EEEvSZ_
; %bb.0:
	.section	.rodata,"a",@progbits
	.p2align	6, 0x0
	.amdhsa_kernel _ZN7rocprim17ROCPRIM_400000_NS6detail17trampoline_kernelINS0_13select_configILj256ELj13ELNS0_17block_load_methodE3ELS4_3ELS4_3ELNS0_20block_scan_algorithmE0ELj4294967295EEENS1_25partition_config_selectorILNS1_17partition_subalgoE3EjNS0_10empty_typeEbEEZZNS1_14partition_implILS8_3ELb0ES6_jNS0_17counting_iteratorIjlEEPS9_SE_NS0_5tupleIJPjSE_EEENSF_IJSE_SE_EEES9_SG_JZNS1_25segmented_radix_sort_implINS0_14default_configELb1EPK12hip_bfloat16PSL_PKlPlN2at6native12_GLOBAL__N_18offset_tEEE10hipError_tPvRmT1_PNSt15iterator_traitsISZ_E10value_typeET2_T3_PNS10_IS15_E10value_typeET4_jRbjT5_S1B_jjP12ihipStream_tbEUljE_EEESW_SX_SY_S15_S19_S1B_T6_T7_T9_mT8_S1D_bDpT10_ENKUlT_T0_E_clISt17integral_constantIbLb1EES1Q_EEDaS1L_S1M_EUlS1L_E_NS1_11comp_targetILNS1_3genE8ELNS1_11target_archE1030ELNS1_3gpuE2ELNS1_3repE0EEENS1_30default_config_static_selectorELNS0_4arch9wavefront6targetE0EEEvSZ_
		.amdhsa_group_segment_fixed_size 0
		.amdhsa_private_segment_fixed_size 0
		.amdhsa_kernarg_size 152
		.amdhsa_user_sgpr_count 2
		.amdhsa_user_sgpr_dispatch_ptr 0
		.amdhsa_user_sgpr_queue_ptr 0
		.amdhsa_user_sgpr_kernarg_segment_ptr 1
		.amdhsa_user_sgpr_dispatch_id 0
		.amdhsa_user_sgpr_kernarg_preload_length 0
		.amdhsa_user_sgpr_kernarg_preload_offset 0
		.amdhsa_user_sgpr_private_segment_size 0
		.amdhsa_wavefront_size32 1
		.amdhsa_uses_dynamic_stack 0
		.amdhsa_enable_private_segment 0
		.amdhsa_system_sgpr_workgroup_id_x 1
		.amdhsa_system_sgpr_workgroup_id_y 0
		.amdhsa_system_sgpr_workgroup_id_z 0
		.amdhsa_system_sgpr_workgroup_info 0
		.amdhsa_system_vgpr_workitem_id 0
		.amdhsa_next_free_vgpr 1
		.amdhsa_next_free_sgpr 1
		.amdhsa_named_barrier_count 0
		.amdhsa_reserve_vcc 0
		.amdhsa_float_round_mode_32 0
		.amdhsa_float_round_mode_16_64 0
		.amdhsa_float_denorm_mode_32 3
		.amdhsa_float_denorm_mode_16_64 3
		.amdhsa_fp16_overflow 0
		.amdhsa_memory_ordered 1
		.amdhsa_forward_progress 1
		.amdhsa_inst_pref_size 0
		.amdhsa_round_robin_scheduling 0
		.amdhsa_exception_fp_ieee_invalid_op 0
		.amdhsa_exception_fp_denorm_src 0
		.amdhsa_exception_fp_ieee_div_zero 0
		.amdhsa_exception_fp_ieee_overflow 0
		.amdhsa_exception_fp_ieee_underflow 0
		.amdhsa_exception_fp_ieee_inexact 0
		.amdhsa_exception_int_div_zero 0
	.end_amdhsa_kernel
	.section	.text._ZN7rocprim17ROCPRIM_400000_NS6detail17trampoline_kernelINS0_13select_configILj256ELj13ELNS0_17block_load_methodE3ELS4_3ELS4_3ELNS0_20block_scan_algorithmE0ELj4294967295EEENS1_25partition_config_selectorILNS1_17partition_subalgoE3EjNS0_10empty_typeEbEEZZNS1_14partition_implILS8_3ELb0ES6_jNS0_17counting_iteratorIjlEEPS9_SE_NS0_5tupleIJPjSE_EEENSF_IJSE_SE_EEES9_SG_JZNS1_25segmented_radix_sort_implINS0_14default_configELb1EPK12hip_bfloat16PSL_PKlPlN2at6native12_GLOBAL__N_18offset_tEEE10hipError_tPvRmT1_PNSt15iterator_traitsISZ_E10value_typeET2_T3_PNS10_IS15_E10value_typeET4_jRbjT5_S1B_jjP12ihipStream_tbEUljE_EEESW_SX_SY_S15_S19_S1B_T6_T7_T9_mT8_S1D_bDpT10_ENKUlT_T0_E_clISt17integral_constantIbLb1EES1Q_EEDaS1L_S1M_EUlS1L_E_NS1_11comp_targetILNS1_3genE8ELNS1_11target_archE1030ELNS1_3gpuE2ELNS1_3repE0EEENS1_30default_config_static_selectorELNS0_4arch9wavefront6targetE0EEEvSZ_,"axG",@progbits,_ZN7rocprim17ROCPRIM_400000_NS6detail17trampoline_kernelINS0_13select_configILj256ELj13ELNS0_17block_load_methodE3ELS4_3ELS4_3ELNS0_20block_scan_algorithmE0ELj4294967295EEENS1_25partition_config_selectorILNS1_17partition_subalgoE3EjNS0_10empty_typeEbEEZZNS1_14partition_implILS8_3ELb0ES6_jNS0_17counting_iteratorIjlEEPS9_SE_NS0_5tupleIJPjSE_EEENSF_IJSE_SE_EEES9_SG_JZNS1_25segmented_radix_sort_implINS0_14default_configELb1EPK12hip_bfloat16PSL_PKlPlN2at6native12_GLOBAL__N_18offset_tEEE10hipError_tPvRmT1_PNSt15iterator_traitsISZ_E10value_typeET2_T3_PNS10_IS15_E10value_typeET4_jRbjT5_S1B_jjP12ihipStream_tbEUljE_EEESW_SX_SY_S15_S19_S1B_T6_T7_T9_mT8_S1D_bDpT10_ENKUlT_T0_E_clISt17integral_constantIbLb1EES1Q_EEDaS1L_S1M_EUlS1L_E_NS1_11comp_targetILNS1_3genE8ELNS1_11target_archE1030ELNS1_3gpuE2ELNS1_3repE0EEENS1_30default_config_static_selectorELNS0_4arch9wavefront6targetE0EEEvSZ_,comdat
.Lfunc_end1919:
	.size	_ZN7rocprim17ROCPRIM_400000_NS6detail17trampoline_kernelINS0_13select_configILj256ELj13ELNS0_17block_load_methodE3ELS4_3ELS4_3ELNS0_20block_scan_algorithmE0ELj4294967295EEENS1_25partition_config_selectorILNS1_17partition_subalgoE3EjNS0_10empty_typeEbEEZZNS1_14partition_implILS8_3ELb0ES6_jNS0_17counting_iteratorIjlEEPS9_SE_NS0_5tupleIJPjSE_EEENSF_IJSE_SE_EEES9_SG_JZNS1_25segmented_radix_sort_implINS0_14default_configELb1EPK12hip_bfloat16PSL_PKlPlN2at6native12_GLOBAL__N_18offset_tEEE10hipError_tPvRmT1_PNSt15iterator_traitsISZ_E10value_typeET2_T3_PNS10_IS15_E10value_typeET4_jRbjT5_S1B_jjP12ihipStream_tbEUljE_EEESW_SX_SY_S15_S19_S1B_T6_T7_T9_mT8_S1D_bDpT10_ENKUlT_T0_E_clISt17integral_constantIbLb1EES1Q_EEDaS1L_S1M_EUlS1L_E_NS1_11comp_targetILNS1_3genE8ELNS1_11target_archE1030ELNS1_3gpuE2ELNS1_3repE0EEENS1_30default_config_static_selectorELNS0_4arch9wavefront6targetE0EEEvSZ_, .Lfunc_end1919-_ZN7rocprim17ROCPRIM_400000_NS6detail17trampoline_kernelINS0_13select_configILj256ELj13ELNS0_17block_load_methodE3ELS4_3ELS4_3ELNS0_20block_scan_algorithmE0ELj4294967295EEENS1_25partition_config_selectorILNS1_17partition_subalgoE3EjNS0_10empty_typeEbEEZZNS1_14partition_implILS8_3ELb0ES6_jNS0_17counting_iteratorIjlEEPS9_SE_NS0_5tupleIJPjSE_EEENSF_IJSE_SE_EEES9_SG_JZNS1_25segmented_radix_sort_implINS0_14default_configELb1EPK12hip_bfloat16PSL_PKlPlN2at6native12_GLOBAL__N_18offset_tEEE10hipError_tPvRmT1_PNSt15iterator_traitsISZ_E10value_typeET2_T3_PNS10_IS15_E10value_typeET4_jRbjT5_S1B_jjP12ihipStream_tbEUljE_EEESW_SX_SY_S15_S19_S1B_T6_T7_T9_mT8_S1D_bDpT10_ENKUlT_T0_E_clISt17integral_constantIbLb1EES1Q_EEDaS1L_S1M_EUlS1L_E_NS1_11comp_targetILNS1_3genE8ELNS1_11target_archE1030ELNS1_3gpuE2ELNS1_3repE0EEENS1_30default_config_static_selectorELNS0_4arch9wavefront6targetE0EEEvSZ_
                                        ; -- End function
	.set _ZN7rocprim17ROCPRIM_400000_NS6detail17trampoline_kernelINS0_13select_configILj256ELj13ELNS0_17block_load_methodE3ELS4_3ELS4_3ELNS0_20block_scan_algorithmE0ELj4294967295EEENS1_25partition_config_selectorILNS1_17partition_subalgoE3EjNS0_10empty_typeEbEEZZNS1_14partition_implILS8_3ELb0ES6_jNS0_17counting_iteratorIjlEEPS9_SE_NS0_5tupleIJPjSE_EEENSF_IJSE_SE_EEES9_SG_JZNS1_25segmented_radix_sort_implINS0_14default_configELb1EPK12hip_bfloat16PSL_PKlPlN2at6native12_GLOBAL__N_18offset_tEEE10hipError_tPvRmT1_PNSt15iterator_traitsISZ_E10value_typeET2_T3_PNS10_IS15_E10value_typeET4_jRbjT5_S1B_jjP12ihipStream_tbEUljE_EEESW_SX_SY_S15_S19_S1B_T6_T7_T9_mT8_S1D_bDpT10_ENKUlT_T0_E_clISt17integral_constantIbLb1EES1Q_EEDaS1L_S1M_EUlS1L_E_NS1_11comp_targetILNS1_3genE8ELNS1_11target_archE1030ELNS1_3gpuE2ELNS1_3repE0EEENS1_30default_config_static_selectorELNS0_4arch9wavefront6targetE0EEEvSZ_.num_vgpr, 0
	.set _ZN7rocprim17ROCPRIM_400000_NS6detail17trampoline_kernelINS0_13select_configILj256ELj13ELNS0_17block_load_methodE3ELS4_3ELS4_3ELNS0_20block_scan_algorithmE0ELj4294967295EEENS1_25partition_config_selectorILNS1_17partition_subalgoE3EjNS0_10empty_typeEbEEZZNS1_14partition_implILS8_3ELb0ES6_jNS0_17counting_iteratorIjlEEPS9_SE_NS0_5tupleIJPjSE_EEENSF_IJSE_SE_EEES9_SG_JZNS1_25segmented_radix_sort_implINS0_14default_configELb1EPK12hip_bfloat16PSL_PKlPlN2at6native12_GLOBAL__N_18offset_tEEE10hipError_tPvRmT1_PNSt15iterator_traitsISZ_E10value_typeET2_T3_PNS10_IS15_E10value_typeET4_jRbjT5_S1B_jjP12ihipStream_tbEUljE_EEESW_SX_SY_S15_S19_S1B_T6_T7_T9_mT8_S1D_bDpT10_ENKUlT_T0_E_clISt17integral_constantIbLb1EES1Q_EEDaS1L_S1M_EUlS1L_E_NS1_11comp_targetILNS1_3genE8ELNS1_11target_archE1030ELNS1_3gpuE2ELNS1_3repE0EEENS1_30default_config_static_selectorELNS0_4arch9wavefront6targetE0EEEvSZ_.num_agpr, 0
	.set _ZN7rocprim17ROCPRIM_400000_NS6detail17trampoline_kernelINS0_13select_configILj256ELj13ELNS0_17block_load_methodE3ELS4_3ELS4_3ELNS0_20block_scan_algorithmE0ELj4294967295EEENS1_25partition_config_selectorILNS1_17partition_subalgoE3EjNS0_10empty_typeEbEEZZNS1_14partition_implILS8_3ELb0ES6_jNS0_17counting_iteratorIjlEEPS9_SE_NS0_5tupleIJPjSE_EEENSF_IJSE_SE_EEES9_SG_JZNS1_25segmented_radix_sort_implINS0_14default_configELb1EPK12hip_bfloat16PSL_PKlPlN2at6native12_GLOBAL__N_18offset_tEEE10hipError_tPvRmT1_PNSt15iterator_traitsISZ_E10value_typeET2_T3_PNS10_IS15_E10value_typeET4_jRbjT5_S1B_jjP12ihipStream_tbEUljE_EEESW_SX_SY_S15_S19_S1B_T6_T7_T9_mT8_S1D_bDpT10_ENKUlT_T0_E_clISt17integral_constantIbLb1EES1Q_EEDaS1L_S1M_EUlS1L_E_NS1_11comp_targetILNS1_3genE8ELNS1_11target_archE1030ELNS1_3gpuE2ELNS1_3repE0EEENS1_30default_config_static_selectorELNS0_4arch9wavefront6targetE0EEEvSZ_.numbered_sgpr, 0
	.set _ZN7rocprim17ROCPRIM_400000_NS6detail17trampoline_kernelINS0_13select_configILj256ELj13ELNS0_17block_load_methodE3ELS4_3ELS4_3ELNS0_20block_scan_algorithmE0ELj4294967295EEENS1_25partition_config_selectorILNS1_17partition_subalgoE3EjNS0_10empty_typeEbEEZZNS1_14partition_implILS8_3ELb0ES6_jNS0_17counting_iteratorIjlEEPS9_SE_NS0_5tupleIJPjSE_EEENSF_IJSE_SE_EEES9_SG_JZNS1_25segmented_radix_sort_implINS0_14default_configELb1EPK12hip_bfloat16PSL_PKlPlN2at6native12_GLOBAL__N_18offset_tEEE10hipError_tPvRmT1_PNSt15iterator_traitsISZ_E10value_typeET2_T3_PNS10_IS15_E10value_typeET4_jRbjT5_S1B_jjP12ihipStream_tbEUljE_EEESW_SX_SY_S15_S19_S1B_T6_T7_T9_mT8_S1D_bDpT10_ENKUlT_T0_E_clISt17integral_constantIbLb1EES1Q_EEDaS1L_S1M_EUlS1L_E_NS1_11comp_targetILNS1_3genE8ELNS1_11target_archE1030ELNS1_3gpuE2ELNS1_3repE0EEENS1_30default_config_static_selectorELNS0_4arch9wavefront6targetE0EEEvSZ_.num_named_barrier, 0
	.set _ZN7rocprim17ROCPRIM_400000_NS6detail17trampoline_kernelINS0_13select_configILj256ELj13ELNS0_17block_load_methodE3ELS4_3ELS4_3ELNS0_20block_scan_algorithmE0ELj4294967295EEENS1_25partition_config_selectorILNS1_17partition_subalgoE3EjNS0_10empty_typeEbEEZZNS1_14partition_implILS8_3ELb0ES6_jNS0_17counting_iteratorIjlEEPS9_SE_NS0_5tupleIJPjSE_EEENSF_IJSE_SE_EEES9_SG_JZNS1_25segmented_radix_sort_implINS0_14default_configELb1EPK12hip_bfloat16PSL_PKlPlN2at6native12_GLOBAL__N_18offset_tEEE10hipError_tPvRmT1_PNSt15iterator_traitsISZ_E10value_typeET2_T3_PNS10_IS15_E10value_typeET4_jRbjT5_S1B_jjP12ihipStream_tbEUljE_EEESW_SX_SY_S15_S19_S1B_T6_T7_T9_mT8_S1D_bDpT10_ENKUlT_T0_E_clISt17integral_constantIbLb1EES1Q_EEDaS1L_S1M_EUlS1L_E_NS1_11comp_targetILNS1_3genE8ELNS1_11target_archE1030ELNS1_3gpuE2ELNS1_3repE0EEENS1_30default_config_static_selectorELNS0_4arch9wavefront6targetE0EEEvSZ_.private_seg_size, 0
	.set _ZN7rocprim17ROCPRIM_400000_NS6detail17trampoline_kernelINS0_13select_configILj256ELj13ELNS0_17block_load_methodE3ELS4_3ELS4_3ELNS0_20block_scan_algorithmE0ELj4294967295EEENS1_25partition_config_selectorILNS1_17partition_subalgoE3EjNS0_10empty_typeEbEEZZNS1_14partition_implILS8_3ELb0ES6_jNS0_17counting_iteratorIjlEEPS9_SE_NS0_5tupleIJPjSE_EEENSF_IJSE_SE_EEES9_SG_JZNS1_25segmented_radix_sort_implINS0_14default_configELb1EPK12hip_bfloat16PSL_PKlPlN2at6native12_GLOBAL__N_18offset_tEEE10hipError_tPvRmT1_PNSt15iterator_traitsISZ_E10value_typeET2_T3_PNS10_IS15_E10value_typeET4_jRbjT5_S1B_jjP12ihipStream_tbEUljE_EEESW_SX_SY_S15_S19_S1B_T6_T7_T9_mT8_S1D_bDpT10_ENKUlT_T0_E_clISt17integral_constantIbLb1EES1Q_EEDaS1L_S1M_EUlS1L_E_NS1_11comp_targetILNS1_3genE8ELNS1_11target_archE1030ELNS1_3gpuE2ELNS1_3repE0EEENS1_30default_config_static_selectorELNS0_4arch9wavefront6targetE0EEEvSZ_.uses_vcc, 0
	.set _ZN7rocprim17ROCPRIM_400000_NS6detail17trampoline_kernelINS0_13select_configILj256ELj13ELNS0_17block_load_methodE3ELS4_3ELS4_3ELNS0_20block_scan_algorithmE0ELj4294967295EEENS1_25partition_config_selectorILNS1_17partition_subalgoE3EjNS0_10empty_typeEbEEZZNS1_14partition_implILS8_3ELb0ES6_jNS0_17counting_iteratorIjlEEPS9_SE_NS0_5tupleIJPjSE_EEENSF_IJSE_SE_EEES9_SG_JZNS1_25segmented_radix_sort_implINS0_14default_configELb1EPK12hip_bfloat16PSL_PKlPlN2at6native12_GLOBAL__N_18offset_tEEE10hipError_tPvRmT1_PNSt15iterator_traitsISZ_E10value_typeET2_T3_PNS10_IS15_E10value_typeET4_jRbjT5_S1B_jjP12ihipStream_tbEUljE_EEESW_SX_SY_S15_S19_S1B_T6_T7_T9_mT8_S1D_bDpT10_ENKUlT_T0_E_clISt17integral_constantIbLb1EES1Q_EEDaS1L_S1M_EUlS1L_E_NS1_11comp_targetILNS1_3genE8ELNS1_11target_archE1030ELNS1_3gpuE2ELNS1_3repE0EEENS1_30default_config_static_selectorELNS0_4arch9wavefront6targetE0EEEvSZ_.uses_flat_scratch, 0
	.set _ZN7rocprim17ROCPRIM_400000_NS6detail17trampoline_kernelINS0_13select_configILj256ELj13ELNS0_17block_load_methodE3ELS4_3ELS4_3ELNS0_20block_scan_algorithmE0ELj4294967295EEENS1_25partition_config_selectorILNS1_17partition_subalgoE3EjNS0_10empty_typeEbEEZZNS1_14partition_implILS8_3ELb0ES6_jNS0_17counting_iteratorIjlEEPS9_SE_NS0_5tupleIJPjSE_EEENSF_IJSE_SE_EEES9_SG_JZNS1_25segmented_radix_sort_implINS0_14default_configELb1EPK12hip_bfloat16PSL_PKlPlN2at6native12_GLOBAL__N_18offset_tEEE10hipError_tPvRmT1_PNSt15iterator_traitsISZ_E10value_typeET2_T3_PNS10_IS15_E10value_typeET4_jRbjT5_S1B_jjP12ihipStream_tbEUljE_EEESW_SX_SY_S15_S19_S1B_T6_T7_T9_mT8_S1D_bDpT10_ENKUlT_T0_E_clISt17integral_constantIbLb1EES1Q_EEDaS1L_S1M_EUlS1L_E_NS1_11comp_targetILNS1_3genE8ELNS1_11target_archE1030ELNS1_3gpuE2ELNS1_3repE0EEENS1_30default_config_static_selectorELNS0_4arch9wavefront6targetE0EEEvSZ_.has_dyn_sized_stack, 0
	.set _ZN7rocprim17ROCPRIM_400000_NS6detail17trampoline_kernelINS0_13select_configILj256ELj13ELNS0_17block_load_methodE3ELS4_3ELS4_3ELNS0_20block_scan_algorithmE0ELj4294967295EEENS1_25partition_config_selectorILNS1_17partition_subalgoE3EjNS0_10empty_typeEbEEZZNS1_14partition_implILS8_3ELb0ES6_jNS0_17counting_iteratorIjlEEPS9_SE_NS0_5tupleIJPjSE_EEENSF_IJSE_SE_EEES9_SG_JZNS1_25segmented_radix_sort_implINS0_14default_configELb1EPK12hip_bfloat16PSL_PKlPlN2at6native12_GLOBAL__N_18offset_tEEE10hipError_tPvRmT1_PNSt15iterator_traitsISZ_E10value_typeET2_T3_PNS10_IS15_E10value_typeET4_jRbjT5_S1B_jjP12ihipStream_tbEUljE_EEESW_SX_SY_S15_S19_S1B_T6_T7_T9_mT8_S1D_bDpT10_ENKUlT_T0_E_clISt17integral_constantIbLb1EES1Q_EEDaS1L_S1M_EUlS1L_E_NS1_11comp_targetILNS1_3genE8ELNS1_11target_archE1030ELNS1_3gpuE2ELNS1_3repE0EEENS1_30default_config_static_selectorELNS0_4arch9wavefront6targetE0EEEvSZ_.has_recursion, 0
	.set _ZN7rocprim17ROCPRIM_400000_NS6detail17trampoline_kernelINS0_13select_configILj256ELj13ELNS0_17block_load_methodE3ELS4_3ELS4_3ELNS0_20block_scan_algorithmE0ELj4294967295EEENS1_25partition_config_selectorILNS1_17partition_subalgoE3EjNS0_10empty_typeEbEEZZNS1_14partition_implILS8_3ELb0ES6_jNS0_17counting_iteratorIjlEEPS9_SE_NS0_5tupleIJPjSE_EEENSF_IJSE_SE_EEES9_SG_JZNS1_25segmented_radix_sort_implINS0_14default_configELb1EPK12hip_bfloat16PSL_PKlPlN2at6native12_GLOBAL__N_18offset_tEEE10hipError_tPvRmT1_PNSt15iterator_traitsISZ_E10value_typeET2_T3_PNS10_IS15_E10value_typeET4_jRbjT5_S1B_jjP12ihipStream_tbEUljE_EEESW_SX_SY_S15_S19_S1B_T6_T7_T9_mT8_S1D_bDpT10_ENKUlT_T0_E_clISt17integral_constantIbLb1EES1Q_EEDaS1L_S1M_EUlS1L_E_NS1_11comp_targetILNS1_3genE8ELNS1_11target_archE1030ELNS1_3gpuE2ELNS1_3repE0EEENS1_30default_config_static_selectorELNS0_4arch9wavefront6targetE0EEEvSZ_.has_indirect_call, 0
	.section	.AMDGPU.csdata,"",@progbits
; Kernel info:
; codeLenInByte = 0
; TotalNumSgprs: 0
; NumVgprs: 0
; ScratchSize: 0
; MemoryBound: 0
; FloatMode: 240
; IeeeMode: 1
; LDSByteSize: 0 bytes/workgroup (compile time only)
; SGPRBlocks: 0
; VGPRBlocks: 0
; NumSGPRsForWavesPerEU: 1
; NumVGPRsForWavesPerEU: 1
; NamedBarCnt: 0
; Occupancy: 16
; WaveLimiterHint : 0
; COMPUTE_PGM_RSRC2:SCRATCH_EN: 0
; COMPUTE_PGM_RSRC2:USER_SGPR: 2
; COMPUTE_PGM_RSRC2:TRAP_HANDLER: 0
; COMPUTE_PGM_RSRC2:TGID_X_EN: 1
; COMPUTE_PGM_RSRC2:TGID_Y_EN: 0
; COMPUTE_PGM_RSRC2:TGID_Z_EN: 0
; COMPUTE_PGM_RSRC2:TIDIG_COMP_CNT: 0
	.section	.text._ZN7rocprim17ROCPRIM_400000_NS6detail17trampoline_kernelINS0_13select_configILj256ELj13ELNS0_17block_load_methodE3ELS4_3ELS4_3ELNS0_20block_scan_algorithmE0ELj4294967295EEENS1_25partition_config_selectorILNS1_17partition_subalgoE3EjNS0_10empty_typeEbEEZZNS1_14partition_implILS8_3ELb0ES6_jNS0_17counting_iteratorIjlEEPS9_SE_NS0_5tupleIJPjSE_EEENSF_IJSE_SE_EEES9_SG_JZNS1_25segmented_radix_sort_implINS0_14default_configELb1EPK12hip_bfloat16PSL_PKlPlN2at6native12_GLOBAL__N_18offset_tEEE10hipError_tPvRmT1_PNSt15iterator_traitsISZ_E10value_typeET2_T3_PNS10_IS15_E10value_typeET4_jRbjT5_S1B_jjP12ihipStream_tbEUljE_EEESW_SX_SY_S15_S19_S1B_T6_T7_T9_mT8_S1D_bDpT10_ENKUlT_T0_E_clISt17integral_constantIbLb1EES1P_IbLb0EEEEDaS1L_S1M_EUlS1L_E_NS1_11comp_targetILNS1_3genE0ELNS1_11target_archE4294967295ELNS1_3gpuE0ELNS1_3repE0EEENS1_30default_config_static_selectorELNS0_4arch9wavefront6targetE0EEEvSZ_,"axG",@progbits,_ZN7rocprim17ROCPRIM_400000_NS6detail17trampoline_kernelINS0_13select_configILj256ELj13ELNS0_17block_load_methodE3ELS4_3ELS4_3ELNS0_20block_scan_algorithmE0ELj4294967295EEENS1_25partition_config_selectorILNS1_17partition_subalgoE3EjNS0_10empty_typeEbEEZZNS1_14partition_implILS8_3ELb0ES6_jNS0_17counting_iteratorIjlEEPS9_SE_NS0_5tupleIJPjSE_EEENSF_IJSE_SE_EEES9_SG_JZNS1_25segmented_radix_sort_implINS0_14default_configELb1EPK12hip_bfloat16PSL_PKlPlN2at6native12_GLOBAL__N_18offset_tEEE10hipError_tPvRmT1_PNSt15iterator_traitsISZ_E10value_typeET2_T3_PNS10_IS15_E10value_typeET4_jRbjT5_S1B_jjP12ihipStream_tbEUljE_EEESW_SX_SY_S15_S19_S1B_T6_T7_T9_mT8_S1D_bDpT10_ENKUlT_T0_E_clISt17integral_constantIbLb1EES1P_IbLb0EEEEDaS1L_S1M_EUlS1L_E_NS1_11comp_targetILNS1_3genE0ELNS1_11target_archE4294967295ELNS1_3gpuE0ELNS1_3repE0EEENS1_30default_config_static_selectorELNS0_4arch9wavefront6targetE0EEEvSZ_,comdat
	.globl	_ZN7rocprim17ROCPRIM_400000_NS6detail17trampoline_kernelINS0_13select_configILj256ELj13ELNS0_17block_load_methodE3ELS4_3ELS4_3ELNS0_20block_scan_algorithmE0ELj4294967295EEENS1_25partition_config_selectorILNS1_17partition_subalgoE3EjNS0_10empty_typeEbEEZZNS1_14partition_implILS8_3ELb0ES6_jNS0_17counting_iteratorIjlEEPS9_SE_NS0_5tupleIJPjSE_EEENSF_IJSE_SE_EEES9_SG_JZNS1_25segmented_radix_sort_implINS0_14default_configELb1EPK12hip_bfloat16PSL_PKlPlN2at6native12_GLOBAL__N_18offset_tEEE10hipError_tPvRmT1_PNSt15iterator_traitsISZ_E10value_typeET2_T3_PNS10_IS15_E10value_typeET4_jRbjT5_S1B_jjP12ihipStream_tbEUljE_EEESW_SX_SY_S15_S19_S1B_T6_T7_T9_mT8_S1D_bDpT10_ENKUlT_T0_E_clISt17integral_constantIbLb1EES1P_IbLb0EEEEDaS1L_S1M_EUlS1L_E_NS1_11comp_targetILNS1_3genE0ELNS1_11target_archE4294967295ELNS1_3gpuE0ELNS1_3repE0EEENS1_30default_config_static_selectorELNS0_4arch9wavefront6targetE0EEEvSZ_ ; -- Begin function _ZN7rocprim17ROCPRIM_400000_NS6detail17trampoline_kernelINS0_13select_configILj256ELj13ELNS0_17block_load_methodE3ELS4_3ELS4_3ELNS0_20block_scan_algorithmE0ELj4294967295EEENS1_25partition_config_selectorILNS1_17partition_subalgoE3EjNS0_10empty_typeEbEEZZNS1_14partition_implILS8_3ELb0ES6_jNS0_17counting_iteratorIjlEEPS9_SE_NS0_5tupleIJPjSE_EEENSF_IJSE_SE_EEES9_SG_JZNS1_25segmented_radix_sort_implINS0_14default_configELb1EPK12hip_bfloat16PSL_PKlPlN2at6native12_GLOBAL__N_18offset_tEEE10hipError_tPvRmT1_PNSt15iterator_traitsISZ_E10value_typeET2_T3_PNS10_IS15_E10value_typeET4_jRbjT5_S1B_jjP12ihipStream_tbEUljE_EEESW_SX_SY_S15_S19_S1B_T6_T7_T9_mT8_S1D_bDpT10_ENKUlT_T0_E_clISt17integral_constantIbLb1EES1P_IbLb0EEEEDaS1L_S1M_EUlS1L_E_NS1_11comp_targetILNS1_3genE0ELNS1_11target_archE4294967295ELNS1_3gpuE0ELNS1_3repE0EEENS1_30default_config_static_selectorELNS0_4arch9wavefront6targetE0EEEvSZ_
	.p2align	8
	.type	_ZN7rocprim17ROCPRIM_400000_NS6detail17trampoline_kernelINS0_13select_configILj256ELj13ELNS0_17block_load_methodE3ELS4_3ELS4_3ELNS0_20block_scan_algorithmE0ELj4294967295EEENS1_25partition_config_selectorILNS1_17partition_subalgoE3EjNS0_10empty_typeEbEEZZNS1_14partition_implILS8_3ELb0ES6_jNS0_17counting_iteratorIjlEEPS9_SE_NS0_5tupleIJPjSE_EEENSF_IJSE_SE_EEES9_SG_JZNS1_25segmented_radix_sort_implINS0_14default_configELb1EPK12hip_bfloat16PSL_PKlPlN2at6native12_GLOBAL__N_18offset_tEEE10hipError_tPvRmT1_PNSt15iterator_traitsISZ_E10value_typeET2_T3_PNS10_IS15_E10value_typeET4_jRbjT5_S1B_jjP12ihipStream_tbEUljE_EEESW_SX_SY_S15_S19_S1B_T6_T7_T9_mT8_S1D_bDpT10_ENKUlT_T0_E_clISt17integral_constantIbLb1EES1P_IbLb0EEEEDaS1L_S1M_EUlS1L_E_NS1_11comp_targetILNS1_3genE0ELNS1_11target_archE4294967295ELNS1_3gpuE0ELNS1_3repE0EEENS1_30default_config_static_selectorELNS0_4arch9wavefront6targetE0EEEvSZ_,@function
_ZN7rocprim17ROCPRIM_400000_NS6detail17trampoline_kernelINS0_13select_configILj256ELj13ELNS0_17block_load_methodE3ELS4_3ELS4_3ELNS0_20block_scan_algorithmE0ELj4294967295EEENS1_25partition_config_selectorILNS1_17partition_subalgoE3EjNS0_10empty_typeEbEEZZNS1_14partition_implILS8_3ELb0ES6_jNS0_17counting_iteratorIjlEEPS9_SE_NS0_5tupleIJPjSE_EEENSF_IJSE_SE_EEES9_SG_JZNS1_25segmented_radix_sort_implINS0_14default_configELb1EPK12hip_bfloat16PSL_PKlPlN2at6native12_GLOBAL__N_18offset_tEEE10hipError_tPvRmT1_PNSt15iterator_traitsISZ_E10value_typeET2_T3_PNS10_IS15_E10value_typeET4_jRbjT5_S1B_jjP12ihipStream_tbEUljE_EEESW_SX_SY_S15_S19_S1B_T6_T7_T9_mT8_S1D_bDpT10_ENKUlT_T0_E_clISt17integral_constantIbLb1EES1P_IbLb0EEEEDaS1L_S1M_EUlS1L_E_NS1_11comp_targetILNS1_3genE0ELNS1_11target_archE4294967295ELNS1_3gpuE0ELNS1_3repE0EEENS1_30default_config_static_selectorELNS0_4arch9wavefront6targetE0EEEvSZ_: ; @_ZN7rocprim17ROCPRIM_400000_NS6detail17trampoline_kernelINS0_13select_configILj256ELj13ELNS0_17block_load_methodE3ELS4_3ELS4_3ELNS0_20block_scan_algorithmE0ELj4294967295EEENS1_25partition_config_selectorILNS1_17partition_subalgoE3EjNS0_10empty_typeEbEEZZNS1_14partition_implILS8_3ELb0ES6_jNS0_17counting_iteratorIjlEEPS9_SE_NS0_5tupleIJPjSE_EEENSF_IJSE_SE_EEES9_SG_JZNS1_25segmented_radix_sort_implINS0_14default_configELb1EPK12hip_bfloat16PSL_PKlPlN2at6native12_GLOBAL__N_18offset_tEEE10hipError_tPvRmT1_PNSt15iterator_traitsISZ_E10value_typeET2_T3_PNS10_IS15_E10value_typeET4_jRbjT5_S1B_jjP12ihipStream_tbEUljE_EEESW_SX_SY_S15_S19_S1B_T6_T7_T9_mT8_S1D_bDpT10_ENKUlT_T0_E_clISt17integral_constantIbLb1EES1P_IbLb0EEEEDaS1L_S1M_EUlS1L_E_NS1_11comp_targetILNS1_3genE0ELNS1_11target_archE4294967295ELNS1_3gpuE0ELNS1_3repE0EEENS1_30default_config_static_selectorELNS0_4arch9wavefront6targetE0EEEvSZ_
; %bb.0:
	s_endpgm
	.section	.rodata,"a",@progbits
	.p2align	6, 0x0
	.amdhsa_kernel _ZN7rocprim17ROCPRIM_400000_NS6detail17trampoline_kernelINS0_13select_configILj256ELj13ELNS0_17block_load_methodE3ELS4_3ELS4_3ELNS0_20block_scan_algorithmE0ELj4294967295EEENS1_25partition_config_selectorILNS1_17partition_subalgoE3EjNS0_10empty_typeEbEEZZNS1_14partition_implILS8_3ELb0ES6_jNS0_17counting_iteratorIjlEEPS9_SE_NS0_5tupleIJPjSE_EEENSF_IJSE_SE_EEES9_SG_JZNS1_25segmented_radix_sort_implINS0_14default_configELb1EPK12hip_bfloat16PSL_PKlPlN2at6native12_GLOBAL__N_18offset_tEEE10hipError_tPvRmT1_PNSt15iterator_traitsISZ_E10value_typeET2_T3_PNS10_IS15_E10value_typeET4_jRbjT5_S1B_jjP12ihipStream_tbEUljE_EEESW_SX_SY_S15_S19_S1B_T6_T7_T9_mT8_S1D_bDpT10_ENKUlT_T0_E_clISt17integral_constantIbLb1EES1P_IbLb0EEEEDaS1L_S1M_EUlS1L_E_NS1_11comp_targetILNS1_3genE0ELNS1_11target_archE4294967295ELNS1_3gpuE0ELNS1_3repE0EEENS1_30default_config_static_selectorELNS0_4arch9wavefront6targetE0EEEvSZ_
		.amdhsa_group_segment_fixed_size 0
		.amdhsa_private_segment_fixed_size 0
		.amdhsa_kernarg_size 144
		.amdhsa_user_sgpr_count 2
		.amdhsa_user_sgpr_dispatch_ptr 0
		.amdhsa_user_sgpr_queue_ptr 0
		.amdhsa_user_sgpr_kernarg_segment_ptr 1
		.amdhsa_user_sgpr_dispatch_id 0
		.amdhsa_user_sgpr_kernarg_preload_length 0
		.amdhsa_user_sgpr_kernarg_preload_offset 0
		.amdhsa_user_sgpr_private_segment_size 0
		.amdhsa_wavefront_size32 1
		.amdhsa_uses_dynamic_stack 0
		.amdhsa_enable_private_segment 0
		.amdhsa_system_sgpr_workgroup_id_x 1
		.amdhsa_system_sgpr_workgroup_id_y 0
		.amdhsa_system_sgpr_workgroup_id_z 0
		.amdhsa_system_sgpr_workgroup_info 0
		.amdhsa_system_vgpr_workitem_id 0
		.amdhsa_next_free_vgpr 1
		.amdhsa_next_free_sgpr 1
		.amdhsa_named_barrier_count 0
		.amdhsa_reserve_vcc 0
		.amdhsa_float_round_mode_32 0
		.amdhsa_float_round_mode_16_64 0
		.amdhsa_float_denorm_mode_32 3
		.amdhsa_float_denorm_mode_16_64 3
		.amdhsa_fp16_overflow 0
		.amdhsa_memory_ordered 1
		.amdhsa_forward_progress 1
		.amdhsa_inst_pref_size 1
		.amdhsa_round_robin_scheduling 0
		.amdhsa_exception_fp_ieee_invalid_op 0
		.amdhsa_exception_fp_denorm_src 0
		.amdhsa_exception_fp_ieee_div_zero 0
		.amdhsa_exception_fp_ieee_overflow 0
		.amdhsa_exception_fp_ieee_underflow 0
		.amdhsa_exception_fp_ieee_inexact 0
		.amdhsa_exception_int_div_zero 0
	.end_amdhsa_kernel
	.section	.text._ZN7rocprim17ROCPRIM_400000_NS6detail17trampoline_kernelINS0_13select_configILj256ELj13ELNS0_17block_load_methodE3ELS4_3ELS4_3ELNS0_20block_scan_algorithmE0ELj4294967295EEENS1_25partition_config_selectorILNS1_17partition_subalgoE3EjNS0_10empty_typeEbEEZZNS1_14partition_implILS8_3ELb0ES6_jNS0_17counting_iteratorIjlEEPS9_SE_NS0_5tupleIJPjSE_EEENSF_IJSE_SE_EEES9_SG_JZNS1_25segmented_radix_sort_implINS0_14default_configELb1EPK12hip_bfloat16PSL_PKlPlN2at6native12_GLOBAL__N_18offset_tEEE10hipError_tPvRmT1_PNSt15iterator_traitsISZ_E10value_typeET2_T3_PNS10_IS15_E10value_typeET4_jRbjT5_S1B_jjP12ihipStream_tbEUljE_EEESW_SX_SY_S15_S19_S1B_T6_T7_T9_mT8_S1D_bDpT10_ENKUlT_T0_E_clISt17integral_constantIbLb1EES1P_IbLb0EEEEDaS1L_S1M_EUlS1L_E_NS1_11comp_targetILNS1_3genE0ELNS1_11target_archE4294967295ELNS1_3gpuE0ELNS1_3repE0EEENS1_30default_config_static_selectorELNS0_4arch9wavefront6targetE0EEEvSZ_,"axG",@progbits,_ZN7rocprim17ROCPRIM_400000_NS6detail17trampoline_kernelINS0_13select_configILj256ELj13ELNS0_17block_load_methodE3ELS4_3ELS4_3ELNS0_20block_scan_algorithmE0ELj4294967295EEENS1_25partition_config_selectorILNS1_17partition_subalgoE3EjNS0_10empty_typeEbEEZZNS1_14partition_implILS8_3ELb0ES6_jNS0_17counting_iteratorIjlEEPS9_SE_NS0_5tupleIJPjSE_EEENSF_IJSE_SE_EEES9_SG_JZNS1_25segmented_radix_sort_implINS0_14default_configELb1EPK12hip_bfloat16PSL_PKlPlN2at6native12_GLOBAL__N_18offset_tEEE10hipError_tPvRmT1_PNSt15iterator_traitsISZ_E10value_typeET2_T3_PNS10_IS15_E10value_typeET4_jRbjT5_S1B_jjP12ihipStream_tbEUljE_EEESW_SX_SY_S15_S19_S1B_T6_T7_T9_mT8_S1D_bDpT10_ENKUlT_T0_E_clISt17integral_constantIbLb1EES1P_IbLb0EEEEDaS1L_S1M_EUlS1L_E_NS1_11comp_targetILNS1_3genE0ELNS1_11target_archE4294967295ELNS1_3gpuE0ELNS1_3repE0EEENS1_30default_config_static_selectorELNS0_4arch9wavefront6targetE0EEEvSZ_,comdat
.Lfunc_end1920:
	.size	_ZN7rocprim17ROCPRIM_400000_NS6detail17trampoline_kernelINS0_13select_configILj256ELj13ELNS0_17block_load_methodE3ELS4_3ELS4_3ELNS0_20block_scan_algorithmE0ELj4294967295EEENS1_25partition_config_selectorILNS1_17partition_subalgoE3EjNS0_10empty_typeEbEEZZNS1_14partition_implILS8_3ELb0ES6_jNS0_17counting_iteratorIjlEEPS9_SE_NS0_5tupleIJPjSE_EEENSF_IJSE_SE_EEES9_SG_JZNS1_25segmented_radix_sort_implINS0_14default_configELb1EPK12hip_bfloat16PSL_PKlPlN2at6native12_GLOBAL__N_18offset_tEEE10hipError_tPvRmT1_PNSt15iterator_traitsISZ_E10value_typeET2_T3_PNS10_IS15_E10value_typeET4_jRbjT5_S1B_jjP12ihipStream_tbEUljE_EEESW_SX_SY_S15_S19_S1B_T6_T7_T9_mT8_S1D_bDpT10_ENKUlT_T0_E_clISt17integral_constantIbLb1EES1P_IbLb0EEEEDaS1L_S1M_EUlS1L_E_NS1_11comp_targetILNS1_3genE0ELNS1_11target_archE4294967295ELNS1_3gpuE0ELNS1_3repE0EEENS1_30default_config_static_selectorELNS0_4arch9wavefront6targetE0EEEvSZ_, .Lfunc_end1920-_ZN7rocprim17ROCPRIM_400000_NS6detail17trampoline_kernelINS0_13select_configILj256ELj13ELNS0_17block_load_methodE3ELS4_3ELS4_3ELNS0_20block_scan_algorithmE0ELj4294967295EEENS1_25partition_config_selectorILNS1_17partition_subalgoE3EjNS0_10empty_typeEbEEZZNS1_14partition_implILS8_3ELb0ES6_jNS0_17counting_iteratorIjlEEPS9_SE_NS0_5tupleIJPjSE_EEENSF_IJSE_SE_EEES9_SG_JZNS1_25segmented_radix_sort_implINS0_14default_configELb1EPK12hip_bfloat16PSL_PKlPlN2at6native12_GLOBAL__N_18offset_tEEE10hipError_tPvRmT1_PNSt15iterator_traitsISZ_E10value_typeET2_T3_PNS10_IS15_E10value_typeET4_jRbjT5_S1B_jjP12ihipStream_tbEUljE_EEESW_SX_SY_S15_S19_S1B_T6_T7_T9_mT8_S1D_bDpT10_ENKUlT_T0_E_clISt17integral_constantIbLb1EES1P_IbLb0EEEEDaS1L_S1M_EUlS1L_E_NS1_11comp_targetILNS1_3genE0ELNS1_11target_archE4294967295ELNS1_3gpuE0ELNS1_3repE0EEENS1_30default_config_static_selectorELNS0_4arch9wavefront6targetE0EEEvSZ_
                                        ; -- End function
	.set _ZN7rocprim17ROCPRIM_400000_NS6detail17trampoline_kernelINS0_13select_configILj256ELj13ELNS0_17block_load_methodE3ELS4_3ELS4_3ELNS0_20block_scan_algorithmE0ELj4294967295EEENS1_25partition_config_selectorILNS1_17partition_subalgoE3EjNS0_10empty_typeEbEEZZNS1_14partition_implILS8_3ELb0ES6_jNS0_17counting_iteratorIjlEEPS9_SE_NS0_5tupleIJPjSE_EEENSF_IJSE_SE_EEES9_SG_JZNS1_25segmented_radix_sort_implINS0_14default_configELb1EPK12hip_bfloat16PSL_PKlPlN2at6native12_GLOBAL__N_18offset_tEEE10hipError_tPvRmT1_PNSt15iterator_traitsISZ_E10value_typeET2_T3_PNS10_IS15_E10value_typeET4_jRbjT5_S1B_jjP12ihipStream_tbEUljE_EEESW_SX_SY_S15_S19_S1B_T6_T7_T9_mT8_S1D_bDpT10_ENKUlT_T0_E_clISt17integral_constantIbLb1EES1P_IbLb0EEEEDaS1L_S1M_EUlS1L_E_NS1_11comp_targetILNS1_3genE0ELNS1_11target_archE4294967295ELNS1_3gpuE0ELNS1_3repE0EEENS1_30default_config_static_selectorELNS0_4arch9wavefront6targetE0EEEvSZ_.num_vgpr, 0
	.set _ZN7rocprim17ROCPRIM_400000_NS6detail17trampoline_kernelINS0_13select_configILj256ELj13ELNS0_17block_load_methodE3ELS4_3ELS4_3ELNS0_20block_scan_algorithmE0ELj4294967295EEENS1_25partition_config_selectorILNS1_17partition_subalgoE3EjNS0_10empty_typeEbEEZZNS1_14partition_implILS8_3ELb0ES6_jNS0_17counting_iteratorIjlEEPS9_SE_NS0_5tupleIJPjSE_EEENSF_IJSE_SE_EEES9_SG_JZNS1_25segmented_radix_sort_implINS0_14default_configELb1EPK12hip_bfloat16PSL_PKlPlN2at6native12_GLOBAL__N_18offset_tEEE10hipError_tPvRmT1_PNSt15iterator_traitsISZ_E10value_typeET2_T3_PNS10_IS15_E10value_typeET4_jRbjT5_S1B_jjP12ihipStream_tbEUljE_EEESW_SX_SY_S15_S19_S1B_T6_T7_T9_mT8_S1D_bDpT10_ENKUlT_T0_E_clISt17integral_constantIbLb1EES1P_IbLb0EEEEDaS1L_S1M_EUlS1L_E_NS1_11comp_targetILNS1_3genE0ELNS1_11target_archE4294967295ELNS1_3gpuE0ELNS1_3repE0EEENS1_30default_config_static_selectorELNS0_4arch9wavefront6targetE0EEEvSZ_.num_agpr, 0
	.set _ZN7rocprim17ROCPRIM_400000_NS6detail17trampoline_kernelINS0_13select_configILj256ELj13ELNS0_17block_load_methodE3ELS4_3ELS4_3ELNS0_20block_scan_algorithmE0ELj4294967295EEENS1_25partition_config_selectorILNS1_17partition_subalgoE3EjNS0_10empty_typeEbEEZZNS1_14partition_implILS8_3ELb0ES6_jNS0_17counting_iteratorIjlEEPS9_SE_NS0_5tupleIJPjSE_EEENSF_IJSE_SE_EEES9_SG_JZNS1_25segmented_radix_sort_implINS0_14default_configELb1EPK12hip_bfloat16PSL_PKlPlN2at6native12_GLOBAL__N_18offset_tEEE10hipError_tPvRmT1_PNSt15iterator_traitsISZ_E10value_typeET2_T3_PNS10_IS15_E10value_typeET4_jRbjT5_S1B_jjP12ihipStream_tbEUljE_EEESW_SX_SY_S15_S19_S1B_T6_T7_T9_mT8_S1D_bDpT10_ENKUlT_T0_E_clISt17integral_constantIbLb1EES1P_IbLb0EEEEDaS1L_S1M_EUlS1L_E_NS1_11comp_targetILNS1_3genE0ELNS1_11target_archE4294967295ELNS1_3gpuE0ELNS1_3repE0EEENS1_30default_config_static_selectorELNS0_4arch9wavefront6targetE0EEEvSZ_.numbered_sgpr, 0
	.set _ZN7rocprim17ROCPRIM_400000_NS6detail17trampoline_kernelINS0_13select_configILj256ELj13ELNS0_17block_load_methodE3ELS4_3ELS4_3ELNS0_20block_scan_algorithmE0ELj4294967295EEENS1_25partition_config_selectorILNS1_17partition_subalgoE3EjNS0_10empty_typeEbEEZZNS1_14partition_implILS8_3ELb0ES6_jNS0_17counting_iteratorIjlEEPS9_SE_NS0_5tupleIJPjSE_EEENSF_IJSE_SE_EEES9_SG_JZNS1_25segmented_radix_sort_implINS0_14default_configELb1EPK12hip_bfloat16PSL_PKlPlN2at6native12_GLOBAL__N_18offset_tEEE10hipError_tPvRmT1_PNSt15iterator_traitsISZ_E10value_typeET2_T3_PNS10_IS15_E10value_typeET4_jRbjT5_S1B_jjP12ihipStream_tbEUljE_EEESW_SX_SY_S15_S19_S1B_T6_T7_T9_mT8_S1D_bDpT10_ENKUlT_T0_E_clISt17integral_constantIbLb1EES1P_IbLb0EEEEDaS1L_S1M_EUlS1L_E_NS1_11comp_targetILNS1_3genE0ELNS1_11target_archE4294967295ELNS1_3gpuE0ELNS1_3repE0EEENS1_30default_config_static_selectorELNS0_4arch9wavefront6targetE0EEEvSZ_.num_named_barrier, 0
	.set _ZN7rocprim17ROCPRIM_400000_NS6detail17trampoline_kernelINS0_13select_configILj256ELj13ELNS0_17block_load_methodE3ELS4_3ELS4_3ELNS0_20block_scan_algorithmE0ELj4294967295EEENS1_25partition_config_selectorILNS1_17partition_subalgoE3EjNS0_10empty_typeEbEEZZNS1_14partition_implILS8_3ELb0ES6_jNS0_17counting_iteratorIjlEEPS9_SE_NS0_5tupleIJPjSE_EEENSF_IJSE_SE_EEES9_SG_JZNS1_25segmented_radix_sort_implINS0_14default_configELb1EPK12hip_bfloat16PSL_PKlPlN2at6native12_GLOBAL__N_18offset_tEEE10hipError_tPvRmT1_PNSt15iterator_traitsISZ_E10value_typeET2_T3_PNS10_IS15_E10value_typeET4_jRbjT5_S1B_jjP12ihipStream_tbEUljE_EEESW_SX_SY_S15_S19_S1B_T6_T7_T9_mT8_S1D_bDpT10_ENKUlT_T0_E_clISt17integral_constantIbLb1EES1P_IbLb0EEEEDaS1L_S1M_EUlS1L_E_NS1_11comp_targetILNS1_3genE0ELNS1_11target_archE4294967295ELNS1_3gpuE0ELNS1_3repE0EEENS1_30default_config_static_selectorELNS0_4arch9wavefront6targetE0EEEvSZ_.private_seg_size, 0
	.set _ZN7rocprim17ROCPRIM_400000_NS6detail17trampoline_kernelINS0_13select_configILj256ELj13ELNS0_17block_load_methodE3ELS4_3ELS4_3ELNS0_20block_scan_algorithmE0ELj4294967295EEENS1_25partition_config_selectorILNS1_17partition_subalgoE3EjNS0_10empty_typeEbEEZZNS1_14partition_implILS8_3ELb0ES6_jNS0_17counting_iteratorIjlEEPS9_SE_NS0_5tupleIJPjSE_EEENSF_IJSE_SE_EEES9_SG_JZNS1_25segmented_radix_sort_implINS0_14default_configELb1EPK12hip_bfloat16PSL_PKlPlN2at6native12_GLOBAL__N_18offset_tEEE10hipError_tPvRmT1_PNSt15iterator_traitsISZ_E10value_typeET2_T3_PNS10_IS15_E10value_typeET4_jRbjT5_S1B_jjP12ihipStream_tbEUljE_EEESW_SX_SY_S15_S19_S1B_T6_T7_T9_mT8_S1D_bDpT10_ENKUlT_T0_E_clISt17integral_constantIbLb1EES1P_IbLb0EEEEDaS1L_S1M_EUlS1L_E_NS1_11comp_targetILNS1_3genE0ELNS1_11target_archE4294967295ELNS1_3gpuE0ELNS1_3repE0EEENS1_30default_config_static_selectorELNS0_4arch9wavefront6targetE0EEEvSZ_.uses_vcc, 0
	.set _ZN7rocprim17ROCPRIM_400000_NS6detail17trampoline_kernelINS0_13select_configILj256ELj13ELNS0_17block_load_methodE3ELS4_3ELS4_3ELNS0_20block_scan_algorithmE0ELj4294967295EEENS1_25partition_config_selectorILNS1_17partition_subalgoE3EjNS0_10empty_typeEbEEZZNS1_14partition_implILS8_3ELb0ES6_jNS0_17counting_iteratorIjlEEPS9_SE_NS0_5tupleIJPjSE_EEENSF_IJSE_SE_EEES9_SG_JZNS1_25segmented_radix_sort_implINS0_14default_configELb1EPK12hip_bfloat16PSL_PKlPlN2at6native12_GLOBAL__N_18offset_tEEE10hipError_tPvRmT1_PNSt15iterator_traitsISZ_E10value_typeET2_T3_PNS10_IS15_E10value_typeET4_jRbjT5_S1B_jjP12ihipStream_tbEUljE_EEESW_SX_SY_S15_S19_S1B_T6_T7_T9_mT8_S1D_bDpT10_ENKUlT_T0_E_clISt17integral_constantIbLb1EES1P_IbLb0EEEEDaS1L_S1M_EUlS1L_E_NS1_11comp_targetILNS1_3genE0ELNS1_11target_archE4294967295ELNS1_3gpuE0ELNS1_3repE0EEENS1_30default_config_static_selectorELNS0_4arch9wavefront6targetE0EEEvSZ_.uses_flat_scratch, 0
	.set _ZN7rocprim17ROCPRIM_400000_NS6detail17trampoline_kernelINS0_13select_configILj256ELj13ELNS0_17block_load_methodE3ELS4_3ELS4_3ELNS0_20block_scan_algorithmE0ELj4294967295EEENS1_25partition_config_selectorILNS1_17partition_subalgoE3EjNS0_10empty_typeEbEEZZNS1_14partition_implILS8_3ELb0ES6_jNS0_17counting_iteratorIjlEEPS9_SE_NS0_5tupleIJPjSE_EEENSF_IJSE_SE_EEES9_SG_JZNS1_25segmented_radix_sort_implINS0_14default_configELb1EPK12hip_bfloat16PSL_PKlPlN2at6native12_GLOBAL__N_18offset_tEEE10hipError_tPvRmT1_PNSt15iterator_traitsISZ_E10value_typeET2_T3_PNS10_IS15_E10value_typeET4_jRbjT5_S1B_jjP12ihipStream_tbEUljE_EEESW_SX_SY_S15_S19_S1B_T6_T7_T9_mT8_S1D_bDpT10_ENKUlT_T0_E_clISt17integral_constantIbLb1EES1P_IbLb0EEEEDaS1L_S1M_EUlS1L_E_NS1_11comp_targetILNS1_3genE0ELNS1_11target_archE4294967295ELNS1_3gpuE0ELNS1_3repE0EEENS1_30default_config_static_selectorELNS0_4arch9wavefront6targetE0EEEvSZ_.has_dyn_sized_stack, 0
	.set _ZN7rocprim17ROCPRIM_400000_NS6detail17trampoline_kernelINS0_13select_configILj256ELj13ELNS0_17block_load_methodE3ELS4_3ELS4_3ELNS0_20block_scan_algorithmE0ELj4294967295EEENS1_25partition_config_selectorILNS1_17partition_subalgoE3EjNS0_10empty_typeEbEEZZNS1_14partition_implILS8_3ELb0ES6_jNS0_17counting_iteratorIjlEEPS9_SE_NS0_5tupleIJPjSE_EEENSF_IJSE_SE_EEES9_SG_JZNS1_25segmented_radix_sort_implINS0_14default_configELb1EPK12hip_bfloat16PSL_PKlPlN2at6native12_GLOBAL__N_18offset_tEEE10hipError_tPvRmT1_PNSt15iterator_traitsISZ_E10value_typeET2_T3_PNS10_IS15_E10value_typeET4_jRbjT5_S1B_jjP12ihipStream_tbEUljE_EEESW_SX_SY_S15_S19_S1B_T6_T7_T9_mT8_S1D_bDpT10_ENKUlT_T0_E_clISt17integral_constantIbLb1EES1P_IbLb0EEEEDaS1L_S1M_EUlS1L_E_NS1_11comp_targetILNS1_3genE0ELNS1_11target_archE4294967295ELNS1_3gpuE0ELNS1_3repE0EEENS1_30default_config_static_selectorELNS0_4arch9wavefront6targetE0EEEvSZ_.has_recursion, 0
	.set _ZN7rocprim17ROCPRIM_400000_NS6detail17trampoline_kernelINS0_13select_configILj256ELj13ELNS0_17block_load_methodE3ELS4_3ELS4_3ELNS0_20block_scan_algorithmE0ELj4294967295EEENS1_25partition_config_selectorILNS1_17partition_subalgoE3EjNS0_10empty_typeEbEEZZNS1_14partition_implILS8_3ELb0ES6_jNS0_17counting_iteratorIjlEEPS9_SE_NS0_5tupleIJPjSE_EEENSF_IJSE_SE_EEES9_SG_JZNS1_25segmented_radix_sort_implINS0_14default_configELb1EPK12hip_bfloat16PSL_PKlPlN2at6native12_GLOBAL__N_18offset_tEEE10hipError_tPvRmT1_PNSt15iterator_traitsISZ_E10value_typeET2_T3_PNS10_IS15_E10value_typeET4_jRbjT5_S1B_jjP12ihipStream_tbEUljE_EEESW_SX_SY_S15_S19_S1B_T6_T7_T9_mT8_S1D_bDpT10_ENKUlT_T0_E_clISt17integral_constantIbLb1EES1P_IbLb0EEEEDaS1L_S1M_EUlS1L_E_NS1_11comp_targetILNS1_3genE0ELNS1_11target_archE4294967295ELNS1_3gpuE0ELNS1_3repE0EEENS1_30default_config_static_selectorELNS0_4arch9wavefront6targetE0EEEvSZ_.has_indirect_call, 0
	.section	.AMDGPU.csdata,"",@progbits
; Kernel info:
; codeLenInByte = 4
; TotalNumSgprs: 0
; NumVgprs: 0
; ScratchSize: 0
; MemoryBound: 0
; FloatMode: 240
; IeeeMode: 1
; LDSByteSize: 0 bytes/workgroup (compile time only)
; SGPRBlocks: 0
; VGPRBlocks: 0
; NumSGPRsForWavesPerEU: 1
; NumVGPRsForWavesPerEU: 1
; NamedBarCnt: 0
; Occupancy: 16
; WaveLimiterHint : 0
; COMPUTE_PGM_RSRC2:SCRATCH_EN: 0
; COMPUTE_PGM_RSRC2:USER_SGPR: 2
; COMPUTE_PGM_RSRC2:TRAP_HANDLER: 0
; COMPUTE_PGM_RSRC2:TGID_X_EN: 1
; COMPUTE_PGM_RSRC2:TGID_Y_EN: 0
; COMPUTE_PGM_RSRC2:TGID_Z_EN: 0
; COMPUTE_PGM_RSRC2:TIDIG_COMP_CNT: 0
	.section	.text._ZN7rocprim17ROCPRIM_400000_NS6detail17trampoline_kernelINS0_13select_configILj256ELj13ELNS0_17block_load_methodE3ELS4_3ELS4_3ELNS0_20block_scan_algorithmE0ELj4294967295EEENS1_25partition_config_selectorILNS1_17partition_subalgoE3EjNS0_10empty_typeEbEEZZNS1_14partition_implILS8_3ELb0ES6_jNS0_17counting_iteratorIjlEEPS9_SE_NS0_5tupleIJPjSE_EEENSF_IJSE_SE_EEES9_SG_JZNS1_25segmented_radix_sort_implINS0_14default_configELb1EPK12hip_bfloat16PSL_PKlPlN2at6native12_GLOBAL__N_18offset_tEEE10hipError_tPvRmT1_PNSt15iterator_traitsISZ_E10value_typeET2_T3_PNS10_IS15_E10value_typeET4_jRbjT5_S1B_jjP12ihipStream_tbEUljE_EEESW_SX_SY_S15_S19_S1B_T6_T7_T9_mT8_S1D_bDpT10_ENKUlT_T0_E_clISt17integral_constantIbLb1EES1P_IbLb0EEEEDaS1L_S1M_EUlS1L_E_NS1_11comp_targetILNS1_3genE5ELNS1_11target_archE942ELNS1_3gpuE9ELNS1_3repE0EEENS1_30default_config_static_selectorELNS0_4arch9wavefront6targetE0EEEvSZ_,"axG",@progbits,_ZN7rocprim17ROCPRIM_400000_NS6detail17trampoline_kernelINS0_13select_configILj256ELj13ELNS0_17block_load_methodE3ELS4_3ELS4_3ELNS0_20block_scan_algorithmE0ELj4294967295EEENS1_25partition_config_selectorILNS1_17partition_subalgoE3EjNS0_10empty_typeEbEEZZNS1_14partition_implILS8_3ELb0ES6_jNS0_17counting_iteratorIjlEEPS9_SE_NS0_5tupleIJPjSE_EEENSF_IJSE_SE_EEES9_SG_JZNS1_25segmented_radix_sort_implINS0_14default_configELb1EPK12hip_bfloat16PSL_PKlPlN2at6native12_GLOBAL__N_18offset_tEEE10hipError_tPvRmT1_PNSt15iterator_traitsISZ_E10value_typeET2_T3_PNS10_IS15_E10value_typeET4_jRbjT5_S1B_jjP12ihipStream_tbEUljE_EEESW_SX_SY_S15_S19_S1B_T6_T7_T9_mT8_S1D_bDpT10_ENKUlT_T0_E_clISt17integral_constantIbLb1EES1P_IbLb0EEEEDaS1L_S1M_EUlS1L_E_NS1_11comp_targetILNS1_3genE5ELNS1_11target_archE942ELNS1_3gpuE9ELNS1_3repE0EEENS1_30default_config_static_selectorELNS0_4arch9wavefront6targetE0EEEvSZ_,comdat
	.globl	_ZN7rocprim17ROCPRIM_400000_NS6detail17trampoline_kernelINS0_13select_configILj256ELj13ELNS0_17block_load_methodE3ELS4_3ELS4_3ELNS0_20block_scan_algorithmE0ELj4294967295EEENS1_25partition_config_selectorILNS1_17partition_subalgoE3EjNS0_10empty_typeEbEEZZNS1_14partition_implILS8_3ELb0ES6_jNS0_17counting_iteratorIjlEEPS9_SE_NS0_5tupleIJPjSE_EEENSF_IJSE_SE_EEES9_SG_JZNS1_25segmented_radix_sort_implINS0_14default_configELb1EPK12hip_bfloat16PSL_PKlPlN2at6native12_GLOBAL__N_18offset_tEEE10hipError_tPvRmT1_PNSt15iterator_traitsISZ_E10value_typeET2_T3_PNS10_IS15_E10value_typeET4_jRbjT5_S1B_jjP12ihipStream_tbEUljE_EEESW_SX_SY_S15_S19_S1B_T6_T7_T9_mT8_S1D_bDpT10_ENKUlT_T0_E_clISt17integral_constantIbLb1EES1P_IbLb0EEEEDaS1L_S1M_EUlS1L_E_NS1_11comp_targetILNS1_3genE5ELNS1_11target_archE942ELNS1_3gpuE9ELNS1_3repE0EEENS1_30default_config_static_selectorELNS0_4arch9wavefront6targetE0EEEvSZ_ ; -- Begin function _ZN7rocprim17ROCPRIM_400000_NS6detail17trampoline_kernelINS0_13select_configILj256ELj13ELNS0_17block_load_methodE3ELS4_3ELS4_3ELNS0_20block_scan_algorithmE0ELj4294967295EEENS1_25partition_config_selectorILNS1_17partition_subalgoE3EjNS0_10empty_typeEbEEZZNS1_14partition_implILS8_3ELb0ES6_jNS0_17counting_iteratorIjlEEPS9_SE_NS0_5tupleIJPjSE_EEENSF_IJSE_SE_EEES9_SG_JZNS1_25segmented_radix_sort_implINS0_14default_configELb1EPK12hip_bfloat16PSL_PKlPlN2at6native12_GLOBAL__N_18offset_tEEE10hipError_tPvRmT1_PNSt15iterator_traitsISZ_E10value_typeET2_T3_PNS10_IS15_E10value_typeET4_jRbjT5_S1B_jjP12ihipStream_tbEUljE_EEESW_SX_SY_S15_S19_S1B_T6_T7_T9_mT8_S1D_bDpT10_ENKUlT_T0_E_clISt17integral_constantIbLb1EES1P_IbLb0EEEEDaS1L_S1M_EUlS1L_E_NS1_11comp_targetILNS1_3genE5ELNS1_11target_archE942ELNS1_3gpuE9ELNS1_3repE0EEENS1_30default_config_static_selectorELNS0_4arch9wavefront6targetE0EEEvSZ_
	.p2align	8
	.type	_ZN7rocprim17ROCPRIM_400000_NS6detail17trampoline_kernelINS0_13select_configILj256ELj13ELNS0_17block_load_methodE3ELS4_3ELS4_3ELNS0_20block_scan_algorithmE0ELj4294967295EEENS1_25partition_config_selectorILNS1_17partition_subalgoE3EjNS0_10empty_typeEbEEZZNS1_14partition_implILS8_3ELb0ES6_jNS0_17counting_iteratorIjlEEPS9_SE_NS0_5tupleIJPjSE_EEENSF_IJSE_SE_EEES9_SG_JZNS1_25segmented_radix_sort_implINS0_14default_configELb1EPK12hip_bfloat16PSL_PKlPlN2at6native12_GLOBAL__N_18offset_tEEE10hipError_tPvRmT1_PNSt15iterator_traitsISZ_E10value_typeET2_T3_PNS10_IS15_E10value_typeET4_jRbjT5_S1B_jjP12ihipStream_tbEUljE_EEESW_SX_SY_S15_S19_S1B_T6_T7_T9_mT8_S1D_bDpT10_ENKUlT_T0_E_clISt17integral_constantIbLb1EES1P_IbLb0EEEEDaS1L_S1M_EUlS1L_E_NS1_11comp_targetILNS1_3genE5ELNS1_11target_archE942ELNS1_3gpuE9ELNS1_3repE0EEENS1_30default_config_static_selectorELNS0_4arch9wavefront6targetE0EEEvSZ_,@function
_ZN7rocprim17ROCPRIM_400000_NS6detail17trampoline_kernelINS0_13select_configILj256ELj13ELNS0_17block_load_methodE3ELS4_3ELS4_3ELNS0_20block_scan_algorithmE0ELj4294967295EEENS1_25partition_config_selectorILNS1_17partition_subalgoE3EjNS0_10empty_typeEbEEZZNS1_14partition_implILS8_3ELb0ES6_jNS0_17counting_iteratorIjlEEPS9_SE_NS0_5tupleIJPjSE_EEENSF_IJSE_SE_EEES9_SG_JZNS1_25segmented_radix_sort_implINS0_14default_configELb1EPK12hip_bfloat16PSL_PKlPlN2at6native12_GLOBAL__N_18offset_tEEE10hipError_tPvRmT1_PNSt15iterator_traitsISZ_E10value_typeET2_T3_PNS10_IS15_E10value_typeET4_jRbjT5_S1B_jjP12ihipStream_tbEUljE_EEESW_SX_SY_S15_S19_S1B_T6_T7_T9_mT8_S1D_bDpT10_ENKUlT_T0_E_clISt17integral_constantIbLb1EES1P_IbLb0EEEEDaS1L_S1M_EUlS1L_E_NS1_11comp_targetILNS1_3genE5ELNS1_11target_archE942ELNS1_3gpuE9ELNS1_3repE0EEENS1_30default_config_static_selectorELNS0_4arch9wavefront6targetE0EEEvSZ_: ; @_ZN7rocprim17ROCPRIM_400000_NS6detail17trampoline_kernelINS0_13select_configILj256ELj13ELNS0_17block_load_methodE3ELS4_3ELS4_3ELNS0_20block_scan_algorithmE0ELj4294967295EEENS1_25partition_config_selectorILNS1_17partition_subalgoE3EjNS0_10empty_typeEbEEZZNS1_14partition_implILS8_3ELb0ES6_jNS0_17counting_iteratorIjlEEPS9_SE_NS0_5tupleIJPjSE_EEENSF_IJSE_SE_EEES9_SG_JZNS1_25segmented_radix_sort_implINS0_14default_configELb1EPK12hip_bfloat16PSL_PKlPlN2at6native12_GLOBAL__N_18offset_tEEE10hipError_tPvRmT1_PNSt15iterator_traitsISZ_E10value_typeET2_T3_PNS10_IS15_E10value_typeET4_jRbjT5_S1B_jjP12ihipStream_tbEUljE_EEESW_SX_SY_S15_S19_S1B_T6_T7_T9_mT8_S1D_bDpT10_ENKUlT_T0_E_clISt17integral_constantIbLb1EES1P_IbLb0EEEEDaS1L_S1M_EUlS1L_E_NS1_11comp_targetILNS1_3genE5ELNS1_11target_archE942ELNS1_3gpuE9ELNS1_3repE0EEENS1_30default_config_static_selectorELNS0_4arch9wavefront6targetE0EEEvSZ_
; %bb.0:
	.section	.rodata,"a",@progbits
	.p2align	6, 0x0
	.amdhsa_kernel _ZN7rocprim17ROCPRIM_400000_NS6detail17trampoline_kernelINS0_13select_configILj256ELj13ELNS0_17block_load_methodE3ELS4_3ELS4_3ELNS0_20block_scan_algorithmE0ELj4294967295EEENS1_25partition_config_selectorILNS1_17partition_subalgoE3EjNS0_10empty_typeEbEEZZNS1_14partition_implILS8_3ELb0ES6_jNS0_17counting_iteratorIjlEEPS9_SE_NS0_5tupleIJPjSE_EEENSF_IJSE_SE_EEES9_SG_JZNS1_25segmented_radix_sort_implINS0_14default_configELb1EPK12hip_bfloat16PSL_PKlPlN2at6native12_GLOBAL__N_18offset_tEEE10hipError_tPvRmT1_PNSt15iterator_traitsISZ_E10value_typeET2_T3_PNS10_IS15_E10value_typeET4_jRbjT5_S1B_jjP12ihipStream_tbEUljE_EEESW_SX_SY_S15_S19_S1B_T6_T7_T9_mT8_S1D_bDpT10_ENKUlT_T0_E_clISt17integral_constantIbLb1EES1P_IbLb0EEEEDaS1L_S1M_EUlS1L_E_NS1_11comp_targetILNS1_3genE5ELNS1_11target_archE942ELNS1_3gpuE9ELNS1_3repE0EEENS1_30default_config_static_selectorELNS0_4arch9wavefront6targetE0EEEvSZ_
		.amdhsa_group_segment_fixed_size 0
		.amdhsa_private_segment_fixed_size 0
		.amdhsa_kernarg_size 144
		.amdhsa_user_sgpr_count 2
		.amdhsa_user_sgpr_dispatch_ptr 0
		.amdhsa_user_sgpr_queue_ptr 0
		.amdhsa_user_sgpr_kernarg_segment_ptr 1
		.amdhsa_user_sgpr_dispatch_id 0
		.amdhsa_user_sgpr_kernarg_preload_length 0
		.amdhsa_user_sgpr_kernarg_preload_offset 0
		.amdhsa_user_sgpr_private_segment_size 0
		.amdhsa_wavefront_size32 1
		.amdhsa_uses_dynamic_stack 0
		.amdhsa_enable_private_segment 0
		.amdhsa_system_sgpr_workgroup_id_x 1
		.amdhsa_system_sgpr_workgroup_id_y 0
		.amdhsa_system_sgpr_workgroup_id_z 0
		.amdhsa_system_sgpr_workgroup_info 0
		.amdhsa_system_vgpr_workitem_id 0
		.amdhsa_next_free_vgpr 1
		.amdhsa_next_free_sgpr 1
		.amdhsa_named_barrier_count 0
		.amdhsa_reserve_vcc 0
		.amdhsa_float_round_mode_32 0
		.amdhsa_float_round_mode_16_64 0
		.amdhsa_float_denorm_mode_32 3
		.amdhsa_float_denorm_mode_16_64 3
		.amdhsa_fp16_overflow 0
		.amdhsa_memory_ordered 1
		.amdhsa_forward_progress 1
		.amdhsa_inst_pref_size 0
		.amdhsa_round_robin_scheduling 0
		.amdhsa_exception_fp_ieee_invalid_op 0
		.amdhsa_exception_fp_denorm_src 0
		.amdhsa_exception_fp_ieee_div_zero 0
		.amdhsa_exception_fp_ieee_overflow 0
		.amdhsa_exception_fp_ieee_underflow 0
		.amdhsa_exception_fp_ieee_inexact 0
		.amdhsa_exception_int_div_zero 0
	.end_amdhsa_kernel
	.section	.text._ZN7rocprim17ROCPRIM_400000_NS6detail17trampoline_kernelINS0_13select_configILj256ELj13ELNS0_17block_load_methodE3ELS4_3ELS4_3ELNS0_20block_scan_algorithmE0ELj4294967295EEENS1_25partition_config_selectorILNS1_17partition_subalgoE3EjNS0_10empty_typeEbEEZZNS1_14partition_implILS8_3ELb0ES6_jNS0_17counting_iteratorIjlEEPS9_SE_NS0_5tupleIJPjSE_EEENSF_IJSE_SE_EEES9_SG_JZNS1_25segmented_radix_sort_implINS0_14default_configELb1EPK12hip_bfloat16PSL_PKlPlN2at6native12_GLOBAL__N_18offset_tEEE10hipError_tPvRmT1_PNSt15iterator_traitsISZ_E10value_typeET2_T3_PNS10_IS15_E10value_typeET4_jRbjT5_S1B_jjP12ihipStream_tbEUljE_EEESW_SX_SY_S15_S19_S1B_T6_T7_T9_mT8_S1D_bDpT10_ENKUlT_T0_E_clISt17integral_constantIbLb1EES1P_IbLb0EEEEDaS1L_S1M_EUlS1L_E_NS1_11comp_targetILNS1_3genE5ELNS1_11target_archE942ELNS1_3gpuE9ELNS1_3repE0EEENS1_30default_config_static_selectorELNS0_4arch9wavefront6targetE0EEEvSZ_,"axG",@progbits,_ZN7rocprim17ROCPRIM_400000_NS6detail17trampoline_kernelINS0_13select_configILj256ELj13ELNS0_17block_load_methodE3ELS4_3ELS4_3ELNS0_20block_scan_algorithmE0ELj4294967295EEENS1_25partition_config_selectorILNS1_17partition_subalgoE3EjNS0_10empty_typeEbEEZZNS1_14partition_implILS8_3ELb0ES6_jNS0_17counting_iteratorIjlEEPS9_SE_NS0_5tupleIJPjSE_EEENSF_IJSE_SE_EEES9_SG_JZNS1_25segmented_radix_sort_implINS0_14default_configELb1EPK12hip_bfloat16PSL_PKlPlN2at6native12_GLOBAL__N_18offset_tEEE10hipError_tPvRmT1_PNSt15iterator_traitsISZ_E10value_typeET2_T3_PNS10_IS15_E10value_typeET4_jRbjT5_S1B_jjP12ihipStream_tbEUljE_EEESW_SX_SY_S15_S19_S1B_T6_T7_T9_mT8_S1D_bDpT10_ENKUlT_T0_E_clISt17integral_constantIbLb1EES1P_IbLb0EEEEDaS1L_S1M_EUlS1L_E_NS1_11comp_targetILNS1_3genE5ELNS1_11target_archE942ELNS1_3gpuE9ELNS1_3repE0EEENS1_30default_config_static_selectorELNS0_4arch9wavefront6targetE0EEEvSZ_,comdat
.Lfunc_end1921:
	.size	_ZN7rocprim17ROCPRIM_400000_NS6detail17trampoline_kernelINS0_13select_configILj256ELj13ELNS0_17block_load_methodE3ELS4_3ELS4_3ELNS0_20block_scan_algorithmE0ELj4294967295EEENS1_25partition_config_selectorILNS1_17partition_subalgoE3EjNS0_10empty_typeEbEEZZNS1_14partition_implILS8_3ELb0ES6_jNS0_17counting_iteratorIjlEEPS9_SE_NS0_5tupleIJPjSE_EEENSF_IJSE_SE_EEES9_SG_JZNS1_25segmented_radix_sort_implINS0_14default_configELb1EPK12hip_bfloat16PSL_PKlPlN2at6native12_GLOBAL__N_18offset_tEEE10hipError_tPvRmT1_PNSt15iterator_traitsISZ_E10value_typeET2_T3_PNS10_IS15_E10value_typeET4_jRbjT5_S1B_jjP12ihipStream_tbEUljE_EEESW_SX_SY_S15_S19_S1B_T6_T7_T9_mT8_S1D_bDpT10_ENKUlT_T0_E_clISt17integral_constantIbLb1EES1P_IbLb0EEEEDaS1L_S1M_EUlS1L_E_NS1_11comp_targetILNS1_3genE5ELNS1_11target_archE942ELNS1_3gpuE9ELNS1_3repE0EEENS1_30default_config_static_selectorELNS0_4arch9wavefront6targetE0EEEvSZ_, .Lfunc_end1921-_ZN7rocprim17ROCPRIM_400000_NS6detail17trampoline_kernelINS0_13select_configILj256ELj13ELNS0_17block_load_methodE3ELS4_3ELS4_3ELNS0_20block_scan_algorithmE0ELj4294967295EEENS1_25partition_config_selectorILNS1_17partition_subalgoE3EjNS0_10empty_typeEbEEZZNS1_14partition_implILS8_3ELb0ES6_jNS0_17counting_iteratorIjlEEPS9_SE_NS0_5tupleIJPjSE_EEENSF_IJSE_SE_EEES9_SG_JZNS1_25segmented_radix_sort_implINS0_14default_configELb1EPK12hip_bfloat16PSL_PKlPlN2at6native12_GLOBAL__N_18offset_tEEE10hipError_tPvRmT1_PNSt15iterator_traitsISZ_E10value_typeET2_T3_PNS10_IS15_E10value_typeET4_jRbjT5_S1B_jjP12ihipStream_tbEUljE_EEESW_SX_SY_S15_S19_S1B_T6_T7_T9_mT8_S1D_bDpT10_ENKUlT_T0_E_clISt17integral_constantIbLb1EES1P_IbLb0EEEEDaS1L_S1M_EUlS1L_E_NS1_11comp_targetILNS1_3genE5ELNS1_11target_archE942ELNS1_3gpuE9ELNS1_3repE0EEENS1_30default_config_static_selectorELNS0_4arch9wavefront6targetE0EEEvSZ_
                                        ; -- End function
	.set _ZN7rocprim17ROCPRIM_400000_NS6detail17trampoline_kernelINS0_13select_configILj256ELj13ELNS0_17block_load_methodE3ELS4_3ELS4_3ELNS0_20block_scan_algorithmE0ELj4294967295EEENS1_25partition_config_selectorILNS1_17partition_subalgoE3EjNS0_10empty_typeEbEEZZNS1_14partition_implILS8_3ELb0ES6_jNS0_17counting_iteratorIjlEEPS9_SE_NS0_5tupleIJPjSE_EEENSF_IJSE_SE_EEES9_SG_JZNS1_25segmented_radix_sort_implINS0_14default_configELb1EPK12hip_bfloat16PSL_PKlPlN2at6native12_GLOBAL__N_18offset_tEEE10hipError_tPvRmT1_PNSt15iterator_traitsISZ_E10value_typeET2_T3_PNS10_IS15_E10value_typeET4_jRbjT5_S1B_jjP12ihipStream_tbEUljE_EEESW_SX_SY_S15_S19_S1B_T6_T7_T9_mT8_S1D_bDpT10_ENKUlT_T0_E_clISt17integral_constantIbLb1EES1P_IbLb0EEEEDaS1L_S1M_EUlS1L_E_NS1_11comp_targetILNS1_3genE5ELNS1_11target_archE942ELNS1_3gpuE9ELNS1_3repE0EEENS1_30default_config_static_selectorELNS0_4arch9wavefront6targetE0EEEvSZ_.num_vgpr, 0
	.set _ZN7rocprim17ROCPRIM_400000_NS6detail17trampoline_kernelINS0_13select_configILj256ELj13ELNS0_17block_load_methodE3ELS4_3ELS4_3ELNS0_20block_scan_algorithmE0ELj4294967295EEENS1_25partition_config_selectorILNS1_17partition_subalgoE3EjNS0_10empty_typeEbEEZZNS1_14partition_implILS8_3ELb0ES6_jNS0_17counting_iteratorIjlEEPS9_SE_NS0_5tupleIJPjSE_EEENSF_IJSE_SE_EEES9_SG_JZNS1_25segmented_radix_sort_implINS0_14default_configELb1EPK12hip_bfloat16PSL_PKlPlN2at6native12_GLOBAL__N_18offset_tEEE10hipError_tPvRmT1_PNSt15iterator_traitsISZ_E10value_typeET2_T3_PNS10_IS15_E10value_typeET4_jRbjT5_S1B_jjP12ihipStream_tbEUljE_EEESW_SX_SY_S15_S19_S1B_T6_T7_T9_mT8_S1D_bDpT10_ENKUlT_T0_E_clISt17integral_constantIbLb1EES1P_IbLb0EEEEDaS1L_S1M_EUlS1L_E_NS1_11comp_targetILNS1_3genE5ELNS1_11target_archE942ELNS1_3gpuE9ELNS1_3repE0EEENS1_30default_config_static_selectorELNS0_4arch9wavefront6targetE0EEEvSZ_.num_agpr, 0
	.set _ZN7rocprim17ROCPRIM_400000_NS6detail17trampoline_kernelINS0_13select_configILj256ELj13ELNS0_17block_load_methodE3ELS4_3ELS4_3ELNS0_20block_scan_algorithmE0ELj4294967295EEENS1_25partition_config_selectorILNS1_17partition_subalgoE3EjNS0_10empty_typeEbEEZZNS1_14partition_implILS8_3ELb0ES6_jNS0_17counting_iteratorIjlEEPS9_SE_NS0_5tupleIJPjSE_EEENSF_IJSE_SE_EEES9_SG_JZNS1_25segmented_radix_sort_implINS0_14default_configELb1EPK12hip_bfloat16PSL_PKlPlN2at6native12_GLOBAL__N_18offset_tEEE10hipError_tPvRmT1_PNSt15iterator_traitsISZ_E10value_typeET2_T3_PNS10_IS15_E10value_typeET4_jRbjT5_S1B_jjP12ihipStream_tbEUljE_EEESW_SX_SY_S15_S19_S1B_T6_T7_T9_mT8_S1D_bDpT10_ENKUlT_T0_E_clISt17integral_constantIbLb1EES1P_IbLb0EEEEDaS1L_S1M_EUlS1L_E_NS1_11comp_targetILNS1_3genE5ELNS1_11target_archE942ELNS1_3gpuE9ELNS1_3repE0EEENS1_30default_config_static_selectorELNS0_4arch9wavefront6targetE0EEEvSZ_.numbered_sgpr, 0
	.set _ZN7rocprim17ROCPRIM_400000_NS6detail17trampoline_kernelINS0_13select_configILj256ELj13ELNS0_17block_load_methodE3ELS4_3ELS4_3ELNS0_20block_scan_algorithmE0ELj4294967295EEENS1_25partition_config_selectorILNS1_17partition_subalgoE3EjNS0_10empty_typeEbEEZZNS1_14partition_implILS8_3ELb0ES6_jNS0_17counting_iteratorIjlEEPS9_SE_NS0_5tupleIJPjSE_EEENSF_IJSE_SE_EEES9_SG_JZNS1_25segmented_radix_sort_implINS0_14default_configELb1EPK12hip_bfloat16PSL_PKlPlN2at6native12_GLOBAL__N_18offset_tEEE10hipError_tPvRmT1_PNSt15iterator_traitsISZ_E10value_typeET2_T3_PNS10_IS15_E10value_typeET4_jRbjT5_S1B_jjP12ihipStream_tbEUljE_EEESW_SX_SY_S15_S19_S1B_T6_T7_T9_mT8_S1D_bDpT10_ENKUlT_T0_E_clISt17integral_constantIbLb1EES1P_IbLb0EEEEDaS1L_S1M_EUlS1L_E_NS1_11comp_targetILNS1_3genE5ELNS1_11target_archE942ELNS1_3gpuE9ELNS1_3repE0EEENS1_30default_config_static_selectorELNS0_4arch9wavefront6targetE0EEEvSZ_.num_named_barrier, 0
	.set _ZN7rocprim17ROCPRIM_400000_NS6detail17trampoline_kernelINS0_13select_configILj256ELj13ELNS0_17block_load_methodE3ELS4_3ELS4_3ELNS0_20block_scan_algorithmE0ELj4294967295EEENS1_25partition_config_selectorILNS1_17partition_subalgoE3EjNS0_10empty_typeEbEEZZNS1_14partition_implILS8_3ELb0ES6_jNS0_17counting_iteratorIjlEEPS9_SE_NS0_5tupleIJPjSE_EEENSF_IJSE_SE_EEES9_SG_JZNS1_25segmented_radix_sort_implINS0_14default_configELb1EPK12hip_bfloat16PSL_PKlPlN2at6native12_GLOBAL__N_18offset_tEEE10hipError_tPvRmT1_PNSt15iterator_traitsISZ_E10value_typeET2_T3_PNS10_IS15_E10value_typeET4_jRbjT5_S1B_jjP12ihipStream_tbEUljE_EEESW_SX_SY_S15_S19_S1B_T6_T7_T9_mT8_S1D_bDpT10_ENKUlT_T0_E_clISt17integral_constantIbLb1EES1P_IbLb0EEEEDaS1L_S1M_EUlS1L_E_NS1_11comp_targetILNS1_3genE5ELNS1_11target_archE942ELNS1_3gpuE9ELNS1_3repE0EEENS1_30default_config_static_selectorELNS0_4arch9wavefront6targetE0EEEvSZ_.private_seg_size, 0
	.set _ZN7rocprim17ROCPRIM_400000_NS6detail17trampoline_kernelINS0_13select_configILj256ELj13ELNS0_17block_load_methodE3ELS4_3ELS4_3ELNS0_20block_scan_algorithmE0ELj4294967295EEENS1_25partition_config_selectorILNS1_17partition_subalgoE3EjNS0_10empty_typeEbEEZZNS1_14partition_implILS8_3ELb0ES6_jNS0_17counting_iteratorIjlEEPS9_SE_NS0_5tupleIJPjSE_EEENSF_IJSE_SE_EEES9_SG_JZNS1_25segmented_radix_sort_implINS0_14default_configELb1EPK12hip_bfloat16PSL_PKlPlN2at6native12_GLOBAL__N_18offset_tEEE10hipError_tPvRmT1_PNSt15iterator_traitsISZ_E10value_typeET2_T3_PNS10_IS15_E10value_typeET4_jRbjT5_S1B_jjP12ihipStream_tbEUljE_EEESW_SX_SY_S15_S19_S1B_T6_T7_T9_mT8_S1D_bDpT10_ENKUlT_T0_E_clISt17integral_constantIbLb1EES1P_IbLb0EEEEDaS1L_S1M_EUlS1L_E_NS1_11comp_targetILNS1_3genE5ELNS1_11target_archE942ELNS1_3gpuE9ELNS1_3repE0EEENS1_30default_config_static_selectorELNS0_4arch9wavefront6targetE0EEEvSZ_.uses_vcc, 0
	.set _ZN7rocprim17ROCPRIM_400000_NS6detail17trampoline_kernelINS0_13select_configILj256ELj13ELNS0_17block_load_methodE3ELS4_3ELS4_3ELNS0_20block_scan_algorithmE0ELj4294967295EEENS1_25partition_config_selectorILNS1_17partition_subalgoE3EjNS0_10empty_typeEbEEZZNS1_14partition_implILS8_3ELb0ES6_jNS0_17counting_iteratorIjlEEPS9_SE_NS0_5tupleIJPjSE_EEENSF_IJSE_SE_EEES9_SG_JZNS1_25segmented_radix_sort_implINS0_14default_configELb1EPK12hip_bfloat16PSL_PKlPlN2at6native12_GLOBAL__N_18offset_tEEE10hipError_tPvRmT1_PNSt15iterator_traitsISZ_E10value_typeET2_T3_PNS10_IS15_E10value_typeET4_jRbjT5_S1B_jjP12ihipStream_tbEUljE_EEESW_SX_SY_S15_S19_S1B_T6_T7_T9_mT8_S1D_bDpT10_ENKUlT_T0_E_clISt17integral_constantIbLb1EES1P_IbLb0EEEEDaS1L_S1M_EUlS1L_E_NS1_11comp_targetILNS1_3genE5ELNS1_11target_archE942ELNS1_3gpuE9ELNS1_3repE0EEENS1_30default_config_static_selectorELNS0_4arch9wavefront6targetE0EEEvSZ_.uses_flat_scratch, 0
	.set _ZN7rocprim17ROCPRIM_400000_NS6detail17trampoline_kernelINS0_13select_configILj256ELj13ELNS0_17block_load_methodE3ELS4_3ELS4_3ELNS0_20block_scan_algorithmE0ELj4294967295EEENS1_25partition_config_selectorILNS1_17partition_subalgoE3EjNS0_10empty_typeEbEEZZNS1_14partition_implILS8_3ELb0ES6_jNS0_17counting_iteratorIjlEEPS9_SE_NS0_5tupleIJPjSE_EEENSF_IJSE_SE_EEES9_SG_JZNS1_25segmented_radix_sort_implINS0_14default_configELb1EPK12hip_bfloat16PSL_PKlPlN2at6native12_GLOBAL__N_18offset_tEEE10hipError_tPvRmT1_PNSt15iterator_traitsISZ_E10value_typeET2_T3_PNS10_IS15_E10value_typeET4_jRbjT5_S1B_jjP12ihipStream_tbEUljE_EEESW_SX_SY_S15_S19_S1B_T6_T7_T9_mT8_S1D_bDpT10_ENKUlT_T0_E_clISt17integral_constantIbLb1EES1P_IbLb0EEEEDaS1L_S1M_EUlS1L_E_NS1_11comp_targetILNS1_3genE5ELNS1_11target_archE942ELNS1_3gpuE9ELNS1_3repE0EEENS1_30default_config_static_selectorELNS0_4arch9wavefront6targetE0EEEvSZ_.has_dyn_sized_stack, 0
	.set _ZN7rocprim17ROCPRIM_400000_NS6detail17trampoline_kernelINS0_13select_configILj256ELj13ELNS0_17block_load_methodE3ELS4_3ELS4_3ELNS0_20block_scan_algorithmE0ELj4294967295EEENS1_25partition_config_selectorILNS1_17partition_subalgoE3EjNS0_10empty_typeEbEEZZNS1_14partition_implILS8_3ELb0ES6_jNS0_17counting_iteratorIjlEEPS9_SE_NS0_5tupleIJPjSE_EEENSF_IJSE_SE_EEES9_SG_JZNS1_25segmented_radix_sort_implINS0_14default_configELb1EPK12hip_bfloat16PSL_PKlPlN2at6native12_GLOBAL__N_18offset_tEEE10hipError_tPvRmT1_PNSt15iterator_traitsISZ_E10value_typeET2_T3_PNS10_IS15_E10value_typeET4_jRbjT5_S1B_jjP12ihipStream_tbEUljE_EEESW_SX_SY_S15_S19_S1B_T6_T7_T9_mT8_S1D_bDpT10_ENKUlT_T0_E_clISt17integral_constantIbLb1EES1P_IbLb0EEEEDaS1L_S1M_EUlS1L_E_NS1_11comp_targetILNS1_3genE5ELNS1_11target_archE942ELNS1_3gpuE9ELNS1_3repE0EEENS1_30default_config_static_selectorELNS0_4arch9wavefront6targetE0EEEvSZ_.has_recursion, 0
	.set _ZN7rocprim17ROCPRIM_400000_NS6detail17trampoline_kernelINS0_13select_configILj256ELj13ELNS0_17block_load_methodE3ELS4_3ELS4_3ELNS0_20block_scan_algorithmE0ELj4294967295EEENS1_25partition_config_selectorILNS1_17partition_subalgoE3EjNS0_10empty_typeEbEEZZNS1_14partition_implILS8_3ELb0ES6_jNS0_17counting_iteratorIjlEEPS9_SE_NS0_5tupleIJPjSE_EEENSF_IJSE_SE_EEES9_SG_JZNS1_25segmented_radix_sort_implINS0_14default_configELb1EPK12hip_bfloat16PSL_PKlPlN2at6native12_GLOBAL__N_18offset_tEEE10hipError_tPvRmT1_PNSt15iterator_traitsISZ_E10value_typeET2_T3_PNS10_IS15_E10value_typeET4_jRbjT5_S1B_jjP12ihipStream_tbEUljE_EEESW_SX_SY_S15_S19_S1B_T6_T7_T9_mT8_S1D_bDpT10_ENKUlT_T0_E_clISt17integral_constantIbLb1EES1P_IbLb0EEEEDaS1L_S1M_EUlS1L_E_NS1_11comp_targetILNS1_3genE5ELNS1_11target_archE942ELNS1_3gpuE9ELNS1_3repE0EEENS1_30default_config_static_selectorELNS0_4arch9wavefront6targetE0EEEvSZ_.has_indirect_call, 0
	.section	.AMDGPU.csdata,"",@progbits
; Kernel info:
; codeLenInByte = 0
; TotalNumSgprs: 0
; NumVgprs: 0
; ScratchSize: 0
; MemoryBound: 0
; FloatMode: 240
; IeeeMode: 1
; LDSByteSize: 0 bytes/workgroup (compile time only)
; SGPRBlocks: 0
; VGPRBlocks: 0
; NumSGPRsForWavesPerEU: 1
; NumVGPRsForWavesPerEU: 1
; NamedBarCnt: 0
; Occupancy: 16
; WaveLimiterHint : 0
; COMPUTE_PGM_RSRC2:SCRATCH_EN: 0
; COMPUTE_PGM_RSRC2:USER_SGPR: 2
; COMPUTE_PGM_RSRC2:TRAP_HANDLER: 0
; COMPUTE_PGM_RSRC2:TGID_X_EN: 1
; COMPUTE_PGM_RSRC2:TGID_Y_EN: 0
; COMPUTE_PGM_RSRC2:TGID_Z_EN: 0
; COMPUTE_PGM_RSRC2:TIDIG_COMP_CNT: 0
	.section	.text._ZN7rocprim17ROCPRIM_400000_NS6detail17trampoline_kernelINS0_13select_configILj256ELj13ELNS0_17block_load_methodE3ELS4_3ELS4_3ELNS0_20block_scan_algorithmE0ELj4294967295EEENS1_25partition_config_selectorILNS1_17partition_subalgoE3EjNS0_10empty_typeEbEEZZNS1_14partition_implILS8_3ELb0ES6_jNS0_17counting_iteratorIjlEEPS9_SE_NS0_5tupleIJPjSE_EEENSF_IJSE_SE_EEES9_SG_JZNS1_25segmented_radix_sort_implINS0_14default_configELb1EPK12hip_bfloat16PSL_PKlPlN2at6native12_GLOBAL__N_18offset_tEEE10hipError_tPvRmT1_PNSt15iterator_traitsISZ_E10value_typeET2_T3_PNS10_IS15_E10value_typeET4_jRbjT5_S1B_jjP12ihipStream_tbEUljE_EEESW_SX_SY_S15_S19_S1B_T6_T7_T9_mT8_S1D_bDpT10_ENKUlT_T0_E_clISt17integral_constantIbLb1EES1P_IbLb0EEEEDaS1L_S1M_EUlS1L_E_NS1_11comp_targetILNS1_3genE4ELNS1_11target_archE910ELNS1_3gpuE8ELNS1_3repE0EEENS1_30default_config_static_selectorELNS0_4arch9wavefront6targetE0EEEvSZ_,"axG",@progbits,_ZN7rocprim17ROCPRIM_400000_NS6detail17trampoline_kernelINS0_13select_configILj256ELj13ELNS0_17block_load_methodE3ELS4_3ELS4_3ELNS0_20block_scan_algorithmE0ELj4294967295EEENS1_25partition_config_selectorILNS1_17partition_subalgoE3EjNS0_10empty_typeEbEEZZNS1_14partition_implILS8_3ELb0ES6_jNS0_17counting_iteratorIjlEEPS9_SE_NS0_5tupleIJPjSE_EEENSF_IJSE_SE_EEES9_SG_JZNS1_25segmented_radix_sort_implINS0_14default_configELb1EPK12hip_bfloat16PSL_PKlPlN2at6native12_GLOBAL__N_18offset_tEEE10hipError_tPvRmT1_PNSt15iterator_traitsISZ_E10value_typeET2_T3_PNS10_IS15_E10value_typeET4_jRbjT5_S1B_jjP12ihipStream_tbEUljE_EEESW_SX_SY_S15_S19_S1B_T6_T7_T9_mT8_S1D_bDpT10_ENKUlT_T0_E_clISt17integral_constantIbLb1EES1P_IbLb0EEEEDaS1L_S1M_EUlS1L_E_NS1_11comp_targetILNS1_3genE4ELNS1_11target_archE910ELNS1_3gpuE8ELNS1_3repE0EEENS1_30default_config_static_selectorELNS0_4arch9wavefront6targetE0EEEvSZ_,comdat
	.globl	_ZN7rocprim17ROCPRIM_400000_NS6detail17trampoline_kernelINS0_13select_configILj256ELj13ELNS0_17block_load_methodE3ELS4_3ELS4_3ELNS0_20block_scan_algorithmE0ELj4294967295EEENS1_25partition_config_selectorILNS1_17partition_subalgoE3EjNS0_10empty_typeEbEEZZNS1_14partition_implILS8_3ELb0ES6_jNS0_17counting_iteratorIjlEEPS9_SE_NS0_5tupleIJPjSE_EEENSF_IJSE_SE_EEES9_SG_JZNS1_25segmented_radix_sort_implINS0_14default_configELb1EPK12hip_bfloat16PSL_PKlPlN2at6native12_GLOBAL__N_18offset_tEEE10hipError_tPvRmT1_PNSt15iterator_traitsISZ_E10value_typeET2_T3_PNS10_IS15_E10value_typeET4_jRbjT5_S1B_jjP12ihipStream_tbEUljE_EEESW_SX_SY_S15_S19_S1B_T6_T7_T9_mT8_S1D_bDpT10_ENKUlT_T0_E_clISt17integral_constantIbLb1EES1P_IbLb0EEEEDaS1L_S1M_EUlS1L_E_NS1_11comp_targetILNS1_3genE4ELNS1_11target_archE910ELNS1_3gpuE8ELNS1_3repE0EEENS1_30default_config_static_selectorELNS0_4arch9wavefront6targetE0EEEvSZ_ ; -- Begin function _ZN7rocprim17ROCPRIM_400000_NS6detail17trampoline_kernelINS0_13select_configILj256ELj13ELNS0_17block_load_methodE3ELS4_3ELS4_3ELNS0_20block_scan_algorithmE0ELj4294967295EEENS1_25partition_config_selectorILNS1_17partition_subalgoE3EjNS0_10empty_typeEbEEZZNS1_14partition_implILS8_3ELb0ES6_jNS0_17counting_iteratorIjlEEPS9_SE_NS0_5tupleIJPjSE_EEENSF_IJSE_SE_EEES9_SG_JZNS1_25segmented_radix_sort_implINS0_14default_configELb1EPK12hip_bfloat16PSL_PKlPlN2at6native12_GLOBAL__N_18offset_tEEE10hipError_tPvRmT1_PNSt15iterator_traitsISZ_E10value_typeET2_T3_PNS10_IS15_E10value_typeET4_jRbjT5_S1B_jjP12ihipStream_tbEUljE_EEESW_SX_SY_S15_S19_S1B_T6_T7_T9_mT8_S1D_bDpT10_ENKUlT_T0_E_clISt17integral_constantIbLb1EES1P_IbLb0EEEEDaS1L_S1M_EUlS1L_E_NS1_11comp_targetILNS1_3genE4ELNS1_11target_archE910ELNS1_3gpuE8ELNS1_3repE0EEENS1_30default_config_static_selectorELNS0_4arch9wavefront6targetE0EEEvSZ_
	.p2align	8
	.type	_ZN7rocprim17ROCPRIM_400000_NS6detail17trampoline_kernelINS0_13select_configILj256ELj13ELNS0_17block_load_methodE3ELS4_3ELS4_3ELNS0_20block_scan_algorithmE0ELj4294967295EEENS1_25partition_config_selectorILNS1_17partition_subalgoE3EjNS0_10empty_typeEbEEZZNS1_14partition_implILS8_3ELb0ES6_jNS0_17counting_iteratorIjlEEPS9_SE_NS0_5tupleIJPjSE_EEENSF_IJSE_SE_EEES9_SG_JZNS1_25segmented_radix_sort_implINS0_14default_configELb1EPK12hip_bfloat16PSL_PKlPlN2at6native12_GLOBAL__N_18offset_tEEE10hipError_tPvRmT1_PNSt15iterator_traitsISZ_E10value_typeET2_T3_PNS10_IS15_E10value_typeET4_jRbjT5_S1B_jjP12ihipStream_tbEUljE_EEESW_SX_SY_S15_S19_S1B_T6_T7_T9_mT8_S1D_bDpT10_ENKUlT_T0_E_clISt17integral_constantIbLb1EES1P_IbLb0EEEEDaS1L_S1M_EUlS1L_E_NS1_11comp_targetILNS1_3genE4ELNS1_11target_archE910ELNS1_3gpuE8ELNS1_3repE0EEENS1_30default_config_static_selectorELNS0_4arch9wavefront6targetE0EEEvSZ_,@function
_ZN7rocprim17ROCPRIM_400000_NS6detail17trampoline_kernelINS0_13select_configILj256ELj13ELNS0_17block_load_methodE3ELS4_3ELS4_3ELNS0_20block_scan_algorithmE0ELj4294967295EEENS1_25partition_config_selectorILNS1_17partition_subalgoE3EjNS0_10empty_typeEbEEZZNS1_14partition_implILS8_3ELb0ES6_jNS0_17counting_iteratorIjlEEPS9_SE_NS0_5tupleIJPjSE_EEENSF_IJSE_SE_EEES9_SG_JZNS1_25segmented_radix_sort_implINS0_14default_configELb1EPK12hip_bfloat16PSL_PKlPlN2at6native12_GLOBAL__N_18offset_tEEE10hipError_tPvRmT1_PNSt15iterator_traitsISZ_E10value_typeET2_T3_PNS10_IS15_E10value_typeET4_jRbjT5_S1B_jjP12ihipStream_tbEUljE_EEESW_SX_SY_S15_S19_S1B_T6_T7_T9_mT8_S1D_bDpT10_ENKUlT_T0_E_clISt17integral_constantIbLb1EES1P_IbLb0EEEEDaS1L_S1M_EUlS1L_E_NS1_11comp_targetILNS1_3genE4ELNS1_11target_archE910ELNS1_3gpuE8ELNS1_3repE0EEENS1_30default_config_static_selectorELNS0_4arch9wavefront6targetE0EEEvSZ_: ; @_ZN7rocprim17ROCPRIM_400000_NS6detail17trampoline_kernelINS0_13select_configILj256ELj13ELNS0_17block_load_methodE3ELS4_3ELS4_3ELNS0_20block_scan_algorithmE0ELj4294967295EEENS1_25partition_config_selectorILNS1_17partition_subalgoE3EjNS0_10empty_typeEbEEZZNS1_14partition_implILS8_3ELb0ES6_jNS0_17counting_iteratorIjlEEPS9_SE_NS0_5tupleIJPjSE_EEENSF_IJSE_SE_EEES9_SG_JZNS1_25segmented_radix_sort_implINS0_14default_configELb1EPK12hip_bfloat16PSL_PKlPlN2at6native12_GLOBAL__N_18offset_tEEE10hipError_tPvRmT1_PNSt15iterator_traitsISZ_E10value_typeET2_T3_PNS10_IS15_E10value_typeET4_jRbjT5_S1B_jjP12ihipStream_tbEUljE_EEESW_SX_SY_S15_S19_S1B_T6_T7_T9_mT8_S1D_bDpT10_ENKUlT_T0_E_clISt17integral_constantIbLb1EES1P_IbLb0EEEEDaS1L_S1M_EUlS1L_E_NS1_11comp_targetILNS1_3genE4ELNS1_11target_archE910ELNS1_3gpuE8ELNS1_3repE0EEENS1_30default_config_static_selectorELNS0_4arch9wavefront6targetE0EEEvSZ_
; %bb.0:
	.section	.rodata,"a",@progbits
	.p2align	6, 0x0
	.amdhsa_kernel _ZN7rocprim17ROCPRIM_400000_NS6detail17trampoline_kernelINS0_13select_configILj256ELj13ELNS0_17block_load_methodE3ELS4_3ELS4_3ELNS0_20block_scan_algorithmE0ELj4294967295EEENS1_25partition_config_selectorILNS1_17partition_subalgoE3EjNS0_10empty_typeEbEEZZNS1_14partition_implILS8_3ELb0ES6_jNS0_17counting_iteratorIjlEEPS9_SE_NS0_5tupleIJPjSE_EEENSF_IJSE_SE_EEES9_SG_JZNS1_25segmented_radix_sort_implINS0_14default_configELb1EPK12hip_bfloat16PSL_PKlPlN2at6native12_GLOBAL__N_18offset_tEEE10hipError_tPvRmT1_PNSt15iterator_traitsISZ_E10value_typeET2_T3_PNS10_IS15_E10value_typeET4_jRbjT5_S1B_jjP12ihipStream_tbEUljE_EEESW_SX_SY_S15_S19_S1B_T6_T7_T9_mT8_S1D_bDpT10_ENKUlT_T0_E_clISt17integral_constantIbLb1EES1P_IbLb0EEEEDaS1L_S1M_EUlS1L_E_NS1_11comp_targetILNS1_3genE4ELNS1_11target_archE910ELNS1_3gpuE8ELNS1_3repE0EEENS1_30default_config_static_selectorELNS0_4arch9wavefront6targetE0EEEvSZ_
		.amdhsa_group_segment_fixed_size 0
		.amdhsa_private_segment_fixed_size 0
		.amdhsa_kernarg_size 144
		.amdhsa_user_sgpr_count 2
		.amdhsa_user_sgpr_dispatch_ptr 0
		.amdhsa_user_sgpr_queue_ptr 0
		.amdhsa_user_sgpr_kernarg_segment_ptr 1
		.amdhsa_user_sgpr_dispatch_id 0
		.amdhsa_user_sgpr_kernarg_preload_length 0
		.amdhsa_user_sgpr_kernarg_preload_offset 0
		.amdhsa_user_sgpr_private_segment_size 0
		.amdhsa_wavefront_size32 1
		.amdhsa_uses_dynamic_stack 0
		.amdhsa_enable_private_segment 0
		.amdhsa_system_sgpr_workgroup_id_x 1
		.amdhsa_system_sgpr_workgroup_id_y 0
		.amdhsa_system_sgpr_workgroup_id_z 0
		.amdhsa_system_sgpr_workgroup_info 0
		.amdhsa_system_vgpr_workitem_id 0
		.amdhsa_next_free_vgpr 1
		.amdhsa_next_free_sgpr 1
		.amdhsa_named_barrier_count 0
		.amdhsa_reserve_vcc 0
		.amdhsa_float_round_mode_32 0
		.amdhsa_float_round_mode_16_64 0
		.amdhsa_float_denorm_mode_32 3
		.amdhsa_float_denorm_mode_16_64 3
		.amdhsa_fp16_overflow 0
		.amdhsa_memory_ordered 1
		.amdhsa_forward_progress 1
		.amdhsa_inst_pref_size 0
		.amdhsa_round_robin_scheduling 0
		.amdhsa_exception_fp_ieee_invalid_op 0
		.amdhsa_exception_fp_denorm_src 0
		.amdhsa_exception_fp_ieee_div_zero 0
		.amdhsa_exception_fp_ieee_overflow 0
		.amdhsa_exception_fp_ieee_underflow 0
		.amdhsa_exception_fp_ieee_inexact 0
		.amdhsa_exception_int_div_zero 0
	.end_amdhsa_kernel
	.section	.text._ZN7rocprim17ROCPRIM_400000_NS6detail17trampoline_kernelINS0_13select_configILj256ELj13ELNS0_17block_load_methodE3ELS4_3ELS4_3ELNS0_20block_scan_algorithmE0ELj4294967295EEENS1_25partition_config_selectorILNS1_17partition_subalgoE3EjNS0_10empty_typeEbEEZZNS1_14partition_implILS8_3ELb0ES6_jNS0_17counting_iteratorIjlEEPS9_SE_NS0_5tupleIJPjSE_EEENSF_IJSE_SE_EEES9_SG_JZNS1_25segmented_radix_sort_implINS0_14default_configELb1EPK12hip_bfloat16PSL_PKlPlN2at6native12_GLOBAL__N_18offset_tEEE10hipError_tPvRmT1_PNSt15iterator_traitsISZ_E10value_typeET2_T3_PNS10_IS15_E10value_typeET4_jRbjT5_S1B_jjP12ihipStream_tbEUljE_EEESW_SX_SY_S15_S19_S1B_T6_T7_T9_mT8_S1D_bDpT10_ENKUlT_T0_E_clISt17integral_constantIbLb1EES1P_IbLb0EEEEDaS1L_S1M_EUlS1L_E_NS1_11comp_targetILNS1_3genE4ELNS1_11target_archE910ELNS1_3gpuE8ELNS1_3repE0EEENS1_30default_config_static_selectorELNS0_4arch9wavefront6targetE0EEEvSZ_,"axG",@progbits,_ZN7rocprim17ROCPRIM_400000_NS6detail17trampoline_kernelINS0_13select_configILj256ELj13ELNS0_17block_load_methodE3ELS4_3ELS4_3ELNS0_20block_scan_algorithmE0ELj4294967295EEENS1_25partition_config_selectorILNS1_17partition_subalgoE3EjNS0_10empty_typeEbEEZZNS1_14partition_implILS8_3ELb0ES6_jNS0_17counting_iteratorIjlEEPS9_SE_NS0_5tupleIJPjSE_EEENSF_IJSE_SE_EEES9_SG_JZNS1_25segmented_radix_sort_implINS0_14default_configELb1EPK12hip_bfloat16PSL_PKlPlN2at6native12_GLOBAL__N_18offset_tEEE10hipError_tPvRmT1_PNSt15iterator_traitsISZ_E10value_typeET2_T3_PNS10_IS15_E10value_typeET4_jRbjT5_S1B_jjP12ihipStream_tbEUljE_EEESW_SX_SY_S15_S19_S1B_T6_T7_T9_mT8_S1D_bDpT10_ENKUlT_T0_E_clISt17integral_constantIbLb1EES1P_IbLb0EEEEDaS1L_S1M_EUlS1L_E_NS1_11comp_targetILNS1_3genE4ELNS1_11target_archE910ELNS1_3gpuE8ELNS1_3repE0EEENS1_30default_config_static_selectorELNS0_4arch9wavefront6targetE0EEEvSZ_,comdat
.Lfunc_end1922:
	.size	_ZN7rocprim17ROCPRIM_400000_NS6detail17trampoline_kernelINS0_13select_configILj256ELj13ELNS0_17block_load_methodE3ELS4_3ELS4_3ELNS0_20block_scan_algorithmE0ELj4294967295EEENS1_25partition_config_selectorILNS1_17partition_subalgoE3EjNS0_10empty_typeEbEEZZNS1_14partition_implILS8_3ELb0ES6_jNS0_17counting_iteratorIjlEEPS9_SE_NS0_5tupleIJPjSE_EEENSF_IJSE_SE_EEES9_SG_JZNS1_25segmented_radix_sort_implINS0_14default_configELb1EPK12hip_bfloat16PSL_PKlPlN2at6native12_GLOBAL__N_18offset_tEEE10hipError_tPvRmT1_PNSt15iterator_traitsISZ_E10value_typeET2_T3_PNS10_IS15_E10value_typeET4_jRbjT5_S1B_jjP12ihipStream_tbEUljE_EEESW_SX_SY_S15_S19_S1B_T6_T7_T9_mT8_S1D_bDpT10_ENKUlT_T0_E_clISt17integral_constantIbLb1EES1P_IbLb0EEEEDaS1L_S1M_EUlS1L_E_NS1_11comp_targetILNS1_3genE4ELNS1_11target_archE910ELNS1_3gpuE8ELNS1_3repE0EEENS1_30default_config_static_selectorELNS0_4arch9wavefront6targetE0EEEvSZ_, .Lfunc_end1922-_ZN7rocprim17ROCPRIM_400000_NS6detail17trampoline_kernelINS0_13select_configILj256ELj13ELNS0_17block_load_methodE3ELS4_3ELS4_3ELNS0_20block_scan_algorithmE0ELj4294967295EEENS1_25partition_config_selectorILNS1_17partition_subalgoE3EjNS0_10empty_typeEbEEZZNS1_14partition_implILS8_3ELb0ES6_jNS0_17counting_iteratorIjlEEPS9_SE_NS0_5tupleIJPjSE_EEENSF_IJSE_SE_EEES9_SG_JZNS1_25segmented_radix_sort_implINS0_14default_configELb1EPK12hip_bfloat16PSL_PKlPlN2at6native12_GLOBAL__N_18offset_tEEE10hipError_tPvRmT1_PNSt15iterator_traitsISZ_E10value_typeET2_T3_PNS10_IS15_E10value_typeET4_jRbjT5_S1B_jjP12ihipStream_tbEUljE_EEESW_SX_SY_S15_S19_S1B_T6_T7_T9_mT8_S1D_bDpT10_ENKUlT_T0_E_clISt17integral_constantIbLb1EES1P_IbLb0EEEEDaS1L_S1M_EUlS1L_E_NS1_11comp_targetILNS1_3genE4ELNS1_11target_archE910ELNS1_3gpuE8ELNS1_3repE0EEENS1_30default_config_static_selectorELNS0_4arch9wavefront6targetE0EEEvSZ_
                                        ; -- End function
	.set _ZN7rocprim17ROCPRIM_400000_NS6detail17trampoline_kernelINS0_13select_configILj256ELj13ELNS0_17block_load_methodE3ELS4_3ELS4_3ELNS0_20block_scan_algorithmE0ELj4294967295EEENS1_25partition_config_selectorILNS1_17partition_subalgoE3EjNS0_10empty_typeEbEEZZNS1_14partition_implILS8_3ELb0ES6_jNS0_17counting_iteratorIjlEEPS9_SE_NS0_5tupleIJPjSE_EEENSF_IJSE_SE_EEES9_SG_JZNS1_25segmented_radix_sort_implINS0_14default_configELb1EPK12hip_bfloat16PSL_PKlPlN2at6native12_GLOBAL__N_18offset_tEEE10hipError_tPvRmT1_PNSt15iterator_traitsISZ_E10value_typeET2_T3_PNS10_IS15_E10value_typeET4_jRbjT5_S1B_jjP12ihipStream_tbEUljE_EEESW_SX_SY_S15_S19_S1B_T6_T7_T9_mT8_S1D_bDpT10_ENKUlT_T0_E_clISt17integral_constantIbLb1EES1P_IbLb0EEEEDaS1L_S1M_EUlS1L_E_NS1_11comp_targetILNS1_3genE4ELNS1_11target_archE910ELNS1_3gpuE8ELNS1_3repE0EEENS1_30default_config_static_selectorELNS0_4arch9wavefront6targetE0EEEvSZ_.num_vgpr, 0
	.set _ZN7rocprim17ROCPRIM_400000_NS6detail17trampoline_kernelINS0_13select_configILj256ELj13ELNS0_17block_load_methodE3ELS4_3ELS4_3ELNS0_20block_scan_algorithmE0ELj4294967295EEENS1_25partition_config_selectorILNS1_17partition_subalgoE3EjNS0_10empty_typeEbEEZZNS1_14partition_implILS8_3ELb0ES6_jNS0_17counting_iteratorIjlEEPS9_SE_NS0_5tupleIJPjSE_EEENSF_IJSE_SE_EEES9_SG_JZNS1_25segmented_radix_sort_implINS0_14default_configELb1EPK12hip_bfloat16PSL_PKlPlN2at6native12_GLOBAL__N_18offset_tEEE10hipError_tPvRmT1_PNSt15iterator_traitsISZ_E10value_typeET2_T3_PNS10_IS15_E10value_typeET4_jRbjT5_S1B_jjP12ihipStream_tbEUljE_EEESW_SX_SY_S15_S19_S1B_T6_T7_T9_mT8_S1D_bDpT10_ENKUlT_T0_E_clISt17integral_constantIbLb1EES1P_IbLb0EEEEDaS1L_S1M_EUlS1L_E_NS1_11comp_targetILNS1_3genE4ELNS1_11target_archE910ELNS1_3gpuE8ELNS1_3repE0EEENS1_30default_config_static_selectorELNS0_4arch9wavefront6targetE0EEEvSZ_.num_agpr, 0
	.set _ZN7rocprim17ROCPRIM_400000_NS6detail17trampoline_kernelINS0_13select_configILj256ELj13ELNS0_17block_load_methodE3ELS4_3ELS4_3ELNS0_20block_scan_algorithmE0ELj4294967295EEENS1_25partition_config_selectorILNS1_17partition_subalgoE3EjNS0_10empty_typeEbEEZZNS1_14partition_implILS8_3ELb0ES6_jNS0_17counting_iteratorIjlEEPS9_SE_NS0_5tupleIJPjSE_EEENSF_IJSE_SE_EEES9_SG_JZNS1_25segmented_radix_sort_implINS0_14default_configELb1EPK12hip_bfloat16PSL_PKlPlN2at6native12_GLOBAL__N_18offset_tEEE10hipError_tPvRmT1_PNSt15iterator_traitsISZ_E10value_typeET2_T3_PNS10_IS15_E10value_typeET4_jRbjT5_S1B_jjP12ihipStream_tbEUljE_EEESW_SX_SY_S15_S19_S1B_T6_T7_T9_mT8_S1D_bDpT10_ENKUlT_T0_E_clISt17integral_constantIbLb1EES1P_IbLb0EEEEDaS1L_S1M_EUlS1L_E_NS1_11comp_targetILNS1_3genE4ELNS1_11target_archE910ELNS1_3gpuE8ELNS1_3repE0EEENS1_30default_config_static_selectorELNS0_4arch9wavefront6targetE0EEEvSZ_.numbered_sgpr, 0
	.set _ZN7rocprim17ROCPRIM_400000_NS6detail17trampoline_kernelINS0_13select_configILj256ELj13ELNS0_17block_load_methodE3ELS4_3ELS4_3ELNS0_20block_scan_algorithmE0ELj4294967295EEENS1_25partition_config_selectorILNS1_17partition_subalgoE3EjNS0_10empty_typeEbEEZZNS1_14partition_implILS8_3ELb0ES6_jNS0_17counting_iteratorIjlEEPS9_SE_NS0_5tupleIJPjSE_EEENSF_IJSE_SE_EEES9_SG_JZNS1_25segmented_radix_sort_implINS0_14default_configELb1EPK12hip_bfloat16PSL_PKlPlN2at6native12_GLOBAL__N_18offset_tEEE10hipError_tPvRmT1_PNSt15iterator_traitsISZ_E10value_typeET2_T3_PNS10_IS15_E10value_typeET4_jRbjT5_S1B_jjP12ihipStream_tbEUljE_EEESW_SX_SY_S15_S19_S1B_T6_T7_T9_mT8_S1D_bDpT10_ENKUlT_T0_E_clISt17integral_constantIbLb1EES1P_IbLb0EEEEDaS1L_S1M_EUlS1L_E_NS1_11comp_targetILNS1_3genE4ELNS1_11target_archE910ELNS1_3gpuE8ELNS1_3repE0EEENS1_30default_config_static_selectorELNS0_4arch9wavefront6targetE0EEEvSZ_.num_named_barrier, 0
	.set _ZN7rocprim17ROCPRIM_400000_NS6detail17trampoline_kernelINS0_13select_configILj256ELj13ELNS0_17block_load_methodE3ELS4_3ELS4_3ELNS0_20block_scan_algorithmE0ELj4294967295EEENS1_25partition_config_selectorILNS1_17partition_subalgoE3EjNS0_10empty_typeEbEEZZNS1_14partition_implILS8_3ELb0ES6_jNS0_17counting_iteratorIjlEEPS9_SE_NS0_5tupleIJPjSE_EEENSF_IJSE_SE_EEES9_SG_JZNS1_25segmented_radix_sort_implINS0_14default_configELb1EPK12hip_bfloat16PSL_PKlPlN2at6native12_GLOBAL__N_18offset_tEEE10hipError_tPvRmT1_PNSt15iterator_traitsISZ_E10value_typeET2_T3_PNS10_IS15_E10value_typeET4_jRbjT5_S1B_jjP12ihipStream_tbEUljE_EEESW_SX_SY_S15_S19_S1B_T6_T7_T9_mT8_S1D_bDpT10_ENKUlT_T0_E_clISt17integral_constantIbLb1EES1P_IbLb0EEEEDaS1L_S1M_EUlS1L_E_NS1_11comp_targetILNS1_3genE4ELNS1_11target_archE910ELNS1_3gpuE8ELNS1_3repE0EEENS1_30default_config_static_selectorELNS0_4arch9wavefront6targetE0EEEvSZ_.private_seg_size, 0
	.set _ZN7rocprim17ROCPRIM_400000_NS6detail17trampoline_kernelINS0_13select_configILj256ELj13ELNS0_17block_load_methodE3ELS4_3ELS4_3ELNS0_20block_scan_algorithmE0ELj4294967295EEENS1_25partition_config_selectorILNS1_17partition_subalgoE3EjNS0_10empty_typeEbEEZZNS1_14partition_implILS8_3ELb0ES6_jNS0_17counting_iteratorIjlEEPS9_SE_NS0_5tupleIJPjSE_EEENSF_IJSE_SE_EEES9_SG_JZNS1_25segmented_radix_sort_implINS0_14default_configELb1EPK12hip_bfloat16PSL_PKlPlN2at6native12_GLOBAL__N_18offset_tEEE10hipError_tPvRmT1_PNSt15iterator_traitsISZ_E10value_typeET2_T3_PNS10_IS15_E10value_typeET4_jRbjT5_S1B_jjP12ihipStream_tbEUljE_EEESW_SX_SY_S15_S19_S1B_T6_T7_T9_mT8_S1D_bDpT10_ENKUlT_T0_E_clISt17integral_constantIbLb1EES1P_IbLb0EEEEDaS1L_S1M_EUlS1L_E_NS1_11comp_targetILNS1_3genE4ELNS1_11target_archE910ELNS1_3gpuE8ELNS1_3repE0EEENS1_30default_config_static_selectorELNS0_4arch9wavefront6targetE0EEEvSZ_.uses_vcc, 0
	.set _ZN7rocprim17ROCPRIM_400000_NS6detail17trampoline_kernelINS0_13select_configILj256ELj13ELNS0_17block_load_methodE3ELS4_3ELS4_3ELNS0_20block_scan_algorithmE0ELj4294967295EEENS1_25partition_config_selectorILNS1_17partition_subalgoE3EjNS0_10empty_typeEbEEZZNS1_14partition_implILS8_3ELb0ES6_jNS0_17counting_iteratorIjlEEPS9_SE_NS0_5tupleIJPjSE_EEENSF_IJSE_SE_EEES9_SG_JZNS1_25segmented_radix_sort_implINS0_14default_configELb1EPK12hip_bfloat16PSL_PKlPlN2at6native12_GLOBAL__N_18offset_tEEE10hipError_tPvRmT1_PNSt15iterator_traitsISZ_E10value_typeET2_T3_PNS10_IS15_E10value_typeET4_jRbjT5_S1B_jjP12ihipStream_tbEUljE_EEESW_SX_SY_S15_S19_S1B_T6_T7_T9_mT8_S1D_bDpT10_ENKUlT_T0_E_clISt17integral_constantIbLb1EES1P_IbLb0EEEEDaS1L_S1M_EUlS1L_E_NS1_11comp_targetILNS1_3genE4ELNS1_11target_archE910ELNS1_3gpuE8ELNS1_3repE0EEENS1_30default_config_static_selectorELNS0_4arch9wavefront6targetE0EEEvSZ_.uses_flat_scratch, 0
	.set _ZN7rocprim17ROCPRIM_400000_NS6detail17trampoline_kernelINS0_13select_configILj256ELj13ELNS0_17block_load_methodE3ELS4_3ELS4_3ELNS0_20block_scan_algorithmE0ELj4294967295EEENS1_25partition_config_selectorILNS1_17partition_subalgoE3EjNS0_10empty_typeEbEEZZNS1_14partition_implILS8_3ELb0ES6_jNS0_17counting_iteratorIjlEEPS9_SE_NS0_5tupleIJPjSE_EEENSF_IJSE_SE_EEES9_SG_JZNS1_25segmented_radix_sort_implINS0_14default_configELb1EPK12hip_bfloat16PSL_PKlPlN2at6native12_GLOBAL__N_18offset_tEEE10hipError_tPvRmT1_PNSt15iterator_traitsISZ_E10value_typeET2_T3_PNS10_IS15_E10value_typeET4_jRbjT5_S1B_jjP12ihipStream_tbEUljE_EEESW_SX_SY_S15_S19_S1B_T6_T7_T9_mT8_S1D_bDpT10_ENKUlT_T0_E_clISt17integral_constantIbLb1EES1P_IbLb0EEEEDaS1L_S1M_EUlS1L_E_NS1_11comp_targetILNS1_3genE4ELNS1_11target_archE910ELNS1_3gpuE8ELNS1_3repE0EEENS1_30default_config_static_selectorELNS0_4arch9wavefront6targetE0EEEvSZ_.has_dyn_sized_stack, 0
	.set _ZN7rocprim17ROCPRIM_400000_NS6detail17trampoline_kernelINS0_13select_configILj256ELj13ELNS0_17block_load_methodE3ELS4_3ELS4_3ELNS0_20block_scan_algorithmE0ELj4294967295EEENS1_25partition_config_selectorILNS1_17partition_subalgoE3EjNS0_10empty_typeEbEEZZNS1_14partition_implILS8_3ELb0ES6_jNS0_17counting_iteratorIjlEEPS9_SE_NS0_5tupleIJPjSE_EEENSF_IJSE_SE_EEES9_SG_JZNS1_25segmented_radix_sort_implINS0_14default_configELb1EPK12hip_bfloat16PSL_PKlPlN2at6native12_GLOBAL__N_18offset_tEEE10hipError_tPvRmT1_PNSt15iterator_traitsISZ_E10value_typeET2_T3_PNS10_IS15_E10value_typeET4_jRbjT5_S1B_jjP12ihipStream_tbEUljE_EEESW_SX_SY_S15_S19_S1B_T6_T7_T9_mT8_S1D_bDpT10_ENKUlT_T0_E_clISt17integral_constantIbLb1EES1P_IbLb0EEEEDaS1L_S1M_EUlS1L_E_NS1_11comp_targetILNS1_3genE4ELNS1_11target_archE910ELNS1_3gpuE8ELNS1_3repE0EEENS1_30default_config_static_selectorELNS0_4arch9wavefront6targetE0EEEvSZ_.has_recursion, 0
	.set _ZN7rocprim17ROCPRIM_400000_NS6detail17trampoline_kernelINS0_13select_configILj256ELj13ELNS0_17block_load_methodE3ELS4_3ELS4_3ELNS0_20block_scan_algorithmE0ELj4294967295EEENS1_25partition_config_selectorILNS1_17partition_subalgoE3EjNS0_10empty_typeEbEEZZNS1_14partition_implILS8_3ELb0ES6_jNS0_17counting_iteratorIjlEEPS9_SE_NS0_5tupleIJPjSE_EEENSF_IJSE_SE_EEES9_SG_JZNS1_25segmented_radix_sort_implINS0_14default_configELb1EPK12hip_bfloat16PSL_PKlPlN2at6native12_GLOBAL__N_18offset_tEEE10hipError_tPvRmT1_PNSt15iterator_traitsISZ_E10value_typeET2_T3_PNS10_IS15_E10value_typeET4_jRbjT5_S1B_jjP12ihipStream_tbEUljE_EEESW_SX_SY_S15_S19_S1B_T6_T7_T9_mT8_S1D_bDpT10_ENKUlT_T0_E_clISt17integral_constantIbLb1EES1P_IbLb0EEEEDaS1L_S1M_EUlS1L_E_NS1_11comp_targetILNS1_3genE4ELNS1_11target_archE910ELNS1_3gpuE8ELNS1_3repE0EEENS1_30default_config_static_selectorELNS0_4arch9wavefront6targetE0EEEvSZ_.has_indirect_call, 0
	.section	.AMDGPU.csdata,"",@progbits
; Kernel info:
; codeLenInByte = 0
; TotalNumSgprs: 0
; NumVgprs: 0
; ScratchSize: 0
; MemoryBound: 0
; FloatMode: 240
; IeeeMode: 1
; LDSByteSize: 0 bytes/workgroup (compile time only)
; SGPRBlocks: 0
; VGPRBlocks: 0
; NumSGPRsForWavesPerEU: 1
; NumVGPRsForWavesPerEU: 1
; NamedBarCnt: 0
; Occupancy: 16
; WaveLimiterHint : 0
; COMPUTE_PGM_RSRC2:SCRATCH_EN: 0
; COMPUTE_PGM_RSRC2:USER_SGPR: 2
; COMPUTE_PGM_RSRC2:TRAP_HANDLER: 0
; COMPUTE_PGM_RSRC2:TGID_X_EN: 1
; COMPUTE_PGM_RSRC2:TGID_Y_EN: 0
; COMPUTE_PGM_RSRC2:TGID_Z_EN: 0
; COMPUTE_PGM_RSRC2:TIDIG_COMP_CNT: 0
	.section	.text._ZN7rocprim17ROCPRIM_400000_NS6detail17trampoline_kernelINS0_13select_configILj256ELj13ELNS0_17block_load_methodE3ELS4_3ELS4_3ELNS0_20block_scan_algorithmE0ELj4294967295EEENS1_25partition_config_selectorILNS1_17partition_subalgoE3EjNS0_10empty_typeEbEEZZNS1_14partition_implILS8_3ELb0ES6_jNS0_17counting_iteratorIjlEEPS9_SE_NS0_5tupleIJPjSE_EEENSF_IJSE_SE_EEES9_SG_JZNS1_25segmented_radix_sort_implINS0_14default_configELb1EPK12hip_bfloat16PSL_PKlPlN2at6native12_GLOBAL__N_18offset_tEEE10hipError_tPvRmT1_PNSt15iterator_traitsISZ_E10value_typeET2_T3_PNS10_IS15_E10value_typeET4_jRbjT5_S1B_jjP12ihipStream_tbEUljE_EEESW_SX_SY_S15_S19_S1B_T6_T7_T9_mT8_S1D_bDpT10_ENKUlT_T0_E_clISt17integral_constantIbLb1EES1P_IbLb0EEEEDaS1L_S1M_EUlS1L_E_NS1_11comp_targetILNS1_3genE3ELNS1_11target_archE908ELNS1_3gpuE7ELNS1_3repE0EEENS1_30default_config_static_selectorELNS0_4arch9wavefront6targetE0EEEvSZ_,"axG",@progbits,_ZN7rocprim17ROCPRIM_400000_NS6detail17trampoline_kernelINS0_13select_configILj256ELj13ELNS0_17block_load_methodE3ELS4_3ELS4_3ELNS0_20block_scan_algorithmE0ELj4294967295EEENS1_25partition_config_selectorILNS1_17partition_subalgoE3EjNS0_10empty_typeEbEEZZNS1_14partition_implILS8_3ELb0ES6_jNS0_17counting_iteratorIjlEEPS9_SE_NS0_5tupleIJPjSE_EEENSF_IJSE_SE_EEES9_SG_JZNS1_25segmented_radix_sort_implINS0_14default_configELb1EPK12hip_bfloat16PSL_PKlPlN2at6native12_GLOBAL__N_18offset_tEEE10hipError_tPvRmT1_PNSt15iterator_traitsISZ_E10value_typeET2_T3_PNS10_IS15_E10value_typeET4_jRbjT5_S1B_jjP12ihipStream_tbEUljE_EEESW_SX_SY_S15_S19_S1B_T6_T7_T9_mT8_S1D_bDpT10_ENKUlT_T0_E_clISt17integral_constantIbLb1EES1P_IbLb0EEEEDaS1L_S1M_EUlS1L_E_NS1_11comp_targetILNS1_3genE3ELNS1_11target_archE908ELNS1_3gpuE7ELNS1_3repE0EEENS1_30default_config_static_selectorELNS0_4arch9wavefront6targetE0EEEvSZ_,comdat
	.globl	_ZN7rocprim17ROCPRIM_400000_NS6detail17trampoline_kernelINS0_13select_configILj256ELj13ELNS0_17block_load_methodE3ELS4_3ELS4_3ELNS0_20block_scan_algorithmE0ELj4294967295EEENS1_25partition_config_selectorILNS1_17partition_subalgoE3EjNS0_10empty_typeEbEEZZNS1_14partition_implILS8_3ELb0ES6_jNS0_17counting_iteratorIjlEEPS9_SE_NS0_5tupleIJPjSE_EEENSF_IJSE_SE_EEES9_SG_JZNS1_25segmented_radix_sort_implINS0_14default_configELb1EPK12hip_bfloat16PSL_PKlPlN2at6native12_GLOBAL__N_18offset_tEEE10hipError_tPvRmT1_PNSt15iterator_traitsISZ_E10value_typeET2_T3_PNS10_IS15_E10value_typeET4_jRbjT5_S1B_jjP12ihipStream_tbEUljE_EEESW_SX_SY_S15_S19_S1B_T6_T7_T9_mT8_S1D_bDpT10_ENKUlT_T0_E_clISt17integral_constantIbLb1EES1P_IbLb0EEEEDaS1L_S1M_EUlS1L_E_NS1_11comp_targetILNS1_3genE3ELNS1_11target_archE908ELNS1_3gpuE7ELNS1_3repE0EEENS1_30default_config_static_selectorELNS0_4arch9wavefront6targetE0EEEvSZ_ ; -- Begin function _ZN7rocprim17ROCPRIM_400000_NS6detail17trampoline_kernelINS0_13select_configILj256ELj13ELNS0_17block_load_methodE3ELS4_3ELS4_3ELNS0_20block_scan_algorithmE0ELj4294967295EEENS1_25partition_config_selectorILNS1_17partition_subalgoE3EjNS0_10empty_typeEbEEZZNS1_14partition_implILS8_3ELb0ES6_jNS0_17counting_iteratorIjlEEPS9_SE_NS0_5tupleIJPjSE_EEENSF_IJSE_SE_EEES9_SG_JZNS1_25segmented_radix_sort_implINS0_14default_configELb1EPK12hip_bfloat16PSL_PKlPlN2at6native12_GLOBAL__N_18offset_tEEE10hipError_tPvRmT1_PNSt15iterator_traitsISZ_E10value_typeET2_T3_PNS10_IS15_E10value_typeET4_jRbjT5_S1B_jjP12ihipStream_tbEUljE_EEESW_SX_SY_S15_S19_S1B_T6_T7_T9_mT8_S1D_bDpT10_ENKUlT_T0_E_clISt17integral_constantIbLb1EES1P_IbLb0EEEEDaS1L_S1M_EUlS1L_E_NS1_11comp_targetILNS1_3genE3ELNS1_11target_archE908ELNS1_3gpuE7ELNS1_3repE0EEENS1_30default_config_static_selectorELNS0_4arch9wavefront6targetE0EEEvSZ_
	.p2align	8
	.type	_ZN7rocprim17ROCPRIM_400000_NS6detail17trampoline_kernelINS0_13select_configILj256ELj13ELNS0_17block_load_methodE3ELS4_3ELS4_3ELNS0_20block_scan_algorithmE0ELj4294967295EEENS1_25partition_config_selectorILNS1_17partition_subalgoE3EjNS0_10empty_typeEbEEZZNS1_14partition_implILS8_3ELb0ES6_jNS0_17counting_iteratorIjlEEPS9_SE_NS0_5tupleIJPjSE_EEENSF_IJSE_SE_EEES9_SG_JZNS1_25segmented_radix_sort_implINS0_14default_configELb1EPK12hip_bfloat16PSL_PKlPlN2at6native12_GLOBAL__N_18offset_tEEE10hipError_tPvRmT1_PNSt15iterator_traitsISZ_E10value_typeET2_T3_PNS10_IS15_E10value_typeET4_jRbjT5_S1B_jjP12ihipStream_tbEUljE_EEESW_SX_SY_S15_S19_S1B_T6_T7_T9_mT8_S1D_bDpT10_ENKUlT_T0_E_clISt17integral_constantIbLb1EES1P_IbLb0EEEEDaS1L_S1M_EUlS1L_E_NS1_11comp_targetILNS1_3genE3ELNS1_11target_archE908ELNS1_3gpuE7ELNS1_3repE0EEENS1_30default_config_static_selectorELNS0_4arch9wavefront6targetE0EEEvSZ_,@function
_ZN7rocprim17ROCPRIM_400000_NS6detail17trampoline_kernelINS0_13select_configILj256ELj13ELNS0_17block_load_methodE3ELS4_3ELS4_3ELNS0_20block_scan_algorithmE0ELj4294967295EEENS1_25partition_config_selectorILNS1_17partition_subalgoE3EjNS0_10empty_typeEbEEZZNS1_14partition_implILS8_3ELb0ES6_jNS0_17counting_iteratorIjlEEPS9_SE_NS0_5tupleIJPjSE_EEENSF_IJSE_SE_EEES9_SG_JZNS1_25segmented_radix_sort_implINS0_14default_configELb1EPK12hip_bfloat16PSL_PKlPlN2at6native12_GLOBAL__N_18offset_tEEE10hipError_tPvRmT1_PNSt15iterator_traitsISZ_E10value_typeET2_T3_PNS10_IS15_E10value_typeET4_jRbjT5_S1B_jjP12ihipStream_tbEUljE_EEESW_SX_SY_S15_S19_S1B_T6_T7_T9_mT8_S1D_bDpT10_ENKUlT_T0_E_clISt17integral_constantIbLb1EES1P_IbLb0EEEEDaS1L_S1M_EUlS1L_E_NS1_11comp_targetILNS1_3genE3ELNS1_11target_archE908ELNS1_3gpuE7ELNS1_3repE0EEENS1_30default_config_static_selectorELNS0_4arch9wavefront6targetE0EEEvSZ_: ; @_ZN7rocprim17ROCPRIM_400000_NS6detail17trampoline_kernelINS0_13select_configILj256ELj13ELNS0_17block_load_methodE3ELS4_3ELS4_3ELNS0_20block_scan_algorithmE0ELj4294967295EEENS1_25partition_config_selectorILNS1_17partition_subalgoE3EjNS0_10empty_typeEbEEZZNS1_14partition_implILS8_3ELb0ES6_jNS0_17counting_iteratorIjlEEPS9_SE_NS0_5tupleIJPjSE_EEENSF_IJSE_SE_EEES9_SG_JZNS1_25segmented_radix_sort_implINS0_14default_configELb1EPK12hip_bfloat16PSL_PKlPlN2at6native12_GLOBAL__N_18offset_tEEE10hipError_tPvRmT1_PNSt15iterator_traitsISZ_E10value_typeET2_T3_PNS10_IS15_E10value_typeET4_jRbjT5_S1B_jjP12ihipStream_tbEUljE_EEESW_SX_SY_S15_S19_S1B_T6_T7_T9_mT8_S1D_bDpT10_ENKUlT_T0_E_clISt17integral_constantIbLb1EES1P_IbLb0EEEEDaS1L_S1M_EUlS1L_E_NS1_11comp_targetILNS1_3genE3ELNS1_11target_archE908ELNS1_3gpuE7ELNS1_3repE0EEENS1_30default_config_static_selectorELNS0_4arch9wavefront6targetE0EEEvSZ_
; %bb.0:
	.section	.rodata,"a",@progbits
	.p2align	6, 0x0
	.amdhsa_kernel _ZN7rocprim17ROCPRIM_400000_NS6detail17trampoline_kernelINS0_13select_configILj256ELj13ELNS0_17block_load_methodE3ELS4_3ELS4_3ELNS0_20block_scan_algorithmE0ELj4294967295EEENS1_25partition_config_selectorILNS1_17partition_subalgoE3EjNS0_10empty_typeEbEEZZNS1_14partition_implILS8_3ELb0ES6_jNS0_17counting_iteratorIjlEEPS9_SE_NS0_5tupleIJPjSE_EEENSF_IJSE_SE_EEES9_SG_JZNS1_25segmented_radix_sort_implINS0_14default_configELb1EPK12hip_bfloat16PSL_PKlPlN2at6native12_GLOBAL__N_18offset_tEEE10hipError_tPvRmT1_PNSt15iterator_traitsISZ_E10value_typeET2_T3_PNS10_IS15_E10value_typeET4_jRbjT5_S1B_jjP12ihipStream_tbEUljE_EEESW_SX_SY_S15_S19_S1B_T6_T7_T9_mT8_S1D_bDpT10_ENKUlT_T0_E_clISt17integral_constantIbLb1EES1P_IbLb0EEEEDaS1L_S1M_EUlS1L_E_NS1_11comp_targetILNS1_3genE3ELNS1_11target_archE908ELNS1_3gpuE7ELNS1_3repE0EEENS1_30default_config_static_selectorELNS0_4arch9wavefront6targetE0EEEvSZ_
		.amdhsa_group_segment_fixed_size 0
		.amdhsa_private_segment_fixed_size 0
		.amdhsa_kernarg_size 144
		.amdhsa_user_sgpr_count 2
		.amdhsa_user_sgpr_dispatch_ptr 0
		.amdhsa_user_sgpr_queue_ptr 0
		.amdhsa_user_sgpr_kernarg_segment_ptr 1
		.amdhsa_user_sgpr_dispatch_id 0
		.amdhsa_user_sgpr_kernarg_preload_length 0
		.amdhsa_user_sgpr_kernarg_preload_offset 0
		.amdhsa_user_sgpr_private_segment_size 0
		.amdhsa_wavefront_size32 1
		.amdhsa_uses_dynamic_stack 0
		.amdhsa_enable_private_segment 0
		.amdhsa_system_sgpr_workgroup_id_x 1
		.amdhsa_system_sgpr_workgroup_id_y 0
		.amdhsa_system_sgpr_workgroup_id_z 0
		.amdhsa_system_sgpr_workgroup_info 0
		.amdhsa_system_vgpr_workitem_id 0
		.amdhsa_next_free_vgpr 1
		.amdhsa_next_free_sgpr 1
		.amdhsa_named_barrier_count 0
		.amdhsa_reserve_vcc 0
		.amdhsa_float_round_mode_32 0
		.amdhsa_float_round_mode_16_64 0
		.amdhsa_float_denorm_mode_32 3
		.amdhsa_float_denorm_mode_16_64 3
		.amdhsa_fp16_overflow 0
		.amdhsa_memory_ordered 1
		.amdhsa_forward_progress 1
		.amdhsa_inst_pref_size 0
		.amdhsa_round_robin_scheduling 0
		.amdhsa_exception_fp_ieee_invalid_op 0
		.amdhsa_exception_fp_denorm_src 0
		.amdhsa_exception_fp_ieee_div_zero 0
		.amdhsa_exception_fp_ieee_overflow 0
		.amdhsa_exception_fp_ieee_underflow 0
		.amdhsa_exception_fp_ieee_inexact 0
		.amdhsa_exception_int_div_zero 0
	.end_amdhsa_kernel
	.section	.text._ZN7rocprim17ROCPRIM_400000_NS6detail17trampoline_kernelINS0_13select_configILj256ELj13ELNS0_17block_load_methodE3ELS4_3ELS4_3ELNS0_20block_scan_algorithmE0ELj4294967295EEENS1_25partition_config_selectorILNS1_17partition_subalgoE3EjNS0_10empty_typeEbEEZZNS1_14partition_implILS8_3ELb0ES6_jNS0_17counting_iteratorIjlEEPS9_SE_NS0_5tupleIJPjSE_EEENSF_IJSE_SE_EEES9_SG_JZNS1_25segmented_radix_sort_implINS0_14default_configELb1EPK12hip_bfloat16PSL_PKlPlN2at6native12_GLOBAL__N_18offset_tEEE10hipError_tPvRmT1_PNSt15iterator_traitsISZ_E10value_typeET2_T3_PNS10_IS15_E10value_typeET4_jRbjT5_S1B_jjP12ihipStream_tbEUljE_EEESW_SX_SY_S15_S19_S1B_T6_T7_T9_mT8_S1D_bDpT10_ENKUlT_T0_E_clISt17integral_constantIbLb1EES1P_IbLb0EEEEDaS1L_S1M_EUlS1L_E_NS1_11comp_targetILNS1_3genE3ELNS1_11target_archE908ELNS1_3gpuE7ELNS1_3repE0EEENS1_30default_config_static_selectorELNS0_4arch9wavefront6targetE0EEEvSZ_,"axG",@progbits,_ZN7rocprim17ROCPRIM_400000_NS6detail17trampoline_kernelINS0_13select_configILj256ELj13ELNS0_17block_load_methodE3ELS4_3ELS4_3ELNS0_20block_scan_algorithmE0ELj4294967295EEENS1_25partition_config_selectorILNS1_17partition_subalgoE3EjNS0_10empty_typeEbEEZZNS1_14partition_implILS8_3ELb0ES6_jNS0_17counting_iteratorIjlEEPS9_SE_NS0_5tupleIJPjSE_EEENSF_IJSE_SE_EEES9_SG_JZNS1_25segmented_radix_sort_implINS0_14default_configELb1EPK12hip_bfloat16PSL_PKlPlN2at6native12_GLOBAL__N_18offset_tEEE10hipError_tPvRmT1_PNSt15iterator_traitsISZ_E10value_typeET2_T3_PNS10_IS15_E10value_typeET4_jRbjT5_S1B_jjP12ihipStream_tbEUljE_EEESW_SX_SY_S15_S19_S1B_T6_T7_T9_mT8_S1D_bDpT10_ENKUlT_T0_E_clISt17integral_constantIbLb1EES1P_IbLb0EEEEDaS1L_S1M_EUlS1L_E_NS1_11comp_targetILNS1_3genE3ELNS1_11target_archE908ELNS1_3gpuE7ELNS1_3repE0EEENS1_30default_config_static_selectorELNS0_4arch9wavefront6targetE0EEEvSZ_,comdat
.Lfunc_end1923:
	.size	_ZN7rocprim17ROCPRIM_400000_NS6detail17trampoline_kernelINS0_13select_configILj256ELj13ELNS0_17block_load_methodE3ELS4_3ELS4_3ELNS0_20block_scan_algorithmE0ELj4294967295EEENS1_25partition_config_selectorILNS1_17partition_subalgoE3EjNS0_10empty_typeEbEEZZNS1_14partition_implILS8_3ELb0ES6_jNS0_17counting_iteratorIjlEEPS9_SE_NS0_5tupleIJPjSE_EEENSF_IJSE_SE_EEES9_SG_JZNS1_25segmented_radix_sort_implINS0_14default_configELb1EPK12hip_bfloat16PSL_PKlPlN2at6native12_GLOBAL__N_18offset_tEEE10hipError_tPvRmT1_PNSt15iterator_traitsISZ_E10value_typeET2_T3_PNS10_IS15_E10value_typeET4_jRbjT5_S1B_jjP12ihipStream_tbEUljE_EEESW_SX_SY_S15_S19_S1B_T6_T7_T9_mT8_S1D_bDpT10_ENKUlT_T0_E_clISt17integral_constantIbLb1EES1P_IbLb0EEEEDaS1L_S1M_EUlS1L_E_NS1_11comp_targetILNS1_3genE3ELNS1_11target_archE908ELNS1_3gpuE7ELNS1_3repE0EEENS1_30default_config_static_selectorELNS0_4arch9wavefront6targetE0EEEvSZ_, .Lfunc_end1923-_ZN7rocprim17ROCPRIM_400000_NS6detail17trampoline_kernelINS0_13select_configILj256ELj13ELNS0_17block_load_methodE3ELS4_3ELS4_3ELNS0_20block_scan_algorithmE0ELj4294967295EEENS1_25partition_config_selectorILNS1_17partition_subalgoE3EjNS0_10empty_typeEbEEZZNS1_14partition_implILS8_3ELb0ES6_jNS0_17counting_iteratorIjlEEPS9_SE_NS0_5tupleIJPjSE_EEENSF_IJSE_SE_EEES9_SG_JZNS1_25segmented_radix_sort_implINS0_14default_configELb1EPK12hip_bfloat16PSL_PKlPlN2at6native12_GLOBAL__N_18offset_tEEE10hipError_tPvRmT1_PNSt15iterator_traitsISZ_E10value_typeET2_T3_PNS10_IS15_E10value_typeET4_jRbjT5_S1B_jjP12ihipStream_tbEUljE_EEESW_SX_SY_S15_S19_S1B_T6_T7_T9_mT8_S1D_bDpT10_ENKUlT_T0_E_clISt17integral_constantIbLb1EES1P_IbLb0EEEEDaS1L_S1M_EUlS1L_E_NS1_11comp_targetILNS1_3genE3ELNS1_11target_archE908ELNS1_3gpuE7ELNS1_3repE0EEENS1_30default_config_static_selectorELNS0_4arch9wavefront6targetE0EEEvSZ_
                                        ; -- End function
	.set _ZN7rocprim17ROCPRIM_400000_NS6detail17trampoline_kernelINS0_13select_configILj256ELj13ELNS0_17block_load_methodE3ELS4_3ELS4_3ELNS0_20block_scan_algorithmE0ELj4294967295EEENS1_25partition_config_selectorILNS1_17partition_subalgoE3EjNS0_10empty_typeEbEEZZNS1_14partition_implILS8_3ELb0ES6_jNS0_17counting_iteratorIjlEEPS9_SE_NS0_5tupleIJPjSE_EEENSF_IJSE_SE_EEES9_SG_JZNS1_25segmented_radix_sort_implINS0_14default_configELb1EPK12hip_bfloat16PSL_PKlPlN2at6native12_GLOBAL__N_18offset_tEEE10hipError_tPvRmT1_PNSt15iterator_traitsISZ_E10value_typeET2_T3_PNS10_IS15_E10value_typeET4_jRbjT5_S1B_jjP12ihipStream_tbEUljE_EEESW_SX_SY_S15_S19_S1B_T6_T7_T9_mT8_S1D_bDpT10_ENKUlT_T0_E_clISt17integral_constantIbLb1EES1P_IbLb0EEEEDaS1L_S1M_EUlS1L_E_NS1_11comp_targetILNS1_3genE3ELNS1_11target_archE908ELNS1_3gpuE7ELNS1_3repE0EEENS1_30default_config_static_selectorELNS0_4arch9wavefront6targetE0EEEvSZ_.num_vgpr, 0
	.set _ZN7rocprim17ROCPRIM_400000_NS6detail17trampoline_kernelINS0_13select_configILj256ELj13ELNS0_17block_load_methodE3ELS4_3ELS4_3ELNS0_20block_scan_algorithmE0ELj4294967295EEENS1_25partition_config_selectorILNS1_17partition_subalgoE3EjNS0_10empty_typeEbEEZZNS1_14partition_implILS8_3ELb0ES6_jNS0_17counting_iteratorIjlEEPS9_SE_NS0_5tupleIJPjSE_EEENSF_IJSE_SE_EEES9_SG_JZNS1_25segmented_radix_sort_implINS0_14default_configELb1EPK12hip_bfloat16PSL_PKlPlN2at6native12_GLOBAL__N_18offset_tEEE10hipError_tPvRmT1_PNSt15iterator_traitsISZ_E10value_typeET2_T3_PNS10_IS15_E10value_typeET4_jRbjT5_S1B_jjP12ihipStream_tbEUljE_EEESW_SX_SY_S15_S19_S1B_T6_T7_T9_mT8_S1D_bDpT10_ENKUlT_T0_E_clISt17integral_constantIbLb1EES1P_IbLb0EEEEDaS1L_S1M_EUlS1L_E_NS1_11comp_targetILNS1_3genE3ELNS1_11target_archE908ELNS1_3gpuE7ELNS1_3repE0EEENS1_30default_config_static_selectorELNS0_4arch9wavefront6targetE0EEEvSZ_.num_agpr, 0
	.set _ZN7rocprim17ROCPRIM_400000_NS6detail17trampoline_kernelINS0_13select_configILj256ELj13ELNS0_17block_load_methodE3ELS4_3ELS4_3ELNS0_20block_scan_algorithmE0ELj4294967295EEENS1_25partition_config_selectorILNS1_17partition_subalgoE3EjNS0_10empty_typeEbEEZZNS1_14partition_implILS8_3ELb0ES6_jNS0_17counting_iteratorIjlEEPS9_SE_NS0_5tupleIJPjSE_EEENSF_IJSE_SE_EEES9_SG_JZNS1_25segmented_radix_sort_implINS0_14default_configELb1EPK12hip_bfloat16PSL_PKlPlN2at6native12_GLOBAL__N_18offset_tEEE10hipError_tPvRmT1_PNSt15iterator_traitsISZ_E10value_typeET2_T3_PNS10_IS15_E10value_typeET4_jRbjT5_S1B_jjP12ihipStream_tbEUljE_EEESW_SX_SY_S15_S19_S1B_T6_T7_T9_mT8_S1D_bDpT10_ENKUlT_T0_E_clISt17integral_constantIbLb1EES1P_IbLb0EEEEDaS1L_S1M_EUlS1L_E_NS1_11comp_targetILNS1_3genE3ELNS1_11target_archE908ELNS1_3gpuE7ELNS1_3repE0EEENS1_30default_config_static_selectorELNS0_4arch9wavefront6targetE0EEEvSZ_.numbered_sgpr, 0
	.set _ZN7rocprim17ROCPRIM_400000_NS6detail17trampoline_kernelINS0_13select_configILj256ELj13ELNS0_17block_load_methodE3ELS4_3ELS4_3ELNS0_20block_scan_algorithmE0ELj4294967295EEENS1_25partition_config_selectorILNS1_17partition_subalgoE3EjNS0_10empty_typeEbEEZZNS1_14partition_implILS8_3ELb0ES6_jNS0_17counting_iteratorIjlEEPS9_SE_NS0_5tupleIJPjSE_EEENSF_IJSE_SE_EEES9_SG_JZNS1_25segmented_radix_sort_implINS0_14default_configELb1EPK12hip_bfloat16PSL_PKlPlN2at6native12_GLOBAL__N_18offset_tEEE10hipError_tPvRmT1_PNSt15iterator_traitsISZ_E10value_typeET2_T3_PNS10_IS15_E10value_typeET4_jRbjT5_S1B_jjP12ihipStream_tbEUljE_EEESW_SX_SY_S15_S19_S1B_T6_T7_T9_mT8_S1D_bDpT10_ENKUlT_T0_E_clISt17integral_constantIbLb1EES1P_IbLb0EEEEDaS1L_S1M_EUlS1L_E_NS1_11comp_targetILNS1_3genE3ELNS1_11target_archE908ELNS1_3gpuE7ELNS1_3repE0EEENS1_30default_config_static_selectorELNS0_4arch9wavefront6targetE0EEEvSZ_.num_named_barrier, 0
	.set _ZN7rocprim17ROCPRIM_400000_NS6detail17trampoline_kernelINS0_13select_configILj256ELj13ELNS0_17block_load_methodE3ELS4_3ELS4_3ELNS0_20block_scan_algorithmE0ELj4294967295EEENS1_25partition_config_selectorILNS1_17partition_subalgoE3EjNS0_10empty_typeEbEEZZNS1_14partition_implILS8_3ELb0ES6_jNS0_17counting_iteratorIjlEEPS9_SE_NS0_5tupleIJPjSE_EEENSF_IJSE_SE_EEES9_SG_JZNS1_25segmented_radix_sort_implINS0_14default_configELb1EPK12hip_bfloat16PSL_PKlPlN2at6native12_GLOBAL__N_18offset_tEEE10hipError_tPvRmT1_PNSt15iterator_traitsISZ_E10value_typeET2_T3_PNS10_IS15_E10value_typeET4_jRbjT5_S1B_jjP12ihipStream_tbEUljE_EEESW_SX_SY_S15_S19_S1B_T6_T7_T9_mT8_S1D_bDpT10_ENKUlT_T0_E_clISt17integral_constantIbLb1EES1P_IbLb0EEEEDaS1L_S1M_EUlS1L_E_NS1_11comp_targetILNS1_3genE3ELNS1_11target_archE908ELNS1_3gpuE7ELNS1_3repE0EEENS1_30default_config_static_selectorELNS0_4arch9wavefront6targetE0EEEvSZ_.private_seg_size, 0
	.set _ZN7rocprim17ROCPRIM_400000_NS6detail17trampoline_kernelINS0_13select_configILj256ELj13ELNS0_17block_load_methodE3ELS4_3ELS4_3ELNS0_20block_scan_algorithmE0ELj4294967295EEENS1_25partition_config_selectorILNS1_17partition_subalgoE3EjNS0_10empty_typeEbEEZZNS1_14partition_implILS8_3ELb0ES6_jNS0_17counting_iteratorIjlEEPS9_SE_NS0_5tupleIJPjSE_EEENSF_IJSE_SE_EEES9_SG_JZNS1_25segmented_radix_sort_implINS0_14default_configELb1EPK12hip_bfloat16PSL_PKlPlN2at6native12_GLOBAL__N_18offset_tEEE10hipError_tPvRmT1_PNSt15iterator_traitsISZ_E10value_typeET2_T3_PNS10_IS15_E10value_typeET4_jRbjT5_S1B_jjP12ihipStream_tbEUljE_EEESW_SX_SY_S15_S19_S1B_T6_T7_T9_mT8_S1D_bDpT10_ENKUlT_T0_E_clISt17integral_constantIbLb1EES1P_IbLb0EEEEDaS1L_S1M_EUlS1L_E_NS1_11comp_targetILNS1_3genE3ELNS1_11target_archE908ELNS1_3gpuE7ELNS1_3repE0EEENS1_30default_config_static_selectorELNS0_4arch9wavefront6targetE0EEEvSZ_.uses_vcc, 0
	.set _ZN7rocprim17ROCPRIM_400000_NS6detail17trampoline_kernelINS0_13select_configILj256ELj13ELNS0_17block_load_methodE3ELS4_3ELS4_3ELNS0_20block_scan_algorithmE0ELj4294967295EEENS1_25partition_config_selectorILNS1_17partition_subalgoE3EjNS0_10empty_typeEbEEZZNS1_14partition_implILS8_3ELb0ES6_jNS0_17counting_iteratorIjlEEPS9_SE_NS0_5tupleIJPjSE_EEENSF_IJSE_SE_EEES9_SG_JZNS1_25segmented_radix_sort_implINS0_14default_configELb1EPK12hip_bfloat16PSL_PKlPlN2at6native12_GLOBAL__N_18offset_tEEE10hipError_tPvRmT1_PNSt15iterator_traitsISZ_E10value_typeET2_T3_PNS10_IS15_E10value_typeET4_jRbjT5_S1B_jjP12ihipStream_tbEUljE_EEESW_SX_SY_S15_S19_S1B_T6_T7_T9_mT8_S1D_bDpT10_ENKUlT_T0_E_clISt17integral_constantIbLb1EES1P_IbLb0EEEEDaS1L_S1M_EUlS1L_E_NS1_11comp_targetILNS1_3genE3ELNS1_11target_archE908ELNS1_3gpuE7ELNS1_3repE0EEENS1_30default_config_static_selectorELNS0_4arch9wavefront6targetE0EEEvSZ_.uses_flat_scratch, 0
	.set _ZN7rocprim17ROCPRIM_400000_NS6detail17trampoline_kernelINS0_13select_configILj256ELj13ELNS0_17block_load_methodE3ELS4_3ELS4_3ELNS0_20block_scan_algorithmE0ELj4294967295EEENS1_25partition_config_selectorILNS1_17partition_subalgoE3EjNS0_10empty_typeEbEEZZNS1_14partition_implILS8_3ELb0ES6_jNS0_17counting_iteratorIjlEEPS9_SE_NS0_5tupleIJPjSE_EEENSF_IJSE_SE_EEES9_SG_JZNS1_25segmented_radix_sort_implINS0_14default_configELb1EPK12hip_bfloat16PSL_PKlPlN2at6native12_GLOBAL__N_18offset_tEEE10hipError_tPvRmT1_PNSt15iterator_traitsISZ_E10value_typeET2_T3_PNS10_IS15_E10value_typeET4_jRbjT5_S1B_jjP12ihipStream_tbEUljE_EEESW_SX_SY_S15_S19_S1B_T6_T7_T9_mT8_S1D_bDpT10_ENKUlT_T0_E_clISt17integral_constantIbLb1EES1P_IbLb0EEEEDaS1L_S1M_EUlS1L_E_NS1_11comp_targetILNS1_3genE3ELNS1_11target_archE908ELNS1_3gpuE7ELNS1_3repE0EEENS1_30default_config_static_selectorELNS0_4arch9wavefront6targetE0EEEvSZ_.has_dyn_sized_stack, 0
	.set _ZN7rocprim17ROCPRIM_400000_NS6detail17trampoline_kernelINS0_13select_configILj256ELj13ELNS0_17block_load_methodE3ELS4_3ELS4_3ELNS0_20block_scan_algorithmE0ELj4294967295EEENS1_25partition_config_selectorILNS1_17partition_subalgoE3EjNS0_10empty_typeEbEEZZNS1_14partition_implILS8_3ELb0ES6_jNS0_17counting_iteratorIjlEEPS9_SE_NS0_5tupleIJPjSE_EEENSF_IJSE_SE_EEES9_SG_JZNS1_25segmented_radix_sort_implINS0_14default_configELb1EPK12hip_bfloat16PSL_PKlPlN2at6native12_GLOBAL__N_18offset_tEEE10hipError_tPvRmT1_PNSt15iterator_traitsISZ_E10value_typeET2_T3_PNS10_IS15_E10value_typeET4_jRbjT5_S1B_jjP12ihipStream_tbEUljE_EEESW_SX_SY_S15_S19_S1B_T6_T7_T9_mT8_S1D_bDpT10_ENKUlT_T0_E_clISt17integral_constantIbLb1EES1P_IbLb0EEEEDaS1L_S1M_EUlS1L_E_NS1_11comp_targetILNS1_3genE3ELNS1_11target_archE908ELNS1_3gpuE7ELNS1_3repE0EEENS1_30default_config_static_selectorELNS0_4arch9wavefront6targetE0EEEvSZ_.has_recursion, 0
	.set _ZN7rocprim17ROCPRIM_400000_NS6detail17trampoline_kernelINS0_13select_configILj256ELj13ELNS0_17block_load_methodE3ELS4_3ELS4_3ELNS0_20block_scan_algorithmE0ELj4294967295EEENS1_25partition_config_selectorILNS1_17partition_subalgoE3EjNS0_10empty_typeEbEEZZNS1_14partition_implILS8_3ELb0ES6_jNS0_17counting_iteratorIjlEEPS9_SE_NS0_5tupleIJPjSE_EEENSF_IJSE_SE_EEES9_SG_JZNS1_25segmented_radix_sort_implINS0_14default_configELb1EPK12hip_bfloat16PSL_PKlPlN2at6native12_GLOBAL__N_18offset_tEEE10hipError_tPvRmT1_PNSt15iterator_traitsISZ_E10value_typeET2_T3_PNS10_IS15_E10value_typeET4_jRbjT5_S1B_jjP12ihipStream_tbEUljE_EEESW_SX_SY_S15_S19_S1B_T6_T7_T9_mT8_S1D_bDpT10_ENKUlT_T0_E_clISt17integral_constantIbLb1EES1P_IbLb0EEEEDaS1L_S1M_EUlS1L_E_NS1_11comp_targetILNS1_3genE3ELNS1_11target_archE908ELNS1_3gpuE7ELNS1_3repE0EEENS1_30default_config_static_selectorELNS0_4arch9wavefront6targetE0EEEvSZ_.has_indirect_call, 0
	.section	.AMDGPU.csdata,"",@progbits
; Kernel info:
; codeLenInByte = 0
; TotalNumSgprs: 0
; NumVgprs: 0
; ScratchSize: 0
; MemoryBound: 0
; FloatMode: 240
; IeeeMode: 1
; LDSByteSize: 0 bytes/workgroup (compile time only)
; SGPRBlocks: 0
; VGPRBlocks: 0
; NumSGPRsForWavesPerEU: 1
; NumVGPRsForWavesPerEU: 1
; NamedBarCnt: 0
; Occupancy: 16
; WaveLimiterHint : 0
; COMPUTE_PGM_RSRC2:SCRATCH_EN: 0
; COMPUTE_PGM_RSRC2:USER_SGPR: 2
; COMPUTE_PGM_RSRC2:TRAP_HANDLER: 0
; COMPUTE_PGM_RSRC2:TGID_X_EN: 1
; COMPUTE_PGM_RSRC2:TGID_Y_EN: 0
; COMPUTE_PGM_RSRC2:TGID_Z_EN: 0
; COMPUTE_PGM_RSRC2:TIDIG_COMP_CNT: 0
	.section	.text._ZN7rocprim17ROCPRIM_400000_NS6detail17trampoline_kernelINS0_13select_configILj256ELj13ELNS0_17block_load_methodE3ELS4_3ELS4_3ELNS0_20block_scan_algorithmE0ELj4294967295EEENS1_25partition_config_selectorILNS1_17partition_subalgoE3EjNS0_10empty_typeEbEEZZNS1_14partition_implILS8_3ELb0ES6_jNS0_17counting_iteratorIjlEEPS9_SE_NS0_5tupleIJPjSE_EEENSF_IJSE_SE_EEES9_SG_JZNS1_25segmented_radix_sort_implINS0_14default_configELb1EPK12hip_bfloat16PSL_PKlPlN2at6native12_GLOBAL__N_18offset_tEEE10hipError_tPvRmT1_PNSt15iterator_traitsISZ_E10value_typeET2_T3_PNS10_IS15_E10value_typeET4_jRbjT5_S1B_jjP12ihipStream_tbEUljE_EEESW_SX_SY_S15_S19_S1B_T6_T7_T9_mT8_S1D_bDpT10_ENKUlT_T0_E_clISt17integral_constantIbLb1EES1P_IbLb0EEEEDaS1L_S1M_EUlS1L_E_NS1_11comp_targetILNS1_3genE2ELNS1_11target_archE906ELNS1_3gpuE6ELNS1_3repE0EEENS1_30default_config_static_selectorELNS0_4arch9wavefront6targetE0EEEvSZ_,"axG",@progbits,_ZN7rocprim17ROCPRIM_400000_NS6detail17trampoline_kernelINS0_13select_configILj256ELj13ELNS0_17block_load_methodE3ELS4_3ELS4_3ELNS0_20block_scan_algorithmE0ELj4294967295EEENS1_25partition_config_selectorILNS1_17partition_subalgoE3EjNS0_10empty_typeEbEEZZNS1_14partition_implILS8_3ELb0ES6_jNS0_17counting_iteratorIjlEEPS9_SE_NS0_5tupleIJPjSE_EEENSF_IJSE_SE_EEES9_SG_JZNS1_25segmented_radix_sort_implINS0_14default_configELb1EPK12hip_bfloat16PSL_PKlPlN2at6native12_GLOBAL__N_18offset_tEEE10hipError_tPvRmT1_PNSt15iterator_traitsISZ_E10value_typeET2_T3_PNS10_IS15_E10value_typeET4_jRbjT5_S1B_jjP12ihipStream_tbEUljE_EEESW_SX_SY_S15_S19_S1B_T6_T7_T9_mT8_S1D_bDpT10_ENKUlT_T0_E_clISt17integral_constantIbLb1EES1P_IbLb0EEEEDaS1L_S1M_EUlS1L_E_NS1_11comp_targetILNS1_3genE2ELNS1_11target_archE906ELNS1_3gpuE6ELNS1_3repE0EEENS1_30default_config_static_selectorELNS0_4arch9wavefront6targetE0EEEvSZ_,comdat
	.globl	_ZN7rocprim17ROCPRIM_400000_NS6detail17trampoline_kernelINS0_13select_configILj256ELj13ELNS0_17block_load_methodE3ELS4_3ELS4_3ELNS0_20block_scan_algorithmE0ELj4294967295EEENS1_25partition_config_selectorILNS1_17partition_subalgoE3EjNS0_10empty_typeEbEEZZNS1_14partition_implILS8_3ELb0ES6_jNS0_17counting_iteratorIjlEEPS9_SE_NS0_5tupleIJPjSE_EEENSF_IJSE_SE_EEES9_SG_JZNS1_25segmented_radix_sort_implINS0_14default_configELb1EPK12hip_bfloat16PSL_PKlPlN2at6native12_GLOBAL__N_18offset_tEEE10hipError_tPvRmT1_PNSt15iterator_traitsISZ_E10value_typeET2_T3_PNS10_IS15_E10value_typeET4_jRbjT5_S1B_jjP12ihipStream_tbEUljE_EEESW_SX_SY_S15_S19_S1B_T6_T7_T9_mT8_S1D_bDpT10_ENKUlT_T0_E_clISt17integral_constantIbLb1EES1P_IbLb0EEEEDaS1L_S1M_EUlS1L_E_NS1_11comp_targetILNS1_3genE2ELNS1_11target_archE906ELNS1_3gpuE6ELNS1_3repE0EEENS1_30default_config_static_selectorELNS0_4arch9wavefront6targetE0EEEvSZ_ ; -- Begin function _ZN7rocprim17ROCPRIM_400000_NS6detail17trampoline_kernelINS0_13select_configILj256ELj13ELNS0_17block_load_methodE3ELS4_3ELS4_3ELNS0_20block_scan_algorithmE0ELj4294967295EEENS1_25partition_config_selectorILNS1_17partition_subalgoE3EjNS0_10empty_typeEbEEZZNS1_14partition_implILS8_3ELb0ES6_jNS0_17counting_iteratorIjlEEPS9_SE_NS0_5tupleIJPjSE_EEENSF_IJSE_SE_EEES9_SG_JZNS1_25segmented_radix_sort_implINS0_14default_configELb1EPK12hip_bfloat16PSL_PKlPlN2at6native12_GLOBAL__N_18offset_tEEE10hipError_tPvRmT1_PNSt15iterator_traitsISZ_E10value_typeET2_T3_PNS10_IS15_E10value_typeET4_jRbjT5_S1B_jjP12ihipStream_tbEUljE_EEESW_SX_SY_S15_S19_S1B_T6_T7_T9_mT8_S1D_bDpT10_ENKUlT_T0_E_clISt17integral_constantIbLb1EES1P_IbLb0EEEEDaS1L_S1M_EUlS1L_E_NS1_11comp_targetILNS1_3genE2ELNS1_11target_archE906ELNS1_3gpuE6ELNS1_3repE0EEENS1_30default_config_static_selectorELNS0_4arch9wavefront6targetE0EEEvSZ_
	.p2align	8
	.type	_ZN7rocprim17ROCPRIM_400000_NS6detail17trampoline_kernelINS0_13select_configILj256ELj13ELNS0_17block_load_methodE3ELS4_3ELS4_3ELNS0_20block_scan_algorithmE0ELj4294967295EEENS1_25partition_config_selectorILNS1_17partition_subalgoE3EjNS0_10empty_typeEbEEZZNS1_14partition_implILS8_3ELb0ES6_jNS0_17counting_iteratorIjlEEPS9_SE_NS0_5tupleIJPjSE_EEENSF_IJSE_SE_EEES9_SG_JZNS1_25segmented_radix_sort_implINS0_14default_configELb1EPK12hip_bfloat16PSL_PKlPlN2at6native12_GLOBAL__N_18offset_tEEE10hipError_tPvRmT1_PNSt15iterator_traitsISZ_E10value_typeET2_T3_PNS10_IS15_E10value_typeET4_jRbjT5_S1B_jjP12ihipStream_tbEUljE_EEESW_SX_SY_S15_S19_S1B_T6_T7_T9_mT8_S1D_bDpT10_ENKUlT_T0_E_clISt17integral_constantIbLb1EES1P_IbLb0EEEEDaS1L_S1M_EUlS1L_E_NS1_11comp_targetILNS1_3genE2ELNS1_11target_archE906ELNS1_3gpuE6ELNS1_3repE0EEENS1_30default_config_static_selectorELNS0_4arch9wavefront6targetE0EEEvSZ_,@function
_ZN7rocprim17ROCPRIM_400000_NS6detail17trampoline_kernelINS0_13select_configILj256ELj13ELNS0_17block_load_methodE3ELS4_3ELS4_3ELNS0_20block_scan_algorithmE0ELj4294967295EEENS1_25partition_config_selectorILNS1_17partition_subalgoE3EjNS0_10empty_typeEbEEZZNS1_14partition_implILS8_3ELb0ES6_jNS0_17counting_iteratorIjlEEPS9_SE_NS0_5tupleIJPjSE_EEENSF_IJSE_SE_EEES9_SG_JZNS1_25segmented_radix_sort_implINS0_14default_configELb1EPK12hip_bfloat16PSL_PKlPlN2at6native12_GLOBAL__N_18offset_tEEE10hipError_tPvRmT1_PNSt15iterator_traitsISZ_E10value_typeET2_T3_PNS10_IS15_E10value_typeET4_jRbjT5_S1B_jjP12ihipStream_tbEUljE_EEESW_SX_SY_S15_S19_S1B_T6_T7_T9_mT8_S1D_bDpT10_ENKUlT_T0_E_clISt17integral_constantIbLb1EES1P_IbLb0EEEEDaS1L_S1M_EUlS1L_E_NS1_11comp_targetILNS1_3genE2ELNS1_11target_archE906ELNS1_3gpuE6ELNS1_3repE0EEENS1_30default_config_static_selectorELNS0_4arch9wavefront6targetE0EEEvSZ_: ; @_ZN7rocprim17ROCPRIM_400000_NS6detail17trampoline_kernelINS0_13select_configILj256ELj13ELNS0_17block_load_methodE3ELS4_3ELS4_3ELNS0_20block_scan_algorithmE0ELj4294967295EEENS1_25partition_config_selectorILNS1_17partition_subalgoE3EjNS0_10empty_typeEbEEZZNS1_14partition_implILS8_3ELb0ES6_jNS0_17counting_iteratorIjlEEPS9_SE_NS0_5tupleIJPjSE_EEENSF_IJSE_SE_EEES9_SG_JZNS1_25segmented_radix_sort_implINS0_14default_configELb1EPK12hip_bfloat16PSL_PKlPlN2at6native12_GLOBAL__N_18offset_tEEE10hipError_tPvRmT1_PNSt15iterator_traitsISZ_E10value_typeET2_T3_PNS10_IS15_E10value_typeET4_jRbjT5_S1B_jjP12ihipStream_tbEUljE_EEESW_SX_SY_S15_S19_S1B_T6_T7_T9_mT8_S1D_bDpT10_ENKUlT_T0_E_clISt17integral_constantIbLb1EES1P_IbLb0EEEEDaS1L_S1M_EUlS1L_E_NS1_11comp_targetILNS1_3genE2ELNS1_11target_archE906ELNS1_3gpuE6ELNS1_3repE0EEENS1_30default_config_static_selectorELNS0_4arch9wavefront6targetE0EEEvSZ_
; %bb.0:
	.section	.rodata,"a",@progbits
	.p2align	6, 0x0
	.amdhsa_kernel _ZN7rocprim17ROCPRIM_400000_NS6detail17trampoline_kernelINS0_13select_configILj256ELj13ELNS0_17block_load_methodE3ELS4_3ELS4_3ELNS0_20block_scan_algorithmE0ELj4294967295EEENS1_25partition_config_selectorILNS1_17partition_subalgoE3EjNS0_10empty_typeEbEEZZNS1_14partition_implILS8_3ELb0ES6_jNS0_17counting_iteratorIjlEEPS9_SE_NS0_5tupleIJPjSE_EEENSF_IJSE_SE_EEES9_SG_JZNS1_25segmented_radix_sort_implINS0_14default_configELb1EPK12hip_bfloat16PSL_PKlPlN2at6native12_GLOBAL__N_18offset_tEEE10hipError_tPvRmT1_PNSt15iterator_traitsISZ_E10value_typeET2_T3_PNS10_IS15_E10value_typeET4_jRbjT5_S1B_jjP12ihipStream_tbEUljE_EEESW_SX_SY_S15_S19_S1B_T6_T7_T9_mT8_S1D_bDpT10_ENKUlT_T0_E_clISt17integral_constantIbLb1EES1P_IbLb0EEEEDaS1L_S1M_EUlS1L_E_NS1_11comp_targetILNS1_3genE2ELNS1_11target_archE906ELNS1_3gpuE6ELNS1_3repE0EEENS1_30default_config_static_selectorELNS0_4arch9wavefront6targetE0EEEvSZ_
		.amdhsa_group_segment_fixed_size 0
		.amdhsa_private_segment_fixed_size 0
		.amdhsa_kernarg_size 144
		.amdhsa_user_sgpr_count 2
		.amdhsa_user_sgpr_dispatch_ptr 0
		.amdhsa_user_sgpr_queue_ptr 0
		.amdhsa_user_sgpr_kernarg_segment_ptr 1
		.amdhsa_user_sgpr_dispatch_id 0
		.amdhsa_user_sgpr_kernarg_preload_length 0
		.amdhsa_user_sgpr_kernarg_preload_offset 0
		.amdhsa_user_sgpr_private_segment_size 0
		.amdhsa_wavefront_size32 1
		.amdhsa_uses_dynamic_stack 0
		.amdhsa_enable_private_segment 0
		.amdhsa_system_sgpr_workgroup_id_x 1
		.amdhsa_system_sgpr_workgroup_id_y 0
		.amdhsa_system_sgpr_workgroup_id_z 0
		.amdhsa_system_sgpr_workgroup_info 0
		.amdhsa_system_vgpr_workitem_id 0
		.amdhsa_next_free_vgpr 1
		.amdhsa_next_free_sgpr 1
		.amdhsa_named_barrier_count 0
		.amdhsa_reserve_vcc 0
		.amdhsa_float_round_mode_32 0
		.amdhsa_float_round_mode_16_64 0
		.amdhsa_float_denorm_mode_32 3
		.amdhsa_float_denorm_mode_16_64 3
		.amdhsa_fp16_overflow 0
		.amdhsa_memory_ordered 1
		.amdhsa_forward_progress 1
		.amdhsa_inst_pref_size 0
		.amdhsa_round_robin_scheduling 0
		.amdhsa_exception_fp_ieee_invalid_op 0
		.amdhsa_exception_fp_denorm_src 0
		.amdhsa_exception_fp_ieee_div_zero 0
		.amdhsa_exception_fp_ieee_overflow 0
		.amdhsa_exception_fp_ieee_underflow 0
		.amdhsa_exception_fp_ieee_inexact 0
		.amdhsa_exception_int_div_zero 0
	.end_amdhsa_kernel
	.section	.text._ZN7rocprim17ROCPRIM_400000_NS6detail17trampoline_kernelINS0_13select_configILj256ELj13ELNS0_17block_load_methodE3ELS4_3ELS4_3ELNS0_20block_scan_algorithmE0ELj4294967295EEENS1_25partition_config_selectorILNS1_17partition_subalgoE3EjNS0_10empty_typeEbEEZZNS1_14partition_implILS8_3ELb0ES6_jNS0_17counting_iteratorIjlEEPS9_SE_NS0_5tupleIJPjSE_EEENSF_IJSE_SE_EEES9_SG_JZNS1_25segmented_radix_sort_implINS0_14default_configELb1EPK12hip_bfloat16PSL_PKlPlN2at6native12_GLOBAL__N_18offset_tEEE10hipError_tPvRmT1_PNSt15iterator_traitsISZ_E10value_typeET2_T3_PNS10_IS15_E10value_typeET4_jRbjT5_S1B_jjP12ihipStream_tbEUljE_EEESW_SX_SY_S15_S19_S1B_T6_T7_T9_mT8_S1D_bDpT10_ENKUlT_T0_E_clISt17integral_constantIbLb1EES1P_IbLb0EEEEDaS1L_S1M_EUlS1L_E_NS1_11comp_targetILNS1_3genE2ELNS1_11target_archE906ELNS1_3gpuE6ELNS1_3repE0EEENS1_30default_config_static_selectorELNS0_4arch9wavefront6targetE0EEEvSZ_,"axG",@progbits,_ZN7rocprim17ROCPRIM_400000_NS6detail17trampoline_kernelINS0_13select_configILj256ELj13ELNS0_17block_load_methodE3ELS4_3ELS4_3ELNS0_20block_scan_algorithmE0ELj4294967295EEENS1_25partition_config_selectorILNS1_17partition_subalgoE3EjNS0_10empty_typeEbEEZZNS1_14partition_implILS8_3ELb0ES6_jNS0_17counting_iteratorIjlEEPS9_SE_NS0_5tupleIJPjSE_EEENSF_IJSE_SE_EEES9_SG_JZNS1_25segmented_radix_sort_implINS0_14default_configELb1EPK12hip_bfloat16PSL_PKlPlN2at6native12_GLOBAL__N_18offset_tEEE10hipError_tPvRmT1_PNSt15iterator_traitsISZ_E10value_typeET2_T3_PNS10_IS15_E10value_typeET4_jRbjT5_S1B_jjP12ihipStream_tbEUljE_EEESW_SX_SY_S15_S19_S1B_T6_T7_T9_mT8_S1D_bDpT10_ENKUlT_T0_E_clISt17integral_constantIbLb1EES1P_IbLb0EEEEDaS1L_S1M_EUlS1L_E_NS1_11comp_targetILNS1_3genE2ELNS1_11target_archE906ELNS1_3gpuE6ELNS1_3repE0EEENS1_30default_config_static_selectorELNS0_4arch9wavefront6targetE0EEEvSZ_,comdat
.Lfunc_end1924:
	.size	_ZN7rocprim17ROCPRIM_400000_NS6detail17trampoline_kernelINS0_13select_configILj256ELj13ELNS0_17block_load_methodE3ELS4_3ELS4_3ELNS0_20block_scan_algorithmE0ELj4294967295EEENS1_25partition_config_selectorILNS1_17partition_subalgoE3EjNS0_10empty_typeEbEEZZNS1_14partition_implILS8_3ELb0ES6_jNS0_17counting_iteratorIjlEEPS9_SE_NS0_5tupleIJPjSE_EEENSF_IJSE_SE_EEES9_SG_JZNS1_25segmented_radix_sort_implINS0_14default_configELb1EPK12hip_bfloat16PSL_PKlPlN2at6native12_GLOBAL__N_18offset_tEEE10hipError_tPvRmT1_PNSt15iterator_traitsISZ_E10value_typeET2_T3_PNS10_IS15_E10value_typeET4_jRbjT5_S1B_jjP12ihipStream_tbEUljE_EEESW_SX_SY_S15_S19_S1B_T6_T7_T9_mT8_S1D_bDpT10_ENKUlT_T0_E_clISt17integral_constantIbLb1EES1P_IbLb0EEEEDaS1L_S1M_EUlS1L_E_NS1_11comp_targetILNS1_3genE2ELNS1_11target_archE906ELNS1_3gpuE6ELNS1_3repE0EEENS1_30default_config_static_selectorELNS0_4arch9wavefront6targetE0EEEvSZ_, .Lfunc_end1924-_ZN7rocprim17ROCPRIM_400000_NS6detail17trampoline_kernelINS0_13select_configILj256ELj13ELNS0_17block_load_methodE3ELS4_3ELS4_3ELNS0_20block_scan_algorithmE0ELj4294967295EEENS1_25partition_config_selectorILNS1_17partition_subalgoE3EjNS0_10empty_typeEbEEZZNS1_14partition_implILS8_3ELb0ES6_jNS0_17counting_iteratorIjlEEPS9_SE_NS0_5tupleIJPjSE_EEENSF_IJSE_SE_EEES9_SG_JZNS1_25segmented_radix_sort_implINS0_14default_configELb1EPK12hip_bfloat16PSL_PKlPlN2at6native12_GLOBAL__N_18offset_tEEE10hipError_tPvRmT1_PNSt15iterator_traitsISZ_E10value_typeET2_T3_PNS10_IS15_E10value_typeET4_jRbjT5_S1B_jjP12ihipStream_tbEUljE_EEESW_SX_SY_S15_S19_S1B_T6_T7_T9_mT8_S1D_bDpT10_ENKUlT_T0_E_clISt17integral_constantIbLb1EES1P_IbLb0EEEEDaS1L_S1M_EUlS1L_E_NS1_11comp_targetILNS1_3genE2ELNS1_11target_archE906ELNS1_3gpuE6ELNS1_3repE0EEENS1_30default_config_static_selectorELNS0_4arch9wavefront6targetE0EEEvSZ_
                                        ; -- End function
	.set _ZN7rocprim17ROCPRIM_400000_NS6detail17trampoline_kernelINS0_13select_configILj256ELj13ELNS0_17block_load_methodE3ELS4_3ELS4_3ELNS0_20block_scan_algorithmE0ELj4294967295EEENS1_25partition_config_selectorILNS1_17partition_subalgoE3EjNS0_10empty_typeEbEEZZNS1_14partition_implILS8_3ELb0ES6_jNS0_17counting_iteratorIjlEEPS9_SE_NS0_5tupleIJPjSE_EEENSF_IJSE_SE_EEES9_SG_JZNS1_25segmented_radix_sort_implINS0_14default_configELb1EPK12hip_bfloat16PSL_PKlPlN2at6native12_GLOBAL__N_18offset_tEEE10hipError_tPvRmT1_PNSt15iterator_traitsISZ_E10value_typeET2_T3_PNS10_IS15_E10value_typeET4_jRbjT5_S1B_jjP12ihipStream_tbEUljE_EEESW_SX_SY_S15_S19_S1B_T6_T7_T9_mT8_S1D_bDpT10_ENKUlT_T0_E_clISt17integral_constantIbLb1EES1P_IbLb0EEEEDaS1L_S1M_EUlS1L_E_NS1_11comp_targetILNS1_3genE2ELNS1_11target_archE906ELNS1_3gpuE6ELNS1_3repE0EEENS1_30default_config_static_selectorELNS0_4arch9wavefront6targetE0EEEvSZ_.num_vgpr, 0
	.set _ZN7rocprim17ROCPRIM_400000_NS6detail17trampoline_kernelINS0_13select_configILj256ELj13ELNS0_17block_load_methodE3ELS4_3ELS4_3ELNS0_20block_scan_algorithmE0ELj4294967295EEENS1_25partition_config_selectorILNS1_17partition_subalgoE3EjNS0_10empty_typeEbEEZZNS1_14partition_implILS8_3ELb0ES6_jNS0_17counting_iteratorIjlEEPS9_SE_NS0_5tupleIJPjSE_EEENSF_IJSE_SE_EEES9_SG_JZNS1_25segmented_radix_sort_implINS0_14default_configELb1EPK12hip_bfloat16PSL_PKlPlN2at6native12_GLOBAL__N_18offset_tEEE10hipError_tPvRmT1_PNSt15iterator_traitsISZ_E10value_typeET2_T3_PNS10_IS15_E10value_typeET4_jRbjT5_S1B_jjP12ihipStream_tbEUljE_EEESW_SX_SY_S15_S19_S1B_T6_T7_T9_mT8_S1D_bDpT10_ENKUlT_T0_E_clISt17integral_constantIbLb1EES1P_IbLb0EEEEDaS1L_S1M_EUlS1L_E_NS1_11comp_targetILNS1_3genE2ELNS1_11target_archE906ELNS1_3gpuE6ELNS1_3repE0EEENS1_30default_config_static_selectorELNS0_4arch9wavefront6targetE0EEEvSZ_.num_agpr, 0
	.set _ZN7rocprim17ROCPRIM_400000_NS6detail17trampoline_kernelINS0_13select_configILj256ELj13ELNS0_17block_load_methodE3ELS4_3ELS4_3ELNS0_20block_scan_algorithmE0ELj4294967295EEENS1_25partition_config_selectorILNS1_17partition_subalgoE3EjNS0_10empty_typeEbEEZZNS1_14partition_implILS8_3ELb0ES6_jNS0_17counting_iteratorIjlEEPS9_SE_NS0_5tupleIJPjSE_EEENSF_IJSE_SE_EEES9_SG_JZNS1_25segmented_radix_sort_implINS0_14default_configELb1EPK12hip_bfloat16PSL_PKlPlN2at6native12_GLOBAL__N_18offset_tEEE10hipError_tPvRmT1_PNSt15iterator_traitsISZ_E10value_typeET2_T3_PNS10_IS15_E10value_typeET4_jRbjT5_S1B_jjP12ihipStream_tbEUljE_EEESW_SX_SY_S15_S19_S1B_T6_T7_T9_mT8_S1D_bDpT10_ENKUlT_T0_E_clISt17integral_constantIbLb1EES1P_IbLb0EEEEDaS1L_S1M_EUlS1L_E_NS1_11comp_targetILNS1_3genE2ELNS1_11target_archE906ELNS1_3gpuE6ELNS1_3repE0EEENS1_30default_config_static_selectorELNS0_4arch9wavefront6targetE0EEEvSZ_.numbered_sgpr, 0
	.set _ZN7rocprim17ROCPRIM_400000_NS6detail17trampoline_kernelINS0_13select_configILj256ELj13ELNS0_17block_load_methodE3ELS4_3ELS4_3ELNS0_20block_scan_algorithmE0ELj4294967295EEENS1_25partition_config_selectorILNS1_17partition_subalgoE3EjNS0_10empty_typeEbEEZZNS1_14partition_implILS8_3ELb0ES6_jNS0_17counting_iteratorIjlEEPS9_SE_NS0_5tupleIJPjSE_EEENSF_IJSE_SE_EEES9_SG_JZNS1_25segmented_radix_sort_implINS0_14default_configELb1EPK12hip_bfloat16PSL_PKlPlN2at6native12_GLOBAL__N_18offset_tEEE10hipError_tPvRmT1_PNSt15iterator_traitsISZ_E10value_typeET2_T3_PNS10_IS15_E10value_typeET4_jRbjT5_S1B_jjP12ihipStream_tbEUljE_EEESW_SX_SY_S15_S19_S1B_T6_T7_T9_mT8_S1D_bDpT10_ENKUlT_T0_E_clISt17integral_constantIbLb1EES1P_IbLb0EEEEDaS1L_S1M_EUlS1L_E_NS1_11comp_targetILNS1_3genE2ELNS1_11target_archE906ELNS1_3gpuE6ELNS1_3repE0EEENS1_30default_config_static_selectorELNS0_4arch9wavefront6targetE0EEEvSZ_.num_named_barrier, 0
	.set _ZN7rocprim17ROCPRIM_400000_NS6detail17trampoline_kernelINS0_13select_configILj256ELj13ELNS0_17block_load_methodE3ELS4_3ELS4_3ELNS0_20block_scan_algorithmE0ELj4294967295EEENS1_25partition_config_selectorILNS1_17partition_subalgoE3EjNS0_10empty_typeEbEEZZNS1_14partition_implILS8_3ELb0ES6_jNS0_17counting_iteratorIjlEEPS9_SE_NS0_5tupleIJPjSE_EEENSF_IJSE_SE_EEES9_SG_JZNS1_25segmented_radix_sort_implINS0_14default_configELb1EPK12hip_bfloat16PSL_PKlPlN2at6native12_GLOBAL__N_18offset_tEEE10hipError_tPvRmT1_PNSt15iterator_traitsISZ_E10value_typeET2_T3_PNS10_IS15_E10value_typeET4_jRbjT5_S1B_jjP12ihipStream_tbEUljE_EEESW_SX_SY_S15_S19_S1B_T6_T7_T9_mT8_S1D_bDpT10_ENKUlT_T0_E_clISt17integral_constantIbLb1EES1P_IbLb0EEEEDaS1L_S1M_EUlS1L_E_NS1_11comp_targetILNS1_3genE2ELNS1_11target_archE906ELNS1_3gpuE6ELNS1_3repE0EEENS1_30default_config_static_selectorELNS0_4arch9wavefront6targetE0EEEvSZ_.private_seg_size, 0
	.set _ZN7rocprim17ROCPRIM_400000_NS6detail17trampoline_kernelINS0_13select_configILj256ELj13ELNS0_17block_load_methodE3ELS4_3ELS4_3ELNS0_20block_scan_algorithmE0ELj4294967295EEENS1_25partition_config_selectorILNS1_17partition_subalgoE3EjNS0_10empty_typeEbEEZZNS1_14partition_implILS8_3ELb0ES6_jNS0_17counting_iteratorIjlEEPS9_SE_NS0_5tupleIJPjSE_EEENSF_IJSE_SE_EEES9_SG_JZNS1_25segmented_radix_sort_implINS0_14default_configELb1EPK12hip_bfloat16PSL_PKlPlN2at6native12_GLOBAL__N_18offset_tEEE10hipError_tPvRmT1_PNSt15iterator_traitsISZ_E10value_typeET2_T3_PNS10_IS15_E10value_typeET4_jRbjT5_S1B_jjP12ihipStream_tbEUljE_EEESW_SX_SY_S15_S19_S1B_T6_T7_T9_mT8_S1D_bDpT10_ENKUlT_T0_E_clISt17integral_constantIbLb1EES1P_IbLb0EEEEDaS1L_S1M_EUlS1L_E_NS1_11comp_targetILNS1_3genE2ELNS1_11target_archE906ELNS1_3gpuE6ELNS1_3repE0EEENS1_30default_config_static_selectorELNS0_4arch9wavefront6targetE0EEEvSZ_.uses_vcc, 0
	.set _ZN7rocprim17ROCPRIM_400000_NS6detail17trampoline_kernelINS0_13select_configILj256ELj13ELNS0_17block_load_methodE3ELS4_3ELS4_3ELNS0_20block_scan_algorithmE0ELj4294967295EEENS1_25partition_config_selectorILNS1_17partition_subalgoE3EjNS0_10empty_typeEbEEZZNS1_14partition_implILS8_3ELb0ES6_jNS0_17counting_iteratorIjlEEPS9_SE_NS0_5tupleIJPjSE_EEENSF_IJSE_SE_EEES9_SG_JZNS1_25segmented_radix_sort_implINS0_14default_configELb1EPK12hip_bfloat16PSL_PKlPlN2at6native12_GLOBAL__N_18offset_tEEE10hipError_tPvRmT1_PNSt15iterator_traitsISZ_E10value_typeET2_T3_PNS10_IS15_E10value_typeET4_jRbjT5_S1B_jjP12ihipStream_tbEUljE_EEESW_SX_SY_S15_S19_S1B_T6_T7_T9_mT8_S1D_bDpT10_ENKUlT_T0_E_clISt17integral_constantIbLb1EES1P_IbLb0EEEEDaS1L_S1M_EUlS1L_E_NS1_11comp_targetILNS1_3genE2ELNS1_11target_archE906ELNS1_3gpuE6ELNS1_3repE0EEENS1_30default_config_static_selectorELNS0_4arch9wavefront6targetE0EEEvSZ_.uses_flat_scratch, 0
	.set _ZN7rocprim17ROCPRIM_400000_NS6detail17trampoline_kernelINS0_13select_configILj256ELj13ELNS0_17block_load_methodE3ELS4_3ELS4_3ELNS0_20block_scan_algorithmE0ELj4294967295EEENS1_25partition_config_selectorILNS1_17partition_subalgoE3EjNS0_10empty_typeEbEEZZNS1_14partition_implILS8_3ELb0ES6_jNS0_17counting_iteratorIjlEEPS9_SE_NS0_5tupleIJPjSE_EEENSF_IJSE_SE_EEES9_SG_JZNS1_25segmented_radix_sort_implINS0_14default_configELb1EPK12hip_bfloat16PSL_PKlPlN2at6native12_GLOBAL__N_18offset_tEEE10hipError_tPvRmT1_PNSt15iterator_traitsISZ_E10value_typeET2_T3_PNS10_IS15_E10value_typeET4_jRbjT5_S1B_jjP12ihipStream_tbEUljE_EEESW_SX_SY_S15_S19_S1B_T6_T7_T9_mT8_S1D_bDpT10_ENKUlT_T0_E_clISt17integral_constantIbLb1EES1P_IbLb0EEEEDaS1L_S1M_EUlS1L_E_NS1_11comp_targetILNS1_3genE2ELNS1_11target_archE906ELNS1_3gpuE6ELNS1_3repE0EEENS1_30default_config_static_selectorELNS0_4arch9wavefront6targetE0EEEvSZ_.has_dyn_sized_stack, 0
	.set _ZN7rocprim17ROCPRIM_400000_NS6detail17trampoline_kernelINS0_13select_configILj256ELj13ELNS0_17block_load_methodE3ELS4_3ELS4_3ELNS0_20block_scan_algorithmE0ELj4294967295EEENS1_25partition_config_selectorILNS1_17partition_subalgoE3EjNS0_10empty_typeEbEEZZNS1_14partition_implILS8_3ELb0ES6_jNS0_17counting_iteratorIjlEEPS9_SE_NS0_5tupleIJPjSE_EEENSF_IJSE_SE_EEES9_SG_JZNS1_25segmented_radix_sort_implINS0_14default_configELb1EPK12hip_bfloat16PSL_PKlPlN2at6native12_GLOBAL__N_18offset_tEEE10hipError_tPvRmT1_PNSt15iterator_traitsISZ_E10value_typeET2_T3_PNS10_IS15_E10value_typeET4_jRbjT5_S1B_jjP12ihipStream_tbEUljE_EEESW_SX_SY_S15_S19_S1B_T6_T7_T9_mT8_S1D_bDpT10_ENKUlT_T0_E_clISt17integral_constantIbLb1EES1P_IbLb0EEEEDaS1L_S1M_EUlS1L_E_NS1_11comp_targetILNS1_3genE2ELNS1_11target_archE906ELNS1_3gpuE6ELNS1_3repE0EEENS1_30default_config_static_selectorELNS0_4arch9wavefront6targetE0EEEvSZ_.has_recursion, 0
	.set _ZN7rocprim17ROCPRIM_400000_NS6detail17trampoline_kernelINS0_13select_configILj256ELj13ELNS0_17block_load_methodE3ELS4_3ELS4_3ELNS0_20block_scan_algorithmE0ELj4294967295EEENS1_25partition_config_selectorILNS1_17partition_subalgoE3EjNS0_10empty_typeEbEEZZNS1_14partition_implILS8_3ELb0ES6_jNS0_17counting_iteratorIjlEEPS9_SE_NS0_5tupleIJPjSE_EEENSF_IJSE_SE_EEES9_SG_JZNS1_25segmented_radix_sort_implINS0_14default_configELb1EPK12hip_bfloat16PSL_PKlPlN2at6native12_GLOBAL__N_18offset_tEEE10hipError_tPvRmT1_PNSt15iterator_traitsISZ_E10value_typeET2_T3_PNS10_IS15_E10value_typeET4_jRbjT5_S1B_jjP12ihipStream_tbEUljE_EEESW_SX_SY_S15_S19_S1B_T6_T7_T9_mT8_S1D_bDpT10_ENKUlT_T0_E_clISt17integral_constantIbLb1EES1P_IbLb0EEEEDaS1L_S1M_EUlS1L_E_NS1_11comp_targetILNS1_3genE2ELNS1_11target_archE906ELNS1_3gpuE6ELNS1_3repE0EEENS1_30default_config_static_selectorELNS0_4arch9wavefront6targetE0EEEvSZ_.has_indirect_call, 0
	.section	.AMDGPU.csdata,"",@progbits
; Kernel info:
; codeLenInByte = 0
; TotalNumSgprs: 0
; NumVgprs: 0
; ScratchSize: 0
; MemoryBound: 0
; FloatMode: 240
; IeeeMode: 1
; LDSByteSize: 0 bytes/workgroup (compile time only)
; SGPRBlocks: 0
; VGPRBlocks: 0
; NumSGPRsForWavesPerEU: 1
; NumVGPRsForWavesPerEU: 1
; NamedBarCnt: 0
; Occupancy: 16
; WaveLimiterHint : 0
; COMPUTE_PGM_RSRC2:SCRATCH_EN: 0
; COMPUTE_PGM_RSRC2:USER_SGPR: 2
; COMPUTE_PGM_RSRC2:TRAP_HANDLER: 0
; COMPUTE_PGM_RSRC2:TGID_X_EN: 1
; COMPUTE_PGM_RSRC2:TGID_Y_EN: 0
; COMPUTE_PGM_RSRC2:TGID_Z_EN: 0
; COMPUTE_PGM_RSRC2:TIDIG_COMP_CNT: 0
	.section	.text._ZN7rocprim17ROCPRIM_400000_NS6detail17trampoline_kernelINS0_13select_configILj256ELj13ELNS0_17block_load_methodE3ELS4_3ELS4_3ELNS0_20block_scan_algorithmE0ELj4294967295EEENS1_25partition_config_selectorILNS1_17partition_subalgoE3EjNS0_10empty_typeEbEEZZNS1_14partition_implILS8_3ELb0ES6_jNS0_17counting_iteratorIjlEEPS9_SE_NS0_5tupleIJPjSE_EEENSF_IJSE_SE_EEES9_SG_JZNS1_25segmented_radix_sort_implINS0_14default_configELb1EPK12hip_bfloat16PSL_PKlPlN2at6native12_GLOBAL__N_18offset_tEEE10hipError_tPvRmT1_PNSt15iterator_traitsISZ_E10value_typeET2_T3_PNS10_IS15_E10value_typeET4_jRbjT5_S1B_jjP12ihipStream_tbEUljE_EEESW_SX_SY_S15_S19_S1B_T6_T7_T9_mT8_S1D_bDpT10_ENKUlT_T0_E_clISt17integral_constantIbLb1EES1P_IbLb0EEEEDaS1L_S1M_EUlS1L_E_NS1_11comp_targetILNS1_3genE10ELNS1_11target_archE1200ELNS1_3gpuE4ELNS1_3repE0EEENS1_30default_config_static_selectorELNS0_4arch9wavefront6targetE0EEEvSZ_,"axG",@progbits,_ZN7rocprim17ROCPRIM_400000_NS6detail17trampoline_kernelINS0_13select_configILj256ELj13ELNS0_17block_load_methodE3ELS4_3ELS4_3ELNS0_20block_scan_algorithmE0ELj4294967295EEENS1_25partition_config_selectorILNS1_17partition_subalgoE3EjNS0_10empty_typeEbEEZZNS1_14partition_implILS8_3ELb0ES6_jNS0_17counting_iteratorIjlEEPS9_SE_NS0_5tupleIJPjSE_EEENSF_IJSE_SE_EEES9_SG_JZNS1_25segmented_radix_sort_implINS0_14default_configELb1EPK12hip_bfloat16PSL_PKlPlN2at6native12_GLOBAL__N_18offset_tEEE10hipError_tPvRmT1_PNSt15iterator_traitsISZ_E10value_typeET2_T3_PNS10_IS15_E10value_typeET4_jRbjT5_S1B_jjP12ihipStream_tbEUljE_EEESW_SX_SY_S15_S19_S1B_T6_T7_T9_mT8_S1D_bDpT10_ENKUlT_T0_E_clISt17integral_constantIbLb1EES1P_IbLb0EEEEDaS1L_S1M_EUlS1L_E_NS1_11comp_targetILNS1_3genE10ELNS1_11target_archE1200ELNS1_3gpuE4ELNS1_3repE0EEENS1_30default_config_static_selectorELNS0_4arch9wavefront6targetE0EEEvSZ_,comdat
	.globl	_ZN7rocprim17ROCPRIM_400000_NS6detail17trampoline_kernelINS0_13select_configILj256ELj13ELNS0_17block_load_methodE3ELS4_3ELS4_3ELNS0_20block_scan_algorithmE0ELj4294967295EEENS1_25partition_config_selectorILNS1_17partition_subalgoE3EjNS0_10empty_typeEbEEZZNS1_14partition_implILS8_3ELb0ES6_jNS0_17counting_iteratorIjlEEPS9_SE_NS0_5tupleIJPjSE_EEENSF_IJSE_SE_EEES9_SG_JZNS1_25segmented_radix_sort_implINS0_14default_configELb1EPK12hip_bfloat16PSL_PKlPlN2at6native12_GLOBAL__N_18offset_tEEE10hipError_tPvRmT1_PNSt15iterator_traitsISZ_E10value_typeET2_T3_PNS10_IS15_E10value_typeET4_jRbjT5_S1B_jjP12ihipStream_tbEUljE_EEESW_SX_SY_S15_S19_S1B_T6_T7_T9_mT8_S1D_bDpT10_ENKUlT_T0_E_clISt17integral_constantIbLb1EES1P_IbLb0EEEEDaS1L_S1M_EUlS1L_E_NS1_11comp_targetILNS1_3genE10ELNS1_11target_archE1200ELNS1_3gpuE4ELNS1_3repE0EEENS1_30default_config_static_selectorELNS0_4arch9wavefront6targetE0EEEvSZ_ ; -- Begin function _ZN7rocprim17ROCPRIM_400000_NS6detail17trampoline_kernelINS0_13select_configILj256ELj13ELNS0_17block_load_methodE3ELS4_3ELS4_3ELNS0_20block_scan_algorithmE0ELj4294967295EEENS1_25partition_config_selectorILNS1_17partition_subalgoE3EjNS0_10empty_typeEbEEZZNS1_14partition_implILS8_3ELb0ES6_jNS0_17counting_iteratorIjlEEPS9_SE_NS0_5tupleIJPjSE_EEENSF_IJSE_SE_EEES9_SG_JZNS1_25segmented_radix_sort_implINS0_14default_configELb1EPK12hip_bfloat16PSL_PKlPlN2at6native12_GLOBAL__N_18offset_tEEE10hipError_tPvRmT1_PNSt15iterator_traitsISZ_E10value_typeET2_T3_PNS10_IS15_E10value_typeET4_jRbjT5_S1B_jjP12ihipStream_tbEUljE_EEESW_SX_SY_S15_S19_S1B_T6_T7_T9_mT8_S1D_bDpT10_ENKUlT_T0_E_clISt17integral_constantIbLb1EES1P_IbLb0EEEEDaS1L_S1M_EUlS1L_E_NS1_11comp_targetILNS1_3genE10ELNS1_11target_archE1200ELNS1_3gpuE4ELNS1_3repE0EEENS1_30default_config_static_selectorELNS0_4arch9wavefront6targetE0EEEvSZ_
	.p2align	8
	.type	_ZN7rocprim17ROCPRIM_400000_NS6detail17trampoline_kernelINS0_13select_configILj256ELj13ELNS0_17block_load_methodE3ELS4_3ELS4_3ELNS0_20block_scan_algorithmE0ELj4294967295EEENS1_25partition_config_selectorILNS1_17partition_subalgoE3EjNS0_10empty_typeEbEEZZNS1_14partition_implILS8_3ELb0ES6_jNS0_17counting_iteratorIjlEEPS9_SE_NS0_5tupleIJPjSE_EEENSF_IJSE_SE_EEES9_SG_JZNS1_25segmented_radix_sort_implINS0_14default_configELb1EPK12hip_bfloat16PSL_PKlPlN2at6native12_GLOBAL__N_18offset_tEEE10hipError_tPvRmT1_PNSt15iterator_traitsISZ_E10value_typeET2_T3_PNS10_IS15_E10value_typeET4_jRbjT5_S1B_jjP12ihipStream_tbEUljE_EEESW_SX_SY_S15_S19_S1B_T6_T7_T9_mT8_S1D_bDpT10_ENKUlT_T0_E_clISt17integral_constantIbLb1EES1P_IbLb0EEEEDaS1L_S1M_EUlS1L_E_NS1_11comp_targetILNS1_3genE10ELNS1_11target_archE1200ELNS1_3gpuE4ELNS1_3repE0EEENS1_30default_config_static_selectorELNS0_4arch9wavefront6targetE0EEEvSZ_,@function
_ZN7rocprim17ROCPRIM_400000_NS6detail17trampoline_kernelINS0_13select_configILj256ELj13ELNS0_17block_load_methodE3ELS4_3ELS4_3ELNS0_20block_scan_algorithmE0ELj4294967295EEENS1_25partition_config_selectorILNS1_17partition_subalgoE3EjNS0_10empty_typeEbEEZZNS1_14partition_implILS8_3ELb0ES6_jNS0_17counting_iteratorIjlEEPS9_SE_NS0_5tupleIJPjSE_EEENSF_IJSE_SE_EEES9_SG_JZNS1_25segmented_radix_sort_implINS0_14default_configELb1EPK12hip_bfloat16PSL_PKlPlN2at6native12_GLOBAL__N_18offset_tEEE10hipError_tPvRmT1_PNSt15iterator_traitsISZ_E10value_typeET2_T3_PNS10_IS15_E10value_typeET4_jRbjT5_S1B_jjP12ihipStream_tbEUljE_EEESW_SX_SY_S15_S19_S1B_T6_T7_T9_mT8_S1D_bDpT10_ENKUlT_T0_E_clISt17integral_constantIbLb1EES1P_IbLb0EEEEDaS1L_S1M_EUlS1L_E_NS1_11comp_targetILNS1_3genE10ELNS1_11target_archE1200ELNS1_3gpuE4ELNS1_3repE0EEENS1_30default_config_static_selectorELNS0_4arch9wavefront6targetE0EEEvSZ_: ; @_ZN7rocprim17ROCPRIM_400000_NS6detail17trampoline_kernelINS0_13select_configILj256ELj13ELNS0_17block_load_methodE3ELS4_3ELS4_3ELNS0_20block_scan_algorithmE0ELj4294967295EEENS1_25partition_config_selectorILNS1_17partition_subalgoE3EjNS0_10empty_typeEbEEZZNS1_14partition_implILS8_3ELb0ES6_jNS0_17counting_iteratorIjlEEPS9_SE_NS0_5tupleIJPjSE_EEENSF_IJSE_SE_EEES9_SG_JZNS1_25segmented_radix_sort_implINS0_14default_configELb1EPK12hip_bfloat16PSL_PKlPlN2at6native12_GLOBAL__N_18offset_tEEE10hipError_tPvRmT1_PNSt15iterator_traitsISZ_E10value_typeET2_T3_PNS10_IS15_E10value_typeET4_jRbjT5_S1B_jjP12ihipStream_tbEUljE_EEESW_SX_SY_S15_S19_S1B_T6_T7_T9_mT8_S1D_bDpT10_ENKUlT_T0_E_clISt17integral_constantIbLb1EES1P_IbLb0EEEEDaS1L_S1M_EUlS1L_E_NS1_11comp_targetILNS1_3genE10ELNS1_11target_archE1200ELNS1_3gpuE4ELNS1_3repE0EEENS1_30default_config_static_selectorELNS0_4arch9wavefront6targetE0EEEvSZ_
; %bb.0:
	.section	.rodata,"a",@progbits
	.p2align	6, 0x0
	.amdhsa_kernel _ZN7rocprim17ROCPRIM_400000_NS6detail17trampoline_kernelINS0_13select_configILj256ELj13ELNS0_17block_load_methodE3ELS4_3ELS4_3ELNS0_20block_scan_algorithmE0ELj4294967295EEENS1_25partition_config_selectorILNS1_17partition_subalgoE3EjNS0_10empty_typeEbEEZZNS1_14partition_implILS8_3ELb0ES6_jNS0_17counting_iteratorIjlEEPS9_SE_NS0_5tupleIJPjSE_EEENSF_IJSE_SE_EEES9_SG_JZNS1_25segmented_radix_sort_implINS0_14default_configELb1EPK12hip_bfloat16PSL_PKlPlN2at6native12_GLOBAL__N_18offset_tEEE10hipError_tPvRmT1_PNSt15iterator_traitsISZ_E10value_typeET2_T3_PNS10_IS15_E10value_typeET4_jRbjT5_S1B_jjP12ihipStream_tbEUljE_EEESW_SX_SY_S15_S19_S1B_T6_T7_T9_mT8_S1D_bDpT10_ENKUlT_T0_E_clISt17integral_constantIbLb1EES1P_IbLb0EEEEDaS1L_S1M_EUlS1L_E_NS1_11comp_targetILNS1_3genE10ELNS1_11target_archE1200ELNS1_3gpuE4ELNS1_3repE0EEENS1_30default_config_static_selectorELNS0_4arch9wavefront6targetE0EEEvSZ_
		.amdhsa_group_segment_fixed_size 0
		.amdhsa_private_segment_fixed_size 0
		.amdhsa_kernarg_size 144
		.amdhsa_user_sgpr_count 2
		.amdhsa_user_sgpr_dispatch_ptr 0
		.amdhsa_user_sgpr_queue_ptr 0
		.amdhsa_user_sgpr_kernarg_segment_ptr 1
		.amdhsa_user_sgpr_dispatch_id 0
		.amdhsa_user_sgpr_kernarg_preload_length 0
		.amdhsa_user_sgpr_kernarg_preload_offset 0
		.amdhsa_user_sgpr_private_segment_size 0
		.amdhsa_wavefront_size32 1
		.amdhsa_uses_dynamic_stack 0
		.amdhsa_enable_private_segment 0
		.amdhsa_system_sgpr_workgroup_id_x 1
		.amdhsa_system_sgpr_workgroup_id_y 0
		.amdhsa_system_sgpr_workgroup_id_z 0
		.amdhsa_system_sgpr_workgroup_info 0
		.amdhsa_system_vgpr_workitem_id 0
		.amdhsa_next_free_vgpr 1
		.amdhsa_next_free_sgpr 1
		.amdhsa_named_barrier_count 0
		.amdhsa_reserve_vcc 0
		.amdhsa_float_round_mode_32 0
		.amdhsa_float_round_mode_16_64 0
		.amdhsa_float_denorm_mode_32 3
		.amdhsa_float_denorm_mode_16_64 3
		.amdhsa_fp16_overflow 0
		.amdhsa_memory_ordered 1
		.amdhsa_forward_progress 1
		.amdhsa_inst_pref_size 0
		.amdhsa_round_robin_scheduling 0
		.amdhsa_exception_fp_ieee_invalid_op 0
		.amdhsa_exception_fp_denorm_src 0
		.amdhsa_exception_fp_ieee_div_zero 0
		.amdhsa_exception_fp_ieee_overflow 0
		.amdhsa_exception_fp_ieee_underflow 0
		.amdhsa_exception_fp_ieee_inexact 0
		.amdhsa_exception_int_div_zero 0
	.end_amdhsa_kernel
	.section	.text._ZN7rocprim17ROCPRIM_400000_NS6detail17trampoline_kernelINS0_13select_configILj256ELj13ELNS0_17block_load_methodE3ELS4_3ELS4_3ELNS0_20block_scan_algorithmE0ELj4294967295EEENS1_25partition_config_selectorILNS1_17partition_subalgoE3EjNS0_10empty_typeEbEEZZNS1_14partition_implILS8_3ELb0ES6_jNS0_17counting_iteratorIjlEEPS9_SE_NS0_5tupleIJPjSE_EEENSF_IJSE_SE_EEES9_SG_JZNS1_25segmented_radix_sort_implINS0_14default_configELb1EPK12hip_bfloat16PSL_PKlPlN2at6native12_GLOBAL__N_18offset_tEEE10hipError_tPvRmT1_PNSt15iterator_traitsISZ_E10value_typeET2_T3_PNS10_IS15_E10value_typeET4_jRbjT5_S1B_jjP12ihipStream_tbEUljE_EEESW_SX_SY_S15_S19_S1B_T6_T7_T9_mT8_S1D_bDpT10_ENKUlT_T0_E_clISt17integral_constantIbLb1EES1P_IbLb0EEEEDaS1L_S1M_EUlS1L_E_NS1_11comp_targetILNS1_3genE10ELNS1_11target_archE1200ELNS1_3gpuE4ELNS1_3repE0EEENS1_30default_config_static_selectorELNS0_4arch9wavefront6targetE0EEEvSZ_,"axG",@progbits,_ZN7rocprim17ROCPRIM_400000_NS6detail17trampoline_kernelINS0_13select_configILj256ELj13ELNS0_17block_load_methodE3ELS4_3ELS4_3ELNS0_20block_scan_algorithmE0ELj4294967295EEENS1_25partition_config_selectorILNS1_17partition_subalgoE3EjNS0_10empty_typeEbEEZZNS1_14partition_implILS8_3ELb0ES6_jNS0_17counting_iteratorIjlEEPS9_SE_NS0_5tupleIJPjSE_EEENSF_IJSE_SE_EEES9_SG_JZNS1_25segmented_radix_sort_implINS0_14default_configELb1EPK12hip_bfloat16PSL_PKlPlN2at6native12_GLOBAL__N_18offset_tEEE10hipError_tPvRmT1_PNSt15iterator_traitsISZ_E10value_typeET2_T3_PNS10_IS15_E10value_typeET4_jRbjT5_S1B_jjP12ihipStream_tbEUljE_EEESW_SX_SY_S15_S19_S1B_T6_T7_T9_mT8_S1D_bDpT10_ENKUlT_T0_E_clISt17integral_constantIbLb1EES1P_IbLb0EEEEDaS1L_S1M_EUlS1L_E_NS1_11comp_targetILNS1_3genE10ELNS1_11target_archE1200ELNS1_3gpuE4ELNS1_3repE0EEENS1_30default_config_static_selectorELNS0_4arch9wavefront6targetE0EEEvSZ_,comdat
.Lfunc_end1925:
	.size	_ZN7rocprim17ROCPRIM_400000_NS6detail17trampoline_kernelINS0_13select_configILj256ELj13ELNS0_17block_load_methodE3ELS4_3ELS4_3ELNS0_20block_scan_algorithmE0ELj4294967295EEENS1_25partition_config_selectorILNS1_17partition_subalgoE3EjNS0_10empty_typeEbEEZZNS1_14partition_implILS8_3ELb0ES6_jNS0_17counting_iteratorIjlEEPS9_SE_NS0_5tupleIJPjSE_EEENSF_IJSE_SE_EEES9_SG_JZNS1_25segmented_radix_sort_implINS0_14default_configELb1EPK12hip_bfloat16PSL_PKlPlN2at6native12_GLOBAL__N_18offset_tEEE10hipError_tPvRmT1_PNSt15iterator_traitsISZ_E10value_typeET2_T3_PNS10_IS15_E10value_typeET4_jRbjT5_S1B_jjP12ihipStream_tbEUljE_EEESW_SX_SY_S15_S19_S1B_T6_T7_T9_mT8_S1D_bDpT10_ENKUlT_T0_E_clISt17integral_constantIbLb1EES1P_IbLb0EEEEDaS1L_S1M_EUlS1L_E_NS1_11comp_targetILNS1_3genE10ELNS1_11target_archE1200ELNS1_3gpuE4ELNS1_3repE0EEENS1_30default_config_static_selectorELNS0_4arch9wavefront6targetE0EEEvSZ_, .Lfunc_end1925-_ZN7rocprim17ROCPRIM_400000_NS6detail17trampoline_kernelINS0_13select_configILj256ELj13ELNS0_17block_load_methodE3ELS4_3ELS4_3ELNS0_20block_scan_algorithmE0ELj4294967295EEENS1_25partition_config_selectorILNS1_17partition_subalgoE3EjNS0_10empty_typeEbEEZZNS1_14partition_implILS8_3ELb0ES6_jNS0_17counting_iteratorIjlEEPS9_SE_NS0_5tupleIJPjSE_EEENSF_IJSE_SE_EEES9_SG_JZNS1_25segmented_radix_sort_implINS0_14default_configELb1EPK12hip_bfloat16PSL_PKlPlN2at6native12_GLOBAL__N_18offset_tEEE10hipError_tPvRmT1_PNSt15iterator_traitsISZ_E10value_typeET2_T3_PNS10_IS15_E10value_typeET4_jRbjT5_S1B_jjP12ihipStream_tbEUljE_EEESW_SX_SY_S15_S19_S1B_T6_T7_T9_mT8_S1D_bDpT10_ENKUlT_T0_E_clISt17integral_constantIbLb1EES1P_IbLb0EEEEDaS1L_S1M_EUlS1L_E_NS1_11comp_targetILNS1_3genE10ELNS1_11target_archE1200ELNS1_3gpuE4ELNS1_3repE0EEENS1_30default_config_static_selectorELNS0_4arch9wavefront6targetE0EEEvSZ_
                                        ; -- End function
	.set _ZN7rocprim17ROCPRIM_400000_NS6detail17trampoline_kernelINS0_13select_configILj256ELj13ELNS0_17block_load_methodE3ELS4_3ELS4_3ELNS0_20block_scan_algorithmE0ELj4294967295EEENS1_25partition_config_selectorILNS1_17partition_subalgoE3EjNS0_10empty_typeEbEEZZNS1_14partition_implILS8_3ELb0ES6_jNS0_17counting_iteratorIjlEEPS9_SE_NS0_5tupleIJPjSE_EEENSF_IJSE_SE_EEES9_SG_JZNS1_25segmented_radix_sort_implINS0_14default_configELb1EPK12hip_bfloat16PSL_PKlPlN2at6native12_GLOBAL__N_18offset_tEEE10hipError_tPvRmT1_PNSt15iterator_traitsISZ_E10value_typeET2_T3_PNS10_IS15_E10value_typeET4_jRbjT5_S1B_jjP12ihipStream_tbEUljE_EEESW_SX_SY_S15_S19_S1B_T6_T7_T9_mT8_S1D_bDpT10_ENKUlT_T0_E_clISt17integral_constantIbLb1EES1P_IbLb0EEEEDaS1L_S1M_EUlS1L_E_NS1_11comp_targetILNS1_3genE10ELNS1_11target_archE1200ELNS1_3gpuE4ELNS1_3repE0EEENS1_30default_config_static_selectorELNS0_4arch9wavefront6targetE0EEEvSZ_.num_vgpr, 0
	.set _ZN7rocprim17ROCPRIM_400000_NS6detail17trampoline_kernelINS0_13select_configILj256ELj13ELNS0_17block_load_methodE3ELS4_3ELS4_3ELNS0_20block_scan_algorithmE0ELj4294967295EEENS1_25partition_config_selectorILNS1_17partition_subalgoE3EjNS0_10empty_typeEbEEZZNS1_14partition_implILS8_3ELb0ES6_jNS0_17counting_iteratorIjlEEPS9_SE_NS0_5tupleIJPjSE_EEENSF_IJSE_SE_EEES9_SG_JZNS1_25segmented_radix_sort_implINS0_14default_configELb1EPK12hip_bfloat16PSL_PKlPlN2at6native12_GLOBAL__N_18offset_tEEE10hipError_tPvRmT1_PNSt15iterator_traitsISZ_E10value_typeET2_T3_PNS10_IS15_E10value_typeET4_jRbjT5_S1B_jjP12ihipStream_tbEUljE_EEESW_SX_SY_S15_S19_S1B_T6_T7_T9_mT8_S1D_bDpT10_ENKUlT_T0_E_clISt17integral_constantIbLb1EES1P_IbLb0EEEEDaS1L_S1M_EUlS1L_E_NS1_11comp_targetILNS1_3genE10ELNS1_11target_archE1200ELNS1_3gpuE4ELNS1_3repE0EEENS1_30default_config_static_selectorELNS0_4arch9wavefront6targetE0EEEvSZ_.num_agpr, 0
	.set _ZN7rocprim17ROCPRIM_400000_NS6detail17trampoline_kernelINS0_13select_configILj256ELj13ELNS0_17block_load_methodE3ELS4_3ELS4_3ELNS0_20block_scan_algorithmE0ELj4294967295EEENS1_25partition_config_selectorILNS1_17partition_subalgoE3EjNS0_10empty_typeEbEEZZNS1_14partition_implILS8_3ELb0ES6_jNS0_17counting_iteratorIjlEEPS9_SE_NS0_5tupleIJPjSE_EEENSF_IJSE_SE_EEES9_SG_JZNS1_25segmented_radix_sort_implINS0_14default_configELb1EPK12hip_bfloat16PSL_PKlPlN2at6native12_GLOBAL__N_18offset_tEEE10hipError_tPvRmT1_PNSt15iterator_traitsISZ_E10value_typeET2_T3_PNS10_IS15_E10value_typeET4_jRbjT5_S1B_jjP12ihipStream_tbEUljE_EEESW_SX_SY_S15_S19_S1B_T6_T7_T9_mT8_S1D_bDpT10_ENKUlT_T0_E_clISt17integral_constantIbLb1EES1P_IbLb0EEEEDaS1L_S1M_EUlS1L_E_NS1_11comp_targetILNS1_3genE10ELNS1_11target_archE1200ELNS1_3gpuE4ELNS1_3repE0EEENS1_30default_config_static_selectorELNS0_4arch9wavefront6targetE0EEEvSZ_.numbered_sgpr, 0
	.set _ZN7rocprim17ROCPRIM_400000_NS6detail17trampoline_kernelINS0_13select_configILj256ELj13ELNS0_17block_load_methodE3ELS4_3ELS4_3ELNS0_20block_scan_algorithmE0ELj4294967295EEENS1_25partition_config_selectorILNS1_17partition_subalgoE3EjNS0_10empty_typeEbEEZZNS1_14partition_implILS8_3ELb0ES6_jNS0_17counting_iteratorIjlEEPS9_SE_NS0_5tupleIJPjSE_EEENSF_IJSE_SE_EEES9_SG_JZNS1_25segmented_radix_sort_implINS0_14default_configELb1EPK12hip_bfloat16PSL_PKlPlN2at6native12_GLOBAL__N_18offset_tEEE10hipError_tPvRmT1_PNSt15iterator_traitsISZ_E10value_typeET2_T3_PNS10_IS15_E10value_typeET4_jRbjT5_S1B_jjP12ihipStream_tbEUljE_EEESW_SX_SY_S15_S19_S1B_T6_T7_T9_mT8_S1D_bDpT10_ENKUlT_T0_E_clISt17integral_constantIbLb1EES1P_IbLb0EEEEDaS1L_S1M_EUlS1L_E_NS1_11comp_targetILNS1_3genE10ELNS1_11target_archE1200ELNS1_3gpuE4ELNS1_3repE0EEENS1_30default_config_static_selectorELNS0_4arch9wavefront6targetE0EEEvSZ_.num_named_barrier, 0
	.set _ZN7rocprim17ROCPRIM_400000_NS6detail17trampoline_kernelINS0_13select_configILj256ELj13ELNS0_17block_load_methodE3ELS4_3ELS4_3ELNS0_20block_scan_algorithmE0ELj4294967295EEENS1_25partition_config_selectorILNS1_17partition_subalgoE3EjNS0_10empty_typeEbEEZZNS1_14partition_implILS8_3ELb0ES6_jNS0_17counting_iteratorIjlEEPS9_SE_NS0_5tupleIJPjSE_EEENSF_IJSE_SE_EEES9_SG_JZNS1_25segmented_radix_sort_implINS0_14default_configELb1EPK12hip_bfloat16PSL_PKlPlN2at6native12_GLOBAL__N_18offset_tEEE10hipError_tPvRmT1_PNSt15iterator_traitsISZ_E10value_typeET2_T3_PNS10_IS15_E10value_typeET4_jRbjT5_S1B_jjP12ihipStream_tbEUljE_EEESW_SX_SY_S15_S19_S1B_T6_T7_T9_mT8_S1D_bDpT10_ENKUlT_T0_E_clISt17integral_constantIbLb1EES1P_IbLb0EEEEDaS1L_S1M_EUlS1L_E_NS1_11comp_targetILNS1_3genE10ELNS1_11target_archE1200ELNS1_3gpuE4ELNS1_3repE0EEENS1_30default_config_static_selectorELNS0_4arch9wavefront6targetE0EEEvSZ_.private_seg_size, 0
	.set _ZN7rocprim17ROCPRIM_400000_NS6detail17trampoline_kernelINS0_13select_configILj256ELj13ELNS0_17block_load_methodE3ELS4_3ELS4_3ELNS0_20block_scan_algorithmE0ELj4294967295EEENS1_25partition_config_selectorILNS1_17partition_subalgoE3EjNS0_10empty_typeEbEEZZNS1_14partition_implILS8_3ELb0ES6_jNS0_17counting_iteratorIjlEEPS9_SE_NS0_5tupleIJPjSE_EEENSF_IJSE_SE_EEES9_SG_JZNS1_25segmented_radix_sort_implINS0_14default_configELb1EPK12hip_bfloat16PSL_PKlPlN2at6native12_GLOBAL__N_18offset_tEEE10hipError_tPvRmT1_PNSt15iterator_traitsISZ_E10value_typeET2_T3_PNS10_IS15_E10value_typeET4_jRbjT5_S1B_jjP12ihipStream_tbEUljE_EEESW_SX_SY_S15_S19_S1B_T6_T7_T9_mT8_S1D_bDpT10_ENKUlT_T0_E_clISt17integral_constantIbLb1EES1P_IbLb0EEEEDaS1L_S1M_EUlS1L_E_NS1_11comp_targetILNS1_3genE10ELNS1_11target_archE1200ELNS1_3gpuE4ELNS1_3repE0EEENS1_30default_config_static_selectorELNS0_4arch9wavefront6targetE0EEEvSZ_.uses_vcc, 0
	.set _ZN7rocprim17ROCPRIM_400000_NS6detail17trampoline_kernelINS0_13select_configILj256ELj13ELNS0_17block_load_methodE3ELS4_3ELS4_3ELNS0_20block_scan_algorithmE0ELj4294967295EEENS1_25partition_config_selectorILNS1_17partition_subalgoE3EjNS0_10empty_typeEbEEZZNS1_14partition_implILS8_3ELb0ES6_jNS0_17counting_iteratorIjlEEPS9_SE_NS0_5tupleIJPjSE_EEENSF_IJSE_SE_EEES9_SG_JZNS1_25segmented_radix_sort_implINS0_14default_configELb1EPK12hip_bfloat16PSL_PKlPlN2at6native12_GLOBAL__N_18offset_tEEE10hipError_tPvRmT1_PNSt15iterator_traitsISZ_E10value_typeET2_T3_PNS10_IS15_E10value_typeET4_jRbjT5_S1B_jjP12ihipStream_tbEUljE_EEESW_SX_SY_S15_S19_S1B_T6_T7_T9_mT8_S1D_bDpT10_ENKUlT_T0_E_clISt17integral_constantIbLb1EES1P_IbLb0EEEEDaS1L_S1M_EUlS1L_E_NS1_11comp_targetILNS1_3genE10ELNS1_11target_archE1200ELNS1_3gpuE4ELNS1_3repE0EEENS1_30default_config_static_selectorELNS0_4arch9wavefront6targetE0EEEvSZ_.uses_flat_scratch, 0
	.set _ZN7rocprim17ROCPRIM_400000_NS6detail17trampoline_kernelINS0_13select_configILj256ELj13ELNS0_17block_load_methodE3ELS4_3ELS4_3ELNS0_20block_scan_algorithmE0ELj4294967295EEENS1_25partition_config_selectorILNS1_17partition_subalgoE3EjNS0_10empty_typeEbEEZZNS1_14partition_implILS8_3ELb0ES6_jNS0_17counting_iteratorIjlEEPS9_SE_NS0_5tupleIJPjSE_EEENSF_IJSE_SE_EEES9_SG_JZNS1_25segmented_radix_sort_implINS0_14default_configELb1EPK12hip_bfloat16PSL_PKlPlN2at6native12_GLOBAL__N_18offset_tEEE10hipError_tPvRmT1_PNSt15iterator_traitsISZ_E10value_typeET2_T3_PNS10_IS15_E10value_typeET4_jRbjT5_S1B_jjP12ihipStream_tbEUljE_EEESW_SX_SY_S15_S19_S1B_T6_T7_T9_mT8_S1D_bDpT10_ENKUlT_T0_E_clISt17integral_constantIbLb1EES1P_IbLb0EEEEDaS1L_S1M_EUlS1L_E_NS1_11comp_targetILNS1_3genE10ELNS1_11target_archE1200ELNS1_3gpuE4ELNS1_3repE0EEENS1_30default_config_static_selectorELNS0_4arch9wavefront6targetE0EEEvSZ_.has_dyn_sized_stack, 0
	.set _ZN7rocprim17ROCPRIM_400000_NS6detail17trampoline_kernelINS0_13select_configILj256ELj13ELNS0_17block_load_methodE3ELS4_3ELS4_3ELNS0_20block_scan_algorithmE0ELj4294967295EEENS1_25partition_config_selectorILNS1_17partition_subalgoE3EjNS0_10empty_typeEbEEZZNS1_14partition_implILS8_3ELb0ES6_jNS0_17counting_iteratorIjlEEPS9_SE_NS0_5tupleIJPjSE_EEENSF_IJSE_SE_EEES9_SG_JZNS1_25segmented_radix_sort_implINS0_14default_configELb1EPK12hip_bfloat16PSL_PKlPlN2at6native12_GLOBAL__N_18offset_tEEE10hipError_tPvRmT1_PNSt15iterator_traitsISZ_E10value_typeET2_T3_PNS10_IS15_E10value_typeET4_jRbjT5_S1B_jjP12ihipStream_tbEUljE_EEESW_SX_SY_S15_S19_S1B_T6_T7_T9_mT8_S1D_bDpT10_ENKUlT_T0_E_clISt17integral_constantIbLb1EES1P_IbLb0EEEEDaS1L_S1M_EUlS1L_E_NS1_11comp_targetILNS1_3genE10ELNS1_11target_archE1200ELNS1_3gpuE4ELNS1_3repE0EEENS1_30default_config_static_selectorELNS0_4arch9wavefront6targetE0EEEvSZ_.has_recursion, 0
	.set _ZN7rocprim17ROCPRIM_400000_NS6detail17trampoline_kernelINS0_13select_configILj256ELj13ELNS0_17block_load_methodE3ELS4_3ELS4_3ELNS0_20block_scan_algorithmE0ELj4294967295EEENS1_25partition_config_selectorILNS1_17partition_subalgoE3EjNS0_10empty_typeEbEEZZNS1_14partition_implILS8_3ELb0ES6_jNS0_17counting_iteratorIjlEEPS9_SE_NS0_5tupleIJPjSE_EEENSF_IJSE_SE_EEES9_SG_JZNS1_25segmented_radix_sort_implINS0_14default_configELb1EPK12hip_bfloat16PSL_PKlPlN2at6native12_GLOBAL__N_18offset_tEEE10hipError_tPvRmT1_PNSt15iterator_traitsISZ_E10value_typeET2_T3_PNS10_IS15_E10value_typeET4_jRbjT5_S1B_jjP12ihipStream_tbEUljE_EEESW_SX_SY_S15_S19_S1B_T6_T7_T9_mT8_S1D_bDpT10_ENKUlT_T0_E_clISt17integral_constantIbLb1EES1P_IbLb0EEEEDaS1L_S1M_EUlS1L_E_NS1_11comp_targetILNS1_3genE10ELNS1_11target_archE1200ELNS1_3gpuE4ELNS1_3repE0EEENS1_30default_config_static_selectorELNS0_4arch9wavefront6targetE0EEEvSZ_.has_indirect_call, 0
	.section	.AMDGPU.csdata,"",@progbits
; Kernel info:
; codeLenInByte = 0
; TotalNumSgprs: 0
; NumVgprs: 0
; ScratchSize: 0
; MemoryBound: 0
; FloatMode: 240
; IeeeMode: 1
; LDSByteSize: 0 bytes/workgroup (compile time only)
; SGPRBlocks: 0
; VGPRBlocks: 0
; NumSGPRsForWavesPerEU: 1
; NumVGPRsForWavesPerEU: 1
; NamedBarCnt: 0
; Occupancy: 16
; WaveLimiterHint : 0
; COMPUTE_PGM_RSRC2:SCRATCH_EN: 0
; COMPUTE_PGM_RSRC2:USER_SGPR: 2
; COMPUTE_PGM_RSRC2:TRAP_HANDLER: 0
; COMPUTE_PGM_RSRC2:TGID_X_EN: 1
; COMPUTE_PGM_RSRC2:TGID_Y_EN: 0
; COMPUTE_PGM_RSRC2:TGID_Z_EN: 0
; COMPUTE_PGM_RSRC2:TIDIG_COMP_CNT: 0
	.section	.text._ZN7rocprim17ROCPRIM_400000_NS6detail17trampoline_kernelINS0_13select_configILj256ELj13ELNS0_17block_load_methodE3ELS4_3ELS4_3ELNS0_20block_scan_algorithmE0ELj4294967295EEENS1_25partition_config_selectorILNS1_17partition_subalgoE3EjNS0_10empty_typeEbEEZZNS1_14partition_implILS8_3ELb0ES6_jNS0_17counting_iteratorIjlEEPS9_SE_NS0_5tupleIJPjSE_EEENSF_IJSE_SE_EEES9_SG_JZNS1_25segmented_radix_sort_implINS0_14default_configELb1EPK12hip_bfloat16PSL_PKlPlN2at6native12_GLOBAL__N_18offset_tEEE10hipError_tPvRmT1_PNSt15iterator_traitsISZ_E10value_typeET2_T3_PNS10_IS15_E10value_typeET4_jRbjT5_S1B_jjP12ihipStream_tbEUljE_EEESW_SX_SY_S15_S19_S1B_T6_T7_T9_mT8_S1D_bDpT10_ENKUlT_T0_E_clISt17integral_constantIbLb1EES1P_IbLb0EEEEDaS1L_S1M_EUlS1L_E_NS1_11comp_targetILNS1_3genE9ELNS1_11target_archE1100ELNS1_3gpuE3ELNS1_3repE0EEENS1_30default_config_static_selectorELNS0_4arch9wavefront6targetE0EEEvSZ_,"axG",@progbits,_ZN7rocprim17ROCPRIM_400000_NS6detail17trampoline_kernelINS0_13select_configILj256ELj13ELNS0_17block_load_methodE3ELS4_3ELS4_3ELNS0_20block_scan_algorithmE0ELj4294967295EEENS1_25partition_config_selectorILNS1_17partition_subalgoE3EjNS0_10empty_typeEbEEZZNS1_14partition_implILS8_3ELb0ES6_jNS0_17counting_iteratorIjlEEPS9_SE_NS0_5tupleIJPjSE_EEENSF_IJSE_SE_EEES9_SG_JZNS1_25segmented_radix_sort_implINS0_14default_configELb1EPK12hip_bfloat16PSL_PKlPlN2at6native12_GLOBAL__N_18offset_tEEE10hipError_tPvRmT1_PNSt15iterator_traitsISZ_E10value_typeET2_T3_PNS10_IS15_E10value_typeET4_jRbjT5_S1B_jjP12ihipStream_tbEUljE_EEESW_SX_SY_S15_S19_S1B_T6_T7_T9_mT8_S1D_bDpT10_ENKUlT_T0_E_clISt17integral_constantIbLb1EES1P_IbLb0EEEEDaS1L_S1M_EUlS1L_E_NS1_11comp_targetILNS1_3genE9ELNS1_11target_archE1100ELNS1_3gpuE3ELNS1_3repE0EEENS1_30default_config_static_selectorELNS0_4arch9wavefront6targetE0EEEvSZ_,comdat
	.globl	_ZN7rocprim17ROCPRIM_400000_NS6detail17trampoline_kernelINS0_13select_configILj256ELj13ELNS0_17block_load_methodE3ELS4_3ELS4_3ELNS0_20block_scan_algorithmE0ELj4294967295EEENS1_25partition_config_selectorILNS1_17partition_subalgoE3EjNS0_10empty_typeEbEEZZNS1_14partition_implILS8_3ELb0ES6_jNS0_17counting_iteratorIjlEEPS9_SE_NS0_5tupleIJPjSE_EEENSF_IJSE_SE_EEES9_SG_JZNS1_25segmented_radix_sort_implINS0_14default_configELb1EPK12hip_bfloat16PSL_PKlPlN2at6native12_GLOBAL__N_18offset_tEEE10hipError_tPvRmT1_PNSt15iterator_traitsISZ_E10value_typeET2_T3_PNS10_IS15_E10value_typeET4_jRbjT5_S1B_jjP12ihipStream_tbEUljE_EEESW_SX_SY_S15_S19_S1B_T6_T7_T9_mT8_S1D_bDpT10_ENKUlT_T0_E_clISt17integral_constantIbLb1EES1P_IbLb0EEEEDaS1L_S1M_EUlS1L_E_NS1_11comp_targetILNS1_3genE9ELNS1_11target_archE1100ELNS1_3gpuE3ELNS1_3repE0EEENS1_30default_config_static_selectorELNS0_4arch9wavefront6targetE0EEEvSZ_ ; -- Begin function _ZN7rocprim17ROCPRIM_400000_NS6detail17trampoline_kernelINS0_13select_configILj256ELj13ELNS0_17block_load_methodE3ELS4_3ELS4_3ELNS0_20block_scan_algorithmE0ELj4294967295EEENS1_25partition_config_selectorILNS1_17partition_subalgoE3EjNS0_10empty_typeEbEEZZNS1_14partition_implILS8_3ELb0ES6_jNS0_17counting_iteratorIjlEEPS9_SE_NS0_5tupleIJPjSE_EEENSF_IJSE_SE_EEES9_SG_JZNS1_25segmented_radix_sort_implINS0_14default_configELb1EPK12hip_bfloat16PSL_PKlPlN2at6native12_GLOBAL__N_18offset_tEEE10hipError_tPvRmT1_PNSt15iterator_traitsISZ_E10value_typeET2_T3_PNS10_IS15_E10value_typeET4_jRbjT5_S1B_jjP12ihipStream_tbEUljE_EEESW_SX_SY_S15_S19_S1B_T6_T7_T9_mT8_S1D_bDpT10_ENKUlT_T0_E_clISt17integral_constantIbLb1EES1P_IbLb0EEEEDaS1L_S1M_EUlS1L_E_NS1_11comp_targetILNS1_3genE9ELNS1_11target_archE1100ELNS1_3gpuE3ELNS1_3repE0EEENS1_30default_config_static_selectorELNS0_4arch9wavefront6targetE0EEEvSZ_
	.p2align	8
	.type	_ZN7rocprim17ROCPRIM_400000_NS6detail17trampoline_kernelINS0_13select_configILj256ELj13ELNS0_17block_load_methodE3ELS4_3ELS4_3ELNS0_20block_scan_algorithmE0ELj4294967295EEENS1_25partition_config_selectorILNS1_17partition_subalgoE3EjNS0_10empty_typeEbEEZZNS1_14partition_implILS8_3ELb0ES6_jNS0_17counting_iteratorIjlEEPS9_SE_NS0_5tupleIJPjSE_EEENSF_IJSE_SE_EEES9_SG_JZNS1_25segmented_radix_sort_implINS0_14default_configELb1EPK12hip_bfloat16PSL_PKlPlN2at6native12_GLOBAL__N_18offset_tEEE10hipError_tPvRmT1_PNSt15iterator_traitsISZ_E10value_typeET2_T3_PNS10_IS15_E10value_typeET4_jRbjT5_S1B_jjP12ihipStream_tbEUljE_EEESW_SX_SY_S15_S19_S1B_T6_T7_T9_mT8_S1D_bDpT10_ENKUlT_T0_E_clISt17integral_constantIbLb1EES1P_IbLb0EEEEDaS1L_S1M_EUlS1L_E_NS1_11comp_targetILNS1_3genE9ELNS1_11target_archE1100ELNS1_3gpuE3ELNS1_3repE0EEENS1_30default_config_static_selectorELNS0_4arch9wavefront6targetE0EEEvSZ_,@function
_ZN7rocprim17ROCPRIM_400000_NS6detail17trampoline_kernelINS0_13select_configILj256ELj13ELNS0_17block_load_methodE3ELS4_3ELS4_3ELNS0_20block_scan_algorithmE0ELj4294967295EEENS1_25partition_config_selectorILNS1_17partition_subalgoE3EjNS0_10empty_typeEbEEZZNS1_14partition_implILS8_3ELb0ES6_jNS0_17counting_iteratorIjlEEPS9_SE_NS0_5tupleIJPjSE_EEENSF_IJSE_SE_EEES9_SG_JZNS1_25segmented_radix_sort_implINS0_14default_configELb1EPK12hip_bfloat16PSL_PKlPlN2at6native12_GLOBAL__N_18offset_tEEE10hipError_tPvRmT1_PNSt15iterator_traitsISZ_E10value_typeET2_T3_PNS10_IS15_E10value_typeET4_jRbjT5_S1B_jjP12ihipStream_tbEUljE_EEESW_SX_SY_S15_S19_S1B_T6_T7_T9_mT8_S1D_bDpT10_ENKUlT_T0_E_clISt17integral_constantIbLb1EES1P_IbLb0EEEEDaS1L_S1M_EUlS1L_E_NS1_11comp_targetILNS1_3genE9ELNS1_11target_archE1100ELNS1_3gpuE3ELNS1_3repE0EEENS1_30default_config_static_selectorELNS0_4arch9wavefront6targetE0EEEvSZ_: ; @_ZN7rocprim17ROCPRIM_400000_NS6detail17trampoline_kernelINS0_13select_configILj256ELj13ELNS0_17block_load_methodE3ELS4_3ELS4_3ELNS0_20block_scan_algorithmE0ELj4294967295EEENS1_25partition_config_selectorILNS1_17partition_subalgoE3EjNS0_10empty_typeEbEEZZNS1_14partition_implILS8_3ELb0ES6_jNS0_17counting_iteratorIjlEEPS9_SE_NS0_5tupleIJPjSE_EEENSF_IJSE_SE_EEES9_SG_JZNS1_25segmented_radix_sort_implINS0_14default_configELb1EPK12hip_bfloat16PSL_PKlPlN2at6native12_GLOBAL__N_18offset_tEEE10hipError_tPvRmT1_PNSt15iterator_traitsISZ_E10value_typeET2_T3_PNS10_IS15_E10value_typeET4_jRbjT5_S1B_jjP12ihipStream_tbEUljE_EEESW_SX_SY_S15_S19_S1B_T6_T7_T9_mT8_S1D_bDpT10_ENKUlT_T0_E_clISt17integral_constantIbLb1EES1P_IbLb0EEEEDaS1L_S1M_EUlS1L_E_NS1_11comp_targetILNS1_3genE9ELNS1_11target_archE1100ELNS1_3gpuE3ELNS1_3repE0EEENS1_30default_config_static_selectorELNS0_4arch9wavefront6targetE0EEEvSZ_
; %bb.0:
	.section	.rodata,"a",@progbits
	.p2align	6, 0x0
	.amdhsa_kernel _ZN7rocprim17ROCPRIM_400000_NS6detail17trampoline_kernelINS0_13select_configILj256ELj13ELNS0_17block_load_methodE3ELS4_3ELS4_3ELNS0_20block_scan_algorithmE0ELj4294967295EEENS1_25partition_config_selectorILNS1_17partition_subalgoE3EjNS0_10empty_typeEbEEZZNS1_14partition_implILS8_3ELb0ES6_jNS0_17counting_iteratorIjlEEPS9_SE_NS0_5tupleIJPjSE_EEENSF_IJSE_SE_EEES9_SG_JZNS1_25segmented_radix_sort_implINS0_14default_configELb1EPK12hip_bfloat16PSL_PKlPlN2at6native12_GLOBAL__N_18offset_tEEE10hipError_tPvRmT1_PNSt15iterator_traitsISZ_E10value_typeET2_T3_PNS10_IS15_E10value_typeET4_jRbjT5_S1B_jjP12ihipStream_tbEUljE_EEESW_SX_SY_S15_S19_S1B_T6_T7_T9_mT8_S1D_bDpT10_ENKUlT_T0_E_clISt17integral_constantIbLb1EES1P_IbLb0EEEEDaS1L_S1M_EUlS1L_E_NS1_11comp_targetILNS1_3genE9ELNS1_11target_archE1100ELNS1_3gpuE3ELNS1_3repE0EEENS1_30default_config_static_selectorELNS0_4arch9wavefront6targetE0EEEvSZ_
		.amdhsa_group_segment_fixed_size 0
		.amdhsa_private_segment_fixed_size 0
		.amdhsa_kernarg_size 144
		.amdhsa_user_sgpr_count 2
		.amdhsa_user_sgpr_dispatch_ptr 0
		.amdhsa_user_sgpr_queue_ptr 0
		.amdhsa_user_sgpr_kernarg_segment_ptr 1
		.amdhsa_user_sgpr_dispatch_id 0
		.amdhsa_user_sgpr_kernarg_preload_length 0
		.amdhsa_user_sgpr_kernarg_preload_offset 0
		.amdhsa_user_sgpr_private_segment_size 0
		.amdhsa_wavefront_size32 1
		.amdhsa_uses_dynamic_stack 0
		.amdhsa_enable_private_segment 0
		.amdhsa_system_sgpr_workgroup_id_x 1
		.amdhsa_system_sgpr_workgroup_id_y 0
		.amdhsa_system_sgpr_workgroup_id_z 0
		.amdhsa_system_sgpr_workgroup_info 0
		.amdhsa_system_vgpr_workitem_id 0
		.amdhsa_next_free_vgpr 1
		.amdhsa_next_free_sgpr 1
		.amdhsa_named_barrier_count 0
		.amdhsa_reserve_vcc 0
		.amdhsa_float_round_mode_32 0
		.amdhsa_float_round_mode_16_64 0
		.amdhsa_float_denorm_mode_32 3
		.amdhsa_float_denorm_mode_16_64 3
		.amdhsa_fp16_overflow 0
		.amdhsa_memory_ordered 1
		.amdhsa_forward_progress 1
		.amdhsa_inst_pref_size 0
		.amdhsa_round_robin_scheduling 0
		.amdhsa_exception_fp_ieee_invalid_op 0
		.amdhsa_exception_fp_denorm_src 0
		.amdhsa_exception_fp_ieee_div_zero 0
		.amdhsa_exception_fp_ieee_overflow 0
		.amdhsa_exception_fp_ieee_underflow 0
		.amdhsa_exception_fp_ieee_inexact 0
		.amdhsa_exception_int_div_zero 0
	.end_amdhsa_kernel
	.section	.text._ZN7rocprim17ROCPRIM_400000_NS6detail17trampoline_kernelINS0_13select_configILj256ELj13ELNS0_17block_load_methodE3ELS4_3ELS4_3ELNS0_20block_scan_algorithmE0ELj4294967295EEENS1_25partition_config_selectorILNS1_17partition_subalgoE3EjNS0_10empty_typeEbEEZZNS1_14partition_implILS8_3ELb0ES6_jNS0_17counting_iteratorIjlEEPS9_SE_NS0_5tupleIJPjSE_EEENSF_IJSE_SE_EEES9_SG_JZNS1_25segmented_radix_sort_implINS0_14default_configELb1EPK12hip_bfloat16PSL_PKlPlN2at6native12_GLOBAL__N_18offset_tEEE10hipError_tPvRmT1_PNSt15iterator_traitsISZ_E10value_typeET2_T3_PNS10_IS15_E10value_typeET4_jRbjT5_S1B_jjP12ihipStream_tbEUljE_EEESW_SX_SY_S15_S19_S1B_T6_T7_T9_mT8_S1D_bDpT10_ENKUlT_T0_E_clISt17integral_constantIbLb1EES1P_IbLb0EEEEDaS1L_S1M_EUlS1L_E_NS1_11comp_targetILNS1_3genE9ELNS1_11target_archE1100ELNS1_3gpuE3ELNS1_3repE0EEENS1_30default_config_static_selectorELNS0_4arch9wavefront6targetE0EEEvSZ_,"axG",@progbits,_ZN7rocprim17ROCPRIM_400000_NS6detail17trampoline_kernelINS0_13select_configILj256ELj13ELNS0_17block_load_methodE3ELS4_3ELS4_3ELNS0_20block_scan_algorithmE0ELj4294967295EEENS1_25partition_config_selectorILNS1_17partition_subalgoE3EjNS0_10empty_typeEbEEZZNS1_14partition_implILS8_3ELb0ES6_jNS0_17counting_iteratorIjlEEPS9_SE_NS0_5tupleIJPjSE_EEENSF_IJSE_SE_EEES9_SG_JZNS1_25segmented_radix_sort_implINS0_14default_configELb1EPK12hip_bfloat16PSL_PKlPlN2at6native12_GLOBAL__N_18offset_tEEE10hipError_tPvRmT1_PNSt15iterator_traitsISZ_E10value_typeET2_T3_PNS10_IS15_E10value_typeET4_jRbjT5_S1B_jjP12ihipStream_tbEUljE_EEESW_SX_SY_S15_S19_S1B_T6_T7_T9_mT8_S1D_bDpT10_ENKUlT_T0_E_clISt17integral_constantIbLb1EES1P_IbLb0EEEEDaS1L_S1M_EUlS1L_E_NS1_11comp_targetILNS1_3genE9ELNS1_11target_archE1100ELNS1_3gpuE3ELNS1_3repE0EEENS1_30default_config_static_selectorELNS0_4arch9wavefront6targetE0EEEvSZ_,comdat
.Lfunc_end1926:
	.size	_ZN7rocprim17ROCPRIM_400000_NS6detail17trampoline_kernelINS0_13select_configILj256ELj13ELNS0_17block_load_methodE3ELS4_3ELS4_3ELNS0_20block_scan_algorithmE0ELj4294967295EEENS1_25partition_config_selectorILNS1_17partition_subalgoE3EjNS0_10empty_typeEbEEZZNS1_14partition_implILS8_3ELb0ES6_jNS0_17counting_iteratorIjlEEPS9_SE_NS0_5tupleIJPjSE_EEENSF_IJSE_SE_EEES9_SG_JZNS1_25segmented_radix_sort_implINS0_14default_configELb1EPK12hip_bfloat16PSL_PKlPlN2at6native12_GLOBAL__N_18offset_tEEE10hipError_tPvRmT1_PNSt15iterator_traitsISZ_E10value_typeET2_T3_PNS10_IS15_E10value_typeET4_jRbjT5_S1B_jjP12ihipStream_tbEUljE_EEESW_SX_SY_S15_S19_S1B_T6_T7_T9_mT8_S1D_bDpT10_ENKUlT_T0_E_clISt17integral_constantIbLb1EES1P_IbLb0EEEEDaS1L_S1M_EUlS1L_E_NS1_11comp_targetILNS1_3genE9ELNS1_11target_archE1100ELNS1_3gpuE3ELNS1_3repE0EEENS1_30default_config_static_selectorELNS0_4arch9wavefront6targetE0EEEvSZ_, .Lfunc_end1926-_ZN7rocprim17ROCPRIM_400000_NS6detail17trampoline_kernelINS0_13select_configILj256ELj13ELNS0_17block_load_methodE3ELS4_3ELS4_3ELNS0_20block_scan_algorithmE0ELj4294967295EEENS1_25partition_config_selectorILNS1_17partition_subalgoE3EjNS0_10empty_typeEbEEZZNS1_14partition_implILS8_3ELb0ES6_jNS0_17counting_iteratorIjlEEPS9_SE_NS0_5tupleIJPjSE_EEENSF_IJSE_SE_EEES9_SG_JZNS1_25segmented_radix_sort_implINS0_14default_configELb1EPK12hip_bfloat16PSL_PKlPlN2at6native12_GLOBAL__N_18offset_tEEE10hipError_tPvRmT1_PNSt15iterator_traitsISZ_E10value_typeET2_T3_PNS10_IS15_E10value_typeET4_jRbjT5_S1B_jjP12ihipStream_tbEUljE_EEESW_SX_SY_S15_S19_S1B_T6_T7_T9_mT8_S1D_bDpT10_ENKUlT_T0_E_clISt17integral_constantIbLb1EES1P_IbLb0EEEEDaS1L_S1M_EUlS1L_E_NS1_11comp_targetILNS1_3genE9ELNS1_11target_archE1100ELNS1_3gpuE3ELNS1_3repE0EEENS1_30default_config_static_selectorELNS0_4arch9wavefront6targetE0EEEvSZ_
                                        ; -- End function
	.set _ZN7rocprim17ROCPRIM_400000_NS6detail17trampoline_kernelINS0_13select_configILj256ELj13ELNS0_17block_load_methodE3ELS4_3ELS4_3ELNS0_20block_scan_algorithmE0ELj4294967295EEENS1_25partition_config_selectorILNS1_17partition_subalgoE3EjNS0_10empty_typeEbEEZZNS1_14partition_implILS8_3ELb0ES6_jNS0_17counting_iteratorIjlEEPS9_SE_NS0_5tupleIJPjSE_EEENSF_IJSE_SE_EEES9_SG_JZNS1_25segmented_radix_sort_implINS0_14default_configELb1EPK12hip_bfloat16PSL_PKlPlN2at6native12_GLOBAL__N_18offset_tEEE10hipError_tPvRmT1_PNSt15iterator_traitsISZ_E10value_typeET2_T3_PNS10_IS15_E10value_typeET4_jRbjT5_S1B_jjP12ihipStream_tbEUljE_EEESW_SX_SY_S15_S19_S1B_T6_T7_T9_mT8_S1D_bDpT10_ENKUlT_T0_E_clISt17integral_constantIbLb1EES1P_IbLb0EEEEDaS1L_S1M_EUlS1L_E_NS1_11comp_targetILNS1_3genE9ELNS1_11target_archE1100ELNS1_3gpuE3ELNS1_3repE0EEENS1_30default_config_static_selectorELNS0_4arch9wavefront6targetE0EEEvSZ_.num_vgpr, 0
	.set _ZN7rocprim17ROCPRIM_400000_NS6detail17trampoline_kernelINS0_13select_configILj256ELj13ELNS0_17block_load_methodE3ELS4_3ELS4_3ELNS0_20block_scan_algorithmE0ELj4294967295EEENS1_25partition_config_selectorILNS1_17partition_subalgoE3EjNS0_10empty_typeEbEEZZNS1_14partition_implILS8_3ELb0ES6_jNS0_17counting_iteratorIjlEEPS9_SE_NS0_5tupleIJPjSE_EEENSF_IJSE_SE_EEES9_SG_JZNS1_25segmented_radix_sort_implINS0_14default_configELb1EPK12hip_bfloat16PSL_PKlPlN2at6native12_GLOBAL__N_18offset_tEEE10hipError_tPvRmT1_PNSt15iterator_traitsISZ_E10value_typeET2_T3_PNS10_IS15_E10value_typeET4_jRbjT5_S1B_jjP12ihipStream_tbEUljE_EEESW_SX_SY_S15_S19_S1B_T6_T7_T9_mT8_S1D_bDpT10_ENKUlT_T0_E_clISt17integral_constantIbLb1EES1P_IbLb0EEEEDaS1L_S1M_EUlS1L_E_NS1_11comp_targetILNS1_3genE9ELNS1_11target_archE1100ELNS1_3gpuE3ELNS1_3repE0EEENS1_30default_config_static_selectorELNS0_4arch9wavefront6targetE0EEEvSZ_.num_agpr, 0
	.set _ZN7rocprim17ROCPRIM_400000_NS6detail17trampoline_kernelINS0_13select_configILj256ELj13ELNS0_17block_load_methodE3ELS4_3ELS4_3ELNS0_20block_scan_algorithmE0ELj4294967295EEENS1_25partition_config_selectorILNS1_17partition_subalgoE3EjNS0_10empty_typeEbEEZZNS1_14partition_implILS8_3ELb0ES6_jNS0_17counting_iteratorIjlEEPS9_SE_NS0_5tupleIJPjSE_EEENSF_IJSE_SE_EEES9_SG_JZNS1_25segmented_radix_sort_implINS0_14default_configELb1EPK12hip_bfloat16PSL_PKlPlN2at6native12_GLOBAL__N_18offset_tEEE10hipError_tPvRmT1_PNSt15iterator_traitsISZ_E10value_typeET2_T3_PNS10_IS15_E10value_typeET4_jRbjT5_S1B_jjP12ihipStream_tbEUljE_EEESW_SX_SY_S15_S19_S1B_T6_T7_T9_mT8_S1D_bDpT10_ENKUlT_T0_E_clISt17integral_constantIbLb1EES1P_IbLb0EEEEDaS1L_S1M_EUlS1L_E_NS1_11comp_targetILNS1_3genE9ELNS1_11target_archE1100ELNS1_3gpuE3ELNS1_3repE0EEENS1_30default_config_static_selectorELNS0_4arch9wavefront6targetE0EEEvSZ_.numbered_sgpr, 0
	.set _ZN7rocprim17ROCPRIM_400000_NS6detail17trampoline_kernelINS0_13select_configILj256ELj13ELNS0_17block_load_methodE3ELS4_3ELS4_3ELNS0_20block_scan_algorithmE0ELj4294967295EEENS1_25partition_config_selectorILNS1_17partition_subalgoE3EjNS0_10empty_typeEbEEZZNS1_14partition_implILS8_3ELb0ES6_jNS0_17counting_iteratorIjlEEPS9_SE_NS0_5tupleIJPjSE_EEENSF_IJSE_SE_EEES9_SG_JZNS1_25segmented_radix_sort_implINS0_14default_configELb1EPK12hip_bfloat16PSL_PKlPlN2at6native12_GLOBAL__N_18offset_tEEE10hipError_tPvRmT1_PNSt15iterator_traitsISZ_E10value_typeET2_T3_PNS10_IS15_E10value_typeET4_jRbjT5_S1B_jjP12ihipStream_tbEUljE_EEESW_SX_SY_S15_S19_S1B_T6_T7_T9_mT8_S1D_bDpT10_ENKUlT_T0_E_clISt17integral_constantIbLb1EES1P_IbLb0EEEEDaS1L_S1M_EUlS1L_E_NS1_11comp_targetILNS1_3genE9ELNS1_11target_archE1100ELNS1_3gpuE3ELNS1_3repE0EEENS1_30default_config_static_selectorELNS0_4arch9wavefront6targetE0EEEvSZ_.num_named_barrier, 0
	.set _ZN7rocprim17ROCPRIM_400000_NS6detail17trampoline_kernelINS0_13select_configILj256ELj13ELNS0_17block_load_methodE3ELS4_3ELS4_3ELNS0_20block_scan_algorithmE0ELj4294967295EEENS1_25partition_config_selectorILNS1_17partition_subalgoE3EjNS0_10empty_typeEbEEZZNS1_14partition_implILS8_3ELb0ES6_jNS0_17counting_iteratorIjlEEPS9_SE_NS0_5tupleIJPjSE_EEENSF_IJSE_SE_EEES9_SG_JZNS1_25segmented_radix_sort_implINS0_14default_configELb1EPK12hip_bfloat16PSL_PKlPlN2at6native12_GLOBAL__N_18offset_tEEE10hipError_tPvRmT1_PNSt15iterator_traitsISZ_E10value_typeET2_T3_PNS10_IS15_E10value_typeET4_jRbjT5_S1B_jjP12ihipStream_tbEUljE_EEESW_SX_SY_S15_S19_S1B_T6_T7_T9_mT8_S1D_bDpT10_ENKUlT_T0_E_clISt17integral_constantIbLb1EES1P_IbLb0EEEEDaS1L_S1M_EUlS1L_E_NS1_11comp_targetILNS1_3genE9ELNS1_11target_archE1100ELNS1_3gpuE3ELNS1_3repE0EEENS1_30default_config_static_selectorELNS0_4arch9wavefront6targetE0EEEvSZ_.private_seg_size, 0
	.set _ZN7rocprim17ROCPRIM_400000_NS6detail17trampoline_kernelINS0_13select_configILj256ELj13ELNS0_17block_load_methodE3ELS4_3ELS4_3ELNS0_20block_scan_algorithmE0ELj4294967295EEENS1_25partition_config_selectorILNS1_17partition_subalgoE3EjNS0_10empty_typeEbEEZZNS1_14partition_implILS8_3ELb0ES6_jNS0_17counting_iteratorIjlEEPS9_SE_NS0_5tupleIJPjSE_EEENSF_IJSE_SE_EEES9_SG_JZNS1_25segmented_radix_sort_implINS0_14default_configELb1EPK12hip_bfloat16PSL_PKlPlN2at6native12_GLOBAL__N_18offset_tEEE10hipError_tPvRmT1_PNSt15iterator_traitsISZ_E10value_typeET2_T3_PNS10_IS15_E10value_typeET4_jRbjT5_S1B_jjP12ihipStream_tbEUljE_EEESW_SX_SY_S15_S19_S1B_T6_T7_T9_mT8_S1D_bDpT10_ENKUlT_T0_E_clISt17integral_constantIbLb1EES1P_IbLb0EEEEDaS1L_S1M_EUlS1L_E_NS1_11comp_targetILNS1_3genE9ELNS1_11target_archE1100ELNS1_3gpuE3ELNS1_3repE0EEENS1_30default_config_static_selectorELNS0_4arch9wavefront6targetE0EEEvSZ_.uses_vcc, 0
	.set _ZN7rocprim17ROCPRIM_400000_NS6detail17trampoline_kernelINS0_13select_configILj256ELj13ELNS0_17block_load_methodE3ELS4_3ELS4_3ELNS0_20block_scan_algorithmE0ELj4294967295EEENS1_25partition_config_selectorILNS1_17partition_subalgoE3EjNS0_10empty_typeEbEEZZNS1_14partition_implILS8_3ELb0ES6_jNS0_17counting_iteratorIjlEEPS9_SE_NS0_5tupleIJPjSE_EEENSF_IJSE_SE_EEES9_SG_JZNS1_25segmented_radix_sort_implINS0_14default_configELb1EPK12hip_bfloat16PSL_PKlPlN2at6native12_GLOBAL__N_18offset_tEEE10hipError_tPvRmT1_PNSt15iterator_traitsISZ_E10value_typeET2_T3_PNS10_IS15_E10value_typeET4_jRbjT5_S1B_jjP12ihipStream_tbEUljE_EEESW_SX_SY_S15_S19_S1B_T6_T7_T9_mT8_S1D_bDpT10_ENKUlT_T0_E_clISt17integral_constantIbLb1EES1P_IbLb0EEEEDaS1L_S1M_EUlS1L_E_NS1_11comp_targetILNS1_3genE9ELNS1_11target_archE1100ELNS1_3gpuE3ELNS1_3repE0EEENS1_30default_config_static_selectorELNS0_4arch9wavefront6targetE0EEEvSZ_.uses_flat_scratch, 0
	.set _ZN7rocprim17ROCPRIM_400000_NS6detail17trampoline_kernelINS0_13select_configILj256ELj13ELNS0_17block_load_methodE3ELS4_3ELS4_3ELNS0_20block_scan_algorithmE0ELj4294967295EEENS1_25partition_config_selectorILNS1_17partition_subalgoE3EjNS0_10empty_typeEbEEZZNS1_14partition_implILS8_3ELb0ES6_jNS0_17counting_iteratorIjlEEPS9_SE_NS0_5tupleIJPjSE_EEENSF_IJSE_SE_EEES9_SG_JZNS1_25segmented_radix_sort_implINS0_14default_configELb1EPK12hip_bfloat16PSL_PKlPlN2at6native12_GLOBAL__N_18offset_tEEE10hipError_tPvRmT1_PNSt15iterator_traitsISZ_E10value_typeET2_T3_PNS10_IS15_E10value_typeET4_jRbjT5_S1B_jjP12ihipStream_tbEUljE_EEESW_SX_SY_S15_S19_S1B_T6_T7_T9_mT8_S1D_bDpT10_ENKUlT_T0_E_clISt17integral_constantIbLb1EES1P_IbLb0EEEEDaS1L_S1M_EUlS1L_E_NS1_11comp_targetILNS1_3genE9ELNS1_11target_archE1100ELNS1_3gpuE3ELNS1_3repE0EEENS1_30default_config_static_selectorELNS0_4arch9wavefront6targetE0EEEvSZ_.has_dyn_sized_stack, 0
	.set _ZN7rocprim17ROCPRIM_400000_NS6detail17trampoline_kernelINS0_13select_configILj256ELj13ELNS0_17block_load_methodE3ELS4_3ELS4_3ELNS0_20block_scan_algorithmE0ELj4294967295EEENS1_25partition_config_selectorILNS1_17partition_subalgoE3EjNS0_10empty_typeEbEEZZNS1_14partition_implILS8_3ELb0ES6_jNS0_17counting_iteratorIjlEEPS9_SE_NS0_5tupleIJPjSE_EEENSF_IJSE_SE_EEES9_SG_JZNS1_25segmented_radix_sort_implINS0_14default_configELb1EPK12hip_bfloat16PSL_PKlPlN2at6native12_GLOBAL__N_18offset_tEEE10hipError_tPvRmT1_PNSt15iterator_traitsISZ_E10value_typeET2_T3_PNS10_IS15_E10value_typeET4_jRbjT5_S1B_jjP12ihipStream_tbEUljE_EEESW_SX_SY_S15_S19_S1B_T6_T7_T9_mT8_S1D_bDpT10_ENKUlT_T0_E_clISt17integral_constantIbLb1EES1P_IbLb0EEEEDaS1L_S1M_EUlS1L_E_NS1_11comp_targetILNS1_3genE9ELNS1_11target_archE1100ELNS1_3gpuE3ELNS1_3repE0EEENS1_30default_config_static_selectorELNS0_4arch9wavefront6targetE0EEEvSZ_.has_recursion, 0
	.set _ZN7rocprim17ROCPRIM_400000_NS6detail17trampoline_kernelINS0_13select_configILj256ELj13ELNS0_17block_load_methodE3ELS4_3ELS4_3ELNS0_20block_scan_algorithmE0ELj4294967295EEENS1_25partition_config_selectorILNS1_17partition_subalgoE3EjNS0_10empty_typeEbEEZZNS1_14partition_implILS8_3ELb0ES6_jNS0_17counting_iteratorIjlEEPS9_SE_NS0_5tupleIJPjSE_EEENSF_IJSE_SE_EEES9_SG_JZNS1_25segmented_radix_sort_implINS0_14default_configELb1EPK12hip_bfloat16PSL_PKlPlN2at6native12_GLOBAL__N_18offset_tEEE10hipError_tPvRmT1_PNSt15iterator_traitsISZ_E10value_typeET2_T3_PNS10_IS15_E10value_typeET4_jRbjT5_S1B_jjP12ihipStream_tbEUljE_EEESW_SX_SY_S15_S19_S1B_T6_T7_T9_mT8_S1D_bDpT10_ENKUlT_T0_E_clISt17integral_constantIbLb1EES1P_IbLb0EEEEDaS1L_S1M_EUlS1L_E_NS1_11comp_targetILNS1_3genE9ELNS1_11target_archE1100ELNS1_3gpuE3ELNS1_3repE0EEENS1_30default_config_static_selectorELNS0_4arch9wavefront6targetE0EEEvSZ_.has_indirect_call, 0
	.section	.AMDGPU.csdata,"",@progbits
; Kernel info:
; codeLenInByte = 0
; TotalNumSgprs: 0
; NumVgprs: 0
; ScratchSize: 0
; MemoryBound: 0
; FloatMode: 240
; IeeeMode: 1
; LDSByteSize: 0 bytes/workgroup (compile time only)
; SGPRBlocks: 0
; VGPRBlocks: 0
; NumSGPRsForWavesPerEU: 1
; NumVGPRsForWavesPerEU: 1
; NamedBarCnt: 0
; Occupancy: 16
; WaveLimiterHint : 0
; COMPUTE_PGM_RSRC2:SCRATCH_EN: 0
; COMPUTE_PGM_RSRC2:USER_SGPR: 2
; COMPUTE_PGM_RSRC2:TRAP_HANDLER: 0
; COMPUTE_PGM_RSRC2:TGID_X_EN: 1
; COMPUTE_PGM_RSRC2:TGID_Y_EN: 0
; COMPUTE_PGM_RSRC2:TGID_Z_EN: 0
; COMPUTE_PGM_RSRC2:TIDIG_COMP_CNT: 0
	.section	.text._ZN7rocprim17ROCPRIM_400000_NS6detail17trampoline_kernelINS0_13select_configILj256ELj13ELNS0_17block_load_methodE3ELS4_3ELS4_3ELNS0_20block_scan_algorithmE0ELj4294967295EEENS1_25partition_config_selectorILNS1_17partition_subalgoE3EjNS0_10empty_typeEbEEZZNS1_14partition_implILS8_3ELb0ES6_jNS0_17counting_iteratorIjlEEPS9_SE_NS0_5tupleIJPjSE_EEENSF_IJSE_SE_EEES9_SG_JZNS1_25segmented_radix_sort_implINS0_14default_configELb1EPK12hip_bfloat16PSL_PKlPlN2at6native12_GLOBAL__N_18offset_tEEE10hipError_tPvRmT1_PNSt15iterator_traitsISZ_E10value_typeET2_T3_PNS10_IS15_E10value_typeET4_jRbjT5_S1B_jjP12ihipStream_tbEUljE_EEESW_SX_SY_S15_S19_S1B_T6_T7_T9_mT8_S1D_bDpT10_ENKUlT_T0_E_clISt17integral_constantIbLb1EES1P_IbLb0EEEEDaS1L_S1M_EUlS1L_E_NS1_11comp_targetILNS1_3genE8ELNS1_11target_archE1030ELNS1_3gpuE2ELNS1_3repE0EEENS1_30default_config_static_selectorELNS0_4arch9wavefront6targetE0EEEvSZ_,"axG",@progbits,_ZN7rocprim17ROCPRIM_400000_NS6detail17trampoline_kernelINS0_13select_configILj256ELj13ELNS0_17block_load_methodE3ELS4_3ELS4_3ELNS0_20block_scan_algorithmE0ELj4294967295EEENS1_25partition_config_selectorILNS1_17partition_subalgoE3EjNS0_10empty_typeEbEEZZNS1_14partition_implILS8_3ELb0ES6_jNS0_17counting_iteratorIjlEEPS9_SE_NS0_5tupleIJPjSE_EEENSF_IJSE_SE_EEES9_SG_JZNS1_25segmented_radix_sort_implINS0_14default_configELb1EPK12hip_bfloat16PSL_PKlPlN2at6native12_GLOBAL__N_18offset_tEEE10hipError_tPvRmT1_PNSt15iterator_traitsISZ_E10value_typeET2_T3_PNS10_IS15_E10value_typeET4_jRbjT5_S1B_jjP12ihipStream_tbEUljE_EEESW_SX_SY_S15_S19_S1B_T6_T7_T9_mT8_S1D_bDpT10_ENKUlT_T0_E_clISt17integral_constantIbLb1EES1P_IbLb0EEEEDaS1L_S1M_EUlS1L_E_NS1_11comp_targetILNS1_3genE8ELNS1_11target_archE1030ELNS1_3gpuE2ELNS1_3repE0EEENS1_30default_config_static_selectorELNS0_4arch9wavefront6targetE0EEEvSZ_,comdat
	.globl	_ZN7rocprim17ROCPRIM_400000_NS6detail17trampoline_kernelINS0_13select_configILj256ELj13ELNS0_17block_load_methodE3ELS4_3ELS4_3ELNS0_20block_scan_algorithmE0ELj4294967295EEENS1_25partition_config_selectorILNS1_17partition_subalgoE3EjNS0_10empty_typeEbEEZZNS1_14partition_implILS8_3ELb0ES6_jNS0_17counting_iteratorIjlEEPS9_SE_NS0_5tupleIJPjSE_EEENSF_IJSE_SE_EEES9_SG_JZNS1_25segmented_radix_sort_implINS0_14default_configELb1EPK12hip_bfloat16PSL_PKlPlN2at6native12_GLOBAL__N_18offset_tEEE10hipError_tPvRmT1_PNSt15iterator_traitsISZ_E10value_typeET2_T3_PNS10_IS15_E10value_typeET4_jRbjT5_S1B_jjP12ihipStream_tbEUljE_EEESW_SX_SY_S15_S19_S1B_T6_T7_T9_mT8_S1D_bDpT10_ENKUlT_T0_E_clISt17integral_constantIbLb1EES1P_IbLb0EEEEDaS1L_S1M_EUlS1L_E_NS1_11comp_targetILNS1_3genE8ELNS1_11target_archE1030ELNS1_3gpuE2ELNS1_3repE0EEENS1_30default_config_static_selectorELNS0_4arch9wavefront6targetE0EEEvSZ_ ; -- Begin function _ZN7rocprim17ROCPRIM_400000_NS6detail17trampoline_kernelINS0_13select_configILj256ELj13ELNS0_17block_load_methodE3ELS4_3ELS4_3ELNS0_20block_scan_algorithmE0ELj4294967295EEENS1_25partition_config_selectorILNS1_17partition_subalgoE3EjNS0_10empty_typeEbEEZZNS1_14partition_implILS8_3ELb0ES6_jNS0_17counting_iteratorIjlEEPS9_SE_NS0_5tupleIJPjSE_EEENSF_IJSE_SE_EEES9_SG_JZNS1_25segmented_radix_sort_implINS0_14default_configELb1EPK12hip_bfloat16PSL_PKlPlN2at6native12_GLOBAL__N_18offset_tEEE10hipError_tPvRmT1_PNSt15iterator_traitsISZ_E10value_typeET2_T3_PNS10_IS15_E10value_typeET4_jRbjT5_S1B_jjP12ihipStream_tbEUljE_EEESW_SX_SY_S15_S19_S1B_T6_T7_T9_mT8_S1D_bDpT10_ENKUlT_T0_E_clISt17integral_constantIbLb1EES1P_IbLb0EEEEDaS1L_S1M_EUlS1L_E_NS1_11comp_targetILNS1_3genE8ELNS1_11target_archE1030ELNS1_3gpuE2ELNS1_3repE0EEENS1_30default_config_static_selectorELNS0_4arch9wavefront6targetE0EEEvSZ_
	.p2align	8
	.type	_ZN7rocprim17ROCPRIM_400000_NS6detail17trampoline_kernelINS0_13select_configILj256ELj13ELNS0_17block_load_methodE3ELS4_3ELS4_3ELNS0_20block_scan_algorithmE0ELj4294967295EEENS1_25partition_config_selectorILNS1_17partition_subalgoE3EjNS0_10empty_typeEbEEZZNS1_14partition_implILS8_3ELb0ES6_jNS0_17counting_iteratorIjlEEPS9_SE_NS0_5tupleIJPjSE_EEENSF_IJSE_SE_EEES9_SG_JZNS1_25segmented_radix_sort_implINS0_14default_configELb1EPK12hip_bfloat16PSL_PKlPlN2at6native12_GLOBAL__N_18offset_tEEE10hipError_tPvRmT1_PNSt15iterator_traitsISZ_E10value_typeET2_T3_PNS10_IS15_E10value_typeET4_jRbjT5_S1B_jjP12ihipStream_tbEUljE_EEESW_SX_SY_S15_S19_S1B_T6_T7_T9_mT8_S1D_bDpT10_ENKUlT_T0_E_clISt17integral_constantIbLb1EES1P_IbLb0EEEEDaS1L_S1M_EUlS1L_E_NS1_11comp_targetILNS1_3genE8ELNS1_11target_archE1030ELNS1_3gpuE2ELNS1_3repE0EEENS1_30default_config_static_selectorELNS0_4arch9wavefront6targetE0EEEvSZ_,@function
_ZN7rocprim17ROCPRIM_400000_NS6detail17trampoline_kernelINS0_13select_configILj256ELj13ELNS0_17block_load_methodE3ELS4_3ELS4_3ELNS0_20block_scan_algorithmE0ELj4294967295EEENS1_25partition_config_selectorILNS1_17partition_subalgoE3EjNS0_10empty_typeEbEEZZNS1_14partition_implILS8_3ELb0ES6_jNS0_17counting_iteratorIjlEEPS9_SE_NS0_5tupleIJPjSE_EEENSF_IJSE_SE_EEES9_SG_JZNS1_25segmented_radix_sort_implINS0_14default_configELb1EPK12hip_bfloat16PSL_PKlPlN2at6native12_GLOBAL__N_18offset_tEEE10hipError_tPvRmT1_PNSt15iterator_traitsISZ_E10value_typeET2_T3_PNS10_IS15_E10value_typeET4_jRbjT5_S1B_jjP12ihipStream_tbEUljE_EEESW_SX_SY_S15_S19_S1B_T6_T7_T9_mT8_S1D_bDpT10_ENKUlT_T0_E_clISt17integral_constantIbLb1EES1P_IbLb0EEEEDaS1L_S1M_EUlS1L_E_NS1_11comp_targetILNS1_3genE8ELNS1_11target_archE1030ELNS1_3gpuE2ELNS1_3repE0EEENS1_30default_config_static_selectorELNS0_4arch9wavefront6targetE0EEEvSZ_: ; @_ZN7rocprim17ROCPRIM_400000_NS6detail17trampoline_kernelINS0_13select_configILj256ELj13ELNS0_17block_load_methodE3ELS4_3ELS4_3ELNS0_20block_scan_algorithmE0ELj4294967295EEENS1_25partition_config_selectorILNS1_17partition_subalgoE3EjNS0_10empty_typeEbEEZZNS1_14partition_implILS8_3ELb0ES6_jNS0_17counting_iteratorIjlEEPS9_SE_NS0_5tupleIJPjSE_EEENSF_IJSE_SE_EEES9_SG_JZNS1_25segmented_radix_sort_implINS0_14default_configELb1EPK12hip_bfloat16PSL_PKlPlN2at6native12_GLOBAL__N_18offset_tEEE10hipError_tPvRmT1_PNSt15iterator_traitsISZ_E10value_typeET2_T3_PNS10_IS15_E10value_typeET4_jRbjT5_S1B_jjP12ihipStream_tbEUljE_EEESW_SX_SY_S15_S19_S1B_T6_T7_T9_mT8_S1D_bDpT10_ENKUlT_T0_E_clISt17integral_constantIbLb1EES1P_IbLb0EEEEDaS1L_S1M_EUlS1L_E_NS1_11comp_targetILNS1_3genE8ELNS1_11target_archE1030ELNS1_3gpuE2ELNS1_3repE0EEENS1_30default_config_static_selectorELNS0_4arch9wavefront6targetE0EEEvSZ_
; %bb.0:
	.section	.rodata,"a",@progbits
	.p2align	6, 0x0
	.amdhsa_kernel _ZN7rocprim17ROCPRIM_400000_NS6detail17trampoline_kernelINS0_13select_configILj256ELj13ELNS0_17block_load_methodE3ELS4_3ELS4_3ELNS0_20block_scan_algorithmE0ELj4294967295EEENS1_25partition_config_selectorILNS1_17partition_subalgoE3EjNS0_10empty_typeEbEEZZNS1_14partition_implILS8_3ELb0ES6_jNS0_17counting_iteratorIjlEEPS9_SE_NS0_5tupleIJPjSE_EEENSF_IJSE_SE_EEES9_SG_JZNS1_25segmented_radix_sort_implINS0_14default_configELb1EPK12hip_bfloat16PSL_PKlPlN2at6native12_GLOBAL__N_18offset_tEEE10hipError_tPvRmT1_PNSt15iterator_traitsISZ_E10value_typeET2_T3_PNS10_IS15_E10value_typeET4_jRbjT5_S1B_jjP12ihipStream_tbEUljE_EEESW_SX_SY_S15_S19_S1B_T6_T7_T9_mT8_S1D_bDpT10_ENKUlT_T0_E_clISt17integral_constantIbLb1EES1P_IbLb0EEEEDaS1L_S1M_EUlS1L_E_NS1_11comp_targetILNS1_3genE8ELNS1_11target_archE1030ELNS1_3gpuE2ELNS1_3repE0EEENS1_30default_config_static_selectorELNS0_4arch9wavefront6targetE0EEEvSZ_
		.amdhsa_group_segment_fixed_size 0
		.amdhsa_private_segment_fixed_size 0
		.amdhsa_kernarg_size 144
		.amdhsa_user_sgpr_count 2
		.amdhsa_user_sgpr_dispatch_ptr 0
		.amdhsa_user_sgpr_queue_ptr 0
		.amdhsa_user_sgpr_kernarg_segment_ptr 1
		.amdhsa_user_sgpr_dispatch_id 0
		.amdhsa_user_sgpr_kernarg_preload_length 0
		.amdhsa_user_sgpr_kernarg_preload_offset 0
		.amdhsa_user_sgpr_private_segment_size 0
		.amdhsa_wavefront_size32 1
		.amdhsa_uses_dynamic_stack 0
		.amdhsa_enable_private_segment 0
		.amdhsa_system_sgpr_workgroup_id_x 1
		.amdhsa_system_sgpr_workgroup_id_y 0
		.amdhsa_system_sgpr_workgroup_id_z 0
		.amdhsa_system_sgpr_workgroup_info 0
		.amdhsa_system_vgpr_workitem_id 0
		.amdhsa_next_free_vgpr 1
		.amdhsa_next_free_sgpr 1
		.amdhsa_named_barrier_count 0
		.amdhsa_reserve_vcc 0
		.amdhsa_float_round_mode_32 0
		.amdhsa_float_round_mode_16_64 0
		.amdhsa_float_denorm_mode_32 3
		.amdhsa_float_denorm_mode_16_64 3
		.amdhsa_fp16_overflow 0
		.amdhsa_memory_ordered 1
		.amdhsa_forward_progress 1
		.amdhsa_inst_pref_size 0
		.amdhsa_round_robin_scheduling 0
		.amdhsa_exception_fp_ieee_invalid_op 0
		.amdhsa_exception_fp_denorm_src 0
		.amdhsa_exception_fp_ieee_div_zero 0
		.amdhsa_exception_fp_ieee_overflow 0
		.amdhsa_exception_fp_ieee_underflow 0
		.amdhsa_exception_fp_ieee_inexact 0
		.amdhsa_exception_int_div_zero 0
	.end_amdhsa_kernel
	.section	.text._ZN7rocprim17ROCPRIM_400000_NS6detail17trampoline_kernelINS0_13select_configILj256ELj13ELNS0_17block_load_methodE3ELS4_3ELS4_3ELNS0_20block_scan_algorithmE0ELj4294967295EEENS1_25partition_config_selectorILNS1_17partition_subalgoE3EjNS0_10empty_typeEbEEZZNS1_14partition_implILS8_3ELb0ES6_jNS0_17counting_iteratorIjlEEPS9_SE_NS0_5tupleIJPjSE_EEENSF_IJSE_SE_EEES9_SG_JZNS1_25segmented_radix_sort_implINS0_14default_configELb1EPK12hip_bfloat16PSL_PKlPlN2at6native12_GLOBAL__N_18offset_tEEE10hipError_tPvRmT1_PNSt15iterator_traitsISZ_E10value_typeET2_T3_PNS10_IS15_E10value_typeET4_jRbjT5_S1B_jjP12ihipStream_tbEUljE_EEESW_SX_SY_S15_S19_S1B_T6_T7_T9_mT8_S1D_bDpT10_ENKUlT_T0_E_clISt17integral_constantIbLb1EES1P_IbLb0EEEEDaS1L_S1M_EUlS1L_E_NS1_11comp_targetILNS1_3genE8ELNS1_11target_archE1030ELNS1_3gpuE2ELNS1_3repE0EEENS1_30default_config_static_selectorELNS0_4arch9wavefront6targetE0EEEvSZ_,"axG",@progbits,_ZN7rocprim17ROCPRIM_400000_NS6detail17trampoline_kernelINS0_13select_configILj256ELj13ELNS0_17block_load_methodE3ELS4_3ELS4_3ELNS0_20block_scan_algorithmE0ELj4294967295EEENS1_25partition_config_selectorILNS1_17partition_subalgoE3EjNS0_10empty_typeEbEEZZNS1_14partition_implILS8_3ELb0ES6_jNS0_17counting_iteratorIjlEEPS9_SE_NS0_5tupleIJPjSE_EEENSF_IJSE_SE_EEES9_SG_JZNS1_25segmented_radix_sort_implINS0_14default_configELb1EPK12hip_bfloat16PSL_PKlPlN2at6native12_GLOBAL__N_18offset_tEEE10hipError_tPvRmT1_PNSt15iterator_traitsISZ_E10value_typeET2_T3_PNS10_IS15_E10value_typeET4_jRbjT5_S1B_jjP12ihipStream_tbEUljE_EEESW_SX_SY_S15_S19_S1B_T6_T7_T9_mT8_S1D_bDpT10_ENKUlT_T0_E_clISt17integral_constantIbLb1EES1P_IbLb0EEEEDaS1L_S1M_EUlS1L_E_NS1_11comp_targetILNS1_3genE8ELNS1_11target_archE1030ELNS1_3gpuE2ELNS1_3repE0EEENS1_30default_config_static_selectorELNS0_4arch9wavefront6targetE0EEEvSZ_,comdat
.Lfunc_end1927:
	.size	_ZN7rocprim17ROCPRIM_400000_NS6detail17trampoline_kernelINS0_13select_configILj256ELj13ELNS0_17block_load_methodE3ELS4_3ELS4_3ELNS0_20block_scan_algorithmE0ELj4294967295EEENS1_25partition_config_selectorILNS1_17partition_subalgoE3EjNS0_10empty_typeEbEEZZNS1_14partition_implILS8_3ELb0ES6_jNS0_17counting_iteratorIjlEEPS9_SE_NS0_5tupleIJPjSE_EEENSF_IJSE_SE_EEES9_SG_JZNS1_25segmented_radix_sort_implINS0_14default_configELb1EPK12hip_bfloat16PSL_PKlPlN2at6native12_GLOBAL__N_18offset_tEEE10hipError_tPvRmT1_PNSt15iterator_traitsISZ_E10value_typeET2_T3_PNS10_IS15_E10value_typeET4_jRbjT5_S1B_jjP12ihipStream_tbEUljE_EEESW_SX_SY_S15_S19_S1B_T6_T7_T9_mT8_S1D_bDpT10_ENKUlT_T0_E_clISt17integral_constantIbLb1EES1P_IbLb0EEEEDaS1L_S1M_EUlS1L_E_NS1_11comp_targetILNS1_3genE8ELNS1_11target_archE1030ELNS1_3gpuE2ELNS1_3repE0EEENS1_30default_config_static_selectorELNS0_4arch9wavefront6targetE0EEEvSZ_, .Lfunc_end1927-_ZN7rocprim17ROCPRIM_400000_NS6detail17trampoline_kernelINS0_13select_configILj256ELj13ELNS0_17block_load_methodE3ELS4_3ELS4_3ELNS0_20block_scan_algorithmE0ELj4294967295EEENS1_25partition_config_selectorILNS1_17partition_subalgoE3EjNS0_10empty_typeEbEEZZNS1_14partition_implILS8_3ELb0ES6_jNS0_17counting_iteratorIjlEEPS9_SE_NS0_5tupleIJPjSE_EEENSF_IJSE_SE_EEES9_SG_JZNS1_25segmented_radix_sort_implINS0_14default_configELb1EPK12hip_bfloat16PSL_PKlPlN2at6native12_GLOBAL__N_18offset_tEEE10hipError_tPvRmT1_PNSt15iterator_traitsISZ_E10value_typeET2_T3_PNS10_IS15_E10value_typeET4_jRbjT5_S1B_jjP12ihipStream_tbEUljE_EEESW_SX_SY_S15_S19_S1B_T6_T7_T9_mT8_S1D_bDpT10_ENKUlT_T0_E_clISt17integral_constantIbLb1EES1P_IbLb0EEEEDaS1L_S1M_EUlS1L_E_NS1_11comp_targetILNS1_3genE8ELNS1_11target_archE1030ELNS1_3gpuE2ELNS1_3repE0EEENS1_30default_config_static_selectorELNS0_4arch9wavefront6targetE0EEEvSZ_
                                        ; -- End function
	.set _ZN7rocprim17ROCPRIM_400000_NS6detail17trampoline_kernelINS0_13select_configILj256ELj13ELNS0_17block_load_methodE3ELS4_3ELS4_3ELNS0_20block_scan_algorithmE0ELj4294967295EEENS1_25partition_config_selectorILNS1_17partition_subalgoE3EjNS0_10empty_typeEbEEZZNS1_14partition_implILS8_3ELb0ES6_jNS0_17counting_iteratorIjlEEPS9_SE_NS0_5tupleIJPjSE_EEENSF_IJSE_SE_EEES9_SG_JZNS1_25segmented_radix_sort_implINS0_14default_configELb1EPK12hip_bfloat16PSL_PKlPlN2at6native12_GLOBAL__N_18offset_tEEE10hipError_tPvRmT1_PNSt15iterator_traitsISZ_E10value_typeET2_T3_PNS10_IS15_E10value_typeET4_jRbjT5_S1B_jjP12ihipStream_tbEUljE_EEESW_SX_SY_S15_S19_S1B_T6_T7_T9_mT8_S1D_bDpT10_ENKUlT_T0_E_clISt17integral_constantIbLb1EES1P_IbLb0EEEEDaS1L_S1M_EUlS1L_E_NS1_11comp_targetILNS1_3genE8ELNS1_11target_archE1030ELNS1_3gpuE2ELNS1_3repE0EEENS1_30default_config_static_selectorELNS0_4arch9wavefront6targetE0EEEvSZ_.num_vgpr, 0
	.set _ZN7rocprim17ROCPRIM_400000_NS6detail17trampoline_kernelINS0_13select_configILj256ELj13ELNS0_17block_load_methodE3ELS4_3ELS4_3ELNS0_20block_scan_algorithmE0ELj4294967295EEENS1_25partition_config_selectorILNS1_17partition_subalgoE3EjNS0_10empty_typeEbEEZZNS1_14partition_implILS8_3ELb0ES6_jNS0_17counting_iteratorIjlEEPS9_SE_NS0_5tupleIJPjSE_EEENSF_IJSE_SE_EEES9_SG_JZNS1_25segmented_radix_sort_implINS0_14default_configELb1EPK12hip_bfloat16PSL_PKlPlN2at6native12_GLOBAL__N_18offset_tEEE10hipError_tPvRmT1_PNSt15iterator_traitsISZ_E10value_typeET2_T3_PNS10_IS15_E10value_typeET4_jRbjT5_S1B_jjP12ihipStream_tbEUljE_EEESW_SX_SY_S15_S19_S1B_T6_T7_T9_mT8_S1D_bDpT10_ENKUlT_T0_E_clISt17integral_constantIbLb1EES1P_IbLb0EEEEDaS1L_S1M_EUlS1L_E_NS1_11comp_targetILNS1_3genE8ELNS1_11target_archE1030ELNS1_3gpuE2ELNS1_3repE0EEENS1_30default_config_static_selectorELNS0_4arch9wavefront6targetE0EEEvSZ_.num_agpr, 0
	.set _ZN7rocprim17ROCPRIM_400000_NS6detail17trampoline_kernelINS0_13select_configILj256ELj13ELNS0_17block_load_methodE3ELS4_3ELS4_3ELNS0_20block_scan_algorithmE0ELj4294967295EEENS1_25partition_config_selectorILNS1_17partition_subalgoE3EjNS0_10empty_typeEbEEZZNS1_14partition_implILS8_3ELb0ES6_jNS0_17counting_iteratorIjlEEPS9_SE_NS0_5tupleIJPjSE_EEENSF_IJSE_SE_EEES9_SG_JZNS1_25segmented_radix_sort_implINS0_14default_configELb1EPK12hip_bfloat16PSL_PKlPlN2at6native12_GLOBAL__N_18offset_tEEE10hipError_tPvRmT1_PNSt15iterator_traitsISZ_E10value_typeET2_T3_PNS10_IS15_E10value_typeET4_jRbjT5_S1B_jjP12ihipStream_tbEUljE_EEESW_SX_SY_S15_S19_S1B_T6_T7_T9_mT8_S1D_bDpT10_ENKUlT_T0_E_clISt17integral_constantIbLb1EES1P_IbLb0EEEEDaS1L_S1M_EUlS1L_E_NS1_11comp_targetILNS1_3genE8ELNS1_11target_archE1030ELNS1_3gpuE2ELNS1_3repE0EEENS1_30default_config_static_selectorELNS0_4arch9wavefront6targetE0EEEvSZ_.numbered_sgpr, 0
	.set _ZN7rocprim17ROCPRIM_400000_NS6detail17trampoline_kernelINS0_13select_configILj256ELj13ELNS0_17block_load_methodE3ELS4_3ELS4_3ELNS0_20block_scan_algorithmE0ELj4294967295EEENS1_25partition_config_selectorILNS1_17partition_subalgoE3EjNS0_10empty_typeEbEEZZNS1_14partition_implILS8_3ELb0ES6_jNS0_17counting_iteratorIjlEEPS9_SE_NS0_5tupleIJPjSE_EEENSF_IJSE_SE_EEES9_SG_JZNS1_25segmented_radix_sort_implINS0_14default_configELb1EPK12hip_bfloat16PSL_PKlPlN2at6native12_GLOBAL__N_18offset_tEEE10hipError_tPvRmT1_PNSt15iterator_traitsISZ_E10value_typeET2_T3_PNS10_IS15_E10value_typeET4_jRbjT5_S1B_jjP12ihipStream_tbEUljE_EEESW_SX_SY_S15_S19_S1B_T6_T7_T9_mT8_S1D_bDpT10_ENKUlT_T0_E_clISt17integral_constantIbLb1EES1P_IbLb0EEEEDaS1L_S1M_EUlS1L_E_NS1_11comp_targetILNS1_3genE8ELNS1_11target_archE1030ELNS1_3gpuE2ELNS1_3repE0EEENS1_30default_config_static_selectorELNS0_4arch9wavefront6targetE0EEEvSZ_.num_named_barrier, 0
	.set _ZN7rocprim17ROCPRIM_400000_NS6detail17trampoline_kernelINS0_13select_configILj256ELj13ELNS0_17block_load_methodE3ELS4_3ELS4_3ELNS0_20block_scan_algorithmE0ELj4294967295EEENS1_25partition_config_selectorILNS1_17partition_subalgoE3EjNS0_10empty_typeEbEEZZNS1_14partition_implILS8_3ELb0ES6_jNS0_17counting_iteratorIjlEEPS9_SE_NS0_5tupleIJPjSE_EEENSF_IJSE_SE_EEES9_SG_JZNS1_25segmented_radix_sort_implINS0_14default_configELb1EPK12hip_bfloat16PSL_PKlPlN2at6native12_GLOBAL__N_18offset_tEEE10hipError_tPvRmT1_PNSt15iterator_traitsISZ_E10value_typeET2_T3_PNS10_IS15_E10value_typeET4_jRbjT5_S1B_jjP12ihipStream_tbEUljE_EEESW_SX_SY_S15_S19_S1B_T6_T7_T9_mT8_S1D_bDpT10_ENKUlT_T0_E_clISt17integral_constantIbLb1EES1P_IbLb0EEEEDaS1L_S1M_EUlS1L_E_NS1_11comp_targetILNS1_3genE8ELNS1_11target_archE1030ELNS1_3gpuE2ELNS1_3repE0EEENS1_30default_config_static_selectorELNS0_4arch9wavefront6targetE0EEEvSZ_.private_seg_size, 0
	.set _ZN7rocprim17ROCPRIM_400000_NS6detail17trampoline_kernelINS0_13select_configILj256ELj13ELNS0_17block_load_methodE3ELS4_3ELS4_3ELNS0_20block_scan_algorithmE0ELj4294967295EEENS1_25partition_config_selectorILNS1_17partition_subalgoE3EjNS0_10empty_typeEbEEZZNS1_14partition_implILS8_3ELb0ES6_jNS0_17counting_iteratorIjlEEPS9_SE_NS0_5tupleIJPjSE_EEENSF_IJSE_SE_EEES9_SG_JZNS1_25segmented_radix_sort_implINS0_14default_configELb1EPK12hip_bfloat16PSL_PKlPlN2at6native12_GLOBAL__N_18offset_tEEE10hipError_tPvRmT1_PNSt15iterator_traitsISZ_E10value_typeET2_T3_PNS10_IS15_E10value_typeET4_jRbjT5_S1B_jjP12ihipStream_tbEUljE_EEESW_SX_SY_S15_S19_S1B_T6_T7_T9_mT8_S1D_bDpT10_ENKUlT_T0_E_clISt17integral_constantIbLb1EES1P_IbLb0EEEEDaS1L_S1M_EUlS1L_E_NS1_11comp_targetILNS1_3genE8ELNS1_11target_archE1030ELNS1_3gpuE2ELNS1_3repE0EEENS1_30default_config_static_selectorELNS0_4arch9wavefront6targetE0EEEvSZ_.uses_vcc, 0
	.set _ZN7rocprim17ROCPRIM_400000_NS6detail17trampoline_kernelINS0_13select_configILj256ELj13ELNS0_17block_load_methodE3ELS4_3ELS4_3ELNS0_20block_scan_algorithmE0ELj4294967295EEENS1_25partition_config_selectorILNS1_17partition_subalgoE3EjNS0_10empty_typeEbEEZZNS1_14partition_implILS8_3ELb0ES6_jNS0_17counting_iteratorIjlEEPS9_SE_NS0_5tupleIJPjSE_EEENSF_IJSE_SE_EEES9_SG_JZNS1_25segmented_radix_sort_implINS0_14default_configELb1EPK12hip_bfloat16PSL_PKlPlN2at6native12_GLOBAL__N_18offset_tEEE10hipError_tPvRmT1_PNSt15iterator_traitsISZ_E10value_typeET2_T3_PNS10_IS15_E10value_typeET4_jRbjT5_S1B_jjP12ihipStream_tbEUljE_EEESW_SX_SY_S15_S19_S1B_T6_T7_T9_mT8_S1D_bDpT10_ENKUlT_T0_E_clISt17integral_constantIbLb1EES1P_IbLb0EEEEDaS1L_S1M_EUlS1L_E_NS1_11comp_targetILNS1_3genE8ELNS1_11target_archE1030ELNS1_3gpuE2ELNS1_3repE0EEENS1_30default_config_static_selectorELNS0_4arch9wavefront6targetE0EEEvSZ_.uses_flat_scratch, 0
	.set _ZN7rocprim17ROCPRIM_400000_NS6detail17trampoline_kernelINS0_13select_configILj256ELj13ELNS0_17block_load_methodE3ELS4_3ELS4_3ELNS0_20block_scan_algorithmE0ELj4294967295EEENS1_25partition_config_selectorILNS1_17partition_subalgoE3EjNS0_10empty_typeEbEEZZNS1_14partition_implILS8_3ELb0ES6_jNS0_17counting_iteratorIjlEEPS9_SE_NS0_5tupleIJPjSE_EEENSF_IJSE_SE_EEES9_SG_JZNS1_25segmented_radix_sort_implINS0_14default_configELb1EPK12hip_bfloat16PSL_PKlPlN2at6native12_GLOBAL__N_18offset_tEEE10hipError_tPvRmT1_PNSt15iterator_traitsISZ_E10value_typeET2_T3_PNS10_IS15_E10value_typeET4_jRbjT5_S1B_jjP12ihipStream_tbEUljE_EEESW_SX_SY_S15_S19_S1B_T6_T7_T9_mT8_S1D_bDpT10_ENKUlT_T0_E_clISt17integral_constantIbLb1EES1P_IbLb0EEEEDaS1L_S1M_EUlS1L_E_NS1_11comp_targetILNS1_3genE8ELNS1_11target_archE1030ELNS1_3gpuE2ELNS1_3repE0EEENS1_30default_config_static_selectorELNS0_4arch9wavefront6targetE0EEEvSZ_.has_dyn_sized_stack, 0
	.set _ZN7rocprim17ROCPRIM_400000_NS6detail17trampoline_kernelINS0_13select_configILj256ELj13ELNS0_17block_load_methodE3ELS4_3ELS4_3ELNS0_20block_scan_algorithmE0ELj4294967295EEENS1_25partition_config_selectorILNS1_17partition_subalgoE3EjNS0_10empty_typeEbEEZZNS1_14partition_implILS8_3ELb0ES6_jNS0_17counting_iteratorIjlEEPS9_SE_NS0_5tupleIJPjSE_EEENSF_IJSE_SE_EEES9_SG_JZNS1_25segmented_radix_sort_implINS0_14default_configELb1EPK12hip_bfloat16PSL_PKlPlN2at6native12_GLOBAL__N_18offset_tEEE10hipError_tPvRmT1_PNSt15iterator_traitsISZ_E10value_typeET2_T3_PNS10_IS15_E10value_typeET4_jRbjT5_S1B_jjP12ihipStream_tbEUljE_EEESW_SX_SY_S15_S19_S1B_T6_T7_T9_mT8_S1D_bDpT10_ENKUlT_T0_E_clISt17integral_constantIbLb1EES1P_IbLb0EEEEDaS1L_S1M_EUlS1L_E_NS1_11comp_targetILNS1_3genE8ELNS1_11target_archE1030ELNS1_3gpuE2ELNS1_3repE0EEENS1_30default_config_static_selectorELNS0_4arch9wavefront6targetE0EEEvSZ_.has_recursion, 0
	.set _ZN7rocprim17ROCPRIM_400000_NS6detail17trampoline_kernelINS0_13select_configILj256ELj13ELNS0_17block_load_methodE3ELS4_3ELS4_3ELNS0_20block_scan_algorithmE0ELj4294967295EEENS1_25partition_config_selectorILNS1_17partition_subalgoE3EjNS0_10empty_typeEbEEZZNS1_14partition_implILS8_3ELb0ES6_jNS0_17counting_iteratorIjlEEPS9_SE_NS0_5tupleIJPjSE_EEENSF_IJSE_SE_EEES9_SG_JZNS1_25segmented_radix_sort_implINS0_14default_configELb1EPK12hip_bfloat16PSL_PKlPlN2at6native12_GLOBAL__N_18offset_tEEE10hipError_tPvRmT1_PNSt15iterator_traitsISZ_E10value_typeET2_T3_PNS10_IS15_E10value_typeET4_jRbjT5_S1B_jjP12ihipStream_tbEUljE_EEESW_SX_SY_S15_S19_S1B_T6_T7_T9_mT8_S1D_bDpT10_ENKUlT_T0_E_clISt17integral_constantIbLb1EES1P_IbLb0EEEEDaS1L_S1M_EUlS1L_E_NS1_11comp_targetILNS1_3genE8ELNS1_11target_archE1030ELNS1_3gpuE2ELNS1_3repE0EEENS1_30default_config_static_selectorELNS0_4arch9wavefront6targetE0EEEvSZ_.has_indirect_call, 0
	.section	.AMDGPU.csdata,"",@progbits
; Kernel info:
; codeLenInByte = 0
; TotalNumSgprs: 0
; NumVgprs: 0
; ScratchSize: 0
; MemoryBound: 0
; FloatMode: 240
; IeeeMode: 1
; LDSByteSize: 0 bytes/workgroup (compile time only)
; SGPRBlocks: 0
; VGPRBlocks: 0
; NumSGPRsForWavesPerEU: 1
; NumVGPRsForWavesPerEU: 1
; NamedBarCnt: 0
; Occupancy: 16
; WaveLimiterHint : 0
; COMPUTE_PGM_RSRC2:SCRATCH_EN: 0
; COMPUTE_PGM_RSRC2:USER_SGPR: 2
; COMPUTE_PGM_RSRC2:TRAP_HANDLER: 0
; COMPUTE_PGM_RSRC2:TGID_X_EN: 1
; COMPUTE_PGM_RSRC2:TGID_Y_EN: 0
; COMPUTE_PGM_RSRC2:TGID_Z_EN: 0
; COMPUTE_PGM_RSRC2:TIDIG_COMP_CNT: 0
	.section	.text._ZN7rocprim17ROCPRIM_400000_NS6detail17trampoline_kernelINS0_13select_configILj256ELj13ELNS0_17block_load_methodE3ELS4_3ELS4_3ELNS0_20block_scan_algorithmE0ELj4294967295EEENS1_25partition_config_selectorILNS1_17partition_subalgoE3EjNS0_10empty_typeEbEEZZNS1_14partition_implILS8_3ELb0ES6_jNS0_17counting_iteratorIjlEEPS9_SE_NS0_5tupleIJPjSE_EEENSF_IJSE_SE_EEES9_SG_JZNS1_25segmented_radix_sort_implINS0_14default_configELb1EPK12hip_bfloat16PSL_PKlPlN2at6native12_GLOBAL__N_18offset_tEEE10hipError_tPvRmT1_PNSt15iterator_traitsISZ_E10value_typeET2_T3_PNS10_IS15_E10value_typeET4_jRbjT5_S1B_jjP12ihipStream_tbEUljE_EEESW_SX_SY_S15_S19_S1B_T6_T7_T9_mT8_S1D_bDpT10_ENKUlT_T0_E_clISt17integral_constantIbLb0EES1P_IbLb1EEEEDaS1L_S1M_EUlS1L_E_NS1_11comp_targetILNS1_3genE0ELNS1_11target_archE4294967295ELNS1_3gpuE0ELNS1_3repE0EEENS1_30default_config_static_selectorELNS0_4arch9wavefront6targetE0EEEvSZ_,"axG",@progbits,_ZN7rocprim17ROCPRIM_400000_NS6detail17trampoline_kernelINS0_13select_configILj256ELj13ELNS0_17block_load_methodE3ELS4_3ELS4_3ELNS0_20block_scan_algorithmE0ELj4294967295EEENS1_25partition_config_selectorILNS1_17partition_subalgoE3EjNS0_10empty_typeEbEEZZNS1_14partition_implILS8_3ELb0ES6_jNS0_17counting_iteratorIjlEEPS9_SE_NS0_5tupleIJPjSE_EEENSF_IJSE_SE_EEES9_SG_JZNS1_25segmented_radix_sort_implINS0_14default_configELb1EPK12hip_bfloat16PSL_PKlPlN2at6native12_GLOBAL__N_18offset_tEEE10hipError_tPvRmT1_PNSt15iterator_traitsISZ_E10value_typeET2_T3_PNS10_IS15_E10value_typeET4_jRbjT5_S1B_jjP12ihipStream_tbEUljE_EEESW_SX_SY_S15_S19_S1B_T6_T7_T9_mT8_S1D_bDpT10_ENKUlT_T0_E_clISt17integral_constantIbLb0EES1P_IbLb1EEEEDaS1L_S1M_EUlS1L_E_NS1_11comp_targetILNS1_3genE0ELNS1_11target_archE4294967295ELNS1_3gpuE0ELNS1_3repE0EEENS1_30default_config_static_selectorELNS0_4arch9wavefront6targetE0EEEvSZ_,comdat
	.globl	_ZN7rocprim17ROCPRIM_400000_NS6detail17trampoline_kernelINS0_13select_configILj256ELj13ELNS0_17block_load_methodE3ELS4_3ELS4_3ELNS0_20block_scan_algorithmE0ELj4294967295EEENS1_25partition_config_selectorILNS1_17partition_subalgoE3EjNS0_10empty_typeEbEEZZNS1_14partition_implILS8_3ELb0ES6_jNS0_17counting_iteratorIjlEEPS9_SE_NS0_5tupleIJPjSE_EEENSF_IJSE_SE_EEES9_SG_JZNS1_25segmented_radix_sort_implINS0_14default_configELb1EPK12hip_bfloat16PSL_PKlPlN2at6native12_GLOBAL__N_18offset_tEEE10hipError_tPvRmT1_PNSt15iterator_traitsISZ_E10value_typeET2_T3_PNS10_IS15_E10value_typeET4_jRbjT5_S1B_jjP12ihipStream_tbEUljE_EEESW_SX_SY_S15_S19_S1B_T6_T7_T9_mT8_S1D_bDpT10_ENKUlT_T0_E_clISt17integral_constantIbLb0EES1P_IbLb1EEEEDaS1L_S1M_EUlS1L_E_NS1_11comp_targetILNS1_3genE0ELNS1_11target_archE4294967295ELNS1_3gpuE0ELNS1_3repE0EEENS1_30default_config_static_selectorELNS0_4arch9wavefront6targetE0EEEvSZ_ ; -- Begin function _ZN7rocprim17ROCPRIM_400000_NS6detail17trampoline_kernelINS0_13select_configILj256ELj13ELNS0_17block_load_methodE3ELS4_3ELS4_3ELNS0_20block_scan_algorithmE0ELj4294967295EEENS1_25partition_config_selectorILNS1_17partition_subalgoE3EjNS0_10empty_typeEbEEZZNS1_14partition_implILS8_3ELb0ES6_jNS0_17counting_iteratorIjlEEPS9_SE_NS0_5tupleIJPjSE_EEENSF_IJSE_SE_EEES9_SG_JZNS1_25segmented_radix_sort_implINS0_14default_configELb1EPK12hip_bfloat16PSL_PKlPlN2at6native12_GLOBAL__N_18offset_tEEE10hipError_tPvRmT1_PNSt15iterator_traitsISZ_E10value_typeET2_T3_PNS10_IS15_E10value_typeET4_jRbjT5_S1B_jjP12ihipStream_tbEUljE_EEESW_SX_SY_S15_S19_S1B_T6_T7_T9_mT8_S1D_bDpT10_ENKUlT_T0_E_clISt17integral_constantIbLb0EES1P_IbLb1EEEEDaS1L_S1M_EUlS1L_E_NS1_11comp_targetILNS1_3genE0ELNS1_11target_archE4294967295ELNS1_3gpuE0ELNS1_3repE0EEENS1_30default_config_static_selectorELNS0_4arch9wavefront6targetE0EEEvSZ_
	.p2align	8
	.type	_ZN7rocprim17ROCPRIM_400000_NS6detail17trampoline_kernelINS0_13select_configILj256ELj13ELNS0_17block_load_methodE3ELS4_3ELS4_3ELNS0_20block_scan_algorithmE0ELj4294967295EEENS1_25partition_config_selectorILNS1_17partition_subalgoE3EjNS0_10empty_typeEbEEZZNS1_14partition_implILS8_3ELb0ES6_jNS0_17counting_iteratorIjlEEPS9_SE_NS0_5tupleIJPjSE_EEENSF_IJSE_SE_EEES9_SG_JZNS1_25segmented_radix_sort_implINS0_14default_configELb1EPK12hip_bfloat16PSL_PKlPlN2at6native12_GLOBAL__N_18offset_tEEE10hipError_tPvRmT1_PNSt15iterator_traitsISZ_E10value_typeET2_T3_PNS10_IS15_E10value_typeET4_jRbjT5_S1B_jjP12ihipStream_tbEUljE_EEESW_SX_SY_S15_S19_S1B_T6_T7_T9_mT8_S1D_bDpT10_ENKUlT_T0_E_clISt17integral_constantIbLb0EES1P_IbLb1EEEEDaS1L_S1M_EUlS1L_E_NS1_11comp_targetILNS1_3genE0ELNS1_11target_archE4294967295ELNS1_3gpuE0ELNS1_3repE0EEENS1_30default_config_static_selectorELNS0_4arch9wavefront6targetE0EEEvSZ_,@function
_ZN7rocprim17ROCPRIM_400000_NS6detail17trampoline_kernelINS0_13select_configILj256ELj13ELNS0_17block_load_methodE3ELS4_3ELS4_3ELNS0_20block_scan_algorithmE0ELj4294967295EEENS1_25partition_config_selectorILNS1_17partition_subalgoE3EjNS0_10empty_typeEbEEZZNS1_14partition_implILS8_3ELb0ES6_jNS0_17counting_iteratorIjlEEPS9_SE_NS0_5tupleIJPjSE_EEENSF_IJSE_SE_EEES9_SG_JZNS1_25segmented_radix_sort_implINS0_14default_configELb1EPK12hip_bfloat16PSL_PKlPlN2at6native12_GLOBAL__N_18offset_tEEE10hipError_tPvRmT1_PNSt15iterator_traitsISZ_E10value_typeET2_T3_PNS10_IS15_E10value_typeET4_jRbjT5_S1B_jjP12ihipStream_tbEUljE_EEESW_SX_SY_S15_S19_S1B_T6_T7_T9_mT8_S1D_bDpT10_ENKUlT_T0_E_clISt17integral_constantIbLb0EES1P_IbLb1EEEEDaS1L_S1M_EUlS1L_E_NS1_11comp_targetILNS1_3genE0ELNS1_11target_archE4294967295ELNS1_3gpuE0ELNS1_3repE0EEENS1_30default_config_static_selectorELNS0_4arch9wavefront6targetE0EEEvSZ_: ; @_ZN7rocprim17ROCPRIM_400000_NS6detail17trampoline_kernelINS0_13select_configILj256ELj13ELNS0_17block_load_methodE3ELS4_3ELS4_3ELNS0_20block_scan_algorithmE0ELj4294967295EEENS1_25partition_config_selectorILNS1_17partition_subalgoE3EjNS0_10empty_typeEbEEZZNS1_14partition_implILS8_3ELb0ES6_jNS0_17counting_iteratorIjlEEPS9_SE_NS0_5tupleIJPjSE_EEENSF_IJSE_SE_EEES9_SG_JZNS1_25segmented_radix_sort_implINS0_14default_configELb1EPK12hip_bfloat16PSL_PKlPlN2at6native12_GLOBAL__N_18offset_tEEE10hipError_tPvRmT1_PNSt15iterator_traitsISZ_E10value_typeET2_T3_PNS10_IS15_E10value_typeET4_jRbjT5_S1B_jjP12ihipStream_tbEUljE_EEESW_SX_SY_S15_S19_S1B_T6_T7_T9_mT8_S1D_bDpT10_ENKUlT_T0_E_clISt17integral_constantIbLb0EES1P_IbLb1EEEEDaS1L_S1M_EUlS1L_E_NS1_11comp_targetILNS1_3genE0ELNS1_11target_archE4294967295ELNS1_3gpuE0ELNS1_3repE0EEENS1_30default_config_static_selectorELNS0_4arch9wavefront6targetE0EEEvSZ_
; %bb.0:
	s_clause 0x5
	s_load_b64 s[16:17], s[0:1], 0x10
	s_load_b128 s[12:15], s[0:1], 0x48
	s_load_b64 s[18:19], s[0:1], 0x58
	s_load_b64 s[20:21], s[0:1], 0x68
	s_load_b32 s3, s[0:1], 0x90
	s_load_b128 s[4:7], s[0:1], 0x80
	v_cmp_eq_u32_e64 s2, 0, v0
	s_and_saveexec_b32 s8, s2
	s_cbranch_execz .LBB1928_4
; %bb.1:
	s_mov_b32 s10, exec_lo
	s_mov_b32 s9, exec_lo
	v_mbcnt_lo_u32_b32 v1, s10, 0
                                        ; implicit-def: $vgpr2
	s_delay_alu instid0(VALU_DEP_1)
	v_cmpx_eq_u32_e32 0, v1
	s_cbranch_execz .LBB1928_3
; %bb.2:
	s_load_b64 s[22:23], s[0:1], 0x78
	s_bcnt1_i32_b32 s10, s10
	s_delay_alu instid0(SALU_CYCLE_1)
	v_dual_mov_b32 v2, 0 :: v_dual_mov_b32 v3, s10
	s_wait_xcnt 0x0
	s_wait_kmcnt 0x0
	global_atomic_add_u32 v2, v2, v3, s[22:23] th:TH_ATOMIC_RETURN scope:SCOPE_DEV
.LBB1928_3:
	s_wait_xcnt 0x0
	s_or_b32 exec_lo, exec_lo, s9
	s_wait_loadcnt 0x0
	v_readfirstlane_b32 s9, v2
	s_delay_alu instid0(VALU_DEP_1)
	v_dual_mov_b32 v2, 0 :: v_dual_add_nc_u32 v1, s9, v1
	ds_store_b32 v2, v1
.LBB1928_4:
	s_or_b32 exec_lo, exec_lo, s8
	v_dual_mov_b32 v1, 0 :: v_dual_lshlrev_b32 v19, 2, v0
	s_clause 0x2
	s_load_b32 s8, s[0:1], 0x8
	s_load_b64 s[10:11], s[0:1], 0x28
	s_load_b32 s9, s[0:1], 0x70
	s_wait_dscnt 0x0
	s_barrier_signal -1
	s_barrier_wait -1
	ds_load_b32 v4, v1
	s_wait_dscnt 0x0
	s_barrier_signal -1
	s_barrier_wait -1
	s_wait_kmcnt 0x0
	global_load_b64 v[42:43], v1, s[14:15]
	s_mov_b32 s1, 0
	s_add_co_i32 s8, s8, s16
	s_mul_i32 s0, s9, 0xd00
	s_add_co_i32 s9, s9, -1
	s_wait_xcnt 0x0
	s_add_nc_u64 s[14:15], s[16:17], s[0:1]
	s_add_co_i32 s0, s0, s16
	v_cmp_gt_u64_e64 s1, s[18:19], s[14:15]
	v_readfirstlane_b32 s23, v4
	s_sub_co_i32 s22, s18, s0
	v_cmp_ne_u32_e32 vcc_lo, s9, v4
	s_addk_co_i32 s22, 0xd00
	s_mov_b32 s15, -1
	s_cmp_eq_u32 s23, s9
	s_mul_i32 s14, s23, 0xd00
	s_cselect_b32 s9, -1, 0
	s_or_b32 s1, s1, vcc_lo
	s_delay_alu instid0(SALU_CYCLE_1)
	s_and_b32 vcc_lo, exec_lo, s1
	s_cbranch_vccz .LBB1928_6
; %bb.5:
	v_add3_u32 v1, s14, s8, v0
	s_mov_b32 s15, 0
	s_delay_alu instid0(VALU_DEP_1)
	v_add_nc_u32_e32 v2, 0x100, v1
	v_add_nc_u32_e32 v3, 0x200, v1
	;; [unrolled: 1-line block ×12, first 2 shown]
	ds_store_2addr_stride64_b32 v19, v1, v2 offset1:4
	ds_store_2addr_stride64_b32 v19, v3, v5 offset0:8 offset1:12
	ds_store_2addr_stride64_b32 v19, v6, v7 offset0:16 offset1:20
	;; [unrolled: 1-line block ×5, first 2 shown]
	ds_store_b32 v19, v14 offset:12288
	s_wait_loadcnt_dscnt 0x0
	s_barrier_signal -1
	s_barrier_wait -1
.LBB1928_6:
	v_cmp_gt_u32_e64 s0, s22, v0
	v_or_b32_e32 v40, 0x100, v0
	v_or_b32_e32 v38, 0x200, v0
	;; [unrolled: 1-line block ×12, first 2 shown]
	s_and_not1_b32 vcc_lo, exec_lo, s15
	s_cbranch_vccnz .LBB1928_8
; %bb.7:
	s_add_co_i32 s8, s14, s8
	v_cmp_gt_u32_e32 vcc_lo, s22, v40
	v_dual_add_nc_u32 v1, s8, v0 :: v_dual_add_nc_u32 v3, s8, v38
	v_dual_add_nc_u32 v2, s8, v40 :: v_dual_add_nc_u32 v8, s8, v30
	s_delay_alu instid0(VALU_DEP_2) | instskip(NEXT) | instid1(VALU_DEP_2)
	v_dual_add_nc_u32 v9, s8, v28 :: v_dual_cndmask_b32 v1, 0, v1, s0
	v_dual_cndmask_b32 v2, 0, v2 :: v_dual_add_nc_u32 v5, s8, v36
	v_cmp_gt_u32_e32 vcc_lo, s22, v38
	v_dual_add_nc_u32 v12, s8, v22 :: v_dual_add_nc_u32 v13, s8, v20
	v_dual_add_nc_u32 v6, s8, v34 :: v_dual_add_nc_u32 v7, s8, v32
	v_cndmask_b32_e32 v3, 0, v3, vcc_lo
	v_cmp_gt_u32_e32 vcc_lo, s22, v36
	v_dual_add_nc_u32 v10, s8, v26 :: v_dual_add_nc_u32 v11, s8, v24
	v_cndmask_b32_e32 v5, 0, v5, vcc_lo
	v_cmp_gt_u32_e32 vcc_lo, s22, v34
	v_cndmask_b32_e32 v6, 0, v6, vcc_lo
	v_cmp_gt_u32_e32 vcc_lo, s22, v32
	;; [unrolled: 2-line block ×7, first 2 shown]
	v_dual_add_nc_u32 v14, s8, v18 :: v_dual_cndmask_b32 v12, 0, v12, vcc_lo
	v_cmp_gt_u32_e32 vcc_lo, s22, v20
	v_cndmask_b32_e32 v13, 0, v13, vcc_lo
	v_cmp_gt_u32_e32 vcc_lo, s22, v18
	s_delay_alu instid0(VALU_DEP_4)
	v_cndmask_b32_e32 v14, 0, v14, vcc_lo
	ds_store_2addr_stride64_b32 v19, v1, v2 offset1:4
	ds_store_2addr_stride64_b32 v19, v3, v5 offset0:8 offset1:12
	ds_store_2addr_stride64_b32 v19, v6, v7 offset0:16 offset1:20
	;; [unrolled: 1-line block ×5, first 2 shown]
	ds_store_b32 v19, v14 offset:12288
	s_wait_loadcnt_dscnt 0x0
	s_barrier_signal -1
	s_barrier_wait -1
.LBB1928_8:
	v_mul_u32_u24_e32 v23, 13, v0
	s_wait_loadcnt 0x0
	v_cndmask_b32_e64 v21, 0, 1, s1
	s_and_not1_b32 vcc_lo, exec_lo, s1
	s_delay_alu instid0(VALU_DEP_2)
	v_lshlrev_b32_e32 v2, 2, v23
	ds_load_2addr_b32 v[52:53], v2 offset0:2 offset1:3
	ds_load_2addr_b32 v[48:49], v2 offset0:6 offset1:7
	;; [unrolled: 1-line block ×3, first 2 shown]
	ds_load_2addr_b32 v[54:55], v2 offset1:1
	ds_load_2addr_b32 v[44:45], v2 offset0:10 offset1:11
	ds_load_b32 v1, v2 offset:48
	ds_load_2addr_b32 v[46:47], v2 offset0:8 offset1:9
	s_wait_dscnt 0x0
	s_barrier_signal -1
	s_barrier_wait -1
	s_cbranch_vccnz .LBB1928_10
; %bb.9:
	v_dual_add_nc_u32 v2, s5, v53 :: v_dual_add_nc_u32 v3, s5, v55
	v_dual_add_nc_u32 v5, s5, v54 :: v_dual_add_nc_u32 v6, s5, v52
	;; [unrolled: 1-line block ×4, first 2 shown]
	s_delay_alu instid0(VALU_DEP_3) | instskip(NEXT) | instid1(VALU_DEP_4)
	v_mul_lo_u32 v6, v6, s4
	v_mul_lo_u32 v5, v5, s4
	v_mul_lo_u32 v3, v3, s4
	v_mul_lo_u32 v2, v2, s4
	v_mul_lo_u32 v7, v7, s6
	v_mul_lo_u32 v8, v8, s6
	v_mul_lo_u32 v9, v9, s6
	v_mul_lo_u32 v10, v10, s6
	v_dual_add_nc_u32 v11, s5, v50 :: v_dual_add_nc_u32 v12, s7, v50
	v_dual_add_nc_u32 v13, s5, v48 :: v_dual_add_nc_u32 v15, s7, v45
	v_add_nc_u32_e32 v16, s5, v44
	s_delay_alu instid0(VALU_DEP_3) | instskip(NEXT) | instid1(VALU_DEP_4)
	v_mul_lo_u32 v11, v11, s4
	v_mul_lo_u32 v12, v12, s6
	v_dual_sub_nc_u32 v2, v2, v7 :: v_dual_sub_nc_u32 v3, v3, v8
	v_dual_sub_nc_u32 v5, v5, v9 :: v_dual_sub_nc_u32 v6, v6, v10
	v_dual_add_nc_u32 v7, s5, v51 :: v_dual_add_nc_u32 v8, s7, v51
	v_dual_add_nc_u32 v9, s5, v49 :: v_dual_add_nc_u32 v10, s7, v49
	s_delay_alu instid0(VALU_DEP_4) | instskip(NEXT) | instid1(VALU_DEP_3)
	v_cmp_lt_u32_e32 vcc_lo, s3, v2
	v_mul_lo_u32 v7, v7, s4
	s_delay_alu instid0(VALU_DEP_4) | instskip(NEXT) | instid1(VALU_DEP_4)
	v_mul_lo_u32 v8, v8, s6
	v_mul_lo_u32 v9, v9, s4
	;; [unrolled: 1-line block ×3, first 2 shown]
	v_cndmask_b32_e64 v2, 0, 1, vcc_lo
	v_cmp_lt_u32_e32 vcc_lo, s3, v3
	v_dual_add_nc_u32 v17, s7, v47 :: v_dual_add_nc_u32 v25, s7, v46
	v_mul_lo_u32 v15, v15, s6
	v_add_nc_u32_e32 v14, s5, v46
	v_cndmask_b32_e64 v3, 0, 1, vcc_lo
	s_delay_alu instid0(VALU_DEP_4) | instskip(SKIP_4) | instid1(VALU_DEP_3)
	v_mul_lo_u32 v17, v17, s6
	v_sub_nc_u32_e32 v7, v7, v8
	v_dual_add_nc_u32 v8, s7, v48 :: v_dual_sub_nc_u32 v9, v9, v10
	v_dual_sub_nc_u32 v10, v11, v12 :: v_dual_add_nc_u32 v11, s5, v45
	v_mul_lo_u32 v13, v13, s4
	v_mul_lo_u32 v8, v8, s6
	v_add_nc_u32_e32 v12, s5, v47
	v_cmp_lt_u32_e32 vcc_lo, s3, v7
	v_mul_lo_u32 v11, v11, s4
	v_lshlrev_b16 v3, 8, v3
	v_mul_lo_u32 v14, v14, s4
	v_mul_lo_u32 v12, v12, s4
	v_cndmask_b32_e64 v7, 0, 1, vcc_lo
	v_cmp_lt_u32_e32 vcc_lo, s3, v9
	v_lshrrev_b32_e32 v3, 8, v3
	v_mul_lo_u32 v25, v25, s6
	v_sub_nc_u32_e32 v8, v13, v8
	v_lshlrev_b16 v7, 8, v7
	v_cndmask_b32_e64 v9, 0, 1, vcc_lo
	v_sub_nc_u32_e32 v11, v11, v15
	v_cmp_lt_u32_e32 vcc_lo, s3, v5
	s_delay_alu instid0(VALU_DEP_4)
	v_dual_add_nc_u32 v27, s7, v44 :: v_dual_lshrrev_b32 v7, 8, v7
	v_sub_nc_u32_e32 v12, v12, v17
	v_mul_lo_u32 v13, v16, s4
	v_cndmask_b32_e64 v5, 0, 1, vcc_lo
	v_cmp_lt_u32_e32 vcc_lo, s3, v11
	v_mul_lo_u32 v16, v27, s6
	v_dual_add_nc_u32 v15, s5, v1 :: v_dual_add_nc_u32 v27, s7, v1
	v_lshlrev_b16 v2, 8, v2
	v_cndmask_b32_e64 v11, 0, 1, vcc_lo
	v_cmp_lt_u32_e32 vcc_lo, s3, v12
	s_delay_alu instid0(VALU_DEP_4)
	v_mul_lo_u32 v15, v15, s4
	v_mul_lo_u32 v17, v27, s6
	v_sub_nc_u32_e32 v14, v14, v25
	v_lshlrev_b16 v3, 8, v3
	v_cndmask_b32_e64 v12, 0, 1, vcc_lo
	v_cmp_lt_u32_e32 vcc_lo, s3, v6
	v_dual_sub_nc_u32 v13, v13, v16 :: v_dual_lshrrev_b32 v2, 8, v2
	s_delay_alu instid0(VALU_DEP_4)
	v_or_b32_e32 v3, v5, v3
	v_lshlrev_b16 v5, 8, v11
	v_cndmask_b32_e64 v6, 0, 1, vcc_lo
	v_cmp_lt_u32_e32 vcc_lo, s3, v10
	v_lshlrev_b16 v11, 8, v12
	v_lshlrev_b16 v9, 8, v9
	v_sub_nc_u32_e32 v12, v15, v17
	v_lshlrev_b16 v2, 8, v2
	v_cndmask_b32_e64 v10, 0, 1, vcc_lo
	v_cmp_lt_u32_e32 vcc_lo, s3, v8
	v_lshlrev_b16 v7, 8, v7
	v_dual_lshrrev_b32 v11, 8, v11 :: v_dual_lshrrev_b32 v5, 8, v5
	v_or_b32_e32 v2, v6, v2
	v_cndmask_b32_e64 v8, 0, 1, vcc_lo
	v_cmp_lt_u32_e32 vcc_lo, s3, v14
	s_delay_alu instid0(VALU_DEP_4)
	v_lshlrev_b16 v11, 8, v11
	v_lshlrev_b16 v5, 8, v5
	v_dual_lshlrev_b32 v2, 16, v2 :: v_dual_bitop2_b32 v6, v10, v7 bitop3:0x54
	v_cndmask_b32_e64 v14, 0, 1, vcc_lo
	v_cmp_lt_u32_e32 vcc_lo, s3, v13
	v_or_b32_e32 v7, v8, v9
	v_and_b32_e32 v3, 0xffff, v3
	v_and_b32_e32 v6, 0xffff, v6
	v_cndmask_b32_e64 v13, 0, 1, vcc_lo
	s_delay_alu instid0(VALU_DEP_4) | instskip(SKIP_2) | instid1(VALU_DEP_4)
	v_lshlrev_b32_e32 v7, 16, v7
	v_cmp_lt_u32_e32 vcc_lo, s3, v12
	v_or_b32_e32 v35, v3, v2
	v_or_b32_e32 v5, v13, v5
	;; [unrolled: 1-line block ×3, first 2 shown]
	v_cndmask_b32_e64 v25, 0, 1, vcc_lo
	s_delay_alu instid0(VALU_DEP_3) | instskip(NEXT) | instid1(VALU_DEP_3)
	v_dual_lshlrev_b32 v5, 16, v5 :: v_dual_bitop2_b32 v31, v6, v7 bitop3:0x54
	v_and_b32_e32 v8, 0xffff, v8
	s_delay_alu instid0(VALU_DEP_1)
	v_or_b32_e32 v27, v8, v5
	s_cbranch_execz .LBB1928_11
	s_branch .LBB1928_38
.LBB1928_10:
                                        ; implicit-def: $vgpr25
                                        ; implicit-def: $vgpr27
                                        ; implicit-def: $vgpr31
                                        ; implicit-def: $vgpr35
.LBB1928_11:
	v_dual_mov_b32 v3, 0 :: v_dual_mov_b32 v2, 0
	s_mov_b32 s0, exec_lo
	v_cmpx_gt_u32_e64 s22, v23
	s_cbranch_execz .LBB1928_13
; %bb.12:
	v_dual_add_nc_u32 v2, s5, v54 :: v_dual_add_nc_u32 v5, s7, v54
	s_delay_alu instid0(VALU_DEP_1) | instskip(NEXT) | instid1(VALU_DEP_2)
	v_mul_lo_u32 v2, v2, s4
	v_mul_lo_u32 v5, v5, s6
	s_delay_alu instid0(VALU_DEP_1) | instskip(NEXT) | instid1(VALU_DEP_1)
	v_sub_nc_u32_e32 v2, v2, v5
	v_cmp_lt_u32_e32 vcc_lo, s3, v2
	v_cndmask_b32_e64 v2, 0, 1, vcc_lo
.LBB1928_13:
	s_or_b32 exec_lo, exec_lo, s0
	v_add_nc_u32_e32 v5, 1, v23
	s_mov_b32 s0, exec_lo
	s_delay_alu instid0(VALU_DEP_1)
	v_cmpx_gt_u32_e64 s22, v5
	s_cbranch_execz .LBB1928_15
; %bb.14:
	v_dual_add_nc_u32 v3, s5, v55 :: v_dual_add_nc_u32 v5, s7, v55
	s_delay_alu instid0(VALU_DEP_1) | instskip(NEXT) | instid1(VALU_DEP_2)
	v_mul_lo_u32 v3, v3, s4
	v_mul_lo_u32 v5, v5, s6
	s_delay_alu instid0(VALU_DEP_1) | instskip(NEXT) | instid1(VALU_DEP_1)
	v_sub_nc_u32_e32 v3, v3, v5
	v_cmp_lt_u32_e32 vcc_lo, s3, v3
	v_cndmask_b32_e64 v3, 0, 1, vcc_lo
.LBB1928_15:
	s_or_b32 exec_lo, exec_lo, s0
	v_dual_mov_b32 v6, 0 :: v_dual_add_nc_u32 v5, 2, v23
	s_delay_alu instid0(VALU_DEP_1)
	v_cmp_gt_u32_e32 vcc_lo, s22, v5
	v_mov_b32_e32 v5, 0
	s_and_saveexec_b32 s0, vcc_lo
	s_cbranch_execz .LBB1928_17
; %bb.16:
	v_dual_add_nc_u32 v5, s5, v52 :: v_dual_add_nc_u32 v7, s7, v52
	s_delay_alu instid0(VALU_DEP_1) | instskip(NEXT) | instid1(VALU_DEP_2)
	v_mul_lo_u32 v5, v5, s4
	v_mul_lo_u32 v7, v7, s6
	s_delay_alu instid0(VALU_DEP_1) | instskip(NEXT) | instid1(VALU_DEP_1)
	v_sub_nc_u32_e32 v5, v5, v7
	v_cmp_lt_u32_e32 vcc_lo, s3, v5
	v_cndmask_b32_e64 v5, 0, 1, vcc_lo
.LBB1928_17:
	s_or_b32 exec_lo, exec_lo, s0
	v_add_nc_u32_e32 v7, 3, v23
	s_mov_b32 s0, exec_lo
	s_delay_alu instid0(VALU_DEP_1)
	v_cmpx_gt_u32_e64 s22, v7
	s_cbranch_execz .LBB1928_19
; %bb.18:
	v_dual_add_nc_u32 v6, s5, v53 :: v_dual_add_nc_u32 v7, s7, v53
	s_delay_alu instid0(VALU_DEP_1) | instskip(NEXT) | instid1(VALU_DEP_2)
	v_mul_lo_u32 v6, v6, s4
	v_mul_lo_u32 v7, v7, s6
	s_delay_alu instid0(VALU_DEP_1) | instskip(NEXT) | instid1(VALU_DEP_1)
	v_sub_nc_u32_e32 v6, v6, v7
	v_cmp_lt_u32_e32 vcc_lo, s3, v6
	v_cndmask_b32_e64 v6, 0, 1, vcc_lo
.LBB1928_19:
	s_or_b32 exec_lo, exec_lo, s0
	v_dual_mov_b32 v8, 0 :: v_dual_add_nc_u32 v7, 4, v23
	s_delay_alu instid0(VALU_DEP_1)
	v_cmp_gt_u32_e32 vcc_lo, s22, v7
	v_mov_b32_e32 v7, 0
	s_and_saveexec_b32 s0, vcc_lo
	;; [unrolled: 33-line block ×5, first 2 shown]
	s_cbranch_execz .LBB1928_33
; %bb.32:
	v_dual_add_nc_u32 v13, s5, v44 :: v_dual_add_nc_u32 v15, s7, v44
	s_delay_alu instid0(VALU_DEP_1) | instskip(NEXT) | instid1(VALU_DEP_2)
	v_mul_lo_u32 v13, v13, s4
	v_mul_lo_u32 v15, v15, s6
	s_delay_alu instid0(VALU_DEP_1) | instskip(NEXT) | instid1(VALU_DEP_1)
	v_sub_nc_u32_e32 v13, v13, v15
	v_cmp_lt_u32_e32 vcc_lo, s3, v13
	v_cndmask_b32_e64 v13, 0, 1, vcc_lo
.LBB1928_33:
	s_or_b32 exec_lo, exec_lo, s0
	v_add_nc_u32_e32 v15, 11, v23
	s_mov_b32 s0, exec_lo
	s_delay_alu instid0(VALU_DEP_1)
	v_cmpx_gt_u32_e64 s22, v15
	s_cbranch_execz .LBB1928_35
; %bb.34:
	v_dual_add_nc_u32 v14, s5, v45 :: v_dual_add_nc_u32 v15, s7, v45
	s_delay_alu instid0(VALU_DEP_1) | instskip(NEXT) | instid1(VALU_DEP_2)
	v_mul_lo_u32 v14, v14, s4
	v_mul_lo_u32 v15, v15, s6
	s_delay_alu instid0(VALU_DEP_1) | instskip(NEXT) | instid1(VALU_DEP_1)
	v_sub_nc_u32_e32 v14, v14, v15
	v_cmp_lt_u32_e32 vcc_lo, s3, v14
	v_cndmask_b32_e64 v14, 0, 1, vcc_lo
.LBB1928_35:
	s_or_b32 exec_lo, exec_lo, s0
	v_dual_add_nc_u32 v15, 12, v23 :: v_dual_mov_b32 v25, 0
	s_mov_b32 s0, exec_lo
	s_delay_alu instid0(VALU_DEP_1)
	v_cmpx_gt_u32_e64 s22, v15
	s_cbranch_execz .LBB1928_37
; %bb.36:
	v_dual_add_nc_u32 v15, s7, v1 :: v_dual_add_nc_u32 v16, s5, v1
	s_delay_alu instid0(VALU_DEP_1) | instskip(NEXT) | instid1(VALU_DEP_2)
	v_mul_lo_u32 v15, v15, s6
	v_mul_lo_u32 v16, v16, s4
	s_delay_alu instid0(VALU_DEP_1) | instskip(NEXT) | instid1(VALU_DEP_1)
	v_sub_nc_u32_e32 v15, v16, v15
	v_cmp_lt_u32_e32 vcc_lo, s3, v15
	v_cndmask_b32_e64 v25, 0, 1, vcc_lo
.LBB1928_37:
	s_or_b32 exec_lo, exec_lo, s0
	v_lshlrev_b16 v6, 8, v6
	v_lshlrev_b16 v8, 8, v8
	v_lshlrev_b16 v10, 8, v10
	v_lshlrev_b16 v3, 8, v3
	v_lshlrev_b16 v12, 8, v12
	v_or_b32_e32 v5, v5, v6
	v_or_b32_e32 v6, v7, v8
	;; [unrolled: 1-line block ×3, first 2 shown]
	s_delay_alu instid0(VALU_DEP_1) | instskip(NEXT) | instid1(VALU_DEP_4)
	v_dual_lshlrev_b32 v7, 16, v7 :: v_dual_bitop2_b32 v8, v11, v12 bitop3:0x54
	v_dual_lshlrev_b32 v5, 16, v5 :: v_dual_bitop2_b32 v2, v2, v3 bitop3:0x54
	v_lshlrev_b16 v3, 8, v14
	s_delay_alu instid0(VALU_DEP_3) | instskip(NEXT) | instid1(VALU_DEP_3)
	v_and_b32_e32 v8, 0xffff, v8
	v_and_b32_e32 v2, 0xffff, v2
	s_delay_alu instid0(VALU_DEP_3) | instskip(NEXT) | instid1(VALU_DEP_1)
	v_or_b32_e32 v3, v13, v3
	v_dual_lshlrev_b32 v3, 16, v3 :: v_dual_bitop2_b32 v35, v2, v5 bitop3:0x54
	v_and_b32_e32 v6, 0xffff, v6
	s_delay_alu instid0(VALU_DEP_2) | instskip(NEXT) | instid1(VALU_DEP_2)
	v_or_b32_e32 v27, v8, v3
	v_or_b32_e32 v31, v6, v7
.LBB1928_38:
	s_delay_alu instid0(VALU_DEP_4) | instskip(SKIP_2) | instid1(VALU_DEP_4)
	v_bfe_u32 v39, v35, 16, 8
	v_bfe_u32 v41, v35, 8, 8
	v_and_b32_e32 v57, 0xff, v35
	v_and_b32_e32 v58, 0xff, v31
	v_mbcnt_lo_u32_b32 v64, -1, 0
	v_lshrrev_b32_e32 v37, 24, v35
	v_bfe_u32 v59, v31, 16, 8
	v_add3_u32 v2, v41, v57, v39
	v_bfe_u32 v60, v31, 8, 8
	v_dual_lshrrev_b32 v33, 24, v31 :: v_dual_bitop2_b32 v5, 15, v64 bitop3:0x40
	v_lshrrev_b32_e32 v65, 5, v0
	s_delay_alu instid0(VALU_DEP_4)
	v_add3_u32 v2, v2, v37, v58
	v_and_b32_e32 v61, 0xff, v27
	v_bfe_u32 v62, v27, 16, 8
	v_bfe_u32 v63, v27, 8, 8
	v_dual_lshrrev_b32 v29, 24, v27 :: v_dual_bitop2_b32 v6, 31, v0 bitop3:0x54
	v_add3_u32 v2, v2, v60, v59
	v_and_b32_e32 v3, 0xff, v25
	v_and_b32_e32 v7, 16, v64
	v_cmp_ne_u32_e32 vcc_lo, 0, v4
	v_cmp_eq_u32_e64 s6, 0, v5
	v_add3_u32 v2, v2, v33, v61
	v_cmp_lt_u32_e64 s5, 1, v5
	v_cmp_lt_u32_e64 s4, 3, v5
	;; [unrolled: 1-line block ×3, first 2 shown]
	v_cmp_eq_u32_e64 s1, 0, v7
	v_add3_u32 v2, v2, v63, v62
	v_cmp_eq_u32_e64 s0, v0, v6
	s_mov_b32 s7, -1
	v_add3_u32 v66, v2, v29, v3
	s_cbranch_vccz .LBB1928_60
; %bb.39:
	s_delay_alu instid0(VALU_DEP_1) | instskip(NEXT) | instid1(VALU_DEP_1)
	v_mov_b32_dpp v2, v66 row_shr:1 row_mask:0xf bank_mask:0xf
	v_cndmask_b32_e64 v2, v2, 0, s6
	s_delay_alu instid0(VALU_DEP_1) | instskip(NEXT) | instid1(VALU_DEP_1)
	v_add_nc_u32_e32 v2, v2, v66
	v_mov_b32_dpp v3, v2 row_shr:2 row_mask:0xf bank_mask:0xf
	s_delay_alu instid0(VALU_DEP_1) | instskip(NEXT) | instid1(VALU_DEP_1)
	v_cndmask_b32_e64 v3, 0, v3, s5
	v_add_nc_u32_e32 v2, v2, v3
	s_delay_alu instid0(VALU_DEP_1) | instskip(NEXT) | instid1(VALU_DEP_1)
	v_mov_b32_dpp v3, v2 row_shr:4 row_mask:0xf bank_mask:0xf
	v_cndmask_b32_e64 v3, 0, v3, s4
	s_delay_alu instid0(VALU_DEP_1) | instskip(NEXT) | instid1(VALU_DEP_1)
	v_add_nc_u32_e32 v2, v2, v3
	v_mov_b32_dpp v3, v2 row_shr:8 row_mask:0xf bank_mask:0xf
	s_delay_alu instid0(VALU_DEP_1) | instskip(NEXT) | instid1(VALU_DEP_1)
	v_cndmask_b32_e64 v3, 0, v3, s3
	v_add_nc_u32_e32 v2, v2, v3
	ds_swizzle_b32 v3, v2 offset:swizzle(BROADCAST,32,15)
	s_wait_dscnt 0x0
	v_cndmask_b32_e64 v3, v3, 0, s1
	s_delay_alu instid0(VALU_DEP_1)
	v_add_nc_u32_e32 v2, v2, v3
	s_and_saveexec_b32 s7, s0
; %bb.40:
	v_lshlrev_b32_e32 v3, 2, v65
	ds_store_b32 v3, v2
; %bb.41:
	s_or_b32 exec_lo, exec_lo, s7
	s_delay_alu instid0(SALU_CYCLE_1)
	s_mov_b32 s7, exec_lo
	s_wait_dscnt 0x0
	s_barrier_signal -1
	s_barrier_wait -1
	v_cmpx_gt_u32_e32 8, v0
	s_cbranch_execz .LBB1928_43
; %bb.42:
	ds_load_b32 v3, v19
	s_wait_dscnt 0x0
	v_mov_b32_dpp v6, v3 row_shr:1 row_mask:0xf bank_mask:0xf
	v_and_b32_e32 v5, 7, v64
	s_delay_alu instid0(VALU_DEP_1) | instskip(NEXT) | instid1(VALU_DEP_3)
	v_cmp_ne_u32_e32 vcc_lo, 0, v5
	v_cndmask_b32_e32 v6, 0, v6, vcc_lo
	v_cmp_lt_u32_e32 vcc_lo, 1, v5
	s_delay_alu instid0(VALU_DEP_2) | instskip(NEXT) | instid1(VALU_DEP_1)
	v_add_nc_u32_e32 v3, v6, v3
	v_mov_b32_dpp v6, v3 row_shr:2 row_mask:0xf bank_mask:0xf
	s_delay_alu instid0(VALU_DEP_1) | instskip(SKIP_1) | instid1(VALU_DEP_2)
	v_cndmask_b32_e32 v6, 0, v6, vcc_lo
	v_cmp_lt_u32_e32 vcc_lo, 3, v5
	v_add_nc_u32_e32 v3, v3, v6
	s_delay_alu instid0(VALU_DEP_1) | instskip(NEXT) | instid1(VALU_DEP_1)
	v_mov_b32_dpp v6, v3 row_shr:4 row_mask:0xf bank_mask:0xf
	v_cndmask_b32_e32 v5, 0, v6, vcc_lo
	s_delay_alu instid0(VALU_DEP_1)
	v_add_nc_u32_e32 v3, v3, v5
	ds_store_b32 v19, v3
.LBB1928_43:
	s_or_b32 exec_lo, exec_lo, s7
	s_delay_alu instid0(SALU_CYCLE_1)
	s_mov_b32 s8, exec_lo
	v_cmp_gt_u32_e32 vcc_lo, 32, v0
	s_wait_dscnt 0x0
	s_barrier_signal -1
	s_barrier_wait -1
                                        ; implicit-def: $vgpr10
	v_cmpx_lt_u32_e32 31, v0
	s_cbranch_execz .LBB1928_45
; %bb.44:
	v_lshl_add_u32 v3, v65, 2, -4
	ds_load_b32 v10, v3
	s_wait_dscnt 0x0
	v_add_nc_u32_e32 v2, v10, v2
.LBB1928_45:
	s_or_b32 exec_lo, exec_lo, s8
	v_sub_co_u32 v3, s7, v64, 1
	s_delay_alu instid0(VALU_DEP_1) | instskip(NEXT) | instid1(VALU_DEP_1)
	v_cmp_gt_i32_e64 s8, 0, v3
	v_cndmask_b32_e64 v3, v3, v64, s8
	s_delay_alu instid0(VALU_DEP_1)
	v_lshlrev_b32_e32 v3, 2, v3
	ds_bpermute_b32 v11, v3, v2
	s_and_saveexec_b32 s8, vcc_lo
	s_cbranch_execz .LBB1928_65
; %bb.46:
	v_dual_mov_b32 v9, 0 :: v_dual_add_nc_u32 v12, 32, v4
	ds_load_b32 v2, v9 offset:28
	s_and_saveexec_b32 s15, s7
	s_cbranch_execz .LBB1928_48
; %bb.47:
	v_mov_b32_e32 v3, 1
	s_wait_dscnt 0x0
	global_store_b64 v12, v[2:3], s[20:21] scale_offset scope:SCOPE_DEV
.LBB1928_48:
	s_wait_xcnt 0x0
	s_or_b32 exec_lo, exec_lo, s15
	v_xad_u32 v4, v64, -1, v4
	s_mov_b32 s23, 0
	s_mov_b32 s15, exec_lo
	s_delay_alu instid0(VALU_DEP_1) | instskip(SKIP_4) | instid1(VALU_DEP_1)
	v_add_nc_u32_e32 v8, 32, v4
	global_load_b64 v[6:7], v8, s[20:21] scale_offset scope:SCOPE_DEV
	s_wait_loadcnt 0x0
	v_and_b32_e32 v3, 0xff, v7
	s_wait_xcnt 0x0
	v_cmpx_eq_u16_e32 0, v3
	s_cbranch_execz .LBB1928_52
; %bb.49:
	v_lshl_add_u64 v[8:9], v[8:9], 3, s[20:21]
.LBB1928_50:                            ; =>This Inner Loop Header: Depth=1
	global_load_b64 v[6:7], v[8:9], off scope:SCOPE_DEV
	s_wait_loadcnt 0x0
	v_and_b32_e32 v3, 0xff, v7
	s_delay_alu instid0(VALU_DEP_1)
	v_cmp_ne_u16_e32 vcc_lo, 0, v3
	s_or_b32 s23, vcc_lo, s23
	s_wait_xcnt 0x0
	s_and_not1_b32 exec_lo, exec_lo, s23
	s_cbranch_execnz .LBB1928_50
; %bb.51:
	s_or_b32 exec_lo, exec_lo, s23
.LBB1928_52:
	s_delay_alu instid0(SALU_CYCLE_1)
	s_or_b32 exec_lo, exec_lo, s15
	v_cmp_ne_u32_e32 vcc_lo, 31, v64
	v_lshlrev_b32_e64 v14, v64, -1
	v_lshl_or_b32 v69, v64, 2, 64
	v_dual_add_nc_u32 v16, 2, v64 :: v_dual_add_nc_u32 v56, 4, v64
	v_add_co_ci_u32_e64 v3, null, 0, v64, vcc_lo
	v_dual_add_nc_u32 v68, 8, v64 :: v_dual_add_nc_u32 v70, 16, v64
	s_delay_alu instid0(VALU_DEP_2)
	v_lshlrev_b32_e32 v13, 2, v3
	v_and_b32_e32 v3, 0xff, v7
	ds_bpermute_b32 v5, v13, v6
	v_cmp_eq_u16_e32 vcc_lo, 2, v3
	v_and_or_b32 v3, vcc_lo, v14, 0x80000000
	v_cmp_gt_u32_e32 vcc_lo, 30, v64
	s_delay_alu instid0(VALU_DEP_2) | instskip(SKIP_1) | instid1(VALU_DEP_2)
	v_ctz_i32_b32_e32 v3, v3
	v_cndmask_b32_e64 v8, 0, 2, vcc_lo
	v_cmp_lt_u32_e32 vcc_lo, v64, v3
	s_delay_alu instid0(VALU_DEP_2) | instskip(SKIP_3) | instid1(VALU_DEP_2)
	v_add_lshl_u32 v15, v8, v64, 2
	s_wait_dscnt 0x0
	v_cndmask_b32_e32 v5, 0, v5, vcc_lo
	v_cmp_gt_u32_e32 vcc_lo, 28, v64
	v_add_nc_u32_e32 v5, v5, v6
	v_cndmask_b32_e64 v8, 0, 4, vcc_lo
	v_cmp_le_u32_e32 vcc_lo, v16, v3
	ds_bpermute_b32 v6, v15, v5
	v_add_lshl_u32 v17, v8, v64, 2
	s_wait_dscnt 0x0
	v_cndmask_b32_e32 v6, 0, v6, vcc_lo
	v_cmp_gt_u32_e32 vcc_lo, 24, v64
	v_cndmask_b32_e64 v8, 0, 8, vcc_lo
	v_cmp_le_u32_e32 vcc_lo, v56, v3
	s_delay_alu instid0(VALU_DEP_4) | instskip(NEXT) | instid1(VALU_DEP_3)
	v_add_nc_u32_e32 v5, v5, v6
	v_add_lshl_u32 v67, v8, v64, 2
	ds_bpermute_b32 v6, v17, v5
	s_wait_dscnt 0x0
	v_cndmask_b32_e32 v6, 0, v6, vcc_lo
	v_cmp_le_u32_e32 vcc_lo, v68, v3
	s_delay_alu instid0(VALU_DEP_2) | instskip(SKIP_4) | instid1(VALU_DEP_2)
	v_add_nc_u32_e32 v5, v5, v6
	ds_bpermute_b32 v6, v67, v5
	s_wait_dscnt 0x0
	v_cndmask_b32_e32 v6, 0, v6, vcc_lo
	v_cmp_le_u32_e32 vcc_lo, v70, v3
	v_add_nc_u32_e32 v5, v5, v6
	ds_bpermute_b32 v6, v69, v5
	s_wait_dscnt 0x0
	v_cndmask_b32_e32 v3, 0, v6, vcc_lo
	s_delay_alu instid0(VALU_DEP_1)
	v_dual_mov_b32 v5, 0 :: v_dual_add_nc_u32 v6, v5, v3
	s_branch .LBB1928_56
.LBB1928_53:                            ;   in Loop: Header=BB1928_56 Depth=1
	s_or_b32 exec_lo, exec_lo, s23
.LBB1928_54:                            ;   in Loop: Header=BB1928_56 Depth=1
	s_delay_alu instid0(SALU_CYCLE_1)
	s_or_b32 exec_lo, exec_lo, s15
	v_and_b32_e32 v8, 0xff, v7
	ds_bpermute_b32 v9, v13, v6
	v_subrev_nc_u32_e32 v4, 32, v4
	s_mov_b32 s15, 0
	v_cmp_eq_u16_e32 vcc_lo, 2, v8
	v_and_or_b32 v8, vcc_lo, v14, 0x80000000
	s_delay_alu instid0(VALU_DEP_1) | instskip(NEXT) | instid1(VALU_DEP_1)
	v_ctz_i32_b32_e32 v8, v8
	v_cmp_lt_u32_e32 vcc_lo, v64, v8
	s_wait_dscnt 0x0
	v_cndmask_b32_e32 v9, 0, v9, vcc_lo
	v_cmp_le_u32_e32 vcc_lo, v16, v8
	s_delay_alu instid0(VALU_DEP_2) | instskip(SKIP_4) | instid1(VALU_DEP_2)
	v_add_nc_u32_e32 v6, v9, v6
	ds_bpermute_b32 v9, v15, v6
	s_wait_dscnt 0x0
	v_cndmask_b32_e32 v9, 0, v9, vcc_lo
	v_cmp_le_u32_e32 vcc_lo, v56, v8
	v_add_nc_u32_e32 v6, v6, v9
	ds_bpermute_b32 v9, v17, v6
	s_wait_dscnt 0x0
	v_cndmask_b32_e32 v9, 0, v9, vcc_lo
	v_cmp_le_u32_e32 vcc_lo, v68, v8
	s_delay_alu instid0(VALU_DEP_2) | instskip(SKIP_4) | instid1(VALU_DEP_2)
	v_add_nc_u32_e32 v6, v6, v9
	ds_bpermute_b32 v9, v67, v6
	s_wait_dscnt 0x0
	v_cndmask_b32_e32 v9, 0, v9, vcc_lo
	v_cmp_le_u32_e32 vcc_lo, v70, v8
	v_add_nc_u32_e32 v6, v6, v9
	ds_bpermute_b32 v9, v69, v6
	s_wait_dscnt 0x0
	v_cndmask_b32_e32 v8, 0, v9, vcc_lo
	s_delay_alu instid0(VALU_DEP_1)
	v_add3_u32 v6, v8, v3, v6
.LBB1928_55:                            ;   in Loop: Header=BB1928_56 Depth=1
	s_and_b32 vcc_lo, exec_lo, s15
	s_cbranch_vccnz .LBB1928_61
.LBB1928_56:                            ; =>This Loop Header: Depth=1
                                        ;     Child Loop BB1928_59 Depth 2
	v_and_b32_e32 v3, 0xff, v7
	s_mov_b32 s15, -1
                                        ; implicit-def: $vgpr7
	s_delay_alu instid0(VALU_DEP_1)
	v_cmp_ne_u16_e32 vcc_lo, 2, v3
	v_mov_b32_e32 v3, v6
                                        ; implicit-def: $vgpr6
	s_cmp_lg_u32 vcc_lo, exec_lo
	s_cbranch_scc1 .LBB1928_55
; %bb.57:                               ;   in Loop: Header=BB1928_56 Depth=1
	global_load_b64 v[6:7], v4, s[20:21] scale_offset scope:SCOPE_DEV
	s_mov_b32 s15, exec_lo
	s_wait_loadcnt 0x0
	v_and_b32_e32 v8, 0xff, v7
	s_wait_xcnt 0x0
	s_delay_alu instid0(VALU_DEP_1)
	v_cmpx_eq_u16_e32 0, v8
	s_cbranch_execz .LBB1928_54
; %bb.58:                               ;   in Loop: Header=BB1928_56 Depth=1
	v_lshl_add_u64 v[8:9], v[4:5], 3, s[20:21]
	s_mov_b32 s23, 0
.LBB1928_59:                            ;   Parent Loop BB1928_56 Depth=1
                                        ; =>  This Inner Loop Header: Depth=2
	global_load_b64 v[6:7], v[8:9], off scope:SCOPE_DEV
	s_wait_loadcnt 0x0
	v_and_b32_e32 v71, 0xff, v7
	s_delay_alu instid0(VALU_DEP_1)
	v_cmp_ne_u16_e32 vcc_lo, 0, v71
	s_or_b32 s23, vcc_lo, s23
	s_wait_xcnt 0x0
	s_and_not1_b32 exec_lo, exec_lo, s23
	s_cbranch_execnz .LBB1928_59
	s_branch .LBB1928_53
.LBB1928_60:
                                        ; implicit-def: $vgpr2_vgpr3_vgpr4_vgpr5_vgpr6_vgpr7_vgpr8_vgpr9_vgpr10_vgpr11_vgpr12_vgpr13_vgpr14_vgpr15_vgpr16_vgpr17
                                        ; implicit-def: $vgpr56
                                        ; implicit-def: $vgpr16
	s_and_b32 vcc_lo, exec_lo, s7
	s_cbranch_vccnz .LBB1928_66
	s_branch .LBB1928_75
.LBB1928_61:
	s_and_saveexec_b32 s15, s7
	s_cbranch_execz .LBB1928_63
; %bb.62:
	v_dual_mov_b32 v5, 2 :: v_dual_add_nc_u32 v4, v3, v2
	v_mov_b32_e32 v6, 0
	global_store_b64 v12, v[4:5], s[20:21] scale_offset scope:SCOPE_DEV
	ds_store_b64 v6, v[2:3] offset:13312
.LBB1928_63:
	s_wait_xcnt 0x0
	s_or_b32 exec_lo, exec_lo, s15
	s_delay_alu instid0(SALU_CYCLE_1)
	s_and_b32 exec_lo, exec_lo, s2
; %bb.64:
	v_mov_b32_e32 v2, 0
	ds_store_b32 v2, v3 offset:28
.LBB1928_65:
	s_or_b32 exec_lo, exec_lo, s8
	s_wait_dscnt 0x0
	v_dual_mov_b32 v12, 0 :: v_dual_cndmask_b32 v3, v11, v10, s7
	s_wait_storecnt 0x0
	s_barrier_signal -1
	s_barrier_wait -1
	ds_load_b32 v2, v12 offset:28
	v_cndmask_b32_e64 v3, v3, 0, s2
	s_wait_dscnt 0x0
	s_barrier_signal -1
	s_barrier_wait -1
	ds_load_b64 v[16:17], v12 offset:13312
	v_add_nc_u32_e32 v2, v2, v3
	s_wait_dscnt 0x0
	s_delay_alu instid0(VALU_DEP_1) | instskip(NEXT) | instid1(VALU_DEP_1)
	v_dual_mov_b32 v56, v17 :: v_dual_add_nc_u32 v3, v2, v57
	v_add_nc_u32_e32 v4, v3, v41
	s_delay_alu instid0(VALU_DEP_1) | instskip(NEXT) | instid1(VALU_DEP_1)
	v_add_nc_u32_e32 v5, v4, v39
	v_add_nc_u32_e32 v6, v5, v37
	s_delay_alu instid0(VALU_DEP_1) | instskip(NEXT) | instid1(VALU_DEP_1)
	v_add_nc_u32_e32 v7, v6, v58
	;; [unrolled: 3-line block ×5, first 2 shown]
	v_add_nc_u32_e32 v14, v13, v29
	s_branch .LBB1928_75
.LBB1928_66:
	v_mov_b32_dpp v2, v66 row_shr:1 row_mask:0xf bank_mask:0xf
	s_delay_alu instid0(VALU_DEP_1) | instskip(NEXT) | instid1(VALU_DEP_1)
	v_cndmask_b32_e64 v2, v2, 0, s6
	v_add_nc_u32_e32 v2, v2, v66
	s_delay_alu instid0(VALU_DEP_1) | instskip(NEXT) | instid1(VALU_DEP_1)
	v_mov_b32_dpp v3, v2 row_shr:2 row_mask:0xf bank_mask:0xf
	v_cndmask_b32_e64 v3, 0, v3, s5
	s_delay_alu instid0(VALU_DEP_1) | instskip(NEXT) | instid1(VALU_DEP_1)
	v_add_nc_u32_e32 v2, v2, v3
	v_mov_b32_dpp v3, v2 row_shr:4 row_mask:0xf bank_mask:0xf
	s_delay_alu instid0(VALU_DEP_1) | instskip(NEXT) | instid1(VALU_DEP_1)
	v_cndmask_b32_e64 v3, 0, v3, s4
	v_add_nc_u32_e32 v2, v2, v3
	s_delay_alu instid0(VALU_DEP_1) | instskip(NEXT) | instid1(VALU_DEP_1)
	v_mov_b32_dpp v3, v2 row_shr:8 row_mask:0xf bank_mask:0xf
	v_cndmask_b32_e64 v3, 0, v3, s3
	s_delay_alu instid0(VALU_DEP_1) | instskip(SKIP_3) | instid1(VALU_DEP_1)
	v_add_nc_u32_e32 v2, v2, v3
	ds_swizzle_b32 v3, v2 offset:swizzle(BROADCAST,32,15)
	s_wait_dscnt 0x0
	v_cndmask_b32_e64 v3, v3, 0, s1
	v_add_nc_u32_e32 v2, v2, v3
	s_and_saveexec_b32 s1, s0
; %bb.67:
	v_lshlrev_b32_e32 v3, 2, v65
	ds_store_b32 v3, v2
; %bb.68:
	s_or_b32 exec_lo, exec_lo, s1
	s_delay_alu instid0(SALU_CYCLE_1)
	s_mov_b32 s0, exec_lo
	s_wait_dscnt 0x0
	s_barrier_signal -1
	s_barrier_wait -1
	v_cmpx_gt_u32_e32 8, v0
	s_cbranch_execz .LBB1928_70
; %bb.69:
	ds_load_b32 v3, v19
	s_wait_dscnt 0x0
	v_mov_b32_dpp v5, v3 row_shr:1 row_mask:0xf bank_mask:0xf
	v_and_b32_e32 v4, 7, v64
	s_delay_alu instid0(VALU_DEP_1) | instskip(NEXT) | instid1(VALU_DEP_3)
	v_cmp_ne_u32_e32 vcc_lo, 0, v4
	v_cndmask_b32_e32 v5, 0, v5, vcc_lo
	v_cmp_lt_u32_e32 vcc_lo, 1, v4
	s_delay_alu instid0(VALU_DEP_2) | instskip(NEXT) | instid1(VALU_DEP_1)
	v_add_nc_u32_e32 v3, v5, v3
	v_mov_b32_dpp v5, v3 row_shr:2 row_mask:0xf bank_mask:0xf
	s_delay_alu instid0(VALU_DEP_1) | instskip(SKIP_1) | instid1(VALU_DEP_2)
	v_cndmask_b32_e32 v5, 0, v5, vcc_lo
	v_cmp_lt_u32_e32 vcc_lo, 3, v4
	v_add_nc_u32_e32 v3, v3, v5
	s_delay_alu instid0(VALU_DEP_1) | instskip(NEXT) | instid1(VALU_DEP_1)
	v_mov_b32_dpp v5, v3 row_shr:4 row_mask:0xf bank_mask:0xf
	v_cndmask_b32_e32 v4, 0, v5, vcc_lo
	s_delay_alu instid0(VALU_DEP_1)
	v_add_nc_u32_e32 v3, v3, v4
	ds_store_b32 v19, v3
.LBB1928_70:
	s_or_b32 exec_lo, exec_lo, s0
	v_dual_mov_b32 v4, 0 :: v_dual_mov_b32 v3, 0
	s_mov_b32 s0, exec_lo
	s_wait_dscnt 0x0
	s_barrier_signal -1
	s_barrier_wait -1
	v_cmpx_lt_u32_e32 31, v0
; %bb.71:
	v_lshl_add_u32 v3, v65, 2, -4
	ds_load_b32 v3, v3
; %bb.72:
	s_or_b32 exec_lo, exec_lo, s0
	v_sub_co_u32 v5, vcc_lo, v64, 1
	ds_load_b32 v16, v4 offset:28
	s_wait_dscnt 0x1
	v_add_nc_u32_e32 v2, v3, v2
	v_cmp_gt_i32_e64 s0, 0, v5
	s_delay_alu instid0(VALU_DEP_1) | instskip(NEXT) | instid1(VALU_DEP_1)
	v_cndmask_b32_e64 v5, v5, v64, s0
	v_lshlrev_b32_e32 v5, 2, v5
	ds_bpermute_b32 v2, v5, v2
	s_and_saveexec_b32 s0, s2
	s_cbranch_execz .LBB1928_74
; %bb.73:
	v_dual_mov_b32 v4, 0 :: v_dual_mov_b32 v17, 2
	s_wait_dscnt 0x1
	global_store_b64 v4, v[16:17], s[20:21] offset:256 scope:SCOPE_DEV
.LBB1928_74:
	s_wait_xcnt 0x0
	s_or_b32 exec_lo, exec_lo, s0
	s_wait_dscnt 0x0
	v_cndmask_b32_e32 v2, v2, v3, vcc_lo
	s_wait_storecnt 0x0
	s_barrier_signal -1
	s_barrier_wait -1
	s_delay_alu instid0(VALU_DEP_1) | instskip(NEXT) | instid1(VALU_DEP_1)
	v_cndmask_b32_e64 v2, v2, 0, s2
	v_dual_mov_b32 v56, 0 :: v_dual_add_nc_u32 v3, v2, v57
	s_delay_alu instid0(VALU_DEP_1) | instskip(NEXT) | instid1(VALU_DEP_1)
	v_add_nc_u32_e32 v4, v3, v41
	v_add_nc_u32_e32 v5, v4, v39
	s_delay_alu instid0(VALU_DEP_1) | instskip(NEXT) | instid1(VALU_DEP_1)
	v_add_nc_u32_e32 v6, v5, v37
	v_add_nc_u32_e32 v7, v6, v58
	;; [unrolled: 3-line block ×5, first 2 shown]
	s_delay_alu instid0(VALU_DEP_1)
	v_add_nc_u32_e32 v14, v13, v29
.LBB1928_75:
	v_dual_lshrrev_b32 v57, 16, v35 :: v_dual_lshrrev_b32 v58, 8, v35
	v_dual_add_nc_u32 v23, v16, v23 :: v_dual_sub_nc_u32 v3, v3, v56
	v_dual_sub_nc_u32 v2, v2, v56 :: v_dual_bitop2_b32 v35, 1, v35 bitop3:0x40
	s_delay_alu instid0(VALU_DEP_3) | instskip(NEXT) | instid1(VALU_DEP_3)
	v_dual_sub_nc_u32 v4, v4, v56 :: v_dual_bitop2_b32 v58, 1, v58 bitop3:0x40
	v_dual_sub_nc_u32 v59, v23, v3 :: v_dual_bitop2_b32 v57, 1, v57 bitop3:0x40
	s_delay_alu instid0(VALU_DEP_3) | instskip(NEXT) | instid1(VALU_DEP_4)
	v_dual_sub_nc_u32 v60, v23, v2 :: v_dual_sub_nc_u32 v5, v5, v56
	v_cmp_eq_u32_e32 vcc_lo, 1, v35
	s_delay_alu instid0(VALU_DEP_3) | instskip(SKIP_1) | instid1(VALU_DEP_4)
	v_dual_sub_nc_u32 v61, v23, v4 :: v_dual_add_nc_u32 v59, 1, v59
	v_dual_lshrrev_b32 v41, 8, v31 :: v_dual_lshrrev_b32 v39, 16, v31
	v_cndmask_b32_e32 v2, v60, v2, vcc_lo
	v_cmp_eq_u32_e32 vcc_lo, 1, v58
	v_dual_lshrrev_b32 v15, 16, v27 :: v_dual_lshrrev_b32 v17, 8, v27
	v_cndmask_b32_e32 v3, v59, v3, vcc_lo
	s_delay_alu instid0(VALU_DEP_4)
	v_dual_sub_nc_u32 v35, v23, v5 :: v_dual_lshlrev_b32 v2, 2, v2
	v_and_b32_e32 v37, 1, v37
	v_add_nc_u32_e32 v58, 2, v61
	v_cmp_eq_u32_e32 vcc_lo, 1, v57
	v_lshlrev_b32_e32 v3, 2, v3
	v_add_nc_u32_e32 v35, 3, v35
	ds_store_b32 v2, v54
	ds_store_b32 v3, v55
	v_cndmask_b32_e32 v4, v58, v4, vcc_lo
	v_cmp_eq_u32_e32 vcc_lo, 1, v37
	v_dual_cndmask_b32 v5, v35, v5 :: v_dual_sub_nc_u32 v6, v6, v56
	s_delay_alu instid0(VALU_DEP_1) | instskip(NEXT) | instid1(VALU_DEP_2)
	v_dual_lshlrev_b32 v3, 2, v4 :: v_dual_lshlrev_b32 v4, 2, v5
	v_sub_nc_u32_e32 v2, v23, v6
	v_dual_sub_nc_u32 v5, v7, v56 :: v_dual_bitop2_b32 v7, 1, v31 bitop3:0x40
	s_delay_alu instid0(VALU_DEP_2)
	v_add_nc_u32_e32 v2, 4, v2
	ds_store_b32 v3, v52
	ds_store_b32 v4, v53
	v_cmp_eq_u32_e32 vcc_lo, 1, v7
	v_dual_sub_nc_u32 v4, v8, v56 :: v_dual_cndmask_b32 v2, v2, v6, vcc_lo
	v_sub_nc_u32_e32 v3, v23, v5
	v_dual_sub_nc_u32 v7, v9, v56 :: v_dual_bitop2_b32 v6, 1, v41 bitop3:0x40
	s_delay_alu instid0(VALU_DEP_2) | instskip(NEXT) | instid1(VALU_DEP_2)
	v_dual_lshlrev_b32 v2, 2, v2 :: v_dual_add_nc_u32 v3, 5, v3
	v_cmp_eq_u32_e32 vcc_lo, 1, v6
	v_dual_sub_nc_u32 v8, v23, v4 :: v_dual_bitop2_b32 v6, 1, v39 bitop3:0x40
	ds_store_b32 v2, v50
	v_and_b32_e32 v2, 1, v33
	v_cndmask_b32_e32 v3, v3, v5, vcc_lo
	v_dual_sub_nc_u32 v5, v23, v7 :: v_dual_add_nc_u32 v8, 6, v8
	v_cmp_eq_u32_e32 vcc_lo, 1, v6
	s_delay_alu instid0(VALU_DEP_3) | instskip(NEXT) | instid1(VALU_DEP_3)
	v_dual_sub_nc_u32 v6, v11, v56 :: v_dual_lshlrev_b32 v3, 2, v3
	v_dual_cndmask_b32 v4, v8, v4 :: v_dual_add_nc_u32 v5, 7, v5
	v_cmp_eq_u32_e32 vcc_lo, 1, v2
	ds_store_b32 v3, v51
	v_dual_sub_nc_u32 v3, v23, v6 :: v_dual_sub_nc_u32 v8, v14, v56
	v_dual_lshlrev_b32 v4, 2, v4 :: v_dual_cndmask_b32 v2, v5, v7, vcc_lo
	v_dual_sub_nc_u32 v5, v10, v56 :: v_dual_bitop2_b32 v7, 1, v17 bitop3:0x40
	s_delay_alu instid0(VALU_DEP_3)
	v_add_nc_u32_e32 v3, 9, v3
	ds_store_b32 v4, v48
	v_dual_lshlrev_b32 v2, 2, v2 :: v_dual_sub_nc_u32 v4, v23, v5
	v_cmp_eq_u32_e32 vcc_lo, 1, v7
	v_sub_nc_u32_e32 v7, v12, v56
	v_sub_nc_u32_e32 v9, v23, v8
	ds_store_b32 v2, v49
	v_dual_add_nc_u32 v4, 8, v4 :: v_dual_bitop2_b32 v2, 1, v27 bitop3:0x40
	v_dual_cndmask_b32 v3, v3, v6 :: v_dual_sub_nc_u32 v6, v13, v56
	s_delay_alu instid0(VALU_DEP_2) | instskip(NEXT) | instid1(VALU_DEP_2)
	v_cmp_eq_u32_e32 vcc_lo, 1, v2
	v_dual_cndmask_b32 v2, v4, v5, vcc_lo :: v_dual_sub_nc_u32 v4, v23, v6
	v_and_b32_e32 v10, 1, v15
	v_dual_sub_nc_u32 v5, v23, v7 :: v_dual_bitop2_b32 v12, 1, v25 bitop3:0x40
	s_delay_alu instid0(VALU_DEP_3) | instskip(SKIP_1) | instid1(VALU_DEP_1)
	v_dual_lshlrev_b32 v2, 2, v2 :: v_dual_add_nc_u32 v4, 11, v4
	v_and_b32_e32 v11, 1, v29
	v_cmp_eq_u32_e32 vcc_lo, 1, v11
	s_delay_alu instid0(VALU_DEP_3) | instskip(SKIP_3) | instid1(VALU_DEP_1)
	v_cndmask_b32_e32 v4, v4, v6, vcc_lo
	v_cmp_eq_u32_e32 vcc_lo, 1, v10
	v_add_nc_u32_e32 v9, 12, v9
	v_add_nc_u32_e32 v5, 10, v5
	v_cndmask_b32_e32 v5, v5, v7, vcc_lo
	v_cmp_eq_u32_e32 vcc_lo, 1, v12
	s_delay_alu instid0(VALU_DEP_2) | instskip(SKIP_3) | instid1(VALU_DEP_3)
	v_dual_lshlrev_b32 v3, 2, v3 :: v_dual_lshlrev_b32 v5, 2, v5
	v_cndmask_b32_e32 v6, v9, v8, vcc_lo
	v_lshlrev_b32_e32 v4, 2, v4
	v_cmp_ne_u32_e32 vcc_lo, 1, v21
	v_lshlrev_b32_e32 v6, 2, v6
	ds_store_b32 v2, v46
	ds_store_b32 v3, v47
	;; [unrolled: 1-line block ×5, first 2 shown]
	s_wait_dscnt 0x0
	s_barrier_signal -1
	s_barrier_wait -1
	ds_load_2addr_stride64_b32 v[14:15], v19 offset1:4
	ds_load_2addr_stride64_b32 v[12:13], v19 offset0:8 offset1:12
	ds_load_2addr_stride64_b32 v[10:11], v19 offset0:16 offset1:20
	;; [unrolled: 1-line block ×5, first 2 shown]
	ds_load_b32 v46, v19 offset:12288
	v_mov_b32_e32 v1, 0
	s_and_b32 vcc_lo, exec_lo, vcc_lo
	s_delay_alu instid0(VALU_DEP_1) | instskip(SKIP_2) | instid1(VALU_DEP_3)
	v_dual_mov_b32 v29, v1 :: v_dual_mov_b32 v57, v1
	v_dual_mov_b32 v41, v1 :: v_dual_mov_b32 v39, v1
	v_dual_mov_b32 v37, v1 :: v_dual_mov_b32 v35, v1
	v_add_nc_u64_e32 v[2:3], v[42:43], v[56:57]
	v_dual_mov_b32 v33, v1 :: v_dual_mov_b32 v31, v1
	v_dual_mov_b32 v27, v1 :: v_dual_mov_b32 v25, v1
	;; [unrolled: 1-line block ×3, first 2 shown]
	v_mov_b32_e32 v19, v1
	s_cbranch_vccnz .LBB1928_132
; %bb.76:
	v_mov_b32_e32 v17, v1
	s_mov_b32 s15, 0
	v_sub_nc_u64_e64 v[42:43], v[2:3], s[16:17]
	s_sub_nc_u64 s[0:1], s[18:19], s[14:15]
	s_delay_alu instid0(VALU_DEP_2) | instid1(SALU_CYCLE_1)
	v_add_nc_u64_e32 v[44:45], s[0:1], v[16:17]
	s_mov_b32 s0, exec_lo
	s_delay_alu instid0(VALU_DEP_1)
	v_add_nc_u64_e32 v[42:43], v[44:45], v[42:43]
                                        ; implicit-def: $vgpr44_vgpr45
	v_cmpx_ge_u32_e64 v0, v16
	s_xor_b32 s0, exec_lo, s0
; %bb.77:
	v_not_b32_e32 v44, v0
	s_delay_alu instid0(VALU_DEP_1) | instskip(NEXT) | instid1(VALU_DEP_1)
	v_ashrrev_i32_e32 v45, 31, v44
	v_add_nc_u64_e32 v[44:45], v[42:43], v[44:45]
; %bb.78:
	s_and_not1_saveexec_b32 s0, s0
; %bb.79:
	v_add_nc_u64_e32 v[44:45], v[2:3], v[0:1]
; %bb.80:
	s_or_b32 exec_lo, exec_lo, s0
	s_delay_alu instid0(VALU_DEP_1)
	v_lshl_add_u64 v[44:45], v[44:45], 2, s[10:11]
	s_mov_b32 s0, exec_lo
	s_wait_dscnt 0x6
	global_store_b32 v[44:45], v14, off
                                        ; implicit-def: $vgpr44_vgpr45
	s_wait_xcnt 0x0
	v_cmpx_ge_u32_e64 v40, v16
	s_xor_b32 s0, exec_lo, s0
; %bb.81:
	v_xor_b32_e32 v44, 0xfffffeff, v0
	s_delay_alu instid0(VALU_DEP_1) | instskip(NEXT) | instid1(VALU_DEP_1)
	v_ashrrev_i32_e32 v45, 31, v44
	v_add_nc_u64_e32 v[44:45], v[42:43], v[44:45]
; %bb.82:
	s_and_not1_saveexec_b32 s0, s0
; %bb.83:
	v_add_nc_u64_e32 v[44:45], v[2:3], v[40:41]
; %bb.84:
	s_or_b32 exec_lo, exec_lo, s0
	s_delay_alu instid0(VALU_DEP_1)
	v_lshl_add_u64 v[44:45], v[44:45], 2, s[10:11]
	s_mov_b32 s0, exec_lo
	global_store_b32 v[44:45], v15, off
                                        ; implicit-def: $vgpr44_vgpr45
	s_wait_xcnt 0x0
	v_cmpx_ge_u32_e64 v38, v16
	s_xor_b32 s0, exec_lo, s0
; %bb.85:
	v_xor_b32_e32 v44, 0xfffffdff, v0
	s_delay_alu instid0(VALU_DEP_1) | instskip(NEXT) | instid1(VALU_DEP_1)
	v_ashrrev_i32_e32 v45, 31, v44
	v_add_nc_u64_e32 v[44:45], v[42:43], v[44:45]
; %bb.86:
	s_and_not1_saveexec_b32 s0, s0
; %bb.87:
	v_add_nc_u64_e32 v[44:45], v[2:3], v[38:39]
; %bb.88:
	s_or_b32 exec_lo, exec_lo, s0
	s_delay_alu instid0(VALU_DEP_1)
	v_lshl_add_u64 v[44:45], v[44:45], 2, s[10:11]
	s_mov_b32 s0, exec_lo
	s_wait_dscnt 0x5
	global_store_b32 v[44:45], v12, off
                                        ; implicit-def: $vgpr44_vgpr45
	s_wait_xcnt 0x0
	v_cmpx_ge_u32_e64 v36, v16
	s_xor_b32 s0, exec_lo, s0
; %bb.89:
	v_xor_b32_e32 v44, 0xfffffcff, v0
	s_delay_alu instid0(VALU_DEP_1) | instskip(NEXT) | instid1(VALU_DEP_1)
	v_ashrrev_i32_e32 v45, 31, v44
	v_add_nc_u64_e32 v[44:45], v[42:43], v[44:45]
; %bb.90:
	s_and_not1_saveexec_b32 s0, s0
; %bb.91:
	v_add_nc_u64_e32 v[44:45], v[2:3], v[36:37]
; %bb.92:
	s_or_b32 exec_lo, exec_lo, s0
	s_delay_alu instid0(VALU_DEP_1)
	v_lshl_add_u64 v[44:45], v[44:45], 2, s[10:11]
	s_mov_b32 s0, exec_lo
	global_store_b32 v[44:45], v13, off
                                        ; implicit-def: $vgpr44_vgpr45
	s_wait_xcnt 0x0
	v_cmpx_ge_u32_e64 v34, v16
	s_xor_b32 s0, exec_lo, s0
; %bb.93:
	v_xor_b32_e32 v44, 0xfffffbff, v0
	;; [unrolled: 39-line block ×6, first 2 shown]
	s_delay_alu instid0(VALU_DEP_1) | instskip(NEXT) | instid1(VALU_DEP_1)
	v_ashrrev_i32_e32 v45, 31, v44
	v_add_nc_u64_e32 v[44:45], v[42:43], v[44:45]
; %bb.126:
	s_and_not1_saveexec_b32 s0, s0
; %bb.127:
	v_add_nc_u64_e32 v[44:45], v[2:3], v[18:19]
; %bb.128:
	s_or_b32 exec_lo, exec_lo, s0
	s_mov_b32 s0, -1
.LBB1928_129:
	s_delay_alu instid0(SALU_CYCLE_1)
	s_and_saveexec_b32 s1, s0
	s_cbranch_execz .LBB1928_212
.LBB1928_130:
	s_delay_alu instid0(VALU_DEP_1)
	v_lshl_add_u64 v[0:1], v[44:45], 2, s[10:11]
	s_wait_dscnt 0x0
	global_store_b32 v[0:1], v46, off
	s_wait_xcnt 0x0
	s_or_b32 exec_lo, exec_lo, s1
	s_and_b32 s0, s2, s9
	s_delay_alu instid0(SALU_CYCLE_1)
	s_and_saveexec_b32 s1, s0
	s_cbranch_execnz .LBB1928_213
.LBB1928_131:
	s_sendmsg sendmsg(MSG_DEALLOC_VGPRS)
	s_endpgm
.LBB1928_132:
	s_mov_b32 s0, 0
                                        ; implicit-def: $vgpr44_vgpr45
	s_cbranch_execz .LBB1928_129
; %bb.133:
	s_mov_b32 s15, 0
	v_mov_b32_e32 v17, 0
	s_add_nc_u64 s[4:5], s[16:17], s[14:15]
	s_mov_b32 s1, exec_lo
	s_sub_nc_u64 s[4:5], s[18:19], s[4:5]
	s_delay_alu instid0(VALU_DEP_1) | instid1(SALU_CYCLE_1)
	v_add_nc_u64_e32 v[42:43], s[4:5], v[16:17]
	s_delay_alu instid0(VALU_DEP_1)
	v_add_nc_u64_e32 v[42:43], v[42:43], v[2:3]
	v_cmpx_gt_u32_e64 s22, v0
	s_cbranch_execz .LBB1928_169
; %bb.134:
	s_mov_b32 s3, exec_lo
                                        ; implicit-def: $vgpr44_vgpr45
	v_cmpx_ge_u32_e64 v0, v16
	s_xor_b32 s3, exec_lo, s3
; %bb.135:
	v_not_b32_e32 v44, v0
	s_delay_alu instid0(VALU_DEP_1) | instskip(NEXT) | instid1(VALU_DEP_1)
	v_ashrrev_i32_e32 v45, 31, v44
	v_add_nc_u64_e32 v[44:45], v[42:43], v[44:45]
; %bb.136:
	s_and_not1_saveexec_b32 s3, s3
; %bb.137:
	v_add_nc_u64_e32 v[44:45], v[2:3], v[0:1]
; %bb.138:
	s_or_b32 exec_lo, exec_lo, s3
	s_delay_alu instid0(VALU_DEP_1) | instskip(SKIP_4) | instid1(SALU_CYCLE_1)
	v_lshl_add_u64 v[44:45], v[44:45], 2, s[10:11]
	s_wait_dscnt 0x6
	global_store_b32 v[44:45], v14, off
	s_wait_xcnt 0x0
	s_or_b32 exec_lo, exec_lo, s1
	s_mov_b32 s1, exec_lo
	v_cmpx_gt_u32_e64 s22, v40
	s_cbranch_execnz .LBB1928_170
.LBB1928_139:
	s_or_b32 exec_lo, exec_lo, s1
	s_delay_alu instid0(SALU_CYCLE_1)
	s_mov_b32 s1, exec_lo
	v_cmpx_gt_u32_e64 s22, v38
	s_cbranch_execz .LBB1928_175
.LBB1928_140:
	s_mov_b32 s3, exec_lo
                                        ; implicit-def: $vgpr14_vgpr15
	v_cmpx_ge_u32_e64 v38, v16
	s_xor_b32 s3, exec_lo, s3
	s_cbranch_execz .LBB1928_142
; %bb.141:
	s_wait_dscnt 0x6
	v_xor_b32_e32 v14, 0xfffffdff, v0
                                        ; implicit-def: $vgpr38_vgpr39
	s_delay_alu instid0(VALU_DEP_1) | instskip(NEXT) | instid1(VALU_DEP_1)
	v_ashrrev_i32_e32 v15, 31, v14
	v_add_nc_u64_e32 v[14:15], v[42:43], v[14:15]
.LBB1928_142:
	s_and_not1_saveexec_b32 s3, s3
	s_cbranch_execz .LBB1928_144
; %bb.143:
	s_wait_dscnt 0x6
	v_add_nc_u64_e32 v[14:15], v[2:3], v[38:39]
.LBB1928_144:
	s_or_b32 exec_lo, exec_lo, s3
	s_wait_dscnt 0x6
	s_delay_alu instid0(VALU_DEP_1) | instskip(SKIP_4) | instid1(SALU_CYCLE_1)
	v_lshl_add_u64 v[14:15], v[14:15], 2, s[10:11]
	s_wait_dscnt 0x5
	global_store_b32 v[14:15], v12, off
	s_wait_xcnt 0x0
	s_or_b32 exec_lo, exec_lo, s1
	s_mov_b32 s1, exec_lo
	v_cmpx_gt_u32_e64 s22, v36
	s_cbranch_execnz .LBB1928_176
.LBB1928_145:
	s_or_b32 exec_lo, exec_lo, s1
	s_delay_alu instid0(SALU_CYCLE_1)
	s_mov_b32 s1, exec_lo
	v_cmpx_gt_u32_e64 s22, v34
	s_cbranch_execz .LBB1928_181
.LBB1928_146:
	s_mov_b32 s3, exec_lo
                                        ; implicit-def: $vgpr12_vgpr13
	v_cmpx_ge_u32_e64 v34, v16
	s_xor_b32 s3, exec_lo, s3
	s_cbranch_execz .LBB1928_148
; %bb.147:
	s_wait_dscnt 0x5
	v_xor_b32_e32 v12, 0xfffffbff, v0
                                        ; implicit-def: $vgpr34_vgpr35
	s_delay_alu instid0(VALU_DEP_1) | instskip(NEXT) | instid1(VALU_DEP_1)
	v_ashrrev_i32_e32 v13, 31, v12
	v_add_nc_u64_e32 v[12:13], v[42:43], v[12:13]
.LBB1928_148:
	s_and_not1_saveexec_b32 s3, s3
	s_cbranch_execz .LBB1928_150
; %bb.149:
	s_wait_dscnt 0x5
	v_add_nc_u64_e32 v[12:13], v[2:3], v[34:35]
.LBB1928_150:
	s_or_b32 exec_lo, exec_lo, s3
	s_wait_dscnt 0x5
	s_delay_alu instid0(VALU_DEP_1) | instskip(SKIP_4) | instid1(SALU_CYCLE_1)
	v_lshl_add_u64 v[12:13], v[12:13], 2, s[10:11]
	s_wait_dscnt 0x4
	global_store_b32 v[12:13], v10, off
	s_wait_xcnt 0x0
	s_or_b32 exec_lo, exec_lo, s1
	s_mov_b32 s1, exec_lo
	v_cmpx_gt_u32_e64 s22, v32
	s_cbranch_execnz .LBB1928_182
.LBB1928_151:
	s_or_b32 exec_lo, exec_lo, s1
	s_delay_alu instid0(SALU_CYCLE_1)
	s_mov_b32 s1, exec_lo
	v_cmpx_gt_u32_e64 s22, v30
	s_cbranch_execz .LBB1928_187
.LBB1928_152:
	s_mov_b32 s3, exec_lo
                                        ; implicit-def: $vgpr10_vgpr11
	v_cmpx_ge_u32_e64 v30, v16
	s_xor_b32 s3, exec_lo, s3
	s_cbranch_execz .LBB1928_154
; %bb.153:
	s_wait_dscnt 0x4
	v_xor_b32_e32 v10, 0xfffff9ff, v0
                                        ; implicit-def: $vgpr30_vgpr31
	s_delay_alu instid0(VALU_DEP_1) | instskip(NEXT) | instid1(VALU_DEP_1)
	v_ashrrev_i32_e32 v11, 31, v10
	v_add_nc_u64_e32 v[10:11], v[42:43], v[10:11]
.LBB1928_154:
	s_and_not1_saveexec_b32 s3, s3
	s_cbranch_execz .LBB1928_156
; %bb.155:
	s_wait_dscnt 0x4
	v_add_nc_u64_e32 v[10:11], v[2:3], v[30:31]
.LBB1928_156:
	s_or_b32 exec_lo, exec_lo, s3
	s_wait_dscnt 0x4
	s_delay_alu instid0(VALU_DEP_1) | instskip(SKIP_4) | instid1(SALU_CYCLE_1)
	v_lshl_add_u64 v[10:11], v[10:11], 2, s[10:11]
	s_wait_dscnt 0x3
	global_store_b32 v[10:11], v8, off
	s_wait_xcnt 0x0
	s_or_b32 exec_lo, exec_lo, s1
	s_mov_b32 s1, exec_lo
	v_cmpx_gt_u32_e64 s22, v28
	s_cbranch_execnz .LBB1928_188
.LBB1928_157:
	s_or_b32 exec_lo, exec_lo, s1
	s_delay_alu instid0(SALU_CYCLE_1)
	s_mov_b32 s1, exec_lo
	v_cmpx_gt_u32_e64 s22, v26
	s_cbranch_execz .LBB1928_193
.LBB1928_158:
	s_mov_b32 s3, exec_lo
                                        ; implicit-def: $vgpr8_vgpr9
	v_cmpx_ge_u32_e64 v26, v16
	s_xor_b32 s3, exec_lo, s3
	s_cbranch_execz .LBB1928_160
; %bb.159:
	s_wait_dscnt 0x3
	v_xor_b32_e32 v8, 0xfffff7ff, v0
                                        ; implicit-def: $vgpr26_vgpr27
	s_delay_alu instid0(VALU_DEP_1) | instskip(NEXT) | instid1(VALU_DEP_1)
	v_ashrrev_i32_e32 v9, 31, v8
	v_add_nc_u64_e32 v[8:9], v[42:43], v[8:9]
.LBB1928_160:
	s_and_not1_saveexec_b32 s3, s3
	s_cbranch_execz .LBB1928_162
; %bb.161:
	s_wait_dscnt 0x3
	v_add_nc_u64_e32 v[8:9], v[2:3], v[26:27]
.LBB1928_162:
	s_or_b32 exec_lo, exec_lo, s3
	s_wait_dscnt 0x3
	s_delay_alu instid0(VALU_DEP_1) | instskip(SKIP_4) | instid1(SALU_CYCLE_1)
	v_lshl_add_u64 v[8:9], v[8:9], 2, s[10:11]
	s_wait_dscnt 0x2
	global_store_b32 v[8:9], v6, off
	s_wait_xcnt 0x0
	s_or_b32 exec_lo, exec_lo, s1
	s_mov_b32 s1, exec_lo
	v_cmpx_gt_u32_e64 s22, v24
	s_cbranch_execnz .LBB1928_194
.LBB1928_163:
	s_or_b32 exec_lo, exec_lo, s1
	s_delay_alu instid0(SALU_CYCLE_1)
	s_mov_b32 s1, exec_lo
	v_cmpx_gt_u32_e64 s22, v22
	s_cbranch_execz .LBB1928_199
.LBB1928_164:
	s_mov_b32 s3, exec_lo
                                        ; implicit-def: $vgpr6_vgpr7
	v_cmpx_ge_u32_e64 v22, v16
	s_xor_b32 s3, exec_lo, s3
	s_cbranch_execz .LBB1928_166
; %bb.165:
	s_wait_dscnt 0x2
	v_xor_b32_e32 v6, 0xfffff5ff, v0
                                        ; implicit-def: $vgpr22_vgpr23
	s_delay_alu instid0(VALU_DEP_1) | instskip(NEXT) | instid1(VALU_DEP_1)
	v_ashrrev_i32_e32 v7, 31, v6
	v_add_nc_u64_e32 v[6:7], v[42:43], v[6:7]
.LBB1928_166:
	s_and_not1_saveexec_b32 s3, s3
	s_cbranch_execz .LBB1928_168
; %bb.167:
	s_wait_dscnt 0x2
	v_add_nc_u64_e32 v[6:7], v[2:3], v[22:23]
.LBB1928_168:
	s_or_b32 exec_lo, exec_lo, s3
	s_wait_dscnt 0x2
	s_delay_alu instid0(VALU_DEP_1) | instskip(SKIP_4) | instid1(SALU_CYCLE_1)
	v_lshl_add_u64 v[6:7], v[6:7], 2, s[10:11]
	s_wait_dscnt 0x1
	global_store_b32 v[6:7], v4, off
	s_wait_xcnt 0x0
	s_or_b32 exec_lo, exec_lo, s1
	s_mov_b32 s1, exec_lo
	v_cmpx_gt_u32_e64 s22, v20
	s_cbranch_execz .LBB1928_205
	s_branch .LBB1928_200
.LBB1928_169:
	s_or_b32 exec_lo, exec_lo, s1
	s_delay_alu instid0(SALU_CYCLE_1)
	s_mov_b32 s1, exec_lo
	v_cmpx_gt_u32_e64 s22, v40
	s_cbranch_execz .LBB1928_139
.LBB1928_170:
	s_mov_b32 s3, exec_lo
                                        ; implicit-def: $vgpr44_vgpr45
	v_cmpx_ge_u32_e64 v40, v16
	s_xor_b32 s3, exec_lo, s3
; %bb.171:
	v_xor_b32_e32 v40, 0xfffffeff, v0
	s_delay_alu instid0(VALU_DEP_1) | instskip(NEXT) | instid1(VALU_DEP_1)
	v_ashrrev_i32_e32 v41, 31, v40
	v_add_nc_u64_e32 v[44:45], v[42:43], v[40:41]
                                        ; implicit-def: $vgpr40_vgpr41
; %bb.172:
	s_and_not1_saveexec_b32 s3, s3
; %bb.173:
	v_add_nc_u64_e32 v[44:45], v[2:3], v[40:41]
; %bb.174:
	s_or_b32 exec_lo, exec_lo, s3
	s_delay_alu instid0(VALU_DEP_1) | instskip(SKIP_4) | instid1(SALU_CYCLE_1)
	v_lshl_add_u64 v[40:41], v[44:45], 2, s[10:11]
	s_wait_dscnt 0x6
	global_store_b32 v[40:41], v15, off
	s_wait_xcnt 0x0
	s_or_b32 exec_lo, exec_lo, s1
	s_mov_b32 s1, exec_lo
	v_cmpx_gt_u32_e64 s22, v38
	s_cbranch_execnz .LBB1928_140
.LBB1928_175:
	s_or_b32 exec_lo, exec_lo, s1
	s_delay_alu instid0(SALU_CYCLE_1)
	s_mov_b32 s1, exec_lo
	v_cmpx_gt_u32_e64 s22, v36
	s_cbranch_execz .LBB1928_145
.LBB1928_176:
	s_mov_b32 s3, exec_lo
                                        ; implicit-def: $vgpr14_vgpr15
	v_cmpx_ge_u32_e64 v36, v16
	s_xor_b32 s3, exec_lo, s3
	s_cbranch_execz .LBB1928_178
; %bb.177:
	s_wait_dscnt 0x6
	v_xor_b32_e32 v14, 0xfffffcff, v0
                                        ; implicit-def: $vgpr36_vgpr37
	s_delay_alu instid0(VALU_DEP_1) | instskip(NEXT) | instid1(VALU_DEP_1)
	v_ashrrev_i32_e32 v15, 31, v14
	v_add_nc_u64_e32 v[14:15], v[42:43], v[14:15]
.LBB1928_178:
	s_and_not1_saveexec_b32 s3, s3
	s_cbranch_execz .LBB1928_180
; %bb.179:
	s_wait_dscnt 0x6
	v_add_nc_u64_e32 v[14:15], v[2:3], v[36:37]
.LBB1928_180:
	s_or_b32 exec_lo, exec_lo, s3
	s_wait_dscnt 0x6
	s_delay_alu instid0(VALU_DEP_1) | instskip(SKIP_4) | instid1(SALU_CYCLE_1)
	v_lshl_add_u64 v[14:15], v[14:15], 2, s[10:11]
	s_wait_dscnt 0x5
	global_store_b32 v[14:15], v13, off
	s_wait_xcnt 0x0
	s_or_b32 exec_lo, exec_lo, s1
	s_mov_b32 s1, exec_lo
	v_cmpx_gt_u32_e64 s22, v34
	s_cbranch_execnz .LBB1928_146
.LBB1928_181:
	s_or_b32 exec_lo, exec_lo, s1
	s_delay_alu instid0(SALU_CYCLE_1)
	s_mov_b32 s1, exec_lo
	v_cmpx_gt_u32_e64 s22, v32
	s_cbranch_execz .LBB1928_151
.LBB1928_182:
	s_mov_b32 s3, exec_lo
                                        ; implicit-def: $vgpr12_vgpr13
	v_cmpx_ge_u32_e64 v32, v16
	s_xor_b32 s3, exec_lo, s3
	s_cbranch_execz .LBB1928_184
; %bb.183:
	s_wait_dscnt 0x5
	v_xor_b32_e32 v12, 0xfffffaff, v0
                                        ; implicit-def: $vgpr32_vgpr33
	s_delay_alu instid0(VALU_DEP_1) | instskip(NEXT) | instid1(VALU_DEP_1)
	v_ashrrev_i32_e32 v13, 31, v12
	v_add_nc_u64_e32 v[12:13], v[42:43], v[12:13]
.LBB1928_184:
	s_and_not1_saveexec_b32 s3, s3
	s_cbranch_execz .LBB1928_186
; %bb.185:
	s_wait_dscnt 0x5
	v_add_nc_u64_e32 v[12:13], v[2:3], v[32:33]
.LBB1928_186:
	s_or_b32 exec_lo, exec_lo, s3
	s_wait_dscnt 0x5
	s_delay_alu instid0(VALU_DEP_1) | instskip(SKIP_4) | instid1(SALU_CYCLE_1)
	v_lshl_add_u64 v[12:13], v[12:13], 2, s[10:11]
	s_wait_dscnt 0x4
	global_store_b32 v[12:13], v11, off
	s_wait_xcnt 0x0
	s_or_b32 exec_lo, exec_lo, s1
	s_mov_b32 s1, exec_lo
	v_cmpx_gt_u32_e64 s22, v30
	s_cbranch_execnz .LBB1928_152
.LBB1928_187:
	s_or_b32 exec_lo, exec_lo, s1
	s_delay_alu instid0(SALU_CYCLE_1)
	s_mov_b32 s1, exec_lo
	v_cmpx_gt_u32_e64 s22, v28
	s_cbranch_execz .LBB1928_157
.LBB1928_188:
	s_mov_b32 s3, exec_lo
                                        ; implicit-def: $vgpr10_vgpr11
	v_cmpx_ge_u32_e64 v28, v16
	s_xor_b32 s3, exec_lo, s3
	s_cbranch_execz .LBB1928_190
; %bb.189:
	s_wait_dscnt 0x4
	v_xor_b32_e32 v10, 0xfffff8ff, v0
                                        ; implicit-def: $vgpr28_vgpr29
	s_delay_alu instid0(VALU_DEP_1) | instskip(NEXT) | instid1(VALU_DEP_1)
	v_ashrrev_i32_e32 v11, 31, v10
	v_add_nc_u64_e32 v[10:11], v[42:43], v[10:11]
.LBB1928_190:
	s_and_not1_saveexec_b32 s3, s3
	s_cbranch_execz .LBB1928_192
; %bb.191:
	s_wait_dscnt 0x4
	v_add_nc_u64_e32 v[10:11], v[2:3], v[28:29]
.LBB1928_192:
	s_or_b32 exec_lo, exec_lo, s3
	s_wait_dscnt 0x4
	s_delay_alu instid0(VALU_DEP_1) | instskip(SKIP_4) | instid1(SALU_CYCLE_1)
	v_lshl_add_u64 v[10:11], v[10:11], 2, s[10:11]
	s_wait_dscnt 0x3
	global_store_b32 v[10:11], v9, off
	s_wait_xcnt 0x0
	s_or_b32 exec_lo, exec_lo, s1
	s_mov_b32 s1, exec_lo
	v_cmpx_gt_u32_e64 s22, v26
	s_cbranch_execnz .LBB1928_158
.LBB1928_193:
	s_or_b32 exec_lo, exec_lo, s1
	s_delay_alu instid0(SALU_CYCLE_1)
	s_mov_b32 s1, exec_lo
	v_cmpx_gt_u32_e64 s22, v24
	s_cbranch_execz .LBB1928_163
.LBB1928_194:
	s_mov_b32 s3, exec_lo
                                        ; implicit-def: $vgpr8_vgpr9
	v_cmpx_ge_u32_e64 v24, v16
	s_xor_b32 s3, exec_lo, s3
	s_cbranch_execz .LBB1928_196
; %bb.195:
	s_wait_dscnt 0x3
	v_xor_b32_e32 v8, 0xfffff6ff, v0
                                        ; implicit-def: $vgpr24_vgpr25
	s_delay_alu instid0(VALU_DEP_1) | instskip(NEXT) | instid1(VALU_DEP_1)
	v_ashrrev_i32_e32 v9, 31, v8
	v_add_nc_u64_e32 v[8:9], v[42:43], v[8:9]
.LBB1928_196:
	s_and_not1_saveexec_b32 s3, s3
	s_cbranch_execz .LBB1928_198
; %bb.197:
	s_wait_dscnt 0x3
	v_add_nc_u64_e32 v[8:9], v[2:3], v[24:25]
.LBB1928_198:
	s_or_b32 exec_lo, exec_lo, s3
	s_wait_dscnt 0x3
	s_delay_alu instid0(VALU_DEP_1) | instskip(SKIP_4) | instid1(SALU_CYCLE_1)
	v_lshl_add_u64 v[8:9], v[8:9], 2, s[10:11]
	s_wait_dscnt 0x2
	global_store_b32 v[8:9], v7, off
	s_wait_xcnt 0x0
	s_or_b32 exec_lo, exec_lo, s1
	s_mov_b32 s1, exec_lo
	v_cmpx_gt_u32_e64 s22, v22
	s_cbranch_execnz .LBB1928_164
.LBB1928_199:
	s_or_b32 exec_lo, exec_lo, s1
	s_delay_alu instid0(SALU_CYCLE_1)
	s_mov_b32 s1, exec_lo
	v_cmpx_gt_u32_e64 s22, v20
	s_cbranch_execz .LBB1928_205
.LBB1928_200:
	s_mov_b32 s3, exec_lo
                                        ; implicit-def: $vgpr6_vgpr7
	v_cmpx_ge_u32_e64 v20, v16
	s_xor_b32 s3, exec_lo, s3
	s_cbranch_execz .LBB1928_202
; %bb.201:
	s_wait_dscnt 0x2
	v_xor_b32_e32 v6, 0xfffff4ff, v0
                                        ; implicit-def: $vgpr20_vgpr21
	s_delay_alu instid0(VALU_DEP_1) | instskip(NEXT) | instid1(VALU_DEP_1)
	v_ashrrev_i32_e32 v7, 31, v6
	v_add_nc_u64_e32 v[6:7], v[42:43], v[6:7]
.LBB1928_202:
	s_and_not1_saveexec_b32 s3, s3
	s_cbranch_execz .LBB1928_204
; %bb.203:
	s_wait_dscnt 0x2
	v_add_nc_u64_e32 v[6:7], v[2:3], v[20:21]
.LBB1928_204:
	s_or_b32 exec_lo, exec_lo, s3
	s_wait_dscnt 0x2
	s_delay_alu instid0(VALU_DEP_1)
	v_lshl_add_u64 v[6:7], v[6:7], 2, s[10:11]
	s_wait_dscnt 0x1
	global_store_b32 v[6:7], v5, off
.LBB1928_205:
	s_wait_xcnt 0x0
	s_or_b32 exec_lo, exec_lo, s1
	s_delay_alu instid0(SALU_CYCLE_1)
	s_mov_b32 s1, exec_lo
                                        ; implicit-def: $vgpr44_vgpr45
	v_cmpx_gt_u32_e64 s22, v18
	s_cbranch_execz .LBB1928_211
; %bb.206:
	s_mov_b32 s3, exec_lo
                                        ; implicit-def: $vgpr44_vgpr45
	v_cmpx_ge_u32_e64 v18, v16
	s_xor_b32 s3, exec_lo, s3
; %bb.207:
	v_xor_b32_e32 v0, 0xfffff3ff, v0
                                        ; implicit-def: $vgpr18_vgpr19
	s_delay_alu instid0(VALU_DEP_1) | instskip(NEXT) | instid1(VALU_DEP_1)
	v_ashrrev_i32_e32 v1, 31, v0
	v_add_nc_u64_e32 v[44:45], v[42:43], v[0:1]
; %bb.208:
	s_and_not1_saveexec_b32 s3, s3
; %bb.209:
	v_add_nc_u64_e32 v[44:45], v[2:3], v[18:19]
; %bb.210:
	s_or_b32 exec_lo, exec_lo, s3
	s_delay_alu instid0(SALU_CYCLE_1)
	s_or_b32 s0, s0, exec_lo
.LBB1928_211:
	s_or_b32 exec_lo, exec_lo, s1
	s_and_saveexec_b32 s1, s0
	s_cbranch_execnz .LBB1928_130
.LBB1928_212:
	s_or_b32 exec_lo, exec_lo, s1
	s_and_b32 s0, s2, s9
	s_delay_alu instid0(SALU_CYCLE_1)
	s_and_saveexec_b32 s1, s0
	s_cbranch_execz .LBB1928_131
.LBB1928_213:
	v_mov_b32_e32 v17, 0
	s_delay_alu instid0(VALU_DEP_1)
	v_add_nc_u64_e32 v[0:1], v[2:3], v[16:17]
	global_store_b64 v17, v[0:1], s[12:13]
	s_sendmsg sendmsg(MSG_DEALLOC_VGPRS)
	s_endpgm
	.section	.rodata,"a",@progbits
	.p2align	6, 0x0
	.amdhsa_kernel _ZN7rocprim17ROCPRIM_400000_NS6detail17trampoline_kernelINS0_13select_configILj256ELj13ELNS0_17block_load_methodE3ELS4_3ELS4_3ELNS0_20block_scan_algorithmE0ELj4294967295EEENS1_25partition_config_selectorILNS1_17partition_subalgoE3EjNS0_10empty_typeEbEEZZNS1_14partition_implILS8_3ELb0ES6_jNS0_17counting_iteratorIjlEEPS9_SE_NS0_5tupleIJPjSE_EEENSF_IJSE_SE_EEES9_SG_JZNS1_25segmented_radix_sort_implINS0_14default_configELb1EPK12hip_bfloat16PSL_PKlPlN2at6native12_GLOBAL__N_18offset_tEEE10hipError_tPvRmT1_PNSt15iterator_traitsISZ_E10value_typeET2_T3_PNS10_IS15_E10value_typeET4_jRbjT5_S1B_jjP12ihipStream_tbEUljE_EEESW_SX_SY_S15_S19_S1B_T6_T7_T9_mT8_S1D_bDpT10_ENKUlT_T0_E_clISt17integral_constantIbLb0EES1P_IbLb1EEEEDaS1L_S1M_EUlS1L_E_NS1_11comp_targetILNS1_3genE0ELNS1_11target_archE4294967295ELNS1_3gpuE0ELNS1_3repE0EEENS1_30default_config_static_selectorELNS0_4arch9wavefront6targetE0EEEvSZ_
		.amdhsa_group_segment_fixed_size 13320
		.amdhsa_private_segment_fixed_size 0
		.amdhsa_kernarg_size 152
		.amdhsa_user_sgpr_count 2
		.amdhsa_user_sgpr_dispatch_ptr 0
		.amdhsa_user_sgpr_queue_ptr 0
		.amdhsa_user_sgpr_kernarg_segment_ptr 1
		.amdhsa_user_sgpr_dispatch_id 0
		.amdhsa_user_sgpr_kernarg_preload_length 0
		.amdhsa_user_sgpr_kernarg_preload_offset 0
		.amdhsa_user_sgpr_private_segment_size 0
		.amdhsa_wavefront_size32 1
		.amdhsa_uses_dynamic_stack 0
		.amdhsa_enable_private_segment 0
		.amdhsa_system_sgpr_workgroup_id_x 1
		.amdhsa_system_sgpr_workgroup_id_y 0
		.amdhsa_system_sgpr_workgroup_id_z 0
		.amdhsa_system_sgpr_workgroup_info 0
		.amdhsa_system_vgpr_workitem_id 0
		.amdhsa_next_free_vgpr 72
		.amdhsa_next_free_sgpr 24
		.amdhsa_named_barrier_count 0
		.amdhsa_reserve_vcc 1
		.amdhsa_float_round_mode_32 0
		.amdhsa_float_round_mode_16_64 0
		.amdhsa_float_denorm_mode_32 3
		.amdhsa_float_denorm_mode_16_64 3
		.amdhsa_fp16_overflow 0
		.amdhsa_memory_ordered 1
		.amdhsa_forward_progress 1
		.amdhsa_inst_pref_size 71
		.amdhsa_round_robin_scheduling 0
		.amdhsa_exception_fp_ieee_invalid_op 0
		.amdhsa_exception_fp_denorm_src 0
		.amdhsa_exception_fp_ieee_div_zero 0
		.amdhsa_exception_fp_ieee_overflow 0
		.amdhsa_exception_fp_ieee_underflow 0
		.amdhsa_exception_fp_ieee_inexact 0
		.amdhsa_exception_int_div_zero 0
	.end_amdhsa_kernel
	.section	.text._ZN7rocprim17ROCPRIM_400000_NS6detail17trampoline_kernelINS0_13select_configILj256ELj13ELNS0_17block_load_methodE3ELS4_3ELS4_3ELNS0_20block_scan_algorithmE0ELj4294967295EEENS1_25partition_config_selectorILNS1_17partition_subalgoE3EjNS0_10empty_typeEbEEZZNS1_14partition_implILS8_3ELb0ES6_jNS0_17counting_iteratorIjlEEPS9_SE_NS0_5tupleIJPjSE_EEENSF_IJSE_SE_EEES9_SG_JZNS1_25segmented_radix_sort_implINS0_14default_configELb1EPK12hip_bfloat16PSL_PKlPlN2at6native12_GLOBAL__N_18offset_tEEE10hipError_tPvRmT1_PNSt15iterator_traitsISZ_E10value_typeET2_T3_PNS10_IS15_E10value_typeET4_jRbjT5_S1B_jjP12ihipStream_tbEUljE_EEESW_SX_SY_S15_S19_S1B_T6_T7_T9_mT8_S1D_bDpT10_ENKUlT_T0_E_clISt17integral_constantIbLb0EES1P_IbLb1EEEEDaS1L_S1M_EUlS1L_E_NS1_11comp_targetILNS1_3genE0ELNS1_11target_archE4294967295ELNS1_3gpuE0ELNS1_3repE0EEENS1_30default_config_static_selectorELNS0_4arch9wavefront6targetE0EEEvSZ_,"axG",@progbits,_ZN7rocprim17ROCPRIM_400000_NS6detail17trampoline_kernelINS0_13select_configILj256ELj13ELNS0_17block_load_methodE3ELS4_3ELS4_3ELNS0_20block_scan_algorithmE0ELj4294967295EEENS1_25partition_config_selectorILNS1_17partition_subalgoE3EjNS0_10empty_typeEbEEZZNS1_14partition_implILS8_3ELb0ES6_jNS0_17counting_iteratorIjlEEPS9_SE_NS0_5tupleIJPjSE_EEENSF_IJSE_SE_EEES9_SG_JZNS1_25segmented_radix_sort_implINS0_14default_configELb1EPK12hip_bfloat16PSL_PKlPlN2at6native12_GLOBAL__N_18offset_tEEE10hipError_tPvRmT1_PNSt15iterator_traitsISZ_E10value_typeET2_T3_PNS10_IS15_E10value_typeET4_jRbjT5_S1B_jjP12ihipStream_tbEUljE_EEESW_SX_SY_S15_S19_S1B_T6_T7_T9_mT8_S1D_bDpT10_ENKUlT_T0_E_clISt17integral_constantIbLb0EES1P_IbLb1EEEEDaS1L_S1M_EUlS1L_E_NS1_11comp_targetILNS1_3genE0ELNS1_11target_archE4294967295ELNS1_3gpuE0ELNS1_3repE0EEENS1_30default_config_static_selectorELNS0_4arch9wavefront6targetE0EEEvSZ_,comdat
.Lfunc_end1928:
	.size	_ZN7rocprim17ROCPRIM_400000_NS6detail17trampoline_kernelINS0_13select_configILj256ELj13ELNS0_17block_load_methodE3ELS4_3ELS4_3ELNS0_20block_scan_algorithmE0ELj4294967295EEENS1_25partition_config_selectorILNS1_17partition_subalgoE3EjNS0_10empty_typeEbEEZZNS1_14partition_implILS8_3ELb0ES6_jNS0_17counting_iteratorIjlEEPS9_SE_NS0_5tupleIJPjSE_EEENSF_IJSE_SE_EEES9_SG_JZNS1_25segmented_radix_sort_implINS0_14default_configELb1EPK12hip_bfloat16PSL_PKlPlN2at6native12_GLOBAL__N_18offset_tEEE10hipError_tPvRmT1_PNSt15iterator_traitsISZ_E10value_typeET2_T3_PNS10_IS15_E10value_typeET4_jRbjT5_S1B_jjP12ihipStream_tbEUljE_EEESW_SX_SY_S15_S19_S1B_T6_T7_T9_mT8_S1D_bDpT10_ENKUlT_T0_E_clISt17integral_constantIbLb0EES1P_IbLb1EEEEDaS1L_S1M_EUlS1L_E_NS1_11comp_targetILNS1_3genE0ELNS1_11target_archE4294967295ELNS1_3gpuE0ELNS1_3repE0EEENS1_30default_config_static_selectorELNS0_4arch9wavefront6targetE0EEEvSZ_, .Lfunc_end1928-_ZN7rocprim17ROCPRIM_400000_NS6detail17trampoline_kernelINS0_13select_configILj256ELj13ELNS0_17block_load_methodE3ELS4_3ELS4_3ELNS0_20block_scan_algorithmE0ELj4294967295EEENS1_25partition_config_selectorILNS1_17partition_subalgoE3EjNS0_10empty_typeEbEEZZNS1_14partition_implILS8_3ELb0ES6_jNS0_17counting_iteratorIjlEEPS9_SE_NS0_5tupleIJPjSE_EEENSF_IJSE_SE_EEES9_SG_JZNS1_25segmented_radix_sort_implINS0_14default_configELb1EPK12hip_bfloat16PSL_PKlPlN2at6native12_GLOBAL__N_18offset_tEEE10hipError_tPvRmT1_PNSt15iterator_traitsISZ_E10value_typeET2_T3_PNS10_IS15_E10value_typeET4_jRbjT5_S1B_jjP12ihipStream_tbEUljE_EEESW_SX_SY_S15_S19_S1B_T6_T7_T9_mT8_S1D_bDpT10_ENKUlT_T0_E_clISt17integral_constantIbLb0EES1P_IbLb1EEEEDaS1L_S1M_EUlS1L_E_NS1_11comp_targetILNS1_3genE0ELNS1_11target_archE4294967295ELNS1_3gpuE0ELNS1_3repE0EEENS1_30default_config_static_selectorELNS0_4arch9wavefront6targetE0EEEvSZ_
                                        ; -- End function
	.set _ZN7rocprim17ROCPRIM_400000_NS6detail17trampoline_kernelINS0_13select_configILj256ELj13ELNS0_17block_load_methodE3ELS4_3ELS4_3ELNS0_20block_scan_algorithmE0ELj4294967295EEENS1_25partition_config_selectorILNS1_17partition_subalgoE3EjNS0_10empty_typeEbEEZZNS1_14partition_implILS8_3ELb0ES6_jNS0_17counting_iteratorIjlEEPS9_SE_NS0_5tupleIJPjSE_EEENSF_IJSE_SE_EEES9_SG_JZNS1_25segmented_radix_sort_implINS0_14default_configELb1EPK12hip_bfloat16PSL_PKlPlN2at6native12_GLOBAL__N_18offset_tEEE10hipError_tPvRmT1_PNSt15iterator_traitsISZ_E10value_typeET2_T3_PNS10_IS15_E10value_typeET4_jRbjT5_S1B_jjP12ihipStream_tbEUljE_EEESW_SX_SY_S15_S19_S1B_T6_T7_T9_mT8_S1D_bDpT10_ENKUlT_T0_E_clISt17integral_constantIbLb0EES1P_IbLb1EEEEDaS1L_S1M_EUlS1L_E_NS1_11comp_targetILNS1_3genE0ELNS1_11target_archE4294967295ELNS1_3gpuE0ELNS1_3repE0EEENS1_30default_config_static_selectorELNS0_4arch9wavefront6targetE0EEEvSZ_.num_vgpr, 72
	.set _ZN7rocprim17ROCPRIM_400000_NS6detail17trampoline_kernelINS0_13select_configILj256ELj13ELNS0_17block_load_methodE3ELS4_3ELS4_3ELNS0_20block_scan_algorithmE0ELj4294967295EEENS1_25partition_config_selectorILNS1_17partition_subalgoE3EjNS0_10empty_typeEbEEZZNS1_14partition_implILS8_3ELb0ES6_jNS0_17counting_iteratorIjlEEPS9_SE_NS0_5tupleIJPjSE_EEENSF_IJSE_SE_EEES9_SG_JZNS1_25segmented_radix_sort_implINS0_14default_configELb1EPK12hip_bfloat16PSL_PKlPlN2at6native12_GLOBAL__N_18offset_tEEE10hipError_tPvRmT1_PNSt15iterator_traitsISZ_E10value_typeET2_T3_PNS10_IS15_E10value_typeET4_jRbjT5_S1B_jjP12ihipStream_tbEUljE_EEESW_SX_SY_S15_S19_S1B_T6_T7_T9_mT8_S1D_bDpT10_ENKUlT_T0_E_clISt17integral_constantIbLb0EES1P_IbLb1EEEEDaS1L_S1M_EUlS1L_E_NS1_11comp_targetILNS1_3genE0ELNS1_11target_archE4294967295ELNS1_3gpuE0ELNS1_3repE0EEENS1_30default_config_static_selectorELNS0_4arch9wavefront6targetE0EEEvSZ_.num_agpr, 0
	.set _ZN7rocprim17ROCPRIM_400000_NS6detail17trampoline_kernelINS0_13select_configILj256ELj13ELNS0_17block_load_methodE3ELS4_3ELS4_3ELNS0_20block_scan_algorithmE0ELj4294967295EEENS1_25partition_config_selectorILNS1_17partition_subalgoE3EjNS0_10empty_typeEbEEZZNS1_14partition_implILS8_3ELb0ES6_jNS0_17counting_iteratorIjlEEPS9_SE_NS0_5tupleIJPjSE_EEENSF_IJSE_SE_EEES9_SG_JZNS1_25segmented_radix_sort_implINS0_14default_configELb1EPK12hip_bfloat16PSL_PKlPlN2at6native12_GLOBAL__N_18offset_tEEE10hipError_tPvRmT1_PNSt15iterator_traitsISZ_E10value_typeET2_T3_PNS10_IS15_E10value_typeET4_jRbjT5_S1B_jjP12ihipStream_tbEUljE_EEESW_SX_SY_S15_S19_S1B_T6_T7_T9_mT8_S1D_bDpT10_ENKUlT_T0_E_clISt17integral_constantIbLb0EES1P_IbLb1EEEEDaS1L_S1M_EUlS1L_E_NS1_11comp_targetILNS1_3genE0ELNS1_11target_archE4294967295ELNS1_3gpuE0ELNS1_3repE0EEENS1_30default_config_static_selectorELNS0_4arch9wavefront6targetE0EEEvSZ_.numbered_sgpr, 24
	.set _ZN7rocprim17ROCPRIM_400000_NS6detail17trampoline_kernelINS0_13select_configILj256ELj13ELNS0_17block_load_methodE3ELS4_3ELS4_3ELNS0_20block_scan_algorithmE0ELj4294967295EEENS1_25partition_config_selectorILNS1_17partition_subalgoE3EjNS0_10empty_typeEbEEZZNS1_14partition_implILS8_3ELb0ES6_jNS0_17counting_iteratorIjlEEPS9_SE_NS0_5tupleIJPjSE_EEENSF_IJSE_SE_EEES9_SG_JZNS1_25segmented_radix_sort_implINS0_14default_configELb1EPK12hip_bfloat16PSL_PKlPlN2at6native12_GLOBAL__N_18offset_tEEE10hipError_tPvRmT1_PNSt15iterator_traitsISZ_E10value_typeET2_T3_PNS10_IS15_E10value_typeET4_jRbjT5_S1B_jjP12ihipStream_tbEUljE_EEESW_SX_SY_S15_S19_S1B_T6_T7_T9_mT8_S1D_bDpT10_ENKUlT_T0_E_clISt17integral_constantIbLb0EES1P_IbLb1EEEEDaS1L_S1M_EUlS1L_E_NS1_11comp_targetILNS1_3genE0ELNS1_11target_archE4294967295ELNS1_3gpuE0ELNS1_3repE0EEENS1_30default_config_static_selectorELNS0_4arch9wavefront6targetE0EEEvSZ_.num_named_barrier, 0
	.set _ZN7rocprim17ROCPRIM_400000_NS6detail17trampoline_kernelINS0_13select_configILj256ELj13ELNS0_17block_load_methodE3ELS4_3ELS4_3ELNS0_20block_scan_algorithmE0ELj4294967295EEENS1_25partition_config_selectorILNS1_17partition_subalgoE3EjNS0_10empty_typeEbEEZZNS1_14partition_implILS8_3ELb0ES6_jNS0_17counting_iteratorIjlEEPS9_SE_NS0_5tupleIJPjSE_EEENSF_IJSE_SE_EEES9_SG_JZNS1_25segmented_radix_sort_implINS0_14default_configELb1EPK12hip_bfloat16PSL_PKlPlN2at6native12_GLOBAL__N_18offset_tEEE10hipError_tPvRmT1_PNSt15iterator_traitsISZ_E10value_typeET2_T3_PNS10_IS15_E10value_typeET4_jRbjT5_S1B_jjP12ihipStream_tbEUljE_EEESW_SX_SY_S15_S19_S1B_T6_T7_T9_mT8_S1D_bDpT10_ENKUlT_T0_E_clISt17integral_constantIbLb0EES1P_IbLb1EEEEDaS1L_S1M_EUlS1L_E_NS1_11comp_targetILNS1_3genE0ELNS1_11target_archE4294967295ELNS1_3gpuE0ELNS1_3repE0EEENS1_30default_config_static_selectorELNS0_4arch9wavefront6targetE0EEEvSZ_.private_seg_size, 0
	.set _ZN7rocprim17ROCPRIM_400000_NS6detail17trampoline_kernelINS0_13select_configILj256ELj13ELNS0_17block_load_methodE3ELS4_3ELS4_3ELNS0_20block_scan_algorithmE0ELj4294967295EEENS1_25partition_config_selectorILNS1_17partition_subalgoE3EjNS0_10empty_typeEbEEZZNS1_14partition_implILS8_3ELb0ES6_jNS0_17counting_iteratorIjlEEPS9_SE_NS0_5tupleIJPjSE_EEENSF_IJSE_SE_EEES9_SG_JZNS1_25segmented_radix_sort_implINS0_14default_configELb1EPK12hip_bfloat16PSL_PKlPlN2at6native12_GLOBAL__N_18offset_tEEE10hipError_tPvRmT1_PNSt15iterator_traitsISZ_E10value_typeET2_T3_PNS10_IS15_E10value_typeET4_jRbjT5_S1B_jjP12ihipStream_tbEUljE_EEESW_SX_SY_S15_S19_S1B_T6_T7_T9_mT8_S1D_bDpT10_ENKUlT_T0_E_clISt17integral_constantIbLb0EES1P_IbLb1EEEEDaS1L_S1M_EUlS1L_E_NS1_11comp_targetILNS1_3genE0ELNS1_11target_archE4294967295ELNS1_3gpuE0ELNS1_3repE0EEENS1_30default_config_static_selectorELNS0_4arch9wavefront6targetE0EEEvSZ_.uses_vcc, 1
	.set _ZN7rocprim17ROCPRIM_400000_NS6detail17trampoline_kernelINS0_13select_configILj256ELj13ELNS0_17block_load_methodE3ELS4_3ELS4_3ELNS0_20block_scan_algorithmE0ELj4294967295EEENS1_25partition_config_selectorILNS1_17partition_subalgoE3EjNS0_10empty_typeEbEEZZNS1_14partition_implILS8_3ELb0ES6_jNS0_17counting_iteratorIjlEEPS9_SE_NS0_5tupleIJPjSE_EEENSF_IJSE_SE_EEES9_SG_JZNS1_25segmented_radix_sort_implINS0_14default_configELb1EPK12hip_bfloat16PSL_PKlPlN2at6native12_GLOBAL__N_18offset_tEEE10hipError_tPvRmT1_PNSt15iterator_traitsISZ_E10value_typeET2_T3_PNS10_IS15_E10value_typeET4_jRbjT5_S1B_jjP12ihipStream_tbEUljE_EEESW_SX_SY_S15_S19_S1B_T6_T7_T9_mT8_S1D_bDpT10_ENKUlT_T0_E_clISt17integral_constantIbLb0EES1P_IbLb1EEEEDaS1L_S1M_EUlS1L_E_NS1_11comp_targetILNS1_3genE0ELNS1_11target_archE4294967295ELNS1_3gpuE0ELNS1_3repE0EEENS1_30default_config_static_selectorELNS0_4arch9wavefront6targetE0EEEvSZ_.uses_flat_scratch, 0
	.set _ZN7rocprim17ROCPRIM_400000_NS6detail17trampoline_kernelINS0_13select_configILj256ELj13ELNS0_17block_load_methodE3ELS4_3ELS4_3ELNS0_20block_scan_algorithmE0ELj4294967295EEENS1_25partition_config_selectorILNS1_17partition_subalgoE3EjNS0_10empty_typeEbEEZZNS1_14partition_implILS8_3ELb0ES6_jNS0_17counting_iteratorIjlEEPS9_SE_NS0_5tupleIJPjSE_EEENSF_IJSE_SE_EEES9_SG_JZNS1_25segmented_radix_sort_implINS0_14default_configELb1EPK12hip_bfloat16PSL_PKlPlN2at6native12_GLOBAL__N_18offset_tEEE10hipError_tPvRmT1_PNSt15iterator_traitsISZ_E10value_typeET2_T3_PNS10_IS15_E10value_typeET4_jRbjT5_S1B_jjP12ihipStream_tbEUljE_EEESW_SX_SY_S15_S19_S1B_T6_T7_T9_mT8_S1D_bDpT10_ENKUlT_T0_E_clISt17integral_constantIbLb0EES1P_IbLb1EEEEDaS1L_S1M_EUlS1L_E_NS1_11comp_targetILNS1_3genE0ELNS1_11target_archE4294967295ELNS1_3gpuE0ELNS1_3repE0EEENS1_30default_config_static_selectorELNS0_4arch9wavefront6targetE0EEEvSZ_.has_dyn_sized_stack, 0
	.set _ZN7rocprim17ROCPRIM_400000_NS6detail17trampoline_kernelINS0_13select_configILj256ELj13ELNS0_17block_load_methodE3ELS4_3ELS4_3ELNS0_20block_scan_algorithmE0ELj4294967295EEENS1_25partition_config_selectorILNS1_17partition_subalgoE3EjNS0_10empty_typeEbEEZZNS1_14partition_implILS8_3ELb0ES6_jNS0_17counting_iteratorIjlEEPS9_SE_NS0_5tupleIJPjSE_EEENSF_IJSE_SE_EEES9_SG_JZNS1_25segmented_radix_sort_implINS0_14default_configELb1EPK12hip_bfloat16PSL_PKlPlN2at6native12_GLOBAL__N_18offset_tEEE10hipError_tPvRmT1_PNSt15iterator_traitsISZ_E10value_typeET2_T3_PNS10_IS15_E10value_typeET4_jRbjT5_S1B_jjP12ihipStream_tbEUljE_EEESW_SX_SY_S15_S19_S1B_T6_T7_T9_mT8_S1D_bDpT10_ENKUlT_T0_E_clISt17integral_constantIbLb0EES1P_IbLb1EEEEDaS1L_S1M_EUlS1L_E_NS1_11comp_targetILNS1_3genE0ELNS1_11target_archE4294967295ELNS1_3gpuE0ELNS1_3repE0EEENS1_30default_config_static_selectorELNS0_4arch9wavefront6targetE0EEEvSZ_.has_recursion, 0
	.set _ZN7rocprim17ROCPRIM_400000_NS6detail17trampoline_kernelINS0_13select_configILj256ELj13ELNS0_17block_load_methodE3ELS4_3ELS4_3ELNS0_20block_scan_algorithmE0ELj4294967295EEENS1_25partition_config_selectorILNS1_17partition_subalgoE3EjNS0_10empty_typeEbEEZZNS1_14partition_implILS8_3ELb0ES6_jNS0_17counting_iteratorIjlEEPS9_SE_NS0_5tupleIJPjSE_EEENSF_IJSE_SE_EEES9_SG_JZNS1_25segmented_radix_sort_implINS0_14default_configELb1EPK12hip_bfloat16PSL_PKlPlN2at6native12_GLOBAL__N_18offset_tEEE10hipError_tPvRmT1_PNSt15iterator_traitsISZ_E10value_typeET2_T3_PNS10_IS15_E10value_typeET4_jRbjT5_S1B_jjP12ihipStream_tbEUljE_EEESW_SX_SY_S15_S19_S1B_T6_T7_T9_mT8_S1D_bDpT10_ENKUlT_T0_E_clISt17integral_constantIbLb0EES1P_IbLb1EEEEDaS1L_S1M_EUlS1L_E_NS1_11comp_targetILNS1_3genE0ELNS1_11target_archE4294967295ELNS1_3gpuE0ELNS1_3repE0EEENS1_30default_config_static_selectorELNS0_4arch9wavefront6targetE0EEEvSZ_.has_indirect_call, 0
	.section	.AMDGPU.csdata,"",@progbits
; Kernel info:
; codeLenInByte = 9040
; TotalNumSgprs: 26
; NumVgprs: 72
; ScratchSize: 0
; MemoryBound: 0
; FloatMode: 240
; IeeeMode: 1
; LDSByteSize: 13320 bytes/workgroup (compile time only)
; SGPRBlocks: 0
; VGPRBlocks: 4
; NumSGPRsForWavesPerEU: 26
; NumVGPRsForWavesPerEU: 72
; NamedBarCnt: 0
; Occupancy: 12
; WaveLimiterHint : 0
; COMPUTE_PGM_RSRC2:SCRATCH_EN: 0
; COMPUTE_PGM_RSRC2:USER_SGPR: 2
; COMPUTE_PGM_RSRC2:TRAP_HANDLER: 0
; COMPUTE_PGM_RSRC2:TGID_X_EN: 1
; COMPUTE_PGM_RSRC2:TGID_Y_EN: 0
; COMPUTE_PGM_RSRC2:TGID_Z_EN: 0
; COMPUTE_PGM_RSRC2:TIDIG_COMP_CNT: 0
	.section	.text._ZN7rocprim17ROCPRIM_400000_NS6detail17trampoline_kernelINS0_13select_configILj256ELj13ELNS0_17block_load_methodE3ELS4_3ELS4_3ELNS0_20block_scan_algorithmE0ELj4294967295EEENS1_25partition_config_selectorILNS1_17partition_subalgoE3EjNS0_10empty_typeEbEEZZNS1_14partition_implILS8_3ELb0ES6_jNS0_17counting_iteratorIjlEEPS9_SE_NS0_5tupleIJPjSE_EEENSF_IJSE_SE_EEES9_SG_JZNS1_25segmented_radix_sort_implINS0_14default_configELb1EPK12hip_bfloat16PSL_PKlPlN2at6native12_GLOBAL__N_18offset_tEEE10hipError_tPvRmT1_PNSt15iterator_traitsISZ_E10value_typeET2_T3_PNS10_IS15_E10value_typeET4_jRbjT5_S1B_jjP12ihipStream_tbEUljE_EEESW_SX_SY_S15_S19_S1B_T6_T7_T9_mT8_S1D_bDpT10_ENKUlT_T0_E_clISt17integral_constantIbLb0EES1P_IbLb1EEEEDaS1L_S1M_EUlS1L_E_NS1_11comp_targetILNS1_3genE5ELNS1_11target_archE942ELNS1_3gpuE9ELNS1_3repE0EEENS1_30default_config_static_selectorELNS0_4arch9wavefront6targetE0EEEvSZ_,"axG",@progbits,_ZN7rocprim17ROCPRIM_400000_NS6detail17trampoline_kernelINS0_13select_configILj256ELj13ELNS0_17block_load_methodE3ELS4_3ELS4_3ELNS0_20block_scan_algorithmE0ELj4294967295EEENS1_25partition_config_selectorILNS1_17partition_subalgoE3EjNS0_10empty_typeEbEEZZNS1_14partition_implILS8_3ELb0ES6_jNS0_17counting_iteratorIjlEEPS9_SE_NS0_5tupleIJPjSE_EEENSF_IJSE_SE_EEES9_SG_JZNS1_25segmented_radix_sort_implINS0_14default_configELb1EPK12hip_bfloat16PSL_PKlPlN2at6native12_GLOBAL__N_18offset_tEEE10hipError_tPvRmT1_PNSt15iterator_traitsISZ_E10value_typeET2_T3_PNS10_IS15_E10value_typeET4_jRbjT5_S1B_jjP12ihipStream_tbEUljE_EEESW_SX_SY_S15_S19_S1B_T6_T7_T9_mT8_S1D_bDpT10_ENKUlT_T0_E_clISt17integral_constantIbLb0EES1P_IbLb1EEEEDaS1L_S1M_EUlS1L_E_NS1_11comp_targetILNS1_3genE5ELNS1_11target_archE942ELNS1_3gpuE9ELNS1_3repE0EEENS1_30default_config_static_selectorELNS0_4arch9wavefront6targetE0EEEvSZ_,comdat
	.globl	_ZN7rocprim17ROCPRIM_400000_NS6detail17trampoline_kernelINS0_13select_configILj256ELj13ELNS0_17block_load_methodE3ELS4_3ELS4_3ELNS0_20block_scan_algorithmE0ELj4294967295EEENS1_25partition_config_selectorILNS1_17partition_subalgoE3EjNS0_10empty_typeEbEEZZNS1_14partition_implILS8_3ELb0ES6_jNS0_17counting_iteratorIjlEEPS9_SE_NS0_5tupleIJPjSE_EEENSF_IJSE_SE_EEES9_SG_JZNS1_25segmented_radix_sort_implINS0_14default_configELb1EPK12hip_bfloat16PSL_PKlPlN2at6native12_GLOBAL__N_18offset_tEEE10hipError_tPvRmT1_PNSt15iterator_traitsISZ_E10value_typeET2_T3_PNS10_IS15_E10value_typeET4_jRbjT5_S1B_jjP12ihipStream_tbEUljE_EEESW_SX_SY_S15_S19_S1B_T6_T7_T9_mT8_S1D_bDpT10_ENKUlT_T0_E_clISt17integral_constantIbLb0EES1P_IbLb1EEEEDaS1L_S1M_EUlS1L_E_NS1_11comp_targetILNS1_3genE5ELNS1_11target_archE942ELNS1_3gpuE9ELNS1_3repE0EEENS1_30default_config_static_selectorELNS0_4arch9wavefront6targetE0EEEvSZ_ ; -- Begin function _ZN7rocprim17ROCPRIM_400000_NS6detail17trampoline_kernelINS0_13select_configILj256ELj13ELNS0_17block_load_methodE3ELS4_3ELS4_3ELNS0_20block_scan_algorithmE0ELj4294967295EEENS1_25partition_config_selectorILNS1_17partition_subalgoE3EjNS0_10empty_typeEbEEZZNS1_14partition_implILS8_3ELb0ES6_jNS0_17counting_iteratorIjlEEPS9_SE_NS0_5tupleIJPjSE_EEENSF_IJSE_SE_EEES9_SG_JZNS1_25segmented_radix_sort_implINS0_14default_configELb1EPK12hip_bfloat16PSL_PKlPlN2at6native12_GLOBAL__N_18offset_tEEE10hipError_tPvRmT1_PNSt15iterator_traitsISZ_E10value_typeET2_T3_PNS10_IS15_E10value_typeET4_jRbjT5_S1B_jjP12ihipStream_tbEUljE_EEESW_SX_SY_S15_S19_S1B_T6_T7_T9_mT8_S1D_bDpT10_ENKUlT_T0_E_clISt17integral_constantIbLb0EES1P_IbLb1EEEEDaS1L_S1M_EUlS1L_E_NS1_11comp_targetILNS1_3genE5ELNS1_11target_archE942ELNS1_3gpuE9ELNS1_3repE0EEENS1_30default_config_static_selectorELNS0_4arch9wavefront6targetE0EEEvSZ_
	.p2align	8
	.type	_ZN7rocprim17ROCPRIM_400000_NS6detail17trampoline_kernelINS0_13select_configILj256ELj13ELNS0_17block_load_methodE3ELS4_3ELS4_3ELNS0_20block_scan_algorithmE0ELj4294967295EEENS1_25partition_config_selectorILNS1_17partition_subalgoE3EjNS0_10empty_typeEbEEZZNS1_14partition_implILS8_3ELb0ES6_jNS0_17counting_iteratorIjlEEPS9_SE_NS0_5tupleIJPjSE_EEENSF_IJSE_SE_EEES9_SG_JZNS1_25segmented_radix_sort_implINS0_14default_configELb1EPK12hip_bfloat16PSL_PKlPlN2at6native12_GLOBAL__N_18offset_tEEE10hipError_tPvRmT1_PNSt15iterator_traitsISZ_E10value_typeET2_T3_PNS10_IS15_E10value_typeET4_jRbjT5_S1B_jjP12ihipStream_tbEUljE_EEESW_SX_SY_S15_S19_S1B_T6_T7_T9_mT8_S1D_bDpT10_ENKUlT_T0_E_clISt17integral_constantIbLb0EES1P_IbLb1EEEEDaS1L_S1M_EUlS1L_E_NS1_11comp_targetILNS1_3genE5ELNS1_11target_archE942ELNS1_3gpuE9ELNS1_3repE0EEENS1_30default_config_static_selectorELNS0_4arch9wavefront6targetE0EEEvSZ_,@function
_ZN7rocprim17ROCPRIM_400000_NS6detail17trampoline_kernelINS0_13select_configILj256ELj13ELNS0_17block_load_methodE3ELS4_3ELS4_3ELNS0_20block_scan_algorithmE0ELj4294967295EEENS1_25partition_config_selectorILNS1_17partition_subalgoE3EjNS0_10empty_typeEbEEZZNS1_14partition_implILS8_3ELb0ES6_jNS0_17counting_iteratorIjlEEPS9_SE_NS0_5tupleIJPjSE_EEENSF_IJSE_SE_EEES9_SG_JZNS1_25segmented_radix_sort_implINS0_14default_configELb1EPK12hip_bfloat16PSL_PKlPlN2at6native12_GLOBAL__N_18offset_tEEE10hipError_tPvRmT1_PNSt15iterator_traitsISZ_E10value_typeET2_T3_PNS10_IS15_E10value_typeET4_jRbjT5_S1B_jjP12ihipStream_tbEUljE_EEESW_SX_SY_S15_S19_S1B_T6_T7_T9_mT8_S1D_bDpT10_ENKUlT_T0_E_clISt17integral_constantIbLb0EES1P_IbLb1EEEEDaS1L_S1M_EUlS1L_E_NS1_11comp_targetILNS1_3genE5ELNS1_11target_archE942ELNS1_3gpuE9ELNS1_3repE0EEENS1_30default_config_static_selectorELNS0_4arch9wavefront6targetE0EEEvSZ_: ; @_ZN7rocprim17ROCPRIM_400000_NS6detail17trampoline_kernelINS0_13select_configILj256ELj13ELNS0_17block_load_methodE3ELS4_3ELS4_3ELNS0_20block_scan_algorithmE0ELj4294967295EEENS1_25partition_config_selectorILNS1_17partition_subalgoE3EjNS0_10empty_typeEbEEZZNS1_14partition_implILS8_3ELb0ES6_jNS0_17counting_iteratorIjlEEPS9_SE_NS0_5tupleIJPjSE_EEENSF_IJSE_SE_EEES9_SG_JZNS1_25segmented_radix_sort_implINS0_14default_configELb1EPK12hip_bfloat16PSL_PKlPlN2at6native12_GLOBAL__N_18offset_tEEE10hipError_tPvRmT1_PNSt15iterator_traitsISZ_E10value_typeET2_T3_PNS10_IS15_E10value_typeET4_jRbjT5_S1B_jjP12ihipStream_tbEUljE_EEESW_SX_SY_S15_S19_S1B_T6_T7_T9_mT8_S1D_bDpT10_ENKUlT_T0_E_clISt17integral_constantIbLb0EES1P_IbLb1EEEEDaS1L_S1M_EUlS1L_E_NS1_11comp_targetILNS1_3genE5ELNS1_11target_archE942ELNS1_3gpuE9ELNS1_3repE0EEENS1_30default_config_static_selectorELNS0_4arch9wavefront6targetE0EEEvSZ_
; %bb.0:
	.section	.rodata,"a",@progbits
	.p2align	6, 0x0
	.amdhsa_kernel _ZN7rocprim17ROCPRIM_400000_NS6detail17trampoline_kernelINS0_13select_configILj256ELj13ELNS0_17block_load_methodE3ELS4_3ELS4_3ELNS0_20block_scan_algorithmE0ELj4294967295EEENS1_25partition_config_selectorILNS1_17partition_subalgoE3EjNS0_10empty_typeEbEEZZNS1_14partition_implILS8_3ELb0ES6_jNS0_17counting_iteratorIjlEEPS9_SE_NS0_5tupleIJPjSE_EEENSF_IJSE_SE_EEES9_SG_JZNS1_25segmented_radix_sort_implINS0_14default_configELb1EPK12hip_bfloat16PSL_PKlPlN2at6native12_GLOBAL__N_18offset_tEEE10hipError_tPvRmT1_PNSt15iterator_traitsISZ_E10value_typeET2_T3_PNS10_IS15_E10value_typeET4_jRbjT5_S1B_jjP12ihipStream_tbEUljE_EEESW_SX_SY_S15_S19_S1B_T6_T7_T9_mT8_S1D_bDpT10_ENKUlT_T0_E_clISt17integral_constantIbLb0EES1P_IbLb1EEEEDaS1L_S1M_EUlS1L_E_NS1_11comp_targetILNS1_3genE5ELNS1_11target_archE942ELNS1_3gpuE9ELNS1_3repE0EEENS1_30default_config_static_selectorELNS0_4arch9wavefront6targetE0EEEvSZ_
		.amdhsa_group_segment_fixed_size 0
		.amdhsa_private_segment_fixed_size 0
		.amdhsa_kernarg_size 152
		.amdhsa_user_sgpr_count 2
		.amdhsa_user_sgpr_dispatch_ptr 0
		.amdhsa_user_sgpr_queue_ptr 0
		.amdhsa_user_sgpr_kernarg_segment_ptr 1
		.amdhsa_user_sgpr_dispatch_id 0
		.amdhsa_user_sgpr_kernarg_preload_length 0
		.amdhsa_user_sgpr_kernarg_preload_offset 0
		.amdhsa_user_sgpr_private_segment_size 0
		.amdhsa_wavefront_size32 1
		.amdhsa_uses_dynamic_stack 0
		.amdhsa_enable_private_segment 0
		.amdhsa_system_sgpr_workgroup_id_x 1
		.amdhsa_system_sgpr_workgroup_id_y 0
		.amdhsa_system_sgpr_workgroup_id_z 0
		.amdhsa_system_sgpr_workgroup_info 0
		.amdhsa_system_vgpr_workitem_id 0
		.amdhsa_next_free_vgpr 1
		.amdhsa_next_free_sgpr 1
		.amdhsa_named_barrier_count 0
		.amdhsa_reserve_vcc 0
		.amdhsa_float_round_mode_32 0
		.amdhsa_float_round_mode_16_64 0
		.amdhsa_float_denorm_mode_32 3
		.amdhsa_float_denorm_mode_16_64 3
		.amdhsa_fp16_overflow 0
		.amdhsa_memory_ordered 1
		.amdhsa_forward_progress 1
		.amdhsa_inst_pref_size 0
		.amdhsa_round_robin_scheduling 0
		.amdhsa_exception_fp_ieee_invalid_op 0
		.amdhsa_exception_fp_denorm_src 0
		.amdhsa_exception_fp_ieee_div_zero 0
		.amdhsa_exception_fp_ieee_overflow 0
		.amdhsa_exception_fp_ieee_underflow 0
		.amdhsa_exception_fp_ieee_inexact 0
		.amdhsa_exception_int_div_zero 0
	.end_amdhsa_kernel
	.section	.text._ZN7rocprim17ROCPRIM_400000_NS6detail17trampoline_kernelINS0_13select_configILj256ELj13ELNS0_17block_load_methodE3ELS4_3ELS4_3ELNS0_20block_scan_algorithmE0ELj4294967295EEENS1_25partition_config_selectorILNS1_17partition_subalgoE3EjNS0_10empty_typeEbEEZZNS1_14partition_implILS8_3ELb0ES6_jNS0_17counting_iteratorIjlEEPS9_SE_NS0_5tupleIJPjSE_EEENSF_IJSE_SE_EEES9_SG_JZNS1_25segmented_radix_sort_implINS0_14default_configELb1EPK12hip_bfloat16PSL_PKlPlN2at6native12_GLOBAL__N_18offset_tEEE10hipError_tPvRmT1_PNSt15iterator_traitsISZ_E10value_typeET2_T3_PNS10_IS15_E10value_typeET4_jRbjT5_S1B_jjP12ihipStream_tbEUljE_EEESW_SX_SY_S15_S19_S1B_T6_T7_T9_mT8_S1D_bDpT10_ENKUlT_T0_E_clISt17integral_constantIbLb0EES1P_IbLb1EEEEDaS1L_S1M_EUlS1L_E_NS1_11comp_targetILNS1_3genE5ELNS1_11target_archE942ELNS1_3gpuE9ELNS1_3repE0EEENS1_30default_config_static_selectorELNS0_4arch9wavefront6targetE0EEEvSZ_,"axG",@progbits,_ZN7rocprim17ROCPRIM_400000_NS6detail17trampoline_kernelINS0_13select_configILj256ELj13ELNS0_17block_load_methodE3ELS4_3ELS4_3ELNS0_20block_scan_algorithmE0ELj4294967295EEENS1_25partition_config_selectorILNS1_17partition_subalgoE3EjNS0_10empty_typeEbEEZZNS1_14partition_implILS8_3ELb0ES6_jNS0_17counting_iteratorIjlEEPS9_SE_NS0_5tupleIJPjSE_EEENSF_IJSE_SE_EEES9_SG_JZNS1_25segmented_radix_sort_implINS0_14default_configELb1EPK12hip_bfloat16PSL_PKlPlN2at6native12_GLOBAL__N_18offset_tEEE10hipError_tPvRmT1_PNSt15iterator_traitsISZ_E10value_typeET2_T3_PNS10_IS15_E10value_typeET4_jRbjT5_S1B_jjP12ihipStream_tbEUljE_EEESW_SX_SY_S15_S19_S1B_T6_T7_T9_mT8_S1D_bDpT10_ENKUlT_T0_E_clISt17integral_constantIbLb0EES1P_IbLb1EEEEDaS1L_S1M_EUlS1L_E_NS1_11comp_targetILNS1_3genE5ELNS1_11target_archE942ELNS1_3gpuE9ELNS1_3repE0EEENS1_30default_config_static_selectorELNS0_4arch9wavefront6targetE0EEEvSZ_,comdat
.Lfunc_end1929:
	.size	_ZN7rocprim17ROCPRIM_400000_NS6detail17trampoline_kernelINS0_13select_configILj256ELj13ELNS0_17block_load_methodE3ELS4_3ELS4_3ELNS0_20block_scan_algorithmE0ELj4294967295EEENS1_25partition_config_selectorILNS1_17partition_subalgoE3EjNS0_10empty_typeEbEEZZNS1_14partition_implILS8_3ELb0ES6_jNS0_17counting_iteratorIjlEEPS9_SE_NS0_5tupleIJPjSE_EEENSF_IJSE_SE_EEES9_SG_JZNS1_25segmented_radix_sort_implINS0_14default_configELb1EPK12hip_bfloat16PSL_PKlPlN2at6native12_GLOBAL__N_18offset_tEEE10hipError_tPvRmT1_PNSt15iterator_traitsISZ_E10value_typeET2_T3_PNS10_IS15_E10value_typeET4_jRbjT5_S1B_jjP12ihipStream_tbEUljE_EEESW_SX_SY_S15_S19_S1B_T6_T7_T9_mT8_S1D_bDpT10_ENKUlT_T0_E_clISt17integral_constantIbLb0EES1P_IbLb1EEEEDaS1L_S1M_EUlS1L_E_NS1_11comp_targetILNS1_3genE5ELNS1_11target_archE942ELNS1_3gpuE9ELNS1_3repE0EEENS1_30default_config_static_selectorELNS0_4arch9wavefront6targetE0EEEvSZ_, .Lfunc_end1929-_ZN7rocprim17ROCPRIM_400000_NS6detail17trampoline_kernelINS0_13select_configILj256ELj13ELNS0_17block_load_methodE3ELS4_3ELS4_3ELNS0_20block_scan_algorithmE0ELj4294967295EEENS1_25partition_config_selectorILNS1_17partition_subalgoE3EjNS0_10empty_typeEbEEZZNS1_14partition_implILS8_3ELb0ES6_jNS0_17counting_iteratorIjlEEPS9_SE_NS0_5tupleIJPjSE_EEENSF_IJSE_SE_EEES9_SG_JZNS1_25segmented_radix_sort_implINS0_14default_configELb1EPK12hip_bfloat16PSL_PKlPlN2at6native12_GLOBAL__N_18offset_tEEE10hipError_tPvRmT1_PNSt15iterator_traitsISZ_E10value_typeET2_T3_PNS10_IS15_E10value_typeET4_jRbjT5_S1B_jjP12ihipStream_tbEUljE_EEESW_SX_SY_S15_S19_S1B_T6_T7_T9_mT8_S1D_bDpT10_ENKUlT_T0_E_clISt17integral_constantIbLb0EES1P_IbLb1EEEEDaS1L_S1M_EUlS1L_E_NS1_11comp_targetILNS1_3genE5ELNS1_11target_archE942ELNS1_3gpuE9ELNS1_3repE0EEENS1_30default_config_static_selectorELNS0_4arch9wavefront6targetE0EEEvSZ_
                                        ; -- End function
	.set _ZN7rocprim17ROCPRIM_400000_NS6detail17trampoline_kernelINS0_13select_configILj256ELj13ELNS0_17block_load_methodE3ELS4_3ELS4_3ELNS0_20block_scan_algorithmE0ELj4294967295EEENS1_25partition_config_selectorILNS1_17partition_subalgoE3EjNS0_10empty_typeEbEEZZNS1_14partition_implILS8_3ELb0ES6_jNS0_17counting_iteratorIjlEEPS9_SE_NS0_5tupleIJPjSE_EEENSF_IJSE_SE_EEES9_SG_JZNS1_25segmented_radix_sort_implINS0_14default_configELb1EPK12hip_bfloat16PSL_PKlPlN2at6native12_GLOBAL__N_18offset_tEEE10hipError_tPvRmT1_PNSt15iterator_traitsISZ_E10value_typeET2_T3_PNS10_IS15_E10value_typeET4_jRbjT5_S1B_jjP12ihipStream_tbEUljE_EEESW_SX_SY_S15_S19_S1B_T6_T7_T9_mT8_S1D_bDpT10_ENKUlT_T0_E_clISt17integral_constantIbLb0EES1P_IbLb1EEEEDaS1L_S1M_EUlS1L_E_NS1_11comp_targetILNS1_3genE5ELNS1_11target_archE942ELNS1_3gpuE9ELNS1_3repE0EEENS1_30default_config_static_selectorELNS0_4arch9wavefront6targetE0EEEvSZ_.num_vgpr, 0
	.set _ZN7rocprim17ROCPRIM_400000_NS6detail17trampoline_kernelINS0_13select_configILj256ELj13ELNS0_17block_load_methodE3ELS4_3ELS4_3ELNS0_20block_scan_algorithmE0ELj4294967295EEENS1_25partition_config_selectorILNS1_17partition_subalgoE3EjNS0_10empty_typeEbEEZZNS1_14partition_implILS8_3ELb0ES6_jNS0_17counting_iteratorIjlEEPS9_SE_NS0_5tupleIJPjSE_EEENSF_IJSE_SE_EEES9_SG_JZNS1_25segmented_radix_sort_implINS0_14default_configELb1EPK12hip_bfloat16PSL_PKlPlN2at6native12_GLOBAL__N_18offset_tEEE10hipError_tPvRmT1_PNSt15iterator_traitsISZ_E10value_typeET2_T3_PNS10_IS15_E10value_typeET4_jRbjT5_S1B_jjP12ihipStream_tbEUljE_EEESW_SX_SY_S15_S19_S1B_T6_T7_T9_mT8_S1D_bDpT10_ENKUlT_T0_E_clISt17integral_constantIbLb0EES1P_IbLb1EEEEDaS1L_S1M_EUlS1L_E_NS1_11comp_targetILNS1_3genE5ELNS1_11target_archE942ELNS1_3gpuE9ELNS1_3repE0EEENS1_30default_config_static_selectorELNS0_4arch9wavefront6targetE0EEEvSZ_.num_agpr, 0
	.set _ZN7rocprim17ROCPRIM_400000_NS6detail17trampoline_kernelINS0_13select_configILj256ELj13ELNS0_17block_load_methodE3ELS4_3ELS4_3ELNS0_20block_scan_algorithmE0ELj4294967295EEENS1_25partition_config_selectorILNS1_17partition_subalgoE3EjNS0_10empty_typeEbEEZZNS1_14partition_implILS8_3ELb0ES6_jNS0_17counting_iteratorIjlEEPS9_SE_NS0_5tupleIJPjSE_EEENSF_IJSE_SE_EEES9_SG_JZNS1_25segmented_radix_sort_implINS0_14default_configELb1EPK12hip_bfloat16PSL_PKlPlN2at6native12_GLOBAL__N_18offset_tEEE10hipError_tPvRmT1_PNSt15iterator_traitsISZ_E10value_typeET2_T3_PNS10_IS15_E10value_typeET4_jRbjT5_S1B_jjP12ihipStream_tbEUljE_EEESW_SX_SY_S15_S19_S1B_T6_T7_T9_mT8_S1D_bDpT10_ENKUlT_T0_E_clISt17integral_constantIbLb0EES1P_IbLb1EEEEDaS1L_S1M_EUlS1L_E_NS1_11comp_targetILNS1_3genE5ELNS1_11target_archE942ELNS1_3gpuE9ELNS1_3repE0EEENS1_30default_config_static_selectorELNS0_4arch9wavefront6targetE0EEEvSZ_.numbered_sgpr, 0
	.set _ZN7rocprim17ROCPRIM_400000_NS6detail17trampoline_kernelINS0_13select_configILj256ELj13ELNS0_17block_load_methodE3ELS4_3ELS4_3ELNS0_20block_scan_algorithmE0ELj4294967295EEENS1_25partition_config_selectorILNS1_17partition_subalgoE3EjNS0_10empty_typeEbEEZZNS1_14partition_implILS8_3ELb0ES6_jNS0_17counting_iteratorIjlEEPS9_SE_NS0_5tupleIJPjSE_EEENSF_IJSE_SE_EEES9_SG_JZNS1_25segmented_radix_sort_implINS0_14default_configELb1EPK12hip_bfloat16PSL_PKlPlN2at6native12_GLOBAL__N_18offset_tEEE10hipError_tPvRmT1_PNSt15iterator_traitsISZ_E10value_typeET2_T3_PNS10_IS15_E10value_typeET4_jRbjT5_S1B_jjP12ihipStream_tbEUljE_EEESW_SX_SY_S15_S19_S1B_T6_T7_T9_mT8_S1D_bDpT10_ENKUlT_T0_E_clISt17integral_constantIbLb0EES1P_IbLb1EEEEDaS1L_S1M_EUlS1L_E_NS1_11comp_targetILNS1_3genE5ELNS1_11target_archE942ELNS1_3gpuE9ELNS1_3repE0EEENS1_30default_config_static_selectorELNS0_4arch9wavefront6targetE0EEEvSZ_.num_named_barrier, 0
	.set _ZN7rocprim17ROCPRIM_400000_NS6detail17trampoline_kernelINS0_13select_configILj256ELj13ELNS0_17block_load_methodE3ELS4_3ELS4_3ELNS0_20block_scan_algorithmE0ELj4294967295EEENS1_25partition_config_selectorILNS1_17partition_subalgoE3EjNS0_10empty_typeEbEEZZNS1_14partition_implILS8_3ELb0ES6_jNS0_17counting_iteratorIjlEEPS9_SE_NS0_5tupleIJPjSE_EEENSF_IJSE_SE_EEES9_SG_JZNS1_25segmented_radix_sort_implINS0_14default_configELb1EPK12hip_bfloat16PSL_PKlPlN2at6native12_GLOBAL__N_18offset_tEEE10hipError_tPvRmT1_PNSt15iterator_traitsISZ_E10value_typeET2_T3_PNS10_IS15_E10value_typeET4_jRbjT5_S1B_jjP12ihipStream_tbEUljE_EEESW_SX_SY_S15_S19_S1B_T6_T7_T9_mT8_S1D_bDpT10_ENKUlT_T0_E_clISt17integral_constantIbLb0EES1P_IbLb1EEEEDaS1L_S1M_EUlS1L_E_NS1_11comp_targetILNS1_3genE5ELNS1_11target_archE942ELNS1_3gpuE9ELNS1_3repE0EEENS1_30default_config_static_selectorELNS0_4arch9wavefront6targetE0EEEvSZ_.private_seg_size, 0
	.set _ZN7rocprim17ROCPRIM_400000_NS6detail17trampoline_kernelINS0_13select_configILj256ELj13ELNS0_17block_load_methodE3ELS4_3ELS4_3ELNS0_20block_scan_algorithmE0ELj4294967295EEENS1_25partition_config_selectorILNS1_17partition_subalgoE3EjNS0_10empty_typeEbEEZZNS1_14partition_implILS8_3ELb0ES6_jNS0_17counting_iteratorIjlEEPS9_SE_NS0_5tupleIJPjSE_EEENSF_IJSE_SE_EEES9_SG_JZNS1_25segmented_radix_sort_implINS0_14default_configELb1EPK12hip_bfloat16PSL_PKlPlN2at6native12_GLOBAL__N_18offset_tEEE10hipError_tPvRmT1_PNSt15iterator_traitsISZ_E10value_typeET2_T3_PNS10_IS15_E10value_typeET4_jRbjT5_S1B_jjP12ihipStream_tbEUljE_EEESW_SX_SY_S15_S19_S1B_T6_T7_T9_mT8_S1D_bDpT10_ENKUlT_T0_E_clISt17integral_constantIbLb0EES1P_IbLb1EEEEDaS1L_S1M_EUlS1L_E_NS1_11comp_targetILNS1_3genE5ELNS1_11target_archE942ELNS1_3gpuE9ELNS1_3repE0EEENS1_30default_config_static_selectorELNS0_4arch9wavefront6targetE0EEEvSZ_.uses_vcc, 0
	.set _ZN7rocprim17ROCPRIM_400000_NS6detail17trampoline_kernelINS0_13select_configILj256ELj13ELNS0_17block_load_methodE3ELS4_3ELS4_3ELNS0_20block_scan_algorithmE0ELj4294967295EEENS1_25partition_config_selectorILNS1_17partition_subalgoE3EjNS0_10empty_typeEbEEZZNS1_14partition_implILS8_3ELb0ES6_jNS0_17counting_iteratorIjlEEPS9_SE_NS0_5tupleIJPjSE_EEENSF_IJSE_SE_EEES9_SG_JZNS1_25segmented_radix_sort_implINS0_14default_configELb1EPK12hip_bfloat16PSL_PKlPlN2at6native12_GLOBAL__N_18offset_tEEE10hipError_tPvRmT1_PNSt15iterator_traitsISZ_E10value_typeET2_T3_PNS10_IS15_E10value_typeET4_jRbjT5_S1B_jjP12ihipStream_tbEUljE_EEESW_SX_SY_S15_S19_S1B_T6_T7_T9_mT8_S1D_bDpT10_ENKUlT_T0_E_clISt17integral_constantIbLb0EES1P_IbLb1EEEEDaS1L_S1M_EUlS1L_E_NS1_11comp_targetILNS1_3genE5ELNS1_11target_archE942ELNS1_3gpuE9ELNS1_3repE0EEENS1_30default_config_static_selectorELNS0_4arch9wavefront6targetE0EEEvSZ_.uses_flat_scratch, 0
	.set _ZN7rocprim17ROCPRIM_400000_NS6detail17trampoline_kernelINS0_13select_configILj256ELj13ELNS0_17block_load_methodE3ELS4_3ELS4_3ELNS0_20block_scan_algorithmE0ELj4294967295EEENS1_25partition_config_selectorILNS1_17partition_subalgoE3EjNS0_10empty_typeEbEEZZNS1_14partition_implILS8_3ELb0ES6_jNS0_17counting_iteratorIjlEEPS9_SE_NS0_5tupleIJPjSE_EEENSF_IJSE_SE_EEES9_SG_JZNS1_25segmented_radix_sort_implINS0_14default_configELb1EPK12hip_bfloat16PSL_PKlPlN2at6native12_GLOBAL__N_18offset_tEEE10hipError_tPvRmT1_PNSt15iterator_traitsISZ_E10value_typeET2_T3_PNS10_IS15_E10value_typeET4_jRbjT5_S1B_jjP12ihipStream_tbEUljE_EEESW_SX_SY_S15_S19_S1B_T6_T7_T9_mT8_S1D_bDpT10_ENKUlT_T0_E_clISt17integral_constantIbLb0EES1P_IbLb1EEEEDaS1L_S1M_EUlS1L_E_NS1_11comp_targetILNS1_3genE5ELNS1_11target_archE942ELNS1_3gpuE9ELNS1_3repE0EEENS1_30default_config_static_selectorELNS0_4arch9wavefront6targetE0EEEvSZ_.has_dyn_sized_stack, 0
	.set _ZN7rocprim17ROCPRIM_400000_NS6detail17trampoline_kernelINS0_13select_configILj256ELj13ELNS0_17block_load_methodE3ELS4_3ELS4_3ELNS0_20block_scan_algorithmE0ELj4294967295EEENS1_25partition_config_selectorILNS1_17partition_subalgoE3EjNS0_10empty_typeEbEEZZNS1_14partition_implILS8_3ELb0ES6_jNS0_17counting_iteratorIjlEEPS9_SE_NS0_5tupleIJPjSE_EEENSF_IJSE_SE_EEES9_SG_JZNS1_25segmented_radix_sort_implINS0_14default_configELb1EPK12hip_bfloat16PSL_PKlPlN2at6native12_GLOBAL__N_18offset_tEEE10hipError_tPvRmT1_PNSt15iterator_traitsISZ_E10value_typeET2_T3_PNS10_IS15_E10value_typeET4_jRbjT5_S1B_jjP12ihipStream_tbEUljE_EEESW_SX_SY_S15_S19_S1B_T6_T7_T9_mT8_S1D_bDpT10_ENKUlT_T0_E_clISt17integral_constantIbLb0EES1P_IbLb1EEEEDaS1L_S1M_EUlS1L_E_NS1_11comp_targetILNS1_3genE5ELNS1_11target_archE942ELNS1_3gpuE9ELNS1_3repE0EEENS1_30default_config_static_selectorELNS0_4arch9wavefront6targetE0EEEvSZ_.has_recursion, 0
	.set _ZN7rocprim17ROCPRIM_400000_NS6detail17trampoline_kernelINS0_13select_configILj256ELj13ELNS0_17block_load_methodE3ELS4_3ELS4_3ELNS0_20block_scan_algorithmE0ELj4294967295EEENS1_25partition_config_selectorILNS1_17partition_subalgoE3EjNS0_10empty_typeEbEEZZNS1_14partition_implILS8_3ELb0ES6_jNS0_17counting_iteratorIjlEEPS9_SE_NS0_5tupleIJPjSE_EEENSF_IJSE_SE_EEES9_SG_JZNS1_25segmented_radix_sort_implINS0_14default_configELb1EPK12hip_bfloat16PSL_PKlPlN2at6native12_GLOBAL__N_18offset_tEEE10hipError_tPvRmT1_PNSt15iterator_traitsISZ_E10value_typeET2_T3_PNS10_IS15_E10value_typeET4_jRbjT5_S1B_jjP12ihipStream_tbEUljE_EEESW_SX_SY_S15_S19_S1B_T6_T7_T9_mT8_S1D_bDpT10_ENKUlT_T0_E_clISt17integral_constantIbLb0EES1P_IbLb1EEEEDaS1L_S1M_EUlS1L_E_NS1_11comp_targetILNS1_3genE5ELNS1_11target_archE942ELNS1_3gpuE9ELNS1_3repE0EEENS1_30default_config_static_selectorELNS0_4arch9wavefront6targetE0EEEvSZ_.has_indirect_call, 0
	.section	.AMDGPU.csdata,"",@progbits
; Kernel info:
; codeLenInByte = 0
; TotalNumSgprs: 0
; NumVgprs: 0
; ScratchSize: 0
; MemoryBound: 0
; FloatMode: 240
; IeeeMode: 1
; LDSByteSize: 0 bytes/workgroup (compile time only)
; SGPRBlocks: 0
; VGPRBlocks: 0
; NumSGPRsForWavesPerEU: 1
; NumVGPRsForWavesPerEU: 1
; NamedBarCnt: 0
; Occupancy: 16
; WaveLimiterHint : 0
; COMPUTE_PGM_RSRC2:SCRATCH_EN: 0
; COMPUTE_PGM_RSRC2:USER_SGPR: 2
; COMPUTE_PGM_RSRC2:TRAP_HANDLER: 0
; COMPUTE_PGM_RSRC2:TGID_X_EN: 1
; COMPUTE_PGM_RSRC2:TGID_Y_EN: 0
; COMPUTE_PGM_RSRC2:TGID_Z_EN: 0
; COMPUTE_PGM_RSRC2:TIDIG_COMP_CNT: 0
	.section	.text._ZN7rocprim17ROCPRIM_400000_NS6detail17trampoline_kernelINS0_13select_configILj256ELj13ELNS0_17block_load_methodE3ELS4_3ELS4_3ELNS0_20block_scan_algorithmE0ELj4294967295EEENS1_25partition_config_selectorILNS1_17partition_subalgoE3EjNS0_10empty_typeEbEEZZNS1_14partition_implILS8_3ELb0ES6_jNS0_17counting_iteratorIjlEEPS9_SE_NS0_5tupleIJPjSE_EEENSF_IJSE_SE_EEES9_SG_JZNS1_25segmented_radix_sort_implINS0_14default_configELb1EPK12hip_bfloat16PSL_PKlPlN2at6native12_GLOBAL__N_18offset_tEEE10hipError_tPvRmT1_PNSt15iterator_traitsISZ_E10value_typeET2_T3_PNS10_IS15_E10value_typeET4_jRbjT5_S1B_jjP12ihipStream_tbEUljE_EEESW_SX_SY_S15_S19_S1B_T6_T7_T9_mT8_S1D_bDpT10_ENKUlT_T0_E_clISt17integral_constantIbLb0EES1P_IbLb1EEEEDaS1L_S1M_EUlS1L_E_NS1_11comp_targetILNS1_3genE4ELNS1_11target_archE910ELNS1_3gpuE8ELNS1_3repE0EEENS1_30default_config_static_selectorELNS0_4arch9wavefront6targetE0EEEvSZ_,"axG",@progbits,_ZN7rocprim17ROCPRIM_400000_NS6detail17trampoline_kernelINS0_13select_configILj256ELj13ELNS0_17block_load_methodE3ELS4_3ELS4_3ELNS0_20block_scan_algorithmE0ELj4294967295EEENS1_25partition_config_selectorILNS1_17partition_subalgoE3EjNS0_10empty_typeEbEEZZNS1_14partition_implILS8_3ELb0ES6_jNS0_17counting_iteratorIjlEEPS9_SE_NS0_5tupleIJPjSE_EEENSF_IJSE_SE_EEES9_SG_JZNS1_25segmented_radix_sort_implINS0_14default_configELb1EPK12hip_bfloat16PSL_PKlPlN2at6native12_GLOBAL__N_18offset_tEEE10hipError_tPvRmT1_PNSt15iterator_traitsISZ_E10value_typeET2_T3_PNS10_IS15_E10value_typeET4_jRbjT5_S1B_jjP12ihipStream_tbEUljE_EEESW_SX_SY_S15_S19_S1B_T6_T7_T9_mT8_S1D_bDpT10_ENKUlT_T0_E_clISt17integral_constantIbLb0EES1P_IbLb1EEEEDaS1L_S1M_EUlS1L_E_NS1_11comp_targetILNS1_3genE4ELNS1_11target_archE910ELNS1_3gpuE8ELNS1_3repE0EEENS1_30default_config_static_selectorELNS0_4arch9wavefront6targetE0EEEvSZ_,comdat
	.globl	_ZN7rocprim17ROCPRIM_400000_NS6detail17trampoline_kernelINS0_13select_configILj256ELj13ELNS0_17block_load_methodE3ELS4_3ELS4_3ELNS0_20block_scan_algorithmE0ELj4294967295EEENS1_25partition_config_selectorILNS1_17partition_subalgoE3EjNS0_10empty_typeEbEEZZNS1_14partition_implILS8_3ELb0ES6_jNS0_17counting_iteratorIjlEEPS9_SE_NS0_5tupleIJPjSE_EEENSF_IJSE_SE_EEES9_SG_JZNS1_25segmented_radix_sort_implINS0_14default_configELb1EPK12hip_bfloat16PSL_PKlPlN2at6native12_GLOBAL__N_18offset_tEEE10hipError_tPvRmT1_PNSt15iterator_traitsISZ_E10value_typeET2_T3_PNS10_IS15_E10value_typeET4_jRbjT5_S1B_jjP12ihipStream_tbEUljE_EEESW_SX_SY_S15_S19_S1B_T6_T7_T9_mT8_S1D_bDpT10_ENKUlT_T0_E_clISt17integral_constantIbLb0EES1P_IbLb1EEEEDaS1L_S1M_EUlS1L_E_NS1_11comp_targetILNS1_3genE4ELNS1_11target_archE910ELNS1_3gpuE8ELNS1_3repE0EEENS1_30default_config_static_selectorELNS0_4arch9wavefront6targetE0EEEvSZ_ ; -- Begin function _ZN7rocprim17ROCPRIM_400000_NS6detail17trampoline_kernelINS0_13select_configILj256ELj13ELNS0_17block_load_methodE3ELS4_3ELS4_3ELNS0_20block_scan_algorithmE0ELj4294967295EEENS1_25partition_config_selectorILNS1_17partition_subalgoE3EjNS0_10empty_typeEbEEZZNS1_14partition_implILS8_3ELb0ES6_jNS0_17counting_iteratorIjlEEPS9_SE_NS0_5tupleIJPjSE_EEENSF_IJSE_SE_EEES9_SG_JZNS1_25segmented_radix_sort_implINS0_14default_configELb1EPK12hip_bfloat16PSL_PKlPlN2at6native12_GLOBAL__N_18offset_tEEE10hipError_tPvRmT1_PNSt15iterator_traitsISZ_E10value_typeET2_T3_PNS10_IS15_E10value_typeET4_jRbjT5_S1B_jjP12ihipStream_tbEUljE_EEESW_SX_SY_S15_S19_S1B_T6_T7_T9_mT8_S1D_bDpT10_ENKUlT_T0_E_clISt17integral_constantIbLb0EES1P_IbLb1EEEEDaS1L_S1M_EUlS1L_E_NS1_11comp_targetILNS1_3genE4ELNS1_11target_archE910ELNS1_3gpuE8ELNS1_3repE0EEENS1_30default_config_static_selectorELNS0_4arch9wavefront6targetE0EEEvSZ_
	.p2align	8
	.type	_ZN7rocprim17ROCPRIM_400000_NS6detail17trampoline_kernelINS0_13select_configILj256ELj13ELNS0_17block_load_methodE3ELS4_3ELS4_3ELNS0_20block_scan_algorithmE0ELj4294967295EEENS1_25partition_config_selectorILNS1_17partition_subalgoE3EjNS0_10empty_typeEbEEZZNS1_14partition_implILS8_3ELb0ES6_jNS0_17counting_iteratorIjlEEPS9_SE_NS0_5tupleIJPjSE_EEENSF_IJSE_SE_EEES9_SG_JZNS1_25segmented_radix_sort_implINS0_14default_configELb1EPK12hip_bfloat16PSL_PKlPlN2at6native12_GLOBAL__N_18offset_tEEE10hipError_tPvRmT1_PNSt15iterator_traitsISZ_E10value_typeET2_T3_PNS10_IS15_E10value_typeET4_jRbjT5_S1B_jjP12ihipStream_tbEUljE_EEESW_SX_SY_S15_S19_S1B_T6_T7_T9_mT8_S1D_bDpT10_ENKUlT_T0_E_clISt17integral_constantIbLb0EES1P_IbLb1EEEEDaS1L_S1M_EUlS1L_E_NS1_11comp_targetILNS1_3genE4ELNS1_11target_archE910ELNS1_3gpuE8ELNS1_3repE0EEENS1_30default_config_static_selectorELNS0_4arch9wavefront6targetE0EEEvSZ_,@function
_ZN7rocprim17ROCPRIM_400000_NS6detail17trampoline_kernelINS0_13select_configILj256ELj13ELNS0_17block_load_methodE3ELS4_3ELS4_3ELNS0_20block_scan_algorithmE0ELj4294967295EEENS1_25partition_config_selectorILNS1_17partition_subalgoE3EjNS0_10empty_typeEbEEZZNS1_14partition_implILS8_3ELb0ES6_jNS0_17counting_iteratorIjlEEPS9_SE_NS0_5tupleIJPjSE_EEENSF_IJSE_SE_EEES9_SG_JZNS1_25segmented_radix_sort_implINS0_14default_configELb1EPK12hip_bfloat16PSL_PKlPlN2at6native12_GLOBAL__N_18offset_tEEE10hipError_tPvRmT1_PNSt15iterator_traitsISZ_E10value_typeET2_T3_PNS10_IS15_E10value_typeET4_jRbjT5_S1B_jjP12ihipStream_tbEUljE_EEESW_SX_SY_S15_S19_S1B_T6_T7_T9_mT8_S1D_bDpT10_ENKUlT_T0_E_clISt17integral_constantIbLb0EES1P_IbLb1EEEEDaS1L_S1M_EUlS1L_E_NS1_11comp_targetILNS1_3genE4ELNS1_11target_archE910ELNS1_3gpuE8ELNS1_3repE0EEENS1_30default_config_static_selectorELNS0_4arch9wavefront6targetE0EEEvSZ_: ; @_ZN7rocprim17ROCPRIM_400000_NS6detail17trampoline_kernelINS0_13select_configILj256ELj13ELNS0_17block_load_methodE3ELS4_3ELS4_3ELNS0_20block_scan_algorithmE0ELj4294967295EEENS1_25partition_config_selectorILNS1_17partition_subalgoE3EjNS0_10empty_typeEbEEZZNS1_14partition_implILS8_3ELb0ES6_jNS0_17counting_iteratorIjlEEPS9_SE_NS0_5tupleIJPjSE_EEENSF_IJSE_SE_EEES9_SG_JZNS1_25segmented_radix_sort_implINS0_14default_configELb1EPK12hip_bfloat16PSL_PKlPlN2at6native12_GLOBAL__N_18offset_tEEE10hipError_tPvRmT1_PNSt15iterator_traitsISZ_E10value_typeET2_T3_PNS10_IS15_E10value_typeET4_jRbjT5_S1B_jjP12ihipStream_tbEUljE_EEESW_SX_SY_S15_S19_S1B_T6_T7_T9_mT8_S1D_bDpT10_ENKUlT_T0_E_clISt17integral_constantIbLb0EES1P_IbLb1EEEEDaS1L_S1M_EUlS1L_E_NS1_11comp_targetILNS1_3genE4ELNS1_11target_archE910ELNS1_3gpuE8ELNS1_3repE0EEENS1_30default_config_static_selectorELNS0_4arch9wavefront6targetE0EEEvSZ_
; %bb.0:
	.section	.rodata,"a",@progbits
	.p2align	6, 0x0
	.amdhsa_kernel _ZN7rocprim17ROCPRIM_400000_NS6detail17trampoline_kernelINS0_13select_configILj256ELj13ELNS0_17block_load_methodE3ELS4_3ELS4_3ELNS0_20block_scan_algorithmE0ELj4294967295EEENS1_25partition_config_selectorILNS1_17partition_subalgoE3EjNS0_10empty_typeEbEEZZNS1_14partition_implILS8_3ELb0ES6_jNS0_17counting_iteratorIjlEEPS9_SE_NS0_5tupleIJPjSE_EEENSF_IJSE_SE_EEES9_SG_JZNS1_25segmented_radix_sort_implINS0_14default_configELb1EPK12hip_bfloat16PSL_PKlPlN2at6native12_GLOBAL__N_18offset_tEEE10hipError_tPvRmT1_PNSt15iterator_traitsISZ_E10value_typeET2_T3_PNS10_IS15_E10value_typeET4_jRbjT5_S1B_jjP12ihipStream_tbEUljE_EEESW_SX_SY_S15_S19_S1B_T6_T7_T9_mT8_S1D_bDpT10_ENKUlT_T0_E_clISt17integral_constantIbLb0EES1P_IbLb1EEEEDaS1L_S1M_EUlS1L_E_NS1_11comp_targetILNS1_3genE4ELNS1_11target_archE910ELNS1_3gpuE8ELNS1_3repE0EEENS1_30default_config_static_selectorELNS0_4arch9wavefront6targetE0EEEvSZ_
		.amdhsa_group_segment_fixed_size 0
		.amdhsa_private_segment_fixed_size 0
		.amdhsa_kernarg_size 152
		.amdhsa_user_sgpr_count 2
		.amdhsa_user_sgpr_dispatch_ptr 0
		.amdhsa_user_sgpr_queue_ptr 0
		.amdhsa_user_sgpr_kernarg_segment_ptr 1
		.amdhsa_user_sgpr_dispatch_id 0
		.amdhsa_user_sgpr_kernarg_preload_length 0
		.amdhsa_user_sgpr_kernarg_preload_offset 0
		.amdhsa_user_sgpr_private_segment_size 0
		.amdhsa_wavefront_size32 1
		.amdhsa_uses_dynamic_stack 0
		.amdhsa_enable_private_segment 0
		.amdhsa_system_sgpr_workgroup_id_x 1
		.amdhsa_system_sgpr_workgroup_id_y 0
		.amdhsa_system_sgpr_workgroup_id_z 0
		.amdhsa_system_sgpr_workgroup_info 0
		.amdhsa_system_vgpr_workitem_id 0
		.amdhsa_next_free_vgpr 1
		.amdhsa_next_free_sgpr 1
		.amdhsa_named_barrier_count 0
		.amdhsa_reserve_vcc 0
		.amdhsa_float_round_mode_32 0
		.amdhsa_float_round_mode_16_64 0
		.amdhsa_float_denorm_mode_32 3
		.amdhsa_float_denorm_mode_16_64 3
		.amdhsa_fp16_overflow 0
		.amdhsa_memory_ordered 1
		.amdhsa_forward_progress 1
		.amdhsa_inst_pref_size 0
		.amdhsa_round_robin_scheduling 0
		.amdhsa_exception_fp_ieee_invalid_op 0
		.amdhsa_exception_fp_denorm_src 0
		.amdhsa_exception_fp_ieee_div_zero 0
		.amdhsa_exception_fp_ieee_overflow 0
		.amdhsa_exception_fp_ieee_underflow 0
		.amdhsa_exception_fp_ieee_inexact 0
		.amdhsa_exception_int_div_zero 0
	.end_amdhsa_kernel
	.section	.text._ZN7rocprim17ROCPRIM_400000_NS6detail17trampoline_kernelINS0_13select_configILj256ELj13ELNS0_17block_load_methodE3ELS4_3ELS4_3ELNS0_20block_scan_algorithmE0ELj4294967295EEENS1_25partition_config_selectorILNS1_17partition_subalgoE3EjNS0_10empty_typeEbEEZZNS1_14partition_implILS8_3ELb0ES6_jNS0_17counting_iteratorIjlEEPS9_SE_NS0_5tupleIJPjSE_EEENSF_IJSE_SE_EEES9_SG_JZNS1_25segmented_radix_sort_implINS0_14default_configELb1EPK12hip_bfloat16PSL_PKlPlN2at6native12_GLOBAL__N_18offset_tEEE10hipError_tPvRmT1_PNSt15iterator_traitsISZ_E10value_typeET2_T3_PNS10_IS15_E10value_typeET4_jRbjT5_S1B_jjP12ihipStream_tbEUljE_EEESW_SX_SY_S15_S19_S1B_T6_T7_T9_mT8_S1D_bDpT10_ENKUlT_T0_E_clISt17integral_constantIbLb0EES1P_IbLb1EEEEDaS1L_S1M_EUlS1L_E_NS1_11comp_targetILNS1_3genE4ELNS1_11target_archE910ELNS1_3gpuE8ELNS1_3repE0EEENS1_30default_config_static_selectorELNS0_4arch9wavefront6targetE0EEEvSZ_,"axG",@progbits,_ZN7rocprim17ROCPRIM_400000_NS6detail17trampoline_kernelINS0_13select_configILj256ELj13ELNS0_17block_load_methodE3ELS4_3ELS4_3ELNS0_20block_scan_algorithmE0ELj4294967295EEENS1_25partition_config_selectorILNS1_17partition_subalgoE3EjNS0_10empty_typeEbEEZZNS1_14partition_implILS8_3ELb0ES6_jNS0_17counting_iteratorIjlEEPS9_SE_NS0_5tupleIJPjSE_EEENSF_IJSE_SE_EEES9_SG_JZNS1_25segmented_radix_sort_implINS0_14default_configELb1EPK12hip_bfloat16PSL_PKlPlN2at6native12_GLOBAL__N_18offset_tEEE10hipError_tPvRmT1_PNSt15iterator_traitsISZ_E10value_typeET2_T3_PNS10_IS15_E10value_typeET4_jRbjT5_S1B_jjP12ihipStream_tbEUljE_EEESW_SX_SY_S15_S19_S1B_T6_T7_T9_mT8_S1D_bDpT10_ENKUlT_T0_E_clISt17integral_constantIbLb0EES1P_IbLb1EEEEDaS1L_S1M_EUlS1L_E_NS1_11comp_targetILNS1_3genE4ELNS1_11target_archE910ELNS1_3gpuE8ELNS1_3repE0EEENS1_30default_config_static_selectorELNS0_4arch9wavefront6targetE0EEEvSZ_,comdat
.Lfunc_end1930:
	.size	_ZN7rocprim17ROCPRIM_400000_NS6detail17trampoline_kernelINS0_13select_configILj256ELj13ELNS0_17block_load_methodE3ELS4_3ELS4_3ELNS0_20block_scan_algorithmE0ELj4294967295EEENS1_25partition_config_selectorILNS1_17partition_subalgoE3EjNS0_10empty_typeEbEEZZNS1_14partition_implILS8_3ELb0ES6_jNS0_17counting_iteratorIjlEEPS9_SE_NS0_5tupleIJPjSE_EEENSF_IJSE_SE_EEES9_SG_JZNS1_25segmented_radix_sort_implINS0_14default_configELb1EPK12hip_bfloat16PSL_PKlPlN2at6native12_GLOBAL__N_18offset_tEEE10hipError_tPvRmT1_PNSt15iterator_traitsISZ_E10value_typeET2_T3_PNS10_IS15_E10value_typeET4_jRbjT5_S1B_jjP12ihipStream_tbEUljE_EEESW_SX_SY_S15_S19_S1B_T6_T7_T9_mT8_S1D_bDpT10_ENKUlT_T0_E_clISt17integral_constantIbLb0EES1P_IbLb1EEEEDaS1L_S1M_EUlS1L_E_NS1_11comp_targetILNS1_3genE4ELNS1_11target_archE910ELNS1_3gpuE8ELNS1_3repE0EEENS1_30default_config_static_selectorELNS0_4arch9wavefront6targetE0EEEvSZ_, .Lfunc_end1930-_ZN7rocprim17ROCPRIM_400000_NS6detail17trampoline_kernelINS0_13select_configILj256ELj13ELNS0_17block_load_methodE3ELS4_3ELS4_3ELNS0_20block_scan_algorithmE0ELj4294967295EEENS1_25partition_config_selectorILNS1_17partition_subalgoE3EjNS0_10empty_typeEbEEZZNS1_14partition_implILS8_3ELb0ES6_jNS0_17counting_iteratorIjlEEPS9_SE_NS0_5tupleIJPjSE_EEENSF_IJSE_SE_EEES9_SG_JZNS1_25segmented_radix_sort_implINS0_14default_configELb1EPK12hip_bfloat16PSL_PKlPlN2at6native12_GLOBAL__N_18offset_tEEE10hipError_tPvRmT1_PNSt15iterator_traitsISZ_E10value_typeET2_T3_PNS10_IS15_E10value_typeET4_jRbjT5_S1B_jjP12ihipStream_tbEUljE_EEESW_SX_SY_S15_S19_S1B_T6_T7_T9_mT8_S1D_bDpT10_ENKUlT_T0_E_clISt17integral_constantIbLb0EES1P_IbLb1EEEEDaS1L_S1M_EUlS1L_E_NS1_11comp_targetILNS1_3genE4ELNS1_11target_archE910ELNS1_3gpuE8ELNS1_3repE0EEENS1_30default_config_static_selectorELNS0_4arch9wavefront6targetE0EEEvSZ_
                                        ; -- End function
	.set _ZN7rocprim17ROCPRIM_400000_NS6detail17trampoline_kernelINS0_13select_configILj256ELj13ELNS0_17block_load_methodE3ELS4_3ELS4_3ELNS0_20block_scan_algorithmE0ELj4294967295EEENS1_25partition_config_selectorILNS1_17partition_subalgoE3EjNS0_10empty_typeEbEEZZNS1_14partition_implILS8_3ELb0ES6_jNS0_17counting_iteratorIjlEEPS9_SE_NS0_5tupleIJPjSE_EEENSF_IJSE_SE_EEES9_SG_JZNS1_25segmented_radix_sort_implINS0_14default_configELb1EPK12hip_bfloat16PSL_PKlPlN2at6native12_GLOBAL__N_18offset_tEEE10hipError_tPvRmT1_PNSt15iterator_traitsISZ_E10value_typeET2_T3_PNS10_IS15_E10value_typeET4_jRbjT5_S1B_jjP12ihipStream_tbEUljE_EEESW_SX_SY_S15_S19_S1B_T6_T7_T9_mT8_S1D_bDpT10_ENKUlT_T0_E_clISt17integral_constantIbLb0EES1P_IbLb1EEEEDaS1L_S1M_EUlS1L_E_NS1_11comp_targetILNS1_3genE4ELNS1_11target_archE910ELNS1_3gpuE8ELNS1_3repE0EEENS1_30default_config_static_selectorELNS0_4arch9wavefront6targetE0EEEvSZ_.num_vgpr, 0
	.set _ZN7rocprim17ROCPRIM_400000_NS6detail17trampoline_kernelINS0_13select_configILj256ELj13ELNS0_17block_load_methodE3ELS4_3ELS4_3ELNS0_20block_scan_algorithmE0ELj4294967295EEENS1_25partition_config_selectorILNS1_17partition_subalgoE3EjNS0_10empty_typeEbEEZZNS1_14partition_implILS8_3ELb0ES6_jNS0_17counting_iteratorIjlEEPS9_SE_NS0_5tupleIJPjSE_EEENSF_IJSE_SE_EEES9_SG_JZNS1_25segmented_radix_sort_implINS0_14default_configELb1EPK12hip_bfloat16PSL_PKlPlN2at6native12_GLOBAL__N_18offset_tEEE10hipError_tPvRmT1_PNSt15iterator_traitsISZ_E10value_typeET2_T3_PNS10_IS15_E10value_typeET4_jRbjT5_S1B_jjP12ihipStream_tbEUljE_EEESW_SX_SY_S15_S19_S1B_T6_T7_T9_mT8_S1D_bDpT10_ENKUlT_T0_E_clISt17integral_constantIbLb0EES1P_IbLb1EEEEDaS1L_S1M_EUlS1L_E_NS1_11comp_targetILNS1_3genE4ELNS1_11target_archE910ELNS1_3gpuE8ELNS1_3repE0EEENS1_30default_config_static_selectorELNS0_4arch9wavefront6targetE0EEEvSZ_.num_agpr, 0
	.set _ZN7rocprim17ROCPRIM_400000_NS6detail17trampoline_kernelINS0_13select_configILj256ELj13ELNS0_17block_load_methodE3ELS4_3ELS4_3ELNS0_20block_scan_algorithmE0ELj4294967295EEENS1_25partition_config_selectorILNS1_17partition_subalgoE3EjNS0_10empty_typeEbEEZZNS1_14partition_implILS8_3ELb0ES6_jNS0_17counting_iteratorIjlEEPS9_SE_NS0_5tupleIJPjSE_EEENSF_IJSE_SE_EEES9_SG_JZNS1_25segmented_radix_sort_implINS0_14default_configELb1EPK12hip_bfloat16PSL_PKlPlN2at6native12_GLOBAL__N_18offset_tEEE10hipError_tPvRmT1_PNSt15iterator_traitsISZ_E10value_typeET2_T3_PNS10_IS15_E10value_typeET4_jRbjT5_S1B_jjP12ihipStream_tbEUljE_EEESW_SX_SY_S15_S19_S1B_T6_T7_T9_mT8_S1D_bDpT10_ENKUlT_T0_E_clISt17integral_constantIbLb0EES1P_IbLb1EEEEDaS1L_S1M_EUlS1L_E_NS1_11comp_targetILNS1_3genE4ELNS1_11target_archE910ELNS1_3gpuE8ELNS1_3repE0EEENS1_30default_config_static_selectorELNS0_4arch9wavefront6targetE0EEEvSZ_.numbered_sgpr, 0
	.set _ZN7rocprim17ROCPRIM_400000_NS6detail17trampoline_kernelINS0_13select_configILj256ELj13ELNS0_17block_load_methodE3ELS4_3ELS4_3ELNS0_20block_scan_algorithmE0ELj4294967295EEENS1_25partition_config_selectorILNS1_17partition_subalgoE3EjNS0_10empty_typeEbEEZZNS1_14partition_implILS8_3ELb0ES6_jNS0_17counting_iteratorIjlEEPS9_SE_NS0_5tupleIJPjSE_EEENSF_IJSE_SE_EEES9_SG_JZNS1_25segmented_radix_sort_implINS0_14default_configELb1EPK12hip_bfloat16PSL_PKlPlN2at6native12_GLOBAL__N_18offset_tEEE10hipError_tPvRmT1_PNSt15iterator_traitsISZ_E10value_typeET2_T3_PNS10_IS15_E10value_typeET4_jRbjT5_S1B_jjP12ihipStream_tbEUljE_EEESW_SX_SY_S15_S19_S1B_T6_T7_T9_mT8_S1D_bDpT10_ENKUlT_T0_E_clISt17integral_constantIbLb0EES1P_IbLb1EEEEDaS1L_S1M_EUlS1L_E_NS1_11comp_targetILNS1_3genE4ELNS1_11target_archE910ELNS1_3gpuE8ELNS1_3repE0EEENS1_30default_config_static_selectorELNS0_4arch9wavefront6targetE0EEEvSZ_.num_named_barrier, 0
	.set _ZN7rocprim17ROCPRIM_400000_NS6detail17trampoline_kernelINS0_13select_configILj256ELj13ELNS0_17block_load_methodE3ELS4_3ELS4_3ELNS0_20block_scan_algorithmE0ELj4294967295EEENS1_25partition_config_selectorILNS1_17partition_subalgoE3EjNS0_10empty_typeEbEEZZNS1_14partition_implILS8_3ELb0ES6_jNS0_17counting_iteratorIjlEEPS9_SE_NS0_5tupleIJPjSE_EEENSF_IJSE_SE_EEES9_SG_JZNS1_25segmented_radix_sort_implINS0_14default_configELb1EPK12hip_bfloat16PSL_PKlPlN2at6native12_GLOBAL__N_18offset_tEEE10hipError_tPvRmT1_PNSt15iterator_traitsISZ_E10value_typeET2_T3_PNS10_IS15_E10value_typeET4_jRbjT5_S1B_jjP12ihipStream_tbEUljE_EEESW_SX_SY_S15_S19_S1B_T6_T7_T9_mT8_S1D_bDpT10_ENKUlT_T0_E_clISt17integral_constantIbLb0EES1P_IbLb1EEEEDaS1L_S1M_EUlS1L_E_NS1_11comp_targetILNS1_3genE4ELNS1_11target_archE910ELNS1_3gpuE8ELNS1_3repE0EEENS1_30default_config_static_selectorELNS0_4arch9wavefront6targetE0EEEvSZ_.private_seg_size, 0
	.set _ZN7rocprim17ROCPRIM_400000_NS6detail17trampoline_kernelINS0_13select_configILj256ELj13ELNS0_17block_load_methodE3ELS4_3ELS4_3ELNS0_20block_scan_algorithmE0ELj4294967295EEENS1_25partition_config_selectorILNS1_17partition_subalgoE3EjNS0_10empty_typeEbEEZZNS1_14partition_implILS8_3ELb0ES6_jNS0_17counting_iteratorIjlEEPS9_SE_NS0_5tupleIJPjSE_EEENSF_IJSE_SE_EEES9_SG_JZNS1_25segmented_radix_sort_implINS0_14default_configELb1EPK12hip_bfloat16PSL_PKlPlN2at6native12_GLOBAL__N_18offset_tEEE10hipError_tPvRmT1_PNSt15iterator_traitsISZ_E10value_typeET2_T3_PNS10_IS15_E10value_typeET4_jRbjT5_S1B_jjP12ihipStream_tbEUljE_EEESW_SX_SY_S15_S19_S1B_T6_T7_T9_mT8_S1D_bDpT10_ENKUlT_T0_E_clISt17integral_constantIbLb0EES1P_IbLb1EEEEDaS1L_S1M_EUlS1L_E_NS1_11comp_targetILNS1_3genE4ELNS1_11target_archE910ELNS1_3gpuE8ELNS1_3repE0EEENS1_30default_config_static_selectorELNS0_4arch9wavefront6targetE0EEEvSZ_.uses_vcc, 0
	.set _ZN7rocprim17ROCPRIM_400000_NS6detail17trampoline_kernelINS0_13select_configILj256ELj13ELNS0_17block_load_methodE3ELS4_3ELS4_3ELNS0_20block_scan_algorithmE0ELj4294967295EEENS1_25partition_config_selectorILNS1_17partition_subalgoE3EjNS0_10empty_typeEbEEZZNS1_14partition_implILS8_3ELb0ES6_jNS0_17counting_iteratorIjlEEPS9_SE_NS0_5tupleIJPjSE_EEENSF_IJSE_SE_EEES9_SG_JZNS1_25segmented_radix_sort_implINS0_14default_configELb1EPK12hip_bfloat16PSL_PKlPlN2at6native12_GLOBAL__N_18offset_tEEE10hipError_tPvRmT1_PNSt15iterator_traitsISZ_E10value_typeET2_T3_PNS10_IS15_E10value_typeET4_jRbjT5_S1B_jjP12ihipStream_tbEUljE_EEESW_SX_SY_S15_S19_S1B_T6_T7_T9_mT8_S1D_bDpT10_ENKUlT_T0_E_clISt17integral_constantIbLb0EES1P_IbLb1EEEEDaS1L_S1M_EUlS1L_E_NS1_11comp_targetILNS1_3genE4ELNS1_11target_archE910ELNS1_3gpuE8ELNS1_3repE0EEENS1_30default_config_static_selectorELNS0_4arch9wavefront6targetE0EEEvSZ_.uses_flat_scratch, 0
	.set _ZN7rocprim17ROCPRIM_400000_NS6detail17trampoline_kernelINS0_13select_configILj256ELj13ELNS0_17block_load_methodE3ELS4_3ELS4_3ELNS0_20block_scan_algorithmE0ELj4294967295EEENS1_25partition_config_selectorILNS1_17partition_subalgoE3EjNS0_10empty_typeEbEEZZNS1_14partition_implILS8_3ELb0ES6_jNS0_17counting_iteratorIjlEEPS9_SE_NS0_5tupleIJPjSE_EEENSF_IJSE_SE_EEES9_SG_JZNS1_25segmented_radix_sort_implINS0_14default_configELb1EPK12hip_bfloat16PSL_PKlPlN2at6native12_GLOBAL__N_18offset_tEEE10hipError_tPvRmT1_PNSt15iterator_traitsISZ_E10value_typeET2_T3_PNS10_IS15_E10value_typeET4_jRbjT5_S1B_jjP12ihipStream_tbEUljE_EEESW_SX_SY_S15_S19_S1B_T6_T7_T9_mT8_S1D_bDpT10_ENKUlT_T0_E_clISt17integral_constantIbLb0EES1P_IbLb1EEEEDaS1L_S1M_EUlS1L_E_NS1_11comp_targetILNS1_3genE4ELNS1_11target_archE910ELNS1_3gpuE8ELNS1_3repE0EEENS1_30default_config_static_selectorELNS0_4arch9wavefront6targetE0EEEvSZ_.has_dyn_sized_stack, 0
	.set _ZN7rocprim17ROCPRIM_400000_NS6detail17trampoline_kernelINS0_13select_configILj256ELj13ELNS0_17block_load_methodE3ELS4_3ELS4_3ELNS0_20block_scan_algorithmE0ELj4294967295EEENS1_25partition_config_selectorILNS1_17partition_subalgoE3EjNS0_10empty_typeEbEEZZNS1_14partition_implILS8_3ELb0ES6_jNS0_17counting_iteratorIjlEEPS9_SE_NS0_5tupleIJPjSE_EEENSF_IJSE_SE_EEES9_SG_JZNS1_25segmented_radix_sort_implINS0_14default_configELb1EPK12hip_bfloat16PSL_PKlPlN2at6native12_GLOBAL__N_18offset_tEEE10hipError_tPvRmT1_PNSt15iterator_traitsISZ_E10value_typeET2_T3_PNS10_IS15_E10value_typeET4_jRbjT5_S1B_jjP12ihipStream_tbEUljE_EEESW_SX_SY_S15_S19_S1B_T6_T7_T9_mT8_S1D_bDpT10_ENKUlT_T0_E_clISt17integral_constantIbLb0EES1P_IbLb1EEEEDaS1L_S1M_EUlS1L_E_NS1_11comp_targetILNS1_3genE4ELNS1_11target_archE910ELNS1_3gpuE8ELNS1_3repE0EEENS1_30default_config_static_selectorELNS0_4arch9wavefront6targetE0EEEvSZ_.has_recursion, 0
	.set _ZN7rocprim17ROCPRIM_400000_NS6detail17trampoline_kernelINS0_13select_configILj256ELj13ELNS0_17block_load_methodE3ELS4_3ELS4_3ELNS0_20block_scan_algorithmE0ELj4294967295EEENS1_25partition_config_selectorILNS1_17partition_subalgoE3EjNS0_10empty_typeEbEEZZNS1_14partition_implILS8_3ELb0ES6_jNS0_17counting_iteratorIjlEEPS9_SE_NS0_5tupleIJPjSE_EEENSF_IJSE_SE_EEES9_SG_JZNS1_25segmented_radix_sort_implINS0_14default_configELb1EPK12hip_bfloat16PSL_PKlPlN2at6native12_GLOBAL__N_18offset_tEEE10hipError_tPvRmT1_PNSt15iterator_traitsISZ_E10value_typeET2_T3_PNS10_IS15_E10value_typeET4_jRbjT5_S1B_jjP12ihipStream_tbEUljE_EEESW_SX_SY_S15_S19_S1B_T6_T7_T9_mT8_S1D_bDpT10_ENKUlT_T0_E_clISt17integral_constantIbLb0EES1P_IbLb1EEEEDaS1L_S1M_EUlS1L_E_NS1_11comp_targetILNS1_3genE4ELNS1_11target_archE910ELNS1_3gpuE8ELNS1_3repE0EEENS1_30default_config_static_selectorELNS0_4arch9wavefront6targetE0EEEvSZ_.has_indirect_call, 0
	.section	.AMDGPU.csdata,"",@progbits
; Kernel info:
; codeLenInByte = 0
; TotalNumSgprs: 0
; NumVgprs: 0
; ScratchSize: 0
; MemoryBound: 0
; FloatMode: 240
; IeeeMode: 1
; LDSByteSize: 0 bytes/workgroup (compile time only)
; SGPRBlocks: 0
; VGPRBlocks: 0
; NumSGPRsForWavesPerEU: 1
; NumVGPRsForWavesPerEU: 1
; NamedBarCnt: 0
; Occupancy: 16
; WaveLimiterHint : 0
; COMPUTE_PGM_RSRC2:SCRATCH_EN: 0
; COMPUTE_PGM_RSRC2:USER_SGPR: 2
; COMPUTE_PGM_RSRC2:TRAP_HANDLER: 0
; COMPUTE_PGM_RSRC2:TGID_X_EN: 1
; COMPUTE_PGM_RSRC2:TGID_Y_EN: 0
; COMPUTE_PGM_RSRC2:TGID_Z_EN: 0
; COMPUTE_PGM_RSRC2:TIDIG_COMP_CNT: 0
	.section	.text._ZN7rocprim17ROCPRIM_400000_NS6detail17trampoline_kernelINS0_13select_configILj256ELj13ELNS0_17block_load_methodE3ELS4_3ELS4_3ELNS0_20block_scan_algorithmE0ELj4294967295EEENS1_25partition_config_selectorILNS1_17partition_subalgoE3EjNS0_10empty_typeEbEEZZNS1_14partition_implILS8_3ELb0ES6_jNS0_17counting_iteratorIjlEEPS9_SE_NS0_5tupleIJPjSE_EEENSF_IJSE_SE_EEES9_SG_JZNS1_25segmented_radix_sort_implINS0_14default_configELb1EPK12hip_bfloat16PSL_PKlPlN2at6native12_GLOBAL__N_18offset_tEEE10hipError_tPvRmT1_PNSt15iterator_traitsISZ_E10value_typeET2_T3_PNS10_IS15_E10value_typeET4_jRbjT5_S1B_jjP12ihipStream_tbEUljE_EEESW_SX_SY_S15_S19_S1B_T6_T7_T9_mT8_S1D_bDpT10_ENKUlT_T0_E_clISt17integral_constantIbLb0EES1P_IbLb1EEEEDaS1L_S1M_EUlS1L_E_NS1_11comp_targetILNS1_3genE3ELNS1_11target_archE908ELNS1_3gpuE7ELNS1_3repE0EEENS1_30default_config_static_selectorELNS0_4arch9wavefront6targetE0EEEvSZ_,"axG",@progbits,_ZN7rocprim17ROCPRIM_400000_NS6detail17trampoline_kernelINS0_13select_configILj256ELj13ELNS0_17block_load_methodE3ELS4_3ELS4_3ELNS0_20block_scan_algorithmE0ELj4294967295EEENS1_25partition_config_selectorILNS1_17partition_subalgoE3EjNS0_10empty_typeEbEEZZNS1_14partition_implILS8_3ELb0ES6_jNS0_17counting_iteratorIjlEEPS9_SE_NS0_5tupleIJPjSE_EEENSF_IJSE_SE_EEES9_SG_JZNS1_25segmented_radix_sort_implINS0_14default_configELb1EPK12hip_bfloat16PSL_PKlPlN2at6native12_GLOBAL__N_18offset_tEEE10hipError_tPvRmT1_PNSt15iterator_traitsISZ_E10value_typeET2_T3_PNS10_IS15_E10value_typeET4_jRbjT5_S1B_jjP12ihipStream_tbEUljE_EEESW_SX_SY_S15_S19_S1B_T6_T7_T9_mT8_S1D_bDpT10_ENKUlT_T0_E_clISt17integral_constantIbLb0EES1P_IbLb1EEEEDaS1L_S1M_EUlS1L_E_NS1_11comp_targetILNS1_3genE3ELNS1_11target_archE908ELNS1_3gpuE7ELNS1_3repE0EEENS1_30default_config_static_selectorELNS0_4arch9wavefront6targetE0EEEvSZ_,comdat
	.globl	_ZN7rocprim17ROCPRIM_400000_NS6detail17trampoline_kernelINS0_13select_configILj256ELj13ELNS0_17block_load_methodE3ELS4_3ELS4_3ELNS0_20block_scan_algorithmE0ELj4294967295EEENS1_25partition_config_selectorILNS1_17partition_subalgoE3EjNS0_10empty_typeEbEEZZNS1_14partition_implILS8_3ELb0ES6_jNS0_17counting_iteratorIjlEEPS9_SE_NS0_5tupleIJPjSE_EEENSF_IJSE_SE_EEES9_SG_JZNS1_25segmented_radix_sort_implINS0_14default_configELb1EPK12hip_bfloat16PSL_PKlPlN2at6native12_GLOBAL__N_18offset_tEEE10hipError_tPvRmT1_PNSt15iterator_traitsISZ_E10value_typeET2_T3_PNS10_IS15_E10value_typeET4_jRbjT5_S1B_jjP12ihipStream_tbEUljE_EEESW_SX_SY_S15_S19_S1B_T6_T7_T9_mT8_S1D_bDpT10_ENKUlT_T0_E_clISt17integral_constantIbLb0EES1P_IbLb1EEEEDaS1L_S1M_EUlS1L_E_NS1_11comp_targetILNS1_3genE3ELNS1_11target_archE908ELNS1_3gpuE7ELNS1_3repE0EEENS1_30default_config_static_selectorELNS0_4arch9wavefront6targetE0EEEvSZ_ ; -- Begin function _ZN7rocprim17ROCPRIM_400000_NS6detail17trampoline_kernelINS0_13select_configILj256ELj13ELNS0_17block_load_methodE3ELS4_3ELS4_3ELNS0_20block_scan_algorithmE0ELj4294967295EEENS1_25partition_config_selectorILNS1_17partition_subalgoE3EjNS0_10empty_typeEbEEZZNS1_14partition_implILS8_3ELb0ES6_jNS0_17counting_iteratorIjlEEPS9_SE_NS0_5tupleIJPjSE_EEENSF_IJSE_SE_EEES9_SG_JZNS1_25segmented_radix_sort_implINS0_14default_configELb1EPK12hip_bfloat16PSL_PKlPlN2at6native12_GLOBAL__N_18offset_tEEE10hipError_tPvRmT1_PNSt15iterator_traitsISZ_E10value_typeET2_T3_PNS10_IS15_E10value_typeET4_jRbjT5_S1B_jjP12ihipStream_tbEUljE_EEESW_SX_SY_S15_S19_S1B_T6_T7_T9_mT8_S1D_bDpT10_ENKUlT_T0_E_clISt17integral_constantIbLb0EES1P_IbLb1EEEEDaS1L_S1M_EUlS1L_E_NS1_11comp_targetILNS1_3genE3ELNS1_11target_archE908ELNS1_3gpuE7ELNS1_3repE0EEENS1_30default_config_static_selectorELNS0_4arch9wavefront6targetE0EEEvSZ_
	.p2align	8
	.type	_ZN7rocprim17ROCPRIM_400000_NS6detail17trampoline_kernelINS0_13select_configILj256ELj13ELNS0_17block_load_methodE3ELS4_3ELS4_3ELNS0_20block_scan_algorithmE0ELj4294967295EEENS1_25partition_config_selectorILNS1_17partition_subalgoE3EjNS0_10empty_typeEbEEZZNS1_14partition_implILS8_3ELb0ES6_jNS0_17counting_iteratorIjlEEPS9_SE_NS0_5tupleIJPjSE_EEENSF_IJSE_SE_EEES9_SG_JZNS1_25segmented_radix_sort_implINS0_14default_configELb1EPK12hip_bfloat16PSL_PKlPlN2at6native12_GLOBAL__N_18offset_tEEE10hipError_tPvRmT1_PNSt15iterator_traitsISZ_E10value_typeET2_T3_PNS10_IS15_E10value_typeET4_jRbjT5_S1B_jjP12ihipStream_tbEUljE_EEESW_SX_SY_S15_S19_S1B_T6_T7_T9_mT8_S1D_bDpT10_ENKUlT_T0_E_clISt17integral_constantIbLb0EES1P_IbLb1EEEEDaS1L_S1M_EUlS1L_E_NS1_11comp_targetILNS1_3genE3ELNS1_11target_archE908ELNS1_3gpuE7ELNS1_3repE0EEENS1_30default_config_static_selectorELNS0_4arch9wavefront6targetE0EEEvSZ_,@function
_ZN7rocprim17ROCPRIM_400000_NS6detail17trampoline_kernelINS0_13select_configILj256ELj13ELNS0_17block_load_methodE3ELS4_3ELS4_3ELNS0_20block_scan_algorithmE0ELj4294967295EEENS1_25partition_config_selectorILNS1_17partition_subalgoE3EjNS0_10empty_typeEbEEZZNS1_14partition_implILS8_3ELb0ES6_jNS0_17counting_iteratorIjlEEPS9_SE_NS0_5tupleIJPjSE_EEENSF_IJSE_SE_EEES9_SG_JZNS1_25segmented_radix_sort_implINS0_14default_configELb1EPK12hip_bfloat16PSL_PKlPlN2at6native12_GLOBAL__N_18offset_tEEE10hipError_tPvRmT1_PNSt15iterator_traitsISZ_E10value_typeET2_T3_PNS10_IS15_E10value_typeET4_jRbjT5_S1B_jjP12ihipStream_tbEUljE_EEESW_SX_SY_S15_S19_S1B_T6_T7_T9_mT8_S1D_bDpT10_ENKUlT_T0_E_clISt17integral_constantIbLb0EES1P_IbLb1EEEEDaS1L_S1M_EUlS1L_E_NS1_11comp_targetILNS1_3genE3ELNS1_11target_archE908ELNS1_3gpuE7ELNS1_3repE0EEENS1_30default_config_static_selectorELNS0_4arch9wavefront6targetE0EEEvSZ_: ; @_ZN7rocprim17ROCPRIM_400000_NS6detail17trampoline_kernelINS0_13select_configILj256ELj13ELNS0_17block_load_methodE3ELS4_3ELS4_3ELNS0_20block_scan_algorithmE0ELj4294967295EEENS1_25partition_config_selectorILNS1_17partition_subalgoE3EjNS0_10empty_typeEbEEZZNS1_14partition_implILS8_3ELb0ES6_jNS0_17counting_iteratorIjlEEPS9_SE_NS0_5tupleIJPjSE_EEENSF_IJSE_SE_EEES9_SG_JZNS1_25segmented_radix_sort_implINS0_14default_configELb1EPK12hip_bfloat16PSL_PKlPlN2at6native12_GLOBAL__N_18offset_tEEE10hipError_tPvRmT1_PNSt15iterator_traitsISZ_E10value_typeET2_T3_PNS10_IS15_E10value_typeET4_jRbjT5_S1B_jjP12ihipStream_tbEUljE_EEESW_SX_SY_S15_S19_S1B_T6_T7_T9_mT8_S1D_bDpT10_ENKUlT_T0_E_clISt17integral_constantIbLb0EES1P_IbLb1EEEEDaS1L_S1M_EUlS1L_E_NS1_11comp_targetILNS1_3genE3ELNS1_11target_archE908ELNS1_3gpuE7ELNS1_3repE0EEENS1_30default_config_static_selectorELNS0_4arch9wavefront6targetE0EEEvSZ_
; %bb.0:
	.section	.rodata,"a",@progbits
	.p2align	6, 0x0
	.amdhsa_kernel _ZN7rocprim17ROCPRIM_400000_NS6detail17trampoline_kernelINS0_13select_configILj256ELj13ELNS0_17block_load_methodE3ELS4_3ELS4_3ELNS0_20block_scan_algorithmE0ELj4294967295EEENS1_25partition_config_selectorILNS1_17partition_subalgoE3EjNS0_10empty_typeEbEEZZNS1_14partition_implILS8_3ELb0ES6_jNS0_17counting_iteratorIjlEEPS9_SE_NS0_5tupleIJPjSE_EEENSF_IJSE_SE_EEES9_SG_JZNS1_25segmented_radix_sort_implINS0_14default_configELb1EPK12hip_bfloat16PSL_PKlPlN2at6native12_GLOBAL__N_18offset_tEEE10hipError_tPvRmT1_PNSt15iterator_traitsISZ_E10value_typeET2_T3_PNS10_IS15_E10value_typeET4_jRbjT5_S1B_jjP12ihipStream_tbEUljE_EEESW_SX_SY_S15_S19_S1B_T6_T7_T9_mT8_S1D_bDpT10_ENKUlT_T0_E_clISt17integral_constantIbLb0EES1P_IbLb1EEEEDaS1L_S1M_EUlS1L_E_NS1_11comp_targetILNS1_3genE3ELNS1_11target_archE908ELNS1_3gpuE7ELNS1_3repE0EEENS1_30default_config_static_selectorELNS0_4arch9wavefront6targetE0EEEvSZ_
		.amdhsa_group_segment_fixed_size 0
		.amdhsa_private_segment_fixed_size 0
		.amdhsa_kernarg_size 152
		.amdhsa_user_sgpr_count 2
		.amdhsa_user_sgpr_dispatch_ptr 0
		.amdhsa_user_sgpr_queue_ptr 0
		.amdhsa_user_sgpr_kernarg_segment_ptr 1
		.amdhsa_user_sgpr_dispatch_id 0
		.amdhsa_user_sgpr_kernarg_preload_length 0
		.amdhsa_user_sgpr_kernarg_preload_offset 0
		.amdhsa_user_sgpr_private_segment_size 0
		.amdhsa_wavefront_size32 1
		.amdhsa_uses_dynamic_stack 0
		.amdhsa_enable_private_segment 0
		.amdhsa_system_sgpr_workgroup_id_x 1
		.amdhsa_system_sgpr_workgroup_id_y 0
		.amdhsa_system_sgpr_workgroup_id_z 0
		.amdhsa_system_sgpr_workgroup_info 0
		.amdhsa_system_vgpr_workitem_id 0
		.amdhsa_next_free_vgpr 1
		.amdhsa_next_free_sgpr 1
		.amdhsa_named_barrier_count 0
		.amdhsa_reserve_vcc 0
		.amdhsa_float_round_mode_32 0
		.amdhsa_float_round_mode_16_64 0
		.amdhsa_float_denorm_mode_32 3
		.amdhsa_float_denorm_mode_16_64 3
		.amdhsa_fp16_overflow 0
		.amdhsa_memory_ordered 1
		.amdhsa_forward_progress 1
		.amdhsa_inst_pref_size 0
		.amdhsa_round_robin_scheduling 0
		.amdhsa_exception_fp_ieee_invalid_op 0
		.amdhsa_exception_fp_denorm_src 0
		.amdhsa_exception_fp_ieee_div_zero 0
		.amdhsa_exception_fp_ieee_overflow 0
		.amdhsa_exception_fp_ieee_underflow 0
		.amdhsa_exception_fp_ieee_inexact 0
		.amdhsa_exception_int_div_zero 0
	.end_amdhsa_kernel
	.section	.text._ZN7rocprim17ROCPRIM_400000_NS6detail17trampoline_kernelINS0_13select_configILj256ELj13ELNS0_17block_load_methodE3ELS4_3ELS4_3ELNS0_20block_scan_algorithmE0ELj4294967295EEENS1_25partition_config_selectorILNS1_17partition_subalgoE3EjNS0_10empty_typeEbEEZZNS1_14partition_implILS8_3ELb0ES6_jNS0_17counting_iteratorIjlEEPS9_SE_NS0_5tupleIJPjSE_EEENSF_IJSE_SE_EEES9_SG_JZNS1_25segmented_radix_sort_implINS0_14default_configELb1EPK12hip_bfloat16PSL_PKlPlN2at6native12_GLOBAL__N_18offset_tEEE10hipError_tPvRmT1_PNSt15iterator_traitsISZ_E10value_typeET2_T3_PNS10_IS15_E10value_typeET4_jRbjT5_S1B_jjP12ihipStream_tbEUljE_EEESW_SX_SY_S15_S19_S1B_T6_T7_T9_mT8_S1D_bDpT10_ENKUlT_T0_E_clISt17integral_constantIbLb0EES1P_IbLb1EEEEDaS1L_S1M_EUlS1L_E_NS1_11comp_targetILNS1_3genE3ELNS1_11target_archE908ELNS1_3gpuE7ELNS1_3repE0EEENS1_30default_config_static_selectorELNS0_4arch9wavefront6targetE0EEEvSZ_,"axG",@progbits,_ZN7rocprim17ROCPRIM_400000_NS6detail17trampoline_kernelINS0_13select_configILj256ELj13ELNS0_17block_load_methodE3ELS4_3ELS4_3ELNS0_20block_scan_algorithmE0ELj4294967295EEENS1_25partition_config_selectorILNS1_17partition_subalgoE3EjNS0_10empty_typeEbEEZZNS1_14partition_implILS8_3ELb0ES6_jNS0_17counting_iteratorIjlEEPS9_SE_NS0_5tupleIJPjSE_EEENSF_IJSE_SE_EEES9_SG_JZNS1_25segmented_radix_sort_implINS0_14default_configELb1EPK12hip_bfloat16PSL_PKlPlN2at6native12_GLOBAL__N_18offset_tEEE10hipError_tPvRmT1_PNSt15iterator_traitsISZ_E10value_typeET2_T3_PNS10_IS15_E10value_typeET4_jRbjT5_S1B_jjP12ihipStream_tbEUljE_EEESW_SX_SY_S15_S19_S1B_T6_T7_T9_mT8_S1D_bDpT10_ENKUlT_T0_E_clISt17integral_constantIbLb0EES1P_IbLb1EEEEDaS1L_S1M_EUlS1L_E_NS1_11comp_targetILNS1_3genE3ELNS1_11target_archE908ELNS1_3gpuE7ELNS1_3repE0EEENS1_30default_config_static_selectorELNS0_4arch9wavefront6targetE0EEEvSZ_,comdat
.Lfunc_end1931:
	.size	_ZN7rocprim17ROCPRIM_400000_NS6detail17trampoline_kernelINS0_13select_configILj256ELj13ELNS0_17block_load_methodE3ELS4_3ELS4_3ELNS0_20block_scan_algorithmE0ELj4294967295EEENS1_25partition_config_selectorILNS1_17partition_subalgoE3EjNS0_10empty_typeEbEEZZNS1_14partition_implILS8_3ELb0ES6_jNS0_17counting_iteratorIjlEEPS9_SE_NS0_5tupleIJPjSE_EEENSF_IJSE_SE_EEES9_SG_JZNS1_25segmented_radix_sort_implINS0_14default_configELb1EPK12hip_bfloat16PSL_PKlPlN2at6native12_GLOBAL__N_18offset_tEEE10hipError_tPvRmT1_PNSt15iterator_traitsISZ_E10value_typeET2_T3_PNS10_IS15_E10value_typeET4_jRbjT5_S1B_jjP12ihipStream_tbEUljE_EEESW_SX_SY_S15_S19_S1B_T6_T7_T9_mT8_S1D_bDpT10_ENKUlT_T0_E_clISt17integral_constantIbLb0EES1P_IbLb1EEEEDaS1L_S1M_EUlS1L_E_NS1_11comp_targetILNS1_3genE3ELNS1_11target_archE908ELNS1_3gpuE7ELNS1_3repE0EEENS1_30default_config_static_selectorELNS0_4arch9wavefront6targetE0EEEvSZ_, .Lfunc_end1931-_ZN7rocprim17ROCPRIM_400000_NS6detail17trampoline_kernelINS0_13select_configILj256ELj13ELNS0_17block_load_methodE3ELS4_3ELS4_3ELNS0_20block_scan_algorithmE0ELj4294967295EEENS1_25partition_config_selectorILNS1_17partition_subalgoE3EjNS0_10empty_typeEbEEZZNS1_14partition_implILS8_3ELb0ES6_jNS0_17counting_iteratorIjlEEPS9_SE_NS0_5tupleIJPjSE_EEENSF_IJSE_SE_EEES9_SG_JZNS1_25segmented_radix_sort_implINS0_14default_configELb1EPK12hip_bfloat16PSL_PKlPlN2at6native12_GLOBAL__N_18offset_tEEE10hipError_tPvRmT1_PNSt15iterator_traitsISZ_E10value_typeET2_T3_PNS10_IS15_E10value_typeET4_jRbjT5_S1B_jjP12ihipStream_tbEUljE_EEESW_SX_SY_S15_S19_S1B_T6_T7_T9_mT8_S1D_bDpT10_ENKUlT_T0_E_clISt17integral_constantIbLb0EES1P_IbLb1EEEEDaS1L_S1M_EUlS1L_E_NS1_11comp_targetILNS1_3genE3ELNS1_11target_archE908ELNS1_3gpuE7ELNS1_3repE0EEENS1_30default_config_static_selectorELNS0_4arch9wavefront6targetE0EEEvSZ_
                                        ; -- End function
	.set _ZN7rocprim17ROCPRIM_400000_NS6detail17trampoline_kernelINS0_13select_configILj256ELj13ELNS0_17block_load_methodE3ELS4_3ELS4_3ELNS0_20block_scan_algorithmE0ELj4294967295EEENS1_25partition_config_selectorILNS1_17partition_subalgoE3EjNS0_10empty_typeEbEEZZNS1_14partition_implILS8_3ELb0ES6_jNS0_17counting_iteratorIjlEEPS9_SE_NS0_5tupleIJPjSE_EEENSF_IJSE_SE_EEES9_SG_JZNS1_25segmented_radix_sort_implINS0_14default_configELb1EPK12hip_bfloat16PSL_PKlPlN2at6native12_GLOBAL__N_18offset_tEEE10hipError_tPvRmT1_PNSt15iterator_traitsISZ_E10value_typeET2_T3_PNS10_IS15_E10value_typeET4_jRbjT5_S1B_jjP12ihipStream_tbEUljE_EEESW_SX_SY_S15_S19_S1B_T6_T7_T9_mT8_S1D_bDpT10_ENKUlT_T0_E_clISt17integral_constantIbLb0EES1P_IbLb1EEEEDaS1L_S1M_EUlS1L_E_NS1_11comp_targetILNS1_3genE3ELNS1_11target_archE908ELNS1_3gpuE7ELNS1_3repE0EEENS1_30default_config_static_selectorELNS0_4arch9wavefront6targetE0EEEvSZ_.num_vgpr, 0
	.set _ZN7rocprim17ROCPRIM_400000_NS6detail17trampoline_kernelINS0_13select_configILj256ELj13ELNS0_17block_load_methodE3ELS4_3ELS4_3ELNS0_20block_scan_algorithmE0ELj4294967295EEENS1_25partition_config_selectorILNS1_17partition_subalgoE3EjNS0_10empty_typeEbEEZZNS1_14partition_implILS8_3ELb0ES6_jNS0_17counting_iteratorIjlEEPS9_SE_NS0_5tupleIJPjSE_EEENSF_IJSE_SE_EEES9_SG_JZNS1_25segmented_radix_sort_implINS0_14default_configELb1EPK12hip_bfloat16PSL_PKlPlN2at6native12_GLOBAL__N_18offset_tEEE10hipError_tPvRmT1_PNSt15iterator_traitsISZ_E10value_typeET2_T3_PNS10_IS15_E10value_typeET4_jRbjT5_S1B_jjP12ihipStream_tbEUljE_EEESW_SX_SY_S15_S19_S1B_T6_T7_T9_mT8_S1D_bDpT10_ENKUlT_T0_E_clISt17integral_constantIbLb0EES1P_IbLb1EEEEDaS1L_S1M_EUlS1L_E_NS1_11comp_targetILNS1_3genE3ELNS1_11target_archE908ELNS1_3gpuE7ELNS1_3repE0EEENS1_30default_config_static_selectorELNS0_4arch9wavefront6targetE0EEEvSZ_.num_agpr, 0
	.set _ZN7rocprim17ROCPRIM_400000_NS6detail17trampoline_kernelINS0_13select_configILj256ELj13ELNS0_17block_load_methodE3ELS4_3ELS4_3ELNS0_20block_scan_algorithmE0ELj4294967295EEENS1_25partition_config_selectorILNS1_17partition_subalgoE3EjNS0_10empty_typeEbEEZZNS1_14partition_implILS8_3ELb0ES6_jNS0_17counting_iteratorIjlEEPS9_SE_NS0_5tupleIJPjSE_EEENSF_IJSE_SE_EEES9_SG_JZNS1_25segmented_radix_sort_implINS0_14default_configELb1EPK12hip_bfloat16PSL_PKlPlN2at6native12_GLOBAL__N_18offset_tEEE10hipError_tPvRmT1_PNSt15iterator_traitsISZ_E10value_typeET2_T3_PNS10_IS15_E10value_typeET4_jRbjT5_S1B_jjP12ihipStream_tbEUljE_EEESW_SX_SY_S15_S19_S1B_T6_T7_T9_mT8_S1D_bDpT10_ENKUlT_T0_E_clISt17integral_constantIbLb0EES1P_IbLb1EEEEDaS1L_S1M_EUlS1L_E_NS1_11comp_targetILNS1_3genE3ELNS1_11target_archE908ELNS1_3gpuE7ELNS1_3repE0EEENS1_30default_config_static_selectorELNS0_4arch9wavefront6targetE0EEEvSZ_.numbered_sgpr, 0
	.set _ZN7rocprim17ROCPRIM_400000_NS6detail17trampoline_kernelINS0_13select_configILj256ELj13ELNS0_17block_load_methodE3ELS4_3ELS4_3ELNS0_20block_scan_algorithmE0ELj4294967295EEENS1_25partition_config_selectorILNS1_17partition_subalgoE3EjNS0_10empty_typeEbEEZZNS1_14partition_implILS8_3ELb0ES6_jNS0_17counting_iteratorIjlEEPS9_SE_NS0_5tupleIJPjSE_EEENSF_IJSE_SE_EEES9_SG_JZNS1_25segmented_radix_sort_implINS0_14default_configELb1EPK12hip_bfloat16PSL_PKlPlN2at6native12_GLOBAL__N_18offset_tEEE10hipError_tPvRmT1_PNSt15iterator_traitsISZ_E10value_typeET2_T3_PNS10_IS15_E10value_typeET4_jRbjT5_S1B_jjP12ihipStream_tbEUljE_EEESW_SX_SY_S15_S19_S1B_T6_T7_T9_mT8_S1D_bDpT10_ENKUlT_T0_E_clISt17integral_constantIbLb0EES1P_IbLb1EEEEDaS1L_S1M_EUlS1L_E_NS1_11comp_targetILNS1_3genE3ELNS1_11target_archE908ELNS1_3gpuE7ELNS1_3repE0EEENS1_30default_config_static_selectorELNS0_4arch9wavefront6targetE0EEEvSZ_.num_named_barrier, 0
	.set _ZN7rocprim17ROCPRIM_400000_NS6detail17trampoline_kernelINS0_13select_configILj256ELj13ELNS0_17block_load_methodE3ELS4_3ELS4_3ELNS0_20block_scan_algorithmE0ELj4294967295EEENS1_25partition_config_selectorILNS1_17partition_subalgoE3EjNS0_10empty_typeEbEEZZNS1_14partition_implILS8_3ELb0ES6_jNS0_17counting_iteratorIjlEEPS9_SE_NS0_5tupleIJPjSE_EEENSF_IJSE_SE_EEES9_SG_JZNS1_25segmented_radix_sort_implINS0_14default_configELb1EPK12hip_bfloat16PSL_PKlPlN2at6native12_GLOBAL__N_18offset_tEEE10hipError_tPvRmT1_PNSt15iterator_traitsISZ_E10value_typeET2_T3_PNS10_IS15_E10value_typeET4_jRbjT5_S1B_jjP12ihipStream_tbEUljE_EEESW_SX_SY_S15_S19_S1B_T6_T7_T9_mT8_S1D_bDpT10_ENKUlT_T0_E_clISt17integral_constantIbLb0EES1P_IbLb1EEEEDaS1L_S1M_EUlS1L_E_NS1_11comp_targetILNS1_3genE3ELNS1_11target_archE908ELNS1_3gpuE7ELNS1_3repE0EEENS1_30default_config_static_selectorELNS0_4arch9wavefront6targetE0EEEvSZ_.private_seg_size, 0
	.set _ZN7rocprim17ROCPRIM_400000_NS6detail17trampoline_kernelINS0_13select_configILj256ELj13ELNS0_17block_load_methodE3ELS4_3ELS4_3ELNS0_20block_scan_algorithmE0ELj4294967295EEENS1_25partition_config_selectorILNS1_17partition_subalgoE3EjNS0_10empty_typeEbEEZZNS1_14partition_implILS8_3ELb0ES6_jNS0_17counting_iteratorIjlEEPS9_SE_NS0_5tupleIJPjSE_EEENSF_IJSE_SE_EEES9_SG_JZNS1_25segmented_radix_sort_implINS0_14default_configELb1EPK12hip_bfloat16PSL_PKlPlN2at6native12_GLOBAL__N_18offset_tEEE10hipError_tPvRmT1_PNSt15iterator_traitsISZ_E10value_typeET2_T3_PNS10_IS15_E10value_typeET4_jRbjT5_S1B_jjP12ihipStream_tbEUljE_EEESW_SX_SY_S15_S19_S1B_T6_T7_T9_mT8_S1D_bDpT10_ENKUlT_T0_E_clISt17integral_constantIbLb0EES1P_IbLb1EEEEDaS1L_S1M_EUlS1L_E_NS1_11comp_targetILNS1_3genE3ELNS1_11target_archE908ELNS1_3gpuE7ELNS1_3repE0EEENS1_30default_config_static_selectorELNS0_4arch9wavefront6targetE0EEEvSZ_.uses_vcc, 0
	.set _ZN7rocprim17ROCPRIM_400000_NS6detail17trampoline_kernelINS0_13select_configILj256ELj13ELNS0_17block_load_methodE3ELS4_3ELS4_3ELNS0_20block_scan_algorithmE0ELj4294967295EEENS1_25partition_config_selectorILNS1_17partition_subalgoE3EjNS0_10empty_typeEbEEZZNS1_14partition_implILS8_3ELb0ES6_jNS0_17counting_iteratorIjlEEPS9_SE_NS0_5tupleIJPjSE_EEENSF_IJSE_SE_EEES9_SG_JZNS1_25segmented_radix_sort_implINS0_14default_configELb1EPK12hip_bfloat16PSL_PKlPlN2at6native12_GLOBAL__N_18offset_tEEE10hipError_tPvRmT1_PNSt15iterator_traitsISZ_E10value_typeET2_T3_PNS10_IS15_E10value_typeET4_jRbjT5_S1B_jjP12ihipStream_tbEUljE_EEESW_SX_SY_S15_S19_S1B_T6_T7_T9_mT8_S1D_bDpT10_ENKUlT_T0_E_clISt17integral_constantIbLb0EES1P_IbLb1EEEEDaS1L_S1M_EUlS1L_E_NS1_11comp_targetILNS1_3genE3ELNS1_11target_archE908ELNS1_3gpuE7ELNS1_3repE0EEENS1_30default_config_static_selectorELNS0_4arch9wavefront6targetE0EEEvSZ_.uses_flat_scratch, 0
	.set _ZN7rocprim17ROCPRIM_400000_NS6detail17trampoline_kernelINS0_13select_configILj256ELj13ELNS0_17block_load_methodE3ELS4_3ELS4_3ELNS0_20block_scan_algorithmE0ELj4294967295EEENS1_25partition_config_selectorILNS1_17partition_subalgoE3EjNS0_10empty_typeEbEEZZNS1_14partition_implILS8_3ELb0ES6_jNS0_17counting_iteratorIjlEEPS9_SE_NS0_5tupleIJPjSE_EEENSF_IJSE_SE_EEES9_SG_JZNS1_25segmented_radix_sort_implINS0_14default_configELb1EPK12hip_bfloat16PSL_PKlPlN2at6native12_GLOBAL__N_18offset_tEEE10hipError_tPvRmT1_PNSt15iterator_traitsISZ_E10value_typeET2_T3_PNS10_IS15_E10value_typeET4_jRbjT5_S1B_jjP12ihipStream_tbEUljE_EEESW_SX_SY_S15_S19_S1B_T6_T7_T9_mT8_S1D_bDpT10_ENKUlT_T0_E_clISt17integral_constantIbLb0EES1P_IbLb1EEEEDaS1L_S1M_EUlS1L_E_NS1_11comp_targetILNS1_3genE3ELNS1_11target_archE908ELNS1_3gpuE7ELNS1_3repE0EEENS1_30default_config_static_selectorELNS0_4arch9wavefront6targetE0EEEvSZ_.has_dyn_sized_stack, 0
	.set _ZN7rocprim17ROCPRIM_400000_NS6detail17trampoline_kernelINS0_13select_configILj256ELj13ELNS0_17block_load_methodE3ELS4_3ELS4_3ELNS0_20block_scan_algorithmE0ELj4294967295EEENS1_25partition_config_selectorILNS1_17partition_subalgoE3EjNS0_10empty_typeEbEEZZNS1_14partition_implILS8_3ELb0ES6_jNS0_17counting_iteratorIjlEEPS9_SE_NS0_5tupleIJPjSE_EEENSF_IJSE_SE_EEES9_SG_JZNS1_25segmented_radix_sort_implINS0_14default_configELb1EPK12hip_bfloat16PSL_PKlPlN2at6native12_GLOBAL__N_18offset_tEEE10hipError_tPvRmT1_PNSt15iterator_traitsISZ_E10value_typeET2_T3_PNS10_IS15_E10value_typeET4_jRbjT5_S1B_jjP12ihipStream_tbEUljE_EEESW_SX_SY_S15_S19_S1B_T6_T7_T9_mT8_S1D_bDpT10_ENKUlT_T0_E_clISt17integral_constantIbLb0EES1P_IbLb1EEEEDaS1L_S1M_EUlS1L_E_NS1_11comp_targetILNS1_3genE3ELNS1_11target_archE908ELNS1_3gpuE7ELNS1_3repE0EEENS1_30default_config_static_selectorELNS0_4arch9wavefront6targetE0EEEvSZ_.has_recursion, 0
	.set _ZN7rocprim17ROCPRIM_400000_NS6detail17trampoline_kernelINS0_13select_configILj256ELj13ELNS0_17block_load_methodE3ELS4_3ELS4_3ELNS0_20block_scan_algorithmE0ELj4294967295EEENS1_25partition_config_selectorILNS1_17partition_subalgoE3EjNS0_10empty_typeEbEEZZNS1_14partition_implILS8_3ELb0ES6_jNS0_17counting_iteratorIjlEEPS9_SE_NS0_5tupleIJPjSE_EEENSF_IJSE_SE_EEES9_SG_JZNS1_25segmented_radix_sort_implINS0_14default_configELb1EPK12hip_bfloat16PSL_PKlPlN2at6native12_GLOBAL__N_18offset_tEEE10hipError_tPvRmT1_PNSt15iterator_traitsISZ_E10value_typeET2_T3_PNS10_IS15_E10value_typeET4_jRbjT5_S1B_jjP12ihipStream_tbEUljE_EEESW_SX_SY_S15_S19_S1B_T6_T7_T9_mT8_S1D_bDpT10_ENKUlT_T0_E_clISt17integral_constantIbLb0EES1P_IbLb1EEEEDaS1L_S1M_EUlS1L_E_NS1_11comp_targetILNS1_3genE3ELNS1_11target_archE908ELNS1_3gpuE7ELNS1_3repE0EEENS1_30default_config_static_selectorELNS0_4arch9wavefront6targetE0EEEvSZ_.has_indirect_call, 0
	.section	.AMDGPU.csdata,"",@progbits
; Kernel info:
; codeLenInByte = 0
; TotalNumSgprs: 0
; NumVgprs: 0
; ScratchSize: 0
; MemoryBound: 0
; FloatMode: 240
; IeeeMode: 1
; LDSByteSize: 0 bytes/workgroup (compile time only)
; SGPRBlocks: 0
; VGPRBlocks: 0
; NumSGPRsForWavesPerEU: 1
; NumVGPRsForWavesPerEU: 1
; NamedBarCnt: 0
; Occupancy: 16
; WaveLimiterHint : 0
; COMPUTE_PGM_RSRC2:SCRATCH_EN: 0
; COMPUTE_PGM_RSRC2:USER_SGPR: 2
; COMPUTE_PGM_RSRC2:TRAP_HANDLER: 0
; COMPUTE_PGM_RSRC2:TGID_X_EN: 1
; COMPUTE_PGM_RSRC2:TGID_Y_EN: 0
; COMPUTE_PGM_RSRC2:TGID_Z_EN: 0
; COMPUTE_PGM_RSRC2:TIDIG_COMP_CNT: 0
	.section	.text._ZN7rocprim17ROCPRIM_400000_NS6detail17trampoline_kernelINS0_13select_configILj256ELj13ELNS0_17block_load_methodE3ELS4_3ELS4_3ELNS0_20block_scan_algorithmE0ELj4294967295EEENS1_25partition_config_selectorILNS1_17partition_subalgoE3EjNS0_10empty_typeEbEEZZNS1_14partition_implILS8_3ELb0ES6_jNS0_17counting_iteratorIjlEEPS9_SE_NS0_5tupleIJPjSE_EEENSF_IJSE_SE_EEES9_SG_JZNS1_25segmented_radix_sort_implINS0_14default_configELb1EPK12hip_bfloat16PSL_PKlPlN2at6native12_GLOBAL__N_18offset_tEEE10hipError_tPvRmT1_PNSt15iterator_traitsISZ_E10value_typeET2_T3_PNS10_IS15_E10value_typeET4_jRbjT5_S1B_jjP12ihipStream_tbEUljE_EEESW_SX_SY_S15_S19_S1B_T6_T7_T9_mT8_S1D_bDpT10_ENKUlT_T0_E_clISt17integral_constantIbLb0EES1P_IbLb1EEEEDaS1L_S1M_EUlS1L_E_NS1_11comp_targetILNS1_3genE2ELNS1_11target_archE906ELNS1_3gpuE6ELNS1_3repE0EEENS1_30default_config_static_selectorELNS0_4arch9wavefront6targetE0EEEvSZ_,"axG",@progbits,_ZN7rocprim17ROCPRIM_400000_NS6detail17trampoline_kernelINS0_13select_configILj256ELj13ELNS0_17block_load_methodE3ELS4_3ELS4_3ELNS0_20block_scan_algorithmE0ELj4294967295EEENS1_25partition_config_selectorILNS1_17partition_subalgoE3EjNS0_10empty_typeEbEEZZNS1_14partition_implILS8_3ELb0ES6_jNS0_17counting_iteratorIjlEEPS9_SE_NS0_5tupleIJPjSE_EEENSF_IJSE_SE_EEES9_SG_JZNS1_25segmented_radix_sort_implINS0_14default_configELb1EPK12hip_bfloat16PSL_PKlPlN2at6native12_GLOBAL__N_18offset_tEEE10hipError_tPvRmT1_PNSt15iterator_traitsISZ_E10value_typeET2_T3_PNS10_IS15_E10value_typeET4_jRbjT5_S1B_jjP12ihipStream_tbEUljE_EEESW_SX_SY_S15_S19_S1B_T6_T7_T9_mT8_S1D_bDpT10_ENKUlT_T0_E_clISt17integral_constantIbLb0EES1P_IbLb1EEEEDaS1L_S1M_EUlS1L_E_NS1_11comp_targetILNS1_3genE2ELNS1_11target_archE906ELNS1_3gpuE6ELNS1_3repE0EEENS1_30default_config_static_selectorELNS0_4arch9wavefront6targetE0EEEvSZ_,comdat
	.globl	_ZN7rocprim17ROCPRIM_400000_NS6detail17trampoline_kernelINS0_13select_configILj256ELj13ELNS0_17block_load_methodE3ELS4_3ELS4_3ELNS0_20block_scan_algorithmE0ELj4294967295EEENS1_25partition_config_selectorILNS1_17partition_subalgoE3EjNS0_10empty_typeEbEEZZNS1_14partition_implILS8_3ELb0ES6_jNS0_17counting_iteratorIjlEEPS9_SE_NS0_5tupleIJPjSE_EEENSF_IJSE_SE_EEES9_SG_JZNS1_25segmented_radix_sort_implINS0_14default_configELb1EPK12hip_bfloat16PSL_PKlPlN2at6native12_GLOBAL__N_18offset_tEEE10hipError_tPvRmT1_PNSt15iterator_traitsISZ_E10value_typeET2_T3_PNS10_IS15_E10value_typeET4_jRbjT5_S1B_jjP12ihipStream_tbEUljE_EEESW_SX_SY_S15_S19_S1B_T6_T7_T9_mT8_S1D_bDpT10_ENKUlT_T0_E_clISt17integral_constantIbLb0EES1P_IbLb1EEEEDaS1L_S1M_EUlS1L_E_NS1_11comp_targetILNS1_3genE2ELNS1_11target_archE906ELNS1_3gpuE6ELNS1_3repE0EEENS1_30default_config_static_selectorELNS0_4arch9wavefront6targetE0EEEvSZ_ ; -- Begin function _ZN7rocprim17ROCPRIM_400000_NS6detail17trampoline_kernelINS0_13select_configILj256ELj13ELNS0_17block_load_methodE3ELS4_3ELS4_3ELNS0_20block_scan_algorithmE0ELj4294967295EEENS1_25partition_config_selectorILNS1_17partition_subalgoE3EjNS0_10empty_typeEbEEZZNS1_14partition_implILS8_3ELb0ES6_jNS0_17counting_iteratorIjlEEPS9_SE_NS0_5tupleIJPjSE_EEENSF_IJSE_SE_EEES9_SG_JZNS1_25segmented_radix_sort_implINS0_14default_configELb1EPK12hip_bfloat16PSL_PKlPlN2at6native12_GLOBAL__N_18offset_tEEE10hipError_tPvRmT1_PNSt15iterator_traitsISZ_E10value_typeET2_T3_PNS10_IS15_E10value_typeET4_jRbjT5_S1B_jjP12ihipStream_tbEUljE_EEESW_SX_SY_S15_S19_S1B_T6_T7_T9_mT8_S1D_bDpT10_ENKUlT_T0_E_clISt17integral_constantIbLb0EES1P_IbLb1EEEEDaS1L_S1M_EUlS1L_E_NS1_11comp_targetILNS1_3genE2ELNS1_11target_archE906ELNS1_3gpuE6ELNS1_3repE0EEENS1_30default_config_static_selectorELNS0_4arch9wavefront6targetE0EEEvSZ_
	.p2align	8
	.type	_ZN7rocprim17ROCPRIM_400000_NS6detail17trampoline_kernelINS0_13select_configILj256ELj13ELNS0_17block_load_methodE3ELS4_3ELS4_3ELNS0_20block_scan_algorithmE0ELj4294967295EEENS1_25partition_config_selectorILNS1_17partition_subalgoE3EjNS0_10empty_typeEbEEZZNS1_14partition_implILS8_3ELb0ES6_jNS0_17counting_iteratorIjlEEPS9_SE_NS0_5tupleIJPjSE_EEENSF_IJSE_SE_EEES9_SG_JZNS1_25segmented_radix_sort_implINS0_14default_configELb1EPK12hip_bfloat16PSL_PKlPlN2at6native12_GLOBAL__N_18offset_tEEE10hipError_tPvRmT1_PNSt15iterator_traitsISZ_E10value_typeET2_T3_PNS10_IS15_E10value_typeET4_jRbjT5_S1B_jjP12ihipStream_tbEUljE_EEESW_SX_SY_S15_S19_S1B_T6_T7_T9_mT8_S1D_bDpT10_ENKUlT_T0_E_clISt17integral_constantIbLb0EES1P_IbLb1EEEEDaS1L_S1M_EUlS1L_E_NS1_11comp_targetILNS1_3genE2ELNS1_11target_archE906ELNS1_3gpuE6ELNS1_3repE0EEENS1_30default_config_static_selectorELNS0_4arch9wavefront6targetE0EEEvSZ_,@function
_ZN7rocprim17ROCPRIM_400000_NS6detail17trampoline_kernelINS0_13select_configILj256ELj13ELNS0_17block_load_methodE3ELS4_3ELS4_3ELNS0_20block_scan_algorithmE0ELj4294967295EEENS1_25partition_config_selectorILNS1_17partition_subalgoE3EjNS0_10empty_typeEbEEZZNS1_14partition_implILS8_3ELb0ES6_jNS0_17counting_iteratorIjlEEPS9_SE_NS0_5tupleIJPjSE_EEENSF_IJSE_SE_EEES9_SG_JZNS1_25segmented_radix_sort_implINS0_14default_configELb1EPK12hip_bfloat16PSL_PKlPlN2at6native12_GLOBAL__N_18offset_tEEE10hipError_tPvRmT1_PNSt15iterator_traitsISZ_E10value_typeET2_T3_PNS10_IS15_E10value_typeET4_jRbjT5_S1B_jjP12ihipStream_tbEUljE_EEESW_SX_SY_S15_S19_S1B_T6_T7_T9_mT8_S1D_bDpT10_ENKUlT_T0_E_clISt17integral_constantIbLb0EES1P_IbLb1EEEEDaS1L_S1M_EUlS1L_E_NS1_11comp_targetILNS1_3genE2ELNS1_11target_archE906ELNS1_3gpuE6ELNS1_3repE0EEENS1_30default_config_static_selectorELNS0_4arch9wavefront6targetE0EEEvSZ_: ; @_ZN7rocprim17ROCPRIM_400000_NS6detail17trampoline_kernelINS0_13select_configILj256ELj13ELNS0_17block_load_methodE3ELS4_3ELS4_3ELNS0_20block_scan_algorithmE0ELj4294967295EEENS1_25partition_config_selectorILNS1_17partition_subalgoE3EjNS0_10empty_typeEbEEZZNS1_14partition_implILS8_3ELb0ES6_jNS0_17counting_iteratorIjlEEPS9_SE_NS0_5tupleIJPjSE_EEENSF_IJSE_SE_EEES9_SG_JZNS1_25segmented_radix_sort_implINS0_14default_configELb1EPK12hip_bfloat16PSL_PKlPlN2at6native12_GLOBAL__N_18offset_tEEE10hipError_tPvRmT1_PNSt15iterator_traitsISZ_E10value_typeET2_T3_PNS10_IS15_E10value_typeET4_jRbjT5_S1B_jjP12ihipStream_tbEUljE_EEESW_SX_SY_S15_S19_S1B_T6_T7_T9_mT8_S1D_bDpT10_ENKUlT_T0_E_clISt17integral_constantIbLb0EES1P_IbLb1EEEEDaS1L_S1M_EUlS1L_E_NS1_11comp_targetILNS1_3genE2ELNS1_11target_archE906ELNS1_3gpuE6ELNS1_3repE0EEENS1_30default_config_static_selectorELNS0_4arch9wavefront6targetE0EEEvSZ_
; %bb.0:
	.section	.rodata,"a",@progbits
	.p2align	6, 0x0
	.amdhsa_kernel _ZN7rocprim17ROCPRIM_400000_NS6detail17trampoline_kernelINS0_13select_configILj256ELj13ELNS0_17block_load_methodE3ELS4_3ELS4_3ELNS0_20block_scan_algorithmE0ELj4294967295EEENS1_25partition_config_selectorILNS1_17partition_subalgoE3EjNS0_10empty_typeEbEEZZNS1_14partition_implILS8_3ELb0ES6_jNS0_17counting_iteratorIjlEEPS9_SE_NS0_5tupleIJPjSE_EEENSF_IJSE_SE_EEES9_SG_JZNS1_25segmented_radix_sort_implINS0_14default_configELb1EPK12hip_bfloat16PSL_PKlPlN2at6native12_GLOBAL__N_18offset_tEEE10hipError_tPvRmT1_PNSt15iterator_traitsISZ_E10value_typeET2_T3_PNS10_IS15_E10value_typeET4_jRbjT5_S1B_jjP12ihipStream_tbEUljE_EEESW_SX_SY_S15_S19_S1B_T6_T7_T9_mT8_S1D_bDpT10_ENKUlT_T0_E_clISt17integral_constantIbLb0EES1P_IbLb1EEEEDaS1L_S1M_EUlS1L_E_NS1_11comp_targetILNS1_3genE2ELNS1_11target_archE906ELNS1_3gpuE6ELNS1_3repE0EEENS1_30default_config_static_selectorELNS0_4arch9wavefront6targetE0EEEvSZ_
		.amdhsa_group_segment_fixed_size 0
		.amdhsa_private_segment_fixed_size 0
		.amdhsa_kernarg_size 152
		.amdhsa_user_sgpr_count 2
		.amdhsa_user_sgpr_dispatch_ptr 0
		.amdhsa_user_sgpr_queue_ptr 0
		.amdhsa_user_sgpr_kernarg_segment_ptr 1
		.amdhsa_user_sgpr_dispatch_id 0
		.amdhsa_user_sgpr_kernarg_preload_length 0
		.amdhsa_user_sgpr_kernarg_preload_offset 0
		.amdhsa_user_sgpr_private_segment_size 0
		.amdhsa_wavefront_size32 1
		.amdhsa_uses_dynamic_stack 0
		.amdhsa_enable_private_segment 0
		.amdhsa_system_sgpr_workgroup_id_x 1
		.amdhsa_system_sgpr_workgroup_id_y 0
		.amdhsa_system_sgpr_workgroup_id_z 0
		.amdhsa_system_sgpr_workgroup_info 0
		.amdhsa_system_vgpr_workitem_id 0
		.amdhsa_next_free_vgpr 1
		.amdhsa_next_free_sgpr 1
		.amdhsa_named_barrier_count 0
		.amdhsa_reserve_vcc 0
		.amdhsa_float_round_mode_32 0
		.amdhsa_float_round_mode_16_64 0
		.amdhsa_float_denorm_mode_32 3
		.amdhsa_float_denorm_mode_16_64 3
		.amdhsa_fp16_overflow 0
		.amdhsa_memory_ordered 1
		.amdhsa_forward_progress 1
		.amdhsa_inst_pref_size 0
		.amdhsa_round_robin_scheduling 0
		.amdhsa_exception_fp_ieee_invalid_op 0
		.amdhsa_exception_fp_denorm_src 0
		.amdhsa_exception_fp_ieee_div_zero 0
		.amdhsa_exception_fp_ieee_overflow 0
		.amdhsa_exception_fp_ieee_underflow 0
		.amdhsa_exception_fp_ieee_inexact 0
		.amdhsa_exception_int_div_zero 0
	.end_amdhsa_kernel
	.section	.text._ZN7rocprim17ROCPRIM_400000_NS6detail17trampoline_kernelINS0_13select_configILj256ELj13ELNS0_17block_load_methodE3ELS4_3ELS4_3ELNS0_20block_scan_algorithmE0ELj4294967295EEENS1_25partition_config_selectorILNS1_17partition_subalgoE3EjNS0_10empty_typeEbEEZZNS1_14partition_implILS8_3ELb0ES6_jNS0_17counting_iteratorIjlEEPS9_SE_NS0_5tupleIJPjSE_EEENSF_IJSE_SE_EEES9_SG_JZNS1_25segmented_radix_sort_implINS0_14default_configELb1EPK12hip_bfloat16PSL_PKlPlN2at6native12_GLOBAL__N_18offset_tEEE10hipError_tPvRmT1_PNSt15iterator_traitsISZ_E10value_typeET2_T3_PNS10_IS15_E10value_typeET4_jRbjT5_S1B_jjP12ihipStream_tbEUljE_EEESW_SX_SY_S15_S19_S1B_T6_T7_T9_mT8_S1D_bDpT10_ENKUlT_T0_E_clISt17integral_constantIbLb0EES1P_IbLb1EEEEDaS1L_S1M_EUlS1L_E_NS1_11comp_targetILNS1_3genE2ELNS1_11target_archE906ELNS1_3gpuE6ELNS1_3repE0EEENS1_30default_config_static_selectorELNS0_4arch9wavefront6targetE0EEEvSZ_,"axG",@progbits,_ZN7rocprim17ROCPRIM_400000_NS6detail17trampoline_kernelINS0_13select_configILj256ELj13ELNS0_17block_load_methodE3ELS4_3ELS4_3ELNS0_20block_scan_algorithmE0ELj4294967295EEENS1_25partition_config_selectorILNS1_17partition_subalgoE3EjNS0_10empty_typeEbEEZZNS1_14partition_implILS8_3ELb0ES6_jNS0_17counting_iteratorIjlEEPS9_SE_NS0_5tupleIJPjSE_EEENSF_IJSE_SE_EEES9_SG_JZNS1_25segmented_radix_sort_implINS0_14default_configELb1EPK12hip_bfloat16PSL_PKlPlN2at6native12_GLOBAL__N_18offset_tEEE10hipError_tPvRmT1_PNSt15iterator_traitsISZ_E10value_typeET2_T3_PNS10_IS15_E10value_typeET4_jRbjT5_S1B_jjP12ihipStream_tbEUljE_EEESW_SX_SY_S15_S19_S1B_T6_T7_T9_mT8_S1D_bDpT10_ENKUlT_T0_E_clISt17integral_constantIbLb0EES1P_IbLb1EEEEDaS1L_S1M_EUlS1L_E_NS1_11comp_targetILNS1_3genE2ELNS1_11target_archE906ELNS1_3gpuE6ELNS1_3repE0EEENS1_30default_config_static_selectorELNS0_4arch9wavefront6targetE0EEEvSZ_,comdat
.Lfunc_end1932:
	.size	_ZN7rocprim17ROCPRIM_400000_NS6detail17trampoline_kernelINS0_13select_configILj256ELj13ELNS0_17block_load_methodE3ELS4_3ELS4_3ELNS0_20block_scan_algorithmE0ELj4294967295EEENS1_25partition_config_selectorILNS1_17partition_subalgoE3EjNS0_10empty_typeEbEEZZNS1_14partition_implILS8_3ELb0ES6_jNS0_17counting_iteratorIjlEEPS9_SE_NS0_5tupleIJPjSE_EEENSF_IJSE_SE_EEES9_SG_JZNS1_25segmented_radix_sort_implINS0_14default_configELb1EPK12hip_bfloat16PSL_PKlPlN2at6native12_GLOBAL__N_18offset_tEEE10hipError_tPvRmT1_PNSt15iterator_traitsISZ_E10value_typeET2_T3_PNS10_IS15_E10value_typeET4_jRbjT5_S1B_jjP12ihipStream_tbEUljE_EEESW_SX_SY_S15_S19_S1B_T6_T7_T9_mT8_S1D_bDpT10_ENKUlT_T0_E_clISt17integral_constantIbLb0EES1P_IbLb1EEEEDaS1L_S1M_EUlS1L_E_NS1_11comp_targetILNS1_3genE2ELNS1_11target_archE906ELNS1_3gpuE6ELNS1_3repE0EEENS1_30default_config_static_selectorELNS0_4arch9wavefront6targetE0EEEvSZ_, .Lfunc_end1932-_ZN7rocprim17ROCPRIM_400000_NS6detail17trampoline_kernelINS0_13select_configILj256ELj13ELNS0_17block_load_methodE3ELS4_3ELS4_3ELNS0_20block_scan_algorithmE0ELj4294967295EEENS1_25partition_config_selectorILNS1_17partition_subalgoE3EjNS0_10empty_typeEbEEZZNS1_14partition_implILS8_3ELb0ES6_jNS0_17counting_iteratorIjlEEPS9_SE_NS0_5tupleIJPjSE_EEENSF_IJSE_SE_EEES9_SG_JZNS1_25segmented_radix_sort_implINS0_14default_configELb1EPK12hip_bfloat16PSL_PKlPlN2at6native12_GLOBAL__N_18offset_tEEE10hipError_tPvRmT1_PNSt15iterator_traitsISZ_E10value_typeET2_T3_PNS10_IS15_E10value_typeET4_jRbjT5_S1B_jjP12ihipStream_tbEUljE_EEESW_SX_SY_S15_S19_S1B_T6_T7_T9_mT8_S1D_bDpT10_ENKUlT_T0_E_clISt17integral_constantIbLb0EES1P_IbLb1EEEEDaS1L_S1M_EUlS1L_E_NS1_11comp_targetILNS1_3genE2ELNS1_11target_archE906ELNS1_3gpuE6ELNS1_3repE0EEENS1_30default_config_static_selectorELNS0_4arch9wavefront6targetE0EEEvSZ_
                                        ; -- End function
	.set _ZN7rocprim17ROCPRIM_400000_NS6detail17trampoline_kernelINS0_13select_configILj256ELj13ELNS0_17block_load_methodE3ELS4_3ELS4_3ELNS0_20block_scan_algorithmE0ELj4294967295EEENS1_25partition_config_selectorILNS1_17partition_subalgoE3EjNS0_10empty_typeEbEEZZNS1_14partition_implILS8_3ELb0ES6_jNS0_17counting_iteratorIjlEEPS9_SE_NS0_5tupleIJPjSE_EEENSF_IJSE_SE_EEES9_SG_JZNS1_25segmented_radix_sort_implINS0_14default_configELb1EPK12hip_bfloat16PSL_PKlPlN2at6native12_GLOBAL__N_18offset_tEEE10hipError_tPvRmT1_PNSt15iterator_traitsISZ_E10value_typeET2_T3_PNS10_IS15_E10value_typeET4_jRbjT5_S1B_jjP12ihipStream_tbEUljE_EEESW_SX_SY_S15_S19_S1B_T6_T7_T9_mT8_S1D_bDpT10_ENKUlT_T0_E_clISt17integral_constantIbLb0EES1P_IbLb1EEEEDaS1L_S1M_EUlS1L_E_NS1_11comp_targetILNS1_3genE2ELNS1_11target_archE906ELNS1_3gpuE6ELNS1_3repE0EEENS1_30default_config_static_selectorELNS0_4arch9wavefront6targetE0EEEvSZ_.num_vgpr, 0
	.set _ZN7rocprim17ROCPRIM_400000_NS6detail17trampoline_kernelINS0_13select_configILj256ELj13ELNS0_17block_load_methodE3ELS4_3ELS4_3ELNS0_20block_scan_algorithmE0ELj4294967295EEENS1_25partition_config_selectorILNS1_17partition_subalgoE3EjNS0_10empty_typeEbEEZZNS1_14partition_implILS8_3ELb0ES6_jNS0_17counting_iteratorIjlEEPS9_SE_NS0_5tupleIJPjSE_EEENSF_IJSE_SE_EEES9_SG_JZNS1_25segmented_radix_sort_implINS0_14default_configELb1EPK12hip_bfloat16PSL_PKlPlN2at6native12_GLOBAL__N_18offset_tEEE10hipError_tPvRmT1_PNSt15iterator_traitsISZ_E10value_typeET2_T3_PNS10_IS15_E10value_typeET4_jRbjT5_S1B_jjP12ihipStream_tbEUljE_EEESW_SX_SY_S15_S19_S1B_T6_T7_T9_mT8_S1D_bDpT10_ENKUlT_T0_E_clISt17integral_constantIbLb0EES1P_IbLb1EEEEDaS1L_S1M_EUlS1L_E_NS1_11comp_targetILNS1_3genE2ELNS1_11target_archE906ELNS1_3gpuE6ELNS1_3repE0EEENS1_30default_config_static_selectorELNS0_4arch9wavefront6targetE0EEEvSZ_.num_agpr, 0
	.set _ZN7rocprim17ROCPRIM_400000_NS6detail17trampoline_kernelINS0_13select_configILj256ELj13ELNS0_17block_load_methodE3ELS4_3ELS4_3ELNS0_20block_scan_algorithmE0ELj4294967295EEENS1_25partition_config_selectorILNS1_17partition_subalgoE3EjNS0_10empty_typeEbEEZZNS1_14partition_implILS8_3ELb0ES6_jNS0_17counting_iteratorIjlEEPS9_SE_NS0_5tupleIJPjSE_EEENSF_IJSE_SE_EEES9_SG_JZNS1_25segmented_radix_sort_implINS0_14default_configELb1EPK12hip_bfloat16PSL_PKlPlN2at6native12_GLOBAL__N_18offset_tEEE10hipError_tPvRmT1_PNSt15iterator_traitsISZ_E10value_typeET2_T3_PNS10_IS15_E10value_typeET4_jRbjT5_S1B_jjP12ihipStream_tbEUljE_EEESW_SX_SY_S15_S19_S1B_T6_T7_T9_mT8_S1D_bDpT10_ENKUlT_T0_E_clISt17integral_constantIbLb0EES1P_IbLb1EEEEDaS1L_S1M_EUlS1L_E_NS1_11comp_targetILNS1_3genE2ELNS1_11target_archE906ELNS1_3gpuE6ELNS1_3repE0EEENS1_30default_config_static_selectorELNS0_4arch9wavefront6targetE0EEEvSZ_.numbered_sgpr, 0
	.set _ZN7rocprim17ROCPRIM_400000_NS6detail17trampoline_kernelINS0_13select_configILj256ELj13ELNS0_17block_load_methodE3ELS4_3ELS4_3ELNS0_20block_scan_algorithmE0ELj4294967295EEENS1_25partition_config_selectorILNS1_17partition_subalgoE3EjNS0_10empty_typeEbEEZZNS1_14partition_implILS8_3ELb0ES6_jNS0_17counting_iteratorIjlEEPS9_SE_NS0_5tupleIJPjSE_EEENSF_IJSE_SE_EEES9_SG_JZNS1_25segmented_radix_sort_implINS0_14default_configELb1EPK12hip_bfloat16PSL_PKlPlN2at6native12_GLOBAL__N_18offset_tEEE10hipError_tPvRmT1_PNSt15iterator_traitsISZ_E10value_typeET2_T3_PNS10_IS15_E10value_typeET4_jRbjT5_S1B_jjP12ihipStream_tbEUljE_EEESW_SX_SY_S15_S19_S1B_T6_T7_T9_mT8_S1D_bDpT10_ENKUlT_T0_E_clISt17integral_constantIbLb0EES1P_IbLb1EEEEDaS1L_S1M_EUlS1L_E_NS1_11comp_targetILNS1_3genE2ELNS1_11target_archE906ELNS1_3gpuE6ELNS1_3repE0EEENS1_30default_config_static_selectorELNS0_4arch9wavefront6targetE0EEEvSZ_.num_named_barrier, 0
	.set _ZN7rocprim17ROCPRIM_400000_NS6detail17trampoline_kernelINS0_13select_configILj256ELj13ELNS0_17block_load_methodE3ELS4_3ELS4_3ELNS0_20block_scan_algorithmE0ELj4294967295EEENS1_25partition_config_selectorILNS1_17partition_subalgoE3EjNS0_10empty_typeEbEEZZNS1_14partition_implILS8_3ELb0ES6_jNS0_17counting_iteratorIjlEEPS9_SE_NS0_5tupleIJPjSE_EEENSF_IJSE_SE_EEES9_SG_JZNS1_25segmented_radix_sort_implINS0_14default_configELb1EPK12hip_bfloat16PSL_PKlPlN2at6native12_GLOBAL__N_18offset_tEEE10hipError_tPvRmT1_PNSt15iterator_traitsISZ_E10value_typeET2_T3_PNS10_IS15_E10value_typeET4_jRbjT5_S1B_jjP12ihipStream_tbEUljE_EEESW_SX_SY_S15_S19_S1B_T6_T7_T9_mT8_S1D_bDpT10_ENKUlT_T0_E_clISt17integral_constantIbLb0EES1P_IbLb1EEEEDaS1L_S1M_EUlS1L_E_NS1_11comp_targetILNS1_3genE2ELNS1_11target_archE906ELNS1_3gpuE6ELNS1_3repE0EEENS1_30default_config_static_selectorELNS0_4arch9wavefront6targetE0EEEvSZ_.private_seg_size, 0
	.set _ZN7rocprim17ROCPRIM_400000_NS6detail17trampoline_kernelINS0_13select_configILj256ELj13ELNS0_17block_load_methodE3ELS4_3ELS4_3ELNS0_20block_scan_algorithmE0ELj4294967295EEENS1_25partition_config_selectorILNS1_17partition_subalgoE3EjNS0_10empty_typeEbEEZZNS1_14partition_implILS8_3ELb0ES6_jNS0_17counting_iteratorIjlEEPS9_SE_NS0_5tupleIJPjSE_EEENSF_IJSE_SE_EEES9_SG_JZNS1_25segmented_radix_sort_implINS0_14default_configELb1EPK12hip_bfloat16PSL_PKlPlN2at6native12_GLOBAL__N_18offset_tEEE10hipError_tPvRmT1_PNSt15iterator_traitsISZ_E10value_typeET2_T3_PNS10_IS15_E10value_typeET4_jRbjT5_S1B_jjP12ihipStream_tbEUljE_EEESW_SX_SY_S15_S19_S1B_T6_T7_T9_mT8_S1D_bDpT10_ENKUlT_T0_E_clISt17integral_constantIbLb0EES1P_IbLb1EEEEDaS1L_S1M_EUlS1L_E_NS1_11comp_targetILNS1_3genE2ELNS1_11target_archE906ELNS1_3gpuE6ELNS1_3repE0EEENS1_30default_config_static_selectorELNS0_4arch9wavefront6targetE0EEEvSZ_.uses_vcc, 0
	.set _ZN7rocprim17ROCPRIM_400000_NS6detail17trampoline_kernelINS0_13select_configILj256ELj13ELNS0_17block_load_methodE3ELS4_3ELS4_3ELNS0_20block_scan_algorithmE0ELj4294967295EEENS1_25partition_config_selectorILNS1_17partition_subalgoE3EjNS0_10empty_typeEbEEZZNS1_14partition_implILS8_3ELb0ES6_jNS0_17counting_iteratorIjlEEPS9_SE_NS0_5tupleIJPjSE_EEENSF_IJSE_SE_EEES9_SG_JZNS1_25segmented_radix_sort_implINS0_14default_configELb1EPK12hip_bfloat16PSL_PKlPlN2at6native12_GLOBAL__N_18offset_tEEE10hipError_tPvRmT1_PNSt15iterator_traitsISZ_E10value_typeET2_T3_PNS10_IS15_E10value_typeET4_jRbjT5_S1B_jjP12ihipStream_tbEUljE_EEESW_SX_SY_S15_S19_S1B_T6_T7_T9_mT8_S1D_bDpT10_ENKUlT_T0_E_clISt17integral_constantIbLb0EES1P_IbLb1EEEEDaS1L_S1M_EUlS1L_E_NS1_11comp_targetILNS1_3genE2ELNS1_11target_archE906ELNS1_3gpuE6ELNS1_3repE0EEENS1_30default_config_static_selectorELNS0_4arch9wavefront6targetE0EEEvSZ_.uses_flat_scratch, 0
	.set _ZN7rocprim17ROCPRIM_400000_NS6detail17trampoline_kernelINS0_13select_configILj256ELj13ELNS0_17block_load_methodE3ELS4_3ELS4_3ELNS0_20block_scan_algorithmE0ELj4294967295EEENS1_25partition_config_selectorILNS1_17partition_subalgoE3EjNS0_10empty_typeEbEEZZNS1_14partition_implILS8_3ELb0ES6_jNS0_17counting_iteratorIjlEEPS9_SE_NS0_5tupleIJPjSE_EEENSF_IJSE_SE_EEES9_SG_JZNS1_25segmented_radix_sort_implINS0_14default_configELb1EPK12hip_bfloat16PSL_PKlPlN2at6native12_GLOBAL__N_18offset_tEEE10hipError_tPvRmT1_PNSt15iterator_traitsISZ_E10value_typeET2_T3_PNS10_IS15_E10value_typeET4_jRbjT5_S1B_jjP12ihipStream_tbEUljE_EEESW_SX_SY_S15_S19_S1B_T6_T7_T9_mT8_S1D_bDpT10_ENKUlT_T0_E_clISt17integral_constantIbLb0EES1P_IbLb1EEEEDaS1L_S1M_EUlS1L_E_NS1_11comp_targetILNS1_3genE2ELNS1_11target_archE906ELNS1_3gpuE6ELNS1_3repE0EEENS1_30default_config_static_selectorELNS0_4arch9wavefront6targetE0EEEvSZ_.has_dyn_sized_stack, 0
	.set _ZN7rocprim17ROCPRIM_400000_NS6detail17trampoline_kernelINS0_13select_configILj256ELj13ELNS0_17block_load_methodE3ELS4_3ELS4_3ELNS0_20block_scan_algorithmE0ELj4294967295EEENS1_25partition_config_selectorILNS1_17partition_subalgoE3EjNS0_10empty_typeEbEEZZNS1_14partition_implILS8_3ELb0ES6_jNS0_17counting_iteratorIjlEEPS9_SE_NS0_5tupleIJPjSE_EEENSF_IJSE_SE_EEES9_SG_JZNS1_25segmented_radix_sort_implINS0_14default_configELb1EPK12hip_bfloat16PSL_PKlPlN2at6native12_GLOBAL__N_18offset_tEEE10hipError_tPvRmT1_PNSt15iterator_traitsISZ_E10value_typeET2_T3_PNS10_IS15_E10value_typeET4_jRbjT5_S1B_jjP12ihipStream_tbEUljE_EEESW_SX_SY_S15_S19_S1B_T6_T7_T9_mT8_S1D_bDpT10_ENKUlT_T0_E_clISt17integral_constantIbLb0EES1P_IbLb1EEEEDaS1L_S1M_EUlS1L_E_NS1_11comp_targetILNS1_3genE2ELNS1_11target_archE906ELNS1_3gpuE6ELNS1_3repE0EEENS1_30default_config_static_selectorELNS0_4arch9wavefront6targetE0EEEvSZ_.has_recursion, 0
	.set _ZN7rocprim17ROCPRIM_400000_NS6detail17trampoline_kernelINS0_13select_configILj256ELj13ELNS0_17block_load_methodE3ELS4_3ELS4_3ELNS0_20block_scan_algorithmE0ELj4294967295EEENS1_25partition_config_selectorILNS1_17partition_subalgoE3EjNS0_10empty_typeEbEEZZNS1_14partition_implILS8_3ELb0ES6_jNS0_17counting_iteratorIjlEEPS9_SE_NS0_5tupleIJPjSE_EEENSF_IJSE_SE_EEES9_SG_JZNS1_25segmented_radix_sort_implINS0_14default_configELb1EPK12hip_bfloat16PSL_PKlPlN2at6native12_GLOBAL__N_18offset_tEEE10hipError_tPvRmT1_PNSt15iterator_traitsISZ_E10value_typeET2_T3_PNS10_IS15_E10value_typeET4_jRbjT5_S1B_jjP12ihipStream_tbEUljE_EEESW_SX_SY_S15_S19_S1B_T6_T7_T9_mT8_S1D_bDpT10_ENKUlT_T0_E_clISt17integral_constantIbLb0EES1P_IbLb1EEEEDaS1L_S1M_EUlS1L_E_NS1_11comp_targetILNS1_3genE2ELNS1_11target_archE906ELNS1_3gpuE6ELNS1_3repE0EEENS1_30default_config_static_selectorELNS0_4arch9wavefront6targetE0EEEvSZ_.has_indirect_call, 0
	.section	.AMDGPU.csdata,"",@progbits
; Kernel info:
; codeLenInByte = 0
; TotalNumSgprs: 0
; NumVgprs: 0
; ScratchSize: 0
; MemoryBound: 0
; FloatMode: 240
; IeeeMode: 1
; LDSByteSize: 0 bytes/workgroup (compile time only)
; SGPRBlocks: 0
; VGPRBlocks: 0
; NumSGPRsForWavesPerEU: 1
; NumVGPRsForWavesPerEU: 1
; NamedBarCnt: 0
; Occupancy: 16
; WaveLimiterHint : 0
; COMPUTE_PGM_RSRC2:SCRATCH_EN: 0
; COMPUTE_PGM_RSRC2:USER_SGPR: 2
; COMPUTE_PGM_RSRC2:TRAP_HANDLER: 0
; COMPUTE_PGM_RSRC2:TGID_X_EN: 1
; COMPUTE_PGM_RSRC2:TGID_Y_EN: 0
; COMPUTE_PGM_RSRC2:TGID_Z_EN: 0
; COMPUTE_PGM_RSRC2:TIDIG_COMP_CNT: 0
	.section	.text._ZN7rocprim17ROCPRIM_400000_NS6detail17trampoline_kernelINS0_13select_configILj256ELj13ELNS0_17block_load_methodE3ELS4_3ELS4_3ELNS0_20block_scan_algorithmE0ELj4294967295EEENS1_25partition_config_selectorILNS1_17partition_subalgoE3EjNS0_10empty_typeEbEEZZNS1_14partition_implILS8_3ELb0ES6_jNS0_17counting_iteratorIjlEEPS9_SE_NS0_5tupleIJPjSE_EEENSF_IJSE_SE_EEES9_SG_JZNS1_25segmented_radix_sort_implINS0_14default_configELb1EPK12hip_bfloat16PSL_PKlPlN2at6native12_GLOBAL__N_18offset_tEEE10hipError_tPvRmT1_PNSt15iterator_traitsISZ_E10value_typeET2_T3_PNS10_IS15_E10value_typeET4_jRbjT5_S1B_jjP12ihipStream_tbEUljE_EEESW_SX_SY_S15_S19_S1B_T6_T7_T9_mT8_S1D_bDpT10_ENKUlT_T0_E_clISt17integral_constantIbLb0EES1P_IbLb1EEEEDaS1L_S1M_EUlS1L_E_NS1_11comp_targetILNS1_3genE10ELNS1_11target_archE1200ELNS1_3gpuE4ELNS1_3repE0EEENS1_30default_config_static_selectorELNS0_4arch9wavefront6targetE0EEEvSZ_,"axG",@progbits,_ZN7rocprim17ROCPRIM_400000_NS6detail17trampoline_kernelINS0_13select_configILj256ELj13ELNS0_17block_load_methodE3ELS4_3ELS4_3ELNS0_20block_scan_algorithmE0ELj4294967295EEENS1_25partition_config_selectorILNS1_17partition_subalgoE3EjNS0_10empty_typeEbEEZZNS1_14partition_implILS8_3ELb0ES6_jNS0_17counting_iteratorIjlEEPS9_SE_NS0_5tupleIJPjSE_EEENSF_IJSE_SE_EEES9_SG_JZNS1_25segmented_radix_sort_implINS0_14default_configELb1EPK12hip_bfloat16PSL_PKlPlN2at6native12_GLOBAL__N_18offset_tEEE10hipError_tPvRmT1_PNSt15iterator_traitsISZ_E10value_typeET2_T3_PNS10_IS15_E10value_typeET4_jRbjT5_S1B_jjP12ihipStream_tbEUljE_EEESW_SX_SY_S15_S19_S1B_T6_T7_T9_mT8_S1D_bDpT10_ENKUlT_T0_E_clISt17integral_constantIbLb0EES1P_IbLb1EEEEDaS1L_S1M_EUlS1L_E_NS1_11comp_targetILNS1_3genE10ELNS1_11target_archE1200ELNS1_3gpuE4ELNS1_3repE0EEENS1_30default_config_static_selectorELNS0_4arch9wavefront6targetE0EEEvSZ_,comdat
	.globl	_ZN7rocprim17ROCPRIM_400000_NS6detail17trampoline_kernelINS0_13select_configILj256ELj13ELNS0_17block_load_methodE3ELS4_3ELS4_3ELNS0_20block_scan_algorithmE0ELj4294967295EEENS1_25partition_config_selectorILNS1_17partition_subalgoE3EjNS0_10empty_typeEbEEZZNS1_14partition_implILS8_3ELb0ES6_jNS0_17counting_iteratorIjlEEPS9_SE_NS0_5tupleIJPjSE_EEENSF_IJSE_SE_EEES9_SG_JZNS1_25segmented_radix_sort_implINS0_14default_configELb1EPK12hip_bfloat16PSL_PKlPlN2at6native12_GLOBAL__N_18offset_tEEE10hipError_tPvRmT1_PNSt15iterator_traitsISZ_E10value_typeET2_T3_PNS10_IS15_E10value_typeET4_jRbjT5_S1B_jjP12ihipStream_tbEUljE_EEESW_SX_SY_S15_S19_S1B_T6_T7_T9_mT8_S1D_bDpT10_ENKUlT_T0_E_clISt17integral_constantIbLb0EES1P_IbLb1EEEEDaS1L_S1M_EUlS1L_E_NS1_11comp_targetILNS1_3genE10ELNS1_11target_archE1200ELNS1_3gpuE4ELNS1_3repE0EEENS1_30default_config_static_selectorELNS0_4arch9wavefront6targetE0EEEvSZ_ ; -- Begin function _ZN7rocprim17ROCPRIM_400000_NS6detail17trampoline_kernelINS0_13select_configILj256ELj13ELNS0_17block_load_methodE3ELS4_3ELS4_3ELNS0_20block_scan_algorithmE0ELj4294967295EEENS1_25partition_config_selectorILNS1_17partition_subalgoE3EjNS0_10empty_typeEbEEZZNS1_14partition_implILS8_3ELb0ES6_jNS0_17counting_iteratorIjlEEPS9_SE_NS0_5tupleIJPjSE_EEENSF_IJSE_SE_EEES9_SG_JZNS1_25segmented_radix_sort_implINS0_14default_configELb1EPK12hip_bfloat16PSL_PKlPlN2at6native12_GLOBAL__N_18offset_tEEE10hipError_tPvRmT1_PNSt15iterator_traitsISZ_E10value_typeET2_T3_PNS10_IS15_E10value_typeET4_jRbjT5_S1B_jjP12ihipStream_tbEUljE_EEESW_SX_SY_S15_S19_S1B_T6_T7_T9_mT8_S1D_bDpT10_ENKUlT_T0_E_clISt17integral_constantIbLb0EES1P_IbLb1EEEEDaS1L_S1M_EUlS1L_E_NS1_11comp_targetILNS1_3genE10ELNS1_11target_archE1200ELNS1_3gpuE4ELNS1_3repE0EEENS1_30default_config_static_selectorELNS0_4arch9wavefront6targetE0EEEvSZ_
	.p2align	8
	.type	_ZN7rocprim17ROCPRIM_400000_NS6detail17trampoline_kernelINS0_13select_configILj256ELj13ELNS0_17block_load_methodE3ELS4_3ELS4_3ELNS0_20block_scan_algorithmE0ELj4294967295EEENS1_25partition_config_selectorILNS1_17partition_subalgoE3EjNS0_10empty_typeEbEEZZNS1_14partition_implILS8_3ELb0ES6_jNS0_17counting_iteratorIjlEEPS9_SE_NS0_5tupleIJPjSE_EEENSF_IJSE_SE_EEES9_SG_JZNS1_25segmented_radix_sort_implINS0_14default_configELb1EPK12hip_bfloat16PSL_PKlPlN2at6native12_GLOBAL__N_18offset_tEEE10hipError_tPvRmT1_PNSt15iterator_traitsISZ_E10value_typeET2_T3_PNS10_IS15_E10value_typeET4_jRbjT5_S1B_jjP12ihipStream_tbEUljE_EEESW_SX_SY_S15_S19_S1B_T6_T7_T9_mT8_S1D_bDpT10_ENKUlT_T0_E_clISt17integral_constantIbLb0EES1P_IbLb1EEEEDaS1L_S1M_EUlS1L_E_NS1_11comp_targetILNS1_3genE10ELNS1_11target_archE1200ELNS1_3gpuE4ELNS1_3repE0EEENS1_30default_config_static_selectorELNS0_4arch9wavefront6targetE0EEEvSZ_,@function
_ZN7rocprim17ROCPRIM_400000_NS6detail17trampoline_kernelINS0_13select_configILj256ELj13ELNS0_17block_load_methodE3ELS4_3ELS4_3ELNS0_20block_scan_algorithmE0ELj4294967295EEENS1_25partition_config_selectorILNS1_17partition_subalgoE3EjNS0_10empty_typeEbEEZZNS1_14partition_implILS8_3ELb0ES6_jNS0_17counting_iteratorIjlEEPS9_SE_NS0_5tupleIJPjSE_EEENSF_IJSE_SE_EEES9_SG_JZNS1_25segmented_radix_sort_implINS0_14default_configELb1EPK12hip_bfloat16PSL_PKlPlN2at6native12_GLOBAL__N_18offset_tEEE10hipError_tPvRmT1_PNSt15iterator_traitsISZ_E10value_typeET2_T3_PNS10_IS15_E10value_typeET4_jRbjT5_S1B_jjP12ihipStream_tbEUljE_EEESW_SX_SY_S15_S19_S1B_T6_T7_T9_mT8_S1D_bDpT10_ENKUlT_T0_E_clISt17integral_constantIbLb0EES1P_IbLb1EEEEDaS1L_S1M_EUlS1L_E_NS1_11comp_targetILNS1_3genE10ELNS1_11target_archE1200ELNS1_3gpuE4ELNS1_3repE0EEENS1_30default_config_static_selectorELNS0_4arch9wavefront6targetE0EEEvSZ_: ; @_ZN7rocprim17ROCPRIM_400000_NS6detail17trampoline_kernelINS0_13select_configILj256ELj13ELNS0_17block_load_methodE3ELS4_3ELS4_3ELNS0_20block_scan_algorithmE0ELj4294967295EEENS1_25partition_config_selectorILNS1_17partition_subalgoE3EjNS0_10empty_typeEbEEZZNS1_14partition_implILS8_3ELb0ES6_jNS0_17counting_iteratorIjlEEPS9_SE_NS0_5tupleIJPjSE_EEENSF_IJSE_SE_EEES9_SG_JZNS1_25segmented_radix_sort_implINS0_14default_configELb1EPK12hip_bfloat16PSL_PKlPlN2at6native12_GLOBAL__N_18offset_tEEE10hipError_tPvRmT1_PNSt15iterator_traitsISZ_E10value_typeET2_T3_PNS10_IS15_E10value_typeET4_jRbjT5_S1B_jjP12ihipStream_tbEUljE_EEESW_SX_SY_S15_S19_S1B_T6_T7_T9_mT8_S1D_bDpT10_ENKUlT_T0_E_clISt17integral_constantIbLb0EES1P_IbLb1EEEEDaS1L_S1M_EUlS1L_E_NS1_11comp_targetILNS1_3genE10ELNS1_11target_archE1200ELNS1_3gpuE4ELNS1_3repE0EEENS1_30default_config_static_selectorELNS0_4arch9wavefront6targetE0EEEvSZ_
; %bb.0:
	.section	.rodata,"a",@progbits
	.p2align	6, 0x0
	.amdhsa_kernel _ZN7rocprim17ROCPRIM_400000_NS6detail17trampoline_kernelINS0_13select_configILj256ELj13ELNS0_17block_load_methodE3ELS4_3ELS4_3ELNS0_20block_scan_algorithmE0ELj4294967295EEENS1_25partition_config_selectorILNS1_17partition_subalgoE3EjNS0_10empty_typeEbEEZZNS1_14partition_implILS8_3ELb0ES6_jNS0_17counting_iteratorIjlEEPS9_SE_NS0_5tupleIJPjSE_EEENSF_IJSE_SE_EEES9_SG_JZNS1_25segmented_radix_sort_implINS0_14default_configELb1EPK12hip_bfloat16PSL_PKlPlN2at6native12_GLOBAL__N_18offset_tEEE10hipError_tPvRmT1_PNSt15iterator_traitsISZ_E10value_typeET2_T3_PNS10_IS15_E10value_typeET4_jRbjT5_S1B_jjP12ihipStream_tbEUljE_EEESW_SX_SY_S15_S19_S1B_T6_T7_T9_mT8_S1D_bDpT10_ENKUlT_T0_E_clISt17integral_constantIbLb0EES1P_IbLb1EEEEDaS1L_S1M_EUlS1L_E_NS1_11comp_targetILNS1_3genE10ELNS1_11target_archE1200ELNS1_3gpuE4ELNS1_3repE0EEENS1_30default_config_static_selectorELNS0_4arch9wavefront6targetE0EEEvSZ_
		.amdhsa_group_segment_fixed_size 0
		.amdhsa_private_segment_fixed_size 0
		.amdhsa_kernarg_size 152
		.amdhsa_user_sgpr_count 2
		.amdhsa_user_sgpr_dispatch_ptr 0
		.amdhsa_user_sgpr_queue_ptr 0
		.amdhsa_user_sgpr_kernarg_segment_ptr 1
		.amdhsa_user_sgpr_dispatch_id 0
		.amdhsa_user_sgpr_kernarg_preload_length 0
		.amdhsa_user_sgpr_kernarg_preload_offset 0
		.amdhsa_user_sgpr_private_segment_size 0
		.amdhsa_wavefront_size32 1
		.amdhsa_uses_dynamic_stack 0
		.amdhsa_enable_private_segment 0
		.amdhsa_system_sgpr_workgroup_id_x 1
		.amdhsa_system_sgpr_workgroup_id_y 0
		.amdhsa_system_sgpr_workgroup_id_z 0
		.amdhsa_system_sgpr_workgroup_info 0
		.amdhsa_system_vgpr_workitem_id 0
		.amdhsa_next_free_vgpr 1
		.amdhsa_next_free_sgpr 1
		.amdhsa_named_barrier_count 0
		.amdhsa_reserve_vcc 0
		.amdhsa_float_round_mode_32 0
		.amdhsa_float_round_mode_16_64 0
		.amdhsa_float_denorm_mode_32 3
		.amdhsa_float_denorm_mode_16_64 3
		.amdhsa_fp16_overflow 0
		.amdhsa_memory_ordered 1
		.amdhsa_forward_progress 1
		.amdhsa_inst_pref_size 0
		.amdhsa_round_robin_scheduling 0
		.amdhsa_exception_fp_ieee_invalid_op 0
		.amdhsa_exception_fp_denorm_src 0
		.amdhsa_exception_fp_ieee_div_zero 0
		.amdhsa_exception_fp_ieee_overflow 0
		.amdhsa_exception_fp_ieee_underflow 0
		.amdhsa_exception_fp_ieee_inexact 0
		.amdhsa_exception_int_div_zero 0
	.end_amdhsa_kernel
	.section	.text._ZN7rocprim17ROCPRIM_400000_NS6detail17trampoline_kernelINS0_13select_configILj256ELj13ELNS0_17block_load_methodE3ELS4_3ELS4_3ELNS0_20block_scan_algorithmE0ELj4294967295EEENS1_25partition_config_selectorILNS1_17partition_subalgoE3EjNS0_10empty_typeEbEEZZNS1_14partition_implILS8_3ELb0ES6_jNS0_17counting_iteratorIjlEEPS9_SE_NS0_5tupleIJPjSE_EEENSF_IJSE_SE_EEES9_SG_JZNS1_25segmented_radix_sort_implINS0_14default_configELb1EPK12hip_bfloat16PSL_PKlPlN2at6native12_GLOBAL__N_18offset_tEEE10hipError_tPvRmT1_PNSt15iterator_traitsISZ_E10value_typeET2_T3_PNS10_IS15_E10value_typeET4_jRbjT5_S1B_jjP12ihipStream_tbEUljE_EEESW_SX_SY_S15_S19_S1B_T6_T7_T9_mT8_S1D_bDpT10_ENKUlT_T0_E_clISt17integral_constantIbLb0EES1P_IbLb1EEEEDaS1L_S1M_EUlS1L_E_NS1_11comp_targetILNS1_3genE10ELNS1_11target_archE1200ELNS1_3gpuE4ELNS1_3repE0EEENS1_30default_config_static_selectorELNS0_4arch9wavefront6targetE0EEEvSZ_,"axG",@progbits,_ZN7rocprim17ROCPRIM_400000_NS6detail17trampoline_kernelINS0_13select_configILj256ELj13ELNS0_17block_load_methodE3ELS4_3ELS4_3ELNS0_20block_scan_algorithmE0ELj4294967295EEENS1_25partition_config_selectorILNS1_17partition_subalgoE3EjNS0_10empty_typeEbEEZZNS1_14partition_implILS8_3ELb0ES6_jNS0_17counting_iteratorIjlEEPS9_SE_NS0_5tupleIJPjSE_EEENSF_IJSE_SE_EEES9_SG_JZNS1_25segmented_radix_sort_implINS0_14default_configELb1EPK12hip_bfloat16PSL_PKlPlN2at6native12_GLOBAL__N_18offset_tEEE10hipError_tPvRmT1_PNSt15iterator_traitsISZ_E10value_typeET2_T3_PNS10_IS15_E10value_typeET4_jRbjT5_S1B_jjP12ihipStream_tbEUljE_EEESW_SX_SY_S15_S19_S1B_T6_T7_T9_mT8_S1D_bDpT10_ENKUlT_T0_E_clISt17integral_constantIbLb0EES1P_IbLb1EEEEDaS1L_S1M_EUlS1L_E_NS1_11comp_targetILNS1_3genE10ELNS1_11target_archE1200ELNS1_3gpuE4ELNS1_3repE0EEENS1_30default_config_static_selectorELNS0_4arch9wavefront6targetE0EEEvSZ_,comdat
.Lfunc_end1933:
	.size	_ZN7rocprim17ROCPRIM_400000_NS6detail17trampoline_kernelINS0_13select_configILj256ELj13ELNS0_17block_load_methodE3ELS4_3ELS4_3ELNS0_20block_scan_algorithmE0ELj4294967295EEENS1_25partition_config_selectorILNS1_17partition_subalgoE3EjNS0_10empty_typeEbEEZZNS1_14partition_implILS8_3ELb0ES6_jNS0_17counting_iteratorIjlEEPS9_SE_NS0_5tupleIJPjSE_EEENSF_IJSE_SE_EEES9_SG_JZNS1_25segmented_radix_sort_implINS0_14default_configELb1EPK12hip_bfloat16PSL_PKlPlN2at6native12_GLOBAL__N_18offset_tEEE10hipError_tPvRmT1_PNSt15iterator_traitsISZ_E10value_typeET2_T3_PNS10_IS15_E10value_typeET4_jRbjT5_S1B_jjP12ihipStream_tbEUljE_EEESW_SX_SY_S15_S19_S1B_T6_T7_T9_mT8_S1D_bDpT10_ENKUlT_T0_E_clISt17integral_constantIbLb0EES1P_IbLb1EEEEDaS1L_S1M_EUlS1L_E_NS1_11comp_targetILNS1_3genE10ELNS1_11target_archE1200ELNS1_3gpuE4ELNS1_3repE0EEENS1_30default_config_static_selectorELNS0_4arch9wavefront6targetE0EEEvSZ_, .Lfunc_end1933-_ZN7rocprim17ROCPRIM_400000_NS6detail17trampoline_kernelINS0_13select_configILj256ELj13ELNS0_17block_load_methodE3ELS4_3ELS4_3ELNS0_20block_scan_algorithmE0ELj4294967295EEENS1_25partition_config_selectorILNS1_17partition_subalgoE3EjNS0_10empty_typeEbEEZZNS1_14partition_implILS8_3ELb0ES6_jNS0_17counting_iteratorIjlEEPS9_SE_NS0_5tupleIJPjSE_EEENSF_IJSE_SE_EEES9_SG_JZNS1_25segmented_radix_sort_implINS0_14default_configELb1EPK12hip_bfloat16PSL_PKlPlN2at6native12_GLOBAL__N_18offset_tEEE10hipError_tPvRmT1_PNSt15iterator_traitsISZ_E10value_typeET2_T3_PNS10_IS15_E10value_typeET4_jRbjT5_S1B_jjP12ihipStream_tbEUljE_EEESW_SX_SY_S15_S19_S1B_T6_T7_T9_mT8_S1D_bDpT10_ENKUlT_T0_E_clISt17integral_constantIbLb0EES1P_IbLb1EEEEDaS1L_S1M_EUlS1L_E_NS1_11comp_targetILNS1_3genE10ELNS1_11target_archE1200ELNS1_3gpuE4ELNS1_3repE0EEENS1_30default_config_static_selectorELNS0_4arch9wavefront6targetE0EEEvSZ_
                                        ; -- End function
	.set _ZN7rocprim17ROCPRIM_400000_NS6detail17trampoline_kernelINS0_13select_configILj256ELj13ELNS0_17block_load_methodE3ELS4_3ELS4_3ELNS0_20block_scan_algorithmE0ELj4294967295EEENS1_25partition_config_selectorILNS1_17partition_subalgoE3EjNS0_10empty_typeEbEEZZNS1_14partition_implILS8_3ELb0ES6_jNS0_17counting_iteratorIjlEEPS9_SE_NS0_5tupleIJPjSE_EEENSF_IJSE_SE_EEES9_SG_JZNS1_25segmented_radix_sort_implINS0_14default_configELb1EPK12hip_bfloat16PSL_PKlPlN2at6native12_GLOBAL__N_18offset_tEEE10hipError_tPvRmT1_PNSt15iterator_traitsISZ_E10value_typeET2_T3_PNS10_IS15_E10value_typeET4_jRbjT5_S1B_jjP12ihipStream_tbEUljE_EEESW_SX_SY_S15_S19_S1B_T6_T7_T9_mT8_S1D_bDpT10_ENKUlT_T0_E_clISt17integral_constantIbLb0EES1P_IbLb1EEEEDaS1L_S1M_EUlS1L_E_NS1_11comp_targetILNS1_3genE10ELNS1_11target_archE1200ELNS1_3gpuE4ELNS1_3repE0EEENS1_30default_config_static_selectorELNS0_4arch9wavefront6targetE0EEEvSZ_.num_vgpr, 0
	.set _ZN7rocprim17ROCPRIM_400000_NS6detail17trampoline_kernelINS0_13select_configILj256ELj13ELNS0_17block_load_methodE3ELS4_3ELS4_3ELNS0_20block_scan_algorithmE0ELj4294967295EEENS1_25partition_config_selectorILNS1_17partition_subalgoE3EjNS0_10empty_typeEbEEZZNS1_14partition_implILS8_3ELb0ES6_jNS0_17counting_iteratorIjlEEPS9_SE_NS0_5tupleIJPjSE_EEENSF_IJSE_SE_EEES9_SG_JZNS1_25segmented_radix_sort_implINS0_14default_configELb1EPK12hip_bfloat16PSL_PKlPlN2at6native12_GLOBAL__N_18offset_tEEE10hipError_tPvRmT1_PNSt15iterator_traitsISZ_E10value_typeET2_T3_PNS10_IS15_E10value_typeET4_jRbjT5_S1B_jjP12ihipStream_tbEUljE_EEESW_SX_SY_S15_S19_S1B_T6_T7_T9_mT8_S1D_bDpT10_ENKUlT_T0_E_clISt17integral_constantIbLb0EES1P_IbLb1EEEEDaS1L_S1M_EUlS1L_E_NS1_11comp_targetILNS1_3genE10ELNS1_11target_archE1200ELNS1_3gpuE4ELNS1_3repE0EEENS1_30default_config_static_selectorELNS0_4arch9wavefront6targetE0EEEvSZ_.num_agpr, 0
	.set _ZN7rocprim17ROCPRIM_400000_NS6detail17trampoline_kernelINS0_13select_configILj256ELj13ELNS0_17block_load_methodE3ELS4_3ELS4_3ELNS0_20block_scan_algorithmE0ELj4294967295EEENS1_25partition_config_selectorILNS1_17partition_subalgoE3EjNS0_10empty_typeEbEEZZNS1_14partition_implILS8_3ELb0ES6_jNS0_17counting_iteratorIjlEEPS9_SE_NS0_5tupleIJPjSE_EEENSF_IJSE_SE_EEES9_SG_JZNS1_25segmented_radix_sort_implINS0_14default_configELb1EPK12hip_bfloat16PSL_PKlPlN2at6native12_GLOBAL__N_18offset_tEEE10hipError_tPvRmT1_PNSt15iterator_traitsISZ_E10value_typeET2_T3_PNS10_IS15_E10value_typeET4_jRbjT5_S1B_jjP12ihipStream_tbEUljE_EEESW_SX_SY_S15_S19_S1B_T6_T7_T9_mT8_S1D_bDpT10_ENKUlT_T0_E_clISt17integral_constantIbLb0EES1P_IbLb1EEEEDaS1L_S1M_EUlS1L_E_NS1_11comp_targetILNS1_3genE10ELNS1_11target_archE1200ELNS1_3gpuE4ELNS1_3repE0EEENS1_30default_config_static_selectorELNS0_4arch9wavefront6targetE0EEEvSZ_.numbered_sgpr, 0
	.set _ZN7rocprim17ROCPRIM_400000_NS6detail17trampoline_kernelINS0_13select_configILj256ELj13ELNS0_17block_load_methodE3ELS4_3ELS4_3ELNS0_20block_scan_algorithmE0ELj4294967295EEENS1_25partition_config_selectorILNS1_17partition_subalgoE3EjNS0_10empty_typeEbEEZZNS1_14partition_implILS8_3ELb0ES6_jNS0_17counting_iteratorIjlEEPS9_SE_NS0_5tupleIJPjSE_EEENSF_IJSE_SE_EEES9_SG_JZNS1_25segmented_radix_sort_implINS0_14default_configELb1EPK12hip_bfloat16PSL_PKlPlN2at6native12_GLOBAL__N_18offset_tEEE10hipError_tPvRmT1_PNSt15iterator_traitsISZ_E10value_typeET2_T3_PNS10_IS15_E10value_typeET4_jRbjT5_S1B_jjP12ihipStream_tbEUljE_EEESW_SX_SY_S15_S19_S1B_T6_T7_T9_mT8_S1D_bDpT10_ENKUlT_T0_E_clISt17integral_constantIbLb0EES1P_IbLb1EEEEDaS1L_S1M_EUlS1L_E_NS1_11comp_targetILNS1_3genE10ELNS1_11target_archE1200ELNS1_3gpuE4ELNS1_3repE0EEENS1_30default_config_static_selectorELNS0_4arch9wavefront6targetE0EEEvSZ_.num_named_barrier, 0
	.set _ZN7rocprim17ROCPRIM_400000_NS6detail17trampoline_kernelINS0_13select_configILj256ELj13ELNS0_17block_load_methodE3ELS4_3ELS4_3ELNS0_20block_scan_algorithmE0ELj4294967295EEENS1_25partition_config_selectorILNS1_17partition_subalgoE3EjNS0_10empty_typeEbEEZZNS1_14partition_implILS8_3ELb0ES6_jNS0_17counting_iteratorIjlEEPS9_SE_NS0_5tupleIJPjSE_EEENSF_IJSE_SE_EEES9_SG_JZNS1_25segmented_radix_sort_implINS0_14default_configELb1EPK12hip_bfloat16PSL_PKlPlN2at6native12_GLOBAL__N_18offset_tEEE10hipError_tPvRmT1_PNSt15iterator_traitsISZ_E10value_typeET2_T3_PNS10_IS15_E10value_typeET4_jRbjT5_S1B_jjP12ihipStream_tbEUljE_EEESW_SX_SY_S15_S19_S1B_T6_T7_T9_mT8_S1D_bDpT10_ENKUlT_T0_E_clISt17integral_constantIbLb0EES1P_IbLb1EEEEDaS1L_S1M_EUlS1L_E_NS1_11comp_targetILNS1_3genE10ELNS1_11target_archE1200ELNS1_3gpuE4ELNS1_3repE0EEENS1_30default_config_static_selectorELNS0_4arch9wavefront6targetE0EEEvSZ_.private_seg_size, 0
	.set _ZN7rocprim17ROCPRIM_400000_NS6detail17trampoline_kernelINS0_13select_configILj256ELj13ELNS0_17block_load_methodE3ELS4_3ELS4_3ELNS0_20block_scan_algorithmE0ELj4294967295EEENS1_25partition_config_selectorILNS1_17partition_subalgoE3EjNS0_10empty_typeEbEEZZNS1_14partition_implILS8_3ELb0ES6_jNS0_17counting_iteratorIjlEEPS9_SE_NS0_5tupleIJPjSE_EEENSF_IJSE_SE_EEES9_SG_JZNS1_25segmented_radix_sort_implINS0_14default_configELb1EPK12hip_bfloat16PSL_PKlPlN2at6native12_GLOBAL__N_18offset_tEEE10hipError_tPvRmT1_PNSt15iterator_traitsISZ_E10value_typeET2_T3_PNS10_IS15_E10value_typeET4_jRbjT5_S1B_jjP12ihipStream_tbEUljE_EEESW_SX_SY_S15_S19_S1B_T6_T7_T9_mT8_S1D_bDpT10_ENKUlT_T0_E_clISt17integral_constantIbLb0EES1P_IbLb1EEEEDaS1L_S1M_EUlS1L_E_NS1_11comp_targetILNS1_3genE10ELNS1_11target_archE1200ELNS1_3gpuE4ELNS1_3repE0EEENS1_30default_config_static_selectorELNS0_4arch9wavefront6targetE0EEEvSZ_.uses_vcc, 0
	.set _ZN7rocprim17ROCPRIM_400000_NS6detail17trampoline_kernelINS0_13select_configILj256ELj13ELNS0_17block_load_methodE3ELS4_3ELS4_3ELNS0_20block_scan_algorithmE0ELj4294967295EEENS1_25partition_config_selectorILNS1_17partition_subalgoE3EjNS0_10empty_typeEbEEZZNS1_14partition_implILS8_3ELb0ES6_jNS0_17counting_iteratorIjlEEPS9_SE_NS0_5tupleIJPjSE_EEENSF_IJSE_SE_EEES9_SG_JZNS1_25segmented_radix_sort_implINS0_14default_configELb1EPK12hip_bfloat16PSL_PKlPlN2at6native12_GLOBAL__N_18offset_tEEE10hipError_tPvRmT1_PNSt15iterator_traitsISZ_E10value_typeET2_T3_PNS10_IS15_E10value_typeET4_jRbjT5_S1B_jjP12ihipStream_tbEUljE_EEESW_SX_SY_S15_S19_S1B_T6_T7_T9_mT8_S1D_bDpT10_ENKUlT_T0_E_clISt17integral_constantIbLb0EES1P_IbLb1EEEEDaS1L_S1M_EUlS1L_E_NS1_11comp_targetILNS1_3genE10ELNS1_11target_archE1200ELNS1_3gpuE4ELNS1_3repE0EEENS1_30default_config_static_selectorELNS0_4arch9wavefront6targetE0EEEvSZ_.uses_flat_scratch, 0
	.set _ZN7rocprim17ROCPRIM_400000_NS6detail17trampoline_kernelINS0_13select_configILj256ELj13ELNS0_17block_load_methodE3ELS4_3ELS4_3ELNS0_20block_scan_algorithmE0ELj4294967295EEENS1_25partition_config_selectorILNS1_17partition_subalgoE3EjNS0_10empty_typeEbEEZZNS1_14partition_implILS8_3ELb0ES6_jNS0_17counting_iteratorIjlEEPS9_SE_NS0_5tupleIJPjSE_EEENSF_IJSE_SE_EEES9_SG_JZNS1_25segmented_radix_sort_implINS0_14default_configELb1EPK12hip_bfloat16PSL_PKlPlN2at6native12_GLOBAL__N_18offset_tEEE10hipError_tPvRmT1_PNSt15iterator_traitsISZ_E10value_typeET2_T3_PNS10_IS15_E10value_typeET4_jRbjT5_S1B_jjP12ihipStream_tbEUljE_EEESW_SX_SY_S15_S19_S1B_T6_T7_T9_mT8_S1D_bDpT10_ENKUlT_T0_E_clISt17integral_constantIbLb0EES1P_IbLb1EEEEDaS1L_S1M_EUlS1L_E_NS1_11comp_targetILNS1_3genE10ELNS1_11target_archE1200ELNS1_3gpuE4ELNS1_3repE0EEENS1_30default_config_static_selectorELNS0_4arch9wavefront6targetE0EEEvSZ_.has_dyn_sized_stack, 0
	.set _ZN7rocprim17ROCPRIM_400000_NS6detail17trampoline_kernelINS0_13select_configILj256ELj13ELNS0_17block_load_methodE3ELS4_3ELS4_3ELNS0_20block_scan_algorithmE0ELj4294967295EEENS1_25partition_config_selectorILNS1_17partition_subalgoE3EjNS0_10empty_typeEbEEZZNS1_14partition_implILS8_3ELb0ES6_jNS0_17counting_iteratorIjlEEPS9_SE_NS0_5tupleIJPjSE_EEENSF_IJSE_SE_EEES9_SG_JZNS1_25segmented_radix_sort_implINS0_14default_configELb1EPK12hip_bfloat16PSL_PKlPlN2at6native12_GLOBAL__N_18offset_tEEE10hipError_tPvRmT1_PNSt15iterator_traitsISZ_E10value_typeET2_T3_PNS10_IS15_E10value_typeET4_jRbjT5_S1B_jjP12ihipStream_tbEUljE_EEESW_SX_SY_S15_S19_S1B_T6_T7_T9_mT8_S1D_bDpT10_ENKUlT_T0_E_clISt17integral_constantIbLb0EES1P_IbLb1EEEEDaS1L_S1M_EUlS1L_E_NS1_11comp_targetILNS1_3genE10ELNS1_11target_archE1200ELNS1_3gpuE4ELNS1_3repE0EEENS1_30default_config_static_selectorELNS0_4arch9wavefront6targetE0EEEvSZ_.has_recursion, 0
	.set _ZN7rocprim17ROCPRIM_400000_NS6detail17trampoline_kernelINS0_13select_configILj256ELj13ELNS0_17block_load_methodE3ELS4_3ELS4_3ELNS0_20block_scan_algorithmE0ELj4294967295EEENS1_25partition_config_selectorILNS1_17partition_subalgoE3EjNS0_10empty_typeEbEEZZNS1_14partition_implILS8_3ELb0ES6_jNS0_17counting_iteratorIjlEEPS9_SE_NS0_5tupleIJPjSE_EEENSF_IJSE_SE_EEES9_SG_JZNS1_25segmented_radix_sort_implINS0_14default_configELb1EPK12hip_bfloat16PSL_PKlPlN2at6native12_GLOBAL__N_18offset_tEEE10hipError_tPvRmT1_PNSt15iterator_traitsISZ_E10value_typeET2_T3_PNS10_IS15_E10value_typeET4_jRbjT5_S1B_jjP12ihipStream_tbEUljE_EEESW_SX_SY_S15_S19_S1B_T6_T7_T9_mT8_S1D_bDpT10_ENKUlT_T0_E_clISt17integral_constantIbLb0EES1P_IbLb1EEEEDaS1L_S1M_EUlS1L_E_NS1_11comp_targetILNS1_3genE10ELNS1_11target_archE1200ELNS1_3gpuE4ELNS1_3repE0EEENS1_30default_config_static_selectorELNS0_4arch9wavefront6targetE0EEEvSZ_.has_indirect_call, 0
	.section	.AMDGPU.csdata,"",@progbits
; Kernel info:
; codeLenInByte = 0
; TotalNumSgprs: 0
; NumVgprs: 0
; ScratchSize: 0
; MemoryBound: 0
; FloatMode: 240
; IeeeMode: 1
; LDSByteSize: 0 bytes/workgroup (compile time only)
; SGPRBlocks: 0
; VGPRBlocks: 0
; NumSGPRsForWavesPerEU: 1
; NumVGPRsForWavesPerEU: 1
; NamedBarCnt: 0
; Occupancy: 16
; WaveLimiterHint : 0
; COMPUTE_PGM_RSRC2:SCRATCH_EN: 0
; COMPUTE_PGM_RSRC2:USER_SGPR: 2
; COMPUTE_PGM_RSRC2:TRAP_HANDLER: 0
; COMPUTE_PGM_RSRC2:TGID_X_EN: 1
; COMPUTE_PGM_RSRC2:TGID_Y_EN: 0
; COMPUTE_PGM_RSRC2:TGID_Z_EN: 0
; COMPUTE_PGM_RSRC2:TIDIG_COMP_CNT: 0
	.section	.text._ZN7rocprim17ROCPRIM_400000_NS6detail17trampoline_kernelINS0_13select_configILj256ELj13ELNS0_17block_load_methodE3ELS4_3ELS4_3ELNS0_20block_scan_algorithmE0ELj4294967295EEENS1_25partition_config_selectorILNS1_17partition_subalgoE3EjNS0_10empty_typeEbEEZZNS1_14partition_implILS8_3ELb0ES6_jNS0_17counting_iteratorIjlEEPS9_SE_NS0_5tupleIJPjSE_EEENSF_IJSE_SE_EEES9_SG_JZNS1_25segmented_radix_sort_implINS0_14default_configELb1EPK12hip_bfloat16PSL_PKlPlN2at6native12_GLOBAL__N_18offset_tEEE10hipError_tPvRmT1_PNSt15iterator_traitsISZ_E10value_typeET2_T3_PNS10_IS15_E10value_typeET4_jRbjT5_S1B_jjP12ihipStream_tbEUljE_EEESW_SX_SY_S15_S19_S1B_T6_T7_T9_mT8_S1D_bDpT10_ENKUlT_T0_E_clISt17integral_constantIbLb0EES1P_IbLb1EEEEDaS1L_S1M_EUlS1L_E_NS1_11comp_targetILNS1_3genE9ELNS1_11target_archE1100ELNS1_3gpuE3ELNS1_3repE0EEENS1_30default_config_static_selectorELNS0_4arch9wavefront6targetE0EEEvSZ_,"axG",@progbits,_ZN7rocprim17ROCPRIM_400000_NS6detail17trampoline_kernelINS0_13select_configILj256ELj13ELNS0_17block_load_methodE3ELS4_3ELS4_3ELNS0_20block_scan_algorithmE0ELj4294967295EEENS1_25partition_config_selectorILNS1_17partition_subalgoE3EjNS0_10empty_typeEbEEZZNS1_14partition_implILS8_3ELb0ES6_jNS0_17counting_iteratorIjlEEPS9_SE_NS0_5tupleIJPjSE_EEENSF_IJSE_SE_EEES9_SG_JZNS1_25segmented_radix_sort_implINS0_14default_configELb1EPK12hip_bfloat16PSL_PKlPlN2at6native12_GLOBAL__N_18offset_tEEE10hipError_tPvRmT1_PNSt15iterator_traitsISZ_E10value_typeET2_T3_PNS10_IS15_E10value_typeET4_jRbjT5_S1B_jjP12ihipStream_tbEUljE_EEESW_SX_SY_S15_S19_S1B_T6_T7_T9_mT8_S1D_bDpT10_ENKUlT_T0_E_clISt17integral_constantIbLb0EES1P_IbLb1EEEEDaS1L_S1M_EUlS1L_E_NS1_11comp_targetILNS1_3genE9ELNS1_11target_archE1100ELNS1_3gpuE3ELNS1_3repE0EEENS1_30default_config_static_selectorELNS0_4arch9wavefront6targetE0EEEvSZ_,comdat
	.globl	_ZN7rocprim17ROCPRIM_400000_NS6detail17trampoline_kernelINS0_13select_configILj256ELj13ELNS0_17block_load_methodE3ELS4_3ELS4_3ELNS0_20block_scan_algorithmE0ELj4294967295EEENS1_25partition_config_selectorILNS1_17partition_subalgoE3EjNS0_10empty_typeEbEEZZNS1_14partition_implILS8_3ELb0ES6_jNS0_17counting_iteratorIjlEEPS9_SE_NS0_5tupleIJPjSE_EEENSF_IJSE_SE_EEES9_SG_JZNS1_25segmented_radix_sort_implINS0_14default_configELb1EPK12hip_bfloat16PSL_PKlPlN2at6native12_GLOBAL__N_18offset_tEEE10hipError_tPvRmT1_PNSt15iterator_traitsISZ_E10value_typeET2_T3_PNS10_IS15_E10value_typeET4_jRbjT5_S1B_jjP12ihipStream_tbEUljE_EEESW_SX_SY_S15_S19_S1B_T6_T7_T9_mT8_S1D_bDpT10_ENKUlT_T0_E_clISt17integral_constantIbLb0EES1P_IbLb1EEEEDaS1L_S1M_EUlS1L_E_NS1_11comp_targetILNS1_3genE9ELNS1_11target_archE1100ELNS1_3gpuE3ELNS1_3repE0EEENS1_30default_config_static_selectorELNS0_4arch9wavefront6targetE0EEEvSZ_ ; -- Begin function _ZN7rocprim17ROCPRIM_400000_NS6detail17trampoline_kernelINS0_13select_configILj256ELj13ELNS0_17block_load_methodE3ELS4_3ELS4_3ELNS0_20block_scan_algorithmE0ELj4294967295EEENS1_25partition_config_selectorILNS1_17partition_subalgoE3EjNS0_10empty_typeEbEEZZNS1_14partition_implILS8_3ELb0ES6_jNS0_17counting_iteratorIjlEEPS9_SE_NS0_5tupleIJPjSE_EEENSF_IJSE_SE_EEES9_SG_JZNS1_25segmented_radix_sort_implINS0_14default_configELb1EPK12hip_bfloat16PSL_PKlPlN2at6native12_GLOBAL__N_18offset_tEEE10hipError_tPvRmT1_PNSt15iterator_traitsISZ_E10value_typeET2_T3_PNS10_IS15_E10value_typeET4_jRbjT5_S1B_jjP12ihipStream_tbEUljE_EEESW_SX_SY_S15_S19_S1B_T6_T7_T9_mT8_S1D_bDpT10_ENKUlT_T0_E_clISt17integral_constantIbLb0EES1P_IbLb1EEEEDaS1L_S1M_EUlS1L_E_NS1_11comp_targetILNS1_3genE9ELNS1_11target_archE1100ELNS1_3gpuE3ELNS1_3repE0EEENS1_30default_config_static_selectorELNS0_4arch9wavefront6targetE0EEEvSZ_
	.p2align	8
	.type	_ZN7rocprim17ROCPRIM_400000_NS6detail17trampoline_kernelINS0_13select_configILj256ELj13ELNS0_17block_load_methodE3ELS4_3ELS4_3ELNS0_20block_scan_algorithmE0ELj4294967295EEENS1_25partition_config_selectorILNS1_17partition_subalgoE3EjNS0_10empty_typeEbEEZZNS1_14partition_implILS8_3ELb0ES6_jNS0_17counting_iteratorIjlEEPS9_SE_NS0_5tupleIJPjSE_EEENSF_IJSE_SE_EEES9_SG_JZNS1_25segmented_radix_sort_implINS0_14default_configELb1EPK12hip_bfloat16PSL_PKlPlN2at6native12_GLOBAL__N_18offset_tEEE10hipError_tPvRmT1_PNSt15iterator_traitsISZ_E10value_typeET2_T3_PNS10_IS15_E10value_typeET4_jRbjT5_S1B_jjP12ihipStream_tbEUljE_EEESW_SX_SY_S15_S19_S1B_T6_T7_T9_mT8_S1D_bDpT10_ENKUlT_T0_E_clISt17integral_constantIbLb0EES1P_IbLb1EEEEDaS1L_S1M_EUlS1L_E_NS1_11comp_targetILNS1_3genE9ELNS1_11target_archE1100ELNS1_3gpuE3ELNS1_3repE0EEENS1_30default_config_static_selectorELNS0_4arch9wavefront6targetE0EEEvSZ_,@function
_ZN7rocprim17ROCPRIM_400000_NS6detail17trampoline_kernelINS0_13select_configILj256ELj13ELNS0_17block_load_methodE3ELS4_3ELS4_3ELNS0_20block_scan_algorithmE0ELj4294967295EEENS1_25partition_config_selectorILNS1_17partition_subalgoE3EjNS0_10empty_typeEbEEZZNS1_14partition_implILS8_3ELb0ES6_jNS0_17counting_iteratorIjlEEPS9_SE_NS0_5tupleIJPjSE_EEENSF_IJSE_SE_EEES9_SG_JZNS1_25segmented_radix_sort_implINS0_14default_configELb1EPK12hip_bfloat16PSL_PKlPlN2at6native12_GLOBAL__N_18offset_tEEE10hipError_tPvRmT1_PNSt15iterator_traitsISZ_E10value_typeET2_T3_PNS10_IS15_E10value_typeET4_jRbjT5_S1B_jjP12ihipStream_tbEUljE_EEESW_SX_SY_S15_S19_S1B_T6_T7_T9_mT8_S1D_bDpT10_ENKUlT_T0_E_clISt17integral_constantIbLb0EES1P_IbLb1EEEEDaS1L_S1M_EUlS1L_E_NS1_11comp_targetILNS1_3genE9ELNS1_11target_archE1100ELNS1_3gpuE3ELNS1_3repE0EEENS1_30default_config_static_selectorELNS0_4arch9wavefront6targetE0EEEvSZ_: ; @_ZN7rocprim17ROCPRIM_400000_NS6detail17trampoline_kernelINS0_13select_configILj256ELj13ELNS0_17block_load_methodE3ELS4_3ELS4_3ELNS0_20block_scan_algorithmE0ELj4294967295EEENS1_25partition_config_selectorILNS1_17partition_subalgoE3EjNS0_10empty_typeEbEEZZNS1_14partition_implILS8_3ELb0ES6_jNS0_17counting_iteratorIjlEEPS9_SE_NS0_5tupleIJPjSE_EEENSF_IJSE_SE_EEES9_SG_JZNS1_25segmented_radix_sort_implINS0_14default_configELb1EPK12hip_bfloat16PSL_PKlPlN2at6native12_GLOBAL__N_18offset_tEEE10hipError_tPvRmT1_PNSt15iterator_traitsISZ_E10value_typeET2_T3_PNS10_IS15_E10value_typeET4_jRbjT5_S1B_jjP12ihipStream_tbEUljE_EEESW_SX_SY_S15_S19_S1B_T6_T7_T9_mT8_S1D_bDpT10_ENKUlT_T0_E_clISt17integral_constantIbLb0EES1P_IbLb1EEEEDaS1L_S1M_EUlS1L_E_NS1_11comp_targetILNS1_3genE9ELNS1_11target_archE1100ELNS1_3gpuE3ELNS1_3repE0EEENS1_30default_config_static_selectorELNS0_4arch9wavefront6targetE0EEEvSZ_
; %bb.0:
	.section	.rodata,"a",@progbits
	.p2align	6, 0x0
	.amdhsa_kernel _ZN7rocprim17ROCPRIM_400000_NS6detail17trampoline_kernelINS0_13select_configILj256ELj13ELNS0_17block_load_methodE3ELS4_3ELS4_3ELNS0_20block_scan_algorithmE0ELj4294967295EEENS1_25partition_config_selectorILNS1_17partition_subalgoE3EjNS0_10empty_typeEbEEZZNS1_14partition_implILS8_3ELb0ES6_jNS0_17counting_iteratorIjlEEPS9_SE_NS0_5tupleIJPjSE_EEENSF_IJSE_SE_EEES9_SG_JZNS1_25segmented_radix_sort_implINS0_14default_configELb1EPK12hip_bfloat16PSL_PKlPlN2at6native12_GLOBAL__N_18offset_tEEE10hipError_tPvRmT1_PNSt15iterator_traitsISZ_E10value_typeET2_T3_PNS10_IS15_E10value_typeET4_jRbjT5_S1B_jjP12ihipStream_tbEUljE_EEESW_SX_SY_S15_S19_S1B_T6_T7_T9_mT8_S1D_bDpT10_ENKUlT_T0_E_clISt17integral_constantIbLb0EES1P_IbLb1EEEEDaS1L_S1M_EUlS1L_E_NS1_11comp_targetILNS1_3genE9ELNS1_11target_archE1100ELNS1_3gpuE3ELNS1_3repE0EEENS1_30default_config_static_selectorELNS0_4arch9wavefront6targetE0EEEvSZ_
		.amdhsa_group_segment_fixed_size 0
		.amdhsa_private_segment_fixed_size 0
		.amdhsa_kernarg_size 152
		.amdhsa_user_sgpr_count 2
		.amdhsa_user_sgpr_dispatch_ptr 0
		.amdhsa_user_sgpr_queue_ptr 0
		.amdhsa_user_sgpr_kernarg_segment_ptr 1
		.amdhsa_user_sgpr_dispatch_id 0
		.amdhsa_user_sgpr_kernarg_preload_length 0
		.amdhsa_user_sgpr_kernarg_preload_offset 0
		.amdhsa_user_sgpr_private_segment_size 0
		.amdhsa_wavefront_size32 1
		.amdhsa_uses_dynamic_stack 0
		.amdhsa_enable_private_segment 0
		.amdhsa_system_sgpr_workgroup_id_x 1
		.amdhsa_system_sgpr_workgroup_id_y 0
		.amdhsa_system_sgpr_workgroup_id_z 0
		.amdhsa_system_sgpr_workgroup_info 0
		.amdhsa_system_vgpr_workitem_id 0
		.amdhsa_next_free_vgpr 1
		.amdhsa_next_free_sgpr 1
		.amdhsa_named_barrier_count 0
		.amdhsa_reserve_vcc 0
		.amdhsa_float_round_mode_32 0
		.amdhsa_float_round_mode_16_64 0
		.amdhsa_float_denorm_mode_32 3
		.amdhsa_float_denorm_mode_16_64 3
		.amdhsa_fp16_overflow 0
		.amdhsa_memory_ordered 1
		.amdhsa_forward_progress 1
		.amdhsa_inst_pref_size 0
		.amdhsa_round_robin_scheduling 0
		.amdhsa_exception_fp_ieee_invalid_op 0
		.amdhsa_exception_fp_denorm_src 0
		.amdhsa_exception_fp_ieee_div_zero 0
		.amdhsa_exception_fp_ieee_overflow 0
		.amdhsa_exception_fp_ieee_underflow 0
		.amdhsa_exception_fp_ieee_inexact 0
		.amdhsa_exception_int_div_zero 0
	.end_amdhsa_kernel
	.section	.text._ZN7rocprim17ROCPRIM_400000_NS6detail17trampoline_kernelINS0_13select_configILj256ELj13ELNS0_17block_load_methodE3ELS4_3ELS4_3ELNS0_20block_scan_algorithmE0ELj4294967295EEENS1_25partition_config_selectorILNS1_17partition_subalgoE3EjNS0_10empty_typeEbEEZZNS1_14partition_implILS8_3ELb0ES6_jNS0_17counting_iteratorIjlEEPS9_SE_NS0_5tupleIJPjSE_EEENSF_IJSE_SE_EEES9_SG_JZNS1_25segmented_radix_sort_implINS0_14default_configELb1EPK12hip_bfloat16PSL_PKlPlN2at6native12_GLOBAL__N_18offset_tEEE10hipError_tPvRmT1_PNSt15iterator_traitsISZ_E10value_typeET2_T3_PNS10_IS15_E10value_typeET4_jRbjT5_S1B_jjP12ihipStream_tbEUljE_EEESW_SX_SY_S15_S19_S1B_T6_T7_T9_mT8_S1D_bDpT10_ENKUlT_T0_E_clISt17integral_constantIbLb0EES1P_IbLb1EEEEDaS1L_S1M_EUlS1L_E_NS1_11comp_targetILNS1_3genE9ELNS1_11target_archE1100ELNS1_3gpuE3ELNS1_3repE0EEENS1_30default_config_static_selectorELNS0_4arch9wavefront6targetE0EEEvSZ_,"axG",@progbits,_ZN7rocprim17ROCPRIM_400000_NS6detail17trampoline_kernelINS0_13select_configILj256ELj13ELNS0_17block_load_methodE3ELS4_3ELS4_3ELNS0_20block_scan_algorithmE0ELj4294967295EEENS1_25partition_config_selectorILNS1_17partition_subalgoE3EjNS0_10empty_typeEbEEZZNS1_14partition_implILS8_3ELb0ES6_jNS0_17counting_iteratorIjlEEPS9_SE_NS0_5tupleIJPjSE_EEENSF_IJSE_SE_EEES9_SG_JZNS1_25segmented_radix_sort_implINS0_14default_configELb1EPK12hip_bfloat16PSL_PKlPlN2at6native12_GLOBAL__N_18offset_tEEE10hipError_tPvRmT1_PNSt15iterator_traitsISZ_E10value_typeET2_T3_PNS10_IS15_E10value_typeET4_jRbjT5_S1B_jjP12ihipStream_tbEUljE_EEESW_SX_SY_S15_S19_S1B_T6_T7_T9_mT8_S1D_bDpT10_ENKUlT_T0_E_clISt17integral_constantIbLb0EES1P_IbLb1EEEEDaS1L_S1M_EUlS1L_E_NS1_11comp_targetILNS1_3genE9ELNS1_11target_archE1100ELNS1_3gpuE3ELNS1_3repE0EEENS1_30default_config_static_selectorELNS0_4arch9wavefront6targetE0EEEvSZ_,comdat
.Lfunc_end1934:
	.size	_ZN7rocprim17ROCPRIM_400000_NS6detail17trampoline_kernelINS0_13select_configILj256ELj13ELNS0_17block_load_methodE3ELS4_3ELS4_3ELNS0_20block_scan_algorithmE0ELj4294967295EEENS1_25partition_config_selectorILNS1_17partition_subalgoE3EjNS0_10empty_typeEbEEZZNS1_14partition_implILS8_3ELb0ES6_jNS0_17counting_iteratorIjlEEPS9_SE_NS0_5tupleIJPjSE_EEENSF_IJSE_SE_EEES9_SG_JZNS1_25segmented_radix_sort_implINS0_14default_configELb1EPK12hip_bfloat16PSL_PKlPlN2at6native12_GLOBAL__N_18offset_tEEE10hipError_tPvRmT1_PNSt15iterator_traitsISZ_E10value_typeET2_T3_PNS10_IS15_E10value_typeET4_jRbjT5_S1B_jjP12ihipStream_tbEUljE_EEESW_SX_SY_S15_S19_S1B_T6_T7_T9_mT8_S1D_bDpT10_ENKUlT_T0_E_clISt17integral_constantIbLb0EES1P_IbLb1EEEEDaS1L_S1M_EUlS1L_E_NS1_11comp_targetILNS1_3genE9ELNS1_11target_archE1100ELNS1_3gpuE3ELNS1_3repE0EEENS1_30default_config_static_selectorELNS0_4arch9wavefront6targetE0EEEvSZ_, .Lfunc_end1934-_ZN7rocprim17ROCPRIM_400000_NS6detail17trampoline_kernelINS0_13select_configILj256ELj13ELNS0_17block_load_methodE3ELS4_3ELS4_3ELNS0_20block_scan_algorithmE0ELj4294967295EEENS1_25partition_config_selectorILNS1_17partition_subalgoE3EjNS0_10empty_typeEbEEZZNS1_14partition_implILS8_3ELb0ES6_jNS0_17counting_iteratorIjlEEPS9_SE_NS0_5tupleIJPjSE_EEENSF_IJSE_SE_EEES9_SG_JZNS1_25segmented_radix_sort_implINS0_14default_configELb1EPK12hip_bfloat16PSL_PKlPlN2at6native12_GLOBAL__N_18offset_tEEE10hipError_tPvRmT1_PNSt15iterator_traitsISZ_E10value_typeET2_T3_PNS10_IS15_E10value_typeET4_jRbjT5_S1B_jjP12ihipStream_tbEUljE_EEESW_SX_SY_S15_S19_S1B_T6_T7_T9_mT8_S1D_bDpT10_ENKUlT_T0_E_clISt17integral_constantIbLb0EES1P_IbLb1EEEEDaS1L_S1M_EUlS1L_E_NS1_11comp_targetILNS1_3genE9ELNS1_11target_archE1100ELNS1_3gpuE3ELNS1_3repE0EEENS1_30default_config_static_selectorELNS0_4arch9wavefront6targetE0EEEvSZ_
                                        ; -- End function
	.set _ZN7rocprim17ROCPRIM_400000_NS6detail17trampoline_kernelINS0_13select_configILj256ELj13ELNS0_17block_load_methodE3ELS4_3ELS4_3ELNS0_20block_scan_algorithmE0ELj4294967295EEENS1_25partition_config_selectorILNS1_17partition_subalgoE3EjNS0_10empty_typeEbEEZZNS1_14partition_implILS8_3ELb0ES6_jNS0_17counting_iteratorIjlEEPS9_SE_NS0_5tupleIJPjSE_EEENSF_IJSE_SE_EEES9_SG_JZNS1_25segmented_radix_sort_implINS0_14default_configELb1EPK12hip_bfloat16PSL_PKlPlN2at6native12_GLOBAL__N_18offset_tEEE10hipError_tPvRmT1_PNSt15iterator_traitsISZ_E10value_typeET2_T3_PNS10_IS15_E10value_typeET4_jRbjT5_S1B_jjP12ihipStream_tbEUljE_EEESW_SX_SY_S15_S19_S1B_T6_T7_T9_mT8_S1D_bDpT10_ENKUlT_T0_E_clISt17integral_constantIbLb0EES1P_IbLb1EEEEDaS1L_S1M_EUlS1L_E_NS1_11comp_targetILNS1_3genE9ELNS1_11target_archE1100ELNS1_3gpuE3ELNS1_3repE0EEENS1_30default_config_static_selectorELNS0_4arch9wavefront6targetE0EEEvSZ_.num_vgpr, 0
	.set _ZN7rocprim17ROCPRIM_400000_NS6detail17trampoline_kernelINS0_13select_configILj256ELj13ELNS0_17block_load_methodE3ELS4_3ELS4_3ELNS0_20block_scan_algorithmE0ELj4294967295EEENS1_25partition_config_selectorILNS1_17partition_subalgoE3EjNS0_10empty_typeEbEEZZNS1_14partition_implILS8_3ELb0ES6_jNS0_17counting_iteratorIjlEEPS9_SE_NS0_5tupleIJPjSE_EEENSF_IJSE_SE_EEES9_SG_JZNS1_25segmented_radix_sort_implINS0_14default_configELb1EPK12hip_bfloat16PSL_PKlPlN2at6native12_GLOBAL__N_18offset_tEEE10hipError_tPvRmT1_PNSt15iterator_traitsISZ_E10value_typeET2_T3_PNS10_IS15_E10value_typeET4_jRbjT5_S1B_jjP12ihipStream_tbEUljE_EEESW_SX_SY_S15_S19_S1B_T6_T7_T9_mT8_S1D_bDpT10_ENKUlT_T0_E_clISt17integral_constantIbLb0EES1P_IbLb1EEEEDaS1L_S1M_EUlS1L_E_NS1_11comp_targetILNS1_3genE9ELNS1_11target_archE1100ELNS1_3gpuE3ELNS1_3repE0EEENS1_30default_config_static_selectorELNS0_4arch9wavefront6targetE0EEEvSZ_.num_agpr, 0
	.set _ZN7rocprim17ROCPRIM_400000_NS6detail17trampoline_kernelINS0_13select_configILj256ELj13ELNS0_17block_load_methodE3ELS4_3ELS4_3ELNS0_20block_scan_algorithmE0ELj4294967295EEENS1_25partition_config_selectorILNS1_17partition_subalgoE3EjNS0_10empty_typeEbEEZZNS1_14partition_implILS8_3ELb0ES6_jNS0_17counting_iteratorIjlEEPS9_SE_NS0_5tupleIJPjSE_EEENSF_IJSE_SE_EEES9_SG_JZNS1_25segmented_radix_sort_implINS0_14default_configELb1EPK12hip_bfloat16PSL_PKlPlN2at6native12_GLOBAL__N_18offset_tEEE10hipError_tPvRmT1_PNSt15iterator_traitsISZ_E10value_typeET2_T3_PNS10_IS15_E10value_typeET4_jRbjT5_S1B_jjP12ihipStream_tbEUljE_EEESW_SX_SY_S15_S19_S1B_T6_T7_T9_mT8_S1D_bDpT10_ENKUlT_T0_E_clISt17integral_constantIbLb0EES1P_IbLb1EEEEDaS1L_S1M_EUlS1L_E_NS1_11comp_targetILNS1_3genE9ELNS1_11target_archE1100ELNS1_3gpuE3ELNS1_3repE0EEENS1_30default_config_static_selectorELNS0_4arch9wavefront6targetE0EEEvSZ_.numbered_sgpr, 0
	.set _ZN7rocprim17ROCPRIM_400000_NS6detail17trampoline_kernelINS0_13select_configILj256ELj13ELNS0_17block_load_methodE3ELS4_3ELS4_3ELNS0_20block_scan_algorithmE0ELj4294967295EEENS1_25partition_config_selectorILNS1_17partition_subalgoE3EjNS0_10empty_typeEbEEZZNS1_14partition_implILS8_3ELb0ES6_jNS0_17counting_iteratorIjlEEPS9_SE_NS0_5tupleIJPjSE_EEENSF_IJSE_SE_EEES9_SG_JZNS1_25segmented_radix_sort_implINS0_14default_configELb1EPK12hip_bfloat16PSL_PKlPlN2at6native12_GLOBAL__N_18offset_tEEE10hipError_tPvRmT1_PNSt15iterator_traitsISZ_E10value_typeET2_T3_PNS10_IS15_E10value_typeET4_jRbjT5_S1B_jjP12ihipStream_tbEUljE_EEESW_SX_SY_S15_S19_S1B_T6_T7_T9_mT8_S1D_bDpT10_ENKUlT_T0_E_clISt17integral_constantIbLb0EES1P_IbLb1EEEEDaS1L_S1M_EUlS1L_E_NS1_11comp_targetILNS1_3genE9ELNS1_11target_archE1100ELNS1_3gpuE3ELNS1_3repE0EEENS1_30default_config_static_selectorELNS0_4arch9wavefront6targetE0EEEvSZ_.num_named_barrier, 0
	.set _ZN7rocprim17ROCPRIM_400000_NS6detail17trampoline_kernelINS0_13select_configILj256ELj13ELNS0_17block_load_methodE3ELS4_3ELS4_3ELNS0_20block_scan_algorithmE0ELj4294967295EEENS1_25partition_config_selectorILNS1_17partition_subalgoE3EjNS0_10empty_typeEbEEZZNS1_14partition_implILS8_3ELb0ES6_jNS0_17counting_iteratorIjlEEPS9_SE_NS0_5tupleIJPjSE_EEENSF_IJSE_SE_EEES9_SG_JZNS1_25segmented_radix_sort_implINS0_14default_configELb1EPK12hip_bfloat16PSL_PKlPlN2at6native12_GLOBAL__N_18offset_tEEE10hipError_tPvRmT1_PNSt15iterator_traitsISZ_E10value_typeET2_T3_PNS10_IS15_E10value_typeET4_jRbjT5_S1B_jjP12ihipStream_tbEUljE_EEESW_SX_SY_S15_S19_S1B_T6_T7_T9_mT8_S1D_bDpT10_ENKUlT_T0_E_clISt17integral_constantIbLb0EES1P_IbLb1EEEEDaS1L_S1M_EUlS1L_E_NS1_11comp_targetILNS1_3genE9ELNS1_11target_archE1100ELNS1_3gpuE3ELNS1_3repE0EEENS1_30default_config_static_selectorELNS0_4arch9wavefront6targetE0EEEvSZ_.private_seg_size, 0
	.set _ZN7rocprim17ROCPRIM_400000_NS6detail17trampoline_kernelINS0_13select_configILj256ELj13ELNS0_17block_load_methodE3ELS4_3ELS4_3ELNS0_20block_scan_algorithmE0ELj4294967295EEENS1_25partition_config_selectorILNS1_17partition_subalgoE3EjNS0_10empty_typeEbEEZZNS1_14partition_implILS8_3ELb0ES6_jNS0_17counting_iteratorIjlEEPS9_SE_NS0_5tupleIJPjSE_EEENSF_IJSE_SE_EEES9_SG_JZNS1_25segmented_radix_sort_implINS0_14default_configELb1EPK12hip_bfloat16PSL_PKlPlN2at6native12_GLOBAL__N_18offset_tEEE10hipError_tPvRmT1_PNSt15iterator_traitsISZ_E10value_typeET2_T3_PNS10_IS15_E10value_typeET4_jRbjT5_S1B_jjP12ihipStream_tbEUljE_EEESW_SX_SY_S15_S19_S1B_T6_T7_T9_mT8_S1D_bDpT10_ENKUlT_T0_E_clISt17integral_constantIbLb0EES1P_IbLb1EEEEDaS1L_S1M_EUlS1L_E_NS1_11comp_targetILNS1_3genE9ELNS1_11target_archE1100ELNS1_3gpuE3ELNS1_3repE0EEENS1_30default_config_static_selectorELNS0_4arch9wavefront6targetE0EEEvSZ_.uses_vcc, 0
	.set _ZN7rocprim17ROCPRIM_400000_NS6detail17trampoline_kernelINS0_13select_configILj256ELj13ELNS0_17block_load_methodE3ELS4_3ELS4_3ELNS0_20block_scan_algorithmE0ELj4294967295EEENS1_25partition_config_selectorILNS1_17partition_subalgoE3EjNS0_10empty_typeEbEEZZNS1_14partition_implILS8_3ELb0ES6_jNS0_17counting_iteratorIjlEEPS9_SE_NS0_5tupleIJPjSE_EEENSF_IJSE_SE_EEES9_SG_JZNS1_25segmented_radix_sort_implINS0_14default_configELb1EPK12hip_bfloat16PSL_PKlPlN2at6native12_GLOBAL__N_18offset_tEEE10hipError_tPvRmT1_PNSt15iterator_traitsISZ_E10value_typeET2_T3_PNS10_IS15_E10value_typeET4_jRbjT5_S1B_jjP12ihipStream_tbEUljE_EEESW_SX_SY_S15_S19_S1B_T6_T7_T9_mT8_S1D_bDpT10_ENKUlT_T0_E_clISt17integral_constantIbLb0EES1P_IbLb1EEEEDaS1L_S1M_EUlS1L_E_NS1_11comp_targetILNS1_3genE9ELNS1_11target_archE1100ELNS1_3gpuE3ELNS1_3repE0EEENS1_30default_config_static_selectorELNS0_4arch9wavefront6targetE0EEEvSZ_.uses_flat_scratch, 0
	.set _ZN7rocprim17ROCPRIM_400000_NS6detail17trampoline_kernelINS0_13select_configILj256ELj13ELNS0_17block_load_methodE3ELS4_3ELS4_3ELNS0_20block_scan_algorithmE0ELj4294967295EEENS1_25partition_config_selectorILNS1_17partition_subalgoE3EjNS0_10empty_typeEbEEZZNS1_14partition_implILS8_3ELb0ES6_jNS0_17counting_iteratorIjlEEPS9_SE_NS0_5tupleIJPjSE_EEENSF_IJSE_SE_EEES9_SG_JZNS1_25segmented_radix_sort_implINS0_14default_configELb1EPK12hip_bfloat16PSL_PKlPlN2at6native12_GLOBAL__N_18offset_tEEE10hipError_tPvRmT1_PNSt15iterator_traitsISZ_E10value_typeET2_T3_PNS10_IS15_E10value_typeET4_jRbjT5_S1B_jjP12ihipStream_tbEUljE_EEESW_SX_SY_S15_S19_S1B_T6_T7_T9_mT8_S1D_bDpT10_ENKUlT_T0_E_clISt17integral_constantIbLb0EES1P_IbLb1EEEEDaS1L_S1M_EUlS1L_E_NS1_11comp_targetILNS1_3genE9ELNS1_11target_archE1100ELNS1_3gpuE3ELNS1_3repE0EEENS1_30default_config_static_selectorELNS0_4arch9wavefront6targetE0EEEvSZ_.has_dyn_sized_stack, 0
	.set _ZN7rocprim17ROCPRIM_400000_NS6detail17trampoline_kernelINS0_13select_configILj256ELj13ELNS0_17block_load_methodE3ELS4_3ELS4_3ELNS0_20block_scan_algorithmE0ELj4294967295EEENS1_25partition_config_selectorILNS1_17partition_subalgoE3EjNS0_10empty_typeEbEEZZNS1_14partition_implILS8_3ELb0ES6_jNS0_17counting_iteratorIjlEEPS9_SE_NS0_5tupleIJPjSE_EEENSF_IJSE_SE_EEES9_SG_JZNS1_25segmented_radix_sort_implINS0_14default_configELb1EPK12hip_bfloat16PSL_PKlPlN2at6native12_GLOBAL__N_18offset_tEEE10hipError_tPvRmT1_PNSt15iterator_traitsISZ_E10value_typeET2_T3_PNS10_IS15_E10value_typeET4_jRbjT5_S1B_jjP12ihipStream_tbEUljE_EEESW_SX_SY_S15_S19_S1B_T6_T7_T9_mT8_S1D_bDpT10_ENKUlT_T0_E_clISt17integral_constantIbLb0EES1P_IbLb1EEEEDaS1L_S1M_EUlS1L_E_NS1_11comp_targetILNS1_3genE9ELNS1_11target_archE1100ELNS1_3gpuE3ELNS1_3repE0EEENS1_30default_config_static_selectorELNS0_4arch9wavefront6targetE0EEEvSZ_.has_recursion, 0
	.set _ZN7rocprim17ROCPRIM_400000_NS6detail17trampoline_kernelINS0_13select_configILj256ELj13ELNS0_17block_load_methodE3ELS4_3ELS4_3ELNS0_20block_scan_algorithmE0ELj4294967295EEENS1_25partition_config_selectorILNS1_17partition_subalgoE3EjNS0_10empty_typeEbEEZZNS1_14partition_implILS8_3ELb0ES6_jNS0_17counting_iteratorIjlEEPS9_SE_NS0_5tupleIJPjSE_EEENSF_IJSE_SE_EEES9_SG_JZNS1_25segmented_radix_sort_implINS0_14default_configELb1EPK12hip_bfloat16PSL_PKlPlN2at6native12_GLOBAL__N_18offset_tEEE10hipError_tPvRmT1_PNSt15iterator_traitsISZ_E10value_typeET2_T3_PNS10_IS15_E10value_typeET4_jRbjT5_S1B_jjP12ihipStream_tbEUljE_EEESW_SX_SY_S15_S19_S1B_T6_T7_T9_mT8_S1D_bDpT10_ENKUlT_T0_E_clISt17integral_constantIbLb0EES1P_IbLb1EEEEDaS1L_S1M_EUlS1L_E_NS1_11comp_targetILNS1_3genE9ELNS1_11target_archE1100ELNS1_3gpuE3ELNS1_3repE0EEENS1_30default_config_static_selectorELNS0_4arch9wavefront6targetE0EEEvSZ_.has_indirect_call, 0
	.section	.AMDGPU.csdata,"",@progbits
; Kernel info:
; codeLenInByte = 0
; TotalNumSgprs: 0
; NumVgprs: 0
; ScratchSize: 0
; MemoryBound: 0
; FloatMode: 240
; IeeeMode: 1
; LDSByteSize: 0 bytes/workgroup (compile time only)
; SGPRBlocks: 0
; VGPRBlocks: 0
; NumSGPRsForWavesPerEU: 1
; NumVGPRsForWavesPerEU: 1
; NamedBarCnt: 0
; Occupancy: 16
; WaveLimiterHint : 0
; COMPUTE_PGM_RSRC2:SCRATCH_EN: 0
; COMPUTE_PGM_RSRC2:USER_SGPR: 2
; COMPUTE_PGM_RSRC2:TRAP_HANDLER: 0
; COMPUTE_PGM_RSRC2:TGID_X_EN: 1
; COMPUTE_PGM_RSRC2:TGID_Y_EN: 0
; COMPUTE_PGM_RSRC2:TGID_Z_EN: 0
; COMPUTE_PGM_RSRC2:TIDIG_COMP_CNT: 0
	.section	.text._ZN7rocprim17ROCPRIM_400000_NS6detail17trampoline_kernelINS0_13select_configILj256ELj13ELNS0_17block_load_methodE3ELS4_3ELS4_3ELNS0_20block_scan_algorithmE0ELj4294967295EEENS1_25partition_config_selectorILNS1_17partition_subalgoE3EjNS0_10empty_typeEbEEZZNS1_14partition_implILS8_3ELb0ES6_jNS0_17counting_iteratorIjlEEPS9_SE_NS0_5tupleIJPjSE_EEENSF_IJSE_SE_EEES9_SG_JZNS1_25segmented_radix_sort_implINS0_14default_configELb1EPK12hip_bfloat16PSL_PKlPlN2at6native12_GLOBAL__N_18offset_tEEE10hipError_tPvRmT1_PNSt15iterator_traitsISZ_E10value_typeET2_T3_PNS10_IS15_E10value_typeET4_jRbjT5_S1B_jjP12ihipStream_tbEUljE_EEESW_SX_SY_S15_S19_S1B_T6_T7_T9_mT8_S1D_bDpT10_ENKUlT_T0_E_clISt17integral_constantIbLb0EES1P_IbLb1EEEEDaS1L_S1M_EUlS1L_E_NS1_11comp_targetILNS1_3genE8ELNS1_11target_archE1030ELNS1_3gpuE2ELNS1_3repE0EEENS1_30default_config_static_selectorELNS0_4arch9wavefront6targetE0EEEvSZ_,"axG",@progbits,_ZN7rocprim17ROCPRIM_400000_NS6detail17trampoline_kernelINS0_13select_configILj256ELj13ELNS0_17block_load_methodE3ELS4_3ELS4_3ELNS0_20block_scan_algorithmE0ELj4294967295EEENS1_25partition_config_selectorILNS1_17partition_subalgoE3EjNS0_10empty_typeEbEEZZNS1_14partition_implILS8_3ELb0ES6_jNS0_17counting_iteratorIjlEEPS9_SE_NS0_5tupleIJPjSE_EEENSF_IJSE_SE_EEES9_SG_JZNS1_25segmented_radix_sort_implINS0_14default_configELb1EPK12hip_bfloat16PSL_PKlPlN2at6native12_GLOBAL__N_18offset_tEEE10hipError_tPvRmT1_PNSt15iterator_traitsISZ_E10value_typeET2_T3_PNS10_IS15_E10value_typeET4_jRbjT5_S1B_jjP12ihipStream_tbEUljE_EEESW_SX_SY_S15_S19_S1B_T6_T7_T9_mT8_S1D_bDpT10_ENKUlT_T0_E_clISt17integral_constantIbLb0EES1P_IbLb1EEEEDaS1L_S1M_EUlS1L_E_NS1_11comp_targetILNS1_3genE8ELNS1_11target_archE1030ELNS1_3gpuE2ELNS1_3repE0EEENS1_30default_config_static_selectorELNS0_4arch9wavefront6targetE0EEEvSZ_,comdat
	.globl	_ZN7rocprim17ROCPRIM_400000_NS6detail17trampoline_kernelINS0_13select_configILj256ELj13ELNS0_17block_load_methodE3ELS4_3ELS4_3ELNS0_20block_scan_algorithmE0ELj4294967295EEENS1_25partition_config_selectorILNS1_17partition_subalgoE3EjNS0_10empty_typeEbEEZZNS1_14partition_implILS8_3ELb0ES6_jNS0_17counting_iteratorIjlEEPS9_SE_NS0_5tupleIJPjSE_EEENSF_IJSE_SE_EEES9_SG_JZNS1_25segmented_radix_sort_implINS0_14default_configELb1EPK12hip_bfloat16PSL_PKlPlN2at6native12_GLOBAL__N_18offset_tEEE10hipError_tPvRmT1_PNSt15iterator_traitsISZ_E10value_typeET2_T3_PNS10_IS15_E10value_typeET4_jRbjT5_S1B_jjP12ihipStream_tbEUljE_EEESW_SX_SY_S15_S19_S1B_T6_T7_T9_mT8_S1D_bDpT10_ENKUlT_T0_E_clISt17integral_constantIbLb0EES1P_IbLb1EEEEDaS1L_S1M_EUlS1L_E_NS1_11comp_targetILNS1_3genE8ELNS1_11target_archE1030ELNS1_3gpuE2ELNS1_3repE0EEENS1_30default_config_static_selectorELNS0_4arch9wavefront6targetE0EEEvSZ_ ; -- Begin function _ZN7rocprim17ROCPRIM_400000_NS6detail17trampoline_kernelINS0_13select_configILj256ELj13ELNS0_17block_load_methodE3ELS4_3ELS4_3ELNS0_20block_scan_algorithmE0ELj4294967295EEENS1_25partition_config_selectorILNS1_17partition_subalgoE3EjNS0_10empty_typeEbEEZZNS1_14partition_implILS8_3ELb0ES6_jNS0_17counting_iteratorIjlEEPS9_SE_NS0_5tupleIJPjSE_EEENSF_IJSE_SE_EEES9_SG_JZNS1_25segmented_radix_sort_implINS0_14default_configELb1EPK12hip_bfloat16PSL_PKlPlN2at6native12_GLOBAL__N_18offset_tEEE10hipError_tPvRmT1_PNSt15iterator_traitsISZ_E10value_typeET2_T3_PNS10_IS15_E10value_typeET4_jRbjT5_S1B_jjP12ihipStream_tbEUljE_EEESW_SX_SY_S15_S19_S1B_T6_T7_T9_mT8_S1D_bDpT10_ENKUlT_T0_E_clISt17integral_constantIbLb0EES1P_IbLb1EEEEDaS1L_S1M_EUlS1L_E_NS1_11comp_targetILNS1_3genE8ELNS1_11target_archE1030ELNS1_3gpuE2ELNS1_3repE0EEENS1_30default_config_static_selectorELNS0_4arch9wavefront6targetE0EEEvSZ_
	.p2align	8
	.type	_ZN7rocprim17ROCPRIM_400000_NS6detail17trampoline_kernelINS0_13select_configILj256ELj13ELNS0_17block_load_methodE3ELS4_3ELS4_3ELNS0_20block_scan_algorithmE0ELj4294967295EEENS1_25partition_config_selectorILNS1_17partition_subalgoE3EjNS0_10empty_typeEbEEZZNS1_14partition_implILS8_3ELb0ES6_jNS0_17counting_iteratorIjlEEPS9_SE_NS0_5tupleIJPjSE_EEENSF_IJSE_SE_EEES9_SG_JZNS1_25segmented_radix_sort_implINS0_14default_configELb1EPK12hip_bfloat16PSL_PKlPlN2at6native12_GLOBAL__N_18offset_tEEE10hipError_tPvRmT1_PNSt15iterator_traitsISZ_E10value_typeET2_T3_PNS10_IS15_E10value_typeET4_jRbjT5_S1B_jjP12ihipStream_tbEUljE_EEESW_SX_SY_S15_S19_S1B_T6_T7_T9_mT8_S1D_bDpT10_ENKUlT_T0_E_clISt17integral_constantIbLb0EES1P_IbLb1EEEEDaS1L_S1M_EUlS1L_E_NS1_11comp_targetILNS1_3genE8ELNS1_11target_archE1030ELNS1_3gpuE2ELNS1_3repE0EEENS1_30default_config_static_selectorELNS0_4arch9wavefront6targetE0EEEvSZ_,@function
_ZN7rocprim17ROCPRIM_400000_NS6detail17trampoline_kernelINS0_13select_configILj256ELj13ELNS0_17block_load_methodE3ELS4_3ELS4_3ELNS0_20block_scan_algorithmE0ELj4294967295EEENS1_25partition_config_selectorILNS1_17partition_subalgoE3EjNS0_10empty_typeEbEEZZNS1_14partition_implILS8_3ELb0ES6_jNS0_17counting_iteratorIjlEEPS9_SE_NS0_5tupleIJPjSE_EEENSF_IJSE_SE_EEES9_SG_JZNS1_25segmented_radix_sort_implINS0_14default_configELb1EPK12hip_bfloat16PSL_PKlPlN2at6native12_GLOBAL__N_18offset_tEEE10hipError_tPvRmT1_PNSt15iterator_traitsISZ_E10value_typeET2_T3_PNS10_IS15_E10value_typeET4_jRbjT5_S1B_jjP12ihipStream_tbEUljE_EEESW_SX_SY_S15_S19_S1B_T6_T7_T9_mT8_S1D_bDpT10_ENKUlT_T0_E_clISt17integral_constantIbLb0EES1P_IbLb1EEEEDaS1L_S1M_EUlS1L_E_NS1_11comp_targetILNS1_3genE8ELNS1_11target_archE1030ELNS1_3gpuE2ELNS1_3repE0EEENS1_30default_config_static_selectorELNS0_4arch9wavefront6targetE0EEEvSZ_: ; @_ZN7rocprim17ROCPRIM_400000_NS6detail17trampoline_kernelINS0_13select_configILj256ELj13ELNS0_17block_load_methodE3ELS4_3ELS4_3ELNS0_20block_scan_algorithmE0ELj4294967295EEENS1_25partition_config_selectorILNS1_17partition_subalgoE3EjNS0_10empty_typeEbEEZZNS1_14partition_implILS8_3ELb0ES6_jNS0_17counting_iteratorIjlEEPS9_SE_NS0_5tupleIJPjSE_EEENSF_IJSE_SE_EEES9_SG_JZNS1_25segmented_radix_sort_implINS0_14default_configELb1EPK12hip_bfloat16PSL_PKlPlN2at6native12_GLOBAL__N_18offset_tEEE10hipError_tPvRmT1_PNSt15iterator_traitsISZ_E10value_typeET2_T3_PNS10_IS15_E10value_typeET4_jRbjT5_S1B_jjP12ihipStream_tbEUljE_EEESW_SX_SY_S15_S19_S1B_T6_T7_T9_mT8_S1D_bDpT10_ENKUlT_T0_E_clISt17integral_constantIbLb0EES1P_IbLb1EEEEDaS1L_S1M_EUlS1L_E_NS1_11comp_targetILNS1_3genE8ELNS1_11target_archE1030ELNS1_3gpuE2ELNS1_3repE0EEENS1_30default_config_static_selectorELNS0_4arch9wavefront6targetE0EEEvSZ_
; %bb.0:
	.section	.rodata,"a",@progbits
	.p2align	6, 0x0
	.amdhsa_kernel _ZN7rocprim17ROCPRIM_400000_NS6detail17trampoline_kernelINS0_13select_configILj256ELj13ELNS0_17block_load_methodE3ELS4_3ELS4_3ELNS0_20block_scan_algorithmE0ELj4294967295EEENS1_25partition_config_selectorILNS1_17partition_subalgoE3EjNS0_10empty_typeEbEEZZNS1_14partition_implILS8_3ELb0ES6_jNS0_17counting_iteratorIjlEEPS9_SE_NS0_5tupleIJPjSE_EEENSF_IJSE_SE_EEES9_SG_JZNS1_25segmented_radix_sort_implINS0_14default_configELb1EPK12hip_bfloat16PSL_PKlPlN2at6native12_GLOBAL__N_18offset_tEEE10hipError_tPvRmT1_PNSt15iterator_traitsISZ_E10value_typeET2_T3_PNS10_IS15_E10value_typeET4_jRbjT5_S1B_jjP12ihipStream_tbEUljE_EEESW_SX_SY_S15_S19_S1B_T6_T7_T9_mT8_S1D_bDpT10_ENKUlT_T0_E_clISt17integral_constantIbLb0EES1P_IbLb1EEEEDaS1L_S1M_EUlS1L_E_NS1_11comp_targetILNS1_3genE8ELNS1_11target_archE1030ELNS1_3gpuE2ELNS1_3repE0EEENS1_30default_config_static_selectorELNS0_4arch9wavefront6targetE0EEEvSZ_
		.amdhsa_group_segment_fixed_size 0
		.amdhsa_private_segment_fixed_size 0
		.amdhsa_kernarg_size 152
		.amdhsa_user_sgpr_count 2
		.amdhsa_user_sgpr_dispatch_ptr 0
		.amdhsa_user_sgpr_queue_ptr 0
		.amdhsa_user_sgpr_kernarg_segment_ptr 1
		.amdhsa_user_sgpr_dispatch_id 0
		.amdhsa_user_sgpr_kernarg_preload_length 0
		.amdhsa_user_sgpr_kernarg_preload_offset 0
		.amdhsa_user_sgpr_private_segment_size 0
		.amdhsa_wavefront_size32 1
		.amdhsa_uses_dynamic_stack 0
		.amdhsa_enable_private_segment 0
		.amdhsa_system_sgpr_workgroup_id_x 1
		.amdhsa_system_sgpr_workgroup_id_y 0
		.amdhsa_system_sgpr_workgroup_id_z 0
		.amdhsa_system_sgpr_workgroup_info 0
		.amdhsa_system_vgpr_workitem_id 0
		.amdhsa_next_free_vgpr 1
		.amdhsa_next_free_sgpr 1
		.amdhsa_named_barrier_count 0
		.amdhsa_reserve_vcc 0
		.amdhsa_float_round_mode_32 0
		.amdhsa_float_round_mode_16_64 0
		.amdhsa_float_denorm_mode_32 3
		.amdhsa_float_denorm_mode_16_64 3
		.amdhsa_fp16_overflow 0
		.amdhsa_memory_ordered 1
		.amdhsa_forward_progress 1
		.amdhsa_inst_pref_size 0
		.amdhsa_round_robin_scheduling 0
		.amdhsa_exception_fp_ieee_invalid_op 0
		.amdhsa_exception_fp_denorm_src 0
		.amdhsa_exception_fp_ieee_div_zero 0
		.amdhsa_exception_fp_ieee_overflow 0
		.amdhsa_exception_fp_ieee_underflow 0
		.amdhsa_exception_fp_ieee_inexact 0
		.amdhsa_exception_int_div_zero 0
	.end_amdhsa_kernel
	.section	.text._ZN7rocprim17ROCPRIM_400000_NS6detail17trampoline_kernelINS0_13select_configILj256ELj13ELNS0_17block_load_methodE3ELS4_3ELS4_3ELNS0_20block_scan_algorithmE0ELj4294967295EEENS1_25partition_config_selectorILNS1_17partition_subalgoE3EjNS0_10empty_typeEbEEZZNS1_14partition_implILS8_3ELb0ES6_jNS0_17counting_iteratorIjlEEPS9_SE_NS0_5tupleIJPjSE_EEENSF_IJSE_SE_EEES9_SG_JZNS1_25segmented_radix_sort_implINS0_14default_configELb1EPK12hip_bfloat16PSL_PKlPlN2at6native12_GLOBAL__N_18offset_tEEE10hipError_tPvRmT1_PNSt15iterator_traitsISZ_E10value_typeET2_T3_PNS10_IS15_E10value_typeET4_jRbjT5_S1B_jjP12ihipStream_tbEUljE_EEESW_SX_SY_S15_S19_S1B_T6_T7_T9_mT8_S1D_bDpT10_ENKUlT_T0_E_clISt17integral_constantIbLb0EES1P_IbLb1EEEEDaS1L_S1M_EUlS1L_E_NS1_11comp_targetILNS1_3genE8ELNS1_11target_archE1030ELNS1_3gpuE2ELNS1_3repE0EEENS1_30default_config_static_selectorELNS0_4arch9wavefront6targetE0EEEvSZ_,"axG",@progbits,_ZN7rocprim17ROCPRIM_400000_NS6detail17trampoline_kernelINS0_13select_configILj256ELj13ELNS0_17block_load_methodE3ELS4_3ELS4_3ELNS0_20block_scan_algorithmE0ELj4294967295EEENS1_25partition_config_selectorILNS1_17partition_subalgoE3EjNS0_10empty_typeEbEEZZNS1_14partition_implILS8_3ELb0ES6_jNS0_17counting_iteratorIjlEEPS9_SE_NS0_5tupleIJPjSE_EEENSF_IJSE_SE_EEES9_SG_JZNS1_25segmented_radix_sort_implINS0_14default_configELb1EPK12hip_bfloat16PSL_PKlPlN2at6native12_GLOBAL__N_18offset_tEEE10hipError_tPvRmT1_PNSt15iterator_traitsISZ_E10value_typeET2_T3_PNS10_IS15_E10value_typeET4_jRbjT5_S1B_jjP12ihipStream_tbEUljE_EEESW_SX_SY_S15_S19_S1B_T6_T7_T9_mT8_S1D_bDpT10_ENKUlT_T0_E_clISt17integral_constantIbLb0EES1P_IbLb1EEEEDaS1L_S1M_EUlS1L_E_NS1_11comp_targetILNS1_3genE8ELNS1_11target_archE1030ELNS1_3gpuE2ELNS1_3repE0EEENS1_30default_config_static_selectorELNS0_4arch9wavefront6targetE0EEEvSZ_,comdat
.Lfunc_end1935:
	.size	_ZN7rocprim17ROCPRIM_400000_NS6detail17trampoline_kernelINS0_13select_configILj256ELj13ELNS0_17block_load_methodE3ELS4_3ELS4_3ELNS0_20block_scan_algorithmE0ELj4294967295EEENS1_25partition_config_selectorILNS1_17partition_subalgoE3EjNS0_10empty_typeEbEEZZNS1_14partition_implILS8_3ELb0ES6_jNS0_17counting_iteratorIjlEEPS9_SE_NS0_5tupleIJPjSE_EEENSF_IJSE_SE_EEES9_SG_JZNS1_25segmented_radix_sort_implINS0_14default_configELb1EPK12hip_bfloat16PSL_PKlPlN2at6native12_GLOBAL__N_18offset_tEEE10hipError_tPvRmT1_PNSt15iterator_traitsISZ_E10value_typeET2_T3_PNS10_IS15_E10value_typeET4_jRbjT5_S1B_jjP12ihipStream_tbEUljE_EEESW_SX_SY_S15_S19_S1B_T6_T7_T9_mT8_S1D_bDpT10_ENKUlT_T0_E_clISt17integral_constantIbLb0EES1P_IbLb1EEEEDaS1L_S1M_EUlS1L_E_NS1_11comp_targetILNS1_3genE8ELNS1_11target_archE1030ELNS1_3gpuE2ELNS1_3repE0EEENS1_30default_config_static_selectorELNS0_4arch9wavefront6targetE0EEEvSZ_, .Lfunc_end1935-_ZN7rocprim17ROCPRIM_400000_NS6detail17trampoline_kernelINS0_13select_configILj256ELj13ELNS0_17block_load_methodE3ELS4_3ELS4_3ELNS0_20block_scan_algorithmE0ELj4294967295EEENS1_25partition_config_selectorILNS1_17partition_subalgoE3EjNS0_10empty_typeEbEEZZNS1_14partition_implILS8_3ELb0ES6_jNS0_17counting_iteratorIjlEEPS9_SE_NS0_5tupleIJPjSE_EEENSF_IJSE_SE_EEES9_SG_JZNS1_25segmented_radix_sort_implINS0_14default_configELb1EPK12hip_bfloat16PSL_PKlPlN2at6native12_GLOBAL__N_18offset_tEEE10hipError_tPvRmT1_PNSt15iterator_traitsISZ_E10value_typeET2_T3_PNS10_IS15_E10value_typeET4_jRbjT5_S1B_jjP12ihipStream_tbEUljE_EEESW_SX_SY_S15_S19_S1B_T6_T7_T9_mT8_S1D_bDpT10_ENKUlT_T0_E_clISt17integral_constantIbLb0EES1P_IbLb1EEEEDaS1L_S1M_EUlS1L_E_NS1_11comp_targetILNS1_3genE8ELNS1_11target_archE1030ELNS1_3gpuE2ELNS1_3repE0EEENS1_30default_config_static_selectorELNS0_4arch9wavefront6targetE0EEEvSZ_
                                        ; -- End function
	.set _ZN7rocprim17ROCPRIM_400000_NS6detail17trampoline_kernelINS0_13select_configILj256ELj13ELNS0_17block_load_methodE3ELS4_3ELS4_3ELNS0_20block_scan_algorithmE0ELj4294967295EEENS1_25partition_config_selectorILNS1_17partition_subalgoE3EjNS0_10empty_typeEbEEZZNS1_14partition_implILS8_3ELb0ES6_jNS0_17counting_iteratorIjlEEPS9_SE_NS0_5tupleIJPjSE_EEENSF_IJSE_SE_EEES9_SG_JZNS1_25segmented_radix_sort_implINS0_14default_configELb1EPK12hip_bfloat16PSL_PKlPlN2at6native12_GLOBAL__N_18offset_tEEE10hipError_tPvRmT1_PNSt15iterator_traitsISZ_E10value_typeET2_T3_PNS10_IS15_E10value_typeET4_jRbjT5_S1B_jjP12ihipStream_tbEUljE_EEESW_SX_SY_S15_S19_S1B_T6_T7_T9_mT8_S1D_bDpT10_ENKUlT_T0_E_clISt17integral_constantIbLb0EES1P_IbLb1EEEEDaS1L_S1M_EUlS1L_E_NS1_11comp_targetILNS1_3genE8ELNS1_11target_archE1030ELNS1_3gpuE2ELNS1_3repE0EEENS1_30default_config_static_selectorELNS0_4arch9wavefront6targetE0EEEvSZ_.num_vgpr, 0
	.set _ZN7rocprim17ROCPRIM_400000_NS6detail17trampoline_kernelINS0_13select_configILj256ELj13ELNS0_17block_load_methodE3ELS4_3ELS4_3ELNS0_20block_scan_algorithmE0ELj4294967295EEENS1_25partition_config_selectorILNS1_17partition_subalgoE3EjNS0_10empty_typeEbEEZZNS1_14partition_implILS8_3ELb0ES6_jNS0_17counting_iteratorIjlEEPS9_SE_NS0_5tupleIJPjSE_EEENSF_IJSE_SE_EEES9_SG_JZNS1_25segmented_radix_sort_implINS0_14default_configELb1EPK12hip_bfloat16PSL_PKlPlN2at6native12_GLOBAL__N_18offset_tEEE10hipError_tPvRmT1_PNSt15iterator_traitsISZ_E10value_typeET2_T3_PNS10_IS15_E10value_typeET4_jRbjT5_S1B_jjP12ihipStream_tbEUljE_EEESW_SX_SY_S15_S19_S1B_T6_T7_T9_mT8_S1D_bDpT10_ENKUlT_T0_E_clISt17integral_constantIbLb0EES1P_IbLb1EEEEDaS1L_S1M_EUlS1L_E_NS1_11comp_targetILNS1_3genE8ELNS1_11target_archE1030ELNS1_3gpuE2ELNS1_3repE0EEENS1_30default_config_static_selectorELNS0_4arch9wavefront6targetE0EEEvSZ_.num_agpr, 0
	.set _ZN7rocprim17ROCPRIM_400000_NS6detail17trampoline_kernelINS0_13select_configILj256ELj13ELNS0_17block_load_methodE3ELS4_3ELS4_3ELNS0_20block_scan_algorithmE0ELj4294967295EEENS1_25partition_config_selectorILNS1_17partition_subalgoE3EjNS0_10empty_typeEbEEZZNS1_14partition_implILS8_3ELb0ES6_jNS0_17counting_iteratorIjlEEPS9_SE_NS0_5tupleIJPjSE_EEENSF_IJSE_SE_EEES9_SG_JZNS1_25segmented_radix_sort_implINS0_14default_configELb1EPK12hip_bfloat16PSL_PKlPlN2at6native12_GLOBAL__N_18offset_tEEE10hipError_tPvRmT1_PNSt15iterator_traitsISZ_E10value_typeET2_T3_PNS10_IS15_E10value_typeET4_jRbjT5_S1B_jjP12ihipStream_tbEUljE_EEESW_SX_SY_S15_S19_S1B_T6_T7_T9_mT8_S1D_bDpT10_ENKUlT_T0_E_clISt17integral_constantIbLb0EES1P_IbLb1EEEEDaS1L_S1M_EUlS1L_E_NS1_11comp_targetILNS1_3genE8ELNS1_11target_archE1030ELNS1_3gpuE2ELNS1_3repE0EEENS1_30default_config_static_selectorELNS0_4arch9wavefront6targetE0EEEvSZ_.numbered_sgpr, 0
	.set _ZN7rocprim17ROCPRIM_400000_NS6detail17trampoline_kernelINS0_13select_configILj256ELj13ELNS0_17block_load_methodE3ELS4_3ELS4_3ELNS0_20block_scan_algorithmE0ELj4294967295EEENS1_25partition_config_selectorILNS1_17partition_subalgoE3EjNS0_10empty_typeEbEEZZNS1_14partition_implILS8_3ELb0ES6_jNS0_17counting_iteratorIjlEEPS9_SE_NS0_5tupleIJPjSE_EEENSF_IJSE_SE_EEES9_SG_JZNS1_25segmented_radix_sort_implINS0_14default_configELb1EPK12hip_bfloat16PSL_PKlPlN2at6native12_GLOBAL__N_18offset_tEEE10hipError_tPvRmT1_PNSt15iterator_traitsISZ_E10value_typeET2_T3_PNS10_IS15_E10value_typeET4_jRbjT5_S1B_jjP12ihipStream_tbEUljE_EEESW_SX_SY_S15_S19_S1B_T6_T7_T9_mT8_S1D_bDpT10_ENKUlT_T0_E_clISt17integral_constantIbLb0EES1P_IbLb1EEEEDaS1L_S1M_EUlS1L_E_NS1_11comp_targetILNS1_3genE8ELNS1_11target_archE1030ELNS1_3gpuE2ELNS1_3repE0EEENS1_30default_config_static_selectorELNS0_4arch9wavefront6targetE0EEEvSZ_.num_named_barrier, 0
	.set _ZN7rocprim17ROCPRIM_400000_NS6detail17trampoline_kernelINS0_13select_configILj256ELj13ELNS0_17block_load_methodE3ELS4_3ELS4_3ELNS0_20block_scan_algorithmE0ELj4294967295EEENS1_25partition_config_selectorILNS1_17partition_subalgoE3EjNS0_10empty_typeEbEEZZNS1_14partition_implILS8_3ELb0ES6_jNS0_17counting_iteratorIjlEEPS9_SE_NS0_5tupleIJPjSE_EEENSF_IJSE_SE_EEES9_SG_JZNS1_25segmented_radix_sort_implINS0_14default_configELb1EPK12hip_bfloat16PSL_PKlPlN2at6native12_GLOBAL__N_18offset_tEEE10hipError_tPvRmT1_PNSt15iterator_traitsISZ_E10value_typeET2_T3_PNS10_IS15_E10value_typeET4_jRbjT5_S1B_jjP12ihipStream_tbEUljE_EEESW_SX_SY_S15_S19_S1B_T6_T7_T9_mT8_S1D_bDpT10_ENKUlT_T0_E_clISt17integral_constantIbLb0EES1P_IbLb1EEEEDaS1L_S1M_EUlS1L_E_NS1_11comp_targetILNS1_3genE8ELNS1_11target_archE1030ELNS1_3gpuE2ELNS1_3repE0EEENS1_30default_config_static_selectorELNS0_4arch9wavefront6targetE0EEEvSZ_.private_seg_size, 0
	.set _ZN7rocprim17ROCPRIM_400000_NS6detail17trampoline_kernelINS0_13select_configILj256ELj13ELNS0_17block_load_methodE3ELS4_3ELS4_3ELNS0_20block_scan_algorithmE0ELj4294967295EEENS1_25partition_config_selectorILNS1_17partition_subalgoE3EjNS0_10empty_typeEbEEZZNS1_14partition_implILS8_3ELb0ES6_jNS0_17counting_iteratorIjlEEPS9_SE_NS0_5tupleIJPjSE_EEENSF_IJSE_SE_EEES9_SG_JZNS1_25segmented_radix_sort_implINS0_14default_configELb1EPK12hip_bfloat16PSL_PKlPlN2at6native12_GLOBAL__N_18offset_tEEE10hipError_tPvRmT1_PNSt15iterator_traitsISZ_E10value_typeET2_T3_PNS10_IS15_E10value_typeET4_jRbjT5_S1B_jjP12ihipStream_tbEUljE_EEESW_SX_SY_S15_S19_S1B_T6_T7_T9_mT8_S1D_bDpT10_ENKUlT_T0_E_clISt17integral_constantIbLb0EES1P_IbLb1EEEEDaS1L_S1M_EUlS1L_E_NS1_11comp_targetILNS1_3genE8ELNS1_11target_archE1030ELNS1_3gpuE2ELNS1_3repE0EEENS1_30default_config_static_selectorELNS0_4arch9wavefront6targetE0EEEvSZ_.uses_vcc, 0
	.set _ZN7rocprim17ROCPRIM_400000_NS6detail17trampoline_kernelINS0_13select_configILj256ELj13ELNS0_17block_load_methodE3ELS4_3ELS4_3ELNS0_20block_scan_algorithmE0ELj4294967295EEENS1_25partition_config_selectorILNS1_17partition_subalgoE3EjNS0_10empty_typeEbEEZZNS1_14partition_implILS8_3ELb0ES6_jNS0_17counting_iteratorIjlEEPS9_SE_NS0_5tupleIJPjSE_EEENSF_IJSE_SE_EEES9_SG_JZNS1_25segmented_radix_sort_implINS0_14default_configELb1EPK12hip_bfloat16PSL_PKlPlN2at6native12_GLOBAL__N_18offset_tEEE10hipError_tPvRmT1_PNSt15iterator_traitsISZ_E10value_typeET2_T3_PNS10_IS15_E10value_typeET4_jRbjT5_S1B_jjP12ihipStream_tbEUljE_EEESW_SX_SY_S15_S19_S1B_T6_T7_T9_mT8_S1D_bDpT10_ENKUlT_T0_E_clISt17integral_constantIbLb0EES1P_IbLb1EEEEDaS1L_S1M_EUlS1L_E_NS1_11comp_targetILNS1_3genE8ELNS1_11target_archE1030ELNS1_3gpuE2ELNS1_3repE0EEENS1_30default_config_static_selectorELNS0_4arch9wavefront6targetE0EEEvSZ_.uses_flat_scratch, 0
	.set _ZN7rocprim17ROCPRIM_400000_NS6detail17trampoline_kernelINS0_13select_configILj256ELj13ELNS0_17block_load_methodE3ELS4_3ELS4_3ELNS0_20block_scan_algorithmE0ELj4294967295EEENS1_25partition_config_selectorILNS1_17partition_subalgoE3EjNS0_10empty_typeEbEEZZNS1_14partition_implILS8_3ELb0ES6_jNS0_17counting_iteratorIjlEEPS9_SE_NS0_5tupleIJPjSE_EEENSF_IJSE_SE_EEES9_SG_JZNS1_25segmented_radix_sort_implINS0_14default_configELb1EPK12hip_bfloat16PSL_PKlPlN2at6native12_GLOBAL__N_18offset_tEEE10hipError_tPvRmT1_PNSt15iterator_traitsISZ_E10value_typeET2_T3_PNS10_IS15_E10value_typeET4_jRbjT5_S1B_jjP12ihipStream_tbEUljE_EEESW_SX_SY_S15_S19_S1B_T6_T7_T9_mT8_S1D_bDpT10_ENKUlT_T0_E_clISt17integral_constantIbLb0EES1P_IbLb1EEEEDaS1L_S1M_EUlS1L_E_NS1_11comp_targetILNS1_3genE8ELNS1_11target_archE1030ELNS1_3gpuE2ELNS1_3repE0EEENS1_30default_config_static_selectorELNS0_4arch9wavefront6targetE0EEEvSZ_.has_dyn_sized_stack, 0
	.set _ZN7rocprim17ROCPRIM_400000_NS6detail17trampoline_kernelINS0_13select_configILj256ELj13ELNS0_17block_load_methodE3ELS4_3ELS4_3ELNS0_20block_scan_algorithmE0ELj4294967295EEENS1_25partition_config_selectorILNS1_17partition_subalgoE3EjNS0_10empty_typeEbEEZZNS1_14partition_implILS8_3ELb0ES6_jNS0_17counting_iteratorIjlEEPS9_SE_NS0_5tupleIJPjSE_EEENSF_IJSE_SE_EEES9_SG_JZNS1_25segmented_radix_sort_implINS0_14default_configELb1EPK12hip_bfloat16PSL_PKlPlN2at6native12_GLOBAL__N_18offset_tEEE10hipError_tPvRmT1_PNSt15iterator_traitsISZ_E10value_typeET2_T3_PNS10_IS15_E10value_typeET4_jRbjT5_S1B_jjP12ihipStream_tbEUljE_EEESW_SX_SY_S15_S19_S1B_T6_T7_T9_mT8_S1D_bDpT10_ENKUlT_T0_E_clISt17integral_constantIbLb0EES1P_IbLb1EEEEDaS1L_S1M_EUlS1L_E_NS1_11comp_targetILNS1_3genE8ELNS1_11target_archE1030ELNS1_3gpuE2ELNS1_3repE0EEENS1_30default_config_static_selectorELNS0_4arch9wavefront6targetE0EEEvSZ_.has_recursion, 0
	.set _ZN7rocprim17ROCPRIM_400000_NS6detail17trampoline_kernelINS0_13select_configILj256ELj13ELNS0_17block_load_methodE3ELS4_3ELS4_3ELNS0_20block_scan_algorithmE0ELj4294967295EEENS1_25partition_config_selectorILNS1_17partition_subalgoE3EjNS0_10empty_typeEbEEZZNS1_14partition_implILS8_3ELb0ES6_jNS0_17counting_iteratorIjlEEPS9_SE_NS0_5tupleIJPjSE_EEENSF_IJSE_SE_EEES9_SG_JZNS1_25segmented_radix_sort_implINS0_14default_configELb1EPK12hip_bfloat16PSL_PKlPlN2at6native12_GLOBAL__N_18offset_tEEE10hipError_tPvRmT1_PNSt15iterator_traitsISZ_E10value_typeET2_T3_PNS10_IS15_E10value_typeET4_jRbjT5_S1B_jjP12ihipStream_tbEUljE_EEESW_SX_SY_S15_S19_S1B_T6_T7_T9_mT8_S1D_bDpT10_ENKUlT_T0_E_clISt17integral_constantIbLb0EES1P_IbLb1EEEEDaS1L_S1M_EUlS1L_E_NS1_11comp_targetILNS1_3genE8ELNS1_11target_archE1030ELNS1_3gpuE2ELNS1_3repE0EEENS1_30default_config_static_selectorELNS0_4arch9wavefront6targetE0EEEvSZ_.has_indirect_call, 0
	.section	.AMDGPU.csdata,"",@progbits
; Kernel info:
; codeLenInByte = 0
; TotalNumSgprs: 0
; NumVgprs: 0
; ScratchSize: 0
; MemoryBound: 0
; FloatMode: 240
; IeeeMode: 1
; LDSByteSize: 0 bytes/workgroup (compile time only)
; SGPRBlocks: 0
; VGPRBlocks: 0
; NumSGPRsForWavesPerEU: 1
; NumVGPRsForWavesPerEU: 1
; NamedBarCnt: 0
; Occupancy: 16
; WaveLimiterHint : 0
; COMPUTE_PGM_RSRC2:SCRATCH_EN: 0
; COMPUTE_PGM_RSRC2:USER_SGPR: 2
; COMPUTE_PGM_RSRC2:TRAP_HANDLER: 0
; COMPUTE_PGM_RSRC2:TGID_X_EN: 1
; COMPUTE_PGM_RSRC2:TGID_Y_EN: 0
; COMPUTE_PGM_RSRC2:TGID_Z_EN: 0
; COMPUTE_PGM_RSRC2:TIDIG_COMP_CNT: 0
	.text
	.p2align	2                               ; -- Begin function _ZN7rocprim17ROCPRIM_400000_NS6detail40segmented_radix_sort_single_block_helperI12hip_bfloat16lLj256ELj16ELb1EE4sortIPKS3_PS3_PKlPlEEbT_T0_T1_T2_jjjjRNS4_12storage_typeE
	.type	_ZN7rocprim17ROCPRIM_400000_NS6detail40segmented_radix_sort_single_block_helperI12hip_bfloat16lLj256ELj16ELb1EE4sortIPKS3_PS3_PKlPlEEbT_T0_T1_T2_jjjjRNS4_12storage_typeE,@function
_ZN7rocprim17ROCPRIM_400000_NS6detail40segmented_radix_sort_single_block_helperI12hip_bfloat16lLj256ELj16ELb1EE4sortIPKS3_PS3_PKlPlEEbT_T0_T1_T2_jjjjRNS4_12storage_typeE: ; @_ZN7rocprim17ROCPRIM_400000_NS6detail40segmented_radix_sort_single_block_helperI12hip_bfloat16lLj256ELj16ELb1EE4sortIPKS3_PS3_PKlPlEEbT_T0_T1_T2_jjjjRNS4_12storage_typeE
; %bb.0:
	s_wait_loadcnt_dscnt 0x0
	s_wait_kmcnt 0x0
	s_set_vgpr_msb 64                       ;  msbs: dst=1 src0=0 src1=0 src2=0
	v_sub_nc_u32_e32 v0 /*v256*/, v9, v8
	s_mov_b32 s22, exec_lo
	s_set_vgpr_msb 4                        ;  msbs: dst=0 src0=0 src1=1 src2=0
	s_delay_alu instid0(VALU_DEP_1)
	v_cmpx_gt_u32_e32 0x1001, v0 /*v256*/
	s_set_vgpr_msb 0                        ;  msbs: dst=0 src0=0 src1=0 src2=0
	s_cbranch_execz .LBB1936_372
; %bb.1:
	v_bfe_u32 v9, v31, 10, 10
	v_bfe_u32 v14, v31, 20, 10
	v_and_b32_e32 v30, 0x3ff, v31
	v_mbcnt_lo_u32_b32 v33, -1, 0
	s_getreg_b32 s23, hwreg(HW_REG_IB_STS2, 6, 4)
	s_mov_b32 s0, exec_lo
	s_set_vgpr_msb 4                        ;  msbs: dst=0 src0=0 src1=1 src2=0
	v_cmpx_lt_u32_e32 0x800, v0 /*v256*/
	s_xor_b32 s21, exec_lo, s0
	s_set_vgpr_msb 0                        ;  msbs: dst=0 src0=0 src1=0 src2=0
	s_cbranch_execz .LBB1936_143
; %bb.2:
	s_load_b64 s[0:1], s[8:9], 0x0
	s_bfe_u32 s3, ttmp6, 0x4000c
	s_bfe_u32 s5, ttmp6, 0x40010
	s_and_b32 s4, ttmp7, 0xffff
	s_add_co_i32 s3, s3, 1
	s_add_co_i32 s5, s5, 1
	s_and_b32 s2, ttmp6, 15
	s_bfe_u32 s6, ttmp6, 0x40004
	s_mul_i32 s3, ttmp9, s3
	s_mul_i32 s5, s4, s5
	s_add_co_i32 s2, s2, s3
	s_add_co_i32 s6, s6, s5
	s_cmp_eq_u32 s23, 0
	s_mov_b32 s3, 0
	s_cselect_b32 s2, ttmp9, s2
	s_cselect_b32 s4, s4, s6
	s_wait_kmcnt 0x0
	s_cmp_lt_u32 s2, s0
	s_cselect_b32 s2, 12, 18
	s_cmp_lt_u32 s4, s1
	s_mov_b32 s1, s3
	s_cselect_b32 s0, 14, 20
	s_delay_alu instid0(SALU_CYCLE_1)
	s_add_nc_u64 s[0:1], s[8:9], s[0:1]
	s_load_u16 s4, s[0:1], 0x0
	s_wait_xcnt 0x0
	s_add_nc_u64 s[0:1], s[8:9], s[2:3]
	s_load_u16 s0, s[0:1], 0x0
	s_wait_kmcnt 0x0
	v_mad_u32_u24 v9, v14, s4, v9
	v_lshlrev_b32_e32 v14, 1, v33
	s_delay_alu instid0(VALU_DEP_2) | instskip(SKIP_1) | instid1(VALU_DEP_1)
	v_mad_u32 v38, v9, s0, v30
	v_mov_b32_e32 v9, 0
	v_lshl_add_u64 v[16:17], v[8:9], 1, v[0:1]
	s_delay_alu instid0(VALU_DEP_3) | instskip(NEXT) | instid1(VALU_DEP_1)
	v_dual_mov_b32 v15, v9 :: v_dual_lshlrev_b32 v18, 4, v38
	v_add_nc_u64_e32 v[14:15], v[16:17], v[14:15]
	v_dual_mov_b32 v16, -1 :: v_dual_mov_b32 v17, -1
	s_delay_alu instid0(VALU_DEP_3) | instskip(NEXT) | instid1(VALU_DEP_1)
	v_and_b32_e32 v0, 0xfffffe00, v18
	v_dual_mov_b32 v1, v9 :: v_dual_bitop2_b32 v34, v0, v33 bitop3:0x54
	s_delay_alu instid0(VALU_DEP_1) | instskip(SKIP_1) | instid1(VALU_DEP_2)
	v_lshl_add_u64 v[14:15], v[0:1], 1, v[14:15]
	s_set_vgpr_msb 4                        ;  msbs: dst=0 src0=0 src1=1 src2=0
	v_cmp_lt_u32_e32 vcc_lo, v34, v0 /*v256*/
	s_and_saveexec_b32 s0, vcc_lo
	s_set_vgpr_msb 0                        ;  msbs: dst=0 src0=0 src1=0 src2=0
	s_cbranch_execz .LBB1936_4
; %bb.3:
	flat_load_u16 v17, v[14:15]
.LBB1936_4:
	s_wait_xcnt 0x0
	s_or_b32 exec_lo, exec_lo, s0
	v_or_b32_e32 v18, 32, v34
	s_set_vgpr_msb 4                        ;  msbs: dst=0 src0=0 src1=1 src2=0
	s_delay_alu instid0(VALU_DEP_1)
	v_cmp_lt_u32_e64 s0, v18, v0 /*v256*/
	s_and_saveexec_b32 s1, s0
	s_set_vgpr_msb 0                        ;  msbs: dst=0 src0=0 src1=0 src2=0
	s_cbranch_execz .LBB1936_6
; %bb.5:
	flat_load_u16 v16, v[14:15] offset:64
.LBB1936_6:
	s_wait_xcnt 0x0
	s_or_b32 exec_lo, exec_lo, s1
	v_dual_mov_b32 v18, -1 :: v_dual_bitop2_b32 v19, 64, v34 bitop3:0x54
	s_set_vgpr_msb 4                        ;  msbs: dst=0 src0=0 src1=1 src2=0
	s_delay_alu instid0(VALU_DEP_1)
	v_cmp_lt_u32_e64 s1, v19, v0 /*v256*/
	v_mov_b32_e32 v19, -1
	s_and_saveexec_b32 s2, s1
	s_set_vgpr_msb 0                        ;  msbs: dst=0 src0=0 src1=0 src2=0
	s_cbranch_execz .LBB1936_8
; %bb.7:
	flat_load_u16 v19, v[14:15] offset:128
.LBB1936_8:
	s_wait_xcnt 0x0
	s_or_b32 exec_lo, exec_lo, s2
	v_or_b32_e32 v20, 0x60, v34
	s_set_vgpr_msb 4                        ;  msbs: dst=0 src0=0 src1=1 src2=0
	s_delay_alu instid0(VALU_DEP_1)
	v_cmp_lt_u32_e64 s2, v20, v0 /*v256*/
	s_and_saveexec_b32 s3, s2
	s_set_vgpr_msb 0                        ;  msbs: dst=0 src0=0 src1=0 src2=0
	s_cbranch_execz .LBB1936_10
; %bb.9:
	flat_load_u16 v18, v[14:15] offset:192
.LBB1936_10:
	s_wait_xcnt 0x0
	s_or_b32 exec_lo, exec_lo, s3
	v_or_b32_e32 v21, 0x80, v34
	v_mov_b32_e32 v20, -1
	s_set_vgpr_msb 4                        ;  msbs: dst=0 src0=0 src1=1 src2=0
	s_delay_alu instid0(VALU_DEP_2)
	v_cmp_lt_u32_e64 s3, v21, v0 /*v256*/
	v_mov_b32_e32 v21, -1
	s_and_saveexec_b32 s4, s3
	s_set_vgpr_msb 0                        ;  msbs: dst=0 src0=0 src1=0 src2=0
	s_cbranch_execz .LBB1936_12
; %bb.11:
	flat_load_u16 v21, v[14:15] offset:256
.LBB1936_12:
	s_wait_xcnt 0x0
	s_or_b32 exec_lo, exec_lo, s4
	v_or_b32_e32 v22, 0xa0, v34
	s_set_vgpr_msb 4                        ;  msbs: dst=0 src0=0 src1=1 src2=0
	s_delay_alu instid0(VALU_DEP_1)
	v_cmp_lt_u32_e64 s4, v22, v0 /*v256*/
	s_and_saveexec_b32 s5, s4
	s_set_vgpr_msb 0                        ;  msbs: dst=0 src0=0 src1=0 src2=0
	s_cbranch_execz .LBB1936_14
; %bb.13:
	flat_load_u16 v20, v[14:15] offset:320
.LBB1936_14:
	s_wait_xcnt 0x0
	s_or_b32 exec_lo, exec_lo, s5
	v_or_b32_e32 v23, 0xc0, v34
	v_mov_b32_e32 v22, -1
	s_set_vgpr_msb 4                        ;  msbs: dst=0 src0=0 src1=1 src2=0
	s_delay_alu instid0(VALU_DEP_2)
	;; [unrolled: 26-line block ×6, first 2 shown]
	v_cmp_lt_u32_e64 s15, v32, v0 /*v256*/
	v_mov_b32_e32 v32, -1
	s_and_saveexec_b32 s16, s15
	s_set_vgpr_msb 0                        ;  msbs: dst=0 src0=0 src1=0 src2=0
	s_cbranch_execz .LBB1936_32
; %bb.31:
	flat_load_u16 v32, v[14:15] offset:896
.LBB1936_32:
	s_wait_xcnt 0x0
	s_or_b32 exec_lo, exec_lo, s16
	v_or_b32_e32 v34, 0x1e0, v34
	s_set_vgpr_msb 4                        ;  msbs: dst=0 src0=0 src1=1 src2=0
	s_delay_alu instid0(VALU_DEP_1)
	v_cmp_lt_u32_e64 s16, v34, v0 /*v256*/
	s_and_saveexec_b32 s17, s16
	s_set_vgpr_msb 0                        ;  msbs: dst=0 src0=0 src1=0 src2=0
	s_cbranch_execz .LBB1936_34
; %bb.33:
	flat_load_u16 v31, v[14:15] offset:960
.LBB1936_34:
	s_wait_xcnt 0x0
	s_or_b32 exec_lo, exec_lo, s17
	v_lshl_add_u64 v[4:5], v[8:9], 3, v[4:5]
	v_dual_mov_b32 v15, 0 :: v_dual_lshlrev_b32 v14, 3, v33
                                        ; implicit-def: $vgpr66_vgpr67
	s_delay_alu instid0(VALU_DEP_1) | instskip(NEXT) | instid1(VALU_DEP_1)
	v_add_nc_u64_e32 v[4:5], v[4:5], v[14:15]
	v_lshl_add_u64 v[0:1], v[0:1], 3, v[4:5]
	s_and_saveexec_b32 s17, vcc_lo
	s_cbranch_execnz .LBB1936_196
; %bb.35:
	s_or_b32 exec_lo, exec_lo, s17
                                        ; implicit-def: $vgpr68_vgpr69
	s_and_saveexec_b32 s17, s0
	s_cbranch_execnz .LBB1936_197
.LBB1936_36:
	s_or_b32 exec_lo, exec_lo, s17
                                        ; implicit-def: $vgpr70_vgpr71
	s_and_saveexec_b32 s0, s1
	s_cbranch_execnz .LBB1936_198
.LBB1936_37:
	s_or_b32 exec_lo, exec_lo, s0
                                        ; implicit-def: $vgpr80_vgpr81
	s_and_saveexec_b32 s0, s2
	s_cbranch_execnz .LBB1936_199
.LBB1936_38:
	s_or_b32 exec_lo, exec_lo, s0
                                        ; implicit-def: $vgpr82_vgpr83
	s_and_saveexec_b32 s0, s3
	s_cbranch_execnz .LBB1936_200
.LBB1936_39:
	s_or_b32 exec_lo, exec_lo, s0
                                        ; implicit-def: $vgpr84_vgpr85
	s_and_saveexec_b32 s0, s4
	s_cbranch_execnz .LBB1936_201
.LBB1936_40:
	s_or_b32 exec_lo, exec_lo, s0
                                        ; implicit-def: $vgpr86_vgpr87
	s_and_saveexec_b32 s0, s5
	s_cbranch_execnz .LBB1936_202
.LBB1936_41:
	s_or_b32 exec_lo, exec_lo, s0
                                        ; implicit-def: $vgpr98_vgpr99
	s_and_saveexec_b32 s0, s6
	s_cbranch_execnz .LBB1936_203
.LBB1936_42:
	s_or_b32 exec_lo, exec_lo, s0
                                        ; implicit-def: $vgpr102_vgpr103
	s_and_saveexec_b32 s0, s7
	s_cbranch_execnz .LBB1936_204
.LBB1936_43:
	s_or_b32 exec_lo, exec_lo, s0
                                        ; implicit-def: $vgpr96_vgpr97
	s_and_saveexec_b32 s0, s10
	s_cbranch_execnz .LBB1936_205
.LBB1936_44:
	s_or_b32 exec_lo, exec_lo, s0
                                        ; implicit-def: $vgpr100_vgpr101
	s_and_saveexec_b32 s0, s11
	s_cbranch_execnz .LBB1936_206
.LBB1936_45:
	s_or_b32 exec_lo, exec_lo, s0
                                        ; implicit-def: $vgpr112_vgpr113
	s_and_saveexec_b32 s0, s12
	s_cbranch_execnz .LBB1936_207
.LBB1936_46:
	s_or_b32 exec_lo, exec_lo, s0
                                        ; implicit-def: $vgpr114_vgpr115
	s_and_saveexec_b32 s0, s13
	s_cbranch_execnz .LBB1936_208
.LBB1936_47:
	s_or_b32 exec_lo, exec_lo, s0
                                        ; implicit-def: $vgpr118_vgpr119
	s_and_saveexec_b32 s0, s14
	s_cbranch_execnz .LBB1936_209
.LBB1936_48:
	s_or_b32 exec_lo, exec_lo, s0
                                        ; implicit-def: $vgpr164_vgpr165
	s_and_saveexec_b32 s0, s15
	s_cbranch_execnz .LBB1936_210
.LBB1936_49:
	s_or_b32 exec_lo, exec_lo, s0
                                        ; implicit-def: $vgpr176_vgpr177
	s_and_saveexec_b32 s0, s16
	s_cbranch_execz .LBB1936_51
.LBB1936_50:
	flat_load_b64 v[176:177], v[0:1] offset:3840
.LBB1936_51:
	s_wait_xcnt 0x0
	s_or_b32 exec_lo, exec_lo, s0
	s_wait_loadcnt_dscnt 0x0
	v_cmp_gt_i16_e32 vcc_lo, 0, v17
	s_get_pc_i64 s[0:1]
	s_add_nc_u64 s[0:1], s[0:1], _ZN7rocprim17ROCPRIM_400000_NS16block_radix_sortI12hip_bfloat16Lj256ELj16ElLj1ELj1ELj8ELNS0_26block_radix_rank_algorithmE2ELNS0_18block_padding_hintE2ELNS0_4arch9wavefront6targetE0EE19radix_bits_per_passE@rel64+4
	v_mov_b64_e32 v[64:65], 0
	s_load_b32 s24, s[0:1], 0x0
	v_cmp_lt_u32_e64 s7, 31, v30
	v_cndmask_b32_e64 v0, 0x7fff, 0, vcc_lo
	v_cmp_gt_i16_e32 vcc_lo, 0, v16
	v_cmp_eq_u32_e64 s10, 0, v30
	s_set_vgpr_msb 64                       ;  msbs: dst=1 src0=0 src1=0 src2=0
	v_lshl_add_u32 v11 /*v267*/, v30, 2, v12
	s_mov_b32 s25, 0
	s_set_vgpr_msb 0                        ;  msbs: dst=0 src0=0 src1=0 src2=0
	v_xor_b32_e32 v183, v0, v17
	v_cndmask_b32_e64 v1, 0x7fff, 0, vcc_lo
	v_cmp_gt_i16_e32 vcc_lo, 0, v19
	s_wait_storecnt 0x0
	s_barrier_signal -1
	s_barrier_wait -1
	v_xor_b32_e32 v133, v1, v16
	v_cndmask_b32_e64 v4, 0x7fff, 0, vcc_lo
	v_cmp_gt_i16_e32 vcc_lo, 0, v18
	s_set_vgpr_msb 64                       ;  msbs: dst=1 src0=0 src1=0 src2=0
	v_lshrrev_b32_e32 v7 /*v263*/, 5, v38
	v_sub_nc_u32_e32 v30 /*v286*/, v11, v10
	s_set_vgpr_msb 0                        ;  msbs: dst=0 src0=0 src1=0 src2=0
	v_xor_b32_e32 v135, v4, v19
	v_cndmask_b32_e64 v0, 0x7fff, 0, vcc_lo
	v_cmp_gt_i16_e32 vcc_lo, 0, v21
	s_delay_alu instid0(VALU_DEP_2) | instskip(SKIP_2) | instid1(VALU_DEP_2)
	v_xor_b32_e32 v149, v0, v18
	v_cndmask_b32_e64 v1, 0x7fff, 0, vcc_lo
	v_cmp_gt_i16_e32 vcc_lo, 0, v20
	v_xor_b32_e32 v167, v1, v21
	v_cndmask_b32_e64 v4, 0x7fff, 0, vcc_lo
	v_cmp_gt_i16_e32 vcc_lo, 0, v23
	s_delay_alu instid0(VALU_DEP_2) | instskip(SKIP_2) | instid1(VALU_DEP_2)
	v_xor_b32_e32 v161, v4, v20
	v_cndmask_b32_e64 v5, 0x7fff, 0, vcc_lo
	v_cmp_gt_i16_e32 vcc_lo, 0, v22
	;; [unrolled: 7-line block ×3, first 2 shown]
	v_xor_b32_e32 v181, v0, v25
	v_cndmask_b32_e64 v1, 0x7fff, 0, vcc_lo
	v_cmp_gt_i16_e32 vcc_lo, 0, v27
	v_cndmask_b32_e64 v4, 0x7fff, 0, vcc_lo
	v_cmp_gt_i16_e32 vcc_lo, 0, v26
	s_delay_alu instid0(VALU_DEP_2) | instskip(SKIP_2) | instid1(VALU_DEP_2)
	v_xor_b32_e32 v179, v4, v27
	v_cndmask_b32_e64 v5, 0x7fff, 0, vcc_lo
	v_cmp_gt_i16_e32 vcc_lo, 0, v29
	v_xor_b32_e32 v129, v5, v26
	v_cndmask_b32_e64 v14, 0x7fff, 0, vcc_lo
	v_cmp_gt_i16_e32 vcc_lo, 0, v28
	v_lshl_add_u32 v5, v30, 5, v12
	s_set_vgpr_msb 64                       ;  msbs: dst=1 src0=0 src1=0 src2=0
	v_xor_b32_e32 v47 /*v303*/, v1, v24
	s_set_vgpr_msb 0                        ;  msbs: dst=0 src0=0 src1=0 src2=0
	v_xor_b32_e32 v117, v14, v29
	v_cndmask_b32_e64 v0, 0x7fff, 0, vcc_lo
	v_cmp_gt_i16_e32 vcc_lo, 0, v32
	v_add_nc_u32_e32 v39, 36, v5
	s_set_vgpr_msb 64                       ;  msbs: dst=1 src0=0 src1=0 src2=0
	v_dual_add_nc_u32 v1 /*v257*/, 40, v5 :: v_dual_add_nc_u32 v2 /*v258*/, 44, v5
	v_add_nc_u32_e32 v3 /*v259*/, 48, v5
	s_set_vgpr_msb 0                        ;  msbs: dst=0 src0=0 src1=0 src2=0
	v_cndmask_b32_e64 v1, 0x7fff, 0, vcc_lo
	v_cmp_gt_i16_e32 vcc_lo, 0, v31
	v_xor_b32_e32 v131, v0, v28
	v_and_b32_e32 v0, 0x3e0, v30
	s_set_vgpr_msb 64                       ;  msbs: dst=1 src0=0 src1=0 src2=0
	v_dual_add_nc_u32 v4 /*v260*/, 52, v5 :: v_dual_add_nc_u32 v5 /*v261*/, 56, v5
	s_set_vgpr_msb 0                        ;  msbs: dst=0 src0=0 src1=0 src2=0
	v_cndmask_b32_e64 v4, 0x7fff, 0, vcc_lo
	v_xor_b32_e32 v145, v1, v32
	v_and_b32_e32 v1, 15, v33
	s_set_vgpr_msb 64                       ;  msbs: dst=1 src0=0 src1=0 src2=0
	v_add_nc_u32_e32 v6 /*v262*/, 60, v5
	s_set_vgpr_msb 0                        ;  msbs: dst=0 src0=0 src1=0 src2=0
	v_min_u32_e32 v0, 0xe0, v0
	v_dual_add_nc_u32 v31, 32, v5 :: v_dual_bitop2_b32 v147, v4, v31 bitop3:0x14
	v_cmp_eq_u32_e32 vcc_lo, 0, v1
	s_wait_xcnt 0x0
	v_cmp_lt_u32_e64 s0, 1, v1
	v_cmp_lt_u32_e64 s1, 3, v1
	v_sub_co_u32 v5, s2, v33, 1
	v_cmp_lt_u32_e64 s3, 7, v1
	v_dual_lshlrev_b32 v1, 4, v30 :: v_dual_bitop2_b32 v4, 16, v33 bitop3:0x40
	v_or_b32_e32 v0, 31, v0
	s_delay_alu instid0(VALU_DEP_4) | instskip(NEXT) | instid1(VALU_DEP_3)
	v_cmp_gt_i32_e64 s6, 0, v5
	v_and_or_b32 v1, 0x3e00, v1, v33
	s_delay_alu instid0(VALU_DEP_4) | instskip(NEXT) | instid1(VALU_DEP_4)
	v_cmp_eq_u32_e64 s4, 0, v4
	v_cmp_eq_u32_e64 s5, v30, v0
	s_delay_alu instid0(VALU_DEP_4)
	v_dual_lshrrev_b32 v0, 3, v30 :: v_dual_cndmask_b32 v4, v5, v33, s6
	s_set_vgpr_msb 64                       ;  msbs: dst=1 src0=0 src1=0 src2=0
	v_lshl_add_u32 v9 /*v265*/, v1, 1, v12
	s_set_vgpr_msb 0                        ;  msbs: dst=0 src0=0 src1=0 src2=0
	v_mul_u32_u24_e32 v5, 6, v1
	v_cmp_gt_u32_e64 s6, 8, v30
	v_and_b32_e32 v0, 0x7c, v0
	s_set_vgpr_msb 64                       ;  msbs: dst=1 src0=0 src1=0 src2=0
	v_lshlrev_b32_e32 v8 /*v264*/, 2, v4
	s_set_vgpr_msb 0                        ;  msbs: dst=0 src0=0 src1=0 src2=0
	v_and_b32_e32 v4, 7, v33
	s_set_vgpr_msb 0x41                     ;  msbs: dst=1 src0=1 src1=0 src2=0
	v_add_nc_u32_e32 v12 /*v268*/, v9 /*v265*/, v5
	s_set_vgpr_msb 0                        ;  msbs: dst=0 src0=0 src1=0 src2=0
	v_mov_b32_e32 v1, 0
	s_set_vgpr_msb 64                       ;  msbs: dst=1 src0=0 src1=0 src2=0
	v_add_nc_u32_e32 v10 /*v266*/, v12, v0
	s_set_vgpr_msb 0x44                     ;  msbs: dst=1 src0=0 src1=1 src2=0
	v_add_nc_u32_e32 v13 /*v269*/, 0x380, v9 /*v265*/
	s_set_vgpr_msb 0                        ;  msbs: dst=0 src0=0 src1=0 src2=0
	v_cmp_eq_u32_e64 s11, 0, v4
	v_cmp_lt_u32_e64 s12, 1, v4
	v_cmp_lt_u32_e64 s13, 3, v4
	s_set_vgpr_msb 0x44                     ;  msbs: dst=1 src0=0 src1=1 src2=0
	v_add_nc_u32_e32 v14 /*v270*/, 0x3c0, v9 /*v265*/
	v_add_nc_u32_e32 v15 /*v271*/, 0x100, v12 /*v268*/
	;; [unrolled: 1-line block ×16, first 2 shown]
	s_set_vgpr_msb 0                        ;  msbs: dst=0 src0=0 src1=0 src2=0
	s_branch .LBB1936_53
.LBB1936_52:                            ;   in Loop: Header=BB1936_53 Depth=1
	s_or_b32 exec_lo, exec_lo, s15
	s_delay_alu instid0(SALU_CYCLE_1) | instskip(NEXT) | instid1(SALU_CYCLE_1)
	s_and_b32 s14, exec_lo, s16
	s_or_b32 s25, s14, s25
	s_delay_alu instid0(SALU_CYCLE_1)
	s_and_not1_b32 exec_lo, exec_lo, s25
	s_cbranch_execz .LBB1936_93
.LBB1936_53:                            ; =>This Inner Loop Header: Depth=1
	s_set_vgpr_msb 64                       ;  msbs: dst=1 src0=0 src1=0 src2=0
	v_dual_mov_b32 v31 /*v287*/, v183 :: v_dual_mov_b32 v34 /*v290*/, v133
	s_wait_kmcnt 0x0
	s_set_vgpr_msb 4                        ;  msbs: dst=0 src0=0 src1=1 src2=0
	v_min_u32_e32 v48, s24, v30 /*v286*/
	v_mov_b64_e32 v[26:27], v[68:69]
	v_mov_b64_e32 v[28:29], v[66:67]
	v_cmp_ne_u16_e64 s14, 0x8000, v31 /*v287*/
	v_mov_b64_e32 v[24:25], v[70:71]
	v_lshlrev_b32_e64 v68, v48, -1
	v_mov_b64_e32 v[22:23], v[80:81]
	v_mov_b64_e32 v[20:21], v[82:83]
	v_cndmask_b32_e64 v0, 0x7fff, v31 /*v287*/, s14
	v_mov_b64_e32 v[18:19], v[84:85]
	v_mov_b64_e32 v[16:17], v[86:87]
	;; [unrolled: 1-line block ×4, first 2 shown]
	s_set_vgpr_msb 0                        ;  msbs: dst=0 src0=0 src1=0 src2=0
	v_and_b32_e32 v0, 0xffff, v0
	v_mov_b64_e32 v[54:55], v[96:97]
	v_mov_b64_e32 v[52:53], v[100:101]
	;; [unrolled: 1-line block ×4, first 2 shown]
	v_lshrrev_b32_e32 v0, v10, v0
	v_mov_b64_e32 v[34:35], v[118:119]
	v_mov_b64_e32 v[32:33], v[164:165]
	;; [unrolled: 1-line block ×3, first 2 shown]
	s_set_vgpr_msb 64                       ;  msbs: dst=1 src0=0 src1=0 src2=0
	v_dual_mov_b32 v33 /*v289*/, v135 :: v_dual_mov_b32 v32 /*v288*/, v149
	s_set_vgpr_msb 0                        ;  msbs: dst=0 src0=0 src1=0 src2=0
	v_bitop3_b32 v66, v0, v68, v0 bitop3:0x30
	s_set_vgpr_msb 64                       ;  msbs: dst=1 src0=0 src1=0 src2=0
	v_dual_mov_b32 v35 /*v291*/, v167 :: v_dual_mov_b32 v37 /*v293*/, v161
	v_dual_mov_b32 v36 /*v292*/, v163 :: v_dual_mov_b32 v39 /*v295*/, v151
	s_set_vgpr_msb 0                        ;  msbs: dst=0 src0=0 src1=0 src2=0
	v_lshlrev_b32_e32 v67, 30, v66
	v_bitop3_b32 v0, v0, 1, v68 bitop3:0x40
	v_lshlrev_b32_e32 v81, 25, v66
	s_set_vgpr_msb 64                       ;  msbs: dst=1 src0=0 src1=0 src2=0
	v_dual_mov_b32 v38 /*v294*/, v181 :: v_dual_mov_b32 v41 /*v297*/, v179
	s_set_vgpr_msb 0                        ;  msbs: dst=0 src0=0 src1=0 src2=0
	v_not_b32_e32 v70, v67
	v_add_co_u32 v0, s14, v0, -1
	s_delay_alu instid0(VALU_DEP_1)
	v_cndmask_b32_e64 v69, 0, 1, s14
	v_cmp_gt_i32_e64 s15, 0, v67
	s_set_vgpr_msb 0x41                     ;  msbs: dst=1 src0=1 src1=0 src2=0
	v_mov_b32_e32 v40 /*v296*/, v47 /*v303*/
	s_set_vgpr_msb 64                       ;  msbs: dst=1 src0=0 src1=0 src2=0
	v_dual_mov_b32 v42 /*v298*/, v129 :: v_dual_mov_b32 v43 /*v299*/, v117
	v_cmp_ne_u32_e64 s14, 0, v69
	s_set_vgpr_msb 0                        ;  msbs: dst=0 src0=0 src1=0 src2=0
	v_lshlrev_b32_e32 v69, 29, v66
	v_ashrrev_i32_e32 v67, 31, v70
	v_lshlrev_b32_e32 v70, 28, v66
	s_set_vgpr_msb 64                       ;  msbs: dst=1 src0=0 src1=0 src2=0
	v_dual_mov_b32 v45 /*v301*/, v131 :: v_dual_mov_b32 v44 /*v300*/, v145
	s_set_vgpr_msb 0                        ;  msbs: dst=0 src0=0 src1=0 src2=0
	v_not_b32_e32 v71, v69
	v_xor_b32_e32 v0, s14, v0
	v_xor_b32_e32 v67, s15, v67
	v_not_b32_e32 v80, v70
	v_cmp_gt_i32_e64 s14, 0, v69
	v_dual_ashrrev_i32 v69, 31, v71 :: v_dual_lshlrev_b32 v71, 27, v66
	v_cmp_gt_i32_e64 s15, 0, v70
	s_delay_alu instid0(VALU_DEP_4) | instskip(SKIP_1) | instid1(VALU_DEP_4)
	v_ashrrev_i32_e32 v70, 31, v80
	v_bitop3_b32 v0, v0, v67, exec_lo bitop3:0x80
	v_dual_lshlrev_b32 v67, 26, v66 :: v_dual_bitop2_b32 v69, s14, v69 bitop3:0x14
	v_not_b32_e32 v80, v71
	s_delay_alu instid0(VALU_DEP_4) | instskip(SKIP_1) | instid1(VALU_DEP_4)
	v_xor_b32_e32 v70, s15, v70
	v_cmp_gt_i32_e64 s14, 0, v71
	v_not_b32_e32 v71, v67
	v_cmp_gt_i32_e64 s15, 0, v67
	v_dual_ashrrev_i32 v80, 31, v80 :: v_dual_lshlrev_b32 v67, 24, v66
	v_bitop3_b32 v0, v0, v70, v69 bitop3:0x80
	s_delay_alu instid0(VALU_DEP_4) | instskip(SKIP_1) | instid1(VALU_DEP_4)
	v_ashrrev_i32_e32 v71, 31, v71
	v_not_b32_e32 v69, v81
	v_xor_b32_e32 v70, s14, v80
	v_not_b32_e32 v80, v67
	v_cmp_gt_i32_e64 s14, 0, v81
	s_delay_alu instid0(VALU_DEP_4) | instskip(SKIP_1) | instid1(VALU_DEP_4)
	v_dual_ashrrev_i32 v69, 31, v69 :: v_dual_bitop2_b32 v71, s15, v71 bitop3:0x14
	v_cmp_gt_i32_e64 s15, 0, v67
	v_dual_ashrrev_i32 v67, 31, v80 :: v_dual_lshlrev_b32 v66, 3, v66
	s_delay_alu instid0(VALU_DEP_3) | instskip(NEXT) | instid1(VALU_DEP_4)
	v_bitop3_b32 v70, v0, v71, v70 bitop3:0x80
	v_xor_b32_e32 v69, s14, v69
	s_set_vgpr_msb 64                       ;  msbs: dst=1 src0=0 src1=0 src2=0
	v_mov_b32_e32 v46 /*v302*/, v147
	s_set_vgpr_msb 0                        ;  msbs: dst=0 src0=0 src1=0 src2=0
	v_xor_b32_e32 v67, s15, v67
	s_set_vgpr_msb 4                        ;  msbs: dst=0 src0=0 src1=1 src2=0
	v_add_lshl_u32 v0, v66, v7 /*v263*/, 2
	s_set_vgpr_msb 0                        ;  msbs: dst=0 src0=0 src1=0 src2=0
	ds_store_b64 v31, v[64:65]
	s_set_vgpr_msb 1                        ;  msbs: dst=0 src0=1 src1=0 src2=0
	ds_store_b64 v1 /*v257*/, v[64:65]
	ds_store_b64 v3 /*v259*/, v[64:65]
	;; [unrolled: 1-line block ×3, first 2 shown]
	s_wait_dscnt 0x0
	s_set_vgpr_msb 0                        ;  msbs: dst=0 src0=0 src1=0 src2=0
	v_bitop3_b32 v69, v70, v67, v69 bitop3:0x80
	v_add_nc_u64_e32 v[66:67], v[12:13], v[0:1]
	s_barrier_signal -1
	s_barrier_wait -1
	s_delay_alu instid0(VALU_DEP_2) | instskip(SKIP_1) | instid1(VALU_DEP_3)
	v_mbcnt_lo_u32_b32 v0, v69, 0
	v_cmp_ne_u32_e64 s15, 0, v69
	v_add_nc_u64_e32 v[66:67], 32, v[66:67]
	; wave barrier
	s_delay_alu instid0(VALU_DEP_3) | instskip(SKIP_1) | instid1(SALU_CYCLE_1)
	v_cmp_eq_u32_e64 s14, 0, v0
	s_and_b32 s15, s15, s14
	s_and_saveexec_b32 s14, s15
; %bb.54:                               ;   in Loop: Header=BB1936_53 Depth=1
	v_bcnt_u32_b32 v67, v69, 0
	ds_store_b32 v66, v67
; %bb.55:                               ;   in Loop: Header=BB1936_53 Depth=1
	s_or_b32 exec_lo, exec_lo, s14
	s_set_vgpr_msb 4                        ;  msbs: dst=0 src0=0 src1=1 src2=0
	v_cmp_ne_u16_e64 s14, 0x8000, v34 /*v290*/
	v_not_b32_e32 v83, v68
	; wave barrier
	s_delay_alu instid0(VALU_DEP_2) | instskip(SKIP_1) | instid1(VALU_DEP_1)
	v_cndmask_b32_e64 v67, 0x7fff, v34 /*v290*/, s14
	s_set_vgpr_msb 0                        ;  msbs: dst=0 src0=0 src1=0 src2=0
	v_and_b32_e32 v67, 0xffff, v67
	s_delay_alu instid0(VALU_DEP_1) | instskip(NEXT) | instid1(VALU_DEP_1)
	v_lshrrev_b32_e32 v67, v10, v67
	v_and_b32_e32 v68, v67, v83
	s_delay_alu instid0(VALU_DEP_1) | instskip(SKIP_1) | instid1(VALU_DEP_2)
	v_lshlrev_b32_e32 v71, 30, v68
	v_bitop3_b32 v67, v67, 1, v83 bitop3:0x80
	v_cmp_gt_i32_e64 s15, 0, v71
	s_delay_alu instid0(VALU_DEP_2) | instskip(NEXT) | instid1(VALU_DEP_1)
	v_add_co_u32 v67, s14, v67, -1
	v_cndmask_b32_e64 v70, 0, 1, s14
	s_delay_alu instid0(VALU_DEP_1) | instskip(SKIP_1) | instid1(VALU_DEP_1)
	v_cmp_ne_u32_e64 s14, 0, v70
	v_not_b32_e32 v70, v71
	v_dual_ashrrev_i32 v70, 31, v70 :: v_dual_lshlrev_b32 v80, 29, v68
	v_dual_lshlrev_b32 v81, 28, v68 :: v_dual_lshlrev_b32 v82, 27, v68
	v_lshlrev_b32_e32 v84, 26, v68
	s_set_vgpr_msb 16                       ;  msbs: dst=0 src0=0 src1=0 src2=1
	v_lshl_add_u32 v69, v68, 3, v7 /*v263*/
	v_cmp_gt_i32_e64 s16, 0, v80
	v_not_b32_e32 v71, v80
	v_not_b32_e32 v80, v81
	v_dual_lshlrev_b32 v85, 25, v68 :: v_dual_lshlrev_b32 v68, 24, v68
	v_cmp_gt_i32_e64 s17, 0, v81
	v_cmp_gt_i32_e64 s18, 0, v82
	v_not_b32_e32 v81, v82
	v_not_b32_e32 v82, v84
	v_dual_ashrrev_i32 v80, 31, v80 :: v_dual_bitop2_b32 v67, s14, v67 bitop3:0x14
	v_dual_ashrrev_i32 v71, 31, v71 :: v_dual_bitop2_b32 v70, s15, v70 bitop3:0x14
	v_cmp_gt_i32_e64 s19, 0, v84
	v_not_b32_e32 v84, v85
	v_dual_ashrrev_i32 v81, 31, v81 :: v_dual_ashrrev_i32 v82, 31, v82
	s_delay_alu instid0(VALU_DEP_4)
	v_xor_b32_e32 v71, s16, v71
	v_bitop3_b32 v67, v67, v70, exec_lo bitop3:0x80
	v_not_b32_e32 v70, v68
	v_xor_b32_e32 v80, s17, v80
	v_cmp_gt_i32_e64 s20, 0, v85
	v_dual_ashrrev_i32 v84, 31, v84 :: v_dual_bitop2_b32 v81, s18, v81 bitop3:0x14
	v_cmp_gt_i32_e64 s14, 0, v68
	v_ashrrev_i32_e32 v68, 31, v70
	s_set_vgpr_msb 0                        ;  msbs: dst=0 src0=0 src1=0 src2=0
	v_bitop3_b32 v67, v67, v80, v71 bitop3:0x80
	v_lshl_add_u32 v69, v69, 2, v12
	v_xor_b32_e32 v82, s19, v82
	v_xor_b32_e32 v70, s20, v84
	;; [unrolled: 1-line block ×3, first 2 shown]
	s_delay_alu instid0(VALU_DEP_3) | instskip(SKIP_3) | instid1(VALU_DEP_1)
	v_bitop3_b32 v71, v67, v82, v81 bitop3:0x80
	ds_load_b32 v67, v69 offset:32
	v_add_nc_u32_e32 v69, 32, v69
	; wave barrier
	v_bitop3_b32 v70, v71, v68, v70 bitop3:0x80
	v_mbcnt_lo_u32_b32 v68, v70, 0
	v_cmp_ne_u32_e64 s15, 0, v70
	s_delay_alu instid0(VALU_DEP_2) | instskip(SKIP_1) | instid1(SALU_CYCLE_1)
	v_cmp_eq_u32_e64 s14, 0, v68
	s_and_b32 s15, s15, s14
	s_and_saveexec_b32 s14, s15
	s_cbranch_execz .LBB1936_57
; %bb.56:                               ;   in Loop: Header=BB1936_53 Depth=1
	s_wait_dscnt 0x0
	v_bcnt_u32_b32 v70, v70, v67
	ds_store_b32 v69, v70
.LBB1936_57:                            ;   in Loop: Header=BB1936_53 Depth=1
	s_or_b32 exec_lo, exec_lo, s14
	s_set_vgpr_msb 4                        ;  msbs: dst=0 src0=0 src1=1 src2=0
	v_cmp_ne_u16_e64 s14, 0x8000, v33 /*v289*/
	; wave barrier
	s_delay_alu instid0(VALU_DEP_1) | instskip(SKIP_1) | instid1(VALU_DEP_1)
	v_cndmask_b32_e64 v70, 0x7fff, v33 /*v289*/, s14
	s_set_vgpr_msb 0                        ;  msbs: dst=0 src0=0 src1=0 src2=0
	v_and_b32_e32 v70, 0xffff, v70
	s_delay_alu instid0(VALU_DEP_1) | instskip(NEXT) | instid1(VALU_DEP_1)
	v_lshrrev_b32_e32 v70, v10, v70
	v_and_b32_e32 v71, v70, v83
	s_delay_alu instid0(VALU_DEP_1) | instskip(SKIP_1) | instid1(VALU_DEP_2)
	v_lshlrev_b32_e32 v82, 30, v71
	v_bitop3_b32 v70, v70, 1, v83 bitop3:0x80
	v_cmp_gt_i32_e64 s15, 0, v82
	s_delay_alu instid0(VALU_DEP_2) | instskip(NEXT) | instid1(VALU_DEP_1)
	v_add_co_u32 v70, s14, v70, -1
	v_cndmask_b32_e64 v81, 0, 1, s14
	s_delay_alu instid0(VALU_DEP_1) | instskip(SKIP_1) | instid1(VALU_DEP_1)
	v_cmp_ne_u32_e64 s14, 0, v81
	v_not_b32_e32 v81, v82
	v_dual_ashrrev_i32 v81, 31, v81 :: v_dual_lshlrev_b32 v84, 29, v71
	v_dual_lshlrev_b32 v85, 28, v71 :: v_dual_lshlrev_b32 v86, 27, v71
	v_lshlrev_b32_e32 v87, 26, v71
	s_set_vgpr_msb 16                       ;  msbs: dst=0 src0=0 src1=0 src2=1
	v_lshl_add_u32 v80, v71, 3, v7 /*v263*/
	v_cmp_gt_i32_e64 s16, 0, v84
	v_not_b32_e32 v82, v84
	v_not_b32_e32 v84, v85
	v_dual_lshlrev_b32 v96, 25, v71 :: v_dual_lshlrev_b32 v71, 24, v71
	v_cmp_gt_i32_e64 s17, 0, v85
	v_cmp_gt_i32_e64 s18, 0, v86
	v_not_b32_e32 v85, v86
	v_not_b32_e32 v86, v87
	v_dual_ashrrev_i32 v84, 31, v84 :: v_dual_bitop2_b32 v70, s14, v70 bitop3:0x14
	s_delay_alu instid0(VALU_DEP_3) | instskip(NEXT) | instid1(VALU_DEP_3)
	v_dual_ashrrev_i32 v82, 31, v82 :: v_dual_ashrrev_i32 v85, 31, v85
	v_dual_ashrrev_i32 v86, 31, v86 :: v_dual_bitop2_b32 v81, s15, v81 bitop3:0x14
	v_cmp_gt_i32_e64 s19, 0, v87
	v_not_b32_e32 v87, v96
	v_not_b32_e32 v97, v71
	v_xor_b32_e32 v82, s16, v82
	v_xor_b32_e32 v84, s17, v84
	v_bitop3_b32 v70, v70, v81, exec_lo bitop3:0x80
	v_xor_b32_e32 v81, s19, v86
	v_cmp_gt_i32_e64 s14, 0, v96
	v_ashrrev_i32_e32 v86, 31, v87
	v_cmp_gt_i32_e64 s15, 0, v71
	v_ashrrev_i32_e32 v71, 31, v97
	s_set_vgpr_msb 0                        ;  msbs: dst=0 src0=0 src1=0 src2=0
	v_bitop3_b32 v70, v70, v84, v82 bitop3:0x80
	v_lshl_add_u32 v80, v80, 2, v12
	v_xor_b32_e32 v85, s18, v85
	v_xor_b32_e32 v82, s14, v86
	;; [unrolled: 1-line block ×3, first 2 shown]
	s_delay_alu instid0(VALU_DEP_3) | instskip(SKIP_3) | instid1(VALU_DEP_1)
	v_bitop3_b32 v81, v70, v81, v85 bitop3:0x80
	ds_load_b32 v70, v80 offset:32
	v_add_nc_u32_e32 v80, 32, v80
	; wave barrier
	v_bitop3_b32 v81, v81, v71, v82 bitop3:0x80
	v_mbcnt_lo_u32_b32 v71, v81, 0
	v_cmp_ne_u32_e64 s15, 0, v81
	s_delay_alu instid0(VALU_DEP_2) | instskip(SKIP_1) | instid1(SALU_CYCLE_1)
	v_cmp_eq_u32_e64 s14, 0, v71
	s_and_b32 s15, s15, s14
	s_and_saveexec_b32 s14, s15
	s_cbranch_execz .LBB1936_59
; %bb.58:                               ;   in Loop: Header=BB1936_53 Depth=1
	s_wait_dscnt 0x0
	v_bcnt_u32_b32 v81, v81, v70
	ds_store_b32 v80, v81
.LBB1936_59:                            ;   in Loop: Header=BB1936_53 Depth=1
	s_or_b32 exec_lo, exec_lo, s14
	s_set_vgpr_msb 4                        ;  msbs: dst=0 src0=0 src1=1 src2=0
	v_cmp_ne_u16_e64 s14, 0x8000, v32 /*v288*/
	; wave barrier
	s_delay_alu instid0(VALU_DEP_1) | instskip(SKIP_1) | instid1(VALU_DEP_1)
	v_cndmask_b32_e64 v81, 0x7fff, v32 /*v288*/, s14
	s_set_vgpr_msb 0                        ;  msbs: dst=0 src0=0 src1=0 src2=0
	v_and_b32_e32 v81, 0xffff, v81
	s_delay_alu instid0(VALU_DEP_1) | instskip(NEXT) | instid1(VALU_DEP_1)
	v_lshrrev_b32_e32 v81, v10, v81
	v_and_b32_e32 v82, v81, v83
	s_delay_alu instid0(VALU_DEP_1) | instskip(SKIP_1) | instid1(VALU_DEP_2)
	v_lshlrev_b32_e32 v86, 30, v82
	v_bitop3_b32 v81, v81, 1, v83 bitop3:0x80
	v_cmp_gt_i32_e64 s15, 0, v86
	s_delay_alu instid0(VALU_DEP_2) | instskip(NEXT) | instid1(VALU_DEP_1)
	v_add_co_u32 v81, s14, v81, -1
	v_cndmask_b32_e64 v85, 0, 1, s14
	s_delay_alu instid0(VALU_DEP_1) | instskip(SKIP_1) | instid1(VALU_DEP_1)
	v_cmp_ne_u32_e64 s14, 0, v85
	v_not_b32_e32 v85, v86
	v_dual_ashrrev_i32 v85, 31, v85 :: v_dual_lshlrev_b32 v87, 29, v82
	v_dual_lshlrev_b32 v96, 28, v82 :: v_dual_lshlrev_b32 v97, 27, v82
	v_dual_lshlrev_b32 v98, 26, v82 :: v_dual_lshlrev_b32 v99, 25, v82
	s_delay_alu instid0(VALU_DEP_3) | instskip(SKIP_1) | instid1(VALU_DEP_4)
	v_cmp_gt_i32_e64 s16, 0, v87
	v_not_b32_e32 v86, v87
	v_not_b32_e32 v87, v96
	s_set_vgpr_msb 16                       ;  msbs: dst=0 src0=0 src1=0 src2=1
	v_lshl_add_u32 v84, v82, 3, v7 /*v263*/
	v_lshlrev_b32_e32 v82, 24, v82
	v_cmp_gt_i32_e64 s17, 0, v96
	v_cmp_gt_i32_e64 s18, 0, v97
	v_not_b32_e32 v96, v97
	v_cmp_gt_i32_e64 s19, 0, v98
	v_not_b32_e32 v97, v98
	v_not_b32_e32 v98, v99
	v_dual_ashrrev_i32 v86, 31, v86 :: v_dual_bitop2_b32 v81, s14, v81 bitop3:0x14
	v_dual_ashrrev_i32 v87, 31, v87 :: v_dual_ashrrev_i32 v96, 31, v96
	v_xor_b32_e32 v85, s15, v85
	v_not_b32_e32 v100, v82
	s_delay_alu instid0(VALU_DEP_4) | instskip(NEXT) | instid1(VALU_DEP_4)
	v_dual_ashrrev_i32 v97, 31, v97 :: v_dual_bitop2_b32 v86, s16, v86 bitop3:0x14
	v_xor_b32_e32 v87, s17, v87
	s_delay_alu instid0(VALU_DEP_4)
	v_bitop3_b32 v81, v81, v85, exec_lo bitop3:0x80
	v_xor_b32_e32 v96, s18, v96
	v_cmp_gt_i32_e64 s14, 0, v99
	v_cmp_gt_i32_e64 s15, 0, v82
	v_ashrrev_i32_e32 v82, 31, v100
	s_set_vgpr_msb 0                        ;  msbs: dst=0 src0=0 src1=0 src2=0
	v_bitop3_b32 v81, v81, v87, v86 bitop3:0x80
	v_lshl_add_u32 v84, v84, 2, v12
	v_dual_ashrrev_i32 v97, 31, v98 :: v_dual_bitop2_b32 v85, s19, v97 bitop3:0x14
	v_xor_b32_e32 v82, s15, v82
	s_delay_alu instid0(VALU_DEP_2) | instskip(NEXT) | instid1(VALU_DEP_3)
	v_bitop3_b32 v85, v81, v85, v96 bitop3:0x80
	v_xor_b32_e32 v86, s14, v97
	ds_load_b32 v81, v84 offset:32
	v_add_nc_u32_e32 v84, 32, v84
	; wave barrier
	v_bitop3_b32 v85, v85, v82, v86 bitop3:0x80
	s_delay_alu instid0(VALU_DEP_1) | instskip(SKIP_1) | instid1(VALU_DEP_2)
	v_mbcnt_lo_u32_b32 v82, v85, 0
	v_cmp_ne_u32_e64 s15, 0, v85
	v_cmp_eq_u32_e64 s14, 0, v82
	s_and_b32 s15, s15, s14
	s_delay_alu instid0(SALU_CYCLE_1)
	s_and_saveexec_b32 s14, s15
	s_cbranch_execz .LBB1936_61
; %bb.60:                               ;   in Loop: Header=BB1936_53 Depth=1
	s_wait_dscnt 0x0
	v_bcnt_u32_b32 v85, v85, v81
	ds_store_b32 v84, v85
.LBB1936_61:                            ;   in Loop: Header=BB1936_53 Depth=1
	s_or_b32 exec_lo, exec_lo, s14
	s_set_vgpr_msb 4                        ;  msbs: dst=0 src0=0 src1=1 src2=0
	v_cmp_ne_u16_e64 s14, 0x8000, v35 /*v291*/
	; wave barrier
	s_delay_alu instid0(VALU_DEP_1) | instskip(SKIP_1) | instid1(VALU_DEP_1)
	v_cndmask_b32_e64 v85, 0x7fff, v35 /*v291*/, s14
	s_set_vgpr_msb 0                        ;  msbs: dst=0 src0=0 src1=0 src2=0
	v_and_b32_e32 v85, 0xffff, v85
	s_delay_alu instid0(VALU_DEP_1) | instskip(NEXT) | instid1(VALU_DEP_1)
	v_lshrrev_b32_e32 v85, v10, v85
	v_and_b32_e32 v86, v85, v83
	s_delay_alu instid0(VALU_DEP_1) | instskip(SKIP_1) | instid1(VALU_DEP_2)
	v_lshlrev_b32_e32 v97, 30, v86
	v_bitop3_b32 v85, v85, 1, v83 bitop3:0x80
	v_cmp_gt_i32_e64 s15, 0, v97
	s_delay_alu instid0(VALU_DEP_2) | instskip(NEXT) | instid1(VALU_DEP_1)
	v_add_co_u32 v85, s14, v85, -1
	v_cndmask_b32_e64 v96, 0, 1, s14
	s_delay_alu instid0(VALU_DEP_1) | instskip(SKIP_1) | instid1(VALU_DEP_1)
	v_cmp_ne_u32_e64 s14, 0, v96
	v_not_b32_e32 v96, v97
	v_dual_ashrrev_i32 v96, 31, v96 :: v_dual_lshlrev_b32 v98, 29, v86
	v_dual_lshlrev_b32 v99, 28, v86 :: v_dual_lshlrev_b32 v100, 27, v86
	v_dual_lshlrev_b32 v101, 26, v86 :: v_dual_lshlrev_b32 v102, 25, v86
	s_delay_alu instid0(VALU_DEP_3) | instskip(SKIP_1) | instid1(VALU_DEP_4)
	v_cmp_gt_i32_e64 s16, 0, v98
	v_not_b32_e32 v97, v98
	v_not_b32_e32 v98, v99
	s_set_vgpr_msb 16                       ;  msbs: dst=0 src0=0 src1=0 src2=1
	v_lshl_add_u32 v87, v86, 3, v7 /*v263*/
	v_lshlrev_b32_e32 v86, 24, v86
	v_cmp_gt_i32_e64 s17, 0, v99
	v_cmp_gt_i32_e64 s18, 0, v100
	v_not_b32_e32 v99, v100
	v_cmp_gt_i32_e64 s19, 0, v101
	v_not_b32_e32 v100, v101
	v_not_b32_e32 v101, v102
	v_dual_ashrrev_i32 v98, 31, v98 :: v_dual_bitop2_b32 v85, s14, v85 bitop3:0x14
	v_dual_ashrrev_i32 v97, 31, v97 :: v_dual_ashrrev_i32 v99, 31, v99
	v_xor_b32_e32 v96, s15, v96
	v_not_b32_e32 v103, v86
	s_delay_alu instid0(VALU_DEP_3) | instskip(SKIP_1) | instid1(VALU_DEP_4)
	v_dual_ashrrev_i32 v100, 31, v100 :: v_dual_bitop2_b32 v97, s16, v97 bitop3:0x14
	v_xor_b32_e32 v98, s17, v98
	v_bitop3_b32 v85, v85, v96, exec_lo bitop3:0x80
	v_xor_b32_e32 v99, s18, v99
	v_cmp_gt_i32_e64 s14, 0, v102
	v_cmp_gt_i32_e64 s15, 0, v86
	v_ashrrev_i32_e32 v86, 31, v103
	s_set_vgpr_msb 0                        ;  msbs: dst=0 src0=0 src1=0 src2=0
	v_bitop3_b32 v85, v85, v98, v97 bitop3:0x80
	v_lshl_add_u32 v87, v87, 2, v12
	v_dual_ashrrev_i32 v100, 31, v101 :: v_dual_bitop2_b32 v96, s19, v100 bitop3:0x14
	v_xor_b32_e32 v86, s15, v86
	s_delay_alu instid0(VALU_DEP_2) | instskip(NEXT) | instid1(VALU_DEP_3)
	v_bitop3_b32 v96, v85, v96, v99 bitop3:0x80
	v_xor_b32_e32 v97, s14, v100
	ds_load_b32 v85, v87 offset:32
	v_add_nc_u32_e32 v87, 32, v87
	; wave barrier
	v_bitop3_b32 v96, v96, v86, v97 bitop3:0x80
	s_delay_alu instid0(VALU_DEP_1) | instskip(SKIP_1) | instid1(VALU_DEP_2)
	v_mbcnt_lo_u32_b32 v86, v96, 0
	v_cmp_ne_u32_e64 s15, 0, v96
	v_cmp_eq_u32_e64 s14, 0, v86
	s_and_b32 s15, s15, s14
	s_delay_alu instid0(SALU_CYCLE_1)
	s_and_saveexec_b32 s14, s15
	s_cbranch_execz .LBB1936_63
; %bb.62:                               ;   in Loop: Header=BB1936_53 Depth=1
	s_wait_dscnt 0x0
	v_bcnt_u32_b32 v96, v96, v85
	ds_store_b32 v87, v96
.LBB1936_63:                            ;   in Loop: Header=BB1936_53 Depth=1
	s_or_b32 exec_lo, exec_lo, s14
	s_set_vgpr_msb 4                        ;  msbs: dst=0 src0=0 src1=1 src2=0
	v_cmp_ne_u16_e64 s14, 0x8000, v37 /*v293*/
	; wave barrier
	s_delay_alu instid0(VALU_DEP_1) | instskip(SKIP_1) | instid1(VALU_DEP_1)
	v_cndmask_b32_e64 v96, 0x7fff, v37 /*v293*/, s14
	s_set_vgpr_msb 0                        ;  msbs: dst=0 src0=0 src1=0 src2=0
	v_and_b32_e32 v96, 0xffff, v96
	s_delay_alu instid0(VALU_DEP_1) | instskip(NEXT) | instid1(VALU_DEP_1)
	v_lshrrev_b32_e32 v96, v10, v96
	v_and_b32_e32 v97, v96, v83
	s_delay_alu instid0(VALU_DEP_1) | instskip(SKIP_2) | instid1(VALU_DEP_3)
	v_lshlrev_b32_e32 v100, 30, v97
	v_bitop3_b32 v96, v96, 1, v83 bitop3:0x80
	v_lshlrev_b32_e32 v101, 29, v97
	v_cmp_gt_i32_e64 s15, 0, v100
	s_delay_alu instid0(VALU_DEP_3) | instskip(NEXT) | instid1(VALU_DEP_1)
	v_add_co_u32 v96, s14, v96, -1
	v_cndmask_b32_e64 v99, 0, 1, s14
	s_delay_alu instid0(VALU_DEP_1) | instskip(SKIP_2) | instid1(VALU_DEP_2)
	v_cmp_ne_u32_e64 s14, 0, v99
	v_not_b32_e32 v99, v100
	v_not_b32_e32 v100, v101
	v_dual_ashrrev_i32 v99, 31, v99 :: v_dual_bitop2_b32 v96, s14, v96 bitop3:0x14
	s_delay_alu instid0(VALU_DEP_2) | instskip(SKIP_3) | instid1(VALU_DEP_4)
	v_dual_ashrrev_i32 v100, 31, v100 :: v_dual_lshlrev_b32 v102, 28, v97
	v_dual_lshlrev_b32 v103, 27, v97 :: v_dual_lshlrev_b32 v112, 26, v97
	v_lshlrev_b32_e32 v113, 25, v97
	v_cmp_gt_i32_e64 s16, 0, v101
	v_not_b32_e32 v101, v102
	s_set_vgpr_msb 16                       ;  msbs: dst=0 src0=0 src1=0 src2=1
	v_lshl_add_u32 v98, v97, 3, v7 /*v263*/
	v_lshlrev_b32_e32 v97, 24, v97
	v_cmp_gt_i32_e64 s17, 0, v102
	v_cmp_gt_i32_e64 s18, 0, v103
	v_not_b32_e32 v102, v103
	v_cmp_gt_i32_e64 s19, 0, v112
	v_not_b32_e32 v103, v112
	v_not_b32_e32 v112, v113
	s_delay_alu instid0(VALU_DEP_4) | instskip(SKIP_3) | instid1(VALU_DEP_4)
	v_dual_ashrrev_i32 v101, 31, v101 :: v_dual_ashrrev_i32 v102, 31, v102
	v_xor_b32_e32 v99, s15, v99
	v_not_b32_e32 v114, v97
	v_dual_ashrrev_i32 v103, 31, v103 :: v_dual_bitop2_b32 v100, s16, v100 bitop3:0x14
	v_xor_b32_e32 v101, s17, v101
	s_delay_alu instid0(VALU_DEP_4)
	v_bitop3_b32 v96, v96, v99, exec_lo bitop3:0x80
	v_xor_b32_e32 v102, s18, v102
	v_cmp_gt_i32_e64 s14, 0, v113
	v_cmp_gt_i32_e64 s15, 0, v97
	v_ashrrev_i32_e32 v97, 31, v114
	s_set_vgpr_msb 0                        ;  msbs: dst=0 src0=0 src1=0 src2=0
	v_bitop3_b32 v96, v96, v101, v100 bitop3:0x80
	v_lshl_add_u32 v98, v98, 2, v12
	v_dual_ashrrev_i32 v103, 31, v112 :: v_dual_bitop2_b32 v99, s19, v103 bitop3:0x14
	v_xor_b32_e32 v97, s15, v97
	s_delay_alu instid0(VALU_DEP_2) | instskip(NEXT) | instid1(VALU_DEP_3)
	v_bitop3_b32 v99, v96, v99, v102 bitop3:0x80
	v_xor_b32_e32 v100, s14, v103
	ds_load_b32 v96, v98 offset:32
	v_add_nc_u32_e32 v98, 32, v98
	; wave barrier
	v_bitop3_b32 v99, v99, v97, v100 bitop3:0x80
	s_delay_alu instid0(VALU_DEP_1) | instskip(SKIP_1) | instid1(VALU_DEP_2)
	v_mbcnt_lo_u32_b32 v97, v99, 0
	v_cmp_ne_u32_e64 s15, 0, v99
	v_cmp_eq_u32_e64 s14, 0, v97
	s_and_b32 s15, s15, s14
	s_delay_alu instid0(SALU_CYCLE_1)
	s_and_saveexec_b32 s14, s15
	s_cbranch_execz .LBB1936_65
; %bb.64:                               ;   in Loop: Header=BB1936_53 Depth=1
	s_wait_dscnt 0x0
	v_bcnt_u32_b32 v99, v99, v96
	ds_store_b32 v98, v99
.LBB1936_65:                            ;   in Loop: Header=BB1936_53 Depth=1
	s_or_b32 exec_lo, exec_lo, s14
	s_set_vgpr_msb 4                        ;  msbs: dst=0 src0=0 src1=1 src2=0
	v_cmp_ne_u16_e64 s14, 0x8000, v36 /*v292*/
	; wave barrier
	s_delay_alu instid0(VALU_DEP_1) | instskip(SKIP_1) | instid1(VALU_DEP_1)
	v_cndmask_b32_e64 v99, 0x7fff, v36 /*v292*/, s14
	s_set_vgpr_msb 0                        ;  msbs: dst=0 src0=0 src1=0 src2=0
	v_and_b32_e32 v99, 0xffff, v99
	s_delay_alu instid0(VALU_DEP_1) | instskip(NEXT) | instid1(VALU_DEP_1)
	v_lshrrev_b32_e32 v99, v10, v99
	v_and_b32_e32 v100, v99, v83
	s_delay_alu instid0(VALU_DEP_1) | instskip(SKIP_1) | instid1(VALU_DEP_2)
	v_lshlrev_b32_e32 v103, 30, v100
	v_bitop3_b32 v99, v99, 1, v83 bitop3:0x80
	v_cmp_gt_i32_e64 s15, 0, v103
	s_delay_alu instid0(VALU_DEP_2) | instskip(NEXT) | instid1(VALU_DEP_1)
	v_add_co_u32 v99, s14, v99, -1
	v_cndmask_b32_e64 v102, 0, 1, s14
	s_delay_alu instid0(VALU_DEP_1) | instskip(SKIP_1) | instid1(VALU_DEP_1)
	v_cmp_ne_u32_e64 s14, 0, v102
	v_not_b32_e32 v102, v103
	v_dual_ashrrev_i32 v102, 31, v102 :: v_dual_lshlrev_b32 v112, 29, v100
	v_dual_lshlrev_b32 v113, 28, v100 :: v_dual_lshlrev_b32 v114, 27, v100
	v_dual_lshlrev_b32 v115, 26, v100 :: v_dual_lshlrev_b32 v116, 25, v100
	s_delay_alu instid0(VALU_DEP_3) | instskip(SKIP_1) | instid1(VALU_DEP_4)
	v_cmp_gt_i32_e64 s16, 0, v112
	v_not_b32_e32 v103, v112
	v_not_b32_e32 v112, v113
	s_set_vgpr_msb 16                       ;  msbs: dst=0 src0=0 src1=0 src2=1
	v_lshl_add_u32 v101, v100, 3, v7 /*v263*/
	v_lshlrev_b32_e32 v100, 24, v100
	v_cmp_gt_i32_e64 s17, 0, v113
	v_cmp_gt_i32_e64 s18, 0, v114
	v_not_b32_e32 v113, v114
	v_cmp_gt_i32_e64 s19, 0, v115
	v_not_b32_e32 v114, v115
	v_not_b32_e32 v115, v116
	v_dual_ashrrev_i32 v112, 31, v112 :: v_dual_bitop2_b32 v99, s14, v99 bitop3:0x14
	v_dual_ashrrev_i32 v103, 31, v103 :: v_dual_ashrrev_i32 v113, 31, v113
	v_xor_b32_e32 v102, s15, v102
	v_not_b32_e32 v117, v100
	s_delay_alu instid0(VALU_DEP_3) | instskip(SKIP_1) | instid1(VALU_DEP_4)
	v_dual_ashrrev_i32 v114, 31, v114 :: v_dual_bitop2_b32 v103, s16, v103 bitop3:0x14
	v_xor_b32_e32 v112, s17, v112
	v_bitop3_b32 v99, v99, v102, exec_lo bitop3:0x80
	v_xor_b32_e32 v113, s18, v113
	v_cmp_gt_i32_e64 s14, 0, v116
	v_cmp_gt_i32_e64 s15, 0, v100
	v_ashrrev_i32_e32 v100, 31, v117
	s_set_vgpr_msb 0                        ;  msbs: dst=0 src0=0 src1=0 src2=0
	v_bitop3_b32 v99, v99, v112, v103 bitop3:0x80
	v_lshl_add_u32 v101, v101, 2, v12
	v_dual_ashrrev_i32 v114, 31, v115 :: v_dual_bitop2_b32 v102, s19, v114 bitop3:0x14
	v_xor_b32_e32 v100, s15, v100
	s_delay_alu instid0(VALU_DEP_2) | instskip(NEXT) | instid1(VALU_DEP_3)
	v_bitop3_b32 v102, v99, v102, v113 bitop3:0x80
	v_xor_b32_e32 v103, s14, v114
	ds_load_b32 v99, v101 offset:32
	v_add_nc_u32_e32 v101, 32, v101
	; wave barrier
	v_bitop3_b32 v102, v102, v100, v103 bitop3:0x80
	s_delay_alu instid0(VALU_DEP_1) | instskip(SKIP_1) | instid1(VALU_DEP_2)
	v_mbcnt_lo_u32_b32 v100, v102, 0
	v_cmp_ne_u32_e64 s15, 0, v102
	v_cmp_eq_u32_e64 s14, 0, v100
	s_and_b32 s15, s15, s14
	s_delay_alu instid0(SALU_CYCLE_1)
	s_and_saveexec_b32 s14, s15
	s_cbranch_execz .LBB1936_67
; %bb.66:                               ;   in Loop: Header=BB1936_53 Depth=1
	s_wait_dscnt 0x0
	v_bcnt_u32_b32 v102, v102, v99
	ds_store_b32 v101, v102
.LBB1936_67:                            ;   in Loop: Header=BB1936_53 Depth=1
	s_or_b32 exec_lo, exec_lo, s14
	s_set_vgpr_msb 4                        ;  msbs: dst=0 src0=0 src1=1 src2=0
	v_cmp_ne_u16_e64 s14, 0x8000, v39 /*v295*/
	; wave barrier
	s_delay_alu instid0(VALU_DEP_1) | instskip(SKIP_1) | instid1(VALU_DEP_1)
	v_cndmask_b32_e64 v102, 0x7fff, v39 /*v295*/, s14
	s_set_vgpr_msb 0                        ;  msbs: dst=0 src0=0 src1=0 src2=0
	v_and_b32_e32 v102, 0xffff, v102
	s_delay_alu instid0(VALU_DEP_1) | instskip(NEXT) | instid1(VALU_DEP_1)
	v_lshrrev_b32_e32 v102, v10, v102
	v_and_b32_e32 v103, v102, v83
	s_delay_alu instid0(VALU_DEP_1) | instskip(SKIP_1) | instid1(VALU_DEP_2)
	v_lshlrev_b32_e32 v114, 30, v103
	v_bitop3_b32 v102, v102, 1, v83 bitop3:0x80
	v_cmp_gt_i32_e64 s15, 0, v114
	s_delay_alu instid0(VALU_DEP_2) | instskip(NEXT) | instid1(VALU_DEP_1)
	v_add_co_u32 v102, s14, v102, -1
	v_cndmask_b32_e64 v113, 0, 1, s14
	s_delay_alu instid0(VALU_DEP_1) | instskip(SKIP_1) | instid1(VALU_DEP_1)
	v_cmp_ne_u32_e64 s14, 0, v113
	v_not_b32_e32 v113, v114
	v_dual_ashrrev_i32 v113, 31, v113 :: v_dual_lshlrev_b32 v115, 29, v103
	v_dual_lshlrev_b32 v116, 28, v103 :: v_dual_lshlrev_b32 v117, 27, v103
	v_dual_lshlrev_b32 v118, 26, v103 :: v_dual_lshlrev_b32 v119, 25, v103
	s_delay_alu instid0(VALU_DEP_3) | instskip(SKIP_1) | instid1(VALU_DEP_4)
	v_cmp_gt_i32_e64 s16, 0, v115
	v_not_b32_e32 v114, v115
	v_not_b32_e32 v115, v116
	s_set_vgpr_msb 16                       ;  msbs: dst=0 src0=0 src1=0 src2=1
	v_lshl_add_u32 v112, v103, 3, v7 /*v263*/
	v_lshlrev_b32_e32 v103, 24, v103
	v_cmp_gt_i32_e64 s17, 0, v116
	v_cmp_gt_i32_e64 s18, 0, v117
	v_not_b32_e32 v116, v117
	v_cmp_gt_i32_e64 s19, 0, v118
	v_not_b32_e32 v117, v118
	v_not_b32_e32 v118, v119
	v_dual_ashrrev_i32 v115, 31, v115 :: v_dual_bitop2_b32 v102, s14, v102 bitop3:0x14
	v_dual_ashrrev_i32 v114, 31, v114 :: v_dual_ashrrev_i32 v116, 31, v116
	v_xor_b32_e32 v113, s15, v113
	v_not_b32_e32 v128, v103
	s_delay_alu instid0(VALU_DEP_3) | instskip(SKIP_1) | instid1(VALU_DEP_4)
	v_dual_ashrrev_i32 v117, 31, v117 :: v_dual_bitop2_b32 v114, s16, v114 bitop3:0x14
	v_xor_b32_e32 v115, s17, v115
	v_bitop3_b32 v102, v102, v113, exec_lo bitop3:0x80
	v_xor_b32_e32 v116, s18, v116
	v_cmp_gt_i32_e64 s14, 0, v119
	v_cmp_gt_i32_e64 s15, 0, v103
	v_ashrrev_i32_e32 v103, 31, v128
	s_set_vgpr_msb 0                        ;  msbs: dst=0 src0=0 src1=0 src2=0
	v_bitop3_b32 v102, v102, v115, v114 bitop3:0x80
	v_lshl_add_u32 v112, v112, 2, v12
	v_dual_ashrrev_i32 v117, 31, v118 :: v_dual_bitop2_b32 v113, s19, v117 bitop3:0x14
	v_xor_b32_e32 v103, s15, v103
	s_delay_alu instid0(VALU_DEP_2) | instskip(NEXT) | instid1(VALU_DEP_3)
	v_bitop3_b32 v113, v102, v113, v116 bitop3:0x80
	v_xor_b32_e32 v114, s14, v117
	ds_load_b32 v102, v112 offset:32
	v_add_nc_u32_e32 v112, 32, v112
	; wave barrier
	v_bitop3_b32 v113, v113, v103, v114 bitop3:0x80
	s_delay_alu instid0(VALU_DEP_1) | instskip(SKIP_1) | instid1(VALU_DEP_2)
	v_mbcnt_lo_u32_b32 v103, v113, 0
	v_cmp_ne_u32_e64 s15, 0, v113
	v_cmp_eq_u32_e64 s14, 0, v103
	s_and_b32 s15, s15, s14
	s_delay_alu instid0(SALU_CYCLE_1)
	s_and_saveexec_b32 s14, s15
	s_cbranch_execz .LBB1936_69
; %bb.68:                               ;   in Loop: Header=BB1936_53 Depth=1
	s_wait_dscnt 0x0
	v_bcnt_u32_b32 v113, v113, v102
	ds_store_b32 v112, v113
.LBB1936_69:                            ;   in Loop: Header=BB1936_53 Depth=1
	s_or_b32 exec_lo, exec_lo, s14
	s_set_vgpr_msb 4                        ;  msbs: dst=0 src0=0 src1=1 src2=0
	v_cmp_ne_u16_e64 s14, 0x8000, v38 /*v294*/
	; wave barrier
	s_delay_alu instid0(VALU_DEP_1) | instskip(SKIP_1) | instid1(VALU_DEP_1)
	v_cndmask_b32_e64 v113, 0x7fff, v38 /*v294*/, s14
	s_set_vgpr_msb 0                        ;  msbs: dst=0 src0=0 src1=0 src2=0
	v_and_b32_e32 v113, 0xffff, v113
	s_delay_alu instid0(VALU_DEP_1) | instskip(NEXT) | instid1(VALU_DEP_1)
	v_lshrrev_b32_e32 v113, v10, v113
	v_and_b32_e32 v114, v113, v83
	s_delay_alu instid0(VALU_DEP_1) | instskip(SKIP_1) | instid1(VALU_DEP_2)
	v_lshlrev_b32_e32 v117, 30, v114
	v_bitop3_b32 v113, v113, 1, v83 bitop3:0x80
	v_cmp_gt_i32_e64 s15, 0, v117
	s_delay_alu instid0(VALU_DEP_2) | instskip(NEXT) | instid1(VALU_DEP_1)
	v_add_co_u32 v113, s14, v113, -1
	v_cndmask_b32_e64 v116, 0, 1, s14
	s_delay_alu instid0(VALU_DEP_1) | instskip(SKIP_1) | instid1(VALU_DEP_1)
	v_cmp_ne_u32_e64 s14, 0, v116
	v_not_b32_e32 v116, v117
	v_dual_ashrrev_i32 v116, 31, v116 :: v_dual_lshlrev_b32 v118, 29, v114
	v_dual_lshlrev_b32 v119, 28, v114 :: v_dual_lshlrev_b32 v128, 27, v114
	v_dual_lshlrev_b32 v129, 26, v114 :: v_dual_lshlrev_b32 v130, 25, v114
	s_delay_alu instid0(VALU_DEP_3) | instskip(SKIP_1) | instid1(VALU_DEP_4)
	v_cmp_gt_i32_e64 s16, 0, v118
	v_not_b32_e32 v117, v118
	v_not_b32_e32 v118, v119
	s_set_vgpr_msb 16                       ;  msbs: dst=0 src0=0 src1=0 src2=1
	v_lshl_add_u32 v115, v114, 3, v7 /*v263*/
	v_lshlrev_b32_e32 v114, 24, v114
	v_cmp_gt_i32_e64 s17, 0, v119
	v_cmp_gt_i32_e64 s18, 0, v128
	v_not_b32_e32 v119, v128
	v_cmp_gt_i32_e64 s19, 0, v129
	v_not_b32_e32 v128, v129
	v_not_b32_e32 v129, v130
	v_dual_ashrrev_i32 v118, 31, v118 :: v_dual_bitop2_b32 v113, s14, v113 bitop3:0x14
	v_dual_ashrrev_i32 v117, 31, v117 :: v_dual_ashrrev_i32 v119, 31, v119
	v_xor_b32_e32 v116, s15, v116
	v_not_b32_e32 v131, v114
	s_delay_alu instid0(VALU_DEP_3) | instskip(SKIP_1) | instid1(VALU_DEP_4)
	v_dual_ashrrev_i32 v128, 31, v128 :: v_dual_bitop2_b32 v117, s16, v117 bitop3:0x14
	v_xor_b32_e32 v118, s17, v118
	v_bitop3_b32 v113, v113, v116, exec_lo bitop3:0x80
	v_xor_b32_e32 v119, s18, v119
	v_cmp_gt_i32_e64 s14, 0, v130
	v_cmp_gt_i32_e64 s15, 0, v114
	v_ashrrev_i32_e32 v114, 31, v131
	s_set_vgpr_msb 0                        ;  msbs: dst=0 src0=0 src1=0 src2=0
	v_bitop3_b32 v113, v113, v118, v117 bitop3:0x80
	v_lshl_add_u32 v115, v115, 2, v12
	v_dual_ashrrev_i32 v128, 31, v129 :: v_dual_bitop2_b32 v116, s19, v128 bitop3:0x14
	v_xor_b32_e32 v114, s15, v114
	s_delay_alu instid0(VALU_DEP_2) | instskip(NEXT) | instid1(VALU_DEP_3)
	v_bitop3_b32 v116, v113, v116, v119 bitop3:0x80
	v_xor_b32_e32 v117, s14, v128
	ds_load_b32 v113, v115 offset:32
	v_add_nc_u32_e32 v115, 32, v115
	; wave barrier
	v_bitop3_b32 v116, v116, v114, v117 bitop3:0x80
	s_delay_alu instid0(VALU_DEP_1) | instskip(SKIP_1) | instid1(VALU_DEP_2)
	v_mbcnt_lo_u32_b32 v114, v116, 0
	v_cmp_ne_u32_e64 s15, 0, v116
	v_cmp_eq_u32_e64 s14, 0, v114
	s_and_b32 s15, s15, s14
	s_delay_alu instid0(SALU_CYCLE_1)
	s_and_saveexec_b32 s14, s15
	s_cbranch_execz .LBB1936_71
; %bb.70:                               ;   in Loop: Header=BB1936_53 Depth=1
	s_wait_dscnt 0x0
	v_bcnt_u32_b32 v116, v116, v113
	ds_store_b32 v115, v116
.LBB1936_71:                            ;   in Loop: Header=BB1936_53 Depth=1
	s_or_b32 exec_lo, exec_lo, s14
	s_set_vgpr_msb 4                        ;  msbs: dst=0 src0=0 src1=1 src2=0
	v_cmp_ne_u16_e64 s14, 0x8000, v40 /*v296*/
	; wave barrier
	s_delay_alu instid0(VALU_DEP_1) | instskip(SKIP_1) | instid1(VALU_DEP_1)
	v_cndmask_b32_e64 v116, 0x7fff, v40 /*v296*/, s14
	s_set_vgpr_msb 0                        ;  msbs: dst=0 src0=0 src1=0 src2=0
	v_and_b32_e32 v116, 0xffff, v116
	s_delay_alu instid0(VALU_DEP_1) | instskip(NEXT) | instid1(VALU_DEP_1)
	v_lshrrev_b32_e32 v116, v10, v116
	v_and_b32_e32 v117, v116, v83
	s_delay_alu instid0(VALU_DEP_1) | instskip(SKIP_2) | instid1(VALU_DEP_3)
	v_lshlrev_b32_e32 v128, 30, v117
	v_bitop3_b32 v116, v116, 1, v83 bitop3:0x80
	v_lshlrev_b32_e32 v129, 29, v117
	v_cmp_gt_i32_e64 s15, 0, v128
	s_delay_alu instid0(VALU_DEP_3) | instskip(NEXT) | instid1(VALU_DEP_1)
	v_add_co_u32 v116, s14, v116, -1
	v_cndmask_b32_e64 v119, 0, 1, s14
	s_delay_alu instid0(VALU_DEP_1) | instskip(SKIP_2) | instid1(VALU_DEP_2)
	v_cmp_ne_u32_e64 s14, 0, v119
	v_not_b32_e32 v119, v128
	v_not_b32_e32 v128, v129
	v_dual_ashrrev_i32 v119, 31, v119 :: v_dual_bitop2_b32 v116, s14, v116 bitop3:0x14
	s_delay_alu instid0(VALU_DEP_2) | instskip(SKIP_3) | instid1(VALU_DEP_4)
	v_dual_ashrrev_i32 v128, 31, v128 :: v_dual_lshlrev_b32 v130, 28, v117
	v_dual_lshlrev_b32 v131, 27, v117 :: v_dual_lshlrev_b32 v132, 26, v117
	v_lshlrev_b32_e32 v133, 25, v117
	v_cmp_gt_i32_e64 s16, 0, v129
	v_not_b32_e32 v129, v130
	s_set_vgpr_msb 16                       ;  msbs: dst=0 src0=0 src1=0 src2=1
	v_lshl_add_u32 v118, v117, 3, v7 /*v263*/
	v_lshlrev_b32_e32 v117, 24, v117
	v_cmp_gt_i32_e64 s17, 0, v130
	v_cmp_gt_i32_e64 s18, 0, v131
	v_not_b32_e32 v130, v131
	v_cmp_gt_i32_e64 s19, 0, v132
	v_not_b32_e32 v131, v132
	v_not_b32_e32 v132, v133
	s_delay_alu instid0(VALU_DEP_4) | instskip(SKIP_3) | instid1(VALU_DEP_4)
	v_dual_ashrrev_i32 v129, 31, v129 :: v_dual_ashrrev_i32 v130, 31, v130
	v_xor_b32_e32 v119, s15, v119
	v_not_b32_e32 v134, v117
	v_dual_ashrrev_i32 v131, 31, v131 :: v_dual_bitop2_b32 v128, s16, v128 bitop3:0x14
	v_xor_b32_e32 v129, s17, v129
	s_delay_alu instid0(VALU_DEP_4) | instskip(SKIP_1) | instid1(VALU_DEP_4)
	v_bitop3_b32 v116, v116, v119, exec_lo bitop3:0x80
	v_cmp_gt_i32_e64 s14, 0, v133
	v_dual_ashrrev_i32 v131, 31, v132 :: v_dual_bitop2_b32 v119, s19, v131 bitop3:0x14
	v_cmp_gt_i32_e64 s15, 0, v117
	v_ashrrev_i32_e32 v117, 31, v134
	s_set_vgpr_msb 0                        ;  msbs: dst=0 src0=0 src1=0 src2=0
	v_bitop3_b32 v116, v116, v129, v128 bitop3:0x80
	v_lshl_add_u32 v128, v118, 2, v12
	v_xor_b32_e32 v130, s18, v130
	v_xor_b32_e32 v129, s14, v131
	;; [unrolled: 1-line block ×3, first 2 shown]
	ds_load_b32 v118, v128 offset:32
	v_bitop3_b32 v116, v116, v119, v130 bitop3:0x80
	; wave barrier
	s_delay_alu instid0(VALU_DEP_1) | instskip(SKIP_1) | instid1(VALU_DEP_2)
	v_bitop3_b32 v117, v116, v117, v129 bitop3:0x80
	v_add_nc_u32_e32 v116, 32, v128
	v_mbcnt_lo_u32_b32 v119, v117, 0
	v_cmp_ne_u32_e64 s15, 0, v117
	s_delay_alu instid0(VALU_DEP_2) | instskip(SKIP_1) | instid1(SALU_CYCLE_1)
	v_cmp_eq_u32_e64 s14, 0, v119
	s_and_b32 s15, s15, s14
	s_and_saveexec_b32 s14, s15
	s_cbranch_execz .LBB1936_73
; %bb.72:                               ;   in Loop: Header=BB1936_53 Depth=1
	s_wait_dscnt 0x0
	v_bcnt_u32_b32 v117, v117, v118
	ds_store_b32 v116, v117
.LBB1936_73:                            ;   in Loop: Header=BB1936_53 Depth=1
	s_or_b32 exec_lo, exec_lo, s14
	s_set_vgpr_msb 4                        ;  msbs: dst=0 src0=0 src1=1 src2=0
	v_cmp_ne_u16_e64 s14, 0x8000, v41 /*v297*/
	; wave barrier
	s_delay_alu instid0(VALU_DEP_1) | instskip(SKIP_1) | instid1(VALU_DEP_1)
	v_cndmask_b32_e64 v117, 0x7fff, v41 /*v297*/, s14
	s_set_vgpr_msb 0                        ;  msbs: dst=0 src0=0 src1=0 src2=0
	v_and_b32_e32 v117, 0xffff, v117
	s_delay_alu instid0(VALU_DEP_1) | instskip(NEXT) | instid1(VALU_DEP_1)
	v_lshrrev_b32_e32 v117, v10, v117
	v_and_b32_e32 v128, v117, v83
	s_delay_alu instid0(VALU_DEP_1) | instskip(SKIP_1) | instid1(VALU_DEP_2)
	v_lshlrev_b32_e32 v131, 30, v128
	v_bitop3_b32 v117, v117, 1, v83 bitop3:0x80
	v_cmp_gt_i32_e64 s15, 0, v131
	s_delay_alu instid0(VALU_DEP_2) | instskip(NEXT) | instid1(VALU_DEP_1)
	v_add_co_u32 v117, s14, v117, -1
	v_cndmask_b32_e64 v130, 0, 1, s14
	s_delay_alu instid0(VALU_DEP_1) | instskip(SKIP_1) | instid1(VALU_DEP_1)
	v_cmp_ne_u32_e64 s14, 0, v130
	v_not_b32_e32 v130, v131
	v_dual_ashrrev_i32 v130, 31, v130 :: v_dual_lshlrev_b32 v132, 29, v128
	v_dual_lshlrev_b32 v133, 28, v128 :: v_dual_lshlrev_b32 v134, 27, v128
	v_dual_lshlrev_b32 v135, 26, v128 :: v_dual_lshlrev_b32 v144, 25, v128
	s_delay_alu instid0(VALU_DEP_3) | instskip(SKIP_1) | instid1(VALU_DEP_4)
	v_cmp_gt_i32_e64 s16, 0, v132
	v_not_b32_e32 v131, v132
	v_not_b32_e32 v132, v133
	s_set_vgpr_msb 16                       ;  msbs: dst=0 src0=0 src1=0 src2=1
	v_lshl_add_u32 v129, v128, 3, v7 /*v263*/
	v_lshlrev_b32_e32 v128, 24, v128
	v_cmp_gt_i32_e64 s17, 0, v133
	v_cmp_gt_i32_e64 s18, 0, v134
	v_not_b32_e32 v133, v134
	v_cmp_gt_i32_e64 s19, 0, v135
	v_not_b32_e32 v134, v135
	v_not_b32_e32 v135, v144
	v_dual_ashrrev_i32 v131, 31, v131 :: v_dual_bitop2_b32 v117, s14, v117 bitop3:0x14
	v_dual_ashrrev_i32 v132, 31, v132 :: v_dual_ashrrev_i32 v133, 31, v133
	v_xor_b32_e32 v130, s15, v130
	v_not_b32_e32 v145, v128
	s_delay_alu instid0(VALU_DEP_4) | instskip(NEXT) | instid1(VALU_DEP_4)
	v_dual_ashrrev_i32 v134, 31, v134 :: v_dual_bitop2_b32 v131, s16, v131 bitop3:0x14
	v_xor_b32_e32 v132, s17, v132
	s_delay_alu instid0(VALU_DEP_4)
	v_bitop3_b32 v117, v117, v130, exec_lo bitop3:0x80
	v_xor_b32_e32 v133, s18, v133
	v_cmp_gt_i32_e64 s14, 0, v144
	v_cmp_gt_i32_e64 s15, 0, v128
	v_ashrrev_i32_e32 v128, 31, v145
	s_set_vgpr_msb 0                        ;  msbs: dst=0 src0=0 src1=0 src2=0
	v_bitop3_b32 v117, v117, v132, v131 bitop3:0x80
	v_lshl_add_u32 v129, v129, 2, v12
	v_dual_ashrrev_i32 v134, 31, v135 :: v_dual_bitop2_b32 v130, s19, v134 bitop3:0x14
	v_xor_b32_e32 v128, s15, v128
	ds_load_b32 v144, v129 offset:32
	v_bitop3_b32 v117, v117, v130, v133 bitop3:0x80
	v_xor_b32_e32 v131, s14, v134
	; wave barrier
	s_delay_alu instid0(VALU_DEP_1) | instskip(SKIP_1) | instid1(VALU_DEP_2)
	v_bitop3_b32 v117, v117, v128, v131 bitop3:0x80
	v_add_nc_u32_e32 v128, 32, v129
	v_mbcnt_lo_u32_b32 v146, v117, 0
	v_cmp_ne_u32_e64 s15, 0, v117
	s_delay_alu instid0(VALU_DEP_2) | instskip(SKIP_1) | instid1(SALU_CYCLE_1)
	v_cmp_eq_u32_e64 s14, 0, v146
	s_and_b32 s15, s15, s14
	s_and_saveexec_b32 s14, s15
	s_cbranch_execz .LBB1936_75
; %bb.74:                               ;   in Loop: Header=BB1936_53 Depth=1
	s_wait_dscnt 0x0
	v_bcnt_u32_b32 v117, v117, v144
	ds_store_b32 v128, v117
.LBB1936_75:                            ;   in Loop: Header=BB1936_53 Depth=1
	s_or_b32 exec_lo, exec_lo, s14
	s_set_vgpr_msb 4                        ;  msbs: dst=0 src0=0 src1=1 src2=0
	v_cmp_ne_u16_e64 s14, 0x8000, v42 /*v298*/
	; wave barrier
	s_delay_alu instid0(VALU_DEP_1) | instskip(SKIP_1) | instid1(VALU_DEP_1)
	v_cndmask_b32_e64 v117, 0x7fff, v42 /*v298*/, s14
	s_set_vgpr_msb 0                        ;  msbs: dst=0 src0=0 src1=0 src2=0
	v_and_b32_e32 v117, 0xffff, v117
	s_delay_alu instid0(VALU_DEP_1) | instskip(NEXT) | instid1(VALU_DEP_1)
	v_lshrrev_b32_e32 v117, v10, v117
	v_and_b32_e32 v129, v117, v83
	v_bitop3_b32 v117, v117, 1, v83 bitop3:0x80
	s_delay_alu instid0(VALU_DEP_2) | instskip(NEXT) | instid1(VALU_DEP_2)
	v_dual_lshlrev_b32 v132, 30, v129 :: v_dual_lshlrev_b32 v133, 29, v129
	v_add_co_u32 v117, s14, v117, -1
	s_delay_alu instid0(VALU_DEP_1) | instskip(NEXT) | instid1(VALU_DEP_3)
	v_cndmask_b32_e64 v131, 0, 1, s14
	v_cmp_gt_i32_e64 s15, 0, v132
	s_delay_alu instid0(VALU_DEP_4) | instskip(NEXT) | instid1(VALU_DEP_3)
	v_cmp_gt_i32_e64 s16, 0, v133
	v_cmp_ne_u32_e64 s14, 0, v131
	v_not_b32_e32 v131, v132
	v_not_b32_e32 v132, v133
	s_delay_alu instid0(VALU_DEP_1) | instskip(SKIP_4) | instid1(VALU_DEP_3)
	v_dual_ashrrev_i32 v131, 31, v131 :: v_dual_ashrrev_i32 v132, 31, v132
	v_dual_lshlrev_b32 v134, 28, v129 :: v_dual_lshlrev_b32 v135, 27, v129
	v_dual_lshlrev_b32 v145, 26, v129 :: v_dual_lshlrev_b32 v147, 25, v129
	s_set_vgpr_msb 16                       ;  msbs: dst=0 src0=0 src1=0 src2=1
	v_lshl_add_u32 v130, v129, 3, v7 /*v263*/
	v_not_b32_e32 v133, v134
	v_cmp_gt_i32_e64 s17, 0, v134
	v_cmp_gt_i32_e64 s18, 0, v135
	v_not_b32_e32 v134, v135
	v_lshlrev_b32_e32 v129, 24, v129
	v_not_b32_e32 v135, v145
	v_xor_b32_e32 v117, s14, v117
	v_dual_ashrrev_i32 v133, 31, v133 :: v_dual_bitop2_b32 v131, s15, v131 bitop3:0x14
	v_cmp_gt_i32_e64 s19, 0, v145
	v_not_b32_e32 v145, v147
	v_ashrrev_i32_e32 v134, 31, v134
	v_not_b32_e32 v148, v129
	v_dual_ashrrev_i32 v135, 31, v135 :: v_dual_bitop2_b32 v132, s16, v132 bitop3:0x14
	v_xor_b32_e32 v133, s17, v133
	v_bitop3_b32 v117, v117, v131, exec_lo bitop3:0x80
	v_xor_b32_e32 v134, s18, v134
	v_cmp_gt_i32_e64 s14, 0, v147
	v_cmp_gt_i32_e64 s15, 0, v129
	v_ashrrev_i32_e32 v129, 31, v148
	s_set_vgpr_msb 0                        ;  msbs: dst=0 src0=0 src1=0 src2=0
	v_lshl_add_u32 v130, v130, 2, v12
	v_dual_ashrrev_i32 v135, 31, v145 :: v_dual_bitop2_b32 v131, s19, v135 bitop3:0x14
	v_bitop3_b32 v117, v117, v133, v132 bitop3:0x80
	v_xor_b32_e32 v129, s15, v129
	ds_load_b32 v148, v130 offset:32
	v_dual_add_nc_u32 v130, 32, v130 :: v_dual_bitop2_b32 v132, s14, v135 bitop3:0x14
	v_bitop3_b32 v117, v117, v131, v134 bitop3:0x80
	; wave barrier
	s_delay_alu instid0(VALU_DEP_1) | instskip(NEXT) | instid1(VALU_DEP_1)
	v_bitop3_b32 v117, v117, v129, v132 bitop3:0x80
	v_mbcnt_lo_u32_b32 v164, v117, 0
	v_cmp_ne_u32_e64 s15, 0, v117
	s_delay_alu instid0(VALU_DEP_2) | instskip(SKIP_1) | instid1(SALU_CYCLE_1)
	v_cmp_eq_u32_e64 s14, 0, v164
	s_and_b32 s15, s15, s14
	s_and_saveexec_b32 s14, s15
	s_cbranch_execz .LBB1936_77
; %bb.76:                               ;   in Loop: Header=BB1936_53 Depth=1
	s_wait_dscnt 0x0
	v_bcnt_u32_b32 v117, v117, v148
	ds_store_b32 v130, v117
.LBB1936_77:                            ;   in Loop: Header=BB1936_53 Depth=1
	s_or_b32 exec_lo, exec_lo, s14
	s_set_vgpr_msb 4                        ;  msbs: dst=0 src0=0 src1=1 src2=0
	v_cmp_ne_u16_e64 s14, 0x8000, v43 /*v299*/
	; wave barrier
	s_delay_alu instid0(VALU_DEP_1) | instskip(SKIP_1) | instid1(VALU_DEP_1)
	v_cndmask_b32_e64 v117, 0x7fff, v43 /*v299*/, s14
	s_set_vgpr_msb 0                        ;  msbs: dst=0 src0=0 src1=0 src2=0
	v_and_b32_e32 v117, 0xffff, v117
	s_delay_alu instid0(VALU_DEP_1) | instskip(NEXT) | instid1(VALU_DEP_1)
	v_lshrrev_b32_e32 v117, v10, v117
	v_and_b32_e32 v129, v117, v83
	v_bitop3_b32 v117, v117, 1, v83 bitop3:0x80
	s_delay_alu instid0(VALU_DEP_2) | instskip(NEXT) | instid1(VALU_DEP_2)
	v_dual_lshlrev_b32 v133, 30, v129 :: v_dual_lshlrev_b32 v134, 29, v129
	v_add_co_u32 v117, s14, v117, -1
	s_delay_alu instid0(VALU_DEP_1) | instskip(NEXT) | instid1(VALU_DEP_3)
	v_cndmask_b32_e64 v132, 0, 1, s14
	v_cmp_gt_i32_e64 s15, 0, v133
	s_delay_alu instid0(VALU_DEP_4) | instskip(NEXT) | instid1(VALU_DEP_3)
	v_cmp_gt_i32_e64 s16, 0, v134
	v_cmp_ne_u32_e64 s14, 0, v132
	v_not_b32_e32 v132, v133
	v_not_b32_e32 v133, v134
	s_delay_alu instid0(VALU_DEP_1) | instskip(SKIP_4) | instid1(VALU_DEP_3)
	v_dual_ashrrev_i32 v132, 31, v132 :: v_dual_ashrrev_i32 v133, 31, v133
	v_dual_lshlrev_b32 v135, 28, v129 :: v_dual_lshlrev_b32 v145, 27, v129
	v_dual_lshlrev_b32 v147, 26, v129 :: v_dual_lshlrev_b32 v149, 25, v129
	s_set_vgpr_msb 16                       ;  msbs: dst=0 src0=0 src1=0 src2=1
	v_lshl_add_u32 v131, v129, 3, v7 /*v263*/
	v_not_b32_e32 v134, v135
	v_lshlrev_b32_e32 v129, 24, v129
	v_cmp_gt_i32_e64 s17, 0, v135
	v_cmp_gt_i32_e64 s18, 0, v145
	v_not_b32_e32 v135, v145
	v_not_b32_e32 v145, v147
	v_dual_ashrrev_i32 v134, 31, v134 :: v_dual_bitop2_b32 v117, s14, v117 bitop3:0x14
	v_xor_b32_e32 v132, s15, v132
	v_cmp_gt_i32_e64 s19, 0, v147
	v_not_b32_e32 v147, v149
	v_not_b32_e32 v150, v129
	v_dual_ashrrev_i32 v135, 31, v135 :: v_dual_ashrrev_i32 v145, 31, v145
	v_xor_b32_e32 v133, s16, v133
	v_bitop3_b32 v117, v117, v132, exec_lo bitop3:0x80
	s_set_vgpr_msb 0                        ;  msbs: dst=0 src0=0 src1=0 src2=0
	v_lshl_add_u32 v131, v131, 2, v12
	v_xor_b32_e32 v134, s17, v134
	v_xor_b32_e32 v135, s18, v135
	;; [unrolled: 1-line block ×3, first 2 shown]
	v_cmp_gt_i32_e64 s14, 0, v149
	v_ashrrev_i32_e32 v145, 31, v147
	v_cmp_gt_i32_e64 s15, 0, v129
	v_ashrrev_i32_e32 v129, 31, v150
	v_bitop3_b32 v117, v117, v134, v133 bitop3:0x80
	ds_load_b32 v165, v131 offset:32
	v_xor_b32_e32 v133, s14, v145
	v_xor_b32_e32 v129, s15, v129
	v_bitop3_b32 v117, v117, v132, v135 bitop3:0x80
	v_add_nc_u32_e32 v132, 32, v131
	; wave barrier
	s_delay_alu instid0(VALU_DEP_2) | instskip(NEXT) | instid1(VALU_DEP_1)
	v_bitop3_b32 v117, v117, v129, v133 bitop3:0x80
	v_mbcnt_lo_u32_b32 v176, v117, 0
	v_cmp_ne_u32_e64 s15, 0, v117
	s_delay_alu instid0(VALU_DEP_2) | instskip(SKIP_1) | instid1(SALU_CYCLE_1)
	v_cmp_eq_u32_e64 s14, 0, v176
	s_and_b32 s15, s15, s14
	s_and_saveexec_b32 s14, s15
	s_cbranch_execz .LBB1936_79
; %bb.78:                               ;   in Loop: Header=BB1936_53 Depth=1
	s_wait_dscnt 0x0
	v_bcnt_u32_b32 v117, v117, v165
	ds_store_b32 v132, v117
.LBB1936_79:                            ;   in Loop: Header=BB1936_53 Depth=1
	s_or_b32 exec_lo, exec_lo, s14
	s_set_vgpr_msb 4                        ;  msbs: dst=0 src0=0 src1=1 src2=0
	v_cmp_ne_u16_e64 s14, 0x8000, v45 /*v301*/
	; wave barrier
	s_delay_alu instid0(VALU_DEP_1) | instskip(SKIP_1) | instid1(VALU_DEP_1)
	v_cndmask_b32_e64 v117, 0x7fff, v45 /*v301*/, s14
	s_set_vgpr_msb 0                        ;  msbs: dst=0 src0=0 src1=0 src2=0
	v_and_b32_e32 v117, 0xffff, v117
	s_delay_alu instid0(VALU_DEP_1) | instskip(NEXT) | instid1(VALU_DEP_1)
	v_lshrrev_b32_e32 v117, v10, v117
	v_and_b32_e32 v129, v117, v83
	v_bitop3_b32 v117, v117, 1, v83 bitop3:0x80
	s_delay_alu instid0(VALU_DEP_2) | instskip(NEXT) | instid1(VALU_DEP_2)
	v_lshlrev_b32_e32 v134, 30, v129
	v_add_co_u32 v117, s14, v117, -1
	s_delay_alu instid0(VALU_DEP_1) | instskip(NEXT) | instid1(VALU_DEP_1)
	v_cndmask_b32_e64 v133, 0, 1, s14
	v_cmp_ne_u32_e64 s14, 0, v133
	s_delay_alu instid0(VALU_DEP_4) | instskip(NEXT) | instid1(VALU_DEP_1)
	v_not_b32_e32 v133, v134
	v_ashrrev_i32_e32 v133, 31, v133
	v_dual_lshlrev_b32 v135, 29, v129 :: v_dual_lshlrev_b32 v145, 28, v129
	v_lshlrev_b32_e32 v147, 27, v129
	s_set_vgpr_msb 16                       ;  msbs: dst=0 src0=0 src1=0 src2=1
	v_lshl_add_u32 v131, v129, 3, v7 /*v263*/
	v_dual_lshlrev_b32 v149, 26, v129 :: v_dual_lshlrev_b32 v150, 25, v129
	v_cmp_gt_i32_e64 s15, 0, v134
	v_cmp_gt_i32_e64 s16, 0, v135
	v_not_b32_e32 v134, v135
	v_not_b32_e32 v135, v145
	v_lshlrev_b32_e32 v129, 24, v129
	v_cmp_gt_i32_e64 s17, 0, v145
	v_cmp_gt_i32_e64 s18, 0, v147
	v_not_b32_e32 v145, v147
	v_not_b32_e32 v147, v149
	v_dual_ashrrev_i32 v134, 31, v134 :: v_dual_bitop2_b32 v117, s14, v117 bitop3:0x14
	v_ashrrev_i32_e32 v135, 31, v135
	v_not_b32_e32 v151, v129
	v_xor_b32_e32 v133, s15, v133
	v_cmp_gt_i32_e64 s19, 0, v149
	v_not_b32_e32 v149, v150
	v_dual_ashrrev_i32 v145, 31, v145 :: v_dual_bitop2_b32 v134, s16, v134 bitop3:0x14
	v_ashrrev_i32_e32 v147, 31, v147
	v_xor_b32_e32 v135, s17, v135
	v_cmp_gt_i32_e64 s15, 0, v129
	v_ashrrev_i32_e32 v129, 31, v151
	v_bitop3_b32 v117, v117, v133, exec_lo bitop3:0x80
	v_xor_b32_e32 v133, s19, v147
	v_cmp_gt_i32_e64 s14, 0, v150
	v_ashrrev_i32_e32 v147, 31, v149
	s_set_vgpr_msb 0                        ;  msbs: dst=0 src0=0 src1=0 src2=0
	v_lshl_add_u32 v131, v131, 2, v12
	v_xor_b32_e32 v145, s18, v145
	v_bitop3_b32 v117, v117, v135, v134 bitop3:0x80
	v_xor_b32_e32 v129, s15, v129
	v_xor_b32_e32 v134, s14, v147
	ds_load_b32 v177, v131 offset:32
	v_bitop3_b32 v117, v117, v133, v145 bitop3:0x80
	; wave barrier
	s_delay_alu instid0(VALU_DEP_1) | instskip(SKIP_1) | instid1(VALU_DEP_2)
	v_bitop3_b32 v117, v117, v129, v134 bitop3:0x80
	v_add_nc_u32_e32 v134, 32, v131
	v_mbcnt_lo_u32_b32 v178, v117, 0
	v_cmp_ne_u32_e64 s15, 0, v117
	s_delay_alu instid0(VALU_DEP_2) | instskip(SKIP_1) | instid1(SALU_CYCLE_1)
	v_cmp_eq_u32_e64 s14, 0, v178
	s_and_b32 s15, s15, s14
	s_and_saveexec_b32 s14, s15
	s_cbranch_execz .LBB1936_81
; %bb.80:                               ;   in Loop: Header=BB1936_53 Depth=1
	s_wait_dscnt 0x0
	v_bcnt_u32_b32 v117, v117, v177
	ds_store_b32 v134, v117
.LBB1936_81:                            ;   in Loop: Header=BB1936_53 Depth=1
	s_or_b32 exec_lo, exec_lo, s14
	s_set_vgpr_msb 4                        ;  msbs: dst=0 src0=0 src1=1 src2=0
	v_cmp_ne_u16_e64 s14, 0x8000, v44 /*v300*/
	; wave barrier
	s_delay_alu instid0(VALU_DEP_1) | instskip(SKIP_1) | instid1(VALU_DEP_1)
	v_cndmask_b32_e64 v117, 0x7fff, v44 /*v300*/, s14
	s_set_vgpr_msb 0                        ;  msbs: dst=0 src0=0 src1=0 src2=0
	v_and_b32_e32 v117, 0xffff, v117
	s_delay_alu instid0(VALU_DEP_1) | instskip(NEXT) | instid1(VALU_DEP_1)
	v_lshrrev_b32_e32 v117, v10, v117
	v_and_b32_e32 v129, v117, v83
	v_bitop3_b32 v117, v117, 1, v83 bitop3:0x80
	s_delay_alu instid0(VALU_DEP_2) | instskip(NEXT) | instid1(VALU_DEP_2)
	v_lshlrev_b32_e32 v135, 30, v129
	v_add_co_u32 v117, s14, v117, -1
	s_delay_alu instid0(VALU_DEP_1) | instskip(NEXT) | instid1(VALU_DEP_1)
	v_cndmask_b32_e64 v133, 0, 1, s14
	v_cmp_ne_u32_e64 s14, 0, v133
	s_delay_alu instid0(VALU_DEP_4) | instskip(NEXT) | instid1(VALU_DEP_1)
	v_not_b32_e32 v133, v135
	v_ashrrev_i32_e32 v133, 31, v133
	v_dual_lshlrev_b32 v145, 29, v129 :: v_dual_lshlrev_b32 v147, 28, v129
	v_lshlrev_b32_e32 v149, 27, v129
	s_set_vgpr_msb 16                       ;  msbs: dst=0 src0=0 src1=0 src2=1
	v_lshl_add_u32 v131, v129, 3, v7 /*v263*/
	v_dual_lshlrev_b32 v150, 26, v129 :: v_dual_lshlrev_b32 v151, 25, v129
	v_cmp_gt_i32_e64 s15, 0, v135
	v_cmp_gt_i32_e64 s16, 0, v145
	v_not_b32_e32 v135, v145
	v_cmp_gt_i32_e64 s17, 0, v147
	v_not_b32_e32 v145, v147
	v_not_b32_e32 v147, v149
	v_lshlrev_b32_e32 v129, 24, v129
	v_cmp_gt_i32_e64 s18, 0, v149
	v_cmp_gt_i32_e64 s19, 0, v150
	v_not_b32_e32 v149, v150
	v_not_b32_e32 v150, v151
	v_dual_ashrrev_i32 v135, 31, v135 :: v_dual_bitop2_b32 v117, s14, v117 bitop3:0x14
	v_dual_ashrrev_i32 v145, 31, v145 :: v_dual_ashrrev_i32 v147, 31, v147
	v_not_b32_e32 v160, v129
	v_xor_b32_e32 v133, s15, v133
	s_delay_alu instid0(VALU_DEP_4) | instskip(SKIP_1) | instid1(VALU_DEP_4)
	v_dual_ashrrev_i32 v149, 31, v149 :: v_dual_bitop2_b32 v135, s16, v135 bitop3:0x14
	v_cmp_gt_i32_e64 s15, 0, v129
	v_ashrrev_i32_e32 v129, 31, v160
	s_delay_alu instid0(VALU_DEP_4)
	v_bitop3_b32 v117, v117, v133, exec_lo bitop3:0x80
	s_set_vgpr_msb 0                        ;  msbs: dst=0 src0=0 src1=0 src2=0
	v_lshl_add_u32 v131, v131, 2, v12
	v_xor_b32_e32 v145, s17, v145
	v_xor_b32_e32 v147, s18, v147
	;; [unrolled: 1-line block ×3, first 2 shown]
	v_cmp_gt_i32_e64 s14, 0, v151
	v_dual_ashrrev_i32 v149, 31, v150 :: v_dual_add_nc_u32 v150, 32, v131
	v_bitop3_b32 v117, v117, v145, v135 bitop3:0x80
	v_xor_b32_e32 v129, s15, v129
	ds_load_b32 v180, v131 offset:32
	v_xor_b32_e32 v135, s14, v149
	v_bitop3_b32 v117, v117, v133, v147 bitop3:0x80
	; wave barrier
	s_delay_alu instid0(VALU_DEP_1) | instskip(NEXT) | instid1(VALU_DEP_1)
	v_bitop3_b32 v117, v117, v129, v135 bitop3:0x80
	v_mbcnt_lo_u32_b32 v182, v117, 0
	v_cmp_ne_u32_e64 s15, 0, v117
	s_delay_alu instid0(VALU_DEP_2) | instskip(SKIP_1) | instid1(SALU_CYCLE_1)
	v_cmp_eq_u32_e64 s14, 0, v182
	s_and_b32 s15, s15, s14
	s_and_saveexec_b32 s14, s15
	s_cbranch_execz .LBB1936_83
; %bb.82:                               ;   in Loop: Header=BB1936_53 Depth=1
	s_wait_dscnt 0x0
	v_bcnt_u32_b32 v117, v117, v180
	ds_store_b32 v150, v117
.LBB1936_83:                            ;   in Loop: Header=BB1936_53 Depth=1
	s_or_b32 exec_lo, exec_lo, s14
	s_set_vgpr_msb 4                        ;  msbs: dst=0 src0=0 src1=1 src2=0
	v_cmp_ne_u16_e64 s14, 0x8000, v46 /*v302*/
	; wave barrier
	s_delay_alu instid0(VALU_DEP_1) | instskip(SKIP_1) | instid1(VALU_DEP_1)
	v_cndmask_b32_e64 v117, 0x7fff, v46 /*v302*/, s14
	s_set_vgpr_msb 0                        ;  msbs: dst=0 src0=0 src1=0 src2=0
	v_and_b32_e32 v117, 0xffff, v117
	s_delay_alu instid0(VALU_DEP_1) | instskip(NEXT) | instid1(VALU_DEP_1)
	v_lshrrev_b32_e32 v117, v10, v117
	v_and_b32_e32 v129, v117, v83
	v_bitop3_b32 v83, v117, 1, v83 bitop3:0x80
	s_delay_alu instid0(VALU_DEP_2) | instskip(NEXT) | instid1(VALU_DEP_2)
	v_dual_lshlrev_b32 v133, 30, v129 :: v_dual_lshlrev_b32 v135, 29, v129
	v_add_co_u32 v83, s14, v83, -1
	s_delay_alu instid0(VALU_DEP_1) | instskip(NEXT) | instid1(VALU_DEP_3)
	v_cndmask_b32_e64 v131, 0, 1, s14
	v_cmp_gt_i32_e64 s15, 0, v133
	s_delay_alu instid0(VALU_DEP_4) | instskip(NEXT) | instid1(VALU_DEP_3)
	v_cmp_gt_i32_e64 s16, 0, v135
	v_cmp_ne_u32_e64 s14, 0, v131
	v_not_b32_e32 v131, v133
	v_not_b32_e32 v133, v135
	s_delay_alu instid0(VALU_DEP_3) | instskip(NEXT) | instid1(VALU_DEP_2)
	v_xor_b32_e32 v83, s14, v83
	v_dual_ashrrev_i32 v131, 31, v131 :: v_dual_ashrrev_i32 v133, 31, v133
	v_dual_lshlrev_b32 v145, 28, v129 :: v_dual_lshlrev_b32 v147, 27, v129
	v_dual_lshlrev_b32 v149, 26, v129 :: v_dual_lshlrev_b32 v151, 25, v129
	s_set_vgpr_msb 16                       ;  msbs: dst=0 src0=0 src1=0 src2=1
	v_lshl_add_u32 v117, v129, 3, v7 /*v263*/
	s_delay_alu instid0(VALU_DEP_3)
	v_not_b32_e32 v135, v145
	v_lshlrev_b32_e32 v129, 24, v129
	v_cmp_gt_i32_e64 s17, 0, v145
	v_cmp_gt_i32_e64 s18, 0, v147
	v_not_b32_e32 v145, v147
	v_cmp_gt_i32_e64 s19, 0, v149
	v_not_b32_e32 v147, v149
	v_not_b32_e32 v149, v151
	s_delay_alu instid0(VALU_DEP_4) | instskip(SKIP_3) | instid1(VALU_DEP_4)
	v_dual_ashrrev_i32 v135, 31, v135 :: v_dual_ashrrev_i32 v145, 31, v145
	v_xor_b32_e32 v131, s15, v131
	v_not_b32_e32 v160, v129
	v_dual_ashrrev_i32 v147, 31, v147 :: v_dual_bitop2_b32 v133, s16, v133 bitop3:0x14
	v_xor_b32_e32 v135, s17, v135
	s_delay_alu instid0(VALU_DEP_4)
	v_bitop3_b32 v83, v83, v131, exec_lo bitop3:0x80
	v_xor_b32_e32 v145, s18, v145
	v_cmp_gt_i32_e64 s14, 0, v151
	v_cmp_gt_i32_e64 s15, 0, v129
	v_ashrrev_i32_e32 v129, 31, v160
	s_set_vgpr_msb 0                        ;  msbs: dst=0 src0=0 src1=0 src2=0
	v_bitop3_b32 v83, v83, v135, v133 bitop3:0x80
	v_lshl_add_u32 v133, v117, 2, v12
	v_dual_ashrrev_i32 v147, 31, v149 :: v_dual_bitop2_b32 v131, s19, v147 bitop3:0x14
	v_xor_b32_e32 v129, s15, v129
	s_delay_alu instid0(VALU_DEP_3) | instskip(NEXT) | instid1(VALU_DEP_3)
	v_add_nc_u32_e32 v160, 32, v133
	v_bitop3_b32 v131, v83, v131, v145 bitop3:0x80
	s_delay_alu instid0(VALU_DEP_4) | instskip(SKIP_2) | instid1(VALU_DEP_1)
	v_xor_b32_e32 v117, s14, v147
	ds_load_b32 v83, v133 offset:32
	; wave barrier
	v_bitop3_b32 v117, v131, v129, v117 bitop3:0x80
	v_mbcnt_lo_u32_b32 v192, v117, 0
	v_cmp_ne_u32_e64 s15, 0, v117
	s_delay_alu instid0(VALU_DEP_2) | instskip(SKIP_1) | instid1(SALU_CYCLE_1)
	v_cmp_eq_u32_e64 s14, 0, v192
	s_and_b32 s15, s15, s14
	s_and_saveexec_b32 s14, s15
	s_cbranch_execz .LBB1936_85
; %bb.84:                               ;   in Loop: Header=BB1936_53 Depth=1
	s_wait_dscnt 0x0
	v_bcnt_u32_b32 v117, v117, v83
	ds_store_b32 v160, v117
.LBB1936_85:                            ;   in Loop: Header=BB1936_53 Depth=1
	s_or_b32 exec_lo, exec_lo, s14
	; wave barrier
	s_wait_dscnt 0x0
	s_barrier_signal -1
	s_barrier_wait -1
	ds_load_b32 v129, v31
	ds_load_b32 v133, v39
	s_set_vgpr_msb 1                        ;  msbs: dst=0 src0=1 src1=0 src2=0
	ds_load_b32 v135, v1 /*v257*/
	ds_load_b32 v117, v2 /*v258*/
	;; [unrolled: 1-line block ×6, first 2 shown]
	s_wait_dscnt 0x6
	s_set_vgpr_msb 0                        ;  msbs: dst=0 src0=0 src1=0 src2=0
	v_add_nc_u32_e32 v147, v133, v129
	s_wait_dscnt 0x4
	s_delay_alu instid0(VALU_DEP_1) | instskip(SKIP_1) | instid1(VALU_DEP_1)
	v_add3_u32 v147, v147, v135, v117
	s_wait_dscnt 0x2
	v_add3_u32 v147, v147, v131, v149
	s_wait_dscnt 0x0
	s_delay_alu instid0(VALU_DEP_1) | instskip(NEXT) | instid1(VALU_DEP_1)
	v_add3_u32 v145, v147, v162, v145
	v_mov_b32_dpp v147, v145 row_shr:1 row_mask:0xf bank_mask:0xf
	s_delay_alu instid0(VALU_DEP_1) | instskip(NEXT) | instid1(VALU_DEP_1)
	v_cndmask_b32_e64 v147, v147, 0, vcc_lo
	v_add_nc_u32_e32 v145, v147, v145
	s_delay_alu instid0(VALU_DEP_1) | instskip(NEXT) | instid1(VALU_DEP_1)
	v_mov_b32_dpp v147, v145 row_shr:2 row_mask:0xf bank_mask:0xf
	v_cndmask_b32_e64 v147, 0, v147, s0
	s_delay_alu instid0(VALU_DEP_1) | instskip(NEXT) | instid1(VALU_DEP_1)
	v_add_nc_u32_e32 v145, v145, v147
	v_mov_b32_dpp v147, v145 row_shr:4 row_mask:0xf bank_mask:0xf
	s_delay_alu instid0(VALU_DEP_1) | instskip(NEXT) | instid1(VALU_DEP_1)
	v_cndmask_b32_e64 v147, 0, v147, s1
	v_add_nc_u32_e32 v145, v145, v147
	s_delay_alu instid0(VALU_DEP_1) | instskip(NEXT) | instid1(VALU_DEP_1)
	v_mov_b32_dpp v147, v145 row_shr:8 row_mask:0xf bank_mask:0xf
	v_cndmask_b32_e64 v147, 0, v147, s3
	s_delay_alu instid0(VALU_DEP_1) | instskip(SKIP_3) | instid1(VALU_DEP_1)
	v_add_nc_u32_e32 v145, v145, v147
	ds_swizzle_b32 v147, v145 offset:swizzle(BROADCAST,32,15)
	s_wait_dscnt 0x0
	v_cndmask_b32_e64 v147, v147, 0, s4
	v_add_nc_u32_e32 v145, v145, v147
	s_and_saveexec_b32 s14, s5
; %bb.86:                               ;   in Loop: Header=BB1936_53 Depth=1
	s_set_vgpr_msb 1                        ;  msbs: dst=0 src0=1 src1=0 src2=0
	ds_store_b32 v10 /*v266*/, v145
; %bb.87:                               ;   in Loop: Header=BB1936_53 Depth=1
	s_or_b32 exec_lo, exec_lo, s14
	s_wait_dscnt 0x0
	s_barrier_signal -1
	s_barrier_wait -1
	s_and_saveexec_b32 s14, s6
	s_set_vgpr_msb 0                        ;  msbs: dst=0 src0=0 src1=0 src2=0
	s_cbranch_execz .LBB1936_89
; %bb.88:                               ;   in Loop: Header=BB1936_53 Depth=1
	s_set_vgpr_msb 1                        ;  msbs: dst=0 src0=1 src1=0 src2=0
	ds_load_b32 v147, v11 /*v267*/
	s_wait_dscnt 0x0
	s_set_vgpr_msb 0                        ;  msbs: dst=0 src0=0 src1=0 src2=0
	v_mov_b32_dpp v151, v147 row_shr:1 row_mask:0xf bank_mask:0xf
	s_delay_alu instid0(VALU_DEP_1) | instskip(NEXT) | instid1(VALU_DEP_1)
	v_cndmask_b32_e64 v151, v151, 0, s11
	v_add_nc_u32_e32 v147, v151, v147
	s_delay_alu instid0(VALU_DEP_1) | instskip(NEXT) | instid1(VALU_DEP_1)
	v_mov_b32_dpp v151, v147 row_shr:2 row_mask:0xf bank_mask:0xf
	v_cndmask_b32_e64 v151, 0, v151, s12
	s_delay_alu instid0(VALU_DEP_1) | instskip(NEXT) | instid1(VALU_DEP_1)
	v_add_nc_u32_e32 v147, v147, v151
	v_mov_b32_dpp v151, v147 row_shr:4 row_mask:0xf bank_mask:0xf
	s_delay_alu instid0(VALU_DEP_1) | instskip(NEXT) | instid1(VALU_DEP_1)
	v_cndmask_b32_e64 v151, 0, v151, s13
	v_add_nc_u32_e32 v147, v147, v151
	s_set_vgpr_msb 1                        ;  msbs: dst=0 src0=1 src1=0 src2=0
	ds_store_b32 v11 /*v267*/, v147
.LBB1936_89:                            ;   in Loop: Header=BB1936_53 Depth=1
	s_or_b32 exec_lo, exec_lo, s14
	s_set_vgpr_msb 0                        ;  msbs: dst=0 src0=0 src1=0 src2=0
	v_mov_b32_e32 v147, 0
	s_wait_dscnt 0x0
	s_barrier_signal -1
	s_barrier_wait -1
	s_and_saveexec_b32 s14, s7
; %bb.90:                               ;   in Loop: Header=BB1936_53 Depth=1
	s_set_vgpr_msb 4                        ;  msbs: dst=0 src0=0 src1=1 src2=0
	v_add_nc_u32_e32 v147, -4, v10 /*v266*/
	ds_load_b32 v147, v147
; %bb.91:                               ;   in Loop: Header=BB1936_53 Depth=1
	s_or_b32 exec_lo, exec_lo, s14
	s_wait_dscnt 0x0
	s_set_vgpr_msb 0                        ;  msbs: dst=0 src0=0 src1=0 src2=0
	v_dual_add_nc_u32 v145, v147, v145 :: v_dual_mov_b32 v151, v1
	v_dual_mov_b32 v161, v1 :: v_dual_mov_b32 v167, v1
	s_mov_b32 s16, -1
	s_set_vgpr_msb 1                        ;  msbs: dst=0 src0=1 src1=0 src2=0
	ds_bpermute_b32 v145, v8 /*v264*/, v145
                                        ; implicit-def: $vgpr303
	v_add_nc_u32_e32 v10, 8, v10
	s_set_vgpr_msb 0                        ;  msbs: dst=0 src0=0 src1=0 src2=0
	s_delay_alu instid0(VALU_DEP_1) | instskip(SKIP_3) | instid1(VALU_DEP_2)
	v_cmp_lt_u32_e64 s14, v10, v11
	s_wait_dscnt 0x0
	v_cndmask_b32_e64 v145, v145, v147, s2
	v_mov_b32_e32 v147, v1
	v_cndmask_b32_e64 v166, v145, 0, s10
	s_delay_alu instid0(VALU_DEP_1) | instskip(NEXT) | instid1(VALU_DEP_1)
	v_dual_mov_b32 v145, v1 :: v_dual_add_nc_u32 v179, v166, v129
	v_dual_mov_b32 v129, v1 :: v_dual_add_nc_u32 v181, v179, v133
	ds_store_b32 v31, v166
	ds_store_b32 v39, v179
	s_set_vgpr_msb 1                        ;  msbs: dst=0 src0=1 src1=0 src2=0
	ds_store_b32 v1 /*v257*/, v181
	s_set_vgpr_msb 0                        ;  msbs: dst=0 src0=0 src1=0 src2=0
	v_mov_b32_e32 v133, v1
	v_add_nc_u32_e32 v183, v181, v135
	v_dual_mov_b32 v163, v1 :: v_dual_mov_b32 v179, v1
	v_dual_mov_b32 v181, v1 :: v_dual_mov_b32 v135, v1
	s_delay_alu instid0(VALU_DEP_3) | instskip(NEXT) | instid1(VALU_DEP_1)
	v_dual_add_nc_u32 v193, v183, v117 :: v_dual_mov_b32 v117, v1
	v_add_nc_u32_e32 v194, v193, v131
	s_delay_alu instid0(VALU_DEP_1) | instskip(NEXT) | instid1(VALU_DEP_1)
	v_dual_mov_b32 v131, v1 :: v_dual_add_nc_u32 v195, v194, v149
	v_dual_mov_b32 v149, v1 :: v_dual_add_nc_u32 v162, v195, v162
	s_set_vgpr_msb 1                        ;  msbs: dst=0 src0=1 src1=0 src2=0
	ds_store_b32 v2 /*v258*/, v183
	ds_store_b32 v3 /*v259*/, v193
	;; [unrolled: 1-line block ×5, first 2 shown]
	s_wait_dscnt 0x0
	s_barrier_signal -1
	s_barrier_wait -1
	s_set_vgpr_msb 0                        ;  msbs: dst=0 src0=0 src1=0 src2=0
	ds_load_b32 v66, v66
	ds_load_b32 v69, v69
	;; [unrolled: 1-line block ×16, first 2 shown]
	v_mov_b32_e32 v183, v1
	s_wait_dscnt 0x0
	v_add_nc_u32_e32 v0, v66, v0
	v_add3_u32 v150, v68, v67, v69
	v_add3_u32 v160, v71, v70, v80
	v_add3_u32 v162, v82, v81, v84
	v_add3_u32 v166, v86, v85, v87
	v_add3_u32 v132, v97, v96, v98
	v_add3_u32 v116, v100, v99, v101
	v_add3_u32 v128, v103, v102, v112
	v_add3_u32 v130, v114, v113, v115
	v_add3_u32 v134, v119, v118, v193
	v_add3_u32 v144, v146, v144, v194
	v_add3_u32 v146, v164, v148, v195
	v_add3_u32 v148, v176, v165, v196
	v_add3_u32 v178, v178, v177, v197
	v_add3_u32 v180, v182, v180, v198
	v_add3_u32 v182, v192, v83, v199
	v_lshl_add_u64 v[246:247], v[0:1], 1, v[12:13]
	v_lshl_add_u64 v[244:245], v[150:151], 1, v[12:13]
	;; [unrolled: 1-line block ×16, first 2 shown]
                                        ; implicit-def: $vgpr66_vgpr67
                                        ; implicit-def: $vgpr68_vgpr69
                                        ; implicit-def: $vgpr70_vgpr71
                                        ; implicit-def: $vgpr80_vgpr81
                                        ; implicit-def: $vgpr82_vgpr83
                                        ; implicit-def: $vgpr84_vgpr85
                                        ; implicit-def: $vgpr86_vgpr87
                                        ; implicit-def: $vgpr98_vgpr99
                                        ; implicit-def: $vgpr102_vgpr103
                                        ; implicit-def: $vgpr96_vgpr97
                                        ; implicit-def: $vgpr100_vgpr101
                                        ; implicit-def: $vgpr112_vgpr113
                                        ; implicit-def: $vgpr114_vgpr115
                                        ; implicit-def: $vgpr118_vgpr119
                                        ; implicit-def: $vgpr164_vgpr165
                                        ; implicit-def: $vgpr176_vgpr177
                                        ; implicit-def: $vgpr183
                                        ; implicit-def: $vgpr133
                                        ; implicit-def: $vgpr135
                                        ; implicit-def: $vgpr149
                                        ; implicit-def: $vgpr167
                                        ; implicit-def: $vgpr161
                                        ; implicit-def: $vgpr163
                                        ; implicit-def: $vgpr151
                                        ; implicit-def: $vgpr181
                                        ; implicit-def: $vgpr179
                                        ; implicit-def: $vgpr129
                                        ; implicit-def: $vgpr117
                                        ; implicit-def: $vgpr131
                                        ; implicit-def: $vgpr145
                                        ; implicit-def: $vgpr147
	s_and_saveexec_b32 s15, s14
	s_cbranch_execz .LBB1936_52
; %bb.92:                               ;   in Loop: Header=BB1936_53 Depth=1
	s_set_vgpr_msb 4                        ;  msbs: dst=0 src0=0 src1=1 src2=0
	v_add_nc_u32_e32 v66, 64, v9 /*v265*/
	v_add_nc_u32_e32 v67, 0x80, v9 /*v265*/
	;; [unrolled: 1-line block ×3, first 2 shown]
	s_barrier_signal -1
	s_barrier_wait -1
	ds_store_b16 v246, v31 /*v287*/
	ds_store_b16 v244, v34 /*v290*/
	;; [unrolled: 1-line block ×16, first 2 shown]
	s_wait_dscnt 0x0
	s_barrier_signal -1
	s_barrier_wait -1
	s_set_vgpr_msb 1                        ;  msbs: dst=0 src0=1 src1=0 src2=0
	ds_load_u16 v183, v9 /*v265*/
	s_set_vgpr_msb 4                        ;  msbs: dst=0 src0=0 src1=1 src2=0
	ds_load_u16 v133, v66
	ds_load_u16 v135, v67
	;; [unrolled: 1-line block ×3, first 2 shown]
	v_add_nc_u32_e32 v66, 0x100, v9 /*v265*/
	v_add_nc_u32_e32 v67, 0x140, v9 /*v265*/
	;; [unrolled: 1-line block ×5, first 2 shown]
	ds_load_u16 v167, v66
	ds_load_u16 v161, v67
	;; [unrolled: 1-line block ×5, first 2 shown]
	v_add_nc_u32_e32 v66, 0x240, v9 /*v265*/
	v_add_nc_u32_e32 v67, 0x280, v9 /*v265*/
	;; [unrolled: 1-line block ×5, first 2 shown]
	s_set_vgpr_msb 64                       ;  msbs: dst=1 src0=0 src1=0 src2=0
	ds_load_u16 v47 /*v303*/, v66
	s_set_vgpr_msb 0                        ;  msbs: dst=0 src0=0 src1=0 src2=0
	ds_load_u16 v179, v67
	ds_load_u16 v129, v68
	ds_load_u16 v117, v69
	ds_load_u16 v131, v70
	v_mad_nc_u64_u32 v[66:67], v0, 6, v[246:247]
	v_mad_nc_u64_u32 v[68:69], v150, 6, v[244:245]
	;; [unrolled: 1-line block ×5, first 2 shown]
	s_set_vgpr_msb 1                        ;  msbs: dst=0 src0=1 src1=0 src2=0
	ds_load_u16 v145, v13 /*v269*/
	ds_load_u16 v147, v14 /*v270*/
	s_wait_dscnt 0x0
	s_barrier_signal -1
	s_barrier_wait -1
	s_set_vgpr_msb 0                        ;  msbs: dst=0 src0=0 src1=0 src2=0
	ds_store_b64 v66, v[28:29]
	ds_store_b64 v68, v[26:27]
	;; [unrolled: 1-line block ×5, first 2 shown]
	v_mad_nc_u64_u32 v[66:67], v132, 6, v[228:229]
	v_mad_nc_u64_u32 v[68:69], v116, 6, v[226:227]
	;; [unrolled: 1-line block ×11, first 2 shown]
	ds_store_b64 v66, v[18:19]
	ds_store_b64 v68, v[16:17]
	;; [unrolled: 1-line block ×11, first 2 shown]
	s_wait_dscnt 0x0
	s_barrier_signal -1
	s_barrier_wait -1
	s_set_vgpr_msb 1                        ;  msbs: dst=0 src0=1 src1=0 src2=0
	ds_load_b64 v[66:67], v12 /*v268*/
	ds_load_b64 v[68:69], v15 /*v271*/
	;; [unrolled: 1-line block ×16, first 2 shown]
	s_set_vgpr_msb 0x44                     ;  msbs: dst=1 src0=0 src1=1 src2=0
	v_add_nc_u32_e32 v30 /*v286*/, -8, v30 /*v286*/
	s_xor_b32 s16, exec_lo, -1
	s_wait_dscnt 0x0
	s_barrier_signal -1
	s_barrier_wait -1
	s_set_vgpr_msb 0                        ;  msbs: dst=0 src0=0 src1=0 src2=0
	s_branch .LBB1936_52
.LBB1936_93:
	s_or_b32 exec_lo, exec_lo, s25
	v_mad_nc_u64_u32 v[0:1], v0, 6, v[246:247]
	v_lshl_add_u32 v31, v30, 1, v12
	s_barrier_signal -1
	s_barrier_wait -1
	s_set_vgpr_msb 4                        ;  msbs: dst=0 src0=0 src1=1 src2=0
	ds_store_b16 v246, v31 /*v287*/
	ds_store_b16 v244, v34 /*v290*/
	;; [unrolled: 1-line block ×16, first 2 shown]
	s_wait_dscnt 0x0
	s_barrier_signal -1
	s_barrier_wait -1
	ds_load_u16 v87, v31
	ds_load_u16 v86, v31 offset:512
	ds_load_u16 v85, v31 offset:1024
	;; [unrolled: 1-line block ×7, first 2 shown]
	v_mad_nc_u64_u32 v[10:11], v150, 6, v[244:245]
	ds_load_u16 v80, v31 offset:4096
	ds_load_u16 v70, v31 offset:4608
	;; [unrolled: 1-line block ×8, first 2 shown]
	s_wait_dscnt 0x0
	s_barrier_signal -1
	s_barrier_wait -1
	s_set_vgpr_msb 0                        ;  msbs: dst=0 src0=0 src1=0 src2=0
	ds_store_b64 v0, v[28:29]
	v_mad_nc_u64_u32 v[0:1], v132, 6, v[228:229]
	v_mad_nc_u64_u32 v[12:13], v160, 6, v[242:243]
	;; [unrolled: 1-line block ×4, first 2 shown]
	ds_store_b64 v10, v[26:27]
	ds_store_b64 v12, v[24:25]
	;; [unrolled: 1-line block ×4, first 2 shown]
	v_mad_nc_u64_u32 v[10:11], v116, 6, v[226:227]
	ds_store_b64 v0, v[18:19]
	v_mad_nc_u64_u32 v[0:1], v148, 6, v[198:199]
	v_mad_nc_u64_u32 v[12:13], v128, 6, v[224:225]
	;; [unrolled: 1-line block ×9, first 2 shown]
	v_mul_u32_u24_e32 v1, 6, v30
	ds_store_b64 v10, v[16:17]
	ds_store_b64 v12, v[14:15]
	;; [unrolled: 1-line block ×10, first 2 shown]
	v_dual_mov_b32 v39, 0 :: v_dual_add_nc_u32 v0, v31, v1
	s_wait_dscnt 0x0
	s_barrier_signal -1
	s_barrier_wait -1
	ds_load_2addr_stride64_b64 v[48:51], v0 offset1:4
	ds_load_2addr_stride64_b64 v[34:37], v0 offset0:8 offset1:12
	ds_load_2addr_stride64_b64 v[30:33], v0 offset0:16 offset1:20
	;; [unrolled: 1-line block ×7, first 2 shown]
	v_lshl_add_u64 v[0:1], v[8:9], 1, v[2:3]
	s_set_vgpr_msb 4                        ;  msbs: dst=0 src0=0 src1=1 src2=0
	v_cmp_lt_u32_e32 vcc_lo, v38, v0 /*v256*/
	s_wait_dscnt 0x0
	s_barrier_signal -1
	s_barrier_wait -1
	v_lshl_add_u64 v[0:1], v[38:39], 1, v[0:1]
	s_and_saveexec_b32 s1, vcc_lo
	s_set_vgpr_msb 0                        ;  msbs: dst=0 src0=0 src1=0 src2=0
	s_cbranch_execz .LBB1936_95
; %bb.94:
	v_cmp_gt_i16_e64 s0, 0, v87
	s_delay_alu instid0(VALU_DEP_1) | instskip(NEXT) | instid1(VALU_DEP_1)
	v_cndmask_b32_e64 v2, 0x7fff, 0, s0
	v_xor_b32_e32 v2, v2, v87
	flat_store_b16 v[0:1], v2
.LBB1936_95:
	s_wait_xcnt 0x0
	s_or_b32 exec_lo, exec_lo, s1
	v_add_nc_u32_e32 v2, 0x100, v38
	s_set_vgpr_msb 4                        ;  msbs: dst=0 src0=0 src1=1 src2=0
	s_delay_alu instid0(VALU_DEP_1)
	v_cmp_lt_u32_e64 s0, v2, v0 /*v256*/
	s_and_saveexec_b32 s2, s0
	s_set_vgpr_msb 0                        ;  msbs: dst=0 src0=0 src1=0 src2=0
	s_cbranch_execz .LBB1936_97
; %bb.96:
	v_cmp_gt_i16_e64 s1, 0, v86
	s_delay_alu instid0(VALU_DEP_1) | instskip(NEXT) | instid1(VALU_DEP_1)
	v_cndmask_b32_e64 v2, 0x7fff, 0, s1
	v_xor_b32_e32 v2, v2, v86
	flat_store_b16 v[0:1], v2 offset:512
.LBB1936_97:
	s_wait_xcnt 0x0
	s_or_b32 exec_lo, exec_lo, s2
	v_add_nc_u32_e32 v2, 0x200, v38
	s_set_vgpr_msb 4                        ;  msbs: dst=0 src0=0 src1=1 src2=0
	s_delay_alu instid0(VALU_DEP_1)
	v_cmp_lt_u32_e64 s1, v2, v0 /*v256*/
	s_and_saveexec_b32 s3, s1
	s_set_vgpr_msb 0                        ;  msbs: dst=0 src0=0 src1=0 src2=0
	s_cbranch_execz .LBB1936_99
; %bb.98:
	v_cmp_gt_i16_e64 s2, 0, v85
	s_delay_alu instid0(VALU_DEP_1) | instskip(NEXT) | instid1(VALU_DEP_1)
	v_cndmask_b32_e64 v2, 0x7fff, 0, s2
	v_xor_b32_e32 v2, v2, v85
	flat_store_b16 v[0:1], v2 offset:1024
.LBB1936_99:
	;; [unrolled: 16-line block ×15, first 2 shown]
	s_wait_xcnt 0x0
	s_or_b32 exec_lo, exec_lo, s18
	v_lshl_add_u64 v[0:1], v[8:9], 3, v[6:7]
	s_delay_alu instid0(VALU_DEP_1)
	v_lshl_add_u64 v[0:1], v[38:39], 3, v[0:1]
	s_and_saveexec_b32 s17, vcc_lo
	s_cbranch_execnz .LBB1936_211
; %bb.126:
	s_or_b32 exec_lo, exec_lo, s17
	s_and_saveexec_b32 s17, s0
	s_cbranch_execnz .LBB1936_212
.LBB1936_127:
	s_or_b32 exec_lo, exec_lo, s17
	s_and_saveexec_b32 s0, s1
	s_cbranch_execnz .LBB1936_213
.LBB1936_128:
	s_or_b32 exec_lo, exec_lo, s0
	s_and_saveexec_b32 s0, s2
	s_cbranch_execnz .LBB1936_214
.LBB1936_129:
	s_or_b32 exec_lo, exec_lo, s0
	s_and_saveexec_b32 s0, s3
	s_cbranch_execnz .LBB1936_215
.LBB1936_130:
	s_or_b32 exec_lo, exec_lo, s0
	s_and_saveexec_b32 s0, s4
	s_cbranch_execnz .LBB1936_216
.LBB1936_131:
	s_or_b32 exec_lo, exec_lo, s0
	s_and_saveexec_b32 s0, s5
	s_cbranch_execnz .LBB1936_217
.LBB1936_132:
	s_or_b32 exec_lo, exec_lo, s0
	s_and_saveexec_b32 s0, s6
	s_cbranch_execnz .LBB1936_218
.LBB1936_133:
	s_or_b32 exec_lo, exec_lo, s0
	s_and_saveexec_b32 s0, s7
	s_cbranch_execnz .LBB1936_219
.LBB1936_134:
	s_or_b32 exec_lo, exec_lo, s0
	s_and_saveexec_b32 s0, s10
	s_cbranch_execnz .LBB1936_220
.LBB1936_135:
	s_or_b32 exec_lo, exec_lo, s0
	s_and_saveexec_b32 s0, s11
	s_cbranch_execnz .LBB1936_221
.LBB1936_136:
	s_or_b32 exec_lo, exec_lo, s0
	s_and_saveexec_b32 s0, s12
	s_cbranch_execnz .LBB1936_222
.LBB1936_137:
	s_or_b32 exec_lo, exec_lo, s0
	s_and_saveexec_b32 s0, s13
	s_cbranch_execnz .LBB1936_223
.LBB1936_138:
	s_or_b32 exec_lo, exec_lo, s0
	s_and_saveexec_b32 s0, s14
	s_cbranch_execnz .LBB1936_224
.LBB1936_139:
	s_or_b32 exec_lo, exec_lo, s0
	s_and_saveexec_b32 s0, s15
	s_cbranch_execnz .LBB1936_225
.LBB1936_140:
	s_or_b32 exec_lo, exec_lo, s0
	s_and_saveexec_b32 s0, s16
	s_cbranch_execz .LBB1936_142
.LBB1936_141:
	flat_store_b64 v[0:1], v[12:13] offset:30720
.LBB1936_142:
	s_wait_xcnt 0x0
	s_or_b32 exec_lo, exec_lo, s0
                                        ; implicit-def: $vgpr256
                                        ; implicit-def: $vgpr8
                                        ; implicit-def: $vgpr10
                                        ; implicit-def: $vgpr11
                                        ; implicit-def: $vgpr0_vgpr1
                                        ; implicit-def: $vgpr2_vgpr3
                                        ; implicit-def: $vgpr4_vgpr5
                                        ; implicit-def: $vgpr6_vgpr7
                                        ; implicit-def: $vgpr12_vgpr13
                                        ; implicit-def: $vgpr9
                                        ; implicit-def: $vgpr14
                                        ; implicit-def: $vgpr30
                                        ; implicit-def: $vgpr33
.LBB1936_143:
	s_and_not1_saveexec_b32 s0, s21
	s_cbranch_execz .LBB1936_372
; %bb.144:
	s_mov_b32 s0, exec_lo
	s_set_vgpr_msb 4                        ;  msbs: dst=0 src0=0 src1=1 src2=0
	v_cmpx_lt_u32_e32 0x400, v0 /*v256*/
	s_xor_b32 s21, exec_lo, s0
	s_set_vgpr_msb 0                        ;  msbs: dst=0 src0=0 src1=0 src2=0
	s_cbranch_execz .LBB1936_252
; %bb.145:
	s_load_b64 s[0:1], s[8:9], 0x0
	s_bfe_u32 s3, ttmp6, 0x4000c
	s_bfe_u32 s5, ttmp6, 0x40010
	s_and_b32 s4, ttmp7, 0xffff
	s_add_co_i32 s3, s3, 1
	s_add_co_i32 s5, s5, 1
	s_and_b32 s2, ttmp6, 15
	s_bfe_u32 s6, ttmp6, 0x40004
	s_mul_i32 s3, ttmp9, s3
	s_mul_i32 s5, s4, s5
	s_add_co_i32 s2, s2, s3
	s_add_co_i32 s6, s6, s5
	s_cmp_eq_u32 s23, 0
	s_mov_b32 s3, 0
	s_cselect_b32 s2, ttmp9, s2
	s_cselect_b32 s4, s4, s6
	s_wait_kmcnt 0x0
	s_cmp_lt_u32 s2, s0
	s_cselect_b32 s2, 12, 18
	s_cmp_lt_u32 s4, s1
	s_mov_b32 s1, s3
	s_cselect_b32 s0, 14, 20
	s_delay_alu instid0(SALU_CYCLE_1)
	s_add_nc_u64 s[0:1], s[8:9], s[0:1]
	s_load_u16 s4, s[0:1], 0x0
	s_wait_xcnt 0x0
	s_add_nc_u64 s[0:1], s[8:9], s[2:3]
	s_load_u16 s0, s[0:1], 0x0
	s_wait_kmcnt 0x0
	v_mad_u32_u24 v9, v14, s4, v9
	v_lshlrev_b32_e32 v14, 1, v33
	s_delay_alu instid0(VALU_DEP_2) | instskip(SKIP_1) | instid1(VALU_DEP_1)
	v_mad_u32 v26, v9, s0, v30
	v_mov_b32_e32 v9, 0
	v_lshl_add_u64 v[16:17], v[8:9], 1, v[0:1]
	s_delay_alu instid0(VALU_DEP_3) | instskip(NEXT) | instid1(VALU_DEP_1)
	v_dual_mov_b32 v15, v9 :: v_dual_lshlrev_b32 v18, 3, v26
	v_add_nc_u64_e32 v[14:15], v[16:17], v[14:15]
	v_dual_mov_b32 v16, -1 :: v_dual_mov_b32 v17, -1
	s_delay_alu instid0(VALU_DEP_3) | instskip(NEXT) | instid1(VALU_DEP_1)
	v_and_b32_e32 v0, 0xffffff00, v18
	v_dual_mov_b32 v1, v9 :: v_dual_bitop2_b32 v24, v0, v33 bitop3:0x54
	s_delay_alu instid0(VALU_DEP_1) | instskip(SKIP_1) | instid1(VALU_DEP_2)
	v_lshl_add_u64 v[14:15], v[0:1], 1, v[14:15]
	s_set_vgpr_msb 4                        ;  msbs: dst=0 src0=0 src1=1 src2=0
	v_cmp_lt_u32_e32 vcc_lo, v24, v0 /*v256*/
	s_and_saveexec_b32 s0, vcc_lo
	s_set_vgpr_msb 0                        ;  msbs: dst=0 src0=0 src1=0 src2=0
	s_cbranch_execz .LBB1936_147
; %bb.146:
	flat_load_u16 v17, v[14:15]
.LBB1936_147:
	s_wait_xcnt 0x0
	s_or_b32 exec_lo, exec_lo, s0
	v_or_b32_e32 v18, 32, v24
	s_set_vgpr_msb 4                        ;  msbs: dst=0 src0=0 src1=1 src2=0
	s_delay_alu instid0(VALU_DEP_1)
	v_cmp_lt_u32_e64 s0, v18, v0 /*v256*/
	s_and_saveexec_b32 s1, s0
	s_set_vgpr_msb 0                        ;  msbs: dst=0 src0=0 src1=0 src2=0
	s_cbranch_execz .LBB1936_149
; %bb.148:
	flat_load_u16 v16, v[14:15] offset:64
.LBB1936_149:
	s_wait_xcnt 0x0
	s_or_b32 exec_lo, exec_lo, s1
	v_dual_mov_b32 v18, -1 :: v_dual_bitop2_b32 v19, 64, v24 bitop3:0x54
	s_set_vgpr_msb 4                        ;  msbs: dst=0 src0=0 src1=1 src2=0
	s_delay_alu instid0(VALU_DEP_1)
	v_cmp_lt_u32_e64 s1, v19, v0 /*v256*/
	v_mov_b32_e32 v19, -1
	s_and_saveexec_b32 s2, s1
	s_set_vgpr_msb 0                        ;  msbs: dst=0 src0=0 src1=0 src2=0
	s_cbranch_execz .LBB1936_151
; %bb.150:
	flat_load_u16 v19, v[14:15] offset:128
.LBB1936_151:
	s_wait_xcnt 0x0
	s_or_b32 exec_lo, exec_lo, s2
	v_or_b32_e32 v20, 0x60, v24
	s_set_vgpr_msb 4                        ;  msbs: dst=0 src0=0 src1=1 src2=0
	s_delay_alu instid0(VALU_DEP_1)
	v_cmp_lt_u32_e64 s2, v20, v0 /*v256*/
	s_and_saveexec_b32 s3, s2
	s_set_vgpr_msb 0                        ;  msbs: dst=0 src0=0 src1=0 src2=0
	s_cbranch_execz .LBB1936_153
; %bb.152:
	flat_load_u16 v18, v[14:15] offset:192
.LBB1936_153:
	s_wait_xcnt 0x0
	s_or_b32 exec_lo, exec_lo, s3
	v_or_b32_e32 v21, 0x80, v24
	v_mov_b32_e32 v20, -1
	s_set_vgpr_msb 4                        ;  msbs: dst=0 src0=0 src1=1 src2=0
	s_delay_alu instid0(VALU_DEP_2)
	v_cmp_lt_u32_e64 s3, v21, v0 /*v256*/
	v_mov_b32_e32 v21, -1
	s_and_saveexec_b32 s4, s3
	s_set_vgpr_msb 0                        ;  msbs: dst=0 src0=0 src1=0 src2=0
	s_cbranch_execz .LBB1936_155
; %bb.154:
	flat_load_u16 v21, v[14:15] offset:256
.LBB1936_155:
	s_wait_xcnt 0x0
	s_or_b32 exec_lo, exec_lo, s4
	v_or_b32_e32 v22, 0xa0, v24
	s_set_vgpr_msb 4                        ;  msbs: dst=0 src0=0 src1=1 src2=0
	s_delay_alu instid0(VALU_DEP_1)
	v_cmp_lt_u32_e64 s4, v22, v0 /*v256*/
	s_and_saveexec_b32 s5, s4
	s_set_vgpr_msb 0                        ;  msbs: dst=0 src0=0 src1=0 src2=0
	s_cbranch_execz .LBB1936_157
; %bb.156:
	flat_load_u16 v20, v[14:15] offset:320
.LBB1936_157:
	s_wait_xcnt 0x0
	s_or_b32 exec_lo, exec_lo, s5
	v_or_b32_e32 v23, 0xc0, v24
	v_mov_b32_e32 v22, -1
	s_set_vgpr_msb 4                        ;  msbs: dst=0 src0=0 src1=1 src2=0
	s_delay_alu instid0(VALU_DEP_2)
	v_cmp_lt_u32_e64 s5, v23, v0 /*v256*/
	v_mov_b32_e32 v23, -1
	s_and_saveexec_b32 s6, s5
	s_set_vgpr_msb 0                        ;  msbs: dst=0 src0=0 src1=0 src2=0
	s_cbranch_execz .LBB1936_159
; %bb.158:
	flat_load_u16 v23, v[14:15] offset:384
.LBB1936_159:
	s_wait_xcnt 0x0
	s_or_b32 exec_lo, exec_lo, s6
	v_or_b32_e32 v24, 0xe0, v24
	s_set_vgpr_msb 4                        ;  msbs: dst=0 src0=0 src1=1 src2=0
	s_delay_alu instid0(VALU_DEP_1)
	v_cmp_lt_u32_e64 s6, v24, v0 /*v256*/
	s_and_saveexec_b32 s7, s6
	s_set_vgpr_msb 0                        ;  msbs: dst=0 src0=0 src1=0 src2=0
	s_cbranch_execz .LBB1936_161
; %bb.160:
	flat_load_u16 v22, v[14:15] offset:448
.LBB1936_161:
	s_wait_xcnt 0x0
	s_or_b32 exec_lo, exec_lo, s7
	v_lshl_add_u64 v[4:5], v[8:9], 3, v[4:5]
	v_dual_mov_b32 v15, 0 :: v_dual_lshlrev_b32 v14, 3, v33
                                        ; implicit-def: $vgpr34_vgpr35
	s_delay_alu instid0(VALU_DEP_1) | instskip(NEXT) | instid1(VALU_DEP_1)
	v_add_nc_u64_e32 v[4:5], v[4:5], v[14:15]
	v_lshl_add_u64 v[0:1], v[0:1], 3, v[4:5]
	s_and_saveexec_b32 s7, vcc_lo
	s_cbranch_execnz .LBB1936_285
; %bb.162:
	s_or_b32 exec_lo, exec_lo, s7
                                        ; implicit-def: $vgpr36_vgpr37
	s_and_saveexec_b32 s7, s0
	s_cbranch_execnz .LBB1936_286
.LBB1936_163:
	s_or_b32 exec_lo, exec_lo, s7
                                        ; implicit-def: $vgpr38_vgpr39
	s_and_saveexec_b32 s0, s1
	s_cbranch_execnz .LBB1936_287
.LBB1936_164:
	s_or_b32 exec_lo, exec_lo, s0
                                        ; implicit-def: $vgpr48_vgpr49
	s_and_saveexec_b32 s0, s2
	s_cbranch_execnz .LBB1936_288
.LBB1936_165:
	s_or_b32 exec_lo, exec_lo, s0
                                        ; implicit-def: $vgpr50_vgpr51
	s_and_saveexec_b32 s0, s3
	s_cbranch_execnz .LBB1936_289
.LBB1936_166:
	s_or_b32 exec_lo, exec_lo, s0
                                        ; implicit-def: $vgpr52_vgpr53
	s_and_saveexec_b32 s0, s4
	s_cbranch_execnz .LBB1936_290
.LBB1936_167:
	s_or_b32 exec_lo, exec_lo, s0
                                        ; implicit-def: $vgpr54_vgpr55
	s_and_saveexec_b32 s0, s5
	s_cbranch_execnz .LBB1936_291
.LBB1936_168:
	s_or_b32 exec_lo, exec_lo, s0
                                        ; implicit-def: $vgpr64_vgpr65
	s_and_saveexec_b32 s0, s6
	s_cbranch_execz .LBB1936_170
.LBB1936_169:
	flat_load_b64 v[64:65], v[0:1] offset:1792
.LBB1936_170:
	s_wait_xcnt 0x0
	s_or_b32 exec_lo, exec_lo, s0
	s_wait_loadcnt_dscnt 0x0
	v_cmp_gt_i16_e32 vcc_lo, 0, v17
	s_get_pc_i64 s[0:1]
	s_add_nc_u64 s[0:1], s[0:1], _ZN7rocprim17ROCPRIM_400000_NS16block_radix_sortI12hip_bfloat16Lj256ELj8ElLj1ELj1ELj8ELNS0_26block_radix_rank_algorithmE2ELNS0_18block_padding_hintE2ELNS0_4arch9wavefront6targetE0EE19radix_bits_per_passE@rel64+4
	v_cmp_gt_u32_e64 s6, 8, v30
	s_load_b32 s24, s[0:1], 0x0
	v_cmp_lt_u32_e64 s7, 31, v30
	v_cndmask_b32_e64 v0, 0x7fff, 0, vcc_lo
	v_cmp_gt_i16_e32 vcc_lo, 0, v16
	v_cmp_eq_u32_e64 s10, 0, v30
	v_lshl_add_u32 v145, v30, 2, v12
	s_delay_alu instid0(VALU_DEP_4) | instskip(SKIP_4) | instid1(VALU_DEP_2)
	v_dual_sub_nc_u32 v179, v11, v10 :: v_dual_bitop2_b32 v196, v0, v17 bitop3:0x14
	v_cndmask_b32_e64 v1, 0x7fff, 0, vcc_lo
	v_cmp_gt_i16_e32 vcc_lo, 0, v19
	s_mov_b32 s25, 0
	s_wait_storecnt 0x0
	v_dual_lshrrev_b32 v134, 5, v26 :: v_dual_bitop2_b32 v85, v1, v16 bitop3:0x14
	v_cndmask_b32_e64 v4, 0x7fff, 0, vcc_lo
	v_cmp_gt_i16_e32 vcc_lo, 0, v18
	s_barrier_signal -1
	s_barrier_wait -1
	v_cndmask_b32_e64 v5, 0x7fff, 0, vcc_lo
	v_cmp_gt_i16_e32 vcc_lo, 0, v21
	v_cndmask_b32_e64 v14, 0x7fff, 0, vcc_lo
	v_cmp_gt_i16_e32 vcc_lo, 0, v20
	;; [unrolled: 2-line block ×3, first 2 shown]
	s_delay_alu instid0(VALU_DEP_2)
	v_xor_b32_e32 v71, v0, v20
	v_cndmask_b32_e64 v1, 0x7fff, 0, vcc_lo
	v_cmp_gt_i16_e32 vcc_lo, 0, v22
	v_lshl_add_u32 v0, v30, 5, v12
	v_xor_b32_e32 v87, v4, v19
	v_xor_b32_e32 v69, v5, v18
	;; [unrolled: 1-line block ×3, first 2 shown]
	v_cndmask_b32_e64 v4, 0x7fff, 0, vcc_lo
	v_dual_add_nc_u32 v129, 44, v0 :: v_dual_bitop2_b32 v81, v1, v23 bitop3:0x14
	v_dual_add_nc_u32 v27, 32, v0 :: v_dual_add_nc_u32 v31, 36, v0
	s_delay_alu instid0(VALU_DEP_3)
	v_dual_add_nc_u32 v130, 48, v0 :: v_dual_bitop2_b32 v83, v4, v22 bitop3:0x14
	v_dual_add_nc_u32 v128, 40, v0 :: v_dual_add_nc_u32 v131, 52, v0
	v_dual_add_nc_u32 v132, 56, v0 :: v_dual_bitop2_b32 v4, 15, v33 bitop3:0x40
	v_add_nc_u32_e32 v133, 60, v0
	v_and_b32_e32 v0, 0x3e0, v30
	v_sub_co_u32 v14, s2, v33, 1
	v_dual_lshlrev_b32 v1, 3, v30 :: v_dual_bitop2_b32 v5, 16, v33 bitop3:0x40
	s_delay_alu instid0(VALU_DEP_3) | instskip(NEXT) | instid1(VALU_DEP_3)
	v_min_u32_e32 v0, 0xe0, v0
	v_cmp_gt_i32_e64 s5, 0, v14
	v_cmp_eq_u32_e32 vcc_lo, 0, v4
	s_wait_xcnt 0x0
	v_cmp_lt_u32_e64 s0, 1, v4
	v_cmp_lt_u32_e64 s1, 3, v4
	v_cmp_lt_u32_e64 s3, 7, v4
	v_or_b32_e32 v0, 31, v0
	v_cmp_eq_u32_e64 s4, 0, v5
	v_dual_lshrrev_b32 v4, 3, v30 :: v_dual_cndmask_b32 v5, v14, v33, s5
	s_delay_alu instid0(VALU_DEP_3) | instskip(NEXT) | instid1(VALU_DEP_2)
	v_cmp_eq_u32_e64 s5, v30, v0
	v_and_b32_e32 v0, 0x7c, v4
	s_delay_alu instid0(VALU_DEP_3) | instskip(SKIP_1) | instid1(VALU_DEP_3)
	v_lshlrev_b32_e32 v135, 2, v5
	v_and_or_b32 v5, 0x1f00, v1, v33
	v_dual_mov_b32 v1, 0 :: v_dual_add_nc_u32 v144, v12, v0
	v_and_b32_e32 v4, 7, v33
	s_delay_alu instid0(VALU_DEP_3) | instskip(SKIP_1) | instid1(VALU_DEP_4)
	v_lshl_add_u32 v146, v5, 1, v12
	v_mul_u32_u24_e32 v0, 6, v5
	v_add_nc_u32_e32 v147, -4, v144
	s_delay_alu instid0(VALU_DEP_4) | instskip(NEXT) | instid1(VALU_DEP_3)
	v_cmp_eq_u32_e64 s11, 0, v4
	v_dual_add_nc_u32 v148, 64, v146 :: v_dual_add_nc_u32 v151, v146, v0
	v_cmp_lt_u32_e64 s12, 1, v4
	v_cmp_lt_u32_e64 s13, 3, v4
	v_mov_b64_e32 v[4:5], 0
	v_add_nc_u32_e32 v149, 0x80, v146
	v_add_nc_u32_e32 v150, 0xc0, v146
	;; [unrolled: 1-line block ×13, first 2 shown]
	s_branch .LBB1936_172
.LBB1936_171:                           ;   in Loop: Header=BB1936_172 Depth=1
	s_or_b32 exec_lo, exec_lo, s15
	s_delay_alu instid0(SALU_CYCLE_1) | instskip(NEXT) | instid1(SALU_CYCLE_1)
	s_and_b32 s14, exec_lo, s16
	s_or_b32 s25, s14, s25
	s_delay_alu instid0(SALU_CYCLE_1)
	s_and_not1_b32 exec_lo, exec_lo, s25
	s_cbranch_execz .LBB1936_226
.LBB1936_172:                           ; =>This Inner Loop Header: Depth=1
	v_mov_b32_e32 v180, v196
	s_wait_kmcnt 0x0
	v_min_u32_e32 v14, s24, v179
	v_mov_b64_e32 v[32:33], v[36:37]
	v_mov_b64_e32 v[22:23], v[34:35]
	;; [unrolled: 1-line block ×3, first 2 shown]
	v_cmp_ne_u16_e64 s14, 0x8000, v180
	v_lshlrev_b32_e64 v36, v14, -1
	v_mov_b64_e32 v[24:25], v[48:49]
	v_mov_b64_e32 v[20:21], v[50:51]
	;; [unrolled: 1-line block ×3, first 2 shown]
	v_cndmask_b32_e64 v0, 0x7fff, v180, s14
	v_mov_b64_e32 v[16:17], v[54:55]
	v_mov_b64_e32 v[14:15], v[64:65]
	v_dual_mov_b32 v181, v85 :: v_dual_mov_b32 v182, v87
	s_delay_alu instid0(VALU_DEP_4)
	v_and_b32_e32 v0, 0xffff, v0
	v_dual_mov_b32 v193, v81 :: v_dual_mov_b32 v195, v83
	ds_store_b64 v27, v[4:5]
	ds_store_b64 v128, v[4:5]
	;; [unrolled: 1-line block ×4, first 2 shown]
	v_lshrrev_b32_e32 v0, v10, v0
	s_wait_dscnt 0x0
	s_barrier_signal -1
	s_barrier_wait -1
	s_delay_alu instid0(VALU_DEP_1) | instskip(SKIP_2) | instid1(VALU_DEP_3)
	v_bitop3_b32 v34, v0, 1, v36 bitop3:0x40
	v_bitop3_b32 v0, v0, v36, v0 bitop3:0x30
	v_mov_b32_e32 v183, v69
	; wave barrier
	v_add_co_u32 v34, s14, v34, -1
	s_delay_alu instid0(VALU_DEP_1) | instskip(NEXT) | instid1(VALU_DEP_4)
	v_cndmask_b32_e64 v35, 0, 1, s14
	v_dual_lshlrev_b32 v37, 30, v0 :: v_dual_lshlrev_b32 v38, 29, v0
	v_dual_lshlrev_b32 v39, 28, v0 :: v_dual_lshlrev_b32 v48, 27, v0
	s_delay_alu instid0(VALU_DEP_3) | instskip(NEXT) | instid1(VALU_DEP_3)
	v_cmp_ne_u32_e64 s14, 0, v35
	v_not_b32_e32 v35, v37
	v_lshlrev_b32_e32 v51, 24, v0
	v_cmp_gt_i32_e64 s15, 0, v37
	v_cmp_gt_i32_e64 s16, 0, v38
	v_not_b32_e32 v37, v38
	v_not_b32_e32 v38, v39
	v_dual_ashrrev_i32 v35, 31, v35 :: v_dual_lshlrev_b32 v49, 26, v0
	v_lshlrev_b32_e32 v50, 25, v0
	v_cmp_gt_i32_e64 s17, 0, v39
	v_dual_ashrrev_i32 v37, 31, v37 :: v_dual_bitop2_b32 v34, s14, v34 bitop3:0x14
	s_delay_alu instid0(VALU_DEP_4) | instskip(SKIP_2) | instid1(VALU_DEP_4)
	v_dual_ashrrev_i32 v38, 31, v38 :: v_dual_bitop2_b32 v35, s15, v35 bitop3:0x14
	v_not_b32_e32 v39, v48
	v_not_b32_e32 v52, v49
	v_xor_b32_e32 v37, s16, v37
	s_delay_alu instid0(VALU_DEP_4)
	v_xor_b32_e32 v38, s17, v38
	v_bitop3_b32 v34, v34, v35, exec_lo bitop3:0x80
	v_cmp_gt_i32_e64 s14, 0, v48
	v_ashrrev_i32_e32 v35, 31, v39
	v_cmp_gt_i32_e64 s15, 0, v49
	v_ashrrev_i32_e32 v39, 31, v52
	v_bitop3_b32 v34, v34, v38, v37 bitop3:0x80
	v_not_b32_e32 v37, v50
	v_not_b32_e32 v38, v51
	v_xor_b32_e32 v35, s14, v35
	v_xor_b32_e32 v39, s15, v39
	v_cmp_gt_i32_e64 s14, 0, v50
	v_ashrrev_i32_e32 v37, 31, v37
	v_cmp_gt_i32_e64 s15, 0, v51
	v_dual_ashrrev_i32 v38, 31, v38 :: v_dual_lshlrev_b32 v0, 3, v0
	v_bitop3_b32 v34, v34, v39, v35 bitop3:0x80
	s_delay_alu instid0(VALU_DEP_4) | instskip(NEXT) | instid1(VALU_DEP_3)
	v_dual_mov_b32 v192, v67 :: v_dual_bitop2_b32 v35, s14, v37 bitop3:0x14
	v_dual_mov_b32 v194, v71 :: v_dual_bitop2_b32 v37, s15, v38 bitop3:0x14
	s_delay_alu instid0(VALU_DEP_4) | instskip(NEXT) | instid1(VALU_DEP_2)
	v_add_lshl_u32 v0, v0, v134, 2
	v_bitop3_b32 v37, v34, v37, v35 bitop3:0x80
	s_delay_alu instid0(VALU_DEP_2) | instskip(NEXT) | instid1(VALU_DEP_2)
	v_add_nc_u64_e32 v[34:35], v[12:13], v[0:1]
	v_mbcnt_lo_u32_b32 v0, v37, 0
	v_cmp_ne_u32_e64 s15, 0, v37
	s_delay_alu instid0(VALU_DEP_3) | instskip(NEXT) | instid1(VALU_DEP_3)
	v_add_nc_u64_e32 v[34:35], 32, v[34:35]
	v_cmp_eq_u32_e64 s14, 0, v0
	s_and_b32 s15, s15, s14
	s_delay_alu instid0(SALU_CYCLE_1)
	s_and_saveexec_b32 s14, s15
; %bb.173:                              ;   in Loop: Header=BB1936_172 Depth=1
	v_bcnt_u32_b32 v35, v37, 0
	ds_store_b32 v34, v35
; %bb.174:                              ;   in Loop: Header=BB1936_172 Depth=1
	s_or_b32 exec_lo, exec_lo, s14
	v_cmp_ne_u16_e64 s14, 0x8000, v181
	v_not_b32_e32 v49, v36
	; wave barrier
	s_delay_alu instid0(VALU_DEP_2) | instskip(NEXT) | instid1(VALU_DEP_1)
	v_cndmask_b32_e64 v35, 0x7fff, v181, s14
	v_and_b32_e32 v35, 0xffff, v35
	s_delay_alu instid0(VALU_DEP_1) | instskip(NEXT) | instid1(VALU_DEP_1)
	v_lshrrev_b32_e32 v35, v10, v35
	v_and_b32_e32 v36, v35, v49
	s_delay_alu instid0(VALU_DEP_1) | instskip(SKIP_1) | instid1(VALU_DEP_2)
	v_lshlrev_b32_e32 v39, 30, v36
	v_bitop3_b32 v35, v35, 1, v49 bitop3:0x80
	v_cmp_gt_i32_e64 s15, 0, v39
	s_delay_alu instid0(VALU_DEP_2) | instskip(NEXT) | instid1(VALU_DEP_1)
	v_add_co_u32 v35, s14, v35, -1
	v_cndmask_b32_e64 v38, 0, 1, s14
	s_delay_alu instid0(VALU_DEP_1) | instskip(SKIP_1) | instid1(VALU_DEP_1)
	v_cmp_ne_u32_e64 s14, 0, v38
	v_not_b32_e32 v38, v39
	v_dual_ashrrev_i32 v38, 31, v38 :: v_dual_lshlrev_b32 v48, 29, v36
	v_dual_lshlrev_b32 v50, 28, v36 :: v_dual_lshlrev_b32 v51, 27, v36
	v_lshlrev_b32_e32 v52, 26, v36
	v_lshl_add_u32 v37, v36, 3, v134
	s_delay_alu instid0(VALU_DEP_4)
	v_cmp_gt_i32_e64 s16, 0, v48
	v_not_b32_e32 v39, v48
	v_not_b32_e32 v48, v50
	v_dual_lshlrev_b32 v53, 25, v36 :: v_dual_lshlrev_b32 v36, 24, v36
	v_cmp_gt_i32_e64 s17, 0, v50
	v_cmp_gt_i32_e64 s18, 0, v51
	v_not_b32_e32 v50, v51
	v_not_b32_e32 v51, v52
	v_dual_ashrrev_i32 v48, 31, v48 :: v_dual_bitop2_b32 v35, s14, v35 bitop3:0x14
	v_dual_ashrrev_i32 v39, 31, v39 :: v_dual_bitop2_b32 v38, s15, v38 bitop3:0x14
	v_cmp_gt_i32_e64 s19, 0, v52
	v_not_b32_e32 v52, v53
	v_dual_ashrrev_i32 v50, 31, v50 :: v_dual_ashrrev_i32 v51, 31, v51
	s_delay_alu instid0(VALU_DEP_4)
	v_xor_b32_e32 v39, s16, v39
	v_bitop3_b32 v35, v35, v38, exec_lo bitop3:0x80
	v_not_b32_e32 v38, v36
	v_xor_b32_e32 v48, s17, v48
	v_cmp_gt_i32_e64 s20, 0, v53
	v_dual_ashrrev_i32 v52, 31, v52 :: v_dual_bitop2_b32 v51, s19, v51 bitop3:0x14
	v_cmp_gt_i32_e64 s14, 0, v36
	v_ashrrev_i32_e32 v36, 31, v38
	v_bitop3_b32 v35, v35, v48, v39 bitop3:0x80
	v_lshl_add_u32 v37, v37, 2, v12
	v_xor_b32_e32 v50, s18, v50
	v_xor_b32_e32 v38, s20, v52
	;; [unrolled: 1-line block ×3, first 2 shown]
	s_delay_alu instid0(VALU_DEP_3) | instskip(SKIP_3) | instid1(VALU_DEP_1)
	v_bitop3_b32 v39, v35, v51, v50 bitop3:0x80
	ds_load_b32 v35, v37 offset:32
	v_add_nc_u32_e32 v37, 32, v37
	; wave barrier
	v_bitop3_b32 v38, v39, v36, v38 bitop3:0x80
	v_mbcnt_lo_u32_b32 v36, v38, 0
	v_cmp_ne_u32_e64 s15, 0, v38
	s_delay_alu instid0(VALU_DEP_2) | instskip(SKIP_1) | instid1(SALU_CYCLE_1)
	v_cmp_eq_u32_e64 s14, 0, v36
	s_and_b32 s15, s15, s14
	s_and_saveexec_b32 s14, s15
	s_cbranch_execz .LBB1936_176
; %bb.175:                              ;   in Loop: Header=BB1936_172 Depth=1
	s_wait_dscnt 0x0
	v_bcnt_u32_b32 v38, v38, v35
	ds_store_b32 v37, v38
.LBB1936_176:                           ;   in Loop: Header=BB1936_172 Depth=1
	s_or_b32 exec_lo, exec_lo, s14
	v_cmp_ne_u16_e64 s14, 0x8000, v182
	; wave barrier
	s_delay_alu instid0(VALU_DEP_1) | instskip(NEXT) | instid1(VALU_DEP_1)
	v_cndmask_b32_e64 v38, 0x7fff, v182, s14
	v_and_b32_e32 v38, 0xffff, v38
	s_delay_alu instid0(VALU_DEP_1) | instskip(NEXT) | instid1(VALU_DEP_1)
	v_lshrrev_b32_e32 v38, v10, v38
	v_and_b32_e32 v39, v38, v49
	s_delay_alu instid0(VALU_DEP_1) | instskip(SKIP_1) | instid1(VALU_DEP_2)
	v_lshlrev_b32_e32 v51, 30, v39
	v_bitop3_b32 v38, v38, 1, v49 bitop3:0x80
	v_cmp_gt_i32_e64 s15, 0, v51
	s_delay_alu instid0(VALU_DEP_2) | instskip(NEXT) | instid1(VALU_DEP_1)
	v_add_co_u32 v38, s14, v38, -1
	v_cndmask_b32_e64 v50, 0, 1, s14
	s_delay_alu instid0(VALU_DEP_1) | instskip(SKIP_1) | instid1(VALU_DEP_1)
	v_cmp_ne_u32_e64 s14, 0, v50
	v_not_b32_e32 v50, v51
	v_dual_ashrrev_i32 v50, 31, v50 :: v_dual_lshlrev_b32 v52, 29, v39
	v_dual_lshlrev_b32 v53, 28, v39 :: v_dual_lshlrev_b32 v54, 27, v39
	v_dual_lshlrev_b32 v55, 26, v39 :: v_dual_lshlrev_b32 v64, 25, v39
	s_delay_alu instid0(VALU_DEP_3) | instskip(SKIP_1) | instid1(VALU_DEP_4)
	v_cmp_gt_i32_e64 s16, 0, v52
	v_not_b32_e32 v51, v52
	v_not_b32_e32 v52, v53
	v_lshl_add_u32 v48, v39, 3, v134
	v_lshlrev_b32_e32 v39, 24, v39
	v_cmp_gt_i32_e64 s17, 0, v53
	v_cmp_gt_i32_e64 s18, 0, v54
	v_not_b32_e32 v53, v54
	v_cmp_gt_i32_e64 s19, 0, v55
	v_not_b32_e32 v54, v55
	v_not_b32_e32 v55, v64
	v_dual_ashrrev_i32 v51, 31, v51 :: v_dual_bitop2_b32 v38, s14, v38 bitop3:0x14
	v_dual_ashrrev_i32 v52, 31, v52 :: v_dual_ashrrev_i32 v53, 31, v53
	v_xor_b32_e32 v50, s15, v50
	v_not_b32_e32 v65, v39
	s_delay_alu instid0(VALU_DEP_4) | instskip(NEXT) | instid1(VALU_DEP_4)
	v_dual_ashrrev_i32 v54, 31, v54 :: v_dual_bitop2_b32 v51, s16, v51 bitop3:0x14
	v_xor_b32_e32 v52, s17, v52
	s_delay_alu instid0(VALU_DEP_4) | instskip(SKIP_1) | instid1(VALU_DEP_4)
	v_bitop3_b32 v38, v38, v50, exec_lo bitop3:0x80
	v_cmp_gt_i32_e64 s14, 0, v64
	v_dual_ashrrev_i32 v54, 31, v55 :: v_dual_bitop2_b32 v50, s19, v54 bitop3:0x14
	v_cmp_gt_i32_e64 s15, 0, v39
	v_ashrrev_i32_e32 v39, 31, v65
	v_bitop3_b32 v38, v38, v52, v51 bitop3:0x80
	v_lshl_add_u32 v48, v48, 2, v12
	v_xor_b32_e32 v53, s18, v53
	v_xor_b32_e32 v51, s14, v54
	v_xor_b32_e32 v39, s15, v39
	s_delay_alu instid0(VALU_DEP_3) | instskip(SKIP_3) | instid1(VALU_DEP_1)
	v_bitop3_b32 v50, v38, v50, v53 bitop3:0x80
	ds_load_b32 v38, v48 offset:32
	v_add_nc_u32_e32 v48, 32, v48
	; wave barrier
	v_bitop3_b32 v50, v50, v39, v51 bitop3:0x80
	v_mbcnt_lo_u32_b32 v39, v50, 0
	v_cmp_ne_u32_e64 s15, 0, v50
	s_delay_alu instid0(VALU_DEP_2) | instskip(SKIP_1) | instid1(SALU_CYCLE_1)
	v_cmp_eq_u32_e64 s14, 0, v39
	s_and_b32 s15, s15, s14
	s_and_saveexec_b32 s14, s15
	s_cbranch_execz .LBB1936_178
; %bb.177:                              ;   in Loop: Header=BB1936_172 Depth=1
	s_wait_dscnt 0x0
	v_bcnt_u32_b32 v50, v50, v38
	ds_store_b32 v48, v50
.LBB1936_178:                           ;   in Loop: Header=BB1936_172 Depth=1
	s_or_b32 exec_lo, exec_lo, s14
	v_cmp_ne_u16_e64 s14, 0x8000, v183
	; wave barrier
	s_delay_alu instid0(VALU_DEP_1) | instskip(NEXT) | instid1(VALU_DEP_1)
	v_cndmask_b32_e64 v50, 0x7fff, v183, s14
	v_and_b32_e32 v50, 0xffff, v50
	s_delay_alu instid0(VALU_DEP_1) | instskip(NEXT) | instid1(VALU_DEP_1)
	v_lshrrev_b32_e32 v50, v10, v50
	v_and_b32_e32 v51, v50, v49
	s_delay_alu instid0(VALU_DEP_1) | instskip(SKIP_2) | instid1(VALU_DEP_3)
	v_lshlrev_b32_e32 v54, 30, v51
	v_bitop3_b32 v50, v50, 1, v49 bitop3:0x80
	v_lshlrev_b32_e32 v55, 29, v51
	v_cmp_gt_i32_e64 s15, 0, v54
	s_delay_alu instid0(VALU_DEP_3) | instskip(NEXT) | instid1(VALU_DEP_1)
	v_add_co_u32 v50, s14, v50, -1
	v_cndmask_b32_e64 v53, 0, 1, s14
	s_delay_alu instid0(VALU_DEP_1) | instskip(SKIP_2) | instid1(VALU_DEP_2)
	v_cmp_ne_u32_e64 s14, 0, v53
	v_not_b32_e32 v53, v54
	v_not_b32_e32 v54, v55
	v_dual_ashrrev_i32 v53, 31, v53 :: v_dual_bitop2_b32 v50, s14, v50 bitop3:0x14
	s_delay_alu instid0(VALU_DEP_2) | instskip(SKIP_3) | instid1(VALU_DEP_4)
	v_dual_ashrrev_i32 v54, 31, v54 :: v_dual_lshlrev_b32 v64, 28, v51
	v_dual_lshlrev_b32 v65, 27, v51 :: v_dual_lshlrev_b32 v66, 26, v51
	v_lshlrev_b32_e32 v67, 25, v51
	v_cmp_gt_i32_e64 s16, 0, v55
	v_not_b32_e32 v55, v64
	v_lshl_add_u32 v52, v51, 3, v134
	v_lshlrev_b32_e32 v51, 24, v51
	v_cmp_gt_i32_e64 s17, 0, v64
	v_cmp_gt_i32_e64 s18, 0, v65
	v_not_b32_e32 v64, v65
	v_cmp_gt_i32_e64 s19, 0, v66
	v_not_b32_e32 v65, v66
	v_not_b32_e32 v66, v67
	s_delay_alu instid0(VALU_DEP_4) | instskip(SKIP_3) | instid1(VALU_DEP_4)
	v_dual_ashrrev_i32 v55, 31, v55 :: v_dual_ashrrev_i32 v64, 31, v64
	v_xor_b32_e32 v53, s15, v53
	v_not_b32_e32 v68, v51
	v_dual_ashrrev_i32 v65, 31, v65 :: v_dual_bitop2_b32 v54, s16, v54 bitop3:0x14
	v_xor_b32_e32 v55, s17, v55
	s_delay_alu instid0(VALU_DEP_4)
	v_bitop3_b32 v50, v50, v53, exec_lo bitop3:0x80
	v_xor_b32_e32 v64, s18, v64
	v_cmp_gt_i32_e64 s14, 0, v67
	v_cmp_gt_i32_e64 s15, 0, v51
	v_ashrrev_i32_e32 v51, 31, v68
	v_bitop3_b32 v50, v50, v55, v54 bitop3:0x80
	v_lshl_add_u32 v52, v52, 2, v12
	v_dual_ashrrev_i32 v65, 31, v66 :: v_dual_bitop2_b32 v53, s19, v65 bitop3:0x14
	s_delay_alu instid0(VALU_DEP_4) | instskip(NEXT) | instid1(VALU_DEP_2)
	v_xor_b32_e32 v51, s15, v51
	v_bitop3_b32 v53, v50, v53, v64 bitop3:0x80
	s_delay_alu instid0(VALU_DEP_3) | instskip(SKIP_3) | instid1(VALU_DEP_1)
	v_xor_b32_e32 v54, s14, v65
	ds_load_b32 v50, v52 offset:32
	v_add_nc_u32_e32 v52, 32, v52
	; wave barrier
	v_bitop3_b32 v53, v53, v51, v54 bitop3:0x80
	v_mbcnt_lo_u32_b32 v51, v53, 0
	v_cmp_ne_u32_e64 s15, 0, v53
	s_delay_alu instid0(VALU_DEP_2) | instskip(SKIP_1) | instid1(SALU_CYCLE_1)
	v_cmp_eq_u32_e64 s14, 0, v51
	s_and_b32 s15, s15, s14
	s_and_saveexec_b32 s14, s15
	s_cbranch_execz .LBB1936_180
; %bb.179:                              ;   in Loop: Header=BB1936_172 Depth=1
	s_wait_dscnt 0x0
	v_bcnt_u32_b32 v53, v53, v50
	ds_store_b32 v52, v53
.LBB1936_180:                           ;   in Loop: Header=BB1936_172 Depth=1
	s_or_b32 exec_lo, exec_lo, s14
	v_cmp_ne_u16_e64 s14, 0x8000, v192
	; wave barrier
	s_delay_alu instid0(VALU_DEP_1) | instskip(NEXT) | instid1(VALU_DEP_1)
	v_cndmask_b32_e64 v53, 0x7fff, v192, s14
	v_and_b32_e32 v53, 0xffff, v53
	s_delay_alu instid0(VALU_DEP_1) | instskip(NEXT) | instid1(VALU_DEP_1)
	v_lshrrev_b32_e32 v53, v10, v53
	v_and_b32_e32 v54, v53, v49
	s_delay_alu instid0(VALU_DEP_1) | instskip(SKIP_1) | instid1(VALU_DEP_2)
	v_lshlrev_b32_e32 v65, 30, v54
	v_bitop3_b32 v53, v53, 1, v49 bitop3:0x80
	v_cmp_gt_i32_e64 s15, 0, v65
	s_delay_alu instid0(VALU_DEP_2) | instskip(NEXT) | instid1(VALU_DEP_1)
	v_add_co_u32 v53, s14, v53, -1
	v_cndmask_b32_e64 v64, 0, 1, s14
	s_delay_alu instid0(VALU_DEP_1) | instskip(SKIP_1) | instid1(VALU_DEP_1)
	v_cmp_ne_u32_e64 s14, 0, v64
	v_not_b32_e32 v64, v65
	v_dual_ashrrev_i32 v64, 31, v64 :: v_dual_lshlrev_b32 v66, 29, v54
	v_dual_lshlrev_b32 v67, 28, v54 :: v_dual_lshlrev_b32 v68, 27, v54
	v_dual_lshlrev_b32 v69, 26, v54 :: v_dual_lshlrev_b32 v70, 25, v54
	s_delay_alu instid0(VALU_DEP_3) | instskip(SKIP_1) | instid1(VALU_DEP_4)
	v_cmp_gt_i32_e64 s16, 0, v66
	v_not_b32_e32 v65, v66
	v_not_b32_e32 v66, v67
	v_lshl_add_u32 v55, v54, 3, v134
	v_lshlrev_b32_e32 v54, 24, v54
	v_cmp_gt_i32_e64 s17, 0, v67
	v_cmp_gt_i32_e64 s18, 0, v68
	v_not_b32_e32 v67, v68
	v_cmp_gt_i32_e64 s19, 0, v69
	v_not_b32_e32 v68, v69
	v_not_b32_e32 v69, v70
	v_dual_ashrrev_i32 v66, 31, v66 :: v_dual_bitop2_b32 v53, s14, v53 bitop3:0x14
	v_dual_ashrrev_i32 v65, 31, v65 :: v_dual_ashrrev_i32 v67, 31, v67
	v_xor_b32_e32 v64, s15, v64
	v_not_b32_e32 v71, v54
	s_delay_alu instid0(VALU_DEP_3) | instskip(SKIP_1) | instid1(VALU_DEP_4)
	v_dual_ashrrev_i32 v68, 31, v68 :: v_dual_bitop2_b32 v65, s16, v65 bitop3:0x14
	v_xor_b32_e32 v66, s17, v66
	v_bitop3_b32 v53, v53, v64, exec_lo bitop3:0x80
	v_xor_b32_e32 v67, s18, v67
	v_cmp_gt_i32_e64 s14, 0, v70
	v_cmp_gt_i32_e64 s15, 0, v54
	v_ashrrev_i32_e32 v54, 31, v71
	v_bitop3_b32 v53, v53, v66, v65 bitop3:0x80
	v_lshl_add_u32 v55, v55, 2, v12
	v_dual_ashrrev_i32 v68, 31, v69 :: v_dual_bitop2_b32 v64, s19, v68 bitop3:0x14
	s_delay_alu instid0(VALU_DEP_4) | instskip(NEXT) | instid1(VALU_DEP_2)
	v_xor_b32_e32 v54, s15, v54
	v_bitop3_b32 v64, v53, v64, v67 bitop3:0x80
	s_delay_alu instid0(VALU_DEP_3) | instskip(SKIP_3) | instid1(VALU_DEP_1)
	v_xor_b32_e32 v65, s14, v68
	ds_load_b32 v53, v55 offset:32
	v_add_nc_u32_e32 v55, 32, v55
	; wave barrier
	v_bitop3_b32 v64, v64, v54, v65 bitop3:0x80
	v_mbcnt_lo_u32_b32 v54, v64, 0
	v_cmp_ne_u32_e64 s15, 0, v64
	s_delay_alu instid0(VALU_DEP_2) | instskip(SKIP_1) | instid1(SALU_CYCLE_1)
	v_cmp_eq_u32_e64 s14, 0, v54
	s_and_b32 s15, s15, s14
	s_and_saveexec_b32 s14, s15
	s_cbranch_execz .LBB1936_182
; %bb.181:                              ;   in Loop: Header=BB1936_172 Depth=1
	s_wait_dscnt 0x0
	v_bcnt_u32_b32 v64, v64, v53
	ds_store_b32 v55, v64
.LBB1936_182:                           ;   in Loop: Header=BB1936_172 Depth=1
	s_or_b32 exec_lo, exec_lo, s14
	v_cmp_ne_u16_e64 s14, 0x8000, v194
	; wave barrier
	s_delay_alu instid0(VALU_DEP_1) | instskip(NEXT) | instid1(VALU_DEP_1)
	v_cndmask_b32_e64 v64, 0x7fff, v194, s14
	v_and_b32_e32 v64, 0xffff, v64
	s_delay_alu instid0(VALU_DEP_1) | instskip(NEXT) | instid1(VALU_DEP_1)
	v_lshrrev_b32_e32 v64, v10, v64
	v_and_b32_e32 v65, v64, v49
	s_delay_alu instid0(VALU_DEP_1) | instskip(SKIP_1) | instid1(VALU_DEP_2)
	v_lshlrev_b32_e32 v68, 30, v65
	v_bitop3_b32 v64, v64, 1, v49 bitop3:0x80
	v_cmp_gt_i32_e64 s15, 0, v68
	s_delay_alu instid0(VALU_DEP_2) | instskip(NEXT) | instid1(VALU_DEP_1)
	v_add_co_u32 v64, s14, v64, -1
	v_cndmask_b32_e64 v67, 0, 1, s14
	s_delay_alu instid0(VALU_DEP_1) | instskip(SKIP_1) | instid1(VALU_DEP_1)
	v_cmp_ne_u32_e64 s14, 0, v67
	v_not_b32_e32 v67, v68
	v_dual_ashrrev_i32 v67, 31, v67 :: v_dual_lshlrev_b32 v69, 29, v65
	v_dual_lshlrev_b32 v70, 28, v65 :: v_dual_lshlrev_b32 v71, 27, v65
	v_dual_lshlrev_b32 v80, 26, v65 :: v_dual_lshlrev_b32 v81, 25, v65
	s_delay_alu instid0(VALU_DEP_3) | instskip(SKIP_1) | instid1(VALU_DEP_4)
	v_cmp_gt_i32_e64 s16, 0, v69
	v_not_b32_e32 v68, v69
	v_not_b32_e32 v69, v70
	v_lshl_add_u32 v66, v65, 3, v134
	v_lshlrev_b32_e32 v65, 24, v65
	v_cmp_gt_i32_e64 s17, 0, v70
	v_cmp_gt_i32_e64 s18, 0, v71
	v_not_b32_e32 v70, v71
	v_cmp_gt_i32_e64 s19, 0, v80
	v_not_b32_e32 v71, v80
	v_not_b32_e32 v80, v81
	v_dual_ashrrev_i32 v69, 31, v69 :: v_dual_bitop2_b32 v64, s14, v64 bitop3:0x14
	v_dual_ashrrev_i32 v68, 31, v68 :: v_dual_ashrrev_i32 v70, 31, v70
	v_xor_b32_e32 v67, s15, v67
	v_not_b32_e32 v82, v65
	s_delay_alu instid0(VALU_DEP_3) | instskip(SKIP_1) | instid1(VALU_DEP_4)
	v_dual_ashrrev_i32 v71, 31, v71 :: v_dual_bitop2_b32 v68, s16, v68 bitop3:0x14
	v_xor_b32_e32 v69, s17, v69
	v_bitop3_b32 v64, v64, v67, exec_lo bitop3:0x80
	v_xor_b32_e32 v70, s18, v70
	v_cmp_gt_i32_e64 s14, 0, v81
	v_cmp_gt_i32_e64 s15, 0, v65
	v_ashrrev_i32_e32 v65, 31, v82
	v_bitop3_b32 v64, v64, v69, v68 bitop3:0x80
	v_lshl_add_u32 v66, v66, 2, v12
	v_dual_ashrrev_i32 v71, 31, v80 :: v_dual_bitop2_b32 v67, s19, v71 bitop3:0x14
	s_delay_alu instid0(VALU_DEP_4) | instskip(NEXT) | instid1(VALU_DEP_2)
	v_xor_b32_e32 v65, s15, v65
	v_bitop3_b32 v67, v64, v67, v70 bitop3:0x80
	s_delay_alu instid0(VALU_DEP_3) | instskip(SKIP_3) | instid1(VALU_DEP_1)
	v_xor_b32_e32 v68, s14, v71
	ds_load_b32 v64, v66 offset:32
	v_add_nc_u32_e32 v66, 32, v66
	; wave barrier
	v_bitop3_b32 v67, v67, v65, v68 bitop3:0x80
	v_mbcnt_lo_u32_b32 v65, v67, 0
	v_cmp_ne_u32_e64 s15, 0, v67
	s_delay_alu instid0(VALU_DEP_2) | instskip(SKIP_1) | instid1(SALU_CYCLE_1)
	v_cmp_eq_u32_e64 s14, 0, v65
	s_and_b32 s15, s15, s14
	s_and_saveexec_b32 s14, s15
	s_cbranch_execz .LBB1936_184
; %bb.183:                              ;   in Loop: Header=BB1936_172 Depth=1
	s_wait_dscnt 0x0
	v_bcnt_u32_b32 v67, v67, v64
	ds_store_b32 v66, v67
.LBB1936_184:                           ;   in Loop: Header=BB1936_172 Depth=1
	s_or_b32 exec_lo, exec_lo, s14
	v_cmp_ne_u16_e64 s14, 0x8000, v193
	; wave barrier
	s_delay_alu instid0(VALU_DEP_1) | instskip(NEXT) | instid1(VALU_DEP_1)
	v_cndmask_b32_e64 v67, 0x7fff, v193, s14
	v_and_b32_e32 v67, 0xffff, v67
	s_delay_alu instid0(VALU_DEP_1) | instskip(NEXT) | instid1(VALU_DEP_1)
	v_lshrrev_b32_e32 v67, v10, v67
	v_and_b32_e32 v68, v67, v49
	s_delay_alu instid0(VALU_DEP_1) | instskip(SKIP_1) | instid1(VALU_DEP_2)
	v_lshlrev_b32_e32 v71, 30, v68
	v_bitop3_b32 v67, v67, 1, v49 bitop3:0x80
	v_cmp_gt_i32_e64 s15, 0, v71
	s_delay_alu instid0(VALU_DEP_2) | instskip(NEXT) | instid1(VALU_DEP_1)
	v_add_co_u32 v67, s14, v67, -1
	v_cndmask_b32_e64 v70, 0, 1, s14
	s_delay_alu instid0(VALU_DEP_1) | instskip(SKIP_1) | instid1(VALU_DEP_1)
	v_cmp_ne_u32_e64 s14, 0, v70
	v_not_b32_e32 v70, v71
	v_dual_ashrrev_i32 v70, 31, v70 :: v_dual_lshlrev_b32 v80, 29, v68
	v_dual_lshlrev_b32 v81, 28, v68 :: v_dual_lshlrev_b32 v82, 27, v68
	v_dual_lshlrev_b32 v83, 26, v68 :: v_dual_lshlrev_b32 v84, 25, v68
	s_delay_alu instid0(VALU_DEP_3) | instskip(SKIP_1) | instid1(VALU_DEP_4)
	v_cmp_gt_i32_e64 s16, 0, v80
	v_not_b32_e32 v71, v80
	v_not_b32_e32 v80, v81
	v_lshl_add_u32 v69, v68, 3, v134
	v_lshlrev_b32_e32 v68, 24, v68
	v_cmp_gt_i32_e64 s17, 0, v81
	v_cmp_gt_i32_e64 s18, 0, v82
	v_not_b32_e32 v81, v82
	v_cmp_gt_i32_e64 s19, 0, v83
	v_not_b32_e32 v82, v83
	v_not_b32_e32 v83, v84
	v_dual_ashrrev_i32 v80, 31, v80 :: v_dual_bitop2_b32 v67, s14, v67 bitop3:0x14
	v_dual_ashrrev_i32 v71, 31, v71 :: v_dual_ashrrev_i32 v81, 31, v81
	v_xor_b32_e32 v70, s15, v70
	v_not_b32_e32 v85, v68
	s_delay_alu instid0(VALU_DEP_3) | instskip(SKIP_1) | instid1(VALU_DEP_4)
	v_dual_ashrrev_i32 v82, 31, v82 :: v_dual_bitop2_b32 v71, s16, v71 bitop3:0x14
	v_xor_b32_e32 v80, s17, v80
	v_bitop3_b32 v67, v67, v70, exec_lo bitop3:0x80
	v_xor_b32_e32 v81, s18, v81
	v_cmp_gt_i32_e64 s14, 0, v84
	v_cmp_gt_i32_e64 s15, 0, v68
	v_ashrrev_i32_e32 v68, 31, v85
	v_bitop3_b32 v67, v67, v80, v71 bitop3:0x80
	v_lshl_add_u32 v69, v69, 2, v12
	v_dual_ashrrev_i32 v82, 31, v83 :: v_dual_bitop2_b32 v70, s19, v82 bitop3:0x14
	s_delay_alu instid0(VALU_DEP_4) | instskip(SKIP_3) | instid1(VALU_DEP_1)
	v_xor_b32_e32 v68, s15, v68
	ds_load_b32 v84, v69 offset:32
	v_bitop3_b32 v67, v67, v70, v81 bitop3:0x80
	v_xor_b32_e32 v71, s14, v82
	; wave barrier
	v_bitop3_b32 v68, v67, v68, v71 bitop3:0x80
	v_add_nc_u32_e32 v67, 32, v69
	s_delay_alu instid0(VALU_DEP_2) | instskip(SKIP_1) | instid1(VALU_DEP_2)
	v_mbcnt_lo_u32_b32 v86, v68, 0
	v_cmp_ne_u32_e64 s15, 0, v68
	v_cmp_eq_u32_e64 s14, 0, v86
	s_and_b32 s15, s15, s14
	s_delay_alu instid0(SALU_CYCLE_1)
	s_and_saveexec_b32 s14, s15
	s_cbranch_execz .LBB1936_186
; %bb.185:                              ;   in Loop: Header=BB1936_172 Depth=1
	s_wait_dscnt 0x0
	v_bcnt_u32_b32 v68, v68, v84
	ds_store_b32 v67, v68
.LBB1936_186:                           ;   in Loop: Header=BB1936_172 Depth=1
	s_or_b32 exec_lo, exec_lo, s14
	v_cmp_ne_u16_e64 s14, 0x8000, v195
	; wave barrier
	s_delay_alu instid0(VALU_DEP_1) | instskip(NEXT) | instid1(VALU_DEP_1)
	v_cndmask_b32_e64 v68, 0x7fff, v195, s14
	v_and_b32_e32 v68, 0xffff, v68
	s_delay_alu instid0(VALU_DEP_1) | instskip(NEXT) | instid1(VALU_DEP_1)
	v_lshrrev_b32_e32 v68, v10, v68
	v_and_b32_e32 v69, v68, v49
	s_delay_alu instid0(VALU_DEP_1) | instskip(SKIP_1) | instid1(VALU_DEP_2)
	v_lshlrev_b32_e32 v71, 30, v69
	v_bitop3_b32 v49, v68, 1, v49 bitop3:0x80
	v_cmp_gt_i32_e64 s15, 0, v71
	s_delay_alu instid0(VALU_DEP_2) | instskip(NEXT) | instid1(VALU_DEP_1)
	v_add_co_u32 v49, s14, v49, -1
	v_cndmask_b32_e64 v70, 0, 1, s14
	s_delay_alu instid0(VALU_DEP_1) | instskip(SKIP_1) | instid1(VALU_DEP_1)
	v_cmp_ne_u32_e64 s14, 0, v70
	v_not_b32_e32 v70, v71
	v_dual_ashrrev_i32 v70, 31, v70 :: v_dual_lshlrev_b32 v80, 29, v69
	v_dual_lshlrev_b32 v81, 28, v69 :: v_dual_lshlrev_b32 v82, 27, v69
	v_dual_lshlrev_b32 v83, 26, v69 :: v_dual_lshlrev_b32 v85, 25, v69
	s_delay_alu instid0(VALU_DEP_3) | instskip(SKIP_1) | instid1(VALU_DEP_4)
	v_cmp_gt_i32_e64 s16, 0, v80
	v_not_b32_e32 v71, v80
	v_not_b32_e32 v80, v81
	v_lshl_add_u32 v68, v69, 3, v134
	v_lshlrev_b32_e32 v69, 24, v69
	v_cmp_gt_i32_e64 s17, 0, v81
	v_cmp_gt_i32_e64 s18, 0, v82
	v_not_b32_e32 v81, v82
	v_cmp_gt_i32_e64 s19, 0, v83
	v_not_b32_e32 v82, v83
	v_not_b32_e32 v83, v85
	v_dual_ashrrev_i32 v71, 31, v71 :: v_dual_bitop2_b32 v49, s14, v49 bitop3:0x14
	v_dual_ashrrev_i32 v80, 31, v80 :: v_dual_ashrrev_i32 v81, 31, v81
	v_xor_b32_e32 v70, s15, v70
	v_not_b32_e32 v87, v69
	s_delay_alu instid0(VALU_DEP_4) | instskip(NEXT) | instid1(VALU_DEP_4)
	v_dual_ashrrev_i32 v82, 31, v82 :: v_dual_bitop2_b32 v71, s16, v71 bitop3:0x14
	v_xor_b32_e32 v80, s17, v80
	s_delay_alu instid0(VALU_DEP_4) | instskip(SKIP_1) | instid1(VALU_DEP_4)
	v_bitop3_b32 v49, v49, v70, exec_lo bitop3:0x80
	v_cmp_gt_i32_e64 s14, 0, v85
	v_dual_ashrrev_i32 v82, 31, v83 :: v_dual_bitop2_b32 v70, s19, v82 bitop3:0x14
	v_cmp_gt_i32_e64 s15, 0, v69
	v_ashrrev_i32_e32 v69, 31, v87
	v_bitop3_b32 v49, v49, v80, v71 bitop3:0x80
	v_lshl_add_u32 v68, v68, 2, v12
	v_xor_b32_e32 v81, s18, v81
	v_xor_b32_e32 v71, s14, v82
	;; [unrolled: 1-line block ×3, first 2 shown]
	s_delay_alu instid0(VALU_DEP_3) | instskip(SKIP_3) | instid1(VALU_DEP_1)
	v_bitop3_b32 v70, v49, v70, v81 bitop3:0x80
	ds_load_b32 v49, v68 offset:32
	v_add_nc_u32_e32 v68, 32, v68
	; wave barrier
	v_bitop3_b32 v69, v70, v69, v71 bitop3:0x80
	v_mbcnt_lo_u32_b32 v96, v69, 0
	v_cmp_ne_u32_e64 s15, 0, v69
	s_delay_alu instid0(VALU_DEP_2) | instskip(SKIP_1) | instid1(SALU_CYCLE_1)
	v_cmp_eq_u32_e64 s14, 0, v96
	s_and_b32 s15, s15, s14
	s_and_saveexec_b32 s14, s15
	s_cbranch_execz .LBB1936_188
; %bb.187:                              ;   in Loop: Header=BB1936_172 Depth=1
	s_wait_dscnt 0x0
	v_bcnt_u32_b32 v69, v69, v49
	ds_store_b32 v68, v69
.LBB1936_188:                           ;   in Loop: Header=BB1936_172 Depth=1
	s_or_b32 exec_lo, exec_lo, s14
	; wave barrier
	s_wait_dscnt 0x0
	s_barrier_signal -1
	s_barrier_wait -1
	ds_load_b32 v70, v27
	ds_load_b32 v71, v31
	;; [unrolled: 1-line block ×8, first 2 shown]
	s_wait_dscnt 0x6
	v_add_nc_u32_e32 v87, v71, v70
	s_wait_dscnt 0x4
	s_delay_alu instid0(VALU_DEP_1) | instskip(SKIP_1) | instid1(VALU_DEP_1)
	v_add3_u32 v87, v87, v80, v81
	s_wait_dscnt 0x2
	v_add3_u32 v87, v87, v82, v83
	s_wait_dscnt 0x0
	s_delay_alu instid0(VALU_DEP_1) | instskip(NEXT) | instid1(VALU_DEP_1)
	v_add3_u32 v85, v87, v69, v85
	v_mov_b32_dpp v87, v85 row_shr:1 row_mask:0xf bank_mask:0xf
	s_delay_alu instid0(VALU_DEP_1) | instskip(NEXT) | instid1(VALU_DEP_1)
	v_cndmask_b32_e64 v87, v87, 0, vcc_lo
	v_add_nc_u32_e32 v85, v87, v85
	s_delay_alu instid0(VALU_DEP_1) | instskip(NEXT) | instid1(VALU_DEP_1)
	v_mov_b32_dpp v87, v85 row_shr:2 row_mask:0xf bank_mask:0xf
	v_cndmask_b32_e64 v87, 0, v87, s0
	s_delay_alu instid0(VALU_DEP_1) | instskip(NEXT) | instid1(VALU_DEP_1)
	v_add_nc_u32_e32 v85, v85, v87
	v_mov_b32_dpp v87, v85 row_shr:4 row_mask:0xf bank_mask:0xf
	s_delay_alu instid0(VALU_DEP_1) | instskip(NEXT) | instid1(VALU_DEP_1)
	v_cndmask_b32_e64 v87, 0, v87, s1
	v_add_nc_u32_e32 v85, v85, v87
	s_delay_alu instid0(VALU_DEP_1) | instskip(NEXT) | instid1(VALU_DEP_1)
	v_mov_b32_dpp v87, v85 row_shr:8 row_mask:0xf bank_mask:0xf
	v_cndmask_b32_e64 v87, 0, v87, s3
	s_delay_alu instid0(VALU_DEP_1) | instskip(SKIP_3) | instid1(VALU_DEP_1)
	v_add_nc_u32_e32 v85, v85, v87
	ds_swizzle_b32 v87, v85 offset:swizzle(BROADCAST,32,15)
	s_wait_dscnt 0x0
	v_cndmask_b32_e64 v87, v87, 0, s4
	v_add_nc_u32_e32 v85, v85, v87
	s_and_saveexec_b32 s14, s5
; %bb.189:                              ;   in Loop: Header=BB1936_172 Depth=1
	ds_store_b32 v144, v85
; %bb.190:                              ;   in Loop: Header=BB1936_172 Depth=1
	s_or_b32 exec_lo, exec_lo, s14
	s_wait_dscnt 0x0
	s_barrier_signal -1
	s_barrier_wait -1
	s_and_saveexec_b32 s14, s6
	s_cbranch_execz .LBB1936_192
; %bb.191:                              ;   in Loop: Header=BB1936_172 Depth=1
	ds_load_b32 v87, v145
	s_wait_dscnt 0x0
	v_mov_b32_dpp v97, v87 row_shr:1 row_mask:0xf bank_mask:0xf
	s_delay_alu instid0(VALU_DEP_1) | instskip(NEXT) | instid1(VALU_DEP_1)
	v_cndmask_b32_e64 v97, v97, 0, s11
	v_add_nc_u32_e32 v87, v97, v87
	s_delay_alu instid0(VALU_DEP_1) | instskip(NEXT) | instid1(VALU_DEP_1)
	v_mov_b32_dpp v97, v87 row_shr:2 row_mask:0xf bank_mask:0xf
	v_cndmask_b32_e64 v97, 0, v97, s12
	s_delay_alu instid0(VALU_DEP_1) | instskip(NEXT) | instid1(VALU_DEP_1)
	v_add_nc_u32_e32 v87, v87, v97
	v_mov_b32_dpp v97, v87 row_shr:4 row_mask:0xf bank_mask:0xf
	s_delay_alu instid0(VALU_DEP_1) | instskip(NEXT) | instid1(VALU_DEP_1)
	v_cndmask_b32_e64 v97, 0, v97, s13
	v_add_nc_u32_e32 v87, v87, v97
	ds_store_b32 v145, v87
.LBB1936_192:                           ;   in Loop: Header=BB1936_172 Depth=1
	s_or_b32 exec_lo, exec_lo, s14
	v_mov_b32_e32 v87, 0
	s_wait_dscnt 0x0
	s_barrier_signal -1
	s_barrier_wait -1
	s_and_saveexec_b32 s14, s7
; %bb.193:                              ;   in Loop: Header=BB1936_172 Depth=1
	ds_load_b32 v87, v147
; %bb.194:                              ;   in Loop: Header=BB1936_172 Depth=1
	s_or_b32 exec_lo, exec_lo, s14
	s_wait_dscnt 0x0
	v_add_nc_u32_e32 v85, v87, v85
	s_mov_b32 s16, -1
                                        ; implicit-def: $vgpr196
	v_add_nc_u32_e32 v10, 8, v10
	ds_bpermute_b32 v85, v135, v85
	v_cmp_lt_u32_e64 s14, v10, v11
	s_wait_dscnt 0x0
	v_cndmask_b32_e64 v85, v85, v87, s2
	s_delay_alu instid0(VALU_DEP_1) | instskip(NEXT) | instid1(VALU_DEP_1)
	v_cndmask_b32_e64 v85, v85, 0, s10
	v_add_nc_u32_e32 v70, v85, v70
	s_delay_alu instid0(VALU_DEP_1) | instskip(NEXT) | instid1(VALU_DEP_1)
	v_add_nc_u32_e32 v71, v70, v71
	v_add_nc_u32_e32 v80, v71, v80
	s_delay_alu instid0(VALU_DEP_1)
	v_add_nc_u32_e32 v81, v80, v81
	ds_store_b32 v27, v85
	ds_store_b32 v31, v70
	;; [unrolled: 1-line block ×3, first 2 shown]
	v_dual_mov_b32 v71, v1 :: v_dual_mov_b32 v85, v1
	v_add_nc_u32_e32 v82, v81, v82
	s_delay_alu instid0(VALU_DEP_1) | instskip(NEXT) | instid1(VALU_DEP_1)
	v_add_nc_u32_e32 v83, v82, v83
	v_add_nc_u32_e32 v69, v83, v69
	ds_store_b32 v129, v80
	ds_store_b32 v130, v81
	;; [unrolled: 1-line block ×5, first 2 shown]
	s_wait_dscnt 0x0
	s_barrier_signal -1
	s_barrier_wait -1
	ds_load_b32 v34, v34
	ds_load_b32 v37, v37
	;; [unrolled: 1-line block ×8, first 2 shown]
	v_dual_mov_b32 v67, v1 :: v_dual_mov_b32 v69, v1
	v_dual_mov_b32 v81, v1 :: v_dual_mov_b32 v83, v1
	v_mov_b32_e32 v87, v1
	s_wait_dscnt 0x0
	v_add_nc_u32_e32 v0, v34, v0
	v_add3_u32 v66, v36, v35, v37
	v_add3_u32 v68, v39, v38, v48
	;; [unrolled: 1-line block ×7, first 2 shown]
	v_lshl_add_u64 v[118:119], v[0:1], 1, v[12:13]
	v_lshl_add_u64 v[116:117], v[66:67], 1, v[12:13]
	;; [unrolled: 1-line block ×8, first 2 shown]
                                        ; implicit-def: $vgpr34_vgpr35
                                        ; implicit-def: $vgpr36_vgpr37
                                        ; implicit-def: $vgpr38_vgpr39
                                        ; implicit-def: $vgpr48_vgpr49
                                        ; implicit-def: $vgpr50_vgpr51
                                        ; implicit-def: $vgpr52_vgpr53
                                        ; implicit-def: $vgpr54_vgpr55
                                        ; implicit-def: $vgpr64_vgpr65
                                        ; implicit-def: $vgpr85
                                        ; implicit-def: $vgpr87
                                        ; implicit-def: $vgpr69
                                        ; implicit-def: $vgpr67
                                        ; implicit-def: $vgpr71
                                        ; implicit-def: $vgpr81
                                        ; implicit-def: $vgpr83
	s_and_saveexec_b32 s15, s14
	s_cbranch_execz .LBB1936_171
; %bb.195:                              ;   in Loop: Header=BB1936_172 Depth=1
	v_mad_nc_u64_u32 v[34:35], v0, 6, v[118:119]
	v_mad_nc_u64_u32 v[36:37], v66, 6, v[116:117]
	;; [unrolled: 1-line block ×8, first 2 shown]
	s_barrier_signal -1
	s_barrier_wait -1
	ds_store_b16 v118, v180
	ds_store_b16 v116, v181
	ds_store_b16 v114, v182
	ds_store_b16 v112, v183
	ds_store_b16 v102, v192
	ds_store_b16 v100, v194
	ds_store_b16 v98, v193
	ds_store_b16 v96, v195
	s_wait_dscnt 0x0
	s_barrier_signal -1
	s_barrier_wait -1
	ds_load_u16 v196, v146
	ds_load_u16 v85, v148
	;; [unrolled: 1-line block ×8, first 2 shown]
	s_wait_dscnt 0x0
	s_barrier_signal -1
	s_barrier_wait -1
	ds_store_b64 v34, v[22:23]
	ds_store_b64 v36, v[32:33]
	;; [unrolled: 1-line block ×8, first 2 shown]
	s_wait_dscnt 0x0
	s_barrier_signal -1
	s_barrier_wait -1
	ds_load_b64 v[34:35], v151
	ds_load_b64 v[36:37], v164
	;; [unrolled: 1-line block ×8, first 2 shown]
	v_add_nc_u32_e32 v179, -8, v179
	s_xor_b32 s16, exec_lo, -1
	s_wait_dscnt 0x0
	s_barrier_signal -1
	s_barrier_wait -1
	s_branch .LBB1936_171
.LBB1936_196:
	flat_load_b64 v[66:67], v[0:1]
	s_wait_xcnt 0x0
	s_or_b32 exec_lo, exec_lo, s17
                                        ; implicit-def: $vgpr68_vgpr69
	s_and_saveexec_b32 s17, s0
	s_cbranch_execz .LBB1936_36
.LBB1936_197:
	flat_load_b64 v[68:69], v[0:1] offset:256
	s_wait_xcnt 0x0
	s_or_b32 exec_lo, exec_lo, s17
                                        ; implicit-def: $vgpr70_vgpr71
	s_and_saveexec_b32 s0, s1
	s_cbranch_execz .LBB1936_37
.LBB1936_198:
	flat_load_b64 v[70:71], v[0:1] offset:512
	s_wait_xcnt 0x0
	s_or_b32 exec_lo, exec_lo, s0
                                        ; implicit-def: $vgpr80_vgpr81
	s_and_saveexec_b32 s0, s2
	s_cbranch_execz .LBB1936_38
.LBB1936_199:
	flat_load_b64 v[80:81], v[0:1] offset:768
	s_wait_xcnt 0x0
	s_or_b32 exec_lo, exec_lo, s0
                                        ; implicit-def: $vgpr82_vgpr83
	s_and_saveexec_b32 s0, s3
	s_cbranch_execz .LBB1936_39
.LBB1936_200:
	flat_load_b64 v[82:83], v[0:1] offset:1024
	s_wait_xcnt 0x0
	s_or_b32 exec_lo, exec_lo, s0
                                        ; implicit-def: $vgpr84_vgpr85
	s_and_saveexec_b32 s0, s4
	s_cbranch_execz .LBB1936_40
.LBB1936_201:
	flat_load_b64 v[84:85], v[0:1] offset:1280
	s_wait_xcnt 0x0
	s_or_b32 exec_lo, exec_lo, s0
                                        ; implicit-def: $vgpr86_vgpr87
	s_and_saveexec_b32 s0, s5
	s_cbranch_execz .LBB1936_41
.LBB1936_202:
	flat_load_b64 v[86:87], v[0:1] offset:1536
	s_wait_xcnt 0x0
	s_or_b32 exec_lo, exec_lo, s0
                                        ; implicit-def: $vgpr98_vgpr99
	s_and_saveexec_b32 s0, s6
	s_cbranch_execz .LBB1936_42
.LBB1936_203:
	flat_load_b64 v[98:99], v[0:1] offset:1792
	s_wait_xcnt 0x0
	s_or_b32 exec_lo, exec_lo, s0
                                        ; implicit-def: $vgpr102_vgpr103
	s_and_saveexec_b32 s0, s7
	s_cbranch_execz .LBB1936_43
.LBB1936_204:
	flat_load_b64 v[102:103], v[0:1] offset:2048
	s_wait_xcnt 0x0
	s_or_b32 exec_lo, exec_lo, s0
                                        ; implicit-def: $vgpr96_vgpr97
	s_and_saveexec_b32 s0, s10
	s_cbranch_execz .LBB1936_44
.LBB1936_205:
	flat_load_b64 v[96:97], v[0:1] offset:2304
	s_wait_xcnt 0x0
	s_or_b32 exec_lo, exec_lo, s0
                                        ; implicit-def: $vgpr100_vgpr101
	s_and_saveexec_b32 s0, s11
	s_cbranch_execz .LBB1936_45
.LBB1936_206:
	flat_load_b64 v[100:101], v[0:1] offset:2560
	s_wait_xcnt 0x0
	s_or_b32 exec_lo, exec_lo, s0
                                        ; implicit-def: $vgpr112_vgpr113
	s_and_saveexec_b32 s0, s12
	s_cbranch_execz .LBB1936_46
.LBB1936_207:
	flat_load_b64 v[112:113], v[0:1] offset:2816
	s_wait_xcnt 0x0
	s_or_b32 exec_lo, exec_lo, s0
                                        ; implicit-def: $vgpr114_vgpr115
	s_and_saveexec_b32 s0, s13
	s_cbranch_execz .LBB1936_47
.LBB1936_208:
	flat_load_b64 v[114:115], v[0:1] offset:3072
	s_wait_xcnt 0x0
	s_or_b32 exec_lo, exec_lo, s0
                                        ; implicit-def: $vgpr118_vgpr119
	s_and_saveexec_b32 s0, s14
	s_cbranch_execz .LBB1936_48
.LBB1936_209:
	flat_load_b64 v[118:119], v[0:1] offset:3328
	s_wait_xcnt 0x0
	s_or_b32 exec_lo, exec_lo, s0
                                        ; implicit-def: $vgpr164_vgpr165
	s_and_saveexec_b32 s0, s15
	s_cbranch_execz .LBB1936_49
.LBB1936_210:
	flat_load_b64 v[164:165], v[0:1] offset:3584
	s_wait_xcnt 0x0
	s_or_b32 exec_lo, exec_lo, s0
                                        ; implicit-def: $vgpr176_vgpr177
	s_and_saveexec_b32 s0, s16
	s_cbranch_execnz .LBB1936_50
	s_branch .LBB1936_51
.LBB1936_211:
	flat_store_b64 v[0:1], v[48:49]
	s_wait_xcnt 0x0
	s_or_b32 exec_lo, exec_lo, s17
	s_and_saveexec_b32 s17, s0
	s_cbranch_execz .LBB1936_127
.LBB1936_212:
	flat_store_b64 v[0:1], v[50:51] offset:2048
	s_wait_xcnt 0x0
	s_or_b32 exec_lo, exec_lo, s17
	s_and_saveexec_b32 s0, s1
	s_cbranch_execz .LBB1936_128
.LBB1936_213:
	flat_store_b64 v[0:1], v[34:35] offset:4096
	s_wait_xcnt 0x0
	s_or_b32 exec_lo, exec_lo, s0
	s_and_saveexec_b32 s0, s2
	s_cbranch_execz .LBB1936_129
.LBB1936_214:
	flat_store_b64 v[0:1], v[36:37] offset:6144
	s_wait_xcnt 0x0
	s_or_b32 exec_lo, exec_lo, s0
	s_and_saveexec_b32 s0, s3
	s_cbranch_execz .LBB1936_130
.LBB1936_215:
	flat_store_b64 v[0:1], v[30:31] offset:8192
	s_wait_xcnt 0x0
	s_or_b32 exec_lo, exec_lo, s0
	s_and_saveexec_b32 s0, s4
	s_cbranch_execz .LBB1936_131
.LBB1936_216:
	flat_store_b64 v[0:1], v[32:33] offset:10240
	s_wait_xcnt 0x0
	s_or_b32 exec_lo, exec_lo, s0
	s_and_saveexec_b32 s0, s5
	s_cbranch_execz .LBB1936_132
.LBB1936_217:
	flat_store_b64 v[0:1], v[26:27] offset:12288
	s_wait_xcnt 0x0
	s_or_b32 exec_lo, exec_lo, s0
	s_and_saveexec_b32 s0, s6
	s_cbranch_execz .LBB1936_133
.LBB1936_218:
	flat_store_b64 v[0:1], v[28:29] offset:14336
	s_wait_xcnt 0x0
	s_or_b32 exec_lo, exec_lo, s0
	s_and_saveexec_b32 s0, s7
	s_cbranch_execz .LBB1936_134
.LBB1936_219:
	flat_store_b64 v[0:1], v[22:23] offset:16384
	s_wait_xcnt 0x0
	s_or_b32 exec_lo, exec_lo, s0
	s_and_saveexec_b32 s0, s10
	s_cbranch_execz .LBB1936_135
.LBB1936_220:
	flat_store_b64 v[0:1], v[24:25] offset:18432
	s_wait_xcnt 0x0
	s_or_b32 exec_lo, exec_lo, s0
	s_and_saveexec_b32 s0, s11
	s_cbranch_execz .LBB1936_136
.LBB1936_221:
	flat_store_b64 v[0:1], v[18:19] offset:20480
	s_wait_xcnt 0x0
	s_or_b32 exec_lo, exec_lo, s0
	s_and_saveexec_b32 s0, s12
	s_cbranch_execz .LBB1936_137
.LBB1936_222:
	flat_store_b64 v[0:1], v[20:21] offset:22528
	s_wait_xcnt 0x0
	s_or_b32 exec_lo, exec_lo, s0
	s_and_saveexec_b32 s0, s13
	s_cbranch_execz .LBB1936_138
.LBB1936_223:
	flat_store_b64 v[0:1], v[14:15] offset:24576
	s_wait_xcnt 0x0
	s_or_b32 exec_lo, exec_lo, s0
	s_and_saveexec_b32 s0, s14
	s_cbranch_execz .LBB1936_139
.LBB1936_224:
	flat_store_b64 v[0:1], v[16:17] offset:26624
	s_wait_xcnt 0x0
	s_or_b32 exec_lo, exec_lo, s0
	s_and_saveexec_b32 s0, s15
	s_cbranch_execz .LBB1936_140
.LBB1936_225:
	flat_store_b64 v[0:1], v[10:11] offset:28672
	s_wait_xcnt 0x0
	s_or_b32 exec_lo, exec_lo, s0
	s_and_saveexec_b32 s0, s16
	s_cbranch_execnz .LBB1936_141
	s_branch .LBB1936_142
.LBB1936_226:
	s_or_b32 exec_lo, exec_lo, s25
	v_mad_nc_u64_u32 v[0:1], v0, 6, v[118:119]
	v_mad_nc_u64_u32 v[10:11], v66, 6, v[116:117]
	v_lshl_add_u32 v27, v30, 1, v12
	v_mad_nc_u64_u32 v[12:13], v68, 6, v[114:115]
	v_mad_nc_u64_u32 v[48:49], v80, 6, v[112:113]
	;; [unrolled: 1-line block ×3, first 2 shown]
	s_barrier_signal -1
	s_barrier_wait -1
	ds_store_b16 v118, v180
	ds_store_b16 v116, v181
	;; [unrolled: 1-line block ×8, first 2 shown]
	s_wait_dscnt 0x0
	s_barrier_signal -1
	s_barrier_wait -1
	ds_load_u16 v38, v27
	ds_load_u16 v37, v27 offset:512
	ds_load_u16 v36, v27 offset:1024
	;; [unrolled: 1-line block ×7, first 2 shown]
	s_wait_dscnt 0x0
	s_barrier_signal -1
	v_mad_nc_u64_u32 v[52:53], v82, 6, v[100:101]
	s_barrier_wait -1
	ds_store_b64 v0, v[22:23]
	ds_store_b64 v10, v[32:33]
	;; [unrolled: 1-line block ×4, first 2 shown]
	v_mul_u32_u24_e32 v0, 6, v30
	v_mad_nc_u64_u32 v[54:55], v84, 6, v[98:99]
	v_mad_nc_u64_u32 v[64:65], v86, 6, v[96:97]
	ds_store_b64 v50, v[20:21]
	ds_store_b64 v52, v[18:19]
	;; [unrolled: 1-line block ×4, first 2 shown]
	v_dual_mov_b32 v27, 0 :: v_dual_add_nc_u32 v0, v27, v0
	s_wait_dscnt 0x0
	s_barrier_signal -1
	s_barrier_wait -1
	ds_load_2addr_stride64_b64 v[22:25], v0 offset1:4
	ds_load_2addr_stride64_b64 v[18:21], v0 offset0:8 offset1:12
	ds_load_2addr_stride64_b64 v[14:17], v0 offset0:16 offset1:20
	;; [unrolled: 1-line block ×3, first 2 shown]
	v_lshl_add_u64 v[0:1], v[8:9], 1, v[2:3]
	s_set_vgpr_msb 4                        ;  msbs: dst=0 src0=0 src1=1 src2=0
	v_cmp_lt_u32_e32 vcc_lo, v26, v0 /*v256*/
	s_wait_dscnt 0x0
	s_barrier_signal -1
	s_barrier_wait -1
	v_lshl_add_u64 v[0:1], v[26:27], 1, v[0:1]
	s_and_saveexec_b32 s1, vcc_lo
	s_set_vgpr_msb 0                        ;  msbs: dst=0 src0=0 src1=0 src2=0
	s_cbranch_execz .LBB1936_228
; %bb.227:
	v_cmp_gt_i16_e64 s0, 0, v38
	s_delay_alu instid0(VALU_DEP_1) | instskip(NEXT) | instid1(VALU_DEP_1)
	v_cndmask_b32_e64 v2, 0x7fff, 0, s0
	v_xor_b32_e32 v2, v2, v38
	flat_store_b16 v[0:1], v2
.LBB1936_228:
	s_wait_xcnt 0x0
	s_or_b32 exec_lo, exec_lo, s1
	v_add_nc_u32_e32 v2, 0x100, v26
	s_set_vgpr_msb 4                        ;  msbs: dst=0 src0=0 src1=1 src2=0
	s_delay_alu instid0(VALU_DEP_1)
	v_cmp_lt_u32_e64 s0, v2, v0 /*v256*/
	s_and_saveexec_b32 s2, s0
	s_set_vgpr_msb 0                        ;  msbs: dst=0 src0=0 src1=0 src2=0
	s_cbranch_execz .LBB1936_230
; %bb.229:
	v_cmp_gt_i16_e64 s1, 0, v37
	s_delay_alu instid0(VALU_DEP_1) | instskip(NEXT) | instid1(VALU_DEP_1)
	v_cndmask_b32_e64 v2, 0x7fff, 0, s1
	v_xor_b32_e32 v2, v2, v37
	flat_store_b16 v[0:1], v2 offset:512
.LBB1936_230:
	s_wait_xcnt 0x0
	s_or_b32 exec_lo, exec_lo, s2
	v_add_nc_u32_e32 v2, 0x200, v26
	s_set_vgpr_msb 4                        ;  msbs: dst=0 src0=0 src1=1 src2=0
	s_delay_alu instid0(VALU_DEP_1)
	v_cmp_lt_u32_e64 s1, v2, v0 /*v256*/
	s_and_saveexec_b32 s3, s1
	s_set_vgpr_msb 0                        ;  msbs: dst=0 src0=0 src1=0 src2=0
	s_cbranch_execz .LBB1936_232
; %bb.231:
	v_cmp_gt_i16_e64 s2, 0, v36
	s_delay_alu instid0(VALU_DEP_1) | instskip(NEXT) | instid1(VALU_DEP_1)
	v_cndmask_b32_e64 v2, 0x7fff, 0, s2
	v_xor_b32_e32 v2, v2, v36
	flat_store_b16 v[0:1], v2 offset:1024
.LBB1936_232:
	s_wait_xcnt 0x0
	s_or_b32 exec_lo, exec_lo, s3
	v_add_nc_u32_e32 v2, 0x300, v26
	s_set_vgpr_msb 4                        ;  msbs: dst=0 src0=0 src1=1 src2=0
	s_delay_alu instid0(VALU_DEP_1)
	v_cmp_lt_u32_e64 s2, v2, v0 /*v256*/
	s_and_saveexec_b32 s4, s2
	s_set_vgpr_msb 0                        ;  msbs: dst=0 src0=0 src1=0 src2=0
	s_cbranch_execz .LBB1936_234
; %bb.233:
	v_cmp_gt_i16_e64 s3, 0, v35
	s_delay_alu instid0(VALU_DEP_1) | instskip(NEXT) | instid1(VALU_DEP_1)
	v_cndmask_b32_e64 v2, 0x7fff, 0, s3
	v_xor_b32_e32 v2, v2, v35
	flat_store_b16 v[0:1], v2 offset:1536
.LBB1936_234:
	s_wait_xcnt 0x0
	s_or_b32 exec_lo, exec_lo, s4
	v_add_nc_u32_e32 v2, 0x400, v26
	s_set_vgpr_msb 4                        ;  msbs: dst=0 src0=0 src1=1 src2=0
	s_delay_alu instid0(VALU_DEP_1)
	v_cmp_lt_u32_e64 s3, v2, v0 /*v256*/
	s_and_saveexec_b32 s5, s3
	s_set_vgpr_msb 0                        ;  msbs: dst=0 src0=0 src1=0 src2=0
	s_cbranch_execz .LBB1936_236
; %bb.235:
	v_cmp_gt_i16_e64 s4, 0, v34
	s_delay_alu instid0(VALU_DEP_1) | instskip(NEXT) | instid1(VALU_DEP_1)
	v_cndmask_b32_e64 v2, 0x7fff, 0, s4
	v_xor_b32_e32 v2, v2, v34
	flat_store_b16 v[0:1], v2 offset:2048
.LBB1936_236:
	s_wait_xcnt 0x0
	s_or_b32 exec_lo, exec_lo, s5
	v_add_nc_u32_e32 v2, 0x500, v26
	s_set_vgpr_msb 4                        ;  msbs: dst=0 src0=0 src1=1 src2=0
	s_delay_alu instid0(VALU_DEP_1)
	v_cmp_lt_u32_e64 s4, v2, v0 /*v256*/
	s_and_saveexec_b32 s6, s4
	s_set_vgpr_msb 0                        ;  msbs: dst=0 src0=0 src1=0 src2=0
	s_cbranch_execz .LBB1936_238
; %bb.237:
	v_cmp_gt_i16_e64 s5, 0, v31
	s_delay_alu instid0(VALU_DEP_1) | instskip(NEXT) | instid1(VALU_DEP_1)
	v_cndmask_b32_e64 v2, 0x7fff, 0, s5
	v_xor_b32_e32 v2, v2, v31
	flat_store_b16 v[0:1], v2 offset:2560
.LBB1936_238:
	s_wait_xcnt 0x0
	s_or_b32 exec_lo, exec_lo, s6
	v_add_nc_u32_e32 v2, 0x600, v26
	s_set_vgpr_msb 4                        ;  msbs: dst=0 src0=0 src1=1 src2=0
	s_delay_alu instid0(VALU_DEP_1)
	v_cmp_lt_u32_e64 s5, v2, v0 /*v256*/
	s_and_saveexec_b32 s7, s5
	s_set_vgpr_msb 0                        ;  msbs: dst=0 src0=0 src1=0 src2=0
	s_cbranch_execz .LBB1936_240
; %bb.239:
	v_cmp_gt_i16_e64 s6, 0, v5
	s_delay_alu instid0(VALU_DEP_1) | instskip(NEXT) | instid1(VALU_DEP_1)
	v_cndmask_b32_e64 v2, 0x7fff, 0, s6
	v_xor_b32_e32 v2, v2, v5
	flat_store_b16 v[0:1], v2 offset:3072
.LBB1936_240:
	s_wait_xcnt 0x0
	s_or_b32 exec_lo, exec_lo, s7
	v_add_nc_u32_e32 v2, 0x700, v26
	s_set_vgpr_msb 4                        ;  msbs: dst=0 src0=0 src1=1 src2=0
	s_delay_alu instid0(VALU_DEP_1)
	v_cmp_lt_u32_e64 s6, v2, v0 /*v256*/
	s_and_saveexec_b32 s10, s6
	s_set_vgpr_msb 0                        ;  msbs: dst=0 src0=0 src1=0 src2=0
	s_cbranch_execz .LBB1936_242
; %bb.241:
	v_cmp_gt_i16_e64 s7, 0, v4
	s_delay_alu instid0(VALU_DEP_1) | instskip(NEXT) | instid1(VALU_DEP_1)
	v_cndmask_b32_e64 v2, 0x7fff, 0, s7
	v_xor_b32_e32 v2, v2, v4
	flat_store_b16 v[0:1], v2 offset:3584
.LBB1936_242:
	s_wait_xcnt 0x0
	s_or_b32 exec_lo, exec_lo, s10
	v_lshl_add_u64 v[0:1], v[8:9], 3, v[6:7]
	s_delay_alu instid0(VALU_DEP_1)
	v_lshl_add_u64 v[0:1], v[26:27], 3, v[0:1]
	s_and_saveexec_b32 s7, vcc_lo
	s_cbranch_execnz .LBB1936_292
; %bb.243:
	s_or_b32 exec_lo, exec_lo, s7
	s_and_saveexec_b32 s7, s0
	s_cbranch_execnz .LBB1936_293
.LBB1936_244:
	s_or_b32 exec_lo, exec_lo, s7
	s_and_saveexec_b32 s0, s1
	s_cbranch_execnz .LBB1936_294
.LBB1936_245:
	s_or_b32 exec_lo, exec_lo, s0
	s_and_saveexec_b32 s0, s2
	s_cbranch_execnz .LBB1936_295
.LBB1936_246:
	s_or_b32 exec_lo, exec_lo, s0
	s_and_saveexec_b32 s0, s3
	s_cbranch_execnz .LBB1936_296
.LBB1936_247:
	s_or_b32 exec_lo, exec_lo, s0
	s_and_saveexec_b32 s0, s4
	s_cbranch_execnz .LBB1936_297
.LBB1936_248:
	s_or_b32 exec_lo, exec_lo, s0
	s_and_saveexec_b32 s0, s5
	s_cbranch_execnz .LBB1936_298
.LBB1936_249:
	s_or_b32 exec_lo, exec_lo, s0
	s_and_saveexec_b32 s0, s6
	s_cbranch_execz .LBB1936_251
.LBB1936_250:
	flat_store_b64 v[0:1], v[12:13] offset:14336
.LBB1936_251:
	s_wait_xcnt 0x0
	s_or_b32 exec_lo, exec_lo, s0
                                        ; implicit-def: $vgpr256
                                        ; implicit-def: $vgpr8
                                        ; implicit-def: $vgpr10
                                        ; implicit-def: $vgpr11
                                        ; implicit-def: $vgpr0_vgpr1
                                        ; implicit-def: $vgpr2_vgpr3
                                        ; implicit-def: $vgpr4_vgpr5
                                        ; implicit-def: $vgpr6_vgpr7
                                        ; implicit-def: $vgpr12_vgpr13
                                        ; implicit-def: $vgpr9
                                        ; implicit-def: $vgpr14
                                        ; implicit-def: $vgpr30
                                        ; implicit-def: $vgpr33
.LBB1936_252:
	s_and_not1_saveexec_b32 s0, s21
	s_cbranch_execz .LBB1936_372
; %bb.253:
	s_mov_b32 s0, exec_lo
	s_set_vgpr_msb 4                        ;  msbs: dst=0 src0=0 src1=1 src2=0
	v_cmpx_lt_u32_e32 0x200, v0 /*v256*/
	s_xor_b32 s24, exec_lo, s0
	s_set_vgpr_msb 0                        ;  msbs: dst=0 src0=0 src1=0 src2=0
	s_cbranch_execz .LBB1936_313
; %bb.254:
	s_load_b64 s[0:1], s[8:9], 0x0
	s_bfe_u32 s3, ttmp6, 0x4000c
	s_bfe_u32 s5, ttmp6, 0x40010
	s_and_b32 s4, ttmp7, 0xffff
	s_add_co_i32 s3, s3, 1
	s_add_co_i32 s5, s5, 1
	s_and_b32 s2, ttmp6, 15
	s_bfe_u32 s6, ttmp6, 0x40004
	s_mul_i32 s3, ttmp9, s3
	s_mul_i32 s5, s4, s5
	s_add_co_i32 s2, s2, s3
	s_add_co_i32 s6, s6, s5
	s_cmp_eq_u32 s23, 0
	s_mov_b32 s3, 0
	s_cselect_b32 s2, ttmp9, s2
	s_cselect_b32 s4, s4, s6
	s_wait_kmcnt 0x0
	s_cmp_lt_u32 s2, s0
	s_cselect_b32 s2, 12, 18
	s_cmp_lt_u32 s4, s1
	s_mov_b32 s1, s3
	s_cselect_b32 s0, 14, 20
	s_delay_alu instid0(SALU_CYCLE_1)
	s_add_nc_u64 s[0:1], s[8:9], s[0:1]
	s_load_u16 s4, s[0:1], 0x0
	s_wait_xcnt 0x0
	s_add_nc_u64 s[0:1], s[8:9], s[2:3]
	s_load_u16 s0, s[0:1], 0x0
	s_wait_kmcnt 0x0
	v_mad_u32_u24 v9, v14, s4, v9
	v_lshlrev_b32_e32 v14, 1, v33
	s_delay_alu instid0(VALU_DEP_2) | instskip(SKIP_1) | instid1(VALU_DEP_1)
	v_mad_u32 v32, v9, s0, v30
	v_mov_b32_e32 v9, 0
	v_lshl_add_u64 v[16:17], v[8:9], 1, v[0:1]
	s_delay_alu instid0(VALU_DEP_3) | instskip(NEXT) | instid1(VALU_DEP_1)
	v_dual_mov_b32 v15, v9 :: v_dual_lshlrev_b32 v18, 2, v32
	v_add_nc_u64_e32 v[14:15], v[16:17], v[14:15]
	v_dual_mov_b32 v16, -1 :: v_dual_mov_b32 v17, -1
	s_delay_alu instid0(VALU_DEP_3) | instskip(NEXT) | instid1(VALU_DEP_1)
	v_and_b32_e32 v0, 0xffffff80, v18
	v_dual_mov_b32 v1, v9 :: v_dual_bitop2_b32 v20, v0, v33 bitop3:0x54
	s_delay_alu instid0(VALU_DEP_1) | instskip(SKIP_1) | instid1(VALU_DEP_2)
	v_lshl_add_u64 v[14:15], v[0:1], 1, v[14:15]
	s_set_vgpr_msb 4                        ;  msbs: dst=0 src0=0 src1=1 src2=0
	v_cmp_lt_u32_e64 s2, v20, v0 /*v256*/
	s_and_saveexec_b32 s0, s2
	s_set_vgpr_msb 0                        ;  msbs: dst=0 src0=0 src1=0 src2=0
	s_cbranch_execz .LBB1936_256
; %bb.255:
	flat_load_u16 v17, v[14:15]
.LBB1936_256:
	s_wait_xcnt 0x0
	s_or_b32 exec_lo, exec_lo, s0
	v_or_b32_e32 v18, 32, v20
	s_set_vgpr_msb 4                        ;  msbs: dst=0 src0=0 src1=1 src2=0
	s_delay_alu instid0(VALU_DEP_1)
	v_cmp_lt_u32_e64 s0, v18, v0 /*v256*/
	s_and_saveexec_b32 s1, s0
	s_set_vgpr_msb 0                        ;  msbs: dst=0 src0=0 src1=0 src2=0
	s_cbranch_execz .LBB1936_258
; %bb.257:
	flat_load_u16 v16, v[14:15] offset:64
.LBB1936_258:
	s_wait_xcnt 0x0
	s_or_b32 exec_lo, exec_lo, s1
	v_dual_mov_b32 v18, -1 :: v_dual_bitop2_b32 v19, 64, v20 bitop3:0x54
	s_set_vgpr_msb 4                        ;  msbs: dst=0 src0=0 src1=1 src2=0
	s_delay_alu instid0(VALU_DEP_1)
	v_cmp_lt_u32_e64 s1, v19, v0 /*v256*/
	v_mov_b32_e32 v19, -1
	s_and_saveexec_b32 s3, s1
	s_set_vgpr_msb 0                        ;  msbs: dst=0 src0=0 src1=0 src2=0
	s_cbranch_execz .LBB1936_260
; %bb.259:
	flat_load_u16 v19, v[14:15] offset:128
.LBB1936_260:
	s_wait_xcnt 0x0
	s_or_b32 exec_lo, exec_lo, s3
	v_or_b32_e32 v20, 0x60, v20
	s_set_vgpr_msb 4                        ;  msbs: dst=0 src0=0 src1=1 src2=0
	s_delay_alu instid0(VALU_DEP_1)
	v_cmp_lt_u32_e32 vcc_lo, v20, v0 /*v256*/
	s_and_saveexec_b32 s3, vcc_lo
	s_set_vgpr_msb 0                        ;  msbs: dst=0 src0=0 src1=0 src2=0
	s_cbranch_execz .LBB1936_262
; %bb.261:
	flat_load_u16 v18, v[14:15] offset:192
.LBB1936_262:
	s_wait_xcnt 0x0
	s_or_b32 exec_lo, exec_lo, s3
	v_lshl_add_u64 v[4:5], v[8:9], 3, v[4:5]
	v_dual_mov_b32 v23, 0 :: v_dual_lshlrev_b32 v22, 3, v33
	s_delay_alu instid0(VALU_DEP_1) | instskip(SKIP_3) | instid1(VALU_DEP_4)
	v_add_nc_u64_e32 v[4:5], v[4:5], v[22:23]
	v_dual_mov_b32 v22, v23 :: v_dual_mov_b32 v24, v23
	v_dual_mov_b32 v25, v23 :: v_dual_mov_b32 v26, v23
	;; [unrolled: 1-line block ×3, first 2 shown]
	v_lshl_add_u64 v[0:1], v[0:1], 3, v[4:5]
	v_mov_b32_e32 v29, v23
	s_and_saveexec_b32 s3, s2
	s_cbranch_execnz .LBB1936_337
; %bb.263:
	s_or_b32 exec_lo, exec_lo, s3
	s_and_saveexec_b32 s2, s0
	s_cbranch_execnz .LBB1936_338
.LBB1936_264:
	s_or_b32 exec_lo, exec_lo, s2
	s_and_saveexec_b32 s0, s1
	s_cbranch_execnz .LBB1936_339
.LBB1936_265:
	s_or_b32 exec_lo, exec_lo, s0
	s_and_saveexec_b32 s0, vcc_lo
	s_cbranch_execz .LBB1936_267
.LBB1936_266:
	flat_load_b64 v[28:29], v[0:1] offset:768
.LBB1936_267:
	s_wait_xcnt 0x0
	s_or_b32 exec_lo, exec_lo, s0
	s_wait_loadcnt_dscnt 0x0
	v_cmp_gt_i16_e32 vcc_lo, 0, v17
	v_lshl_add_u32 v5, v30, 5, v12
	s_get_pc_i64 s[0:1]
	s_add_nc_u64 s[0:1], s[0:1], _ZN7rocprim17ROCPRIM_400000_NS16block_radix_sortI12hip_bfloat16Lj256ELj4ElLj1ELj1ELj8ELNS0_26block_radix_rank_algorithmE2ELNS0_18block_padding_hintE2ELNS0_4arch9wavefront6targetE0EE19radix_bits_per_passE@rel64+4
	v_cmp_lt_u32_e64 s7, 31, v30
	s_load_b32 s25, s[0:1], 0x0
	v_cndmask_b32_e64 v0, 0x7fff, 0, vcc_lo
	v_cmp_gt_i16_e32 vcc_lo, 0, v16
	v_dual_add_nc_u32 v66, 44, v5 :: v_dual_add_nc_u32 v67, 48, v5
	v_dual_add_nc_u32 v68, 52, v5 :: v_dual_add_nc_u32 v69, 56, v5
	v_cndmask_b32_e64 v1, 0x7fff, 0, vcc_lo
	v_cmp_gt_i16_e32 vcc_lo, 0, v19
	v_dual_lshrrev_b32 v71, 5, v32 :: v_dual_bitop2_b32 v112, v0, v17 bitop3:0x14
	s_delay_alu instid0(VALU_DEP_3)
	v_dual_add_nc_u32 v31, 32, v5 :: v_dual_bitop2_b32 v35, v1, v16 bitop3:0x14
	v_cndmask_b32_e64 v0, 0x7fff, 0, vcc_lo
	v_cmp_gt_i16_e32 vcc_lo, 0, v18
	v_and_b32_e32 v1, 15, v33
	v_add_nc_u32_e32 v64, 36, v5
	v_cmp_eq_u32_e64 s10, 0, v30
	v_xor_b32_e32 v37, v0, v19
	v_cndmask_b32_e64 v4, 0x7fff, 0, vcc_lo
	v_and_b32_e32 v0, 0x3e0, v30
	v_add_nc_u32_e32 v65, 40, v5
	s_mov_b32 s26, 0
	s_wait_storecnt 0x0
	v_xor_b32_e32 v39, v4, v18
	v_min_u32_e32 v0, 0xe0, v0
	v_add_nc_u32_e32 v70, 60, v5
	v_sub_co_u32 v5, s2, v33, 1
	s_barrier_signal -1
	s_delay_alu instid0(VALU_DEP_3) | instskip(SKIP_1) | instid1(VALU_DEP_2)
	v_or_b32_e32 v0, 31, v0
	s_barrier_wait -1
	v_cmp_gt_i32_e64 s6, 0, v5
	v_and_b32_e32 v4, 16, v33
	s_delay_alu instid0(VALU_DEP_3)
	v_cmp_eq_u32_e64 s5, v30, v0
	v_lshrrev_b32_e32 v0, 3, v30
	v_cmp_eq_u32_e32 vcc_lo, 0, v1
	s_wait_xcnt 0x0
	v_cmp_lt_u32_e64 s0, 1, v1
	v_cmp_lt_u32_e64 s1, 3, v1
	;; [unrolled: 1-line block ×3, first 2 shown]
	v_cndmask_b32_e64 v1, v5, v33, s6
	v_cmp_eq_u32_e64 s4, 0, v4
	v_lshlrev_b32_e32 v4, 2, v30
	v_and_b32_e32 v0, 0x7c, v0
	v_cmp_gt_u32_e64 s6, 8, v30
	v_dual_mov_b32 v1, 0 :: v_dual_lshlrev_b32 v80, 2, v1
	s_delay_alu instid0(VALU_DEP_4) | instskip(SKIP_3) | instid1(VALU_DEP_3)
	v_add_nc_u32_e32 v82, v12, v4
	v_and_or_b32 v5, 0xf80, v4, v33
	v_dual_add_nc_u32 v81, v12, v0 :: v_dual_bitop2_b32 v0, 7, v33 bitop3:0x40
	v_sub_nc_u32_e32 v99, v11, v10
	v_lshl_add_u32 v33, v5, 1, v12
	v_mul_u32_u24_e32 v5, 6, v5
	s_delay_alu instid0(VALU_DEP_4)
	v_cmp_eq_u32_e64 s11, 0, v0
	v_cmp_lt_u32_e64 s12, 1, v0
	v_cmp_lt_u32_e64 s13, 3, v0
	v_add_nc_u32_e32 v84, -4, v81
	v_add_nc_u32_e32 v83, v33, v5
	v_mov_b64_e32 v[4:5], 0
	v_add_nc_u32_e32 v85, 64, v33
	v_add_nc_u32_e32 v86, 0x80, v33
	;; [unrolled: 1-line block ×6, first 2 shown]
	s_branch .LBB1936_269
.LBB1936_268:                           ;   in Loop: Header=BB1936_269 Depth=1
	s_or_b32 exec_lo, exec_lo, s15
	s_delay_alu instid0(SALU_CYCLE_1) | instskip(NEXT) | instid1(SALU_CYCLE_1)
	s_and_b32 s14, exec_lo, s16
	s_or_b32 s26, s14, s26
	s_delay_alu instid0(SALU_CYCLE_1)
	s_and_not1_b32 exec_lo, exec_lo, s26
	s_cbranch_execz .LBB1936_299
.LBB1936_269:                           ; =>This Inner Loop Header: Depth=1
	v_mov_b32_e32 v100, v112
	s_wait_kmcnt 0x0
	v_min_u32_e32 v14, s25, v99
	ds_store_b64 v31, v[4:5]
	ds_store_b64 v65, v[4:5]
	;; [unrolled: 1-line block ×4, first 2 shown]
	s_wait_dscnt 0x0
	v_cmp_ne_u16_e64 s14, 0x8000, v100
	v_lshlrev_b32_e64 v34, v14, -1
	s_barrier_signal -1
	s_barrier_wait -1
	s_delay_alu instid0(VALU_DEP_2) | instskip(SKIP_1) | instid1(VALU_DEP_2)
	v_cndmask_b32_e64 v0, 0x7fff, v100, s14
	; wave barrier
	v_dual_mov_b32 v102, v35 :: v_dual_mov_b32 v101, v37
	v_and_b32_e32 v0, 0xffff, v0
	s_delay_alu instid0(VALU_DEP_1) | instskip(NEXT) | instid1(VALU_DEP_1)
	v_dual_mov_b32 v103, v39 :: v_dual_lshrrev_b32 v0, v10, v0
	v_bitop3_b32 v14, v0, 1, v34 bitop3:0x40
	v_bitop3_b32 v0, v0, v34, v0 bitop3:0x30
	s_delay_alu instid0(VALU_DEP_2) | instskip(NEXT) | instid1(VALU_DEP_1)
	v_add_co_u32 v14, s14, v14, -1
	v_cndmask_b32_e64 v15, 0, 1, s14
	s_delay_alu instid0(VALU_DEP_3) | instskip(SKIP_1) | instid1(VALU_DEP_3)
	v_dual_lshlrev_b32 v16, 30, v0 :: v_dual_lshlrev_b32 v17, 29, v0
	v_dual_lshlrev_b32 v18, 28, v0 :: v_dual_lshlrev_b32 v19, 27, v0
	v_cmp_ne_u32_e64 s14, 0, v15
	s_delay_alu instid0(VALU_DEP_3)
	v_not_b32_e32 v15, v16
	v_dual_lshlrev_b32 v20, 26, v0 :: v_dual_lshlrev_b32 v21, 25, v0
	v_lshlrev_b32_e32 v36, 24, v0
	v_cmp_gt_i32_e64 s15, 0, v16
	v_cmp_gt_i32_e64 s16, 0, v17
	v_not_b32_e32 v16, v17
	v_not_b32_e32 v17, v18
	v_ashrrev_i32_e32 v15, 31, v15
	v_cmp_gt_i32_e64 s17, 0, v18
	v_cmp_gt_i32_e64 s18, 0, v19
	v_not_b32_e32 v18, v19
	v_not_b32_e32 v19, v20
	v_dual_ashrrev_i32 v16, 31, v16 :: v_dual_bitop2_b32 v14, s14, v14 bitop3:0x14
	v_dual_ashrrev_i32 v17, 31, v17 :: v_dual_bitop2_b32 v15, s15, v15 bitop3:0x14
	v_cmp_gt_i32_e64 s19, 0, v20
	v_cmp_gt_i32_e64 s20, 0, v21
	v_not_b32_e32 v20, v21
	v_not_b32_e32 v21, v36
	v_dual_ashrrev_i32 v18, 31, v18 :: v_dual_ashrrev_i32 v19, 31, v19
	v_xor_b32_e32 v16, s16, v16
	v_xor_b32_e32 v17, s17, v17
	v_bitop3_b32 v14, v14, v15, exec_lo bitop3:0x80
	v_cmp_gt_i32_e64 s21, 0, v36
	v_dual_ashrrev_i32 v15, 31, v20 :: v_dual_ashrrev_i32 v20, 31, v21
	v_dual_lshlrev_b32 v0, 3, v0 :: v_dual_bitop2_b32 v18, s18, v18 bitop3:0x14
	v_xor_b32_e32 v19, s19, v19
	v_bitop3_b32 v14, v14, v17, v16 bitop3:0x80
	s_delay_alu instid0(VALU_DEP_4) | instskip(SKIP_2) | instid1(VALU_DEP_4)
	v_xor_b32_e32 v36, s20, v15
	v_xor_b32_e32 v38, s21, v20
	v_add_lshl_u32 v0, v0, v71, 2
	v_bitop3_b32 v48, v14, v19, v18 bitop3:0x80
	v_mov_b64_e32 v[14:15], v[22:23]
	v_mov_b64_e32 v[16:17], v[24:25]
	;; [unrolled: 1-line block ×4, first 2 shown]
	v_bitop3_b32 v24, v48, v38, v36 bitop3:0x80
	v_add_nc_u64_e32 v[22:23], v[12:13], v[0:1]
	s_delay_alu instid0(VALU_DEP_2) | instskip(SKIP_1) | instid1(VALU_DEP_3)
	v_mbcnt_lo_u32_b32 v0, v24, 0
	v_cmp_ne_u32_e64 s15, 0, v24
	v_add_nc_u64_e32 v[22:23], 32, v[22:23]
	s_delay_alu instid0(VALU_DEP_3) | instskip(SKIP_1) | instid1(SALU_CYCLE_1)
	v_cmp_eq_u32_e64 s14, 0, v0
	s_and_b32 s15, s15, s14
	s_and_saveexec_b32 s14, s15
; %bb.270:                              ;   in Loop: Header=BB1936_269 Depth=1
	v_bcnt_u32_b32 v23, v24, 0
	ds_store_b32 v22, v23
; %bb.271:                              ;   in Loop: Header=BB1936_269 Depth=1
	s_or_b32 exec_lo, exec_lo, s14
	v_cmp_ne_u16_e64 s14, 0x8000, v102
	v_not_b32_e32 v29, v34
	; wave barrier
	s_delay_alu instid0(VALU_DEP_2) | instskip(NEXT) | instid1(VALU_DEP_1)
	v_cndmask_b32_e64 v23, 0x7fff, v102, s14
	v_and_b32_e32 v23, 0xffff, v23
	s_delay_alu instid0(VALU_DEP_1) | instskip(NEXT) | instid1(VALU_DEP_1)
	v_lshrrev_b32_e32 v23, v10, v23
	v_and_b32_e32 v24, v23, v29
	s_delay_alu instid0(VALU_DEP_1) | instskip(SKIP_1) | instid1(VALU_DEP_2)
	v_lshlrev_b32_e32 v27, 30, v24
	v_bitop3_b32 v23, v23, 1, v29 bitop3:0x80
	v_cmp_gt_i32_e64 s15, 0, v27
	s_delay_alu instid0(VALU_DEP_2) | instskip(NEXT) | instid1(VALU_DEP_1)
	v_add_co_u32 v23, s14, v23, -1
	v_cndmask_b32_e64 v26, 0, 1, s14
	s_delay_alu instid0(VALU_DEP_1) | instskip(SKIP_1) | instid1(VALU_DEP_1)
	v_cmp_ne_u32_e64 s14, 0, v26
	v_not_b32_e32 v26, v27
	v_dual_ashrrev_i32 v26, 31, v26 :: v_dual_lshlrev_b32 v28, 29, v24
	v_dual_lshlrev_b32 v34, 28, v24 :: v_dual_lshlrev_b32 v35, 27, v24
	v_lshlrev_b32_e32 v36, 26, v24
	v_lshl_add_u32 v25, v24, 3, v71
	s_delay_alu instid0(VALU_DEP_4)
	v_cmp_gt_i32_e64 s16, 0, v28
	v_not_b32_e32 v27, v28
	v_not_b32_e32 v28, v34
	v_dual_lshlrev_b32 v37, 25, v24 :: v_dual_lshlrev_b32 v24, 24, v24
	v_cmp_gt_i32_e64 s17, 0, v34
	v_cmp_gt_i32_e64 s18, 0, v35
	v_not_b32_e32 v34, v35
	v_not_b32_e32 v35, v36
	v_dual_ashrrev_i32 v28, 31, v28 :: v_dual_bitop2_b32 v23, s14, v23 bitop3:0x14
	v_dual_ashrrev_i32 v27, 31, v27 :: v_dual_bitop2_b32 v26, s15, v26 bitop3:0x14
	v_cmp_gt_i32_e64 s19, 0, v36
	v_not_b32_e32 v36, v37
	v_dual_ashrrev_i32 v34, 31, v34 :: v_dual_ashrrev_i32 v35, 31, v35
	s_delay_alu instid0(VALU_DEP_4)
	v_xor_b32_e32 v27, s16, v27
	v_bitop3_b32 v23, v23, v26, exec_lo bitop3:0x80
	v_not_b32_e32 v26, v24
	v_xor_b32_e32 v28, s17, v28
	v_cmp_gt_i32_e64 s20, 0, v37
	v_dual_ashrrev_i32 v36, 31, v36 :: v_dual_bitop2_b32 v35, s19, v35 bitop3:0x14
	v_cmp_gt_i32_e64 s14, 0, v24
	v_ashrrev_i32_e32 v24, 31, v26
	v_bitop3_b32 v23, v23, v28, v27 bitop3:0x80
	v_lshl_add_u32 v25, v25, 2, v12
	v_xor_b32_e32 v34, s18, v34
	v_xor_b32_e32 v26, s20, v36
	;; [unrolled: 1-line block ×3, first 2 shown]
	s_delay_alu instid0(VALU_DEP_3) | instskip(SKIP_3) | instid1(VALU_DEP_1)
	v_bitop3_b32 v27, v23, v35, v34 bitop3:0x80
	ds_load_b32 v23, v25 offset:32
	v_add_nc_u32_e32 v25, 32, v25
	; wave barrier
	v_bitop3_b32 v26, v27, v24, v26 bitop3:0x80
	v_mbcnt_lo_u32_b32 v24, v26, 0
	v_cmp_ne_u32_e64 s15, 0, v26
	s_delay_alu instid0(VALU_DEP_2) | instskip(SKIP_1) | instid1(SALU_CYCLE_1)
	v_cmp_eq_u32_e64 s14, 0, v24
	s_and_b32 s15, s15, s14
	s_and_saveexec_b32 s14, s15
	s_cbranch_execz .LBB1936_273
; %bb.272:                              ;   in Loop: Header=BB1936_269 Depth=1
	s_wait_dscnt 0x0
	v_bcnt_u32_b32 v26, v26, v23
	ds_store_b32 v25, v26
.LBB1936_273:                           ;   in Loop: Header=BB1936_269 Depth=1
	s_or_b32 exec_lo, exec_lo, s14
	v_cmp_ne_u16_e64 s14, 0x8000, v101
	; wave barrier
	s_delay_alu instid0(VALU_DEP_1) | instskip(NEXT) | instid1(VALU_DEP_1)
	v_cndmask_b32_e64 v26, 0x7fff, v101, s14
	v_and_b32_e32 v26, 0xffff, v26
	s_delay_alu instid0(VALU_DEP_1) | instskip(NEXT) | instid1(VALU_DEP_1)
	v_lshrrev_b32_e32 v26, v10, v26
	v_and_b32_e32 v27, v26, v29
	s_delay_alu instid0(VALU_DEP_1) | instskip(SKIP_1) | instid1(VALU_DEP_2)
	v_lshlrev_b32_e32 v35, 30, v27
	v_bitop3_b32 v26, v26, 1, v29 bitop3:0x80
	v_cmp_gt_i32_e64 s15, 0, v35
	s_delay_alu instid0(VALU_DEP_2) | instskip(NEXT) | instid1(VALU_DEP_1)
	v_add_co_u32 v26, s14, v26, -1
	v_cndmask_b32_e64 v34, 0, 1, s14
	s_delay_alu instid0(VALU_DEP_1) | instskip(SKIP_1) | instid1(VALU_DEP_1)
	v_cmp_ne_u32_e64 s14, 0, v34
	v_not_b32_e32 v34, v35
	v_dual_ashrrev_i32 v34, 31, v34 :: v_dual_lshlrev_b32 v36, 29, v27
	v_dual_lshlrev_b32 v37, 28, v27 :: v_dual_lshlrev_b32 v38, 27, v27
	v_dual_lshlrev_b32 v39, 26, v27 :: v_dual_lshlrev_b32 v48, 25, v27
	s_delay_alu instid0(VALU_DEP_3) | instskip(SKIP_1) | instid1(VALU_DEP_4)
	v_cmp_gt_i32_e64 s16, 0, v36
	v_not_b32_e32 v35, v36
	v_not_b32_e32 v36, v37
	v_lshl_add_u32 v28, v27, 3, v71
	v_lshlrev_b32_e32 v27, 24, v27
	v_cmp_gt_i32_e64 s17, 0, v37
	v_cmp_gt_i32_e64 s18, 0, v38
	v_not_b32_e32 v37, v38
	v_cmp_gt_i32_e64 s19, 0, v39
	v_not_b32_e32 v38, v39
	v_not_b32_e32 v39, v48
	v_dual_ashrrev_i32 v35, 31, v35 :: v_dual_bitop2_b32 v26, s14, v26 bitop3:0x14
	v_dual_ashrrev_i32 v36, 31, v36 :: v_dual_ashrrev_i32 v37, 31, v37
	v_xor_b32_e32 v34, s15, v34
	v_not_b32_e32 v49, v27
	s_delay_alu instid0(VALU_DEP_4) | instskip(NEXT) | instid1(VALU_DEP_4)
	v_dual_ashrrev_i32 v38, 31, v38 :: v_dual_bitop2_b32 v35, s16, v35 bitop3:0x14
	v_xor_b32_e32 v36, s17, v36
	s_delay_alu instid0(VALU_DEP_4) | instskip(SKIP_1) | instid1(VALU_DEP_4)
	v_bitop3_b32 v26, v26, v34, exec_lo bitop3:0x80
	v_cmp_gt_i32_e64 s14, 0, v48
	v_dual_ashrrev_i32 v38, 31, v39 :: v_dual_bitop2_b32 v34, s19, v38 bitop3:0x14
	v_cmp_gt_i32_e64 s15, 0, v27
	v_ashrrev_i32_e32 v27, 31, v49
	v_bitop3_b32 v26, v26, v36, v35 bitop3:0x80
	v_lshl_add_u32 v28, v28, 2, v12
	v_xor_b32_e32 v37, s18, v37
	v_xor_b32_e32 v35, s14, v38
	;; [unrolled: 1-line block ×3, first 2 shown]
	s_delay_alu instid0(VALU_DEP_3) | instskip(SKIP_3) | instid1(VALU_DEP_1)
	v_bitop3_b32 v34, v26, v34, v37 bitop3:0x80
	ds_load_b32 v26, v28 offset:32
	v_add_nc_u32_e32 v28, 32, v28
	; wave barrier
	v_bitop3_b32 v34, v34, v27, v35 bitop3:0x80
	v_mbcnt_lo_u32_b32 v27, v34, 0
	v_cmp_ne_u32_e64 s15, 0, v34
	s_delay_alu instid0(VALU_DEP_2) | instskip(SKIP_1) | instid1(SALU_CYCLE_1)
	v_cmp_eq_u32_e64 s14, 0, v27
	s_and_b32 s15, s15, s14
	s_and_saveexec_b32 s14, s15
	s_cbranch_execz .LBB1936_275
; %bb.274:                              ;   in Loop: Header=BB1936_269 Depth=1
	s_wait_dscnt 0x0
	v_bcnt_u32_b32 v34, v34, v26
	ds_store_b32 v28, v34
.LBB1936_275:                           ;   in Loop: Header=BB1936_269 Depth=1
	s_or_b32 exec_lo, exec_lo, s14
	v_cmp_ne_u16_e64 s14, 0x8000, v103
	; wave barrier
	s_delay_alu instid0(VALU_DEP_1) | instskip(NEXT) | instid1(VALU_DEP_1)
	v_cndmask_b32_e64 v34, 0x7fff, v103, s14
	v_and_b32_e32 v34, 0xffff, v34
	s_delay_alu instid0(VALU_DEP_1) | instskip(NEXT) | instid1(VALU_DEP_1)
	v_lshrrev_b32_e32 v34, v10, v34
	v_and_b32_e32 v35, v34, v29
	s_delay_alu instid0(VALU_DEP_1) | instskip(SKIP_1) | instid1(VALU_DEP_2)
	v_lshlrev_b32_e32 v37, 30, v35
	v_bitop3_b32 v29, v34, 1, v29 bitop3:0x80
	v_cmp_gt_i32_e64 s15, 0, v37
	s_delay_alu instid0(VALU_DEP_2) | instskip(NEXT) | instid1(VALU_DEP_1)
	v_add_co_u32 v29, s14, v29, -1
	v_cndmask_b32_e64 v36, 0, 1, s14
	s_delay_alu instid0(VALU_DEP_1) | instskip(SKIP_1) | instid1(VALU_DEP_1)
	v_cmp_ne_u32_e64 s14, 0, v36
	v_not_b32_e32 v36, v37
	v_dual_ashrrev_i32 v36, 31, v36 :: v_dual_lshlrev_b32 v38, 29, v35
	v_dual_lshlrev_b32 v39, 28, v35 :: v_dual_lshlrev_b32 v48, 27, v35
	v_dual_lshlrev_b32 v49, 26, v35 :: v_dual_lshlrev_b32 v50, 25, v35
	s_delay_alu instid0(VALU_DEP_3) | instskip(SKIP_1) | instid1(VALU_DEP_4)
	v_cmp_gt_i32_e64 s16, 0, v38
	v_not_b32_e32 v37, v38
	v_not_b32_e32 v38, v39
	v_lshl_add_u32 v34, v35, 3, v71
	v_lshlrev_b32_e32 v35, 24, v35
	v_cmp_gt_i32_e64 s17, 0, v39
	v_cmp_gt_i32_e64 s18, 0, v48
	v_not_b32_e32 v39, v48
	v_cmp_gt_i32_e64 s19, 0, v49
	v_not_b32_e32 v48, v49
	v_not_b32_e32 v49, v50
	v_dual_ashrrev_i32 v38, 31, v38 :: v_dual_bitop2_b32 v29, s14, v29 bitop3:0x14
	v_dual_ashrrev_i32 v37, 31, v37 :: v_dual_ashrrev_i32 v39, 31, v39
	v_xor_b32_e32 v36, s15, v36
	v_not_b32_e32 v51, v35
	s_delay_alu instid0(VALU_DEP_3) | instskip(SKIP_1) | instid1(VALU_DEP_4)
	v_dual_ashrrev_i32 v48, 31, v48 :: v_dual_bitop2_b32 v37, s16, v37 bitop3:0x14
	v_xor_b32_e32 v38, s17, v38
	v_bitop3_b32 v29, v29, v36, exec_lo bitop3:0x80
	v_cmp_gt_i32_e64 s14, 0, v50
	s_delay_alu instid0(VALU_DEP_4)
	v_dual_ashrrev_i32 v48, 31, v49 :: v_dual_bitop2_b32 v36, s19, v48 bitop3:0x14
	v_cmp_gt_i32_e64 s15, 0, v35
	v_ashrrev_i32_e32 v35, 31, v51
	v_bitop3_b32 v29, v29, v38, v37 bitop3:0x80
	v_lshl_add_u32 v37, v34, 2, v12
	v_xor_b32_e32 v39, s18, v39
	v_xor_b32_e32 v34, s14, v48
	;; [unrolled: 1-line block ×3, first 2 shown]
	s_delay_alu instid0(VALU_DEP_3) | instskip(SKIP_3) | instid1(VALU_DEP_2)
	v_bitop3_b32 v36, v29, v36, v39 bitop3:0x80
	ds_load_b32 v29, v37 offset:32
	; wave barrier
	v_bitop3_b32 v36, v36, v35, v34 bitop3:0x80
	v_add_nc_u32_e32 v35, 32, v37
	v_mbcnt_lo_u32_b32 v34, v36, 0
	v_cmp_ne_u32_e64 s15, 0, v36
	s_delay_alu instid0(VALU_DEP_2) | instskip(SKIP_1) | instid1(SALU_CYCLE_1)
	v_cmp_eq_u32_e64 s14, 0, v34
	s_and_b32 s15, s15, s14
	s_and_saveexec_b32 s14, s15
	s_cbranch_execz .LBB1936_277
; %bb.276:                              ;   in Loop: Header=BB1936_269 Depth=1
	s_wait_dscnt 0x0
	v_bcnt_u32_b32 v36, v36, v29
	ds_store_b32 v35, v36
.LBB1936_277:                           ;   in Loop: Header=BB1936_269 Depth=1
	s_or_b32 exec_lo, exec_lo, s14
	; wave barrier
	s_wait_dscnt 0x0
	s_barrier_signal -1
	s_barrier_wait -1
	ds_load_b32 v37, v31
	ds_load_b32 v38, v64
	;; [unrolled: 1-line block ×8, first 2 shown]
	s_wait_dscnt 0x6
	v_add_nc_u32_e32 v52, v38, v37
	s_wait_dscnt 0x4
	s_delay_alu instid0(VALU_DEP_1) | instskip(SKIP_1) | instid1(VALU_DEP_1)
	v_add3_u32 v52, v52, v39, v48
	s_wait_dscnt 0x2
	v_add3_u32 v52, v52, v49, v50
	s_wait_dscnt 0x0
	s_delay_alu instid0(VALU_DEP_1) | instskip(NEXT) | instid1(VALU_DEP_1)
	v_add3_u32 v51, v52, v36, v51
	v_mov_b32_dpp v52, v51 row_shr:1 row_mask:0xf bank_mask:0xf
	s_delay_alu instid0(VALU_DEP_1) | instskip(NEXT) | instid1(VALU_DEP_1)
	v_cndmask_b32_e64 v52, v52, 0, vcc_lo
	v_add_nc_u32_e32 v51, v52, v51
	s_delay_alu instid0(VALU_DEP_1) | instskip(NEXT) | instid1(VALU_DEP_1)
	v_mov_b32_dpp v52, v51 row_shr:2 row_mask:0xf bank_mask:0xf
	v_cndmask_b32_e64 v52, 0, v52, s0
	s_delay_alu instid0(VALU_DEP_1) | instskip(NEXT) | instid1(VALU_DEP_1)
	v_add_nc_u32_e32 v51, v51, v52
	v_mov_b32_dpp v52, v51 row_shr:4 row_mask:0xf bank_mask:0xf
	s_delay_alu instid0(VALU_DEP_1) | instskip(NEXT) | instid1(VALU_DEP_1)
	v_cndmask_b32_e64 v52, 0, v52, s1
	v_add_nc_u32_e32 v51, v51, v52
	s_delay_alu instid0(VALU_DEP_1) | instskip(NEXT) | instid1(VALU_DEP_1)
	v_mov_b32_dpp v52, v51 row_shr:8 row_mask:0xf bank_mask:0xf
	v_cndmask_b32_e64 v52, 0, v52, s3
	s_delay_alu instid0(VALU_DEP_1) | instskip(SKIP_3) | instid1(VALU_DEP_1)
	v_add_nc_u32_e32 v51, v51, v52
	ds_swizzle_b32 v52, v51 offset:swizzle(BROADCAST,32,15)
	s_wait_dscnt 0x0
	v_cndmask_b32_e64 v52, v52, 0, s4
	v_add_nc_u32_e32 v51, v51, v52
	s_and_saveexec_b32 s14, s5
; %bb.278:                              ;   in Loop: Header=BB1936_269 Depth=1
	ds_store_b32 v81, v51
; %bb.279:                              ;   in Loop: Header=BB1936_269 Depth=1
	s_or_b32 exec_lo, exec_lo, s14
	s_wait_dscnt 0x0
	s_barrier_signal -1
	s_barrier_wait -1
	s_and_saveexec_b32 s14, s6
	s_cbranch_execz .LBB1936_281
; %bb.280:                              ;   in Loop: Header=BB1936_269 Depth=1
	ds_load_b32 v52, v82
	s_wait_dscnt 0x0
	v_mov_b32_dpp v53, v52 row_shr:1 row_mask:0xf bank_mask:0xf
	s_delay_alu instid0(VALU_DEP_1) | instskip(NEXT) | instid1(VALU_DEP_1)
	v_cndmask_b32_e64 v53, v53, 0, s11
	v_add_nc_u32_e32 v52, v53, v52
	s_delay_alu instid0(VALU_DEP_1) | instskip(NEXT) | instid1(VALU_DEP_1)
	v_mov_b32_dpp v53, v52 row_shr:2 row_mask:0xf bank_mask:0xf
	v_cndmask_b32_e64 v53, 0, v53, s12
	s_delay_alu instid0(VALU_DEP_1) | instskip(NEXT) | instid1(VALU_DEP_1)
	v_add_nc_u32_e32 v52, v52, v53
	v_mov_b32_dpp v53, v52 row_shr:4 row_mask:0xf bank_mask:0xf
	s_delay_alu instid0(VALU_DEP_1) | instskip(NEXT) | instid1(VALU_DEP_1)
	v_cndmask_b32_e64 v53, 0, v53, s13
	v_add_nc_u32_e32 v52, v52, v53
	ds_store_b32 v82, v52
.LBB1936_281:                           ;   in Loop: Header=BB1936_269 Depth=1
	s_or_b32 exec_lo, exec_lo, s14
	v_mov_b32_e32 v52, 0
	s_wait_dscnt 0x0
	s_barrier_signal -1
	s_barrier_wait -1
	s_and_saveexec_b32 s14, s7
; %bb.282:                              ;   in Loop: Header=BB1936_269 Depth=1
	ds_load_b32 v52, v84
; %bb.283:                              ;   in Loop: Header=BB1936_269 Depth=1
	s_or_b32 exec_lo, exec_lo, s14
	s_wait_dscnt 0x0
	v_add_nc_u32_e32 v51, v52, v51
	s_mov_b32 s16, -1
	s_mov_b32 s15, exec_lo
                                        ; implicit-def: $vgpr112
	v_add_nc_u32_e32 v10, 8, v10
	ds_bpermute_b32 v51, v80, v51
	s_wait_dscnt 0x0
	v_cndmask_b32_e64 v51, v51, v52, s2
	s_delay_alu instid0(VALU_DEP_1) | instskip(NEXT) | instid1(VALU_DEP_1)
	v_cndmask_b32_e64 v51, v51, 0, s10
	v_add_nc_u32_e32 v37, v51, v37
	s_delay_alu instid0(VALU_DEP_1) | instskip(NEXT) | instid1(VALU_DEP_1)
	v_add_nc_u32_e32 v38, v37, v38
	v_add_nc_u32_e32 v39, v38, v39
	s_delay_alu instid0(VALU_DEP_1) | instskip(NEXT) | instid1(VALU_DEP_1)
	v_add_nc_u32_e32 v48, v39, v48
	v_add_nc_u32_e32 v49, v48, v49
	s_delay_alu instid0(VALU_DEP_1)
	v_add_nc_u32_e32 v50, v49, v50
	ds_store_b32 v31, v51
	ds_store_b32 v64, v37
	;; [unrolled: 1-line block ×3, first 2 shown]
	v_dual_mov_b32 v37, v1 :: v_dual_add_nc_u32 v36, v50, v36
	ds_store_b32 v66, v39
	ds_store_b32 v67, v48
	;; [unrolled: 1-line block ×5, first 2 shown]
	s_wait_dscnt 0x0
	s_barrier_signal -1
	s_barrier_wait -1
	ds_load_b32 v22, v22
	ds_load_b32 v25, v25
	;; [unrolled: 1-line block ×4, first 2 shown]
	v_dual_mov_b32 v39, v1 :: v_dual_mov_b32 v35, v1
	s_wait_dscnt 0x0
	v_add_nc_u32_e32 v0, v22, v0
	v_add3_u32 v38, v24, v23, v25
	v_add3_u32 v36, v27, v26, v28
	;; [unrolled: 1-line block ×3, first 2 shown]
                                        ; implicit-def: $vgpr22_vgpr23_vgpr24_vgpr25_vgpr26_vgpr27_vgpr28_vgpr29
	s_delay_alu instid0(VALU_DEP_4) | instskip(NEXT) | instid1(VALU_DEP_4)
	v_lshl_add_u64 v[54:55], v[0:1], 1, v[12:13]
	v_lshl_add_u64 v[52:53], v[38:39], 1, v[12:13]
	s_delay_alu instid0(VALU_DEP_4) | instskip(NEXT) | instid1(VALU_DEP_4)
	v_lshl_add_u64 v[50:51], v[36:37], 1, v[12:13]
	v_lshl_add_u64 v[48:49], v[34:35], 1, v[12:13]
                                        ; implicit-def: $vgpr35
                                        ; implicit-def: $vgpr37
                                        ; implicit-def: $vgpr39
	v_cmpx_lt_u32_e64 v10, v11
	s_cbranch_execz .LBB1936_268
; %bb.284:                              ;   in Loop: Header=BB1936_269 Depth=1
	v_mad_nc_u64_u32 v[22:23], v0, 6, v[54:55]
	v_mad_nc_u64_u32 v[24:25], v38, 6, v[52:53]
	;; [unrolled: 1-line block ×4, first 2 shown]
	s_barrier_signal -1
	s_barrier_wait -1
	ds_store_b16 v54, v100
	ds_store_b16 v52, v102
	;; [unrolled: 1-line block ×4, first 2 shown]
	s_wait_dscnt 0x0
	s_barrier_signal -1
	s_barrier_wait -1
	ds_load_u16 v112, v33
	ds_load_u16 v35, v85
	;; [unrolled: 1-line block ×4, first 2 shown]
	s_wait_dscnt 0x0
	s_barrier_signal -1
	s_barrier_wait -1
	ds_store_b64 v22, v[14:15]
	ds_store_b64 v24, v[16:17]
	;; [unrolled: 1-line block ×4, first 2 shown]
	s_wait_dscnt 0x0
	s_barrier_signal -1
	s_barrier_wait -1
	ds_load_b64 v[22:23], v83
	ds_load_b64 v[24:25], v96
	;; [unrolled: 1-line block ×4, first 2 shown]
	v_add_nc_u32_e32 v99, -8, v99
	s_xor_b32 s16, exec_lo, -1
	s_wait_dscnt 0x0
	s_barrier_signal -1
	s_barrier_wait -1
	s_branch .LBB1936_268
.LBB1936_285:
	flat_load_b64 v[34:35], v[0:1]
	s_wait_xcnt 0x0
	s_or_b32 exec_lo, exec_lo, s7
                                        ; implicit-def: $vgpr36_vgpr37
	s_and_saveexec_b32 s7, s0
	s_cbranch_execz .LBB1936_163
.LBB1936_286:
	flat_load_b64 v[36:37], v[0:1] offset:256
	s_wait_xcnt 0x0
	s_or_b32 exec_lo, exec_lo, s7
                                        ; implicit-def: $vgpr38_vgpr39
	s_and_saveexec_b32 s0, s1
	s_cbranch_execz .LBB1936_164
.LBB1936_287:
	flat_load_b64 v[38:39], v[0:1] offset:512
	s_wait_xcnt 0x0
	s_or_b32 exec_lo, exec_lo, s0
                                        ; implicit-def: $vgpr48_vgpr49
	s_and_saveexec_b32 s0, s2
	s_cbranch_execz .LBB1936_165
.LBB1936_288:
	flat_load_b64 v[48:49], v[0:1] offset:768
	s_wait_xcnt 0x0
	s_or_b32 exec_lo, exec_lo, s0
                                        ; implicit-def: $vgpr50_vgpr51
	s_and_saveexec_b32 s0, s3
	s_cbranch_execz .LBB1936_166
.LBB1936_289:
	flat_load_b64 v[50:51], v[0:1] offset:1024
	s_wait_xcnt 0x0
	s_or_b32 exec_lo, exec_lo, s0
                                        ; implicit-def: $vgpr52_vgpr53
	s_and_saveexec_b32 s0, s4
	s_cbranch_execz .LBB1936_167
.LBB1936_290:
	flat_load_b64 v[52:53], v[0:1] offset:1280
	s_wait_xcnt 0x0
	s_or_b32 exec_lo, exec_lo, s0
                                        ; implicit-def: $vgpr54_vgpr55
	s_and_saveexec_b32 s0, s5
	s_cbranch_execz .LBB1936_168
.LBB1936_291:
	flat_load_b64 v[54:55], v[0:1] offset:1536
	s_wait_xcnt 0x0
	s_or_b32 exec_lo, exec_lo, s0
                                        ; implicit-def: $vgpr64_vgpr65
	s_and_saveexec_b32 s0, s6
	s_cbranch_execnz .LBB1936_169
	s_branch .LBB1936_170
.LBB1936_292:
	flat_store_b64 v[0:1], v[22:23]
	s_wait_xcnt 0x0
	s_or_b32 exec_lo, exec_lo, s7
	s_and_saveexec_b32 s7, s0
	s_cbranch_execz .LBB1936_244
.LBB1936_293:
	flat_store_b64 v[0:1], v[24:25] offset:2048
	s_wait_xcnt 0x0
	s_or_b32 exec_lo, exec_lo, s7
	s_and_saveexec_b32 s0, s1
	s_cbranch_execz .LBB1936_245
.LBB1936_294:
	flat_store_b64 v[0:1], v[18:19] offset:4096
	s_wait_xcnt 0x0
	s_or_b32 exec_lo, exec_lo, s0
	s_and_saveexec_b32 s0, s2
	s_cbranch_execz .LBB1936_246
.LBB1936_295:
	flat_store_b64 v[0:1], v[20:21] offset:6144
	s_wait_xcnt 0x0
	s_or_b32 exec_lo, exec_lo, s0
	s_and_saveexec_b32 s0, s3
	s_cbranch_execz .LBB1936_247
.LBB1936_296:
	flat_store_b64 v[0:1], v[14:15] offset:8192
	s_wait_xcnt 0x0
	s_or_b32 exec_lo, exec_lo, s0
	s_and_saveexec_b32 s0, s4
	s_cbranch_execz .LBB1936_248
.LBB1936_297:
	flat_store_b64 v[0:1], v[16:17] offset:10240
	s_wait_xcnt 0x0
	s_or_b32 exec_lo, exec_lo, s0
	s_and_saveexec_b32 s0, s5
	s_cbranch_execz .LBB1936_249
.LBB1936_298:
	flat_store_b64 v[0:1], v[10:11] offset:12288
	s_wait_xcnt 0x0
	s_or_b32 exec_lo, exec_lo, s0
	s_and_saveexec_b32 s0, s6
	s_cbranch_execnz .LBB1936_250
	s_branch .LBB1936_251
.LBB1936_299:
	s_or_b32 exec_lo, exec_lo, s26
	v_mad_nc_u64_u32 v[0:1], v0, 6, v[54:55]
	v_mad_nc_u64_u32 v[10:11], v38, 6, v[52:53]
	v_lshl_add_u32 v26, v30, 1, v12
	v_mad_nc_u64_u32 v[12:13], v36, 6, v[50:51]
	v_mad_nc_u64_u32 v[24:25], v34, 6, v[48:49]
	v_mul_u32_u24_e32 v1, 6, v30
	s_barrier_signal -1
	s_barrier_wait -1
	ds_store_b16 v54, v100
	ds_store_b16 v52, v102
	;; [unrolled: 1-line block ×4, first 2 shown]
	s_wait_dscnt 0x0
	s_barrier_signal -1
	s_barrier_wait -1
	ds_load_u16 v23, v26
	ds_load_u16 v22, v26 offset:512
	ds_load_u16 v5, v26 offset:1024
	;; [unrolled: 1-line block ×3, first 2 shown]
	s_wait_dscnt 0x0
	s_barrier_signal -1
	s_barrier_wait -1
	ds_store_b64 v0, v[14:15]
	ds_store_b64 v10, v[16:17]
	;; [unrolled: 1-line block ×4, first 2 shown]
	v_dual_mov_b32 v33, 0 :: v_dual_add_nc_u32 v0, v26, v1
	s_wait_dscnt 0x0
	s_barrier_signal -1
	s_barrier_wait -1
	ds_load_2addr_stride64_b64 v[14:17], v0 offset1:4
	ds_load_2addr_stride64_b64 v[10:13], v0 offset0:8 offset1:12
	v_lshl_add_u64 v[0:1], v[8:9], 1, v[2:3]
	s_set_vgpr_msb 4                        ;  msbs: dst=0 src0=0 src1=1 src2=0
	v_cmp_lt_u32_e32 vcc_lo, v32, v0 /*v256*/
	s_wait_dscnt 0x0
	s_barrier_signal -1
	s_barrier_wait -1
	v_lshl_add_u64 v[0:1], v[32:33], 1, v[0:1]
	s_and_saveexec_b32 s1, vcc_lo
	s_set_vgpr_msb 0                        ;  msbs: dst=0 src0=0 src1=0 src2=0
	s_cbranch_execz .LBB1936_301
; %bb.300:
	v_cmp_gt_i16_e64 s0, 0, v23
	s_delay_alu instid0(VALU_DEP_1) | instskip(NEXT) | instid1(VALU_DEP_1)
	v_cndmask_b32_e64 v2, 0x7fff, 0, s0
	v_xor_b32_e32 v2, v2, v23
	flat_store_b16 v[0:1], v2
.LBB1936_301:
	s_wait_xcnt 0x0
	s_or_b32 exec_lo, exec_lo, s1
	v_add_nc_u32_e32 v2, 0x100, v32
	s_set_vgpr_msb 4                        ;  msbs: dst=0 src0=0 src1=1 src2=0
	s_delay_alu instid0(VALU_DEP_1)
	v_cmp_lt_u32_e64 s0, v2, v0 /*v256*/
	s_and_saveexec_b32 s2, s0
	s_set_vgpr_msb 0                        ;  msbs: dst=0 src0=0 src1=0 src2=0
	s_cbranch_execz .LBB1936_303
; %bb.302:
	v_cmp_gt_i16_e64 s1, 0, v22
	s_delay_alu instid0(VALU_DEP_1) | instskip(NEXT) | instid1(VALU_DEP_1)
	v_cndmask_b32_e64 v2, 0x7fff, 0, s1
	v_xor_b32_e32 v2, v2, v22
	flat_store_b16 v[0:1], v2 offset:512
.LBB1936_303:
	s_wait_xcnt 0x0
	s_or_b32 exec_lo, exec_lo, s2
	v_add_nc_u32_e32 v2, 0x200, v32
	s_set_vgpr_msb 4                        ;  msbs: dst=0 src0=0 src1=1 src2=0
	s_delay_alu instid0(VALU_DEP_1)
	v_cmp_lt_u32_e64 s1, v2, v0 /*v256*/
	s_and_saveexec_b32 s3, s1
	s_set_vgpr_msb 0                        ;  msbs: dst=0 src0=0 src1=0 src2=0
	s_cbranch_execz .LBB1936_305
; %bb.304:
	v_cmp_gt_i16_e64 s2, 0, v5
	s_delay_alu instid0(VALU_DEP_1) | instskip(NEXT) | instid1(VALU_DEP_1)
	v_cndmask_b32_e64 v2, 0x7fff, 0, s2
	v_xor_b32_e32 v2, v2, v5
	flat_store_b16 v[0:1], v2 offset:1024
.LBB1936_305:
	;; [unrolled: 16-line block ×3, first 2 shown]
	s_wait_xcnt 0x0
	s_or_b32 exec_lo, exec_lo, s4
	v_lshl_add_u64 v[0:1], v[8:9], 3, v[6:7]
	s_delay_alu instid0(VALU_DEP_1)
	v_lshl_add_u64 v[0:1], v[32:33], 3, v[0:1]
	s_and_saveexec_b32 s3, vcc_lo
	s_cbranch_execnz .LBB1936_340
; %bb.308:
	s_or_b32 exec_lo, exec_lo, s3
	s_and_saveexec_b32 s3, s0
	s_cbranch_execnz .LBB1936_341
.LBB1936_309:
	s_or_b32 exec_lo, exec_lo, s3
	s_and_saveexec_b32 s0, s1
	s_cbranch_execnz .LBB1936_342
.LBB1936_310:
	s_or_b32 exec_lo, exec_lo, s0
	s_and_saveexec_b32 s0, s2
	s_cbranch_execz .LBB1936_312
.LBB1936_311:
	flat_store_b64 v[0:1], v[12:13] offset:6144
.LBB1936_312:
	s_wait_xcnt 0x0
	s_or_b32 exec_lo, exec_lo, s0
                                        ; implicit-def: $vgpr256
                                        ; implicit-def: $vgpr8
                                        ; implicit-def: $vgpr10
                                        ; implicit-def: $vgpr11
                                        ; implicit-def: $vgpr0_vgpr1
                                        ; implicit-def: $vgpr2_vgpr3
                                        ; implicit-def: $vgpr4_vgpr5
                                        ; implicit-def: $vgpr6_vgpr7
                                        ; implicit-def: $vgpr12_vgpr13
                                        ; implicit-def: $vgpr9
                                        ; implicit-def: $vgpr14
                                        ; implicit-def: $vgpr30
                                        ; implicit-def: $vgpr33
.LBB1936_313:
	s_and_not1_saveexec_b32 s0, s24
	s_cbranch_execz .LBB1936_372
; %bb.314:
	s_load_b64 s[0:1], s[8:9], 0x0
	s_bfe_u32 s3, ttmp6, 0x4000c
	s_bfe_u32 s5, ttmp6, 0x40010
	s_and_b32 s4, ttmp7, 0xffff
	s_add_co_i32 s3, s3, 1
	s_add_co_i32 s5, s5, 1
	s_and_b32 s2, ttmp6, 15
	s_bfe_u32 s6, ttmp6, 0x40004
	s_mul_i32 s3, ttmp9, s3
	s_mul_i32 s5, s4, s5
	s_add_co_i32 s2, s2, s3
	s_add_co_i32 s6, s6, s5
	s_cmp_eq_u32 s23, 0
	s_cselect_b32 s2, ttmp9, s2
	s_cselect_b32 s3, s4, s6
	s_wait_kmcnt 0x0
	s_cmp_lt_u32 s2, s0
	s_cselect_b32 s0, 12, 18
	s_cmp_lt_u32 s3, s1
	s_mov_b32 s1, 0
	s_cselect_b32 s2, 14, 20
	s_mov_b32 s3, s1
	s_add_nc_u64 s[0:1], s[8:9], s[0:1]
	s_add_nc_u64 s[2:3], s[8:9], s[2:3]
	s_clause 0x1
	s_load_u16 s0, s[0:1], 0x0
	s_nop 0
	s_load_u16 s2, s[2:3], 0x0
	s_wait_kmcnt 0x0
	v_mad_u32_u24 v9, v14, s2, v9
	s_delay_alu instid0(VALU_DEP_1)
	v_mad_u32 v14, v9, s0, v30
	v_mov_b32_e32 v9, 0
	s_mov_b32 s0, exec_lo
	s_set_vgpr_msb 4                        ;  msbs: dst=0 src0=0 src1=1 src2=0
	v_cmpx_lt_u32_e32 0x100, v0 /*v256*/
	s_xor_b32 s20, exec_lo, s0
	s_set_vgpr_msb 0                        ;  msbs: dst=0 src0=0 src1=0 src2=0
	s_cbranch_execz .LBB1936_352
; %bb.315:
	v_lshl_add_u64 v[16:17], v[8:9], 1, v[0:1]
	s_delay_alu instid0(VALU_DEP_4) | instskip(SKIP_2) | instid1(VALU_DEP_3)
	v_dual_lshlrev_b32 v0, 1, v14 :: v_dual_lshlrev_b32 v18, 1, v33
	v_dual_mov_b32 v19, v9 :: v_dual_mov_b32 v1, v9
	v_mov_b32_e32 v15, -1
	v_and_b32_e32 v0, 0xffffffc0, v0
	s_delay_alu instid0(VALU_DEP_3) | instskip(NEXT) | instid1(VALU_DEP_2)
	v_add_nc_u64_e32 v[16:17], v[16:17], v[18:19]
	v_dual_mov_b32 v18, -1 :: v_dual_bitop2_b32 v19, v33, v0 bitop3:0x54
	s_delay_alu instid0(VALU_DEP_2) | instskip(SKIP_1) | instid1(VALU_DEP_2)
	v_lshl_add_u64 v[16:17], v[0:1], 1, v[16:17]
	s_set_vgpr_msb 4                        ;  msbs: dst=0 src0=0 src1=1 src2=0
	v_cmp_lt_u32_e32 vcc_lo, v19, v0 /*v256*/
	s_and_saveexec_b32 s0, vcc_lo
	s_set_vgpr_msb 0                        ;  msbs: dst=0 src0=0 src1=0 src2=0
	s_cbranch_execz .LBB1936_317
; %bb.316:
	flat_load_u16 v18, v[16:17]
.LBB1936_317:
	s_wait_xcnt 0x0
	s_or_b32 exec_lo, exec_lo, s0
	v_or_b32_e32 v19, 32, v19
	s_set_vgpr_msb 4                        ;  msbs: dst=0 src0=0 src1=1 src2=0
	s_delay_alu instid0(VALU_DEP_1)
	v_cmp_lt_u32_e64 s0, v19, v0 /*v256*/
	s_and_saveexec_b32 s1, s0
	s_set_vgpr_msb 0                        ;  msbs: dst=0 src0=0 src1=0 src2=0
	s_cbranch_execz .LBB1936_319
; %bb.318:
	flat_load_u16 v15, v[16:17] offset:64
.LBB1936_319:
	s_wait_xcnt 0x0
	s_or_b32 exec_lo, exec_lo, s1
	v_lshl_add_u64 v[4:5], v[8:9], 3, v[4:5]
	v_dual_mov_b32 v17, 0 :: v_dual_lshlrev_b32 v16, 3, v33
	v_mov_b64_e32 v[22:23], 0
	v_mov_b64_e32 v[20:21], 0
	s_delay_alu instid0(VALU_DEP_3) | instskip(NEXT) | instid1(VALU_DEP_1)
	v_add_nc_u64_e32 v[4:5], v[4:5], v[16:17]
	v_lshl_add_u64 v[0:1], v[0:1], 3, v[4:5]
	s_and_saveexec_b32 s1, vcc_lo
	s_cbranch_execz .LBB1936_321
; %bb.320:
	flat_load_b64 v[20:21], v[0:1]
.LBB1936_321:
	s_wait_xcnt 0x0
	s_or_b32 exec_lo, exec_lo, s1
	s_and_saveexec_b32 s1, s0
	s_cbranch_execz .LBB1936_323
; %bb.322:
	flat_load_b64 v[22:23], v[0:1] offset:256
.LBB1936_323:
	s_wait_xcnt 0x0
	s_or_b32 exec_lo, exec_lo, s1
	s_wait_loadcnt_dscnt 0x0
	v_cmp_gt_i16_e32 vcc_lo, 0, v18
	v_lshl_add_u32 v4, v30, 5, v12
	s_get_pc_i64 s[0:1]
	s_add_nc_u64 s[0:1], s[0:1], _ZN7rocprim17ROCPRIM_400000_NS16block_radix_sortI12hip_bfloat16Lj256ELj2ElLj1ELj1ELj8ELNS0_26block_radix_rank_algorithmE2ELNS0_18block_padding_hintE2ELNS0_4arch9wavefront6targetE0EE19radix_bits_per_passE@rel64+4
	v_cmp_lt_u32_e64 s7, 31, v30
	s_load_b32 s21, s[0:1], 0x0
	v_cndmask_b32_e64 v0, 0x7fff, 0, vcc_lo
	v_cmp_gt_i16_e32 vcc_lo, 0, v15
	v_dual_add_nc_u32 v32, 40, v4 :: v_dual_add_nc_u32 v34, 44, v4
	v_dual_add_nc_u32 v35, 48, v4 :: v_dual_add_nc_u32 v36, 52, v4
	s_delay_alu instid0(VALU_DEP_4) | instskip(SKIP_4) | instid1(VALU_DEP_4)
	v_xor_b32_e32 v66, v0, v18
	v_and_b32_e32 v0, 0x3e0, v30
	v_cndmask_b32_e64 v1, 0x7fff, 0, vcc_lo
	v_dual_add_nc_u32 v38, 60, v4 :: v_dual_lshrrev_b32 v39, 5, v14
	v_add_nc_u32_e32 v31, 36, v4
	v_min_u32_e32 v0, 0xe0, v0
	s_delay_alu instid0(VALU_DEP_4) | instskip(SKIP_2) | instid1(VALU_DEP_4)
	v_dual_add_nc_u32 v15, 32, v4 :: v_dual_bitop2_b32 v25, v1, v15 bitop3:0x14
	v_dual_add_nc_u32 v37, 56, v4 :: v_dual_bitop2_b32 v1, 15, v33 bitop3:0x40
	v_and_b32_e32 v4, 16, v33
	v_or_b32_e32 v0, 31, v0
	v_cmp_eq_u32_e64 s8, 0, v30
	s_delay_alu instid0(VALU_DEP_4)
	v_cmp_eq_u32_e32 vcc_lo, 0, v1
	s_wait_xcnt 0x0
	v_cmp_lt_u32_e64 s0, 1, v1
	v_cmp_lt_u32_e64 s1, 3, v1
	;; [unrolled: 1-line block ×3, first 2 shown]
	v_sub_co_u32 v1, s3, v33, 1
	v_cmp_eq_u32_e64 s5, v30, v0
	v_lshrrev_b32_e32 v0, 3, v30
	v_cmp_eq_u32_e64 s4, 0, v4
	v_lshlrev_b32_e32 v4, 1, v30
	v_cmp_gt_i32_e64 s6, 0, v1
	v_lshl_add_u32 v50, v30, 2, v12
	v_and_b32_e32 v0, 0x7c, v0
	s_mov_b32 s23, 0
	v_and_or_b32 v4, 0x7c0, v4, v33
	v_cndmask_b32_e64 v1, v1, v33, s6
	v_cmp_gt_u32_e64 s6, 8, v30
	v_dual_add_nc_u32 v49, v12, v0 :: v_dual_bitop2_b32 v0, 7, v33 bitop3:0x40
	s_delay_alu instid0(VALU_DEP_4) | instskip(SKIP_2) | instid1(VALU_DEP_4)
	v_lshl_add_u32 v33, v4, 1, v12
	v_mul_u32_u24_e32 v4, 6, v4
	v_dual_mov_b32 v1, 0 :: v_dual_lshlrev_b32 v48, 2, v1
	v_dual_add_nc_u32 v52, -4, v49 :: v_dual_sub_nc_u32 v55, v11, v10
	s_delay_alu instid0(VALU_DEP_3)
	v_add_nc_u32_e32 v51, v33, v4
	v_mov_b64_e32 v[4:5], 0
	v_cmp_eq_u32_e64 s9, 0, v0
	v_cmp_lt_u32_e64 s10, 1, v0
	v_cmp_lt_u32_e64 s11, 3, v0
	v_add_nc_u32_e32 v53, 64, v33
	v_add_nc_u32_e32 v54, 0x100, v51
	s_wait_storecnt 0x0
	s_barrier_signal -1
	s_barrier_wait -1
	s_branch .LBB1936_325
.LBB1936_324:                           ;   in Loop: Header=BB1936_325 Depth=1
	s_or_b32 exec_lo, exec_lo, s13
	s_delay_alu instid0(SALU_CYCLE_1) | instskip(NEXT) | instid1(SALU_CYCLE_1)
	s_and_b32 s12, exec_lo, s14
	s_or_b32 s23, s12, s23
	s_delay_alu instid0(SALU_CYCLE_1)
	s_and_not1_b32 exec_lo, exec_lo, s23
	s_cbranch_execz .LBB1936_343
.LBB1936_325:                           ; =>This Inner Loop Header: Depth=1
	v_mov_b32_e32 v64, v66
	s_wait_kmcnt 0x0
	v_min_u32_e32 v16, s21, v55
	ds_store_b64 v15, v[4:5]
	ds_store_b64 v32, v[4:5]
	ds_store_b64 v35, v[4:5]
	ds_store_b64 v37, v[4:5]
	s_wait_dscnt 0x0
	v_cmp_ne_u16_e64 s12, 0x8000, v64
	v_lshlrev_b32_e64 v24, v16, -1
	s_barrier_signal -1
	s_barrier_wait -1
	s_delay_alu instid0(VALU_DEP_2) | instskip(NEXT) | instid1(VALU_DEP_1)
	v_cndmask_b32_e64 v0, 0x7fff, v64, s12
	; wave barrier
	v_and_b32_e32 v0, 0xffff, v0
	s_delay_alu instid0(VALU_DEP_1) | instskip(NEXT) | instid1(VALU_DEP_1)
	v_lshrrev_b32_e32 v0, v10, v0
	v_bitop3_b32 v16, v0, 1, v24 bitop3:0x40
	v_bitop3_b32 v0, v0, v24, v0 bitop3:0x30
	s_delay_alu instid0(VALU_DEP_2) | instskip(NEXT) | instid1(VALU_DEP_1)
	v_add_co_u32 v16, s12, v16, -1
	v_cndmask_b32_e64 v17, 0, 1, s12
	s_delay_alu instid0(VALU_DEP_3) | instskip(SKIP_2) | instid1(VALU_DEP_4)
	v_dual_lshlrev_b32 v18, 30, v0 :: v_dual_lshlrev_b32 v19, 29, v0
	v_dual_lshlrev_b32 v26, 28, v0 :: v_dual_lshlrev_b32 v27, 27, v0
	v_lshlrev_b32_e32 v28, 26, v0
	v_cmp_ne_u32_e64 s12, 0, v17
	s_delay_alu instid0(VALU_DEP_4)
	v_not_b32_e32 v17, v18
	v_cmp_gt_i32_e64 s13, 0, v18
	v_cmp_gt_i32_e64 s14, 0, v19
	v_not_b32_e32 v18, v19
	v_not_b32_e32 v19, v26
	v_dual_ashrrev_i32 v17, 31, v17 :: v_dual_lshlrev_b32 v29, 25, v0
	v_lshlrev_b32_e32 v65, 24, v0
	v_cmp_gt_i32_e64 s15, 0, v26
	v_cmp_gt_i32_e64 s16, 0, v27
	v_not_b32_e32 v26, v27
	v_not_b32_e32 v27, v28
	v_dual_ashrrev_i32 v18, 31, v18 :: v_dual_bitop2_b32 v16, s12, v16 bitop3:0x14
	v_dual_ashrrev_i32 v19, 31, v19 :: v_dual_bitop2_b32 v17, s13, v17 bitop3:0x14
	v_cmp_gt_i32_e64 s17, 0, v28
	v_cmp_gt_i32_e64 s18, 0, v29
	v_not_b32_e32 v28, v29
	v_not_b32_e32 v29, v65
	v_dual_ashrrev_i32 v26, 31, v26 :: v_dual_ashrrev_i32 v27, 31, v27
	v_xor_b32_e32 v18, s14, v18
	v_xor_b32_e32 v19, s15, v19
	v_bitop3_b32 v16, v16, v17, exec_lo bitop3:0x80
	v_cmp_gt_i32_e64 s19, 0, v65
	v_dual_ashrrev_i32 v17, 31, v28 :: v_dual_ashrrev_i32 v28, 31, v29
	v_dual_lshlrev_b32 v0, 3, v0 :: v_dual_bitop2_b32 v26, s16, v26 bitop3:0x14
	v_dual_mov_b32 v65, v25 :: v_dual_bitop2_b32 v27, s17, v27 bitop3:0x14
	v_bitop3_b32 v16, v16, v19, v18 bitop3:0x80
	s_delay_alu instid0(VALU_DEP_4)
	v_xor_b32_e32 v29, s18, v17
	v_xor_b32_e32 v28, s19, v28
	v_add_lshl_u32 v0, v0, v39, 2
	v_mov_b64_e32 v[18:19], v[20:21]
	v_bitop3_b32 v26, v16, v27, v26 bitop3:0x80
	v_mov_b64_e32 v[16:17], v[22:23]
	s_delay_alu instid0(VALU_DEP_4) | instskip(NEXT) | instid1(VALU_DEP_3)
	v_add_nc_u64_e32 v[20:21], v[12:13], v[0:1]
	v_bitop3_b32 v22, v26, v28, v29 bitop3:0x80
	s_delay_alu instid0(VALU_DEP_1) | instskip(NEXT) | instid1(VALU_DEP_3)
	v_mbcnt_lo_u32_b32 v0, v22, 0
	v_add_nc_u64_e32 v[20:21], 32, v[20:21]
	v_cmp_ne_u32_e64 s13, 0, v22
	s_delay_alu instid0(VALU_DEP_3) | instskip(SKIP_1) | instid1(SALU_CYCLE_1)
	v_cmp_eq_u32_e64 s12, 0, v0
	s_and_b32 s13, s13, s12
	s_and_saveexec_b32 s12, s13
; %bb.326:                              ;   in Loop: Header=BB1936_325 Depth=1
	v_bcnt_u32_b32 v21, v22, 0
	ds_store_b32 v20, v21
; %bb.327:                              ;   in Loop: Header=BB1936_325 Depth=1
	s_or_b32 exec_lo, exec_lo, s12
	v_cmp_ne_u16_e64 s12, 0x8000, v65
	v_not_b32_e32 v22, v24
	; wave barrier
	s_delay_alu instid0(VALU_DEP_2) | instskip(NEXT) | instid1(VALU_DEP_1)
	v_cndmask_b32_e64 v21, 0x7fff, v65, s12
	v_and_b32_e32 v21, 0xffff, v21
	s_delay_alu instid0(VALU_DEP_1) | instskip(NEXT) | instid1(VALU_DEP_1)
	v_lshrrev_b32_e32 v21, v10, v21
	v_and_b32_e32 v23, v21, v22
	s_delay_alu instid0(VALU_DEP_1) | instskip(SKIP_1) | instid1(VALU_DEP_2)
	v_lshlrev_b32_e32 v25, 30, v23
	v_bitop3_b32 v21, v21, 1, v22 bitop3:0x80
	v_cmp_gt_i32_e64 s13, 0, v25
	s_delay_alu instid0(VALU_DEP_2) | instskip(NEXT) | instid1(VALU_DEP_1)
	v_add_co_u32 v21, s12, v21, -1
	v_cndmask_b32_e64 v24, 0, 1, s12
	s_delay_alu instid0(VALU_DEP_1) | instskip(SKIP_1) | instid1(VALU_DEP_1)
	v_cmp_ne_u32_e64 s12, 0, v24
	v_not_b32_e32 v24, v25
	v_dual_ashrrev_i32 v24, 31, v24 :: v_dual_lshlrev_b32 v26, 29, v23
	v_dual_lshlrev_b32 v27, 28, v23 :: v_dual_lshlrev_b32 v28, 27, v23
	v_lshlrev_b32_e32 v29, 26, v23
	v_lshl_add_u32 v22, v23, 3, v39
	s_delay_alu instid0(VALU_DEP_4)
	v_cmp_gt_i32_e64 s14, 0, v26
	v_not_b32_e32 v25, v26
	v_not_b32_e32 v26, v27
	v_dual_lshlrev_b32 v66, 25, v23 :: v_dual_lshlrev_b32 v23, 24, v23
	v_cmp_gt_i32_e64 s15, 0, v27
	v_cmp_gt_i32_e64 s16, 0, v28
	v_not_b32_e32 v27, v28
	v_not_b32_e32 v28, v29
	v_dual_ashrrev_i32 v26, 31, v26 :: v_dual_bitop2_b32 v21, s12, v21 bitop3:0x14
	v_dual_ashrrev_i32 v25, 31, v25 :: v_dual_bitop2_b32 v24, s13, v24 bitop3:0x14
	v_cmp_gt_i32_e64 s17, 0, v29
	v_not_b32_e32 v29, v66
	v_dual_ashrrev_i32 v27, 31, v27 :: v_dual_ashrrev_i32 v28, 31, v28
	v_xor_b32_e32 v26, s15, v26
	v_bitop3_b32 v21, v21, v24, exec_lo bitop3:0x80
	v_not_b32_e32 v24, v23
	v_xor_b32_e32 v25, s14, v25
	v_cmp_gt_i32_e64 s18, 0, v66
	v_dual_ashrrev_i32 v29, 31, v29 :: v_dual_bitop2_b32 v28, s17, v28 bitop3:0x14
	v_cmp_gt_i32_e64 s12, 0, v23
	v_ashrrev_i32_e32 v23, 31, v24
	v_bitop3_b32 v21, v21, v26, v25 bitop3:0x80
	v_lshl_add_u32 v25, v22, 2, v12
	v_xor_b32_e32 v27, s16, v27
	v_xor_b32_e32 v22, s18, v29
	;; [unrolled: 1-line block ×3, first 2 shown]
	s_delay_alu instid0(VALU_DEP_3) | instskip(SKIP_3) | instid1(VALU_DEP_2)
	v_bitop3_b32 v24, v21, v28, v27 bitop3:0x80
	ds_load_b32 v21, v25 offset:32
	; wave barrier
	v_bitop3_b32 v24, v24, v23, v22 bitop3:0x80
	v_add_nc_u32_e32 v23, 32, v25
	v_mbcnt_lo_u32_b32 v22, v24, 0
	v_cmp_ne_u32_e64 s13, 0, v24
	s_delay_alu instid0(VALU_DEP_2) | instskip(SKIP_1) | instid1(SALU_CYCLE_1)
	v_cmp_eq_u32_e64 s12, 0, v22
	s_and_b32 s13, s13, s12
	s_and_saveexec_b32 s12, s13
	s_cbranch_execz .LBB1936_329
; %bb.328:                              ;   in Loop: Header=BB1936_325 Depth=1
	s_wait_dscnt 0x0
	v_bcnt_u32_b32 v24, v24, v21
	ds_store_b32 v23, v24
.LBB1936_329:                           ;   in Loop: Header=BB1936_325 Depth=1
	s_or_b32 exec_lo, exec_lo, s12
	; wave barrier
	s_wait_dscnt 0x0
	s_barrier_signal -1
	s_barrier_wait -1
	ds_load_b32 v25, v15
	ds_load_b32 v26, v31
	;; [unrolled: 1-line block ×8, first 2 shown]
	s_wait_dscnt 0x6
	v_add_nc_u32_e32 v68, v26, v25
	s_wait_dscnt 0x4
	s_delay_alu instid0(VALU_DEP_1) | instskip(SKIP_1) | instid1(VALU_DEP_1)
	v_add3_u32 v68, v68, v27, v28
	s_wait_dscnt 0x2
	v_add3_u32 v68, v68, v29, v66
	s_wait_dscnt 0x0
	s_delay_alu instid0(VALU_DEP_1) | instskip(NEXT) | instid1(VALU_DEP_1)
	v_add3_u32 v67, v68, v24, v67
	v_mov_b32_dpp v68, v67 row_shr:1 row_mask:0xf bank_mask:0xf
	s_delay_alu instid0(VALU_DEP_1) | instskip(NEXT) | instid1(VALU_DEP_1)
	v_cndmask_b32_e64 v68, v68, 0, vcc_lo
	v_add_nc_u32_e32 v67, v68, v67
	s_delay_alu instid0(VALU_DEP_1) | instskip(NEXT) | instid1(VALU_DEP_1)
	v_mov_b32_dpp v68, v67 row_shr:2 row_mask:0xf bank_mask:0xf
	v_cndmask_b32_e64 v68, 0, v68, s0
	s_delay_alu instid0(VALU_DEP_1) | instskip(NEXT) | instid1(VALU_DEP_1)
	v_add_nc_u32_e32 v67, v67, v68
	v_mov_b32_dpp v68, v67 row_shr:4 row_mask:0xf bank_mask:0xf
	s_delay_alu instid0(VALU_DEP_1) | instskip(NEXT) | instid1(VALU_DEP_1)
	v_cndmask_b32_e64 v68, 0, v68, s1
	v_add_nc_u32_e32 v67, v67, v68
	s_delay_alu instid0(VALU_DEP_1) | instskip(NEXT) | instid1(VALU_DEP_1)
	v_mov_b32_dpp v68, v67 row_shr:8 row_mask:0xf bank_mask:0xf
	v_cndmask_b32_e64 v68, 0, v68, s2
	s_delay_alu instid0(VALU_DEP_1) | instskip(SKIP_3) | instid1(VALU_DEP_1)
	v_add_nc_u32_e32 v67, v67, v68
	ds_swizzle_b32 v68, v67 offset:swizzle(BROADCAST,32,15)
	s_wait_dscnt 0x0
	v_cndmask_b32_e64 v68, v68, 0, s4
	v_add_nc_u32_e32 v67, v67, v68
	s_and_saveexec_b32 s12, s5
; %bb.330:                              ;   in Loop: Header=BB1936_325 Depth=1
	ds_store_b32 v49, v67
; %bb.331:                              ;   in Loop: Header=BB1936_325 Depth=1
	s_or_b32 exec_lo, exec_lo, s12
	s_wait_dscnt 0x0
	s_barrier_signal -1
	s_barrier_wait -1
	s_and_saveexec_b32 s12, s6
	s_cbranch_execz .LBB1936_333
; %bb.332:                              ;   in Loop: Header=BB1936_325 Depth=1
	ds_load_b32 v68, v50
	s_wait_dscnt 0x0
	v_mov_b32_dpp v69, v68 row_shr:1 row_mask:0xf bank_mask:0xf
	s_delay_alu instid0(VALU_DEP_1) | instskip(NEXT) | instid1(VALU_DEP_1)
	v_cndmask_b32_e64 v69, v69, 0, s9
	v_add_nc_u32_e32 v68, v69, v68
	s_delay_alu instid0(VALU_DEP_1) | instskip(NEXT) | instid1(VALU_DEP_1)
	v_mov_b32_dpp v69, v68 row_shr:2 row_mask:0xf bank_mask:0xf
	v_cndmask_b32_e64 v69, 0, v69, s10
	s_delay_alu instid0(VALU_DEP_1) | instskip(NEXT) | instid1(VALU_DEP_1)
	v_add_nc_u32_e32 v68, v68, v69
	v_mov_b32_dpp v69, v68 row_shr:4 row_mask:0xf bank_mask:0xf
	s_delay_alu instid0(VALU_DEP_1) | instskip(NEXT) | instid1(VALU_DEP_1)
	v_cndmask_b32_e64 v69, 0, v69, s11
	v_add_nc_u32_e32 v68, v68, v69
	ds_store_b32 v50, v68
.LBB1936_333:                           ;   in Loop: Header=BB1936_325 Depth=1
	s_or_b32 exec_lo, exec_lo, s12
	v_mov_b32_e32 v68, 0
	s_wait_dscnt 0x0
	s_barrier_signal -1
	s_barrier_wait -1
	s_and_saveexec_b32 s12, s7
; %bb.334:                              ;   in Loop: Header=BB1936_325 Depth=1
	ds_load_b32 v68, v52
; %bb.335:                              ;   in Loop: Header=BB1936_325 Depth=1
	s_or_b32 exec_lo, exec_lo, s12
	s_wait_dscnt 0x0
	v_add_nc_u32_e32 v67, v68, v67
	s_mov_b32 s14, -1
	s_mov_b32 s13, exec_lo
	v_add_nc_u32_e32 v10, 8, v10
	ds_bpermute_b32 v67, v48, v67
	s_wait_dscnt 0x0
	v_cndmask_b32_e64 v67, v67, v68, s3
	s_delay_alu instid0(VALU_DEP_1) | instskip(NEXT) | instid1(VALU_DEP_1)
	v_cndmask_b32_e64 v67, v67, 0, s8
	v_add_nc_u32_e32 v25, v67, v25
	s_delay_alu instid0(VALU_DEP_1) | instskip(NEXT) | instid1(VALU_DEP_1)
	v_add_nc_u32_e32 v26, v25, v26
	v_add_nc_u32_e32 v27, v26, v27
	s_delay_alu instid0(VALU_DEP_1) | instskip(NEXT) | instid1(VALU_DEP_1)
	v_add_nc_u32_e32 v28, v27, v28
	v_add_nc_u32_e32 v29, v28, v29
	s_delay_alu instid0(VALU_DEP_1)
	v_add_nc_u32_e32 v66, v29, v66
	ds_store_b32 v15, v67
	ds_store_b32 v31, v25
	;; [unrolled: 1-line block ×3, first 2 shown]
	v_add_nc_u32_e32 v24, v66, v24
	ds_store_b32 v34, v27
	ds_store_b32 v35, v28
	;; [unrolled: 1-line block ×5, first 2 shown]
	s_wait_dscnt 0x0
	s_barrier_signal -1
	s_barrier_wait -1
	ds_load_b32 v20, v20
	ds_load_b32 v23, v23
	v_mov_b32_e32 v25, v1
	s_wait_dscnt 0x0
                                        ; implicit-def: $vgpr66
	v_add_nc_u32_e32 v0, v20, v0
	v_add3_u32 v24, v22, v21, v23
                                        ; implicit-def: $vgpr22_vgpr23
                                        ; implicit-def: $vgpr20_vgpr21
	s_delay_alu instid0(VALU_DEP_2) | instskip(NEXT) | instid1(VALU_DEP_2)
	v_lshl_add_u64 v[28:29], v[0:1], 1, v[12:13]
	v_lshl_add_u64 v[26:27], v[24:25], 1, v[12:13]
                                        ; implicit-def: $vgpr25
	v_cmpx_lt_u32_e64 v10, v11
	s_cbranch_execz .LBB1936_324
; %bb.336:                              ;   in Loop: Header=BB1936_325 Depth=1
	s_delay_alu instid0(VALU_DEP_3) | instskip(NEXT) | instid1(VALU_DEP_3)
	v_mad_nc_u64_u32 v[20:21], v0, 6, v[28:29]
	v_mad_nc_u64_u32 v[22:23], v24, 6, v[26:27]
	s_barrier_signal -1
	s_barrier_wait -1
	ds_store_b16 v28, v64
	ds_store_b16 v26, v65
	s_wait_dscnt 0x0
	s_barrier_signal -1
	s_barrier_wait -1
	ds_load_u16 v66, v33
	ds_load_u16 v25, v53
	s_wait_dscnt 0x0
	s_barrier_signal -1
	s_barrier_wait -1
	ds_store_b64 v20, v[18:19]
	ds_store_b64 v22, v[16:17]
	s_wait_dscnt 0x0
	s_barrier_signal -1
	s_barrier_wait -1
	ds_load_b64 v[20:21], v51
	ds_load_b64 v[22:23], v54
	v_add_nc_u32_e32 v55, -8, v55
	s_xor_b32 s14, exec_lo, -1
	s_wait_dscnt 0x0
	s_barrier_signal -1
	s_barrier_wait -1
	s_branch .LBB1936_324
.LBB1936_337:
	flat_load_b64 v[48:49], v[0:1]
	v_dual_mov_b32 v50, v23 :: v_dual_mov_b32 v51, v23
	v_dual_mov_b32 v52, v23 :: v_dual_mov_b32 v53, v23
	v_dual_mov_b32 v54, v23 :: v_dual_mov_b32 v55, v23
	s_wait_loadcnt_dscnt 0x0
	v_mov_b64_e32 v[22:23], v[48:49]
	v_mov_b64_e32 v[24:25], v[50:51]
	;; [unrolled: 1-line block ×4, first 2 shown]
	s_wait_xcnt 0x0
	s_or_b32 exec_lo, exec_lo, s3
	s_and_saveexec_b32 s2, s0
	s_cbranch_execz .LBB1936_264
.LBB1936_338:
	flat_load_b64 v[24:25], v[0:1] offset:256
	s_wait_xcnt 0x0
	s_or_b32 exec_lo, exec_lo, s2
	s_and_saveexec_b32 s0, s1
	s_cbranch_execz .LBB1936_265
.LBB1936_339:
	flat_load_b64 v[26:27], v[0:1] offset:512
	s_wait_xcnt 0x0
	s_or_b32 exec_lo, exec_lo, s0
	s_and_saveexec_b32 s0, vcc_lo
	s_cbranch_execnz .LBB1936_266
	s_branch .LBB1936_267
.LBB1936_340:
	flat_store_b64 v[0:1], v[14:15]
	s_wait_xcnt 0x0
	s_or_b32 exec_lo, exec_lo, s3
	s_and_saveexec_b32 s3, s0
	s_cbranch_execz .LBB1936_309
.LBB1936_341:
	flat_store_b64 v[0:1], v[16:17] offset:2048
	s_wait_xcnt 0x0
	s_or_b32 exec_lo, exec_lo, s3
	s_and_saveexec_b32 s0, s1
	s_cbranch_execz .LBB1936_310
.LBB1936_342:
	flat_store_b64 v[0:1], v[10:11] offset:4096
	s_wait_xcnt 0x0
	s_or_b32 exec_lo, exec_lo, s0
	s_and_saveexec_b32 s0, s2
	s_cbranch_execnz .LBB1936_311
	s_branch .LBB1936_312
.LBB1936_343:
	s_or_b32 exec_lo, exec_lo, s23
	v_mad_nc_u64_u32 v[0:1], v0, 6, v[28:29]
	v_mad_nc_u64_u32 v[10:11], v24, 6, v[26:27]
	v_lshl_add_u32 v12, v30, 1, v12
	v_mul_u32_u24_e32 v1, 6, v30
	s_barrier_signal -1
	s_barrier_wait -1
	ds_store_b16 v28, v64
	ds_store_b16 v26, v65
	s_wait_dscnt 0x0
	s_barrier_signal -1
	s_barrier_wait -1
	ds_load_u16 v5, v12
	ds_load_u16 v4, v12 offset:512
	s_wait_dscnt 0x0
	s_barrier_signal -1
	s_barrier_wait -1
	ds_store_b64 v0, v[18:19]
	ds_store_b64 v10, v[16:17]
	v_dual_mov_b32 v15, 0 :: v_dual_add_nc_u32 v0, v12, v1
	s_wait_dscnt 0x0
	s_barrier_signal -1
	s_barrier_wait -1
	ds_load_2addr_stride64_b64 v[10:13], v0 offset1:4
	v_lshl_add_u64 v[0:1], v[8:9], 1, v[2:3]
	s_set_vgpr_msb 4                        ;  msbs: dst=0 src0=0 src1=1 src2=0
	v_cmp_lt_u32_e32 vcc_lo, v14, v0 /*v256*/
	s_wait_dscnt 0x0
	s_barrier_signal -1
	s_barrier_wait -1
	v_lshl_add_u64 v[0:1], v[14:15], 1, v[0:1]
	s_and_saveexec_b32 s1, vcc_lo
	s_set_vgpr_msb 0                        ;  msbs: dst=0 src0=0 src1=0 src2=0
	s_cbranch_execz .LBB1936_345
; %bb.344:
	v_cmp_gt_i16_e64 s0, 0, v5
	s_delay_alu instid0(VALU_DEP_1) | instskip(NEXT) | instid1(VALU_DEP_1)
	v_cndmask_b32_e64 v2, 0x7fff, 0, s0
	v_xor_b32_e32 v2, v2, v5
	flat_store_b16 v[0:1], v2
.LBB1936_345:
	s_wait_xcnt 0x0
	s_or_b32 exec_lo, exec_lo, s1
	v_add_nc_u32_e32 v2, 0x100, v14
	s_set_vgpr_msb 4                        ;  msbs: dst=0 src0=0 src1=1 src2=0
	s_delay_alu instid0(VALU_DEP_1)
	v_cmp_lt_u32_e64 s0, v2, v0 /*v256*/
	s_and_saveexec_b32 s2, s0
	s_set_vgpr_msb 0                        ;  msbs: dst=0 src0=0 src1=0 src2=0
	s_cbranch_execz .LBB1936_347
; %bb.346:
	v_cmp_gt_i16_e64 s1, 0, v4
	s_delay_alu instid0(VALU_DEP_1) | instskip(NEXT) | instid1(VALU_DEP_1)
	v_cndmask_b32_e64 v2, 0x7fff, 0, s1
	v_xor_b32_e32 v2, v2, v4
	flat_store_b16 v[0:1], v2 offset:512
.LBB1936_347:
	s_wait_xcnt 0x0
	s_or_b32 exec_lo, exec_lo, s2
	v_lshl_add_u64 v[0:1], v[8:9], 3, v[6:7]
	s_delay_alu instid0(VALU_DEP_1)
	v_lshl_add_u64 v[0:1], v[14:15], 3, v[0:1]
	s_and_saveexec_b32 s1, vcc_lo
	s_cbranch_execz .LBB1936_349
; %bb.348:
	flat_store_b64 v[0:1], v[10:11]
.LBB1936_349:
	s_wait_xcnt 0x0
	s_or_b32 exec_lo, exec_lo, s1
	s_and_saveexec_b32 s1, s0
	s_cbranch_execz .LBB1936_351
; %bb.350:
	flat_store_b64 v[0:1], v[12:13] offset:2048
.LBB1936_351:
	s_wait_xcnt 0x0
	s_or_b32 exec_lo, exec_lo, s1
                                        ; implicit-def: $vgpr14
                                        ; implicit-def: $vgpr8_vgpr9
                                        ; implicit-def: $vgpr256
                                        ; implicit-def: $vgpr10
                                        ; implicit-def: $vgpr11
                                        ; implicit-def: $vgpr0_vgpr1
                                        ; implicit-def: $vgpr2_vgpr3
                                        ; implicit-def: $vgpr4_vgpr5
                                        ; implicit-def: $vgpr6_vgpr7
                                        ; implicit-def: $vgpr12_vgpr13
                                        ; implicit-def: $vgpr30
                                        ; implicit-def: $vgpr33
.LBB1936_352:
	s_and_not1_saveexec_b32 s0, s20
	s_cbranch_execz .LBB1936_372
; %bb.353:
	s_delay_alu instid0(VALU_DEP_3) | instskip(NEXT) | instid1(VALU_DEP_1)
	v_and_b32_e32 v16, 0xffffffe0, v14
	v_or_b32_e32 v15, v33, v16
	s_set_vgpr_msb 4                        ;  msbs: dst=0 src0=0 src1=1 src2=0
	s_delay_alu instid0(VALU_DEP_1)
	v_cmp_lt_u32_e32 vcc_lo, v15, v0 /*v256*/
	v_mov_b32_e32 v15, -1
	s_and_saveexec_b32 s0, vcc_lo
	s_set_vgpr_msb 0                        ;  msbs: dst=0 src0=0 src1=0 src2=0
	s_cbranch_execz .LBB1936_355
; %bb.354:
	v_lshl_add_u64 v[0:1], v[8:9], 1, v[0:1]
	v_dual_mov_b32 v19, 0 :: v_dual_lshlrev_b32 v18, 1, v33
	s_delay_alu instid0(VALU_DEP_1) | instskip(SKIP_1) | instid1(VALU_DEP_1)
	v_add_nc_u64_e32 v[0:1], v[0:1], v[18:19]
	v_mov_b32_e32 v17, v19
	v_lshl_add_u64 v[0:1], v[16:17], 1, v[0:1]
	flat_load_u16 v15, v[0:1]
.LBB1936_355:
	s_wait_xcnt 0x0
	s_or_b32 exec_lo, exec_lo, s0
                                        ; implicit-def: $vgpr18_vgpr19
	s_and_saveexec_b32 s0, vcc_lo
	s_cbranch_execz .LBB1936_357
; %bb.356:
	v_lshl_add_u64 v[0:1], v[8:9], 3, v[4:5]
	v_dual_mov_b32 v5, 0 :: v_dual_lshlrev_b32 v4, 3, v33
	s_delay_alu instid0(VALU_DEP_1) | instskip(SKIP_1) | instid1(VALU_DEP_1)
	v_add_nc_u64_e32 v[0:1], v[0:1], v[4:5]
	v_mov_b32_e32 v17, v5
	v_lshl_add_u64 v[0:1], v[16:17], 3, v[0:1]
	flat_load_b64 v[18:19], v[0:1]
.LBB1936_357:
	s_wait_xcnt 0x0
	s_or_b32 exec_lo, exec_lo, s0
	s_wait_loadcnt_dscnt 0x0
	v_cmp_gt_i16_e32 vcc_lo, 0, v15
	v_lshl_add_u32 v1, v30, 5, v12
	v_sub_co_u32 v16, s2, v33, 1
	v_and_b32_e32 v5, 16, v33
	v_cndmask_b32_e64 v0, 0x7fff, 0, vcc_lo
	s_delay_alu instid0(VALU_DEP_4) | instskip(SKIP_1) | instid1(VALU_DEP_3)
	v_dual_add_nc_u32 v22, 36, v1 :: v_dual_add_nc_u32 v23, 40, v1
	v_dual_add_nc_u32 v24, 44, v1 :: v_dual_add_nc_u32 v25, 48, v1
	v_dual_add_nc_u32 v15, 32, v1 :: v_dual_bitop2_b32 v39, v0, v15 bitop3:0x14
	v_dual_add_nc_u32 v26, 52, v1 :: v_dual_add_nc_u32 v27, 56, v1
	v_add_nc_u32_e32 v28, 60, v1
	v_and_b32_e32 v1, 0x3e0, v30
	v_dual_lshrrev_b32 v29, 5, v14 :: v_dual_bitop2_b32 v0, 15, v33 bitop3:0x40
	v_cmp_gt_i32_e64 s5, 0, v16
	s_get_pc_i64 s[0:1]
	s_add_nc_u64 s[0:1], s[0:1], _ZN7rocprim17ROCPRIM_400000_NS16block_radix_sortI12hip_bfloat16Lj256ELj1ElLj1ELj1ELj8ELNS0_26block_radix_rank_algorithmE2ELNS0_18block_padding_hintE2ELNS0_4arch9wavefront6targetE0EE19radix_bits_per_passE@rel64+4
	v_min_u32_e32 v4, 0xe0, v1
	s_load_b32 s20, s[0:1], 0x0
	v_cmp_eq_u32_e32 vcc_lo, 0, v0
	s_wait_xcnt 0x0
	v_cmp_lt_u32_e64 s0, 1, v0
	v_cmp_lt_u32_e64 s1, 3, v0
	;; [unrolled: 1-line block ×3, first 2 shown]
	v_dual_lshrrev_b32 v4, 3, v30 :: v_dual_bitop2_b32 v0, 31, v4 bitop3:0x54
	v_cmp_eq_u32_e64 s4, 0, v5
	v_cndmask_b32_e64 v5, v16, v33, s5
	v_cmp_gt_u32_e64 s6, 8, v30
	s_delay_alu instid0(VALU_DEP_4) | instskip(SKIP_4) | instid1(VALU_DEP_4)
	v_cmp_eq_u32_e64 s5, v30, v0
	v_and_b32_e32 v0, 0x7c, v4
	v_and_b32_e32 v4, 7, v33
	v_lshlrev_b32_e32 v31, 2, v5
	v_dual_mov_b32 v1, 0 :: v_dual_bitop2_b32 v5, v33, v1 bitop3:0x54
	v_add_nc_u32_e32 v32, v12, v0
	s_delay_alu instid0(VALU_DEP_4) | instskip(SKIP_1) | instid1(VALU_DEP_4)
	v_cmp_eq_u32_e64 s9, 0, v4
	v_cmp_lt_u32_e64 s10, 1, v4
	v_lshl_add_u32 v34, v5, 1, v12
	v_mul_u32_u24_e32 v0, 6, v5
	v_cmp_lt_u32_e64 s11, 3, v4
	v_mov_b64_e32 v[4:5], 0
	v_cmp_lt_u32_e64 s7, 31, v30
	v_cmp_eq_u32_e64 s8, 0, v30
	v_lshl_add_u32 v33, v30, 2, v12
	v_dual_add_nc_u32 v35, -4, v32 :: v_dual_sub_nc_u32 v37, v11, v10
	v_add_nc_u32_e32 v36, v34, v0
	s_mov_b32 s21, 0
	s_wait_storecnt 0x0
	s_barrier_signal -1
	s_barrier_wait -1
	s_branch .LBB1936_359
.LBB1936_358:                           ;   in Loop: Header=BB1936_359 Depth=1
	s_or_b32 exec_lo, exec_lo, s13
	s_delay_alu instid0(SALU_CYCLE_1) | instskip(NEXT) | instid1(SALU_CYCLE_1)
	s_and_b32 s12, exec_lo, s14
	s_or_b32 s21, s12, s21
	s_delay_alu instid0(SALU_CYCLE_1)
	s_and_not1_b32 exec_lo, exec_lo, s21
	s_cbranch_execz .LBB1936_369
.LBB1936_359:                           ; =>This Inner Loop Header: Depth=1
	v_mov_b32_e32 v38, v39
	s_wait_kmcnt 0x0
	v_min_u32_e32 v16, s20, v37
	ds_store_b64 v15, v[4:5]
	ds_store_b64 v23, v[4:5]
	ds_store_b64 v25, v[4:5]
	ds_store_b64 v27, v[4:5]
	s_wait_dscnt 0x0
	v_cmp_ne_u16_e64 s12, 0x8000, v38
	v_lshlrev_b32_e64 v16, v16, -1
	s_barrier_signal -1
	s_barrier_wait -1
	s_delay_alu instid0(VALU_DEP_2) | instskip(NEXT) | instid1(VALU_DEP_1)
	v_cndmask_b32_e64 v0, 0x7fff, v38, s12
	; wave barrier
	v_and_b32_e32 v0, 0xffff, v0
	s_delay_alu instid0(VALU_DEP_1) | instskip(NEXT) | instid1(VALU_DEP_1)
	v_lshrrev_b32_e32 v0, v10, v0
	v_bitop3_b32 v17, v0, 1, v16 bitop3:0x40
	v_bitop3_b32 v0, v0, v16, v0 bitop3:0x30
	s_delay_alu instid0(VALU_DEP_2) | instskip(NEXT) | instid1(VALU_DEP_1)
	v_add_co_u32 v16, s12, v17, -1
	v_cndmask_b32_e64 v17, 0, 1, s12
	s_delay_alu instid0(VALU_DEP_3) | instskip(SKIP_1) | instid1(VALU_DEP_3)
	v_dual_lshlrev_b32 v20, 30, v0 :: v_dual_lshlrev_b32 v21, 29, v0
	v_dual_lshlrev_b32 v39, 28, v0 :: v_dual_lshlrev_b32 v48, 27, v0
	v_cmp_ne_u32_e64 s12, 0, v17
	s_delay_alu instid0(VALU_DEP_3)
	v_not_b32_e32 v17, v20
	v_dual_lshlrev_b32 v49, 26, v0 :: v_dual_lshlrev_b32 v50, 25, v0
	v_lshlrev_b32_e32 v51, 24, v0
	v_cmp_gt_i32_e64 s13, 0, v20
	v_cmp_gt_i32_e64 s14, 0, v21
	v_not_b32_e32 v20, v21
	v_not_b32_e32 v21, v39
	v_ashrrev_i32_e32 v17, 31, v17
	v_cmp_gt_i32_e64 s15, 0, v39
	v_cmp_gt_i32_e64 s16, 0, v48
	v_not_b32_e32 v39, v48
	v_not_b32_e32 v48, v49
	v_dual_ashrrev_i32 v21, 31, v21 :: v_dual_bitop2_b32 v16, s12, v16 bitop3:0x14
	v_dual_ashrrev_i32 v20, 31, v20 :: v_dual_bitop2_b32 v17, s13, v17 bitop3:0x14
	v_cmp_gt_i32_e64 s17, 0, v49
	v_cmp_gt_i32_e64 s18, 0, v50
	v_not_b32_e32 v49, v50
	v_not_b32_e32 v50, v51
	v_dual_ashrrev_i32 v39, 31, v39 :: v_dual_ashrrev_i32 v48, 31, v48
	v_xor_b32_e32 v20, s14, v20
	v_xor_b32_e32 v21, s15, v21
	v_bitop3_b32 v16, v16, v17, exec_lo bitop3:0x80
	v_cmp_gt_i32_e64 s19, 0, v51
	v_dual_ashrrev_i32 v17, 31, v49 :: v_dual_ashrrev_i32 v49, 31, v50
	v_dual_lshlrev_b32 v0, 3, v0 :: v_dual_bitop2_b32 v39, s16, v39 bitop3:0x14
	v_xor_b32_e32 v48, s17, v48
	v_bitop3_b32 v16, v16, v21, v20 bitop3:0x80
	s_delay_alu instid0(VALU_DEP_4) | instskip(SKIP_2) | instid1(VALU_DEP_4)
	v_xor_b32_e32 v17, s18, v17
	v_xor_b32_e32 v20, s19, v49
	v_add_lshl_u32 v0, v0, v29, 2
	v_bitop3_b32 v16, v16, v48, v39 bitop3:0x80
	s_delay_alu instid0(VALU_DEP_1) | instskip(SKIP_1) | instid1(VALU_DEP_4)
	v_bitop3_b32 v20, v16, v20, v17 bitop3:0x80
	v_mov_b64_e32 v[16:17], v[18:19]
	v_add_nc_u64_e32 v[18:19], v[12:13], v[0:1]
	s_delay_alu instid0(VALU_DEP_3) | instskip(SKIP_1) | instid1(VALU_DEP_3)
	v_mbcnt_lo_u32_b32 v0, v20, 0
	v_cmp_ne_u32_e64 s13, 0, v20
	v_add_nc_u64_e32 v[18:19], 32, v[18:19]
	s_delay_alu instid0(VALU_DEP_3) | instskip(SKIP_1) | instid1(SALU_CYCLE_1)
	v_cmp_eq_u32_e64 s12, 0, v0
	s_and_b32 s13, s13, s12
	s_and_saveexec_b32 s12, s13
; %bb.360:                              ;   in Loop: Header=BB1936_359 Depth=1
	v_bcnt_u32_b32 v19, v20, 0
	ds_store_b32 v18, v19
; %bb.361:                              ;   in Loop: Header=BB1936_359 Depth=1
	s_or_b32 exec_lo, exec_lo, s12
	; wave barrier
	s_wait_dscnt 0x0
	s_barrier_signal -1
	s_barrier_wait -1
	ds_load_b32 v20, v15
	ds_load_b32 v21, v22
	;; [unrolled: 1-line block ×8, first 2 shown]
	s_wait_dscnt 0x6
	v_add_nc_u32_e32 v52, v21, v20
	s_wait_dscnt 0x4
	s_delay_alu instid0(VALU_DEP_1) | instskip(SKIP_1) | instid1(VALU_DEP_1)
	v_add3_u32 v52, v52, v39, v48
	s_wait_dscnt 0x2
	v_add3_u32 v52, v52, v49, v50
	s_wait_dscnt 0x0
	s_delay_alu instid0(VALU_DEP_1) | instskip(NEXT) | instid1(VALU_DEP_1)
	v_add3_u32 v51, v52, v19, v51
	v_mov_b32_dpp v52, v51 row_shr:1 row_mask:0xf bank_mask:0xf
	s_delay_alu instid0(VALU_DEP_1) | instskip(NEXT) | instid1(VALU_DEP_1)
	v_cndmask_b32_e64 v52, v52, 0, vcc_lo
	v_add_nc_u32_e32 v51, v52, v51
	s_delay_alu instid0(VALU_DEP_1) | instskip(NEXT) | instid1(VALU_DEP_1)
	v_mov_b32_dpp v52, v51 row_shr:2 row_mask:0xf bank_mask:0xf
	v_cndmask_b32_e64 v52, 0, v52, s0
	s_delay_alu instid0(VALU_DEP_1) | instskip(NEXT) | instid1(VALU_DEP_1)
	v_add_nc_u32_e32 v51, v51, v52
	v_mov_b32_dpp v52, v51 row_shr:4 row_mask:0xf bank_mask:0xf
	s_delay_alu instid0(VALU_DEP_1) | instskip(NEXT) | instid1(VALU_DEP_1)
	v_cndmask_b32_e64 v52, 0, v52, s1
	v_add_nc_u32_e32 v51, v51, v52
	s_delay_alu instid0(VALU_DEP_1) | instskip(NEXT) | instid1(VALU_DEP_1)
	v_mov_b32_dpp v52, v51 row_shr:8 row_mask:0xf bank_mask:0xf
	v_cndmask_b32_e64 v52, 0, v52, s3
	s_delay_alu instid0(VALU_DEP_1) | instskip(SKIP_3) | instid1(VALU_DEP_1)
	v_add_nc_u32_e32 v51, v51, v52
	ds_swizzle_b32 v52, v51 offset:swizzle(BROADCAST,32,15)
	s_wait_dscnt 0x0
	v_cndmask_b32_e64 v52, v52, 0, s4
	v_add_nc_u32_e32 v51, v51, v52
	s_and_saveexec_b32 s12, s5
; %bb.362:                              ;   in Loop: Header=BB1936_359 Depth=1
	ds_store_b32 v32, v51
; %bb.363:                              ;   in Loop: Header=BB1936_359 Depth=1
	s_or_b32 exec_lo, exec_lo, s12
	s_wait_dscnt 0x0
	s_barrier_signal -1
	s_barrier_wait -1
	s_and_saveexec_b32 s12, s6
	s_cbranch_execz .LBB1936_365
; %bb.364:                              ;   in Loop: Header=BB1936_359 Depth=1
	ds_load_b32 v52, v33
	s_wait_dscnt 0x0
	v_mov_b32_dpp v53, v52 row_shr:1 row_mask:0xf bank_mask:0xf
	s_delay_alu instid0(VALU_DEP_1) | instskip(NEXT) | instid1(VALU_DEP_1)
	v_cndmask_b32_e64 v53, v53, 0, s9
	v_add_nc_u32_e32 v52, v53, v52
	s_delay_alu instid0(VALU_DEP_1) | instskip(NEXT) | instid1(VALU_DEP_1)
	v_mov_b32_dpp v53, v52 row_shr:2 row_mask:0xf bank_mask:0xf
	v_cndmask_b32_e64 v53, 0, v53, s10
	s_delay_alu instid0(VALU_DEP_1) | instskip(NEXT) | instid1(VALU_DEP_1)
	v_add_nc_u32_e32 v52, v52, v53
	v_mov_b32_dpp v53, v52 row_shr:4 row_mask:0xf bank_mask:0xf
	s_delay_alu instid0(VALU_DEP_1) | instskip(NEXT) | instid1(VALU_DEP_1)
	v_cndmask_b32_e64 v53, 0, v53, s11
	v_add_nc_u32_e32 v52, v52, v53
	ds_store_b32 v33, v52
.LBB1936_365:                           ;   in Loop: Header=BB1936_359 Depth=1
	s_or_b32 exec_lo, exec_lo, s12
	v_mov_b32_e32 v52, 0
	s_wait_dscnt 0x0
	s_barrier_signal -1
	s_barrier_wait -1
	s_and_saveexec_b32 s12, s7
; %bb.366:                              ;   in Loop: Header=BB1936_359 Depth=1
	ds_load_b32 v52, v35
; %bb.367:                              ;   in Loop: Header=BB1936_359 Depth=1
	s_or_b32 exec_lo, exec_lo, s12
	s_wait_dscnt 0x0
	v_dual_add_nc_u32 v51, v52, v51 :: v_dual_add_nc_u32 v10, 8, v10
	s_mov_b32 s14, -1
	s_mov_b32 s13, exec_lo
	ds_bpermute_b32 v51, v31, v51
	s_wait_dscnt 0x0
	v_cndmask_b32_e64 v51, v51, v52, s2
	s_delay_alu instid0(VALU_DEP_1) | instskip(NEXT) | instid1(VALU_DEP_1)
	v_cndmask_b32_e64 v51, v51, 0, s8
	v_add_nc_u32_e32 v20, v51, v20
	s_delay_alu instid0(VALU_DEP_1) | instskip(NEXT) | instid1(VALU_DEP_1)
	v_add_nc_u32_e32 v21, v20, v21
	v_add_nc_u32_e32 v39, v21, v39
	ds_store_b32 v15, v51
	ds_store_b32 v22, v20
	;; [unrolled: 1-line block ×3, first 2 shown]
	v_add_nc_u32_e32 v48, v39, v48
	s_delay_alu instid0(VALU_DEP_1) | instskip(NEXT) | instid1(VALU_DEP_1)
	v_add_nc_u32_e32 v49, v48, v49
	v_add_nc_u32_e32 v50, v49, v50
	s_delay_alu instid0(VALU_DEP_1)
	v_add_nc_u32_e32 v19, v50, v19
	ds_store_b32 v24, v39
	ds_store_b32 v25, v48
	;; [unrolled: 1-line block ×5, first 2 shown]
	s_wait_dscnt 0x0
	s_barrier_signal -1
	s_barrier_wait -1
	ds_load_b32 v18, v18
	s_wait_dscnt 0x0
                                        ; implicit-def: $vgpr39
	v_add_nc_u32_e32 v0, v18, v0
                                        ; implicit-def: $vgpr18_vgpr19
	s_delay_alu instid0(VALU_DEP_1)
	v_lshl_add_u64 v[20:21], v[0:1], 1, v[12:13]
	v_cmpx_lt_u32_e64 v10, v11
	s_cbranch_execz .LBB1936_358
; %bb.368:                              ;   in Loop: Header=BB1936_359 Depth=1
	s_delay_alu instid0(VALU_DEP_2)
	v_mad_nc_u64_u32 v[18:19], v0, 6, v[20:21]
	s_barrier_signal -1
	s_barrier_wait -1
	ds_store_b16 v20, v38
	s_wait_dscnt 0x0
	s_barrier_signal -1
	s_barrier_wait -1
	ds_load_u16 v39, v34
	s_wait_dscnt 0x0
	s_barrier_signal -1
	s_barrier_wait -1
	ds_store_b64 v18, v[16:17]
	s_wait_dscnt 0x0
	s_barrier_signal -1
	s_barrier_wait -1
	ds_load_b64 v[18:19], v36
	v_add_nc_u32_e32 v37, -8, v37
	s_xor_b32 s14, exec_lo, -1
	s_wait_dscnt 0x0
	s_barrier_signal -1
	s_barrier_wait -1
	s_branch .LBB1936_358
.LBB1936_369:
	s_or_b32 exec_lo, exec_lo, s21
	v_mad_nc_u64_u32 v[0:1], v0, 6, v[20:21]
	v_lshl_add_u32 v5, v30, 1, v12
	v_mul_u32_u24_e32 v1, 6, v30
	s_barrier_signal -1
	s_barrier_wait -1
	ds_store_b16 v20, v38
	s_wait_dscnt 0x0
	s_barrier_signal -1
	s_barrier_wait -1
	ds_load_u16 v4, v5
	s_wait_dscnt 0x0
	s_barrier_signal -1
	s_barrier_wait -1
	ds_store_b64 v0, v[16:17]
	v_add_nc_u32_e32 v0, v5, v1
	s_wait_dscnt 0x0
	s_barrier_signal -1
	s_barrier_wait -1
	ds_load_b64 v[0:1], v0
	s_mov_b32 s0, exec_lo
	s_wait_dscnt 0x0
	s_barrier_signal -1
	s_barrier_wait -1
	s_set_vgpr_msb 4                        ;  msbs: dst=0 src0=0 src1=1 src2=0
	v_cmpx_lt_u32_e64 v14, v0 /*v256*/
	s_set_vgpr_msb 0                        ;  msbs: dst=0 src0=0 src1=0 src2=0
	s_cbranch_execz .LBB1936_371
; %bb.370:
	v_cmp_gt_i16_e32 vcc_lo, 0, v4
	v_lshl_add_u64 v[2:3], v[8:9], 1, v[2:3]
	v_lshl_add_u64 v[6:7], v[8:9], 3, v[6:7]
	v_cndmask_b32_e64 v5, 0x7fff, 0, vcc_lo
	s_delay_alu instid0(VALU_DEP_1) | instskip(NEXT) | instid1(VALU_DEP_1)
	v_dual_mov_b32 v15, 0 :: v_dual_bitop2_b32 v8, v5, v4 bitop3:0x14
	v_lshl_add_u64 v[2:3], v[14:15], 1, v[2:3]
	s_delay_alu instid0(VALU_DEP_4)
	v_lshl_add_u64 v[4:5], v[14:15], 3, v[6:7]
	flat_store_b16 v[2:3], v8
	flat_store_b64 v[4:5], v[0:1]
.LBB1936_371:
	s_wait_xcnt 0x0
	s_or_b32 exec_lo, exec_lo, s0
.LBB1936_372:
	s_delay_alu instid0(SALU_CYCLE_1)
	s_or_b32 exec_lo, exec_lo, s22
	s_wait_dscnt 0x0
	s_set_pc_i64 s[30:31]
.Lfunc_end1936:
	.size	_ZN7rocprim17ROCPRIM_400000_NS6detail40segmented_radix_sort_single_block_helperI12hip_bfloat16lLj256ELj16ELb1EE4sortIPKS3_PS3_PKlPlEEbT_T0_T1_T2_jjjjRNS4_12storage_typeE, .Lfunc_end1936-_ZN7rocprim17ROCPRIM_400000_NS6detail40segmented_radix_sort_single_block_helperI12hip_bfloat16lLj256ELj16ELb1EE4sortIPKS3_PS3_PKlPlEEbT_T0_T1_T2_jjjjRNS4_12storage_typeE
                                        ; -- End function
	.set .L_ZN7rocprim17ROCPRIM_400000_NS6detail40segmented_radix_sort_single_block_helperI12hip_bfloat16lLj256ELj16ELb1EE4sortIPKS3_PS3_PKlPlEEbT_T0_T1_T2_jjjjRNS4_12storage_typeE.num_vgpr, 304
	.set .L_ZN7rocprim17ROCPRIM_400000_NS6detail40segmented_radix_sort_single_block_helperI12hip_bfloat16lLj256ELj16ELb1EE4sortIPKS3_PS3_PKlPlEEbT_T0_T1_T2_jjjjRNS4_12storage_typeE.num_agpr, 0
	.set .L_ZN7rocprim17ROCPRIM_400000_NS6detail40segmented_radix_sort_single_block_helperI12hip_bfloat16lLj256ELj16ELb1EE4sortIPKS3_PS3_PKlPlEEbT_T0_T1_T2_jjjjRNS4_12storage_typeE.numbered_sgpr, 32
	.set .L_ZN7rocprim17ROCPRIM_400000_NS6detail40segmented_radix_sort_single_block_helperI12hip_bfloat16lLj256ELj16ELb1EE4sortIPKS3_PS3_PKlPlEEbT_T0_T1_T2_jjjjRNS4_12storage_typeE.num_named_barrier, 0
	.set .L_ZN7rocprim17ROCPRIM_400000_NS6detail40segmented_radix_sort_single_block_helperI12hip_bfloat16lLj256ELj16ELb1EE4sortIPKS3_PS3_PKlPlEEbT_T0_T1_T2_jjjjRNS4_12storage_typeE.private_seg_size, 0
	.set .L_ZN7rocprim17ROCPRIM_400000_NS6detail40segmented_radix_sort_single_block_helperI12hip_bfloat16lLj256ELj16ELb1EE4sortIPKS3_PS3_PKlPlEEbT_T0_T1_T2_jjjjRNS4_12storage_typeE.uses_vcc, 1
	.set .L_ZN7rocprim17ROCPRIM_400000_NS6detail40segmented_radix_sort_single_block_helperI12hip_bfloat16lLj256ELj16ELb1EE4sortIPKS3_PS3_PKlPlEEbT_T0_T1_T2_jjjjRNS4_12storage_typeE.uses_flat_scratch, 0
	.set .L_ZN7rocprim17ROCPRIM_400000_NS6detail40segmented_radix_sort_single_block_helperI12hip_bfloat16lLj256ELj16ELb1EE4sortIPKS3_PS3_PKlPlEEbT_T0_T1_T2_jjjjRNS4_12storage_typeE.has_dyn_sized_stack, 0
	.set .L_ZN7rocprim17ROCPRIM_400000_NS6detail40segmented_radix_sort_single_block_helperI12hip_bfloat16lLj256ELj16ELb1EE4sortIPKS3_PS3_PKlPlEEbT_T0_T1_T2_jjjjRNS4_12storage_typeE.has_recursion, 0
	.set .L_ZN7rocprim17ROCPRIM_400000_NS6detail40segmented_radix_sort_single_block_helperI12hip_bfloat16lLj256ELj16ELb1EE4sortIPKS3_PS3_PKlPlEEbT_T0_T1_T2_jjjjRNS4_12storage_typeE.has_indirect_call, 0
	.section	.AMDGPU.csdata,"",@progbits
; Function info:
; codeLenInByte = 32672
; TotalNumSgprs: 34
; NumVgprs: 304
; ScratchSize: 0
; MemoryBound: 1
	.section	.text._ZN7rocprim17ROCPRIM_400000_NS6detail17trampoline_kernelINS0_14default_configENS1_36segmented_radix_sort_config_selectorI12hip_bfloat16lEEZNS1_25segmented_radix_sort_implIS3_Lb1EPKS5_PS5_PKlPlN2at6native12_GLOBAL__N_18offset_tEEE10hipError_tPvRmT1_PNSt15iterator_traitsISL_E10value_typeET2_T3_PNSM_ISR_E10value_typeET4_jRbjT5_SX_jjP12ihipStream_tbEUlT_E_NS1_11comp_targetILNS1_3genE0ELNS1_11target_archE4294967295ELNS1_3gpuE0ELNS1_3repE0EEENS1_30default_config_static_selectorELNS0_4arch9wavefront6targetE0EEEvSL_,"axG",@progbits,_ZN7rocprim17ROCPRIM_400000_NS6detail17trampoline_kernelINS0_14default_configENS1_36segmented_radix_sort_config_selectorI12hip_bfloat16lEEZNS1_25segmented_radix_sort_implIS3_Lb1EPKS5_PS5_PKlPlN2at6native12_GLOBAL__N_18offset_tEEE10hipError_tPvRmT1_PNSt15iterator_traitsISL_E10value_typeET2_T3_PNSM_ISR_E10value_typeET4_jRbjT5_SX_jjP12ihipStream_tbEUlT_E_NS1_11comp_targetILNS1_3genE0ELNS1_11target_archE4294967295ELNS1_3gpuE0ELNS1_3repE0EEENS1_30default_config_static_selectorELNS0_4arch9wavefront6targetE0EEEvSL_,comdat
	.globl	_ZN7rocprim17ROCPRIM_400000_NS6detail17trampoline_kernelINS0_14default_configENS1_36segmented_radix_sort_config_selectorI12hip_bfloat16lEEZNS1_25segmented_radix_sort_implIS3_Lb1EPKS5_PS5_PKlPlN2at6native12_GLOBAL__N_18offset_tEEE10hipError_tPvRmT1_PNSt15iterator_traitsISL_E10value_typeET2_T3_PNSM_ISR_E10value_typeET4_jRbjT5_SX_jjP12ihipStream_tbEUlT_E_NS1_11comp_targetILNS1_3genE0ELNS1_11target_archE4294967295ELNS1_3gpuE0ELNS1_3repE0EEENS1_30default_config_static_selectorELNS0_4arch9wavefront6targetE0EEEvSL_ ; -- Begin function _ZN7rocprim17ROCPRIM_400000_NS6detail17trampoline_kernelINS0_14default_configENS1_36segmented_radix_sort_config_selectorI12hip_bfloat16lEEZNS1_25segmented_radix_sort_implIS3_Lb1EPKS5_PS5_PKlPlN2at6native12_GLOBAL__N_18offset_tEEE10hipError_tPvRmT1_PNSt15iterator_traitsISL_E10value_typeET2_T3_PNSM_ISR_E10value_typeET4_jRbjT5_SX_jjP12ihipStream_tbEUlT_E_NS1_11comp_targetILNS1_3genE0ELNS1_11target_archE4294967295ELNS1_3gpuE0ELNS1_3repE0EEENS1_30default_config_static_selectorELNS0_4arch9wavefront6targetE0EEEvSL_
	.p2align	8
	.type	_ZN7rocprim17ROCPRIM_400000_NS6detail17trampoline_kernelINS0_14default_configENS1_36segmented_radix_sort_config_selectorI12hip_bfloat16lEEZNS1_25segmented_radix_sort_implIS3_Lb1EPKS5_PS5_PKlPlN2at6native12_GLOBAL__N_18offset_tEEE10hipError_tPvRmT1_PNSt15iterator_traitsISL_E10value_typeET2_T3_PNSM_ISR_E10value_typeET4_jRbjT5_SX_jjP12ihipStream_tbEUlT_E_NS1_11comp_targetILNS1_3genE0ELNS1_11target_archE4294967295ELNS1_3gpuE0ELNS1_3repE0EEENS1_30default_config_static_selectorELNS0_4arch9wavefront6targetE0EEEvSL_,@function
_ZN7rocprim17ROCPRIM_400000_NS6detail17trampoline_kernelINS0_14default_configENS1_36segmented_radix_sort_config_selectorI12hip_bfloat16lEEZNS1_25segmented_radix_sort_implIS3_Lb1EPKS5_PS5_PKlPlN2at6native12_GLOBAL__N_18offset_tEEE10hipError_tPvRmT1_PNSt15iterator_traitsISL_E10value_typeET2_T3_PNSM_ISR_E10value_typeET4_jRbjT5_SX_jjP12ihipStream_tbEUlT_E_NS1_11comp_targetILNS1_3genE0ELNS1_11target_archE4294967295ELNS1_3gpuE0ELNS1_3repE0EEENS1_30default_config_static_selectorELNS0_4arch9wavefront6targetE0EEEvSL_: ; @_ZN7rocprim17ROCPRIM_400000_NS6detail17trampoline_kernelINS0_14default_configENS1_36segmented_radix_sort_config_selectorI12hip_bfloat16lEEZNS1_25segmented_radix_sort_implIS3_Lb1EPKS5_PS5_PKlPlN2at6native12_GLOBAL__N_18offset_tEEE10hipError_tPvRmT1_PNSt15iterator_traitsISL_E10value_typeET2_T3_PNSM_ISR_E10value_typeET4_jRbjT5_SX_jjP12ihipStream_tbEUlT_E_NS1_11comp_targetILNS1_3genE0ELNS1_11target_archE4294967295ELNS1_3gpuE0ELNS1_3repE0EEENS1_30default_config_static_selectorELNS0_4arch9wavefront6targetE0EEEvSL_
; %bb.0:
	s_load_b64 s[8:9], s[2:3], 0x38
	s_bfe_u32 s4, ttmp6, 0x4000c
	s_and_b32 s5, ttmp6, 15
	s_add_co_i32 s4, s4, 1
	s_getreg_b32 s27, hwreg(HW_REG_IB_STS2, 6, 4)
	s_mul_i32 s4, ttmp9, s4
	s_mov_b32 s32, 0
	s_add_co_i32 s5, s5, s4
	s_cmp_eq_u32 s27, 0
	s_cselect_b32 s33, ttmp9, s5
	s_load_b128 s[4:7], s[2:3], 0x40
	s_wait_kmcnt 0x0
	s_load_b32 s10, s[8:9], s33 offset:0x0 scale_offset
	s_wait_kmcnt 0x0
	s_add_co_i32 s51, s10, s7
	s_add_co_i32 s54, s10, s5
	s_mul_i32 s51, s51, s6
	s_mul_i32 s54, s54, s4
	s_delay_alu instid0(SALU_CYCLE_1)
	s_cmp_le_u32 s51, s54
	s_cbranch_scc1 .LBB1937_1182
; %bb.1:
	s_clause 0x3
	s_load_b32 s4, s[2:3], 0x30
	s_load_b128 s[44:47], s[2:3], 0x20
	s_load_b96 s[48:50], s[2:3], 0x50
	s_load_b256 s[36:43], s[2:3], 0x0
	s_wait_kmcnt 0x0
	s_bitcmp1_b32 s4, 0
	s_mov_b32 s4, -1
	s_cselect_b32 s55, -1, 0
	s_sub_co_i32 s56, s51, s54
	s_delay_alu instid0(SALU_CYCLE_1)
	s_cmp_lt_u32 s56, 0x1001
	s_cbranch_scc0 .LBB1937_7
; %bb.2:
	v_cndmask_b32_e64 v1, 0, 1, s55
	s_and_b32 s4, s48, 1
	s_get_pc_i64 s[28:29]
	s_add_nc_u64 s[28:29], s[28:29], _ZN7rocprim17ROCPRIM_400000_NS6detail40segmented_radix_sort_single_block_helperI12hip_bfloat16lLj256ELj16ELb1EE4sortIPKS3_PS3_PKlPlEEbT_T0_T1_T2_jjjjRNS4_12storage_typeE@rel64+4
	s_delay_alu instid0(VALU_DEP_1)
	v_cmp_ne_u32_e32 vcc_lo, s4, v1
	s_mov_b32 s4, -1
	s_cbranch_vccnz .LBB1937_4
; %bb.3:
	s_mov_b64 s[4:5], src_shared_base
	v_dual_mov_b32 v31, v0 :: v_dual_mov_b32 v40, v0
	v_dual_mov_b32 v0, s36 :: v_dual_mov_b32 v1, s37
	;; [unrolled: 1-line block ×8, first 2 shown]
	s_add_nc_u64 s[8:9], s[2:3], 0x60
	s_mov_b64 s[6:7], s[0:1]
	s_mov_b64 s[34:35], s[2:3]
	;; [unrolled: 1-line block ×3, first 2 shown]
	s_swap_pc_i64 s[30:31], s[28:29]
	v_mov_b32_e32 v0, v40
	s_mov_b64 s[0:1], s[52:53]
	s_mov_b64 s[2:3], s[34:35]
	s_mov_b32 s4, 0
.LBB1937_4:
	s_delay_alu instid0(SALU_CYCLE_1)
	s_and_not1_b32 vcc_lo, exec_lo, s4
	s_cbranch_vccnz .LBB1937_6
; %bb.5:
	s_mov_b64 s[4:5], src_shared_base
	v_dual_mov_b32 v31, v0 :: v_dual_mov_b32 v40, v0
	v_dual_mov_b32 v0, s36 :: v_dual_mov_b32 v1, s37
	;; [unrolled: 1-line block ×8, first 2 shown]
	s_add_nc_u64 s[8:9], s[2:3], 0x60
	s_mov_b64 s[6:7], s[0:1]
	s_mov_b64 s[34:35], s[2:3]
	s_swap_pc_i64 s[30:31], s[28:29]
	v_mov_b32_e32 v0, v40
	s_mov_b64 s[2:3], s[34:35]
.LBB1937_6:
	s_mov_b32 s4, 0
.LBB1937_7:
	s_delay_alu instid0(SALU_CYCLE_1)
	s_and_not1_b32 vcc_lo, exec_lo, s4
	s_cbranch_vccnz .LBB1937_1182
; %bb.8:
	s_cmp_ge_u32 s49, s50
	s_cbranch_scc1 .LBB1937_1182
; %bb.9:
	v_and_b32_e32 v2, 0x3ff, v0
	v_dual_mov_b32 v5, 0 :: v_dual_bitop2_b32 v1, 3, v0 bitop3:0x40
	v_lshrrev_b32_e32 v8, 3, v0
	v_bfe_u32 v89, v0, 20, 10
	s_delay_alu instid0(VALU_DEP_4) | instskip(NEXT) | instid1(VALU_DEP_4)
	v_dual_lshlrev_b32 v3, 2, v2 :: v_dual_lshlrev_b32 v4, 1, v2
	v_dual_lshlrev_b32 v83, 2, v1 :: v_dual_bitop2_b32 v1, 31, v2 bitop3:0x54
	s_delay_alu instid0(VALU_DEP_4) | instskip(NEXT) | instid1(VALU_DEP_3)
	v_dual_lshlrev_b32 v8, 4, v2 :: v_dual_bitop2_b32 v84, 28, v8 bitop3:0x40
	v_mad_u32_u24 v85, v2, 12, v3
	v_bfe_u32 v90, v0, 10, 10
	v_lshlrev_b32_e32 v0, 5, v2
	v_mbcnt_lo_u32_b32 v95, -1, 0
	v_and_b32_e32 v22, 0xe00, v8
	v_mad_u32_u24 v91, v2, 20, v85
	v_dual_mov_b32 v19, v5 :: v_dual_add_nc_u32 v88, 0x83fc, v84
	s_delay_alu instid0(VALU_DEP_3)
	v_dual_mov_b32 v21, v5 :: v_dual_lshlrev_b32 v18, 3, v22
	v_lshlrev_b32_e32 v20, 1, v22
	s_bfe_u32 s6, ttmp6, 0x40010
	v_sub_nc_u32_e32 v92, v91, v0
	v_dual_lshlrev_b32 v22, 1, v95 :: v_dual_bitop2_b32 v100, v95, v22 bitop3:0x54
	s_add_co_i32 s6, s6, 1
	v_add_nc_u64_e32 v[6:7], s[40:41], v[4:5]
	v_cmp_eq_u32_e64 s1, v2, v1
	s_mul_i32 s6, ttmp7, s6
	s_bfe_u32 s7, ttmp6, 0x40004
	v_add_nc_u64_e32 v[0:1], s[46:47], v[18:19]
	v_add_nc_u64_e32 v[8:9], s[40:41], v[20:21]
	;; [unrolled: 1-line block ×8, first 2 shown]
	v_or_b32_e32 v68, 0x100, v2
	v_or_b32_e32 v69, 0x200, v2
	;; [unrolled: 1-line block ×15, first 2 shown]
	v_cmp_gt_u32_e64 s0, 0x100, v2
	v_or_b32_e32 v86, 0x8400, v84
	v_cmp_gt_u32_e64 s4, 8, v2
	v_dual_mov_b32 v96, 1 :: v_dual_add_nc_u32 v87, 0x8400, v3
	v_cmp_lt_u32_e64 s5, 31, v2
	s_add_nc_u64 s[34:35], s[2:3], 0x60
	s_add_co_i32 s7, s7, s6
	v_cmp_eq_u32_e64 s2, 0, v2
	v_cmp_ne_u32_e64 s3, 0xff, v2
	v_dual_sub_nc_u32 v93, v92, v4 :: v_dual_bitop2_b32 v97, 15, v95 bitop3:0x40
	v_mul_u32_u24_e32 v94, 6, v2
	v_bfe_i32 v98, v95, 4, 1
	v_dual_lshlrev_b32 v4, 3, v95 :: v_dual_bitop2_b32 v99, 16, v95 bitop3:0x40
	v_and_b32_e32 v101, 7, v95
	v_sub_co_u32 v102, s6, v95, 1
	v_or_b32_e32 v103, 32, v100
	v_or_b32_e32 v104, 64, v100
	v_or_b32_e32 v105, 0x60, v100
	v_or_b32_e32 v106, 0x80, v100
	v_or_b32_e32 v107, 0xa0, v100
	v_or_b32_e32 v108, 0xc0, v100
	v_or_b32_e32 v109, 0xe0, v100
	v_or_b32_e32 v110, 0x100, v100
	v_or_b32_e32 v111, 0x120, v100
	v_or_b32_e32 v112, 0x140, v100
	v_or_b32_e32 v113, 0x160, v100
	v_or_b32_e32 v114, 0x180, v100
	v_or_b32_e32 v115, 0x1a0, v100
	v_or_b32_e32 v116, 0x1c0, v100
	v_or_b32_e32 v117, 0x1e0, v100
	v_add_nc_u32_e32 v118, 0x420, v91
	v_add_nc_u32_e32 v119, 0x428, v91
	;; [unrolled: 1-line block ×4, first 2 shown]
	s_cmp_eq_u32 s27, 0
	s_mov_b32 s43, 0
	s_cselect_b32 s31, ttmp7, s7
	s_mov_b32 s48, s49
	s_branch .LBB1937_12
.LBB1937_10:                            ;   in Loop: Header=BB1937_12 Depth=1
	s_wait_dscnt 0x0
	s_barrier_signal -1
	s_barrier_wait -1
.LBB1937_11:                            ;   in Loop: Header=BB1937_12 Depth=1
	s_add_co_i32 s48, s48, 8
	s_delay_alu instid0(SALU_CYCLE_1)
	s_cmp_ge_u32 s48, s50
	s_cbranch_scc1 .LBB1937_1182
.LBB1937_12:                            ; =>This Loop Header: Depth=1
                                        ;     Child Loop BB1937_16 Depth 2
                                        ;     Child Loop BB1937_96 Depth 2
                                        ;     Child Loop BB1937_308 Depth 2
                                        ;     Child Loop BB1937_388 Depth 2
                                        ;     Child Loop BB1937_602 Depth 2
                                        ;     Child Loop BB1937_682 Depth 2
                                        ;     Child Loop BB1937_894 Depth 2
                                        ;     Child Loop BB1937_974 Depth 2
	s_sub_co_i32 s7, s50, s48
	s_xor_b32 s55, s55, -1
	s_min_u32 s7, s7, 8
	ds_store_2addr_stride64_b32 v3, v5, v5 offset1:4
	s_lshl_b32 s7, -1, s7
	ds_store_2addr_stride64_b32 v3, v5, v5 offset0:8 offset1:12
	s_not_b32 s52, s7
	s_cmp_lg_u32 s48, s49
	s_mov_b32 s7, -1
	s_wait_storecnt_dscnt 0x0
	s_cbranch_scc0 .LBB1937_598
; %bb.13:                               ;   in Loop: Header=BB1937_12 Depth=1
	s_and_b32 vcc_lo, exec_lo, s55
	s_cbranch_vccz .LBB1937_305
; %bb.14:                               ;   in Loop: Header=BB1937_12 Depth=1
	s_mov_b32 s7, s56
	s_mov_b32 s42, s54
	s_barrier_signal -1
	s_barrier_wait -1
                                        ; implicit-def: $vgpr23
                                        ; implicit-def: $vgpr24
                                        ; implicit-def: $vgpr25
                                        ; implicit-def: $vgpr26
                                        ; implicit-def: $vgpr27
                                        ; implicit-def: $vgpr28
                                        ; implicit-def: $vgpr29
                                        ; implicit-def: $vgpr30
                                        ; implicit-def: $vgpr31
                                        ; implicit-def: $vgpr32
                                        ; implicit-def: $vgpr33
                                        ; implicit-def: $vgpr34
                                        ; implicit-def: $vgpr35
                                        ; implicit-def: $vgpr36
                                        ; implicit-def: $vgpr37
                                        ; implicit-def: $vgpr38
	s_branch .LBB1937_16
.LBB1937_15:                            ;   in Loop: Header=BB1937_16 Depth=2
	s_or_b32 exec_lo, exec_lo, s8
	s_addk_co_i32 s7, 0xf000
	s_cmp_ge_u32 s10, s51
	s_mov_b32 s42, s10
	s_cbranch_scc1 .LBB1937_84
.LBB1937_16:                            ;   Parent Loop BB1937_12 Depth=1
                                        ; =>  This Inner Loop Header: Depth=2
	s_add_co_i32 s10, s42, 0x1000
	s_mov_b32 s8, -1
	s_cmp_gt_u32 s10, s51
                                        ; implicit-def: $vgpr39
                                        ; implicit-def: $vgpr40
                                        ; implicit-def: $vgpr41
                                        ; implicit-def: $vgpr42
                                        ; implicit-def: $vgpr43
                                        ; implicit-def: $vgpr44
                                        ; implicit-def: $vgpr45
                                        ; implicit-def: $vgpr46
                                        ; implicit-def: $vgpr47
                                        ; implicit-def: $vgpr48
                                        ; implicit-def: $vgpr49
                                        ; implicit-def: $vgpr50
                                        ; implicit-def: $vgpr51
                                        ; implicit-def: $vgpr52
                                        ; implicit-def: $vgpr53
                                        ; implicit-def: $vgpr54
	s_cbranch_scc1 .LBB1937_18
; %bb.17:                               ;   in Loop: Header=BB1937_16 Depth=2
	v_lshl_add_u64 v[54:55], s[42:43], 1, v[6:7]
	s_mov_b32 s8, 0
	s_clause 0xf
	global_load_u16 v39, v[54:55], off
	global_load_u16 v40, v[54:55], off offset:512
	global_load_u16 v41, v[54:55], off offset:1024
	;; [unrolled: 1-line block ×15, first 2 shown]
.LBB1937_18:                            ;   in Loop: Header=BB1937_16 Depth=2
	s_and_not1_b32 vcc_lo, exec_lo, s8
	s_movk_i32 s8, 0x1000
	s_cbranch_vccnz .LBB1937_37
; %bb.19:                               ;   in Loop: Header=BB1937_16 Depth=2
	s_lshl_b64 s[8:9], s[42:43], 1
	s_mov_b32 s11, exec_lo
	s_add_nc_u64 s[8:9], s[40:41], s[8:9]
	s_wait_xcnt 0x0
	v_cmpx_gt_u32_e64 s7, v2
	s_cbranch_execnz .LBB1937_69
; %bb.20:                               ;   in Loop: Header=BB1937_16 Depth=2
	s_or_b32 exec_lo, exec_lo, s11
	s_delay_alu instid0(SALU_CYCLE_1)
	s_mov_b32 s11, exec_lo
	v_cmpx_gt_u32_e64 s7, v68
	s_cbranch_execnz .LBB1937_70
.LBB1937_21:                            ;   in Loop: Header=BB1937_16 Depth=2
	s_or_b32 exec_lo, exec_lo, s11
	s_delay_alu instid0(SALU_CYCLE_1)
	s_mov_b32 s11, exec_lo
	v_cmpx_gt_u32_e64 s7, v69
	s_cbranch_execnz .LBB1937_71
.LBB1937_22:                            ;   in Loop: Header=BB1937_16 Depth=2
	s_or_b32 exec_lo, exec_lo, s11
	s_delay_alu instid0(SALU_CYCLE_1)
	s_mov_b32 s11, exec_lo
	v_cmpx_gt_u32_e64 s7, v70
	s_cbranch_execnz .LBB1937_72
.LBB1937_23:                            ;   in Loop: Header=BB1937_16 Depth=2
	s_or_b32 exec_lo, exec_lo, s11
	s_delay_alu instid0(SALU_CYCLE_1)
	s_mov_b32 s11, exec_lo
	v_cmpx_gt_u32_e64 s7, v71
	s_cbranch_execnz .LBB1937_73
.LBB1937_24:                            ;   in Loop: Header=BB1937_16 Depth=2
	s_or_b32 exec_lo, exec_lo, s11
	s_delay_alu instid0(SALU_CYCLE_1)
	s_mov_b32 s11, exec_lo
	v_cmpx_gt_u32_e64 s7, v72
	s_cbranch_execnz .LBB1937_74
.LBB1937_25:                            ;   in Loop: Header=BB1937_16 Depth=2
	s_or_b32 exec_lo, exec_lo, s11
	s_delay_alu instid0(SALU_CYCLE_1)
	s_mov_b32 s11, exec_lo
	v_cmpx_gt_u32_e64 s7, v73
	s_cbranch_execnz .LBB1937_75
.LBB1937_26:                            ;   in Loop: Header=BB1937_16 Depth=2
	s_or_b32 exec_lo, exec_lo, s11
	s_delay_alu instid0(SALU_CYCLE_1)
	s_mov_b32 s11, exec_lo
	v_cmpx_gt_u32_e64 s7, v74
	s_cbranch_execnz .LBB1937_76
.LBB1937_27:                            ;   in Loop: Header=BB1937_16 Depth=2
	s_or_b32 exec_lo, exec_lo, s11
	s_delay_alu instid0(SALU_CYCLE_1)
	s_mov_b32 s11, exec_lo
	v_cmpx_gt_u32_e64 s7, v75
	s_cbranch_execnz .LBB1937_77
.LBB1937_28:                            ;   in Loop: Header=BB1937_16 Depth=2
	s_or_b32 exec_lo, exec_lo, s11
	s_delay_alu instid0(SALU_CYCLE_1)
	s_mov_b32 s11, exec_lo
	v_cmpx_gt_u32_e64 s7, v76
	s_cbranch_execnz .LBB1937_78
.LBB1937_29:                            ;   in Loop: Header=BB1937_16 Depth=2
	s_or_b32 exec_lo, exec_lo, s11
	s_delay_alu instid0(SALU_CYCLE_1)
	s_mov_b32 s11, exec_lo
	v_cmpx_gt_u32_e64 s7, v77
	s_cbranch_execnz .LBB1937_79
.LBB1937_30:                            ;   in Loop: Header=BB1937_16 Depth=2
	s_or_b32 exec_lo, exec_lo, s11
	s_delay_alu instid0(SALU_CYCLE_1)
	s_mov_b32 s11, exec_lo
	v_cmpx_gt_u32_e64 s7, v78
	s_cbranch_execnz .LBB1937_80
.LBB1937_31:                            ;   in Loop: Header=BB1937_16 Depth=2
	s_or_b32 exec_lo, exec_lo, s11
	s_delay_alu instid0(SALU_CYCLE_1)
	s_mov_b32 s11, exec_lo
	v_cmpx_gt_u32_e64 s7, v79
	s_cbranch_execnz .LBB1937_81
.LBB1937_32:                            ;   in Loop: Header=BB1937_16 Depth=2
	s_or_b32 exec_lo, exec_lo, s11
	s_delay_alu instid0(SALU_CYCLE_1)
	s_mov_b32 s11, exec_lo
	v_cmpx_gt_u32_e64 s7, v80
	s_cbranch_execnz .LBB1937_82
.LBB1937_33:                            ;   in Loop: Header=BB1937_16 Depth=2
	s_or_b32 exec_lo, exec_lo, s11
	s_delay_alu instid0(SALU_CYCLE_1)
	s_mov_b32 s11, exec_lo
	v_cmpx_gt_u32_e64 s7, v81
	s_cbranch_execnz .LBB1937_83
.LBB1937_34:                            ;   in Loop: Header=BB1937_16 Depth=2
	s_or_b32 exec_lo, exec_lo, s11
	s_delay_alu instid0(SALU_CYCLE_1)
	s_mov_b32 s11, exec_lo
	v_cmpx_gt_u32_e64 s7, v82
	s_cbranch_execz .LBB1937_36
.LBB1937_35:                            ;   in Loop: Header=BB1937_16 Depth=2
	global_load_u16 v23, v2, s[8:9] offset:7680 scale_offset
.LBB1937_36:                            ;   in Loop: Header=BB1937_16 Depth=2
	s_wait_xcnt 0x0
	s_or_b32 exec_lo, exec_lo, s11
	s_wait_loadcnt 0x0
	v_dual_mov_b32 v39, v38 :: v_dual_mov_b32 v40, v37
	v_dual_mov_b32 v41, v36 :: v_dual_mov_b32 v42, v35
	;; [unrolled: 1-line block ×8, first 2 shown]
	s_mov_b32 s8, s7
.LBB1937_37:                            ;   in Loop: Header=BB1937_16 Depth=2
	s_wait_loadcnt 0x0
	s_delay_alu instid0(VALU_DEP_1)
	v_dual_mov_b32 v23, v54 :: v_dual_mov_b32 v24, v53
	v_dual_mov_b32 v25, v52 :: v_dual_mov_b32 v26, v51
	v_dual_mov_b32 v27, v50 :: v_dual_mov_b32 v28, v49
	v_dual_mov_b32 v29, v48 :: v_dual_mov_b32 v30, v47
	v_dual_mov_b32 v31, v46 :: v_dual_mov_b32 v32, v45
	v_dual_mov_b32 v33, v44 :: v_dual_mov_b32 v34, v43
	v_dual_mov_b32 v35, v42 :: v_dual_mov_b32 v36, v41
	v_dual_mov_b32 v37, v40 :: v_dual_mov_b32 v38, v39
	s_mov_b32 s9, exec_lo
	s_wait_xcnt 0x0
	v_cmpx_gt_u32_e64 s8, v2
	s_cbranch_execnz .LBB1937_53
; %bb.38:                               ;   in Loop: Header=BB1937_16 Depth=2
	s_or_b32 exec_lo, exec_lo, s9
	s_delay_alu instid0(SALU_CYCLE_1)
	s_mov_b32 s9, exec_lo
	v_cmpx_gt_u32_e64 s8, v68
	s_cbranch_execnz .LBB1937_54
.LBB1937_39:                            ;   in Loop: Header=BB1937_16 Depth=2
	s_or_b32 exec_lo, exec_lo, s9
	s_delay_alu instid0(SALU_CYCLE_1)
	s_mov_b32 s9, exec_lo
	v_cmpx_gt_u32_e64 s8, v69
	s_cbranch_execnz .LBB1937_55
.LBB1937_40:                            ;   in Loop: Header=BB1937_16 Depth=2
	s_or_b32 exec_lo, exec_lo, s9
	s_delay_alu instid0(SALU_CYCLE_1)
	s_mov_b32 s9, exec_lo
	v_cmpx_gt_u32_e64 s8, v70
	s_cbranch_execnz .LBB1937_56
.LBB1937_41:                            ;   in Loop: Header=BB1937_16 Depth=2
	s_or_b32 exec_lo, exec_lo, s9
	s_delay_alu instid0(SALU_CYCLE_1)
	s_mov_b32 s9, exec_lo
	v_cmpx_gt_u32_e64 s8, v71
	s_cbranch_execnz .LBB1937_57
.LBB1937_42:                            ;   in Loop: Header=BB1937_16 Depth=2
	s_or_b32 exec_lo, exec_lo, s9
	s_delay_alu instid0(SALU_CYCLE_1)
	s_mov_b32 s9, exec_lo
	v_cmpx_gt_u32_e64 s8, v72
	s_cbranch_execnz .LBB1937_58
.LBB1937_43:                            ;   in Loop: Header=BB1937_16 Depth=2
	s_or_b32 exec_lo, exec_lo, s9
	s_delay_alu instid0(SALU_CYCLE_1)
	s_mov_b32 s9, exec_lo
	v_cmpx_gt_u32_e64 s8, v73
	s_cbranch_execnz .LBB1937_59
.LBB1937_44:                            ;   in Loop: Header=BB1937_16 Depth=2
	s_or_b32 exec_lo, exec_lo, s9
	s_delay_alu instid0(SALU_CYCLE_1)
	s_mov_b32 s9, exec_lo
	v_cmpx_gt_u32_e64 s8, v74
	s_cbranch_execnz .LBB1937_60
.LBB1937_45:                            ;   in Loop: Header=BB1937_16 Depth=2
	s_or_b32 exec_lo, exec_lo, s9
	s_delay_alu instid0(SALU_CYCLE_1)
	s_mov_b32 s9, exec_lo
	v_cmpx_gt_u32_e64 s8, v75
	s_cbranch_execnz .LBB1937_61
.LBB1937_46:                            ;   in Loop: Header=BB1937_16 Depth=2
	s_or_b32 exec_lo, exec_lo, s9
	s_delay_alu instid0(SALU_CYCLE_1)
	s_mov_b32 s9, exec_lo
	v_cmpx_gt_u32_e64 s8, v76
	s_cbranch_execnz .LBB1937_62
.LBB1937_47:                            ;   in Loop: Header=BB1937_16 Depth=2
	s_or_b32 exec_lo, exec_lo, s9
	s_delay_alu instid0(SALU_CYCLE_1)
	s_mov_b32 s9, exec_lo
	v_cmpx_gt_u32_e64 s8, v77
	s_cbranch_execnz .LBB1937_63
.LBB1937_48:                            ;   in Loop: Header=BB1937_16 Depth=2
	s_or_b32 exec_lo, exec_lo, s9
	s_delay_alu instid0(SALU_CYCLE_1)
	s_mov_b32 s9, exec_lo
	v_cmpx_gt_u32_e64 s8, v78
	s_cbranch_execnz .LBB1937_64
.LBB1937_49:                            ;   in Loop: Header=BB1937_16 Depth=2
	s_or_b32 exec_lo, exec_lo, s9
	s_delay_alu instid0(SALU_CYCLE_1)
	s_mov_b32 s9, exec_lo
	v_cmpx_gt_u32_e64 s8, v79
	s_cbranch_execnz .LBB1937_65
.LBB1937_50:                            ;   in Loop: Header=BB1937_16 Depth=2
	s_or_b32 exec_lo, exec_lo, s9
	s_delay_alu instid0(SALU_CYCLE_1)
	s_mov_b32 s9, exec_lo
	v_cmpx_gt_u32_e64 s8, v80
	s_cbranch_execnz .LBB1937_66
.LBB1937_51:                            ;   in Loop: Header=BB1937_16 Depth=2
	s_or_b32 exec_lo, exec_lo, s9
	s_delay_alu instid0(SALU_CYCLE_1)
	s_mov_b32 s9, exec_lo
	v_cmpx_gt_u32_e64 s8, v81
	s_cbranch_execnz .LBB1937_67
.LBB1937_52:                            ;   in Loop: Header=BB1937_16 Depth=2
	s_or_b32 exec_lo, exec_lo, s9
	v_cmp_gt_u32_e32 vcc_lo, s8, v82
	s_and_saveexec_b32 s8, vcc_lo
	s_cbranch_execz .LBB1937_15
	s_branch .LBB1937_68
.LBB1937_53:                            ;   in Loop: Header=BB1937_16 Depth=2
	v_cmp_gt_i16_e32 vcc_lo, 0, v38
	v_cndmask_b32_e64 v39, 0x7fff, 0, vcc_lo
	s_delay_alu instid0(VALU_DEP_1) | instskip(NEXT) | instid1(VALU_DEP_1)
	v_xor_b32_e32 v39, v39, v38
	v_cmp_ne_u16_e32 vcc_lo, 0x8000, v39
	v_cndmask_b32_e32 v39, 0x7fff, v39, vcc_lo
	s_delay_alu instid0(VALU_DEP_1) | instskip(NEXT) | instid1(VALU_DEP_1)
	v_and_b32_e32 v39, 0xffff, v39
	v_lshrrev_b32_e32 v39, s48, v39
	s_delay_alu instid0(VALU_DEP_1) | instskip(NEXT) | instid1(VALU_DEP_1)
	v_and_b32_e32 v39, s52, v39
	v_lshl_or_b32 v39, v39, 4, v83
	ds_add_u32 v39, v96
	s_or_b32 exec_lo, exec_lo, s9
	s_delay_alu instid0(SALU_CYCLE_1)
	s_mov_b32 s9, exec_lo
	v_cmpx_gt_u32_e64 s8, v68
	s_cbranch_execz .LBB1937_39
.LBB1937_54:                            ;   in Loop: Header=BB1937_16 Depth=2
	v_cmp_gt_i16_e32 vcc_lo, 0, v37
	v_cndmask_b32_e64 v39, 0x7fff, 0, vcc_lo
	s_delay_alu instid0(VALU_DEP_1) | instskip(NEXT) | instid1(VALU_DEP_1)
	v_xor_b32_e32 v39, v39, v37
	v_cmp_ne_u16_e32 vcc_lo, 0x8000, v39
	v_cndmask_b32_e32 v39, 0x7fff, v39, vcc_lo
	s_delay_alu instid0(VALU_DEP_1) | instskip(NEXT) | instid1(VALU_DEP_1)
	v_and_b32_e32 v39, 0xffff, v39
	v_lshrrev_b32_e32 v39, s48, v39
	s_delay_alu instid0(VALU_DEP_1) | instskip(NEXT) | instid1(VALU_DEP_1)
	v_and_b32_e32 v39, s52, v39
	v_lshl_or_b32 v39, v39, 4, v83
	ds_add_u32 v39, v96
	s_or_b32 exec_lo, exec_lo, s9
	s_delay_alu instid0(SALU_CYCLE_1)
	s_mov_b32 s9, exec_lo
	v_cmpx_gt_u32_e64 s8, v69
	s_cbranch_execz .LBB1937_40
.LBB1937_55:                            ;   in Loop: Header=BB1937_16 Depth=2
	v_cmp_gt_i16_e32 vcc_lo, 0, v36
	v_cndmask_b32_e64 v39, 0x7fff, 0, vcc_lo
	s_delay_alu instid0(VALU_DEP_1) | instskip(NEXT) | instid1(VALU_DEP_1)
	v_xor_b32_e32 v39, v39, v36
	v_cmp_ne_u16_e32 vcc_lo, 0x8000, v39
	v_cndmask_b32_e32 v39, 0x7fff, v39, vcc_lo
	s_delay_alu instid0(VALU_DEP_1) | instskip(NEXT) | instid1(VALU_DEP_1)
	v_and_b32_e32 v39, 0xffff, v39
	v_lshrrev_b32_e32 v39, s48, v39
	s_delay_alu instid0(VALU_DEP_1) | instskip(NEXT) | instid1(VALU_DEP_1)
	v_and_b32_e32 v39, s52, v39
	v_lshl_or_b32 v39, v39, 4, v83
	ds_add_u32 v39, v96
	s_or_b32 exec_lo, exec_lo, s9
	s_delay_alu instid0(SALU_CYCLE_1)
	s_mov_b32 s9, exec_lo
	v_cmpx_gt_u32_e64 s8, v70
	s_cbranch_execz .LBB1937_41
.LBB1937_56:                            ;   in Loop: Header=BB1937_16 Depth=2
	v_cmp_gt_i16_e32 vcc_lo, 0, v35
	v_cndmask_b32_e64 v39, 0x7fff, 0, vcc_lo
	s_delay_alu instid0(VALU_DEP_1) | instskip(NEXT) | instid1(VALU_DEP_1)
	v_xor_b32_e32 v39, v39, v35
	v_cmp_ne_u16_e32 vcc_lo, 0x8000, v39
	v_cndmask_b32_e32 v39, 0x7fff, v39, vcc_lo
	s_delay_alu instid0(VALU_DEP_1) | instskip(NEXT) | instid1(VALU_DEP_1)
	v_and_b32_e32 v39, 0xffff, v39
	v_lshrrev_b32_e32 v39, s48, v39
	s_delay_alu instid0(VALU_DEP_1) | instskip(NEXT) | instid1(VALU_DEP_1)
	v_and_b32_e32 v39, s52, v39
	v_lshl_or_b32 v39, v39, 4, v83
	ds_add_u32 v39, v96
	s_or_b32 exec_lo, exec_lo, s9
	s_delay_alu instid0(SALU_CYCLE_1)
	s_mov_b32 s9, exec_lo
	v_cmpx_gt_u32_e64 s8, v71
	s_cbranch_execz .LBB1937_42
.LBB1937_57:                            ;   in Loop: Header=BB1937_16 Depth=2
	v_cmp_gt_i16_e32 vcc_lo, 0, v34
	v_cndmask_b32_e64 v39, 0x7fff, 0, vcc_lo
	s_delay_alu instid0(VALU_DEP_1) | instskip(NEXT) | instid1(VALU_DEP_1)
	v_xor_b32_e32 v39, v39, v34
	v_cmp_ne_u16_e32 vcc_lo, 0x8000, v39
	v_cndmask_b32_e32 v39, 0x7fff, v39, vcc_lo
	s_delay_alu instid0(VALU_DEP_1) | instskip(NEXT) | instid1(VALU_DEP_1)
	v_and_b32_e32 v39, 0xffff, v39
	v_lshrrev_b32_e32 v39, s48, v39
	s_delay_alu instid0(VALU_DEP_1) | instskip(NEXT) | instid1(VALU_DEP_1)
	v_and_b32_e32 v39, s52, v39
	v_lshl_or_b32 v39, v39, 4, v83
	ds_add_u32 v39, v96
	s_or_b32 exec_lo, exec_lo, s9
	s_delay_alu instid0(SALU_CYCLE_1)
	s_mov_b32 s9, exec_lo
	v_cmpx_gt_u32_e64 s8, v72
	s_cbranch_execz .LBB1937_43
.LBB1937_58:                            ;   in Loop: Header=BB1937_16 Depth=2
	v_cmp_gt_i16_e32 vcc_lo, 0, v33
	v_cndmask_b32_e64 v39, 0x7fff, 0, vcc_lo
	s_delay_alu instid0(VALU_DEP_1) | instskip(NEXT) | instid1(VALU_DEP_1)
	v_xor_b32_e32 v39, v39, v33
	v_cmp_ne_u16_e32 vcc_lo, 0x8000, v39
	v_cndmask_b32_e32 v39, 0x7fff, v39, vcc_lo
	s_delay_alu instid0(VALU_DEP_1) | instskip(NEXT) | instid1(VALU_DEP_1)
	v_and_b32_e32 v39, 0xffff, v39
	v_lshrrev_b32_e32 v39, s48, v39
	s_delay_alu instid0(VALU_DEP_1) | instskip(NEXT) | instid1(VALU_DEP_1)
	v_and_b32_e32 v39, s52, v39
	v_lshl_or_b32 v39, v39, 4, v83
	ds_add_u32 v39, v96
	s_or_b32 exec_lo, exec_lo, s9
	s_delay_alu instid0(SALU_CYCLE_1)
	s_mov_b32 s9, exec_lo
	v_cmpx_gt_u32_e64 s8, v73
	s_cbranch_execz .LBB1937_44
.LBB1937_59:                            ;   in Loop: Header=BB1937_16 Depth=2
	v_cmp_gt_i16_e32 vcc_lo, 0, v32
	v_cndmask_b32_e64 v39, 0x7fff, 0, vcc_lo
	s_delay_alu instid0(VALU_DEP_1) | instskip(NEXT) | instid1(VALU_DEP_1)
	v_xor_b32_e32 v39, v39, v32
	v_cmp_ne_u16_e32 vcc_lo, 0x8000, v39
	v_cndmask_b32_e32 v39, 0x7fff, v39, vcc_lo
	s_delay_alu instid0(VALU_DEP_1) | instskip(NEXT) | instid1(VALU_DEP_1)
	v_and_b32_e32 v39, 0xffff, v39
	v_lshrrev_b32_e32 v39, s48, v39
	s_delay_alu instid0(VALU_DEP_1) | instskip(NEXT) | instid1(VALU_DEP_1)
	v_and_b32_e32 v39, s52, v39
	v_lshl_or_b32 v39, v39, 4, v83
	ds_add_u32 v39, v96
	s_or_b32 exec_lo, exec_lo, s9
	s_delay_alu instid0(SALU_CYCLE_1)
	s_mov_b32 s9, exec_lo
	v_cmpx_gt_u32_e64 s8, v74
	s_cbranch_execz .LBB1937_45
.LBB1937_60:                            ;   in Loop: Header=BB1937_16 Depth=2
	v_cmp_gt_i16_e32 vcc_lo, 0, v31
	v_cndmask_b32_e64 v39, 0x7fff, 0, vcc_lo
	s_delay_alu instid0(VALU_DEP_1) | instskip(NEXT) | instid1(VALU_DEP_1)
	v_xor_b32_e32 v39, v39, v31
	v_cmp_ne_u16_e32 vcc_lo, 0x8000, v39
	v_cndmask_b32_e32 v39, 0x7fff, v39, vcc_lo
	s_delay_alu instid0(VALU_DEP_1) | instskip(NEXT) | instid1(VALU_DEP_1)
	v_and_b32_e32 v39, 0xffff, v39
	v_lshrrev_b32_e32 v39, s48, v39
	s_delay_alu instid0(VALU_DEP_1) | instskip(NEXT) | instid1(VALU_DEP_1)
	v_and_b32_e32 v39, s52, v39
	v_lshl_or_b32 v39, v39, 4, v83
	ds_add_u32 v39, v96
	s_or_b32 exec_lo, exec_lo, s9
	s_delay_alu instid0(SALU_CYCLE_1)
	s_mov_b32 s9, exec_lo
	v_cmpx_gt_u32_e64 s8, v75
	s_cbranch_execz .LBB1937_46
.LBB1937_61:                            ;   in Loop: Header=BB1937_16 Depth=2
	v_cmp_gt_i16_e32 vcc_lo, 0, v30
	v_cndmask_b32_e64 v39, 0x7fff, 0, vcc_lo
	s_delay_alu instid0(VALU_DEP_1) | instskip(NEXT) | instid1(VALU_DEP_1)
	v_xor_b32_e32 v39, v39, v30
	v_cmp_ne_u16_e32 vcc_lo, 0x8000, v39
	v_cndmask_b32_e32 v39, 0x7fff, v39, vcc_lo
	s_delay_alu instid0(VALU_DEP_1) | instskip(NEXT) | instid1(VALU_DEP_1)
	v_and_b32_e32 v39, 0xffff, v39
	v_lshrrev_b32_e32 v39, s48, v39
	s_delay_alu instid0(VALU_DEP_1) | instskip(NEXT) | instid1(VALU_DEP_1)
	v_and_b32_e32 v39, s52, v39
	v_lshl_or_b32 v39, v39, 4, v83
	ds_add_u32 v39, v96
	s_or_b32 exec_lo, exec_lo, s9
	s_delay_alu instid0(SALU_CYCLE_1)
	s_mov_b32 s9, exec_lo
	v_cmpx_gt_u32_e64 s8, v76
	s_cbranch_execz .LBB1937_47
.LBB1937_62:                            ;   in Loop: Header=BB1937_16 Depth=2
	v_cmp_gt_i16_e32 vcc_lo, 0, v29
	v_cndmask_b32_e64 v39, 0x7fff, 0, vcc_lo
	s_delay_alu instid0(VALU_DEP_1) | instskip(NEXT) | instid1(VALU_DEP_1)
	v_xor_b32_e32 v39, v39, v29
	v_cmp_ne_u16_e32 vcc_lo, 0x8000, v39
	v_cndmask_b32_e32 v39, 0x7fff, v39, vcc_lo
	s_delay_alu instid0(VALU_DEP_1) | instskip(NEXT) | instid1(VALU_DEP_1)
	v_and_b32_e32 v39, 0xffff, v39
	v_lshrrev_b32_e32 v39, s48, v39
	s_delay_alu instid0(VALU_DEP_1) | instskip(NEXT) | instid1(VALU_DEP_1)
	v_and_b32_e32 v39, s52, v39
	v_lshl_or_b32 v39, v39, 4, v83
	ds_add_u32 v39, v96
	s_or_b32 exec_lo, exec_lo, s9
	s_delay_alu instid0(SALU_CYCLE_1)
	s_mov_b32 s9, exec_lo
	v_cmpx_gt_u32_e64 s8, v77
	s_cbranch_execz .LBB1937_48
.LBB1937_63:                            ;   in Loop: Header=BB1937_16 Depth=2
	v_cmp_gt_i16_e32 vcc_lo, 0, v28
	v_cndmask_b32_e64 v39, 0x7fff, 0, vcc_lo
	s_delay_alu instid0(VALU_DEP_1) | instskip(NEXT) | instid1(VALU_DEP_1)
	v_xor_b32_e32 v39, v39, v28
	v_cmp_ne_u16_e32 vcc_lo, 0x8000, v39
	v_cndmask_b32_e32 v39, 0x7fff, v39, vcc_lo
	s_delay_alu instid0(VALU_DEP_1) | instskip(NEXT) | instid1(VALU_DEP_1)
	v_and_b32_e32 v39, 0xffff, v39
	v_lshrrev_b32_e32 v39, s48, v39
	s_delay_alu instid0(VALU_DEP_1) | instskip(NEXT) | instid1(VALU_DEP_1)
	v_and_b32_e32 v39, s52, v39
	v_lshl_or_b32 v39, v39, 4, v83
	ds_add_u32 v39, v96
	s_or_b32 exec_lo, exec_lo, s9
	s_delay_alu instid0(SALU_CYCLE_1)
	s_mov_b32 s9, exec_lo
	v_cmpx_gt_u32_e64 s8, v78
	s_cbranch_execz .LBB1937_49
.LBB1937_64:                            ;   in Loop: Header=BB1937_16 Depth=2
	v_cmp_gt_i16_e32 vcc_lo, 0, v27
	v_cndmask_b32_e64 v39, 0x7fff, 0, vcc_lo
	s_delay_alu instid0(VALU_DEP_1) | instskip(NEXT) | instid1(VALU_DEP_1)
	v_xor_b32_e32 v39, v39, v27
	v_cmp_ne_u16_e32 vcc_lo, 0x8000, v39
	v_cndmask_b32_e32 v39, 0x7fff, v39, vcc_lo
	s_delay_alu instid0(VALU_DEP_1) | instskip(NEXT) | instid1(VALU_DEP_1)
	v_and_b32_e32 v39, 0xffff, v39
	v_lshrrev_b32_e32 v39, s48, v39
	s_delay_alu instid0(VALU_DEP_1) | instskip(NEXT) | instid1(VALU_DEP_1)
	v_and_b32_e32 v39, s52, v39
	v_lshl_or_b32 v39, v39, 4, v83
	ds_add_u32 v39, v96
	s_or_b32 exec_lo, exec_lo, s9
	s_delay_alu instid0(SALU_CYCLE_1)
	s_mov_b32 s9, exec_lo
	v_cmpx_gt_u32_e64 s8, v79
	s_cbranch_execz .LBB1937_50
.LBB1937_65:                            ;   in Loop: Header=BB1937_16 Depth=2
	v_cmp_gt_i16_e32 vcc_lo, 0, v26
	v_cndmask_b32_e64 v39, 0x7fff, 0, vcc_lo
	s_delay_alu instid0(VALU_DEP_1) | instskip(NEXT) | instid1(VALU_DEP_1)
	v_xor_b32_e32 v39, v39, v26
	v_cmp_ne_u16_e32 vcc_lo, 0x8000, v39
	v_cndmask_b32_e32 v39, 0x7fff, v39, vcc_lo
	s_delay_alu instid0(VALU_DEP_1) | instskip(NEXT) | instid1(VALU_DEP_1)
	v_and_b32_e32 v39, 0xffff, v39
	v_lshrrev_b32_e32 v39, s48, v39
	s_delay_alu instid0(VALU_DEP_1) | instskip(NEXT) | instid1(VALU_DEP_1)
	v_and_b32_e32 v39, s52, v39
	v_lshl_or_b32 v39, v39, 4, v83
	ds_add_u32 v39, v96
	s_or_b32 exec_lo, exec_lo, s9
	s_delay_alu instid0(SALU_CYCLE_1)
	s_mov_b32 s9, exec_lo
	v_cmpx_gt_u32_e64 s8, v80
	s_cbranch_execz .LBB1937_51
.LBB1937_66:                            ;   in Loop: Header=BB1937_16 Depth=2
	v_cmp_gt_i16_e32 vcc_lo, 0, v25
	v_cndmask_b32_e64 v39, 0x7fff, 0, vcc_lo
	s_delay_alu instid0(VALU_DEP_1) | instskip(NEXT) | instid1(VALU_DEP_1)
	v_xor_b32_e32 v39, v39, v25
	v_cmp_ne_u16_e32 vcc_lo, 0x8000, v39
	v_cndmask_b32_e32 v39, 0x7fff, v39, vcc_lo
	s_delay_alu instid0(VALU_DEP_1) | instskip(NEXT) | instid1(VALU_DEP_1)
	v_and_b32_e32 v39, 0xffff, v39
	v_lshrrev_b32_e32 v39, s48, v39
	s_delay_alu instid0(VALU_DEP_1) | instskip(NEXT) | instid1(VALU_DEP_1)
	v_and_b32_e32 v39, s52, v39
	v_lshl_or_b32 v39, v39, 4, v83
	ds_add_u32 v39, v96
	s_or_b32 exec_lo, exec_lo, s9
	s_delay_alu instid0(SALU_CYCLE_1)
	s_mov_b32 s9, exec_lo
	v_cmpx_gt_u32_e64 s8, v81
	s_cbranch_execz .LBB1937_52
.LBB1937_67:                            ;   in Loop: Header=BB1937_16 Depth=2
	v_cmp_gt_i16_e32 vcc_lo, 0, v24
	v_cndmask_b32_e64 v39, 0x7fff, 0, vcc_lo
	s_delay_alu instid0(VALU_DEP_1) | instskip(NEXT) | instid1(VALU_DEP_1)
	v_xor_b32_e32 v39, v39, v24
	v_cmp_ne_u16_e32 vcc_lo, 0x8000, v39
	v_cndmask_b32_e32 v39, 0x7fff, v39, vcc_lo
	s_delay_alu instid0(VALU_DEP_1) | instskip(NEXT) | instid1(VALU_DEP_1)
	v_and_b32_e32 v39, 0xffff, v39
	v_lshrrev_b32_e32 v39, s48, v39
	s_delay_alu instid0(VALU_DEP_1) | instskip(NEXT) | instid1(VALU_DEP_1)
	v_and_b32_e32 v39, s52, v39
	v_lshl_or_b32 v39, v39, 4, v83
	ds_add_u32 v39, v96
	s_or_b32 exec_lo, exec_lo, s9
	v_cmp_gt_u32_e32 vcc_lo, s8, v82
	s_and_saveexec_b32 s8, vcc_lo
	s_cbranch_execz .LBB1937_15
.LBB1937_68:                            ;   in Loop: Header=BB1937_16 Depth=2
	v_cmp_gt_i16_e32 vcc_lo, 0, v23
	v_cndmask_b32_e64 v39, 0x7fff, 0, vcc_lo
	s_delay_alu instid0(VALU_DEP_1) | instskip(NEXT) | instid1(VALU_DEP_1)
	v_xor_b32_e32 v39, v39, v23
	v_cmp_ne_u16_e32 vcc_lo, 0x8000, v39
	v_cndmask_b32_e32 v39, 0x7fff, v39, vcc_lo
	s_delay_alu instid0(VALU_DEP_1) | instskip(NEXT) | instid1(VALU_DEP_1)
	v_and_b32_e32 v39, 0xffff, v39
	v_lshrrev_b32_e32 v39, s48, v39
	s_delay_alu instid0(VALU_DEP_1) | instskip(NEXT) | instid1(VALU_DEP_1)
	v_and_b32_e32 v39, s52, v39
	v_lshl_or_b32 v39, v39, 4, v83
	ds_add_u32 v39, v96
	s_branch .LBB1937_15
.LBB1937_69:                            ;   in Loop: Header=BB1937_16 Depth=2
	global_load_u16 v38, v2, s[8:9] scale_offset
	s_wait_xcnt 0x0
	s_or_b32 exec_lo, exec_lo, s11
	s_delay_alu instid0(SALU_CYCLE_1)
	s_mov_b32 s11, exec_lo
	v_cmpx_gt_u32_e64 s7, v68
	s_cbranch_execz .LBB1937_21
.LBB1937_70:                            ;   in Loop: Header=BB1937_16 Depth=2
	global_load_u16 v37, v2, s[8:9] offset:512 scale_offset
	s_wait_xcnt 0x0
	s_or_b32 exec_lo, exec_lo, s11
	s_delay_alu instid0(SALU_CYCLE_1)
	s_mov_b32 s11, exec_lo
	v_cmpx_gt_u32_e64 s7, v69
	s_cbranch_execz .LBB1937_22
.LBB1937_71:                            ;   in Loop: Header=BB1937_16 Depth=2
	global_load_u16 v36, v2, s[8:9] offset:1024 scale_offset
	s_wait_xcnt 0x0
	s_or_b32 exec_lo, exec_lo, s11
	s_delay_alu instid0(SALU_CYCLE_1)
	s_mov_b32 s11, exec_lo
	v_cmpx_gt_u32_e64 s7, v70
	s_cbranch_execz .LBB1937_23
.LBB1937_72:                            ;   in Loop: Header=BB1937_16 Depth=2
	global_load_u16 v35, v2, s[8:9] offset:1536 scale_offset
	s_wait_xcnt 0x0
	s_or_b32 exec_lo, exec_lo, s11
	s_delay_alu instid0(SALU_CYCLE_1)
	s_mov_b32 s11, exec_lo
	v_cmpx_gt_u32_e64 s7, v71
	s_cbranch_execz .LBB1937_24
.LBB1937_73:                            ;   in Loop: Header=BB1937_16 Depth=2
	global_load_u16 v34, v2, s[8:9] offset:2048 scale_offset
	s_wait_xcnt 0x0
	s_or_b32 exec_lo, exec_lo, s11
	s_delay_alu instid0(SALU_CYCLE_1)
	s_mov_b32 s11, exec_lo
	v_cmpx_gt_u32_e64 s7, v72
	s_cbranch_execz .LBB1937_25
.LBB1937_74:                            ;   in Loop: Header=BB1937_16 Depth=2
	global_load_u16 v33, v2, s[8:9] offset:2560 scale_offset
	s_wait_xcnt 0x0
	s_or_b32 exec_lo, exec_lo, s11
	s_delay_alu instid0(SALU_CYCLE_1)
	s_mov_b32 s11, exec_lo
	v_cmpx_gt_u32_e64 s7, v73
	s_cbranch_execz .LBB1937_26
.LBB1937_75:                            ;   in Loop: Header=BB1937_16 Depth=2
	global_load_u16 v32, v2, s[8:9] offset:3072 scale_offset
	s_wait_xcnt 0x0
	s_or_b32 exec_lo, exec_lo, s11
	s_delay_alu instid0(SALU_CYCLE_1)
	s_mov_b32 s11, exec_lo
	v_cmpx_gt_u32_e64 s7, v74
	s_cbranch_execz .LBB1937_27
.LBB1937_76:                            ;   in Loop: Header=BB1937_16 Depth=2
	global_load_u16 v31, v2, s[8:9] offset:3584 scale_offset
	s_wait_xcnt 0x0
	s_or_b32 exec_lo, exec_lo, s11
	s_delay_alu instid0(SALU_CYCLE_1)
	s_mov_b32 s11, exec_lo
	v_cmpx_gt_u32_e64 s7, v75
	s_cbranch_execz .LBB1937_28
.LBB1937_77:                            ;   in Loop: Header=BB1937_16 Depth=2
	global_load_u16 v30, v2, s[8:9] offset:4096 scale_offset
	s_wait_xcnt 0x0
	s_or_b32 exec_lo, exec_lo, s11
	s_delay_alu instid0(SALU_CYCLE_1)
	s_mov_b32 s11, exec_lo
	v_cmpx_gt_u32_e64 s7, v76
	s_cbranch_execz .LBB1937_29
.LBB1937_78:                            ;   in Loop: Header=BB1937_16 Depth=2
	global_load_u16 v29, v2, s[8:9] offset:4608 scale_offset
	s_wait_xcnt 0x0
	s_or_b32 exec_lo, exec_lo, s11
	s_delay_alu instid0(SALU_CYCLE_1)
	s_mov_b32 s11, exec_lo
	v_cmpx_gt_u32_e64 s7, v77
	s_cbranch_execz .LBB1937_30
.LBB1937_79:                            ;   in Loop: Header=BB1937_16 Depth=2
	global_load_u16 v28, v2, s[8:9] offset:5120 scale_offset
	s_wait_xcnt 0x0
	s_or_b32 exec_lo, exec_lo, s11
	s_delay_alu instid0(SALU_CYCLE_1)
	s_mov_b32 s11, exec_lo
	v_cmpx_gt_u32_e64 s7, v78
	s_cbranch_execz .LBB1937_31
.LBB1937_80:                            ;   in Loop: Header=BB1937_16 Depth=2
	global_load_u16 v27, v2, s[8:9] offset:5632 scale_offset
	s_wait_xcnt 0x0
	s_or_b32 exec_lo, exec_lo, s11
	s_delay_alu instid0(SALU_CYCLE_1)
	s_mov_b32 s11, exec_lo
	v_cmpx_gt_u32_e64 s7, v79
	s_cbranch_execz .LBB1937_32
.LBB1937_81:                            ;   in Loop: Header=BB1937_16 Depth=2
	global_load_u16 v26, v2, s[8:9] offset:6144 scale_offset
	s_wait_xcnt 0x0
	s_or_b32 exec_lo, exec_lo, s11
	s_delay_alu instid0(SALU_CYCLE_1)
	s_mov_b32 s11, exec_lo
	v_cmpx_gt_u32_e64 s7, v80
	s_cbranch_execz .LBB1937_33
.LBB1937_82:                            ;   in Loop: Header=BB1937_16 Depth=2
	global_load_u16 v25, v2, s[8:9] offset:6656 scale_offset
	s_wait_xcnt 0x0
	s_or_b32 exec_lo, exec_lo, s11
	s_delay_alu instid0(SALU_CYCLE_1)
	s_mov_b32 s11, exec_lo
	v_cmpx_gt_u32_e64 s7, v81
	s_cbranch_execz .LBB1937_34
.LBB1937_83:                            ;   in Loop: Header=BB1937_16 Depth=2
	global_load_u16 v24, v2, s[8:9] offset:7168 scale_offset
	s_wait_xcnt 0x0
	s_or_b32 exec_lo, exec_lo, s11
	s_delay_alu instid0(SALU_CYCLE_1)
	s_mov_b32 s11, exec_lo
	v_cmpx_gt_u32_e64 s7, v82
	s_cbranch_execnz .LBB1937_35
	s_branch .LBB1937_36
.LBB1937_84:                            ;   in Loop: Header=BB1937_12 Depth=1
	v_mov_b32_e32 v23, 0
	s_wait_dscnt 0x0
	s_barrier_signal -1
	s_barrier_wait -1
	s_and_saveexec_b32 s7, s0
	s_cbranch_execz .LBB1937_86
; %bb.85:                               ;   in Loop: Header=BB1937_12 Depth=1
	ds_load_2addr_b64 v[24:27], v85 offset1:1
	s_wait_dscnt 0x0
	v_add_nc_u32_e32 v23, v25, v24
	s_delay_alu instid0(VALU_DEP_1)
	v_add3_u32 v23, v23, v26, v27
.LBB1937_86:                            ;   in Loop: Header=BB1937_12 Depth=1
	s_or_b32 exec_lo, exec_lo, s7
	s_delay_alu instid0(VALU_DEP_1)
	v_mov_b32_dpp v24, v23 row_shr:1 row_mask:0xf bank_mask:0xf
	v_cmp_eq_u32_e64 s7, 0, v97
	v_cmp_lt_u32_e64 s8, 1, v97
	v_cmp_lt_u32_e64 s9, 3, v97
	;; [unrolled: 1-line block ×3, first 2 shown]
	v_cmp_eq_u32_e64 s11, 0, v99
	v_cndmask_b32_e64 v24, v24, 0, s7
	s_delay_alu instid0(VALU_DEP_1) | instskip(NEXT) | instid1(VALU_DEP_1)
	v_add_nc_u32_e32 v23, v24, v23
	v_mov_b32_dpp v24, v23 row_shr:2 row_mask:0xf bank_mask:0xf
	s_delay_alu instid0(VALU_DEP_1) | instskip(NEXT) | instid1(VALU_DEP_1)
	v_cndmask_b32_e64 v24, 0, v24, s8
	v_add_nc_u32_e32 v23, v23, v24
	s_delay_alu instid0(VALU_DEP_1) | instskip(NEXT) | instid1(VALU_DEP_1)
	v_mov_b32_dpp v24, v23 row_shr:4 row_mask:0xf bank_mask:0xf
	v_cndmask_b32_e64 v24, 0, v24, s9
	s_delay_alu instid0(VALU_DEP_1) | instskip(NEXT) | instid1(VALU_DEP_1)
	v_add_nc_u32_e32 v23, v23, v24
	v_mov_b32_dpp v24, v23 row_shr:8 row_mask:0xf bank_mask:0xf
	s_delay_alu instid0(VALU_DEP_1) | instskip(NEXT) | instid1(VALU_DEP_1)
	v_cndmask_b32_e64 v24, 0, v24, s10
	v_add_nc_u32_e32 v23, v23, v24
	ds_swizzle_b32 v24, v23 offset:swizzle(BROADCAST,32,15)
	s_wait_dscnt 0x0
	v_and_b32_e32 v24, v98, v24
	s_delay_alu instid0(VALU_DEP_1)
	v_add_nc_u32_e32 v23, v23, v24
	s_and_saveexec_b32 s12, s1
; %bb.87:                               ;   in Loop: Header=BB1937_12 Depth=1
	ds_store_b32 v86, v23
; %bb.88:                               ;   in Loop: Header=BB1937_12 Depth=1
	s_or_b32 exec_lo, exec_lo, s12
	s_wait_dscnt 0x0
	s_barrier_signal -1
	s_barrier_wait -1
	s_and_saveexec_b32 s12, s4
	s_cbranch_execz .LBB1937_90
; %bb.89:                               ;   in Loop: Header=BB1937_12 Depth=1
	ds_load_b32 v24, v87
	v_cmp_ne_u32_e32 vcc_lo, 0, v101
	s_wait_dscnt 0x0
	v_mov_b32_dpp v25, v24 row_shr:1 row_mask:0xf bank_mask:0xf
	s_delay_alu instid0(VALU_DEP_1) | instskip(SKIP_1) | instid1(VALU_DEP_2)
	v_cndmask_b32_e32 v25, 0, v25, vcc_lo
	v_cmp_lt_u32_e32 vcc_lo, 1, v101
	v_add_nc_u32_e32 v24, v25, v24
	s_delay_alu instid0(VALU_DEP_1) | instskip(NEXT) | instid1(VALU_DEP_1)
	v_mov_b32_dpp v25, v24 row_shr:2 row_mask:0xf bank_mask:0xf
	v_cndmask_b32_e32 v25, 0, v25, vcc_lo
	v_cmp_lt_u32_e32 vcc_lo, 3, v101
	s_delay_alu instid0(VALU_DEP_2) | instskip(NEXT) | instid1(VALU_DEP_1)
	v_add_nc_u32_e32 v24, v24, v25
	v_mov_b32_dpp v25, v24 row_shr:4 row_mask:0xf bank_mask:0xf
	s_delay_alu instid0(VALU_DEP_1) | instskip(NEXT) | instid1(VALU_DEP_1)
	v_cndmask_b32_e32 v25, 0, v25, vcc_lo
	v_add_nc_u32_e32 v24, v24, v25
	ds_store_b32 v87, v24
.LBB1937_90:                            ;   in Loop: Header=BB1937_12 Depth=1
	s_or_b32 exec_lo, exec_lo, s12
	v_mov_b32_e32 v24, 0
	s_wait_dscnt 0x0
	s_barrier_signal -1
	s_barrier_wait -1
	s_and_saveexec_b32 s12, s5
; %bb.91:                               ;   in Loop: Header=BB1937_12 Depth=1
	ds_load_b32 v24, v88
; %bb.92:                               ;   in Loop: Header=BB1937_12 Depth=1
	s_or_b32 exec_lo, exec_lo, s12
	v_cmp_gt_i32_e32 vcc_lo, 0, v102
	s_wait_dscnt 0x0
	s_barrier_signal -1
	s_barrier_wait -1
	v_cndmask_b32_e32 v25, v102, v95, vcc_lo
	s_delay_alu instid0(VALU_DEP_1)
	v_dual_add_nc_u32 v23, v24, v23 :: v_dual_lshlrev_b32 v122, 2, v25
	ds_bpermute_b32 v23, v122, v23
	s_and_saveexec_b32 s12, s0
	s_cbranch_execz .LBB1937_94
; %bb.93:                               ;   in Loop: Header=BB1937_12 Depth=1
	s_wait_dscnt 0x0
	v_cndmask_b32_e64 v23, v23, v24, s6
	s_delay_alu instid0(VALU_DEP_1)
	v_add_nc_u32_e32 v23, s54, v23
	ds_store_b32 v3, v23
.LBB1937_94:                            ;   in Loop: Header=BB1937_12 Depth=1
	s_or_b32 exec_lo, exec_lo, s12
	s_clause 0x1
	s_load_b32 s12, s[34:35], 0x4
	s_load_b32 s14, s[34:35], 0xc
	s_mov_b32 s53, s56
                                        ; implicit-def: $vgpr30_vgpr31
                                        ; implicit-def: $vgpr32_vgpr33
                                        ; implicit-def: $vgpr34_vgpr35
                                        ; implicit-def: $vgpr36_vgpr37
                                        ; implicit-def: $vgpr38_vgpr39
                                        ; implicit-def: $vgpr40_vgpr41
                                        ; implicit-def: $vgpr42_vgpr43
                                        ; implicit-def: $vgpr44_vgpr45
                                        ; implicit-def: $vgpr46_vgpr47
                                        ; implicit-def: $vgpr48_vgpr49
                                        ; implicit-def: $vgpr50_vgpr51
                                        ; implicit-def: $vgpr52_vgpr53
                                        ; implicit-def: $vgpr54_vgpr55
                                        ; implicit-def: $vgpr56_vgpr57
                                        ; implicit-def: $vgpr58_vgpr59
                                        ; implicit-def: $vgpr123
                                        ; implicit-def: $vgpr124
                                        ; implicit-def: $vgpr125
                                        ; implicit-def: $vgpr126
                                        ; implicit-def: $vgpr127
                                        ; implicit-def: $vgpr128
                                        ; implicit-def: $vgpr129
                                        ; implicit-def: $vgpr130
                                        ; implicit-def: $vgpr131
                                        ; implicit-def: $vgpr132
                                        ; implicit-def: $vgpr133
                                        ; implicit-def: $vgpr134
                                        ; implicit-def: $vgpr135
                                        ; implicit-def: $vgpr136
                                        ; implicit-def: $vgpr137
                                        ; implicit-def: $vgpr138
	s_wait_kmcnt 0x0
	s_cmp_lt_u32 s31, s12
	s_cselect_b32 s42, 14, 20
	s_delay_alu instid0(SALU_CYCLE_1)
	s_add_nc_u64 s[12:13], s[34:35], s[42:43]
	s_mov_b32 s42, s54
	s_load_u16 s12, s[12:13], 0x0
	s_wait_xcnt 0x0
	v_cmp_lt_u32_e64 s13, 1, v101
	s_wait_dscnt 0x0
	s_wait_kmcnt 0x0
	v_mad_u32_u24 v23, v89, s12, v90
	s_and_b32 s12, s14, 0xffff
	v_cmp_lt_u32_e64 s14, 3, v101
	s_delay_alu instid0(VALU_DEP_2) | instskip(SKIP_2) | instid1(VALU_DEP_3)
	v_mad_u32 v24, v23, s12, v2
	v_mov_b32_e32 v23, v5
	v_cmp_eq_u32_e64 s12, 0, v101
	v_lshrrev_b32_e32 v28, 3, v24
	v_add_nc_u64_e32 v[24:25], v[0:1], v[4:5]
	s_delay_alu instid0(VALU_DEP_4) | instskip(NEXT) | instid1(VALU_DEP_3)
	v_add_nc_u64_e32 v[26:27], v[8:9], v[22:23]
	v_and_b32_e32 v23, 0x1ffffffc, v28
                                        ; implicit-def: $vgpr28_vgpr29
	s_branch .LBB1937_96
.LBB1937_95:                            ;   in Loop: Header=BB1937_96 Depth=2
	s_or_b32 exec_lo, exec_lo, s15
	s_addk_co_i32 s53, 0xf000
	s_cmp_lt_u32 s57, s51
	s_mov_b32 s42, s57
	s_cbranch_scc0 .LBB1937_304
.LBB1937_96:                            ;   Parent Loop BB1937_12 Depth=1
                                        ; =>  This Inner Loop Header: Depth=2
	s_add_co_i32 s57, s42, 0x1000
	s_delay_alu instid0(SALU_CYCLE_1)
	s_cmp_gt_u32 s57, s51
	s_cbranch_scc1 .LBB1937_98
; %bb.97:                               ;   in Loop: Header=BB1937_96 Depth=2
	s_delay_alu instid0(VALU_DEP_2)
	v_lshl_add_u64 v[60:61], s[42:43], 1, v[26:27]
	s_mov_b32 s15, -1
	s_clause 0xe
	global_load_u16 v140, v[60:61], off
	global_load_u16 v141, v[60:61], off offset:64
	global_load_u16 v144, v[60:61], off offset:128
	;; [unrolled: 1-line block ×14, first 2 shown]
	s_movk_i32 s16, 0x1000
	s_cbranch_execz .LBB1937_99
	s_branch .LBB1937_130
.LBB1937_98:                            ;   in Loop: Header=BB1937_96 Depth=2
	s_mov_b32 s15, 0
                                        ; implicit-def: $vgpr140
                                        ; implicit-def: $vgpr141
                                        ; implicit-def: $vgpr144
                                        ; implicit-def: $vgpr148
                                        ; implicit-def: $vgpr152
                                        ; implicit-def: $vgpr156
                                        ; implicit-def: $vgpr160
                                        ; implicit-def: $vgpr164
                                        ; implicit-def: $vgpr168
                                        ; implicit-def: $vgpr67
                                        ; implicit-def: $vgpr66
                                        ; implicit-def: $vgpr65
                                        ; implicit-def: $vgpr64
                                        ; implicit-def: $vgpr63
                                        ; implicit-def: $vgpr62
	s_movk_i32 s16, 0x1000
.LBB1937_99:                            ;   in Loop: Header=BB1937_96 Depth=2
	s_wait_xcnt 0x0
	v_lshl_add_u64 v[60:61], s[42:43], 1, v[26:27]
	s_wait_loadcnt 0xd
	v_dual_mov_b32 v141, -1 :: v_dual_mov_b32 v140, -1
	s_mov_b32 s15, exec_lo
	v_cmpx_gt_u32_e64 s53, v100
	s_cbranch_execz .LBB1937_101
; %bb.100:                              ;   in Loop: Header=BB1937_96 Depth=2
	global_load_u16 v140, v[60:61], off
.LBB1937_101:                           ;   in Loop: Header=BB1937_96 Depth=2
	s_wait_xcnt 0x0
	s_or_b32 exec_lo, exec_lo, s15
	s_delay_alu instid0(SALU_CYCLE_1)
	s_mov_b32 s15, exec_lo
	v_cmpx_gt_u32_e64 s53, v103
	s_cbranch_execz .LBB1937_103
; %bb.102:                              ;   in Loop: Header=BB1937_96 Depth=2
	global_load_u16 v141, v[60:61], off offset:64
.LBB1937_103:                           ;   in Loop: Header=BB1937_96 Depth=2
	s_wait_xcnt 0x0
	s_or_b32 exec_lo, exec_lo, s15
	s_wait_loadcnt 0xb
	v_dual_mov_b32 v148, -1 :: v_dual_mov_b32 v144, -1
	s_mov_b32 s15, exec_lo
	v_cmpx_gt_u32_e64 s53, v104
	s_cbranch_execz .LBB1937_105
; %bb.104:                              ;   in Loop: Header=BB1937_96 Depth=2
	global_load_u16 v144, v[60:61], off offset:128
.LBB1937_105:                           ;   in Loop: Header=BB1937_96 Depth=2
	s_wait_xcnt 0x0
	s_or_b32 exec_lo, exec_lo, s15
	s_delay_alu instid0(SALU_CYCLE_1)
	s_mov_b32 s15, exec_lo
	v_cmpx_gt_u32_e64 s53, v105
	s_cbranch_execz .LBB1937_107
; %bb.106:                              ;   in Loop: Header=BB1937_96 Depth=2
	global_load_u16 v148, v[60:61], off offset:192
.LBB1937_107:                           ;   in Loop: Header=BB1937_96 Depth=2
	s_wait_xcnt 0x0
	s_or_b32 exec_lo, exec_lo, s15
	s_wait_loadcnt 0x9
	v_dual_mov_b32 v156, -1 :: v_dual_mov_b32 v152, -1
	s_mov_b32 s15, exec_lo
	v_cmpx_gt_u32_e64 s53, v106
	s_cbranch_execz .LBB1937_109
; %bb.108:                              ;   in Loop: Header=BB1937_96 Depth=2
	global_load_u16 v152, v[60:61], off offset:256
.LBB1937_109:                           ;   in Loop: Header=BB1937_96 Depth=2
	;; [unrolled: 19-line block ×6, first 2 shown]
	s_wait_xcnt 0x0
	s_or_b32 exec_lo, exec_lo, s15
	s_delay_alu instid0(SALU_CYCLE_1)
	s_mov_b32 s15, exec_lo
	v_cmpx_gt_u32_e64 s53, v115
	s_cbranch_execz .LBB1937_127
; %bb.126:                              ;   in Loop: Header=BB1937_96 Depth=2
	global_load_u16 v63, v[60:61], off offset:832
.LBB1937_127:                           ;   in Loop: Header=BB1937_96 Depth=2
	s_wait_xcnt 0x0
	s_or_b32 exec_lo, exec_lo, s15
	s_wait_loadcnt 0x0
	v_mov_b32_e32 v62, -1
	s_mov_b32 s15, exec_lo
	v_cmpx_gt_u32_e64 s53, v116
	s_cbranch_execz .LBB1937_129
; %bb.128:                              ;   in Loop: Header=BB1937_96 Depth=2
	global_load_u16 v62, v[60:61], off offset:896
.LBB1937_129:                           ;   in Loop: Header=BB1937_96 Depth=2
	s_wait_xcnt 0x0
	s_or_b32 exec_lo, exec_lo, s15
	v_cmp_gt_u32_e64 s15, s53, v117
	s_sub_co_i32 s16, s51, s42
.LBB1937_130:                           ;   in Loop: Header=BB1937_96 Depth=2
	s_wait_xcnt 0x0
	v_dual_mov_b32 v60, -1 :: v_dual_mov_b32 v139, s53
	s_and_saveexec_b32 s17, s15
	s_cbranch_execz .LBB1937_132
; %bb.131:                              ;   in Loop: Header=BB1937_96 Depth=2
	v_lshl_add_u64 v[60:61], s[42:43], 1, v[26:27]
	v_mov_b32_e32 v139, s16
	global_load_u16 v60, v[60:61], off offset:960
.LBB1937_132:                           ;   in Loop: Header=BB1937_96 Depth=2
	s_wait_xcnt 0x0
	s_or_b32 exec_lo, exec_lo, s17
	s_wait_loadcnt 0xe
	v_cmp_gt_i16_e64 vcc_lo, 0, v140
	ds_store_2addr_b32 v121, v5, v5 offset1:1
	ds_store_2addr_b32 v118, v5, v5 offset1:1
	;; [unrolled: 1-line block ×4, first 2 shown]
	ds_store_b32 v91, v5 offset:1088
	s_wait_loadcnt_dscnt 0x0
	s_barrier_signal -1
	v_cndmask_b32_e64 v61, 0x7fff, 0, vcc_lo
	s_barrier_wait -1
	; wave barrier
	s_delay_alu instid0(VALU_DEP_1) | instskip(NEXT) | instid1(VALU_DEP_1)
	v_xor_b32_e32 v140, v61, v140
	v_cmp_ne_u16_e64 vcc_lo, 0x8000, v140
	v_cndmask_b32_e32 v61, 0x7fff, v140, vcc_lo
	s_delay_alu instid0(VALU_DEP_1) | instskip(NEXT) | instid1(VALU_DEP_1)
	v_and_b32_e32 v61, 0xffff, v61
	v_lshrrev_b32_e32 v61, s48, v61
	s_delay_alu instid0(VALU_DEP_1) | instskip(SKIP_1) | instid1(VALU_DEP_2)
	v_bitop3_b32 v142, v61, 1, s52 bitop3:0x80
	v_and_b32_e32 v143, s52, v61
	v_add_co_u32 v61, s15, v142, -1
	s_delay_alu instid0(VALU_DEP_1) | instskip(NEXT) | instid1(VALU_DEP_3)
	v_cndmask_b32_e64 v142, 0, 1, s15
	v_lshlrev_b32_e32 v145, 30, v143
	s_delay_alu instid0(VALU_DEP_2) | instskip(NEXT) | instid1(VALU_DEP_2)
	v_cmp_ne_u32_e32 vcc_lo, 0, v142
	v_not_b32_e32 v142, v145
	s_delay_alu instid0(VALU_DEP_1) | instskip(SKIP_3) | instid1(VALU_DEP_4)
	v_dual_ashrrev_i32 v142, 31, v142 :: v_dual_lshlrev_b32 v146, 29, v143
	v_dual_lshlrev_b32 v147, 28, v143 :: v_dual_lshlrev_b32 v149, 27, v143
	v_lshlrev_b32_e32 v150, 26, v143
	v_cmp_gt_i32_e64 s15, 0, v145
	v_cmp_gt_i32_e64 s16, 0, v146
	v_not_b32_e32 v145, v146
	v_not_b32_e32 v146, v147
	v_dual_lshlrev_b32 v151, 25, v143 :: v_dual_lshlrev_b32 v153, 24, v143
	v_cmp_gt_i32_e64 s17, 0, v147
	v_cmp_gt_i32_e64 s18, 0, v149
	v_not_b32_e32 v147, v149
	v_not_b32_e32 v149, v150
	v_dual_ashrrev_i32 v146, 31, v146 :: v_dual_bitop2_b32 v61, vcc_lo, v61 bitop3:0x14
	v_dual_ashrrev_i32 v145, 31, v145 :: v_dual_bitop2_b32 v142, s15, v142 bitop3:0x14
	v_cmp_gt_i32_e64 s19, 0, v150
	v_cmp_gt_i32_e64 s20, 0, v151
	v_not_b32_e32 v150, v151
	v_not_b32_e32 v151, v153
	v_dual_ashrrev_i32 v147, 31, v147 :: v_dual_ashrrev_i32 v149, 31, v149
	v_xor_b32_e32 v145, s16, v145
	v_xor_b32_e32 v146, s17, v146
	v_bitop3_b32 v61, v61, v142, exec_lo bitop3:0x80
	v_cmp_gt_i32_e64 s21, 0, v153
	v_dual_ashrrev_i32 v142, 31, v150 :: v_dual_ashrrev_i32 v150, 31, v151
	v_xor_b32_e32 v147, s18, v147
	s_delay_alu instid0(VALU_DEP_4) | instskip(SKIP_3) | instid1(VALU_DEP_3)
	v_bitop3_b32 v61, v61, v146, v145 bitop3:0x80
	v_mul_u32_u24_e32 v143, 36, v143
	v_xor_b32_e32 v149, s19, v149
	v_xor_b32_e32 v142, s20, v142
	v_dual_add_nc_u32 v143, v23, v143 :: v_dual_bitop2_b32 v145, s21, v150 bitop3:0x14
	s_delay_alu instid0(VALU_DEP_3) | instskip(NEXT) | instid1(VALU_DEP_1)
	v_bitop3_b32 v61, v61, v149, v147 bitop3:0x80
	v_bitop3_b32 v61, v61, v145, v142 bitop3:0x80
	s_delay_alu instid0(VALU_DEP_1) | instskip(SKIP_1) | instid1(VALU_DEP_2)
	v_mbcnt_lo_u32_b32 v142, v61, 0
	v_cmp_ne_u32_e64 s15, 0, v61
	v_cmp_eq_u32_e32 vcc_lo, 0, v142
	s_and_b32 s16, s15, vcc_lo
	s_delay_alu instid0(SALU_CYCLE_1)
	s_and_saveexec_b32 s15, s16
; %bb.133:                              ;   in Loop: Header=BB1937_96 Depth=2
	v_bcnt_u32_b32 v61, v61, 0
	ds_store_b32 v143, v61 offset:1056
; %bb.134:                              ;   in Loop: Header=BB1937_96 Depth=2
	s_or_b32 exec_lo, exec_lo, s15
	v_cmp_gt_i16_e64 vcc_lo, 0, v141
	; wave barrier
	s_delay_alu instid0(VALU_DEP_1) | instskip(NEXT) | instid1(VALU_DEP_1)
	v_cndmask_b32_e64 v61, 0x7fff, 0, vcc_lo
	v_xor_b32_e32 v141, v61, v141
	s_delay_alu instid0(VALU_DEP_1) | instskip(SKIP_1) | instid1(VALU_DEP_1)
	v_cmp_ne_u16_e64 vcc_lo, 0x8000, v141
	v_cndmask_b32_e32 v61, 0x7fff, v141, vcc_lo
	v_and_b32_e32 v61, 0xffff, v61
	s_delay_alu instid0(VALU_DEP_1) | instskip(NEXT) | instid1(VALU_DEP_1)
	v_lshrrev_b32_e32 v61, s48, v61
	v_and_b32_e32 v147, s52, v61
	s_delay_alu instid0(VALU_DEP_1) | instskip(SKIP_2) | instid1(VALU_DEP_3)
	v_lshlrev_b32_e32 v149, 29, v147
	v_bitop3_b32 v145, v61, 1, s52 bitop3:0x80
	v_lshlrev_b32_e32 v146, 30, v147
	v_cmp_gt_i32_e64 s16, 0, v149
	s_delay_alu instid0(VALU_DEP_3) | instskip(NEXT) | instid1(VALU_DEP_1)
	v_add_co_u32 v61, s15, v145, -1
	v_cndmask_b32_e64 v145, 0, 1, s15
	s_delay_alu instid0(VALU_DEP_4) | instskip(NEXT) | instid1(VALU_DEP_2)
	v_cmp_gt_i32_e64 s15, 0, v146
	v_cmp_ne_u32_e32 vcc_lo, 0, v145
	v_not_b32_e32 v145, v146
	v_not_b32_e32 v146, v149
	s_delay_alu instid0(VALU_DEP_1) | instskip(SKIP_2) | instid1(VALU_DEP_3)
	v_dual_ashrrev_i32 v146, 31, v146 :: v_dual_lshlrev_b32 v150, 28, v147
	v_dual_lshlrev_b32 v151, 27, v147 :: v_dual_lshlrev_b32 v153, 26, v147
	v_dual_lshlrev_b32 v154, 25, v147 :: v_dual_lshlrev_b32 v155, 24, v147
	v_cmp_gt_i32_e64 s17, 0, v150
	v_not_b32_e32 v149, v150
	s_delay_alu instid0(VALU_DEP_4)
	v_not_b32_e32 v150, v151
	v_ashrrev_i32_e32 v145, 31, v145
	v_cmp_gt_i32_e64 s18, 0, v151
	v_cmp_gt_i32_e64 s19, 0, v153
	v_not_b32_e32 v151, v153
	v_cmp_gt_i32_e64 s20, 0, v154
	v_not_b32_e32 v153, v154
	v_not_b32_e32 v154, v155
	s_delay_alu instid0(VALU_DEP_4) | instskip(SKIP_3) | instid1(VALU_DEP_3)
	v_dual_ashrrev_i32 v151, 31, v151 :: v_dual_bitop2_b32 v61, vcc_lo, v61 bitop3:0x14
	v_dual_ashrrev_i32 v149, 31, v149 :: v_dual_bitop2_b32 v146, s16, v146 bitop3:0x14
	v_dual_ashrrev_i32 v150, 31, v150 :: v_dual_bitop2_b32 v145, s15, v145 bitop3:0x14
	v_cmp_gt_i32_e64 s21, 0, v155
	v_xor_b32_e32 v149, s17, v149
	v_xor_b32_e32 v151, s19, v151
	s_delay_alu instid0(VALU_DEP_4) | instskip(SKIP_2) | instid1(VALU_DEP_2)
	v_xor_b32_e32 v150, s18, v150
	v_bitop3_b32 v61, v61, v145, exec_lo bitop3:0x80
	v_dual_ashrrev_i32 v145, 31, v153 :: v_dual_ashrrev_i32 v153, 31, v154
	v_bitop3_b32 v61, v61, v149, v146 bitop3:0x80
	v_mad_u32_u24 v146, v147, 36, v23
	s_delay_alu instid0(VALU_DEP_3) | instskip(NEXT) | instid1(VALU_DEP_4)
	v_xor_b32_e32 v149, s20, v145
	v_xor_b32_e32 v153, s21, v153
	v_mul_u32_u24_e32 v147, 36, v147
	v_bitop3_b32 v61, v61, v151, v150 bitop3:0x80
	ds_load_b32 v145, v146 offset:1056
	; wave barrier
	v_add_nc_u32_e32 v147, v23, v147
	v_bitop3_b32 v61, v61, v153, v149 bitop3:0x80
	s_delay_alu instid0(VALU_DEP_1) | instskip(SKIP_1) | instid1(VALU_DEP_2)
	v_mbcnt_lo_u32_b32 v146, v61, 0
	v_cmp_ne_u32_e64 s15, 0, v61
	v_cmp_eq_u32_e32 vcc_lo, 0, v146
	s_and_b32 s16, s15, vcc_lo
	s_delay_alu instid0(SALU_CYCLE_1)
	s_and_saveexec_b32 s15, s16
	s_cbranch_execz .LBB1937_136
; %bb.135:                              ;   in Loop: Header=BB1937_96 Depth=2
	s_wait_dscnt 0x0
	v_bcnt_u32_b32 v61, v61, v145
	ds_store_b32 v147, v61 offset:1056
.LBB1937_136:                           ;   in Loop: Header=BB1937_96 Depth=2
	s_or_b32 exec_lo, exec_lo, s15
	v_cmp_gt_i16_e64 vcc_lo, 0, v144
	; wave barrier
	s_delay_alu instid0(VALU_DEP_1) | instskip(NEXT) | instid1(VALU_DEP_1)
	v_cndmask_b32_e64 v61, 0x7fff, 0, vcc_lo
	v_xor_b32_e32 v144, v61, v144
	s_delay_alu instid0(VALU_DEP_1) | instskip(SKIP_1) | instid1(VALU_DEP_1)
	v_cmp_ne_u16_e64 vcc_lo, 0x8000, v144
	v_cndmask_b32_e32 v61, 0x7fff, v144, vcc_lo
	v_and_b32_e32 v61, 0xffff, v61
	s_delay_alu instid0(VALU_DEP_1) | instskip(NEXT) | instid1(VALU_DEP_1)
	v_lshrrev_b32_e32 v61, s48, v61
	v_bitop3_b32 v149, v61, 1, s52 bitop3:0x80
	v_and_b32_e32 v151, s52, v61
	s_delay_alu instid0(VALU_DEP_2) | instskip(NEXT) | instid1(VALU_DEP_1)
	v_add_co_u32 v61, s15, v149, -1
	v_cndmask_b32_e64 v149, 0, 1, s15
	s_delay_alu instid0(VALU_DEP_3) | instskip(NEXT) | instid1(VALU_DEP_2)
	v_dual_lshlrev_b32 v150, 30, v151 :: v_dual_lshlrev_b32 v153, 29, v151
	v_cmp_ne_u32_e32 vcc_lo, 0, v149
	s_delay_alu instid0(VALU_DEP_2) | instskip(SKIP_1) | instid1(VALU_DEP_4)
	v_cmp_gt_i32_e64 s15, 0, v150
	v_not_b32_e32 v149, v150
	v_not_b32_e32 v150, v153
	s_delay_alu instid0(VALU_DEP_1) | instskip(SKIP_3) | instid1(VALU_DEP_4)
	v_dual_ashrrev_i32 v150, 31, v150 :: v_dual_lshlrev_b32 v154, 28, v151
	v_dual_lshlrev_b32 v155, 27, v151 :: v_dual_lshlrev_b32 v157, 26, v151
	v_dual_lshlrev_b32 v158, 25, v151 :: v_dual_lshlrev_b32 v159, 24, v151
	v_cmp_gt_i32_e64 s16, 0, v153
	v_cmp_gt_i32_e64 s17, 0, v154
	v_not_b32_e32 v153, v154
	v_not_b32_e32 v154, v155
	v_ashrrev_i32_e32 v149, 31, v149
	v_cmp_gt_i32_e64 s18, 0, v155
	v_cmp_gt_i32_e64 s19, 0, v157
	v_not_b32_e32 v155, v157
	v_cmp_gt_i32_e64 s20, 0, v158
	v_not_b32_e32 v157, v158
	v_not_b32_e32 v158, v159
	s_delay_alu instid0(VALU_DEP_4) | instskip(SKIP_3) | instid1(VALU_DEP_3)
	v_dual_ashrrev_i32 v155, 31, v155 :: v_dual_bitop2_b32 v61, vcc_lo, v61 bitop3:0x14
	v_dual_ashrrev_i32 v153, 31, v153 :: v_dual_bitop2_b32 v150, s16, v150 bitop3:0x14
	v_dual_ashrrev_i32 v154, 31, v154 :: v_dual_bitop2_b32 v149, s15, v149 bitop3:0x14
	v_cmp_gt_i32_e64 s21, 0, v159
	v_xor_b32_e32 v153, s17, v153
	v_xor_b32_e32 v155, s19, v155
	s_delay_alu instid0(VALU_DEP_4) | instskip(SKIP_2) | instid1(VALU_DEP_2)
	v_xor_b32_e32 v154, s18, v154
	v_bitop3_b32 v61, v61, v149, exec_lo bitop3:0x80
	v_dual_ashrrev_i32 v149, 31, v157 :: v_dual_ashrrev_i32 v157, 31, v158
	v_bitop3_b32 v61, v61, v153, v150 bitop3:0x80
	v_mad_u32_u24 v150, v151, 36, v23
	s_delay_alu instid0(VALU_DEP_3) | instskip(NEXT) | instid1(VALU_DEP_4)
	v_xor_b32_e32 v153, s20, v149
	v_xor_b32_e32 v157, s21, v157
	v_mul_u32_u24_e32 v151, 36, v151
	v_bitop3_b32 v61, v61, v155, v154 bitop3:0x80
	ds_load_b32 v149, v150 offset:1056
	; wave barrier
	v_add_nc_u32_e32 v151, v23, v151
	v_bitop3_b32 v61, v61, v157, v153 bitop3:0x80
	s_delay_alu instid0(VALU_DEP_1) | instskip(SKIP_1) | instid1(VALU_DEP_2)
	v_mbcnt_lo_u32_b32 v150, v61, 0
	v_cmp_ne_u32_e64 s15, 0, v61
	v_cmp_eq_u32_e32 vcc_lo, 0, v150
	s_and_b32 s16, s15, vcc_lo
	s_delay_alu instid0(SALU_CYCLE_1)
	s_and_saveexec_b32 s15, s16
	s_cbranch_execz .LBB1937_138
; %bb.137:                              ;   in Loop: Header=BB1937_96 Depth=2
	s_wait_dscnt 0x0
	v_bcnt_u32_b32 v61, v61, v149
	ds_store_b32 v151, v61 offset:1056
.LBB1937_138:                           ;   in Loop: Header=BB1937_96 Depth=2
	s_or_b32 exec_lo, exec_lo, s15
	v_cmp_gt_i16_e64 vcc_lo, 0, v148
	; wave barrier
	s_delay_alu instid0(VALU_DEP_1) | instskip(NEXT) | instid1(VALU_DEP_1)
	v_cndmask_b32_e64 v61, 0x7fff, 0, vcc_lo
	v_xor_b32_e32 v148, v61, v148
	s_delay_alu instid0(VALU_DEP_1) | instskip(SKIP_1) | instid1(VALU_DEP_1)
	v_cmp_ne_u16_e64 vcc_lo, 0x8000, v148
	v_cndmask_b32_e32 v61, 0x7fff, v148, vcc_lo
	v_and_b32_e32 v61, 0xffff, v61
	s_delay_alu instid0(VALU_DEP_1) | instskip(NEXT) | instid1(VALU_DEP_1)
	v_lshrrev_b32_e32 v61, s48, v61
	v_bitop3_b32 v153, v61, 1, s52 bitop3:0x80
	v_and_b32_e32 v155, s52, v61
	s_delay_alu instid0(VALU_DEP_2) | instskip(NEXT) | instid1(VALU_DEP_1)
	v_add_co_u32 v61, s15, v153, -1
	v_cndmask_b32_e64 v153, 0, 1, s15
	s_delay_alu instid0(VALU_DEP_3) | instskip(NEXT) | instid1(VALU_DEP_2)
	v_dual_lshlrev_b32 v154, 30, v155 :: v_dual_lshlrev_b32 v157, 29, v155
	v_cmp_ne_u32_e32 vcc_lo, 0, v153
	s_delay_alu instid0(VALU_DEP_2) | instskip(SKIP_1) | instid1(VALU_DEP_4)
	v_cmp_gt_i32_e64 s15, 0, v154
	v_not_b32_e32 v153, v154
	v_not_b32_e32 v154, v157
	s_delay_alu instid0(VALU_DEP_1) | instskip(SKIP_3) | instid1(VALU_DEP_4)
	v_dual_ashrrev_i32 v154, 31, v154 :: v_dual_lshlrev_b32 v158, 28, v155
	v_dual_lshlrev_b32 v159, 27, v155 :: v_dual_lshlrev_b32 v161, 26, v155
	v_dual_lshlrev_b32 v162, 25, v155 :: v_dual_lshlrev_b32 v163, 24, v155
	v_cmp_gt_i32_e64 s16, 0, v157
	v_cmp_gt_i32_e64 s17, 0, v158
	v_not_b32_e32 v157, v158
	v_not_b32_e32 v158, v159
	v_ashrrev_i32_e32 v153, 31, v153
	v_cmp_gt_i32_e64 s18, 0, v159
	v_cmp_gt_i32_e64 s19, 0, v161
	v_not_b32_e32 v159, v161
	v_cmp_gt_i32_e64 s20, 0, v162
	v_not_b32_e32 v161, v162
	v_not_b32_e32 v162, v163
	s_delay_alu instid0(VALU_DEP_4) | instskip(SKIP_3) | instid1(VALU_DEP_3)
	v_dual_ashrrev_i32 v159, 31, v159 :: v_dual_bitop2_b32 v61, vcc_lo, v61 bitop3:0x14
	v_dual_ashrrev_i32 v157, 31, v157 :: v_dual_bitop2_b32 v154, s16, v154 bitop3:0x14
	v_dual_ashrrev_i32 v158, 31, v158 :: v_dual_bitop2_b32 v153, s15, v153 bitop3:0x14
	v_cmp_gt_i32_e64 s21, 0, v163
	v_xor_b32_e32 v157, s17, v157
	v_xor_b32_e32 v159, s19, v159
	s_delay_alu instid0(VALU_DEP_4) | instskip(SKIP_2) | instid1(VALU_DEP_2)
	v_xor_b32_e32 v158, s18, v158
	v_bitop3_b32 v61, v61, v153, exec_lo bitop3:0x80
	v_dual_ashrrev_i32 v153, 31, v161 :: v_dual_ashrrev_i32 v161, 31, v162
	v_bitop3_b32 v61, v61, v157, v154 bitop3:0x80
	v_mad_u32_u24 v154, v155, 36, v23
	s_delay_alu instid0(VALU_DEP_3) | instskip(NEXT) | instid1(VALU_DEP_4)
	v_xor_b32_e32 v157, s20, v153
	v_xor_b32_e32 v161, s21, v161
	v_mul_u32_u24_e32 v155, 36, v155
	v_bitop3_b32 v61, v61, v159, v158 bitop3:0x80
	ds_load_b32 v153, v154 offset:1056
	; wave barrier
	v_add_nc_u32_e32 v155, v23, v155
	v_bitop3_b32 v61, v61, v161, v157 bitop3:0x80
	s_delay_alu instid0(VALU_DEP_1) | instskip(SKIP_1) | instid1(VALU_DEP_2)
	v_mbcnt_lo_u32_b32 v154, v61, 0
	v_cmp_ne_u32_e64 s15, 0, v61
	v_cmp_eq_u32_e32 vcc_lo, 0, v154
	s_and_b32 s16, s15, vcc_lo
	s_delay_alu instid0(SALU_CYCLE_1)
	s_and_saveexec_b32 s15, s16
	s_cbranch_execz .LBB1937_140
; %bb.139:                              ;   in Loop: Header=BB1937_96 Depth=2
	s_wait_dscnt 0x0
	v_bcnt_u32_b32 v61, v61, v153
	ds_store_b32 v155, v61 offset:1056
.LBB1937_140:                           ;   in Loop: Header=BB1937_96 Depth=2
	s_or_b32 exec_lo, exec_lo, s15
	v_cmp_gt_i16_e64 vcc_lo, 0, v152
	; wave barrier
	s_delay_alu instid0(VALU_DEP_1) | instskip(NEXT) | instid1(VALU_DEP_1)
	v_cndmask_b32_e64 v61, 0x7fff, 0, vcc_lo
	v_xor_b32_e32 v152, v61, v152
	s_delay_alu instid0(VALU_DEP_1) | instskip(SKIP_1) | instid1(VALU_DEP_1)
	v_cmp_ne_u16_e64 vcc_lo, 0x8000, v152
	v_cndmask_b32_e32 v61, 0x7fff, v152, vcc_lo
	v_and_b32_e32 v61, 0xffff, v61
	s_delay_alu instid0(VALU_DEP_1) | instskip(NEXT) | instid1(VALU_DEP_1)
	v_lshrrev_b32_e32 v61, s48, v61
	v_bitop3_b32 v157, v61, 1, s52 bitop3:0x80
	v_and_b32_e32 v159, s52, v61
	s_delay_alu instid0(VALU_DEP_2) | instskip(NEXT) | instid1(VALU_DEP_1)
	v_add_co_u32 v61, s15, v157, -1
	v_cndmask_b32_e64 v157, 0, 1, s15
	s_delay_alu instid0(VALU_DEP_3) | instskip(NEXT) | instid1(VALU_DEP_2)
	v_dual_lshlrev_b32 v158, 30, v159 :: v_dual_lshlrev_b32 v161, 29, v159
	v_cmp_ne_u32_e32 vcc_lo, 0, v157
	s_delay_alu instid0(VALU_DEP_2) | instskip(SKIP_1) | instid1(VALU_DEP_4)
	v_cmp_gt_i32_e64 s15, 0, v158
	v_not_b32_e32 v157, v158
	v_not_b32_e32 v158, v161
	s_delay_alu instid0(VALU_DEP_1) | instskip(SKIP_3) | instid1(VALU_DEP_4)
	v_dual_ashrrev_i32 v158, 31, v158 :: v_dual_lshlrev_b32 v162, 28, v159
	v_dual_lshlrev_b32 v163, 27, v159 :: v_dual_lshlrev_b32 v165, 26, v159
	v_dual_lshlrev_b32 v166, 25, v159 :: v_dual_lshlrev_b32 v167, 24, v159
	v_cmp_gt_i32_e64 s16, 0, v161
	v_cmp_gt_i32_e64 s17, 0, v162
	v_not_b32_e32 v161, v162
	v_not_b32_e32 v162, v163
	v_ashrrev_i32_e32 v157, 31, v157
	v_cmp_gt_i32_e64 s18, 0, v163
	v_cmp_gt_i32_e64 s19, 0, v165
	v_not_b32_e32 v163, v165
	v_cmp_gt_i32_e64 s20, 0, v166
	v_not_b32_e32 v165, v166
	v_not_b32_e32 v166, v167
	s_delay_alu instid0(VALU_DEP_4) | instskip(SKIP_3) | instid1(VALU_DEP_3)
	v_dual_ashrrev_i32 v163, 31, v163 :: v_dual_bitop2_b32 v61, vcc_lo, v61 bitop3:0x14
	v_dual_ashrrev_i32 v161, 31, v161 :: v_dual_bitop2_b32 v158, s16, v158 bitop3:0x14
	v_dual_ashrrev_i32 v162, 31, v162 :: v_dual_bitop2_b32 v157, s15, v157 bitop3:0x14
	v_cmp_gt_i32_e64 s21, 0, v167
	v_xor_b32_e32 v161, s17, v161
	v_xor_b32_e32 v163, s19, v163
	s_delay_alu instid0(VALU_DEP_4) | instskip(SKIP_2) | instid1(VALU_DEP_2)
	v_xor_b32_e32 v162, s18, v162
	v_bitop3_b32 v61, v61, v157, exec_lo bitop3:0x80
	v_dual_ashrrev_i32 v157, 31, v165 :: v_dual_ashrrev_i32 v165, 31, v166
	v_bitop3_b32 v61, v61, v161, v158 bitop3:0x80
	v_mad_u32_u24 v158, v159, 36, v23
	s_delay_alu instid0(VALU_DEP_3) | instskip(NEXT) | instid1(VALU_DEP_4)
	v_xor_b32_e32 v161, s20, v157
	v_xor_b32_e32 v165, s21, v165
	v_mul_u32_u24_e32 v159, 36, v159
	v_bitop3_b32 v61, v61, v163, v162 bitop3:0x80
	ds_load_b32 v157, v158 offset:1056
	; wave barrier
	v_add_nc_u32_e32 v159, v23, v159
	v_bitop3_b32 v61, v61, v165, v161 bitop3:0x80
	s_delay_alu instid0(VALU_DEP_1) | instskip(SKIP_1) | instid1(VALU_DEP_2)
	v_mbcnt_lo_u32_b32 v158, v61, 0
	v_cmp_ne_u32_e64 s15, 0, v61
	v_cmp_eq_u32_e32 vcc_lo, 0, v158
	s_and_b32 s16, s15, vcc_lo
	s_delay_alu instid0(SALU_CYCLE_1)
	s_and_saveexec_b32 s15, s16
	s_cbranch_execz .LBB1937_142
; %bb.141:                              ;   in Loop: Header=BB1937_96 Depth=2
	s_wait_dscnt 0x0
	v_bcnt_u32_b32 v61, v61, v157
	ds_store_b32 v159, v61 offset:1056
.LBB1937_142:                           ;   in Loop: Header=BB1937_96 Depth=2
	s_or_b32 exec_lo, exec_lo, s15
	v_cmp_gt_i16_e64 vcc_lo, 0, v156
	; wave barrier
	s_delay_alu instid0(VALU_DEP_1) | instskip(NEXT) | instid1(VALU_DEP_1)
	v_cndmask_b32_e64 v61, 0x7fff, 0, vcc_lo
	v_xor_b32_e32 v156, v61, v156
	s_delay_alu instid0(VALU_DEP_1) | instskip(SKIP_1) | instid1(VALU_DEP_1)
	v_cmp_ne_u16_e64 vcc_lo, 0x8000, v156
	v_cndmask_b32_e32 v61, 0x7fff, v156, vcc_lo
	v_and_b32_e32 v61, 0xffff, v61
	s_delay_alu instid0(VALU_DEP_1) | instskip(NEXT) | instid1(VALU_DEP_1)
	v_lshrrev_b32_e32 v61, s48, v61
	v_bitop3_b32 v161, v61, 1, s52 bitop3:0x80
	v_and_b32_e32 v163, s52, v61
	s_delay_alu instid0(VALU_DEP_2) | instskip(NEXT) | instid1(VALU_DEP_1)
	v_add_co_u32 v61, s15, v161, -1
	v_cndmask_b32_e64 v161, 0, 1, s15
	s_delay_alu instid0(VALU_DEP_3) | instskip(NEXT) | instid1(VALU_DEP_2)
	v_dual_lshlrev_b32 v162, 30, v163 :: v_dual_lshlrev_b32 v165, 29, v163
	v_cmp_ne_u32_e32 vcc_lo, 0, v161
	s_delay_alu instid0(VALU_DEP_2) | instskip(SKIP_1) | instid1(VALU_DEP_4)
	v_cmp_gt_i32_e64 s15, 0, v162
	v_not_b32_e32 v161, v162
	v_not_b32_e32 v162, v165
	s_delay_alu instid0(VALU_DEP_1) | instskip(SKIP_3) | instid1(VALU_DEP_4)
	v_dual_ashrrev_i32 v162, 31, v162 :: v_dual_lshlrev_b32 v166, 28, v163
	v_dual_lshlrev_b32 v167, 27, v163 :: v_dual_lshlrev_b32 v169, 26, v163
	v_dual_lshlrev_b32 v170, 25, v163 :: v_dual_lshlrev_b32 v171, 24, v163
	v_cmp_gt_i32_e64 s16, 0, v165
	v_cmp_gt_i32_e64 s17, 0, v166
	v_not_b32_e32 v165, v166
	v_not_b32_e32 v166, v167
	v_ashrrev_i32_e32 v161, 31, v161
	v_cmp_gt_i32_e64 s18, 0, v167
	v_cmp_gt_i32_e64 s19, 0, v169
	v_not_b32_e32 v167, v169
	v_cmp_gt_i32_e64 s20, 0, v170
	v_not_b32_e32 v169, v170
	v_not_b32_e32 v170, v171
	s_delay_alu instid0(VALU_DEP_4) | instskip(SKIP_3) | instid1(VALU_DEP_3)
	v_dual_ashrrev_i32 v167, 31, v167 :: v_dual_bitop2_b32 v61, vcc_lo, v61 bitop3:0x14
	v_dual_ashrrev_i32 v165, 31, v165 :: v_dual_bitop2_b32 v162, s16, v162 bitop3:0x14
	v_dual_ashrrev_i32 v166, 31, v166 :: v_dual_bitop2_b32 v161, s15, v161 bitop3:0x14
	v_cmp_gt_i32_e64 s21, 0, v171
	v_xor_b32_e32 v165, s17, v165
	v_xor_b32_e32 v167, s19, v167
	s_delay_alu instid0(VALU_DEP_4) | instskip(SKIP_2) | instid1(VALU_DEP_2)
	v_xor_b32_e32 v166, s18, v166
	v_bitop3_b32 v61, v61, v161, exec_lo bitop3:0x80
	v_dual_ashrrev_i32 v161, 31, v169 :: v_dual_ashrrev_i32 v169, 31, v170
	v_bitop3_b32 v61, v61, v165, v162 bitop3:0x80
	v_mad_u32_u24 v162, v163, 36, v23
	s_delay_alu instid0(VALU_DEP_3) | instskip(NEXT) | instid1(VALU_DEP_4)
	v_xor_b32_e32 v165, s20, v161
	v_xor_b32_e32 v169, s21, v169
	v_mul_u32_u24_e32 v163, 36, v163
	v_bitop3_b32 v61, v61, v167, v166 bitop3:0x80
	ds_load_b32 v161, v162 offset:1056
	; wave barrier
	v_add_nc_u32_e32 v163, v23, v163
	v_bitop3_b32 v61, v61, v169, v165 bitop3:0x80
	s_delay_alu instid0(VALU_DEP_1) | instskip(SKIP_1) | instid1(VALU_DEP_2)
	v_mbcnt_lo_u32_b32 v162, v61, 0
	v_cmp_ne_u32_e64 s15, 0, v61
	v_cmp_eq_u32_e32 vcc_lo, 0, v162
	s_and_b32 s16, s15, vcc_lo
	s_delay_alu instid0(SALU_CYCLE_1)
	s_and_saveexec_b32 s15, s16
	s_cbranch_execz .LBB1937_144
; %bb.143:                              ;   in Loop: Header=BB1937_96 Depth=2
	s_wait_dscnt 0x0
	v_bcnt_u32_b32 v61, v61, v161
	ds_store_b32 v163, v61 offset:1056
.LBB1937_144:                           ;   in Loop: Header=BB1937_96 Depth=2
	s_or_b32 exec_lo, exec_lo, s15
	v_cmp_gt_i16_e64 vcc_lo, 0, v160
	; wave barrier
	s_delay_alu instid0(VALU_DEP_1) | instskip(NEXT) | instid1(VALU_DEP_1)
	v_cndmask_b32_e64 v61, 0x7fff, 0, vcc_lo
	v_xor_b32_e32 v160, v61, v160
	s_delay_alu instid0(VALU_DEP_1) | instskip(SKIP_1) | instid1(VALU_DEP_1)
	v_cmp_ne_u16_e64 vcc_lo, 0x8000, v160
	v_cndmask_b32_e32 v61, 0x7fff, v160, vcc_lo
	v_and_b32_e32 v61, 0xffff, v61
	s_delay_alu instid0(VALU_DEP_1) | instskip(NEXT) | instid1(VALU_DEP_1)
	v_lshrrev_b32_e32 v61, s48, v61
	v_bitop3_b32 v165, v61, 1, s52 bitop3:0x80
	v_and_b32_e32 v167, s52, v61
	s_delay_alu instid0(VALU_DEP_2) | instskip(NEXT) | instid1(VALU_DEP_1)
	v_add_co_u32 v61, s15, v165, -1
	v_cndmask_b32_e64 v165, 0, 1, s15
	s_delay_alu instid0(VALU_DEP_3) | instskip(NEXT) | instid1(VALU_DEP_2)
	v_dual_lshlrev_b32 v166, 30, v167 :: v_dual_lshlrev_b32 v169, 29, v167
	v_cmp_ne_u32_e32 vcc_lo, 0, v165
	s_delay_alu instid0(VALU_DEP_2) | instskip(SKIP_1) | instid1(VALU_DEP_4)
	v_cmp_gt_i32_e64 s15, 0, v166
	v_not_b32_e32 v165, v166
	v_not_b32_e32 v166, v169
	s_delay_alu instid0(VALU_DEP_1) | instskip(SKIP_3) | instid1(VALU_DEP_4)
	v_dual_ashrrev_i32 v166, 31, v166 :: v_dual_lshlrev_b32 v170, 28, v167
	v_dual_lshlrev_b32 v171, 27, v167 :: v_dual_lshlrev_b32 v172, 26, v167
	v_cmp_gt_i32_e64 s16, 0, v169
	v_dual_lshlrev_b32 v173, 25, v167 :: v_dual_lshlrev_b32 v174, 24, v167
	v_cmp_gt_i32_e64 s17, 0, v170
	v_not_b32_e32 v169, v170
	v_not_b32_e32 v170, v171
	v_ashrrev_i32_e32 v165, 31, v165
	v_cmp_gt_i32_e64 s18, 0, v171
	v_not_b32_e32 v171, v172
	v_xor_b32_e32 v61, vcc_lo, v61
	v_dual_ashrrev_i32 v169, 31, v169 :: v_dual_bitop2_b32 v166, s16, v166 bitop3:0x14
	v_dual_ashrrev_i32 v170, 31, v170 :: v_dual_bitop2_b32 v165, s15, v165 bitop3:0x14
	v_cmp_gt_i32_e64 s19, 0, v172
	v_cmp_gt_i32_e64 s20, 0, v173
	v_not_b32_e32 v172, v173
	v_not_b32_e32 v173, v174
	v_dual_ashrrev_i32 v171, 31, v171 :: v_dual_bitop2_b32 v169, s17, v169 bitop3:0x14
	v_bitop3_b32 v61, v61, v165, exec_lo bitop3:0x80
	v_cmp_gt_i32_e64 s21, 0, v174
	s_delay_alu instid0(VALU_DEP_4)
	v_dual_ashrrev_i32 v165, 31, v172 :: v_dual_ashrrev_i32 v172, 31, v173
	v_xor_b32_e32 v170, s18, v170
	v_xor_b32_e32 v171, s19, v171
	v_bitop3_b32 v61, v61, v169, v166 bitop3:0x80
	v_mad_u32_u24 v166, v167, 36, v23
	v_xor_b32_e32 v169, s20, v165
	v_xor_b32_e32 v172, s21, v172
	v_mul_u32_u24_e32 v167, 36, v167
	v_bitop3_b32 v61, v61, v171, v170 bitop3:0x80
	ds_load_b32 v165, v166 offset:1056
	; wave barrier
	v_add_nc_u32_e32 v167, v23, v167
	v_bitop3_b32 v61, v61, v172, v169 bitop3:0x80
	s_delay_alu instid0(VALU_DEP_1) | instskip(SKIP_1) | instid1(VALU_DEP_2)
	v_mbcnt_lo_u32_b32 v166, v61, 0
	v_cmp_ne_u32_e64 s15, 0, v61
	v_cmp_eq_u32_e32 vcc_lo, 0, v166
	s_and_b32 s16, s15, vcc_lo
	s_delay_alu instid0(SALU_CYCLE_1)
	s_and_saveexec_b32 s15, s16
	s_cbranch_execz .LBB1937_146
; %bb.145:                              ;   in Loop: Header=BB1937_96 Depth=2
	s_wait_dscnt 0x0
	v_bcnt_u32_b32 v61, v61, v165
	ds_store_b32 v167, v61 offset:1056
.LBB1937_146:                           ;   in Loop: Header=BB1937_96 Depth=2
	s_or_b32 exec_lo, exec_lo, s15
	v_cmp_gt_i16_e64 vcc_lo, 0, v164
	; wave barrier
	s_delay_alu instid0(VALU_DEP_1) | instskip(NEXT) | instid1(VALU_DEP_1)
	v_cndmask_b32_e64 v61, 0x7fff, 0, vcc_lo
	v_xor_b32_e32 v164, v61, v164
	s_delay_alu instid0(VALU_DEP_1) | instskip(SKIP_1) | instid1(VALU_DEP_1)
	v_cmp_ne_u16_e64 vcc_lo, 0x8000, v164
	v_cndmask_b32_e32 v61, 0x7fff, v164, vcc_lo
	v_and_b32_e32 v61, 0xffff, v61
	s_delay_alu instid0(VALU_DEP_1) | instskip(NEXT) | instid1(VALU_DEP_1)
	v_lshrrev_b32_e32 v61, s48, v61
	v_bitop3_b32 v169, v61, 1, s52 bitop3:0x80
	v_and_b32_e32 v171, s52, v61
	s_delay_alu instid0(VALU_DEP_2) | instskip(NEXT) | instid1(VALU_DEP_1)
	v_add_co_u32 v61, s15, v169, -1
	v_cndmask_b32_e64 v169, 0, 1, s15
	s_delay_alu instid0(VALU_DEP_3) | instskip(NEXT) | instid1(VALU_DEP_2)
	v_dual_lshlrev_b32 v170, 30, v171 :: v_dual_lshlrev_b32 v172, 29, v171
	v_cmp_ne_u32_e32 vcc_lo, 0, v169
	s_delay_alu instid0(VALU_DEP_2) | instskip(SKIP_1) | instid1(VALU_DEP_4)
	v_cmp_gt_i32_e64 s15, 0, v170
	v_not_b32_e32 v169, v170
	v_not_b32_e32 v170, v172
	s_delay_alu instid0(VALU_DEP_1) | instskip(SKIP_3) | instid1(VALU_DEP_4)
	v_dual_ashrrev_i32 v170, 31, v170 :: v_dual_lshlrev_b32 v173, 28, v171
	v_dual_lshlrev_b32 v174, 27, v171 :: v_dual_lshlrev_b32 v175, 26, v171
	v_dual_lshlrev_b32 v176, 25, v171 :: v_dual_lshlrev_b32 v177, 24, v171
	v_cmp_gt_i32_e64 s16, 0, v172
	v_not_b32_e32 v172, v173
	v_ashrrev_i32_e32 v169, 31, v169
	v_cmp_gt_i32_e64 s17, 0, v173
	v_cmp_gt_i32_e64 s18, 0, v174
	v_not_b32_e32 v173, v174
	v_cmp_gt_i32_e64 s19, 0, v175
	v_not_b32_e32 v174, v175
	;; [unrolled: 2-line block ×3, first 2 shown]
	v_not_b32_e32 v176, v177
	s_delay_alu instid0(VALU_DEP_4) | instskip(SKIP_3) | instid1(VALU_DEP_3)
	v_dual_ashrrev_i32 v174, 31, v174 :: v_dual_bitop2_b32 v61, vcc_lo, v61 bitop3:0x14
	v_dual_ashrrev_i32 v172, 31, v172 :: v_dual_bitop2_b32 v169, s15, v169 bitop3:0x14
	v_dual_ashrrev_i32 v173, 31, v173 :: v_dual_bitop2_b32 v170, s16, v170 bitop3:0x14
	v_cmp_gt_i32_e64 s21, 0, v177
	v_xor_b32_e32 v172, s17, v172
	s_delay_alu instid0(VALU_DEP_4) | instskip(SKIP_2) | instid1(VALU_DEP_3)
	v_bitop3_b32 v61, v61, v169, exec_lo bitop3:0x80
	v_dual_ashrrev_i32 v169, 31, v175 :: v_dual_ashrrev_i32 v175, 31, v176
	v_xor_b32_e32 v174, s19, v174
	v_bitop3_b32 v61, v61, v172, v170 bitop3:0x80
	v_mad_u32_u24 v170, v171, 36, v23
	v_mul_u32_u24_e32 v171, 36, v171
	v_xor_b32_e32 v173, s18, v173
	v_xor_b32_e32 v172, s20, v169
	;; [unrolled: 1-line block ×3, first 2 shown]
	ds_load_b32 v169, v170 offset:1056
	v_add_nc_u32_e32 v171, v23, v171
	v_bitop3_b32 v61, v61, v174, v173 bitop3:0x80
	; wave barrier
	s_delay_alu instid0(VALU_DEP_1) | instskip(NEXT) | instid1(VALU_DEP_1)
	v_bitop3_b32 v61, v61, v175, v172 bitop3:0x80
	v_mbcnt_lo_u32_b32 v170, v61, 0
	v_cmp_ne_u32_e64 s15, 0, v61
	s_delay_alu instid0(VALU_DEP_2) | instskip(SKIP_1) | instid1(SALU_CYCLE_1)
	v_cmp_eq_u32_e32 vcc_lo, 0, v170
	s_and_b32 s16, s15, vcc_lo
	s_and_saveexec_b32 s15, s16
	s_cbranch_execz .LBB1937_148
; %bb.147:                              ;   in Loop: Header=BB1937_96 Depth=2
	s_wait_dscnt 0x0
	v_bcnt_u32_b32 v61, v61, v169
	ds_store_b32 v171, v61 offset:1056
.LBB1937_148:                           ;   in Loop: Header=BB1937_96 Depth=2
	s_or_b32 exec_lo, exec_lo, s15
	v_cmp_gt_i16_e64 vcc_lo, 0, v168
	; wave barrier
	s_delay_alu instid0(VALU_DEP_1) | instskip(NEXT) | instid1(VALU_DEP_1)
	v_cndmask_b32_e64 v61, 0x7fff, 0, vcc_lo
	v_xor_b32_e32 v168, v61, v168
	s_delay_alu instid0(VALU_DEP_1) | instskip(SKIP_1) | instid1(VALU_DEP_1)
	v_cmp_ne_u16_e64 vcc_lo, 0x8000, v168
	v_cndmask_b32_e32 v61, 0x7fff, v168, vcc_lo
	v_and_b32_e32 v61, 0xffff, v61
	s_delay_alu instid0(VALU_DEP_1) | instskip(NEXT) | instid1(VALU_DEP_1)
	v_lshrrev_b32_e32 v61, s48, v61
	v_bitop3_b32 v172, v61, 1, s52 bitop3:0x80
	v_and_b32_e32 v175, s52, v61
	s_delay_alu instid0(VALU_DEP_2) | instskip(NEXT) | instid1(VALU_DEP_1)
	v_add_co_u32 v61, s15, v172, -1
	v_cndmask_b32_e64 v172, 0, 1, s15
	s_delay_alu instid0(VALU_DEP_3) | instskip(NEXT) | instid1(VALU_DEP_2)
	v_lshlrev_b32_e32 v173, 30, v175
	v_cmp_ne_u32_e32 vcc_lo, 0, v172
	s_delay_alu instid0(VALU_DEP_2) | instskip(NEXT) | instid1(VALU_DEP_1)
	v_not_b32_e32 v172, v173
	v_dual_ashrrev_i32 v172, 31, v172 :: v_dual_lshlrev_b32 v174, 29, v175
	v_dual_lshlrev_b32 v176, 28, v175 :: v_dual_lshlrev_b32 v177, 27, v175
	v_lshlrev_b32_e32 v178, 26, v175
	v_cmp_gt_i32_e64 s15, 0, v173
	s_delay_alu instid0(VALU_DEP_4)
	v_cmp_gt_i32_e64 s16, 0, v174
	v_not_b32_e32 v173, v174
	v_not_b32_e32 v174, v176
	v_dual_lshlrev_b32 v179, 25, v175 :: v_dual_lshlrev_b32 v180, 24, v175
	v_cmp_gt_i32_e64 s17, 0, v176
	v_cmp_gt_i32_e64 s18, 0, v177
	v_not_b32_e32 v176, v177
	v_not_b32_e32 v177, v178
	v_dual_ashrrev_i32 v174, 31, v174 :: v_dual_bitop2_b32 v61, vcc_lo, v61 bitop3:0x14
	v_dual_ashrrev_i32 v173, 31, v173 :: v_dual_bitop2_b32 v172, s15, v172 bitop3:0x14
	v_cmp_gt_i32_e64 s19, 0, v178
	v_cmp_gt_i32_e64 s20, 0, v179
	v_not_b32_e32 v178, v179
	v_not_b32_e32 v179, v180
	v_dual_ashrrev_i32 v176, 31, v176 :: v_dual_ashrrev_i32 v177, 31, v177
	v_xor_b32_e32 v173, s16, v173
	v_xor_b32_e32 v174, s17, v174
	v_bitop3_b32 v61, v61, v172, exec_lo bitop3:0x80
	v_cmp_gt_i32_e64 s21, 0, v180
	v_dual_ashrrev_i32 v172, 31, v178 :: v_dual_ashrrev_i32 v178, 31, v179
	v_xor_b32_e32 v176, s18, v176
	v_xor_b32_e32 v177, s19, v177
	v_bitop3_b32 v61, v61, v174, v173 bitop3:0x80
	v_mad_u32_u24 v173, v175, 36, v23
	v_xor_b32_e32 v172, s20, v172
	v_xor_b32_e32 v174, s21, v178
	s_delay_alu instid0(VALU_DEP_4) | instskip(SKIP_3) | instid1(VALU_DEP_2)
	v_bitop3_b32 v61, v61, v177, v176 bitop3:0x80
	ds_load_b32 v173, v173 offset:1056
	; wave barrier
	v_bitop3_b32 v61, v61, v174, v172 bitop3:0x80
	v_mul_u32_u24_e32 v172, 36, v175
	v_mbcnt_lo_u32_b32 v174, v61, 0
	v_cmp_ne_u32_e64 s15, 0, v61
	s_delay_alu instid0(VALU_DEP_3) | instskip(NEXT) | instid1(VALU_DEP_3)
	v_add_nc_u32_e32 v175, v23, v172
	v_cmp_eq_u32_e32 vcc_lo, 0, v174
	s_and_b32 s16, s15, vcc_lo
	s_delay_alu instid0(SALU_CYCLE_1)
	s_and_saveexec_b32 s15, s16
	s_cbranch_execz .LBB1937_150
; %bb.149:                              ;   in Loop: Header=BB1937_96 Depth=2
	s_wait_dscnt 0x0
	v_bcnt_u32_b32 v61, v61, v173
	ds_store_b32 v175, v61 offset:1056
.LBB1937_150:                           ;   in Loop: Header=BB1937_96 Depth=2
	s_or_b32 exec_lo, exec_lo, s15
	v_cmp_gt_i16_e32 vcc_lo, 0, v67
	; wave barrier
	v_cndmask_b32_e64 v61, 0x7fff, 0, vcc_lo
	s_delay_alu instid0(VALU_DEP_1) | instskip(NEXT) | instid1(VALU_DEP_1)
	v_xor_b32_e32 v172, v61, v67
	v_cmp_ne_u16_e64 vcc_lo, 0x8000, v172
	v_cndmask_b32_e32 v61, 0x7fff, v172, vcc_lo
	s_delay_alu instid0(VALU_DEP_1) | instskip(NEXT) | instid1(VALU_DEP_1)
	v_and_b32_e32 v61, 0xffff, v61
	v_lshrrev_b32_e32 v61, s48, v61
	s_delay_alu instid0(VALU_DEP_1) | instskip(SKIP_1) | instid1(VALU_DEP_2)
	v_bitop3_b32 v67, v61, 1, s52 bitop3:0x80
	v_and_b32_e32 v176, s52, v61
	v_add_co_u32 v61, s15, v67, -1
	s_delay_alu instid0(VALU_DEP_1) | instskip(NEXT) | instid1(VALU_DEP_3)
	v_cndmask_b32_e64 v67, 0, 1, s15
	v_lshlrev_b32_e32 v177, 30, v176
	s_delay_alu instid0(VALU_DEP_2) | instskip(NEXT) | instid1(VALU_DEP_2)
	v_cmp_ne_u32_e32 vcc_lo, 0, v67
	v_not_b32_e32 v67, v177
	s_delay_alu instid0(VALU_DEP_1) | instskip(SKIP_4) | instid1(VALU_DEP_4)
	v_dual_ashrrev_i32 v67, 31, v67 :: v_dual_bitop2_b32 v61, vcc_lo, v61 bitop3:0x14
	v_dual_lshlrev_b32 v178, 29, v176 :: v_dual_lshlrev_b32 v179, 28, v176
	v_dual_lshlrev_b32 v180, 27, v176 :: v_dual_lshlrev_b32 v181, 26, v176
	v_lshlrev_b32_e32 v182, 25, v176
	v_cmp_gt_i32_e64 s15, 0, v177
	v_cmp_gt_i32_e64 s16, 0, v178
	v_not_b32_e32 v177, v178
	v_not_b32_e32 v178, v179
	v_lshlrev_b32_e32 v183, 24, v176
	v_cmp_gt_i32_e64 s17, 0, v179
	v_cmp_gt_i32_e64 s18, 0, v180
	v_not_b32_e32 v179, v180
	v_not_b32_e32 v180, v181
	v_dual_ashrrev_i32 v177, 31, v177 :: v_dual_bitop2_b32 v67, s15, v67 bitop3:0x14
	v_ashrrev_i32_e32 v178, 31, v178
	v_cmp_gt_i32_e64 s19, 0, v181
	v_cmp_gt_i32_e64 s20, 0, v182
	v_not_b32_e32 v181, v182
	v_not_b32_e32 v182, v183
	v_dual_ashrrev_i32 v179, 31, v179 :: v_dual_ashrrev_i32 v180, 31, v180
	v_xor_b32_e32 v177, s16, v177
	v_xor_b32_e32 v178, s17, v178
	v_bitop3_b32 v61, v61, v67, exec_lo bitop3:0x80
	v_cmp_gt_i32_e64 s21, 0, v183
	v_dual_ashrrev_i32 v67, 31, v181 :: v_dual_ashrrev_i32 v181, 31, v182
	v_xor_b32_e32 v179, s18, v179
	v_xor_b32_e32 v180, s19, v180
	v_bitop3_b32 v61, v61, v178, v177 bitop3:0x80
	v_mad_u32_u24 v177, v176, 36, v23
	v_xor_b32_e32 v67, s20, v67
	v_xor_b32_e32 v178, s21, v181
	s_delay_alu instid0(VALU_DEP_4) | instskip(SKIP_3) | instid1(VALU_DEP_2)
	v_bitop3_b32 v61, v61, v180, v179 bitop3:0x80
	ds_load_b32 v177, v177 offset:1056
	; wave barrier
	v_bitop3_b32 v61, v61, v178, v67 bitop3:0x80
	v_mul_u32_u24_e32 v67, 36, v176
	v_mbcnt_lo_u32_b32 v178, v61, 0
	v_cmp_ne_u32_e64 s15, 0, v61
	s_delay_alu instid0(VALU_DEP_3) | instskip(NEXT) | instid1(VALU_DEP_3)
	v_add_nc_u32_e32 v179, v23, v67
	v_cmp_eq_u32_e32 vcc_lo, 0, v178
	s_and_b32 s16, s15, vcc_lo
	s_delay_alu instid0(SALU_CYCLE_1)
	s_and_saveexec_b32 s15, s16
	s_cbranch_execz .LBB1937_152
; %bb.151:                              ;   in Loop: Header=BB1937_96 Depth=2
	s_wait_dscnt 0x0
	v_bcnt_u32_b32 v61, v61, v177
	ds_store_b32 v179, v61 offset:1056
.LBB1937_152:                           ;   in Loop: Header=BB1937_96 Depth=2
	s_or_b32 exec_lo, exec_lo, s15
	v_cmp_gt_i16_e32 vcc_lo, 0, v66
	; wave barrier
	v_cndmask_b32_e64 v61, 0x7fff, 0, vcc_lo
	s_delay_alu instid0(VALU_DEP_1) | instskip(NEXT) | instid1(VALU_DEP_1)
	v_xor_b32_e32 v176, v61, v66
	v_cmp_ne_u16_e64 vcc_lo, 0x8000, v176
	v_cndmask_b32_e32 v61, 0x7fff, v176, vcc_lo
	s_delay_alu instid0(VALU_DEP_1) | instskip(NEXT) | instid1(VALU_DEP_1)
	v_and_b32_e32 v61, 0xffff, v61
	v_lshrrev_b32_e32 v61, s48, v61
	s_delay_alu instid0(VALU_DEP_1) | instskip(SKIP_1) | instid1(VALU_DEP_2)
	v_bitop3_b32 v66, v61, 1, s52 bitop3:0x80
	v_and_b32_e32 v67, s52, v61
	v_add_co_u32 v61, s15, v66, -1
	s_delay_alu instid0(VALU_DEP_1) | instskip(NEXT) | instid1(VALU_DEP_3)
	v_cndmask_b32_e64 v66, 0, 1, s15
	v_lshlrev_b32_e32 v180, 30, v67
	s_delay_alu instid0(VALU_DEP_2) | instskip(NEXT) | instid1(VALU_DEP_2)
	v_cmp_ne_u32_e32 vcc_lo, 0, v66
	v_not_b32_e32 v66, v180
	v_cmp_gt_i32_e64 s15, 0, v180
	s_delay_alu instid0(VALU_DEP_2) | instskip(SKIP_3) | instid1(VALU_DEP_4)
	v_dual_ashrrev_i32 v66, 31, v66 :: v_dual_lshlrev_b32 v181, 29, v67
	v_dual_lshlrev_b32 v182, 28, v67 :: v_dual_lshlrev_b32 v183, 27, v67
	v_dual_lshlrev_b32 v184, 26, v67 :: v_dual_lshlrev_b32 v185, 25, v67
	v_lshlrev_b32_e32 v186, 24, v67
	v_cmp_gt_i32_e64 s16, 0, v181
	v_not_b32_e32 v180, v181
	v_not_b32_e32 v181, v182
	v_cmp_gt_i32_e64 s17, 0, v182
	v_cmp_gt_i32_e64 s18, 0, v183
	v_not_b32_e32 v182, v183
	v_not_b32_e32 v183, v184
	v_dual_ashrrev_i32 v180, 31, v180 :: v_dual_bitop2_b32 v61, vcc_lo, v61 bitop3:0x14
	v_dual_ashrrev_i32 v181, 31, v181 :: v_dual_bitop2_b32 v66, s15, v66 bitop3:0x14
	v_cmp_gt_i32_e64 s19, 0, v184
	v_cmp_gt_i32_e64 s20, 0, v185
	v_not_b32_e32 v184, v185
	v_not_b32_e32 v185, v186
	v_dual_ashrrev_i32 v182, 31, v182 :: v_dual_ashrrev_i32 v183, 31, v183
	v_xor_b32_e32 v180, s16, v180
	v_xor_b32_e32 v181, s17, v181
	v_bitop3_b32 v61, v61, v66, exec_lo bitop3:0x80
	v_cmp_gt_i32_e64 s21, 0, v186
	v_dual_ashrrev_i32 v66, 31, v184 :: v_dual_ashrrev_i32 v184, 31, v185
	v_xor_b32_e32 v182, s18, v182
	v_xor_b32_e32 v183, s19, v183
	v_bitop3_b32 v61, v61, v181, v180 bitop3:0x80
	v_mad_u32_u24 v180, v67, 36, v23
	v_xor_b32_e32 v66, s20, v66
	v_xor_b32_e32 v184, s21, v184
	s_delay_alu instid0(VALU_DEP_4) | instskip(SKIP_3) | instid1(VALU_DEP_2)
	v_bitop3_b32 v61, v61, v183, v182 bitop3:0x80
	ds_load_b32 v181, v180 offset:1056
	; wave barrier
	v_bitop3_b32 v61, v61, v184, v66 bitop3:0x80
	v_mul_u32_u24_e32 v66, 36, v67
	v_mbcnt_lo_u32_b32 v182, v61, 0
	v_cmp_ne_u32_e64 s15, 0, v61
	s_delay_alu instid0(VALU_DEP_3) | instskip(NEXT) | instid1(VALU_DEP_3)
	v_add_nc_u32_e32 v183, v23, v66
	v_cmp_eq_u32_e32 vcc_lo, 0, v182
	s_and_b32 s16, s15, vcc_lo
	s_delay_alu instid0(SALU_CYCLE_1)
	s_and_saveexec_b32 s15, s16
	s_cbranch_execz .LBB1937_154
; %bb.153:                              ;   in Loop: Header=BB1937_96 Depth=2
	s_wait_dscnt 0x0
	v_bcnt_u32_b32 v61, v61, v181
	ds_store_b32 v183, v61 offset:1056
.LBB1937_154:                           ;   in Loop: Header=BB1937_96 Depth=2
	s_or_b32 exec_lo, exec_lo, s15
	v_cmp_gt_i16_e32 vcc_lo, 0, v65
	; wave barrier
	v_cndmask_b32_e64 v61, 0x7fff, 0, vcc_lo
	s_delay_alu instid0(VALU_DEP_1) | instskip(NEXT) | instid1(VALU_DEP_1)
	v_xor_b32_e32 v180, v61, v65
	v_cmp_ne_u16_e64 vcc_lo, 0x8000, v180
	v_cndmask_b32_e32 v61, 0x7fff, v180, vcc_lo
	s_delay_alu instid0(VALU_DEP_1) | instskip(NEXT) | instid1(VALU_DEP_1)
	v_and_b32_e32 v61, 0xffff, v61
	v_lshrrev_b32_e32 v61, s48, v61
	s_delay_alu instid0(VALU_DEP_1) | instskip(NEXT) | instid1(VALU_DEP_1)
	v_and_b32_e32 v66, s52, v61
	v_lshlrev_b32_e32 v185, 28, v66
	v_bitop3_b32 v65, v61, 1, s52 bitop3:0x80
	v_dual_lshlrev_b32 v67, 30, v66 :: v_dual_lshlrev_b32 v184, 29, v66
	s_delay_alu instid0(VALU_DEP_3) | instskip(NEXT) | instid1(VALU_DEP_3)
	v_cmp_gt_i32_e64 s17, 0, v185
	v_add_co_u32 v61, s15, v65, -1
	s_delay_alu instid0(VALU_DEP_1) | instskip(NEXT) | instid1(VALU_DEP_4)
	v_cndmask_b32_e64 v65, 0, 1, s15
	v_cmp_gt_i32_e64 s15, 0, v67
	v_cmp_gt_i32_e64 s16, 0, v184
	s_delay_alu instid0(VALU_DEP_3) | instskip(SKIP_3) | instid1(VALU_DEP_2)
	v_cmp_ne_u32_e32 vcc_lo, 0, v65
	v_not_b32_e32 v65, v67
	v_not_b32_e32 v67, v184
	;; [unrolled: 1-line block ×3, first 2 shown]
	v_dual_ashrrev_i32 v65, 31, v65 :: v_dual_ashrrev_i32 v67, 31, v67
	v_dual_lshlrev_b32 v186, 27, v66 :: v_dual_lshlrev_b32 v187, 26, v66
	v_dual_lshlrev_b32 v188, 25, v66 :: v_dual_lshlrev_b32 v189, 24, v66
	s_delay_alu instid0(VALU_DEP_4) | instskip(NEXT) | instid1(VALU_DEP_3)
	v_ashrrev_i32_e32 v184, 31, v184
	v_cmp_gt_i32_e64 s18, 0, v186
	v_not_b32_e32 v185, v186
	v_cmp_gt_i32_e64 s19, 0, v187
	v_not_b32_e32 v186, v187
	v_cmp_gt_i32_e64 s20, 0, v188
	v_not_b32_e32 v187, v188
	v_not_b32_e32 v188, v189
	s_delay_alu instid0(VALU_DEP_4) | instskip(SKIP_4) | instid1(VALU_DEP_4)
	v_dual_ashrrev_i32 v186, 31, v186 :: v_dual_bitop2_b32 v61, vcc_lo, v61 bitop3:0x14
	v_xor_b32_e32 v65, s15, v65
	v_dual_ashrrev_i32 v185, 31, v185 :: v_dual_bitop2_b32 v67, s16, v67 bitop3:0x14
	v_xor_b32_e32 v184, s17, v184
	v_cmp_gt_i32_e64 s21, 0, v189
	v_bitop3_b32 v61, v61, v65, exec_lo bitop3:0x80
	v_dual_ashrrev_i32 v65, 31, v187 :: v_dual_ashrrev_i32 v187, 31, v188
	v_xor_b32_e32 v185, s18, v185
	v_xor_b32_e32 v186, s19, v186
	s_delay_alu instid0(VALU_DEP_4) | instskip(SKIP_3) | instid1(VALU_DEP_4)
	v_bitop3_b32 v61, v61, v184, v67 bitop3:0x80
	v_mad_u32_u24 v67, v66, 36, v23
	v_xor_b32_e32 v65, s20, v65
	v_xor_b32_e32 v184, s21, v187
	v_bitop3_b32 v61, v61, v186, v185 bitop3:0x80
	ds_load_b32 v185, v67 offset:1056
	; wave barrier
	v_bitop3_b32 v61, v61, v184, v65 bitop3:0x80
	v_mul_u32_u24_e32 v65, 36, v66
	s_delay_alu instid0(VALU_DEP_2) | instskip(SKIP_1) | instid1(VALU_DEP_3)
	v_mbcnt_lo_u32_b32 v186, v61, 0
	v_cmp_ne_u32_e64 s15, 0, v61
	v_add_nc_u32_e32 v187, v23, v65
	s_delay_alu instid0(VALU_DEP_3) | instskip(SKIP_1) | instid1(SALU_CYCLE_1)
	v_cmp_eq_u32_e32 vcc_lo, 0, v186
	s_and_b32 s16, s15, vcc_lo
	s_and_saveexec_b32 s15, s16
	s_cbranch_execz .LBB1937_156
; %bb.155:                              ;   in Loop: Header=BB1937_96 Depth=2
	s_wait_dscnt 0x0
	v_bcnt_u32_b32 v61, v61, v185
	ds_store_b32 v187, v61 offset:1056
.LBB1937_156:                           ;   in Loop: Header=BB1937_96 Depth=2
	s_or_b32 exec_lo, exec_lo, s15
	v_cmp_gt_i16_e32 vcc_lo, 0, v64
	; wave barrier
	v_cndmask_b32_e64 v61, 0x7fff, 0, vcc_lo
	s_delay_alu instid0(VALU_DEP_1) | instskip(NEXT) | instid1(VALU_DEP_1)
	v_xor_b32_e32 v184, v61, v64
	v_cmp_ne_u16_e64 vcc_lo, 0x8000, v184
	v_cndmask_b32_e32 v61, 0x7fff, v184, vcc_lo
	s_delay_alu instid0(VALU_DEP_1) | instskip(NEXT) | instid1(VALU_DEP_1)
	v_and_b32_e32 v61, 0xffff, v61
	v_lshrrev_b32_e32 v61, s48, v61
	s_delay_alu instid0(VALU_DEP_1) | instskip(SKIP_1) | instid1(VALU_DEP_2)
	v_bitop3_b32 v64, v61, 1, s52 bitop3:0x80
	v_and_b32_e32 v65, s52, v61
	v_add_co_u32 v61, s15, v64, -1
	s_delay_alu instid0(VALU_DEP_1) | instskip(NEXT) | instid1(VALU_DEP_3)
	v_cndmask_b32_e64 v64, 0, 1, s15
	v_lshlrev_b32_e32 v66, 30, v65
	s_delay_alu instid0(VALU_DEP_2) | instskip(NEXT) | instid1(VALU_DEP_2)
	v_cmp_ne_u32_e32 vcc_lo, 0, v64
	v_not_b32_e32 v64, v66
	v_cmp_gt_i32_e64 s15, 0, v66
	s_delay_alu instid0(VALU_DEP_2) | instskip(SKIP_3) | instid1(VALU_DEP_4)
	v_dual_ashrrev_i32 v64, 31, v64 :: v_dual_lshlrev_b32 v67, 29, v65
	v_dual_lshlrev_b32 v188, 28, v65 :: v_dual_lshlrev_b32 v189, 27, v65
	v_dual_lshlrev_b32 v190, 26, v65 :: v_dual_lshlrev_b32 v191, 25, v65
	v_lshlrev_b32_e32 v192, 24, v65
	v_cmp_gt_i32_e64 s16, 0, v67
	v_not_b32_e32 v66, v67
	v_not_b32_e32 v67, v188
	v_cmp_gt_i32_e64 s17, 0, v188
	v_cmp_gt_i32_e64 s18, 0, v189
	v_not_b32_e32 v188, v189
	v_not_b32_e32 v189, v190
	v_dual_ashrrev_i32 v66, 31, v66 :: v_dual_bitop2_b32 v61, vcc_lo, v61 bitop3:0x14
	v_dual_ashrrev_i32 v67, 31, v67 :: v_dual_bitop2_b32 v64, s15, v64 bitop3:0x14
	v_cmp_gt_i32_e64 s19, 0, v190
	v_cmp_gt_i32_e64 s20, 0, v191
	v_not_b32_e32 v190, v191
	v_not_b32_e32 v191, v192
	v_dual_ashrrev_i32 v188, 31, v188 :: v_dual_ashrrev_i32 v189, 31, v189
	v_xor_b32_e32 v66, s16, v66
	v_xor_b32_e32 v67, s17, v67
	v_bitop3_b32 v61, v61, v64, exec_lo bitop3:0x80
	v_cmp_gt_i32_e64 s21, 0, v192
	v_dual_ashrrev_i32 v64, 31, v190 :: v_dual_ashrrev_i32 v190, 31, v191
	v_xor_b32_e32 v188, s18, v188
	v_xor_b32_e32 v189, s19, v189
	v_bitop3_b32 v61, v61, v67, v66 bitop3:0x80
	v_mad_u32_u24 v66, v65, 36, v23
	v_xor_b32_e32 v64, s20, v64
	v_xor_b32_e32 v67, s21, v190
	s_delay_alu instid0(VALU_DEP_4) | instskip(SKIP_3) | instid1(VALU_DEP_2)
	v_bitop3_b32 v61, v61, v189, v188 bitop3:0x80
	ds_load_b32 v189, v66 offset:1056
	; wave barrier
	v_bitop3_b32 v61, v61, v67, v64 bitop3:0x80
	v_mul_u32_u24_e32 v64, 36, v65
	v_mbcnt_lo_u32_b32 v190, v61, 0
	v_cmp_ne_u32_e64 s15, 0, v61
	s_delay_alu instid0(VALU_DEP_3) | instskip(NEXT) | instid1(VALU_DEP_3)
	v_add_nc_u32_e32 v191, v23, v64
	v_cmp_eq_u32_e32 vcc_lo, 0, v190
	s_and_b32 s16, s15, vcc_lo
	s_delay_alu instid0(SALU_CYCLE_1)
	s_and_saveexec_b32 s15, s16
	s_cbranch_execz .LBB1937_158
; %bb.157:                              ;   in Loop: Header=BB1937_96 Depth=2
	s_wait_dscnt 0x0
	v_bcnt_u32_b32 v61, v61, v189
	ds_store_b32 v191, v61 offset:1056
.LBB1937_158:                           ;   in Loop: Header=BB1937_96 Depth=2
	s_or_b32 exec_lo, exec_lo, s15
	v_cmp_gt_i16_e32 vcc_lo, 0, v63
	; wave barrier
	v_cndmask_b32_e64 v61, 0x7fff, 0, vcc_lo
	s_delay_alu instid0(VALU_DEP_1) | instskip(NEXT) | instid1(VALU_DEP_1)
	v_xor_b32_e32 v188, v61, v63
	v_cmp_ne_u16_e64 vcc_lo, 0x8000, v188
	v_cndmask_b32_e32 v61, 0x7fff, v188, vcc_lo
	s_delay_alu instid0(VALU_DEP_1) | instskip(NEXT) | instid1(VALU_DEP_1)
	v_and_b32_e32 v61, 0xffff, v61
	v_lshrrev_b32_e32 v61, s48, v61
	s_delay_alu instid0(VALU_DEP_1) | instskip(SKIP_1) | instid1(VALU_DEP_2)
	v_bitop3_b32 v63, v61, 1, s52 bitop3:0x80
	v_and_b32_e32 v64, s52, v61
	v_add_co_u32 v61, s15, v63, -1
	s_delay_alu instid0(VALU_DEP_1) | instskip(NEXT) | instid1(VALU_DEP_3)
	v_cndmask_b32_e64 v63, 0, 1, s15
	v_lshlrev_b32_e32 v65, 30, v64
	s_delay_alu instid0(VALU_DEP_2) | instskip(NEXT) | instid1(VALU_DEP_2)
	v_cmp_ne_u32_e32 vcc_lo, 0, v63
	v_not_b32_e32 v63, v65
	s_delay_alu instid0(VALU_DEP_1) | instskip(SKIP_4) | instid1(VALU_DEP_4)
	v_dual_ashrrev_i32 v63, 31, v63 :: v_dual_bitop2_b32 v61, vcc_lo, v61 bitop3:0x14
	v_dual_lshlrev_b32 v66, 29, v64 :: v_dual_lshlrev_b32 v67, 28, v64
	v_dual_lshlrev_b32 v192, 27, v64 :: v_dual_lshlrev_b32 v193, 26, v64
	v_lshlrev_b32_e32 v194, 25, v64
	v_cmp_gt_i32_e64 s15, 0, v65
	v_cmp_gt_i32_e64 s16, 0, v66
	v_not_b32_e32 v65, v66
	v_not_b32_e32 v66, v67
	v_lshlrev_b32_e32 v195, 24, v64
	v_cmp_gt_i32_e64 s17, 0, v67
	v_cmp_gt_i32_e64 s18, 0, v192
	v_not_b32_e32 v67, v192
	v_not_b32_e32 v192, v193
	v_dual_ashrrev_i32 v65, 31, v65 :: v_dual_bitop2_b32 v63, s15, v63 bitop3:0x14
	v_ashrrev_i32_e32 v66, 31, v66
	v_cmp_gt_i32_e64 s19, 0, v193
	v_cmp_gt_i32_e64 s20, 0, v194
	v_not_b32_e32 v193, v194
	v_not_b32_e32 v194, v195
	v_dual_ashrrev_i32 v67, 31, v67 :: v_dual_ashrrev_i32 v192, 31, v192
	v_xor_b32_e32 v65, s16, v65
	v_xor_b32_e32 v66, s17, v66
	v_bitop3_b32 v61, v61, v63, exec_lo bitop3:0x80
	v_cmp_gt_i32_e64 s21, 0, v195
	v_dual_ashrrev_i32 v63, 31, v193 :: v_dual_ashrrev_i32 v193, 31, v194
	v_xor_b32_e32 v67, s18, v67
	v_xor_b32_e32 v192, s19, v192
	v_bitop3_b32 v61, v61, v66, v65 bitop3:0x80
	v_mad_u32_u24 v65, v64, 36, v23
	v_xor_b32_e32 v63, s20, v63
	v_xor_b32_e32 v66, s21, v193
	s_delay_alu instid0(VALU_DEP_4) | instskip(SKIP_3) | instid1(VALU_DEP_2)
	v_bitop3_b32 v61, v61, v192, v67 bitop3:0x80
	ds_load_b32 v193, v65 offset:1056
	; wave barrier
	v_bitop3_b32 v61, v61, v66, v63 bitop3:0x80
	v_mul_u32_u24_e32 v63, 36, v64
	v_mbcnt_lo_u32_b32 v194, v61, 0
	v_cmp_ne_u32_e64 s15, 0, v61
	s_delay_alu instid0(VALU_DEP_3) | instskip(NEXT) | instid1(VALU_DEP_3)
	v_add_nc_u32_e32 v195, v23, v63
	v_cmp_eq_u32_e32 vcc_lo, 0, v194
	s_and_b32 s16, s15, vcc_lo
	s_delay_alu instid0(SALU_CYCLE_1)
	s_and_saveexec_b32 s15, s16
	s_cbranch_execz .LBB1937_160
; %bb.159:                              ;   in Loop: Header=BB1937_96 Depth=2
	s_wait_dscnt 0x0
	v_bcnt_u32_b32 v61, v61, v193
	ds_store_b32 v195, v61 offset:1056
.LBB1937_160:                           ;   in Loop: Header=BB1937_96 Depth=2
	s_or_b32 exec_lo, exec_lo, s15
	v_cmp_gt_i16_e32 vcc_lo, 0, v62
	; wave barrier
	v_cndmask_b32_e64 v61, 0x7fff, 0, vcc_lo
	s_delay_alu instid0(VALU_DEP_1) | instskip(NEXT) | instid1(VALU_DEP_1)
	v_xor_b32_e32 v192, v61, v62
	v_cmp_ne_u16_e64 vcc_lo, 0x8000, v192
	v_cndmask_b32_e32 v61, 0x7fff, v192, vcc_lo
	s_delay_alu instid0(VALU_DEP_1) | instskip(NEXT) | instid1(VALU_DEP_1)
	v_and_b32_e32 v61, 0xffff, v61
	v_lshrrev_b32_e32 v61, s48, v61
	s_delay_alu instid0(VALU_DEP_1) | instskip(SKIP_1) | instid1(VALU_DEP_2)
	v_bitop3_b32 v62, v61, 1, s52 bitop3:0x80
	v_and_b32_e32 v63, s52, v61
	v_add_co_u32 v61, s15, v62, -1
	s_delay_alu instid0(VALU_DEP_1) | instskip(NEXT) | instid1(VALU_DEP_3)
	v_cndmask_b32_e64 v62, 0, 1, s15
	v_lshlrev_b32_e32 v64, 30, v63
	s_delay_alu instid0(VALU_DEP_2) | instskip(NEXT) | instid1(VALU_DEP_2)
	v_cmp_ne_u32_e32 vcc_lo, 0, v62
	v_not_b32_e32 v62, v64
	v_cmp_gt_i32_e64 s15, 0, v64
	s_delay_alu instid0(VALU_DEP_2) | instskip(SKIP_3) | instid1(VALU_DEP_4)
	v_dual_ashrrev_i32 v62, 31, v62 :: v_dual_lshlrev_b32 v65, 29, v63
	v_dual_lshlrev_b32 v66, 28, v63 :: v_dual_lshlrev_b32 v67, 27, v63
	v_dual_lshlrev_b32 v196, 26, v63 :: v_dual_lshlrev_b32 v197, 25, v63
	v_lshlrev_b32_e32 v198, 24, v63
	v_cmp_gt_i32_e64 s16, 0, v65
	v_not_b32_e32 v64, v65
	v_not_b32_e32 v65, v66
	v_cmp_gt_i32_e64 s17, 0, v66
	v_cmp_gt_i32_e64 s18, 0, v67
	v_not_b32_e32 v66, v67
	v_not_b32_e32 v67, v196
	v_dual_ashrrev_i32 v64, 31, v64 :: v_dual_bitop2_b32 v61, vcc_lo, v61 bitop3:0x14
	v_dual_ashrrev_i32 v65, 31, v65 :: v_dual_bitop2_b32 v62, s15, v62 bitop3:0x14
	v_cmp_gt_i32_e64 s19, 0, v196
	v_cmp_gt_i32_e64 s20, 0, v197
	v_not_b32_e32 v196, v197
	v_not_b32_e32 v197, v198
	v_dual_ashrrev_i32 v66, 31, v66 :: v_dual_ashrrev_i32 v67, 31, v67
	v_xor_b32_e32 v64, s16, v64
	v_xor_b32_e32 v65, s17, v65
	v_bitop3_b32 v61, v61, v62, exec_lo bitop3:0x80
	v_cmp_gt_i32_e64 s21, 0, v198
	v_dual_ashrrev_i32 v62, 31, v196 :: v_dual_ashrrev_i32 v196, 31, v197
	v_xor_b32_e32 v66, s18, v66
	v_xor_b32_e32 v67, s19, v67
	v_bitop3_b32 v61, v61, v65, v64 bitop3:0x80
	v_mad_u32_u24 v64, v63, 36, v23
	v_xor_b32_e32 v62, s20, v62
	v_xor_b32_e32 v65, s21, v196
	s_delay_alu instid0(VALU_DEP_4) | instskip(SKIP_3) | instid1(VALU_DEP_2)
	v_bitop3_b32 v61, v61, v67, v66 bitop3:0x80
	ds_load_b32 v197, v64 offset:1056
	; wave barrier
	v_bitop3_b32 v61, v61, v65, v62 bitop3:0x80
	v_mul_u32_u24_e32 v62, 36, v63
	v_mbcnt_lo_u32_b32 v198, v61, 0
	v_cmp_ne_u32_e64 s15, 0, v61
	s_delay_alu instid0(VALU_DEP_3) | instskip(NEXT) | instid1(VALU_DEP_3)
	v_add_nc_u32_e32 v199, v23, v62
	v_cmp_eq_u32_e32 vcc_lo, 0, v198
	s_and_b32 s16, s15, vcc_lo
	s_delay_alu instid0(SALU_CYCLE_1)
	s_and_saveexec_b32 s15, s16
	s_cbranch_execz .LBB1937_162
; %bb.161:                              ;   in Loop: Header=BB1937_96 Depth=2
	s_wait_dscnt 0x0
	v_bcnt_u32_b32 v61, v61, v197
	ds_store_b32 v199, v61 offset:1056
.LBB1937_162:                           ;   in Loop: Header=BB1937_96 Depth=2
	s_or_b32 exec_lo, exec_lo, s15
	v_cmp_gt_i16_e32 vcc_lo, 0, v60
	; wave barrier
	v_cndmask_b32_e64 v61, 0x7fff, 0, vcc_lo
	s_delay_alu instid0(VALU_DEP_1) | instskip(NEXT) | instid1(VALU_DEP_1)
	v_xor_b32_e32 v196, v61, v60
	v_cmp_ne_u16_e64 vcc_lo, 0x8000, v196
	v_cndmask_b32_e32 v60, 0x7fff, v196, vcc_lo
	s_delay_alu instid0(VALU_DEP_1) | instskip(NEXT) | instid1(VALU_DEP_1)
	v_and_b32_e32 v60, 0xffff, v60
	v_lshrrev_b32_e32 v60, s48, v60
	s_delay_alu instid0(VALU_DEP_1) | instskip(SKIP_1) | instid1(VALU_DEP_2)
	v_bitop3_b32 v61, v60, 1, s52 bitop3:0x80
	v_and_b32_e32 v62, s52, v60
	v_add_co_u32 v60, s15, v61, -1
	s_delay_alu instid0(VALU_DEP_1) | instskip(NEXT) | instid1(VALU_DEP_3)
	v_cndmask_b32_e64 v61, 0, 1, s15
	v_lshlrev_b32_e32 v63, 30, v62
	s_delay_alu instid0(VALU_DEP_2) | instskip(NEXT) | instid1(VALU_DEP_2)
	v_cmp_ne_u32_e32 vcc_lo, 0, v61
	v_not_b32_e32 v61, v63
	v_cmp_gt_i32_e64 s15, 0, v63
	s_delay_alu instid0(VALU_DEP_2) | instskip(SKIP_3) | instid1(VALU_DEP_4)
	v_dual_ashrrev_i32 v61, 31, v61 :: v_dual_lshlrev_b32 v64, 29, v62
	v_dual_lshlrev_b32 v65, 28, v62 :: v_dual_lshlrev_b32 v66, 27, v62
	v_dual_lshlrev_b32 v67, 26, v62 :: v_dual_lshlrev_b32 v200, 25, v62
	v_lshlrev_b32_e32 v201, 24, v62
	v_cmp_gt_i32_e64 s16, 0, v64
	v_not_b32_e32 v63, v64
	v_not_b32_e32 v64, v65
	v_cmp_gt_i32_e64 s17, 0, v65
	v_cmp_gt_i32_e64 s18, 0, v66
	v_not_b32_e32 v65, v66
	v_not_b32_e32 v66, v67
	v_dual_ashrrev_i32 v63, 31, v63 :: v_dual_bitop2_b32 v60, vcc_lo, v60 bitop3:0x14
	v_dual_ashrrev_i32 v64, 31, v64 :: v_dual_bitop2_b32 v61, s15, v61 bitop3:0x14
	v_cmp_gt_i32_e64 s19, 0, v67
	v_cmp_gt_i32_e64 s20, 0, v200
	v_not_b32_e32 v67, v200
	v_not_b32_e32 v200, v201
	v_dual_ashrrev_i32 v65, 31, v65 :: v_dual_ashrrev_i32 v66, 31, v66
	v_xor_b32_e32 v63, s16, v63
	v_xor_b32_e32 v64, s17, v64
	v_bitop3_b32 v60, v60, v61, exec_lo bitop3:0x80
	v_cmp_gt_i32_e64 s21, 0, v201
	v_dual_ashrrev_i32 v61, 31, v67 :: v_dual_ashrrev_i32 v67, 31, v200
	v_xor_b32_e32 v65, s18, v65
	v_xor_b32_e32 v66, s19, v66
	v_bitop3_b32 v60, v60, v64, v63 bitop3:0x80
	v_mad_u32_u24 v63, v62, 36, v23
	v_xor_b32_e32 v61, s20, v61
	v_xor_b32_e32 v64, s21, v67
	s_delay_alu instid0(VALU_DEP_4) | instskip(SKIP_3) | instid1(VALU_DEP_2)
	v_bitop3_b32 v60, v60, v66, v65 bitop3:0x80
	ds_load_b32 v200, v63 offset:1056
	; wave barrier
	v_bitop3_b32 v60, v60, v64, v61 bitop3:0x80
	v_mul_u32_u24_e32 v61, 36, v62
	v_mbcnt_lo_u32_b32 v201, v60, 0
	v_cmp_ne_u32_e64 s15, 0, v60
	s_delay_alu instid0(VALU_DEP_3) | instskip(NEXT) | instid1(VALU_DEP_3)
	v_add_nc_u32_e32 v202, v23, v61
	v_cmp_eq_u32_e32 vcc_lo, 0, v201
	s_and_b32 s16, s15, vcc_lo
	s_delay_alu instid0(SALU_CYCLE_1)
	s_and_saveexec_b32 s15, s16
	s_cbranch_execz .LBB1937_164
; %bb.163:                              ;   in Loop: Header=BB1937_96 Depth=2
	s_wait_dscnt 0x0
	v_bcnt_u32_b32 v60, v60, v200
	ds_store_b32 v202, v60 offset:1056
.LBB1937_164:                           ;   in Loop: Header=BB1937_96 Depth=2
	s_or_b32 exec_lo, exec_lo, s15
	; wave barrier
	s_wait_dscnt 0x0
	s_barrier_signal -1
	s_barrier_wait -1
	ds_load_2addr_b32 v[66:67], v118 offset1:1
	ds_load_2addr_b32 v[64:65], v119 offset1:1
	;; [unrolled: 1-line block ×4, first 2 shown]
	ds_load_b32 v203, v91 offset:1088
	s_wait_dscnt 0x3
	v_add3_u32 v204, v67, v66, v64
	s_wait_dscnt 0x2
	s_delay_alu instid0(VALU_DEP_1) | instskip(SKIP_1) | instid1(VALU_DEP_1)
	v_add3_u32 v204, v204, v65, v62
	s_wait_dscnt 0x1
	v_add3_u32 v204, v204, v63, v60
	s_wait_dscnt 0x0
	s_delay_alu instid0(VALU_DEP_1) | instskip(NEXT) | instid1(VALU_DEP_1)
	v_add3_u32 v203, v204, v61, v203
	v_mov_b32_dpp v204, v203 row_shr:1 row_mask:0xf bank_mask:0xf
	s_delay_alu instid0(VALU_DEP_1) | instskip(NEXT) | instid1(VALU_DEP_1)
	v_cndmask_b32_e64 v204, v204, 0, s7
	v_add_nc_u32_e32 v203, v204, v203
	s_delay_alu instid0(VALU_DEP_1) | instskip(NEXT) | instid1(VALU_DEP_1)
	v_mov_b32_dpp v204, v203 row_shr:2 row_mask:0xf bank_mask:0xf
	v_cndmask_b32_e64 v204, 0, v204, s8
	s_delay_alu instid0(VALU_DEP_1) | instskip(NEXT) | instid1(VALU_DEP_1)
	v_add_nc_u32_e32 v203, v203, v204
	v_mov_b32_dpp v204, v203 row_shr:4 row_mask:0xf bank_mask:0xf
	s_delay_alu instid0(VALU_DEP_1) | instskip(NEXT) | instid1(VALU_DEP_1)
	v_cndmask_b32_e64 v204, 0, v204, s9
	v_add_nc_u32_e32 v203, v203, v204
	s_delay_alu instid0(VALU_DEP_1) | instskip(NEXT) | instid1(VALU_DEP_1)
	v_mov_b32_dpp v204, v203 row_shr:8 row_mask:0xf bank_mask:0xf
	v_cndmask_b32_e64 v204, 0, v204, s10
	s_delay_alu instid0(VALU_DEP_1) | instskip(SKIP_3) | instid1(VALU_DEP_1)
	v_add_nc_u32_e32 v203, v203, v204
	ds_swizzle_b32 v204, v203 offset:swizzle(BROADCAST,32,15)
	s_wait_dscnt 0x0
	v_cndmask_b32_e64 v204, v204, 0, s11
	v_add_nc_u32_e32 v203, v203, v204
	s_and_saveexec_b32 s15, s1
; %bb.165:                              ;   in Loop: Header=BB1937_96 Depth=2
	ds_store_b32 v84, v203 offset:1024
; %bb.166:                              ;   in Loop: Header=BB1937_96 Depth=2
	s_or_b32 exec_lo, exec_lo, s15
	s_wait_dscnt 0x0
	s_barrier_signal -1
	s_barrier_wait -1
	s_and_saveexec_b32 s15, s4
	s_cbranch_execz .LBB1937_168
; %bb.167:                              ;   in Loop: Header=BB1937_96 Depth=2
	ds_load_b32 v204, v92 offset:1024
	s_wait_dscnt 0x0
	v_mov_b32_dpp v205, v204 row_shr:1 row_mask:0xf bank_mask:0xf
	s_delay_alu instid0(VALU_DEP_1) | instskip(NEXT) | instid1(VALU_DEP_1)
	v_cndmask_b32_e64 v205, v205, 0, s12
	v_add_nc_u32_e32 v204, v205, v204
	s_delay_alu instid0(VALU_DEP_1) | instskip(NEXT) | instid1(VALU_DEP_1)
	v_mov_b32_dpp v205, v204 row_shr:2 row_mask:0xf bank_mask:0xf
	v_cndmask_b32_e64 v205, 0, v205, s13
	s_delay_alu instid0(VALU_DEP_1) | instskip(NEXT) | instid1(VALU_DEP_1)
	v_add_nc_u32_e32 v204, v204, v205
	v_mov_b32_dpp v205, v204 row_shr:4 row_mask:0xf bank_mask:0xf
	s_delay_alu instid0(VALU_DEP_1) | instskip(NEXT) | instid1(VALU_DEP_1)
	v_cndmask_b32_e64 v205, 0, v205, s14
	v_add_nc_u32_e32 v204, v204, v205
	ds_store_b32 v92, v204 offset:1024
.LBB1937_168:                           ;   in Loop: Header=BB1937_96 Depth=2
	s_or_b32 exec_lo, exec_lo, s15
	v_mov_b32_e32 v204, 0
	s_wait_dscnt 0x0
	s_barrier_signal -1
	s_barrier_wait -1
	s_and_saveexec_b32 s15, s5
; %bb.169:                              ;   in Loop: Header=BB1937_96 Depth=2
	ds_load_b32 v204, v84 offset:1020
; %bb.170:                              ;   in Loop: Header=BB1937_96 Depth=2
	s_or_b32 exec_lo, exec_lo, s15
	s_wait_dscnt 0x0
	v_add_nc_u32_e32 v203, v204, v203
	ds_bpermute_b32 v203, v122, v203
	s_wait_dscnt 0x0
	v_cndmask_b32_e64 v203, v203, v204, s6
	s_delay_alu instid0(VALU_DEP_1) | instskip(NEXT) | instid1(VALU_DEP_1)
	v_cndmask_b32_e64 v203, v203, 0, s2
	v_add_nc_u32_e32 v66, v203, v66
	s_delay_alu instid0(VALU_DEP_1) | instskip(NEXT) | instid1(VALU_DEP_1)
	v_add_nc_u32_e32 v67, v66, v67
	v_add_nc_u32_e32 v64, v67, v64
	s_delay_alu instid0(VALU_DEP_1) | instskip(NEXT) | instid1(VALU_DEP_1)
	v_add_nc_u32_e32 v65, v64, v65
	;; [unrolled: 3-line block ×3, first 2 shown]
	v_add_nc_u32_e32 v60, v63, v60
	s_delay_alu instid0(VALU_DEP_1)
	v_add_nc_u32_e32 v61, v60, v61
	ds_store_2addr_b32 v121, v63, v60 offset1:1
	ds_store_2addr_b32 v118, v203, v66 offset1:1
	;; [unrolled: 1-line block ×4, first 2 shown]
	ds_store_b32 v91, v61 offset:1088
	s_wait_dscnt 0x0
	s_barrier_signal -1
	s_barrier_wait -1
	ds_load_b32 v63, v143 offset:1056
	ds_load_b32 v65, v147 offset:1056
	;; [unrolled: 1-line block ×17, first 2 shown]
	v_mov_b32_e32 v62, 0x1000
	s_and_saveexec_b32 s15, s3
; %bb.171:                              ;   in Loop: Header=BB1937_96 Depth=2
	ds_load_b32 v62, v91 offset:1092
; %bb.172:                              ;   in Loop: Header=BB1937_96 Depth=2
	s_or_b32 exec_lo, exec_lo, s15
	s_wait_dscnt 0x0
	s_barrier_signal -1
	s_barrier_wait -1
	s_and_saveexec_b32 s15, s0
	s_cbranch_execz .LBB1937_174
; %bb.173:                              ;   in Loop: Header=BB1937_96 Depth=2
	ds_load_b32 v155, v3
	s_wait_dscnt 0x0
	v_sub_nc_u32_e32 v151, v155, v151
	ds_store_b32 v3, v151
.LBB1937_174:                           ;   in Loop: Header=BB1937_96 Depth=2
	s_or_b32 exec_lo, exec_lo, s15
	v_add3_u32 v159, v146, v145, v65
	v_add_nc_u32_e32 v163, v63, v142
	v_add3_u32 v155, v150, v149, v66
	v_add3_u32 v151, v154, v153, v67
	;; [unrolled: 1-line block ×4, first 2 shown]
	v_lshlrev_b32_e32 v60, 1, v159
	v_lshlrev_b32_e32 v153, 1, v163
	v_add3_u32 v150, v158, v157, v143
	v_add3_u32 v147, v166, v165, v203
	;; [unrolled: 1-line block ×4, first 2 shown]
	v_lshlrev_b32_e32 v61, 1, v155
	v_add3_u32 v145, v174, v173, v175
	v_lshlrev_b32_e32 v154, 1, v149
	ds_store_b16 v153, v140 offset:1024
	v_lshlrev_b32_e32 v140, 1, v151
	v_add3_u32 v143, v178, v177, v179
	v_lshlrev_b32_e32 v153, 1, v150
	v_add3_u32 v142, v182, v181, v183
	v_add3_u32 v63, v186, v185, v187
	ds_store_b16 v60, v141 offset:1024
	ds_store_b16 v61, v144 offset:1024
	;; [unrolled: 1-line block ×5, first 2 shown]
	v_dual_lshlrev_b32 v60, 1, v147 :: v_dual_lshlrev_b32 v140, 1, v145
	v_lshlrev_b32_e32 v61, 1, v146
	v_add3_u32 v65, v198, v197, v64
	v_dual_lshlrev_b32 v141, 1, v143 :: v_dual_lshlrev_b32 v144, 1, v142
	v_add3_u32 v64, v201, v200, v167
	ds_store_b16 v60, v160 offset:1024
	ds_store_b16 v61, v164 offset:1024
	;; [unrolled: 1-line block ×5, first 2 shown]
	v_dual_lshlrev_b32 v60, 1, v63 :: v_dual_lshlrev_b32 v140, 1, v66
	v_cmp_lt_u32_e32 vcc_lo, v2, v139
	v_dual_lshlrev_b32 v61, 1, v67 :: v_dual_lshlrev_b32 v141, 1, v65
	v_lshlrev_b32_e32 v144, 1, v64
	ds_store_b16 v60, v180 offset:1024
	ds_store_b16 v61, v184 offset:1024
	;; [unrolled: 1-line block ×5, first 2 shown]
	s_wait_dscnt 0x0
	s_barrier_signal -1
	s_barrier_wait -1
	s_and_saveexec_b32 s16, vcc_lo
	s_cbranch_execnz .LBB1937_243
; %bb.175:                              ;   in Loop: Header=BB1937_96 Depth=2
	s_or_b32 exec_lo, exec_lo, s16
	v_cmp_lt_u32_e64 s15, v68, v139
	s_and_saveexec_b32 s17, s15
	s_cbranch_execnz .LBB1937_244
.LBB1937_176:                           ;   in Loop: Header=BB1937_96 Depth=2
	s_or_b32 exec_lo, exec_lo, s17
	v_cmp_lt_u32_e64 s16, v69, v139
	s_and_saveexec_b32 s18, s16
	s_cbranch_execnz .LBB1937_245
.LBB1937_177:                           ;   in Loop: Header=BB1937_96 Depth=2
	s_or_b32 exec_lo, exec_lo, s18
	v_cmp_lt_u32_e64 s17, v70, v139
	s_and_saveexec_b32 s19, s17
	s_cbranch_execnz .LBB1937_246
.LBB1937_178:                           ;   in Loop: Header=BB1937_96 Depth=2
	s_or_b32 exec_lo, exec_lo, s19
	v_cmp_lt_u32_e64 s18, v71, v139
	s_and_saveexec_b32 s20, s18
	s_cbranch_execnz .LBB1937_247
.LBB1937_179:                           ;   in Loop: Header=BB1937_96 Depth=2
	s_or_b32 exec_lo, exec_lo, s20
	v_cmp_lt_u32_e64 s19, v72, v139
	s_and_saveexec_b32 s21, s19
	s_cbranch_execnz .LBB1937_248
.LBB1937_180:                           ;   in Loop: Header=BB1937_96 Depth=2
	s_or_b32 exec_lo, exec_lo, s21
	v_cmp_lt_u32_e64 s20, v73, v139
	s_and_saveexec_b32 s22, s20
	s_cbranch_execnz .LBB1937_249
.LBB1937_181:                           ;   in Loop: Header=BB1937_96 Depth=2
	s_or_b32 exec_lo, exec_lo, s22
	v_cmp_lt_u32_e64 s21, v74, v139
	s_and_saveexec_b32 s23, s21
	s_cbranch_execnz .LBB1937_250
.LBB1937_182:                           ;   in Loop: Header=BB1937_96 Depth=2
	s_or_b32 exec_lo, exec_lo, s23
	v_cmp_lt_u32_e64 s22, v75, v139
	s_and_saveexec_b32 s24, s22
	s_cbranch_execnz .LBB1937_251
.LBB1937_183:                           ;   in Loop: Header=BB1937_96 Depth=2
	s_or_b32 exec_lo, exec_lo, s24
	v_cmp_lt_u32_e64 s23, v76, v139
	s_and_saveexec_b32 s25, s23
	s_cbranch_execnz .LBB1937_252
.LBB1937_184:                           ;   in Loop: Header=BB1937_96 Depth=2
	s_or_b32 exec_lo, exec_lo, s25
	v_cmp_lt_u32_e64 s24, v77, v139
	s_and_saveexec_b32 s26, s24
	s_cbranch_execnz .LBB1937_253
.LBB1937_185:                           ;   in Loop: Header=BB1937_96 Depth=2
	s_or_b32 exec_lo, exec_lo, s26
	v_cmp_lt_u32_e64 s25, v78, v139
	s_and_saveexec_b32 s27, s25
	s_cbranch_execnz .LBB1937_254
.LBB1937_186:                           ;   in Loop: Header=BB1937_96 Depth=2
	s_or_b32 exec_lo, exec_lo, s27
	v_cmp_lt_u32_e64 s26, v79, v139
	s_and_saveexec_b32 s28, s26
	s_cbranch_execnz .LBB1937_255
.LBB1937_187:                           ;   in Loop: Header=BB1937_96 Depth=2
	s_or_b32 exec_lo, exec_lo, s28
	v_cmp_lt_u32_e64 s27, v80, v139
	s_and_saveexec_b32 s29, s27
	s_cbranch_execnz .LBB1937_256
.LBB1937_188:                           ;   in Loop: Header=BB1937_96 Depth=2
	s_or_b32 exec_lo, exec_lo, s29
	v_cmp_lt_u32_e64 s28, v81, v139
	s_and_saveexec_b32 s30, s28
	s_cbranch_execnz .LBB1937_257
.LBB1937_189:                           ;   in Loop: Header=BB1937_96 Depth=2
	s_or_b32 exec_lo, exec_lo, s30
	v_cmp_lt_u32_e64 s29, v82, v139
	s_and_saveexec_b32 s58, s29
	s_cbranch_execz .LBB1937_191
.LBB1937_190:                           ;   in Loop: Header=BB1937_96 Depth=2
	ds_load_u16 v60, v93 offset:8704
	s_wait_dscnt 0x0
	v_cmp_ne_u16_e64 s30, 0x8000, v60
	s_delay_alu instid0(VALU_DEP_1) | instskip(SKIP_1) | instid1(VALU_DEP_2)
	v_cndmask_b32_e64 v61, 0x7fff, v60, s30
	v_cmp_gt_i16_e64 s30, 0, v60
	v_and_b32_e32 v61, 0xffff, v61
	s_delay_alu instid0(VALU_DEP_2) | instskip(NEXT) | instid1(VALU_DEP_1)
	v_cndmask_b32_e64 v140, 0x7fff, 0, s30
	v_dual_lshrrev_b32 v61, s48, v61 :: v_dual_bitop2_b32 v60, v140, v60 bitop3:0x14
	s_delay_alu instid0(VALU_DEP_1) | instskip(NEXT) | instid1(VALU_DEP_1)
	v_and_b32_e32 v61, s52, v61
	v_lshlrev_b32_e32 v61, 2, v61
	ds_load_b32 v61, v61
	s_wait_dscnt 0x0
	v_add_nc_u32_e32 v61, v61, v82
	global_store_b16 v61, v60, s[38:39] scale_offset
.LBB1937_191:                           ;   in Loop: Header=BB1937_96 Depth=2
	s_wait_xcnt 0x0
	s_or_b32 exec_lo, exec_lo, s58
	v_lshl_add_u64 v[60:61], s[42:43], 3, v[24:25]
	v_cmp_lt_u32_e64 s30, v100, v139
	s_and_saveexec_b32 s42, s30
	s_delay_alu instid0(SALU_CYCLE_1)
	s_xor_b32 s30, exec_lo, s42
	s_cbranch_execnz .LBB1937_258
; %bb.192:                              ;   in Loop: Header=BB1937_96 Depth=2
	s_or_b32 exec_lo, exec_lo, s30
	s_delay_alu instid0(SALU_CYCLE_1)
	s_mov_b32 s42, exec_lo
	v_cmpx_lt_u32_e64 v103, v139
	s_cbranch_execnz .LBB1937_259
.LBB1937_193:                           ;   in Loop: Header=BB1937_96 Depth=2
	s_or_b32 exec_lo, exec_lo, s42
	s_delay_alu instid0(SALU_CYCLE_1)
	s_mov_b32 s42, exec_lo
	v_cmpx_lt_u32_e64 v104, v139
	s_cbranch_execnz .LBB1937_260
.LBB1937_194:                           ;   in Loop: Header=BB1937_96 Depth=2
	s_or_b32 exec_lo, exec_lo, s42
	s_delay_alu instid0(SALU_CYCLE_1)
	s_mov_b32 s42, exec_lo
	v_cmpx_lt_u32_e64 v105, v139
	s_cbranch_execnz .LBB1937_261
.LBB1937_195:                           ;   in Loop: Header=BB1937_96 Depth=2
	s_or_b32 exec_lo, exec_lo, s42
	s_delay_alu instid0(SALU_CYCLE_1)
	s_mov_b32 s42, exec_lo
	v_cmpx_lt_u32_e64 v106, v139
	s_cbranch_execnz .LBB1937_262
.LBB1937_196:                           ;   in Loop: Header=BB1937_96 Depth=2
	s_or_b32 exec_lo, exec_lo, s42
	s_delay_alu instid0(SALU_CYCLE_1)
	s_mov_b32 s42, exec_lo
	v_cmpx_lt_u32_e64 v107, v139
	s_cbranch_execnz .LBB1937_263
.LBB1937_197:                           ;   in Loop: Header=BB1937_96 Depth=2
	s_or_b32 exec_lo, exec_lo, s42
	s_delay_alu instid0(SALU_CYCLE_1)
	s_mov_b32 s42, exec_lo
	v_cmpx_lt_u32_e64 v108, v139
	s_cbranch_execnz .LBB1937_264
.LBB1937_198:                           ;   in Loop: Header=BB1937_96 Depth=2
	s_or_b32 exec_lo, exec_lo, s42
	s_delay_alu instid0(SALU_CYCLE_1)
	s_mov_b32 s42, exec_lo
	v_cmpx_lt_u32_e64 v109, v139
	s_cbranch_execnz .LBB1937_265
.LBB1937_199:                           ;   in Loop: Header=BB1937_96 Depth=2
	s_or_b32 exec_lo, exec_lo, s42
	s_delay_alu instid0(SALU_CYCLE_1)
	s_mov_b32 s42, exec_lo
	v_cmpx_lt_u32_e64 v110, v139
	s_cbranch_execnz .LBB1937_266
.LBB1937_200:                           ;   in Loop: Header=BB1937_96 Depth=2
	s_or_b32 exec_lo, exec_lo, s42
	s_delay_alu instid0(SALU_CYCLE_1)
	s_mov_b32 s42, exec_lo
	v_cmpx_lt_u32_e64 v111, v139
	s_cbranch_execnz .LBB1937_267
.LBB1937_201:                           ;   in Loop: Header=BB1937_96 Depth=2
	s_or_b32 exec_lo, exec_lo, s42
	s_delay_alu instid0(SALU_CYCLE_1)
	s_mov_b32 s42, exec_lo
	v_cmpx_lt_u32_e64 v112, v139
	s_cbranch_execnz .LBB1937_268
.LBB1937_202:                           ;   in Loop: Header=BB1937_96 Depth=2
	s_or_b32 exec_lo, exec_lo, s42
	s_delay_alu instid0(SALU_CYCLE_1)
	s_mov_b32 s42, exec_lo
	v_cmpx_lt_u32_e64 v113, v139
	s_cbranch_execnz .LBB1937_269
.LBB1937_203:                           ;   in Loop: Header=BB1937_96 Depth=2
	s_or_b32 exec_lo, exec_lo, s42
	s_delay_alu instid0(SALU_CYCLE_1)
	s_mov_b32 s42, exec_lo
	v_cmpx_lt_u32_e64 v114, v139
	s_cbranch_execnz .LBB1937_270
.LBB1937_204:                           ;   in Loop: Header=BB1937_96 Depth=2
	s_or_b32 exec_lo, exec_lo, s42
	s_delay_alu instid0(SALU_CYCLE_1)
	s_mov_b32 s42, exec_lo
	v_cmpx_lt_u32_e64 v115, v139
	s_cbranch_execnz .LBB1937_271
.LBB1937_205:                           ;   in Loop: Header=BB1937_96 Depth=2
	s_or_b32 exec_lo, exec_lo, s42
	s_delay_alu instid0(SALU_CYCLE_1)
	s_mov_b32 s42, exec_lo
	v_cmpx_lt_u32_e64 v116, v139
	s_cbranch_execnz .LBB1937_272
.LBB1937_206:                           ;   in Loop: Header=BB1937_96 Depth=2
	s_or_b32 exec_lo, exec_lo, s42
	s_delay_alu instid0(SALU_CYCLE_1)
	s_mov_b32 s42, exec_lo
	v_cmpx_lt_u32_e64 v117, v139
	s_cbranch_execnz .LBB1937_273
.LBB1937_207:                           ;   in Loop: Header=BB1937_96 Depth=2
	s_or_b32 exec_lo, exec_lo, s42
	s_and_saveexec_b32 s42, vcc_lo
	s_cbranch_execnz .LBB1937_274
.LBB1937_208:                           ;   in Loop: Header=BB1937_96 Depth=2
	s_or_b32 exec_lo, exec_lo, s42
	s_and_saveexec_b32 s42, s15
	s_cbranch_execnz .LBB1937_275
.LBB1937_209:                           ;   in Loop: Header=BB1937_96 Depth=2
	s_or_b32 exec_lo, exec_lo, s42
	s_and_saveexec_b32 s42, s16
	s_cbranch_execnz .LBB1937_276
.LBB1937_210:                           ;   in Loop: Header=BB1937_96 Depth=2
	s_or_b32 exec_lo, exec_lo, s42
	s_and_saveexec_b32 s42, s17
	s_cbranch_execnz .LBB1937_277
.LBB1937_211:                           ;   in Loop: Header=BB1937_96 Depth=2
	s_or_b32 exec_lo, exec_lo, s42
	s_and_saveexec_b32 s42, s18
	s_cbranch_execnz .LBB1937_278
.LBB1937_212:                           ;   in Loop: Header=BB1937_96 Depth=2
	s_or_b32 exec_lo, exec_lo, s42
	s_and_saveexec_b32 s42, s19
	s_cbranch_execnz .LBB1937_279
.LBB1937_213:                           ;   in Loop: Header=BB1937_96 Depth=2
	s_or_b32 exec_lo, exec_lo, s42
	s_and_saveexec_b32 s42, s20
	s_cbranch_execnz .LBB1937_280
.LBB1937_214:                           ;   in Loop: Header=BB1937_96 Depth=2
	s_or_b32 exec_lo, exec_lo, s42
	s_and_saveexec_b32 s42, s21
	s_cbranch_execnz .LBB1937_281
.LBB1937_215:                           ;   in Loop: Header=BB1937_96 Depth=2
	s_or_b32 exec_lo, exec_lo, s42
	s_and_saveexec_b32 s42, s22
	s_cbranch_execnz .LBB1937_282
.LBB1937_216:                           ;   in Loop: Header=BB1937_96 Depth=2
	s_or_b32 exec_lo, exec_lo, s42
	s_and_saveexec_b32 s42, s23
	s_cbranch_execnz .LBB1937_283
.LBB1937_217:                           ;   in Loop: Header=BB1937_96 Depth=2
	s_or_b32 exec_lo, exec_lo, s42
	s_and_saveexec_b32 s42, s24
	s_cbranch_execnz .LBB1937_284
.LBB1937_218:                           ;   in Loop: Header=BB1937_96 Depth=2
	s_or_b32 exec_lo, exec_lo, s42
	s_and_saveexec_b32 s42, s25
	s_cbranch_execnz .LBB1937_285
.LBB1937_219:                           ;   in Loop: Header=BB1937_96 Depth=2
	s_or_b32 exec_lo, exec_lo, s42
	s_and_saveexec_b32 s42, s26
	s_cbranch_execnz .LBB1937_286
.LBB1937_220:                           ;   in Loop: Header=BB1937_96 Depth=2
	s_or_b32 exec_lo, exec_lo, s42
	s_and_saveexec_b32 s42, s27
	s_cbranch_execnz .LBB1937_287
.LBB1937_221:                           ;   in Loop: Header=BB1937_96 Depth=2
	s_or_b32 exec_lo, exec_lo, s42
	s_and_saveexec_b32 s42, s28
	s_cbranch_execnz .LBB1937_288
.LBB1937_222:                           ;   in Loop: Header=BB1937_96 Depth=2
	s_or_b32 exec_lo, exec_lo, s42
	s_and_saveexec_b32 s42, s29
	s_cbranch_execz .LBB1937_224
.LBB1937_223:                           ;   in Loop: Header=BB1937_96 Depth=2
	ds_load_u16 v60, v93 offset:8704
	s_wait_dscnt 0x0
	v_cmp_ne_u16_e64 s30, 0x8000, v60
	s_delay_alu instid0(VALU_DEP_1) | instskip(NEXT) | instid1(VALU_DEP_1)
	v_cndmask_b32_e64 v60, 0x7fff, v60, s30
	v_and_b32_e32 v60, 0xffff, v60
	s_delay_alu instid0(VALU_DEP_1) | instskip(NEXT) | instid1(VALU_DEP_1)
	v_lshrrev_b32_e32 v60, s48, v60
	v_and_b32_e32 v123, s52, v60
.LBB1937_224:                           ;   in Loop: Header=BB1937_96 Depth=2
	s_or_b32 exec_lo, exec_lo, s42
	v_dual_lshlrev_b32 v60, 3, v163 :: v_dual_lshlrev_b32 v140, 3, v150
	s_wait_loadcnt 0x0
	s_wait_storecnt 0x0
	s_barrier_signal -1
	s_barrier_wait -1
	ds_store_b64 v60, v[58:59] offset:1024
	v_dual_lshlrev_b32 v60, 3, v159 :: v_dual_lshlrev_b32 v141, 3, v149
	v_lshlrev_b32_e32 v61, 3, v155
	v_lshlrev_b32_e32 v139, 3, v151
	ds_store_b64 v60, v[56:57] offset:1024
	ds_store_b64 v61, v[54:55] offset:1024
	;; [unrolled: 1-line block ×5, first 2 shown]
	v_dual_lshlrev_b32 v60, 3, v147 :: v_dual_lshlrev_b32 v141, 3, v142
	v_dual_lshlrev_b32 v61, 3, v146 :: v_dual_lshlrev_b32 v139, 3, v145
	v_lshlrev_b32_e32 v140, 3, v143
	ds_store_b64 v60, v[46:47] offset:1024
	ds_store_b64 v61, v[44:45] offset:1024
	;; [unrolled: 1-line block ×5, first 2 shown]
	v_dual_lshlrev_b32 v60, 3, v63 :: v_dual_lshlrev_b32 v65, 3, v65
	v_dual_lshlrev_b32 v61, 3, v67 :: v_dual_lshlrev_b32 v64, 3, v64
	v_lshlrev_b32_e32 v63, 3, v66
	ds_store_b64 v60, v[36:37] offset:1024
	ds_store_b64 v61, v[34:35] offset:1024
	;; [unrolled: 1-line block ×5, first 2 shown]
	s_wait_dscnt 0x0
	s_barrier_signal -1
	s_barrier_wait -1
	s_and_saveexec_b32 s30, vcc_lo
	s_cbranch_execnz .LBB1937_289
; %bb.225:                              ;   in Loop: Header=BB1937_96 Depth=2
	s_or_b32 exec_lo, exec_lo, s30
	s_and_saveexec_b32 s30, s15
	s_cbranch_execnz .LBB1937_290
.LBB1937_226:                           ;   in Loop: Header=BB1937_96 Depth=2
	s_or_b32 exec_lo, exec_lo, s30
	s_and_saveexec_b32 s15, s16
	s_cbranch_execnz .LBB1937_291
.LBB1937_227:                           ;   in Loop: Header=BB1937_96 Depth=2
	s_or_b32 exec_lo, exec_lo, s15
	s_and_saveexec_b32 s15, s17
	s_cbranch_execnz .LBB1937_292
.LBB1937_228:                           ;   in Loop: Header=BB1937_96 Depth=2
	s_or_b32 exec_lo, exec_lo, s15
	s_and_saveexec_b32 s15, s18
	s_cbranch_execnz .LBB1937_293
.LBB1937_229:                           ;   in Loop: Header=BB1937_96 Depth=2
	s_or_b32 exec_lo, exec_lo, s15
	s_and_saveexec_b32 s15, s19
	s_cbranch_execnz .LBB1937_294
.LBB1937_230:                           ;   in Loop: Header=BB1937_96 Depth=2
	s_or_b32 exec_lo, exec_lo, s15
	s_and_saveexec_b32 s15, s20
	s_cbranch_execnz .LBB1937_295
.LBB1937_231:                           ;   in Loop: Header=BB1937_96 Depth=2
	s_or_b32 exec_lo, exec_lo, s15
	s_and_saveexec_b32 s15, s21
	s_cbranch_execnz .LBB1937_296
.LBB1937_232:                           ;   in Loop: Header=BB1937_96 Depth=2
	s_or_b32 exec_lo, exec_lo, s15
	s_and_saveexec_b32 s15, s22
	s_cbranch_execnz .LBB1937_297
.LBB1937_233:                           ;   in Loop: Header=BB1937_96 Depth=2
	s_or_b32 exec_lo, exec_lo, s15
	s_and_saveexec_b32 s15, s23
	s_cbranch_execnz .LBB1937_298
.LBB1937_234:                           ;   in Loop: Header=BB1937_96 Depth=2
	s_or_b32 exec_lo, exec_lo, s15
	s_and_saveexec_b32 s15, s24
	s_cbranch_execnz .LBB1937_299
.LBB1937_235:                           ;   in Loop: Header=BB1937_96 Depth=2
	s_or_b32 exec_lo, exec_lo, s15
	s_and_saveexec_b32 s15, s25
	s_cbranch_execnz .LBB1937_300
.LBB1937_236:                           ;   in Loop: Header=BB1937_96 Depth=2
	s_or_b32 exec_lo, exec_lo, s15
	s_and_saveexec_b32 s15, s26
	s_cbranch_execnz .LBB1937_301
.LBB1937_237:                           ;   in Loop: Header=BB1937_96 Depth=2
	s_or_b32 exec_lo, exec_lo, s15
	s_and_saveexec_b32 s15, s27
	s_cbranch_execnz .LBB1937_302
.LBB1937_238:                           ;   in Loop: Header=BB1937_96 Depth=2
	s_or_b32 exec_lo, exec_lo, s15
	s_and_saveexec_b32 s15, s28
	s_cbranch_execnz .LBB1937_303
.LBB1937_239:                           ;   in Loop: Header=BB1937_96 Depth=2
	s_or_b32 exec_lo, exec_lo, s15
	s_and_saveexec_b32 s15, s29
	s_cbranch_execz .LBB1937_241
.LBB1937_240:                           ;   in Loop: Header=BB1937_96 Depth=2
	v_dual_lshlrev_b32 v60, 2, v123 :: v_dual_add_nc_u32 v61, v93, v94
	ds_load_b32 v63, v60
	ds_load_b64 v[60:61], v61 offset:31744
	s_wait_dscnt 0x1
	v_add_nc_u32_e32 v63, v63, v82
	s_wait_dscnt 0x0
	global_store_b64 v63, v[60:61], s[44:45] scale_offset
.LBB1937_241:                           ;   in Loop: Header=BB1937_96 Depth=2
	s_wait_xcnt 0x0
	s_or_b32 exec_lo, exec_lo, s15
	s_wait_storecnt 0x0
	s_barrier_signal -1
	s_barrier_wait -1
	s_and_saveexec_b32 s15, s0
	s_cbranch_execz .LBB1937_95
; %bb.242:                              ;   in Loop: Header=BB1937_96 Depth=2
	ds_load_b32 v60, v3
	s_wait_dscnt 0x0
	v_add_nc_u32_e32 v60, v60, v62
	ds_store_b32 v3, v60
	s_branch .LBB1937_95
.LBB1937_243:                           ;   in Loop: Header=BB1937_96 Depth=2
	ds_load_u16 v60, v93 offset:1024
	s_wait_dscnt 0x0
	v_cmp_ne_u16_e64 s15, 0x8000, v60
	s_delay_alu instid0(VALU_DEP_1) | instskip(SKIP_1) | instid1(VALU_DEP_2)
	v_cndmask_b32_e64 v61, 0x7fff, v60, s15
	v_cmp_gt_i16_e64 s15, 0, v60
	v_and_b32_e32 v61, 0xffff, v61
	s_delay_alu instid0(VALU_DEP_2) | instskip(NEXT) | instid1(VALU_DEP_1)
	v_cndmask_b32_e64 v140, 0x7fff, 0, s15
	v_dual_lshrrev_b32 v61, s48, v61 :: v_dual_bitop2_b32 v60, v140, v60 bitop3:0x14
	s_delay_alu instid0(VALU_DEP_1) | instskip(NEXT) | instid1(VALU_DEP_1)
	v_and_b32_e32 v61, s52, v61
	v_lshlrev_b32_e32 v61, 2, v61
	ds_load_b32 v61, v61
	s_wait_dscnt 0x0
	v_add_nc_u32_e32 v61, v61, v2
	global_store_b16 v61, v60, s[38:39] scale_offset
	s_wait_xcnt 0x0
	s_or_b32 exec_lo, exec_lo, s16
	v_cmp_lt_u32_e64 s15, v68, v139
	s_and_saveexec_b32 s17, s15
	s_cbranch_execz .LBB1937_176
.LBB1937_244:                           ;   in Loop: Header=BB1937_96 Depth=2
	ds_load_u16 v60, v93 offset:1536
	s_wait_dscnt 0x0
	v_cmp_ne_u16_e64 s16, 0x8000, v60
	s_delay_alu instid0(VALU_DEP_1) | instskip(SKIP_1) | instid1(VALU_DEP_2)
	v_cndmask_b32_e64 v61, 0x7fff, v60, s16
	v_cmp_gt_i16_e64 s16, 0, v60
	v_and_b32_e32 v61, 0xffff, v61
	s_delay_alu instid0(VALU_DEP_2) | instskip(NEXT) | instid1(VALU_DEP_1)
	v_cndmask_b32_e64 v140, 0x7fff, 0, s16
	v_dual_lshrrev_b32 v61, s48, v61 :: v_dual_bitop2_b32 v60, v140, v60 bitop3:0x14
	s_delay_alu instid0(VALU_DEP_1) | instskip(NEXT) | instid1(VALU_DEP_1)
	v_and_b32_e32 v61, s52, v61
	v_lshlrev_b32_e32 v61, 2, v61
	ds_load_b32 v61, v61
	s_wait_dscnt 0x0
	v_add_nc_u32_e32 v61, v61, v68
	global_store_b16 v61, v60, s[38:39] scale_offset
	s_wait_xcnt 0x0
	s_or_b32 exec_lo, exec_lo, s17
	v_cmp_lt_u32_e64 s16, v69, v139
	s_and_saveexec_b32 s18, s16
	s_cbranch_execz .LBB1937_177
.LBB1937_245:                           ;   in Loop: Header=BB1937_96 Depth=2
	ds_load_u16 v60, v93 offset:2048
	s_wait_dscnt 0x0
	v_cmp_ne_u16_e64 s17, 0x8000, v60
	s_delay_alu instid0(VALU_DEP_1) | instskip(SKIP_1) | instid1(VALU_DEP_2)
	v_cndmask_b32_e64 v61, 0x7fff, v60, s17
	v_cmp_gt_i16_e64 s17, 0, v60
	v_and_b32_e32 v61, 0xffff, v61
	s_delay_alu instid0(VALU_DEP_2) | instskip(NEXT) | instid1(VALU_DEP_1)
	v_cndmask_b32_e64 v140, 0x7fff, 0, s17
	v_dual_lshrrev_b32 v61, s48, v61 :: v_dual_bitop2_b32 v60, v140, v60 bitop3:0x14
	s_delay_alu instid0(VALU_DEP_1) | instskip(NEXT) | instid1(VALU_DEP_1)
	v_and_b32_e32 v61, s52, v61
	v_lshlrev_b32_e32 v61, 2, v61
	ds_load_b32 v61, v61
	s_wait_dscnt 0x0
	v_add_nc_u32_e32 v61, v61, v69
	global_store_b16 v61, v60, s[38:39] scale_offset
	s_wait_xcnt 0x0
	s_or_b32 exec_lo, exec_lo, s18
	v_cmp_lt_u32_e64 s17, v70, v139
	s_and_saveexec_b32 s19, s17
	s_cbranch_execz .LBB1937_178
.LBB1937_246:                           ;   in Loop: Header=BB1937_96 Depth=2
	ds_load_u16 v60, v93 offset:2560
	s_wait_dscnt 0x0
	v_cmp_ne_u16_e64 s18, 0x8000, v60
	s_delay_alu instid0(VALU_DEP_1) | instskip(SKIP_1) | instid1(VALU_DEP_2)
	v_cndmask_b32_e64 v61, 0x7fff, v60, s18
	v_cmp_gt_i16_e64 s18, 0, v60
	v_and_b32_e32 v61, 0xffff, v61
	s_delay_alu instid0(VALU_DEP_2) | instskip(NEXT) | instid1(VALU_DEP_1)
	v_cndmask_b32_e64 v140, 0x7fff, 0, s18
	v_dual_lshrrev_b32 v61, s48, v61 :: v_dual_bitop2_b32 v60, v140, v60 bitop3:0x14
	s_delay_alu instid0(VALU_DEP_1) | instskip(NEXT) | instid1(VALU_DEP_1)
	v_and_b32_e32 v61, s52, v61
	v_lshlrev_b32_e32 v61, 2, v61
	ds_load_b32 v61, v61
	s_wait_dscnt 0x0
	v_add_nc_u32_e32 v61, v61, v70
	global_store_b16 v61, v60, s[38:39] scale_offset
	s_wait_xcnt 0x0
	s_or_b32 exec_lo, exec_lo, s19
	v_cmp_lt_u32_e64 s18, v71, v139
	s_and_saveexec_b32 s20, s18
	s_cbranch_execz .LBB1937_179
.LBB1937_247:                           ;   in Loop: Header=BB1937_96 Depth=2
	ds_load_u16 v60, v93 offset:3072
	s_wait_dscnt 0x0
	v_cmp_ne_u16_e64 s19, 0x8000, v60
	s_delay_alu instid0(VALU_DEP_1) | instskip(SKIP_1) | instid1(VALU_DEP_2)
	v_cndmask_b32_e64 v61, 0x7fff, v60, s19
	v_cmp_gt_i16_e64 s19, 0, v60
	v_and_b32_e32 v61, 0xffff, v61
	s_delay_alu instid0(VALU_DEP_2) | instskip(NEXT) | instid1(VALU_DEP_1)
	v_cndmask_b32_e64 v140, 0x7fff, 0, s19
	v_dual_lshrrev_b32 v61, s48, v61 :: v_dual_bitop2_b32 v60, v140, v60 bitop3:0x14
	s_delay_alu instid0(VALU_DEP_1) | instskip(NEXT) | instid1(VALU_DEP_1)
	v_and_b32_e32 v61, s52, v61
	v_lshlrev_b32_e32 v61, 2, v61
	ds_load_b32 v61, v61
	s_wait_dscnt 0x0
	v_add_nc_u32_e32 v61, v61, v71
	global_store_b16 v61, v60, s[38:39] scale_offset
	s_wait_xcnt 0x0
	s_or_b32 exec_lo, exec_lo, s20
	v_cmp_lt_u32_e64 s19, v72, v139
	s_and_saveexec_b32 s21, s19
	s_cbranch_execz .LBB1937_180
.LBB1937_248:                           ;   in Loop: Header=BB1937_96 Depth=2
	ds_load_u16 v60, v93 offset:3584
	s_wait_dscnt 0x0
	v_cmp_ne_u16_e64 s20, 0x8000, v60
	s_delay_alu instid0(VALU_DEP_1) | instskip(SKIP_1) | instid1(VALU_DEP_2)
	v_cndmask_b32_e64 v61, 0x7fff, v60, s20
	v_cmp_gt_i16_e64 s20, 0, v60
	v_and_b32_e32 v61, 0xffff, v61
	s_delay_alu instid0(VALU_DEP_2) | instskip(NEXT) | instid1(VALU_DEP_1)
	v_cndmask_b32_e64 v140, 0x7fff, 0, s20
	v_dual_lshrrev_b32 v61, s48, v61 :: v_dual_bitop2_b32 v60, v140, v60 bitop3:0x14
	s_delay_alu instid0(VALU_DEP_1) | instskip(NEXT) | instid1(VALU_DEP_1)
	v_and_b32_e32 v61, s52, v61
	v_lshlrev_b32_e32 v61, 2, v61
	ds_load_b32 v61, v61
	s_wait_dscnt 0x0
	v_add_nc_u32_e32 v61, v61, v72
	global_store_b16 v61, v60, s[38:39] scale_offset
	s_wait_xcnt 0x0
	s_or_b32 exec_lo, exec_lo, s21
	v_cmp_lt_u32_e64 s20, v73, v139
	s_and_saveexec_b32 s22, s20
	s_cbranch_execz .LBB1937_181
.LBB1937_249:                           ;   in Loop: Header=BB1937_96 Depth=2
	ds_load_u16 v60, v93 offset:4096
	s_wait_dscnt 0x0
	v_cmp_ne_u16_e64 s21, 0x8000, v60
	s_delay_alu instid0(VALU_DEP_1) | instskip(SKIP_1) | instid1(VALU_DEP_2)
	v_cndmask_b32_e64 v61, 0x7fff, v60, s21
	v_cmp_gt_i16_e64 s21, 0, v60
	v_and_b32_e32 v61, 0xffff, v61
	s_delay_alu instid0(VALU_DEP_2) | instskip(NEXT) | instid1(VALU_DEP_1)
	v_cndmask_b32_e64 v140, 0x7fff, 0, s21
	v_dual_lshrrev_b32 v61, s48, v61 :: v_dual_bitop2_b32 v60, v140, v60 bitop3:0x14
	s_delay_alu instid0(VALU_DEP_1) | instskip(NEXT) | instid1(VALU_DEP_1)
	v_and_b32_e32 v61, s52, v61
	v_lshlrev_b32_e32 v61, 2, v61
	ds_load_b32 v61, v61
	s_wait_dscnt 0x0
	v_add_nc_u32_e32 v61, v61, v73
	global_store_b16 v61, v60, s[38:39] scale_offset
	s_wait_xcnt 0x0
	s_or_b32 exec_lo, exec_lo, s22
	v_cmp_lt_u32_e64 s21, v74, v139
	s_and_saveexec_b32 s23, s21
	s_cbranch_execz .LBB1937_182
.LBB1937_250:                           ;   in Loop: Header=BB1937_96 Depth=2
	ds_load_u16 v60, v93 offset:4608
	s_wait_dscnt 0x0
	v_cmp_ne_u16_e64 s22, 0x8000, v60
	s_delay_alu instid0(VALU_DEP_1) | instskip(SKIP_1) | instid1(VALU_DEP_2)
	v_cndmask_b32_e64 v61, 0x7fff, v60, s22
	v_cmp_gt_i16_e64 s22, 0, v60
	v_and_b32_e32 v61, 0xffff, v61
	s_delay_alu instid0(VALU_DEP_2) | instskip(NEXT) | instid1(VALU_DEP_1)
	v_cndmask_b32_e64 v140, 0x7fff, 0, s22
	v_dual_lshrrev_b32 v61, s48, v61 :: v_dual_bitop2_b32 v60, v140, v60 bitop3:0x14
	s_delay_alu instid0(VALU_DEP_1) | instskip(NEXT) | instid1(VALU_DEP_1)
	v_and_b32_e32 v61, s52, v61
	v_lshlrev_b32_e32 v61, 2, v61
	ds_load_b32 v61, v61
	s_wait_dscnt 0x0
	v_add_nc_u32_e32 v61, v61, v74
	global_store_b16 v61, v60, s[38:39] scale_offset
	s_wait_xcnt 0x0
	s_or_b32 exec_lo, exec_lo, s23
	v_cmp_lt_u32_e64 s22, v75, v139
	s_and_saveexec_b32 s24, s22
	s_cbranch_execz .LBB1937_183
.LBB1937_251:                           ;   in Loop: Header=BB1937_96 Depth=2
	ds_load_u16 v60, v93 offset:5120
	s_wait_dscnt 0x0
	v_cmp_ne_u16_e64 s23, 0x8000, v60
	s_delay_alu instid0(VALU_DEP_1) | instskip(SKIP_1) | instid1(VALU_DEP_2)
	v_cndmask_b32_e64 v61, 0x7fff, v60, s23
	v_cmp_gt_i16_e64 s23, 0, v60
	v_and_b32_e32 v61, 0xffff, v61
	s_delay_alu instid0(VALU_DEP_2) | instskip(NEXT) | instid1(VALU_DEP_1)
	v_cndmask_b32_e64 v140, 0x7fff, 0, s23
	v_dual_lshrrev_b32 v61, s48, v61 :: v_dual_bitop2_b32 v60, v140, v60 bitop3:0x14
	s_delay_alu instid0(VALU_DEP_1) | instskip(NEXT) | instid1(VALU_DEP_1)
	v_and_b32_e32 v61, s52, v61
	v_lshlrev_b32_e32 v61, 2, v61
	ds_load_b32 v61, v61
	s_wait_dscnt 0x0
	v_add_nc_u32_e32 v61, v61, v75
	global_store_b16 v61, v60, s[38:39] scale_offset
	s_wait_xcnt 0x0
	s_or_b32 exec_lo, exec_lo, s24
	v_cmp_lt_u32_e64 s23, v76, v139
	s_and_saveexec_b32 s25, s23
	s_cbranch_execz .LBB1937_184
.LBB1937_252:                           ;   in Loop: Header=BB1937_96 Depth=2
	ds_load_u16 v60, v93 offset:5632
	s_wait_dscnt 0x0
	v_cmp_ne_u16_e64 s24, 0x8000, v60
	s_delay_alu instid0(VALU_DEP_1) | instskip(SKIP_1) | instid1(VALU_DEP_2)
	v_cndmask_b32_e64 v61, 0x7fff, v60, s24
	v_cmp_gt_i16_e64 s24, 0, v60
	v_and_b32_e32 v61, 0xffff, v61
	s_delay_alu instid0(VALU_DEP_2) | instskip(NEXT) | instid1(VALU_DEP_1)
	v_cndmask_b32_e64 v140, 0x7fff, 0, s24
	v_dual_lshrrev_b32 v61, s48, v61 :: v_dual_bitop2_b32 v60, v140, v60 bitop3:0x14
	s_delay_alu instid0(VALU_DEP_1) | instskip(NEXT) | instid1(VALU_DEP_1)
	v_and_b32_e32 v61, s52, v61
	v_lshlrev_b32_e32 v61, 2, v61
	ds_load_b32 v61, v61
	s_wait_dscnt 0x0
	v_add_nc_u32_e32 v61, v61, v76
	global_store_b16 v61, v60, s[38:39] scale_offset
	s_wait_xcnt 0x0
	s_or_b32 exec_lo, exec_lo, s25
	v_cmp_lt_u32_e64 s24, v77, v139
	s_and_saveexec_b32 s26, s24
	s_cbranch_execz .LBB1937_185
.LBB1937_253:                           ;   in Loop: Header=BB1937_96 Depth=2
	ds_load_u16 v60, v93 offset:6144
	s_wait_dscnt 0x0
	v_cmp_ne_u16_e64 s25, 0x8000, v60
	s_delay_alu instid0(VALU_DEP_1) | instskip(SKIP_1) | instid1(VALU_DEP_2)
	v_cndmask_b32_e64 v61, 0x7fff, v60, s25
	v_cmp_gt_i16_e64 s25, 0, v60
	v_and_b32_e32 v61, 0xffff, v61
	s_delay_alu instid0(VALU_DEP_2) | instskip(NEXT) | instid1(VALU_DEP_1)
	v_cndmask_b32_e64 v140, 0x7fff, 0, s25
	v_dual_lshrrev_b32 v61, s48, v61 :: v_dual_bitop2_b32 v60, v140, v60 bitop3:0x14
	s_delay_alu instid0(VALU_DEP_1) | instskip(NEXT) | instid1(VALU_DEP_1)
	v_and_b32_e32 v61, s52, v61
	v_lshlrev_b32_e32 v61, 2, v61
	ds_load_b32 v61, v61
	s_wait_dscnt 0x0
	v_add_nc_u32_e32 v61, v61, v77
	global_store_b16 v61, v60, s[38:39] scale_offset
	s_wait_xcnt 0x0
	s_or_b32 exec_lo, exec_lo, s26
	v_cmp_lt_u32_e64 s25, v78, v139
	s_and_saveexec_b32 s27, s25
	s_cbranch_execz .LBB1937_186
.LBB1937_254:                           ;   in Loop: Header=BB1937_96 Depth=2
	ds_load_u16 v60, v93 offset:6656
	s_wait_dscnt 0x0
	v_cmp_ne_u16_e64 s26, 0x8000, v60
	s_delay_alu instid0(VALU_DEP_1) | instskip(SKIP_1) | instid1(VALU_DEP_2)
	v_cndmask_b32_e64 v61, 0x7fff, v60, s26
	v_cmp_gt_i16_e64 s26, 0, v60
	v_and_b32_e32 v61, 0xffff, v61
	s_delay_alu instid0(VALU_DEP_2) | instskip(NEXT) | instid1(VALU_DEP_1)
	v_cndmask_b32_e64 v140, 0x7fff, 0, s26
	v_dual_lshrrev_b32 v61, s48, v61 :: v_dual_bitop2_b32 v60, v140, v60 bitop3:0x14
	s_delay_alu instid0(VALU_DEP_1) | instskip(NEXT) | instid1(VALU_DEP_1)
	v_and_b32_e32 v61, s52, v61
	v_lshlrev_b32_e32 v61, 2, v61
	ds_load_b32 v61, v61
	s_wait_dscnt 0x0
	v_add_nc_u32_e32 v61, v61, v78
	global_store_b16 v61, v60, s[38:39] scale_offset
	s_wait_xcnt 0x0
	s_or_b32 exec_lo, exec_lo, s27
	v_cmp_lt_u32_e64 s26, v79, v139
	s_and_saveexec_b32 s28, s26
	s_cbranch_execz .LBB1937_187
.LBB1937_255:                           ;   in Loop: Header=BB1937_96 Depth=2
	ds_load_u16 v60, v93 offset:7168
	s_wait_dscnt 0x0
	v_cmp_ne_u16_e64 s27, 0x8000, v60
	s_delay_alu instid0(VALU_DEP_1) | instskip(SKIP_1) | instid1(VALU_DEP_2)
	v_cndmask_b32_e64 v61, 0x7fff, v60, s27
	v_cmp_gt_i16_e64 s27, 0, v60
	v_and_b32_e32 v61, 0xffff, v61
	s_delay_alu instid0(VALU_DEP_2) | instskip(NEXT) | instid1(VALU_DEP_1)
	v_cndmask_b32_e64 v140, 0x7fff, 0, s27
	v_dual_lshrrev_b32 v61, s48, v61 :: v_dual_bitop2_b32 v60, v140, v60 bitop3:0x14
	s_delay_alu instid0(VALU_DEP_1) | instskip(NEXT) | instid1(VALU_DEP_1)
	v_and_b32_e32 v61, s52, v61
	v_lshlrev_b32_e32 v61, 2, v61
	ds_load_b32 v61, v61
	s_wait_dscnt 0x0
	v_add_nc_u32_e32 v61, v61, v79
	global_store_b16 v61, v60, s[38:39] scale_offset
	s_wait_xcnt 0x0
	s_or_b32 exec_lo, exec_lo, s28
	v_cmp_lt_u32_e64 s27, v80, v139
	s_and_saveexec_b32 s29, s27
	s_cbranch_execz .LBB1937_188
.LBB1937_256:                           ;   in Loop: Header=BB1937_96 Depth=2
	ds_load_u16 v60, v93 offset:7680
	s_wait_dscnt 0x0
	v_cmp_ne_u16_e64 s28, 0x8000, v60
	s_delay_alu instid0(VALU_DEP_1) | instskip(SKIP_1) | instid1(VALU_DEP_2)
	v_cndmask_b32_e64 v61, 0x7fff, v60, s28
	v_cmp_gt_i16_e64 s28, 0, v60
	v_and_b32_e32 v61, 0xffff, v61
	s_delay_alu instid0(VALU_DEP_2) | instskip(NEXT) | instid1(VALU_DEP_1)
	v_cndmask_b32_e64 v140, 0x7fff, 0, s28
	v_dual_lshrrev_b32 v61, s48, v61 :: v_dual_bitop2_b32 v60, v140, v60 bitop3:0x14
	s_delay_alu instid0(VALU_DEP_1) | instskip(NEXT) | instid1(VALU_DEP_1)
	v_and_b32_e32 v61, s52, v61
	v_lshlrev_b32_e32 v61, 2, v61
	ds_load_b32 v61, v61
	s_wait_dscnt 0x0
	v_add_nc_u32_e32 v61, v61, v80
	global_store_b16 v61, v60, s[38:39] scale_offset
	s_wait_xcnt 0x0
	s_or_b32 exec_lo, exec_lo, s29
	v_cmp_lt_u32_e64 s28, v81, v139
	s_and_saveexec_b32 s30, s28
	s_cbranch_execz .LBB1937_189
.LBB1937_257:                           ;   in Loop: Header=BB1937_96 Depth=2
	ds_load_u16 v60, v93 offset:8192
	s_wait_dscnt 0x0
	v_cmp_ne_u16_e64 s29, 0x8000, v60
	s_delay_alu instid0(VALU_DEP_1) | instskip(SKIP_1) | instid1(VALU_DEP_2)
	v_cndmask_b32_e64 v61, 0x7fff, v60, s29
	v_cmp_gt_i16_e64 s29, 0, v60
	v_and_b32_e32 v61, 0xffff, v61
	s_delay_alu instid0(VALU_DEP_2) | instskip(NEXT) | instid1(VALU_DEP_1)
	v_cndmask_b32_e64 v140, 0x7fff, 0, s29
	v_dual_lshrrev_b32 v61, s48, v61 :: v_dual_bitop2_b32 v60, v140, v60 bitop3:0x14
	s_delay_alu instid0(VALU_DEP_1) | instskip(NEXT) | instid1(VALU_DEP_1)
	v_and_b32_e32 v61, s52, v61
	v_lshlrev_b32_e32 v61, 2, v61
	ds_load_b32 v61, v61
	s_wait_dscnt 0x0
	v_add_nc_u32_e32 v61, v61, v81
	global_store_b16 v61, v60, s[38:39] scale_offset
	s_wait_xcnt 0x0
	s_or_b32 exec_lo, exec_lo, s30
	v_cmp_lt_u32_e64 s29, v82, v139
	s_and_saveexec_b32 s58, s29
	s_cbranch_execnz .LBB1937_190
	s_branch .LBB1937_191
.LBB1937_258:                           ;   in Loop: Header=BB1937_96 Depth=2
	global_load_b64 v[58:59], v[60:61], off
	s_wait_xcnt 0x0
	s_or_b32 exec_lo, exec_lo, s30
	s_delay_alu instid0(SALU_CYCLE_1)
	s_mov_b32 s42, exec_lo
	v_cmpx_lt_u32_e64 v103, v139
	s_cbranch_execz .LBB1937_193
.LBB1937_259:                           ;   in Loop: Header=BB1937_96 Depth=2
	global_load_b64 v[56:57], v[60:61], off offset:256
	s_wait_xcnt 0x0
	s_or_b32 exec_lo, exec_lo, s42
	s_delay_alu instid0(SALU_CYCLE_1)
	s_mov_b32 s42, exec_lo
	v_cmpx_lt_u32_e64 v104, v139
	s_cbranch_execz .LBB1937_194
.LBB1937_260:                           ;   in Loop: Header=BB1937_96 Depth=2
	global_load_b64 v[54:55], v[60:61], off offset:512
	s_wait_xcnt 0x0
	s_or_b32 exec_lo, exec_lo, s42
	s_delay_alu instid0(SALU_CYCLE_1)
	s_mov_b32 s42, exec_lo
	v_cmpx_lt_u32_e64 v105, v139
	s_cbranch_execz .LBB1937_195
.LBB1937_261:                           ;   in Loop: Header=BB1937_96 Depth=2
	global_load_b64 v[52:53], v[60:61], off offset:768
	s_wait_xcnt 0x0
	s_or_b32 exec_lo, exec_lo, s42
	s_delay_alu instid0(SALU_CYCLE_1)
	s_mov_b32 s42, exec_lo
	v_cmpx_lt_u32_e64 v106, v139
	s_cbranch_execz .LBB1937_196
.LBB1937_262:                           ;   in Loop: Header=BB1937_96 Depth=2
	global_load_b64 v[50:51], v[60:61], off offset:1024
	s_wait_xcnt 0x0
	s_or_b32 exec_lo, exec_lo, s42
	s_delay_alu instid0(SALU_CYCLE_1)
	s_mov_b32 s42, exec_lo
	v_cmpx_lt_u32_e64 v107, v139
	s_cbranch_execz .LBB1937_197
.LBB1937_263:                           ;   in Loop: Header=BB1937_96 Depth=2
	global_load_b64 v[48:49], v[60:61], off offset:1280
	s_wait_xcnt 0x0
	s_or_b32 exec_lo, exec_lo, s42
	s_delay_alu instid0(SALU_CYCLE_1)
	s_mov_b32 s42, exec_lo
	v_cmpx_lt_u32_e64 v108, v139
	s_cbranch_execz .LBB1937_198
.LBB1937_264:                           ;   in Loop: Header=BB1937_96 Depth=2
	global_load_b64 v[46:47], v[60:61], off offset:1536
	s_wait_xcnt 0x0
	s_or_b32 exec_lo, exec_lo, s42
	s_delay_alu instid0(SALU_CYCLE_1)
	s_mov_b32 s42, exec_lo
	v_cmpx_lt_u32_e64 v109, v139
	s_cbranch_execz .LBB1937_199
.LBB1937_265:                           ;   in Loop: Header=BB1937_96 Depth=2
	global_load_b64 v[44:45], v[60:61], off offset:1792
	s_wait_xcnt 0x0
	s_or_b32 exec_lo, exec_lo, s42
	s_delay_alu instid0(SALU_CYCLE_1)
	s_mov_b32 s42, exec_lo
	v_cmpx_lt_u32_e64 v110, v139
	s_cbranch_execz .LBB1937_200
.LBB1937_266:                           ;   in Loop: Header=BB1937_96 Depth=2
	global_load_b64 v[42:43], v[60:61], off offset:2048
	s_wait_xcnt 0x0
	s_or_b32 exec_lo, exec_lo, s42
	s_delay_alu instid0(SALU_CYCLE_1)
	s_mov_b32 s42, exec_lo
	v_cmpx_lt_u32_e64 v111, v139
	s_cbranch_execz .LBB1937_201
.LBB1937_267:                           ;   in Loop: Header=BB1937_96 Depth=2
	global_load_b64 v[40:41], v[60:61], off offset:2304
	s_wait_xcnt 0x0
	s_or_b32 exec_lo, exec_lo, s42
	s_delay_alu instid0(SALU_CYCLE_1)
	s_mov_b32 s42, exec_lo
	v_cmpx_lt_u32_e64 v112, v139
	s_cbranch_execz .LBB1937_202
.LBB1937_268:                           ;   in Loop: Header=BB1937_96 Depth=2
	global_load_b64 v[38:39], v[60:61], off offset:2560
	s_wait_xcnt 0x0
	s_or_b32 exec_lo, exec_lo, s42
	s_delay_alu instid0(SALU_CYCLE_1)
	s_mov_b32 s42, exec_lo
	v_cmpx_lt_u32_e64 v113, v139
	s_cbranch_execz .LBB1937_203
.LBB1937_269:                           ;   in Loop: Header=BB1937_96 Depth=2
	global_load_b64 v[36:37], v[60:61], off offset:2816
	s_wait_xcnt 0x0
	s_or_b32 exec_lo, exec_lo, s42
	s_delay_alu instid0(SALU_CYCLE_1)
	s_mov_b32 s42, exec_lo
	v_cmpx_lt_u32_e64 v114, v139
	s_cbranch_execz .LBB1937_204
.LBB1937_270:                           ;   in Loop: Header=BB1937_96 Depth=2
	global_load_b64 v[34:35], v[60:61], off offset:3072
	s_wait_xcnt 0x0
	s_or_b32 exec_lo, exec_lo, s42
	s_delay_alu instid0(SALU_CYCLE_1)
	s_mov_b32 s42, exec_lo
	v_cmpx_lt_u32_e64 v115, v139
	s_cbranch_execz .LBB1937_205
.LBB1937_271:                           ;   in Loop: Header=BB1937_96 Depth=2
	global_load_b64 v[32:33], v[60:61], off offset:3328
	s_wait_xcnt 0x0
	s_or_b32 exec_lo, exec_lo, s42
	s_delay_alu instid0(SALU_CYCLE_1)
	s_mov_b32 s42, exec_lo
	v_cmpx_lt_u32_e64 v116, v139
	s_cbranch_execz .LBB1937_206
.LBB1937_272:                           ;   in Loop: Header=BB1937_96 Depth=2
	global_load_b64 v[30:31], v[60:61], off offset:3584
	s_wait_xcnt 0x0
	s_or_b32 exec_lo, exec_lo, s42
	s_delay_alu instid0(SALU_CYCLE_1)
	s_mov_b32 s42, exec_lo
	v_cmpx_lt_u32_e64 v117, v139
	s_cbranch_execz .LBB1937_207
.LBB1937_273:                           ;   in Loop: Header=BB1937_96 Depth=2
	global_load_b64 v[28:29], v[60:61], off offset:3840
	s_wait_xcnt 0x0
	s_or_b32 exec_lo, exec_lo, s42
	s_and_saveexec_b32 s42, vcc_lo
	s_cbranch_execz .LBB1937_208
.LBB1937_274:                           ;   in Loop: Header=BB1937_96 Depth=2
	ds_load_u16 v60, v93 offset:1024
	s_wait_dscnt 0x0
	v_cmp_ne_u16_e64 s30, 0x8000, v60
	s_delay_alu instid0(VALU_DEP_1) | instskip(NEXT) | instid1(VALU_DEP_1)
	v_cndmask_b32_e64 v60, 0x7fff, v60, s30
	v_and_b32_e32 v60, 0xffff, v60
	s_delay_alu instid0(VALU_DEP_1) | instskip(NEXT) | instid1(VALU_DEP_1)
	v_lshrrev_b32_e32 v60, s48, v60
	v_and_b32_e32 v138, s52, v60
	s_or_b32 exec_lo, exec_lo, s42
	s_and_saveexec_b32 s42, s15
	s_cbranch_execz .LBB1937_209
.LBB1937_275:                           ;   in Loop: Header=BB1937_96 Depth=2
	ds_load_u16 v60, v93 offset:1536
	s_wait_dscnt 0x0
	v_cmp_ne_u16_e64 s30, 0x8000, v60
	s_delay_alu instid0(VALU_DEP_1) | instskip(NEXT) | instid1(VALU_DEP_1)
	v_cndmask_b32_e64 v60, 0x7fff, v60, s30
	v_and_b32_e32 v60, 0xffff, v60
	s_delay_alu instid0(VALU_DEP_1) | instskip(NEXT) | instid1(VALU_DEP_1)
	v_lshrrev_b32_e32 v60, s48, v60
	v_and_b32_e32 v137, s52, v60
	s_or_b32 exec_lo, exec_lo, s42
	s_and_saveexec_b32 s42, s16
	s_cbranch_execz .LBB1937_210
.LBB1937_276:                           ;   in Loop: Header=BB1937_96 Depth=2
	ds_load_u16 v60, v93 offset:2048
	s_wait_dscnt 0x0
	v_cmp_ne_u16_e64 s30, 0x8000, v60
	s_delay_alu instid0(VALU_DEP_1) | instskip(NEXT) | instid1(VALU_DEP_1)
	v_cndmask_b32_e64 v60, 0x7fff, v60, s30
	v_and_b32_e32 v60, 0xffff, v60
	s_delay_alu instid0(VALU_DEP_1) | instskip(NEXT) | instid1(VALU_DEP_1)
	v_lshrrev_b32_e32 v60, s48, v60
	v_and_b32_e32 v136, s52, v60
	s_or_b32 exec_lo, exec_lo, s42
	s_and_saveexec_b32 s42, s17
	s_cbranch_execz .LBB1937_211
.LBB1937_277:                           ;   in Loop: Header=BB1937_96 Depth=2
	ds_load_u16 v60, v93 offset:2560
	s_wait_dscnt 0x0
	v_cmp_ne_u16_e64 s30, 0x8000, v60
	s_delay_alu instid0(VALU_DEP_1) | instskip(NEXT) | instid1(VALU_DEP_1)
	v_cndmask_b32_e64 v60, 0x7fff, v60, s30
	v_and_b32_e32 v60, 0xffff, v60
	s_delay_alu instid0(VALU_DEP_1) | instskip(NEXT) | instid1(VALU_DEP_1)
	v_lshrrev_b32_e32 v60, s48, v60
	v_and_b32_e32 v135, s52, v60
	s_or_b32 exec_lo, exec_lo, s42
	s_and_saveexec_b32 s42, s18
	s_cbranch_execz .LBB1937_212
.LBB1937_278:                           ;   in Loop: Header=BB1937_96 Depth=2
	ds_load_u16 v60, v93 offset:3072
	s_wait_dscnt 0x0
	v_cmp_ne_u16_e64 s30, 0x8000, v60
	s_delay_alu instid0(VALU_DEP_1) | instskip(NEXT) | instid1(VALU_DEP_1)
	v_cndmask_b32_e64 v60, 0x7fff, v60, s30
	v_and_b32_e32 v60, 0xffff, v60
	s_delay_alu instid0(VALU_DEP_1) | instskip(NEXT) | instid1(VALU_DEP_1)
	v_lshrrev_b32_e32 v60, s48, v60
	v_and_b32_e32 v134, s52, v60
	s_or_b32 exec_lo, exec_lo, s42
	s_and_saveexec_b32 s42, s19
	s_cbranch_execz .LBB1937_213
.LBB1937_279:                           ;   in Loop: Header=BB1937_96 Depth=2
	ds_load_u16 v60, v93 offset:3584
	s_wait_dscnt 0x0
	v_cmp_ne_u16_e64 s30, 0x8000, v60
	s_delay_alu instid0(VALU_DEP_1) | instskip(NEXT) | instid1(VALU_DEP_1)
	v_cndmask_b32_e64 v60, 0x7fff, v60, s30
	v_and_b32_e32 v60, 0xffff, v60
	s_delay_alu instid0(VALU_DEP_1) | instskip(NEXT) | instid1(VALU_DEP_1)
	v_lshrrev_b32_e32 v60, s48, v60
	v_and_b32_e32 v133, s52, v60
	s_or_b32 exec_lo, exec_lo, s42
	s_and_saveexec_b32 s42, s20
	s_cbranch_execz .LBB1937_214
.LBB1937_280:                           ;   in Loop: Header=BB1937_96 Depth=2
	ds_load_u16 v60, v93 offset:4096
	s_wait_dscnt 0x0
	v_cmp_ne_u16_e64 s30, 0x8000, v60
	s_delay_alu instid0(VALU_DEP_1) | instskip(NEXT) | instid1(VALU_DEP_1)
	v_cndmask_b32_e64 v60, 0x7fff, v60, s30
	v_and_b32_e32 v60, 0xffff, v60
	s_delay_alu instid0(VALU_DEP_1) | instskip(NEXT) | instid1(VALU_DEP_1)
	v_lshrrev_b32_e32 v60, s48, v60
	v_and_b32_e32 v132, s52, v60
	s_or_b32 exec_lo, exec_lo, s42
	s_and_saveexec_b32 s42, s21
	s_cbranch_execz .LBB1937_215
.LBB1937_281:                           ;   in Loop: Header=BB1937_96 Depth=2
	ds_load_u16 v60, v93 offset:4608
	s_wait_dscnt 0x0
	v_cmp_ne_u16_e64 s30, 0x8000, v60
	s_delay_alu instid0(VALU_DEP_1) | instskip(NEXT) | instid1(VALU_DEP_1)
	v_cndmask_b32_e64 v60, 0x7fff, v60, s30
	v_and_b32_e32 v60, 0xffff, v60
	s_delay_alu instid0(VALU_DEP_1) | instskip(NEXT) | instid1(VALU_DEP_1)
	v_lshrrev_b32_e32 v60, s48, v60
	v_and_b32_e32 v131, s52, v60
	s_or_b32 exec_lo, exec_lo, s42
	s_and_saveexec_b32 s42, s22
	s_cbranch_execz .LBB1937_216
.LBB1937_282:                           ;   in Loop: Header=BB1937_96 Depth=2
	ds_load_u16 v60, v93 offset:5120
	s_wait_dscnt 0x0
	v_cmp_ne_u16_e64 s30, 0x8000, v60
	s_delay_alu instid0(VALU_DEP_1) | instskip(NEXT) | instid1(VALU_DEP_1)
	v_cndmask_b32_e64 v60, 0x7fff, v60, s30
	v_and_b32_e32 v60, 0xffff, v60
	s_delay_alu instid0(VALU_DEP_1) | instskip(NEXT) | instid1(VALU_DEP_1)
	v_lshrrev_b32_e32 v60, s48, v60
	v_and_b32_e32 v130, s52, v60
	s_or_b32 exec_lo, exec_lo, s42
	s_and_saveexec_b32 s42, s23
	s_cbranch_execz .LBB1937_217
.LBB1937_283:                           ;   in Loop: Header=BB1937_96 Depth=2
	ds_load_u16 v60, v93 offset:5632
	s_wait_dscnt 0x0
	v_cmp_ne_u16_e64 s30, 0x8000, v60
	s_delay_alu instid0(VALU_DEP_1) | instskip(NEXT) | instid1(VALU_DEP_1)
	v_cndmask_b32_e64 v60, 0x7fff, v60, s30
	v_and_b32_e32 v60, 0xffff, v60
	s_delay_alu instid0(VALU_DEP_1) | instskip(NEXT) | instid1(VALU_DEP_1)
	v_lshrrev_b32_e32 v60, s48, v60
	v_and_b32_e32 v129, s52, v60
	s_or_b32 exec_lo, exec_lo, s42
	s_and_saveexec_b32 s42, s24
	s_cbranch_execz .LBB1937_218
.LBB1937_284:                           ;   in Loop: Header=BB1937_96 Depth=2
	ds_load_u16 v60, v93 offset:6144
	s_wait_dscnt 0x0
	v_cmp_ne_u16_e64 s30, 0x8000, v60
	s_delay_alu instid0(VALU_DEP_1) | instskip(NEXT) | instid1(VALU_DEP_1)
	v_cndmask_b32_e64 v60, 0x7fff, v60, s30
	v_and_b32_e32 v60, 0xffff, v60
	s_delay_alu instid0(VALU_DEP_1) | instskip(NEXT) | instid1(VALU_DEP_1)
	v_lshrrev_b32_e32 v60, s48, v60
	v_and_b32_e32 v128, s52, v60
	s_or_b32 exec_lo, exec_lo, s42
	s_and_saveexec_b32 s42, s25
	s_cbranch_execz .LBB1937_219
.LBB1937_285:                           ;   in Loop: Header=BB1937_96 Depth=2
	ds_load_u16 v60, v93 offset:6656
	s_wait_dscnt 0x0
	v_cmp_ne_u16_e64 s30, 0x8000, v60
	s_delay_alu instid0(VALU_DEP_1) | instskip(NEXT) | instid1(VALU_DEP_1)
	v_cndmask_b32_e64 v60, 0x7fff, v60, s30
	v_and_b32_e32 v60, 0xffff, v60
	s_delay_alu instid0(VALU_DEP_1) | instskip(NEXT) | instid1(VALU_DEP_1)
	v_lshrrev_b32_e32 v60, s48, v60
	v_and_b32_e32 v127, s52, v60
	s_or_b32 exec_lo, exec_lo, s42
	s_and_saveexec_b32 s42, s26
	s_cbranch_execz .LBB1937_220
.LBB1937_286:                           ;   in Loop: Header=BB1937_96 Depth=2
	ds_load_u16 v60, v93 offset:7168
	s_wait_dscnt 0x0
	v_cmp_ne_u16_e64 s30, 0x8000, v60
	s_delay_alu instid0(VALU_DEP_1) | instskip(NEXT) | instid1(VALU_DEP_1)
	v_cndmask_b32_e64 v60, 0x7fff, v60, s30
	v_and_b32_e32 v60, 0xffff, v60
	s_delay_alu instid0(VALU_DEP_1) | instskip(NEXT) | instid1(VALU_DEP_1)
	v_lshrrev_b32_e32 v60, s48, v60
	v_and_b32_e32 v126, s52, v60
	s_or_b32 exec_lo, exec_lo, s42
	s_and_saveexec_b32 s42, s27
	s_cbranch_execz .LBB1937_221
.LBB1937_287:                           ;   in Loop: Header=BB1937_96 Depth=2
	ds_load_u16 v60, v93 offset:7680
	s_wait_dscnt 0x0
	v_cmp_ne_u16_e64 s30, 0x8000, v60
	s_delay_alu instid0(VALU_DEP_1) | instskip(NEXT) | instid1(VALU_DEP_1)
	v_cndmask_b32_e64 v60, 0x7fff, v60, s30
	v_and_b32_e32 v60, 0xffff, v60
	s_delay_alu instid0(VALU_DEP_1) | instskip(NEXT) | instid1(VALU_DEP_1)
	v_lshrrev_b32_e32 v60, s48, v60
	v_and_b32_e32 v125, s52, v60
	s_or_b32 exec_lo, exec_lo, s42
	s_and_saveexec_b32 s42, s28
	s_cbranch_execz .LBB1937_222
.LBB1937_288:                           ;   in Loop: Header=BB1937_96 Depth=2
	ds_load_u16 v60, v93 offset:8192
	s_wait_dscnt 0x0
	v_cmp_ne_u16_e64 s30, 0x8000, v60
	s_delay_alu instid0(VALU_DEP_1) | instskip(NEXT) | instid1(VALU_DEP_1)
	v_cndmask_b32_e64 v60, 0x7fff, v60, s30
	v_and_b32_e32 v60, 0xffff, v60
	s_delay_alu instid0(VALU_DEP_1) | instskip(NEXT) | instid1(VALU_DEP_1)
	v_lshrrev_b32_e32 v60, s48, v60
	v_and_b32_e32 v124, s52, v60
	s_or_b32 exec_lo, exec_lo, s42
	s_and_saveexec_b32 s42, s29
	s_cbranch_execnz .LBB1937_223
	s_branch .LBB1937_224
.LBB1937_289:                           ;   in Loop: Header=BB1937_96 Depth=2
	v_lshlrev_b32_e32 v60, 2, v138
	v_add_nc_u32_e32 v61, v93, v94
	ds_load_b32 v63, v60
	ds_load_b64 v[60:61], v61 offset:1024
	s_wait_dscnt 0x1
	v_add_nc_u32_e32 v63, v63, v2
	s_wait_dscnt 0x0
	global_store_b64 v63, v[60:61], s[44:45] scale_offset
	s_wait_xcnt 0x0
	s_or_b32 exec_lo, exec_lo, s30
	s_and_saveexec_b32 s30, s15
	s_cbranch_execz .LBB1937_226
.LBB1937_290:                           ;   in Loop: Header=BB1937_96 Depth=2
	v_dual_lshlrev_b32 v60, 2, v137 :: v_dual_add_nc_u32 v61, v93, v94
	ds_load_b32 v63, v60
	ds_load_b64 v[60:61], v61 offset:3072
	s_wait_dscnt 0x1
	v_add_nc_u32_e32 v63, v63, v68
	s_wait_dscnt 0x0
	global_store_b64 v63, v[60:61], s[44:45] scale_offset
	s_wait_xcnt 0x0
	s_or_b32 exec_lo, exec_lo, s30
	s_and_saveexec_b32 s15, s16
	s_cbranch_execz .LBB1937_227
.LBB1937_291:                           ;   in Loop: Header=BB1937_96 Depth=2
	v_dual_lshlrev_b32 v60, 2, v136 :: v_dual_add_nc_u32 v61, v93, v94
	ds_load_b32 v63, v60
	ds_load_b64 v[60:61], v61 offset:5120
	s_wait_dscnt 0x1
	v_add_nc_u32_e32 v63, v63, v69
	s_wait_dscnt 0x0
	global_store_b64 v63, v[60:61], s[44:45] scale_offset
	s_wait_xcnt 0x0
	s_or_b32 exec_lo, exec_lo, s15
	s_and_saveexec_b32 s15, s17
	s_cbranch_execz .LBB1937_228
.LBB1937_292:                           ;   in Loop: Header=BB1937_96 Depth=2
	v_dual_lshlrev_b32 v60, 2, v135 :: v_dual_add_nc_u32 v61, v93, v94
	ds_load_b32 v63, v60
	ds_load_b64 v[60:61], v61 offset:7168
	s_wait_dscnt 0x1
	v_add_nc_u32_e32 v63, v63, v70
	s_wait_dscnt 0x0
	global_store_b64 v63, v[60:61], s[44:45] scale_offset
	s_wait_xcnt 0x0
	s_or_b32 exec_lo, exec_lo, s15
	s_and_saveexec_b32 s15, s18
	s_cbranch_execz .LBB1937_229
.LBB1937_293:                           ;   in Loop: Header=BB1937_96 Depth=2
	v_lshlrev_b32_e32 v60, 2, v134
	v_add_nc_u32_e32 v61, v93, v94
	ds_load_b32 v63, v60
	ds_load_b64 v[60:61], v61 offset:9216
	s_wait_dscnt 0x1
	v_add_nc_u32_e32 v63, v63, v71
	s_wait_dscnt 0x0
	global_store_b64 v63, v[60:61], s[44:45] scale_offset
	s_wait_xcnt 0x0
	s_or_b32 exec_lo, exec_lo, s15
	s_and_saveexec_b32 s15, s19
	s_cbranch_execz .LBB1937_230
.LBB1937_294:                           ;   in Loop: Header=BB1937_96 Depth=2
	v_dual_lshlrev_b32 v60, 2, v133 :: v_dual_add_nc_u32 v61, v93, v94
	ds_load_b32 v63, v60
	ds_load_b64 v[60:61], v61 offset:11264
	s_wait_dscnt 0x1
	v_add_nc_u32_e32 v63, v63, v72
	s_wait_dscnt 0x0
	global_store_b64 v63, v[60:61], s[44:45] scale_offset
	s_wait_xcnt 0x0
	s_or_b32 exec_lo, exec_lo, s15
	s_and_saveexec_b32 s15, s20
	s_cbranch_execz .LBB1937_231
.LBB1937_295:                           ;   in Loop: Header=BB1937_96 Depth=2
	v_dual_lshlrev_b32 v60, 2, v132 :: v_dual_add_nc_u32 v61, v93, v94
	ds_load_b32 v63, v60
	ds_load_b64 v[60:61], v61 offset:13312
	s_wait_dscnt 0x1
	v_add_nc_u32_e32 v63, v63, v73
	s_wait_dscnt 0x0
	global_store_b64 v63, v[60:61], s[44:45] scale_offset
	s_wait_xcnt 0x0
	s_or_b32 exec_lo, exec_lo, s15
	s_and_saveexec_b32 s15, s21
	s_cbranch_execz .LBB1937_232
.LBB1937_296:                           ;   in Loop: Header=BB1937_96 Depth=2
	v_dual_lshlrev_b32 v60, 2, v131 :: v_dual_add_nc_u32 v61, v93, v94
	ds_load_b32 v63, v60
	ds_load_b64 v[60:61], v61 offset:15360
	s_wait_dscnt 0x1
	v_add_nc_u32_e32 v63, v63, v74
	s_wait_dscnt 0x0
	global_store_b64 v63, v[60:61], s[44:45] scale_offset
	s_wait_xcnt 0x0
	s_or_b32 exec_lo, exec_lo, s15
	s_and_saveexec_b32 s15, s22
	s_cbranch_execz .LBB1937_233
.LBB1937_297:                           ;   in Loop: Header=BB1937_96 Depth=2
	v_lshlrev_b32_e32 v60, 2, v130
	v_add_nc_u32_e32 v61, v93, v94
	ds_load_b32 v63, v60
	ds_load_b64 v[60:61], v61 offset:17408
	s_wait_dscnt 0x1
	v_add_nc_u32_e32 v63, v63, v75
	s_wait_dscnt 0x0
	global_store_b64 v63, v[60:61], s[44:45] scale_offset
	s_wait_xcnt 0x0
	s_or_b32 exec_lo, exec_lo, s15
	s_and_saveexec_b32 s15, s23
	s_cbranch_execz .LBB1937_234
.LBB1937_298:                           ;   in Loop: Header=BB1937_96 Depth=2
	v_dual_lshlrev_b32 v60, 2, v129 :: v_dual_add_nc_u32 v61, v93, v94
	ds_load_b32 v63, v60
	ds_load_b64 v[60:61], v61 offset:19456
	s_wait_dscnt 0x1
	v_add_nc_u32_e32 v63, v63, v76
	s_wait_dscnt 0x0
	global_store_b64 v63, v[60:61], s[44:45] scale_offset
	s_wait_xcnt 0x0
	s_or_b32 exec_lo, exec_lo, s15
	s_and_saveexec_b32 s15, s24
	s_cbranch_execz .LBB1937_235
.LBB1937_299:                           ;   in Loop: Header=BB1937_96 Depth=2
	v_dual_lshlrev_b32 v60, 2, v128 :: v_dual_add_nc_u32 v61, v93, v94
	ds_load_b32 v63, v60
	ds_load_b64 v[60:61], v61 offset:21504
	s_wait_dscnt 0x1
	v_add_nc_u32_e32 v63, v63, v77
	s_wait_dscnt 0x0
	global_store_b64 v63, v[60:61], s[44:45] scale_offset
	s_wait_xcnt 0x0
	s_or_b32 exec_lo, exec_lo, s15
	s_and_saveexec_b32 s15, s25
	s_cbranch_execz .LBB1937_236
.LBB1937_300:                           ;   in Loop: Header=BB1937_96 Depth=2
	v_dual_lshlrev_b32 v60, 2, v127 :: v_dual_add_nc_u32 v61, v93, v94
	ds_load_b32 v63, v60
	ds_load_b64 v[60:61], v61 offset:23552
	s_wait_dscnt 0x1
	v_add_nc_u32_e32 v63, v63, v78
	s_wait_dscnt 0x0
	global_store_b64 v63, v[60:61], s[44:45] scale_offset
	s_wait_xcnt 0x0
	s_or_b32 exec_lo, exec_lo, s15
	s_and_saveexec_b32 s15, s26
	s_cbranch_execz .LBB1937_237
.LBB1937_301:                           ;   in Loop: Header=BB1937_96 Depth=2
	v_lshlrev_b32_e32 v60, 2, v126
	v_add_nc_u32_e32 v61, v93, v94
	ds_load_b32 v63, v60
	ds_load_b64 v[60:61], v61 offset:25600
	s_wait_dscnt 0x1
	v_add_nc_u32_e32 v63, v63, v79
	s_wait_dscnt 0x0
	global_store_b64 v63, v[60:61], s[44:45] scale_offset
	s_wait_xcnt 0x0
	s_or_b32 exec_lo, exec_lo, s15
	s_and_saveexec_b32 s15, s27
	s_cbranch_execz .LBB1937_238
.LBB1937_302:                           ;   in Loop: Header=BB1937_96 Depth=2
	v_dual_lshlrev_b32 v60, 2, v125 :: v_dual_add_nc_u32 v61, v93, v94
	ds_load_b32 v63, v60
	ds_load_b64 v[60:61], v61 offset:27648
	s_wait_dscnt 0x1
	v_add_nc_u32_e32 v63, v63, v80
	s_wait_dscnt 0x0
	global_store_b64 v63, v[60:61], s[44:45] scale_offset
	s_wait_xcnt 0x0
	s_or_b32 exec_lo, exec_lo, s15
	s_and_saveexec_b32 s15, s28
	s_cbranch_execz .LBB1937_239
.LBB1937_303:                           ;   in Loop: Header=BB1937_96 Depth=2
	v_dual_lshlrev_b32 v60, 2, v124 :: v_dual_add_nc_u32 v61, v93, v94
	ds_load_b32 v63, v60
	ds_load_b64 v[60:61], v61 offset:29696
	s_wait_dscnt 0x1
	v_add_nc_u32_e32 v63, v63, v81
	s_wait_dscnt 0x0
	global_store_b64 v63, v[60:61], s[44:45] scale_offset
	s_wait_xcnt 0x0
	s_or_b32 exec_lo, exec_lo, s15
	s_and_saveexec_b32 s15, s29
	s_cbranch_execnz .LBB1937_240
	s_branch .LBB1937_241
.LBB1937_304:                           ;   in Loop: Header=BB1937_12 Depth=1
	s_wait_dscnt 0x0
	s_barrier_signal -1
	s_mov_b32 s7, 0
	s_barrier_wait -1
.LBB1937_305:                           ;   in Loop: Header=BB1937_12 Depth=1
	s_and_b32 vcc_lo, exec_lo, s7
	s_cbranch_vccz .LBB1937_597
; %bb.306:                              ;   in Loop: Header=BB1937_12 Depth=1
	s_mov_b32 s7, s56
	s_mov_b32 s42, s54
	s_barrier_signal -1
	s_barrier_wait -1
                                        ; implicit-def: $vgpr23
                                        ; implicit-def: $vgpr24
                                        ; implicit-def: $vgpr25
                                        ; implicit-def: $vgpr26
                                        ; implicit-def: $vgpr27
                                        ; implicit-def: $vgpr28
                                        ; implicit-def: $vgpr29
                                        ; implicit-def: $vgpr30
                                        ; implicit-def: $vgpr31
                                        ; implicit-def: $vgpr32
                                        ; implicit-def: $vgpr33
                                        ; implicit-def: $vgpr34
                                        ; implicit-def: $vgpr35
                                        ; implicit-def: $vgpr36
                                        ; implicit-def: $vgpr37
                                        ; implicit-def: $vgpr38
	s_branch .LBB1937_308
.LBB1937_307:                           ;   in Loop: Header=BB1937_308 Depth=2
	s_or_b32 exec_lo, exec_lo, s8
	s_addk_co_i32 s7, 0xf000
	s_cmp_ge_u32 s10, s51
	s_mov_b32 s42, s10
	s_cbranch_scc1 .LBB1937_376
.LBB1937_308:                           ;   Parent Loop BB1937_12 Depth=1
                                        ; =>  This Inner Loop Header: Depth=2
	s_add_co_i32 s10, s42, 0x1000
	s_mov_b32 s8, -1
	s_cmp_gt_u32 s10, s51
                                        ; implicit-def: $vgpr39
                                        ; implicit-def: $vgpr40
                                        ; implicit-def: $vgpr41
                                        ; implicit-def: $vgpr42
                                        ; implicit-def: $vgpr43
                                        ; implicit-def: $vgpr44
                                        ; implicit-def: $vgpr45
                                        ; implicit-def: $vgpr46
                                        ; implicit-def: $vgpr47
                                        ; implicit-def: $vgpr48
                                        ; implicit-def: $vgpr49
                                        ; implicit-def: $vgpr50
                                        ; implicit-def: $vgpr51
                                        ; implicit-def: $vgpr52
                                        ; implicit-def: $vgpr53
                                        ; implicit-def: $vgpr54
	s_cbranch_scc1 .LBB1937_310
; %bb.309:                              ;   in Loop: Header=BB1937_308 Depth=2
	v_lshl_add_u64 v[54:55], s[42:43], 1, v[10:11]
	s_mov_b32 s8, 0
	s_clause 0xf
	global_load_u16 v39, v[54:55], off
	global_load_u16 v40, v[54:55], off offset:512
	global_load_u16 v41, v[54:55], off offset:1024
	;; [unrolled: 1-line block ×15, first 2 shown]
.LBB1937_310:                           ;   in Loop: Header=BB1937_308 Depth=2
	s_and_not1_b32 vcc_lo, exec_lo, s8
	s_movk_i32 s8, 0x1000
	s_cbranch_vccnz .LBB1937_329
; %bb.311:                              ;   in Loop: Header=BB1937_308 Depth=2
	s_lshl_b64 s[8:9], s[42:43], 1
	s_mov_b32 s11, exec_lo
	s_add_nc_u64 s[8:9], s[38:39], s[8:9]
	s_wait_xcnt 0x0
	v_cmpx_gt_u32_e64 s7, v2
	s_cbranch_execnz .LBB1937_361
; %bb.312:                              ;   in Loop: Header=BB1937_308 Depth=2
	s_or_b32 exec_lo, exec_lo, s11
	s_delay_alu instid0(SALU_CYCLE_1)
	s_mov_b32 s11, exec_lo
	v_cmpx_gt_u32_e64 s7, v68
	s_cbranch_execnz .LBB1937_362
.LBB1937_313:                           ;   in Loop: Header=BB1937_308 Depth=2
	s_or_b32 exec_lo, exec_lo, s11
	s_delay_alu instid0(SALU_CYCLE_1)
	s_mov_b32 s11, exec_lo
	v_cmpx_gt_u32_e64 s7, v69
	s_cbranch_execnz .LBB1937_363
.LBB1937_314:                           ;   in Loop: Header=BB1937_308 Depth=2
	s_or_b32 exec_lo, exec_lo, s11
	s_delay_alu instid0(SALU_CYCLE_1)
	s_mov_b32 s11, exec_lo
	v_cmpx_gt_u32_e64 s7, v70
	s_cbranch_execnz .LBB1937_364
.LBB1937_315:                           ;   in Loop: Header=BB1937_308 Depth=2
	s_or_b32 exec_lo, exec_lo, s11
	s_delay_alu instid0(SALU_CYCLE_1)
	s_mov_b32 s11, exec_lo
	v_cmpx_gt_u32_e64 s7, v71
	s_cbranch_execnz .LBB1937_365
.LBB1937_316:                           ;   in Loop: Header=BB1937_308 Depth=2
	s_or_b32 exec_lo, exec_lo, s11
	s_delay_alu instid0(SALU_CYCLE_1)
	s_mov_b32 s11, exec_lo
	v_cmpx_gt_u32_e64 s7, v72
	s_cbranch_execnz .LBB1937_366
.LBB1937_317:                           ;   in Loop: Header=BB1937_308 Depth=2
	s_or_b32 exec_lo, exec_lo, s11
	s_delay_alu instid0(SALU_CYCLE_1)
	s_mov_b32 s11, exec_lo
	v_cmpx_gt_u32_e64 s7, v73
	s_cbranch_execnz .LBB1937_367
.LBB1937_318:                           ;   in Loop: Header=BB1937_308 Depth=2
	s_or_b32 exec_lo, exec_lo, s11
	s_delay_alu instid0(SALU_CYCLE_1)
	s_mov_b32 s11, exec_lo
	v_cmpx_gt_u32_e64 s7, v74
	s_cbranch_execnz .LBB1937_368
.LBB1937_319:                           ;   in Loop: Header=BB1937_308 Depth=2
	s_or_b32 exec_lo, exec_lo, s11
	s_delay_alu instid0(SALU_CYCLE_1)
	s_mov_b32 s11, exec_lo
	v_cmpx_gt_u32_e64 s7, v75
	s_cbranch_execnz .LBB1937_369
.LBB1937_320:                           ;   in Loop: Header=BB1937_308 Depth=2
	s_or_b32 exec_lo, exec_lo, s11
	s_delay_alu instid0(SALU_CYCLE_1)
	s_mov_b32 s11, exec_lo
	v_cmpx_gt_u32_e64 s7, v76
	s_cbranch_execnz .LBB1937_370
.LBB1937_321:                           ;   in Loop: Header=BB1937_308 Depth=2
	s_or_b32 exec_lo, exec_lo, s11
	s_delay_alu instid0(SALU_CYCLE_1)
	s_mov_b32 s11, exec_lo
	v_cmpx_gt_u32_e64 s7, v77
	s_cbranch_execnz .LBB1937_371
.LBB1937_322:                           ;   in Loop: Header=BB1937_308 Depth=2
	s_or_b32 exec_lo, exec_lo, s11
	s_delay_alu instid0(SALU_CYCLE_1)
	s_mov_b32 s11, exec_lo
	v_cmpx_gt_u32_e64 s7, v78
	s_cbranch_execnz .LBB1937_372
.LBB1937_323:                           ;   in Loop: Header=BB1937_308 Depth=2
	s_or_b32 exec_lo, exec_lo, s11
	s_delay_alu instid0(SALU_CYCLE_1)
	s_mov_b32 s11, exec_lo
	v_cmpx_gt_u32_e64 s7, v79
	s_cbranch_execnz .LBB1937_373
.LBB1937_324:                           ;   in Loop: Header=BB1937_308 Depth=2
	s_or_b32 exec_lo, exec_lo, s11
	s_delay_alu instid0(SALU_CYCLE_1)
	s_mov_b32 s11, exec_lo
	v_cmpx_gt_u32_e64 s7, v80
	s_cbranch_execnz .LBB1937_374
.LBB1937_325:                           ;   in Loop: Header=BB1937_308 Depth=2
	s_or_b32 exec_lo, exec_lo, s11
	s_delay_alu instid0(SALU_CYCLE_1)
	s_mov_b32 s11, exec_lo
	v_cmpx_gt_u32_e64 s7, v81
	s_cbranch_execnz .LBB1937_375
.LBB1937_326:                           ;   in Loop: Header=BB1937_308 Depth=2
	s_or_b32 exec_lo, exec_lo, s11
	s_delay_alu instid0(SALU_CYCLE_1)
	s_mov_b32 s11, exec_lo
	v_cmpx_gt_u32_e64 s7, v82
	s_cbranch_execz .LBB1937_328
.LBB1937_327:                           ;   in Loop: Header=BB1937_308 Depth=2
	global_load_u16 v23, v2, s[8:9] offset:7680 scale_offset
.LBB1937_328:                           ;   in Loop: Header=BB1937_308 Depth=2
	s_wait_xcnt 0x0
	s_or_b32 exec_lo, exec_lo, s11
	s_wait_loadcnt 0x0
	v_dual_mov_b32 v39, v38 :: v_dual_mov_b32 v40, v37
	v_dual_mov_b32 v41, v36 :: v_dual_mov_b32 v42, v35
	;; [unrolled: 1-line block ×8, first 2 shown]
	s_mov_b32 s8, s7
.LBB1937_329:                           ;   in Loop: Header=BB1937_308 Depth=2
	s_wait_loadcnt 0x0
	s_delay_alu instid0(VALU_DEP_1)
	v_dual_mov_b32 v23, v54 :: v_dual_mov_b32 v24, v53
	v_dual_mov_b32 v25, v52 :: v_dual_mov_b32 v26, v51
	;; [unrolled: 1-line block ×8, first 2 shown]
	s_mov_b32 s9, exec_lo
	s_wait_xcnt 0x0
	v_cmpx_gt_u32_e64 s8, v2
	s_cbranch_execnz .LBB1937_345
; %bb.330:                              ;   in Loop: Header=BB1937_308 Depth=2
	s_or_b32 exec_lo, exec_lo, s9
	s_delay_alu instid0(SALU_CYCLE_1)
	s_mov_b32 s9, exec_lo
	v_cmpx_gt_u32_e64 s8, v68
	s_cbranch_execnz .LBB1937_346
.LBB1937_331:                           ;   in Loop: Header=BB1937_308 Depth=2
	s_or_b32 exec_lo, exec_lo, s9
	s_delay_alu instid0(SALU_CYCLE_1)
	s_mov_b32 s9, exec_lo
	v_cmpx_gt_u32_e64 s8, v69
	s_cbranch_execnz .LBB1937_347
.LBB1937_332:                           ;   in Loop: Header=BB1937_308 Depth=2
	s_or_b32 exec_lo, exec_lo, s9
	s_delay_alu instid0(SALU_CYCLE_1)
	s_mov_b32 s9, exec_lo
	v_cmpx_gt_u32_e64 s8, v70
	s_cbranch_execnz .LBB1937_348
.LBB1937_333:                           ;   in Loop: Header=BB1937_308 Depth=2
	s_or_b32 exec_lo, exec_lo, s9
	s_delay_alu instid0(SALU_CYCLE_1)
	s_mov_b32 s9, exec_lo
	v_cmpx_gt_u32_e64 s8, v71
	s_cbranch_execnz .LBB1937_349
.LBB1937_334:                           ;   in Loop: Header=BB1937_308 Depth=2
	s_or_b32 exec_lo, exec_lo, s9
	s_delay_alu instid0(SALU_CYCLE_1)
	s_mov_b32 s9, exec_lo
	v_cmpx_gt_u32_e64 s8, v72
	s_cbranch_execnz .LBB1937_350
.LBB1937_335:                           ;   in Loop: Header=BB1937_308 Depth=2
	s_or_b32 exec_lo, exec_lo, s9
	s_delay_alu instid0(SALU_CYCLE_1)
	s_mov_b32 s9, exec_lo
	v_cmpx_gt_u32_e64 s8, v73
	s_cbranch_execnz .LBB1937_351
.LBB1937_336:                           ;   in Loop: Header=BB1937_308 Depth=2
	s_or_b32 exec_lo, exec_lo, s9
	s_delay_alu instid0(SALU_CYCLE_1)
	s_mov_b32 s9, exec_lo
	v_cmpx_gt_u32_e64 s8, v74
	s_cbranch_execnz .LBB1937_352
.LBB1937_337:                           ;   in Loop: Header=BB1937_308 Depth=2
	s_or_b32 exec_lo, exec_lo, s9
	s_delay_alu instid0(SALU_CYCLE_1)
	s_mov_b32 s9, exec_lo
	v_cmpx_gt_u32_e64 s8, v75
	s_cbranch_execnz .LBB1937_353
.LBB1937_338:                           ;   in Loop: Header=BB1937_308 Depth=2
	s_or_b32 exec_lo, exec_lo, s9
	s_delay_alu instid0(SALU_CYCLE_1)
	s_mov_b32 s9, exec_lo
	v_cmpx_gt_u32_e64 s8, v76
	s_cbranch_execnz .LBB1937_354
.LBB1937_339:                           ;   in Loop: Header=BB1937_308 Depth=2
	s_or_b32 exec_lo, exec_lo, s9
	s_delay_alu instid0(SALU_CYCLE_1)
	s_mov_b32 s9, exec_lo
	v_cmpx_gt_u32_e64 s8, v77
	s_cbranch_execnz .LBB1937_355
.LBB1937_340:                           ;   in Loop: Header=BB1937_308 Depth=2
	s_or_b32 exec_lo, exec_lo, s9
	s_delay_alu instid0(SALU_CYCLE_1)
	s_mov_b32 s9, exec_lo
	v_cmpx_gt_u32_e64 s8, v78
	s_cbranch_execnz .LBB1937_356
.LBB1937_341:                           ;   in Loop: Header=BB1937_308 Depth=2
	s_or_b32 exec_lo, exec_lo, s9
	s_delay_alu instid0(SALU_CYCLE_1)
	s_mov_b32 s9, exec_lo
	v_cmpx_gt_u32_e64 s8, v79
	s_cbranch_execnz .LBB1937_357
.LBB1937_342:                           ;   in Loop: Header=BB1937_308 Depth=2
	s_or_b32 exec_lo, exec_lo, s9
	s_delay_alu instid0(SALU_CYCLE_1)
	s_mov_b32 s9, exec_lo
	v_cmpx_gt_u32_e64 s8, v80
	s_cbranch_execnz .LBB1937_358
.LBB1937_343:                           ;   in Loop: Header=BB1937_308 Depth=2
	s_or_b32 exec_lo, exec_lo, s9
	s_delay_alu instid0(SALU_CYCLE_1)
	s_mov_b32 s9, exec_lo
	v_cmpx_gt_u32_e64 s8, v81
	s_cbranch_execnz .LBB1937_359
.LBB1937_344:                           ;   in Loop: Header=BB1937_308 Depth=2
	s_or_b32 exec_lo, exec_lo, s9
	v_cmp_gt_u32_e32 vcc_lo, s8, v82
	s_and_saveexec_b32 s8, vcc_lo
	s_cbranch_execz .LBB1937_307
	s_branch .LBB1937_360
.LBB1937_345:                           ;   in Loop: Header=BB1937_308 Depth=2
	v_cmp_gt_i16_e32 vcc_lo, 0, v38
	v_cndmask_b32_e64 v39, 0x7fff, 0, vcc_lo
	s_delay_alu instid0(VALU_DEP_1) | instskip(NEXT) | instid1(VALU_DEP_1)
	v_xor_b32_e32 v39, v39, v38
	v_cmp_ne_u16_e32 vcc_lo, 0x8000, v39
	v_cndmask_b32_e32 v39, 0x7fff, v39, vcc_lo
	s_delay_alu instid0(VALU_DEP_1) | instskip(NEXT) | instid1(VALU_DEP_1)
	v_and_b32_e32 v39, 0xffff, v39
	v_lshrrev_b32_e32 v39, s48, v39
	s_delay_alu instid0(VALU_DEP_1) | instskip(NEXT) | instid1(VALU_DEP_1)
	v_and_b32_e32 v39, s52, v39
	v_lshl_or_b32 v39, v39, 4, v83
	ds_add_u32 v39, v96
	s_or_b32 exec_lo, exec_lo, s9
	s_delay_alu instid0(SALU_CYCLE_1)
	s_mov_b32 s9, exec_lo
	v_cmpx_gt_u32_e64 s8, v68
	s_cbranch_execz .LBB1937_331
.LBB1937_346:                           ;   in Loop: Header=BB1937_308 Depth=2
	v_cmp_gt_i16_e32 vcc_lo, 0, v37
	v_cndmask_b32_e64 v39, 0x7fff, 0, vcc_lo
	s_delay_alu instid0(VALU_DEP_1) | instskip(NEXT) | instid1(VALU_DEP_1)
	v_xor_b32_e32 v39, v39, v37
	v_cmp_ne_u16_e32 vcc_lo, 0x8000, v39
	v_cndmask_b32_e32 v39, 0x7fff, v39, vcc_lo
	s_delay_alu instid0(VALU_DEP_1) | instskip(NEXT) | instid1(VALU_DEP_1)
	v_and_b32_e32 v39, 0xffff, v39
	v_lshrrev_b32_e32 v39, s48, v39
	s_delay_alu instid0(VALU_DEP_1) | instskip(NEXT) | instid1(VALU_DEP_1)
	v_and_b32_e32 v39, s52, v39
	v_lshl_or_b32 v39, v39, 4, v83
	ds_add_u32 v39, v96
	s_or_b32 exec_lo, exec_lo, s9
	s_delay_alu instid0(SALU_CYCLE_1)
	s_mov_b32 s9, exec_lo
	v_cmpx_gt_u32_e64 s8, v69
	s_cbranch_execz .LBB1937_332
.LBB1937_347:                           ;   in Loop: Header=BB1937_308 Depth=2
	v_cmp_gt_i16_e32 vcc_lo, 0, v36
	v_cndmask_b32_e64 v39, 0x7fff, 0, vcc_lo
	s_delay_alu instid0(VALU_DEP_1) | instskip(NEXT) | instid1(VALU_DEP_1)
	v_xor_b32_e32 v39, v39, v36
	v_cmp_ne_u16_e32 vcc_lo, 0x8000, v39
	v_cndmask_b32_e32 v39, 0x7fff, v39, vcc_lo
	s_delay_alu instid0(VALU_DEP_1) | instskip(NEXT) | instid1(VALU_DEP_1)
	v_and_b32_e32 v39, 0xffff, v39
	v_lshrrev_b32_e32 v39, s48, v39
	s_delay_alu instid0(VALU_DEP_1) | instskip(NEXT) | instid1(VALU_DEP_1)
	v_and_b32_e32 v39, s52, v39
	v_lshl_or_b32 v39, v39, 4, v83
	ds_add_u32 v39, v96
	s_or_b32 exec_lo, exec_lo, s9
	s_delay_alu instid0(SALU_CYCLE_1)
	s_mov_b32 s9, exec_lo
	v_cmpx_gt_u32_e64 s8, v70
	s_cbranch_execz .LBB1937_333
.LBB1937_348:                           ;   in Loop: Header=BB1937_308 Depth=2
	v_cmp_gt_i16_e32 vcc_lo, 0, v35
	v_cndmask_b32_e64 v39, 0x7fff, 0, vcc_lo
	s_delay_alu instid0(VALU_DEP_1) | instskip(NEXT) | instid1(VALU_DEP_1)
	v_xor_b32_e32 v39, v39, v35
	v_cmp_ne_u16_e32 vcc_lo, 0x8000, v39
	v_cndmask_b32_e32 v39, 0x7fff, v39, vcc_lo
	s_delay_alu instid0(VALU_DEP_1) | instskip(NEXT) | instid1(VALU_DEP_1)
	v_and_b32_e32 v39, 0xffff, v39
	v_lshrrev_b32_e32 v39, s48, v39
	s_delay_alu instid0(VALU_DEP_1) | instskip(NEXT) | instid1(VALU_DEP_1)
	v_and_b32_e32 v39, s52, v39
	v_lshl_or_b32 v39, v39, 4, v83
	ds_add_u32 v39, v96
	s_or_b32 exec_lo, exec_lo, s9
	s_delay_alu instid0(SALU_CYCLE_1)
	s_mov_b32 s9, exec_lo
	v_cmpx_gt_u32_e64 s8, v71
	s_cbranch_execz .LBB1937_334
.LBB1937_349:                           ;   in Loop: Header=BB1937_308 Depth=2
	v_cmp_gt_i16_e32 vcc_lo, 0, v34
	v_cndmask_b32_e64 v39, 0x7fff, 0, vcc_lo
	s_delay_alu instid0(VALU_DEP_1) | instskip(NEXT) | instid1(VALU_DEP_1)
	v_xor_b32_e32 v39, v39, v34
	v_cmp_ne_u16_e32 vcc_lo, 0x8000, v39
	v_cndmask_b32_e32 v39, 0x7fff, v39, vcc_lo
	s_delay_alu instid0(VALU_DEP_1) | instskip(NEXT) | instid1(VALU_DEP_1)
	v_and_b32_e32 v39, 0xffff, v39
	v_lshrrev_b32_e32 v39, s48, v39
	s_delay_alu instid0(VALU_DEP_1) | instskip(NEXT) | instid1(VALU_DEP_1)
	v_and_b32_e32 v39, s52, v39
	v_lshl_or_b32 v39, v39, 4, v83
	ds_add_u32 v39, v96
	s_or_b32 exec_lo, exec_lo, s9
	s_delay_alu instid0(SALU_CYCLE_1)
	s_mov_b32 s9, exec_lo
	v_cmpx_gt_u32_e64 s8, v72
	s_cbranch_execz .LBB1937_335
.LBB1937_350:                           ;   in Loop: Header=BB1937_308 Depth=2
	v_cmp_gt_i16_e32 vcc_lo, 0, v33
	v_cndmask_b32_e64 v39, 0x7fff, 0, vcc_lo
	s_delay_alu instid0(VALU_DEP_1) | instskip(NEXT) | instid1(VALU_DEP_1)
	v_xor_b32_e32 v39, v39, v33
	v_cmp_ne_u16_e32 vcc_lo, 0x8000, v39
	v_cndmask_b32_e32 v39, 0x7fff, v39, vcc_lo
	s_delay_alu instid0(VALU_DEP_1) | instskip(NEXT) | instid1(VALU_DEP_1)
	v_and_b32_e32 v39, 0xffff, v39
	v_lshrrev_b32_e32 v39, s48, v39
	s_delay_alu instid0(VALU_DEP_1) | instskip(NEXT) | instid1(VALU_DEP_1)
	v_and_b32_e32 v39, s52, v39
	v_lshl_or_b32 v39, v39, 4, v83
	ds_add_u32 v39, v96
	s_or_b32 exec_lo, exec_lo, s9
	s_delay_alu instid0(SALU_CYCLE_1)
	s_mov_b32 s9, exec_lo
	v_cmpx_gt_u32_e64 s8, v73
	s_cbranch_execz .LBB1937_336
.LBB1937_351:                           ;   in Loop: Header=BB1937_308 Depth=2
	v_cmp_gt_i16_e32 vcc_lo, 0, v32
	v_cndmask_b32_e64 v39, 0x7fff, 0, vcc_lo
	s_delay_alu instid0(VALU_DEP_1) | instskip(NEXT) | instid1(VALU_DEP_1)
	v_xor_b32_e32 v39, v39, v32
	v_cmp_ne_u16_e32 vcc_lo, 0x8000, v39
	v_cndmask_b32_e32 v39, 0x7fff, v39, vcc_lo
	s_delay_alu instid0(VALU_DEP_1) | instskip(NEXT) | instid1(VALU_DEP_1)
	v_and_b32_e32 v39, 0xffff, v39
	v_lshrrev_b32_e32 v39, s48, v39
	s_delay_alu instid0(VALU_DEP_1) | instskip(NEXT) | instid1(VALU_DEP_1)
	v_and_b32_e32 v39, s52, v39
	v_lshl_or_b32 v39, v39, 4, v83
	ds_add_u32 v39, v96
	s_or_b32 exec_lo, exec_lo, s9
	s_delay_alu instid0(SALU_CYCLE_1)
	s_mov_b32 s9, exec_lo
	v_cmpx_gt_u32_e64 s8, v74
	s_cbranch_execz .LBB1937_337
.LBB1937_352:                           ;   in Loop: Header=BB1937_308 Depth=2
	v_cmp_gt_i16_e32 vcc_lo, 0, v31
	v_cndmask_b32_e64 v39, 0x7fff, 0, vcc_lo
	s_delay_alu instid0(VALU_DEP_1) | instskip(NEXT) | instid1(VALU_DEP_1)
	v_xor_b32_e32 v39, v39, v31
	v_cmp_ne_u16_e32 vcc_lo, 0x8000, v39
	v_cndmask_b32_e32 v39, 0x7fff, v39, vcc_lo
	s_delay_alu instid0(VALU_DEP_1) | instskip(NEXT) | instid1(VALU_DEP_1)
	v_and_b32_e32 v39, 0xffff, v39
	v_lshrrev_b32_e32 v39, s48, v39
	s_delay_alu instid0(VALU_DEP_1) | instskip(NEXT) | instid1(VALU_DEP_1)
	v_and_b32_e32 v39, s52, v39
	v_lshl_or_b32 v39, v39, 4, v83
	ds_add_u32 v39, v96
	s_or_b32 exec_lo, exec_lo, s9
	s_delay_alu instid0(SALU_CYCLE_1)
	s_mov_b32 s9, exec_lo
	v_cmpx_gt_u32_e64 s8, v75
	s_cbranch_execz .LBB1937_338
.LBB1937_353:                           ;   in Loop: Header=BB1937_308 Depth=2
	v_cmp_gt_i16_e32 vcc_lo, 0, v30
	v_cndmask_b32_e64 v39, 0x7fff, 0, vcc_lo
	s_delay_alu instid0(VALU_DEP_1) | instskip(NEXT) | instid1(VALU_DEP_1)
	v_xor_b32_e32 v39, v39, v30
	v_cmp_ne_u16_e32 vcc_lo, 0x8000, v39
	v_cndmask_b32_e32 v39, 0x7fff, v39, vcc_lo
	s_delay_alu instid0(VALU_DEP_1) | instskip(NEXT) | instid1(VALU_DEP_1)
	v_and_b32_e32 v39, 0xffff, v39
	v_lshrrev_b32_e32 v39, s48, v39
	s_delay_alu instid0(VALU_DEP_1) | instskip(NEXT) | instid1(VALU_DEP_1)
	v_and_b32_e32 v39, s52, v39
	v_lshl_or_b32 v39, v39, 4, v83
	ds_add_u32 v39, v96
	s_or_b32 exec_lo, exec_lo, s9
	s_delay_alu instid0(SALU_CYCLE_1)
	s_mov_b32 s9, exec_lo
	v_cmpx_gt_u32_e64 s8, v76
	s_cbranch_execz .LBB1937_339
.LBB1937_354:                           ;   in Loop: Header=BB1937_308 Depth=2
	v_cmp_gt_i16_e32 vcc_lo, 0, v29
	v_cndmask_b32_e64 v39, 0x7fff, 0, vcc_lo
	s_delay_alu instid0(VALU_DEP_1) | instskip(NEXT) | instid1(VALU_DEP_1)
	v_xor_b32_e32 v39, v39, v29
	v_cmp_ne_u16_e32 vcc_lo, 0x8000, v39
	v_cndmask_b32_e32 v39, 0x7fff, v39, vcc_lo
	s_delay_alu instid0(VALU_DEP_1) | instskip(NEXT) | instid1(VALU_DEP_1)
	v_and_b32_e32 v39, 0xffff, v39
	v_lshrrev_b32_e32 v39, s48, v39
	s_delay_alu instid0(VALU_DEP_1) | instskip(NEXT) | instid1(VALU_DEP_1)
	v_and_b32_e32 v39, s52, v39
	v_lshl_or_b32 v39, v39, 4, v83
	ds_add_u32 v39, v96
	s_or_b32 exec_lo, exec_lo, s9
	s_delay_alu instid0(SALU_CYCLE_1)
	s_mov_b32 s9, exec_lo
	v_cmpx_gt_u32_e64 s8, v77
	s_cbranch_execz .LBB1937_340
.LBB1937_355:                           ;   in Loop: Header=BB1937_308 Depth=2
	v_cmp_gt_i16_e32 vcc_lo, 0, v28
	v_cndmask_b32_e64 v39, 0x7fff, 0, vcc_lo
	s_delay_alu instid0(VALU_DEP_1) | instskip(NEXT) | instid1(VALU_DEP_1)
	v_xor_b32_e32 v39, v39, v28
	v_cmp_ne_u16_e32 vcc_lo, 0x8000, v39
	v_cndmask_b32_e32 v39, 0x7fff, v39, vcc_lo
	s_delay_alu instid0(VALU_DEP_1) | instskip(NEXT) | instid1(VALU_DEP_1)
	v_and_b32_e32 v39, 0xffff, v39
	v_lshrrev_b32_e32 v39, s48, v39
	s_delay_alu instid0(VALU_DEP_1) | instskip(NEXT) | instid1(VALU_DEP_1)
	v_and_b32_e32 v39, s52, v39
	v_lshl_or_b32 v39, v39, 4, v83
	ds_add_u32 v39, v96
	s_or_b32 exec_lo, exec_lo, s9
	s_delay_alu instid0(SALU_CYCLE_1)
	s_mov_b32 s9, exec_lo
	v_cmpx_gt_u32_e64 s8, v78
	s_cbranch_execz .LBB1937_341
.LBB1937_356:                           ;   in Loop: Header=BB1937_308 Depth=2
	v_cmp_gt_i16_e32 vcc_lo, 0, v27
	v_cndmask_b32_e64 v39, 0x7fff, 0, vcc_lo
	s_delay_alu instid0(VALU_DEP_1) | instskip(NEXT) | instid1(VALU_DEP_1)
	v_xor_b32_e32 v39, v39, v27
	v_cmp_ne_u16_e32 vcc_lo, 0x8000, v39
	v_cndmask_b32_e32 v39, 0x7fff, v39, vcc_lo
	s_delay_alu instid0(VALU_DEP_1) | instskip(NEXT) | instid1(VALU_DEP_1)
	v_and_b32_e32 v39, 0xffff, v39
	v_lshrrev_b32_e32 v39, s48, v39
	s_delay_alu instid0(VALU_DEP_1) | instskip(NEXT) | instid1(VALU_DEP_1)
	v_and_b32_e32 v39, s52, v39
	v_lshl_or_b32 v39, v39, 4, v83
	ds_add_u32 v39, v96
	s_or_b32 exec_lo, exec_lo, s9
	s_delay_alu instid0(SALU_CYCLE_1)
	s_mov_b32 s9, exec_lo
	v_cmpx_gt_u32_e64 s8, v79
	s_cbranch_execz .LBB1937_342
.LBB1937_357:                           ;   in Loop: Header=BB1937_308 Depth=2
	v_cmp_gt_i16_e32 vcc_lo, 0, v26
	v_cndmask_b32_e64 v39, 0x7fff, 0, vcc_lo
	s_delay_alu instid0(VALU_DEP_1) | instskip(NEXT) | instid1(VALU_DEP_1)
	v_xor_b32_e32 v39, v39, v26
	v_cmp_ne_u16_e32 vcc_lo, 0x8000, v39
	v_cndmask_b32_e32 v39, 0x7fff, v39, vcc_lo
	s_delay_alu instid0(VALU_DEP_1) | instskip(NEXT) | instid1(VALU_DEP_1)
	v_and_b32_e32 v39, 0xffff, v39
	v_lshrrev_b32_e32 v39, s48, v39
	s_delay_alu instid0(VALU_DEP_1) | instskip(NEXT) | instid1(VALU_DEP_1)
	v_and_b32_e32 v39, s52, v39
	v_lshl_or_b32 v39, v39, 4, v83
	ds_add_u32 v39, v96
	s_or_b32 exec_lo, exec_lo, s9
	s_delay_alu instid0(SALU_CYCLE_1)
	s_mov_b32 s9, exec_lo
	v_cmpx_gt_u32_e64 s8, v80
	s_cbranch_execz .LBB1937_343
.LBB1937_358:                           ;   in Loop: Header=BB1937_308 Depth=2
	v_cmp_gt_i16_e32 vcc_lo, 0, v25
	v_cndmask_b32_e64 v39, 0x7fff, 0, vcc_lo
	s_delay_alu instid0(VALU_DEP_1) | instskip(NEXT) | instid1(VALU_DEP_1)
	v_xor_b32_e32 v39, v39, v25
	v_cmp_ne_u16_e32 vcc_lo, 0x8000, v39
	v_cndmask_b32_e32 v39, 0x7fff, v39, vcc_lo
	s_delay_alu instid0(VALU_DEP_1) | instskip(NEXT) | instid1(VALU_DEP_1)
	v_and_b32_e32 v39, 0xffff, v39
	v_lshrrev_b32_e32 v39, s48, v39
	s_delay_alu instid0(VALU_DEP_1) | instskip(NEXT) | instid1(VALU_DEP_1)
	v_and_b32_e32 v39, s52, v39
	v_lshl_or_b32 v39, v39, 4, v83
	ds_add_u32 v39, v96
	s_or_b32 exec_lo, exec_lo, s9
	s_delay_alu instid0(SALU_CYCLE_1)
	s_mov_b32 s9, exec_lo
	v_cmpx_gt_u32_e64 s8, v81
	s_cbranch_execz .LBB1937_344
.LBB1937_359:                           ;   in Loop: Header=BB1937_308 Depth=2
	v_cmp_gt_i16_e32 vcc_lo, 0, v24
	v_cndmask_b32_e64 v39, 0x7fff, 0, vcc_lo
	s_delay_alu instid0(VALU_DEP_1) | instskip(NEXT) | instid1(VALU_DEP_1)
	v_xor_b32_e32 v39, v39, v24
	v_cmp_ne_u16_e32 vcc_lo, 0x8000, v39
	v_cndmask_b32_e32 v39, 0x7fff, v39, vcc_lo
	s_delay_alu instid0(VALU_DEP_1) | instskip(NEXT) | instid1(VALU_DEP_1)
	v_and_b32_e32 v39, 0xffff, v39
	v_lshrrev_b32_e32 v39, s48, v39
	s_delay_alu instid0(VALU_DEP_1) | instskip(NEXT) | instid1(VALU_DEP_1)
	v_and_b32_e32 v39, s52, v39
	v_lshl_or_b32 v39, v39, 4, v83
	ds_add_u32 v39, v96
	s_or_b32 exec_lo, exec_lo, s9
	v_cmp_gt_u32_e32 vcc_lo, s8, v82
	s_and_saveexec_b32 s8, vcc_lo
	s_cbranch_execz .LBB1937_307
.LBB1937_360:                           ;   in Loop: Header=BB1937_308 Depth=2
	v_cmp_gt_i16_e32 vcc_lo, 0, v23
	v_cndmask_b32_e64 v39, 0x7fff, 0, vcc_lo
	s_delay_alu instid0(VALU_DEP_1) | instskip(NEXT) | instid1(VALU_DEP_1)
	v_xor_b32_e32 v39, v39, v23
	v_cmp_ne_u16_e32 vcc_lo, 0x8000, v39
	v_cndmask_b32_e32 v39, 0x7fff, v39, vcc_lo
	s_delay_alu instid0(VALU_DEP_1) | instskip(NEXT) | instid1(VALU_DEP_1)
	v_and_b32_e32 v39, 0xffff, v39
	v_lshrrev_b32_e32 v39, s48, v39
	s_delay_alu instid0(VALU_DEP_1) | instskip(NEXT) | instid1(VALU_DEP_1)
	v_and_b32_e32 v39, s52, v39
	v_lshl_or_b32 v39, v39, 4, v83
	ds_add_u32 v39, v96
	s_branch .LBB1937_307
.LBB1937_361:                           ;   in Loop: Header=BB1937_308 Depth=2
	global_load_u16 v38, v2, s[8:9] scale_offset
	s_wait_xcnt 0x0
	s_or_b32 exec_lo, exec_lo, s11
	s_delay_alu instid0(SALU_CYCLE_1)
	s_mov_b32 s11, exec_lo
	v_cmpx_gt_u32_e64 s7, v68
	s_cbranch_execz .LBB1937_313
.LBB1937_362:                           ;   in Loop: Header=BB1937_308 Depth=2
	global_load_u16 v37, v2, s[8:9] offset:512 scale_offset
	s_wait_xcnt 0x0
	s_or_b32 exec_lo, exec_lo, s11
	s_delay_alu instid0(SALU_CYCLE_1)
	s_mov_b32 s11, exec_lo
	v_cmpx_gt_u32_e64 s7, v69
	s_cbranch_execz .LBB1937_314
.LBB1937_363:                           ;   in Loop: Header=BB1937_308 Depth=2
	global_load_u16 v36, v2, s[8:9] offset:1024 scale_offset
	s_wait_xcnt 0x0
	s_or_b32 exec_lo, exec_lo, s11
	s_delay_alu instid0(SALU_CYCLE_1)
	s_mov_b32 s11, exec_lo
	v_cmpx_gt_u32_e64 s7, v70
	s_cbranch_execz .LBB1937_315
.LBB1937_364:                           ;   in Loop: Header=BB1937_308 Depth=2
	global_load_u16 v35, v2, s[8:9] offset:1536 scale_offset
	s_wait_xcnt 0x0
	s_or_b32 exec_lo, exec_lo, s11
	s_delay_alu instid0(SALU_CYCLE_1)
	s_mov_b32 s11, exec_lo
	v_cmpx_gt_u32_e64 s7, v71
	s_cbranch_execz .LBB1937_316
.LBB1937_365:                           ;   in Loop: Header=BB1937_308 Depth=2
	global_load_u16 v34, v2, s[8:9] offset:2048 scale_offset
	s_wait_xcnt 0x0
	s_or_b32 exec_lo, exec_lo, s11
	s_delay_alu instid0(SALU_CYCLE_1)
	s_mov_b32 s11, exec_lo
	v_cmpx_gt_u32_e64 s7, v72
	s_cbranch_execz .LBB1937_317
.LBB1937_366:                           ;   in Loop: Header=BB1937_308 Depth=2
	global_load_u16 v33, v2, s[8:9] offset:2560 scale_offset
	s_wait_xcnt 0x0
	s_or_b32 exec_lo, exec_lo, s11
	s_delay_alu instid0(SALU_CYCLE_1)
	s_mov_b32 s11, exec_lo
	v_cmpx_gt_u32_e64 s7, v73
	s_cbranch_execz .LBB1937_318
.LBB1937_367:                           ;   in Loop: Header=BB1937_308 Depth=2
	global_load_u16 v32, v2, s[8:9] offset:3072 scale_offset
	s_wait_xcnt 0x0
	s_or_b32 exec_lo, exec_lo, s11
	s_delay_alu instid0(SALU_CYCLE_1)
	s_mov_b32 s11, exec_lo
	v_cmpx_gt_u32_e64 s7, v74
	s_cbranch_execz .LBB1937_319
.LBB1937_368:                           ;   in Loop: Header=BB1937_308 Depth=2
	global_load_u16 v31, v2, s[8:9] offset:3584 scale_offset
	s_wait_xcnt 0x0
	s_or_b32 exec_lo, exec_lo, s11
	s_delay_alu instid0(SALU_CYCLE_1)
	s_mov_b32 s11, exec_lo
	v_cmpx_gt_u32_e64 s7, v75
	s_cbranch_execz .LBB1937_320
.LBB1937_369:                           ;   in Loop: Header=BB1937_308 Depth=2
	global_load_u16 v30, v2, s[8:9] offset:4096 scale_offset
	s_wait_xcnt 0x0
	s_or_b32 exec_lo, exec_lo, s11
	s_delay_alu instid0(SALU_CYCLE_1)
	s_mov_b32 s11, exec_lo
	v_cmpx_gt_u32_e64 s7, v76
	s_cbranch_execz .LBB1937_321
.LBB1937_370:                           ;   in Loop: Header=BB1937_308 Depth=2
	global_load_u16 v29, v2, s[8:9] offset:4608 scale_offset
	s_wait_xcnt 0x0
	s_or_b32 exec_lo, exec_lo, s11
	s_delay_alu instid0(SALU_CYCLE_1)
	s_mov_b32 s11, exec_lo
	v_cmpx_gt_u32_e64 s7, v77
	s_cbranch_execz .LBB1937_322
.LBB1937_371:                           ;   in Loop: Header=BB1937_308 Depth=2
	global_load_u16 v28, v2, s[8:9] offset:5120 scale_offset
	s_wait_xcnt 0x0
	s_or_b32 exec_lo, exec_lo, s11
	s_delay_alu instid0(SALU_CYCLE_1)
	s_mov_b32 s11, exec_lo
	v_cmpx_gt_u32_e64 s7, v78
	s_cbranch_execz .LBB1937_323
.LBB1937_372:                           ;   in Loop: Header=BB1937_308 Depth=2
	global_load_u16 v27, v2, s[8:9] offset:5632 scale_offset
	s_wait_xcnt 0x0
	s_or_b32 exec_lo, exec_lo, s11
	s_delay_alu instid0(SALU_CYCLE_1)
	s_mov_b32 s11, exec_lo
	v_cmpx_gt_u32_e64 s7, v79
	s_cbranch_execz .LBB1937_324
.LBB1937_373:                           ;   in Loop: Header=BB1937_308 Depth=2
	global_load_u16 v26, v2, s[8:9] offset:6144 scale_offset
	s_wait_xcnt 0x0
	s_or_b32 exec_lo, exec_lo, s11
	s_delay_alu instid0(SALU_CYCLE_1)
	s_mov_b32 s11, exec_lo
	v_cmpx_gt_u32_e64 s7, v80
	s_cbranch_execz .LBB1937_325
.LBB1937_374:                           ;   in Loop: Header=BB1937_308 Depth=2
	global_load_u16 v25, v2, s[8:9] offset:6656 scale_offset
	s_wait_xcnt 0x0
	s_or_b32 exec_lo, exec_lo, s11
	s_delay_alu instid0(SALU_CYCLE_1)
	s_mov_b32 s11, exec_lo
	v_cmpx_gt_u32_e64 s7, v81
	s_cbranch_execz .LBB1937_326
.LBB1937_375:                           ;   in Loop: Header=BB1937_308 Depth=2
	global_load_u16 v24, v2, s[8:9] offset:7168 scale_offset
	s_wait_xcnt 0x0
	s_or_b32 exec_lo, exec_lo, s11
	s_delay_alu instid0(SALU_CYCLE_1)
	s_mov_b32 s11, exec_lo
	v_cmpx_gt_u32_e64 s7, v82
	s_cbranch_execnz .LBB1937_327
	s_branch .LBB1937_328
.LBB1937_376:                           ;   in Loop: Header=BB1937_12 Depth=1
	v_mov_b32_e32 v23, 0
	s_wait_dscnt 0x0
	s_barrier_signal -1
	s_barrier_wait -1
	s_and_saveexec_b32 s7, s0
	s_cbranch_execz .LBB1937_378
; %bb.377:                              ;   in Loop: Header=BB1937_12 Depth=1
	ds_load_2addr_b64 v[24:27], v85 offset1:1
	s_wait_dscnt 0x0
	v_add_nc_u32_e32 v23, v25, v24
	s_delay_alu instid0(VALU_DEP_1)
	v_add3_u32 v23, v23, v26, v27
.LBB1937_378:                           ;   in Loop: Header=BB1937_12 Depth=1
	s_or_b32 exec_lo, exec_lo, s7
	s_delay_alu instid0(VALU_DEP_1)
	v_mov_b32_dpp v24, v23 row_shr:1 row_mask:0xf bank_mask:0xf
	v_cmp_eq_u32_e64 s7, 0, v97
	v_cmp_lt_u32_e64 s8, 1, v97
	v_cmp_lt_u32_e64 s9, 3, v97
	;; [unrolled: 1-line block ×3, first 2 shown]
	v_cmp_eq_u32_e64 s11, 0, v99
	v_cndmask_b32_e64 v24, v24, 0, s7
	s_delay_alu instid0(VALU_DEP_1) | instskip(NEXT) | instid1(VALU_DEP_1)
	v_add_nc_u32_e32 v23, v24, v23
	v_mov_b32_dpp v24, v23 row_shr:2 row_mask:0xf bank_mask:0xf
	s_delay_alu instid0(VALU_DEP_1) | instskip(NEXT) | instid1(VALU_DEP_1)
	v_cndmask_b32_e64 v24, 0, v24, s8
	v_add_nc_u32_e32 v23, v23, v24
	s_delay_alu instid0(VALU_DEP_1) | instskip(NEXT) | instid1(VALU_DEP_1)
	v_mov_b32_dpp v24, v23 row_shr:4 row_mask:0xf bank_mask:0xf
	v_cndmask_b32_e64 v24, 0, v24, s9
	s_delay_alu instid0(VALU_DEP_1) | instskip(NEXT) | instid1(VALU_DEP_1)
	v_add_nc_u32_e32 v23, v23, v24
	v_mov_b32_dpp v24, v23 row_shr:8 row_mask:0xf bank_mask:0xf
	s_delay_alu instid0(VALU_DEP_1) | instskip(NEXT) | instid1(VALU_DEP_1)
	v_cndmask_b32_e64 v24, 0, v24, s10
	v_add_nc_u32_e32 v23, v23, v24
	ds_swizzle_b32 v24, v23 offset:swizzle(BROADCAST,32,15)
	s_wait_dscnt 0x0
	v_and_b32_e32 v24, v98, v24
	s_delay_alu instid0(VALU_DEP_1)
	v_add_nc_u32_e32 v23, v23, v24
	s_and_saveexec_b32 s12, s1
; %bb.379:                              ;   in Loop: Header=BB1937_12 Depth=1
	ds_store_b32 v86, v23
; %bb.380:                              ;   in Loop: Header=BB1937_12 Depth=1
	s_or_b32 exec_lo, exec_lo, s12
	s_wait_dscnt 0x0
	s_barrier_signal -1
	s_barrier_wait -1
	s_and_saveexec_b32 s12, s4
	s_cbranch_execz .LBB1937_382
; %bb.381:                              ;   in Loop: Header=BB1937_12 Depth=1
	ds_load_b32 v24, v87
	v_cmp_ne_u32_e32 vcc_lo, 0, v101
	s_wait_dscnt 0x0
	v_mov_b32_dpp v25, v24 row_shr:1 row_mask:0xf bank_mask:0xf
	s_delay_alu instid0(VALU_DEP_1) | instskip(SKIP_1) | instid1(VALU_DEP_2)
	v_cndmask_b32_e32 v25, 0, v25, vcc_lo
	v_cmp_lt_u32_e32 vcc_lo, 1, v101
	v_add_nc_u32_e32 v24, v25, v24
	s_delay_alu instid0(VALU_DEP_1) | instskip(NEXT) | instid1(VALU_DEP_1)
	v_mov_b32_dpp v25, v24 row_shr:2 row_mask:0xf bank_mask:0xf
	v_cndmask_b32_e32 v25, 0, v25, vcc_lo
	v_cmp_lt_u32_e32 vcc_lo, 3, v101
	s_delay_alu instid0(VALU_DEP_2) | instskip(NEXT) | instid1(VALU_DEP_1)
	v_add_nc_u32_e32 v24, v24, v25
	v_mov_b32_dpp v25, v24 row_shr:4 row_mask:0xf bank_mask:0xf
	s_delay_alu instid0(VALU_DEP_1) | instskip(NEXT) | instid1(VALU_DEP_1)
	v_cndmask_b32_e32 v25, 0, v25, vcc_lo
	v_add_nc_u32_e32 v24, v24, v25
	ds_store_b32 v87, v24
.LBB1937_382:                           ;   in Loop: Header=BB1937_12 Depth=1
	s_or_b32 exec_lo, exec_lo, s12
	v_mov_b32_e32 v24, 0
	s_wait_dscnt 0x0
	s_barrier_signal -1
	s_barrier_wait -1
	s_and_saveexec_b32 s12, s5
; %bb.383:                              ;   in Loop: Header=BB1937_12 Depth=1
	ds_load_b32 v24, v88
; %bb.384:                              ;   in Loop: Header=BB1937_12 Depth=1
	s_or_b32 exec_lo, exec_lo, s12
	v_cmp_gt_i32_e32 vcc_lo, 0, v102
	s_wait_dscnt 0x0
	s_barrier_signal -1
	s_barrier_wait -1
	v_cndmask_b32_e32 v25, v102, v95, vcc_lo
	s_delay_alu instid0(VALU_DEP_1)
	v_dual_add_nc_u32 v23, v24, v23 :: v_dual_lshlrev_b32 v122, 2, v25
	ds_bpermute_b32 v23, v122, v23
	s_and_saveexec_b32 s12, s0
	s_cbranch_execz .LBB1937_386
; %bb.385:                              ;   in Loop: Header=BB1937_12 Depth=1
	s_wait_dscnt 0x0
	v_cndmask_b32_e64 v23, v23, v24, s6
	s_delay_alu instid0(VALU_DEP_1)
	v_add_nc_u32_e32 v23, s54, v23
	ds_store_b32 v3, v23
.LBB1937_386:                           ;   in Loop: Header=BB1937_12 Depth=1
	s_or_b32 exec_lo, exec_lo, s12
	s_load_b64 s[12:13], s[34:35], 0x0
	s_mov_b32 s53, s56
                                        ; implicit-def: $vgpr30_vgpr31
                                        ; implicit-def: $vgpr32_vgpr33
                                        ; implicit-def: $vgpr34_vgpr35
                                        ; implicit-def: $vgpr36_vgpr37
                                        ; implicit-def: $vgpr38_vgpr39
                                        ; implicit-def: $vgpr40_vgpr41
                                        ; implicit-def: $vgpr42_vgpr43
                                        ; implicit-def: $vgpr44_vgpr45
                                        ; implicit-def: $vgpr46_vgpr47
                                        ; implicit-def: $vgpr48_vgpr49
                                        ; implicit-def: $vgpr50_vgpr51
                                        ; implicit-def: $vgpr52_vgpr53
                                        ; implicit-def: $vgpr54_vgpr55
                                        ; implicit-def: $vgpr56_vgpr57
                                        ; implicit-def: $vgpr58_vgpr59
                                        ; implicit-def: $vgpr123
                                        ; implicit-def: $vgpr124
                                        ; implicit-def: $vgpr125
                                        ; implicit-def: $vgpr126
                                        ; implicit-def: $vgpr127
                                        ; implicit-def: $vgpr128
                                        ; implicit-def: $vgpr129
                                        ; implicit-def: $vgpr130
                                        ; implicit-def: $vgpr131
                                        ; implicit-def: $vgpr132
                                        ; implicit-def: $vgpr133
                                        ; implicit-def: $vgpr134
                                        ; implicit-def: $vgpr135
                                        ; implicit-def: $vgpr136
                                        ; implicit-def: $vgpr137
                                        ; implicit-def: $vgpr138
	s_wait_kmcnt 0x0
	s_cmp_lt_u32 s33, s12
	s_cselect_b32 s42, 12, 18
	s_cmp_lt_u32 s31, s13
	s_mov_b32 s13, s43
	s_cselect_b32 s12, 14, 20
	s_delay_alu instid0(SALU_CYCLE_1)
	s_add_nc_u64 s[12:13], s[34:35], s[12:13]
	s_load_u16 s14, s[12:13], 0x0
	s_wait_xcnt 0x0
	s_add_nc_u64 s[12:13], s[34:35], s[42:43]
	s_mov_b32 s42, s54
	s_load_u16 s12, s[12:13], 0x0
	s_wait_xcnt 0x0
	v_cmp_lt_u32_e64 s13, 1, v101
	s_wait_dscnt 0x0
	s_wait_kmcnt 0x0
	v_mad_u32_u24 v23, v89, s14, v90
	v_cmp_lt_u32_e64 s14, 3, v101
	s_delay_alu instid0(VALU_DEP_2) | instskip(SKIP_2) | instid1(VALU_DEP_3)
	v_mad_u32 v24, v23, s12, v2
	v_mov_b32_e32 v23, v5
	v_cmp_eq_u32_e64 s12, 0, v101
	v_lshrrev_b32_e32 v28, 3, v24
	v_add_nc_u64_e32 v[24:25], v[12:13], v[4:5]
	s_delay_alu instid0(VALU_DEP_4) | instskip(NEXT) | instid1(VALU_DEP_3)
	v_add_nc_u64_e32 v[26:27], v[14:15], v[22:23]
	v_and_b32_e32 v23, 0x1ffffffc, v28
                                        ; implicit-def: $vgpr28_vgpr29
	s_branch .LBB1937_388
.LBB1937_387:                           ;   in Loop: Header=BB1937_388 Depth=2
	s_or_b32 exec_lo, exec_lo, s15
	s_addk_co_i32 s53, 0xf000
	s_cmp_lt_u32 s57, s51
	s_mov_b32 s42, s57
	s_cbranch_scc0 .LBB1937_596
.LBB1937_388:                           ;   Parent Loop BB1937_12 Depth=1
                                        ; =>  This Inner Loop Header: Depth=2
	s_add_co_i32 s57, s42, 0x1000
	s_delay_alu instid0(SALU_CYCLE_1)
	s_cmp_gt_u32 s57, s51
	s_cbranch_scc1 .LBB1937_390
; %bb.389:                              ;   in Loop: Header=BB1937_388 Depth=2
	s_delay_alu instid0(VALU_DEP_2)
	v_lshl_add_u64 v[60:61], s[42:43], 1, v[26:27]
	s_mov_b32 s15, -1
	s_clause 0xe
	global_load_u16 v140, v[60:61], off
	global_load_u16 v141, v[60:61], off offset:64
	global_load_u16 v144, v[60:61], off offset:128
	;; [unrolled: 1-line block ×14, first 2 shown]
	s_movk_i32 s16, 0x1000
	s_cbranch_execz .LBB1937_391
	s_branch .LBB1937_422
.LBB1937_390:                           ;   in Loop: Header=BB1937_388 Depth=2
	s_mov_b32 s15, 0
                                        ; implicit-def: $vgpr140
                                        ; implicit-def: $vgpr141
                                        ; implicit-def: $vgpr144
                                        ; implicit-def: $vgpr148
                                        ; implicit-def: $vgpr152
                                        ; implicit-def: $vgpr156
                                        ; implicit-def: $vgpr160
                                        ; implicit-def: $vgpr164
                                        ; implicit-def: $vgpr168
                                        ; implicit-def: $vgpr67
                                        ; implicit-def: $vgpr66
                                        ; implicit-def: $vgpr65
                                        ; implicit-def: $vgpr64
                                        ; implicit-def: $vgpr63
                                        ; implicit-def: $vgpr62
	s_movk_i32 s16, 0x1000
.LBB1937_391:                           ;   in Loop: Header=BB1937_388 Depth=2
	s_wait_xcnt 0x0
	v_lshl_add_u64 v[60:61], s[42:43], 1, v[26:27]
	s_wait_loadcnt 0xd
	v_dual_mov_b32 v141, -1 :: v_dual_mov_b32 v140, -1
	s_mov_b32 s15, exec_lo
	v_cmpx_gt_u32_e64 s53, v100
	s_cbranch_execz .LBB1937_393
; %bb.392:                              ;   in Loop: Header=BB1937_388 Depth=2
	global_load_u16 v140, v[60:61], off
.LBB1937_393:                           ;   in Loop: Header=BB1937_388 Depth=2
	s_wait_xcnt 0x0
	s_or_b32 exec_lo, exec_lo, s15
	s_delay_alu instid0(SALU_CYCLE_1)
	s_mov_b32 s15, exec_lo
	v_cmpx_gt_u32_e64 s53, v103
	s_cbranch_execz .LBB1937_395
; %bb.394:                              ;   in Loop: Header=BB1937_388 Depth=2
	global_load_u16 v141, v[60:61], off offset:64
.LBB1937_395:                           ;   in Loop: Header=BB1937_388 Depth=2
	s_wait_xcnt 0x0
	s_or_b32 exec_lo, exec_lo, s15
	s_wait_loadcnt 0xb
	v_dual_mov_b32 v148, -1 :: v_dual_mov_b32 v144, -1
	s_mov_b32 s15, exec_lo
	v_cmpx_gt_u32_e64 s53, v104
	s_cbranch_execz .LBB1937_397
; %bb.396:                              ;   in Loop: Header=BB1937_388 Depth=2
	global_load_u16 v144, v[60:61], off offset:128
.LBB1937_397:                           ;   in Loop: Header=BB1937_388 Depth=2
	s_wait_xcnt 0x0
	s_or_b32 exec_lo, exec_lo, s15
	s_delay_alu instid0(SALU_CYCLE_1)
	s_mov_b32 s15, exec_lo
	v_cmpx_gt_u32_e64 s53, v105
	s_cbranch_execz .LBB1937_399
; %bb.398:                              ;   in Loop: Header=BB1937_388 Depth=2
	global_load_u16 v148, v[60:61], off offset:192
.LBB1937_399:                           ;   in Loop: Header=BB1937_388 Depth=2
	s_wait_xcnt 0x0
	s_or_b32 exec_lo, exec_lo, s15
	s_wait_loadcnt 0x9
	v_dual_mov_b32 v156, -1 :: v_dual_mov_b32 v152, -1
	s_mov_b32 s15, exec_lo
	v_cmpx_gt_u32_e64 s53, v106
	s_cbranch_execz .LBB1937_401
; %bb.400:                              ;   in Loop: Header=BB1937_388 Depth=2
	global_load_u16 v152, v[60:61], off offset:256
.LBB1937_401:                           ;   in Loop: Header=BB1937_388 Depth=2
	;; [unrolled: 19-line block ×6, first 2 shown]
	s_wait_xcnt 0x0
	s_or_b32 exec_lo, exec_lo, s15
	s_delay_alu instid0(SALU_CYCLE_1)
	s_mov_b32 s15, exec_lo
	v_cmpx_gt_u32_e64 s53, v115
	s_cbranch_execz .LBB1937_419
; %bb.418:                              ;   in Loop: Header=BB1937_388 Depth=2
	global_load_u16 v63, v[60:61], off offset:832
.LBB1937_419:                           ;   in Loop: Header=BB1937_388 Depth=2
	s_wait_xcnt 0x0
	s_or_b32 exec_lo, exec_lo, s15
	s_wait_loadcnt 0x0
	v_mov_b32_e32 v62, -1
	s_mov_b32 s15, exec_lo
	v_cmpx_gt_u32_e64 s53, v116
	s_cbranch_execz .LBB1937_421
; %bb.420:                              ;   in Loop: Header=BB1937_388 Depth=2
	global_load_u16 v62, v[60:61], off offset:896
.LBB1937_421:                           ;   in Loop: Header=BB1937_388 Depth=2
	s_wait_xcnt 0x0
	s_or_b32 exec_lo, exec_lo, s15
	v_cmp_gt_u32_e64 s15, s53, v117
	s_sub_co_i32 s16, s51, s42
.LBB1937_422:                           ;   in Loop: Header=BB1937_388 Depth=2
	s_wait_xcnt 0x0
	v_dual_mov_b32 v60, -1 :: v_dual_mov_b32 v139, s53
	s_and_saveexec_b32 s17, s15
	s_cbranch_execz .LBB1937_424
; %bb.423:                              ;   in Loop: Header=BB1937_388 Depth=2
	v_lshl_add_u64 v[60:61], s[42:43], 1, v[26:27]
	v_mov_b32_e32 v139, s16
	global_load_u16 v60, v[60:61], off offset:960
.LBB1937_424:                           ;   in Loop: Header=BB1937_388 Depth=2
	s_wait_xcnt 0x0
	s_or_b32 exec_lo, exec_lo, s17
	s_wait_loadcnt 0xe
	v_cmp_gt_i16_e64 vcc_lo, 0, v140
	ds_store_2addr_b32 v121, v5, v5 offset1:1
	ds_store_2addr_b32 v118, v5, v5 offset1:1
	;; [unrolled: 1-line block ×4, first 2 shown]
	ds_store_b32 v91, v5 offset:1088
	s_wait_loadcnt_dscnt 0x0
	s_barrier_signal -1
	v_cndmask_b32_e64 v61, 0x7fff, 0, vcc_lo
	s_barrier_wait -1
	; wave barrier
	s_delay_alu instid0(VALU_DEP_1) | instskip(NEXT) | instid1(VALU_DEP_1)
	v_xor_b32_e32 v140, v61, v140
	v_cmp_ne_u16_e64 vcc_lo, 0x8000, v140
	v_cndmask_b32_e32 v61, 0x7fff, v140, vcc_lo
	s_delay_alu instid0(VALU_DEP_1) | instskip(NEXT) | instid1(VALU_DEP_1)
	v_and_b32_e32 v61, 0xffff, v61
	v_lshrrev_b32_e32 v61, s48, v61
	s_delay_alu instid0(VALU_DEP_1) | instskip(SKIP_1) | instid1(VALU_DEP_2)
	v_bitop3_b32 v142, v61, 1, s52 bitop3:0x80
	v_and_b32_e32 v143, s52, v61
	v_add_co_u32 v61, s15, v142, -1
	s_delay_alu instid0(VALU_DEP_1) | instskip(NEXT) | instid1(VALU_DEP_3)
	v_cndmask_b32_e64 v142, 0, 1, s15
	v_lshlrev_b32_e32 v145, 30, v143
	s_delay_alu instid0(VALU_DEP_2) | instskip(NEXT) | instid1(VALU_DEP_2)
	v_cmp_ne_u32_e32 vcc_lo, 0, v142
	v_not_b32_e32 v142, v145
	s_delay_alu instid0(VALU_DEP_1) | instskip(SKIP_3) | instid1(VALU_DEP_4)
	v_dual_ashrrev_i32 v142, 31, v142 :: v_dual_lshlrev_b32 v146, 29, v143
	v_dual_lshlrev_b32 v147, 28, v143 :: v_dual_lshlrev_b32 v149, 27, v143
	v_lshlrev_b32_e32 v150, 26, v143
	v_cmp_gt_i32_e64 s15, 0, v145
	v_cmp_gt_i32_e64 s16, 0, v146
	v_not_b32_e32 v145, v146
	v_not_b32_e32 v146, v147
	v_dual_lshlrev_b32 v151, 25, v143 :: v_dual_lshlrev_b32 v153, 24, v143
	v_cmp_gt_i32_e64 s17, 0, v147
	v_cmp_gt_i32_e64 s18, 0, v149
	v_not_b32_e32 v147, v149
	v_not_b32_e32 v149, v150
	v_dual_ashrrev_i32 v146, 31, v146 :: v_dual_bitop2_b32 v61, vcc_lo, v61 bitop3:0x14
	v_dual_ashrrev_i32 v145, 31, v145 :: v_dual_bitop2_b32 v142, s15, v142 bitop3:0x14
	v_cmp_gt_i32_e64 s19, 0, v150
	v_cmp_gt_i32_e64 s20, 0, v151
	v_not_b32_e32 v150, v151
	v_not_b32_e32 v151, v153
	v_dual_ashrrev_i32 v147, 31, v147 :: v_dual_ashrrev_i32 v149, 31, v149
	v_xor_b32_e32 v145, s16, v145
	v_xor_b32_e32 v146, s17, v146
	v_bitop3_b32 v61, v61, v142, exec_lo bitop3:0x80
	v_cmp_gt_i32_e64 s21, 0, v153
	v_dual_ashrrev_i32 v142, 31, v150 :: v_dual_ashrrev_i32 v150, 31, v151
	v_xor_b32_e32 v147, s18, v147
	s_delay_alu instid0(VALU_DEP_4) | instskip(SKIP_3) | instid1(VALU_DEP_3)
	v_bitop3_b32 v61, v61, v146, v145 bitop3:0x80
	v_mul_u32_u24_e32 v143, 36, v143
	v_xor_b32_e32 v149, s19, v149
	v_xor_b32_e32 v142, s20, v142
	v_dual_add_nc_u32 v143, v23, v143 :: v_dual_bitop2_b32 v145, s21, v150 bitop3:0x14
	s_delay_alu instid0(VALU_DEP_3) | instskip(NEXT) | instid1(VALU_DEP_1)
	v_bitop3_b32 v61, v61, v149, v147 bitop3:0x80
	v_bitop3_b32 v61, v61, v145, v142 bitop3:0x80
	s_delay_alu instid0(VALU_DEP_1) | instskip(SKIP_1) | instid1(VALU_DEP_2)
	v_mbcnt_lo_u32_b32 v142, v61, 0
	v_cmp_ne_u32_e64 s15, 0, v61
	v_cmp_eq_u32_e32 vcc_lo, 0, v142
	s_and_b32 s16, s15, vcc_lo
	s_delay_alu instid0(SALU_CYCLE_1)
	s_and_saveexec_b32 s15, s16
; %bb.425:                              ;   in Loop: Header=BB1937_388 Depth=2
	v_bcnt_u32_b32 v61, v61, 0
	ds_store_b32 v143, v61 offset:1056
; %bb.426:                              ;   in Loop: Header=BB1937_388 Depth=2
	s_or_b32 exec_lo, exec_lo, s15
	v_cmp_gt_i16_e64 vcc_lo, 0, v141
	; wave barrier
	s_delay_alu instid0(VALU_DEP_1) | instskip(NEXT) | instid1(VALU_DEP_1)
	v_cndmask_b32_e64 v61, 0x7fff, 0, vcc_lo
	v_xor_b32_e32 v141, v61, v141
	s_delay_alu instid0(VALU_DEP_1) | instskip(SKIP_1) | instid1(VALU_DEP_1)
	v_cmp_ne_u16_e64 vcc_lo, 0x8000, v141
	v_cndmask_b32_e32 v61, 0x7fff, v141, vcc_lo
	v_and_b32_e32 v61, 0xffff, v61
	s_delay_alu instid0(VALU_DEP_1) | instskip(NEXT) | instid1(VALU_DEP_1)
	v_lshrrev_b32_e32 v61, s48, v61
	v_and_b32_e32 v147, s52, v61
	s_delay_alu instid0(VALU_DEP_1) | instskip(SKIP_2) | instid1(VALU_DEP_3)
	v_lshlrev_b32_e32 v149, 29, v147
	v_bitop3_b32 v145, v61, 1, s52 bitop3:0x80
	v_lshlrev_b32_e32 v146, 30, v147
	v_cmp_gt_i32_e64 s16, 0, v149
	s_delay_alu instid0(VALU_DEP_3) | instskip(NEXT) | instid1(VALU_DEP_1)
	v_add_co_u32 v61, s15, v145, -1
	v_cndmask_b32_e64 v145, 0, 1, s15
	s_delay_alu instid0(VALU_DEP_4) | instskip(NEXT) | instid1(VALU_DEP_2)
	v_cmp_gt_i32_e64 s15, 0, v146
	v_cmp_ne_u32_e32 vcc_lo, 0, v145
	v_not_b32_e32 v145, v146
	v_not_b32_e32 v146, v149
	s_delay_alu instid0(VALU_DEP_1) | instskip(SKIP_2) | instid1(VALU_DEP_3)
	v_dual_ashrrev_i32 v146, 31, v146 :: v_dual_lshlrev_b32 v150, 28, v147
	v_dual_lshlrev_b32 v151, 27, v147 :: v_dual_lshlrev_b32 v153, 26, v147
	v_dual_lshlrev_b32 v154, 25, v147 :: v_dual_lshlrev_b32 v155, 24, v147
	v_cmp_gt_i32_e64 s17, 0, v150
	v_not_b32_e32 v149, v150
	s_delay_alu instid0(VALU_DEP_4)
	v_not_b32_e32 v150, v151
	v_ashrrev_i32_e32 v145, 31, v145
	v_cmp_gt_i32_e64 s18, 0, v151
	v_cmp_gt_i32_e64 s19, 0, v153
	v_not_b32_e32 v151, v153
	v_cmp_gt_i32_e64 s20, 0, v154
	v_not_b32_e32 v153, v154
	v_not_b32_e32 v154, v155
	s_delay_alu instid0(VALU_DEP_4) | instskip(SKIP_3) | instid1(VALU_DEP_3)
	v_dual_ashrrev_i32 v151, 31, v151 :: v_dual_bitop2_b32 v61, vcc_lo, v61 bitop3:0x14
	v_dual_ashrrev_i32 v149, 31, v149 :: v_dual_bitop2_b32 v146, s16, v146 bitop3:0x14
	v_dual_ashrrev_i32 v150, 31, v150 :: v_dual_bitop2_b32 v145, s15, v145 bitop3:0x14
	v_cmp_gt_i32_e64 s21, 0, v155
	v_xor_b32_e32 v149, s17, v149
	v_xor_b32_e32 v151, s19, v151
	s_delay_alu instid0(VALU_DEP_4) | instskip(SKIP_2) | instid1(VALU_DEP_2)
	v_xor_b32_e32 v150, s18, v150
	v_bitop3_b32 v61, v61, v145, exec_lo bitop3:0x80
	v_dual_ashrrev_i32 v145, 31, v153 :: v_dual_ashrrev_i32 v153, 31, v154
	v_bitop3_b32 v61, v61, v149, v146 bitop3:0x80
	v_mad_u32_u24 v146, v147, 36, v23
	s_delay_alu instid0(VALU_DEP_3) | instskip(NEXT) | instid1(VALU_DEP_4)
	v_xor_b32_e32 v149, s20, v145
	v_xor_b32_e32 v153, s21, v153
	v_mul_u32_u24_e32 v147, 36, v147
	v_bitop3_b32 v61, v61, v151, v150 bitop3:0x80
	ds_load_b32 v145, v146 offset:1056
	; wave barrier
	v_add_nc_u32_e32 v147, v23, v147
	v_bitop3_b32 v61, v61, v153, v149 bitop3:0x80
	s_delay_alu instid0(VALU_DEP_1) | instskip(SKIP_1) | instid1(VALU_DEP_2)
	v_mbcnt_lo_u32_b32 v146, v61, 0
	v_cmp_ne_u32_e64 s15, 0, v61
	v_cmp_eq_u32_e32 vcc_lo, 0, v146
	s_and_b32 s16, s15, vcc_lo
	s_delay_alu instid0(SALU_CYCLE_1)
	s_and_saveexec_b32 s15, s16
	s_cbranch_execz .LBB1937_428
; %bb.427:                              ;   in Loop: Header=BB1937_388 Depth=2
	s_wait_dscnt 0x0
	v_bcnt_u32_b32 v61, v61, v145
	ds_store_b32 v147, v61 offset:1056
.LBB1937_428:                           ;   in Loop: Header=BB1937_388 Depth=2
	s_or_b32 exec_lo, exec_lo, s15
	v_cmp_gt_i16_e64 vcc_lo, 0, v144
	; wave barrier
	s_delay_alu instid0(VALU_DEP_1) | instskip(NEXT) | instid1(VALU_DEP_1)
	v_cndmask_b32_e64 v61, 0x7fff, 0, vcc_lo
	v_xor_b32_e32 v144, v61, v144
	s_delay_alu instid0(VALU_DEP_1) | instskip(SKIP_1) | instid1(VALU_DEP_1)
	v_cmp_ne_u16_e64 vcc_lo, 0x8000, v144
	v_cndmask_b32_e32 v61, 0x7fff, v144, vcc_lo
	v_and_b32_e32 v61, 0xffff, v61
	s_delay_alu instid0(VALU_DEP_1) | instskip(NEXT) | instid1(VALU_DEP_1)
	v_lshrrev_b32_e32 v61, s48, v61
	v_bitop3_b32 v149, v61, 1, s52 bitop3:0x80
	v_and_b32_e32 v151, s52, v61
	s_delay_alu instid0(VALU_DEP_2) | instskip(NEXT) | instid1(VALU_DEP_1)
	v_add_co_u32 v61, s15, v149, -1
	v_cndmask_b32_e64 v149, 0, 1, s15
	s_delay_alu instid0(VALU_DEP_3) | instskip(NEXT) | instid1(VALU_DEP_2)
	v_dual_lshlrev_b32 v150, 30, v151 :: v_dual_lshlrev_b32 v153, 29, v151
	v_cmp_ne_u32_e32 vcc_lo, 0, v149
	s_delay_alu instid0(VALU_DEP_2) | instskip(SKIP_1) | instid1(VALU_DEP_4)
	v_cmp_gt_i32_e64 s15, 0, v150
	v_not_b32_e32 v149, v150
	v_not_b32_e32 v150, v153
	s_delay_alu instid0(VALU_DEP_1) | instskip(SKIP_3) | instid1(VALU_DEP_4)
	v_dual_ashrrev_i32 v150, 31, v150 :: v_dual_lshlrev_b32 v154, 28, v151
	v_dual_lshlrev_b32 v155, 27, v151 :: v_dual_lshlrev_b32 v157, 26, v151
	v_dual_lshlrev_b32 v158, 25, v151 :: v_dual_lshlrev_b32 v159, 24, v151
	v_cmp_gt_i32_e64 s16, 0, v153
	v_cmp_gt_i32_e64 s17, 0, v154
	v_not_b32_e32 v153, v154
	v_not_b32_e32 v154, v155
	v_ashrrev_i32_e32 v149, 31, v149
	v_cmp_gt_i32_e64 s18, 0, v155
	v_cmp_gt_i32_e64 s19, 0, v157
	v_not_b32_e32 v155, v157
	v_cmp_gt_i32_e64 s20, 0, v158
	v_not_b32_e32 v157, v158
	v_not_b32_e32 v158, v159
	s_delay_alu instid0(VALU_DEP_4) | instskip(SKIP_3) | instid1(VALU_DEP_3)
	v_dual_ashrrev_i32 v155, 31, v155 :: v_dual_bitop2_b32 v61, vcc_lo, v61 bitop3:0x14
	v_dual_ashrrev_i32 v153, 31, v153 :: v_dual_bitop2_b32 v150, s16, v150 bitop3:0x14
	v_dual_ashrrev_i32 v154, 31, v154 :: v_dual_bitop2_b32 v149, s15, v149 bitop3:0x14
	v_cmp_gt_i32_e64 s21, 0, v159
	v_xor_b32_e32 v153, s17, v153
	v_xor_b32_e32 v155, s19, v155
	s_delay_alu instid0(VALU_DEP_4) | instskip(SKIP_2) | instid1(VALU_DEP_2)
	v_xor_b32_e32 v154, s18, v154
	v_bitop3_b32 v61, v61, v149, exec_lo bitop3:0x80
	v_dual_ashrrev_i32 v149, 31, v157 :: v_dual_ashrrev_i32 v157, 31, v158
	v_bitop3_b32 v61, v61, v153, v150 bitop3:0x80
	v_mad_u32_u24 v150, v151, 36, v23
	s_delay_alu instid0(VALU_DEP_3) | instskip(NEXT) | instid1(VALU_DEP_4)
	v_xor_b32_e32 v153, s20, v149
	v_xor_b32_e32 v157, s21, v157
	v_mul_u32_u24_e32 v151, 36, v151
	v_bitop3_b32 v61, v61, v155, v154 bitop3:0x80
	ds_load_b32 v149, v150 offset:1056
	; wave barrier
	v_add_nc_u32_e32 v151, v23, v151
	v_bitop3_b32 v61, v61, v157, v153 bitop3:0x80
	s_delay_alu instid0(VALU_DEP_1) | instskip(SKIP_1) | instid1(VALU_DEP_2)
	v_mbcnt_lo_u32_b32 v150, v61, 0
	v_cmp_ne_u32_e64 s15, 0, v61
	v_cmp_eq_u32_e32 vcc_lo, 0, v150
	s_and_b32 s16, s15, vcc_lo
	s_delay_alu instid0(SALU_CYCLE_1)
	s_and_saveexec_b32 s15, s16
	s_cbranch_execz .LBB1937_430
; %bb.429:                              ;   in Loop: Header=BB1937_388 Depth=2
	s_wait_dscnt 0x0
	v_bcnt_u32_b32 v61, v61, v149
	ds_store_b32 v151, v61 offset:1056
.LBB1937_430:                           ;   in Loop: Header=BB1937_388 Depth=2
	s_or_b32 exec_lo, exec_lo, s15
	v_cmp_gt_i16_e64 vcc_lo, 0, v148
	; wave barrier
	s_delay_alu instid0(VALU_DEP_1) | instskip(NEXT) | instid1(VALU_DEP_1)
	v_cndmask_b32_e64 v61, 0x7fff, 0, vcc_lo
	v_xor_b32_e32 v148, v61, v148
	s_delay_alu instid0(VALU_DEP_1) | instskip(SKIP_1) | instid1(VALU_DEP_1)
	v_cmp_ne_u16_e64 vcc_lo, 0x8000, v148
	v_cndmask_b32_e32 v61, 0x7fff, v148, vcc_lo
	v_and_b32_e32 v61, 0xffff, v61
	s_delay_alu instid0(VALU_DEP_1) | instskip(NEXT) | instid1(VALU_DEP_1)
	v_lshrrev_b32_e32 v61, s48, v61
	v_bitop3_b32 v153, v61, 1, s52 bitop3:0x80
	v_and_b32_e32 v155, s52, v61
	s_delay_alu instid0(VALU_DEP_2) | instskip(NEXT) | instid1(VALU_DEP_1)
	v_add_co_u32 v61, s15, v153, -1
	v_cndmask_b32_e64 v153, 0, 1, s15
	s_delay_alu instid0(VALU_DEP_3) | instskip(NEXT) | instid1(VALU_DEP_2)
	v_dual_lshlrev_b32 v154, 30, v155 :: v_dual_lshlrev_b32 v157, 29, v155
	v_cmp_ne_u32_e32 vcc_lo, 0, v153
	s_delay_alu instid0(VALU_DEP_2) | instskip(SKIP_1) | instid1(VALU_DEP_4)
	v_cmp_gt_i32_e64 s15, 0, v154
	v_not_b32_e32 v153, v154
	v_not_b32_e32 v154, v157
	s_delay_alu instid0(VALU_DEP_1) | instskip(SKIP_3) | instid1(VALU_DEP_4)
	v_dual_ashrrev_i32 v154, 31, v154 :: v_dual_lshlrev_b32 v158, 28, v155
	v_dual_lshlrev_b32 v159, 27, v155 :: v_dual_lshlrev_b32 v161, 26, v155
	v_dual_lshlrev_b32 v162, 25, v155 :: v_dual_lshlrev_b32 v163, 24, v155
	v_cmp_gt_i32_e64 s16, 0, v157
	v_cmp_gt_i32_e64 s17, 0, v158
	v_not_b32_e32 v157, v158
	v_not_b32_e32 v158, v159
	v_ashrrev_i32_e32 v153, 31, v153
	v_cmp_gt_i32_e64 s18, 0, v159
	v_cmp_gt_i32_e64 s19, 0, v161
	v_not_b32_e32 v159, v161
	v_cmp_gt_i32_e64 s20, 0, v162
	v_not_b32_e32 v161, v162
	v_not_b32_e32 v162, v163
	s_delay_alu instid0(VALU_DEP_4) | instskip(SKIP_3) | instid1(VALU_DEP_3)
	v_dual_ashrrev_i32 v159, 31, v159 :: v_dual_bitop2_b32 v61, vcc_lo, v61 bitop3:0x14
	v_dual_ashrrev_i32 v157, 31, v157 :: v_dual_bitop2_b32 v154, s16, v154 bitop3:0x14
	v_dual_ashrrev_i32 v158, 31, v158 :: v_dual_bitop2_b32 v153, s15, v153 bitop3:0x14
	v_cmp_gt_i32_e64 s21, 0, v163
	v_xor_b32_e32 v157, s17, v157
	v_xor_b32_e32 v159, s19, v159
	s_delay_alu instid0(VALU_DEP_4) | instskip(SKIP_2) | instid1(VALU_DEP_2)
	v_xor_b32_e32 v158, s18, v158
	v_bitop3_b32 v61, v61, v153, exec_lo bitop3:0x80
	v_dual_ashrrev_i32 v153, 31, v161 :: v_dual_ashrrev_i32 v161, 31, v162
	v_bitop3_b32 v61, v61, v157, v154 bitop3:0x80
	v_mad_u32_u24 v154, v155, 36, v23
	s_delay_alu instid0(VALU_DEP_3) | instskip(NEXT) | instid1(VALU_DEP_4)
	v_xor_b32_e32 v157, s20, v153
	v_xor_b32_e32 v161, s21, v161
	v_mul_u32_u24_e32 v155, 36, v155
	v_bitop3_b32 v61, v61, v159, v158 bitop3:0x80
	ds_load_b32 v153, v154 offset:1056
	; wave barrier
	v_add_nc_u32_e32 v155, v23, v155
	v_bitop3_b32 v61, v61, v161, v157 bitop3:0x80
	s_delay_alu instid0(VALU_DEP_1) | instskip(SKIP_1) | instid1(VALU_DEP_2)
	v_mbcnt_lo_u32_b32 v154, v61, 0
	v_cmp_ne_u32_e64 s15, 0, v61
	v_cmp_eq_u32_e32 vcc_lo, 0, v154
	s_and_b32 s16, s15, vcc_lo
	s_delay_alu instid0(SALU_CYCLE_1)
	s_and_saveexec_b32 s15, s16
	s_cbranch_execz .LBB1937_432
; %bb.431:                              ;   in Loop: Header=BB1937_388 Depth=2
	s_wait_dscnt 0x0
	v_bcnt_u32_b32 v61, v61, v153
	ds_store_b32 v155, v61 offset:1056
.LBB1937_432:                           ;   in Loop: Header=BB1937_388 Depth=2
	s_or_b32 exec_lo, exec_lo, s15
	v_cmp_gt_i16_e64 vcc_lo, 0, v152
	; wave barrier
	s_delay_alu instid0(VALU_DEP_1) | instskip(NEXT) | instid1(VALU_DEP_1)
	v_cndmask_b32_e64 v61, 0x7fff, 0, vcc_lo
	v_xor_b32_e32 v152, v61, v152
	s_delay_alu instid0(VALU_DEP_1) | instskip(SKIP_1) | instid1(VALU_DEP_1)
	v_cmp_ne_u16_e64 vcc_lo, 0x8000, v152
	v_cndmask_b32_e32 v61, 0x7fff, v152, vcc_lo
	v_and_b32_e32 v61, 0xffff, v61
	s_delay_alu instid0(VALU_DEP_1) | instskip(NEXT) | instid1(VALU_DEP_1)
	v_lshrrev_b32_e32 v61, s48, v61
	v_bitop3_b32 v157, v61, 1, s52 bitop3:0x80
	v_and_b32_e32 v159, s52, v61
	s_delay_alu instid0(VALU_DEP_2) | instskip(NEXT) | instid1(VALU_DEP_1)
	v_add_co_u32 v61, s15, v157, -1
	v_cndmask_b32_e64 v157, 0, 1, s15
	s_delay_alu instid0(VALU_DEP_3) | instskip(NEXT) | instid1(VALU_DEP_2)
	v_dual_lshlrev_b32 v158, 30, v159 :: v_dual_lshlrev_b32 v161, 29, v159
	v_cmp_ne_u32_e32 vcc_lo, 0, v157
	s_delay_alu instid0(VALU_DEP_2) | instskip(SKIP_1) | instid1(VALU_DEP_4)
	v_cmp_gt_i32_e64 s15, 0, v158
	v_not_b32_e32 v157, v158
	v_not_b32_e32 v158, v161
	s_delay_alu instid0(VALU_DEP_1) | instskip(SKIP_3) | instid1(VALU_DEP_4)
	v_dual_ashrrev_i32 v158, 31, v158 :: v_dual_lshlrev_b32 v162, 28, v159
	v_dual_lshlrev_b32 v163, 27, v159 :: v_dual_lshlrev_b32 v165, 26, v159
	v_dual_lshlrev_b32 v166, 25, v159 :: v_dual_lshlrev_b32 v167, 24, v159
	v_cmp_gt_i32_e64 s16, 0, v161
	v_cmp_gt_i32_e64 s17, 0, v162
	v_not_b32_e32 v161, v162
	v_not_b32_e32 v162, v163
	v_ashrrev_i32_e32 v157, 31, v157
	v_cmp_gt_i32_e64 s18, 0, v163
	v_cmp_gt_i32_e64 s19, 0, v165
	v_not_b32_e32 v163, v165
	v_cmp_gt_i32_e64 s20, 0, v166
	v_not_b32_e32 v165, v166
	v_not_b32_e32 v166, v167
	s_delay_alu instid0(VALU_DEP_4) | instskip(SKIP_3) | instid1(VALU_DEP_3)
	v_dual_ashrrev_i32 v163, 31, v163 :: v_dual_bitop2_b32 v61, vcc_lo, v61 bitop3:0x14
	v_dual_ashrrev_i32 v161, 31, v161 :: v_dual_bitop2_b32 v158, s16, v158 bitop3:0x14
	v_dual_ashrrev_i32 v162, 31, v162 :: v_dual_bitop2_b32 v157, s15, v157 bitop3:0x14
	v_cmp_gt_i32_e64 s21, 0, v167
	v_xor_b32_e32 v161, s17, v161
	v_xor_b32_e32 v163, s19, v163
	s_delay_alu instid0(VALU_DEP_4) | instskip(SKIP_2) | instid1(VALU_DEP_2)
	v_xor_b32_e32 v162, s18, v162
	v_bitop3_b32 v61, v61, v157, exec_lo bitop3:0x80
	v_dual_ashrrev_i32 v157, 31, v165 :: v_dual_ashrrev_i32 v165, 31, v166
	v_bitop3_b32 v61, v61, v161, v158 bitop3:0x80
	v_mad_u32_u24 v158, v159, 36, v23
	s_delay_alu instid0(VALU_DEP_3) | instskip(NEXT) | instid1(VALU_DEP_4)
	v_xor_b32_e32 v161, s20, v157
	v_xor_b32_e32 v165, s21, v165
	v_mul_u32_u24_e32 v159, 36, v159
	v_bitop3_b32 v61, v61, v163, v162 bitop3:0x80
	ds_load_b32 v157, v158 offset:1056
	; wave barrier
	v_add_nc_u32_e32 v159, v23, v159
	v_bitop3_b32 v61, v61, v165, v161 bitop3:0x80
	s_delay_alu instid0(VALU_DEP_1) | instskip(SKIP_1) | instid1(VALU_DEP_2)
	v_mbcnt_lo_u32_b32 v158, v61, 0
	v_cmp_ne_u32_e64 s15, 0, v61
	v_cmp_eq_u32_e32 vcc_lo, 0, v158
	s_and_b32 s16, s15, vcc_lo
	s_delay_alu instid0(SALU_CYCLE_1)
	s_and_saveexec_b32 s15, s16
	s_cbranch_execz .LBB1937_434
; %bb.433:                              ;   in Loop: Header=BB1937_388 Depth=2
	s_wait_dscnt 0x0
	v_bcnt_u32_b32 v61, v61, v157
	ds_store_b32 v159, v61 offset:1056
.LBB1937_434:                           ;   in Loop: Header=BB1937_388 Depth=2
	s_or_b32 exec_lo, exec_lo, s15
	v_cmp_gt_i16_e64 vcc_lo, 0, v156
	; wave barrier
	s_delay_alu instid0(VALU_DEP_1) | instskip(NEXT) | instid1(VALU_DEP_1)
	v_cndmask_b32_e64 v61, 0x7fff, 0, vcc_lo
	v_xor_b32_e32 v156, v61, v156
	s_delay_alu instid0(VALU_DEP_1) | instskip(SKIP_1) | instid1(VALU_DEP_1)
	v_cmp_ne_u16_e64 vcc_lo, 0x8000, v156
	v_cndmask_b32_e32 v61, 0x7fff, v156, vcc_lo
	v_and_b32_e32 v61, 0xffff, v61
	s_delay_alu instid0(VALU_DEP_1) | instskip(NEXT) | instid1(VALU_DEP_1)
	v_lshrrev_b32_e32 v61, s48, v61
	v_bitop3_b32 v161, v61, 1, s52 bitop3:0x80
	v_and_b32_e32 v163, s52, v61
	s_delay_alu instid0(VALU_DEP_2) | instskip(NEXT) | instid1(VALU_DEP_1)
	v_add_co_u32 v61, s15, v161, -1
	v_cndmask_b32_e64 v161, 0, 1, s15
	s_delay_alu instid0(VALU_DEP_3) | instskip(NEXT) | instid1(VALU_DEP_2)
	v_dual_lshlrev_b32 v162, 30, v163 :: v_dual_lshlrev_b32 v165, 29, v163
	v_cmp_ne_u32_e32 vcc_lo, 0, v161
	s_delay_alu instid0(VALU_DEP_2) | instskip(SKIP_1) | instid1(VALU_DEP_4)
	v_cmp_gt_i32_e64 s15, 0, v162
	v_not_b32_e32 v161, v162
	v_not_b32_e32 v162, v165
	s_delay_alu instid0(VALU_DEP_1) | instskip(SKIP_3) | instid1(VALU_DEP_4)
	v_dual_ashrrev_i32 v162, 31, v162 :: v_dual_lshlrev_b32 v166, 28, v163
	v_dual_lshlrev_b32 v167, 27, v163 :: v_dual_lshlrev_b32 v169, 26, v163
	v_dual_lshlrev_b32 v170, 25, v163 :: v_dual_lshlrev_b32 v171, 24, v163
	v_cmp_gt_i32_e64 s16, 0, v165
	v_cmp_gt_i32_e64 s17, 0, v166
	v_not_b32_e32 v165, v166
	v_not_b32_e32 v166, v167
	v_ashrrev_i32_e32 v161, 31, v161
	v_cmp_gt_i32_e64 s18, 0, v167
	v_cmp_gt_i32_e64 s19, 0, v169
	v_not_b32_e32 v167, v169
	v_cmp_gt_i32_e64 s20, 0, v170
	v_not_b32_e32 v169, v170
	v_not_b32_e32 v170, v171
	s_delay_alu instid0(VALU_DEP_4) | instskip(SKIP_3) | instid1(VALU_DEP_3)
	v_dual_ashrrev_i32 v167, 31, v167 :: v_dual_bitop2_b32 v61, vcc_lo, v61 bitop3:0x14
	v_dual_ashrrev_i32 v165, 31, v165 :: v_dual_bitop2_b32 v162, s16, v162 bitop3:0x14
	v_dual_ashrrev_i32 v166, 31, v166 :: v_dual_bitop2_b32 v161, s15, v161 bitop3:0x14
	v_cmp_gt_i32_e64 s21, 0, v171
	v_xor_b32_e32 v165, s17, v165
	v_xor_b32_e32 v167, s19, v167
	s_delay_alu instid0(VALU_DEP_4) | instskip(SKIP_2) | instid1(VALU_DEP_2)
	v_xor_b32_e32 v166, s18, v166
	v_bitop3_b32 v61, v61, v161, exec_lo bitop3:0x80
	v_dual_ashrrev_i32 v161, 31, v169 :: v_dual_ashrrev_i32 v169, 31, v170
	v_bitop3_b32 v61, v61, v165, v162 bitop3:0x80
	v_mad_u32_u24 v162, v163, 36, v23
	s_delay_alu instid0(VALU_DEP_3) | instskip(NEXT) | instid1(VALU_DEP_4)
	v_xor_b32_e32 v165, s20, v161
	v_xor_b32_e32 v169, s21, v169
	v_mul_u32_u24_e32 v163, 36, v163
	v_bitop3_b32 v61, v61, v167, v166 bitop3:0x80
	ds_load_b32 v161, v162 offset:1056
	; wave barrier
	v_add_nc_u32_e32 v163, v23, v163
	v_bitop3_b32 v61, v61, v169, v165 bitop3:0x80
	s_delay_alu instid0(VALU_DEP_1) | instskip(SKIP_1) | instid1(VALU_DEP_2)
	v_mbcnt_lo_u32_b32 v162, v61, 0
	v_cmp_ne_u32_e64 s15, 0, v61
	v_cmp_eq_u32_e32 vcc_lo, 0, v162
	s_and_b32 s16, s15, vcc_lo
	s_delay_alu instid0(SALU_CYCLE_1)
	s_and_saveexec_b32 s15, s16
	s_cbranch_execz .LBB1937_436
; %bb.435:                              ;   in Loop: Header=BB1937_388 Depth=2
	s_wait_dscnt 0x0
	v_bcnt_u32_b32 v61, v61, v161
	ds_store_b32 v163, v61 offset:1056
.LBB1937_436:                           ;   in Loop: Header=BB1937_388 Depth=2
	s_or_b32 exec_lo, exec_lo, s15
	v_cmp_gt_i16_e64 vcc_lo, 0, v160
	; wave barrier
	s_delay_alu instid0(VALU_DEP_1) | instskip(NEXT) | instid1(VALU_DEP_1)
	v_cndmask_b32_e64 v61, 0x7fff, 0, vcc_lo
	v_xor_b32_e32 v160, v61, v160
	s_delay_alu instid0(VALU_DEP_1) | instskip(SKIP_1) | instid1(VALU_DEP_1)
	v_cmp_ne_u16_e64 vcc_lo, 0x8000, v160
	v_cndmask_b32_e32 v61, 0x7fff, v160, vcc_lo
	v_and_b32_e32 v61, 0xffff, v61
	s_delay_alu instid0(VALU_DEP_1) | instskip(NEXT) | instid1(VALU_DEP_1)
	v_lshrrev_b32_e32 v61, s48, v61
	v_bitop3_b32 v165, v61, 1, s52 bitop3:0x80
	v_and_b32_e32 v167, s52, v61
	s_delay_alu instid0(VALU_DEP_2) | instskip(NEXT) | instid1(VALU_DEP_1)
	v_add_co_u32 v61, s15, v165, -1
	v_cndmask_b32_e64 v165, 0, 1, s15
	s_delay_alu instid0(VALU_DEP_3) | instskip(NEXT) | instid1(VALU_DEP_2)
	v_dual_lshlrev_b32 v166, 30, v167 :: v_dual_lshlrev_b32 v169, 29, v167
	v_cmp_ne_u32_e32 vcc_lo, 0, v165
	s_delay_alu instid0(VALU_DEP_2) | instskip(SKIP_1) | instid1(VALU_DEP_4)
	v_cmp_gt_i32_e64 s15, 0, v166
	v_not_b32_e32 v165, v166
	v_not_b32_e32 v166, v169
	s_delay_alu instid0(VALU_DEP_1) | instskip(SKIP_3) | instid1(VALU_DEP_4)
	v_dual_ashrrev_i32 v166, 31, v166 :: v_dual_lshlrev_b32 v170, 28, v167
	v_dual_lshlrev_b32 v171, 27, v167 :: v_dual_lshlrev_b32 v172, 26, v167
	v_cmp_gt_i32_e64 s16, 0, v169
	v_dual_lshlrev_b32 v173, 25, v167 :: v_dual_lshlrev_b32 v174, 24, v167
	v_cmp_gt_i32_e64 s17, 0, v170
	v_not_b32_e32 v169, v170
	v_not_b32_e32 v170, v171
	v_ashrrev_i32_e32 v165, 31, v165
	v_cmp_gt_i32_e64 s18, 0, v171
	v_not_b32_e32 v171, v172
	v_xor_b32_e32 v61, vcc_lo, v61
	v_dual_ashrrev_i32 v169, 31, v169 :: v_dual_bitop2_b32 v166, s16, v166 bitop3:0x14
	v_dual_ashrrev_i32 v170, 31, v170 :: v_dual_bitop2_b32 v165, s15, v165 bitop3:0x14
	v_cmp_gt_i32_e64 s19, 0, v172
	v_cmp_gt_i32_e64 s20, 0, v173
	v_not_b32_e32 v172, v173
	v_not_b32_e32 v173, v174
	v_dual_ashrrev_i32 v171, 31, v171 :: v_dual_bitop2_b32 v169, s17, v169 bitop3:0x14
	v_bitop3_b32 v61, v61, v165, exec_lo bitop3:0x80
	v_cmp_gt_i32_e64 s21, 0, v174
	s_delay_alu instid0(VALU_DEP_4)
	v_dual_ashrrev_i32 v165, 31, v172 :: v_dual_ashrrev_i32 v172, 31, v173
	v_xor_b32_e32 v170, s18, v170
	v_xor_b32_e32 v171, s19, v171
	v_bitop3_b32 v61, v61, v169, v166 bitop3:0x80
	v_mad_u32_u24 v166, v167, 36, v23
	v_xor_b32_e32 v169, s20, v165
	v_xor_b32_e32 v172, s21, v172
	v_mul_u32_u24_e32 v167, 36, v167
	v_bitop3_b32 v61, v61, v171, v170 bitop3:0x80
	ds_load_b32 v165, v166 offset:1056
	; wave barrier
	v_add_nc_u32_e32 v167, v23, v167
	v_bitop3_b32 v61, v61, v172, v169 bitop3:0x80
	s_delay_alu instid0(VALU_DEP_1) | instskip(SKIP_1) | instid1(VALU_DEP_2)
	v_mbcnt_lo_u32_b32 v166, v61, 0
	v_cmp_ne_u32_e64 s15, 0, v61
	v_cmp_eq_u32_e32 vcc_lo, 0, v166
	s_and_b32 s16, s15, vcc_lo
	s_delay_alu instid0(SALU_CYCLE_1)
	s_and_saveexec_b32 s15, s16
	s_cbranch_execz .LBB1937_438
; %bb.437:                              ;   in Loop: Header=BB1937_388 Depth=2
	s_wait_dscnt 0x0
	v_bcnt_u32_b32 v61, v61, v165
	ds_store_b32 v167, v61 offset:1056
.LBB1937_438:                           ;   in Loop: Header=BB1937_388 Depth=2
	s_or_b32 exec_lo, exec_lo, s15
	v_cmp_gt_i16_e64 vcc_lo, 0, v164
	; wave barrier
	s_delay_alu instid0(VALU_DEP_1) | instskip(NEXT) | instid1(VALU_DEP_1)
	v_cndmask_b32_e64 v61, 0x7fff, 0, vcc_lo
	v_xor_b32_e32 v164, v61, v164
	s_delay_alu instid0(VALU_DEP_1) | instskip(SKIP_1) | instid1(VALU_DEP_1)
	v_cmp_ne_u16_e64 vcc_lo, 0x8000, v164
	v_cndmask_b32_e32 v61, 0x7fff, v164, vcc_lo
	v_and_b32_e32 v61, 0xffff, v61
	s_delay_alu instid0(VALU_DEP_1) | instskip(NEXT) | instid1(VALU_DEP_1)
	v_lshrrev_b32_e32 v61, s48, v61
	v_bitop3_b32 v169, v61, 1, s52 bitop3:0x80
	v_and_b32_e32 v171, s52, v61
	s_delay_alu instid0(VALU_DEP_2) | instskip(NEXT) | instid1(VALU_DEP_1)
	v_add_co_u32 v61, s15, v169, -1
	v_cndmask_b32_e64 v169, 0, 1, s15
	s_delay_alu instid0(VALU_DEP_3) | instskip(NEXT) | instid1(VALU_DEP_2)
	v_dual_lshlrev_b32 v170, 30, v171 :: v_dual_lshlrev_b32 v172, 29, v171
	v_cmp_ne_u32_e32 vcc_lo, 0, v169
	s_delay_alu instid0(VALU_DEP_2) | instskip(SKIP_1) | instid1(VALU_DEP_4)
	v_cmp_gt_i32_e64 s15, 0, v170
	v_not_b32_e32 v169, v170
	v_not_b32_e32 v170, v172
	s_delay_alu instid0(VALU_DEP_1) | instskip(SKIP_3) | instid1(VALU_DEP_4)
	v_dual_ashrrev_i32 v170, 31, v170 :: v_dual_lshlrev_b32 v173, 28, v171
	v_dual_lshlrev_b32 v174, 27, v171 :: v_dual_lshlrev_b32 v175, 26, v171
	v_dual_lshlrev_b32 v176, 25, v171 :: v_dual_lshlrev_b32 v177, 24, v171
	v_cmp_gt_i32_e64 s16, 0, v172
	v_not_b32_e32 v172, v173
	v_ashrrev_i32_e32 v169, 31, v169
	v_cmp_gt_i32_e64 s17, 0, v173
	v_cmp_gt_i32_e64 s18, 0, v174
	v_not_b32_e32 v173, v174
	v_cmp_gt_i32_e64 s19, 0, v175
	v_not_b32_e32 v174, v175
	;; [unrolled: 2-line block ×3, first 2 shown]
	v_not_b32_e32 v176, v177
	s_delay_alu instid0(VALU_DEP_4) | instskip(SKIP_3) | instid1(VALU_DEP_3)
	v_dual_ashrrev_i32 v174, 31, v174 :: v_dual_bitop2_b32 v61, vcc_lo, v61 bitop3:0x14
	v_dual_ashrrev_i32 v172, 31, v172 :: v_dual_bitop2_b32 v169, s15, v169 bitop3:0x14
	v_dual_ashrrev_i32 v173, 31, v173 :: v_dual_bitop2_b32 v170, s16, v170 bitop3:0x14
	v_cmp_gt_i32_e64 s21, 0, v177
	v_xor_b32_e32 v172, s17, v172
	s_delay_alu instid0(VALU_DEP_4) | instskip(SKIP_2) | instid1(VALU_DEP_3)
	v_bitop3_b32 v61, v61, v169, exec_lo bitop3:0x80
	v_dual_ashrrev_i32 v169, 31, v175 :: v_dual_ashrrev_i32 v175, 31, v176
	v_xor_b32_e32 v174, s19, v174
	v_bitop3_b32 v61, v61, v172, v170 bitop3:0x80
	v_mad_u32_u24 v170, v171, 36, v23
	v_mul_u32_u24_e32 v171, 36, v171
	v_xor_b32_e32 v173, s18, v173
	v_xor_b32_e32 v172, s20, v169
	;; [unrolled: 1-line block ×3, first 2 shown]
	ds_load_b32 v169, v170 offset:1056
	v_add_nc_u32_e32 v171, v23, v171
	v_bitop3_b32 v61, v61, v174, v173 bitop3:0x80
	; wave barrier
	s_delay_alu instid0(VALU_DEP_1) | instskip(NEXT) | instid1(VALU_DEP_1)
	v_bitop3_b32 v61, v61, v175, v172 bitop3:0x80
	v_mbcnt_lo_u32_b32 v170, v61, 0
	v_cmp_ne_u32_e64 s15, 0, v61
	s_delay_alu instid0(VALU_DEP_2) | instskip(SKIP_1) | instid1(SALU_CYCLE_1)
	v_cmp_eq_u32_e32 vcc_lo, 0, v170
	s_and_b32 s16, s15, vcc_lo
	s_and_saveexec_b32 s15, s16
	s_cbranch_execz .LBB1937_440
; %bb.439:                              ;   in Loop: Header=BB1937_388 Depth=2
	s_wait_dscnt 0x0
	v_bcnt_u32_b32 v61, v61, v169
	ds_store_b32 v171, v61 offset:1056
.LBB1937_440:                           ;   in Loop: Header=BB1937_388 Depth=2
	s_or_b32 exec_lo, exec_lo, s15
	v_cmp_gt_i16_e64 vcc_lo, 0, v168
	; wave barrier
	s_delay_alu instid0(VALU_DEP_1) | instskip(NEXT) | instid1(VALU_DEP_1)
	v_cndmask_b32_e64 v61, 0x7fff, 0, vcc_lo
	v_xor_b32_e32 v168, v61, v168
	s_delay_alu instid0(VALU_DEP_1) | instskip(SKIP_1) | instid1(VALU_DEP_1)
	v_cmp_ne_u16_e64 vcc_lo, 0x8000, v168
	v_cndmask_b32_e32 v61, 0x7fff, v168, vcc_lo
	v_and_b32_e32 v61, 0xffff, v61
	s_delay_alu instid0(VALU_DEP_1) | instskip(NEXT) | instid1(VALU_DEP_1)
	v_lshrrev_b32_e32 v61, s48, v61
	v_bitop3_b32 v172, v61, 1, s52 bitop3:0x80
	v_and_b32_e32 v175, s52, v61
	s_delay_alu instid0(VALU_DEP_2) | instskip(NEXT) | instid1(VALU_DEP_1)
	v_add_co_u32 v61, s15, v172, -1
	v_cndmask_b32_e64 v172, 0, 1, s15
	s_delay_alu instid0(VALU_DEP_3) | instskip(NEXT) | instid1(VALU_DEP_2)
	v_lshlrev_b32_e32 v173, 30, v175
	v_cmp_ne_u32_e32 vcc_lo, 0, v172
	s_delay_alu instid0(VALU_DEP_2) | instskip(NEXT) | instid1(VALU_DEP_1)
	v_not_b32_e32 v172, v173
	v_dual_ashrrev_i32 v172, 31, v172 :: v_dual_lshlrev_b32 v174, 29, v175
	v_dual_lshlrev_b32 v176, 28, v175 :: v_dual_lshlrev_b32 v177, 27, v175
	v_lshlrev_b32_e32 v178, 26, v175
	v_cmp_gt_i32_e64 s15, 0, v173
	s_delay_alu instid0(VALU_DEP_4)
	v_cmp_gt_i32_e64 s16, 0, v174
	v_not_b32_e32 v173, v174
	v_not_b32_e32 v174, v176
	v_dual_lshlrev_b32 v179, 25, v175 :: v_dual_lshlrev_b32 v180, 24, v175
	v_cmp_gt_i32_e64 s17, 0, v176
	v_cmp_gt_i32_e64 s18, 0, v177
	v_not_b32_e32 v176, v177
	v_not_b32_e32 v177, v178
	v_dual_ashrrev_i32 v174, 31, v174 :: v_dual_bitop2_b32 v61, vcc_lo, v61 bitop3:0x14
	v_dual_ashrrev_i32 v173, 31, v173 :: v_dual_bitop2_b32 v172, s15, v172 bitop3:0x14
	v_cmp_gt_i32_e64 s19, 0, v178
	v_cmp_gt_i32_e64 s20, 0, v179
	v_not_b32_e32 v178, v179
	v_not_b32_e32 v179, v180
	v_dual_ashrrev_i32 v176, 31, v176 :: v_dual_ashrrev_i32 v177, 31, v177
	v_xor_b32_e32 v173, s16, v173
	v_xor_b32_e32 v174, s17, v174
	v_bitop3_b32 v61, v61, v172, exec_lo bitop3:0x80
	v_cmp_gt_i32_e64 s21, 0, v180
	v_dual_ashrrev_i32 v172, 31, v178 :: v_dual_ashrrev_i32 v178, 31, v179
	v_xor_b32_e32 v176, s18, v176
	v_xor_b32_e32 v177, s19, v177
	v_bitop3_b32 v61, v61, v174, v173 bitop3:0x80
	v_mad_u32_u24 v173, v175, 36, v23
	v_xor_b32_e32 v172, s20, v172
	v_xor_b32_e32 v174, s21, v178
	s_delay_alu instid0(VALU_DEP_4) | instskip(SKIP_3) | instid1(VALU_DEP_2)
	v_bitop3_b32 v61, v61, v177, v176 bitop3:0x80
	ds_load_b32 v173, v173 offset:1056
	; wave barrier
	v_bitop3_b32 v61, v61, v174, v172 bitop3:0x80
	v_mul_u32_u24_e32 v172, 36, v175
	v_mbcnt_lo_u32_b32 v174, v61, 0
	v_cmp_ne_u32_e64 s15, 0, v61
	s_delay_alu instid0(VALU_DEP_3) | instskip(NEXT) | instid1(VALU_DEP_3)
	v_add_nc_u32_e32 v175, v23, v172
	v_cmp_eq_u32_e32 vcc_lo, 0, v174
	s_and_b32 s16, s15, vcc_lo
	s_delay_alu instid0(SALU_CYCLE_1)
	s_and_saveexec_b32 s15, s16
	s_cbranch_execz .LBB1937_442
; %bb.441:                              ;   in Loop: Header=BB1937_388 Depth=2
	s_wait_dscnt 0x0
	v_bcnt_u32_b32 v61, v61, v173
	ds_store_b32 v175, v61 offset:1056
.LBB1937_442:                           ;   in Loop: Header=BB1937_388 Depth=2
	s_or_b32 exec_lo, exec_lo, s15
	v_cmp_gt_i16_e32 vcc_lo, 0, v67
	; wave barrier
	v_cndmask_b32_e64 v61, 0x7fff, 0, vcc_lo
	s_delay_alu instid0(VALU_DEP_1) | instskip(NEXT) | instid1(VALU_DEP_1)
	v_xor_b32_e32 v172, v61, v67
	v_cmp_ne_u16_e64 vcc_lo, 0x8000, v172
	v_cndmask_b32_e32 v61, 0x7fff, v172, vcc_lo
	s_delay_alu instid0(VALU_DEP_1) | instskip(NEXT) | instid1(VALU_DEP_1)
	v_and_b32_e32 v61, 0xffff, v61
	v_lshrrev_b32_e32 v61, s48, v61
	s_delay_alu instid0(VALU_DEP_1) | instskip(SKIP_1) | instid1(VALU_DEP_2)
	v_bitop3_b32 v67, v61, 1, s52 bitop3:0x80
	v_and_b32_e32 v176, s52, v61
	v_add_co_u32 v61, s15, v67, -1
	s_delay_alu instid0(VALU_DEP_1) | instskip(NEXT) | instid1(VALU_DEP_3)
	v_cndmask_b32_e64 v67, 0, 1, s15
	v_lshlrev_b32_e32 v177, 30, v176
	s_delay_alu instid0(VALU_DEP_2) | instskip(NEXT) | instid1(VALU_DEP_2)
	v_cmp_ne_u32_e32 vcc_lo, 0, v67
	v_not_b32_e32 v67, v177
	s_delay_alu instid0(VALU_DEP_1) | instskip(SKIP_4) | instid1(VALU_DEP_4)
	v_dual_ashrrev_i32 v67, 31, v67 :: v_dual_bitop2_b32 v61, vcc_lo, v61 bitop3:0x14
	v_dual_lshlrev_b32 v178, 29, v176 :: v_dual_lshlrev_b32 v179, 28, v176
	v_dual_lshlrev_b32 v180, 27, v176 :: v_dual_lshlrev_b32 v181, 26, v176
	v_lshlrev_b32_e32 v182, 25, v176
	v_cmp_gt_i32_e64 s15, 0, v177
	v_cmp_gt_i32_e64 s16, 0, v178
	v_not_b32_e32 v177, v178
	v_not_b32_e32 v178, v179
	v_lshlrev_b32_e32 v183, 24, v176
	v_cmp_gt_i32_e64 s17, 0, v179
	v_cmp_gt_i32_e64 s18, 0, v180
	v_not_b32_e32 v179, v180
	v_not_b32_e32 v180, v181
	v_dual_ashrrev_i32 v177, 31, v177 :: v_dual_bitop2_b32 v67, s15, v67 bitop3:0x14
	v_ashrrev_i32_e32 v178, 31, v178
	v_cmp_gt_i32_e64 s19, 0, v181
	v_cmp_gt_i32_e64 s20, 0, v182
	v_not_b32_e32 v181, v182
	v_not_b32_e32 v182, v183
	v_dual_ashrrev_i32 v179, 31, v179 :: v_dual_ashrrev_i32 v180, 31, v180
	v_xor_b32_e32 v177, s16, v177
	v_xor_b32_e32 v178, s17, v178
	v_bitop3_b32 v61, v61, v67, exec_lo bitop3:0x80
	v_cmp_gt_i32_e64 s21, 0, v183
	v_dual_ashrrev_i32 v67, 31, v181 :: v_dual_ashrrev_i32 v181, 31, v182
	v_xor_b32_e32 v179, s18, v179
	v_xor_b32_e32 v180, s19, v180
	v_bitop3_b32 v61, v61, v178, v177 bitop3:0x80
	v_mad_u32_u24 v177, v176, 36, v23
	v_xor_b32_e32 v67, s20, v67
	v_xor_b32_e32 v178, s21, v181
	s_delay_alu instid0(VALU_DEP_4) | instskip(SKIP_3) | instid1(VALU_DEP_2)
	v_bitop3_b32 v61, v61, v180, v179 bitop3:0x80
	ds_load_b32 v177, v177 offset:1056
	; wave barrier
	v_bitop3_b32 v61, v61, v178, v67 bitop3:0x80
	v_mul_u32_u24_e32 v67, 36, v176
	v_mbcnt_lo_u32_b32 v178, v61, 0
	v_cmp_ne_u32_e64 s15, 0, v61
	s_delay_alu instid0(VALU_DEP_3) | instskip(NEXT) | instid1(VALU_DEP_3)
	v_add_nc_u32_e32 v179, v23, v67
	v_cmp_eq_u32_e32 vcc_lo, 0, v178
	s_and_b32 s16, s15, vcc_lo
	s_delay_alu instid0(SALU_CYCLE_1)
	s_and_saveexec_b32 s15, s16
	s_cbranch_execz .LBB1937_444
; %bb.443:                              ;   in Loop: Header=BB1937_388 Depth=2
	s_wait_dscnt 0x0
	v_bcnt_u32_b32 v61, v61, v177
	ds_store_b32 v179, v61 offset:1056
.LBB1937_444:                           ;   in Loop: Header=BB1937_388 Depth=2
	s_or_b32 exec_lo, exec_lo, s15
	v_cmp_gt_i16_e32 vcc_lo, 0, v66
	; wave barrier
	v_cndmask_b32_e64 v61, 0x7fff, 0, vcc_lo
	s_delay_alu instid0(VALU_DEP_1) | instskip(NEXT) | instid1(VALU_DEP_1)
	v_xor_b32_e32 v176, v61, v66
	v_cmp_ne_u16_e64 vcc_lo, 0x8000, v176
	v_cndmask_b32_e32 v61, 0x7fff, v176, vcc_lo
	s_delay_alu instid0(VALU_DEP_1) | instskip(NEXT) | instid1(VALU_DEP_1)
	v_and_b32_e32 v61, 0xffff, v61
	v_lshrrev_b32_e32 v61, s48, v61
	s_delay_alu instid0(VALU_DEP_1) | instskip(SKIP_1) | instid1(VALU_DEP_2)
	v_bitop3_b32 v66, v61, 1, s52 bitop3:0x80
	v_and_b32_e32 v67, s52, v61
	v_add_co_u32 v61, s15, v66, -1
	s_delay_alu instid0(VALU_DEP_1) | instskip(NEXT) | instid1(VALU_DEP_3)
	v_cndmask_b32_e64 v66, 0, 1, s15
	v_lshlrev_b32_e32 v180, 30, v67
	s_delay_alu instid0(VALU_DEP_2) | instskip(NEXT) | instid1(VALU_DEP_2)
	v_cmp_ne_u32_e32 vcc_lo, 0, v66
	v_not_b32_e32 v66, v180
	v_cmp_gt_i32_e64 s15, 0, v180
	s_delay_alu instid0(VALU_DEP_2) | instskip(SKIP_3) | instid1(VALU_DEP_4)
	v_dual_ashrrev_i32 v66, 31, v66 :: v_dual_lshlrev_b32 v181, 29, v67
	v_dual_lshlrev_b32 v182, 28, v67 :: v_dual_lshlrev_b32 v183, 27, v67
	v_dual_lshlrev_b32 v184, 26, v67 :: v_dual_lshlrev_b32 v185, 25, v67
	v_lshlrev_b32_e32 v186, 24, v67
	v_cmp_gt_i32_e64 s16, 0, v181
	v_not_b32_e32 v180, v181
	v_not_b32_e32 v181, v182
	v_cmp_gt_i32_e64 s17, 0, v182
	v_cmp_gt_i32_e64 s18, 0, v183
	v_not_b32_e32 v182, v183
	v_not_b32_e32 v183, v184
	v_dual_ashrrev_i32 v180, 31, v180 :: v_dual_bitop2_b32 v61, vcc_lo, v61 bitop3:0x14
	v_dual_ashrrev_i32 v181, 31, v181 :: v_dual_bitop2_b32 v66, s15, v66 bitop3:0x14
	v_cmp_gt_i32_e64 s19, 0, v184
	v_cmp_gt_i32_e64 s20, 0, v185
	v_not_b32_e32 v184, v185
	v_not_b32_e32 v185, v186
	v_dual_ashrrev_i32 v182, 31, v182 :: v_dual_ashrrev_i32 v183, 31, v183
	v_xor_b32_e32 v180, s16, v180
	v_xor_b32_e32 v181, s17, v181
	v_bitop3_b32 v61, v61, v66, exec_lo bitop3:0x80
	v_cmp_gt_i32_e64 s21, 0, v186
	v_dual_ashrrev_i32 v66, 31, v184 :: v_dual_ashrrev_i32 v184, 31, v185
	v_xor_b32_e32 v182, s18, v182
	v_xor_b32_e32 v183, s19, v183
	v_bitop3_b32 v61, v61, v181, v180 bitop3:0x80
	v_mad_u32_u24 v180, v67, 36, v23
	v_xor_b32_e32 v66, s20, v66
	v_xor_b32_e32 v184, s21, v184
	s_delay_alu instid0(VALU_DEP_4) | instskip(SKIP_3) | instid1(VALU_DEP_2)
	v_bitop3_b32 v61, v61, v183, v182 bitop3:0x80
	ds_load_b32 v181, v180 offset:1056
	; wave barrier
	v_bitop3_b32 v61, v61, v184, v66 bitop3:0x80
	v_mul_u32_u24_e32 v66, 36, v67
	v_mbcnt_lo_u32_b32 v182, v61, 0
	v_cmp_ne_u32_e64 s15, 0, v61
	s_delay_alu instid0(VALU_DEP_3) | instskip(NEXT) | instid1(VALU_DEP_3)
	v_add_nc_u32_e32 v183, v23, v66
	v_cmp_eq_u32_e32 vcc_lo, 0, v182
	s_and_b32 s16, s15, vcc_lo
	s_delay_alu instid0(SALU_CYCLE_1)
	s_and_saveexec_b32 s15, s16
	s_cbranch_execz .LBB1937_446
; %bb.445:                              ;   in Loop: Header=BB1937_388 Depth=2
	s_wait_dscnt 0x0
	v_bcnt_u32_b32 v61, v61, v181
	ds_store_b32 v183, v61 offset:1056
.LBB1937_446:                           ;   in Loop: Header=BB1937_388 Depth=2
	s_or_b32 exec_lo, exec_lo, s15
	v_cmp_gt_i16_e32 vcc_lo, 0, v65
	; wave barrier
	v_cndmask_b32_e64 v61, 0x7fff, 0, vcc_lo
	s_delay_alu instid0(VALU_DEP_1) | instskip(NEXT) | instid1(VALU_DEP_1)
	v_xor_b32_e32 v180, v61, v65
	v_cmp_ne_u16_e64 vcc_lo, 0x8000, v180
	v_cndmask_b32_e32 v61, 0x7fff, v180, vcc_lo
	s_delay_alu instid0(VALU_DEP_1) | instskip(NEXT) | instid1(VALU_DEP_1)
	v_and_b32_e32 v61, 0xffff, v61
	v_lshrrev_b32_e32 v61, s48, v61
	s_delay_alu instid0(VALU_DEP_1) | instskip(NEXT) | instid1(VALU_DEP_1)
	v_and_b32_e32 v66, s52, v61
	v_lshlrev_b32_e32 v185, 28, v66
	v_bitop3_b32 v65, v61, 1, s52 bitop3:0x80
	v_dual_lshlrev_b32 v67, 30, v66 :: v_dual_lshlrev_b32 v184, 29, v66
	s_delay_alu instid0(VALU_DEP_3) | instskip(NEXT) | instid1(VALU_DEP_3)
	v_cmp_gt_i32_e64 s17, 0, v185
	v_add_co_u32 v61, s15, v65, -1
	s_delay_alu instid0(VALU_DEP_1) | instskip(NEXT) | instid1(VALU_DEP_4)
	v_cndmask_b32_e64 v65, 0, 1, s15
	v_cmp_gt_i32_e64 s15, 0, v67
	v_cmp_gt_i32_e64 s16, 0, v184
	s_delay_alu instid0(VALU_DEP_3) | instskip(SKIP_3) | instid1(VALU_DEP_2)
	v_cmp_ne_u32_e32 vcc_lo, 0, v65
	v_not_b32_e32 v65, v67
	v_not_b32_e32 v67, v184
	;; [unrolled: 1-line block ×3, first 2 shown]
	v_dual_ashrrev_i32 v65, 31, v65 :: v_dual_ashrrev_i32 v67, 31, v67
	v_dual_lshlrev_b32 v186, 27, v66 :: v_dual_lshlrev_b32 v187, 26, v66
	v_dual_lshlrev_b32 v188, 25, v66 :: v_dual_lshlrev_b32 v189, 24, v66
	s_delay_alu instid0(VALU_DEP_4) | instskip(NEXT) | instid1(VALU_DEP_3)
	v_ashrrev_i32_e32 v184, 31, v184
	v_cmp_gt_i32_e64 s18, 0, v186
	v_not_b32_e32 v185, v186
	v_cmp_gt_i32_e64 s19, 0, v187
	v_not_b32_e32 v186, v187
	v_cmp_gt_i32_e64 s20, 0, v188
	v_not_b32_e32 v187, v188
	v_not_b32_e32 v188, v189
	s_delay_alu instid0(VALU_DEP_4) | instskip(SKIP_4) | instid1(VALU_DEP_4)
	v_dual_ashrrev_i32 v186, 31, v186 :: v_dual_bitop2_b32 v61, vcc_lo, v61 bitop3:0x14
	v_xor_b32_e32 v65, s15, v65
	v_dual_ashrrev_i32 v185, 31, v185 :: v_dual_bitop2_b32 v67, s16, v67 bitop3:0x14
	v_xor_b32_e32 v184, s17, v184
	v_cmp_gt_i32_e64 s21, 0, v189
	v_bitop3_b32 v61, v61, v65, exec_lo bitop3:0x80
	v_dual_ashrrev_i32 v65, 31, v187 :: v_dual_ashrrev_i32 v187, 31, v188
	v_xor_b32_e32 v185, s18, v185
	v_xor_b32_e32 v186, s19, v186
	s_delay_alu instid0(VALU_DEP_4) | instskip(SKIP_3) | instid1(VALU_DEP_4)
	v_bitop3_b32 v61, v61, v184, v67 bitop3:0x80
	v_mad_u32_u24 v67, v66, 36, v23
	v_xor_b32_e32 v65, s20, v65
	v_xor_b32_e32 v184, s21, v187
	v_bitop3_b32 v61, v61, v186, v185 bitop3:0x80
	ds_load_b32 v185, v67 offset:1056
	; wave barrier
	v_bitop3_b32 v61, v61, v184, v65 bitop3:0x80
	v_mul_u32_u24_e32 v65, 36, v66
	s_delay_alu instid0(VALU_DEP_2) | instskip(SKIP_1) | instid1(VALU_DEP_3)
	v_mbcnt_lo_u32_b32 v186, v61, 0
	v_cmp_ne_u32_e64 s15, 0, v61
	v_add_nc_u32_e32 v187, v23, v65
	s_delay_alu instid0(VALU_DEP_3) | instskip(SKIP_1) | instid1(SALU_CYCLE_1)
	v_cmp_eq_u32_e32 vcc_lo, 0, v186
	s_and_b32 s16, s15, vcc_lo
	s_and_saveexec_b32 s15, s16
	s_cbranch_execz .LBB1937_448
; %bb.447:                              ;   in Loop: Header=BB1937_388 Depth=2
	s_wait_dscnt 0x0
	v_bcnt_u32_b32 v61, v61, v185
	ds_store_b32 v187, v61 offset:1056
.LBB1937_448:                           ;   in Loop: Header=BB1937_388 Depth=2
	s_or_b32 exec_lo, exec_lo, s15
	v_cmp_gt_i16_e32 vcc_lo, 0, v64
	; wave barrier
	v_cndmask_b32_e64 v61, 0x7fff, 0, vcc_lo
	s_delay_alu instid0(VALU_DEP_1) | instskip(NEXT) | instid1(VALU_DEP_1)
	v_xor_b32_e32 v184, v61, v64
	v_cmp_ne_u16_e64 vcc_lo, 0x8000, v184
	v_cndmask_b32_e32 v61, 0x7fff, v184, vcc_lo
	s_delay_alu instid0(VALU_DEP_1) | instskip(NEXT) | instid1(VALU_DEP_1)
	v_and_b32_e32 v61, 0xffff, v61
	v_lshrrev_b32_e32 v61, s48, v61
	s_delay_alu instid0(VALU_DEP_1) | instskip(SKIP_1) | instid1(VALU_DEP_2)
	v_bitop3_b32 v64, v61, 1, s52 bitop3:0x80
	v_and_b32_e32 v65, s52, v61
	v_add_co_u32 v61, s15, v64, -1
	s_delay_alu instid0(VALU_DEP_1) | instskip(NEXT) | instid1(VALU_DEP_3)
	v_cndmask_b32_e64 v64, 0, 1, s15
	v_lshlrev_b32_e32 v66, 30, v65
	s_delay_alu instid0(VALU_DEP_2) | instskip(NEXT) | instid1(VALU_DEP_2)
	v_cmp_ne_u32_e32 vcc_lo, 0, v64
	v_not_b32_e32 v64, v66
	v_cmp_gt_i32_e64 s15, 0, v66
	s_delay_alu instid0(VALU_DEP_2) | instskip(SKIP_3) | instid1(VALU_DEP_4)
	v_dual_ashrrev_i32 v64, 31, v64 :: v_dual_lshlrev_b32 v67, 29, v65
	v_dual_lshlrev_b32 v188, 28, v65 :: v_dual_lshlrev_b32 v189, 27, v65
	v_dual_lshlrev_b32 v190, 26, v65 :: v_dual_lshlrev_b32 v191, 25, v65
	v_lshlrev_b32_e32 v192, 24, v65
	v_cmp_gt_i32_e64 s16, 0, v67
	v_not_b32_e32 v66, v67
	v_not_b32_e32 v67, v188
	v_cmp_gt_i32_e64 s17, 0, v188
	v_cmp_gt_i32_e64 s18, 0, v189
	v_not_b32_e32 v188, v189
	v_not_b32_e32 v189, v190
	v_dual_ashrrev_i32 v66, 31, v66 :: v_dual_bitop2_b32 v61, vcc_lo, v61 bitop3:0x14
	v_dual_ashrrev_i32 v67, 31, v67 :: v_dual_bitop2_b32 v64, s15, v64 bitop3:0x14
	v_cmp_gt_i32_e64 s19, 0, v190
	v_cmp_gt_i32_e64 s20, 0, v191
	v_not_b32_e32 v190, v191
	v_not_b32_e32 v191, v192
	v_dual_ashrrev_i32 v188, 31, v188 :: v_dual_ashrrev_i32 v189, 31, v189
	v_xor_b32_e32 v66, s16, v66
	v_xor_b32_e32 v67, s17, v67
	v_bitop3_b32 v61, v61, v64, exec_lo bitop3:0x80
	v_cmp_gt_i32_e64 s21, 0, v192
	v_dual_ashrrev_i32 v64, 31, v190 :: v_dual_ashrrev_i32 v190, 31, v191
	v_xor_b32_e32 v188, s18, v188
	v_xor_b32_e32 v189, s19, v189
	v_bitop3_b32 v61, v61, v67, v66 bitop3:0x80
	v_mad_u32_u24 v66, v65, 36, v23
	v_xor_b32_e32 v64, s20, v64
	v_xor_b32_e32 v67, s21, v190
	s_delay_alu instid0(VALU_DEP_4) | instskip(SKIP_3) | instid1(VALU_DEP_2)
	v_bitop3_b32 v61, v61, v189, v188 bitop3:0x80
	ds_load_b32 v189, v66 offset:1056
	; wave barrier
	v_bitop3_b32 v61, v61, v67, v64 bitop3:0x80
	v_mul_u32_u24_e32 v64, 36, v65
	v_mbcnt_lo_u32_b32 v190, v61, 0
	v_cmp_ne_u32_e64 s15, 0, v61
	s_delay_alu instid0(VALU_DEP_3) | instskip(NEXT) | instid1(VALU_DEP_3)
	v_add_nc_u32_e32 v191, v23, v64
	v_cmp_eq_u32_e32 vcc_lo, 0, v190
	s_and_b32 s16, s15, vcc_lo
	s_delay_alu instid0(SALU_CYCLE_1)
	s_and_saveexec_b32 s15, s16
	s_cbranch_execz .LBB1937_450
; %bb.449:                              ;   in Loop: Header=BB1937_388 Depth=2
	s_wait_dscnt 0x0
	v_bcnt_u32_b32 v61, v61, v189
	ds_store_b32 v191, v61 offset:1056
.LBB1937_450:                           ;   in Loop: Header=BB1937_388 Depth=2
	s_or_b32 exec_lo, exec_lo, s15
	v_cmp_gt_i16_e32 vcc_lo, 0, v63
	; wave barrier
	v_cndmask_b32_e64 v61, 0x7fff, 0, vcc_lo
	s_delay_alu instid0(VALU_DEP_1) | instskip(NEXT) | instid1(VALU_DEP_1)
	v_xor_b32_e32 v188, v61, v63
	v_cmp_ne_u16_e64 vcc_lo, 0x8000, v188
	v_cndmask_b32_e32 v61, 0x7fff, v188, vcc_lo
	s_delay_alu instid0(VALU_DEP_1) | instskip(NEXT) | instid1(VALU_DEP_1)
	v_and_b32_e32 v61, 0xffff, v61
	v_lshrrev_b32_e32 v61, s48, v61
	s_delay_alu instid0(VALU_DEP_1) | instskip(SKIP_1) | instid1(VALU_DEP_2)
	v_bitop3_b32 v63, v61, 1, s52 bitop3:0x80
	v_and_b32_e32 v64, s52, v61
	v_add_co_u32 v61, s15, v63, -1
	s_delay_alu instid0(VALU_DEP_1) | instskip(NEXT) | instid1(VALU_DEP_3)
	v_cndmask_b32_e64 v63, 0, 1, s15
	v_lshlrev_b32_e32 v65, 30, v64
	s_delay_alu instid0(VALU_DEP_2) | instskip(NEXT) | instid1(VALU_DEP_2)
	v_cmp_ne_u32_e32 vcc_lo, 0, v63
	v_not_b32_e32 v63, v65
	s_delay_alu instid0(VALU_DEP_1) | instskip(SKIP_4) | instid1(VALU_DEP_4)
	v_dual_ashrrev_i32 v63, 31, v63 :: v_dual_bitop2_b32 v61, vcc_lo, v61 bitop3:0x14
	v_dual_lshlrev_b32 v66, 29, v64 :: v_dual_lshlrev_b32 v67, 28, v64
	v_dual_lshlrev_b32 v192, 27, v64 :: v_dual_lshlrev_b32 v193, 26, v64
	v_lshlrev_b32_e32 v194, 25, v64
	v_cmp_gt_i32_e64 s15, 0, v65
	v_cmp_gt_i32_e64 s16, 0, v66
	v_not_b32_e32 v65, v66
	v_not_b32_e32 v66, v67
	v_lshlrev_b32_e32 v195, 24, v64
	v_cmp_gt_i32_e64 s17, 0, v67
	v_cmp_gt_i32_e64 s18, 0, v192
	v_not_b32_e32 v67, v192
	v_not_b32_e32 v192, v193
	v_dual_ashrrev_i32 v65, 31, v65 :: v_dual_bitop2_b32 v63, s15, v63 bitop3:0x14
	v_ashrrev_i32_e32 v66, 31, v66
	v_cmp_gt_i32_e64 s19, 0, v193
	v_cmp_gt_i32_e64 s20, 0, v194
	v_not_b32_e32 v193, v194
	v_not_b32_e32 v194, v195
	v_dual_ashrrev_i32 v67, 31, v67 :: v_dual_ashrrev_i32 v192, 31, v192
	v_xor_b32_e32 v65, s16, v65
	v_xor_b32_e32 v66, s17, v66
	v_bitop3_b32 v61, v61, v63, exec_lo bitop3:0x80
	v_cmp_gt_i32_e64 s21, 0, v195
	v_dual_ashrrev_i32 v63, 31, v193 :: v_dual_ashrrev_i32 v193, 31, v194
	v_xor_b32_e32 v67, s18, v67
	v_xor_b32_e32 v192, s19, v192
	v_bitop3_b32 v61, v61, v66, v65 bitop3:0x80
	v_mad_u32_u24 v65, v64, 36, v23
	v_xor_b32_e32 v63, s20, v63
	v_xor_b32_e32 v66, s21, v193
	s_delay_alu instid0(VALU_DEP_4) | instskip(SKIP_3) | instid1(VALU_DEP_2)
	v_bitop3_b32 v61, v61, v192, v67 bitop3:0x80
	ds_load_b32 v193, v65 offset:1056
	; wave barrier
	v_bitop3_b32 v61, v61, v66, v63 bitop3:0x80
	v_mul_u32_u24_e32 v63, 36, v64
	v_mbcnt_lo_u32_b32 v194, v61, 0
	v_cmp_ne_u32_e64 s15, 0, v61
	s_delay_alu instid0(VALU_DEP_3) | instskip(NEXT) | instid1(VALU_DEP_3)
	v_add_nc_u32_e32 v195, v23, v63
	v_cmp_eq_u32_e32 vcc_lo, 0, v194
	s_and_b32 s16, s15, vcc_lo
	s_delay_alu instid0(SALU_CYCLE_1)
	s_and_saveexec_b32 s15, s16
	s_cbranch_execz .LBB1937_452
; %bb.451:                              ;   in Loop: Header=BB1937_388 Depth=2
	s_wait_dscnt 0x0
	v_bcnt_u32_b32 v61, v61, v193
	ds_store_b32 v195, v61 offset:1056
.LBB1937_452:                           ;   in Loop: Header=BB1937_388 Depth=2
	s_or_b32 exec_lo, exec_lo, s15
	v_cmp_gt_i16_e32 vcc_lo, 0, v62
	; wave barrier
	v_cndmask_b32_e64 v61, 0x7fff, 0, vcc_lo
	s_delay_alu instid0(VALU_DEP_1) | instskip(NEXT) | instid1(VALU_DEP_1)
	v_xor_b32_e32 v192, v61, v62
	v_cmp_ne_u16_e64 vcc_lo, 0x8000, v192
	v_cndmask_b32_e32 v61, 0x7fff, v192, vcc_lo
	s_delay_alu instid0(VALU_DEP_1) | instskip(NEXT) | instid1(VALU_DEP_1)
	v_and_b32_e32 v61, 0xffff, v61
	v_lshrrev_b32_e32 v61, s48, v61
	s_delay_alu instid0(VALU_DEP_1) | instskip(SKIP_1) | instid1(VALU_DEP_2)
	v_bitop3_b32 v62, v61, 1, s52 bitop3:0x80
	v_and_b32_e32 v63, s52, v61
	v_add_co_u32 v61, s15, v62, -1
	s_delay_alu instid0(VALU_DEP_1) | instskip(NEXT) | instid1(VALU_DEP_3)
	v_cndmask_b32_e64 v62, 0, 1, s15
	v_lshlrev_b32_e32 v64, 30, v63
	s_delay_alu instid0(VALU_DEP_2) | instskip(NEXT) | instid1(VALU_DEP_2)
	v_cmp_ne_u32_e32 vcc_lo, 0, v62
	v_not_b32_e32 v62, v64
	v_cmp_gt_i32_e64 s15, 0, v64
	s_delay_alu instid0(VALU_DEP_2) | instskip(SKIP_3) | instid1(VALU_DEP_4)
	v_dual_ashrrev_i32 v62, 31, v62 :: v_dual_lshlrev_b32 v65, 29, v63
	v_dual_lshlrev_b32 v66, 28, v63 :: v_dual_lshlrev_b32 v67, 27, v63
	v_dual_lshlrev_b32 v196, 26, v63 :: v_dual_lshlrev_b32 v197, 25, v63
	v_lshlrev_b32_e32 v198, 24, v63
	v_cmp_gt_i32_e64 s16, 0, v65
	v_not_b32_e32 v64, v65
	v_not_b32_e32 v65, v66
	v_cmp_gt_i32_e64 s17, 0, v66
	v_cmp_gt_i32_e64 s18, 0, v67
	v_not_b32_e32 v66, v67
	v_not_b32_e32 v67, v196
	v_dual_ashrrev_i32 v64, 31, v64 :: v_dual_bitop2_b32 v61, vcc_lo, v61 bitop3:0x14
	v_dual_ashrrev_i32 v65, 31, v65 :: v_dual_bitop2_b32 v62, s15, v62 bitop3:0x14
	v_cmp_gt_i32_e64 s19, 0, v196
	v_cmp_gt_i32_e64 s20, 0, v197
	v_not_b32_e32 v196, v197
	v_not_b32_e32 v197, v198
	v_dual_ashrrev_i32 v66, 31, v66 :: v_dual_ashrrev_i32 v67, 31, v67
	v_xor_b32_e32 v64, s16, v64
	v_xor_b32_e32 v65, s17, v65
	v_bitop3_b32 v61, v61, v62, exec_lo bitop3:0x80
	v_cmp_gt_i32_e64 s21, 0, v198
	v_dual_ashrrev_i32 v62, 31, v196 :: v_dual_ashrrev_i32 v196, 31, v197
	v_xor_b32_e32 v66, s18, v66
	v_xor_b32_e32 v67, s19, v67
	v_bitop3_b32 v61, v61, v65, v64 bitop3:0x80
	v_mad_u32_u24 v64, v63, 36, v23
	v_xor_b32_e32 v62, s20, v62
	v_xor_b32_e32 v65, s21, v196
	s_delay_alu instid0(VALU_DEP_4) | instskip(SKIP_3) | instid1(VALU_DEP_2)
	v_bitop3_b32 v61, v61, v67, v66 bitop3:0x80
	ds_load_b32 v197, v64 offset:1056
	; wave barrier
	v_bitop3_b32 v61, v61, v65, v62 bitop3:0x80
	v_mul_u32_u24_e32 v62, 36, v63
	v_mbcnt_lo_u32_b32 v198, v61, 0
	v_cmp_ne_u32_e64 s15, 0, v61
	s_delay_alu instid0(VALU_DEP_3) | instskip(NEXT) | instid1(VALU_DEP_3)
	v_add_nc_u32_e32 v199, v23, v62
	v_cmp_eq_u32_e32 vcc_lo, 0, v198
	s_and_b32 s16, s15, vcc_lo
	s_delay_alu instid0(SALU_CYCLE_1)
	s_and_saveexec_b32 s15, s16
	s_cbranch_execz .LBB1937_454
; %bb.453:                              ;   in Loop: Header=BB1937_388 Depth=2
	s_wait_dscnt 0x0
	v_bcnt_u32_b32 v61, v61, v197
	ds_store_b32 v199, v61 offset:1056
.LBB1937_454:                           ;   in Loop: Header=BB1937_388 Depth=2
	s_or_b32 exec_lo, exec_lo, s15
	v_cmp_gt_i16_e32 vcc_lo, 0, v60
	; wave barrier
	v_cndmask_b32_e64 v61, 0x7fff, 0, vcc_lo
	s_delay_alu instid0(VALU_DEP_1) | instskip(NEXT) | instid1(VALU_DEP_1)
	v_xor_b32_e32 v196, v61, v60
	v_cmp_ne_u16_e64 vcc_lo, 0x8000, v196
	v_cndmask_b32_e32 v60, 0x7fff, v196, vcc_lo
	s_delay_alu instid0(VALU_DEP_1) | instskip(NEXT) | instid1(VALU_DEP_1)
	v_and_b32_e32 v60, 0xffff, v60
	v_lshrrev_b32_e32 v60, s48, v60
	s_delay_alu instid0(VALU_DEP_1) | instskip(SKIP_1) | instid1(VALU_DEP_2)
	v_bitop3_b32 v61, v60, 1, s52 bitop3:0x80
	v_and_b32_e32 v62, s52, v60
	v_add_co_u32 v60, s15, v61, -1
	s_delay_alu instid0(VALU_DEP_1) | instskip(NEXT) | instid1(VALU_DEP_3)
	v_cndmask_b32_e64 v61, 0, 1, s15
	v_lshlrev_b32_e32 v63, 30, v62
	s_delay_alu instid0(VALU_DEP_2) | instskip(NEXT) | instid1(VALU_DEP_2)
	v_cmp_ne_u32_e32 vcc_lo, 0, v61
	v_not_b32_e32 v61, v63
	v_cmp_gt_i32_e64 s15, 0, v63
	s_delay_alu instid0(VALU_DEP_2) | instskip(SKIP_3) | instid1(VALU_DEP_4)
	v_dual_ashrrev_i32 v61, 31, v61 :: v_dual_lshlrev_b32 v64, 29, v62
	v_dual_lshlrev_b32 v65, 28, v62 :: v_dual_lshlrev_b32 v66, 27, v62
	v_dual_lshlrev_b32 v67, 26, v62 :: v_dual_lshlrev_b32 v200, 25, v62
	v_lshlrev_b32_e32 v201, 24, v62
	v_cmp_gt_i32_e64 s16, 0, v64
	v_not_b32_e32 v63, v64
	v_not_b32_e32 v64, v65
	v_cmp_gt_i32_e64 s17, 0, v65
	v_cmp_gt_i32_e64 s18, 0, v66
	v_not_b32_e32 v65, v66
	v_not_b32_e32 v66, v67
	v_dual_ashrrev_i32 v63, 31, v63 :: v_dual_bitop2_b32 v60, vcc_lo, v60 bitop3:0x14
	v_dual_ashrrev_i32 v64, 31, v64 :: v_dual_bitop2_b32 v61, s15, v61 bitop3:0x14
	v_cmp_gt_i32_e64 s19, 0, v67
	v_cmp_gt_i32_e64 s20, 0, v200
	v_not_b32_e32 v67, v200
	v_not_b32_e32 v200, v201
	v_dual_ashrrev_i32 v65, 31, v65 :: v_dual_ashrrev_i32 v66, 31, v66
	v_xor_b32_e32 v63, s16, v63
	v_xor_b32_e32 v64, s17, v64
	v_bitop3_b32 v60, v60, v61, exec_lo bitop3:0x80
	v_cmp_gt_i32_e64 s21, 0, v201
	v_dual_ashrrev_i32 v61, 31, v67 :: v_dual_ashrrev_i32 v67, 31, v200
	v_xor_b32_e32 v65, s18, v65
	v_xor_b32_e32 v66, s19, v66
	v_bitop3_b32 v60, v60, v64, v63 bitop3:0x80
	v_mad_u32_u24 v63, v62, 36, v23
	v_xor_b32_e32 v61, s20, v61
	v_xor_b32_e32 v64, s21, v67
	s_delay_alu instid0(VALU_DEP_4) | instskip(SKIP_3) | instid1(VALU_DEP_2)
	v_bitop3_b32 v60, v60, v66, v65 bitop3:0x80
	ds_load_b32 v200, v63 offset:1056
	; wave barrier
	v_bitop3_b32 v60, v60, v64, v61 bitop3:0x80
	v_mul_u32_u24_e32 v61, 36, v62
	v_mbcnt_lo_u32_b32 v201, v60, 0
	v_cmp_ne_u32_e64 s15, 0, v60
	s_delay_alu instid0(VALU_DEP_3) | instskip(NEXT) | instid1(VALU_DEP_3)
	v_add_nc_u32_e32 v202, v23, v61
	v_cmp_eq_u32_e32 vcc_lo, 0, v201
	s_and_b32 s16, s15, vcc_lo
	s_delay_alu instid0(SALU_CYCLE_1)
	s_and_saveexec_b32 s15, s16
	s_cbranch_execz .LBB1937_456
; %bb.455:                              ;   in Loop: Header=BB1937_388 Depth=2
	s_wait_dscnt 0x0
	v_bcnt_u32_b32 v60, v60, v200
	ds_store_b32 v202, v60 offset:1056
.LBB1937_456:                           ;   in Loop: Header=BB1937_388 Depth=2
	s_or_b32 exec_lo, exec_lo, s15
	; wave barrier
	s_wait_dscnt 0x0
	s_barrier_signal -1
	s_barrier_wait -1
	ds_load_2addr_b32 v[66:67], v118 offset1:1
	ds_load_2addr_b32 v[64:65], v119 offset1:1
	;; [unrolled: 1-line block ×4, first 2 shown]
	ds_load_b32 v203, v91 offset:1088
	s_wait_dscnt 0x3
	v_add3_u32 v204, v67, v66, v64
	s_wait_dscnt 0x2
	s_delay_alu instid0(VALU_DEP_1) | instskip(SKIP_1) | instid1(VALU_DEP_1)
	v_add3_u32 v204, v204, v65, v62
	s_wait_dscnt 0x1
	v_add3_u32 v204, v204, v63, v60
	s_wait_dscnt 0x0
	s_delay_alu instid0(VALU_DEP_1) | instskip(NEXT) | instid1(VALU_DEP_1)
	v_add3_u32 v203, v204, v61, v203
	v_mov_b32_dpp v204, v203 row_shr:1 row_mask:0xf bank_mask:0xf
	s_delay_alu instid0(VALU_DEP_1) | instskip(NEXT) | instid1(VALU_DEP_1)
	v_cndmask_b32_e64 v204, v204, 0, s7
	v_add_nc_u32_e32 v203, v204, v203
	s_delay_alu instid0(VALU_DEP_1) | instskip(NEXT) | instid1(VALU_DEP_1)
	v_mov_b32_dpp v204, v203 row_shr:2 row_mask:0xf bank_mask:0xf
	v_cndmask_b32_e64 v204, 0, v204, s8
	s_delay_alu instid0(VALU_DEP_1) | instskip(NEXT) | instid1(VALU_DEP_1)
	v_add_nc_u32_e32 v203, v203, v204
	v_mov_b32_dpp v204, v203 row_shr:4 row_mask:0xf bank_mask:0xf
	s_delay_alu instid0(VALU_DEP_1) | instskip(NEXT) | instid1(VALU_DEP_1)
	v_cndmask_b32_e64 v204, 0, v204, s9
	v_add_nc_u32_e32 v203, v203, v204
	s_delay_alu instid0(VALU_DEP_1) | instskip(NEXT) | instid1(VALU_DEP_1)
	v_mov_b32_dpp v204, v203 row_shr:8 row_mask:0xf bank_mask:0xf
	v_cndmask_b32_e64 v204, 0, v204, s10
	s_delay_alu instid0(VALU_DEP_1) | instskip(SKIP_3) | instid1(VALU_DEP_1)
	v_add_nc_u32_e32 v203, v203, v204
	ds_swizzle_b32 v204, v203 offset:swizzle(BROADCAST,32,15)
	s_wait_dscnt 0x0
	v_cndmask_b32_e64 v204, v204, 0, s11
	v_add_nc_u32_e32 v203, v203, v204
	s_and_saveexec_b32 s15, s1
; %bb.457:                              ;   in Loop: Header=BB1937_388 Depth=2
	ds_store_b32 v84, v203 offset:1024
; %bb.458:                              ;   in Loop: Header=BB1937_388 Depth=2
	s_or_b32 exec_lo, exec_lo, s15
	s_wait_dscnt 0x0
	s_barrier_signal -1
	s_barrier_wait -1
	s_and_saveexec_b32 s15, s4
	s_cbranch_execz .LBB1937_460
; %bb.459:                              ;   in Loop: Header=BB1937_388 Depth=2
	ds_load_b32 v204, v92 offset:1024
	s_wait_dscnt 0x0
	v_mov_b32_dpp v205, v204 row_shr:1 row_mask:0xf bank_mask:0xf
	s_delay_alu instid0(VALU_DEP_1) | instskip(NEXT) | instid1(VALU_DEP_1)
	v_cndmask_b32_e64 v205, v205, 0, s12
	v_add_nc_u32_e32 v204, v205, v204
	s_delay_alu instid0(VALU_DEP_1) | instskip(NEXT) | instid1(VALU_DEP_1)
	v_mov_b32_dpp v205, v204 row_shr:2 row_mask:0xf bank_mask:0xf
	v_cndmask_b32_e64 v205, 0, v205, s13
	s_delay_alu instid0(VALU_DEP_1) | instskip(NEXT) | instid1(VALU_DEP_1)
	v_add_nc_u32_e32 v204, v204, v205
	v_mov_b32_dpp v205, v204 row_shr:4 row_mask:0xf bank_mask:0xf
	s_delay_alu instid0(VALU_DEP_1) | instskip(NEXT) | instid1(VALU_DEP_1)
	v_cndmask_b32_e64 v205, 0, v205, s14
	v_add_nc_u32_e32 v204, v204, v205
	ds_store_b32 v92, v204 offset:1024
.LBB1937_460:                           ;   in Loop: Header=BB1937_388 Depth=2
	s_or_b32 exec_lo, exec_lo, s15
	v_mov_b32_e32 v204, 0
	s_wait_dscnt 0x0
	s_barrier_signal -1
	s_barrier_wait -1
	s_and_saveexec_b32 s15, s5
; %bb.461:                              ;   in Loop: Header=BB1937_388 Depth=2
	ds_load_b32 v204, v84 offset:1020
; %bb.462:                              ;   in Loop: Header=BB1937_388 Depth=2
	s_or_b32 exec_lo, exec_lo, s15
	s_wait_dscnt 0x0
	v_add_nc_u32_e32 v203, v204, v203
	ds_bpermute_b32 v203, v122, v203
	s_wait_dscnt 0x0
	v_cndmask_b32_e64 v203, v203, v204, s6
	s_delay_alu instid0(VALU_DEP_1) | instskip(NEXT) | instid1(VALU_DEP_1)
	v_cndmask_b32_e64 v203, v203, 0, s2
	v_add_nc_u32_e32 v66, v203, v66
	s_delay_alu instid0(VALU_DEP_1) | instskip(NEXT) | instid1(VALU_DEP_1)
	v_add_nc_u32_e32 v67, v66, v67
	v_add_nc_u32_e32 v64, v67, v64
	s_delay_alu instid0(VALU_DEP_1) | instskip(NEXT) | instid1(VALU_DEP_1)
	v_add_nc_u32_e32 v65, v64, v65
	;; [unrolled: 3-line block ×3, first 2 shown]
	v_add_nc_u32_e32 v60, v63, v60
	s_delay_alu instid0(VALU_DEP_1)
	v_add_nc_u32_e32 v61, v60, v61
	ds_store_2addr_b32 v121, v63, v60 offset1:1
	ds_store_2addr_b32 v118, v203, v66 offset1:1
	;; [unrolled: 1-line block ×4, first 2 shown]
	ds_store_b32 v91, v61 offset:1088
	s_wait_dscnt 0x0
	s_barrier_signal -1
	s_barrier_wait -1
	ds_load_b32 v63, v143 offset:1056
	ds_load_b32 v65, v147 offset:1056
	;; [unrolled: 1-line block ×17, first 2 shown]
	v_mov_b32_e32 v62, 0x1000
	s_and_saveexec_b32 s15, s3
; %bb.463:                              ;   in Loop: Header=BB1937_388 Depth=2
	ds_load_b32 v62, v91 offset:1092
; %bb.464:                              ;   in Loop: Header=BB1937_388 Depth=2
	s_or_b32 exec_lo, exec_lo, s15
	s_wait_dscnt 0x0
	s_barrier_signal -1
	s_barrier_wait -1
	s_and_saveexec_b32 s15, s0
	s_cbranch_execz .LBB1937_466
; %bb.465:                              ;   in Loop: Header=BB1937_388 Depth=2
	ds_load_b32 v155, v3
	s_wait_dscnt 0x0
	v_sub_nc_u32_e32 v151, v155, v151
	ds_store_b32 v3, v151
.LBB1937_466:                           ;   in Loop: Header=BB1937_388 Depth=2
	s_or_b32 exec_lo, exec_lo, s15
	v_add3_u32 v159, v146, v145, v65
	v_add_nc_u32_e32 v163, v63, v142
	v_add3_u32 v155, v150, v149, v66
	v_add3_u32 v151, v154, v153, v67
	;; [unrolled: 1-line block ×4, first 2 shown]
	v_lshlrev_b32_e32 v60, 1, v159
	v_lshlrev_b32_e32 v153, 1, v163
	v_add3_u32 v150, v158, v157, v143
	v_add3_u32 v147, v166, v165, v203
	;; [unrolled: 1-line block ×4, first 2 shown]
	v_lshlrev_b32_e32 v61, 1, v155
	v_add3_u32 v145, v174, v173, v175
	v_lshlrev_b32_e32 v154, 1, v149
	ds_store_b16 v153, v140 offset:1024
	v_lshlrev_b32_e32 v140, 1, v151
	v_add3_u32 v143, v178, v177, v179
	v_lshlrev_b32_e32 v153, 1, v150
	v_add3_u32 v142, v182, v181, v183
	v_add3_u32 v63, v186, v185, v187
	ds_store_b16 v60, v141 offset:1024
	ds_store_b16 v61, v144 offset:1024
	;; [unrolled: 1-line block ×5, first 2 shown]
	v_dual_lshlrev_b32 v60, 1, v147 :: v_dual_lshlrev_b32 v140, 1, v145
	v_lshlrev_b32_e32 v61, 1, v146
	v_add3_u32 v65, v198, v197, v64
	v_dual_lshlrev_b32 v141, 1, v143 :: v_dual_lshlrev_b32 v144, 1, v142
	v_add3_u32 v64, v201, v200, v167
	ds_store_b16 v60, v160 offset:1024
	ds_store_b16 v61, v164 offset:1024
	;; [unrolled: 1-line block ×5, first 2 shown]
	v_dual_lshlrev_b32 v60, 1, v63 :: v_dual_lshlrev_b32 v140, 1, v66
	v_cmp_lt_u32_e32 vcc_lo, v2, v139
	v_dual_lshlrev_b32 v61, 1, v67 :: v_dual_lshlrev_b32 v141, 1, v65
	v_lshlrev_b32_e32 v144, 1, v64
	ds_store_b16 v60, v180 offset:1024
	ds_store_b16 v61, v184 offset:1024
	;; [unrolled: 1-line block ×5, first 2 shown]
	s_wait_dscnt 0x0
	s_barrier_signal -1
	s_barrier_wait -1
	s_and_saveexec_b32 s16, vcc_lo
	s_cbranch_execnz .LBB1937_535
; %bb.467:                              ;   in Loop: Header=BB1937_388 Depth=2
	s_or_b32 exec_lo, exec_lo, s16
	v_cmp_lt_u32_e64 s15, v68, v139
	s_and_saveexec_b32 s17, s15
	s_cbranch_execnz .LBB1937_536
.LBB1937_468:                           ;   in Loop: Header=BB1937_388 Depth=2
	s_or_b32 exec_lo, exec_lo, s17
	v_cmp_lt_u32_e64 s16, v69, v139
	s_and_saveexec_b32 s18, s16
	s_cbranch_execnz .LBB1937_537
.LBB1937_469:                           ;   in Loop: Header=BB1937_388 Depth=2
	s_or_b32 exec_lo, exec_lo, s18
	v_cmp_lt_u32_e64 s17, v70, v139
	s_and_saveexec_b32 s19, s17
	s_cbranch_execnz .LBB1937_538
.LBB1937_470:                           ;   in Loop: Header=BB1937_388 Depth=2
	s_or_b32 exec_lo, exec_lo, s19
	v_cmp_lt_u32_e64 s18, v71, v139
	s_and_saveexec_b32 s20, s18
	s_cbranch_execnz .LBB1937_539
.LBB1937_471:                           ;   in Loop: Header=BB1937_388 Depth=2
	s_or_b32 exec_lo, exec_lo, s20
	v_cmp_lt_u32_e64 s19, v72, v139
	s_and_saveexec_b32 s21, s19
	s_cbranch_execnz .LBB1937_540
.LBB1937_472:                           ;   in Loop: Header=BB1937_388 Depth=2
	s_or_b32 exec_lo, exec_lo, s21
	v_cmp_lt_u32_e64 s20, v73, v139
	s_and_saveexec_b32 s22, s20
	s_cbranch_execnz .LBB1937_541
.LBB1937_473:                           ;   in Loop: Header=BB1937_388 Depth=2
	s_or_b32 exec_lo, exec_lo, s22
	v_cmp_lt_u32_e64 s21, v74, v139
	s_and_saveexec_b32 s23, s21
	s_cbranch_execnz .LBB1937_542
.LBB1937_474:                           ;   in Loop: Header=BB1937_388 Depth=2
	s_or_b32 exec_lo, exec_lo, s23
	v_cmp_lt_u32_e64 s22, v75, v139
	s_and_saveexec_b32 s24, s22
	s_cbranch_execnz .LBB1937_543
.LBB1937_475:                           ;   in Loop: Header=BB1937_388 Depth=2
	s_or_b32 exec_lo, exec_lo, s24
	v_cmp_lt_u32_e64 s23, v76, v139
	s_and_saveexec_b32 s25, s23
	s_cbranch_execnz .LBB1937_544
.LBB1937_476:                           ;   in Loop: Header=BB1937_388 Depth=2
	s_or_b32 exec_lo, exec_lo, s25
	v_cmp_lt_u32_e64 s24, v77, v139
	s_and_saveexec_b32 s26, s24
	s_cbranch_execnz .LBB1937_545
.LBB1937_477:                           ;   in Loop: Header=BB1937_388 Depth=2
	s_or_b32 exec_lo, exec_lo, s26
	v_cmp_lt_u32_e64 s25, v78, v139
	s_and_saveexec_b32 s27, s25
	s_cbranch_execnz .LBB1937_546
.LBB1937_478:                           ;   in Loop: Header=BB1937_388 Depth=2
	s_or_b32 exec_lo, exec_lo, s27
	v_cmp_lt_u32_e64 s26, v79, v139
	s_and_saveexec_b32 s28, s26
	s_cbranch_execnz .LBB1937_547
.LBB1937_479:                           ;   in Loop: Header=BB1937_388 Depth=2
	s_or_b32 exec_lo, exec_lo, s28
	v_cmp_lt_u32_e64 s27, v80, v139
	s_and_saveexec_b32 s29, s27
	s_cbranch_execnz .LBB1937_548
.LBB1937_480:                           ;   in Loop: Header=BB1937_388 Depth=2
	s_or_b32 exec_lo, exec_lo, s29
	v_cmp_lt_u32_e64 s28, v81, v139
	s_and_saveexec_b32 s30, s28
	s_cbranch_execnz .LBB1937_549
.LBB1937_481:                           ;   in Loop: Header=BB1937_388 Depth=2
	s_or_b32 exec_lo, exec_lo, s30
	v_cmp_lt_u32_e64 s29, v82, v139
	s_and_saveexec_b32 s58, s29
	s_cbranch_execz .LBB1937_483
.LBB1937_482:                           ;   in Loop: Header=BB1937_388 Depth=2
	ds_load_u16 v60, v93 offset:8704
	s_wait_dscnt 0x0
	v_cmp_ne_u16_e64 s30, 0x8000, v60
	s_delay_alu instid0(VALU_DEP_1) | instskip(SKIP_1) | instid1(VALU_DEP_2)
	v_cndmask_b32_e64 v61, 0x7fff, v60, s30
	v_cmp_gt_i16_e64 s30, 0, v60
	v_and_b32_e32 v61, 0xffff, v61
	s_delay_alu instid0(VALU_DEP_2) | instskip(NEXT) | instid1(VALU_DEP_1)
	v_cndmask_b32_e64 v140, 0x7fff, 0, s30
	v_dual_lshrrev_b32 v61, s48, v61 :: v_dual_bitop2_b32 v60, v140, v60 bitop3:0x14
	s_delay_alu instid0(VALU_DEP_1) | instskip(NEXT) | instid1(VALU_DEP_1)
	v_and_b32_e32 v61, s52, v61
	v_lshlrev_b32_e32 v61, 2, v61
	ds_load_b32 v61, v61
	s_wait_dscnt 0x0
	v_add_nc_u32_e32 v61, v61, v82
	global_store_b16 v61, v60, s[40:41] scale_offset
.LBB1937_483:                           ;   in Loop: Header=BB1937_388 Depth=2
	s_wait_xcnt 0x0
	s_or_b32 exec_lo, exec_lo, s58
	v_lshl_add_u64 v[60:61], s[42:43], 3, v[24:25]
	v_cmp_lt_u32_e64 s30, v100, v139
	s_and_saveexec_b32 s42, s30
	s_delay_alu instid0(SALU_CYCLE_1)
	s_xor_b32 s30, exec_lo, s42
	s_cbranch_execnz .LBB1937_550
; %bb.484:                              ;   in Loop: Header=BB1937_388 Depth=2
	s_or_b32 exec_lo, exec_lo, s30
	s_delay_alu instid0(SALU_CYCLE_1)
	s_mov_b32 s42, exec_lo
	v_cmpx_lt_u32_e64 v103, v139
	s_cbranch_execnz .LBB1937_551
.LBB1937_485:                           ;   in Loop: Header=BB1937_388 Depth=2
	s_or_b32 exec_lo, exec_lo, s42
	s_delay_alu instid0(SALU_CYCLE_1)
	s_mov_b32 s42, exec_lo
	v_cmpx_lt_u32_e64 v104, v139
	s_cbranch_execnz .LBB1937_552
.LBB1937_486:                           ;   in Loop: Header=BB1937_388 Depth=2
	s_or_b32 exec_lo, exec_lo, s42
	s_delay_alu instid0(SALU_CYCLE_1)
	s_mov_b32 s42, exec_lo
	v_cmpx_lt_u32_e64 v105, v139
	s_cbranch_execnz .LBB1937_553
.LBB1937_487:                           ;   in Loop: Header=BB1937_388 Depth=2
	s_or_b32 exec_lo, exec_lo, s42
	s_delay_alu instid0(SALU_CYCLE_1)
	s_mov_b32 s42, exec_lo
	v_cmpx_lt_u32_e64 v106, v139
	s_cbranch_execnz .LBB1937_554
.LBB1937_488:                           ;   in Loop: Header=BB1937_388 Depth=2
	s_or_b32 exec_lo, exec_lo, s42
	s_delay_alu instid0(SALU_CYCLE_1)
	s_mov_b32 s42, exec_lo
	v_cmpx_lt_u32_e64 v107, v139
	s_cbranch_execnz .LBB1937_555
.LBB1937_489:                           ;   in Loop: Header=BB1937_388 Depth=2
	s_or_b32 exec_lo, exec_lo, s42
	s_delay_alu instid0(SALU_CYCLE_1)
	s_mov_b32 s42, exec_lo
	v_cmpx_lt_u32_e64 v108, v139
	s_cbranch_execnz .LBB1937_556
.LBB1937_490:                           ;   in Loop: Header=BB1937_388 Depth=2
	s_or_b32 exec_lo, exec_lo, s42
	s_delay_alu instid0(SALU_CYCLE_1)
	s_mov_b32 s42, exec_lo
	v_cmpx_lt_u32_e64 v109, v139
	s_cbranch_execnz .LBB1937_557
.LBB1937_491:                           ;   in Loop: Header=BB1937_388 Depth=2
	s_or_b32 exec_lo, exec_lo, s42
	s_delay_alu instid0(SALU_CYCLE_1)
	s_mov_b32 s42, exec_lo
	v_cmpx_lt_u32_e64 v110, v139
	s_cbranch_execnz .LBB1937_558
.LBB1937_492:                           ;   in Loop: Header=BB1937_388 Depth=2
	s_or_b32 exec_lo, exec_lo, s42
	s_delay_alu instid0(SALU_CYCLE_1)
	s_mov_b32 s42, exec_lo
	v_cmpx_lt_u32_e64 v111, v139
	s_cbranch_execnz .LBB1937_559
.LBB1937_493:                           ;   in Loop: Header=BB1937_388 Depth=2
	s_or_b32 exec_lo, exec_lo, s42
	s_delay_alu instid0(SALU_CYCLE_1)
	s_mov_b32 s42, exec_lo
	v_cmpx_lt_u32_e64 v112, v139
	s_cbranch_execnz .LBB1937_560
.LBB1937_494:                           ;   in Loop: Header=BB1937_388 Depth=2
	s_or_b32 exec_lo, exec_lo, s42
	s_delay_alu instid0(SALU_CYCLE_1)
	s_mov_b32 s42, exec_lo
	v_cmpx_lt_u32_e64 v113, v139
	s_cbranch_execnz .LBB1937_561
.LBB1937_495:                           ;   in Loop: Header=BB1937_388 Depth=2
	s_or_b32 exec_lo, exec_lo, s42
	s_delay_alu instid0(SALU_CYCLE_1)
	s_mov_b32 s42, exec_lo
	v_cmpx_lt_u32_e64 v114, v139
	s_cbranch_execnz .LBB1937_562
.LBB1937_496:                           ;   in Loop: Header=BB1937_388 Depth=2
	s_or_b32 exec_lo, exec_lo, s42
	s_delay_alu instid0(SALU_CYCLE_1)
	s_mov_b32 s42, exec_lo
	v_cmpx_lt_u32_e64 v115, v139
	s_cbranch_execnz .LBB1937_563
.LBB1937_497:                           ;   in Loop: Header=BB1937_388 Depth=2
	s_or_b32 exec_lo, exec_lo, s42
	s_delay_alu instid0(SALU_CYCLE_1)
	s_mov_b32 s42, exec_lo
	v_cmpx_lt_u32_e64 v116, v139
	s_cbranch_execnz .LBB1937_564
.LBB1937_498:                           ;   in Loop: Header=BB1937_388 Depth=2
	s_or_b32 exec_lo, exec_lo, s42
	s_delay_alu instid0(SALU_CYCLE_1)
	s_mov_b32 s42, exec_lo
	v_cmpx_lt_u32_e64 v117, v139
	s_cbranch_execnz .LBB1937_565
.LBB1937_499:                           ;   in Loop: Header=BB1937_388 Depth=2
	s_or_b32 exec_lo, exec_lo, s42
	s_and_saveexec_b32 s42, vcc_lo
	s_cbranch_execnz .LBB1937_566
.LBB1937_500:                           ;   in Loop: Header=BB1937_388 Depth=2
	s_or_b32 exec_lo, exec_lo, s42
	s_and_saveexec_b32 s42, s15
	s_cbranch_execnz .LBB1937_567
.LBB1937_501:                           ;   in Loop: Header=BB1937_388 Depth=2
	s_or_b32 exec_lo, exec_lo, s42
	s_and_saveexec_b32 s42, s16
	s_cbranch_execnz .LBB1937_568
.LBB1937_502:                           ;   in Loop: Header=BB1937_388 Depth=2
	s_or_b32 exec_lo, exec_lo, s42
	s_and_saveexec_b32 s42, s17
	s_cbranch_execnz .LBB1937_569
.LBB1937_503:                           ;   in Loop: Header=BB1937_388 Depth=2
	s_or_b32 exec_lo, exec_lo, s42
	s_and_saveexec_b32 s42, s18
	s_cbranch_execnz .LBB1937_570
.LBB1937_504:                           ;   in Loop: Header=BB1937_388 Depth=2
	s_or_b32 exec_lo, exec_lo, s42
	s_and_saveexec_b32 s42, s19
	s_cbranch_execnz .LBB1937_571
.LBB1937_505:                           ;   in Loop: Header=BB1937_388 Depth=2
	s_or_b32 exec_lo, exec_lo, s42
	s_and_saveexec_b32 s42, s20
	s_cbranch_execnz .LBB1937_572
.LBB1937_506:                           ;   in Loop: Header=BB1937_388 Depth=2
	s_or_b32 exec_lo, exec_lo, s42
	s_and_saveexec_b32 s42, s21
	s_cbranch_execnz .LBB1937_573
.LBB1937_507:                           ;   in Loop: Header=BB1937_388 Depth=2
	s_or_b32 exec_lo, exec_lo, s42
	s_and_saveexec_b32 s42, s22
	s_cbranch_execnz .LBB1937_574
.LBB1937_508:                           ;   in Loop: Header=BB1937_388 Depth=2
	s_or_b32 exec_lo, exec_lo, s42
	s_and_saveexec_b32 s42, s23
	s_cbranch_execnz .LBB1937_575
.LBB1937_509:                           ;   in Loop: Header=BB1937_388 Depth=2
	s_or_b32 exec_lo, exec_lo, s42
	s_and_saveexec_b32 s42, s24
	s_cbranch_execnz .LBB1937_576
.LBB1937_510:                           ;   in Loop: Header=BB1937_388 Depth=2
	s_or_b32 exec_lo, exec_lo, s42
	s_and_saveexec_b32 s42, s25
	s_cbranch_execnz .LBB1937_577
.LBB1937_511:                           ;   in Loop: Header=BB1937_388 Depth=2
	s_or_b32 exec_lo, exec_lo, s42
	s_and_saveexec_b32 s42, s26
	s_cbranch_execnz .LBB1937_578
.LBB1937_512:                           ;   in Loop: Header=BB1937_388 Depth=2
	s_or_b32 exec_lo, exec_lo, s42
	s_and_saveexec_b32 s42, s27
	s_cbranch_execnz .LBB1937_579
.LBB1937_513:                           ;   in Loop: Header=BB1937_388 Depth=2
	s_or_b32 exec_lo, exec_lo, s42
	s_and_saveexec_b32 s42, s28
	s_cbranch_execnz .LBB1937_580
.LBB1937_514:                           ;   in Loop: Header=BB1937_388 Depth=2
	s_or_b32 exec_lo, exec_lo, s42
	s_and_saveexec_b32 s42, s29
	s_cbranch_execz .LBB1937_516
.LBB1937_515:                           ;   in Loop: Header=BB1937_388 Depth=2
	ds_load_u16 v60, v93 offset:8704
	s_wait_dscnt 0x0
	v_cmp_ne_u16_e64 s30, 0x8000, v60
	s_delay_alu instid0(VALU_DEP_1) | instskip(NEXT) | instid1(VALU_DEP_1)
	v_cndmask_b32_e64 v60, 0x7fff, v60, s30
	v_and_b32_e32 v60, 0xffff, v60
	s_delay_alu instid0(VALU_DEP_1) | instskip(NEXT) | instid1(VALU_DEP_1)
	v_lshrrev_b32_e32 v60, s48, v60
	v_and_b32_e32 v123, s52, v60
.LBB1937_516:                           ;   in Loop: Header=BB1937_388 Depth=2
	s_or_b32 exec_lo, exec_lo, s42
	v_dual_lshlrev_b32 v60, 3, v163 :: v_dual_lshlrev_b32 v140, 3, v150
	s_wait_loadcnt 0x0
	s_wait_storecnt 0x0
	s_barrier_signal -1
	s_barrier_wait -1
	ds_store_b64 v60, v[58:59] offset:1024
	v_dual_lshlrev_b32 v60, 3, v159 :: v_dual_lshlrev_b32 v141, 3, v149
	v_lshlrev_b32_e32 v61, 3, v155
	v_lshlrev_b32_e32 v139, 3, v151
	ds_store_b64 v60, v[56:57] offset:1024
	ds_store_b64 v61, v[54:55] offset:1024
	;; [unrolled: 1-line block ×5, first 2 shown]
	v_dual_lshlrev_b32 v60, 3, v147 :: v_dual_lshlrev_b32 v141, 3, v142
	v_dual_lshlrev_b32 v61, 3, v146 :: v_dual_lshlrev_b32 v139, 3, v145
	v_lshlrev_b32_e32 v140, 3, v143
	ds_store_b64 v60, v[46:47] offset:1024
	ds_store_b64 v61, v[44:45] offset:1024
	;; [unrolled: 1-line block ×5, first 2 shown]
	v_dual_lshlrev_b32 v60, 3, v63 :: v_dual_lshlrev_b32 v65, 3, v65
	v_dual_lshlrev_b32 v61, 3, v67 :: v_dual_lshlrev_b32 v64, 3, v64
	v_lshlrev_b32_e32 v63, 3, v66
	ds_store_b64 v60, v[36:37] offset:1024
	ds_store_b64 v61, v[34:35] offset:1024
	;; [unrolled: 1-line block ×5, first 2 shown]
	s_wait_dscnt 0x0
	s_barrier_signal -1
	s_barrier_wait -1
	s_and_saveexec_b32 s30, vcc_lo
	s_cbranch_execnz .LBB1937_581
; %bb.517:                              ;   in Loop: Header=BB1937_388 Depth=2
	s_or_b32 exec_lo, exec_lo, s30
	s_and_saveexec_b32 s30, s15
	s_cbranch_execnz .LBB1937_582
.LBB1937_518:                           ;   in Loop: Header=BB1937_388 Depth=2
	s_or_b32 exec_lo, exec_lo, s30
	s_and_saveexec_b32 s15, s16
	s_cbranch_execnz .LBB1937_583
.LBB1937_519:                           ;   in Loop: Header=BB1937_388 Depth=2
	s_or_b32 exec_lo, exec_lo, s15
	s_and_saveexec_b32 s15, s17
	s_cbranch_execnz .LBB1937_584
.LBB1937_520:                           ;   in Loop: Header=BB1937_388 Depth=2
	s_or_b32 exec_lo, exec_lo, s15
	s_and_saveexec_b32 s15, s18
	s_cbranch_execnz .LBB1937_585
.LBB1937_521:                           ;   in Loop: Header=BB1937_388 Depth=2
	s_or_b32 exec_lo, exec_lo, s15
	s_and_saveexec_b32 s15, s19
	s_cbranch_execnz .LBB1937_586
.LBB1937_522:                           ;   in Loop: Header=BB1937_388 Depth=2
	s_or_b32 exec_lo, exec_lo, s15
	s_and_saveexec_b32 s15, s20
	s_cbranch_execnz .LBB1937_587
.LBB1937_523:                           ;   in Loop: Header=BB1937_388 Depth=2
	s_or_b32 exec_lo, exec_lo, s15
	s_and_saveexec_b32 s15, s21
	s_cbranch_execnz .LBB1937_588
.LBB1937_524:                           ;   in Loop: Header=BB1937_388 Depth=2
	s_or_b32 exec_lo, exec_lo, s15
	s_and_saveexec_b32 s15, s22
	s_cbranch_execnz .LBB1937_589
.LBB1937_525:                           ;   in Loop: Header=BB1937_388 Depth=2
	s_or_b32 exec_lo, exec_lo, s15
	s_and_saveexec_b32 s15, s23
	s_cbranch_execnz .LBB1937_590
.LBB1937_526:                           ;   in Loop: Header=BB1937_388 Depth=2
	s_or_b32 exec_lo, exec_lo, s15
	s_and_saveexec_b32 s15, s24
	s_cbranch_execnz .LBB1937_591
.LBB1937_527:                           ;   in Loop: Header=BB1937_388 Depth=2
	s_or_b32 exec_lo, exec_lo, s15
	s_and_saveexec_b32 s15, s25
	s_cbranch_execnz .LBB1937_592
.LBB1937_528:                           ;   in Loop: Header=BB1937_388 Depth=2
	s_or_b32 exec_lo, exec_lo, s15
	s_and_saveexec_b32 s15, s26
	s_cbranch_execnz .LBB1937_593
.LBB1937_529:                           ;   in Loop: Header=BB1937_388 Depth=2
	s_or_b32 exec_lo, exec_lo, s15
	s_and_saveexec_b32 s15, s27
	s_cbranch_execnz .LBB1937_594
.LBB1937_530:                           ;   in Loop: Header=BB1937_388 Depth=2
	s_or_b32 exec_lo, exec_lo, s15
	s_and_saveexec_b32 s15, s28
	s_cbranch_execnz .LBB1937_595
.LBB1937_531:                           ;   in Loop: Header=BB1937_388 Depth=2
	s_or_b32 exec_lo, exec_lo, s15
	s_and_saveexec_b32 s15, s29
	s_cbranch_execz .LBB1937_533
.LBB1937_532:                           ;   in Loop: Header=BB1937_388 Depth=2
	v_dual_lshlrev_b32 v60, 2, v123 :: v_dual_add_nc_u32 v61, v93, v94
	ds_load_b32 v63, v60
	ds_load_b64 v[60:61], v61 offset:31744
	s_wait_dscnt 0x1
	v_add_nc_u32_e32 v63, v63, v82
	s_wait_dscnt 0x0
	global_store_b64 v63, v[60:61], s[46:47] scale_offset
.LBB1937_533:                           ;   in Loop: Header=BB1937_388 Depth=2
	s_wait_xcnt 0x0
	s_or_b32 exec_lo, exec_lo, s15
	s_wait_storecnt 0x0
	s_barrier_signal -1
	s_barrier_wait -1
	s_and_saveexec_b32 s15, s0
	s_cbranch_execz .LBB1937_387
; %bb.534:                              ;   in Loop: Header=BB1937_388 Depth=2
	ds_load_b32 v60, v3
	s_wait_dscnt 0x0
	v_add_nc_u32_e32 v60, v60, v62
	ds_store_b32 v3, v60
	s_branch .LBB1937_387
.LBB1937_535:                           ;   in Loop: Header=BB1937_388 Depth=2
	ds_load_u16 v60, v93 offset:1024
	s_wait_dscnt 0x0
	v_cmp_ne_u16_e64 s15, 0x8000, v60
	s_delay_alu instid0(VALU_DEP_1) | instskip(SKIP_1) | instid1(VALU_DEP_2)
	v_cndmask_b32_e64 v61, 0x7fff, v60, s15
	v_cmp_gt_i16_e64 s15, 0, v60
	v_and_b32_e32 v61, 0xffff, v61
	s_delay_alu instid0(VALU_DEP_2) | instskip(NEXT) | instid1(VALU_DEP_1)
	v_cndmask_b32_e64 v140, 0x7fff, 0, s15
	v_dual_lshrrev_b32 v61, s48, v61 :: v_dual_bitop2_b32 v60, v140, v60 bitop3:0x14
	s_delay_alu instid0(VALU_DEP_1) | instskip(NEXT) | instid1(VALU_DEP_1)
	v_and_b32_e32 v61, s52, v61
	v_lshlrev_b32_e32 v61, 2, v61
	ds_load_b32 v61, v61
	s_wait_dscnt 0x0
	v_add_nc_u32_e32 v61, v61, v2
	global_store_b16 v61, v60, s[40:41] scale_offset
	s_wait_xcnt 0x0
	s_or_b32 exec_lo, exec_lo, s16
	v_cmp_lt_u32_e64 s15, v68, v139
	s_and_saveexec_b32 s17, s15
	s_cbranch_execz .LBB1937_468
.LBB1937_536:                           ;   in Loop: Header=BB1937_388 Depth=2
	ds_load_u16 v60, v93 offset:1536
	s_wait_dscnt 0x0
	v_cmp_ne_u16_e64 s16, 0x8000, v60
	s_delay_alu instid0(VALU_DEP_1) | instskip(SKIP_1) | instid1(VALU_DEP_2)
	v_cndmask_b32_e64 v61, 0x7fff, v60, s16
	v_cmp_gt_i16_e64 s16, 0, v60
	v_and_b32_e32 v61, 0xffff, v61
	s_delay_alu instid0(VALU_DEP_2) | instskip(NEXT) | instid1(VALU_DEP_1)
	v_cndmask_b32_e64 v140, 0x7fff, 0, s16
	v_dual_lshrrev_b32 v61, s48, v61 :: v_dual_bitop2_b32 v60, v140, v60 bitop3:0x14
	s_delay_alu instid0(VALU_DEP_1) | instskip(NEXT) | instid1(VALU_DEP_1)
	v_and_b32_e32 v61, s52, v61
	v_lshlrev_b32_e32 v61, 2, v61
	ds_load_b32 v61, v61
	s_wait_dscnt 0x0
	v_add_nc_u32_e32 v61, v61, v68
	global_store_b16 v61, v60, s[40:41] scale_offset
	s_wait_xcnt 0x0
	s_or_b32 exec_lo, exec_lo, s17
	v_cmp_lt_u32_e64 s16, v69, v139
	s_and_saveexec_b32 s18, s16
	s_cbranch_execz .LBB1937_469
.LBB1937_537:                           ;   in Loop: Header=BB1937_388 Depth=2
	ds_load_u16 v60, v93 offset:2048
	s_wait_dscnt 0x0
	v_cmp_ne_u16_e64 s17, 0x8000, v60
	s_delay_alu instid0(VALU_DEP_1) | instskip(SKIP_1) | instid1(VALU_DEP_2)
	v_cndmask_b32_e64 v61, 0x7fff, v60, s17
	v_cmp_gt_i16_e64 s17, 0, v60
	v_and_b32_e32 v61, 0xffff, v61
	s_delay_alu instid0(VALU_DEP_2) | instskip(NEXT) | instid1(VALU_DEP_1)
	v_cndmask_b32_e64 v140, 0x7fff, 0, s17
	v_dual_lshrrev_b32 v61, s48, v61 :: v_dual_bitop2_b32 v60, v140, v60 bitop3:0x14
	s_delay_alu instid0(VALU_DEP_1) | instskip(NEXT) | instid1(VALU_DEP_1)
	v_and_b32_e32 v61, s52, v61
	v_lshlrev_b32_e32 v61, 2, v61
	ds_load_b32 v61, v61
	s_wait_dscnt 0x0
	v_add_nc_u32_e32 v61, v61, v69
	global_store_b16 v61, v60, s[40:41] scale_offset
	s_wait_xcnt 0x0
	s_or_b32 exec_lo, exec_lo, s18
	v_cmp_lt_u32_e64 s17, v70, v139
	s_and_saveexec_b32 s19, s17
	s_cbranch_execz .LBB1937_470
.LBB1937_538:                           ;   in Loop: Header=BB1937_388 Depth=2
	ds_load_u16 v60, v93 offset:2560
	s_wait_dscnt 0x0
	v_cmp_ne_u16_e64 s18, 0x8000, v60
	s_delay_alu instid0(VALU_DEP_1) | instskip(SKIP_1) | instid1(VALU_DEP_2)
	v_cndmask_b32_e64 v61, 0x7fff, v60, s18
	v_cmp_gt_i16_e64 s18, 0, v60
	v_and_b32_e32 v61, 0xffff, v61
	s_delay_alu instid0(VALU_DEP_2) | instskip(NEXT) | instid1(VALU_DEP_1)
	v_cndmask_b32_e64 v140, 0x7fff, 0, s18
	v_dual_lshrrev_b32 v61, s48, v61 :: v_dual_bitop2_b32 v60, v140, v60 bitop3:0x14
	s_delay_alu instid0(VALU_DEP_1) | instskip(NEXT) | instid1(VALU_DEP_1)
	v_and_b32_e32 v61, s52, v61
	v_lshlrev_b32_e32 v61, 2, v61
	ds_load_b32 v61, v61
	s_wait_dscnt 0x0
	v_add_nc_u32_e32 v61, v61, v70
	global_store_b16 v61, v60, s[40:41] scale_offset
	s_wait_xcnt 0x0
	s_or_b32 exec_lo, exec_lo, s19
	v_cmp_lt_u32_e64 s18, v71, v139
	s_and_saveexec_b32 s20, s18
	s_cbranch_execz .LBB1937_471
.LBB1937_539:                           ;   in Loop: Header=BB1937_388 Depth=2
	ds_load_u16 v60, v93 offset:3072
	s_wait_dscnt 0x0
	v_cmp_ne_u16_e64 s19, 0x8000, v60
	s_delay_alu instid0(VALU_DEP_1) | instskip(SKIP_1) | instid1(VALU_DEP_2)
	v_cndmask_b32_e64 v61, 0x7fff, v60, s19
	v_cmp_gt_i16_e64 s19, 0, v60
	v_and_b32_e32 v61, 0xffff, v61
	s_delay_alu instid0(VALU_DEP_2) | instskip(NEXT) | instid1(VALU_DEP_1)
	v_cndmask_b32_e64 v140, 0x7fff, 0, s19
	v_dual_lshrrev_b32 v61, s48, v61 :: v_dual_bitop2_b32 v60, v140, v60 bitop3:0x14
	s_delay_alu instid0(VALU_DEP_1) | instskip(NEXT) | instid1(VALU_DEP_1)
	v_and_b32_e32 v61, s52, v61
	v_lshlrev_b32_e32 v61, 2, v61
	ds_load_b32 v61, v61
	s_wait_dscnt 0x0
	v_add_nc_u32_e32 v61, v61, v71
	global_store_b16 v61, v60, s[40:41] scale_offset
	s_wait_xcnt 0x0
	s_or_b32 exec_lo, exec_lo, s20
	v_cmp_lt_u32_e64 s19, v72, v139
	s_and_saveexec_b32 s21, s19
	s_cbranch_execz .LBB1937_472
.LBB1937_540:                           ;   in Loop: Header=BB1937_388 Depth=2
	ds_load_u16 v60, v93 offset:3584
	s_wait_dscnt 0x0
	v_cmp_ne_u16_e64 s20, 0x8000, v60
	s_delay_alu instid0(VALU_DEP_1) | instskip(SKIP_1) | instid1(VALU_DEP_2)
	v_cndmask_b32_e64 v61, 0x7fff, v60, s20
	v_cmp_gt_i16_e64 s20, 0, v60
	v_and_b32_e32 v61, 0xffff, v61
	s_delay_alu instid0(VALU_DEP_2) | instskip(NEXT) | instid1(VALU_DEP_1)
	v_cndmask_b32_e64 v140, 0x7fff, 0, s20
	v_dual_lshrrev_b32 v61, s48, v61 :: v_dual_bitop2_b32 v60, v140, v60 bitop3:0x14
	s_delay_alu instid0(VALU_DEP_1) | instskip(NEXT) | instid1(VALU_DEP_1)
	v_and_b32_e32 v61, s52, v61
	v_lshlrev_b32_e32 v61, 2, v61
	ds_load_b32 v61, v61
	s_wait_dscnt 0x0
	v_add_nc_u32_e32 v61, v61, v72
	global_store_b16 v61, v60, s[40:41] scale_offset
	s_wait_xcnt 0x0
	s_or_b32 exec_lo, exec_lo, s21
	v_cmp_lt_u32_e64 s20, v73, v139
	s_and_saveexec_b32 s22, s20
	s_cbranch_execz .LBB1937_473
.LBB1937_541:                           ;   in Loop: Header=BB1937_388 Depth=2
	ds_load_u16 v60, v93 offset:4096
	s_wait_dscnt 0x0
	v_cmp_ne_u16_e64 s21, 0x8000, v60
	s_delay_alu instid0(VALU_DEP_1) | instskip(SKIP_1) | instid1(VALU_DEP_2)
	v_cndmask_b32_e64 v61, 0x7fff, v60, s21
	v_cmp_gt_i16_e64 s21, 0, v60
	v_and_b32_e32 v61, 0xffff, v61
	s_delay_alu instid0(VALU_DEP_2) | instskip(NEXT) | instid1(VALU_DEP_1)
	v_cndmask_b32_e64 v140, 0x7fff, 0, s21
	v_dual_lshrrev_b32 v61, s48, v61 :: v_dual_bitop2_b32 v60, v140, v60 bitop3:0x14
	s_delay_alu instid0(VALU_DEP_1) | instskip(NEXT) | instid1(VALU_DEP_1)
	v_and_b32_e32 v61, s52, v61
	v_lshlrev_b32_e32 v61, 2, v61
	ds_load_b32 v61, v61
	s_wait_dscnt 0x0
	v_add_nc_u32_e32 v61, v61, v73
	global_store_b16 v61, v60, s[40:41] scale_offset
	s_wait_xcnt 0x0
	s_or_b32 exec_lo, exec_lo, s22
	v_cmp_lt_u32_e64 s21, v74, v139
	s_and_saveexec_b32 s23, s21
	s_cbranch_execz .LBB1937_474
.LBB1937_542:                           ;   in Loop: Header=BB1937_388 Depth=2
	ds_load_u16 v60, v93 offset:4608
	s_wait_dscnt 0x0
	v_cmp_ne_u16_e64 s22, 0x8000, v60
	s_delay_alu instid0(VALU_DEP_1) | instskip(SKIP_1) | instid1(VALU_DEP_2)
	v_cndmask_b32_e64 v61, 0x7fff, v60, s22
	v_cmp_gt_i16_e64 s22, 0, v60
	v_and_b32_e32 v61, 0xffff, v61
	s_delay_alu instid0(VALU_DEP_2) | instskip(NEXT) | instid1(VALU_DEP_1)
	v_cndmask_b32_e64 v140, 0x7fff, 0, s22
	v_dual_lshrrev_b32 v61, s48, v61 :: v_dual_bitop2_b32 v60, v140, v60 bitop3:0x14
	s_delay_alu instid0(VALU_DEP_1) | instskip(NEXT) | instid1(VALU_DEP_1)
	v_and_b32_e32 v61, s52, v61
	v_lshlrev_b32_e32 v61, 2, v61
	ds_load_b32 v61, v61
	s_wait_dscnt 0x0
	v_add_nc_u32_e32 v61, v61, v74
	global_store_b16 v61, v60, s[40:41] scale_offset
	s_wait_xcnt 0x0
	s_or_b32 exec_lo, exec_lo, s23
	v_cmp_lt_u32_e64 s22, v75, v139
	s_and_saveexec_b32 s24, s22
	s_cbranch_execz .LBB1937_475
.LBB1937_543:                           ;   in Loop: Header=BB1937_388 Depth=2
	ds_load_u16 v60, v93 offset:5120
	s_wait_dscnt 0x0
	v_cmp_ne_u16_e64 s23, 0x8000, v60
	s_delay_alu instid0(VALU_DEP_1) | instskip(SKIP_1) | instid1(VALU_DEP_2)
	v_cndmask_b32_e64 v61, 0x7fff, v60, s23
	v_cmp_gt_i16_e64 s23, 0, v60
	v_and_b32_e32 v61, 0xffff, v61
	s_delay_alu instid0(VALU_DEP_2) | instskip(NEXT) | instid1(VALU_DEP_1)
	v_cndmask_b32_e64 v140, 0x7fff, 0, s23
	v_dual_lshrrev_b32 v61, s48, v61 :: v_dual_bitop2_b32 v60, v140, v60 bitop3:0x14
	s_delay_alu instid0(VALU_DEP_1) | instskip(NEXT) | instid1(VALU_DEP_1)
	v_and_b32_e32 v61, s52, v61
	v_lshlrev_b32_e32 v61, 2, v61
	ds_load_b32 v61, v61
	s_wait_dscnt 0x0
	v_add_nc_u32_e32 v61, v61, v75
	global_store_b16 v61, v60, s[40:41] scale_offset
	s_wait_xcnt 0x0
	s_or_b32 exec_lo, exec_lo, s24
	v_cmp_lt_u32_e64 s23, v76, v139
	s_and_saveexec_b32 s25, s23
	s_cbranch_execz .LBB1937_476
.LBB1937_544:                           ;   in Loop: Header=BB1937_388 Depth=2
	ds_load_u16 v60, v93 offset:5632
	s_wait_dscnt 0x0
	v_cmp_ne_u16_e64 s24, 0x8000, v60
	s_delay_alu instid0(VALU_DEP_1) | instskip(SKIP_1) | instid1(VALU_DEP_2)
	v_cndmask_b32_e64 v61, 0x7fff, v60, s24
	v_cmp_gt_i16_e64 s24, 0, v60
	v_and_b32_e32 v61, 0xffff, v61
	s_delay_alu instid0(VALU_DEP_2) | instskip(NEXT) | instid1(VALU_DEP_1)
	v_cndmask_b32_e64 v140, 0x7fff, 0, s24
	v_dual_lshrrev_b32 v61, s48, v61 :: v_dual_bitop2_b32 v60, v140, v60 bitop3:0x14
	s_delay_alu instid0(VALU_DEP_1) | instskip(NEXT) | instid1(VALU_DEP_1)
	v_and_b32_e32 v61, s52, v61
	v_lshlrev_b32_e32 v61, 2, v61
	ds_load_b32 v61, v61
	s_wait_dscnt 0x0
	v_add_nc_u32_e32 v61, v61, v76
	global_store_b16 v61, v60, s[40:41] scale_offset
	s_wait_xcnt 0x0
	s_or_b32 exec_lo, exec_lo, s25
	v_cmp_lt_u32_e64 s24, v77, v139
	s_and_saveexec_b32 s26, s24
	s_cbranch_execz .LBB1937_477
.LBB1937_545:                           ;   in Loop: Header=BB1937_388 Depth=2
	ds_load_u16 v60, v93 offset:6144
	s_wait_dscnt 0x0
	v_cmp_ne_u16_e64 s25, 0x8000, v60
	s_delay_alu instid0(VALU_DEP_1) | instskip(SKIP_1) | instid1(VALU_DEP_2)
	v_cndmask_b32_e64 v61, 0x7fff, v60, s25
	v_cmp_gt_i16_e64 s25, 0, v60
	v_and_b32_e32 v61, 0xffff, v61
	s_delay_alu instid0(VALU_DEP_2) | instskip(NEXT) | instid1(VALU_DEP_1)
	v_cndmask_b32_e64 v140, 0x7fff, 0, s25
	v_dual_lshrrev_b32 v61, s48, v61 :: v_dual_bitop2_b32 v60, v140, v60 bitop3:0x14
	s_delay_alu instid0(VALU_DEP_1) | instskip(NEXT) | instid1(VALU_DEP_1)
	v_and_b32_e32 v61, s52, v61
	v_lshlrev_b32_e32 v61, 2, v61
	ds_load_b32 v61, v61
	s_wait_dscnt 0x0
	v_add_nc_u32_e32 v61, v61, v77
	global_store_b16 v61, v60, s[40:41] scale_offset
	s_wait_xcnt 0x0
	s_or_b32 exec_lo, exec_lo, s26
	v_cmp_lt_u32_e64 s25, v78, v139
	s_and_saveexec_b32 s27, s25
	s_cbranch_execz .LBB1937_478
.LBB1937_546:                           ;   in Loop: Header=BB1937_388 Depth=2
	ds_load_u16 v60, v93 offset:6656
	s_wait_dscnt 0x0
	v_cmp_ne_u16_e64 s26, 0x8000, v60
	s_delay_alu instid0(VALU_DEP_1) | instskip(SKIP_1) | instid1(VALU_DEP_2)
	v_cndmask_b32_e64 v61, 0x7fff, v60, s26
	v_cmp_gt_i16_e64 s26, 0, v60
	v_and_b32_e32 v61, 0xffff, v61
	s_delay_alu instid0(VALU_DEP_2) | instskip(NEXT) | instid1(VALU_DEP_1)
	v_cndmask_b32_e64 v140, 0x7fff, 0, s26
	v_dual_lshrrev_b32 v61, s48, v61 :: v_dual_bitop2_b32 v60, v140, v60 bitop3:0x14
	s_delay_alu instid0(VALU_DEP_1) | instskip(NEXT) | instid1(VALU_DEP_1)
	v_and_b32_e32 v61, s52, v61
	v_lshlrev_b32_e32 v61, 2, v61
	ds_load_b32 v61, v61
	s_wait_dscnt 0x0
	v_add_nc_u32_e32 v61, v61, v78
	global_store_b16 v61, v60, s[40:41] scale_offset
	s_wait_xcnt 0x0
	s_or_b32 exec_lo, exec_lo, s27
	v_cmp_lt_u32_e64 s26, v79, v139
	s_and_saveexec_b32 s28, s26
	s_cbranch_execz .LBB1937_479
.LBB1937_547:                           ;   in Loop: Header=BB1937_388 Depth=2
	ds_load_u16 v60, v93 offset:7168
	s_wait_dscnt 0x0
	v_cmp_ne_u16_e64 s27, 0x8000, v60
	s_delay_alu instid0(VALU_DEP_1) | instskip(SKIP_1) | instid1(VALU_DEP_2)
	v_cndmask_b32_e64 v61, 0x7fff, v60, s27
	v_cmp_gt_i16_e64 s27, 0, v60
	v_and_b32_e32 v61, 0xffff, v61
	s_delay_alu instid0(VALU_DEP_2) | instskip(NEXT) | instid1(VALU_DEP_1)
	v_cndmask_b32_e64 v140, 0x7fff, 0, s27
	v_dual_lshrrev_b32 v61, s48, v61 :: v_dual_bitop2_b32 v60, v140, v60 bitop3:0x14
	s_delay_alu instid0(VALU_DEP_1) | instskip(NEXT) | instid1(VALU_DEP_1)
	v_and_b32_e32 v61, s52, v61
	v_lshlrev_b32_e32 v61, 2, v61
	ds_load_b32 v61, v61
	s_wait_dscnt 0x0
	v_add_nc_u32_e32 v61, v61, v79
	global_store_b16 v61, v60, s[40:41] scale_offset
	s_wait_xcnt 0x0
	s_or_b32 exec_lo, exec_lo, s28
	v_cmp_lt_u32_e64 s27, v80, v139
	s_and_saveexec_b32 s29, s27
	s_cbranch_execz .LBB1937_480
.LBB1937_548:                           ;   in Loop: Header=BB1937_388 Depth=2
	ds_load_u16 v60, v93 offset:7680
	s_wait_dscnt 0x0
	v_cmp_ne_u16_e64 s28, 0x8000, v60
	s_delay_alu instid0(VALU_DEP_1) | instskip(SKIP_1) | instid1(VALU_DEP_2)
	v_cndmask_b32_e64 v61, 0x7fff, v60, s28
	v_cmp_gt_i16_e64 s28, 0, v60
	v_and_b32_e32 v61, 0xffff, v61
	s_delay_alu instid0(VALU_DEP_2) | instskip(NEXT) | instid1(VALU_DEP_1)
	v_cndmask_b32_e64 v140, 0x7fff, 0, s28
	v_dual_lshrrev_b32 v61, s48, v61 :: v_dual_bitop2_b32 v60, v140, v60 bitop3:0x14
	s_delay_alu instid0(VALU_DEP_1) | instskip(NEXT) | instid1(VALU_DEP_1)
	v_and_b32_e32 v61, s52, v61
	v_lshlrev_b32_e32 v61, 2, v61
	ds_load_b32 v61, v61
	s_wait_dscnt 0x0
	v_add_nc_u32_e32 v61, v61, v80
	global_store_b16 v61, v60, s[40:41] scale_offset
	s_wait_xcnt 0x0
	s_or_b32 exec_lo, exec_lo, s29
	v_cmp_lt_u32_e64 s28, v81, v139
	s_and_saveexec_b32 s30, s28
	s_cbranch_execz .LBB1937_481
.LBB1937_549:                           ;   in Loop: Header=BB1937_388 Depth=2
	ds_load_u16 v60, v93 offset:8192
	s_wait_dscnt 0x0
	v_cmp_ne_u16_e64 s29, 0x8000, v60
	s_delay_alu instid0(VALU_DEP_1) | instskip(SKIP_1) | instid1(VALU_DEP_2)
	v_cndmask_b32_e64 v61, 0x7fff, v60, s29
	v_cmp_gt_i16_e64 s29, 0, v60
	v_and_b32_e32 v61, 0xffff, v61
	s_delay_alu instid0(VALU_DEP_2) | instskip(NEXT) | instid1(VALU_DEP_1)
	v_cndmask_b32_e64 v140, 0x7fff, 0, s29
	v_dual_lshrrev_b32 v61, s48, v61 :: v_dual_bitop2_b32 v60, v140, v60 bitop3:0x14
	s_delay_alu instid0(VALU_DEP_1) | instskip(NEXT) | instid1(VALU_DEP_1)
	v_and_b32_e32 v61, s52, v61
	v_lshlrev_b32_e32 v61, 2, v61
	ds_load_b32 v61, v61
	s_wait_dscnt 0x0
	v_add_nc_u32_e32 v61, v61, v81
	global_store_b16 v61, v60, s[40:41] scale_offset
	s_wait_xcnt 0x0
	s_or_b32 exec_lo, exec_lo, s30
	v_cmp_lt_u32_e64 s29, v82, v139
	s_and_saveexec_b32 s58, s29
	s_cbranch_execnz .LBB1937_482
	s_branch .LBB1937_483
.LBB1937_550:                           ;   in Loop: Header=BB1937_388 Depth=2
	global_load_b64 v[58:59], v[60:61], off
	s_wait_xcnt 0x0
	s_or_b32 exec_lo, exec_lo, s30
	s_delay_alu instid0(SALU_CYCLE_1)
	s_mov_b32 s42, exec_lo
	v_cmpx_lt_u32_e64 v103, v139
	s_cbranch_execz .LBB1937_485
.LBB1937_551:                           ;   in Loop: Header=BB1937_388 Depth=2
	global_load_b64 v[56:57], v[60:61], off offset:256
	s_wait_xcnt 0x0
	s_or_b32 exec_lo, exec_lo, s42
	s_delay_alu instid0(SALU_CYCLE_1)
	s_mov_b32 s42, exec_lo
	v_cmpx_lt_u32_e64 v104, v139
	s_cbranch_execz .LBB1937_486
.LBB1937_552:                           ;   in Loop: Header=BB1937_388 Depth=2
	global_load_b64 v[54:55], v[60:61], off offset:512
	s_wait_xcnt 0x0
	s_or_b32 exec_lo, exec_lo, s42
	s_delay_alu instid0(SALU_CYCLE_1)
	s_mov_b32 s42, exec_lo
	v_cmpx_lt_u32_e64 v105, v139
	s_cbranch_execz .LBB1937_487
.LBB1937_553:                           ;   in Loop: Header=BB1937_388 Depth=2
	global_load_b64 v[52:53], v[60:61], off offset:768
	s_wait_xcnt 0x0
	s_or_b32 exec_lo, exec_lo, s42
	s_delay_alu instid0(SALU_CYCLE_1)
	s_mov_b32 s42, exec_lo
	v_cmpx_lt_u32_e64 v106, v139
	s_cbranch_execz .LBB1937_488
.LBB1937_554:                           ;   in Loop: Header=BB1937_388 Depth=2
	global_load_b64 v[50:51], v[60:61], off offset:1024
	s_wait_xcnt 0x0
	s_or_b32 exec_lo, exec_lo, s42
	s_delay_alu instid0(SALU_CYCLE_1)
	s_mov_b32 s42, exec_lo
	v_cmpx_lt_u32_e64 v107, v139
	s_cbranch_execz .LBB1937_489
.LBB1937_555:                           ;   in Loop: Header=BB1937_388 Depth=2
	global_load_b64 v[48:49], v[60:61], off offset:1280
	s_wait_xcnt 0x0
	s_or_b32 exec_lo, exec_lo, s42
	s_delay_alu instid0(SALU_CYCLE_1)
	s_mov_b32 s42, exec_lo
	v_cmpx_lt_u32_e64 v108, v139
	s_cbranch_execz .LBB1937_490
.LBB1937_556:                           ;   in Loop: Header=BB1937_388 Depth=2
	global_load_b64 v[46:47], v[60:61], off offset:1536
	s_wait_xcnt 0x0
	s_or_b32 exec_lo, exec_lo, s42
	s_delay_alu instid0(SALU_CYCLE_1)
	s_mov_b32 s42, exec_lo
	v_cmpx_lt_u32_e64 v109, v139
	s_cbranch_execz .LBB1937_491
.LBB1937_557:                           ;   in Loop: Header=BB1937_388 Depth=2
	global_load_b64 v[44:45], v[60:61], off offset:1792
	s_wait_xcnt 0x0
	s_or_b32 exec_lo, exec_lo, s42
	s_delay_alu instid0(SALU_CYCLE_1)
	s_mov_b32 s42, exec_lo
	v_cmpx_lt_u32_e64 v110, v139
	s_cbranch_execz .LBB1937_492
.LBB1937_558:                           ;   in Loop: Header=BB1937_388 Depth=2
	global_load_b64 v[42:43], v[60:61], off offset:2048
	s_wait_xcnt 0x0
	s_or_b32 exec_lo, exec_lo, s42
	s_delay_alu instid0(SALU_CYCLE_1)
	s_mov_b32 s42, exec_lo
	v_cmpx_lt_u32_e64 v111, v139
	s_cbranch_execz .LBB1937_493
.LBB1937_559:                           ;   in Loop: Header=BB1937_388 Depth=2
	global_load_b64 v[40:41], v[60:61], off offset:2304
	s_wait_xcnt 0x0
	s_or_b32 exec_lo, exec_lo, s42
	s_delay_alu instid0(SALU_CYCLE_1)
	s_mov_b32 s42, exec_lo
	v_cmpx_lt_u32_e64 v112, v139
	s_cbranch_execz .LBB1937_494
.LBB1937_560:                           ;   in Loop: Header=BB1937_388 Depth=2
	global_load_b64 v[38:39], v[60:61], off offset:2560
	s_wait_xcnt 0x0
	s_or_b32 exec_lo, exec_lo, s42
	s_delay_alu instid0(SALU_CYCLE_1)
	s_mov_b32 s42, exec_lo
	v_cmpx_lt_u32_e64 v113, v139
	s_cbranch_execz .LBB1937_495
.LBB1937_561:                           ;   in Loop: Header=BB1937_388 Depth=2
	global_load_b64 v[36:37], v[60:61], off offset:2816
	s_wait_xcnt 0x0
	s_or_b32 exec_lo, exec_lo, s42
	s_delay_alu instid0(SALU_CYCLE_1)
	s_mov_b32 s42, exec_lo
	v_cmpx_lt_u32_e64 v114, v139
	s_cbranch_execz .LBB1937_496
.LBB1937_562:                           ;   in Loop: Header=BB1937_388 Depth=2
	global_load_b64 v[34:35], v[60:61], off offset:3072
	s_wait_xcnt 0x0
	s_or_b32 exec_lo, exec_lo, s42
	s_delay_alu instid0(SALU_CYCLE_1)
	s_mov_b32 s42, exec_lo
	v_cmpx_lt_u32_e64 v115, v139
	s_cbranch_execz .LBB1937_497
.LBB1937_563:                           ;   in Loop: Header=BB1937_388 Depth=2
	global_load_b64 v[32:33], v[60:61], off offset:3328
	s_wait_xcnt 0x0
	s_or_b32 exec_lo, exec_lo, s42
	s_delay_alu instid0(SALU_CYCLE_1)
	s_mov_b32 s42, exec_lo
	v_cmpx_lt_u32_e64 v116, v139
	s_cbranch_execz .LBB1937_498
.LBB1937_564:                           ;   in Loop: Header=BB1937_388 Depth=2
	global_load_b64 v[30:31], v[60:61], off offset:3584
	s_wait_xcnt 0x0
	s_or_b32 exec_lo, exec_lo, s42
	s_delay_alu instid0(SALU_CYCLE_1)
	s_mov_b32 s42, exec_lo
	v_cmpx_lt_u32_e64 v117, v139
	s_cbranch_execz .LBB1937_499
.LBB1937_565:                           ;   in Loop: Header=BB1937_388 Depth=2
	global_load_b64 v[28:29], v[60:61], off offset:3840
	s_wait_xcnt 0x0
	s_or_b32 exec_lo, exec_lo, s42
	s_and_saveexec_b32 s42, vcc_lo
	s_cbranch_execz .LBB1937_500
.LBB1937_566:                           ;   in Loop: Header=BB1937_388 Depth=2
	ds_load_u16 v60, v93 offset:1024
	s_wait_dscnt 0x0
	v_cmp_ne_u16_e64 s30, 0x8000, v60
	s_delay_alu instid0(VALU_DEP_1) | instskip(NEXT) | instid1(VALU_DEP_1)
	v_cndmask_b32_e64 v60, 0x7fff, v60, s30
	v_and_b32_e32 v60, 0xffff, v60
	s_delay_alu instid0(VALU_DEP_1) | instskip(NEXT) | instid1(VALU_DEP_1)
	v_lshrrev_b32_e32 v60, s48, v60
	v_and_b32_e32 v138, s52, v60
	s_or_b32 exec_lo, exec_lo, s42
	s_and_saveexec_b32 s42, s15
	s_cbranch_execz .LBB1937_501
.LBB1937_567:                           ;   in Loop: Header=BB1937_388 Depth=2
	ds_load_u16 v60, v93 offset:1536
	s_wait_dscnt 0x0
	v_cmp_ne_u16_e64 s30, 0x8000, v60
	s_delay_alu instid0(VALU_DEP_1) | instskip(NEXT) | instid1(VALU_DEP_1)
	v_cndmask_b32_e64 v60, 0x7fff, v60, s30
	v_and_b32_e32 v60, 0xffff, v60
	s_delay_alu instid0(VALU_DEP_1) | instskip(NEXT) | instid1(VALU_DEP_1)
	v_lshrrev_b32_e32 v60, s48, v60
	v_and_b32_e32 v137, s52, v60
	s_or_b32 exec_lo, exec_lo, s42
	s_and_saveexec_b32 s42, s16
	s_cbranch_execz .LBB1937_502
.LBB1937_568:                           ;   in Loop: Header=BB1937_388 Depth=2
	ds_load_u16 v60, v93 offset:2048
	s_wait_dscnt 0x0
	v_cmp_ne_u16_e64 s30, 0x8000, v60
	s_delay_alu instid0(VALU_DEP_1) | instskip(NEXT) | instid1(VALU_DEP_1)
	v_cndmask_b32_e64 v60, 0x7fff, v60, s30
	v_and_b32_e32 v60, 0xffff, v60
	s_delay_alu instid0(VALU_DEP_1) | instskip(NEXT) | instid1(VALU_DEP_1)
	v_lshrrev_b32_e32 v60, s48, v60
	v_and_b32_e32 v136, s52, v60
	s_or_b32 exec_lo, exec_lo, s42
	s_and_saveexec_b32 s42, s17
	s_cbranch_execz .LBB1937_503
.LBB1937_569:                           ;   in Loop: Header=BB1937_388 Depth=2
	ds_load_u16 v60, v93 offset:2560
	s_wait_dscnt 0x0
	v_cmp_ne_u16_e64 s30, 0x8000, v60
	s_delay_alu instid0(VALU_DEP_1) | instskip(NEXT) | instid1(VALU_DEP_1)
	v_cndmask_b32_e64 v60, 0x7fff, v60, s30
	v_and_b32_e32 v60, 0xffff, v60
	s_delay_alu instid0(VALU_DEP_1) | instskip(NEXT) | instid1(VALU_DEP_1)
	v_lshrrev_b32_e32 v60, s48, v60
	v_and_b32_e32 v135, s52, v60
	s_or_b32 exec_lo, exec_lo, s42
	s_and_saveexec_b32 s42, s18
	s_cbranch_execz .LBB1937_504
.LBB1937_570:                           ;   in Loop: Header=BB1937_388 Depth=2
	ds_load_u16 v60, v93 offset:3072
	s_wait_dscnt 0x0
	v_cmp_ne_u16_e64 s30, 0x8000, v60
	s_delay_alu instid0(VALU_DEP_1) | instskip(NEXT) | instid1(VALU_DEP_1)
	v_cndmask_b32_e64 v60, 0x7fff, v60, s30
	v_and_b32_e32 v60, 0xffff, v60
	s_delay_alu instid0(VALU_DEP_1) | instskip(NEXT) | instid1(VALU_DEP_1)
	v_lshrrev_b32_e32 v60, s48, v60
	v_and_b32_e32 v134, s52, v60
	s_or_b32 exec_lo, exec_lo, s42
	s_and_saveexec_b32 s42, s19
	s_cbranch_execz .LBB1937_505
.LBB1937_571:                           ;   in Loop: Header=BB1937_388 Depth=2
	ds_load_u16 v60, v93 offset:3584
	s_wait_dscnt 0x0
	v_cmp_ne_u16_e64 s30, 0x8000, v60
	s_delay_alu instid0(VALU_DEP_1) | instskip(NEXT) | instid1(VALU_DEP_1)
	v_cndmask_b32_e64 v60, 0x7fff, v60, s30
	v_and_b32_e32 v60, 0xffff, v60
	s_delay_alu instid0(VALU_DEP_1) | instskip(NEXT) | instid1(VALU_DEP_1)
	v_lshrrev_b32_e32 v60, s48, v60
	v_and_b32_e32 v133, s52, v60
	s_or_b32 exec_lo, exec_lo, s42
	s_and_saveexec_b32 s42, s20
	s_cbranch_execz .LBB1937_506
.LBB1937_572:                           ;   in Loop: Header=BB1937_388 Depth=2
	ds_load_u16 v60, v93 offset:4096
	s_wait_dscnt 0x0
	v_cmp_ne_u16_e64 s30, 0x8000, v60
	s_delay_alu instid0(VALU_DEP_1) | instskip(NEXT) | instid1(VALU_DEP_1)
	v_cndmask_b32_e64 v60, 0x7fff, v60, s30
	v_and_b32_e32 v60, 0xffff, v60
	s_delay_alu instid0(VALU_DEP_1) | instskip(NEXT) | instid1(VALU_DEP_1)
	v_lshrrev_b32_e32 v60, s48, v60
	v_and_b32_e32 v132, s52, v60
	s_or_b32 exec_lo, exec_lo, s42
	s_and_saveexec_b32 s42, s21
	s_cbranch_execz .LBB1937_507
.LBB1937_573:                           ;   in Loop: Header=BB1937_388 Depth=2
	ds_load_u16 v60, v93 offset:4608
	s_wait_dscnt 0x0
	v_cmp_ne_u16_e64 s30, 0x8000, v60
	s_delay_alu instid0(VALU_DEP_1) | instskip(NEXT) | instid1(VALU_DEP_1)
	v_cndmask_b32_e64 v60, 0x7fff, v60, s30
	v_and_b32_e32 v60, 0xffff, v60
	s_delay_alu instid0(VALU_DEP_1) | instskip(NEXT) | instid1(VALU_DEP_1)
	v_lshrrev_b32_e32 v60, s48, v60
	v_and_b32_e32 v131, s52, v60
	s_or_b32 exec_lo, exec_lo, s42
	s_and_saveexec_b32 s42, s22
	s_cbranch_execz .LBB1937_508
.LBB1937_574:                           ;   in Loop: Header=BB1937_388 Depth=2
	ds_load_u16 v60, v93 offset:5120
	s_wait_dscnt 0x0
	v_cmp_ne_u16_e64 s30, 0x8000, v60
	s_delay_alu instid0(VALU_DEP_1) | instskip(NEXT) | instid1(VALU_DEP_1)
	v_cndmask_b32_e64 v60, 0x7fff, v60, s30
	v_and_b32_e32 v60, 0xffff, v60
	s_delay_alu instid0(VALU_DEP_1) | instskip(NEXT) | instid1(VALU_DEP_1)
	v_lshrrev_b32_e32 v60, s48, v60
	v_and_b32_e32 v130, s52, v60
	s_or_b32 exec_lo, exec_lo, s42
	s_and_saveexec_b32 s42, s23
	s_cbranch_execz .LBB1937_509
.LBB1937_575:                           ;   in Loop: Header=BB1937_388 Depth=2
	ds_load_u16 v60, v93 offset:5632
	s_wait_dscnt 0x0
	v_cmp_ne_u16_e64 s30, 0x8000, v60
	s_delay_alu instid0(VALU_DEP_1) | instskip(NEXT) | instid1(VALU_DEP_1)
	v_cndmask_b32_e64 v60, 0x7fff, v60, s30
	v_and_b32_e32 v60, 0xffff, v60
	s_delay_alu instid0(VALU_DEP_1) | instskip(NEXT) | instid1(VALU_DEP_1)
	v_lshrrev_b32_e32 v60, s48, v60
	v_and_b32_e32 v129, s52, v60
	s_or_b32 exec_lo, exec_lo, s42
	s_and_saveexec_b32 s42, s24
	s_cbranch_execz .LBB1937_510
.LBB1937_576:                           ;   in Loop: Header=BB1937_388 Depth=2
	ds_load_u16 v60, v93 offset:6144
	s_wait_dscnt 0x0
	v_cmp_ne_u16_e64 s30, 0x8000, v60
	s_delay_alu instid0(VALU_DEP_1) | instskip(NEXT) | instid1(VALU_DEP_1)
	v_cndmask_b32_e64 v60, 0x7fff, v60, s30
	v_and_b32_e32 v60, 0xffff, v60
	s_delay_alu instid0(VALU_DEP_1) | instskip(NEXT) | instid1(VALU_DEP_1)
	v_lshrrev_b32_e32 v60, s48, v60
	v_and_b32_e32 v128, s52, v60
	s_or_b32 exec_lo, exec_lo, s42
	s_and_saveexec_b32 s42, s25
	s_cbranch_execz .LBB1937_511
.LBB1937_577:                           ;   in Loop: Header=BB1937_388 Depth=2
	ds_load_u16 v60, v93 offset:6656
	s_wait_dscnt 0x0
	v_cmp_ne_u16_e64 s30, 0x8000, v60
	s_delay_alu instid0(VALU_DEP_1) | instskip(NEXT) | instid1(VALU_DEP_1)
	v_cndmask_b32_e64 v60, 0x7fff, v60, s30
	v_and_b32_e32 v60, 0xffff, v60
	s_delay_alu instid0(VALU_DEP_1) | instskip(NEXT) | instid1(VALU_DEP_1)
	v_lshrrev_b32_e32 v60, s48, v60
	v_and_b32_e32 v127, s52, v60
	s_or_b32 exec_lo, exec_lo, s42
	s_and_saveexec_b32 s42, s26
	s_cbranch_execz .LBB1937_512
.LBB1937_578:                           ;   in Loop: Header=BB1937_388 Depth=2
	ds_load_u16 v60, v93 offset:7168
	s_wait_dscnt 0x0
	v_cmp_ne_u16_e64 s30, 0x8000, v60
	s_delay_alu instid0(VALU_DEP_1) | instskip(NEXT) | instid1(VALU_DEP_1)
	v_cndmask_b32_e64 v60, 0x7fff, v60, s30
	v_and_b32_e32 v60, 0xffff, v60
	s_delay_alu instid0(VALU_DEP_1) | instskip(NEXT) | instid1(VALU_DEP_1)
	v_lshrrev_b32_e32 v60, s48, v60
	v_and_b32_e32 v126, s52, v60
	s_or_b32 exec_lo, exec_lo, s42
	s_and_saveexec_b32 s42, s27
	s_cbranch_execz .LBB1937_513
.LBB1937_579:                           ;   in Loop: Header=BB1937_388 Depth=2
	ds_load_u16 v60, v93 offset:7680
	s_wait_dscnt 0x0
	v_cmp_ne_u16_e64 s30, 0x8000, v60
	s_delay_alu instid0(VALU_DEP_1) | instskip(NEXT) | instid1(VALU_DEP_1)
	v_cndmask_b32_e64 v60, 0x7fff, v60, s30
	v_and_b32_e32 v60, 0xffff, v60
	s_delay_alu instid0(VALU_DEP_1) | instskip(NEXT) | instid1(VALU_DEP_1)
	v_lshrrev_b32_e32 v60, s48, v60
	v_and_b32_e32 v125, s52, v60
	s_or_b32 exec_lo, exec_lo, s42
	s_and_saveexec_b32 s42, s28
	s_cbranch_execz .LBB1937_514
.LBB1937_580:                           ;   in Loop: Header=BB1937_388 Depth=2
	ds_load_u16 v60, v93 offset:8192
	s_wait_dscnt 0x0
	v_cmp_ne_u16_e64 s30, 0x8000, v60
	s_delay_alu instid0(VALU_DEP_1) | instskip(NEXT) | instid1(VALU_DEP_1)
	v_cndmask_b32_e64 v60, 0x7fff, v60, s30
	v_and_b32_e32 v60, 0xffff, v60
	s_delay_alu instid0(VALU_DEP_1) | instskip(NEXT) | instid1(VALU_DEP_1)
	v_lshrrev_b32_e32 v60, s48, v60
	v_and_b32_e32 v124, s52, v60
	s_or_b32 exec_lo, exec_lo, s42
	s_and_saveexec_b32 s42, s29
	s_cbranch_execnz .LBB1937_515
	s_branch .LBB1937_516
.LBB1937_581:                           ;   in Loop: Header=BB1937_388 Depth=2
	v_lshlrev_b32_e32 v60, 2, v138
	v_add_nc_u32_e32 v61, v93, v94
	ds_load_b32 v63, v60
	ds_load_b64 v[60:61], v61 offset:1024
	s_wait_dscnt 0x1
	v_add_nc_u32_e32 v63, v63, v2
	s_wait_dscnt 0x0
	global_store_b64 v63, v[60:61], s[46:47] scale_offset
	s_wait_xcnt 0x0
	s_or_b32 exec_lo, exec_lo, s30
	s_and_saveexec_b32 s30, s15
	s_cbranch_execz .LBB1937_518
.LBB1937_582:                           ;   in Loop: Header=BB1937_388 Depth=2
	v_dual_lshlrev_b32 v60, 2, v137 :: v_dual_add_nc_u32 v61, v93, v94
	ds_load_b32 v63, v60
	ds_load_b64 v[60:61], v61 offset:3072
	s_wait_dscnt 0x1
	v_add_nc_u32_e32 v63, v63, v68
	s_wait_dscnt 0x0
	global_store_b64 v63, v[60:61], s[46:47] scale_offset
	s_wait_xcnt 0x0
	s_or_b32 exec_lo, exec_lo, s30
	s_and_saveexec_b32 s15, s16
	s_cbranch_execz .LBB1937_519
.LBB1937_583:                           ;   in Loop: Header=BB1937_388 Depth=2
	v_dual_lshlrev_b32 v60, 2, v136 :: v_dual_add_nc_u32 v61, v93, v94
	ds_load_b32 v63, v60
	ds_load_b64 v[60:61], v61 offset:5120
	s_wait_dscnt 0x1
	v_add_nc_u32_e32 v63, v63, v69
	s_wait_dscnt 0x0
	global_store_b64 v63, v[60:61], s[46:47] scale_offset
	s_wait_xcnt 0x0
	s_or_b32 exec_lo, exec_lo, s15
	s_and_saveexec_b32 s15, s17
	s_cbranch_execz .LBB1937_520
.LBB1937_584:                           ;   in Loop: Header=BB1937_388 Depth=2
	v_dual_lshlrev_b32 v60, 2, v135 :: v_dual_add_nc_u32 v61, v93, v94
	ds_load_b32 v63, v60
	ds_load_b64 v[60:61], v61 offset:7168
	s_wait_dscnt 0x1
	v_add_nc_u32_e32 v63, v63, v70
	s_wait_dscnt 0x0
	global_store_b64 v63, v[60:61], s[46:47] scale_offset
	s_wait_xcnt 0x0
	s_or_b32 exec_lo, exec_lo, s15
	s_and_saveexec_b32 s15, s18
	s_cbranch_execz .LBB1937_521
.LBB1937_585:                           ;   in Loop: Header=BB1937_388 Depth=2
	v_lshlrev_b32_e32 v60, 2, v134
	v_add_nc_u32_e32 v61, v93, v94
	ds_load_b32 v63, v60
	ds_load_b64 v[60:61], v61 offset:9216
	s_wait_dscnt 0x1
	v_add_nc_u32_e32 v63, v63, v71
	s_wait_dscnt 0x0
	global_store_b64 v63, v[60:61], s[46:47] scale_offset
	s_wait_xcnt 0x0
	s_or_b32 exec_lo, exec_lo, s15
	s_and_saveexec_b32 s15, s19
	s_cbranch_execz .LBB1937_522
.LBB1937_586:                           ;   in Loop: Header=BB1937_388 Depth=2
	v_dual_lshlrev_b32 v60, 2, v133 :: v_dual_add_nc_u32 v61, v93, v94
	ds_load_b32 v63, v60
	ds_load_b64 v[60:61], v61 offset:11264
	s_wait_dscnt 0x1
	v_add_nc_u32_e32 v63, v63, v72
	s_wait_dscnt 0x0
	global_store_b64 v63, v[60:61], s[46:47] scale_offset
	s_wait_xcnt 0x0
	s_or_b32 exec_lo, exec_lo, s15
	s_and_saveexec_b32 s15, s20
	s_cbranch_execz .LBB1937_523
.LBB1937_587:                           ;   in Loop: Header=BB1937_388 Depth=2
	v_dual_lshlrev_b32 v60, 2, v132 :: v_dual_add_nc_u32 v61, v93, v94
	ds_load_b32 v63, v60
	ds_load_b64 v[60:61], v61 offset:13312
	s_wait_dscnt 0x1
	v_add_nc_u32_e32 v63, v63, v73
	s_wait_dscnt 0x0
	global_store_b64 v63, v[60:61], s[46:47] scale_offset
	s_wait_xcnt 0x0
	s_or_b32 exec_lo, exec_lo, s15
	s_and_saveexec_b32 s15, s21
	s_cbranch_execz .LBB1937_524
.LBB1937_588:                           ;   in Loop: Header=BB1937_388 Depth=2
	v_dual_lshlrev_b32 v60, 2, v131 :: v_dual_add_nc_u32 v61, v93, v94
	ds_load_b32 v63, v60
	ds_load_b64 v[60:61], v61 offset:15360
	s_wait_dscnt 0x1
	v_add_nc_u32_e32 v63, v63, v74
	s_wait_dscnt 0x0
	global_store_b64 v63, v[60:61], s[46:47] scale_offset
	s_wait_xcnt 0x0
	s_or_b32 exec_lo, exec_lo, s15
	s_and_saveexec_b32 s15, s22
	s_cbranch_execz .LBB1937_525
.LBB1937_589:                           ;   in Loop: Header=BB1937_388 Depth=2
	v_lshlrev_b32_e32 v60, 2, v130
	v_add_nc_u32_e32 v61, v93, v94
	ds_load_b32 v63, v60
	ds_load_b64 v[60:61], v61 offset:17408
	s_wait_dscnt 0x1
	v_add_nc_u32_e32 v63, v63, v75
	s_wait_dscnt 0x0
	global_store_b64 v63, v[60:61], s[46:47] scale_offset
	s_wait_xcnt 0x0
	s_or_b32 exec_lo, exec_lo, s15
	s_and_saveexec_b32 s15, s23
	s_cbranch_execz .LBB1937_526
.LBB1937_590:                           ;   in Loop: Header=BB1937_388 Depth=2
	v_dual_lshlrev_b32 v60, 2, v129 :: v_dual_add_nc_u32 v61, v93, v94
	ds_load_b32 v63, v60
	ds_load_b64 v[60:61], v61 offset:19456
	s_wait_dscnt 0x1
	v_add_nc_u32_e32 v63, v63, v76
	s_wait_dscnt 0x0
	global_store_b64 v63, v[60:61], s[46:47] scale_offset
	s_wait_xcnt 0x0
	s_or_b32 exec_lo, exec_lo, s15
	s_and_saveexec_b32 s15, s24
	s_cbranch_execz .LBB1937_527
.LBB1937_591:                           ;   in Loop: Header=BB1937_388 Depth=2
	v_dual_lshlrev_b32 v60, 2, v128 :: v_dual_add_nc_u32 v61, v93, v94
	ds_load_b32 v63, v60
	ds_load_b64 v[60:61], v61 offset:21504
	s_wait_dscnt 0x1
	v_add_nc_u32_e32 v63, v63, v77
	s_wait_dscnt 0x0
	global_store_b64 v63, v[60:61], s[46:47] scale_offset
	s_wait_xcnt 0x0
	s_or_b32 exec_lo, exec_lo, s15
	s_and_saveexec_b32 s15, s25
	s_cbranch_execz .LBB1937_528
.LBB1937_592:                           ;   in Loop: Header=BB1937_388 Depth=2
	v_dual_lshlrev_b32 v60, 2, v127 :: v_dual_add_nc_u32 v61, v93, v94
	ds_load_b32 v63, v60
	ds_load_b64 v[60:61], v61 offset:23552
	s_wait_dscnt 0x1
	v_add_nc_u32_e32 v63, v63, v78
	s_wait_dscnt 0x0
	global_store_b64 v63, v[60:61], s[46:47] scale_offset
	s_wait_xcnt 0x0
	s_or_b32 exec_lo, exec_lo, s15
	s_and_saveexec_b32 s15, s26
	s_cbranch_execz .LBB1937_529
.LBB1937_593:                           ;   in Loop: Header=BB1937_388 Depth=2
	v_lshlrev_b32_e32 v60, 2, v126
	v_add_nc_u32_e32 v61, v93, v94
	ds_load_b32 v63, v60
	ds_load_b64 v[60:61], v61 offset:25600
	s_wait_dscnt 0x1
	v_add_nc_u32_e32 v63, v63, v79
	s_wait_dscnt 0x0
	global_store_b64 v63, v[60:61], s[46:47] scale_offset
	s_wait_xcnt 0x0
	s_or_b32 exec_lo, exec_lo, s15
	s_and_saveexec_b32 s15, s27
	s_cbranch_execz .LBB1937_530
.LBB1937_594:                           ;   in Loop: Header=BB1937_388 Depth=2
	v_dual_lshlrev_b32 v60, 2, v125 :: v_dual_add_nc_u32 v61, v93, v94
	ds_load_b32 v63, v60
	ds_load_b64 v[60:61], v61 offset:27648
	s_wait_dscnt 0x1
	v_add_nc_u32_e32 v63, v63, v80
	s_wait_dscnt 0x0
	global_store_b64 v63, v[60:61], s[46:47] scale_offset
	s_wait_xcnt 0x0
	s_or_b32 exec_lo, exec_lo, s15
	s_and_saveexec_b32 s15, s28
	s_cbranch_execz .LBB1937_531
.LBB1937_595:                           ;   in Loop: Header=BB1937_388 Depth=2
	v_dual_lshlrev_b32 v60, 2, v124 :: v_dual_add_nc_u32 v61, v93, v94
	ds_load_b32 v63, v60
	ds_load_b64 v[60:61], v61 offset:29696
	s_wait_dscnt 0x1
	v_add_nc_u32_e32 v63, v63, v81
	s_wait_dscnt 0x0
	global_store_b64 v63, v[60:61], s[46:47] scale_offset
	s_wait_xcnt 0x0
	s_or_b32 exec_lo, exec_lo, s15
	s_and_saveexec_b32 s15, s29
	s_cbranch_execnz .LBB1937_532
	s_branch .LBB1937_533
.LBB1937_596:                           ;   in Loop: Header=BB1937_12 Depth=1
	s_wait_dscnt 0x0
	s_barrier_signal -1
	s_barrier_wait -1
.LBB1937_597:                           ;   in Loop: Header=BB1937_12 Depth=1
	s_mov_b32 s7, 0
.LBB1937_598:                           ;   in Loop: Header=BB1937_12 Depth=1
	s_delay_alu instid0(SALU_CYCLE_1)
	s_and_not1_b32 vcc_lo, exec_lo, s7
	s_cbranch_vccnz .LBB1937_11
; %bb.599:                              ;   in Loop: Header=BB1937_12 Depth=1
	s_and_b32 vcc_lo, exec_lo, s55
	s_mov_b32 s7, -1
	s_cbranch_vccz .LBB1937_891
; %bb.600:                              ;   in Loop: Header=BB1937_12 Depth=1
	s_mov_b32 s7, s56
	s_mov_b32 s42, s54
	s_barrier_signal -1
	s_barrier_wait -1
                                        ; implicit-def: $vgpr23
                                        ; implicit-def: $vgpr24
                                        ; implicit-def: $vgpr25
                                        ; implicit-def: $vgpr26
                                        ; implicit-def: $vgpr27
                                        ; implicit-def: $vgpr28
                                        ; implicit-def: $vgpr29
                                        ; implicit-def: $vgpr30
                                        ; implicit-def: $vgpr31
                                        ; implicit-def: $vgpr32
                                        ; implicit-def: $vgpr33
                                        ; implicit-def: $vgpr34
                                        ; implicit-def: $vgpr35
                                        ; implicit-def: $vgpr36
                                        ; implicit-def: $vgpr37
                                        ; implicit-def: $vgpr38
	s_branch .LBB1937_602
.LBB1937_601:                           ;   in Loop: Header=BB1937_602 Depth=2
	s_or_b32 exec_lo, exec_lo, s8
	s_addk_co_i32 s7, 0xf000
	s_cmp_ge_u32 s10, s51
	s_mov_b32 s42, s10
	s_cbranch_scc1 .LBB1937_670
.LBB1937_602:                           ;   Parent Loop BB1937_12 Depth=1
                                        ; =>  This Inner Loop Header: Depth=2
	s_add_co_i32 s10, s42, 0x1000
	s_mov_b32 s8, -1
	s_cmp_gt_u32 s10, s51
                                        ; implicit-def: $vgpr39
                                        ; implicit-def: $vgpr40
                                        ; implicit-def: $vgpr41
                                        ; implicit-def: $vgpr42
                                        ; implicit-def: $vgpr43
                                        ; implicit-def: $vgpr44
                                        ; implicit-def: $vgpr45
                                        ; implicit-def: $vgpr46
                                        ; implicit-def: $vgpr47
                                        ; implicit-def: $vgpr48
                                        ; implicit-def: $vgpr49
                                        ; implicit-def: $vgpr50
                                        ; implicit-def: $vgpr51
                                        ; implicit-def: $vgpr52
                                        ; implicit-def: $vgpr53
                                        ; implicit-def: $vgpr54
	s_cbranch_scc1 .LBB1937_604
; %bb.603:                              ;   in Loop: Header=BB1937_602 Depth=2
	v_lshl_add_u64 v[54:55], s[42:43], 1, v[16:17]
	s_mov_b32 s8, 0
	s_clause 0xf
	global_load_u16 v39, v[54:55], off
	global_load_u16 v40, v[54:55], off offset:512
	global_load_u16 v41, v[54:55], off offset:1024
	global_load_u16 v42, v[54:55], off offset:1536
	global_load_u16 v43, v[54:55], off offset:2048
	global_load_u16 v44, v[54:55], off offset:2560
	global_load_u16 v45, v[54:55], off offset:3072
	global_load_u16 v46, v[54:55], off offset:3584
	global_load_u16 v47, v[54:55], off offset:4096
	global_load_u16 v48, v[54:55], off offset:4608
	global_load_u16 v49, v[54:55], off offset:5120
	global_load_u16 v50, v[54:55], off offset:5632
	global_load_u16 v51, v[54:55], off offset:6144
	global_load_u16 v52, v[54:55], off offset:6656
	global_load_u16 v53, v[54:55], off offset:7168
	global_load_u16 v54, v[54:55], off offset:7680
.LBB1937_604:                           ;   in Loop: Header=BB1937_602 Depth=2
	s_and_not1_b32 vcc_lo, exec_lo, s8
	s_movk_i32 s8, 0x1000
	s_cbranch_vccnz .LBB1937_623
; %bb.605:                              ;   in Loop: Header=BB1937_602 Depth=2
	s_lshl_b64 s[8:9], s[42:43], 1
	s_mov_b32 s11, exec_lo
	s_add_nc_u64 s[8:9], s[36:37], s[8:9]
	s_wait_xcnt 0x0
	v_cmpx_gt_u32_e64 s7, v2
	s_cbranch_execnz .LBB1937_655
; %bb.606:                              ;   in Loop: Header=BB1937_602 Depth=2
	s_or_b32 exec_lo, exec_lo, s11
	s_delay_alu instid0(SALU_CYCLE_1)
	s_mov_b32 s11, exec_lo
	v_cmpx_gt_u32_e64 s7, v68
	s_cbranch_execnz .LBB1937_656
.LBB1937_607:                           ;   in Loop: Header=BB1937_602 Depth=2
	s_or_b32 exec_lo, exec_lo, s11
	s_delay_alu instid0(SALU_CYCLE_1)
	s_mov_b32 s11, exec_lo
	v_cmpx_gt_u32_e64 s7, v69
	s_cbranch_execnz .LBB1937_657
.LBB1937_608:                           ;   in Loop: Header=BB1937_602 Depth=2
	s_or_b32 exec_lo, exec_lo, s11
	s_delay_alu instid0(SALU_CYCLE_1)
	s_mov_b32 s11, exec_lo
	v_cmpx_gt_u32_e64 s7, v70
	s_cbranch_execnz .LBB1937_658
.LBB1937_609:                           ;   in Loop: Header=BB1937_602 Depth=2
	s_or_b32 exec_lo, exec_lo, s11
	s_delay_alu instid0(SALU_CYCLE_1)
	s_mov_b32 s11, exec_lo
	v_cmpx_gt_u32_e64 s7, v71
	s_cbranch_execnz .LBB1937_659
.LBB1937_610:                           ;   in Loop: Header=BB1937_602 Depth=2
	s_or_b32 exec_lo, exec_lo, s11
	s_delay_alu instid0(SALU_CYCLE_1)
	s_mov_b32 s11, exec_lo
	v_cmpx_gt_u32_e64 s7, v72
	s_cbranch_execnz .LBB1937_660
.LBB1937_611:                           ;   in Loop: Header=BB1937_602 Depth=2
	s_or_b32 exec_lo, exec_lo, s11
	s_delay_alu instid0(SALU_CYCLE_1)
	s_mov_b32 s11, exec_lo
	v_cmpx_gt_u32_e64 s7, v73
	s_cbranch_execnz .LBB1937_661
.LBB1937_612:                           ;   in Loop: Header=BB1937_602 Depth=2
	s_or_b32 exec_lo, exec_lo, s11
	s_delay_alu instid0(SALU_CYCLE_1)
	s_mov_b32 s11, exec_lo
	v_cmpx_gt_u32_e64 s7, v74
	s_cbranch_execnz .LBB1937_662
.LBB1937_613:                           ;   in Loop: Header=BB1937_602 Depth=2
	s_or_b32 exec_lo, exec_lo, s11
	s_delay_alu instid0(SALU_CYCLE_1)
	s_mov_b32 s11, exec_lo
	v_cmpx_gt_u32_e64 s7, v75
	s_cbranch_execnz .LBB1937_663
.LBB1937_614:                           ;   in Loop: Header=BB1937_602 Depth=2
	s_or_b32 exec_lo, exec_lo, s11
	s_delay_alu instid0(SALU_CYCLE_1)
	s_mov_b32 s11, exec_lo
	v_cmpx_gt_u32_e64 s7, v76
	s_cbranch_execnz .LBB1937_664
.LBB1937_615:                           ;   in Loop: Header=BB1937_602 Depth=2
	s_or_b32 exec_lo, exec_lo, s11
	s_delay_alu instid0(SALU_CYCLE_1)
	s_mov_b32 s11, exec_lo
	v_cmpx_gt_u32_e64 s7, v77
	s_cbranch_execnz .LBB1937_665
.LBB1937_616:                           ;   in Loop: Header=BB1937_602 Depth=2
	s_or_b32 exec_lo, exec_lo, s11
	s_delay_alu instid0(SALU_CYCLE_1)
	s_mov_b32 s11, exec_lo
	v_cmpx_gt_u32_e64 s7, v78
	s_cbranch_execnz .LBB1937_666
.LBB1937_617:                           ;   in Loop: Header=BB1937_602 Depth=2
	s_or_b32 exec_lo, exec_lo, s11
	s_delay_alu instid0(SALU_CYCLE_1)
	s_mov_b32 s11, exec_lo
	v_cmpx_gt_u32_e64 s7, v79
	s_cbranch_execnz .LBB1937_667
.LBB1937_618:                           ;   in Loop: Header=BB1937_602 Depth=2
	s_or_b32 exec_lo, exec_lo, s11
	s_delay_alu instid0(SALU_CYCLE_1)
	s_mov_b32 s11, exec_lo
	v_cmpx_gt_u32_e64 s7, v80
	s_cbranch_execnz .LBB1937_668
.LBB1937_619:                           ;   in Loop: Header=BB1937_602 Depth=2
	s_or_b32 exec_lo, exec_lo, s11
	s_delay_alu instid0(SALU_CYCLE_1)
	s_mov_b32 s11, exec_lo
	v_cmpx_gt_u32_e64 s7, v81
	s_cbranch_execnz .LBB1937_669
.LBB1937_620:                           ;   in Loop: Header=BB1937_602 Depth=2
	s_or_b32 exec_lo, exec_lo, s11
	s_delay_alu instid0(SALU_CYCLE_1)
	s_mov_b32 s11, exec_lo
	v_cmpx_gt_u32_e64 s7, v82
	s_cbranch_execz .LBB1937_622
.LBB1937_621:                           ;   in Loop: Header=BB1937_602 Depth=2
	global_load_u16 v23, v2, s[8:9] offset:7680 scale_offset
.LBB1937_622:                           ;   in Loop: Header=BB1937_602 Depth=2
	s_wait_xcnt 0x0
	s_or_b32 exec_lo, exec_lo, s11
	s_wait_loadcnt 0x0
	v_dual_mov_b32 v39, v38 :: v_dual_mov_b32 v40, v37
	v_dual_mov_b32 v41, v36 :: v_dual_mov_b32 v42, v35
	;; [unrolled: 1-line block ×8, first 2 shown]
	s_mov_b32 s8, s7
.LBB1937_623:                           ;   in Loop: Header=BB1937_602 Depth=2
	s_wait_loadcnt 0x0
	s_delay_alu instid0(VALU_DEP_1)
	v_dual_mov_b32 v23, v54 :: v_dual_mov_b32 v24, v53
	v_dual_mov_b32 v25, v52 :: v_dual_mov_b32 v26, v51
	;; [unrolled: 1-line block ×8, first 2 shown]
	s_mov_b32 s9, exec_lo
	s_wait_xcnt 0x0
	v_cmpx_gt_u32_e64 s8, v2
	s_cbranch_execnz .LBB1937_639
; %bb.624:                              ;   in Loop: Header=BB1937_602 Depth=2
	s_or_b32 exec_lo, exec_lo, s9
	s_delay_alu instid0(SALU_CYCLE_1)
	s_mov_b32 s9, exec_lo
	v_cmpx_gt_u32_e64 s8, v68
	s_cbranch_execnz .LBB1937_640
.LBB1937_625:                           ;   in Loop: Header=BB1937_602 Depth=2
	s_or_b32 exec_lo, exec_lo, s9
	s_delay_alu instid0(SALU_CYCLE_1)
	s_mov_b32 s9, exec_lo
	v_cmpx_gt_u32_e64 s8, v69
	s_cbranch_execnz .LBB1937_641
.LBB1937_626:                           ;   in Loop: Header=BB1937_602 Depth=2
	s_or_b32 exec_lo, exec_lo, s9
	s_delay_alu instid0(SALU_CYCLE_1)
	s_mov_b32 s9, exec_lo
	v_cmpx_gt_u32_e64 s8, v70
	s_cbranch_execnz .LBB1937_642
.LBB1937_627:                           ;   in Loop: Header=BB1937_602 Depth=2
	s_or_b32 exec_lo, exec_lo, s9
	s_delay_alu instid0(SALU_CYCLE_1)
	s_mov_b32 s9, exec_lo
	v_cmpx_gt_u32_e64 s8, v71
	s_cbranch_execnz .LBB1937_643
.LBB1937_628:                           ;   in Loop: Header=BB1937_602 Depth=2
	s_or_b32 exec_lo, exec_lo, s9
	s_delay_alu instid0(SALU_CYCLE_1)
	s_mov_b32 s9, exec_lo
	v_cmpx_gt_u32_e64 s8, v72
	s_cbranch_execnz .LBB1937_644
.LBB1937_629:                           ;   in Loop: Header=BB1937_602 Depth=2
	s_or_b32 exec_lo, exec_lo, s9
	s_delay_alu instid0(SALU_CYCLE_1)
	s_mov_b32 s9, exec_lo
	v_cmpx_gt_u32_e64 s8, v73
	s_cbranch_execnz .LBB1937_645
.LBB1937_630:                           ;   in Loop: Header=BB1937_602 Depth=2
	s_or_b32 exec_lo, exec_lo, s9
	s_delay_alu instid0(SALU_CYCLE_1)
	s_mov_b32 s9, exec_lo
	v_cmpx_gt_u32_e64 s8, v74
	s_cbranch_execnz .LBB1937_646
.LBB1937_631:                           ;   in Loop: Header=BB1937_602 Depth=2
	s_or_b32 exec_lo, exec_lo, s9
	s_delay_alu instid0(SALU_CYCLE_1)
	s_mov_b32 s9, exec_lo
	v_cmpx_gt_u32_e64 s8, v75
	s_cbranch_execnz .LBB1937_647
.LBB1937_632:                           ;   in Loop: Header=BB1937_602 Depth=2
	s_or_b32 exec_lo, exec_lo, s9
	s_delay_alu instid0(SALU_CYCLE_1)
	s_mov_b32 s9, exec_lo
	v_cmpx_gt_u32_e64 s8, v76
	s_cbranch_execnz .LBB1937_648
.LBB1937_633:                           ;   in Loop: Header=BB1937_602 Depth=2
	s_or_b32 exec_lo, exec_lo, s9
	s_delay_alu instid0(SALU_CYCLE_1)
	s_mov_b32 s9, exec_lo
	v_cmpx_gt_u32_e64 s8, v77
	s_cbranch_execnz .LBB1937_649
.LBB1937_634:                           ;   in Loop: Header=BB1937_602 Depth=2
	s_or_b32 exec_lo, exec_lo, s9
	s_delay_alu instid0(SALU_CYCLE_1)
	s_mov_b32 s9, exec_lo
	v_cmpx_gt_u32_e64 s8, v78
	s_cbranch_execnz .LBB1937_650
.LBB1937_635:                           ;   in Loop: Header=BB1937_602 Depth=2
	s_or_b32 exec_lo, exec_lo, s9
	s_delay_alu instid0(SALU_CYCLE_1)
	s_mov_b32 s9, exec_lo
	v_cmpx_gt_u32_e64 s8, v79
	s_cbranch_execnz .LBB1937_651
.LBB1937_636:                           ;   in Loop: Header=BB1937_602 Depth=2
	s_or_b32 exec_lo, exec_lo, s9
	s_delay_alu instid0(SALU_CYCLE_1)
	s_mov_b32 s9, exec_lo
	v_cmpx_gt_u32_e64 s8, v80
	s_cbranch_execnz .LBB1937_652
.LBB1937_637:                           ;   in Loop: Header=BB1937_602 Depth=2
	s_or_b32 exec_lo, exec_lo, s9
	s_delay_alu instid0(SALU_CYCLE_1)
	s_mov_b32 s9, exec_lo
	v_cmpx_gt_u32_e64 s8, v81
	s_cbranch_execnz .LBB1937_653
.LBB1937_638:                           ;   in Loop: Header=BB1937_602 Depth=2
	s_or_b32 exec_lo, exec_lo, s9
	v_cmp_gt_u32_e32 vcc_lo, s8, v82
	s_and_saveexec_b32 s8, vcc_lo
	s_cbranch_execz .LBB1937_601
	s_branch .LBB1937_654
.LBB1937_639:                           ;   in Loop: Header=BB1937_602 Depth=2
	v_cmp_gt_i16_e32 vcc_lo, 0, v38
	v_cndmask_b32_e64 v39, 0x7fff, 0, vcc_lo
	s_delay_alu instid0(VALU_DEP_1) | instskip(NEXT) | instid1(VALU_DEP_1)
	v_xor_b32_e32 v39, v39, v38
	v_cmp_ne_u16_e32 vcc_lo, 0x8000, v39
	v_cndmask_b32_e32 v39, 0x7fff, v39, vcc_lo
	s_delay_alu instid0(VALU_DEP_1) | instskip(NEXT) | instid1(VALU_DEP_1)
	v_and_b32_e32 v39, 0xffff, v39
	v_lshrrev_b32_e32 v39, s49, v39
	s_delay_alu instid0(VALU_DEP_1) | instskip(NEXT) | instid1(VALU_DEP_1)
	v_and_b32_e32 v39, s52, v39
	v_lshl_or_b32 v39, v39, 4, v83
	ds_add_u32 v39, v96
	s_or_b32 exec_lo, exec_lo, s9
	s_delay_alu instid0(SALU_CYCLE_1)
	s_mov_b32 s9, exec_lo
	v_cmpx_gt_u32_e64 s8, v68
	s_cbranch_execz .LBB1937_625
.LBB1937_640:                           ;   in Loop: Header=BB1937_602 Depth=2
	v_cmp_gt_i16_e32 vcc_lo, 0, v37
	v_cndmask_b32_e64 v39, 0x7fff, 0, vcc_lo
	s_delay_alu instid0(VALU_DEP_1) | instskip(NEXT) | instid1(VALU_DEP_1)
	v_xor_b32_e32 v39, v39, v37
	v_cmp_ne_u16_e32 vcc_lo, 0x8000, v39
	v_cndmask_b32_e32 v39, 0x7fff, v39, vcc_lo
	s_delay_alu instid0(VALU_DEP_1) | instskip(NEXT) | instid1(VALU_DEP_1)
	v_and_b32_e32 v39, 0xffff, v39
	v_lshrrev_b32_e32 v39, s49, v39
	s_delay_alu instid0(VALU_DEP_1) | instskip(NEXT) | instid1(VALU_DEP_1)
	v_and_b32_e32 v39, s52, v39
	v_lshl_or_b32 v39, v39, 4, v83
	ds_add_u32 v39, v96
	s_or_b32 exec_lo, exec_lo, s9
	s_delay_alu instid0(SALU_CYCLE_1)
	s_mov_b32 s9, exec_lo
	v_cmpx_gt_u32_e64 s8, v69
	s_cbranch_execz .LBB1937_626
.LBB1937_641:                           ;   in Loop: Header=BB1937_602 Depth=2
	v_cmp_gt_i16_e32 vcc_lo, 0, v36
	v_cndmask_b32_e64 v39, 0x7fff, 0, vcc_lo
	s_delay_alu instid0(VALU_DEP_1) | instskip(NEXT) | instid1(VALU_DEP_1)
	v_xor_b32_e32 v39, v39, v36
	v_cmp_ne_u16_e32 vcc_lo, 0x8000, v39
	v_cndmask_b32_e32 v39, 0x7fff, v39, vcc_lo
	s_delay_alu instid0(VALU_DEP_1) | instskip(NEXT) | instid1(VALU_DEP_1)
	v_and_b32_e32 v39, 0xffff, v39
	v_lshrrev_b32_e32 v39, s49, v39
	s_delay_alu instid0(VALU_DEP_1) | instskip(NEXT) | instid1(VALU_DEP_1)
	v_and_b32_e32 v39, s52, v39
	v_lshl_or_b32 v39, v39, 4, v83
	ds_add_u32 v39, v96
	s_or_b32 exec_lo, exec_lo, s9
	s_delay_alu instid0(SALU_CYCLE_1)
	s_mov_b32 s9, exec_lo
	v_cmpx_gt_u32_e64 s8, v70
	s_cbranch_execz .LBB1937_627
.LBB1937_642:                           ;   in Loop: Header=BB1937_602 Depth=2
	v_cmp_gt_i16_e32 vcc_lo, 0, v35
	v_cndmask_b32_e64 v39, 0x7fff, 0, vcc_lo
	s_delay_alu instid0(VALU_DEP_1) | instskip(NEXT) | instid1(VALU_DEP_1)
	v_xor_b32_e32 v39, v39, v35
	v_cmp_ne_u16_e32 vcc_lo, 0x8000, v39
	v_cndmask_b32_e32 v39, 0x7fff, v39, vcc_lo
	s_delay_alu instid0(VALU_DEP_1) | instskip(NEXT) | instid1(VALU_DEP_1)
	v_and_b32_e32 v39, 0xffff, v39
	v_lshrrev_b32_e32 v39, s49, v39
	s_delay_alu instid0(VALU_DEP_1) | instskip(NEXT) | instid1(VALU_DEP_1)
	v_and_b32_e32 v39, s52, v39
	v_lshl_or_b32 v39, v39, 4, v83
	ds_add_u32 v39, v96
	s_or_b32 exec_lo, exec_lo, s9
	s_delay_alu instid0(SALU_CYCLE_1)
	s_mov_b32 s9, exec_lo
	v_cmpx_gt_u32_e64 s8, v71
	s_cbranch_execz .LBB1937_628
.LBB1937_643:                           ;   in Loop: Header=BB1937_602 Depth=2
	v_cmp_gt_i16_e32 vcc_lo, 0, v34
	v_cndmask_b32_e64 v39, 0x7fff, 0, vcc_lo
	s_delay_alu instid0(VALU_DEP_1) | instskip(NEXT) | instid1(VALU_DEP_1)
	v_xor_b32_e32 v39, v39, v34
	v_cmp_ne_u16_e32 vcc_lo, 0x8000, v39
	v_cndmask_b32_e32 v39, 0x7fff, v39, vcc_lo
	s_delay_alu instid0(VALU_DEP_1) | instskip(NEXT) | instid1(VALU_DEP_1)
	v_and_b32_e32 v39, 0xffff, v39
	v_lshrrev_b32_e32 v39, s49, v39
	s_delay_alu instid0(VALU_DEP_1) | instskip(NEXT) | instid1(VALU_DEP_1)
	v_and_b32_e32 v39, s52, v39
	v_lshl_or_b32 v39, v39, 4, v83
	ds_add_u32 v39, v96
	s_or_b32 exec_lo, exec_lo, s9
	s_delay_alu instid0(SALU_CYCLE_1)
	s_mov_b32 s9, exec_lo
	v_cmpx_gt_u32_e64 s8, v72
	s_cbranch_execz .LBB1937_629
.LBB1937_644:                           ;   in Loop: Header=BB1937_602 Depth=2
	v_cmp_gt_i16_e32 vcc_lo, 0, v33
	v_cndmask_b32_e64 v39, 0x7fff, 0, vcc_lo
	s_delay_alu instid0(VALU_DEP_1) | instskip(NEXT) | instid1(VALU_DEP_1)
	v_xor_b32_e32 v39, v39, v33
	v_cmp_ne_u16_e32 vcc_lo, 0x8000, v39
	v_cndmask_b32_e32 v39, 0x7fff, v39, vcc_lo
	s_delay_alu instid0(VALU_DEP_1) | instskip(NEXT) | instid1(VALU_DEP_1)
	v_and_b32_e32 v39, 0xffff, v39
	v_lshrrev_b32_e32 v39, s49, v39
	s_delay_alu instid0(VALU_DEP_1) | instskip(NEXT) | instid1(VALU_DEP_1)
	v_and_b32_e32 v39, s52, v39
	v_lshl_or_b32 v39, v39, 4, v83
	ds_add_u32 v39, v96
	s_or_b32 exec_lo, exec_lo, s9
	s_delay_alu instid0(SALU_CYCLE_1)
	s_mov_b32 s9, exec_lo
	v_cmpx_gt_u32_e64 s8, v73
	s_cbranch_execz .LBB1937_630
.LBB1937_645:                           ;   in Loop: Header=BB1937_602 Depth=2
	v_cmp_gt_i16_e32 vcc_lo, 0, v32
	v_cndmask_b32_e64 v39, 0x7fff, 0, vcc_lo
	s_delay_alu instid0(VALU_DEP_1) | instskip(NEXT) | instid1(VALU_DEP_1)
	v_xor_b32_e32 v39, v39, v32
	v_cmp_ne_u16_e32 vcc_lo, 0x8000, v39
	v_cndmask_b32_e32 v39, 0x7fff, v39, vcc_lo
	s_delay_alu instid0(VALU_DEP_1) | instskip(NEXT) | instid1(VALU_DEP_1)
	v_and_b32_e32 v39, 0xffff, v39
	v_lshrrev_b32_e32 v39, s49, v39
	s_delay_alu instid0(VALU_DEP_1) | instskip(NEXT) | instid1(VALU_DEP_1)
	v_and_b32_e32 v39, s52, v39
	v_lshl_or_b32 v39, v39, 4, v83
	ds_add_u32 v39, v96
	s_or_b32 exec_lo, exec_lo, s9
	s_delay_alu instid0(SALU_CYCLE_1)
	s_mov_b32 s9, exec_lo
	v_cmpx_gt_u32_e64 s8, v74
	s_cbranch_execz .LBB1937_631
.LBB1937_646:                           ;   in Loop: Header=BB1937_602 Depth=2
	v_cmp_gt_i16_e32 vcc_lo, 0, v31
	v_cndmask_b32_e64 v39, 0x7fff, 0, vcc_lo
	s_delay_alu instid0(VALU_DEP_1) | instskip(NEXT) | instid1(VALU_DEP_1)
	v_xor_b32_e32 v39, v39, v31
	v_cmp_ne_u16_e32 vcc_lo, 0x8000, v39
	v_cndmask_b32_e32 v39, 0x7fff, v39, vcc_lo
	s_delay_alu instid0(VALU_DEP_1) | instskip(NEXT) | instid1(VALU_DEP_1)
	v_and_b32_e32 v39, 0xffff, v39
	v_lshrrev_b32_e32 v39, s49, v39
	s_delay_alu instid0(VALU_DEP_1) | instskip(NEXT) | instid1(VALU_DEP_1)
	v_and_b32_e32 v39, s52, v39
	v_lshl_or_b32 v39, v39, 4, v83
	ds_add_u32 v39, v96
	s_or_b32 exec_lo, exec_lo, s9
	s_delay_alu instid0(SALU_CYCLE_1)
	s_mov_b32 s9, exec_lo
	v_cmpx_gt_u32_e64 s8, v75
	s_cbranch_execz .LBB1937_632
.LBB1937_647:                           ;   in Loop: Header=BB1937_602 Depth=2
	v_cmp_gt_i16_e32 vcc_lo, 0, v30
	v_cndmask_b32_e64 v39, 0x7fff, 0, vcc_lo
	s_delay_alu instid0(VALU_DEP_1) | instskip(NEXT) | instid1(VALU_DEP_1)
	v_xor_b32_e32 v39, v39, v30
	v_cmp_ne_u16_e32 vcc_lo, 0x8000, v39
	v_cndmask_b32_e32 v39, 0x7fff, v39, vcc_lo
	s_delay_alu instid0(VALU_DEP_1) | instskip(NEXT) | instid1(VALU_DEP_1)
	v_and_b32_e32 v39, 0xffff, v39
	v_lshrrev_b32_e32 v39, s49, v39
	s_delay_alu instid0(VALU_DEP_1) | instskip(NEXT) | instid1(VALU_DEP_1)
	v_and_b32_e32 v39, s52, v39
	v_lshl_or_b32 v39, v39, 4, v83
	ds_add_u32 v39, v96
	s_or_b32 exec_lo, exec_lo, s9
	s_delay_alu instid0(SALU_CYCLE_1)
	s_mov_b32 s9, exec_lo
	v_cmpx_gt_u32_e64 s8, v76
	s_cbranch_execz .LBB1937_633
.LBB1937_648:                           ;   in Loop: Header=BB1937_602 Depth=2
	v_cmp_gt_i16_e32 vcc_lo, 0, v29
	v_cndmask_b32_e64 v39, 0x7fff, 0, vcc_lo
	s_delay_alu instid0(VALU_DEP_1) | instskip(NEXT) | instid1(VALU_DEP_1)
	v_xor_b32_e32 v39, v39, v29
	v_cmp_ne_u16_e32 vcc_lo, 0x8000, v39
	v_cndmask_b32_e32 v39, 0x7fff, v39, vcc_lo
	s_delay_alu instid0(VALU_DEP_1) | instskip(NEXT) | instid1(VALU_DEP_1)
	v_and_b32_e32 v39, 0xffff, v39
	v_lshrrev_b32_e32 v39, s49, v39
	s_delay_alu instid0(VALU_DEP_1) | instskip(NEXT) | instid1(VALU_DEP_1)
	v_and_b32_e32 v39, s52, v39
	v_lshl_or_b32 v39, v39, 4, v83
	ds_add_u32 v39, v96
	s_or_b32 exec_lo, exec_lo, s9
	s_delay_alu instid0(SALU_CYCLE_1)
	s_mov_b32 s9, exec_lo
	v_cmpx_gt_u32_e64 s8, v77
	s_cbranch_execz .LBB1937_634
.LBB1937_649:                           ;   in Loop: Header=BB1937_602 Depth=2
	v_cmp_gt_i16_e32 vcc_lo, 0, v28
	v_cndmask_b32_e64 v39, 0x7fff, 0, vcc_lo
	s_delay_alu instid0(VALU_DEP_1) | instskip(NEXT) | instid1(VALU_DEP_1)
	v_xor_b32_e32 v39, v39, v28
	v_cmp_ne_u16_e32 vcc_lo, 0x8000, v39
	v_cndmask_b32_e32 v39, 0x7fff, v39, vcc_lo
	s_delay_alu instid0(VALU_DEP_1) | instskip(NEXT) | instid1(VALU_DEP_1)
	v_and_b32_e32 v39, 0xffff, v39
	v_lshrrev_b32_e32 v39, s49, v39
	s_delay_alu instid0(VALU_DEP_1) | instskip(NEXT) | instid1(VALU_DEP_1)
	v_and_b32_e32 v39, s52, v39
	v_lshl_or_b32 v39, v39, 4, v83
	ds_add_u32 v39, v96
	s_or_b32 exec_lo, exec_lo, s9
	s_delay_alu instid0(SALU_CYCLE_1)
	s_mov_b32 s9, exec_lo
	v_cmpx_gt_u32_e64 s8, v78
	s_cbranch_execz .LBB1937_635
.LBB1937_650:                           ;   in Loop: Header=BB1937_602 Depth=2
	v_cmp_gt_i16_e32 vcc_lo, 0, v27
	v_cndmask_b32_e64 v39, 0x7fff, 0, vcc_lo
	s_delay_alu instid0(VALU_DEP_1) | instskip(NEXT) | instid1(VALU_DEP_1)
	v_xor_b32_e32 v39, v39, v27
	v_cmp_ne_u16_e32 vcc_lo, 0x8000, v39
	v_cndmask_b32_e32 v39, 0x7fff, v39, vcc_lo
	s_delay_alu instid0(VALU_DEP_1) | instskip(NEXT) | instid1(VALU_DEP_1)
	v_and_b32_e32 v39, 0xffff, v39
	v_lshrrev_b32_e32 v39, s49, v39
	s_delay_alu instid0(VALU_DEP_1) | instskip(NEXT) | instid1(VALU_DEP_1)
	v_and_b32_e32 v39, s52, v39
	v_lshl_or_b32 v39, v39, 4, v83
	ds_add_u32 v39, v96
	s_or_b32 exec_lo, exec_lo, s9
	s_delay_alu instid0(SALU_CYCLE_1)
	s_mov_b32 s9, exec_lo
	v_cmpx_gt_u32_e64 s8, v79
	s_cbranch_execz .LBB1937_636
.LBB1937_651:                           ;   in Loop: Header=BB1937_602 Depth=2
	v_cmp_gt_i16_e32 vcc_lo, 0, v26
	v_cndmask_b32_e64 v39, 0x7fff, 0, vcc_lo
	s_delay_alu instid0(VALU_DEP_1) | instskip(NEXT) | instid1(VALU_DEP_1)
	v_xor_b32_e32 v39, v39, v26
	v_cmp_ne_u16_e32 vcc_lo, 0x8000, v39
	v_cndmask_b32_e32 v39, 0x7fff, v39, vcc_lo
	s_delay_alu instid0(VALU_DEP_1) | instskip(NEXT) | instid1(VALU_DEP_1)
	v_and_b32_e32 v39, 0xffff, v39
	v_lshrrev_b32_e32 v39, s49, v39
	s_delay_alu instid0(VALU_DEP_1) | instskip(NEXT) | instid1(VALU_DEP_1)
	v_and_b32_e32 v39, s52, v39
	v_lshl_or_b32 v39, v39, 4, v83
	ds_add_u32 v39, v96
	s_or_b32 exec_lo, exec_lo, s9
	s_delay_alu instid0(SALU_CYCLE_1)
	s_mov_b32 s9, exec_lo
	v_cmpx_gt_u32_e64 s8, v80
	s_cbranch_execz .LBB1937_637
.LBB1937_652:                           ;   in Loop: Header=BB1937_602 Depth=2
	v_cmp_gt_i16_e32 vcc_lo, 0, v25
	v_cndmask_b32_e64 v39, 0x7fff, 0, vcc_lo
	s_delay_alu instid0(VALU_DEP_1) | instskip(NEXT) | instid1(VALU_DEP_1)
	v_xor_b32_e32 v39, v39, v25
	v_cmp_ne_u16_e32 vcc_lo, 0x8000, v39
	v_cndmask_b32_e32 v39, 0x7fff, v39, vcc_lo
	s_delay_alu instid0(VALU_DEP_1) | instskip(NEXT) | instid1(VALU_DEP_1)
	v_and_b32_e32 v39, 0xffff, v39
	v_lshrrev_b32_e32 v39, s49, v39
	s_delay_alu instid0(VALU_DEP_1) | instskip(NEXT) | instid1(VALU_DEP_1)
	v_and_b32_e32 v39, s52, v39
	v_lshl_or_b32 v39, v39, 4, v83
	ds_add_u32 v39, v96
	s_or_b32 exec_lo, exec_lo, s9
	s_delay_alu instid0(SALU_CYCLE_1)
	s_mov_b32 s9, exec_lo
	v_cmpx_gt_u32_e64 s8, v81
	s_cbranch_execz .LBB1937_638
.LBB1937_653:                           ;   in Loop: Header=BB1937_602 Depth=2
	v_cmp_gt_i16_e32 vcc_lo, 0, v24
	v_cndmask_b32_e64 v39, 0x7fff, 0, vcc_lo
	s_delay_alu instid0(VALU_DEP_1) | instskip(NEXT) | instid1(VALU_DEP_1)
	v_xor_b32_e32 v39, v39, v24
	v_cmp_ne_u16_e32 vcc_lo, 0x8000, v39
	v_cndmask_b32_e32 v39, 0x7fff, v39, vcc_lo
	s_delay_alu instid0(VALU_DEP_1) | instskip(NEXT) | instid1(VALU_DEP_1)
	v_and_b32_e32 v39, 0xffff, v39
	v_lshrrev_b32_e32 v39, s49, v39
	s_delay_alu instid0(VALU_DEP_1) | instskip(NEXT) | instid1(VALU_DEP_1)
	v_and_b32_e32 v39, s52, v39
	v_lshl_or_b32 v39, v39, 4, v83
	ds_add_u32 v39, v96
	s_or_b32 exec_lo, exec_lo, s9
	v_cmp_gt_u32_e32 vcc_lo, s8, v82
	s_and_saveexec_b32 s8, vcc_lo
	s_cbranch_execz .LBB1937_601
.LBB1937_654:                           ;   in Loop: Header=BB1937_602 Depth=2
	v_cmp_gt_i16_e32 vcc_lo, 0, v23
	v_cndmask_b32_e64 v39, 0x7fff, 0, vcc_lo
	s_delay_alu instid0(VALU_DEP_1) | instskip(NEXT) | instid1(VALU_DEP_1)
	v_xor_b32_e32 v39, v39, v23
	v_cmp_ne_u16_e32 vcc_lo, 0x8000, v39
	v_cndmask_b32_e32 v39, 0x7fff, v39, vcc_lo
	s_delay_alu instid0(VALU_DEP_1) | instskip(NEXT) | instid1(VALU_DEP_1)
	v_and_b32_e32 v39, 0xffff, v39
	v_lshrrev_b32_e32 v39, s49, v39
	s_delay_alu instid0(VALU_DEP_1) | instskip(NEXT) | instid1(VALU_DEP_1)
	v_and_b32_e32 v39, s52, v39
	v_lshl_or_b32 v39, v39, 4, v83
	ds_add_u32 v39, v96
	s_branch .LBB1937_601
.LBB1937_655:                           ;   in Loop: Header=BB1937_602 Depth=2
	global_load_u16 v38, v2, s[8:9] scale_offset
	s_wait_xcnt 0x0
	s_or_b32 exec_lo, exec_lo, s11
	s_delay_alu instid0(SALU_CYCLE_1)
	s_mov_b32 s11, exec_lo
	v_cmpx_gt_u32_e64 s7, v68
	s_cbranch_execz .LBB1937_607
.LBB1937_656:                           ;   in Loop: Header=BB1937_602 Depth=2
	global_load_u16 v37, v2, s[8:9] offset:512 scale_offset
	s_wait_xcnt 0x0
	s_or_b32 exec_lo, exec_lo, s11
	s_delay_alu instid0(SALU_CYCLE_1)
	s_mov_b32 s11, exec_lo
	v_cmpx_gt_u32_e64 s7, v69
	s_cbranch_execz .LBB1937_608
.LBB1937_657:                           ;   in Loop: Header=BB1937_602 Depth=2
	global_load_u16 v36, v2, s[8:9] offset:1024 scale_offset
	s_wait_xcnt 0x0
	s_or_b32 exec_lo, exec_lo, s11
	s_delay_alu instid0(SALU_CYCLE_1)
	s_mov_b32 s11, exec_lo
	v_cmpx_gt_u32_e64 s7, v70
	s_cbranch_execz .LBB1937_609
.LBB1937_658:                           ;   in Loop: Header=BB1937_602 Depth=2
	global_load_u16 v35, v2, s[8:9] offset:1536 scale_offset
	s_wait_xcnt 0x0
	s_or_b32 exec_lo, exec_lo, s11
	s_delay_alu instid0(SALU_CYCLE_1)
	s_mov_b32 s11, exec_lo
	v_cmpx_gt_u32_e64 s7, v71
	s_cbranch_execz .LBB1937_610
.LBB1937_659:                           ;   in Loop: Header=BB1937_602 Depth=2
	global_load_u16 v34, v2, s[8:9] offset:2048 scale_offset
	s_wait_xcnt 0x0
	s_or_b32 exec_lo, exec_lo, s11
	s_delay_alu instid0(SALU_CYCLE_1)
	s_mov_b32 s11, exec_lo
	v_cmpx_gt_u32_e64 s7, v72
	s_cbranch_execz .LBB1937_611
.LBB1937_660:                           ;   in Loop: Header=BB1937_602 Depth=2
	global_load_u16 v33, v2, s[8:9] offset:2560 scale_offset
	s_wait_xcnt 0x0
	s_or_b32 exec_lo, exec_lo, s11
	s_delay_alu instid0(SALU_CYCLE_1)
	s_mov_b32 s11, exec_lo
	v_cmpx_gt_u32_e64 s7, v73
	s_cbranch_execz .LBB1937_612
.LBB1937_661:                           ;   in Loop: Header=BB1937_602 Depth=2
	global_load_u16 v32, v2, s[8:9] offset:3072 scale_offset
	s_wait_xcnt 0x0
	s_or_b32 exec_lo, exec_lo, s11
	s_delay_alu instid0(SALU_CYCLE_1)
	s_mov_b32 s11, exec_lo
	v_cmpx_gt_u32_e64 s7, v74
	s_cbranch_execz .LBB1937_613
.LBB1937_662:                           ;   in Loop: Header=BB1937_602 Depth=2
	global_load_u16 v31, v2, s[8:9] offset:3584 scale_offset
	s_wait_xcnt 0x0
	s_or_b32 exec_lo, exec_lo, s11
	s_delay_alu instid0(SALU_CYCLE_1)
	s_mov_b32 s11, exec_lo
	v_cmpx_gt_u32_e64 s7, v75
	s_cbranch_execz .LBB1937_614
.LBB1937_663:                           ;   in Loop: Header=BB1937_602 Depth=2
	global_load_u16 v30, v2, s[8:9] offset:4096 scale_offset
	s_wait_xcnt 0x0
	s_or_b32 exec_lo, exec_lo, s11
	s_delay_alu instid0(SALU_CYCLE_1)
	s_mov_b32 s11, exec_lo
	v_cmpx_gt_u32_e64 s7, v76
	s_cbranch_execz .LBB1937_615
.LBB1937_664:                           ;   in Loop: Header=BB1937_602 Depth=2
	global_load_u16 v29, v2, s[8:9] offset:4608 scale_offset
	s_wait_xcnt 0x0
	s_or_b32 exec_lo, exec_lo, s11
	s_delay_alu instid0(SALU_CYCLE_1)
	s_mov_b32 s11, exec_lo
	v_cmpx_gt_u32_e64 s7, v77
	s_cbranch_execz .LBB1937_616
.LBB1937_665:                           ;   in Loop: Header=BB1937_602 Depth=2
	global_load_u16 v28, v2, s[8:9] offset:5120 scale_offset
	s_wait_xcnt 0x0
	s_or_b32 exec_lo, exec_lo, s11
	s_delay_alu instid0(SALU_CYCLE_1)
	s_mov_b32 s11, exec_lo
	v_cmpx_gt_u32_e64 s7, v78
	s_cbranch_execz .LBB1937_617
.LBB1937_666:                           ;   in Loop: Header=BB1937_602 Depth=2
	global_load_u16 v27, v2, s[8:9] offset:5632 scale_offset
	s_wait_xcnt 0x0
	s_or_b32 exec_lo, exec_lo, s11
	s_delay_alu instid0(SALU_CYCLE_1)
	s_mov_b32 s11, exec_lo
	v_cmpx_gt_u32_e64 s7, v79
	s_cbranch_execz .LBB1937_618
.LBB1937_667:                           ;   in Loop: Header=BB1937_602 Depth=2
	global_load_u16 v26, v2, s[8:9] offset:6144 scale_offset
	s_wait_xcnt 0x0
	s_or_b32 exec_lo, exec_lo, s11
	s_delay_alu instid0(SALU_CYCLE_1)
	s_mov_b32 s11, exec_lo
	v_cmpx_gt_u32_e64 s7, v80
	s_cbranch_execz .LBB1937_619
.LBB1937_668:                           ;   in Loop: Header=BB1937_602 Depth=2
	global_load_u16 v25, v2, s[8:9] offset:6656 scale_offset
	s_wait_xcnt 0x0
	s_or_b32 exec_lo, exec_lo, s11
	s_delay_alu instid0(SALU_CYCLE_1)
	s_mov_b32 s11, exec_lo
	v_cmpx_gt_u32_e64 s7, v81
	s_cbranch_execz .LBB1937_620
.LBB1937_669:                           ;   in Loop: Header=BB1937_602 Depth=2
	global_load_u16 v24, v2, s[8:9] offset:7168 scale_offset
	s_wait_xcnt 0x0
	s_or_b32 exec_lo, exec_lo, s11
	s_delay_alu instid0(SALU_CYCLE_1)
	s_mov_b32 s11, exec_lo
	v_cmpx_gt_u32_e64 s7, v82
	s_cbranch_execnz .LBB1937_621
	s_branch .LBB1937_622
.LBB1937_670:                           ;   in Loop: Header=BB1937_12 Depth=1
	v_mov_b32_e32 v23, 0
	s_wait_dscnt 0x0
	s_barrier_signal -1
	s_barrier_wait -1
	s_and_saveexec_b32 s7, s0
	s_cbranch_execz .LBB1937_672
; %bb.671:                              ;   in Loop: Header=BB1937_12 Depth=1
	ds_load_2addr_b64 v[24:27], v85 offset1:1
	s_wait_dscnt 0x0
	v_add_nc_u32_e32 v23, v25, v24
	s_delay_alu instid0(VALU_DEP_1)
	v_add3_u32 v23, v23, v26, v27
.LBB1937_672:                           ;   in Loop: Header=BB1937_12 Depth=1
	s_or_b32 exec_lo, exec_lo, s7
	s_delay_alu instid0(VALU_DEP_1)
	v_mov_b32_dpp v24, v23 row_shr:1 row_mask:0xf bank_mask:0xf
	v_cmp_eq_u32_e64 s7, 0, v97
	v_cmp_lt_u32_e64 s8, 1, v97
	v_cmp_lt_u32_e64 s9, 3, v97
	;; [unrolled: 1-line block ×3, first 2 shown]
	v_cmp_eq_u32_e64 s11, 0, v99
	v_cndmask_b32_e64 v24, v24, 0, s7
	s_delay_alu instid0(VALU_DEP_1) | instskip(NEXT) | instid1(VALU_DEP_1)
	v_add_nc_u32_e32 v23, v24, v23
	v_mov_b32_dpp v24, v23 row_shr:2 row_mask:0xf bank_mask:0xf
	s_delay_alu instid0(VALU_DEP_1) | instskip(NEXT) | instid1(VALU_DEP_1)
	v_cndmask_b32_e64 v24, 0, v24, s8
	v_add_nc_u32_e32 v23, v23, v24
	s_delay_alu instid0(VALU_DEP_1) | instskip(NEXT) | instid1(VALU_DEP_1)
	v_mov_b32_dpp v24, v23 row_shr:4 row_mask:0xf bank_mask:0xf
	v_cndmask_b32_e64 v24, 0, v24, s9
	s_delay_alu instid0(VALU_DEP_1) | instskip(NEXT) | instid1(VALU_DEP_1)
	v_add_nc_u32_e32 v23, v23, v24
	v_mov_b32_dpp v24, v23 row_shr:8 row_mask:0xf bank_mask:0xf
	s_delay_alu instid0(VALU_DEP_1) | instskip(NEXT) | instid1(VALU_DEP_1)
	v_cndmask_b32_e64 v24, 0, v24, s10
	v_add_nc_u32_e32 v23, v23, v24
	ds_swizzle_b32 v24, v23 offset:swizzle(BROADCAST,32,15)
	s_wait_dscnt 0x0
	v_and_b32_e32 v24, v98, v24
	s_delay_alu instid0(VALU_DEP_1)
	v_add_nc_u32_e32 v23, v23, v24
	s_and_saveexec_b32 s12, s1
; %bb.673:                              ;   in Loop: Header=BB1937_12 Depth=1
	ds_store_b32 v86, v23
; %bb.674:                              ;   in Loop: Header=BB1937_12 Depth=1
	s_or_b32 exec_lo, exec_lo, s12
	s_wait_dscnt 0x0
	s_barrier_signal -1
	s_barrier_wait -1
	s_and_saveexec_b32 s12, s4
	s_cbranch_execz .LBB1937_676
; %bb.675:                              ;   in Loop: Header=BB1937_12 Depth=1
	ds_load_b32 v24, v87
	v_cmp_ne_u32_e32 vcc_lo, 0, v101
	s_wait_dscnt 0x0
	v_mov_b32_dpp v25, v24 row_shr:1 row_mask:0xf bank_mask:0xf
	s_delay_alu instid0(VALU_DEP_1) | instskip(SKIP_1) | instid1(VALU_DEP_2)
	v_cndmask_b32_e32 v25, 0, v25, vcc_lo
	v_cmp_lt_u32_e32 vcc_lo, 1, v101
	v_add_nc_u32_e32 v24, v25, v24
	s_delay_alu instid0(VALU_DEP_1) | instskip(NEXT) | instid1(VALU_DEP_1)
	v_mov_b32_dpp v25, v24 row_shr:2 row_mask:0xf bank_mask:0xf
	v_cndmask_b32_e32 v25, 0, v25, vcc_lo
	v_cmp_lt_u32_e32 vcc_lo, 3, v101
	s_delay_alu instid0(VALU_DEP_2) | instskip(NEXT) | instid1(VALU_DEP_1)
	v_add_nc_u32_e32 v24, v24, v25
	v_mov_b32_dpp v25, v24 row_shr:4 row_mask:0xf bank_mask:0xf
	s_delay_alu instid0(VALU_DEP_1) | instskip(NEXT) | instid1(VALU_DEP_1)
	v_cndmask_b32_e32 v25, 0, v25, vcc_lo
	v_add_nc_u32_e32 v24, v24, v25
	ds_store_b32 v87, v24
.LBB1937_676:                           ;   in Loop: Header=BB1937_12 Depth=1
	s_or_b32 exec_lo, exec_lo, s12
	v_mov_b32_e32 v24, 0
	s_wait_dscnt 0x0
	s_barrier_signal -1
	s_barrier_wait -1
	s_and_saveexec_b32 s12, s5
; %bb.677:                              ;   in Loop: Header=BB1937_12 Depth=1
	ds_load_b32 v24, v88
; %bb.678:                              ;   in Loop: Header=BB1937_12 Depth=1
	s_or_b32 exec_lo, exec_lo, s12
	v_cmp_gt_i32_e32 vcc_lo, 0, v102
	s_wait_dscnt 0x0
	s_barrier_signal -1
	s_barrier_wait -1
	v_cndmask_b32_e32 v25, v102, v95, vcc_lo
	s_delay_alu instid0(VALU_DEP_1)
	v_dual_add_nc_u32 v23, v24, v23 :: v_dual_lshlrev_b32 v122, 2, v25
	ds_bpermute_b32 v23, v122, v23
	s_and_saveexec_b32 s12, s0
	s_cbranch_execz .LBB1937_680
; %bb.679:                              ;   in Loop: Header=BB1937_12 Depth=1
	s_wait_dscnt 0x0
	v_cndmask_b32_e64 v23, v23, v24, s6
	s_delay_alu instid0(VALU_DEP_1)
	v_add_nc_u32_e32 v23, s54, v23
	ds_store_b32 v3, v23
.LBB1937_680:                           ;   in Loop: Header=BB1937_12 Depth=1
	s_or_b32 exec_lo, exec_lo, s12
	s_load_b64 s[12:13], s[34:35], 0x0
	s_mov_b32 s53, s56
                                        ; implicit-def: $vgpr30_vgpr31
                                        ; implicit-def: $vgpr32_vgpr33
                                        ; implicit-def: $vgpr34_vgpr35
                                        ; implicit-def: $vgpr36_vgpr37
                                        ; implicit-def: $vgpr38_vgpr39
                                        ; implicit-def: $vgpr40_vgpr41
                                        ; implicit-def: $vgpr42_vgpr43
                                        ; implicit-def: $vgpr44_vgpr45
                                        ; implicit-def: $vgpr46_vgpr47
                                        ; implicit-def: $vgpr48_vgpr49
                                        ; implicit-def: $vgpr50_vgpr51
                                        ; implicit-def: $vgpr52_vgpr53
                                        ; implicit-def: $vgpr54_vgpr55
                                        ; implicit-def: $vgpr56_vgpr57
                                        ; implicit-def: $vgpr58_vgpr59
                                        ; implicit-def: $vgpr123
                                        ; implicit-def: $vgpr124
                                        ; implicit-def: $vgpr125
                                        ; implicit-def: $vgpr126
                                        ; implicit-def: $vgpr127
                                        ; implicit-def: $vgpr128
                                        ; implicit-def: $vgpr129
                                        ; implicit-def: $vgpr130
                                        ; implicit-def: $vgpr131
                                        ; implicit-def: $vgpr132
                                        ; implicit-def: $vgpr133
                                        ; implicit-def: $vgpr134
                                        ; implicit-def: $vgpr135
                                        ; implicit-def: $vgpr136
                                        ; implicit-def: $vgpr137
                                        ; implicit-def: $vgpr138
	s_wait_kmcnt 0x0
	s_cmp_lt_u32 s33, s12
	s_cselect_b32 s42, 12, 18
	s_cmp_lt_u32 s31, s13
	s_mov_b32 s13, s43
	s_cselect_b32 s12, 14, 20
	s_delay_alu instid0(SALU_CYCLE_1)
	s_add_nc_u64 s[12:13], s[34:35], s[12:13]
	s_load_u16 s14, s[12:13], 0x0
	s_wait_xcnt 0x0
	s_add_nc_u64 s[12:13], s[34:35], s[42:43]
	s_mov_b32 s42, s54
	s_load_u16 s12, s[12:13], 0x0
	s_wait_xcnt 0x0
	v_cmp_lt_u32_e64 s13, 1, v101
	s_wait_dscnt 0x0
	s_wait_kmcnt 0x0
	v_mad_u32_u24 v23, v89, s14, v90
	v_cmp_lt_u32_e64 s14, 3, v101
	s_delay_alu instid0(VALU_DEP_2) | instskip(SKIP_2) | instid1(VALU_DEP_3)
	v_mad_u32 v24, v23, s12, v2
	v_mov_b32_e32 v23, v5
	v_cmp_eq_u32_e64 s12, 0, v101
	v_lshrrev_b32_e32 v28, 3, v24
	v_add_nc_u64_e32 v[24:25], v[18:19], v[4:5]
	s_delay_alu instid0(VALU_DEP_4) | instskip(NEXT) | instid1(VALU_DEP_3)
	v_add_nc_u64_e32 v[26:27], v[20:21], v[22:23]
	v_and_b32_e32 v23, 0x1ffffffc, v28
                                        ; implicit-def: $vgpr28_vgpr29
	s_branch .LBB1937_682
.LBB1937_681:                           ;   in Loop: Header=BB1937_682 Depth=2
	s_or_b32 exec_lo, exec_lo, s15
	s_addk_co_i32 s53, 0xf000
	s_cmp_lt_u32 s57, s51
	s_mov_b32 s42, s57
	s_cbranch_scc0 .LBB1937_890
.LBB1937_682:                           ;   Parent Loop BB1937_12 Depth=1
                                        ; =>  This Inner Loop Header: Depth=2
	s_add_co_i32 s57, s42, 0x1000
	s_delay_alu instid0(SALU_CYCLE_1)
	s_cmp_gt_u32 s57, s51
	s_cbranch_scc1 .LBB1937_684
; %bb.683:                              ;   in Loop: Header=BB1937_682 Depth=2
	s_delay_alu instid0(VALU_DEP_2)
	v_lshl_add_u64 v[60:61], s[42:43], 1, v[26:27]
	s_mov_b32 s15, -1
	s_clause 0xe
	global_load_u16 v140, v[60:61], off
	global_load_u16 v141, v[60:61], off offset:64
	global_load_u16 v144, v[60:61], off offset:128
	;; [unrolled: 1-line block ×14, first 2 shown]
	s_movk_i32 s16, 0x1000
	s_cbranch_execz .LBB1937_685
	s_branch .LBB1937_716
.LBB1937_684:                           ;   in Loop: Header=BB1937_682 Depth=2
	s_mov_b32 s15, 0
                                        ; implicit-def: $vgpr140
                                        ; implicit-def: $vgpr141
                                        ; implicit-def: $vgpr144
                                        ; implicit-def: $vgpr148
                                        ; implicit-def: $vgpr152
                                        ; implicit-def: $vgpr156
                                        ; implicit-def: $vgpr160
                                        ; implicit-def: $vgpr164
                                        ; implicit-def: $vgpr168
                                        ; implicit-def: $vgpr67
                                        ; implicit-def: $vgpr66
                                        ; implicit-def: $vgpr65
                                        ; implicit-def: $vgpr64
                                        ; implicit-def: $vgpr63
                                        ; implicit-def: $vgpr62
	s_movk_i32 s16, 0x1000
.LBB1937_685:                           ;   in Loop: Header=BB1937_682 Depth=2
	s_wait_xcnt 0x0
	v_lshl_add_u64 v[60:61], s[42:43], 1, v[26:27]
	s_wait_loadcnt 0xd
	v_dual_mov_b32 v141, -1 :: v_dual_mov_b32 v140, -1
	s_mov_b32 s15, exec_lo
	v_cmpx_gt_u32_e64 s53, v100
	s_cbranch_execz .LBB1937_687
; %bb.686:                              ;   in Loop: Header=BB1937_682 Depth=2
	global_load_u16 v140, v[60:61], off
.LBB1937_687:                           ;   in Loop: Header=BB1937_682 Depth=2
	s_wait_xcnt 0x0
	s_or_b32 exec_lo, exec_lo, s15
	s_delay_alu instid0(SALU_CYCLE_1)
	s_mov_b32 s15, exec_lo
	v_cmpx_gt_u32_e64 s53, v103
	s_cbranch_execz .LBB1937_689
; %bb.688:                              ;   in Loop: Header=BB1937_682 Depth=2
	global_load_u16 v141, v[60:61], off offset:64
.LBB1937_689:                           ;   in Loop: Header=BB1937_682 Depth=2
	s_wait_xcnt 0x0
	s_or_b32 exec_lo, exec_lo, s15
	s_wait_loadcnt 0xb
	v_dual_mov_b32 v148, -1 :: v_dual_mov_b32 v144, -1
	s_mov_b32 s15, exec_lo
	v_cmpx_gt_u32_e64 s53, v104
	s_cbranch_execz .LBB1937_691
; %bb.690:                              ;   in Loop: Header=BB1937_682 Depth=2
	global_load_u16 v144, v[60:61], off offset:128
.LBB1937_691:                           ;   in Loop: Header=BB1937_682 Depth=2
	s_wait_xcnt 0x0
	s_or_b32 exec_lo, exec_lo, s15
	s_delay_alu instid0(SALU_CYCLE_1)
	s_mov_b32 s15, exec_lo
	v_cmpx_gt_u32_e64 s53, v105
	s_cbranch_execz .LBB1937_693
; %bb.692:                              ;   in Loop: Header=BB1937_682 Depth=2
	global_load_u16 v148, v[60:61], off offset:192
.LBB1937_693:                           ;   in Loop: Header=BB1937_682 Depth=2
	s_wait_xcnt 0x0
	s_or_b32 exec_lo, exec_lo, s15
	s_wait_loadcnt 0x9
	v_dual_mov_b32 v156, -1 :: v_dual_mov_b32 v152, -1
	s_mov_b32 s15, exec_lo
	v_cmpx_gt_u32_e64 s53, v106
	s_cbranch_execz .LBB1937_695
; %bb.694:                              ;   in Loop: Header=BB1937_682 Depth=2
	global_load_u16 v152, v[60:61], off offset:256
.LBB1937_695:                           ;   in Loop: Header=BB1937_682 Depth=2
	;; [unrolled: 19-line block ×6, first 2 shown]
	s_wait_xcnt 0x0
	s_or_b32 exec_lo, exec_lo, s15
	s_delay_alu instid0(SALU_CYCLE_1)
	s_mov_b32 s15, exec_lo
	v_cmpx_gt_u32_e64 s53, v115
	s_cbranch_execz .LBB1937_713
; %bb.712:                              ;   in Loop: Header=BB1937_682 Depth=2
	global_load_u16 v63, v[60:61], off offset:832
.LBB1937_713:                           ;   in Loop: Header=BB1937_682 Depth=2
	s_wait_xcnt 0x0
	s_or_b32 exec_lo, exec_lo, s15
	s_wait_loadcnt 0x0
	v_mov_b32_e32 v62, -1
	s_mov_b32 s15, exec_lo
	v_cmpx_gt_u32_e64 s53, v116
	s_cbranch_execz .LBB1937_715
; %bb.714:                              ;   in Loop: Header=BB1937_682 Depth=2
	global_load_u16 v62, v[60:61], off offset:896
.LBB1937_715:                           ;   in Loop: Header=BB1937_682 Depth=2
	s_wait_xcnt 0x0
	s_or_b32 exec_lo, exec_lo, s15
	v_cmp_gt_u32_e64 s15, s53, v117
	s_sub_co_i32 s16, s51, s42
.LBB1937_716:                           ;   in Loop: Header=BB1937_682 Depth=2
	s_wait_xcnt 0x0
	v_dual_mov_b32 v60, -1 :: v_dual_mov_b32 v139, s53
	s_and_saveexec_b32 s17, s15
	s_cbranch_execz .LBB1937_718
; %bb.717:                              ;   in Loop: Header=BB1937_682 Depth=2
	v_lshl_add_u64 v[60:61], s[42:43], 1, v[26:27]
	v_mov_b32_e32 v139, s16
	global_load_u16 v60, v[60:61], off offset:960
.LBB1937_718:                           ;   in Loop: Header=BB1937_682 Depth=2
	s_wait_xcnt 0x0
	s_or_b32 exec_lo, exec_lo, s17
	s_wait_loadcnt 0xe
	v_cmp_gt_i16_e64 vcc_lo, 0, v140
	ds_store_2addr_b32 v121, v5, v5 offset1:1
	ds_store_2addr_b32 v118, v5, v5 offset1:1
	;; [unrolled: 1-line block ×4, first 2 shown]
	ds_store_b32 v91, v5 offset:1088
	s_wait_loadcnt_dscnt 0x0
	s_barrier_signal -1
	v_cndmask_b32_e64 v61, 0x7fff, 0, vcc_lo
	s_barrier_wait -1
	; wave barrier
	s_delay_alu instid0(VALU_DEP_1) | instskip(NEXT) | instid1(VALU_DEP_1)
	v_xor_b32_e32 v140, v61, v140
	v_cmp_ne_u16_e64 vcc_lo, 0x8000, v140
	v_cndmask_b32_e32 v61, 0x7fff, v140, vcc_lo
	s_delay_alu instid0(VALU_DEP_1) | instskip(NEXT) | instid1(VALU_DEP_1)
	v_and_b32_e32 v61, 0xffff, v61
	v_lshrrev_b32_e32 v61, s49, v61
	s_delay_alu instid0(VALU_DEP_1) | instskip(SKIP_1) | instid1(VALU_DEP_2)
	v_bitop3_b32 v142, v61, 1, s52 bitop3:0x80
	v_and_b32_e32 v143, s52, v61
	v_add_co_u32 v61, s15, v142, -1
	s_delay_alu instid0(VALU_DEP_1) | instskip(NEXT) | instid1(VALU_DEP_3)
	v_cndmask_b32_e64 v142, 0, 1, s15
	v_lshlrev_b32_e32 v145, 30, v143
	s_delay_alu instid0(VALU_DEP_2) | instskip(NEXT) | instid1(VALU_DEP_2)
	v_cmp_ne_u32_e32 vcc_lo, 0, v142
	v_not_b32_e32 v142, v145
	s_delay_alu instid0(VALU_DEP_1) | instskip(SKIP_3) | instid1(VALU_DEP_4)
	v_dual_ashrrev_i32 v142, 31, v142 :: v_dual_lshlrev_b32 v146, 29, v143
	v_dual_lshlrev_b32 v147, 28, v143 :: v_dual_lshlrev_b32 v149, 27, v143
	v_lshlrev_b32_e32 v150, 26, v143
	v_cmp_gt_i32_e64 s15, 0, v145
	v_cmp_gt_i32_e64 s16, 0, v146
	v_not_b32_e32 v145, v146
	v_not_b32_e32 v146, v147
	v_dual_lshlrev_b32 v151, 25, v143 :: v_dual_lshlrev_b32 v153, 24, v143
	v_cmp_gt_i32_e64 s17, 0, v147
	v_cmp_gt_i32_e64 s18, 0, v149
	v_not_b32_e32 v147, v149
	v_not_b32_e32 v149, v150
	v_dual_ashrrev_i32 v146, 31, v146 :: v_dual_bitop2_b32 v61, vcc_lo, v61 bitop3:0x14
	v_dual_ashrrev_i32 v145, 31, v145 :: v_dual_bitop2_b32 v142, s15, v142 bitop3:0x14
	v_cmp_gt_i32_e64 s19, 0, v150
	v_cmp_gt_i32_e64 s20, 0, v151
	v_not_b32_e32 v150, v151
	v_not_b32_e32 v151, v153
	v_dual_ashrrev_i32 v147, 31, v147 :: v_dual_ashrrev_i32 v149, 31, v149
	v_xor_b32_e32 v145, s16, v145
	v_xor_b32_e32 v146, s17, v146
	v_bitop3_b32 v61, v61, v142, exec_lo bitop3:0x80
	v_cmp_gt_i32_e64 s21, 0, v153
	v_dual_ashrrev_i32 v142, 31, v150 :: v_dual_ashrrev_i32 v150, 31, v151
	v_xor_b32_e32 v147, s18, v147
	s_delay_alu instid0(VALU_DEP_4) | instskip(SKIP_3) | instid1(VALU_DEP_3)
	v_bitop3_b32 v61, v61, v146, v145 bitop3:0x80
	v_mul_u32_u24_e32 v143, 36, v143
	v_xor_b32_e32 v149, s19, v149
	v_xor_b32_e32 v142, s20, v142
	v_dual_add_nc_u32 v143, v23, v143 :: v_dual_bitop2_b32 v145, s21, v150 bitop3:0x14
	s_delay_alu instid0(VALU_DEP_3) | instskip(NEXT) | instid1(VALU_DEP_1)
	v_bitop3_b32 v61, v61, v149, v147 bitop3:0x80
	v_bitop3_b32 v61, v61, v145, v142 bitop3:0x80
	s_delay_alu instid0(VALU_DEP_1) | instskip(SKIP_1) | instid1(VALU_DEP_2)
	v_mbcnt_lo_u32_b32 v142, v61, 0
	v_cmp_ne_u32_e64 s15, 0, v61
	v_cmp_eq_u32_e32 vcc_lo, 0, v142
	s_and_b32 s16, s15, vcc_lo
	s_delay_alu instid0(SALU_CYCLE_1)
	s_and_saveexec_b32 s15, s16
; %bb.719:                              ;   in Loop: Header=BB1937_682 Depth=2
	v_bcnt_u32_b32 v61, v61, 0
	ds_store_b32 v143, v61 offset:1056
; %bb.720:                              ;   in Loop: Header=BB1937_682 Depth=2
	s_or_b32 exec_lo, exec_lo, s15
	v_cmp_gt_i16_e64 vcc_lo, 0, v141
	; wave barrier
	s_delay_alu instid0(VALU_DEP_1) | instskip(NEXT) | instid1(VALU_DEP_1)
	v_cndmask_b32_e64 v61, 0x7fff, 0, vcc_lo
	v_xor_b32_e32 v141, v61, v141
	s_delay_alu instid0(VALU_DEP_1) | instskip(SKIP_1) | instid1(VALU_DEP_1)
	v_cmp_ne_u16_e64 vcc_lo, 0x8000, v141
	v_cndmask_b32_e32 v61, 0x7fff, v141, vcc_lo
	v_and_b32_e32 v61, 0xffff, v61
	s_delay_alu instid0(VALU_DEP_1) | instskip(NEXT) | instid1(VALU_DEP_1)
	v_lshrrev_b32_e32 v61, s49, v61
	v_and_b32_e32 v147, s52, v61
	s_delay_alu instid0(VALU_DEP_1) | instskip(SKIP_2) | instid1(VALU_DEP_3)
	v_lshlrev_b32_e32 v149, 29, v147
	v_bitop3_b32 v145, v61, 1, s52 bitop3:0x80
	v_lshlrev_b32_e32 v146, 30, v147
	v_cmp_gt_i32_e64 s16, 0, v149
	s_delay_alu instid0(VALU_DEP_3) | instskip(NEXT) | instid1(VALU_DEP_1)
	v_add_co_u32 v61, s15, v145, -1
	v_cndmask_b32_e64 v145, 0, 1, s15
	s_delay_alu instid0(VALU_DEP_4) | instskip(NEXT) | instid1(VALU_DEP_2)
	v_cmp_gt_i32_e64 s15, 0, v146
	v_cmp_ne_u32_e32 vcc_lo, 0, v145
	v_not_b32_e32 v145, v146
	v_not_b32_e32 v146, v149
	s_delay_alu instid0(VALU_DEP_1) | instskip(SKIP_2) | instid1(VALU_DEP_3)
	v_dual_ashrrev_i32 v146, 31, v146 :: v_dual_lshlrev_b32 v150, 28, v147
	v_dual_lshlrev_b32 v151, 27, v147 :: v_dual_lshlrev_b32 v153, 26, v147
	v_dual_lshlrev_b32 v154, 25, v147 :: v_dual_lshlrev_b32 v155, 24, v147
	v_cmp_gt_i32_e64 s17, 0, v150
	v_not_b32_e32 v149, v150
	s_delay_alu instid0(VALU_DEP_4)
	v_not_b32_e32 v150, v151
	v_ashrrev_i32_e32 v145, 31, v145
	v_cmp_gt_i32_e64 s18, 0, v151
	v_cmp_gt_i32_e64 s19, 0, v153
	v_not_b32_e32 v151, v153
	v_cmp_gt_i32_e64 s20, 0, v154
	v_not_b32_e32 v153, v154
	v_not_b32_e32 v154, v155
	s_delay_alu instid0(VALU_DEP_4) | instskip(SKIP_3) | instid1(VALU_DEP_3)
	v_dual_ashrrev_i32 v151, 31, v151 :: v_dual_bitop2_b32 v61, vcc_lo, v61 bitop3:0x14
	v_dual_ashrrev_i32 v149, 31, v149 :: v_dual_bitop2_b32 v146, s16, v146 bitop3:0x14
	v_dual_ashrrev_i32 v150, 31, v150 :: v_dual_bitop2_b32 v145, s15, v145 bitop3:0x14
	v_cmp_gt_i32_e64 s21, 0, v155
	v_xor_b32_e32 v149, s17, v149
	v_xor_b32_e32 v151, s19, v151
	s_delay_alu instid0(VALU_DEP_4) | instskip(SKIP_2) | instid1(VALU_DEP_2)
	v_xor_b32_e32 v150, s18, v150
	v_bitop3_b32 v61, v61, v145, exec_lo bitop3:0x80
	v_dual_ashrrev_i32 v145, 31, v153 :: v_dual_ashrrev_i32 v153, 31, v154
	v_bitop3_b32 v61, v61, v149, v146 bitop3:0x80
	v_mad_u32_u24 v146, v147, 36, v23
	s_delay_alu instid0(VALU_DEP_3) | instskip(NEXT) | instid1(VALU_DEP_4)
	v_xor_b32_e32 v149, s20, v145
	v_xor_b32_e32 v153, s21, v153
	v_mul_u32_u24_e32 v147, 36, v147
	v_bitop3_b32 v61, v61, v151, v150 bitop3:0x80
	ds_load_b32 v145, v146 offset:1056
	; wave barrier
	v_add_nc_u32_e32 v147, v23, v147
	v_bitop3_b32 v61, v61, v153, v149 bitop3:0x80
	s_delay_alu instid0(VALU_DEP_1) | instskip(SKIP_1) | instid1(VALU_DEP_2)
	v_mbcnt_lo_u32_b32 v146, v61, 0
	v_cmp_ne_u32_e64 s15, 0, v61
	v_cmp_eq_u32_e32 vcc_lo, 0, v146
	s_and_b32 s16, s15, vcc_lo
	s_delay_alu instid0(SALU_CYCLE_1)
	s_and_saveexec_b32 s15, s16
	s_cbranch_execz .LBB1937_722
; %bb.721:                              ;   in Loop: Header=BB1937_682 Depth=2
	s_wait_dscnt 0x0
	v_bcnt_u32_b32 v61, v61, v145
	ds_store_b32 v147, v61 offset:1056
.LBB1937_722:                           ;   in Loop: Header=BB1937_682 Depth=2
	s_or_b32 exec_lo, exec_lo, s15
	v_cmp_gt_i16_e64 vcc_lo, 0, v144
	; wave barrier
	s_delay_alu instid0(VALU_DEP_1) | instskip(NEXT) | instid1(VALU_DEP_1)
	v_cndmask_b32_e64 v61, 0x7fff, 0, vcc_lo
	v_xor_b32_e32 v144, v61, v144
	s_delay_alu instid0(VALU_DEP_1) | instskip(SKIP_1) | instid1(VALU_DEP_1)
	v_cmp_ne_u16_e64 vcc_lo, 0x8000, v144
	v_cndmask_b32_e32 v61, 0x7fff, v144, vcc_lo
	v_and_b32_e32 v61, 0xffff, v61
	s_delay_alu instid0(VALU_DEP_1) | instskip(NEXT) | instid1(VALU_DEP_1)
	v_lshrrev_b32_e32 v61, s49, v61
	v_bitop3_b32 v149, v61, 1, s52 bitop3:0x80
	v_and_b32_e32 v151, s52, v61
	s_delay_alu instid0(VALU_DEP_2) | instskip(NEXT) | instid1(VALU_DEP_1)
	v_add_co_u32 v61, s15, v149, -1
	v_cndmask_b32_e64 v149, 0, 1, s15
	s_delay_alu instid0(VALU_DEP_3) | instskip(NEXT) | instid1(VALU_DEP_2)
	v_dual_lshlrev_b32 v150, 30, v151 :: v_dual_lshlrev_b32 v153, 29, v151
	v_cmp_ne_u32_e32 vcc_lo, 0, v149
	s_delay_alu instid0(VALU_DEP_2) | instskip(SKIP_1) | instid1(VALU_DEP_4)
	v_cmp_gt_i32_e64 s15, 0, v150
	v_not_b32_e32 v149, v150
	v_not_b32_e32 v150, v153
	s_delay_alu instid0(VALU_DEP_1) | instskip(SKIP_3) | instid1(VALU_DEP_4)
	v_dual_ashrrev_i32 v150, 31, v150 :: v_dual_lshlrev_b32 v154, 28, v151
	v_dual_lshlrev_b32 v155, 27, v151 :: v_dual_lshlrev_b32 v157, 26, v151
	v_dual_lshlrev_b32 v158, 25, v151 :: v_dual_lshlrev_b32 v159, 24, v151
	v_cmp_gt_i32_e64 s16, 0, v153
	v_cmp_gt_i32_e64 s17, 0, v154
	v_not_b32_e32 v153, v154
	v_not_b32_e32 v154, v155
	v_ashrrev_i32_e32 v149, 31, v149
	v_cmp_gt_i32_e64 s18, 0, v155
	v_cmp_gt_i32_e64 s19, 0, v157
	v_not_b32_e32 v155, v157
	v_cmp_gt_i32_e64 s20, 0, v158
	v_not_b32_e32 v157, v158
	v_not_b32_e32 v158, v159
	s_delay_alu instid0(VALU_DEP_4) | instskip(SKIP_3) | instid1(VALU_DEP_3)
	v_dual_ashrrev_i32 v155, 31, v155 :: v_dual_bitop2_b32 v61, vcc_lo, v61 bitop3:0x14
	v_dual_ashrrev_i32 v153, 31, v153 :: v_dual_bitop2_b32 v150, s16, v150 bitop3:0x14
	v_dual_ashrrev_i32 v154, 31, v154 :: v_dual_bitop2_b32 v149, s15, v149 bitop3:0x14
	v_cmp_gt_i32_e64 s21, 0, v159
	v_xor_b32_e32 v153, s17, v153
	v_xor_b32_e32 v155, s19, v155
	s_delay_alu instid0(VALU_DEP_4) | instskip(SKIP_2) | instid1(VALU_DEP_2)
	v_xor_b32_e32 v154, s18, v154
	v_bitop3_b32 v61, v61, v149, exec_lo bitop3:0x80
	v_dual_ashrrev_i32 v149, 31, v157 :: v_dual_ashrrev_i32 v157, 31, v158
	v_bitop3_b32 v61, v61, v153, v150 bitop3:0x80
	v_mad_u32_u24 v150, v151, 36, v23
	s_delay_alu instid0(VALU_DEP_3) | instskip(NEXT) | instid1(VALU_DEP_4)
	v_xor_b32_e32 v153, s20, v149
	v_xor_b32_e32 v157, s21, v157
	v_mul_u32_u24_e32 v151, 36, v151
	v_bitop3_b32 v61, v61, v155, v154 bitop3:0x80
	ds_load_b32 v149, v150 offset:1056
	; wave barrier
	v_add_nc_u32_e32 v151, v23, v151
	v_bitop3_b32 v61, v61, v157, v153 bitop3:0x80
	s_delay_alu instid0(VALU_DEP_1) | instskip(SKIP_1) | instid1(VALU_DEP_2)
	v_mbcnt_lo_u32_b32 v150, v61, 0
	v_cmp_ne_u32_e64 s15, 0, v61
	v_cmp_eq_u32_e32 vcc_lo, 0, v150
	s_and_b32 s16, s15, vcc_lo
	s_delay_alu instid0(SALU_CYCLE_1)
	s_and_saveexec_b32 s15, s16
	s_cbranch_execz .LBB1937_724
; %bb.723:                              ;   in Loop: Header=BB1937_682 Depth=2
	s_wait_dscnt 0x0
	v_bcnt_u32_b32 v61, v61, v149
	ds_store_b32 v151, v61 offset:1056
.LBB1937_724:                           ;   in Loop: Header=BB1937_682 Depth=2
	s_or_b32 exec_lo, exec_lo, s15
	v_cmp_gt_i16_e64 vcc_lo, 0, v148
	; wave barrier
	s_delay_alu instid0(VALU_DEP_1) | instskip(NEXT) | instid1(VALU_DEP_1)
	v_cndmask_b32_e64 v61, 0x7fff, 0, vcc_lo
	v_xor_b32_e32 v148, v61, v148
	s_delay_alu instid0(VALU_DEP_1) | instskip(SKIP_1) | instid1(VALU_DEP_1)
	v_cmp_ne_u16_e64 vcc_lo, 0x8000, v148
	v_cndmask_b32_e32 v61, 0x7fff, v148, vcc_lo
	v_and_b32_e32 v61, 0xffff, v61
	s_delay_alu instid0(VALU_DEP_1) | instskip(NEXT) | instid1(VALU_DEP_1)
	v_lshrrev_b32_e32 v61, s49, v61
	v_bitop3_b32 v153, v61, 1, s52 bitop3:0x80
	v_and_b32_e32 v155, s52, v61
	s_delay_alu instid0(VALU_DEP_2) | instskip(NEXT) | instid1(VALU_DEP_1)
	v_add_co_u32 v61, s15, v153, -1
	v_cndmask_b32_e64 v153, 0, 1, s15
	s_delay_alu instid0(VALU_DEP_3) | instskip(NEXT) | instid1(VALU_DEP_2)
	v_dual_lshlrev_b32 v154, 30, v155 :: v_dual_lshlrev_b32 v157, 29, v155
	v_cmp_ne_u32_e32 vcc_lo, 0, v153
	s_delay_alu instid0(VALU_DEP_2) | instskip(SKIP_1) | instid1(VALU_DEP_4)
	v_cmp_gt_i32_e64 s15, 0, v154
	v_not_b32_e32 v153, v154
	v_not_b32_e32 v154, v157
	s_delay_alu instid0(VALU_DEP_1) | instskip(SKIP_3) | instid1(VALU_DEP_4)
	v_dual_ashrrev_i32 v154, 31, v154 :: v_dual_lshlrev_b32 v158, 28, v155
	v_dual_lshlrev_b32 v159, 27, v155 :: v_dual_lshlrev_b32 v161, 26, v155
	v_dual_lshlrev_b32 v162, 25, v155 :: v_dual_lshlrev_b32 v163, 24, v155
	v_cmp_gt_i32_e64 s16, 0, v157
	v_cmp_gt_i32_e64 s17, 0, v158
	v_not_b32_e32 v157, v158
	v_not_b32_e32 v158, v159
	v_ashrrev_i32_e32 v153, 31, v153
	v_cmp_gt_i32_e64 s18, 0, v159
	v_cmp_gt_i32_e64 s19, 0, v161
	v_not_b32_e32 v159, v161
	v_cmp_gt_i32_e64 s20, 0, v162
	v_not_b32_e32 v161, v162
	v_not_b32_e32 v162, v163
	s_delay_alu instid0(VALU_DEP_4) | instskip(SKIP_3) | instid1(VALU_DEP_3)
	v_dual_ashrrev_i32 v159, 31, v159 :: v_dual_bitop2_b32 v61, vcc_lo, v61 bitop3:0x14
	v_dual_ashrrev_i32 v157, 31, v157 :: v_dual_bitop2_b32 v154, s16, v154 bitop3:0x14
	v_dual_ashrrev_i32 v158, 31, v158 :: v_dual_bitop2_b32 v153, s15, v153 bitop3:0x14
	v_cmp_gt_i32_e64 s21, 0, v163
	v_xor_b32_e32 v157, s17, v157
	v_xor_b32_e32 v159, s19, v159
	s_delay_alu instid0(VALU_DEP_4) | instskip(SKIP_2) | instid1(VALU_DEP_2)
	v_xor_b32_e32 v158, s18, v158
	v_bitop3_b32 v61, v61, v153, exec_lo bitop3:0x80
	v_dual_ashrrev_i32 v153, 31, v161 :: v_dual_ashrrev_i32 v161, 31, v162
	v_bitop3_b32 v61, v61, v157, v154 bitop3:0x80
	v_mad_u32_u24 v154, v155, 36, v23
	s_delay_alu instid0(VALU_DEP_3) | instskip(NEXT) | instid1(VALU_DEP_4)
	v_xor_b32_e32 v157, s20, v153
	v_xor_b32_e32 v161, s21, v161
	v_mul_u32_u24_e32 v155, 36, v155
	v_bitop3_b32 v61, v61, v159, v158 bitop3:0x80
	ds_load_b32 v153, v154 offset:1056
	; wave barrier
	v_add_nc_u32_e32 v155, v23, v155
	v_bitop3_b32 v61, v61, v161, v157 bitop3:0x80
	s_delay_alu instid0(VALU_DEP_1) | instskip(SKIP_1) | instid1(VALU_DEP_2)
	v_mbcnt_lo_u32_b32 v154, v61, 0
	v_cmp_ne_u32_e64 s15, 0, v61
	v_cmp_eq_u32_e32 vcc_lo, 0, v154
	s_and_b32 s16, s15, vcc_lo
	s_delay_alu instid0(SALU_CYCLE_1)
	s_and_saveexec_b32 s15, s16
	s_cbranch_execz .LBB1937_726
; %bb.725:                              ;   in Loop: Header=BB1937_682 Depth=2
	s_wait_dscnt 0x0
	v_bcnt_u32_b32 v61, v61, v153
	ds_store_b32 v155, v61 offset:1056
.LBB1937_726:                           ;   in Loop: Header=BB1937_682 Depth=2
	s_or_b32 exec_lo, exec_lo, s15
	v_cmp_gt_i16_e64 vcc_lo, 0, v152
	; wave barrier
	s_delay_alu instid0(VALU_DEP_1) | instskip(NEXT) | instid1(VALU_DEP_1)
	v_cndmask_b32_e64 v61, 0x7fff, 0, vcc_lo
	v_xor_b32_e32 v152, v61, v152
	s_delay_alu instid0(VALU_DEP_1) | instskip(SKIP_1) | instid1(VALU_DEP_1)
	v_cmp_ne_u16_e64 vcc_lo, 0x8000, v152
	v_cndmask_b32_e32 v61, 0x7fff, v152, vcc_lo
	v_and_b32_e32 v61, 0xffff, v61
	s_delay_alu instid0(VALU_DEP_1) | instskip(NEXT) | instid1(VALU_DEP_1)
	v_lshrrev_b32_e32 v61, s49, v61
	v_bitop3_b32 v157, v61, 1, s52 bitop3:0x80
	v_and_b32_e32 v159, s52, v61
	s_delay_alu instid0(VALU_DEP_2) | instskip(NEXT) | instid1(VALU_DEP_1)
	v_add_co_u32 v61, s15, v157, -1
	v_cndmask_b32_e64 v157, 0, 1, s15
	s_delay_alu instid0(VALU_DEP_3) | instskip(NEXT) | instid1(VALU_DEP_2)
	v_dual_lshlrev_b32 v158, 30, v159 :: v_dual_lshlrev_b32 v161, 29, v159
	v_cmp_ne_u32_e32 vcc_lo, 0, v157
	s_delay_alu instid0(VALU_DEP_2) | instskip(SKIP_1) | instid1(VALU_DEP_4)
	v_cmp_gt_i32_e64 s15, 0, v158
	v_not_b32_e32 v157, v158
	v_not_b32_e32 v158, v161
	s_delay_alu instid0(VALU_DEP_1) | instskip(SKIP_3) | instid1(VALU_DEP_4)
	v_dual_ashrrev_i32 v158, 31, v158 :: v_dual_lshlrev_b32 v162, 28, v159
	v_dual_lshlrev_b32 v163, 27, v159 :: v_dual_lshlrev_b32 v165, 26, v159
	v_dual_lshlrev_b32 v166, 25, v159 :: v_dual_lshlrev_b32 v167, 24, v159
	v_cmp_gt_i32_e64 s16, 0, v161
	v_cmp_gt_i32_e64 s17, 0, v162
	v_not_b32_e32 v161, v162
	v_not_b32_e32 v162, v163
	v_ashrrev_i32_e32 v157, 31, v157
	v_cmp_gt_i32_e64 s18, 0, v163
	v_cmp_gt_i32_e64 s19, 0, v165
	v_not_b32_e32 v163, v165
	v_cmp_gt_i32_e64 s20, 0, v166
	v_not_b32_e32 v165, v166
	v_not_b32_e32 v166, v167
	s_delay_alu instid0(VALU_DEP_4) | instskip(SKIP_3) | instid1(VALU_DEP_3)
	v_dual_ashrrev_i32 v163, 31, v163 :: v_dual_bitop2_b32 v61, vcc_lo, v61 bitop3:0x14
	v_dual_ashrrev_i32 v161, 31, v161 :: v_dual_bitop2_b32 v158, s16, v158 bitop3:0x14
	v_dual_ashrrev_i32 v162, 31, v162 :: v_dual_bitop2_b32 v157, s15, v157 bitop3:0x14
	v_cmp_gt_i32_e64 s21, 0, v167
	v_xor_b32_e32 v161, s17, v161
	v_xor_b32_e32 v163, s19, v163
	s_delay_alu instid0(VALU_DEP_4) | instskip(SKIP_2) | instid1(VALU_DEP_2)
	v_xor_b32_e32 v162, s18, v162
	v_bitop3_b32 v61, v61, v157, exec_lo bitop3:0x80
	v_dual_ashrrev_i32 v157, 31, v165 :: v_dual_ashrrev_i32 v165, 31, v166
	v_bitop3_b32 v61, v61, v161, v158 bitop3:0x80
	v_mad_u32_u24 v158, v159, 36, v23
	s_delay_alu instid0(VALU_DEP_3) | instskip(NEXT) | instid1(VALU_DEP_4)
	v_xor_b32_e32 v161, s20, v157
	v_xor_b32_e32 v165, s21, v165
	v_mul_u32_u24_e32 v159, 36, v159
	v_bitop3_b32 v61, v61, v163, v162 bitop3:0x80
	ds_load_b32 v157, v158 offset:1056
	; wave barrier
	v_add_nc_u32_e32 v159, v23, v159
	v_bitop3_b32 v61, v61, v165, v161 bitop3:0x80
	s_delay_alu instid0(VALU_DEP_1) | instskip(SKIP_1) | instid1(VALU_DEP_2)
	v_mbcnt_lo_u32_b32 v158, v61, 0
	v_cmp_ne_u32_e64 s15, 0, v61
	v_cmp_eq_u32_e32 vcc_lo, 0, v158
	s_and_b32 s16, s15, vcc_lo
	s_delay_alu instid0(SALU_CYCLE_1)
	s_and_saveexec_b32 s15, s16
	s_cbranch_execz .LBB1937_728
; %bb.727:                              ;   in Loop: Header=BB1937_682 Depth=2
	s_wait_dscnt 0x0
	v_bcnt_u32_b32 v61, v61, v157
	ds_store_b32 v159, v61 offset:1056
.LBB1937_728:                           ;   in Loop: Header=BB1937_682 Depth=2
	s_or_b32 exec_lo, exec_lo, s15
	v_cmp_gt_i16_e64 vcc_lo, 0, v156
	; wave barrier
	s_delay_alu instid0(VALU_DEP_1) | instskip(NEXT) | instid1(VALU_DEP_1)
	v_cndmask_b32_e64 v61, 0x7fff, 0, vcc_lo
	v_xor_b32_e32 v156, v61, v156
	s_delay_alu instid0(VALU_DEP_1) | instskip(SKIP_1) | instid1(VALU_DEP_1)
	v_cmp_ne_u16_e64 vcc_lo, 0x8000, v156
	v_cndmask_b32_e32 v61, 0x7fff, v156, vcc_lo
	v_and_b32_e32 v61, 0xffff, v61
	s_delay_alu instid0(VALU_DEP_1) | instskip(NEXT) | instid1(VALU_DEP_1)
	v_lshrrev_b32_e32 v61, s49, v61
	v_bitop3_b32 v161, v61, 1, s52 bitop3:0x80
	v_and_b32_e32 v163, s52, v61
	s_delay_alu instid0(VALU_DEP_2) | instskip(NEXT) | instid1(VALU_DEP_1)
	v_add_co_u32 v61, s15, v161, -1
	v_cndmask_b32_e64 v161, 0, 1, s15
	s_delay_alu instid0(VALU_DEP_3) | instskip(NEXT) | instid1(VALU_DEP_2)
	v_dual_lshlrev_b32 v162, 30, v163 :: v_dual_lshlrev_b32 v165, 29, v163
	v_cmp_ne_u32_e32 vcc_lo, 0, v161
	s_delay_alu instid0(VALU_DEP_2) | instskip(SKIP_1) | instid1(VALU_DEP_4)
	v_cmp_gt_i32_e64 s15, 0, v162
	v_not_b32_e32 v161, v162
	v_not_b32_e32 v162, v165
	s_delay_alu instid0(VALU_DEP_1) | instskip(SKIP_3) | instid1(VALU_DEP_4)
	v_dual_ashrrev_i32 v162, 31, v162 :: v_dual_lshlrev_b32 v166, 28, v163
	v_dual_lshlrev_b32 v167, 27, v163 :: v_dual_lshlrev_b32 v169, 26, v163
	v_dual_lshlrev_b32 v170, 25, v163 :: v_dual_lshlrev_b32 v171, 24, v163
	v_cmp_gt_i32_e64 s16, 0, v165
	v_cmp_gt_i32_e64 s17, 0, v166
	v_not_b32_e32 v165, v166
	v_not_b32_e32 v166, v167
	v_ashrrev_i32_e32 v161, 31, v161
	v_cmp_gt_i32_e64 s18, 0, v167
	v_cmp_gt_i32_e64 s19, 0, v169
	v_not_b32_e32 v167, v169
	v_cmp_gt_i32_e64 s20, 0, v170
	v_not_b32_e32 v169, v170
	v_not_b32_e32 v170, v171
	s_delay_alu instid0(VALU_DEP_4) | instskip(SKIP_3) | instid1(VALU_DEP_3)
	v_dual_ashrrev_i32 v167, 31, v167 :: v_dual_bitop2_b32 v61, vcc_lo, v61 bitop3:0x14
	v_dual_ashrrev_i32 v165, 31, v165 :: v_dual_bitop2_b32 v162, s16, v162 bitop3:0x14
	v_dual_ashrrev_i32 v166, 31, v166 :: v_dual_bitop2_b32 v161, s15, v161 bitop3:0x14
	v_cmp_gt_i32_e64 s21, 0, v171
	v_xor_b32_e32 v165, s17, v165
	v_xor_b32_e32 v167, s19, v167
	s_delay_alu instid0(VALU_DEP_4) | instskip(SKIP_2) | instid1(VALU_DEP_2)
	v_xor_b32_e32 v166, s18, v166
	v_bitop3_b32 v61, v61, v161, exec_lo bitop3:0x80
	v_dual_ashrrev_i32 v161, 31, v169 :: v_dual_ashrrev_i32 v169, 31, v170
	v_bitop3_b32 v61, v61, v165, v162 bitop3:0x80
	v_mad_u32_u24 v162, v163, 36, v23
	s_delay_alu instid0(VALU_DEP_3) | instskip(NEXT) | instid1(VALU_DEP_4)
	v_xor_b32_e32 v165, s20, v161
	v_xor_b32_e32 v169, s21, v169
	v_mul_u32_u24_e32 v163, 36, v163
	v_bitop3_b32 v61, v61, v167, v166 bitop3:0x80
	ds_load_b32 v161, v162 offset:1056
	; wave barrier
	v_add_nc_u32_e32 v163, v23, v163
	v_bitop3_b32 v61, v61, v169, v165 bitop3:0x80
	s_delay_alu instid0(VALU_DEP_1) | instskip(SKIP_1) | instid1(VALU_DEP_2)
	v_mbcnt_lo_u32_b32 v162, v61, 0
	v_cmp_ne_u32_e64 s15, 0, v61
	v_cmp_eq_u32_e32 vcc_lo, 0, v162
	s_and_b32 s16, s15, vcc_lo
	s_delay_alu instid0(SALU_CYCLE_1)
	s_and_saveexec_b32 s15, s16
	s_cbranch_execz .LBB1937_730
; %bb.729:                              ;   in Loop: Header=BB1937_682 Depth=2
	s_wait_dscnt 0x0
	v_bcnt_u32_b32 v61, v61, v161
	ds_store_b32 v163, v61 offset:1056
.LBB1937_730:                           ;   in Loop: Header=BB1937_682 Depth=2
	s_or_b32 exec_lo, exec_lo, s15
	v_cmp_gt_i16_e64 vcc_lo, 0, v160
	; wave barrier
	s_delay_alu instid0(VALU_DEP_1) | instskip(NEXT) | instid1(VALU_DEP_1)
	v_cndmask_b32_e64 v61, 0x7fff, 0, vcc_lo
	v_xor_b32_e32 v160, v61, v160
	s_delay_alu instid0(VALU_DEP_1) | instskip(SKIP_1) | instid1(VALU_DEP_1)
	v_cmp_ne_u16_e64 vcc_lo, 0x8000, v160
	v_cndmask_b32_e32 v61, 0x7fff, v160, vcc_lo
	v_and_b32_e32 v61, 0xffff, v61
	s_delay_alu instid0(VALU_DEP_1) | instskip(NEXT) | instid1(VALU_DEP_1)
	v_lshrrev_b32_e32 v61, s49, v61
	v_bitop3_b32 v165, v61, 1, s52 bitop3:0x80
	v_and_b32_e32 v167, s52, v61
	s_delay_alu instid0(VALU_DEP_2) | instskip(NEXT) | instid1(VALU_DEP_1)
	v_add_co_u32 v61, s15, v165, -1
	v_cndmask_b32_e64 v165, 0, 1, s15
	s_delay_alu instid0(VALU_DEP_3) | instskip(NEXT) | instid1(VALU_DEP_2)
	v_dual_lshlrev_b32 v166, 30, v167 :: v_dual_lshlrev_b32 v169, 29, v167
	v_cmp_ne_u32_e32 vcc_lo, 0, v165
	s_delay_alu instid0(VALU_DEP_2) | instskip(SKIP_1) | instid1(VALU_DEP_4)
	v_cmp_gt_i32_e64 s15, 0, v166
	v_not_b32_e32 v165, v166
	v_not_b32_e32 v166, v169
	s_delay_alu instid0(VALU_DEP_1) | instskip(SKIP_3) | instid1(VALU_DEP_4)
	v_dual_ashrrev_i32 v166, 31, v166 :: v_dual_lshlrev_b32 v170, 28, v167
	v_dual_lshlrev_b32 v171, 27, v167 :: v_dual_lshlrev_b32 v172, 26, v167
	v_cmp_gt_i32_e64 s16, 0, v169
	v_dual_lshlrev_b32 v173, 25, v167 :: v_dual_lshlrev_b32 v174, 24, v167
	v_cmp_gt_i32_e64 s17, 0, v170
	v_not_b32_e32 v169, v170
	v_not_b32_e32 v170, v171
	v_ashrrev_i32_e32 v165, 31, v165
	v_cmp_gt_i32_e64 s18, 0, v171
	v_not_b32_e32 v171, v172
	v_xor_b32_e32 v61, vcc_lo, v61
	v_dual_ashrrev_i32 v169, 31, v169 :: v_dual_bitop2_b32 v166, s16, v166 bitop3:0x14
	v_dual_ashrrev_i32 v170, 31, v170 :: v_dual_bitop2_b32 v165, s15, v165 bitop3:0x14
	v_cmp_gt_i32_e64 s19, 0, v172
	v_cmp_gt_i32_e64 s20, 0, v173
	v_not_b32_e32 v172, v173
	v_not_b32_e32 v173, v174
	v_dual_ashrrev_i32 v171, 31, v171 :: v_dual_bitop2_b32 v169, s17, v169 bitop3:0x14
	v_bitop3_b32 v61, v61, v165, exec_lo bitop3:0x80
	v_cmp_gt_i32_e64 s21, 0, v174
	s_delay_alu instid0(VALU_DEP_4)
	v_dual_ashrrev_i32 v165, 31, v172 :: v_dual_ashrrev_i32 v172, 31, v173
	v_xor_b32_e32 v170, s18, v170
	v_xor_b32_e32 v171, s19, v171
	v_bitop3_b32 v61, v61, v169, v166 bitop3:0x80
	v_mad_u32_u24 v166, v167, 36, v23
	v_xor_b32_e32 v169, s20, v165
	v_xor_b32_e32 v172, s21, v172
	v_mul_u32_u24_e32 v167, 36, v167
	v_bitop3_b32 v61, v61, v171, v170 bitop3:0x80
	ds_load_b32 v165, v166 offset:1056
	; wave barrier
	v_add_nc_u32_e32 v167, v23, v167
	v_bitop3_b32 v61, v61, v172, v169 bitop3:0x80
	s_delay_alu instid0(VALU_DEP_1) | instskip(SKIP_1) | instid1(VALU_DEP_2)
	v_mbcnt_lo_u32_b32 v166, v61, 0
	v_cmp_ne_u32_e64 s15, 0, v61
	v_cmp_eq_u32_e32 vcc_lo, 0, v166
	s_and_b32 s16, s15, vcc_lo
	s_delay_alu instid0(SALU_CYCLE_1)
	s_and_saveexec_b32 s15, s16
	s_cbranch_execz .LBB1937_732
; %bb.731:                              ;   in Loop: Header=BB1937_682 Depth=2
	s_wait_dscnt 0x0
	v_bcnt_u32_b32 v61, v61, v165
	ds_store_b32 v167, v61 offset:1056
.LBB1937_732:                           ;   in Loop: Header=BB1937_682 Depth=2
	s_or_b32 exec_lo, exec_lo, s15
	v_cmp_gt_i16_e64 vcc_lo, 0, v164
	; wave barrier
	s_delay_alu instid0(VALU_DEP_1) | instskip(NEXT) | instid1(VALU_DEP_1)
	v_cndmask_b32_e64 v61, 0x7fff, 0, vcc_lo
	v_xor_b32_e32 v164, v61, v164
	s_delay_alu instid0(VALU_DEP_1) | instskip(SKIP_1) | instid1(VALU_DEP_1)
	v_cmp_ne_u16_e64 vcc_lo, 0x8000, v164
	v_cndmask_b32_e32 v61, 0x7fff, v164, vcc_lo
	v_and_b32_e32 v61, 0xffff, v61
	s_delay_alu instid0(VALU_DEP_1) | instskip(NEXT) | instid1(VALU_DEP_1)
	v_lshrrev_b32_e32 v61, s49, v61
	v_bitop3_b32 v169, v61, 1, s52 bitop3:0x80
	v_and_b32_e32 v171, s52, v61
	s_delay_alu instid0(VALU_DEP_2) | instskip(NEXT) | instid1(VALU_DEP_1)
	v_add_co_u32 v61, s15, v169, -1
	v_cndmask_b32_e64 v169, 0, 1, s15
	s_delay_alu instid0(VALU_DEP_3) | instskip(NEXT) | instid1(VALU_DEP_2)
	v_dual_lshlrev_b32 v170, 30, v171 :: v_dual_lshlrev_b32 v172, 29, v171
	v_cmp_ne_u32_e32 vcc_lo, 0, v169
	s_delay_alu instid0(VALU_DEP_2) | instskip(SKIP_1) | instid1(VALU_DEP_4)
	v_cmp_gt_i32_e64 s15, 0, v170
	v_not_b32_e32 v169, v170
	v_not_b32_e32 v170, v172
	s_delay_alu instid0(VALU_DEP_1) | instskip(SKIP_3) | instid1(VALU_DEP_4)
	v_dual_ashrrev_i32 v170, 31, v170 :: v_dual_lshlrev_b32 v173, 28, v171
	v_dual_lshlrev_b32 v174, 27, v171 :: v_dual_lshlrev_b32 v175, 26, v171
	v_dual_lshlrev_b32 v176, 25, v171 :: v_dual_lshlrev_b32 v177, 24, v171
	v_cmp_gt_i32_e64 s16, 0, v172
	v_not_b32_e32 v172, v173
	v_ashrrev_i32_e32 v169, 31, v169
	v_cmp_gt_i32_e64 s17, 0, v173
	v_cmp_gt_i32_e64 s18, 0, v174
	v_not_b32_e32 v173, v174
	v_cmp_gt_i32_e64 s19, 0, v175
	v_not_b32_e32 v174, v175
	;; [unrolled: 2-line block ×3, first 2 shown]
	v_not_b32_e32 v176, v177
	s_delay_alu instid0(VALU_DEP_4) | instskip(SKIP_3) | instid1(VALU_DEP_3)
	v_dual_ashrrev_i32 v174, 31, v174 :: v_dual_bitop2_b32 v61, vcc_lo, v61 bitop3:0x14
	v_dual_ashrrev_i32 v172, 31, v172 :: v_dual_bitop2_b32 v169, s15, v169 bitop3:0x14
	v_dual_ashrrev_i32 v173, 31, v173 :: v_dual_bitop2_b32 v170, s16, v170 bitop3:0x14
	v_cmp_gt_i32_e64 s21, 0, v177
	v_xor_b32_e32 v172, s17, v172
	s_delay_alu instid0(VALU_DEP_4) | instskip(SKIP_2) | instid1(VALU_DEP_3)
	v_bitop3_b32 v61, v61, v169, exec_lo bitop3:0x80
	v_dual_ashrrev_i32 v169, 31, v175 :: v_dual_ashrrev_i32 v175, 31, v176
	v_xor_b32_e32 v174, s19, v174
	v_bitop3_b32 v61, v61, v172, v170 bitop3:0x80
	v_mad_u32_u24 v170, v171, 36, v23
	v_mul_u32_u24_e32 v171, 36, v171
	v_xor_b32_e32 v173, s18, v173
	v_xor_b32_e32 v172, s20, v169
	v_xor_b32_e32 v175, s21, v175
	ds_load_b32 v169, v170 offset:1056
	v_add_nc_u32_e32 v171, v23, v171
	v_bitop3_b32 v61, v61, v174, v173 bitop3:0x80
	; wave barrier
	s_delay_alu instid0(VALU_DEP_1) | instskip(NEXT) | instid1(VALU_DEP_1)
	v_bitop3_b32 v61, v61, v175, v172 bitop3:0x80
	v_mbcnt_lo_u32_b32 v170, v61, 0
	v_cmp_ne_u32_e64 s15, 0, v61
	s_delay_alu instid0(VALU_DEP_2) | instskip(SKIP_1) | instid1(SALU_CYCLE_1)
	v_cmp_eq_u32_e32 vcc_lo, 0, v170
	s_and_b32 s16, s15, vcc_lo
	s_and_saveexec_b32 s15, s16
	s_cbranch_execz .LBB1937_734
; %bb.733:                              ;   in Loop: Header=BB1937_682 Depth=2
	s_wait_dscnt 0x0
	v_bcnt_u32_b32 v61, v61, v169
	ds_store_b32 v171, v61 offset:1056
.LBB1937_734:                           ;   in Loop: Header=BB1937_682 Depth=2
	s_or_b32 exec_lo, exec_lo, s15
	v_cmp_gt_i16_e64 vcc_lo, 0, v168
	; wave barrier
	s_delay_alu instid0(VALU_DEP_1) | instskip(NEXT) | instid1(VALU_DEP_1)
	v_cndmask_b32_e64 v61, 0x7fff, 0, vcc_lo
	v_xor_b32_e32 v168, v61, v168
	s_delay_alu instid0(VALU_DEP_1) | instskip(SKIP_1) | instid1(VALU_DEP_1)
	v_cmp_ne_u16_e64 vcc_lo, 0x8000, v168
	v_cndmask_b32_e32 v61, 0x7fff, v168, vcc_lo
	v_and_b32_e32 v61, 0xffff, v61
	s_delay_alu instid0(VALU_DEP_1) | instskip(NEXT) | instid1(VALU_DEP_1)
	v_lshrrev_b32_e32 v61, s49, v61
	v_bitop3_b32 v172, v61, 1, s52 bitop3:0x80
	v_and_b32_e32 v175, s52, v61
	s_delay_alu instid0(VALU_DEP_2) | instskip(NEXT) | instid1(VALU_DEP_1)
	v_add_co_u32 v61, s15, v172, -1
	v_cndmask_b32_e64 v172, 0, 1, s15
	s_delay_alu instid0(VALU_DEP_3) | instskip(NEXT) | instid1(VALU_DEP_2)
	v_lshlrev_b32_e32 v173, 30, v175
	v_cmp_ne_u32_e32 vcc_lo, 0, v172
	s_delay_alu instid0(VALU_DEP_2) | instskip(NEXT) | instid1(VALU_DEP_1)
	v_not_b32_e32 v172, v173
	v_dual_ashrrev_i32 v172, 31, v172 :: v_dual_lshlrev_b32 v174, 29, v175
	v_dual_lshlrev_b32 v176, 28, v175 :: v_dual_lshlrev_b32 v177, 27, v175
	v_lshlrev_b32_e32 v178, 26, v175
	v_cmp_gt_i32_e64 s15, 0, v173
	s_delay_alu instid0(VALU_DEP_4)
	v_cmp_gt_i32_e64 s16, 0, v174
	v_not_b32_e32 v173, v174
	v_not_b32_e32 v174, v176
	v_dual_lshlrev_b32 v179, 25, v175 :: v_dual_lshlrev_b32 v180, 24, v175
	v_cmp_gt_i32_e64 s17, 0, v176
	v_cmp_gt_i32_e64 s18, 0, v177
	v_not_b32_e32 v176, v177
	v_not_b32_e32 v177, v178
	v_dual_ashrrev_i32 v174, 31, v174 :: v_dual_bitop2_b32 v61, vcc_lo, v61 bitop3:0x14
	v_dual_ashrrev_i32 v173, 31, v173 :: v_dual_bitop2_b32 v172, s15, v172 bitop3:0x14
	v_cmp_gt_i32_e64 s19, 0, v178
	v_cmp_gt_i32_e64 s20, 0, v179
	v_not_b32_e32 v178, v179
	v_not_b32_e32 v179, v180
	v_dual_ashrrev_i32 v176, 31, v176 :: v_dual_ashrrev_i32 v177, 31, v177
	v_xor_b32_e32 v173, s16, v173
	v_xor_b32_e32 v174, s17, v174
	v_bitop3_b32 v61, v61, v172, exec_lo bitop3:0x80
	v_cmp_gt_i32_e64 s21, 0, v180
	v_dual_ashrrev_i32 v172, 31, v178 :: v_dual_ashrrev_i32 v178, 31, v179
	v_xor_b32_e32 v176, s18, v176
	v_xor_b32_e32 v177, s19, v177
	v_bitop3_b32 v61, v61, v174, v173 bitop3:0x80
	v_mad_u32_u24 v173, v175, 36, v23
	v_xor_b32_e32 v172, s20, v172
	v_xor_b32_e32 v174, s21, v178
	s_delay_alu instid0(VALU_DEP_4) | instskip(SKIP_3) | instid1(VALU_DEP_2)
	v_bitop3_b32 v61, v61, v177, v176 bitop3:0x80
	ds_load_b32 v173, v173 offset:1056
	; wave barrier
	v_bitop3_b32 v61, v61, v174, v172 bitop3:0x80
	v_mul_u32_u24_e32 v172, 36, v175
	v_mbcnt_lo_u32_b32 v174, v61, 0
	v_cmp_ne_u32_e64 s15, 0, v61
	s_delay_alu instid0(VALU_DEP_3) | instskip(NEXT) | instid1(VALU_DEP_3)
	v_add_nc_u32_e32 v175, v23, v172
	v_cmp_eq_u32_e32 vcc_lo, 0, v174
	s_and_b32 s16, s15, vcc_lo
	s_delay_alu instid0(SALU_CYCLE_1)
	s_and_saveexec_b32 s15, s16
	s_cbranch_execz .LBB1937_736
; %bb.735:                              ;   in Loop: Header=BB1937_682 Depth=2
	s_wait_dscnt 0x0
	v_bcnt_u32_b32 v61, v61, v173
	ds_store_b32 v175, v61 offset:1056
.LBB1937_736:                           ;   in Loop: Header=BB1937_682 Depth=2
	s_or_b32 exec_lo, exec_lo, s15
	v_cmp_gt_i16_e32 vcc_lo, 0, v67
	; wave barrier
	v_cndmask_b32_e64 v61, 0x7fff, 0, vcc_lo
	s_delay_alu instid0(VALU_DEP_1) | instskip(NEXT) | instid1(VALU_DEP_1)
	v_xor_b32_e32 v172, v61, v67
	v_cmp_ne_u16_e64 vcc_lo, 0x8000, v172
	v_cndmask_b32_e32 v61, 0x7fff, v172, vcc_lo
	s_delay_alu instid0(VALU_DEP_1) | instskip(NEXT) | instid1(VALU_DEP_1)
	v_and_b32_e32 v61, 0xffff, v61
	v_lshrrev_b32_e32 v61, s49, v61
	s_delay_alu instid0(VALU_DEP_1) | instskip(SKIP_1) | instid1(VALU_DEP_2)
	v_bitop3_b32 v67, v61, 1, s52 bitop3:0x80
	v_and_b32_e32 v176, s52, v61
	v_add_co_u32 v61, s15, v67, -1
	s_delay_alu instid0(VALU_DEP_1) | instskip(NEXT) | instid1(VALU_DEP_3)
	v_cndmask_b32_e64 v67, 0, 1, s15
	v_lshlrev_b32_e32 v177, 30, v176
	s_delay_alu instid0(VALU_DEP_2) | instskip(NEXT) | instid1(VALU_DEP_2)
	v_cmp_ne_u32_e32 vcc_lo, 0, v67
	v_not_b32_e32 v67, v177
	s_delay_alu instid0(VALU_DEP_1) | instskip(SKIP_4) | instid1(VALU_DEP_4)
	v_dual_ashrrev_i32 v67, 31, v67 :: v_dual_bitop2_b32 v61, vcc_lo, v61 bitop3:0x14
	v_dual_lshlrev_b32 v178, 29, v176 :: v_dual_lshlrev_b32 v179, 28, v176
	v_dual_lshlrev_b32 v180, 27, v176 :: v_dual_lshlrev_b32 v181, 26, v176
	v_lshlrev_b32_e32 v182, 25, v176
	v_cmp_gt_i32_e64 s15, 0, v177
	v_cmp_gt_i32_e64 s16, 0, v178
	v_not_b32_e32 v177, v178
	v_not_b32_e32 v178, v179
	v_lshlrev_b32_e32 v183, 24, v176
	v_cmp_gt_i32_e64 s17, 0, v179
	v_cmp_gt_i32_e64 s18, 0, v180
	v_not_b32_e32 v179, v180
	v_not_b32_e32 v180, v181
	v_dual_ashrrev_i32 v177, 31, v177 :: v_dual_bitop2_b32 v67, s15, v67 bitop3:0x14
	v_ashrrev_i32_e32 v178, 31, v178
	v_cmp_gt_i32_e64 s19, 0, v181
	v_cmp_gt_i32_e64 s20, 0, v182
	v_not_b32_e32 v181, v182
	v_not_b32_e32 v182, v183
	v_dual_ashrrev_i32 v179, 31, v179 :: v_dual_ashrrev_i32 v180, 31, v180
	v_xor_b32_e32 v177, s16, v177
	v_xor_b32_e32 v178, s17, v178
	v_bitop3_b32 v61, v61, v67, exec_lo bitop3:0x80
	v_cmp_gt_i32_e64 s21, 0, v183
	v_dual_ashrrev_i32 v67, 31, v181 :: v_dual_ashrrev_i32 v181, 31, v182
	v_xor_b32_e32 v179, s18, v179
	v_xor_b32_e32 v180, s19, v180
	v_bitop3_b32 v61, v61, v178, v177 bitop3:0x80
	v_mad_u32_u24 v177, v176, 36, v23
	v_xor_b32_e32 v67, s20, v67
	v_xor_b32_e32 v178, s21, v181
	s_delay_alu instid0(VALU_DEP_4) | instskip(SKIP_3) | instid1(VALU_DEP_2)
	v_bitop3_b32 v61, v61, v180, v179 bitop3:0x80
	ds_load_b32 v177, v177 offset:1056
	; wave barrier
	v_bitop3_b32 v61, v61, v178, v67 bitop3:0x80
	v_mul_u32_u24_e32 v67, 36, v176
	v_mbcnt_lo_u32_b32 v178, v61, 0
	v_cmp_ne_u32_e64 s15, 0, v61
	s_delay_alu instid0(VALU_DEP_3) | instskip(NEXT) | instid1(VALU_DEP_3)
	v_add_nc_u32_e32 v179, v23, v67
	v_cmp_eq_u32_e32 vcc_lo, 0, v178
	s_and_b32 s16, s15, vcc_lo
	s_delay_alu instid0(SALU_CYCLE_1)
	s_and_saveexec_b32 s15, s16
	s_cbranch_execz .LBB1937_738
; %bb.737:                              ;   in Loop: Header=BB1937_682 Depth=2
	s_wait_dscnt 0x0
	v_bcnt_u32_b32 v61, v61, v177
	ds_store_b32 v179, v61 offset:1056
.LBB1937_738:                           ;   in Loop: Header=BB1937_682 Depth=2
	s_or_b32 exec_lo, exec_lo, s15
	v_cmp_gt_i16_e32 vcc_lo, 0, v66
	; wave barrier
	v_cndmask_b32_e64 v61, 0x7fff, 0, vcc_lo
	s_delay_alu instid0(VALU_DEP_1) | instskip(NEXT) | instid1(VALU_DEP_1)
	v_xor_b32_e32 v176, v61, v66
	v_cmp_ne_u16_e64 vcc_lo, 0x8000, v176
	v_cndmask_b32_e32 v61, 0x7fff, v176, vcc_lo
	s_delay_alu instid0(VALU_DEP_1) | instskip(NEXT) | instid1(VALU_DEP_1)
	v_and_b32_e32 v61, 0xffff, v61
	v_lshrrev_b32_e32 v61, s49, v61
	s_delay_alu instid0(VALU_DEP_1) | instskip(SKIP_1) | instid1(VALU_DEP_2)
	v_bitop3_b32 v66, v61, 1, s52 bitop3:0x80
	v_and_b32_e32 v67, s52, v61
	v_add_co_u32 v61, s15, v66, -1
	s_delay_alu instid0(VALU_DEP_1) | instskip(NEXT) | instid1(VALU_DEP_3)
	v_cndmask_b32_e64 v66, 0, 1, s15
	v_lshlrev_b32_e32 v180, 30, v67
	s_delay_alu instid0(VALU_DEP_2) | instskip(NEXT) | instid1(VALU_DEP_2)
	v_cmp_ne_u32_e32 vcc_lo, 0, v66
	v_not_b32_e32 v66, v180
	v_cmp_gt_i32_e64 s15, 0, v180
	s_delay_alu instid0(VALU_DEP_2) | instskip(SKIP_3) | instid1(VALU_DEP_4)
	v_dual_ashrrev_i32 v66, 31, v66 :: v_dual_lshlrev_b32 v181, 29, v67
	v_dual_lshlrev_b32 v182, 28, v67 :: v_dual_lshlrev_b32 v183, 27, v67
	v_dual_lshlrev_b32 v184, 26, v67 :: v_dual_lshlrev_b32 v185, 25, v67
	v_lshlrev_b32_e32 v186, 24, v67
	v_cmp_gt_i32_e64 s16, 0, v181
	v_not_b32_e32 v180, v181
	v_not_b32_e32 v181, v182
	v_cmp_gt_i32_e64 s17, 0, v182
	v_cmp_gt_i32_e64 s18, 0, v183
	v_not_b32_e32 v182, v183
	v_not_b32_e32 v183, v184
	v_dual_ashrrev_i32 v180, 31, v180 :: v_dual_bitop2_b32 v61, vcc_lo, v61 bitop3:0x14
	v_dual_ashrrev_i32 v181, 31, v181 :: v_dual_bitop2_b32 v66, s15, v66 bitop3:0x14
	v_cmp_gt_i32_e64 s19, 0, v184
	v_cmp_gt_i32_e64 s20, 0, v185
	v_not_b32_e32 v184, v185
	v_not_b32_e32 v185, v186
	v_dual_ashrrev_i32 v182, 31, v182 :: v_dual_ashrrev_i32 v183, 31, v183
	v_xor_b32_e32 v180, s16, v180
	v_xor_b32_e32 v181, s17, v181
	v_bitop3_b32 v61, v61, v66, exec_lo bitop3:0x80
	v_cmp_gt_i32_e64 s21, 0, v186
	v_dual_ashrrev_i32 v66, 31, v184 :: v_dual_ashrrev_i32 v184, 31, v185
	v_xor_b32_e32 v182, s18, v182
	v_xor_b32_e32 v183, s19, v183
	v_bitop3_b32 v61, v61, v181, v180 bitop3:0x80
	v_mad_u32_u24 v180, v67, 36, v23
	v_xor_b32_e32 v66, s20, v66
	v_xor_b32_e32 v184, s21, v184
	s_delay_alu instid0(VALU_DEP_4) | instskip(SKIP_3) | instid1(VALU_DEP_2)
	v_bitop3_b32 v61, v61, v183, v182 bitop3:0x80
	ds_load_b32 v181, v180 offset:1056
	; wave barrier
	v_bitop3_b32 v61, v61, v184, v66 bitop3:0x80
	v_mul_u32_u24_e32 v66, 36, v67
	v_mbcnt_lo_u32_b32 v182, v61, 0
	v_cmp_ne_u32_e64 s15, 0, v61
	s_delay_alu instid0(VALU_DEP_3) | instskip(NEXT) | instid1(VALU_DEP_3)
	v_add_nc_u32_e32 v183, v23, v66
	v_cmp_eq_u32_e32 vcc_lo, 0, v182
	s_and_b32 s16, s15, vcc_lo
	s_delay_alu instid0(SALU_CYCLE_1)
	s_and_saveexec_b32 s15, s16
	s_cbranch_execz .LBB1937_740
; %bb.739:                              ;   in Loop: Header=BB1937_682 Depth=2
	s_wait_dscnt 0x0
	v_bcnt_u32_b32 v61, v61, v181
	ds_store_b32 v183, v61 offset:1056
.LBB1937_740:                           ;   in Loop: Header=BB1937_682 Depth=2
	s_or_b32 exec_lo, exec_lo, s15
	v_cmp_gt_i16_e32 vcc_lo, 0, v65
	; wave barrier
	v_cndmask_b32_e64 v61, 0x7fff, 0, vcc_lo
	s_delay_alu instid0(VALU_DEP_1) | instskip(NEXT) | instid1(VALU_DEP_1)
	v_xor_b32_e32 v180, v61, v65
	v_cmp_ne_u16_e64 vcc_lo, 0x8000, v180
	v_cndmask_b32_e32 v61, 0x7fff, v180, vcc_lo
	s_delay_alu instid0(VALU_DEP_1) | instskip(NEXT) | instid1(VALU_DEP_1)
	v_and_b32_e32 v61, 0xffff, v61
	v_lshrrev_b32_e32 v61, s49, v61
	s_delay_alu instid0(VALU_DEP_1) | instskip(NEXT) | instid1(VALU_DEP_1)
	v_and_b32_e32 v66, s52, v61
	v_lshlrev_b32_e32 v185, 28, v66
	v_bitop3_b32 v65, v61, 1, s52 bitop3:0x80
	v_dual_lshlrev_b32 v67, 30, v66 :: v_dual_lshlrev_b32 v184, 29, v66
	s_delay_alu instid0(VALU_DEP_3) | instskip(NEXT) | instid1(VALU_DEP_3)
	v_cmp_gt_i32_e64 s17, 0, v185
	v_add_co_u32 v61, s15, v65, -1
	s_delay_alu instid0(VALU_DEP_1) | instskip(NEXT) | instid1(VALU_DEP_4)
	v_cndmask_b32_e64 v65, 0, 1, s15
	v_cmp_gt_i32_e64 s15, 0, v67
	v_cmp_gt_i32_e64 s16, 0, v184
	s_delay_alu instid0(VALU_DEP_3) | instskip(SKIP_3) | instid1(VALU_DEP_2)
	v_cmp_ne_u32_e32 vcc_lo, 0, v65
	v_not_b32_e32 v65, v67
	v_not_b32_e32 v67, v184
	;; [unrolled: 1-line block ×3, first 2 shown]
	v_dual_ashrrev_i32 v65, 31, v65 :: v_dual_ashrrev_i32 v67, 31, v67
	v_dual_lshlrev_b32 v186, 27, v66 :: v_dual_lshlrev_b32 v187, 26, v66
	v_dual_lshlrev_b32 v188, 25, v66 :: v_dual_lshlrev_b32 v189, 24, v66
	s_delay_alu instid0(VALU_DEP_4) | instskip(NEXT) | instid1(VALU_DEP_3)
	v_ashrrev_i32_e32 v184, 31, v184
	v_cmp_gt_i32_e64 s18, 0, v186
	v_not_b32_e32 v185, v186
	v_cmp_gt_i32_e64 s19, 0, v187
	v_not_b32_e32 v186, v187
	;; [unrolled: 2-line block ×3, first 2 shown]
	v_not_b32_e32 v188, v189
	s_delay_alu instid0(VALU_DEP_4) | instskip(SKIP_4) | instid1(VALU_DEP_4)
	v_dual_ashrrev_i32 v186, 31, v186 :: v_dual_bitop2_b32 v61, vcc_lo, v61 bitop3:0x14
	v_xor_b32_e32 v65, s15, v65
	v_dual_ashrrev_i32 v185, 31, v185 :: v_dual_bitop2_b32 v67, s16, v67 bitop3:0x14
	v_xor_b32_e32 v184, s17, v184
	v_cmp_gt_i32_e64 s21, 0, v189
	v_bitop3_b32 v61, v61, v65, exec_lo bitop3:0x80
	v_dual_ashrrev_i32 v65, 31, v187 :: v_dual_ashrrev_i32 v187, 31, v188
	v_xor_b32_e32 v185, s18, v185
	v_xor_b32_e32 v186, s19, v186
	s_delay_alu instid0(VALU_DEP_4) | instskip(SKIP_3) | instid1(VALU_DEP_4)
	v_bitop3_b32 v61, v61, v184, v67 bitop3:0x80
	v_mad_u32_u24 v67, v66, 36, v23
	v_xor_b32_e32 v65, s20, v65
	v_xor_b32_e32 v184, s21, v187
	v_bitop3_b32 v61, v61, v186, v185 bitop3:0x80
	ds_load_b32 v185, v67 offset:1056
	; wave barrier
	v_bitop3_b32 v61, v61, v184, v65 bitop3:0x80
	v_mul_u32_u24_e32 v65, 36, v66
	s_delay_alu instid0(VALU_DEP_2) | instskip(SKIP_1) | instid1(VALU_DEP_3)
	v_mbcnt_lo_u32_b32 v186, v61, 0
	v_cmp_ne_u32_e64 s15, 0, v61
	v_add_nc_u32_e32 v187, v23, v65
	s_delay_alu instid0(VALU_DEP_3) | instskip(SKIP_1) | instid1(SALU_CYCLE_1)
	v_cmp_eq_u32_e32 vcc_lo, 0, v186
	s_and_b32 s16, s15, vcc_lo
	s_and_saveexec_b32 s15, s16
	s_cbranch_execz .LBB1937_742
; %bb.741:                              ;   in Loop: Header=BB1937_682 Depth=2
	s_wait_dscnt 0x0
	v_bcnt_u32_b32 v61, v61, v185
	ds_store_b32 v187, v61 offset:1056
.LBB1937_742:                           ;   in Loop: Header=BB1937_682 Depth=2
	s_or_b32 exec_lo, exec_lo, s15
	v_cmp_gt_i16_e32 vcc_lo, 0, v64
	; wave barrier
	v_cndmask_b32_e64 v61, 0x7fff, 0, vcc_lo
	s_delay_alu instid0(VALU_DEP_1) | instskip(NEXT) | instid1(VALU_DEP_1)
	v_xor_b32_e32 v184, v61, v64
	v_cmp_ne_u16_e64 vcc_lo, 0x8000, v184
	v_cndmask_b32_e32 v61, 0x7fff, v184, vcc_lo
	s_delay_alu instid0(VALU_DEP_1) | instskip(NEXT) | instid1(VALU_DEP_1)
	v_and_b32_e32 v61, 0xffff, v61
	v_lshrrev_b32_e32 v61, s49, v61
	s_delay_alu instid0(VALU_DEP_1) | instskip(SKIP_1) | instid1(VALU_DEP_2)
	v_bitop3_b32 v64, v61, 1, s52 bitop3:0x80
	v_and_b32_e32 v65, s52, v61
	v_add_co_u32 v61, s15, v64, -1
	s_delay_alu instid0(VALU_DEP_1) | instskip(NEXT) | instid1(VALU_DEP_3)
	v_cndmask_b32_e64 v64, 0, 1, s15
	v_lshlrev_b32_e32 v66, 30, v65
	s_delay_alu instid0(VALU_DEP_2) | instskip(NEXT) | instid1(VALU_DEP_2)
	v_cmp_ne_u32_e32 vcc_lo, 0, v64
	v_not_b32_e32 v64, v66
	v_cmp_gt_i32_e64 s15, 0, v66
	s_delay_alu instid0(VALU_DEP_2) | instskip(SKIP_3) | instid1(VALU_DEP_4)
	v_dual_ashrrev_i32 v64, 31, v64 :: v_dual_lshlrev_b32 v67, 29, v65
	v_dual_lshlrev_b32 v188, 28, v65 :: v_dual_lshlrev_b32 v189, 27, v65
	v_dual_lshlrev_b32 v190, 26, v65 :: v_dual_lshlrev_b32 v191, 25, v65
	v_lshlrev_b32_e32 v192, 24, v65
	v_cmp_gt_i32_e64 s16, 0, v67
	v_not_b32_e32 v66, v67
	v_not_b32_e32 v67, v188
	v_cmp_gt_i32_e64 s17, 0, v188
	v_cmp_gt_i32_e64 s18, 0, v189
	v_not_b32_e32 v188, v189
	v_not_b32_e32 v189, v190
	v_dual_ashrrev_i32 v66, 31, v66 :: v_dual_bitop2_b32 v61, vcc_lo, v61 bitop3:0x14
	v_dual_ashrrev_i32 v67, 31, v67 :: v_dual_bitop2_b32 v64, s15, v64 bitop3:0x14
	v_cmp_gt_i32_e64 s19, 0, v190
	v_cmp_gt_i32_e64 s20, 0, v191
	v_not_b32_e32 v190, v191
	v_not_b32_e32 v191, v192
	v_dual_ashrrev_i32 v188, 31, v188 :: v_dual_ashrrev_i32 v189, 31, v189
	v_xor_b32_e32 v66, s16, v66
	v_xor_b32_e32 v67, s17, v67
	v_bitop3_b32 v61, v61, v64, exec_lo bitop3:0x80
	v_cmp_gt_i32_e64 s21, 0, v192
	v_dual_ashrrev_i32 v64, 31, v190 :: v_dual_ashrrev_i32 v190, 31, v191
	v_xor_b32_e32 v188, s18, v188
	v_xor_b32_e32 v189, s19, v189
	v_bitop3_b32 v61, v61, v67, v66 bitop3:0x80
	v_mad_u32_u24 v66, v65, 36, v23
	v_xor_b32_e32 v64, s20, v64
	v_xor_b32_e32 v67, s21, v190
	s_delay_alu instid0(VALU_DEP_4) | instskip(SKIP_3) | instid1(VALU_DEP_2)
	v_bitop3_b32 v61, v61, v189, v188 bitop3:0x80
	ds_load_b32 v189, v66 offset:1056
	; wave barrier
	v_bitop3_b32 v61, v61, v67, v64 bitop3:0x80
	v_mul_u32_u24_e32 v64, 36, v65
	v_mbcnt_lo_u32_b32 v190, v61, 0
	v_cmp_ne_u32_e64 s15, 0, v61
	s_delay_alu instid0(VALU_DEP_3) | instskip(NEXT) | instid1(VALU_DEP_3)
	v_add_nc_u32_e32 v191, v23, v64
	v_cmp_eq_u32_e32 vcc_lo, 0, v190
	s_and_b32 s16, s15, vcc_lo
	s_delay_alu instid0(SALU_CYCLE_1)
	s_and_saveexec_b32 s15, s16
	s_cbranch_execz .LBB1937_744
; %bb.743:                              ;   in Loop: Header=BB1937_682 Depth=2
	s_wait_dscnt 0x0
	v_bcnt_u32_b32 v61, v61, v189
	ds_store_b32 v191, v61 offset:1056
.LBB1937_744:                           ;   in Loop: Header=BB1937_682 Depth=2
	s_or_b32 exec_lo, exec_lo, s15
	v_cmp_gt_i16_e32 vcc_lo, 0, v63
	; wave barrier
	v_cndmask_b32_e64 v61, 0x7fff, 0, vcc_lo
	s_delay_alu instid0(VALU_DEP_1) | instskip(NEXT) | instid1(VALU_DEP_1)
	v_xor_b32_e32 v188, v61, v63
	v_cmp_ne_u16_e64 vcc_lo, 0x8000, v188
	v_cndmask_b32_e32 v61, 0x7fff, v188, vcc_lo
	s_delay_alu instid0(VALU_DEP_1) | instskip(NEXT) | instid1(VALU_DEP_1)
	v_and_b32_e32 v61, 0xffff, v61
	v_lshrrev_b32_e32 v61, s49, v61
	s_delay_alu instid0(VALU_DEP_1) | instskip(SKIP_1) | instid1(VALU_DEP_2)
	v_bitop3_b32 v63, v61, 1, s52 bitop3:0x80
	v_and_b32_e32 v64, s52, v61
	v_add_co_u32 v61, s15, v63, -1
	s_delay_alu instid0(VALU_DEP_1) | instskip(NEXT) | instid1(VALU_DEP_3)
	v_cndmask_b32_e64 v63, 0, 1, s15
	v_lshlrev_b32_e32 v65, 30, v64
	s_delay_alu instid0(VALU_DEP_2) | instskip(NEXT) | instid1(VALU_DEP_2)
	v_cmp_ne_u32_e32 vcc_lo, 0, v63
	v_not_b32_e32 v63, v65
	s_delay_alu instid0(VALU_DEP_1) | instskip(SKIP_4) | instid1(VALU_DEP_4)
	v_dual_ashrrev_i32 v63, 31, v63 :: v_dual_bitop2_b32 v61, vcc_lo, v61 bitop3:0x14
	v_dual_lshlrev_b32 v66, 29, v64 :: v_dual_lshlrev_b32 v67, 28, v64
	v_dual_lshlrev_b32 v192, 27, v64 :: v_dual_lshlrev_b32 v193, 26, v64
	v_lshlrev_b32_e32 v194, 25, v64
	v_cmp_gt_i32_e64 s15, 0, v65
	v_cmp_gt_i32_e64 s16, 0, v66
	v_not_b32_e32 v65, v66
	v_not_b32_e32 v66, v67
	v_lshlrev_b32_e32 v195, 24, v64
	v_cmp_gt_i32_e64 s17, 0, v67
	v_cmp_gt_i32_e64 s18, 0, v192
	v_not_b32_e32 v67, v192
	v_not_b32_e32 v192, v193
	v_dual_ashrrev_i32 v65, 31, v65 :: v_dual_bitop2_b32 v63, s15, v63 bitop3:0x14
	v_ashrrev_i32_e32 v66, 31, v66
	v_cmp_gt_i32_e64 s19, 0, v193
	v_cmp_gt_i32_e64 s20, 0, v194
	v_not_b32_e32 v193, v194
	v_not_b32_e32 v194, v195
	v_dual_ashrrev_i32 v67, 31, v67 :: v_dual_ashrrev_i32 v192, 31, v192
	v_xor_b32_e32 v65, s16, v65
	v_xor_b32_e32 v66, s17, v66
	v_bitop3_b32 v61, v61, v63, exec_lo bitop3:0x80
	v_cmp_gt_i32_e64 s21, 0, v195
	v_dual_ashrrev_i32 v63, 31, v193 :: v_dual_ashrrev_i32 v193, 31, v194
	v_xor_b32_e32 v67, s18, v67
	v_xor_b32_e32 v192, s19, v192
	v_bitop3_b32 v61, v61, v66, v65 bitop3:0x80
	v_mad_u32_u24 v65, v64, 36, v23
	v_xor_b32_e32 v63, s20, v63
	v_xor_b32_e32 v66, s21, v193
	s_delay_alu instid0(VALU_DEP_4) | instskip(SKIP_3) | instid1(VALU_DEP_2)
	v_bitop3_b32 v61, v61, v192, v67 bitop3:0x80
	ds_load_b32 v193, v65 offset:1056
	; wave barrier
	v_bitop3_b32 v61, v61, v66, v63 bitop3:0x80
	v_mul_u32_u24_e32 v63, 36, v64
	v_mbcnt_lo_u32_b32 v194, v61, 0
	v_cmp_ne_u32_e64 s15, 0, v61
	s_delay_alu instid0(VALU_DEP_3) | instskip(NEXT) | instid1(VALU_DEP_3)
	v_add_nc_u32_e32 v195, v23, v63
	v_cmp_eq_u32_e32 vcc_lo, 0, v194
	s_and_b32 s16, s15, vcc_lo
	s_delay_alu instid0(SALU_CYCLE_1)
	s_and_saveexec_b32 s15, s16
	s_cbranch_execz .LBB1937_746
; %bb.745:                              ;   in Loop: Header=BB1937_682 Depth=2
	s_wait_dscnt 0x0
	v_bcnt_u32_b32 v61, v61, v193
	ds_store_b32 v195, v61 offset:1056
.LBB1937_746:                           ;   in Loop: Header=BB1937_682 Depth=2
	s_or_b32 exec_lo, exec_lo, s15
	v_cmp_gt_i16_e32 vcc_lo, 0, v62
	; wave barrier
	v_cndmask_b32_e64 v61, 0x7fff, 0, vcc_lo
	s_delay_alu instid0(VALU_DEP_1) | instskip(NEXT) | instid1(VALU_DEP_1)
	v_xor_b32_e32 v192, v61, v62
	v_cmp_ne_u16_e64 vcc_lo, 0x8000, v192
	v_cndmask_b32_e32 v61, 0x7fff, v192, vcc_lo
	s_delay_alu instid0(VALU_DEP_1) | instskip(NEXT) | instid1(VALU_DEP_1)
	v_and_b32_e32 v61, 0xffff, v61
	v_lshrrev_b32_e32 v61, s49, v61
	s_delay_alu instid0(VALU_DEP_1) | instskip(SKIP_1) | instid1(VALU_DEP_2)
	v_bitop3_b32 v62, v61, 1, s52 bitop3:0x80
	v_and_b32_e32 v63, s52, v61
	v_add_co_u32 v61, s15, v62, -1
	s_delay_alu instid0(VALU_DEP_1) | instskip(NEXT) | instid1(VALU_DEP_3)
	v_cndmask_b32_e64 v62, 0, 1, s15
	v_lshlrev_b32_e32 v64, 30, v63
	s_delay_alu instid0(VALU_DEP_2) | instskip(NEXT) | instid1(VALU_DEP_2)
	v_cmp_ne_u32_e32 vcc_lo, 0, v62
	v_not_b32_e32 v62, v64
	v_cmp_gt_i32_e64 s15, 0, v64
	s_delay_alu instid0(VALU_DEP_2) | instskip(SKIP_3) | instid1(VALU_DEP_4)
	v_dual_ashrrev_i32 v62, 31, v62 :: v_dual_lshlrev_b32 v65, 29, v63
	v_dual_lshlrev_b32 v66, 28, v63 :: v_dual_lshlrev_b32 v67, 27, v63
	v_dual_lshlrev_b32 v196, 26, v63 :: v_dual_lshlrev_b32 v197, 25, v63
	v_lshlrev_b32_e32 v198, 24, v63
	v_cmp_gt_i32_e64 s16, 0, v65
	v_not_b32_e32 v64, v65
	v_not_b32_e32 v65, v66
	v_cmp_gt_i32_e64 s17, 0, v66
	v_cmp_gt_i32_e64 s18, 0, v67
	v_not_b32_e32 v66, v67
	v_not_b32_e32 v67, v196
	v_dual_ashrrev_i32 v64, 31, v64 :: v_dual_bitop2_b32 v61, vcc_lo, v61 bitop3:0x14
	v_dual_ashrrev_i32 v65, 31, v65 :: v_dual_bitop2_b32 v62, s15, v62 bitop3:0x14
	v_cmp_gt_i32_e64 s19, 0, v196
	v_cmp_gt_i32_e64 s20, 0, v197
	v_not_b32_e32 v196, v197
	v_not_b32_e32 v197, v198
	v_dual_ashrrev_i32 v66, 31, v66 :: v_dual_ashrrev_i32 v67, 31, v67
	v_xor_b32_e32 v64, s16, v64
	v_xor_b32_e32 v65, s17, v65
	v_bitop3_b32 v61, v61, v62, exec_lo bitop3:0x80
	v_cmp_gt_i32_e64 s21, 0, v198
	v_dual_ashrrev_i32 v62, 31, v196 :: v_dual_ashrrev_i32 v196, 31, v197
	v_xor_b32_e32 v66, s18, v66
	v_xor_b32_e32 v67, s19, v67
	v_bitop3_b32 v61, v61, v65, v64 bitop3:0x80
	v_mad_u32_u24 v64, v63, 36, v23
	v_xor_b32_e32 v62, s20, v62
	v_xor_b32_e32 v65, s21, v196
	s_delay_alu instid0(VALU_DEP_4) | instskip(SKIP_3) | instid1(VALU_DEP_2)
	v_bitop3_b32 v61, v61, v67, v66 bitop3:0x80
	ds_load_b32 v197, v64 offset:1056
	; wave barrier
	v_bitop3_b32 v61, v61, v65, v62 bitop3:0x80
	v_mul_u32_u24_e32 v62, 36, v63
	v_mbcnt_lo_u32_b32 v198, v61, 0
	v_cmp_ne_u32_e64 s15, 0, v61
	s_delay_alu instid0(VALU_DEP_3) | instskip(NEXT) | instid1(VALU_DEP_3)
	v_add_nc_u32_e32 v199, v23, v62
	v_cmp_eq_u32_e32 vcc_lo, 0, v198
	s_and_b32 s16, s15, vcc_lo
	s_delay_alu instid0(SALU_CYCLE_1)
	s_and_saveexec_b32 s15, s16
	s_cbranch_execz .LBB1937_748
; %bb.747:                              ;   in Loop: Header=BB1937_682 Depth=2
	s_wait_dscnt 0x0
	v_bcnt_u32_b32 v61, v61, v197
	ds_store_b32 v199, v61 offset:1056
.LBB1937_748:                           ;   in Loop: Header=BB1937_682 Depth=2
	s_or_b32 exec_lo, exec_lo, s15
	v_cmp_gt_i16_e32 vcc_lo, 0, v60
	; wave barrier
	v_cndmask_b32_e64 v61, 0x7fff, 0, vcc_lo
	s_delay_alu instid0(VALU_DEP_1) | instskip(NEXT) | instid1(VALU_DEP_1)
	v_xor_b32_e32 v196, v61, v60
	v_cmp_ne_u16_e64 vcc_lo, 0x8000, v196
	v_cndmask_b32_e32 v60, 0x7fff, v196, vcc_lo
	s_delay_alu instid0(VALU_DEP_1) | instskip(NEXT) | instid1(VALU_DEP_1)
	v_and_b32_e32 v60, 0xffff, v60
	v_lshrrev_b32_e32 v60, s49, v60
	s_delay_alu instid0(VALU_DEP_1) | instskip(SKIP_1) | instid1(VALU_DEP_2)
	v_bitop3_b32 v61, v60, 1, s52 bitop3:0x80
	v_and_b32_e32 v62, s52, v60
	v_add_co_u32 v60, s15, v61, -1
	s_delay_alu instid0(VALU_DEP_1) | instskip(NEXT) | instid1(VALU_DEP_3)
	v_cndmask_b32_e64 v61, 0, 1, s15
	v_lshlrev_b32_e32 v63, 30, v62
	s_delay_alu instid0(VALU_DEP_2) | instskip(NEXT) | instid1(VALU_DEP_2)
	v_cmp_ne_u32_e32 vcc_lo, 0, v61
	v_not_b32_e32 v61, v63
	v_cmp_gt_i32_e64 s15, 0, v63
	s_delay_alu instid0(VALU_DEP_2) | instskip(SKIP_3) | instid1(VALU_DEP_4)
	v_dual_ashrrev_i32 v61, 31, v61 :: v_dual_lshlrev_b32 v64, 29, v62
	v_dual_lshlrev_b32 v65, 28, v62 :: v_dual_lshlrev_b32 v66, 27, v62
	v_dual_lshlrev_b32 v67, 26, v62 :: v_dual_lshlrev_b32 v200, 25, v62
	v_lshlrev_b32_e32 v201, 24, v62
	v_cmp_gt_i32_e64 s16, 0, v64
	v_not_b32_e32 v63, v64
	v_not_b32_e32 v64, v65
	v_cmp_gt_i32_e64 s17, 0, v65
	v_cmp_gt_i32_e64 s18, 0, v66
	v_not_b32_e32 v65, v66
	v_not_b32_e32 v66, v67
	v_dual_ashrrev_i32 v63, 31, v63 :: v_dual_bitop2_b32 v60, vcc_lo, v60 bitop3:0x14
	v_dual_ashrrev_i32 v64, 31, v64 :: v_dual_bitop2_b32 v61, s15, v61 bitop3:0x14
	v_cmp_gt_i32_e64 s19, 0, v67
	v_cmp_gt_i32_e64 s20, 0, v200
	v_not_b32_e32 v67, v200
	v_not_b32_e32 v200, v201
	v_dual_ashrrev_i32 v65, 31, v65 :: v_dual_ashrrev_i32 v66, 31, v66
	v_xor_b32_e32 v63, s16, v63
	v_xor_b32_e32 v64, s17, v64
	v_bitop3_b32 v60, v60, v61, exec_lo bitop3:0x80
	v_cmp_gt_i32_e64 s21, 0, v201
	v_dual_ashrrev_i32 v61, 31, v67 :: v_dual_ashrrev_i32 v67, 31, v200
	v_xor_b32_e32 v65, s18, v65
	v_xor_b32_e32 v66, s19, v66
	v_bitop3_b32 v60, v60, v64, v63 bitop3:0x80
	v_mad_u32_u24 v63, v62, 36, v23
	v_xor_b32_e32 v61, s20, v61
	v_xor_b32_e32 v64, s21, v67
	s_delay_alu instid0(VALU_DEP_4) | instskip(SKIP_3) | instid1(VALU_DEP_2)
	v_bitop3_b32 v60, v60, v66, v65 bitop3:0x80
	ds_load_b32 v200, v63 offset:1056
	; wave barrier
	v_bitop3_b32 v60, v60, v64, v61 bitop3:0x80
	v_mul_u32_u24_e32 v61, 36, v62
	v_mbcnt_lo_u32_b32 v201, v60, 0
	v_cmp_ne_u32_e64 s15, 0, v60
	s_delay_alu instid0(VALU_DEP_3) | instskip(NEXT) | instid1(VALU_DEP_3)
	v_add_nc_u32_e32 v202, v23, v61
	v_cmp_eq_u32_e32 vcc_lo, 0, v201
	s_and_b32 s16, s15, vcc_lo
	s_delay_alu instid0(SALU_CYCLE_1)
	s_and_saveexec_b32 s15, s16
	s_cbranch_execz .LBB1937_750
; %bb.749:                              ;   in Loop: Header=BB1937_682 Depth=2
	s_wait_dscnt 0x0
	v_bcnt_u32_b32 v60, v60, v200
	ds_store_b32 v202, v60 offset:1056
.LBB1937_750:                           ;   in Loop: Header=BB1937_682 Depth=2
	s_or_b32 exec_lo, exec_lo, s15
	; wave barrier
	s_wait_dscnt 0x0
	s_barrier_signal -1
	s_barrier_wait -1
	ds_load_2addr_b32 v[66:67], v118 offset1:1
	ds_load_2addr_b32 v[64:65], v119 offset1:1
	;; [unrolled: 1-line block ×4, first 2 shown]
	ds_load_b32 v203, v91 offset:1088
	s_wait_dscnt 0x3
	v_add3_u32 v204, v67, v66, v64
	s_wait_dscnt 0x2
	s_delay_alu instid0(VALU_DEP_1) | instskip(SKIP_1) | instid1(VALU_DEP_1)
	v_add3_u32 v204, v204, v65, v62
	s_wait_dscnt 0x1
	v_add3_u32 v204, v204, v63, v60
	s_wait_dscnt 0x0
	s_delay_alu instid0(VALU_DEP_1) | instskip(NEXT) | instid1(VALU_DEP_1)
	v_add3_u32 v203, v204, v61, v203
	v_mov_b32_dpp v204, v203 row_shr:1 row_mask:0xf bank_mask:0xf
	s_delay_alu instid0(VALU_DEP_1) | instskip(NEXT) | instid1(VALU_DEP_1)
	v_cndmask_b32_e64 v204, v204, 0, s7
	v_add_nc_u32_e32 v203, v204, v203
	s_delay_alu instid0(VALU_DEP_1) | instskip(NEXT) | instid1(VALU_DEP_1)
	v_mov_b32_dpp v204, v203 row_shr:2 row_mask:0xf bank_mask:0xf
	v_cndmask_b32_e64 v204, 0, v204, s8
	s_delay_alu instid0(VALU_DEP_1) | instskip(NEXT) | instid1(VALU_DEP_1)
	v_add_nc_u32_e32 v203, v203, v204
	v_mov_b32_dpp v204, v203 row_shr:4 row_mask:0xf bank_mask:0xf
	s_delay_alu instid0(VALU_DEP_1) | instskip(NEXT) | instid1(VALU_DEP_1)
	v_cndmask_b32_e64 v204, 0, v204, s9
	v_add_nc_u32_e32 v203, v203, v204
	s_delay_alu instid0(VALU_DEP_1) | instskip(NEXT) | instid1(VALU_DEP_1)
	v_mov_b32_dpp v204, v203 row_shr:8 row_mask:0xf bank_mask:0xf
	v_cndmask_b32_e64 v204, 0, v204, s10
	s_delay_alu instid0(VALU_DEP_1) | instskip(SKIP_3) | instid1(VALU_DEP_1)
	v_add_nc_u32_e32 v203, v203, v204
	ds_swizzle_b32 v204, v203 offset:swizzle(BROADCAST,32,15)
	s_wait_dscnt 0x0
	v_cndmask_b32_e64 v204, v204, 0, s11
	v_add_nc_u32_e32 v203, v203, v204
	s_and_saveexec_b32 s15, s1
; %bb.751:                              ;   in Loop: Header=BB1937_682 Depth=2
	ds_store_b32 v84, v203 offset:1024
; %bb.752:                              ;   in Loop: Header=BB1937_682 Depth=2
	s_or_b32 exec_lo, exec_lo, s15
	s_wait_dscnt 0x0
	s_barrier_signal -1
	s_barrier_wait -1
	s_and_saveexec_b32 s15, s4
	s_cbranch_execz .LBB1937_754
; %bb.753:                              ;   in Loop: Header=BB1937_682 Depth=2
	ds_load_b32 v204, v92 offset:1024
	s_wait_dscnt 0x0
	v_mov_b32_dpp v205, v204 row_shr:1 row_mask:0xf bank_mask:0xf
	s_delay_alu instid0(VALU_DEP_1) | instskip(NEXT) | instid1(VALU_DEP_1)
	v_cndmask_b32_e64 v205, v205, 0, s12
	v_add_nc_u32_e32 v204, v205, v204
	s_delay_alu instid0(VALU_DEP_1) | instskip(NEXT) | instid1(VALU_DEP_1)
	v_mov_b32_dpp v205, v204 row_shr:2 row_mask:0xf bank_mask:0xf
	v_cndmask_b32_e64 v205, 0, v205, s13
	s_delay_alu instid0(VALU_DEP_1) | instskip(NEXT) | instid1(VALU_DEP_1)
	v_add_nc_u32_e32 v204, v204, v205
	v_mov_b32_dpp v205, v204 row_shr:4 row_mask:0xf bank_mask:0xf
	s_delay_alu instid0(VALU_DEP_1) | instskip(NEXT) | instid1(VALU_DEP_1)
	v_cndmask_b32_e64 v205, 0, v205, s14
	v_add_nc_u32_e32 v204, v204, v205
	ds_store_b32 v92, v204 offset:1024
.LBB1937_754:                           ;   in Loop: Header=BB1937_682 Depth=2
	s_or_b32 exec_lo, exec_lo, s15
	v_mov_b32_e32 v204, 0
	s_wait_dscnt 0x0
	s_barrier_signal -1
	s_barrier_wait -1
	s_and_saveexec_b32 s15, s5
; %bb.755:                              ;   in Loop: Header=BB1937_682 Depth=2
	ds_load_b32 v204, v84 offset:1020
; %bb.756:                              ;   in Loop: Header=BB1937_682 Depth=2
	s_or_b32 exec_lo, exec_lo, s15
	s_wait_dscnt 0x0
	v_add_nc_u32_e32 v203, v204, v203
	ds_bpermute_b32 v203, v122, v203
	s_wait_dscnt 0x0
	v_cndmask_b32_e64 v203, v203, v204, s6
	s_delay_alu instid0(VALU_DEP_1) | instskip(NEXT) | instid1(VALU_DEP_1)
	v_cndmask_b32_e64 v203, v203, 0, s2
	v_add_nc_u32_e32 v66, v203, v66
	s_delay_alu instid0(VALU_DEP_1) | instskip(NEXT) | instid1(VALU_DEP_1)
	v_add_nc_u32_e32 v67, v66, v67
	v_add_nc_u32_e32 v64, v67, v64
	s_delay_alu instid0(VALU_DEP_1) | instskip(NEXT) | instid1(VALU_DEP_1)
	v_add_nc_u32_e32 v65, v64, v65
	v_add_nc_u32_e32 v62, v65, v62
	s_delay_alu instid0(VALU_DEP_1) | instskip(NEXT) | instid1(VALU_DEP_1)
	v_add_nc_u32_e32 v63, v62, v63
	v_add_nc_u32_e32 v60, v63, v60
	s_delay_alu instid0(VALU_DEP_1)
	v_add_nc_u32_e32 v61, v60, v61
	ds_store_2addr_b32 v121, v63, v60 offset1:1
	ds_store_2addr_b32 v118, v203, v66 offset1:1
	;; [unrolled: 1-line block ×4, first 2 shown]
	ds_store_b32 v91, v61 offset:1088
	s_wait_dscnt 0x0
	s_barrier_signal -1
	s_barrier_wait -1
	ds_load_b32 v63, v143 offset:1056
	ds_load_b32 v65, v147 offset:1056
	;; [unrolled: 1-line block ×17, first 2 shown]
	v_mov_b32_e32 v62, 0x1000
	s_and_saveexec_b32 s15, s3
; %bb.757:                              ;   in Loop: Header=BB1937_682 Depth=2
	ds_load_b32 v62, v91 offset:1092
; %bb.758:                              ;   in Loop: Header=BB1937_682 Depth=2
	s_or_b32 exec_lo, exec_lo, s15
	s_wait_dscnt 0x0
	s_barrier_signal -1
	s_barrier_wait -1
	s_and_saveexec_b32 s15, s0
	s_cbranch_execz .LBB1937_760
; %bb.759:                              ;   in Loop: Header=BB1937_682 Depth=2
	ds_load_b32 v155, v3
	s_wait_dscnt 0x0
	v_sub_nc_u32_e32 v151, v155, v151
	ds_store_b32 v3, v151
.LBB1937_760:                           ;   in Loop: Header=BB1937_682 Depth=2
	s_or_b32 exec_lo, exec_lo, s15
	v_add3_u32 v159, v146, v145, v65
	v_add_nc_u32_e32 v163, v63, v142
	v_add3_u32 v155, v150, v149, v66
	v_add3_u32 v151, v154, v153, v67
	;; [unrolled: 1-line block ×4, first 2 shown]
	v_lshlrev_b32_e32 v60, 1, v159
	v_lshlrev_b32_e32 v153, 1, v163
	v_add3_u32 v150, v158, v157, v143
	v_add3_u32 v147, v166, v165, v203
	;; [unrolled: 1-line block ×4, first 2 shown]
	v_lshlrev_b32_e32 v61, 1, v155
	v_add3_u32 v145, v174, v173, v175
	v_lshlrev_b32_e32 v154, 1, v149
	ds_store_b16 v153, v140 offset:1024
	v_lshlrev_b32_e32 v140, 1, v151
	v_add3_u32 v143, v178, v177, v179
	v_lshlrev_b32_e32 v153, 1, v150
	v_add3_u32 v142, v182, v181, v183
	v_add3_u32 v63, v186, v185, v187
	ds_store_b16 v60, v141 offset:1024
	ds_store_b16 v61, v144 offset:1024
	;; [unrolled: 1-line block ×5, first 2 shown]
	v_dual_lshlrev_b32 v60, 1, v147 :: v_dual_lshlrev_b32 v140, 1, v145
	v_lshlrev_b32_e32 v61, 1, v146
	v_add3_u32 v65, v198, v197, v64
	v_dual_lshlrev_b32 v141, 1, v143 :: v_dual_lshlrev_b32 v144, 1, v142
	v_add3_u32 v64, v201, v200, v167
	ds_store_b16 v60, v160 offset:1024
	ds_store_b16 v61, v164 offset:1024
	;; [unrolled: 1-line block ×5, first 2 shown]
	v_dual_lshlrev_b32 v60, 1, v63 :: v_dual_lshlrev_b32 v140, 1, v66
	v_cmp_lt_u32_e32 vcc_lo, v2, v139
	v_dual_lshlrev_b32 v61, 1, v67 :: v_dual_lshlrev_b32 v141, 1, v65
	v_lshlrev_b32_e32 v144, 1, v64
	ds_store_b16 v60, v180 offset:1024
	ds_store_b16 v61, v184 offset:1024
	;; [unrolled: 1-line block ×5, first 2 shown]
	s_wait_dscnt 0x0
	s_barrier_signal -1
	s_barrier_wait -1
	s_and_saveexec_b32 s16, vcc_lo
	s_cbranch_execnz .LBB1937_829
; %bb.761:                              ;   in Loop: Header=BB1937_682 Depth=2
	s_or_b32 exec_lo, exec_lo, s16
	v_cmp_lt_u32_e64 s15, v68, v139
	s_and_saveexec_b32 s17, s15
	s_cbranch_execnz .LBB1937_830
.LBB1937_762:                           ;   in Loop: Header=BB1937_682 Depth=2
	s_or_b32 exec_lo, exec_lo, s17
	v_cmp_lt_u32_e64 s16, v69, v139
	s_and_saveexec_b32 s18, s16
	s_cbranch_execnz .LBB1937_831
.LBB1937_763:                           ;   in Loop: Header=BB1937_682 Depth=2
	s_or_b32 exec_lo, exec_lo, s18
	v_cmp_lt_u32_e64 s17, v70, v139
	s_and_saveexec_b32 s19, s17
	s_cbranch_execnz .LBB1937_832
.LBB1937_764:                           ;   in Loop: Header=BB1937_682 Depth=2
	s_or_b32 exec_lo, exec_lo, s19
	v_cmp_lt_u32_e64 s18, v71, v139
	s_and_saveexec_b32 s20, s18
	s_cbranch_execnz .LBB1937_833
.LBB1937_765:                           ;   in Loop: Header=BB1937_682 Depth=2
	s_or_b32 exec_lo, exec_lo, s20
	v_cmp_lt_u32_e64 s19, v72, v139
	s_and_saveexec_b32 s21, s19
	s_cbranch_execnz .LBB1937_834
.LBB1937_766:                           ;   in Loop: Header=BB1937_682 Depth=2
	s_or_b32 exec_lo, exec_lo, s21
	v_cmp_lt_u32_e64 s20, v73, v139
	s_and_saveexec_b32 s22, s20
	s_cbranch_execnz .LBB1937_835
.LBB1937_767:                           ;   in Loop: Header=BB1937_682 Depth=2
	s_or_b32 exec_lo, exec_lo, s22
	v_cmp_lt_u32_e64 s21, v74, v139
	s_and_saveexec_b32 s23, s21
	s_cbranch_execnz .LBB1937_836
.LBB1937_768:                           ;   in Loop: Header=BB1937_682 Depth=2
	s_or_b32 exec_lo, exec_lo, s23
	v_cmp_lt_u32_e64 s22, v75, v139
	s_and_saveexec_b32 s24, s22
	s_cbranch_execnz .LBB1937_837
.LBB1937_769:                           ;   in Loop: Header=BB1937_682 Depth=2
	s_or_b32 exec_lo, exec_lo, s24
	v_cmp_lt_u32_e64 s23, v76, v139
	s_and_saveexec_b32 s25, s23
	s_cbranch_execnz .LBB1937_838
.LBB1937_770:                           ;   in Loop: Header=BB1937_682 Depth=2
	s_or_b32 exec_lo, exec_lo, s25
	v_cmp_lt_u32_e64 s24, v77, v139
	s_and_saveexec_b32 s26, s24
	s_cbranch_execnz .LBB1937_839
.LBB1937_771:                           ;   in Loop: Header=BB1937_682 Depth=2
	s_or_b32 exec_lo, exec_lo, s26
	v_cmp_lt_u32_e64 s25, v78, v139
	s_and_saveexec_b32 s27, s25
	s_cbranch_execnz .LBB1937_840
.LBB1937_772:                           ;   in Loop: Header=BB1937_682 Depth=2
	s_or_b32 exec_lo, exec_lo, s27
	v_cmp_lt_u32_e64 s26, v79, v139
	s_and_saveexec_b32 s28, s26
	s_cbranch_execnz .LBB1937_841
.LBB1937_773:                           ;   in Loop: Header=BB1937_682 Depth=2
	s_or_b32 exec_lo, exec_lo, s28
	v_cmp_lt_u32_e64 s27, v80, v139
	s_and_saveexec_b32 s29, s27
	s_cbranch_execnz .LBB1937_842
.LBB1937_774:                           ;   in Loop: Header=BB1937_682 Depth=2
	s_or_b32 exec_lo, exec_lo, s29
	v_cmp_lt_u32_e64 s28, v81, v139
	s_and_saveexec_b32 s30, s28
	s_cbranch_execnz .LBB1937_843
.LBB1937_775:                           ;   in Loop: Header=BB1937_682 Depth=2
	s_or_b32 exec_lo, exec_lo, s30
	v_cmp_lt_u32_e64 s29, v82, v139
	s_and_saveexec_b32 s58, s29
	s_cbranch_execz .LBB1937_777
.LBB1937_776:                           ;   in Loop: Header=BB1937_682 Depth=2
	ds_load_u16 v60, v93 offset:8704
	s_wait_dscnt 0x0
	v_cmp_ne_u16_e64 s30, 0x8000, v60
	s_delay_alu instid0(VALU_DEP_1) | instskip(SKIP_1) | instid1(VALU_DEP_2)
	v_cndmask_b32_e64 v61, 0x7fff, v60, s30
	v_cmp_gt_i16_e64 s30, 0, v60
	v_and_b32_e32 v61, 0xffff, v61
	s_delay_alu instid0(VALU_DEP_2) | instskip(NEXT) | instid1(VALU_DEP_1)
	v_cndmask_b32_e64 v140, 0x7fff, 0, s30
	v_dual_lshrrev_b32 v61, s49, v61 :: v_dual_bitop2_b32 v60, v140, v60 bitop3:0x14
	s_delay_alu instid0(VALU_DEP_1) | instskip(NEXT) | instid1(VALU_DEP_1)
	v_and_b32_e32 v61, s52, v61
	v_lshlrev_b32_e32 v61, 2, v61
	ds_load_b32 v61, v61
	s_wait_dscnt 0x0
	v_add_nc_u32_e32 v61, v61, v82
	global_store_b16 v61, v60, s[38:39] scale_offset
.LBB1937_777:                           ;   in Loop: Header=BB1937_682 Depth=2
	s_wait_xcnt 0x0
	s_or_b32 exec_lo, exec_lo, s58
	v_lshl_add_u64 v[60:61], s[42:43], 3, v[24:25]
	v_cmp_lt_u32_e64 s30, v100, v139
	s_and_saveexec_b32 s42, s30
	s_delay_alu instid0(SALU_CYCLE_1)
	s_xor_b32 s30, exec_lo, s42
	s_cbranch_execnz .LBB1937_844
; %bb.778:                              ;   in Loop: Header=BB1937_682 Depth=2
	s_or_b32 exec_lo, exec_lo, s30
	s_delay_alu instid0(SALU_CYCLE_1)
	s_mov_b32 s42, exec_lo
	v_cmpx_lt_u32_e64 v103, v139
	s_cbranch_execnz .LBB1937_845
.LBB1937_779:                           ;   in Loop: Header=BB1937_682 Depth=2
	s_or_b32 exec_lo, exec_lo, s42
	s_delay_alu instid0(SALU_CYCLE_1)
	s_mov_b32 s42, exec_lo
	v_cmpx_lt_u32_e64 v104, v139
	s_cbranch_execnz .LBB1937_846
.LBB1937_780:                           ;   in Loop: Header=BB1937_682 Depth=2
	s_or_b32 exec_lo, exec_lo, s42
	s_delay_alu instid0(SALU_CYCLE_1)
	s_mov_b32 s42, exec_lo
	v_cmpx_lt_u32_e64 v105, v139
	s_cbranch_execnz .LBB1937_847
.LBB1937_781:                           ;   in Loop: Header=BB1937_682 Depth=2
	s_or_b32 exec_lo, exec_lo, s42
	s_delay_alu instid0(SALU_CYCLE_1)
	s_mov_b32 s42, exec_lo
	v_cmpx_lt_u32_e64 v106, v139
	s_cbranch_execnz .LBB1937_848
.LBB1937_782:                           ;   in Loop: Header=BB1937_682 Depth=2
	s_or_b32 exec_lo, exec_lo, s42
	s_delay_alu instid0(SALU_CYCLE_1)
	s_mov_b32 s42, exec_lo
	v_cmpx_lt_u32_e64 v107, v139
	s_cbranch_execnz .LBB1937_849
.LBB1937_783:                           ;   in Loop: Header=BB1937_682 Depth=2
	s_or_b32 exec_lo, exec_lo, s42
	s_delay_alu instid0(SALU_CYCLE_1)
	s_mov_b32 s42, exec_lo
	v_cmpx_lt_u32_e64 v108, v139
	s_cbranch_execnz .LBB1937_850
.LBB1937_784:                           ;   in Loop: Header=BB1937_682 Depth=2
	s_or_b32 exec_lo, exec_lo, s42
	s_delay_alu instid0(SALU_CYCLE_1)
	s_mov_b32 s42, exec_lo
	v_cmpx_lt_u32_e64 v109, v139
	s_cbranch_execnz .LBB1937_851
.LBB1937_785:                           ;   in Loop: Header=BB1937_682 Depth=2
	s_or_b32 exec_lo, exec_lo, s42
	s_delay_alu instid0(SALU_CYCLE_1)
	s_mov_b32 s42, exec_lo
	v_cmpx_lt_u32_e64 v110, v139
	s_cbranch_execnz .LBB1937_852
.LBB1937_786:                           ;   in Loop: Header=BB1937_682 Depth=2
	s_or_b32 exec_lo, exec_lo, s42
	s_delay_alu instid0(SALU_CYCLE_1)
	s_mov_b32 s42, exec_lo
	v_cmpx_lt_u32_e64 v111, v139
	s_cbranch_execnz .LBB1937_853
.LBB1937_787:                           ;   in Loop: Header=BB1937_682 Depth=2
	s_or_b32 exec_lo, exec_lo, s42
	s_delay_alu instid0(SALU_CYCLE_1)
	s_mov_b32 s42, exec_lo
	v_cmpx_lt_u32_e64 v112, v139
	s_cbranch_execnz .LBB1937_854
.LBB1937_788:                           ;   in Loop: Header=BB1937_682 Depth=2
	s_or_b32 exec_lo, exec_lo, s42
	s_delay_alu instid0(SALU_CYCLE_1)
	s_mov_b32 s42, exec_lo
	v_cmpx_lt_u32_e64 v113, v139
	s_cbranch_execnz .LBB1937_855
.LBB1937_789:                           ;   in Loop: Header=BB1937_682 Depth=2
	s_or_b32 exec_lo, exec_lo, s42
	s_delay_alu instid0(SALU_CYCLE_1)
	s_mov_b32 s42, exec_lo
	v_cmpx_lt_u32_e64 v114, v139
	s_cbranch_execnz .LBB1937_856
.LBB1937_790:                           ;   in Loop: Header=BB1937_682 Depth=2
	s_or_b32 exec_lo, exec_lo, s42
	s_delay_alu instid0(SALU_CYCLE_1)
	s_mov_b32 s42, exec_lo
	v_cmpx_lt_u32_e64 v115, v139
	s_cbranch_execnz .LBB1937_857
.LBB1937_791:                           ;   in Loop: Header=BB1937_682 Depth=2
	s_or_b32 exec_lo, exec_lo, s42
	s_delay_alu instid0(SALU_CYCLE_1)
	s_mov_b32 s42, exec_lo
	v_cmpx_lt_u32_e64 v116, v139
	s_cbranch_execnz .LBB1937_858
.LBB1937_792:                           ;   in Loop: Header=BB1937_682 Depth=2
	s_or_b32 exec_lo, exec_lo, s42
	s_delay_alu instid0(SALU_CYCLE_1)
	s_mov_b32 s42, exec_lo
	v_cmpx_lt_u32_e64 v117, v139
	s_cbranch_execnz .LBB1937_859
.LBB1937_793:                           ;   in Loop: Header=BB1937_682 Depth=2
	s_or_b32 exec_lo, exec_lo, s42
	s_and_saveexec_b32 s42, vcc_lo
	s_cbranch_execnz .LBB1937_860
.LBB1937_794:                           ;   in Loop: Header=BB1937_682 Depth=2
	s_or_b32 exec_lo, exec_lo, s42
	s_and_saveexec_b32 s42, s15
	s_cbranch_execnz .LBB1937_861
.LBB1937_795:                           ;   in Loop: Header=BB1937_682 Depth=2
	s_or_b32 exec_lo, exec_lo, s42
	s_and_saveexec_b32 s42, s16
	s_cbranch_execnz .LBB1937_862
.LBB1937_796:                           ;   in Loop: Header=BB1937_682 Depth=2
	s_or_b32 exec_lo, exec_lo, s42
	s_and_saveexec_b32 s42, s17
	s_cbranch_execnz .LBB1937_863
.LBB1937_797:                           ;   in Loop: Header=BB1937_682 Depth=2
	s_or_b32 exec_lo, exec_lo, s42
	s_and_saveexec_b32 s42, s18
	s_cbranch_execnz .LBB1937_864
.LBB1937_798:                           ;   in Loop: Header=BB1937_682 Depth=2
	s_or_b32 exec_lo, exec_lo, s42
	s_and_saveexec_b32 s42, s19
	s_cbranch_execnz .LBB1937_865
.LBB1937_799:                           ;   in Loop: Header=BB1937_682 Depth=2
	s_or_b32 exec_lo, exec_lo, s42
	s_and_saveexec_b32 s42, s20
	s_cbranch_execnz .LBB1937_866
.LBB1937_800:                           ;   in Loop: Header=BB1937_682 Depth=2
	s_or_b32 exec_lo, exec_lo, s42
	s_and_saveexec_b32 s42, s21
	s_cbranch_execnz .LBB1937_867
.LBB1937_801:                           ;   in Loop: Header=BB1937_682 Depth=2
	s_or_b32 exec_lo, exec_lo, s42
	s_and_saveexec_b32 s42, s22
	s_cbranch_execnz .LBB1937_868
.LBB1937_802:                           ;   in Loop: Header=BB1937_682 Depth=2
	s_or_b32 exec_lo, exec_lo, s42
	s_and_saveexec_b32 s42, s23
	s_cbranch_execnz .LBB1937_869
.LBB1937_803:                           ;   in Loop: Header=BB1937_682 Depth=2
	s_or_b32 exec_lo, exec_lo, s42
	s_and_saveexec_b32 s42, s24
	s_cbranch_execnz .LBB1937_870
.LBB1937_804:                           ;   in Loop: Header=BB1937_682 Depth=2
	s_or_b32 exec_lo, exec_lo, s42
	s_and_saveexec_b32 s42, s25
	s_cbranch_execnz .LBB1937_871
.LBB1937_805:                           ;   in Loop: Header=BB1937_682 Depth=2
	s_or_b32 exec_lo, exec_lo, s42
	s_and_saveexec_b32 s42, s26
	s_cbranch_execnz .LBB1937_872
.LBB1937_806:                           ;   in Loop: Header=BB1937_682 Depth=2
	s_or_b32 exec_lo, exec_lo, s42
	s_and_saveexec_b32 s42, s27
	s_cbranch_execnz .LBB1937_873
.LBB1937_807:                           ;   in Loop: Header=BB1937_682 Depth=2
	s_or_b32 exec_lo, exec_lo, s42
	s_and_saveexec_b32 s42, s28
	s_cbranch_execnz .LBB1937_874
.LBB1937_808:                           ;   in Loop: Header=BB1937_682 Depth=2
	s_or_b32 exec_lo, exec_lo, s42
	s_and_saveexec_b32 s42, s29
	s_cbranch_execz .LBB1937_810
.LBB1937_809:                           ;   in Loop: Header=BB1937_682 Depth=2
	ds_load_u16 v60, v93 offset:8704
	s_wait_dscnt 0x0
	v_cmp_ne_u16_e64 s30, 0x8000, v60
	s_delay_alu instid0(VALU_DEP_1) | instskip(NEXT) | instid1(VALU_DEP_1)
	v_cndmask_b32_e64 v60, 0x7fff, v60, s30
	v_and_b32_e32 v60, 0xffff, v60
	s_delay_alu instid0(VALU_DEP_1) | instskip(NEXT) | instid1(VALU_DEP_1)
	v_lshrrev_b32_e32 v60, s49, v60
	v_and_b32_e32 v123, s52, v60
.LBB1937_810:                           ;   in Loop: Header=BB1937_682 Depth=2
	s_or_b32 exec_lo, exec_lo, s42
	v_dual_lshlrev_b32 v60, 3, v163 :: v_dual_lshlrev_b32 v140, 3, v150
	s_wait_loadcnt 0x0
	s_wait_storecnt 0x0
	s_barrier_signal -1
	s_barrier_wait -1
	ds_store_b64 v60, v[58:59] offset:1024
	v_dual_lshlrev_b32 v60, 3, v159 :: v_dual_lshlrev_b32 v141, 3, v149
	v_lshlrev_b32_e32 v61, 3, v155
	v_lshlrev_b32_e32 v139, 3, v151
	ds_store_b64 v60, v[56:57] offset:1024
	ds_store_b64 v61, v[54:55] offset:1024
	;; [unrolled: 1-line block ×5, first 2 shown]
	v_dual_lshlrev_b32 v60, 3, v147 :: v_dual_lshlrev_b32 v141, 3, v142
	v_dual_lshlrev_b32 v61, 3, v146 :: v_dual_lshlrev_b32 v139, 3, v145
	v_lshlrev_b32_e32 v140, 3, v143
	ds_store_b64 v60, v[46:47] offset:1024
	ds_store_b64 v61, v[44:45] offset:1024
	;; [unrolled: 1-line block ×5, first 2 shown]
	v_dual_lshlrev_b32 v60, 3, v63 :: v_dual_lshlrev_b32 v65, 3, v65
	v_dual_lshlrev_b32 v61, 3, v67 :: v_dual_lshlrev_b32 v64, 3, v64
	v_lshlrev_b32_e32 v63, 3, v66
	ds_store_b64 v60, v[36:37] offset:1024
	ds_store_b64 v61, v[34:35] offset:1024
	;; [unrolled: 1-line block ×5, first 2 shown]
	s_wait_dscnt 0x0
	s_barrier_signal -1
	s_barrier_wait -1
	s_and_saveexec_b32 s30, vcc_lo
	s_cbranch_execnz .LBB1937_875
; %bb.811:                              ;   in Loop: Header=BB1937_682 Depth=2
	s_or_b32 exec_lo, exec_lo, s30
	s_and_saveexec_b32 s30, s15
	s_cbranch_execnz .LBB1937_876
.LBB1937_812:                           ;   in Loop: Header=BB1937_682 Depth=2
	s_or_b32 exec_lo, exec_lo, s30
	s_and_saveexec_b32 s15, s16
	s_cbranch_execnz .LBB1937_877
.LBB1937_813:                           ;   in Loop: Header=BB1937_682 Depth=2
	s_or_b32 exec_lo, exec_lo, s15
	s_and_saveexec_b32 s15, s17
	s_cbranch_execnz .LBB1937_878
.LBB1937_814:                           ;   in Loop: Header=BB1937_682 Depth=2
	s_or_b32 exec_lo, exec_lo, s15
	s_and_saveexec_b32 s15, s18
	s_cbranch_execnz .LBB1937_879
.LBB1937_815:                           ;   in Loop: Header=BB1937_682 Depth=2
	s_or_b32 exec_lo, exec_lo, s15
	s_and_saveexec_b32 s15, s19
	s_cbranch_execnz .LBB1937_880
.LBB1937_816:                           ;   in Loop: Header=BB1937_682 Depth=2
	s_or_b32 exec_lo, exec_lo, s15
	s_and_saveexec_b32 s15, s20
	s_cbranch_execnz .LBB1937_881
.LBB1937_817:                           ;   in Loop: Header=BB1937_682 Depth=2
	s_or_b32 exec_lo, exec_lo, s15
	s_and_saveexec_b32 s15, s21
	s_cbranch_execnz .LBB1937_882
.LBB1937_818:                           ;   in Loop: Header=BB1937_682 Depth=2
	s_or_b32 exec_lo, exec_lo, s15
	s_and_saveexec_b32 s15, s22
	s_cbranch_execnz .LBB1937_883
.LBB1937_819:                           ;   in Loop: Header=BB1937_682 Depth=2
	s_or_b32 exec_lo, exec_lo, s15
	s_and_saveexec_b32 s15, s23
	s_cbranch_execnz .LBB1937_884
.LBB1937_820:                           ;   in Loop: Header=BB1937_682 Depth=2
	s_or_b32 exec_lo, exec_lo, s15
	s_and_saveexec_b32 s15, s24
	s_cbranch_execnz .LBB1937_885
.LBB1937_821:                           ;   in Loop: Header=BB1937_682 Depth=2
	s_or_b32 exec_lo, exec_lo, s15
	s_and_saveexec_b32 s15, s25
	s_cbranch_execnz .LBB1937_886
.LBB1937_822:                           ;   in Loop: Header=BB1937_682 Depth=2
	s_or_b32 exec_lo, exec_lo, s15
	s_and_saveexec_b32 s15, s26
	s_cbranch_execnz .LBB1937_887
.LBB1937_823:                           ;   in Loop: Header=BB1937_682 Depth=2
	s_or_b32 exec_lo, exec_lo, s15
	s_and_saveexec_b32 s15, s27
	s_cbranch_execnz .LBB1937_888
.LBB1937_824:                           ;   in Loop: Header=BB1937_682 Depth=2
	s_or_b32 exec_lo, exec_lo, s15
	s_and_saveexec_b32 s15, s28
	s_cbranch_execnz .LBB1937_889
.LBB1937_825:                           ;   in Loop: Header=BB1937_682 Depth=2
	s_or_b32 exec_lo, exec_lo, s15
	s_and_saveexec_b32 s15, s29
	s_cbranch_execz .LBB1937_827
.LBB1937_826:                           ;   in Loop: Header=BB1937_682 Depth=2
	v_dual_lshlrev_b32 v60, 2, v123 :: v_dual_add_nc_u32 v61, v93, v94
	ds_load_b32 v63, v60
	ds_load_b64 v[60:61], v61 offset:31744
	s_wait_dscnt 0x1
	v_add_nc_u32_e32 v63, v63, v82
	s_wait_dscnt 0x0
	global_store_b64 v63, v[60:61], s[44:45] scale_offset
.LBB1937_827:                           ;   in Loop: Header=BB1937_682 Depth=2
	s_wait_xcnt 0x0
	s_or_b32 exec_lo, exec_lo, s15
	s_wait_storecnt 0x0
	s_barrier_signal -1
	s_barrier_wait -1
	s_and_saveexec_b32 s15, s0
	s_cbranch_execz .LBB1937_681
; %bb.828:                              ;   in Loop: Header=BB1937_682 Depth=2
	ds_load_b32 v60, v3
	s_wait_dscnt 0x0
	v_add_nc_u32_e32 v60, v60, v62
	ds_store_b32 v3, v60
	s_branch .LBB1937_681
.LBB1937_829:                           ;   in Loop: Header=BB1937_682 Depth=2
	ds_load_u16 v60, v93 offset:1024
	s_wait_dscnt 0x0
	v_cmp_ne_u16_e64 s15, 0x8000, v60
	s_delay_alu instid0(VALU_DEP_1) | instskip(SKIP_1) | instid1(VALU_DEP_2)
	v_cndmask_b32_e64 v61, 0x7fff, v60, s15
	v_cmp_gt_i16_e64 s15, 0, v60
	v_and_b32_e32 v61, 0xffff, v61
	s_delay_alu instid0(VALU_DEP_2) | instskip(NEXT) | instid1(VALU_DEP_1)
	v_cndmask_b32_e64 v140, 0x7fff, 0, s15
	v_dual_lshrrev_b32 v61, s49, v61 :: v_dual_bitop2_b32 v60, v140, v60 bitop3:0x14
	s_delay_alu instid0(VALU_DEP_1) | instskip(NEXT) | instid1(VALU_DEP_1)
	v_and_b32_e32 v61, s52, v61
	v_lshlrev_b32_e32 v61, 2, v61
	ds_load_b32 v61, v61
	s_wait_dscnt 0x0
	v_add_nc_u32_e32 v61, v61, v2
	global_store_b16 v61, v60, s[38:39] scale_offset
	s_wait_xcnt 0x0
	s_or_b32 exec_lo, exec_lo, s16
	v_cmp_lt_u32_e64 s15, v68, v139
	s_and_saveexec_b32 s17, s15
	s_cbranch_execz .LBB1937_762
.LBB1937_830:                           ;   in Loop: Header=BB1937_682 Depth=2
	ds_load_u16 v60, v93 offset:1536
	s_wait_dscnt 0x0
	v_cmp_ne_u16_e64 s16, 0x8000, v60
	s_delay_alu instid0(VALU_DEP_1) | instskip(SKIP_1) | instid1(VALU_DEP_2)
	v_cndmask_b32_e64 v61, 0x7fff, v60, s16
	v_cmp_gt_i16_e64 s16, 0, v60
	v_and_b32_e32 v61, 0xffff, v61
	s_delay_alu instid0(VALU_DEP_2) | instskip(NEXT) | instid1(VALU_DEP_1)
	v_cndmask_b32_e64 v140, 0x7fff, 0, s16
	v_dual_lshrrev_b32 v61, s49, v61 :: v_dual_bitop2_b32 v60, v140, v60 bitop3:0x14
	s_delay_alu instid0(VALU_DEP_1) | instskip(NEXT) | instid1(VALU_DEP_1)
	v_and_b32_e32 v61, s52, v61
	v_lshlrev_b32_e32 v61, 2, v61
	ds_load_b32 v61, v61
	s_wait_dscnt 0x0
	v_add_nc_u32_e32 v61, v61, v68
	global_store_b16 v61, v60, s[38:39] scale_offset
	s_wait_xcnt 0x0
	s_or_b32 exec_lo, exec_lo, s17
	v_cmp_lt_u32_e64 s16, v69, v139
	s_and_saveexec_b32 s18, s16
	s_cbranch_execz .LBB1937_763
.LBB1937_831:                           ;   in Loop: Header=BB1937_682 Depth=2
	ds_load_u16 v60, v93 offset:2048
	s_wait_dscnt 0x0
	v_cmp_ne_u16_e64 s17, 0x8000, v60
	s_delay_alu instid0(VALU_DEP_1) | instskip(SKIP_1) | instid1(VALU_DEP_2)
	v_cndmask_b32_e64 v61, 0x7fff, v60, s17
	v_cmp_gt_i16_e64 s17, 0, v60
	v_and_b32_e32 v61, 0xffff, v61
	s_delay_alu instid0(VALU_DEP_2) | instskip(NEXT) | instid1(VALU_DEP_1)
	v_cndmask_b32_e64 v140, 0x7fff, 0, s17
	v_dual_lshrrev_b32 v61, s49, v61 :: v_dual_bitop2_b32 v60, v140, v60 bitop3:0x14
	s_delay_alu instid0(VALU_DEP_1) | instskip(NEXT) | instid1(VALU_DEP_1)
	v_and_b32_e32 v61, s52, v61
	v_lshlrev_b32_e32 v61, 2, v61
	ds_load_b32 v61, v61
	s_wait_dscnt 0x0
	v_add_nc_u32_e32 v61, v61, v69
	global_store_b16 v61, v60, s[38:39] scale_offset
	s_wait_xcnt 0x0
	s_or_b32 exec_lo, exec_lo, s18
	v_cmp_lt_u32_e64 s17, v70, v139
	s_and_saveexec_b32 s19, s17
	s_cbranch_execz .LBB1937_764
.LBB1937_832:                           ;   in Loop: Header=BB1937_682 Depth=2
	ds_load_u16 v60, v93 offset:2560
	s_wait_dscnt 0x0
	v_cmp_ne_u16_e64 s18, 0x8000, v60
	s_delay_alu instid0(VALU_DEP_1) | instskip(SKIP_1) | instid1(VALU_DEP_2)
	v_cndmask_b32_e64 v61, 0x7fff, v60, s18
	v_cmp_gt_i16_e64 s18, 0, v60
	v_and_b32_e32 v61, 0xffff, v61
	s_delay_alu instid0(VALU_DEP_2) | instskip(NEXT) | instid1(VALU_DEP_1)
	v_cndmask_b32_e64 v140, 0x7fff, 0, s18
	v_dual_lshrrev_b32 v61, s49, v61 :: v_dual_bitop2_b32 v60, v140, v60 bitop3:0x14
	s_delay_alu instid0(VALU_DEP_1) | instskip(NEXT) | instid1(VALU_DEP_1)
	v_and_b32_e32 v61, s52, v61
	v_lshlrev_b32_e32 v61, 2, v61
	ds_load_b32 v61, v61
	s_wait_dscnt 0x0
	v_add_nc_u32_e32 v61, v61, v70
	global_store_b16 v61, v60, s[38:39] scale_offset
	s_wait_xcnt 0x0
	s_or_b32 exec_lo, exec_lo, s19
	v_cmp_lt_u32_e64 s18, v71, v139
	s_and_saveexec_b32 s20, s18
	s_cbranch_execz .LBB1937_765
.LBB1937_833:                           ;   in Loop: Header=BB1937_682 Depth=2
	ds_load_u16 v60, v93 offset:3072
	s_wait_dscnt 0x0
	v_cmp_ne_u16_e64 s19, 0x8000, v60
	s_delay_alu instid0(VALU_DEP_1) | instskip(SKIP_1) | instid1(VALU_DEP_2)
	v_cndmask_b32_e64 v61, 0x7fff, v60, s19
	v_cmp_gt_i16_e64 s19, 0, v60
	v_and_b32_e32 v61, 0xffff, v61
	s_delay_alu instid0(VALU_DEP_2) | instskip(NEXT) | instid1(VALU_DEP_1)
	v_cndmask_b32_e64 v140, 0x7fff, 0, s19
	v_dual_lshrrev_b32 v61, s49, v61 :: v_dual_bitop2_b32 v60, v140, v60 bitop3:0x14
	s_delay_alu instid0(VALU_DEP_1) | instskip(NEXT) | instid1(VALU_DEP_1)
	v_and_b32_e32 v61, s52, v61
	v_lshlrev_b32_e32 v61, 2, v61
	ds_load_b32 v61, v61
	s_wait_dscnt 0x0
	v_add_nc_u32_e32 v61, v61, v71
	global_store_b16 v61, v60, s[38:39] scale_offset
	s_wait_xcnt 0x0
	s_or_b32 exec_lo, exec_lo, s20
	v_cmp_lt_u32_e64 s19, v72, v139
	s_and_saveexec_b32 s21, s19
	s_cbranch_execz .LBB1937_766
.LBB1937_834:                           ;   in Loop: Header=BB1937_682 Depth=2
	ds_load_u16 v60, v93 offset:3584
	s_wait_dscnt 0x0
	v_cmp_ne_u16_e64 s20, 0x8000, v60
	s_delay_alu instid0(VALU_DEP_1) | instskip(SKIP_1) | instid1(VALU_DEP_2)
	v_cndmask_b32_e64 v61, 0x7fff, v60, s20
	v_cmp_gt_i16_e64 s20, 0, v60
	v_and_b32_e32 v61, 0xffff, v61
	s_delay_alu instid0(VALU_DEP_2) | instskip(NEXT) | instid1(VALU_DEP_1)
	v_cndmask_b32_e64 v140, 0x7fff, 0, s20
	v_dual_lshrrev_b32 v61, s49, v61 :: v_dual_bitop2_b32 v60, v140, v60 bitop3:0x14
	s_delay_alu instid0(VALU_DEP_1) | instskip(NEXT) | instid1(VALU_DEP_1)
	v_and_b32_e32 v61, s52, v61
	v_lshlrev_b32_e32 v61, 2, v61
	ds_load_b32 v61, v61
	s_wait_dscnt 0x0
	v_add_nc_u32_e32 v61, v61, v72
	global_store_b16 v61, v60, s[38:39] scale_offset
	s_wait_xcnt 0x0
	s_or_b32 exec_lo, exec_lo, s21
	v_cmp_lt_u32_e64 s20, v73, v139
	s_and_saveexec_b32 s22, s20
	s_cbranch_execz .LBB1937_767
.LBB1937_835:                           ;   in Loop: Header=BB1937_682 Depth=2
	ds_load_u16 v60, v93 offset:4096
	s_wait_dscnt 0x0
	v_cmp_ne_u16_e64 s21, 0x8000, v60
	s_delay_alu instid0(VALU_DEP_1) | instskip(SKIP_1) | instid1(VALU_DEP_2)
	v_cndmask_b32_e64 v61, 0x7fff, v60, s21
	v_cmp_gt_i16_e64 s21, 0, v60
	v_and_b32_e32 v61, 0xffff, v61
	s_delay_alu instid0(VALU_DEP_2) | instskip(NEXT) | instid1(VALU_DEP_1)
	v_cndmask_b32_e64 v140, 0x7fff, 0, s21
	v_dual_lshrrev_b32 v61, s49, v61 :: v_dual_bitop2_b32 v60, v140, v60 bitop3:0x14
	s_delay_alu instid0(VALU_DEP_1) | instskip(NEXT) | instid1(VALU_DEP_1)
	v_and_b32_e32 v61, s52, v61
	v_lshlrev_b32_e32 v61, 2, v61
	ds_load_b32 v61, v61
	s_wait_dscnt 0x0
	v_add_nc_u32_e32 v61, v61, v73
	global_store_b16 v61, v60, s[38:39] scale_offset
	s_wait_xcnt 0x0
	s_or_b32 exec_lo, exec_lo, s22
	v_cmp_lt_u32_e64 s21, v74, v139
	s_and_saveexec_b32 s23, s21
	s_cbranch_execz .LBB1937_768
.LBB1937_836:                           ;   in Loop: Header=BB1937_682 Depth=2
	ds_load_u16 v60, v93 offset:4608
	s_wait_dscnt 0x0
	v_cmp_ne_u16_e64 s22, 0x8000, v60
	s_delay_alu instid0(VALU_DEP_1) | instskip(SKIP_1) | instid1(VALU_DEP_2)
	v_cndmask_b32_e64 v61, 0x7fff, v60, s22
	v_cmp_gt_i16_e64 s22, 0, v60
	v_and_b32_e32 v61, 0xffff, v61
	s_delay_alu instid0(VALU_DEP_2) | instskip(NEXT) | instid1(VALU_DEP_1)
	v_cndmask_b32_e64 v140, 0x7fff, 0, s22
	v_dual_lshrrev_b32 v61, s49, v61 :: v_dual_bitop2_b32 v60, v140, v60 bitop3:0x14
	s_delay_alu instid0(VALU_DEP_1) | instskip(NEXT) | instid1(VALU_DEP_1)
	v_and_b32_e32 v61, s52, v61
	v_lshlrev_b32_e32 v61, 2, v61
	ds_load_b32 v61, v61
	s_wait_dscnt 0x0
	v_add_nc_u32_e32 v61, v61, v74
	global_store_b16 v61, v60, s[38:39] scale_offset
	s_wait_xcnt 0x0
	s_or_b32 exec_lo, exec_lo, s23
	v_cmp_lt_u32_e64 s22, v75, v139
	s_and_saveexec_b32 s24, s22
	s_cbranch_execz .LBB1937_769
.LBB1937_837:                           ;   in Loop: Header=BB1937_682 Depth=2
	ds_load_u16 v60, v93 offset:5120
	s_wait_dscnt 0x0
	v_cmp_ne_u16_e64 s23, 0x8000, v60
	s_delay_alu instid0(VALU_DEP_1) | instskip(SKIP_1) | instid1(VALU_DEP_2)
	v_cndmask_b32_e64 v61, 0x7fff, v60, s23
	v_cmp_gt_i16_e64 s23, 0, v60
	v_and_b32_e32 v61, 0xffff, v61
	s_delay_alu instid0(VALU_DEP_2) | instskip(NEXT) | instid1(VALU_DEP_1)
	v_cndmask_b32_e64 v140, 0x7fff, 0, s23
	v_dual_lshrrev_b32 v61, s49, v61 :: v_dual_bitop2_b32 v60, v140, v60 bitop3:0x14
	s_delay_alu instid0(VALU_DEP_1) | instskip(NEXT) | instid1(VALU_DEP_1)
	v_and_b32_e32 v61, s52, v61
	v_lshlrev_b32_e32 v61, 2, v61
	ds_load_b32 v61, v61
	s_wait_dscnt 0x0
	v_add_nc_u32_e32 v61, v61, v75
	global_store_b16 v61, v60, s[38:39] scale_offset
	s_wait_xcnt 0x0
	s_or_b32 exec_lo, exec_lo, s24
	v_cmp_lt_u32_e64 s23, v76, v139
	s_and_saveexec_b32 s25, s23
	s_cbranch_execz .LBB1937_770
.LBB1937_838:                           ;   in Loop: Header=BB1937_682 Depth=2
	ds_load_u16 v60, v93 offset:5632
	s_wait_dscnt 0x0
	v_cmp_ne_u16_e64 s24, 0x8000, v60
	s_delay_alu instid0(VALU_DEP_1) | instskip(SKIP_1) | instid1(VALU_DEP_2)
	v_cndmask_b32_e64 v61, 0x7fff, v60, s24
	v_cmp_gt_i16_e64 s24, 0, v60
	v_and_b32_e32 v61, 0xffff, v61
	s_delay_alu instid0(VALU_DEP_2) | instskip(NEXT) | instid1(VALU_DEP_1)
	v_cndmask_b32_e64 v140, 0x7fff, 0, s24
	v_dual_lshrrev_b32 v61, s49, v61 :: v_dual_bitop2_b32 v60, v140, v60 bitop3:0x14
	s_delay_alu instid0(VALU_DEP_1) | instskip(NEXT) | instid1(VALU_DEP_1)
	v_and_b32_e32 v61, s52, v61
	v_lshlrev_b32_e32 v61, 2, v61
	ds_load_b32 v61, v61
	s_wait_dscnt 0x0
	v_add_nc_u32_e32 v61, v61, v76
	global_store_b16 v61, v60, s[38:39] scale_offset
	s_wait_xcnt 0x0
	s_or_b32 exec_lo, exec_lo, s25
	v_cmp_lt_u32_e64 s24, v77, v139
	s_and_saveexec_b32 s26, s24
	s_cbranch_execz .LBB1937_771
.LBB1937_839:                           ;   in Loop: Header=BB1937_682 Depth=2
	ds_load_u16 v60, v93 offset:6144
	s_wait_dscnt 0x0
	v_cmp_ne_u16_e64 s25, 0x8000, v60
	s_delay_alu instid0(VALU_DEP_1) | instskip(SKIP_1) | instid1(VALU_DEP_2)
	v_cndmask_b32_e64 v61, 0x7fff, v60, s25
	v_cmp_gt_i16_e64 s25, 0, v60
	v_and_b32_e32 v61, 0xffff, v61
	s_delay_alu instid0(VALU_DEP_2) | instskip(NEXT) | instid1(VALU_DEP_1)
	v_cndmask_b32_e64 v140, 0x7fff, 0, s25
	v_dual_lshrrev_b32 v61, s49, v61 :: v_dual_bitop2_b32 v60, v140, v60 bitop3:0x14
	s_delay_alu instid0(VALU_DEP_1) | instskip(NEXT) | instid1(VALU_DEP_1)
	v_and_b32_e32 v61, s52, v61
	v_lshlrev_b32_e32 v61, 2, v61
	ds_load_b32 v61, v61
	s_wait_dscnt 0x0
	v_add_nc_u32_e32 v61, v61, v77
	global_store_b16 v61, v60, s[38:39] scale_offset
	s_wait_xcnt 0x0
	s_or_b32 exec_lo, exec_lo, s26
	v_cmp_lt_u32_e64 s25, v78, v139
	s_and_saveexec_b32 s27, s25
	s_cbranch_execz .LBB1937_772
.LBB1937_840:                           ;   in Loop: Header=BB1937_682 Depth=2
	ds_load_u16 v60, v93 offset:6656
	s_wait_dscnt 0x0
	v_cmp_ne_u16_e64 s26, 0x8000, v60
	s_delay_alu instid0(VALU_DEP_1) | instskip(SKIP_1) | instid1(VALU_DEP_2)
	v_cndmask_b32_e64 v61, 0x7fff, v60, s26
	v_cmp_gt_i16_e64 s26, 0, v60
	v_and_b32_e32 v61, 0xffff, v61
	s_delay_alu instid0(VALU_DEP_2) | instskip(NEXT) | instid1(VALU_DEP_1)
	v_cndmask_b32_e64 v140, 0x7fff, 0, s26
	v_dual_lshrrev_b32 v61, s49, v61 :: v_dual_bitop2_b32 v60, v140, v60 bitop3:0x14
	s_delay_alu instid0(VALU_DEP_1) | instskip(NEXT) | instid1(VALU_DEP_1)
	v_and_b32_e32 v61, s52, v61
	v_lshlrev_b32_e32 v61, 2, v61
	ds_load_b32 v61, v61
	s_wait_dscnt 0x0
	v_add_nc_u32_e32 v61, v61, v78
	global_store_b16 v61, v60, s[38:39] scale_offset
	s_wait_xcnt 0x0
	s_or_b32 exec_lo, exec_lo, s27
	v_cmp_lt_u32_e64 s26, v79, v139
	s_and_saveexec_b32 s28, s26
	s_cbranch_execz .LBB1937_773
.LBB1937_841:                           ;   in Loop: Header=BB1937_682 Depth=2
	ds_load_u16 v60, v93 offset:7168
	s_wait_dscnt 0x0
	v_cmp_ne_u16_e64 s27, 0x8000, v60
	s_delay_alu instid0(VALU_DEP_1) | instskip(SKIP_1) | instid1(VALU_DEP_2)
	v_cndmask_b32_e64 v61, 0x7fff, v60, s27
	v_cmp_gt_i16_e64 s27, 0, v60
	v_and_b32_e32 v61, 0xffff, v61
	s_delay_alu instid0(VALU_DEP_2) | instskip(NEXT) | instid1(VALU_DEP_1)
	v_cndmask_b32_e64 v140, 0x7fff, 0, s27
	v_dual_lshrrev_b32 v61, s49, v61 :: v_dual_bitop2_b32 v60, v140, v60 bitop3:0x14
	s_delay_alu instid0(VALU_DEP_1) | instskip(NEXT) | instid1(VALU_DEP_1)
	v_and_b32_e32 v61, s52, v61
	v_lshlrev_b32_e32 v61, 2, v61
	ds_load_b32 v61, v61
	s_wait_dscnt 0x0
	v_add_nc_u32_e32 v61, v61, v79
	global_store_b16 v61, v60, s[38:39] scale_offset
	s_wait_xcnt 0x0
	s_or_b32 exec_lo, exec_lo, s28
	v_cmp_lt_u32_e64 s27, v80, v139
	s_and_saveexec_b32 s29, s27
	s_cbranch_execz .LBB1937_774
.LBB1937_842:                           ;   in Loop: Header=BB1937_682 Depth=2
	ds_load_u16 v60, v93 offset:7680
	s_wait_dscnt 0x0
	v_cmp_ne_u16_e64 s28, 0x8000, v60
	s_delay_alu instid0(VALU_DEP_1) | instskip(SKIP_1) | instid1(VALU_DEP_2)
	v_cndmask_b32_e64 v61, 0x7fff, v60, s28
	v_cmp_gt_i16_e64 s28, 0, v60
	v_and_b32_e32 v61, 0xffff, v61
	s_delay_alu instid0(VALU_DEP_2) | instskip(NEXT) | instid1(VALU_DEP_1)
	v_cndmask_b32_e64 v140, 0x7fff, 0, s28
	v_dual_lshrrev_b32 v61, s49, v61 :: v_dual_bitop2_b32 v60, v140, v60 bitop3:0x14
	s_delay_alu instid0(VALU_DEP_1) | instskip(NEXT) | instid1(VALU_DEP_1)
	v_and_b32_e32 v61, s52, v61
	v_lshlrev_b32_e32 v61, 2, v61
	ds_load_b32 v61, v61
	s_wait_dscnt 0x0
	v_add_nc_u32_e32 v61, v61, v80
	global_store_b16 v61, v60, s[38:39] scale_offset
	s_wait_xcnt 0x0
	s_or_b32 exec_lo, exec_lo, s29
	v_cmp_lt_u32_e64 s28, v81, v139
	s_and_saveexec_b32 s30, s28
	s_cbranch_execz .LBB1937_775
.LBB1937_843:                           ;   in Loop: Header=BB1937_682 Depth=2
	ds_load_u16 v60, v93 offset:8192
	s_wait_dscnt 0x0
	v_cmp_ne_u16_e64 s29, 0x8000, v60
	s_delay_alu instid0(VALU_DEP_1) | instskip(SKIP_1) | instid1(VALU_DEP_2)
	v_cndmask_b32_e64 v61, 0x7fff, v60, s29
	v_cmp_gt_i16_e64 s29, 0, v60
	v_and_b32_e32 v61, 0xffff, v61
	s_delay_alu instid0(VALU_DEP_2) | instskip(NEXT) | instid1(VALU_DEP_1)
	v_cndmask_b32_e64 v140, 0x7fff, 0, s29
	v_dual_lshrrev_b32 v61, s49, v61 :: v_dual_bitop2_b32 v60, v140, v60 bitop3:0x14
	s_delay_alu instid0(VALU_DEP_1) | instskip(NEXT) | instid1(VALU_DEP_1)
	v_and_b32_e32 v61, s52, v61
	v_lshlrev_b32_e32 v61, 2, v61
	ds_load_b32 v61, v61
	s_wait_dscnt 0x0
	v_add_nc_u32_e32 v61, v61, v81
	global_store_b16 v61, v60, s[38:39] scale_offset
	s_wait_xcnt 0x0
	s_or_b32 exec_lo, exec_lo, s30
	v_cmp_lt_u32_e64 s29, v82, v139
	s_and_saveexec_b32 s58, s29
	s_cbranch_execnz .LBB1937_776
	s_branch .LBB1937_777
.LBB1937_844:                           ;   in Loop: Header=BB1937_682 Depth=2
	global_load_b64 v[58:59], v[60:61], off
	s_wait_xcnt 0x0
	s_or_b32 exec_lo, exec_lo, s30
	s_delay_alu instid0(SALU_CYCLE_1)
	s_mov_b32 s42, exec_lo
	v_cmpx_lt_u32_e64 v103, v139
	s_cbranch_execz .LBB1937_779
.LBB1937_845:                           ;   in Loop: Header=BB1937_682 Depth=2
	global_load_b64 v[56:57], v[60:61], off offset:256
	s_wait_xcnt 0x0
	s_or_b32 exec_lo, exec_lo, s42
	s_delay_alu instid0(SALU_CYCLE_1)
	s_mov_b32 s42, exec_lo
	v_cmpx_lt_u32_e64 v104, v139
	s_cbranch_execz .LBB1937_780
.LBB1937_846:                           ;   in Loop: Header=BB1937_682 Depth=2
	global_load_b64 v[54:55], v[60:61], off offset:512
	s_wait_xcnt 0x0
	s_or_b32 exec_lo, exec_lo, s42
	s_delay_alu instid0(SALU_CYCLE_1)
	s_mov_b32 s42, exec_lo
	v_cmpx_lt_u32_e64 v105, v139
	s_cbranch_execz .LBB1937_781
.LBB1937_847:                           ;   in Loop: Header=BB1937_682 Depth=2
	global_load_b64 v[52:53], v[60:61], off offset:768
	s_wait_xcnt 0x0
	s_or_b32 exec_lo, exec_lo, s42
	s_delay_alu instid0(SALU_CYCLE_1)
	s_mov_b32 s42, exec_lo
	v_cmpx_lt_u32_e64 v106, v139
	s_cbranch_execz .LBB1937_782
.LBB1937_848:                           ;   in Loop: Header=BB1937_682 Depth=2
	global_load_b64 v[50:51], v[60:61], off offset:1024
	s_wait_xcnt 0x0
	s_or_b32 exec_lo, exec_lo, s42
	s_delay_alu instid0(SALU_CYCLE_1)
	s_mov_b32 s42, exec_lo
	v_cmpx_lt_u32_e64 v107, v139
	s_cbranch_execz .LBB1937_783
.LBB1937_849:                           ;   in Loop: Header=BB1937_682 Depth=2
	global_load_b64 v[48:49], v[60:61], off offset:1280
	s_wait_xcnt 0x0
	s_or_b32 exec_lo, exec_lo, s42
	s_delay_alu instid0(SALU_CYCLE_1)
	s_mov_b32 s42, exec_lo
	v_cmpx_lt_u32_e64 v108, v139
	s_cbranch_execz .LBB1937_784
.LBB1937_850:                           ;   in Loop: Header=BB1937_682 Depth=2
	global_load_b64 v[46:47], v[60:61], off offset:1536
	s_wait_xcnt 0x0
	s_or_b32 exec_lo, exec_lo, s42
	s_delay_alu instid0(SALU_CYCLE_1)
	s_mov_b32 s42, exec_lo
	v_cmpx_lt_u32_e64 v109, v139
	s_cbranch_execz .LBB1937_785
.LBB1937_851:                           ;   in Loop: Header=BB1937_682 Depth=2
	global_load_b64 v[44:45], v[60:61], off offset:1792
	s_wait_xcnt 0x0
	s_or_b32 exec_lo, exec_lo, s42
	s_delay_alu instid0(SALU_CYCLE_1)
	s_mov_b32 s42, exec_lo
	v_cmpx_lt_u32_e64 v110, v139
	s_cbranch_execz .LBB1937_786
.LBB1937_852:                           ;   in Loop: Header=BB1937_682 Depth=2
	global_load_b64 v[42:43], v[60:61], off offset:2048
	s_wait_xcnt 0x0
	s_or_b32 exec_lo, exec_lo, s42
	s_delay_alu instid0(SALU_CYCLE_1)
	s_mov_b32 s42, exec_lo
	v_cmpx_lt_u32_e64 v111, v139
	s_cbranch_execz .LBB1937_787
.LBB1937_853:                           ;   in Loop: Header=BB1937_682 Depth=2
	global_load_b64 v[40:41], v[60:61], off offset:2304
	s_wait_xcnt 0x0
	s_or_b32 exec_lo, exec_lo, s42
	s_delay_alu instid0(SALU_CYCLE_1)
	s_mov_b32 s42, exec_lo
	v_cmpx_lt_u32_e64 v112, v139
	s_cbranch_execz .LBB1937_788
.LBB1937_854:                           ;   in Loop: Header=BB1937_682 Depth=2
	global_load_b64 v[38:39], v[60:61], off offset:2560
	s_wait_xcnt 0x0
	s_or_b32 exec_lo, exec_lo, s42
	s_delay_alu instid0(SALU_CYCLE_1)
	s_mov_b32 s42, exec_lo
	v_cmpx_lt_u32_e64 v113, v139
	s_cbranch_execz .LBB1937_789
.LBB1937_855:                           ;   in Loop: Header=BB1937_682 Depth=2
	global_load_b64 v[36:37], v[60:61], off offset:2816
	s_wait_xcnt 0x0
	s_or_b32 exec_lo, exec_lo, s42
	s_delay_alu instid0(SALU_CYCLE_1)
	s_mov_b32 s42, exec_lo
	v_cmpx_lt_u32_e64 v114, v139
	s_cbranch_execz .LBB1937_790
.LBB1937_856:                           ;   in Loop: Header=BB1937_682 Depth=2
	global_load_b64 v[34:35], v[60:61], off offset:3072
	s_wait_xcnt 0x0
	s_or_b32 exec_lo, exec_lo, s42
	s_delay_alu instid0(SALU_CYCLE_1)
	s_mov_b32 s42, exec_lo
	v_cmpx_lt_u32_e64 v115, v139
	s_cbranch_execz .LBB1937_791
.LBB1937_857:                           ;   in Loop: Header=BB1937_682 Depth=2
	global_load_b64 v[32:33], v[60:61], off offset:3328
	s_wait_xcnt 0x0
	s_or_b32 exec_lo, exec_lo, s42
	s_delay_alu instid0(SALU_CYCLE_1)
	s_mov_b32 s42, exec_lo
	v_cmpx_lt_u32_e64 v116, v139
	s_cbranch_execz .LBB1937_792
.LBB1937_858:                           ;   in Loop: Header=BB1937_682 Depth=2
	global_load_b64 v[30:31], v[60:61], off offset:3584
	s_wait_xcnt 0x0
	s_or_b32 exec_lo, exec_lo, s42
	s_delay_alu instid0(SALU_CYCLE_1)
	s_mov_b32 s42, exec_lo
	v_cmpx_lt_u32_e64 v117, v139
	s_cbranch_execz .LBB1937_793
.LBB1937_859:                           ;   in Loop: Header=BB1937_682 Depth=2
	global_load_b64 v[28:29], v[60:61], off offset:3840
	s_wait_xcnt 0x0
	s_or_b32 exec_lo, exec_lo, s42
	s_and_saveexec_b32 s42, vcc_lo
	s_cbranch_execz .LBB1937_794
.LBB1937_860:                           ;   in Loop: Header=BB1937_682 Depth=2
	ds_load_u16 v60, v93 offset:1024
	s_wait_dscnt 0x0
	v_cmp_ne_u16_e64 s30, 0x8000, v60
	s_delay_alu instid0(VALU_DEP_1) | instskip(NEXT) | instid1(VALU_DEP_1)
	v_cndmask_b32_e64 v60, 0x7fff, v60, s30
	v_and_b32_e32 v60, 0xffff, v60
	s_delay_alu instid0(VALU_DEP_1) | instskip(NEXT) | instid1(VALU_DEP_1)
	v_lshrrev_b32_e32 v60, s49, v60
	v_and_b32_e32 v138, s52, v60
	s_or_b32 exec_lo, exec_lo, s42
	s_and_saveexec_b32 s42, s15
	s_cbranch_execz .LBB1937_795
.LBB1937_861:                           ;   in Loop: Header=BB1937_682 Depth=2
	ds_load_u16 v60, v93 offset:1536
	s_wait_dscnt 0x0
	v_cmp_ne_u16_e64 s30, 0x8000, v60
	s_delay_alu instid0(VALU_DEP_1) | instskip(NEXT) | instid1(VALU_DEP_1)
	v_cndmask_b32_e64 v60, 0x7fff, v60, s30
	v_and_b32_e32 v60, 0xffff, v60
	s_delay_alu instid0(VALU_DEP_1) | instskip(NEXT) | instid1(VALU_DEP_1)
	v_lshrrev_b32_e32 v60, s49, v60
	v_and_b32_e32 v137, s52, v60
	s_or_b32 exec_lo, exec_lo, s42
	s_and_saveexec_b32 s42, s16
	s_cbranch_execz .LBB1937_796
.LBB1937_862:                           ;   in Loop: Header=BB1937_682 Depth=2
	ds_load_u16 v60, v93 offset:2048
	s_wait_dscnt 0x0
	v_cmp_ne_u16_e64 s30, 0x8000, v60
	s_delay_alu instid0(VALU_DEP_1) | instskip(NEXT) | instid1(VALU_DEP_1)
	v_cndmask_b32_e64 v60, 0x7fff, v60, s30
	v_and_b32_e32 v60, 0xffff, v60
	s_delay_alu instid0(VALU_DEP_1) | instskip(NEXT) | instid1(VALU_DEP_1)
	v_lshrrev_b32_e32 v60, s49, v60
	v_and_b32_e32 v136, s52, v60
	s_or_b32 exec_lo, exec_lo, s42
	s_and_saveexec_b32 s42, s17
	s_cbranch_execz .LBB1937_797
.LBB1937_863:                           ;   in Loop: Header=BB1937_682 Depth=2
	ds_load_u16 v60, v93 offset:2560
	s_wait_dscnt 0x0
	v_cmp_ne_u16_e64 s30, 0x8000, v60
	s_delay_alu instid0(VALU_DEP_1) | instskip(NEXT) | instid1(VALU_DEP_1)
	v_cndmask_b32_e64 v60, 0x7fff, v60, s30
	v_and_b32_e32 v60, 0xffff, v60
	s_delay_alu instid0(VALU_DEP_1) | instskip(NEXT) | instid1(VALU_DEP_1)
	v_lshrrev_b32_e32 v60, s49, v60
	v_and_b32_e32 v135, s52, v60
	s_or_b32 exec_lo, exec_lo, s42
	s_and_saveexec_b32 s42, s18
	s_cbranch_execz .LBB1937_798
.LBB1937_864:                           ;   in Loop: Header=BB1937_682 Depth=2
	ds_load_u16 v60, v93 offset:3072
	s_wait_dscnt 0x0
	v_cmp_ne_u16_e64 s30, 0x8000, v60
	s_delay_alu instid0(VALU_DEP_1) | instskip(NEXT) | instid1(VALU_DEP_1)
	v_cndmask_b32_e64 v60, 0x7fff, v60, s30
	v_and_b32_e32 v60, 0xffff, v60
	s_delay_alu instid0(VALU_DEP_1) | instskip(NEXT) | instid1(VALU_DEP_1)
	v_lshrrev_b32_e32 v60, s49, v60
	v_and_b32_e32 v134, s52, v60
	s_or_b32 exec_lo, exec_lo, s42
	s_and_saveexec_b32 s42, s19
	s_cbranch_execz .LBB1937_799
.LBB1937_865:                           ;   in Loop: Header=BB1937_682 Depth=2
	ds_load_u16 v60, v93 offset:3584
	s_wait_dscnt 0x0
	v_cmp_ne_u16_e64 s30, 0x8000, v60
	s_delay_alu instid0(VALU_DEP_1) | instskip(NEXT) | instid1(VALU_DEP_1)
	v_cndmask_b32_e64 v60, 0x7fff, v60, s30
	v_and_b32_e32 v60, 0xffff, v60
	s_delay_alu instid0(VALU_DEP_1) | instskip(NEXT) | instid1(VALU_DEP_1)
	v_lshrrev_b32_e32 v60, s49, v60
	v_and_b32_e32 v133, s52, v60
	s_or_b32 exec_lo, exec_lo, s42
	s_and_saveexec_b32 s42, s20
	s_cbranch_execz .LBB1937_800
.LBB1937_866:                           ;   in Loop: Header=BB1937_682 Depth=2
	ds_load_u16 v60, v93 offset:4096
	s_wait_dscnt 0x0
	v_cmp_ne_u16_e64 s30, 0x8000, v60
	s_delay_alu instid0(VALU_DEP_1) | instskip(NEXT) | instid1(VALU_DEP_1)
	v_cndmask_b32_e64 v60, 0x7fff, v60, s30
	v_and_b32_e32 v60, 0xffff, v60
	s_delay_alu instid0(VALU_DEP_1) | instskip(NEXT) | instid1(VALU_DEP_1)
	v_lshrrev_b32_e32 v60, s49, v60
	v_and_b32_e32 v132, s52, v60
	s_or_b32 exec_lo, exec_lo, s42
	s_and_saveexec_b32 s42, s21
	s_cbranch_execz .LBB1937_801
.LBB1937_867:                           ;   in Loop: Header=BB1937_682 Depth=2
	ds_load_u16 v60, v93 offset:4608
	s_wait_dscnt 0x0
	v_cmp_ne_u16_e64 s30, 0x8000, v60
	s_delay_alu instid0(VALU_DEP_1) | instskip(NEXT) | instid1(VALU_DEP_1)
	v_cndmask_b32_e64 v60, 0x7fff, v60, s30
	v_and_b32_e32 v60, 0xffff, v60
	s_delay_alu instid0(VALU_DEP_1) | instskip(NEXT) | instid1(VALU_DEP_1)
	v_lshrrev_b32_e32 v60, s49, v60
	v_and_b32_e32 v131, s52, v60
	s_or_b32 exec_lo, exec_lo, s42
	s_and_saveexec_b32 s42, s22
	s_cbranch_execz .LBB1937_802
.LBB1937_868:                           ;   in Loop: Header=BB1937_682 Depth=2
	ds_load_u16 v60, v93 offset:5120
	s_wait_dscnt 0x0
	v_cmp_ne_u16_e64 s30, 0x8000, v60
	s_delay_alu instid0(VALU_DEP_1) | instskip(NEXT) | instid1(VALU_DEP_1)
	v_cndmask_b32_e64 v60, 0x7fff, v60, s30
	v_and_b32_e32 v60, 0xffff, v60
	s_delay_alu instid0(VALU_DEP_1) | instskip(NEXT) | instid1(VALU_DEP_1)
	v_lshrrev_b32_e32 v60, s49, v60
	v_and_b32_e32 v130, s52, v60
	s_or_b32 exec_lo, exec_lo, s42
	s_and_saveexec_b32 s42, s23
	s_cbranch_execz .LBB1937_803
.LBB1937_869:                           ;   in Loop: Header=BB1937_682 Depth=2
	ds_load_u16 v60, v93 offset:5632
	s_wait_dscnt 0x0
	v_cmp_ne_u16_e64 s30, 0x8000, v60
	s_delay_alu instid0(VALU_DEP_1) | instskip(NEXT) | instid1(VALU_DEP_1)
	v_cndmask_b32_e64 v60, 0x7fff, v60, s30
	v_and_b32_e32 v60, 0xffff, v60
	s_delay_alu instid0(VALU_DEP_1) | instskip(NEXT) | instid1(VALU_DEP_1)
	v_lshrrev_b32_e32 v60, s49, v60
	v_and_b32_e32 v129, s52, v60
	s_or_b32 exec_lo, exec_lo, s42
	s_and_saveexec_b32 s42, s24
	s_cbranch_execz .LBB1937_804
.LBB1937_870:                           ;   in Loop: Header=BB1937_682 Depth=2
	ds_load_u16 v60, v93 offset:6144
	s_wait_dscnt 0x0
	v_cmp_ne_u16_e64 s30, 0x8000, v60
	s_delay_alu instid0(VALU_DEP_1) | instskip(NEXT) | instid1(VALU_DEP_1)
	v_cndmask_b32_e64 v60, 0x7fff, v60, s30
	v_and_b32_e32 v60, 0xffff, v60
	s_delay_alu instid0(VALU_DEP_1) | instskip(NEXT) | instid1(VALU_DEP_1)
	v_lshrrev_b32_e32 v60, s49, v60
	v_and_b32_e32 v128, s52, v60
	s_or_b32 exec_lo, exec_lo, s42
	s_and_saveexec_b32 s42, s25
	s_cbranch_execz .LBB1937_805
.LBB1937_871:                           ;   in Loop: Header=BB1937_682 Depth=2
	ds_load_u16 v60, v93 offset:6656
	s_wait_dscnt 0x0
	v_cmp_ne_u16_e64 s30, 0x8000, v60
	s_delay_alu instid0(VALU_DEP_1) | instskip(NEXT) | instid1(VALU_DEP_1)
	v_cndmask_b32_e64 v60, 0x7fff, v60, s30
	v_and_b32_e32 v60, 0xffff, v60
	s_delay_alu instid0(VALU_DEP_1) | instskip(NEXT) | instid1(VALU_DEP_1)
	v_lshrrev_b32_e32 v60, s49, v60
	v_and_b32_e32 v127, s52, v60
	s_or_b32 exec_lo, exec_lo, s42
	s_and_saveexec_b32 s42, s26
	s_cbranch_execz .LBB1937_806
.LBB1937_872:                           ;   in Loop: Header=BB1937_682 Depth=2
	ds_load_u16 v60, v93 offset:7168
	s_wait_dscnt 0x0
	v_cmp_ne_u16_e64 s30, 0x8000, v60
	s_delay_alu instid0(VALU_DEP_1) | instskip(NEXT) | instid1(VALU_DEP_1)
	v_cndmask_b32_e64 v60, 0x7fff, v60, s30
	v_and_b32_e32 v60, 0xffff, v60
	s_delay_alu instid0(VALU_DEP_1) | instskip(NEXT) | instid1(VALU_DEP_1)
	v_lshrrev_b32_e32 v60, s49, v60
	v_and_b32_e32 v126, s52, v60
	s_or_b32 exec_lo, exec_lo, s42
	s_and_saveexec_b32 s42, s27
	s_cbranch_execz .LBB1937_807
.LBB1937_873:                           ;   in Loop: Header=BB1937_682 Depth=2
	ds_load_u16 v60, v93 offset:7680
	s_wait_dscnt 0x0
	v_cmp_ne_u16_e64 s30, 0x8000, v60
	s_delay_alu instid0(VALU_DEP_1) | instskip(NEXT) | instid1(VALU_DEP_1)
	v_cndmask_b32_e64 v60, 0x7fff, v60, s30
	v_and_b32_e32 v60, 0xffff, v60
	s_delay_alu instid0(VALU_DEP_1) | instskip(NEXT) | instid1(VALU_DEP_1)
	v_lshrrev_b32_e32 v60, s49, v60
	v_and_b32_e32 v125, s52, v60
	s_or_b32 exec_lo, exec_lo, s42
	s_and_saveexec_b32 s42, s28
	s_cbranch_execz .LBB1937_808
.LBB1937_874:                           ;   in Loop: Header=BB1937_682 Depth=2
	ds_load_u16 v60, v93 offset:8192
	s_wait_dscnt 0x0
	v_cmp_ne_u16_e64 s30, 0x8000, v60
	s_delay_alu instid0(VALU_DEP_1) | instskip(NEXT) | instid1(VALU_DEP_1)
	v_cndmask_b32_e64 v60, 0x7fff, v60, s30
	v_and_b32_e32 v60, 0xffff, v60
	s_delay_alu instid0(VALU_DEP_1) | instskip(NEXT) | instid1(VALU_DEP_1)
	v_lshrrev_b32_e32 v60, s49, v60
	v_and_b32_e32 v124, s52, v60
	s_or_b32 exec_lo, exec_lo, s42
	s_and_saveexec_b32 s42, s29
	s_cbranch_execnz .LBB1937_809
	s_branch .LBB1937_810
.LBB1937_875:                           ;   in Loop: Header=BB1937_682 Depth=2
	v_lshlrev_b32_e32 v60, 2, v138
	v_add_nc_u32_e32 v61, v93, v94
	ds_load_b32 v63, v60
	ds_load_b64 v[60:61], v61 offset:1024
	s_wait_dscnt 0x1
	v_add_nc_u32_e32 v63, v63, v2
	s_wait_dscnt 0x0
	global_store_b64 v63, v[60:61], s[44:45] scale_offset
	s_wait_xcnt 0x0
	s_or_b32 exec_lo, exec_lo, s30
	s_and_saveexec_b32 s30, s15
	s_cbranch_execz .LBB1937_812
.LBB1937_876:                           ;   in Loop: Header=BB1937_682 Depth=2
	v_dual_lshlrev_b32 v60, 2, v137 :: v_dual_add_nc_u32 v61, v93, v94
	ds_load_b32 v63, v60
	ds_load_b64 v[60:61], v61 offset:3072
	s_wait_dscnt 0x1
	v_add_nc_u32_e32 v63, v63, v68
	s_wait_dscnt 0x0
	global_store_b64 v63, v[60:61], s[44:45] scale_offset
	s_wait_xcnt 0x0
	s_or_b32 exec_lo, exec_lo, s30
	s_and_saveexec_b32 s15, s16
	s_cbranch_execz .LBB1937_813
.LBB1937_877:                           ;   in Loop: Header=BB1937_682 Depth=2
	v_dual_lshlrev_b32 v60, 2, v136 :: v_dual_add_nc_u32 v61, v93, v94
	ds_load_b32 v63, v60
	ds_load_b64 v[60:61], v61 offset:5120
	s_wait_dscnt 0x1
	v_add_nc_u32_e32 v63, v63, v69
	s_wait_dscnt 0x0
	global_store_b64 v63, v[60:61], s[44:45] scale_offset
	s_wait_xcnt 0x0
	s_or_b32 exec_lo, exec_lo, s15
	s_and_saveexec_b32 s15, s17
	s_cbranch_execz .LBB1937_814
.LBB1937_878:                           ;   in Loop: Header=BB1937_682 Depth=2
	v_dual_lshlrev_b32 v60, 2, v135 :: v_dual_add_nc_u32 v61, v93, v94
	ds_load_b32 v63, v60
	ds_load_b64 v[60:61], v61 offset:7168
	s_wait_dscnt 0x1
	v_add_nc_u32_e32 v63, v63, v70
	s_wait_dscnt 0x0
	global_store_b64 v63, v[60:61], s[44:45] scale_offset
	s_wait_xcnt 0x0
	s_or_b32 exec_lo, exec_lo, s15
	s_and_saveexec_b32 s15, s18
	s_cbranch_execz .LBB1937_815
.LBB1937_879:                           ;   in Loop: Header=BB1937_682 Depth=2
	v_lshlrev_b32_e32 v60, 2, v134
	v_add_nc_u32_e32 v61, v93, v94
	ds_load_b32 v63, v60
	ds_load_b64 v[60:61], v61 offset:9216
	s_wait_dscnt 0x1
	v_add_nc_u32_e32 v63, v63, v71
	s_wait_dscnt 0x0
	global_store_b64 v63, v[60:61], s[44:45] scale_offset
	s_wait_xcnt 0x0
	s_or_b32 exec_lo, exec_lo, s15
	s_and_saveexec_b32 s15, s19
	s_cbranch_execz .LBB1937_816
.LBB1937_880:                           ;   in Loop: Header=BB1937_682 Depth=2
	v_dual_lshlrev_b32 v60, 2, v133 :: v_dual_add_nc_u32 v61, v93, v94
	ds_load_b32 v63, v60
	ds_load_b64 v[60:61], v61 offset:11264
	s_wait_dscnt 0x1
	v_add_nc_u32_e32 v63, v63, v72
	s_wait_dscnt 0x0
	global_store_b64 v63, v[60:61], s[44:45] scale_offset
	s_wait_xcnt 0x0
	s_or_b32 exec_lo, exec_lo, s15
	s_and_saveexec_b32 s15, s20
	s_cbranch_execz .LBB1937_817
.LBB1937_881:                           ;   in Loop: Header=BB1937_682 Depth=2
	v_dual_lshlrev_b32 v60, 2, v132 :: v_dual_add_nc_u32 v61, v93, v94
	ds_load_b32 v63, v60
	ds_load_b64 v[60:61], v61 offset:13312
	s_wait_dscnt 0x1
	v_add_nc_u32_e32 v63, v63, v73
	s_wait_dscnt 0x0
	global_store_b64 v63, v[60:61], s[44:45] scale_offset
	s_wait_xcnt 0x0
	s_or_b32 exec_lo, exec_lo, s15
	s_and_saveexec_b32 s15, s21
	s_cbranch_execz .LBB1937_818
.LBB1937_882:                           ;   in Loop: Header=BB1937_682 Depth=2
	v_dual_lshlrev_b32 v60, 2, v131 :: v_dual_add_nc_u32 v61, v93, v94
	ds_load_b32 v63, v60
	ds_load_b64 v[60:61], v61 offset:15360
	s_wait_dscnt 0x1
	v_add_nc_u32_e32 v63, v63, v74
	s_wait_dscnt 0x0
	global_store_b64 v63, v[60:61], s[44:45] scale_offset
	s_wait_xcnt 0x0
	s_or_b32 exec_lo, exec_lo, s15
	s_and_saveexec_b32 s15, s22
	s_cbranch_execz .LBB1937_819
.LBB1937_883:                           ;   in Loop: Header=BB1937_682 Depth=2
	v_lshlrev_b32_e32 v60, 2, v130
	v_add_nc_u32_e32 v61, v93, v94
	ds_load_b32 v63, v60
	ds_load_b64 v[60:61], v61 offset:17408
	s_wait_dscnt 0x1
	v_add_nc_u32_e32 v63, v63, v75
	s_wait_dscnt 0x0
	global_store_b64 v63, v[60:61], s[44:45] scale_offset
	s_wait_xcnt 0x0
	s_or_b32 exec_lo, exec_lo, s15
	s_and_saveexec_b32 s15, s23
	s_cbranch_execz .LBB1937_820
.LBB1937_884:                           ;   in Loop: Header=BB1937_682 Depth=2
	v_dual_lshlrev_b32 v60, 2, v129 :: v_dual_add_nc_u32 v61, v93, v94
	ds_load_b32 v63, v60
	ds_load_b64 v[60:61], v61 offset:19456
	s_wait_dscnt 0x1
	v_add_nc_u32_e32 v63, v63, v76
	s_wait_dscnt 0x0
	global_store_b64 v63, v[60:61], s[44:45] scale_offset
	s_wait_xcnt 0x0
	s_or_b32 exec_lo, exec_lo, s15
	s_and_saveexec_b32 s15, s24
	s_cbranch_execz .LBB1937_821
.LBB1937_885:                           ;   in Loop: Header=BB1937_682 Depth=2
	v_dual_lshlrev_b32 v60, 2, v128 :: v_dual_add_nc_u32 v61, v93, v94
	ds_load_b32 v63, v60
	ds_load_b64 v[60:61], v61 offset:21504
	s_wait_dscnt 0x1
	v_add_nc_u32_e32 v63, v63, v77
	s_wait_dscnt 0x0
	global_store_b64 v63, v[60:61], s[44:45] scale_offset
	s_wait_xcnt 0x0
	s_or_b32 exec_lo, exec_lo, s15
	s_and_saveexec_b32 s15, s25
	s_cbranch_execz .LBB1937_822
.LBB1937_886:                           ;   in Loop: Header=BB1937_682 Depth=2
	v_dual_lshlrev_b32 v60, 2, v127 :: v_dual_add_nc_u32 v61, v93, v94
	ds_load_b32 v63, v60
	ds_load_b64 v[60:61], v61 offset:23552
	s_wait_dscnt 0x1
	v_add_nc_u32_e32 v63, v63, v78
	s_wait_dscnt 0x0
	global_store_b64 v63, v[60:61], s[44:45] scale_offset
	s_wait_xcnt 0x0
	s_or_b32 exec_lo, exec_lo, s15
	s_and_saveexec_b32 s15, s26
	s_cbranch_execz .LBB1937_823
.LBB1937_887:                           ;   in Loop: Header=BB1937_682 Depth=2
	v_lshlrev_b32_e32 v60, 2, v126
	v_add_nc_u32_e32 v61, v93, v94
	ds_load_b32 v63, v60
	ds_load_b64 v[60:61], v61 offset:25600
	s_wait_dscnt 0x1
	v_add_nc_u32_e32 v63, v63, v79
	s_wait_dscnt 0x0
	global_store_b64 v63, v[60:61], s[44:45] scale_offset
	s_wait_xcnt 0x0
	s_or_b32 exec_lo, exec_lo, s15
	s_and_saveexec_b32 s15, s27
	s_cbranch_execz .LBB1937_824
.LBB1937_888:                           ;   in Loop: Header=BB1937_682 Depth=2
	v_dual_lshlrev_b32 v60, 2, v125 :: v_dual_add_nc_u32 v61, v93, v94
	ds_load_b32 v63, v60
	ds_load_b64 v[60:61], v61 offset:27648
	s_wait_dscnt 0x1
	v_add_nc_u32_e32 v63, v63, v80
	s_wait_dscnt 0x0
	global_store_b64 v63, v[60:61], s[44:45] scale_offset
	s_wait_xcnt 0x0
	s_or_b32 exec_lo, exec_lo, s15
	s_and_saveexec_b32 s15, s28
	s_cbranch_execz .LBB1937_825
.LBB1937_889:                           ;   in Loop: Header=BB1937_682 Depth=2
	v_dual_lshlrev_b32 v60, 2, v124 :: v_dual_add_nc_u32 v61, v93, v94
	ds_load_b32 v63, v60
	ds_load_b64 v[60:61], v61 offset:29696
	s_wait_dscnt 0x1
	v_add_nc_u32_e32 v63, v63, v81
	s_wait_dscnt 0x0
	global_store_b64 v63, v[60:61], s[44:45] scale_offset
	s_wait_xcnt 0x0
	s_or_b32 exec_lo, exec_lo, s15
	s_and_saveexec_b32 s15, s29
	s_cbranch_execnz .LBB1937_826
	s_branch .LBB1937_827
.LBB1937_890:                           ;   in Loop: Header=BB1937_12 Depth=1
	s_wait_dscnt 0x0
	s_barrier_signal -1
	s_mov_b32 s7, 0
	s_barrier_wait -1
.LBB1937_891:                           ;   in Loop: Header=BB1937_12 Depth=1
	s_and_b32 vcc_lo, exec_lo, s7
	s_cbranch_vccz .LBB1937_11
; %bb.892:                              ;   in Loop: Header=BB1937_12 Depth=1
	s_mov_b32 s7, s56
	s_mov_b32 s42, s54
	s_barrier_signal -1
	s_barrier_wait -1
                                        ; implicit-def: $vgpr23
                                        ; implicit-def: $vgpr24
                                        ; implicit-def: $vgpr25
                                        ; implicit-def: $vgpr26
                                        ; implicit-def: $vgpr27
                                        ; implicit-def: $vgpr28
                                        ; implicit-def: $vgpr29
                                        ; implicit-def: $vgpr30
                                        ; implicit-def: $vgpr31
                                        ; implicit-def: $vgpr32
                                        ; implicit-def: $vgpr33
                                        ; implicit-def: $vgpr34
                                        ; implicit-def: $vgpr35
                                        ; implicit-def: $vgpr36
                                        ; implicit-def: $vgpr37
                                        ; implicit-def: $vgpr38
	s_branch .LBB1937_894
.LBB1937_893:                           ;   in Loop: Header=BB1937_894 Depth=2
	s_or_b32 exec_lo, exec_lo, s8
	s_addk_co_i32 s7, 0xf000
	s_cmp_ge_u32 s10, s51
	s_mov_b32 s42, s10
	s_cbranch_scc1 .LBB1937_962
.LBB1937_894:                           ;   Parent Loop BB1937_12 Depth=1
                                        ; =>  This Inner Loop Header: Depth=2
	s_add_co_i32 s10, s42, 0x1000
	s_mov_b32 s8, -1
	s_cmp_gt_u32 s10, s51
                                        ; implicit-def: $vgpr39
                                        ; implicit-def: $vgpr40
                                        ; implicit-def: $vgpr41
                                        ; implicit-def: $vgpr42
                                        ; implicit-def: $vgpr43
                                        ; implicit-def: $vgpr44
                                        ; implicit-def: $vgpr45
                                        ; implicit-def: $vgpr46
                                        ; implicit-def: $vgpr47
                                        ; implicit-def: $vgpr48
                                        ; implicit-def: $vgpr49
                                        ; implicit-def: $vgpr50
                                        ; implicit-def: $vgpr51
                                        ; implicit-def: $vgpr52
                                        ; implicit-def: $vgpr53
                                        ; implicit-def: $vgpr54
	s_cbranch_scc1 .LBB1937_896
; %bb.895:                              ;   in Loop: Header=BB1937_894 Depth=2
	v_lshl_add_u64 v[54:55], s[42:43], 1, v[16:17]
	s_mov_b32 s8, 0
	s_clause 0xf
	global_load_u16 v39, v[54:55], off
	global_load_u16 v40, v[54:55], off offset:512
	global_load_u16 v41, v[54:55], off offset:1024
	;; [unrolled: 1-line block ×15, first 2 shown]
.LBB1937_896:                           ;   in Loop: Header=BB1937_894 Depth=2
	s_and_not1_b32 vcc_lo, exec_lo, s8
	s_movk_i32 s8, 0x1000
	s_cbranch_vccnz .LBB1937_915
; %bb.897:                              ;   in Loop: Header=BB1937_894 Depth=2
	s_lshl_b64 s[8:9], s[42:43], 1
	s_mov_b32 s11, exec_lo
	s_add_nc_u64 s[8:9], s[36:37], s[8:9]
	s_wait_xcnt 0x0
	v_cmpx_gt_u32_e64 s7, v2
	s_cbranch_execnz .LBB1937_947
; %bb.898:                              ;   in Loop: Header=BB1937_894 Depth=2
	s_or_b32 exec_lo, exec_lo, s11
	s_delay_alu instid0(SALU_CYCLE_1)
	s_mov_b32 s11, exec_lo
	v_cmpx_gt_u32_e64 s7, v68
	s_cbranch_execnz .LBB1937_948
.LBB1937_899:                           ;   in Loop: Header=BB1937_894 Depth=2
	s_or_b32 exec_lo, exec_lo, s11
	s_delay_alu instid0(SALU_CYCLE_1)
	s_mov_b32 s11, exec_lo
	v_cmpx_gt_u32_e64 s7, v69
	s_cbranch_execnz .LBB1937_949
.LBB1937_900:                           ;   in Loop: Header=BB1937_894 Depth=2
	s_or_b32 exec_lo, exec_lo, s11
	s_delay_alu instid0(SALU_CYCLE_1)
	s_mov_b32 s11, exec_lo
	v_cmpx_gt_u32_e64 s7, v70
	s_cbranch_execnz .LBB1937_950
.LBB1937_901:                           ;   in Loop: Header=BB1937_894 Depth=2
	s_or_b32 exec_lo, exec_lo, s11
	s_delay_alu instid0(SALU_CYCLE_1)
	s_mov_b32 s11, exec_lo
	v_cmpx_gt_u32_e64 s7, v71
	s_cbranch_execnz .LBB1937_951
.LBB1937_902:                           ;   in Loop: Header=BB1937_894 Depth=2
	s_or_b32 exec_lo, exec_lo, s11
	s_delay_alu instid0(SALU_CYCLE_1)
	s_mov_b32 s11, exec_lo
	v_cmpx_gt_u32_e64 s7, v72
	s_cbranch_execnz .LBB1937_952
.LBB1937_903:                           ;   in Loop: Header=BB1937_894 Depth=2
	s_or_b32 exec_lo, exec_lo, s11
	s_delay_alu instid0(SALU_CYCLE_1)
	s_mov_b32 s11, exec_lo
	v_cmpx_gt_u32_e64 s7, v73
	s_cbranch_execnz .LBB1937_953
.LBB1937_904:                           ;   in Loop: Header=BB1937_894 Depth=2
	s_or_b32 exec_lo, exec_lo, s11
	s_delay_alu instid0(SALU_CYCLE_1)
	s_mov_b32 s11, exec_lo
	v_cmpx_gt_u32_e64 s7, v74
	s_cbranch_execnz .LBB1937_954
.LBB1937_905:                           ;   in Loop: Header=BB1937_894 Depth=2
	s_or_b32 exec_lo, exec_lo, s11
	s_delay_alu instid0(SALU_CYCLE_1)
	s_mov_b32 s11, exec_lo
	v_cmpx_gt_u32_e64 s7, v75
	s_cbranch_execnz .LBB1937_955
.LBB1937_906:                           ;   in Loop: Header=BB1937_894 Depth=2
	s_or_b32 exec_lo, exec_lo, s11
	s_delay_alu instid0(SALU_CYCLE_1)
	s_mov_b32 s11, exec_lo
	v_cmpx_gt_u32_e64 s7, v76
	s_cbranch_execnz .LBB1937_956
.LBB1937_907:                           ;   in Loop: Header=BB1937_894 Depth=2
	s_or_b32 exec_lo, exec_lo, s11
	s_delay_alu instid0(SALU_CYCLE_1)
	s_mov_b32 s11, exec_lo
	v_cmpx_gt_u32_e64 s7, v77
	s_cbranch_execnz .LBB1937_957
.LBB1937_908:                           ;   in Loop: Header=BB1937_894 Depth=2
	s_or_b32 exec_lo, exec_lo, s11
	s_delay_alu instid0(SALU_CYCLE_1)
	s_mov_b32 s11, exec_lo
	v_cmpx_gt_u32_e64 s7, v78
	s_cbranch_execnz .LBB1937_958
.LBB1937_909:                           ;   in Loop: Header=BB1937_894 Depth=2
	s_or_b32 exec_lo, exec_lo, s11
	s_delay_alu instid0(SALU_CYCLE_1)
	s_mov_b32 s11, exec_lo
	v_cmpx_gt_u32_e64 s7, v79
	s_cbranch_execnz .LBB1937_959
.LBB1937_910:                           ;   in Loop: Header=BB1937_894 Depth=2
	s_or_b32 exec_lo, exec_lo, s11
	s_delay_alu instid0(SALU_CYCLE_1)
	s_mov_b32 s11, exec_lo
	v_cmpx_gt_u32_e64 s7, v80
	s_cbranch_execnz .LBB1937_960
.LBB1937_911:                           ;   in Loop: Header=BB1937_894 Depth=2
	s_or_b32 exec_lo, exec_lo, s11
	s_delay_alu instid0(SALU_CYCLE_1)
	s_mov_b32 s11, exec_lo
	v_cmpx_gt_u32_e64 s7, v81
	s_cbranch_execnz .LBB1937_961
.LBB1937_912:                           ;   in Loop: Header=BB1937_894 Depth=2
	s_or_b32 exec_lo, exec_lo, s11
	s_delay_alu instid0(SALU_CYCLE_1)
	s_mov_b32 s11, exec_lo
	v_cmpx_gt_u32_e64 s7, v82
	s_cbranch_execz .LBB1937_914
.LBB1937_913:                           ;   in Loop: Header=BB1937_894 Depth=2
	global_load_u16 v23, v2, s[8:9] offset:7680 scale_offset
.LBB1937_914:                           ;   in Loop: Header=BB1937_894 Depth=2
	s_wait_xcnt 0x0
	s_or_b32 exec_lo, exec_lo, s11
	s_wait_loadcnt 0x0
	v_dual_mov_b32 v39, v38 :: v_dual_mov_b32 v40, v37
	v_dual_mov_b32 v41, v36 :: v_dual_mov_b32 v42, v35
	;; [unrolled: 1-line block ×8, first 2 shown]
	s_mov_b32 s8, s7
.LBB1937_915:                           ;   in Loop: Header=BB1937_894 Depth=2
	s_wait_loadcnt 0x0
	s_delay_alu instid0(VALU_DEP_1)
	v_dual_mov_b32 v23, v54 :: v_dual_mov_b32 v24, v53
	v_dual_mov_b32 v25, v52 :: v_dual_mov_b32 v26, v51
	;; [unrolled: 1-line block ×8, first 2 shown]
	s_mov_b32 s9, exec_lo
	s_wait_xcnt 0x0
	v_cmpx_gt_u32_e64 s8, v2
	s_cbranch_execnz .LBB1937_931
; %bb.916:                              ;   in Loop: Header=BB1937_894 Depth=2
	s_or_b32 exec_lo, exec_lo, s9
	s_delay_alu instid0(SALU_CYCLE_1)
	s_mov_b32 s9, exec_lo
	v_cmpx_gt_u32_e64 s8, v68
	s_cbranch_execnz .LBB1937_932
.LBB1937_917:                           ;   in Loop: Header=BB1937_894 Depth=2
	s_or_b32 exec_lo, exec_lo, s9
	s_delay_alu instid0(SALU_CYCLE_1)
	s_mov_b32 s9, exec_lo
	v_cmpx_gt_u32_e64 s8, v69
	s_cbranch_execnz .LBB1937_933
.LBB1937_918:                           ;   in Loop: Header=BB1937_894 Depth=2
	s_or_b32 exec_lo, exec_lo, s9
	s_delay_alu instid0(SALU_CYCLE_1)
	s_mov_b32 s9, exec_lo
	v_cmpx_gt_u32_e64 s8, v70
	s_cbranch_execnz .LBB1937_934
.LBB1937_919:                           ;   in Loop: Header=BB1937_894 Depth=2
	s_or_b32 exec_lo, exec_lo, s9
	s_delay_alu instid0(SALU_CYCLE_1)
	s_mov_b32 s9, exec_lo
	v_cmpx_gt_u32_e64 s8, v71
	s_cbranch_execnz .LBB1937_935
.LBB1937_920:                           ;   in Loop: Header=BB1937_894 Depth=2
	s_or_b32 exec_lo, exec_lo, s9
	s_delay_alu instid0(SALU_CYCLE_1)
	s_mov_b32 s9, exec_lo
	v_cmpx_gt_u32_e64 s8, v72
	s_cbranch_execnz .LBB1937_936
.LBB1937_921:                           ;   in Loop: Header=BB1937_894 Depth=2
	s_or_b32 exec_lo, exec_lo, s9
	s_delay_alu instid0(SALU_CYCLE_1)
	s_mov_b32 s9, exec_lo
	v_cmpx_gt_u32_e64 s8, v73
	s_cbranch_execnz .LBB1937_937
.LBB1937_922:                           ;   in Loop: Header=BB1937_894 Depth=2
	s_or_b32 exec_lo, exec_lo, s9
	s_delay_alu instid0(SALU_CYCLE_1)
	s_mov_b32 s9, exec_lo
	v_cmpx_gt_u32_e64 s8, v74
	s_cbranch_execnz .LBB1937_938
.LBB1937_923:                           ;   in Loop: Header=BB1937_894 Depth=2
	s_or_b32 exec_lo, exec_lo, s9
	s_delay_alu instid0(SALU_CYCLE_1)
	s_mov_b32 s9, exec_lo
	v_cmpx_gt_u32_e64 s8, v75
	s_cbranch_execnz .LBB1937_939
.LBB1937_924:                           ;   in Loop: Header=BB1937_894 Depth=2
	s_or_b32 exec_lo, exec_lo, s9
	s_delay_alu instid0(SALU_CYCLE_1)
	s_mov_b32 s9, exec_lo
	v_cmpx_gt_u32_e64 s8, v76
	s_cbranch_execnz .LBB1937_940
.LBB1937_925:                           ;   in Loop: Header=BB1937_894 Depth=2
	s_or_b32 exec_lo, exec_lo, s9
	s_delay_alu instid0(SALU_CYCLE_1)
	s_mov_b32 s9, exec_lo
	v_cmpx_gt_u32_e64 s8, v77
	s_cbranch_execnz .LBB1937_941
.LBB1937_926:                           ;   in Loop: Header=BB1937_894 Depth=2
	s_or_b32 exec_lo, exec_lo, s9
	s_delay_alu instid0(SALU_CYCLE_1)
	s_mov_b32 s9, exec_lo
	v_cmpx_gt_u32_e64 s8, v78
	s_cbranch_execnz .LBB1937_942
.LBB1937_927:                           ;   in Loop: Header=BB1937_894 Depth=2
	s_or_b32 exec_lo, exec_lo, s9
	s_delay_alu instid0(SALU_CYCLE_1)
	s_mov_b32 s9, exec_lo
	v_cmpx_gt_u32_e64 s8, v79
	s_cbranch_execnz .LBB1937_943
.LBB1937_928:                           ;   in Loop: Header=BB1937_894 Depth=2
	s_or_b32 exec_lo, exec_lo, s9
	s_delay_alu instid0(SALU_CYCLE_1)
	s_mov_b32 s9, exec_lo
	v_cmpx_gt_u32_e64 s8, v80
	s_cbranch_execnz .LBB1937_944
.LBB1937_929:                           ;   in Loop: Header=BB1937_894 Depth=2
	s_or_b32 exec_lo, exec_lo, s9
	s_delay_alu instid0(SALU_CYCLE_1)
	s_mov_b32 s9, exec_lo
	v_cmpx_gt_u32_e64 s8, v81
	s_cbranch_execnz .LBB1937_945
.LBB1937_930:                           ;   in Loop: Header=BB1937_894 Depth=2
	s_or_b32 exec_lo, exec_lo, s9
	v_cmp_gt_u32_e32 vcc_lo, s8, v82
	s_and_saveexec_b32 s8, vcc_lo
	s_cbranch_execz .LBB1937_893
	s_branch .LBB1937_946
.LBB1937_931:                           ;   in Loop: Header=BB1937_894 Depth=2
	v_cmp_gt_i16_e32 vcc_lo, 0, v38
	v_cndmask_b32_e64 v39, 0x7fff, 0, vcc_lo
	s_delay_alu instid0(VALU_DEP_1) | instskip(NEXT) | instid1(VALU_DEP_1)
	v_xor_b32_e32 v39, v39, v38
	v_cmp_ne_u16_e32 vcc_lo, 0x8000, v39
	v_cndmask_b32_e32 v39, 0x7fff, v39, vcc_lo
	s_delay_alu instid0(VALU_DEP_1) | instskip(NEXT) | instid1(VALU_DEP_1)
	v_and_b32_e32 v39, 0xffff, v39
	v_lshrrev_b32_e32 v39, s49, v39
	s_delay_alu instid0(VALU_DEP_1) | instskip(NEXT) | instid1(VALU_DEP_1)
	v_and_b32_e32 v39, s52, v39
	v_lshl_or_b32 v39, v39, 4, v83
	ds_add_u32 v39, v96
	s_or_b32 exec_lo, exec_lo, s9
	s_delay_alu instid0(SALU_CYCLE_1)
	s_mov_b32 s9, exec_lo
	v_cmpx_gt_u32_e64 s8, v68
	s_cbranch_execz .LBB1937_917
.LBB1937_932:                           ;   in Loop: Header=BB1937_894 Depth=2
	v_cmp_gt_i16_e32 vcc_lo, 0, v37
	v_cndmask_b32_e64 v39, 0x7fff, 0, vcc_lo
	s_delay_alu instid0(VALU_DEP_1) | instskip(NEXT) | instid1(VALU_DEP_1)
	v_xor_b32_e32 v39, v39, v37
	v_cmp_ne_u16_e32 vcc_lo, 0x8000, v39
	v_cndmask_b32_e32 v39, 0x7fff, v39, vcc_lo
	s_delay_alu instid0(VALU_DEP_1) | instskip(NEXT) | instid1(VALU_DEP_1)
	v_and_b32_e32 v39, 0xffff, v39
	v_lshrrev_b32_e32 v39, s49, v39
	s_delay_alu instid0(VALU_DEP_1) | instskip(NEXT) | instid1(VALU_DEP_1)
	v_and_b32_e32 v39, s52, v39
	v_lshl_or_b32 v39, v39, 4, v83
	ds_add_u32 v39, v96
	s_or_b32 exec_lo, exec_lo, s9
	s_delay_alu instid0(SALU_CYCLE_1)
	s_mov_b32 s9, exec_lo
	v_cmpx_gt_u32_e64 s8, v69
	s_cbranch_execz .LBB1937_918
.LBB1937_933:                           ;   in Loop: Header=BB1937_894 Depth=2
	v_cmp_gt_i16_e32 vcc_lo, 0, v36
	v_cndmask_b32_e64 v39, 0x7fff, 0, vcc_lo
	s_delay_alu instid0(VALU_DEP_1) | instskip(NEXT) | instid1(VALU_DEP_1)
	v_xor_b32_e32 v39, v39, v36
	v_cmp_ne_u16_e32 vcc_lo, 0x8000, v39
	v_cndmask_b32_e32 v39, 0x7fff, v39, vcc_lo
	s_delay_alu instid0(VALU_DEP_1) | instskip(NEXT) | instid1(VALU_DEP_1)
	v_and_b32_e32 v39, 0xffff, v39
	v_lshrrev_b32_e32 v39, s49, v39
	s_delay_alu instid0(VALU_DEP_1) | instskip(NEXT) | instid1(VALU_DEP_1)
	v_and_b32_e32 v39, s52, v39
	v_lshl_or_b32 v39, v39, 4, v83
	ds_add_u32 v39, v96
	s_or_b32 exec_lo, exec_lo, s9
	s_delay_alu instid0(SALU_CYCLE_1)
	s_mov_b32 s9, exec_lo
	v_cmpx_gt_u32_e64 s8, v70
	s_cbranch_execz .LBB1937_919
.LBB1937_934:                           ;   in Loop: Header=BB1937_894 Depth=2
	v_cmp_gt_i16_e32 vcc_lo, 0, v35
	v_cndmask_b32_e64 v39, 0x7fff, 0, vcc_lo
	s_delay_alu instid0(VALU_DEP_1) | instskip(NEXT) | instid1(VALU_DEP_1)
	v_xor_b32_e32 v39, v39, v35
	v_cmp_ne_u16_e32 vcc_lo, 0x8000, v39
	v_cndmask_b32_e32 v39, 0x7fff, v39, vcc_lo
	s_delay_alu instid0(VALU_DEP_1) | instskip(NEXT) | instid1(VALU_DEP_1)
	v_and_b32_e32 v39, 0xffff, v39
	v_lshrrev_b32_e32 v39, s49, v39
	s_delay_alu instid0(VALU_DEP_1) | instskip(NEXT) | instid1(VALU_DEP_1)
	v_and_b32_e32 v39, s52, v39
	v_lshl_or_b32 v39, v39, 4, v83
	ds_add_u32 v39, v96
	s_or_b32 exec_lo, exec_lo, s9
	s_delay_alu instid0(SALU_CYCLE_1)
	s_mov_b32 s9, exec_lo
	v_cmpx_gt_u32_e64 s8, v71
	s_cbranch_execz .LBB1937_920
.LBB1937_935:                           ;   in Loop: Header=BB1937_894 Depth=2
	v_cmp_gt_i16_e32 vcc_lo, 0, v34
	v_cndmask_b32_e64 v39, 0x7fff, 0, vcc_lo
	s_delay_alu instid0(VALU_DEP_1) | instskip(NEXT) | instid1(VALU_DEP_1)
	v_xor_b32_e32 v39, v39, v34
	v_cmp_ne_u16_e32 vcc_lo, 0x8000, v39
	v_cndmask_b32_e32 v39, 0x7fff, v39, vcc_lo
	s_delay_alu instid0(VALU_DEP_1) | instskip(NEXT) | instid1(VALU_DEP_1)
	v_and_b32_e32 v39, 0xffff, v39
	v_lshrrev_b32_e32 v39, s49, v39
	s_delay_alu instid0(VALU_DEP_1) | instskip(NEXT) | instid1(VALU_DEP_1)
	v_and_b32_e32 v39, s52, v39
	v_lshl_or_b32 v39, v39, 4, v83
	ds_add_u32 v39, v96
	s_or_b32 exec_lo, exec_lo, s9
	s_delay_alu instid0(SALU_CYCLE_1)
	s_mov_b32 s9, exec_lo
	v_cmpx_gt_u32_e64 s8, v72
	s_cbranch_execz .LBB1937_921
.LBB1937_936:                           ;   in Loop: Header=BB1937_894 Depth=2
	v_cmp_gt_i16_e32 vcc_lo, 0, v33
	v_cndmask_b32_e64 v39, 0x7fff, 0, vcc_lo
	s_delay_alu instid0(VALU_DEP_1) | instskip(NEXT) | instid1(VALU_DEP_1)
	v_xor_b32_e32 v39, v39, v33
	v_cmp_ne_u16_e32 vcc_lo, 0x8000, v39
	v_cndmask_b32_e32 v39, 0x7fff, v39, vcc_lo
	s_delay_alu instid0(VALU_DEP_1) | instskip(NEXT) | instid1(VALU_DEP_1)
	v_and_b32_e32 v39, 0xffff, v39
	v_lshrrev_b32_e32 v39, s49, v39
	s_delay_alu instid0(VALU_DEP_1) | instskip(NEXT) | instid1(VALU_DEP_1)
	v_and_b32_e32 v39, s52, v39
	v_lshl_or_b32 v39, v39, 4, v83
	ds_add_u32 v39, v96
	s_or_b32 exec_lo, exec_lo, s9
	s_delay_alu instid0(SALU_CYCLE_1)
	s_mov_b32 s9, exec_lo
	v_cmpx_gt_u32_e64 s8, v73
	s_cbranch_execz .LBB1937_922
.LBB1937_937:                           ;   in Loop: Header=BB1937_894 Depth=2
	v_cmp_gt_i16_e32 vcc_lo, 0, v32
	v_cndmask_b32_e64 v39, 0x7fff, 0, vcc_lo
	s_delay_alu instid0(VALU_DEP_1) | instskip(NEXT) | instid1(VALU_DEP_1)
	v_xor_b32_e32 v39, v39, v32
	v_cmp_ne_u16_e32 vcc_lo, 0x8000, v39
	v_cndmask_b32_e32 v39, 0x7fff, v39, vcc_lo
	s_delay_alu instid0(VALU_DEP_1) | instskip(NEXT) | instid1(VALU_DEP_1)
	v_and_b32_e32 v39, 0xffff, v39
	v_lshrrev_b32_e32 v39, s49, v39
	s_delay_alu instid0(VALU_DEP_1) | instskip(NEXT) | instid1(VALU_DEP_1)
	v_and_b32_e32 v39, s52, v39
	v_lshl_or_b32 v39, v39, 4, v83
	ds_add_u32 v39, v96
	s_or_b32 exec_lo, exec_lo, s9
	s_delay_alu instid0(SALU_CYCLE_1)
	s_mov_b32 s9, exec_lo
	v_cmpx_gt_u32_e64 s8, v74
	s_cbranch_execz .LBB1937_923
.LBB1937_938:                           ;   in Loop: Header=BB1937_894 Depth=2
	v_cmp_gt_i16_e32 vcc_lo, 0, v31
	v_cndmask_b32_e64 v39, 0x7fff, 0, vcc_lo
	s_delay_alu instid0(VALU_DEP_1) | instskip(NEXT) | instid1(VALU_DEP_1)
	v_xor_b32_e32 v39, v39, v31
	v_cmp_ne_u16_e32 vcc_lo, 0x8000, v39
	v_cndmask_b32_e32 v39, 0x7fff, v39, vcc_lo
	s_delay_alu instid0(VALU_DEP_1) | instskip(NEXT) | instid1(VALU_DEP_1)
	v_and_b32_e32 v39, 0xffff, v39
	v_lshrrev_b32_e32 v39, s49, v39
	s_delay_alu instid0(VALU_DEP_1) | instskip(NEXT) | instid1(VALU_DEP_1)
	v_and_b32_e32 v39, s52, v39
	v_lshl_or_b32 v39, v39, 4, v83
	ds_add_u32 v39, v96
	s_or_b32 exec_lo, exec_lo, s9
	s_delay_alu instid0(SALU_CYCLE_1)
	s_mov_b32 s9, exec_lo
	v_cmpx_gt_u32_e64 s8, v75
	s_cbranch_execz .LBB1937_924
.LBB1937_939:                           ;   in Loop: Header=BB1937_894 Depth=2
	v_cmp_gt_i16_e32 vcc_lo, 0, v30
	v_cndmask_b32_e64 v39, 0x7fff, 0, vcc_lo
	s_delay_alu instid0(VALU_DEP_1) | instskip(NEXT) | instid1(VALU_DEP_1)
	v_xor_b32_e32 v39, v39, v30
	v_cmp_ne_u16_e32 vcc_lo, 0x8000, v39
	v_cndmask_b32_e32 v39, 0x7fff, v39, vcc_lo
	s_delay_alu instid0(VALU_DEP_1) | instskip(NEXT) | instid1(VALU_DEP_1)
	v_and_b32_e32 v39, 0xffff, v39
	v_lshrrev_b32_e32 v39, s49, v39
	s_delay_alu instid0(VALU_DEP_1) | instskip(NEXT) | instid1(VALU_DEP_1)
	v_and_b32_e32 v39, s52, v39
	v_lshl_or_b32 v39, v39, 4, v83
	ds_add_u32 v39, v96
	s_or_b32 exec_lo, exec_lo, s9
	s_delay_alu instid0(SALU_CYCLE_1)
	s_mov_b32 s9, exec_lo
	v_cmpx_gt_u32_e64 s8, v76
	s_cbranch_execz .LBB1937_925
.LBB1937_940:                           ;   in Loop: Header=BB1937_894 Depth=2
	v_cmp_gt_i16_e32 vcc_lo, 0, v29
	v_cndmask_b32_e64 v39, 0x7fff, 0, vcc_lo
	s_delay_alu instid0(VALU_DEP_1) | instskip(NEXT) | instid1(VALU_DEP_1)
	v_xor_b32_e32 v39, v39, v29
	v_cmp_ne_u16_e32 vcc_lo, 0x8000, v39
	v_cndmask_b32_e32 v39, 0x7fff, v39, vcc_lo
	s_delay_alu instid0(VALU_DEP_1) | instskip(NEXT) | instid1(VALU_DEP_1)
	v_and_b32_e32 v39, 0xffff, v39
	v_lshrrev_b32_e32 v39, s49, v39
	s_delay_alu instid0(VALU_DEP_1) | instskip(NEXT) | instid1(VALU_DEP_1)
	v_and_b32_e32 v39, s52, v39
	v_lshl_or_b32 v39, v39, 4, v83
	ds_add_u32 v39, v96
	s_or_b32 exec_lo, exec_lo, s9
	s_delay_alu instid0(SALU_CYCLE_1)
	s_mov_b32 s9, exec_lo
	v_cmpx_gt_u32_e64 s8, v77
	s_cbranch_execz .LBB1937_926
.LBB1937_941:                           ;   in Loop: Header=BB1937_894 Depth=2
	v_cmp_gt_i16_e32 vcc_lo, 0, v28
	v_cndmask_b32_e64 v39, 0x7fff, 0, vcc_lo
	s_delay_alu instid0(VALU_DEP_1) | instskip(NEXT) | instid1(VALU_DEP_1)
	v_xor_b32_e32 v39, v39, v28
	v_cmp_ne_u16_e32 vcc_lo, 0x8000, v39
	v_cndmask_b32_e32 v39, 0x7fff, v39, vcc_lo
	s_delay_alu instid0(VALU_DEP_1) | instskip(NEXT) | instid1(VALU_DEP_1)
	v_and_b32_e32 v39, 0xffff, v39
	v_lshrrev_b32_e32 v39, s49, v39
	s_delay_alu instid0(VALU_DEP_1) | instskip(NEXT) | instid1(VALU_DEP_1)
	v_and_b32_e32 v39, s52, v39
	v_lshl_or_b32 v39, v39, 4, v83
	ds_add_u32 v39, v96
	s_or_b32 exec_lo, exec_lo, s9
	s_delay_alu instid0(SALU_CYCLE_1)
	s_mov_b32 s9, exec_lo
	v_cmpx_gt_u32_e64 s8, v78
	s_cbranch_execz .LBB1937_927
.LBB1937_942:                           ;   in Loop: Header=BB1937_894 Depth=2
	v_cmp_gt_i16_e32 vcc_lo, 0, v27
	v_cndmask_b32_e64 v39, 0x7fff, 0, vcc_lo
	s_delay_alu instid0(VALU_DEP_1) | instskip(NEXT) | instid1(VALU_DEP_1)
	v_xor_b32_e32 v39, v39, v27
	v_cmp_ne_u16_e32 vcc_lo, 0x8000, v39
	v_cndmask_b32_e32 v39, 0x7fff, v39, vcc_lo
	s_delay_alu instid0(VALU_DEP_1) | instskip(NEXT) | instid1(VALU_DEP_1)
	v_and_b32_e32 v39, 0xffff, v39
	v_lshrrev_b32_e32 v39, s49, v39
	s_delay_alu instid0(VALU_DEP_1) | instskip(NEXT) | instid1(VALU_DEP_1)
	v_and_b32_e32 v39, s52, v39
	v_lshl_or_b32 v39, v39, 4, v83
	ds_add_u32 v39, v96
	s_or_b32 exec_lo, exec_lo, s9
	s_delay_alu instid0(SALU_CYCLE_1)
	s_mov_b32 s9, exec_lo
	v_cmpx_gt_u32_e64 s8, v79
	s_cbranch_execz .LBB1937_928
.LBB1937_943:                           ;   in Loop: Header=BB1937_894 Depth=2
	v_cmp_gt_i16_e32 vcc_lo, 0, v26
	v_cndmask_b32_e64 v39, 0x7fff, 0, vcc_lo
	s_delay_alu instid0(VALU_DEP_1) | instskip(NEXT) | instid1(VALU_DEP_1)
	v_xor_b32_e32 v39, v39, v26
	v_cmp_ne_u16_e32 vcc_lo, 0x8000, v39
	v_cndmask_b32_e32 v39, 0x7fff, v39, vcc_lo
	s_delay_alu instid0(VALU_DEP_1) | instskip(NEXT) | instid1(VALU_DEP_1)
	v_and_b32_e32 v39, 0xffff, v39
	v_lshrrev_b32_e32 v39, s49, v39
	s_delay_alu instid0(VALU_DEP_1) | instskip(NEXT) | instid1(VALU_DEP_1)
	v_and_b32_e32 v39, s52, v39
	v_lshl_or_b32 v39, v39, 4, v83
	ds_add_u32 v39, v96
	s_or_b32 exec_lo, exec_lo, s9
	s_delay_alu instid0(SALU_CYCLE_1)
	s_mov_b32 s9, exec_lo
	v_cmpx_gt_u32_e64 s8, v80
	s_cbranch_execz .LBB1937_929
.LBB1937_944:                           ;   in Loop: Header=BB1937_894 Depth=2
	v_cmp_gt_i16_e32 vcc_lo, 0, v25
	v_cndmask_b32_e64 v39, 0x7fff, 0, vcc_lo
	s_delay_alu instid0(VALU_DEP_1) | instskip(NEXT) | instid1(VALU_DEP_1)
	v_xor_b32_e32 v39, v39, v25
	v_cmp_ne_u16_e32 vcc_lo, 0x8000, v39
	v_cndmask_b32_e32 v39, 0x7fff, v39, vcc_lo
	s_delay_alu instid0(VALU_DEP_1) | instskip(NEXT) | instid1(VALU_DEP_1)
	v_and_b32_e32 v39, 0xffff, v39
	v_lshrrev_b32_e32 v39, s49, v39
	s_delay_alu instid0(VALU_DEP_1) | instskip(NEXT) | instid1(VALU_DEP_1)
	v_and_b32_e32 v39, s52, v39
	v_lshl_or_b32 v39, v39, 4, v83
	ds_add_u32 v39, v96
	s_or_b32 exec_lo, exec_lo, s9
	s_delay_alu instid0(SALU_CYCLE_1)
	s_mov_b32 s9, exec_lo
	v_cmpx_gt_u32_e64 s8, v81
	s_cbranch_execz .LBB1937_930
.LBB1937_945:                           ;   in Loop: Header=BB1937_894 Depth=2
	v_cmp_gt_i16_e32 vcc_lo, 0, v24
	v_cndmask_b32_e64 v39, 0x7fff, 0, vcc_lo
	s_delay_alu instid0(VALU_DEP_1) | instskip(NEXT) | instid1(VALU_DEP_1)
	v_xor_b32_e32 v39, v39, v24
	v_cmp_ne_u16_e32 vcc_lo, 0x8000, v39
	v_cndmask_b32_e32 v39, 0x7fff, v39, vcc_lo
	s_delay_alu instid0(VALU_DEP_1) | instskip(NEXT) | instid1(VALU_DEP_1)
	v_and_b32_e32 v39, 0xffff, v39
	v_lshrrev_b32_e32 v39, s49, v39
	s_delay_alu instid0(VALU_DEP_1) | instskip(NEXT) | instid1(VALU_DEP_1)
	v_and_b32_e32 v39, s52, v39
	v_lshl_or_b32 v39, v39, 4, v83
	ds_add_u32 v39, v96
	s_or_b32 exec_lo, exec_lo, s9
	v_cmp_gt_u32_e32 vcc_lo, s8, v82
	s_and_saveexec_b32 s8, vcc_lo
	s_cbranch_execz .LBB1937_893
.LBB1937_946:                           ;   in Loop: Header=BB1937_894 Depth=2
	v_cmp_gt_i16_e32 vcc_lo, 0, v23
	v_cndmask_b32_e64 v39, 0x7fff, 0, vcc_lo
	s_delay_alu instid0(VALU_DEP_1) | instskip(NEXT) | instid1(VALU_DEP_1)
	v_xor_b32_e32 v39, v39, v23
	v_cmp_ne_u16_e32 vcc_lo, 0x8000, v39
	v_cndmask_b32_e32 v39, 0x7fff, v39, vcc_lo
	s_delay_alu instid0(VALU_DEP_1) | instskip(NEXT) | instid1(VALU_DEP_1)
	v_and_b32_e32 v39, 0xffff, v39
	v_lshrrev_b32_e32 v39, s49, v39
	s_delay_alu instid0(VALU_DEP_1) | instskip(NEXT) | instid1(VALU_DEP_1)
	v_and_b32_e32 v39, s52, v39
	v_lshl_or_b32 v39, v39, 4, v83
	ds_add_u32 v39, v96
	s_branch .LBB1937_893
.LBB1937_947:                           ;   in Loop: Header=BB1937_894 Depth=2
	global_load_u16 v38, v2, s[8:9] scale_offset
	s_wait_xcnt 0x0
	s_or_b32 exec_lo, exec_lo, s11
	s_delay_alu instid0(SALU_CYCLE_1)
	s_mov_b32 s11, exec_lo
	v_cmpx_gt_u32_e64 s7, v68
	s_cbranch_execz .LBB1937_899
.LBB1937_948:                           ;   in Loop: Header=BB1937_894 Depth=2
	global_load_u16 v37, v2, s[8:9] offset:512 scale_offset
	s_wait_xcnt 0x0
	s_or_b32 exec_lo, exec_lo, s11
	s_delay_alu instid0(SALU_CYCLE_1)
	s_mov_b32 s11, exec_lo
	v_cmpx_gt_u32_e64 s7, v69
	s_cbranch_execz .LBB1937_900
.LBB1937_949:                           ;   in Loop: Header=BB1937_894 Depth=2
	global_load_u16 v36, v2, s[8:9] offset:1024 scale_offset
	s_wait_xcnt 0x0
	s_or_b32 exec_lo, exec_lo, s11
	s_delay_alu instid0(SALU_CYCLE_1)
	s_mov_b32 s11, exec_lo
	v_cmpx_gt_u32_e64 s7, v70
	s_cbranch_execz .LBB1937_901
.LBB1937_950:                           ;   in Loop: Header=BB1937_894 Depth=2
	global_load_u16 v35, v2, s[8:9] offset:1536 scale_offset
	s_wait_xcnt 0x0
	s_or_b32 exec_lo, exec_lo, s11
	s_delay_alu instid0(SALU_CYCLE_1)
	s_mov_b32 s11, exec_lo
	v_cmpx_gt_u32_e64 s7, v71
	s_cbranch_execz .LBB1937_902
.LBB1937_951:                           ;   in Loop: Header=BB1937_894 Depth=2
	global_load_u16 v34, v2, s[8:9] offset:2048 scale_offset
	s_wait_xcnt 0x0
	s_or_b32 exec_lo, exec_lo, s11
	s_delay_alu instid0(SALU_CYCLE_1)
	s_mov_b32 s11, exec_lo
	v_cmpx_gt_u32_e64 s7, v72
	s_cbranch_execz .LBB1937_903
.LBB1937_952:                           ;   in Loop: Header=BB1937_894 Depth=2
	global_load_u16 v33, v2, s[8:9] offset:2560 scale_offset
	s_wait_xcnt 0x0
	s_or_b32 exec_lo, exec_lo, s11
	s_delay_alu instid0(SALU_CYCLE_1)
	s_mov_b32 s11, exec_lo
	v_cmpx_gt_u32_e64 s7, v73
	s_cbranch_execz .LBB1937_904
.LBB1937_953:                           ;   in Loop: Header=BB1937_894 Depth=2
	global_load_u16 v32, v2, s[8:9] offset:3072 scale_offset
	s_wait_xcnt 0x0
	s_or_b32 exec_lo, exec_lo, s11
	s_delay_alu instid0(SALU_CYCLE_1)
	s_mov_b32 s11, exec_lo
	v_cmpx_gt_u32_e64 s7, v74
	s_cbranch_execz .LBB1937_905
.LBB1937_954:                           ;   in Loop: Header=BB1937_894 Depth=2
	global_load_u16 v31, v2, s[8:9] offset:3584 scale_offset
	s_wait_xcnt 0x0
	s_or_b32 exec_lo, exec_lo, s11
	s_delay_alu instid0(SALU_CYCLE_1)
	s_mov_b32 s11, exec_lo
	v_cmpx_gt_u32_e64 s7, v75
	s_cbranch_execz .LBB1937_906
.LBB1937_955:                           ;   in Loop: Header=BB1937_894 Depth=2
	global_load_u16 v30, v2, s[8:9] offset:4096 scale_offset
	s_wait_xcnt 0x0
	s_or_b32 exec_lo, exec_lo, s11
	s_delay_alu instid0(SALU_CYCLE_1)
	s_mov_b32 s11, exec_lo
	v_cmpx_gt_u32_e64 s7, v76
	s_cbranch_execz .LBB1937_907
.LBB1937_956:                           ;   in Loop: Header=BB1937_894 Depth=2
	global_load_u16 v29, v2, s[8:9] offset:4608 scale_offset
	s_wait_xcnt 0x0
	s_or_b32 exec_lo, exec_lo, s11
	s_delay_alu instid0(SALU_CYCLE_1)
	s_mov_b32 s11, exec_lo
	v_cmpx_gt_u32_e64 s7, v77
	s_cbranch_execz .LBB1937_908
.LBB1937_957:                           ;   in Loop: Header=BB1937_894 Depth=2
	global_load_u16 v28, v2, s[8:9] offset:5120 scale_offset
	s_wait_xcnt 0x0
	s_or_b32 exec_lo, exec_lo, s11
	s_delay_alu instid0(SALU_CYCLE_1)
	s_mov_b32 s11, exec_lo
	v_cmpx_gt_u32_e64 s7, v78
	s_cbranch_execz .LBB1937_909
.LBB1937_958:                           ;   in Loop: Header=BB1937_894 Depth=2
	global_load_u16 v27, v2, s[8:9] offset:5632 scale_offset
	s_wait_xcnt 0x0
	s_or_b32 exec_lo, exec_lo, s11
	s_delay_alu instid0(SALU_CYCLE_1)
	s_mov_b32 s11, exec_lo
	v_cmpx_gt_u32_e64 s7, v79
	s_cbranch_execz .LBB1937_910
.LBB1937_959:                           ;   in Loop: Header=BB1937_894 Depth=2
	global_load_u16 v26, v2, s[8:9] offset:6144 scale_offset
	s_wait_xcnt 0x0
	s_or_b32 exec_lo, exec_lo, s11
	s_delay_alu instid0(SALU_CYCLE_1)
	s_mov_b32 s11, exec_lo
	v_cmpx_gt_u32_e64 s7, v80
	s_cbranch_execz .LBB1937_911
.LBB1937_960:                           ;   in Loop: Header=BB1937_894 Depth=2
	global_load_u16 v25, v2, s[8:9] offset:6656 scale_offset
	s_wait_xcnt 0x0
	s_or_b32 exec_lo, exec_lo, s11
	s_delay_alu instid0(SALU_CYCLE_1)
	s_mov_b32 s11, exec_lo
	v_cmpx_gt_u32_e64 s7, v81
	s_cbranch_execz .LBB1937_912
.LBB1937_961:                           ;   in Loop: Header=BB1937_894 Depth=2
	global_load_u16 v24, v2, s[8:9] offset:7168 scale_offset
	s_wait_xcnt 0x0
	s_or_b32 exec_lo, exec_lo, s11
	s_delay_alu instid0(SALU_CYCLE_1)
	s_mov_b32 s11, exec_lo
	v_cmpx_gt_u32_e64 s7, v82
	s_cbranch_execnz .LBB1937_913
	s_branch .LBB1937_914
.LBB1937_962:                           ;   in Loop: Header=BB1937_12 Depth=1
	v_mov_b32_e32 v23, 0
	s_wait_dscnt 0x0
	s_barrier_signal -1
	s_barrier_wait -1
	s_and_saveexec_b32 s7, s0
	s_cbranch_execz .LBB1937_964
; %bb.963:                              ;   in Loop: Header=BB1937_12 Depth=1
	ds_load_2addr_b64 v[24:27], v85 offset1:1
	s_wait_dscnt 0x0
	v_add_nc_u32_e32 v23, v25, v24
	s_delay_alu instid0(VALU_DEP_1)
	v_add3_u32 v23, v23, v26, v27
.LBB1937_964:                           ;   in Loop: Header=BB1937_12 Depth=1
	s_or_b32 exec_lo, exec_lo, s7
	s_delay_alu instid0(VALU_DEP_1)
	v_mov_b32_dpp v24, v23 row_shr:1 row_mask:0xf bank_mask:0xf
	v_cmp_eq_u32_e64 s7, 0, v97
	v_cmp_lt_u32_e64 s8, 1, v97
	v_cmp_lt_u32_e64 s9, 3, v97
	;; [unrolled: 1-line block ×3, first 2 shown]
	v_cmp_eq_u32_e64 s11, 0, v99
	v_cndmask_b32_e64 v24, v24, 0, s7
	s_delay_alu instid0(VALU_DEP_1) | instskip(NEXT) | instid1(VALU_DEP_1)
	v_add_nc_u32_e32 v23, v24, v23
	v_mov_b32_dpp v24, v23 row_shr:2 row_mask:0xf bank_mask:0xf
	s_delay_alu instid0(VALU_DEP_1) | instskip(NEXT) | instid1(VALU_DEP_1)
	v_cndmask_b32_e64 v24, 0, v24, s8
	v_add_nc_u32_e32 v23, v23, v24
	s_delay_alu instid0(VALU_DEP_1) | instskip(NEXT) | instid1(VALU_DEP_1)
	v_mov_b32_dpp v24, v23 row_shr:4 row_mask:0xf bank_mask:0xf
	v_cndmask_b32_e64 v24, 0, v24, s9
	s_delay_alu instid0(VALU_DEP_1) | instskip(NEXT) | instid1(VALU_DEP_1)
	v_add_nc_u32_e32 v23, v23, v24
	v_mov_b32_dpp v24, v23 row_shr:8 row_mask:0xf bank_mask:0xf
	s_delay_alu instid0(VALU_DEP_1) | instskip(NEXT) | instid1(VALU_DEP_1)
	v_cndmask_b32_e64 v24, 0, v24, s10
	v_add_nc_u32_e32 v23, v23, v24
	ds_swizzle_b32 v24, v23 offset:swizzle(BROADCAST,32,15)
	s_wait_dscnt 0x0
	v_and_b32_e32 v24, v98, v24
	s_delay_alu instid0(VALU_DEP_1)
	v_add_nc_u32_e32 v23, v23, v24
	s_and_saveexec_b32 s12, s1
; %bb.965:                              ;   in Loop: Header=BB1937_12 Depth=1
	ds_store_b32 v86, v23
; %bb.966:                              ;   in Loop: Header=BB1937_12 Depth=1
	s_or_b32 exec_lo, exec_lo, s12
	s_wait_dscnt 0x0
	s_barrier_signal -1
	s_barrier_wait -1
	s_and_saveexec_b32 s12, s4
	s_cbranch_execz .LBB1937_968
; %bb.967:                              ;   in Loop: Header=BB1937_12 Depth=1
	ds_load_b32 v24, v87
	v_cmp_ne_u32_e32 vcc_lo, 0, v101
	s_wait_dscnt 0x0
	v_mov_b32_dpp v25, v24 row_shr:1 row_mask:0xf bank_mask:0xf
	s_delay_alu instid0(VALU_DEP_1) | instskip(SKIP_1) | instid1(VALU_DEP_2)
	v_cndmask_b32_e32 v25, 0, v25, vcc_lo
	v_cmp_lt_u32_e32 vcc_lo, 1, v101
	v_add_nc_u32_e32 v24, v25, v24
	s_delay_alu instid0(VALU_DEP_1) | instskip(NEXT) | instid1(VALU_DEP_1)
	v_mov_b32_dpp v25, v24 row_shr:2 row_mask:0xf bank_mask:0xf
	v_cndmask_b32_e32 v25, 0, v25, vcc_lo
	v_cmp_lt_u32_e32 vcc_lo, 3, v101
	s_delay_alu instid0(VALU_DEP_2) | instskip(NEXT) | instid1(VALU_DEP_1)
	v_add_nc_u32_e32 v24, v24, v25
	v_mov_b32_dpp v25, v24 row_shr:4 row_mask:0xf bank_mask:0xf
	s_delay_alu instid0(VALU_DEP_1) | instskip(NEXT) | instid1(VALU_DEP_1)
	v_cndmask_b32_e32 v25, 0, v25, vcc_lo
	v_add_nc_u32_e32 v24, v24, v25
	ds_store_b32 v87, v24
.LBB1937_968:                           ;   in Loop: Header=BB1937_12 Depth=1
	s_or_b32 exec_lo, exec_lo, s12
	v_mov_b32_e32 v24, 0
	s_wait_dscnt 0x0
	s_barrier_signal -1
	s_barrier_wait -1
	s_and_saveexec_b32 s12, s5
; %bb.969:                              ;   in Loop: Header=BB1937_12 Depth=1
	ds_load_b32 v24, v88
; %bb.970:                              ;   in Loop: Header=BB1937_12 Depth=1
	s_or_b32 exec_lo, exec_lo, s12
	v_cmp_gt_i32_e32 vcc_lo, 0, v102
	s_wait_dscnt 0x0
	s_barrier_signal -1
	s_barrier_wait -1
	v_cndmask_b32_e32 v25, v102, v95, vcc_lo
	s_delay_alu instid0(VALU_DEP_1)
	v_dual_add_nc_u32 v23, v24, v23 :: v_dual_lshlrev_b32 v122, 2, v25
	ds_bpermute_b32 v23, v122, v23
	s_and_saveexec_b32 s12, s0
	s_cbranch_execz .LBB1937_972
; %bb.971:                              ;   in Loop: Header=BB1937_12 Depth=1
	s_wait_dscnt 0x0
	v_cndmask_b32_e64 v23, v23, v24, s6
	s_delay_alu instid0(VALU_DEP_1)
	v_add_nc_u32_e32 v23, s54, v23
	ds_store_b32 v3, v23
.LBB1937_972:                           ;   in Loop: Header=BB1937_12 Depth=1
	s_or_b32 exec_lo, exec_lo, s12
	s_load_b64 s[12:13], s[34:35], 0x0
	s_mov_b32 s53, s56
                                        ; implicit-def: $vgpr30_vgpr31
                                        ; implicit-def: $vgpr32_vgpr33
                                        ; implicit-def: $vgpr34_vgpr35
                                        ; implicit-def: $vgpr36_vgpr37
                                        ; implicit-def: $vgpr38_vgpr39
                                        ; implicit-def: $vgpr40_vgpr41
                                        ; implicit-def: $vgpr42_vgpr43
                                        ; implicit-def: $vgpr44_vgpr45
                                        ; implicit-def: $vgpr46_vgpr47
                                        ; implicit-def: $vgpr48_vgpr49
                                        ; implicit-def: $vgpr50_vgpr51
                                        ; implicit-def: $vgpr52_vgpr53
                                        ; implicit-def: $vgpr54_vgpr55
                                        ; implicit-def: $vgpr56_vgpr57
                                        ; implicit-def: $vgpr58_vgpr59
                                        ; implicit-def: $vgpr123
                                        ; implicit-def: $vgpr124
                                        ; implicit-def: $vgpr125
                                        ; implicit-def: $vgpr126
                                        ; implicit-def: $vgpr127
                                        ; implicit-def: $vgpr128
                                        ; implicit-def: $vgpr129
                                        ; implicit-def: $vgpr130
                                        ; implicit-def: $vgpr131
                                        ; implicit-def: $vgpr132
                                        ; implicit-def: $vgpr133
                                        ; implicit-def: $vgpr134
                                        ; implicit-def: $vgpr135
                                        ; implicit-def: $vgpr136
                                        ; implicit-def: $vgpr137
                                        ; implicit-def: $vgpr138
	s_wait_kmcnt 0x0
	s_cmp_lt_u32 s33, s12
	s_cselect_b32 s42, 12, 18
	s_cmp_lt_u32 s31, s13
	s_mov_b32 s13, s43
	s_cselect_b32 s12, 14, 20
	s_delay_alu instid0(SALU_CYCLE_1)
	s_add_nc_u64 s[12:13], s[34:35], s[12:13]
	s_load_u16 s14, s[12:13], 0x0
	s_wait_xcnt 0x0
	s_add_nc_u64 s[12:13], s[34:35], s[42:43]
	s_mov_b32 s42, s54
	s_load_u16 s12, s[12:13], 0x0
	s_wait_xcnt 0x0
	v_cmp_lt_u32_e64 s13, 1, v101
	s_wait_dscnt 0x0
	s_wait_kmcnt 0x0
	v_mad_u32_u24 v23, v89, s14, v90
	v_cmp_lt_u32_e64 s14, 3, v101
	s_delay_alu instid0(VALU_DEP_2) | instskip(SKIP_2) | instid1(VALU_DEP_3)
	v_mad_u32 v24, v23, s12, v2
	v_mov_b32_e32 v23, v5
	v_cmp_eq_u32_e64 s12, 0, v101
	v_lshrrev_b32_e32 v28, 3, v24
	v_add_nc_u64_e32 v[24:25], v[18:19], v[4:5]
	s_delay_alu instid0(VALU_DEP_4) | instskip(NEXT) | instid1(VALU_DEP_3)
	v_add_nc_u64_e32 v[26:27], v[20:21], v[22:23]
	v_and_b32_e32 v23, 0x1ffffffc, v28
                                        ; implicit-def: $vgpr28_vgpr29
	s_branch .LBB1937_974
.LBB1937_973:                           ;   in Loop: Header=BB1937_974 Depth=2
	s_or_b32 exec_lo, exec_lo, s15
	s_addk_co_i32 s53, 0xf000
	s_cmp_lt_u32 s57, s51
	s_mov_b32 s42, s57
	s_cbranch_scc0 .LBB1937_10
.LBB1937_974:                           ;   Parent Loop BB1937_12 Depth=1
                                        ; =>  This Inner Loop Header: Depth=2
	s_add_co_i32 s57, s42, 0x1000
	s_delay_alu instid0(SALU_CYCLE_1)
	s_cmp_gt_u32 s57, s51
	s_cbranch_scc1 .LBB1937_976
; %bb.975:                              ;   in Loop: Header=BB1937_974 Depth=2
	s_delay_alu instid0(VALU_DEP_2)
	v_lshl_add_u64 v[60:61], s[42:43], 1, v[26:27]
	s_mov_b32 s15, -1
	s_clause 0xe
	global_load_u16 v140, v[60:61], off
	global_load_u16 v141, v[60:61], off offset:64
	global_load_u16 v144, v[60:61], off offset:128
	;; [unrolled: 1-line block ×14, first 2 shown]
	s_movk_i32 s16, 0x1000
	s_cbranch_execz .LBB1937_977
	s_branch .LBB1937_1008
.LBB1937_976:                           ;   in Loop: Header=BB1937_974 Depth=2
	s_mov_b32 s15, 0
                                        ; implicit-def: $vgpr140
                                        ; implicit-def: $vgpr141
                                        ; implicit-def: $vgpr144
                                        ; implicit-def: $vgpr148
                                        ; implicit-def: $vgpr152
                                        ; implicit-def: $vgpr156
                                        ; implicit-def: $vgpr160
                                        ; implicit-def: $vgpr164
                                        ; implicit-def: $vgpr168
                                        ; implicit-def: $vgpr67
                                        ; implicit-def: $vgpr66
                                        ; implicit-def: $vgpr65
                                        ; implicit-def: $vgpr64
                                        ; implicit-def: $vgpr63
                                        ; implicit-def: $vgpr62
	s_movk_i32 s16, 0x1000
.LBB1937_977:                           ;   in Loop: Header=BB1937_974 Depth=2
	s_wait_xcnt 0x0
	v_lshl_add_u64 v[60:61], s[42:43], 1, v[26:27]
	s_wait_loadcnt 0xd
	v_dual_mov_b32 v141, -1 :: v_dual_mov_b32 v140, -1
	s_mov_b32 s15, exec_lo
	v_cmpx_gt_u32_e64 s53, v100
	s_cbranch_execz .LBB1937_979
; %bb.978:                              ;   in Loop: Header=BB1937_974 Depth=2
	global_load_u16 v140, v[60:61], off
.LBB1937_979:                           ;   in Loop: Header=BB1937_974 Depth=2
	s_wait_xcnt 0x0
	s_or_b32 exec_lo, exec_lo, s15
	s_delay_alu instid0(SALU_CYCLE_1)
	s_mov_b32 s15, exec_lo
	v_cmpx_gt_u32_e64 s53, v103
	s_cbranch_execz .LBB1937_981
; %bb.980:                              ;   in Loop: Header=BB1937_974 Depth=2
	global_load_u16 v141, v[60:61], off offset:64
.LBB1937_981:                           ;   in Loop: Header=BB1937_974 Depth=2
	s_wait_xcnt 0x0
	s_or_b32 exec_lo, exec_lo, s15
	s_wait_loadcnt 0xb
	v_dual_mov_b32 v148, -1 :: v_dual_mov_b32 v144, -1
	s_mov_b32 s15, exec_lo
	v_cmpx_gt_u32_e64 s53, v104
	s_cbranch_execz .LBB1937_983
; %bb.982:                              ;   in Loop: Header=BB1937_974 Depth=2
	global_load_u16 v144, v[60:61], off offset:128
.LBB1937_983:                           ;   in Loop: Header=BB1937_974 Depth=2
	s_wait_xcnt 0x0
	s_or_b32 exec_lo, exec_lo, s15
	s_delay_alu instid0(SALU_CYCLE_1)
	s_mov_b32 s15, exec_lo
	v_cmpx_gt_u32_e64 s53, v105
	s_cbranch_execz .LBB1937_985
; %bb.984:                              ;   in Loop: Header=BB1937_974 Depth=2
	global_load_u16 v148, v[60:61], off offset:192
.LBB1937_985:                           ;   in Loop: Header=BB1937_974 Depth=2
	s_wait_xcnt 0x0
	s_or_b32 exec_lo, exec_lo, s15
	s_wait_loadcnt 0x9
	v_dual_mov_b32 v156, -1 :: v_dual_mov_b32 v152, -1
	s_mov_b32 s15, exec_lo
	v_cmpx_gt_u32_e64 s53, v106
	s_cbranch_execz .LBB1937_987
; %bb.986:                              ;   in Loop: Header=BB1937_974 Depth=2
	global_load_u16 v152, v[60:61], off offset:256
.LBB1937_987:                           ;   in Loop: Header=BB1937_974 Depth=2
	;; [unrolled: 19-line block ×5, first 2 shown]
	s_wait_xcnt 0x0
	s_or_b32 exec_lo, exec_lo, s15
	s_delay_alu instid0(SALU_CYCLE_1)
	s_mov_b32 s15, exec_lo
	v_cmpx_gt_u32_e64 s53, v113
	s_cbranch_execz .LBB1937_1001
; %bb.1000:                             ;   in Loop: Header=BB1937_974 Depth=2
	global_load_u16 v65, v[60:61], off offset:704
.LBB1937_1001:                          ;   in Loop: Header=BB1937_974 Depth=2
	s_wait_xcnt 0x0
	s_or_b32 exec_lo, exec_lo, s15
	s_wait_loadcnt 0x1
	v_dual_mov_b32 v63, -1 :: v_dual_mov_b32 v64, -1
	s_mov_b32 s15, exec_lo
	v_cmpx_gt_u32_e64 s53, v114
	s_cbranch_execz .LBB1937_1003
; %bb.1002:                             ;   in Loop: Header=BB1937_974 Depth=2
	global_load_u16 v64, v[60:61], off offset:768
.LBB1937_1003:                          ;   in Loop: Header=BB1937_974 Depth=2
	s_wait_xcnt 0x0
	s_or_b32 exec_lo, exec_lo, s15
	s_delay_alu instid0(SALU_CYCLE_1)
	s_mov_b32 s15, exec_lo
	v_cmpx_gt_u32_e64 s53, v115
	s_cbranch_execz .LBB1937_1005
; %bb.1004:                             ;   in Loop: Header=BB1937_974 Depth=2
	global_load_u16 v63, v[60:61], off offset:832
.LBB1937_1005:                          ;   in Loop: Header=BB1937_974 Depth=2
	s_wait_xcnt 0x0
	s_or_b32 exec_lo, exec_lo, s15
	s_wait_loadcnt 0x0
	v_mov_b32_e32 v62, -1
	s_mov_b32 s15, exec_lo
	v_cmpx_gt_u32_e64 s53, v116
	s_cbranch_execz .LBB1937_1007
; %bb.1006:                             ;   in Loop: Header=BB1937_974 Depth=2
	global_load_u16 v62, v[60:61], off offset:896
.LBB1937_1007:                          ;   in Loop: Header=BB1937_974 Depth=2
	s_wait_xcnt 0x0
	s_or_b32 exec_lo, exec_lo, s15
	v_cmp_gt_u32_e64 s15, s53, v117
	s_sub_co_i32 s16, s51, s42
.LBB1937_1008:                          ;   in Loop: Header=BB1937_974 Depth=2
	s_wait_xcnt 0x0
	v_dual_mov_b32 v60, -1 :: v_dual_mov_b32 v139, s53
	s_and_saveexec_b32 s17, s15
	s_cbranch_execz .LBB1937_1010
; %bb.1009:                             ;   in Loop: Header=BB1937_974 Depth=2
	v_lshl_add_u64 v[60:61], s[42:43], 1, v[26:27]
	v_mov_b32_e32 v139, s16
	global_load_u16 v60, v[60:61], off offset:960
.LBB1937_1010:                          ;   in Loop: Header=BB1937_974 Depth=2
	s_wait_xcnt 0x0
	s_or_b32 exec_lo, exec_lo, s17
	s_wait_loadcnt 0xe
	v_cmp_gt_i16_e64 vcc_lo, 0, v140
	ds_store_2addr_b32 v121, v5, v5 offset1:1
	ds_store_2addr_b32 v118, v5, v5 offset1:1
	;; [unrolled: 1-line block ×4, first 2 shown]
	ds_store_b32 v91, v5 offset:1088
	s_wait_loadcnt_dscnt 0x0
	s_barrier_signal -1
	v_cndmask_b32_e64 v61, 0x7fff, 0, vcc_lo
	s_barrier_wait -1
	; wave barrier
	s_delay_alu instid0(VALU_DEP_1) | instskip(NEXT) | instid1(VALU_DEP_1)
	v_xor_b32_e32 v140, v61, v140
	v_cmp_ne_u16_e64 vcc_lo, 0x8000, v140
	v_cndmask_b32_e32 v61, 0x7fff, v140, vcc_lo
	s_delay_alu instid0(VALU_DEP_1) | instskip(NEXT) | instid1(VALU_DEP_1)
	v_and_b32_e32 v61, 0xffff, v61
	v_lshrrev_b32_e32 v61, s49, v61
	s_delay_alu instid0(VALU_DEP_1) | instskip(SKIP_1) | instid1(VALU_DEP_2)
	v_bitop3_b32 v142, v61, 1, s52 bitop3:0x80
	v_and_b32_e32 v143, s52, v61
	v_add_co_u32 v61, s15, v142, -1
	s_delay_alu instid0(VALU_DEP_1) | instskip(NEXT) | instid1(VALU_DEP_3)
	v_cndmask_b32_e64 v142, 0, 1, s15
	v_lshlrev_b32_e32 v145, 30, v143
	s_delay_alu instid0(VALU_DEP_2) | instskip(NEXT) | instid1(VALU_DEP_2)
	v_cmp_ne_u32_e32 vcc_lo, 0, v142
	v_not_b32_e32 v142, v145
	s_delay_alu instid0(VALU_DEP_1) | instskip(SKIP_3) | instid1(VALU_DEP_4)
	v_dual_ashrrev_i32 v142, 31, v142 :: v_dual_lshlrev_b32 v146, 29, v143
	v_dual_lshlrev_b32 v147, 28, v143 :: v_dual_lshlrev_b32 v149, 27, v143
	v_lshlrev_b32_e32 v150, 26, v143
	v_cmp_gt_i32_e64 s15, 0, v145
	v_cmp_gt_i32_e64 s16, 0, v146
	v_not_b32_e32 v145, v146
	v_not_b32_e32 v146, v147
	v_dual_lshlrev_b32 v151, 25, v143 :: v_dual_lshlrev_b32 v153, 24, v143
	v_cmp_gt_i32_e64 s17, 0, v147
	v_cmp_gt_i32_e64 s18, 0, v149
	v_not_b32_e32 v147, v149
	v_not_b32_e32 v149, v150
	v_dual_ashrrev_i32 v146, 31, v146 :: v_dual_bitop2_b32 v61, vcc_lo, v61 bitop3:0x14
	v_dual_ashrrev_i32 v145, 31, v145 :: v_dual_bitop2_b32 v142, s15, v142 bitop3:0x14
	v_cmp_gt_i32_e64 s19, 0, v150
	v_cmp_gt_i32_e64 s20, 0, v151
	v_not_b32_e32 v150, v151
	v_not_b32_e32 v151, v153
	v_dual_ashrrev_i32 v147, 31, v147 :: v_dual_ashrrev_i32 v149, 31, v149
	v_xor_b32_e32 v145, s16, v145
	v_xor_b32_e32 v146, s17, v146
	v_bitop3_b32 v61, v61, v142, exec_lo bitop3:0x80
	v_cmp_gt_i32_e64 s21, 0, v153
	v_dual_ashrrev_i32 v142, 31, v150 :: v_dual_ashrrev_i32 v150, 31, v151
	v_xor_b32_e32 v147, s18, v147
	s_delay_alu instid0(VALU_DEP_4) | instskip(SKIP_3) | instid1(VALU_DEP_3)
	v_bitop3_b32 v61, v61, v146, v145 bitop3:0x80
	v_mul_u32_u24_e32 v143, 36, v143
	v_xor_b32_e32 v149, s19, v149
	v_xor_b32_e32 v142, s20, v142
	v_dual_add_nc_u32 v143, v23, v143 :: v_dual_bitop2_b32 v145, s21, v150 bitop3:0x14
	s_delay_alu instid0(VALU_DEP_3) | instskip(NEXT) | instid1(VALU_DEP_1)
	v_bitop3_b32 v61, v61, v149, v147 bitop3:0x80
	v_bitop3_b32 v61, v61, v145, v142 bitop3:0x80
	s_delay_alu instid0(VALU_DEP_1) | instskip(SKIP_1) | instid1(VALU_DEP_2)
	v_mbcnt_lo_u32_b32 v142, v61, 0
	v_cmp_ne_u32_e64 s15, 0, v61
	v_cmp_eq_u32_e32 vcc_lo, 0, v142
	s_and_b32 s16, s15, vcc_lo
	s_delay_alu instid0(SALU_CYCLE_1)
	s_and_saveexec_b32 s15, s16
; %bb.1011:                             ;   in Loop: Header=BB1937_974 Depth=2
	v_bcnt_u32_b32 v61, v61, 0
	ds_store_b32 v143, v61 offset:1056
; %bb.1012:                             ;   in Loop: Header=BB1937_974 Depth=2
	s_or_b32 exec_lo, exec_lo, s15
	v_cmp_gt_i16_e64 vcc_lo, 0, v141
	; wave barrier
	s_delay_alu instid0(VALU_DEP_1) | instskip(NEXT) | instid1(VALU_DEP_1)
	v_cndmask_b32_e64 v61, 0x7fff, 0, vcc_lo
	v_xor_b32_e32 v141, v61, v141
	s_delay_alu instid0(VALU_DEP_1) | instskip(SKIP_1) | instid1(VALU_DEP_1)
	v_cmp_ne_u16_e64 vcc_lo, 0x8000, v141
	v_cndmask_b32_e32 v61, 0x7fff, v141, vcc_lo
	v_and_b32_e32 v61, 0xffff, v61
	s_delay_alu instid0(VALU_DEP_1) | instskip(NEXT) | instid1(VALU_DEP_1)
	v_lshrrev_b32_e32 v61, s49, v61
	v_and_b32_e32 v147, s52, v61
	s_delay_alu instid0(VALU_DEP_1) | instskip(SKIP_2) | instid1(VALU_DEP_3)
	v_lshlrev_b32_e32 v149, 29, v147
	v_bitop3_b32 v145, v61, 1, s52 bitop3:0x80
	v_lshlrev_b32_e32 v146, 30, v147
	v_cmp_gt_i32_e64 s16, 0, v149
	s_delay_alu instid0(VALU_DEP_3) | instskip(NEXT) | instid1(VALU_DEP_1)
	v_add_co_u32 v61, s15, v145, -1
	v_cndmask_b32_e64 v145, 0, 1, s15
	s_delay_alu instid0(VALU_DEP_4) | instskip(NEXT) | instid1(VALU_DEP_2)
	v_cmp_gt_i32_e64 s15, 0, v146
	v_cmp_ne_u32_e32 vcc_lo, 0, v145
	v_not_b32_e32 v145, v146
	v_not_b32_e32 v146, v149
	s_delay_alu instid0(VALU_DEP_1) | instskip(SKIP_2) | instid1(VALU_DEP_3)
	v_dual_ashrrev_i32 v146, 31, v146 :: v_dual_lshlrev_b32 v150, 28, v147
	v_dual_lshlrev_b32 v151, 27, v147 :: v_dual_lshlrev_b32 v153, 26, v147
	v_dual_lshlrev_b32 v154, 25, v147 :: v_dual_lshlrev_b32 v155, 24, v147
	v_cmp_gt_i32_e64 s17, 0, v150
	v_not_b32_e32 v149, v150
	s_delay_alu instid0(VALU_DEP_4)
	v_not_b32_e32 v150, v151
	v_ashrrev_i32_e32 v145, 31, v145
	v_cmp_gt_i32_e64 s18, 0, v151
	v_cmp_gt_i32_e64 s19, 0, v153
	v_not_b32_e32 v151, v153
	v_cmp_gt_i32_e64 s20, 0, v154
	v_not_b32_e32 v153, v154
	v_not_b32_e32 v154, v155
	s_delay_alu instid0(VALU_DEP_4) | instskip(SKIP_3) | instid1(VALU_DEP_3)
	v_dual_ashrrev_i32 v151, 31, v151 :: v_dual_bitop2_b32 v61, vcc_lo, v61 bitop3:0x14
	v_dual_ashrrev_i32 v149, 31, v149 :: v_dual_bitop2_b32 v146, s16, v146 bitop3:0x14
	v_dual_ashrrev_i32 v150, 31, v150 :: v_dual_bitop2_b32 v145, s15, v145 bitop3:0x14
	v_cmp_gt_i32_e64 s21, 0, v155
	v_xor_b32_e32 v149, s17, v149
	v_xor_b32_e32 v151, s19, v151
	s_delay_alu instid0(VALU_DEP_4) | instskip(SKIP_2) | instid1(VALU_DEP_2)
	v_xor_b32_e32 v150, s18, v150
	v_bitop3_b32 v61, v61, v145, exec_lo bitop3:0x80
	v_dual_ashrrev_i32 v145, 31, v153 :: v_dual_ashrrev_i32 v153, 31, v154
	v_bitop3_b32 v61, v61, v149, v146 bitop3:0x80
	v_mad_u32_u24 v146, v147, 36, v23
	s_delay_alu instid0(VALU_DEP_3) | instskip(NEXT) | instid1(VALU_DEP_4)
	v_xor_b32_e32 v149, s20, v145
	v_xor_b32_e32 v153, s21, v153
	v_mul_u32_u24_e32 v147, 36, v147
	v_bitop3_b32 v61, v61, v151, v150 bitop3:0x80
	ds_load_b32 v145, v146 offset:1056
	; wave barrier
	v_add_nc_u32_e32 v147, v23, v147
	v_bitop3_b32 v61, v61, v153, v149 bitop3:0x80
	s_delay_alu instid0(VALU_DEP_1) | instskip(SKIP_1) | instid1(VALU_DEP_2)
	v_mbcnt_lo_u32_b32 v146, v61, 0
	v_cmp_ne_u32_e64 s15, 0, v61
	v_cmp_eq_u32_e32 vcc_lo, 0, v146
	s_and_b32 s16, s15, vcc_lo
	s_delay_alu instid0(SALU_CYCLE_1)
	s_and_saveexec_b32 s15, s16
	s_cbranch_execz .LBB1937_1014
; %bb.1013:                             ;   in Loop: Header=BB1937_974 Depth=2
	s_wait_dscnt 0x0
	v_bcnt_u32_b32 v61, v61, v145
	ds_store_b32 v147, v61 offset:1056
.LBB1937_1014:                          ;   in Loop: Header=BB1937_974 Depth=2
	s_or_b32 exec_lo, exec_lo, s15
	v_cmp_gt_i16_e64 vcc_lo, 0, v144
	; wave barrier
	s_delay_alu instid0(VALU_DEP_1) | instskip(NEXT) | instid1(VALU_DEP_1)
	v_cndmask_b32_e64 v61, 0x7fff, 0, vcc_lo
	v_xor_b32_e32 v144, v61, v144
	s_delay_alu instid0(VALU_DEP_1) | instskip(SKIP_1) | instid1(VALU_DEP_1)
	v_cmp_ne_u16_e64 vcc_lo, 0x8000, v144
	v_cndmask_b32_e32 v61, 0x7fff, v144, vcc_lo
	v_and_b32_e32 v61, 0xffff, v61
	s_delay_alu instid0(VALU_DEP_1) | instskip(NEXT) | instid1(VALU_DEP_1)
	v_lshrrev_b32_e32 v61, s49, v61
	v_bitop3_b32 v149, v61, 1, s52 bitop3:0x80
	v_and_b32_e32 v151, s52, v61
	s_delay_alu instid0(VALU_DEP_2) | instskip(NEXT) | instid1(VALU_DEP_1)
	v_add_co_u32 v61, s15, v149, -1
	v_cndmask_b32_e64 v149, 0, 1, s15
	s_delay_alu instid0(VALU_DEP_3) | instskip(NEXT) | instid1(VALU_DEP_2)
	v_dual_lshlrev_b32 v150, 30, v151 :: v_dual_lshlrev_b32 v153, 29, v151
	v_cmp_ne_u32_e32 vcc_lo, 0, v149
	s_delay_alu instid0(VALU_DEP_2) | instskip(SKIP_1) | instid1(VALU_DEP_4)
	v_cmp_gt_i32_e64 s15, 0, v150
	v_not_b32_e32 v149, v150
	v_not_b32_e32 v150, v153
	s_delay_alu instid0(VALU_DEP_1) | instskip(SKIP_3) | instid1(VALU_DEP_4)
	v_dual_ashrrev_i32 v150, 31, v150 :: v_dual_lshlrev_b32 v154, 28, v151
	v_dual_lshlrev_b32 v155, 27, v151 :: v_dual_lshlrev_b32 v157, 26, v151
	v_dual_lshlrev_b32 v158, 25, v151 :: v_dual_lshlrev_b32 v159, 24, v151
	v_cmp_gt_i32_e64 s16, 0, v153
	v_cmp_gt_i32_e64 s17, 0, v154
	v_not_b32_e32 v153, v154
	v_not_b32_e32 v154, v155
	v_ashrrev_i32_e32 v149, 31, v149
	v_cmp_gt_i32_e64 s18, 0, v155
	v_cmp_gt_i32_e64 s19, 0, v157
	v_not_b32_e32 v155, v157
	v_cmp_gt_i32_e64 s20, 0, v158
	v_not_b32_e32 v157, v158
	v_not_b32_e32 v158, v159
	s_delay_alu instid0(VALU_DEP_4) | instskip(SKIP_3) | instid1(VALU_DEP_3)
	v_dual_ashrrev_i32 v155, 31, v155 :: v_dual_bitop2_b32 v61, vcc_lo, v61 bitop3:0x14
	v_dual_ashrrev_i32 v153, 31, v153 :: v_dual_bitop2_b32 v150, s16, v150 bitop3:0x14
	v_dual_ashrrev_i32 v154, 31, v154 :: v_dual_bitop2_b32 v149, s15, v149 bitop3:0x14
	v_cmp_gt_i32_e64 s21, 0, v159
	v_xor_b32_e32 v153, s17, v153
	v_xor_b32_e32 v155, s19, v155
	s_delay_alu instid0(VALU_DEP_4) | instskip(SKIP_2) | instid1(VALU_DEP_2)
	v_xor_b32_e32 v154, s18, v154
	v_bitop3_b32 v61, v61, v149, exec_lo bitop3:0x80
	v_dual_ashrrev_i32 v149, 31, v157 :: v_dual_ashrrev_i32 v157, 31, v158
	v_bitop3_b32 v61, v61, v153, v150 bitop3:0x80
	v_mad_u32_u24 v150, v151, 36, v23
	s_delay_alu instid0(VALU_DEP_3) | instskip(NEXT) | instid1(VALU_DEP_4)
	v_xor_b32_e32 v153, s20, v149
	v_xor_b32_e32 v157, s21, v157
	v_mul_u32_u24_e32 v151, 36, v151
	v_bitop3_b32 v61, v61, v155, v154 bitop3:0x80
	ds_load_b32 v149, v150 offset:1056
	; wave barrier
	v_add_nc_u32_e32 v151, v23, v151
	v_bitop3_b32 v61, v61, v157, v153 bitop3:0x80
	s_delay_alu instid0(VALU_DEP_1) | instskip(SKIP_1) | instid1(VALU_DEP_2)
	v_mbcnt_lo_u32_b32 v150, v61, 0
	v_cmp_ne_u32_e64 s15, 0, v61
	v_cmp_eq_u32_e32 vcc_lo, 0, v150
	s_and_b32 s16, s15, vcc_lo
	s_delay_alu instid0(SALU_CYCLE_1)
	s_and_saveexec_b32 s15, s16
	s_cbranch_execz .LBB1937_1016
; %bb.1015:                             ;   in Loop: Header=BB1937_974 Depth=2
	s_wait_dscnt 0x0
	v_bcnt_u32_b32 v61, v61, v149
	ds_store_b32 v151, v61 offset:1056
.LBB1937_1016:                          ;   in Loop: Header=BB1937_974 Depth=2
	s_or_b32 exec_lo, exec_lo, s15
	v_cmp_gt_i16_e64 vcc_lo, 0, v148
	; wave barrier
	s_delay_alu instid0(VALU_DEP_1) | instskip(NEXT) | instid1(VALU_DEP_1)
	v_cndmask_b32_e64 v61, 0x7fff, 0, vcc_lo
	v_xor_b32_e32 v148, v61, v148
	s_delay_alu instid0(VALU_DEP_1) | instskip(SKIP_1) | instid1(VALU_DEP_1)
	v_cmp_ne_u16_e64 vcc_lo, 0x8000, v148
	v_cndmask_b32_e32 v61, 0x7fff, v148, vcc_lo
	v_and_b32_e32 v61, 0xffff, v61
	s_delay_alu instid0(VALU_DEP_1) | instskip(NEXT) | instid1(VALU_DEP_1)
	v_lshrrev_b32_e32 v61, s49, v61
	v_bitop3_b32 v153, v61, 1, s52 bitop3:0x80
	v_and_b32_e32 v155, s52, v61
	s_delay_alu instid0(VALU_DEP_2) | instskip(NEXT) | instid1(VALU_DEP_1)
	v_add_co_u32 v61, s15, v153, -1
	v_cndmask_b32_e64 v153, 0, 1, s15
	s_delay_alu instid0(VALU_DEP_3) | instskip(NEXT) | instid1(VALU_DEP_2)
	v_dual_lshlrev_b32 v154, 30, v155 :: v_dual_lshlrev_b32 v157, 29, v155
	v_cmp_ne_u32_e32 vcc_lo, 0, v153
	s_delay_alu instid0(VALU_DEP_2) | instskip(SKIP_1) | instid1(VALU_DEP_4)
	v_cmp_gt_i32_e64 s15, 0, v154
	v_not_b32_e32 v153, v154
	v_not_b32_e32 v154, v157
	s_delay_alu instid0(VALU_DEP_1) | instskip(SKIP_3) | instid1(VALU_DEP_4)
	v_dual_ashrrev_i32 v154, 31, v154 :: v_dual_lshlrev_b32 v158, 28, v155
	v_dual_lshlrev_b32 v159, 27, v155 :: v_dual_lshlrev_b32 v161, 26, v155
	v_dual_lshlrev_b32 v162, 25, v155 :: v_dual_lshlrev_b32 v163, 24, v155
	v_cmp_gt_i32_e64 s16, 0, v157
	v_cmp_gt_i32_e64 s17, 0, v158
	v_not_b32_e32 v157, v158
	v_not_b32_e32 v158, v159
	v_ashrrev_i32_e32 v153, 31, v153
	v_cmp_gt_i32_e64 s18, 0, v159
	v_cmp_gt_i32_e64 s19, 0, v161
	v_not_b32_e32 v159, v161
	v_cmp_gt_i32_e64 s20, 0, v162
	v_not_b32_e32 v161, v162
	v_not_b32_e32 v162, v163
	s_delay_alu instid0(VALU_DEP_4) | instskip(SKIP_3) | instid1(VALU_DEP_3)
	v_dual_ashrrev_i32 v159, 31, v159 :: v_dual_bitop2_b32 v61, vcc_lo, v61 bitop3:0x14
	v_dual_ashrrev_i32 v157, 31, v157 :: v_dual_bitop2_b32 v154, s16, v154 bitop3:0x14
	v_dual_ashrrev_i32 v158, 31, v158 :: v_dual_bitop2_b32 v153, s15, v153 bitop3:0x14
	v_cmp_gt_i32_e64 s21, 0, v163
	v_xor_b32_e32 v157, s17, v157
	v_xor_b32_e32 v159, s19, v159
	s_delay_alu instid0(VALU_DEP_4) | instskip(SKIP_2) | instid1(VALU_DEP_2)
	v_xor_b32_e32 v158, s18, v158
	v_bitop3_b32 v61, v61, v153, exec_lo bitop3:0x80
	v_dual_ashrrev_i32 v153, 31, v161 :: v_dual_ashrrev_i32 v161, 31, v162
	v_bitop3_b32 v61, v61, v157, v154 bitop3:0x80
	v_mad_u32_u24 v154, v155, 36, v23
	s_delay_alu instid0(VALU_DEP_3) | instskip(NEXT) | instid1(VALU_DEP_4)
	v_xor_b32_e32 v157, s20, v153
	v_xor_b32_e32 v161, s21, v161
	v_mul_u32_u24_e32 v155, 36, v155
	v_bitop3_b32 v61, v61, v159, v158 bitop3:0x80
	ds_load_b32 v153, v154 offset:1056
	; wave barrier
	v_add_nc_u32_e32 v155, v23, v155
	v_bitop3_b32 v61, v61, v161, v157 bitop3:0x80
	s_delay_alu instid0(VALU_DEP_1) | instskip(SKIP_1) | instid1(VALU_DEP_2)
	v_mbcnt_lo_u32_b32 v154, v61, 0
	v_cmp_ne_u32_e64 s15, 0, v61
	v_cmp_eq_u32_e32 vcc_lo, 0, v154
	s_and_b32 s16, s15, vcc_lo
	s_delay_alu instid0(SALU_CYCLE_1)
	s_and_saveexec_b32 s15, s16
	s_cbranch_execz .LBB1937_1018
; %bb.1017:                             ;   in Loop: Header=BB1937_974 Depth=2
	s_wait_dscnt 0x0
	v_bcnt_u32_b32 v61, v61, v153
	ds_store_b32 v155, v61 offset:1056
.LBB1937_1018:                          ;   in Loop: Header=BB1937_974 Depth=2
	s_or_b32 exec_lo, exec_lo, s15
	v_cmp_gt_i16_e64 vcc_lo, 0, v152
	; wave barrier
	s_delay_alu instid0(VALU_DEP_1) | instskip(NEXT) | instid1(VALU_DEP_1)
	v_cndmask_b32_e64 v61, 0x7fff, 0, vcc_lo
	v_xor_b32_e32 v152, v61, v152
	s_delay_alu instid0(VALU_DEP_1) | instskip(SKIP_1) | instid1(VALU_DEP_1)
	v_cmp_ne_u16_e64 vcc_lo, 0x8000, v152
	v_cndmask_b32_e32 v61, 0x7fff, v152, vcc_lo
	v_and_b32_e32 v61, 0xffff, v61
	s_delay_alu instid0(VALU_DEP_1) | instskip(NEXT) | instid1(VALU_DEP_1)
	v_lshrrev_b32_e32 v61, s49, v61
	v_bitop3_b32 v157, v61, 1, s52 bitop3:0x80
	v_and_b32_e32 v159, s52, v61
	s_delay_alu instid0(VALU_DEP_2) | instskip(NEXT) | instid1(VALU_DEP_1)
	v_add_co_u32 v61, s15, v157, -1
	v_cndmask_b32_e64 v157, 0, 1, s15
	s_delay_alu instid0(VALU_DEP_3) | instskip(NEXT) | instid1(VALU_DEP_2)
	v_dual_lshlrev_b32 v158, 30, v159 :: v_dual_lshlrev_b32 v161, 29, v159
	v_cmp_ne_u32_e32 vcc_lo, 0, v157
	s_delay_alu instid0(VALU_DEP_2) | instskip(SKIP_1) | instid1(VALU_DEP_4)
	v_cmp_gt_i32_e64 s15, 0, v158
	v_not_b32_e32 v157, v158
	v_not_b32_e32 v158, v161
	s_delay_alu instid0(VALU_DEP_1) | instskip(SKIP_3) | instid1(VALU_DEP_4)
	v_dual_ashrrev_i32 v158, 31, v158 :: v_dual_lshlrev_b32 v162, 28, v159
	v_dual_lshlrev_b32 v163, 27, v159 :: v_dual_lshlrev_b32 v165, 26, v159
	v_dual_lshlrev_b32 v166, 25, v159 :: v_dual_lshlrev_b32 v167, 24, v159
	v_cmp_gt_i32_e64 s16, 0, v161
	v_cmp_gt_i32_e64 s17, 0, v162
	v_not_b32_e32 v161, v162
	v_not_b32_e32 v162, v163
	v_ashrrev_i32_e32 v157, 31, v157
	v_cmp_gt_i32_e64 s18, 0, v163
	v_cmp_gt_i32_e64 s19, 0, v165
	v_not_b32_e32 v163, v165
	v_cmp_gt_i32_e64 s20, 0, v166
	v_not_b32_e32 v165, v166
	v_not_b32_e32 v166, v167
	s_delay_alu instid0(VALU_DEP_4) | instskip(SKIP_3) | instid1(VALU_DEP_3)
	v_dual_ashrrev_i32 v163, 31, v163 :: v_dual_bitop2_b32 v61, vcc_lo, v61 bitop3:0x14
	v_dual_ashrrev_i32 v161, 31, v161 :: v_dual_bitop2_b32 v158, s16, v158 bitop3:0x14
	v_dual_ashrrev_i32 v162, 31, v162 :: v_dual_bitop2_b32 v157, s15, v157 bitop3:0x14
	v_cmp_gt_i32_e64 s21, 0, v167
	v_xor_b32_e32 v161, s17, v161
	v_xor_b32_e32 v163, s19, v163
	s_delay_alu instid0(VALU_DEP_4) | instskip(SKIP_2) | instid1(VALU_DEP_2)
	v_xor_b32_e32 v162, s18, v162
	v_bitop3_b32 v61, v61, v157, exec_lo bitop3:0x80
	v_dual_ashrrev_i32 v157, 31, v165 :: v_dual_ashrrev_i32 v165, 31, v166
	v_bitop3_b32 v61, v61, v161, v158 bitop3:0x80
	v_mad_u32_u24 v158, v159, 36, v23
	s_delay_alu instid0(VALU_DEP_3) | instskip(NEXT) | instid1(VALU_DEP_4)
	v_xor_b32_e32 v161, s20, v157
	v_xor_b32_e32 v165, s21, v165
	v_mul_u32_u24_e32 v159, 36, v159
	v_bitop3_b32 v61, v61, v163, v162 bitop3:0x80
	ds_load_b32 v157, v158 offset:1056
	; wave barrier
	v_add_nc_u32_e32 v159, v23, v159
	v_bitop3_b32 v61, v61, v165, v161 bitop3:0x80
	s_delay_alu instid0(VALU_DEP_1) | instskip(SKIP_1) | instid1(VALU_DEP_2)
	v_mbcnt_lo_u32_b32 v158, v61, 0
	v_cmp_ne_u32_e64 s15, 0, v61
	v_cmp_eq_u32_e32 vcc_lo, 0, v158
	s_and_b32 s16, s15, vcc_lo
	s_delay_alu instid0(SALU_CYCLE_1)
	s_and_saveexec_b32 s15, s16
	s_cbranch_execz .LBB1937_1020
; %bb.1019:                             ;   in Loop: Header=BB1937_974 Depth=2
	s_wait_dscnt 0x0
	v_bcnt_u32_b32 v61, v61, v157
	ds_store_b32 v159, v61 offset:1056
.LBB1937_1020:                          ;   in Loop: Header=BB1937_974 Depth=2
	s_or_b32 exec_lo, exec_lo, s15
	v_cmp_gt_i16_e64 vcc_lo, 0, v156
	; wave barrier
	s_delay_alu instid0(VALU_DEP_1) | instskip(NEXT) | instid1(VALU_DEP_1)
	v_cndmask_b32_e64 v61, 0x7fff, 0, vcc_lo
	v_xor_b32_e32 v156, v61, v156
	s_delay_alu instid0(VALU_DEP_1) | instskip(SKIP_1) | instid1(VALU_DEP_1)
	v_cmp_ne_u16_e64 vcc_lo, 0x8000, v156
	v_cndmask_b32_e32 v61, 0x7fff, v156, vcc_lo
	v_and_b32_e32 v61, 0xffff, v61
	s_delay_alu instid0(VALU_DEP_1) | instskip(NEXT) | instid1(VALU_DEP_1)
	v_lshrrev_b32_e32 v61, s49, v61
	v_bitop3_b32 v161, v61, 1, s52 bitop3:0x80
	v_and_b32_e32 v163, s52, v61
	s_delay_alu instid0(VALU_DEP_2) | instskip(NEXT) | instid1(VALU_DEP_1)
	v_add_co_u32 v61, s15, v161, -1
	v_cndmask_b32_e64 v161, 0, 1, s15
	s_delay_alu instid0(VALU_DEP_3) | instskip(NEXT) | instid1(VALU_DEP_2)
	v_dual_lshlrev_b32 v162, 30, v163 :: v_dual_lshlrev_b32 v165, 29, v163
	v_cmp_ne_u32_e32 vcc_lo, 0, v161
	s_delay_alu instid0(VALU_DEP_2) | instskip(SKIP_1) | instid1(VALU_DEP_4)
	v_cmp_gt_i32_e64 s15, 0, v162
	v_not_b32_e32 v161, v162
	v_not_b32_e32 v162, v165
	s_delay_alu instid0(VALU_DEP_1) | instskip(SKIP_3) | instid1(VALU_DEP_4)
	v_dual_ashrrev_i32 v162, 31, v162 :: v_dual_lshlrev_b32 v166, 28, v163
	v_dual_lshlrev_b32 v167, 27, v163 :: v_dual_lshlrev_b32 v169, 26, v163
	v_dual_lshlrev_b32 v170, 25, v163 :: v_dual_lshlrev_b32 v171, 24, v163
	v_cmp_gt_i32_e64 s16, 0, v165
	v_cmp_gt_i32_e64 s17, 0, v166
	v_not_b32_e32 v165, v166
	v_not_b32_e32 v166, v167
	v_ashrrev_i32_e32 v161, 31, v161
	v_cmp_gt_i32_e64 s18, 0, v167
	v_cmp_gt_i32_e64 s19, 0, v169
	v_not_b32_e32 v167, v169
	v_cmp_gt_i32_e64 s20, 0, v170
	v_not_b32_e32 v169, v170
	v_not_b32_e32 v170, v171
	s_delay_alu instid0(VALU_DEP_4) | instskip(SKIP_3) | instid1(VALU_DEP_3)
	v_dual_ashrrev_i32 v167, 31, v167 :: v_dual_bitop2_b32 v61, vcc_lo, v61 bitop3:0x14
	v_dual_ashrrev_i32 v165, 31, v165 :: v_dual_bitop2_b32 v162, s16, v162 bitop3:0x14
	v_dual_ashrrev_i32 v166, 31, v166 :: v_dual_bitop2_b32 v161, s15, v161 bitop3:0x14
	v_cmp_gt_i32_e64 s21, 0, v171
	v_xor_b32_e32 v165, s17, v165
	v_xor_b32_e32 v167, s19, v167
	s_delay_alu instid0(VALU_DEP_4) | instskip(SKIP_2) | instid1(VALU_DEP_2)
	v_xor_b32_e32 v166, s18, v166
	v_bitop3_b32 v61, v61, v161, exec_lo bitop3:0x80
	v_dual_ashrrev_i32 v161, 31, v169 :: v_dual_ashrrev_i32 v169, 31, v170
	v_bitop3_b32 v61, v61, v165, v162 bitop3:0x80
	v_mad_u32_u24 v162, v163, 36, v23
	s_delay_alu instid0(VALU_DEP_3) | instskip(NEXT) | instid1(VALU_DEP_4)
	v_xor_b32_e32 v165, s20, v161
	v_xor_b32_e32 v169, s21, v169
	v_mul_u32_u24_e32 v163, 36, v163
	v_bitop3_b32 v61, v61, v167, v166 bitop3:0x80
	ds_load_b32 v161, v162 offset:1056
	; wave barrier
	v_add_nc_u32_e32 v163, v23, v163
	v_bitop3_b32 v61, v61, v169, v165 bitop3:0x80
	s_delay_alu instid0(VALU_DEP_1) | instskip(SKIP_1) | instid1(VALU_DEP_2)
	v_mbcnt_lo_u32_b32 v162, v61, 0
	v_cmp_ne_u32_e64 s15, 0, v61
	v_cmp_eq_u32_e32 vcc_lo, 0, v162
	s_and_b32 s16, s15, vcc_lo
	s_delay_alu instid0(SALU_CYCLE_1)
	s_and_saveexec_b32 s15, s16
	s_cbranch_execz .LBB1937_1022
; %bb.1021:                             ;   in Loop: Header=BB1937_974 Depth=2
	s_wait_dscnt 0x0
	v_bcnt_u32_b32 v61, v61, v161
	ds_store_b32 v163, v61 offset:1056
.LBB1937_1022:                          ;   in Loop: Header=BB1937_974 Depth=2
	s_or_b32 exec_lo, exec_lo, s15
	v_cmp_gt_i16_e64 vcc_lo, 0, v160
	; wave barrier
	s_delay_alu instid0(VALU_DEP_1) | instskip(NEXT) | instid1(VALU_DEP_1)
	v_cndmask_b32_e64 v61, 0x7fff, 0, vcc_lo
	v_xor_b32_e32 v160, v61, v160
	s_delay_alu instid0(VALU_DEP_1) | instskip(SKIP_1) | instid1(VALU_DEP_1)
	v_cmp_ne_u16_e64 vcc_lo, 0x8000, v160
	v_cndmask_b32_e32 v61, 0x7fff, v160, vcc_lo
	v_and_b32_e32 v61, 0xffff, v61
	s_delay_alu instid0(VALU_DEP_1) | instskip(NEXT) | instid1(VALU_DEP_1)
	v_lshrrev_b32_e32 v61, s49, v61
	v_bitop3_b32 v165, v61, 1, s52 bitop3:0x80
	v_and_b32_e32 v167, s52, v61
	s_delay_alu instid0(VALU_DEP_2) | instskip(NEXT) | instid1(VALU_DEP_1)
	v_add_co_u32 v61, s15, v165, -1
	v_cndmask_b32_e64 v165, 0, 1, s15
	s_delay_alu instid0(VALU_DEP_3) | instskip(NEXT) | instid1(VALU_DEP_2)
	v_dual_lshlrev_b32 v166, 30, v167 :: v_dual_lshlrev_b32 v169, 29, v167
	v_cmp_ne_u32_e32 vcc_lo, 0, v165
	s_delay_alu instid0(VALU_DEP_2) | instskip(SKIP_1) | instid1(VALU_DEP_4)
	v_cmp_gt_i32_e64 s15, 0, v166
	v_not_b32_e32 v165, v166
	v_not_b32_e32 v166, v169
	s_delay_alu instid0(VALU_DEP_1) | instskip(SKIP_3) | instid1(VALU_DEP_4)
	v_dual_ashrrev_i32 v166, 31, v166 :: v_dual_lshlrev_b32 v170, 28, v167
	v_dual_lshlrev_b32 v171, 27, v167 :: v_dual_lshlrev_b32 v172, 26, v167
	v_cmp_gt_i32_e64 s16, 0, v169
	v_dual_lshlrev_b32 v173, 25, v167 :: v_dual_lshlrev_b32 v174, 24, v167
	v_cmp_gt_i32_e64 s17, 0, v170
	v_not_b32_e32 v169, v170
	v_not_b32_e32 v170, v171
	v_ashrrev_i32_e32 v165, 31, v165
	v_cmp_gt_i32_e64 s18, 0, v171
	v_not_b32_e32 v171, v172
	v_xor_b32_e32 v61, vcc_lo, v61
	v_dual_ashrrev_i32 v169, 31, v169 :: v_dual_bitop2_b32 v166, s16, v166 bitop3:0x14
	v_dual_ashrrev_i32 v170, 31, v170 :: v_dual_bitop2_b32 v165, s15, v165 bitop3:0x14
	v_cmp_gt_i32_e64 s19, 0, v172
	v_cmp_gt_i32_e64 s20, 0, v173
	v_not_b32_e32 v172, v173
	v_not_b32_e32 v173, v174
	v_dual_ashrrev_i32 v171, 31, v171 :: v_dual_bitop2_b32 v169, s17, v169 bitop3:0x14
	v_bitop3_b32 v61, v61, v165, exec_lo bitop3:0x80
	v_cmp_gt_i32_e64 s21, 0, v174
	s_delay_alu instid0(VALU_DEP_4)
	v_dual_ashrrev_i32 v165, 31, v172 :: v_dual_ashrrev_i32 v172, 31, v173
	v_xor_b32_e32 v170, s18, v170
	v_xor_b32_e32 v171, s19, v171
	v_bitop3_b32 v61, v61, v169, v166 bitop3:0x80
	v_mad_u32_u24 v166, v167, 36, v23
	v_xor_b32_e32 v169, s20, v165
	v_xor_b32_e32 v172, s21, v172
	v_mul_u32_u24_e32 v167, 36, v167
	v_bitop3_b32 v61, v61, v171, v170 bitop3:0x80
	ds_load_b32 v165, v166 offset:1056
	; wave barrier
	v_add_nc_u32_e32 v167, v23, v167
	v_bitop3_b32 v61, v61, v172, v169 bitop3:0x80
	s_delay_alu instid0(VALU_DEP_1) | instskip(SKIP_1) | instid1(VALU_DEP_2)
	v_mbcnt_lo_u32_b32 v166, v61, 0
	v_cmp_ne_u32_e64 s15, 0, v61
	v_cmp_eq_u32_e32 vcc_lo, 0, v166
	s_and_b32 s16, s15, vcc_lo
	s_delay_alu instid0(SALU_CYCLE_1)
	s_and_saveexec_b32 s15, s16
	s_cbranch_execz .LBB1937_1024
; %bb.1023:                             ;   in Loop: Header=BB1937_974 Depth=2
	s_wait_dscnt 0x0
	v_bcnt_u32_b32 v61, v61, v165
	ds_store_b32 v167, v61 offset:1056
.LBB1937_1024:                          ;   in Loop: Header=BB1937_974 Depth=2
	s_or_b32 exec_lo, exec_lo, s15
	v_cmp_gt_i16_e64 vcc_lo, 0, v164
	; wave barrier
	s_delay_alu instid0(VALU_DEP_1) | instskip(NEXT) | instid1(VALU_DEP_1)
	v_cndmask_b32_e64 v61, 0x7fff, 0, vcc_lo
	v_xor_b32_e32 v164, v61, v164
	s_delay_alu instid0(VALU_DEP_1) | instskip(SKIP_1) | instid1(VALU_DEP_1)
	v_cmp_ne_u16_e64 vcc_lo, 0x8000, v164
	v_cndmask_b32_e32 v61, 0x7fff, v164, vcc_lo
	v_and_b32_e32 v61, 0xffff, v61
	s_delay_alu instid0(VALU_DEP_1) | instskip(NEXT) | instid1(VALU_DEP_1)
	v_lshrrev_b32_e32 v61, s49, v61
	v_bitop3_b32 v169, v61, 1, s52 bitop3:0x80
	v_and_b32_e32 v171, s52, v61
	s_delay_alu instid0(VALU_DEP_2) | instskip(NEXT) | instid1(VALU_DEP_1)
	v_add_co_u32 v61, s15, v169, -1
	v_cndmask_b32_e64 v169, 0, 1, s15
	s_delay_alu instid0(VALU_DEP_3) | instskip(NEXT) | instid1(VALU_DEP_2)
	v_dual_lshlrev_b32 v170, 30, v171 :: v_dual_lshlrev_b32 v172, 29, v171
	v_cmp_ne_u32_e32 vcc_lo, 0, v169
	s_delay_alu instid0(VALU_DEP_2) | instskip(SKIP_1) | instid1(VALU_DEP_4)
	v_cmp_gt_i32_e64 s15, 0, v170
	v_not_b32_e32 v169, v170
	v_not_b32_e32 v170, v172
	s_delay_alu instid0(VALU_DEP_1) | instskip(SKIP_3) | instid1(VALU_DEP_4)
	v_dual_ashrrev_i32 v170, 31, v170 :: v_dual_lshlrev_b32 v173, 28, v171
	v_dual_lshlrev_b32 v174, 27, v171 :: v_dual_lshlrev_b32 v175, 26, v171
	v_dual_lshlrev_b32 v176, 25, v171 :: v_dual_lshlrev_b32 v177, 24, v171
	v_cmp_gt_i32_e64 s16, 0, v172
	v_not_b32_e32 v172, v173
	v_ashrrev_i32_e32 v169, 31, v169
	v_cmp_gt_i32_e64 s17, 0, v173
	v_cmp_gt_i32_e64 s18, 0, v174
	v_not_b32_e32 v173, v174
	v_cmp_gt_i32_e64 s19, 0, v175
	v_not_b32_e32 v174, v175
	v_cmp_gt_i32_e64 s20, 0, v176
	v_not_b32_e32 v175, v176
	v_not_b32_e32 v176, v177
	s_delay_alu instid0(VALU_DEP_4) | instskip(SKIP_3) | instid1(VALU_DEP_3)
	v_dual_ashrrev_i32 v174, 31, v174 :: v_dual_bitop2_b32 v61, vcc_lo, v61 bitop3:0x14
	v_dual_ashrrev_i32 v172, 31, v172 :: v_dual_bitop2_b32 v169, s15, v169 bitop3:0x14
	v_dual_ashrrev_i32 v173, 31, v173 :: v_dual_bitop2_b32 v170, s16, v170 bitop3:0x14
	v_cmp_gt_i32_e64 s21, 0, v177
	v_xor_b32_e32 v172, s17, v172
	s_delay_alu instid0(VALU_DEP_4) | instskip(SKIP_2) | instid1(VALU_DEP_3)
	v_bitop3_b32 v61, v61, v169, exec_lo bitop3:0x80
	v_dual_ashrrev_i32 v169, 31, v175 :: v_dual_ashrrev_i32 v175, 31, v176
	v_xor_b32_e32 v174, s19, v174
	v_bitop3_b32 v61, v61, v172, v170 bitop3:0x80
	v_mad_u32_u24 v170, v171, 36, v23
	v_mul_u32_u24_e32 v171, 36, v171
	v_xor_b32_e32 v173, s18, v173
	v_xor_b32_e32 v172, s20, v169
	v_xor_b32_e32 v175, s21, v175
	ds_load_b32 v169, v170 offset:1056
	v_add_nc_u32_e32 v171, v23, v171
	v_bitop3_b32 v61, v61, v174, v173 bitop3:0x80
	; wave barrier
	s_delay_alu instid0(VALU_DEP_1) | instskip(NEXT) | instid1(VALU_DEP_1)
	v_bitop3_b32 v61, v61, v175, v172 bitop3:0x80
	v_mbcnt_lo_u32_b32 v170, v61, 0
	v_cmp_ne_u32_e64 s15, 0, v61
	s_delay_alu instid0(VALU_DEP_2) | instskip(SKIP_1) | instid1(SALU_CYCLE_1)
	v_cmp_eq_u32_e32 vcc_lo, 0, v170
	s_and_b32 s16, s15, vcc_lo
	s_and_saveexec_b32 s15, s16
	s_cbranch_execz .LBB1937_1026
; %bb.1025:                             ;   in Loop: Header=BB1937_974 Depth=2
	s_wait_dscnt 0x0
	v_bcnt_u32_b32 v61, v61, v169
	ds_store_b32 v171, v61 offset:1056
.LBB1937_1026:                          ;   in Loop: Header=BB1937_974 Depth=2
	s_or_b32 exec_lo, exec_lo, s15
	v_cmp_gt_i16_e64 vcc_lo, 0, v168
	; wave barrier
	s_delay_alu instid0(VALU_DEP_1) | instskip(NEXT) | instid1(VALU_DEP_1)
	v_cndmask_b32_e64 v61, 0x7fff, 0, vcc_lo
	v_xor_b32_e32 v168, v61, v168
	s_delay_alu instid0(VALU_DEP_1) | instskip(SKIP_1) | instid1(VALU_DEP_1)
	v_cmp_ne_u16_e64 vcc_lo, 0x8000, v168
	v_cndmask_b32_e32 v61, 0x7fff, v168, vcc_lo
	v_and_b32_e32 v61, 0xffff, v61
	s_delay_alu instid0(VALU_DEP_1) | instskip(NEXT) | instid1(VALU_DEP_1)
	v_lshrrev_b32_e32 v61, s49, v61
	v_bitop3_b32 v172, v61, 1, s52 bitop3:0x80
	v_and_b32_e32 v175, s52, v61
	s_delay_alu instid0(VALU_DEP_2) | instskip(NEXT) | instid1(VALU_DEP_1)
	v_add_co_u32 v61, s15, v172, -1
	v_cndmask_b32_e64 v172, 0, 1, s15
	s_delay_alu instid0(VALU_DEP_3) | instskip(NEXT) | instid1(VALU_DEP_2)
	v_lshlrev_b32_e32 v173, 30, v175
	v_cmp_ne_u32_e32 vcc_lo, 0, v172
	s_delay_alu instid0(VALU_DEP_2) | instskip(NEXT) | instid1(VALU_DEP_1)
	v_not_b32_e32 v172, v173
	v_dual_ashrrev_i32 v172, 31, v172 :: v_dual_lshlrev_b32 v174, 29, v175
	v_dual_lshlrev_b32 v176, 28, v175 :: v_dual_lshlrev_b32 v177, 27, v175
	v_lshlrev_b32_e32 v178, 26, v175
	v_cmp_gt_i32_e64 s15, 0, v173
	s_delay_alu instid0(VALU_DEP_4)
	v_cmp_gt_i32_e64 s16, 0, v174
	v_not_b32_e32 v173, v174
	v_not_b32_e32 v174, v176
	v_dual_lshlrev_b32 v179, 25, v175 :: v_dual_lshlrev_b32 v180, 24, v175
	v_cmp_gt_i32_e64 s17, 0, v176
	v_cmp_gt_i32_e64 s18, 0, v177
	v_not_b32_e32 v176, v177
	v_not_b32_e32 v177, v178
	v_dual_ashrrev_i32 v174, 31, v174 :: v_dual_bitop2_b32 v61, vcc_lo, v61 bitop3:0x14
	v_dual_ashrrev_i32 v173, 31, v173 :: v_dual_bitop2_b32 v172, s15, v172 bitop3:0x14
	v_cmp_gt_i32_e64 s19, 0, v178
	v_cmp_gt_i32_e64 s20, 0, v179
	v_not_b32_e32 v178, v179
	v_not_b32_e32 v179, v180
	v_dual_ashrrev_i32 v176, 31, v176 :: v_dual_ashrrev_i32 v177, 31, v177
	v_xor_b32_e32 v173, s16, v173
	v_xor_b32_e32 v174, s17, v174
	v_bitop3_b32 v61, v61, v172, exec_lo bitop3:0x80
	v_cmp_gt_i32_e64 s21, 0, v180
	v_dual_ashrrev_i32 v172, 31, v178 :: v_dual_ashrrev_i32 v178, 31, v179
	v_xor_b32_e32 v176, s18, v176
	v_xor_b32_e32 v177, s19, v177
	v_bitop3_b32 v61, v61, v174, v173 bitop3:0x80
	v_mad_u32_u24 v173, v175, 36, v23
	v_xor_b32_e32 v172, s20, v172
	v_xor_b32_e32 v174, s21, v178
	s_delay_alu instid0(VALU_DEP_4) | instskip(SKIP_3) | instid1(VALU_DEP_2)
	v_bitop3_b32 v61, v61, v177, v176 bitop3:0x80
	ds_load_b32 v173, v173 offset:1056
	; wave barrier
	v_bitop3_b32 v61, v61, v174, v172 bitop3:0x80
	v_mul_u32_u24_e32 v172, 36, v175
	v_mbcnt_lo_u32_b32 v174, v61, 0
	v_cmp_ne_u32_e64 s15, 0, v61
	s_delay_alu instid0(VALU_DEP_3) | instskip(NEXT) | instid1(VALU_DEP_3)
	v_add_nc_u32_e32 v175, v23, v172
	v_cmp_eq_u32_e32 vcc_lo, 0, v174
	s_and_b32 s16, s15, vcc_lo
	s_delay_alu instid0(SALU_CYCLE_1)
	s_and_saveexec_b32 s15, s16
	s_cbranch_execz .LBB1937_1028
; %bb.1027:                             ;   in Loop: Header=BB1937_974 Depth=2
	s_wait_dscnt 0x0
	v_bcnt_u32_b32 v61, v61, v173
	ds_store_b32 v175, v61 offset:1056
.LBB1937_1028:                          ;   in Loop: Header=BB1937_974 Depth=2
	s_or_b32 exec_lo, exec_lo, s15
	v_cmp_gt_i16_e32 vcc_lo, 0, v67
	; wave barrier
	v_cndmask_b32_e64 v61, 0x7fff, 0, vcc_lo
	s_delay_alu instid0(VALU_DEP_1) | instskip(NEXT) | instid1(VALU_DEP_1)
	v_xor_b32_e32 v172, v61, v67
	v_cmp_ne_u16_e64 vcc_lo, 0x8000, v172
	v_cndmask_b32_e32 v61, 0x7fff, v172, vcc_lo
	s_delay_alu instid0(VALU_DEP_1) | instskip(NEXT) | instid1(VALU_DEP_1)
	v_and_b32_e32 v61, 0xffff, v61
	v_lshrrev_b32_e32 v61, s49, v61
	s_delay_alu instid0(VALU_DEP_1) | instskip(SKIP_1) | instid1(VALU_DEP_2)
	v_bitop3_b32 v67, v61, 1, s52 bitop3:0x80
	v_and_b32_e32 v176, s52, v61
	v_add_co_u32 v61, s15, v67, -1
	s_delay_alu instid0(VALU_DEP_1) | instskip(NEXT) | instid1(VALU_DEP_3)
	v_cndmask_b32_e64 v67, 0, 1, s15
	v_lshlrev_b32_e32 v177, 30, v176
	s_delay_alu instid0(VALU_DEP_2) | instskip(NEXT) | instid1(VALU_DEP_2)
	v_cmp_ne_u32_e32 vcc_lo, 0, v67
	v_not_b32_e32 v67, v177
	s_delay_alu instid0(VALU_DEP_1) | instskip(SKIP_4) | instid1(VALU_DEP_4)
	v_dual_ashrrev_i32 v67, 31, v67 :: v_dual_bitop2_b32 v61, vcc_lo, v61 bitop3:0x14
	v_dual_lshlrev_b32 v178, 29, v176 :: v_dual_lshlrev_b32 v179, 28, v176
	v_dual_lshlrev_b32 v180, 27, v176 :: v_dual_lshlrev_b32 v181, 26, v176
	v_lshlrev_b32_e32 v182, 25, v176
	v_cmp_gt_i32_e64 s15, 0, v177
	v_cmp_gt_i32_e64 s16, 0, v178
	v_not_b32_e32 v177, v178
	v_not_b32_e32 v178, v179
	v_lshlrev_b32_e32 v183, 24, v176
	v_cmp_gt_i32_e64 s17, 0, v179
	v_cmp_gt_i32_e64 s18, 0, v180
	v_not_b32_e32 v179, v180
	v_not_b32_e32 v180, v181
	v_dual_ashrrev_i32 v177, 31, v177 :: v_dual_bitop2_b32 v67, s15, v67 bitop3:0x14
	v_ashrrev_i32_e32 v178, 31, v178
	v_cmp_gt_i32_e64 s19, 0, v181
	v_cmp_gt_i32_e64 s20, 0, v182
	v_not_b32_e32 v181, v182
	v_not_b32_e32 v182, v183
	v_dual_ashrrev_i32 v179, 31, v179 :: v_dual_ashrrev_i32 v180, 31, v180
	v_xor_b32_e32 v177, s16, v177
	v_xor_b32_e32 v178, s17, v178
	v_bitop3_b32 v61, v61, v67, exec_lo bitop3:0x80
	v_cmp_gt_i32_e64 s21, 0, v183
	v_dual_ashrrev_i32 v67, 31, v181 :: v_dual_ashrrev_i32 v181, 31, v182
	v_xor_b32_e32 v179, s18, v179
	v_xor_b32_e32 v180, s19, v180
	v_bitop3_b32 v61, v61, v178, v177 bitop3:0x80
	v_mad_u32_u24 v177, v176, 36, v23
	v_xor_b32_e32 v67, s20, v67
	v_xor_b32_e32 v178, s21, v181
	s_delay_alu instid0(VALU_DEP_4) | instskip(SKIP_3) | instid1(VALU_DEP_2)
	v_bitop3_b32 v61, v61, v180, v179 bitop3:0x80
	ds_load_b32 v177, v177 offset:1056
	; wave barrier
	v_bitop3_b32 v61, v61, v178, v67 bitop3:0x80
	v_mul_u32_u24_e32 v67, 36, v176
	v_mbcnt_lo_u32_b32 v178, v61, 0
	v_cmp_ne_u32_e64 s15, 0, v61
	s_delay_alu instid0(VALU_DEP_3) | instskip(NEXT) | instid1(VALU_DEP_3)
	v_add_nc_u32_e32 v179, v23, v67
	v_cmp_eq_u32_e32 vcc_lo, 0, v178
	s_and_b32 s16, s15, vcc_lo
	s_delay_alu instid0(SALU_CYCLE_1)
	s_and_saveexec_b32 s15, s16
	s_cbranch_execz .LBB1937_1030
; %bb.1029:                             ;   in Loop: Header=BB1937_974 Depth=2
	s_wait_dscnt 0x0
	v_bcnt_u32_b32 v61, v61, v177
	ds_store_b32 v179, v61 offset:1056
.LBB1937_1030:                          ;   in Loop: Header=BB1937_974 Depth=2
	s_or_b32 exec_lo, exec_lo, s15
	v_cmp_gt_i16_e32 vcc_lo, 0, v66
	; wave barrier
	v_cndmask_b32_e64 v61, 0x7fff, 0, vcc_lo
	s_delay_alu instid0(VALU_DEP_1) | instskip(NEXT) | instid1(VALU_DEP_1)
	v_xor_b32_e32 v176, v61, v66
	v_cmp_ne_u16_e64 vcc_lo, 0x8000, v176
	v_cndmask_b32_e32 v61, 0x7fff, v176, vcc_lo
	s_delay_alu instid0(VALU_DEP_1) | instskip(NEXT) | instid1(VALU_DEP_1)
	v_and_b32_e32 v61, 0xffff, v61
	v_lshrrev_b32_e32 v61, s49, v61
	s_delay_alu instid0(VALU_DEP_1) | instskip(SKIP_1) | instid1(VALU_DEP_2)
	v_bitop3_b32 v66, v61, 1, s52 bitop3:0x80
	v_and_b32_e32 v67, s52, v61
	v_add_co_u32 v61, s15, v66, -1
	s_delay_alu instid0(VALU_DEP_1) | instskip(NEXT) | instid1(VALU_DEP_3)
	v_cndmask_b32_e64 v66, 0, 1, s15
	v_lshlrev_b32_e32 v180, 30, v67
	s_delay_alu instid0(VALU_DEP_2) | instskip(NEXT) | instid1(VALU_DEP_2)
	v_cmp_ne_u32_e32 vcc_lo, 0, v66
	v_not_b32_e32 v66, v180
	v_cmp_gt_i32_e64 s15, 0, v180
	s_delay_alu instid0(VALU_DEP_2) | instskip(SKIP_3) | instid1(VALU_DEP_4)
	v_dual_ashrrev_i32 v66, 31, v66 :: v_dual_lshlrev_b32 v181, 29, v67
	v_dual_lshlrev_b32 v182, 28, v67 :: v_dual_lshlrev_b32 v183, 27, v67
	v_dual_lshlrev_b32 v184, 26, v67 :: v_dual_lshlrev_b32 v185, 25, v67
	v_lshlrev_b32_e32 v186, 24, v67
	v_cmp_gt_i32_e64 s16, 0, v181
	v_not_b32_e32 v180, v181
	v_not_b32_e32 v181, v182
	v_cmp_gt_i32_e64 s17, 0, v182
	v_cmp_gt_i32_e64 s18, 0, v183
	v_not_b32_e32 v182, v183
	v_not_b32_e32 v183, v184
	v_dual_ashrrev_i32 v180, 31, v180 :: v_dual_bitop2_b32 v61, vcc_lo, v61 bitop3:0x14
	v_dual_ashrrev_i32 v181, 31, v181 :: v_dual_bitop2_b32 v66, s15, v66 bitop3:0x14
	v_cmp_gt_i32_e64 s19, 0, v184
	v_cmp_gt_i32_e64 s20, 0, v185
	v_not_b32_e32 v184, v185
	v_not_b32_e32 v185, v186
	v_dual_ashrrev_i32 v182, 31, v182 :: v_dual_ashrrev_i32 v183, 31, v183
	v_xor_b32_e32 v180, s16, v180
	v_xor_b32_e32 v181, s17, v181
	v_bitop3_b32 v61, v61, v66, exec_lo bitop3:0x80
	v_cmp_gt_i32_e64 s21, 0, v186
	v_dual_ashrrev_i32 v66, 31, v184 :: v_dual_ashrrev_i32 v184, 31, v185
	v_xor_b32_e32 v182, s18, v182
	v_xor_b32_e32 v183, s19, v183
	v_bitop3_b32 v61, v61, v181, v180 bitop3:0x80
	v_mad_u32_u24 v180, v67, 36, v23
	v_xor_b32_e32 v66, s20, v66
	v_xor_b32_e32 v184, s21, v184
	s_delay_alu instid0(VALU_DEP_4) | instskip(SKIP_3) | instid1(VALU_DEP_2)
	v_bitop3_b32 v61, v61, v183, v182 bitop3:0x80
	ds_load_b32 v181, v180 offset:1056
	; wave barrier
	v_bitop3_b32 v61, v61, v184, v66 bitop3:0x80
	v_mul_u32_u24_e32 v66, 36, v67
	v_mbcnt_lo_u32_b32 v182, v61, 0
	v_cmp_ne_u32_e64 s15, 0, v61
	s_delay_alu instid0(VALU_DEP_3) | instskip(NEXT) | instid1(VALU_DEP_3)
	v_add_nc_u32_e32 v183, v23, v66
	v_cmp_eq_u32_e32 vcc_lo, 0, v182
	s_and_b32 s16, s15, vcc_lo
	s_delay_alu instid0(SALU_CYCLE_1)
	s_and_saveexec_b32 s15, s16
	s_cbranch_execz .LBB1937_1032
; %bb.1031:                             ;   in Loop: Header=BB1937_974 Depth=2
	s_wait_dscnt 0x0
	v_bcnt_u32_b32 v61, v61, v181
	ds_store_b32 v183, v61 offset:1056
.LBB1937_1032:                          ;   in Loop: Header=BB1937_974 Depth=2
	s_or_b32 exec_lo, exec_lo, s15
	v_cmp_gt_i16_e32 vcc_lo, 0, v65
	; wave barrier
	v_cndmask_b32_e64 v61, 0x7fff, 0, vcc_lo
	s_delay_alu instid0(VALU_DEP_1) | instskip(NEXT) | instid1(VALU_DEP_1)
	v_xor_b32_e32 v180, v61, v65
	v_cmp_ne_u16_e64 vcc_lo, 0x8000, v180
	v_cndmask_b32_e32 v61, 0x7fff, v180, vcc_lo
	s_delay_alu instid0(VALU_DEP_1) | instskip(NEXT) | instid1(VALU_DEP_1)
	v_and_b32_e32 v61, 0xffff, v61
	v_lshrrev_b32_e32 v61, s49, v61
	s_delay_alu instid0(VALU_DEP_1) | instskip(NEXT) | instid1(VALU_DEP_1)
	v_and_b32_e32 v66, s52, v61
	v_lshlrev_b32_e32 v185, 28, v66
	v_bitop3_b32 v65, v61, 1, s52 bitop3:0x80
	v_dual_lshlrev_b32 v67, 30, v66 :: v_dual_lshlrev_b32 v184, 29, v66
	s_delay_alu instid0(VALU_DEP_3) | instskip(NEXT) | instid1(VALU_DEP_3)
	v_cmp_gt_i32_e64 s17, 0, v185
	v_add_co_u32 v61, s15, v65, -1
	s_delay_alu instid0(VALU_DEP_1) | instskip(NEXT) | instid1(VALU_DEP_4)
	v_cndmask_b32_e64 v65, 0, 1, s15
	v_cmp_gt_i32_e64 s15, 0, v67
	v_cmp_gt_i32_e64 s16, 0, v184
	s_delay_alu instid0(VALU_DEP_3) | instskip(SKIP_3) | instid1(VALU_DEP_2)
	v_cmp_ne_u32_e32 vcc_lo, 0, v65
	v_not_b32_e32 v65, v67
	v_not_b32_e32 v67, v184
	;; [unrolled: 1-line block ×3, first 2 shown]
	v_dual_ashrrev_i32 v65, 31, v65 :: v_dual_ashrrev_i32 v67, 31, v67
	v_dual_lshlrev_b32 v186, 27, v66 :: v_dual_lshlrev_b32 v187, 26, v66
	v_dual_lshlrev_b32 v188, 25, v66 :: v_dual_lshlrev_b32 v189, 24, v66
	s_delay_alu instid0(VALU_DEP_4) | instskip(NEXT) | instid1(VALU_DEP_3)
	v_ashrrev_i32_e32 v184, 31, v184
	v_cmp_gt_i32_e64 s18, 0, v186
	v_not_b32_e32 v185, v186
	v_cmp_gt_i32_e64 s19, 0, v187
	v_not_b32_e32 v186, v187
	;; [unrolled: 2-line block ×3, first 2 shown]
	v_not_b32_e32 v188, v189
	s_delay_alu instid0(VALU_DEP_4) | instskip(SKIP_4) | instid1(VALU_DEP_4)
	v_dual_ashrrev_i32 v186, 31, v186 :: v_dual_bitop2_b32 v61, vcc_lo, v61 bitop3:0x14
	v_xor_b32_e32 v65, s15, v65
	v_dual_ashrrev_i32 v185, 31, v185 :: v_dual_bitop2_b32 v67, s16, v67 bitop3:0x14
	v_xor_b32_e32 v184, s17, v184
	v_cmp_gt_i32_e64 s21, 0, v189
	v_bitop3_b32 v61, v61, v65, exec_lo bitop3:0x80
	v_dual_ashrrev_i32 v65, 31, v187 :: v_dual_ashrrev_i32 v187, 31, v188
	v_xor_b32_e32 v185, s18, v185
	v_xor_b32_e32 v186, s19, v186
	s_delay_alu instid0(VALU_DEP_4) | instskip(SKIP_3) | instid1(VALU_DEP_4)
	v_bitop3_b32 v61, v61, v184, v67 bitop3:0x80
	v_mad_u32_u24 v67, v66, 36, v23
	v_xor_b32_e32 v65, s20, v65
	v_xor_b32_e32 v184, s21, v187
	v_bitop3_b32 v61, v61, v186, v185 bitop3:0x80
	ds_load_b32 v185, v67 offset:1056
	; wave barrier
	v_bitop3_b32 v61, v61, v184, v65 bitop3:0x80
	v_mul_u32_u24_e32 v65, 36, v66
	s_delay_alu instid0(VALU_DEP_2) | instskip(SKIP_1) | instid1(VALU_DEP_3)
	v_mbcnt_lo_u32_b32 v186, v61, 0
	v_cmp_ne_u32_e64 s15, 0, v61
	v_add_nc_u32_e32 v187, v23, v65
	s_delay_alu instid0(VALU_DEP_3) | instskip(SKIP_1) | instid1(SALU_CYCLE_1)
	v_cmp_eq_u32_e32 vcc_lo, 0, v186
	s_and_b32 s16, s15, vcc_lo
	s_and_saveexec_b32 s15, s16
	s_cbranch_execz .LBB1937_1034
; %bb.1033:                             ;   in Loop: Header=BB1937_974 Depth=2
	s_wait_dscnt 0x0
	v_bcnt_u32_b32 v61, v61, v185
	ds_store_b32 v187, v61 offset:1056
.LBB1937_1034:                          ;   in Loop: Header=BB1937_974 Depth=2
	s_or_b32 exec_lo, exec_lo, s15
	v_cmp_gt_i16_e32 vcc_lo, 0, v64
	; wave barrier
	v_cndmask_b32_e64 v61, 0x7fff, 0, vcc_lo
	s_delay_alu instid0(VALU_DEP_1) | instskip(NEXT) | instid1(VALU_DEP_1)
	v_xor_b32_e32 v184, v61, v64
	v_cmp_ne_u16_e64 vcc_lo, 0x8000, v184
	v_cndmask_b32_e32 v61, 0x7fff, v184, vcc_lo
	s_delay_alu instid0(VALU_DEP_1) | instskip(NEXT) | instid1(VALU_DEP_1)
	v_and_b32_e32 v61, 0xffff, v61
	v_lshrrev_b32_e32 v61, s49, v61
	s_delay_alu instid0(VALU_DEP_1) | instskip(SKIP_1) | instid1(VALU_DEP_2)
	v_bitop3_b32 v64, v61, 1, s52 bitop3:0x80
	v_and_b32_e32 v65, s52, v61
	v_add_co_u32 v61, s15, v64, -1
	s_delay_alu instid0(VALU_DEP_2) | instskip(SKIP_1) | instid1(VALU_DEP_2)
	v_lshlrev_b32_e32 v64, 30, v65
	v_cndmask_b32_e64 v192, 0, 1, s15
	v_cmp_gt_i32_e32 vcc_lo, 0, v64
	v_not_b32_e32 v64, v64
	s_delay_alu instid0(VALU_DEP_3) | instskip(NEXT) | instid1(VALU_DEP_2)
	v_cmp_ne_u32_e64 s21, 0, v192
	v_dual_ashrrev_i32 v64, 31, v64 :: v_dual_lshlrev_b32 v66, 29, v65
	v_dual_lshlrev_b32 v67, 28, v65 :: v_dual_lshlrev_b32 v188, 27, v65
	v_dual_lshlrev_b32 v189, 26, v65 :: v_dual_lshlrev_b32 v190, 25, v65
	v_lshlrev_b32_e32 v191, 24, v65
	s_delay_alu instid0(VALU_DEP_4)
	v_cmp_gt_i32_e64 s15, 0, v66
	v_not_b32_e32 v66, v66
	v_cmp_gt_i32_e64 s16, 0, v67
	v_not_b32_e32 v67, v67
	;; [unrolled: 2-line block ×4, first 2 shown]
	v_dual_ashrrev_i32 v66, 31, v66 :: v_dual_ashrrev_i32 v67, 31, v67
	s_delay_alu instid0(VALU_DEP_4) | instskip(NEXT) | instid1(VALU_DEP_3)
	v_dual_ashrrev_i32 v188, 31, v188 :: v_dual_bitop2_b32 v61, s21, v61 bitop3:0x14
	v_dual_ashrrev_i32 v189, 31, v189 :: v_dual_bitop2_b32 v64, vcc_lo, v64 bitop3:0x14
	v_cmp_gt_i32_e64 s19, 0, v190
	v_not_b32_e32 v190, v190
	v_cmp_gt_i32_e64 s20, 0, v191
	v_not_b32_e32 v191, v191
	v_xor_b32_e32 v66, s15, v66
	v_xor_b32_e32 v67, s16, v67
	v_bitop3_b32 v61, v61, v64, exec_lo bitop3:0x80
	s_delay_alu instid0(VALU_DEP_4) | instskip(SKIP_2) | instid1(VALU_DEP_4)
	v_dual_ashrrev_i32 v64, 31, v190 :: v_dual_ashrrev_i32 v190, 31, v191
	v_xor_b32_e32 v188, s17, v188
	v_xor_b32_e32 v189, s18, v189
	v_bitop3_b32 v61, v61, v67, v66 bitop3:0x80
	v_mad_u32_u24 v66, v65, 36, v23
	v_xor_b32_e32 v64, s19, v64
	v_xor_b32_e32 v67, s20, v190
	s_delay_alu instid0(VALU_DEP_4) | instskip(SKIP_3) | instid1(VALU_DEP_2)
	v_bitop3_b32 v61, v61, v189, v188 bitop3:0x80
	ds_load_b32 v189, v66 offset:1056
	; wave barrier
	v_bitop3_b32 v61, v61, v67, v64 bitop3:0x80
	v_mul_u32_u24_e32 v64, 36, v65
	v_mbcnt_lo_u32_b32 v190, v61, 0
	v_cmp_ne_u32_e64 s15, 0, v61
	s_delay_alu instid0(VALU_DEP_3) | instskip(NEXT) | instid1(VALU_DEP_3)
	v_add_nc_u32_e32 v191, v23, v64
	v_cmp_eq_u32_e32 vcc_lo, 0, v190
	s_and_b32 s16, s15, vcc_lo
	s_delay_alu instid0(SALU_CYCLE_1)
	s_and_saveexec_b32 s15, s16
	s_cbranch_execz .LBB1937_1036
; %bb.1035:                             ;   in Loop: Header=BB1937_974 Depth=2
	s_wait_dscnt 0x0
	v_bcnt_u32_b32 v61, v61, v189
	ds_store_b32 v191, v61 offset:1056
.LBB1937_1036:                          ;   in Loop: Header=BB1937_974 Depth=2
	s_or_b32 exec_lo, exec_lo, s15
	v_cmp_gt_i16_e32 vcc_lo, 0, v63
	; wave barrier
	v_cndmask_b32_e64 v61, 0x7fff, 0, vcc_lo
	s_delay_alu instid0(VALU_DEP_1) | instskip(NEXT) | instid1(VALU_DEP_1)
	v_xor_b32_e32 v188, v61, v63
	v_cmp_ne_u16_e64 vcc_lo, 0x8000, v188
	v_cndmask_b32_e32 v61, 0x7fff, v188, vcc_lo
	s_delay_alu instid0(VALU_DEP_1) | instskip(NEXT) | instid1(VALU_DEP_1)
	v_and_b32_e32 v61, 0xffff, v61
	v_lshrrev_b32_e32 v61, s49, v61
	s_delay_alu instid0(VALU_DEP_1) | instskip(SKIP_1) | instid1(VALU_DEP_2)
	v_bitop3_b32 v63, v61, 1, s52 bitop3:0x80
	v_and_b32_e32 v64, s52, v61
	v_add_co_u32 v61, s15, v63, -1
	s_delay_alu instid0(VALU_DEP_1) | instskip(NEXT) | instid1(VALU_DEP_3)
	v_cndmask_b32_e64 v63, 0, 1, s15
	v_lshlrev_b32_e32 v65, 30, v64
	s_delay_alu instid0(VALU_DEP_2) | instskip(NEXT) | instid1(VALU_DEP_2)
	v_cmp_ne_u32_e32 vcc_lo, 0, v63
	v_not_b32_e32 v63, v65
	s_delay_alu instid0(VALU_DEP_1) | instskip(SKIP_4) | instid1(VALU_DEP_4)
	v_dual_ashrrev_i32 v63, 31, v63 :: v_dual_bitop2_b32 v61, vcc_lo, v61 bitop3:0x14
	v_dual_lshlrev_b32 v66, 29, v64 :: v_dual_lshlrev_b32 v67, 28, v64
	v_dual_lshlrev_b32 v192, 27, v64 :: v_dual_lshlrev_b32 v193, 26, v64
	v_lshlrev_b32_e32 v194, 25, v64
	v_cmp_gt_i32_e64 s15, 0, v65
	v_cmp_gt_i32_e64 s16, 0, v66
	v_not_b32_e32 v65, v66
	v_not_b32_e32 v66, v67
	v_lshlrev_b32_e32 v195, 24, v64
	v_cmp_gt_i32_e64 s17, 0, v67
	v_cmp_gt_i32_e64 s18, 0, v192
	v_not_b32_e32 v67, v192
	v_not_b32_e32 v192, v193
	v_dual_ashrrev_i32 v65, 31, v65 :: v_dual_bitop2_b32 v63, s15, v63 bitop3:0x14
	v_ashrrev_i32_e32 v66, 31, v66
	v_cmp_gt_i32_e64 s19, 0, v193
	v_cmp_gt_i32_e64 s20, 0, v194
	v_not_b32_e32 v193, v194
	v_not_b32_e32 v194, v195
	v_dual_ashrrev_i32 v67, 31, v67 :: v_dual_ashrrev_i32 v192, 31, v192
	v_xor_b32_e32 v65, s16, v65
	v_xor_b32_e32 v66, s17, v66
	v_bitop3_b32 v61, v61, v63, exec_lo bitop3:0x80
	v_cmp_gt_i32_e64 s21, 0, v195
	v_dual_ashrrev_i32 v63, 31, v193 :: v_dual_ashrrev_i32 v193, 31, v194
	v_xor_b32_e32 v67, s18, v67
	v_xor_b32_e32 v192, s19, v192
	v_bitop3_b32 v61, v61, v66, v65 bitop3:0x80
	v_mad_u32_u24 v65, v64, 36, v23
	v_xor_b32_e32 v63, s20, v63
	v_xor_b32_e32 v66, s21, v193
	s_delay_alu instid0(VALU_DEP_4) | instskip(SKIP_3) | instid1(VALU_DEP_2)
	v_bitop3_b32 v61, v61, v192, v67 bitop3:0x80
	ds_load_b32 v193, v65 offset:1056
	; wave barrier
	v_bitop3_b32 v61, v61, v66, v63 bitop3:0x80
	v_mul_u32_u24_e32 v63, 36, v64
	v_mbcnt_lo_u32_b32 v194, v61, 0
	v_cmp_ne_u32_e64 s15, 0, v61
	s_delay_alu instid0(VALU_DEP_3) | instskip(NEXT) | instid1(VALU_DEP_3)
	v_add_nc_u32_e32 v195, v23, v63
	v_cmp_eq_u32_e32 vcc_lo, 0, v194
	s_and_b32 s16, s15, vcc_lo
	s_delay_alu instid0(SALU_CYCLE_1)
	s_and_saveexec_b32 s15, s16
	s_cbranch_execz .LBB1937_1038
; %bb.1037:                             ;   in Loop: Header=BB1937_974 Depth=2
	s_wait_dscnt 0x0
	v_bcnt_u32_b32 v61, v61, v193
	ds_store_b32 v195, v61 offset:1056
.LBB1937_1038:                          ;   in Loop: Header=BB1937_974 Depth=2
	s_or_b32 exec_lo, exec_lo, s15
	v_cmp_gt_i16_e32 vcc_lo, 0, v62
	; wave barrier
	v_cndmask_b32_e64 v61, 0x7fff, 0, vcc_lo
	s_delay_alu instid0(VALU_DEP_1) | instskip(NEXT) | instid1(VALU_DEP_1)
	v_xor_b32_e32 v192, v61, v62
	v_cmp_ne_u16_e64 vcc_lo, 0x8000, v192
	v_cndmask_b32_e32 v61, 0x7fff, v192, vcc_lo
	s_delay_alu instid0(VALU_DEP_1) | instskip(NEXT) | instid1(VALU_DEP_1)
	v_and_b32_e32 v61, 0xffff, v61
	v_lshrrev_b32_e32 v61, s49, v61
	s_delay_alu instid0(VALU_DEP_1) | instskip(SKIP_1) | instid1(VALU_DEP_2)
	v_bitop3_b32 v62, v61, 1, s52 bitop3:0x80
	v_and_b32_e32 v63, s52, v61
	v_add_co_u32 v61, s15, v62, -1
	s_delay_alu instid0(VALU_DEP_1) | instskip(NEXT) | instid1(VALU_DEP_3)
	v_cndmask_b32_e64 v62, 0, 1, s15
	v_lshlrev_b32_e32 v64, 30, v63
	s_delay_alu instid0(VALU_DEP_2) | instskip(NEXT) | instid1(VALU_DEP_2)
	v_cmp_ne_u32_e32 vcc_lo, 0, v62
	v_not_b32_e32 v62, v64
	v_cmp_gt_i32_e64 s15, 0, v64
	s_delay_alu instid0(VALU_DEP_2) | instskip(SKIP_3) | instid1(VALU_DEP_4)
	v_dual_ashrrev_i32 v62, 31, v62 :: v_dual_lshlrev_b32 v65, 29, v63
	v_dual_lshlrev_b32 v66, 28, v63 :: v_dual_lshlrev_b32 v67, 27, v63
	v_dual_lshlrev_b32 v196, 26, v63 :: v_dual_lshlrev_b32 v197, 25, v63
	v_lshlrev_b32_e32 v198, 24, v63
	v_cmp_gt_i32_e64 s16, 0, v65
	v_not_b32_e32 v64, v65
	v_not_b32_e32 v65, v66
	v_cmp_gt_i32_e64 s17, 0, v66
	v_cmp_gt_i32_e64 s18, 0, v67
	v_not_b32_e32 v66, v67
	v_not_b32_e32 v67, v196
	v_dual_ashrrev_i32 v64, 31, v64 :: v_dual_bitop2_b32 v61, vcc_lo, v61 bitop3:0x14
	v_dual_ashrrev_i32 v65, 31, v65 :: v_dual_bitop2_b32 v62, s15, v62 bitop3:0x14
	v_cmp_gt_i32_e64 s19, 0, v196
	v_cmp_gt_i32_e64 s20, 0, v197
	v_not_b32_e32 v196, v197
	v_not_b32_e32 v197, v198
	v_dual_ashrrev_i32 v66, 31, v66 :: v_dual_ashrrev_i32 v67, 31, v67
	v_xor_b32_e32 v64, s16, v64
	v_xor_b32_e32 v65, s17, v65
	v_bitop3_b32 v61, v61, v62, exec_lo bitop3:0x80
	v_cmp_gt_i32_e64 s21, 0, v198
	v_dual_ashrrev_i32 v62, 31, v196 :: v_dual_ashrrev_i32 v196, 31, v197
	v_xor_b32_e32 v66, s18, v66
	v_xor_b32_e32 v67, s19, v67
	v_bitop3_b32 v61, v61, v65, v64 bitop3:0x80
	v_mad_u32_u24 v64, v63, 36, v23
	v_xor_b32_e32 v62, s20, v62
	v_xor_b32_e32 v65, s21, v196
	s_delay_alu instid0(VALU_DEP_4) | instskip(SKIP_3) | instid1(VALU_DEP_2)
	v_bitop3_b32 v61, v61, v67, v66 bitop3:0x80
	ds_load_b32 v197, v64 offset:1056
	; wave barrier
	v_bitop3_b32 v61, v61, v65, v62 bitop3:0x80
	v_mul_u32_u24_e32 v62, 36, v63
	v_mbcnt_lo_u32_b32 v198, v61, 0
	v_cmp_ne_u32_e64 s15, 0, v61
	s_delay_alu instid0(VALU_DEP_3) | instskip(NEXT) | instid1(VALU_DEP_3)
	v_add_nc_u32_e32 v199, v23, v62
	v_cmp_eq_u32_e32 vcc_lo, 0, v198
	s_and_b32 s16, s15, vcc_lo
	s_delay_alu instid0(SALU_CYCLE_1)
	s_and_saveexec_b32 s15, s16
	s_cbranch_execz .LBB1937_1040
; %bb.1039:                             ;   in Loop: Header=BB1937_974 Depth=2
	s_wait_dscnt 0x0
	v_bcnt_u32_b32 v61, v61, v197
	ds_store_b32 v199, v61 offset:1056
.LBB1937_1040:                          ;   in Loop: Header=BB1937_974 Depth=2
	s_or_b32 exec_lo, exec_lo, s15
	v_cmp_gt_i16_e32 vcc_lo, 0, v60
	; wave barrier
	v_cndmask_b32_e64 v61, 0x7fff, 0, vcc_lo
	s_delay_alu instid0(VALU_DEP_1) | instskip(NEXT) | instid1(VALU_DEP_1)
	v_xor_b32_e32 v196, v61, v60
	v_cmp_ne_u16_e64 vcc_lo, 0x8000, v196
	v_cndmask_b32_e32 v60, 0x7fff, v196, vcc_lo
	s_delay_alu instid0(VALU_DEP_1) | instskip(NEXT) | instid1(VALU_DEP_1)
	v_and_b32_e32 v60, 0xffff, v60
	v_lshrrev_b32_e32 v60, s49, v60
	s_delay_alu instid0(VALU_DEP_1) | instskip(SKIP_1) | instid1(VALU_DEP_2)
	v_bitop3_b32 v61, v60, 1, s52 bitop3:0x80
	v_and_b32_e32 v62, s52, v60
	v_add_co_u32 v60, s15, v61, -1
	s_delay_alu instid0(VALU_DEP_1) | instskip(NEXT) | instid1(VALU_DEP_3)
	v_cndmask_b32_e64 v61, 0, 1, s15
	v_lshlrev_b32_e32 v63, 30, v62
	s_delay_alu instid0(VALU_DEP_2) | instskip(NEXT) | instid1(VALU_DEP_2)
	v_cmp_ne_u32_e32 vcc_lo, 0, v61
	v_not_b32_e32 v61, v63
	v_cmp_gt_i32_e64 s15, 0, v63
	s_delay_alu instid0(VALU_DEP_2) | instskip(SKIP_3) | instid1(VALU_DEP_4)
	v_dual_ashrrev_i32 v61, 31, v61 :: v_dual_lshlrev_b32 v64, 29, v62
	v_dual_lshlrev_b32 v65, 28, v62 :: v_dual_lshlrev_b32 v66, 27, v62
	v_dual_lshlrev_b32 v67, 26, v62 :: v_dual_lshlrev_b32 v200, 25, v62
	v_lshlrev_b32_e32 v201, 24, v62
	v_cmp_gt_i32_e64 s16, 0, v64
	v_not_b32_e32 v63, v64
	v_not_b32_e32 v64, v65
	v_cmp_gt_i32_e64 s17, 0, v65
	v_cmp_gt_i32_e64 s18, 0, v66
	v_not_b32_e32 v65, v66
	v_not_b32_e32 v66, v67
	v_dual_ashrrev_i32 v63, 31, v63 :: v_dual_bitop2_b32 v60, vcc_lo, v60 bitop3:0x14
	v_dual_ashrrev_i32 v64, 31, v64 :: v_dual_bitop2_b32 v61, s15, v61 bitop3:0x14
	v_cmp_gt_i32_e64 s19, 0, v67
	v_cmp_gt_i32_e64 s20, 0, v200
	v_not_b32_e32 v67, v200
	v_not_b32_e32 v200, v201
	v_dual_ashrrev_i32 v65, 31, v65 :: v_dual_ashrrev_i32 v66, 31, v66
	v_xor_b32_e32 v63, s16, v63
	v_xor_b32_e32 v64, s17, v64
	v_bitop3_b32 v60, v60, v61, exec_lo bitop3:0x80
	v_cmp_gt_i32_e64 s21, 0, v201
	v_dual_ashrrev_i32 v61, 31, v67 :: v_dual_ashrrev_i32 v67, 31, v200
	v_xor_b32_e32 v65, s18, v65
	v_xor_b32_e32 v66, s19, v66
	v_bitop3_b32 v60, v60, v64, v63 bitop3:0x80
	v_mad_u32_u24 v63, v62, 36, v23
	v_xor_b32_e32 v61, s20, v61
	v_xor_b32_e32 v64, s21, v67
	s_delay_alu instid0(VALU_DEP_4) | instskip(SKIP_3) | instid1(VALU_DEP_2)
	v_bitop3_b32 v60, v60, v66, v65 bitop3:0x80
	ds_load_b32 v200, v63 offset:1056
	; wave barrier
	v_bitop3_b32 v60, v60, v64, v61 bitop3:0x80
	v_mul_u32_u24_e32 v61, 36, v62
	v_mbcnt_lo_u32_b32 v201, v60, 0
	v_cmp_ne_u32_e64 s15, 0, v60
	s_delay_alu instid0(VALU_DEP_3) | instskip(NEXT) | instid1(VALU_DEP_3)
	v_add_nc_u32_e32 v202, v23, v61
	v_cmp_eq_u32_e32 vcc_lo, 0, v201
	s_and_b32 s16, s15, vcc_lo
	s_delay_alu instid0(SALU_CYCLE_1)
	s_and_saveexec_b32 s15, s16
	s_cbranch_execz .LBB1937_1042
; %bb.1041:                             ;   in Loop: Header=BB1937_974 Depth=2
	s_wait_dscnt 0x0
	v_bcnt_u32_b32 v60, v60, v200
	ds_store_b32 v202, v60 offset:1056
.LBB1937_1042:                          ;   in Loop: Header=BB1937_974 Depth=2
	s_or_b32 exec_lo, exec_lo, s15
	; wave barrier
	s_wait_dscnt 0x0
	s_barrier_signal -1
	s_barrier_wait -1
	ds_load_2addr_b32 v[66:67], v118 offset1:1
	ds_load_2addr_b32 v[64:65], v119 offset1:1
	;; [unrolled: 1-line block ×4, first 2 shown]
	ds_load_b32 v203, v91 offset:1088
	s_wait_dscnt 0x3
	v_add3_u32 v204, v67, v66, v64
	s_wait_dscnt 0x2
	s_delay_alu instid0(VALU_DEP_1) | instskip(SKIP_1) | instid1(VALU_DEP_1)
	v_add3_u32 v204, v204, v65, v62
	s_wait_dscnt 0x1
	v_add3_u32 v204, v204, v63, v60
	s_wait_dscnt 0x0
	s_delay_alu instid0(VALU_DEP_1) | instskip(NEXT) | instid1(VALU_DEP_1)
	v_add3_u32 v203, v204, v61, v203
	v_mov_b32_dpp v204, v203 row_shr:1 row_mask:0xf bank_mask:0xf
	s_delay_alu instid0(VALU_DEP_1) | instskip(NEXT) | instid1(VALU_DEP_1)
	v_cndmask_b32_e64 v204, v204, 0, s7
	v_add_nc_u32_e32 v203, v204, v203
	s_delay_alu instid0(VALU_DEP_1) | instskip(NEXT) | instid1(VALU_DEP_1)
	v_mov_b32_dpp v204, v203 row_shr:2 row_mask:0xf bank_mask:0xf
	v_cndmask_b32_e64 v204, 0, v204, s8
	s_delay_alu instid0(VALU_DEP_1) | instskip(NEXT) | instid1(VALU_DEP_1)
	v_add_nc_u32_e32 v203, v203, v204
	v_mov_b32_dpp v204, v203 row_shr:4 row_mask:0xf bank_mask:0xf
	s_delay_alu instid0(VALU_DEP_1) | instskip(NEXT) | instid1(VALU_DEP_1)
	v_cndmask_b32_e64 v204, 0, v204, s9
	v_add_nc_u32_e32 v203, v203, v204
	s_delay_alu instid0(VALU_DEP_1) | instskip(NEXT) | instid1(VALU_DEP_1)
	v_mov_b32_dpp v204, v203 row_shr:8 row_mask:0xf bank_mask:0xf
	v_cndmask_b32_e64 v204, 0, v204, s10
	s_delay_alu instid0(VALU_DEP_1) | instskip(SKIP_3) | instid1(VALU_DEP_1)
	v_add_nc_u32_e32 v203, v203, v204
	ds_swizzle_b32 v204, v203 offset:swizzle(BROADCAST,32,15)
	s_wait_dscnt 0x0
	v_cndmask_b32_e64 v204, v204, 0, s11
	v_add_nc_u32_e32 v203, v203, v204
	s_and_saveexec_b32 s15, s1
; %bb.1043:                             ;   in Loop: Header=BB1937_974 Depth=2
	ds_store_b32 v84, v203 offset:1024
; %bb.1044:                             ;   in Loop: Header=BB1937_974 Depth=2
	s_or_b32 exec_lo, exec_lo, s15
	s_wait_dscnt 0x0
	s_barrier_signal -1
	s_barrier_wait -1
	s_and_saveexec_b32 s15, s4
	s_cbranch_execz .LBB1937_1046
; %bb.1045:                             ;   in Loop: Header=BB1937_974 Depth=2
	ds_load_b32 v204, v92 offset:1024
	s_wait_dscnt 0x0
	v_mov_b32_dpp v205, v204 row_shr:1 row_mask:0xf bank_mask:0xf
	s_delay_alu instid0(VALU_DEP_1) | instskip(NEXT) | instid1(VALU_DEP_1)
	v_cndmask_b32_e64 v205, v205, 0, s12
	v_add_nc_u32_e32 v204, v205, v204
	s_delay_alu instid0(VALU_DEP_1) | instskip(NEXT) | instid1(VALU_DEP_1)
	v_mov_b32_dpp v205, v204 row_shr:2 row_mask:0xf bank_mask:0xf
	v_cndmask_b32_e64 v205, 0, v205, s13
	s_delay_alu instid0(VALU_DEP_1) | instskip(NEXT) | instid1(VALU_DEP_1)
	v_add_nc_u32_e32 v204, v204, v205
	v_mov_b32_dpp v205, v204 row_shr:4 row_mask:0xf bank_mask:0xf
	s_delay_alu instid0(VALU_DEP_1) | instskip(NEXT) | instid1(VALU_DEP_1)
	v_cndmask_b32_e64 v205, 0, v205, s14
	v_add_nc_u32_e32 v204, v204, v205
	ds_store_b32 v92, v204 offset:1024
.LBB1937_1046:                          ;   in Loop: Header=BB1937_974 Depth=2
	s_or_b32 exec_lo, exec_lo, s15
	v_mov_b32_e32 v204, 0
	s_wait_dscnt 0x0
	s_barrier_signal -1
	s_barrier_wait -1
	s_and_saveexec_b32 s15, s5
; %bb.1047:                             ;   in Loop: Header=BB1937_974 Depth=2
	ds_load_b32 v204, v84 offset:1020
; %bb.1048:                             ;   in Loop: Header=BB1937_974 Depth=2
	s_or_b32 exec_lo, exec_lo, s15
	s_wait_dscnt 0x0
	v_add_nc_u32_e32 v203, v204, v203
	ds_bpermute_b32 v203, v122, v203
	s_wait_dscnt 0x0
	v_cndmask_b32_e64 v203, v203, v204, s6
	s_delay_alu instid0(VALU_DEP_1) | instskip(NEXT) | instid1(VALU_DEP_1)
	v_cndmask_b32_e64 v203, v203, 0, s2
	v_add_nc_u32_e32 v66, v203, v66
	s_delay_alu instid0(VALU_DEP_1) | instskip(NEXT) | instid1(VALU_DEP_1)
	v_add_nc_u32_e32 v67, v66, v67
	v_add_nc_u32_e32 v64, v67, v64
	s_delay_alu instid0(VALU_DEP_1) | instskip(NEXT) | instid1(VALU_DEP_1)
	v_add_nc_u32_e32 v65, v64, v65
	;; [unrolled: 3-line block ×3, first 2 shown]
	v_add_nc_u32_e32 v60, v63, v60
	s_delay_alu instid0(VALU_DEP_1)
	v_add_nc_u32_e32 v61, v60, v61
	ds_store_2addr_b32 v121, v63, v60 offset1:1
	ds_store_2addr_b32 v118, v203, v66 offset1:1
	;; [unrolled: 1-line block ×4, first 2 shown]
	ds_store_b32 v91, v61 offset:1088
	s_wait_dscnt 0x0
	s_barrier_signal -1
	s_barrier_wait -1
	ds_load_b32 v63, v143 offset:1056
	ds_load_b32 v65, v147 offset:1056
	;; [unrolled: 1-line block ×17, first 2 shown]
	v_mov_b32_e32 v62, 0x1000
	s_and_saveexec_b32 s15, s3
; %bb.1049:                             ;   in Loop: Header=BB1937_974 Depth=2
	ds_load_b32 v62, v91 offset:1092
; %bb.1050:                             ;   in Loop: Header=BB1937_974 Depth=2
	s_or_b32 exec_lo, exec_lo, s15
	s_wait_dscnt 0x0
	s_barrier_signal -1
	s_barrier_wait -1
	s_and_saveexec_b32 s15, s0
	s_cbranch_execz .LBB1937_1052
; %bb.1051:                             ;   in Loop: Header=BB1937_974 Depth=2
	ds_load_b32 v155, v3
	s_wait_dscnt 0x0
	v_sub_nc_u32_e32 v151, v155, v151
	ds_store_b32 v3, v151
.LBB1937_1052:                          ;   in Loop: Header=BB1937_974 Depth=2
	s_or_b32 exec_lo, exec_lo, s15
	v_add3_u32 v159, v146, v145, v65
	v_add_nc_u32_e32 v163, v63, v142
	v_add3_u32 v155, v150, v149, v66
	v_add3_u32 v151, v154, v153, v67
	;; [unrolled: 1-line block ×4, first 2 shown]
	v_lshlrev_b32_e32 v60, 1, v159
	v_lshlrev_b32_e32 v153, 1, v163
	v_add3_u32 v150, v158, v157, v143
	v_add3_u32 v147, v166, v165, v203
	;; [unrolled: 1-line block ×4, first 2 shown]
	v_lshlrev_b32_e32 v61, 1, v155
	v_add3_u32 v145, v174, v173, v175
	v_lshlrev_b32_e32 v154, 1, v149
	ds_store_b16 v153, v140 offset:1024
	v_lshlrev_b32_e32 v140, 1, v151
	v_add3_u32 v143, v178, v177, v179
	v_lshlrev_b32_e32 v153, 1, v150
	v_add3_u32 v142, v182, v181, v183
	v_add3_u32 v63, v186, v185, v187
	ds_store_b16 v60, v141 offset:1024
	ds_store_b16 v61, v144 offset:1024
	;; [unrolled: 1-line block ×5, first 2 shown]
	v_dual_lshlrev_b32 v60, 1, v147 :: v_dual_lshlrev_b32 v140, 1, v145
	v_lshlrev_b32_e32 v61, 1, v146
	v_add3_u32 v65, v198, v197, v64
	v_dual_lshlrev_b32 v141, 1, v143 :: v_dual_lshlrev_b32 v144, 1, v142
	v_add3_u32 v64, v201, v200, v167
	ds_store_b16 v60, v160 offset:1024
	ds_store_b16 v61, v164 offset:1024
	ds_store_b16 v140, v168 offset:1024
	ds_store_b16 v141, v172 offset:1024
	ds_store_b16 v144, v176 offset:1024
	v_dual_lshlrev_b32 v60, 1, v63 :: v_dual_lshlrev_b32 v140, 1, v66
	v_cmp_lt_u32_e32 vcc_lo, v2, v139
	v_dual_lshlrev_b32 v61, 1, v67 :: v_dual_lshlrev_b32 v141, 1, v65
	v_lshlrev_b32_e32 v144, 1, v64
	ds_store_b16 v60, v180 offset:1024
	ds_store_b16 v61, v184 offset:1024
	;; [unrolled: 1-line block ×5, first 2 shown]
	s_wait_dscnt 0x0
	s_barrier_signal -1
	s_barrier_wait -1
	s_and_saveexec_b32 s16, vcc_lo
	s_cbranch_execnz .LBB1937_1121
; %bb.1053:                             ;   in Loop: Header=BB1937_974 Depth=2
	s_or_b32 exec_lo, exec_lo, s16
	v_cmp_lt_u32_e64 s15, v68, v139
	s_and_saveexec_b32 s17, s15
	s_cbranch_execnz .LBB1937_1122
.LBB1937_1054:                          ;   in Loop: Header=BB1937_974 Depth=2
	s_or_b32 exec_lo, exec_lo, s17
	v_cmp_lt_u32_e64 s16, v69, v139
	s_and_saveexec_b32 s18, s16
	s_cbranch_execnz .LBB1937_1123
.LBB1937_1055:                          ;   in Loop: Header=BB1937_974 Depth=2
	s_or_b32 exec_lo, exec_lo, s18
	v_cmp_lt_u32_e64 s17, v70, v139
	s_and_saveexec_b32 s19, s17
	s_cbranch_execnz .LBB1937_1124
.LBB1937_1056:                          ;   in Loop: Header=BB1937_974 Depth=2
	s_or_b32 exec_lo, exec_lo, s19
	v_cmp_lt_u32_e64 s18, v71, v139
	s_and_saveexec_b32 s20, s18
	s_cbranch_execnz .LBB1937_1125
.LBB1937_1057:                          ;   in Loop: Header=BB1937_974 Depth=2
	s_or_b32 exec_lo, exec_lo, s20
	v_cmp_lt_u32_e64 s19, v72, v139
	s_and_saveexec_b32 s21, s19
	s_cbranch_execnz .LBB1937_1126
.LBB1937_1058:                          ;   in Loop: Header=BB1937_974 Depth=2
	s_or_b32 exec_lo, exec_lo, s21
	v_cmp_lt_u32_e64 s20, v73, v139
	s_and_saveexec_b32 s22, s20
	s_cbranch_execnz .LBB1937_1127
.LBB1937_1059:                          ;   in Loop: Header=BB1937_974 Depth=2
	s_or_b32 exec_lo, exec_lo, s22
	v_cmp_lt_u32_e64 s21, v74, v139
	s_and_saveexec_b32 s23, s21
	s_cbranch_execnz .LBB1937_1128
.LBB1937_1060:                          ;   in Loop: Header=BB1937_974 Depth=2
	s_or_b32 exec_lo, exec_lo, s23
	v_cmp_lt_u32_e64 s22, v75, v139
	s_and_saveexec_b32 s24, s22
	s_cbranch_execnz .LBB1937_1129
.LBB1937_1061:                          ;   in Loop: Header=BB1937_974 Depth=2
	s_or_b32 exec_lo, exec_lo, s24
	v_cmp_lt_u32_e64 s23, v76, v139
	s_and_saveexec_b32 s25, s23
	s_cbranch_execnz .LBB1937_1130
.LBB1937_1062:                          ;   in Loop: Header=BB1937_974 Depth=2
	s_or_b32 exec_lo, exec_lo, s25
	v_cmp_lt_u32_e64 s24, v77, v139
	s_and_saveexec_b32 s26, s24
	s_cbranch_execnz .LBB1937_1131
.LBB1937_1063:                          ;   in Loop: Header=BB1937_974 Depth=2
	s_or_b32 exec_lo, exec_lo, s26
	v_cmp_lt_u32_e64 s25, v78, v139
	s_and_saveexec_b32 s27, s25
	s_cbranch_execnz .LBB1937_1132
.LBB1937_1064:                          ;   in Loop: Header=BB1937_974 Depth=2
	s_or_b32 exec_lo, exec_lo, s27
	v_cmp_lt_u32_e64 s26, v79, v139
	s_and_saveexec_b32 s28, s26
	s_cbranch_execnz .LBB1937_1133
.LBB1937_1065:                          ;   in Loop: Header=BB1937_974 Depth=2
	s_or_b32 exec_lo, exec_lo, s28
	v_cmp_lt_u32_e64 s27, v80, v139
	s_and_saveexec_b32 s29, s27
	s_cbranch_execnz .LBB1937_1134
.LBB1937_1066:                          ;   in Loop: Header=BB1937_974 Depth=2
	s_or_b32 exec_lo, exec_lo, s29
	v_cmp_lt_u32_e64 s28, v81, v139
	s_and_saveexec_b32 s30, s28
	s_cbranch_execnz .LBB1937_1135
.LBB1937_1067:                          ;   in Loop: Header=BB1937_974 Depth=2
	s_or_b32 exec_lo, exec_lo, s30
	v_cmp_lt_u32_e64 s29, v82, v139
	s_and_saveexec_b32 s58, s29
	s_cbranch_execz .LBB1937_1069
.LBB1937_1068:                          ;   in Loop: Header=BB1937_974 Depth=2
	ds_load_u16 v60, v93 offset:8704
	s_wait_dscnt 0x0
	v_cmp_ne_u16_e64 s30, 0x8000, v60
	s_delay_alu instid0(VALU_DEP_1) | instskip(SKIP_1) | instid1(VALU_DEP_2)
	v_cndmask_b32_e64 v61, 0x7fff, v60, s30
	v_cmp_gt_i16_e64 s30, 0, v60
	v_and_b32_e32 v61, 0xffff, v61
	s_delay_alu instid0(VALU_DEP_2) | instskip(NEXT) | instid1(VALU_DEP_1)
	v_cndmask_b32_e64 v140, 0x7fff, 0, s30
	v_dual_lshrrev_b32 v61, s49, v61 :: v_dual_bitop2_b32 v60, v140, v60 bitop3:0x14
	s_delay_alu instid0(VALU_DEP_1) | instskip(NEXT) | instid1(VALU_DEP_1)
	v_and_b32_e32 v61, s52, v61
	v_lshlrev_b32_e32 v61, 2, v61
	ds_load_b32 v61, v61
	s_wait_dscnt 0x0
	v_add_nc_u32_e32 v61, v61, v82
	global_store_b16 v61, v60, s[40:41] scale_offset
.LBB1937_1069:                          ;   in Loop: Header=BB1937_974 Depth=2
	s_wait_xcnt 0x0
	s_or_b32 exec_lo, exec_lo, s58
	v_lshl_add_u64 v[60:61], s[42:43], 3, v[24:25]
	v_cmp_lt_u32_e64 s30, v100, v139
	s_and_saveexec_b32 s42, s30
	s_delay_alu instid0(SALU_CYCLE_1)
	s_xor_b32 s30, exec_lo, s42
	s_cbranch_execnz .LBB1937_1136
; %bb.1070:                             ;   in Loop: Header=BB1937_974 Depth=2
	s_or_b32 exec_lo, exec_lo, s30
	s_delay_alu instid0(SALU_CYCLE_1)
	s_mov_b32 s42, exec_lo
	v_cmpx_lt_u32_e64 v103, v139
	s_cbranch_execnz .LBB1937_1137
.LBB1937_1071:                          ;   in Loop: Header=BB1937_974 Depth=2
	s_or_b32 exec_lo, exec_lo, s42
	s_delay_alu instid0(SALU_CYCLE_1)
	s_mov_b32 s42, exec_lo
	v_cmpx_lt_u32_e64 v104, v139
	s_cbranch_execnz .LBB1937_1138
.LBB1937_1072:                          ;   in Loop: Header=BB1937_974 Depth=2
	s_or_b32 exec_lo, exec_lo, s42
	s_delay_alu instid0(SALU_CYCLE_1)
	s_mov_b32 s42, exec_lo
	v_cmpx_lt_u32_e64 v105, v139
	s_cbranch_execnz .LBB1937_1139
.LBB1937_1073:                          ;   in Loop: Header=BB1937_974 Depth=2
	s_or_b32 exec_lo, exec_lo, s42
	s_delay_alu instid0(SALU_CYCLE_1)
	s_mov_b32 s42, exec_lo
	v_cmpx_lt_u32_e64 v106, v139
	s_cbranch_execnz .LBB1937_1140
.LBB1937_1074:                          ;   in Loop: Header=BB1937_974 Depth=2
	s_or_b32 exec_lo, exec_lo, s42
	s_delay_alu instid0(SALU_CYCLE_1)
	s_mov_b32 s42, exec_lo
	v_cmpx_lt_u32_e64 v107, v139
	s_cbranch_execnz .LBB1937_1141
.LBB1937_1075:                          ;   in Loop: Header=BB1937_974 Depth=2
	s_or_b32 exec_lo, exec_lo, s42
	s_delay_alu instid0(SALU_CYCLE_1)
	s_mov_b32 s42, exec_lo
	v_cmpx_lt_u32_e64 v108, v139
	s_cbranch_execnz .LBB1937_1142
.LBB1937_1076:                          ;   in Loop: Header=BB1937_974 Depth=2
	s_or_b32 exec_lo, exec_lo, s42
	s_delay_alu instid0(SALU_CYCLE_1)
	s_mov_b32 s42, exec_lo
	v_cmpx_lt_u32_e64 v109, v139
	s_cbranch_execnz .LBB1937_1143
.LBB1937_1077:                          ;   in Loop: Header=BB1937_974 Depth=2
	s_or_b32 exec_lo, exec_lo, s42
	s_delay_alu instid0(SALU_CYCLE_1)
	s_mov_b32 s42, exec_lo
	v_cmpx_lt_u32_e64 v110, v139
	s_cbranch_execnz .LBB1937_1144
.LBB1937_1078:                          ;   in Loop: Header=BB1937_974 Depth=2
	s_or_b32 exec_lo, exec_lo, s42
	s_delay_alu instid0(SALU_CYCLE_1)
	s_mov_b32 s42, exec_lo
	v_cmpx_lt_u32_e64 v111, v139
	s_cbranch_execnz .LBB1937_1145
.LBB1937_1079:                          ;   in Loop: Header=BB1937_974 Depth=2
	s_or_b32 exec_lo, exec_lo, s42
	s_delay_alu instid0(SALU_CYCLE_1)
	s_mov_b32 s42, exec_lo
	v_cmpx_lt_u32_e64 v112, v139
	s_cbranch_execnz .LBB1937_1146
.LBB1937_1080:                          ;   in Loop: Header=BB1937_974 Depth=2
	s_or_b32 exec_lo, exec_lo, s42
	s_delay_alu instid0(SALU_CYCLE_1)
	s_mov_b32 s42, exec_lo
	v_cmpx_lt_u32_e64 v113, v139
	s_cbranch_execnz .LBB1937_1147
.LBB1937_1081:                          ;   in Loop: Header=BB1937_974 Depth=2
	s_or_b32 exec_lo, exec_lo, s42
	s_delay_alu instid0(SALU_CYCLE_1)
	s_mov_b32 s42, exec_lo
	v_cmpx_lt_u32_e64 v114, v139
	s_cbranch_execnz .LBB1937_1148
.LBB1937_1082:                          ;   in Loop: Header=BB1937_974 Depth=2
	s_or_b32 exec_lo, exec_lo, s42
	s_delay_alu instid0(SALU_CYCLE_1)
	s_mov_b32 s42, exec_lo
	v_cmpx_lt_u32_e64 v115, v139
	s_cbranch_execnz .LBB1937_1149
.LBB1937_1083:                          ;   in Loop: Header=BB1937_974 Depth=2
	s_or_b32 exec_lo, exec_lo, s42
	s_delay_alu instid0(SALU_CYCLE_1)
	s_mov_b32 s42, exec_lo
	v_cmpx_lt_u32_e64 v116, v139
	s_cbranch_execnz .LBB1937_1150
.LBB1937_1084:                          ;   in Loop: Header=BB1937_974 Depth=2
	s_or_b32 exec_lo, exec_lo, s42
	s_delay_alu instid0(SALU_CYCLE_1)
	s_mov_b32 s42, exec_lo
	v_cmpx_lt_u32_e64 v117, v139
	s_cbranch_execnz .LBB1937_1151
.LBB1937_1085:                          ;   in Loop: Header=BB1937_974 Depth=2
	s_or_b32 exec_lo, exec_lo, s42
	s_and_saveexec_b32 s42, vcc_lo
	s_cbranch_execnz .LBB1937_1152
.LBB1937_1086:                          ;   in Loop: Header=BB1937_974 Depth=2
	s_or_b32 exec_lo, exec_lo, s42
	s_and_saveexec_b32 s42, s15
	s_cbranch_execnz .LBB1937_1153
.LBB1937_1087:                          ;   in Loop: Header=BB1937_974 Depth=2
	s_or_b32 exec_lo, exec_lo, s42
	s_and_saveexec_b32 s42, s16
	s_cbranch_execnz .LBB1937_1154
.LBB1937_1088:                          ;   in Loop: Header=BB1937_974 Depth=2
	s_or_b32 exec_lo, exec_lo, s42
	s_and_saveexec_b32 s42, s17
	s_cbranch_execnz .LBB1937_1155
.LBB1937_1089:                          ;   in Loop: Header=BB1937_974 Depth=2
	s_or_b32 exec_lo, exec_lo, s42
	s_and_saveexec_b32 s42, s18
	s_cbranch_execnz .LBB1937_1156
.LBB1937_1090:                          ;   in Loop: Header=BB1937_974 Depth=2
	s_or_b32 exec_lo, exec_lo, s42
	s_and_saveexec_b32 s42, s19
	s_cbranch_execnz .LBB1937_1157
.LBB1937_1091:                          ;   in Loop: Header=BB1937_974 Depth=2
	s_or_b32 exec_lo, exec_lo, s42
	s_and_saveexec_b32 s42, s20
	s_cbranch_execnz .LBB1937_1158
.LBB1937_1092:                          ;   in Loop: Header=BB1937_974 Depth=2
	s_or_b32 exec_lo, exec_lo, s42
	s_and_saveexec_b32 s42, s21
	s_cbranch_execnz .LBB1937_1159
.LBB1937_1093:                          ;   in Loop: Header=BB1937_974 Depth=2
	s_or_b32 exec_lo, exec_lo, s42
	s_and_saveexec_b32 s42, s22
	s_cbranch_execnz .LBB1937_1160
.LBB1937_1094:                          ;   in Loop: Header=BB1937_974 Depth=2
	s_or_b32 exec_lo, exec_lo, s42
	s_and_saveexec_b32 s42, s23
	s_cbranch_execnz .LBB1937_1161
.LBB1937_1095:                          ;   in Loop: Header=BB1937_974 Depth=2
	s_or_b32 exec_lo, exec_lo, s42
	s_and_saveexec_b32 s42, s24
	s_cbranch_execnz .LBB1937_1162
.LBB1937_1096:                          ;   in Loop: Header=BB1937_974 Depth=2
	s_or_b32 exec_lo, exec_lo, s42
	s_and_saveexec_b32 s42, s25
	s_cbranch_execnz .LBB1937_1163
.LBB1937_1097:                          ;   in Loop: Header=BB1937_974 Depth=2
	s_or_b32 exec_lo, exec_lo, s42
	s_and_saveexec_b32 s42, s26
	s_cbranch_execnz .LBB1937_1164
.LBB1937_1098:                          ;   in Loop: Header=BB1937_974 Depth=2
	s_or_b32 exec_lo, exec_lo, s42
	s_and_saveexec_b32 s42, s27
	s_cbranch_execnz .LBB1937_1165
.LBB1937_1099:                          ;   in Loop: Header=BB1937_974 Depth=2
	s_or_b32 exec_lo, exec_lo, s42
	s_and_saveexec_b32 s42, s28
	s_cbranch_execnz .LBB1937_1166
.LBB1937_1100:                          ;   in Loop: Header=BB1937_974 Depth=2
	s_or_b32 exec_lo, exec_lo, s42
	s_and_saveexec_b32 s42, s29
	s_cbranch_execz .LBB1937_1102
.LBB1937_1101:                          ;   in Loop: Header=BB1937_974 Depth=2
	ds_load_u16 v60, v93 offset:8704
	s_wait_dscnt 0x0
	v_cmp_ne_u16_e64 s30, 0x8000, v60
	s_delay_alu instid0(VALU_DEP_1) | instskip(NEXT) | instid1(VALU_DEP_1)
	v_cndmask_b32_e64 v60, 0x7fff, v60, s30
	v_and_b32_e32 v60, 0xffff, v60
	s_delay_alu instid0(VALU_DEP_1) | instskip(NEXT) | instid1(VALU_DEP_1)
	v_lshrrev_b32_e32 v60, s49, v60
	v_and_b32_e32 v123, s52, v60
.LBB1937_1102:                          ;   in Loop: Header=BB1937_974 Depth=2
	s_or_b32 exec_lo, exec_lo, s42
	v_dual_lshlrev_b32 v60, 3, v163 :: v_dual_lshlrev_b32 v140, 3, v150
	s_wait_loadcnt 0x0
	s_wait_storecnt 0x0
	s_barrier_signal -1
	s_barrier_wait -1
	ds_store_b64 v60, v[58:59] offset:1024
	v_dual_lshlrev_b32 v60, 3, v159 :: v_dual_lshlrev_b32 v141, 3, v149
	v_lshlrev_b32_e32 v61, 3, v155
	v_lshlrev_b32_e32 v139, 3, v151
	ds_store_b64 v60, v[56:57] offset:1024
	ds_store_b64 v61, v[54:55] offset:1024
	;; [unrolled: 1-line block ×5, first 2 shown]
	v_dual_lshlrev_b32 v60, 3, v147 :: v_dual_lshlrev_b32 v141, 3, v142
	v_dual_lshlrev_b32 v61, 3, v146 :: v_dual_lshlrev_b32 v139, 3, v145
	v_lshlrev_b32_e32 v140, 3, v143
	ds_store_b64 v60, v[46:47] offset:1024
	ds_store_b64 v61, v[44:45] offset:1024
	;; [unrolled: 1-line block ×5, first 2 shown]
	v_dual_lshlrev_b32 v60, 3, v63 :: v_dual_lshlrev_b32 v65, 3, v65
	v_dual_lshlrev_b32 v61, 3, v67 :: v_dual_lshlrev_b32 v64, 3, v64
	v_lshlrev_b32_e32 v63, 3, v66
	ds_store_b64 v60, v[36:37] offset:1024
	ds_store_b64 v61, v[34:35] offset:1024
	;; [unrolled: 1-line block ×5, first 2 shown]
	v_add_nc_u32_e32 v60, v93, v94
	s_wait_dscnt 0x0
	s_barrier_signal -1
	s_barrier_wait -1
	s_and_saveexec_b32 s30, vcc_lo
	s_cbranch_execnz .LBB1937_1167
; %bb.1103:                             ;   in Loop: Header=BB1937_974 Depth=2
	s_or_b32 exec_lo, exec_lo, s30
	s_and_saveexec_b32 s30, s15
	s_cbranch_execnz .LBB1937_1168
.LBB1937_1104:                          ;   in Loop: Header=BB1937_974 Depth=2
	s_or_b32 exec_lo, exec_lo, s30
	s_and_saveexec_b32 s15, s16
	s_cbranch_execnz .LBB1937_1169
.LBB1937_1105:                          ;   in Loop: Header=BB1937_974 Depth=2
	s_or_b32 exec_lo, exec_lo, s15
	s_and_saveexec_b32 s15, s17
	s_cbranch_execnz .LBB1937_1170
.LBB1937_1106:                          ;   in Loop: Header=BB1937_974 Depth=2
	s_or_b32 exec_lo, exec_lo, s15
	s_and_saveexec_b32 s15, s18
	s_cbranch_execnz .LBB1937_1171
.LBB1937_1107:                          ;   in Loop: Header=BB1937_974 Depth=2
	s_or_b32 exec_lo, exec_lo, s15
	s_and_saveexec_b32 s15, s19
	s_cbranch_execnz .LBB1937_1172
.LBB1937_1108:                          ;   in Loop: Header=BB1937_974 Depth=2
	s_or_b32 exec_lo, exec_lo, s15
	s_and_saveexec_b32 s15, s20
	s_cbranch_execnz .LBB1937_1173
.LBB1937_1109:                          ;   in Loop: Header=BB1937_974 Depth=2
	s_or_b32 exec_lo, exec_lo, s15
	s_and_saveexec_b32 s15, s21
	s_cbranch_execnz .LBB1937_1174
.LBB1937_1110:                          ;   in Loop: Header=BB1937_974 Depth=2
	s_or_b32 exec_lo, exec_lo, s15
	s_and_saveexec_b32 s15, s22
	s_cbranch_execnz .LBB1937_1175
.LBB1937_1111:                          ;   in Loop: Header=BB1937_974 Depth=2
	s_or_b32 exec_lo, exec_lo, s15
	s_and_saveexec_b32 s15, s23
	s_cbranch_execnz .LBB1937_1176
.LBB1937_1112:                          ;   in Loop: Header=BB1937_974 Depth=2
	s_or_b32 exec_lo, exec_lo, s15
	s_and_saveexec_b32 s15, s24
	s_cbranch_execnz .LBB1937_1177
.LBB1937_1113:                          ;   in Loop: Header=BB1937_974 Depth=2
	s_or_b32 exec_lo, exec_lo, s15
	s_and_saveexec_b32 s15, s25
	s_cbranch_execnz .LBB1937_1178
.LBB1937_1114:                          ;   in Loop: Header=BB1937_974 Depth=2
	s_or_b32 exec_lo, exec_lo, s15
	s_and_saveexec_b32 s15, s26
	s_cbranch_execnz .LBB1937_1179
.LBB1937_1115:                          ;   in Loop: Header=BB1937_974 Depth=2
	s_or_b32 exec_lo, exec_lo, s15
	s_and_saveexec_b32 s15, s27
	s_cbranch_execnz .LBB1937_1180
.LBB1937_1116:                          ;   in Loop: Header=BB1937_974 Depth=2
	s_or_b32 exec_lo, exec_lo, s15
	s_and_saveexec_b32 s15, s28
	s_cbranch_execnz .LBB1937_1181
.LBB1937_1117:                          ;   in Loop: Header=BB1937_974 Depth=2
	s_or_b32 exec_lo, exec_lo, s15
	s_and_saveexec_b32 s15, s29
	s_cbranch_execz .LBB1937_1119
.LBB1937_1118:                          ;   in Loop: Header=BB1937_974 Depth=2
	v_lshlrev_b32_e32 v61, 2, v123
	ds_load_b32 v63, v61
	ds_load_b64 v[60:61], v60 offset:31744
	s_wait_dscnt 0x1
	v_add_nc_u32_e32 v63, v63, v82
	s_wait_dscnt 0x0
	global_store_b64 v63, v[60:61], s[46:47] scale_offset
.LBB1937_1119:                          ;   in Loop: Header=BB1937_974 Depth=2
	s_wait_xcnt 0x0
	s_or_b32 exec_lo, exec_lo, s15
	s_wait_storecnt 0x0
	s_barrier_signal -1
	s_barrier_wait -1
	s_and_saveexec_b32 s15, s0
	s_cbranch_execz .LBB1937_973
; %bb.1120:                             ;   in Loop: Header=BB1937_974 Depth=2
	ds_load_b32 v60, v3
	s_wait_dscnt 0x0
	v_add_nc_u32_e32 v60, v60, v62
	ds_store_b32 v3, v60
	s_branch .LBB1937_973
.LBB1937_1121:                          ;   in Loop: Header=BB1937_974 Depth=2
	ds_load_u16 v60, v93 offset:1024
	s_wait_dscnt 0x0
	v_cmp_ne_u16_e64 s15, 0x8000, v60
	s_delay_alu instid0(VALU_DEP_1) | instskip(SKIP_1) | instid1(VALU_DEP_2)
	v_cndmask_b32_e64 v61, 0x7fff, v60, s15
	v_cmp_gt_i16_e64 s15, 0, v60
	v_and_b32_e32 v61, 0xffff, v61
	s_delay_alu instid0(VALU_DEP_2) | instskip(NEXT) | instid1(VALU_DEP_1)
	v_cndmask_b32_e64 v140, 0x7fff, 0, s15
	v_dual_lshrrev_b32 v61, s49, v61 :: v_dual_bitop2_b32 v60, v140, v60 bitop3:0x14
	s_delay_alu instid0(VALU_DEP_1) | instskip(NEXT) | instid1(VALU_DEP_1)
	v_and_b32_e32 v61, s52, v61
	v_lshlrev_b32_e32 v61, 2, v61
	ds_load_b32 v61, v61
	s_wait_dscnt 0x0
	v_add_nc_u32_e32 v61, v61, v2
	global_store_b16 v61, v60, s[40:41] scale_offset
	s_wait_xcnt 0x0
	s_or_b32 exec_lo, exec_lo, s16
	v_cmp_lt_u32_e64 s15, v68, v139
	s_and_saveexec_b32 s17, s15
	s_cbranch_execz .LBB1937_1054
.LBB1937_1122:                          ;   in Loop: Header=BB1937_974 Depth=2
	ds_load_u16 v60, v93 offset:1536
	s_wait_dscnt 0x0
	v_cmp_ne_u16_e64 s16, 0x8000, v60
	s_delay_alu instid0(VALU_DEP_1) | instskip(SKIP_1) | instid1(VALU_DEP_2)
	v_cndmask_b32_e64 v61, 0x7fff, v60, s16
	v_cmp_gt_i16_e64 s16, 0, v60
	v_and_b32_e32 v61, 0xffff, v61
	s_delay_alu instid0(VALU_DEP_2) | instskip(NEXT) | instid1(VALU_DEP_1)
	v_cndmask_b32_e64 v140, 0x7fff, 0, s16
	v_dual_lshrrev_b32 v61, s49, v61 :: v_dual_bitop2_b32 v60, v140, v60 bitop3:0x14
	s_delay_alu instid0(VALU_DEP_1) | instskip(NEXT) | instid1(VALU_DEP_1)
	v_and_b32_e32 v61, s52, v61
	v_lshlrev_b32_e32 v61, 2, v61
	ds_load_b32 v61, v61
	s_wait_dscnt 0x0
	v_add_nc_u32_e32 v61, v61, v68
	global_store_b16 v61, v60, s[40:41] scale_offset
	s_wait_xcnt 0x0
	s_or_b32 exec_lo, exec_lo, s17
	v_cmp_lt_u32_e64 s16, v69, v139
	s_and_saveexec_b32 s18, s16
	s_cbranch_execz .LBB1937_1055
.LBB1937_1123:                          ;   in Loop: Header=BB1937_974 Depth=2
	ds_load_u16 v60, v93 offset:2048
	s_wait_dscnt 0x0
	v_cmp_ne_u16_e64 s17, 0x8000, v60
	s_delay_alu instid0(VALU_DEP_1) | instskip(SKIP_1) | instid1(VALU_DEP_2)
	v_cndmask_b32_e64 v61, 0x7fff, v60, s17
	v_cmp_gt_i16_e64 s17, 0, v60
	v_and_b32_e32 v61, 0xffff, v61
	s_delay_alu instid0(VALU_DEP_2) | instskip(NEXT) | instid1(VALU_DEP_1)
	v_cndmask_b32_e64 v140, 0x7fff, 0, s17
	v_dual_lshrrev_b32 v61, s49, v61 :: v_dual_bitop2_b32 v60, v140, v60 bitop3:0x14
	s_delay_alu instid0(VALU_DEP_1) | instskip(NEXT) | instid1(VALU_DEP_1)
	v_and_b32_e32 v61, s52, v61
	v_lshlrev_b32_e32 v61, 2, v61
	ds_load_b32 v61, v61
	s_wait_dscnt 0x0
	v_add_nc_u32_e32 v61, v61, v69
	global_store_b16 v61, v60, s[40:41] scale_offset
	s_wait_xcnt 0x0
	s_or_b32 exec_lo, exec_lo, s18
	v_cmp_lt_u32_e64 s17, v70, v139
	s_and_saveexec_b32 s19, s17
	s_cbranch_execz .LBB1937_1056
.LBB1937_1124:                          ;   in Loop: Header=BB1937_974 Depth=2
	ds_load_u16 v60, v93 offset:2560
	s_wait_dscnt 0x0
	v_cmp_ne_u16_e64 s18, 0x8000, v60
	s_delay_alu instid0(VALU_DEP_1) | instskip(SKIP_1) | instid1(VALU_DEP_2)
	v_cndmask_b32_e64 v61, 0x7fff, v60, s18
	v_cmp_gt_i16_e64 s18, 0, v60
	v_and_b32_e32 v61, 0xffff, v61
	s_delay_alu instid0(VALU_DEP_2) | instskip(NEXT) | instid1(VALU_DEP_1)
	v_cndmask_b32_e64 v140, 0x7fff, 0, s18
	v_dual_lshrrev_b32 v61, s49, v61 :: v_dual_bitop2_b32 v60, v140, v60 bitop3:0x14
	s_delay_alu instid0(VALU_DEP_1) | instskip(NEXT) | instid1(VALU_DEP_1)
	v_and_b32_e32 v61, s52, v61
	v_lshlrev_b32_e32 v61, 2, v61
	ds_load_b32 v61, v61
	s_wait_dscnt 0x0
	v_add_nc_u32_e32 v61, v61, v70
	global_store_b16 v61, v60, s[40:41] scale_offset
	s_wait_xcnt 0x0
	s_or_b32 exec_lo, exec_lo, s19
	v_cmp_lt_u32_e64 s18, v71, v139
	s_and_saveexec_b32 s20, s18
	s_cbranch_execz .LBB1937_1057
.LBB1937_1125:                          ;   in Loop: Header=BB1937_974 Depth=2
	ds_load_u16 v60, v93 offset:3072
	s_wait_dscnt 0x0
	v_cmp_ne_u16_e64 s19, 0x8000, v60
	s_delay_alu instid0(VALU_DEP_1) | instskip(SKIP_1) | instid1(VALU_DEP_2)
	v_cndmask_b32_e64 v61, 0x7fff, v60, s19
	v_cmp_gt_i16_e64 s19, 0, v60
	v_and_b32_e32 v61, 0xffff, v61
	s_delay_alu instid0(VALU_DEP_2) | instskip(NEXT) | instid1(VALU_DEP_1)
	v_cndmask_b32_e64 v140, 0x7fff, 0, s19
	v_dual_lshrrev_b32 v61, s49, v61 :: v_dual_bitop2_b32 v60, v140, v60 bitop3:0x14
	s_delay_alu instid0(VALU_DEP_1) | instskip(NEXT) | instid1(VALU_DEP_1)
	v_and_b32_e32 v61, s52, v61
	v_lshlrev_b32_e32 v61, 2, v61
	ds_load_b32 v61, v61
	s_wait_dscnt 0x0
	v_add_nc_u32_e32 v61, v61, v71
	global_store_b16 v61, v60, s[40:41] scale_offset
	s_wait_xcnt 0x0
	s_or_b32 exec_lo, exec_lo, s20
	v_cmp_lt_u32_e64 s19, v72, v139
	s_and_saveexec_b32 s21, s19
	s_cbranch_execz .LBB1937_1058
.LBB1937_1126:                          ;   in Loop: Header=BB1937_974 Depth=2
	ds_load_u16 v60, v93 offset:3584
	s_wait_dscnt 0x0
	v_cmp_ne_u16_e64 s20, 0x8000, v60
	s_delay_alu instid0(VALU_DEP_1) | instskip(SKIP_1) | instid1(VALU_DEP_2)
	v_cndmask_b32_e64 v61, 0x7fff, v60, s20
	v_cmp_gt_i16_e64 s20, 0, v60
	v_and_b32_e32 v61, 0xffff, v61
	s_delay_alu instid0(VALU_DEP_2) | instskip(NEXT) | instid1(VALU_DEP_1)
	v_cndmask_b32_e64 v140, 0x7fff, 0, s20
	v_dual_lshrrev_b32 v61, s49, v61 :: v_dual_bitop2_b32 v60, v140, v60 bitop3:0x14
	s_delay_alu instid0(VALU_DEP_1) | instskip(NEXT) | instid1(VALU_DEP_1)
	v_and_b32_e32 v61, s52, v61
	v_lshlrev_b32_e32 v61, 2, v61
	ds_load_b32 v61, v61
	s_wait_dscnt 0x0
	v_add_nc_u32_e32 v61, v61, v72
	global_store_b16 v61, v60, s[40:41] scale_offset
	s_wait_xcnt 0x0
	s_or_b32 exec_lo, exec_lo, s21
	v_cmp_lt_u32_e64 s20, v73, v139
	s_and_saveexec_b32 s22, s20
	s_cbranch_execz .LBB1937_1059
.LBB1937_1127:                          ;   in Loop: Header=BB1937_974 Depth=2
	ds_load_u16 v60, v93 offset:4096
	s_wait_dscnt 0x0
	v_cmp_ne_u16_e64 s21, 0x8000, v60
	s_delay_alu instid0(VALU_DEP_1) | instskip(SKIP_1) | instid1(VALU_DEP_2)
	v_cndmask_b32_e64 v61, 0x7fff, v60, s21
	v_cmp_gt_i16_e64 s21, 0, v60
	v_and_b32_e32 v61, 0xffff, v61
	s_delay_alu instid0(VALU_DEP_2) | instskip(NEXT) | instid1(VALU_DEP_1)
	v_cndmask_b32_e64 v140, 0x7fff, 0, s21
	v_dual_lshrrev_b32 v61, s49, v61 :: v_dual_bitop2_b32 v60, v140, v60 bitop3:0x14
	s_delay_alu instid0(VALU_DEP_1) | instskip(NEXT) | instid1(VALU_DEP_1)
	v_and_b32_e32 v61, s52, v61
	v_lshlrev_b32_e32 v61, 2, v61
	ds_load_b32 v61, v61
	s_wait_dscnt 0x0
	v_add_nc_u32_e32 v61, v61, v73
	global_store_b16 v61, v60, s[40:41] scale_offset
	s_wait_xcnt 0x0
	s_or_b32 exec_lo, exec_lo, s22
	v_cmp_lt_u32_e64 s21, v74, v139
	s_and_saveexec_b32 s23, s21
	s_cbranch_execz .LBB1937_1060
.LBB1937_1128:                          ;   in Loop: Header=BB1937_974 Depth=2
	ds_load_u16 v60, v93 offset:4608
	s_wait_dscnt 0x0
	v_cmp_ne_u16_e64 s22, 0x8000, v60
	s_delay_alu instid0(VALU_DEP_1) | instskip(SKIP_1) | instid1(VALU_DEP_2)
	v_cndmask_b32_e64 v61, 0x7fff, v60, s22
	v_cmp_gt_i16_e64 s22, 0, v60
	v_and_b32_e32 v61, 0xffff, v61
	s_delay_alu instid0(VALU_DEP_2) | instskip(NEXT) | instid1(VALU_DEP_1)
	v_cndmask_b32_e64 v140, 0x7fff, 0, s22
	v_dual_lshrrev_b32 v61, s49, v61 :: v_dual_bitop2_b32 v60, v140, v60 bitop3:0x14
	s_delay_alu instid0(VALU_DEP_1) | instskip(NEXT) | instid1(VALU_DEP_1)
	v_and_b32_e32 v61, s52, v61
	v_lshlrev_b32_e32 v61, 2, v61
	ds_load_b32 v61, v61
	s_wait_dscnt 0x0
	v_add_nc_u32_e32 v61, v61, v74
	global_store_b16 v61, v60, s[40:41] scale_offset
	s_wait_xcnt 0x0
	s_or_b32 exec_lo, exec_lo, s23
	v_cmp_lt_u32_e64 s22, v75, v139
	s_and_saveexec_b32 s24, s22
	s_cbranch_execz .LBB1937_1061
.LBB1937_1129:                          ;   in Loop: Header=BB1937_974 Depth=2
	ds_load_u16 v60, v93 offset:5120
	s_wait_dscnt 0x0
	v_cmp_ne_u16_e64 s23, 0x8000, v60
	s_delay_alu instid0(VALU_DEP_1) | instskip(SKIP_1) | instid1(VALU_DEP_2)
	v_cndmask_b32_e64 v61, 0x7fff, v60, s23
	v_cmp_gt_i16_e64 s23, 0, v60
	v_and_b32_e32 v61, 0xffff, v61
	s_delay_alu instid0(VALU_DEP_2) | instskip(NEXT) | instid1(VALU_DEP_1)
	v_cndmask_b32_e64 v140, 0x7fff, 0, s23
	v_dual_lshrrev_b32 v61, s49, v61 :: v_dual_bitop2_b32 v60, v140, v60 bitop3:0x14
	s_delay_alu instid0(VALU_DEP_1) | instskip(NEXT) | instid1(VALU_DEP_1)
	v_and_b32_e32 v61, s52, v61
	v_lshlrev_b32_e32 v61, 2, v61
	ds_load_b32 v61, v61
	s_wait_dscnt 0x0
	v_add_nc_u32_e32 v61, v61, v75
	global_store_b16 v61, v60, s[40:41] scale_offset
	s_wait_xcnt 0x0
	s_or_b32 exec_lo, exec_lo, s24
	v_cmp_lt_u32_e64 s23, v76, v139
	s_and_saveexec_b32 s25, s23
	s_cbranch_execz .LBB1937_1062
.LBB1937_1130:                          ;   in Loop: Header=BB1937_974 Depth=2
	ds_load_u16 v60, v93 offset:5632
	s_wait_dscnt 0x0
	v_cmp_ne_u16_e64 s24, 0x8000, v60
	s_delay_alu instid0(VALU_DEP_1) | instskip(SKIP_1) | instid1(VALU_DEP_2)
	v_cndmask_b32_e64 v61, 0x7fff, v60, s24
	v_cmp_gt_i16_e64 s24, 0, v60
	v_and_b32_e32 v61, 0xffff, v61
	s_delay_alu instid0(VALU_DEP_2) | instskip(NEXT) | instid1(VALU_DEP_1)
	v_cndmask_b32_e64 v140, 0x7fff, 0, s24
	v_dual_lshrrev_b32 v61, s49, v61 :: v_dual_bitop2_b32 v60, v140, v60 bitop3:0x14
	s_delay_alu instid0(VALU_DEP_1) | instskip(NEXT) | instid1(VALU_DEP_1)
	v_and_b32_e32 v61, s52, v61
	v_lshlrev_b32_e32 v61, 2, v61
	ds_load_b32 v61, v61
	s_wait_dscnt 0x0
	v_add_nc_u32_e32 v61, v61, v76
	global_store_b16 v61, v60, s[40:41] scale_offset
	s_wait_xcnt 0x0
	s_or_b32 exec_lo, exec_lo, s25
	v_cmp_lt_u32_e64 s24, v77, v139
	s_and_saveexec_b32 s26, s24
	s_cbranch_execz .LBB1937_1063
.LBB1937_1131:                          ;   in Loop: Header=BB1937_974 Depth=2
	ds_load_u16 v60, v93 offset:6144
	s_wait_dscnt 0x0
	v_cmp_ne_u16_e64 s25, 0x8000, v60
	s_delay_alu instid0(VALU_DEP_1) | instskip(SKIP_1) | instid1(VALU_DEP_2)
	v_cndmask_b32_e64 v61, 0x7fff, v60, s25
	v_cmp_gt_i16_e64 s25, 0, v60
	v_and_b32_e32 v61, 0xffff, v61
	s_delay_alu instid0(VALU_DEP_2) | instskip(NEXT) | instid1(VALU_DEP_1)
	v_cndmask_b32_e64 v140, 0x7fff, 0, s25
	v_dual_lshrrev_b32 v61, s49, v61 :: v_dual_bitop2_b32 v60, v140, v60 bitop3:0x14
	s_delay_alu instid0(VALU_DEP_1) | instskip(NEXT) | instid1(VALU_DEP_1)
	v_and_b32_e32 v61, s52, v61
	v_lshlrev_b32_e32 v61, 2, v61
	ds_load_b32 v61, v61
	s_wait_dscnt 0x0
	v_add_nc_u32_e32 v61, v61, v77
	global_store_b16 v61, v60, s[40:41] scale_offset
	s_wait_xcnt 0x0
	s_or_b32 exec_lo, exec_lo, s26
	v_cmp_lt_u32_e64 s25, v78, v139
	s_and_saveexec_b32 s27, s25
	s_cbranch_execz .LBB1937_1064
.LBB1937_1132:                          ;   in Loop: Header=BB1937_974 Depth=2
	ds_load_u16 v60, v93 offset:6656
	s_wait_dscnt 0x0
	v_cmp_ne_u16_e64 s26, 0x8000, v60
	s_delay_alu instid0(VALU_DEP_1) | instskip(SKIP_1) | instid1(VALU_DEP_2)
	v_cndmask_b32_e64 v61, 0x7fff, v60, s26
	v_cmp_gt_i16_e64 s26, 0, v60
	v_and_b32_e32 v61, 0xffff, v61
	s_delay_alu instid0(VALU_DEP_2) | instskip(NEXT) | instid1(VALU_DEP_1)
	v_cndmask_b32_e64 v140, 0x7fff, 0, s26
	v_dual_lshrrev_b32 v61, s49, v61 :: v_dual_bitop2_b32 v60, v140, v60 bitop3:0x14
	s_delay_alu instid0(VALU_DEP_1) | instskip(NEXT) | instid1(VALU_DEP_1)
	v_and_b32_e32 v61, s52, v61
	v_lshlrev_b32_e32 v61, 2, v61
	ds_load_b32 v61, v61
	s_wait_dscnt 0x0
	v_add_nc_u32_e32 v61, v61, v78
	global_store_b16 v61, v60, s[40:41] scale_offset
	s_wait_xcnt 0x0
	s_or_b32 exec_lo, exec_lo, s27
	v_cmp_lt_u32_e64 s26, v79, v139
	s_and_saveexec_b32 s28, s26
	s_cbranch_execz .LBB1937_1065
.LBB1937_1133:                          ;   in Loop: Header=BB1937_974 Depth=2
	ds_load_u16 v60, v93 offset:7168
	s_wait_dscnt 0x0
	v_cmp_ne_u16_e64 s27, 0x8000, v60
	s_delay_alu instid0(VALU_DEP_1) | instskip(SKIP_1) | instid1(VALU_DEP_2)
	v_cndmask_b32_e64 v61, 0x7fff, v60, s27
	v_cmp_gt_i16_e64 s27, 0, v60
	v_and_b32_e32 v61, 0xffff, v61
	s_delay_alu instid0(VALU_DEP_2) | instskip(NEXT) | instid1(VALU_DEP_1)
	v_cndmask_b32_e64 v140, 0x7fff, 0, s27
	v_dual_lshrrev_b32 v61, s49, v61 :: v_dual_bitop2_b32 v60, v140, v60 bitop3:0x14
	s_delay_alu instid0(VALU_DEP_1) | instskip(NEXT) | instid1(VALU_DEP_1)
	v_and_b32_e32 v61, s52, v61
	v_lshlrev_b32_e32 v61, 2, v61
	ds_load_b32 v61, v61
	s_wait_dscnt 0x0
	v_add_nc_u32_e32 v61, v61, v79
	global_store_b16 v61, v60, s[40:41] scale_offset
	s_wait_xcnt 0x0
	s_or_b32 exec_lo, exec_lo, s28
	v_cmp_lt_u32_e64 s27, v80, v139
	s_and_saveexec_b32 s29, s27
	s_cbranch_execz .LBB1937_1066
.LBB1937_1134:                          ;   in Loop: Header=BB1937_974 Depth=2
	ds_load_u16 v60, v93 offset:7680
	s_wait_dscnt 0x0
	v_cmp_ne_u16_e64 s28, 0x8000, v60
	s_delay_alu instid0(VALU_DEP_1) | instskip(SKIP_1) | instid1(VALU_DEP_2)
	v_cndmask_b32_e64 v61, 0x7fff, v60, s28
	v_cmp_gt_i16_e64 s28, 0, v60
	v_and_b32_e32 v61, 0xffff, v61
	s_delay_alu instid0(VALU_DEP_2) | instskip(NEXT) | instid1(VALU_DEP_1)
	v_cndmask_b32_e64 v140, 0x7fff, 0, s28
	v_dual_lshrrev_b32 v61, s49, v61 :: v_dual_bitop2_b32 v60, v140, v60 bitop3:0x14
	s_delay_alu instid0(VALU_DEP_1) | instskip(NEXT) | instid1(VALU_DEP_1)
	v_and_b32_e32 v61, s52, v61
	v_lshlrev_b32_e32 v61, 2, v61
	ds_load_b32 v61, v61
	s_wait_dscnt 0x0
	v_add_nc_u32_e32 v61, v61, v80
	global_store_b16 v61, v60, s[40:41] scale_offset
	s_wait_xcnt 0x0
	s_or_b32 exec_lo, exec_lo, s29
	v_cmp_lt_u32_e64 s28, v81, v139
	s_and_saveexec_b32 s30, s28
	s_cbranch_execz .LBB1937_1067
.LBB1937_1135:                          ;   in Loop: Header=BB1937_974 Depth=2
	ds_load_u16 v60, v93 offset:8192
	s_wait_dscnt 0x0
	v_cmp_ne_u16_e64 s29, 0x8000, v60
	s_delay_alu instid0(VALU_DEP_1) | instskip(SKIP_1) | instid1(VALU_DEP_2)
	v_cndmask_b32_e64 v61, 0x7fff, v60, s29
	v_cmp_gt_i16_e64 s29, 0, v60
	v_and_b32_e32 v61, 0xffff, v61
	s_delay_alu instid0(VALU_DEP_2) | instskip(NEXT) | instid1(VALU_DEP_1)
	v_cndmask_b32_e64 v140, 0x7fff, 0, s29
	v_dual_lshrrev_b32 v61, s49, v61 :: v_dual_bitop2_b32 v60, v140, v60 bitop3:0x14
	s_delay_alu instid0(VALU_DEP_1) | instskip(NEXT) | instid1(VALU_DEP_1)
	v_and_b32_e32 v61, s52, v61
	v_lshlrev_b32_e32 v61, 2, v61
	ds_load_b32 v61, v61
	s_wait_dscnt 0x0
	v_add_nc_u32_e32 v61, v61, v81
	global_store_b16 v61, v60, s[40:41] scale_offset
	s_wait_xcnt 0x0
	s_or_b32 exec_lo, exec_lo, s30
	v_cmp_lt_u32_e64 s29, v82, v139
	s_and_saveexec_b32 s58, s29
	s_cbranch_execnz .LBB1937_1068
	s_branch .LBB1937_1069
.LBB1937_1136:                          ;   in Loop: Header=BB1937_974 Depth=2
	global_load_b64 v[58:59], v[60:61], off
	s_wait_xcnt 0x0
	s_or_b32 exec_lo, exec_lo, s30
	s_delay_alu instid0(SALU_CYCLE_1)
	s_mov_b32 s42, exec_lo
	v_cmpx_lt_u32_e64 v103, v139
	s_cbranch_execz .LBB1937_1071
.LBB1937_1137:                          ;   in Loop: Header=BB1937_974 Depth=2
	global_load_b64 v[56:57], v[60:61], off offset:256
	s_wait_xcnt 0x0
	s_or_b32 exec_lo, exec_lo, s42
	s_delay_alu instid0(SALU_CYCLE_1)
	s_mov_b32 s42, exec_lo
	v_cmpx_lt_u32_e64 v104, v139
	s_cbranch_execz .LBB1937_1072
.LBB1937_1138:                          ;   in Loop: Header=BB1937_974 Depth=2
	global_load_b64 v[54:55], v[60:61], off offset:512
	s_wait_xcnt 0x0
	s_or_b32 exec_lo, exec_lo, s42
	s_delay_alu instid0(SALU_CYCLE_1)
	s_mov_b32 s42, exec_lo
	v_cmpx_lt_u32_e64 v105, v139
	s_cbranch_execz .LBB1937_1073
.LBB1937_1139:                          ;   in Loop: Header=BB1937_974 Depth=2
	global_load_b64 v[52:53], v[60:61], off offset:768
	s_wait_xcnt 0x0
	s_or_b32 exec_lo, exec_lo, s42
	s_delay_alu instid0(SALU_CYCLE_1)
	s_mov_b32 s42, exec_lo
	v_cmpx_lt_u32_e64 v106, v139
	s_cbranch_execz .LBB1937_1074
.LBB1937_1140:                          ;   in Loop: Header=BB1937_974 Depth=2
	global_load_b64 v[50:51], v[60:61], off offset:1024
	s_wait_xcnt 0x0
	s_or_b32 exec_lo, exec_lo, s42
	s_delay_alu instid0(SALU_CYCLE_1)
	s_mov_b32 s42, exec_lo
	v_cmpx_lt_u32_e64 v107, v139
	s_cbranch_execz .LBB1937_1075
.LBB1937_1141:                          ;   in Loop: Header=BB1937_974 Depth=2
	global_load_b64 v[48:49], v[60:61], off offset:1280
	s_wait_xcnt 0x0
	s_or_b32 exec_lo, exec_lo, s42
	s_delay_alu instid0(SALU_CYCLE_1)
	s_mov_b32 s42, exec_lo
	v_cmpx_lt_u32_e64 v108, v139
	s_cbranch_execz .LBB1937_1076
.LBB1937_1142:                          ;   in Loop: Header=BB1937_974 Depth=2
	global_load_b64 v[46:47], v[60:61], off offset:1536
	s_wait_xcnt 0x0
	s_or_b32 exec_lo, exec_lo, s42
	s_delay_alu instid0(SALU_CYCLE_1)
	s_mov_b32 s42, exec_lo
	v_cmpx_lt_u32_e64 v109, v139
	s_cbranch_execz .LBB1937_1077
.LBB1937_1143:                          ;   in Loop: Header=BB1937_974 Depth=2
	global_load_b64 v[44:45], v[60:61], off offset:1792
	s_wait_xcnt 0x0
	s_or_b32 exec_lo, exec_lo, s42
	s_delay_alu instid0(SALU_CYCLE_1)
	s_mov_b32 s42, exec_lo
	v_cmpx_lt_u32_e64 v110, v139
	s_cbranch_execz .LBB1937_1078
.LBB1937_1144:                          ;   in Loop: Header=BB1937_974 Depth=2
	global_load_b64 v[42:43], v[60:61], off offset:2048
	s_wait_xcnt 0x0
	s_or_b32 exec_lo, exec_lo, s42
	s_delay_alu instid0(SALU_CYCLE_1)
	s_mov_b32 s42, exec_lo
	v_cmpx_lt_u32_e64 v111, v139
	s_cbranch_execz .LBB1937_1079
.LBB1937_1145:                          ;   in Loop: Header=BB1937_974 Depth=2
	global_load_b64 v[40:41], v[60:61], off offset:2304
	s_wait_xcnt 0x0
	s_or_b32 exec_lo, exec_lo, s42
	s_delay_alu instid0(SALU_CYCLE_1)
	s_mov_b32 s42, exec_lo
	v_cmpx_lt_u32_e64 v112, v139
	s_cbranch_execz .LBB1937_1080
.LBB1937_1146:                          ;   in Loop: Header=BB1937_974 Depth=2
	global_load_b64 v[38:39], v[60:61], off offset:2560
	s_wait_xcnt 0x0
	s_or_b32 exec_lo, exec_lo, s42
	s_delay_alu instid0(SALU_CYCLE_1)
	s_mov_b32 s42, exec_lo
	v_cmpx_lt_u32_e64 v113, v139
	s_cbranch_execz .LBB1937_1081
.LBB1937_1147:                          ;   in Loop: Header=BB1937_974 Depth=2
	global_load_b64 v[36:37], v[60:61], off offset:2816
	s_wait_xcnt 0x0
	s_or_b32 exec_lo, exec_lo, s42
	s_delay_alu instid0(SALU_CYCLE_1)
	s_mov_b32 s42, exec_lo
	v_cmpx_lt_u32_e64 v114, v139
	s_cbranch_execz .LBB1937_1082
.LBB1937_1148:                          ;   in Loop: Header=BB1937_974 Depth=2
	global_load_b64 v[34:35], v[60:61], off offset:3072
	s_wait_xcnt 0x0
	s_or_b32 exec_lo, exec_lo, s42
	s_delay_alu instid0(SALU_CYCLE_1)
	s_mov_b32 s42, exec_lo
	v_cmpx_lt_u32_e64 v115, v139
	s_cbranch_execz .LBB1937_1083
.LBB1937_1149:                          ;   in Loop: Header=BB1937_974 Depth=2
	global_load_b64 v[32:33], v[60:61], off offset:3328
	s_wait_xcnt 0x0
	s_or_b32 exec_lo, exec_lo, s42
	s_delay_alu instid0(SALU_CYCLE_1)
	s_mov_b32 s42, exec_lo
	v_cmpx_lt_u32_e64 v116, v139
	s_cbranch_execz .LBB1937_1084
.LBB1937_1150:                          ;   in Loop: Header=BB1937_974 Depth=2
	global_load_b64 v[30:31], v[60:61], off offset:3584
	s_wait_xcnt 0x0
	s_or_b32 exec_lo, exec_lo, s42
	s_delay_alu instid0(SALU_CYCLE_1)
	s_mov_b32 s42, exec_lo
	v_cmpx_lt_u32_e64 v117, v139
	s_cbranch_execz .LBB1937_1085
.LBB1937_1151:                          ;   in Loop: Header=BB1937_974 Depth=2
	global_load_b64 v[28:29], v[60:61], off offset:3840
	s_wait_xcnt 0x0
	s_or_b32 exec_lo, exec_lo, s42
	s_and_saveexec_b32 s42, vcc_lo
	s_cbranch_execz .LBB1937_1086
.LBB1937_1152:                          ;   in Loop: Header=BB1937_974 Depth=2
	ds_load_u16 v60, v93 offset:1024
	s_wait_dscnt 0x0
	v_cmp_ne_u16_e64 s30, 0x8000, v60
	s_delay_alu instid0(VALU_DEP_1) | instskip(NEXT) | instid1(VALU_DEP_1)
	v_cndmask_b32_e64 v60, 0x7fff, v60, s30
	v_and_b32_e32 v60, 0xffff, v60
	s_delay_alu instid0(VALU_DEP_1) | instskip(NEXT) | instid1(VALU_DEP_1)
	v_lshrrev_b32_e32 v60, s49, v60
	v_and_b32_e32 v138, s52, v60
	s_or_b32 exec_lo, exec_lo, s42
	s_and_saveexec_b32 s42, s15
	s_cbranch_execz .LBB1937_1087
.LBB1937_1153:                          ;   in Loop: Header=BB1937_974 Depth=2
	ds_load_u16 v60, v93 offset:1536
	s_wait_dscnt 0x0
	v_cmp_ne_u16_e64 s30, 0x8000, v60
	s_delay_alu instid0(VALU_DEP_1) | instskip(NEXT) | instid1(VALU_DEP_1)
	v_cndmask_b32_e64 v60, 0x7fff, v60, s30
	v_and_b32_e32 v60, 0xffff, v60
	s_delay_alu instid0(VALU_DEP_1) | instskip(NEXT) | instid1(VALU_DEP_1)
	v_lshrrev_b32_e32 v60, s49, v60
	v_and_b32_e32 v137, s52, v60
	s_or_b32 exec_lo, exec_lo, s42
	s_and_saveexec_b32 s42, s16
	s_cbranch_execz .LBB1937_1088
.LBB1937_1154:                          ;   in Loop: Header=BB1937_974 Depth=2
	ds_load_u16 v60, v93 offset:2048
	s_wait_dscnt 0x0
	v_cmp_ne_u16_e64 s30, 0x8000, v60
	s_delay_alu instid0(VALU_DEP_1) | instskip(NEXT) | instid1(VALU_DEP_1)
	v_cndmask_b32_e64 v60, 0x7fff, v60, s30
	v_and_b32_e32 v60, 0xffff, v60
	s_delay_alu instid0(VALU_DEP_1) | instskip(NEXT) | instid1(VALU_DEP_1)
	v_lshrrev_b32_e32 v60, s49, v60
	v_and_b32_e32 v136, s52, v60
	s_or_b32 exec_lo, exec_lo, s42
	s_and_saveexec_b32 s42, s17
	s_cbranch_execz .LBB1937_1089
.LBB1937_1155:                          ;   in Loop: Header=BB1937_974 Depth=2
	ds_load_u16 v60, v93 offset:2560
	s_wait_dscnt 0x0
	v_cmp_ne_u16_e64 s30, 0x8000, v60
	s_delay_alu instid0(VALU_DEP_1) | instskip(NEXT) | instid1(VALU_DEP_1)
	v_cndmask_b32_e64 v60, 0x7fff, v60, s30
	v_and_b32_e32 v60, 0xffff, v60
	s_delay_alu instid0(VALU_DEP_1) | instskip(NEXT) | instid1(VALU_DEP_1)
	v_lshrrev_b32_e32 v60, s49, v60
	v_and_b32_e32 v135, s52, v60
	s_or_b32 exec_lo, exec_lo, s42
	s_and_saveexec_b32 s42, s18
	s_cbranch_execz .LBB1937_1090
.LBB1937_1156:                          ;   in Loop: Header=BB1937_974 Depth=2
	ds_load_u16 v60, v93 offset:3072
	s_wait_dscnt 0x0
	v_cmp_ne_u16_e64 s30, 0x8000, v60
	s_delay_alu instid0(VALU_DEP_1) | instskip(NEXT) | instid1(VALU_DEP_1)
	v_cndmask_b32_e64 v60, 0x7fff, v60, s30
	v_and_b32_e32 v60, 0xffff, v60
	s_delay_alu instid0(VALU_DEP_1) | instskip(NEXT) | instid1(VALU_DEP_1)
	v_lshrrev_b32_e32 v60, s49, v60
	v_and_b32_e32 v134, s52, v60
	s_or_b32 exec_lo, exec_lo, s42
	s_and_saveexec_b32 s42, s19
	s_cbranch_execz .LBB1937_1091
.LBB1937_1157:                          ;   in Loop: Header=BB1937_974 Depth=2
	ds_load_u16 v60, v93 offset:3584
	s_wait_dscnt 0x0
	v_cmp_ne_u16_e64 s30, 0x8000, v60
	s_delay_alu instid0(VALU_DEP_1) | instskip(NEXT) | instid1(VALU_DEP_1)
	v_cndmask_b32_e64 v60, 0x7fff, v60, s30
	v_and_b32_e32 v60, 0xffff, v60
	s_delay_alu instid0(VALU_DEP_1) | instskip(NEXT) | instid1(VALU_DEP_1)
	v_lshrrev_b32_e32 v60, s49, v60
	v_and_b32_e32 v133, s52, v60
	s_or_b32 exec_lo, exec_lo, s42
	s_and_saveexec_b32 s42, s20
	s_cbranch_execz .LBB1937_1092
.LBB1937_1158:                          ;   in Loop: Header=BB1937_974 Depth=2
	ds_load_u16 v60, v93 offset:4096
	s_wait_dscnt 0x0
	v_cmp_ne_u16_e64 s30, 0x8000, v60
	s_delay_alu instid0(VALU_DEP_1) | instskip(NEXT) | instid1(VALU_DEP_1)
	v_cndmask_b32_e64 v60, 0x7fff, v60, s30
	v_and_b32_e32 v60, 0xffff, v60
	s_delay_alu instid0(VALU_DEP_1) | instskip(NEXT) | instid1(VALU_DEP_1)
	v_lshrrev_b32_e32 v60, s49, v60
	v_and_b32_e32 v132, s52, v60
	s_or_b32 exec_lo, exec_lo, s42
	s_and_saveexec_b32 s42, s21
	s_cbranch_execz .LBB1937_1093
.LBB1937_1159:                          ;   in Loop: Header=BB1937_974 Depth=2
	ds_load_u16 v60, v93 offset:4608
	s_wait_dscnt 0x0
	v_cmp_ne_u16_e64 s30, 0x8000, v60
	s_delay_alu instid0(VALU_DEP_1) | instskip(NEXT) | instid1(VALU_DEP_1)
	v_cndmask_b32_e64 v60, 0x7fff, v60, s30
	v_and_b32_e32 v60, 0xffff, v60
	s_delay_alu instid0(VALU_DEP_1) | instskip(NEXT) | instid1(VALU_DEP_1)
	v_lshrrev_b32_e32 v60, s49, v60
	v_and_b32_e32 v131, s52, v60
	s_or_b32 exec_lo, exec_lo, s42
	s_and_saveexec_b32 s42, s22
	s_cbranch_execz .LBB1937_1094
.LBB1937_1160:                          ;   in Loop: Header=BB1937_974 Depth=2
	ds_load_u16 v60, v93 offset:5120
	s_wait_dscnt 0x0
	v_cmp_ne_u16_e64 s30, 0x8000, v60
	s_delay_alu instid0(VALU_DEP_1) | instskip(NEXT) | instid1(VALU_DEP_1)
	v_cndmask_b32_e64 v60, 0x7fff, v60, s30
	v_and_b32_e32 v60, 0xffff, v60
	s_delay_alu instid0(VALU_DEP_1) | instskip(NEXT) | instid1(VALU_DEP_1)
	v_lshrrev_b32_e32 v60, s49, v60
	v_and_b32_e32 v130, s52, v60
	s_or_b32 exec_lo, exec_lo, s42
	s_and_saveexec_b32 s42, s23
	s_cbranch_execz .LBB1937_1095
.LBB1937_1161:                          ;   in Loop: Header=BB1937_974 Depth=2
	ds_load_u16 v60, v93 offset:5632
	s_wait_dscnt 0x0
	v_cmp_ne_u16_e64 s30, 0x8000, v60
	s_delay_alu instid0(VALU_DEP_1) | instskip(NEXT) | instid1(VALU_DEP_1)
	v_cndmask_b32_e64 v60, 0x7fff, v60, s30
	v_and_b32_e32 v60, 0xffff, v60
	s_delay_alu instid0(VALU_DEP_1) | instskip(NEXT) | instid1(VALU_DEP_1)
	v_lshrrev_b32_e32 v60, s49, v60
	v_and_b32_e32 v129, s52, v60
	s_or_b32 exec_lo, exec_lo, s42
	s_and_saveexec_b32 s42, s24
	s_cbranch_execz .LBB1937_1096
.LBB1937_1162:                          ;   in Loop: Header=BB1937_974 Depth=2
	ds_load_u16 v60, v93 offset:6144
	s_wait_dscnt 0x0
	v_cmp_ne_u16_e64 s30, 0x8000, v60
	s_delay_alu instid0(VALU_DEP_1) | instskip(NEXT) | instid1(VALU_DEP_1)
	v_cndmask_b32_e64 v60, 0x7fff, v60, s30
	v_and_b32_e32 v60, 0xffff, v60
	s_delay_alu instid0(VALU_DEP_1) | instskip(NEXT) | instid1(VALU_DEP_1)
	v_lshrrev_b32_e32 v60, s49, v60
	v_and_b32_e32 v128, s52, v60
	s_or_b32 exec_lo, exec_lo, s42
	s_and_saveexec_b32 s42, s25
	s_cbranch_execz .LBB1937_1097
.LBB1937_1163:                          ;   in Loop: Header=BB1937_974 Depth=2
	ds_load_u16 v60, v93 offset:6656
	s_wait_dscnt 0x0
	v_cmp_ne_u16_e64 s30, 0x8000, v60
	s_delay_alu instid0(VALU_DEP_1) | instskip(NEXT) | instid1(VALU_DEP_1)
	v_cndmask_b32_e64 v60, 0x7fff, v60, s30
	v_and_b32_e32 v60, 0xffff, v60
	s_delay_alu instid0(VALU_DEP_1) | instskip(NEXT) | instid1(VALU_DEP_1)
	v_lshrrev_b32_e32 v60, s49, v60
	v_and_b32_e32 v127, s52, v60
	s_or_b32 exec_lo, exec_lo, s42
	s_and_saveexec_b32 s42, s26
	s_cbranch_execz .LBB1937_1098
.LBB1937_1164:                          ;   in Loop: Header=BB1937_974 Depth=2
	ds_load_u16 v60, v93 offset:7168
	s_wait_dscnt 0x0
	v_cmp_ne_u16_e64 s30, 0x8000, v60
	s_delay_alu instid0(VALU_DEP_1) | instskip(NEXT) | instid1(VALU_DEP_1)
	v_cndmask_b32_e64 v60, 0x7fff, v60, s30
	v_and_b32_e32 v60, 0xffff, v60
	s_delay_alu instid0(VALU_DEP_1) | instskip(NEXT) | instid1(VALU_DEP_1)
	v_lshrrev_b32_e32 v60, s49, v60
	v_and_b32_e32 v126, s52, v60
	s_or_b32 exec_lo, exec_lo, s42
	s_and_saveexec_b32 s42, s27
	s_cbranch_execz .LBB1937_1099
.LBB1937_1165:                          ;   in Loop: Header=BB1937_974 Depth=2
	ds_load_u16 v60, v93 offset:7680
	s_wait_dscnt 0x0
	v_cmp_ne_u16_e64 s30, 0x8000, v60
	s_delay_alu instid0(VALU_DEP_1) | instskip(NEXT) | instid1(VALU_DEP_1)
	v_cndmask_b32_e64 v60, 0x7fff, v60, s30
	v_and_b32_e32 v60, 0xffff, v60
	s_delay_alu instid0(VALU_DEP_1) | instskip(NEXT) | instid1(VALU_DEP_1)
	v_lshrrev_b32_e32 v60, s49, v60
	v_and_b32_e32 v125, s52, v60
	s_or_b32 exec_lo, exec_lo, s42
	s_and_saveexec_b32 s42, s28
	s_cbranch_execz .LBB1937_1100
.LBB1937_1166:                          ;   in Loop: Header=BB1937_974 Depth=2
	ds_load_u16 v60, v93 offset:8192
	s_wait_dscnt 0x0
	v_cmp_ne_u16_e64 s30, 0x8000, v60
	s_delay_alu instid0(VALU_DEP_1) | instskip(NEXT) | instid1(VALU_DEP_1)
	v_cndmask_b32_e64 v60, 0x7fff, v60, s30
	v_and_b32_e32 v60, 0xffff, v60
	s_delay_alu instid0(VALU_DEP_1) | instskip(NEXT) | instid1(VALU_DEP_1)
	v_lshrrev_b32_e32 v60, s49, v60
	v_and_b32_e32 v124, s52, v60
	s_or_b32 exec_lo, exec_lo, s42
	s_and_saveexec_b32 s42, s29
	s_cbranch_execnz .LBB1937_1101
	s_branch .LBB1937_1102
.LBB1937_1167:                          ;   in Loop: Header=BB1937_974 Depth=2
	v_lshlrev_b32_e32 v61, 2, v138
	ds_load_b32 v61, v61
	ds_load_b64 v[64:65], v60 offset:1024
	s_wait_dscnt 0x1
	v_add_nc_u32_e32 v61, v61, v2
	s_wait_dscnt 0x0
	global_store_b64 v61, v[64:65], s[46:47] scale_offset
	s_wait_xcnt 0x0
	s_or_b32 exec_lo, exec_lo, s30
	s_and_saveexec_b32 s30, s15
	s_cbranch_execz .LBB1937_1104
.LBB1937_1168:                          ;   in Loop: Header=BB1937_974 Depth=2
	v_lshlrev_b32_e32 v61, 2, v137
	ds_load_b32 v61, v61
	ds_load_b64 v[64:65], v60 offset:3072
	s_wait_dscnt 0x1
	v_add_nc_u32_e32 v61, v61, v68
	s_wait_dscnt 0x0
	global_store_b64 v61, v[64:65], s[46:47] scale_offset
	s_wait_xcnt 0x0
	s_or_b32 exec_lo, exec_lo, s30
	s_and_saveexec_b32 s15, s16
	s_cbranch_execz .LBB1937_1105
.LBB1937_1169:                          ;   in Loop: Header=BB1937_974 Depth=2
	v_lshlrev_b32_e32 v61, 2, v136
	ds_load_b32 v61, v61
	ds_load_b64 v[64:65], v60 offset:5120
	s_wait_dscnt 0x1
	v_add_nc_u32_e32 v61, v61, v69
	s_wait_dscnt 0x0
	global_store_b64 v61, v[64:65], s[46:47] scale_offset
	s_wait_xcnt 0x0
	s_or_b32 exec_lo, exec_lo, s15
	s_and_saveexec_b32 s15, s17
	s_cbranch_execz .LBB1937_1106
.LBB1937_1170:                          ;   in Loop: Header=BB1937_974 Depth=2
	v_lshlrev_b32_e32 v61, 2, v135
	ds_load_b32 v61, v61
	ds_load_b64 v[64:65], v60 offset:7168
	s_wait_dscnt 0x1
	v_add_nc_u32_e32 v61, v61, v70
	s_wait_dscnt 0x0
	global_store_b64 v61, v[64:65], s[46:47] scale_offset
	s_wait_xcnt 0x0
	s_or_b32 exec_lo, exec_lo, s15
	s_and_saveexec_b32 s15, s18
	s_cbranch_execz .LBB1937_1107
.LBB1937_1171:                          ;   in Loop: Header=BB1937_974 Depth=2
	v_lshlrev_b32_e32 v61, 2, v134
	ds_load_b32 v61, v61
	ds_load_b64 v[64:65], v60 offset:9216
	s_wait_dscnt 0x1
	v_add_nc_u32_e32 v61, v61, v71
	s_wait_dscnt 0x0
	global_store_b64 v61, v[64:65], s[46:47] scale_offset
	s_wait_xcnt 0x0
	s_or_b32 exec_lo, exec_lo, s15
	s_and_saveexec_b32 s15, s19
	s_cbranch_execz .LBB1937_1108
.LBB1937_1172:                          ;   in Loop: Header=BB1937_974 Depth=2
	v_lshlrev_b32_e32 v61, 2, v133
	ds_load_b32 v61, v61
	ds_load_b64 v[64:65], v60 offset:11264
	s_wait_dscnt 0x1
	v_add_nc_u32_e32 v61, v61, v72
	s_wait_dscnt 0x0
	global_store_b64 v61, v[64:65], s[46:47] scale_offset
	s_wait_xcnt 0x0
	s_or_b32 exec_lo, exec_lo, s15
	s_and_saveexec_b32 s15, s20
	s_cbranch_execz .LBB1937_1109
.LBB1937_1173:                          ;   in Loop: Header=BB1937_974 Depth=2
	v_lshlrev_b32_e32 v61, 2, v132
	ds_load_b32 v61, v61
	ds_load_b64 v[64:65], v60 offset:13312
	s_wait_dscnt 0x1
	v_add_nc_u32_e32 v61, v61, v73
	s_wait_dscnt 0x0
	global_store_b64 v61, v[64:65], s[46:47] scale_offset
	s_wait_xcnt 0x0
	s_or_b32 exec_lo, exec_lo, s15
	s_and_saveexec_b32 s15, s21
	s_cbranch_execz .LBB1937_1110
.LBB1937_1174:                          ;   in Loop: Header=BB1937_974 Depth=2
	v_lshlrev_b32_e32 v61, 2, v131
	ds_load_b32 v61, v61
	ds_load_b64 v[64:65], v60 offset:15360
	s_wait_dscnt 0x1
	v_add_nc_u32_e32 v61, v61, v74
	s_wait_dscnt 0x0
	global_store_b64 v61, v[64:65], s[46:47] scale_offset
	s_wait_xcnt 0x0
	s_or_b32 exec_lo, exec_lo, s15
	s_and_saveexec_b32 s15, s22
	s_cbranch_execz .LBB1937_1111
.LBB1937_1175:                          ;   in Loop: Header=BB1937_974 Depth=2
	v_lshlrev_b32_e32 v61, 2, v130
	ds_load_b32 v61, v61
	ds_load_b64 v[64:65], v60 offset:17408
	s_wait_dscnt 0x1
	v_add_nc_u32_e32 v61, v61, v75
	s_wait_dscnt 0x0
	global_store_b64 v61, v[64:65], s[46:47] scale_offset
	s_wait_xcnt 0x0
	s_or_b32 exec_lo, exec_lo, s15
	s_and_saveexec_b32 s15, s23
	s_cbranch_execz .LBB1937_1112
.LBB1937_1176:                          ;   in Loop: Header=BB1937_974 Depth=2
	v_lshlrev_b32_e32 v61, 2, v129
	ds_load_b32 v61, v61
	ds_load_b64 v[64:65], v60 offset:19456
	s_wait_dscnt 0x1
	v_add_nc_u32_e32 v61, v61, v76
	s_wait_dscnt 0x0
	global_store_b64 v61, v[64:65], s[46:47] scale_offset
	s_wait_xcnt 0x0
	s_or_b32 exec_lo, exec_lo, s15
	s_and_saveexec_b32 s15, s24
	s_cbranch_execz .LBB1937_1113
.LBB1937_1177:                          ;   in Loop: Header=BB1937_974 Depth=2
	v_lshlrev_b32_e32 v61, 2, v128
	ds_load_b32 v61, v61
	ds_load_b64 v[64:65], v60 offset:21504
	s_wait_dscnt 0x1
	v_add_nc_u32_e32 v61, v61, v77
	s_wait_dscnt 0x0
	global_store_b64 v61, v[64:65], s[46:47] scale_offset
	s_wait_xcnt 0x0
	s_or_b32 exec_lo, exec_lo, s15
	s_and_saveexec_b32 s15, s25
	s_cbranch_execz .LBB1937_1114
.LBB1937_1178:                          ;   in Loop: Header=BB1937_974 Depth=2
	v_lshlrev_b32_e32 v61, 2, v127
	ds_load_b32 v61, v61
	ds_load_b64 v[64:65], v60 offset:23552
	s_wait_dscnt 0x1
	v_add_nc_u32_e32 v61, v61, v78
	s_wait_dscnt 0x0
	global_store_b64 v61, v[64:65], s[46:47] scale_offset
	s_wait_xcnt 0x0
	s_or_b32 exec_lo, exec_lo, s15
	s_and_saveexec_b32 s15, s26
	s_cbranch_execz .LBB1937_1115
.LBB1937_1179:                          ;   in Loop: Header=BB1937_974 Depth=2
	v_lshlrev_b32_e32 v61, 2, v126
	ds_load_b32 v61, v61
	ds_load_b64 v[64:65], v60 offset:25600
	s_wait_dscnt 0x1
	v_add_nc_u32_e32 v61, v61, v79
	s_wait_dscnt 0x0
	global_store_b64 v61, v[64:65], s[46:47] scale_offset
	s_wait_xcnt 0x0
	s_or_b32 exec_lo, exec_lo, s15
	s_and_saveexec_b32 s15, s27
	s_cbranch_execz .LBB1937_1116
.LBB1937_1180:                          ;   in Loop: Header=BB1937_974 Depth=2
	v_lshlrev_b32_e32 v61, 2, v125
	ds_load_b32 v61, v61
	ds_load_b64 v[64:65], v60 offset:27648
	s_wait_dscnt 0x1
	v_add_nc_u32_e32 v61, v61, v80
	s_wait_dscnt 0x0
	global_store_b64 v61, v[64:65], s[46:47] scale_offset
	s_wait_xcnt 0x0
	s_or_b32 exec_lo, exec_lo, s15
	s_and_saveexec_b32 s15, s28
	s_cbranch_execz .LBB1937_1117
.LBB1937_1181:                          ;   in Loop: Header=BB1937_974 Depth=2
	v_lshlrev_b32_e32 v61, 2, v124
	ds_load_b32 v61, v61
	ds_load_b64 v[64:65], v60 offset:29696
	s_wait_dscnt 0x1
	v_add_nc_u32_e32 v61, v61, v81
	s_wait_dscnt 0x0
	global_store_b64 v61, v[64:65], s[46:47] scale_offset
	s_wait_xcnt 0x0
	s_or_b32 exec_lo, exec_lo, s15
	s_and_saveexec_b32 s15, s29
	s_cbranch_execnz .LBB1937_1118
	s_branch .LBB1937_1119
.LBB1937_1182:
	s_endpgm
	.section	.rodata,"a",@progbits
	.p2align	6, 0x0
	.amdhsa_kernel _ZN7rocprim17ROCPRIM_400000_NS6detail17trampoline_kernelINS0_14default_configENS1_36segmented_radix_sort_config_selectorI12hip_bfloat16lEEZNS1_25segmented_radix_sort_implIS3_Lb1EPKS5_PS5_PKlPlN2at6native12_GLOBAL__N_18offset_tEEE10hipError_tPvRmT1_PNSt15iterator_traitsISL_E10value_typeET2_T3_PNSM_ISR_E10value_typeET4_jRbjT5_SX_jjP12ihipStream_tbEUlT_E_NS1_11comp_targetILNS1_3genE0ELNS1_11target_archE4294967295ELNS1_3gpuE0ELNS1_3repE0EEENS1_30default_config_static_selectorELNS0_4arch9wavefront6targetE0EEEvSL_
		.amdhsa_group_segment_fixed_size 33824
		.amdhsa_private_segment_fixed_size 0
		.amdhsa_kernarg_size 352
		.amdhsa_user_sgpr_count 4
		.amdhsa_user_sgpr_dispatch_ptr 0
		.amdhsa_user_sgpr_queue_ptr 1
		.amdhsa_user_sgpr_kernarg_segment_ptr 1
		.amdhsa_user_sgpr_dispatch_id 0
		.amdhsa_user_sgpr_kernarg_preload_length 0
		.amdhsa_user_sgpr_kernarg_preload_offset 0
		.amdhsa_user_sgpr_private_segment_size 0
		.amdhsa_wavefront_size32 1
		.amdhsa_uses_dynamic_stack 0
		.amdhsa_enable_private_segment 0
		.amdhsa_system_sgpr_workgroup_id_x 1
		.amdhsa_system_sgpr_workgroup_id_y 1
		.amdhsa_system_sgpr_workgroup_id_z 0
		.amdhsa_system_sgpr_workgroup_info 0
		.amdhsa_system_vgpr_workitem_id 2
		.amdhsa_next_free_vgpr 304
		.amdhsa_next_free_sgpr 59
		.amdhsa_named_barrier_count 0
		.amdhsa_reserve_vcc 1
		.amdhsa_float_round_mode_32 0
		.amdhsa_float_round_mode_16_64 0
		.amdhsa_float_denorm_mode_32 3
		.amdhsa_float_denorm_mode_16_64 3
		.amdhsa_fp16_overflow 0
		.amdhsa_memory_ordered 1
		.amdhsa_forward_progress 1
		.amdhsa_inst_pref_size 255
		.amdhsa_round_robin_scheduling 0
		.amdhsa_exception_fp_ieee_invalid_op 0
		.amdhsa_exception_fp_denorm_src 0
		.amdhsa_exception_fp_ieee_div_zero 0
		.amdhsa_exception_fp_ieee_overflow 0
		.amdhsa_exception_fp_ieee_underflow 0
		.amdhsa_exception_fp_ieee_inexact 0
		.amdhsa_exception_int_div_zero 0
	.end_amdhsa_kernel
	.section	.text._ZN7rocprim17ROCPRIM_400000_NS6detail17trampoline_kernelINS0_14default_configENS1_36segmented_radix_sort_config_selectorI12hip_bfloat16lEEZNS1_25segmented_radix_sort_implIS3_Lb1EPKS5_PS5_PKlPlN2at6native12_GLOBAL__N_18offset_tEEE10hipError_tPvRmT1_PNSt15iterator_traitsISL_E10value_typeET2_T3_PNSM_ISR_E10value_typeET4_jRbjT5_SX_jjP12ihipStream_tbEUlT_E_NS1_11comp_targetILNS1_3genE0ELNS1_11target_archE4294967295ELNS1_3gpuE0ELNS1_3repE0EEENS1_30default_config_static_selectorELNS0_4arch9wavefront6targetE0EEEvSL_,"axG",@progbits,_ZN7rocprim17ROCPRIM_400000_NS6detail17trampoline_kernelINS0_14default_configENS1_36segmented_radix_sort_config_selectorI12hip_bfloat16lEEZNS1_25segmented_radix_sort_implIS3_Lb1EPKS5_PS5_PKlPlN2at6native12_GLOBAL__N_18offset_tEEE10hipError_tPvRmT1_PNSt15iterator_traitsISL_E10value_typeET2_T3_PNSM_ISR_E10value_typeET4_jRbjT5_SX_jjP12ihipStream_tbEUlT_E_NS1_11comp_targetILNS1_3genE0ELNS1_11target_archE4294967295ELNS1_3gpuE0ELNS1_3repE0EEENS1_30default_config_static_selectorELNS0_4arch9wavefront6targetE0EEEvSL_,comdat
.Lfunc_end1937:
	.size	_ZN7rocprim17ROCPRIM_400000_NS6detail17trampoline_kernelINS0_14default_configENS1_36segmented_radix_sort_config_selectorI12hip_bfloat16lEEZNS1_25segmented_radix_sort_implIS3_Lb1EPKS5_PS5_PKlPlN2at6native12_GLOBAL__N_18offset_tEEE10hipError_tPvRmT1_PNSt15iterator_traitsISL_E10value_typeET2_T3_PNSM_ISR_E10value_typeET4_jRbjT5_SX_jjP12ihipStream_tbEUlT_E_NS1_11comp_targetILNS1_3genE0ELNS1_11target_archE4294967295ELNS1_3gpuE0ELNS1_3repE0EEENS1_30default_config_static_selectorELNS0_4arch9wavefront6targetE0EEEvSL_, .Lfunc_end1937-_ZN7rocprim17ROCPRIM_400000_NS6detail17trampoline_kernelINS0_14default_configENS1_36segmented_radix_sort_config_selectorI12hip_bfloat16lEEZNS1_25segmented_radix_sort_implIS3_Lb1EPKS5_PS5_PKlPlN2at6native12_GLOBAL__N_18offset_tEEE10hipError_tPvRmT1_PNSt15iterator_traitsISL_E10value_typeET2_T3_PNSM_ISR_E10value_typeET4_jRbjT5_SX_jjP12ihipStream_tbEUlT_E_NS1_11comp_targetILNS1_3genE0ELNS1_11target_archE4294967295ELNS1_3gpuE0ELNS1_3repE0EEENS1_30default_config_static_selectorELNS0_4arch9wavefront6targetE0EEEvSL_
                                        ; -- End function
	.set _ZN7rocprim17ROCPRIM_400000_NS6detail17trampoline_kernelINS0_14default_configENS1_36segmented_radix_sort_config_selectorI12hip_bfloat16lEEZNS1_25segmented_radix_sort_implIS3_Lb1EPKS5_PS5_PKlPlN2at6native12_GLOBAL__N_18offset_tEEE10hipError_tPvRmT1_PNSt15iterator_traitsISL_E10value_typeET2_T3_PNSM_ISR_E10value_typeET4_jRbjT5_SX_jjP12ihipStream_tbEUlT_E_NS1_11comp_targetILNS1_3genE0ELNS1_11target_archE4294967295ELNS1_3gpuE0ELNS1_3repE0EEENS1_30default_config_static_selectorELNS0_4arch9wavefront6targetE0EEEvSL_.num_vgpr, max(206, .L_ZN7rocprim17ROCPRIM_400000_NS6detail40segmented_radix_sort_single_block_helperI12hip_bfloat16lLj256ELj16ELb1EE4sortIPKS3_PS3_PKlPlEEbT_T0_T1_T2_jjjjRNS4_12storage_typeE.num_vgpr)
	.set _ZN7rocprim17ROCPRIM_400000_NS6detail17trampoline_kernelINS0_14default_configENS1_36segmented_radix_sort_config_selectorI12hip_bfloat16lEEZNS1_25segmented_radix_sort_implIS3_Lb1EPKS5_PS5_PKlPlN2at6native12_GLOBAL__N_18offset_tEEE10hipError_tPvRmT1_PNSt15iterator_traitsISL_E10value_typeET2_T3_PNSM_ISR_E10value_typeET4_jRbjT5_SX_jjP12ihipStream_tbEUlT_E_NS1_11comp_targetILNS1_3genE0ELNS1_11target_archE4294967295ELNS1_3gpuE0ELNS1_3repE0EEENS1_30default_config_static_selectorELNS0_4arch9wavefront6targetE0EEEvSL_.num_agpr, max(0, .L_ZN7rocprim17ROCPRIM_400000_NS6detail40segmented_radix_sort_single_block_helperI12hip_bfloat16lLj256ELj16ELb1EE4sortIPKS3_PS3_PKlPlEEbT_T0_T1_T2_jjjjRNS4_12storage_typeE.num_agpr)
	.set _ZN7rocprim17ROCPRIM_400000_NS6detail17trampoline_kernelINS0_14default_configENS1_36segmented_radix_sort_config_selectorI12hip_bfloat16lEEZNS1_25segmented_radix_sort_implIS3_Lb1EPKS5_PS5_PKlPlN2at6native12_GLOBAL__N_18offset_tEEE10hipError_tPvRmT1_PNSt15iterator_traitsISL_E10value_typeET2_T3_PNSM_ISR_E10value_typeET4_jRbjT5_SX_jjP12ihipStream_tbEUlT_E_NS1_11comp_targetILNS1_3genE0ELNS1_11target_archE4294967295ELNS1_3gpuE0ELNS1_3repE0EEENS1_30default_config_static_selectorELNS0_4arch9wavefront6targetE0EEEvSL_.numbered_sgpr, max(59, .L_ZN7rocprim17ROCPRIM_400000_NS6detail40segmented_radix_sort_single_block_helperI12hip_bfloat16lLj256ELj16ELb1EE4sortIPKS3_PS3_PKlPlEEbT_T0_T1_T2_jjjjRNS4_12storage_typeE.numbered_sgpr)
	.set _ZN7rocprim17ROCPRIM_400000_NS6detail17trampoline_kernelINS0_14default_configENS1_36segmented_radix_sort_config_selectorI12hip_bfloat16lEEZNS1_25segmented_radix_sort_implIS3_Lb1EPKS5_PS5_PKlPlN2at6native12_GLOBAL__N_18offset_tEEE10hipError_tPvRmT1_PNSt15iterator_traitsISL_E10value_typeET2_T3_PNSM_ISR_E10value_typeET4_jRbjT5_SX_jjP12ihipStream_tbEUlT_E_NS1_11comp_targetILNS1_3genE0ELNS1_11target_archE4294967295ELNS1_3gpuE0ELNS1_3repE0EEENS1_30default_config_static_selectorELNS0_4arch9wavefront6targetE0EEEvSL_.num_named_barrier, max(0, .L_ZN7rocprim17ROCPRIM_400000_NS6detail40segmented_radix_sort_single_block_helperI12hip_bfloat16lLj256ELj16ELb1EE4sortIPKS3_PS3_PKlPlEEbT_T0_T1_T2_jjjjRNS4_12storage_typeE.num_named_barrier)
	.set _ZN7rocprim17ROCPRIM_400000_NS6detail17trampoline_kernelINS0_14default_configENS1_36segmented_radix_sort_config_selectorI12hip_bfloat16lEEZNS1_25segmented_radix_sort_implIS3_Lb1EPKS5_PS5_PKlPlN2at6native12_GLOBAL__N_18offset_tEEE10hipError_tPvRmT1_PNSt15iterator_traitsISL_E10value_typeET2_T3_PNSM_ISR_E10value_typeET4_jRbjT5_SX_jjP12ihipStream_tbEUlT_E_NS1_11comp_targetILNS1_3genE0ELNS1_11target_archE4294967295ELNS1_3gpuE0ELNS1_3repE0EEENS1_30default_config_static_selectorELNS0_4arch9wavefront6targetE0EEEvSL_.private_seg_size, 0+max(.L_ZN7rocprim17ROCPRIM_400000_NS6detail40segmented_radix_sort_single_block_helperI12hip_bfloat16lLj256ELj16ELb1EE4sortIPKS3_PS3_PKlPlEEbT_T0_T1_T2_jjjjRNS4_12storage_typeE.private_seg_size)
	.set _ZN7rocprim17ROCPRIM_400000_NS6detail17trampoline_kernelINS0_14default_configENS1_36segmented_radix_sort_config_selectorI12hip_bfloat16lEEZNS1_25segmented_radix_sort_implIS3_Lb1EPKS5_PS5_PKlPlN2at6native12_GLOBAL__N_18offset_tEEE10hipError_tPvRmT1_PNSt15iterator_traitsISL_E10value_typeET2_T3_PNSM_ISR_E10value_typeET4_jRbjT5_SX_jjP12ihipStream_tbEUlT_E_NS1_11comp_targetILNS1_3genE0ELNS1_11target_archE4294967295ELNS1_3gpuE0ELNS1_3repE0EEENS1_30default_config_static_selectorELNS0_4arch9wavefront6targetE0EEEvSL_.uses_vcc, or(1, .L_ZN7rocprim17ROCPRIM_400000_NS6detail40segmented_radix_sort_single_block_helperI12hip_bfloat16lLj256ELj16ELb1EE4sortIPKS3_PS3_PKlPlEEbT_T0_T1_T2_jjjjRNS4_12storage_typeE.uses_vcc)
	.set _ZN7rocprim17ROCPRIM_400000_NS6detail17trampoline_kernelINS0_14default_configENS1_36segmented_radix_sort_config_selectorI12hip_bfloat16lEEZNS1_25segmented_radix_sort_implIS3_Lb1EPKS5_PS5_PKlPlN2at6native12_GLOBAL__N_18offset_tEEE10hipError_tPvRmT1_PNSt15iterator_traitsISL_E10value_typeET2_T3_PNSM_ISR_E10value_typeET4_jRbjT5_SX_jjP12ihipStream_tbEUlT_E_NS1_11comp_targetILNS1_3genE0ELNS1_11target_archE4294967295ELNS1_3gpuE0ELNS1_3repE0EEENS1_30default_config_static_selectorELNS0_4arch9wavefront6targetE0EEEvSL_.uses_flat_scratch, or(0, .L_ZN7rocprim17ROCPRIM_400000_NS6detail40segmented_radix_sort_single_block_helperI12hip_bfloat16lLj256ELj16ELb1EE4sortIPKS3_PS3_PKlPlEEbT_T0_T1_T2_jjjjRNS4_12storage_typeE.uses_flat_scratch)
	.set _ZN7rocprim17ROCPRIM_400000_NS6detail17trampoline_kernelINS0_14default_configENS1_36segmented_radix_sort_config_selectorI12hip_bfloat16lEEZNS1_25segmented_radix_sort_implIS3_Lb1EPKS5_PS5_PKlPlN2at6native12_GLOBAL__N_18offset_tEEE10hipError_tPvRmT1_PNSt15iterator_traitsISL_E10value_typeET2_T3_PNSM_ISR_E10value_typeET4_jRbjT5_SX_jjP12ihipStream_tbEUlT_E_NS1_11comp_targetILNS1_3genE0ELNS1_11target_archE4294967295ELNS1_3gpuE0ELNS1_3repE0EEENS1_30default_config_static_selectorELNS0_4arch9wavefront6targetE0EEEvSL_.has_dyn_sized_stack, or(0, .L_ZN7rocprim17ROCPRIM_400000_NS6detail40segmented_radix_sort_single_block_helperI12hip_bfloat16lLj256ELj16ELb1EE4sortIPKS3_PS3_PKlPlEEbT_T0_T1_T2_jjjjRNS4_12storage_typeE.has_dyn_sized_stack)
	.set _ZN7rocprim17ROCPRIM_400000_NS6detail17trampoline_kernelINS0_14default_configENS1_36segmented_radix_sort_config_selectorI12hip_bfloat16lEEZNS1_25segmented_radix_sort_implIS3_Lb1EPKS5_PS5_PKlPlN2at6native12_GLOBAL__N_18offset_tEEE10hipError_tPvRmT1_PNSt15iterator_traitsISL_E10value_typeET2_T3_PNSM_ISR_E10value_typeET4_jRbjT5_SX_jjP12ihipStream_tbEUlT_E_NS1_11comp_targetILNS1_3genE0ELNS1_11target_archE4294967295ELNS1_3gpuE0ELNS1_3repE0EEENS1_30default_config_static_selectorELNS0_4arch9wavefront6targetE0EEEvSL_.has_recursion, or(0, .L_ZN7rocprim17ROCPRIM_400000_NS6detail40segmented_radix_sort_single_block_helperI12hip_bfloat16lLj256ELj16ELb1EE4sortIPKS3_PS3_PKlPlEEbT_T0_T1_T2_jjjjRNS4_12storage_typeE.has_recursion)
	.set _ZN7rocprim17ROCPRIM_400000_NS6detail17trampoline_kernelINS0_14default_configENS1_36segmented_radix_sort_config_selectorI12hip_bfloat16lEEZNS1_25segmented_radix_sort_implIS3_Lb1EPKS5_PS5_PKlPlN2at6native12_GLOBAL__N_18offset_tEEE10hipError_tPvRmT1_PNSt15iterator_traitsISL_E10value_typeET2_T3_PNSM_ISR_E10value_typeET4_jRbjT5_SX_jjP12ihipStream_tbEUlT_E_NS1_11comp_targetILNS1_3genE0ELNS1_11target_archE4294967295ELNS1_3gpuE0ELNS1_3repE0EEENS1_30default_config_static_selectorELNS0_4arch9wavefront6targetE0EEEvSL_.has_indirect_call, or(0, .L_ZN7rocprim17ROCPRIM_400000_NS6detail40segmented_radix_sort_single_block_helperI12hip_bfloat16lLj256ELj16ELb1EE4sortIPKS3_PS3_PKlPlEEbT_T0_T1_T2_jjjjRNS4_12storage_typeE.has_indirect_call)
	.section	.AMDGPU.csdata,"",@progbits
; Kernel info:
; codeLenInByte = 80596
; TotalNumSgprs: 61
; NumVgprs: 304
; ScratchSize: 0
; MemoryBound: 0
; FloatMode: 240
; IeeeMode: 1
; LDSByteSize: 33824 bytes/workgroup (compile time only)
; SGPRBlocks: 0
; VGPRBlocks: 18
; NumSGPRsForWavesPerEU: 61
; NumVGPRsForWavesPerEU: 304
; NamedBarCnt: 0
; Occupancy: 3
; WaveLimiterHint : 1
; COMPUTE_PGM_RSRC2:SCRATCH_EN: 0
; COMPUTE_PGM_RSRC2:USER_SGPR: 4
; COMPUTE_PGM_RSRC2:TRAP_HANDLER: 0
; COMPUTE_PGM_RSRC2:TGID_X_EN: 1
; COMPUTE_PGM_RSRC2:TGID_Y_EN: 1
; COMPUTE_PGM_RSRC2:TGID_Z_EN: 0
; COMPUTE_PGM_RSRC2:TIDIG_COMP_CNT: 2
	.section	.text._ZN7rocprim17ROCPRIM_400000_NS6detail17trampoline_kernelINS0_14default_configENS1_36segmented_radix_sort_config_selectorI12hip_bfloat16lEEZNS1_25segmented_radix_sort_implIS3_Lb1EPKS5_PS5_PKlPlN2at6native12_GLOBAL__N_18offset_tEEE10hipError_tPvRmT1_PNSt15iterator_traitsISL_E10value_typeET2_T3_PNSM_ISR_E10value_typeET4_jRbjT5_SX_jjP12ihipStream_tbEUlT_E_NS1_11comp_targetILNS1_3genE5ELNS1_11target_archE942ELNS1_3gpuE9ELNS1_3repE0EEENS1_30default_config_static_selectorELNS0_4arch9wavefront6targetE0EEEvSL_,"axG",@progbits,_ZN7rocprim17ROCPRIM_400000_NS6detail17trampoline_kernelINS0_14default_configENS1_36segmented_radix_sort_config_selectorI12hip_bfloat16lEEZNS1_25segmented_radix_sort_implIS3_Lb1EPKS5_PS5_PKlPlN2at6native12_GLOBAL__N_18offset_tEEE10hipError_tPvRmT1_PNSt15iterator_traitsISL_E10value_typeET2_T3_PNSM_ISR_E10value_typeET4_jRbjT5_SX_jjP12ihipStream_tbEUlT_E_NS1_11comp_targetILNS1_3genE5ELNS1_11target_archE942ELNS1_3gpuE9ELNS1_3repE0EEENS1_30default_config_static_selectorELNS0_4arch9wavefront6targetE0EEEvSL_,comdat
	.globl	_ZN7rocprim17ROCPRIM_400000_NS6detail17trampoline_kernelINS0_14default_configENS1_36segmented_radix_sort_config_selectorI12hip_bfloat16lEEZNS1_25segmented_radix_sort_implIS3_Lb1EPKS5_PS5_PKlPlN2at6native12_GLOBAL__N_18offset_tEEE10hipError_tPvRmT1_PNSt15iterator_traitsISL_E10value_typeET2_T3_PNSM_ISR_E10value_typeET4_jRbjT5_SX_jjP12ihipStream_tbEUlT_E_NS1_11comp_targetILNS1_3genE5ELNS1_11target_archE942ELNS1_3gpuE9ELNS1_3repE0EEENS1_30default_config_static_selectorELNS0_4arch9wavefront6targetE0EEEvSL_ ; -- Begin function _ZN7rocprim17ROCPRIM_400000_NS6detail17trampoline_kernelINS0_14default_configENS1_36segmented_radix_sort_config_selectorI12hip_bfloat16lEEZNS1_25segmented_radix_sort_implIS3_Lb1EPKS5_PS5_PKlPlN2at6native12_GLOBAL__N_18offset_tEEE10hipError_tPvRmT1_PNSt15iterator_traitsISL_E10value_typeET2_T3_PNSM_ISR_E10value_typeET4_jRbjT5_SX_jjP12ihipStream_tbEUlT_E_NS1_11comp_targetILNS1_3genE5ELNS1_11target_archE942ELNS1_3gpuE9ELNS1_3repE0EEENS1_30default_config_static_selectorELNS0_4arch9wavefront6targetE0EEEvSL_
	.p2align	8
	.type	_ZN7rocprim17ROCPRIM_400000_NS6detail17trampoline_kernelINS0_14default_configENS1_36segmented_radix_sort_config_selectorI12hip_bfloat16lEEZNS1_25segmented_radix_sort_implIS3_Lb1EPKS5_PS5_PKlPlN2at6native12_GLOBAL__N_18offset_tEEE10hipError_tPvRmT1_PNSt15iterator_traitsISL_E10value_typeET2_T3_PNSM_ISR_E10value_typeET4_jRbjT5_SX_jjP12ihipStream_tbEUlT_E_NS1_11comp_targetILNS1_3genE5ELNS1_11target_archE942ELNS1_3gpuE9ELNS1_3repE0EEENS1_30default_config_static_selectorELNS0_4arch9wavefront6targetE0EEEvSL_,@function
_ZN7rocprim17ROCPRIM_400000_NS6detail17trampoline_kernelINS0_14default_configENS1_36segmented_radix_sort_config_selectorI12hip_bfloat16lEEZNS1_25segmented_radix_sort_implIS3_Lb1EPKS5_PS5_PKlPlN2at6native12_GLOBAL__N_18offset_tEEE10hipError_tPvRmT1_PNSt15iterator_traitsISL_E10value_typeET2_T3_PNSM_ISR_E10value_typeET4_jRbjT5_SX_jjP12ihipStream_tbEUlT_E_NS1_11comp_targetILNS1_3genE5ELNS1_11target_archE942ELNS1_3gpuE9ELNS1_3repE0EEENS1_30default_config_static_selectorELNS0_4arch9wavefront6targetE0EEEvSL_: ; @_ZN7rocprim17ROCPRIM_400000_NS6detail17trampoline_kernelINS0_14default_configENS1_36segmented_radix_sort_config_selectorI12hip_bfloat16lEEZNS1_25segmented_radix_sort_implIS3_Lb1EPKS5_PS5_PKlPlN2at6native12_GLOBAL__N_18offset_tEEE10hipError_tPvRmT1_PNSt15iterator_traitsISL_E10value_typeET2_T3_PNSM_ISR_E10value_typeET4_jRbjT5_SX_jjP12ihipStream_tbEUlT_E_NS1_11comp_targetILNS1_3genE5ELNS1_11target_archE942ELNS1_3gpuE9ELNS1_3repE0EEENS1_30default_config_static_selectorELNS0_4arch9wavefront6targetE0EEEvSL_
; %bb.0:
	.section	.rodata,"a",@progbits
	.p2align	6, 0x0
	.amdhsa_kernel _ZN7rocprim17ROCPRIM_400000_NS6detail17trampoline_kernelINS0_14default_configENS1_36segmented_radix_sort_config_selectorI12hip_bfloat16lEEZNS1_25segmented_radix_sort_implIS3_Lb1EPKS5_PS5_PKlPlN2at6native12_GLOBAL__N_18offset_tEEE10hipError_tPvRmT1_PNSt15iterator_traitsISL_E10value_typeET2_T3_PNSM_ISR_E10value_typeET4_jRbjT5_SX_jjP12ihipStream_tbEUlT_E_NS1_11comp_targetILNS1_3genE5ELNS1_11target_archE942ELNS1_3gpuE9ELNS1_3repE0EEENS1_30default_config_static_selectorELNS0_4arch9wavefront6targetE0EEEvSL_
		.amdhsa_group_segment_fixed_size 0
		.amdhsa_private_segment_fixed_size 0
		.amdhsa_kernarg_size 96
		.amdhsa_user_sgpr_count 2
		.amdhsa_user_sgpr_dispatch_ptr 0
		.amdhsa_user_sgpr_queue_ptr 0
		.amdhsa_user_sgpr_kernarg_segment_ptr 1
		.amdhsa_user_sgpr_dispatch_id 0
		.amdhsa_user_sgpr_kernarg_preload_length 0
		.amdhsa_user_sgpr_kernarg_preload_offset 0
		.amdhsa_user_sgpr_private_segment_size 0
		.amdhsa_wavefront_size32 1
		.amdhsa_uses_dynamic_stack 0
		.amdhsa_enable_private_segment 0
		.amdhsa_system_sgpr_workgroup_id_x 1
		.amdhsa_system_sgpr_workgroup_id_y 0
		.amdhsa_system_sgpr_workgroup_id_z 0
		.amdhsa_system_sgpr_workgroup_info 0
		.amdhsa_system_vgpr_workitem_id 0
		.amdhsa_next_free_vgpr 1
		.amdhsa_next_free_sgpr 1
		.amdhsa_named_barrier_count 0
		.amdhsa_reserve_vcc 0
		.amdhsa_float_round_mode_32 0
		.amdhsa_float_round_mode_16_64 0
		.amdhsa_float_denorm_mode_32 3
		.amdhsa_float_denorm_mode_16_64 3
		.amdhsa_fp16_overflow 0
		.amdhsa_memory_ordered 1
		.amdhsa_forward_progress 1
		.amdhsa_inst_pref_size 0
		.amdhsa_round_robin_scheduling 0
		.amdhsa_exception_fp_ieee_invalid_op 0
		.amdhsa_exception_fp_denorm_src 0
		.amdhsa_exception_fp_ieee_div_zero 0
		.amdhsa_exception_fp_ieee_overflow 0
		.amdhsa_exception_fp_ieee_underflow 0
		.amdhsa_exception_fp_ieee_inexact 0
		.amdhsa_exception_int_div_zero 0
	.end_amdhsa_kernel
	.section	.text._ZN7rocprim17ROCPRIM_400000_NS6detail17trampoline_kernelINS0_14default_configENS1_36segmented_radix_sort_config_selectorI12hip_bfloat16lEEZNS1_25segmented_radix_sort_implIS3_Lb1EPKS5_PS5_PKlPlN2at6native12_GLOBAL__N_18offset_tEEE10hipError_tPvRmT1_PNSt15iterator_traitsISL_E10value_typeET2_T3_PNSM_ISR_E10value_typeET4_jRbjT5_SX_jjP12ihipStream_tbEUlT_E_NS1_11comp_targetILNS1_3genE5ELNS1_11target_archE942ELNS1_3gpuE9ELNS1_3repE0EEENS1_30default_config_static_selectorELNS0_4arch9wavefront6targetE0EEEvSL_,"axG",@progbits,_ZN7rocprim17ROCPRIM_400000_NS6detail17trampoline_kernelINS0_14default_configENS1_36segmented_radix_sort_config_selectorI12hip_bfloat16lEEZNS1_25segmented_radix_sort_implIS3_Lb1EPKS5_PS5_PKlPlN2at6native12_GLOBAL__N_18offset_tEEE10hipError_tPvRmT1_PNSt15iterator_traitsISL_E10value_typeET2_T3_PNSM_ISR_E10value_typeET4_jRbjT5_SX_jjP12ihipStream_tbEUlT_E_NS1_11comp_targetILNS1_3genE5ELNS1_11target_archE942ELNS1_3gpuE9ELNS1_3repE0EEENS1_30default_config_static_selectorELNS0_4arch9wavefront6targetE0EEEvSL_,comdat
.Lfunc_end1938:
	.size	_ZN7rocprim17ROCPRIM_400000_NS6detail17trampoline_kernelINS0_14default_configENS1_36segmented_radix_sort_config_selectorI12hip_bfloat16lEEZNS1_25segmented_radix_sort_implIS3_Lb1EPKS5_PS5_PKlPlN2at6native12_GLOBAL__N_18offset_tEEE10hipError_tPvRmT1_PNSt15iterator_traitsISL_E10value_typeET2_T3_PNSM_ISR_E10value_typeET4_jRbjT5_SX_jjP12ihipStream_tbEUlT_E_NS1_11comp_targetILNS1_3genE5ELNS1_11target_archE942ELNS1_3gpuE9ELNS1_3repE0EEENS1_30default_config_static_selectorELNS0_4arch9wavefront6targetE0EEEvSL_, .Lfunc_end1938-_ZN7rocprim17ROCPRIM_400000_NS6detail17trampoline_kernelINS0_14default_configENS1_36segmented_radix_sort_config_selectorI12hip_bfloat16lEEZNS1_25segmented_radix_sort_implIS3_Lb1EPKS5_PS5_PKlPlN2at6native12_GLOBAL__N_18offset_tEEE10hipError_tPvRmT1_PNSt15iterator_traitsISL_E10value_typeET2_T3_PNSM_ISR_E10value_typeET4_jRbjT5_SX_jjP12ihipStream_tbEUlT_E_NS1_11comp_targetILNS1_3genE5ELNS1_11target_archE942ELNS1_3gpuE9ELNS1_3repE0EEENS1_30default_config_static_selectorELNS0_4arch9wavefront6targetE0EEEvSL_
                                        ; -- End function
	.set _ZN7rocprim17ROCPRIM_400000_NS6detail17trampoline_kernelINS0_14default_configENS1_36segmented_radix_sort_config_selectorI12hip_bfloat16lEEZNS1_25segmented_radix_sort_implIS3_Lb1EPKS5_PS5_PKlPlN2at6native12_GLOBAL__N_18offset_tEEE10hipError_tPvRmT1_PNSt15iterator_traitsISL_E10value_typeET2_T3_PNSM_ISR_E10value_typeET4_jRbjT5_SX_jjP12ihipStream_tbEUlT_E_NS1_11comp_targetILNS1_3genE5ELNS1_11target_archE942ELNS1_3gpuE9ELNS1_3repE0EEENS1_30default_config_static_selectorELNS0_4arch9wavefront6targetE0EEEvSL_.num_vgpr, 0
	.set _ZN7rocprim17ROCPRIM_400000_NS6detail17trampoline_kernelINS0_14default_configENS1_36segmented_radix_sort_config_selectorI12hip_bfloat16lEEZNS1_25segmented_radix_sort_implIS3_Lb1EPKS5_PS5_PKlPlN2at6native12_GLOBAL__N_18offset_tEEE10hipError_tPvRmT1_PNSt15iterator_traitsISL_E10value_typeET2_T3_PNSM_ISR_E10value_typeET4_jRbjT5_SX_jjP12ihipStream_tbEUlT_E_NS1_11comp_targetILNS1_3genE5ELNS1_11target_archE942ELNS1_3gpuE9ELNS1_3repE0EEENS1_30default_config_static_selectorELNS0_4arch9wavefront6targetE0EEEvSL_.num_agpr, 0
	.set _ZN7rocprim17ROCPRIM_400000_NS6detail17trampoline_kernelINS0_14default_configENS1_36segmented_radix_sort_config_selectorI12hip_bfloat16lEEZNS1_25segmented_radix_sort_implIS3_Lb1EPKS5_PS5_PKlPlN2at6native12_GLOBAL__N_18offset_tEEE10hipError_tPvRmT1_PNSt15iterator_traitsISL_E10value_typeET2_T3_PNSM_ISR_E10value_typeET4_jRbjT5_SX_jjP12ihipStream_tbEUlT_E_NS1_11comp_targetILNS1_3genE5ELNS1_11target_archE942ELNS1_3gpuE9ELNS1_3repE0EEENS1_30default_config_static_selectorELNS0_4arch9wavefront6targetE0EEEvSL_.numbered_sgpr, 0
	.set _ZN7rocprim17ROCPRIM_400000_NS6detail17trampoline_kernelINS0_14default_configENS1_36segmented_radix_sort_config_selectorI12hip_bfloat16lEEZNS1_25segmented_radix_sort_implIS3_Lb1EPKS5_PS5_PKlPlN2at6native12_GLOBAL__N_18offset_tEEE10hipError_tPvRmT1_PNSt15iterator_traitsISL_E10value_typeET2_T3_PNSM_ISR_E10value_typeET4_jRbjT5_SX_jjP12ihipStream_tbEUlT_E_NS1_11comp_targetILNS1_3genE5ELNS1_11target_archE942ELNS1_3gpuE9ELNS1_3repE0EEENS1_30default_config_static_selectorELNS0_4arch9wavefront6targetE0EEEvSL_.num_named_barrier, 0
	.set _ZN7rocprim17ROCPRIM_400000_NS6detail17trampoline_kernelINS0_14default_configENS1_36segmented_radix_sort_config_selectorI12hip_bfloat16lEEZNS1_25segmented_radix_sort_implIS3_Lb1EPKS5_PS5_PKlPlN2at6native12_GLOBAL__N_18offset_tEEE10hipError_tPvRmT1_PNSt15iterator_traitsISL_E10value_typeET2_T3_PNSM_ISR_E10value_typeET4_jRbjT5_SX_jjP12ihipStream_tbEUlT_E_NS1_11comp_targetILNS1_3genE5ELNS1_11target_archE942ELNS1_3gpuE9ELNS1_3repE0EEENS1_30default_config_static_selectorELNS0_4arch9wavefront6targetE0EEEvSL_.private_seg_size, 0
	.set _ZN7rocprim17ROCPRIM_400000_NS6detail17trampoline_kernelINS0_14default_configENS1_36segmented_radix_sort_config_selectorI12hip_bfloat16lEEZNS1_25segmented_radix_sort_implIS3_Lb1EPKS5_PS5_PKlPlN2at6native12_GLOBAL__N_18offset_tEEE10hipError_tPvRmT1_PNSt15iterator_traitsISL_E10value_typeET2_T3_PNSM_ISR_E10value_typeET4_jRbjT5_SX_jjP12ihipStream_tbEUlT_E_NS1_11comp_targetILNS1_3genE5ELNS1_11target_archE942ELNS1_3gpuE9ELNS1_3repE0EEENS1_30default_config_static_selectorELNS0_4arch9wavefront6targetE0EEEvSL_.uses_vcc, 0
	.set _ZN7rocprim17ROCPRIM_400000_NS6detail17trampoline_kernelINS0_14default_configENS1_36segmented_radix_sort_config_selectorI12hip_bfloat16lEEZNS1_25segmented_radix_sort_implIS3_Lb1EPKS5_PS5_PKlPlN2at6native12_GLOBAL__N_18offset_tEEE10hipError_tPvRmT1_PNSt15iterator_traitsISL_E10value_typeET2_T3_PNSM_ISR_E10value_typeET4_jRbjT5_SX_jjP12ihipStream_tbEUlT_E_NS1_11comp_targetILNS1_3genE5ELNS1_11target_archE942ELNS1_3gpuE9ELNS1_3repE0EEENS1_30default_config_static_selectorELNS0_4arch9wavefront6targetE0EEEvSL_.uses_flat_scratch, 0
	.set _ZN7rocprim17ROCPRIM_400000_NS6detail17trampoline_kernelINS0_14default_configENS1_36segmented_radix_sort_config_selectorI12hip_bfloat16lEEZNS1_25segmented_radix_sort_implIS3_Lb1EPKS5_PS5_PKlPlN2at6native12_GLOBAL__N_18offset_tEEE10hipError_tPvRmT1_PNSt15iterator_traitsISL_E10value_typeET2_T3_PNSM_ISR_E10value_typeET4_jRbjT5_SX_jjP12ihipStream_tbEUlT_E_NS1_11comp_targetILNS1_3genE5ELNS1_11target_archE942ELNS1_3gpuE9ELNS1_3repE0EEENS1_30default_config_static_selectorELNS0_4arch9wavefront6targetE0EEEvSL_.has_dyn_sized_stack, 0
	.set _ZN7rocprim17ROCPRIM_400000_NS6detail17trampoline_kernelINS0_14default_configENS1_36segmented_radix_sort_config_selectorI12hip_bfloat16lEEZNS1_25segmented_radix_sort_implIS3_Lb1EPKS5_PS5_PKlPlN2at6native12_GLOBAL__N_18offset_tEEE10hipError_tPvRmT1_PNSt15iterator_traitsISL_E10value_typeET2_T3_PNSM_ISR_E10value_typeET4_jRbjT5_SX_jjP12ihipStream_tbEUlT_E_NS1_11comp_targetILNS1_3genE5ELNS1_11target_archE942ELNS1_3gpuE9ELNS1_3repE0EEENS1_30default_config_static_selectorELNS0_4arch9wavefront6targetE0EEEvSL_.has_recursion, 0
	.set _ZN7rocprim17ROCPRIM_400000_NS6detail17trampoline_kernelINS0_14default_configENS1_36segmented_radix_sort_config_selectorI12hip_bfloat16lEEZNS1_25segmented_radix_sort_implIS3_Lb1EPKS5_PS5_PKlPlN2at6native12_GLOBAL__N_18offset_tEEE10hipError_tPvRmT1_PNSt15iterator_traitsISL_E10value_typeET2_T3_PNSM_ISR_E10value_typeET4_jRbjT5_SX_jjP12ihipStream_tbEUlT_E_NS1_11comp_targetILNS1_3genE5ELNS1_11target_archE942ELNS1_3gpuE9ELNS1_3repE0EEENS1_30default_config_static_selectorELNS0_4arch9wavefront6targetE0EEEvSL_.has_indirect_call, 0
	.section	.AMDGPU.csdata,"",@progbits
; Kernel info:
; codeLenInByte = 0
; TotalNumSgprs: 0
; NumVgprs: 0
; ScratchSize: 0
; MemoryBound: 0
; FloatMode: 240
; IeeeMode: 1
; LDSByteSize: 0 bytes/workgroup (compile time only)
; SGPRBlocks: 0
; VGPRBlocks: 0
; NumSGPRsForWavesPerEU: 1
; NumVGPRsForWavesPerEU: 1
; NamedBarCnt: 0
; Occupancy: 16
; WaveLimiterHint : 0
; COMPUTE_PGM_RSRC2:SCRATCH_EN: 0
; COMPUTE_PGM_RSRC2:USER_SGPR: 2
; COMPUTE_PGM_RSRC2:TRAP_HANDLER: 0
; COMPUTE_PGM_RSRC2:TGID_X_EN: 1
; COMPUTE_PGM_RSRC2:TGID_Y_EN: 0
; COMPUTE_PGM_RSRC2:TGID_Z_EN: 0
; COMPUTE_PGM_RSRC2:TIDIG_COMP_CNT: 0
	.section	.text._ZN7rocprim17ROCPRIM_400000_NS6detail17trampoline_kernelINS0_14default_configENS1_36segmented_radix_sort_config_selectorI12hip_bfloat16lEEZNS1_25segmented_radix_sort_implIS3_Lb1EPKS5_PS5_PKlPlN2at6native12_GLOBAL__N_18offset_tEEE10hipError_tPvRmT1_PNSt15iterator_traitsISL_E10value_typeET2_T3_PNSM_ISR_E10value_typeET4_jRbjT5_SX_jjP12ihipStream_tbEUlT_E_NS1_11comp_targetILNS1_3genE4ELNS1_11target_archE910ELNS1_3gpuE8ELNS1_3repE0EEENS1_30default_config_static_selectorELNS0_4arch9wavefront6targetE0EEEvSL_,"axG",@progbits,_ZN7rocprim17ROCPRIM_400000_NS6detail17trampoline_kernelINS0_14default_configENS1_36segmented_radix_sort_config_selectorI12hip_bfloat16lEEZNS1_25segmented_radix_sort_implIS3_Lb1EPKS5_PS5_PKlPlN2at6native12_GLOBAL__N_18offset_tEEE10hipError_tPvRmT1_PNSt15iterator_traitsISL_E10value_typeET2_T3_PNSM_ISR_E10value_typeET4_jRbjT5_SX_jjP12ihipStream_tbEUlT_E_NS1_11comp_targetILNS1_3genE4ELNS1_11target_archE910ELNS1_3gpuE8ELNS1_3repE0EEENS1_30default_config_static_selectorELNS0_4arch9wavefront6targetE0EEEvSL_,comdat
	.globl	_ZN7rocprim17ROCPRIM_400000_NS6detail17trampoline_kernelINS0_14default_configENS1_36segmented_radix_sort_config_selectorI12hip_bfloat16lEEZNS1_25segmented_radix_sort_implIS3_Lb1EPKS5_PS5_PKlPlN2at6native12_GLOBAL__N_18offset_tEEE10hipError_tPvRmT1_PNSt15iterator_traitsISL_E10value_typeET2_T3_PNSM_ISR_E10value_typeET4_jRbjT5_SX_jjP12ihipStream_tbEUlT_E_NS1_11comp_targetILNS1_3genE4ELNS1_11target_archE910ELNS1_3gpuE8ELNS1_3repE0EEENS1_30default_config_static_selectorELNS0_4arch9wavefront6targetE0EEEvSL_ ; -- Begin function _ZN7rocprim17ROCPRIM_400000_NS6detail17trampoline_kernelINS0_14default_configENS1_36segmented_radix_sort_config_selectorI12hip_bfloat16lEEZNS1_25segmented_radix_sort_implIS3_Lb1EPKS5_PS5_PKlPlN2at6native12_GLOBAL__N_18offset_tEEE10hipError_tPvRmT1_PNSt15iterator_traitsISL_E10value_typeET2_T3_PNSM_ISR_E10value_typeET4_jRbjT5_SX_jjP12ihipStream_tbEUlT_E_NS1_11comp_targetILNS1_3genE4ELNS1_11target_archE910ELNS1_3gpuE8ELNS1_3repE0EEENS1_30default_config_static_selectorELNS0_4arch9wavefront6targetE0EEEvSL_
	.p2align	8
	.type	_ZN7rocprim17ROCPRIM_400000_NS6detail17trampoline_kernelINS0_14default_configENS1_36segmented_radix_sort_config_selectorI12hip_bfloat16lEEZNS1_25segmented_radix_sort_implIS3_Lb1EPKS5_PS5_PKlPlN2at6native12_GLOBAL__N_18offset_tEEE10hipError_tPvRmT1_PNSt15iterator_traitsISL_E10value_typeET2_T3_PNSM_ISR_E10value_typeET4_jRbjT5_SX_jjP12ihipStream_tbEUlT_E_NS1_11comp_targetILNS1_3genE4ELNS1_11target_archE910ELNS1_3gpuE8ELNS1_3repE0EEENS1_30default_config_static_selectorELNS0_4arch9wavefront6targetE0EEEvSL_,@function
_ZN7rocprim17ROCPRIM_400000_NS6detail17trampoline_kernelINS0_14default_configENS1_36segmented_radix_sort_config_selectorI12hip_bfloat16lEEZNS1_25segmented_radix_sort_implIS3_Lb1EPKS5_PS5_PKlPlN2at6native12_GLOBAL__N_18offset_tEEE10hipError_tPvRmT1_PNSt15iterator_traitsISL_E10value_typeET2_T3_PNSM_ISR_E10value_typeET4_jRbjT5_SX_jjP12ihipStream_tbEUlT_E_NS1_11comp_targetILNS1_3genE4ELNS1_11target_archE910ELNS1_3gpuE8ELNS1_3repE0EEENS1_30default_config_static_selectorELNS0_4arch9wavefront6targetE0EEEvSL_: ; @_ZN7rocprim17ROCPRIM_400000_NS6detail17trampoline_kernelINS0_14default_configENS1_36segmented_radix_sort_config_selectorI12hip_bfloat16lEEZNS1_25segmented_radix_sort_implIS3_Lb1EPKS5_PS5_PKlPlN2at6native12_GLOBAL__N_18offset_tEEE10hipError_tPvRmT1_PNSt15iterator_traitsISL_E10value_typeET2_T3_PNSM_ISR_E10value_typeET4_jRbjT5_SX_jjP12ihipStream_tbEUlT_E_NS1_11comp_targetILNS1_3genE4ELNS1_11target_archE910ELNS1_3gpuE8ELNS1_3repE0EEENS1_30default_config_static_selectorELNS0_4arch9wavefront6targetE0EEEvSL_
; %bb.0:
	.section	.rodata,"a",@progbits
	.p2align	6, 0x0
	.amdhsa_kernel _ZN7rocprim17ROCPRIM_400000_NS6detail17trampoline_kernelINS0_14default_configENS1_36segmented_radix_sort_config_selectorI12hip_bfloat16lEEZNS1_25segmented_radix_sort_implIS3_Lb1EPKS5_PS5_PKlPlN2at6native12_GLOBAL__N_18offset_tEEE10hipError_tPvRmT1_PNSt15iterator_traitsISL_E10value_typeET2_T3_PNSM_ISR_E10value_typeET4_jRbjT5_SX_jjP12ihipStream_tbEUlT_E_NS1_11comp_targetILNS1_3genE4ELNS1_11target_archE910ELNS1_3gpuE8ELNS1_3repE0EEENS1_30default_config_static_selectorELNS0_4arch9wavefront6targetE0EEEvSL_
		.amdhsa_group_segment_fixed_size 0
		.amdhsa_private_segment_fixed_size 0
		.amdhsa_kernarg_size 96
		.amdhsa_user_sgpr_count 2
		.amdhsa_user_sgpr_dispatch_ptr 0
		.amdhsa_user_sgpr_queue_ptr 0
		.amdhsa_user_sgpr_kernarg_segment_ptr 1
		.amdhsa_user_sgpr_dispatch_id 0
		.amdhsa_user_sgpr_kernarg_preload_length 0
		.amdhsa_user_sgpr_kernarg_preload_offset 0
		.amdhsa_user_sgpr_private_segment_size 0
		.amdhsa_wavefront_size32 1
		.amdhsa_uses_dynamic_stack 0
		.amdhsa_enable_private_segment 0
		.amdhsa_system_sgpr_workgroup_id_x 1
		.amdhsa_system_sgpr_workgroup_id_y 0
		.amdhsa_system_sgpr_workgroup_id_z 0
		.amdhsa_system_sgpr_workgroup_info 0
		.amdhsa_system_vgpr_workitem_id 0
		.amdhsa_next_free_vgpr 1
		.amdhsa_next_free_sgpr 1
		.amdhsa_named_barrier_count 0
		.amdhsa_reserve_vcc 0
		.amdhsa_float_round_mode_32 0
		.amdhsa_float_round_mode_16_64 0
		.amdhsa_float_denorm_mode_32 3
		.amdhsa_float_denorm_mode_16_64 3
		.amdhsa_fp16_overflow 0
		.amdhsa_memory_ordered 1
		.amdhsa_forward_progress 1
		.amdhsa_inst_pref_size 0
		.amdhsa_round_robin_scheduling 0
		.amdhsa_exception_fp_ieee_invalid_op 0
		.amdhsa_exception_fp_denorm_src 0
		.amdhsa_exception_fp_ieee_div_zero 0
		.amdhsa_exception_fp_ieee_overflow 0
		.amdhsa_exception_fp_ieee_underflow 0
		.amdhsa_exception_fp_ieee_inexact 0
		.amdhsa_exception_int_div_zero 0
	.end_amdhsa_kernel
	.section	.text._ZN7rocprim17ROCPRIM_400000_NS6detail17trampoline_kernelINS0_14default_configENS1_36segmented_radix_sort_config_selectorI12hip_bfloat16lEEZNS1_25segmented_radix_sort_implIS3_Lb1EPKS5_PS5_PKlPlN2at6native12_GLOBAL__N_18offset_tEEE10hipError_tPvRmT1_PNSt15iterator_traitsISL_E10value_typeET2_T3_PNSM_ISR_E10value_typeET4_jRbjT5_SX_jjP12ihipStream_tbEUlT_E_NS1_11comp_targetILNS1_3genE4ELNS1_11target_archE910ELNS1_3gpuE8ELNS1_3repE0EEENS1_30default_config_static_selectorELNS0_4arch9wavefront6targetE0EEEvSL_,"axG",@progbits,_ZN7rocprim17ROCPRIM_400000_NS6detail17trampoline_kernelINS0_14default_configENS1_36segmented_radix_sort_config_selectorI12hip_bfloat16lEEZNS1_25segmented_radix_sort_implIS3_Lb1EPKS5_PS5_PKlPlN2at6native12_GLOBAL__N_18offset_tEEE10hipError_tPvRmT1_PNSt15iterator_traitsISL_E10value_typeET2_T3_PNSM_ISR_E10value_typeET4_jRbjT5_SX_jjP12ihipStream_tbEUlT_E_NS1_11comp_targetILNS1_3genE4ELNS1_11target_archE910ELNS1_3gpuE8ELNS1_3repE0EEENS1_30default_config_static_selectorELNS0_4arch9wavefront6targetE0EEEvSL_,comdat
.Lfunc_end1939:
	.size	_ZN7rocprim17ROCPRIM_400000_NS6detail17trampoline_kernelINS0_14default_configENS1_36segmented_radix_sort_config_selectorI12hip_bfloat16lEEZNS1_25segmented_radix_sort_implIS3_Lb1EPKS5_PS5_PKlPlN2at6native12_GLOBAL__N_18offset_tEEE10hipError_tPvRmT1_PNSt15iterator_traitsISL_E10value_typeET2_T3_PNSM_ISR_E10value_typeET4_jRbjT5_SX_jjP12ihipStream_tbEUlT_E_NS1_11comp_targetILNS1_3genE4ELNS1_11target_archE910ELNS1_3gpuE8ELNS1_3repE0EEENS1_30default_config_static_selectorELNS0_4arch9wavefront6targetE0EEEvSL_, .Lfunc_end1939-_ZN7rocprim17ROCPRIM_400000_NS6detail17trampoline_kernelINS0_14default_configENS1_36segmented_radix_sort_config_selectorI12hip_bfloat16lEEZNS1_25segmented_radix_sort_implIS3_Lb1EPKS5_PS5_PKlPlN2at6native12_GLOBAL__N_18offset_tEEE10hipError_tPvRmT1_PNSt15iterator_traitsISL_E10value_typeET2_T3_PNSM_ISR_E10value_typeET4_jRbjT5_SX_jjP12ihipStream_tbEUlT_E_NS1_11comp_targetILNS1_3genE4ELNS1_11target_archE910ELNS1_3gpuE8ELNS1_3repE0EEENS1_30default_config_static_selectorELNS0_4arch9wavefront6targetE0EEEvSL_
                                        ; -- End function
	.set _ZN7rocprim17ROCPRIM_400000_NS6detail17trampoline_kernelINS0_14default_configENS1_36segmented_radix_sort_config_selectorI12hip_bfloat16lEEZNS1_25segmented_radix_sort_implIS3_Lb1EPKS5_PS5_PKlPlN2at6native12_GLOBAL__N_18offset_tEEE10hipError_tPvRmT1_PNSt15iterator_traitsISL_E10value_typeET2_T3_PNSM_ISR_E10value_typeET4_jRbjT5_SX_jjP12ihipStream_tbEUlT_E_NS1_11comp_targetILNS1_3genE4ELNS1_11target_archE910ELNS1_3gpuE8ELNS1_3repE0EEENS1_30default_config_static_selectorELNS0_4arch9wavefront6targetE0EEEvSL_.num_vgpr, 0
	.set _ZN7rocprim17ROCPRIM_400000_NS6detail17trampoline_kernelINS0_14default_configENS1_36segmented_radix_sort_config_selectorI12hip_bfloat16lEEZNS1_25segmented_radix_sort_implIS3_Lb1EPKS5_PS5_PKlPlN2at6native12_GLOBAL__N_18offset_tEEE10hipError_tPvRmT1_PNSt15iterator_traitsISL_E10value_typeET2_T3_PNSM_ISR_E10value_typeET4_jRbjT5_SX_jjP12ihipStream_tbEUlT_E_NS1_11comp_targetILNS1_3genE4ELNS1_11target_archE910ELNS1_3gpuE8ELNS1_3repE0EEENS1_30default_config_static_selectorELNS0_4arch9wavefront6targetE0EEEvSL_.num_agpr, 0
	.set _ZN7rocprim17ROCPRIM_400000_NS6detail17trampoline_kernelINS0_14default_configENS1_36segmented_radix_sort_config_selectorI12hip_bfloat16lEEZNS1_25segmented_radix_sort_implIS3_Lb1EPKS5_PS5_PKlPlN2at6native12_GLOBAL__N_18offset_tEEE10hipError_tPvRmT1_PNSt15iterator_traitsISL_E10value_typeET2_T3_PNSM_ISR_E10value_typeET4_jRbjT5_SX_jjP12ihipStream_tbEUlT_E_NS1_11comp_targetILNS1_3genE4ELNS1_11target_archE910ELNS1_3gpuE8ELNS1_3repE0EEENS1_30default_config_static_selectorELNS0_4arch9wavefront6targetE0EEEvSL_.numbered_sgpr, 0
	.set _ZN7rocprim17ROCPRIM_400000_NS6detail17trampoline_kernelINS0_14default_configENS1_36segmented_radix_sort_config_selectorI12hip_bfloat16lEEZNS1_25segmented_radix_sort_implIS3_Lb1EPKS5_PS5_PKlPlN2at6native12_GLOBAL__N_18offset_tEEE10hipError_tPvRmT1_PNSt15iterator_traitsISL_E10value_typeET2_T3_PNSM_ISR_E10value_typeET4_jRbjT5_SX_jjP12ihipStream_tbEUlT_E_NS1_11comp_targetILNS1_3genE4ELNS1_11target_archE910ELNS1_3gpuE8ELNS1_3repE0EEENS1_30default_config_static_selectorELNS0_4arch9wavefront6targetE0EEEvSL_.num_named_barrier, 0
	.set _ZN7rocprim17ROCPRIM_400000_NS6detail17trampoline_kernelINS0_14default_configENS1_36segmented_radix_sort_config_selectorI12hip_bfloat16lEEZNS1_25segmented_radix_sort_implIS3_Lb1EPKS5_PS5_PKlPlN2at6native12_GLOBAL__N_18offset_tEEE10hipError_tPvRmT1_PNSt15iterator_traitsISL_E10value_typeET2_T3_PNSM_ISR_E10value_typeET4_jRbjT5_SX_jjP12ihipStream_tbEUlT_E_NS1_11comp_targetILNS1_3genE4ELNS1_11target_archE910ELNS1_3gpuE8ELNS1_3repE0EEENS1_30default_config_static_selectorELNS0_4arch9wavefront6targetE0EEEvSL_.private_seg_size, 0
	.set _ZN7rocprim17ROCPRIM_400000_NS6detail17trampoline_kernelINS0_14default_configENS1_36segmented_radix_sort_config_selectorI12hip_bfloat16lEEZNS1_25segmented_radix_sort_implIS3_Lb1EPKS5_PS5_PKlPlN2at6native12_GLOBAL__N_18offset_tEEE10hipError_tPvRmT1_PNSt15iterator_traitsISL_E10value_typeET2_T3_PNSM_ISR_E10value_typeET4_jRbjT5_SX_jjP12ihipStream_tbEUlT_E_NS1_11comp_targetILNS1_3genE4ELNS1_11target_archE910ELNS1_3gpuE8ELNS1_3repE0EEENS1_30default_config_static_selectorELNS0_4arch9wavefront6targetE0EEEvSL_.uses_vcc, 0
	.set _ZN7rocprim17ROCPRIM_400000_NS6detail17trampoline_kernelINS0_14default_configENS1_36segmented_radix_sort_config_selectorI12hip_bfloat16lEEZNS1_25segmented_radix_sort_implIS3_Lb1EPKS5_PS5_PKlPlN2at6native12_GLOBAL__N_18offset_tEEE10hipError_tPvRmT1_PNSt15iterator_traitsISL_E10value_typeET2_T3_PNSM_ISR_E10value_typeET4_jRbjT5_SX_jjP12ihipStream_tbEUlT_E_NS1_11comp_targetILNS1_3genE4ELNS1_11target_archE910ELNS1_3gpuE8ELNS1_3repE0EEENS1_30default_config_static_selectorELNS0_4arch9wavefront6targetE0EEEvSL_.uses_flat_scratch, 0
	.set _ZN7rocprim17ROCPRIM_400000_NS6detail17trampoline_kernelINS0_14default_configENS1_36segmented_radix_sort_config_selectorI12hip_bfloat16lEEZNS1_25segmented_radix_sort_implIS3_Lb1EPKS5_PS5_PKlPlN2at6native12_GLOBAL__N_18offset_tEEE10hipError_tPvRmT1_PNSt15iterator_traitsISL_E10value_typeET2_T3_PNSM_ISR_E10value_typeET4_jRbjT5_SX_jjP12ihipStream_tbEUlT_E_NS1_11comp_targetILNS1_3genE4ELNS1_11target_archE910ELNS1_3gpuE8ELNS1_3repE0EEENS1_30default_config_static_selectorELNS0_4arch9wavefront6targetE0EEEvSL_.has_dyn_sized_stack, 0
	.set _ZN7rocprim17ROCPRIM_400000_NS6detail17trampoline_kernelINS0_14default_configENS1_36segmented_radix_sort_config_selectorI12hip_bfloat16lEEZNS1_25segmented_radix_sort_implIS3_Lb1EPKS5_PS5_PKlPlN2at6native12_GLOBAL__N_18offset_tEEE10hipError_tPvRmT1_PNSt15iterator_traitsISL_E10value_typeET2_T3_PNSM_ISR_E10value_typeET4_jRbjT5_SX_jjP12ihipStream_tbEUlT_E_NS1_11comp_targetILNS1_3genE4ELNS1_11target_archE910ELNS1_3gpuE8ELNS1_3repE0EEENS1_30default_config_static_selectorELNS0_4arch9wavefront6targetE0EEEvSL_.has_recursion, 0
	.set _ZN7rocprim17ROCPRIM_400000_NS6detail17trampoline_kernelINS0_14default_configENS1_36segmented_radix_sort_config_selectorI12hip_bfloat16lEEZNS1_25segmented_radix_sort_implIS3_Lb1EPKS5_PS5_PKlPlN2at6native12_GLOBAL__N_18offset_tEEE10hipError_tPvRmT1_PNSt15iterator_traitsISL_E10value_typeET2_T3_PNSM_ISR_E10value_typeET4_jRbjT5_SX_jjP12ihipStream_tbEUlT_E_NS1_11comp_targetILNS1_3genE4ELNS1_11target_archE910ELNS1_3gpuE8ELNS1_3repE0EEENS1_30default_config_static_selectorELNS0_4arch9wavefront6targetE0EEEvSL_.has_indirect_call, 0
	.section	.AMDGPU.csdata,"",@progbits
; Kernel info:
; codeLenInByte = 0
; TotalNumSgprs: 0
; NumVgprs: 0
; ScratchSize: 0
; MemoryBound: 0
; FloatMode: 240
; IeeeMode: 1
; LDSByteSize: 0 bytes/workgroup (compile time only)
; SGPRBlocks: 0
; VGPRBlocks: 0
; NumSGPRsForWavesPerEU: 1
; NumVGPRsForWavesPerEU: 1
; NamedBarCnt: 0
; Occupancy: 16
; WaveLimiterHint : 0
; COMPUTE_PGM_RSRC2:SCRATCH_EN: 0
; COMPUTE_PGM_RSRC2:USER_SGPR: 2
; COMPUTE_PGM_RSRC2:TRAP_HANDLER: 0
; COMPUTE_PGM_RSRC2:TGID_X_EN: 1
; COMPUTE_PGM_RSRC2:TGID_Y_EN: 0
; COMPUTE_PGM_RSRC2:TGID_Z_EN: 0
; COMPUTE_PGM_RSRC2:TIDIG_COMP_CNT: 0
	.section	.text._ZN7rocprim17ROCPRIM_400000_NS6detail17trampoline_kernelINS0_14default_configENS1_36segmented_radix_sort_config_selectorI12hip_bfloat16lEEZNS1_25segmented_radix_sort_implIS3_Lb1EPKS5_PS5_PKlPlN2at6native12_GLOBAL__N_18offset_tEEE10hipError_tPvRmT1_PNSt15iterator_traitsISL_E10value_typeET2_T3_PNSM_ISR_E10value_typeET4_jRbjT5_SX_jjP12ihipStream_tbEUlT_E_NS1_11comp_targetILNS1_3genE3ELNS1_11target_archE908ELNS1_3gpuE7ELNS1_3repE0EEENS1_30default_config_static_selectorELNS0_4arch9wavefront6targetE0EEEvSL_,"axG",@progbits,_ZN7rocprim17ROCPRIM_400000_NS6detail17trampoline_kernelINS0_14default_configENS1_36segmented_radix_sort_config_selectorI12hip_bfloat16lEEZNS1_25segmented_radix_sort_implIS3_Lb1EPKS5_PS5_PKlPlN2at6native12_GLOBAL__N_18offset_tEEE10hipError_tPvRmT1_PNSt15iterator_traitsISL_E10value_typeET2_T3_PNSM_ISR_E10value_typeET4_jRbjT5_SX_jjP12ihipStream_tbEUlT_E_NS1_11comp_targetILNS1_3genE3ELNS1_11target_archE908ELNS1_3gpuE7ELNS1_3repE0EEENS1_30default_config_static_selectorELNS0_4arch9wavefront6targetE0EEEvSL_,comdat
	.globl	_ZN7rocprim17ROCPRIM_400000_NS6detail17trampoline_kernelINS0_14default_configENS1_36segmented_radix_sort_config_selectorI12hip_bfloat16lEEZNS1_25segmented_radix_sort_implIS3_Lb1EPKS5_PS5_PKlPlN2at6native12_GLOBAL__N_18offset_tEEE10hipError_tPvRmT1_PNSt15iterator_traitsISL_E10value_typeET2_T3_PNSM_ISR_E10value_typeET4_jRbjT5_SX_jjP12ihipStream_tbEUlT_E_NS1_11comp_targetILNS1_3genE3ELNS1_11target_archE908ELNS1_3gpuE7ELNS1_3repE0EEENS1_30default_config_static_selectorELNS0_4arch9wavefront6targetE0EEEvSL_ ; -- Begin function _ZN7rocprim17ROCPRIM_400000_NS6detail17trampoline_kernelINS0_14default_configENS1_36segmented_radix_sort_config_selectorI12hip_bfloat16lEEZNS1_25segmented_radix_sort_implIS3_Lb1EPKS5_PS5_PKlPlN2at6native12_GLOBAL__N_18offset_tEEE10hipError_tPvRmT1_PNSt15iterator_traitsISL_E10value_typeET2_T3_PNSM_ISR_E10value_typeET4_jRbjT5_SX_jjP12ihipStream_tbEUlT_E_NS1_11comp_targetILNS1_3genE3ELNS1_11target_archE908ELNS1_3gpuE7ELNS1_3repE0EEENS1_30default_config_static_selectorELNS0_4arch9wavefront6targetE0EEEvSL_
	.p2align	8
	.type	_ZN7rocprim17ROCPRIM_400000_NS6detail17trampoline_kernelINS0_14default_configENS1_36segmented_radix_sort_config_selectorI12hip_bfloat16lEEZNS1_25segmented_radix_sort_implIS3_Lb1EPKS5_PS5_PKlPlN2at6native12_GLOBAL__N_18offset_tEEE10hipError_tPvRmT1_PNSt15iterator_traitsISL_E10value_typeET2_T3_PNSM_ISR_E10value_typeET4_jRbjT5_SX_jjP12ihipStream_tbEUlT_E_NS1_11comp_targetILNS1_3genE3ELNS1_11target_archE908ELNS1_3gpuE7ELNS1_3repE0EEENS1_30default_config_static_selectorELNS0_4arch9wavefront6targetE0EEEvSL_,@function
_ZN7rocprim17ROCPRIM_400000_NS6detail17trampoline_kernelINS0_14default_configENS1_36segmented_radix_sort_config_selectorI12hip_bfloat16lEEZNS1_25segmented_radix_sort_implIS3_Lb1EPKS5_PS5_PKlPlN2at6native12_GLOBAL__N_18offset_tEEE10hipError_tPvRmT1_PNSt15iterator_traitsISL_E10value_typeET2_T3_PNSM_ISR_E10value_typeET4_jRbjT5_SX_jjP12ihipStream_tbEUlT_E_NS1_11comp_targetILNS1_3genE3ELNS1_11target_archE908ELNS1_3gpuE7ELNS1_3repE0EEENS1_30default_config_static_selectorELNS0_4arch9wavefront6targetE0EEEvSL_: ; @_ZN7rocprim17ROCPRIM_400000_NS6detail17trampoline_kernelINS0_14default_configENS1_36segmented_radix_sort_config_selectorI12hip_bfloat16lEEZNS1_25segmented_radix_sort_implIS3_Lb1EPKS5_PS5_PKlPlN2at6native12_GLOBAL__N_18offset_tEEE10hipError_tPvRmT1_PNSt15iterator_traitsISL_E10value_typeET2_T3_PNSM_ISR_E10value_typeET4_jRbjT5_SX_jjP12ihipStream_tbEUlT_E_NS1_11comp_targetILNS1_3genE3ELNS1_11target_archE908ELNS1_3gpuE7ELNS1_3repE0EEENS1_30default_config_static_selectorELNS0_4arch9wavefront6targetE0EEEvSL_
; %bb.0:
	.section	.rodata,"a",@progbits
	.p2align	6, 0x0
	.amdhsa_kernel _ZN7rocprim17ROCPRIM_400000_NS6detail17trampoline_kernelINS0_14default_configENS1_36segmented_radix_sort_config_selectorI12hip_bfloat16lEEZNS1_25segmented_radix_sort_implIS3_Lb1EPKS5_PS5_PKlPlN2at6native12_GLOBAL__N_18offset_tEEE10hipError_tPvRmT1_PNSt15iterator_traitsISL_E10value_typeET2_T3_PNSM_ISR_E10value_typeET4_jRbjT5_SX_jjP12ihipStream_tbEUlT_E_NS1_11comp_targetILNS1_3genE3ELNS1_11target_archE908ELNS1_3gpuE7ELNS1_3repE0EEENS1_30default_config_static_selectorELNS0_4arch9wavefront6targetE0EEEvSL_
		.amdhsa_group_segment_fixed_size 0
		.amdhsa_private_segment_fixed_size 0
		.amdhsa_kernarg_size 96
		.amdhsa_user_sgpr_count 2
		.amdhsa_user_sgpr_dispatch_ptr 0
		.amdhsa_user_sgpr_queue_ptr 0
		.amdhsa_user_sgpr_kernarg_segment_ptr 1
		.amdhsa_user_sgpr_dispatch_id 0
		.amdhsa_user_sgpr_kernarg_preload_length 0
		.amdhsa_user_sgpr_kernarg_preload_offset 0
		.amdhsa_user_sgpr_private_segment_size 0
		.amdhsa_wavefront_size32 1
		.amdhsa_uses_dynamic_stack 0
		.amdhsa_enable_private_segment 0
		.amdhsa_system_sgpr_workgroup_id_x 1
		.amdhsa_system_sgpr_workgroup_id_y 0
		.amdhsa_system_sgpr_workgroup_id_z 0
		.amdhsa_system_sgpr_workgroup_info 0
		.amdhsa_system_vgpr_workitem_id 0
		.amdhsa_next_free_vgpr 1
		.amdhsa_next_free_sgpr 1
		.amdhsa_named_barrier_count 0
		.amdhsa_reserve_vcc 0
		.amdhsa_float_round_mode_32 0
		.amdhsa_float_round_mode_16_64 0
		.amdhsa_float_denorm_mode_32 3
		.amdhsa_float_denorm_mode_16_64 3
		.amdhsa_fp16_overflow 0
		.amdhsa_memory_ordered 1
		.amdhsa_forward_progress 1
		.amdhsa_inst_pref_size 0
		.amdhsa_round_robin_scheduling 0
		.amdhsa_exception_fp_ieee_invalid_op 0
		.amdhsa_exception_fp_denorm_src 0
		.amdhsa_exception_fp_ieee_div_zero 0
		.amdhsa_exception_fp_ieee_overflow 0
		.amdhsa_exception_fp_ieee_underflow 0
		.amdhsa_exception_fp_ieee_inexact 0
		.amdhsa_exception_int_div_zero 0
	.end_amdhsa_kernel
	.section	.text._ZN7rocprim17ROCPRIM_400000_NS6detail17trampoline_kernelINS0_14default_configENS1_36segmented_radix_sort_config_selectorI12hip_bfloat16lEEZNS1_25segmented_radix_sort_implIS3_Lb1EPKS5_PS5_PKlPlN2at6native12_GLOBAL__N_18offset_tEEE10hipError_tPvRmT1_PNSt15iterator_traitsISL_E10value_typeET2_T3_PNSM_ISR_E10value_typeET4_jRbjT5_SX_jjP12ihipStream_tbEUlT_E_NS1_11comp_targetILNS1_3genE3ELNS1_11target_archE908ELNS1_3gpuE7ELNS1_3repE0EEENS1_30default_config_static_selectorELNS0_4arch9wavefront6targetE0EEEvSL_,"axG",@progbits,_ZN7rocprim17ROCPRIM_400000_NS6detail17trampoline_kernelINS0_14default_configENS1_36segmented_radix_sort_config_selectorI12hip_bfloat16lEEZNS1_25segmented_radix_sort_implIS3_Lb1EPKS5_PS5_PKlPlN2at6native12_GLOBAL__N_18offset_tEEE10hipError_tPvRmT1_PNSt15iterator_traitsISL_E10value_typeET2_T3_PNSM_ISR_E10value_typeET4_jRbjT5_SX_jjP12ihipStream_tbEUlT_E_NS1_11comp_targetILNS1_3genE3ELNS1_11target_archE908ELNS1_3gpuE7ELNS1_3repE0EEENS1_30default_config_static_selectorELNS0_4arch9wavefront6targetE0EEEvSL_,comdat
.Lfunc_end1940:
	.size	_ZN7rocprim17ROCPRIM_400000_NS6detail17trampoline_kernelINS0_14default_configENS1_36segmented_radix_sort_config_selectorI12hip_bfloat16lEEZNS1_25segmented_radix_sort_implIS3_Lb1EPKS5_PS5_PKlPlN2at6native12_GLOBAL__N_18offset_tEEE10hipError_tPvRmT1_PNSt15iterator_traitsISL_E10value_typeET2_T3_PNSM_ISR_E10value_typeET4_jRbjT5_SX_jjP12ihipStream_tbEUlT_E_NS1_11comp_targetILNS1_3genE3ELNS1_11target_archE908ELNS1_3gpuE7ELNS1_3repE0EEENS1_30default_config_static_selectorELNS0_4arch9wavefront6targetE0EEEvSL_, .Lfunc_end1940-_ZN7rocprim17ROCPRIM_400000_NS6detail17trampoline_kernelINS0_14default_configENS1_36segmented_radix_sort_config_selectorI12hip_bfloat16lEEZNS1_25segmented_radix_sort_implIS3_Lb1EPKS5_PS5_PKlPlN2at6native12_GLOBAL__N_18offset_tEEE10hipError_tPvRmT1_PNSt15iterator_traitsISL_E10value_typeET2_T3_PNSM_ISR_E10value_typeET4_jRbjT5_SX_jjP12ihipStream_tbEUlT_E_NS1_11comp_targetILNS1_3genE3ELNS1_11target_archE908ELNS1_3gpuE7ELNS1_3repE0EEENS1_30default_config_static_selectorELNS0_4arch9wavefront6targetE0EEEvSL_
                                        ; -- End function
	.set _ZN7rocprim17ROCPRIM_400000_NS6detail17trampoline_kernelINS0_14default_configENS1_36segmented_radix_sort_config_selectorI12hip_bfloat16lEEZNS1_25segmented_radix_sort_implIS3_Lb1EPKS5_PS5_PKlPlN2at6native12_GLOBAL__N_18offset_tEEE10hipError_tPvRmT1_PNSt15iterator_traitsISL_E10value_typeET2_T3_PNSM_ISR_E10value_typeET4_jRbjT5_SX_jjP12ihipStream_tbEUlT_E_NS1_11comp_targetILNS1_3genE3ELNS1_11target_archE908ELNS1_3gpuE7ELNS1_3repE0EEENS1_30default_config_static_selectorELNS0_4arch9wavefront6targetE0EEEvSL_.num_vgpr, 0
	.set _ZN7rocprim17ROCPRIM_400000_NS6detail17trampoline_kernelINS0_14default_configENS1_36segmented_radix_sort_config_selectorI12hip_bfloat16lEEZNS1_25segmented_radix_sort_implIS3_Lb1EPKS5_PS5_PKlPlN2at6native12_GLOBAL__N_18offset_tEEE10hipError_tPvRmT1_PNSt15iterator_traitsISL_E10value_typeET2_T3_PNSM_ISR_E10value_typeET4_jRbjT5_SX_jjP12ihipStream_tbEUlT_E_NS1_11comp_targetILNS1_3genE3ELNS1_11target_archE908ELNS1_3gpuE7ELNS1_3repE0EEENS1_30default_config_static_selectorELNS0_4arch9wavefront6targetE0EEEvSL_.num_agpr, 0
	.set _ZN7rocprim17ROCPRIM_400000_NS6detail17trampoline_kernelINS0_14default_configENS1_36segmented_radix_sort_config_selectorI12hip_bfloat16lEEZNS1_25segmented_radix_sort_implIS3_Lb1EPKS5_PS5_PKlPlN2at6native12_GLOBAL__N_18offset_tEEE10hipError_tPvRmT1_PNSt15iterator_traitsISL_E10value_typeET2_T3_PNSM_ISR_E10value_typeET4_jRbjT5_SX_jjP12ihipStream_tbEUlT_E_NS1_11comp_targetILNS1_3genE3ELNS1_11target_archE908ELNS1_3gpuE7ELNS1_3repE0EEENS1_30default_config_static_selectorELNS0_4arch9wavefront6targetE0EEEvSL_.numbered_sgpr, 0
	.set _ZN7rocprim17ROCPRIM_400000_NS6detail17trampoline_kernelINS0_14default_configENS1_36segmented_radix_sort_config_selectorI12hip_bfloat16lEEZNS1_25segmented_radix_sort_implIS3_Lb1EPKS5_PS5_PKlPlN2at6native12_GLOBAL__N_18offset_tEEE10hipError_tPvRmT1_PNSt15iterator_traitsISL_E10value_typeET2_T3_PNSM_ISR_E10value_typeET4_jRbjT5_SX_jjP12ihipStream_tbEUlT_E_NS1_11comp_targetILNS1_3genE3ELNS1_11target_archE908ELNS1_3gpuE7ELNS1_3repE0EEENS1_30default_config_static_selectorELNS0_4arch9wavefront6targetE0EEEvSL_.num_named_barrier, 0
	.set _ZN7rocprim17ROCPRIM_400000_NS6detail17trampoline_kernelINS0_14default_configENS1_36segmented_radix_sort_config_selectorI12hip_bfloat16lEEZNS1_25segmented_radix_sort_implIS3_Lb1EPKS5_PS5_PKlPlN2at6native12_GLOBAL__N_18offset_tEEE10hipError_tPvRmT1_PNSt15iterator_traitsISL_E10value_typeET2_T3_PNSM_ISR_E10value_typeET4_jRbjT5_SX_jjP12ihipStream_tbEUlT_E_NS1_11comp_targetILNS1_3genE3ELNS1_11target_archE908ELNS1_3gpuE7ELNS1_3repE0EEENS1_30default_config_static_selectorELNS0_4arch9wavefront6targetE0EEEvSL_.private_seg_size, 0
	.set _ZN7rocprim17ROCPRIM_400000_NS6detail17trampoline_kernelINS0_14default_configENS1_36segmented_radix_sort_config_selectorI12hip_bfloat16lEEZNS1_25segmented_radix_sort_implIS3_Lb1EPKS5_PS5_PKlPlN2at6native12_GLOBAL__N_18offset_tEEE10hipError_tPvRmT1_PNSt15iterator_traitsISL_E10value_typeET2_T3_PNSM_ISR_E10value_typeET4_jRbjT5_SX_jjP12ihipStream_tbEUlT_E_NS1_11comp_targetILNS1_3genE3ELNS1_11target_archE908ELNS1_3gpuE7ELNS1_3repE0EEENS1_30default_config_static_selectorELNS0_4arch9wavefront6targetE0EEEvSL_.uses_vcc, 0
	.set _ZN7rocprim17ROCPRIM_400000_NS6detail17trampoline_kernelINS0_14default_configENS1_36segmented_radix_sort_config_selectorI12hip_bfloat16lEEZNS1_25segmented_radix_sort_implIS3_Lb1EPKS5_PS5_PKlPlN2at6native12_GLOBAL__N_18offset_tEEE10hipError_tPvRmT1_PNSt15iterator_traitsISL_E10value_typeET2_T3_PNSM_ISR_E10value_typeET4_jRbjT5_SX_jjP12ihipStream_tbEUlT_E_NS1_11comp_targetILNS1_3genE3ELNS1_11target_archE908ELNS1_3gpuE7ELNS1_3repE0EEENS1_30default_config_static_selectorELNS0_4arch9wavefront6targetE0EEEvSL_.uses_flat_scratch, 0
	.set _ZN7rocprim17ROCPRIM_400000_NS6detail17trampoline_kernelINS0_14default_configENS1_36segmented_radix_sort_config_selectorI12hip_bfloat16lEEZNS1_25segmented_radix_sort_implIS3_Lb1EPKS5_PS5_PKlPlN2at6native12_GLOBAL__N_18offset_tEEE10hipError_tPvRmT1_PNSt15iterator_traitsISL_E10value_typeET2_T3_PNSM_ISR_E10value_typeET4_jRbjT5_SX_jjP12ihipStream_tbEUlT_E_NS1_11comp_targetILNS1_3genE3ELNS1_11target_archE908ELNS1_3gpuE7ELNS1_3repE0EEENS1_30default_config_static_selectorELNS0_4arch9wavefront6targetE0EEEvSL_.has_dyn_sized_stack, 0
	.set _ZN7rocprim17ROCPRIM_400000_NS6detail17trampoline_kernelINS0_14default_configENS1_36segmented_radix_sort_config_selectorI12hip_bfloat16lEEZNS1_25segmented_radix_sort_implIS3_Lb1EPKS5_PS5_PKlPlN2at6native12_GLOBAL__N_18offset_tEEE10hipError_tPvRmT1_PNSt15iterator_traitsISL_E10value_typeET2_T3_PNSM_ISR_E10value_typeET4_jRbjT5_SX_jjP12ihipStream_tbEUlT_E_NS1_11comp_targetILNS1_3genE3ELNS1_11target_archE908ELNS1_3gpuE7ELNS1_3repE0EEENS1_30default_config_static_selectorELNS0_4arch9wavefront6targetE0EEEvSL_.has_recursion, 0
	.set _ZN7rocprim17ROCPRIM_400000_NS6detail17trampoline_kernelINS0_14default_configENS1_36segmented_radix_sort_config_selectorI12hip_bfloat16lEEZNS1_25segmented_radix_sort_implIS3_Lb1EPKS5_PS5_PKlPlN2at6native12_GLOBAL__N_18offset_tEEE10hipError_tPvRmT1_PNSt15iterator_traitsISL_E10value_typeET2_T3_PNSM_ISR_E10value_typeET4_jRbjT5_SX_jjP12ihipStream_tbEUlT_E_NS1_11comp_targetILNS1_3genE3ELNS1_11target_archE908ELNS1_3gpuE7ELNS1_3repE0EEENS1_30default_config_static_selectorELNS0_4arch9wavefront6targetE0EEEvSL_.has_indirect_call, 0
	.section	.AMDGPU.csdata,"",@progbits
; Kernel info:
; codeLenInByte = 0
; TotalNumSgprs: 0
; NumVgprs: 0
; ScratchSize: 0
; MemoryBound: 0
; FloatMode: 240
; IeeeMode: 1
; LDSByteSize: 0 bytes/workgroup (compile time only)
; SGPRBlocks: 0
; VGPRBlocks: 0
; NumSGPRsForWavesPerEU: 1
; NumVGPRsForWavesPerEU: 1
; NamedBarCnt: 0
; Occupancy: 16
; WaveLimiterHint : 0
; COMPUTE_PGM_RSRC2:SCRATCH_EN: 0
; COMPUTE_PGM_RSRC2:USER_SGPR: 2
; COMPUTE_PGM_RSRC2:TRAP_HANDLER: 0
; COMPUTE_PGM_RSRC2:TGID_X_EN: 1
; COMPUTE_PGM_RSRC2:TGID_Y_EN: 0
; COMPUTE_PGM_RSRC2:TGID_Z_EN: 0
; COMPUTE_PGM_RSRC2:TIDIG_COMP_CNT: 0
	.section	.text._ZN7rocprim17ROCPRIM_400000_NS6detail17trampoline_kernelINS0_14default_configENS1_36segmented_radix_sort_config_selectorI12hip_bfloat16lEEZNS1_25segmented_radix_sort_implIS3_Lb1EPKS5_PS5_PKlPlN2at6native12_GLOBAL__N_18offset_tEEE10hipError_tPvRmT1_PNSt15iterator_traitsISL_E10value_typeET2_T3_PNSM_ISR_E10value_typeET4_jRbjT5_SX_jjP12ihipStream_tbEUlT_E_NS1_11comp_targetILNS1_3genE2ELNS1_11target_archE906ELNS1_3gpuE6ELNS1_3repE0EEENS1_30default_config_static_selectorELNS0_4arch9wavefront6targetE0EEEvSL_,"axG",@progbits,_ZN7rocprim17ROCPRIM_400000_NS6detail17trampoline_kernelINS0_14default_configENS1_36segmented_radix_sort_config_selectorI12hip_bfloat16lEEZNS1_25segmented_radix_sort_implIS3_Lb1EPKS5_PS5_PKlPlN2at6native12_GLOBAL__N_18offset_tEEE10hipError_tPvRmT1_PNSt15iterator_traitsISL_E10value_typeET2_T3_PNSM_ISR_E10value_typeET4_jRbjT5_SX_jjP12ihipStream_tbEUlT_E_NS1_11comp_targetILNS1_3genE2ELNS1_11target_archE906ELNS1_3gpuE6ELNS1_3repE0EEENS1_30default_config_static_selectorELNS0_4arch9wavefront6targetE0EEEvSL_,comdat
	.globl	_ZN7rocprim17ROCPRIM_400000_NS6detail17trampoline_kernelINS0_14default_configENS1_36segmented_radix_sort_config_selectorI12hip_bfloat16lEEZNS1_25segmented_radix_sort_implIS3_Lb1EPKS5_PS5_PKlPlN2at6native12_GLOBAL__N_18offset_tEEE10hipError_tPvRmT1_PNSt15iterator_traitsISL_E10value_typeET2_T3_PNSM_ISR_E10value_typeET4_jRbjT5_SX_jjP12ihipStream_tbEUlT_E_NS1_11comp_targetILNS1_3genE2ELNS1_11target_archE906ELNS1_3gpuE6ELNS1_3repE0EEENS1_30default_config_static_selectorELNS0_4arch9wavefront6targetE0EEEvSL_ ; -- Begin function _ZN7rocprim17ROCPRIM_400000_NS6detail17trampoline_kernelINS0_14default_configENS1_36segmented_radix_sort_config_selectorI12hip_bfloat16lEEZNS1_25segmented_radix_sort_implIS3_Lb1EPKS5_PS5_PKlPlN2at6native12_GLOBAL__N_18offset_tEEE10hipError_tPvRmT1_PNSt15iterator_traitsISL_E10value_typeET2_T3_PNSM_ISR_E10value_typeET4_jRbjT5_SX_jjP12ihipStream_tbEUlT_E_NS1_11comp_targetILNS1_3genE2ELNS1_11target_archE906ELNS1_3gpuE6ELNS1_3repE0EEENS1_30default_config_static_selectorELNS0_4arch9wavefront6targetE0EEEvSL_
	.p2align	8
	.type	_ZN7rocprim17ROCPRIM_400000_NS6detail17trampoline_kernelINS0_14default_configENS1_36segmented_radix_sort_config_selectorI12hip_bfloat16lEEZNS1_25segmented_radix_sort_implIS3_Lb1EPKS5_PS5_PKlPlN2at6native12_GLOBAL__N_18offset_tEEE10hipError_tPvRmT1_PNSt15iterator_traitsISL_E10value_typeET2_T3_PNSM_ISR_E10value_typeET4_jRbjT5_SX_jjP12ihipStream_tbEUlT_E_NS1_11comp_targetILNS1_3genE2ELNS1_11target_archE906ELNS1_3gpuE6ELNS1_3repE0EEENS1_30default_config_static_selectorELNS0_4arch9wavefront6targetE0EEEvSL_,@function
_ZN7rocprim17ROCPRIM_400000_NS6detail17trampoline_kernelINS0_14default_configENS1_36segmented_radix_sort_config_selectorI12hip_bfloat16lEEZNS1_25segmented_radix_sort_implIS3_Lb1EPKS5_PS5_PKlPlN2at6native12_GLOBAL__N_18offset_tEEE10hipError_tPvRmT1_PNSt15iterator_traitsISL_E10value_typeET2_T3_PNSM_ISR_E10value_typeET4_jRbjT5_SX_jjP12ihipStream_tbEUlT_E_NS1_11comp_targetILNS1_3genE2ELNS1_11target_archE906ELNS1_3gpuE6ELNS1_3repE0EEENS1_30default_config_static_selectorELNS0_4arch9wavefront6targetE0EEEvSL_: ; @_ZN7rocprim17ROCPRIM_400000_NS6detail17trampoline_kernelINS0_14default_configENS1_36segmented_radix_sort_config_selectorI12hip_bfloat16lEEZNS1_25segmented_radix_sort_implIS3_Lb1EPKS5_PS5_PKlPlN2at6native12_GLOBAL__N_18offset_tEEE10hipError_tPvRmT1_PNSt15iterator_traitsISL_E10value_typeET2_T3_PNSM_ISR_E10value_typeET4_jRbjT5_SX_jjP12ihipStream_tbEUlT_E_NS1_11comp_targetILNS1_3genE2ELNS1_11target_archE906ELNS1_3gpuE6ELNS1_3repE0EEENS1_30default_config_static_selectorELNS0_4arch9wavefront6targetE0EEEvSL_
; %bb.0:
	.section	.rodata,"a",@progbits
	.p2align	6, 0x0
	.amdhsa_kernel _ZN7rocprim17ROCPRIM_400000_NS6detail17trampoline_kernelINS0_14default_configENS1_36segmented_radix_sort_config_selectorI12hip_bfloat16lEEZNS1_25segmented_radix_sort_implIS3_Lb1EPKS5_PS5_PKlPlN2at6native12_GLOBAL__N_18offset_tEEE10hipError_tPvRmT1_PNSt15iterator_traitsISL_E10value_typeET2_T3_PNSM_ISR_E10value_typeET4_jRbjT5_SX_jjP12ihipStream_tbEUlT_E_NS1_11comp_targetILNS1_3genE2ELNS1_11target_archE906ELNS1_3gpuE6ELNS1_3repE0EEENS1_30default_config_static_selectorELNS0_4arch9wavefront6targetE0EEEvSL_
		.amdhsa_group_segment_fixed_size 0
		.amdhsa_private_segment_fixed_size 0
		.amdhsa_kernarg_size 96
		.amdhsa_user_sgpr_count 2
		.amdhsa_user_sgpr_dispatch_ptr 0
		.amdhsa_user_sgpr_queue_ptr 0
		.amdhsa_user_sgpr_kernarg_segment_ptr 1
		.amdhsa_user_sgpr_dispatch_id 0
		.amdhsa_user_sgpr_kernarg_preload_length 0
		.amdhsa_user_sgpr_kernarg_preload_offset 0
		.amdhsa_user_sgpr_private_segment_size 0
		.amdhsa_wavefront_size32 1
		.amdhsa_uses_dynamic_stack 0
		.amdhsa_enable_private_segment 0
		.amdhsa_system_sgpr_workgroup_id_x 1
		.amdhsa_system_sgpr_workgroup_id_y 0
		.amdhsa_system_sgpr_workgroup_id_z 0
		.amdhsa_system_sgpr_workgroup_info 0
		.amdhsa_system_vgpr_workitem_id 0
		.amdhsa_next_free_vgpr 1
		.amdhsa_next_free_sgpr 1
		.amdhsa_named_barrier_count 0
		.amdhsa_reserve_vcc 0
		.amdhsa_float_round_mode_32 0
		.amdhsa_float_round_mode_16_64 0
		.amdhsa_float_denorm_mode_32 3
		.amdhsa_float_denorm_mode_16_64 3
		.amdhsa_fp16_overflow 0
		.amdhsa_memory_ordered 1
		.amdhsa_forward_progress 1
		.amdhsa_inst_pref_size 0
		.amdhsa_round_robin_scheduling 0
		.amdhsa_exception_fp_ieee_invalid_op 0
		.amdhsa_exception_fp_denorm_src 0
		.amdhsa_exception_fp_ieee_div_zero 0
		.amdhsa_exception_fp_ieee_overflow 0
		.amdhsa_exception_fp_ieee_underflow 0
		.amdhsa_exception_fp_ieee_inexact 0
		.amdhsa_exception_int_div_zero 0
	.end_amdhsa_kernel
	.section	.text._ZN7rocprim17ROCPRIM_400000_NS6detail17trampoline_kernelINS0_14default_configENS1_36segmented_radix_sort_config_selectorI12hip_bfloat16lEEZNS1_25segmented_radix_sort_implIS3_Lb1EPKS5_PS5_PKlPlN2at6native12_GLOBAL__N_18offset_tEEE10hipError_tPvRmT1_PNSt15iterator_traitsISL_E10value_typeET2_T3_PNSM_ISR_E10value_typeET4_jRbjT5_SX_jjP12ihipStream_tbEUlT_E_NS1_11comp_targetILNS1_3genE2ELNS1_11target_archE906ELNS1_3gpuE6ELNS1_3repE0EEENS1_30default_config_static_selectorELNS0_4arch9wavefront6targetE0EEEvSL_,"axG",@progbits,_ZN7rocprim17ROCPRIM_400000_NS6detail17trampoline_kernelINS0_14default_configENS1_36segmented_radix_sort_config_selectorI12hip_bfloat16lEEZNS1_25segmented_radix_sort_implIS3_Lb1EPKS5_PS5_PKlPlN2at6native12_GLOBAL__N_18offset_tEEE10hipError_tPvRmT1_PNSt15iterator_traitsISL_E10value_typeET2_T3_PNSM_ISR_E10value_typeET4_jRbjT5_SX_jjP12ihipStream_tbEUlT_E_NS1_11comp_targetILNS1_3genE2ELNS1_11target_archE906ELNS1_3gpuE6ELNS1_3repE0EEENS1_30default_config_static_selectorELNS0_4arch9wavefront6targetE0EEEvSL_,comdat
.Lfunc_end1941:
	.size	_ZN7rocprim17ROCPRIM_400000_NS6detail17trampoline_kernelINS0_14default_configENS1_36segmented_radix_sort_config_selectorI12hip_bfloat16lEEZNS1_25segmented_radix_sort_implIS3_Lb1EPKS5_PS5_PKlPlN2at6native12_GLOBAL__N_18offset_tEEE10hipError_tPvRmT1_PNSt15iterator_traitsISL_E10value_typeET2_T3_PNSM_ISR_E10value_typeET4_jRbjT5_SX_jjP12ihipStream_tbEUlT_E_NS1_11comp_targetILNS1_3genE2ELNS1_11target_archE906ELNS1_3gpuE6ELNS1_3repE0EEENS1_30default_config_static_selectorELNS0_4arch9wavefront6targetE0EEEvSL_, .Lfunc_end1941-_ZN7rocprim17ROCPRIM_400000_NS6detail17trampoline_kernelINS0_14default_configENS1_36segmented_radix_sort_config_selectorI12hip_bfloat16lEEZNS1_25segmented_radix_sort_implIS3_Lb1EPKS5_PS5_PKlPlN2at6native12_GLOBAL__N_18offset_tEEE10hipError_tPvRmT1_PNSt15iterator_traitsISL_E10value_typeET2_T3_PNSM_ISR_E10value_typeET4_jRbjT5_SX_jjP12ihipStream_tbEUlT_E_NS1_11comp_targetILNS1_3genE2ELNS1_11target_archE906ELNS1_3gpuE6ELNS1_3repE0EEENS1_30default_config_static_selectorELNS0_4arch9wavefront6targetE0EEEvSL_
                                        ; -- End function
	.set _ZN7rocprim17ROCPRIM_400000_NS6detail17trampoline_kernelINS0_14default_configENS1_36segmented_radix_sort_config_selectorI12hip_bfloat16lEEZNS1_25segmented_radix_sort_implIS3_Lb1EPKS5_PS5_PKlPlN2at6native12_GLOBAL__N_18offset_tEEE10hipError_tPvRmT1_PNSt15iterator_traitsISL_E10value_typeET2_T3_PNSM_ISR_E10value_typeET4_jRbjT5_SX_jjP12ihipStream_tbEUlT_E_NS1_11comp_targetILNS1_3genE2ELNS1_11target_archE906ELNS1_3gpuE6ELNS1_3repE0EEENS1_30default_config_static_selectorELNS0_4arch9wavefront6targetE0EEEvSL_.num_vgpr, 0
	.set _ZN7rocprim17ROCPRIM_400000_NS6detail17trampoline_kernelINS0_14default_configENS1_36segmented_radix_sort_config_selectorI12hip_bfloat16lEEZNS1_25segmented_radix_sort_implIS3_Lb1EPKS5_PS5_PKlPlN2at6native12_GLOBAL__N_18offset_tEEE10hipError_tPvRmT1_PNSt15iterator_traitsISL_E10value_typeET2_T3_PNSM_ISR_E10value_typeET4_jRbjT5_SX_jjP12ihipStream_tbEUlT_E_NS1_11comp_targetILNS1_3genE2ELNS1_11target_archE906ELNS1_3gpuE6ELNS1_3repE0EEENS1_30default_config_static_selectorELNS0_4arch9wavefront6targetE0EEEvSL_.num_agpr, 0
	.set _ZN7rocprim17ROCPRIM_400000_NS6detail17trampoline_kernelINS0_14default_configENS1_36segmented_radix_sort_config_selectorI12hip_bfloat16lEEZNS1_25segmented_radix_sort_implIS3_Lb1EPKS5_PS5_PKlPlN2at6native12_GLOBAL__N_18offset_tEEE10hipError_tPvRmT1_PNSt15iterator_traitsISL_E10value_typeET2_T3_PNSM_ISR_E10value_typeET4_jRbjT5_SX_jjP12ihipStream_tbEUlT_E_NS1_11comp_targetILNS1_3genE2ELNS1_11target_archE906ELNS1_3gpuE6ELNS1_3repE0EEENS1_30default_config_static_selectorELNS0_4arch9wavefront6targetE0EEEvSL_.numbered_sgpr, 0
	.set _ZN7rocprim17ROCPRIM_400000_NS6detail17trampoline_kernelINS0_14default_configENS1_36segmented_radix_sort_config_selectorI12hip_bfloat16lEEZNS1_25segmented_radix_sort_implIS3_Lb1EPKS5_PS5_PKlPlN2at6native12_GLOBAL__N_18offset_tEEE10hipError_tPvRmT1_PNSt15iterator_traitsISL_E10value_typeET2_T3_PNSM_ISR_E10value_typeET4_jRbjT5_SX_jjP12ihipStream_tbEUlT_E_NS1_11comp_targetILNS1_3genE2ELNS1_11target_archE906ELNS1_3gpuE6ELNS1_3repE0EEENS1_30default_config_static_selectorELNS0_4arch9wavefront6targetE0EEEvSL_.num_named_barrier, 0
	.set _ZN7rocprim17ROCPRIM_400000_NS6detail17trampoline_kernelINS0_14default_configENS1_36segmented_radix_sort_config_selectorI12hip_bfloat16lEEZNS1_25segmented_radix_sort_implIS3_Lb1EPKS5_PS5_PKlPlN2at6native12_GLOBAL__N_18offset_tEEE10hipError_tPvRmT1_PNSt15iterator_traitsISL_E10value_typeET2_T3_PNSM_ISR_E10value_typeET4_jRbjT5_SX_jjP12ihipStream_tbEUlT_E_NS1_11comp_targetILNS1_3genE2ELNS1_11target_archE906ELNS1_3gpuE6ELNS1_3repE0EEENS1_30default_config_static_selectorELNS0_4arch9wavefront6targetE0EEEvSL_.private_seg_size, 0
	.set _ZN7rocprim17ROCPRIM_400000_NS6detail17trampoline_kernelINS0_14default_configENS1_36segmented_radix_sort_config_selectorI12hip_bfloat16lEEZNS1_25segmented_radix_sort_implIS3_Lb1EPKS5_PS5_PKlPlN2at6native12_GLOBAL__N_18offset_tEEE10hipError_tPvRmT1_PNSt15iterator_traitsISL_E10value_typeET2_T3_PNSM_ISR_E10value_typeET4_jRbjT5_SX_jjP12ihipStream_tbEUlT_E_NS1_11comp_targetILNS1_3genE2ELNS1_11target_archE906ELNS1_3gpuE6ELNS1_3repE0EEENS1_30default_config_static_selectorELNS0_4arch9wavefront6targetE0EEEvSL_.uses_vcc, 0
	.set _ZN7rocprim17ROCPRIM_400000_NS6detail17trampoline_kernelINS0_14default_configENS1_36segmented_radix_sort_config_selectorI12hip_bfloat16lEEZNS1_25segmented_radix_sort_implIS3_Lb1EPKS5_PS5_PKlPlN2at6native12_GLOBAL__N_18offset_tEEE10hipError_tPvRmT1_PNSt15iterator_traitsISL_E10value_typeET2_T3_PNSM_ISR_E10value_typeET4_jRbjT5_SX_jjP12ihipStream_tbEUlT_E_NS1_11comp_targetILNS1_3genE2ELNS1_11target_archE906ELNS1_3gpuE6ELNS1_3repE0EEENS1_30default_config_static_selectorELNS0_4arch9wavefront6targetE0EEEvSL_.uses_flat_scratch, 0
	.set _ZN7rocprim17ROCPRIM_400000_NS6detail17trampoline_kernelINS0_14default_configENS1_36segmented_radix_sort_config_selectorI12hip_bfloat16lEEZNS1_25segmented_radix_sort_implIS3_Lb1EPKS5_PS5_PKlPlN2at6native12_GLOBAL__N_18offset_tEEE10hipError_tPvRmT1_PNSt15iterator_traitsISL_E10value_typeET2_T3_PNSM_ISR_E10value_typeET4_jRbjT5_SX_jjP12ihipStream_tbEUlT_E_NS1_11comp_targetILNS1_3genE2ELNS1_11target_archE906ELNS1_3gpuE6ELNS1_3repE0EEENS1_30default_config_static_selectorELNS0_4arch9wavefront6targetE0EEEvSL_.has_dyn_sized_stack, 0
	.set _ZN7rocprim17ROCPRIM_400000_NS6detail17trampoline_kernelINS0_14default_configENS1_36segmented_radix_sort_config_selectorI12hip_bfloat16lEEZNS1_25segmented_radix_sort_implIS3_Lb1EPKS5_PS5_PKlPlN2at6native12_GLOBAL__N_18offset_tEEE10hipError_tPvRmT1_PNSt15iterator_traitsISL_E10value_typeET2_T3_PNSM_ISR_E10value_typeET4_jRbjT5_SX_jjP12ihipStream_tbEUlT_E_NS1_11comp_targetILNS1_3genE2ELNS1_11target_archE906ELNS1_3gpuE6ELNS1_3repE0EEENS1_30default_config_static_selectorELNS0_4arch9wavefront6targetE0EEEvSL_.has_recursion, 0
	.set _ZN7rocprim17ROCPRIM_400000_NS6detail17trampoline_kernelINS0_14default_configENS1_36segmented_radix_sort_config_selectorI12hip_bfloat16lEEZNS1_25segmented_radix_sort_implIS3_Lb1EPKS5_PS5_PKlPlN2at6native12_GLOBAL__N_18offset_tEEE10hipError_tPvRmT1_PNSt15iterator_traitsISL_E10value_typeET2_T3_PNSM_ISR_E10value_typeET4_jRbjT5_SX_jjP12ihipStream_tbEUlT_E_NS1_11comp_targetILNS1_3genE2ELNS1_11target_archE906ELNS1_3gpuE6ELNS1_3repE0EEENS1_30default_config_static_selectorELNS0_4arch9wavefront6targetE0EEEvSL_.has_indirect_call, 0
	.section	.AMDGPU.csdata,"",@progbits
; Kernel info:
; codeLenInByte = 0
; TotalNumSgprs: 0
; NumVgprs: 0
; ScratchSize: 0
; MemoryBound: 0
; FloatMode: 240
; IeeeMode: 1
; LDSByteSize: 0 bytes/workgroup (compile time only)
; SGPRBlocks: 0
; VGPRBlocks: 0
; NumSGPRsForWavesPerEU: 1
; NumVGPRsForWavesPerEU: 1
; NamedBarCnt: 0
; Occupancy: 16
; WaveLimiterHint : 0
; COMPUTE_PGM_RSRC2:SCRATCH_EN: 0
; COMPUTE_PGM_RSRC2:USER_SGPR: 2
; COMPUTE_PGM_RSRC2:TRAP_HANDLER: 0
; COMPUTE_PGM_RSRC2:TGID_X_EN: 1
; COMPUTE_PGM_RSRC2:TGID_Y_EN: 0
; COMPUTE_PGM_RSRC2:TGID_Z_EN: 0
; COMPUTE_PGM_RSRC2:TIDIG_COMP_CNT: 0
	.section	.text._ZN7rocprim17ROCPRIM_400000_NS6detail17trampoline_kernelINS0_14default_configENS1_36segmented_radix_sort_config_selectorI12hip_bfloat16lEEZNS1_25segmented_radix_sort_implIS3_Lb1EPKS5_PS5_PKlPlN2at6native12_GLOBAL__N_18offset_tEEE10hipError_tPvRmT1_PNSt15iterator_traitsISL_E10value_typeET2_T3_PNSM_ISR_E10value_typeET4_jRbjT5_SX_jjP12ihipStream_tbEUlT_E_NS1_11comp_targetILNS1_3genE10ELNS1_11target_archE1201ELNS1_3gpuE5ELNS1_3repE0EEENS1_30default_config_static_selectorELNS0_4arch9wavefront6targetE0EEEvSL_,"axG",@progbits,_ZN7rocprim17ROCPRIM_400000_NS6detail17trampoline_kernelINS0_14default_configENS1_36segmented_radix_sort_config_selectorI12hip_bfloat16lEEZNS1_25segmented_radix_sort_implIS3_Lb1EPKS5_PS5_PKlPlN2at6native12_GLOBAL__N_18offset_tEEE10hipError_tPvRmT1_PNSt15iterator_traitsISL_E10value_typeET2_T3_PNSM_ISR_E10value_typeET4_jRbjT5_SX_jjP12ihipStream_tbEUlT_E_NS1_11comp_targetILNS1_3genE10ELNS1_11target_archE1201ELNS1_3gpuE5ELNS1_3repE0EEENS1_30default_config_static_selectorELNS0_4arch9wavefront6targetE0EEEvSL_,comdat
	.globl	_ZN7rocprim17ROCPRIM_400000_NS6detail17trampoline_kernelINS0_14default_configENS1_36segmented_radix_sort_config_selectorI12hip_bfloat16lEEZNS1_25segmented_radix_sort_implIS3_Lb1EPKS5_PS5_PKlPlN2at6native12_GLOBAL__N_18offset_tEEE10hipError_tPvRmT1_PNSt15iterator_traitsISL_E10value_typeET2_T3_PNSM_ISR_E10value_typeET4_jRbjT5_SX_jjP12ihipStream_tbEUlT_E_NS1_11comp_targetILNS1_3genE10ELNS1_11target_archE1201ELNS1_3gpuE5ELNS1_3repE0EEENS1_30default_config_static_selectorELNS0_4arch9wavefront6targetE0EEEvSL_ ; -- Begin function _ZN7rocprim17ROCPRIM_400000_NS6detail17trampoline_kernelINS0_14default_configENS1_36segmented_radix_sort_config_selectorI12hip_bfloat16lEEZNS1_25segmented_radix_sort_implIS3_Lb1EPKS5_PS5_PKlPlN2at6native12_GLOBAL__N_18offset_tEEE10hipError_tPvRmT1_PNSt15iterator_traitsISL_E10value_typeET2_T3_PNSM_ISR_E10value_typeET4_jRbjT5_SX_jjP12ihipStream_tbEUlT_E_NS1_11comp_targetILNS1_3genE10ELNS1_11target_archE1201ELNS1_3gpuE5ELNS1_3repE0EEENS1_30default_config_static_selectorELNS0_4arch9wavefront6targetE0EEEvSL_
	.p2align	8
	.type	_ZN7rocprim17ROCPRIM_400000_NS6detail17trampoline_kernelINS0_14default_configENS1_36segmented_radix_sort_config_selectorI12hip_bfloat16lEEZNS1_25segmented_radix_sort_implIS3_Lb1EPKS5_PS5_PKlPlN2at6native12_GLOBAL__N_18offset_tEEE10hipError_tPvRmT1_PNSt15iterator_traitsISL_E10value_typeET2_T3_PNSM_ISR_E10value_typeET4_jRbjT5_SX_jjP12ihipStream_tbEUlT_E_NS1_11comp_targetILNS1_3genE10ELNS1_11target_archE1201ELNS1_3gpuE5ELNS1_3repE0EEENS1_30default_config_static_selectorELNS0_4arch9wavefront6targetE0EEEvSL_,@function
_ZN7rocprim17ROCPRIM_400000_NS6detail17trampoline_kernelINS0_14default_configENS1_36segmented_radix_sort_config_selectorI12hip_bfloat16lEEZNS1_25segmented_radix_sort_implIS3_Lb1EPKS5_PS5_PKlPlN2at6native12_GLOBAL__N_18offset_tEEE10hipError_tPvRmT1_PNSt15iterator_traitsISL_E10value_typeET2_T3_PNSM_ISR_E10value_typeET4_jRbjT5_SX_jjP12ihipStream_tbEUlT_E_NS1_11comp_targetILNS1_3genE10ELNS1_11target_archE1201ELNS1_3gpuE5ELNS1_3repE0EEENS1_30default_config_static_selectorELNS0_4arch9wavefront6targetE0EEEvSL_: ; @_ZN7rocprim17ROCPRIM_400000_NS6detail17trampoline_kernelINS0_14default_configENS1_36segmented_radix_sort_config_selectorI12hip_bfloat16lEEZNS1_25segmented_radix_sort_implIS3_Lb1EPKS5_PS5_PKlPlN2at6native12_GLOBAL__N_18offset_tEEE10hipError_tPvRmT1_PNSt15iterator_traitsISL_E10value_typeET2_T3_PNSM_ISR_E10value_typeET4_jRbjT5_SX_jjP12ihipStream_tbEUlT_E_NS1_11comp_targetILNS1_3genE10ELNS1_11target_archE1201ELNS1_3gpuE5ELNS1_3repE0EEENS1_30default_config_static_selectorELNS0_4arch9wavefront6targetE0EEEvSL_
; %bb.0:
	.section	.rodata,"a",@progbits
	.p2align	6, 0x0
	.amdhsa_kernel _ZN7rocprim17ROCPRIM_400000_NS6detail17trampoline_kernelINS0_14default_configENS1_36segmented_radix_sort_config_selectorI12hip_bfloat16lEEZNS1_25segmented_radix_sort_implIS3_Lb1EPKS5_PS5_PKlPlN2at6native12_GLOBAL__N_18offset_tEEE10hipError_tPvRmT1_PNSt15iterator_traitsISL_E10value_typeET2_T3_PNSM_ISR_E10value_typeET4_jRbjT5_SX_jjP12ihipStream_tbEUlT_E_NS1_11comp_targetILNS1_3genE10ELNS1_11target_archE1201ELNS1_3gpuE5ELNS1_3repE0EEENS1_30default_config_static_selectorELNS0_4arch9wavefront6targetE0EEEvSL_
		.amdhsa_group_segment_fixed_size 0
		.amdhsa_private_segment_fixed_size 0
		.amdhsa_kernarg_size 96
		.amdhsa_user_sgpr_count 2
		.amdhsa_user_sgpr_dispatch_ptr 0
		.amdhsa_user_sgpr_queue_ptr 0
		.amdhsa_user_sgpr_kernarg_segment_ptr 1
		.amdhsa_user_sgpr_dispatch_id 0
		.amdhsa_user_sgpr_kernarg_preload_length 0
		.amdhsa_user_sgpr_kernarg_preload_offset 0
		.amdhsa_user_sgpr_private_segment_size 0
		.amdhsa_wavefront_size32 1
		.amdhsa_uses_dynamic_stack 0
		.amdhsa_enable_private_segment 0
		.amdhsa_system_sgpr_workgroup_id_x 1
		.amdhsa_system_sgpr_workgroup_id_y 0
		.amdhsa_system_sgpr_workgroup_id_z 0
		.amdhsa_system_sgpr_workgroup_info 0
		.amdhsa_system_vgpr_workitem_id 0
		.amdhsa_next_free_vgpr 1
		.amdhsa_next_free_sgpr 1
		.amdhsa_named_barrier_count 0
		.amdhsa_reserve_vcc 0
		.amdhsa_float_round_mode_32 0
		.amdhsa_float_round_mode_16_64 0
		.amdhsa_float_denorm_mode_32 3
		.amdhsa_float_denorm_mode_16_64 3
		.amdhsa_fp16_overflow 0
		.amdhsa_memory_ordered 1
		.amdhsa_forward_progress 1
		.amdhsa_inst_pref_size 0
		.amdhsa_round_robin_scheduling 0
		.amdhsa_exception_fp_ieee_invalid_op 0
		.amdhsa_exception_fp_denorm_src 0
		.amdhsa_exception_fp_ieee_div_zero 0
		.amdhsa_exception_fp_ieee_overflow 0
		.amdhsa_exception_fp_ieee_underflow 0
		.amdhsa_exception_fp_ieee_inexact 0
		.amdhsa_exception_int_div_zero 0
	.end_amdhsa_kernel
	.section	.text._ZN7rocprim17ROCPRIM_400000_NS6detail17trampoline_kernelINS0_14default_configENS1_36segmented_radix_sort_config_selectorI12hip_bfloat16lEEZNS1_25segmented_radix_sort_implIS3_Lb1EPKS5_PS5_PKlPlN2at6native12_GLOBAL__N_18offset_tEEE10hipError_tPvRmT1_PNSt15iterator_traitsISL_E10value_typeET2_T3_PNSM_ISR_E10value_typeET4_jRbjT5_SX_jjP12ihipStream_tbEUlT_E_NS1_11comp_targetILNS1_3genE10ELNS1_11target_archE1201ELNS1_3gpuE5ELNS1_3repE0EEENS1_30default_config_static_selectorELNS0_4arch9wavefront6targetE0EEEvSL_,"axG",@progbits,_ZN7rocprim17ROCPRIM_400000_NS6detail17trampoline_kernelINS0_14default_configENS1_36segmented_radix_sort_config_selectorI12hip_bfloat16lEEZNS1_25segmented_radix_sort_implIS3_Lb1EPKS5_PS5_PKlPlN2at6native12_GLOBAL__N_18offset_tEEE10hipError_tPvRmT1_PNSt15iterator_traitsISL_E10value_typeET2_T3_PNSM_ISR_E10value_typeET4_jRbjT5_SX_jjP12ihipStream_tbEUlT_E_NS1_11comp_targetILNS1_3genE10ELNS1_11target_archE1201ELNS1_3gpuE5ELNS1_3repE0EEENS1_30default_config_static_selectorELNS0_4arch9wavefront6targetE0EEEvSL_,comdat
.Lfunc_end1942:
	.size	_ZN7rocprim17ROCPRIM_400000_NS6detail17trampoline_kernelINS0_14default_configENS1_36segmented_radix_sort_config_selectorI12hip_bfloat16lEEZNS1_25segmented_radix_sort_implIS3_Lb1EPKS5_PS5_PKlPlN2at6native12_GLOBAL__N_18offset_tEEE10hipError_tPvRmT1_PNSt15iterator_traitsISL_E10value_typeET2_T3_PNSM_ISR_E10value_typeET4_jRbjT5_SX_jjP12ihipStream_tbEUlT_E_NS1_11comp_targetILNS1_3genE10ELNS1_11target_archE1201ELNS1_3gpuE5ELNS1_3repE0EEENS1_30default_config_static_selectorELNS0_4arch9wavefront6targetE0EEEvSL_, .Lfunc_end1942-_ZN7rocprim17ROCPRIM_400000_NS6detail17trampoline_kernelINS0_14default_configENS1_36segmented_radix_sort_config_selectorI12hip_bfloat16lEEZNS1_25segmented_radix_sort_implIS3_Lb1EPKS5_PS5_PKlPlN2at6native12_GLOBAL__N_18offset_tEEE10hipError_tPvRmT1_PNSt15iterator_traitsISL_E10value_typeET2_T3_PNSM_ISR_E10value_typeET4_jRbjT5_SX_jjP12ihipStream_tbEUlT_E_NS1_11comp_targetILNS1_3genE10ELNS1_11target_archE1201ELNS1_3gpuE5ELNS1_3repE0EEENS1_30default_config_static_selectorELNS0_4arch9wavefront6targetE0EEEvSL_
                                        ; -- End function
	.set _ZN7rocprim17ROCPRIM_400000_NS6detail17trampoline_kernelINS0_14default_configENS1_36segmented_radix_sort_config_selectorI12hip_bfloat16lEEZNS1_25segmented_radix_sort_implIS3_Lb1EPKS5_PS5_PKlPlN2at6native12_GLOBAL__N_18offset_tEEE10hipError_tPvRmT1_PNSt15iterator_traitsISL_E10value_typeET2_T3_PNSM_ISR_E10value_typeET4_jRbjT5_SX_jjP12ihipStream_tbEUlT_E_NS1_11comp_targetILNS1_3genE10ELNS1_11target_archE1201ELNS1_3gpuE5ELNS1_3repE0EEENS1_30default_config_static_selectorELNS0_4arch9wavefront6targetE0EEEvSL_.num_vgpr, 0
	.set _ZN7rocprim17ROCPRIM_400000_NS6detail17trampoline_kernelINS0_14default_configENS1_36segmented_radix_sort_config_selectorI12hip_bfloat16lEEZNS1_25segmented_radix_sort_implIS3_Lb1EPKS5_PS5_PKlPlN2at6native12_GLOBAL__N_18offset_tEEE10hipError_tPvRmT1_PNSt15iterator_traitsISL_E10value_typeET2_T3_PNSM_ISR_E10value_typeET4_jRbjT5_SX_jjP12ihipStream_tbEUlT_E_NS1_11comp_targetILNS1_3genE10ELNS1_11target_archE1201ELNS1_3gpuE5ELNS1_3repE0EEENS1_30default_config_static_selectorELNS0_4arch9wavefront6targetE0EEEvSL_.num_agpr, 0
	.set _ZN7rocprim17ROCPRIM_400000_NS6detail17trampoline_kernelINS0_14default_configENS1_36segmented_radix_sort_config_selectorI12hip_bfloat16lEEZNS1_25segmented_radix_sort_implIS3_Lb1EPKS5_PS5_PKlPlN2at6native12_GLOBAL__N_18offset_tEEE10hipError_tPvRmT1_PNSt15iterator_traitsISL_E10value_typeET2_T3_PNSM_ISR_E10value_typeET4_jRbjT5_SX_jjP12ihipStream_tbEUlT_E_NS1_11comp_targetILNS1_3genE10ELNS1_11target_archE1201ELNS1_3gpuE5ELNS1_3repE0EEENS1_30default_config_static_selectorELNS0_4arch9wavefront6targetE0EEEvSL_.numbered_sgpr, 0
	.set _ZN7rocprim17ROCPRIM_400000_NS6detail17trampoline_kernelINS0_14default_configENS1_36segmented_radix_sort_config_selectorI12hip_bfloat16lEEZNS1_25segmented_radix_sort_implIS3_Lb1EPKS5_PS5_PKlPlN2at6native12_GLOBAL__N_18offset_tEEE10hipError_tPvRmT1_PNSt15iterator_traitsISL_E10value_typeET2_T3_PNSM_ISR_E10value_typeET4_jRbjT5_SX_jjP12ihipStream_tbEUlT_E_NS1_11comp_targetILNS1_3genE10ELNS1_11target_archE1201ELNS1_3gpuE5ELNS1_3repE0EEENS1_30default_config_static_selectorELNS0_4arch9wavefront6targetE0EEEvSL_.num_named_barrier, 0
	.set _ZN7rocprim17ROCPRIM_400000_NS6detail17trampoline_kernelINS0_14default_configENS1_36segmented_radix_sort_config_selectorI12hip_bfloat16lEEZNS1_25segmented_radix_sort_implIS3_Lb1EPKS5_PS5_PKlPlN2at6native12_GLOBAL__N_18offset_tEEE10hipError_tPvRmT1_PNSt15iterator_traitsISL_E10value_typeET2_T3_PNSM_ISR_E10value_typeET4_jRbjT5_SX_jjP12ihipStream_tbEUlT_E_NS1_11comp_targetILNS1_3genE10ELNS1_11target_archE1201ELNS1_3gpuE5ELNS1_3repE0EEENS1_30default_config_static_selectorELNS0_4arch9wavefront6targetE0EEEvSL_.private_seg_size, 0
	.set _ZN7rocprim17ROCPRIM_400000_NS6detail17trampoline_kernelINS0_14default_configENS1_36segmented_radix_sort_config_selectorI12hip_bfloat16lEEZNS1_25segmented_radix_sort_implIS3_Lb1EPKS5_PS5_PKlPlN2at6native12_GLOBAL__N_18offset_tEEE10hipError_tPvRmT1_PNSt15iterator_traitsISL_E10value_typeET2_T3_PNSM_ISR_E10value_typeET4_jRbjT5_SX_jjP12ihipStream_tbEUlT_E_NS1_11comp_targetILNS1_3genE10ELNS1_11target_archE1201ELNS1_3gpuE5ELNS1_3repE0EEENS1_30default_config_static_selectorELNS0_4arch9wavefront6targetE0EEEvSL_.uses_vcc, 0
	.set _ZN7rocprim17ROCPRIM_400000_NS6detail17trampoline_kernelINS0_14default_configENS1_36segmented_radix_sort_config_selectorI12hip_bfloat16lEEZNS1_25segmented_radix_sort_implIS3_Lb1EPKS5_PS5_PKlPlN2at6native12_GLOBAL__N_18offset_tEEE10hipError_tPvRmT1_PNSt15iterator_traitsISL_E10value_typeET2_T3_PNSM_ISR_E10value_typeET4_jRbjT5_SX_jjP12ihipStream_tbEUlT_E_NS1_11comp_targetILNS1_3genE10ELNS1_11target_archE1201ELNS1_3gpuE5ELNS1_3repE0EEENS1_30default_config_static_selectorELNS0_4arch9wavefront6targetE0EEEvSL_.uses_flat_scratch, 0
	.set _ZN7rocprim17ROCPRIM_400000_NS6detail17trampoline_kernelINS0_14default_configENS1_36segmented_radix_sort_config_selectorI12hip_bfloat16lEEZNS1_25segmented_radix_sort_implIS3_Lb1EPKS5_PS5_PKlPlN2at6native12_GLOBAL__N_18offset_tEEE10hipError_tPvRmT1_PNSt15iterator_traitsISL_E10value_typeET2_T3_PNSM_ISR_E10value_typeET4_jRbjT5_SX_jjP12ihipStream_tbEUlT_E_NS1_11comp_targetILNS1_3genE10ELNS1_11target_archE1201ELNS1_3gpuE5ELNS1_3repE0EEENS1_30default_config_static_selectorELNS0_4arch9wavefront6targetE0EEEvSL_.has_dyn_sized_stack, 0
	.set _ZN7rocprim17ROCPRIM_400000_NS6detail17trampoline_kernelINS0_14default_configENS1_36segmented_radix_sort_config_selectorI12hip_bfloat16lEEZNS1_25segmented_radix_sort_implIS3_Lb1EPKS5_PS5_PKlPlN2at6native12_GLOBAL__N_18offset_tEEE10hipError_tPvRmT1_PNSt15iterator_traitsISL_E10value_typeET2_T3_PNSM_ISR_E10value_typeET4_jRbjT5_SX_jjP12ihipStream_tbEUlT_E_NS1_11comp_targetILNS1_3genE10ELNS1_11target_archE1201ELNS1_3gpuE5ELNS1_3repE0EEENS1_30default_config_static_selectorELNS0_4arch9wavefront6targetE0EEEvSL_.has_recursion, 0
	.set _ZN7rocprim17ROCPRIM_400000_NS6detail17trampoline_kernelINS0_14default_configENS1_36segmented_radix_sort_config_selectorI12hip_bfloat16lEEZNS1_25segmented_radix_sort_implIS3_Lb1EPKS5_PS5_PKlPlN2at6native12_GLOBAL__N_18offset_tEEE10hipError_tPvRmT1_PNSt15iterator_traitsISL_E10value_typeET2_T3_PNSM_ISR_E10value_typeET4_jRbjT5_SX_jjP12ihipStream_tbEUlT_E_NS1_11comp_targetILNS1_3genE10ELNS1_11target_archE1201ELNS1_3gpuE5ELNS1_3repE0EEENS1_30default_config_static_selectorELNS0_4arch9wavefront6targetE0EEEvSL_.has_indirect_call, 0
	.section	.AMDGPU.csdata,"",@progbits
; Kernel info:
; codeLenInByte = 0
; TotalNumSgprs: 0
; NumVgprs: 0
; ScratchSize: 0
; MemoryBound: 0
; FloatMode: 240
; IeeeMode: 1
; LDSByteSize: 0 bytes/workgroup (compile time only)
; SGPRBlocks: 0
; VGPRBlocks: 0
; NumSGPRsForWavesPerEU: 1
; NumVGPRsForWavesPerEU: 1
; NamedBarCnt: 0
; Occupancy: 16
; WaveLimiterHint : 0
; COMPUTE_PGM_RSRC2:SCRATCH_EN: 0
; COMPUTE_PGM_RSRC2:USER_SGPR: 2
; COMPUTE_PGM_RSRC2:TRAP_HANDLER: 0
; COMPUTE_PGM_RSRC2:TGID_X_EN: 1
; COMPUTE_PGM_RSRC2:TGID_Y_EN: 0
; COMPUTE_PGM_RSRC2:TGID_Z_EN: 0
; COMPUTE_PGM_RSRC2:TIDIG_COMP_CNT: 0
	.section	.text._ZN7rocprim17ROCPRIM_400000_NS6detail17trampoline_kernelINS0_14default_configENS1_36segmented_radix_sort_config_selectorI12hip_bfloat16lEEZNS1_25segmented_radix_sort_implIS3_Lb1EPKS5_PS5_PKlPlN2at6native12_GLOBAL__N_18offset_tEEE10hipError_tPvRmT1_PNSt15iterator_traitsISL_E10value_typeET2_T3_PNSM_ISR_E10value_typeET4_jRbjT5_SX_jjP12ihipStream_tbEUlT_E_NS1_11comp_targetILNS1_3genE10ELNS1_11target_archE1200ELNS1_3gpuE4ELNS1_3repE0EEENS1_30default_config_static_selectorELNS0_4arch9wavefront6targetE0EEEvSL_,"axG",@progbits,_ZN7rocprim17ROCPRIM_400000_NS6detail17trampoline_kernelINS0_14default_configENS1_36segmented_radix_sort_config_selectorI12hip_bfloat16lEEZNS1_25segmented_radix_sort_implIS3_Lb1EPKS5_PS5_PKlPlN2at6native12_GLOBAL__N_18offset_tEEE10hipError_tPvRmT1_PNSt15iterator_traitsISL_E10value_typeET2_T3_PNSM_ISR_E10value_typeET4_jRbjT5_SX_jjP12ihipStream_tbEUlT_E_NS1_11comp_targetILNS1_3genE10ELNS1_11target_archE1200ELNS1_3gpuE4ELNS1_3repE0EEENS1_30default_config_static_selectorELNS0_4arch9wavefront6targetE0EEEvSL_,comdat
	.globl	_ZN7rocprim17ROCPRIM_400000_NS6detail17trampoline_kernelINS0_14default_configENS1_36segmented_radix_sort_config_selectorI12hip_bfloat16lEEZNS1_25segmented_radix_sort_implIS3_Lb1EPKS5_PS5_PKlPlN2at6native12_GLOBAL__N_18offset_tEEE10hipError_tPvRmT1_PNSt15iterator_traitsISL_E10value_typeET2_T3_PNSM_ISR_E10value_typeET4_jRbjT5_SX_jjP12ihipStream_tbEUlT_E_NS1_11comp_targetILNS1_3genE10ELNS1_11target_archE1200ELNS1_3gpuE4ELNS1_3repE0EEENS1_30default_config_static_selectorELNS0_4arch9wavefront6targetE0EEEvSL_ ; -- Begin function _ZN7rocprim17ROCPRIM_400000_NS6detail17trampoline_kernelINS0_14default_configENS1_36segmented_radix_sort_config_selectorI12hip_bfloat16lEEZNS1_25segmented_radix_sort_implIS3_Lb1EPKS5_PS5_PKlPlN2at6native12_GLOBAL__N_18offset_tEEE10hipError_tPvRmT1_PNSt15iterator_traitsISL_E10value_typeET2_T3_PNSM_ISR_E10value_typeET4_jRbjT5_SX_jjP12ihipStream_tbEUlT_E_NS1_11comp_targetILNS1_3genE10ELNS1_11target_archE1200ELNS1_3gpuE4ELNS1_3repE0EEENS1_30default_config_static_selectorELNS0_4arch9wavefront6targetE0EEEvSL_
	.p2align	8
	.type	_ZN7rocprim17ROCPRIM_400000_NS6detail17trampoline_kernelINS0_14default_configENS1_36segmented_radix_sort_config_selectorI12hip_bfloat16lEEZNS1_25segmented_radix_sort_implIS3_Lb1EPKS5_PS5_PKlPlN2at6native12_GLOBAL__N_18offset_tEEE10hipError_tPvRmT1_PNSt15iterator_traitsISL_E10value_typeET2_T3_PNSM_ISR_E10value_typeET4_jRbjT5_SX_jjP12ihipStream_tbEUlT_E_NS1_11comp_targetILNS1_3genE10ELNS1_11target_archE1200ELNS1_3gpuE4ELNS1_3repE0EEENS1_30default_config_static_selectorELNS0_4arch9wavefront6targetE0EEEvSL_,@function
_ZN7rocprim17ROCPRIM_400000_NS6detail17trampoline_kernelINS0_14default_configENS1_36segmented_radix_sort_config_selectorI12hip_bfloat16lEEZNS1_25segmented_radix_sort_implIS3_Lb1EPKS5_PS5_PKlPlN2at6native12_GLOBAL__N_18offset_tEEE10hipError_tPvRmT1_PNSt15iterator_traitsISL_E10value_typeET2_T3_PNSM_ISR_E10value_typeET4_jRbjT5_SX_jjP12ihipStream_tbEUlT_E_NS1_11comp_targetILNS1_3genE10ELNS1_11target_archE1200ELNS1_3gpuE4ELNS1_3repE0EEENS1_30default_config_static_selectorELNS0_4arch9wavefront6targetE0EEEvSL_: ; @_ZN7rocprim17ROCPRIM_400000_NS6detail17trampoline_kernelINS0_14default_configENS1_36segmented_radix_sort_config_selectorI12hip_bfloat16lEEZNS1_25segmented_radix_sort_implIS3_Lb1EPKS5_PS5_PKlPlN2at6native12_GLOBAL__N_18offset_tEEE10hipError_tPvRmT1_PNSt15iterator_traitsISL_E10value_typeET2_T3_PNSM_ISR_E10value_typeET4_jRbjT5_SX_jjP12ihipStream_tbEUlT_E_NS1_11comp_targetILNS1_3genE10ELNS1_11target_archE1200ELNS1_3gpuE4ELNS1_3repE0EEENS1_30default_config_static_selectorELNS0_4arch9wavefront6targetE0EEEvSL_
; %bb.0:
	.section	.rodata,"a",@progbits
	.p2align	6, 0x0
	.amdhsa_kernel _ZN7rocprim17ROCPRIM_400000_NS6detail17trampoline_kernelINS0_14default_configENS1_36segmented_radix_sort_config_selectorI12hip_bfloat16lEEZNS1_25segmented_radix_sort_implIS3_Lb1EPKS5_PS5_PKlPlN2at6native12_GLOBAL__N_18offset_tEEE10hipError_tPvRmT1_PNSt15iterator_traitsISL_E10value_typeET2_T3_PNSM_ISR_E10value_typeET4_jRbjT5_SX_jjP12ihipStream_tbEUlT_E_NS1_11comp_targetILNS1_3genE10ELNS1_11target_archE1200ELNS1_3gpuE4ELNS1_3repE0EEENS1_30default_config_static_selectorELNS0_4arch9wavefront6targetE0EEEvSL_
		.amdhsa_group_segment_fixed_size 0
		.amdhsa_private_segment_fixed_size 0
		.amdhsa_kernarg_size 96
		.amdhsa_user_sgpr_count 2
		.amdhsa_user_sgpr_dispatch_ptr 0
		.amdhsa_user_sgpr_queue_ptr 0
		.amdhsa_user_sgpr_kernarg_segment_ptr 1
		.amdhsa_user_sgpr_dispatch_id 0
		.amdhsa_user_sgpr_kernarg_preload_length 0
		.amdhsa_user_sgpr_kernarg_preload_offset 0
		.amdhsa_user_sgpr_private_segment_size 0
		.amdhsa_wavefront_size32 1
		.amdhsa_uses_dynamic_stack 0
		.amdhsa_enable_private_segment 0
		.amdhsa_system_sgpr_workgroup_id_x 1
		.amdhsa_system_sgpr_workgroup_id_y 0
		.amdhsa_system_sgpr_workgroup_id_z 0
		.amdhsa_system_sgpr_workgroup_info 0
		.amdhsa_system_vgpr_workitem_id 0
		.amdhsa_next_free_vgpr 1
		.amdhsa_next_free_sgpr 1
		.amdhsa_named_barrier_count 0
		.amdhsa_reserve_vcc 0
		.amdhsa_float_round_mode_32 0
		.amdhsa_float_round_mode_16_64 0
		.amdhsa_float_denorm_mode_32 3
		.amdhsa_float_denorm_mode_16_64 3
		.amdhsa_fp16_overflow 0
		.amdhsa_memory_ordered 1
		.amdhsa_forward_progress 1
		.amdhsa_inst_pref_size 0
		.amdhsa_round_robin_scheduling 0
		.amdhsa_exception_fp_ieee_invalid_op 0
		.amdhsa_exception_fp_denorm_src 0
		.amdhsa_exception_fp_ieee_div_zero 0
		.amdhsa_exception_fp_ieee_overflow 0
		.amdhsa_exception_fp_ieee_underflow 0
		.amdhsa_exception_fp_ieee_inexact 0
		.amdhsa_exception_int_div_zero 0
	.end_amdhsa_kernel
	.section	.text._ZN7rocprim17ROCPRIM_400000_NS6detail17trampoline_kernelINS0_14default_configENS1_36segmented_radix_sort_config_selectorI12hip_bfloat16lEEZNS1_25segmented_radix_sort_implIS3_Lb1EPKS5_PS5_PKlPlN2at6native12_GLOBAL__N_18offset_tEEE10hipError_tPvRmT1_PNSt15iterator_traitsISL_E10value_typeET2_T3_PNSM_ISR_E10value_typeET4_jRbjT5_SX_jjP12ihipStream_tbEUlT_E_NS1_11comp_targetILNS1_3genE10ELNS1_11target_archE1200ELNS1_3gpuE4ELNS1_3repE0EEENS1_30default_config_static_selectorELNS0_4arch9wavefront6targetE0EEEvSL_,"axG",@progbits,_ZN7rocprim17ROCPRIM_400000_NS6detail17trampoline_kernelINS0_14default_configENS1_36segmented_radix_sort_config_selectorI12hip_bfloat16lEEZNS1_25segmented_radix_sort_implIS3_Lb1EPKS5_PS5_PKlPlN2at6native12_GLOBAL__N_18offset_tEEE10hipError_tPvRmT1_PNSt15iterator_traitsISL_E10value_typeET2_T3_PNSM_ISR_E10value_typeET4_jRbjT5_SX_jjP12ihipStream_tbEUlT_E_NS1_11comp_targetILNS1_3genE10ELNS1_11target_archE1200ELNS1_3gpuE4ELNS1_3repE0EEENS1_30default_config_static_selectorELNS0_4arch9wavefront6targetE0EEEvSL_,comdat
.Lfunc_end1943:
	.size	_ZN7rocprim17ROCPRIM_400000_NS6detail17trampoline_kernelINS0_14default_configENS1_36segmented_radix_sort_config_selectorI12hip_bfloat16lEEZNS1_25segmented_radix_sort_implIS3_Lb1EPKS5_PS5_PKlPlN2at6native12_GLOBAL__N_18offset_tEEE10hipError_tPvRmT1_PNSt15iterator_traitsISL_E10value_typeET2_T3_PNSM_ISR_E10value_typeET4_jRbjT5_SX_jjP12ihipStream_tbEUlT_E_NS1_11comp_targetILNS1_3genE10ELNS1_11target_archE1200ELNS1_3gpuE4ELNS1_3repE0EEENS1_30default_config_static_selectorELNS0_4arch9wavefront6targetE0EEEvSL_, .Lfunc_end1943-_ZN7rocprim17ROCPRIM_400000_NS6detail17trampoline_kernelINS0_14default_configENS1_36segmented_radix_sort_config_selectorI12hip_bfloat16lEEZNS1_25segmented_radix_sort_implIS3_Lb1EPKS5_PS5_PKlPlN2at6native12_GLOBAL__N_18offset_tEEE10hipError_tPvRmT1_PNSt15iterator_traitsISL_E10value_typeET2_T3_PNSM_ISR_E10value_typeET4_jRbjT5_SX_jjP12ihipStream_tbEUlT_E_NS1_11comp_targetILNS1_3genE10ELNS1_11target_archE1200ELNS1_3gpuE4ELNS1_3repE0EEENS1_30default_config_static_selectorELNS0_4arch9wavefront6targetE0EEEvSL_
                                        ; -- End function
	.set _ZN7rocprim17ROCPRIM_400000_NS6detail17trampoline_kernelINS0_14default_configENS1_36segmented_radix_sort_config_selectorI12hip_bfloat16lEEZNS1_25segmented_radix_sort_implIS3_Lb1EPKS5_PS5_PKlPlN2at6native12_GLOBAL__N_18offset_tEEE10hipError_tPvRmT1_PNSt15iterator_traitsISL_E10value_typeET2_T3_PNSM_ISR_E10value_typeET4_jRbjT5_SX_jjP12ihipStream_tbEUlT_E_NS1_11comp_targetILNS1_3genE10ELNS1_11target_archE1200ELNS1_3gpuE4ELNS1_3repE0EEENS1_30default_config_static_selectorELNS0_4arch9wavefront6targetE0EEEvSL_.num_vgpr, 0
	.set _ZN7rocprim17ROCPRIM_400000_NS6detail17trampoline_kernelINS0_14default_configENS1_36segmented_radix_sort_config_selectorI12hip_bfloat16lEEZNS1_25segmented_radix_sort_implIS3_Lb1EPKS5_PS5_PKlPlN2at6native12_GLOBAL__N_18offset_tEEE10hipError_tPvRmT1_PNSt15iterator_traitsISL_E10value_typeET2_T3_PNSM_ISR_E10value_typeET4_jRbjT5_SX_jjP12ihipStream_tbEUlT_E_NS1_11comp_targetILNS1_3genE10ELNS1_11target_archE1200ELNS1_3gpuE4ELNS1_3repE0EEENS1_30default_config_static_selectorELNS0_4arch9wavefront6targetE0EEEvSL_.num_agpr, 0
	.set _ZN7rocprim17ROCPRIM_400000_NS6detail17trampoline_kernelINS0_14default_configENS1_36segmented_radix_sort_config_selectorI12hip_bfloat16lEEZNS1_25segmented_radix_sort_implIS3_Lb1EPKS5_PS5_PKlPlN2at6native12_GLOBAL__N_18offset_tEEE10hipError_tPvRmT1_PNSt15iterator_traitsISL_E10value_typeET2_T3_PNSM_ISR_E10value_typeET4_jRbjT5_SX_jjP12ihipStream_tbEUlT_E_NS1_11comp_targetILNS1_3genE10ELNS1_11target_archE1200ELNS1_3gpuE4ELNS1_3repE0EEENS1_30default_config_static_selectorELNS0_4arch9wavefront6targetE0EEEvSL_.numbered_sgpr, 0
	.set _ZN7rocprim17ROCPRIM_400000_NS6detail17trampoline_kernelINS0_14default_configENS1_36segmented_radix_sort_config_selectorI12hip_bfloat16lEEZNS1_25segmented_radix_sort_implIS3_Lb1EPKS5_PS5_PKlPlN2at6native12_GLOBAL__N_18offset_tEEE10hipError_tPvRmT1_PNSt15iterator_traitsISL_E10value_typeET2_T3_PNSM_ISR_E10value_typeET4_jRbjT5_SX_jjP12ihipStream_tbEUlT_E_NS1_11comp_targetILNS1_3genE10ELNS1_11target_archE1200ELNS1_3gpuE4ELNS1_3repE0EEENS1_30default_config_static_selectorELNS0_4arch9wavefront6targetE0EEEvSL_.num_named_barrier, 0
	.set _ZN7rocprim17ROCPRIM_400000_NS6detail17trampoline_kernelINS0_14default_configENS1_36segmented_radix_sort_config_selectorI12hip_bfloat16lEEZNS1_25segmented_radix_sort_implIS3_Lb1EPKS5_PS5_PKlPlN2at6native12_GLOBAL__N_18offset_tEEE10hipError_tPvRmT1_PNSt15iterator_traitsISL_E10value_typeET2_T3_PNSM_ISR_E10value_typeET4_jRbjT5_SX_jjP12ihipStream_tbEUlT_E_NS1_11comp_targetILNS1_3genE10ELNS1_11target_archE1200ELNS1_3gpuE4ELNS1_3repE0EEENS1_30default_config_static_selectorELNS0_4arch9wavefront6targetE0EEEvSL_.private_seg_size, 0
	.set _ZN7rocprim17ROCPRIM_400000_NS6detail17trampoline_kernelINS0_14default_configENS1_36segmented_radix_sort_config_selectorI12hip_bfloat16lEEZNS1_25segmented_radix_sort_implIS3_Lb1EPKS5_PS5_PKlPlN2at6native12_GLOBAL__N_18offset_tEEE10hipError_tPvRmT1_PNSt15iterator_traitsISL_E10value_typeET2_T3_PNSM_ISR_E10value_typeET4_jRbjT5_SX_jjP12ihipStream_tbEUlT_E_NS1_11comp_targetILNS1_3genE10ELNS1_11target_archE1200ELNS1_3gpuE4ELNS1_3repE0EEENS1_30default_config_static_selectorELNS0_4arch9wavefront6targetE0EEEvSL_.uses_vcc, 0
	.set _ZN7rocprim17ROCPRIM_400000_NS6detail17trampoline_kernelINS0_14default_configENS1_36segmented_radix_sort_config_selectorI12hip_bfloat16lEEZNS1_25segmented_radix_sort_implIS3_Lb1EPKS5_PS5_PKlPlN2at6native12_GLOBAL__N_18offset_tEEE10hipError_tPvRmT1_PNSt15iterator_traitsISL_E10value_typeET2_T3_PNSM_ISR_E10value_typeET4_jRbjT5_SX_jjP12ihipStream_tbEUlT_E_NS1_11comp_targetILNS1_3genE10ELNS1_11target_archE1200ELNS1_3gpuE4ELNS1_3repE0EEENS1_30default_config_static_selectorELNS0_4arch9wavefront6targetE0EEEvSL_.uses_flat_scratch, 0
	.set _ZN7rocprim17ROCPRIM_400000_NS6detail17trampoline_kernelINS0_14default_configENS1_36segmented_radix_sort_config_selectorI12hip_bfloat16lEEZNS1_25segmented_radix_sort_implIS3_Lb1EPKS5_PS5_PKlPlN2at6native12_GLOBAL__N_18offset_tEEE10hipError_tPvRmT1_PNSt15iterator_traitsISL_E10value_typeET2_T3_PNSM_ISR_E10value_typeET4_jRbjT5_SX_jjP12ihipStream_tbEUlT_E_NS1_11comp_targetILNS1_3genE10ELNS1_11target_archE1200ELNS1_3gpuE4ELNS1_3repE0EEENS1_30default_config_static_selectorELNS0_4arch9wavefront6targetE0EEEvSL_.has_dyn_sized_stack, 0
	.set _ZN7rocprim17ROCPRIM_400000_NS6detail17trampoline_kernelINS0_14default_configENS1_36segmented_radix_sort_config_selectorI12hip_bfloat16lEEZNS1_25segmented_radix_sort_implIS3_Lb1EPKS5_PS5_PKlPlN2at6native12_GLOBAL__N_18offset_tEEE10hipError_tPvRmT1_PNSt15iterator_traitsISL_E10value_typeET2_T3_PNSM_ISR_E10value_typeET4_jRbjT5_SX_jjP12ihipStream_tbEUlT_E_NS1_11comp_targetILNS1_3genE10ELNS1_11target_archE1200ELNS1_3gpuE4ELNS1_3repE0EEENS1_30default_config_static_selectorELNS0_4arch9wavefront6targetE0EEEvSL_.has_recursion, 0
	.set _ZN7rocprim17ROCPRIM_400000_NS6detail17trampoline_kernelINS0_14default_configENS1_36segmented_radix_sort_config_selectorI12hip_bfloat16lEEZNS1_25segmented_radix_sort_implIS3_Lb1EPKS5_PS5_PKlPlN2at6native12_GLOBAL__N_18offset_tEEE10hipError_tPvRmT1_PNSt15iterator_traitsISL_E10value_typeET2_T3_PNSM_ISR_E10value_typeET4_jRbjT5_SX_jjP12ihipStream_tbEUlT_E_NS1_11comp_targetILNS1_3genE10ELNS1_11target_archE1200ELNS1_3gpuE4ELNS1_3repE0EEENS1_30default_config_static_selectorELNS0_4arch9wavefront6targetE0EEEvSL_.has_indirect_call, 0
	.section	.AMDGPU.csdata,"",@progbits
; Kernel info:
; codeLenInByte = 0
; TotalNumSgprs: 0
; NumVgprs: 0
; ScratchSize: 0
; MemoryBound: 0
; FloatMode: 240
; IeeeMode: 1
; LDSByteSize: 0 bytes/workgroup (compile time only)
; SGPRBlocks: 0
; VGPRBlocks: 0
; NumSGPRsForWavesPerEU: 1
; NumVGPRsForWavesPerEU: 1
; NamedBarCnt: 0
; Occupancy: 16
; WaveLimiterHint : 0
; COMPUTE_PGM_RSRC2:SCRATCH_EN: 0
; COMPUTE_PGM_RSRC2:USER_SGPR: 2
; COMPUTE_PGM_RSRC2:TRAP_HANDLER: 0
; COMPUTE_PGM_RSRC2:TGID_X_EN: 1
; COMPUTE_PGM_RSRC2:TGID_Y_EN: 0
; COMPUTE_PGM_RSRC2:TGID_Z_EN: 0
; COMPUTE_PGM_RSRC2:TIDIG_COMP_CNT: 0
	.section	.text._ZN7rocprim17ROCPRIM_400000_NS6detail17trampoline_kernelINS0_14default_configENS1_36segmented_radix_sort_config_selectorI12hip_bfloat16lEEZNS1_25segmented_radix_sort_implIS3_Lb1EPKS5_PS5_PKlPlN2at6native12_GLOBAL__N_18offset_tEEE10hipError_tPvRmT1_PNSt15iterator_traitsISL_E10value_typeET2_T3_PNSM_ISR_E10value_typeET4_jRbjT5_SX_jjP12ihipStream_tbEUlT_E_NS1_11comp_targetILNS1_3genE9ELNS1_11target_archE1100ELNS1_3gpuE3ELNS1_3repE0EEENS1_30default_config_static_selectorELNS0_4arch9wavefront6targetE0EEEvSL_,"axG",@progbits,_ZN7rocprim17ROCPRIM_400000_NS6detail17trampoline_kernelINS0_14default_configENS1_36segmented_radix_sort_config_selectorI12hip_bfloat16lEEZNS1_25segmented_radix_sort_implIS3_Lb1EPKS5_PS5_PKlPlN2at6native12_GLOBAL__N_18offset_tEEE10hipError_tPvRmT1_PNSt15iterator_traitsISL_E10value_typeET2_T3_PNSM_ISR_E10value_typeET4_jRbjT5_SX_jjP12ihipStream_tbEUlT_E_NS1_11comp_targetILNS1_3genE9ELNS1_11target_archE1100ELNS1_3gpuE3ELNS1_3repE0EEENS1_30default_config_static_selectorELNS0_4arch9wavefront6targetE0EEEvSL_,comdat
	.globl	_ZN7rocprim17ROCPRIM_400000_NS6detail17trampoline_kernelINS0_14default_configENS1_36segmented_radix_sort_config_selectorI12hip_bfloat16lEEZNS1_25segmented_radix_sort_implIS3_Lb1EPKS5_PS5_PKlPlN2at6native12_GLOBAL__N_18offset_tEEE10hipError_tPvRmT1_PNSt15iterator_traitsISL_E10value_typeET2_T3_PNSM_ISR_E10value_typeET4_jRbjT5_SX_jjP12ihipStream_tbEUlT_E_NS1_11comp_targetILNS1_3genE9ELNS1_11target_archE1100ELNS1_3gpuE3ELNS1_3repE0EEENS1_30default_config_static_selectorELNS0_4arch9wavefront6targetE0EEEvSL_ ; -- Begin function _ZN7rocprim17ROCPRIM_400000_NS6detail17trampoline_kernelINS0_14default_configENS1_36segmented_radix_sort_config_selectorI12hip_bfloat16lEEZNS1_25segmented_radix_sort_implIS3_Lb1EPKS5_PS5_PKlPlN2at6native12_GLOBAL__N_18offset_tEEE10hipError_tPvRmT1_PNSt15iterator_traitsISL_E10value_typeET2_T3_PNSM_ISR_E10value_typeET4_jRbjT5_SX_jjP12ihipStream_tbEUlT_E_NS1_11comp_targetILNS1_3genE9ELNS1_11target_archE1100ELNS1_3gpuE3ELNS1_3repE0EEENS1_30default_config_static_selectorELNS0_4arch9wavefront6targetE0EEEvSL_
	.p2align	8
	.type	_ZN7rocprim17ROCPRIM_400000_NS6detail17trampoline_kernelINS0_14default_configENS1_36segmented_radix_sort_config_selectorI12hip_bfloat16lEEZNS1_25segmented_radix_sort_implIS3_Lb1EPKS5_PS5_PKlPlN2at6native12_GLOBAL__N_18offset_tEEE10hipError_tPvRmT1_PNSt15iterator_traitsISL_E10value_typeET2_T3_PNSM_ISR_E10value_typeET4_jRbjT5_SX_jjP12ihipStream_tbEUlT_E_NS1_11comp_targetILNS1_3genE9ELNS1_11target_archE1100ELNS1_3gpuE3ELNS1_3repE0EEENS1_30default_config_static_selectorELNS0_4arch9wavefront6targetE0EEEvSL_,@function
_ZN7rocprim17ROCPRIM_400000_NS6detail17trampoline_kernelINS0_14default_configENS1_36segmented_radix_sort_config_selectorI12hip_bfloat16lEEZNS1_25segmented_radix_sort_implIS3_Lb1EPKS5_PS5_PKlPlN2at6native12_GLOBAL__N_18offset_tEEE10hipError_tPvRmT1_PNSt15iterator_traitsISL_E10value_typeET2_T3_PNSM_ISR_E10value_typeET4_jRbjT5_SX_jjP12ihipStream_tbEUlT_E_NS1_11comp_targetILNS1_3genE9ELNS1_11target_archE1100ELNS1_3gpuE3ELNS1_3repE0EEENS1_30default_config_static_selectorELNS0_4arch9wavefront6targetE0EEEvSL_: ; @_ZN7rocprim17ROCPRIM_400000_NS6detail17trampoline_kernelINS0_14default_configENS1_36segmented_radix_sort_config_selectorI12hip_bfloat16lEEZNS1_25segmented_radix_sort_implIS3_Lb1EPKS5_PS5_PKlPlN2at6native12_GLOBAL__N_18offset_tEEE10hipError_tPvRmT1_PNSt15iterator_traitsISL_E10value_typeET2_T3_PNSM_ISR_E10value_typeET4_jRbjT5_SX_jjP12ihipStream_tbEUlT_E_NS1_11comp_targetILNS1_3genE9ELNS1_11target_archE1100ELNS1_3gpuE3ELNS1_3repE0EEENS1_30default_config_static_selectorELNS0_4arch9wavefront6targetE0EEEvSL_
; %bb.0:
	.section	.rodata,"a",@progbits
	.p2align	6, 0x0
	.amdhsa_kernel _ZN7rocprim17ROCPRIM_400000_NS6detail17trampoline_kernelINS0_14default_configENS1_36segmented_radix_sort_config_selectorI12hip_bfloat16lEEZNS1_25segmented_radix_sort_implIS3_Lb1EPKS5_PS5_PKlPlN2at6native12_GLOBAL__N_18offset_tEEE10hipError_tPvRmT1_PNSt15iterator_traitsISL_E10value_typeET2_T3_PNSM_ISR_E10value_typeET4_jRbjT5_SX_jjP12ihipStream_tbEUlT_E_NS1_11comp_targetILNS1_3genE9ELNS1_11target_archE1100ELNS1_3gpuE3ELNS1_3repE0EEENS1_30default_config_static_selectorELNS0_4arch9wavefront6targetE0EEEvSL_
		.amdhsa_group_segment_fixed_size 0
		.amdhsa_private_segment_fixed_size 0
		.amdhsa_kernarg_size 96
		.amdhsa_user_sgpr_count 2
		.amdhsa_user_sgpr_dispatch_ptr 0
		.amdhsa_user_sgpr_queue_ptr 0
		.amdhsa_user_sgpr_kernarg_segment_ptr 1
		.amdhsa_user_sgpr_dispatch_id 0
		.amdhsa_user_sgpr_kernarg_preload_length 0
		.amdhsa_user_sgpr_kernarg_preload_offset 0
		.amdhsa_user_sgpr_private_segment_size 0
		.amdhsa_wavefront_size32 1
		.amdhsa_uses_dynamic_stack 0
		.amdhsa_enable_private_segment 0
		.amdhsa_system_sgpr_workgroup_id_x 1
		.amdhsa_system_sgpr_workgroup_id_y 0
		.amdhsa_system_sgpr_workgroup_id_z 0
		.amdhsa_system_sgpr_workgroup_info 0
		.amdhsa_system_vgpr_workitem_id 0
		.amdhsa_next_free_vgpr 1
		.amdhsa_next_free_sgpr 1
		.amdhsa_named_barrier_count 0
		.amdhsa_reserve_vcc 0
		.amdhsa_float_round_mode_32 0
		.amdhsa_float_round_mode_16_64 0
		.amdhsa_float_denorm_mode_32 3
		.amdhsa_float_denorm_mode_16_64 3
		.amdhsa_fp16_overflow 0
		.amdhsa_memory_ordered 1
		.amdhsa_forward_progress 1
		.amdhsa_inst_pref_size 0
		.amdhsa_round_robin_scheduling 0
		.amdhsa_exception_fp_ieee_invalid_op 0
		.amdhsa_exception_fp_denorm_src 0
		.amdhsa_exception_fp_ieee_div_zero 0
		.amdhsa_exception_fp_ieee_overflow 0
		.amdhsa_exception_fp_ieee_underflow 0
		.amdhsa_exception_fp_ieee_inexact 0
		.amdhsa_exception_int_div_zero 0
	.end_amdhsa_kernel
	.section	.text._ZN7rocprim17ROCPRIM_400000_NS6detail17trampoline_kernelINS0_14default_configENS1_36segmented_radix_sort_config_selectorI12hip_bfloat16lEEZNS1_25segmented_radix_sort_implIS3_Lb1EPKS5_PS5_PKlPlN2at6native12_GLOBAL__N_18offset_tEEE10hipError_tPvRmT1_PNSt15iterator_traitsISL_E10value_typeET2_T3_PNSM_ISR_E10value_typeET4_jRbjT5_SX_jjP12ihipStream_tbEUlT_E_NS1_11comp_targetILNS1_3genE9ELNS1_11target_archE1100ELNS1_3gpuE3ELNS1_3repE0EEENS1_30default_config_static_selectorELNS0_4arch9wavefront6targetE0EEEvSL_,"axG",@progbits,_ZN7rocprim17ROCPRIM_400000_NS6detail17trampoline_kernelINS0_14default_configENS1_36segmented_radix_sort_config_selectorI12hip_bfloat16lEEZNS1_25segmented_radix_sort_implIS3_Lb1EPKS5_PS5_PKlPlN2at6native12_GLOBAL__N_18offset_tEEE10hipError_tPvRmT1_PNSt15iterator_traitsISL_E10value_typeET2_T3_PNSM_ISR_E10value_typeET4_jRbjT5_SX_jjP12ihipStream_tbEUlT_E_NS1_11comp_targetILNS1_3genE9ELNS1_11target_archE1100ELNS1_3gpuE3ELNS1_3repE0EEENS1_30default_config_static_selectorELNS0_4arch9wavefront6targetE0EEEvSL_,comdat
.Lfunc_end1944:
	.size	_ZN7rocprim17ROCPRIM_400000_NS6detail17trampoline_kernelINS0_14default_configENS1_36segmented_radix_sort_config_selectorI12hip_bfloat16lEEZNS1_25segmented_radix_sort_implIS3_Lb1EPKS5_PS5_PKlPlN2at6native12_GLOBAL__N_18offset_tEEE10hipError_tPvRmT1_PNSt15iterator_traitsISL_E10value_typeET2_T3_PNSM_ISR_E10value_typeET4_jRbjT5_SX_jjP12ihipStream_tbEUlT_E_NS1_11comp_targetILNS1_3genE9ELNS1_11target_archE1100ELNS1_3gpuE3ELNS1_3repE0EEENS1_30default_config_static_selectorELNS0_4arch9wavefront6targetE0EEEvSL_, .Lfunc_end1944-_ZN7rocprim17ROCPRIM_400000_NS6detail17trampoline_kernelINS0_14default_configENS1_36segmented_radix_sort_config_selectorI12hip_bfloat16lEEZNS1_25segmented_radix_sort_implIS3_Lb1EPKS5_PS5_PKlPlN2at6native12_GLOBAL__N_18offset_tEEE10hipError_tPvRmT1_PNSt15iterator_traitsISL_E10value_typeET2_T3_PNSM_ISR_E10value_typeET4_jRbjT5_SX_jjP12ihipStream_tbEUlT_E_NS1_11comp_targetILNS1_3genE9ELNS1_11target_archE1100ELNS1_3gpuE3ELNS1_3repE0EEENS1_30default_config_static_selectorELNS0_4arch9wavefront6targetE0EEEvSL_
                                        ; -- End function
	.set _ZN7rocprim17ROCPRIM_400000_NS6detail17trampoline_kernelINS0_14default_configENS1_36segmented_radix_sort_config_selectorI12hip_bfloat16lEEZNS1_25segmented_radix_sort_implIS3_Lb1EPKS5_PS5_PKlPlN2at6native12_GLOBAL__N_18offset_tEEE10hipError_tPvRmT1_PNSt15iterator_traitsISL_E10value_typeET2_T3_PNSM_ISR_E10value_typeET4_jRbjT5_SX_jjP12ihipStream_tbEUlT_E_NS1_11comp_targetILNS1_3genE9ELNS1_11target_archE1100ELNS1_3gpuE3ELNS1_3repE0EEENS1_30default_config_static_selectorELNS0_4arch9wavefront6targetE0EEEvSL_.num_vgpr, 0
	.set _ZN7rocprim17ROCPRIM_400000_NS6detail17trampoline_kernelINS0_14default_configENS1_36segmented_radix_sort_config_selectorI12hip_bfloat16lEEZNS1_25segmented_radix_sort_implIS3_Lb1EPKS5_PS5_PKlPlN2at6native12_GLOBAL__N_18offset_tEEE10hipError_tPvRmT1_PNSt15iterator_traitsISL_E10value_typeET2_T3_PNSM_ISR_E10value_typeET4_jRbjT5_SX_jjP12ihipStream_tbEUlT_E_NS1_11comp_targetILNS1_3genE9ELNS1_11target_archE1100ELNS1_3gpuE3ELNS1_3repE0EEENS1_30default_config_static_selectorELNS0_4arch9wavefront6targetE0EEEvSL_.num_agpr, 0
	.set _ZN7rocprim17ROCPRIM_400000_NS6detail17trampoline_kernelINS0_14default_configENS1_36segmented_radix_sort_config_selectorI12hip_bfloat16lEEZNS1_25segmented_radix_sort_implIS3_Lb1EPKS5_PS5_PKlPlN2at6native12_GLOBAL__N_18offset_tEEE10hipError_tPvRmT1_PNSt15iterator_traitsISL_E10value_typeET2_T3_PNSM_ISR_E10value_typeET4_jRbjT5_SX_jjP12ihipStream_tbEUlT_E_NS1_11comp_targetILNS1_3genE9ELNS1_11target_archE1100ELNS1_3gpuE3ELNS1_3repE0EEENS1_30default_config_static_selectorELNS0_4arch9wavefront6targetE0EEEvSL_.numbered_sgpr, 0
	.set _ZN7rocprim17ROCPRIM_400000_NS6detail17trampoline_kernelINS0_14default_configENS1_36segmented_radix_sort_config_selectorI12hip_bfloat16lEEZNS1_25segmented_radix_sort_implIS3_Lb1EPKS5_PS5_PKlPlN2at6native12_GLOBAL__N_18offset_tEEE10hipError_tPvRmT1_PNSt15iterator_traitsISL_E10value_typeET2_T3_PNSM_ISR_E10value_typeET4_jRbjT5_SX_jjP12ihipStream_tbEUlT_E_NS1_11comp_targetILNS1_3genE9ELNS1_11target_archE1100ELNS1_3gpuE3ELNS1_3repE0EEENS1_30default_config_static_selectorELNS0_4arch9wavefront6targetE0EEEvSL_.num_named_barrier, 0
	.set _ZN7rocprim17ROCPRIM_400000_NS6detail17trampoline_kernelINS0_14default_configENS1_36segmented_radix_sort_config_selectorI12hip_bfloat16lEEZNS1_25segmented_radix_sort_implIS3_Lb1EPKS5_PS5_PKlPlN2at6native12_GLOBAL__N_18offset_tEEE10hipError_tPvRmT1_PNSt15iterator_traitsISL_E10value_typeET2_T3_PNSM_ISR_E10value_typeET4_jRbjT5_SX_jjP12ihipStream_tbEUlT_E_NS1_11comp_targetILNS1_3genE9ELNS1_11target_archE1100ELNS1_3gpuE3ELNS1_3repE0EEENS1_30default_config_static_selectorELNS0_4arch9wavefront6targetE0EEEvSL_.private_seg_size, 0
	.set _ZN7rocprim17ROCPRIM_400000_NS6detail17trampoline_kernelINS0_14default_configENS1_36segmented_radix_sort_config_selectorI12hip_bfloat16lEEZNS1_25segmented_radix_sort_implIS3_Lb1EPKS5_PS5_PKlPlN2at6native12_GLOBAL__N_18offset_tEEE10hipError_tPvRmT1_PNSt15iterator_traitsISL_E10value_typeET2_T3_PNSM_ISR_E10value_typeET4_jRbjT5_SX_jjP12ihipStream_tbEUlT_E_NS1_11comp_targetILNS1_3genE9ELNS1_11target_archE1100ELNS1_3gpuE3ELNS1_3repE0EEENS1_30default_config_static_selectorELNS0_4arch9wavefront6targetE0EEEvSL_.uses_vcc, 0
	.set _ZN7rocprim17ROCPRIM_400000_NS6detail17trampoline_kernelINS0_14default_configENS1_36segmented_radix_sort_config_selectorI12hip_bfloat16lEEZNS1_25segmented_radix_sort_implIS3_Lb1EPKS5_PS5_PKlPlN2at6native12_GLOBAL__N_18offset_tEEE10hipError_tPvRmT1_PNSt15iterator_traitsISL_E10value_typeET2_T3_PNSM_ISR_E10value_typeET4_jRbjT5_SX_jjP12ihipStream_tbEUlT_E_NS1_11comp_targetILNS1_3genE9ELNS1_11target_archE1100ELNS1_3gpuE3ELNS1_3repE0EEENS1_30default_config_static_selectorELNS0_4arch9wavefront6targetE0EEEvSL_.uses_flat_scratch, 0
	.set _ZN7rocprim17ROCPRIM_400000_NS6detail17trampoline_kernelINS0_14default_configENS1_36segmented_radix_sort_config_selectorI12hip_bfloat16lEEZNS1_25segmented_radix_sort_implIS3_Lb1EPKS5_PS5_PKlPlN2at6native12_GLOBAL__N_18offset_tEEE10hipError_tPvRmT1_PNSt15iterator_traitsISL_E10value_typeET2_T3_PNSM_ISR_E10value_typeET4_jRbjT5_SX_jjP12ihipStream_tbEUlT_E_NS1_11comp_targetILNS1_3genE9ELNS1_11target_archE1100ELNS1_3gpuE3ELNS1_3repE0EEENS1_30default_config_static_selectorELNS0_4arch9wavefront6targetE0EEEvSL_.has_dyn_sized_stack, 0
	.set _ZN7rocprim17ROCPRIM_400000_NS6detail17trampoline_kernelINS0_14default_configENS1_36segmented_radix_sort_config_selectorI12hip_bfloat16lEEZNS1_25segmented_radix_sort_implIS3_Lb1EPKS5_PS5_PKlPlN2at6native12_GLOBAL__N_18offset_tEEE10hipError_tPvRmT1_PNSt15iterator_traitsISL_E10value_typeET2_T3_PNSM_ISR_E10value_typeET4_jRbjT5_SX_jjP12ihipStream_tbEUlT_E_NS1_11comp_targetILNS1_3genE9ELNS1_11target_archE1100ELNS1_3gpuE3ELNS1_3repE0EEENS1_30default_config_static_selectorELNS0_4arch9wavefront6targetE0EEEvSL_.has_recursion, 0
	.set _ZN7rocprim17ROCPRIM_400000_NS6detail17trampoline_kernelINS0_14default_configENS1_36segmented_radix_sort_config_selectorI12hip_bfloat16lEEZNS1_25segmented_radix_sort_implIS3_Lb1EPKS5_PS5_PKlPlN2at6native12_GLOBAL__N_18offset_tEEE10hipError_tPvRmT1_PNSt15iterator_traitsISL_E10value_typeET2_T3_PNSM_ISR_E10value_typeET4_jRbjT5_SX_jjP12ihipStream_tbEUlT_E_NS1_11comp_targetILNS1_3genE9ELNS1_11target_archE1100ELNS1_3gpuE3ELNS1_3repE0EEENS1_30default_config_static_selectorELNS0_4arch9wavefront6targetE0EEEvSL_.has_indirect_call, 0
	.section	.AMDGPU.csdata,"",@progbits
; Kernel info:
; codeLenInByte = 0
; TotalNumSgprs: 0
; NumVgprs: 0
; ScratchSize: 0
; MemoryBound: 0
; FloatMode: 240
; IeeeMode: 1
; LDSByteSize: 0 bytes/workgroup (compile time only)
; SGPRBlocks: 0
; VGPRBlocks: 0
; NumSGPRsForWavesPerEU: 1
; NumVGPRsForWavesPerEU: 1
; NamedBarCnt: 0
; Occupancy: 16
; WaveLimiterHint : 0
; COMPUTE_PGM_RSRC2:SCRATCH_EN: 0
; COMPUTE_PGM_RSRC2:USER_SGPR: 2
; COMPUTE_PGM_RSRC2:TRAP_HANDLER: 0
; COMPUTE_PGM_RSRC2:TGID_X_EN: 1
; COMPUTE_PGM_RSRC2:TGID_Y_EN: 0
; COMPUTE_PGM_RSRC2:TGID_Z_EN: 0
; COMPUTE_PGM_RSRC2:TIDIG_COMP_CNT: 0
	.section	.text._ZN7rocprim17ROCPRIM_400000_NS6detail17trampoline_kernelINS0_14default_configENS1_36segmented_radix_sort_config_selectorI12hip_bfloat16lEEZNS1_25segmented_radix_sort_implIS3_Lb1EPKS5_PS5_PKlPlN2at6native12_GLOBAL__N_18offset_tEEE10hipError_tPvRmT1_PNSt15iterator_traitsISL_E10value_typeET2_T3_PNSM_ISR_E10value_typeET4_jRbjT5_SX_jjP12ihipStream_tbEUlT_E_NS1_11comp_targetILNS1_3genE8ELNS1_11target_archE1030ELNS1_3gpuE2ELNS1_3repE0EEENS1_30default_config_static_selectorELNS0_4arch9wavefront6targetE0EEEvSL_,"axG",@progbits,_ZN7rocprim17ROCPRIM_400000_NS6detail17trampoline_kernelINS0_14default_configENS1_36segmented_radix_sort_config_selectorI12hip_bfloat16lEEZNS1_25segmented_radix_sort_implIS3_Lb1EPKS5_PS5_PKlPlN2at6native12_GLOBAL__N_18offset_tEEE10hipError_tPvRmT1_PNSt15iterator_traitsISL_E10value_typeET2_T3_PNSM_ISR_E10value_typeET4_jRbjT5_SX_jjP12ihipStream_tbEUlT_E_NS1_11comp_targetILNS1_3genE8ELNS1_11target_archE1030ELNS1_3gpuE2ELNS1_3repE0EEENS1_30default_config_static_selectorELNS0_4arch9wavefront6targetE0EEEvSL_,comdat
	.globl	_ZN7rocprim17ROCPRIM_400000_NS6detail17trampoline_kernelINS0_14default_configENS1_36segmented_radix_sort_config_selectorI12hip_bfloat16lEEZNS1_25segmented_radix_sort_implIS3_Lb1EPKS5_PS5_PKlPlN2at6native12_GLOBAL__N_18offset_tEEE10hipError_tPvRmT1_PNSt15iterator_traitsISL_E10value_typeET2_T3_PNSM_ISR_E10value_typeET4_jRbjT5_SX_jjP12ihipStream_tbEUlT_E_NS1_11comp_targetILNS1_3genE8ELNS1_11target_archE1030ELNS1_3gpuE2ELNS1_3repE0EEENS1_30default_config_static_selectorELNS0_4arch9wavefront6targetE0EEEvSL_ ; -- Begin function _ZN7rocprim17ROCPRIM_400000_NS6detail17trampoline_kernelINS0_14default_configENS1_36segmented_radix_sort_config_selectorI12hip_bfloat16lEEZNS1_25segmented_radix_sort_implIS3_Lb1EPKS5_PS5_PKlPlN2at6native12_GLOBAL__N_18offset_tEEE10hipError_tPvRmT1_PNSt15iterator_traitsISL_E10value_typeET2_T3_PNSM_ISR_E10value_typeET4_jRbjT5_SX_jjP12ihipStream_tbEUlT_E_NS1_11comp_targetILNS1_3genE8ELNS1_11target_archE1030ELNS1_3gpuE2ELNS1_3repE0EEENS1_30default_config_static_selectorELNS0_4arch9wavefront6targetE0EEEvSL_
	.p2align	8
	.type	_ZN7rocprim17ROCPRIM_400000_NS6detail17trampoline_kernelINS0_14default_configENS1_36segmented_radix_sort_config_selectorI12hip_bfloat16lEEZNS1_25segmented_radix_sort_implIS3_Lb1EPKS5_PS5_PKlPlN2at6native12_GLOBAL__N_18offset_tEEE10hipError_tPvRmT1_PNSt15iterator_traitsISL_E10value_typeET2_T3_PNSM_ISR_E10value_typeET4_jRbjT5_SX_jjP12ihipStream_tbEUlT_E_NS1_11comp_targetILNS1_3genE8ELNS1_11target_archE1030ELNS1_3gpuE2ELNS1_3repE0EEENS1_30default_config_static_selectorELNS0_4arch9wavefront6targetE0EEEvSL_,@function
_ZN7rocprim17ROCPRIM_400000_NS6detail17trampoline_kernelINS0_14default_configENS1_36segmented_radix_sort_config_selectorI12hip_bfloat16lEEZNS1_25segmented_radix_sort_implIS3_Lb1EPKS5_PS5_PKlPlN2at6native12_GLOBAL__N_18offset_tEEE10hipError_tPvRmT1_PNSt15iterator_traitsISL_E10value_typeET2_T3_PNSM_ISR_E10value_typeET4_jRbjT5_SX_jjP12ihipStream_tbEUlT_E_NS1_11comp_targetILNS1_3genE8ELNS1_11target_archE1030ELNS1_3gpuE2ELNS1_3repE0EEENS1_30default_config_static_selectorELNS0_4arch9wavefront6targetE0EEEvSL_: ; @_ZN7rocprim17ROCPRIM_400000_NS6detail17trampoline_kernelINS0_14default_configENS1_36segmented_radix_sort_config_selectorI12hip_bfloat16lEEZNS1_25segmented_radix_sort_implIS3_Lb1EPKS5_PS5_PKlPlN2at6native12_GLOBAL__N_18offset_tEEE10hipError_tPvRmT1_PNSt15iterator_traitsISL_E10value_typeET2_T3_PNSM_ISR_E10value_typeET4_jRbjT5_SX_jjP12ihipStream_tbEUlT_E_NS1_11comp_targetILNS1_3genE8ELNS1_11target_archE1030ELNS1_3gpuE2ELNS1_3repE0EEENS1_30default_config_static_selectorELNS0_4arch9wavefront6targetE0EEEvSL_
; %bb.0:
	.section	.rodata,"a",@progbits
	.p2align	6, 0x0
	.amdhsa_kernel _ZN7rocprim17ROCPRIM_400000_NS6detail17trampoline_kernelINS0_14default_configENS1_36segmented_radix_sort_config_selectorI12hip_bfloat16lEEZNS1_25segmented_radix_sort_implIS3_Lb1EPKS5_PS5_PKlPlN2at6native12_GLOBAL__N_18offset_tEEE10hipError_tPvRmT1_PNSt15iterator_traitsISL_E10value_typeET2_T3_PNSM_ISR_E10value_typeET4_jRbjT5_SX_jjP12ihipStream_tbEUlT_E_NS1_11comp_targetILNS1_3genE8ELNS1_11target_archE1030ELNS1_3gpuE2ELNS1_3repE0EEENS1_30default_config_static_selectorELNS0_4arch9wavefront6targetE0EEEvSL_
		.amdhsa_group_segment_fixed_size 0
		.amdhsa_private_segment_fixed_size 0
		.amdhsa_kernarg_size 96
		.amdhsa_user_sgpr_count 2
		.amdhsa_user_sgpr_dispatch_ptr 0
		.amdhsa_user_sgpr_queue_ptr 0
		.amdhsa_user_sgpr_kernarg_segment_ptr 1
		.amdhsa_user_sgpr_dispatch_id 0
		.amdhsa_user_sgpr_kernarg_preload_length 0
		.amdhsa_user_sgpr_kernarg_preload_offset 0
		.amdhsa_user_sgpr_private_segment_size 0
		.amdhsa_wavefront_size32 1
		.amdhsa_uses_dynamic_stack 0
		.amdhsa_enable_private_segment 0
		.amdhsa_system_sgpr_workgroup_id_x 1
		.amdhsa_system_sgpr_workgroup_id_y 0
		.amdhsa_system_sgpr_workgroup_id_z 0
		.amdhsa_system_sgpr_workgroup_info 0
		.amdhsa_system_vgpr_workitem_id 0
		.amdhsa_next_free_vgpr 1
		.amdhsa_next_free_sgpr 1
		.amdhsa_named_barrier_count 0
		.amdhsa_reserve_vcc 0
		.amdhsa_float_round_mode_32 0
		.amdhsa_float_round_mode_16_64 0
		.amdhsa_float_denorm_mode_32 3
		.amdhsa_float_denorm_mode_16_64 3
		.amdhsa_fp16_overflow 0
		.amdhsa_memory_ordered 1
		.amdhsa_forward_progress 1
		.amdhsa_inst_pref_size 0
		.amdhsa_round_robin_scheduling 0
		.amdhsa_exception_fp_ieee_invalid_op 0
		.amdhsa_exception_fp_denorm_src 0
		.amdhsa_exception_fp_ieee_div_zero 0
		.amdhsa_exception_fp_ieee_overflow 0
		.amdhsa_exception_fp_ieee_underflow 0
		.amdhsa_exception_fp_ieee_inexact 0
		.amdhsa_exception_int_div_zero 0
	.end_amdhsa_kernel
	.section	.text._ZN7rocprim17ROCPRIM_400000_NS6detail17trampoline_kernelINS0_14default_configENS1_36segmented_radix_sort_config_selectorI12hip_bfloat16lEEZNS1_25segmented_radix_sort_implIS3_Lb1EPKS5_PS5_PKlPlN2at6native12_GLOBAL__N_18offset_tEEE10hipError_tPvRmT1_PNSt15iterator_traitsISL_E10value_typeET2_T3_PNSM_ISR_E10value_typeET4_jRbjT5_SX_jjP12ihipStream_tbEUlT_E_NS1_11comp_targetILNS1_3genE8ELNS1_11target_archE1030ELNS1_3gpuE2ELNS1_3repE0EEENS1_30default_config_static_selectorELNS0_4arch9wavefront6targetE0EEEvSL_,"axG",@progbits,_ZN7rocprim17ROCPRIM_400000_NS6detail17trampoline_kernelINS0_14default_configENS1_36segmented_radix_sort_config_selectorI12hip_bfloat16lEEZNS1_25segmented_radix_sort_implIS3_Lb1EPKS5_PS5_PKlPlN2at6native12_GLOBAL__N_18offset_tEEE10hipError_tPvRmT1_PNSt15iterator_traitsISL_E10value_typeET2_T3_PNSM_ISR_E10value_typeET4_jRbjT5_SX_jjP12ihipStream_tbEUlT_E_NS1_11comp_targetILNS1_3genE8ELNS1_11target_archE1030ELNS1_3gpuE2ELNS1_3repE0EEENS1_30default_config_static_selectorELNS0_4arch9wavefront6targetE0EEEvSL_,comdat
.Lfunc_end1945:
	.size	_ZN7rocprim17ROCPRIM_400000_NS6detail17trampoline_kernelINS0_14default_configENS1_36segmented_radix_sort_config_selectorI12hip_bfloat16lEEZNS1_25segmented_radix_sort_implIS3_Lb1EPKS5_PS5_PKlPlN2at6native12_GLOBAL__N_18offset_tEEE10hipError_tPvRmT1_PNSt15iterator_traitsISL_E10value_typeET2_T3_PNSM_ISR_E10value_typeET4_jRbjT5_SX_jjP12ihipStream_tbEUlT_E_NS1_11comp_targetILNS1_3genE8ELNS1_11target_archE1030ELNS1_3gpuE2ELNS1_3repE0EEENS1_30default_config_static_selectorELNS0_4arch9wavefront6targetE0EEEvSL_, .Lfunc_end1945-_ZN7rocprim17ROCPRIM_400000_NS6detail17trampoline_kernelINS0_14default_configENS1_36segmented_radix_sort_config_selectorI12hip_bfloat16lEEZNS1_25segmented_radix_sort_implIS3_Lb1EPKS5_PS5_PKlPlN2at6native12_GLOBAL__N_18offset_tEEE10hipError_tPvRmT1_PNSt15iterator_traitsISL_E10value_typeET2_T3_PNSM_ISR_E10value_typeET4_jRbjT5_SX_jjP12ihipStream_tbEUlT_E_NS1_11comp_targetILNS1_3genE8ELNS1_11target_archE1030ELNS1_3gpuE2ELNS1_3repE0EEENS1_30default_config_static_selectorELNS0_4arch9wavefront6targetE0EEEvSL_
                                        ; -- End function
	.set _ZN7rocprim17ROCPRIM_400000_NS6detail17trampoline_kernelINS0_14default_configENS1_36segmented_radix_sort_config_selectorI12hip_bfloat16lEEZNS1_25segmented_radix_sort_implIS3_Lb1EPKS5_PS5_PKlPlN2at6native12_GLOBAL__N_18offset_tEEE10hipError_tPvRmT1_PNSt15iterator_traitsISL_E10value_typeET2_T3_PNSM_ISR_E10value_typeET4_jRbjT5_SX_jjP12ihipStream_tbEUlT_E_NS1_11comp_targetILNS1_3genE8ELNS1_11target_archE1030ELNS1_3gpuE2ELNS1_3repE0EEENS1_30default_config_static_selectorELNS0_4arch9wavefront6targetE0EEEvSL_.num_vgpr, 0
	.set _ZN7rocprim17ROCPRIM_400000_NS6detail17trampoline_kernelINS0_14default_configENS1_36segmented_radix_sort_config_selectorI12hip_bfloat16lEEZNS1_25segmented_radix_sort_implIS3_Lb1EPKS5_PS5_PKlPlN2at6native12_GLOBAL__N_18offset_tEEE10hipError_tPvRmT1_PNSt15iterator_traitsISL_E10value_typeET2_T3_PNSM_ISR_E10value_typeET4_jRbjT5_SX_jjP12ihipStream_tbEUlT_E_NS1_11comp_targetILNS1_3genE8ELNS1_11target_archE1030ELNS1_3gpuE2ELNS1_3repE0EEENS1_30default_config_static_selectorELNS0_4arch9wavefront6targetE0EEEvSL_.num_agpr, 0
	.set _ZN7rocprim17ROCPRIM_400000_NS6detail17trampoline_kernelINS0_14default_configENS1_36segmented_radix_sort_config_selectorI12hip_bfloat16lEEZNS1_25segmented_radix_sort_implIS3_Lb1EPKS5_PS5_PKlPlN2at6native12_GLOBAL__N_18offset_tEEE10hipError_tPvRmT1_PNSt15iterator_traitsISL_E10value_typeET2_T3_PNSM_ISR_E10value_typeET4_jRbjT5_SX_jjP12ihipStream_tbEUlT_E_NS1_11comp_targetILNS1_3genE8ELNS1_11target_archE1030ELNS1_3gpuE2ELNS1_3repE0EEENS1_30default_config_static_selectorELNS0_4arch9wavefront6targetE0EEEvSL_.numbered_sgpr, 0
	.set _ZN7rocprim17ROCPRIM_400000_NS6detail17trampoline_kernelINS0_14default_configENS1_36segmented_radix_sort_config_selectorI12hip_bfloat16lEEZNS1_25segmented_radix_sort_implIS3_Lb1EPKS5_PS5_PKlPlN2at6native12_GLOBAL__N_18offset_tEEE10hipError_tPvRmT1_PNSt15iterator_traitsISL_E10value_typeET2_T3_PNSM_ISR_E10value_typeET4_jRbjT5_SX_jjP12ihipStream_tbEUlT_E_NS1_11comp_targetILNS1_3genE8ELNS1_11target_archE1030ELNS1_3gpuE2ELNS1_3repE0EEENS1_30default_config_static_selectorELNS0_4arch9wavefront6targetE0EEEvSL_.num_named_barrier, 0
	.set _ZN7rocprim17ROCPRIM_400000_NS6detail17trampoline_kernelINS0_14default_configENS1_36segmented_radix_sort_config_selectorI12hip_bfloat16lEEZNS1_25segmented_radix_sort_implIS3_Lb1EPKS5_PS5_PKlPlN2at6native12_GLOBAL__N_18offset_tEEE10hipError_tPvRmT1_PNSt15iterator_traitsISL_E10value_typeET2_T3_PNSM_ISR_E10value_typeET4_jRbjT5_SX_jjP12ihipStream_tbEUlT_E_NS1_11comp_targetILNS1_3genE8ELNS1_11target_archE1030ELNS1_3gpuE2ELNS1_3repE0EEENS1_30default_config_static_selectorELNS0_4arch9wavefront6targetE0EEEvSL_.private_seg_size, 0
	.set _ZN7rocprim17ROCPRIM_400000_NS6detail17trampoline_kernelINS0_14default_configENS1_36segmented_radix_sort_config_selectorI12hip_bfloat16lEEZNS1_25segmented_radix_sort_implIS3_Lb1EPKS5_PS5_PKlPlN2at6native12_GLOBAL__N_18offset_tEEE10hipError_tPvRmT1_PNSt15iterator_traitsISL_E10value_typeET2_T3_PNSM_ISR_E10value_typeET4_jRbjT5_SX_jjP12ihipStream_tbEUlT_E_NS1_11comp_targetILNS1_3genE8ELNS1_11target_archE1030ELNS1_3gpuE2ELNS1_3repE0EEENS1_30default_config_static_selectorELNS0_4arch9wavefront6targetE0EEEvSL_.uses_vcc, 0
	.set _ZN7rocprim17ROCPRIM_400000_NS6detail17trampoline_kernelINS0_14default_configENS1_36segmented_radix_sort_config_selectorI12hip_bfloat16lEEZNS1_25segmented_radix_sort_implIS3_Lb1EPKS5_PS5_PKlPlN2at6native12_GLOBAL__N_18offset_tEEE10hipError_tPvRmT1_PNSt15iterator_traitsISL_E10value_typeET2_T3_PNSM_ISR_E10value_typeET4_jRbjT5_SX_jjP12ihipStream_tbEUlT_E_NS1_11comp_targetILNS1_3genE8ELNS1_11target_archE1030ELNS1_3gpuE2ELNS1_3repE0EEENS1_30default_config_static_selectorELNS0_4arch9wavefront6targetE0EEEvSL_.uses_flat_scratch, 0
	.set _ZN7rocprim17ROCPRIM_400000_NS6detail17trampoline_kernelINS0_14default_configENS1_36segmented_radix_sort_config_selectorI12hip_bfloat16lEEZNS1_25segmented_radix_sort_implIS3_Lb1EPKS5_PS5_PKlPlN2at6native12_GLOBAL__N_18offset_tEEE10hipError_tPvRmT1_PNSt15iterator_traitsISL_E10value_typeET2_T3_PNSM_ISR_E10value_typeET4_jRbjT5_SX_jjP12ihipStream_tbEUlT_E_NS1_11comp_targetILNS1_3genE8ELNS1_11target_archE1030ELNS1_3gpuE2ELNS1_3repE0EEENS1_30default_config_static_selectorELNS0_4arch9wavefront6targetE0EEEvSL_.has_dyn_sized_stack, 0
	.set _ZN7rocprim17ROCPRIM_400000_NS6detail17trampoline_kernelINS0_14default_configENS1_36segmented_radix_sort_config_selectorI12hip_bfloat16lEEZNS1_25segmented_radix_sort_implIS3_Lb1EPKS5_PS5_PKlPlN2at6native12_GLOBAL__N_18offset_tEEE10hipError_tPvRmT1_PNSt15iterator_traitsISL_E10value_typeET2_T3_PNSM_ISR_E10value_typeET4_jRbjT5_SX_jjP12ihipStream_tbEUlT_E_NS1_11comp_targetILNS1_3genE8ELNS1_11target_archE1030ELNS1_3gpuE2ELNS1_3repE0EEENS1_30default_config_static_selectorELNS0_4arch9wavefront6targetE0EEEvSL_.has_recursion, 0
	.set _ZN7rocprim17ROCPRIM_400000_NS6detail17trampoline_kernelINS0_14default_configENS1_36segmented_radix_sort_config_selectorI12hip_bfloat16lEEZNS1_25segmented_radix_sort_implIS3_Lb1EPKS5_PS5_PKlPlN2at6native12_GLOBAL__N_18offset_tEEE10hipError_tPvRmT1_PNSt15iterator_traitsISL_E10value_typeET2_T3_PNSM_ISR_E10value_typeET4_jRbjT5_SX_jjP12ihipStream_tbEUlT_E_NS1_11comp_targetILNS1_3genE8ELNS1_11target_archE1030ELNS1_3gpuE2ELNS1_3repE0EEENS1_30default_config_static_selectorELNS0_4arch9wavefront6targetE0EEEvSL_.has_indirect_call, 0
	.section	.AMDGPU.csdata,"",@progbits
; Kernel info:
; codeLenInByte = 0
; TotalNumSgprs: 0
; NumVgprs: 0
; ScratchSize: 0
; MemoryBound: 0
; FloatMode: 240
; IeeeMode: 1
; LDSByteSize: 0 bytes/workgroup (compile time only)
; SGPRBlocks: 0
; VGPRBlocks: 0
; NumSGPRsForWavesPerEU: 1
; NumVGPRsForWavesPerEU: 1
; NamedBarCnt: 0
; Occupancy: 16
; WaveLimiterHint : 0
; COMPUTE_PGM_RSRC2:SCRATCH_EN: 0
; COMPUTE_PGM_RSRC2:USER_SGPR: 2
; COMPUTE_PGM_RSRC2:TRAP_HANDLER: 0
; COMPUTE_PGM_RSRC2:TGID_X_EN: 1
; COMPUTE_PGM_RSRC2:TGID_Y_EN: 0
; COMPUTE_PGM_RSRC2:TGID_Z_EN: 0
; COMPUTE_PGM_RSRC2:TIDIG_COMP_CNT: 0
	.text
	.p2align	2                               ; -- Begin function _ZN7rocprim17ROCPRIM_400000_NS6detail26segmented_warp_sort_helperINS1_20WarpSortHelperConfigILj16ELj8ELj256EEE12hip_bfloat16lLi256ELb1EvE4sortIPKS5_PS5_PKlPlEEvT_T0_T1_T2_jjjjRNS6_12storage_typeE
	.type	_ZN7rocprim17ROCPRIM_400000_NS6detail26segmented_warp_sort_helperINS1_20WarpSortHelperConfigILj16ELj8ELj256EEE12hip_bfloat16lLi256ELb1EvE4sortIPKS5_PS5_PKlPlEEvT_T0_T1_T2_jjjjRNS6_12storage_typeE,@function
_ZN7rocprim17ROCPRIM_400000_NS6detail26segmented_warp_sort_helperINS1_20WarpSortHelperConfigILj16ELj8ELj256EEE12hip_bfloat16lLi256ELb1EvE4sortIPKS5_PS5_PKlPlEEvT_T0_T1_T2_jjjjRNS6_12storage_typeE: ; @_ZN7rocprim17ROCPRIM_400000_NS6detail26segmented_warp_sort_helperINS1_20WarpSortHelperConfigILj16ELj8ELj256EEE12hip_bfloat16lLi256ELb1EvE4sortIPKS5_PS5_PKlPlEEvT_T0_T1_T2_jjjjRNS6_12storage_typeE
; %bb.0:
	s_wait_loadcnt_dscnt 0x0
	s_wait_kmcnt 0x0
	v_mov_b32_e32 v10, v9
	v_mbcnt_lo_u32_b32 v9, -1, 0
	v_dual_mov_b32 v37, -1 :: v_dual_mov_b32 v34, -1
	s_delay_alu instid0(VALU_DEP_2) | instskip(NEXT) | instid1(VALU_DEP_1)
	v_dual_lshlrev_b32 v33, 3, v9 :: v_dual_sub_nc_u32 v12, v10, v8
	v_and_b32_e32 v32, 0x78, v33
	v_mov_b32_e32 v9, 0
	s_delay_alu instid0(VALU_DEP_2) | instskip(NEXT) | instid1(VALU_DEP_2)
	v_cmp_lt_u32_e32 vcc_lo, v32, v12
	v_lshl_add_u64 v[14:15], v[8:9], 1, v[0:1]
	v_dual_mov_b32 v1, v9 :: v_dual_lshlrev_b32 v0, 1, v32
	s_delay_alu instid0(VALU_DEP_1)
	v_add_nc_u64_e32 v[10:11], v[14:15], v[0:1]
	s_and_saveexec_b32 s0, vcc_lo
	s_cbranch_execz .LBB1946_2
; %bb.1:
	flat_load_u16 v34, v[10:11]
.LBB1946_2:
	s_wait_xcnt 0x0
	s_or_b32 exec_lo, exec_lo, s0
	v_or_b32_e32 v1, 1, v32
	s_delay_alu instid0(VALU_DEP_1)
	v_cmp_lt_u32_e64 s0, v1, v12
	s_and_saveexec_b32 s1, s0
	s_cbranch_execz .LBB1946_4
; %bb.3:
	flat_load_u16 v37, v[10:11] offset:2
.LBB1946_4:
	s_wait_xcnt 0x0
	s_or_b32 exec_lo, exec_lo, s1
	v_dual_mov_b32 v49, -1 :: v_dual_bitop2_b32 v1, 2, v32 bitop3:0x54
	v_mov_b32_e32 v38, -1
	s_delay_alu instid0(VALU_DEP_2)
	v_cmp_lt_u32_e64 s1, v1, v12
	s_and_saveexec_b32 s2, s1
	s_cbranch_execz .LBB1946_6
; %bb.5:
	flat_load_u16 v38, v[10:11] offset:4
.LBB1946_6:
	s_wait_xcnt 0x0
	s_or_b32 exec_lo, exec_lo, s2
	v_or_b32_e32 v1, 3, v32
	s_delay_alu instid0(VALU_DEP_1)
	v_cmp_lt_u32_e64 s2, v1, v12
	s_and_saveexec_b32 s3, s2
	s_cbranch_execz .LBB1946_8
; %bb.7:
	flat_load_u16 v49, v[10:11] offset:6
.LBB1946_8:
	s_wait_xcnt 0x0
	s_or_b32 exec_lo, exec_lo, s3
	v_dual_mov_b32 v36, -1 :: v_dual_bitop2_b32 v1, 4, v32 bitop3:0x54
	v_mov_b32_e32 v39, -1
	s_delay_alu instid0(VALU_DEP_2)
	v_cmp_lt_u32_e64 s3, v1, v12
	s_and_saveexec_b32 s4, s3
	s_cbranch_execz .LBB1946_10
; %bb.9:
	flat_load_u16 v39, v[10:11] offset:8
.LBB1946_10:
	;; [unrolled: 21-line block ×3, first 2 shown]
	s_wait_xcnt 0x0
	s_or_b32 exec_lo, exec_lo, s6
	v_or_b32_e32 v1, 7, v32
	s_delay_alu instid0(VALU_DEP_1)
	v_cmp_lt_u32_e64 s6, v1, v12
	s_and_saveexec_b32 s7, s6
	s_cbranch_execz .LBB1946_16
; %bb.15:
	flat_load_u16 v35, v[10:11] offset:14
.LBB1946_16:
	s_wait_xcnt 0x0
	s_or_b32 exec_lo, exec_lo, s7
	v_lshl_add_u64 v[10:11], v[8:9], 3, v[4:5]
	v_dual_mov_b32 v5, 0 :: v_dual_lshlrev_b32 v4, 3, v32
	; wave barrier
	s_delay_alu instid0(VALU_DEP_1)
	v_add_nc_u64_e32 v[26:27], v[10:11], v[4:5]
                                        ; implicit-def: $vgpr10_vgpr11
	s_and_saveexec_b32 s7, vcc_lo
	s_cbranch_execnz .LBB1946_318
; %bb.17:
	s_or_b32 exec_lo, exec_lo, s7
	s_and_saveexec_b32 s7, s0
                                        ; implicit-def: $vgpr12_vgpr13
	s_cbranch_execnz .LBB1946_319
.LBB1946_18:
	s_or_b32 exec_lo, exec_lo, s7
                                        ; implicit-def: $vgpr14_vgpr15
	s_and_saveexec_b32 s7, s1
	s_cbranch_execnz .LBB1946_320
.LBB1946_19:
	s_or_b32 exec_lo, exec_lo, s7
	s_and_saveexec_b32 s7, s2
                                        ; implicit-def: $vgpr16_vgpr17
	s_cbranch_execnz .LBB1946_321
.LBB1946_20:
	s_or_b32 exec_lo, exec_lo, s7
                                        ; implicit-def: $vgpr18_vgpr19
	s_and_saveexec_b32 s7, s3
	s_cbranch_execnz .LBB1946_322
.LBB1946_21:
	s_or_b32 exec_lo, exec_lo, s7
	s_and_saveexec_b32 s7, s4
                                        ; implicit-def: $vgpr22_vgpr23
	s_cbranch_execnz .LBB1946_323
.LBB1946_22:
	s_or_b32 exec_lo, exec_lo, s7
                                        ; implicit-def: $vgpr20_vgpr21
	s_and_saveexec_b32 s7, s5
	s_cbranch_execnz .LBB1946_324
.LBB1946_23:
	s_or_b32 exec_lo, exec_lo, s7
	s_and_saveexec_b32 s7, s6
                                        ; implicit-def: $vgpr24_vgpr25
	s_cbranch_execz .LBB1946_25
.LBB1946_24:
	flat_load_b64 v[24:25], v[26:27] offset:56
.LBB1946_25:
	s_wait_xcnt 0x0
	s_or_b32 exec_lo, exec_lo, s7
	; wave barrier
	s_load_b64 s[10:11], s[8:9], 0x0
	s_bfe_u32 s12, ttmp6, 0x4000c
	s_bfe_u32 s14, ttmp6, 0x40010
	s_and_b32 s13, ttmp7, 0xffff
	s_add_co_i32 s12, s12, 1
	s_add_co_i32 s14, s14, 1
	s_and_b32 s7, ttmp6, 15
	s_bfe_u32 s15, ttmp6, 0x40004
	s_mul_i32 s12, ttmp9, s12
	s_mul_i32 s14, s13, s14
	s_getreg_b32 s16, hwreg(HW_REG_IB_STS2, 6, 4)
	s_add_co_i32 s7, s7, s12
	s_add_co_i32 s15, s15, s14
	s_cmp_eq_u32 s16, 0
	v_bfe_u32 v1, v31, 10, 10
	s_cselect_b32 s7, ttmp9, s7
	s_cselect_b32 s12, s13, s15
	v_bfe_u32 v5, v31, 20, 10
	s_wait_kmcnt 0x0
	s_cmp_lt_u32 s7, s10
	s_cselect_b32 s10, 12, 18
	s_cmp_lt_u32 s12, s11
	s_mov_b32 s11, 0
	s_cselect_b32 s12, 14, 20
	s_mov_b32 s13, s11
	s_delay_alu instid0(SALU_CYCLE_1)
	s_add_nc_u64 s[12:13], s[8:9], s[12:13]
	s_add_nc_u64 s[8:9], s[8:9], s[10:11]
	s_clause 0x1
	s_load_u16 s7, s[12:13], 0x0
	s_nop 0
	s_load_u16 s8, s[8:9], 0x0
	s_wait_kmcnt 0x0
	v_mad_u32_u24 v1, v5, s7, v1
	v_and_b32_e32 v5, 0x3ff, v31
	s_delay_alu instid0(VALU_DEP_2) | instskip(SKIP_1) | instid1(VALU_DEP_1)
	v_mul_lo_u32 v1, v1, s8
	s_mov_b32 s8, exec_lo
	v_add_lshl_u32 v1, v1, v5, 3
	s_delay_alu instid0(VALU_DEP_1)
	v_cmpx_gt_u32_e32 0x800, v1
	s_cbranch_execz .LBB1946_307
; %bb.26:
	s_wait_loadcnt_dscnt 0x0
	v_lshlrev_b32_e32 v5, 16, v37
	s_delay_alu instid0(VALU_DEP_1) | instskip(NEXT) | instid1(VALU_DEP_1)
	v_add_f32_e32 v26, 0, v5
	v_and_b32_e32 v5, 0x7f800000, v26
	s_delay_alu instid0(VALU_DEP_1) | instskip(SKIP_1) | instid1(SALU_CYCLE_1)
	v_cmp_ne_u32_e64 s7, 0x7f800000, v5
                                        ; implicit-def: $vgpr5
	s_and_saveexec_b32 s9, s7
	s_xor_b32 s7, exec_lo, s9
; %bb.27:
	v_bfe_u32 v5, v26, 16, 1
	s_delay_alu instid0(VALU_DEP_1)
	v_add3_u32 v5, v26, v5, 0x7fff
                                        ; implicit-def: $vgpr26
; %bb.28:
	s_and_not1_saveexec_b32 s9, s7
; %bb.29:
	v_and_b32_e32 v5, 0xffff, v26
	v_or_b32_e32 v27, 0x10000, v26
	s_delay_alu instid0(VALU_DEP_2) | instskip(NEXT) | instid1(VALU_DEP_1)
	v_cmp_eq_u32_e64 s7, 0, v5
	v_cndmask_b32_e64 v5, v27, v26, s7
; %bb.30:
	s_or_b32 exec_lo, exec_lo, s9
	v_lshlrev_b32_e32 v26, 16, v34
	s_delay_alu instid0(VALU_DEP_1) | instskip(NEXT) | instid1(VALU_DEP_1)
	v_add_f32_e32 v27, 0, v26
	v_and_b32_e32 v26, 0x7f800000, v27
	s_delay_alu instid0(VALU_DEP_1) | instskip(SKIP_1) | instid1(SALU_CYCLE_1)
	v_cmp_ne_u32_e64 s7, 0x7f800000, v26
                                        ; implicit-def: $vgpr26
	s_and_saveexec_b32 s9, s7
	s_xor_b32 s7, exec_lo, s9
; %bb.31:
	v_bfe_u32 v26, v27, 16, 1
	s_delay_alu instid0(VALU_DEP_1)
	v_add3_u32 v26, v27, v26, 0x7fff
                                        ; implicit-def: $vgpr27
; %bb.32:
	s_and_not1_saveexec_b32 s9, s7
; %bb.33:
	v_and_b32_e32 v26, 0xffff, v27
	v_or_b32_e32 v28, 0x10000, v27
	s_delay_alu instid0(VALU_DEP_2) | instskip(NEXT) | instid1(VALU_DEP_1)
	v_cmp_eq_u32_e64 s7, 0, v26
	v_cndmask_b32_e64 v26, v28, v27, s7
; %bb.34:
	s_or_b32 exec_lo, exec_lo, s9
	v_cmp_lt_i32_e64 s7, -1, v5
	s_delay_alu instid0(VALU_DEP_2) | instskip(NEXT) | instid1(VALU_DEP_2)
	v_perm_b32 v5, v26, v5, 0x7060302
	v_cndmask_b32_e64 v27, -1, 0xffff8000, s7
	v_cmp_lt_i32_e64 s7, -1, v26
	s_delay_alu instid0(VALU_DEP_1) | instskip(NEXT) | instid1(VALU_DEP_1)
	v_cndmask_b32_e64 v28, -1, 0xffff8000, s7
	v_perm_b32 v26, v28, v27, 0x5040100
	s_delay_alu instid0(VALU_DEP_1) | instskip(NEXT) | instid1(VALU_DEP_1)
	v_dual_mov_b32 v5, v37 :: v_dual_bitop2_b32 v26, v26, v5 bitop3:0x14
	v_lshrrev_b32_e32 v27, 16, v26
	s_delay_alu instid0(VALU_DEP_1)
	v_cmp_gt_u16_e64 s7, v26, v27
	v_mov_b64_e32 v[26:27], v[12:13]
	s_and_saveexec_b32 s9, s7
; %bb.35:
	v_mov_b64_e32 v[26:27], v[10:11]
	v_mov_b64_e32 v[10:11], v[12:13]
	v_dual_mov_b32 v5, v34 :: v_dual_mov_b32 v34, v37
; %bb.36:
	s_or_b32 exec_lo, exec_lo, s9
	v_lshlrev_b32_e32 v12, 16, v49
	s_delay_alu instid0(VALU_DEP_1) | instskip(NEXT) | instid1(VALU_DEP_1)
	v_add_f32_e32 v13, 0, v12
	v_and_b32_e32 v12, 0x7f800000, v13
	s_delay_alu instid0(VALU_DEP_1) | instskip(SKIP_1) | instid1(SALU_CYCLE_1)
	v_cmp_ne_u32_e64 s7, 0x7f800000, v12
                                        ; implicit-def: $vgpr12
	s_and_saveexec_b32 s9, s7
	s_xor_b32 s7, exec_lo, s9
; %bb.37:
	v_bfe_u32 v12, v13, 16, 1
	s_delay_alu instid0(VALU_DEP_1)
	v_add3_u32 v12, v13, v12, 0x7fff
                                        ; implicit-def: $vgpr13
; %bb.38:
	s_and_not1_saveexec_b32 s9, s7
; %bb.39:
	v_and_b32_e32 v12, 0xffff, v13
	v_or_b32_e32 v28, 0x10000, v13
	s_delay_alu instid0(VALU_DEP_2) | instskip(NEXT) | instid1(VALU_DEP_1)
	v_cmp_eq_u32_e64 s7, 0, v12
	v_cndmask_b32_e64 v12, v28, v13, s7
; %bb.40:
	s_or_b32 exec_lo, exec_lo, s9
	v_lshlrev_b32_e32 v13, 16, v38
	s_delay_alu instid0(VALU_DEP_1) | instskip(NEXT) | instid1(VALU_DEP_1)
	v_add_f32_e32 v28, 0, v13
	v_and_b32_e32 v13, 0x7f800000, v28
	s_delay_alu instid0(VALU_DEP_1) | instskip(SKIP_1) | instid1(SALU_CYCLE_1)
	v_cmp_ne_u32_e64 s7, 0x7f800000, v13
                                        ; implicit-def: $vgpr13
	s_and_saveexec_b32 s9, s7
	s_xor_b32 s7, exec_lo, s9
; %bb.41:
	v_bfe_u32 v13, v28, 16, 1
	s_delay_alu instid0(VALU_DEP_1)
	v_add3_u32 v13, v28, v13, 0x7fff
                                        ; implicit-def: $vgpr28
; %bb.42:
	s_and_not1_saveexec_b32 s9, s7
; %bb.43:
	v_and_b32_e32 v13, 0xffff, v28
	v_or_b32_e32 v29, 0x10000, v28
	s_delay_alu instid0(VALU_DEP_2) | instskip(NEXT) | instid1(VALU_DEP_1)
	v_cmp_eq_u32_e64 s7, 0, v13
	v_cndmask_b32_e64 v13, v29, v28, s7
; %bb.44:
	s_or_b32 exec_lo, exec_lo, s9
	v_cmp_lt_i32_e64 s7, -1, v12
	s_delay_alu instid0(VALU_DEP_2) | instskip(SKIP_4) | instid1(VALU_DEP_1)
	v_perm_b32 v12, v13, v12, 0x7060302
	s_mov_b32 s9, exec_lo
	v_mov_b32_e32 v30, v49
	v_cndmask_b32_e64 v28, -1, 0xffff8000, s7
	v_cmp_lt_i32_e64 s7, -1, v13
	v_cndmask_b32_e64 v29, -1, 0xffff8000, s7
	s_delay_alu instid0(VALU_DEP_1) | instskip(SKIP_1) | instid1(VALU_DEP_2)
	v_perm_b32 v13, v29, v28, 0x5040100
	v_mov_b64_e32 v[28:29], v[16:17]
	v_xor_b32_e32 v12, v13, v12
	s_delay_alu instid0(VALU_DEP_1) | instskip(NEXT) | instid1(VALU_DEP_1)
	v_lshrrev_b32_e32 v13, 16, v12
	v_cmpx_gt_u16_e64 v12, v13
; %bb.45:
	v_mov_b64_e32 v[28:29], v[14:15]
	v_mov_b64_e32 v[14:15], v[16:17]
	v_dual_mov_b32 v30, v38 :: v_dual_mov_b32 v38, v49
; %bb.46:
	s_or_b32 exec_lo, exec_lo, s9
	v_lshlrev_b32_e32 v12, 16, v36
	s_delay_alu instid0(VALU_DEP_1) | instskip(NEXT) | instid1(VALU_DEP_1)
	v_add_f32_e32 v13, 0, v12
	v_and_b32_e32 v12, 0x7f800000, v13
	s_delay_alu instid0(VALU_DEP_1) | instskip(SKIP_1) | instid1(SALU_CYCLE_1)
	v_cmp_ne_u32_e64 s7, 0x7f800000, v12
                                        ; implicit-def: $vgpr12
	s_and_saveexec_b32 s9, s7
	s_xor_b32 s7, exec_lo, s9
; %bb.47:
	v_bfe_u32 v12, v13, 16, 1
	s_delay_alu instid0(VALU_DEP_1)
	v_add3_u32 v12, v13, v12, 0x7fff
                                        ; implicit-def: $vgpr13
; %bb.48:
	s_and_not1_saveexec_b32 s9, s7
; %bb.49:
	v_and_b32_e32 v12, 0xffff, v13
	v_or_b32_e32 v16, 0x10000, v13
	s_delay_alu instid0(VALU_DEP_2) | instskip(NEXT) | instid1(VALU_DEP_1)
	v_cmp_eq_u32_e64 s7, 0, v12
	v_cndmask_b32_e64 v12, v16, v13, s7
; %bb.50:
	s_or_b32 exec_lo, exec_lo, s9
	v_lshlrev_b32_e32 v13, 16, v39
	s_delay_alu instid0(VALU_DEP_1) | instskip(NEXT) | instid1(VALU_DEP_1)
	v_add_f32_e32 v16, 0, v13
	v_and_b32_e32 v13, 0x7f800000, v16
	s_delay_alu instid0(VALU_DEP_1) | instskip(SKIP_1) | instid1(SALU_CYCLE_1)
	v_cmp_ne_u32_e64 s7, 0x7f800000, v13
                                        ; implicit-def: $vgpr13
	s_and_saveexec_b32 s9, s7
	s_xor_b32 s7, exec_lo, s9
; %bb.51:
	v_bfe_u32 v13, v16, 16, 1
	s_delay_alu instid0(VALU_DEP_1)
	v_add3_u32 v13, v16, v13, 0x7fff
                                        ; implicit-def: $vgpr16
; %bb.52:
	s_and_not1_saveexec_b32 s9, s7
; %bb.53:
	v_and_b32_e32 v13, 0xffff, v16
	v_or_b32_e32 v17, 0x10000, v16
	s_delay_alu instid0(VALU_DEP_2) | instskip(NEXT) | instid1(VALU_DEP_1)
	v_cmp_eq_u32_e64 s7, 0, v13
	v_cndmask_b32_e64 v13, v17, v16, s7
; %bb.54:
	s_or_b32 exec_lo, exec_lo, s9
	v_cmp_lt_i32_e64 s7, -1, v12
	s_delay_alu instid0(VALU_DEP_2) | instskip(SKIP_4) | instid1(VALU_DEP_1)
	v_perm_b32 v12, v13, v12, 0x7060302
	s_mov_b32 s9, exec_lo
	v_mov_b32_e32 v49, v39
	v_cndmask_b32_e64 v16, -1, 0xffff8000, s7
	v_cmp_lt_i32_e64 s7, -1, v13
	v_cndmask_b32_e64 v17, -1, 0xffff8000, s7
	s_delay_alu instid0(VALU_DEP_1) | instskip(NEXT) | instid1(VALU_DEP_1)
	v_perm_b32 v13, v17, v16, 0x5040100
	v_xor_b32_e32 v16, v13, v12
	v_mov_b64_e32 v[12:13], v[22:23]
	s_delay_alu instid0(VALU_DEP_2) | instskip(NEXT) | instid1(VALU_DEP_1)
	v_lshrrev_b32_e32 v17, 16, v16
	v_cmpx_gt_u16_e64 v16, v17
; %bb.55:
	v_mov_b64_e32 v[12:13], v[18:19]
	v_mov_b64_e32 v[18:19], v[22:23]
	v_dual_mov_b32 v49, v36 :: v_dual_mov_b32 v36, v39
; %bb.56:
	s_or_b32 exec_lo, exec_lo, s9
	v_lshlrev_b32_e32 v16, 16, v35
	s_delay_alu instid0(VALU_DEP_1) | instskip(NEXT) | instid1(VALU_DEP_1)
	v_add_f32_e32 v17, 0, v16
	v_and_b32_e32 v16, 0x7f800000, v17
	s_delay_alu instid0(VALU_DEP_1) | instskip(SKIP_1) | instid1(SALU_CYCLE_1)
	v_cmp_ne_u32_e64 s7, 0x7f800000, v16
                                        ; implicit-def: $vgpr16
	s_and_saveexec_b32 s9, s7
	s_xor_b32 s7, exec_lo, s9
; %bb.57:
	v_bfe_u32 v16, v17, 16, 1
	s_delay_alu instid0(VALU_DEP_1)
	v_add3_u32 v16, v17, v16, 0x7fff
                                        ; implicit-def: $vgpr17
; %bb.58:
	s_and_not1_saveexec_b32 s9, s7
; %bb.59:
	v_and_b32_e32 v16, 0xffff, v17
	v_or_b32_e32 v22, 0x10000, v17
	s_delay_alu instid0(VALU_DEP_2) | instskip(NEXT) | instid1(VALU_DEP_1)
	v_cmp_eq_u32_e64 s7, 0, v16
	v_cndmask_b32_e64 v16, v22, v17, s7
; %bb.60:
	s_or_b32 exec_lo, exec_lo, s9
	v_lshlrev_b32_e32 v17, 16, v48
	s_delay_alu instid0(VALU_DEP_1) | instskip(NEXT) | instid1(VALU_DEP_1)
	v_add_f32_e32 v22, 0, v17
	v_and_b32_e32 v17, 0x7f800000, v22
	s_delay_alu instid0(VALU_DEP_1) | instskip(SKIP_1) | instid1(SALU_CYCLE_1)
	v_cmp_ne_u32_e64 s7, 0x7f800000, v17
                                        ; implicit-def: $vgpr17
	s_and_saveexec_b32 s9, s7
	s_xor_b32 s7, exec_lo, s9
; %bb.61:
	v_bfe_u32 v17, v22, 16, 1
	s_delay_alu instid0(VALU_DEP_1)
	v_add3_u32 v17, v22, v17, 0x7fff
                                        ; implicit-def: $vgpr22
; %bb.62:
	s_and_not1_saveexec_b32 s9, s7
; %bb.63:
	v_and_b32_e32 v17, 0xffff, v22
	v_or_b32_e32 v23, 0x10000, v22
	s_delay_alu instid0(VALU_DEP_2) | instskip(NEXT) | instid1(VALU_DEP_1)
	v_cmp_eq_u32_e64 s7, 0, v17
	v_cndmask_b32_e64 v17, v23, v22, s7
; %bb.64:
	s_or_b32 exec_lo, exec_lo, s9
	v_cmp_lt_i32_e64 s7, -1, v16
	s_delay_alu instid0(VALU_DEP_2) | instskip(SKIP_4) | instid1(VALU_DEP_1)
	v_perm_b32 v16, v17, v16, 0x7060302
	s_mov_b32 s9, exec_lo
	v_mov_b32_e32 v39, v48
	v_cndmask_b32_e64 v22, -1, 0xffff8000, s7
	v_cmp_lt_i32_e64 s7, -1, v17
	v_cndmask_b32_e64 v23, -1, 0xffff8000, s7
	s_delay_alu instid0(VALU_DEP_1) | instskip(NEXT) | instid1(VALU_DEP_1)
	v_perm_b32 v17, v23, v22, 0x5040100
	v_xor_b32_e32 v22, v17, v16
	v_mov_b64_e32 v[16:17], v[24:25]
	s_delay_alu instid0(VALU_DEP_2) | instskip(NEXT) | instid1(VALU_DEP_1)
	v_lshrrev_b32_e32 v23, 16, v22
	v_cmpx_gt_u16_e64 v22, v23
; %bb.65:
	v_mov_b64_e32 v[16:17], v[20:21]
	v_mov_b64_e32 v[20:21], v[24:25]
	v_dual_mov_b32 v39, v35 :: v_dual_mov_b32 v35, v48
; %bb.66:
	s_or_b32 exec_lo, exec_lo, s9
	v_lshlrev_b32_e32 v22, 16, v38
	s_delay_alu instid0(VALU_DEP_1) | instskip(NEXT) | instid1(VALU_DEP_1)
	v_add_f32_e32 v23, 0, v22
	v_and_b32_e32 v22, 0x7f800000, v23
	s_delay_alu instid0(VALU_DEP_1) | instskip(SKIP_1) | instid1(SALU_CYCLE_1)
	v_cmp_ne_u32_e64 s7, 0x7f800000, v22
                                        ; implicit-def: $vgpr22
	s_and_saveexec_b32 s9, s7
	s_xor_b32 s7, exec_lo, s9
; %bb.67:
	v_bfe_u32 v22, v23, 16, 1
	s_delay_alu instid0(VALU_DEP_1)
	v_add3_u32 v22, v23, v22, 0x7fff
                                        ; implicit-def: $vgpr23
; %bb.68:
	s_and_not1_saveexec_b32 s9, s7
; %bb.69:
	v_and_b32_e32 v22, 0xffff, v23
	v_or_b32_e32 v24, 0x10000, v23
	s_delay_alu instid0(VALU_DEP_2) | instskip(NEXT) | instid1(VALU_DEP_1)
	v_cmp_eq_u32_e64 s7, 0, v22
	v_cndmask_b32_e64 v22, v24, v23, s7
; %bb.70:
	s_or_b32 exec_lo, exec_lo, s9
	v_lshlrev_b32_e32 v23, 16, v5
	s_delay_alu instid0(VALU_DEP_1) | instskip(NEXT) | instid1(VALU_DEP_1)
	v_add_f32_e32 v24, 0, v23
	v_and_b32_e32 v23, 0x7f800000, v24
	s_delay_alu instid0(VALU_DEP_1) | instskip(SKIP_1) | instid1(SALU_CYCLE_1)
	v_cmp_ne_u32_e64 s7, 0x7f800000, v23
                                        ; implicit-def: $vgpr23
	s_and_saveexec_b32 s9, s7
	s_xor_b32 s7, exec_lo, s9
; %bb.71:
	v_bfe_u32 v23, v24, 16, 1
	s_delay_alu instid0(VALU_DEP_1)
	v_add3_u32 v23, v24, v23, 0x7fff
                                        ; implicit-def: $vgpr24
; %bb.72:
	s_and_not1_saveexec_b32 s9, s7
; %bb.73:
	v_and_b32_e32 v23, 0xffff, v24
	v_or_b32_e32 v25, 0x10000, v24
	s_delay_alu instid0(VALU_DEP_2) | instskip(NEXT) | instid1(VALU_DEP_1)
	v_cmp_eq_u32_e64 s7, 0, v23
	v_cndmask_b32_e64 v23, v25, v24, s7
; %bb.74:
	s_or_b32 exec_lo, exec_lo, s9
	v_cmp_lt_i32_e64 s7, -1, v22
	s_delay_alu instid0(VALU_DEP_2) | instskip(SKIP_4) | instid1(VALU_DEP_1)
	v_perm_b32 v22, v23, v22, 0x7060302
	s_mov_b32 s9, exec_lo
	v_mov_b32_e32 v37, v38
	v_cndmask_b32_e64 v24, -1, 0xffff8000, s7
	v_cmp_lt_i32_e64 s7, -1, v23
	v_cndmask_b32_e64 v25, -1, 0xffff8000, s7
	s_delay_alu instid0(VALU_DEP_1) | instskip(SKIP_1) | instid1(VALU_DEP_2)
	v_perm_b32 v23, v25, v24, 0x5040100
	v_mov_b64_e32 v[24:25], v[14:15]
	v_xor_b32_e32 v22, v23, v22
	s_delay_alu instid0(VALU_DEP_1) | instskip(NEXT) | instid1(VALU_DEP_1)
	v_lshrrev_b32_e32 v23, 16, v22
	v_cmpx_gt_u16_e64 v22, v23
; %bb.75:
	v_mov_b64_e32 v[24:25], v[26:27]
	v_mov_b64_e32 v[26:27], v[14:15]
	v_dual_mov_b32 v37, v5 :: v_dual_mov_b32 v5, v38
; %bb.76:
	s_or_b32 exec_lo, exec_lo, s9
	v_lshlrev_b32_e32 v14, 16, v49
	s_delay_alu instid0(VALU_DEP_1) | instskip(NEXT) | instid1(VALU_DEP_1)
	v_add_f32_e32 v15, 0, v14
	v_and_b32_e32 v14, 0x7f800000, v15
	s_delay_alu instid0(VALU_DEP_1) | instskip(SKIP_1) | instid1(SALU_CYCLE_1)
	v_cmp_ne_u32_e64 s7, 0x7f800000, v14
                                        ; implicit-def: $vgpr14
	s_and_saveexec_b32 s9, s7
	s_xor_b32 s7, exec_lo, s9
; %bb.77:
	v_bfe_u32 v14, v15, 16, 1
	s_delay_alu instid0(VALU_DEP_1)
	v_add3_u32 v14, v15, v14, 0x7fff
                                        ; implicit-def: $vgpr15
; %bb.78:
	s_and_not1_saveexec_b32 s9, s7
; %bb.79:
	v_and_b32_e32 v14, 0xffff, v15
	v_or_b32_e32 v22, 0x10000, v15
	s_delay_alu instid0(VALU_DEP_2) | instskip(NEXT) | instid1(VALU_DEP_1)
	v_cmp_eq_u32_e64 s7, 0, v14
	v_cndmask_b32_e64 v14, v22, v15, s7
; %bb.80:
	s_or_b32 exec_lo, exec_lo, s9
	v_lshlrev_b32_e32 v15, 16, v30
	s_delay_alu instid0(VALU_DEP_1) | instskip(NEXT) | instid1(VALU_DEP_1)
	v_add_f32_e32 v22, 0, v15
	v_and_b32_e32 v15, 0x7f800000, v22
	s_delay_alu instid0(VALU_DEP_1) | instskip(SKIP_1) | instid1(SALU_CYCLE_1)
	v_cmp_ne_u32_e64 s7, 0x7f800000, v15
                                        ; implicit-def: $vgpr15
	s_and_saveexec_b32 s9, s7
	s_xor_b32 s7, exec_lo, s9
; %bb.81:
	v_bfe_u32 v15, v22, 16, 1
	s_delay_alu instid0(VALU_DEP_1)
	v_add3_u32 v15, v22, v15, 0x7fff
                                        ; implicit-def: $vgpr22
; %bb.82:
	s_and_not1_saveexec_b32 s9, s7
; %bb.83:
	v_and_b32_e32 v15, 0xffff, v22
	v_or_b32_e32 v23, 0x10000, v22
	s_delay_alu instid0(VALU_DEP_2) | instskip(NEXT) | instid1(VALU_DEP_1)
	v_cmp_eq_u32_e64 s7, 0, v15
	v_cndmask_b32_e64 v15, v23, v22, s7
; %bb.84:
	s_or_b32 exec_lo, exec_lo, s9
	v_cmp_lt_i32_e64 s7, -1, v14
	s_delay_alu instid0(VALU_DEP_2) | instskip(SKIP_4) | instid1(VALU_DEP_1)
	v_perm_b32 v14, v15, v14, 0x7060302
	s_mov_b32 s9, exec_lo
	v_mov_b32_e32 v48, v30
	v_cndmask_b32_e64 v22, -1, 0xffff8000, s7
	v_cmp_lt_i32_e64 s7, -1, v15
	v_cndmask_b32_e64 v23, -1, 0xffff8000, s7
	s_delay_alu instid0(VALU_DEP_1) | instskip(SKIP_1) | instid1(VALU_DEP_2)
	v_perm_b32 v15, v23, v22, 0x5040100
	v_mov_b64_e32 v[22:23], v[18:19]
	v_xor_b32_e32 v14, v15, v14
	s_delay_alu instid0(VALU_DEP_1) | instskip(NEXT) | instid1(VALU_DEP_1)
	v_lshrrev_b32_e32 v15, 16, v14
	v_cmpx_gt_u16_e64 v14, v15
; %bb.85:
	v_mov_b64_e32 v[22:23], v[28:29]
	v_mov_b64_e32 v[28:29], v[18:19]
	v_dual_mov_b32 v48, v49 :: v_dual_mov_b32 v49, v30
; %bb.86:
	s_or_b32 exec_lo, exec_lo, s9
	v_lshlrev_b32_e32 v14, 16, v39
	s_delay_alu instid0(VALU_DEP_1) | instskip(NEXT) | instid1(VALU_DEP_1)
	v_add_f32_e32 v15, 0, v14
	v_and_b32_e32 v14, 0x7f800000, v15
	s_delay_alu instid0(VALU_DEP_1) | instskip(SKIP_1) | instid1(SALU_CYCLE_1)
	v_cmp_ne_u32_e64 s7, 0x7f800000, v14
                                        ; implicit-def: $vgpr14
	s_and_saveexec_b32 s9, s7
	s_xor_b32 s7, exec_lo, s9
; %bb.87:
	v_bfe_u32 v14, v15, 16, 1
	s_delay_alu instid0(VALU_DEP_1)
	v_add3_u32 v14, v15, v14, 0x7fff
                                        ; implicit-def: $vgpr15
; %bb.88:
	s_and_not1_saveexec_b32 s9, s7
; %bb.89:
	v_and_b32_e32 v14, 0xffff, v15
	v_or_b32_e32 v18, 0x10000, v15
	s_delay_alu instid0(VALU_DEP_2) | instskip(NEXT) | instid1(VALU_DEP_1)
	v_cmp_eq_u32_e64 s7, 0, v14
	v_cndmask_b32_e64 v14, v18, v15, s7
; %bb.90:
	s_or_b32 exec_lo, exec_lo, s9
	v_lshlrev_b32_e32 v15, 16, v36
	s_delay_alu instid0(VALU_DEP_1) | instskip(NEXT) | instid1(VALU_DEP_1)
	v_add_f32_e32 v18, 0, v15
	v_and_b32_e32 v15, 0x7f800000, v18
	s_delay_alu instid0(VALU_DEP_1) | instskip(SKIP_1) | instid1(SALU_CYCLE_1)
	v_cmp_ne_u32_e64 s7, 0x7f800000, v15
                                        ; implicit-def: $vgpr15
	s_and_saveexec_b32 s9, s7
	s_xor_b32 s7, exec_lo, s9
; %bb.91:
	v_bfe_u32 v15, v18, 16, 1
	s_delay_alu instid0(VALU_DEP_1)
	v_add3_u32 v15, v18, v15, 0x7fff
                                        ; implicit-def: $vgpr18
; %bb.92:
	s_and_not1_saveexec_b32 s9, s7
; %bb.93:
	v_and_b32_e32 v15, 0xffff, v18
	v_or_b32_e32 v19, 0x10000, v18
	s_delay_alu instid0(VALU_DEP_2) | instskip(NEXT) | instid1(VALU_DEP_1)
	v_cmp_eq_u32_e64 s7, 0, v15
	v_cndmask_b32_e64 v15, v19, v18, s7
; %bb.94:
	s_or_b32 exec_lo, exec_lo, s9
	v_cmp_lt_i32_e64 s7, -1, v14
	s_delay_alu instid0(VALU_DEP_2) | instskip(SKIP_4) | instid1(VALU_DEP_1)
	v_perm_b32 v14, v15, v14, 0x7060302
	s_mov_b32 s9, exec_lo
	v_mov_b32_e32 v38, v36
	v_cndmask_b32_e64 v18, -1, 0xffff8000, s7
	v_cmp_lt_i32_e64 s7, -1, v15
	v_cndmask_b32_e64 v19, -1, 0xffff8000, s7
	s_delay_alu instid0(VALU_DEP_1) | instskip(NEXT) | instid1(VALU_DEP_1)
	v_perm_b32 v15, v19, v18, 0x5040100
	v_xor_b32_e32 v18, v15, v14
	v_mov_b64_e32 v[14:15], v[20:21]
	s_delay_alu instid0(VALU_DEP_2) | instskip(NEXT) | instid1(VALU_DEP_1)
	v_lshrrev_b32_e32 v19, 16, v18
	v_cmpx_gt_u16_e64 v18, v19
; %bb.95:
	v_mov_b64_e32 v[14:15], v[12:13]
	v_mov_b64_e32 v[12:13], v[20:21]
	v_dual_mov_b32 v38, v39 :: v_dual_mov_b32 v39, v36
; %bb.96:
	s_or_b32 exec_lo, exec_lo, s9
	v_lshlrev_b32_e32 v18, 16, v5
	s_delay_alu instid0(VALU_DEP_1) | instskip(NEXT) | instid1(VALU_DEP_1)
	v_add_f32_e32 v19, 0, v18
	v_and_b32_e32 v18, 0x7f800000, v19
	s_delay_alu instid0(VALU_DEP_1) | instskip(SKIP_1) | instid1(SALU_CYCLE_1)
	v_cmp_ne_u32_e64 s7, 0x7f800000, v18
                                        ; implicit-def: $vgpr18
	s_and_saveexec_b32 s9, s7
	s_xor_b32 s7, exec_lo, s9
; %bb.97:
	v_bfe_u32 v18, v19, 16, 1
	s_delay_alu instid0(VALU_DEP_1)
	v_add3_u32 v18, v19, v18, 0x7fff
                                        ; implicit-def: $vgpr19
; %bb.98:
	s_and_not1_saveexec_b32 s9, s7
; %bb.99:
	v_and_b32_e32 v18, 0xffff, v19
	v_or_b32_e32 v20, 0x10000, v19
	s_delay_alu instid0(VALU_DEP_2) | instskip(NEXT) | instid1(VALU_DEP_1)
	v_cmp_eq_u32_e64 s7, 0, v18
	v_cndmask_b32_e64 v18, v20, v19, s7
; %bb.100:
	s_or_b32 exec_lo, exec_lo, s9
	v_lshlrev_b32_e32 v19, 16, v34
	s_delay_alu instid0(VALU_DEP_1) | instskip(NEXT) | instid1(VALU_DEP_1)
	v_add_f32_e32 v20, 0, v19
	v_and_b32_e32 v19, 0x7f800000, v20
	s_delay_alu instid0(VALU_DEP_1) | instskip(SKIP_1) | instid1(SALU_CYCLE_1)
	v_cmp_ne_u32_e64 s7, 0x7f800000, v19
                                        ; implicit-def: $vgpr19
	s_and_saveexec_b32 s9, s7
	s_xor_b32 s7, exec_lo, s9
; %bb.101:
	v_bfe_u32 v19, v20, 16, 1
	s_delay_alu instid0(VALU_DEP_1)
	v_add3_u32 v19, v20, v19, 0x7fff
                                        ; implicit-def: $vgpr20
; %bb.102:
	s_and_not1_saveexec_b32 s9, s7
; %bb.103:
	v_and_b32_e32 v19, 0xffff, v20
	v_or_b32_e32 v21, 0x10000, v20
	s_delay_alu instid0(VALU_DEP_2) | instskip(NEXT) | instid1(VALU_DEP_1)
	v_cmp_eq_u32_e64 s7, 0, v19
	v_cndmask_b32_e64 v19, v21, v20, s7
; %bb.104:
	s_or_b32 exec_lo, exec_lo, s9
	v_cmp_lt_i32_e64 s7, -1, v18
	s_delay_alu instid0(VALU_DEP_2)
	v_perm_b32 v18, v19, v18, 0x7060302
	v_mov_b64_e32 v[30:31], v[26:27]
	s_mov_b32 s9, exec_lo
	v_mov_b32_e32 v36, v5
	v_cndmask_b32_e64 v20, -1, 0xffff8000, s7
	v_cmp_lt_i32_e64 s7, -1, v19
	s_delay_alu instid0(VALU_DEP_1) | instskip(NEXT) | instid1(VALU_DEP_1)
	v_cndmask_b32_e64 v21, -1, 0xffff8000, s7
	v_perm_b32 v19, v21, v20, 0x5040100
	s_delay_alu instid0(VALU_DEP_1) | instskip(NEXT) | instid1(VALU_DEP_1)
	v_xor_b32_e32 v18, v19, v18
	v_lshrrev_b32_e32 v19, 16, v18
	s_delay_alu instid0(VALU_DEP_1)
	v_cmpx_gt_u16_e64 v18, v19
; %bb.105:
	v_mov_b64_e32 v[30:31], v[10:11]
	v_mov_b64_e32 v[10:11], v[26:27]
	v_dual_mov_b32 v36, v34 :: v_dual_mov_b32 v34, v5
; %bb.106:
	s_or_b32 exec_lo, exec_lo, s9
	v_lshlrev_b32_e32 v5, 16, v48
	s_delay_alu instid0(VALU_DEP_1) | instskip(NEXT) | instid1(VALU_DEP_1)
	v_add_f32_e32 v18, 0, v5
	v_and_b32_e32 v5, 0x7f800000, v18
	s_delay_alu instid0(VALU_DEP_1) | instskip(SKIP_1) | instid1(SALU_CYCLE_1)
	v_cmp_ne_u32_e64 s7, 0x7f800000, v5
                                        ; implicit-def: $vgpr5
	s_and_saveexec_b32 s9, s7
	s_xor_b32 s7, exec_lo, s9
; %bb.107:
	v_bfe_u32 v5, v18, 16, 1
	s_delay_alu instid0(VALU_DEP_1)
	v_add3_u32 v5, v18, v5, 0x7fff
                                        ; implicit-def: $vgpr18
; %bb.108:
	s_and_not1_saveexec_b32 s9, s7
; %bb.109:
	v_and_b32_e32 v5, 0xffff, v18
	v_or_b32_e32 v19, 0x10000, v18
	s_delay_alu instid0(VALU_DEP_2) | instskip(NEXT) | instid1(VALU_DEP_1)
	v_cmp_eq_u32_e64 s7, 0, v5
	v_cndmask_b32_e64 v5, v19, v18, s7
; %bb.110:
	s_or_b32 exec_lo, exec_lo, s9
	v_lshlrev_b32_e32 v18, 16, v37
	s_delay_alu instid0(VALU_DEP_1) | instskip(NEXT) | instid1(VALU_DEP_1)
	v_add_f32_e32 v19, 0, v18
	v_and_b32_e32 v18, 0x7f800000, v19
	s_delay_alu instid0(VALU_DEP_1) | instskip(SKIP_1) | instid1(SALU_CYCLE_1)
	v_cmp_ne_u32_e64 s7, 0x7f800000, v18
                                        ; implicit-def: $vgpr18
	s_and_saveexec_b32 s9, s7
	s_xor_b32 s7, exec_lo, s9
; %bb.111:
	v_bfe_u32 v18, v19, 16, 1
	s_delay_alu instid0(VALU_DEP_1)
	v_add3_u32 v18, v19, v18, 0x7fff
                                        ; implicit-def: $vgpr19
; %bb.112:
	s_and_not1_saveexec_b32 s9, s7
; %bb.113:
	v_and_b32_e32 v18, 0xffff, v19
	v_or_b32_e32 v20, 0x10000, v19
	s_delay_alu instid0(VALU_DEP_2) | instskip(NEXT) | instid1(VALU_DEP_1)
	v_cmp_eq_u32_e64 s7, 0, v18
	v_cndmask_b32_e64 v18, v20, v19, s7
; %bb.114:
	s_or_b32 exec_lo, exec_lo, s9
	v_cmp_lt_i32_e64 s7, -1, v5
	s_delay_alu instid0(VALU_DEP_2)
	v_perm_b32 v5, v18, v5, 0x7060302
	v_mov_b64_e32 v[26:27], v[28:29]
	s_mov_b32 s9, exec_lo
	v_mov_b32_e32 v51, v48
	v_cndmask_b32_e64 v19, -1, 0xffff8000, s7
	v_cmp_lt_i32_e64 s7, -1, v18
	s_delay_alu instid0(VALU_DEP_1) | instskip(NEXT) | instid1(VALU_DEP_1)
	v_cndmask_b32_e64 v20, -1, 0xffff8000, s7
	v_perm_b32 v18, v20, v19, 0x5040100
	s_delay_alu instid0(VALU_DEP_1) | instskip(NEXT) | instid1(VALU_DEP_1)
	v_xor_b32_e32 v5, v18, v5
	v_lshrrev_b32_e32 v18, 16, v5
	s_delay_alu instid0(VALU_DEP_1)
	v_cmpx_gt_u16_e64 v5, v18
; %bb.115:
	v_mov_b64_e32 v[26:27], v[24:25]
	v_mov_b64_e32 v[24:25], v[28:29]
	v_dual_mov_b32 v51, v37 :: v_dual_mov_b32 v37, v48
; %bb.116:
	s_or_b32 exec_lo, exec_lo, s9
	v_lshlrev_b32_e32 v5, 16, v38
	s_delay_alu instid0(VALU_DEP_1) | instskip(NEXT) | instid1(VALU_DEP_1)
	v_add_f32_e32 v18, 0, v5
	v_and_b32_e32 v5, 0x7f800000, v18
	s_delay_alu instid0(VALU_DEP_1) | instskip(SKIP_1) | instid1(SALU_CYCLE_1)
	v_cmp_ne_u32_e64 s7, 0x7f800000, v5
                                        ; implicit-def: $vgpr5
	s_and_saveexec_b32 s9, s7
	s_xor_b32 s7, exec_lo, s9
; %bb.117:
	v_bfe_u32 v5, v18, 16, 1
	s_delay_alu instid0(VALU_DEP_1)
	v_add3_u32 v5, v18, v5, 0x7fff
                                        ; implicit-def: $vgpr18
; %bb.118:
	s_and_not1_saveexec_b32 s9, s7
; %bb.119:
	v_and_b32_e32 v5, 0xffff, v18
	v_or_b32_e32 v19, 0x10000, v18
	s_delay_alu instid0(VALU_DEP_2) | instskip(NEXT) | instid1(VALU_DEP_1)
	v_cmp_eq_u32_e64 s7, 0, v5
	v_cndmask_b32_e64 v5, v19, v18, s7
; %bb.120:
	s_or_b32 exec_lo, exec_lo, s9
	v_lshlrev_b32_e32 v18, 16, v49
	s_delay_alu instid0(VALU_DEP_1) | instskip(NEXT) | instid1(VALU_DEP_1)
	v_add_f32_e32 v19, 0, v18
	v_and_b32_e32 v18, 0x7f800000, v19
	s_delay_alu instid0(VALU_DEP_1) | instskip(SKIP_1) | instid1(SALU_CYCLE_1)
	v_cmp_ne_u32_e64 s7, 0x7f800000, v18
                                        ; implicit-def: $vgpr18
	s_and_saveexec_b32 s9, s7
	s_xor_b32 s7, exec_lo, s9
; %bb.121:
	v_bfe_u32 v18, v19, 16, 1
	s_delay_alu instid0(VALU_DEP_1)
	v_add3_u32 v18, v19, v18, 0x7fff
                                        ; implicit-def: $vgpr19
; %bb.122:
	s_and_not1_saveexec_b32 s9, s7
; %bb.123:
	v_and_b32_e32 v18, 0xffff, v19
	v_or_b32_e32 v20, 0x10000, v19
	s_delay_alu instid0(VALU_DEP_2) | instskip(NEXT) | instid1(VALU_DEP_1)
	v_cmp_eq_u32_e64 s7, 0, v18
	v_cndmask_b32_e64 v18, v20, v19, s7
; %bb.124:
	s_or_b32 exec_lo, exec_lo, s9
	v_cmp_lt_i32_e64 s7, -1, v5
	s_delay_alu instid0(VALU_DEP_2) | instskip(SKIP_4) | instid1(VALU_DEP_1)
	v_perm_b32 v5, v18, v5, 0x7060302
	s_mov_b32 s9, exec_lo
	v_mov_b32_e32 v50, v49
	v_cndmask_b32_e64 v19, -1, 0xffff8000, s7
	v_cmp_lt_i32_e64 s7, -1, v18
	v_cndmask_b32_e64 v20, -1, 0xffff8000, s7
	s_delay_alu instid0(VALU_DEP_1) | instskip(NEXT) | instid1(VALU_DEP_1)
	v_perm_b32 v18, v20, v19, 0x5040100
	v_xor_b32_e32 v5, v18, v5
	v_mov_b64_e32 v[18:19], v[12:13]
	s_delay_alu instid0(VALU_DEP_2) | instskip(NEXT) | instid1(VALU_DEP_1)
	v_lshrrev_b32_e32 v20, 16, v5
	v_cmpx_gt_u16_e64 v5, v20
; %bb.125:
	v_mov_b64_e32 v[18:19], v[22:23]
	v_mov_b64_e32 v[22:23], v[12:13]
	v_dual_mov_b32 v50, v38 :: v_dual_mov_b32 v38, v49
; %bb.126:
	s_or_b32 exec_lo, exec_lo, s9
	v_lshlrev_b32_e32 v5, 16, v35
	s_delay_alu instid0(VALU_DEP_1) | instskip(NEXT) | instid1(VALU_DEP_1)
	v_add_f32_e32 v12, 0, v5
	v_and_b32_e32 v5, 0x7f800000, v12
	s_delay_alu instid0(VALU_DEP_1) | instskip(SKIP_1) | instid1(SALU_CYCLE_1)
	v_cmp_ne_u32_e64 s7, 0x7f800000, v5
                                        ; implicit-def: $vgpr5
	s_and_saveexec_b32 s9, s7
	s_xor_b32 s7, exec_lo, s9
; %bb.127:
	v_bfe_u32 v5, v12, 16, 1
	s_delay_alu instid0(VALU_DEP_1)
	v_add3_u32 v5, v12, v5, 0x7fff
                                        ; implicit-def: $vgpr12
; %bb.128:
	s_and_not1_saveexec_b32 s9, s7
; %bb.129:
	v_and_b32_e32 v5, 0xffff, v12
	v_or_b32_e32 v13, 0x10000, v12
	s_delay_alu instid0(VALU_DEP_2) | instskip(NEXT) | instid1(VALU_DEP_1)
	v_cmp_eq_u32_e64 s7, 0, v5
	v_cndmask_b32_e64 v5, v13, v12, s7
; %bb.130:
	s_or_b32 exec_lo, exec_lo, s9
	v_lshlrev_b32_e32 v12, 16, v39
	s_delay_alu instid0(VALU_DEP_1) | instskip(NEXT) | instid1(VALU_DEP_1)
	v_add_f32_e32 v13, 0, v12
	v_and_b32_e32 v12, 0x7f800000, v13
	s_delay_alu instid0(VALU_DEP_1) | instskip(SKIP_1) | instid1(SALU_CYCLE_1)
	v_cmp_ne_u32_e64 s7, 0x7f800000, v12
                                        ; implicit-def: $vgpr12
	s_and_saveexec_b32 s9, s7
	s_xor_b32 s7, exec_lo, s9
; %bb.131:
	v_bfe_u32 v12, v13, 16, 1
	s_delay_alu instid0(VALU_DEP_1)
	v_add3_u32 v12, v13, v12, 0x7fff
                                        ; implicit-def: $vgpr13
; %bb.132:
	s_and_not1_saveexec_b32 s9, s7
; %bb.133:
	v_and_b32_e32 v12, 0xffff, v13
	v_or_b32_e32 v20, 0x10000, v13
	s_delay_alu instid0(VALU_DEP_2) | instskip(NEXT) | instid1(VALU_DEP_1)
	v_cmp_eq_u32_e64 s7, 0, v12
	v_cndmask_b32_e64 v12, v20, v13, s7
; %bb.134:
	s_or_b32 exec_lo, exec_lo, s9
	v_cmp_lt_i32_e64 s7, -1, v5
	s_delay_alu instid0(VALU_DEP_2) | instskip(SKIP_4) | instid1(VALU_DEP_1)
	v_perm_b32 v5, v12, v5, 0x7060302
	s_mov_b32 s9, exec_lo
	v_mov_b32_e32 v48, v39
	v_cndmask_b32_e64 v13, -1, 0xffff8000, s7
	v_cmp_lt_i32_e64 s7, -1, v12
	v_cndmask_b32_e64 v20, -1, 0xffff8000, s7
	s_delay_alu instid0(VALU_DEP_1) | instskip(NEXT) | instid1(VALU_DEP_1)
	v_perm_b32 v12, v20, v13, 0x5040100
	v_xor_b32_e32 v5, v12, v5
	v_mov_b64_e32 v[12:13], v[16:17]
	s_delay_alu instid0(VALU_DEP_2) | instskip(NEXT) | instid1(VALU_DEP_1)
	v_lshrrev_b32_e32 v20, 16, v5
	v_cmpx_gt_u16_e64 v5, v20
; %bb.135:
	v_mov_b64_e32 v[12:13], v[14:15]
	v_mov_b64_e32 v[14:15], v[16:17]
	v_dual_mov_b32 v48, v35 :: v_dual_mov_b32 v35, v39
; %bb.136:
	s_or_b32 exec_lo, exec_lo, s9
	v_lshlrev_b32_e32 v5, 16, v37
	s_delay_alu instid0(VALU_DEP_1) | instskip(NEXT) | instid1(VALU_DEP_1)
	v_add_f32_e32 v16, 0, v5
	v_and_b32_e32 v5, 0x7f800000, v16
	s_delay_alu instid0(VALU_DEP_1) | instskip(SKIP_1) | instid1(SALU_CYCLE_1)
	v_cmp_ne_u32_e64 s7, 0x7f800000, v5
                                        ; implicit-def: $vgpr5
	s_and_saveexec_b32 s9, s7
	s_xor_b32 s7, exec_lo, s9
; %bb.137:
	v_bfe_u32 v5, v16, 16, 1
	s_delay_alu instid0(VALU_DEP_1)
	v_add3_u32 v5, v16, v5, 0x7fff
                                        ; implicit-def: $vgpr16
; %bb.138:
	s_and_not1_saveexec_b32 s9, s7
; %bb.139:
	v_and_b32_e32 v5, 0xffff, v16
	v_or_b32_e32 v17, 0x10000, v16
	s_delay_alu instid0(VALU_DEP_2) | instskip(NEXT) | instid1(VALU_DEP_1)
	v_cmp_eq_u32_e64 s7, 0, v5
	v_cndmask_b32_e64 v5, v17, v16, s7
; %bb.140:
	s_or_b32 exec_lo, exec_lo, s9
	v_lshlrev_b32_e32 v16, 16, v36
	s_delay_alu instid0(VALU_DEP_1) | instskip(NEXT) | instid1(VALU_DEP_1)
	v_add_f32_e32 v17, 0, v16
	v_and_b32_e32 v16, 0x7f800000, v17
	s_delay_alu instid0(VALU_DEP_1) | instskip(SKIP_1) | instid1(SALU_CYCLE_1)
	v_cmp_ne_u32_e64 s7, 0x7f800000, v16
                                        ; implicit-def: $vgpr16
	s_and_saveexec_b32 s9, s7
	s_xor_b32 s7, exec_lo, s9
; %bb.141:
	v_bfe_u32 v16, v17, 16, 1
	s_delay_alu instid0(VALU_DEP_1)
	v_add3_u32 v16, v17, v16, 0x7fff
                                        ; implicit-def: $vgpr17
; %bb.142:
	s_and_not1_saveexec_b32 s9, s7
; %bb.143:
	v_and_b32_e32 v16, 0xffff, v17
	v_or_b32_e32 v20, 0x10000, v17
	s_delay_alu instid0(VALU_DEP_2) | instskip(NEXT) | instid1(VALU_DEP_1)
	v_cmp_eq_u32_e64 s7, 0, v16
	v_cndmask_b32_e64 v16, v20, v17, s7
; %bb.144:
	s_or_b32 exec_lo, exec_lo, s9
	v_cmp_lt_i32_e64 s7, -1, v5
	s_delay_alu instid0(VALU_DEP_2) | instskip(SKIP_4) | instid1(VALU_DEP_1)
	v_perm_b32 v5, v16, v5, 0x7060302
	v_mov_b64_e32 v[28:29], v[24:25]
	s_mov_b32 s9, exec_lo
	v_cndmask_b32_e64 v17, -1, 0xffff8000, s7
	v_cmp_lt_i32_e64 s7, -1, v16
	v_cndmask_b32_e64 v20, -1, 0xffff8000, s7
	s_delay_alu instid0(VALU_DEP_1) | instskip(NEXT) | instid1(VALU_DEP_1)
	v_perm_b32 v16, v20, v17, 0x5040100
	v_dual_mov_b32 v5, v37 :: v_dual_bitop2_b32 v16, v16, v5 bitop3:0x14
	s_delay_alu instid0(VALU_DEP_1) | instskip(NEXT) | instid1(VALU_DEP_1)
	v_lshrrev_b32_e32 v17, 16, v16
	v_cmpx_gt_u16_e64 v16, v17
; %bb.145:
	v_mov_b64_e32 v[28:29], v[30:31]
	v_mov_b64_e32 v[30:31], v[24:25]
	v_dual_mov_b32 v5, v36 :: v_dual_mov_b32 v36, v37
; %bb.146:
	s_or_b32 exec_lo, exec_lo, s9
	v_lshlrev_b32_e32 v16, 16, v50
	s_delay_alu instid0(VALU_DEP_1) | instskip(NEXT) | instid1(VALU_DEP_1)
	v_add_f32_e32 v17, 0, v16
	v_and_b32_e32 v16, 0x7f800000, v17
	s_delay_alu instid0(VALU_DEP_1) | instskip(SKIP_1) | instid1(SALU_CYCLE_1)
	v_cmp_ne_u32_e64 s7, 0x7f800000, v16
                                        ; implicit-def: $vgpr16
	s_and_saveexec_b32 s9, s7
	s_xor_b32 s7, exec_lo, s9
; %bb.147:
	v_bfe_u32 v16, v17, 16, 1
	s_delay_alu instid0(VALU_DEP_1)
	v_add3_u32 v16, v17, v16, 0x7fff
                                        ; implicit-def: $vgpr17
; %bb.148:
	s_and_not1_saveexec_b32 s9, s7
; %bb.149:
	v_and_b32_e32 v16, 0xffff, v17
	v_or_b32_e32 v20, 0x10000, v17
	s_delay_alu instid0(VALU_DEP_2) | instskip(NEXT) | instid1(VALU_DEP_1)
	v_cmp_eq_u32_e64 s7, 0, v16
	v_cndmask_b32_e64 v16, v20, v17, s7
; %bb.150:
	s_or_b32 exec_lo, exec_lo, s9
	v_lshlrev_b32_e32 v17, 16, v51
	s_delay_alu instid0(VALU_DEP_1) | instskip(NEXT) | instid1(VALU_DEP_1)
	v_add_f32_e32 v20, 0, v17
	v_and_b32_e32 v17, 0x7f800000, v20
	s_delay_alu instid0(VALU_DEP_1) | instskip(SKIP_1) | instid1(SALU_CYCLE_1)
	v_cmp_ne_u32_e64 s7, 0x7f800000, v17
                                        ; implicit-def: $vgpr17
	s_and_saveexec_b32 s9, s7
	s_xor_b32 s7, exec_lo, s9
; %bb.151:
	v_bfe_u32 v17, v20, 16, 1
	s_delay_alu instid0(VALU_DEP_1)
	v_add3_u32 v17, v20, v17, 0x7fff
                                        ; implicit-def: $vgpr20
; %bb.152:
	s_and_not1_saveexec_b32 s9, s7
; %bb.153:
	v_and_b32_e32 v17, 0xffff, v20
	v_or_b32_e32 v21, 0x10000, v20
	s_delay_alu instid0(VALU_DEP_2) | instskip(NEXT) | instid1(VALU_DEP_1)
	v_cmp_eq_u32_e64 s7, 0, v17
	v_cndmask_b32_e64 v17, v21, v20, s7
; %bb.154:
	s_or_b32 exec_lo, exec_lo, s9
	v_cmp_lt_i32_e64 s7, -1, v16
	s_delay_alu instid0(VALU_DEP_2) | instskip(SKIP_4) | instid1(VALU_DEP_1)
	v_perm_b32 v16, v17, v16, 0x7060302
	s_mov_b32 s9, exec_lo
	v_mov_b32_e32 v39, v51
	v_cndmask_b32_e64 v20, -1, 0xffff8000, s7
	v_cmp_lt_i32_e64 s7, -1, v17
	v_cndmask_b32_e64 v21, -1, 0xffff8000, s7
	s_delay_alu instid0(VALU_DEP_1) | instskip(SKIP_1) | instid1(VALU_DEP_2)
	v_perm_b32 v17, v21, v20, 0x5040100
	v_mov_b64_e32 v[20:21], v[22:23]
	v_xor_b32_e32 v16, v17, v16
	s_delay_alu instid0(VALU_DEP_1) | instskip(NEXT) | instid1(VALU_DEP_1)
	v_lshrrev_b32_e32 v17, 16, v16
	v_cmpx_gt_u16_e64 v16, v17
; %bb.155:
	v_mov_b64_e32 v[20:21], v[26:27]
	v_mov_b64_e32 v[26:27], v[22:23]
	v_dual_mov_b32 v39, v50 :: v_dual_mov_b32 v50, v51
; %bb.156:
	s_or_b32 exec_lo, exec_lo, s9
	v_lshlrev_b32_e32 v16, 16, v48
	s_delay_alu instid0(VALU_DEP_1) | instskip(NEXT) | instid1(VALU_DEP_1)
	v_add_f32_e32 v17, 0, v16
	v_and_b32_e32 v16, 0x7f800000, v17
	s_delay_alu instid0(VALU_DEP_1) | instskip(SKIP_1) | instid1(SALU_CYCLE_1)
	v_cmp_ne_u32_e64 s7, 0x7f800000, v16
                                        ; implicit-def: $vgpr16
	s_and_saveexec_b32 s9, s7
	s_xor_b32 s7, exec_lo, s9
; %bb.157:
	v_bfe_u32 v16, v17, 16, 1
	s_delay_alu instid0(VALU_DEP_1)
	v_add3_u32 v16, v17, v16, 0x7fff
                                        ; implicit-def: $vgpr17
; %bb.158:
	s_and_not1_saveexec_b32 s9, s7
; %bb.159:
	v_and_b32_e32 v16, 0xffff, v17
	v_or_b32_e32 v22, 0x10000, v17
	s_delay_alu instid0(VALU_DEP_2) | instskip(NEXT) | instid1(VALU_DEP_1)
	v_cmp_eq_u32_e64 s7, 0, v16
	v_cndmask_b32_e64 v16, v22, v17, s7
; %bb.160:
	s_or_b32 exec_lo, exec_lo, s9
	v_lshlrev_b32_e32 v17, 16, v38
	s_delay_alu instid0(VALU_DEP_1) | instskip(NEXT) | instid1(VALU_DEP_1)
	v_add_f32_e32 v22, 0, v17
	v_and_b32_e32 v17, 0x7f800000, v22
	s_delay_alu instid0(VALU_DEP_1) | instskip(SKIP_1) | instid1(SALU_CYCLE_1)
	v_cmp_ne_u32_e64 s7, 0x7f800000, v17
                                        ; implicit-def: $vgpr17
	s_and_saveexec_b32 s9, s7
	s_xor_b32 s7, exec_lo, s9
; %bb.161:
	v_bfe_u32 v17, v22, 16, 1
	s_delay_alu instid0(VALU_DEP_1)
	v_add3_u32 v17, v22, v17, 0x7fff
                                        ; implicit-def: $vgpr22
; %bb.162:
	s_and_not1_saveexec_b32 s9, s7
; %bb.163:
	v_and_b32_e32 v17, 0xffff, v22
	v_or_b32_e32 v23, 0x10000, v22
	s_delay_alu instid0(VALU_DEP_2) | instskip(NEXT) | instid1(VALU_DEP_1)
	v_cmp_eq_u32_e64 s7, 0, v17
	v_cndmask_b32_e64 v17, v23, v22, s7
; %bb.164:
	s_or_b32 exec_lo, exec_lo, s9
	v_cmp_lt_i32_e64 s7, -1, v16
	s_delay_alu instid0(VALU_DEP_2) | instskip(SKIP_4) | instid1(VALU_DEP_1)
	v_perm_b32 v16, v17, v16, 0x7060302
	s_mov_b32 s9, exec_lo
	v_mov_b32_e32 v37, v38
	v_cndmask_b32_e64 v22, -1, 0xffff8000, s7
	v_cmp_lt_i32_e64 s7, -1, v17
	v_cndmask_b32_e64 v23, -1, 0xffff8000, s7
	s_delay_alu instid0(VALU_DEP_1) | instskip(NEXT) | instid1(VALU_DEP_1)
	v_perm_b32 v17, v23, v22, 0x5040100
	v_xor_b32_e32 v22, v17, v16
	v_mov_b64_e32 v[16:17], v[14:15]
	s_delay_alu instid0(VALU_DEP_2) | instskip(NEXT) | instid1(VALU_DEP_1)
	v_lshrrev_b32_e32 v23, 16, v22
	v_cmpx_gt_u16_e64 v22, v23
; %bb.165:
	v_mov_b64_e32 v[16:17], v[18:19]
	v_mov_b64_e32 v[18:19], v[14:15]
	v_dual_mov_b32 v37, v48 :: v_dual_mov_b32 v48, v38
; %bb.166:
	s_or_b32 exec_lo, exec_lo, s9
	v_lshlrev_b32_e32 v14, 16, v36
	s_delay_alu instid0(VALU_DEP_1) | instskip(NEXT) | instid1(VALU_DEP_1)
	v_add_f32_e32 v15, 0, v14
	v_and_b32_e32 v14, 0x7f800000, v15
	s_delay_alu instid0(VALU_DEP_1) | instskip(SKIP_1) | instid1(SALU_CYCLE_1)
	v_cmp_ne_u32_e64 s7, 0x7f800000, v14
                                        ; implicit-def: $vgpr14
	s_and_saveexec_b32 s9, s7
	s_xor_b32 s7, exec_lo, s9
; %bb.167:
	v_bfe_u32 v14, v15, 16, 1
	s_delay_alu instid0(VALU_DEP_1)
	v_add3_u32 v14, v15, v14, 0x7fff
                                        ; implicit-def: $vgpr15
; %bb.168:
	s_and_not1_saveexec_b32 s9, s7
; %bb.169:
	v_and_b32_e32 v14, 0xffff, v15
	v_or_b32_e32 v22, 0x10000, v15
	s_delay_alu instid0(VALU_DEP_2) | instskip(NEXT) | instid1(VALU_DEP_1)
	v_cmp_eq_u32_e64 s7, 0, v14
	v_cndmask_b32_e64 v14, v22, v15, s7
; %bb.170:
	s_or_b32 exec_lo, exec_lo, s9
	v_lshlrev_b32_e32 v15, 16, v34
	s_delay_alu instid0(VALU_DEP_1) | instskip(NEXT) | instid1(VALU_DEP_1)
	v_add_f32_e32 v22, 0, v15
	v_and_b32_e32 v15, 0x7f800000, v22
	s_delay_alu instid0(VALU_DEP_1) | instskip(SKIP_1) | instid1(SALU_CYCLE_1)
	v_cmp_ne_u32_e64 s7, 0x7f800000, v15
                                        ; implicit-def: $vgpr15
	s_and_saveexec_b32 s9, s7
	s_xor_b32 s7, exec_lo, s9
; %bb.171:
	v_bfe_u32 v15, v22, 16, 1
	s_delay_alu instid0(VALU_DEP_1)
	v_add3_u32 v15, v22, v15, 0x7fff
                                        ; implicit-def: $vgpr22
; %bb.172:
	s_and_not1_saveexec_b32 s9, s7
; %bb.173:
	v_and_b32_e32 v15, 0xffff, v22
	v_or_b32_e32 v23, 0x10000, v22
	s_delay_alu instid0(VALU_DEP_2) | instskip(NEXT) | instid1(VALU_DEP_1)
	v_cmp_eq_u32_e64 s7, 0, v15
	v_cndmask_b32_e64 v15, v23, v22, s7
; %bb.174:
	s_or_b32 exec_lo, exec_lo, s9
	v_cmp_lt_i32_e64 s7, -1, v14
	s_delay_alu instid0(VALU_DEP_2)
	v_perm_b32 v14, v15, v14, 0x7060302
	v_mov_b64_e32 v[24:25], v[30:31]
	s_mov_b32 s9, exec_lo
	v_mov_b32_e32 v38, v36
	v_cndmask_b32_e64 v22, -1, 0xffff8000, s7
	v_cmp_lt_i32_e64 s7, -1, v15
	s_delay_alu instid0(VALU_DEP_1) | instskip(NEXT) | instid1(VALU_DEP_1)
	v_cndmask_b32_e64 v23, -1, 0xffff8000, s7
	v_perm_b32 v15, v23, v22, 0x5040100
	s_delay_alu instid0(VALU_DEP_1) | instskip(NEXT) | instid1(VALU_DEP_1)
	v_xor_b32_e32 v14, v15, v14
	v_lshrrev_b32_e32 v15, 16, v14
	s_delay_alu instid0(VALU_DEP_1)
	v_cmpx_gt_u16_e64 v14, v15
; %bb.175:
	v_mov_b64_e32 v[24:25], v[10:11]
	v_mov_b64_e32 v[10:11], v[30:31]
	v_dual_mov_b32 v38, v34 :: v_dual_mov_b32 v34, v36
; %bb.176:
	s_or_b32 exec_lo, exec_lo, s9
	v_lshlrev_b32_e32 v14, 16, v39
	s_delay_alu instid0(VALU_DEP_1) | instskip(NEXT) | instid1(VALU_DEP_1)
	v_add_f32_e32 v15, 0, v14
	v_and_b32_e32 v14, 0x7f800000, v15
	s_delay_alu instid0(VALU_DEP_1) | instskip(SKIP_1) | instid1(SALU_CYCLE_1)
	v_cmp_ne_u32_e64 s7, 0x7f800000, v14
                                        ; implicit-def: $vgpr14
	s_and_saveexec_b32 s9, s7
	s_xor_b32 s7, exec_lo, s9
; %bb.177:
	v_bfe_u32 v14, v15, 16, 1
	s_delay_alu instid0(VALU_DEP_1)
	v_add3_u32 v14, v15, v14, 0x7fff
                                        ; implicit-def: $vgpr15
; %bb.178:
	s_and_not1_saveexec_b32 s9, s7
; %bb.179:
	v_and_b32_e32 v14, 0xffff, v15
	v_or_b32_e32 v22, 0x10000, v15
	s_delay_alu instid0(VALU_DEP_2) | instskip(NEXT) | instid1(VALU_DEP_1)
	v_cmp_eq_u32_e64 s7, 0, v14
	v_cndmask_b32_e64 v14, v22, v15, s7
; %bb.180:
	s_or_b32 exec_lo, exec_lo, s9
	v_lshlrev_b32_e32 v15, 16, v5
	s_delay_alu instid0(VALU_DEP_1) | instskip(NEXT) | instid1(VALU_DEP_1)
	v_add_f32_e32 v22, 0, v15
	v_and_b32_e32 v15, 0x7f800000, v22
	s_delay_alu instid0(VALU_DEP_1) | instskip(SKIP_1) | instid1(SALU_CYCLE_1)
	v_cmp_ne_u32_e64 s7, 0x7f800000, v15
                                        ; implicit-def: $vgpr15
	s_and_saveexec_b32 s9, s7
	s_xor_b32 s7, exec_lo, s9
; %bb.181:
	v_bfe_u32 v15, v22, 16, 1
	s_delay_alu instid0(VALU_DEP_1)
	v_add3_u32 v15, v22, v15, 0x7fff
                                        ; implicit-def: $vgpr22
; %bb.182:
	s_and_not1_saveexec_b32 s9, s7
; %bb.183:
	v_and_b32_e32 v15, 0xffff, v22
	v_or_b32_e32 v23, 0x10000, v22
	s_delay_alu instid0(VALU_DEP_2) | instskip(NEXT) | instid1(VALU_DEP_1)
	v_cmp_eq_u32_e64 s7, 0, v15
	v_cndmask_b32_e64 v15, v23, v22, s7
; %bb.184:
	s_or_b32 exec_lo, exec_lo, s9
	v_cmp_lt_i32_e64 s7, -1, v14
	s_delay_alu instid0(VALU_DEP_2)
	v_perm_b32 v14, v15, v14, 0x7060302
	v_mov_b64_e32 v[30:31], v[26:27]
	s_mov_b32 s9, exec_lo
	v_mov_b32_e32 v36, v39
	v_cndmask_b32_e64 v22, -1, 0xffff8000, s7
	v_cmp_lt_i32_e64 s7, -1, v15
	s_delay_alu instid0(VALU_DEP_1) | instskip(NEXT) | instid1(VALU_DEP_1)
	v_cndmask_b32_e64 v23, -1, 0xffff8000, s7
	v_perm_b32 v15, v23, v22, 0x5040100
	s_delay_alu instid0(VALU_DEP_1) | instskip(NEXT) | instid1(VALU_DEP_1)
	v_xor_b32_e32 v14, v15, v14
	v_lshrrev_b32_e32 v15, 16, v14
	s_delay_alu instid0(VALU_DEP_1)
	v_cmpx_gt_u16_e64 v14, v15
; %bb.185:
	v_mov_b64_e32 v[30:31], v[28:29]
	v_mov_b64_e32 v[28:29], v[26:27]
	v_dual_mov_b32 v36, v5 :: v_dual_mov_b32 v5, v39
; %bb.186:
	s_or_b32 exec_lo, exec_lo, s9
	v_lshlrev_b32_e32 v14, 16, v37
	s_delay_alu instid0(VALU_DEP_1) | instskip(NEXT) | instid1(VALU_DEP_1)
	v_add_f32_e32 v15, 0, v14
	v_and_b32_e32 v14, 0x7f800000, v15
	s_delay_alu instid0(VALU_DEP_1) | instskip(SKIP_1) | instid1(SALU_CYCLE_1)
	v_cmp_ne_u32_e64 s7, 0x7f800000, v14
                                        ; implicit-def: $vgpr14
	s_and_saveexec_b32 s9, s7
	s_xor_b32 s7, exec_lo, s9
; %bb.187:
	v_bfe_u32 v14, v15, 16, 1
	s_delay_alu instid0(VALU_DEP_1)
	v_add3_u32 v14, v15, v14, 0x7fff
                                        ; implicit-def: $vgpr15
; %bb.188:
	s_and_not1_saveexec_b32 s9, s7
; %bb.189:
	v_and_b32_e32 v14, 0xffff, v15
	v_or_b32_e32 v22, 0x10000, v15
	s_delay_alu instid0(VALU_DEP_2) | instskip(NEXT) | instid1(VALU_DEP_1)
	v_cmp_eq_u32_e64 s7, 0, v14
	v_cndmask_b32_e64 v14, v22, v15, s7
; %bb.190:
	s_or_b32 exec_lo, exec_lo, s9
	v_lshlrev_b32_e32 v15, 16, v50
	s_delay_alu instid0(VALU_DEP_1) | instskip(NEXT) | instid1(VALU_DEP_1)
	v_add_f32_e32 v22, 0, v15
	v_and_b32_e32 v15, 0x7f800000, v22
	s_delay_alu instid0(VALU_DEP_1) | instskip(SKIP_1) | instid1(SALU_CYCLE_1)
	v_cmp_ne_u32_e64 s7, 0x7f800000, v15
                                        ; implicit-def: $vgpr15
	s_and_saveexec_b32 s9, s7
	s_xor_b32 s7, exec_lo, s9
; %bb.191:
	v_bfe_u32 v15, v22, 16, 1
	s_delay_alu instid0(VALU_DEP_1)
	v_add3_u32 v15, v22, v15, 0x7fff
                                        ; implicit-def: $vgpr22
; %bb.192:
	s_and_not1_saveexec_b32 s9, s7
; %bb.193:
	v_and_b32_e32 v15, 0xffff, v22
	v_or_b32_e32 v23, 0x10000, v22
	s_delay_alu instid0(VALU_DEP_2) | instskip(NEXT) | instid1(VALU_DEP_1)
	v_cmp_eq_u32_e64 s7, 0, v15
	v_cndmask_b32_e64 v15, v23, v22, s7
; %bb.194:
	s_or_b32 exec_lo, exec_lo, s9
	v_cmp_lt_i32_e64 s7, -1, v14
	s_delay_alu instid0(VALU_DEP_2) | instskip(SKIP_4) | instid1(VALU_DEP_1)
	v_perm_b32 v14, v15, v14, 0x7060302
	s_mov_b32 s9, exec_lo
	v_mov_b32_e32 v51, v50
	v_cndmask_b32_e64 v22, -1, 0xffff8000, s7
	v_cmp_lt_i32_e64 s7, -1, v15
	v_cndmask_b32_e64 v23, -1, 0xffff8000, s7
	s_delay_alu instid0(VALU_DEP_1) | instskip(SKIP_1) | instid1(VALU_DEP_2)
	v_perm_b32 v15, v23, v22, 0x5040100
	v_mov_b64_e32 v[22:23], v[18:19]
	v_xor_b32_e32 v14, v15, v14
	s_delay_alu instid0(VALU_DEP_1) | instskip(NEXT) | instid1(VALU_DEP_1)
	v_lshrrev_b32_e32 v15, 16, v14
	v_cmpx_gt_u16_e64 v14, v15
; %bb.195:
	v_mov_b64_e32 v[22:23], v[20:21]
	v_mov_b64_e32 v[20:21], v[18:19]
	v_dual_mov_b32 v51, v37 :: v_dual_mov_b32 v37, v50
; %bb.196:
	s_or_b32 exec_lo, exec_lo, s9
	v_lshlrev_b32_e32 v14, 16, v35
	s_delay_alu instid0(VALU_DEP_1) | instskip(NEXT) | instid1(VALU_DEP_1)
	v_add_f32_e32 v15, 0, v14
	v_and_b32_e32 v14, 0x7f800000, v15
	s_delay_alu instid0(VALU_DEP_1) | instskip(SKIP_1) | instid1(SALU_CYCLE_1)
	v_cmp_ne_u32_e64 s7, 0x7f800000, v14
                                        ; implicit-def: $vgpr14
	s_and_saveexec_b32 s9, s7
	s_xor_b32 s7, exec_lo, s9
; %bb.197:
	v_bfe_u32 v14, v15, 16, 1
	s_delay_alu instid0(VALU_DEP_1)
	v_add3_u32 v14, v15, v14, 0x7fff
                                        ; implicit-def: $vgpr15
; %bb.198:
	s_and_not1_saveexec_b32 s9, s7
; %bb.199:
	v_and_b32_e32 v14, 0xffff, v15
	v_or_b32_e32 v18, 0x10000, v15
	s_delay_alu instid0(VALU_DEP_2) | instskip(NEXT) | instid1(VALU_DEP_1)
	v_cmp_eq_u32_e64 s7, 0, v14
	v_cndmask_b32_e64 v14, v18, v15, s7
; %bb.200:
	s_or_b32 exec_lo, exec_lo, s9
	v_lshlrev_b32_e32 v15, 16, v48
	s_delay_alu instid0(VALU_DEP_1) | instskip(NEXT) | instid1(VALU_DEP_1)
	v_add_f32_e32 v18, 0, v15
	v_and_b32_e32 v15, 0x7f800000, v18
	s_delay_alu instid0(VALU_DEP_1) | instskip(SKIP_1) | instid1(SALU_CYCLE_1)
	v_cmp_ne_u32_e64 s7, 0x7f800000, v15
                                        ; implicit-def: $vgpr15
	s_and_saveexec_b32 s9, s7
	s_xor_b32 s7, exec_lo, s9
; %bb.201:
	v_bfe_u32 v15, v18, 16, 1
	s_delay_alu instid0(VALU_DEP_1)
	v_add3_u32 v15, v18, v15, 0x7fff
                                        ; implicit-def: $vgpr18
; %bb.202:
	s_and_not1_saveexec_b32 s9, s7
; %bb.203:
	v_and_b32_e32 v15, 0xffff, v18
	v_or_b32_e32 v19, 0x10000, v18
	s_delay_alu instid0(VALU_DEP_2) | instskip(NEXT) | instid1(VALU_DEP_1)
	v_cmp_eq_u32_e64 s7, 0, v15
	v_cndmask_b32_e64 v15, v19, v18, s7
; %bb.204:
	s_or_b32 exec_lo, exec_lo, s9
	v_cmp_lt_i32_e64 s7, -1, v14
	s_delay_alu instid0(VALU_DEP_2) | instskip(SKIP_4) | instid1(VALU_DEP_1)
	v_perm_b32 v14, v15, v14, 0x7060302
	s_mov_b32 s9, exec_lo
	v_mov_b32_e32 v49, v48
	v_cndmask_b32_e64 v18, -1, 0xffff8000, s7
	v_cmp_lt_i32_e64 s7, -1, v15
	v_cndmask_b32_e64 v19, -1, 0xffff8000, s7
	s_delay_alu instid0(VALU_DEP_1) | instskip(NEXT) | instid1(VALU_DEP_1)
	v_perm_b32 v15, v19, v18, 0x5040100
	v_xor_b32_e32 v18, v15, v14
	v_mov_b64_e32 v[14:15], v[12:13]
	s_delay_alu instid0(VALU_DEP_2) | instskip(NEXT) | instid1(VALU_DEP_1)
	v_lshrrev_b32_e32 v19, 16, v18
	v_cmpx_gt_u16_e64 v18, v19
; %bb.205:
	v_mov_b64_e32 v[14:15], v[16:17]
	v_mov_b64_e32 v[16:17], v[12:13]
	v_dual_mov_b32 v49, v35 :: v_dual_mov_b32 v35, v48
; %bb.206:
	s_or_b32 exec_lo, exec_lo, s9
	v_lshlrev_b32_e32 v12, 16, v5
	s_delay_alu instid0(VALU_DEP_1) | instskip(NEXT) | instid1(VALU_DEP_1)
	v_add_f32_e32 v13, 0, v12
	v_and_b32_e32 v12, 0x7f800000, v13
	s_delay_alu instid0(VALU_DEP_1) | instskip(SKIP_1) | instid1(SALU_CYCLE_1)
	v_cmp_ne_u32_e64 s7, 0x7f800000, v12
                                        ; implicit-def: $vgpr12
	s_and_saveexec_b32 s9, s7
	s_xor_b32 s7, exec_lo, s9
; %bb.207:
	v_bfe_u32 v12, v13, 16, 1
	s_delay_alu instid0(VALU_DEP_1)
	v_add3_u32 v12, v13, v12, 0x7fff
                                        ; implicit-def: $vgpr13
; %bb.208:
	s_and_not1_saveexec_b32 s9, s7
; %bb.209:
	v_and_b32_e32 v12, 0xffff, v13
	v_or_b32_e32 v18, 0x10000, v13
	s_delay_alu instid0(VALU_DEP_2) | instskip(NEXT) | instid1(VALU_DEP_1)
	v_cmp_eq_u32_e64 s7, 0, v12
	v_cndmask_b32_e64 v12, v18, v13, s7
; %bb.210:
	s_or_b32 exec_lo, exec_lo, s9
	v_lshlrev_b32_e32 v13, 16, v38
	s_delay_alu instid0(VALU_DEP_1) | instskip(NEXT) | instid1(VALU_DEP_1)
	v_add_f32_e32 v18, 0, v13
	v_and_b32_e32 v13, 0x7f800000, v18
	s_delay_alu instid0(VALU_DEP_1) | instskip(SKIP_1) | instid1(SALU_CYCLE_1)
	v_cmp_ne_u32_e64 s7, 0x7f800000, v13
                                        ; implicit-def: $vgpr13
	s_and_saveexec_b32 s9, s7
	s_xor_b32 s7, exec_lo, s9
; %bb.211:
	v_bfe_u32 v13, v18, 16, 1
	s_delay_alu instid0(VALU_DEP_1)
	v_add3_u32 v13, v18, v13, 0x7fff
                                        ; implicit-def: $vgpr18
; %bb.212:
	s_and_not1_saveexec_b32 s9, s7
; %bb.213:
	v_and_b32_e32 v13, 0xffff, v18
	v_or_b32_e32 v19, 0x10000, v18
	s_delay_alu instid0(VALU_DEP_2) | instskip(NEXT) | instid1(VALU_DEP_1)
	v_cmp_eq_u32_e64 s7, 0, v13
	v_cndmask_b32_e64 v13, v19, v18, s7
; %bb.214:
	s_or_b32 exec_lo, exec_lo, s9
	v_cmp_lt_i32_e64 s7, -1, v12
	s_delay_alu instid0(VALU_DEP_2) | instskip(SKIP_4) | instid1(VALU_DEP_1)
	v_perm_b32 v12, v13, v12, 0x7060302
	s_mov_b32 s9, exec_lo
	v_mov_b32_e32 v48, v5
	v_cndmask_b32_e64 v18, -1, 0xffff8000, s7
	v_cmp_lt_i32_e64 s7, -1, v13
	v_cndmask_b32_e64 v19, -1, 0xffff8000, s7
	s_delay_alu instid0(VALU_DEP_1) | instskip(SKIP_1) | instid1(VALU_DEP_2)
	v_perm_b32 v13, v19, v18, 0x5040100
	v_mov_b64_e32 v[18:19], v[28:29]
	v_xor_b32_e32 v12, v13, v12
	s_delay_alu instid0(VALU_DEP_1) | instskip(NEXT) | instid1(VALU_DEP_1)
	v_lshrrev_b32_e32 v13, 16, v12
	v_cmpx_gt_u16_e64 v12, v13
; %bb.215:
	v_mov_b64_e32 v[18:19], v[24:25]
	v_mov_b64_e32 v[24:25], v[28:29]
	v_dual_mov_b32 v48, v38 :: v_dual_mov_b32 v38, v5
; %bb.216:
	s_or_b32 exec_lo, exec_lo, s9
	v_lshlrev_b32_e32 v5, 16, v51
	s_delay_alu instid0(VALU_DEP_1) | instskip(NEXT) | instid1(VALU_DEP_1)
	v_add_f32_e32 v12, 0, v5
	v_and_b32_e32 v5, 0x7f800000, v12
	s_delay_alu instid0(VALU_DEP_1) | instskip(SKIP_1) | instid1(SALU_CYCLE_1)
	v_cmp_ne_u32_e64 s7, 0x7f800000, v5
                                        ; implicit-def: $vgpr5
	s_and_saveexec_b32 s9, s7
	s_xor_b32 s7, exec_lo, s9
; %bb.217:
	v_bfe_u32 v5, v12, 16, 1
	s_delay_alu instid0(VALU_DEP_1)
	v_add3_u32 v5, v12, v5, 0x7fff
                                        ; implicit-def: $vgpr12
; %bb.218:
	s_and_not1_saveexec_b32 s9, s7
; %bb.219:
	v_and_b32_e32 v5, 0xffff, v12
	v_or_b32_e32 v13, 0x10000, v12
	s_delay_alu instid0(VALU_DEP_2) | instskip(NEXT) | instid1(VALU_DEP_1)
	v_cmp_eq_u32_e64 s7, 0, v5
	v_cndmask_b32_e64 v5, v13, v12, s7
; %bb.220:
	s_or_b32 exec_lo, exec_lo, s9
	v_lshlrev_b32_e32 v12, 16, v36
	s_delay_alu instid0(VALU_DEP_1) | instskip(NEXT) | instid1(VALU_DEP_1)
	v_add_f32_e32 v13, 0, v12
	v_and_b32_e32 v12, 0x7f800000, v13
	s_delay_alu instid0(VALU_DEP_1) | instskip(SKIP_1) | instid1(SALU_CYCLE_1)
	v_cmp_ne_u32_e64 s7, 0x7f800000, v12
                                        ; implicit-def: $vgpr12
	s_and_saveexec_b32 s9, s7
	s_xor_b32 s7, exec_lo, s9
; %bb.221:
	v_bfe_u32 v12, v13, 16, 1
	s_delay_alu instid0(VALU_DEP_1)
	v_add3_u32 v12, v13, v12, 0x7fff
                                        ; implicit-def: $vgpr13
; %bb.222:
	s_and_not1_saveexec_b32 s9, s7
; %bb.223:
	v_and_b32_e32 v12, 0xffff, v13
	v_or_b32_e32 v26, 0x10000, v13
	s_delay_alu instid0(VALU_DEP_2) | instskip(NEXT) | instid1(VALU_DEP_1)
	v_cmp_eq_u32_e64 s7, 0, v12
	v_cndmask_b32_e64 v12, v26, v13, s7
; %bb.224:
	s_or_b32 exec_lo, exec_lo, s9
	v_cmp_lt_i32_e64 s7, -1, v5
	s_delay_alu instid0(VALU_DEP_2) | instskip(SKIP_4) | instid1(VALU_DEP_1)
	v_perm_b32 v5, v12, v5, 0x7060302
	s_mov_b32 s9, exec_lo
	v_mov_b32_e32 v28, v36
	v_cndmask_b32_e64 v13, -1, 0xffff8000, s7
	v_cmp_lt_i32_e64 s7, -1, v12
	v_cndmask_b32_e64 v26, -1, 0xffff8000, s7
	s_delay_alu instid0(VALU_DEP_1) | instskip(SKIP_1) | instid1(VALU_DEP_2)
	v_perm_b32 v12, v26, v13, 0x5040100
	v_mov_b64_e32 v[26:27], v[20:21]
	v_xor_b32_e32 v5, v12, v5
	s_delay_alu instid0(VALU_DEP_1) | instskip(NEXT) | instid1(VALU_DEP_1)
	v_lshrrev_b32_e32 v12, 16, v5
	v_cmpx_gt_u16_e64 v5, v12
; %bb.225:
	v_mov_b64_e32 v[26:27], v[30:31]
	v_mov_b64_e32 v[30:31], v[20:21]
	v_dual_mov_b32 v28, v51 :: v_dual_mov_b32 v51, v36
; %bb.226:
	s_or_b32 exec_lo, exec_lo, s9
	v_lshlrev_b32_e32 v5, 16, v49
	s_delay_alu instid0(VALU_DEP_1) | instskip(NEXT) | instid1(VALU_DEP_1)
	v_add_f32_e32 v12, 0, v5
	v_and_b32_e32 v5, 0x7f800000, v12
	s_delay_alu instid0(VALU_DEP_1) | instskip(SKIP_1) | instid1(SALU_CYCLE_1)
	v_cmp_ne_u32_e64 s7, 0x7f800000, v5
                                        ; implicit-def: $vgpr5
	s_and_saveexec_b32 s9, s7
	s_xor_b32 s7, exec_lo, s9
; %bb.227:
	v_bfe_u32 v5, v12, 16, 1
	s_delay_alu instid0(VALU_DEP_1)
	v_add3_u32 v5, v12, v5, 0x7fff
                                        ; implicit-def: $vgpr12
; %bb.228:
	s_and_not1_saveexec_b32 s9, s7
; %bb.229:
	v_and_b32_e32 v5, 0xffff, v12
	v_or_b32_e32 v13, 0x10000, v12
	s_delay_alu instid0(VALU_DEP_2) | instskip(NEXT) | instid1(VALU_DEP_1)
	v_cmp_eq_u32_e64 s7, 0, v5
	v_cndmask_b32_e64 v5, v13, v12, s7
; %bb.230:
	s_or_b32 exec_lo, exec_lo, s9
	v_lshlrev_b32_e32 v12, 16, v37
	s_delay_alu instid0(VALU_DEP_1) | instskip(NEXT) | instid1(VALU_DEP_1)
	v_add_f32_e32 v13, 0, v12
	v_and_b32_e32 v12, 0x7f800000, v13
	s_delay_alu instid0(VALU_DEP_1) | instskip(SKIP_1) | instid1(SALU_CYCLE_1)
	v_cmp_ne_u32_e64 s7, 0x7f800000, v12
                                        ; implicit-def: $vgpr12
	s_and_saveexec_b32 s9, s7
	s_xor_b32 s7, exec_lo, s9
; %bb.231:
	v_bfe_u32 v12, v13, 16, 1
	s_delay_alu instid0(VALU_DEP_1)
	v_add3_u32 v12, v13, v12, 0x7fff
                                        ; implicit-def: $vgpr13
; %bb.232:
	s_and_not1_saveexec_b32 s9, s7
; %bb.233:
	v_and_b32_e32 v12, 0xffff, v13
	v_or_b32_e32 v20, 0x10000, v13
	s_delay_alu instid0(VALU_DEP_2) | instskip(NEXT) | instid1(VALU_DEP_1)
	v_cmp_eq_u32_e64 s7, 0, v12
	v_cndmask_b32_e64 v12, v20, v13, s7
; %bb.234:
	s_or_b32 exec_lo, exec_lo, s9
	v_cmp_lt_i32_e64 s7, -1, v5
	s_delay_alu instid0(VALU_DEP_2) | instskip(SKIP_4) | instid1(VALU_DEP_1)
	v_perm_b32 v5, v12, v5, 0x7060302
	s_mov_b32 s9, exec_lo
	v_mov_b32_e32 v36, v37
	v_cndmask_b32_e64 v13, -1, 0xffff8000, s7
	v_cmp_lt_i32_e64 s7, -1, v12
	v_cndmask_b32_e64 v20, -1, 0xffff8000, s7
	s_delay_alu instid0(VALU_DEP_1) | instskip(SKIP_1) | instid1(VALU_DEP_2)
	v_perm_b32 v12, v20, v13, 0x5040100
	v_mov_b64_e32 v[20:21], v[16:17]
	v_xor_b32_e32 v5, v12, v5
	s_delay_alu instid0(VALU_DEP_1) | instskip(NEXT) | instid1(VALU_DEP_1)
	v_lshrrev_b32_e32 v12, 16, v5
	v_cmpx_gt_u16_e64 v5, v12
; %bb.235:
	v_mov_b64_e32 v[20:21], v[22:23]
	v_mov_b64_e32 v[22:23], v[16:17]
	v_dual_mov_b32 v36, v49 :: v_dual_mov_b32 v49, v37
; %bb.236:
	s_or_b32 exec_lo, exec_lo, s9
	v_lshlrev_b32_e32 v5, 16, v38
	s_delay_alu instid0(VALU_DEP_1) | instskip(NEXT) | instid1(VALU_DEP_1)
	v_add_f32_e32 v12, 0, v5
	v_and_b32_e32 v5, 0x7f800000, v12
	s_delay_alu instid0(VALU_DEP_1) | instskip(SKIP_1) | instid1(SALU_CYCLE_1)
	v_cmp_ne_u32_e64 s7, 0x7f800000, v5
                                        ; implicit-def: $vgpr5
	s_and_saveexec_b32 s9, s7
	s_xor_b32 s7, exec_lo, s9
; %bb.237:
	v_bfe_u32 v5, v12, 16, 1
	s_delay_alu instid0(VALU_DEP_1)
	v_add3_u32 v5, v12, v5, 0x7fff
                                        ; implicit-def: $vgpr12
; %bb.238:
	s_and_not1_saveexec_b32 s9, s7
; %bb.239:
	v_and_b32_e32 v5, 0xffff, v12
	v_or_b32_e32 v13, 0x10000, v12
	s_delay_alu instid0(VALU_DEP_2) | instskip(NEXT) | instid1(VALU_DEP_1)
	v_cmp_eq_u32_e64 s7, 0, v5
	v_cndmask_b32_e64 v5, v13, v12, s7
; %bb.240:
	s_or_b32 exec_lo, exec_lo, s9
	v_lshlrev_b32_e32 v12, 16, v34
	s_delay_alu instid0(VALU_DEP_1) | instskip(NEXT) | instid1(VALU_DEP_1)
	v_add_f32_e32 v13, 0, v12
	v_and_b32_e32 v12, 0x7f800000, v13
	s_delay_alu instid0(VALU_DEP_1) | instskip(SKIP_1) | instid1(SALU_CYCLE_1)
	v_cmp_ne_u32_e64 s7, 0x7f800000, v12
                                        ; implicit-def: $vgpr12
	s_and_saveexec_b32 s9, s7
	s_xor_b32 s7, exec_lo, s9
; %bb.241:
	v_bfe_u32 v12, v13, 16, 1
	s_delay_alu instid0(VALU_DEP_1)
	v_add3_u32 v12, v13, v12, 0x7fff
                                        ; implicit-def: $vgpr13
; %bb.242:
	s_and_not1_saveexec_b32 s9, s7
; %bb.243:
	v_and_b32_e32 v12, 0xffff, v13
	v_or_b32_e32 v16, 0x10000, v13
	s_delay_alu instid0(VALU_DEP_2) | instskip(NEXT) | instid1(VALU_DEP_1)
	v_cmp_eq_u32_e64 s7, 0, v12
	v_cndmask_b32_e64 v12, v16, v13, s7
; %bb.244:
	s_or_b32 exec_lo, exec_lo, s9
	v_cmp_lt_i32_e64 s7, -1, v5
	s_delay_alu instid0(VALU_DEP_2) | instskip(SKIP_1) | instid1(VALU_DEP_3)
	v_perm_b32 v5, v12, v5, 0x7060302
	v_mov_b32_e32 v37, v38
	v_cndmask_b32_e64 v13, -1, 0xffff8000, s7
	v_cmp_lt_i32_e64 s7, -1, v12
	s_delay_alu instid0(VALU_DEP_1) | instskip(NEXT) | instid1(VALU_DEP_1)
	v_cndmask_b32_e64 v16, -1, 0xffff8000, s7
	v_perm_b32 v12, v16, v13, 0x5040100
	s_delay_alu instid0(VALU_DEP_1) | instskip(NEXT) | instid1(VALU_DEP_1)
	v_xor_b32_e32 v5, v12, v5
	v_lshrrev_b32_e32 v12, 16, v5
	s_delay_alu instid0(VALU_DEP_1)
	v_cmp_gt_u16_e64 s7, v5, v12
	v_mov_b64_e32 v[12:13], v[24:25]
	s_and_saveexec_b32 s9, s7
; %bb.245:
	v_mov_b64_e32 v[12:13], v[10:11]
	v_mov_b64_e32 v[10:11], v[24:25]
	v_dual_mov_b32 v37, v34 :: v_dual_mov_b32 v34, v38
; %bb.246:
	s_or_b32 exec_lo, exec_lo, s9
	v_lshlrev_b32_e32 v5, 16, v28
	s_delay_alu instid0(VALU_DEP_1) | instskip(NEXT) | instid1(VALU_DEP_1)
	v_add_f32_e32 v16, 0, v5
	v_and_b32_e32 v5, 0x7f800000, v16
	s_delay_alu instid0(VALU_DEP_1) | instskip(SKIP_1) | instid1(SALU_CYCLE_1)
	v_cmp_ne_u32_e64 s7, 0x7f800000, v5
                                        ; implicit-def: $vgpr5
	s_and_saveexec_b32 s9, s7
	s_xor_b32 s7, exec_lo, s9
; %bb.247:
	v_bfe_u32 v5, v16, 16, 1
	s_delay_alu instid0(VALU_DEP_1)
	v_add3_u32 v5, v16, v5, 0x7fff
                                        ; implicit-def: $vgpr16
; %bb.248:
	s_and_not1_saveexec_b32 s9, s7
; %bb.249:
	v_and_b32_e32 v5, 0xffff, v16
	v_or_b32_e32 v17, 0x10000, v16
	s_delay_alu instid0(VALU_DEP_2) | instskip(NEXT) | instid1(VALU_DEP_1)
	v_cmp_eq_u32_e64 s7, 0, v5
	v_cndmask_b32_e64 v5, v17, v16, s7
; %bb.250:
	s_or_b32 exec_lo, exec_lo, s9
	v_lshlrev_b32_e32 v16, 16, v48
	s_delay_alu instid0(VALU_DEP_1) | instskip(NEXT) | instid1(VALU_DEP_1)
	v_add_f32_e32 v17, 0, v16
	v_and_b32_e32 v16, 0x7f800000, v17
	s_delay_alu instid0(VALU_DEP_1) | instskip(SKIP_1) | instid1(SALU_CYCLE_1)
	v_cmp_ne_u32_e64 s7, 0x7f800000, v16
                                        ; implicit-def: $vgpr16
	s_and_saveexec_b32 s9, s7
	s_xor_b32 s7, exec_lo, s9
; %bb.251:
	v_bfe_u32 v16, v17, 16, 1
	s_delay_alu instid0(VALU_DEP_1)
	v_add3_u32 v16, v17, v16, 0x7fff
                                        ; implicit-def: $vgpr17
; %bb.252:
	s_and_not1_saveexec_b32 s9, s7
; %bb.253:
	v_and_b32_e32 v16, 0xffff, v17
	v_or_b32_e32 v24, 0x10000, v17
	s_delay_alu instid0(VALU_DEP_2) | instskip(NEXT) | instid1(VALU_DEP_1)
	v_cmp_eq_u32_e64 s7, 0, v16
	v_cndmask_b32_e64 v16, v24, v17, s7
; %bb.254:
	s_or_b32 exec_lo, exec_lo, s9
	v_cmp_lt_i32_e64 s7, -1, v5
	s_delay_alu instid0(VALU_DEP_2) | instskip(NEXT) | instid1(VALU_DEP_2)
	v_perm_b32 v5, v16, v5, 0x7060302
	v_cndmask_b32_e64 v17, -1, 0xffff8000, s7
	v_cmp_lt_i32_e64 s7, -1, v16
	s_delay_alu instid0(VALU_DEP_1) | instskip(NEXT) | instid1(VALU_DEP_1)
	v_cndmask_b32_e64 v24, -1, 0xffff8000, s7
	v_perm_b32 v16, v24, v17, 0x5040100
	s_delay_alu instid0(VALU_DEP_1) | instskip(NEXT) | instid1(VALU_DEP_1)
	v_xor_b32_e32 v16, v16, v5
	v_dual_mov_b32 v5, v28 :: v_dual_lshrrev_b32 v17, 16, v16
	s_delay_alu instid0(VALU_DEP_1)
	v_cmp_gt_u16_e64 s7, v16, v17
	v_mov_b64_e32 v[16:17], v[30:31]
	s_and_saveexec_b32 s9, s7
; %bb.255:
	v_mov_b64_e32 v[16:17], v[18:19]
	v_mov_b64_e32 v[18:19], v[30:31]
	v_dual_mov_b32 v5, v48 :: v_dual_mov_b32 v48, v28
; %bb.256:
	s_or_b32 exec_lo, exec_lo, s9
	v_lshlrev_b32_e32 v24, 16, v36
	s_delay_alu instid0(VALU_DEP_1) | instskip(NEXT) | instid1(VALU_DEP_1)
	v_add_f32_e32 v25, 0, v24
	v_and_b32_e32 v24, 0x7f800000, v25
	s_delay_alu instid0(VALU_DEP_1) | instskip(SKIP_1) | instid1(SALU_CYCLE_1)
	v_cmp_ne_u32_e64 s7, 0x7f800000, v24
                                        ; implicit-def: $vgpr24
	s_and_saveexec_b32 s9, s7
	s_xor_b32 s7, exec_lo, s9
; %bb.257:
	v_bfe_u32 v24, v25, 16, 1
	s_delay_alu instid0(VALU_DEP_1)
	v_add3_u32 v24, v25, v24, 0x7fff
                                        ; implicit-def: $vgpr25
; %bb.258:
	s_and_not1_saveexec_b32 s9, s7
; %bb.259:
	v_and_b32_e32 v24, 0xffff, v25
	v_or_b32_e32 v28, 0x10000, v25
	s_delay_alu instid0(VALU_DEP_2) | instskip(NEXT) | instid1(VALU_DEP_1)
	v_cmp_eq_u32_e64 s7, 0, v24
	v_cndmask_b32_e64 v24, v28, v25, s7
; %bb.260:
	s_or_b32 exec_lo, exec_lo, s9
	v_lshlrev_b32_e32 v25, 16, v51
	s_delay_alu instid0(VALU_DEP_1) | instskip(NEXT) | instid1(VALU_DEP_1)
	v_add_f32_e32 v28, 0, v25
	v_and_b32_e32 v25, 0x7f800000, v28
	s_delay_alu instid0(VALU_DEP_1) | instskip(SKIP_1) | instid1(SALU_CYCLE_1)
	v_cmp_ne_u32_e64 s7, 0x7f800000, v25
                                        ; implicit-def: $vgpr25
	s_and_saveexec_b32 s9, s7
	s_xor_b32 s7, exec_lo, s9
; %bb.261:
	v_bfe_u32 v25, v28, 16, 1
	s_delay_alu instid0(VALU_DEP_1)
	v_add3_u32 v25, v28, v25, 0x7fff
                                        ; implicit-def: $vgpr28
; %bb.262:
	s_and_not1_saveexec_b32 s9, s7
; %bb.263:
	v_and_b32_e32 v25, 0xffff, v28
	v_or_b32_e32 v29, 0x10000, v28
	s_delay_alu instid0(VALU_DEP_2) | instskip(NEXT) | instid1(VALU_DEP_1)
	v_cmp_eq_u32_e64 s7, 0, v25
	v_cndmask_b32_e64 v25, v29, v28, s7
; %bb.264:
	s_or_b32 exec_lo, exec_lo, s9
	v_cmp_lt_i32_e64 s7, -1, v24
	s_delay_alu instid0(VALU_DEP_2) | instskip(SKIP_4) | instid1(VALU_DEP_1)
	v_perm_b32 v24, v25, v24, 0x7060302
	s_mov_b32 s9, exec_lo
	v_mov_b32_e32 v39, v51
	v_cndmask_b32_e64 v28, -1, 0xffff8000, s7
	v_cmp_lt_i32_e64 s7, -1, v25
	v_cndmask_b32_e64 v29, -1, 0xffff8000, s7
	s_delay_alu instid0(VALU_DEP_1) | instskip(SKIP_1) | instid1(VALU_DEP_2)
	v_perm_b32 v25, v29, v28, 0x5040100
	v_mov_b64_e32 v[28:29], v[22:23]
	v_xor_b32_e32 v24, v25, v24
	s_delay_alu instid0(VALU_DEP_1) | instskip(NEXT) | instid1(VALU_DEP_1)
	v_lshrrev_b32_e32 v25, 16, v24
	v_cmpx_gt_u16_e64 v24, v25
; %bb.265:
	v_mov_b64_e32 v[28:29], v[26:27]
	v_mov_b64_e32 v[26:27], v[22:23]
	v_dual_mov_b32 v39, v36 :: v_dual_mov_b32 v36, v51
; %bb.266:
	s_or_b32 exec_lo, exec_lo, s9
	v_lshlrev_b32_e32 v22, 16, v35
	s_delay_alu instid0(VALU_DEP_1) | instskip(NEXT) | instid1(VALU_DEP_1)
	v_add_f32_e32 v23, 0, v22
	v_and_b32_e32 v22, 0x7f800000, v23
	s_delay_alu instid0(VALU_DEP_1) | instskip(SKIP_1) | instid1(SALU_CYCLE_1)
	v_cmp_ne_u32_e64 s7, 0x7f800000, v22
                                        ; implicit-def: $vgpr22
	s_and_saveexec_b32 s9, s7
	s_xor_b32 s7, exec_lo, s9
; %bb.267:
	v_bfe_u32 v22, v23, 16, 1
	s_delay_alu instid0(VALU_DEP_1)
	v_add3_u32 v22, v23, v22, 0x7fff
                                        ; implicit-def: $vgpr23
; %bb.268:
	s_and_not1_saveexec_b32 s9, s7
; %bb.269:
	v_and_b32_e32 v22, 0xffff, v23
	v_or_b32_e32 v24, 0x10000, v23
	s_delay_alu instid0(VALU_DEP_2) | instskip(NEXT) | instid1(VALU_DEP_1)
	v_cmp_eq_u32_e64 s7, 0, v22
	v_cndmask_b32_e64 v22, v24, v23, s7
; %bb.270:
	s_or_b32 exec_lo, exec_lo, s9
	v_lshlrev_b32_e32 v23, 16, v49
	s_delay_alu instid0(VALU_DEP_1) | instskip(NEXT) | instid1(VALU_DEP_1)
	v_add_f32_e32 v24, 0, v23
	v_and_b32_e32 v23, 0x7f800000, v24
	s_delay_alu instid0(VALU_DEP_1) | instskip(SKIP_1) | instid1(SALU_CYCLE_1)
	v_cmp_ne_u32_e64 s7, 0x7f800000, v23
                                        ; implicit-def: $vgpr23
	s_and_saveexec_b32 s9, s7
	s_xor_b32 s7, exec_lo, s9
; %bb.271:
	v_bfe_u32 v23, v24, 16, 1
	s_delay_alu instid0(VALU_DEP_1)
	v_add3_u32 v23, v24, v23, 0x7fff
                                        ; implicit-def: $vgpr24
; %bb.272:
	s_and_not1_saveexec_b32 s9, s7
; %bb.273:
	v_and_b32_e32 v23, 0xffff, v24
	v_or_b32_e32 v25, 0x10000, v24
	s_delay_alu instid0(VALU_DEP_2) | instskip(NEXT) | instid1(VALU_DEP_1)
	v_cmp_eq_u32_e64 s7, 0, v23
	v_cndmask_b32_e64 v23, v25, v24, s7
; %bb.274:
	s_or_b32 exec_lo, exec_lo, s9
	v_cmp_lt_i32_e64 s7, -1, v22
	s_delay_alu instid0(VALU_DEP_2) | instskip(SKIP_4) | instid1(VALU_DEP_1)
	v_perm_b32 v22, v23, v22, 0x7060302
	s_mov_b32 s9, exec_lo
	v_mov_b32_e32 v30, v49
	v_cndmask_b32_e64 v24, -1, 0xffff8000, s7
	v_cmp_lt_i32_e64 s7, -1, v23
	v_cndmask_b32_e64 v25, -1, 0xffff8000, s7
	s_delay_alu instid0(VALU_DEP_1) | instskip(SKIP_1) | instid1(VALU_DEP_2)
	v_perm_b32 v23, v25, v24, 0x5040100
	v_mov_b64_e32 v[24:25], v[14:15]
	v_xor_b32_e32 v22, v23, v22
	s_delay_alu instid0(VALU_DEP_1) | instskip(NEXT) | instid1(VALU_DEP_1)
	v_lshrrev_b32_e32 v23, 16, v22
	v_cmpx_gt_u16_e64 v22, v23
; %bb.275:
	v_mov_b64_e32 v[24:25], v[20:21]
	v_mov_b64_e32 v[20:21], v[14:15]
	v_dual_mov_b32 v30, v35 :: v_dual_mov_b32 v35, v49
; %bb.276:
	s_or_b32 exec_lo, exec_lo, s9
	v_lshlrev_b32_e32 v14, 16, v48
	s_delay_alu instid0(VALU_DEP_1) | instskip(NEXT) | instid1(VALU_DEP_1)
	v_add_f32_e32 v15, 0, v14
	v_and_b32_e32 v14, 0x7f800000, v15
	s_delay_alu instid0(VALU_DEP_1) | instskip(SKIP_1) | instid1(SALU_CYCLE_1)
	v_cmp_ne_u32_e64 s7, 0x7f800000, v14
                                        ; implicit-def: $vgpr14
	s_and_saveexec_b32 s9, s7
	s_xor_b32 s7, exec_lo, s9
; %bb.277:
	v_bfe_u32 v14, v15, 16, 1
	s_delay_alu instid0(VALU_DEP_1)
	v_add3_u32 v14, v15, v14, 0x7fff
                                        ; implicit-def: $vgpr15
; %bb.278:
	s_and_not1_saveexec_b32 s9, s7
; %bb.279:
	v_and_b32_e32 v14, 0xffff, v15
	v_or_b32_e32 v22, 0x10000, v15
	s_delay_alu instid0(VALU_DEP_2) | instskip(NEXT) | instid1(VALU_DEP_1)
	v_cmp_eq_u32_e64 s7, 0, v14
	v_cndmask_b32_e64 v14, v22, v15, s7
; %bb.280:
	s_or_b32 exec_lo, exec_lo, s9
	v_lshlrev_b32_e32 v15, 16, v37
	s_delay_alu instid0(VALU_DEP_1) | instskip(NEXT) | instid1(VALU_DEP_1)
	v_add_f32_e32 v22, 0, v15
	v_and_b32_e32 v15, 0x7f800000, v22
	s_delay_alu instid0(VALU_DEP_1) | instskip(SKIP_1) | instid1(SALU_CYCLE_1)
	v_cmp_ne_u32_e64 s7, 0x7f800000, v15
                                        ; implicit-def: $vgpr15
	s_and_saveexec_b32 s9, s7
	s_xor_b32 s7, exec_lo, s9
; %bb.281:
	v_bfe_u32 v15, v22, 16, 1
	s_delay_alu instid0(VALU_DEP_1)
	v_add3_u32 v15, v22, v15, 0x7fff
                                        ; implicit-def: $vgpr22
; %bb.282:
	s_and_not1_saveexec_b32 s9, s7
; %bb.283:
	v_and_b32_e32 v15, 0xffff, v22
	v_or_b32_e32 v23, 0x10000, v22
	s_delay_alu instid0(VALU_DEP_2) | instskip(NEXT) | instid1(VALU_DEP_1)
	v_cmp_eq_u32_e64 s7, 0, v15
	v_cndmask_b32_e64 v15, v23, v22, s7
; %bb.284:
	s_or_b32 exec_lo, exec_lo, s9
	v_cmp_lt_i32_e64 s7, -1, v14
	s_delay_alu instid0(VALU_DEP_2) | instskip(SKIP_1) | instid1(VALU_DEP_3)
	v_perm_b32 v14, v15, v14, 0x7060302
	v_mov_b32_e32 v38, v48
	v_cndmask_b32_e64 v22, -1, 0xffff8000, s7
	v_cmp_lt_i32_e64 s7, -1, v15
	s_delay_alu instid0(VALU_DEP_1) | instskip(NEXT) | instid1(VALU_DEP_1)
	v_cndmask_b32_e64 v23, -1, 0xffff8000, s7
	v_perm_b32 v15, v23, v22, 0x5040100
	s_delay_alu instid0(VALU_DEP_1) | instskip(NEXT) | instid1(VALU_DEP_1)
	v_xor_b32_e32 v14, v15, v14
	v_lshrrev_b32_e32 v15, 16, v14
	s_delay_alu instid0(VALU_DEP_1)
	v_cmp_gt_u16_e64 s7, v14, v15
	v_mov_b64_e32 v[14:15], v[18:19]
	s_and_saveexec_b32 s9, s7
; %bb.285:
	v_mov_b64_e32 v[14:15], v[12:13]
	v_mov_b64_e32 v[12:13], v[18:19]
	v_dual_mov_b32 v38, v37 :: v_dual_mov_b32 v37, v48
; %bb.286:
	s_or_b32 exec_lo, exec_lo, s9
	v_lshlrev_b32_e32 v18, 16, v39
	s_delay_alu instid0(VALU_DEP_1) | instskip(NEXT) | instid1(VALU_DEP_1)
	v_add_f32_e32 v19, 0, v18
	v_and_b32_e32 v18, 0x7f800000, v19
	s_delay_alu instid0(VALU_DEP_1) | instskip(SKIP_1) | instid1(SALU_CYCLE_1)
	v_cmp_ne_u32_e64 s7, 0x7f800000, v18
                                        ; implicit-def: $vgpr18
	s_and_saveexec_b32 s9, s7
	s_xor_b32 s7, exec_lo, s9
; %bb.287:
	v_bfe_u32 v18, v19, 16, 1
	s_delay_alu instid0(VALU_DEP_1)
	v_add3_u32 v18, v19, v18, 0x7fff
                                        ; implicit-def: $vgpr19
; %bb.288:
	s_and_not1_saveexec_b32 s9, s7
; %bb.289:
	v_and_b32_e32 v18, 0xffff, v19
	v_or_b32_e32 v22, 0x10000, v19
	s_delay_alu instid0(VALU_DEP_2) | instskip(NEXT) | instid1(VALU_DEP_1)
	v_cmp_eq_u32_e64 s7, 0, v18
	v_cndmask_b32_e64 v18, v22, v19, s7
; %bb.290:
	s_or_b32 exec_lo, exec_lo, s9
	v_lshlrev_b32_e32 v19, 16, v5
	s_delay_alu instid0(VALU_DEP_1) | instskip(NEXT) | instid1(VALU_DEP_1)
	v_add_f32_e32 v22, 0, v19
	v_and_b32_e32 v19, 0x7f800000, v22
	s_delay_alu instid0(VALU_DEP_1) | instskip(SKIP_1) | instid1(SALU_CYCLE_1)
	v_cmp_ne_u32_e64 s7, 0x7f800000, v19
                                        ; implicit-def: $vgpr19
	s_and_saveexec_b32 s9, s7
	s_xor_b32 s7, exec_lo, s9
; %bb.291:
	v_bfe_u32 v19, v22, 16, 1
	s_delay_alu instid0(VALU_DEP_1)
	v_add3_u32 v19, v22, v19, 0x7fff
                                        ; implicit-def: $vgpr22
; %bb.292:
	s_and_not1_saveexec_b32 s9, s7
; %bb.293:
	v_and_b32_e32 v19, 0xffff, v22
	v_or_b32_e32 v23, 0x10000, v22
	s_delay_alu instid0(VALU_DEP_2) | instskip(NEXT) | instid1(VALU_DEP_1)
	v_cmp_eq_u32_e64 s7, 0, v19
	v_cndmask_b32_e64 v19, v23, v22, s7
; %bb.294:
	s_or_b32 exec_lo, exec_lo, s9
	v_cmp_lt_i32_e64 s7, -1, v18
	s_delay_alu instid0(VALU_DEP_2) | instskip(SKIP_1) | instid1(VALU_DEP_3)
	v_perm_b32 v18, v19, v18, 0x7060302
	v_mov_b32_e32 v49, v5
	v_cndmask_b32_e64 v22, -1, 0xffff8000, s7
	v_cmp_lt_i32_e64 s7, -1, v19
	s_delay_alu instid0(VALU_DEP_1) | instskip(NEXT) | instid1(VALU_DEP_1)
	v_cndmask_b32_e64 v23, -1, 0xffff8000, s7
	v_perm_b32 v19, v23, v22, 0x5040100
	s_delay_alu instid0(VALU_DEP_1) | instskip(NEXT) | instid1(VALU_DEP_1)
	v_xor_b32_e32 v18, v19, v18
	v_lshrrev_b32_e32 v19, 16, v18
	s_delay_alu instid0(VALU_DEP_1)
	v_cmp_gt_u16_e64 s7, v18, v19
	v_mov_b64_e32 v[18:19], v[26:27]
	s_and_saveexec_b32 s9, s7
; %bb.295:
	v_mov_b64_e32 v[18:19], v[16:17]
	v_mov_b64_e32 v[16:17], v[26:27]
	v_dual_mov_b32 v49, v39 :: v_dual_mov_b32 v39, v5
; %bb.296:
	s_or_b32 exec_lo, exec_lo, s9
	v_lshlrev_b32_e32 v5, 16, v30
	s_delay_alu instid0(VALU_DEP_1) | instskip(NEXT) | instid1(VALU_DEP_1)
	v_add_f32_e32 v22, 0, v5
	v_and_b32_e32 v5, 0x7f800000, v22
	s_delay_alu instid0(VALU_DEP_1) | instskip(SKIP_1) | instid1(SALU_CYCLE_1)
	v_cmp_ne_u32_e64 s7, 0x7f800000, v5
                                        ; implicit-def: $vgpr5
	s_and_saveexec_b32 s9, s7
	s_xor_b32 s7, exec_lo, s9
; %bb.297:
	v_bfe_u32 v5, v22, 16, 1
	s_delay_alu instid0(VALU_DEP_1)
	v_add3_u32 v5, v22, v5, 0x7fff
                                        ; implicit-def: $vgpr22
; %bb.298:
	s_and_not1_saveexec_b32 s9, s7
; %bb.299:
	v_and_b32_e32 v5, 0xffff, v22
	v_or_b32_e32 v23, 0x10000, v22
	s_delay_alu instid0(VALU_DEP_2) | instskip(NEXT) | instid1(VALU_DEP_1)
	v_cmp_eq_u32_e64 s7, 0, v5
	v_cndmask_b32_e64 v5, v23, v22, s7
; %bb.300:
	s_or_b32 exec_lo, exec_lo, s9
	v_lshlrev_b32_e32 v22, 16, v36
	s_delay_alu instid0(VALU_DEP_1) | instskip(NEXT) | instid1(VALU_DEP_1)
	v_add_f32_e32 v23, 0, v22
	v_and_b32_e32 v22, 0x7f800000, v23
	s_delay_alu instid0(VALU_DEP_1) | instskip(SKIP_1) | instid1(SALU_CYCLE_1)
	v_cmp_ne_u32_e64 s7, 0x7f800000, v22
                                        ; implicit-def: $vgpr22
	s_and_saveexec_b32 s9, s7
	s_xor_b32 s7, exec_lo, s9
; %bb.301:
	v_bfe_u32 v22, v23, 16, 1
	s_delay_alu instid0(VALU_DEP_1)
	v_add3_u32 v22, v23, v22, 0x7fff
                                        ; implicit-def: $vgpr23
; %bb.302:
	s_and_not1_saveexec_b32 s9, s7
; %bb.303:
	v_and_b32_e32 v22, 0xffff, v23
	v_or_b32_e32 v26, 0x10000, v23
	s_delay_alu instid0(VALU_DEP_2) | instskip(NEXT) | instid1(VALU_DEP_1)
	v_cmp_eq_u32_e64 s7, 0, v22
	v_cndmask_b32_e64 v22, v26, v23, s7
; %bb.304:
	s_or_b32 exec_lo, exec_lo, s9
	v_cmp_lt_i32_e64 s7, -1, v5
	s_delay_alu instid0(VALU_DEP_2) | instskip(SKIP_1) | instid1(VALU_DEP_3)
	v_perm_b32 v5, v22, v5, 0x7060302
	v_mov_b32_e32 v48, v30
	v_cndmask_b32_e64 v23, -1, 0xffff8000, s7
	v_cmp_lt_i32_e64 s7, -1, v22
	s_delay_alu instid0(VALU_DEP_1) | instskip(NEXT) | instid1(VALU_DEP_1)
	v_cndmask_b32_e64 v26, -1, 0xffff8000, s7
	v_perm_b32 v22, v26, v23, 0x5040100
	s_delay_alu instid0(VALU_DEP_1) | instskip(NEXT) | instid1(VALU_DEP_1)
	v_xor_b32_e32 v5, v22, v5
	v_lshrrev_b32_e32 v22, 16, v5
	s_delay_alu instid0(VALU_DEP_1)
	v_cmp_gt_u16_e64 s7, v5, v22
	v_mov_b64_e32 v[22:23], v[28:29]
	s_and_saveexec_b32 s9, s7
; %bb.305:
	v_mov_b64_e32 v[22:23], v[20:21]
	v_mov_b64_e32 v[20:21], v[28:29]
	v_dual_mov_b32 v48, v36 :: v_dual_mov_b32 v36, v30
; %bb.306:
	s_or_b32 exec_lo, exec_lo, s9
.LBB1946_307:
	s_delay_alu instid0(SALU_CYCLE_1)
	s_or_b32 exec_lo, exec_lo, s8
	v_and_b32_e32 v1, 0xffffff00, v1
	v_and_b32_e32 v54, 0xf0, v33
	v_or_b32_e32 v27, 8, v33
	s_wait_loadcnt_dscnt 0x0
	v_perm_b32 v67, v35, v48, 0x5040100
	v_perm_b32 v66, v36, v39, 0x5040100
	v_sub_nc_u32_e64 v26, 0x800, v1 clamp
	v_perm_b32 v69, v49, v38, 0x5040100
	v_perm_b32 v68, v37, v34, 0x5040100
	s_mov_b32 s8, exec_lo
	s_delay_alu instid0(VALU_DEP_3) | instskip(SKIP_1) | instid1(VALU_DEP_2)
	v_min_u32_e32 v50, v26, v27
	v_and_b32_e32 v27, 8, v33
	v_add_min_u32_e64 v51, v50, 8, v26
	v_lshlrev_b32_e32 v5, 1, v1
	s_delay_alu instid0(VALU_DEP_3) | instskip(SKIP_1) | instid1(VALU_DEP_4)
	v_min_u32_e32 v55, v26, v27
	v_sub_nc_u32_e32 v28, v50, v54
	v_sub_nc_u32_e32 v29, v51, v50
	s_delay_alu instid0(VALU_DEP_4)
	v_mad_u32 v1, v1, 6, v5
	v_lshl_or_b32 v27, v33, 1, v5
	v_lshl_or_b32 v52, v54, 1, v5
	v_min_u32_e32 v64, v55, v28
	v_sub_nc_u32_e64 v53, v55, v29 clamp
	v_lshl_add_u32 v65, v33, 3, v1
	s_delay_alu instid0(VALU_DEP_1)
	v_add_nc_u32_e32 v30, 0x1010, v65
	v_add_nc_u32_e32 v31, 0x1020, v65
	;; [unrolled: 1-line block ×4, first 2 shown]
	ds_store_2addr_b64 v30, v[14:15], v[16:17] offset1:1
	ds_store_2addr_b64 v31, v[18:19], v[22:23] offset1:1
	;; [unrolled: 1-line block ×5, first 2 shown]
	; wave barrier
	v_cmpx_lt_u32_e64 v53, v64
	s_cbranch_execz .LBB1946_326
; %bb.308:
	v_dual_lshlrev_b32 v65, 1, v50 :: v_dual_lshlrev_b32 v66, 1, v55
	s_mov_b32 s9, 0
	s_delay_alu instid0(VALU_DEP_1)
	v_add3_u32 v65, v5, v65, v66
	s_branch .LBB1946_310
.LBB1946_309:                           ;   in Loop: Header=BB1946_310 Depth=1
	s_or_b32 exec_lo, exec_lo, s10
	v_cmp_lt_i32_e64 s7, -1, v67
	s_delay_alu instid0(VALU_DEP_2) | instskip(NEXT) | instid1(VALU_DEP_2)
	v_perm_b32 v67, v68, v67, 0x7060302
	v_cndmask_b32_e64 v69, -1, 0xffff8000, s7
	v_cmp_lt_i32_e64 s7, -1, v68
	s_delay_alu instid0(VALU_DEP_1) | instskip(NEXT) | instid1(VALU_DEP_1)
	v_cndmask_b32_e64 v70, -1, 0xffff8000, s7
	v_perm_b32 v68, v70, v69, 0x5040100
	s_delay_alu instid0(VALU_DEP_1) | instskip(NEXT) | instid1(VALU_DEP_1)
	v_dual_add_nc_u32 v69, 1, v66 :: v_dual_bitop2_b32 v67, v68, v67 bitop3:0x14
	v_lshrrev_b32_e32 v68, 16, v67
	s_delay_alu instid0(VALU_DEP_1) | instskip(NEXT) | instid1(VALU_DEP_1)
	v_cmp_gt_u16_e64 s7, v67, v68
	v_dual_cndmask_b32 v64, v64, v66, s7 :: v_dual_cndmask_b32 v53, v69, v53, s7
	s_delay_alu instid0(VALU_DEP_1) | instskip(SKIP_1) | instid1(SALU_CYCLE_1)
	v_cmp_ge_u32_e64 s7, v53, v64
	s_or_b32 s9, s7, s9
	s_and_not1_b32 exec_lo, exec_lo, s9
	s_cbranch_execz .LBB1946_325
.LBB1946_310:                           ; =>This Inner Loop Header: Depth=1
	v_add_nc_u32_e32 v67, v64, v53
	s_delay_alu instid0(VALU_DEP_1) | instskip(NEXT) | instid1(VALU_DEP_1)
	v_dual_lshrrev_b32 v66, 1, v67 :: v_dual_bitop2_b32 v67, -2, v67 bitop3:0x40
	v_not_b32_e32 v68, v66
	s_delay_alu instid0(VALU_DEP_2) | instskip(NEXT) | instid1(VALU_DEP_2)
	v_add_nc_u32_e32 v67, v52, v67
	v_lshl_add_u32 v68, v68, 1, v65
	ds_load_u16 v69, v68
	ds_load_u16 v68, v67
	s_wait_dscnt 0x1
	v_lshlrev_b32_e32 v67, 16, v69
	s_delay_alu instid0(VALU_DEP_1) | instskip(NEXT) | instid1(VALU_DEP_1)
	v_add_f32_e32 v69, 0, v67
	v_and_b32_e32 v67, 0x7f800000, v69
	s_delay_alu instid0(VALU_DEP_1) | instskip(SKIP_1) | instid1(SALU_CYCLE_1)
	v_cmp_ne_u32_e64 s7, 0x7f800000, v67
                                        ; implicit-def: $vgpr67
	s_and_saveexec_b32 s10, s7
	s_xor_b32 s7, exec_lo, s10
; %bb.311:                              ;   in Loop: Header=BB1946_310 Depth=1
	v_bfe_u32 v67, v69, 16, 1
	s_delay_alu instid0(VALU_DEP_1)
	v_add3_u32 v67, v69, v67, 0x7fff
                                        ; implicit-def: $vgpr69
; %bb.312:                              ;   in Loop: Header=BB1946_310 Depth=1
	s_and_not1_saveexec_b32 s10, s7
; %bb.313:                              ;   in Loop: Header=BB1946_310 Depth=1
	v_and_b32_e32 v67, 0xffff, v69
	v_or_b32_e32 v70, 0x10000, v69
	s_delay_alu instid0(VALU_DEP_2) | instskip(NEXT) | instid1(VALU_DEP_1)
	v_cmp_eq_u32_e64 s7, 0, v67
	v_cndmask_b32_e64 v67, v70, v69, s7
; %bb.314:                              ;   in Loop: Header=BB1946_310 Depth=1
	s_or_b32 exec_lo, exec_lo, s10
	s_wait_dscnt 0x0
	v_lshlrev_b32_e32 v68, 16, v68
	s_delay_alu instid0(VALU_DEP_1) | instskip(NEXT) | instid1(VALU_DEP_1)
	v_add_f32_e32 v69, 0, v68
	v_and_b32_e32 v68, 0x7f800000, v69
	s_delay_alu instid0(VALU_DEP_1) | instskip(SKIP_1) | instid1(SALU_CYCLE_1)
	v_cmp_ne_u32_e64 s7, 0x7f800000, v68
                                        ; implicit-def: $vgpr68
	s_and_saveexec_b32 s10, s7
	s_xor_b32 s7, exec_lo, s10
; %bb.315:                              ;   in Loop: Header=BB1946_310 Depth=1
	v_bfe_u32 v68, v69, 16, 1
	s_delay_alu instid0(VALU_DEP_1)
	v_add3_u32 v68, v69, v68, 0x7fff
                                        ; implicit-def: $vgpr69
; %bb.316:                              ;   in Loop: Header=BB1946_310 Depth=1
	s_and_not1_saveexec_b32 s10, s7
	s_cbranch_execz .LBB1946_309
; %bb.317:                              ;   in Loop: Header=BB1946_310 Depth=1
	v_and_b32_e32 v68, 0xffff, v69
	v_or_b32_e32 v70, 0x10000, v69
	s_delay_alu instid0(VALU_DEP_2) | instskip(NEXT) | instid1(VALU_DEP_1)
	v_cmp_eq_u32_e64 s7, 0, v68
	v_cndmask_b32_e64 v68, v70, v69, s7
	s_branch .LBB1946_309
.LBB1946_318:
	flat_load_b64 v[10:11], v[26:27]
	s_wait_xcnt 0x0
	s_or_b32 exec_lo, exec_lo, s7
	s_and_saveexec_b32 s7, s0
                                        ; implicit-def: $vgpr12_vgpr13
	s_cbranch_execz .LBB1946_18
.LBB1946_319:
	flat_load_b64 v[12:13], v[26:27] offset:8
	s_wait_xcnt 0x0
	s_or_b32 exec_lo, exec_lo, s7
                                        ; implicit-def: $vgpr14_vgpr15
	s_and_saveexec_b32 s7, s1
	s_cbranch_execz .LBB1946_19
.LBB1946_320:
	flat_load_b64 v[14:15], v[26:27] offset:16
	s_wait_xcnt 0x0
	s_or_b32 exec_lo, exec_lo, s7
	s_and_saveexec_b32 s7, s2
                                        ; implicit-def: $vgpr16_vgpr17
	s_cbranch_execz .LBB1946_20
.LBB1946_321:
	flat_load_b64 v[16:17], v[26:27] offset:24
	s_wait_xcnt 0x0
	s_or_b32 exec_lo, exec_lo, s7
                                        ; implicit-def: $vgpr18_vgpr19
	s_and_saveexec_b32 s7, s3
	s_cbranch_execz .LBB1946_21
.LBB1946_322:
	flat_load_b64 v[18:19], v[26:27] offset:32
	s_wait_xcnt 0x0
	s_or_b32 exec_lo, exec_lo, s7
	s_and_saveexec_b32 s7, s4
                                        ; implicit-def: $vgpr22_vgpr23
	s_cbranch_execz .LBB1946_22
.LBB1946_323:
	flat_load_b64 v[22:23], v[26:27] offset:40
	s_wait_xcnt 0x0
	s_or_b32 exec_lo, exec_lo, s7
                                        ; implicit-def: $vgpr20_vgpr21
	s_and_saveexec_b32 s7, s5
	s_cbranch_execz .LBB1946_23
.LBB1946_324:
	flat_load_b64 v[20:21], v[26:27] offset:48
	s_wait_xcnt 0x0
	s_or_b32 exec_lo, exec_lo, s7
	s_and_saveexec_b32 s7, s6
                                        ; implicit-def: $vgpr24_vgpr25
	s_cbranch_execnz .LBB1946_24
	s_branch .LBB1946_25
.LBB1946_325:
	s_or_b32 exec_lo, exec_lo, s9
.LBB1946_326:
	s_delay_alu instid0(SALU_CYCLE_1) | instskip(SKIP_1) | instid1(VALU_DEP_1)
	s_or_b32 exec_lo, exec_lo, s8
	v_dual_add_nc_u32 v55, v50, v55 :: v_dual_add_nc_u32 v54, v53, v54
	v_sub_nc_u32_e32 v55, v55, v53
	s_delay_alu instid0(VALU_DEP_2) | instskip(NEXT) | instid1(VALU_DEP_2)
	v_cmp_le_u32_e64 s7, v54, v50
	v_cmp_le_u32_e64 s8, v55, v51
	s_or_b32 s7, s7, s8
	s_delay_alu instid0(SALU_CYCLE_1)
	s_and_saveexec_b32 s9, s7
	s_cbranch_execz .LBB1946_426
; %bb.327:
	v_cmp_ge_u32_e64 s7, v54, v50
	s_mov_b32 s10, exec_lo
                                        ; implicit-def: $vgpr34
	v_cmpx_lt_u32_e64 v54, v50
; %bb.328:
	v_lshl_add_u32 v10, v53, 1, v52
	ds_load_u16 v34, v10
; %bb.329:
	s_or_b32 exec_lo, exec_lo, s10
	v_cmp_ge_u32_e64 s10, v55, v51
	s_mov_b32 s11, exec_lo
                                        ; implicit-def: $vgpr35
	v_cmpx_lt_u32_e64 v55, v51
; %bb.330:
	v_lshl_add_u32 v10, v55, 1, v5
	ds_load_u16 v35, v10
; %bb.331:
	s_or_b32 exec_lo, exec_lo, s11
	s_nor_b32 s7, s7, s10
	s_delay_alu instid0(SALU_CYCLE_1)
	s_and_saveexec_b32 s8, s7
	s_cbranch_execz .LBB1946_341
; %bb.332:
	s_wait_dscnt 0x0
	v_lshlrev_b32_e32 v10, 16, v35
	s_delay_alu instid0(VALU_DEP_1) | instskip(NEXT) | instid1(VALU_DEP_1)
	v_add_f32_e32 v11, 0, v10
	v_and_b32_e32 v10, 0x7f800000, v11
	s_delay_alu instid0(VALU_DEP_1) | instskip(SKIP_1) | instid1(SALU_CYCLE_1)
	v_cmp_ne_u32_e64 s7, 0x7f800000, v10
                                        ; implicit-def: $vgpr10
	s_and_saveexec_b32 s11, s7
	s_xor_b32 s7, exec_lo, s11
; %bb.333:
	v_bfe_u32 v10, v11, 16, 1
	s_delay_alu instid0(VALU_DEP_1)
	v_add3_u32 v10, v11, v10, 0x7fff
                                        ; implicit-def: $vgpr11
; %bb.334:
	s_and_not1_saveexec_b32 s11, s7
; %bb.335:
	v_and_b32_e32 v10, 0xffff, v11
	v_or_b32_e32 v12, 0x10000, v11
	s_delay_alu instid0(VALU_DEP_2) | instskip(NEXT) | instid1(VALU_DEP_1)
	v_cmp_eq_u32_e64 s7, 0, v10
	v_cndmask_b32_e64 v10, v12, v11, s7
; %bb.336:
	s_or_b32 exec_lo, exec_lo, s11
	v_lshlrev_b32_e32 v11, 16, v34
	s_delay_alu instid0(VALU_DEP_1) | instskip(NEXT) | instid1(VALU_DEP_1)
	v_add_f32_e32 v12, 0, v11
	v_and_b32_e32 v11, 0x7f800000, v12
	s_delay_alu instid0(VALU_DEP_1) | instskip(SKIP_1) | instid1(SALU_CYCLE_1)
	v_cmp_ne_u32_e64 s7, 0x7f800000, v11
                                        ; implicit-def: $vgpr11
	s_and_saveexec_b32 s11, s7
	s_xor_b32 s7, exec_lo, s11
; %bb.337:
	v_bfe_u32 v11, v12, 16, 1
	s_delay_alu instid0(VALU_DEP_1)
	v_add3_u32 v11, v12, v11, 0x7fff
                                        ; implicit-def: $vgpr12
; %bb.338:
	s_and_not1_saveexec_b32 s11, s7
; %bb.339:
	v_and_b32_e32 v11, 0xffff, v12
	v_or_b32_e32 v13, 0x10000, v12
	s_delay_alu instid0(VALU_DEP_2) | instskip(NEXT) | instid1(VALU_DEP_1)
	v_cmp_eq_u32_e64 s7, 0, v11
	v_cndmask_b32_e64 v11, v13, v12, s7
; %bb.340:
	s_or_b32 exec_lo, exec_lo, s11
	v_cmp_lt_i32_e64 s7, -1, v10
	s_delay_alu instid0(VALU_DEP_2) | instskip(SKIP_3) | instid1(VALU_DEP_1)
	v_perm_b32 v10, v11, v10, 0x7060302
	s_and_not1_b32 s10, s10, exec_lo
	v_cndmask_b32_e64 v12, -1, 0xffff8000, s7
	v_cmp_lt_i32_e64 s7, -1, v11
	v_cndmask_b32_e64 v13, -1, 0xffff8000, s7
	s_delay_alu instid0(VALU_DEP_1) | instskip(NEXT) | instid1(VALU_DEP_1)
	v_perm_b32 v11, v13, v12, 0x5040100
	v_xor_b32_e32 v10, v11, v10
	s_delay_alu instid0(VALU_DEP_1) | instskip(NEXT) | instid1(VALU_DEP_1)
	v_lshrrev_b32_e32 v11, 16, v10
	v_cmp_le_u16_e64 s7, v10, v11
	s_and_b32 s7, s7, exec_lo
	s_delay_alu instid0(SALU_CYCLE_1)
	s_or_b32 s10, s10, s7
.LBB1946_341:
	s_or_b32 exec_lo, exec_lo, s8
	v_cndmask_b32_e64 v10, v55, v54, s10
	s_mov_b32 s11, -1
	s_mov_b32 s8, -1
	s_mov_b32 s12, exec_lo
	s_delay_alu instid0(VALU_DEP_1) | instskip(NEXT) | instid1(VALU_DEP_1)
	v_add_nc_u32_e32 v12, 1, v10
	v_dual_cndmask_b32 v11, v51, v50, s10 :: v_dual_cndmask_b32 v15, v54, v12, s10
	s_delay_alu instid0(VALU_DEP_1) | instskip(NEXT) | instid1(VALU_DEP_1)
	v_add_min_u32_e64 v11, v11, -1, v12
	v_lshl_add_u32 v11, v11, 1, v5
	ds_load_u16 v13, v11
	s_wait_dscnt 0x0
	v_cndmask_b32_e64 v37, v13, v35, s10
	v_cndmask_b32_e64 v14, v12, v55, s10
	v_lshl_add_u32 v10, v10, 3, v1
	v_cndmask_b32_e64 v52, v34, v13, s10
	ds_load_b64 v[10:11], v10 offset:4096
	v_cmpx_lt_u32_e64 v14, v51
	s_cbranch_execz .LBB1946_353
; %bb.342:
	s_mov_b32 s13, 0
	s_mov_b32 s8, exec_lo
	v_cmpx_lt_u32_e64 v15, v50
	s_cbranch_execz .LBB1946_352
; %bb.343:
	v_lshlrev_b32_e32 v12, 16, v37
	s_delay_alu instid0(VALU_DEP_1) | instskip(NEXT) | instid1(VALU_DEP_1)
	v_add_f32_e32 v13, 0, v12
	v_and_b32_e32 v12, 0x7f800000, v13
	s_delay_alu instid0(VALU_DEP_1) | instskip(SKIP_1) | instid1(SALU_CYCLE_1)
	v_cmp_ne_u32_e64 s7, 0x7f800000, v12
                                        ; implicit-def: $vgpr12
	s_and_saveexec_b32 s13, s7
	s_xor_b32 s7, exec_lo, s13
; %bb.344:
	v_bfe_u32 v12, v13, 16, 1
	s_delay_alu instid0(VALU_DEP_1)
	v_add3_u32 v12, v13, v12, 0x7fff
                                        ; implicit-def: $vgpr13
; %bb.345:
	s_and_not1_saveexec_b32 s13, s7
; %bb.346:
	v_and_b32_e32 v12, 0xffff, v13
	v_or_b32_e32 v16, 0x10000, v13
	s_delay_alu instid0(VALU_DEP_2) | instskip(NEXT) | instid1(VALU_DEP_1)
	v_cmp_eq_u32_e64 s7, 0, v12
	v_cndmask_b32_e64 v12, v16, v13, s7
; %bb.347:
	s_or_b32 exec_lo, exec_lo, s13
	v_lshlrev_b32_e32 v13, 16, v52
	s_delay_alu instid0(VALU_DEP_1) | instskip(NEXT) | instid1(VALU_DEP_1)
	v_add_f32_e32 v16, 0, v13
	v_and_b32_e32 v13, 0x7f800000, v16
	s_delay_alu instid0(VALU_DEP_1) | instskip(SKIP_1) | instid1(SALU_CYCLE_1)
	v_cmp_ne_u32_e64 s7, 0x7f800000, v13
                                        ; implicit-def: $vgpr13
	s_and_saveexec_b32 s13, s7
	s_xor_b32 s7, exec_lo, s13
; %bb.348:
	v_bfe_u32 v13, v16, 16, 1
	s_delay_alu instid0(VALU_DEP_1)
	v_add3_u32 v13, v16, v13, 0x7fff
                                        ; implicit-def: $vgpr16
; %bb.349:
	s_and_not1_saveexec_b32 s13, s7
; %bb.350:
	v_and_b32_e32 v13, 0xffff, v16
	v_or_b32_e32 v17, 0x10000, v16
	s_delay_alu instid0(VALU_DEP_2) | instskip(NEXT) | instid1(VALU_DEP_1)
	v_cmp_eq_u32_e64 s7, 0, v13
	v_cndmask_b32_e64 v13, v17, v16, s7
; %bb.351:
	s_or_b32 exec_lo, exec_lo, s13
	v_cmp_lt_i32_e64 s7, -1, v12
	s_delay_alu instid0(VALU_DEP_2) | instskip(NEXT) | instid1(VALU_DEP_2)
	v_perm_b32 v12, v13, v12, 0x7060302
	v_cndmask_b32_e64 v16, -1, 0xffff8000, s7
	v_cmp_lt_i32_e64 s7, -1, v13
	s_delay_alu instid0(VALU_DEP_1) | instskip(NEXT) | instid1(VALU_DEP_1)
	v_cndmask_b32_e64 v17, -1, 0xffff8000, s7
	v_perm_b32 v13, v17, v16, 0x5040100
	s_delay_alu instid0(VALU_DEP_1) | instskip(NEXT) | instid1(VALU_DEP_1)
	v_xor_b32_e32 v12, v13, v12
	v_lshrrev_b32_e32 v13, 16, v12
	s_delay_alu instid0(VALU_DEP_1)
	v_cmp_le_u16_e64 s7, v12, v13
	s_and_b32 s13, s7, exec_lo
.LBB1946_352:
	s_or_b32 exec_lo, exec_lo, s8
	s_delay_alu instid0(SALU_CYCLE_1)
	s_or_not1_b32 s8, s13, exec_lo
.LBB1946_353:
	s_or_b32 exec_lo, exec_lo, s12
	v_dual_cndmask_b32 v12, v14, v15, s8 :: v_dual_cndmask_b32 v13, v51, v50, s8
	s_mov_b32 s12, exec_lo
	s_delay_alu instid0(VALU_DEP_1) | instskip(SKIP_1) | instid1(VALU_DEP_2)
	v_add_nc_u32_e32 v17, 1, v12
	v_lshl_add_u32 v12, v12, 3, v1
	v_add_min_u32_e64 v13, v13, -1, v17
	s_delay_alu instid0(VALU_DEP_1)
	v_lshl_add_u32 v13, v13, 1, v5
	ds_load_u16 v18, v13
	ds_load_b64 v[12:13], v12 offset:4096
	s_wait_dscnt 0x1
	v_dual_cndmask_b32 v38, v18, v37, s8 :: v_dual_cndmask_b32 v16, v17, v14, s8
	v_dual_cndmask_b32 v17, v15, v17, s8 :: v_dual_cndmask_b32 v53, v52, v18, s8
	s_delay_alu instid0(VALU_DEP_2)
	v_cmpx_lt_u32_e64 v16, v51
	s_cbranch_execz .LBB1946_365
; %bb.354:
	s_mov_b32 s13, 0
	s_mov_b32 s11, exec_lo
	v_cmpx_lt_u32_e64 v17, v50
	s_cbranch_execz .LBB1946_364
; %bb.355:
	v_lshlrev_b32_e32 v14, 16, v38
	s_delay_alu instid0(VALU_DEP_1) | instskip(NEXT) | instid1(VALU_DEP_1)
	v_add_f32_e32 v15, 0, v14
	v_and_b32_e32 v14, 0x7f800000, v15
	s_delay_alu instid0(VALU_DEP_1) | instskip(SKIP_1) | instid1(SALU_CYCLE_1)
	v_cmp_ne_u32_e64 s7, 0x7f800000, v14
                                        ; implicit-def: $vgpr14
	s_and_saveexec_b32 s13, s7
	s_xor_b32 s7, exec_lo, s13
; %bb.356:
	v_bfe_u32 v14, v15, 16, 1
	s_delay_alu instid0(VALU_DEP_1)
	v_add3_u32 v14, v15, v14, 0x7fff
                                        ; implicit-def: $vgpr15
; %bb.357:
	s_and_not1_saveexec_b32 s13, s7
; %bb.358:
	v_and_b32_e32 v14, 0xffff, v15
	v_or_b32_e32 v18, 0x10000, v15
	s_delay_alu instid0(VALU_DEP_2) | instskip(NEXT) | instid1(VALU_DEP_1)
	v_cmp_eq_u32_e64 s7, 0, v14
	v_cndmask_b32_e64 v14, v18, v15, s7
; %bb.359:
	s_or_b32 exec_lo, exec_lo, s13
	v_lshlrev_b32_e32 v15, 16, v53
	s_delay_alu instid0(VALU_DEP_1) | instskip(NEXT) | instid1(VALU_DEP_1)
	v_add_f32_e32 v18, 0, v15
	v_and_b32_e32 v15, 0x7f800000, v18
	s_delay_alu instid0(VALU_DEP_1) | instskip(SKIP_1) | instid1(SALU_CYCLE_1)
	v_cmp_ne_u32_e64 s7, 0x7f800000, v15
                                        ; implicit-def: $vgpr15
	s_and_saveexec_b32 s13, s7
	s_xor_b32 s7, exec_lo, s13
; %bb.360:
	v_bfe_u32 v15, v18, 16, 1
	s_delay_alu instid0(VALU_DEP_1)
	v_add3_u32 v15, v18, v15, 0x7fff
                                        ; implicit-def: $vgpr18
; %bb.361:
	s_and_not1_saveexec_b32 s13, s7
; %bb.362:
	v_and_b32_e32 v15, 0xffff, v18
	v_or_b32_e32 v19, 0x10000, v18
	s_delay_alu instid0(VALU_DEP_2) | instskip(NEXT) | instid1(VALU_DEP_1)
	v_cmp_eq_u32_e64 s7, 0, v15
	v_cndmask_b32_e64 v15, v19, v18, s7
; %bb.363:
	s_or_b32 exec_lo, exec_lo, s13
	v_cmp_lt_i32_e64 s7, -1, v14
	s_delay_alu instid0(VALU_DEP_2) | instskip(NEXT) | instid1(VALU_DEP_2)
	v_perm_b32 v14, v15, v14, 0x7060302
	v_cndmask_b32_e64 v18, -1, 0xffff8000, s7
	v_cmp_lt_i32_e64 s7, -1, v15
	s_delay_alu instid0(VALU_DEP_1) | instskip(NEXT) | instid1(VALU_DEP_1)
	v_cndmask_b32_e64 v19, -1, 0xffff8000, s7
	v_perm_b32 v15, v19, v18, 0x5040100
	s_delay_alu instid0(VALU_DEP_1) | instskip(NEXT) | instid1(VALU_DEP_1)
	v_xor_b32_e32 v14, v15, v14
	v_lshrrev_b32_e32 v15, 16, v14
	s_delay_alu instid0(VALU_DEP_1)
	v_cmp_le_u16_e64 s7, v14, v15
	s_and_b32 s13, s7, exec_lo
.LBB1946_364:
	s_or_b32 exec_lo, exec_lo, s11
	s_delay_alu instid0(SALU_CYCLE_1)
	s_or_not1_b32 s11, s13, exec_lo
.LBB1946_365:
	s_or_b32 exec_lo, exec_lo, s12
	s_delay_alu instid0(VALU_DEP_2) | instskip(SKIP_3) | instid1(VALU_DEP_1)
	v_dual_cndmask_b32 v14, v16, v17, s11 :: v_dual_cndmask_b32 v15, v51, v50, s11
	s_mov_b32 s13, -1
	s_mov_b32 s12, -1
	s_mov_b32 s14, exec_lo
	v_add_nc_u32_e32 v19, 1, v14
	v_lshl_add_u32 v14, v14, 3, v1
	s_delay_alu instid0(VALU_DEP_2) | instskip(NEXT) | instid1(VALU_DEP_1)
	v_add_min_u32_e64 v15, v15, -1, v19
	v_lshl_add_u32 v15, v15, 1, v5
	ds_load_u16 v20, v15
	ds_load_b64 v[14:15], v14 offset:4096
	s_wait_dscnt 0x1
	v_dual_cndmask_b32 v49, v20, v38, s11 :: v_dual_cndmask_b32 v54, v53, v20, s11
	v_dual_cndmask_b32 v18, v19, v16, s11 :: v_dual_cndmask_b32 v19, v17, v19, s11
	s_delay_alu instid0(VALU_DEP_1)
	v_cmpx_lt_u32_e64 v18, v51
	s_cbranch_execz .LBB1946_377
; %bb.366:
	s_mov_b32 s15, 0
	s_mov_b32 s12, exec_lo
	v_cmpx_lt_u32_e64 v19, v50
	s_cbranch_execz .LBB1946_376
; %bb.367:
	v_lshlrev_b32_e32 v16, 16, v49
	s_delay_alu instid0(VALU_DEP_1) | instskip(NEXT) | instid1(VALU_DEP_1)
	v_add_f32_e32 v17, 0, v16
	v_and_b32_e32 v16, 0x7f800000, v17
	s_delay_alu instid0(VALU_DEP_1) | instskip(SKIP_1) | instid1(SALU_CYCLE_1)
	v_cmp_ne_u32_e64 s7, 0x7f800000, v16
                                        ; implicit-def: $vgpr16
	s_and_saveexec_b32 s15, s7
	s_xor_b32 s7, exec_lo, s15
; %bb.368:
	v_bfe_u32 v16, v17, 16, 1
	s_delay_alu instid0(VALU_DEP_1)
	v_add3_u32 v16, v17, v16, 0x7fff
                                        ; implicit-def: $vgpr17
; %bb.369:
	s_and_not1_saveexec_b32 s15, s7
; %bb.370:
	v_and_b32_e32 v16, 0xffff, v17
	v_or_b32_e32 v20, 0x10000, v17
	s_delay_alu instid0(VALU_DEP_2) | instskip(NEXT) | instid1(VALU_DEP_1)
	v_cmp_eq_u32_e64 s7, 0, v16
	v_cndmask_b32_e64 v16, v20, v17, s7
; %bb.371:
	s_or_b32 exec_lo, exec_lo, s15
	v_lshlrev_b32_e32 v17, 16, v54
	s_delay_alu instid0(VALU_DEP_1) | instskip(NEXT) | instid1(VALU_DEP_1)
	v_add_f32_e32 v20, 0, v17
	v_and_b32_e32 v17, 0x7f800000, v20
	s_delay_alu instid0(VALU_DEP_1) | instskip(SKIP_1) | instid1(SALU_CYCLE_1)
	v_cmp_ne_u32_e64 s7, 0x7f800000, v17
                                        ; implicit-def: $vgpr17
	s_and_saveexec_b32 s15, s7
	s_xor_b32 s7, exec_lo, s15
; %bb.372:
	v_bfe_u32 v17, v20, 16, 1
	s_delay_alu instid0(VALU_DEP_1)
	v_add3_u32 v17, v20, v17, 0x7fff
                                        ; implicit-def: $vgpr20
; %bb.373:
	s_and_not1_saveexec_b32 s15, s7
; %bb.374:
	v_and_b32_e32 v17, 0xffff, v20
	v_or_b32_e32 v21, 0x10000, v20
	s_delay_alu instid0(VALU_DEP_2) | instskip(NEXT) | instid1(VALU_DEP_1)
	v_cmp_eq_u32_e64 s7, 0, v17
	v_cndmask_b32_e64 v17, v21, v20, s7
; %bb.375:
	s_or_b32 exec_lo, exec_lo, s15
	v_cmp_lt_i32_e64 s7, -1, v16
	s_delay_alu instid0(VALU_DEP_2) | instskip(NEXT) | instid1(VALU_DEP_2)
	v_perm_b32 v16, v17, v16, 0x7060302
	v_cndmask_b32_e64 v20, -1, 0xffff8000, s7
	v_cmp_lt_i32_e64 s7, -1, v17
	s_delay_alu instid0(VALU_DEP_1) | instskip(NEXT) | instid1(VALU_DEP_1)
	v_cndmask_b32_e64 v21, -1, 0xffff8000, s7
	v_perm_b32 v17, v21, v20, 0x5040100
	s_delay_alu instid0(VALU_DEP_1) | instskip(NEXT) | instid1(VALU_DEP_1)
	v_xor_b32_e32 v16, v17, v16
	v_lshrrev_b32_e32 v17, 16, v16
	s_delay_alu instid0(VALU_DEP_1)
	v_cmp_le_u16_e64 s7, v16, v17
	s_and_b32 s15, s7, exec_lo
.LBB1946_376:
	s_or_b32 exec_lo, exec_lo, s12
	s_delay_alu instid0(SALU_CYCLE_1)
	s_or_not1_b32 s12, s15, exec_lo
.LBB1946_377:
	s_or_b32 exec_lo, exec_lo, s14
	s_delay_alu instid0(VALU_DEP_2) | instskip(SKIP_1) | instid1(VALU_DEP_1)
	v_dual_cndmask_b32 v16, v18, v19, s12 :: v_dual_cndmask_b32 v17, v51, v50, s12
	s_mov_b32 s14, exec_lo
	v_add_nc_u32_e32 v21, 1, v16
	v_lshl_add_u32 v16, v16, 3, v1
	s_delay_alu instid0(VALU_DEP_2) | instskip(NEXT) | instid1(VALU_DEP_1)
	v_add_min_u32_e64 v17, v17, -1, v21
	v_lshl_add_u32 v17, v17, 1, v5
	ds_load_u16 v22, v17
	ds_load_b64 v[16:17], v16 offset:4096
	s_wait_dscnt 0x1
	v_dual_cndmask_b32 v39, v22, v49, s12 :: v_dual_cndmask_b32 v20, v21, v18, s12
	v_dual_cndmask_b32 v21, v19, v21, s12 :: v_dual_cndmask_b32 v55, v54, v22, s12
	s_delay_alu instid0(VALU_DEP_2)
	v_cmpx_lt_u32_e64 v20, v51
	s_cbranch_execz .LBB1946_389
; %bb.378:
	s_mov_b32 s15, 0
	s_mov_b32 s13, exec_lo
	v_cmpx_lt_u32_e64 v21, v50
	s_cbranch_execz .LBB1946_388
; %bb.379:
	v_lshlrev_b32_e32 v18, 16, v39
	s_delay_alu instid0(VALU_DEP_1) | instskip(NEXT) | instid1(VALU_DEP_1)
	v_add_f32_e32 v19, 0, v18
	v_and_b32_e32 v18, 0x7f800000, v19
	s_delay_alu instid0(VALU_DEP_1) | instskip(SKIP_1) | instid1(SALU_CYCLE_1)
	v_cmp_ne_u32_e64 s7, 0x7f800000, v18
                                        ; implicit-def: $vgpr18
	s_and_saveexec_b32 s15, s7
	s_xor_b32 s7, exec_lo, s15
; %bb.380:
	v_bfe_u32 v18, v19, 16, 1
	s_delay_alu instid0(VALU_DEP_1)
	v_add3_u32 v18, v19, v18, 0x7fff
                                        ; implicit-def: $vgpr19
; %bb.381:
	s_and_not1_saveexec_b32 s15, s7
; %bb.382:
	v_and_b32_e32 v18, 0xffff, v19
	v_or_b32_e32 v22, 0x10000, v19
	s_delay_alu instid0(VALU_DEP_2) | instskip(NEXT) | instid1(VALU_DEP_1)
	v_cmp_eq_u32_e64 s7, 0, v18
	v_cndmask_b32_e64 v18, v22, v19, s7
; %bb.383:
	s_or_b32 exec_lo, exec_lo, s15
	v_lshlrev_b32_e32 v19, 16, v55
	s_delay_alu instid0(VALU_DEP_1) | instskip(NEXT) | instid1(VALU_DEP_1)
	v_add_f32_e32 v22, 0, v19
	v_and_b32_e32 v19, 0x7f800000, v22
	s_delay_alu instid0(VALU_DEP_1) | instskip(SKIP_1) | instid1(SALU_CYCLE_1)
	v_cmp_ne_u32_e64 s7, 0x7f800000, v19
                                        ; implicit-def: $vgpr19
	s_and_saveexec_b32 s15, s7
	s_xor_b32 s7, exec_lo, s15
; %bb.384:
	v_bfe_u32 v19, v22, 16, 1
	s_delay_alu instid0(VALU_DEP_1)
	v_add3_u32 v19, v22, v19, 0x7fff
                                        ; implicit-def: $vgpr22
; %bb.385:
	s_and_not1_saveexec_b32 s15, s7
; %bb.386:
	v_and_b32_e32 v19, 0xffff, v22
	v_or_b32_e32 v23, 0x10000, v22
	s_delay_alu instid0(VALU_DEP_2) | instskip(NEXT) | instid1(VALU_DEP_1)
	v_cmp_eq_u32_e64 s7, 0, v19
	v_cndmask_b32_e64 v19, v23, v22, s7
; %bb.387:
	s_or_b32 exec_lo, exec_lo, s15
	v_cmp_lt_i32_e64 s7, -1, v18
	s_delay_alu instid0(VALU_DEP_2) | instskip(NEXT) | instid1(VALU_DEP_2)
	v_perm_b32 v18, v19, v18, 0x7060302
	v_cndmask_b32_e64 v22, -1, 0xffff8000, s7
	v_cmp_lt_i32_e64 s7, -1, v19
	s_delay_alu instid0(VALU_DEP_1) | instskip(NEXT) | instid1(VALU_DEP_1)
	v_cndmask_b32_e64 v23, -1, 0xffff8000, s7
	v_perm_b32 v19, v23, v22, 0x5040100
	s_delay_alu instid0(VALU_DEP_1) | instskip(NEXT) | instid1(VALU_DEP_1)
	v_xor_b32_e32 v18, v19, v18
	v_lshrrev_b32_e32 v19, 16, v18
	s_delay_alu instid0(VALU_DEP_1)
	v_cmp_le_u16_e64 s7, v18, v19
	s_and_b32 s15, s7, exec_lo
.LBB1946_388:
	s_or_b32 exec_lo, exec_lo, s13
	s_delay_alu instid0(SALU_CYCLE_1)
	s_or_not1_b32 s13, s15, exec_lo
.LBB1946_389:
	s_or_b32 exec_lo, exec_lo, s14
	s_delay_alu instid0(VALU_DEP_2) | instskip(SKIP_3) | instid1(VALU_DEP_1)
	v_dual_cndmask_b32 v18, v20, v21, s13 :: v_dual_cndmask_b32 v19, v51, v50, s13
	s_mov_b32 s15, -1
	s_mov_b32 s14, -1
	s_mov_b32 s16, exec_lo
	v_add_nc_u32_e32 v22, 1, v18
	v_lshl_add_u32 v18, v18, 3, v1
	s_delay_alu instid0(VALU_DEP_2) | instskip(NEXT) | instid1(VALU_DEP_1)
	v_add_min_u32_e64 v19, v19, -1, v22
	v_lshl_add_u32 v19, v19, 1, v5
	ds_load_u16 v23, v19
	ds_load_b64 v[18:19], v18 offset:4096
	s_wait_dscnt 0x1
	v_dual_cndmask_b32 v36, v23, v39, s13 :: v_dual_cndmask_b32 v20, v22, v20, s13
	v_dual_cndmask_b32 v21, v21, v22, s13 :: v_dual_cndmask_b32 v64, v55, v23, s13
	s_delay_alu instid0(VALU_DEP_2)
	v_cmpx_lt_u32_e64 v20, v51
	s_cbranch_execz .LBB1946_401
; %bb.390:
	s_mov_b32 s17, 0
	s_mov_b32 s14, exec_lo
	v_cmpx_lt_u32_e64 v21, v50
	s_cbranch_execz .LBB1946_400
; %bb.391:
	v_lshlrev_b32_e32 v22, 16, v36
	s_delay_alu instid0(VALU_DEP_1) | instskip(NEXT) | instid1(VALU_DEP_1)
	v_add_f32_e32 v23, 0, v22
	v_and_b32_e32 v22, 0x7f800000, v23
	s_delay_alu instid0(VALU_DEP_1) | instskip(SKIP_1) | instid1(SALU_CYCLE_1)
	v_cmp_ne_u32_e64 s7, 0x7f800000, v22
                                        ; implicit-def: $vgpr22
	s_and_saveexec_b32 s17, s7
	s_xor_b32 s7, exec_lo, s17
; %bb.392:
	v_bfe_u32 v22, v23, 16, 1
	s_delay_alu instid0(VALU_DEP_1)
	v_add3_u32 v22, v23, v22, 0x7fff
                                        ; implicit-def: $vgpr23
; %bb.393:
	s_and_not1_saveexec_b32 s17, s7
; %bb.394:
	v_and_b32_e32 v22, 0xffff, v23
	v_or_b32_e32 v24, 0x10000, v23
	s_delay_alu instid0(VALU_DEP_2) | instskip(NEXT) | instid1(VALU_DEP_1)
	v_cmp_eq_u32_e64 s7, 0, v22
	v_cndmask_b32_e64 v22, v24, v23, s7
; %bb.395:
	s_or_b32 exec_lo, exec_lo, s17
	v_lshlrev_b32_e32 v23, 16, v64
	s_delay_alu instid0(VALU_DEP_1) | instskip(NEXT) | instid1(VALU_DEP_1)
	v_add_f32_e32 v24, 0, v23
	v_and_b32_e32 v23, 0x7f800000, v24
	s_delay_alu instid0(VALU_DEP_1) | instskip(SKIP_1) | instid1(SALU_CYCLE_1)
	v_cmp_ne_u32_e64 s7, 0x7f800000, v23
                                        ; implicit-def: $vgpr23
	s_and_saveexec_b32 s17, s7
	s_xor_b32 s7, exec_lo, s17
; %bb.396:
	v_bfe_u32 v23, v24, 16, 1
	s_delay_alu instid0(VALU_DEP_1)
	v_add3_u32 v23, v24, v23, 0x7fff
                                        ; implicit-def: $vgpr24
; %bb.397:
	s_and_not1_saveexec_b32 s17, s7
; %bb.398:
	v_and_b32_e32 v23, 0xffff, v24
	v_or_b32_e32 v25, 0x10000, v24
	s_delay_alu instid0(VALU_DEP_2) | instskip(NEXT) | instid1(VALU_DEP_1)
	v_cmp_eq_u32_e64 s7, 0, v23
	v_cndmask_b32_e64 v23, v25, v24, s7
; %bb.399:
	s_or_b32 exec_lo, exec_lo, s17
	v_cmp_lt_i32_e64 s7, -1, v22
	s_delay_alu instid0(VALU_DEP_2) | instskip(NEXT) | instid1(VALU_DEP_2)
	v_perm_b32 v22, v23, v22, 0x7060302
	v_cndmask_b32_e64 v24, -1, 0xffff8000, s7
	v_cmp_lt_i32_e64 s7, -1, v23
	s_delay_alu instid0(VALU_DEP_1) | instskip(NEXT) | instid1(VALU_DEP_1)
	v_cndmask_b32_e64 v25, -1, 0xffff8000, s7
	v_perm_b32 v23, v25, v24, 0x5040100
	s_delay_alu instid0(VALU_DEP_1) | instskip(NEXT) | instid1(VALU_DEP_1)
	v_xor_b32_e32 v22, v23, v22
	v_lshrrev_b32_e32 v23, 16, v22
	s_delay_alu instid0(VALU_DEP_1)
	v_cmp_le_u16_e64 s7, v22, v23
	s_and_b32 s17, s7, exec_lo
.LBB1946_400:
	s_or_b32 exec_lo, exec_lo, s14
	s_delay_alu instid0(SALU_CYCLE_1)
	s_or_not1_b32 s14, s17, exec_lo
.LBB1946_401:
	s_or_b32 exec_lo, exec_lo, s16
	s_delay_alu instid0(VALU_DEP_2) | instskip(SKIP_1) | instid1(VALU_DEP_1)
	v_dual_cndmask_b32 v22, v20, v21, s14 :: v_dual_cndmask_b32 v23, v51, v50, s14
	s_mov_b32 s16, exec_lo
	v_add_nc_u32_e32 v25, 1, v22
	v_lshl_add_u32 v22, v22, 3, v1
	s_delay_alu instid0(VALU_DEP_2) | instskip(NEXT) | instid1(VALU_DEP_1)
	v_add_min_u32_e64 v23, v23, -1, v25
	v_lshl_add_u32 v23, v23, 1, v5
	ds_load_u16 v65, v23
	ds_load_b64 v[22:23], v22 offset:4096
	s_wait_dscnt 0x1
	v_cndmask_b32_e64 v48, v65, v36, s14
	v_dual_cndmask_b32 v24, v25, v20, s14 :: v_dual_cndmask_b32 v65, v64, v65, s14
	v_cndmask_b32_e64 v25, v21, v25, s14
	s_delay_alu instid0(VALU_DEP_2)
	v_cmpx_lt_u32_e64 v24, v51
	s_cbranch_execz .LBB1946_413
; %bb.402:
	s_mov_b32 s17, 0
	s_mov_b32 s15, exec_lo
	v_cmpx_lt_u32_e64 v25, v50
	s_cbranch_execz .LBB1946_412
; %bb.403:
	v_lshlrev_b32_e32 v20, 16, v48
	s_delay_alu instid0(VALU_DEP_1) | instskip(NEXT) | instid1(VALU_DEP_1)
	v_add_f32_e32 v21, 0, v20
	v_and_b32_e32 v20, 0x7f800000, v21
	s_delay_alu instid0(VALU_DEP_1) | instskip(SKIP_1) | instid1(SALU_CYCLE_1)
	v_cmp_ne_u32_e64 s7, 0x7f800000, v20
                                        ; implicit-def: $vgpr20
	s_and_saveexec_b32 s17, s7
	s_xor_b32 s7, exec_lo, s17
; %bb.404:
	v_bfe_u32 v20, v21, 16, 1
	s_delay_alu instid0(VALU_DEP_1)
	v_add3_u32 v20, v21, v20, 0x7fff
                                        ; implicit-def: $vgpr21
; %bb.405:
	s_and_not1_saveexec_b32 s17, s7
; %bb.406:
	v_and_b32_e32 v20, 0xffff, v21
	v_or_b32_e32 v66, 0x10000, v21
	s_delay_alu instid0(VALU_DEP_2) | instskip(NEXT) | instid1(VALU_DEP_1)
	v_cmp_eq_u32_e64 s7, 0, v20
	v_cndmask_b32_e64 v20, v66, v21, s7
; %bb.407:
	s_or_b32 exec_lo, exec_lo, s17
	v_lshlrev_b32_e32 v21, 16, v65
	s_delay_alu instid0(VALU_DEP_1) | instskip(NEXT) | instid1(VALU_DEP_1)
	v_add_f32_e32 v66, 0, v21
	v_and_b32_e32 v21, 0x7f800000, v66
	s_delay_alu instid0(VALU_DEP_1) | instskip(SKIP_1) | instid1(SALU_CYCLE_1)
	v_cmp_ne_u32_e64 s7, 0x7f800000, v21
                                        ; implicit-def: $vgpr21
	s_and_saveexec_b32 s17, s7
	s_xor_b32 s7, exec_lo, s17
; %bb.408:
	v_bfe_u32 v21, v66, 16, 1
	s_delay_alu instid0(VALU_DEP_1)
	v_add3_u32 v21, v66, v21, 0x7fff
                                        ; implicit-def: $vgpr66
; %bb.409:
	s_and_not1_saveexec_b32 s17, s7
; %bb.410:
	v_and_b32_e32 v21, 0xffff, v66
	v_or_b32_e32 v67, 0x10000, v66
	s_delay_alu instid0(VALU_DEP_2) | instskip(NEXT) | instid1(VALU_DEP_1)
	v_cmp_eq_u32_e64 s7, 0, v21
	v_cndmask_b32_e64 v21, v67, v66, s7
; %bb.411:
	s_or_b32 exec_lo, exec_lo, s17
	v_cmp_lt_i32_e64 s7, -1, v20
	s_delay_alu instid0(VALU_DEP_2) | instskip(NEXT) | instid1(VALU_DEP_2)
	v_perm_b32 v20, v21, v20, 0x7060302
	v_cndmask_b32_e64 v66, -1, 0xffff8000, s7
	v_cmp_lt_i32_e64 s7, -1, v21
	s_delay_alu instid0(VALU_DEP_1) | instskip(NEXT) | instid1(VALU_DEP_1)
	v_cndmask_b32_e64 v67, -1, 0xffff8000, s7
	v_perm_b32 v21, v67, v66, 0x5040100
	s_delay_alu instid0(VALU_DEP_1) | instskip(NEXT) | instid1(VALU_DEP_1)
	v_xor_b32_e32 v20, v21, v20
	v_lshrrev_b32_e32 v21, 16, v20
	s_delay_alu instid0(VALU_DEP_1)
	v_cmp_le_u16_e64 s7, v20, v21
	s_and_b32 s17, s7, exec_lo
.LBB1946_412:
	s_or_b32 exec_lo, exec_lo, s15
	s_delay_alu instid0(SALU_CYCLE_1)
	s_or_not1_b32 s15, s17, exec_lo
.LBB1946_413:
	s_or_b32 exec_lo, exec_lo, s16
	s_delay_alu instid0(VALU_DEP_2) | instskip(SKIP_2) | instid1(VALU_DEP_1)
	v_dual_cndmask_b32 v20, v24, v25, s15 :: v_dual_cndmask_b32 v21, v51, v50, s15
	s_mov_b32 s17, -1
	s_mov_b32 s16, exec_lo
	v_add_nc_u32_e32 v66, 1, v20
	v_lshl_add_u32 v20, v20, 3, v1
	s_delay_alu instid0(VALU_DEP_2) | instskip(SKIP_1) | instid1(VALU_DEP_2)
	v_add_min_u32_e64 v21, v21, -1, v66
	v_dual_cndmask_b32 v24, v66, v24, s15 :: v_dual_cndmask_b32 v25, v25, v66, s15
	v_lshl_add_u32 v21, v21, 1, v5
	ds_load_u16 v67, v21
	ds_load_b64 v[20:21], v20 offset:4096
	s_wait_dscnt 0x1
	v_dual_cndmask_b32 v66, v67, v48, s15 :: v_dual_cndmask_b32 v67, v65, v67, s15
	v_cmpx_lt_u32_e64 v24, v51
	s_cbranch_execz .LBB1946_425
; %bb.414:
	s_mov_b32 s18, 0
	s_mov_b32 s17, exec_lo
	v_cmpx_lt_u32_e64 v25, v50
	s_cbranch_execz .LBB1946_424
; %bb.415:
	v_lshlrev_b32_e32 v50, 16, v66
	s_delay_alu instid0(VALU_DEP_1) | instskip(NEXT) | instid1(VALU_DEP_1)
	v_add_f32_e32 v51, 0, v50
	v_and_b32_e32 v50, 0x7f800000, v51
	s_delay_alu instid0(VALU_DEP_1) | instskip(SKIP_1) | instid1(SALU_CYCLE_1)
	v_cmp_ne_u32_e64 s7, 0x7f800000, v50
                                        ; implicit-def: $vgpr50
	s_and_saveexec_b32 s18, s7
	s_xor_b32 s7, exec_lo, s18
; %bb.416:
	v_bfe_u32 v50, v51, 16, 1
	s_delay_alu instid0(VALU_DEP_1)
	v_add3_u32 v50, v51, v50, 0x7fff
                                        ; implicit-def: $vgpr51
; %bb.417:
	s_and_not1_saveexec_b32 s18, s7
; %bb.418:
	v_and_b32_e32 v50, 0xffff, v51
	v_or_b32_e32 v68, 0x10000, v51
	s_delay_alu instid0(VALU_DEP_2) | instskip(NEXT) | instid1(VALU_DEP_1)
	v_cmp_eq_u32_e64 s7, 0, v50
	v_cndmask_b32_e64 v50, v68, v51, s7
; %bb.419:
	s_or_b32 exec_lo, exec_lo, s18
	v_lshlrev_b32_e32 v51, 16, v67
	s_delay_alu instid0(VALU_DEP_1) | instskip(NEXT) | instid1(VALU_DEP_1)
	v_add_f32_e32 v68, 0, v51
	v_and_b32_e32 v51, 0x7f800000, v68
	s_delay_alu instid0(VALU_DEP_1) | instskip(SKIP_1) | instid1(SALU_CYCLE_1)
	v_cmp_ne_u32_e64 s7, 0x7f800000, v51
                                        ; implicit-def: $vgpr51
	s_and_saveexec_b32 s18, s7
	s_xor_b32 s7, exec_lo, s18
; %bb.420:
	v_bfe_u32 v51, v68, 16, 1
	s_delay_alu instid0(VALU_DEP_1)
	v_add3_u32 v51, v68, v51, 0x7fff
                                        ; implicit-def: $vgpr68
; %bb.421:
	s_and_not1_saveexec_b32 s18, s7
; %bb.422:
	v_and_b32_e32 v51, 0xffff, v68
	v_or_b32_e32 v69, 0x10000, v68
	s_delay_alu instid0(VALU_DEP_2) | instskip(NEXT) | instid1(VALU_DEP_1)
	v_cmp_eq_u32_e64 s7, 0, v51
	v_cndmask_b32_e64 v51, v69, v68, s7
; %bb.423:
	s_or_b32 exec_lo, exec_lo, s18
	v_cmp_lt_i32_e64 s7, -1, v50
	s_delay_alu instid0(VALU_DEP_2) | instskip(NEXT) | instid1(VALU_DEP_2)
	v_perm_b32 v50, v51, v50, 0x7060302
	v_cndmask_b32_e64 v68, -1, 0xffff8000, s7
	v_cmp_lt_i32_e64 s7, -1, v51
	s_delay_alu instid0(VALU_DEP_1) | instskip(NEXT) | instid1(VALU_DEP_1)
	v_cndmask_b32_e64 v69, -1, 0xffff8000, s7
	v_perm_b32 v51, v69, v68, 0x5040100
	s_delay_alu instid0(VALU_DEP_1) | instskip(NEXT) | instid1(VALU_DEP_1)
	v_xor_b32_e32 v50, v51, v50
	v_lshrrev_b32_e32 v51, 16, v50
	s_delay_alu instid0(VALU_DEP_1)
	v_cmp_le_u16_e64 s7, v50, v51
	s_and_b32 s18, s7, exec_lo
.LBB1946_424:
	s_or_b32 exec_lo, exec_lo, s17
	s_delay_alu instid0(SALU_CYCLE_1)
	s_or_not1_b32 s17, s18, exec_lo
.LBB1946_425:
	s_or_b32 exec_lo, exec_lo, s16
	v_dual_cndmask_b32 v24, v24, v25, s17 :: v_dual_cndmask_b32 v39, v39, v55, s13
	v_dual_cndmask_b32 v48, v48, v65, s15 :: v_dual_cndmask_b32 v49, v49, v54, s12
	;; [unrolled: 1-line block ×3, first 2 shown]
	s_delay_alu instid0(VALU_DEP_3)
	v_lshl_add_u32 v24, v24, 3, v1
	v_dual_cndmask_b32 v37, v37, v52, s8 :: v_dual_cndmask_b32 v34, v35, v34, s10
	v_cndmask_b32_e64 v35, v66, v67, s17
	ds_load_b64 v[24:25], v24 offset:4096
.LBB1946_426:
	s_or_b32 exec_lo, exec_lo, s9
	v_and_b32_e32 v54, 0xe0, v33
	v_perm_b32 v67, v35, v48, 0x5040100
	v_perm_b32 v66, v36, v39, 0x5040100
	;; [unrolled: 1-line block ×4, first 2 shown]
	v_or_b32_e32 v50, 16, v54
	s_mov_b32 s8, exec_lo
	; wave barrier
	ds_store_2addr_b64 v30, v[14:15], v[16:17] offset1:1
	ds_store_2addr_b64 v31, v[18:19], v[22:23] offset1:1
	v_min_u32_e32 v50, v26, v50
	ds_store_2addr_b64 v29, v[10:11], v[12:13] offset1:1
	ds_store_2addr_b64 v27, v[68:69], v[66:67] offset1:1
	s_wait_dscnt 0x4
	ds_store_2addr_b64 v28, v[20:21], v[24:25] offset1:1
	; wave barrier
	v_add_min_u32_e64 v51, v50, 16, v26
	s_delay_alu instid0(VALU_DEP_1) | instskip(NEXT) | instid1(VALU_DEP_1)
	v_dual_sub_nc_u32 v53, v51, v50 :: v_dual_bitop2_b32 v52, 24, v33 bitop3:0x40
	v_min_u32_e32 v55, v26, v52
	v_sub_nc_u32_e32 v52, v50, v54
	s_delay_alu instid0(VALU_DEP_1) | instskip(NEXT) | instid1(VALU_DEP_4)
	v_min_u32_e32 v64, v55, v52
	v_sub_nc_u32_e64 v52, v55, v53 clamp
	v_lshl_add_u32 v53, v54, 1, v5
	s_delay_alu instid0(VALU_DEP_2)
	v_cmpx_lt_u32_e64 v52, v64
	s_cbranch_execz .LBB1946_438
; %bb.427:
	v_dual_lshlrev_b32 v65, 1, v50 :: v_dual_lshlrev_b32 v66, 1, v55
	s_mov_b32 s9, 0
	s_delay_alu instid0(VALU_DEP_1)
	v_add3_u32 v65, v5, v65, v66
	s_branch .LBB1946_429
.LBB1946_428:                           ;   in Loop: Header=BB1946_429 Depth=1
	s_or_b32 exec_lo, exec_lo, s10
	v_cmp_lt_i32_e64 s7, -1, v67
	s_delay_alu instid0(VALU_DEP_2) | instskip(NEXT) | instid1(VALU_DEP_2)
	v_perm_b32 v67, v68, v67, 0x7060302
	v_cndmask_b32_e64 v69, -1, 0xffff8000, s7
	v_cmp_lt_i32_e64 s7, -1, v68
	s_delay_alu instid0(VALU_DEP_1) | instskip(NEXT) | instid1(VALU_DEP_1)
	v_cndmask_b32_e64 v70, -1, 0xffff8000, s7
	v_perm_b32 v68, v70, v69, 0x5040100
	s_delay_alu instid0(VALU_DEP_1) | instskip(NEXT) | instid1(VALU_DEP_1)
	v_dual_add_nc_u32 v69, 1, v66 :: v_dual_bitop2_b32 v67, v68, v67 bitop3:0x14
	v_lshrrev_b32_e32 v68, 16, v67
	s_delay_alu instid0(VALU_DEP_1) | instskip(NEXT) | instid1(VALU_DEP_1)
	v_cmp_gt_u16_e64 s7, v67, v68
	v_dual_cndmask_b32 v64, v64, v66, s7 :: v_dual_cndmask_b32 v52, v69, v52, s7
	s_delay_alu instid0(VALU_DEP_1) | instskip(SKIP_1) | instid1(SALU_CYCLE_1)
	v_cmp_ge_u32_e64 s7, v52, v64
	s_or_b32 s9, s7, s9
	s_and_not1_b32 exec_lo, exec_lo, s9
	s_cbranch_execz .LBB1946_437
.LBB1946_429:                           ; =>This Inner Loop Header: Depth=1
	v_add_nc_u32_e32 v67, v64, v52
	s_delay_alu instid0(VALU_DEP_1) | instskip(NEXT) | instid1(VALU_DEP_1)
	v_dual_lshrrev_b32 v66, 1, v67 :: v_dual_bitop2_b32 v67, -2, v67 bitop3:0x40
	v_not_b32_e32 v68, v66
	s_delay_alu instid0(VALU_DEP_2) | instskip(NEXT) | instid1(VALU_DEP_2)
	v_add_nc_u32_e32 v67, v53, v67
	v_lshl_add_u32 v68, v68, 1, v65
	ds_load_u16 v69, v68
	ds_load_u16 v68, v67
	s_wait_dscnt 0x1
	v_lshlrev_b32_e32 v67, 16, v69
	s_delay_alu instid0(VALU_DEP_1) | instskip(NEXT) | instid1(VALU_DEP_1)
	v_add_f32_e32 v69, 0, v67
	v_and_b32_e32 v67, 0x7f800000, v69
	s_delay_alu instid0(VALU_DEP_1) | instskip(SKIP_1) | instid1(SALU_CYCLE_1)
	v_cmp_ne_u32_e64 s7, 0x7f800000, v67
                                        ; implicit-def: $vgpr67
	s_and_saveexec_b32 s10, s7
	s_xor_b32 s7, exec_lo, s10
; %bb.430:                              ;   in Loop: Header=BB1946_429 Depth=1
	v_bfe_u32 v67, v69, 16, 1
	s_delay_alu instid0(VALU_DEP_1)
	v_add3_u32 v67, v69, v67, 0x7fff
                                        ; implicit-def: $vgpr69
; %bb.431:                              ;   in Loop: Header=BB1946_429 Depth=1
	s_and_not1_saveexec_b32 s10, s7
; %bb.432:                              ;   in Loop: Header=BB1946_429 Depth=1
	v_and_b32_e32 v67, 0xffff, v69
	v_or_b32_e32 v70, 0x10000, v69
	s_delay_alu instid0(VALU_DEP_2) | instskip(NEXT) | instid1(VALU_DEP_1)
	v_cmp_eq_u32_e64 s7, 0, v67
	v_cndmask_b32_e64 v67, v70, v69, s7
; %bb.433:                              ;   in Loop: Header=BB1946_429 Depth=1
	s_or_b32 exec_lo, exec_lo, s10
	s_wait_dscnt 0x0
	v_lshlrev_b32_e32 v68, 16, v68
	s_delay_alu instid0(VALU_DEP_1) | instskip(NEXT) | instid1(VALU_DEP_1)
	v_add_f32_e32 v69, 0, v68
	v_and_b32_e32 v68, 0x7f800000, v69
	s_delay_alu instid0(VALU_DEP_1) | instskip(SKIP_1) | instid1(SALU_CYCLE_1)
	v_cmp_ne_u32_e64 s7, 0x7f800000, v68
                                        ; implicit-def: $vgpr68
	s_and_saveexec_b32 s10, s7
	s_xor_b32 s7, exec_lo, s10
; %bb.434:                              ;   in Loop: Header=BB1946_429 Depth=1
	v_bfe_u32 v68, v69, 16, 1
	s_delay_alu instid0(VALU_DEP_1)
	v_add3_u32 v68, v69, v68, 0x7fff
                                        ; implicit-def: $vgpr69
; %bb.435:                              ;   in Loop: Header=BB1946_429 Depth=1
	s_and_not1_saveexec_b32 s10, s7
	s_cbranch_execz .LBB1946_428
; %bb.436:                              ;   in Loop: Header=BB1946_429 Depth=1
	v_and_b32_e32 v68, 0xffff, v69
	v_or_b32_e32 v70, 0x10000, v69
	s_delay_alu instid0(VALU_DEP_2) | instskip(NEXT) | instid1(VALU_DEP_1)
	v_cmp_eq_u32_e64 s7, 0, v68
	v_cndmask_b32_e64 v68, v70, v69, s7
	s_branch .LBB1946_428
.LBB1946_437:
	s_or_b32 exec_lo, exec_lo, s9
.LBB1946_438:
	s_delay_alu instid0(SALU_CYCLE_1) | instskip(SKIP_1) | instid1(VALU_DEP_1)
	s_or_b32 exec_lo, exec_lo, s8
	v_dual_add_nc_u32 v55, v50, v55 :: v_dual_add_nc_u32 v54, v52, v54
	v_sub_nc_u32_e32 v55, v55, v52
	s_delay_alu instid0(VALU_DEP_2) | instskip(NEXT) | instid1(VALU_DEP_2)
	v_cmp_le_u32_e64 s7, v54, v50
	v_cmp_le_u32_e64 s8, v55, v51
	s_or_b32 s7, s7, s8
	s_delay_alu instid0(SALU_CYCLE_1)
	s_and_saveexec_b32 s9, s7
	s_cbranch_execz .LBB1946_538
; %bb.439:
	v_cmp_ge_u32_e64 s7, v54, v50
	s_mov_b32 s10, exec_lo
                                        ; implicit-def: $vgpr34
	v_cmpx_lt_u32_e64 v54, v50
; %bb.440:
	v_lshl_add_u32 v10, v52, 1, v53
	ds_load_u16 v34, v10
; %bb.441:
	s_or_b32 exec_lo, exec_lo, s10
	v_cmp_ge_u32_e64 s10, v55, v51
	s_mov_b32 s11, exec_lo
                                        ; implicit-def: $vgpr35
	v_cmpx_lt_u32_e64 v55, v51
; %bb.442:
	v_lshl_add_u32 v10, v55, 1, v5
	ds_load_u16 v35, v10
; %bb.443:
	s_or_b32 exec_lo, exec_lo, s11
	s_nor_b32 s7, s7, s10
	s_delay_alu instid0(SALU_CYCLE_1)
	s_and_saveexec_b32 s8, s7
	s_cbranch_execz .LBB1946_453
; %bb.444:
	s_wait_dscnt 0x0
	v_lshlrev_b32_e32 v10, 16, v35
	s_delay_alu instid0(VALU_DEP_1) | instskip(NEXT) | instid1(VALU_DEP_1)
	v_add_f32_e32 v11, 0, v10
	v_and_b32_e32 v10, 0x7f800000, v11
	s_delay_alu instid0(VALU_DEP_1) | instskip(SKIP_1) | instid1(SALU_CYCLE_1)
	v_cmp_ne_u32_e64 s7, 0x7f800000, v10
                                        ; implicit-def: $vgpr10
	s_and_saveexec_b32 s11, s7
	s_xor_b32 s7, exec_lo, s11
; %bb.445:
	v_bfe_u32 v10, v11, 16, 1
	s_delay_alu instid0(VALU_DEP_1)
	v_add3_u32 v10, v11, v10, 0x7fff
                                        ; implicit-def: $vgpr11
; %bb.446:
	s_and_not1_saveexec_b32 s11, s7
; %bb.447:
	v_and_b32_e32 v10, 0xffff, v11
	v_or_b32_e32 v12, 0x10000, v11
	s_delay_alu instid0(VALU_DEP_2) | instskip(NEXT) | instid1(VALU_DEP_1)
	v_cmp_eq_u32_e64 s7, 0, v10
	v_cndmask_b32_e64 v10, v12, v11, s7
; %bb.448:
	s_or_b32 exec_lo, exec_lo, s11
	v_lshlrev_b32_e32 v11, 16, v34
	s_delay_alu instid0(VALU_DEP_1) | instskip(NEXT) | instid1(VALU_DEP_1)
	v_add_f32_e32 v12, 0, v11
	v_and_b32_e32 v11, 0x7f800000, v12
	s_delay_alu instid0(VALU_DEP_1) | instskip(SKIP_1) | instid1(SALU_CYCLE_1)
	v_cmp_ne_u32_e64 s7, 0x7f800000, v11
                                        ; implicit-def: $vgpr11
	s_and_saveexec_b32 s11, s7
	s_xor_b32 s7, exec_lo, s11
; %bb.449:
	v_bfe_u32 v11, v12, 16, 1
	s_delay_alu instid0(VALU_DEP_1)
	v_add3_u32 v11, v12, v11, 0x7fff
                                        ; implicit-def: $vgpr12
; %bb.450:
	s_and_not1_saveexec_b32 s11, s7
; %bb.451:
	v_and_b32_e32 v11, 0xffff, v12
	v_or_b32_e32 v13, 0x10000, v12
	s_delay_alu instid0(VALU_DEP_2) | instskip(NEXT) | instid1(VALU_DEP_1)
	v_cmp_eq_u32_e64 s7, 0, v11
	v_cndmask_b32_e64 v11, v13, v12, s7
; %bb.452:
	s_or_b32 exec_lo, exec_lo, s11
	v_cmp_lt_i32_e64 s7, -1, v10
	s_delay_alu instid0(VALU_DEP_2) | instskip(SKIP_3) | instid1(VALU_DEP_1)
	v_perm_b32 v10, v11, v10, 0x7060302
	s_and_not1_b32 s10, s10, exec_lo
	v_cndmask_b32_e64 v12, -1, 0xffff8000, s7
	v_cmp_lt_i32_e64 s7, -1, v11
	v_cndmask_b32_e64 v13, -1, 0xffff8000, s7
	s_delay_alu instid0(VALU_DEP_1) | instskip(NEXT) | instid1(VALU_DEP_1)
	v_perm_b32 v11, v13, v12, 0x5040100
	v_xor_b32_e32 v10, v11, v10
	s_delay_alu instid0(VALU_DEP_1) | instskip(NEXT) | instid1(VALU_DEP_1)
	v_lshrrev_b32_e32 v11, 16, v10
	v_cmp_le_u16_e64 s7, v10, v11
	s_and_b32 s7, s7, exec_lo
	s_delay_alu instid0(SALU_CYCLE_1)
	s_or_b32 s10, s10, s7
.LBB1946_453:
	s_or_b32 exec_lo, exec_lo, s8
	v_cndmask_b32_e64 v10, v55, v54, s10
	s_mov_b32 s11, -1
	s_mov_b32 s8, -1
	s_mov_b32 s12, exec_lo
	s_delay_alu instid0(VALU_DEP_1) | instskip(NEXT) | instid1(VALU_DEP_1)
	v_add_nc_u32_e32 v12, 1, v10
	v_dual_cndmask_b32 v11, v51, v50, s10 :: v_dual_cndmask_b32 v15, v54, v12, s10
	s_delay_alu instid0(VALU_DEP_1) | instskip(NEXT) | instid1(VALU_DEP_1)
	v_add_min_u32_e64 v11, v11, -1, v12
	v_lshl_add_u32 v11, v11, 1, v5
	ds_load_u16 v13, v11
	s_wait_dscnt 0x0
	v_cndmask_b32_e64 v37, v13, v35, s10
	v_cndmask_b32_e64 v14, v12, v55, s10
	v_lshl_add_u32 v10, v10, 3, v1
	v_cndmask_b32_e64 v52, v34, v13, s10
	ds_load_b64 v[10:11], v10 offset:4096
	v_cmpx_lt_u32_e64 v14, v51
	s_cbranch_execz .LBB1946_465
; %bb.454:
	s_mov_b32 s13, 0
	s_mov_b32 s8, exec_lo
	v_cmpx_lt_u32_e64 v15, v50
	s_cbranch_execz .LBB1946_464
; %bb.455:
	v_lshlrev_b32_e32 v12, 16, v37
	s_delay_alu instid0(VALU_DEP_1) | instskip(NEXT) | instid1(VALU_DEP_1)
	v_add_f32_e32 v13, 0, v12
	v_and_b32_e32 v12, 0x7f800000, v13
	s_delay_alu instid0(VALU_DEP_1) | instskip(SKIP_1) | instid1(SALU_CYCLE_1)
	v_cmp_ne_u32_e64 s7, 0x7f800000, v12
                                        ; implicit-def: $vgpr12
	s_and_saveexec_b32 s13, s7
	s_xor_b32 s7, exec_lo, s13
; %bb.456:
	v_bfe_u32 v12, v13, 16, 1
	s_delay_alu instid0(VALU_DEP_1)
	v_add3_u32 v12, v13, v12, 0x7fff
                                        ; implicit-def: $vgpr13
; %bb.457:
	s_and_not1_saveexec_b32 s13, s7
; %bb.458:
	v_and_b32_e32 v12, 0xffff, v13
	v_or_b32_e32 v16, 0x10000, v13
	s_delay_alu instid0(VALU_DEP_2) | instskip(NEXT) | instid1(VALU_DEP_1)
	v_cmp_eq_u32_e64 s7, 0, v12
	v_cndmask_b32_e64 v12, v16, v13, s7
; %bb.459:
	s_or_b32 exec_lo, exec_lo, s13
	v_lshlrev_b32_e32 v13, 16, v52
	s_delay_alu instid0(VALU_DEP_1) | instskip(NEXT) | instid1(VALU_DEP_1)
	v_add_f32_e32 v16, 0, v13
	v_and_b32_e32 v13, 0x7f800000, v16
	s_delay_alu instid0(VALU_DEP_1) | instskip(SKIP_1) | instid1(SALU_CYCLE_1)
	v_cmp_ne_u32_e64 s7, 0x7f800000, v13
                                        ; implicit-def: $vgpr13
	s_and_saveexec_b32 s13, s7
	s_xor_b32 s7, exec_lo, s13
; %bb.460:
	v_bfe_u32 v13, v16, 16, 1
	s_delay_alu instid0(VALU_DEP_1)
	v_add3_u32 v13, v16, v13, 0x7fff
                                        ; implicit-def: $vgpr16
; %bb.461:
	s_and_not1_saveexec_b32 s13, s7
; %bb.462:
	v_and_b32_e32 v13, 0xffff, v16
	v_or_b32_e32 v17, 0x10000, v16
	s_delay_alu instid0(VALU_DEP_2) | instskip(NEXT) | instid1(VALU_DEP_1)
	v_cmp_eq_u32_e64 s7, 0, v13
	v_cndmask_b32_e64 v13, v17, v16, s7
; %bb.463:
	s_or_b32 exec_lo, exec_lo, s13
	v_cmp_lt_i32_e64 s7, -1, v12
	s_delay_alu instid0(VALU_DEP_2) | instskip(NEXT) | instid1(VALU_DEP_2)
	v_perm_b32 v12, v13, v12, 0x7060302
	v_cndmask_b32_e64 v16, -1, 0xffff8000, s7
	v_cmp_lt_i32_e64 s7, -1, v13
	s_delay_alu instid0(VALU_DEP_1) | instskip(NEXT) | instid1(VALU_DEP_1)
	v_cndmask_b32_e64 v17, -1, 0xffff8000, s7
	v_perm_b32 v13, v17, v16, 0x5040100
	s_delay_alu instid0(VALU_DEP_1) | instskip(NEXT) | instid1(VALU_DEP_1)
	v_xor_b32_e32 v12, v13, v12
	v_lshrrev_b32_e32 v13, 16, v12
	s_delay_alu instid0(VALU_DEP_1)
	v_cmp_le_u16_e64 s7, v12, v13
	s_and_b32 s13, s7, exec_lo
.LBB1946_464:
	s_or_b32 exec_lo, exec_lo, s8
	s_delay_alu instid0(SALU_CYCLE_1)
	s_or_not1_b32 s8, s13, exec_lo
.LBB1946_465:
	s_or_b32 exec_lo, exec_lo, s12
	v_dual_cndmask_b32 v12, v14, v15, s8 :: v_dual_cndmask_b32 v13, v51, v50, s8
	s_mov_b32 s12, exec_lo
	s_delay_alu instid0(VALU_DEP_1) | instskip(SKIP_1) | instid1(VALU_DEP_2)
	v_add_nc_u32_e32 v17, 1, v12
	v_lshl_add_u32 v12, v12, 3, v1
	v_add_min_u32_e64 v13, v13, -1, v17
	s_delay_alu instid0(VALU_DEP_1)
	v_lshl_add_u32 v13, v13, 1, v5
	ds_load_u16 v18, v13
	ds_load_b64 v[12:13], v12 offset:4096
	s_wait_dscnt 0x1
	v_dual_cndmask_b32 v38, v18, v37, s8 :: v_dual_cndmask_b32 v16, v17, v14, s8
	v_dual_cndmask_b32 v17, v15, v17, s8 :: v_dual_cndmask_b32 v53, v52, v18, s8
	s_delay_alu instid0(VALU_DEP_2)
	v_cmpx_lt_u32_e64 v16, v51
	s_cbranch_execz .LBB1946_477
; %bb.466:
	s_mov_b32 s13, 0
	s_mov_b32 s11, exec_lo
	v_cmpx_lt_u32_e64 v17, v50
	s_cbranch_execz .LBB1946_476
; %bb.467:
	v_lshlrev_b32_e32 v14, 16, v38
	s_delay_alu instid0(VALU_DEP_1) | instskip(NEXT) | instid1(VALU_DEP_1)
	v_add_f32_e32 v15, 0, v14
	v_and_b32_e32 v14, 0x7f800000, v15
	s_delay_alu instid0(VALU_DEP_1) | instskip(SKIP_1) | instid1(SALU_CYCLE_1)
	v_cmp_ne_u32_e64 s7, 0x7f800000, v14
                                        ; implicit-def: $vgpr14
	s_and_saveexec_b32 s13, s7
	s_xor_b32 s7, exec_lo, s13
; %bb.468:
	v_bfe_u32 v14, v15, 16, 1
	s_delay_alu instid0(VALU_DEP_1)
	v_add3_u32 v14, v15, v14, 0x7fff
                                        ; implicit-def: $vgpr15
; %bb.469:
	s_and_not1_saveexec_b32 s13, s7
; %bb.470:
	v_and_b32_e32 v14, 0xffff, v15
	v_or_b32_e32 v18, 0x10000, v15
	s_delay_alu instid0(VALU_DEP_2) | instskip(NEXT) | instid1(VALU_DEP_1)
	v_cmp_eq_u32_e64 s7, 0, v14
	v_cndmask_b32_e64 v14, v18, v15, s7
; %bb.471:
	s_or_b32 exec_lo, exec_lo, s13
	v_lshlrev_b32_e32 v15, 16, v53
	s_delay_alu instid0(VALU_DEP_1) | instskip(NEXT) | instid1(VALU_DEP_1)
	v_add_f32_e32 v18, 0, v15
	v_and_b32_e32 v15, 0x7f800000, v18
	s_delay_alu instid0(VALU_DEP_1) | instskip(SKIP_1) | instid1(SALU_CYCLE_1)
	v_cmp_ne_u32_e64 s7, 0x7f800000, v15
                                        ; implicit-def: $vgpr15
	s_and_saveexec_b32 s13, s7
	s_xor_b32 s7, exec_lo, s13
; %bb.472:
	v_bfe_u32 v15, v18, 16, 1
	s_delay_alu instid0(VALU_DEP_1)
	v_add3_u32 v15, v18, v15, 0x7fff
                                        ; implicit-def: $vgpr18
; %bb.473:
	s_and_not1_saveexec_b32 s13, s7
; %bb.474:
	v_and_b32_e32 v15, 0xffff, v18
	v_or_b32_e32 v19, 0x10000, v18
	s_delay_alu instid0(VALU_DEP_2) | instskip(NEXT) | instid1(VALU_DEP_1)
	v_cmp_eq_u32_e64 s7, 0, v15
	v_cndmask_b32_e64 v15, v19, v18, s7
; %bb.475:
	s_or_b32 exec_lo, exec_lo, s13
	v_cmp_lt_i32_e64 s7, -1, v14
	s_delay_alu instid0(VALU_DEP_2) | instskip(NEXT) | instid1(VALU_DEP_2)
	v_perm_b32 v14, v15, v14, 0x7060302
	v_cndmask_b32_e64 v18, -1, 0xffff8000, s7
	v_cmp_lt_i32_e64 s7, -1, v15
	s_delay_alu instid0(VALU_DEP_1) | instskip(NEXT) | instid1(VALU_DEP_1)
	v_cndmask_b32_e64 v19, -1, 0xffff8000, s7
	v_perm_b32 v15, v19, v18, 0x5040100
	s_delay_alu instid0(VALU_DEP_1) | instskip(NEXT) | instid1(VALU_DEP_1)
	v_xor_b32_e32 v14, v15, v14
	v_lshrrev_b32_e32 v15, 16, v14
	s_delay_alu instid0(VALU_DEP_1)
	v_cmp_le_u16_e64 s7, v14, v15
	s_and_b32 s13, s7, exec_lo
.LBB1946_476:
	s_or_b32 exec_lo, exec_lo, s11
	s_delay_alu instid0(SALU_CYCLE_1)
	s_or_not1_b32 s11, s13, exec_lo
.LBB1946_477:
	s_or_b32 exec_lo, exec_lo, s12
	s_delay_alu instid0(VALU_DEP_2) | instskip(SKIP_3) | instid1(VALU_DEP_1)
	v_dual_cndmask_b32 v14, v16, v17, s11 :: v_dual_cndmask_b32 v15, v51, v50, s11
	s_mov_b32 s13, -1
	s_mov_b32 s12, -1
	s_mov_b32 s14, exec_lo
	v_add_nc_u32_e32 v19, 1, v14
	v_lshl_add_u32 v14, v14, 3, v1
	s_delay_alu instid0(VALU_DEP_2) | instskip(NEXT) | instid1(VALU_DEP_1)
	v_add_min_u32_e64 v15, v15, -1, v19
	v_lshl_add_u32 v15, v15, 1, v5
	ds_load_u16 v20, v15
	ds_load_b64 v[14:15], v14 offset:4096
	s_wait_dscnt 0x1
	v_dual_cndmask_b32 v49, v20, v38, s11 :: v_dual_cndmask_b32 v54, v53, v20, s11
	v_dual_cndmask_b32 v18, v19, v16, s11 :: v_dual_cndmask_b32 v19, v17, v19, s11
	s_delay_alu instid0(VALU_DEP_1)
	v_cmpx_lt_u32_e64 v18, v51
	s_cbranch_execz .LBB1946_489
; %bb.478:
	s_mov_b32 s15, 0
	s_mov_b32 s12, exec_lo
	v_cmpx_lt_u32_e64 v19, v50
	s_cbranch_execz .LBB1946_488
; %bb.479:
	v_lshlrev_b32_e32 v16, 16, v49
	s_delay_alu instid0(VALU_DEP_1) | instskip(NEXT) | instid1(VALU_DEP_1)
	v_add_f32_e32 v17, 0, v16
	v_and_b32_e32 v16, 0x7f800000, v17
	s_delay_alu instid0(VALU_DEP_1) | instskip(SKIP_1) | instid1(SALU_CYCLE_1)
	v_cmp_ne_u32_e64 s7, 0x7f800000, v16
                                        ; implicit-def: $vgpr16
	s_and_saveexec_b32 s15, s7
	s_xor_b32 s7, exec_lo, s15
; %bb.480:
	v_bfe_u32 v16, v17, 16, 1
	s_delay_alu instid0(VALU_DEP_1)
	v_add3_u32 v16, v17, v16, 0x7fff
                                        ; implicit-def: $vgpr17
; %bb.481:
	s_and_not1_saveexec_b32 s15, s7
; %bb.482:
	v_and_b32_e32 v16, 0xffff, v17
	v_or_b32_e32 v20, 0x10000, v17
	s_delay_alu instid0(VALU_DEP_2) | instskip(NEXT) | instid1(VALU_DEP_1)
	v_cmp_eq_u32_e64 s7, 0, v16
	v_cndmask_b32_e64 v16, v20, v17, s7
; %bb.483:
	s_or_b32 exec_lo, exec_lo, s15
	v_lshlrev_b32_e32 v17, 16, v54
	s_delay_alu instid0(VALU_DEP_1) | instskip(NEXT) | instid1(VALU_DEP_1)
	v_add_f32_e32 v20, 0, v17
	v_and_b32_e32 v17, 0x7f800000, v20
	s_delay_alu instid0(VALU_DEP_1) | instskip(SKIP_1) | instid1(SALU_CYCLE_1)
	v_cmp_ne_u32_e64 s7, 0x7f800000, v17
                                        ; implicit-def: $vgpr17
	s_and_saveexec_b32 s15, s7
	s_xor_b32 s7, exec_lo, s15
; %bb.484:
	v_bfe_u32 v17, v20, 16, 1
	s_delay_alu instid0(VALU_DEP_1)
	v_add3_u32 v17, v20, v17, 0x7fff
                                        ; implicit-def: $vgpr20
; %bb.485:
	s_and_not1_saveexec_b32 s15, s7
; %bb.486:
	v_and_b32_e32 v17, 0xffff, v20
	v_or_b32_e32 v21, 0x10000, v20
	s_delay_alu instid0(VALU_DEP_2) | instskip(NEXT) | instid1(VALU_DEP_1)
	v_cmp_eq_u32_e64 s7, 0, v17
	v_cndmask_b32_e64 v17, v21, v20, s7
; %bb.487:
	s_or_b32 exec_lo, exec_lo, s15
	v_cmp_lt_i32_e64 s7, -1, v16
	s_delay_alu instid0(VALU_DEP_2) | instskip(NEXT) | instid1(VALU_DEP_2)
	v_perm_b32 v16, v17, v16, 0x7060302
	v_cndmask_b32_e64 v20, -1, 0xffff8000, s7
	v_cmp_lt_i32_e64 s7, -1, v17
	s_delay_alu instid0(VALU_DEP_1) | instskip(NEXT) | instid1(VALU_DEP_1)
	v_cndmask_b32_e64 v21, -1, 0xffff8000, s7
	v_perm_b32 v17, v21, v20, 0x5040100
	s_delay_alu instid0(VALU_DEP_1) | instskip(NEXT) | instid1(VALU_DEP_1)
	v_xor_b32_e32 v16, v17, v16
	v_lshrrev_b32_e32 v17, 16, v16
	s_delay_alu instid0(VALU_DEP_1)
	v_cmp_le_u16_e64 s7, v16, v17
	s_and_b32 s15, s7, exec_lo
.LBB1946_488:
	s_or_b32 exec_lo, exec_lo, s12
	s_delay_alu instid0(SALU_CYCLE_1)
	s_or_not1_b32 s12, s15, exec_lo
.LBB1946_489:
	s_or_b32 exec_lo, exec_lo, s14
	s_delay_alu instid0(VALU_DEP_2) | instskip(SKIP_1) | instid1(VALU_DEP_1)
	v_dual_cndmask_b32 v16, v18, v19, s12 :: v_dual_cndmask_b32 v17, v51, v50, s12
	s_mov_b32 s14, exec_lo
	v_add_nc_u32_e32 v21, 1, v16
	v_lshl_add_u32 v16, v16, 3, v1
	s_delay_alu instid0(VALU_DEP_2) | instskip(NEXT) | instid1(VALU_DEP_1)
	v_add_min_u32_e64 v17, v17, -1, v21
	v_lshl_add_u32 v17, v17, 1, v5
	ds_load_u16 v22, v17
	ds_load_b64 v[16:17], v16 offset:4096
	s_wait_dscnt 0x1
	v_dual_cndmask_b32 v39, v22, v49, s12 :: v_dual_cndmask_b32 v20, v21, v18, s12
	v_dual_cndmask_b32 v21, v19, v21, s12 :: v_dual_cndmask_b32 v55, v54, v22, s12
	s_delay_alu instid0(VALU_DEP_2)
	v_cmpx_lt_u32_e64 v20, v51
	s_cbranch_execz .LBB1946_501
; %bb.490:
	s_mov_b32 s15, 0
	s_mov_b32 s13, exec_lo
	v_cmpx_lt_u32_e64 v21, v50
	s_cbranch_execz .LBB1946_500
; %bb.491:
	v_lshlrev_b32_e32 v18, 16, v39
	s_delay_alu instid0(VALU_DEP_1) | instskip(NEXT) | instid1(VALU_DEP_1)
	v_add_f32_e32 v19, 0, v18
	v_and_b32_e32 v18, 0x7f800000, v19
	s_delay_alu instid0(VALU_DEP_1) | instskip(SKIP_1) | instid1(SALU_CYCLE_1)
	v_cmp_ne_u32_e64 s7, 0x7f800000, v18
                                        ; implicit-def: $vgpr18
	s_and_saveexec_b32 s15, s7
	s_xor_b32 s7, exec_lo, s15
; %bb.492:
	v_bfe_u32 v18, v19, 16, 1
	s_delay_alu instid0(VALU_DEP_1)
	v_add3_u32 v18, v19, v18, 0x7fff
                                        ; implicit-def: $vgpr19
; %bb.493:
	s_and_not1_saveexec_b32 s15, s7
; %bb.494:
	v_and_b32_e32 v18, 0xffff, v19
	v_or_b32_e32 v22, 0x10000, v19
	s_delay_alu instid0(VALU_DEP_2) | instskip(NEXT) | instid1(VALU_DEP_1)
	v_cmp_eq_u32_e64 s7, 0, v18
	v_cndmask_b32_e64 v18, v22, v19, s7
; %bb.495:
	s_or_b32 exec_lo, exec_lo, s15
	v_lshlrev_b32_e32 v19, 16, v55
	s_delay_alu instid0(VALU_DEP_1) | instskip(NEXT) | instid1(VALU_DEP_1)
	v_add_f32_e32 v22, 0, v19
	v_and_b32_e32 v19, 0x7f800000, v22
	s_delay_alu instid0(VALU_DEP_1) | instskip(SKIP_1) | instid1(SALU_CYCLE_1)
	v_cmp_ne_u32_e64 s7, 0x7f800000, v19
                                        ; implicit-def: $vgpr19
	s_and_saveexec_b32 s15, s7
	s_xor_b32 s7, exec_lo, s15
; %bb.496:
	v_bfe_u32 v19, v22, 16, 1
	s_delay_alu instid0(VALU_DEP_1)
	v_add3_u32 v19, v22, v19, 0x7fff
                                        ; implicit-def: $vgpr22
; %bb.497:
	s_and_not1_saveexec_b32 s15, s7
; %bb.498:
	v_and_b32_e32 v19, 0xffff, v22
	v_or_b32_e32 v23, 0x10000, v22
	s_delay_alu instid0(VALU_DEP_2) | instskip(NEXT) | instid1(VALU_DEP_1)
	v_cmp_eq_u32_e64 s7, 0, v19
	v_cndmask_b32_e64 v19, v23, v22, s7
; %bb.499:
	s_or_b32 exec_lo, exec_lo, s15
	v_cmp_lt_i32_e64 s7, -1, v18
	s_delay_alu instid0(VALU_DEP_2) | instskip(NEXT) | instid1(VALU_DEP_2)
	v_perm_b32 v18, v19, v18, 0x7060302
	v_cndmask_b32_e64 v22, -1, 0xffff8000, s7
	v_cmp_lt_i32_e64 s7, -1, v19
	s_delay_alu instid0(VALU_DEP_1) | instskip(NEXT) | instid1(VALU_DEP_1)
	v_cndmask_b32_e64 v23, -1, 0xffff8000, s7
	v_perm_b32 v19, v23, v22, 0x5040100
	s_delay_alu instid0(VALU_DEP_1) | instskip(NEXT) | instid1(VALU_DEP_1)
	v_xor_b32_e32 v18, v19, v18
	v_lshrrev_b32_e32 v19, 16, v18
	s_delay_alu instid0(VALU_DEP_1)
	v_cmp_le_u16_e64 s7, v18, v19
	s_and_b32 s15, s7, exec_lo
.LBB1946_500:
	s_or_b32 exec_lo, exec_lo, s13
	s_delay_alu instid0(SALU_CYCLE_1)
	s_or_not1_b32 s13, s15, exec_lo
.LBB1946_501:
	s_or_b32 exec_lo, exec_lo, s14
	s_delay_alu instid0(VALU_DEP_2) | instskip(SKIP_3) | instid1(VALU_DEP_1)
	v_dual_cndmask_b32 v18, v20, v21, s13 :: v_dual_cndmask_b32 v19, v51, v50, s13
	s_mov_b32 s15, -1
	s_mov_b32 s14, -1
	s_mov_b32 s16, exec_lo
	v_add_nc_u32_e32 v22, 1, v18
	v_lshl_add_u32 v18, v18, 3, v1
	s_delay_alu instid0(VALU_DEP_2) | instskip(NEXT) | instid1(VALU_DEP_1)
	v_add_min_u32_e64 v19, v19, -1, v22
	v_lshl_add_u32 v19, v19, 1, v5
	ds_load_u16 v23, v19
	ds_load_b64 v[18:19], v18 offset:4096
	s_wait_dscnt 0x1
	v_dual_cndmask_b32 v36, v23, v39, s13 :: v_dual_cndmask_b32 v20, v22, v20, s13
	v_dual_cndmask_b32 v21, v21, v22, s13 :: v_dual_cndmask_b32 v64, v55, v23, s13
	s_delay_alu instid0(VALU_DEP_2)
	v_cmpx_lt_u32_e64 v20, v51
	s_cbranch_execz .LBB1946_513
; %bb.502:
	s_mov_b32 s17, 0
	s_mov_b32 s14, exec_lo
	v_cmpx_lt_u32_e64 v21, v50
	s_cbranch_execz .LBB1946_512
; %bb.503:
	v_lshlrev_b32_e32 v22, 16, v36
	s_delay_alu instid0(VALU_DEP_1) | instskip(NEXT) | instid1(VALU_DEP_1)
	v_add_f32_e32 v23, 0, v22
	v_and_b32_e32 v22, 0x7f800000, v23
	s_delay_alu instid0(VALU_DEP_1) | instskip(SKIP_1) | instid1(SALU_CYCLE_1)
	v_cmp_ne_u32_e64 s7, 0x7f800000, v22
                                        ; implicit-def: $vgpr22
	s_and_saveexec_b32 s17, s7
	s_xor_b32 s7, exec_lo, s17
; %bb.504:
	v_bfe_u32 v22, v23, 16, 1
	s_delay_alu instid0(VALU_DEP_1)
	v_add3_u32 v22, v23, v22, 0x7fff
                                        ; implicit-def: $vgpr23
; %bb.505:
	s_and_not1_saveexec_b32 s17, s7
; %bb.506:
	v_and_b32_e32 v22, 0xffff, v23
	v_or_b32_e32 v24, 0x10000, v23
	s_delay_alu instid0(VALU_DEP_2) | instskip(NEXT) | instid1(VALU_DEP_1)
	v_cmp_eq_u32_e64 s7, 0, v22
	v_cndmask_b32_e64 v22, v24, v23, s7
; %bb.507:
	s_or_b32 exec_lo, exec_lo, s17
	v_lshlrev_b32_e32 v23, 16, v64
	s_delay_alu instid0(VALU_DEP_1) | instskip(NEXT) | instid1(VALU_DEP_1)
	v_add_f32_e32 v24, 0, v23
	v_and_b32_e32 v23, 0x7f800000, v24
	s_delay_alu instid0(VALU_DEP_1) | instskip(SKIP_1) | instid1(SALU_CYCLE_1)
	v_cmp_ne_u32_e64 s7, 0x7f800000, v23
                                        ; implicit-def: $vgpr23
	s_and_saveexec_b32 s17, s7
	s_xor_b32 s7, exec_lo, s17
; %bb.508:
	v_bfe_u32 v23, v24, 16, 1
	s_delay_alu instid0(VALU_DEP_1)
	v_add3_u32 v23, v24, v23, 0x7fff
                                        ; implicit-def: $vgpr24
; %bb.509:
	s_and_not1_saveexec_b32 s17, s7
; %bb.510:
	v_and_b32_e32 v23, 0xffff, v24
	v_or_b32_e32 v25, 0x10000, v24
	s_delay_alu instid0(VALU_DEP_2) | instskip(NEXT) | instid1(VALU_DEP_1)
	v_cmp_eq_u32_e64 s7, 0, v23
	v_cndmask_b32_e64 v23, v25, v24, s7
; %bb.511:
	s_or_b32 exec_lo, exec_lo, s17
	v_cmp_lt_i32_e64 s7, -1, v22
	s_delay_alu instid0(VALU_DEP_2) | instskip(NEXT) | instid1(VALU_DEP_2)
	v_perm_b32 v22, v23, v22, 0x7060302
	v_cndmask_b32_e64 v24, -1, 0xffff8000, s7
	v_cmp_lt_i32_e64 s7, -1, v23
	s_delay_alu instid0(VALU_DEP_1) | instskip(NEXT) | instid1(VALU_DEP_1)
	v_cndmask_b32_e64 v25, -1, 0xffff8000, s7
	v_perm_b32 v23, v25, v24, 0x5040100
	s_delay_alu instid0(VALU_DEP_1) | instskip(NEXT) | instid1(VALU_DEP_1)
	v_xor_b32_e32 v22, v23, v22
	v_lshrrev_b32_e32 v23, 16, v22
	s_delay_alu instid0(VALU_DEP_1)
	v_cmp_le_u16_e64 s7, v22, v23
	s_and_b32 s17, s7, exec_lo
.LBB1946_512:
	s_or_b32 exec_lo, exec_lo, s14
	s_delay_alu instid0(SALU_CYCLE_1)
	s_or_not1_b32 s14, s17, exec_lo
.LBB1946_513:
	s_or_b32 exec_lo, exec_lo, s16
	s_delay_alu instid0(VALU_DEP_2) | instskip(SKIP_1) | instid1(VALU_DEP_1)
	v_dual_cndmask_b32 v22, v20, v21, s14 :: v_dual_cndmask_b32 v23, v51, v50, s14
	s_mov_b32 s16, exec_lo
	v_add_nc_u32_e32 v25, 1, v22
	v_lshl_add_u32 v22, v22, 3, v1
	s_delay_alu instid0(VALU_DEP_2) | instskip(NEXT) | instid1(VALU_DEP_1)
	v_add_min_u32_e64 v23, v23, -1, v25
	v_lshl_add_u32 v23, v23, 1, v5
	ds_load_u16 v65, v23
	ds_load_b64 v[22:23], v22 offset:4096
	s_wait_dscnt 0x1
	v_cndmask_b32_e64 v48, v65, v36, s14
	v_dual_cndmask_b32 v24, v25, v20, s14 :: v_dual_cndmask_b32 v65, v64, v65, s14
	v_cndmask_b32_e64 v25, v21, v25, s14
	s_delay_alu instid0(VALU_DEP_2)
	v_cmpx_lt_u32_e64 v24, v51
	s_cbranch_execz .LBB1946_525
; %bb.514:
	s_mov_b32 s17, 0
	s_mov_b32 s15, exec_lo
	v_cmpx_lt_u32_e64 v25, v50
	s_cbranch_execz .LBB1946_524
; %bb.515:
	v_lshlrev_b32_e32 v20, 16, v48
	s_delay_alu instid0(VALU_DEP_1) | instskip(NEXT) | instid1(VALU_DEP_1)
	v_add_f32_e32 v21, 0, v20
	v_and_b32_e32 v20, 0x7f800000, v21
	s_delay_alu instid0(VALU_DEP_1) | instskip(SKIP_1) | instid1(SALU_CYCLE_1)
	v_cmp_ne_u32_e64 s7, 0x7f800000, v20
                                        ; implicit-def: $vgpr20
	s_and_saveexec_b32 s17, s7
	s_xor_b32 s7, exec_lo, s17
; %bb.516:
	v_bfe_u32 v20, v21, 16, 1
	s_delay_alu instid0(VALU_DEP_1)
	v_add3_u32 v20, v21, v20, 0x7fff
                                        ; implicit-def: $vgpr21
; %bb.517:
	s_and_not1_saveexec_b32 s17, s7
; %bb.518:
	v_and_b32_e32 v20, 0xffff, v21
	v_or_b32_e32 v66, 0x10000, v21
	s_delay_alu instid0(VALU_DEP_2) | instskip(NEXT) | instid1(VALU_DEP_1)
	v_cmp_eq_u32_e64 s7, 0, v20
	v_cndmask_b32_e64 v20, v66, v21, s7
; %bb.519:
	s_or_b32 exec_lo, exec_lo, s17
	v_lshlrev_b32_e32 v21, 16, v65
	s_delay_alu instid0(VALU_DEP_1) | instskip(NEXT) | instid1(VALU_DEP_1)
	v_add_f32_e32 v66, 0, v21
	v_and_b32_e32 v21, 0x7f800000, v66
	s_delay_alu instid0(VALU_DEP_1) | instskip(SKIP_1) | instid1(SALU_CYCLE_1)
	v_cmp_ne_u32_e64 s7, 0x7f800000, v21
                                        ; implicit-def: $vgpr21
	s_and_saveexec_b32 s17, s7
	s_xor_b32 s7, exec_lo, s17
; %bb.520:
	v_bfe_u32 v21, v66, 16, 1
	s_delay_alu instid0(VALU_DEP_1)
	v_add3_u32 v21, v66, v21, 0x7fff
                                        ; implicit-def: $vgpr66
; %bb.521:
	s_and_not1_saveexec_b32 s17, s7
; %bb.522:
	v_and_b32_e32 v21, 0xffff, v66
	v_or_b32_e32 v67, 0x10000, v66
	s_delay_alu instid0(VALU_DEP_2) | instskip(NEXT) | instid1(VALU_DEP_1)
	v_cmp_eq_u32_e64 s7, 0, v21
	v_cndmask_b32_e64 v21, v67, v66, s7
; %bb.523:
	s_or_b32 exec_lo, exec_lo, s17
	v_cmp_lt_i32_e64 s7, -1, v20
	s_delay_alu instid0(VALU_DEP_2) | instskip(NEXT) | instid1(VALU_DEP_2)
	v_perm_b32 v20, v21, v20, 0x7060302
	v_cndmask_b32_e64 v66, -1, 0xffff8000, s7
	v_cmp_lt_i32_e64 s7, -1, v21
	s_delay_alu instid0(VALU_DEP_1) | instskip(NEXT) | instid1(VALU_DEP_1)
	v_cndmask_b32_e64 v67, -1, 0xffff8000, s7
	v_perm_b32 v21, v67, v66, 0x5040100
	s_delay_alu instid0(VALU_DEP_1) | instskip(NEXT) | instid1(VALU_DEP_1)
	v_xor_b32_e32 v20, v21, v20
	v_lshrrev_b32_e32 v21, 16, v20
	s_delay_alu instid0(VALU_DEP_1)
	v_cmp_le_u16_e64 s7, v20, v21
	s_and_b32 s17, s7, exec_lo
.LBB1946_524:
	s_or_b32 exec_lo, exec_lo, s15
	s_delay_alu instid0(SALU_CYCLE_1)
	s_or_not1_b32 s15, s17, exec_lo
.LBB1946_525:
	s_or_b32 exec_lo, exec_lo, s16
	s_delay_alu instid0(VALU_DEP_2) | instskip(SKIP_2) | instid1(VALU_DEP_1)
	v_dual_cndmask_b32 v20, v24, v25, s15 :: v_dual_cndmask_b32 v21, v51, v50, s15
	s_mov_b32 s17, -1
	s_mov_b32 s16, exec_lo
	v_add_nc_u32_e32 v66, 1, v20
	v_lshl_add_u32 v20, v20, 3, v1
	s_delay_alu instid0(VALU_DEP_2) | instskip(SKIP_1) | instid1(VALU_DEP_2)
	v_add_min_u32_e64 v21, v21, -1, v66
	v_dual_cndmask_b32 v24, v66, v24, s15 :: v_dual_cndmask_b32 v25, v25, v66, s15
	v_lshl_add_u32 v21, v21, 1, v5
	ds_load_u16 v67, v21
	ds_load_b64 v[20:21], v20 offset:4096
	s_wait_dscnt 0x1
	v_dual_cndmask_b32 v66, v67, v48, s15 :: v_dual_cndmask_b32 v67, v65, v67, s15
	v_cmpx_lt_u32_e64 v24, v51
	s_cbranch_execz .LBB1946_537
; %bb.526:
	s_mov_b32 s18, 0
	s_mov_b32 s17, exec_lo
	v_cmpx_lt_u32_e64 v25, v50
	s_cbranch_execz .LBB1946_536
; %bb.527:
	v_lshlrev_b32_e32 v50, 16, v66
	s_delay_alu instid0(VALU_DEP_1) | instskip(NEXT) | instid1(VALU_DEP_1)
	v_add_f32_e32 v51, 0, v50
	v_and_b32_e32 v50, 0x7f800000, v51
	s_delay_alu instid0(VALU_DEP_1) | instskip(SKIP_1) | instid1(SALU_CYCLE_1)
	v_cmp_ne_u32_e64 s7, 0x7f800000, v50
                                        ; implicit-def: $vgpr50
	s_and_saveexec_b32 s18, s7
	s_xor_b32 s7, exec_lo, s18
; %bb.528:
	v_bfe_u32 v50, v51, 16, 1
	s_delay_alu instid0(VALU_DEP_1)
	v_add3_u32 v50, v51, v50, 0x7fff
                                        ; implicit-def: $vgpr51
; %bb.529:
	s_and_not1_saveexec_b32 s18, s7
; %bb.530:
	v_and_b32_e32 v50, 0xffff, v51
	v_or_b32_e32 v68, 0x10000, v51
	s_delay_alu instid0(VALU_DEP_2) | instskip(NEXT) | instid1(VALU_DEP_1)
	v_cmp_eq_u32_e64 s7, 0, v50
	v_cndmask_b32_e64 v50, v68, v51, s7
; %bb.531:
	s_or_b32 exec_lo, exec_lo, s18
	v_lshlrev_b32_e32 v51, 16, v67
	s_delay_alu instid0(VALU_DEP_1) | instskip(NEXT) | instid1(VALU_DEP_1)
	v_add_f32_e32 v68, 0, v51
	v_and_b32_e32 v51, 0x7f800000, v68
	s_delay_alu instid0(VALU_DEP_1) | instskip(SKIP_1) | instid1(SALU_CYCLE_1)
	v_cmp_ne_u32_e64 s7, 0x7f800000, v51
                                        ; implicit-def: $vgpr51
	s_and_saveexec_b32 s18, s7
	s_xor_b32 s7, exec_lo, s18
; %bb.532:
	v_bfe_u32 v51, v68, 16, 1
	s_delay_alu instid0(VALU_DEP_1)
	v_add3_u32 v51, v68, v51, 0x7fff
                                        ; implicit-def: $vgpr68
; %bb.533:
	s_and_not1_saveexec_b32 s18, s7
; %bb.534:
	v_and_b32_e32 v51, 0xffff, v68
	v_or_b32_e32 v69, 0x10000, v68
	s_delay_alu instid0(VALU_DEP_2) | instskip(NEXT) | instid1(VALU_DEP_1)
	v_cmp_eq_u32_e64 s7, 0, v51
	v_cndmask_b32_e64 v51, v69, v68, s7
; %bb.535:
	s_or_b32 exec_lo, exec_lo, s18
	v_cmp_lt_i32_e64 s7, -1, v50
	s_delay_alu instid0(VALU_DEP_2) | instskip(NEXT) | instid1(VALU_DEP_2)
	v_perm_b32 v50, v51, v50, 0x7060302
	v_cndmask_b32_e64 v68, -1, 0xffff8000, s7
	v_cmp_lt_i32_e64 s7, -1, v51
	s_delay_alu instid0(VALU_DEP_1) | instskip(NEXT) | instid1(VALU_DEP_1)
	v_cndmask_b32_e64 v69, -1, 0xffff8000, s7
	v_perm_b32 v51, v69, v68, 0x5040100
	s_delay_alu instid0(VALU_DEP_1) | instskip(NEXT) | instid1(VALU_DEP_1)
	v_xor_b32_e32 v50, v51, v50
	v_lshrrev_b32_e32 v51, 16, v50
	s_delay_alu instid0(VALU_DEP_1)
	v_cmp_le_u16_e64 s7, v50, v51
	s_and_b32 s18, s7, exec_lo
.LBB1946_536:
	s_or_b32 exec_lo, exec_lo, s17
	s_delay_alu instid0(SALU_CYCLE_1)
	s_or_not1_b32 s17, s18, exec_lo
.LBB1946_537:
	s_or_b32 exec_lo, exec_lo, s16
	v_dual_cndmask_b32 v24, v24, v25, s17 :: v_dual_cndmask_b32 v39, v39, v55, s13
	v_dual_cndmask_b32 v48, v48, v65, s15 :: v_dual_cndmask_b32 v49, v49, v54, s12
	;; [unrolled: 1-line block ×3, first 2 shown]
	s_delay_alu instid0(VALU_DEP_3)
	v_lshl_add_u32 v24, v24, 3, v1
	v_dual_cndmask_b32 v37, v37, v52, s8 :: v_dual_cndmask_b32 v34, v35, v34, s10
	v_cndmask_b32_e64 v35, v66, v67, s17
	ds_load_b64 v[24:25], v24 offset:4096
.LBB1946_538:
	s_or_b32 exec_lo, exec_lo, s9
	v_and_b32_e32 v54, 0xc0, v33
	v_perm_b32 v67, v35, v48, 0x5040100
	v_perm_b32 v66, v36, v39, 0x5040100
	;; [unrolled: 1-line block ×4, first 2 shown]
	v_or_b32_e32 v50, 32, v54
	s_mov_b32 s8, exec_lo
	; wave barrier
	ds_store_2addr_b64 v30, v[14:15], v[16:17] offset1:1
	ds_store_2addr_b64 v31, v[18:19], v[22:23] offset1:1
	v_min_u32_e32 v50, v26, v50
	ds_store_2addr_b64 v29, v[10:11], v[12:13] offset1:1
	ds_store_2addr_b64 v27, v[68:69], v[66:67] offset1:1
	s_wait_dscnt 0x4
	ds_store_2addr_b64 v28, v[20:21], v[24:25] offset1:1
	; wave barrier
	v_add_min_u32_e64 v51, v50, 32, v26
	s_delay_alu instid0(VALU_DEP_1) | instskip(NEXT) | instid1(VALU_DEP_1)
	v_dual_sub_nc_u32 v53, v51, v50 :: v_dual_bitop2_b32 v52, 56, v33 bitop3:0x40
	v_min_u32_e32 v55, v26, v52
	v_sub_nc_u32_e32 v52, v50, v54
	s_delay_alu instid0(VALU_DEP_1) | instskip(NEXT) | instid1(VALU_DEP_4)
	v_min_u32_e32 v64, v55, v52
	v_sub_nc_u32_e64 v52, v55, v53 clamp
	v_lshl_add_u32 v53, v54, 1, v5
	s_delay_alu instid0(VALU_DEP_2)
	v_cmpx_lt_u32_e64 v52, v64
	s_cbranch_execz .LBB1946_550
; %bb.539:
	v_dual_lshlrev_b32 v65, 1, v50 :: v_dual_lshlrev_b32 v66, 1, v55
	s_mov_b32 s9, 0
	s_delay_alu instid0(VALU_DEP_1)
	v_add3_u32 v65, v5, v65, v66
	s_branch .LBB1946_541
.LBB1946_540:                           ;   in Loop: Header=BB1946_541 Depth=1
	s_or_b32 exec_lo, exec_lo, s10
	v_cmp_lt_i32_e64 s7, -1, v67
	s_delay_alu instid0(VALU_DEP_2) | instskip(NEXT) | instid1(VALU_DEP_2)
	v_perm_b32 v67, v68, v67, 0x7060302
	v_cndmask_b32_e64 v69, -1, 0xffff8000, s7
	v_cmp_lt_i32_e64 s7, -1, v68
	s_delay_alu instid0(VALU_DEP_1) | instskip(NEXT) | instid1(VALU_DEP_1)
	v_cndmask_b32_e64 v70, -1, 0xffff8000, s7
	v_perm_b32 v68, v70, v69, 0x5040100
	s_delay_alu instid0(VALU_DEP_1) | instskip(NEXT) | instid1(VALU_DEP_1)
	v_dual_add_nc_u32 v69, 1, v66 :: v_dual_bitop2_b32 v67, v68, v67 bitop3:0x14
	v_lshrrev_b32_e32 v68, 16, v67
	s_delay_alu instid0(VALU_DEP_1) | instskip(NEXT) | instid1(VALU_DEP_1)
	v_cmp_gt_u16_e64 s7, v67, v68
	v_dual_cndmask_b32 v64, v64, v66, s7 :: v_dual_cndmask_b32 v52, v69, v52, s7
	s_delay_alu instid0(VALU_DEP_1) | instskip(SKIP_1) | instid1(SALU_CYCLE_1)
	v_cmp_ge_u32_e64 s7, v52, v64
	s_or_b32 s9, s7, s9
	s_and_not1_b32 exec_lo, exec_lo, s9
	s_cbranch_execz .LBB1946_549
.LBB1946_541:                           ; =>This Inner Loop Header: Depth=1
	v_add_nc_u32_e32 v67, v64, v52
	s_delay_alu instid0(VALU_DEP_1) | instskip(NEXT) | instid1(VALU_DEP_1)
	v_dual_lshrrev_b32 v66, 1, v67 :: v_dual_bitop2_b32 v67, -2, v67 bitop3:0x40
	v_not_b32_e32 v68, v66
	s_delay_alu instid0(VALU_DEP_2) | instskip(NEXT) | instid1(VALU_DEP_2)
	v_add_nc_u32_e32 v67, v53, v67
	v_lshl_add_u32 v68, v68, 1, v65
	ds_load_u16 v69, v68
	ds_load_u16 v68, v67
	s_wait_dscnt 0x1
	v_lshlrev_b32_e32 v67, 16, v69
	s_delay_alu instid0(VALU_DEP_1) | instskip(NEXT) | instid1(VALU_DEP_1)
	v_add_f32_e32 v69, 0, v67
	v_and_b32_e32 v67, 0x7f800000, v69
	s_delay_alu instid0(VALU_DEP_1) | instskip(SKIP_1) | instid1(SALU_CYCLE_1)
	v_cmp_ne_u32_e64 s7, 0x7f800000, v67
                                        ; implicit-def: $vgpr67
	s_and_saveexec_b32 s10, s7
	s_xor_b32 s7, exec_lo, s10
; %bb.542:                              ;   in Loop: Header=BB1946_541 Depth=1
	v_bfe_u32 v67, v69, 16, 1
	s_delay_alu instid0(VALU_DEP_1)
	v_add3_u32 v67, v69, v67, 0x7fff
                                        ; implicit-def: $vgpr69
; %bb.543:                              ;   in Loop: Header=BB1946_541 Depth=1
	s_and_not1_saveexec_b32 s10, s7
; %bb.544:                              ;   in Loop: Header=BB1946_541 Depth=1
	v_and_b32_e32 v67, 0xffff, v69
	v_or_b32_e32 v70, 0x10000, v69
	s_delay_alu instid0(VALU_DEP_2) | instskip(NEXT) | instid1(VALU_DEP_1)
	v_cmp_eq_u32_e64 s7, 0, v67
	v_cndmask_b32_e64 v67, v70, v69, s7
; %bb.545:                              ;   in Loop: Header=BB1946_541 Depth=1
	s_or_b32 exec_lo, exec_lo, s10
	s_wait_dscnt 0x0
	v_lshlrev_b32_e32 v68, 16, v68
	s_delay_alu instid0(VALU_DEP_1) | instskip(NEXT) | instid1(VALU_DEP_1)
	v_add_f32_e32 v69, 0, v68
	v_and_b32_e32 v68, 0x7f800000, v69
	s_delay_alu instid0(VALU_DEP_1) | instskip(SKIP_1) | instid1(SALU_CYCLE_1)
	v_cmp_ne_u32_e64 s7, 0x7f800000, v68
                                        ; implicit-def: $vgpr68
	s_and_saveexec_b32 s10, s7
	s_xor_b32 s7, exec_lo, s10
; %bb.546:                              ;   in Loop: Header=BB1946_541 Depth=1
	v_bfe_u32 v68, v69, 16, 1
	s_delay_alu instid0(VALU_DEP_1)
	v_add3_u32 v68, v69, v68, 0x7fff
                                        ; implicit-def: $vgpr69
; %bb.547:                              ;   in Loop: Header=BB1946_541 Depth=1
	s_and_not1_saveexec_b32 s10, s7
	s_cbranch_execz .LBB1946_540
; %bb.548:                              ;   in Loop: Header=BB1946_541 Depth=1
	v_and_b32_e32 v68, 0xffff, v69
	v_or_b32_e32 v70, 0x10000, v69
	s_delay_alu instid0(VALU_DEP_2) | instskip(NEXT) | instid1(VALU_DEP_1)
	v_cmp_eq_u32_e64 s7, 0, v68
	v_cndmask_b32_e64 v68, v70, v69, s7
	s_branch .LBB1946_540
.LBB1946_549:
	s_or_b32 exec_lo, exec_lo, s9
.LBB1946_550:
	s_delay_alu instid0(SALU_CYCLE_1) | instskip(SKIP_1) | instid1(VALU_DEP_1)
	s_or_b32 exec_lo, exec_lo, s8
	v_dual_add_nc_u32 v55, v50, v55 :: v_dual_add_nc_u32 v54, v52, v54
	v_sub_nc_u32_e32 v55, v55, v52
	s_delay_alu instid0(VALU_DEP_2) | instskip(NEXT) | instid1(VALU_DEP_2)
	v_cmp_le_u32_e64 s7, v54, v50
	v_cmp_le_u32_e64 s8, v55, v51
	s_or_b32 s7, s7, s8
	s_delay_alu instid0(SALU_CYCLE_1)
	s_and_saveexec_b32 s9, s7
	s_cbranch_execz .LBB1946_650
; %bb.551:
	v_cmp_ge_u32_e64 s7, v54, v50
	s_mov_b32 s10, exec_lo
                                        ; implicit-def: $vgpr34
	v_cmpx_lt_u32_e64 v54, v50
; %bb.552:
	v_lshl_add_u32 v10, v52, 1, v53
	ds_load_u16 v34, v10
; %bb.553:
	s_or_b32 exec_lo, exec_lo, s10
	v_cmp_ge_u32_e64 s10, v55, v51
	s_mov_b32 s11, exec_lo
                                        ; implicit-def: $vgpr35
	v_cmpx_lt_u32_e64 v55, v51
; %bb.554:
	v_lshl_add_u32 v10, v55, 1, v5
	ds_load_u16 v35, v10
; %bb.555:
	s_or_b32 exec_lo, exec_lo, s11
	s_nor_b32 s7, s7, s10
	s_delay_alu instid0(SALU_CYCLE_1)
	s_and_saveexec_b32 s8, s7
	s_cbranch_execz .LBB1946_565
; %bb.556:
	s_wait_dscnt 0x0
	v_lshlrev_b32_e32 v10, 16, v35
	s_delay_alu instid0(VALU_DEP_1) | instskip(NEXT) | instid1(VALU_DEP_1)
	v_add_f32_e32 v11, 0, v10
	v_and_b32_e32 v10, 0x7f800000, v11
	s_delay_alu instid0(VALU_DEP_1) | instskip(SKIP_1) | instid1(SALU_CYCLE_1)
	v_cmp_ne_u32_e64 s7, 0x7f800000, v10
                                        ; implicit-def: $vgpr10
	s_and_saveexec_b32 s11, s7
	s_xor_b32 s7, exec_lo, s11
; %bb.557:
	v_bfe_u32 v10, v11, 16, 1
	s_delay_alu instid0(VALU_DEP_1)
	v_add3_u32 v10, v11, v10, 0x7fff
                                        ; implicit-def: $vgpr11
; %bb.558:
	s_and_not1_saveexec_b32 s11, s7
; %bb.559:
	v_and_b32_e32 v10, 0xffff, v11
	v_or_b32_e32 v12, 0x10000, v11
	s_delay_alu instid0(VALU_DEP_2) | instskip(NEXT) | instid1(VALU_DEP_1)
	v_cmp_eq_u32_e64 s7, 0, v10
	v_cndmask_b32_e64 v10, v12, v11, s7
; %bb.560:
	s_or_b32 exec_lo, exec_lo, s11
	v_lshlrev_b32_e32 v11, 16, v34
	s_delay_alu instid0(VALU_DEP_1) | instskip(NEXT) | instid1(VALU_DEP_1)
	v_add_f32_e32 v12, 0, v11
	v_and_b32_e32 v11, 0x7f800000, v12
	s_delay_alu instid0(VALU_DEP_1) | instskip(SKIP_1) | instid1(SALU_CYCLE_1)
	v_cmp_ne_u32_e64 s7, 0x7f800000, v11
                                        ; implicit-def: $vgpr11
	s_and_saveexec_b32 s11, s7
	s_xor_b32 s7, exec_lo, s11
; %bb.561:
	v_bfe_u32 v11, v12, 16, 1
	s_delay_alu instid0(VALU_DEP_1)
	v_add3_u32 v11, v12, v11, 0x7fff
                                        ; implicit-def: $vgpr12
; %bb.562:
	s_and_not1_saveexec_b32 s11, s7
; %bb.563:
	v_and_b32_e32 v11, 0xffff, v12
	v_or_b32_e32 v13, 0x10000, v12
	s_delay_alu instid0(VALU_DEP_2) | instskip(NEXT) | instid1(VALU_DEP_1)
	v_cmp_eq_u32_e64 s7, 0, v11
	v_cndmask_b32_e64 v11, v13, v12, s7
; %bb.564:
	s_or_b32 exec_lo, exec_lo, s11
	v_cmp_lt_i32_e64 s7, -1, v10
	s_delay_alu instid0(VALU_DEP_2) | instskip(SKIP_3) | instid1(VALU_DEP_1)
	v_perm_b32 v10, v11, v10, 0x7060302
	s_and_not1_b32 s10, s10, exec_lo
	v_cndmask_b32_e64 v12, -1, 0xffff8000, s7
	v_cmp_lt_i32_e64 s7, -1, v11
	v_cndmask_b32_e64 v13, -1, 0xffff8000, s7
	s_delay_alu instid0(VALU_DEP_1) | instskip(NEXT) | instid1(VALU_DEP_1)
	v_perm_b32 v11, v13, v12, 0x5040100
	v_xor_b32_e32 v10, v11, v10
	s_delay_alu instid0(VALU_DEP_1) | instskip(NEXT) | instid1(VALU_DEP_1)
	v_lshrrev_b32_e32 v11, 16, v10
	v_cmp_le_u16_e64 s7, v10, v11
	s_and_b32 s7, s7, exec_lo
	s_delay_alu instid0(SALU_CYCLE_1)
	s_or_b32 s10, s10, s7
.LBB1946_565:
	s_or_b32 exec_lo, exec_lo, s8
	v_cndmask_b32_e64 v10, v55, v54, s10
	s_mov_b32 s11, -1
	s_mov_b32 s8, -1
	s_mov_b32 s12, exec_lo
	s_delay_alu instid0(VALU_DEP_1) | instskip(NEXT) | instid1(VALU_DEP_1)
	v_add_nc_u32_e32 v12, 1, v10
	v_dual_cndmask_b32 v11, v51, v50, s10 :: v_dual_cndmask_b32 v15, v54, v12, s10
	s_delay_alu instid0(VALU_DEP_1) | instskip(NEXT) | instid1(VALU_DEP_1)
	v_add_min_u32_e64 v11, v11, -1, v12
	v_lshl_add_u32 v11, v11, 1, v5
	ds_load_u16 v13, v11
	s_wait_dscnt 0x0
	v_cndmask_b32_e64 v37, v13, v35, s10
	v_cndmask_b32_e64 v14, v12, v55, s10
	v_lshl_add_u32 v10, v10, 3, v1
	v_cndmask_b32_e64 v52, v34, v13, s10
	ds_load_b64 v[10:11], v10 offset:4096
	v_cmpx_lt_u32_e64 v14, v51
	s_cbranch_execz .LBB1946_577
; %bb.566:
	s_mov_b32 s13, 0
	s_mov_b32 s8, exec_lo
	v_cmpx_lt_u32_e64 v15, v50
	s_cbranch_execz .LBB1946_576
; %bb.567:
	v_lshlrev_b32_e32 v12, 16, v37
	s_delay_alu instid0(VALU_DEP_1) | instskip(NEXT) | instid1(VALU_DEP_1)
	v_add_f32_e32 v13, 0, v12
	v_and_b32_e32 v12, 0x7f800000, v13
	s_delay_alu instid0(VALU_DEP_1) | instskip(SKIP_1) | instid1(SALU_CYCLE_1)
	v_cmp_ne_u32_e64 s7, 0x7f800000, v12
                                        ; implicit-def: $vgpr12
	s_and_saveexec_b32 s13, s7
	s_xor_b32 s7, exec_lo, s13
; %bb.568:
	v_bfe_u32 v12, v13, 16, 1
	s_delay_alu instid0(VALU_DEP_1)
	v_add3_u32 v12, v13, v12, 0x7fff
                                        ; implicit-def: $vgpr13
; %bb.569:
	s_and_not1_saveexec_b32 s13, s7
; %bb.570:
	v_and_b32_e32 v12, 0xffff, v13
	v_or_b32_e32 v16, 0x10000, v13
	s_delay_alu instid0(VALU_DEP_2) | instskip(NEXT) | instid1(VALU_DEP_1)
	v_cmp_eq_u32_e64 s7, 0, v12
	v_cndmask_b32_e64 v12, v16, v13, s7
; %bb.571:
	s_or_b32 exec_lo, exec_lo, s13
	v_lshlrev_b32_e32 v13, 16, v52
	s_delay_alu instid0(VALU_DEP_1) | instskip(NEXT) | instid1(VALU_DEP_1)
	v_add_f32_e32 v16, 0, v13
	v_and_b32_e32 v13, 0x7f800000, v16
	s_delay_alu instid0(VALU_DEP_1) | instskip(SKIP_1) | instid1(SALU_CYCLE_1)
	v_cmp_ne_u32_e64 s7, 0x7f800000, v13
                                        ; implicit-def: $vgpr13
	s_and_saveexec_b32 s13, s7
	s_xor_b32 s7, exec_lo, s13
; %bb.572:
	v_bfe_u32 v13, v16, 16, 1
	s_delay_alu instid0(VALU_DEP_1)
	v_add3_u32 v13, v16, v13, 0x7fff
                                        ; implicit-def: $vgpr16
; %bb.573:
	s_and_not1_saveexec_b32 s13, s7
; %bb.574:
	v_and_b32_e32 v13, 0xffff, v16
	v_or_b32_e32 v17, 0x10000, v16
	s_delay_alu instid0(VALU_DEP_2) | instskip(NEXT) | instid1(VALU_DEP_1)
	v_cmp_eq_u32_e64 s7, 0, v13
	v_cndmask_b32_e64 v13, v17, v16, s7
; %bb.575:
	s_or_b32 exec_lo, exec_lo, s13
	v_cmp_lt_i32_e64 s7, -1, v12
	s_delay_alu instid0(VALU_DEP_2) | instskip(NEXT) | instid1(VALU_DEP_2)
	v_perm_b32 v12, v13, v12, 0x7060302
	v_cndmask_b32_e64 v16, -1, 0xffff8000, s7
	v_cmp_lt_i32_e64 s7, -1, v13
	s_delay_alu instid0(VALU_DEP_1) | instskip(NEXT) | instid1(VALU_DEP_1)
	v_cndmask_b32_e64 v17, -1, 0xffff8000, s7
	v_perm_b32 v13, v17, v16, 0x5040100
	s_delay_alu instid0(VALU_DEP_1) | instskip(NEXT) | instid1(VALU_DEP_1)
	v_xor_b32_e32 v12, v13, v12
	v_lshrrev_b32_e32 v13, 16, v12
	s_delay_alu instid0(VALU_DEP_1)
	v_cmp_le_u16_e64 s7, v12, v13
	s_and_b32 s13, s7, exec_lo
.LBB1946_576:
	s_or_b32 exec_lo, exec_lo, s8
	s_delay_alu instid0(SALU_CYCLE_1)
	s_or_not1_b32 s8, s13, exec_lo
.LBB1946_577:
	s_or_b32 exec_lo, exec_lo, s12
	v_dual_cndmask_b32 v12, v14, v15, s8 :: v_dual_cndmask_b32 v13, v51, v50, s8
	s_mov_b32 s12, exec_lo
	s_delay_alu instid0(VALU_DEP_1) | instskip(SKIP_1) | instid1(VALU_DEP_2)
	v_add_nc_u32_e32 v17, 1, v12
	v_lshl_add_u32 v12, v12, 3, v1
	v_add_min_u32_e64 v13, v13, -1, v17
	s_delay_alu instid0(VALU_DEP_1)
	v_lshl_add_u32 v13, v13, 1, v5
	ds_load_u16 v18, v13
	ds_load_b64 v[12:13], v12 offset:4096
	s_wait_dscnt 0x1
	v_dual_cndmask_b32 v38, v18, v37, s8 :: v_dual_cndmask_b32 v16, v17, v14, s8
	v_dual_cndmask_b32 v17, v15, v17, s8 :: v_dual_cndmask_b32 v53, v52, v18, s8
	s_delay_alu instid0(VALU_DEP_2)
	v_cmpx_lt_u32_e64 v16, v51
	s_cbranch_execz .LBB1946_589
; %bb.578:
	s_mov_b32 s13, 0
	s_mov_b32 s11, exec_lo
	v_cmpx_lt_u32_e64 v17, v50
	s_cbranch_execz .LBB1946_588
; %bb.579:
	v_lshlrev_b32_e32 v14, 16, v38
	s_delay_alu instid0(VALU_DEP_1) | instskip(NEXT) | instid1(VALU_DEP_1)
	v_add_f32_e32 v15, 0, v14
	v_and_b32_e32 v14, 0x7f800000, v15
	s_delay_alu instid0(VALU_DEP_1) | instskip(SKIP_1) | instid1(SALU_CYCLE_1)
	v_cmp_ne_u32_e64 s7, 0x7f800000, v14
                                        ; implicit-def: $vgpr14
	s_and_saveexec_b32 s13, s7
	s_xor_b32 s7, exec_lo, s13
; %bb.580:
	v_bfe_u32 v14, v15, 16, 1
	s_delay_alu instid0(VALU_DEP_1)
	v_add3_u32 v14, v15, v14, 0x7fff
                                        ; implicit-def: $vgpr15
; %bb.581:
	s_and_not1_saveexec_b32 s13, s7
; %bb.582:
	v_and_b32_e32 v14, 0xffff, v15
	v_or_b32_e32 v18, 0x10000, v15
	s_delay_alu instid0(VALU_DEP_2) | instskip(NEXT) | instid1(VALU_DEP_1)
	v_cmp_eq_u32_e64 s7, 0, v14
	v_cndmask_b32_e64 v14, v18, v15, s7
; %bb.583:
	s_or_b32 exec_lo, exec_lo, s13
	v_lshlrev_b32_e32 v15, 16, v53
	s_delay_alu instid0(VALU_DEP_1) | instskip(NEXT) | instid1(VALU_DEP_1)
	v_add_f32_e32 v18, 0, v15
	v_and_b32_e32 v15, 0x7f800000, v18
	s_delay_alu instid0(VALU_DEP_1) | instskip(SKIP_1) | instid1(SALU_CYCLE_1)
	v_cmp_ne_u32_e64 s7, 0x7f800000, v15
                                        ; implicit-def: $vgpr15
	s_and_saveexec_b32 s13, s7
	s_xor_b32 s7, exec_lo, s13
; %bb.584:
	v_bfe_u32 v15, v18, 16, 1
	s_delay_alu instid0(VALU_DEP_1)
	v_add3_u32 v15, v18, v15, 0x7fff
                                        ; implicit-def: $vgpr18
; %bb.585:
	s_and_not1_saveexec_b32 s13, s7
; %bb.586:
	v_and_b32_e32 v15, 0xffff, v18
	v_or_b32_e32 v19, 0x10000, v18
	s_delay_alu instid0(VALU_DEP_2) | instskip(NEXT) | instid1(VALU_DEP_1)
	v_cmp_eq_u32_e64 s7, 0, v15
	v_cndmask_b32_e64 v15, v19, v18, s7
; %bb.587:
	s_or_b32 exec_lo, exec_lo, s13
	v_cmp_lt_i32_e64 s7, -1, v14
	s_delay_alu instid0(VALU_DEP_2) | instskip(NEXT) | instid1(VALU_DEP_2)
	v_perm_b32 v14, v15, v14, 0x7060302
	v_cndmask_b32_e64 v18, -1, 0xffff8000, s7
	v_cmp_lt_i32_e64 s7, -1, v15
	s_delay_alu instid0(VALU_DEP_1) | instskip(NEXT) | instid1(VALU_DEP_1)
	v_cndmask_b32_e64 v19, -1, 0xffff8000, s7
	v_perm_b32 v15, v19, v18, 0x5040100
	s_delay_alu instid0(VALU_DEP_1) | instskip(NEXT) | instid1(VALU_DEP_1)
	v_xor_b32_e32 v14, v15, v14
	v_lshrrev_b32_e32 v15, 16, v14
	s_delay_alu instid0(VALU_DEP_1)
	v_cmp_le_u16_e64 s7, v14, v15
	s_and_b32 s13, s7, exec_lo
.LBB1946_588:
	s_or_b32 exec_lo, exec_lo, s11
	s_delay_alu instid0(SALU_CYCLE_1)
	s_or_not1_b32 s11, s13, exec_lo
.LBB1946_589:
	s_or_b32 exec_lo, exec_lo, s12
	s_delay_alu instid0(VALU_DEP_2) | instskip(SKIP_3) | instid1(VALU_DEP_1)
	v_dual_cndmask_b32 v14, v16, v17, s11 :: v_dual_cndmask_b32 v15, v51, v50, s11
	s_mov_b32 s13, -1
	s_mov_b32 s12, -1
	s_mov_b32 s14, exec_lo
	v_add_nc_u32_e32 v19, 1, v14
	v_lshl_add_u32 v14, v14, 3, v1
	s_delay_alu instid0(VALU_DEP_2) | instskip(NEXT) | instid1(VALU_DEP_1)
	v_add_min_u32_e64 v15, v15, -1, v19
	v_lshl_add_u32 v15, v15, 1, v5
	ds_load_u16 v20, v15
	ds_load_b64 v[14:15], v14 offset:4096
	s_wait_dscnt 0x1
	v_dual_cndmask_b32 v49, v20, v38, s11 :: v_dual_cndmask_b32 v54, v53, v20, s11
	v_dual_cndmask_b32 v18, v19, v16, s11 :: v_dual_cndmask_b32 v19, v17, v19, s11
	s_delay_alu instid0(VALU_DEP_1)
	v_cmpx_lt_u32_e64 v18, v51
	s_cbranch_execz .LBB1946_601
; %bb.590:
	s_mov_b32 s15, 0
	s_mov_b32 s12, exec_lo
	v_cmpx_lt_u32_e64 v19, v50
	s_cbranch_execz .LBB1946_600
; %bb.591:
	v_lshlrev_b32_e32 v16, 16, v49
	s_delay_alu instid0(VALU_DEP_1) | instskip(NEXT) | instid1(VALU_DEP_1)
	v_add_f32_e32 v17, 0, v16
	v_and_b32_e32 v16, 0x7f800000, v17
	s_delay_alu instid0(VALU_DEP_1) | instskip(SKIP_1) | instid1(SALU_CYCLE_1)
	v_cmp_ne_u32_e64 s7, 0x7f800000, v16
                                        ; implicit-def: $vgpr16
	s_and_saveexec_b32 s15, s7
	s_xor_b32 s7, exec_lo, s15
; %bb.592:
	v_bfe_u32 v16, v17, 16, 1
	s_delay_alu instid0(VALU_DEP_1)
	v_add3_u32 v16, v17, v16, 0x7fff
                                        ; implicit-def: $vgpr17
; %bb.593:
	s_and_not1_saveexec_b32 s15, s7
; %bb.594:
	v_and_b32_e32 v16, 0xffff, v17
	v_or_b32_e32 v20, 0x10000, v17
	s_delay_alu instid0(VALU_DEP_2) | instskip(NEXT) | instid1(VALU_DEP_1)
	v_cmp_eq_u32_e64 s7, 0, v16
	v_cndmask_b32_e64 v16, v20, v17, s7
; %bb.595:
	s_or_b32 exec_lo, exec_lo, s15
	v_lshlrev_b32_e32 v17, 16, v54
	s_delay_alu instid0(VALU_DEP_1) | instskip(NEXT) | instid1(VALU_DEP_1)
	v_add_f32_e32 v20, 0, v17
	v_and_b32_e32 v17, 0x7f800000, v20
	s_delay_alu instid0(VALU_DEP_1) | instskip(SKIP_1) | instid1(SALU_CYCLE_1)
	v_cmp_ne_u32_e64 s7, 0x7f800000, v17
                                        ; implicit-def: $vgpr17
	s_and_saveexec_b32 s15, s7
	s_xor_b32 s7, exec_lo, s15
; %bb.596:
	v_bfe_u32 v17, v20, 16, 1
	s_delay_alu instid0(VALU_DEP_1)
	v_add3_u32 v17, v20, v17, 0x7fff
                                        ; implicit-def: $vgpr20
; %bb.597:
	s_and_not1_saveexec_b32 s15, s7
; %bb.598:
	v_and_b32_e32 v17, 0xffff, v20
	v_or_b32_e32 v21, 0x10000, v20
	s_delay_alu instid0(VALU_DEP_2) | instskip(NEXT) | instid1(VALU_DEP_1)
	v_cmp_eq_u32_e64 s7, 0, v17
	v_cndmask_b32_e64 v17, v21, v20, s7
; %bb.599:
	s_or_b32 exec_lo, exec_lo, s15
	v_cmp_lt_i32_e64 s7, -1, v16
	s_delay_alu instid0(VALU_DEP_2) | instskip(NEXT) | instid1(VALU_DEP_2)
	v_perm_b32 v16, v17, v16, 0x7060302
	v_cndmask_b32_e64 v20, -1, 0xffff8000, s7
	v_cmp_lt_i32_e64 s7, -1, v17
	s_delay_alu instid0(VALU_DEP_1) | instskip(NEXT) | instid1(VALU_DEP_1)
	v_cndmask_b32_e64 v21, -1, 0xffff8000, s7
	v_perm_b32 v17, v21, v20, 0x5040100
	s_delay_alu instid0(VALU_DEP_1) | instskip(NEXT) | instid1(VALU_DEP_1)
	v_xor_b32_e32 v16, v17, v16
	v_lshrrev_b32_e32 v17, 16, v16
	s_delay_alu instid0(VALU_DEP_1)
	v_cmp_le_u16_e64 s7, v16, v17
	s_and_b32 s15, s7, exec_lo
.LBB1946_600:
	s_or_b32 exec_lo, exec_lo, s12
	s_delay_alu instid0(SALU_CYCLE_1)
	s_or_not1_b32 s12, s15, exec_lo
.LBB1946_601:
	s_or_b32 exec_lo, exec_lo, s14
	s_delay_alu instid0(VALU_DEP_2) | instskip(SKIP_1) | instid1(VALU_DEP_1)
	v_dual_cndmask_b32 v16, v18, v19, s12 :: v_dual_cndmask_b32 v17, v51, v50, s12
	s_mov_b32 s14, exec_lo
	v_add_nc_u32_e32 v21, 1, v16
	v_lshl_add_u32 v16, v16, 3, v1
	s_delay_alu instid0(VALU_DEP_2) | instskip(NEXT) | instid1(VALU_DEP_1)
	v_add_min_u32_e64 v17, v17, -1, v21
	v_lshl_add_u32 v17, v17, 1, v5
	ds_load_u16 v22, v17
	ds_load_b64 v[16:17], v16 offset:4096
	s_wait_dscnt 0x1
	v_dual_cndmask_b32 v39, v22, v49, s12 :: v_dual_cndmask_b32 v20, v21, v18, s12
	v_dual_cndmask_b32 v21, v19, v21, s12 :: v_dual_cndmask_b32 v55, v54, v22, s12
	s_delay_alu instid0(VALU_DEP_2)
	v_cmpx_lt_u32_e64 v20, v51
	s_cbranch_execz .LBB1946_613
; %bb.602:
	s_mov_b32 s15, 0
	s_mov_b32 s13, exec_lo
	v_cmpx_lt_u32_e64 v21, v50
	s_cbranch_execz .LBB1946_612
; %bb.603:
	v_lshlrev_b32_e32 v18, 16, v39
	s_delay_alu instid0(VALU_DEP_1) | instskip(NEXT) | instid1(VALU_DEP_1)
	v_add_f32_e32 v19, 0, v18
	v_and_b32_e32 v18, 0x7f800000, v19
	s_delay_alu instid0(VALU_DEP_1) | instskip(SKIP_1) | instid1(SALU_CYCLE_1)
	v_cmp_ne_u32_e64 s7, 0x7f800000, v18
                                        ; implicit-def: $vgpr18
	s_and_saveexec_b32 s15, s7
	s_xor_b32 s7, exec_lo, s15
; %bb.604:
	v_bfe_u32 v18, v19, 16, 1
	s_delay_alu instid0(VALU_DEP_1)
	v_add3_u32 v18, v19, v18, 0x7fff
                                        ; implicit-def: $vgpr19
; %bb.605:
	s_and_not1_saveexec_b32 s15, s7
; %bb.606:
	v_and_b32_e32 v18, 0xffff, v19
	v_or_b32_e32 v22, 0x10000, v19
	s_delay_alu instid0(VALU_DEP_2) | instskip(NEXT) | instid1(VALU_DEP_1)
	v_cmp_eq_u32_e64 s7, 0, v18
	v_cndmask_b32_e64 v18, v22, v19, s7
; %bb.607:
	s_or_b32 exec_lo, exec_lo, s15
	v_lshlrev_b32_e32 v19, 16, v55
	s_delay_alu instid0(VALU_DEP_1) | instskip(NEXT) | instid1(VALU_DEP_1)
	v_add_f32_e32 v22, 0, v19
	v_and_b32_e32 v19, 0x7f800000, v22
	s_delay_alu instid0(VALU_DEP_1) | instskip(SKIP_1) | instid1(SALU_CYCLE_1)
	v_cmp_ne_u32_e64 s7, 0x7f800000, v19
                                        ; implicit-def: $vgpr19
	s_and_saveexec_b32 s15, s7
	s_xor_b32 s7, exec_lo, s15
; %bb.608:
	v_bfe_u32 v19, v22, 16, 1
	s_delay_alu instid0(VALU_DEP_1)
	v_add3_u32 v19, v22, v19, 0x7fff
                                        ; implicit-def: $vgpr22
; %bb.609:
	s_and_not1_saveexec_b32 s15, s7
; %bb.610:
	v_and_b32_e32 v19, 0xffff, v22
	v_or_b32_e32 v23, 0x10000, v22
	s_delay_alu instid0(VALU_DEP_2) | instskip(NEXT) | instid1(VALU_DEP_1)
	v_cmp_eq_u32_e64 s7, 0, v19
	v_cndmask_b32_e64 v19, v23, v22, s7
; %bb.611:
	s_or_b32 exec_lo, exec_lo, s15
	v_cmp_lt_i32_e64 s7, -1, v18
	s_delay_alu instid0(VALU_DEP_2) | instskip(NEXT) | instid1(VALU_DEP_2)
	v_perm_b32 v18, v19, v18, 0x7060302
	v_cndmask_b32_e64 v22, -1, 0xffff8000, s7
	v_cmp_lt_i32_e64 s7, -1, v19
	s_delay_alu instid0(VALU_DEP_1) | instskip(NEXT) | instid1(VALU_DEP_1)
	v_cndmask_b32_e64 v23, -1, 0xffff8000, s7
	v_perm_b32 v19, v23, v22, 0x5040100
	s_delay_alu instid0(VALU_DEP_1) | instskip(NEXT) | instid1(VALU_DEP_1)
	v_xor_b32_e32 v18, v19, v18
	v_lshrrev_b32_e32 v19, 16, v18
	s_delay_alu instid0(VALU_DEP_1)
	v_cmp_le_u16_e64 s7, v18, v19
	s_and_b32 s15, s7, exec_lo
.LBB1946_612:
	s_or_b32 exec_lo, exec_lo, s13
	s_delay_alu instid0(SALU_CYCLE_1)
	s_or_not1_b32 s13, s15, exec_lo
.LBB1946_613:
	s_or_b32 exec_lo, exec_lo, s14
	s_delay_alu instid0(VALU_DEP_2) | instskip(SKIP_3) | instid1(VALU_DEP_1)
	v_dual_cndmask_b32 v18, v20, v21, s13 :: v_dual_cndmask_b32 v19, v51, v50, s13
	s_mov_b32 s15, -1
	s_mov_b32 s14, -1
	s_mov_b32 s16, exec_lo
	v_add_nc_u32_e32 v22, 1, v18
	v_lshl_add_u32 v18, v18, 3, v1
	s_delay_alu instid0(VALU_DEP_2) | instskip(NEXT) | instid1(VALU_DEP_1)
	v_add_min_u32_e64 v19, v19, -1, v22
	v_lshl_add_u32 v19, v19, 1, v5
	ds_load_u16 v23, v19
	ds_load_b64 v[18:19], v18 offset:4096
	s_wait_dscnt 0x1
	v_dual_cndmask_b32 v36, v23, v39, s13 :: v_dual_cndmask_b32 v20, v22, v20, s13
	v_dual_cndmask_b32 v21, v21, v22, s13 :: v_dual_cndmask_b32 v64, v55, v23, s13
	s_delay_alu instid0(VALU_DEP_2)
	v_cmpx_lt_u32_e64 v20, v51
	s_cbranch_execz .LBB1946_625
; %bb.614:
	s_mov_b32 s17, 0
	s_mov_b32 s14, exec_lo
	v_cmpx_lt_u32_e64 v21, v50
	s_cbranch_execz .LBB1946_624
; %bb.615:
	v_lshlrev_b32_e32 v22, 16, v36
	s_delay_alu instid0(VALU_DEP_1) | instskip(NEXT) | instid1(VALU_DEP_1)
	v_add_f32_e32 v23, 0, v22
	v_and_b32_e32 v22, 0x7f800000, v23
	s_delay_alu instid0(VALU_DEP_1) | instskip(SKIP_1) | instid1(SALU_CYCLE_1)
	v_cmp_ne_u32_e64 s7, 0x7f800000, v22
                                        ; implicit-def: $vgpr22
	s_and_saveexec_b32 s17, s7
	s_xor_b32 s7, exec_lo, s17
; %bb.616:
	v_bfe_u32 v22, v23, 16, 1
	s_delay_alu instid0(VALU_DEP_1)
	v_add3_u32 v22, v23, v22, 0x7fff
                                        ; implicit-def: $vgpr23
; %bb.617:
	s_and_not1_saveexec_b32 s17, s7
; %bb.618:
	v_and_b32_e32 v22, 0xffff, v23
	v_or_b32_e32 v24, 0x10000, v23
	s_delay_alu instid0(VALU_DEP_2) | instskip(NEXT) | instid1(VALU_DEP_1)
	v_cmp_eq_u32_e64 s7, 0, v22
	v_cndmask_b32_e64 v22, v24, v23, s7
; %bb.619:
	s_or_b32 exec_lo, exec_lo, s17
	v_lshlrev_b32_e32 v23, 16, v64
	s_delay_alu instid0(VALU_DEP_1) | instskip(NEXT) | instid1(VALU_DEP_1)
	v_add_f32_e32 v24, 0, v23
	v_and_b32_e32 v23, 0x7f800000, v24
	s_delay_alu instid0(VALU_DEP_1) | instskip(SKIP_1) | instid1(SALU_CYCLE_1)
	v_cmp_ne_u32_e64 s7, 0x7f800000, v23
                                        ; implicit-def: $vgpr23
	s_and_saveexec_b32 s17, s7
	s_xor_b32 s7, exec_lo, s17
; %bb.620:
	v_bfe_u32 v23, v24, 16, 1
	s_delay_alu instid0(VALU_DEP_1)
	v_add3_u32 v23, v24, v23, 0x7fff
                                        ; implicit-def: $vgpr24
; %bb.621:
	s_and_not1_saveexec_b32 s17, s7
; %bb.622:
	v_and_b32_e32 v23, 0xffff, v24
	v_or_b32_e32 v25, 0x10000, v24
	s_delay_alu instid0(VALU_DEP_2) | instskip(NEXT) | instid1(VALU_DEP_1)
	v_cmp_eq_u32_e64 s7, 0, v23
	v_cndmask_b32_e64 v23, v25, v24, s7
; %bb.623:
	s_or_b32 exec_lo, exec_lo, s17
	v_cmp_lt_i32_e64 s7, -1, v22
	s_delay_alu instid0(VALU_DEP_2) | instskip(NEXT) | instid1(VALU_DEP_2)
	v_perm_b32 v22, v23, v22, 0x7060302
	v_cndmask_b32_e64 v24, -1, 0xffff8000, s7
	v_cmp_lt_i32_e64 s7, -1, v23
	s_delay_alu instid0(VALU_DEP_1) | instskip(NEXT) | instid1(VALU_DEP_1)
	v_cndmask_b32_e64 v25, -1, 0xffff8000, s7
	v_perm_b32 v23, v25, v24, 0x5040100
	s_delay_alu instid0(VALU_DEP_1) | instskip(NEXT) | instid1(VALU_DEP_1)
	v_xor_b32_e32 v22, v23, v22
	v_lshrrev_b32_e32 v23, 16, v22
	s_delay_alu instid0(VALU_DEP_1)
	v_cmp_le_u16_e64 s7, v22, v23
	s_and_b32 s17, s7, exec_lo
.LBB1946_624:
	s_or_b32 exec_lo, exec_lo, s14
	s_delay_alu instid0(SALU_CYCLE_1)
	s_or_not1_b32 s14, s17, exec_lo
.LBB1946_625:
	s_or_b32 exec_lo, exec_lo, s16
	s_delay_alu instid0(VALU_DEP_2) | instskip(SKIP_1) | instid1(VALU_DEP_1)
	v_dual_cndmask_b32 v22, v20, v21, s14 :: v_dual_cndmask_b32 v23, v51, v50, s14
	s_mov_b32 s16, exec_lo
	v_add_nc_u32_e32 v25, 1, v22
	v_lshl_add_u32 v22, v22, 3, v1
	s_delay_alu instid0(VALU_DEP_2) | instskip(NEXT) | instid1(VALU_DEP_1)
	v_add_min_u32_e64 v23, v23, -1, v25
	v_lshl_add_u32 v23, v23, 1, v5
	ds_load_u16 v65, v23
	ds_load_b64 v[22:23], v22 offset:4096
	s_wait_dscnt 0x1
	v_cndmask_b32_e64 v48, v65, v36, s14
	v_dual_cndmask_b32 v24, v25, v20, s14 :: v_dual_cndmask_b32 v65, v64, v65, s14
	v_cndmask_b32_e64 v25, v21, v25, s14
	s_delay_alu instid0(VALU_DEP_2)
	v_cmpx_lt_u32_e64 v24, v51
	s_cbranch_execz .LBB1946_637
; %bb.626:
	s_mov_b32 s17, 0
	s_mov_b32 s15, exec_lo
	v_cmpx_lt_u32_e64 v25, v50
	s_cbranch_execz .LBB1946_636
; %bb.627:
	v_lshlrev_b32_e32 v20, 16, v48
	s_delay_alu instid0(VALU_DEP_1) | instskip(NEXT) | instid1(VALU_DEP_1)
	v_add_f32_e32 v21, 0, v20
	v_and_b32_e32 v20, 0x7f800000, v21
	s_delay_alu instid0(VALU_DEP_1) | instskip(SKIP_1) | instid1(SALU_CYCLE_1)
	v_cmp_ne_u32_e64 s7, 0x7f800000, v20
                                        ; implicit-def: $vgpr20
	s_and_saveexec_b32 s17, s7
	s_xor_b32 s7, exec_lo, s17
; %bb.628:
	v_bfe_u32 v20, v21, 16, 1
	s_delay_alu instid0(VALU_DEP_1)
	v_add3_u32 v20, v21, v20, 0x7fff
                                        ; implicit-def: $vgpr21
; %bb.629:
	s_and_not1_saveexec_b32 s17, s7
; %bb.630:
	v_and_b32_e32 v20, 0xffff, v21
	v_or_b32_e32 v66, 0x10000, v21
	s_delay_alu instid0(VALU_DEP_2) | instskip(NEXT) | instid1(VALU_DEP_1)
	v_cmp_eq_u32_e64 s7, 0, v20
	v_cndmask_b32_e64 v20, v66, v21, s7
; %bb.631:
	s_or_b32 exec_lo, exec_lo, s17
	v_lshlrev_b32_e32 v21, 16, v65
	s_delay_alu instid0(VALU_DEP_1) | instskip(NEXT) | instid1(VALU_DEP_1)
	v_add_f32_e32 v66, 0, v21
	v_and_b32_e32 v21, 0x7f800000, v66
	s_delay_alu instid0(VALU_DEP_1) | instskip(SKIP_1) | instid1(SALU_CYCLE_1)
	v_cmp_ne_u32_e64 s7, 0x7f800000, v21
                                        ; implicit-def: $vgpr21
	s_and_saveexec_b32 s17, s7
	s_xor_b32 s7, exec_lo, s17
; %bb.632:
	v_bfe_u32 v21, v66, 16, 1
	s_delay_alu instid0(VALU_DEP_1)
	v_add3_u32 v21, v66, v21, 0x7fff
                                        ; implicit-def: $vgpr66
; %bb.633:
	s_and_not1_saveexec_b32 s17, s7
; %bb.634:
	v_and_b32_e32 v21, 0xffff, v66
	v_or_b32_e32 v67, 0x10000, v66
	s_delay_alu instid0(VALU_DEP_2) | instskip(NEXT) | instid1(VALU_DEP_1)
	v_cmp_eq_u32_e64 s7, 0, v21
	v_cndmask_b32_e64 v21, v67, v66, s7
; %bb.635:
	s_or_b32 exec_lo, exec_lo, s17
	v_cmp_lt_i32_e64 s7, -1, v20
	s_delay_alu instid0(VALU_DEP_2) | instskip(NEXT) | instid1(VALU_DEP_2)
	v_perm_b32 v20, v21, v20, 0x7060302
	v_cndmask_b32_e64 v66, -1, 0xffff8000, s7
	v_cmp_lt_i32_e64 s7, -1, v21
	s_delay_alu instid0(VALU_DEP_1) | instskip(NEXT) | instid1(VALU_DEP_1)
	v_cndmask_b32_e64 v67, -1, 0xffff8000, s7
	v_perm_b32 v21, v67, v66, 0x5040100
	s_delay_alu instid0(VALU_DEP_1) | instskip(NEXT) | instid1(VALU_DEP_1)
	v_xor_b32_e32 v20, v21, v20
	v_lshrrev_b32_e32 v21, 16, v20
	s_delay_alu instid0(VALU_DEP_1)
	v_cmp_le_u16_e64 s7, v20, v21
	s_and_b32 s17, s7, exec_lo
.LBB1946_636:
	s_or_b32 exec_lo, exec_lo, s15
	s_delay_alu instid0(SALU_CYCLE_1)
	s_or_not1_b32 s15, s17, exec_lo
.LBB1946_637:
	s_or_b32 exec_lo, exec_lo, s16
	s_delay_alu instid0(VALU_DEP_2) | instskip(SKIP_2) | instid1(VALU_DEP_1)
	v_dual_cndmask_b32 v20, v24, v25, s15 :: v_dual_cndmask_b32 v21, v51, v50, s15
	s_mov_b32 s17, -1
	s_mov_b32 s16, exec_lo
	v_add_nc_u32_e32 v66, 1, v20
	v_lshl_add_u32 v20, v20, 3, v1
	s_delay_alu instid0(VALU_DEP_2) | instskip(SKIP_1) | instid1(VALU_DEP_2)
	v_add_min_u32_e64 v21, v21, -1, v66
	v_dual_cndmask_b32 v24, v66, v24, s15 :: v_dual_cndmask_b32 v25, v25, v66, s15
	v_lshl_add_u32 v21, v21, 1, v5
	ds_load_u16 v67, v21
	ds_load_b64 v[20:21], v20 offset:4096
	s_wait_dscnt 0x1
	v_dual_cndmask_b32 v66, v67, v48, s15 :: v_dual_cndmask_b32 v67, v65, v67, s15
	v_cmpx_lt_u32_e64 v24, v51
	s_cbranch_execz .LBB1946_649
; %bb.638:
	s_mov_b32 s18, 0
	s_mov_b32 s17, exec_lo
	v_cmpx_lt_u32_e64 v25, v50
	s_cbranch_execz .LBB1946_648
; %bb.639:
	v_lshlrev_b32_e32 v50, 16, v66
	s_delay_alu instid0(VALU_DEP_1) | instskip(NEXT) | instid1(VALU_DEP_1)
	v_add_f32_e32 v51, 0, v50
	v_and_b32_e32 v50, 0x7f800000, v51
	s_delay_alu instid0(VALU_DEP_1) | instskip(SKIP_1) | instid1(SALU_CYCLE_1)
	v_cmp_ne_u32_e64 s7, 0x7f800000, v50
                                        ; implicit-def: $vgpr50
	s_and_saveexec_b32 s18, s7
	s_xor_b32 s7, exec_lo, s18
; %bb.640:
	v_bfe_u32 v50, v51, 16, 1
	s_delay_alu instid0(VALU_DEP_1)
	v_add3_u32 v50, v51, v50, 0x7fff
                                        ; implicit-def: $vgpr51
; %bb.641:
	s_and_not1_saveexec_b32 s18, s7
; %bb.642:
	v_and_b32_e32 v50, 0xffff, v51
	v_or_b32_e32 v68, 0x10000, v51
	s_delay_alu instid0(VALU_DEP_2) | instskip(NEXT) | instid1(VALU_DEP_1)
	v_cmp_eq_u32_e64 s7, 0, v50
	v_cndmask_b32_e64 v50, v68, v51, s7
; %bb.643:
	s_or_b32 exec_lo, exec_lo, s18
	v_lshlrev_b32_e32 v51, 16, v67
	s_delay_alu instid0(VALU_DEP_1) | instskip(NEXT) | instid1(VALU_DEP_1)
	v_add_f32_e32 v68, 0, v51
	v_and_b32_e32 v51, 0x7f800000, v68
	s_delay_alu instid0(VALU_DEP_1) | instskip(SKIP_1) | instid1(SALU_CYCLE_1)
	v_cmp_ne_u32_e64 s7, 0x7f800000, v51
                                        ; implicit-def: $vgpr51
	s_and_saveexec_b32 s18, s7
	s_xor_b32 s7, exec_lo, s18
; %bb.644:
	v_bfe_u32 v51, v68, 16, 1
	s_delay_alu instid0(VALU_DEP_1)
	v_add3_u32 v51, v68, v51, 0x7fff
                                        ; implicit-def: $vgpr68
; %bb.645:
	s_and_not1_saveexec_b32 s18, s7
; %bb.646:
	v_and_b32_e32 v51, 0xffff, v68
	v_or_b32_e32 v69, 0x10000, v68
	s_delay_alu instid0(VALU_DEP_2) | instskip(NEXT) | instid1(VALU_DEP_1)
	v_cmp_eq_u32_e64 s7, 0, v51
	v_cndmask_b32_e64 v51, v69, v68, s7
; %bb.647:
	s_or_b32 exec_lo, exec_lo, s18
	v_cmp_lt_i32_e64 s7, -1, v50
	s_delay_alu instid0(VALU_DEP_2) | instskip(NEXT) | instid1(VALU_DEP_2)
	v_perm_b32 v50, v51, v50, 0x7060302
	v_cndmask_b32_e64 v68, -1, 0xffff8000, s7
	v_cmp_lt_i32_e64 s7, -1, v51
	s_delay_alu instid0(VALU_DEP_1) | instskip(NEXT) | instid1(VALU_DEP_1)
	v_cndmask_b32_e64 v69, -1, 0xffff8000, s7
	v_perm_b32 v51, v69, v68, 0x5040100
	s_delay_alu instid0(VALU_DEP_1) | instskip(NEXT) | instid1(VALU_DEP_1)
	v_xor_b32_e32 v50, v51, v50
	v_lshrrev_b32_e32 v51, 16, v50
	s_delay_alu instid0(VALU_DEP_1)
	v_cmp_le_u16_e64 s7, v50, v51
	s_and_b32 s18, s7, exec_lo
.LBB1946_648:
	s_or_b32 exec_lo, exec_lo, s17
	s_delay_alu instid0(SALU_CYCLE_1)
	s_or_not1_b32 s17, s18, exec_lo
.LBB1946_649:
	s_or_b32 exec_lo, exec_lo, s16
	v_dual_cndmask_b32 v24, v24, v25, s17 :: v_dual_cndmask_b32 v39, v39, v55, s13
	v_dual_cndmask_b32 v48, v48, v65, s15 :: v_dual_cndmask_b32 v49, v49, v54, s12
	;; [unrolled: 1-line block ×3, first 2 shown]
	s_delay_alu instid0(VALU_DEP_3)
	v_lshl_add_u32 v24, v24, 3, v1
	v_dual_cndmask_b32 v37, v37, v52, s8 :: v_dual_cndmask_b32 v34, v35, v34, s10
	v_cndmask_b32_e64 v35, v66, v67, s17
	ds_load_b64 v[24:25], v24 offset:4096
.LBB1946_650:
	s_or_b32 exec_lo, exec_lo, s9
	v_and_b32_e32 v51, 0x80, v33
	; wave barrier
	ds_store_2addr_b64 v30, v[14:15], v[16:17] offset1:1
	ds_store_2addr_b64 v31, v[18:19], v[22:23] offset1:1
	v_perm_b32 v55, v35, v48, 0x5040100
	v_or_b32_e32 v33, 64, v51
	v_lshl_add_u32 v30, v51, 1, v5
	v_perm_b32 v54, v36, v39, 0x5040100
	v_perm_b32 v65, v49, v38, 0x5040100
	v_perm_b32 v64, v37, v34, 0x5040100
	v_min_u32_e32 v33, v26, v33
	s_mov_b32 s8, exec_lo
	ds_store_2addr_b64 v29, v[10:11], v[12:13] offset1:1
	ds_store_2addr_b64 v27, v[64:65], v[54:55] offset1:1
	s_wait_dscnt 0x4
	ds_store_2addr_b64 v28, v[20:21], v[24:25] offset1:1
	v_add_min_u32_e64 v50, v33, 64, v26
	v_min_u32_e32 v26, v26, v32
	v_sub_nc_u32_e32 v32, v33, v51
	; wave barrier
	s_delay_alu instid0(VALU_DEP_3) | instskip(NEXT) | instid1(VALU_DEP_2)
	v_sub_nc_u32_e32 v53, v50, v33
	v_min_u32_e32 v52, v26, v32
	s_delay_alu instid0(VALU_DEP_2) | instskip(NEXT) | instid1(VALU_DEP_1)
	v_sub_nc_u32_e64 v32, v26, v53 clamp
	v_cmpx_lt_u32_e64 v32, v52
	s_cbranch_execz .LBB1946_662
; %bb.651:
	v_dual_lshlrev_b32 v27, 1, v33 :: v_dual_lshlrev_b32 v28, 1, v26
	s_mov_b32 s9, 0
	s_delay_alu instid0(VALU_DEP_1)
	v_add3_u32 v27, v5, v27, v28
	s_branch .LBB1946_653
.LBB1946_652:                           ;   in Loop: Header=BB1946_653 Depth=1
	s_or_b32 exec_lo, exec_lo, s10
	v_cmp_lt_i32_e64 s7, -1, v29
	s_delay_alu instid0(VALU_DEP_2) | instskip(NEXT) | instid1(VALU_DEP_2)
	v_perm_b32 v29, v31, v29, 0x7060302
	v_cndmask_b32_e64 v53, -1, 0xffff8000, s7
	v_cmp_lt_i32_e64 s7, -1, v31
	s_delay_alu instid0(VALU_DEP_1) | instskip(NEXT) | instid1(VALU_DEP_1)
	v_cndmask_b32_e64 v54, -1, 0xffff8000, s7
	v_perm_b32 v31, v54, v53, 0x5040100
	s_delay_alu instid0(VALU_DEP_1) | instskip(NEXT) | instid1(VALU_DEP_1)
	v_dual_add_nc_u32 v53, 1, v28 :: v_dual_bitop2_b32 v29, v31, v29 bitop3:0x14
	v_lshrrev_b32_e32 v31, 16, v29
	s_delay_alu instid0(VALU_DEP_1) | instskip(NEXT) | instid1(VALU_DEP_1)
	v_cmp_gt_u16_e64 s7, v29, v31
	v_cndmask_b32_e64 v52, v52, v28, s7
	s_delay_alu instid0(VALU_DEP_4) | instskip(NEXT) | instid1(VALU_DEP_1)
	v_cndmask_b32_e64 v32, v53, v32, s7
	v_cmp_ge_u32_e64 s7, v32, v52
	s_or_b32 s9, s7, s9
	s_delay_alu instid0(SALU_CYCLE_1)
	s_and_not1_b32 exec_lo, exec_lo, s9
	s_cbranch_execz .LBB1946_661
.LBB1946_653:                           ; =>This Inner Loop Header: Depth=1
	v_add_nc_u32_e32 v29, v52, v32
	s_delay_alu instid0(VALU_DEP_1) | instskip(NEXT) | instid1(VALU_DEP_1)
	v_dual_lshrrev_b32 v28, 1, v29 :: v_dual_bitop2_b32 v29, -2, v29 bitop3:0x40
	v_not_b32_e32 v31, v28
	s_delay_alu instid0(VALU_DEP_2) | instskip(NEXT) | instid1(VALU_DEP_2)
	v_add_nc_u32_e32 v29, v30, v29
	v_lshl_add_u32 v31, v31, 1, v27
	ds_load_u16 v53, v31
	ds_load_u16 v31, v29
	s_wait_dscnt 0x1
	v_lshlrev_b32_e32 v29, 16, v53
	s_delay_alu instid0(VALU_DEP_1) | instskip(NEXT) | instid1(VALU_DEP_1)
	v_add_f32_e32 v53, 0, v29
	v_and_b32_e32 v29, 0x7f800000, v53
	s_delay_alu instid0(VALU_DEP_1) | instskip(SKIP_1) | instid1(SALU_CYCLE_1)
	v_cmp_ne_u32_e64 s7, 0x7f800000, v29
                                        ; implicit-def: $vgpr29
	s_and_saveexec_b32 s10, s7
	s_xor_b32 s7, exec_lo, s10
; %bb.654:                              ;   in Loop: Header=BB1946_653 Depth=1
	v_bfe_u32 v29, v53, 16, 1
	s_delay_alu instid0(VALU_DEP_1)
	v_add3_u32 v29, v53, v29, 0x7fff
                                        ; implicit-def: $vgpr53
; %bb.655:                              ;   in Loop: Header=BB1946_653 Depth=1
	s_and_not1_saveexec_b32 s10, s7
; %bb.656:                              ;   in Loop: Header=BB1946_653 Depth=1
	v_and_b32_e32 v29, 0xffff, v53
	v_or_b32_e32 v54, 0x10000, v53
	s_delay_alu instid0(VALU_DEP_2) | instskip(NEXT) | instid1(VALU_DEP_1)
	v_cmp_eq_u32_e64 s7, 0, v29
	v_cndmask_b32_e64 v29, v54, v53, s7
; %bb.657:                              ;   in Loop: Header=BB1946_653 Depth=1
	s_or_b32 exec_lo, exec_lo, s10
	s_wait_dscnt 0x0
	v_lshlrev_b32_e32 v31, 16, v31
	s_delay_alu instid0(VALU_DEP_1) | instskip(NEXT) | instid1(VALU_DEP_1)
	v_add_f32_e32 v53, 0, v31
	v_and_b32_e32 v31, 0x7f800000, v53
	s_delay_alu instid0(VALU_DEP_1) | instskip(SKIP_1) | instid1(SALU_CYCLE_1)
	v_cmp_ne_u32_e64 s7, 0x7f800000, v31
                                        ; implicit-def: $vgpr31
	s_and_saveexec_b32 s10, s7
	s_xor_b32 s7, exec_lo, s10
; %bb.658:                              ;   in Loop: Header=BB1946_653 Depth=1
	v_bfe_u32 v31, v53, 16, 1
	s_delay_alu instid0(VALU_DEP_1)
	v_add3_u32 v31, v53, v31, 0x7fff
                                        ; implicit-def: $vgpr53
; %bb.659:                              ;   in Loop: Header=BB1946_653 Depth=1
	s_and_not1_saveexec_b32 s10, s7
	s_cbranch_execz .LBB1946_652
; %bb.660:                              ;   in Loop: Header=BB1946_653 Depth=1
	v_and_b32_e32 v31, 0xffff, v53
	v_or_b32_e32 v54, 0x10000, v53
	s_delay_alu instid0(VALU_DEP_2) | instskip(NEXT) | instid1(VALU_DEP_1)
	v_cmp_eq_u32_e64 s7, 0, v31
	v_cndmask_b32_e64 v31, v54, v53, s7
	s_branch .LBB1946_652
.LBB1946_661:
	s_or_b32 exec_lo, exec_lo, s9
.LBB1946_662:
	s_delay_alu instid0(SALU_CYCLE_1) | instskip(SKIP_1) | instid1(VALU_DEP_1)
	s_or_b32 exec_lo, exec_lo, s8
	v_dual_add_nc_u32 v26, v33, v26 :: v_dual_add_nc_u32 v28, v32, v51
	v_sub_nc_u32_e32 v29, v26, v32
	s_delay_alu instid0(VALU_DEP_2) | instskip(NEXT) | instid1(VALU_DEP_2)
	v_cmp_le_u32_e64 s7, v28, v33
	v_cmp_le_u32_e64 s8, v29, v50
	s_or_b32 s7, s7, s8
	s_delay_alu instid0(SALU_CYCLE_1)
	s_and_saveexec_b32 s9, s7
	s_cbranch_execz .LBB1946_762
; %bb.663:
	v_cmp_ge_u32_e64 s7, v28, v33
	s_mov_b32 s10, exec_lo
                                        ; implicit-def: $vgpr26
	v_cmpx_lt_u32_e64 v28, v33
; %bb.664:
	v_lshl_add_u32 v10, v32, 1, v30
	ds_load_u16 v26, v10
; %bb.665:
	s_or_b32 exec_lo, exec_lo, s10
	v_cmp_ge_u32_e64 s10, v29, v50
	s_mov_b32 s11, exec_lo
                                        ; implicit-def: $vgpr27
	v_cmpx_lt_u32_e64 v29, v50
; %bb.666:
	v_lshl_add_u32 v10, v29, 1, v5
	ds_load_u16 v27, v10
; %bb.667:
	s_or_b32 exec_lo, exec_lo, s11
	s_nor_b32 s7, s7, s10
	s_delay_alu instid0(SALU_CYCLE_1)
	s_and_saveexec_b32 s8, s7
	s_cbranch_execz .LBB1946_677
; %bb.668:
	s_wait_dscnt 0x0
	v_lshlrev_b32_e32 v10, 16, v27
	s_delay_alu instid0(VALU_DEP_1) | instskip(NEXT) | instid1(VALU_DEP_1)
	v_add_f32_e32 v11, 0, v10
	v_and_b32_e32 v10, 0x7f800000, v11
	s_delay_alu instid0(VALU_DEP_1) | instskip(SKIP_1) | instid1(SALU_CYCLE_1)
	v_cmp_ne_u32_e64 s7, 0x7f800000, v10
                                        ; implicit-def: $vgpr10
	s_and_saveexec_b32 s11, s7
	s_xor_b32 s7, exec_lo, s11
; %bb.669:
	v_bfe_u32 v10, v11, 16, 1
	s_delay_alu instid0(VALU_DEP_1)
	v_add3_u32 v10, v11, v10, 0x7fff
                                        ; implicit-def: $vgpr11
; %bb.670:
	s_and_not1_saveexec_b32 s11, s7
; %bb.671:
	v_and_b32_e32 v10, 0xffff, v11
	v_or_b32_e32 v12, 0x10000, v11
	s_delay_alu instid0(VALU_DEP_2) | instskip(NEXT) | instid1(VALU_DEP_1)
	v_cmp_eq_u32_e64 s7, 0, v10
	v_cndmask_b32_e64 v10, v12, v11, s7
; %bb.672:
	s_or_b32 exec_lo, exec_lo, s11
	v_lshlrev_b32_e32 v11, 16, v26
	s_delay_alu instid0(VALU_DEP_1) | instskip(NEXT) | instid1(VALU_DEP_1)
	v_add_f32_e32 v12, 0, v11
	v_and_b32_e32 v11, 0x7f800000, v12
	s_delay_alu instid0(VALU_DEP_1) | instskip(SKIP_1) | instid1(SALU_CYCLE_1)
	v_cmp_ne_u32_e64 s7, 0x7f800000, v11
                                        ; implicit-def: $vgpr11
	s_and_saveexec_b32 s11, s7
	s_xor_b32 s7, exec_lo, s11
; %bb.673:
	v_bfe_u32 v11, v12, 16, 1
	s_delay_alu instid0(VALU_DEP_1)
	v_add3_u32 v11, v12, v11, 0x7fff
                                        ; implicit-def: $vgpr12
; %bb.674:
	s_and_not1_saveexec_b32 s11, s7
; %bb.675:
	v_and_b32_e32 v11, 0xffff, v12
	v_or_b32_e32 v13, 0x10000, v12
	s_delay_alu instid0(VALU_DEP_2) | instskip(NEXT) | instid1(VALU_DEP_1)
	v_cmp_eq_u32_e64 s7, 0, v11
	v_cndmask_b32_e64 v11, v13, v12, s7
; %bb.676:
	s_or_b32 exec_lo, exec_lo, s11
	v_cmp_lt_i32_e64 s7, -1, v10
	s_delay_alu instid0(VALU_DEP_2) | instskip(SKIP_3) | instid1(VALU_DEP_1)
	v_perm_b32 v10, v11, v10, 0x7060302
	s_and_not1_b32 s10, s10, exec_lo
	v_cndmask_b32_e64 v12, -1, 0xffff8000, s7
	v_cmp_lt_i32_e64 s7, -1, v11
	v_cndmask_b32_e64 v13, -1, 0xffff8000, s7
	s_delay_alu instid0(VALU_DEP_1) | instskip(NEXT) | instid1(VALU_DEP_1)
	v_perm_b32 v11, v13, v12, 0x5040100
	v_xor_b32_e32 v10, v11, v10
	s_delay_alu instid0(VALU_DEP_1) | instskip(NEXT) | instid1(VALU_DEP_1)
	v_lshrrev_b32_e32 v11, 16, v10
	v_cmp_le_u16_e64 s7, v10, v11
	s_and_b32 s7, s7, exec_lo
	s_delay_alu instid0(SALU_CYCLE_1)
	s_or_b32 s10, s10, s7
.LBB1946_677:
	s_or_b32 exec_lo, exec_lo, s8
	v_dual_cndmask_b32 v10, v29, v28, s10 :: v_dual_cndmask_b32 v11, v50, v33, s10
	s_mov_b32 s11, -1
	s_mov_b32 s8, -1
	s_mov_b32 s12, exec_lo
	s_delay_alu instid0(VALU_DEP_1) | instskip(SKIP_1) | instid1(VALU_DEP_2)
	v_add_nc_u32_e32 v12, 1, v10
	v_lshl_add_u32 v10, v10, 3, v1
	v_add_min_u32_e64 v11, v11, -1, v12
	s_delay_alu instid0(VALU_DEP_1)
	v_lshl_add_u32 v11, v11, 1, v5
	ds_load_u16 v13, v11
	ds_load_b64 v[10:11], v10 offset:4096
	s_wait_dscnt 0x1
	v_dual_cndmask_b32 v15, v28, v12, s10 :: v_dual_cndmask_b32 v28, v13, v27, s10
	v_cndmask_b32_e64 v14, v12, v29, s10
	v_cndmask_b32_e64 v29, v26, v13, s10
	s_delay_alu instid0(VALU_DEP_2)
	v_cmpx_lt_u32_e64 v14, v50
	s_cbranch_execz .LBB1946_689
; %bb.678:
	s_mov_b32 s13, 0
	s_mov_b32 s8, exec_lo
	v_cmpx_lt_u32_e64 v15, v33
	s_cbranch_execz .LBB1946_688
; %bb.679:
	v_lshlrev_b32_e32 v12, 16, v28
	s_delay_alu instid0(VALU_DEP_1) | instskip(NEXT) | instid1(VALU_DEP_1)
	v_add_f32_e32 v13, 0, v12
	v_and_b32_e32 v12, 0x7f800000, v13
	s_delay_alu instid0(VALU_DEP_1) | instskip(SKIP_1) | instid1(SALU_CYCLE_1)
	v_cmp_ne_u32_e64 s7, 0x7f800000, v12
                                        ; implicit-def: $vgpr12
	s_and_saveexec_b32 s13, s7
	s_xor_b32 s7, exec_lo, s13
; %bb.680:
	v_bfe_u32 v12, v13, 16, 1
	s_delay_alu instid0(VALU_DEP_1)
	v_add3_u32 v12, v13, v12, 0x7fff
                                        ; implicit-def: $vgpr13
; %bb.681:
	s_and_not1_saveexec_b32 s13, s7
; %bb.682:
	v_and_b32_e32 v12, 0xffff, v13
	v_or_b32_e32 v16, 0x10000, v13
	s_delay_alu instid0(VALU_DEP_2) | instskip(NEXT) | instid1(VALU_DEP_1)
	v_cmp_eq_u32_e64 s7, 0, v12
	v_cndmask_b32_e64 v12, v16, v13, s7
; %bb.683:
	s_or_b32 exec_lo, exec_lo, s13
	v_lshlrev_b32_e32 v13, 16, v29
	s_delay_alu instid0(VALU_DEP_1) | instskip(NEXT) | instid1(VALU_DEP_1)
	v_add_f32_e32 v16, 0, v13
	v_and_b32_e32 v13, 0x7f800000, v16
	s_delay_alu instid0(VALU_DEP_1) | instskip(SKIP_1) | instid1(SALU_CYCLE_1)
	v_cmp_ne_u32_e64 s7, 0x7f800000, v13
                                        ; implicit-def: $vgpr13
	s_and_saveexec_b32 s13, s7
	s_xor_b32 s7, exec_lo, s13
; %bb.684:
	v_bfe_u32 v13, v16, 16, 1
	s_delay_alu instid0(VALU_DEP_1)
	v_add3_u32 v13, v16, v13, 0x7fff
                                        ; implicit-def: $vgpr16
; %bb.685:
	s_and_not1_saveexec_b32 s13, s7
; %bb.686:
	v_and_b32_e32 v13, 0xffff, v16
	v_or_b32_e32 v17, 0x10000, v16
	s_delay_alu instid0(VALU_DEP_2) | instskip(NEXT) | instid1(VALU_DEP_1)
	v_cmp_eq_u32_e64 s7, 0, v13
	v_cndmask_b32_e64 v13, v17, v16, s7
; %bb.687:
	s_or_b32 exec_lo, exec_lo, s13
	v_cmp_lt_i32_e64 s7, -1, v12
	s_delay_alu instid0(VALU_DEP_2) | instskip(NEXT) | instid1(VALU_DEP_2)
	v_perm_b32 v12, v13, v12, 0x7060302
	v_cndmask_b32_e64 v16, -1, 0xffff8000, s7
	v_cmp_lt_i32_e64 s7, -1, v13
	s_delay_alu instid0(VALU_DEP_1) | instskip(NEXT) | instid1(VALU_DEP_1)
	v_cndmask_b32_e64 v17, -1, 0xffff8000, s7
	v_perm_b32 v13, v17, v16, 0x5040100
	s_delay_alu instid0(VALU_DEP_1) | instskip(NEXT) | instid1(VALU_DEP_1)
	v_xor_b32_e32 v12, v13, v12
	v_lshrrev_b32_e32 v13, 16, v12
	s_delay_alu instid0(VALU_DEP_1)
	v_cmp_le_u16_e64 s7, v12, v13
	s_and_b32 s13, s7, exec_lo
.LBB1946_688:
	s_or_b32 exec_lo, exec_lo, s8
	s_delay_alu instid0(SALU_CYCLE_1)
	s_or_not1_b32 s8, s13, exec_lo
.LBB1946_689:
	s_or_b32 exec_lo, exec_lo, s12
	v_cndmask_b32_e64 v12, v14, v15, s8
	v_cndmask_b32_e64 v13, v50, v33, s8
	s_mov_b32 s12, exec_lo
	s_delay_alu instid0(VALU_DEP_2) | instskip(NEXT) | instid1(VALU_DEP_1)
	v_add_nc_u32_e32 v17, 1, v12
	v_add_min_u32_e64 v13, v13, -1, v17
	v_cndmask_b32_e64 v16, v17, v14, s8
	v_lshl_add_u32 v12, v12, 3, v1
	s_delay_alu instid0(VALU_DEP_3)
	v_lshl_add_u32 v13, v13, 1, v5
	ds_load_u16 v18, v13
	ds_load_b64 v[12:13], v12 offset:4096
	s_wait_dscnt 0x1
	v_dual_cndmask_b32 v17, v15, v17, s8 :: v_dual_cndmask_b32 v30, v18, v28, s8
	v_cndmask_b32_e64 v31, v29, v18, s8
	v_cmpx_lt_u32_e64 v16, v50
	s_cbranch_execz .LBB1946_701
; %bb.690:
	s_mov_b32 s13, 0
	s_mov_b32 s11, exec_lo
	v_cmpx_lt_u32_e64 v17, v33
	s_cbranch_execz .LBB1946_700
; %bb.691:
	v_lshlrev_b32_e32 v14, 16, v30
	s_delay_alu instid0(VALU_DEP_1) | instskip(NEXT) | instid1(VALU_DEP_1)
	v_add_f32_e32 v15, 0, v14
	v_and_b32_e32 v14, 0x7f800000, v15
	s_delay_alu instid0(VALU_DEP_1) | instskip(SKIP_1) | instid1(SALU_CYCLE_1)
	v_cmp_ne_u32_e64 s7, 0x7f800000, v14
                                        ; implicit-def: $vgpr14
	s_and_saveexec_b32 s13, s7
	s_xor_b32 s7, exec_lo, s13
; %bb.692:
	v_bfe_u32 v14, v15, 16, 1
	s_delay_alu instid0(VALU_DEP_1)
	v_add3_u32 v14, v15, v14, 0x7fff
                                        ; implicit-def: $vgpr15
; %bb.693:
	s_and_not1_saveexec_b32 s13, s7
; %bb.694:
	v_and_b32_e32 v14, 0xffff, v15
	v_or_b32_e32 v18, 0x10000, v15
	s_delay_alu instid0(VALU_DEP_2) | instskip(NEXT) | instid1(VALU_DEP_1)
	v_cmp_eq_u32_e64 s7, 0, v14
	v_cndmask_b32_e64 v14, v18, v15, s7
; %bb.695:
	s_or_b32 exec_lo, exec_lo, s13
	v_lshlrev_b32_e32 v15, 16, v31
	s_delay_alu instid0(VALU_DEP_1) | instskip(NEXT) | instid1(VALU_DEP_1)
	v_add_f32_e32 v18, 0, v15
	v_and_b32_e32 v15, 0x7f800000, v18
	s_delay_alu instid0(VALU_DEP_1) | instskip(SKIP_1) | instid1(SALU_CYCLE_1)
	v_cmp_ne_u32_e64 s7, 0x7f800000, v15
                                        ; implicit-def: $vgpr15
	s_and_saveexec_b32 s13, s7
	s_xor_b32 s7, exec_lo, s13
; %bb.696:
	v_bfe_u32 v15, v18, 16, 1
	s_delay_alu instid0(VALU_DEP_1)
	v_add3_u32 v15, v18, v15, 0x7fff
                                        ; implicit-def: $vgpr18
; %bb.697:
	s_and_not1_saveexec_b32 s13, s7
; %bb.698:
	v_and_b32_e32 v15, 0xffff, v18
	v_or_b32_e32 v19, 0x10000, v18
	s_delay_alu instid0(VALU_DEP_2) | instskip(NEXT) | instid1(VALU_DEP_1)
	v_cmp_eq_u32_e64 s7, 0, v15
	v_cndmask_b32_e64 v15, v19, v18, s7
; %bb.699:
	s_or_b32 exec_lo, exec_lo, s13
	v_cmp_lt_i32_e64 s7, -1, v14
	s_delay_alu instid0(VALU_DEP_2) | instskip(NEXT) | instid1(VALU_DEP_2)
	v_perm_b32 v14, v15, v14, 0x7060302
	v_cndmask_b32_e64 v18, -1, 0xffff8000, s7
	v_cmp_lt_i32_e64 s7, -1, v15
	s_delay_alu instid0(VALU_DEP_1) | instskip(NEXT) | instid1(VALU_DEP_1)
	v_cndmask_b32_e64 v19, -1, 0xffff8000, s7
	v_perm_b32 v15, v19, v18, 0x5040100
	s_delay_alu instid0(VALU_DEP_1) | instskip(NEXT) | instid1(VALU_DEP_1)
	v_xor_b32_e32 v14, v15, v14
	v_lshrrev_b32_e32 v15, 16, v14
	s_delay_alu instid0(VALU_DEP_1)
	v_cmp_le_u16_e64 s7, v14, v15
	s_and_b32 s13, s7, exec_lo
.LBB1946_700:
	s_or_b32 exec_lo, exec_lo, s11
	s_delay_alu instid0(SALU_CYCLE_1)
	s_or_not1_b32 s11, s13, exec_lo
.LBB1946_701:
	s_or_b32 exec_lo, exec_lo, s12
	v_cndmask_b32_e64 v14, v16, v17, s11
	v_cndmask_b32_e64 v15, v50, v33, s11
	s_mov_b32 s13, -1
	s_mov_b32 s12, -1
	s_mov_b32 s14, exec_lo
	v_add_nc_u32_e32 v19, 1, v14
	s_delay_alu instid0(VALU_DEP_1) | instskip(SKIP_2) | instid1(VALU_DEP_3)
	v_add_min_u32_e64 v15, v15, -1, v19
	v_cndmask_b32_e64 v18, v19, v16, s11
	v_lshl_add_u32 v14, v14, 3, v1
	v_lshl_add_u32 v15, v15, 1, v5
	ds_load_u16 v20, v15
	ds_load_b64 v[14:15], v14 offset:4096
	s_wait_dscnt 0x1
	v_dual_cndmask_b32 v19, v17, v19, s11 :: v_dual_cndmask_b32 v32, v20, v30, s11
	v_cndmask_b32_e64 v34, v31, v20, s11
	v_cmpx_lt_u32_e64 v18, v50
	s_cbranch_execz .LBB1946_713
; %bb.702:
	s_mov_b32 s15, 0
	s_mov_b32 s12, exec_lo
	v_cmpx_lt_u32_e64 v19, v33
	s_cbranch_execz .LBB1946_712
; %bb.703:
	v_lshlrev_b32_e32 v16, 16, v32
	s_delay_alu instid0(VALU_DEP_1) | instskip(NEXT) | instid1(VALU_DEP_1)
	v_add_f32_e32 v17, 0, v16
	v_and_b32_e32 v16, 0x7f800000, v17
	s_delay_alu instid0(VALU_DEP_1) | instskip(SKIP_1) | instid1(SALU_CYCLE_1)
	v_cmp_ne_u32_e64 s7, 0x7f800000, v16
                                        ; implicit-def: $vgpr16
	s_and_saveexec_b32 s15, s7
	s_xor_b32 s7, exec_lo, s15
; %bb.704:
	v_bfe_u32 v16, v17, 16, 1
	s_delay_alu instid0(VALU_DEP_1)
	v_add3_u32 v16, v17, v16, 0x7fff
                                        ; implicit-def: $vgpr17
; %bb.705:
	s_and_not1_saveexec_b32 s15, s7
; %bb.706:
	v_and_b32_e32 v16, 0xffff, v17
	v_or_b32_e32 v20, 0x10000, v17
	s_delay_alu instid0(VALU_DEP_2) | instskip(NEXT) | instid1(VALU_DEP_1)
	v_cmp_eq_u32_e64 s7, 0, v16
	v_cndmask_b32_e64 v16, v20, v17, s7
; %bb.707:
	s_or_b32 exec_lo, exec_lo, s15
	v_lshlrev_b32_e32 v17, 16, v34
	s_delay_alu instid0(VALU_DEP_1) | instskip(NEXT) | instid1(VALU_DEP_1)
	v_add_f32_e32 v20, 0, v17
	v_and_b32_e32 v17, 0x7f800000, v20
	s_delay_alu instid0(VALU_DEP_1) | instskip(SKIP_1) | instid1(SALU_CYCLE_1)
	v_cmp_ne_u32_e64 s7, 0x7f800000, v17
                                        ; implicit-def: $vgpr17
	s_and_saveexec_b32 s15, s7
	s_xor_b32 s7, exec_lo, s15
; %bb.708:
	v_bfe_u32 v17, v20, 16, 1
	s_delay_alu instid0(VALU_DEP_1)
	v_add3_u32 v17, v20, v17, 0x7fff
                                        ; implicit-def: $vgpr20
; %bb.709:
	s_and_not1_saveexec_b32 s15, s7
; %bb.710:
	v_and_b32_e32 v17, 0xffff, v20
	v_or_b32_e32 v21, 0x10000, v20
	s_delay_alu instid0(VALU_DEP_2) | instskip(NEXT) | instid1(VALU_DEP_1)
	v_cmp_eq_u32_e64 s7, 0, v17
	v_cndmask_b32_e64 v17, v21, v20, s7
; %bb.711:
	s_or_b32 exec_lo, exec_lo, s15
	v_cmp_lt_i32_e64 s7, -1, v16
	s_delay_alu instid0(VALU_DEP_2) | instskip(NEXT) | instid1(VALU_DEP_2)
	v_perm_b32 v16, v17, v16, 0x7060302
	v_cndmask_b32_e64 v20, -1, 0xffff8000, s7
	v_cmp_lt_i32_e64 s7, -1, v17
	s_delay_alu instid0(VALU_DEP_1) | instskip(NEXT) | instid1(VALU_DEP_1)
	v_cndmask_b32_e64 v21, -1, 0xffff8000, s7
	v_perm_b32 v17, v21, v20, 0x5040100
	s_delay_alu instid0(VALU_DEP_1) | instskip(NEXT) | instid1(VALU_DEP_1)
	v_xor_b32_e32 v16, v17, v16
	v_lshrrev_b32_e32 v17, 16, v16
	s_delay_alu instid0(VALU_DEP_1)
	v_cmp_le_u16_e64 s7, v16, v17
	s_and_b32 s15, s7, exec_lo
.LBB1946_712:
	s_or_b32 exec_lo, exec_lo, s12
	s_delay_alu instid0(SALU_CYCLE_1)
	s_or_not1_b32 s12, s15, exec_lo
.LBB1946_713:
	s_or_b32 exec_lo, exec_lo, s14
	v_cndmask_b32_e64 v16, v18, v19, s12
	v_cndmask_b32_e64 v17, v50, v33, s12
	s_mov_b32 s14, exec_lo
	s_delay_alu instid0(VALU_DEP_2) | instskip(NEXT) | instid1(VALU_DEP_1)
	v_add_nc_u32_e32 v21, 1, v16
	v_add_min_u32_e64 v17, v17, -1, v21
	v_cndmask_b32_e64 v20, v21, v18, s12
	v_lshl_add_u32 v16, v16, 3, v1
	s_delay_alu instid0(VALU_DEP_3)
	v_lshl_add_u32 v17, v17, 1, v5
	ds_load_u16 v22, v17
	ds_load_b64 v[16:17], v16 offset:4096
	s_wait_dscnt 0x1
	v_dual_cndmask_b32 v21, v19, v21, s12 :: v_dual_cndmask_b32 v35, v22, v32, s12
	v_cndmask_b32_e64 v37, v34, v22, s12
	v_cmpx_lt_u32_e64 v20, v50
	s_cbranch_execz .LBB1946_725
; %bb.714:
	s_mov_b32 s15, 0
	s_mov_b32 s13, exec_lo
	v_cmpx_lt_u32_e64 v21, v33
	s_cbranch_execz .LBB1946_724
; %bb.715:
	v_lshlrev_b32_e32 v18, 16, v35
	s_delay_alu instid0(VALU_DEP_1) | instskip(NEXT) | instid1(VALU_DEP_1)
	v_add_f32_e32 v19, 0, v18
	v_and_b32_e32 v18, 0x7f800000, v19
	s_delay_alu instid0(VALU_DEP_1) | instskip(SKIP_1) | instid1(SALU_CYCLE_1)
	v_cmp_ne_u32_e64 s7, 0x7f800000, v18
                                        ; implicit-def: $vgpr18
	s_and_saveexec_b32 s15, s7
	s_xor_b32 s7, exec_lo, s15
; %bb.716:
	v_bfe_u32 v18, v19, 16, 1
	s_delay_alu instid0(VALU_DEP_1)
	v_add3_u32 v18, v19, v18, 0x7fff
                                        ; implicit-def: $vgpr19
; %bb.717:
	s_and_not1_saveexec_b32 s15, s7
; %bb.718:
	v_and_b32_e32 v18, 0xffff, v19
	v_or_b32_e32 v22, 0x10000, v19
	s_delay_alu instid0(VALU_DEP_2) | instskip(NEXT) | instid1(VALU_DEP_1)
	v_cmp_eq_u32_e64 s7, 0, v18
	v_cndmask_b32_e64 v18, v22, v19, s7
; %bb.719:
	s_or_b32 exec_lo, exec_lo, s15
	v_lshlrev_b32_e32 v19, 16, v37
	s_delay_alu instid0(VALU_DEP_1) | instskip(NEXT) | instid1(VALU_DEP_1)
	v_add_f32_e32 v22, 0, v19
	v_and_b32_e32 v19, 0x7f800000, v22
	s_delay_alu instid0(VALU_DEP_1) | instskip(SKIP_1) | instid1(SALU_CYCLE_1)
	v_cmp_ne_u32_e64 s7, 0x7f800000, v19
                                        ; implicit-def: $vgpr19
	s_and_saveexec_b32 s15, s7
	s_xor_b32 s7, exec_lo, s15
; %bb.720:
	v_bfe_u32 v19, v22, 16, 1
	s_delay_alu instid0(VALU_DEP_1)
	v_add3_u32 v19, v22, v19, 0x7fff
                                        ; implicit-def: $vgpr22
; %bb.721:
	s_and_not1_saveexec_b32 s15, s7
; %bb.722:
	v_and_b32_e32 v19, 0xffff, v22
	v_or_b32_e32 v23, 0x10000, v22
	s_delay_alu instid0(VALU_DEP_2) | instskip(NEXT) | instid1(VALU_DEP_1)
	v_cmp_eq_u32_e64 s7, 0, v19
	v_cndmask_b32_e64 v19, v23, v22, s7
; %bb.723:
	s_or_b32 exec_lo, exec_lo, s15
	v_cmp_lt_i32_e64 s7, -1, v18
	s_delay_alu instid0(VALU_DEP_2) | instskip(NEXT) | instid1(VALU_DEP_2)
	v_perm_b32 v18, v19, v18, 0x7060302
	v_cndmask_b32_e64 v22, -1, 0xffff8000, s7
	v_cmp_lt_i32_e64 s7, -1, v19
	s_delay_alu instid0(VALU_DEP_1) | instskip(NEXT) | instid1(VALU_DEP_1)
	v_cndmask_b32_e64 v23, -1, 0xffff8000, s7
	v_perm_b32 v19, v23, v22, 0x5040100
	s_delay_alu instid0(VALU_DEP_1) | instskip(NEXT) | instid1(VALU_DEP_1)
	v_xor_b32_e32 v18, v19, v18
	v_lshrrev_b32_e32 v19, 16, v18
	s_delay_alu instid0(VALU_DEP_1)
	v_cmp_le_u16_e64 s7, v18, v19
	s_and_b32 s15, s7, exec_lo
.LBB1946_724:
	s_or_b32 exec_lo, exec_lo, s13
	s_delay_alu instid0(SALU_CYCLE_1)
	s_or_not1_b32 s13, s15, exec_lo
.LBB1946_725:
	s_or_b32 exec_lo, exec_lo, s14
	v_cndmask_b32_e64 v18, v20, v21, s13
	v_cndmask_b32_e64 v19, v50, v33, s13
	s_mov_b32 s15, -1
	s_mov_b32 s14, -1
	s_mov_b32 s16, exec_lo
	v_add_nc_u32_e32 v22, 1, v18
	s_delay_alu instid0(VALU_DEP_1) | instskip(SKIP_2) | instid1(VALU_DEP_3)
	v_add_min_u32_e64 v19, v19, -1, v22
	v_cndmask_b32_e64 v20, v22, v20, s13
	v_lshl_add_u32 v18, v18, 3, v1
	v_lshl_add_u32 v19, v19, 1, v5
	ds_load_u16 v23, v19
	ds_load_b64 v[18:19], v18 offset:4096
	s_wait_dscnt 0x1
	v_dual_cndmask_b32 v21, v21, v22, s13 :: v_dual_cndmask_b32 v36, v23, v35, s13
	v_cndmask_b32_e64 v38, v37, v23, s13
	v_cmpx_lt_u32_e64 v20, v50
	s_cbranch_execz .LBB1946_737
; %bb.726:
	s_mov_b32 s17, 0
	s_mov_b32 s14, exec_lo
	v_cmpx_lt_u32_e64 v21, v33
	s_cbranch_execz .LBB1946_736
; %bb.727:
	v_lshlrev_b32_e32 v22, 16, v36
	s_delay_alu instid0(VALU_DEP_1) | instskip(NEXT) | instid1(VALU_DEP_1)
	v_add_f32_e32 v23, 0, v22
	v_and_b32_e32 v22, 0x7f800000, v23
	s_delay_alu instid0(VALU_DEP_1) | instskip(SKIP_1) | instid1(SALU_CYCLE_1)
	v_cmp_ne_u32_e64 s7, 0x7f800000, v22
                                        ; implicit-def: $vgpr22
	s_and_saveexec_b32 s17, s7
	s_xor_b32 s7, exec_lo, s17
; %bb.728:
	v_bfe_u32 v22, v23, 16, 1
	s_delay_alu instid0(VALU_DEP_1)
	v_add3_u32 v22, v23, v22, 0x7fff
                                        ; implicit-def: $vgpr23
; %bb.729:
	s_and_not1_saveexec_b32 s17, s7
; %bb.730:
	v_and_b32_e32 v22, 0xffff, v23
	v_or_b32_e32 v24, 0x10000, v23
	s_delay_alu instid0(VALU_DEP_2) | instskip(NEXT) | instid1(VALU_DEP_1)
	v_cmp_eq_u32_e64 s7, 0, v22
	v_cndmask_b32_e64 v22, v24, v23, s7
; %bb.731:
	s_or_b32 exec_lo, exec_lo, s17
	v_lshlrev_b32_e32 v23, 16, v38
	s_delay_alu instid0(VALU_DEP_1) | instskip(NEXT) | instid1(VALU_DEP_1)
	v_add_f32_e32 v24, 0, v23
	v_and_b32_e32 v23, 0x7f800000, v24
	s_delay_alu instid0(VALU_DEP_1) | instskip(SKIP_1) | instid1(SALU_CYCLE_1)
	v_cmp_ne_u32_e64 s7, 0x7f800000, v23
                                        ; implicit-def: $vgpr23
	s_and_saveexec_b32 s17, s7
	s_xor_b32 s7, exec_lo, s17
; %bb.732:
	v_bfe_u32 v23, v24, 16, 1
	s_delay_alu instid0(VALU_DEP_1)
	v_add3_u32 v23, v24, v23, 0x7fff
                                        ; implicit-def: $vgpr24
; %bb.733:
	s_and_not1_saveexec_b32 s17, s7
; %bb.734:
	v_and_b32_e32 v23, 0xffff, v24
	v_or_b32_e32 v25, 0x10000, v24
	s_delay_alu instid0(VALU_DEP_2) | instskip(NEXT) | instid1(VALU_DEP_1)
	v_cmp_eq_u32_e64 s7, 0, v23
	v_cndmask_b32_e64 v23, v25, v24, s7
; %bb.735:
	s_or_b32 exec_lo, exec_lo, s17
	v_cmp_lt_i32_e64 s7, -1, v22
	s_delay_alu instid0(VALU_DEP_2) | instskip(NEXT) | instid1(VALU_DEP_2)
	v_perm_b32 v22, v23, v22, 0x7060302
	v_cndmask_b32_e64 v24, -1, 0xffff8000, s7
	v_cmp_lt_i32_e64 s7, -1, v23
	s_delay_alu instid0(VALU_DEP_1) | instskip(NEXT) | instid1(VALU_DEP_1)
	v_cndmask_b32_e64 v25, -1, 0xffff8000, s7
	v_perm_b32 v23, v25, v24, 0x5040100
	s_delay_alu instid0(VALU_DEP_1) | instskip(NEXT) | instid1(VALU_DEP_1)
	v_xor_b32_e32 v22, v23, v22
	v_lshrrev_b32_e32 v23, 16, v22
	s_delay_alu instid0(VALU_DEP_1)
	v_cmp_le_u16_e64 s7, v22, v23
	s_and_b32 s17, s7, exec_lo
.LBB1946_736:
	s_or_b32 exec_lo, exec_lo, s14
	s_delay_alu instid0(SALU_CYCLE_1)
	s_or_not1_b32 s14, s17, exec_lo
.LBB1946_737:
	s_or_b32 exec_lo, exec_lo, s16
	v_cndmask_b32_e64 v22, v20, v21, s14
	v_cndmask_b32_e64 v23, v50, v33, s14
	s_mov_b32 s16, exec_lo
	s_delay_alu instid0(VALU_DEP_2) | instskip(NEXT) | instid1(VALU_DEP_1)
	v_add_nc_u32_e32 v25, 1, v22
	v_add_min_u32_e64 v23, v23, -1, v25
	v_cndmask_b32_e64 v24, v25, v20, s14
	v_lshl_add_u32 v22, v22, 3, v1
	s_delay_alu instid0(VALU_DEP_3)
	v_lshl_add_u32 v23, v23, 1, v5
	ds_load_u16 v48, v23
	ds_load_b64 v[22:23], v22 offset:4096
	s_wait_dscnt 0x1
	v_dual_cndmask_b32 v25, v21, v25, s14 :: v_dual_cndmask_b32 v39, v48, v36, s14
	v_cndmask_b32_e64 v48, v38, v48, s14
	v_cmpx_lt_u32_e64 v24, v50
	s_cbranch_execz .LBB1946_749
; %bb.738:
	s_mov_b32 s17, 0
	s_mov_b32 s15, exec_lo
	v_cmpx_lt_u32_e64 v25, v33
	s_cbranch_execz .LBB1946_748
; %bb.739:
	v_lshlrev_b32_e32 v20, 16, v39
	s_delay_alu instid0(VALU_DEP_1) | instskip(NEXT) | instid1(VALU_DEP_1)
	v_add_f32_e32 v21, 0, v20
	v_and_b32_e32 v20, 0x7f800000, v21
	s_delay_alu instid0(VALU_DEP_1) | instskip(SKIP_1) | instid1(SALU_CYCLE_1)
	v_cmp_ne_u32_e64 s7, 0x7f800000, v20
                                        ; implicit-def: $vgpr20
	s_and_saveexec_b32 s17, s7
	s_xor_b32 s7, exec_lo, s17
; %bb.740:
	v_bfe_u32 v20, v21, 16, 1
	s_delay_alu instid0(VALU_DEP_1)
	v_add3_u32 v20, v21, v20, 0x7fff
                                        ; implicit-def: $vgpr21
; %bb.741:
	s_and_not1_saveexec_b32 s17, s7
; %bb.742:
	v_and_b32_e32 v20, 0xffff, v21
	v_or_b32_e32 v49, 0x10000, v21
	s_delay_alu instid0(VALU_DEP_2) | instskip(NEXT) | instid1(VALU_DEP_1)
	v_cmp_eq_u32_e64 s7, 0, v20
	v_cndmask_b32_e64 v20, v49, v21, s7
; %bb.743:
	s_or_b32 exec_lo, exec_lo, s17
	v_lshlrev_b32_e32 v21, 16, v48
	s_delay_alu instid0(VALU_DEP_1) | instskip(NEXT) | instid1(VALU_DEP_1)
	v_add_f32_e32 v49, 0, v21
	v_and_b32_e32 v21, 0x7f800000, v49
	s_delay_alu instid0(VALU_DEP_1) | instskip(SKIP_1) | instid1(SALU_CYCLE_1)
	v_cmp_ne_u32_e64 s7, 0x7f800000, v21
                                        ; implicit-def: $vgpr21
	s_and_saveexec_b32 s17, s7
	s_xor_b32 s7, exec_lo, s17
; %bb.744:
	v_bfe_u32 v21, v49, 16, 1
	s_delay_alu instid0(VALU_DEP_1)
	v_add3_u32 v21, v49, v21, 0x7fff
                                        ; implicit-def: $vgpr49
; %bb.745:
	s_and_not1_saveexec_b32 s17, s7
; %bb.746:
	v_and_b32_e32 v21, 0xffff, v49
	v_or_b32_e32 v51, 0x10000, v49
	s_delay_alu instid0(VALU_DEP_2) | instskip(NEXT) | instid1(VALU_DEP_1)
	v_cmp_eq_u32_e64 s7, 0, v21
	v_cndmask_b32_e64 v21, v51, v49, s7
; %bb.747:
	s_or_b32 exec_lo, exec_lo, s17
	v_cmp_lt_i32_e64 s7, -1, v20
	s_delay_alu instid0(VALU_DEP_2) | instskip(NEXT) | instid1(VALU_DEP_2)
	v_perm_b32 v20, v21, v20, 0x7060302
	v_cndmask_b32_e64 v49, -1, 0xffff8000, s7
	v_cmp_lt_i32_e64 s7, -1, v21
	s_delay_alu instid0(VALU_DEP_1) | instskip(NEXT) | instid1(VALU_DEP_1)
	v_cndmask_b32_e64 v51, -1, 0xffff8000, s7
	v_perm_b32 v21, v51, v49, 0x5040100
	s_delay_alu instid0(VALU_DEP_1) | instskip(NEXT) | instid1(VALU_DEP_1)
	v_xor_b32_e32 v20, v21, v20
	v_lshrrev_b32_e32 v21, 16, v20
	s_delay_alu instid0(VALU_DEP_1)
	v_cmp_le_u16_e64 s7, v20, v21
	s_and_b32 s17, s7, exec_lo
.LBB1946_748:
	s_or_b32 exec_lo, exec_lo, s15
	s_delay_alu instid0(SALU_CYCLE_1)
	s_or_not1_b32 s15, s17, exec_lo
.LBB1946_749:
	s_or_b32 exec_lo, exec_lo, s16
	v_cndmask_b32_e64 v20, v24, v25, s15
	v_cndmask_b32_e64 v21, v50, v33, s15
	s_mov_b32 s17, -1
	s_mov_b32 s16, exec_lo
	s_delay_alu instid0(VALU_DEP_2) | instskip(NEXT) | instid1(VALU_DEP_1)
	v_add_nc_u32_e32 v49, 1, v20
	v_add_min_u32_e64 v21, v21, -1, v49
	v_cndmask_b32_e64 v24, v49, v24, s15
	s_delay_alu instid0(VALU_DEP_2)
	v_lshl_add_u32 v5, v21, 1, v5
	ds_load_u16 v51, v5
	v_lshl_add_u32 v5, v20, 3, v1
	v_cndmask_b32_e64 v25, v25, v49, s15
	ds_load_b64 v[20:21], v5 offset:4096
	s_wait_dscnt 0x1
	v_cndmask_b32_e64 v5, v51, v39, s15
	v_cndmask_b32_e64 v51, v48, v51, s15
	v_cmpx_lt_u32_e64 v24, v50
	s_cbranch_execz .LBB1946_761
; %bb.750:
	s_mov_b32 s18, 0
	s_mov_b32 s17, exec_lo
	v_cmpx_lt_u32_e64 v25, v33
	s_cbranch_execz .LBB1946_760
; %bb.751:
	v_lshlrev_b32_e32 v33, 16, v5
	s_delay_alu instid0(VALU_DEP_1) | instskip(NEXT) | instid1(VALU_DEP_1)
	v_add_f32_e32 v49, 0, v33
	v_and_b32_e32 v33, 0x7f800000, v49
	s_delay_alu instid0(VALU_DEP_1) | instskip(SKIP_1) | instid1(SALU_CYCLE_1)
	v_cmp_ne_u32_e64 s7, 0x7f800000, v33
                                        ; implicit-def: $vgpr33
	s_and_saveexec_b32 s18, s7
	s_xor_b32 s7, exec_lo, s18
; %bb.752:
	v_bfe_u32 v33, v49, 16, 1
	s_delay_alu instid0(VALU_DEP_1)
	v_add3_u32 v33, v49, v33, 0x7fff
                                        ; implicit-def: $vgpr49
; %bb.753:
	s_and_not1_saveexec_b32 s18, s7
; %bb.754:
	v_and_b32_e32 v33, 0xffff, v49
	v_or_b32_e32 v50, 0x10000, v49
	s_delay_alu instid0(VALU_DEP_2) | instskip(NEXT) | instid1(VALU_DEP_1)
	v_cmp_eq_u32_e64 s7, 0, v33
	v_cndmask_b32_e64 v33, v50, v49, s7
; %bb.755:
	s_or_b32 exec_lo, exec_lo, s18
	v_lshlrev_b32_e32 v49, 16, v51
	s_delay_alu instid0(VALU_DEP_1) | instskip(NEXT) | instid1(VALU_DEP_1)
	v_add_f32_e32 v50, 0, v49
	v_and_b32_e32 v49, 0x7f800000, v50
	s_delay_alu instid0(VALU_DEP_1) | instskip(SKIP_1) | instid1(SALU_CYCLE_1)
	v_cmp_ne_u32_e64 s7, 0x7f800000, v49
                                        ; implicit-def: $vgpr49
	s_and_saveexec_b32 s18, s7
	s_xor_b32 s7, exec_lo, s18
; %bb.756:
	v_bfe_u32 v49, v50, 16, 1
	s_delay_alu instid0(VALU_DEP_1)
	v_add3_u32 v49, v50, v49, 0x7fff
                                        ; implicit-def: $vgpr50
; %bb.757:
	s_and_not1_saveexec_b32 s18, s7
; %bb.758:
	v_and_b32_e32 v49, 0xffff, v50
	v_or_b32_e32 v52, 0x10000, v50
	s_delay_alu instid0(VALU_DEP_2) | instskip(NEXT) | instid1(VALU_DEP_1)
	v_cmp_eq_u32_e64 s7, 0, v49
	v_cndmask_b32_e64 v49, v52, v50, s7
; %bb.759:
	s_or_b32 exec_lo, exec_lo, s18
	v_cmp_lt_i32_e64 s7, -1, v33
	s_delay_alu instid0(VALU_DEP_2) | instskip(NEXT) | instid1(VALU_DEP_2)
	v_perm_b32 v33, v49, v33, 0x7060302
	v_cndmask_b32_e64 v50, -1, 0xffff8000, s7
	v_cmp_lt_i32_e64 s7, -1, v49
	s_delay_alu instid0(VALU_DEP_1) | instskip(NEXT) | instid1(VALU_DEP_1)
	v_cndmask_b32_e64 v52, -1, 0xffff8000, s7
	v_perm_b32 v49, v52, v50, 0x5040100
	s_delay_alu instid0(VALU_DEP_1) | instskip(NEXT) | instid1(VALU_DEP_1)
	v_xor_b32_e32 v33, v49, v33
	v_lshrrev_b32_e32 v49, 16, v33
	s_delay_alu instid0(VALU_DEP_1)
	v_cmp_le_u16_e64 s7, v33, v49
	s_and_b32 s18, s7, exec_lo
.LBB1946_760:
	s_or_b32 exec_lo, exec_lo, s17
	s_delay_alu instid0(SALU_CYCLE_1)
	s_or_not1_b32 s17, s18, exec_lo
.LBB1946_761:
	s_or_b32 exec_lo, exec_lo, s16
	v_dual_cndmask_b32 v24, v24, v25, s17 :: v_dual_cndmask_b32 v48, v39, v48, s15
	v_dual_cndmask_b32 v36, v36, v38, s14 :: v_dual_cndmask_b32 v39, v35, v37, s13
	;; [unrolled: 1-line block ×3, first 2 shown]
	s_delay_alu instid0(VALU_DEP_3)
	v_lshl_add_u32 v1, v24, 3, v1
	v_dual_cndmask_b32 v37, v28, v29, s8 :: v_dual_cndmask_b32 v34, v27, v26, s10
	v_cndmask_b32_e64 v35, v5, v51, s17
	ds_load_b64 v[24:25], v1 offset:4096
.LBB1946_762:
	s_or_b32 exec_lo, exec_lo, s9
	v_lshl_add_u64 v[2:3], v[8:9], 1, v[2:3]
	v_mov_b32_e32 v1, 0
	; wave barrier
	s_wait_storecnt_dscnt 0x0
	s_barrier_signal -1
	s_delay_alu instid0(VALU_DEP_1)
	v_add_nc_u64_e32 v[0:1], v[2:3], v[0:1]
	s_barrier_wait -1
	; wave barrier
	s_and_saveexec_b32 s7, vcc_lo
	s_cbranch_execnz .LBB1946_780
; %bb.763:
	s_or_b32 exec_lo, exec_lo, s7
	s_and_saveexec_b32 s7, s0
	s_cbranch_execnz .LBB1946_781
.LBB1946_764:
	s_or_b32 exec_lo, exec_lo, s7
	s_and_saveexec_b32 s7, s1
	s_cbranch_execnz .LBB1946_782
.LBB1946_765:
	s_or_b32 exec_lo, exec_lo, s7
	s_and_saveexec_b32 s7, s2
	s_cbranch_execnz .LBB1946_783
.LBB1946_766:
	s_or_b32 exec_lo, exec_lo, s7
	s_and_saveexec_b32 s7, s3
	s_cbranch_execnz .LBB1946_784
.LBB1946_767:
	s_or_b32 exec_lo, exec_lo, s7
	s_and_saveexec_b32 s7, s4
	s_cbranch_execnz .LBB1946_785
.LBB1946_768:
	s_or_b32 exec_lo, exec_lo, s7
	s_and_saveexec_b32 s7, s5
	s_cbranch_execnz .LBB1946_786
.LBB1946_769:
	s_or_b32 exec_lo, exec_lo, s7
	s_and_saveexec_b32 s7, s6
	s_cbranch_execz .LBB1946_771
.LBB1946_770:
	flat_store_b16 v[0:1], v35 offset:14
.LBB1946_771:
	s_wait_xcnt 0x0
	s_or_b32 exec_lo, exec_lo, s7
	v_lshl_add_u64 v[0:1], v[8:9], 3, v[6:7]
	v_mov_b32_e32 v5, 0
	; wave barrier
	s_delay_alu instid0(VALU_DEP_1)
	v_add_nc_u64_e32 v[0:1], v[0:1], v[4:5]
	s_and_saveexec_b32 s7, vcc_lo
	s_cbranch_execnz .LBB1946_787
; %bb.772:
	s_or_b32 exec_lo, exec_lo, s7
	s_and_saveexec_b32 s7, s0
	s_cbranch_execnz .LBB1946_788
.LBB1946_773:
	s_or_b32 exec_lo, exec_lo, s7
	s_and_saveexec_b32 s0, s1
	s_cbranch_execnz .LBB1946_789
.LBB1946_774:
	s_or_b32 exec_lo, exec_lo, s0
	s_and_saveexec_b32 s0, s2
	s_cbranch_execnz .LBB1946_790
.LBB1946_775:
	s_or_b32 exec_lo, exec_lo, s0
	s_and_saveexec_b32 s0, s3
	s_cbranch_execnz .LBB1946_791
.LBB1946_776:
	s_or_b32 exec_lo, exec_lo, s0
	s_and_saveexec_b32 s0, s4
	s_cbranch_execnz .LBB1946_792
.LBB1946_777:
	s_or_b32 exec_lo, exec_lo, s0
	s_and_saveexec_b32 s0, s5
	s_cbranch_execnz .LBB1946_793
.LBB1946_778:
	s_or_b32 exec_lo, exec_lo, s0
	s_and_saveexec_b32 s0, s6
	s_cbranch_execnz .LBB1946_794
.LBB1946_779:
	s_or_b32 exec_lo, exec_lo, s0
	s_wait_dscnt 0x0
	s_set_pc_i64 s[30:31]
.LBB1946_780:
	flat_store_b16 v[0:1], v34
	s_wait_xcnt 0x0
	s_or_b32 exec_lo, exec_lo, s7
	s_and_saveexec_b32 s7, s0
	s_cbranch_execz .LBB1946_764
.LBB1946_781:
	flat_store_b16 v[0:1], v37 offset:2
	s_wait_xcnt 0x0
	s_or_b32 exec_lo, exec_lo, s7
	s_and_saveexec_b32 s7, s1
	s_cbranch_execz .LBB1946_765
.LBB1946_782:
	flat_store_b16 v[0:1], v38 offset:4
	s_wait_xcnt 0x0
	s_or_b32 exec_lo, exec_lo, s7
	s_and_saveexec_b32 s7, s2
	s_cbranch_execz .LBB1946_766
.LBB1946_783:
	flat_store_b16 v[0:1], v49 offset:6
	s_wait_xcnt 0x0
	s_or_b32 exec_lo, exec_lo, s7
	s_and_saveexec_b32 s7, s3
	s_cbranch_execz .LBB1946_767
.LBB1946_784:
	flat_store_b16 v[0:1], v39 offset:8
	s_wait_xcnt 0x0
	s_or_b32 exec_lo, exec_lo, s7
	s_and_saveexec_b32 s7, s4
	s_cbranch_execz .LBB1946_768
.LBB1946_785:
	flat_store_b16 v[0:1], v36 offset:10
	s_wait_xcnt 0x0
	s_or_b32 exec_lo, exec_lo, s7
	s_and_saveexec_b32 s7, s5
	s_cbranch_execz .LBB1946_769
.LBB1946_786:
	flat_store_b16 v[0:1], v48 offset:12
	s_wait_xcnt 0x0
	s_or_b32 exec_lo, exec_lo, s7
	s_and_saveexec_b32 s7, s6
	s_cbranch_execnz .LBB1946_770
	s_branch .LBB1946_771
.LBB1946_787:
	flat_store_b64 v[0:1], v[10:11]
	s_wait_xcnt 0x0
	s_or_b32 exec_lo, exec_lo, s7
	s_and_saveexec_b32 s7, s0
	s_cbranch_execz .LBB1946_773
.LBB1946_788:
	flat_store_b64 v[0:1], v[12:13] offset:8
	s_wait_xcnt 0x0
	s_or_b32 exec_lo, exec_lo, s7
	s_and_saveexec_b32 s0, s1
	s_cbranch_execz .LBB1946_774
.LBB1946_789:
	flat_store_b64 v[0:1], v[14:15] offset:16
	s_wait_xcnt 0x0
	s_or_b32 exec_lo, exec_lo, s0
	s_and_saveexec_b32 s0, s2
	s_cbranch_execz .LBB1946_775
.LBB1946_790:
	flat_store_b64 v[0:1], v[16:17] offset:24
	s_wait_xcnt 0x0
	s_or_b32 exec_lo, exec_lo, s0
	s_and_saveexec_b32 s0, s3
	s_cbranch_execz .LBB1946_776
.LBB1946_791:
	flat_store_b64 v[0:1], v[18:19] offset:32
	s_wait_xcnt 0x0
	s_or_b32 exec_lo, exec_lo, s0
	s_and_saveexec_b32 s0, s4
	s_cbranch_execz .LBB1946_777
.LBB1946_792:
	flat_store_b64 v[0:1], v[22:23] offset:40
	s_wait_xcnt 0x0
	s_or_b32 exec_lo, exec_lo, s0
	s_and_saveexec_b32 s0, s5
	s_cbranch_execz .LBB1946_778
.LBB1946_793:
	flat_store_b64 v[0:1], v[20:21] offset:48
	s_wait_xcnt 0x0
	s_or_b32 exec_lo, exec_lo, s0
	s_and_saveexec_b32 s0, s6
	s_cbranch_execz .LBB1946_779
.LBB1946_794:
	flat_store_b64 v[0:1], v[24:25] offset:56
	s_wait_xcnt 0x0
	s_or_b32 exec_lo, exec_lo, s0
	s_wait_dscnt 0x0
	s_set_pc_i64 s[30:31]
.Lfunc_end1946:
	.size	_ZN7rocprim17ROCPRIM_400000_NS6detail26segmented_warp_sort_helperINS1_20WarpSortHelperConfigILj16ELj8ELj256EEE12hip_bfloat16lLi256ELb1EvE4sortIPKS5_PS5_PKlPlEEvT_T0_T1_T2_jjjjRNS6_12storage_typeE, .Lfunc_end1946-_ZN7rocprim17ROCPRIM_400000_NS6detail26segmented_warp_sort_helperINS1_20WarpSortHelperConfigILj16ELj8ELj256EEE12hip_bfloat16lLi256ELb1EvE4sortIPKS5_PS5_PKlPlEEvT_T0_T1_T2_jjjjRNS6_12storage_typeE
                                        ; -- End function
	.set .L_ZN7rocprim17ROCPRIM_400000_NS6detail26segmented_warp_sort_helperINS1_20WarpSortHelperConfigILj16ELj8ELj256EEE12hip_bfloat16lLi256ELb1EvE4sortIPKS5_PS5_PKlPlEEvT_T0_T1_T2_jjjjRNS6_12storage_typeE.num_vgpr, 71
	.set .L_ZN7rocprim17ROCPRIM_400000_NS6detail26segmented_warp_sort_helperINS1_20WarpSortHelperConfigILj16ELj8ELj256EEE12hip_bfloat16lLi256ELb1EvE4sortIPKS5_PS5_PKlPlEEvT_T0_T1_T2_jjjjRNS6_12storage_typeE.num_agpr, 0
	.set .L_ZN7rocprim17ROCPRIM_400000_NS6detail26segmented_warp_sort_helperINS1_20WarpSortHelperConfigILj16ELj8ELj256EEE12hip_bfloat16lLi256ELb1EvE4sortIPKS5_PS5_PKlPlEEvT_T0_T1_T2_jjjjRNS6_12storage_typeE.numbered_sgpr, 32
	.set .L_ZN7rocprim17ROCPRIM_400000_NS6detail26segmented_warp_sort_helperINS1_20WarpSortHelperConfigILj16ELj8ELj256EEE12hip_bfloat16lLi256ELb1EvE4sortIPKS5_PS5_PKlPlEEvT_T0_T1_T2_jjjjRNS6_12storage_typeE.num_named_barrier, 0
	.set .L_ZN7rocprim17ROCPRIM_400000_NS6detail26segmented_warp_sort_helperINS1_20WarpSortHelperConfigILj16ELj8ELj256EEE12hip_bfloat16lLi256ELb1EvE4sortIPKS5_PS5_PKlPlEEvT_T0_T1_T2_jjjjRNS6_12storage_typeE.private_seg_size, 0
	.set .L_ZN7rocprim17ROCPRIM_400000_NS6detail26segmented_warp_sort_helperINS1_20WarpSortHelperConfigILj16ELj8ELj256EEE12hip_bfloat16lLi256ELb1EvE4sortIPKS5_PS5_PKlPlEEvT_T0_T1_T2_jjjjRNS6_12storage_typeE.uses_vcc, 1
	.set .L_ZN7rocprim17ROCPRIM_400000_NS6detail26segmented_warp_sort_helperINS1_20WarpSortHelperConfigILj16ELj8ELj256EEE12hip_bfloat16lLi256ELb1EvE4sortIPKS5_PS5_PKlPlEEvT_T0_T1_T2_jjjjRNS6_12storage_typeE.uses_flat_scratch, 0
	.set .L_ZN7rocprim17ROCPRIM_400000_NS6detail26segmented_warp_sort_helperINS1_20WarpSortHelperConfigILj16ELj8ELj256EEE12hip_bfloat16lLi256ELb1EvE4sortIPKS5_PS5_PKlPlEEvT_T0_T1_T2_jjjjRNS6_12storage_typeE.has_dyn_sized_stack, 0
	.set .L_ZN7rocprim17ROCPRIM_400000_NS6detail26segmented_warp_sort_helperINS1_20WarpSortHelperConfigILj16ELj8ELj256EEE12hip_bfloat16lLi256ELb1EvE4sortIPKS5_PS5_PKlPlEEvT_T0_T1_T2_jjjjRNS6_12storage_typeE.has_recursion, 0
	.set .L_ZN7rocprim17ROCPRIM_400000_NS6detail26segmented_warp_sort_helperINS1_20WarpSortHelperConfigILj16ELj8ELj256EEE12hip_bfloat16lLi256ELb1EvE4sortIPKS5_PS5_PKlPlEEvT_T0_T1_T2_jjjjRNS6_12storage_typeE.has_indirect_call, 0
	.section	.AMDGPU.csdata,"",@progbits
; Function info:
; codeLenInByte = 29936
; TotalNumSgprs: 34
; NumVgprs: 71
; ScratchSize: 0
; MemoryBound: 0
	.section	.text._ZN7rocprim17ROCPRIM_400000_NS6detail17trampoline_kernelINS0_14default_configENS1_36segmented_radix_sort_config_selectorI12hip_bfloat16lEEZNS1_25segmented_radix_sort_implIS3_Lb1EPKS5_PS5_PKlPlN2at6native12_GLOBAL__N_18offset_tEEE10hipError_tPvRmT1_PNSt15iterator_traitsISL_E10value_typeET2_T3_PNSM_ISR_E10value_typeET4_jRbjT5_SX_jjP12ihipStream_tbEUlT_E0_NS1_11comp_targetILNS1_3genE0ELNS1_11target_archE4294967295ELNS1_3gpuE0ELNS1_3repE0EEENS1_60segmented_radix_sort_warp_sort_medium_config_static_selectorELNS0_4arch9wavefront6targetE0EEEvSL_,"axG",@progbits,_ZN7rocprim17ROCPRIM_400000_NS6detail17trampoline_kernelINS0_14default_configENS1_36segmented_radix_sort_config_selectorI12hip_bfloat16lEEZNS1_25segmented_radix_sort_implIS3_Lb1EPKS5_PS5_PKlPlN2at6native12_GLOBAL__N_18offset_tEEE10hipError_tPvRmT1_PNSt15iterator_traitsISL_E10value_typeET2_T3_PNSM_ISR_E10value_typeET4_jRbjT5_SX_jjP12ihipStream_tbEUlT_E0_NS1_11comp_targetILNS1_3genE0ELNS1_11target_archE4294967295ELNS1_3gpuE0ELNS1_3repE0EEENS1_60segmented_radix_sort_warp_sort_medium_config_static_selectorELNS0_4arch9wavefront6targetE0EEEvSL_,comdat
	.globl	_ZN7rocprim17ROCPRIM_400000_NS6detail17trampoline_kernelINS0_14default_configENS1_36segmented_radix_sort_config_selectorI12hip_bfloat16lEEZNS1_25segmented_radix_sort_implIS3_Lb1EPKS5_PS5_PKlPlN2at6native12_GLOBAL__N_18offset_tEEE10hipError_tPvRmT1_PNSt15iterator_traitsISL_E10value_typeET2_T3_PNSM_ISR_E10value_typeET4_jRbjT5_SX_jjP12ihipStream_tbEUlT_E0_NS1_11comp_targetILNS1_3genE0ELNS1_11target_archE4294967295ELNS1_3gpuE0ELNS1_3repE0EEENS1_60segmented_radix_sort_warp_sort_medium_config_static_selectorELNS0_4arch9wavefront6targetE0EEEvSL_ ; -- Begin function _ZN7rocprim17ROCPRIM_400000_NS6detail17trampoline_kernelINS0_14default_configENS1_36segmented_radix_sort_config_selectorI12hip_bfloat16lEEZNS1_25segmented_radix_sort_implIS3_Lb1EPKS5_PS5_PKlPlN2at6native12_GLOBAL__N_18offset_tEEE10hipError_tPvRmT1_PNSt15iterator_traitsISL_E10value_typeET2_T3_PNSM_ISR_E10value_typeET4_jRbjT5_SX_jjP12ihipStream_tbEUlT_E0_NS1_11comp_targetILNS1_3genE0ELNS1_11target_archE4294967295ELNS1_3gpuE0ELNS1_3repE0EEENS1_60segmented_radix_sort_warp_sort_medium_config_static_selectorELNS0_4arch9wavefront6targetE0EEEvSL_
	.p2align	8
	.type	_ZN7rocprim17ROCPRIM_400000_NS6detail17trampoline_kernelINS0_14default_configENS1_36segmented_radix_sort_config_selectorI12hip_bfloat16lEEZNS1_25segmented_radix_sort_implIS3_Lb1EPKS5_PS5_PKlPlN2at6native12_GLOBAL__N_18offset_tEEE10hipError_tPvRmT1_PNSt15iterator_traitsISL_E10value_typeET2_T3_PNSM_ISR_E10value_typeET4_jRbjT5_SX_jjP12ihipStream_tbEUlT_E0_NS1_11comp_targetILNS1_3genE0ELNS1_11target_archE4294967295ELNS1_3gpuE0ELNS1_3repE0EEENS1_60segmented_radix_sort_warp_sort_medium_config_static_selectorELNS0_4arch9wavefront6targetE0EEEvSL_,@function
_ZN7rocprim17ROCPRIM_400000_NS6detail17trampoline_kernelINS0_14default_configENS1_36segmented_radix_sort_config_selectorI12hip_bfloat16lEEZNS1_25segmented_radix_sort_implIS3_Lb1EPKS5_PS5_PKlPlN2at6native12_GLOBAL__N_18offset_tEEE10hipError_tPvRmT1_PNSt15iterator_traitsISL_E10value_typeET2_T3_PNSM_ISR_E10value_typeET4_jRbjT5_SX_jjP12ihipStream_tbEUlT_E0_NS1_11comp_targetILNS1_3genE0ELNS1_11target_archE4294967295ELNS1_3gpuE0ELNS1_3repE0EEENS1_60segmented_radix_sort_warp_sort_medium_config_static_selectorELNS0_4arch9wavefront6targetE0EEEvSL_: ; @_ZN7rocprim17ROCPRIM_400000_NS6detail17trampoline_kernelINS0_14default_configENS1_36segmented_radix_sort_config_selectorI12hip_bfloat16lEEZNS1_25segmented_radix_sort_implIS3_Lb1EPKS5_PS5_PKlPlN2at6native12_GLOBAL__N_18offset_tEEE10hipError_tPvRmT1_PNSt15iterator_traitsISL_E10value_typeET2_T3_PNSM_ISR_E10value_typeET4_jRbjT5_SX_jjP12ihipStream_tbEUlT_E0_NS1_11comp_targetILNS1_3genE0ELNS1_11target_archE4294967295ELNS1_3gpuE0ELNS1_3repE0EEENS1_60segmented_radix_sort_warp_sort_medium_config_static_selectorELNS0_4arch9wavefront6targetE0EEEvSL_
; %bb.0:
	s_load_b32 s4, s[2:3], 0x64
	v_bfe_u32 v1, v0, 10, 10
	v_bfe_u32 v2, v0, 20, 10
	v_and_b32_e32 v3, 0x3ff, v0
	s_and_b32 s6, ttmp6, 15
	s_getreg_b32 s7, hwreg(HW_REG_IB_STS2, 6, 4)
	s_mov_b32 s32, 0
	s_wait_kmcnt 0x0
	s_lshr_b32 s5, s4, 16
	s_and_b32 s4, s4, 0xffff
	v_mad_u32_u24 v1, v2, s5, v1
	s_bfe_u32 s5, ttmp6, 0x4000c
	s_delay_alu instid0(SALU_CYCLE_1) | instskip(NEXT) | instid1(SALU_CYCLE_1)
	s_add_co_i32 s5, s5, 1
	s_mul_i32 s5, ttmp9, s5
	s_delay_alu instid0(VALU_DEP_1) | instskip(SKIP_4) | instid1(VALU_DEP_1)
	v_mad_u32 v1, v1, s4, v3
	s_load_b32 s4, s[2:3], 0x34
	s_add_co_i32 s6, s6, s5
	s_cmp_eq_u32 s7, 0
	s_cselect_b32 s5, ttmp9, s6
	v_lshrrev_b32_e32 v1, 4, v1
	s_delay_alu instid0(VALU_DEP_1) | instskip(SKIP_1) | instid1(VALU_DEP_1)
	v_lshl_add_u32 v1, s5, 4, v1
	s_wait_kmcnt 0x0
	v_cmp_gt_u32_e32 vcc_lo, s4, v1
	s_and_saveexec_b32 s4, vcc_lo
	s_cbranch_execz .LBB1947_6
; %bb.1:
	s_clause 0x1
	s_load_b64 s[8:9], s[2:3], 0x38
	s_load_b128 s[4:7], s[2:3], 0x40
	s_wait_kmcnt 0x0
	global_load_b32 v1, v1, s[8:9] scale_offset
	s_wait_loadcnt 0x0
	v_dual_add_nc_u32 v2, s5, v1 :: v_dual_add_nc_u32 v1, s7, v1
	s_delay_alu instid0(VALU_DEP_1) | instskip(NEXT) | instid1(VALU_DEP_2)
	v_mul_lo_u32 v8, v2, s4
	v_mul_lo_u32 v40, v1, s6
	s_delay_alu instid0(VALU_DEP_1)
	v_cmp_gt_u32_e32 vcc_lo, v40, v8
	s_and_b32 exec_lo, exec_lo, vcc_lo
	s_cbranch_execz .LBB1947_6
; %bb.2:
	s_clause 0x2
	s_load_b32 s4, s[2:3], 0x30
	s_load_b128 s[24:27], s[2:3], 0x20
	s_load_b256 s[36:43], s[2:3], 0x0
	s_add_nc_u64 s[20:21], s[2:3], 0x58
	s_get_pc_i64 s[22:23]
	s_add_nc_u64 s[22:23], s[22:23], _ZN7rocprim17ROCPRIM_400000_NS6detail26segmented_warp_sort_helperINS1_20WarpSortHelperConfigILj16ELj8ELj256EEE12hip_bfloat16lLi256ELb1EvE4sortIPKS5_PS5_PKlPlEEvT_T0_T1_T2_jjjjRNS6_12storage_typeE@rel64+4
	s_wait_kmcnt 0x0
	s_bitcmp0_b32 s4, 0
	s_mov_b32 s4, -1
	s_cbranch_scc0 .LBB1947_4
; %bb.3:
	v_dual_mov_b32 v31, v0 :: v_dual_mov_b32 v41, v0
	v_dual_mov_b32 v0, s36 :: v_dual_mov_b32 v1, s37
	;; [unrolled: 1-line block ×5, first 2 shown]
	v_mov_b32_e32 v9, v40
	s_mov_b64 s[6:7], s[0:1]
	s_mov_b64 s[8:9], s[20:21]
	;; [unrolled: 1-line block ×3, first 2 shown]
	s_swap_pc_i64 s[30:31], s[22:23]
	v_mov_b32_e32 v0, v41
	s_mov_b64 s[0:1], s[24:25]
	s_mov_b32 s4, 0
.LBB1947_4:
	s_delay_alu instid0(SALU_CYCLE_1)
	s_and_not1_b32 vcc_lo, exec_lo, s4
	s_cbranch_vccnz .LBB1947_6
; %bb.5:
	v_dual_mov_b32 v31, v0 :: v_dual_mov_b32 v0, s36
	v_dual_mov_b32 v1, s37 :: v_dual_mov_b32 v2, s40
	;; [unrolled: 1-line block ×5, first 2 shown]
	s_mov_b64 s[6:7], s[0:1]
	s_mov_b64 s[8:9], s[20:21]
	s_swap_pc_i64 s[30:31], s[22:23]
.LBB1947_6:
	s_endpgm
	.section	.rodata,"a",@progbits
	.p2align	6, 0x0
	.amdhsa_kernel _ZN7rocprim17ROCPRIM_400000_NS6detail17trampoline_kernelINS0_14default_configENS1_36segmented_radix_sort_config_selectorI12hip_bfloat16lEEZNS1_25segmented_radix_sort_implIS3_Lb1EPKS5_PS5_PKlPlN2at6native12_GLOBAL__N_18offset_tEEE10hipError_tPvRmT1_PNSt15iterator_traitsISL_E10value_typeET2_T3_PNSM_ISR_E10value_typeET4_jRbjT5_SX_jjP12ihipStream_tbEUlT_E0_NS1_11comp_targetILNS1_3genE0ELNS1_11target_archE4294967295ELNS1_3gpuE0ELNS1_3repE0EEENS1_60segmented_radix_sort_warp_sort_medium_config_static_selectorELNS0_4arch9wavefront6targetE0EEEvSL_
		.amdhsa_group_segment_fixed_size 20480
		.amdhsa_private_segment_fixed_size 0
		.amdhsa_kernarg_size 344
		.amdhsa_user_sgpr_count 4
		.amdhsa_user_sgpr_dispatch_ptr 0
		.amdhsa_user_sgpr_queue_ptr 1
		.amdhsa_user_sgpr_kernarg_segment_ptr 1
		.amdhsa_user_sgpr_dispatch_id 0
		.amdhsa_user_sgpr_kernarg_preload_length 0
		.amdhsa_user_sgpr_kernarg_preload_offset 0
		.amdhsa_user_sgpr_private_segment_size 0
		.amdhsa_wavefront_size32 1
		.amdhsa_uses_dynamic_stack 0
		.amdhsa_enable_private_segment 0
		.amdhsa_system_sgpr_workgroup_id_x 1
		.amdhsa_system_sgpr_workgroup_id_y 1
		.amdhsa_system_sgpr_workgroup_id_z 0
		.amdhsa_system_sgpr_workgroup_info 0
		.amdhsa_system_vgpr_workitem_id 2
		.amdhsa_next_free_vgpr 71
		.amdhsa_next_free_sgpr 44
		.amdhsa_named_barrier_count 0
		.amdhsa_reserve_vcc 1
		.amdhsa_float_round_mode_32 0
		.amdhsa_float_round_mode_16_64 0
		.amdhsa_float_denorm_mode_32 3
		.amdhsa_float_denorm_mode_16_64 3
		.amdhsa_fp16_overflow 0
		.amdhsa_memory_ordered 1
		.amdhsa_forward_progress 1
		.amdhsa_inst_pref_size 4
		.amdhsa_round_robin_scheduling 0
		.amdhsa_exception_fp_ieee_invalid_op 0
		.amdhsa_exception_fp_denorm_src 0
		.amdhsa_exception_fp_ieee_div_zero 0
		.amdhsa_exception_fp_ieee_overflow 0
		.amdhsa_exception_fp_ieee_underflow 0
		.amdhsa_exception_fp_ieee_inexact 0
		.amdhsa_exception_int_div_zero 0
	.end_amdhsa_kernel
	.section	.text._ZN7rocprim17ROCPRIM_400000_NS6detail17trampoline_kernelINS0_14default_configENS1_36segmented_radix_sort_config_selectorI12hip_bfloat16lEEZNS1_25segmented_radix_sort_implIS3_Lb1EPKS5_PS5_PKlPlN2at6native12_GLOBAL__N_18offset_tEEE10hipError_tPvRmT1_PNSt15iterator_traitsISL_E10value_typeET2_T3_PNSM_ISR_E10value_typeET4_jRbjT5_SX_jjP12ihipStream_tbEUlT_E0_NS1_11comp_targetILNS1_3genE0ELNS1_11target_archE4294967295ELNS1_3gpuE0ELNS1_3repE0EEENS1_60segmented_radix_sort_warp_sort_medium_config_static_selectorELNS0_4arch9wavefront6targetE0EEEvSL_,"axG",@progbits,_ZN7rocprim17ROCPRIM_400000_NS6detail17trampoline_kernelINS0_14default_configENS1_36segmented_radix_sort_config_selectorI12hip_bfloat16lEEZNS1_25segmented_radix_sort_implIS3_Lb1EPKS5_PS5_PKlPlN2at6native12_GLOBAL__N_18offset_tEEE10hipError_tPvRmT1_PNSt15iterator_traitsISL_E10value_typeET2_T3_PNSM_ISR_E10value_typeET4_jRbjT5_SX_jjP12ihipStream_tbEUlT_E0_NS1_11comp_targetILNS1_3genE0ELNS1_11target_archE4294967295ELNS1_3gpuE0ELNS1_3repE0EEENS1_60segmented_radix_sort_warp_sort_medium_config_static_selectorELNS0_4arch9wavefront6targetE0EEEvSL_,comdat
.Lfunc_end1947:
	.size	_ZN7rocprim17ROCPRIM_400000_NS6detail17trampoline_kernelINS0_14default_configENS1_36segmented_radix_sort_config_selectorI12hip_bfloat16lEEZNS1_25segmented_radix_sort_implIS3_Lb1EPKS5_PS5_PKlPlN2at6native12_GLOBAL__N_18offset_tEEE10hipError_tPvRmT1_PNSt15iterator_traitsISL_E10value_typeET2_T3_PNSM_ISR_E10value_typeET4_jRbjT5_SX_jjP12ihipStream_tbEUlT_E0_NS1_11comp_targetILNS1_3genE0ELNS1_11target_archE4294967295ELNS1_3gpuE0ELNS1_3repE0EEENS1_60segmented_radix_sort_warp_sort_medium_config_static_selectorELNS0_4arch9wavefront6targetE0EEEvSL_, .Lfunc_end1947-_ZN7rocprim17ROCPRIM_400000_NS6detail17trampoline_kernelINS0_14default_configENS1_36segmented_radix_sort_config_selectorI12hip_bfloat16lEEZNS1_25segmented_radix_sort_implIS3_Lb1EPKS5_PS5_PKlPlN2at6native12_GLOBAL__N_18offset_tEEE10hipError_tPvRmT1_PNSt15iterator_traitsISL_E10value_typeET2_T3_PNSM_ISR_E10value_typeET4_jRbjT5_SX_jjP12ihipStream_tbEUlT_E0_NS1_11comp_targetILNS1_3genE0ELNS1_11target_archE4294967295ELNS1_3gpuE0ELNS1_3repE0EEENS1_60segmented_radix_sort_warp_sort_medium_config_static_selectorELNS0_4arch9wavefront6targetE0EEEvSL_
                                        ; -- End function
	.set _ZN7rocprim17ROCPRIM_400000_NS6detail17trampoline_kernelINS0_14default_configENS1_36segmented_radix_sort_config_selectorI12hip_bfloat16lEEZNS1_25segmented_radix_sort_implIS3_Lb1EPKS5_PS5_PKlPlN2at6native12_GLOBAL__N_18offset_tEEE10hipError_tPvRmT1_PNSt15iterator_traitsISL_E10value_typeET2_T3_PNSM_ISR_E10value_typeET4_jRbjT5_SX_jjP12ihipStream_tbEUlT_E0_NS1_11comp_targetILNS1_3genE0ELNS1_11target_archE4294967295ELNS1_3gpuE0ELNS1_3repE0EEENS1_60segmented_radix_sort_warp_sort_medium_config_static_selectorELNS0_4arch9wavefront6targetE0EEEvSL_.num_vgpr, max(42, .L_ZN7rocprim17ROCPRIM_400000_NS6detail26segmented_warp_sort_helperINS1_20WarpSortHelperConfigILj16ELj8ELj256EEE12hip_bfloat16lLi256ELb1EvE4sortIPKS5_PS5_PKlPlEEvT_T0_T1_T2_jjjjRNS6_12storage_typeE.num_vgpr)
	.set _ZN7rocprim17ROCPRIM_400000_NS6detail17trampoline_kernelINS0_14default_configENS1_36segmented_radix_sort_config_selectorI12hip_bfloat16lEEZNS1_25segmented_radix_sort_implIS3_Lb1EPKS5_PS5_PKlPlN2at6native12_GLOBAL__N_18offset_tEEE10hipError_tPvRmT1_PNSt15iterator_traitsISL_E10value_typeET2_T3_PNSM_ISR_E10value_typeET4_jRbjT5_SX_jjP12ihipStream_tbEUlT_E0_NS1_11comp_targetILNS1_3genE0ELNS1_11target_archE4294967295ELNS1_3gpuE0ELNS1_3repE0EEENS1_60segmented_radix_sort_warp_sort_medium_config_static_selectorELNS0_4arch9wavefront6targetE0EEEvSL_.num_agpr, max(0, .L_ZN7rocprim17ROCPRIM_400000_NS6detail26segmented_warp_sort_helperINS1_20WarpSortHelperConfigILj16ELj8ELj256EEE12hip_bfloat16lLi256ELb1EvE4sortIPKS5_PS5_PKlPlEEvT_T0_T1_T2_jjjjRNS6_12storage_typeE.num_agpr)
	.set _ZN7rocprim17ROCPRIM_400000_NS6detail17trampoline_kernelINS0_14default_configENS1_36segmented_radix_sort_config_selectorI12hip_bfloat16lEEZNS1_25segmented_radix_sort_implIS3_Lb1EPKS5_PS5_PKlPlN2at6native12_GLOBAL__N_18offset_tEEE10hipError_tPvRmT1_PNSt15iterator_traitsISL_E10value_typeET2_T3_PNSM_ISR_E10value_typeET4_jRbjT5_SX_jjP12ihipStream_tbEUlT_E0_NS1_11comp_targetILNS1_3genE0ELNS1_11target_archE4294967295ELNS1_3gpuE0ELNS1_3repE0EEENS1_60segmented_radix_sort_warp_sort_medium_config_static_selectorELNS0_4arch9wavefront6targetE0EEEvSL_.numbered_sgpr, max(44, .L_ZN7rocprim17ROCPRIM_400000_NS6detail26segmented_warp_sort_helperINS1_20WarpSortHelperConfigILj16ELj8ELj256EEE12hip_bfloat16lLi256ELb1EvE4sortIPKS5_PS5_PKlPlEEvT_T0_T1_T2_jjjjRNS6_12storage_typeE.numbered_sgpr)
	.set _ZN7rocprim17ROCPRIM_400000_NS6detail17trampoline_kernelINS0_14default_configENS1_36segmented_radix_sort_config_selectorI12hip_bfloat16lEEZNS1_25segmented_radix_sort_implIS3_Lb1EPKS5_PS5_PKlPlN2at6native12_GLOBAL__N_18offset_tEEE10hipError_tPvRmT1_PNSt15iterator_traitsISL_E10value_typeET2_T3_PNSM_ISR_E10value_typeET4_jRbjT5_SX_jjP12ihipStream_tbEUlT_E0_NS1_11comp_targetILNS1_3genE0ELNS1_11target_archE4294967295ELNS1_3gpuE0ELNS1_3repE0EEENS1_60segmented_radix_sort_warp_sort_medium_config_static_selectorELNS0_4arch9wavefront6targetE0EEEvSL_.num_named_barrier, max(0, .L_ZN7rocprim17ROCPRIM_400000_NS6detail26segmented_warp_sort_helperINS1_20WarpSortHelperConfigILj16ELj8ELj256EEE12hip_bfloat16lLi256ELb1EvE4sortIPKS5_PS5_PKlPlEEvT_T0_T1_T2_jjjjRNS6_12storage_typeE.num_named_barrier)
	.set _ZN7rocprim17ROCPRIM_400000_NS6detail17trampoline_kernelINS0_14default_configENS1_36segmented_radix_sort_config_selectorI12hip_bfloat16lEEZNS1_25segmented_radix_sort_implIS3_Lb1EPKS5_PS5_PKlPlN2at6native12_GLOBAL__N_18offset_tEEE10hipError_tPvRmT1_PNSt15iterator_traitsISL_E10value_typeET2_T3_PNSM_ISR_E10value_typeET4_jRbjT5_SX_jjP12ihipStream_tbEUlT_E0_NS1_11comp_targetILNS1_3genE0ELNS1_11target_archE4294967295ELNS1_3gpuE0ELNS1_3repE0EEENS1_60segmented_radix_sort_warp_sort_medium_config_static_selectorELNS0_4arch9wavefront6targetE0EEEvSL_.private_seg_size, 0+max(.L_ZN7rocprim17ROCPRIM_400000_NS6detail26segmented_warp_sort_helperINS1_20WarpSortHelperConfigILj16ELj8ELj256EEE12hip_bfloat16lLi256ELb1EvE4sortIPKS5_PS5_PKlPlEEvT_T0_T1_T2_jjjjRNS6_12storage_typeE.private_seg_size)
	.set _ZN7rocprim17ROCPRIM_400000_NS6detail17trampoline_kernelINS0_14default_configENS1_36segmented_radix_sort_config_selectorI12hip_bfloat16lEEZNS1_25segmented_radix_sort_implIS3_Lb1EPKS5_PS5_PKlPlN2at6native12_GLOBAL__N_18offset_tEEE10hipError_tPvRmT1_PNSt15iterator_traitsISL_E10value_typeET2_T3_PNSM_ISR_E10value_typeET4_jRbjT5_SX_jjP12ihipStream_tbEUlT_E0_NS1_11comp_targetILNS1_3genE0ELNS1_11target_archE4294967295ELNS1_3gpuE0ELNS1_3repE0EEENS1_60segmented_radix_sort_warp_sort_medium_config_static_selectorELNS0_4arch9wavefront6targetE0EEEvSL_.uses_vcc, or(1, .L_ZN7rocprim17ROCPRIM_400000_NS6detail26segmented_warp_sort_helperINS1_20WarpSortHelperConfigILj16ELj8ELj256EEE12hip_bfloat16lLi256ELb1EvE4sortIPKS5_PS5_PKlPlEEvT_T0_T1_T2_jjjjRNS6_12storage_typeE.uses_vcc)
	.set _ZN7rocprim17ROCPRIM_400000_NS6detail17trampoline_kernelINS0_14default_configENS1_36segmented_radix_sort_config_selectorI12hip_bfloat16lEEZNS1_25segmented_radix_sort_implIS3_Lb1EPKS5_PS5_PKlPlN2at6native12_GLOBAL__N_18offset_tEEE10hipError_tPvRmT1_PNSt15iterator_traitsISL_E10value_typeET2_T3_PNSM_ISR_E10value_typeET4_jRbjT5_SX_jjP12ihipStream_tbEUlT_E0_NS1_11comp_targetILNS1_3genE0ELNS1_11target_archE4294967295ELNS1_3gpuE0ELNS1_3repE0EEENS1_60segmented_radix_sort_warp_sort_medium_config_static_selectorELNS0_4arch9wavefront6targetE0EEEvSL_.uses_flat_scratch, or(0, .L_ZN7rocprim17ROCPRIM_400000_NS6detail26segmented_warp_sort_helperINS1_20WarpSortHelperConfigILj16ELj8ELj256EEE12hip_bfloat16lLi256ELb1EvE4sortIPKS5_PS5_PKlPlEEvT_T0_T1_T2_jjjjRNS6_12storage_typeE.uses_flat_scratch)
	.set _ZN7rocprim17ROCPRIM_400000_NS6detail17trampoline_kernelINS0_14default_configENS1_36segmented_radix_sort_config_selectorI12hip_bfloat16lEEZNS1_25segmented_radix_sort_implIS3_Lb1EPKS5_PS5_PKlPlN2at6native12_GLOBAL__N_18offset_tEEE10hipError_tPvRmT1_PNSt15iterator_traitsISL_E10value_typeET2_T3_PNSM_ISR_E10value_typeET4_jRbjT5_SX_jjP12ihipStream_tbEUlT_E0_NS1_11comp_targetILNS1_3genE0ELNS1_11target_archE4294967295ELNS1_3gpuE0ELNS1_3repE0EEENS1_60segmented_radix_sort_warp_sort_medium_config_static_selectorELNS0_4arch9wavefront6targetE0EEEvSL_.has_dyn_sized_stack, or(0, .L_ZN7rocprim17ROCPRIM_400000_NS6detail26segmented_warp_sort_helperINS1_20WarpSortHelperConfigILj16ELj8ELj256EEE12hip_bfloat16lLi256ELb1EvE4sortIPKS5_PS5_PKlPlEEvT_T0_T1_T2_jjjjRNS6_12storage_typeE.has_dyn_sized_stack)
	.set _ZN7rocprim17ROCPRIM_400000_NS6detail17trampoline_kernelINS0_14default_configENS1_36segmented_radix_sort_config_selectorI12hip_bfloat16lEEZNS1_25segmented_radix_sort_implIS3_Lb1EPKS5_PS5_PKlPlN2at6native12_GLOBAL__N_18offset_tEEE10hipError_tPvRmT1_PNSt15iterator_traitsISL_E10value_typeET2_T3_PNSM_ISR_E10value_typeET4_jRbjT5_SX_jjP12ihipStream_tbEUlT_E0_NS1_11comp_targetILNS1_3genE0ELNS1_11target_archE4294967295ELNS1_3gpuE0ELNS1_3repE0EEENS1_60segmented_radix_sort_warp_sort_medium_config_static_selectorELNS0_4arch9wavefront6targetE0EEEvSL_.has_recursion, or(0, .L_ZN7rocprim17ROCPRIM_400000_NS6detail26segmented_warp_sort_helperINS1_20WarpSortHelperConfigILj16ELj8ELj256EEE12hip_bfloat16lLi256ELb1EvE4sortIPKS5_PS5_PKlPlEEvT_T0_T1_T2_jjjjRNS6_12storage_typeE.has_recursion)
	.set _ZN7rocprim17ROCPRIM_400000_NS6detail17trampoline_kernelINS0_14default_configENS1_36segmented_radix_sort_config_selectorI12hip_bfloat16lEEZNS1_25segmented_radix_sort_implIS3_Lb1EPKS5_PS5_PKlPlN2at6native12_GLOBAL__N_18offset_tEEE10hipError_tPvRmT1_PNSt15iterator_traitsISL_E10value_typeET2_T3_PNSM_ISR_E10value_typeET4_jRbjT5_SX_jjP12ihipStream_tbEUlT_E0_NS1_11comp_targetILNS1_3genE0ELNS1_11target_archE4294967295ELNS1_3gpuE0ELNS1_3repE0EEENS1_60segmented_radix_sort_warp_sort_medium_config_static_selectorELNS0_4arch9wavefront6targetE0EEEvSL_.has_indirect_call, or(0, .L_ZN7rocprim17ROCPRIM_400000_NS6detail26segmented_warp_sort_helperINS1_20WarpSortHelperConfigILj16ELj8ELj256EEE12hip_bfloat16lLi256ELb1EvE4sortIPKS5_PS5_PKlPlEEvT_T0_T1_T2_jjjjRNS6_12storage_typeE.has_indirect_call)
	.section	.AMDGPU.csdata,"",@progbits
; Kernel info:
; codeLenInByte = 456
; TotalNumSgprs: 46
; NumVgprs: 71
; ScratchSize: 0
; MemoryBound: 0
; FloatMode: 240
; IeeeMode: 1
; LDSByteSize: 20480 bytes/workgroup (compile time only)
; SGPRBlocks: 0
; VGPRBlocks: 4
; NumSGPRsForWavesPerEU: 46
; NumVGPRsForWavesPerEU: 71
; NamedBarCnt: 0
; Occupancy: 12
; WaveLimiterHint : 0
; COMPUTE_PGM_RSRC2:SCRATCH_EN: 0
; COMPUTE_PGM_RSRC2:USER_SGPR: 4
; COMPUTE_PGM_RSRC2:TRAP_HANDLER: 0
; COMPUTE_PGM_RSRC2:TGID_X_EN: 1
; COMPUTE_PGM_RSRC2:TGID_Y_EN: 1
; COMPUTE_PGM_RSRC2:TGID_Z_EN: 0
; COMPUTE_PGM_RSRC2:TIDIG_COMP_CNT: 2
	.section	.text._ZN7rocprim17ROCPRIM_400000_NS6detail17trampoline_kernelINS0_14default_configENS1_36segmented_radix_sort_config_selectorI12hip_bfloat16lEEZNS1_25segmented_radix_sort_implIS3_Lb1EPKS5_PS5_PKlPlN2at6native12_GLOBAL__N_18offset_tEEE10hipError_tPvRmT1_PNSt15iterator_traitsISL_E10value_typeET2_T3_PNSM_ISR_E10value_typeET4_jRbjT5_SX_jjP12ihipStream_tbEUlT_E0_NS1_11comp_targetILNS1_3genE5ELNS1_11target_archE942ELNS1_3gpuE9ELNS1_3repE0EEENS1_60segmented_radix_sort_warp_sort_medium_config_static_selectorELNS0_4arch9wavefront6targetE0EEEvSL_,"axG",@progbits,_ZN7rocprim17ROCPRIM_400000_NS6detail17trampoline_kernelINS0_14default_configENS1_36segmented_radix_sort_config_selectorI12hip_bfloat16lEEZNS1_25segmented_radix_sort_implIS3_Lb1EPKS5_PS5_PKlPlN2at6native12_GLOBAL__N_18offset_tEEE10hipError_tPvRmT1_PNSt15iterator_traitsISL_E10value_typeET2_T3_PNSM_ISR_E10value_typeET4_jRbjT5_SX_jjP12ihipStream_tbEUlT_E0_NS1_11comp_targetILNS1_3genE5ELNS1_11target_archE942ELNS1_3gpuE9ELNS1_3repE0EEENS1_60segmented_radix_sort_warp_sort_medium_config_static_selectorELNS0_4arch9wavefront6targetE0EEEvSL_,comdat
	.globl	_ZN7rocprim17ROCPRIM_400000_NS6detail17trampoline_kernelINS0_14default_configENS1_36segmented_radix_sort_config_selectorI12hip_bfloat16lEEZNS1_25segmented_radix_sort_implIS3_Lb1EPKS5_PS5_PKlPlN2at6native12_GLOBAL__N_18offset_tEEE10hipError_tPvRmT1_PNSt15iterator_traitsISL_E10value_typeET2_T3_PNSM_ISR_E10value_typeET4_jRbjT5_SX_jjP12ihipStream_tbEUlT_E0_NS1_11comp_targetILNS1_3genE5ELNS1_11target_archE942ELNS1_3gpuE9ELNS1_3repE0EEENS1_60segmented_radix_sort_warp_sort_medium_config_static_selectorELNS0_4arch9wavefront6targetE0EEEvSL_ ; -- Begin function _ZN7rocprim17ROCPRIM_400000_NS6detail17trampoline_kernelINS0_14default_configENS1_36segmented_radix_sort_config_selectorI12hip_bfloat16lEEZNS1_25segmented_radix_sort_implIS3_Lb1EPKS5_PS5_PKlPlN2at6native12_GLOBAL__N_18offset_tEEE10hipError_tPvRmT1_PNSt15iterator_traitsISL_E10value_typeET2_T3_PNSM_ISR_E10value_typeET4_jRbjT5_SX_jjP12ihipStream_tbEUlT_E0_NS1_11comp_targetILNS1_3genE5ELNS1_11target_archE942ELNS1_3gpuE9ELNS1_3repE0EEENS1_60segmented_radix_sort_warp_sort_medium_config_static_selectorELNS0_4arch9wavefront6targetE0EEEvSL_
	.p2align	8
	.type	_ZN7rocprim17ROCPRIM_400000_NS6detail17trampoline_kernelINS0_14default_configENS1_36segmented_radix_sort_config_selectorI12hip_bfloat16lEEZNS1_25segmented_radix_sort_implIS3_Lb1EPKS5_PS5_PKlPlN2at6native12_GLOBAL__N_18offset_tEEE10hipError_tPvRmT1_PNSt15iterator_traitsISL_E10value_typeET2_T3_PNSM_ISR_E10value_typeET4_jRbjT5_SX_jjP12ihipStream_tbEUlT_E0_NS1_11comp_targetILNS1_3genE5ELNS1_11target_archE942ELNS1_3gpuE9ELNS1_3repE0EEENS1_60segmented_radix_sort_warp_sort_medium_config_static_selectorELNS0_4arch9wavefront6targetE0EEEvSL_,@function
_ZN7rocprim17ROCPRIM_400000_NS6detail17trampoline_kernelINS0_14default_configENS1_36segmented_radix_sort_config_selectorI12hip_bfloat16lEEZNS1_25segmented_radix_sort_implIS3_Lb1EPKS5_PS5_PKlPlN2at6native12_GLOBAL__N_18offset_tEEE10hipError_tPvRmT1_PNSt15iterator_traitsISL_E10value_typeET2_T3_PNSM_ISR_E10value_typeET4_jRbjT5_SX_jjP12ihipStream_tbEUlT_E0_NS1_11comp_targetILNS1_3genE5ELNS1_11target_archE942ELNS1_3gpuE9ELNS1_3repE0EEENS1_60segmented_radix_sort_warp_sort_medium_config_static_selectorELNS0_4arch9wavefront6targetE0EEEvSL_: ; @_ZN7rocprim17ROCPRIM_400000_NS6detail17trampoline_kernelINS0_14default_configENS1_36segmented_radix_sort_config_selectorI12hip_bfloat16lEEZNS1_25segmented_radix_sort_implIS3_Lb1EPKS5_PS5_PKlPlN2at6native12_GLOBAL__N_18offset_tEEE10hipError_tPvRmT1_PNSt15iterator_traitsISL_E10value_typeET2_T3_PNSM_ISR_E10value_typeET4_jRbjT5_SX_jjP12ihipStream_tbEUlT_E0_NS1_11comp_targetILNS1_3genE5ELNS1_11target_archE942ELNS1_3gpuE9ELNS1_3repE0EEENS1_60segmented_radix_sort_warp_sort_medium_config_static_selectorELNS0_4arch9wavefront6targetE0EEEvSL_
; %bb.0:
	.section	.rodata,"a",@progbits
	.p2align	6, 0x0
	.amdhsa_kernel _ZN7rocprim17ROCPRIM_400000_NS6detail17trampoline_kernelINS0_14default_configENS1_36segmented_radix_sort_config_selectorI12hip_bfloat16lEEZNS1_25segmented_radix_sort_implIS3_Lb1EPKS5_PS5_PKlPlN2at6native12_GLOBAL__N_18offset_tEEE10hipError_tPvRmT1_PNSt15iterator_traitsISL_E10value_typeET2_T3_PNSM_ISR_E10value_typeET4_jRbjT5_SX_jjP12ihipStream_tbEUlT_E0_NS1_11comp_targetILNS1_3genE5ELNS1_11target_archE942ELNS1_3gpuE9ELNS1_3repE0EEENS1_60segmented_radix_sort_warp_sort_medium_config_static_selectorELNS0_4arch9wavefront6targetE0EEEvSL_
		.amdhsa_group_segment_fixed_size 0
		.amdhsa_private_segment_fixed_size 0
		.amdhsa_kernarg_size 88
		.amdhsa_user_sgpr_count 2
		.amdhsa_user_sgpr_dispatch_ptr 0
		.amdhsa_user_sgpr_queue_ptr 0
		.amdhsa_user_sgpr_kernarg_segment_ptr 1
		.amdhsa_user_sgpr_dispatch_id 0
		.amdhsa_user_sgpr_kernarg_preload_length 0
		.amdhsa_user_sgpr_kernarg_preload_offset 0
		.amdhsa_user_sgpr_private_segment_size 0
		.amdhsa_wavefront_size32 1
		.amdhsa_uses_dynamic_stack 0
		.amdhsa_enable_private_segment 0
		.amdhsa_system_sgpr_workgroup_id_x 1
		.amdhsa_system_sgpr_workgroup_id_y 0
		.amdhsa_system_sgpr_workgroup_id_z 0
		.amdhsa_system_sgpr_workgroup_info 0
		.amdhsa_system_vgpr_workitem_id 0
		.amdhsa_next_free_vgpr 1
		.amdhsa_next_free_sgpr 1
		.amdhsa_named_barrier_count 0
		.amdhsa_reserve_vcc 0
		.amdhsa_float_round_mode_32 0
		.amdhsa_float_round_mode_16_64 0
		.amdhsa_float_denorm_mode_32 3
		.amdhsa_float_denorm_mode_16_64 3
		.amdhsa_fp16_overflow 0
		.amdhsa_memory_ordered 1
		.amdhsa_forward_progress 1
		.amdhsa_inst_pref_size 0
		.amdhsa_round_robin_scheduling 0
		.amdhsa_exception_fp_ieee_invalid_op 0
		.amdhsa_exception_fp_denorm_src 0
		.amdhsa_exception_fp_ieee_div_zero 0
		.amdhsa_exception_fp_ieee_overflow 0
		.amdhsa_exception_fp_ieee_underflow 0
		.amdhsa_exception_fp_ieee_inexact 0
		.amdhsa_exception_int_div_zero 0
	.end_amdhsa_kernel
	.section	.text._ZN7rocprim17ROCPRIM_400000_NS6detail17trampoline_kernelINS0_14default_configENS1_36segmented_radix_sort_config_selectorI12hip_bfloat16lEEZNS1_25segmented_radix_sort_implIS3_Lb1EPKS5_PS5_PKlPlN2at6native12_GLOBAL__N_18offset_tEEE10hipError_tPvRmT1_PNSt15iterator_traitsISL_E10value_typeET2_T3_PNSM_ISR_E10value_typeET4_jRbjT5_SX_jjP12ihipStream_tbEUlT_E0_NS1_11comp_targetILNS1_3genE5ELNS1_11target_archE942ELNS1_3gpuE9ELNS1_3repE0EEENS1_60segmented_radix_sort_warp_sort_medium_config_static_selectorELNS0_4arch9wavefront6targetE0EEEvSL_,"axG",@progbits,_ZN7rocprim17ROCPRIM_400000_NS6detail17trampoline_kernelINS0_14default_configENS1_36segmented_radix_sort_config_selectorI12hip_bfloat16lEEZNS1_25segmented_radix_sort_implIS3_Lb1EPKS5_PS5_PKlPlN2at6native12_GLOBAL__N_18offset_tEEE10hipError_tPvRmT1_PNSt15iterator_traitsISL_E10value_typeET2_T3_PNSM_ISR_E10value_typeET4_jRbjT5_SX_jjP12ihipStream_tbEUlT_E0_NS1_11comp_targetILNS1_3genE5ELNS1_11target_archE942ELNS1_3gpuE9ELNS1_3repE0EEENS1_60segmented_radix_sort_warp_sort_medium_config_static_selectorELNS0_4arch9wavefront6targetE0EEEvSL_,comdat
.Lfunc_end1948:
	.size	_ZN7rocprim17ROCPRIM_400000_NS6detail17trampoline_kernelINS0_14default_configENS1_36segmented_radix_sort_config_selectorI12hip_bfloat16lEEZNS1_25segmented_radix_sort_implIS3_Lb1EPKS5_PS5_PKlPlN2at6native12_GLOBAL__N_18offset_tEEE10hipError_tPvRmT1_PNSt15iterator_traitsISL_E10value_typeET2_T3_PNSM_ISR_E10value_typeET4_jRbjT5_SX_jjP12ihipStream_tbEUlT_E0_NS1_11comp_targetILNS1_3genE5ELNS1_11target_archE942ELNS1_3gpuE9ELNS1_3repE0EEENS1_60segmented_radix_sort_warp_sort_medium_config_static_selectorELNS0_4arch9wavefront6targetE0EEEvSL_, .Lfunc_end1948-_ZN7rocprim17ROCPRIM_400000_NS6detail17trampoline_kernelINS0_14default_configENS1_36segmented_radix_sort_config_selectorI12hip_bfloat16lEEZNS1_25segmented_radix_sort_implIS3_Lb1EPKS5_PS5_PKlPlN2at6native12_GLOBAL__N_18offset_tEEE10hipError_tPvRmT1_PNSt15iterator_traitsISL_E10value_typeET2_T3_PNSM_ISR_E10value_typeET4_jRbjT5_SX_jjP12ihipStream_tbEUlT_E0_NS1_11comp_targetILNS1_3genE5ELNS1_11target_archE942ELNS1_3gpuE9ELNS1_3repE0EEENS1_60segmented_radix_sort_warp_sort_medium_config_static_selectorELNS0_4arch9wavefront6targetE0EEEvSL_
                                        ; -- End function
	.set _ZN7rocprim17ROCPRIM_400000_NS6detail17trampoline_kernelINS0_14default_configENS1_36segmented_radix_sort_config_selectorI12hip_bfloat16lEEZNS1_25segmented_radix_sort_implIS3_Lb1EPKS5_PS5_PKlPlN2at6native12_GLOBAL__N_18offset_tEEE10hipError_tPvRmT1_PNSt15iterator_traitsISL_E10value_typeET2_T3_PNSM_ISR_E10value_typeET4_jRbjT5_SX_jjP12ihipStream_tbEUlT_E0_NS1_11comp_targetILNS1_3genE5ELNS1_11target_archE942ELNS1_3gpuE9ELNS1_3repE0EEENS1_60segmented_radix_sort_warp_sort_medium_config_static_selectorELNS0_4arch9wavefront6targetE0EEEvSL_.num_vgpr, 0
	.set _ZN7rocprim17ROCPRIM_400000_NS6detail17trampoline_kernelINS0_14default_configENS1_36segmented_radix_sort_config_selectorI12hip_bfloat16lEEZNS1_25segmented_radix_sort_implIS3_Lb1EPKS5_PS5_PKlPlN2at6native12_GLOBAL__N_18offset_tEEE10hipError_tPvRmT1_PNSt15iterator_traitsISL_E10value_typeET2_T3_PNSM_ISR_E10value_typeET4_jRbjT5_SX_jjP12ihipStream_tbEUlT_E0_NS1_11comp_targetILNS1_3genE5ELNS1_11target_archE942ELNS1_3gpuE9ELNS1_3repE0EEENS1_60segmented_radix_sort_warp_sort_medium_config_static_selectorELNS0_4arch9wavefront6targetE0EEEvSL_.num_agpr, 0
	.set _ZN7rocprim17ROCPRIM_400000_NS6detail17trampoline_kernelINS0_14default_configENS1_36segmented_radix_sort_config_selectorI12hip_bfloat16lEEZNS1_25segmented_radix_sort_implIS3_Lb1EPKS5_PS5_PKlPlN2at6native12_GLOBAL__N_18offset_tEEE10hipError_tPvRmT1_PNSt15iterator_traitsISL_E10value_typeET2_T3_PNSM_ISR_E10value_typeET4_jRbjT5_SX_jjP12ihipStream_tbEUlT_E0_NS1_11comp_targetILNS1_3genE5ELNS1_11target_archE942ELNS1_3gpuE9ELNS1_3repE0EEENS1_60segmented_radix_sort_warp_sort_medium_config_static_selectorELNS0_4arch9wavefront6targetE0EEEvSL_.numbered_sgpr, 0
	.set _ZN7rocprim17ROCPRIM_400000_NS6detail17trampoline_kernelINS0_14default_configENS1_36segmented_radix_sort_config_selectorI12hip_bfloat16lEEZNS1_25segmented_radix_sort_implIS3_Lb1EPKS5_PS5_PKlPlN2at6native12_GLOBAL__N_18offset_tEEE10hipError_tPvRmT1_PNSt15iterator_traitsISL_E10value_typeET2_T3_PNSM_ISR_E10value_typeET4_jRbjT5_SX_jjP12ihipStream_tbEUlT_E0_NS1_11comp_targetILNS1_3genE5ELNS1_11target_archE942ELNS1_3gpuE9ELNS1_3repE0EEENS1_60segmented_radix_sort_warp_sort_medium_config_static_selectorELNS0_4arch9wavefront6targetE0EEEvSL_.num_named_barrier, 0
	.set _ZN7rocprim17ROCPRIM_400000_NS6detail17trampoline_kernelINS0_14default_configENS1_36segmented_radix_sort_config_selectorI12hip_bfloat16lEEZNS1_25segmented_radix_sort_implIS3_Lb1EPKS5_PS5_PKlPlN2at6native12_GLOBAL__N_18offset_tEEE10hipError_tPvRmT1_PNSt15iterator_traitsISL_E10value_typeET2_T3_PNSM_ISR_E10value_typeET4_jRbjT5_SX_jjP12ihipStream_tbEUlT_E0_NS1_11comp_targetILNS1_3genE5ELNS1_11target_archE942ELNS1_3gpuE9ELNS1_3repE0EEENS1_60segmented_radix_sort_warp_sort_medium_config_static_selectorELNS0_4arch9wavefront6targetE0EEEvSL_.private_seg_size, 0
	.set _ZN7rocprim17ROCPRIM_400000_NS6detail17trampoline_kernelINS0_14default_configENS1_36segmented_radix_sort_config_selectorI12hip_bfloat16lEEZNS1_25segmented_radix_sort_implIS3_Lb1EPKS5_PS5_PKlPlN2at6native12_GLOBAL__N_18offset_tEEE10hipError_tPvRmT1_PNSt15iterator_traitsISL_E10value_typeET2_T3_PNSM_ISR_E10value_typeET4_jRbjT5_SX_jjP12ihipStream_tbEUlT_E0_NS1_11comp_targetILNS1_3genE5ELNS1_11target_archE942ELNS1_3gpuE9ELNS1_3repE0EEENS1_60segmented_radix_sort_warp_sort_medium_config_static_selectorELNS0_4arch9wavefront6targetE0EEEvSL_.uses_vcc, 0
	.set _ZN7rocprim17ROCPRIM_400000_NS6detail17trampoline_kernelINS0_14default_configENS1_36segmented_radix_sort_config_selectorI12hip_bfloat16lEEZNS1_25segmented_radix_sort_implIS3_Lb1EPKS5_PS5_PKlPlN2at6native12_GLOBAL__N_18offset_tEEE10hipError_tPvRmT1_PNSt15iterator_traitsISL_E10value_typeET2_T3_PNSM_ISR_E10value_typeET4_jRbjT5_SX_jjP12ihipStream_tbEUlT_E0_NS1_11comp_targetILNS1_3genE5ELNS1_11target_archE942ELNS1_3gpuE9ELNS1_3repE0EEENS1_60segmented_radix_sort_warp_sort_medium_config_static_selectorELNS0_4arch9wavefront6targetE0EEEvSL_.uses_flat_scratch, 0
	.set _ZN7rocprim17ROCPRIM_400000_NS6detail17trampoline_kernelINS0_14default_configENS1_36segmented_radix_sort_config_selectorI12hip_bfloat16lEEZNS1_25segmented_radix_sort_implIS3_Lb1EPKS5_PS5_PKlPlN2at6native12_GLOBAL__N_18offset_tEEE10hipError_tPvRmT1_PNSt15iterator_traitsISL_E10value_typeET2_T3_PNSM_ISR_E10value_typeET4_jRbjT5_SX_jjP12ihipStream_tbEUlT_E0_NS1_11comp_targetILNS1_3genE5ELNS1_11target_archE942ELNS1_3gpuE9ELNS1_3repE0EEENS1_60segmented_radix_sort_warp_sort_medium_config_static_selectorELNS0_4arch9wavefront6targetE0EEEvSL_.has_dyn_sized_stack, 0
	.set _ZN7rocprim17ROCPRIM_400000_NS6detail17trampoline_kernelINS0_14default_configENS1_36segmented_radix_sort_config_selectorI12hip_bfloat16lEEZNS1_25segmented_radix_sort_implIS3_Lb1EPKS5_PS5_PKlPlN2at6native12_GLOBAL__N_18offset_tEEE10hipError_tPvRmT1_PNSt15iterator_traitsISL_E10value_typeET2_T3_PNSM_ISR_E10value_typeET4_jRbjT5_SX_jjP12ihipStream_tbEUlT_E0_NS1_11comp_targetILNS1_3genE5ELNS1_11target_archE942ELNS1_3gpuE9ELNS1_3repE0EEENS1_60segmented_radix_sort_warp_sort_medium_config_static_selectorELNS0_4arch9wavefront6targetE0EEEvSL_.has_recursion, 0
	.set _ZN7rocprim17ROCPRIM_400000_NS6detail17trampoline_kernelINS0_14default_configENS1_36segmented_radix_sort_config_selectorI12hip_bfloat16lEEZNS1_25segmented_radix_sort_implIS3_Lb1EPKS5_PS5_PKlPlN2at6native12_GLOBAL__N_18offset_tEEE10hipError_tPvRmT1_PNSt15iterator_traitsISL_E10value_typeET2_T3_PNSM_ISR_E10value_typeET4_jRbjT5_SX_jjP12ihipStream_tbEUlT_E0_NS1_11comp_targetILNS1_3genE5ELNS1_11target_archE942ELNS1_3gpuE9ELNS1_3repE0EEENS1_60segmented_radix_sort_warp_sort_medium_config_static_selectorELNS0_4arch9wavefront6targetE0EEEvSL_.has_indirect_call, 0
	.section	.AMDGPU.csdata,"",@progbits
; Kernel info:
; codeLenInByte = 0
; TotalNumSgprs: 0
; NumVgprs: 0
; ScratchSize: 0
; MemoryBound: 0
; FloatMode: 240
; IeeeMode: 1
; LDSByteSize: 0 bytes/workgroup (compile time only)
; SGPRBlocks: 0
; VGPRBlocks: 0
; NumSGPRsForWavesPerEU: 1
; NumVGPRsForWavesPerEU: 1
; NamedBarCnt: 0
; Occupancy: 16
; WaveLimiterHint : 0
; COMPUTE_PGM_RSRC2:SCRATCH_EN: 0
; COMPUTE_PGM_RSRC2:USER_SGPR: 2
; COMPUTE_PGM_RSRC2:TRAP_HANDLER: 0
; COMPUTE_PGM_RSRC2:TGID_X_EN: 1
; COMPUTE_PGM_RSRC2:TGID_Y_EN: 0
; COMPUTE_PGM_RSRC2:TGID_Z_EN: 0
; COMPUTE_PGM_RSRC2:TIDIG_COMP_CNT: 0
	.section	.text._ZN7rocprim17ROCPRIM_400000_NS6detail17trampoline_kernelINS0_14default_configENS1_36segmented_radix_sort_config_selectorI12hip_bfloat16lEEZNS1_25segmented_radix_sort_implIS3_Lb1EPKS5_PS5_PKlPlN2at6native12_GLOBAL__N_18offset_tEEE10hipError_tPvRmT1_PNSt15iterator_traitsISL_E10value_typeET2_T3_PNSM_ISR_E10value_typeET4_jRbjT5_SX_jjP12ihipStream_tbEUlT_E0_NS1_11comp_targetILNS1_3genE4ELNS1_11target_archE910ELNS1_3gpuE8ELNS1_3repE0EEENS1_60segmented_radix_sort_warp_sort_medium_config_static_selectorELNS0_4arch9wavefront6targetE0EEEvSL_,"axG",@progbits,_ZN7rocprim17ROCPRIM_400000_NS6detail17trampoline_kernelINS0_14default_configENS1_36segmented_radix_sort_config_selectorI12hip_bfloat16lEEZNS1_25segmented_radix_sort_implIS3_Lb1EPKS5_PS5_PKlPlN2at6native12_GLOBAL__N_18offset_tEEE10hipError_tPvRmT1_PNSt15iterator_traitsISL_E10value_typeET2_T3_PNSM_ISR_E10value_typeET4_jRbjT5_SX_jjP12ihipStream_tbEUlT_E0_NS1_11comp_targetILNS1_3genE4ELNS1_11target_archE910ELNS1_3gpuE8ELNS1_3repE0EEENS1_60segmented_radix_sort_warp_sort_medium_config_static_selectorELNS0_4arch9wavefront6targetE0EEEvSL_,comdat
	.globl	_ZN7rocprim17ROCPRIM_400000_NS6detail17trampoline_kernelINS0_14default_configENS1_36segmented_radix_sort_config_selectorI12hip_bfloat16lEEZNS1_25segmented_radix_sort_implIS3_Lb1EPKS5_PS5_PKlPlN2at6native12_GLOBAL__N_18offset_tEEE10hipError_tPvRmT1_PNSt15iterator_traitsISL_E10value_typeET2_T3_PNSM_ISR_E10value_typeET4_jRbjT5_SX_jjP12ihipStream_tbEUlT_E0_NS1_11comp_targetILNS1_3genE4ELNS1_11target_archE910ELNS1_3gpuE8ELNS1_3repE0EEENS1_60segmented_radix_sort_warp_sort_medium_config_static_selectorELNS0_4arch9wavefront6targetE0EEEvSL_ ; -- Begin function _ZN7rocprim17ROCPRIM_400000_NS6detail17trampoline_kernelINS0_14default_configENS1_36segmented_radix_sort_config_selectorI12hip_bfloat16lEEZNS1_25segmented_radix_sort_implIS3_Lb1EPKS5_PS5_PKlPlN2at6native12_GLOBAL__N_18offset_tEEE10hipError_tPvRmT1_PNSt15iterator_traitsISL_E10value_typeET2_T3_PNSM_ISR_E10value_typeET4_jRbjT5_SX_jjP12ihipStream_tbEUlT_E0_NS1_11comp_targetILNS1_3genE4ELNS1_11target_archE910ELNS1_3gpuE8ELNS1_3repE0EEENS1_60segmented_radix_sort_warp_sort_medium_config_static_selectorELNS0_4arch9wavefront6targetE0EEEvSL_
	.p2align	8
	.type	_ZN7rocprim17ROCPRIM_400000_NS6detail17trampoline_kernelINS0_14default_configENS1_36segmented_radix_sort_config_selectorI12hip_bfloat16lEEZNS1_25segmented_radix_sort_implIS3_Lb1EPKS5_PS5_PKlPlN2at6native12_GLOBAL__N_18offset_tEEE10hipError_tPvRmT1_PNSt15iterator_traitsISL_E10value_typeET2_T3_PNSM_ISR_E10value_typeET4_jRbjT5_SX_jjP12ihipStream_tbEUlT_E0_NS1_11comp_targetILNS1_3genE4ELNS1_11target_archE910ELNS1_3gpuE8ELNS1_3repE0EEENS1_60segmented_radix_sort_warp_sort_medium_config_static_selectorELNS0_4arch9wavefront6targetE0EEEvSL_,@function
_ZN7rocprim17ROCPRIM_400000_NS6detail17trampoline_kernelINS0_14default_configENS1_36segmented_radix_sort_config_selectorI12hip_bfloat16lEEZNS1_25segmented_radix_sort_implIS3_Lb1EPKS5_PS5_PKlPlN2at6native12_GLOBAL__N_18offset_tEEE10hipError_tPvRmT1_PNSt15iterator_traitsISL_E10value_typeET2_T3_PNSM_ISR_E10value_typeET4_jRbjT5_SX_jjP12ihipStream_tbEUlT_E0_NS1_11comp_targetILNS1_3genE4ELNS1_11target_archE910ELNS1_3gpuE8ELNS1_3repE0EEENS1_60segmented_radix_sort_warp_sort_medium_config_static_selectorELNS0_4arch9wavefront6targetE0EEEvSL_: ; @_ZN7rocprim17ROCPRIM_400000_NS6detail17trampoline_kernelINS0_14default_configENS1_36segmented_radix_sort_config_selectorI12hip_bfloat16lEEZNS1_25segmented_radix_sort_implIS3_Lb1EPKS5_PS5_PKlPlN2at6native12_GLOBAL__N_18offset_tEEE10hipError_tPvRmT1_PNSt15iterator_traitsISL_E10value_typeET2_T3_PNSM_ISR_E10value_typeET4_jRbjT5_SX_jjP12ihipStream_tbEUlT_E0_NS1_11comp_targetILNS1_3genE4ELNS1_11target_archE910ELNS1_3gpuE8ELNS1_3repE0EEENS1_60segmented_radix_sort_warp_sort_medium_config_static_selectorELNS0_4arch9wavefront6targetE0EEEvSL_
; %bb.0:
	.section	.rodata,"a",@progbits
	.p2align	6, 0x0
	.amdhsa_kernel _ZN7rocprim17ROCPRIM_400000_NS6detail17trampoline_kernelINS0_14default_configENS1_36segmented_radix_sort_config_selectorI12hip_bfloat16lEEZNS1_25segmented_radix_sort_implIS3_Lb1EPKS5_PS5_PKlPlN2at6native12_GLOBAL__N_18offset_tEEE10hipError_tPvRmT1_PNSt15iterator_traitsISL_E10value_typeET2_T3_PNSM_ISR_E10value_typeET4_jRbjT5_SX_jjP12ihipStream_tbEUlT_E0_NS1_11comp_targetILNS1_3genE4ELNS1_11target_archE910ELNS1_3gpuE8ELNS1_3repE0EEENS1_60segmented_radix_sort_warp_sort_medium_config_static_selectorELNS0_4arch9wavefront6targetE0EEEvSL_
		.amdhsa_group_segment_fixed_size 0
		.amdhsa_private_segment_fixed_size 0
		.amdhsa_kernarg_size 88
		.amdhsa_user_sgpr_count 2
		.amdhsa_user_sgpr_dispatch_ptr 0
		.amdhsa_user_sgpr_queue_ptr 0
		.amdhsa_user_sgpr_kernarg_segment_ptr 1
		.amdhsa_user_sgpr_dispatch_id 0
		.amdhsa_user_sgpr_kernarg_preload_length 0
		.amdhsa_user_sgpr_kernarg_preload_offset 0
		.amdhsa_user_sgpr_private_segment_size 0
		.amdhsa_wavefront_size32 1
		.amdhsa_uses_dynamic_stack 0
		.amdhsa_enable_private_segment 0
		.amdhsa_system_sgpr_workgroup_id_x 1
		.amdhsa_system_sgpr_workgroup_id_y 0
		.amdhsa_system_sgpr_workgroup_id_z 0
		.amdhsa_system_sgpr_workgroup_info 0
		.amdhsa_system_vgpr_workitem_id 0
		.amdhsa_next_free_vgpr 1
		.amdhsa_next_free_sgpr 1
		.amdhsa_named_barrier_count 0
		.amdhsa_reserve_vcc 0
		.amdhsa_float_round_mode_32 0
		.amdhsa_float_round_mode_16_64 0
		.amdhsa_float_denorm_mode_32 3
		.amdhsa_float_denorm_mode_16_64 3
		.amdhsa_fp16_overflow 0
		.amdhsa_memory_ordered 1
		.amdhsa_forward_progress 1
		.amdhsa_inst_pref_size 0
		.amdhsa_round_robin_scheduling 0
		.amdhsa_exception_fp_ieee_invalid_op 0
		.amdhsa_exception_fp_denorm_src 0
		.amdhsa_exception_fp_ieee_div_zero 0
		.amdhsa_exception_fp_ieee_overflow 0
		.amdhsa_exception_fp_ieee_underflow 0
		.amdhsa_exception_fp_ieee_inexact 0
		.amdhsa_exception_int_div_zero 0
	.end_amdhsa_kernel
	.section	.text._ZN7rocprim17ROCPRIM_400000_NS6detail17trampoline_kernelINS0_14default_configENS1_36segmented_radix_sort_config_selectorI12hip_bfloat16lEEZNS1_25segmented_radix_sort_implIS3_Lb1EPKS5_PS5_PKlPlN2at6native12_GLOBAL__N_18offset_tEEE10hipError_tPvRmT1_PNSt15iterator_traitsISL_E10value_typeET2_T3_PNSM_ISR_E10value_typeET4_jRbjT5_SX_jjP12ihipStream_tbEUlT_E0_NS1_11comp_targetILNS1_3genE4ELNS1_11target_archE910ELNS1_3gpuE8ELNS1_3repE0EEENS1_60segmented_radix_sort_warp_sort_medium_config_static_selectorELNS0_4arch9wavefront6targetE0EEEvSL_,"axG",@progbits,_ZN7rocprim17ROCPRIM_400000_NS6detail17trampoline_kernelINS0_14default_configENS1_36segmented_radix_sort_config_selectorI12hip_bfloat16lEEZNS1_25segmented_radix_sort_implIS3_Lb1EPKS5_PS5_PKlPlN2at6native12_GLOBAL__N_18offset_tEEE10hipError_tPvRmT1_PNSt15iterator_traitsISL_E10value_typeET2_T3_PNSM_ISR_E10value_typeET4_jRbjT5_SX_jjP12ihipStream_tbEUlT_E0_NS1_11comp_targetILNS1_3genE4ELNS1_11target_archE910ELNS1_3gpuE8ELNS1_3repE0EEENS1_60segmented_radix_sort_warp_sort_medium_config_static_selectorELNS0_4arch9wavefront6targetE0EEEvSL_,comdat
.Lfunc_end1949:
	.size	_ZN7rocprim17ROCPRIM_400000_NS6detail17trampoline_kernelINS0_14default_configENS1_36segmented_radix_sort_config_selectorI12hip_bfloat16lEEZNS1_25segmented_radix_sort_implIS3_Lb1EPKS5_PS5_PKlPlN2at6native12_GLOBAL__N_18offset_tEEE10hipError_tPvRmT1_PNSt15iterator_traitsISL_E10value_typeET2_T3_PNSM_ISR_E10value_typeET4_jRbjT5_SX_jjP12ihipStream_tbEUlT_E0_NS1_11comp_targetILNS1_3genE4ELNS1_11target_archE910ELNS1_3gpuE8ELNS1_3repE0EEENS1_60segmented_radix_sort_warp_sort_medium_config_static_selectorELNS0_4arch9wavefront6targetE0EEEvSL_, .Lfunc_end1949-_ZN7rocprim17ROCPRIM_400000_NS6detail17trampoline_kernelINS0_14default_configENS1_36segmented_radix_sort_config_selectorI12hip_bfloat16lEEZNS1_25segmented_radix_sort_implIS3_Lb1EPKS5_PS5_PKlPlN2at6native12_GLOBAL__N_18offset_tEEE10hipError_tPvRmT1_PNSt15iterator_traitsISL_E10value_typeET2_T3_PNSM_ISR_E10value_typeET4_jRbjT5_SX_jjP12ihipStream_tbEUlT_E0_NS1_11comp_targetILNS1_3genE4ELNS1_11target_archE910ELNS1_3gpuE8ELNS1_3repE0EEENS1_60segmented_radix_sort_warp_sort_medium_config_static_selectorELNS0_4arch9wavefront6targetE0EEEvSL_
                                        ; -- End function
	.set _ZN7rocprim17ROCPRIM_400000_NS6detail17trampoline_kernelINS0_14default_configENS1_36segmented_radix_sort_config_selectorI12hip_bfloat16lEEZNS1_25segmented_radix_sort_implIS3_Lb1EPKS5_PS5_PKlPlN2at6native12_GLOBAL__N_18offset_tEEE10hipError_tPvRmT1_PNSt15iterator_traitsISL_E10value_typeET2_T3_PNSM_ISR_E10value_typeET4_jRbjT5_SX_jjP12ihipStream_tbEUlT_E0_NS1_11comp_targetILNS1_3genE4ELNS1_11target_archE910ELNS1_3gpuE8ELNS1_3repE0EEENS1_60segmented_radix_sort_warp_sort_medium_config_static_selectorELNS0_4arch9wavefront6targetE0EEEvSL_.num_vgpr, 0
	.set _ZN7rocprim17ROCPRIM_400000_NS6detail17trampoline_kernelINS0_14default_configENS1_36segmented_radix_sort_config_selectorI12hip_bfloat16lEEZNS1_25segmented_radix_sort_implIS3_Lb1EPKS5_PS5_PKlPlN2at6native12_GLOBAL__N_18offset_tEEE10hipError_tPvRmT1_PNSt15iterator_traitsISL_E10value_typeET2_T3_PNSM_ISR_E10value_typeET4_jRbjT5_SX_jjP12ihipStream_tbEUlT_E0_NS1_11comp_targetILNS1_3genE4ELNS1_11target_archE910ELNS1_3gpuE8ELNS1_3repE0EEENS1_60segmented_radix_sort_warp_sort_medium_config_static_selectorELNS0_4arch9wavefront6targetE0EEEvSL_.num_agpr, 0
	.set _ZN7rocprim17ROCPRIM_400000_NS6detail17trampoline_kernelINS0_14default_configENS1_36segmented_radix_sort_config_selectorI12hip_bfloat16lEEZNS1_25segmented_radix_sort_implIS3_Lb1EPKS5_PS5_PKlPlN2at6native12_GLOBAL__N_18offset_tEEE10hipError_tPvRmT1_PNSt15iterator_traitsISL_E10value_typeET2_T3_PNSM_ISR_E10value_typeET4_jRbjT5_SX_jjP12ihipStream_tbEUlT_E0_NS1_11comp_targetILNS1_3genE4ELNS1_11target_archE910ELNS1_3gpuE8ELNS1_3repE0EEENS1_60segmented_radix_sort_warp_sort_medium_config_static_selectorELNS0_4arch9wavefront6targetE0EEEvSL_.numbered_sgpr, 0
	.set _ZN7rocprim17ROCPRIM_400000_NS6detail17trampoline_kernelINS0_14default_configENS1_36segmented_radix_sort_config_selectorI12hip_bfloat16lEEZNS1_25segmented_radix_sort_implIS3_Lb1EPKS5_PS5_PKlPlN2at6native12_GLOBAL__N_18offset_tEEE10hipError_tPvRmT1_PNSt15iterator_traitsISL_E10value_typeET2_T3_PNSM_ISR_E10value_typeET4_jRbjT5_SX_jjP12ihipStream_tbEUlT_E0_NS1_11comp_targetILNS1_3genE4ELNS1_11target_archE910ELNS1_3gpuE8ELNS1_3repE0EEENS1_60segmented_radix_sort_warp_sort_medium_config_static_selectorELNS0_4arch9wavefront6targetE0EEEvSL_.num_named_barrier, 0
	.set _ZN7rocprim17ROCPRIM_400000_NS6detail17trampoline_kernelINS0_14default_configENS1_36segmented_radix_sort_config_selectorI12hip_bfloat16lEEZNS1_25segmented_radix_sort_implIS3_Lb1EPKS5_PS5_PKlPlN2at6native12_GLOBAL__N_18offset_tEEE10hipError_tPvRmT1_PNSt15iterator_traitsISL_E10value_typeET2_T3_PNSM_ISR_E10value_typeET4_jRbjT5_SX_jjP12ihipStream_tbEUlT_E0_NS1_11comp_targetILNS1_3genE4ELNS1_11target_archE910ELNS1_3gpuE8ELNS1_3repE0EEENS1_60segmented_radix_sort_warp_sort_medium_config_static_selectorELNS0_4arch9wavefront6targetE0EEEvSL_.private_seg_size, 0
	.set _ZN7rocprim17ROCPRIM_400000_NS6detail17trampoline_kernelINS0_14default_configENS1_36segmented_radix_sort_config_selectorI12hip_bfloat16lEEZNS1_25segmented_radix_sort_implIS3_Lb1EPKS5_PS5_PKlPlN2at6native12_GLOBAL__N_18offset_tEEE10hipError_tPvRmT1_PNSt15iterator_traitsISL_E10value_typeET2_T3_PNSM_ISR_E10value_typeET4_jRbjT5_SX_jjP12ihipStream_tbEUlT_E0_NS1_11comp_targetILNS1_3genE4ELNS1_11target_archE910ELNS1_3gpuE8ELNS1_3repE0EEENS1_60segmented_radix_sort_warp_sort_medium_config_static_selectorELNS0_4arch9wavefront6targetE0EEEvSL_.uses_vcc, 0
	.set _ZN7rocprim17ROCPRIM_400000_NS6detail17trampoline_kernelINS0_14default_configENS1_36segmented_radix_sort_config_selectorI12hip_bfloat16lEEZNS1_25segmented_radix_sort_implIS3_Lb1EPKS5_PS5_PKlPlN2at6native12_GLOBAL__N_18offset_tEEE10hipError_tPvRmT1_PNSt15iterator_traitsISL_E10value_typeET2_T3_PNSM_ISR_E10value_typeET4_jRbjT5_SX_jjP12ihipStream_tbEUlT_E0_NS1_11comp_targetILNS1_3genE4ELNS1_11target_archE910ELNS1_3gpuE8ELNS1_3repE0EEENS1_60segmented_radix_sort_warp_sort_medium_config_static_selectorELNS0_4arch9wavefront6targetE0EEEvSL_.uses_flat_scratch, 0
	.set _ZN7rocprim17ROCPRIM_400000_NS6detail17trampoline_kernelINS0_14default_configENS1_36segmented_radix_sort_config_selectorI12hip_bfloat16lEEZNS1_25segmented_radix_sort_implIS3_Lb1EPKS5_PS5_PKlPlN2at6native12_GLOBAL__N_18offset_tEEE10hipError_tPvRmT1_PNSt15iterator_traitsISL_E10value_typeET2_T3_PNSM_ISR_E10value_typeET4_jRbjT5_SX_jjP12ihipStream_tbEUlT_E0_NS1_11comp_targetILNS1_3genE4ELNS1_11target_archE910ELNS1_3gpuE8ELNS1_3repE0EEENS1_60segmented_radix_sort_warp_sort_medium_config_static_selectorELNS0_4arch9wavefront6targetE0EEEvSL_.has_dyn_sized_stack, 0
	.set _ZN7rocprim17ROCPRIM_400000_NS6detail17trampoline_kernelINS0_14default_configENS1_36segmented_radix_sort_config_selectorI12hip_bfloat16lEEZNS1_25segmented_radix_sort_implIS3_Lb1EPKS5_PS5_PKlPlN2at6native12_GLOBAL__N_18offset_tEEE10hipError_tPvRmT1_PNSt15iterator_traitsISL_E10value_typeET2_T3_PNSM_ISR_E10value_typeET4_jRbjT5_SX_jjP12ihipStream_tbEUlT_E0_NS1_11comp_targetILNS1_3genE4ELNS1_11target_archE910ELNS1_3gpuE8ELNS1_3repE0EEENS1_60segmented_radix_sort_warp_sort_medium_config_static_selectorELNS0_4arch9wavefront6targetE0EEEvSL_.has_recursion, 0
	.set _ZN7rocprim17ROCPRIM_400000_NS6detail17trampoline_kernelINS0_14default_configENS1_36segmented_radix_sort_config_selectorI12hip_bfloat16lEEZNS1_25segmented_radix_sort_implIS3_Lb1EPKS5_PS5_PKlPlN2at6native12_GLOBAL__N_18offset_tEEE10hipError_tPvRmT1_PNSt15iterator_traitsISL_E10value_typeET2_T3_PNSM_ISR_E10value_typeET4_jRbjT5_SX_jjP12ihipStream_tbEUlT_E0_NS1_11comp_targetILNS1_3genE4ELNS1_11target_archE910ELNS1_3gpuE8ELNS1_3repE0EEENS1_60segmented_radix_sort_warp_sort_medium_config_static_selectorELNS0_4arch9wavefront6targetE0EEEvSL_.has_indirect_call, 0
	.section	.AMDGPU.csdata,"",@progbits
; Kernel info:
; codeLenInByte = 0
; TotalNumSgprs: 0
; NumVgprs: 0
; ScratchSize: 0
; MemoryBound: 0
; FloatMode: 240
; IeeeMode: 1
; LDSByteSize: 0 bytes/workgroup (compile time only)
; SGPRBlocks: 0
; VGPRBlocks: 0
; NumSGPRsForWavesPerEU: 1
; NumVGPRsForWavesPerEU: 1
; NamedBarCnt: 0
; Occupancy: 16
; WaveLimiterHint : 0
; COMPUTE_PGM_RSRC2:SCRATCH_EN: 0
; COMPUTE_PGM_RSRC2:USER_SGPR: 2
; COMPUTE_PGM_RSRC2:TRAP_HANDLER: 0
; COMPUTE_PGM_RSRC2:TGID_X_EN: 1
; COMPUTE_PGM_RSRC2:TGID_Y_EN: 0
; COMPUTE_PGM_RSRC2:TGID_Z_EN: 0
; COMPUTE_PGM_RSRC2:TIDIG_COMP_CNT: 0
	.section	.text._ZN7rocprim17ROCPRIM_400000_NS6detail17trampoline_kernelINS0_14default_configENS1_36segmented_radix_sort_config_selectorI12hip_bfloat16lEEZNS1_25segmented_radix_sort_implIS3_Lb1EPKS5_PS5_PKlPlN2at6native12_GLOBAL__N_18offset_tEEE10hipError_tPvRmT1_PNSt15iterator_traitsISL_E10value_typeET2_T3_PNSM_ISR_E10value_typeET4_jRbjT5_SX_jjP12ihipStream_tbEUlT_E0_NS1_11comp_targetILNS1_3genE3ELNS1_11target_archE908ELNS1_3gpuE7ELNS1_3repE0EEENS1_60segmented_radix_sort_warp_sort_medium_config_static_selectorELNS0_4arch9wavefront6targetE0EEEvSL_,"axG",@progbits,_ZN7rocprim17ROCPRIM_400000_NS6detail17trampoline_kernelINS0_14default_configENS1_36segmented_radix_sort_config_selectorI12hip_bfloat16lEEZNS1_25segmented_radix_sort_implIS3_Lb1EPKS5_PS5_PKlPlN2at6native12_GLOBAL__N_18offset_tEEE10hipError_tPvRmT1_PNSt15iterator_traitsISL_E10value_typeET2_T3_PNSM_ISR_E10value_typeET4_jRbjT5_SX_jjP12ihipStream_tbEUlT_E0_NS1_11comp_targetILNS1_3genE3ELNS1_11target_archE908ELNS1_3gpuE7ELNS1_3repE0EEENS1_60segmented_radix_sort_warp_sort_medium_config_static_selectorELNS0_4arch9wavefront6targetE0EEEvSL_,comdat
	.globl	_ZN7rocprim17ROCPRIM_400000_NS6detail17trampoline_kernelINS0_14default_configENS1_36segmented_radix_sort_config_selectorI12hip_bfloat16lEEZNS1_25segmented_radix_sort_implIS3_Lb1EPKS5_PS5_PKlPlN2at6native12_GLOBAL__N_18offset_tEEE10hipError_tPvRmT1_PNSt15iterator_traitsISL_E10value_typeET2_T3_PNSM_ISR_E10value_typeET4_jRbjT5_SX_jjP12ihipStream_tbEUlT_E0_NS1_11comp_targetILNS1_3genE3ELNS1_11target_archE908ELNS1_3gpuE7ELNS1_3repE0EEENS1_60segmented_radix_sort_warp_sort_medium_config_static_selectorELNS0_4arch9wavefront6targetE0EEEvSL_ ; -- Begin function _ZN7rocprim17ROCPRIM_400000_NS6detail17trampoline_kernelINS0_14default_configENS1_36segmented_radix_sort_config_selectorI12hip_bfloat16lEEZNS1_25segmented_radix_sort_implIS3_Lb1EPKS5_PS5_PKlPlN2at6native12_GLOBAL__N_18offset_tEEE10hipError_tPvRmT1_PNSt15iterator_traitsISL_E10value_typeET2_T3_PNSM_ISR_E10value_typeET4_jRbjT5_SX_jjP12ihipStream_tbEUlT_E0_NS1_11comp_targetILNS1_3genE3ELNS1_11target_archE908ELNS1_3gpuE7ELNS1_3repE0EEENS1_60segmented_radix_sort_warp_sort_medium_config_static_selectorELNS0_4arch9wavefront6targetE0EEEvSL_
	.p2align	8
	.type	_ZN7rocprim17ROCPRIM_400000_NS6detail17trampoline_kernelINS0_14default_configENS1_36segmented_radix_sort_config_selectorI12hip_bfloat16lEEZNS1_25segmented_radix_sort_implIS3_Lb1EPKS5_PS5_PKlPlN2at6native12_GLOBAL__N_18offset_tEEE10hipError_tPvRmT1_PNSt15iterator_traitsISL_E10value_typeET2_T3_PNSM_ISR_E10value_typeET4_jRbjT5_SX_jjP12ihipStream_tbEUlT_E0_NS1_11comp_targetILNS1_3genE3ELNS1_11target_archE908ELNS1_3gpuE7ELNS1_3repE0EEENS1_60segmented_radix_sort_warp_sort_medium_config_static_selectorELNS0_4arch9wavefront6targetE0EEEvSL_,@function
_ZN7rocprim17ROCPRIM_400000_NS6detail17trampoline_kernelINS0_14default_configENS1_36segmented_radix_sort_config_selectorI12hip_bfloat16lEEZNS1_25segmented_radix_sort_implIS3_Lb1EPKS5_PS5_PKlPlN2at6native12_GLOBAL__N_18offset_tEEE10hipError_tPvRmT1_PNSt15iterator_traitsISL_E10value_typeET2_T3_PNSM_ISR_E10value_typeET4_jRbjT5_SX_jjP12ihipStream_tbEUlT_E0_NS1_11comp_targetILNS1_3genE3ELNS1_11target_archE908ELNS1_3gpuE7ELNS1_3repE0EEENS1_60segmented_radix_sort_warp_sort_medium_config_static_selectorELNS0_4arch9wavefront6targetE0EEEvSL_: ; @_ZN7rocprim17ROCPRIM_400000_NS6detail17trampoline_kernelINS0_14default_configENS1_36segmented_radix_sort_config_selectorI12hip_bfloat16lEEZNS1_25segmented_radix_sort_implIS3_Lb1EPKS5_PS5_PKlPlN2at6native12_GLOBAL__N_18offset_tEEE10hipError_tPvRmT1_PNSt15iterator_traitsISL_E10value_typeET2_T3_PNSM_ISR_E10value_typeET4_jRbjT5_SX_jjP12ihipStream_tbEUlT_E0_NS1_11comp_targetILNS1_3genE3ELNS1_11target_archE908ELNS1_3gpuE7ELNS1_3repE0EEENS1_60segmented_radix_sort_warp_sort_medium_config_static_selectorELNS0_4arch9wavefront6targetE0EEEvSL_
; %bb.0:
	.section	.rodata,"a",@progbits
	.p2align	6, 0x0
	.amdhsa_kernel _ZN7rocprim17ROCPRIM_400000_NS6detail17trampoline_kernelINS0_14default_configENS1_36segmented_radix_sort_config_selectorI12hip_bfloat16lEEZNS1_25segmented_radix_sort_implIS3_Lb1EPKS5_PS5_PKlPlN2at6native12_GLOBAL__N_18offset_tEEE10hipError_tPvRmT1_PNSt15iterator_traitsISL_E10value_typeET2_T3_PNSM_ISR_E10value_typeET4_jRbjT5_SX_jjP12ihipStream_tbEUlT_E0_NS1_11comp_targetILNS1_3genE3ELNS1_11target_archE908ELNS1_3gpuE7ELNS1_3repE0EEENS1_60segmented_radix_sort_warp_sort_medium_config_static_selectorELNS0_4arch9wavefront6targetE0EEEvSL_
		.amdhsa_group_segment_fixed_size 0
		.amdhsa_private_segment_fixed_size 0
		.amdhsa_kernarg_size 88
		.amdhsa_user_sgpr_count 2
		.amdhsa_user_sgpr_dispatch_ptr 0
		.amdhsa_user_sgpr_queue_ptr 0
		.amdhsa_user_sgpr_kernarg_segment_ptr 1
		.amdhsa_user_sgpr_dispatch_id 0
		.amdhsa_user_sgpr_kernarg_preload_length 0
		.amdhsa_user_sgpr_kernarg_preload_offset 0
		.amdhsa_user_sgpr_private_segment_size 0
		.amdhsa_wavefront_size32 1
		.amdhsa_uses_dynamic_stack 0
		.amdhsa_enable_private_segment 0
		.amdhsa_system_sgpr_workgroup_id_x 1
		.amdhsa_system_sgpr_workgroup_id_y 0
		.amdhsa_system_sgpr_workgroup_id_z 0
		.amdhsa_system_sgpr_workgroup_info 0
		.amdhsa_system_vgpr_workitem_id 0
		.amdhsa_next_free_vgpr 1
		.amdhsa_next_free_sgpr 1
		.amdhsa_named_barrier_count 0
		.amdhsa_reserve_vcc 0
		.amdhsa_float_round_mode_32 0
		.amdhsa_float_round_mode_16_64 0
		.amdhsa_float_denorm_mode_32 3
		.amdhsa_float_denorm_mode_16_64 3
		.amdhsa_fp16_overflow 0
		.amdhsa_memory_ordered 1
		.amdhsa_forward_progress 1
		.amdhsa_inst_pref_size 0
		.amdhsa_round_robin_scheduling 0
		.amdhsa_exception_fp_ieee_invalid_op 0
		.amdhsa_exception_fp_denorm_src 0
		.amdhsa_exception_fp_ieee_div_zero 0
		.amdhsa_exception_fp_ieee_overflow 0
		.amdhsa_exception_fp_ieee_underflow 0
		.amdhsa_exception_fp_ieee_inexact 0
		.amdhsa_exception_int_div_zero 0
	.end_amdhsa_kernel
	.section	.text._ZN7rocprim17ROCPRIM_400000_NS6detail17trampoline_kernelINS0_14default_configENS1_36segmented_radix_sort_config_selectorI12hip_bfloat16lEEZNS1_25segmented_radix_sort_implIS3_Lb1EPKS5_PS5_PKlPlN2at6native12_GLOBAL__N_18offset_tEEE10hipError_tPvRmT1_PNSt15iterator_traitsISL_E10value_typeET2_T3_PNSM_ISR_E10value_typeET4_jRbjT5_SX_jjP12ihipStream_tbEUlT_E0_NS1_11comp_targetILNS1_3genE3ELNS1_11target_archE908ELNS1_3gpuE7ELNS1_3repE0EEENS1_60segmented_radix_sort_warp_sort_medium_config_static_selectorELNS0_4arch9wavefront6targetE0EEEvSL_,"axG",@progbits,_ZN7rocprim17ROCPRIM_400000_NS6detail17trampoline_kernelINS0_14default_configENS1_36segmented_radix_sort_config_selectorI12hip_bfloat16lEEZNS1_25segmented_radix_sort_implIS3_Lb1EPKS5_PS5_PKlPlN2at6native12_GLOBAL__N_18offset_tEEE10hipError_tPvRmT1_PNSt15iterator_traitsISL_E10value_typeET2_T3_PNSM_ISR_E10value_typeET4_jRbjT5_SX_jjP12ihipStream_tbEUlT_E0_NS1_11comp_targetILNS1_3genE3ELNS1_11target_archE908ELNS1_3gpuE7ELNS1_3repE0EEENS1_60segmented_radix_sort_warp_sort_medium_config_static_selectorELNS0_4arch9wavefront6targetE0EEEvSL_,comdat
.Lfunc_end1950:
	.size	_ZN7rocprim17ROCPRIM_400000_NS6detail17trampoline_kernelINS0_14default_configENS1_36segmented_radix_sort_config_selectorI12hip_bfloat16lEEZNS1_25segmented_radix_sort_implIS3_Lb1EPKS5_PS5_PKlPlN2at6native12_GLOBAL__N_18offset_tEEE10hipError_tPvRmT1_PNSt15iterator_traitsISL_E10value_typeET2_T3_PNSM_ISR_E10value_typeET4_jRbjT5_SX_jjP12ihipStream_tbEUlT_E0_NS1_11comp_targetILNS1_3genE3ELNS1_11target_archE908ELNS1_3gpuE7ELNS1_3repE0EEENS1_60segmented_radix_sort_warp_sort_medium_config_static_selectorELNS0_4arch9wavefront6targetE0EEEvSL_, .Lfunc_end1950-_ZN7rocprim17ROCPRIM_400000_NS6detail17trampoline_kernelINS0_14default_configENS1_36segmented_radix_sort_config_selectorI12hip_bfloat16lEEZNS1_25segmented_radix_sort_implIS3_Lb1EPKS5_PS5_PKlPlN2at6native12_GLOBAL__N_18offset_tEEE10hipError_tPvRmT1_PNSt15iterator_traitsISL_E10value_typeET2_T3_PNSM_ISR_E10value_typeET4_jRbjT5_SX_jjP12ihipStream_tbEUlT_E0_NS1_11comp_targetILNS1_3genE3ELNS1_11target_archE908ELNS1_3gpuE7ELNS1_3repE0EEENS1_60segmented_radix_sort_warp_sort_medium_config_static_selectorELNS0_4arch9wavefront6targetE0EEEvSL_
                                        ; -- End function
	.set _ZN7rocprim17ROCPRIM_400000_NS6detail17trampoline_kernelINS0_14default_configENS1_36segmented_radix_sort_config_selectorI12hip_bfloat16lEEZNS1_25segmented_radix_sort_implIS3_Lb1EPKS5_PS5_PKlPlN2at6native12_GLOBAL__N_18offset_tEEE10hipError_tPvRmT1_PNSt15iterator_traitsISL_E10value_typeET2_T3_PNSM_ISR_E10value_typeET4_jRbjT5_SX_jjP12ihipStream_tbEUlT_E0_NS1_11comp_targetILNS1_3genE3ELNS1_11target_archE908ELNS1_3gpuE7ELNS1_3repE0EEENS1_60segmented_radix_sort_warp_sort_medium_config_static_selectorELNS0_4arch9wavefront6targetE0EEEvSL_.num_vgpr, 0
	.set _ZN7rocprim17ROCPRIM_400000_NS6detail17trampoline_kernelINS0_14default_configENS1_36segmented_radix_sort_config_selectorI12hip_bfloat16lEEZNS1_25segmented_radix_sort_implIS3_Lb1EPKS5_PS5_PKlPlN2at6native12_GLOBAL__N_18offset_tEEE10hipError_tPvRmT1_PNSt15iterator_traitsISL_E10value_typeET2_T3_PNSM_ISR_E10value_typeET4_jRbjT5_SX_jjP12ihipStream_tbEUlT_E0_NS1_11comp_targetILNS1_3genE3ELNS1_11target_archE908ELNS1_3gpuE7ELNS1_3repE0EEENS1_60segmented_radix_sort_warp_sort_medium_config_static_selectorELNS0_4arch9wavefront6targetE0EEEvSL_.num_agpr, 0
	.set _ZN7rocprim17ROCPRIM_400000_NS6detail17trampoline_kernelINS0_14default_configENS1_36segmented_radix_sort_config_selectorI12hip_bfloat16lEEZNS1_25segmented_radix_sort_implIS3_Lb1EPKS5_PS5_PKlPlN2at6native12_GLOBAL__N_18offset_tEEE10hipError_tPvRmT1_PNSt15iterator_traitsISL_E10value_typeET2_T3_PNSM_ISR_E10value_typeET4_jRbjT5_SX_jjP12ihipStream_tbEUlT_E0_NS1_11comp_targetILNS1_3genE3ELNS1_11target_archE908ELNS1_3gpuE7ELNS1_3repE0EEENS1_60segmented_radix_sort_warp_sort_medium_config_static_selectorELNS0_4arch9wavefront6targetE0EEEvSL_.numbered_sgpr, 0
	.set _ZN7rocprim17ROCPRIM_400000_NS6detail17trampoline_kernelINS0_14default_configENS1_36segmented_radix_sort_config_selectorI12hip_bfloat16lEEZNS1_25segmented_radix_sort_implIS3_Lb1EPKS5_PS5_PKlPlN2at6native12_GLOBAL__N_18offset_tEEE10hipError_tPvRmT1_PNSt15iterator_traitsISL_E10value_typeET2_T3_PNSM_ISR_E10value_typeET4_jRbjT5_SX_jjP12ihipStream_tbEUlT_E0_NS1_11comp_targetILNS1_3genE3ELNS1_11target_archE908ELNS1_3gpuE7ELNS1_3repE0EEENS1_60segmented_radix_sort_warp_sort_medium_config_static_selectorELNS0_4arch9wavefront6targetE0EEEvSL_.num_named_barrier, 0
	.set _ZN7rocprim17ROCPRIM_400000_NS6detail17trampoline_kernelINS0_14default_configENS1_36segmented_radix_sort_config_selectorI12hip_bfloat16lEEZNS1_25segmented_radix_sort_implIS3_Lb1EPKS5_PS5_PKlPlN2at6native12_GLOBAL__N_18offset_tEEE10hipError_tPvRmT1_PNSt15iterator_traitsISL_E10value_typeET2_T3_PNSM_ISR_E10value_typeET4_jRbjT5_SX_jjP12ihipStream_tbEUlT_E0_NS1_11comp_targetILNS1_3genE3ELNS1_11target_archE908ELNS1_3gpuE7ELNS1_3repE0EEENS1_60segmented_radix_sort_warp_sort_medium_config_static_selectorELNS0_4arch9wavefront6targetE0EEEvSL_.private_seg_size, 0
	.set _ZN7rocprim17ROCPRIM_400000_NS6detail17trampoline_kernelINS0_14default_configENS1_36segmented_radix_sort_config_selectorI12hip_bfloat16lEEZNS1_25segmented_radix_sort_implIS3_Lb1EPKS5_PS5_PKlPlN2at6native12_GLOBAL__N_18offset_tEEE10hipError_tPvRmT1_PNSt15iterator_traitsISL_E10value_typeET2_T3_PNSM_ISR_E10value_typeET4_jRbjT5_SX_jjP12ihipStream_tbEUlT_E0_NS1_11comp_targetILNS1_3genE3ELNS1_11target_archE908ELNS1_3gpuE7ELNS1_3repE0EEENS1_60segmented_radix_sort_warp_sort_medium_config_static_selectorELNS0_4arch9wavefront6targetE0EEEvSL_.uses_vcc, 0
	.set _ZN7rocprim17ROCPRIM_400000_NS6detail17trampoline_kernelINS0_14default_configENS1_36segmented_radix_sort_config_selectorI12hip_bfloat16lEEZNS1_25segmented_radix_sort_implIS3_Lb1EPKS5_PS5_PKlPlN2at6native12_GLOBAL__N_18offset_tEEE10hipError_tPvRmT1_PNSt15iterator_traitsISL_E10value_typeET2_T3_PNSM_ISR_E10value_typeET4_jRbjT5_SX_jjP12ihipStream_tbEUlT_E0_NS1_11comp_targetILNS1_3genE3ELNS1_11target_archE908ELNS1_3gpuE7ELNS1_3repE0EEENS1_60segmented_radix_sort_warp_sort_medium_config_static_selectorELNS0_4arch9wavefront6targetE0EEEvSL_.uses_flat_scratch, 0
	.set _ZN7rocprim17ROCPRIM_400000_NS6detail17trampoline_kernelINS0_14default_configENS1_36segmented_radix_sort_config_selectorI12hip_bfloat16lEEZNS1_25segmented_radix_sort_implIS3_Lb1EPKS5_PS5_PKlPlN2at6native12_GLOBAL__N_18offset_tEEE10hipError_tPvRmT1_PNSt15iterator_traitsISL_E10value_typeET2_T3_PNSM_ISR_E10value_typeET4_jRbjT5_SX_jjP12ihipStream_tbEUlT_E0_NS1_11comp_targetILNS1_3genE3ELNS1_11target_archE908ELNS1_3gpuE7ELNS1_3repE0EEENS1_60segmented_radix_sort_warp_sort_medium_config_static_selectorELNS0_4arch9wavefront6targetE0EEEvSL_.has_dyn_sized_stack, 0
	.set _ZN7rocprim17ROCPRIM_400000_NS6detail17trampoline_kernelINS0_14default_configENS1_36segmented_radix_sort_config_selectorI12hip_bfloat16lEEZNS1_25segmented_radix_sort_implIS3_Lb1EPKS5_PS5_PKlPlN2at6native12_GLOBAL__N_18offset_tEEE10hipError_tPvRmT1_PNSt15iterator_traitsISL_E10value_typeET2_T3_PNSM_ISR_E10value_typeET4_jRbjT5_SX_jjP12ihipStream_tbEUlT_E0_NS1_11comp_targetILNS1_3genE3ELNS1_11target_archE908ELNS1_3gpuE7ELNS1_3repE0EEENS1_60segmented_radix_sort_warp_sort_medium_config_static_selectorELNS0_4arch9wavefront6targetE0EEEvSL_.has_recursion, 0
	.set _ZN7rocprim17ROCPRIM_400000_NS6detail17trampoline_kernelINS0_14default_configENS1_36segmented_radix_sort_config_selectorI12hip_bfloat16lEEZNS1_25segmented_radix_sort_implIS3_Lb1EPKS5_PS5_PKlPlN2at6native12_GLOBAL__N_18offset_tEEE10hipError_tPvRmT1_PNSt15iterator_traitsISL_E10value_typeET2_T3_PNSM_ISR_E10value_typeET4_jRbjT5_SX_jjP12ihipStream_tbEUlT_E0_NS1_11comp_targetILNS1_3genE3ELNS1_11target_archE908ELNS1_3gpuE7ELNS1_3repE0EEENS1_60segmented_radix_sort_warp_sort_medium_config_static_selectorELNS0_4arch9wavefront6targetE0EEEvSL_.has_indirect_call, 0
	.section	.AMDGPU.csdata,"",@progbits
; Kernel info:
; codeLenInByte = 0
; TotalNumSgprs: 0
; NumVgprs: 0
; ScratchSize: 0
; MemoryBound: 0
; FloatMode: 240
; IeeeMode: 1
; LDSByteSize: 0 bytes/workgroup (compile time only)
; SGPRBlocks: 0
; VGPRBlocks: 0
; NumSGPRsForWavesPerEU: 1
; NumVGPRsForWavesPerEU: 1
; NamedBarCnt: 0
; Occupancy: 16
; WaveLimiterHint : 0
; COMPUTE_PGM_RSRC2:SCRATCH_EN: 0
; COMPUTE_PGM_RSRC2:USER_SGPR: 2
; COMPUTE_PGM_RSRC2:TRAP_HANDLER: 0
; COMPUTE_PGM_RSRC2:TGID_X_EN: 1
; COMPUTE_PGM_RSRC2:TGID_Y_EN: 0
; COMPUTE_PGM_RSRC2:TGID_Z_EN: 0
; COMPUTE_PGM_RSRC2:TIDIG_COMP_CNT: 0
	.section	.text._ZN7rocprim17ROCPRIM_400000_NS6detail17trampoline_kernelINS0_14default_configENS1_36segmented_radix_sort_config_selectorI12hip_bfloat16lEEZNS1_25segmented_radix_sort_implIS3_Lb1EPKS5_PS5_PKlPlN2at6native12_GLOBAL__N_18offset_tEEE10hipError_tPvRmT1_PNSt15iterator_traitsISL_E10value_typeET2_T3_PNSM_ISR_E10value_typeET4_jRbjT5_SX_jjP12ihipStream_tbEUlT_E0_NS1_11comp_targetILNS1_3genE2ELNS1_11target_archE906ELNS1_3gpuE6ELNS1_3repE0EEENS1_60segmented_radix_sort_warp_sort_medium_config_static_selectorELNS0_4arch9wavefront6targetE0EEEvSL_,"axG",@progbits,_ZN7rocprim17ROCPRIM_400000_NS6detail17trampoline_kernelINS0_14default_configENS1_36segmented_radix_sort_config_selectorI12hip_bfloat16lEEZNS1_25segmented_radix_sort_implIS3_Lb1EPKS5_PS5_PKlPlN2at6native12_GLOBAL__N_18offset_tEEE10hipError_tPvRmT1_PNSt15iterator_traitsISL_E10value_typeET2_T3_PNSM_ISR_E10value_typeET4_jRbjT5_SX_jjP12ihipStream_tbEUlT_E0_NS1_11comp_targetILNS1_3genE2ELNS1_11target_archE906ELNS1_3gpuE6ELNS1_3repE0EEENS1_60segmented_radix_sort_warp_sort_medium_config_static_selectorELNS0_4arch9wavefront6targetE0EEEvSL_,comdat
	.globl	_ZN7rocprim17ROCPRIM_400000_NS6detail17trampoline_kernelINS0_14default_configENS1_36segmented_radix_sort_config_selectorI12hip_bfloat16lEEZNS1_25segmented_radix_sort_implIS3_Lb1EPKS5_PS5_PKlPlN2at6native12_GLOBAL__N_18offset_tEEE10hipError_tPvRmT1_PNSt15iterator_traitsISL_E10value_typeET2_T3_PNSM_ISR_E10value_typeET4_jRbjT5_SX_jjP12ihipStream_tbEUlT_E0_NS1_11comp_targetILNS1_3genE2ELNS1_11target_archE906ELNS1_3gpuE6ELNS1_3repE0EEENS1_60segmented_radix_sort_warp_sort_medium_config_static_selectorELNS0_4arch9wavefront6targetE0EEEvSL_ ; -- Begin function _ZN7rocprim17ROCPRIM_400000_NS6detail17trampoline_kernelINS0_14default_configENS1_36segmented_radix_sort_config_selectorI12hip_bfloat16lEEZNS1_25segmented_radix_sort_implIS3_Lb1EPKS5_PS5_PKlPlN2at6native12_GLOBAL__N_18offset_tEEE10hipError_tPvRmT1_PNSt15iterator_traitsISL_E10value_typeET2_T3_PNSM_ISR_E10value_typeET4_jRbjT5_SX_jjP12ihipStream_tbEUlT_E0_NS1_11comp_targetILNS1_3genE2ELNS1_11target_archE906ELNS1_3gpuE6ELNS1_3repE0EEENS1_60segmented_radix_sort_warp_sort_medium_config_static_selectorELNS0_4arch9wavefront6targetE0EEEvSL_
	.p2align	8
	.type	_ZN7rocprim17ROCPRIM_400000_NS6detail17trampoline_kernelINS0_14default_configENS1_36segmented_radix_sort_config_selectorI12hip_bfloat16lEEZNS1_25segmented_radix_sort_implIS3_Lb1EPKS5_PS5_PKlPlN2at6native12_GLOBAL__N_18offset_tEEE10hipError_tPvRmT1_PNSt15iterator_traitsISL_E10value_typeET2_T3_PNSM_ISR_E10value_typeET4_jRbjT5_SX_jjP12ihipStream_tbEUlT_E0_NS1_11comp_targetILNS1_3genE2ELNS1_11target_archE906ELNS1_3gpuE6ELNS1_3repE0EEENS1_60segmented_radix_sort_warp_sort_medium_config_static_selectorELNS0_4arch9wavefront6targetE0EEEvSL_,@function
_ZN7rocprim17ROCPRIM_400000_NS6detail17trampoline_kernelINS0_14default_configENS1_36segmented_radix_sort_config_selectorI12hip_bfloat16lEEZNS1_25segmented_radix_sort_implIS3_Lb1EPKS5_PS5_PKlPlN2at6native12_GLOBAL__N_18offset_tEEE10hipError_tPvRmT1_PNSt15iterator_traitsISL_E10value_typeET2_T3_PNSM_ISR_E10value_typeET4_jRbjT5_SX_jjP12ihipStream_tbEUlT_E0_NS1_11comp_targetILNS1_3genE2ELNS1_11target_archE906ELNS1_3gpuE6ELNS1_3repE0EEENS1_60segmented_radix_sort_warp_sort_medium_config_static_selectorELNS0_4arch9wavefront6targetE0EEEvSL_: ; @_ZN7rocprim17ROCPRIM_400000_NS6detail17trampoline_kernelINS0_14default_configENS1_36segmented_radix_sort_config_selectorI12hip_bfloat16lEEZNS1_25segmented_radix_sort_implIS3_Lb1EPKS5_PS5_PKlPlN2at6native12_GLOBAL__N_18offset_tEEE10hipError_tPvRmT1_PNSt15iterator_traitsISL_E10value_typeET2_T3_PNSM_ISR_E10value_typeET4_jRbjT5_SX_jjP12ihipStream_tbEUlT_E0_NS1_11comp_targetILNS1_3genE2ELNS1_11target_archE906ELNS1_3gpuE6ELNS1_3repE0EEENS1_60segmented_radix_sort_warp_sort_medium_config_static_selectorELNS0_4arch9wavefront6targetE0EEEvSL_
; %bb.0:
	.section	.rodata,"a",@progbits
	.p2align	6, 0x0
	.amdhsa_kernel _ZN7rocprim17ROCPRIM_400000_NS6detail17trampoline_kernelINS0_14default_configENS1_36segmented_radix_sort_config_selectorI12hip_bfloat16lEEZNS1_25segmented_radix_sort_implIS3_Lb1EPKS5_PS5_PKlPlN2at6native12_GLOBAL__N_18offset_tEEE10hipError_tPvRmT1_PNSt15iterator_traitsISL_E10value_typeET2_T3_PNSM_ISR_E10value_typeET4_jRbjT5_SX_jjP12ihipStream_tbEUlT_E0_NS1_11comp_targetILNS1_3genE2ELNS1_11target_archE906ELNS1_3gpuE6ELNS1_3repE0EEENS1_60segmented_radix_sort_warp_sort_medium_config_static_selectorELNS0_4arch9wavefront6targetE0EEEvSL_
		.amdhsa_group_segment_fixed_size 0
		.amdhsa_private_segment_fixed_size 0
		.amdhsa_kernarg_size 88
		.amdhsa_user_sgpr_count 2
		.amdhsa_user_sgpr_dispatch_ptr 0
		.amdhsa_user_sgpr_queue_ptr 0
		.amdhsa_user_sgpr_kernarg_segment_ptr 1
		.amdhsa_user_sgpr_dispatch_id 0
		.amdhsa_user_sgpr_kernarg_preload_length 0
		.amdhsa_user_sgpr_kernarg_preload_offset 0
		.amdhsa_user_sgpr_private_segment_size 0
		.amdhsa_wavefront_size32 1
		.amdhsa_uses_dynamic_stack 0
		.amdhsa_enable_private_segment 0
		.amdhsa_system_sgpr_workgroup_id_x 1
		.amdhsa_system_sgpr_workgroup_id_y 0
		.amdhsa_system_sgpr_workgroup_id_z 0
		.amdhsa_system_sgpr_workgroup_info 0
		.amdhsa_system_vgpr_workitem_id 0
		.amdhsa_next_free_vgpr 1
		.amdhsa_next_free_sgpr 1
		.amdhsa_named_barrier_count 0
		.amdhsa_reserve_vcc 0
		.amdhsa_float_round_mode_32 0
		.amdhsa_float_round_mode_16_64 0
		.amdhsa_float_denorm_mode_32 3
		.amdhsa_float_denorm_mode_16_64 3
		.amdhsa_fp16_overflow 0
		.amdhsa_memory_ordered 1
		.amdhsa_forward_progress 1
		.amdhsa_inst_pref_size 0
		.amdhsa_round_robin_scheduling 0
		.amdhsa_exception_fp_ieee_invalid_op 0
		.amdhsa_exception_fp_denorm_src 0
		.amdhsa_exception_fp_ieee_div_zero 0
		.amdhsa_exception_fp_ieee_overflow 0
		.amdhsa_exception_fp_ieee_underflow 0
		.amdhsa_exception_fp_ieee_inexact 0
		.amdhsa_exception_int_div_zero 0
	.end_amdhsa_kernel
	.section	.text._ZN7rocprim17ROCPRIM_400000_NS6detail17trampoline_kernelINS0_14default_configENS1_36segmented_radix_sort_config_selectorI12hip_bfloat16lEEZNS1_25segmented_radix_sort_implIS3_Lb1EPKS5_PS5_PKlPlN2at6native12_GLOBAL__N_18offset_tEEE10hipError_tPvRmT1_PNSt15iterator_traitsISL_E10value_typeET2_T3_PNSM_ISR_E10value_typeET4_jRbjT5_SX_jjP12ihipStream_tbEUlT_E0_NS1_11comp_targetILNS1_3genE2ELNS1_11target_archE906ELNS1_3gpuE6ELNS1_3repE0EEENS1_60segmented_radix_sort_warp_sort_medium_config_static_selectorELNS0_4arch9wavefront6targetE0EEEvSL_,"axG",@progbits,_ZN7rocprim17ROCPRIM_400000_NS6detail17trampoline_kernelINS0_14default_configENS1_36segmented_radix_sort_config_selectorI12hip_bfloat16lEEZNS1_25segmented_radix_sort_implIS3_Lb1EPKS5_PS5_PKlPlN2at6native12_GLOBAL__N_18offset_tEEE10hipError_tPvRmT1_PNSt15iterator_traitsISL_E10value_typeET2_T3_PNSM_ISR_E10value_typeET4_jRbjT5_SX_jjP12ihipStream_tbEUlT_E0_NS1_11comp_targetILNS1_3genE2ELNS1_11target_archE906ELNS1_3gpuE6ELNS1_3repE0EEENS1_60segmented_radix_sort_warp_sort_medium_config_static_selectorELNS0_4arch9wavefront6targetE0EEEvSL_,comdat
.Lfunc_end1951:
	.size	_ZN7rocprim17ROCPRIM_400000_NS6detail17trampoline_kernelINS0_14default_configENS1_36segmented_radix_sort_config_selectorI12hip_bfloat16lEEZNS1_25segmented_radix_sort_implIS3_Lb1EPKS5_PS5_PKlPlN2at6native12_GLOBAL__N_18offset_tEEE10hipError_tPvRmT1_PNSt15iterator_traitsISL_E10value_typeET2_T3_PNSM_ISR_E10value_typeET4_jRbjT5_SX_jjP12ihipStream_tbEUlT_E0_NS1_11comp_targetILNS1_3genE2ELNS1_11target_archE906ELNS1_3gpuE6ELNS1_3repE0EEENS1_60segmented_radix_sort_warp_sort_medium_config_static_selectorELNS0_4arch9wavefront6targetE0EEEvSL_, .Lfunc_end1951-_ZN7rocprim17ROCPRIM_400000_NS6detail17trampoline_kernelINS0_14default_configENS1_36segmented_radix_sort_config_selectorI12hip_bfloat16lEEZNS1_25segmented_radix_sort_implIS3_Lb1EPKS5_PS5_PKlPlN2at6native12_GLOBAL__N_18offset_tEEE10hipError_tPvRmT1_PNSt15iterator_traitsISL_E10value_typeET2_T3_PNSM_ISR_E10value_typeET4_jRbjT5_SX_jjP12ihipStream_tbEUlT_E0_NS1_11comp_targetILNS1_3genE2ELNS1_11target_archE906ELNS1_3gpuE6ELNS1_3repE0EEENS1_60segmented_radix_sort_warp_sort_medium_config_static_selectorELNS0_4arch9wavefront6targetE0EEEvSL_
                                        ; -- End function
	.set _ZN7rocprim17ROCPRIM_400000_NS6detail17trampoline_kernelINS0_14default_configENS1_36segmented_radix_sort_config_selectorI12hip_bfloat16lEEZNS1_25segmented_radix_sort_implIS3_Lb1EPKS5_PS5_PKlPlN2at6native12_GLOBAL__N_18offset_tEEE10hipError_tPvRmT1_PNSt15iterator_traitsISL_E10value_typeET2_T3_PNSM_ISR_E10value_typeET4_jRbjT5_SX_jjP12ihipStream_tbEUlT_E0_NS1_11comp_targetILNS1_3genE2ELNS1_11target_archE906ELNS1_3gpuE6ELNS1_3repE0EEENS1_60segmented_radix_sort_warp_sort_medium_config_static_selectorELNS0_4arch9wavefront6targetE0EEEvSL_.num_vgpr, 0
	.set _ZN7rocprim17ROCPRIM_400000_NS6detail17trampoline_kernelINS0_14default_configENS1_36segmented_radix_sort_config_selectorI12hip_bfloat16lEEZNS1_25segmented_radix_sort_implIS3_Lb1EPKS5_PS5_PKlPlN2at6native12_GLOBAL__N_18offset_tEEE10hipError_tPvRmT1_PNSt15iterator_traitsISL_E10value_typeET2_T3_PNSM_ISR_E10value_typeET4_jRbjT5_SX_jjP12ihipStream_tbEUlT_E0_NS1_11comp_targetILNS1_3genE2ELNS1_11target_archE906ELNS1_3gpuE6ELNS1_3repE0EEENS1_60segmented_radix_sort_warp_sort_medium_config_static_selectorELNS0_4arch9wavefront6targetE0EEEvSL_.num_agpr, 0
	.set _ZN7rocprim17ROCPRIM_400000_NS6detail17trampoline_kernelINS0_14default_configENS1_36segmented_radix_sort_config_selectorI12hip_bfloat16lEEZNS1_25segmented_radix_sort_implIS3_Lb1EPKS5_PS5_PKlPlN2at6native12_GLOBAL__N_18offset_tEEE10hipError_tPvRmT1_PNSt15iterator_traitsISL_E10value_typeET2_T3_PNSM_ISR_E10value_typeET4_jRbjT5_SX_jjP12ihipStream_tbEUlT_E0_NS1_11comp_targetILNS1_3genE2ELNS1_11target_archE906ELNS1_3gpuE6ELNS1_3repE0EEENS1_60segmented_radix_sort_warp_sort_medium_config_static_selectorELNS0_4arch9wavefront6targetE0EEEvSL_.numbered_sgpr, 0
	.set _ZN7rocprim17ROCPRIM_400000_NS6detail17trampoline_kernelINS0_14default_configENS1_36segmented_radix_sort_config_selectorI12hip_bfloat16lEEZNS1_25segmented_radix_sort_implIS3_Lb1EPKS5_PS5_PKlPlN2at6native12_GLOBAL__N_18offset_tEEE10hipError_tPvRmT1_PNSt15iterator_traitsISL_E10value_typeET2_T3_PNSM_ISR_E10value_typeET4_jRbjT5_SX_jjP12ihipStream_tbEUlT_E0_NS1_11comp_targetILNS1_3genE2ELNS1_11target_archE906ELNS1_3gpuE6ELNS1_3repE0EEENS1_60segmented_radix_sort_warp_sort_medium_config_static_selectorELNS0_4arch9wavefront6targetE0EEEvSL_.num_named_barrier, 0
	.set _ZN7rocprim17ROCPRIM_400000_NS6detail17trampoline_kernelINS0_14default_configENS1_36segmented_radix_sort_config_selectorI12hip_bfloat16lEEZNS1_25segmented_radix_sort_implIS3_Lb1EPKS5_PS5_PKlPlN2at6native12_GLOBAL__N_18offset_tEEE10hipError_tPvRmT1_PNSt15iterator_traitsISL_E10value_typeET2_T3_PNSM_ISR_E10value_typeET4_jRbjT5_SX_jjP12ihipStream_tbEUlT_E0_NS1_11comp_targetILNS1_3genE2ELNS1_11target_archE906ELNS1_3gpuE6ELNS1_3repE0EEENS1_60segmented_radix_sort_warp_sort_medium_config_static_selectorELNS0_4arch9wavefront6targetE0EEEvSL_.private_seg_size, 0
	.set _ZN7rocprim17ROCPRIM_400000_NS6detail17trampoline_kernelINS0_14default_configENS1_36segmented_radix_sort_config_selectorI12hip_bfloat16lEEZNS1_25segmented_radix_sort_implIS3_Lb1EPKS5_PS5_PKlPlN2at6native12_GLOBAL__N_18offset_tEEE10hipError_tPvRmT1_PNSt15iterator_traitsISL_E10value_typeET2_T3_PNSM_ISR_E10value_typeET4_jRbjT5_SX_jjP12ihipStream_tbEUlT_E0_NS1_11comp_targetILNS1_3genE2ELNS1_11target_archE906ELNS1_3gpuE6ELNS1_3repE0EEENS1_60segmented_radix_sort_warp_sort_medium_config_static_selectorELNS0_4arch9wavefront6targetE0EEEvSL_.uses_vcc, 0
	.set _ZN7rocprim17ROCPRIM_400000_NS6detail17trampoline_kernelINS0_14default_configENS1_36segmented_radix_sort_config_selectorI12hip_bfloat16lEEZNS1_25segmented_radix_sort_implIS3_Lb1EPKS5_PS5_PKlPlN2at6native12_GLOBAL__N_18offset_tEEE10hipError_tPvRmT1_PNSt15iterator_traitsISL_E10value_typeET2_T3_PNSM_ISR_E10value_typeET4_jRbjT5_SX_jjP12ihipStream_tbEUlT_E0_NS1_11comp_targetILNS1_3genE2ELNS1_11target_archE906ELNS1_3gpuE6ELNS1_3repE0EEENS1_60segmented_radix_sort_warp_sort_medium_config_static_selectorELNS0_4arch9wavefront6targetE0EEEvSL_.uses_flat_scratch, 0
	.set _ZN7rocprim17ROCPRIM_400000_NS6detail17trampoline_kernelINS0_14default_configENS1_36segmented_radix_sort_config_selectorI12hip_bfloat16lEEZNS1_25segmented_radix_sort_implIS3_Lb1EPKS5_PS5_PKlPlN2at6native12_GLOBAL__N_18offset_tEEE10hipError_tPvRmT1_PNSt15iterator_traitsISL_E10value_typeET2_T3_PNSM_ISR_E10value_typeET4_jRbjT5_SX_jjP12ihipStream_tbEUlT_E0_NS1_11comp_targetILNS1_3genE2ELNS1_11target_archE906ELNS1_3gpuE6ELNS1_3repE0EEENS1_60segmented_radix_sort_warp_sort_medium_config_static_selectorELNS0_4arch9wavefront6targetE0EEEvSL_.has_dyn_sized_stack, 0
	.set _ZN7rocprim17ROCPRIM_400000_NS6detail17trampoline_kernelINS0_14default_configENS1_36segmented_radix_sort_config_selectorI12hip_bfloat16lEEZNS1_25segmented_radix_sort_implIS3_Lb1EPKS5_PS5_PKlPlN2at6native12_GLOBAL__N_18offset_tEEE10hipError_tPvRmT1_PNSt15iterator_traitsISL_E10value_typeET2_T3_PNSM_ISR_E10value_typeET4_jRbjT5_SX_jjP12ihipStream_tbEUlT_E0_NS1_11comp_targetILNS1_3genE2ELNS1_11target_archE906ELNS1_3gpuE6ELNS1_3repE0EEENS1_60segmented_radix_sort_warp_sort_medium_config_static_selectorELNS0_4arch9wavefront6targetE0EEEvSL_.has_recursion, 0
	.set _ZN7rocprim17ROCPRIM_400000_NS6detail17trampoline_kernelINS0_14default_configENS1_36segmented_radix_sort_config_selectorI12hip_bfloat16lEEZNS1_25segmented_radix_sort_implIS3_Lb1EPKS5_PS5_PKlPlN2at6native12_GLOBAL__N_18offset_tEEE10hipError_tPvRmT1_PNSt15iterator_traitsISL_E10value_typeET2_T3_PNSM_ISR_E10value_typeET4_jRbjT5_SX_jjP12ihipStream_tbEUlT_E0_NS1_11comp_targetILNS1_3genE2ELNS1_11target_archE906ELNS1_3gpuE6ELNS1_3repE0EEENS1_60segmented_radix_sort_warp_sort_medium_config_static_selectorELNS0_4arch9wavefront6targetE0EEEvSL_.has_indirect_call, 0
	.section	.AMDGPU.csdata,"",@progbits
; Kernel info:
; codeLenInByte = 0
; TotalNumSgprs: 0
; NumVgprs: 0
; ScratchSize: 0
; MemoryBound: 0
; FloatMode: 240
; IeeeMode: 1
; LDSByteSize: 0 bytes/workgroup (compile time only)
; SGPRBlocks: 0
; VGPRBlocks: 0
; NumSGPRsForWavesPerEU: 1
; NumVGPRsForWavesPerEU: 1
; NamedBarCnt: 0
; Occupancy: 16
; WaveLimiterHint : 0
; COMPUTE_PGM_RSRC2:SCRATCH_EN: 0
; COMPUTE_PGM_RSRC2:USER_SGPR: 2
; COMPUTE_PGM_RSRC2:TRAP_HANDLER: 0
; COMPUTE_PGM_RSRC2:TGID_X_EN: 1
; COMPUTE_PGM_RSRC2:TGID_Y_EN: 0
; COMPUTE_PGM_RSRC2:TGID_Z_EN: 0
; COMPUTE_PGM_RSRC2:TIDIG_COMP_CNT: 0
	.section	.text._ZN7rocprim17ROCPRIM_400000_NS6detail17trampoline_kernelINS0_14default_configENS1_36segmented_radix_sort_config_selectorI12hip_bfloat16lEEZNS1_25segmented_radix_sort_implIS3_Lb1EPKS5_PS5_PKlPlN2at6native12_GLOBAL__N_18offset_tEEE10hipError_tPvRmT1_PNSt15iterator_traitsISL_E10value_typeET2_T3_PNSM_ISR_E10value_typeET4_jRbjT5_SX_jjP12ihipStream_tbEUlT_E0_NS1_11comp_targetILNS1_3genE10ELNS1_11target_archE1201ELNS1_3gpuE5ELNS1_3repE0EEENS1_60segmented_radix_sort_warp_sort_medium_config_static_selectorELNS0_4arch9wavefront6targetE0EEEvSL_,"axG",@progbits,_ZN7rocprim17ROCPRIM_400000_NS6detail17trampoline_kernelINS0_14default_configENS1_36segmented_radix_sort_config_selectorI12hip_bfloat16lEEZNS1_25segmented_radix_sort_implIS3_Lb1EPKS5_PS5_PKlPlN2at6native12_GLOBAL__N_18offset_tEEE10hipError_tPvRmT1_PNSt15iterator_traitsISL_E10value_typeET2_T3_PNSM_ISR_E10value_typeET4_jRbjT5_SX_jjP12ihipStream_tbEUlT_E0_NS1_11comp_targetILNS1_3genE10ELNS1_11target_archE1201ELNS1_3gpuE5ELNS1_3repE0EEENS1_60segmented_radix_sort_warp_sort_medium_config_static_selectorELNS0_4arch9wavefront6targetE0EEEvSL_,comdat
	.globl	_ZN7rocprim17ROCPRIM_400000_NS6detail17trampoline_kernelINS0_14default_configENS1_36segmented_radix_sort_config_selectorI12hip_bfloat16lEEZNS1_25segmented_radix_sort_implIS3_Lb1EPKS5_PS5_PKlPlN2at6native12_GLOBAL__N_18offset_tEEE10hipError_tPvRmT1_PNSt15iterator_traitsISL_E10value_typeET2_T3_PNSM_ISR_E10value_typeET4_jRbjT5_SX_jjP12ihipStream_tbEUlT_E0_NS1_11comp_targetILNS1_3genE10ELNS1_11target_archE1201ELNS1_3gpuE5ELNS1_3repE0EEENS1_60segmented_radix_sort_warp_sort_medium_config_static_selectorELNS0_4arch9wavefront6targetE0EEEvSL_ ; -- Begin function _ZN7rocprim17ROCPRIM_400000_NS6detail17trampoline_kernelINS0_14default_configENS1_36segmented_radix_sort_config_selectorI12hip_bfloat16lEEZNS1_25segmented_radix_sort_implIS3_Lb1EPKS5_PS5_PKlPlN2at6native12_GLOBAL__N_18offset_tEEE10hipError_tPvRmT1_PNSt15iterator_traitsISL_E10value_typeET2_T3_PNSM_ISR_E10value_typeET4_jRbjT5_SX_jjP12ihipStream_tbEUlT_E0_NS1_11comp_targetILNS1_3genE10ELNS1_11target_archE1201ELNS1_3gpuE5ELNS1_3repE0EEENS1_60segmented_radix_sort_warp_sort_medium_config_static_selectorELNS0_4arch9wavefront6targetE0EEEvSL_
	.p2align	8
	.type	_ZN7rocprim17ROCPRIM_400000_NS6detail17trampoline_kernelINS0_14default_configENS1_36segmented_radix_sort_config_selectorI12hip_bfloat16lEEZNS1_25segmented_radix_sort_implIS3_Lb1EPKS5_PS5_PKlPlN2at6native12_GLOBAL__N_18offset_tEEE10hipError_tPvRmT1_PNSt15iterator_traitsISL_E10value_typeET2_T3_PNSM_ISR_E10value_typeET4_jRbjT5_SX_jjP12ihipStream_tbEUlT_E0_NS1_11comp_targetILNS1_3genE10ELNS1_11target_archE1201ELNS1_3gpuE5ELNS1_3repE0EEENS1_60segmented_radix_sort_warp_sort_medium_config_static_selectorELNS0_4arch9wavefront6targetE0EEEvSL_,@function
_ZN7rocprim17ROCPRIM_400000_NS6detail17trampoline_kernelINS0_14default_configENS1_36segmented_radix_sort_config_selectorI12hip_bfloat16lEEZNS1_25segmented_radix_sort_implIS3_Lb1EPKS5_PS5_PKlPlN2at6native12_GLOBAL__N_18offset_tEEE10hipError_tPvRmT1_PNSt15iterator_traitsISL_E10value_typeET2_T3_PNSM_ISR_E10value_typeET4_jRbjT5_SX_jjP12ihipStream_tbEUlT_E0_NS1_11comp_targetILNS1_3genE10ELNS1_11target_archE1201ELNS1_3gpuE5ELNS1_3repE0EEENS1_60segmented_radix_sort_warp_sort_medium_config_static_selectorELNS0_4arch9wavefront6targetE0EEEvSL_: ; @_ZN7rocprim17ROCPRIM_400000_NS6detail17trampoline_kernelINS0_14default_configENS1_36segmented_radix_sort_config_selectorI12hip_bfloat16lEEZNS1_25segmented_radix_sort_implIS3_Lb1EPKS5_PS5_PKlPlN2at6native12_GLOBAL__N_18offset_tEEE10hipError_tPvRmT1_PNSt15iterator_traitsISL_E10value_typeET2_T3_PNSM_ISR_E10value_typeET4_jRbjT5_SX_jjP12ihipStream_tbEUlT_E0_NS1_11comp_targetILNS1_3genE10ELNS1_11target_archE1201ELNS1_3gpuE5ELNS1_3repE0EEENS1_60segmented_radix_sort_warp_sort_medium_config_static_selectorELNS0_4arch9wavefront6targetE0EEEvSL_
; %bb.0:
	.section	.rodata,"a",@progbits
	.p2align	6, 0x0
	.amdhsa_kernel _ZN7rocprim17ROCPRIM_400000_NS6detail17trampoline_kernelINS0_14default_configENS1_36segmented_radix_sort_config_selectorI12hip_bfloat16lEEZNS1_25segmented_radix_sort_implIS3_Lb1EPKS5_PS5_PKlPlN2at6native12_GLOBAL__N_18offset_tEEE10hipError_tPvRmT1_PNSt15iterator_traitsISL_E10value_typeET2_T3_PNSM_ISR_E10value_typeET4_jRbjT5_SX_jjP12ihipStream_tbEUlT_E0_NS1_11comp_targetILNS1_3genE10ELNS1_11target_archE1201ELNS1_3gpuE5ELNS1_3repE0EEENS1_60segmented_radix_sort_warp_sort_medium_config_static_selectorELNS0_4arch9wavefront6targetE0EEEvSL_
		.amdhsa_group_segment_fixed_size 0
		.amdhsa_private_segment_fixed_size 0
		.amdhsa_kernarg_size 88
		.amdhsa_user_sgpr_count 2
		.amdhsa_user_sgpr_dispatch_ptr 0
		.amdhsa_user_sgpr_queue_ptr 0
		.amdhsa_user_sgpr_kernarg_segment_ptr 1
		.amdhsa_user_sgpr_dispatch_id 0
		.amdhsa_user_sgpr_kernarg_preload_length 0
		.amdhsa_user_sgpr_kernarg_preload_offset 0
		.amdhsa_user_sgpr_private_segment_size 0
		.amdhsa_wavefront_size32 1
		.amdhsa_uses_dynamic_stack 0
		.amdhsa_enable_private_segment 0
		.amdhsa_system_sgpr_workgroup_id_x 1
		.amdhsa_system_sgpr_workgroup_id_y 0
		.amdhsa_system_sgpr_workgroup_id_z 0
		.amdhsa_system_sgpr_workgroup_info 0
		.amdhsa_system_vgpr_workitem_id 0
		.amdhsa_next_free_vgpr 1
		.amdhsa_next_free_sgpr 1
		.amdhsa_named_barrier_count 0
		.amdhsa_reserve_vcc 0
		.amdhsa_float_round_mode_32 0
		.amdhsa_float_round_mode_16_64 0
		.amdhsa_float_denorm_mode_32 3
		.amdhsa_float_denorm_mode_16_64 3
		.amdhsa_fp16_overflow 0
		.amdhsa_memory_ordered 1
		.amdhsa_forward_progress 1
		.amdhsa_inst_pref_size 0
		.amdhsa_round_robin_scheduling 0
		.amdhsa_exception_fp_ieee_invalid_op 0
		.amdhsa_exception_fp_denorm_src 0
		.amdhsa_exception_fp_ieee_div_zero 0
		.amdhsa_exception_fp_ieee_overflow 0
		.amdhsa_exception_fp_ieee_underflow 0
		.amdhsa_exception_fp_ieee_inexact 0
		.amdhsa_exception_int_div_zero 0
	.end_amdhsa_kernel
	.section	.text._ZN7rocprim17ROCPRIM_400000_NS6detail17trampoline_kernelINS0_14default_configENS1_36segmented_radix_sort_config_selectorI12hip_bfloat16lEEZNS1_25segmented_radix_sort_implIS3_Lb1EPKS5_PS5_PKlPlN2at6native12_GLOBAL__N_18offset_tEEE10hipError_tPvRmT1_PNSt15iterator_traitsISL_E10value_typeET2_T3_PNSM_ISR_E10value_typeET4_jRbjT5_SX_jjP12ihipStream_tbEUlT_E0_NS1_11comp_targetILNS1_3genE10ELNS1_11target_archE1201ELNS1_3gpuE5ELNS1_3repE0EEENS1_60segmented_radix_sort_warp_sort_medium_config_static_selectorELNS0_4arch9wavefront6targetE0EEEvSL_,"axG",@progbits,_ZN7rocprim17ROCPRIM_400000_NS6detail17trampoline_kernelINS0_14default_configENS1_36segmented_radix_sort_config_selectorI12hip_bfloat16lEEZNS1_25segmented_radix_sort_implIS3_Lb1EPKS5_PS5_PKlPlN2at6native12_GLOBAL__N_18offset_tEEE10hipError_tPvRmT1_PNSt15iterator_traitsISL_E10value_typeET2_T3_PNSM_ISR_E10value_typeET4_jRbjT5_SX_jjP12ihipStream_tbEUlT_E0_NS1_11comp_targetILNS1_3genE10ELNS1_11target_archE1201ELNS1_3gpuE5ELNS1_3repE0EEENS1_60segmented_radix_sort_warp_sort_medium_config_static_selectorELNS0_4arch9wavefront6targetE0EEEvSL_,comdat
.Lfunc_end1952:
	.size	_ZN7rocprim17ROCPRIM_400000_NS6detail17trampoline_kernelINS0_14default_configENS1_36segmented_radix_sort_config_selectorI12hip_bfloat16lEEZNS1_25segmented_radix_sort_implIS3_Lb1EPKS5_PS5_PKlPlN2at6native12_GLOBAL__N_18offset_tEEE10hipError_tPvRmT1_PNSt15iterator_traitsISL_E10value_typeET2_T3_PNSM_ISR_E10value_typeET4_jRbjT5_SX_jjP12ihipStream_tbEUlT_E0_NS1_11comp_targetILNS1_3genE10ELNS1_11target_archE1201ELNS1_3gpuE5ELNS1_3repE0EEENS1_60segmented_radix_sort_warp_sort_medium_config_static_selectorELNS0_4arch9wavefront6targetE0EEEvSL_, .Lfunc_end1952-_ZN7rocprim17ROCPRIM_400000_NS6detail17trampoline_kernelINS0_14default_configENS1_36segmented_radix_sort_config_selectorI12hip_bfloat16lEEZNS1_25segmented_radix_sort_implIS3_Lb1EPKS5_PS5_PKlPlN2at6native12_GLOBAL__N_18offset_tEEE10hipError_tPvRmT1_PNSt15iterator_traitsISL_E10value_typeET2_T3_PNSM_ISR_E10value_typeET4_jRbjT5_SX_jjP12ihipStream_tbEUlT_E0_NS1_11comp_targetILNS1_3genE10ELNS1_11target_archE1201ELNS1_3gpuE5ELNS1_3repE0EEENS1_60segmented_radix_sort_warp_sort_medium_config_static_selectorELNS0_4arch9wavefront6targetE0EEEvSL_
                                        ; -- End function
	.set _ZN7rocprim17ROCPRIM_400000_NS6detail17trampoline_kernelINS0_14default_configENS1_36segmented_radix_sort_config_selectorI12hip_bfloat16lEEZNS1_25segmented_radix_sort_implIS3_Lb1EPKS5_PS5_PKlPlN2at6native12_GLOBAL__N_18offset_tEEE10hipError_tPvRmT1_PNSt15iterator_traitsISL_E10value_typeET2_T3_PNSM_ISR_E10value_typeET4_jRbjT5_SX_jjP12ihipStream_tbEUlT_E0_NS1_11comp_targetILNS1_3genE10ELNS1_11target_archE1201ELNS1_3gpuE5ELNS1_3repE0EEENS1_60segmented_radix_sort_warp_sort_medium_config_static_selectorELNS0_4arch9wavefront6targetE0EEEvSL_.num_vgpr, 0
	.set _ZN7rocprim17ROCPRIM_400000_NS6detail17trampoline_kernelINS0_14default_configENS1_36segmented_radix_sort_config_selectorI12hip_bfloat16lEEZNS1_25segmented_radix_sort_implIS3_Lb1EPKS5_PS5_PKlPlN2at6native12_GLOBAL__N_18offset_tEEE10hipError_tPvRmT1_PNSt15iterator_traitsISL_E10value_typeET2_T3_PNSM_ISR_E10value_typeET4_jRbjT5_SX_jjP12ihipStream_tbEUlT_E0_NS1_11comp_targetILNS1_3genE10ELNS1_11target_archE1201ELNS1_3gpuE5ELNS1_3repE0EEENS1_60segmented_radix_sort_warp_sort_medium_config_static_selectorELNS0_4arch9wavefront6targetE0EEEvSL_.num_agpr, 0
	.set _ZN7rocprim17ROCPRIM_400000_NS6detail17trampoline_kernelINS0_14default_configENS1_36segmented_radix_sort_config_selectorI12hip_bfloat16lEEZNS1_25segmented_radix_sort_implIS3_Lb1EPKS5_PS5_PKlPlN2at6native12_GLOBAL__N_18offset_tEEE10hipError_tPvRmT1_PNSt15iterator_traitsISL_E10value_typeET2_T3_PNSM_ISR_E10value_typeET4_jRbjT5_SX_jjP12ihipStream_tbEUlT_E0_NS1_11comp_targetILNS1_3genE10ELNS1_11target_archE1201ELNS1_3gpuE5ELNS1_3repE0EEENS1_60segmented_radix_sort_warp_sort_medium_config_static_selectorELNS0_4arch9wavefront6targetE0EEEvSL_.numbered_sgpr, 0
	.set _ZN7rocprim17ROCPRIM_400000_NS6detail17trampoline_kernelINS0_14default_configENS1_36segmented_radix_sort_config_selectorI12hip_bfloat16lEEZNS1_25segmented_radix_sort_implIS3_Lb1EPKS5_PS5_PKlPlN2at6native12_GLOBAL__N_18offset_tEEE10hipError_tPvRmT1_PNSt15iterator_traitsISL_E10value_typeET2_T3_PNSM_ISR_E10value_typeET4_jRbjT5_SX_jjP12ihipStream_tbEUlT_E0_NS1_11comp_targetILNS1_3genE10ELNS1_11target_archE1201ELNS1_3gpuE5ELNS1_3repE0EEENS1_60segmented_radix_sort_warp_sort_medium_config_static_selectorELNS0_4arch9wavefront6targetE0EEEvSL_.num_named_barrier, 0
	.set _ZN7rocprim17ROCPRIM_400000_NS6detail17trampoline_kernelINS0_14default_configENS1_36segmented_radix_sort_config_selectorI12hip_bfloat16lEEZNS1_25segmented_radix_sort_implIS3_Lb1EPKS5_PS5_PKlPlN2at6native12_GLOBAL__N_18offset_tEEE10hipError_tPvRmT1_PNSt15iterator_traitsISL_E10value_typeET2_T3_PNSM_ISR_E10value_typeET4_jRbjT5_SX_jjP12ihipStream_tbEUlT_E0_NS1_11comp_targetILNS1_3genE10ELNS1_11target_archE1201ELNS1_3gpuE5ELNS1_3repE0EEENS1_60segmented_radix_sort_warp_sort_medium_config_static_selectorELNS0_4arch9wavefront6targetE0EEEvSL_.private_seg_size, 0
	.set _ZN7rocprim17ROCPRIM_400000_NS6detail17trampoline_kernelINS0_14default_configENS1_36segmented_radix_sort_config_selectorI12hip_bfloat16lEEZNS1_25segmented_radix_sort_implIS3_Lb1EPKS5_PS5_PKlPlN2at6native12_GLOBAL__N_18offset_tEEE10hipError_tPvRmT1_PNSt15iterator_traitsISL_E10value_typeET2_T3_PNSM_ISR_E10value_typeET4_jRbjT5_SX_jjP12ihipStream_tbEUlT_E0_NS1_11comp_targetILNS1_3genE10ELNS1_11target_archE1201ELNS1_3gpuE5ELNS1_3repE0EEENS1_60segmented_radix_sort_warp_sort_medium_config_static_selectorELNS0_4arch9wavefront6targetE0EEEvSL_.uses_vcc, 0
	.set _ZN7rocprim17ROCPRIM_400000_NS6detail17trampoline_kernelINS0_14default_configENS1_36segmented_radix_sort_config_selectorI12hip_bfloat16lEEZNS1_25segmented_radix_sort_implIS3_Lb1EPKS5_PS5_PKlPlN2at6native12_GLOBAL__N_18offset_tEEE10hipError_tPvRmT1_PNSt15iterator_traitsISL_E10value_typeET2_T3_PNSM_ISR_E10value_typeET4_jRbjT5_SX_jjP12ihipStream_tbEUlT_E0_NS1_11comp_targetILNS1_3genE10ELNS1_11target_archE1201ELNS1_3gpuE5ELNS1_3repE0EEENS1_60segmented_radix_sort_warp_sort_medium_config_static_selectorELNS0_4arch9wavefront6targetE0EEEvSL_.uses_flat_scratch, 0
	.set _ZN7rocprim17ROCPRIM_400000_NS6detail17trampoline_kernelINS0_14default_configENS1_36segmented_radix_sort_config_selectorI12hip_bfloat16lEEZNS1_25segmented_radix_sort_implIS3_Lb1EPKS5_PS5_PKlPlN2at6native12_GLOBAL__N_18offset_tEEE10hipError_tPvRmT1_PNSt15iterator_traitsISL_E10value_typeET2_T3_PNSM_ISR_E10value_typeET4_jRbjT5_SX_jjP12ihipStream_tbEUlT_E0_NS1_11comp_targetILNS1_3genE10ELNS1_11target_archE1201ELNS1_3gpuE5ELNS1_3repE0EEENS1_60segmented_radix_sort_warp_sort_medium_config_static_selectorELNS0_4arch9wavefront6targetE0EEEvSL_.has_dyn_sized_stack, 0
	.set _ZN7rocprim17ROCPRIM_400000_NS6detail17trampoline_kernelINS0_14default_configENS1_36segmented_radix_sort_config_selectorI12hip_bfloat16lEEZNS1_25segmented_radix_sort_implIS3_Lb1EPKS5_PS5_PKlPlN2at6native12_GLOBAL__N_18offset_tEEE10hipError_tPvRmT1_PNSt15iterator_traitsISL_E10value_typeET2_T3_PNSM_ISR_E10value_typeET4_jRbjT5_SX_jjP12ihipStream_tbEUlT_E0_NS1_11comp_targetILNS1_3genE10ELNS1_11target_archE1201ELNS1_3gpuE5ELNS1_3repE0EEENS1_60segmented_radix_sort_warp_sort_medium_config_static_selectorELNS0_4arch9wavefront6targetE0EEEvSL_.has_recursion, 0
	.set _ZN7rocprim17ROCPRIM_400000_NS6detail17trampoline_kernelINS0_14default_configENS1_36segmented_radix_sort_config_selectorI12hip_bfloat16lEEZNS1_25segmented_radix_sort_implIS3_Lb1EPKS5_PS5_PKlPlN2at6native12_GLOBAL__N_18offset_tEEE10hipError_tPvRmT1_PNSt15iterator_traitsISL_E10value_typeET2_T3_PNSM_ISR_E10value_typeET4_jRbjT5_SX_jjP12ihipStream_tbEUlT_E0_NS1_11comp_targetILNS1_3genE10ELNS1_11target_archE1201ELNS1_3gpuE5ELNS1_3repE0EEENS1_60segmented_radix_sort_warp_sort_medium_config_static_selectorELNS0_4arch9wavefront6targetE0EEEvSL_.has_indirect_call, 0
	.section	.AMDGPU.csdata,"",@progbits
; Kernel info:
; codeLenInByte = 0
; TotalNumSgprs: 0
; NumVgprs: 0
; ScratchSize: 0
; MemoryBound: 0
; FloatMode: 240
; IeeeMode: 1
; LDSByteSize: 0 bytes/workgroup (compile time only)
; SGPRBlocks: 0
; VGPRBlocks: 0
; NumSGPRsForWavesPerEU: 1
; NumVGPRsForWavesPerEU: 1
; NamedBarCnt: 0
; Occupancy: 16
; WaveLimiterHint : 0
; COMPUTE_PGM_RSRC2:SCRATCH_EN: 0
; COMPUTE_PGM_RSRC2:USER_SGPR: 2
; COMPUTE_PGM_RSRC2:TRAP_HANDLER: 0
; COMPUTE_PGM_RSRC2:TGID_X_EN: 1
; COMPUTE_PGM_RSRC2:TGID_Y_EN: 0
; COMPUTE_PGM_RSRC2:TGID_Z_EN: 0
; COMPUTE_PGM_RSRC2:TIDIG_COMP_CNT: 0
	.section	.text._ZN7rocprim17ROCPRIM_400000_NS6detail17trampoline_kernelINS0_14default_configENS1_36segmented_radix_sort_config_selectorI12hip_bfloat16lEEZNS1_25segmented_radix_sort_implIS3_Lb1EPKS5_PS5_PKlPlN2at6native12_GLOBAL__N_18offset_tEEE10hipError_tPvRmT1_PNSt15iterator_traitsISL_E10value_typeET2_T3_PNSM_ISR_E10value_typeET4_jRbjT5_SX_jjP12ihipStream_tbEUlT_E0_NS1_11comp_targetILNS1_3genE10ELNS1_11target_archE1200ELNS1_3gpuE4ELNS1_3repE0EEENS1_60segmented_radix_sort_warp_sort_medium_config_static_selectorELNS0_4arch9wavefront6targetE0EEEvSL_,"axG",@progbits,_ZN7rocprim17ROCPRIM_400000_NS6detail17trampoline_kernelINS0_14default_configENS1_36segmented_radix_sort_config_selectorI12hip_bfloat16lEEZNS1_25segmented_radix_sort_implIS3_Lb1EPKS5_PS5_PKlPlN2at6native12_GLOBAL__N_18offset_tEEE10hipError_tPvRmT1_PNSt15iterator_traitsISL_E10value_typeET2_T3_PNSM_ISR_E10value_typeET4_jRbjT5_SX_jjP12ihipStream_tbEUlT_E0_NS1_11comp_targetILNS1_3genE10ELNS1_11target_archE1200ELNS1_3gpuE4ELNS1_3repE0EEENS1_60segmented_radix_sort_warp_sort_medium_config_static_selectorELNS0_4arch9wavefront6targetE0EEEvSL_,comdat
	.globl	_ZN7rocprim17ROCPRIM_400000_NS6detail17trampoline_kernelINS0_14default_configENS1_36segmented_radix_sort_config_selectorI12hip_bfloat16lEEZNS1_25segmented_radix_sort_implIS3_Lb1EPKS5_PS5_PKlPlN2at6native12_GLOBAL__N_18offset_tEEE10hipError_tPvRmT1_PNSt15iterator_traitsISL_E10value_typeET2_T3_PNSM_ISR_E10value_typeET4_jRbjT5_SX_jjP12ihipStream_tbEUlT_E0_NS1_11comp_targetILNS1_3genE10ELNS1_11target_archE1200ELNS1_3gpuE4ELNS1_3repE0EEENS1_60segmented_radix_sort_warp_sort_medium_config_static_selectorELNS0_4arch9wavefront6targetE0EEEvSL_ ; -- Begin function _ZN7rocprim17ROCPRIM_400000_NS6detail17trampoline_kernelINS0_14default_configENS1_36segmented_radix_sort_config_selectorI12hip_bfloat16lEEZNS1_25segmented_radix_sort_implIS3_Lb1EPKS5_PS5_PKlPlN2at6native12_GLOBAL__N_18offset_tEEE10hipError_tPvRmT1_PNSt15iterator_traitsISL_E10value_typeET2_T3_PNSM_ISR_E10value_typeET4_jRbjT5_SX_jjP12ihipStream_tbEUlT_E0_NS1_11comp_targetILNS1_3genE10ELNS1_11target_archE1200ELNS1_3gpuE4ELNS1_3repE0EEENS1_60segmented_radix_sort_warp_sort_medium_config_static_selectorELNS0_4arch9wavefront6targetE0EEEvSL_
	.p2align	8
	.type	_ZN7rocprim17ROCPRIM_400000_NS6detail17trampoline_kernelINS0_14default_configENS1_36segmented_radix_sort_config_selectorI12hip_bfloat16lEEZNS1_25segmented_radix_sort_implIS3_Lb1EPKS5_PS5_PKlPlN2at6native12_GLOBAL__N_18offset_tEEE10hipError_tPvRmT1_PNSt15iterator_traitsISL_E10value_typeET2_T3_PNSM_ISR_E10value_typeET4_jRbjT5_SX_jjP12ihipStream_tbEUlT_E0_NS1_11comp_targetILNS1_3genE10ELNS1_11target_archE1200ELNS1_3gpuE4ELNS1_3repE0EEENS1_60segmented_radix_sort_warp_sort_medium_config_static_selectorELNS0_4arch9wavefront6targetE0EEEvSL_,@function
_ZN7rocprim17ROCPRIM_400000_NS6detail17trampoline_kernelINS0_14default_configENS1_36segmented_radix_sort_config_selectorI12hip_bfloat16lEEZNS1_25segmented_radix_sort_implIS3_Lb1EPKS5_PS5_PKlPlN2at6native12_GLOBAL__N_18offset_tEEE10hipError_tPvRmT1_PNSt15iterator_traitsISL_E10value_typeET2_T3_PNSM_ISR_E10value_typeET4_jRbjT5_SX_jjP12ihipStream_tbEUlT_E0_NS1_11comp_targetILNS1_3genE10ELNS1_11target_archE1200ELNS1_3gpuE4ELNS1_3repE0EEENS1_60segmented_radix_sort_warp_sort_medium_config_static_selectorELNS0_4arch9wavefront6targetE0EEEvSL_: ; @_ZN7rocprim17ROCPRIM_400000_NS6detail17trampoline_kernelINS0_14default_configENS1_36segmented_radix_sort_config_selectorI12hip_bfloat16lEEZNS1_25segmented_radix_sort_implIS3_Lb1EPKS5_PS5_PKlPlN2at6native12_GLOBAL__N_18offset_tEEE10hipError_tPvRmT1_PNSt15iterator_traitsISL_E10value_typeET2_T3_PNSM_ISR_E10value_typeET4_jRbjT5_SX_jjP12ihipStream_tbEUlT_E0_NS1_11comp_targetILNS1_3genE10ELNS1_11target_archE1200ELNS1_3gpuE4ELNS1_3repE0EEENS1_60segmented_radix_sort_warp_sort_medium_config_static_selectorELNS0_4arch9wavefront6targetE0EEEvSL_
; %bb.0:
	.section	.rodata,"a",@progbits
	.p2align	6, 0x0
	.amdhsa_kernel _ZN7rocprim17ROCPRIM_400000_NS6detail17trampoline_kernelINS0_14default_configENS1_36segmented_radix_sort_config_selectorI12hip_bfloat16lEEZNS1_25segmented_radix_sort_implIS3_Lb1EPKS5_PS5_PKlPlN2at6native12_GLOBAL__N_18offset_tEEE10hipError_tPvRmT1_PNSt15iterator_traitsISL_E10value_typeET2_T3_PNSM_ISR_E10value_typeET4_jRbjT5_SX_jjP12ihipStream_tbEUlT_E0_NS1_11comp_targetILNS1_3genE10ELNS1_11target_archE1200ELNS1_3gpuE4ELNS1_3repE0EEENS1_60segmented_radix_sort_warp_sort_medium_config_static_selectorELNS0_4arch9wavefront6targetE0EEEvSL_
		.amdhsa_group_segment_fixed_size 0
		.amdhsa_private_segment_fixed_size 0
		.amdhsa_kernarg_size 88
		.amdhsa_user_sgpr_count 2
		.amdhsa_user_sgpr_dispatch_ptr 0
		.amdhsa_user_sgpr_queue_ptr 0
		.amdhsa_user_sgpr_kernarg_segment_ptr 1
		.amdhsa_user_sgpr_dispatch_id 0
		.amdhsa_user_sgpr_kernarg_preload_length 0
		.amdhsa_user_sgpr_kernarg_preload_offset 0
		.amdhsa_user_sgpr_private_segment_size 0
		.amdhsa_wavefront_size32 1
		.amdhsa_uses_dynamic_stack 0
		.amdhsa_enable_private_segment 0
		.amdhsa_system_sgpr_workgroup_id_x 1
		.amdhsa_system_sgpr_workgroup_id_y 0
		.amdhsa_system_sgpr_workgroup_id_z 0
		.amdhsa_system_sgpr_workgroup_info 0
		.amdhsa_system_vgpr_workitem_id 0
		.amdhsa_next_free_vgpr 1
		.amdhsa_next_free_sgpr 1
		.amdhsa_named_barrier_count 0
		.amdhsa_reserve_vcc 0
		.amdhsa_float_round_mode_32 0
		.amdhsa_float_round_mode_16_64 0
		.amdhsa_float_denorm_mode_32 3
		.amdhsa_float_denorm_mode_16_64 3
		.amdhsa_fp16_overflow 0
		.amdhsa_memory_ordered 1
		.amdhsa_forward_progress 1
		.amdhsa_inst_pref_size 0
		.amdhsa_round_robin_scheduling 0
		.amdhsa_exception_fp_ieee_invalid_op 0
		.amdhsa_exception_fp_denorm_src 0
		.amdhsa_exception_fp_ieee_div_zero 0
		.amdhsa_exception_fp_ieee_overflow 0
		.amdhsa_exception_fp_ieee_underflow 0
		.amdhsa_exception_fp_ieee_inexact 0
		.amdhsa_exception_int_div_zero 0
	.end_amdhsa_kernel
	.section	.text._ZN7rocprim17ROCPRIM_400000_NS6detail17trampoline_kernelINS0_14default_configENS1_36segmented_radix_sort_config_selectorI12hip_bfloat16lEEZNS1_25segmented_radix_sort_implIS3_Lb1EPKS5_PS5_PKlPlN2at6native12_GLOBAL__N_18offset_tEEE10hipError_tPvRmT1_PNSt15iterator_traitsISL_E10value_typeET2_T3_PNSM_ISR_E10value_typeET4_jRbjT5_SX_jjP12ihipStream_tbEUlT_E0_NS1_11comp_targetILNS1_3genE10ELNS1_11target_archE1200ELNS1_3gpuE4ELNS1_3repE0EEENS1_60segmented_radix_sort_warp_sort_medium_config_static_selectorELNS0_4arch9wavefront6targetE0EEEvSL_,"axG",@progbits,_ZN7rocprim17ROCPRIM_400000_NS6detail17trampoline_kernelINS0_14default_configENS1_36segmented_radix_sort_config_selectorI12hip_bfloat16lEEZNS1_25segmented_radix_sort_implIS3_Lb1EPKS5_PS5_PKlPlN2at6native12_GLOBAL__N_18offset_tEEE10hipError_tPvRmT1_PNSt15iterator_traitsISL_E10value_typeET2_T3_PNSM_ISR_E10value_typeET4_jRbjT5_SX_jjP12ihipStream_tbEUlT_E0_NS1_11comp_targetILNS1_3genE10ELNS1_11target_archE1200ELNS1_3gpuE4ELNS1_3repE0EEENS1_60segmented_radix_sort_warp_sort_medium_config_static_selectorELNS0_4arch9wavefront6targetE0EEEvSL_,comdat
.Lfunc_end1953:
	.size	_ZN7rocprim17ROCPRIM_400000_NS6detail17trampoline_kernelINS0_14default_configENS1_36segmented_radix_sort_config_selectorI12hip_bfloat16lEEZNS1_25segmented_radix_sort_implIS3_Lb1EPKS5_PS5_PKlPlN2at6native12_GLOBAL__N_18offset_tEEE10hipError_tPvRmT1_PNSt15iterator_traitsISL_E10value_typeET2_T3_PNSM_ISR_E10value_typeET4_jRbjT5_SX_jjP12ihipStream_tbEUlT_E0_NS1_11comp_targetILNS1_3genE10ELNS1_11target_archE1200ELNS1_3gpuE4ELNS1_3repE0EEENS1_60segmented_radix_sort_warp_sort_medium_config_static_selectorELNS0_4arch9wavefront6targetE0EEEvSL_, .Lfunc_end1953-_ZN7rocprim17ROCPRIM_400000_NS6detail17trampoline_kernelINS0_14default_configENS1_36segmented_radix_sort_config_selectorI12hip_bfloat16lEEZNS1_25segmented_radix_sort_implIS3_Lb1EPKS5_PS5_PKlPlN2at6native12_GLOBAL__N_18offset_tEEE10hipError_tPvRmT1_PNSt15iterator_traitsISL_E10value_typeET2_T3_PNSM_ISR_E10value_typeET4_jRbjT5_SX_jjP12ihipStream_tbEUlT_E0_NS1_11comp_targetILNS1_3genE10ELNS1_11target_archE1200ELNS1_3gpuE4ELNS1_3repE0EEENS1_60segmented_radix_sort_warp_sort_medium_config_static_selectorELNS0_4arch9wavefront6targetE0EEEvSL_
                                        ; -- End function
	.set _ZN7rocprim17ROCPRIM_400000_NS6detail17trampoline_kernelINS0_14default_configENS1_36segmented_radix_sort_config_selectorI12hip_bfloat16lEEZNS1_25segmented_radix_sort_implIS3_Lb1EPKS5_PS5_PKlPlN2at6native12_GLOBAL__N_18offset_tEEE10hipError_tPvRmT1_PNSt15iterator_traitsISL_E10value_typeET2_T3_PNSM_ISR_E10value_typeET4_jRbjT5_SX_jjP12ihipStream_tbEUlT_E0_NS1_11comp_targetILNS1_3genE10ELNS1_11target_archE1200ELNS1_3gpuE4ELNS1_3repE0EEENS1_60segmented_radix_sort_warp_sort_medium_config_static_selectorELNS0_4arch9wavefront6targetE0EEEvSL_.num_vgpr, 0
	.set _ZN7rocprim17ROCPRIM_400000_NS6detail17trampoline_kernelINS0_14default_configENS1_36segmented_radix_sort_config_selectorI12hip_bfloat16lEEZNS1_25segmented_radix_sort_implIS3_Lb1EPKS5_PS5_PKlPlN2at6native12_GLOBAL__N_18offset_tEEE10hipError_tPvRmT1_PNSt15iterator_traitsISL_E10value_typeET2_T3_PNSM_ISR_E10value_typeET4_jRbjT5_SX_jjP12ihipStream_tbEUlT_E0_NS1_11comp_targetILNS1_3genE10ELNS1_11target_archE1200ELNS1_3gpuE4ELNS1_3repE0EEENS1_60segmented_radix_sort_warp_sort_medium_config_static_selectorELNS0_4arch9wavefront6targetE0EEEvSL_.num_agpr, 0
	.set _ZN7rocprim17ROCPRIM_400000_NS6detail17trampoline_kernelINS0_14default_configENS1_36segmented_radix_sort_config_selectorI12hip_bfloat16lEEZNS1_25segmented_radix_sort_implIS3_Lb1EPKS5_PS5_PKlPlN2at6native12_GLOBAL__N_18offset_tEEE10hipError_tPvRmT1_PNSt15iterator_traitsISL_E10value_typeET2_T3_PNSM_ISR_E10value_typeET4_jRbjT5_SX_jjP12ihipStream_tbEUlT_E0_NS1_11comp_targetILNS1_3genE10ELNS1_11target_archE1200ELNS1_3gpuE4ELNS1_3repE0EEENS1_60segmented_radix_sort_warp_sort_medium_config_static_selectorELNS0_4arch9wavefront6targetE0EEEvSL_.numbered_sgpr, 0
	.set _ZN7rocprim17ROCPRIM_400000_NS6detail17trampoline_kernelINS0_14default_configENS1_36segmented_radix_sort_config_selectorI12hip_bfloat16lEEZNS1_25segmented_radix_sort_implIS3_Lb1EPKS5_PS5_PKlPlN2at6native12_GLOBAL__N_18offset_tEEE10hipError_tPvRmT1_PNSt15iterator_traitsISL_E10value_typeET2_T3_PNSM_ISR_E10value_typeET4_jRbjT5_SX_jjP12ihipStream_tbEUlT_E0_NS1_11comp_targetILNS1_3genE10ELNS1_11target_archE1200ELNS1_3gpuE4ELNS1_3repE0EEENS1_60segmented_radix_sort_warp_sort_medium_config_static_selectorELNS0_4arch9wavefront6targetE0EEEvSL_.num_named_barrier, 0
	.set _ZN7rocprim17ROCPRIM_400000_NS6detail17trampoline_kernelINS0_14default_configENS1_36segmented_radix_sort_config_selectorI12hip_bfloat16lEEZNS1_25segmented_radix_sort_implIS3_Lb1EPKS5_PS5_PKlPlN2at6native12_GLOBAL__N_18offset_tEEE10hipError_tPvRmT1_PNSt15iterator_traitsISL_E10value_typeET2_T3_PNSM_ISR_E10value_typeET4_jRbjT5_SX_jjP12ihipStream_tbEUlT_E0_NS1_11comp_targetILNS1_3genE10ELNS1_11target_archE1200ELNS1_3gpuE4ELNS1_3repE0EEENS1_60segmented_radix_sort_warp_sort_medium_config_static_selectorELNS0_4arch9wavefront6targetE0EEEvSL_.private_seg_size, 0
	.set _ZN7rocprim17ROCPRIM_400000_NS6detail17trampoline_kernelINS0_14default_configENS1_36segmented_radix_sort_config_selectorI12hip_bfloat16lEEZNS1_25segmented_radix_sort_implIS3_Lb1EPKS5_PS5_PKlPlN2at6native12_GLOBAL__N_18offset_tEEE10hipError_tPvRmT1_PNSt15iterator_traitsISL_E10value_typeET2_T3_PNSM_ISR_E10value_typeET4_jRbjT5_SX_jjP12ihipStream_tbEUlT_E0_NS1_11comp_targetILNS1_3genE10ELNS1_11target_archE1200ELNS1_3gpuE4ELNS1_3repE0EEENS1_60segmented_radix_sort_warp_sort_medium_config_static_selectorELNS0_4arch9wavefront6targetE0EEEvSL_.uses_vcc, 0
	.set _ZN7rocprim17ROCPRIM_400000_NS6detail17trampoline_kernelINS0_14default_configENS1_36segmented_radix_sort_config_selectorI12hip_bfloat16lEEZNS1_25segmented_radix_sort_implIS3_Lb1EPKS5_PS5_PKlPlN2at6native12_GLOBAL__N_18offset_tEEE10hipError_tPvRmT1_PNSt15iterator_traitsISL_E10value_typeET2_T3_PNSM_ISR_E10value_typeET4_jRbjT5_SX_jjP12ihipStream_tbEUlT_E0_NS1_11comp_targetILNS1_3genE10ELNS1_11target_archE1200ELNS1_3gpuE4ELNS1_3repE0EEENS1_60segmented_radix_sort_warp_sort_medium_config_static_selectorELNS0_4arch9wavefront6targetE0EEEvSL_.uses_flat_scratch, 0
	.set _ZN7rocprim17ROCPRIM_400000_NS6detail17trampoline_kernelINS0_14default_configENS1_36segmented_radix_sort_config_selectorI12hip_bfloat16lEEZNS1_25segmented_radix_sort_implIS3_Lb1EPKS5_PS5_PKlPlN2at6native12_GLOBAL__N_18offset_tEEE10hipError_tPvRmT1_PNSt15iterator_traitsISL_E10value_typeET2_T3_PNSM_ISR_E10value_typeET4_jRbjT5_SX_jjP12ihipStream_tbEUlT_E0_NS1_11comp_targetILNS1_3genE10ELNS1_11target_archE1200ELNS1_3gpuE4ELNS1_3repE0EEENS1_60segmented_radix_sort_warp_sort_medium_config_static_selectorELNS0_4arch9wavefront6targetE0EEEvSL_.has_dyn_sized_stack, 0
	.set _ZN7rocprim17ROCPRIM_400000_NS6detail17trampoline_kernelINS0_14default_configENS1_36segmented_radix_sort_config_selectorI12hip_bfloat16lEEZNS1_25segmented_radix_sort_implIS3_Lb1EPKS5_PS5_PKlPlN2at6native12_GLOBAL__N_18offset_tEEE10hipError_tPvRmT1_PNSt15iterator_traitsISL_E10value_typeET2_T3_PNSM_ISR_E10value_typeET4_jRbjT5_SX_jjP12ihipStream_tbEUlT_E0_NS1_11comp_targetILNS1_3genE10ELNS1_11target_archE1200ELNS1_3gpuE4ELNS1_3repE0EEENS1_60segmented_radix_sort_warp_sort_medium_config_static_selectorELNS0_4arch9wavefront6targetE0EEEvSL_.has_recursion, 0
	.set _ZN7rocprim17ROCPRIM_400000_NS6detail17trampoline_kernelINS0_14default_configENS1_36segmented_radix_sort_config_selectorI12hip_bfloat16lEEZNS1_25segmented_radix_sort_implIS3_Lb1EPKS5_PS5_PKlPlN2at6native12_GLOBAL__N_18offset_tEEE10hipError_tPvRmT1_PNSt15iterator_traitsISL_E10value_typeET2_T3_PNSM_ISR_E10value_typeET4_jRbjT5_SX_jjP12ihipStream_tbEUlT_E0_NS1_11comp_targetILNS1_3genE10ELNS1_11target_archE1200ELNS1_3gpuE4ELNS1_3repE0EEENS1_60segmented_radix_sort_warp_sort_medium_config_static_selectorELNS0_4arch9wavefront6targetE0EEEvSL_.has_indirect_call, 0
	.section	.AMDGPU.csdata,"",@progbits
; Kernel info:
; codeLenInByte = 0
; TotalNumSgprs: 0
; NumVgprs: 0
; ScratchSize: 0
; MemoryBound: 0
; FloatMode: 240
; IeeeMode: 1
; LDSByteSize: 0 bytes/workgroup (compile time only)
; SGPRBlocks: 0
; VGPRBlocks: 0
; NumSGPRsForWavesPerEU: 1
; NumVGPRsForWavesPerEU: 1
; NamedBarCnt: 0
; Occupancy: 16
; WaveLimiterHint : 0
; COMPUTE_PGM_RSRC2:SCRATCH_EN: 0
; COMPUTE_PGM_RSRC2:USER_SGPR: 2
; COMPUTE_PGM_RSRC2:TRAP_HANDLER: 0
; COMPUTE_PGM_RSRC2:TGID_X_EN: 1
; COMPUTE_PGM_RSRC2:TGID_Y_EN: 0
; COMPUTE_PGM_RSRC2:TGID_Z_EN: 0
; COMPUTE_PGM_RSRC2:TIDIG_COMP_CNT: 0
	.section	.text._ZN7rocprim17ROCPRIM_400000_NS6detail17trampoline_kernelINS0_14default_configENS1_36segmented_radix_sort_config_selectorI12hip_bfloat16lEEZNS1_25segmented_radix_sort_implIS3_Lb1EPKS5_PS5_PKlPlN2at6native12_GLOBAL__N_18offset_tEEE10hipError_tPvRmT1_PNSt15iterator_traitsISL_E10value_typeET2_T3_PNSM_ISR_E10value_typeET4_jRbjT5_SX_jjP12ihipStream_tbEUlT_E0_NS1_11comp_targetILNS1_3genE9ELNS1_11target_archE1100ELNS1_3gpuE3ELNS1_3repE0EEENS1_60segmented_radix_sort_warp_sort_medium_config_static_selectorELNS0_4arch9wavefront6targetE0EEEvSL_,"axG",@progbits,_ZN7rocprim17ROCPRIM_400000_NS6detail17trampoline_kernelINS0_14default_configENS1_36segmented_radix_sort_config_selectorI12hip_bfloat16lEEZNS1_25segmented_radix_sort_implIS3_Lb1EPKS5_PS5_PKlPlN2at6native12_GLOBAL__N_18offset_tEEE10hipError_tPvRmT1_PNSt15iterator_traitsISL_E10value_typeET2_T3_PNSM_ISR_E10value_typeET4_jRbjT5_SX_jjP12ihipStream_tbEUlT_E0_NS1_11comp_targetILNS1_3genE9ELNS1_11target_archE1100ELNS1_3gpuE3ELNS1_3repE0EEENS1_60segmented_radix_sort_warp_sort_medium_config_static_selectorELNS0_4arch9wavefront6targetE0EEEvSL_,comdat
	.globl	_ZN7rocprim17ROCPRIM_400000_NS6detail17trampoline_kernelINS0_14default_configENS1_36segmented_radix_sort_config_selectorI12hip_bfloat16lEEZNS1_25segmented_radix_sort_implIS3_Lb1EPKS5_PS5_PKlPlN2at6native12_GLOBAL__N_18offset_tEEE10hipError_tPvRmT1_PNSt15iterator_traitsISL_E10value_typeET2_T3_PNSM_ISR_E10value_typeET4_jRbjT5_SX_jjP12ihipStream_tbEUlT_E0_NS1_11comp_targetILNS1_3genE9ELNS1_11target_archE1100ELNS1_3gpuE3ELNS1_3repE0EEENS1_60segmented_radix_sort_warp_sort_medium_config_static_selectorELNS0_4arch9wavefront6targetE0EEEvSL_ ; -- Begin function _ZN7rocprim17ROCPRIM_400000_NS6detail17trampoline_kernelINS0_14default_configENS1_36segmented_radix_sort_config_selectorI12hip_bfloat16lEEZNS1_25segmented_radix_sort_implIS3_Lb1EPKS5_PS5_PKlPlN2at6native12_GLOBAL__N_18offset_tEEE10hipError_tPvRmT1_PNSt15iterator_traitsISL_E10value_typeET2_T3_PNSM_ISR_E10value_typeET4_jRbjT5_SX_jjP12ihipStream_tbEUlT_E0_NS1_11comp_targetILNS1_3genE9ELNS1_11target_archE1100ELNS1_3gpuE3ELNS1_3repE0EEENS1_60segmented_radix_sort_warp_sort_medium_config_static_selectorELNS0_4arch9wavefront6targetE0EEEvSL_
	.p2align	8
	.type	_ZN7rocprim17ROCPRIM_400000_NS6detail17trampoline_kernelINS0_14default_configENS1_36segmented_radix_sort_config_selectorI12hip_bfloat16lEEZNS1_25segmented_radix_sort_implIS3_Lb1EPKS5_PS5_PKlPlN2at6native12_GLOBAL__N_18offset_tEEE10hipError_tPvRmT1_PNSt15iterator_traitsISL_E10value_typeET2_T3_PNSM_ISR_E10value_typeET4_jRbjT5_SX_jjP12ihipStream_tbEUlT_E0_NS1_11comp_targetILNS1_3genE9ELNS1_11target_archE1100ELNS1_3gpuE3ELNS1_3repE0EEENS1_60segmented_radix_sort_warp_sort_medium_config_static_selectorELNS0_4arch9wavefront6targetE0EEEvSL_,@function
_ZN7rocprim17ROCPRIM_400000_NS6detail17trampoline_kernelINS0_14default_configENS1_36segmented_radix_sort_config_selectorI12hip_bfloat16lEEZNS1_25segmented_radix_sort_implIS3_Lb1EPKS5_PS5_PKlPlN2at6native12_GLOBAL__N_18offset_tEEE10hipError_tPvRmT1_PNSt15iterator_traitsISL_E10value_typeET2_T3_PNSM_ISR_E10value_typeET4_jRbjT5_SX_jjP12ihipStream_tbEUlT_E0_NS1_11comp_targetILNS1_3genE9ELNS1_11target_archE1100ELNS1_3gpuE3ELNS1_3repE0EEENS1_60segmented_radix_sort_warp_sort_medium_config_static_selectorELNS0_4arch9wavefront6targetE0EEEvSL_: ; @_ZN7rocprim17ROCPRIM_400000_NS6detail17trampoline_kernelINS0_14default_configENS1_36segmented_radix_sort_config_selectorI12hip_bfloat16lEEZNS1_25segmented_radix_sort_implIS3_Lb1EPKS5_PS5_PKlPlN2at6native12_GLOBAL__N_18offset_tEEE10hipError_tPvRmT1_PNSt15iterator_traitsISL_E10value_typeET2_T3_PNSM_ISR_E10value_typeET4_jRbjT5_SX_jjP12ihipStream_tbEUlT_E0_NS1_11comp_targetILNS1_3genE9ELNS1_11target_archE1100ELNS1_3gpuE3ELNS1_3repE0EEENS1_60segmented_radix_sort_warp_sort_medium_config_static_selectorELNS0_4arch9wavefront6targetE0EEEvSL_
; %bb.0:
	.section	.rodata,"a",@progbits
	.p2align	6, 0x0
	.amdhsa_kernel _ZN7rocprim17ROCPRIM_400000_NS6detail17trampoline_kernelINS0_14default_configENS1_36segmented_radix_sort_config_selectorI12hip_bfloat16lEEZNS1_25segmented_radix_sort_implIS3_Lb1EPKS5_PS5_PKlPlN2at6native12_GLOBAL__N_18offset_tEEE10hipError_tPvRmT1_PNSt15iterator_traitsISL_E10value_typeET2_T3_PNSM_ISR_E10value_typeET4_jRbjT5_SX_jjP12ihipStream_tbEUlT_E0_NS1_11comp_targetILNS1_3genE9ELNS1_11target_archE1100ELNS1_3gpuE3ELNS1_3repE0EEENS1_60segmented_radix_sort_warp_sort_medium_config_static_selectorELNS0_4arch9wavefront6targetE0EEEvSL_
		.amdhsa_group_segment_fixed_size 0
		.amdhsa_private_segment_fixed_size 0
		.amdhsa_kernarg_size 88
		.amdhsa_user_sgpr_count 2
		.amdhsa_user_sgpr_dispatch_ptr 0
		.amdhsa_user_sgpr_queue_ptr 0
		.amdhsa_user_sgpr_kernarg_segment_ptr 1
		.amdhsa_user_sgpr_dispatch_id 0
		.amdhsa_user_sgpr_kernarg_preload_length 0
		.amdhsa_user_sgpr_kernarg_preload_offset 0
		.amdhsa_user_sgpr_private_segment_size 0
		.amdhsa_wavefront_size32 1
		.amdhsa_uses_dynamic_stack 0
		.amdhsa_enable_private_segment 0
		.amdhsa_system_sgpr_workgroup_id_x 1
		.amdhsa_system_sgpr_workgroup_id_y 0
		.amdhsa_system_sgpr_workgroup_id_z 0
		.amdhsa_system_sgpr_workgroup_info 0
		.amdhsa_system_vgpr_workitem_id 0
		.amdhsa_next_free_vgpr 1
		.amdhsa_next_free_sgpr 1
		.amdhsa_named_barrier_count 0
		.amdhsa_reserve_vcc 0
		.amdhsa_float_round_mode_32 0
		.amdhsa_float_round_mode_16_64 0
		.amdhsa_float_denorm_mode_32 3
		.amdhsa_float_denorm_mode_16_64 3
		.amdhsa_fp16_overflow 0
		.amdhsa_memory_ordered 1
		.amdhsa_forward_progress 1
		.amdhsa_inst_pref_size 0
		.amdhsa_round_robin_scheduling 0
		.amdhsa_exception_fp_ieee_invalid_op 0
		.amdhsa_exception_fp_denorm_src 0
		.amdhsa_exception_fp_ieee_div_zero 0
		.amdhsa_exception_fp_ieee_overflow 0
		.amdhsa_exception_fp_ieee_underflow 0
		.amdhsa_exception_fp_ieee_inexact 0
		.amdhsa_exception_int_div_zero 0
	.end_amdhsa_kernel
	.section	.text._ZN7rocprim17ROCPRIM_400000_NS6detail17trampoline_kernelINS0_14default_configENS1_36segmented_radix_sort_config_selectorI12hip_bfloat16lEEZNS1_25segmented_radix_sort_implIS3_Lb1EPKS5_PS5_PKlPlN2at6native12_GLOBAL__N_18offset_tEEE10hipError_tPvRmT1_PNSt15iterator_traitsISL_E10value_typeET2_T3_PNSM_ISR_E10value_typeET4_jRbjT5_SX_jjP12ihipStream_tbEUlT_E0_NS1_11comp_targetILNS1_3genE9ELNS1_11target_archE1100ELNS1_3gpuE3ELNS1_3repE0EEENS1_60segmented_radix_sort_warp_sort_medium_config_static_selectorELNS0_4arch9wavefront6targetE0EEEvSL_,"axG",@progbits,_ZN7rocprim17ROCPRIM_400000_NS6detail17trampoline_kernelINS0_14default_configENS1_36segmented_radix_sort_config_selectorI12hip_bfloat16lEEZNS1_25segmented_radix_sort_implIS3_Lb1EPKS5_PS5_PKlPlN2at6native12_GLOBAL__N_18offset_tEEE10hipError_tPvRmT1_PNSt15iterator_traitsISL_E10value_typeET2_T3_PNSM_ISR_E10value_typeET4_jRbjT5_SX_jjP12ihipStream_tbEUlT_E0_NS1_11comp_targetILNS1_3genE9ELNS1_11target_archE1100ELNS1_3gpuE3ELNS1_3repE0EEENS1_60segmented_radix_sort_warp_sort_medium_config_static_selectorELNS0_4arch9wavefront6targetE0EEEvSL_,comdat
.Lfunc_end1954:
	.size	_ZN7rocprim17ROCPRIM_400000_NS6detail17trampoline_kernelINS0_14default_configENS1_36segmented_radix_sort_config_selectorI12hip_bfloat16lEEZNS1_25segmented_radix_sort_implIS3_Lb1EPKS5_PS5_PKlPlN2at6native12_GLOBAL__N_18offset_tEEE10hipError_tPvRmT1_PNSt15iterator_traitsISL_E10value_typeET2_T3_PNSM_ISR_E10value_typeET4_jRbjT5_SX_jjP12ihipStream_tbEUlT_E0_NS1_11comp_targetILNS1_3genE9ELNS1_11target_archE1100ELNS1_3gpuE3ELNS1_3repE0EEENS1_60segmented_radix_sort_warp_sort_medium_config_static_selectorELNS0_4arch9wavefront6targetE0EEEvSL_, .Lfunc_end1954-_ZN7rocprim17ROCPRIM_400000_NS6detail17trampoline_kernelINS0_14default_configENS1_36segmented_radix_sort_config_selectorI12hip_bfloat16lEEZNS1_25segmented_radix_sort_implIS3_Lb1EPKS5_PS5_PKlPlN2at6native12_GLOBAL__N_18offset_tEEE10hipError_tPvRmT1_PNSt15iterator_traitsISL_E10value_typeET2_T3_PNSM_ISR_E10value_typeET4_jRbjT5_SX_jjP12ihipStream_tbEUlT_E0_NS1_11comp_targetILNS1_3genE9ELNS1_11target_archE1100ELNS1_3gpuE3ELNS1_3repE0EEENS1_60segmented_radix_sort_warp_sort_medium_config_static_selectorELNS0_4arch9wavefront6targetE0EEEvSL_
                                        ; -- End function
	.set _ZN7rocprim17ROCPRIM_400000_NS6detail17trampoline_kernelINS0_14default_configENS1_36segmented_radix_sort_config_selectorI12hip_bfloat16lEEZNS1_25segmented_radix_sort_implIS3_Lb1EPKS5_PS5_PKlPlN2at6native12_GLOBAL__N_18offset_tEEE10hipError_tPvRmT1_PNSt15iterator_traitsISL_E10value_typeET2_T3_PNSM_ISR_E10value_typeET4_jRbjT5_SX_jjP12ihipStream_tbEUlT_E0_NS1_11comp_targetILNS1_3genE9ELNS1_11target_archE1100ELNS1_3gpuE3ELNS1_3repE0EEENS1_60segmented_radix_sort_warp_sort_medium_config_static_selectorELNS0_4arch9wavefront6targetE0EEEvSL_.num_vgpr, 0
	.set _ZN7rocprim17ROCPRIM_400000_NS6detail17trampoline_kernelINS0_14default_configENS1_36segmented_radix_sort_config_selectorI12hip_bfloat16lEEZNS1_25segmented_radix_sort_implIS3_Lb1EPKS5_PS5_PKlPlN2at6native12_GLOBAL__N_18offset_tEEE10hipError_tPvRmT1_PNSt15iterator_traitsISL_E10value_typeET2_T3_PNSM_ISR_E10value_typeET4_jRbjT5_SX_jjP12ihipStream_tbEUlT_E0_NS1_11comp_targetILNS1_3genE9ELNS1_11target_archE1100ELNS1_3gpuE3ELNS1_3repE0EEENS1_60segmented_radix_sort_warp_sort_medium_config_static_selectorELNS0_4arch9wavefront6targetE0EEEvSL_.num_agpr, 0
	.set _ZN7rocprim17ROCPRIM_400000_NS6detail17trampoline_kernelINS0_14default_configENS1_36segmented_radix_sort_config_selectorI12hip_bfloat16lEEZNS1_25segmented_radix_sort_implIS3_Lb1EPKS5_PS5_PKlPlN2at6native12_GLOBAL__N_18offset_tEEE10hipError_tPvRmT1_PNSt15iterator_traitsISL_E10value_typeET2_T3_PNSM_ISR_E10value_typeET4_jRbjT5_SX_jjP12ihipStream_tbEUlT_E0_NS1_11comp_targetILNS1_3genE9ELNS1_11target_archE1100ELNS1_3gpuE3ELNS1_3repE0EEENS1_60segmented_radix_sort_warp_sort_medium_config_static_selectorELNS0_4arch9wavefront6targetE0EEEvSL_.numbered_sgpr, 0
	.set _ZN7rocprim17ROCPRIM_400000_NS6detail17trampoline_kernelINS0_14default_configENS1_36segmented_radix_sort_config_selectorI12hip_bfloat16lEEZNS1_25segmented_radix_sort_implIS3_Lb1EPKS5_PS5_PKlPlN2at6native12_GLOBAL__N_18offset_tEEE10hipError_tPvRmT1_PNSt15iterator_traitsISL_E10value_typeET2_T3_PNSM_ISR_E10value_typeET4_jRbjT5_SX_jjP12ihipStream_tbEUlT_E0_NS1_11comp_targetILNS1_3genE9ELNS1_11target_archE1100ELNS1_3gpuE3ELNS1_3repE0EEENS1_60segmented_radix_sort_warp_sort_medium_config_static_selectorELNS0_4arch9wavefront6targetE0EEEvSL_.num_named_barrier, 0
	.set _ZN7rocprim17ROCPRIM_400000_NS6detail17trampoline_kernelINS0_14default_configENS1_36segmented_radix_sort_config_selectorI12hip_bfloat16lEEZNS1_25segmented_radix_sort_implIS3_Lb1EPKS5_PS5_PKlPlN2at6native12_GLOBAL__N_18offset_tEEE10hipError_tPvRmT1_PNSt15iterator_traitsISL_E10value_typeET2_T3_PNSM_ISR_E10value_typeET4_jRbjT5_SX_jjP12ihipStream_tbEUlT_E0_NS1_11comp_targetILNS1_3genE9ELNS1_11target_archE1100ELNS1_3gpuE3ELNS1_3repE0EEENS1_60segmented_radix_sort_warp_sort_medium_config_static_selectorELNS0_4arch9wavefront6targetE0EEEvSL_.private_seg_size, 0
	.set _ZN7rocprim17ROCPRIM_400000_NS6detail17trampoline_kernelINS0_14default_configENS1_36segmented_radix_sort_config_selectorI12hip_bfloat16lEEZNS1_25segmented_radix_sort_implIS3_Lb1EPKS5_PS5_PKlPlN2at6native12_GLOBAL__N_18offset_tEEE10hipError_tPvRmT1_PNSt15iterator_traitsISL_E10value_typeET2_T3_PNSM_ISR_E10value_typeET4_jRbjT5_SX_jjP12ihipStream_tbEUlT_E0_NS1_11comp_targetILNS1_3genE9ELNS1_11target_archE1100ELNS1_3gpuE3ELNS1_3repE0EEENS1_60segmented_radix_sort_warp_sort_medium_config_static_selectorELNS0_4arch9wavefront6targetE0EEEvSL_.uses_vcc, 0
	.set _ZN7rocprim17ROCPRIM_400000_NS6detail17trampoline_kernelINS0_14default_configENS1_36segmented_radix_sort_config_selectorI12hip_bfloat16lEEZNS1_25segmented_radix_sort_implIS3_Lb1EPKS5_PS5_PKlPlN2at6native12_GLOBAL__N_18offset_tEEE10hipError_tPvRmT1_PNSt15iterator_traitsISL_E10value_typeET2_T3_PNSM_ISR_E10value_typeET4_jRbjT5_SX_jjP12ihipStream_tbEUlT_E0_NS1_11comp_targetILNS1_3genE9ELNS1_11target_archE1100ELNS1_3gpuE3ELNS1_3repE0EEENS1_60segmented_radix_sort_warp_sort_medium_config_static_selectorELNS0_4arch9wavefront6targetE0EEEvSL_.uses_flat_scratch, 0
	.set _ZN7rocprim17ROCPRIM_400000_NS6detail17trampoline_kernelINS0_14default_configENS1_36segmented_radix_sort_config_selectorI12hip_bfloat16lEEZNS1_25segmented_radix_sort_implIS3_Lb1EPKS5_PS5_PKlPlN2at6native12_GLOBAL__N_18offset_tEEE10hipError_tPvRmT1_PNSt15iterator_traitsISL_E10value_typeET2_T3_PNSM_ISR_E10value_typeET4_jRbjT5_SX_jjP12ihipStream_tbEUlT_E0_NS1_11comp_targetILNS1_3genE9ELNS1_11target_archE1100ELNS1_3gpuE3ELNS1_3repE0EEENS1_60segmented_radix_sort_warp_sort_medium_config_static_selectorELNS0_4arch9wavefront6targetE0EEEvSL_.has_dyn_sized_stack, 0
	.set _ZN7rocprim17ROCPRIM_400000_NS6detail17trampoline_kernelINS0_14default_configENS1_36segmented_radix_sort_config_selectorI12hip_bfloat16lEEZNS1_25segmented_radix_sort_implIS3_Lb1EPKS5_PS5_PKlPlN2at6native12_GLOBAL__N_18offset_tEEE10hipError_tPvRmT1_PNSt15iterator_traitsISL_E10value_typeET2_T3_PNSM_ISR_E10value_typeET4_jRbjT5_SX_jjP12ihipStream_tbEUlT_E0_NS1_11comp_targetILNS1_3genE9ELNS1_11target_archE1100ELNS1_3gpuE3ELNS1_3repE0EEENS1_60segmented_radix_sort_warp_sort_medium_config_static_selectorELNS0_4arch9wavefront6targetE0EEEvSL_.has_recursion, 0
	.set _ZN7rocprim17ROCPRIM_400000_NS6detail17trampoline_kernelINS0_14default_configENS1_36segmented_radix_sort_config_selectorI12hip_bfloat16lEEZNS1_25segmented_radix_sort_implIS3_Lb1EPKS5_PS5_PKlPlN2at6native12_GLOBAL__N_18offset_tEEE10hipError_tPvRmT1_PNSt15iterator_traitsISL_E10value_typeET2_T3_PNSM_ISR_E10value_typeET4_jRbjT5_SX_jjP12ihipStream_tbEUlT_E0_NS1_11comp_targetILNS1_3genE9ELNS1_11target_archE1100ELNS1_3gpuE3ELNS1_3repE0EEENS1_60segmented_radix_sort_warp_sort_medium_config_static_selectorELNS0_4arch9wavefront6targetE0EEEvSL_.has_indirect_call, 0
	.section	.AMDGPU.csdata,"",@progbits
; Kernel info:
; codeLenInByte = 0
; TotalNumSgprs: 0
; NumVgprs: 0
; ScratchSize: 0
; MemoryBound: 0
; FloatMode: 240
; IeeeMode: 1
; LDSByteSize: 0 bytes/workgroup (compile time only)
; SGPRBlocks: 0
; VGPRBlocks: 0
; NumSGPRsForWavesPerEU: 1
; NumVGPRsForWavesPerEU: 1
; NamedBarCnt: 0
; Occupancy: 16
; WaveLimiterHint : 0
; COMPUTE_PGM_RSRC2:SCRATCH_EN: 0
; COMPUTE_PGM_RSRC2:USER_SGPR: 2
; COMPUTE_PGM_RSRC2:TRAP_HANDLER: 0
; COMPUTE_PGM_RSRC2:TGID_X_EN: 1
; COMPUTE_PGM_RSRC2:TGID_Y_EN: 0
; COMPUTE_PGM_RSRC2:TGID_Z_EN: 0
; COMPUTE_PGM_RSRC2:TIDIG_COMP_CNT: 0
	.section	.text._ZN7rocprim17ROCPRIM_400000_NS6detail17trampoline_kernelINS0_14default_configENS1_36segmented_radix_sort_config_selectorI12hip_bfloat16lEEZNS1_25segmented_radix_sort_implIS3_Lb1EPKS5_PS5_PKlPlN2at6native12_GLOBAL__N_18offset_tEEE10hipError_tPvRmT1_PNSt15iterator_traitsISL_E10value_typeET2_T3_PNSM_ISR_E10value_typeET4_jRbjT5_SX_jjP12ihipStream_tbEUlT_E0_NS1_11comp_targetILNS1_3genE8ELNS1_11target_archE1030ELNS1_3gpuE2ELNS1_3repE0EEENS1_60segmented_radix_sort_warp_sort_medium_config_static_selectorELNS0_4arch9wavefront6targetE0EEEvSL_,"axG",@progbits,_ZN7rocprim17ROCPRIM_400000_NS6detail17trampoline_kernelINS0_14default_configENS1_36segmented_radix_sort_config_selectorI12hip_bfloat16lEEZNS1_25segmented_radix_sort_implIS3_Lb1EPKS5_PS5_PKlPlN2at6native12_GLOBAL__N_18offset_tEEE10hipError_tPvRmT1_PNSt15iterator_traitsISL_E10value_typeET2_T3_PNSM_ISR_E10value_typeET4_jRbjT5_SX_jjP12ihipStream_tbEUlT_E0_NS1_11comp_targetILNS1_3genE8ELNS1_11target_archE1030ELNS1_3gpuE2ELNS1_3repE0EEENS1_60segmented_radix_sort_warp_sort_medium_config_static_selectorELNS0_4arch9wavefront6targetE0EEEvSL_,comdat
	.globl	_ZN7rocprim17ROCPRIM_400000_NS6detail17trampoline_kernelINS0_14default_configENS1_36segmented_radix_sort_config_selectorI12hip_bfloat16lEEZNS1_25segmented_radix_sort_implIS3_Lb1EPKS5_PS5_PKlPlN2at6native12_GLOBAL__N_18offset_tEEE10hipError_tPvRmT1_PNSt15iterator_traitsISL_E10value_typeET2_T3_PNSM_ISR_E10value_typeET4_jRbjT5_SX_jjP12ihipStream_tbEUlT_E0_NS1_11comp_targetILNS1_3genE8ELNS1_11target_archE1030ELNS1_3gpuE2ELNS1_3repE0EEENS1_60segmented_radix_sort_warp_sort_medium_config_static_selectorELNS0_4arch9wavefront6targetE0EEEvSL_ ; -- Begin function _ZN7rocprim17ROCPRIM_400000_NS6detail17trampoline_kernelINS0_14default_configENS1_36segmented_radix_sort_config_selectorI12hip_bfloat16lEEZNS1_25segmented_radix_sort_implIS3_Lb1EPKS5_PS5_PKlPlN2at6native12_GLOBAL__N_18offset_tEEE10hipError_tPvRmT1_PNSt15iterator_traitsISL_E10value_typeET2_T3_PNSM_ISR_E10value_typeET4_jRbjT5_SX_jjP12ihipStream_tbEUlT_E0_NS1_11comp_targetILNS1_3genE8ELNS1_11target_archE1030ELNS1_3gpuE2ELNS1_3repE0EEENS1_60segmented_radix_sort_warp_sort_medium_config_static_selectorELNS0_4arch9wavefront6targetE0EEEvSL_
	.p2align	8
	.type	_ZN7rocprim17ROCPRIM_400000_NS6detail17trampoline_kernelINS0_14default_configENS1_36segmented_radix_sort_config_selectorI12hip_bfloat16lEEZNS1_25segmented_radix_sort_implIS3_Lb1EPKS5_PS5_PKlPlN2at6native12_GLOBAL__N_18offset_tEEE10hipError_tPvRmT1_PNSt15iterator_traitsISL_E10value_typeET2_T3_PNSM_ISR_E10value_typeET4_jRbjT5_SX_jjP12ihipStream_tbEUlT_E0_NS1_11comp_targetILNS1_3genE8ELNS1_11target_archE1030ELNS1_3gpuE2ELNS1_3repE0EEENS1_60segmented_radix_sort_warp_sort_medium_config_static_selectorELNS0_4arch9wavefront6targetE0EEEvSL_,@function
_ZN7rocprim17ROCPRIM_400000_NS6detail17trampoline_kernelINS0_14default_configENS1_36segmented_radix_sort_config_selectorI12hip_bfloat16lEEZNS1_25segmented_radix_sort_implIS3_Lb1EPKS5_PS5_PKlPlN2at6native12_GLOBAL__N_18offset_tEEE10hipError_tPvRmT1_PNSt15iterator_traitsISL_E10value_typeET2_T3_PNSM_ISR_E10value_typeET4_jRbjT5_SX_jjP12ihipStream_tbEUlT_E0_NS1_11comp_targetILNS1_3genE8ELNS1_11target_archE1030ELNS1_3gpuE2ELNS1_3repE0EEENS1_60segmented_radix_sort_warp_sort_medium_config_static_selectorELNS0_4arch9wavefront6targetE0EEEvSL_: ; @_ZN7rocprim17ROCPRIM_400000_NS6detail17trampoline_kernelINS0_14default_configENS1_36segmented_radix_sort_config_selectorI12hip_bfloat16lEEZNS1_25segmented_radix_sort_implIS3_Lb1EPKS5_PS5_PKlPlN2at6native12_GLOBAL__N_18offset_tEEE10hipError_tPvRmT1_PNSt15iterator_traitsISL_E10value_typeET2_T3_PNSM_ISR_E10value_typeET4_jRbjT5_SX_jjP12ihipStream_tbEUlT_E0_NS1_11comp_targetILNS1_3genE8ELNS1_11target_archE1030ELNS1_3gpuE2ELNS1_3repE0EEENS1_60segmented_radix_sort_warp_sort_medium_config_static_selectorELNS0_4arch9wavefront6targetE0EEEvSL_
; %bb.0:
	.section	.rodata,"a",@progbits
	.p2align	6, 0x0
	.amdhsa_kernel _ZN7rocprim17ROCPRIM_400000_NS6detail17trampoline_kernelINS0_14default_configENS1_36segmented_radix_sort_config_selectorI12hip_bfloat16lEEZNS1_25segmented_radix_sort_implIS3_Lb1EPKS5_PS5_PKlPlN2at6native12_GLOBAL__N_18offset_tEEE10hipError_tPvRmT1_PNSt15iterator_traitsISL_E10value_typeET2_T3_PNSM_ISR_E10value_typeET4_jRbjT5_SX_jjP12ihipStream_tbEUlT_E0_NS1_11comp_targetILNS1_3genE8ELNS1_11target_archE1030ELNS1_3gpuE2ELNS1_3repE0EEENS1_60segmented_radix_sort_warp_sort_medium_config_static_selectorELNS0_4arch9wavefront6targetE0EEEvSL_
		.amdhsa_group_segment_fixed_size 0
		.amdhsa_private_segment_fixed_size 0
		.amdhsa_kernarg_size 88
		.amdhsa_user_sgpr_count 2
		.amdhsa_user_sgpr_dispatch_ptr 0
		.amdhsa_user_sgpr_queue_ptr 0
		.amdhsa_user_sgpr_kernarg_segment_ptr 1
		.amdhsa_user_sgpr_dispatch_id 0
		.amdhsa_user_sgpr_kernarg_preload_length 0
		.amdhsa_user_sgpr_kernarg_preload_offset 0
		.amdhsa_user_sgpr_private_segment_size 0
		.amdhsa_wavefront_size32 1
		.amdhsa_uses_dynamic_stack 0
		.amdhsa_enable_private_segment 0
		.amdhsa_system_sgpr_workgroup_id_x 1
		.amdhsa_system_sgpr_workgroup_id_y 0
		.amdhsa_system_sgpr_workgroup_id_z 0
		.amdhsa_system_sgpr_workgroup_info 0
		.amdhsa_system_vgpr_workitem_id 0
		.amdhsa_next_free_vgpr 1
		.amdhsa_next_free_sgpr 1
		.amdhsa_named_barrier_count 0
		.amdhsa_reserve_vcc 0
		.amdhsa_float_round_mode_32 0
		.amdhsa_float_round_mode_16_64 0
		.amdhsa_float_denorm_mode_32 3
		.amdhsa_float_denorm_mode_16_64 3
		.amdhsa_fp16_overflow 0
		.amdhsa_memory_ordered 1
		.amdhsa_forward_progress 1
		.amdhsa_inst_pref_size 0
		.amdhsa_round_robin_scheduling 0
		.amdhsa_exception_fp_ieee_invalid_op 0
		.amdhsa_exception_fp_denorm_src 0
		.amdhsa_exception_fp_ieee_div_zero 0
		.amdhsa_exception_fp_ieee_overflow 0
		.amdhsa_exception_fp_ieee_underflow 0
		.amdhsa_exception_fp_ieee_inexact 0
		.amdhsa_exception_int_div_zero 0
	.end_amdhsa_kernel
	.section	.text._ZN7rocprim17ROCPRIM_400000_NS6detail17trampoline_kernelINS0_14default_configENS1_36segmented_radix_sort_config_selectorI12hip_bfloat16lEEZNS1_25segmented_radix_sort_implIS3_Lb1EPKS5_PS5_PKlPlN2at6native12_GLOBAL__N_18offset_tEEE10hipError_tPvRmT1_PNSt15iterator_traitsISL_E10value_typeET2_T3_PNSM_ISR_E10value_typeET4_jRbjT5_SX_jjP12ihipStream_tbEUlT_E0_NS1_11comp_targetILNS1_3genE8ELNS1_11target_archE1030ELNS1_3gpuE2ELNS1_3repE0EEENS1_60segmented_radix_sort_warp_sort_medium_config_static_selectorELNS0_4arch9wavefront6targetE0EEEvSL_,"axG",@progbits,_ZN7rocprim17ROCPRIM_400000_NS6detail17trampoline_kernelINS0_14default_configENS1_36segmented_radix_sort_config_selectorI12hip_bfloat16lEEZNS1_25segmented_radix_sort_implIS3_Lb1EPKS5_PS5_PKlPlN2at6native12_GLOBAL__N_18offset_tEEE10hipError_tPvRmT1_PNSt15iterator_traitsISL_E10value_typeET2_T3_PNSM_ISR_E10value_typeET4_jRbjT5_SX_jjP12ihipStream_tbEUlT_E0_NS1_11comp_targetILNS1_3genE8ELNS1_11target_archE1030ELNS1_3gpuE2ELNS1_3repE0EEENS1_60segmented_radix_sort_warp_sort_medium_config_static_selectorELNS0_4arch9wavefront6targetE0EEEvSL_,comdat
.Lfunc_end1955:
	.size	_ZN7rocprim17ROCPRIM_400000_NS6detail17trampoline_kernelINS0_14default_configENS1_36segmented_radix_sort_config_selectorI12hip_bfloat16lEEZNS1_25segmented_radix_sort_implIS3_Lb1EPKS5_PS5_PKlPlN2at6native12_GLOBAL__N_18offset_tEEE10hipError_tPvRmT1_PNSt15iterator_traitsISL_E10value_typeET2_T3_PNSM_ISR_E10value_typeET4_jRbjT5_SX_jjP12ihipStream_tbEUlT_E0_NS1_11comp_targetILNS1_3genE8ELNS1_11target_archE1030ELNS1_3gpuE2ELNS1_3repE0EEENS1_60segmented_radix_sort_warp_sort_medium_config_static_selectorELNS0_4arch9wavefront6targetE0EEEvSL_, .Lfunc_end1955-_ZN7rocprim17ROCPRIM_400000_NS6detail17trampoline_kernelINS0_14default_configENS1_36segmented_radix_sort_config_selectorI12hip_bfloat16lEEZNS1_25segmented_radix_sort_implIS3_Lb1EPKS5_PS5_PKlPlN2at6native12_GLOBAL__N_18offset_tEEE10hipError_tPvRmT1_PNSt15iterator_traitsISL_E10value_typeET2_T3_PNSM_ISR_E10value_typeET4_jRbjT5_SX_jjP12ihipStream_tbEUlT_E0_NS1_11comp_targetILNS1_3genE8ELNS1_11target_archE1030ELNS1_3gpuE2ELNS1_3repE0EEENS1_60segmented_radix_sort_warp_sort_medium_config_static_selectorELNS0_4arch9wavefront6targetE0EEEvSL_
                                        ; -- End function
	.set _ZN7rocprim17ROCPRIM_400000_NS6detail17trampoline_kernelINS0_14default_configENS1_36segmented_radix_sort_config_selectorI12hip_bfloat16lEEZNS1_25segmented_radix_sort_implIS3_Lb1EPKS5_PS5_PKlPlN2at6native12_GLOBAL__N_18offset_tEEE10hipError_tPvRmT1_PNSt15iterator_traitsISL_E10value_typeET2_T3_PNSM_ISR_E10value_typeET4_jRbjT5_SX_jjP12ihipStream_tbEUlT_E0_NS1_11comp_targetILNS1_3genE8ELNS1_11target_archE1030ELNS1_3gpuE2ELNS1_3repE0EEENS1_60segmented_radix_sort_warp_sort_medium_config_static_selectorELNS0_4arch9wavefront6targetE0EEEvSL_.num_vgpr, 0
	.set _ZN7rocprim17ROCPRIM_400000_NS6detail17trampoline_kernelINS0_14default_configENS1_36segmented_radix_sort_config_selectorI12hip_bfloat16lEEZNS1_25segmented_radix_sort_implIS3_Lb1EPKS5_PS5_PKlPlN2at6native12_GLOBAL__N_18offset_tEEE10hipError_tPvRmT1_PNSt15iterator_traitsISL_E10value_typeET2_T3_PNSM_ISR_E10value_typeET4_jRbjT5_SX_jjP12ihipStream_tbEUlT_E0_NS1_11comp_targetILNS1_3genE8ELNS1_11target_archE1030ELNS1_3gpuE2ELNS1_3repE0EEENS1_60segmented_radix_sort_warp_sort_medium_config_static_selectorELNS0_4arch9wavefront6targetE0EEEvSL_.num_agpr, 0
	.set _ZN7rocprim17ROCPRIM_400000_NS6detail17trampoline_kernelINS0_14default_configENS1_36segmented_radix_sort_config_selectorI12hip_bfloat16lEEZNS1_25segmented_radix_sort_implIS3_Lb1EPKS5_PS5_PKlPlN2at6native12_GLOBAL__N_18offset_tEEE10hipError_tPvRmT1_PNSt15iterator_traitsISL_E10value_typeET2_T3_PNSM_ISR_E10value_typeET4_jRbjT5_SX_jjP12ihipStream_tbEUlT_E0_NS1_11comp_targetILNS1_3genE8ELNS1_11target_archE1030ELNS1_3gpuE2ELNS1_3repE0EEENS1_60segmented_radix_sort_warp_sort_medium_config_static_selectorELNS0_4arch9wavefront6targetE0EEEvSL_.numbered_sgpr, 0
	.set _ZN7rocprim17ROCPRIM_400000_NS6detail17trampoline_kernelINS0_14default_configENS1_36segmented_radix_sort_config_selectorI12hip_bfloat16lEEZNS1_25segmented_radix_sort_implIS3_Lb1EPKS5_PS5_PKlPlN2at6native12_GLOBAL__N_18offset_tEEE10hipError_tPvRmT1_PNSt15iterator_traitsISL_E10value_typeET2_T3_PNSM_ISR_E10value_typeET4_jRbjT5_SX_jjP12ihipStream_tbEUlT_E0_NS1_11comp_targetILNS1_3genE8ELNS1_11target_archE1030ELNS1_3gpuE2ELNS1_3repE0EEENS1_60segmented_radix_sort_warp_sort_medium_config_static_selectorELNS0_4arch9wavefront6targetE0EEEvSL_.num_named_barrier, 0
	.set _ZN7rocprim17ROCPRIM_400000_NS6detail17trampoline_kernelINS0_14default_configENS1_36segmented_radix_sort_config_selectorI12hip_bfloat16lEEZNS1_25segmented_radix_sort_implIS3_Lb1EPKS5_PS5_PKlPlN2at6native12_GLOBAL__N_18offset_tEEE10hipError_tPvRmT1_PNSt15iterator_traitsISL_E10value_typeET2_T3_PNSM_ISR_E10value_typeET4_jRbjT5_SX_jjP12ihipStream_tbEUlT_E0_NS1_11comp_targetILNS1_3genE8ELNS1_11target_archE1030ELNS1_3gpuE2ELNS1_3repE0EEENS1_60segmented_radix_sort_warp_sort_medium_config_static_selectorELNS0_4arch9wavefront6targetE0EEEvSL_.private_seg_size, 0
	.set _ZN7rocprim17ROCPRIM_400000_NS6detail17trampoline_kernelINS0_14default_configENS1_36segmented_radix_sort_config_selectorI12hip_bfloat16lEEZNS1_25segmented_radix_sort_implIS3_Lb1EPKS5_PS5_PKlPlN2at6native12_GLOBAL__N_18offset_tEEE10hipError_tPvRmT1_PNSt15iterator_traitsISL_E10value_typeET2_T3_PNSM_ISR_E10value_typeET4_jRbjT5_SX_jjP12ihipStream_tbEUlT_E0_NS1_11comp_targetILNS1_3genE8ELNS1_11target_archE1030ELNS1_3gpuE2ELNS1_3repE0EEENS1_60segmented_radix_sort_warp_sort_medium_config_static_selectorELNS0_4arch9wavefront6targetE0EEEvSL_.uses_vcc, 0
	.set _ZN7rocprim17ROCPRIM_400000_NS6detail17trampoline_kernelINS0_14default_configENS1_36segmented_radix_sort_config_selectorI12hip_bfloat16lEEZNS1_25segmented_radix_sort_implIS3_Lb1EPKS5_PS5_PKlPlN2at6native12_GLOBAL__N_18offset_tEEE10hipError_tPvRmT1_PNSt15iterator_traitsISL_E10value_typeET2_T3_PNSM_ISR_E10value_typeET4_jRbjT5_SX_jjP12ihipStream_tbEUlT_E0_NS1_11comp_targetILNS1_3genE8ELNS1_11target_archE1030ELNS1_3gpuE2ELNS1_3repE0EEENS1_60segmented_radix_sort_warp_sort_medium_config_static_selectorELNS0_4arch9wavefront6targetE0EEEvSL_.uses_flat_scratch, 0
	.set _ZN7rocprim17ROCPRIM_400000_NS6detail17trampoline_kernelINS0_14default_configENS1_36segmented_radix_sort_config_selectorI12hip_bfloat16lEEZNS1_25segmented_radix_sort_implIS3_Lb1EPKS5_PS5_PKlPlN2at6native12_GLOBAL__N_18offset_tEEE10hipError_tPvRmT1_PNSt15iterator_traitsISL_E10value_typeET2_T3_PNSM_ISR_E10value_typeET4_jRbjT5_SX_jjP12ihipStream_tbEUlT_E0_NS1_11comp_targetILNS1_3genE8ELNS1_11target_archE1030ELNS1_3gpuE2ELNS1_3repE0EEENS1_60segmented_radix_sort_warp_sort_medium_config_static_selectorELNS0_4arch9wavefront6targetE0EEEvSL_.has_dyn_sized_stack, 0
	.set _ZN7rocprim17ROCPRIM_400000_NS6detail17trampoline_kernelINS0_14default_configENS1_36segmented_radix_sort_config_selectorI12hip_bfloat16lEEZNS1_25segmented_radix_sort_implIS3_Lb1EPKS5_PS5_PKlPlN2at6native12_GLOBAL__N_18offset_tEEE10hipError_tPvRmT1_PNSt15iterator_traitsISL_E10value_typeET2_T3_PNSM_ISR_E10value_typeET4_jRbjT5_SX_jjP12ihipStream_tbEUlT_E0_NS1_11comp_targetILNS1_3genE8ELNS1_11target_archE1030ELNS1_3gpuE2ELNS1_3repE0EEENS1_60segmented_radix_sort_warp_sort_medium_config_static_selectorELNS0_4arch9wavefront6targetE0EEEvSL_.has_recursion, 0
	.set _ZN7rocprim17ROCPRIM_400000_NS6detail17trampoline_kernelINS0_14default_configENS1_36segmented_radix_sort_config_selectorI12hip_bfloat16lEEZNS1_25segmented_radix_sort_implIS3_Lb1EPKS5_PS5_PKlPlN2at6native12_GLOBAL__N_18offset_tEEE10hipError_tPvRmT1_PNSt15iterator_traitsISL_E10value_typeET2_T3_PNSM_ISR_E10value_typeET4_jRbjT5_SX_jjP12ihipStream_tbEUlT_E0_NS1_11comp_targetILNS1_3genE8ELNS1_11target_archE1030ELNS1_3gpuE2ELNS1_3repE0EEENS1_60segmented_radix_sort_warp_sort_medium_config_static_selectorELNS0_4arch9wavefront6targetE0EEEvSL_.has_indirect_call, 0
	.section	.AMDGPU.csdata,"",@progbits
; Kernel info:
; codeLenInByte = 0
; TotalNumSgprs: 0
; NumVgprs: 0
; ScratchSize: 0
; MemoryBound: 0
; FloatMode: 240
; IeeeMode: 1
; LDSByteSize: 0 bytes/workgroup (compile time only)
; SGPRBlocks: 0
; VGPRBlocks: 0
; NumSGPRsForWavesPerEU: 1
; NumVGPRsForWavesPerEU: 1
; NamedBarCnt: 0
; Occupancy: 16
; WaveLimiterHint : 0
; COMPUTE_PGM_RSRC2:SCRATCH_EN: 0
; COMPUTE_PGM_RSRC2:USER_SGPR: 2
; COMPUTE_PGM_RSRC2:TRAP_HANDLER: 0
; COMPUTE_PGM_RSRC2:TGID_X_EN: 1
; COMPUTE_PGM_RSRC2:TGID_Y_EN: 0
; COMPUTE_PGM_RSRC2:TGID_Z_EN: 0
; COMPUTE_PGM_RSRC2:TIDIG_COMP_CNT: 0
	.text
	.p2align	2                               ; -- Begin function _ZN7rocprim17ROCPRIM_400000_NS6detail26segmented_warp_sort_helperINS1_20WarpSortHelperConfigILj8ELj4ELj256EEE12hip_bfloat16lLi256ELb1EvE4sortIPKS5_PS5_PKlPlEEvT_T0_T1_T2_jjjjRNS6_12storage_typeE
	.type	_ZN7rocprim17ROCPRIM_400000_NS6detail26segmented_warp_sort_helperINS1_20WarpSortHelperConfigILj8ELj4ELj256EEE12hip_bfloat16lLi256ELb1EvE4sortIPKS5_PS5_PKlPlEEvT_T0_T1_T2_jjjjRNS6_12storage_typeE,@function
_ZN7rocprim17ROCPRIM_400000_NS6detail26segmented_warp_sort_helperINS1_20WarpSortHelperConfigILj8ELj4ELj256EEE12hip_bfloat16lLi256ELb1EvE4sortIPKS5_PS5_PKlPlEEvT_T0_T1_T2_jjjjRNS6_12storage_typeE: ; @_ZN7rocprim17ROCPRIM_400000_NS6detail26segmented_warp_sort_helperINS1_20WarpSortHelperConfigILj8ELj4ELj256EEE12hip_bfloat16lLi256ELb1EvE4sortIPKS5_PS5_PKlPlEEvT_T0_T1_T2_jjjjRNS6_12storage_typeE
; %bb.0:
	s_wait_loadcnt_dscnt 0x0
	s_wait_kmcnt 0x0
	v_mov_b32_e32 v12, v9
	v_mbcnt_lo_u32_b32 v9, -1, 0
	v_dual_mov_b32 v36, -1 :: v_dual_mov_b32 v32, -1
	s_delay_alu instid0(VALU_DEP_2) | instskip(NEXT) | instid1(VALU_DEP_1)
	v_dual_lshlrev_b32 v29, 2, v9 :: v_dual_mov_b32 v9, 0
	v_dual_sub_nc_u32 v14, v12, v8 :: v_dual_bitop2_b32 v28, 28, v29 bitop3:0x40
	s_delay_alu instid0(VALU_DEP_2) | instskip(NEXT) | instid1(VALU_DEP_2)
	v_lshl_add_u64 v[16:17], v[8:9], 1, v[0:1]
	v_dual_mov_b32 v1, v9 :: v_dual_lshlrev_b32 v0, 1, v28
	s_delay_alu instid0(VALU_DEP_3) | instskip(NEXT) | instid1(VALU_DEP_2)
	v_cmp_lt_u32_e32 vcc_lo, v28, v14
	v_add_nc_u64_e32 v[12:13], v[16:17], v[0:1]
	s_and_saveexec_b32 s0, vcc_lo
	s_cbranch_execz .LBB1956_2
; %bb.1:
	flat_load_u16 v36, v[12:13]
.LBB1956_2:
	s_wait_xcnt 0x0
	s_or_b32 exec_lo, exec_lo, s0
	v_or_b32_e32 v1, 1, v28
	s_delay_alu instid0(VALU_DEP_1)
	v_cmp_lt_u32_e64 s0, v1, v14
	s_and_saveexec_b32 s1, s0
	s_cbranch_execz .LBB1956_4
; %bb.3:
	flat_load_u16 v32, v[12:13] offset:2
.LBB1956_4:
	s_wait_xcnt 0x0
	s_or_b32 exec_lo, exec_lo, s1
	v_dual_mov_b32 v30, -1 :: v_dual_bitop2_b32 v1, 2, v28 bitop3:0x54
	v_mov_b32_e32 v37, -1
	s_delay_alu instid0(VALU_DEP_2)
	v_cmp_lt_u32_e64 s1, v1, v14
	s_and_saveexec_b32 s2, s1
	s_cbranch_execz .LBB1956_6
; %bb.5:
	flat_load_u16 v37, v[12:13] offset:4
.LBB1956_6:
	s_wait_xcnt 0x0
	s_or_b32 exec_lo, exec_lo, s2
	v_or_b32_e32 v1, 3, v28
	s_delay_alu instid0(VALU_DEP_1)
	v_cmp_lt_u32_e64 s2, v1, v14
	s_and_saveexec_b32 s3, s2
	s_cbranch_execz .LBB1956_8
; %bb.7:
	flat_load_u16 v30, v[12:13] offset:6
.LBB1956_8:
	s_wait_xcnt 0x0
	s_or_b32 exec_lo, exec_lo, s3
	v_lshl_add_u64 v[12:13], v[8:9], 3, v[4:5]
	v_dual_mov_b32 v5, 0 :: v_dual_lshlrev_b32 v4, 3, v28
	; wave barrier
	s_delay_alu instid0(VALU_DEP_1)
	v_add_nc_u64_e32 v[20:21], v[12:13], v[4:5]
	v_dual_mov_b32 v12, v5 :: v_dual_mov_b32 v13, v5
	v_dual_mov_b32 v14, v5 :: v_dual_mov_b32 v15, v5
	;; [unrolled: 1-line block ×4, first 2 shown]
	s_and_saveexec_b32 s3, vcc_lo
	s_cbranch_execnz .LBB1956_82
; %bb.9:
	s_or_b32 exec_lo, exec_lo, s3
	s_and_saveexec_b32 s3, s0
	s_cbranch_execnz .LBB1956_83
.LBB1956_10:
	s_or_b32 exec_lo, exec_lo, s3
	s_and_saveexec_b32 s3, s1
	s_cbranch_execnz .LBB1956_84
.LBB1956_11:
	s_or_b32 exec_lo, exec_lo, s3
	s_and_saveexec_b32 s3, s2
	s_cbranch_execz .LBB1956_13
.LBB1956_12:
	flat_load_b64 v[18:19], v[20:21] offset:24
.LBB1956_13:
	s_wait_xcnt 0x0
	s_or_b32 exec_lo, exec_lo, s3
	; wave barrier
	s_load_b64 s[4:5], s[8:9], 0x0
	s_bfe_u32 s6, ttmp6, 0x4000c
	s_bfe_u32 s10, ttmp6, 0x40010
	s_and_b32 s7, ttmp7, 0xffff
	s_add_co_i32 s6, s6, 1
	s_add_co_i32 s10, s10, 1
	s_and_b32 s3, ttmp6, 15
	s_bfe_u32 s11, ttmp6, 0x40004
	s_mul_i32 s6, ttmp9, s6
	s_mul_i32 s10, s7, s10
	s_getreg_b32 s12, hwreg(HW_REG_IB_STS2, 6, 4)
	s_add_co_i32 s3, s3, s6
	s_add_co_i32 s11, s11, s10
	s_cmp_eq_u32 s12, 0
	v_bfe_u32 v1, v31, 10, 10
	s_cselect_b32 s3, ttmp9, s3
	s_cselect_b32 s6, s7, s11
	v_bfe_u32 v5, v31, 20, 10
	s_wait_kmcnt 0x0
	s_cmp_lt_u32 s3, s4
	s_cselect_b32 s4, 12, 18
	s_cmp_lt_u32 s6, s5
	s_mov_b32 s5, 0
	s_cselect_b32 s6, 14, 20
	s_mov_b32 s7, s5
	s_add_nc_u64 s[4:5], s[8:9], s[4:5]
	s_add_nc_u64 s[6:7], s[8:9], s[6:7]
	s_load_u16 s4, s[4:5], 0x0
	s_wait_xcnt 0x0
	s_mov_b32 s5, exec_lo
	s_load_u16 s3, s[6:7], 0x0
	s_wait_kmcnt 0x0
	v_mad_u32_u24 v1, v5, s3, v1
	v_and_b32_e32 v5, 0x3ff, v31
	s_delay_alu instid0(VALU_DEP_2) | instskip(NEXT) | instid1(VALU_DEP_1)
	v_mul_lo_u32 v1, v1, s4
	v_add_lshl_u32 v1, v1, v5, 2
	s_delay_alu instid0(VALU_DEP_1)
	v_cmpx_gt_u32_e32 0x400, v1
	s_cbranch_execz .LBB1956_71
; %bb.14:
	s_wait_loadcnt_dscnt 0x0
	v_lshlrev_b32_e32 v5, 16, v32
	s_delay_alu instid0(VALU_DEP_1) | instskip(NEXT) | instid1(VALU_DEP_1)
	v_add_f32_e32 v20, 0, v5
	v_and_b32_e32 v5, 0x7f800000, v20
	s_delay_alu instid0(VALU_DEP_1) | instskip(SKIP_1) | instid1(SALU_CYCLE_1)
	v_cmp_ne_u32_e64 s3, 0x7f800000, v5
                                        ; implicit-def: $vgpr5
	s_and_saveexec_b32 s4, s3
	s_xor_b32 s3, exec_lo, s4
; %bb.15:
	v_bfe_u32 v5, v20, 16, 1
	s_delay_alu instid0(VALU_DEP_1)
	v_add3_u32 v5, v20, v5, 0x7fff
                                        ; implicit-def: $vgpr20
; %bb.16:
	s_and_not1_saveexec_b32 s4, s3
; %bb.17:
	v_and_b32_e32 v5, 0xffff, v20
	v_or_b32_e32 v21, 0x10000, v20
	s_delay_alu instid0(VALU_DEP_2) | instskip(NEXT) | instid1(VALU_DEP_1)
	v_cmp_eq_u32_e64 s3, 0, v5
	v_cndmask_b32_e64 v5, v21, v20, s3
; %bb.18:
	s_or_b32 exec_lo, exec_lo, s4
	v_lshlrev_b32_e32 v20, 16, v36
	s_delay_alu instid0(VALU_DEP_1) | instskip(NEXT) | instid1(VALU_DEP_1)
	v_add_f32_e32 v21, 0, v20
	v_and_b32_e32 v20, 0x7f800000, v21
	s_delay_alu instid0(VALU_DEP_1) | instskip(SKIP_1) | instid1(SALU_CYCLE_1)
	v_cmp_ne_u32_e64 s3, 0x7f800000, v20
                                        ; implicit-def: $vgpr20
	s_and_saveexec_b32 s4, s3
	s_xor_b32 s3, exec_lo, s4
; %bb.19:
	v_bfe_u32 v20, v21, 16, 1
	s_delay_alu instid0(VALU_DEP_1)
	v_add3_u32 v20, v21, v20, 0x7fff
                                        ; implicit-def: $vgpr21
; %bb.20:
	s_and_not1_saveexec_b32 s4, s3
; %bb.21:
	v_and_b32_e32 v20, 0xffff, v21
	v_or_b32_e32 v22, 0x10000, v21
	s_delay_alu instid0(VALU_DEP_2) | instskip(NEXT) | instid1(VALU_DEP_1)
	v_cmp_eq_u32_e64 s3, 0, v20
	v_cndmask_b32_e64 v20, v22, v21, s3
; %bb.22:
	s_or_b32 exec_lo, exec_lo, s4
	v_lshlrev_b32_e32 v21, 16, v30
	s_delay_alu instid0(VALU_DEP_1) | instskip(NEXT) | instid1(VALU_DEP_1)
	v_add_f32_e32 v31, 0, v21
	v_and_b32_e32 v21, 0x7f800000, v31
	s_delay_alu instid0(VALU_DEP_1) | instskip(SKIP_1) | instid1(SALU_CYCLE_1)
	v_cmp_ne_u32_e64 s3, 0x7f800000, v21
                                        ; implicit-def: $vgpr21
	s_and_saveexec_b32 s4, s3
	s_xor_b32 s3, exec_lo, s4
; %bb.23:
	v_bfe_u32 v21, v31, 16, 1
	s_delay_alu instid0(VALU_DEP_1)
	v_add3_u32 v21, v31, v21, 0x7fff
; %bb.24:
	s_and_not1_saveexec_b32 s4, s3
; %bb.25:
	v_and_b32_e32 v21, 0xffff, v31
	v_or_b32_e32 v22, 0x10000, v31
	s_delay_alu instid0(VALU_DEP_2) | instskip(NEXT) | instid1(VALU_DEP_1)
	v_cmp_eq_u32_e64 s3, 0, v21
	v_cndmask_b32_e64 v21, v22, v31, s3
; %bb.26:
	s_or_b32 exec_lo, exec_lo, s4
	v_lshlrev_b32_e32 v22, 16, v37
	s_delay_alu instid0(VALU_DEP_1) | instskip(NEXT) | instid1(VALU_DEP_1)
	v_add_f32_e32 v33, 0, v22
	v_and_b32_e32 v22, 0x7f800000, v33
	s_delay_alu instid0(VALU_DEP_1) | instskip(SKIP_1) | instid1(SALU_CYCLE_1)
	v_cmp_ne_u32_e64 s3, 0x7f800000, v22
                                        ; implicit-def: $vgpr22
	s_and_saveexec_b32 s4, s3
	s_xor_b32 s3, exec_lo, s4
; %bb.27:
	v_bfe_u32 v22, v33, 16, 1
	s_delay_alu instid0(VALU_DEP_1)
	v_add3_u32 v22, v33, v22, 0x7fff
; %bb.28:
	s_and_not1_saveexec_b32 s4, s3
; %bb.29:
	v_and_b32_e32 v22, 0xffff, v33
	v_or_b32_e32 v23, 0x10000, v33
	s_delay_alu instid0(VALU_DEP_2) | instskip(NEXT) | instid1(VALU_DEP_1)
	v_cmp_eq_u32_e64 s3, 0, v22
	v_cndmask_b32_e64 v22, v23, v33, s3
; %bb.30:
	s_or_b32 exec_lo, exec_lo, s4
	v_cmp_lt_i32_e64 s3, -1, v5
	v_perm_b32 v23, v20, v5, 0x7060302
	v_mov_b64_e32 v[26:27], v[18:19]
	s_delay_alu instid0(VALU_DEP_3) | instskip(SKIP_1) | instid1(VALU_DEP_1)
	v_cndmask_b32_e64 v5, -1, 0xffff8000, s3
	v_cmp_lt_i32_e64 s3, -1, v20
	v_cndmask_b32_e64 v20, -1, 0xffff8000, s3
	v_cmp_lt_i32_e64 s3, -1, v21
	s_delay_alu instid0(VALU_DEP_2) | instskip(NEXT) | instid1(VALU_DEP_2)
	v_perm_b32 v5, v20, v5, 0x5040100
	v_cndmask_b32_e64 v24, -1, 0xffff8000, s3
	v_cmp_lt_i32_e64 s3, -1, v22
	v_perm_b32 v20, v22, v21, 0x7060302
	s_delay_alu instid0(VALU_DEP_2) | instskip(NEXT) | instid1(VALU_DEP_1)
	v_cndmask_b32_e64 v25, -1, 0xffff8000, s3
	v_perm_b32 v21, v25, v24, 0x5040100
	v_mov_b64_e32 v[24:25], v[16:17]
	s_delay_alu instid0(VALU_DEP_2) | instskip(NEXT) | instid1(VALU_DEP_1)
	v_xor_b32_e32 v20, v21, v20
	v_dual_lshrrev_b32 v22, 16, v20 :: v_dual_bitop2_b32 v5, v5, v23 bitop3:0x14
	s_delay_alu instid0(VALU_DEP_1) | instskip(NEXT) | instid1(VALU_DEP_2)
	v_lshrrev_b32_e32 v21, 16, v5
	v_cmp_gt_u16_e64 s4, v20, v22
	s_delay_alu instid0(VALU_DEP_2) | instskip(NEXT) | instid1(VALU_DEP_1)
	v_cmp_gt_u16_e64 s3, v5, v21
	v_dual_mov_b32 v5, v37 :: v_dual_cndmask_b32 v23, v15, v13, s3
	v_dual_cndmask_b32 v22, v14, v12, s3 :: v_dual_cndmask_b32 v21, v13, v15, s3
	v_cndmask_b32_e64 v20, v12, v14, s3
	s_and_saveexec_b32 s6, s4
; %bb.31:
	v_mov_b64_e32 v[24:25], v[18:19]
	v_mov_b64_e32 v[26:27], v[16:17]
	v_dual_mov_b32 v5, v30 :: v_dual_mov_b32 v30, v37
	v_mov_b32_e32 v33, v31
; %bb.32:
	s_or_b32 exec_lo, exec_lo, s6
	s_delay_alu instid0(VALU_DEP_1) | instskip(NEXT) | instid1(VALU_DEP_1)
	v_and_b32_e32 v12, 0x7f800000, v33
                                        ; implicit-def: $vgpr14
	v_cmp_ne_u32_e64 s4, 0x7f800000, v12
	s_and_saveexec_b32 s6, s4
	s_delay_alu instid0(SALU_CYCLE_1)
	s_xor_b32 s4, exec_lo, s6
; %bb.33:
	v_bfe_u32 v12, v33, 16, 1
	s_delay_alu instid0(VALU_DEP_1)
	v_add3_u32 v14, v33, v12, 0x7fff
; %bb.34:
	s_and_not1_saveexec_b32 s6, s4
; %bb.35:
	v_and_b32_e32 v12, 0xffff, v33
	v_or_b32_e32 v13, 0x10000, v33
	s_delay_alu instid0(VALU_DEP_2) | instskip(NEXT) | instid1(VALU_DEP_1)
	v_cmp_eq_u32_e64 s4, 0, v12
	v_cndmask_b32_e64 v14, v13, v33, s4
; %bb.36:
	s_or_b32 exec_lo, exec_lo, s6
	v_cndmask_b32_e64 v12, v32, v36, s3
	s_delay_alu instid0(VALU_DEP_1) | instskip(NEXT) | instid1(VALU_DEP_1)
	v_lshlrev_b32_e32 v13, 16, v12
	v_add_f32_e32 v13, 0, v13
	s_delay_alu instid0(VALU_DEP_1) | instskip(NEXT) | instid1(VALU_DEP_1)
	v_and_b32_e32 v15, 0x7f800000, v13
	v_cmp_ne_u32_e64 s4, 0x7f800000, v15
                                        ; implicit-def: $vgpr15
	s_and_saveexec_b32 s6, s4
	s_delay_alu instid0(SALU_CYCLE_1)
	s_xor_b32 s4, exec_lo, s6
; %bb.37:
	v_bfe_u32 v15, v13, 16, 1
	s_delay_alu instid0(VALU_DEP_1)
	v_add3_u32 v15, v13, v15, 0x7fff
; %bb.38:
	s_and_not1_saveexec_b32 s6, s4
; %bb.39:
	v_and_b32_e32 v15, 0xffff, v13
	v_or_b32_e32 v16, 0x10000, v13
	s_delay_alu instid0(VALU_DEP_2) | instskip(NEXT) | instid1(VALU_DEP_1)
	v_cmp_eq_u32_e64 s4, 0, v15
	v_cndmask_b32_e64 v15, v16, v13, s4
; %bb.40:
	s_or_b32 exec_lo, exec_lo, s6
	v_cmp_lt_i32_e64 s4, -1, v14
	s_delay_alu instid0(VALU_DEP_2) | instskip(SKIP_4) | instid1(VALU_DEP_1)
	v_perm_b32 v14, v15, v14, 0x7060302
	s_mov_b32 s6, exec_lo
	v_mov_b32_e32 v31, v12
	v_cndmask_b32_e64 v16, -1, 0xffff8000, s4
	v_cmp_lt_i32_e64 s4, -1, v15
	v_cndmask_b32_e64 v17, -1, 0xffff8000, s4
	s_delay_alu instid0(VALU_DEP_1) | instskip(NEXT) | instid1(VALU_DEP_1)
	v_perm_b32 v15, v17, v16, 0x5040100
	v_xor_b32_e32 v14, v15, v14
	s_delay_alu instid0(VALU_DEP_1) | instskip(NEXT) | instid1(VALU_DEP_1)
	v_lshrrev_b32_e32 v15, 16, v14
	v_cmpx_gt_u16_e64 v14, v15
	s_cbranch_execz .LBB1956_42
; %bb.41:
	v_mov_b64_e32 v[14:15], v[20:21]
	v_mov_b64_e32 v[16:17], v[22:23]
	;; [unrolled: 1-line block ×4, first 2 shown]
	v_dual_mov_b32 v20, v26 :: v_dual_mov_b32 v21, v27
	v_dual_mov_b32 v16, v24 :: v_dual_mov_b32 v17, v25
	;; [unrolled: 1-line block ×3, first 2 shown]
	s_delay_alu instid0(VALU_DEP_3) | instskip(SKIP_1) | instid1(VALU_DEP_4)
	v_mov_b64_e32 v[26:27], v[20:21]
	v_dual_mov_b32 v31, v5 :: v_dual_mov_b32 v5, v12
	v_mov_b64_e32 v[22:23], v[16:17]
	s_delay_alu instid0(VALU_DEP_4)
	v_mov_b64_e32 v[24:25], v[18:19]
	v_mov_b64_e32 v[20:21], v[14:15]
	v_mov_b32_e32 v13, v33
.LBB1956_42:
	s_or_b32 exec_lo, exec_lo, s6
	s_delay_alu instid0(VALU_DEP_1) | instskip(NEXT) | instid1(VALU_DEP_1)
	v_and_b32_e32 v12, 0x7f800000, v13
	v_cmp_ne_u32_e64 s4, 0x7f800000, v12
                                        ; implicit-def: $vgpr12
	s_and_saveexec_b32 s6, s4
	s_delay_alu instid0(SALU_CYCLE_1)
	s_xor_b32 s4, exec_lo, s6
; %bb.43:
	v_bfe_u32 v12, v13, 16, 1
	s_delay_alu instid0(VALU_DEP_1)
	v_add3_u32 v12, v13, v12, 0x7fff
                                        ; implicit-def: $vgpr13
; %bb.44:
	s_and_not1_saveexec_b32 s6, s4
; %bb.45:
	v_and_b32_e32 v12, 0xffff, v13
	v_or_b32_e32 v14, 0x10000, v13
	s_delay_alu instid0(VALU_DEP_2) | instskip(NEXT) | instid1(VALU_DEP_1)
	v_cmp_eq_u32_e64 s4, 0, v12
	v_cndmask_b32_e64 v12, v14, v13, s4
; %bb.46:
	s_or_b32 exec_lo, exec_lo, s6
	v_cndmask_b32_e64 v33, v36, v32, s3
	s_delay_alu instid0(VALU_DEP_1) | instskip(NEXT) | instid1(VALU_DEP_1)
	v_lshlrev_b32_e32 v13, 16, v33
	v_add_f32_e32 v14, 0, v13
	s_delay_alu instid0(VALU_DEP_1) | instskip(NEXT) | instid1(VALU_DEP_1)
	v_and_b32_e32 v13, 0x7f800000, v14
	v_cmp_ne_u32_e64 s3, 0x7f800000, v13
                                        ; implicit-def: $vgpr13
	s_and_saveexec_b32 s4, s3
	s_delay_alu instid0(SALU_CYCLE_1)
	s_xor_b32 s3, exec_lo, s4
; %bb.47:
	v_bfe_u32 v13, v14, 16, 1
	s_delay_alu instid0(VALU_DEP_1)
	v_add3_u32 v13, v14, v13, 0x7fff
                                        ; implicit-def: $vgpr14
; %bb.48:
	s_and_not1_saveexec_b32 s4, s3
; %bb.49:
	v_and_b32_e32 v13, 0xffff, v14
	v_or_b32_e32 v15, 0x10000, v14
	s_delay_alu instid0(VALU_DEP_2) | instskip(NEXT) | instid1(VALU_DEP_1)
	v_cmp_eq_u32_e64 s3, 0, v13
	v_cndmask_b32_e64 v13, v15, v14, s3
; %bb.50:
	s_or_b32 exec_lo, exec_lo, s4
	v_lshlrev_b32_e32 v14, 16, v30
	s_delay_alu instid0(VALU_DEP_1) | instskip(NEXT) | instid1(VALU_DEP_1)
	v_add_f32_e32 v32, 0, v14
	v_and_b32_e32 v14, 0x7f800000, v32
	s_delay_alu instid0(VALU_DEP_1) | instskip(SKIP_1) | instid1(SALU_CYCLE_1)
	v_cmp_ne_u32_e64 s3, 0x7f800000, v14
                                        ; implicit-def: $vgpr14
	s_and_saveexec_b32 s4, s3
	s_xor_b32 s3, exec_lo, s4
; %bb.51:
	v_bfe_u32 v14, v32, 16, 1
	s_delay_alu instid0(VALU_DEP_1)
	v_add3_u32 v14, v32, v14, 0x7fff
; %bb.52:
	s_and_not1_saveexec_b32 s4, s3
; %bb.53:
	v_and_b32_e32 v14, 0xffff, v32
	v_or_b32_e32 v15, 0x10000, v32
	s_delay_alu instid0(VALU_DEP_2) | instskip(NEXT) | instid1(VALU_DEP_1)
	v_cmp_eq_u32_e64 s3, 0, v14
	v_cndmask_b32_e64 v14, v15, v32, s3
; %bb.54:
	s_or_b32 exec_lo, exec_lo, s4
	v_lshlrev_b32_e32 v15, 16, v5
	s_delay_alu instid0(VALU_DEP_1) | instskip(NEXT) | instid1(VALU_DEP_1)
	v_add_f32_e32 v34, 0, v15
	v_and_b32_e32 v15, 0x7f800000, v34
	s_delay_alu instid0(VALU_DEP_1) | instskip(SKIP_1) | instid1(SALU_CYCLE_1)
	v_cmp_ne_u32_e64 s3, 0x7f800000, v15
                                        ; implicit-def: $vgpr15
	s_and_saveexec_b32 s4, s3
	s_xor_b32 s3, exec_lo, s4
; %bb.55:
	v_bfe_u32 v15, v34, 16, 1
	s_delay_alu instid0(VALU_DEP_1)
	v_add3_u32 v15, v34, v15, 0x7fff
; %bb.56:
	s_and_not1_saveexec_b32 s4, s3
; %bb.57:
	v_and_b32_e32 v15, 0xffff, v34
	v_or_b32_e32 v16, 0x10000, v34
	s_delay_alu instid0(VALU_DEP_2) | instskip(NEXT) | instid1(VALU_DEP_1)
	v_cmp_eq_u32_e64 s3, 0, v15
	v_cndmask_b32_e64 v15, v16, v34, s3
; %bb.58:
	s_or_b32 exec_lo, exec_lo, s4
	v_cmp_lt_i32_e64 s3, -1, v12
	v_perm_b32 v16, v13, v12, 0x7060302
	v_mov_b32_e32 v19, v27
	s_delay_alu instid0(VALU_DEP_3) | instskip(SKIP_1) | instid1(VALU_DEP_1)
	v_cndmask_b32_e64 v12, -1, 0xffff8000, s3
	v_cmp_lt_i32_e64 s3, -1, v13
	v_cndmask_b32_e64 v13, -1, 0xffff8000, s3
	v_cmp_lt_i32_e64 s3, -1, v14
	s_delay_alu instid0(VALU_DEP_2) | instskip(NEXT) | instid1(VALU_DEP_2)
	v_perm_b32 v12, v13, v12, 0x5040100
	v_cndmask_b32_e64 v17, -1, 0xffff8000, s3
	v_cmp_lt_i32_e64 s3, -1, v15
	v_perm_b32 v13, v15, v14, 0x7060302
	s_delay_alu instid0(VALU_DEP_4) | instskip(NEXT) | instid1(VALU_DEP_3)
	v_xor_b32_e32 v12, v12, v16
	v_cndmask_b32_e64 v18, -1, 0xffff8000, s3
	s_delay_alu instid0(VALU_DEP_1) | instskip(SKIP_1) | instid1(VALU_DEP_2)
	v_perm_b32 v14, v18, v17, 0x5040100
	v_dual_mov_b32 v17, v25 :: v_dual_mov_b32 v18, v26
	v_dual_lshrrev_b32 v14, 16, v12 :: v_dual_bitop2_b32 v13, v14, v13 bitop3:0x14
	s_delay_alu instid0(VALU_DEP_1) | instskip(NEXT) | instid1(VALU_DEP_2)
	v_dual_mov_b32 v16, v24 :: v_dual_lshrrev_b32 v35, 16, v13
	v_cmp_gt_u16_e64 s3, v12, v14
	s_delay_alu instid0(VALU_DEP_2) | instskip(NEXT) | instid1(VALU_DEP_2)
	v_cmp_gt_u16_e64 s4, v13, v35
	v_dual_cndmask_b32 v15, v23, v21, s3 :: v_dual_cndmask_b32 v14, v22, v20, s3
	v_dual_cndmask_b32 v13, v21, v23, s3 :: v_dual_cndmask_b32 v12, v20, v22, s3
	v_mov_b32_e32 v20, v5
	s_and_saveexec_b32 s6, s4
; %bb.59:
	v_dual_mov_b32 v16, v26 :: v_dual_mov_b32 v17, v27
	v_dual_mov_b32 v18, v24 :: v_dual_mov_b32 v19, v25
	v_dual_mov_b32 v20, v30 :: v_dual_mov_b32 v30, v5
	v_mov_b32_e32 v34, v32
; %bb.60:
	s_or_b32 exec_lo, exec_lo, s6
	s_delay_alu instid0(VALU_DEP_1) | instskip(NEXT) | instid1(VALU_DEP_1)
	v_and_b32_e32 v5, 0x7f800000, v34
	v_cmp_ne_u32_e64 s4, 0x7f800000, v5
                                        ; implicit-def: $vgpr5
	s_and_saveexec_b32 s6, s4
	s_delay_alu instid0(SALU_CYCLE_1)
	s_xor_b32 s4, exec_lo, s6
; %bb.61:
	v_bfe_u32 v5, v34, 16, 1
	s_delay_alu instid0(VALU_DEP_1)
	v_add3_u32 v5, v34, v5, 0x7fff
                                        ; implicit-def: $vgpr34
; %bb.62:
	s_and_not1_saveexec_b32 s6, s4
; %bb.63:
	v_and_b32_e32 v5, 0xffff, v34
	v_or_b32_e32 v21, 0x10000, v34
	s_delay_alu instid0(VALU_DEP_2) | instskip(NEXT) | instid1(VALU_DEP_1)
	v_cmp_eq_u32_e64 s4, 0, v5
	v_cndmask_b32_e64 v5, v21, v34, s4
; %bb.64:
	s_or_b32 exec_lo, exec_lo, s6
	v_cndmask_b32_e64 v32, v31, v33, s3
	s_delay_alu instid0(VALU_DEP_1) | instskip(NEXT) | instid1(VALU_DEP_1)
	v_lshlrev_b32_e32 v21, 16, v32
	v_add_f32_e32 v22, 0, v21
	s_delay_alu instid0(VALU_DEP_1) | instskip(NEXT) | instid1(VALU_DEP_1)
	v_and_b32_e32 v21, 0x7f800000, v22
	v_cmp_ne_u32_e64 s4, 0x7f800000, v21
                                        ; implicit-def: $vgpr21
	s_and_saveexec_b32 s6, s4
	s_delay_alu instid0(SALU_CYCLE_1)
	s_xor_b32 s4, exec_lo, s6
; %bb.65:
	v_bfe_u32 v21, v22, 16, 1
	s_delay_alu instid0(VALU_DEP_1)
	v_add3_u32 v21, v22, v21, 0x7fff
                                        ; implicit-def: $vgpr22
; %bb.66:
	s_and_not1_saveexec_b32 s6, s4
; %bb.67:
	v_and_b32_e32 v21, 0xffff, v22
	v_or_b32_e32 v23, 0x10000, v22
	s_delay_alu instid0(VALU_DEP_2) | instskip(NEXT) | instid1(VALU_DEP_1)
	v_cmp_eq_u32_e64 s4, 0, v21
	v_cndmask_b32_e64 v21, v23, v22, s4
; %bb.68:
	s_or_b32 exec_lo, exec_lo, s6
	v_cmp_lt_i32_e64 s4, -1, v5
	s_delay_alu instid0(VALU_DEP_2) | instskip(SKIP_4) | instid1(VALU_DEP_1)
	v_perm_b32 v5, v21, v5, 0x7060302
	s_mov_b32 s6, exec_lo
	v_mov_b32_e32 v37, v20
	v_cndmask_b32_e64 v22, -1, 0xffff8000, s4
	v_cmp_lt_i32_e64 s4, -1, v21
	v_cndmask_b32_e64 v23, -1, 0xffff8000, s4
	s_delay_alu instid0(VALU_DEP_1) | instskip(NEXT) | instid1(VALU_DEP_1)
	v_perm_b32 v21, v23, v22, 0x5040100
	v_xor_b32_e32 v5, v21, v5
	s_delay_alu instid0(VALU_DEP_1) | instskip(NEXT) | instid1(VALU_DEP_1)
	v_lshrrev_b32_e32 v21, 16, v5
	v_cmpx_gt_u16_e64 v5, v21
	s_cbranch_execz .LBB1956_70
; %bb.69:
	v_dual_mov_b32 v48, v12 :: v_dual_mov_b32 v49, v13
	v_dual_mov_b32 v50, v16 :: v_dual_mov_b32 v51, v17
	;; [unrolled: 1-line block ×4, first 2 shown]
	s_delay_alu instid0(VALU_DEP_4) | instskip(NEXT) | instid1(VALU_DEP_4)
	v_mov_b64_e32 v[12:13], v[48:49]
	v_mov_b64_e32 v[14:15], v[50:51]
	s_delay_alu instid0(VALU_DEP_4)
	v_mov_b64_e32 v[16:17], v[52:53]
	v_dual_mov_b32 v37, v32 :: v_dual_mov_b32 v32, v20
	v_mov_b64_e32 v[18:19], v[54:55]
.LBB1956_70:
	s_or_b32 exec_lo, exec_lo, s6
	v_cndmask_b32_e64 v36, v33, v31, s3
.LBB1956_71:
	s_or_b32 exec_lo, exec_lo, s5
	v_and_b32_e32 v24, 0xffffff80, v1
	v_dual_mov_b32 v25, 0 :: v_dual_bitop2_b32 v5, 4, v29 bitop3:0x54
	v_and_b32_e32 v48, 0x78, v29
	s_mov_b32 s4, exec_lo
	s_delay_alu instid0(VALU_DEP_3) | instskip(NEXT) | instid1(VALU_DEP_3)
	v_sub_nc_u32_e64 v1, 0x400, v24 clamp
	v_lshl_add_u64 v[20:21], v[24:25], 1, v[10:11]
	s_delay_alu instid0(VALU_DEP_2) | instskip(NEXT) | instid1(VALU_DEP_2)
	v_min_u32_e32 v38, v1, v5
	v_mad_nc_u64_u32 v[10:11], v24, 6, v[20:21]
	s_delay_alu instid0(VALU_DEP_2) | instskip(NEXT) | instid1(VALU_DEP_1)
	v_add_min_u32_e64 v39, v38, 4, v1
	v_dual_sub_nc_u32 v22, v39, v38 :: v_dual_bitop2_b32 v5, 4, v29 bitop3:0x40
	s_delay_alu instid0(VALU_DEP_1) | instskip(SKIP_2) | instid1(VALU_DEP_3)
	v_min_u32_e32 v49, v1, v5
	v_sub_nc_u32_e32 v5, v38, v48
	v_lshl_add_u32 v35, v29, 3, v10
	v_sub_nc_u32_e64 v50, v49, v22 clamp
	s_delay_alu instid0(VALU_DEP_3) | instskip(NEXT) | instid1(VALU_DEP_3)
	v_min_u32_e32 v11, v49, v5
	v_add_nc_u32_e32 v22, 0x800, v35
	v_lshl_add_u32 v5, v29, 1, v20
	s_wait_loadcnt_dscnt 0x0
	ds_store_2addr_b64 v22, v[12:13], v[14:15] offset1:1
	ds_store_b16 v5, v36
	ds_store_b16 v5, v32 offset:2
	ds_store_b16 v5, v37 offset:4
	;; [unrolled: 1-line block ×3, first 2 shown]
	ds_store_2addr_b64 v22, v[16:17], v[18:19] offset0:2 offset1:3
	; wave barrier
	v_cmpx_lt_u32_e64 v50, v11
	s_cbranch_execz .LBB1956_86
; %bb.72:
	v_lshlrev_b32_e32 v24, 1, v48
	s_mov_b32 s5, 0
	s_delay_alu instid0(VALU_DEP_1) | instskip(SKIP_1) | instid1(VALU_DEP_1)
	v_add_nc_u64_e32 v[22:23], v[20:21], v[24:25]
	v_lshlrev_b32_e32 v24, 1, v38
	v_add_nc_u64_e32 v[24:25], v[20:21], v[24:25]
	s_branch .LBB1956_74
.LBB1956_73:                            ;   in Loop: Header=BB1956_74 Depth=1
	s_or_b32 exec_lo, exec_lo, s6
	v_cmp_lt_i32_e64 s3, -1, v25
	s_delay_alu instid0(VALU_DEP_2) | instskip(NEXT) | instid1(VALU_DEP_2)
	v_perm_b32 v25, v26, v25, 0x7060302
	v_cndmask_b32_e64 v27, -1, 0xffff8000, s3
	v_cmp_lt_i32_e64 s3, -1, v26
	s_delay_alu instid0(VALU_DEP_1) | instskip(NEXT) | instid1(VALU_DEP_1)
	v_cndmask_b32_e64 v31, -1, 0xffff8000, s3
	v_perm_b32 v26, v31, v27, 0x5040100
	s_delay_alu instid0(VALU_DEP_1) | instskip(NEXT) | instid1(VALU_DEP_1)
	v_dual_add_nc_u32 v27, 1, v23 :: v_dual_bitop2_b32 v25, v26, v25 bitop3:0x14
	v_lshrrev_b32_e32 v26, 16, v25
	s_delay_alu instid0(VALU_DEP_1) | instskip(NEXT) | instid1(VALU_DEP_1)
	v_cmp_gt_u16_e64 s3, v25, v26
	v_cndmask_b32_e64 v11, v11, v23, s3
	s_delay_alu instid0(VALU_DEP_4) | instskip(NEXT) | instid1(VALU_DEP_1)
	v_cndmask_b32_e64 v50, v27, v50, s3
	v_cmp_ge_u32_e64 s3, v50, v11
	s_or_b32 s5, s3, s5
	s_delay_alu instid0(SALU_CYCLE_1)
	s_and_not1_b32 exec_lo, exec_lo, s5
	s_cbranch_execz .LBB1956_85
.LBB1956_74:                            ; =>This Inner Loop Header: Depth=1
	v_add_nc_u32_e32 v25, v11, v50
	s_delay_alu instid0(VALU_DEP_1) | instskip(NEXT) | instid1(VALU_DEP_1)
	v_dual_lshrrev_b32 v23, 1, v25 :: v_dual_bitop2_b32 v25, -2, v25 bitop3:0x40
	v_xad_u32 v26, v23, -1, v49
	s_delay_alu instid0(VALU_DEP_2) | instskip(NEXT) | instid1(VALU_DEP_2)
	v_add_nc_u32_e32 v25, v22, v25
	v_lshl_add_u32 v26, v26, 1, v24
	ds_load_u16 v27, v26
	ds_load_u16 v26, v25
	s_wait_dscnt 0x1
	v_lshlrev_b32_e32 v25, 16, v27
	s_delay_alu instid0(VALU_DEP_1) | instskip(NEXT) | instid1(VALU_DEP_1)
	v_add_f32_e32 v27, 0, v25
	v_and_b32_e32 v25, 0x7f800000, v27
	s_delay_alu instid0(VALU_DEP_1) | instskip(SKIP_1) | instid1(SALU_CYCLE_1)
	v_cmp_ne_u32_e64 s3, 0x7f800000, v25
                                        ; implicit-def: $vgpr25
	s_and_saveexec_b32 s6, s3
	s_xor_b32 s3, exec_lo, s6
; %bb.75:                               ;   in Loop: Header=BB1956_74 Depth=1
	v_bfe_u32 v25, v27, 16, 1
	s_delay_alu instid0(VALU_DEP_1)
	v_add3_u32 v25, v27, v25, 0x7fff
                                        ; implicit-def: $vgpr27
; %bb.76:                               ;   in Loop: Header=BB1956_74 Depth=1
	s_and_not1_saveexec_b32 s6, s3
; %bb.77:                               ;   in Loop: Header=BB1956_74 Depth=1
	v_and_b32_e32 v25, 0xffff, v27
	v_or_b32_e32 v31, 0x10000, v27
	s_delay_alu instid0(VALU_DEP_2) | instskip(NEXT) | instid1(VALU_DEP_1)
	v_cmp_eq_u32_e64 s3, 0, v25
	v_cndmask_b32_e64 v25, v31, v27, s3
; %bb.78:                               ;   in Loop: Header=BB1956_74 Depth=1
	s_or_b32 exec_lo, exec_lo, s6
	s_wait_dscnt 0x0
	v_lshlrev_b32_e32 v26, 16, v26
	s_delay_alu instid0(VALU_DEP_1) | instskip(NEXT) | instid1(VALU_DEP_1)
	v_add_f32_e32 v27, 0, v26
	v_and_b32_e32 v26, 0x7f800000, v27
	s_delay_alu instid0(VALU_DEP_1) | instskip(SKIP_1) | instid1(SALU_CYCLE_1)
	v_cmp_ne_u32_e64 s3, 0x7f800000, v26
                                        ; implicit-def: $vgpr26
	s_and_saveexec_b32 s6, s3
	s_xor_b32 s3, exec_lo, s6
; %bb.79:                               ;   in Loop: Header=BB1956_74 Depth=1
	v_bfe_u32 v26, v27, 16, 1
	s_delay_alu instid0(VALU_DEP_1)
	v_add3_u32 v26, v27, v26, 0x7fff
                                        ; implicit-def: $vgpr27
; %bb.80:                               ;   in Loop: Header=BB1956_74 Depth=1
	s_and_not1_saveexec_b32 s6, s3
	s_cbranch_execz .LBB1956_73
; %bb.81:                               ;   in Loop: Header=BB1956_74 Depth=1
	v_and_b32_e32 v26, 0xffff, v27
	v_or_b32_e32 v31, 0x10000, v27
	s_delay_alu instid0(VALU_DEP_2) | instskip(NEXT) | instid1(VALU_DEP_1)
	v_cmp_eq_u32_e64 s3, 0, v26
	v_cndmask_b32_e64 v26, v31, v27, s3
	s_branch .LBB1956_73
.LBB1956_82:
	flat_load_b64 v[12:13], v[20:21]
	v_dual_mov_b32 v14, v5 :: v_dual_mov_b32 v15, v5
	v_dual_mov_b32 v16, v5 :: v_dual_mov_b32 v17, v5
	;; [unrolled: 1-line block ×3, first 2 shown]
	s_wait_xcnt 0x0
	s_or_b32 exec_lo, exec_lo, s3
	s_and_saveexec_b32 s3, s0
	s_cbranch_execz .LBB1956_10
.LBB1956_83:
	flat_load_b64 v[14:15], v[20:21] offset:8
	s_wait_xcnt 0x0
	s_or_b32 exec_lo, exec_lo, s3
	s_and_saveexec_b32 s3, s1
	s_cbranch_execz .LBB1956_11
.LBB1956_84:
	flat_load_b64 v[16:17], v[20:21] offset:16
	s_wait_xcnt 0x0
	s_or_b32 exec_lo, exec_lo, s3
	s_and_saveexec_b32 s3, s2
	s_cbranch_execnz .LBB1956_12
	s_branch .LBB1956_13
.LBB1956_85:
	s_or_b32 exec_lo, exec_lo, s5
.LBB1956_86:
	s_delay_alu instid0(SALU_CYCLE_1) | instskip(SKIP_4) | instid1(VALU_DEP_4)
	s_or_b32 exec_lo, exec_lo, s4
	v_add_nc_u32_e32 v22, v38, v49
	v_dual_add_nc_u32 v31, 6, v5 :: v_dual_add_nc_u32 v24, v50, v48
	v_add_nc_u32_e32 v33, 0x800, v35
	v_dual_add_nc_u32 v11, 2, v5 :: v_dual_add_nc_u32 v27, 4, v5
	v_sub_nc_u32_e32 v25, v22, v50
	s_delay_alu instid0(VALU_DEP_4)
	v_cmp_le_u32_e64 s3, v24, v38
	v_add_nc_u32_e32 v26, 0x808, v35
	v_add_nc_u32_e32 v34, 0x810, v35
	;; [unrolled: 1-line block ×3, first 2 shown]
	v_cmp_le_u32_e64 s4, v25, v39
	s_or_b32 s3, s3, s4
	s_delay_alu instid0(SALU_CYCLE_1)
	s_and_saveexec_b32 s5, s3
	s_cbranch_execz .LBB1956_138
; %bb.87:
	v_cmp_ge_u32_e64 s3, v24, v38
	s_mov_b32 s6, exec_lo
                                        ; implicit-def: $vgpr22
	v_cmpx_lt_u32_e64 v24, v38
; %bb.88:
	v_lshl_add_u32 v12, v24, 1, v20
	ds_load_u16 v22, v12
; %bb.89:
	s_or_b32 exec_lo, exec_lo, s6
	v_cmp_ge_u32_e64 s6, v25, v39
	s_mov_b32 s7, exec_lo
                                        ; implicit-def: $vgpr23
	v_cmpx_lt_u32_e64 v25, v39
; %bb.90:
	v_lshl_add_u32 v12, v25, 1, v20
	ds_load_u16 v23, v12
; %bb.91:
	s_or_b32 exec_lo, exec_lo, s7
	s_nor_b32 s3, s3, s6
	s_delay_alu instid0(SALU_CYCLE_1)
	s_and_saveexec_b32 s4, s3
	s_cbranch_execz .LBB1956_101
; %bb.92:
	s_wait_dscnt 0x0
	v_lshlrev_b32_e32 v12, 16, v23
	s_delay_alu instid0(VALU_DEP_1) | instskip(NEXT) | instid1(VALU_DEP_1)
	v_add_f32_e32 v13, 0, v12
	v_and_b32_e32 v12, 0x7f800000, v13
	s_delay_alu instid0(VALU_DEP_1) | instskip(SKIP_1) | instid1(SALU_CYCLE_1)
	v_cmp_ne_u32_e64 s3, 0x7f800000, v12
                                        ; implicit-def: $vgpr12
	s_and_saveexec_b32 s7, s3
	s_xor_b32 s3, exec_lo, s7
; %bb.93:
	v_bfe_u32 v12, v13, 16, 1
	s_delay_alu instid0(VALU_DEP_1)
	v_add3_u32 v12, v13, v12, 0x7fff
                                        ; implicit-def: $vgpr13
; %bb.94:
	s_and_not1_saveexec_b32 s7, s3
; %bb.95:
	v_and_b32_e32 v12, 0xffff, v13
	v_or_b32_e32 v14, 0x10000, v13
	s_delay_alu instid0(VALU_DEP_2) | instskip(NEXT) | instid1(VALU_DEP_1)
	v_cmp_eq_u32_e64 s3, 0, v12
	v_cndmask_b32_e64 v12, v14, v13, s3
; %bb.96:
	s_or_b32 exec_lo, exec_lo, s7
	v_lshlrev_b32_e32 v13, 16, v22
	s_delay_alu instid0(VALU_DEP_1) | instskip(NEXT) | instid1(VALU_DEP_1)
	v_add_f32_e32 v14, 0, v13
	v_and_b32_e32 v13, 0x7f800000, v14
	s_delay_alu instid0(VALU_DEP_1) | instskip(SKIP_1) | instid1(SALU_CYCLE_1)
	v_cmp_ne_u32_e64 s3, 0x7f800000, v13
                                        ; implicit-def: $vgpr13
	s_and_saveexec_b32 s7, s3
	s_xor_b32 s3, exec_lo, s7
; %bb.97:
	v_bfe_u32 v13, v14, 16, 1
	s_delay_alu instid0(VALU_DEP_1)
	v_add3_u32 v13, v14, v13, 0x7fff
                                        ; implicit-def: $vgpr14
; %bb.98:
	s_and_not1_saveexec_b32 s7, s3
; %bb.99:
	v_and_b32_e32 v13, 0xffff, v14
	v_or_b32_e32 v15, 0x10000, v14
	s_delay_alu instid0(VALU_DEP_2) | instskip(NEXT) | instid1(VALU_DEP_1)
	v_cmp_eq_u32_e64 s3, 0, v13
	v_cndmask_b32_e64 v13, v15, v14, s3
; %bb.100:
	s_or_b32 exec_lo, exec_lo, s7
	v_cmp_lt_i32_e64 s3, -1, v12
	s_delay_alu instid0(VALU_DEP_2) | instskip(SKIP_3) | instid1(VALU_DEP_1)
	v_perm_b32 v12, v13, v12, 0x7060302
	s_and_not1_b32 s6, s6, exec_lo
	v_cndmask_b32_e64 v14, -1, 0xffff8000, s3
	v_cmp_lt_i32_e64 s3, -1, v13
	v_cndmask_b32_e64 v15, -1, 0xffff8000, s3
	s_delay_alu instid0(VALU_DEP_1) | instskip(NEXT) | instid1(VALU_DEP_1)
	v_perm_b32 v13, v15, v14, 0x5040100
	v_xor_b32_e32 v12, v13, v12
	s_delay_alu instid0(VALU_DEP_1) | instskip(NEXT) | instid1(VALU_DEP_1)
	v_lshrrev_b32_e32 v13, 16, v12
	v_cmp_le_u16_e64 s3, v12, v13
	s_and_b32 s3, s3, exec_lo
	s_delay_alu instid0(SALU_CYCLE_1)
	s_or_b32 s6, s6, s3
.LBB1956_101:
	s_or_b32 exec_lo, exec_lo, s4
	v_dual_cndmask_b32 v12, v25, v24, s6 :: v_dual_cndmask_b32 v13, v39, v38, s6
	s_mov_b32 s7, -1
	s_mov_b32 s4, -1
	s_mov_b32 s8, exec_lo
	s_delay_alu instid0(VALU_DEP_1) | instskip(SKIP_1) | instid1(VALU_DEP_2)
	v_add_nc_u32_e32 v14, 1, v12
	v_lshl_add_u32 v12, v12, 3, v10
	v_add_min_u32_e64 v13, v13, -1, v14
	s_delay_alu instid0(VALU_DEP_1)
	v_lshl_add_u32 v13, v13, 1, v20
	ds_load_u16 v15, v13
	ds_load_b64 v[12:13], v12 offset:2048
	s_wait_dscnt 0x1
	v_dual_cndmask_b32 v17, v24, v14, s6 :: v_dual_cndmask_b32 v24, v15, v23, s6
	v_cndmask_b32_e64 v16, v14, v25, s6
	v_cndmask_b32_e64 v25, v22, v15, s6
	s_delay_alu instid0(VALU_DEP_2)
	v_cmpx_lt_u32_e64 v16, v39
	s_cbranch_execz .LBB1956_113
; %bb.102:
	s_mov_b32 s9, 0
	s_mov_b32 s4, exec_lo
	v_cmpx_lt_u32_e64 v17, v38
	s_cbranch_execz .LBB1956_112
; %bb.103:
	v_lshlrev_b32_e32 v14, 16, v24
	s_delay_alu instid0(VALU_DEP_1) | instskip(NEXT) | instid1(VALU_DEP_1)
	v_add_f32_e32 v15, 0, v14
	v_and_b32_e32 v14, 0x7f800000, v15
	s_delay_alu instid0(VALU_DEP_1) | instskip(SKIP_1) | instid1(SALU_CYCLE_1)
	v_cmp_ne_u32_e64 s3, 0x7f800000, v14
                                        ; implicit-def: $vgpr14
	s_and_saveexec_b32 s9, s3
	s_xor_b32 s3, exec_lo, s9
; %bb.104:
	v_bfe_u32 v14, v15, 16, 1
	s_delay_alu instid0(VALU_DEP_1)
	v_add3_u32 v14, v15, v14, 0x7fff
                                        ; implicit-def: $vgpr15
; %bb.105:
	s_and_not1_saveexec_b32 s9, s3
; %bb.106:
	v_and_b32_e32 v14, 0xffff, v15
	v_or_b32_e32 v18, 0x10000, v15
	s_delay_alu instid0(VALU_DEP_2) | instskip(NEXT) | instid1(VALU_DEP_1)
	v_cmp_eq_u32_e64 s3, 0, v14
	v_cndmask_b32_e64 v14, v18, v15, s3
; %bb.107:
	s_or_b32 exec_lo, exec_lo, s9
	v_lshlrev_b32_e32 v15, 16, v25
	s_delay_alu instid0(VALU_DEP_1) | instskip(NEXT) | instid1(VALU_DEP_1)
	v_add_f32_e32 v18, 0, v15
	v_and_b32_e32 v15, 0x7f800000, v18
	s_delay_alu instid0(VALU_DEP_1) | instskip(SKIP_1) | instid1(SALU_CYCLE_1)
	v_cmp_ne_u32_e64 s3, 0x7f800000, v15
                                        ; implicit-def: $vgpr15
	s_and_saveexec_b32 s9, s3
	s_xor_b32 s3, exec_lo, s9
; %bb.108:
	v_bfe_u32 v15, v18, 16, 1
	s_delay_alu instid0(VALU_DEP_1)
	v_add3_u32 v15, v18, v15, 0x7fff
                                        ; implicit-def: $vgpr18
; %bb.109:
	s_and_not1_saveexec_b32 s9, s3
; %bb.110:
	v_and_b32_e32 v15, 0xffff, v18
	v_or_b32_e32 v19, 0x10000, v18
	s_delay_alu instid0(VALU_DEP_2) | instskip(NEXT) | instid1(VALU_DEP_1)
	v_cmp_eq_u32_e64 s3, 0, v15
	v_cndmask_b32_e64 v15, v19, v18, s3
; %bb.111:
	s_or_b32 exec_lo, exec_lo, s9
	v_cmp_lt_i32_e64 s3, -1, v14
	s_delay_alu instid0(VALU_DEP_2) | instskip(NEXT) | instid1(VALU_DEP_2)
	v_perm_b32 v14, v15, v14, 0x7060302
	v_cndmask_b32_e64 v18, -1, 0xffff8000, s3
	v_cmp_lt_i32_e64 s3, -1, v15
	s_delay_alu instid0(VALU_DEP_1) | instskip(NEXT) | instid1(VALU_DEP_1)
	v_cndmask_b32_e64 v19, -1, 0xffff8000, s3
	v_perm_b32 v15, v19, v18, 0x5040100
	s_delay_alu instid0(VALU_DEP_1) | instskip(NEXT) | instid1(VALU_DEP_1)
	v_xor_b32_e32 v14, v15, v14
	v_lshrrev_b32_e32 v15, 16, v14
	s_delay_alu instid0(VALU_DEP_1)
	v_cmp_le_u16_e64 s3, v14, v15
	s_and_b32 s9, s3, exec_lo
.LBB1956_112:
	s_or_b32 exec_lo, exec_lo, s4
	s_delay_alu instid0(SALU_CYCLE_1)
	s_or_not1_b32 s4, s9, exec_lo
.LBB1956_113:
	s_or_b32 exec_lo, exec_lo, s8
	v_dual_cndmask_b32 v14, v16, v17, s4 :: v_dual_cndmask_b32 v15, v39, v38, s4
	s_mov_b32 s8, exec_lo
	s_delay_alu instid0(VALU_DEP_1) | instskip(SKIP_1) | instid1(VALU_DEP_2)
	v_add_nc_u32_e32 v19, 1, v14
	v_lshl_add_u32 v14, v14, 3, v10
	v_add_min_u32_e64 v15, v15, -1, v19
	s_delay_alu instid0(VALU_DEP_1)
	v_lshl_add_u32 v15, v15, 1, v20
	ds_load_u16 v32, v15
	ds_load_b64 v[14:15], v14 offset:2048
	s_wait_dscnt 0x1
	v_cndmask_b32_e64 v30, v32, v24, s4
	v_dual_cndmask_b32 v18, v19, v16, s4 :: v_dual_cndmask_b32 v19, v17, v19, s4
	v_cndmask_b32_e64 v32, v25, v32, s4
	s_delay_alu instid0(VALU_DEP_2)
	v_cmpx_lt_u32_e64 v18, v39
	s_cbranch_execz .LBB1956_125
; %bb.114:
	s_mov_b32 s9, 0
	s_mov_b32 s7, exec_lo
	v_cmpx_lt_u32_e64 v19, v38
	s_cbranch_execz .LBB1956_124
; %bb.115:
	v_lshlrev_b32_e32 v16, 16, v30
	s_delay_alu instid0(VALU_DEP_1) | instskip(NEXT) | instid1(VALU_DEP_1)
	v_add_f32_e32 v17, 0, v16
	v_and_b32_e32 v16, 0x7f800000, v17
	s_delay_alu instid0(VALU_DEP_1) | instskip(SKIP_1) | instid1(SALU_CYCLE_1)
	v_cmp_ne_u32_e64 s3, 0x7f800000, v16
                                        ; implicit-def: $vgpr16
	s_and_saveexec_b32 s9, s3
	s_xor_b32 s3, exec_lo, s9
; %bb.116:
	v_bfe_u32 v16, v17, 16, 1
	s_delay_alu instid0(VALU_DEP_1)
	v_add3_u32 v16, v17, v16, 0x7fff
                                        ; implicit-def: $vgpr17
; %bb.117:
	s_and_not1_saveexec_b32 s9, s3
; %bb.118:
	v_and_b32_e32 v16, 0xffff, v17
	v_or_b32_e32 v36, 0x10000, v17
	s_delay_alu instid0(VALU_DEP_2) | instskip(NEXT) | instid1(VALU_DEP_1)
	v_cmp_eq_u32_e64 s3, 0, v16
	v_cndmask_b32_e64 v16, v36, v17, s3
; %bb.119:
	s_or_b32 exec_lo, exec_lo, s9
	v_lshlrev_b32_e32 v17, 16, v32
	s_delay_alu instid0(VALU_DEP_1) | instskip(NEXT) | instid1(VALU_DEP_1)
	v_add_f32_e32 v36, 0, v17
	v_and_b32_e32 v17, 0x7f800000, v36
	s_delay_alu instid0(VALU_DEP_1) | instskip(SKIP_1) | instid1(SALU_CYCLE_1)
	v_cmp_ne_u32_e64 s3, 0x7f800000, v17
                                        ; implicit-def: $vgpr17
	s_and_saveexec_b32 s9, s3
	s_xor_b32 s3, exec_lo, s9
; %bb.120:
	v_bfe_u32 v17, v36, 16, 1
	s_delay_alu instid0(VALU_DEP_1)
	v_add3_u32 v17, v36, v17, 0x7fff
                                        ; implicit-def: $vgpr36
; %bb.121:
	s_and_not1_saveexec_b32 s9, s3
; %bb.122:
	v_and_b32_e32 v17, 0xffff, v36
	v_or_b32_e32 v37, 0x10000, v36
	s_delay_alu instid0(VALU_DEP_2) | instskip(NEXT) | instid1(VALU_DEP_1)
	v_cmp_eq_u32_e64 s3, 0, v17
	v_cndmask_b32_e64 v17, v37, v36, s3
; %bb.123:
	s_or_b32 exec_lo, exec_lo, s9
	v_cmp_lt_i32_e64 s3, -1, v16
	s_delay_alu instid0(VALU_DEP_2) | instskip(NEXT) | instid1(VALU_DEP_2)
	v_perm_b32 v16, v17, v16, 0x7060302
	v_cndmask_b32_e64 v36, -1, 0xffff8000, s3
	v_cmp_lt_i32_e64 s3, -1, v17
	s_delay_alu instid0(VALU_DEP_1) | instskip(NEXT) | instid1(VALU_DEP_1)
	v_cndmask_b32_e64 v37, -1, 0xffff8000, s3
	v_perm_b32 v17, v37, v36, 0x5040100
	s_delay_alu instid0(VALU_DEP_1) | instskip(NEXT) | instid1(VALU_DEP_1)
	v_xor_b32_e32 v16, v17, v16
	v_lshrrev_b32_e32 v17, 16, v16
	s_delay_alu instid0(VALU_DEP_1)
	v_cmp_le_u16_e64 s3, v16, v17
	s_and_b32 s9, s3, exec_lo
.LBB1956_124:
	s_or_b32 exec_lo, exec_lo, s7
	s_delay_alu instid0(SALU_CYCLE_1)
	s_or_not1_b32 s7, s9, exec_lo
.LBB1956_125:
	s_or_b32 exec_lo, exec_lo, s8
	v_dual_cndmask_b32 v16, v18, v19, s7 :: v_dual_cndmask_b32 v17, v39, v38, s7
	s_mov_b32 s9, -1
	s_mov_b32 s8, exec_lo
	s_delay_alu instid0(VALU_DEP_1) | instskip(SKIP_1) | instid1(VALU_DEP_2)
	v_add_nc_u32_e32 v36, 1, v16
	v_lshl_add_u32 v16, v16, 3, v10
	v_add_min_u32_e64 v17, v17, -1, v36
	s_delay_alu instid0(VALU_DEP_1)
	v_lshl_add_u32 v17, v17, 1, v20
	ds_load_u16 v37, v17
	ds_load_b64 v[16:17], v16 offset:2048
	s_wait_dscnt 0x1
	v_cndmask_b32_e64 v48, v37, v30, s7
	v_dual_cndmask_b32 v18, v36, v18, s7 :: v_dual_cndmask_b32 v19, v19, v36, s7
	v_cndmask_b32_e64 v49, v32, v37, s7
	s_delay_alu instid0(VALU_DEP_2)
	v_cmpx_lt_u32_e64 v18, v39
	s_cbranch_execz .LBB1956_137
; %bb.126:
	s_mov_b32 s10, 0
	s_mov_b32 s9, exec_lo
	v_cmpx_lt_u32_e64 v19, v38
	s_cbranch_execz .LBB1956_136
; %bb.127:
	v_lshlrev_b32_e32 v36, 16, v48
	s_delay_alu instid0(VALU_DEP_1) | instskip(NEXT) | instid1(VALU_DEP_1)
	v_add_f32_e32 v37, 0, v36
	v_and_b32_e32 v36, 0x7f800000, v37
	s_delay_alu instid0(VALU_DEP_1) | instskip(SKIP_1) | instid1(SALU_CYCLE_1)
	v_cmp_ne_u32_e64 s3, 0x7f800000, v36
                                        ; implicit-def: $vgpr36
	s_and_saveexec_b32 s10, s3
	s_xor_b32 s3, exec_lo, s10
; %bb.128:
	v_bfe_u32 v36, v37, 16, 1
	s_delay_alu instid0(VALU_DEP_1)
	v_add3_u32 v36, v37, v36, 0x7fff
                                        ; implicit-def: $vgpr37
; %bb.129:
	s_and_not1_saveexec_b32 s10, s3
; %bb.130:
	v_and_b32_e32 v36, 0xffff, v37
	v_or_b32_e32 v38, 0x10000, v37
	s_delay_alu instid0(VALU_DEP_2) | instskip(NEXT) | instid1(VALU_DEP_1)
	v_cmp_eq_u32_e64 s3, 0, v36
	v_cndmask_b32_e64 v36, v38, v37, s3
; %bb.131:
	s_or_b32 exec_lo, exec_lo, s10
	v_lshlrev_b32_e32 v37, 16, v49
	s_delay_alu instid0(VALU_DEP_1) | instskip(NEXT) | instid1(VALU_DEP_1)
	v_add_f32_e32 v38, 0, v37
	v_and_b32_e32 v37, 0x7f800000, v38
	s_delay_alu instid0(VALU_DEP_1) | instskip(SKIP_1) | instid1(SALU_CYCLE_1)
	v_cmp_ne_u32_e64 s3, 0x7f800000, v37
                                        ; implicit-def: $vgpr37
	s_and_saveexec_b32 s10, s3
	s_xor_b32 s3, exec_lo, s10
; %bb.132:
	v_bfe_u32 v37, v38, 16, 1
	s_delay_alu instid0(VALU_DEP_1)
	v_add3_u32 v37, v38, v37, 0x7fff
                                        ; implicit-def: $vgpr38
; %bb.133:
	s_and_not1_saveexec_b32 s10, s3
; %bb.134:
	v_and_b32_e32 v37, 0xffff, v38
	v_or_b32_e32 v39, 0x10000, v38
	s_delay_alu instid0(VALU_DEP_2) | instskip(NEXT) | instid1(VALU_DEP_1)
	v_cmp_eq_u32_e64 s3, 0, v37
	v_cndmask_b32_e64 v37, v39, v38, s3
; %bb.135:
	s_or_b32 exec_lo, exec_lo, s10
	v_cmp_lt_i32_e64 s3, -1, v36
	s_delay_alu instid0(VALU_DEP_2) | instskip(NEXT) | instid1(VALU_DEP_2)
	v_perm_b32 v36, v37, v36, 0x7060302
	v_cndmask_b32_e64 v38, -1, 0xffff8000, s3
	v_cmp_lt_i32_e64 s3, -1, v37
	s_delay_alu instid0(VALU_DEP_1) | instskip(NEXT) | instid1(VALU_DEP_1)
	v_cndmask_b32_e64 v39, -1, 0xffff8000, s3
	v_perm_b32 v37, v39, v38, 0x5040100
	s_delay_alu instid0(VALU_DEP_1) | instskip(NEXT) | instid1(VALU_DEP_1)
	v_xor_b32_e32 v36, v37, v36
	v_lshrrev_b32_e32 v37, 16, v36
	s_delay_alu instid0(VALU_DEP_1)
	v_cmp_le_u16_e64 s3, v36, v37
	s_and_b32 s10, s3, exec_lo
.LBB1956_136:
	s_or_b32 exec_lo, exec_lo, s9
	s_delay_alu instid0(SALU_CYCLE_1)
	s_or_not1_b32 s9, s10, exec_lo
.LBB1956_137:
	s_or_b32 exec_lo, exec_lo, s8
	v_cndmask_b32_e64 v18, v18, v19, s9
	v_dual_cndmask_b32 v37, v30, v32, s7 :: v_dual_cndmask_b32 v36, v23, v22, s6
	v_cndmask_b32_e64 v32, v24, v25, s4
	v_cndmask_b32_e64 v30, v48, v49, s9
	s_delay_alu instid0(VALU_DEP_4)
	v_lshl_add_u32 v18, v18, 3, v10
	ds_load_b64 v[18:19], v18 offset:2048
.LBB1956_138:
	s_or_b32 exec_lo, exec_lo, s5
	v_and_b32_e32 v48, 0x70, v29
	s_mov_b32 s4, exec_lo
	; wave barrier
	ds_store_b16 v5, v36
	ds_store_b64 v33, v[12:13]
	v_or_b32_e32 v22, 8, v48
	ds_store_b16 v11, v32
	ds_store_b64 v26, v[14:15]
	ds_store_b16 v27, v37
	s_wait_dscnt 0x6
	ds_store_b64 v34, v[16:17]
	ds_store_b16 v31, v30
	s_wait_dscnt 0x7
	ds_store_b64 v35, v[18:19]
	; wave barrier
	v_min_u32_e32 v38, v1, v22
	v_and_b32_e32 v22, 12, v29
	s_delay_alu instid0(VALU_DEP_2) | instskip(NEXT) | instid1(VALU_DEP_2)
	v_add_min_u32_e64 v39, v38, 8, v1
	v_min_u32_e32 v49, v1, v22
	s_delay_alu instid0(VALU_DEP_2) | instskip(NEXT) | instid1(VALU_DEP_1)
	v_dual_sub_nc_u32 v23, v38, v48 :: v_dual_sub_nc_u32 v22, v39, v38
	v_min_u32_e32 v51, v49, v23
	s_delay_alu instid0(VALU_DEP_2) | instskip(NEXT) | instid1(VALU_DEP_1)
	v_sub_nc_u32_e64 v50, v49, v22 clamp
	v_cmpx_lt_u32_e64 v50, v51
	s_cbranch_execz .LBB1956_150
; %bb.139:
	v_dual_mov_b32 v25, 0 :: v_dual_lshlrev_b32 v24, 1, v48
	s_mov_b32 s5, 0
	s_delay_alu instid0(VALU_DEP_1) | instskip(SKIP_1) | instid1(VALU_DEP_1)
	v_add_nc_u64_e32 v[22:23], v[20:21], v[24:25]
	v_lshlrev_b32_e32 v24, 1, v38
	v_add_nc_u64_e32 v[24:25], v[20:21], v[24:25]
	s_branch .LBB1956_141
.LBB1956_140:                           ;   in Loop: Header=BB1956_141 Depth=1
	s_or_b32 exec_lo, exec_lo, s6
	v_cmp_lt_i32_e64 s3, -1, v25
	s_delay_alu instid0(VALU_DEP_2) | instskip(NEXT) | instid1(VALU_DEP_2)
	v_perm_b32 v25, v52, v25, 0x7060302
	v_cndmask_b32_e64 v53, -1, 0xffff8000, s3
	v_cmp_lt_i32_e64 s3, -1, v52
	s_delay_alu instid0(VALU_DEP_1) | instskip(NEXT) | instid1(VALU_DEP_1)
	v_cndmask_b32_e64 v54, -1, 0xffff8000, s3
	v_perm_b32 v52, v54, v53, 0x5040100
	s_delay_alu instid0(VALU_DEP_1) | instskip(NEXT) | instid1(VALU_DEP_1)
	v_dual_add_nc_u32 v53, 1, v23 :: v_dual_bitop2_b32 v25, v52, v25 bitop3:0x14
	v_lshrrev_b32_e32 v52, 16, v25
	s_delay_alu instid0(VALU_DEP_1) | instskip(NEXT) | instid1(VALU_DEP_1)
	v_cmp_gt_u16_e64 s3, v25, v52
	v_dual_cndmask_b32 v51, v51, v23, s3 :: v_dual_cndmask_b32 v50, v53, v50, s3
	s_delay_alu instid0(VALU_DEP_1) | instskip(SKIP_1) | instid1(SALU_CYCLE_1)
	v_cmp_ge_u32_e64 s3, v50, v51
	s_or_b32 s5, s3, s5
	s_and_not1_b32 exec_lo, exec_lo, s5
	s_cbranch_execz .LBB1956_149
.LBB1956_141:                           ; =>This Inner Loop Header: Depth=1
	v_add_nc_u32_e32 v25, v51, v50
	s_delay_alu instid0(VALU_DEP_1) | instskip(NEXT) | instid1(VALU_DEP_1)
	v_dual_lshrrev_b32 v23, 1, v25 :: v_dual_bitop2_b32 v25, -2, v25 bitop3:0x40
	v_xad_u32 v52, v23, -1, v49
	s_delay_alu instid0(VALU_DEP_2) | instskip(NEXT) | instid1(VALU_DEP_2)
	v_add_nc_u32_e32 v25, v22, v25
	v_lshl_add_u32 v52, v52, 1, v24
	ds_load_u16 v53, v52
	ds_load_u16 v52, v25
	s_wait_dscnt 0x1
	v_lshlrev_b32_e32 v25, 16, v53
	s_delay_alu instid0(VALU_DEP_1) | instskip(NEXT) | instid1(VALU_DEP_1)
	v_add_f32_e32 v53, 0, v25
	v_and_b32_e32 v25, 0x7f800000, v53
	s_delay_alu instid0(VALU_DEP_1) | instskip(SKIP_1) | instid1(SALU_CYCLE_1)
	v_cmp_ne_u32_e64 s3, 0x7f800000, v25
                                        ; implicit-def: $vgpr25
	s_and_saveexec_b32 s6, s3
	s_xor_b32 s3, exec_lo, s6
; %bb.142:                              ;   in Loop: Header=BB1956_141 Depth=1
	v_bfe_u32 v25, v53, 16, 1
	s_delay_alu instid0(VALU_DEP_1)
	v_add3_u32 v25, v53, v25, 0x7fff
                                        ; implicit-def: $vgpr53
; %bb.143:                              ;   in Loop: Header=BB1956_141 Depth=1
	s_and_not1_saveexec_b32 s6, s3
; %bb.144:                              ;   in Loop: Header=BB1956_141 Depth=1
	v_and_b32_e32 v25, 0xffff, v53
	v_or_b32_e32 v54, 0x10000, v53
	s_delay_alu instid0(VALU_DEP_2) | instskip(NEXT) | instid1(VALU_DEP_1)
	v_cmp_eq_u32_e64 s3, 0, v25
	v_cndmask_b32_e64 v25, v54, v53, s3
; %bb.145:                              ;   in Loop: Header=BB1956_141 Depth=1
	s_or_b32 exec_lo, exec_lo, s6
	s_wait_dscnt 0x0
	v_lshlrev_b32_e32 v52, 16, v52
	s_delay_alu instid0(VALU_DEP_1) | instskip(NEXT) | instid1(VALU_DEP_1)
	v_add_f32_e32 v53, 0, v52
	v_and_b32_e32 v52, 0x7f800000, v53
	s_delay_alu instid0(VALU_DEP_1) | instskip(SKIP_1) | instid1(SALU_CYCLE_1)
	v_cmp_ne_u32_e64 s3, 0x7f800000, v52
                                        ; implicit-def: $vgpr52
	s_and_saveexec_b32 s6, s3
	s_xor_b32 s3, exec_lo, s6
; %bb.146:                              ;   in Loop: Header=BB1956_141 Depth=1
	v_bfe_u32 v52, v53, 16, 1
	s_delay_alu instid0(VALU_DEP_1)
	v_add3_u32 v52, v53, v52, 0x7fff
                                        ; implicit-def: $vgpr53
; %bb.147:                              ;   in Loop: Header=BB1956_141 Depth=1
	s_and_not1_saveexec_b32 s6, s3
	s_cbranch_execz .LBB1956_140
; %bb.148:                              ;   in Loop: Header=BB1956_141 Depth=1
	v_and_b32_e32 v52, 0xffff, v53
	v_or_b32_e32 v54, 0x10000, v53
	s_delay_alu instid0(VALU_DEP_2) | instskip(NEXT) | instid1(VALU_DEP_1)
	v_cmp_eq_u32_e64 s3, 0, v52
	v_cndmask_b32_e64 v52, v54, v53, s3
	s_branch .LBB1956_140
.LBB1956_149:
	s_or_b32 exec_lo, exec_lo, s5
.LBB1956_150:
	s_delay_alu instid0(SALU_CYCLE_1) | instskip(SKIP_2) | instid1(VALU_DEP_2)
	s_or_b32 exec_lo, exec_lo, s4
	v_add_nc_u32_e32 v22, v38, v49
	v_add_nc_u32_e32 v24, v50, v48
	v_sub_nc_u32_e32 v25, v22, v50
	s_delay_alu instid0(VALU_DEP_2) | instskip(NEXT) | instid1(VALU_DEP_2)
	v_cmp_le_u32_e64 s3, v24, v38
	v_cmp_le_u32_e64 s4, v25, v39
	s_or_b32 s3, s3, s4
	s_delay_alu instid0(SALU_CYCLE_1)
	s_and_saveexec_b32 s5, s3
	s_cbranch_execz .LBB1956_202
; %bb.151:
	v_cmp_ge_u32_e64 s3, v24, v38
	s_mov_b32 s6, exec_lo
                                        ; implicit-def: $vgpr22
	v_cmpx_lt_u32_e64 v24, v38
; %bb.152:
	v_lshl_add_u32 v12, v24, 1, v20
	ds_load_u16 v22, v12
; %bb.153:
	s_or_b32 exec_lo, exec_lo, s6
	v_cmp_ge_u32_e64 s6, v25, v39
	s_mov_b32 s7, exec_lo
                                        ; implicit-def: $vgpr23
	v_cmpx_lt_u32_e64 v25, v39
; %bb.154:
	v_lshl_add_u32 v12, v25, 1, v20
	ds_load_u16 v23, v12
; %bb.155:
	s_or_b32 exec_lo, exec_lo, s7
	s_nor_b32 s3, s3, s6
	s_delay_alu instid0(SALU_CYCLE_1)
	s_and_saveexec_b32 s4, s3
	s_cbranch_execz .LBB1956_165
; %bb.156:
	s_wait_dscnt 0x0
	v_lshlrev_b32_e32 v12, 16, v23
	s_delay_alu instid0(VALU_DEP_1) | instskip(NEXT) | instid1(VALU_DEP_1)
	v_add_f32_e32 v13, 0, v12
	v_and_b32_e32 v12, 0x7f800000, v13
	s_delay_alu instid0(VALU_DEP_1) | instskip(SKIP_1) | instid1(SALU_CYCLE_1)
	v_cmp_ne_u32_e64 s3, 0x7f800000, v12
                                        ; implicit-def: $vgpr12
	s_and_saveexec_b32 s7, s3
	s_xor_b32 s3, exec_lo, s7
; %bb.157:
	v_bfe_u32 v12, v13, 16, 1
	s_delay_alu instid0(VALU_DEP_1)
	v_add3_u32 v12, v13, v12, 0x7fff
                                        ; implicit-def: $vgpr13
; %bb.158:
	s_and_not1_saveexec_b32 s7, s3
; %bb.159:
	v_and_b32_e32 v12, 0xffff, v13
	v_or_b32_e32 v14, 0x10000, v13
	s_delay_alu instid0(VALU_DEP_2) | instskip(NEXT) | instid1(VALU_DEP_1)
	v_cmp_eq_u32_e64 s3, 0, v12
	v_cndmask_b32_e64 v12, v14, v13, s3
; %bb.160:
	s_or_b32 exec_lo, exec_lo, s7
	v_lshlrev_b32_e32 v13, 16, v22
	s_delay_alu instid0(VALU_DEP_1) | instskip(NEXT) | instid1(VALU_DEP_1)
	v_add_f32_e32 v14, 0, v13
	v_and_b32_e32 v13, 0x7f800000, v14
	s_delay_alu instid0(VALU_DEP_1) | instskip(SKIP_1) | instid1(SALU_CYCLE_1)
	v_cmp_ne_u32_e64 s3, 0x7f800000, v13
                                        ; implicit-def: $vgpr13
	s_and_saveexec_b32 s7, s3
	s_xor_b32 s3, exec_lo, s7
; %bb.161:
	v_bfe_u32 v13, v14, 16, 1
	s_delay_alu instid0(VALU_DEP_1)
	v_add3_u32 v13, v14, v13, 0x7fff
                                        ; implicit-def: $vgpr14
; %bb.162:
	s_and_not1_saveexec_b32 s7, s3
; %bb.163:
	v_and_b32_e32 v13, 0xffff, v14
	v_or_b32_e32 v15, 0x10000, v14
	s_delay_alu instid0(VALU_DEP_2) | instskip(NEXT) | instid1(VALU_DEP_1)
	v_cmp_eq_u32_e64 s3, 0, v13
	v_cndmask_b32_e64 v13, v15, v14, s3
; %bb.164:
	s_or_b32 exec_lo, exec_lo, s7
	v_cmp_lt_i32_e64 s3, -1, v12
	s_delay_alu instid0(VALU_DEP_2) | instskip(SKIP_3) | instid1(VALU_DEP_1)
	v_perm_b32 v12, v13, v12, 0x7060302
	s_and_not1_b32 s6, s6, exec_lo
	v_cndmask_b32_e64 v14, -1, 0xffff8000, s3
	v_cmp_lt_i32_e64 s3, -1, v13
	v_cndmask_b32_e64 v15, -1, 0xffff8000, s3
	s_delay_alu instid0(VALU_DEP_1) | instskip(NEXT) | instid1(VALU_DEP_1)
	v_perm_b32 v13, v15, v14, 0x5040100
	v_xor_b32_e32 v12, v13, v12
	s_delay_alu instid0(VALU_DEP_1) | instskip(NEXT) | instid1(VALU_DEP_1)
	v_lshrrev_b32_e32 v13, 16, v12
	v_cmp_le_u16_e64 s3, v12, v13
	s_and_b32 s3, s3, exec_lo
	s_delay_alu instid0(SALU_CYCLE_1)
	s_or_b32 s6, s6, s3
.LBB1956_165:
	s_or_b32 exec_lo, exec_lo, s4
	v_dual_cndmask_b32 v12, v25, v24, s6 :: v_dual_cndmask_b32 v13, v39, v38, s6
	s_mov_b32 s7, -1
	s_mov_b32 s4, -1
	s_mov_b32 s8, exec_lo
	s_delay_alu instid0(VALU_DEP_1) | instskip(SKIP_1) | instid1(VALU_DEP_2)
	v_add_nc_u32_e32 v14, 1, v12
	v_lshl_add_u32 v12, v12, 3, v10
	v_add_min_u32_e64 v13, v13, -1, v14
	s_delay_alu instid0(VALU_DEP_1)
	v_lshl_add_u32 v13, v13, 1, v20
	ds_load_u16 v15, v13
	ds_load_b64 v[12:13], v12 offset:2048
	s_wait_dscnt 0x1
	v_dual_cndmask_b32 v17, v24, v14, s6 :: v_dual_cndmask_b32 v24, v15, v23, s6
	v_cndmask_b32_e64 v16, v14, v25, s6
	v_cndmask_b32_e64 v25, v22, v15, s6
	s_delay_alu instid0(VALU_DEP_2)
	v_cmpx_lt_u32_e64 v16, v39
	s_cbranch_execz .LBB1956_177
; %bb.166:
	s_mov_b32 s9, 0
	s_mov_b32 s4, exec_lo
	v_cmpx_lt_u32_e64 v17, v38
	s_cbranch_execz .LBB1956_176
; %bb.167:
	v_lshlrev_b32_e32 v14, 16, v24
	s_delay_alu instid0(VALU_DEP_1) | instskip(NEXT) | instid1(VALU_DEP_1)
	v_add_f32_e32 v15, 0, v14
	v_and_b32_e32 v14, 0x7f800000, v15
	s_delay_alu instid0(VALU_DEP_1) | instskip(SKIP_1) | instid1(SALU_CYCLE_1)
	v_cmp_ne_u32_e64 s3, 0x7f800000, v14
                                        ; implicit-def: $vgpr14
	s_and_saveexec_b32 s9, s3
	s_xor_b32 s3, exec_lo, s9
; %bb.168:
	v_bfe_u32 v14, v15, 16, 1
	s_delay_alu instid0(VALU_DEP_1)
	v_add3_u32 v14, v15, v14, 0x7fff
                                        ; implicit-def: $vgpr15
; %bb.169:
	s_and_not1_saveexec_b32 s9, s3
; %bb.170:
	v_and_b32_e32 v14, 0xffff, v15
	v_or_b32_e32 v18, 0x10000, v15
	s_delay_alu instid0(VALU_DEP_2) | instskip(NEXT) | instid1(VALU_DEP_1)
	v_cmp_eq_u32_e64 s3, 0, v14
	v_cndmask_b32_e64 v14, v18, v15, s3
; %bb.171:
	s_or_b32 exec_lo, exec_lo, s9
	v_lshlrev_b32_e32 v15, 16, v25
	s_delay_alu instid0(VALU_DEP_1) | instskip(NEXT) | instid1(VALU_DEP_1)
	v_add_f32_e32 v18, 0, v15
	v_and_b32_e32 v15, 0x7f800000, v18
	s_delay_alu instid0(VALU_DEP_1) | instskip(SKIP_1) | instid1(SALU_CYCLE_1)
	v_cmp_ne_u32_e64 s3, 0x7f800000, v15
                                        ; implicit-def: $vgpr15
	s_and_saveexec_b32 s9, s3
	s_xor_b32 s3, exec_lo, s9
; %bb.172:
	v_bfe_u32 v15, v18, 16, 1
	s_delay_alu instid0(VALU_DEP_1)
	v_add3_u32 v15, v18, v15, 0x7fff
                                        ; implicit-def: $vgpr18
; %bb.173:
	s_and_not1_saveexec_b32 s9, s3
; %bb.174:
	v_and_b32_e32 v15, 0xffff, v18
	v_or_b32_e32 v19, 0x10000, v18
	s_delay_alu instid0(VALU_DEP_2) | instskip(NEXT) | instid1(VALU_DEP_1)
	v_cmp_eq_u32_e64 s3, 0, v15
	v_cndmask_b32_e64 v15, v19, v18, s3
; %bb.175:
	s_or_b32 exec_lo, exec_lo, s9
	v_cmp_lt_i32_e64 s3, -1, v14
	s_delay_alu instid0(VALU_DEP_2) | instskip(NEXT) | instid1(VALU_DEP_2)
	v_perm_b32 v14, v15, v14, 0x7060302
	v_cndmask_b32_e64 v18, -1, 0xffff8000, s3
	v_cmp_lt_i32_e64 s3, -1, v15
	s_delay_alu instid0(VALU_DEP_1) | instskip(NEXT) | instid1(VALU_DEP_1)
	v_cndmask_b32_e64 v19, -1, 0xffff8000, s3
	v_perm_b32 v15, v19, v18, 0x5040100
	s_delay_alu instid0(VALU_DEP_1) | instskip(NEXT) | instid1(VALU_DEP_1)
	v_xor_b32_e32 v14, v15, v14
	v_lshrrev_b32_e32 v15, 16, v14
	s_delay_alu instid0(VALU_DEP_1)
	v_cmp_le_u16_e64 s3, v14, v15
	s_and_b32 s9, s3, exec_lo
.LBB1956_176:
	s_or_b32 exec_lo, exec_lo, s4
	s_delay_alu instid0(SALU_CYCLE_1)
	s_or_not1_b32 s4, s9, exec_lo
.LBB1956_177:
	s_or_b32 exec_lo, exec_lo, s8
	v_dual_cndmask_b32 v14, v16, v17, s4 :: v_dual_cndmask_b32 v15, v39, v38, s4
	s_mov_b32 s8, exec_lo
	s_delay_alu instid0(VALU_DEP_1) | instskip(SKIP_1) | instid1(VALU_DEP_2)
	v_add_nc_u32_e32 v19, 1, v14
	v_lshl_add_u32 v14, v14, 3, v10
	v_add_min_u32_e64 v15, v15, -1, v19
	s_delay_alu instid0(VALU_DEP_1)
	v_lshl_add_u32 v15, v15, 1, v20
	ds_load_u16 v32, v15
	ds_load_b64 v[14:15], v14 offset:2048
	s_wait_dscnt 0x1
	v_cndmask_b32_e64 v30, v32, v24, s4
	v_dual_cndmask_b32 v18, v19, v16, s4 :: v_dual_cndmask_b32 v19, v17, v19, s4
	v_cndmask_b32_e64 v32, v25, v32, s4
	s_delay_alu instid0(VALU_DEP_2)
	v_cmpx_lt_u32_e64 v18, v39
	s_cbranch_execz .LBB1956_189
; %bb.178:
	s_mov_b32 s9, 0
	s_mov_b32 s7, exec_lo
	v_cmpx_lt_u32_e64 v19, v38
	s_cbranch_execz .LBB1956_188
; %bb.179:
	v_lshlrev_b32_e32 v16, 16, v30
	s_delay_alu instid0(VALU_DEP_1) | instskip(NEXT) | instid1(VALU_DEP_1)
	v_add_f32_e32 v17, 0, v16
	v_and_b32_e32 v16, 0x7f800000, v17
	s_delay_alu instid0(VALU_DEP_1) | instskip(SKIP_1) | instid1(SALU_CYCLE_1)
	v_cmp_ne_u32_e64 s3, 0x7f800000, v16
                                        ; implicit-def: $vgpr16
	s_and_saveexec_b32 s9, s3
	s_xor_b32 s3, exec_lo, s9
; %bb.180:
	v_bfe_u32 v16, v17, 16, 1
	s_delay_alu instid0(VALU_DEP_1)
	v_add3_u32 v16, v17, v16, 0x7fff
                                        ; implicit-def: $vgpr17
; %bb.181:
	s_and_not1_saveexec_b32 s9, s3
; %bb.182:
	v_and_b32_e32 v16, 0xffff, v17
	v_or_b32_e32 v36, 0x10000, v17
	s_delay_alu instid0(VALU_DEP_2) | instskip(NEXT) | instid1(VALU_DEP_1)
	v_cmp_eq_u32_e64 s3, 0, v16
	v_cndmask_b32_e64 v16, v36, v17, s3
; %bb.183:
	s_or_b32 exec_lo, exec_lo, s9
	v_lshlrev_b32_e32 v17, 16, v32
	s_delay_alu instid0(VALU_DEP_1) | instskip(NEXT) | instid1(VALU_DEP_1)
	v_add_f32_e32 v36, 0, v17
	v_and_b32_e32 v17, 0x7f800000, v36
	s_delay_alu instid0(VALU_DEP_1) | instskip(SKIP_1) | instid1(SALU_CYCLE_1)
	v_cmp_ne_u32_e64 s3, 0x7f800000, v17
                                        ; implicit-def: $vgpr17
	s_and_saveexec_b32 s9, s3
	s_xor_b32 s3, exec_lo, s9
; %bb.184:
	v_bfe_u32 v17, v36, 16, 1
	s_delay_alu instid0(VALU_DEP_1)
	v_add3_u32 v17, v36, v17, 0x7fff
                                        ; implicit-def: $vgpr36
; %bb.185:
	s_and_not1_saveexec_b32 s9, s3
; %bb.186:
	v_and_b32_e32 v17, 0xffff, v36
	v_or_b32_e32 v37, 0x10000, v36
	s_delay_alu instid0(VALU_DEP_2) | instskip(NEXT) | instid1(VALU_DEP_1)
	v_cmp_eq_u32_e64 s3, 0, v17
	v_cndmask_b32_e64 v17, v37, v36, s3
; %bb.187:
	s_or_b32 exec_lo, exec_lo, s9
	v_cmp_lt_i32_e64 s3, -1, v16
	s_delay_alu instid0(VALU_DEP_2) | instskip(NEXT) | instid1(VALU_DEP_2)
	v_perm_b32 v16, v17, v16, 0x7060302
	v_cndmask_b32_e64 v36, -1, 0xffff8000, s3
	v_cmp_lt_i32_e64 s3, -1, v17
	s_delay_alu instid0(VALU_DEP_1) | instskip(NEXT) | instid1(VALU_DEP_1)
	v_cndmask_b32_e64 v37, -1, 0xffff8000, s3
	v_perm_b32 v17, v37, v36, 0x5040100
	s_delay_alu instid0(VALU_DEP_1) | instskip(NEXT) | instid1(VALU_DEP_1)
	v_xor_b32_e32 v16, v17, v16
	v_lshrrev_b32_e32 v17, 16, v16
	s_delay_alu instid0(VALU_DEP_1)
	v_cmp_le_u16_e64 s3, v16, v17
	s_and_b32 s9, s3, exec_lo
.LBB1956_188:
	s_or_b32 exec_lo, exec_lo, s7
	s_delay_alu instid0(SALU_CYCLE_1)
	s_or_not1_b32 s7, s9, exec_lo
.LBB1956_189:
	s_or_b32 exec_lo, exec_lo, s8
	v_dual_cndmask_b32 v16, v18, v19, s7 :: v_dual_cndmask_b32 v17, v39, v38, s7
	s_mov_b32 s9, -1
	s_mov_b32 s8, exec_lo
	s_delay_alu instid0(VALU_DEP_1) | instskip(SKIP_1) | instid1(VALU_DEP_2)
	v_add_nc_u32_e32 v36, 1, v16
	v_lshl_add_u32 v16, v16, 3, v10
	v_add_min_u32_e64 v17, v17, -1, v36
	s_delay_alu instid0(VALU_DEP_1)
	v_lshl_add_u32 v17, v17, 1, v20
	ds_load_u16 v37, v17
	ds_load_b64 v[16:17], v16 offset:2048
	s_wait_dscnt 0x1
	v_cndmask_b32_e64 v48, v37, v30, s7
	v_dual_cndmask_b32 v18, v36, v18, s7 :: v_dual_cndmask_b32 v19, v19, v36, s7
	v_cndmask_b32_e64 v49, v32, v37, s7
	s_delay_alu instid0(VALU_DEP_2)
	v_cmpx_lt_u32_e64 v18, v39
	s_cbranch_execz .LBB1956_201
; %bb.190:
	s_mov_b32 s10, 0
	s_mov_b32 s9, exec_lo
	v_cmpx_lt_u32_e64 v19, v38
	s_cbranch_execz .LBB1956_200
; %bb.191:
	v_lshlrev_b32_e32 v36, 16, v48
	s_delay_alu instid0(VALU_DEP_1) | instskip(NEXT) | instid1(VALU_DEP_1)
	v_add_f32_e32 v37, 0, v36
	v_and_b32_e32 v36, 0x7f800000, v37
	s_delay_alu instid0(VALU_DEP_1) | instskip(SKIP_1) | instid1(SALU_CYCLE_1)
	v_cmp_ne_u32_e64 s3, 0x7f800000, v36
                                        ; implicit-def: $vgpr36
	s_and_saveexec_b32 s10, s3
	s_xor_b32 s3, exec_lo, s10
; %bb.192:
	v_bfe_u32 v36, v37, 16, 1
	s_delay_alu instid0(VALU_DEP_1)
	v_add3_u32 v36, v37, v36, 0x7fff
                                        ; implicit-def: $vgpr37
; %bb.193:
	s_and_not1_saveexec_b32 s10, s3
; %bb.194:
	v_and_b32_e32 v36, 0xffff, v37
	v_or_b32_e32 v38, 0x10000, v37
	s_delay_alu instid0(VALU_DEP_2) | instskip(NEXT) | instid1(VALU_DEP_1)
	v_cmp_eq_u32_e64 s3, 0, v36
	v_cndmask_b32_e64 v36, v38, v37, s3
; %bb.195:
	s_or_b32 exec_lo, exec_lo, s10
	v_lshlrev_b32_e32 v37, 16, v49
	s_delay_alu instid0(VALU_DEP_1) | instskip(NEXT) | instid1(VALU_DEP_1)
	v_add_f32_e32 v38, 0, v37
	v_and_b32_e32 v37, 0x7f800000, v38
	s_delay_alu instid0(VALU_DEP_1) | instskip(SKIP_1) | instid1(SALU_CYCLE_1)
	v_cmp_ne_u32_e64 s3, 0x7f800000, v37
                                        ; implicit-def: $vgpr37
	s_and_saveexec_b32 s10, s3
	s_xor_b32 s3, exec_lo, s10
; %bb.196:
	v_bfe_u32 v37, v38, 16, 1
	s_delay_alu instid0(VALU_DEP_1)
	v_add3_u32 v37, v38, v37, 0x7fff
                                        ; implicit-def: $vgpr38
; %bb.197:
	s_and_not1_saveexec_b32 s10, s3
; %bb.198:
	v_and_b32_e32 v37, 0xffff, v38
	v_or_b32_e32 v39, 0x10000, v38
	s_delay_alu instid0(VALU_DEP_2) | instskip(NEXT) | instid1(VALU_DEP_1)
	v_cmp_eq_u32_e64 s3, 0, v37
	v_cndmask_b32_e64 v37, v39, v38, s3
; %bb.199:
	s_or_b32 exec_lo, exec_lo, s10
	v_cmp_lt_i32_e64 s3, -1, v36
	s_delay_alu instid0(VALU_DEP_2) | instskip(NEXT) | instid1(VALU_DEP_2)
	v_perm_b32 v36, v37, v36, 0x7060302
	v_cndmask_b32_e64 v38, -1, 0xffff8000, s3
	v_cmp_lt_i32_e64 s3, -1, v37
	s_delay_alu instid0(VALU_DEP_1) | instskip(NEXT) | instid1(VALU_DEP_1)
	v_cndmask_b32_e64 v39, -1, 0xffff8000, s3
	v_perm_b32 v37, v39, v38, 0x5040100
	s_delay_alu instid0(VALU_DEP_1) | instskip(NEXT) | instid1(VALU_DEP_1)
	v_xor_b32_e32 v36, v37, v36
	v_lshrrev_b32_e32 v37, 16, v36
	s_delay_alu instid0(VALU_DEP_1)
	v_cmp_le_u16_e64 s3, v36, v37
	s_and_b32 s10, s3, exec_lo
.LBB1956_200:
	s_or_b32 exec_lo, exec_lo, s9
	s_delay_alu instid0(SALU_CYCLE_1)
	s_or_not1_b32 s9, s10, exec_lo
.LBB1956_201:
	s_or_b32 exec_lo, exec_lo, s8
	v_cndmask_b32_e64 v18, v18, v19, s9
	v_dual_cndmask_b32 v37, v30, v32, s7 :: v_dual_cndmask_b32 v36, v23, v22, s6
	v_cndmask_b32_e64 v32, v24, v25, s4
	v_cndmask_b32_e64 v30, v48, v49, s9
	s_delay_alu instid0(VALU_DEP_4)
	v_lshl_add_u32 v18, v18, 3, v10
	ds_load_b64 v[18:19], v18 offset:2048
.LBB1956_202:
	s_or_b32 exec_lo, exec_lo, s5
	v_and_b32_e32 v39, 0x60, v29
	; wave barrier
	ds_store_b16 v5, v36
	ds_store_b64 v33, v[12:13]
	s_mov_b32 s4, exec_lo
	v_or_b32_e32 v22, 16, v39
	ds_store_b16 v11, v32
	ds_store_b64 v26, v[14:15]
	ds_store_b16 v27, v37
	s_wait_dscnt 0x6
	ds_store_b64 v34, v[16:17]
	ds_store_b16 v31, v30
	s_wait_dscnt 0x7
	ds_store_b64 v35, v[18:19]
	; wave barrier
	v_min_u32_e32 v29, v1, v22
	s_delay_alu instid0(VALU_DEP_1) | instskip(SKIP_1) | instid1(VALU_DEP_2)
	v_add_min_u32_e64 v38, v29, 16, v1
	v_min_u32_e32 v1, v1, v28
	v_dual_sub_nc_u32 v23, v29, v39 :: v_dual_sub_nc_u32 v22, v38, v29
	s_delay_alu instid0(VALU_DEP_1) | instskip(NEXT) | instid1(VALU_DEP_2)
	v_min_u32_e32 v28, v1, v23
	v_sub_nc_u32_e64 v5, v1, v22 clamp
	s_delay_alu instid0(VALU_DEP_1)
	v_cmpx_lt_u32_e64 v5, v28
	s_cbranch_execz .LBB1956_214
; %bb.203:
	v_dual_mov_b32 v25, 0 :: v_dual_lshlrev_b32 v24, 1, v39
	s_mov_b32 s5, 0
	s_delay_alu instid0(VALU_DEP_1) | instskip(SKIP_1) | instid1(VALU_DEP_1)
	v_add_nc_u64_e32 v[22:23], v[20:21], v[24:25]
	v_lshlrev_b32_e32 v24, 1, v29
	v_add_nc_u64_e32 v[24:25], v[20:21], v[24:25]
	s_branch .LBB1956_205
.LBB1956_204:                           ;   in Loop: Header=BB1956_205 Depth=1
	s_or_b32 exec_lo, exec_lo, s6
	v_cmp_lt_i32_e64 s3, -1, v21
	s_delay_alu instid0(VALU_DEP_2) | instskip(NEXT) | instid1(VALU_DEP_2)
	v_perm_b32 v21, v23, v21, 0x7060302
	v_cndmask_b32_e64 v25, -1, 0xffff8000, s3
	v_cmp_lt_i32_e64 s3, -1, v23
	s_delay_alu instid0(VALU_DEP_1) | instskip(NEXT) | instid1(VALU_DEP_1)
	v_cndmask_b32_e64 v26, -1, 0xffff8000, s3
	v_perm_b32 v23, v26, v25, 0x5040100
	s_delay_alu instid0(VALU_DEP_1) | instskip(NEXT) | instid1(VALU_DEP_1)
	v_dual_add_nc_u32 v25, 1, v11 :: v_dual_bitop2_b32 v21, v23, v21 bitop3:0x14
	v_lshrrev_b32_e32 v23, 16, v21
	s_delay_alu instid0(VALU_DEP_1) | instskip(NEXT) | instid1(VALU_DEP_1)
	v_cmp_gt_u16_e64 s3, v21, v23
	v_dual_cndmask_b32 v28, v28, v11, s3 :: v_dual_cndmask_b32 v5, v25, v5, s3
	s_delay_alu instid0(VALU_DEP_1) | instskip(SKIP_1) | instid1(SALU_CYCLE_1)
	v_cmp_ge_u32_e64 s3, v5, v28
	s_or_b32 s5, s3, s5
	s_and_not1_b32 exec_lo, exec_lo, s5
	s_cbranch_execz .LBB1956_213
.LBB1956_205:                           ; =>This Inner Loop Header: Depth=1
	v_add_nc_u32_e32 v21, v28, v5
	s_delay_alu instid0(VALU_DEP_1) | instskip(NEXT) | instid1(VALU_DEP_1)
	v_dual_lshrrev_b32 v11, 1, v21 :: v_dual_bitop2_b32 v21, -2, v21 bitop3:0x40
	v_xad_u32 v23, v11, -1, v1
	s_delay_alu instid0(VALU_DEP_2) | instskip(NEXT) | instid1(VALU_DEP_2)
	v_add_nc_u32_e32 v21, v22, v21
	v_lshl_add_u32 v23, v23, 1, v24
	ds_load_u16 v25, v23
	ds_load_u16 v23, v21
	s_wait_dscnt 0x1
	v_lshlrev_b32_e32 v21, 16, v25
	s_delay_alu instid0(VALU_DEP_1) | instskip(NEXT) | instid1(VALU_DEP_1)
	v_add_f32_e32 v25, 0, v21
	v_and_b32_e32 v21, 0x7f800000, v25
	s_delay_alu instid0(VALU_DEP_1) | instskip(SKIP_1) | instid1(SALU_CYCLE_1)
	v_cmp_ne_u32_e64 s3, 0x7f800000, v21
                                        ; implicit-def: $vgpr21
	s_and_saveexec_b32 s6, s3
	s_xor_b32 s3, exec_lo, s6
; %bb.206:                              ;   in Loop: Header=BB1956_205 Depth=1
	v_bfe_u32 v21, v25, 16, 1
	s_delay_alu instid0(VALU_DEP_1)
	v_add3_u32 v21, v25, v21, 0x7fff
                                        ; implicit-def: $vgpr25
; %bb.207:                              ;   in Loop: Header=BB1956_205 Depth=1
	s_and_not1_saveexec_b32 s6, s3
; %bb.208:                              ;   in Loop: Header=BB1956_205 Depth=1
	v_and_b32_e32 v21, 0xffff, v25
	v_or_b32_e32 v26, 0x10000, v25
	s_delay_alu instid0(VALU_DEP_2) | instskip(NEXT) | instid1(VALU_DEP_1)
	v_cmp_eq_u32_e64 s3, 0, v21
	v_cndmask_b32_e64 v21, v26, v25, s3
; %bb.209:                              ;   in Loop: Header=BB1956_205 Depth=1
	s_or_b32 exec_lo, exec_lo, s6
	s_wait_dscnt 0x0
	v_lshlrev_b32_e32 v23, 16, v23
	s_delay_alu instid0(VALU_DEP_1) | instskip(NEXT) | instid1(VALU_DEP_1)
	v_add_f32_e32 v25, 0, v23
	v_and_b32_e32 v23, 0x7f800000, v25
	s_delay_alu instid0(VALU_DEP_1) | instskip(SKIP_1) | instid1(SALU_CYCLE_1)
	v_cmp_ne_u32_e64 s3, 0x7f800000, v23
                                        ; implicit-def: $vgpr23
	s_and_saveexec_b32 s6, s3
	s_xor_b32 s3, exec_lo, s6
; %bb.210:                              ;   in Loop: Header=BB1956_205 Depth=1
	v_bfe_u32 v23, v25, 16, 1
	s_delay_alu instid0(VALU_DEP_1)
	v_add3_u32 v23, v25, v23, 0x7fff
                                        ; implicit-def: $vgpr25
; %bb.211:                              ;   in Loop: Header=BB1956_205 Depth=1
	s_and_not1_saveexec_b32 s6, s3
	s_cbranch_execz .LBB1956_204
; %bb.212:                              ;   in Loop: Header=BB1956_205 Depth=1
	v_and_b32_e32 v23, 0xffff, v25
	v_or_b32_e32 v26, 0x10000, v25
	s_delay_alu instid0(VALU_DEP_2) | instskip(NEXT) | instid1(VALU_DEP_1)
	v_cmp_eq_u32_e64 s3, 0, v23
	v_cndmask_b32_e64 v23, v26, v25, s3
	s_branch .LBB1956_204
.LBB1956_213:
	s_or_b32 exec_lo, exec_lo, s5
.LBB1956_214:
	s_delay_alu instid0(SALU_CYCLE_1) | instskip(SKIP_2) | instid1(VALU_DEP_2)
	s_or_b32 exec_lo, exec_lo, s4
	v_add_nc_u32_e32 v1, v29, v1
	v_add_nc_u32_e32 v11, v5, v39
	v_sub_nc_u32_e32 v21, v1, v5
	s_delay_alu instid0(VALU_DEP_2) | instskip(NEXT) | instid1(VALU_DEP_2)
	v_cmp_le_u32_e64 s3, v11, v29
	v_cmp_le_u32_e64 s4, v21, v38
	s_or_b32 s3, s3, s4
	s_delay_alu instid0(SALU_CYCLE_1)
	s_and_saveexec_b32 s5, s3
	s_cbranch_execz .LBB1956_266
; %bb.215:
	v_cmp_ge_u32_e64 s3, v11, v29
	s_mov_b32 s6, exec_lo
                                        ; implicit-def: $vgpr1
	v_cmpx_lt_u32_e64 v11, v29
; %bb.216:
	v_lshl_add_u32 v1, v11, 1, v20
	ds_load_u16 v1, v1
; %bb.217:
	s_or_b32 exec_lo, exec_lo, s6
	v_cmp_ge_u32_e64 s6, v21, v38
	s_mov_b32 s7, exec_lo
                                        ; implicit-def: $vgpr5
	v_cmpx_lt_u32_e64 v21, v38
; %bb.218:
	v_lshl_add_u32 v5, v21, 1, v20
	ds_load_u16 v5, v5
; %bb.219:
	s_or_b32 exec_lo, exec_lo, s7
	s_nor_b32 s3, s3, s6
	s_delay_alu instid0(SALU_CYCLE_1)
	s_and_saveexec_b32 s4, s3
	s_cbranch_execz .LBB1956_229
; %bb.220:
	s_wait_dscnt 0x0
	v_lshlrev_b32_e32 v12, 16, v5
	s_delay_alu instid0(VALU_DEP_1) | instskip(NEXT) | instid1(VALU_DEP_1)
	v_add_f32_e32 v13, 0, v12
	v_and_b32_e32 v12, 0x7f800000, v13
	s_delay_alu instid0(VALU_DEP_1) | instskip(SKIP_1) | instid1(SALU_CYCLE_1)
	v_cmp_ne_u32_e64 s3, 0x7f800000, v12
                                        ; implicit-def: $vgpr12
	s_and_saveexec_b32 s7, s3
	s_xor_b32 s3, exec_lo, s7
; %bb.221:
	v_bfe_u32 v12, v13, 16, 1
	s_delay_alu instid0(VALU_DEP_1)
	v_add3_u32 v12, v13, v12, 0x7fff
                                        ; implicit-def: $vgpr13
; %bb.222:
	s_and_not1_saveexec_b32 s7, s3
; %bb.223:
	v_and_b32_e32 v12, 0xffff, v13
	v_or_b32_e32 v14, 0x10000, v13
	s_delay_alu instid0(VALU_DEP_2) | instskip(NEXT) | instid1(VALU_DEP_1)
	v_cmp_eq_u32_e64 s3, 0, v12
	v_cndmask_b32_e64 v12, v14, v13, s3
; %bb.224:
	s_or_b32 exec_lo, exec_lo, s7
	v_lshlrev_b32_e32 v13, 16, v1
	s_delay_alu instid0(VALU_DEP_1) | instskip(NEXT) | instid1(VALU_DEP_1)
	v_add_f32_e32 v14, 0, v13
	v_and_b32_e32 v13, 0x7f800000, v14
	s_delay_alu instid0(VALU_DEP_1) | instskip(SKIP_1) | instid1(SALU_CYCLE_1)
	v_cmp_ne_u32_e64 s3, 0x7f800000, v13
                                        ; implicit-def: $vgpr13
	s_and_saveexec_b32 s7, s3
	s_xor_b32 s3, exec_lo, s7
; %bb.225:
	v_bfe_u32 v13, v14, 16, 1
	s_delay_alu instid0(VALU_DEP_1)
	v_add3_u32 v13, v14, v13, 0x7fff
                                        ; implicit-def: $vgpr14
; %bb.226:
	s_and_not1_saveexec_b32 s7, s3
; %bb.227:
	v_and_b32_e32 v13, 0xffff, v14
	v_or_b32_e32 v15, 0x10000, v14
	s_delay_alu instid0(VALU_DEP_2) | instskip(NEXT) | instid1(VALU_DEP_1)
	v_cmp_eq_u32_e64 s3, 0, v13
	v_cndmask_b32_e64 v13, v15, v14, s3
; %bb.228:
	s_or_b32 exec_lo, exec_lo, s7
	v_cmp_lt_i32_e64 s3, -1, v12
	s_delay_alu instid0(VALU_DEP_2) | instskip(SKIP_3) | instid1(VALU_DEP_1)
	v_perm_b32 v12, v13, v12, 0x7060302
	s_and_not1_b32 s6, s6, exec_lo
	v_cndmask_b32_e64 v14, -1, 0xffff8000, s3
	v_cmp_lt_i32_e64 s3, -1, v13
	v_cndmask_b32_e64 v15, -1, 0xffff8000, s3
	s_delay_alu instid0(VALU_DEP_1) | instskip(NEXT) | instid1(VALU_DEP_1)
	v_perm_b32 v13, v15, v14, 0x5040100
	v_xor_b32_e32 v12, v13, v12
	s_delay_alu instid0(VALU_DEP_1) | instskip(NEXT) | instid1(VALU_DEP_1)
	v_lshrrev_b32_e32 v13, 16, v12
	v_cmp_le_u16_e64 s3, v12, v13
	s_and_b32 s3, s3, exec_lo
	s_delay_alu instid0(SALU_CYCLE_1)
	s_or_b32 s6, s6, s3
.LBB1956_229:
	s_or_b32 exec_lo, exec_lo, s4
	v_dual_cndmask_b32 v12, v21, v11, s6 :: v_dual_cndmask_b32 v13, v38, v29, s6
	s_mov_b32 s7, -1
	s_mov_b32 s4, -1
	s_mov_b32 s8, exec_lo
	s_delay_alu instid0(VALU_DEP_1) | instskip(SKIP_1) | instid1(VALU_DEP_2)
	v_add_nc_u32_e32 v14, 1, v12
	v_lshl_add_u32 v12, v12, 3, v10
	v_add_min_u32_e64 v13, v13, -1, v14
	v_cndmask_b32_e64 v17, v11, v14, s6
	s_delay_alu instid0(VALU_DEP_2)
	v_lshl_add_u32 v13, v13, 1, v20
	ds_load_u16 v15, v13
	ds_load_b64 v[12:13], v12 offset:2048
	s_wait_dscnt 0x1
	v_cndmask_b32_e64 v11, v15, v5, s6
	v_dual_cndmask_b32 v16, v14, v21, s6 :: v_dual_cndmask_b32 v21, v1, v15, s6
	s_delay_alu instid0(VALU_DEP_1)
	v_cmpx_lt_u32_e64 v16, v38
	s_cbranch_execz .LBB1956_241
; %bb.230:
	s_mov_b32 s9, 0
	s_mov_b32 s4, exec_lo
	v_cmpx_lt_u32_e64 v17, v29
	s_cbranch_execz .LBB1956_240
; %bb.231:
	v_lshlrev_b32_e32 v14, 16, v11
	s_delay_alu instid0(VALU_DEP_1) | instskip(NEXT) | instid1(VALU_DEP_1)
	v_add_f32_e32 v15, 0, v14
	v_and_b32_e32 v14, 0x7f800000, v15
	s_delay_alu instid0(VALU_DEP_1) | instskip(SKIP_1) | instid1(SALU_CYCLE_1)
	v_cmp_ne_u32_e64 s3, 0x7f800000, v14
                                        ; implicit-def: $vgpr14
	s_and_saveexec_b32 s9, s3
	s_xor_b32 s3, exec_lo, s9
; %bb.232:
	v_bfe_u32 v14, v15, 16, 1
	s_delay_alu instid0(VALU_DEP_1)
	v_add3_u32 v14, v15, v14, 0x7fff
                                        ; implicit-def: $vgpr15
; %bb.233:
	s_and_not1_saveexec_b32 s9, s3
; %bb.234:
	v_and_b32_e32 v14, 0xffff, v15
	v_or_b32_e32 v18, 0x10000, v15
	s_delay_alu instid0(VALU_DEP_2) | instskip(NEXT) | instid1(VALU_DEP_1)
	v_cmp_eq_u32_e64 s3, 0, v14
	v_cndmask_b32_e64 v14, v18, v15, s3
; %bb.235:
	s_or_b32 exec_lo, exec_lo, s9
	v_lshlrev_b32_e32 v15, 16, v21
	s_delay_alu instid0(VALU_DEP_1) | instskip(NEXT) | instid1(VALU_DEP_1)
	v_add_f32_e32 v18, 0, v15
	v_and_b32_e32 v15, 0x7f800000, v18
	s_delay_alu instid0(VALU_DEP_1) | instskip(SKIP_1) | instid1(SALU_CYCLE_1)
	v_cmp_ne_u32_e64 s3, 0x7f800000, v15
                                        ; implicit-def: $vgpr15
	s_and_saveexec_b32 s9, s3
	s_xor_b32 s3, exec_lo, s9
; %bb.236:
	v_bfe_u32 v15, v18, 16, 1
	s_delay_alu instid0(VALU_DEP_1)
	v_add3_u32 v15, v18, v15, 0x7fff
                                        ; implicit-def: $vgpr18
; %bb.237:
	s_and_not1_saveexec_b32 s9, s3
; %bb.238:
	v_and_b32_e32 v15, 0xffff, v18
	v_or_b32_e32 v19, 0x10000, v18
	s_delay_alu instid0(VALU_DEP_2) | instskip(NEXT) | instid1(VALU_DEP_1)
	v_cmp_eq_u32_e64 s3, 0, v15
	v_cndmask_b32_e64 v15, v19, v18, s3
; %bb.239:
	s_or_b32 exec_lo, exec_lo, s9
	v_cmp_lt_i32_e64 s3, -1, v14
	s_delay_alu instid0(VALU_DEP_2) | instskip(NEXT) | instid1(VALU_DEP_2)
	v_perm_b32 v14, v15, v14, 0x7060302
	v_cndmask_b32_e64 v18, -1, 0xffff8000, s3
	v_cmp_lt_i32_e64 s3, -1, v15
	s_delay_alu instid0(VALU_DEP_1) | instskip(NEXT) | instid1(VALU_DEP_1)
	v_cndmask_b32_e64 v19, -1, 0xffff8000, s3
	v_perm_b32 v15, v19, v18, 0x5040100
	s_delay_alu instid0(VALU_DEP_1) | instskip(NEXT) | instid1(VALU_DEP_1)
	v_xor_b32_e32 v14, v15, v14
	v_lshrrev_b32_e32 v15, 16, v14
	s_delay_alu instid0(VALU_DEP_1)
	v_cmp_le_u16_e64 s3, v14, v15
	s_and_b32 s9, s3, exec_lo
.LBB1956_240:
	s_or_b32 exec_lo, exec_lo, s4
	s_delay_alu instid0(SALU_CYCLE_1)
	s_or_not1_b32 s4, s9, exec_lo
.LBB1956_241:
	s_or_b32 exec_lo, exec_lo, s8
	v_cndmask_b32_e64 v14, v16, v17, s4
	v_cndmask_b32_e64 v15, v38, v29, s4
	s_mov_b32 s8, exec_lo
	s_delay_alu instid0(VALU_DEP_2) | instskip(NEXT) | instid1(VALU_DEP_1)
	v_add_nc_u32_e32 v19, 1, v14
	v_add_min_u32_e64 v15, v15, -1, v19
	v_cndmask_b32_e64 v18, v19, v16, s4
	v_lshl_add_u32 v14, v14, 3, v10
	v_cndmask_b32_e64 v19, v17, v19, s4
	s_delay_alu instid0(VALU_DEP_4)
	v_lshl_add_u32 v15, v15, 1, v20
	ds_load_u16 v23, v15
	ds_load_b64 v[14:15], v14 offset:2048
	s_wait_dscnt 0x1
	v_cndmask_b32_e64 v22, v23, v11, s4
	v_cndmask_b32_e64 v23, v21, v23, s4
	v_cmpx_lt_u32_e64 v18, v38
	s_cbranch_execz .LBB1956_253
; %bb.242:
	s_mov_b32 s9, 0
	s_mov_b32 s7, exec_lo
	v_cmpx_lt_u32_e64 v19, v29
	s_cbranch_execz .LBB1956_252
; %bb.243:
	v_lshlrev_b32_e32 v16, 16, v22
	s_delay_alu instid0(VALU_DEP_1) | instskip(NEXT) | instid1(VALU_DEP_1)
	v_add_f32_e32 v17, 0, v16
	v_and_b32_e32 v16, 0x7f800000, v17
	s_delay_alu instid0(VALU_DEP_1) | instskip(SKIP_1) | instid1(SALU_CYCLE_1)
	v_cmp_ne_u32_e64 s3, 0x7f800000, v16
                                        ; implicit-def: $vgpr16
	s_and_saveexec_b32 s9, s3
	s_xor_b32 s3, exec_lo, s9
; %bb.244:
	v_bfe_u32 v16, v17, 16, 1
	s_delay_alu instid0(VALU_DEP_1)
	v_add3_u32 v16, v17, v16, 0x7fff
                                        ; implicit-def: $vgpr17
; %bb.245:
	s_and_not1_saveexec_b32 s9, s3
; %bb.246:
	v_and_b32_e32 v16, 0xffff, v17
	v_or_b32_e32 v24, 0x10000, v17
	s_delay_alu instid0(VALU_DEP_2) | instskip(NEXT) | instid1(VALU_DEP_1)
	v_cmp_eq_u32_e64 s3, 0, v16
	v_cndmask_b32_e64 v16, v24, v17, s3
; %bb.247:
	s_or_b32 exec_lo, exec_lo, s9
	v_lshlrev_b32_e32 v17, 16, v23
	s_delay_alu instid0(VALU_DEP_1) | instskip(NEXT) | instid1(VALU_DEP_1)
	v_add_f32_e32 v24, 0, v17
	v_and_b32_e32 v17, 0x7f800000, v24
	s_delay_alu instid0(VALU_DEP_1) | instskip(SKIP_1) | instid1(SALU_CYCLE_1)
	v_cmp_ne_u32_e64 s3, 0x7f800000, v17
                                        ; implicit-def: $vgpr17
	s_and_saveexec_b32 s9, s3
	s_xor_b32 s3, exec_lo, s9
; %bb.248:
	v_bfe_u32 v17, v24, 16, 1
	s_delay_alu instid0(VALU_DEP_1)
	v_add3_u32 v17, v24, v17, 0x7fff
                                        ; implicit-def: $vgpr24
; %bb.249:
	s_and_not1_saveexec_b32 s9, s3
; %bb.250:
	v_and_b32_e32 v17, 0xffff, v24
	v_or_b32_e32 v25, 0x10000, v24
	s_delay_alu instid0(VALU_DEP_2) | instskip(NEXT) | instid1(VALU_DEP_1)
	v_cmp_eq_u32_e64 s3, 0, v17
	v_cndmask_b32_e64 v17, v25, v24, s3
; %bb.251:
	s_or_b32 exec_lo, exec_lo, s9
	v_cmp_lt_i32_e64 s3, -1, v16
	s_delay_alu instid0(VALU_DEP_2) | instskip(NEXT) | instid1(VALU_DEP_2)
	v_perm_b32 v16, v17, v16, 0x7060302
	v_cndmask_b32_e64 v24, -1, 0xffff8000, s3
	v_cmp_lt_i32_e64 s3, -1, v17
	s_delay_alu instid0(VALU_DEP_1) | instskip(NEXT) | instid1(VALU_DEP_1)
	v_cndmask_b32_e64 v25, -1, 0xffff8000, s3
	v_perm_b32 v17, v25, v24, 0x5040100
	s_delay_alu instid0(VALU_DEP_1) | instskip(NEXT) | instid1(VALU_DEP_1)
	v_xor_b32_e32 v16, v17, v16
	v_lshrrev_b32_e32 v17, 16, v16
	s_delay_alu instid0(VALU_DEP_1)
	v_cmp_le_u16_e64 s3, v16, v17
	s_and_b32 s9, s3, exec_lo
.LBB1956_252:
	s_or_b32 exec_lo, exec_lo, s7
	s_delay_alu instid0(SALU_CYCLE_1)
	s_or_not1_b32 s7, s9, exec_lo
.LBB1956_253:
	s_or_b32 exec_lo, exec_lo, s8
	v_cndmask_b32_e64 v16, v18, v19, s7
	v_cndmask_b32_e64 v17, v38, v29, s7
	s_mov_b32 s9, -1
	s_mov_b32 s8, exec_lo
	s_delay_alu instid0(VALU_DEP_2) | instskip(NEXT) | instid1(VALU_DEP_1)
	v_add_nc_u32_e32 v24, 1, v16
	v_add_min_u32_e64 v17, v17, -1, v24
	v_cndmask_b32_e64 v18, v24, v18, s7
	v_lshl_add_u32 v16, v16, 3, v10
	s_delay_alu instid0(VALU_DEP_3)
	v_lshl_add_u32 v17, v17, 1, v20
	ds_load_u16 v25, v17
	ds_load_b64 v[16:17], v16 offset:2048
	s_wait_dscnt 0x1
	v_dual_cndmask_b32 v19, v19, v24, s7 :: v_dual_cndmask_b32 v20, v25, v22, s7
	v_cndmask_b32_e64 v24, v23, v25, s7
	v_cmpx_lt_u32_e64 v18, v38
	s_cbranch_execz .LBB1956_265
; %bb.254:
	s_mov_b32 s10, 0
	s_mov_b32 s9, exec_lo
	v_cmpx_lt_u32_e64 v19, v29
	s_cbranch_execz .LBB1956_264
; %bb.255:
	v_lshlrev_b32_e32 v25, 16, v20
	s_delay_alu instid0(VALU_DEP_1) | instskip(NEXT) | instid1(VALU_DEP_1)
	v_add_f32_e32 v26, 0, v25
	v_and_b32_e32 v25, 0x7f800000, v26
	s_delay_alu instid0(VALU_DEP_1) | instskip(SKIP_1) | instid1(SALU_CYCLE_1)
	v_cmp_ne_u32_e64 s3, 0x7f800000, v25
                                        ; implicit-def: $vgpr25
	s_and_saveexec_b32 s10, s3
	s_xor_b32 s3, exec_lo, s10
; %bb.256:
	v_bfe_u32 v25, v26, 16, 1
	s_delay_alu instid0(VALU_DEP_1)
	v_add3_u32 v25, v26, v25, 0x7fff
                                        ; implicit-def: $vgpr26
; %bb.257:
	s_and_not1_saveexec_b32 s10, s3
; %bb.258:
	v_and_b32_e32 v25, 0xffff, v26
	v_or_b32_e32 v27, 0x10000, v26
	s_delay_alu instid0(VALU_DEP_2) | instskip(NEXT) | instid1(VALU_DEP_1)
	v_cmp_eq_u32_e64 s3, 0, v25
	v_cndmask_b32_e64 v25, v27, v26, s3
; %bb.259:
	s_or_b32 exec_lo, exec_lo, s10
	v_lshlrev_b32_e32 v26, 16, v24
	s_delay_alu instid0(VALU_DEP_1) | instskip(NEXT) | instid1(VALU_DEP_1)
	v_add_f32_e32 v27, 0, v26
	v_and_b32_e32 v26, 0x7f800000, v27
	s_delay_alu instid0(VALU_DEP_1) | instskip(SKIP_1) | instid1(SALU_CYCLE_1)
	v_cmp_ne_u32_e64 s3, 0x7f800000, v26
                                        ; implicit-def: $vgpr26
	s_and_saveexec_b32 s10, s3
	s_xor_b32 s3, exec_lo, s10
; %bb.260:
	v_bfe_u32 v26, v27, 16, 1
	s_delay_alu instid0(VALU_DEP_1)
	v_add3_u32 v26, v27, v26, 0x7fff
                                        ; implicit-def: $vgpr27
; %bb.261:
	s_and_not1_saveexec_b32 s10, s3
; %bb.262:
	v_and_b32_e32 v26, 0xffff, v27
	v_or_b32_e32 v28, 0x10000, v27
	s_delay_alu instid0(VALU_DEP_2) | instskip(NEXT) | instid1(VALU_DEP_1)
	v_cmp_eq_u32_e64 s3, 0, v26
	v_cndmask_b32_e64 v26, v28, v27, s3
; %bb.263:
	s_or_b32 exec_lo, exec_lo, s10
	v_cmp_lt_i32_e64 s3, -1, v25
	s_delay_alu instid0(VALU_DEP_2) | instskip(NEXT) | instid1(VALU_DEP_2)
	v_perm_b32 v25, v26, v25, 0x7060302
	v_cndmask_b32_e64 v27, -1, 0xffff8000, s3
	v_cmp_lt_i32_e64 s3, -1, v26
	s_delay_alu instid0(VALU_DEP_1) | instskip(NEXT) | instid1(VALU_DEP_1)
	v_cndmask_b32_e64 v28, -1, 0xffff8000, s3
	v_perm_b32 v26, v28, v27, 0x5040100
	s_delay_alu instid0(VALU_DEP_1) | instskip(NEXT) | instid1(VALU_DEP_1)
	v_xor_b32_e32 v25, v26, v25
	v_lshrrev_b32_e32 v26, 16, v25
	s_delay_alu instid0(VALU_DEP_1)
	v_cmp_le_u16_e64 s3, v25, v26
	s_and_b32 s10, s3, exec_lo
.LBB1956_264:
	s_or_b32 exec_lo, exec_lo, s9
	s_delay_alu instid0(SALU_CYCLE_1)
	s_or_not1_b32 s9, s10, exec_lo
.LBB1956_265:
	s_or_b32 exec_lo, exec_lo, s8
	v_dual_cndmask_b32 v18, v18, v19, s9 :: v_dual_cndmask_b32 v32, v11, v21, s4
	v_dual_cndmask_b32 v37, v22, v23, s7 :: v_dual_cndmask_b32 v36, v5, v1, s6
	v_cndmask_b32_e64 v30, v20, v24, s9
	s_delay_alu instid0(VALU_DEP_3)
	v_lshl_add_u32 v10, v18, 3, v10
	ds_load_b64 v[18:19], v10 offset:2048
.LBB1956_266:
	s_or_b32 exec_lo, exec_lo, s5
	v_lshl_add_u64 v[2:3], v[8:9], 1, v[2:3]
	v_mov_b32_e32 v1, 0
	; wave barrier
	s_wait_storecnt_dscnt 0x0
	s_barrier_signal -1
	s_delay_alu instid0(VALU_DEP_1)
	v_add_nc_u64_e32 v[0:1], v[2:3], v[0:1]
	s_barrier_wait -1
	; wave barrier
	s_and_saveexec_b32 s3, vcc_lo
	s_cbranch_execnz .LBB1956_276
; %bb.267:
	s_or_b32 exec_lo, exec_lo, s3
	s_and_saveexec_b32 s3, s0
	s_cbranch_execnz .LBB1956_277
.LBB1956_268:
	s_or_b32 exec_lo, exec_lo, s3
	s_and_saveexec_b32 s3, s1
	s_cbranch_execnz .LBB1956_278
.LBB1956_269:
	s_or_b32 exec_lo, exec_lo, s3
	s_and_saveexec_b32 s3, s2
	s_cbranch_execz .LBB1956_271
.LBB1956_270:
	flat_store_b16 v[0:1], v30 offset:6
.LBB1956_271:
	s_wait_xcnt 0x0
	s_or_b32 exec_lo, exec_lo, s3
	v_lshl_add_u64 v[0:1], v[8:9], 3, v[6:7]
	v_mov_b32_e32 v5, 0
	; wave barrier
	s_delay_alu instid0(VALU_DEP_1)
	v_add_nc_u64_e32 v[0:1], v[0:1], v[4:5]
	s_and_saveexec_b32 s3, vcc_lo
	s_cbranch_execnz .LBB1956_279
; %bb.272:
	s_or_b32 exec_lo, exec_lo, s3
	s_and_saveexec_b32 s3, s0
	s_cbranch_execnz .LBB1956_280
.LBB1956_273:
	s_or_b32 exec_lo, exec_lo, s3
	s_and_saveexec_b32 s0, s1
	s_cbranch_execnz .LBB1956_281
.LBB1956_274:
	s_or_b32 exec_lo, exec_lo, s0
	s_and_saveexec_b32 s0, s2
	s_cbranch_execnz .LBB1956_282
.LBB1956_275:
	s_or_b32 exec_lo, exec_lo, s0
	s_wait_dscnt 0x0
	s_set_pc_i64 s[30:31]
.LBB1956_276:
	flat_store_b16 v[0:1], v36
	s_wait_xcnt 0x0
	s_or_b32 exec_lo, exec_lo, s3
	s_and_saveexec_b32 s3, s0
	s_cbranch_execz .LBB1956_268
.LBB1956_277:
	flat_store_b16 v[0:1], v32 offset:2
	s_wait_xcnt 0x0
	s_or_b32 exec_lo, exec_lo, s3
	s_and_saveexec_b32 s3, s1
	s_cbranch_execz .LBB1956_269
.LBB1956_278:
	flat_store_b16 v[0:1], v37 offset:4
	s_wait_xcnt 0x0
	s_or_b32 exec_lo, exec_lo, s3
	s_and_saveexec_b32 s3, s2
	s_cbranch_execnz .LBB1956_270
	s_branch .LBB1956_271
.LBB1956_279:
	flat_store_b64 v[0:1], v[12:13]
	s_wait_xcnt 0x0
	s_or_b32 exec_lo, exec_lo, s3
	s_and_saveexec_b32 s3, s0
	s_cbranch_execz .LBB1956_273
.LBB1956_280:
	flat_store_b64 v[0:1], v[14:15] offset:8
	s_wait_xcnt 0x0
	s_or_b32 exec_lo, exec_lo, s3
	s_and_saveexec_b32 s0, s1
	s_cbranch_execz .LBB1956_274
.LBB1956_281:
	flat_store_b64 v[0:1], v[16:17] offset:16
	s_wait_xcnt 0x0
	s_or_b32 exec_lo, exec_lo, s0
	s_and_saveexec_b32 s0, s2
	s_cbranch_execz .LBB1956_275
.LBB1956_282:
	flat_store_b64 v[0:1], v[18:19] offset:24
	s_wait_xcnt 0x0
	s_or_b32 exec_lo, exec_lo, s0
	s_wait_dscnt 0x0
	s_set_pc_i64 s[30:31]
.Lfunc_end1956:
	.size	_ZN7rocprim17ROCPRIM_400000_NS6detail26segmented_warp_sort_helperINS1_20WarpSortHelperConfigILj8ELj4ELj256EEE12hip_bfloat16lLi256ELb1EvE4sortIPKS5_PS5_PKlPlEEvT_T0_T1_T2_jjjjRNS6_12storage_typeE, .Lfunc_end1956-_ZN7rocprim17ROCPRIM_400000_NS6detail26segmented_warp_sort_helperINS1_20WarpSortHelperConfigILj8ELj4ELj256EEE12hip_bfloat16lLi256ELb1EvE4sortIPKS5_PS5_PKlPlEEvT_T0_T1_T2_jjjjRNS6_12storage_typeE
                                        ; -- End function
	.set .L_ZN7rocprim17ROCPRIM_400000_NS6detail26segmented_warp_sort_helperINS1_20WarpSortHelperConfigILj8ELj4ELj256EEE12hip_bfloat16lLi256ELb1EvE4sortIPKS5_PS5_PKlPlEEvT_T0_T1_T2_jjjjRNS6_12storage_typeE.num_vgpr, 56
	.set .L_ZN7rocprim17ROCPRIM_400000_NS6detail26segmented_warp_sort_helperINS1_20WarpSortHelperConfigILj8ELj4ELj256EEE12hip_bfloat16lLi256ELb1EvE4sortIPKS5_PS5_PKlPlEEvT_T0_T1_T2_jjjjRNS6_12storage_typeE.num_agpr, 0
	.set .L_ZN7rocprim17ROCPRIM_400000_NS6detail26segmented_warp_sort_helperINS1_20WarpSortHelperConfigILj8ELj4ELj256EEE12hip_bfloat16lLi256ELb1EvE4sortIPKS5_PS5_PKlPlEEvT_T0_T1_T2_jjjjRNS6_12storage_typeE.numbered_sgpr, 32
	.set .L_ZN7rocprim17ROCPRIM_400000_NS6detail26segmented_warp_sort_helperINS1_20WarpSortHelperConfigILj8ELj4ELj256EEE12hip_bfloat16lLi256ELb1EvE4sortIPKS5_PS5_PKlPlEEvT_T0_T1_T2_jjjjRNS6_12storage_typeE.num_named_barrier, 0
	.set .L_ZN7rocprim17ROCPRIM_400000_NS6detail26segmented_warp_sort_helperINS1_20WarpSortHelperConfigILj8ELj4ELj256EEE12hip_bfloat16lLi256ELb1EvE4sortIPKS5_PS5_PKlPlEEvT_T0_T1_T2_jjjjRNS6_12storage_typeE.private_seg_size, 0
	.set .L_ZN7rocprim17ROCPRIM_400000_NS6detail26segmented_warp_sort_helperINS1_20WarpSortHelperConfigILj8ELj4ELj256EEE12hip_bfloat16lLi256ELb1EvE4sortIPKS5_PS5_PKlPlEEvT_T0_T1_T2_jjjjRNS6_12storage_typeE.uses_vcc, 1
	.set .L_ZN7rocprim17ROCPRIM_400000_NS6detail26segmented_warp_sort_helperINS1_20WarpSortHelperConfigILj8ELj4ELj256EEE12hip_bfloat16lLi256ELb1EvE4sortIPKS5_PS5_PKlPlEEvT_T0_T1_T2_jjjjRNS6_12storage_typeE.uses_flat_scratch, 0
	.set .L_ZN7rocprim17ROCPRIM_400000_NS6detail26segmented_warp_sort_helperINS1_20WarpSortHelperConfigILj8ELj4ELj256EEE12hip_bfloat16lLi256ELb1EvE4sortIPKS5_PS5_PKlPlEEvT_T0_T1_T2_jjjjRNS6_12storage_typeE.has_dyn_sized_stack, 0
	.set .L_ZN7rocprim17ROCPRIM_400000_NS6detail26segmented_warp_sort_helperINS1_20WarpSortHelperConfigILj8ELj4ELj256EEE12hip_bfloat16lLi256ELb1EvE4sortIPKS5_PS5_PKlPlEEvT_T0_T1_T2_jjjjRNS6_12storage_typeE.has_recursion, 0
	.set .L_ZN7rocprim17ROCPRIM_400000_NS6detail26segmented_warp_sort_helperINS1_20WarpSortHelperConfigILj8ELj4ELj256EEE12hip_bfloat16lLi256ELb1EvE4sortIPKS5_PS5_PKlPlEEvT_T0_T1_T2_jjjjRNS6_12storage_typeE.has_indirect_call, 0
	.section	.AMDGPU.csdata,"",@progbits
; Function info:
; codeLenInByte = 11324
; TotalNumSgprs: 34
; NumVgprs: 56
; ScratchSize: 0
; MemoryBound: 1
	.section	.text._ZN7rocprim17ROCPRIM_400000_NS6detail17trampoline_kernelINS0_14default_configENS1_36segmented_radix_sort_config_selectorI12hip_bfloat16lEEZNS1_25segmented_radix_sort_implIS3_Lb1EPKS5_PS5_PKlPlN2at6native12_GLOBAL__N_18offset_tEEE10hipError_tPvRmT1_PNSt15iterator_traitsISL_E10value_typeET2_T3_PNSM_ISR_E10value_typeET4_jRbjT5_SX_jjP12ihipStream_tbEUlT_E1_NS1_11comp_targetILNS1_3genE0ELNS1_11target_archE4294967295ELNS1_3gpuE0ELNS1_3repE0EEENS1_59segmented_radix_sort_warp_sort_small_config_static_selectorELNS0_4arch9wavefront6targetE0EEEvSL_,"axG",@progbits,_ZN7rocprim17ROCPRIM_400000_NS6detail17trampoline_kernelINS0_14default_configENS1_36segmented_radix_sort_config_selectorI12hip_bfloat16lEEZNS1_25segmented_radix_sort_implIS3_Lb1EPKS5_PS5_PKlPlN2at6native12_GLOBAL__N_18offset_tEEE10hipError_tPvRmT1_PNSt15iterator_traitsISL_E10value_typeET2_T3_PNSM_ISR_E10value_typeET4_jRbjT5_SX_jjP12ihipStream_tbEUlT_E1_NS1_11comp_targetILNS1_3genE0ELNS1_11target_archE4294967295ELNS1_3gpuE0ELNS1_3repE0EEENS1_59segmented_radix_sort_warp_sort_small_config_static_selectorELNS0_4arch9wavefront6targetE0EEEvSL_,comdat
	.globl	_ZN7rocprim17ROCPRIM_400000_NS6detail17trampoline_kernelINS0_14default_configENS1_36segmented_radix_sort_config_selectorI12hip_bfloat16lEEZNS1_25segmented_radix_sort_implIS3_Lb1EPKS5_PS5_PKlPlN2at6native12_GLOBAL__N_18offset_tEEE10hipError_tPvRmT1_PNSt15iterator_traitsISL_E10value_typeET2_T3_PNSM_ISR_E10value_typeET4_jRbjT5_SX_jjP12ihipStream_tbEUlT_E1_NS1_11comp_targetILNS1_3genE0ELNS1_11target_archE4294967295ELNS1_3gpuE0ELNS1_3repE0EEENS1_59segmented_radix_sort_warp_sort_small_config_static_selectorELNS0_4arch9wavefront6targetE0EEEvSL_ ; -- Begin function _ZN7rocprim17ROCPRIM_400000_NS6detail17trampoline_kernelINS0_14default_configENS1_36segmented_radix_sort_config_selectorI12hip_bfloat16lEEZNS1_25segmented_radix_sort_implIS3_Lb1EPKS5_PS5_PKlPlN2at6native12_GLOBAL__N_18offset_tEEE10hipError_tPvRmT1_PNSt15iterator_traitsISL_E10value_typeET2_T3_PNSM_ISR_E10value_typeET4_jRbjT5_SX_jjP12ihipStream_tbEUlT_E1_NS1_11comp_targetILNS1_3genE0ELNS1_11target_archE4294967295ELNS1_3gpuE0ELNS1_3repE0EEENS1_59segmented_radix_sort_warp_sort_small_config_static_selectorELNS0_4arch9wavefront6targetE0EEEvSL_
	.p2align	8
	.type	_ZN7rocprim17ROCPRIM_400000_NS6detail17trampoline_kernelINS0_14default_configENS1_36segmented_radix_sort_config_selectorI12hip_bfloat16lEEZNS1_25segmented_radix_sort_implIS3_Lb1EPKS5_PS5_PKlPlN2at6native12_GLOBAL__N_18offset_tEEE10hipError_tPvRmT1_PNSt15iterator_traitsISL_E10value_typeET2_T3_PNSM_ISR_E10value_typeET4_jRbjT5_SX_jjP12ihipStream_tbEUlT_E1_NS1_11comp_targetILNS1_3genE0ELNS1_11target_archE4294967295ELNS1_3gpuE0ELNS1_3repE0EEENS1_59segmented_radix_sort_warp_sort_small_config_static_selectorELNS0_4arch9wavefront6targetE0EEEvSL_,@function
_ZN7rocprim17ROCPRIM_400000_NS6detail17trampoline_kernelINS0_14default_configENS1_36segmented_radix_sort_config_selectorI12hip_bfloat16lEEZNS1_25segmented_radix_sort_implIS3_Lb1EPKS5_PS5_PKlPlN2at6native12_GLOBAL__N_18offset_tEEE10hipError_tPvRmT1_PNSt15iterator_traitsISL_E10value_typeET2_T3_PNSM_ISR_E10value_typeET4_jRbjT5_SX_jjP12ihipStream_tbEUlT_E1_NS1_11comp_targetILNS1_3genE0ELNS1_11target_archE4294967295ELNS1_3gpuE0ELNS1_3repE0EEENS1_59segmented_radix_sort_warp_sort_small_config_static_selectorELNS0_4arch9wavefront6targetE0EEEvSL_: ; @_ZN7rocprim17ROCPRIM_400000_NS6detail17trampoline_kernelINS0_14default_configENS1_36segmented_radix_sort_config_selectorI12hip_bfloat16lEEZNS1_25segmented_radix_sort_implIS3_Lb1EPKS5_PS5_PKlPlN2at6native12_GLOBAL__N_18offset_tEEE10hipError_tPvRmT1_PNSt15iterator_traitsISL_E10value_typeET2_T3_PNSM_ISR_E10value_typeET4_jRbjT5_SX_jjP12ihipStream_tbEUlT_E1_NS1_11comp_targetILNS1_3genE0ELNS1_11target_archE4294967295ELNS1_3gpuE0ELNS1_3repE0EEENS1_59segmented_radix_sort_warp_sort_small_config_static_selectorELNS0_4arch9wavefront6targetE0EEEvSL_
; %bb.0:
	s_load_b32 s4, s[2:3], 0x64
	v_bfe_u32 v1, v0, 10, 10
	v_bfe_u32 v2, v0, 20, 10
	v_and_b32_e32 v3, 0x3ff, v0
	s_and_b32 s6, ttmp6, 15
	s_getreg_b32 s7, hwreg(HW_REG_IB_STS2, 6, 4)
	s_mov_b32 s32, 0
	s_wait_kmcnt 0x0
	s_lshr_b32 s5, s4, 16
	s_and_b32 s4, s4, 0xffff
	v_mad_u32_u24 v1, v2, s5, v1
	s_bfe_u32 s5, ttmp6, 0x4000c
	s_delay_alu instid0(SALU_CYCLE_1) | instskip(NEXT) | instid1(SALU_CYCLE_1)
	s_add_co_i32 s5, s5, 1
	s_mul_i32 s5, ttmp9, s5
	s_delay_alu instid0(VALU_DEP_1) | instskip(SKIP_4) | instid1(VALU_DEP_1)
	v_mad_u32 v1, v1, s4, v3
	s_load_b32 s4, s[2:3], 0x34
	s_add_co_i32 s6, s6, s5
	s_cmp_eq_u32 s7, 0
	s_cselect_b32 s5, ttmp9, s6
	v_lshrrev_b32_e32 v1, 3, v1
	s_delay_alu instid0(VALU_DEP_1) | instskip(SKIP_1) | instid1(VALU_DEP_1)
	v_lshl_add_u32 v2, s5, 5, v1
	s_wait_kmcnt 0x0
	v_cmp_gt_u32_e32 vcc_lo, s4, v2
	s_and_saveexec_b32 s4, vcc_lo
	s_cbranch_execz .LBB1957_6
; %bb.1:
	s_clause 0x1
	s_load_b64 s[8:9], s[2:3], 0x38
	s_load_b128 s[4:7], s[2:3], 0x40
	v_mov_b32_e32 v3, 0
	s_delay_alu instid0(VALU_DEP_1) | instskip(SKIP_1) | instid1(VALU_DEP_1)
	v_lshlrev_b64_e32 v[2:3], 2, v[2:3]
	s_wait_kmcnt 0x0
	v_sub_nc_u64_e32 v[2:3], s[8:9], v[2:3]
	global_load_b32 v1, v[2:3], off offset:-4
	s_wait_loadcnt 0x0
	v_dual_add_nc_u32 v2, s5, v1 :: v_dual_add_nc_u32 v1, s7, v1
	s_delay_alu instid0(VALU_DEP_1) | instskip(NEXT) | instid1(VALU_DEP_2)
	v_mul_lo_u32 v8, v2, s4
	v_mul_lo_u32 v40, v1, s6
	s_delay_alu instid0(VALU_DEP_1)
	v_cmp_gt_u32_e32 vcc_lo, v40, v8
	s_and_b32 exec_lo, exec_lo, vcc_lo
	s_cbranch_execz .LBB1957_6
; %bb.2:
	s_clause 0x2
	s_load_b32 s4, s[2:3], 0x30
	s_load_b128 s[24:27], s[2:3], 0x20
	s_load_b256 s[16:23], s[2:3], 0x0
	s_add_nc_u64 s[14:15], s[2:3], 0x58
	s_get_pc_i64 s[28:29]
	s_add_nc_u64 s[28:29], s[28:29], _ZN7rocprim17ROCPRIM_400000_NS6detail26segmented_warp_sort_helperINS1_20WarpSortHelperConfigILj8ELj4ELj256EEE12hip_bfloat16lLi256ELb1EvE4sortIPKS5_PS5_PKlPlEEvT_T0_T1_T2_jjjjRNS6_12storage_typeE@rel64+4
	s_wait_kmcnt 0x0
	s_bitcmp0_b32 s4, 0
	s_mov_b32 s4, -1
	s_cbranch_scc0 .LBB1957_4
; %bb.3:
	s_mov_b64 s[2:3], src_shared_base
	v_dual_mov_b32 v31, v0 :: v_dual_mov_b32 v41, v0
	v_dual_mov_b32 v0, s16 :: v_dual_mov_b32 v1, s17
	;; [unrolled: 1-line block ×6, first 2 shown]
	v_mov_b32_e32 v11, s3
	s_mov_b64 s[6:7], s[0:1]
	s_mov_b64 s[8:9], s[14:15]
	;; [unrolled: 1-line block ×3, first 2 shown]
	s_swap_pc_i64 s[30:31], s[28:29]
	v_mov_b32_e32 v0, v41
	s_mov_b64 s[0:1], s[18:19]
	s_mov_b32 s4, 0
.LBB1957_4:
	s_delay_alu instid0(SALU_CYCLE_1)
	s_and_not1_b32 vcc_lo, exec_lo, s4
	s_cbranch_vccnz .LBB1957_6
; %bb.5:
	s_mov_b64 s[2:3], src_shared_base
	v_dual_mov_b32 v31, v0 :: v_dual_mov_b32 v0, s16
	v_dual_mov_b32 v1, s17 :: v_dual_mov_b32 v2, s20
	;; [unrolled: 1-line block ×6, first 2 shown]
	s_mov_b64 s[6:7], s[0:1]
	s_mov_b64 s[8:9], s[14:15]
	s_swap_pc_i64 s[30:31], s[28:29]
.LBB1957_6:
	s_endpgm
	.section	.rodata,"a",@progbits
	.p2align	6, 0x0
	.amdhsa_kernel _ZN7rocprim17ROCPRIM_400000_NS6detail17trampoline_kernelINS0_14default_configENS1_36segmented_radix_sort_config_selectorI12hip_bfloat16lEEZNS1_25segmented_radix_sort_implIS3_Lb1EPKS5_PS5_PKlPlN2at6native12_GLOBAL__N_18offset_tEEE10hipError_tPvRmT1_PNSt15iterator_traitsISL_E10value_typeET2_T3_PNSM_ISR_E10value_typeET4_jRbjT5_SX_jjP12ihipStream_tbEUlT_E1_NS1_11comp_targetILNS1_3genE0ELNS1_11target_archE4294967295ELNS1_3gpuE0ELNS1_3repE0EEENS1_59segmented_radix_sort_warp_sort_small_config_static_selectorELNS0_4arch9wavefront6targetE0EEEvSL_
		.amdhsa_group_segment_fixed_size 10240
		.amdhsa_private_segment_fixed_size 0
		.amdhsa_kernarg_size 344
		.amdhsa_user_sgpr_count 4
		.amdhsa_user_sgpr_dispatch_ptr 0
		.amdhsa_user_sgpr_queue_ptr 1
		.amdhsa_user_sgpr_kernarg_segment_ptr 1
		.amdhsa_user_sgpr_dispatch_id 0
		.amdhsa_user_sgpr_kernarg_preload_length 0
		.amdhsa_user_sgpr_kernarg_preload_offset 0
		.amdhsa_user_sgpr_private_segment_size 0
		.amdhsa_wavefront_size32 1
		.amdhsa_uses_dynamic_stack 0
		.amdhsa_enable_private_segment 0
		.amdhsa_system_sgpr_workgroup_id_x 1
		.amdhsa_system_sgpr_workgroup_id_y 1
		.amdhsa_system_sgpr_workgroup_id_z 0
		.amdhsa_system_sgpr_workgroup_info 0
		.amdhsa_system_vgpr_workitem_id 2
		.amdhsa_next_free_vgpr 56
		.amdhsa_next_free_sgpr 33
		.amdhsa_named_barrier_count 0
		.amdhsa_reserve_vcc 1
		.amdhsa_float_round_mode_32 0
		.amdhsa_float_round_mode_16_64 0
		.amdhsa_float_denorm_mode_32 3
		.amdhsa_float_denorm_mode_16_64 3
		.amdhsa_fp16_overflow 0
		.amdhsa_memory_ordered 1
		.amdhsa_forward_progress 1
		.amdhsa_inst_pref_size 4
		.amdhsa_round_robin_scheduling 0
		.amdhsa_exception_fp_ieee_invalid_op 0
		.amdhsa_exception_fp_denorm_src 0
		.amdhsa_exception_fp_ieee_div_zero 0
		.amdhsa_exception_fp_ieee_overflow 0
		.amdhsa_exception_fp_ieee_underflow 0
		.amdhsa_exception_fp_ieee_inexact 0
		.amdhsa_exception_int_div_zero 0
	.end_amdhsa_kernel
	.section	.text._ZN7rocprim17ROCPRIM_400000_NS6detail17trampoline_kernelINS0_14default_configENS1_36segmented_radix_sort_config_selectorI12hip_bfloat16lEEZNS1_25segmented_radix_sort_implIS3_Lb1EPKS5_PS5_PKlPlN2at6native12_GLOBAL__N_18offset_tEEE10hipError_tPvRmT1_PNSt15iterator_traitsISL_E10value_typeET2_T3_PNSM_ISR_E10value_typeET4_jRbjT5_SX_jjP12ihipStream_tbEUlT_E1_NS1_11comp_targetILNS1_3genE0ELNS1_11target_archE4294967295ELNS1_3gpuE0ELNS1_3repE0EEENS1_59segmented_radix_sort_warp_sort_small_config_static_selectorELNS0_4arch9wavefront6targetE0EEEvSL_,"axG",@progbits,_ZN7rocprim17ROCPRIM_400000_NS6detail17trampoline_kernelINS0_14default_configENS1_36segmented_radix_sort_config_selectorI12hip_bfloat16lEEZNS1_25segmented_radix_sort_implIS3_Lb1EPKS5_PS5_PKlPlN2at6native12_GLOBAL__N_18offset_tEEE10hipError_tPvRmT1_PNSt15iterator_traitsISL_E10value_typeET2_T3_PNSM_ISR_E10value_typeET4_jRbjT5_SX_jjP12ihipStream_tbEUlT_E1_NS1_11comp_targetILNS1_3genE0ELNS1_11target_archE4294967295ELNS1_3gpuE0ELNS1_3repE0EEENS1_59segmented_radix_sort_warp_sort_small_config_static_selectorELNS0_4arch9wavefront6targetE0EEEvSL_,comdat
.Lfunc_end1957:
	.size	_ZN7rocprim17ROCPRIM_400000_NS6detail17trampoline_kernelINS0_14default_configENS1_36segmented_radix_sort_config_selectorI12hip_bfloat16lEEZNS1_25segmented_radix_sort_implIS3_Lb1EPKS5_PS5_PKlPlN2at6native12_GLOBAL__N_18offset_tEEE10hipError_tPvRmT1_PNSt15iterator_traitsISL_E10value_typeET2_T3_PNSM_ISR_E10value_typeET4_jRbjT5_SX_jjP12ihipStream_tbEUlT_E1_NS1_11comp_targetILNS1_3genE0ELNS1_11target_archE4294967295ELNS1_3gpuE0ELNS1_3repE0EEENS1_59segmented_radix_sort_warp_sort_small_config_static_selectorELNS0_4arch9wavefront6targetE0EEEvSL_, .Lfunc_end1957-_ZN7rocprim17ROCPRIM_400000_NS6detail17trampoline_kernelINS0_14default_configENS1_36segmented_radix_sort_config_selectorI12hip_bfloat16lEEZNS1_25segmented_radix_sort_implIS3_Lb1EPKS5_PS5_PKlPlN2at6native12_GLOBAL__N_18offset_tEEE10hipError_tPvRmT1_PNSt15iterator_traitsISL_E10value_typeET2_T3_PNSM_ISR_E10value_typeET4_jRbjT5_SX_jjP12ihipStream_tbEUlT_E1_NS1_11comp_targetILNS1_3genE0ELNS1_11target_archE4294967295ELNS1_3gpuE0ELNS1_3repE0EEENS1_59segmented_radix_sort_warp_sort_small_config_static_selectorELNS0_4arch9wavefront6targetE0EEEvSL_
                                        ; -- End function
	.set _ZN7rocprim17ROCPRIM_400000_NS6detail17trampoline_kernelINS0_14default_configENS1_36segmented_radix_sort_config_selectorI12hip_bfloat16lEEZNS1_25segmented_radix_sort_implIS3_Lb1EPKS5_PS5_PKlPlN2at6native12_GLOBAL__N_18offset_tEEE10hipError_tPvRmT1_PNSt15iterator_traitsISL_E10value_typeET2_T3_PNSM_ISR_E10value_typeET4_jRbjT5_SX_jjP12ihipStream_tbEUlT_E1_NS1_11comp_targetILNS1_3genE0ELNS1_11target_archE4294967295ELNS1_3gpuE0ELNS1_3repE0EEENS1_59segmented_radix_sort_warp_sort_small_config_static_selectorELNS0_4arch9wavefront6targetE0EEEvSL_.num_vgpr, max(42, .L_ZN7rocprim17ROCPRIM_400000_NS6detail26segmented_warp_sort_helperINS1_20WarpSortHelperConfigILj8ELj4ELj256EEE12hip_bfloat16lLi256ELb1EvE4sortIPKS5_PS5_PKlPlEEvT_T0_T1_T2_jjjjRNS6_12storage_typeE.num_vgpr)
	.set _ZN7rocprim17ROCPRIM_400000_NS6detail17trampoline_kernelINS0_14default_configENS1_36segmented_radix_sort_config_selectorI12hip_bfloat16lEEZNS1_25segmented_radix_sort_implIS3_Lb1EPKS5_PS5_PKlPlN2at6native12_GLOBAL__N_18offset_tEEE10hipError_tPvRmT1_PNSt15iterator_traitsISL_E10value_typeET2_T3_PNSM_ISR_E10value_typeET4_jRbjT5_SX_jjP12ihipStream_tbEUlT_E1_NS1_11comp_targetILNS1_3genE0ELNS1_11target_archE4294967295ELNS1_3gpuE0ELNS1_3repE0EEENS1_59segmented_radix_sort_warp_sort_small_config_static_selectorELNS0_4arch9wavefront6targetE0EEEvSL_.num_agpr, max(0, .L_ZN7rocprim17ROCPRIM_400000_NS6detail26segmented_warp_sort_helperINS1_20WarpSortHelperConfigILj8ELj4ELj256EEE12hip_bfloat16lLi256ELb1EvE4sortIPKS5_PS5_PKlPlEEvT_T0_T1_T2_jjjjRNS6_12storage_typeE.num_agpr)
	.set _ZN7rocprim17ROCPRIM_400000_NS6detail17trampoline_kernelINS0_14default_configENS1_36segmented_radix_sort_config_selectorI12hip_bfloat16lEEZNS1_25segmented_radix_sort_implIS3_Lb1EPKS5_PS5_PKlPlN2at6native12_GLOBAL__N_18offset_tEEE10hipError_tPvRmT1_PNSt15iterator_traitsISL_E10value_typeET2_T3_PNSM_ISR_E10value_typeET4_jRbjT5_SX_jjP12ihipStream_tbEUlT_E1_NS1_11comp_targetILNS1_3genE0ELNS1_11target_archE4294967295ELNS1_3gpuE0ELNS1_3repE0EEENS1_59segmented_radix_sort_warp_sort_small_config_static_selectorELNS0_4arch9wavefront6targetE0EEEvSL_.numbered_sgpr, max(33, .L_ZN7rocprim17ROCPRIM_400000_NS6detail26segmented_warp_sort_helperINS1_20WarpSortHelperConfigILj8ELj4ELj256EEE12hip_bfloat16lLi256ELb1EvE4sortIPKS5_PS5_PKlPlEEvT_T0_T1_T2_jjjjRNS6_12storage_typeE.numbered_sgpr)
	.set _ZN7rocprim17ROCPRIM_400000_NS6detail17trampoline_kernelINS0_14default_configENS1_36segmented_radix_sort_config_selectorI12hip_bfloat16lEEZNS1_25segmented_radix_sort_implIS3_Lb1EPKS5_PS5_PKlPlN2at6native12_GLOBAL__N_18offset_tEEE10hipError_tPvRmT1_PNSt15iterator_traitsISL_E10value_typeET2_T3_PNSM_ISR_E10value_typeET4_jRbjT5_SX_jjP12ihipStream_tbEUlT_E1_NS1_11comp_targetILNS1_3genE0ELNS1_11target_archE4294967295ELNS1_3gpuE0ELNS1_3repE0EEENS1_59segmented_radix_sort_warp_sort_small_config_static_selectorELNS0_4arch9wavefront6targetE0EEEvSL_.num_named_barrier, max(0, .L_ZN7rocprim17ROCPRIM_400000_NS6detail26segmented_warp_sort_helperINS1_20WarpSortHelperConfigILj8ELj4ELj256EEE12hip_bfloat16lLi256ELb1EvE4sortIPKS5_PS5_PKlPlEEvT_T0_T1_T2_jjjjRNS6_12storage_typeE.num_named_barrier)
	.set _ZN7rocprim17ROCPRIM_400000_NS6detail17trampoline_kernelINS0_14default_configENS1_36segmented_radix_sort_config_selectorI12hip_bfloat16lEEZNS1_25segmented_radix_sort_implIS3_Lb1EPKS5_PS5_PKlPlN2at6native12_GLOBAL__N_18offset_tEEE10hipError_tPvRmT1_PNSt15iterator_traitsISL_E10value_typeET2_T3_PNSM_ISR_E10value_typeET4_jRbjT5_SX_jjP12ihipStream_tbEUlT_E1_NS1_11comp_targetILNS1_3genE0ELNS1_11target_archE4294967295ELNS1_3gpuE0ELNS1_3repE0EEENS1_59segmented_radix_sort_warp_sort_small_config_static_selectorELNS0_4arch9wavefront6targetE0EEEvSL_.private_seg_size, 0+max(.L_ZN7rocprim17ROCPRIM_400000_NS6detail26segmented_warp_sort_helperINS1_20WarpSortHelperConfigILj8ELj4ELj256EEE12hip_bfloat16lLi256ELb1EvE4sortIPKS5_PS5_PKlPlEEvT_T0_T1_T2_jjjjRNS6_12storage_typeE.private_seg_size)
	.set _ZN7rocprim17ROCPRIM_400000_NS6detail17trampoline_kernelINS0_14default_configENS1_36segmented_radix_sort_config_selectorI12hip_bfloat16lEEZNS1_25segmented_radix_sort_implIS3_Lb1EPKS5_PS5_PKlPlN2at6native12_GLOBAL__N_18offset_tEEE10hipError_tPvRmT1_PNSt15iterator_traitsISL_E10value_typeET2_T3_PNSM_ISR_E10value_typeET4_jRbjT5_SX_jjP12ihipStream_tbEUlT_E1_NS1_11comp_targetILNS1_3genE0ELNS1_11target_archE4294967295ELNS1_3gpuE0ELNS1_3repE0EEENS1_59segmented_radix_sort_warp_sort_small_config_static_selectorELNS0_4arch9wavefront6targetE0EEEvSL_.uses_vcc, or(1, .L_ZN7rocprim17ROCPRIM_400000_NS6detail26segmented_warp_sort_helperINS1_20WarpSortHelperConfigILj8ELj4ELj256EEE12hip_bfloat16lLi256ELb1EvE4sortIPKS5_PS5_PKlPlEEvT_T0_T1_T2_jjjjRNS6_12storage_typeE.uses_vcc)
	.set _ZN7rocprim17ROCPRIM_400000_NS6detail17trampoline_kernelINS0_14default_configENS1_36segmented_radix_sort_config_selectorI12hip_bfloat16lEEZNS1_25segmented_radix_sort_implIS3_Lb1EPKS5_PS5_PKlPlN2at6native12_GLOBAL__N_18offset_tEEE10hipError_tPvRmT1_PNSt15iterator_traitsISL_E10value_typeET2_T3_PNSM_ISR_E10value_typeET4_jRbjT5_SX_jjP12ihipStream_tbEUlT_E1_NS1_11comp_targetILNS1_3genE0ELNS1_11target_archE4294967295ELNS1_3gpuE0ELNS1_3repE0EEENS1_59segmented_radix_sort_warp_sort_small_config_static_selectorELNS0_4arch9wavefront6targetE0EEEvSL_.uses_flat_scratch, or(0, .L_ZN7rocprim17ROCPRIM_400000_NS6detail26segmented_warp_sort_helperINS1_20WarpSortHelperConfigILj8ELj4ELj256EEE12hip_bfloat16lLi256ELb1EvE4sortIPKS5_PS5_PKlPlEEvT_T0_T1_T2_jjjjRNS6_12storage_typeE.uses_flat_scratch)
	.set _ZN7rocprim17ROCPRIM_400000_NS6detail17trampoline_kernelINS0_14default_configENS1_36segmented_radix_sort_config_selectorI12hip_bfloat16lEEZNS1_25segmented_radix_sort_implIS3_Lb1EPKS5_PS5_PKlPlN2at6native12_GLOBAL__N_18offset_tEEE10hipError_tPvRmT1_PNSt15iterator_traitsISL_E10value_typeET2_T3_PNSM_ISR_E10value_typeET4_jRbjT5_SX_jjP12ihipStream_tbEUlT_E1_NS1_11comp_targetILNS1_3genE0ELNS1_11target_archE4294967295ELNS1_3gpuE0ELNS1_3repE0EEENS1_59segmented_radix_sort_warp_sort_small_config_static_selectorELNS0_4arch9wavefront6targetE0EEEvSL_.has_dyn_sized_stack, or(0, .L_ZN7rocprim17ROCPRIM_400000_NS6detail26segmented_warp_sort_helperINS1_20WarpSortHelperConfigILj8ELj4ELj256EEE12hip_bfloat16lLi256ELb1EvE4sortIPKS5_PS5_PKlPlEEvT_T0_T1_T2_jjjjRNS6_12storage_typeE.has_dyn_sized_stack)
	.set _ZN7rocprim17ROCPRIM_400000_NS6detail17trampoline_kernelINS0_14default_configENS1_36segmented_radix_sort_config_selectorI12hip_bfloat16lEEZNS1_25segmented_radix_sort_implIS3_Lb1EPKS5_PS5_PKlPlN2at6native12_GLOBAL__N_18offset_tEEE10hipError_tPvRmT1_PNSt15iterator_traitsISL_E10value_typeET2_T3_PNSM_ISR_E10value_typeET4_jRbjT5_SX_jjP12ihipStream_tbEUlT_E1_NS1_11comp_targetILNS1_3genE0ELNS1_11target_archE4294967295ELNS1_3gpuE0ELNS1_3repE0EEENS1_59segmented_radix_sort_warp_sort_small_config_static_selectorELNS0_4arch9wavefront6targetE0EEEvSL_.has_recursion, or(0, .L_ZN7rocprim17ROCPRIM_400000_NS6detail26segmented_warp_sort_helperINS1_20WarpSortHelperConfigILj8ELj4ELj256EEE12hip_bfloat16lLi256ELb1EvE4sortIPKS5_PS5_PKlPlEEvT_T0_T1_T2_jjjjRNS6_12storage_typeE.has_recursion)
	.set _ZN7rocprim17ROCPRIM_400000_NS6detail17trampoline_kernelINS0_14default_configENS1_36segmented_radix_sort_config_selectorI12hip_bfloat16lEEZNS1_25segmented_radix_sort_implIS3_Lb1EPKS5_PS5_PKlPlN2at6native12_GLOBAL__N_18offset_tEEE10hipError_tPvRmT1_PNSt15iterator_traitsISL_E10value_typeET2_T3_PNSM_ISR_E10value_typeET4_jRbjT5_SX_jjP12ihipStream_tbEUlT_E1_NS1_11comp_targetILNS1_3genE0ELNS1_11target_archE4294967295ELNS1_3gpuE0ELNS1_3repE0EEENS1_59segmented_radix_sort_warp_sort_small_config_static_selectorELNS0_4arch9wavefront6targetE0EEEvSL_.has_indirect_call, or(0, .L_ZN7rocprim17ROCPRIM_400000_NS6detail26segmented_warp_sort_helperINS1_20WarpSortHelperConfigILj8ELj4ELj256EEE12hip_bfloat16lLi256ELb1EvE4sortIPKS5_PS5_PKlPlEEvT_T0_T1_T2_jjjjRNS6_12storage_typeE.has_indirect_call)
	.section	.AMDGPU.csdata,"",@progbits
; Kernel info:
; codeLenInByte = 496
; TotalNumSgprs: 35
; NumVgprs: 56
; ScratchSize: 0
; MemoryBound: 0
; FloatMode: 240
; IeeeMode: 1
; LDSByteSize: 10240 bytes/workgroup (compile time only)
; SGPRBlocks: 0
; VGPRBlocks: 3
; NumSGPRsForWavesPerEU: 35
; NumVGPRsForWavesPerEU: 56
; NamedBarCnt: 0
; Occupancy: 16
; WaveLimiterHint : 0
; COMPUTE_PGM_RSRC2:SCRATCH_EN: 0
; COMPUTE_PGM_RSRC2:USER_SGPR: 4
; COMPUTE_PGM_RSRC2:TRAP_HANDLER: 0
; COMPUTE_PGM_RSRC2:TGID_X_EN: 1
; COMPUTE_PGM_RSRC2:TGID_Y_EN: 1
; COMPUTE_PGM_RSRC2:TGID_Z_EN: 0
; COMPUTE_PGM_RSRC2:TIDIG_COMP_CNT: 2
	.section	.text._ZN7rocprim17ROCPRIM_400000_NS6detail17trampoline_kernelINS0_14default_configENS1_36segmented_radix_sort_config_selectorI12hip_bfloat16lEEZNS1_25segmented_radix_sort_implIS3_Lb1EPKS5_PS5_PKlPlN2at6native12_GLOBAL__N_18offset_tEEE10hipError_tPvRmT1_PNSt15iterator_traitsISL_E10value_typeET2_T3_PNSM_ISR_E10value_typeET4_jRbjT5_SX_jjP12ihipStream_tbEUlT_E1_NS1_11comp_targetILNS1_3genE5ELNS1_11target_archE942ELNS1_3gpuE9ELNS1_3repE0EEENS1_59segmented_radix_sort_warp_sort_small_config_static_selectorELNS0_4arch9wavefront6targetE0EEEvSL_,"axG",@progbits,_ZN7rocprim17ROCPRIM_400000_NS6detail17trampoline_kernelINS0_14default_configENS1_36segmented_radix_sort_config_selectorI12hip_bfloat16lEEZNS1_25segmented_radix_sort_implIS3_Lb1EPKS5_PS5_PKlPlN2at6native12_GLOBAL__N_18offset_tEEE10hipError_tPvRmT1_PNSt15iterator_traitsISL_E10value_typeET2_T3_PNSM_ISR_E10value_typeET4_jRbjT5_SX_jjP12ihipStream_tbEUlT_E1_NS1_11comp_targetILNS1_3genE5ELNS1_11target_archE942ELNS1_3gpuE9ELNS1_3repE0EEENS1_59segmented_radix_sort_warp_sort_small_config_static_selectorELNS0_4arch9wavefront6targetE0EEEvSL_,comdat
	.globl	_ZN7rocprim17ROCPRIM_400000_NS6detail17trampoline_kernelINS0_14default_configENS1_36segmented_radix_sort_config_selectorI12hip_bfloat16lEEZNS1_25segmented_radix_sort_implIS3_Lb1EPKS5_PS5_PKlPlN2at6native12_GLOBAL__N_18offset_tEEE10hipError_tPvRmT1_PNSt15iterator_traitsISL_E10value_typeET2_T3_PNSM_ISR_E10value_typeET4_jRbjT5_SX_jjP12ihipStream_tbEUlT_E1_NS1_11comp_targetILNS1_3genE5ELNS1_11target_archE942ELNS1_3gpuE9ELNS1_3repE0EEENS1_59segmented_radix_sort_warp_sort_small_config_static_selectorELNS0_4arch9wavefront6targetE0EEEvSL_ ; -- Begin function _ZN7rocprim17ROCPRIM_400000_NS6detail17trampoline_kernelINS0_14default_configENS1_36segmented_radix_sort_config_selectorI12hip_bfloat16lEEZNS1_25segmented_radix_sort_implIS3_Lb1EPKS5_PS5_PKlPlN2at6native12_GLOBAL__N_18offset_tEEE10hipError_tPvRmT1_PNSt15iterator_traitsISL_E10value_typeET2_T3_PNSM_ISR_E10value_typeET4_jRbjT5_SX_jjP12ihipStream_tbEUlT_E1_NS1_11comp_targetILNS1_3genE5ELNS1_11target_archE942ELNS1_3gpuE9ELNS1_3repE0EEENS1_59segmented_radix_sort_warp_sort_small_config_static_selectorELNS0_4arch9wavefront6targetE0EEEvSL_
	.p2align	8
	.type	_ZN7rocprim17ROCPRIM_400000_NS6detail17trampoline_kernelINS0_14default_configENS1_36segmented_radix_sort_config_selectorI12hip_bfloat16lEEZNS1_25segmented_radix_sort_implIS3_Lb1EPKS5_PS5_PKlPlN2at6native12_GLOBAL__N_18offset_tEEE10hipError_tPvRmT1_PNSt15iterator_traitsISL_E10value_typeET2_T3_PNSM_ISR_E10value_typeET4_jRbjT5_SX_jjP12ihipStream_tbEUlT_E1_NS1_11comp_targetILNS1_3genE5ELNS1_11target_archE942ELNS1_3gpuE9ELNS1_3repE0EEENS1_59segmented_radix_sort_warp_sort_small_config_static_selectorELNS0_4arch9wavefront6targetE0EEEvSL_,@function
_ZN7rocprim17ROCPRIM_400000_NS6detail17trampoline_kernelINS0_14default_configENS1_36segmented_radix_sort_config_selectorI12hip_bfloat16lEEZNS1_25segmented_radix_sort_implIS3_Lb1EPKS5_PS5_PKlPlN2at6native12_GLOBAL__N_18offset_tEEE10hipError_tPvRmT1_PNSt15iterator_traitsISL_E10value_typeET2_T3_PNSM_ISR_E10value_typeET4_jRbjT5_SX_jjP12ihipStream_tbEUlT_E1_NS1_11comp_targetILNS1_3genE5ELNS1_11target_archE942ELNS1_3gpuE9ELNS1_3repE0EEENS1_59segmented_radix_sort_warp_sort_small_config_static_selectorELNS0_4arch9wavefront6targetE0EEEvSL_: ; @_ZN7rocprim17ROCPRIM_400000_NS6detail17trampoline_kernelINS0_14default_configENS1_36segmented_radix_sort_config_selectorI12hip_bfloat16lEEZNS1_25segmented_radix_sort_implIS3_Lb1EPKS5_PS5_PKlPlN2at6native12_GLOBAL__N_18offset_tEEE10hipError_tPvRmT1_PNSt15iterator_traitsISL_E10value_typeET2_T3_PNSM_ISR_E10value_typeET4_jRbjT5_SX_jjP12ihipStream_tbEUlT_E1_NS1_11comp_targetILNS1_3genE5ELNS1_11target_archE942ELNS1_3gpuE9ELNS1_3repE0EEENS1_59segmented_radix_sort_warp_sort_small_config_static_selectorELNS0_4arch9wavefront6targetE0EEEvSL_
; %bb.0:
	.section	.rodata,"a",@progbits
	.p2align	6, 0x0
	.amdhsa_kernel _ZN7rocprim17ROCPRIM_400000_NS6detail17trampoline_kernelINS0_14default_configENS1_36segmented_radix_sort_config_selectorI12hip_bfloat16lEEZNS1_25segmented_radix_sort_implIS3_Lb1EPKS5_PS5_PKlPlN2at6native12_GLOBAL__N_18offset_tEEE10hipError_tPvRmT1_PNSt15iterator_traitsISL_E10value_typeET2_T3_PNSM_ISR_E10value_typeET4_jRbjT5_SX_jjP12ihipStream_tbEUlT_E1_NS1_11comp_targetILNS1_3genE5ELNS1_11target_archE942ELNS1_3gpuE9ELNS1_3repE0EEENS1_59segmented_radix_sort_warp_sort_small_config_static_selectorELNS0_4arch9wavefront6targetE0EEEvSL_
		.amdhsa_group_segment_fixed_size 0
		.amdhsa_private_segment_fixed_size 0
		.amdhsa_kernarg_size 88
		.amdhsa_user_sgpr_count 2
		.amdhsa_user_sgpr_dispatch_ptr 0
		.amdhsa_user_sgpr_queue_ptr 0
		.amdhsa_user_sgpr_kernarg_segment_ptr 1
		.amdhsa_user_sgpr_dispatch_id 0
		.amdhsa_user_sgpr_kernarg_preload_length 0
		.amdhsa_user_sgpr_kernarg_preload_offset 0
		.amdhsa_user_sgpr_private_segment_size 0
		.amdhsa_wavefront_size32 1
		.amdhsa_uses_dynamic_stack 0
		.amdhsa_enable_private_segment 0
		.amdhsa_system_sgpr_workgroup_id_x 1
		.amdhsa_system_sgpr_workgroup_id_y 0
		.amdhsa_system_sgpr_workgroup_id_z 0
		.amdhsa_system_sgpr_workgroup_info 0
		.amdhsa_system_vgpr_workitem_id 0
		.amdhsa_next_free_vgpr 1
		.amdhsa_next_free_sgpr 1
		.amdhsa_named_barrier_count 0
		.amdhsa_reserve_vcc 0
		.amdhsa_float_round_mode_32 0
		.amdhsa_float_round_mode_16_64 0
		.amdhsa_float_denorm_mode_32 3
		.amdhsa_float_denorm_mode_16_64 3
		.amdhsa_fp16_overflow 0
		.amdhsa_memory_ordered 1
		.amdhsa_forward_progress 1
		.amdhsa_inst_pref_size 0
		.amdhsa_round_robin_scheduling 0
		.amdhsa_exception_fp_ieee_invalid_op 0
		.amdhsa_exception_fp_denorm_src 0
		.amdhsa_exception_fp_ieee_div_zero 0
		.amdhsa_exception_fp_ieee_overflow 0
		.amdhsa_exception_fp_ieee_underflow 0
		.amdhsa_exception_fp_ieee_inexact 0
		.amdhsa_exception_int_div_zero 0
	.end_amdhsa_kernel
	.section	.text._ZN7rocprim17ROCPRIM_400000_NS6detail17trampoline_kernelINS0_14default_configENS1_36segmented_radix_sort_config_selectorI12hip_bfloat16lEEZNS1_25segmented_radix_sort_implIS3_Lb1EPKS5_PS5_PKlPlN2at6native12_GLOBAL__N_18offset_tEEE10hipError_tPvRmT1_PNSt15iterator_traitsISL_E10value_typeET2_T3_PNSM_ISR_E10value_typeET4_jRbjT5_SX_jjP12ihipStream_tbEUlT_E1_NS1_11comp_targetILNS1_3genE5ELNS1_11target_archE942ELNS1_3gpuE9ELNS1_3repE0EEENS1_59segmented_radix_sort_warp_sort_small_config_static_selectorELNS0_4arch9wavefront6targetE0EEEvSL_,"axG",@progbits,_ZN7rocprim17ROCPRIM_400000_NS6detail17trampoline_kernelINS0_14default_configENS1_36segmented_radix_sort_config_selectorI12hip_bfloat16lEEZNS1_25segmented_radix_sort_implIS3_Lb1EPKS5_PS5_PKlPlN2at6native12_GLOBAL__N_18offset_tEEE10hipError_tPvRmT1_PNSt15iterator_traitsISL_E10value_typeET2_T3_PNSM_ISR_E10value_typeET4_jRbjT5_SX_jjP12ihipStream_tbEUlT_E1_NS1_11comp_targetILNS1_3genE5ELNS1_11target_archE942ELNS1_3gpuE9ELNS1_3repE0EEENS1_59segmented_radix_sort_warp_sort_small_config_static_selectorELNS0_4arch9wavefront6targetE0EEEvSL_,comdat
.Lfunc_end1958:
	.size	_ZN7rocprim17ROCPRIM_400000_NS6detail17trampoline_kernelINS0_14default_configENS1_36segmented_radix_sort_config_selectorI12hip_bfloat16lEEZNS1_25segmented_radix_sort_implIS3_Lb1EPKS5_PS5_PKlPlN2at6native12_GLOBAL__N_18offset_tEEE10hipError_tPvRmT1_PNSt15iterator_traitsISL_E10value_typeET2_T3_PNSM_ISR_E10value_typeET4_jRbjT5_SX_jjP12ihipStream_tbEUlT_E1_NS1_11comp_targetILNS1_3genE5ELNS1_11target_archE942ELNS1_3gpuE9ELNS1_3repE0EEENS1_59segmented_radix_sort_warp_sort_small_config_static_selectorELNS0_4arch9wavefront6targetE0EEEvSL_, .Lfunc_end1958-_ZN7rocprim17ROCPRIM_400000_NS6detail17trampoline_kernelINS0_14default_configENS1_36segmented_radix_sort_config_selectorI12hip_bfloat16lEEZNS1_25segmented_radix_sort_implIS3_Lb1EPKS5_PS5_PKlPlN2at6native12_GLOBAL__N_18offset_tEEE10hipError_tPvRmT1_PNSt15iterator_traitsISL_E10value_typeET2_T3_PNSM_ISR_E10value_typeET4_jRbjT5_SX_jjP12ihipStream_tbEUlT_E1_NS1_11comp_targetILNS1_3genE5ELNS1_11target_archE942ELNS1_3gpuE9ELNS1_3repE0EEENS1_59segmented_radix_sort_warp_sort_small_config_static_selectorELNS0_4arch9wavefront6targetE0EEEvSL_
                                        ; -- End function
	.set _ZN7rocprim17ROCPRIM_400000_NS6detail17trampoline_kernelINS0_14default_configENS1_36segmented_radix_sort_config_selectorI12hip_bfloat16lEEZNS1_25segmented_radix_sort_implIS3_Lb1EPKS5_PS5_PKlPlN2at6native12_GLOBAL__N_18offset_tEEE10hipError_tPvRmT1_PNSt15iterator_traitsISL_E10value_typeET2_T3_PNSM_ISR_E10value_typeET4_jRbjT5_SX_jjP12ihipStream_tbEUlT_E1_NS1_11comp_targetILNS1_3genE5ELNS1_11target_archE942ELNS1_3gpuE9ELNS1_3repE0EEENS1_59segmented_radix_sort_warp_sort_small_config_static_selectorELNS0_4arch9wavefront6targetE0EEEvSL_.num_vgpr, 0
	.set _ZN7rocprim17ROCPRIM_400000_NS6detail17trampoline_kernelINS0_14default_configENS1_36segmented_radix_sort_config_selectorI12hip_bfloat16lEEZNS1_25segmented_radix_sort_implIS3_Lb1EPKS5_PS5_PKlPlN2at6native12_GLOBAL__N_18offset_tEEE10hipError_tPvRmT1_PNSt15iterator_traitsISL_E10value_typeET2_T3_PNSM_ISR_E10value_typeET4_jRbjT5_SX_jjP12ihipStream_tbEUlT_E1_NS1_11comp_targetILNS1_3genE5ELNS1_11target_archE942ELNS1_3gpuE9ELNS1_3repE0EEENS1_59segmented_radix_sort_warp_sort_small_config_static_selectorELNS0_4arch9wavefront6targetE0EEEvSL_.num_agpr, 0
	.set _ZN7rocprim17ROCPRIM_400000_NS6detail17trampoline_kernelINS0_14default_configENS1_36segmented_radix_sort_config_selectorI12hip_bfloat16lEEZNS1_25segmented_radix_sort_implIS3_Lb1EPKS5_PS5_PKlPlN2at6native12_GLOBAL__N_18offset_tEEE10hipError_tPvRmT1_PNSt15iterator_traitsISL_E10value_typeET2_T3_PNSM_ISR_E10value_typeET4_jRbjT5_SX_jjP12ihipStream_tbEUlT_E1_NS1_11comp_targetILNS1_3genE5ELNS1_11target_archE942ELNS1_3gpuE9ELNS1_3repE0EEENS1_59segmented_radix_sort_warp_sort_small_config_static_selectorELNS0_4arch9wavefront6targetE0EEEvSL_.numbered_sgpr, 0
	.set _ZN7rocprim17ROCPRIM_400000_NS6detail17trampoline_kernelINS0_14default_configENS1_36segmented_radix_sort_config_selectorI12hip_bfloat16lEEZNS1_25segmented_radix_sort_implIS3_Lb1EPKS5_PS5_PKlPlN2at6native12_GLOBAL__N_18offset_tEEE10hipError_tPvRmT1_PNSt15iterator_traitsISL_E10value_typeET2_T3_PNSM_ISR_E10value_typeET4_jRbjT5_SX_jjP12ihipStream_tbEUlT_E1_NS1_11comp_targetILNS1_3genE5ELNS1_11target_archE942ELNS1_3gpuE9ELNS1_3repE0EEENS1_59segmented_radix_sort_warp_sort_small_config_static_selectorELNS0_4arch9wavefront6targetE0EEEvSL_.num_named_barrier, 0
	.set _ZN7rocprim17ROCPRIM_400000_NS6detail17trampoline_kernelINS0_14default_configENS1_36segmented_radix_sort_config_selectorI12hip_bfloat16lEEZNS1_25segmented_radix_sort_implIS3_Lb1EPKS5_PS5_PKlPlN2at6native12_GLOBAL__N_18offset_tEEE10hipError_tPvRmT1_PNSt15iterator_traitsISL_E10value_typeET2_T3_PNSM_ISR_E10value_typeET4_jRbjT5_SX_jjP12ihipStream_tbEUlT_E1_NS1_11comp_targetILNS1_3genE5ELNS1_11target_archE942ELNS1_3gpuE9ELNS1_3repE0EEENS1_59segmented_radix_sort_warp_sort_small_config_static_selectorELNS0_4arch9wavefront6targetE0EEEvSL_.private_seg_size, 0
	.set _ZN7rocprim17ROCPRIM_400000_NS6detail17trampoline_kernelINS0_14default_configENS1_36segmented_radix_sort_config_selectorI12hip_bfloat16lEEZNS1_25segmented_radix_sort_implIS3_Lb1EPKS5_PS5_PKlPlN2at6native12_GLOBAL__N_18offset_tEEE10hipError_tPvRmT1_PNSt15iterator_traitsISL_E10value_typeET2_T3_PNSM_ISR_E10value_typeET4_jRbjT5_SX_jjP12ihipStream_tbEUlT_E1_NS1_11comp_targetILNS1_3genE5ELNS1_11target_archE942ELNS1_3gpuE9ELNS1_3repE0EEENS1_59segmented_radix_sort_warp_sort_small_config_static_selectorELNS0_4arch9wavefront6targetE0EEEvSL_.uses_vcc, 0
	.set _ZN7rocprim17ROCPRIM_400000_NS6detail17trampoline_kernelINS0_14default_configENS1_36segmented_radix_sort_config_selectorI12hip_bfloat16lEEZNS1_25segmented_radix_sort_implIS3_Lb1EPKS5_PS5_PKlPlN2at6native12_GLOBAL__N_18offset_tEEE10hipError_tPvRmT1_PNSt15iterator_traitsISL_E10value_typeET2_T3_PNSM_ISR_E10value_typeET4_jRbjT5_SX_jjP12ihipStream_tbEUlT_E1_NS1_11comp_targetILNS1_3genE5ELNS1_11target_archE942ELNS1_3gpuE9ELNS1_3repE0EEENS1_59segmented_radix_sort_warp_sort_small_config_static_selectorELNS0_4arch9wavefront6targetE0EEEvSL_.uses_flat_scratch, 0
	.set _ZN7rocprim17ROCPRIM_400000_NS6detail17trampoline_kernelINS0_14default_configENS1_36segmented_radix_sort_config_selectorI12hip_bfloat16lEEZNS1_25segmented_radix_sort_implIS3_Lb1EPKS5_PS5_PKlPlN2at6native12_GLOBAL__N_18offset_tEEE10hipError_tPvRmT1_PNSt15iterator_traitsISL_E10value_typeET2_T3_PNSM_ISR_E10value_typeET4_jRbjT5_SX_jjP12ihipStream_tbEUlT_E1_NS1_11comp_targetILNS1_3genE5ELNS1_11target_archE942ELNS1_3gpuE9ELNS1_3repE0EEENS1_59segmented_radix_sort_warp_sort_small_config_static_selectorELNS0_4arch9wavefront6targetE0EEEvSL_.has_dyn_sized_stack, 0
	.set _ZN7rocprim17ROCPRIM_400000_NS6detail17trampoline_kernelINS0_14default_configENS1_36segmented_radix_sort_config_selectorI12hip_bfloat16lEEZNS1_25segmented_radix_sort_implIS3_Lb1EPKS5_PS5_PKlPlN2at6native12_GLOBAL__N_18offset_tEEE10hipError_tPvRmT1_PNSt15iterator_traitsISL_E10value_typeET2_T3_PNSM_ISR_E10value_typeET4_jRbjT5_SX_jjP12ihipStream_tbEUlT_E1_NS1_11comp_targetILNS1_3genE5ELNS1_11target_archE942ELNS1_3gpuE9ELNS1_3repE0EEENS1_59segmented_radix_sort_warp_sort_small_config_static_selectorELNS0_4arch9wavefront6targetE0EEEvSL_.has_recursion, 0
	.set _ZN7rocprim17ROCPRIM_400000_NS6detail17trampoline_kernelINS0_14default_configENS1_36segmented_radix_sort_config_selectorI12hip_bfloat16lEEZNS1_25segmented_radix_sort_implIS3_Lb1EPKS5_PS5_PKlPlN2at6native12_GLOBAL__N_18offset_tEEE10hipError_tPvRmT1_PNSt15iterator_traitsISL_E10value_typeET2_T3_PNSM_ISR_E10value_typeET4_jRbjT5_SX_jjP12ihipStream_tbEUlT_E1_NS1_11comp_targetILNS1_3genE5ELNS1_11target_archE942ELNS1_3gpuE9ELNS1_3repE0EEENS1_59segmented_radix_sort_warp_sort_small_config_static_selectorELNS0_4arch9wavefront6targetE0EEEvSL_.has_indirect_call, 0
	.section	.AMDGPU.csdata,"",@progbits
; Kernel info:
; codeLenInByte = 0
; TotalNumSgprs: 0
; NumVgprs: 0
; ScratchSize: 0
; MemoryBound: 0
; FloatMode: 240
; IeeeMode: 1
; LDSByteSize: 0 bytes/workgroup (compile time only)
; SGPRBlocks: 0
; VGPRBlocks: 0
; NumSGPRsForWavesPerEU: 1
; NumVGPRsForWavesPerEU: 1
; NamedBarCnt: 0
; Occupancy: 16
; WaveLimiterHint : 0
; COMPUTE_PGM_RSRC2:SCRATCH_EN: 0
; COMPUTE_PGM_RSRC2:USER_SGPR: 2
; COMPUTE_PGM_RSRC2:TRAP_HANDLER: 0
; COMPUTE_PGM_RSRC2:TGID_X_EN: 1
; COMPUTE_PGM_RSRC2:TGID_Y_EN: 0
; COMPUTE_PGM_RSRC2:TGID_Z_EN: 0
; COMPUTE_PGM_RSRC2:TIDIG_COMP_CNT: 0
	.section	.text._ZN7rocprim17ROCPRIM_400000_NS6detail17trampoline_kernelINS0_14default_configENS1_36segmented_radix_sort_config_selectorI12hip_bfloat16lEEZNS1_25segmented_radix_sort_implIS3_Lb1EPKS5_PS5_PKlPlN2at6native12_GLOBAL__N_18offset_tEEE10hipError_tPvRmT1_PNSt15iterator_traitsISL_E10value_typeET2_T3_PNSM_ISR_E10value_typeET4_jRbjT5_SX_jjP12ihipStream_tbEUlT_E1_NS1_11comp_targetILNS1_3genE4ELNS1_11target_archE910ELNS1_3gpuE8ELNS1_3repE0EEENS1_59segmented_radix_sort_warp_sort_small_config_static_selectorELNS0_4arch9wavefront6targetE0EEEvSL_,"axG",@progbits,_ZN7rocprim17ROCPRIM_400000_NS6detail17trampoline_kernelINS0_14default_configENS1_36segmented_radix_sort_config_selectorI12hip_bfloat16lEEZNS1_25segmented_radix_sort_implIS3_Lb1EPKS5_PS5_PKlPlN2at6native12_GLOBAL__N_18offset_tEEE10hipError_tPvRmT1_PNSt15iterator_traitsISL_E10value_typeET2_T3_PNSM_ISR_E10value_typeET4_jRbjT5_SX_jjP12ihipStream_tbEUlT_E1_NS1_11comp_targetILNS1_3genE4ELNS1_11target_archE910ELNS1_3gpuE8ELNS1_3repE0EEENS1_59segmented_radix_sort_warp_sort_small_config_static_selectorELNS0_4arch9wavefront6targetE0EEEvSL_,comdat
	.globl	_ZN7rocprim17ROCPRIM_400000_NS6detail17trampoline_kernelINS0_14default_configENS1_36segmented_radix_sort_config_selectorI12hip_bfloat16lEEZNS1_25segmented_radix_sort_implIS3_Lb1EPKS5_PS5_PKlPlN2at6native12_GLOBAL__N_18offset_tEEE10hipError_tPvRmT1_PNSt15iterator_traitsISL_E10value_typeET2_T3_PNSM_ISR_E10value_typeET4_jRbjT5_SX_jjP12ihipStream_tbEUlT_E1_NS1_11comp_targetILNS1_3genE4ELNS1_11target_archE910ELNS1_3gpuE8ELNS1_3repE0EEENS1_59segmented_radix_sort_warp_sort_small_config_static_selectorELNS0_4arch9wavefront6targetE0EEEvSL_ ; -- Begin function _ZN7rocprim17ROCPRIM_400000_NS6detail17trampoline_kernelINS0_14default_configENS1_36segmented_radix_sort_config_selectorI12hip_bfloat16lEEZNS1_25segmented_radix_sort_implIS3_Lb1EPKS5_PS5_PKlPlN2at6native12_GLOBAL__N_18offset_tEEE10hipError_tPvRmT1_PNSt15iterator_traitsISL_E10value_typeET2_T3_PNSM_ISR_E10value_typeET4_jRbjT5_SX_jjP12ihipStream_tbEUlT_E1_NS1_11comp_targetILNS1_3genE4ELNS1_11target_archE910ELNS1_3gpuE8ELNS1_3repE0EEENS1_59segmented_radix_sort_warp_sort_small_config_static_selectorELNS0_4arch9wavefront6targetE0EEEvSL_
	.p2align	8
	.type	_ZN7rocprim17ROCPRIM_400000_NS6detail17trampoline_kernelINS0_14default_configENS1_36segmented_radix_sort_config_selectorI12hip_bfloat16lEEZNS1_25segmented_radix_sort_implIS3_Lb1EPKS5_PS5_PKlPlN2at6native12_GLOBAL__N_18offset_tEEE10hipError_tPvRmT1_PNSt15iterator_traitsISL_E10value_typeET2_T3_PNSM_ISR_E10value_typeET4_jRbjT5_SX_jjP12ihipStream_tbEUlT_E1_NS1_11comp_targetILNS1_3genE4ELNS1_11target_archE910ELNS1_3gpuE8ELNS1_3repE0EEENS1_59segmented_radix_sort_warp_sort_small_config_static_selectorELNS0_4arch9wavefront6targetE0EEEvSL_,@function
_ZN7rocprim17ROCPRIM_400000_NS6detail17trampoline_kernelINS0_14default_configENS1_36segmented_radix_sort_config_selectorI12hip_bfloat16lEEZNS1_25segmented_radix_sort_implIS3_Lb1EPKS5_PS5_PKlPlN2at6native12_GLOBAL__N_18offset_tEEE10hipError_tPvRmT1_PNSt15iterator_traitsISL_E10value_typeET2_T3_PNSM_ISR_E10value_typeET4_jRbjT5_SX_jjP12ihipStream_tbEUlT_E1_NS1_11comp_targetILNS1_3genE4ELNS1_11target_archE910ELNS1_3gpuE8ELNS1_3repE0EEENS1_59segmented_radix_sort_warp_sort_small_config_static_selectorELNS0_4arch9wavefront6targetE0EEEvSL_: ; @_ZN7rocprim17ROCPRIM_400000_NS6detail17trampoline_kernelINS0_14default_configENS1_36segmented_radix_sort_config_selectorI12hip_bfloat16lEEZNS1_25segmented_radix_sort_implIS3_Lb1EPKS5_PS5_PKlPlN2at6native12_GLOBAL__N_18offset_tEEE10hipError_tPvRmT1_PNSt15iterator_traitsISL_E10value_typeET2_T3_PNSM_ISR_E10value_typeET4_jRbjT5_SX_jjP12ihipStream_tbEUlT_E1_NS1_11comp_targetILNS1_3genE4ELNS1_11target_archE910ELNS1_3gpuE8ELNS1_3repE0EEENS1_59segmented_radix_sort_warp_sort_small_config_static_selectorELNS0_4arch9wavefront6targetE0EEEvSL_
; %bb.0:
	.section	.rodata,"a",@progbits
	.p2align	6, 0x0
	.amdhsa_kernel _ZN7rocprim17ROCPRIM_400000_NS6detail17trampoline_kernelINS0_14default_configENS1_36segmented_radix_sort_config_selectorI12hip_bfloat16lEEZNS1_25segmented_radix_sort_implIS3_Lb1EPKS5_PS5_PKlPlN2at6native12_GLOBAL__N_18offset_tEEE10hipError_tPvRmT1_PNSt15iterator_traitsISL_E10value_typeET2_T3_PNSM_ISR_E10value_typeET4_jRbjT5_SX_jjP12ihipStream_tbEUlT_E1_NS1_11comp_targetILNS1_3genE4ELNS1_11target_archE910ELNS1_3gpuE8ELNS1_3repE0EEENS1_59segmented_radix_sort_warp_sort_small_config_static_selectorELNS0_4arch9wavefront6targetE0EEEvSL_
		.amdhsa_group_segment_fixed_size 0
		.amdhsa_private_segment_fixed_size 0
		.amdhsa_kernarg_size 88
		.amdhsa_user_sgpr_count 2
		.amdhsa_user_sgpr_dispatch_ptr 0
		.amdhsa_user_sgpr_queue_ptr 0
		.amdhsa_user_sgpr_kernarg_segment_ptr 1
		.amdhsa_user_sgpr_dispatch_id 0
		.amdhsa_user_sgpr_kernarg_preload_length 0
		.amdhsa_user_sgpr_kernarg_preload_offset 0
		.amdhsa_user_sgpr_private_segment_size 0
		.amdhsa_wavefront_size32 1
		.amdhsa_uses_dynamic_stack 0
		.amdhsa_enable_private_segment 0
		.amdhsa_system_sgpr_workgroup_id_x 1
		.amdhsa_system_sgpr_workgroup_id_y 0
		.amdhsa_system_sgpr_workgroup_id_z 0
		.amdhsa_system_sgpr_workgroup_info 0
		.amdhsa_system_vgpr_workitem_id 0
		.amdhsa_next_free_vgpr 1
		.amdhsa_next_free_sgpr 1
		.amdhsa_named_barrier_count 0
		.amdhsa_reserve_vcc 0
		.amdhsa_float_round_mode_32 0
		.amdhsa_float_round_mode_16_64 0
		.amdhsa_float_denorm_mode_32 3
		.amdhsa_float_denorm_mode_16_64 3
		.amdhsa_fp16_overflow 0
		.amdhsa_memory_ordered 1
		.amdhsa_forward_progress 1
		.amdhsa_inst_pref_size 0
		.amdhsa_round_robin_scheduling 0
		.amdhsa_exception_fp_ieee_invalid_op 0
		.amdhsa_exception_fp_denorm_src 0
		.amdhsa_exception_fp_ieee_div_zero 0
		.amdhsa_exception_fp_ieee_overflow 0
		.amdhsa_exception_fp_ieee_underflow 0
		.amdhsa_exception_fp_ieee_inexact 0
		.amdhsa_exception_int_div_zero 0
	.end_amdhsa_kernel
	.section	.text._ZN7rocprim17ROCPRIM_400000_NS6detail17trampoline_kernelINS0_14default_configENS1_36segmented_radix_sort_config_selectorI12hip_bfloat16lEEZNS1_25segmented_radix_sort_implIS3_Lb1EPKS5_PS5_PKlPlN2at6native12_GLOBAL__N_18offset_tEEE10hipError_tPvRmT1_PNSt15iterator_traitsISL_E10value_typeET2_T3_PNSM_ISR_E10value_typeET4_jRbjT5_SX_jjP12ihipStream_tbEUlT_E1_NS1_11comp_targetILNS1_3genE4ELNS1_11target_archE910ELNS1_3gpuE8ELNS1_3repE0EEENS1_59segmented_radix_sort_warp_sort_small_config_static_selectorELNS0_4arch9wavefront6targetE0EEEvSL_,"axG",@progbits,_ZN7rocprim17ROCPRIM_400000_NS6detail17trampoline_kernelINS0_14default_configENS1_36segmented_radix_sort_config_selectorI12hip_bfloat16lEEZNS1_25segmented_radix_sort_implIS3_Lb1EPKS5_PS5_PKlPlN2at6native12_GLOBAL__N_18offset_tEEE10hipError_tPvRmT1_PNSt15iterator_traitsISL_E10value_typeET2_T3_PNSM_ISR_E10value_typeET4_jRbjT5_SX_jjP12ihipStream_tbEUlT_E1_NS1_11comp_targetILNS1_3genE4ELNS1_11target_archE910ELNS1_3gpuE8ELNS1_3repE0EEENS1_59segmented_radix_sort_warp_sort_small_config_static_selectorELNS0_4arch9wavefront6targetE0EEEvSL_,comdat
.Lfunc_end1959:
	.size	_ZN7rocprim17ROCPRIM_400000_NS6detail17trampoline_kernelINS0_14default_configENS1_36segmented_radix_sort_config_selectorI12hip_bfloat16lEEZNS1_25segmented_radix_sort_implIS3_Lb1EPKS5_PS5_PKlPlN2at6native12_GLOBAL__N_18offset_tEEE10hipError_tPvRmT1_PNSt15iterator_traitsISL_E10value_typeET2_T3_PNSM_ISR_E10value_typeET4_jRbjT5_SX_jjP12ihipStream_tbEUlT_E1_NS1_11comp_targetILNS1_3genE4ELNS1_11target_archE910ELNS1_3gpuE8ELNS1_3repE0EEENS1_59segmented_radix_sort_warp_sort_small_config_static_selectorELNS0_4arch9wavefront6targetE0EEEvSL_, .Lfunc_end1959-_ZN7rocprim17ROCPRIM_400000_NS6detail17trampoline_kernelINS0_14default_configENS1_36segmented_radix_sort_config_selectorI12hip_bfloat16lEEZNS1_25segmented_radix_sort_implIS3_Lb1EPKS5_PS5_PKlPlN2at6native12_GLOBAL__N_18offset_tEEE10hipError_tPvRmT1_PNSt15iterator_traitsISL_E10value_typeET2_T3_PNSM_ISR_E10value_typeET4_jRbjT5_SX_jjP12ihipStream_tbEUlT_E1_NS1_11comp_targetILNS1_3genE4ELNS1_11target_archE910ELNS1_3gpuE8ELNS1_3repE0EEENS1_59segmented_radix_sort_warp_sort_small_config_static_selectorELNS0_4arch9wavefront6targetE0EEEvSL_
                                        ; -- End function
	.set _ZN7rocprim17ROCPRIM_400000_NS6detail17trampoline_kernelINS0_14default_configENS1_36segmented_radix_sort_config_selectorI12hip_bfloat16lEEZNS1_25segmented_radix_sort_implIS3_Lb1EPKS5_PS5_PKlPlN2at6native12_GLOBAL__N_18offset_tEEE10hipError_tPvRmT1_PNSt15iterator_traitsISL_E10value_typeET2_T3_PNSM_ISR_E10value_typeET4_jRbjT5_SX_jjP12ihipStream_tbEUlT_E1_NS1_11comp_targetILNS1_3genE4ELNS1_11target_archE910ELNS1_3gpuE8ELNS1_3repE0EEENS1_59segmented_radix_sort_warp_sort_small_config_static_selectorELNS0_4arch9wavefront6targetE0EEEvSL_.num_vgpr, 0
	.set _ZN7rocprim17ROCPRIM_400000_NS6detail17trampoline_kernelINS0_14default_configENS1_36segmented_radix_sort_config_selectorI12hip_bfloat16lEEZNS1_25segmented_radix_sort_implIS3_Lb1EPKS5_PS5_PKlPlN2at6native12_GLOBAL__N_18offset_tEEE10hipError_tPvRmT1_PNSt15iterator_traitsISL_E10value_typeET2_T3_PNSM_ISR_E10value_typeET4_jRbjT5_SX_jjP12ihipStream_tbEUlT_E1_NS1_11comp_targetILNS1_3genE4ELNS1_11target_archE910ELNS1_3gpuE8ELNS1_3repE0EEENS1_59segmented_radix_sort_warp_sort_small_config_static_selectorELNS0_4arch9wavefront6targetE0EEEvSL_.num_agpr, 0
	.set _ZN7rocprim17ROCPRIM_400000_NS6detail17trampoline_kernelINS0_14default_configENS1_36segmented_radix_sort_config_selectorI12hip_bfloat16lEEZNS1_25segmented_radix_sort_implIS3_Lb1EPKS5_PS5_PKlPlN2at6native12_GLOBAL__N_18offset_tEEE10hipError_tPvRmT1_PNSt15iterator_traitsISL_E10value_typeET2_T3_PNSM_ISR_E10value_typeET4_jRbjT5_SX_jjP12ihipStream_tbEUlT_E1_NS1_11comp_targetILNS1_3genE4ELNS1_11target_archE910ELNS1_3gpuE8ELNS1_3repE0EEENS1_59segmented_radix_sort_warp_sort_small_config_static_selectorELNS0_4arch9wavefront6targetE0EEEvSL_.numbered_sgpr, 0
	.set _ZN7rocprim17ROCPRIM_400000_NS6detail17trampoline_kernelINS0_14default_configENS1_36segmented_radix_sort_config_selectorI12hip_bfloat16lEEZNS1_25segmented_radix_sort_implIS3_Lb1EPKS5_PS5_PKlPlN2at6native12_GLOBAL__N_18offset_tEEE10hipError_tPvRmT1_PNSt15iterator_traitsISL_E10value_typeET2_T3_PNSM_ISR_E10value_typeET4_jRbjT5_SX_jjP12ihipStream_tbEUlT_E1_NS1_11comp_targetILNS1_3genE4ELNS1_11target_archE910ELNS1_3gpuE8ELNS1_3repE0EEENS1_59segmented_radix_sort_warp_sort_small_config_static_selectorELNS0_4arch9wavefront6targetE0EEEvSL_.num_named_barrier, 0
	.set _ZN7rocprim17ROCPRIM_400000_NS6detail17trampoline_kernelINS0_14default_configENS1_36segmented_radix_sort_config_selectorI12hip_bfloat16lEEZNS1_25segmented_radix_sort_implIS3_Lb1EPKS5_PS5_PKlPlN2at6native12_GLOBAL__N_18offset_tEEE10hipError_tPvRmT1_PNSt15iterator_traitsISL_E10value_typeET2_T3_PNSM_ISR_E10value_typeET4_jRbjT5_SX_jjP12ihipStream_tbEUlT_E1_NS1_11comp_targetILNS1_3genE4ELNS1_11target_archE910ELNS1_3gpuE8ELNS1_3repE0EEENS1_59segmented_radix_sort_warp_sort_small_config_static_selectorELNS0_4arch9wavefront6targetE0EEEvSL_.private_seg_size, 0
	.set _ZN7rocprim17ROCPRIM_400000_NS6detail17trampoline_kernelINS0_14default_configENS1_36segmented_radix_sort_config_selectorI12hip_bfloat16lEEZNS1_25segmented_radix_sort_implIS3_Lb1EPKS5_PS5_PKlPlN2at6native12_GLOBAL__N_18offset_tEEE10hipError_tPvRmT1_PNSt15iterator_traitsISL_E10value_typeET2_T3_PNSM_ISR_E10value_typeET4_jRbjT5_SX_jjP12ihipStream_tbEUlT_E1_NS1_11comp_targetILNS1_3genE4ELNS1_11target_archE910ELNS1_3gpuE8ELNS1_3repE0EEENS1_59segmented_radix_sort_warp_sort_small_config_static_selectorELNS0_4arch9wavefront6targetE0EEEvSL_.uses_vcc, 0
	.set _ZN7rocprim17ROCPRIM_400000_NS6detail17trampoline_kernelINS0_14default_configENS1_36segmented_radix_sort_config_selectorI12hip_bfloat16lEEZNS1_25segmented_radix_sort_implIS3_Lb1EPKS5_PS5_PKlPlN2at6native12_GLOBAL__N_18offset_tEEE10hipError_tPvRmT1_PNSt15iterator_traitsISL_E10value_typeET2_T3_PNSM_ISR_E10value_typeET4_jRbjT5_SX_jjP12ihipStream_tbEUlT_E1_NS1_11comp_targetILNS1_3genE4ELNS1_11target_archE910ELNS1_3gpuE8ELNS1_3repE0EEENS1_59segmented_radix_sort_warp_sort_small_config_static_selectorELNS0_4arch9wavefront6targetE0EEEvSL_.uses_flat_scratch, 0
	.set _ZN7rocprim17ROCPRIM_400000_NS6detail17trampoline_kernelINS0_14default_configENS1_36segmented_radix_sort_config_selectorI12hip_bfloat16lEEZNS1_25segmented_radix_sort_implIS3_Lb1EPKS5_PS5_PKlPlN2at6native12_GLOBAL__N_18offset_tEEE10hipError_tPvRmT1_PNSt15iterator_traitsISL_E10value_typeET2_T3_PNSM_ISR_E10value_typeET4_jRbjT5_SX_jjP12ihipStream_tbEUlT_E1_NS1_11comp_targetILNS1_3genE4ELNS1_11target_archE910ELNS1_3gpuE8ELNS1_3repE0EEENS1_59segmented_radix_sort_warp_sort_small_config_static_selectorELNS0_4arch9wavefront6targetE0EEEvSL_.has_dyn_sized_stack, 0
	.set _ZN7rocprim17ROCPRIM_400000_NS6detail17trampoline_kernelINS0_14default_configENS1_36segmented_radix_sort_config_selectorI12hip_bfloat16lEEZNS1_25segmented_radix_sort_implIS3_Lb1EPKS5_PS5_PKlPlN2at6native12_GLOBAL__N_18offset_tEEE10hipError_tPvRmT1_PNSt15iterator_traitsISL_E10value_typeET2_T3_PNSM_ISR_E10value_typeET4_jRbjT5_SX_jjP12ihipStream_tbEUlT_E1_NS1_11comp_targetILNS1_3genE4ELNS1_11target_archE910ELNS1_3gpuE8ELNS1_3repE0EEENS1_59segmented_radix_sort_warp_sort_small_config_static_selectorELNS0_4arch9wavefront6targetE0EEEvSL_.has_recursion, 0
	.set _ZN7rocprim17ROCPRIM_400000_NS6detail17trampoline_kernelINS0_14default_configENS1_36segmented_radix_sort_config_selectorI12hip_bfloat16lEEZNS1_25segmented_radix_sort_implIS3_Lb1EPKS5_PS5_PKlPlN2at6native12_GLOBAL__N_18offset_tEEE10hipError_tPvRmT1_PNSt15iterator_traitsISL_E10value_typeET2_T3_PNSM_ISR_E10value_typeET4_jRbjT5_SX_jjP12ihipStream_tbEUlT_E1_NS1_11comp_targetILNS1_3genE4ELNS1_11target_archE910ELNS1_3gpuE8ELNS1_3repE0EEENS1_59segmented_radix_sort_warp_sort_small_config_static_selectorELNS0_4arch9wavefront6targetE0EEEvSL_.has_indirect_call, 0
	.section	.AMDGPU.csdata,"",@progbits
; Kernel info:
; codeLenInByte = 0
; TotalNumSgprs: 0
; NumVgprs: 0
; ScratchSize: 0
; MemoryBound: 0
; FloatMode: 240
; IeeeMode: 1
; LDSByteSize: 0 bytes/workgroup (compile time only)
; SGPRBlocks: 0
; VGPRBlocks: 0
; NumSGPRsForWavesPerEU: 1
; NumVGPRsForWavesPerEU: 1
; NamedBarCnt: 0
; Occupancy: 16
; WaveLimiterHint : 0
; COMPUTE_PGM_RSRC2:SCRATCH_EN: 0
; COMPUTE_PGM_RSRC2:USER_SGPR: 2
; COMPUTE_PGM_RSRC2:TRAP_HANDLER: 0
; COMPUTE_PGM_RSRC2:TGID_X_EN: 1
; COMPUTE_PGM_RSRC2:TGID_Y_EN: 0
; COMPUTE_PGM_RSRC2:TGID_Z_EN: 0
; COMPUTE_PGM_RSRC2:TIDIG_COMP_CNT: 0
	.section	.text._ZN7rocprim17ROCPRIM_400000_NS6detail17trampoline_kernelINS0_14default_configENS1_36segmented_radix_sort_config_selectorI12hip_bfloat16lEEZNS1_25segmented_radix_sort_implIS3_Lb1EPKS5_PS5_PKlPlN2at6native12_GLOBAL__N_18offset_tEEE10hipError_tPvRmT1_PNSt15iterator_traitsISL_E10value_typeET2_T3_PNSM_ISR_E10value_typeET4_jRbjT5_SX_jjP12ihipStream_tbEUlT_E1_NS1_11comp_targetILNS1_3genE3ELNS1_11target_archE908ELNS1_3gpuE7ELNS1_3repE0EEENS1_59segmented_radix_sort_warp_sort_small_config_static_selectorELNS0_4arch9wavefront6targetE0EEEvSL_,"axG",@progbits,_ZN7rocprim17ROCPRIM_400000_NS6detail17trampoline_kernelINS0_14default_configENS1_36segmented_radix_sort_config_selectorI12hip_bfloat16lEEZNS1_25segmented_radix_sort_implIS3_Lb1EPKS5_PS5_PKlPlN2at6native12_GLOBAL__N_18offset_tEEE10hipError_tPvRmT1_PNSt15iterator_traitsISL_E10value_typeET2_T3_PNSM_ISR_E10value_typeET4_jRbjT5_SX_jjP12ihipStream_tbEUlT_E1_NS1_11comp_targetILNS1_3genE3ELNS1_11target_archE908ELNS1_3gpuE7ELNS1_3repE0EEENS1_59segmented_radix_sort_warp_sort_small_config_static_selectorELNS0_4arch9wavefront6targetE0EEEvSL_,comdat
	.globl	_ZN7rocprim17ROCPRIM_400000_NS6detail17trampoline_kernelINS0_14default_configENS1_36segmented_radix_sort_config_selectorI12hip_bfloat16lEEZNS1_25segmented_radix_sort_implIS3_Lb1EPKS5_PS5_PKlPlN2at6native12_GLOBAL__N_18offset_tEEE10hipError_tPvRmT1_PNSt15iterator_traitsISL_E10value_typeET2_T3_PNSM_ISR_E10value_typeET4_jRbjT5_SX_jjP12ihipStream_tbEUlT_E1_NS1_11comp_targetILNS1_3genE3ELNS1_11target_archE908ELNS1_3gpuE7ELNS1_3repE0EEENS1_59segmented_radix_sort_warp_sort_small_config_static_selectorELNS0_4arch9wavefront6targetE0EEEvSL_ ; -- Begin function _ZN7rocprim17ROCPRIM_400000_NS6detail17trampoline_kernelINS0_14default_configENS1_36segmented_radix_sort_config_selectorI12hip_bfloat16lEEZNS1_25segmented_radix_sort_implIS3_Lb1EPKS5_PS5_PKlPlN2at6native12_GLOBAL__N_18offset_tEEE10hipError_tPvRmT1_PNSt15iterator_traitsISL_E10value_typeET2_T3_PNSM_ISR_E10value_typeET4_jRbjT5_SX_jjP12ihipStream_tbEUlT_E1_NS1_11comp_targetILNS1_3genE3ELNS1_11target_archE908ELNS1_3gpuE7ELNS1_3repE0EEENS1_59segmented_radix_sort_warp_sort_small_config_static_selectorELNS0_4arch9wavefront6targetE0EEEvSL_
	.p2align	8
	.type	_ZN7rocprim17ROCPRIM_400000_NS6detail17trampoline_kernelINS0_14default_configENS1_36segmented_radix_sort_config_selectorI12hip_bfloat16lEEZNS1_25segmented_radix_sort_implIS3_Lb1EPKS5_PS5_PKlPlN2at6native12_GLOBAL__N_18offset_tEEE10hipError_tPvRmT1_PNSt15iterator_traitsISL_E10value_typeET2_T3_PNSM_ISR_E10value_typeET4_jRbjT5_SX_jjP12ihipStream_tbEUlT_E1_NS1_11comp_targetILNS1_3genE3ELNS1_11target_archE908ELNS1_3gpuE7ELNS1_3repE0EEENS1_59segmented_radix_sort_warp_sort_small_config_static_selectorELNS0_4arch9wavefront6targetE0EEEvSL_,@function
_ZN7rocprim17ROCPRIM_400000_NS6detail17trampoline_kernelINS0_14default_configENS1_36segmented_radix_sort_config_selectorI12hip_bfloat16lEEZNS1_25segmented_radix_sort_implIS3_Lb1EPKS5_PS5_PKlPlN2at6native12_GLOBAL__N_18offset_tEEE10hipError_tPvRmT1_PNSt15iterator_traitsISL_E10value_typeET2_T3_PNSM_ISR_E10value_typeET4_jRbjT5_SX_jjP12ihipStream_tbEUlT_E1_NS1_11comp_targetILNS1_3genE3ELNS1_11target_archE908ELNS1_3gpuE7ELNS1_3repE0EEENS1_59segmented_radix_sort_warp_sort_small_config_static_selectorELNS0_4arch9wavefront6targetE0EEEvSL_: ; @_ZN7rocprim17ROCPRIM_400000_NS6detail17trampoline_kernelINS0_14default_configENS1_36segmented_radix_sort_config_selectorI12hip_bfloat16lEEZNS1_25segmented_radix_sort_implIS3_Lb1EPKS5_PS5_PKlPlN2at6native12_GLOBAL__N_18offset_tEEE10hipError_tPvRmT1_PNSt15iterator_traitsISL_E10value_typeET2_T3_PNSM_ISR_E10value_typeET4_jRbjT5_SX_jjP12ihipStream_tbEUlT_E1_NS1_11comp_targetILNS1_3genE3ELNS1_11target_archE908ELNS1_3gpuE7ELNS1_3repE0EEENS1_59segmented_radix_sort_warp_sort_small_config_static_selectorELNS0_4arch9wavefront6targetE0EEEvSL_
; %bb.0:
	.section	.rodata,"a",@progbits
	.p2align	6, 0x0
	.amdhsa_kernel _ZN7rocprim17ROCPRIM_400000_NS6detail17trampoline_kernelINS0_14default_configENS1_36segmented_radix_sort_config_selectorI12hip_bfloat16lEEZNS1_25segmented_radix_sort_implIS3_Lb1EPKS5_PS5_PKlPlN2at6native12_GLOBAL__N_18offset_tEEE10hipError_tPvRmT1_PNSt15iterator_traitsISL_E10value_typeET2_T3_PNSM_ISR_E10value_typeET4_jRbjT5_SX_jjP12ihipStream_tbEUlT_E1_NS1_11comp_targetILNS1_3genE3ELNS1_11target_archE908ELNS1_3gpuE7ELNS1_3repE0EEENS1_59segmented_radix_sort_warp_sort_small_config_static_selectorELNS0_4arch9wavefront6targetE0EEEvSL_
		.amdhsa_group_segment_fixed_size 0
		.amdhsa_private_segment_fixed_size 0
		.amdhsa_kernarg_size 88
		.amdhsa_user_sgpr_count 2
		.amdhsa_user_sgpr_dispatch_ptr 0
		.amdhsa_user_sgpr_queue_ptr 0
		.amdhsa_user_sgpr_kernarg_segment_ptr 1
		.amdhsa_user_sgpr_dispatch_id 0
		.amdhsa_user_sgpr_kernarg_preload_length 0
		.amdhsa_user_sgpr_kernarg_preload_offset 0
		.amdhsa_user_sgpr_private_segment_size 0
		.amdhsa_wavefront_size32 1
		.amdhsa_uses_dynamic_stack 0
		.amdhsa_enable_private_segment 0
		.amdhsa_system_sgpr_workgroup_id_x 1
		.amdhsa_system_sgpr_workgroup_id_y 0
		.amdhsa_system_sgpr_workgroup_id_z 0
		.amdhsa_system_sgpr_workgroup_info 0
		.amdhsa_system_vgpr_workitem_id 0
		.amdhsa_next_free_vgpr 1
		.amdhsa_next_free_sgpr 1
		.amdhsa_named_barrier_count 0
		.amdhsa_reserve_vcc 0
		.amdhsa_float_round_mode_32 0
		.amdhsa_float_round_mode_16_64 0
		.amdhsa_float_denorm_mode_32 3
		.amdhsa_float_denorm_mode_16_64 3
		.amdhsa_fp16_overflow 0
		.amdhsa_memory_ordered 1
		.amdhsa_forward_progress 1
		.amdhsa_inst_pref_size 0
		.amdhsa_round_robin_scheduling 0
		.amdhsa_exception_fp_ieee_invalid_op 0
		.amdhsa_exception_fp_denorm_src 0
		.amdhsa_exception_fp_ieee_div_zero 0
		.amdhsa_exception_fp_ieee_overflow 0
		.amdhsa_exception_fp_ieee_underflow 0
		.amdhsa_exception_fp_ieee_inexact 0
		.amdhsa_exception_int_div_zero 0
	.end_amdhsa_kernel
	.section	.text._ZN7rocprim17ROCPRIM_400000_NS6detail17trampoline_kernelINS0_14default_configENS1_36segmented_radix_sort_config_selectorI12hip_bfloat16lEEZNS1_25segmented_radix_sort_implIS3_Lb1EPKS5_PS5_PKlPlN2at6native12_GLOBAL__N_18offset_tEEE10hipError_tPvRmT1_PNSt15iterator_traitsISL_E10value_typeET2_T3_PNSM_ISR_E10value_typeET4_jRbjT5_SX_jjP12ihipStream_tbEUlT_E1_NS1_11comp_targetILNS1_3genE3ELNS1_11target_archE908ELNS1_3gpuE7ELNS1_3repE0EEENS1_59segmented_radix_sort_warp_sort_small_config_static_selectorELNS0_4arch9wavefront6targetE0EEEvSL_,"axG",@progbits,_ZN7rocprim17ROCPRIM_400000_NS6detail17trampoline_kernelINS0_14default_configENS1_36segmented_radix_sort_config_selectorI12hip_bfloat16lEEZNS1_25segmented_radix_sort_implIS3_Lb1EPKS5_PS5_PKlPlN2at6native12_GLOBAL__N_18offset_tEEE10hipError_tPvRmT1_PNSt15iterator_traitsISL_E10value_typeET2_T3_PNSM_ISR_E10value_typeET4_jRbjT5_SX_jjP12ihipStream_tbEUlT_E1_NS1_11comp_targetILNS1_3genE3ELNS1_11target_archE908ELNS1_3gpuE7ELNS1_3repE0EEENS1_59segmented_radix_sort_warp_sort_small_config_static_selectorELNS0_4arch9wavefront6targetE0EEEvSL_,comdat
.Lfunc_end1960:
	.size	_ZN7rocprim17ROCPRIM_400000_NS6detail17trampoline_kernelINS0_14default_configENS1_36segmented_radix_sort_config_selectorI12hip_bfloat16lEEZNS1_25segmented_radix_sort_implIS3_Lb1EPKS5_PS5_PKlPlN2at6native12_GLOBAL__N_18offset_tEEE10hipError_tPvRmT1_PNSt15iterator_traitsISL_E10value_typeET2_T3_PNSM_ISR_E10value_typeET4_jRbjT5_SX_jjP12ihipStream_tbEUlT_E1_NS1_11comp_targetILNS1_3genE3ELNS1_11target_archE908ELNS1_3gpuE7ELNS1_3repE0EEENS1_59segmented_radix_sort_warp_sort_small_config_static_selectorELNS0_4arch9wavefront6targetE0EEEvSL_, .Lfunc_end1960-_ZN7rocprim17ROCPRIM_400000_NS6detail17trampoline_kernelINS0_14default_configENS1_36segmented_radix_sort_config_selectorI12hip_bfloat16lEEZNS1_25segmented_radix_sort_implIS3_Lb1EPKS5_PS5_PKlPlN2at6native12_GLOBAL__N_18offset_tEEE10hipError_tPvRmT1_PNSt15iterator_traitsISL_E10value_typeET2_T3_PNSM_ISR_E10value_typeET4_jRbjT5_SX_jjP12ihipStream_tbEUlT_E1_NS1_11comp_targetILNS1_3genE3ELNS1_11target_archE908ELNS1_3gpuE7ELNS1_3repE0EEENS1_59segmented_radix_sort_warp_sort_small_config_static_selectorELNS0_4arch9wavefront6targetE0EEEvSL_
                                        ; -- End function
	.set _ZN7rocprim17ROCPRIM_400000_NS6detail17trampoline_kernelINS0_14default_configENS1_36segmented_radix_sort_config_selectorI12hip_bfloat16lEEZNS1_25segmented_radix_sort_implIS3_Lb1EPKS5_PS5_PKlPlN2at6native12_GLOBAL__N_18offset_tEEE10hipError_tPvRmT1_PNSt15iterator_traitsISL_E10value_typeET2_T3_PNSM_ISR_E10value_typeET4_jRbjT5_SX_jjP12ihipStream_tbEUlT_E1_NS1_11comp_targetILNS1_3genE3ELNS1_11target_archE908ELNS1_3gpuE7ELNS1_3repE0EEENS1_59segmented_radix_sort_warp_sort_small_config_static_selectorELNS0_4arch9wavefront6targetE0EEEvSL_.num_vgpr, 0
	.set _ZN7rocprim17ROCPRIM_400000_NS6detail17trampoline_kernelINS0_14default_configENS1_36segmented_radix_sort_config_selectorI12hip_bfloat16lEEZNS1_25segmented_radix_sort_implIS3_Lb1EPKS5_PS5_PKlPlN2at6native12_GLOBAL__N_18offset_tEEE10hipError_tPvRmT1_PNSt15iterator_traitsISL_E10value_typeET2_T3_PNSM_ISR_E10value_typeET4_jRbjT5_SX_jjP12ihipStream_tbEUlT_E1_NS1_11comp_targetILNS1_3genE3ELNS1_11target_archE908ELNS1_3gpuE7ELNS1_3repE0EEENS1_59segmented_radix_sort_warp_sort_small_config_static_selectorELNS0_4arch9wavefront6targetE0EEEvSL_.num_agpr, 0
	.set _ZN7rocprim17ROCPRIM_400000_NS6detail17trampoline_kernelINS0_14default_configENS1_36segmented_radix_sort_config_selectorI12hip_bfloat16lEEZNS1_25segmented_radix_sort_implIS3_Lb1EPKS5_PS5_PKlPlN2at6native12_GLOBAL__N_18offset_tEEE10hipError_tPvRmT1_PNSt15iterator_traitsISL_E10value_typeET2_T3_PNSM_ISR_E10value_typeET4_jRbjT5_SX_jjP12ihipStream_tbEUlT_E1_NS1_11comp_targetILNS1_3genE3ELNS1_11target_archE908ELNS1_3gpuE7ELNS1_3repE0EEENS1_59segmented_radix_sort_warp_sort_small_config_static_selectorELNS0_4arch9wavefront6targetE0EEEvSL_.numbered_sgpr, 0
	.set _ZN7rocprim17ROCPRIM_400000_NS6detail17trampoline_kernelINS0_14default_configENS1_36segmented_radix_sort_config_selectorI12hip_bfloat16lEEZNS1_25segmented_radix_sort_implIS3_Lb1EPKS5_PS5_PKlPlN2at6native12_GLOBAL__N_18offset_tEEE10hipError_tPvRmT1_PNSt15iterator_traitsISL_E10value_typeET2_T3_PNSM_ISR_E10value_typeET4_jRbjT5_SX_jjP12ihipStream_tbEUlT_E1_NS1_11comp_targetILNS1_3genE3ELNS1_11target_archE908ELNS1_3gpuE7ELNS1_3repE0EEENS1_59segmented_radix_sort_warp_sort_small_config_static_selectorELNS0_4arch9wavefront6targetE0EEEvSL_.num_named_barrier, 0
	.set _ZN7rocprim17ROCPRIM_400000_NS6detail17trampoline_kernelINS0_14default_configENS1_36segmented_radix_sort_config_selectorI12hip_bfloat16lEEZNS1_25segmented_radix_sort_implIS3_Lb1EPKS5_PS5_PKlPlN2at6native12_GLOBAL__N_18offset_tEEE10hipError_tPvRmT1_PNSt15iterator_traitsISL_E10value_typeET2_T3_PNSM_ISR_E10value_typeET4_jRbjT5_SX_jjP12ihipStream_tbEUlT_E1_NS1_11comp_targetILNS1_3genE3ELNS1_11target_archE908ELNS1_3gpuE7ELNS1_3repE0EEENS1_59segmented_radix_sort_warp_sort_small_config_static_selectorELNS0_4arch9wavefront6targetE0EEEvSL_.private_seg_size, 0
	.set _ZN7rocprim17ROCPRIM_400000_NS6detail17trampoline_kernelINS0_14default_configENS1_36segmented_radix_sort_config_selectorI12hip_bfloat16lEEZNS1_25segmented_radix_sort_implIS3_Lb1EPKS5_PS5_PKlPlN2at6native12_GLOBAL__N_18offset_tEEE10hipError_tPvRmT1_PNSt15iterator_traitsISL_E10value_typeET2_T3_PNSM_ISR_E10value_typeET4_jRbjT5_SX_jjP12ihipStream_tbEUlT_E1_NS1_11comp_targetILNS1_3genE3ELNS1_11target_archE908ELNS1_3gpuE7ELNS1_3repE0EEENS1_59segmented_radix_sort_warp_sort_small_config_static_selectorELNS0_4arch9wavefront6targetE0EEEvSL_.uses_vcc, 0
	.set _ZN7rocprim17ROCPRIM_400000_NS6detail17trampoline_kernelINS0_14default_configENS1_36segmented_radix_sort_config_selectorI12hip_bfloat16lEEZNS1_25segmented_radix_sort_implIS3_Lb1EPKS5_PS5_PKlPlN2at6native12_GLOBAL__N_18offset_tEEE10hipError_tPvRmT1_PNSt15iterator_traitsISL_E10value_typeET2_T3_PNSM_ISR_E10value_typeET4_jRbjT5_SX_jjP12ihipStream_tbEUlT_E1_NS1_11comp_targetILNS1_3genE3ELNS1_11target_archE908ELNS1_3gpuE7ELNS1_3repE0EEENS1_59segmented_radix_sort_warp_sort_small_config_static_selectorELNS0_4arch9wavefront6targetE0EEEvSL_.uses_flat_scratch, 0
	.set _ZN7rocprim17ROCPRIM_400000_NS6detail17trampoline_kernelINS0_14default_configENS1_36segmented_radix_sort_config_selectorI12hip_bfloat16lEEZNS1_25segmented_radix_sort_implIS3_Lb1EPKS5_PS5_PKlPlN2at6native12_GLOBAL__N_18offset_tEEE10hipError_tPvRmT1_PNSt15iterator_traitsISL_E10value_typeET2_T3_PNSM_ISR_E10value_typeET4_jRbjT5_SX_jjP12ihipStream_tbEUlT_E1_NS1_11comp_targetILNS1_3genE3ELNS1_11target_archE908ELNS1_3gpuE7ELNS1_3repE0EEENS1_59segmented_radix_sort_warp_sort_small_config_static_selectorELNS0_4arch9wavefront6targetE0EEEvSL_.has_dyn_sized_stack, 0
	.set _ZN7rocprim17ROCPRIM_400000_NS6detail17trampoline_kernelINS0_14default_configENS1_36segmented_radix_sort_config_selectorI12hip_bfloat16lEEZNS1_25segmented_radix_sort_implIS3_Lb1EPKS5_PS5_PKlPlN2at6native12_GLOBAL__N_18offset_tEEE10hipError_tPvRmT1_PNSt15iterator_traitsISL_E10value_typeET2_T3_PNSM_ISR_E10value_typeET4_jRbjT5_SX_jjP12ihipStream_tbEUlT_E1_NS1_11comp_targetILNS1_3genE3ELNS1_11target_archE908ELNS1_3gpuE7ELNS1_3repE0EEENS1_59segmented_radix_sort_warp_sort_small_config_static_selectorELNS0_4arch9wavefront6targetE0EEEvSL_.has_recursion, 0
	.set _ZN7rocprim17ROCPRIM_400000_NS6detail17trampoline_kernelINS0_14default_configENS1_36segmented_radix_sort_config_selectorI12hip_bfloat16lEEZNS1_25segmented_radix_sort_implIS3_Lb1EPKS5_PS5_PKlPlN2at6native12_GLOBAL__N_18offset_tEEE10hipError_tPvRmT1_PNSt15iterator_traitsISL_E10value_typeET2_T3_PNSM_ISR_E10value_typeET4_jRbjT5_SX_jjP12ihipStream_tbEUlT_E1_NS1_11comp_targetILNS1_3genE3ELNS1_11target_archE908ELNS1_3gpuE7ELNS1_3repE0EEENS1_59segmented_radix_sort_warp_sort_small_config_static_selectorELNS0_4arch9wavefront6targetE0EEEvSL_.has_indirect_call, 0
	.section	.AMDGPU.csdata,"",@progbits
; Kernel info:
; codeLenInByte = 0
; TotalNumSgprs: 0
; NumVgprs: 0
; ScratchSize: 0
; MemoryBound: 0
; FloatMode: 240
; IeeeMode: 1
; LDSByteSize: 0 bytes/workgroup (compile time only)
; SGPRBlocks: 0
; VGPRBlocks: 0
; NumSGPRsForWavesPerEU: 1
; NumVGPRsForWavesPerEU: 1
; NamedBarCnt: 0
; Occupancy: 16
; WaveLimiterHint : 0
; COMPUTE_PGM_RSRC2:SCRATCH_EN: 0
; COMPUTE_PGM_RSRC2:USER_SGPR: 2
; COMPUTE_PGM_RSRC2:TRAP_HANDLER: 0
; COMPUTE_PGM_RSRC2:TGID_X_EN: 1
; COMPUTE_PGM_RSRC2:TGID_Y_EN: 0
; COMPUTE_PGM_RSRC2:TGID_Z_EN: 0
; COMPUTE_PGM_RSRC2:TIDIG_COMP_CNT: 0
	.section	.text._ZN7rocprim17ROCPRIM_400000_NS6detail17trampoline_kernelINS0_14default_configENS1_36segmented_radix_sort_config_selectorI12hip_bfloat16lEEZNS1_25segmented_radix_sort_implIS3_Lb1EPKS5_PS5_PKlPlN2at6native12_GLOBAL__N_18offset_tEEE10hipError_tPvRmT1_PNSt15iterator_traitsISL_E10value_typeET2_T3_PNSM_ISR_E10value_typeET4_jRbjT5_SX_jjP12ihipStream_tbEUlT_E1_NS1_11comp_targetILNS1_3genE2ELNS1_11target_archE906ELNS1_3gpuE6ELNS1_3repE0EEENS1_59segmented_radix_sort_warp_sort_small_config_static_selectorELNS0_4arch9wavefront6targetE0EEEvSL_,"axG",@progbits,_ZN7rocprim17ROCPRIM_400000_NS6detail17trampoline_kernelINS0_14default_configENS1_36segmented_radix_sort_config_selectorI12hip_bfloat16lEEZNS1_25segmented_radix_sort_implIS3_Lb1EPKS5_PS5_PKlPlN2at6native12_GLOBAL__N_18offset_tEEE10hipError_tPvRmT1_PNSt15iterator_traitsISL_E10value_typeET2_T3_PNSM_ISR_E10value_typeET4_jRbjT5_SX_jjP12ihipStream_tbEUlT_E1_NS1_11comp_targetILNS1_3genE2ELNS1_11target_archE906ELNS1_3gpuE6ELNS1_3repE0EEENS1_59segmented_radix_sort_warp_sort_small_config_static_selectorELNS0_4arch9wavefront6targetE0EEEvSL_,comdat
	.globl	_ZN7rocprim17ROCPRIM_400000_NS6detail17trampoline_kernelINS0_14default_configENS1_36segmented_radix_sort_config_selectorI12hip_bfloat16lEEZNS1_25segmented_radix_sort_implIS3_Lb1EPKS5_PS5_PKlPlN2at6native12_GLOBAL__N_18offset_tEEE10hipError_tPvRmT1_PNSt15iterator_traitsISL_E10value_typeET2_T3_PNSM_ISR_E10value_typeET4_jRbjT5_SX_jjP12ihipStream_tbEUlT_E1_NS1_11comp_targetILNS1_3genE2ELNS1_11target_archE906ELNS1_3gpuE6ELNS1_3repE0EEENS1_59segmented_radix_sort_warp_sort_small_config_static_selectorELNS0_4arch9wavefront6targetE0EEEvSL_ ; -- Begin function _ZN7rocprim17ROCPRIM_400000_NS6detail17trampoline_kernelINS0_14default_configENS1_36segmented_radix_sort_config_selectorI12hip_bfloat16lEEZNS1_25segmented_radix_sort_implIS3_Lb1EPKS5_PS5_PKlPlN2at6native12_GLOBAL__N_18offset_tEEE10hipError_tPvRmT1_PNSt15iterator_traitsISL_E10value_typeET2_T3_PNSM_ISR_E10value_typeET4_jRbjT5_SX_jjP12ihipStream_tbEUlT_E1_NS1_11comp_targetILNS1_3genE2ELNS1_11target_archE906ELNS1_3gpuE6ELNS1_3repE0EEENS1_59segmented_radix_sort_warp_sort_small_config_static_selectorELNS0_4arch9wavefront6targetE0EEEvSL_
	.p2align	8
	.type	_ZN7rocprim17ROCPRIM_400000_NS6detail17trampoline_kernelINS0_14default_configENS1_36segmented_radix_sort_config_selectorI12hip_bfloat16lEEZNS1_25segmented_radix_sort_implIS3_Lb1EPKS5_PS5_PKlPlN2at6native12_GLOBAL__N_18offset_tEEE10hipError_tPvRmT1_PNSt15iterator_traitsISL_E10value_typeET2_T3_PNSM_ISR_E10value_typeET4_jRbjT5_SX_jjP12ihipStream_tbEUlT_E1_NS1_11comp_targetILNS1_3genE2ELNS1_11target_archE906ELNS1_3gpuE6ELNS1_3repE0EEENS1_59segmented_radix_sort_warp_sort_small_config_static_selectorELNS0_4arch9wavefront6targetE0EEEvSL_,@function
_ZN7rocprim17ROCPRIM_400000_NS6detail17trampoline_kernelINS0_14default_configENS1_36segmented_radix_sort_config_selectorI12hip_bfloat16lEEZNS1_25segmented_radix_sort_implIS3_Lb1EPKS5_PS5_PKlPlN2at6native12_GLOBAL__N_18offset_tEEE10hipError_tPvRmT1_PNSt15iterator_traitsISL_E10value_typeET2_T3_PNSM_ISR_E10value_typeET4_jRbjT5_SX_jjP12ihipStream_tbEUlT_E1_NS1_11comp_targetILNS1_3genE2ELNS1_11target_archE906ELNS1_3gpuE6ELNS1_3repE0EEENS1_59segmented_radix_sort_warp_sort_small_config_static_selectorELNS0_4arch9wavefront6targetE0EEEvSL_: ; @_ZN7rocprim17ROCPRIM_400000_NS6detail17trampoline_kernelINS0_14default_configENS1_36segmented_radix_sort_config_selectorI12hip_bfloat16lEEZNS1_25segmented_radix_sort_implIS3_Lb1EPKS5_PS5_PKlPlN2at6native12_GLOBAL__N_18offset_tEEE10hipError_tPvRmT1_PNSt15iterator_traitsISL_E10value_typeET2_T3_PNSM_ISR_E10value_typeET4_jRbjT5_SX_jjP12ihipStream_tbEUlT_E1_NS1_11comp_targetILNS1_3genE2ELNS1_11target_archE906ELNS1_3gpuE6ELNS1_3repE0EEENS1_59segmented_radix_sort_warp_sort_small_config_static_selectorELNS0_4arch9wavefront6targetE0EEEvSL_
; %bb.0:
	.section	.rodata,"a",@progbits
	.p2align	6, 0x0
	.amdhsa_kernel _ZN7rocprim17ROCPRIM_400000_NS6detail17trampoline_kernelINS0_14default_configENS1_36segmented_radix_sort_config_selectorI12hip_bfloat16lEEZNS1_25segmented_radix_sort_implIS3_Lb1EPKS5_PS5_PKlPlN2at6native12_GLOBAL__N_18offset_tEEE10hipError_tPvRmT1_PNSt15iterator_traitsISL_E10value_typeET2_T3_PNSM_ISR_E10value_typeET4_jRbjT5_SX_jjP12ihipStream_tbEUlT_E1_NS1_11comp_targetILNS1_3genE2ELNS1_11target_archE906ELNS1_3gpuE6ELNS1_3repE0EEENS1_59segmented_radix_sort_warp_sort_small_config_static_selectorELNS0_4arch9wavefront6targetE0EEEvSL_
		.amdhsa_group_segment_fixed_size 0
		.amdhsa_private_segment_fixed_size 0
		.amdhsa_kernarg_size 88
		.amdhsa_user_sgpr_count 2
		.amdhsa_user_sgpr_dispatch_ptr 0
		.amdhsa_user_sgpr_queue_ptr 0
		.amdhsa_user_sgpr_kernarg_segment_ptr 1
		.amdhsa_user_sgpr_dispatch_id 0
		.amdhsa_user_sgpr_kernarg_preload_length 0
		.amdhsa_user_sgpr_kernarg_preload_offset 0
		.amdhsa_user_sgpr_private_segment_size 0
		.amdhsa_wavefront_size32 1
		.amdhsa_uses_dynamic_stack 0
		.amdhsa_enable_private_segment 0
		.amdhsa_system_sgpr_workgroup_id_x 1
		.amdhsa_system_sgpr_workgroup_id_y 0
		.amdhsa_system_sgpr_workgroup_id_z 0
		.amdhsa_system_sgpr_workgroup_info 0
		.amdhsa_system_vgpr_workitem_id 0
		.amdhsa_next_free_vgpr 1
		.amdhsa_next_free_sgpr 1
		.amdhsa_named_barrier_count 0
		.amdhsa_reserve_vcc 0
		.amdhsa_float_round_mode_32 0
		.amdhsa_float_round_mode_16_64 0
		.amdhsa_float_denorm_mode_32 3
		.amdhsa_float_denorm_mode_16_64 3
		.amdhsa_fp16_overflow 0
		.amdhsa_memory_ordered 1
		.amdhsa_forward_progress 1
		.amdhsa_inst_pref_size 0
		.amdhsa_round_robin_scheduling 0
		.amdhsa_exception_fp_ieee_invalid_op 0
		.amdhsa_exception_fp_denorm_src 0
		.amdhsa_exception_fp_ieee_div_zero 0
		.amdhsa_exception_fp_ieee_overflow 0
		.amdhsa_exception_fp_ieee_underflow 0
		.amdhsa_exception_fp_ieee_inexact 0
		.amdhsa_exception_int_div_zero 0
	.end_amdhsa_kernel
	.section	.text._ZN7rocprim17ROCPRIM_400000_NS6detail17trampoline_kernelINS0_14default_configENS1_36segmented_radix_sort_config_selectorI12hip_bfloat16lEEZNS1_25segmented_radix_sort_implIS3_Lb1EPKS5_PS5_PKlPlN2at6native12_GLOBAL__N_18offset_tEEE10hipError_tPvRmT1_PNSt15iterator_traitsISL_E10value_typeET2_T3_PNSM_ISR_E10value_typeET4_jRbjT5_SX_jjP12ihipStream_tbEUlT_E1_NS1_11comp_targetILNS1_3genE2ELNS1_11target_archE906ELNS1_3gpuE6ELNS1_3repE0EEENS1_59segmented_radix_sort_warp_sort_small_config_static_selectorELNS0_4arch9wavefront6targetE0EEEvSL_,"axG",@progbits,_ZN7rocprim17ROCPRIM_400000_NS6detail17trampoline_kernelINS0_14default_configENS1_36segmented_radix_sort_config_selectorI12hip_bfloat16lEEZNS1_25segmented_radix_sort_implIS3_Lb1EPKS5_PS5_PKlPlN2at6native12_GLOBAL__N_18offset_tEEE10hipError_tPvRmT1_PNSt15iterator_traitsISL_E10value_typeET2_T3_PNSM_ISR_E10value_typeET4_jRbjT5_SX_jjP12ihipStream_tbEUlT_E1_NS1_11comp_targetILNS1_3genE2ELNS1_11target_archE906ELNS1_3gpuE6ELNS1_3repE0EEENS1_59segmented_radix_sort_warp_sort_small_config_static_selectorELNS0_4arch9wavefront6targetE0EEEvSL_,comdat
.Lfunc_end1961:
	.size	_ZN7rocprim17ROCPRIM_400000_NS6detail17trampoline_kernelINS0_14default_configENS1_36segmented_radix_sort_config_selectorI12hip_bfloat16lEEZNS1_25segmented_radix_sort_implIS3_Lb1EPKS5_PS5_PKlPlN2at6native12_GLOBAL__N_18offset_tEEE10hipError_tPvRmT1_PNSt15iterator_traitsISL_E10value_typeET2_T3_PNSM_ISR_E10value_typeET4_jRbjT5_SX_jjP12ihipStream_tbEUlT_E1_NS1_11comp_targetILNS1_3genE2ELNS1_11target_archE906ELNS1_3gpuE6ELNS1_3repE0EEENS1_59segmented_radix_sort_warp_sort_small_config_static_selectorELNS0_4arch9wavefront6targetE0EEEvSL_, .Lfunc_end1961-_ZN7rocprim17ROCPRIM_400000_NS6detail17trampoline_kernelINS0_14default_configENS1_36segmented_radix_sort_config_selectorI12hip_bfloat16lEEZNS1_25segmented_radix_sort_implIS3_Lb1EPKS5_PS5_PKlPlN2at6native12_GLOBAL__N_18offset_tEEE10hipError_tPvRmT1_PNSt15iterator_traitsISL_E10value_typeET2_T3_PNSM_ISR_E10value_typeET4_jRbjT5_SX_jjP12ihipStream_tbEUlT_E1_NS1_11comp_targetILNS1_3genE2ELNS1_11target_archE906ELNS1_3gpuE6ELNS1_3repE0EEENS1_59segmented_radix_sort_warp_sort_small_config_static_selectorELNS0_4arch9wavefront6targetE0EEEvSL_
                                        ; -- End function
	.set _ZN7rocprim17ROCPRIM_400000_NS6detail17trampoline_kernelINS0_14default_configENS1_36segmented_radix_sort_config_selectorI12hip_bfloat16lEEZNS1_25segmented_radix_sort_implIS3_Lb1EPKS5_PS5_PKlPlN2at6native12_GLOBAL__N_18offset_tEEE10hipError_tPvRmT1_PNSt15iterator_traitsISL_E10value_typeET2_T3_PNSM_ISR_E10value_typeET4_jRbjT5_SX_jjP12ihipStream_tbEUlT_E1_NS1_11comp_targetILNS1_3genE2ELNS1_11target_archE906ELNS1_3gpuE6ELNS1_3repE0EEENS1_59segmented_radix_sort_warp_sort_small_config_static_selectorELNS0_4arch9wavefront6targetE0EEEvSL_.num_vgpr, 0
	.set _ZN7rocprim17ROCPRIM_400000_NS6detail17trampoline_kernelINS0_14default_configENS1_36segmented_radix_sort_config_selectorI12hip_bfloat16lEEZNS1_25segmented_radix_sort_implIS3_Lb1EPKS5_PS5_PKlPlN2at6native12_GLOBAL__N_18offset_tEEE10hipError_tPvRmT1_PNSt15iterator_traitsISL_E10value_typeET2_T3_PNSM_ISR_E10value_typeET4_jRbjT5_SX_jjP12ihipStream_tbEUlT_E1_NS1_11comp_targetILNS1_3genE2ELNS1_11target_archE906ELNS1_3gpuE6ELNS1_3repE0EEENS1_59segmented_radix_sort_warp_sort_small_config_static_selectorELNS0_4arch9wavefront6targetE0EEEvSL_.num_agpr, 0
	.set _ZN7rocprim17ROCPRIM_400000_NS6detail17trampoline_kernelINS0_14default_configENS1_36segmented_radix_sort_config_selectorI12hip_bfloat16lEEZNS1_25segmented_radix_sort_implIS3_Lb1EPKS5_PS5_PKlPlN2at6native12_GLOBAL__N_18offset_tEEE10hipError_tPvRmT1_PNSt15iterator_traitsISL_E10value_typeET2_T3_PNSM_ISR_E10value_typeET4_jRbjT5_SX_jjP12ihipStream_tbEUlT_E1_NS1_11comp_targetILNS1_3genE2ELNS1_11target_archE906ELNS1_3gpuE6ELNS1_3repE0EEENS1_59segmented_radix_sort_warp_sort_small_config_static_selectorELNS0_4arch9wavefront6targetE0EEEvSL_.numbered_sgpr, 0
	.set _ZN7rocprim17ROCPRIM_400000_NS6detail17trampoline_kernelINS0_14default_configENS1_36segmented_radix_sort_config_selectorI12hip_bfloat16lEEZNS1_25segmented_radix_sort_implIS3_Lb1EPKS5_PS5_PKlPlN2at6native12_GLOBAL__N_18offset_tEEE10hipError_tPvRmT1_PNSt15iterator_traitsISL_E10value_typeET2_T3_PNSM_ISR_E10value_typeET4_jRbjT5_SX_jjP12ihipStream_tbEUlT_E1_NS1_11comp_targetILNS1_3genE2ELNS1_11target_archE906ELNS1_3gpuE6ELNS1_3repE0EEENS1_59segmented_radix_sort_warp_sort_small_config_static_selectorELNS0_4arch9wavefront6targetE0EEEvSL_.num_named_barrier, 0
	.set _ZN7rocprim17ROCPRIM_400000_NS6detail17trampoline_kernelINS0_14default_configENS1_36segmented_radix_sort_config_selectorI12hip_bfloat16lEEZNS1_25segmented_radix_sort_implIS3_Lb1EPKS5_PS5_PKlPlN2at6native12_GLOBAL__N_18offset_tEEE10hipError_tPvRmT1_PNSt15iterator_traitsISL_E10value_typeET2_T3_PNSM_ISR_E10value_typeET4_jRbjT5_SX_jjP12ihipStream_tbEUlT_E1_NS1_11comp_targetILNS1_3genE2ELNS1_11target_archE906ELNS1_3gpuE6ELNS1_3repE0EEENS1_59segmented_radix_sort_warp_sort_small_config_static_selectorELNS0_4arch9wavefront6targetE0EEEvSL_.private_seg_size, 0
	.set _ZN7rocprim17ROCPRIM_400000_NS6detail17trampoline_kernelINS0_14default_configENS1_36segmented_radix_sort_config_selectorI12hip_bfloat16lEEZNS1_25segmented_radix_sort_implIS3_Lb1EPKS5_PS5_PKlPlN2at6native12_GLOBAL__N_18offset_tEEE10hipError_tPvRmT1_PNSt15iterator_traitsISL_E10value_typeET2_T3_PNSM_ISR_E10value_typeET4_jRbjT5_SX_jjP12ihipStream_tbEUlT_E1_NS1_11comp_targetILNS1_3genE2ELNS1_11target_archE906ELNS1_3gpuE6ELNS1_3repE0EEENS1_59segmented_radix_sort_warp_sort_small_config_static_selectorELNS0_4arch9wavefront6targetE0EEEvSL_.uses_vcc, 0
	.set _ZN7rocprim17ROCPRIM_400000_NS6detail17trampoline_kernelINS0_14default_configENS1_36segmented_radix_sort_config_selectorI12hip_bfloat16lEEZNS1_25segmented_radix_sort_implIS3_Lb1EPKS5_PS5_PKlPlN2at6native12_GLOBAL__N_18offset_tEEE10hipError_tPvRmT1_PNSt15iterator_traitsISL_E10value_typeET2_T3_PNSM_ISR_E10value_typeET4_jRbjT5_SX_jjP12ihipStream_tbEUlT_E1_NS1_11comp_targetILNS1_3genE2ELNS1_11target_archE906ELNS1_3gpuE6ELNS1_3repE0EEENS1_59segmented_radix_sort_warp_sort_small_config_static_selectorELNS0_4arch9wavefront6targetE0EEEvSL_.uses_flat_scratch, 0
	.set _ZN7rocprim17ROCPRIM_400000_NS6detail17trampoline_kernelINS0_14default_configENS1_36segmented_radix_sort_config_selectorI12hip_bfloat16lEEZNS1_25segmented_radix_sort_implIS3_Lb1EPKS5_PS5_PKlPlN2at6native12_GLOBAL__N_18offset_tEEE10hipError_tPvRmT1_PNSt15iterator_traitsISL_E10value_typeET2_T3_PNSM_ISR_E10value_typeET4_jRbjT5_SX_jjP12ihipStream_tbEUlT_E1_NS1_11comp_targetILNS1_3genE2ELNS1_11target_archE906ELNS1_3gpuE6ELNS1_3repE0EEENS1_59segmented_radix_sort_warp_sort_small_config_static_selectorELNS0_4arch9wavefront6targetE0EEEvSL_.has_dyn_sized_stack, 0
	.set _ZN7rocprim17ROCPRIM_400000_NS6detail17trampoline_kernelINS0_14default_configENS1_36segmented_radix_sort_config_selectorI12hip_bfloat16lEEZNS1_25segmented_radix_sort_implIS3_Lb1EPKS5_PS5_PKlPlN2at6native12_GLOBAL__N_18offset_tEEE10hipError_tPvRmT1_PNSt15iterator_traitsISL_E10value_typeET2_T3_PNSM_ISR_E10value_typeET4_jRbjT5_SX_jjP12ihipStream_tbEUlT_E1_NS1_11comp_targetILNS1_3genE2ELNS1_11target_archE906ELNS1_3gpuE6ELNS1_3repE0EEENS1_59segmented_radix_sort_warp_sort_small_config_static_selectorELNS0_4arch9wavefront6targetE0EEEvSL_.has_recursion, 0
	.set _ZN7rocprim17ROCPRIM_400000_NS6detail17trampoline_kernelINS0_14default_configENS1_36segmented_radix_sort_config_selectorI12hip_bfloat16lEEZNS1_25segmented_radix_sort_implIS3_Lb1EPKS5_PS5_PKlPlN2at6native12_GLOBAL__N_18offset_tEEE10hipError_tPvRmT1_PNSt15iterator_traitsISL_E10value_typeET2_T3_PNSM_ISR_E10value_typeET4_jRbjT5_SX_jjP12ihipStream_tbEUlT_E1_NS1_11comp_targetILNS1_3genE2ELNS1_11target_archE906ELNS1_3gpuE6ELNS1_3repE0EEENS1_59segmented_radix_sort_warp_sort_small_config_static_selectorELNS0_4arch9wavefront6targetE0EEEvSL_.has_indirect_call, 0
	.section	.AMDGPU.csdata,"",@progbits
; Kernel info:
; codeLenInByte = 0
; TotalNumSgprs: 0
; NumVgprs: 0
; ScratchSize: 0
; MemoryBound: 0
; FloatMode: 240
; IeeeMode: 1
; LDSByteSize: 0 bytes/workgroup (compile time only)
; SGPRBlocks: 0
; VGPRBlocks: 0
; NumSGPRsForWavesPerEU: 1
; NumVGPRsForWavesPerEU: 1
; NamedBarCnt: 0
; Occupancy: 16
; WaveLimiterHint : 0
; COMPUTE_PGM_RSRC2:SCRATCH_EN: 0
; COMPUTE_PGM_RSRC2:USER_SGPR: 2
; COMPUTE_PGM_RSRC2:TRAP_HANDLER: 0
; COMPUTE_PGM_RSRC2:TGID_X_EN: 1
; COMPUTE_PGM_RSRC2:TGID_Y_EN: 0
; COMPUTE_PGM_RSRC2:TGID_Z_EN: 0
; COMPUTE_PGM_RSRC2:TIDIG_COMP_CNT: 0
	.section	.text._ZN7rocprim17ROCPRIM_400000_NS6detail17trampoline_kernelINS0_14default_configENS1_36segmented_radix_sort_config_selectorI12hip_bfloat16lEEZNS1_25segmented_radix_sort_implIS3_Lb1EPKS5_PS5_PKlPlN2at6native12_GLOBAL__N_18offset_tEEE10hipError_tPvRmT1_PNSt15iterator_traitsISL_E10value_typeET2_T3_PNSM_ISR_E10value_typeET4_jRbjT5_SX_jjP12ihipStream_tbEUlT_E1_NS1_11comp_targetILNS1_3genE10ELNS1_11target_archE1201ELNS1_3gpuE5ELNS1_3repE0EEENS1_59segmented_radix_sort_warp_sort_small_config_static_selectorELNS0_4arch9wavefront6targetE0EEEvSL_,"axG",@progbits,_ZN7rocprim17ROCPRIM_400000_NS6detail17trampoline_kernelINS0_14default_configENS1_36segmented_radix_sort_config_selectorI12hip_bfloat16lEEZNS1_25segmented_radix_sort_implIS3_Lb1EPKS5_PS5_PKlPlN2at6native12_GLOBAL__N_18offset_tEEE10hipError_tPvRmT1_PNSt15iterator_traitsISL_E10value_typeET2_T3_PNSM_ISR_E10value_typeET4_jRbjT5_SX_jjP12ihipStream_tbEUlT_E1_NS1_11comp_targetILNS1_3genE10ELNS1_11target_archE1201ELNS1_3gpuE5ELNS1_3repE0EEENS1_59segmented_radix_sort_warp_sort_small_config_static_selectorELNS0_4arch9wavefront6targetE0EEEvSL_,comdat
	.globl	_ZN7rocprim17ROCPRIM_400000_NS6detail17trampoline_kernelINS0_14default_configENS1_36segmented_radix_sort_config_selectorI12hip_bfloat16lEEZNS1_25segmented_radix_sort_implIS3_Lb1EPKS5_PS5_PKlPlN2at6native12_GLOBAL__N_18offset_tEEE10hipError_tPvRmT1_PNSt15iterator_traitsISL_E10value_typeET2_T3_PNSM_ISR_E10value_typeET4_jRbjT5_SX_jjP12ihipStream_tbEUlT_E1_NS1_11comp_targetILNS1_3genE10ELNS1_11target_archE1201ELNS1_3gpuE5ELNS1_3repE0EEENS1_59segmented_radix_sort_warp_sort_small_config_static_selectorELNS0_4arch9wavefront6targetE0EEEvSL_ ; -- Begin function _ZN7rocprim17ROCPRIM_400000_NS6detail17trampoline_kernelINS0_14default_configENS1_36segmented_radix_sort_config_selectorI12hip_bfloat16lEEZNS1_25segmented_radix_sort_implIS3_Lb1EPKS5_PS5_PKlPlN2at6native12_GLOBAL__N_18offset_tEEE10hipError_tPvRmT1_PNSt15iterator_traitsISL_E10value_typeET2_T3_PNSM_ISR_E10value_typeET4_jRbjT5_SX_jjP12ihipStream_tbEUlT_E1_NS1_11comp_targetILNS1_3genE10ELNS1_11target_archE1201ELNS1_3gpuE5ELNS1_3repE0EEENS1_59segmented_radix_sort_warp_sort_small_config_static_selectorELNS0_4arch9wavefront6targetE0EEEvSL_
	.p2align	8
	.type	_ZN7rocprim17ROCPRIM_400000_NS6detail17trampoline_kernelINS0_14default_configENS1_36segmented_radix_sort_config_selectorI12hip_bfloat16lEEZNS1_25segmented_radix_sort_implIS3_Lb1EPKS5_PS5_PKlPlN2at6native12_GLOBAL__N_18offset_tEEE10hipError_tPvRmT1_PNSt15iterator_traitsISL_E10value_typeET2_T3_PNSM_ISR_E10value_typeET4_jRbjT5_SX_jjP12ihipStream_tbEUlT_E1_NS1_11comp_targetILNS1_3genE10ELNS1_11target_archE1201ELNS1_3gpuE5ELNS1_3repE0EEENS1_59segmented_radix_sort_warp_sort_small_config_static_selectorELNS0_4arch9wavefront6targetE0EEEvSL_,@function
_ZN7rocprim17ROCPRIM_400000_NS6detail17trampoline_kernelINS0_14default_configENS1_36segmented_radix_sort_config_selectorI12hip_bfloat16lEEZNS1_25segmented_radix_sort_implIS3_Lb1EPKS5_PS5_PKlPlN2at6native12_GLOBAL__N_18offset_tEEE10hipError_tPvRmT1_PNSt15iterator_traitsISL_E10value_typeET2_T3_PNSM_ISR_E10value_typeET4_jRbjT5_SX_jjP12ihipStream_tbEUlT_E1_NS1_11comp_targetILNS1_3genE10ELNS1_11target_archE1201ELNS1_3gpuE5ELNS1_3repE0EEENS1_59segmented_radix_sort_warp_sort_small_config_static_selectorELNS0_4arch9wavefront6targetE0EEEvSL_: ; @_ZN7rocprim17ROCPRIM_400000_NS6detail17trampoline_kernelINS0_14default_configENS1_36segmented_radix_sort_config_selectorI12hip_bfloat16lEEZNS1_25segmented_radix_sort_implIS3_Lb1EPKS5_PS5_PKlPlN2at6native12_GLOBAL__N_18offset_tEEE10hipError_tPvRmT1_PNSt15iterator_traitsISL_E10value_typeET2_T3_PNSM_ISR_E10value_typeET4_jRbjT5_SX_jjP12ihipStream_tbEUlT_E1_NS1_11comp_targetILNS1_3genE10ELNS1_11target_archE1201ELNS1_3gpuE5ELNS1_3repE0EEENS1_59segmented_radix_sort_warp_sort_small_config_static_selectorELNS0_4arch9wavefront6targetE0EEEvSL_
; %bb.0:
	.section	.rodata,"a",@progbits
	.p2align	6, 0x0
	.amdhsa_kernel _ZN7rocprim17ROCPRIM_400000_NS6detail17trampoline_kernelINS0_14default_configENS1_36segmented_radix_sort_config_selectorI12hip_bfloat16lEEZNS1_25segmented_radix_sort_implIS3_Lb1EPKS5_PS5_PKlPlN2at6native12_GLOBAL__N_18offset_tEEE10hipError_tPvRmT1_PNSt15iterator_traitsISL_E10value_typeET2_T3_PNSM_ISR_E10value_typeET4_jRbjT5_SX_jjP12ihipStream_tbEUlT_E1_NS1_11comp_targetILNS1_3genE10ELNS1_11target_archE1201ELNS1_3gpuE5ELNS1_3repE0EEENS1_59segmented_radix_sort_warp_sort_small_config_static_selectorELNS0_4arch9wavefront6targetE0EEEvSL_
		.amdhsa_group_segment_fixed_size 0
		.amdhsa_private_segment_fixed_size 0
		.amdhsa_kernarg_size 88
		.amdhsa_user_sgpr_count 2
		.amdhsa_user_sgpr_dispatch_ptr 0
		.amdhsa_user_sgpr_queue_ptr 0
		.amdhsa_user_sgpr_kernarg_segment_ptr 1
		.amdhsa_user_sgpr_dispatch_id 0
		.amdhsa_user_sgpr_kernarg_preload_length 0
		.amdhsa_user_sgpr_kernarg_preload_offset 0
		.amdhsa_user_sgpr_private_segment_size 0
		.amdhsa_wavefront_size32 1
		.amdhsa_uses_dynamic_stack 0
		.amdhsa_enable_private_segment 0
		.amdhsa_system_sgpr_workgroup_id_x 1
		.amdhsa_system_sgpr_workgroup_id_y 0
		.amdhsa_system_sgpr_workgroup_id_z 0
		.amdhsa_system_sgpr_workgroup_info 0
		.amdhsa_system_vgpr_workitem_id 0
		.amdhsa_next_free_vgpr 1
		.amdhsa_next_free_sgpr 1
		.amdhsa_named_barrier_count 0
		.amdhsa_reserve_vcc 0
		.amdhsa_float_round_mode_32 0
		.amdhsa_float_round_mode_16_64 0
		.amdhsa_float_denorm_mode_32 3
		.amdhsa_float_denorm_mode_16_64 3
		.amdhsa_fp16_overflow 0
		.amdhsa_memory_ordered 1
		.amdhsa_forward_progress 1
		.amdhsa_inst_pref_size 0
		.amdhsa_round_robin_scheduling 0
		.amdhsa_exception_fp_ieee_invalid_op 0
		.amdhsa_exception_fp_denorm_src 0
		.amdhsa_exception_fp_ieee_div_zero 0
		.amdhsa_exception_fp_ieee_overflow 0
		.amdhsa_exception_fp_ieee_underflow 0
		.amdhsa_exception_fp_ieee_inexact 0
		.amdhsa_exception_int_div_zero 0
	.end_amdhsa_kernel
	.section	.text._ZN7rocprim17ROCPRIM_400000_NS6detail17trampoline_kernelINS0_14default_configENS1_36segmented_radix_sort_config_selectorI12hip_bfloat16lEEZNS1_25segmented_radix_sort_implIS3_Lb1EPKS5_PS5_PKlPlN2at6native12_GLOBAL__N_18offset_tEEE10hipError_tPvRmT1_PNSt15iterator_traitsISL_E10value_typeET2_T3_PNSM_ISR_E10value_typeET4_jRbjT5_SX_jjP12ihipStream_tbEUlT_E1_NS1_11comp_targetILNS1_3genE10ELNS1_11target_archE1201ELNS1_3gpuE5ELNS1_3repE0EEENS1_59segmented_radix_sort_warp_sort_small_config_static_selectorELNS0_4arch9wavefront6targetE0EEEvSL_,"axG",@progbits,_ZN7rocprim17ROCPRIM_400000_NS6detail17trampoline_kernelINS0_14default_configENS1_36segmented_radix_sort_config_selectorI12hip_bfloat16lEEZNS1_25segmented_radix_sort_implIS3_Lb1EPKS5_PS5_PKlPlN2at6native12_GLOBAL__N_18offset_tEEE10hipError_tPvRmT1_PNSt15iterator_traitsISL_E10value_typeET2_T3_PNSM_ISR_E10value_typeET4_jRbjT5_SX_jjP12ihipStream_tbEUlT_E1_NS1_11comp_targetILNS1_3genE10ELNS1_11target_archE1201ELNS1_3gpuE5ELNS1_3repE0EEENS1_59segmented_radix_sort_warp_sort_small_config_static_selectorELNS0_4arch9wavefront6targetE0EEEvSL_,comdat
.Lfunc_end1962:
	.size	_ZN7rocprim17ROCPRIM_400000_NS6detail17trampoline_kernelINS0_14default_configENS1_36segmented_radix_sort_config_selectorI12hip_bfloat16lEEZNS1_25segmented_radix_sort_implIS3_Lb1EPKS5_PS5_PKlPlN2at6native12_GLOBAL__N_18offset_tEEE10hipError_tPvRmT1_PNSt15iterator_traitsISL_E10value_typeET2_T3_PNSM_ISR_E10value_typeET4_jRbjT5_SX_jjP12ihipStream_tbEUlT_E1_NS1_11comp_targetILNS1_3genE10ELNS1_11target_archE1201ELNS1_3gpuE5ELNS1_3repE0EEENS1_59segmented_radix_sort_warp_sort_small_config_static_selectorELNS0_4arch9wavefront6targetE0EEEvSL_, .Lfunc_end1962-_ZN7rocprim17ROCPRIM_400000_NS6detail17trampoline_kernelINS0_14default_configENS1_36segmented_radix_sort_config_selectorI12hip_bfloat16lEEZNS1_25segmented_radix_sort_implIS3_Lb1EPKS5_PS5_PKlPlN2at6native12_GLOBAL__N_18offset_tEEE10hipError_tPvRmT1_PNSt15iterator_traitsISL_E10value_typeET2_T3_PNSM_ISR_E10value_typeET4_jRbjT5_SX_jjP12ihipStream_tbEUlT_E1_NS1_11comp_targetILNS1_3genE10ELNS1_11target_archE1201ELNS1_3gpuE5ELNS1_3repE0EEENS1_59segmented_radix_sort_warp_sort_small_config_static_selectorELNS0_4arch9wavefront6targetE0EEEvSL_
                                        ; -- End function
	.set _ZN7rocprim17ROCPRIM_400000_NS6detail17trampoline_kernelINS0_14default_configENS1_36segmented_radix_sort_config_selectorI12hip_bfloat16lEEZNS1_25segmented_radix_sort_implIS3_Lb1EPKS5_PS5_PKlPlN2at6native12_GLOBAL__N_18offset_tEEE10hipError_tPvRmT1_PNSt15iterator_traitsISL_E10value_typeET2_T3_PNSM_ISR_E10value_typeET4_jRbjT5_SX_jjP12ihipStream_tbEUlT_E1_NS1_11comp_targetILNS1_3genE10ELNS1_11target_archE1201ELNS1_3gpuE5ELNS1_3repE0EEENS1_59segmented_radix_sort_warp_sort_small_config_static_selectorELNS0_4arch9wavefront6targetE0EEEvSL_.num_vgpr, 0
	.set _ZN7rocprim17ROCPRIM_400000_NS6detail17trampoline_kernelINS0_14default_configENS1_36segmented_radix_sort_config_selectorI12hip_bfloat16lEEZNS1_25segmented_radix_sort_implIS3_Lb1EPKS5_PS5_PKlPlN2at6native12_GLOBAL__N_18offset_tEEE10hipError_tPvRmT1_PNSt15iterator_traitsISL_E10value_typeET2_T3_PNSM_ISR_E10value_typeET4_jRbjT5_SX_jjP12ihipStream_tbEUlT_E1_NS1_11comp_targetILNS1_3genE10ELNS1_11target_archE1201ELNS1_3gpuE5ELNS1_3repE0EEENS1_59segmented_radix_sort_warp_sort_small_config_static_selectorELNS0_4arch9wavefront6targetE0EEEvSL_.num_agpr, 0
	.set _ZN7rocprim17ROCPRIM_400000_NS6detail17trampoline_kernelINS0_14default_configENS1_36segmented_radix_sort_config_selectorI12hip_bfloat16lEEZNS1_25segmented_radix_sort_implIS3_Lb1EPKS5_PS5_PKlPlN2at6native12_GLOBAL__N_18offset_tEEE10hipError_tPvRmT1_PNSt15iterator_traitsISL_E10value_typeET2_T3_PNSM_ISR_E10value_typeET4_jRbjT5_SX_jjP12ihipStream_tbEUlT_E1_NS1_11comp_targetILNS1_3genE10ELNS1_11target_archE1201ELNS1_3gpuE5ELNS1_3repE0EEENS1_59segmented_radix_sort_warp_sort_small_config_static_selectorELNS0_4arch9wavefront6targetE0EEEvSL_.numbered_sgpr, 0
	.set _ZN7rocprim17ROCPRIM_400000_NS6detail17trampoline_kernelINS0_14default_configENS1_36segmented_radix_sort_config_selectorI12hip_bfloat16lEEZNS1_25segmented_radix_sort_implIS3_Lb1EPKS5_PS5_PKlPlN2at6native12_GLOBAL__N_18offset_tEEE10hipError_tPvRmT1_PNSt15iterator_traitsISL_E10value_typeET2_T3_PNSM_ISR_E10value_typeET4_jRbjT5_SX_jjP12ihipStream_tbEUlT_E1_NS1_11comp_targetILNS1_3genE10ELNS1_11target_archE1201ELNS1_3gpuE5ELNS1_3repE0EEENS1_59segmented_radix_sort_warp_sort_small_config_static_selectorELNS0_4arch9wavefront6targetE0EEEvSL_.num_named_barrier, 0
	.set _ZN7rocprim17ROCPRIM_400000_NS6detail17trampoline_kernelINS0_14default_configENS1_36segmented_radix_sort_config_selectorI12hip_bfloat16lEEZNS1_25segmented_radix_sort_implIS3_Lb1EPKS5_PS5_PKlPlN2at6native12_GLOBAL__N_18offset_tEEE10hipError_tPvRmT1_PNSt15iterator_traitsISL_E10value_typeET2_T3_PNSM_ISR_E10value_typeET4_jRbjT5_SX_jjP12ihipStream_tbEUlT_E1_NS1_11comp_targetILNS1_3genE10ELNS1_11target_archE1201ELNS1_3gpuE5ELNS1_3repE0EEENS1_59segmented_radix_sort_warp_sort_small_config_static_selectorELNS0_4arch9wavefront6targetE0EEEvSL_.private_seg_size, 0
	.set _ZN7rocprim17ROCPRIM_400000_NS6detail17trampoline_kernelINS0_14default_configENS1_36segmented_radix_sort_config_selectorI12hip_bfloat16lEEZNS1_25segmented_radix_sort_implIS3_Lb1EPKS5_PS5_PKlPlN2at6native12_GLOBAL__N_18offset_tEEE10hipError_tPvRmT1_PNSt15iterator_traitsISL_E10value_typeET2_T3_PNSM_ISR_E10value_typeET4_jRbjT5_SX_jjP12ihipStream_tbEUlT_E1_NS1_11comp_targetILNS1_3genE10ELNS1_11target_archE1201ELNS1_3gpuE5ELNS1_3repE0EEENS1_59segmented_radix_sort_warp_sort_small_config_static_selectorELNS0_4arch9wavefront6targetE0EEEvSL_.uses_vcc, 0
	.set _ZN7rocprim17ROCPRIM_400000_NS6detail17trampoline_kernelINS0_14default_configENS1_36segmented_radix_sort_config_selectorI12hip_bfloat16lEEZNS1_25segmented_radix_sort_implIS3_Lb1EPKS5_PS5_PKlPlN2at6native12_GLOBAL__N_18offset_tEEE10hipError_tPvRmT1_PNSt15iterator_traitsISL_E10value_typeET2_T3_PNSM_ISR_E10value_typeET4_jRbjT5_SX_jjP12ihipStream_tbEUlT_E1_NS1_11comp_targetILNS1_3genE10ELNS1_11target_archE1201ELNS1_3gpuE5ELNS1_3repE0EEENS1_59segmented_radix_sort_warp_sort_small_config_static_selectorELNS0_4arch9wavefront6targetE0EEEvSL_.uses_flat_scratch, 0
	.set _ZN7rocprim17ROCPRIM_400000_NS6detail17trampoline_kernelINS0_14default_configENS1_36segmented_radix_sort_config_selectorI12hip_bfloat16lEEZNS1_25segmented_radix_sort_implIS3_Lb1EPKS5_PS5_PKlPlN2at6native12_GLOBAL__N_18offset_tEEE10hipError_tPvRmT1_PNSt15iterator_traitsISL_E10value_typeET2_T3_PNSM_ISR_E10value_typeET4_jRbjT5_SX_jjP12ihipStream_tbEUlT_E1_NS1_11comp_targetILNS1_3genE10ELNS1_11target_archE1201ELNS1_3gpuE5ELNS1_3repE0EEENS1_59segmented_radix_sort_warp_sort_small_config_static_selectorELNS0_4arch9wavefront6targetE0EEEvSL_.has_dyn_sized_stack, 0
	.set _ZN7rocprim17ROCPRIM_400000_NS6detail17trampoline_kernelINS0_14default_configENS1_36segmented_radix_sort_config_selectorI12hip_bfloat16lEEZNS1_25segmented_radix_sort_implIS3_Lb1EPKS5_PS5_PKlPlN2at6native12_GLOBAL__N_18offset_tEEE10hipError_tPvRmT1_PNSt15iterator_traitsISL_E10value_typeET2_T3_PNSM_ISR_E10value_typeET4_jRbjT5_SX_jjP12ihipStream_tbEUlT_E1_NS1_11comp_targetILNS1_3genE10ELNS1_11target_archE1201ELNS1_3gpuE5ELNS1_3repE0EEENS1_59segmented_radix_sort_warp_sort_small_config_static_selectorELNS0_4arch9wavefront6targetE0EEEvSL_.has_recursion, 0
	.set _ZN7rocprim17ROCPRIM_400000_NS6detail17trampoline_kernelINS0_14default_configENS1_36segmented_radix_sort_config_selectorI12hip_bfloat16lEEZNS1_25segmented_radix_sort_implIS3_Lb1EPKS5_PS5_PKlPlN2at6native12_GLOBAL__N_18offset_tEEE10hipError_tPvRmT1_PNSt15iterator_traitsISL_E10value_typeET2_T3_PNSM_ISR_E10value_typeET4_jRbjT5_SX_jjP12ihipStream_tbEUlT_E1_NS1_11comp_targetILNS1_3genE10ELNS1_11target_archE1201ELNS1_3gpuE5ELNS1_3repE0EEENS1_59segmented_radix_sort_warp_sort_small_config_static_selectorELNS0_4arch9wavefront6targetE0EEEvSL_.has_indirect_call, 0
	.section	.AMDGPU.csdata,"",@progbits
; Kernel info:
; codeLenInByte = 0
; TotalNumSgprs: 0
; NumVgprs: 0
; ScratchSize: 0
; MemoryBound: 0
; FloatMode: 240
; IeeeMode: 1
; LDSByteSize: 0 bytes/workgroup (compile time only)
; SGPRBlocks: 0
; VGPRBlocks: 0
; NumSGPRsForWavesPerEU: 1
; NumVGPRsForWavesPerEU: 1
; NamedBarCnt: 0
; Occupancy: 16
; WaveLimiterHint : 0
; COMPUTE_PGM_RSRC2:SCRATCH_EN: 0
; COMPUTE_PGM_RSRC2:USER_SGPR: 2
; COMPUTE_PGM_RSRC2:TRAP_HANDLER: 0
; COMPUTE_PGM_RSRC2:TGID_X_EN: 1
; COMPUTE_PGM_RSRC2:TGID_Y_EN: 0
; COMPUTE_PGM_RSRC2:TGID_Z_EN: 0
; COMPUTE_PGM_RSRC2:TIDIG_COMP_CNT: 0
	.section	.text._ZN7rocprim17ROCPRIM_400000_NS6detail17trampoline_kernelINS0_14default_configENS1_36segmented_radix_sort_config_selectorI12hip_bfloat16lEEZNS1_25segmented_radix_sort_implIS3_Lb1EPKS5_PS5_PKlPlN2at6native12_GLOBAL__N_18offset_tEEE10hipError_tPvRmT1_PNSt15iterator_traitsISL_E10value_typeET2_T3_PNSM_ISR_E10value_typeET4_jRbjT5_SX_jjP12ihipStream_tbEUlT_E1_NS1_11comp_targetILNS1_3genE10ELNS1_11target_archE1200ELNS1_3gpuE4ELNS1_3repE0EEENS1_59segmented_radix_sort_warp_sort_small_config_static_selectorELNS0_4arch9wavefront6targetE0EEEvSL_,"axG",@progbits,_ZN7rocprim17ROCPRIM_400000_NS6detail17trampoline_kernelINS0_14default_configENS1_36segmented_radix_sort_config_selectorI12hip_bfloat16lEEZNS1_25segmented_radix_sort_implIS3_Lb1EPKS5_PS5_PKlPlN2at6native12_GLOBAL__N_18offset_tEEE10hipError_tPvRmT1_PNSt15iterator_traitsISL_E10value_typeET2_T3_PNSM_ISR_E10value_typeET4_jRbjT5_SX_jjP12ihipStream_tbEUlT_E1_NS1_11comp_targetILNS1_3genE10ELNS1_11target_archE1200ELNS1_3gpuE4ELNS1_3repE0EEENS1_59segmented_radix_sort_warp_sort_small_config_static_selectorELNS0_4arch9wavefront6targetE0EEEvSL_,comdat
	.globl	_ZN7rocprim17ROCPRIM_400000_NS6detail17trampoline_kernelINS0_14default_configENS1_36segmented_radix_sort_config_selectorI12hip_bfloat16lEEZNS1_25segmented_radix_sort_implIS3_Lb1EPKS5_PS5_PKlPlN2at6native12_GLOBAL__N_18offset_tEEE10hipError_tPvRmT1_PNSt15iterator_traitsISL_E10value_typeET2_T3_PNSM_ISR_E10value_typeET4_jRbjT5_SX_jjP12ihipStream_tbEUlT_E1_NS1_11comp_targetILNS1_3genE10ELNS1_11target_archE1200ELNS1_3gpuE4ELNS1_3repE0EEENS1_59segmented_radix_sort_warp_sort_small_config_static_selectorELNS0_4arch9wavefront6targetE0EEEvSL_ ; -- Begin function _ZN7rocprim17ROCPRIM_400000_NS6detail17trampoline_kernelINS0_14default_configENS1_36segmented_radix_sort_config_selectorI12hip_bfloat16lEEZNS1_25segmented_radix_sort_implIS3_Lb1EPKS5_PS5_PKlPlN2at6native12_GLOBAL__N_18offset_tEEE10hipError_tPvRmT1_PNSt15iterator_traitsISL_E10value_typeET2_T3_PNSM_ISR_E10value_typeET4_jRbjT5_SX_jjP12ihipStream_tbEUlT_E1_NS1_11comp_targetILNS1_3genE10ELNS1_11target_archE1200ELNS1_3gpuE4ELNS1_3repE0EEENS1_59segmented_radix_sort_warp_sort_small_config_static_selectorELNS0_4arch9wavefront6targetE0EEEvSL_
	.p2align	8
	.type	_ZN7rocprim17ROCPRIM_400000_NS6detail17trampoline_kernelINS0_14default_configENS1_36segmented_radix_sort_config_selectorI12hip_bfloat16lEEZNS1_25segmented_radix_sort_implIS3_Lb1EPKS5_PS5_PKlPlN2at6native12_GLOBAL__N_18offset_tEEE10hipError_tPvRmT1_PNSt15iterator_traitsISL_E10value_typeET2_T3_PNSM_ISR_E10value_typeET4_jRbjT5_SX_jjP12ihipStream_tbEUlT_E1_NS1_11comp_targetILNS1_3genE10ELNS1_11target_archE1200ELNS1_3gpuE4ELNS1_3repE0EEENS1_59segmented_radix_sort_warp_sort_small_config_static_selectorELNS0_4arch9wavefront6targetE0EEEvSL_,@function
_ZN7rocprim17ROCPRIM_400000_NS6detail17trampoline_kernelINS0_14default_configENS1_36segmented_radix_sort_config_selectorI12hip_bfloat16lEEZNS1_25segmented_radix_sort_implIS3_Lb1EPKS5_PS5_PKlPlN2at6native12_GLOBAL__N_18offset_tEEE10hipError_tPvRmT1_PNSt15iterator_traitsISL_E10value_typeET2_T3_PNSM_ISR_E10value_typeET4_jRbjT5_SX_jjP12ihipStream_tbEUlT_E1_NS1_11comp_targetILNS1_3genE10ELNS1_11target_archE1200ELNS1_3gpuE4ELNS1_3repE0EEENS1_59segmented_radix_sort_warp_sort_small_config_static_selectorELNS0_4arch9wavefront6targetE0EEEvSL_: ; @_ZN7rocprim17ROCPRIM_400000_NS6detail17trampoline_kernelINS0_14default_configENS1_36segmented_radix_sort_config_selectorI12hip_bfloat16lEEZNS1_25segmented_radix_sort_implIS3_Lb1EPKS5_PS5_PKlPlN2at6native12_GLOBAL__N_18offset_tEEE10hipError_tPvRmT1_PNSt15iterator_traitsISL_E10value_typeET2_T3_PNSM_ISR_E10value_typeET4_jRbjT5_SX_jjP12ihipStream_tbEUlT_E1_NS1_11comp_targetILNS1_3genE10ELNS1_11target_archE1200ELNS1_3gpuE4ELNS1_3repE0EEENS1_59segmented_radix_sort_warp_sort_small_config_static_selectorELNS0_4arch9wavefront6targetE0EEEvSL_
; %bb.0:
	.section	.rodata,"a",@progbits
	.p2align	6, 0x0
	.amdhsa_kernel _ZN7rocprim17ROCPRIM_400000_NS6detail17trampoline_kernelINS0_14default_configENS1_36segmented_radix_sort_config_selectorI12hip_bfloat16lEEZNS1_25segmented_radix_sort_implIS3_Lb1EPKS5_PS5_PKlPlN2at6native12_GLOBAL__N_18offset_tEEE10hipError_tPvRmT1_PNSt15iterator_traitsISL_E10value_typeET2_T3_PNSM_ISR_E10value_typeET4_jRbjT5_SX_jjP12ihipStream_tbEUlT_E1_NS1_11comp_targetILNS1_3genE10ELNS1_11target_archE1200ELNS1_3gpuE4ELNS1_3repE0EEENS1_59segmented_radix_sort_warp_sort_small_config_static_selectorELNS0_4arch9wavefront6targetE0EEEvSL_
		.amdhsa_group_segment_fixed_size 0
		.amdhsa_private_segment_fixed_size 0
		.amdhsa_kernarg_size 88
		.amdhsa_user_sgpr_count 2
		.amdhsa_user_sgpr_dispatch_ptr 0
		.amdhsa_user_sgpr_queue_ptr 0
		.amdhsa_user_sgpr_kernarg_segment_ptr 1
		.amdhsa_user_sgpr_dispatch_id 0
		.amdhsa_user_sgpr_kernarg_preload_length 0
		.amdhsa_user_sgpr_kernarg_preload_offset 0
		.amdhsa_user_sgpr_private_segment_size 0
		.amdhsa_wavefront_size32 1
		.amdhsa_uses_dynamic_stack 0
		.amdhsa_enable_private_segment 0
		.amdhsa_system_sgpr_workgroup_id_x 1
		.amdhsa_system_sgpr_workgroup_id_y 0
		.amdhsa_system_sgpr_workgroup_id_z 0
		.amdhsa_system_sgpr_workgroup_info 0
		.amdhsa_system_vgpr_workitem_id 0
		.amdhsa_next_free_vgpr 1
		.amdhsa_next_free_sgpr 1
		.amdhsa_named_barrier_count 0
		.amdhsa_reserve_vcc 0
		.amdhsa_float_round_mode_32 0
		.amdhsa_float_round_mode_16_64 0
		.amdhsa_float_denorm_mode_32 3
		.amdhsa_float_denorm_mode_16_64 3
		.amdhsa_fp16_overflow 0
		.amdhsa_memory_ordered 1
		.amdhsa_forward_progress 1
		.amdhsa_inst_pref_size 0
		.amdhsa_round_robin_scheduling 0
		.amdhsa_exception_fp_ieee_invalid_op 0
		.amdhsa_exception_fp_denorm_src 0
		.amdhsa_exception_fp_ieee_div_zero 0
		.amdhsa_exception_fp_ieee_overflow 0
		.amdhsa_exception_fp_ieee_underflow 0
		.amdhsa_exception_fp_ieee_inexact 0
		.amdhsa_exception_int_div_zero 0
	.end_amdhsa_kernel
	.section	.text._ZN7rocprim17ROCPRIM_400000_NS6detail17trampoline_kernelINS0_14default_configENS1_36segmented_radix_sort_config_selectorI12hip_bfloat16lEEZNS1_25segmented_radix_sort_implIS3_Lb1EPKS5_PS5_PKlPlN2at6native12_GLOBAL__N_18offset_tEEE10hipError_tPvRmT1_PNSt15iterator_traitsISL_E10value_typeET2_T3_PNSM_ISR_E10value_typeET4_jRbjT5_SX_jjP12ihipStream_tbEUlT_E1_NS1_11comp_targetILNS1_3genE10ELNS1_11target_archE1200ELNS1_3gpuE4ELNS1_3repE0EEENS1_59segmented_radix_sort_warp_sort_small_config_static_selectorELNS0_4arch9wavefront6targetE0EEEvSL_,"axG",@progbits,_ZN7rocprim17ROCPRIM_400000_NS6detail17trampoline_kernelINS0_14default_configENS1_36segmented_radix_sort_config_selectorI12hip_bfloat16lEEZNS1_25segmented_radix_sort_implIS3_Lb1EPKS5_PS5_PKlPlN2at6native12_GLOBAL__N_18offset_tEEE10hipError_tPvRmT1_PNSt15iterator_traitsISL_E10value_typeET2_T3_PNSM_ISR_E10value_typeET4_jRbjT5_SX_jjP12ihipStream_tbEUlT_E1_NS1_11comp_targetILNS1_3genE10ELNS1_11target_archE1200ELNS1_3gpuE4ELNS1_3repE0EEENS1_59segmented_radix_sort_warp_sort_small_config_static_selectorELNS0_4arch9wavefront6targetE0EEEvSL_,comdat
.Lfunc_end1963:
	.size	_ZN7rocprim17ROCPRIM_400000_NS6detail17trampoline_kernelINS0_14default_configENS1_36segmented_radix_sort_config_selectorI12hip_bfloat16lEEZNS1_25segmented_radix_sort_implIS3_Lb1EPKS5_PS5_PKlPlN2at6native12_GLOBAL__N_18offset_tEEE10hipError_tPvRmT1_PNSt15iterator_traitsISL_E10value_typeET2_T3_PNSM_ISR_E10value_typeET4_jRbjT5_SX_jjP12ihipStream_tbEUlT_E1_NS1_11comp_targetILNS1_3genE10ELNS1_11target_archE1200ELNS1_3gpuE4ELNS1_3repE0EEENS1_59segmented_radix_sort_warp_sort_small_config_static_selectorELNS0_4arch9wavefront6targetE0EEEvSL_, .Lfunc_end1963-_ZN7rocprim17ROCPRIM_400000_NS6detail17trampoline_kernelINS0_14default_configENS1_36segmented_radix_sort_config_selectorI12hip_bfloat16lEEZNS1_25segmented_radix_sort_implIS3_Lb1EPKS5_PS5_PKlPlN2at6native12_GLOBAL__N_18offset_tEEE10hipError_tPvRmT1_PNSt15iterator_traitsISL_E10value_typeET2_T3_PNSM_ISR_E10value_typeET4_jRbjT5_SX_jjP12ihipStream_tbEUlT_E1_NS1_11comp_targetILNS1_3genE10ELNS1_11target_archE1200ELNS1_3gpuE4ELNS1_3repE0EEENS1_59segmented_radix_sort_warp_sort_small_config_static_selectorELNS0_4arch9wavefront6targetE0EEEvSL_
                                        ; -- End function
	.set _ZN7rocprim17ROCPRIM_400000_NS6detail17trampoline_kernelINS0_14default_configENS1_36segmented_radix_sort_config_selectorI12hip_bfloat16lEEZNS1_25segmented_radix_sort_implIS3_Lb1EPKS5_PS5_PKlPlN2at6native12_GLOBAL__N_18offset_tEEE10hipError_tPvRmT1_PNSt15iterator_traitsISL_E10value_typeET2_T3_PNSM_ISR_E10value_typeET4_jRbjT5_SX_jjP12ihipStream_tbEUlT_E1_NS1_11comp_targetILNS1_3genE10ELNS1_11target_archE1200ELNS1_3gpuE4ELNS1_3repE0EEENS1_59segmented_radix_sort_warp_sort_small_config_static_selectorELNS0_4arch9wavefront6targetE0EEEvSL_.num_vgpr, 0
	.set _ZN7rocprim17ROCPRIM_400000_NS6detail17trampoline_kernelINS0_14default_configENS1_36segmented_radix_sort_config_selectorI12hip_bfloat16lEEZNS1_25segmented_radix_sort_implIS3_Lb1EPKS5_PS5_PKlPlN2at6native12_GLOBAL__N_18offset_tEEE10hipError_tPvRmT1_PNSt15iterator_traitsISL_E10value_typeET2_T3_PNSM_ISR_E10value_typeET4_jRbjT5_SX_jjP12ihipStream_tbEUlT_E1_NS1_11comp_targetILNS1_3genE10ELNS1_11target_archE1200ELNS1_3gpuE4ELNS1_3repE0EEENS1_59segmented_radix_sort_warp_sort_small_config_static_selectorELNS0_4arch9wavefront6targetE0EEEvSL_.num_agpr, 0
	.set _ZN7rocprim17ROCPRIM_400000_NS6detail17trampoline_kernelINS0_14default_configENS1_36segmented_radix_sort_config_selectorI12hip_bfloat16lEEZNS1_25segmented_radix_sort_implIS3_Lb1EPKS5_PS5_PKlPlN2at6native12_GLOBAL__N_18offset_tEEE10hipError_tPvRmT1_PNSt15iterator_traitsISL_E10value_typeET2_T3_PNSM_ISR_E10value_typeET4_jRbjT5_SX_jjP12ihipStream_tbEUlT_E1_NS1_11comp_targetILNS1_3genE10ELNS1_11target_archE1200ELNS1_3gpuE4ELNS1_3repE0EEENS1_59segmented_radix_sort_warp_sort_small_config_static_selectorELNS0_4arch9wavefront6targetE0EEEvSL_.numbered_sgpr, 0
	.set _ZN7rocprim17ROCPRIM_400000_NS6detail17trampoline_kernelINS0_14default_configENS1_36segmented_radix_sort_config_selectorI12hip_bfloat16lEEZNS1_25segmented_radix_sort_implIS3_Lb1EPKS5_PS5_PKlPlN2at6native12_GLOBAL__N_18offset_tEEE10hipError_tPvRmT1_PNSt15iterator_traitsISL_E10value_typeET2_T3_PNSM_ISR_E10value_typeET4_jRbjT5_SX_jjP12ihipStream_tbEUlT_E1_NS1_11comp_targetILNS1_3genE10ELNS1_11target_archE1200ELNS1_3gpuE4ELNS1_3repE0EEENS1_59segmented_radix_sort_warp_sort_small_config_static_selectorELNS0_4arch9wavefront6targetE0EEEvSL_.num_named_barrier, 0
	.set _ZN7rocprim17ROCPRIM_400000_NS6detail17trampoline_kernelINS0_14default_configENS1_36segmented_radix_sort_config_selectorI12hip_bfloat16lEEZNS1_25segmented_radix_sort_implIS3_Lb1EPKS5_PS5_PKlPlN2at6native12_GLOBAL__N_18offset_tEEE10hipError_tPvRmT1_PNSt15iterator_traitsISL_E10value_typeET2_T3_PNSM_ISR_E10value_typeET4_jRbjT5_SX_jjP12ihipStream_tbEUlT_E1_NS1_11comp_targetILNS1_3genE10ELNS1_11target_archE1200ELNS1_3gpuE4ELNS1_3repE0EEENS1_59segmented_radix_sort_warp_sort_small_config_static_selectorELNS0_4arch9wavefront6targetE0EEEvSL_.private_seg_size, 0
	.set _ZN7rocprim17ROCPRIM_400000_NS6detail17trampoline_kernelINS0_14default_configENS1_36segmented_radix_sort_config_selectorI12hip_bfloat16lEEZNS1_25segmented_radix_sort_implIS3_Lb1EPKS5_PS5_PKlPlN2at6native12_GLOBAL__N_18offset_tEEE10hipError_tPvRmT1_PNSt15iterator_traitsISL_E10value_typeET2_T3_PNSM_ISR_E10value_typeET4_jRbjT5_SX_jjP12ihipStream_tbEUlT_E1_NS1_11comp_targetILNS1_3genE10ELNS1_11target_archE1200ELNS1_3gpuE4ELNS1_3repE0EEENS1_59segmented_radix_sort_warp_sort_small_config_static_selectorELNS0_4arch9wavefront6targetE0EEEvSL_.uses_vcc, 0
	.set _ZN7rocprim17ROCPRIM_400000_NS6detail17trampoline_kernelINS0_14default_configENS1_36segmented_radix_sort_config_selectorI12hip_bfloat16lEEZNS1_25segmented_radix_sort_implIS3_Lb1EPKS5_PS5_PKlPlN2at6native12_GLOBAL__N_18offset_tEEE10hipError_tPvRmT1_PNSt15iterator_traitsISL_E10value_typeET2_T3_PNSM_ISR_E10value_typeET4_jRbjT5_SX_jjP12ihipStream_tbEUlT_E1_NS1_11comp_targetILNS1_3genE10ELNS1_11target_archE1200ELNS1_3gpuE4ELNS1_3repE0EEENS1_59segmented_radix_sort_warp_sort_small_config_static_selectorELNS0_4arch9wavefront6targetE0EEEvSL_.uses_flat_scratch, 0
	.set _ZN7rocprim17ROCPRIM_400000_NS6detail17trampoline_kernelINS0_14default_configENS1_36segmented_radix_sort_config_selectorI12hip_bfloat16lEEZNS1_25segmented_radix_sort_implIS3_Lb1EPKS5_PS5_PKlPlN2at6native12_GLOBAL__N_18offset_tEEE10hipError_tPvRmT1_PNSt15iterator_traitsISL_E10value_typeET2_T3_PNSM_ISR_E10value_typeET4_jRbjT5_SX_jjP12ihipStream_tbEUlT_E1_NS1_11comp_targetILNS1_3genE10ELNS1_11target_archE1200ELNS1_3gpuE4ELNS1_3repE0EEENS1_59segmented_radix_sort_warp_sort_small_config_static_selectorELNS0_4arch9wavefront6targetE0EEEvSL_.has_dyn_sized_stack, 0
	.set _ZN7rocprim17ROCPRIM_400000_NS6detail17trampoline_kernelINS0_14default_configENS1_36segmented_radix_sort_config_selectorI12hip_bfloat16lEEZNS1_25segmented_radix_sort_implIS3_Lb1EPKS5_PS5_PKlPlN2at6native12_GLOBAL__N_18offset_tEEE10hipError_tPvRmT1_PNSt15iterator_traitsISL_E10value_typeET2_T3_PNSM_ISR_E10value_typeET4_jRbjT5_SX_jjP12ihipStream_tbEUlT_E1_NS1_11comp_targetILNS1_3genE10ELNS1_11target_archE1200ELNS1_3gpuE4ELNS1_3repE0EEENS1_59segmented_radix_sort_warp_sort_small_config_static_selectorELNS0_4arch9wavefront6targetE0EEEvSL_.has_recursion, 0
	.set _ZN7rocprim17ROCPRIM_400000_NS6detail17trampoline_kernelINS0_14default_configENS1_36segmented_radix_sort_config_selectorI12hip_bfloat16lEEZNS1_25segmented_radix_sort_implIS3_Lb1EPKS5_PS5_PKlPlN2at6native12_GLOBAL__N_18offset_tEEE10hipError_tPvRmT1_PNSt15iterator_traitsISL_E10value_typeET2_T3_PNSM_ISR_E10value_typeET4_jRbjT5_SX_jjP12ihipStream_tbEUlT_E1_NS1_11comp_targetILNS1_3genE10ELNS1_11target_archE1200ELNS1_3gpuE4ELNS1_3repE0EEENS1_59segmented_radix_sort_warp_sort_small_config_static_selectorELNS0_4arch9wavefront6targetE0EEEvSL_.has_indirect_call, 0
	.section	.AMDGPU.csdata,"",@progbits
; Kernel info:
; codeLenInByte = 0
; TotalNumSgprs: 0
; NumVgprs: 0
; ScratchSize: 0
; MemoryBound: 0
; FloatMode: 240
; IeeeMode: 1
; LDSByteSize: 0 bytes/workgroup (compile time only)
; SGPRBlocks: 0
; VGPRBlocks: 0
; NumSGPRsForWavesPerEU: 1
; NumVGPRsForWavesPerEU: 1
; NamedBarCnt: 0
; Occupancy: 16
; WaveLimiterHint : 0
; COMPUTE_PGM_RSRC2:SCRATCH_EN: 0
; COMPUTE_PGM_RSRC2:USER_SGPR: 2
; COMPUTE_PGM_RSRC2:TRAP_HANDLER: 0
; COMPUTE_PGM_RSRC2:TGID_X_EN: 1
; COMPUTE_PGM_RSRC2:TGID_Y_EN: 0
; COMPUTE_PGM_RSRC2:TGID_Z_EN: 0
; COMPUTE_PGM_RSRC2:TIDIG_COMP_CNT: 0
	.section	.text._ZN7rocprim17ROCPRIM_400000_NS6detail17trampoline_kernelINS0_14default_configENS1_36segmented_radix_sort_config_selectorI12hip_bfloat16lEEZNS1_25segmented_radix_sort_implIS3_Lb1EPKS5_PS5_PKlPlN2at6native12_GLOBAL__N_18offset_tEEE10hipError_tPvRmT1_PNSt15iterator_traitsISL_E10value_typeET2_T3_PNSM_ISR_E10value_typeET4_jRbjT5_SX_jjP12ihipStream_tbEUlT_E1_NS1_11comp_targetILNS1_3genE9ELNS1_11target_archE1100ELNS1_3gpuE3ELNS1_3repE0EEENS1_59segmented_radix_sort_warp_sort_small_config_static_selectorELNS0_4arch9wavefront6targetE0EEEvSL_,"axG",@progbits,_ZN7rocprim17ROCPRIM_400000_NS6detail17trampoline_kernelINS0_14default_configENS1_36segmented_radix_sort_config_selectorI12hip_bfloat16lEEZNS1_25segmented_radix_sort_implIS3_Lb1EPKS5_PS5_PKlPlN2at6native12_GLOBAL__N_18offset_tEEE10hipError_tPvRmT1_PNSt15iterator_traitsISL_E10value_typeET2_T3_PNSM_ISR_E10value_typeET4_jRbjT5_SX_jjP12ihipStream_tbEUlT_E1_NS1_11comp_targetILNS1_3genE9ELNS1_11target_archE1100ELNS1_3gpuE3ELNS1_3repE0EEENS1_59segmented_radix_sort_warp_sort_small_config_static_selectorELNS0_4arch9wavefront6targetE0EEEvSL_,comdat
	.globl	_ZN7rocprim17ROCPRIM_400000_NS6detail17trampoline_kernelINS0_14default_configENS1_36segmented_radix_sort_config_selectorI12hip_bfloat16lEEZNS1_25segmented_radix_sort_implIS3_Lb1EPKS5_PS5_PKlPlN2at6native12_GLOBAL__N_18offset_tEEE10hipError_tPvRmT1_PNSt15iterator_traitsISL_E10value_typeET2_T3_PNSM_ISR_E10value_typeET4_jRbjT5_SX_jjP12ihipStream_tbEUlT_E1_NS1_11comp_targetILNS1_3genE9ELNS1_11target_archE1100ELNS1_3gpuE3ELNS1_3repE0EEENS1_59segmented_radix_sort_warp_sort_small_config_static_selectorELNS0_4arch9wavefront6targetE0EEEvSL_ ; -- Begin function _ZN7rocprim17ROCPRIM_400000_NS6detail17trampoline_kernelINS0_14default_configENS1_36segmented_radix_sort_config_selectorI12hip_bfloat16lEEZNS1_25segmented_radix_sort_implIS3_Lb1EPKS5_PS5_PKlPlN2at6native12_GLOBAL__N_18offset_tEEE10hipError_tPvRmT1_PNSt15iterator_traitsISL_E10value_typeET2_T3_PNSM_ISR_E10value_typeET4_jRbjT5_SX_jjP12ihipStream_tbEUlT_E1_NS1_11comp_targetILNS1_3genE9ELNS1_11target_archE1100ELNS1_3gpuE3ELNS1_3repE0EEENS1_59segmented_radix_sort_warp_sort_small_config_static_selectorELNS0_4arch9wavefront6targetE0EEEvSL_
	.p2align	8
	.type	_ZN7rocprim17ROCPRIM_400000_NS6detail17trampoline_kernelINS0_14default_configENS1_36segmented_radix_sort_config_selectorI12hip_bfloat16lEEZNS1_25segmented_radix_sort_implIS3_Lb1EPKS5_PS5_PKlPlN2at6native12_GLOBAL__N_18offset_tEEE10hipError_tPvRmT1_PNSt15iterator_traitsISL_E10value_typeET2_T3_PNSM_ISR_E10value_typeET4_jRbjT5_SX_jjP12ihipStream_tbEUlT_E1_NS1_11comp_targetILNS1_3genE9ELNS1_11target_archE1100ELNS1_3gpuE3ELNS1_3repE0EEENS1_59segmented_radix_sort_warp_sort_small_config_static_selectorELNS0_4arch9wavefront6targetE0EEEvSL_,@function
_ZN7rocprim17ROCPRIM_400000_NS6detail17trampoline_kernelINS0_14default_configENS1_36segmented_radix_sort_config_selectorI12hip_bfloat16lEEZNS1_25segmented_radix_sort_implIS3_Lb1EPKS5_PS5_PKlPlN2at6native12_GLOBAL__N_18offset_tEEE10hipError_tPvRmT1_PNSt15iterator_traitsISL_E10value_typeET2_T3_PNSM_ISR_E10value_typeET4_jRbjT5_SX_jjP12ihipStream_tbEUlT_E1_NS1_11comp_targetILNS1_3genE9ELNS1_11target_archE1100ELNS1_3gpuE3ELNS1_3repE0EEENS1_59segmented_radix_sort_warp_sort_small_config_static_selectorELNS0_4arch9wavefront6targetE0EEEvSL_: ; @_ZN7rocprim17ROCPRIM_400000_NS6detail17trampoline_kernelINS0_14default_configENS1_36segmented_radix_sort_config_selectorI12hip_bfloat16lEEZNS1_25segmented_radix_sort_implIS3_Lb1EPKS5_PS5_PKlPlN2at6native12_GLOBAL__N_18offset_tEEE10hipError_tPvRmT1_PNSt15iterator_traitsISL_E10value_typeET2_T3_PNSM_ISR_E10value_typeET4_jRbjT5_SX_jjP12ihipStream_tbEUlT_E1_NS1_11comp_targetILNS1_3genE9ELNS1_11target_archE1100ELNS1_3gpuE3ELNS1_3repE0EEENS1_59segmented_radix_sort_warp_sort_small_config_static_selectorELNS0_4arch9wavefront6targetE0EEEvSL_
; %bb.0:
	.section	.rodata,"a",@progbits
	.p2align	6, 0x0
	.amdhsa_kernel _ZN7rocprim17ROCPRIM_400000_NS6detail17trampoline_kernelINS0_14default_configENS1_36segmented_radix_sort_config_selectorI12hip_bfloat16lEEZNS1_25segmented_radix_sort_implIS3_Lb1EPKS5_PS5_PKlPlN2at6native12_GLOBAL__N_18offset_tEEE10hipError_tPvRmT1_PNSt15iterator_traitsISL_E10value_typeET2_T3_PNSM_ISR_E10value_typeET4_jRbjT5_SX_jjP12ihipStream_tbEUlT_E1_NS1_11comp_targetILNS1_3genE9ELNS1_11target_archE1100ELNS1_3gpuE3ELNS1_3repE0EEENS1_59segmented_radix_sort_warp_sort_small_config_static_selectorELNS0_4arch9wavefront6targetE0EEEvSL_
		.amdhsa_group_segment_fixed_size 0
		.amdhsa_private_segment_fixed_size 0
		.amdhsa_kernarg_size 88
		.amdhsa_user_sgpr_count 2
		.amdhsa_user_sgpr_dispatch_ptr 0
		.amdhsa_user_sgpr_queue_ptr 0
		.amdhsa_user_sgpr_kernarg_segment_ptr 1
		.amdhsa_user_sgpr_dispatch_id 0
		.amdhsa_user_sgpr_kernarg_preload_length 0
		.amdhsa_user_sgpr_kernarg_preload_offset 0
		.amdhsa_user_sgpr_private_segment_size 0
		.amdhsa_wavefront_size32 1
		.amdhsa_uses_dynamic_stack 0
		.amdhsa_enable_private_segment 0
		.amdhsa_system_sgpr_workgroup_id_x 1
		.amdhsa_system_sgpr_workgroup_id_y 0
		.amdhsa_system_sgpr_workgroup_id_z 0
		.amdhsa_system_sgpr_workgroup_info 0
		.amdhsa_system_vgpr_workitem_id 0
		.amdhsa_next_free_vgpr 1
		.amdhsa_next_free_sgpr 1
		.amdhsa_named_barrier_count 0
		.amdhsa_reserve_vcc 0
		.amdhsa_float_round_mode_32 0
		.amdhsa_float_round_mode_16_64 0
		.amdhsa_float_denorm_mode_32 3
		.amdhsa_float_denorm_mode_16_64 3
		.amdhsa_fp16_overflow 0
		.amdhsa_memory_ordered 1
		.amdhsa_forward_progress 1
		.amdhsa_inst_pref_size 0
		.amdhsa_round_robin_scheduling 0
		.amdhsa_exception_fp_ieee_invalid_op 0
		.amdhsa_exception_fp_denorm_src 0
		.amdhsa_exception_fp_ieee_div_zero 0
		.amdhsa_exception_fp_ieee_overflow 0
		.amdhsa_exception_fp_ieee_underflow 0
		.amdhsa_exception_fp_ieee_inexact 0
		.amdhsa_exception_int_div_zero 0
	.end_amdhsa_kernel
	.section	.text._ZN7rocprim17ROCPRIM_400000_NS6detail17trampoline_kernelINS0_14default_configENS1_36segmented_radix_sort_config_selectorI12hip_bfloat16lEEZNS1_25segmented_radix_sort_implIS3_Lb1EPKS5_PS5_PKlPlN2at6native12_GLOBAL__N_18offset_tEEE10hipError_tPvRmT1_PNSt15iterator_traitsISL_E10value_typeET2_T3_PNSM_ISR_E10value_typeET4_jRbjT5_SX_jjP12ihipStream_tbEUlT_E1_NS1_11comp_targetILNS1_3genE9ELNS1_11target_archE1100ELNS1_3gpuE3ELNS1_3repE0EEENS1_59segmented_radix_sort_warp_sort_small_config_static_selectorELNS0_4arch9wavefront6targetE0EEEvSL_,"axG",@progbits,_ZN7rocprim17ROCPRIM_400000_NS6detail17trampoline_kernelINS0_14default_configENS1_36segmented_radix_sort_config_selectorI12hip_bfloat16lEEZNS1_25segmented_radix_sort_implIS3_Lb1EPKS5_PS5_PKlPlN2at6native12_GLOBAL__N_18offset_tEEE10hipError_tPvRmT1_PNSt15iterator_traitsISL_E10value_typeET2_T3_PNSM_ISR_E10value_typeET4_jRbjT5_SX_jjP12ihipStream_tbEUlT_E1_NS1_11comp_targetILNS1_3genE9ELNS1_11target_archE1100ELNS1_3gpuE3ELNS1_3repE0EEENS1_59segmented_radix_sort_warp_sort_small_config_static_selectorELNS0_4arch9wavefront6targetE0EEEvSL_,comdat
.Lfunc_end1964:
	.size	_ZN7rocprim17ROCPRIM_400000_NS6detail17trampoline_kernelINS0_14default_configENS1_36segmented_radix_sort_config_selectorI12hip_bfloat16lEEZNS1_25segmented_radix_sort_implIS3_Lb1EPKS5_PS5_PKlPlN2at6native12_GLOBAL__N_18offset_tEEE10hipError_tPvRmT1_PNSt15iterator_traitsISL_E10value_typeET2_T3_PNSM_ISR_E10value_typeET4_jRbjT5_SX_jjP12ihipStream_tbEUlT_E1_NS1_11comp_targetILNS1_3genE9ELNS1_11target_archE1100ELNS1_3gpuE3ELNS1_3repE0EEENS1_59segmented_radix_sort_warp_sort_small_config_static_selectorELNS0_4arch9wavefront6targetE0EEEvSL_, .Lfunc_end1964-_ZN7rocprim17ROCPRIM_400000_NS6detail17trampoline_kernelINS0_14default_configENS1_36segmented_radix_sort_config_selectorI12hip_bfloat16lEEZNS1_25segmented_radix_sort_implIS3_Lb1EPKS5_PS5_PKlPlN2at6native12_GLOBAL__N_18offset_tEEE10hipError_tPvRmT1_PNSt15iterator_traitsISL_E10value_typeET2_T3_PNSM_ISR_E10value_typeET4_jRbjT5_SX_jjP12ihipStream_tbEUlT_E1_NS1_11comp_targetILNS1_3genE9ELNS1_11target_archE1100ELNS1_3gpuE3ELNS1_3repE0EEENS1_59segmented_radix_sort_warp_sort_small_config_static_selectorELNS0_4arch9wavefront6targetE0EEEvSL_
                                        ; -- End function
	.set _ZN7rocprim17ROCPRIM_400000_NS6detail17trampoline_kernelINS0_14default_configENS1_36segmented_radix_sort_config_selectorI12hip_bfloat16lEEZNS1_25segmented_radix_sort_implIS3_Lb1EPKS5_PS5_PKlPlN2at6native12_GLOBAL__N_18offset_tEEE10hipError_tPvRmT1_PNSt15iterator_traitsISL_E10value_typeET2_T3_PNSM_ISR_E10value_typeET4_jRbjT5_SX_jjP12ihipStream_tbEUlT_E1_NS1_11comp_targetILNS1_3genE9ELNS1_11target_archE1100ELNS1_3gpuE3ELNS1_3repE0EEENS1_59segmented_radix_sort_warp_sort_small_config_static_selectorELNS0_4arch9wavefront6targetE0EEEvSL_.num_vgpr, 0
	.set _ZN7rocprim17ROCPRIM_400000_NS6detail17trampoline_kernelINS0_14default_configENS1_36segmented_radix_sort_config_selectorI12hip_bfloat16lEEZNS1_25segmented_radix_sort_implIS3_Lb1EPKS5_PS5_PKlPlN2at6native12_GLOBAL__N_18offset_tEEE10hipError_tPvRmT1_PNSt15iterator_traitsISL_E10value_typeET2_T3_PNSM_ISR_E10value_typeET4_jRbjT5_SX_jjP12ihipStream_tbEUlT_E1_NS1_11comp_targetILNS1_3genE9ELNS1_11target_archE1100ELNS1_3gpuE3ELNS1_3repE0EEENS1_59segmented_radix_sort_warp_sort_small_config_static_selectorELNS0_4arch9wavefront6targetE0EEEvSL_.num_agpr, 0
	.set _ZN7rocprim17ROCPRIM_400000_NS6detail17trampoline_kernelINS0_14default_configENS1_36segmented_radix_sort_config_selectorI12hip_bfloat16lEEZNS1_25segmented_radix_sort_implIS3_Lb1EPKS5_PS5_PKlPlN2at6native12_GLOBAL__N_18offset_tEEE10hipError_tPvRmT1_PNSt15iterator_traitsISL_E10value_typeET2_T3_PNSM_ISR_E10value_typeET4_jRbjT5_SX_jjP12ihipStream_tbEUlT_E1_NS1_11comp_targetILNS1_3genE9ELNS1_11target_archE1100ELNS1_3gpuE3ELNS1_3repE0EEENS1_59segmented_radix_sort_warp_sort_small_config_static_selectorELNS0_4arch9wavefront6targetE0EEEvSL_.numbered_sgpr, 0
	.set _ZN7rocprim17ROCPRIM_400000_NS6detail17trampoline_kernelINS0_14default_configENS1_36segmented_radix_sort_config_selectorI12hip_bfloat16lEEZNS1_25segmented_radix_sort_implIS3_Lb1EPKS5_PS5_PKlPlN2at6native12_GLOBAL__N_18offset_tEEE10hipError_tPvRmT1_PNSt15iterator_traitsISL_E10value_typeET2_T3_PNSM_ISR_E10value_typeET4_jRbjT5_SX_jjP12ihipStream_tbEUlT_E1_NS1_11comp_targetILNS1_3genE9ELNS1_11target_archE1100ELNS1_3gpuE3ELNS1_3repE0EEENS1_59segmented_radix_sort_warp_sort_small_config_static_selectorELNS0_4arch9wavefront6targetE0EEEvSL_.num_named_barrier, 0
	.set _ZN7rocprim17ROCPRIM_400000_NS6detail17trampoline_kernelINS0_14default_configENS1_36segmented_radix_sort_config_selectorI12hip_bfloat16lEEZNS1_25segmented_radix_sort_implIS3_Lb1EPKS5_PS5_PKlPlN2at6native12_GLOBAL__N_18offset_tEEE10hipError_tPvRmT1_PNSt15iterator_traitsISL_E10value_typeET2_T3_PNSM_ISR_E10value_typeET4_jRbjT5_SX_jjP12ihipStream_tbEUlT_E1_NS1_11comp_targetILNS1_3genE9ELNS1_11target_archE1100ELNS1_3gpuE3ELNS1_3repE0EEENS1_59segmented_radix_sort_warp_sort_small_config_static_selectorELNS0_4arch9wavefront6targetE0EEEvSL_.private_seg_size, 0
	.set _ZN7rocprim17ROCPRIM_400000_NS6detail17trampoline_kernelINS0_14default_configENS1_36segmented_radix_sort_config_selectorI12hip_bfloat16lEEZNS1_25segmented_radix_sort_implIS3_Lb1EPKS5_PS5_PKlPlN2at6native12_GLOBAL__N_18offset_tEEE10hipError_tPvRmT1_PNSt15iterator_traitsISL_E10value_typeET2_T3_PNSM_ISR_E10value_typeET4_jRbjT5_SX_jjP12ihipStream_tbEUlT_E1_NS1_11comp_targetILNS1_3genE9ELNS1_11target_archE1100ELNS1_3gpuE3ELNS1_3repE0EEENS1_59segmented_radix_sort_warp_sort_small_config_static_selectorELNS0_4arch9wavefront6targetE0EEEvSL_.uses_vcc, 0
	.set _ZN7rocprim17ROCPRIM_400000_NS6detail17trampoline_kernelINS0_14default_configENS1_36segmented_radix_sort_config_selectorI12hip_bfloat16lEEZNS1_25segmented_radix_sort_implIS3_Lb1EPKS5_PS5_PKlPlN2at6native12_GLOBAL__N_18offset_tEEE10hipError_tPvRmT1_PNSt15iterator_traitsISL_E10value_typeET2_T3_PNSM_ISR_E10value_typeET4_jRbjT5_SX_jjP12ihipStream_tbEUlT_E1_NS1_11comp_targetILNS1_3genE9ELNS1_11target_archE1100ELNS1_3gpuE3ELNS1_3repE0EEENS1_59segmented_radix_sort_warp_sort_small_config_static_selectorELNS0_4arch9wavefront6targetE0EEEvSL_.uses_flat_scratch, 0
	.set _ZN7rocprim17ROCPRIM_400000_NS6detail17trampoline_kernelINS0_14default_configENS1_36segmented_radix_sort_config_selectorI12hip_bfloat16lEEZNS1_25segmented_radix_sort_implIS3_Lb1EPKS5_PS5_PKlPlN2at6native12_GLOBAL__N_18offset_tEEE10hipError_tPvRmT1_PNSt15iterator_traitsISL_E10value_typeET2_T3_PNSM_ISR_E10value_typeET4_jRbjT5_SX_jjP12ihipStream_tbEUlT_E1_NS1_11comp_targetILNS1_3genE9ELNS1_11target_archE1100ELNS1_3gpuE3ELNS1_3repE0EEENS1_59segmented_radix_sort_warp_sort_small_config_static_selectorELNS0_4arch9wavefront6targetE0EEEvSL_.has_dyn_sized_stack, 0
	.set _ZN7rocprim17ROCPRIM_400000_NS6detail17trampoline_kernelINS0_14default_configENS1_36segmented_radix_sort_config_selectorI12hip_bfloat16lEEZNS1_25segmented_radix_sort_implIS3_Lb1EPKS5_PS5_PKlPlN2at6native12_GLOBAL__N_18offset_tEEE10hipError_tPvRmT1_PNSt15iterator_traitsISL_E10value_typeET2_T3_PNSM_ISR_E10value_typeET4_jRbjT5_SX_jjP12ihipStream_tbEUlT_E1_NS1_11comp_targetILNS1_3genE9ELNS1_11target_archE1100ELNS1_3gpuE3ELNS1_3repE0EEENS1_59segmented_radix_sort_warp_sort_small_config_static_selectorELNS0_4arch9wavefront6targetE0EEEvSL_.has_recursion, 0
	.set _ZN7rocprim17ROCPRIM_400000_NS6detail17trampoline_kernelINS0_14default_configENS1_36segmented_radix_sort_config_selectorI12hip_bfloat16lEEZNS1_25segmented_radix_sort_implIS3_Lb1EPKS5_PS5_PKlPlN2at6native12_GLOBAL__N_18offset_tEEE10hipError_tPvRmT1_PNSt15iterator_traitsISL_E10value_typeET2_T3_PNSM_ISR_E10value_typeET4_jRbjT5_SX_jjP12ihipStream_tbEUlT_E1_NS1_11comp_targetILNS1_3genE9ELNS1_11target_archE1100ELNS1_3gpuE3ELNS1_3repE0EEENS1_59segmented_radix_sort_warp_sort_small_config_static_selectorELNS0_4arch9wavefront6targetE0EEEvSL_.has_indirect_call, 0
	.section	.AMDGPU.csdata,"",@progbits
; Kernel info:
; codeLenInByte = 0
; TotalNumSgprs: 0
; NumVgprs: 0
; ScratchSize: 0
; MemoryBound: 0
; FloatMode: 240
; IeeeMode: 1
; LDSByteSize: 0 bytes/workgroup (compile time only)
; SGPRBlocks: 0
; VGPRBlocks: 0
; NumSGPRsForWavesPerEU: 1
; NumVGPRsForWavesPerEU: 1
; NamedBarCnt: 0
; Occupancy: 16
; WaveLimiterHint : 0
; COMPUTE_PGM_RSRC2:SCRATCH_EN: 0
; COMPUTE_PGM_RSRC2:USER_SGPR: 2
; COMPUTE_PGM_RSRC2:TRAP_HANDLER: 0
; COMPUTE_PGM_RSRC2:TGID_X_EN: 1
; COMPUTE_PGM_RSRC2:TGID_Y_EN: 0
; COMPUTE_PGM_RSRC2:TGID_Z_EN: 0
; COMPUTE_PGM_RSRC2:TIDIG_COMP_CNT: 0
	.section	.text._ZN7rocprim17ROCPRIM_400000_NS6detail17trampoline_kernelINS0_14default_configENS1_36segmented_radix_sort_config_selectorI12hip_bfloat16lEEZNS1_25segmented_radix_sort_implIS3_Lb1EPKS5_PS5_PKlPlN2at6native12_GLOBAL__N_18offset_tEEE10hipError_tPvRmT1_PNSt15iterator_traitsISL_E10value_typeET2_T3_PNSM_ISR_E10value_typeET4_jRbjT5_SX_jjP12ihipStream_tbEUlT_E1_NS1_11comp_targetILNS1_3genE8ELNS1_11target_archE1030ELNS1_3gpuE2ELNS1_3repE0EEENS1_59segmented_radix_sort_warp_sort_small_config_static_selectorELNS0_4arch9wavefront6targetE0EEEvSL_,"axG",@progbits,_ZN7rocprim17ROCPRIM_400000_NS6detail17trampoline_kernelINS0_14default_configENS1_36segmented_radix_sort_config_selectorI12hip_bfloat16lEEZNS1_25segmented_radix_sort_implIS3_Lb1EPKS5_PS5_PKlPlN2at6native12_GLOBAL__N_18offset_tEEE10hipError_tPvRmT1_PNSt15iterator_traitsISL_E10value_typeET2_T3_PNSM_ISR_E10value_typeET4_jRbjT5_SX_jjP12ihipStream_tbEUlT_E1_NS1_11comp_targetILNS1_3genE8ELNS1_11target_archE1030ELNS1_3gpuE2ELNS1_3repE0EEENS1_59segmented_radix_sort_warp_sort_small_config_static_selectorELNS0_4arch9wavefront6targetE0EEEvSL_,comdat
	.globl	_ZN7rocprim17ROCPRIM_400000_NS6detail17trampoline_kernelINS0_14default_configENS1_36segmented_radix_sort_config_selectorI12hip_bfloat16lEEZNS1_25segmented_radix_sort_implIS3_Lb1EPKS5_PS5_PKlPlN2at6native12_GLOBAL__N_18offset_tEEE10hipError_tPvRmT1_PNSt15iterator_traitsISL_E10value_typeET2_T3_PNSM_ISR_E10value_typeET4_jRbjT5_SX_jjP12ihipStream_tbEUlT_E1_NS1_11comp_targetILNS1_3genE8ELNS1_11target_archE1030ELNS1_3gpuE2ELNS1_3repE0EEENS1_59segmented_radix_sort_warp_sort_small_config_static_selectorELNS0_4arch9wavefront6targetE0EEEvSL_ ; -- Begin function _ZN7rocprim17ROCPRIM_400000_NS6detail17trampoline_kernelINS0_14default_configENS1_36segmented_radix_sort_config_selectorI12hip_bfloat16lEEZNS1_25segmented_radix_sort_implIS3_Lb1EPKS5_PS5_PKlPlN2at6native12_GLOBAL__N_18offset_tEEE10hipError_tPvRmT1_PNSt15iterator_traitsISL_E10value_typeET2_T3_PNSM_ISR_E10value_typeET4_jRbjT5_SX_jjP12ihipStream_tbEUlT_E1_NS1_11comp_targetILNS1_3genE8ELNS1_11target_archE1030ELNS1_3gpuE2ELNS1_3repE0EEENS1_59segmented_radix_sort_warp_sort_small_config_static_selectorELNS0_4arch9wavefront6targetE0EEEvSL_
	.p2align	8
	.type	_ZN7rocprim17ROCPRIM_400000_NS6detail17trampoline_kernelINS0_14default_configENS1_36segmented_radix_sort_config_selectorI12hip_bfloat16lEEZNS1_25segmented_radix_sort_implIS3_Lb1EPKS5_PS5_PKlPlN2at6native12_GLOBAL__N_18offset_tEEE10hipError_tPvRmT1_PNSt15iterator_traitsISL_E10value_typeET2_T3_PNSM_ISR_E10value_typeET4_jRbjT5_SX_jjP12ihipStream_tbEUlT_E1_NS1_11comp_targetILNS1_3genE8ELNS1_11target_archE1030ELNS1_3gpuE2ELNS1_3repE0EEENS1_59segmented_radix_sort_warp_sort_small_config_static_selectorELNS0_4arch9wavefront6targetE0EEEvSL_,@function
_ZN7rocprim17ROCPRIM_400000_NS6detail17trampoline_kernelINS0_14default_configENS1_36segmented_radix_sort_config_selectorI12hip_bfloat16lEEZNS1_25segmented_radix_sort_implIS3_Lb1EPKS5_PS5_PKlPlN2at6native12_GLOBAL__N_18offset_tEEE10hipError_tPvRmT1_PNSt15iterator_traitsISL_E10value_typeET2_T3_PNSM_ISR_E10value_typeET4_jRbjT5_SX_jjP12ihipStream_tbEUlT_E1_NS1_11comp_targetILNS1_3genE8ELNS1_11target_archE1030ELNS1_3gpuE2ELNS1_3repE0EEENS1_59segmented_radix_sort_warp_sort_small_config_static_selectorELNS0_4arch9wavefront6targetE0EEEvSL_: ; @_ZN7rocprim17ROCPRIM_400000_NS6detail17trampoline_kernelINS0_14default_configENS1_36segmented_radix_sort_config_selectorI12hip_bfloat16lEEZNS1_25segmented_radix_sort_implIS3_Lb1EPKS5_PS5_PKlPlN2at6native12_GLOBAL__N_18offset_tEEE10hipError_tPvRmT1_PNSt15iterator_traitsISL_E10value_typeET2_T3_PNSM_ISR_E10value_typeET4_jRbjT5_SX_jjP12ihipStream_tbEUlT_E1_NS1_11comp_targetILNS1_3genE8ELNS1_11target_archE1030ELNS1_3gpuE2ELNS1_3repE0EEENS1_59segmented_radix_sort_warp_sort_small_config_static_selectorELNS0_4arch9wavefront6targetE0EEEvSL_
; %bb.0:
	.section	.rodata,"a",@progbits
	.p2align	6, 0x0
	.amdhsa_kernel _ZN7rocprim17ROCPRIM_400000_NS6detail17trampoline_kernelINS0_14default_configENS1_36segmented_radix_sort_config_selectorI12hip_bfloat16lEEZNS1_25segmented_radix_sort_implIS3_Lb1EPKS5_PS5_PKlPlN2at6native12_GLOBAL__N_18offset_tEEE10hipError_tPvRmT1_PNSt15iterator_traitsISL_E10value_typeET2_T3_PNSM_ISR_E10value_typeET4_jRbjT5_SX_jjP12ihipStream_tbEUlT_E1_NS1_11comp_targetILNS1_3genE8ELNS1_11target_archE1030ELNS1_3gpuE2ELNS1_3repE0EEENS1_59segmented_radix_sort_warp_sort_small_config_static_selectorELNS0_4arch9wavefront6targetE0EEEvSL_
		.amdhsa_group_segment_fixed_size 0
		.amdhsa_private_segment_fixed_size 0
		.amdhsa_kernarg_size 88
		.amdhsa_user_sgpr_count 2
		.amdhsa_user_sgpr_dispatch_ptr 0
		.amdhsa_user_sgpr_queue_ptr 0
		.amdhsa_user_sgpr_kernarg_segment_ptr 1
		.amdhsa_user_sgpr_dispatch_id 0
		.amdhsa_user_sgpr_kernarg_preload_length 0
		.amdhsa_user_sgpr_kernarg_preload_offset 0
		.amdhsa_user_sgpr_private_segment_size 0
		.amdhsa_wavefront_size32 1
		.amdhsa_uses_dynamic_stack 0
		.amdhsa_enable_private_segment 0
		.amdhsa_system_sgpr_workgroup_id_x 1
		.amdhsa_system_sgpr_workgroup_id_y 0
		.amdhsa_system_sgpr_workgroup_id_z 0
		.amdhsa_system_sgpr_workgroup_info 0
		.amdhsa_system_vgpr_workitem_id 0
		.amdhsa_next_free_vgpr 1
		.amdhsa_next_free_sgpr 1
		.amdhsa_named_barrier_count 0
		.amdhsa_reserve_vcc 0
		.amdhsa_float_round_mode_32 0
		.amdhsa_float_round_mode_16_64 0
		.amdhsa_float_denorm_mode_32 3
		.amdhsa_float_denorm_mode_16_64 3
		.amdhsa_fp16_overflow 0
		.amdhsa_memory_ordered 1
		.amdhsa_forward_progress 1
		.amdhsa_inst_pref_size 0
		.amdhsa_round_robin_scheduling 0
		.amdhsa_exception_fp_ieee_invalid_op 0
		.amdhsa_exception_fp_denorm_src 0
		.amdhsa_exception_fp_ieee_div_zero 0
		.amdhsa_exception_fp_ieee_overflow 0
		.amdhsa_exception_fp_ieee_underflow 0
		.amdhsa_exception_fp_ieee_inexact 0
		.amdhsa_exception_int_div_zero 0
	.end_amdhsa_kernel
	.section	.text._ZN7rocprim17ROCPRIM_400000_NS6detail17trampoline_kernelINS0_14default_configENS1_36segmented_radix_sort_config_selectorI12hip_bfloat16lEEZNS1_25segmented_radix_sort_implIS3_Lb1EPKS5_PS5_PKlPlN2at6native12_GLOBAL__N_18offset_tEEE10hipError_tPvRmT1_PNSt15iterator_traitsISL_E10value_typeET2_T3_PNSM_ISR_E10value_typeET4_jRbjT5_SX_jjP12ihipStream_tbEUlT_E1_NS1_11comp_targetILNS1_3genE8ELNS1_11target_archE1030ELNS1_3gpuE2ELNS1_3repE0EEENS1_59segmented_radix_sort_warp_sort_small_config_static_selectorELNS0_4arch9wavefront6targetE0EEEvSL_,"axG",@progbits,_ZN7rocprim17ROCPRIM_400000_NS6detail17trampoline_kernelINS0_14default_configENS1_36segmented_radix_sort_config_selectorI12hip_bfloat16lEEZNS1_25segmented_radix_sort_implIS3_Lb1EPKS5_PS5_PKlPlN2at6native12_GLOBAL__N_18offset_tEEE10hipError_tPvRmT1_PNSt15iterator_traitsISL_E10value_typeET2_T3_PNSM_ISR_E10value_typeET4_jRbjT5_SX_jjP12ihipStream_tbEUlT_E1_NS1_11comp_targetILNS1_3genE8ELNS1_11target_archE1030ELNS1_3gpuE2ELNS1_3repE0EEENS1_59segmented_radix_sort_warp_sort_small_config_static_selectorELNS0_4arch9wavefront6targetE0EEEvSL_,comdat
.Lfunc_end1965:
	.size	_ZN7rocprim17ROCPRIM_400000_NS6detail17trampoline_kernelINS0_14default_configENS1_36segmented_radix_sort_config_selectorI12hip_bfloat16lEEZNS1_25segmented_radix_sort_implIS3_Lb1EPKS5_PS5_PKlPlN2at6native12_GLOBAL__N_18offset_tEEE10hipError_tPvRmT1_PNSt15iterator_traitsISL_E10value_typeET2_T3_PNSM_ISR_E10value_typeET4_jRbjT5_SX_jjP12ihipStream_tbEUlT_E1_NS1_11comp_targetILNS1_3genE8ELNS1_11target_archE1030ELNS1_3gpuE2ELNS1_3repE0EEENS1_59segmented_radix_sort_warp_sort_small_config_static_selectorELNS0_4arch9wavefront6targetE0EEEvSL_, .Lfunc_end1965-_ZN7rocprim17ROCPRIM_400000_NS6detail17trampoline_kernelINS0_14default_configENS1_36segmented_radix_sort_config_selectorI12hip_bfloat16lEEZNS1_25segmented_radix_sort_implIS3_Lb1EPKS5_PS5_PKlPlN2at6native12_GLOBAL__N_18offset_tEEE10hipError_tPvRmT1_PNSt15iterator_traitsISL_E10value_typeET2_T3_PNSM_ISR_E10value_typeET4_jRbjT5_SX_jjP12ihipStream_tbEUlT_E1_NS1_11comp_targetILNS1_3genE8ELNS1_11target_archE1030ELNS1_3gpuE2ELNS1_3repE0EEENS1_59segmented_radix_sort_warp_sort_small_config_static_selectorELNS0_4arch9wavefront6targetE0EEEvSL_
                                        ; -- End function
	.set _ZN7rocprim17ROCPRIM_400000_NS6detail17trampoline_kernelINS0_14default_configENS1_36segmented_radix_sort_config_selectorI12hip_bfloat16lEEZNS1_25segmented_radix_sort_implIS3_Lb1EPKS5_PS5_PKlPlN2at6native12_GLOBAL__N_18offset_tEEE10hipError_tPvRmT1_PNSt15iterator_traitsISL_E10value_typeET2_T3_PNSM_ISR_E10value_typeET4_jRbjT5_SX_jjP12ihipStream_tbEUlT_E1_NS1_11comp_targetILNS1_3genE8ELNS1_11target_archE1030ELNS1_3gpuE2ELNS1_3repE0EEENS1_59segmented_radix_sort_warp_sort_small_config_static_selectorELNS0_4arch9wavefront6targetE0EEEvSL_.num_vgpr, 0
	.set _ZN7rocprim17ROCPRIM_400000_NS6detail17trampoline_kernelINS0_14default_configENS1_36segmented_radix_sort_config_selectorI12hip_bfloat16lEEZNS1_25segmented_radix_sort_implIS3_Lb1EPKS5_PS5_PKlPlN2at6native12_GLOBAL__N_18offset_tEEE10hipError_tPvRmT1_PNSt15iterator_traitsISL_E10value_typeET2_T3_PNSM_ISR_E10value_typeET4_jRbjT5_SX_jjP12ihipStream_tbEUlT_E1_NS1_11comp_targetILNS1_3genE8ELNS1_11target_archE1030ELNS1_3gpuE2ELNS1_3repE0EEENS1_59segmented_radix_sort_warp_sort_small_config_static_selectorELNS0_4arch9wavefront6targetE0EEEvSL_.num_agpr, 0
	.set _ZN7rocprim17ROCPRIM_400000_NS6detail17trampoline_kernelINS0_14default_configENS1_36segmented_radix_sort_config_selectorI12hip_bfloat16lEEZNS1_25segmented_radix_sort_implIS3_Lb1EPKS5_PS5_PKlPlN2at6native12_GLOBAL__N_18offset_tEEE10hipError_tPvRmT1_PNSt15iterator_traitsISL_E10value_typeET2_T3_PNSM_ISR_E10value_typeET4_jRbjT5_SX_jjP12ihipStream_tbEUlT_E1_NS1_11comp_targetILNS1_3genE8ELNS1_11target_archE1030ELNS1_3gpuE2ELNS1_3repE0EEENS1_59segmented_radix_sort_warp_sort_small_config_static_selectorELNS0_4arch9wavefront6targetE0EEEvSL_.numbered_sgpr, 0
	.set _ZN7rocprim17ROCPRIM_400000_NS6detail17trampoline_kernelINS0_14default_configENS1_36segmented_radix_sort_config_selectorI12hip_bfloat16lEEZNS1_25segmented_radix_sort_implIS3_Lb1EPKS5_PS5_PKlPlN2at6native12_GLOBAL__N_18offset_tEEE10hipError_tPvRmT1_PNSt15iterator_traitsISL_E10value_typeET2_T3_PNSM_ISR_E10value_typeET4_jRbjT5_SX_jjP12ihipStream_tbEUlT_E1_NS1_11comp_targetILNS1_3genE8ELNS1_11target_archE1030ELNS1_3gpuE2ELNS1_3repE0EEENS1_59segmented_radix_sort_warp_sort_small_config_static_selectorELNS0_4arch9wavefront6targetE0EEEvSL_.num_named_barrier, 0
	.set _ZN7rocprim17ROCPRIM_400000_NS6detail17trampoline_kernelINS0_14default_configENS1_36segmented_radix_sort_config_selectorI12hip_bfloat16lEEZNS1_25segmented_radix_sort_implIS3_Lb1EPKS5_PS5_PKlPlN2at6native12_GLOBAL__N_18offset_tEEE10hipError_tPvRmT1_PNSt15iterator_traitsISL_E10value_typeET2_T3_PNSM_ISR_E10value_typeET4_jRbjT5_SX_jjP12ihipStream_tbEUlT_E1_NS1_11comp_targetILNS1_3genE8ELNS1_11target_archE1030ELNS1_3gpuE2ELNS1_3repE0EEENS1_59segmented_radix_sort_warp_sort_small_config_static_selectorELNS0_4arch9wavefront6targetE0EEEvSL_.private_seg_size, 0
	.set _ZN7rocprim17ROCPRIM_400000_NS6detail17trampoline_kernelINS0_14default_configENS1_36segmented_radix_sort_config_selectorI12hip_bfloat16lEEZNS1_25segmented_radix_sort_implIS3_Lb1EPKS5_PS5_PKlPlN2at6native12_GLOBAL__N_18offset_tEEE10hipError_tPvRmT1_PNSt15iterator_traitsISL_E10value_typeET2_T3_PNSM_ISR_E10value_typeET4_jRbjT5_SX_jjP12ihipStream_tbEUlT_E1_NS1_11comp_targetILNS1_3genE8ELNS1_11target_archE1030ELNS1_3gpuE2ELNS1_3repE0EEENS1_59segmented_radix_sort_warp_sort_small_config_static_selectorELNS0_4arch9wavefront6targetE0EEEvSL_.uses_vcc, 0
	.set _ZN7rocprim17ROCPRIM_400000_NS6detail17trampoline_kernelINS0_14default_configENS1_36segmented_radix_sort_config_selectorI12hip_bfloat16lEEZNS1_25segmented_radix_sort_implIS3_Lb1EPKS5_PS5_PKlPlN2at6native12_GLOBAL__N_18offset_tEEE10hipError_tPvRmT1_PNSt15iterator_traitsISL_E10value_typeET2_T3_PNSM_ISR_E10value_typeET4_jRbjT5_SX_jjP12ihipStream_tbEUlT_E1_NS1_11comp_targetILNS1_3genE8ELNS1_11target_archE1030ELNS1_3gpuE2ELNS1_3repE0EEENS1_59segmented_radix_sort_warp_sort_small_config_static_selectorELNS0_4arch9wavefront6targetE0EEEvSL_.uses_flat_scratch, 0
	.set _ZN7rocprim17ROCPRIM_400000_NS6detail17trampoline_kernelINS0_14default_configENS1_36segmented_radix_sort_config_selectorI12hip_bfloat16lEEZNS1_25segmented_radix_sort_implIS3_Lb1EPKS5_PS5_PKlPlN2at6native12_GLOBAL__N_18offset_tEEE10hipError_tPvRmT1_PNSt15iterator_traitsISL_E10value_typeET2_T3_PNSM_ISR_E10value_typeET4_jRbjT5_SX_jjP12ihipStream_tbEUlT_E1_NS1_11comp_targetILNS1_3genE8ELNS1_11target_archE1030ELNS1_3gpuE2ELNS1_3repE0EEENS1_59segmented_radix_sort_warp_sort_small_config_static_selectorELNS0_4arch9wavefront6targetE0EEEvSL_.has_dyn_sized_stack, 0
	.set _ZN7rocprim17ROCPRIM_400000_NS6detail17trampoline_kernelINS0_14default_configENS1_36segmented_radix_sort_config_selectorI12hip_bfloat16lEEZNS1_25segmented_radix_sort_implIS3_Lb1EPKS5_PS5_PKlPlN2at6native12_GLOBAL__N_18offset_tEEE10hipError_tPvRmT1_PNSt15iterator_traitsISL_E10value_typeET2_T3_PNSM_ISR_E10value_typeET4_jRbjT5_SX_jjP12ihipStream_tbEUlT_E1_NS1_11comp_targetILNS1_3genE8ELNS1_11target_archE1030ELNS1_3gpuE2ELNS1_3repE0EEENS1_59segmented_radix_sort_warp_sort_small_config_static_selectorELNS0_4arch9wavefront6targetE0EEEvSL_.has_recursion, 0
	.set _ZN7rocprim17ROCPRIM_400000_NS6detail17trampoline_kernelINS0_14default_configENS1_36segmented_radix_sort_config_selectorI12hip_bfloat16lEEZNS1_25segmented_radix_sort_implIS3_Lb1EPKS5_PS5_PKlPlN2at6native12_GLOBAL__N_18offset_tEEE10hipError_tPvRmT1_PNSt15iterator_traitsISL_E10value_typeET2_T3_PNSM_ISR_E10value_typeET4_jRbjT5_SX_jjP12ihipStream_tbEUlT_E1_NS1_11comp_targetILNS1_3genE8ELNS1_11target_archE1030ELNS1_3gpuE2ELNS1_3repE0EEENS1_59segmented_radix_sort_warp_sort_small_config_static_selectorELNS0_4arch9wavefront6targetE0EEEvSL_.has_indirect_call, 0
	.section	.AMDGPU.csdata,"",@progbits
; Kernel info:
; codeLenInByte = 0
; TotalNumSgprs: 0
; NumVgprs: 0
; ScratchSize: 0
; MemoryBound: 0
; FloatMode: 240
; IeeeMode: 1
; LDSByteSize: 0 bytes/workgroup (compile time only)
; SGPRBlocks: 0
; VGPRBlocks: 0
; NumSGPRsForWavesPerEU: 1
; NumVGPRsForWavesPerEU: 1
; NamedBarCnt: 0
; Occupancy: 16
; WaveLimiterHint : 0
; COMPUTE_PGM_RSRC2:SCRATCH_EN: 0
; COMPUTE_PGM_RSRC2:USER_SGPR: 2
; COMPUTE_PGM_RSRC2:TRAP_HANDLER: 0
; COMPUTE_PGM_RSRC2:TGID_X_EN: 1
; COMPUTE_PGM_RSRC2:TGID_Y_EN: 0
; COMPUTE_PGM_RSRC2:TGID_Z_EN: 0
; COMPUTE_PGM_RSRC2:TIDIG_COMP_CNT: 0
	.section	.text._ZN7rocprim17ROCPRIM_400000_NS6detail17trampoline_kernelINS0_14default_configENS1_36segmented_radix_sort_config_selectorI12hip_bfloat16lEEZNS1_25segmented_radix_sort_implIS3_Lb1EPKS5_PS5_PKlPlN2at6native12_GLOBAL__N_18offset_tEEE10hipError_tPvRmT1_PNSt15iterator_traitsISL_E10value_typeET2_T3_PNSM_ISR_E10value_typeET4_jRbjT5_SX_jjP12ihipStream_tbEUlT_E2_NS1_11comp_targetILNS1_3genE0ELNS1_11target_archE4294967295ELNS1_3gpuE0ELNS1_3repE0EEENS1_30default_config_static_selectorELNS0_4arch9wavefront6targetE0EEEvSL_,"axG",@progbits,_ZN7rocprim17ROCPRIM_400000_NS6detail17trampoline_kernelINS0_14default_configENS1_36segmented_radix_sort_config_selectorI12hip_bfloat16lEEZNS1_25segmented_radix_sort_implIS3_Lb1EPKS5_PS5_PKlPlN2at6native12_GLOBAL__N_18offset_tEEE10hipError_tPvRmT1_PNSt15iterator_traitsISL_E10value_typeET2_T3_PNSM_ISR_E10value_typeET4_jRbjT5_SX_jjP12ihipStream_tbEUlT_E2_NS1_11comp_targetILNS1_3genE0ELNS1_11target_archE4294967295ELNS1_3gpuE0ELNS1_3repE0EEENS1_30default_config_static_selectorELNS0_4arch9wavefront6targetE0EEEvSL_,comdat
	.globl	_ZN7rocprim17ROCPRIM_400000_NS6detail17trampoline_kernelINS0_14default_configENS1_36segmented_radix_sort_config_selectorI12hip_bfloat16lEEZNS1_25segmented_radix_sort_implIS3_Lb1EPKS5_PS5_PKlPlN2at6native12_GLOBAL__N_18offset_tEEE10hipError_tPvRmT1_PNSt15iterator_traitsISL_E10value_typeET2_T3_PNSM_ISR_E10value_typeET4_jRbjT5_SX_jjP12ihipStream_tbEUlT_E2_NS1_11comp_targetILNS1_3genE0ELNS1_11target_archE4294967295ELNS1_3gpuE0ELNS1_3repE0EEENS1_30default_config_static_selectorELNS0_4arch9wavefront6targetE0EEEvSL_ ; -- Begin function _ZN7rocprim17ROCPRIM_400000_NS6detail17trampoline_kernelINS0_14default_configENS1_36segmented_radix_sort_config_selectorI12hip_bfloat16lEEZNS1_25segmented_radix_sort_implIS3_Lb1EPKS5_PS5_PKlPlN2at6native12_GLOBAL__N_18offset_tEEE10hipError_tPvRmT1_PNSt15iterator_traitsISL_E10value_typeET2_T3_PNSM_ISR_E10value_typeET4_jRbjT5_SX_jjP12ihipStream_tbEUlT_E2_NS1_11comp_targetILNS1_3genE0ELNS1_11target_archE4294967295ELNS1_3gpuE0ELNS1_3repE0EEENS1_30default_config_static_selectorELNS0_4arch9wavefront6targetE0EEEvSL_
	.p2align	8
	.type	_ZN7rocprim17ROCPRIM_400000_NS6detail17trampoline_kernelINS0_14default_configENS1_36segmented_radix_sort_config_selectorI12hip_bfloat16lEEZNS1_25segmented_radix_sort_implIS3_Lb1EPKS5_PS5_PKlPlN2at6native12_GLOBAL__N_18offset_tEEE10hipError_tPvRmT1_PNSt15iterator_traitsISL_E10value_typeET2_T3_PNSM_ISR_E10value_typeET4_jRbjT5_SX_jjP12ihipStream_tbEUlT_E2_NS1_11comp_targetILNS1_3genE0ELNS1_11target_archE4294967295ELNS1_3gpuE0ELNS1_3repE0EEENS1_30default_config_static_selectorELNS0_4arch9wavefront6targetE0EEEvSL_,@function
_ZN7rocprim17ROCPRIM_400000_NS6detail17trampoline_kernelINS0_14default_configENS1_36segmented_radix_sort_config_selectorI12hip_bfloat16lEEZNS1_25segmented_radix_sort_implIS3_Lb1EPKS5_PS5_PKlPlN2at6native12_GLOBAL__N_18offset_tEEE10hipError_tPvRmT1_PNSt15iterator_traitsISL_E10value_typeET2_T3_PNSM_ISR_E10value_typeET4_jRbjT5_SX_jjP12ihipStream_tbEUlT_E2_NS1_11comp_targetILNS1_3genE0ELNS1_11target_archE4294967295ELNS1_3gpuE0ELNS1_3repE0EEENS1_30default_config_static_selectorELNS0_4arch9wavefront6targetE0EEEvSL_: ; @_ZN7rocprim17ROCPRIM_400000_NS6detail17trampoline_kernelINS0_14default_configENS1_36segmented_radix_sort_config_selectorI12hip_bfloat16lEEZNS1_25segmented_radix_sort_implIS3_Lb1EPKS5_PS5_PKlPlN2at6native12_GLOBAL__N_18offset_tEEE10hipError_tPvRmT1_PNSt15iterator_traitsISL_E10value_typeET2_T3_PNSM_ISR_E10value_typeET4_jRbjT5_SX_jjP12ihipStream_tbEUlT_E2_NS1_11comp_targetILNS1_3genE0ELNS1_11target_archE4294967295ELNS1_3gpuE0ELNS1_3repE0EEENS1_30default_config_static_selectorELNS0_4arch9wavefront6targetE0EEEvSL_
; %bb.0:
	s_load_b128 s[4:7], s[2:3], 0x34
	s_bfe_u32 s8, ttmp6, 0x4000c
	s_and_b32 s9, ttmp6, 15
	s_add_co_i32 s8, s8, 1
	s_getreg_b32 s27, hwreg(HW_REG_IB_STS2, 6, 4)
	s_mul_i32 s8, ttmp9, s8
	s_mov_b32 s32, 0
	s_add_co_i32 s9, s9, s8
	s_cmp_eq_u32 s27, 0
	s_cselect_b32 s33, ttmp9, s9
	s_wait_kmcnt 0x0
	s_add_co_i32 s51, s7, s33
	s_add_co_i32 s54, s5, s33
	s_mul_i32 s51, s51, s6
	s_mul_i32 s54, s54, s4
	s_delay_alu instid0(SALU_CYCLE_1)
	s_cmp_le_u32 s51, s54
	s_cbranch_scc1 .LBB1966_1190
; %bb.1:
	s_clause 0x3
	s_load_b32 s4, s[2:3], 0x30
	s_load_b128 s[44:47], s[2:3], 0x20
	s_load_b96 s[48:50], s[2:3], 0x44
	s_load_b256 s[36:43], s[2:3], 0x0
	s_wait_kmcnt 0x0
	s_bitcmp1_b32 s4, 0
	s_mov_b32 s4, -1
	s_cselect_b32 s55, -1, 0
	s_sub_co_i32 s56, s51, s54
	s_delay_alu instid0(SALU_CYCLE_1)
	s_cmp_lt_u32 s56, 0x1001
	s_cbranch_scc0 .LBB1966_15
; %bb.2:
	s_cmp_lt_u32 s56, 33
	s_cbranch_scc0 .LBB1966_9
; %bb.3:
	s_load_b32 s4, s[2:3], 0x5c
	v_bfe_u32 v1, v0, 10, 10
	v_bfe_u32 v2, v0, 20, 10
	s_mov_b32 s13, exec_lo
	s_wait_kmcnt 0x0
	s_lshr_b32 s5, s4, 16
	s_and_b32 s4, s4, 0xffff
	v_mad_u32_u24 v1, v2, s5, v1
	v_and_b32_e32 v2, 0x3ff, v0
	s_delay_alu instid0(VALU_DEP_1) | instskip(NEXT) | instid1(VALU_DEP_1)
	v_mad_u32 v1, v1, s4, v2
	v_cmpx_gt_u32_e32 8, v1
	s_cbranch_execz .LBB1966_8
; %bb.4:
	v_cndmask_b32_e64 v1, 0, 1, s55
	s_and_b32 s4, s48, 1
	s_get_pc_i64 s[14:15]
	s_add_nc_u64 s[14:15], s[14:15], _ZN7rocprim17ROCPRIM_400000_NS6detail26segmented_warp_sort_helperINS1_20WarpSortHelperConfigILj8ELj4ELj256EEE12hip_bfloat16lLi256ELb1EvE4sortIPKS5_PS5_PKlPlEEvT_T0_T1_T2_jjjjRNS6_12storage_typeE@rel64+4
	s_delay_alu instid0(VALU_DEP_1)
	v_cmp_ne_u32_e32 vcc_lo, s4, v1
	s_mov_b32 s4, -1
	s_cbranch_vccnz .LBB1966_6
; %bb.5:
	s_mov_b64 s[4:5], src_shared_base
	v_dual_mov_b32 v31, v0 :: v_dual_mov_b32 v40, v0
	v_dual_mov_b32 v0, s36 :: v_dual_mov_b32 v1, s37
	;; [unrolled: 1-line block ×7, first 2 shown]
	s_add_nc_u64 s[8:9], s[2:3], 0x50
	s_mov_b64 s[6:7], s[0:1]
	s_mov_b64 s[16:17], s[2:3]
	;; [unrolled: 1-line block ×3, first 2 shown]
	s_swap_pc_i64 s[30:31], s[14:15]
	v_mov_b32_e32 v0, v40
	s_mov_b64 s[0:1], s[18:19]
	s_mov_b64 s[2:3], s[16:17]
	s_mov_b32 s4, 0
.LBB1966_6:
	s_delay_alu instid0(SALU_CYCLE_1)
	s_and_not1_b32 vcc_lo, exec_lo, s4
	s_cbranch_vccnz .LBB1966_8
; %bb.7:
	s_mov_b64 s[4:5], src_shared_base
	v_dual_mov_b32 v31, v0 :: v_dual_mov_b32 v40, v0
	v_dual_mov_b32 v0, s36 :: v_dual_mov_b32 v1, s37
	;; [unrolled: 1-line block ×7, first 2 shown]
	s_add_nc_u64 s[8:9], s[2:3], 0x50
	s_mov_b64 s[6:7], s[0:1]
	s_mov_b64 s[16:17], s[2:3]
	;; [unrolled: 1-line block ×3, first 2 shown]
	s_swap_pc_i64 s[30:31], s[14:15]
	v_mov_b32_e32 v0, v40
	s_mov_b64 s[0:1], s[18:19]
	s_mov_b64 s[2:3], s[16:17]
.LBB1966_8:
	s_or_b32 exec_lo, exec_lo, s13
	s_mov_b32 s4, 0
.LBB1966_9:
	s_delay_alu instid0(SALU_CYCLE_1)
	s_and_not1_b32 vcc_lo, exec_lo, s4
	s_cbranch_vccnz .LBB1966_14
; %bb.10:
	v_cndmask_b32_e64 v1, 0, 1, s55
	s_and_b32 s4, s48, 1
	s_get_pc_i64 s[28:29]
	s_add_nc_u64 s[28:29], s[28:29], _ZN7rocprim17ROCPRIM_400000_NS6detail40segmented_radix_sort_single_block_helperI12hip_bfloat16lLj256ELj16ELb1EE4sortIPKS3_PS3_PKlPlEEbT_T0_T1_T2_jjjjRNS4_12storage_typeE@rel64+4
	s_delay_alu instid0(VALU_DEP_1)
	v_cmp_ne_u32_e32 vcc_lo, s4, v1
	s_mov_b32 s4, -1
	s_cbranch_vccnz .LBB1966_12
; %bb.11:
	s_mov_b64 s[4:5], src_shared_base
	v_dual_mov_b32 v31, v0 :: v_dual_mov_b32 v40, v0
	v_dual_mov_b32 v0, s36 :: v_dual_mov_b32 v1, s37
	v_dual_mov_b32 v2, s40 :: v_dual_mov_b32 v3, s41
	v_dual_mov_b32 v4, s42 :: v_dual_mov_b32 v5, s43
	v_dual_mov_b32 v6, s46 :: v_dual_mov_b32 v7, s47
	v_dual_mov_b32 v8, s54 :: v_dual_mov_b32 v9, s51
	v_dual_mov_b32 v10, s49 :: v_dual_mov_b32 v11, s50
	v_dual_mov_b32 v12, 0 :: v_dual_mov_b32 v13, s5
	s_add_nc_u64 s[8:9], s[2:3], 0x50
	s_mov_b64 s[6:7], s[0:1]
	s_mov_b64 s[34:35], s[2:3]
	;; [unrolled: 1-line block ×3, first 2 shown]
	s_swap_pc_i64 s[30:31], s[28:29]
	v_mov_b32_e32 v0, v40
	s_mov_b64 s[0:1], s[52:53]
	s_mov_b64 s[2:3], s[34:35]
	s_mov_b32 s4, 0
.LBB1966_12:
	s_delay_alu instid0(SALU_CYCLE_1)
	s_and_not1_b32 vcc_lo, exec_lo, s4
	s_cbranch_vccnz .LBB1966_14
; %bb.13:
	s_mov_b64 s[4:5], src_shared_base
	v_dual_mov_b32 v31, v0 :: v_dual_mov_b32 v40, v0
	v_dual_mov_b32 v0, s36 :: v_dual_mov_b32 v1, s37
	;; [unrolled: 1-line block ×8, first 2 shown]
	s_add_nc_u64 s[8:9], s[2:3], 0x50
	s_mov_b64 s[6:7], s[0:1]
	s_mov_b64 s[34:35], s[2:3]
	s_swap_pc_i64 s[30:31], s[28:29]
	v_mov_b32_e32 v0, v40
	s_mov_b64 s[2:3], s[34:35]
.LBB1966_14:
	s_mov_b32 s4, 0
.LBB1966_15:
	s_delay_alu instid0(SALU_CYCLE_1)
	s_and_not1_b32 vcc_lo, exec_lo, s4
	s_cbranch_vccnz .LBB1966_1190
; %bb.16:
	s_cmp_ge_u32 s49, s50
	s_cbranch_scc1 .LBB1966_1190
; %bb.17:
	v_and_b32_e32 v2, 0x3ff, v0
	v_dual_mov_b32 v5, 0 :: v_dual_bitop2_b32 v1, 3, v0 bitop3:0x40
	v_lshrrev_b32_e32 v8, 3, v0
	v_bfe_u32 v89, v0, 20, 10
	s_delay_alu instid0(VALU_DEP_4) | instskip(NEXT) | instid1(VALU_DEP_4)
	v_dual_lshlrev_b32 v3, 2, v2 :: v_dual_lshlrev_b32 v4, 1, v2
	v_dual_lshlrev_b32 v83, 2, v1 :: v_dual_bitop2_b32 v1, 31, v2 bitop3:0x54
	s_delay_alu instid0(VALU_DEP_4) | instskip(NEXT) | instid1(VALU_DEP_3)
	v_dual_lshlrev_b32 v8, 4, v2 :: v_dual_bitop2_b32 v84, 28, v8 bitop3:0x40
	v_mad_u32_u24 v85, v2, 12, v3
	v_bfe_u32 v90, v0, 10, 10
	v_lshlrev_b32_e32 v0, 5, v2
	v_mbcnt_lo_u32_b32 v95, -1, 0
	v_and_b32_e32 v22, 0xe00, v8
	v_mad_u32_u24 v91, v2, 20, v85
	v_dual_mov_b32 v19, v5 :: v_dual_add_nc_u32 v88, 0x83fc, v84
	s_delay_alu instid0(VALU_DEP_3)
	v_dual_mov_b32 v21, v5 :: v_dual_lshlrev_b32 v18, 3, v22
	v_lshlrev_b32_e32 v20, 1, v22
	s_bfe_u32 s6, ttmp6, 0x40010
	v_sub_nc_u32_e32 v92, v91, v0
	v_dual_lshlrev_b32 v22, 1, v95 :: v_dual_bitop2_b32 v100, v95, v22 bitop3:0x54
	s_add_co_i32 s6, s6, 1
	v_add_nc_u64_e32 v[6:7], s[40:41], v[4:5]
	v_cmp_eq_u32_e64 s1, v2, v1
	s_mul_i32 s6, ttmp7, s6
	s_bfe_u32 s7, ttmp6, 0x40004
	v_add_nc_u64_e32 v[0:1], s[46:47], v[18:19]
	v_add_nc_u64_e32 v[8:9], s[40:41], v[20:21]
	;; [unrolled: 1-line block ×8, first 2 shown]
	v_or_b32_e32 v68, 0x100, v2
	v_or_b32_e32 v69, 0x200, v2
	;; [unrolled: 1-line block ×15, first 2 shown]
	v_cmp_gt_u32_e64 s0, 0x100, v2
	v_or_b32_e32 v86, 0x8400, v84
	v_cmp_gt_u32_e64 s4, 8, v2
	v_dual_mov_b32 v96, 1 :: v_dual_add_nc_u32 v87, 0x8400, v3
	v_cmp_lt_u32_e64 s5, 31, v2
	s_add_nc_u64 s[34:35], s[2:3], 0x50
	s_add_co_i32 s7, s7, s6
	v_cmp_eq_u32_e64 s2, 0, v2
	v_cmp_ne_u32_e64 s3, 0xff, v2
	v_dual_sub_nc_u32 v93, v92, v4 :: v_dual_bitop2_b32 v97, 15, v95 bitop3:0x40
	v_mul_u32_u24_e32 v94, 6, v2
	v_bfe_i32 v98, v95, 4, 1
	v_dual_lshlrev_b32 v4, 3, v95 :: v_dual_bitop2_b32 v99, 16, v95 bitop3:0x40
	v_and_b32_e32 v101, 7, v95
	v_sub_co_u32 v102, s6, v95, 1
	v_or_b32_e32 v103, 32, v100
	v_or_b32_e32 v104, 64, v100
	;; [unrolled: 1-line block ×15, first 2 shown]
	v_add_nc_u32_e32 v118, 0x420, v91
	v_add_nc_u32_e32 v119, 0x428, v91
	;; [unrolled: 1-line block ×4, first 2 shown]
	s_cmp_eq_u32 s27, 0
	s_mov_b32 s43, 0
	s_cselect_b32 s31, ttmp7, s7
	s_mov_b32 s48, s49
	s_branch .LBB1966_20
.LBB1966_18:                            ;   in Loop: Header=BB1966_20 Depth=1
	s_wait_dscnt 0x0
	s_barrier_signal -1
	s_barrier_wait -1
.LBB1966_19:                            ;   in Loop: Header=BB1966_20 Depth=1
	s_add_co_i32 s48, s48, 8
	s_delay_alu instid0(SALU_CYCLE_1)
	s_cmp_ge_u32 s48, s50
	s_cbranch_scc1 .LBB1966_1190
.LBB1966_20:                            ; =>This Loop Header: Depth=1
                                        ;     Child Loop BB1966_24 Depth 2
                                        ;     Child Loop BB1966_104 Depth 2
	;; [unrolled: 1-line block ×8, first 2 shown]
	s_sub_co_i32 s7, s50, s48
	s_xor_b32 s55, s55, -1
	s_min_u32 s7, s7, 8
	ds_store_2addr_stride64_b32 v3, v5, v5 offset1:4
	s_lshl_b32 s7, -1, s7
	ds_store_2addr_stride64_b32 v3, v5, v5 offset0:8 offset1:12
	s_not_b32 s52, s7
	s_cmp_lg_u32 s48, s49
	s_mov_b32 s7, -1
	s_wait_storecnt_dscnt 0x0
	s_cbranch_scc0 .LBB1966_606
; %bb.21:                               ;   in Loop: Header=BB1966_20 Depth=1
	s_and_b32 vcc_lo, exec_lo, s55
	s_cbranch_vccz .LBB1966_313
; %bb.22:                               ;   in Loop: Header=BB1966_20 Depth=1
	s_mov_b32 s7, s56
	s_mov_b32 s42, s54
	s_barrier_signal -1
	s_barrier_wait -1
                                        ; implicit-def: $vgpr23
                                        ; implicit-def: $vgpr24
                                        ; implicit-def: $vgpr25
                                        ; implicit-def: $vgpr26
                                        ; implicit-def: $vgpr27
                                        ; implicit-def: $vgpr28
                                        ; implicit-def: $vgpr29
                                        ; implicit-def: $vgpr30
                                        ; implicit-def: $vgpr31
                                        ; implicit-def: $vgpr32
                                        ; implicit-def: $vgpr33
                                        ; implicit-def: $vgpr34
                                        ; implicit-def: $vgpr35
                                        ; implicit-def: $vgpr36
                                        ; implicit-def: $vgpr37
                                        ; implicit-def: $vgpr38
	s_branch .LBB1966_24
.LBB1966_23:                            ;   in Loop: Header=BB1966_24 Depth=2
	s_or_b32 exec_lo, exec_lo, s8
	s_addk_co_i32 s7, 0xf000
	s_cmp_ge_u32 s10, s51
	s_mov_b32 s42, s10
	s_cbranch_scc1 .LBB1966_92
.LBB1966_24:                            ;   Parent Loop BB1966_20 Depth=1
                                        ; =>  This Inner Loop Header: Depth=2
	s_add_co_i32 s10, s42, 0x1000
	s_mov_b32 s8, -1
	s_cmp_gt_u32 s10, s51
                                        ; implicit-def: $vgpr39
                                        ; implicit-def: $vgpr40
                                        ; implicit-def: $vgpr41
                                        ; implicit-def: $vgpr42
                                        ; implicit-def: $vgpr43
                                        ; implicit-def: $vgpr44
                                        ; implicit-def: $vgpr45
                                        ; implicit-def: $vgpr46
                                        ; implicit-def: $vgpr47
                                        ; implicit-def: $vgpr48
                                        ; implicit-def: $vgpr49
                                        ; implicit-def: $vgpr50
                                        ; implicit-def: $vgpr51
                                        ; implicit-def: $vgpr52
                                        ; implicit-def: $vgpr53
                                        ; implicit-def: $vgpr54
	s_cbranch_scc1 .LBB1966_26
; %bb.25:                               ;   in Loop: Header=BB1966_24 Depth=2
	v_lshl_add_u64 v[54:55], s[42:43], 1, v[6:7]
	s_mov_b32 s8, 0
	s_clause 0xf
	global_load_u16 v39, v[54:55], off
	global_load_u16 v40, v[54:55], off offset:512
	global_load_u16 v41, v[54:55], off offset:1024
	;; [unrolled: 1-line block ×15, first 2 shown]
.LBB1966_26:                            ;   in Loop: Header=BB1966_24 Depth=2
	s_and_not1_b32 vcc_lo, exec_lo, s8
	s_movk_i32 s8, 0x1000
	s_cbranch_vccnz .LBB1966_45
; %bb.27:                               ;   in Loop: Header=BB1966_24 Depth=2
	s_lshl_b64 s[8:9], s[42:43], 1
	s_mov_b32 s11, exec_lo
	s_add_nc_u64 s[8:9], s[40:41], s[8:9]
	s_wait_xcnt 0x0
	v_cmpx_gt_u32_e64 s7, v2
	s_cbranch_execnz .LBB1966_77
; %bb.28:                               ;   in Loop: Header=BB1966_24 Depth=2
	s_or_b32 exec_lo, exec_lo, s11
	s_delay_alu instid0(SALU_CYCLE_1)
	s_mov_b32 s11, exec_lo
	v_cmpx_gt_u32_e64 s7, v68
	s_cbranch_execnz .LBB1966_78
.LBB1966_29:                            ;   in Loop: Header=BB1966_24 Depth=2
	s_or_b32 exec_lo, exec_lo, s11
	s_delay_alu instid0(SALU_CYCLE_1)
	s_mov_b32 s11, exec_lo
	v_cmpx_gt_u32_e64 s7, v69
	s_cbranch_execnz .LBB1966_79
.LBB1966_30:                            ;   in Loop: Header=BB1966_24 Depth=2
	s_or_b32 exec_lo, exec_lo, s11
	s_delay_alu instid0(SALU_CYCLE_1)
	s_mov_b32 s11, exec_lo
	v_cmpx_gt_u32_e64 s7, v70
	s_cbranch_execnz .LBB1966_80
.LBB1966_31:                            ;   in Loop: Header=BB1966_24 Depth=2
	s_or_b32 exec_lo, exec_lo, s11
	s_delay_alu instid0(SALU_CYCLE_1)
	s_mov_b32 s11, exec_lo
	v_cmpx_gt_u32_e64 s7, v71
	s_cbranch_execnz .LBB1966_81
.LBB1966_32:                            ;   in Loop: Header=BB1966_24 Depth=2
	s_or_b32 exec_lo, exec_lo, s11
	s_delay_alu instid0(SALU_CYCLE_1)
	s_mov_b32 s11, exec_lo
	v_cmpx_gt_u32_e64 s7, v72
	s_cbranch_execnz .LBB1966_82
.LBB1966_33:                            ;   in Loop: Header=BB1966_24 Depth=2
	s_or_b32 exec_lo, exec_lo, s11
	s_delay_alu instid0(SALU_CYCLE_1)
	s_mov_b32 s11, exec_lo
	v_cmpx_gt_u32_e64 s7, v73
	s_cbranch_execnz .LBB1966_83
.LBB1966_34:                            ;   in Loop: Header=BB1966_24 Depth=2
	s_or_b32 exec_lo, exec_lo, s11
	s_delay_alu instid0(SALU_CYCLE_1)
	s_mov_b32 s11, exec_lo
	v_cmpx_gt_u32_e64 s7, v74
	s_cbranch_execnz .LBB1966_84
.LBB1966_35:                            ;   in Loop: Header=BB1966_24 Depth=2
	s_or_b32 exec_lo, exec_lo, s11
	s_delay_alu instid0(SALU_CYCLE_1)
	s_mov_b32 s11, exec_lo
	v_cmpx_gt_u32_e64 s7, v75
	s_cbranch_execnz .LBB1966_85
.LBB1966_36:                            ;   in Loop: Header=BB1966_24 Depth=2
	s_or_b32 exec_lo, exec_lo, s11
	s_delay_alu instid0(SALU_CYCLE_1)
	s_mov_b32 s11, exec_lo
	v_cmpx_gt_u32_e64 s7, v76
	s_cbranch_execnz .LBB1966_86
.LBB1966_37:                            ;   in Loop: Header=BB1966_24 Depth=2
	s_or_b32 exec_lo, exec_lo, s11
	s_delay_alu instid0(SALU_CYCLE_1)
	s_mov_b32 s11, exec_lo
	v_cmpx_gt_u32_e64 s7, v77
	s_cbranch_execnz .LBB1966_87
.LBB1966_38:                            ;   in Loop: Header=BB1966_24 Depth=2
	s_or_b32 exec_lo, exec_lo, s11
	s_delay_alu instid0(SALU_CYCLE_1)
	s_mov_b32 s11, exec_lo
	v_cmpx_gt_u32_e64 s7, v78
	s_cbranch_execnz .LBB1966_88
.LBB1966_39:                            ;   in Loop: Header=BB1966_24 Depth=2
	s_or_b32 exec_lo, exec_lo, s11
	s_delay_alu instid0(SALU_CYCLE_1)
	s_mov_b32 s11, exec_lo
	v_cmpx_gt_u32_e64 s7, v79
	s_cbranch_execnz .LBB1966_89
.LBB1966_40:                            ;   in Loop: Header=BB1966_24 Depth=2
	s_or_b32 exec_lo, exec_lo, s11
	s_delay_alu instid0(SALU_CYCLE_1)
	s_mov_b32 s11, exec_lo
	v_cmpx_gt_u32_e64 s7, v80
	s_cbranch_execnz .LBB1966_90
.LBB1966_41:                            ;   in Loop: Header=BB1966_24 Depth=2
	s_or_b32 exec_lo, exec_lo, s11
	s_delay_alu instid0(SALU_CYCLE_1)
	s_mov_b32 s11, exec_lo
	v_cmpx_gt_u32_e64 s7, v81
	s_cbranch_execnz .LBB1966_91
.LBB1966_42:                            ;   in Loop: Header=BB1966_24 Depth=2
	s_or_b32 exec_lo, exec_lo, s11
	s_delay_alu instid0(SALU_CYCLE_1)
	s_mov_b32 s11, exec_lo
	v_cmpx_gt_u32_e64 s7, v82
	s_cbranch_execz .LBB1966_44
.LBB1966_43:                            ;   in Loop: Header=BB1966_24 Depth=2
	global_load_u16 v23, v2, s[8:9] offset:7680 scale_offset
.LBB1966_44:                            ;   in Loop: Header=BB1966_24 Depth=2
	s_wait_xcnt 0x0
	s_or_b32 exec_lo, exec_lo, s11
	s_wait_loadcnt 0x0
	v_dual_mov_b32 v39, v38 :: v_dual_mov_b32 v40, v37
	v_dual_mov_b32 v41, v36 :: v_dual_mov_b32 v42, v35
	;; [unrolled: 1-line block ×8, first 2 shown]
	s_mov_b32 s8, s7
.LBB1966_45:                            ;   in Loop: Header=BB1966_24 Depth=2
	s_wait_loadcnt 0x0
	s_delay_alu instid0(VALU_DEP_1)
	v_dual_mov_b32 v23, v54 :: v_dual_mov_b32 v24, v53
	v_dual_mov_b32 v25, v52 :: v_dual_mov_b32 v26, v51
	;; [unrolled: 1-line block ×8, first 2 shown]
	s_mov_b32 s9, exec_lo
	s_wait_xcnt 0x0
	v_cmpx_gt_u32_e64 s8, v2
	s_cbranch_execnz .LBB1966_61
; %bb.46:                               ;   in Loop: Header=BB1966_24 Depth=2
	s_or_b32 exec_lo, exec_lo, s9
	s_delay_alu instid0(SALU_CYCLE_1)
	s_mov_b32 s9, exec_lo
	v_cmpx_gt_u32_e64 s8, v68
	s_cbranch_execnz .LBB1966_62
.LBB1966_47:                            ;   in Loop: Header=BB1966_24 Depth=2
	s_or_b32 exec_lo, exec_lo, s9
	s_delay_alu instid0(SALU_CYCLE_1)
	s_mov_b32 s9, exec_lo
	v_cmpx_gt_u32_e64 s8, v69
	s_cbranch_execnz .LBB1966_63
.LBB1966_48:                            ;   in Loop: Header=BB1966_24 Depth=2
	s_or_b32 exec_lo, exec_lo, s9
	s_delay_alu instid0(SALU_CYCLE_1)
	s_mov_b32 s9, exec_lo
	v_cmpx_gt_u32_e64 s8, v70
	s_cbranch_execnz .LBB1966_64
.LBB1966_49:                            ;   in Loop: Header=BB1966_24 Depth=2
	s_or_b32 exec_lo, exec_lo, s9
	s_delay_alu instid0(SALU_CYCLE_1)
	s_mov_b32 s9, exec_lo
	v_cmpx_gt_u32_e64 s8, v71
	s_cbranch_execnz .LBB1966_65
.LBB1966_50:                            ;   in Loop: Header=BB1966_24 Depth=2
	s_or_b32 exec_lo, exec_lo, s9
	s_delay_alu instid0(SALU_CYCLE_1)
	s_mov_b32 s9, exec_lo
	v_cmpx_gt_u32_e64 s8, v72
	s_cbranch_execnz .LBB1966_66
.LBB1966_51:                            ;   in Loop: Header=BB1966_24 Depth=2
	s_or_b32 exec_lo, exec_lo, s9
	s_delay_alu instid0(SALU_CYCLE_1)
	s_mov_b32 s9, exec_lo
	v_cmpx_gt_u32_e64 s8, v73
	s_cbranch_execnz .LBB1966_67
.LBB1966_52:                            ;   in Loop: Header=BB1966_24 Depth=2
	s_or_b32 exec_lo, exec_lo, s9
	s_delay_alu instid0(SALU_CYCLE_1)
	s_mov_b32 s9, exec_lo
	v_cmpx_gt_u32_e64 s8, v74
	s_cbranch_execnz .LBB1966_68
.LBB1966_53:                            ;   in Loop: Header=BB1966_24 Depth=2
	s_or_b32 exec_lo, exec_lo, s9
	s_delay_alu instid0(SALU_CYCLE_1)
	s_mov_b32 s9, exec_lo
	v_cmpx_gt_u32_e64 s8, v75
	s_cbranch_execnz .LBB1966_69
.LBB1966_54:                            ;   in Loop: Header=BB1966_24 Depth=2
	s_or_b32 exec_lo, exec_lo, s9
	s_delay_alu instid0(SALU_CYCLE_1)
	s_mov_b32 s9, exec_lo
	v_cmpx_gt_u32_e64 s8, v76
	s_cbranch_execnz .LBB1966_70
.LBB1966_55:                            ;   in Loop: Header=BB1966_24 Depth=2
	s_or_b32 exec_lo, exec_lo, s9
	s_delay_alu instid0(SALU_CYCLE_1)
	s_mov_b32 s9, exec_lo
	v_cmpx_gt_u32_e64 s8, v77
	s_cbranch_execnz .LBB1966_71
.LBB1966_56:                            ;   in Loop: Header=BB1966_24 Depth=2
	s_or_b32 exec_lo, exec_lo, s9
	s_delay_alu instid0(SALU_CYCLE_1)
	s_mov_b32 s9, exec_lo
	v_cmpx_gt_u32_e64 s8, v78
	s_cbranch_execnz .LBB1966_72
.LBB1966_57:                            ;   in Loop: Header=BB1966_24 Depth=2
	s_or_b32 exec_lo, exec_lo, s9
	s_delay_alu instid0(SALU_CYCLE_1)
	s_mov_b32 s9, exec_lo
	v_cmpx_gt_u32_e64 s8, v79
	s_cbranch_execnz .LBB1966_73
.LBB1966_58:                            ;   in Loop: Header=BB1966_24 Depth=2
	s_or_b32 exec_lo, exec_lo, s9
	s_delay_alu instid0(SALU_CYCLE_1)
	s_mov_b32 s9, exec_lo
	v_cmpx_gt_u32_e64 s8, v80
	s_cbranch_execnz .LBB1966_74
.LBB1966_59:                            ;   in Loop: Header=BB1966_24 Depth=2
	s_or_b32 exec_lo, exec_lo, s9
	s_delay_alu instid0(SALU_CYCLE_1)
	s_mov_b32 s9, exec_lo
	v_cmpx_gt_u32_e64 s8, v81
	s_cbranch_execnz .LBB1966_75
.LBB1966_60:                            ;   in Loop: Header=BB1966_24 Depth=2
	s_or_b32 exec_lo, exec_lo, s9
	v_cmp_gt_u32_e32 vcc_lo, s8, v82
	s_and_saveexec_b32 s8, vcc_lo
	s_cbranch_execz .LBB1966_23
	s_branch .LBB1966_76
.LBB1966_61:                            ;   in Loop: Header=BB1966_24 Depth=2
	v_cmp_gt_i16_e32 vcc_lo, 0, v38
	v_cndmask_b32_e64 v39, 0x7fff, 0, vcc_lo
	s_delay_alu instid0(VALU_DEP_1) | instskip(NEXT) | instid1(VALU_DEP_1)
	v_xor_b32_e32 v39, v39, v38
	v_cmp_ne_u16_e32 vcc_lo, 0x8000, v39
	v_cndmask_b32_e32 v39, 0x7fff, v39, vcc_lo
	s_delay_alu instid0(VALU_DEP_1) | instskip(NEXT) | instid1(VALU_DEP_1)
	v_and_b32_e32 v39, 0xffff, v39
	v_lshrrev_b32_e32 v39, s48, v39
	s_delay_alu instid0(VALU_DEP_1) | instskip(NEXT) | instid1(VALU_DEP_1)
	v_and_b32_e32 v39, s52, v39
	v_lshl_or_b32 v39, v39, 4, v83
	ds_add_u32 v39, v96
	s_or_b32 exec_lo, exec_lo, s9
	s_delay_alu instid0(SALU_CYCLE_1)
	s_mov_b32 s9, exec_lo
	v_cmpx_gt_u32_e64 s8, v68
	s_cbranch_execz .LBB1966_47
.LBB1966_62:                            ;   in Loop: Header=BB1966_24 Depth=2
	v_cmp_gt_i16_e32 vcc_lo, 0, v37
	v_cndmask_b32_e64 v39, 0x7fff, 0, vcc_lo
	s_delay_alu instid0(VALU_DEP_1) | instskip(NEXT) | instid1(VALU_DEP_1)
	v_xor_b32_e32 v39, v39, v37
	v_cmp_ne_u16_e32 vcc_lo, 0x8000, v39
	v_cndmask_b32_e32 v39, 0x7fff, v39, vcc_lo
	s_delay_alu instid0(VALU_DEP_1) | instskip(NEXT) | instid1(VALU_DEP_1)
	v_and_b32_e32 v39, 0xffff, v39
	v_lshrrev_b32_e32 v39, s48, v39
	s_delay_alu instid0(VALU_DEP_1) | instskip(NEXT) | instid1(VALU_DEP_1)
	v_and_b32_e32 v39, s52, v39
	v_lshl_or_b32 v39, v39, 4, v83
	ds_add_u32 v39, v96
	s_or_b32 exec_lo, exec_lo, s9
	s_delay_alu instid0(SALU_CYCLE_1)
	s_mov_b32 s9, exec_lo
	v_cmpx_gt_u32_e64 s8, v69
	s_cbranch_execz .LBB1966_48
.LBB1966_63:                            ;   in Loop: Header=BB1966_24 Depth=2
	v_cmp_gt_i16_e32 vcc_lo, 0, v36
	v_cndmask_b32_e64 v39, 0x7fff, 0, vcc_lo
	s_delay_alu instid0(VALU_DEP_1) | instskip(NEXT) | instid1(VALU_DEP_1)
	v_xor_b32_e32 v39, v39, v36
	v_cmp_ne_u16_e32 vcc_lo, 0x8000, v39
	v_cndmask_b32_e32 v39, 0x7fff, v39, vcc_lo
	s_delay_alu instid0(VALU_DEP_1) | instskip(NEXT) | instid1(VALU_DEP_1)
	v_and_b32_e32 v39, 0xffff, v39
	v_lshrrev_b32_e32 v39, s48, v39
	s_delay_alu instid0(VALU_DEP_1) | instskip(NEXT) | instid1(VALU_DEP_1)
	v_and_b32_e32 v39, s52, v39
	v_lshl_or_b32 v39, v39, 4, v83
	ds_add_u32 v39, v96
	s_or_b32 exec_lo, exec_lo, s9
	s_delay_alu instid0(SALU_CYCLE_1)
	s_mov_b32 s9, exec_lo
	v_cmpx_gt_u32_e64 s8, v70
	s_cbranch_execz .LBB1966_49
.LBB1966_64:                            ;   in Loop: Header=BB1966_24 Depth=2
	v_cmp_gt_i16_e32 vcc_lo, 0, v35
	v_cndmask_b32_e64 v39, 0x7fff, 0, vcc_lo
	s_delay_alu instid0(VALU_DEP_1) | instskip(NEXT) | instid1(VALU_DEP_1)
	v_xor_b32_e32 v39, v39, v35
	v_cmp_ne_u16_e32 vcc_lo, 0x8000, v39
	v_cndmask_b32_e32 v39, 0x7fff, v39, vcc_lo
	s_delay_alu instid0(VALU_DEP_1) | instskip(NEXT) | instid1(VALU_DEP_1)
	v_and_b32_e32 v39, 0xffff, v39
	v_lshrrev_b32_e32 v39, s48, v39
	s_delay_alu instid0(VALU_DEP_1) | instskip(NEXT) | instid1(VALU_DEP_1)
	v_and_b32_e32 v39, s52, v39
	v_lshl_or_b32 v39, v39, 4, v83
	ds_add_u32 v39, v96
	s_or_b32 exec_lo, exec_lo, s9
	s_delay_alu instid0(SALU_CYCLE_1)
	s_mov_b32 s9, exec_lo
	v_cmpx_gt_u32_e64 s8, v71
	s_cbranch_execz .LBB1966_50
.LBB1966_65:                            ;   in Loop: Header=BB1966_24 Depth=2
	v_cmp_gt_i16_e32 vcc_lo, 0, v34
	v_cndmask_b32_e64 v39, 0x7fff, 0, vcc_lo
	s_delay_alu instid0(VALU_DEP_1) | instskip(NEXT) | instid1(VALU_DEP_1)
	v_xor_b32_e32 v39, v39, v34
	v_cmp_ne_u16_e32 vcc_lo, 0x8000, v39
	v_cndmask_b32_e32 v39, 0x7fff, v39, vcc_lo
	s_delay_alu instid0(VALU_DEP_1) | instskip(NEXT) | instid1(VALU_DEP_1)
	v_and_b32_e32 v39, 0xffff, v39
	v_lshrrev_b32_e32 v39, s48, v39
	s_delay_alu instid0(VALU_DEP_1) | instskip(NEXT) | instid1(VALU_DEP_1)
	v_and_b32_e32 v39, s52, v39
	v_lshl_or_b32 v39, v39, 4, v83
	ds_add_u32 v39, v96
	s_or_b32 exec_lo, exec_lo, s9
	s_delay_alu instid0(SALU_CYCLE_1)
	s_mov_b32 s9, exec_lo
	v_cmpx_gt_u32_e64 s8, v72
	s_cbranch_execz .LBB1966_51
.LBB1966_66:                            ;   in Loop: Header=BB1966_24 Depth=2
	v_cmp_gt_i16_e32 vcc_lo, 0, v33
	v_cndmask_b32_e64 v39, 0x7fff, 0, vcc_lo
	s_delay_alu instid0(VALU_DEP_1) | instskip(NEXT) | instid1(VALU_DEP_1)
	v_xor_b32_e32 v39, v39, v33
	v_cmp_ne_u16_e32 vcc_lo, 0x8000, v39
	v_cndmask_b32_e32 v39, 0x7fff, v39, vcc_lo
	s_delay_alu instid0(VALU_DEP_1) | instskip(NEXT) | instid1(VALU_DEP_1)
	v_and_b32_e32 v39, 0xffff, v39
	v_lshrrev_b32_e32 v39, s48, v39
	s_delay_alu instid0(VALU_DEP_1) | instskip(NEXT) | instid1(VALU_DEP_1)
	v_and_b32_e32 v39, s52, v39
	v_lshl_or_b32 v39, v39, 4, v83
	ds_add_u32 v39, v96
	s_or_b32 exec_lo, exec_lo, s9
	s_delay_alu instid0(SALU_CYCLE_1)
	s_mov_b32 s9, exec_lo
	v_cmpx_gt_u32_e64 s8, v73
	s_cbranch_execz .LBB1966_52
.LBB1966_67:                            ;   in Loop: Header=BB1966_24 Depth=2
	v_cmp_gt_i16_e32 vcc_lo, 0, v32
	v_cndmask_b32_e64 v39, 0x7fff, 0, vcc_lo
	s_delay_alu instid0(VALU_DEP_1) | instskip(NEXT) | instid1(VALU_DEP_1)
	v_xor_b32_e32 v39, v39, v32
	v_cmp_ne_u16_e32 vcc_lo, 0x8000, v39
	v_cndmask_b32_e32 v39, 0x7fff, v39, vcc_lo
	s_delay_alu instid0(VALU_DEP_1) | instskip(NEXT) | instid1(VALU_DEP_1)
	v_and_b32_e32 v39, 0xffff, v39
	v_lshrrev_b32_e32 v39, s48, v39
	s_delay_alu instid0(VALU_DEP_1) | instskip(NEXT) | instid1(VALU_DEP_1)
	v_and_b32_e32 v39, s52, v39
	v_lshl_or_b32 v39, v39, 4, v83
	ds_add_u32 v39, v96
	s_or_b32 exec_lo, exec_lo, s9
	s_delay_alu instid0(SALU_CYCLE_1)
	s_mov_b32 s9, exec_lo
	v_cmpx_gt_u32_e64 s8, v74
	s_cbranch_execz .LBB1966_53
.LBB1966_68:                            ;   in Loop: Header=BB1966_24 Depth=2
	v_cmp_gt_i16_e32 vcc_lo, 0, v31
	v_cndmask_b32_e64 v39, 0x7fff, 0, vcc_lo
	s_delay_alu instid0(VALU_DEP_1) | instskip(NEXT) | instid1(VALU_DEP_1)
	v_xor_b32_e32 v39, v39, v31
	v_cmp_ne_u16_e32 vcc_lo, 0x8000, v39
	v_cndmask_b32_e32 v39, 0x7fff, v39, vcc_lo
	s_delay_alu instid0(VALU_DEP_1) | instskip(NEXT) | instid1(VALU_DEP_1)
	v_and_b32_e32 v39, 0xffff, v39
	v_lshrrev_b32_e32 v39, s48, v39
	s_delay_alu instid0(VALU_DEP_1) | instskip(NEXT) | instid1(VALU_DEP_1)
	v_and_b32_e32 v39, s52, v39
	v_lshl_or_b32 v39, v39, 4, v83
	ds_add_u32 v39, v96
	s_or_b32 exec_lo, exec_lo, s9
	s_delay_alu instid0(SALU_CYCLE_1)
	s_mov_b32 s9, exec_lo
	v_cmpx_gt_u32_e64 s8, v75
	s_cbranch_execz .LBB1966_54
.LBB1966_69:                            ;   in Loop: Header=BB1966_24 Depth=2
	v_cmp_gt_i16_e32 vcc_lo, 0, v30
	v_cndmask_b32_e64 v39, 0x7fff, 0, vcc_lo
	s_delay_alu instid0(VALU_DEP_1) | instskip(NEXT) | instid1(VALU_DEP_1)
	v_xor_b32_e32 v39, v39, v30
	v_cmp_ne_u16_e32 vcc_lo, 0x8000, v39
	v_cndmask_b32_e32 v39, 0x7fff, v39, vcc_lo
	s_delay_alu instid0(VALU_DEP_1) | instskip(NEXT) | instid1(VALU_DEP_1)
	v_and_b32_e32 v39, 0xffff, v39
	v_lshrrev_b32_e32 v39, s48, v39
	s_delay_alu instid0(VALU_DEP_1) | instskip(NEXT) | instid1(VALU_DEP_1)
	v_and_b32_e32 v39, s52, v39
	v_lshl_or_b32 v39, v39, 4, v83
	ds_add_u32 v39, v96
	s_or_b32 exec_lo, exec_lo, s9
	s_delay_alu instid0(SALU_CYCLE_1)
	s_mov_b32 s9, exec_lo
	v_cmpx_gt_u32_e64 s8, v76
	s_cbranch_execz .LBB1966_55
.LBB1966_70:                            ;   in Loop: Header=BB1966_24 Depth=2
	v_cmp_gt_i16_e32 vcc_lo, 0, v29
	v_cndmask_b32_e64 v39, 0x7fff, 0, vcc_lo
	s_delay_alu instid0(VALU_DEP_1) | instskip(NEXT) | instid1(VALU_DEP_1)
	v_xor_b32_e32 v39, v39, v29
	v_cmp_ne_u16_e32 vcc_lo, 0x8000, v39
	v_cndmask_b32_e32 v39, 0x7fff, v39, vcc_lo
	s_delay_alu instid0(VALU_DEP_1) | instskip(NEXT) | instid1(VALU_DEP_1)
	v_and_b32_e32 v39, 0xffff, v39
	v_lshrrev_b32_e32 v39, s48, v39
	s_delay_alu instid0(VALU_DEP_1) | instskip(NEXT) | instid1(VALU_DEP_1)
	v_and_b32_e32 v39, s52, v39
	v_lshl_or_b32 v39, v39, 4, v83
	ds_add_u32 v39, v96
	s_or_b32 exec_lo, exec_lo, s9
	s_delay_alu instid0(SALU_CYCLE_1)
	s_mov_b32 s9, exec_lo
	v_cmpx_gt_u32_e64 s8, v77
	s_cbranch_execz .LBB1966_56
.LBB1966_71:                            ;   in Loop: Header=BB1966_24 Depth=2
	v_cmp_gt_i16_e32 vcc_lo, 0, v28
	v_cndmask_b32_e64 v39, 0x7fff, 0, vcc_lo
	s_delay_alu instid0(VALU_DEP_1) | instskip(NEXT) | instid1(VALU_DEP_1)
	v_xor_b32_e32 v39, v39, v28
	v_cmp_ne_u16_e32 vcc_lo, 0x8000, v39
	v_cndmask_b32_e32 v39, 0x7fff, v39, vcc_lo
	s_delay_alu instid0(VALU_DEP_1) | instskip(NEXT) | instid1(VALU_DEP_1)
	v_and_b32_e32 v39, 0xffff, v39
	v_lshrrev_b32_e32 v39, s48, v39
	s_delay_alu instid0(VALU_DEP_1) | instskip(NEXT) | instid1(VALU_DEP_1)
	v_and_b32_e32 v39, s52, v39
	v_lshl_or_b32 v39, v39, 4, v83
	ds_add_u32 v39, v96
	s_or_b32 exec_lo, exec_lo, s9
	s_delay_alu instid0(SALU_CYCLE_1)
	s_mov_b32 s9, exec_lo
	v_cmpx_gt_u32_e64 s8, v78
	s_cbranch_execz .LBB1966_57
.LBB1966_72:                            ;   in Loop: Header=BB1966_24 Depth=2
	v_cmp_gt_i16_e32 vcc_lo, 0, v27
	v_cndmask_b32_e64 v39, 0x7fff, 0, vcc_lo
	s_delay_alu instid0(VALU_DEP_1) | instskip(NEXT) | instid1(VALU_DEP_1)
	v_xor_b32_e32 v39, v39, v27
	v_cmp_ne_u16_e32 vcc_lo, 0x8000, v39
	v_cndmask_b32_e32 v39, 0x7fff, v39, vcc_lo
	s_delay_alu instid0(VALU_DEP_1) | instskip(NEXT) | instid1(VALU_DEP_1)
	v_and_b32_e32 v39, 0xffff, v39
	v_lshrrev_b32_e32 v39, s48, v39
	s_delay_alu instid0(VALU_DEP_1) | instskip(NEXT) | instid1(VALU_DEP_1)
	v_and_b32_e32 v39, s52, v39
	v_lshl_or_b32 v39, v39, 4, v83
	ds_add_u32 v39, v96
	s_or_b32 exec_lo, exec_lo, s9
	s_delay_alu instid0(SALU_CYCLE_1)
	s_mov_b32 s9, exec_lo
	v_cmpx_gt_u32_e64 s8, v79
	s_cbranch_execz .LBB1966_58
.LBB1966_73:                            ;   in Loop: Header=BB1966_24 Depth=2
	v_cmp_gt_i16_e32 vcc_lo, 0, v26
	v_cndmask_b32_e64 v39, 0x7fff, 0, vcc_lo
	s_delay_alu instid0(VALU_DEP_1) | instskip(NEXT) | instid1(VALU_DEP_1)
	v_xor_b32_e32 v39, v39, v26
	v_cmp_ne_u16_e32 vcc_lo, 0x8000, v39
	v_cndmask_b32_e32 v39, 0x7fff, v39, vcc_lo
	s_delay_alu instid0(VALU_DEP_1) | instskip(NEXT) | instid1(VALU_DEP_1)
	v_and_b32_e32 v39, 0xffff, v39
	v_lshrrev_b32_e32 v39, s48, v39
	s_delay_alu instid0(VALU_DEP_1) | instskip(NEXT) | instid1(VALU_DEP_1)
	v_and_b32_e32 v39, s52, v39
	v_lshl_or_b32 v39, v39, 4, v83
	ds_add_u32 v39, v96
	s_or_b32 exec_lo, exec_lo, s9
	s_delay_alu instid0(SALU_CYCLE_1)
	s_mov_b32 s9, exec_lo
	v_cmpx_gt_u32_e64 s8, v80
	s_cbranch_execz .LBB1966_59
.LBB1966_74:                            ;   in Loop: Header=BB1966_24 Depth=2
	v_cmp_gt_i16_e32 vcc_lo, 0, v25
	v_cndmask_b32_e64 v39, 0x7fff, 0, vcc_lo
	s_delay_alu instid0(VALU_DEP_1) | instskip(NEXT) | instid1(VALU_DEP_1)
	v_xor_b32_e32 v39, v39, v25
	v_cmp_ne_u16_e32 vcc_lo, 0x8000, v39
	v_cndmask_b32_e32 v39, 0x7fff, v39, vcc_lo
	s_delay_alu instid0(VALU_DEP_1) | instskip(NEXT) | instid1(VALU_DEP_1)
	v_and_b32_e32 v39, 0xffff, v39
	v_lshrrev_b32_e32 v39, s48, v39
	s_delay_alu instid0(VALU_DEP_1) | instskip(NEXT) | instid1(VALU_DEP_1)
	v_and_b32_e32 v39, s52, v39
	v_lshl_or_b32 v39, v39, 4, v83
	ds_add_u32 v39, v96
	s_or_b32 exec_lo, exec_lo, s9
	s_delay_alu instid0(SALU_CYCLE_1)
	s_mov_b32 s9, exec_lo
	v_cmpx_gt_u32_e64 s8, v81
	s_cbranch_execz .LBB1966_60
.LBB1966_75:                            ;   in Loop: Header=BB1966_24 Depth=2
	v_cmp_gt_i16_e32 vcc_lo, 0, v24
	v_cndmask_b32_e64 v39, 0x7fff, 0, vcc_lo
	s_delay_alu instid0(VALU_DEP_1) | instskip(NEXT) | instid1(VALU_DEP_1)
	v_xor_b32_e32 v39, v39, v24
	v_cmp_ne_u16_e32 vcc_lo, 0x8000, v39
	v_cndmask_b32_e32 v39, 0x7fff, v39, vcc_lo
	s_delay_alu instid0(VALU_DEP_1) | instskip(NEXT) | instid1(VALU_DEP_1)
	v_and_b32_e32 v39, 0xffff, v39
	v_lshrrev_b32_e32 v39, s48, v39
	s_delay_alu instid0(VALU_DEP_1) | instskip(NEXT) | instid1(VALU_DEP_1)
	v_and_b32_e32 v39, s52, v39
	v_lshl_or_b32 v39, v39, 4, v83
	ds_add_u32 v39, v96
	s_or_b32 exec_lo, exec_lo, s9
	v_cmp_gt_u32_e32 vcc_lo, s8, v82
	s_and_saveexec_b32 s8, vcc_lo
	s_cbranch_execz .LBB1966_23
.LBB1966_76:                            ;   in Loop: Header=BB1966_24 Depth=2
	v_cmp_gt_i16_e32 vcc_lo, 0, v23
	v_cndmask_b32_e64 v39, 0x7fff, 0, vcc_lo
	s_delay_alu instid0(VALU_DEP_1) | instskip(NEXT) | instid1(VALU_DEP_1)
	v_xor_b32_e32 v39, v39, v23
	v_cmp_ne_u16_e32 vcc_lo, 0x8000, v39
	v_cndmask_b32_e32 v39, 0x7fff, v39, vcc_lo
	s_delay_alu instid0(VALU_DEP_1) | instskip(NEXT) | instid1(VALU_DEP_1)
	v_and_b32_e32 v39, 0xffff, v39
	v_lshrrev_b32_e32 v39, s48, v39
	s_delay_alu instid0(VALU_DEP_1) | instskip(NEXT) | instid1(VALU_DEP_1)
	v_and_b32_e32 v39, s52, v39
	v_lshl_or_b32 v39, v39, 4, v83
	ds_add_u32 v39, v96
	s_branch .LBB1966_23
.LBB1966_77:                            ;   in Loop: Header=BB1966_24 Depth=2
	global_load_u16 v38, v2, s[8:9] scale_offset
	s_wait_xcnt 0x0
	s_or_b32 exec_lo, exec_lo, s11
	s_delay_alu instid0(SALU_CYCLE_1)
	s_mov_b32 s11, exec_lo
	v_cmpx_gt_u32_e64 s7, v68
	s_cbranch_execz .LBB1966_29
.LBB1966_78:                            ;   in Loop: Header=BB1966_24 Depth=2
	global_load_u16 v37, v2, s[8:9] offset:512 scale_offset
	s_wait_xcnt 0x0
	s_or_b32 exec_lo, exec_lo, s11
	s_delay_alu instid0(SALU_CYCLE_1)
	s_mov_b32 s11, exec_lo
	v_cmpx_gt_u32_e64 s7, v69
	s_cbranch_execz .LBB1966_30
.LBB1966_79:                            ;   in Loop: Header=BB1966_24 Depth=2
	global_load_u16 v36, v2, s[8:9] offset:1024 scale_offset
	s_wait_xcnt 0x0
	s_or_b32 exec_lo, exec_lo, s11
	s_delay_alu instid0(SALU_CYCLE_1)
	s_mov_b32 s11, exec_lo
	v_cmpx_gt_u32_e64 s7, v70
	s_cbranch_execz .LBB1966_31
.LBB1966_80:                            ;   in Loop: Header=BB1966_24 Depth=2
	global_load_u16 v35, v2, s[8:9] offset:1536 scale_offset
	s_wait_xcnt 0x0
	s_or_b32 exec_lo, exec_lo, s11
	s_delay_alu instid0(SALU_CYCLE_1)
	s_mov_b32 s11, exec_lo
	v_cmpx_gt_u32_e64 s7, v71
	s_cbranch_execz .LBB1966_32
.LBB1966_81:                            ;   in Loop: Header=BB1966_24 Depth=2
	global_load_u16 v34, v2, s[8:9] offset:2048 scale_offset
	s_wait_xcnt 0x0
	s_or_b32 exec_lo, exec_lo, s11
	s_delay_alu instid0(SALU_CYCLE_1)
	s_mov_b32 s11, exec_lo
	v_cmpx_gt_u32_e64 s7, v72
	s_cbranch_execz .LBB1966_33
.LBB1966_82:                            ;   in Loop: Header=BB1966_24 Depth=2
	global_load_u16 v33, v2, s[8:9] offset:2560 scale_offset
	s_wait_xcnt 0x0
	s_or_b32 exec_lo, exec_lo, s11
	s_delay_alu instid0(SALU_CYCLE_1)
	s_mov_b32 s11, exec_lo
	v_cmpx_gt_u32_e64 s7, v73
	s_cbranch_execz .LBB1966_34
.LBB1966_83:                            ;   in Loop: Header=BB1966_24 Depth=2
	global_load_u16 v32, v2, s[8:9] offset:3072 scale_offset
	s_wait_xcnt 0x0
	s_or_b32 exec_lo, exec_lo, s11
	s_delay_alu instid0(SALU_CYCLE_1)
	s_mov_b32 s11, exec_lo
	v_cmpx_gt_u32_e64 s7, v74
	s_cbranch_execz .LBB1966_35
.LBB1966_84:                            ;   in Loop: Header=BB1966_24 Depth=2
	global_load_u16 v31, v2, s[8:9] offset:3584 scale_offset
	s_wait_xcnt 0x0
	s_or_b32 exec_lo, exec_lo, s11
	s_delay_alu instid0(SALU_CYCLE_1)
	s_mov_b32 s11, exec_lo
	v_cmpx_gt_u32_e64 s7, v75
	s_cbranch_execz .LBB1966_36
.LBB1966_85:                            ;   in Loop: Header=BB1966_24 Depth=2
	global_load_u16 v30, v2, s[8:9] offset:4096 scale_offset
	s_wait_xcnt 0x0
	s_or_b32 exec_lo, exec_lo, s11
	s_delay_alu instid0(SALU_CYCLE_1)
	s_mov_b32 s11, exec_lo
	v_cmpx_gt_u32_e64 s7, v76
	s_cbranch_execz .LBB1966_37
.LBB1966_86:                            ;   in Loop: Header=BB1966_24 Depth=2
	global_load_u16 v29, v2, s[8:9] offset:4608 scale_offset
	s_wait_xcnt 0x0
	s_or_b32 exec_lo, exec_lo, s11
	s_delay_alu instid0(SALU_CYCLE_1)
	s_mov_b32 s11, exec_lo
	v_cmpx_gt_u32_e64 s7, v77
	s_cbranch_execz .LBB1966_38
.LBB1966_87:                            ;   in Loop: Header=BB1966_24 Depth=2
	global_load_u16 v28, v2, s[8:9] offset:5120 scale_offset
	s_wait_xcnt 0x0
	s_or_b32 exec_lo, exec_lo, s11
	s_delay_alu instid0(SALU_CYCLE_1)
	s_mov_b32 s11, exec_lo
	v_cmpx_gt_u32_e64 s7, v78
	s_cbranch_execz .LBB1966_39
.LBB1966_88:                            ;   in Loop: Header=BB1966_24 Depth=2
	global_load_u16 v27, v2, s[8:9] offset:5632 scale_offset
	s_wait_xcnt 0x0
	s_or_b32 exec_lo, exec_lo, s11
	s_delay_alu instid0(SALU_CYCLE_1)
	s_mov_b32 s11, exec_lo
	v_cmpx_gt_u32_e64 s7, v79
	s_cbranch_execz .LBB1966_40
.LBB1966_89:                            ;   in Loop: Header=BB1966_24 Depth=2
	global_load_u16 v26, v2, s[8:9] offset:6144 scale_offset
	s_wait_xcnt 0x0
	s_or_b32 exec_lo, exec_lo, s11
	s_delay_alu instid0(SALU_CYCLE_1)
	s_mov_b32 s11, exec_lo
	v_cmpx_gt_u32_e64 s7, v80
	s_cbranch_execz .LBB1966_41
.LBB1966_90:                            ;   in Loop: Header=BB1966_24 Depth=2
	global_load_u16 v25, v2, s[8:9] offset:6656 scale_offset
	s_wait_xcnt 0x0
	s_or_b32 exec_lo, exec_lo, s11
	s_delay_alu instid0(SALU_CYCLE_1)
	s_mov_b32 s11, exec_lo
	v_cmpx_gt_u32_e64 s7, v81
	s_cbranch_execz .LBB1966_42
.LBB1966_91:                            ;   in Loop: Header=BB1966_24 Depth=2
	global_load_u16 v24, v2, s[8:9] offset:7168 scale_offset
	s_wait_xcnt 0x0
	s_or_b32 exec_lo, exec_lo, s11
	s_delay_alu instid0(SALU_CYCLE_1)
	s_mov_b32 s11, exec_lo
	v_cmpx_gt_u32_e64 s7, v82
	s_cbranch_execnz .LBB1966_43
	s_branch .LBB1966_44
.LBB1966_92:                            ;   in Loop: Header=BB1966_20 Depth=1
	v_mov_b32_e32 v23, 0
	s_wait_dscnt 0x0
	s_barrier_signal -1
	s_barrier_wait -1
	s_and_saveexec_b32 s7, s0
	s_cbranch_execz .LBB1966_94
; %bb.93:                               ;   in Loop: Header=BB1966_20 Depth=1
	ds_load_2addr_b64 v[24:27], v85 offset1:1
	s_wait_dscnt 0x0
	v_add_nc_u32_e32 v23, v25, v24
	s_delay_alu instid0(VALU_DEP_1)
	v_add3_u32 v23, v23, v26, v27
.LBB1966_94:                            ;   in Loop: Header=BB1966_20 Depth=1
	s_or_b32 exec_lo, exec_lo, s7
	s_delay_alu instid0(VALU_DEP_1)
	v_mov_b32_dpp v24, v23 row_shr:1 row_mask:0xf bank_mask:0xf
	v_cmp_eq_u32_e64 s7, 0, v97
	v_cmp_lt_u32_e64 s8, 1, v97
	v_cmp_lt_u32_e64 s9, 3, v97
	;; [unrolled: 1-line block ×3, first 2 shown]
	v_cmp_eq_u32_e64 s11, 0, v99
	v_cndmask_b32_e64 v24, v24, 0, s7
	s_delay_alu instid0(VALU_DEP_1) | instskip(NEXT) | instid1(VALU_DEP_1)
	v_add_nc_u32_e32 v23, v24, v23
	v_mov_b32_dpp v24, v23 row_shr:2 row_mask:0xf bank_mask:0xf
	s_delay_alu instid0(VALU_DEP_1) | instskip(NEXT) | instid1(VALU_DEP_1)
	v_cndmask_b32_e64 v24, 0, v24, s8
	v_add_nc_u32_e32 v23, v23, v24
	s_delay_alu instid0(VALU_DEP_1) | instskip(NEXT) | instid1(VALU_DEP_1)
	v_mov_b32_dpp v24, v23 row_shr:4 row_mask:0xf bank_mask:0xf
	v_cndmask_b32_e64 v24, 0, v24, s9
	s_delay_alu instid0(VALU_DEP_1) | instskip(NEXT) | instid1(VALU_DEP_1)
	v_add_nc_u32_e32 v23, v23, v24
	v_mov_b32_dpp v24, v23 row_shr:8 row_mask:0xf bank_mask:0xf
	s_delay_alu instid0(VALU_DEP_1) | instskip(NEXT) | instid1(VALU_DEP_1)
	v_cndmask_b32_e64 v24, 0, v24, s10
	v_add_nc_u32_e32 v23, v23, v24
	ds_swizzle_b32 v24, v23 offset:swizzle(BROADCAST,32,15)
	s_wait_dscnt 0x0
	v_and_b32_e32 v24, v98, v24
	s_delay_alu instid0(VALU_DEP_1)
	v_add_nc_u32_e32 v23, v23, v24
	s_and_saveexec_b32 s12, s1
; %bb.95:                               ;   in Loop: Header=BB1966_20 Depth=1
	ds_store_b32 v86, v23
; %bb.96:                               ;   in Loop: Header=BB1966_20 Depth=1
	s_or_b32 exec_lo, exec_lo, s12
	s_wait_dscnt 0x0
	s_barrier_signal -1
	s_barrier_wait -1
	s_and_saveexec_b32 s12, s4
	s_cbranch_execz .LBB1966_98
; %bb.97:                               ;   in Loop: Header=BB1966_20 Depth=1
	ds_load_b32 v24, v87
	v_cmp_ne_u32_e32 vcc_lo, 0, v101
	s_wait_dscnt 0x0
	v_mov_b32_dpp v25, v24 row_shr:1 row_mask:0xf bank_mask:0xf
	s_delay_alu instid0(VALU_DEP_1) | instskip(SKIP_1) | instid1(VALU_DEP_2)
	v_cndmask_b32_e32 v25, 0, v25, vcc_lo
	v_cmp_lt_u32_e32 vcc_lo, 1, v101
	v_add_nc_u32_e32 v24, v25, v24
	s_delay_alu instid0(VALU_DEP_1) | instskip(NEXT) | instid1(VALU_DEP_1)
	v_mov_b32_dpp v25, v24 row_shr:2 row_mask:0xf bank_mask:0xf
	v_cndmask_b32_e32 v25, 0, v25, vcc_lo
	v_cmp_lt_u32_e32 vcc_lo, 3, v101
	s_delay_alu instid0(VALU_DEP_2) | instskip(NEXT) | instid1(VALU_DEP_1)
	v_add_nc_u32_e32 v24, v24, v25
	v_mov_b32_dpp v25, v24 row_shr:4 row_mask:0xf bank_mask:0xf
	s_delay_alu instid0(VALU_DEP_1) | instskip(NEXT) | instid1(VALU_DEP_1)
	v_cndmask_b32_e32 v25, 0, v25, vcc_lo
	v_add_nc_u32_e32 v24, v24, v25
	ds_store_b32 v87, v24
.LBB1966_98:                            ;   in Loop: Header=BB1966_20 Depth=1
	s_or_b32 exec_lo, exec_lo, s12
	v_mov_b32_e32 v24, 0
	s_wait_dscnt 0x0
	s_barrier_signal -1
	s_barrier_wait -1
	s_and_saveexec_b32 s12, s5
; %bb.99:                               ;   in Loop: Header=BB1966_20 Depth=1
	ds_load_b32 v24, v88
; %bb.100:                              ;   in Loop: Header=BB1966_20 Depth=1
	s_or_b32 exec_lo, exec_lo, s12
	v_cmp_gt_i32_e32 vcc_lo, 0, v102
	s_wait_dscnt 0x0
	s_barrier_signal -1
	s_barrier_wait -1
	v_cndmask_b32_e32 v25, v102, v95, vcc_lo
	s_delay_alu instid0(VALU_DEP_1)
	v_dual_add_nc_u32 v23, v24, v23 :: v_dual_lshlrev_b32 v122, 2, v25
	ds_bpermute_b32 v23, v122, v23
	s_and_saveexec_b32 s12, s0
	s_cbranch_execz .LBB1966_102
; %bb.101:                              ;   in Loop: Header=BB1966_20 Depth=1
	s_wait_dscnt 0x0
	v_cndmask_b32_e64 v23, v23, v24, s6
	s_delay_alu instid0(VALU_DEP_1)
	v_add_nc_u32_e32 v23, s54, v23
	ds_store_b32 v3, v23
.LBB1966_102:                           ;   in Loop: Header=BB1966_20 Depth=1
	s_or_b32 exec_lo, exec_lo, s12
	s_clause 0x1
	s_load_b32 s12, s[34:35], 0x4
	s_load_b32 s14, s[34:35], 0xc
	s_mov_b32 s53, s56
                                        ; implicit-def: $vgpr30_vgpr31
                                        ; implicit-def: $vgpr32_vgpr33
                                        ; implicit-def: $vgpr34_vgpr35
                                        ; implicit-def: $vgpr36_vgpr37
                                        ; implicit-def: $vgpr38_vgpr39
                                        ; implicit-def: $vgpr40_vgpr41
                                        ; implicit-def: $vgpr42_vgpr43
                                        ; implicit-def: $vgpr44_vgpr45
                                        ; implicit-def: $vgpr46_vgpr47
                                        ; implicit-def: $vgpr48_vgpr49
                                        ; implicit-def: $vgpr50_vgpr51
                                        ; implicit-def: $vgpr52_vgpr53
                                        ; implicit-def: $vgpr54_vgpr55
                                        ; implicit-def: $vgpr56_vgpr57
                                        ; implicit-def: $vgpr58_vgpr59
                                        ; implicit-def: $vgpr123
                                        ; implicit-def: $vgpr124
                                        ; implicit-def: $vgpr125
                                        ; implicit-def: $vgpr126
                                        ; implicit-def: $vgpr127
                                        ; implicit-def: $vgpr128
                                        ; implicit-def: $vgpr129
                                        ; implicit-def: $vgpr130
                                        ; implicit-def: $vgpr131
                                        ; implicit-def: $vgpr132
                                        ; implicit-def: $vgpr133
                                        ; implicit-def: $vgpr134
                                        ; implicit-def: $vgpr135
                                        ; implicit-def: $vgpr136
                                        ; implicit-def: $vgpr137
                                        ; implicit-def: $vgpr138
	s_wait_kmcnt 0x0
	s_cmp_lt_u32 s31, s12
	s_cselect_b32 s42, 14, 20
	s_delay_alu instid0(SALU_CYCLE_1)
	s_add_nc_u64 s[12:13], s[34:35], s[42:43]
	s_mov_b32 s42, s54
	s_load_u16 s12, s[12:13], 0x0
	s_wait_xcnt 0x0
	v_cmp_lt_u32_e64 s13, 1, v101
	s_wait_dscnt 0x0
	s_wait_kmcnt 0x0
	v_mad_u32_u24 v23, v89, s12, v90
	s_and_b32 s12, s14, 0xffff
	v_cmp_lt_u32_e64 s14, 3, v101
	s_delay_alu instid0(VALU_DEP_2) | instskip(SKIP_2) | instid1(VALU_DEP_3)
	v_mad_u32 v24, v23, s12, v2
	v_mov_b32_e32 v23, v5
	v_cmp_eq_u32_e64 s12, 0, v101
	v_lshrrev_b32_e32 v28, 3, v24
	v_add_nc_u64_e32 v[24:25], v[0:1], v[4:5]
	s_delay_alu instid0(VALU_DEP_4) | instskip(NEXT) | instid1(VALU_DEP_3)
	v_add_nc_u64_e32 v[26:27], v[8:9], v[22:23]
	v_and_b32_e32 v23, 0x1ffffffc, v28
                                        ; implicit-def: $vgpr28_vgpr29
	s_branch .LBB1966_104
.LBB1966_103:                           ;   in Loop: Header=BB1966_104 Depth=2
	s_or_b32 exec_lo, exec_lo, s15
	s_addk_co_i32 s53, 0xf000
	s_cmp_lt_u32 s57, s51
	s_mov_b32 s42, s57
	s_cbranch_scc0 .LBB1966_312
.LBB1966_104:                           ;   Parent Loop BB1966_20 Depth=1
                                        ; =>  This Inner Loop Header: Depth=2
	s_add_co_i32 s57, s42, 0x1000
	s_delay_alu instid0(SALU_CYCLE_1)
	s_cmp_gt_u32 s57, s51
	s_cbranch_scc1 .LBB1966_106
; %bb.105:                              ;   in Loop: Header=BB1966_104 Depth=2
	s_delay_alu instid0(VALU_DEP_2)
	v_lshl_add_u64 v[60:61], s[42:43], 1, v[26:27]
	s_mov_b32 s15, -1
	s_clause 0xe
	global_load_u16 v140, v[60:61], off
	global_load_u16 v141, v[60:61], off offset:64
	global_load_u16 v144, v[60:61], off offset:128
	;; [unrolled: 1-line block ×14, first 2 shown]
	s_movk_i32 s16, 0x1000
	s_cbranch_execz .LBB1966_107
	s_branch .LBB1966_138
.LBB1966_106:                           ;   in Loop: Header=BB1966_104 Depth=2
	s_mov_b32 s15, 0
                                        ; implicit-def: $vgpr140
                                        ; implicit-def: $vgpr141
                                        ; implicit-def: $vgpr144
                                        ; implicit-def: $vgpr148
                                        ; implicit-def: $vgpr152
                                        ; implicit-def: $vgpr156
                                        ; implicit-def: $vgpr160
                                        ; implicit-def: $vgpr164
                                        ; implicit-def: $vgpr168
                                        ; implicit-def: $vgpr67
                                        ; implicit-def: $vgpr66
                                        ; implicit-def: $vgpr65
                                        ; implicit-def: $vgpr64
                                        ; implicit-def: $vgpr63
                                        ; implicit-def: $vgpr62
	s_movk_i32 s16, 0x1000
.LBB1966_107:                           ;   in Loop: Header=BB1966_104 Depth=2
	s_wait_xcnt 0x0
	v_lshl_add_u64 v[60:61], s[42:43], 1, v[26:27]
	s_wait_loadcnt 0xd
	v_dual_mov_b32 v141, -1 :: v_dual_mov_b32 v140, -1
	s_mov_b32 s15, exec_lo
	v_cmpx_gt_u32_e64 s53, v100
	s_cbranch_execz .LBB1966_109
; %bb.108:                              ;   in Loop: Header=BB1966_104 Depth=2
	global_load_u16 v140, v[60:61], off
.LBB1966_109:                           ;   in Loop: Header=BB1966_104 Depth=2
	s_wait_xcnt 0x0
	s_or_b32 exec_lo, exec_lo, s15
	s_delay_alu instid0(SALU_CYCLE_1)
	s_mov_b32 s15, exec_lo
	v_cmpx_gt_u32_e64 s53, v103
	s_cbranch_execz .LBB1966_111
; %bb.110:                              ;   in Loop: Header=BB1966_104 Depth=2
	global_load_u16 v141, v[60:61], off offset:64
.LBB1966_111:                           ;   in Loop: Header=BB1966_104 Depth=2
	s_wait_xcnt 0x0
	s_or_b32 exec_lo, exec_lo, s15
	s_wait_loadcnt 0xb
	v_dual_mov_b32 v148, -1 :: v_dual_mov_b32 v144, -1
	s_mov_b32 s15, exec_lo
	v_cmpx_gt_u32_e64 s53, v104
	s_cbranch_execz .LBB1966_113
; %bb.112:                              ;   in Loop: Header=BB1966_104 Depth=2
	global_load_u16 v144, v[60:61], off offset:128
.LBB1966_113:                           ;   in Loop: Header=BB1966_104 Depth=2
	s_wait_xcnt 0x0
	s_or_b32 exec_lo, exec_lo, s15
	s_delay_alu instid0(SALU_CYCLE_1)
	s_mov_b32 s15, exec_lo
	v_cmpx_gt_u32_e64 s53, v105
	s_cbranch_execz .LBB1966_115
; %bb.114:                              ;   in Loop: Header=BB1966_104 Depth=2
	global_load_u16 v148, v[60:61], off offset:192
.LBB1966_115:                           ;   in Loop: Header=BB1966_104 Depth=2
	s_wait_xcnt 0x0
	s_or_b32 exec_lo, exec_lo, s15
	s_wait_loadcnt 0x9
	v_dual_mov_b32 v156, -1 :: v_dual_mov_b32 v152, -1
	s_mov_b32 s15, exec_lo
	v_cmpx_gt_u32_e64 s53, v106
	s_cbranch_execz .LBB1966_117
; %bb.116:                              ;   in Loop: Header=BB1966_104 Depth=2
	global_load_u16 v152, v[60:61], off offset:256
.LBB1966_117:                           ;   in Loop: Header=BB1966_104 Depth=2
	;; [unrolled: 19-line block ×6, first 2 shown]
	s_wait_xcnt 0x0
	s_or_b32 exec_lo, exec_lo, s15
	s_delay_alu instid0(SALU_CYCLE_1)
	s_mov_b32 s15, exec_lo
	v_cmpx_gt_u32_e64 s53, v115
	s_cbranch_execz .LBB1966_135
; %bb.134:                              ;   in Loop: Header=BB1966_104 Depth=2
	global_load_u16 v63, v[60:61], off offset:832
.LBB1966_135:                           ;   in Loop: Header=BB1966_104 Depth=2
	s_wait_xcnt 0x0
	s_or_b32 exec_lo, exec_lo, s15
	s_wait_loadcnt 0x0
	v_mov_b32_e32 v62, -1
	s_mov_b32 s15, exec_lo
	v_cmpx_gt_u32_e64 s53, v116
	s_cbranch_execz .LBB1966_137
; %bb.136:                              ;   in Loop: Header=BB1966_104 Depth=2
	global_load_u16 v62, v[60:61], off offset:896
.LBB1966_137:                           ;   in Loop: Header=BB1966_104 Depth=2
	s_wait_xcnt 0x0
	s_or_b32 exec_lo, exec_lo, s15
	v_cmp_gt_u32_e64 s15, s53, v117
	s_sub_co_i32 s16, s51, s42
.LBB1966_138:                           ;   in Loop: Header=BB1966_104 Depth=2
	s_wait_xcnt 0x0
	v_dual_mov_b32 v60, -1 :: v_dual_mov_b32 v139, s53
	s_and_saveexec_b32 s17, s15
	s_cbranch_execz .LBB1966_140
; %bb.139:                              ;   in Loop: Header=BB1966_104 Depth=2
	v_lshl_add_u64 v[60:61], s[42:43], 1, v[26:27]
	v_mov_b32_e32 v139, s16
	global_load_u16 v60, v[60:61], off offset:960
.LBB1966_140:                           ;   in Loop: Header=BB1966_104 Depth=2
	s_wait_xcnt 0x0
	s_or_b32 exec_lo, exec_lo, s17
	s_wait_loadcnt 0xe
	v_cmp_gt_i16_e64 vcc_lo, 0, v140
	ds_store_2addr_b32 v121, v5, v5 offset1:1
	ds_store_2addr_b32 v118, v5, v5 offset1:1
	;; [unrolled: 1-line block ×4, first 2 shown]
	ds_store_b32 v91, v5 offset:1088
	s_wait_loadcnt_dscnt 0x0
	s_barrier_signal -1
	v_cndmask_b32_e64 v61, 0x7fff, 0, vcc_lo
	s_barrier_wait -1
	; wave barrier
	s_delay_alu instid0(VALU_DEP_1) | instskip(NEXT) | instid1(VALU_DEP_1)
	v_xor_b32_e32 v140, v61, v140
	v_cmp_ne_u16_e64 vcc_lo, 0x8000, v140
	v_cndmask_b32_e32 v61, 0x7fff, v140, vcc_lo
	s_delay_alu instid0(VALU_DEP_1) | instskip(NEXT) | instid1(VALU_DEP_1)
	v_and_b32_e32 v61, 0xffff, v61
	v_lshrrev_b32_e32 v61, s48, v61
	s_delay_alu instid0(VALU_DEP_1) | instskip(SKIP_1) | instid1(VALU_DEP_2)
	v_bitop3_b32 v142, v61, 1, s52 bitop3:0x80
	v_and_b32_e32 v143, s52, v61
	v_add_co_u32 v61, s15, v142, -1
	s_delay_alu instid0(VALU_DEP_1) | instskip(NEXT) | instid1(VALU_DEP_3)
	v_cndmask_b32_e64 v142, 0, 1, s15
	v_lshlrev_b32_e32 v145, 30, v143
	s_delay_alu instid0(VALU_DEP_2) | instskip(NEXT) | instid1(VALU_DEP_2)
	v_cmp_ne_u32_e32 vcc_lo, 0, v142
	v_not_b32_e32 v142, v145
	s_delay_alu instid0(VALU_DEP_1) | instskip(SKIP_3) | instid1(VALU_DEP_4)
	v_dual_ashrrev_i32 v142, 31, v142 :: v_dual_lshlrev_b32 v146, 29, v143
	v_dual_lshlrev_b32 v147, 28, v143 :: v_dual_lshlrev_b32 v149, 27, v143
	v_lshlrev_b32_e32 v150, 26, v143
	v_cmp_gt_i32_e64 s15, 0, v145
	v_cmp_gt_i32_e64 s16, 0, v146
	v_not_b32_e32 v145, v146
	v_not_b32_e32 v146, v147
	v_dual_lshlrev_b32 v151, 25, v143 :: v_dual_lshlrev_b32 v153, 24, v143
	v_cmp_gt_i32_e64 s17, 0, v147
	v_cmp_gt_i32_e64 s18, 0, v149
	v_not_b32_e32 v147, v149
	v_not_b32_e32 v149, v150
	v_dual_ashrrev_i32 v146, 31, v146 :: v_dual_bitop2_b32 v61, vcc_lo, v61 bitop3:0x14
	v_dual_ashrrev_i32 v145, 31, v145 :: v_dual_bitop2_b32 v142, s15, v142 bitop3:0x14
	v_cmp_gt_i32_e64 s19, 0, v150
	v_cmp_gt_i32_e64 s20, 0, v151
	v_not_b32_e32 v150, v151
	v_not_b32_e32 v151, v153
	v_dual_ashrrev_i32 v147, 31, v147 :: v_dual_ashrrev_i32 v149, 31, v149
	v_xor_b32_e32 v145, s16, v145
	v_xor_b32_e32 v146, s17, v146
	v_bitop3_b32 v61, v61, v142, exec_lo bitop3:0x80
	v_cmp_gt_i32_e64 s21, 0, v153
	v_dual_ashrrev_i32 v142, 31, v150 :: v_dual_ashrrev_i32 v150, 31, v151
	v_xor_b32_e32 v147, s18, v147
	s_delay_alu instid0(VALU_DEP_4) | instskip(SKIP_3) | instid1(VALU_DEP_3)
	v_bitop3_b32 v61, v61, v146, v145 bitop3:0x80
	v_mul_u32_u24_e32 v143, 36, v143
	v_xor_b32_e32 v149, s19, v149
	v_xor_b32_e32 v142, s20, v142
	v_dual_add_nc_u32 v143, v23, v143 :: v_dual_bitop2_b32 v145, s21, v150 bitop3:0x14
	s_delay_alu instid0(VALU_DEP_3) | instskip(NEXT) | instid1(VALU_DEP_1)
	v_bitop3_b32 v61, v61, v149, v147 bitop3:0x80
	v_bitop3_b32 v61, v61, v145, v142 bitop3:0x80
	s_delay_alu instid0(VALU_DEP_1) | instskip(SKIP_1) | instid1(VALU_DEP_2)
	v_mbcnt_lo_u32_b32 v142, v61, 0
	v_cmp_ne_u32_e64 s15, 0, v61
	v_cmp_eq_u32_e32 vcc_lo, 0, v142
	s_and_b32 s16, s15, vcc_lo
	s_delay_alu instid0(SALU_CYCLE_1)
	s_and_saveexec_b32 s15, s16
; %bb.141:                              ;   in Loop: Header=BB1966_104 Depth=2
	v_bcnt_u32_b32 v61, v61, 0
	ds_store_b32 v143, v61 offset:1056
; %bb.142:                              ;   in Loop: Header=BB1966_104 Depth=2
	s_or_b32 exec_lo, exec_lo, s15
	v_cmp_gt_i16_e64 vcc_lo, 0, v141
	; wave barrier
	s_delay_alu instid0(VALU_DEP_1) | instskip(NEXT) | instid1(VALU_DEP_1)
	v_cndmask_b32_e64 v61, 0x7fff, 0, vcc_lo
	v_xor_b32_e32 v141, v61, v141
	s_delay_alu instid0(VALU_DEP_1) | instskip(SKIP_1) | instid1(VALU_DEP_1)
	v_cmp_ne_u16_e64 vcc_lo, 0x8000, v141
	v_cndmask_b32_e32 v61, 0x7fff, v141, vcc_lo
	v_and_b32_e32 v61, 0xffff, v61
	s_delay_alu instid0(VALU_DEP_1) | instskip(NEXT) | instid1(VALU_DEP_1)
	v_lshrrev_b32_e32 v61, s48, v61
	v_and_b32_e32 v147, s52, v61
	s_delay_alu instid0(VALU_DEP_1) | instskip(SKIP_2) | instid1(VALU_DEP_3)
	v_lshlrev_b32_e32 v149, 29, v147
	v_bitop3_b32 v145, v61, 1, s52 bitop3:0x80
	v_lshlrev_b32_e32 v146, 30, v147
	v_cmp_gt_i32_e64 s16, 0, v149
	s_delay_alu instid0(VALU_DEP_3) | instskip(NEXT) | instid1(VALU_DEP_1)
	v_add_co_u32 v61, s15, v145, -1
	v_cndmask_b32_e64 v145, 0, 1, s15
	s_delay_alu instid0(VALU_DEP_4) | instskip(NEXT) | instid1(VALU_DEP_2)
	v_cmp_gt_i32_e64 s15, 0, v146
	v_cmp_ne_u32_e32 vcc_lo, 0, v145
	v_not_b32_e32 v145, v146
	v_not_b32_e32 v146, v149
	s_delay_alu instid0(VALU_DEP_1) | instskip(SKIP_2) | instid1(VALU_DEP_3)
	v_dual_ashrrev_i32 v146, 31, v146 :: v_dual_lshlrev_b32 v150, 28, v147
	v_dual_lshlrev_b32 v151, 27, v147 :: v_dual_lshlrev_b32 v153, 26, v147
	v_dual_lshlrev_b32 v154, 25, v147 :: v_dual_lshlrev_b32 v155, 24, v147
	v_cmp_gt_i32_e64 s17, 0, v150
	v_not_b32_e32 v149, v150
	s_delay_alu instid0(VALU_DEP_4)
	v_not_b32_e32 v150, v151
	v_ashrrev_i32_e32 v145, 31, v145
	v_cmp_gt_i32_e64 s18, 0, v151
	v_cmp_gt_i32_e64 s19, 0, v153
	v_not_b32_e32 v151, v153
	v_cmp_gt_i32_e64 s20, 0, v154
	v_not_b32_e32 v153, v154
	v_not_b32_e32 v154, v155
	s_delay_alu instid0(VALU_DEP_4) | instskip(SKIP_3) | instid1(VALU_DEP_3)
	v_dual_ashrrev_i32 v151, 31, v151 :: v_dual_bitop2_b32 v61, vcc_lo, v61 bitop3:0x14
	v_dual_ashrrev_i32 v149, 31, v149 :: v_dual_bitop2_b32 v146, s16, v146 bitop3:0x14
	v_dual_ashrrev_i32 v150, 31, v150 :: v_dual_bitop2_b32 v145, s15, v145 bitop3:0x14
	v_cmp_gt_i32_e64 s21, 0, v155
	v_xor_b32_e32 v149, s17, v149
	v_xor_b32_e32 v151, s19, v151
	s_delay_alu instid0(VALU_DEP_4) | instskip(SKIP_2) | instid1(VALU_DEP_2)
	v_xor_b32_e32 v150, s18, v150
	v_bitop3_b32 v61, v61, v145, exec_lo bitop3:0x80
	v_dual_ashrrev_i32 v145, 31, v153 :: v_dual_ashrrev_i32 v153, 31, v154
	v_bitop3_b32 v61, v61, v149, v146 bitop3:0x80
	v_mad_u32_u24 v146, v147, 36, v23
	s_delay_alu instid0(VALU_DEP_3) | instskip(NEXT) | instid1(VALU_DEP_4)
	v_xor_b32_e32 v149, s20, v145
	v_xor_b32_e32 v153, s21, v153
	v_mul_u32_u24_e32 v147, 36, v147
	v_bitop3_b32 v61, v61, v151, v150 bitop3:0x80
	ds_load_b32 v145, v146 offset:1056
	; wave barrier
	v_add_nc_u32_e32 v147, v23, v147
	v_bitop3_b32 v61, v61, v153, v149 bitop3:0x80
	s_delay_alu instid0(VALU_DEP_1) | instskip(SKIP_1) | instid1(VALU_DEP_2)
	v_mbcnt_lo_u32_b32 v146, v61, 0
	v_cmp_ne_u32_e64 s15, 0, v61
	v_cmp_eq_u32_e32 vcc_lo, 0, v146
	s_and_b32 s16, s15, vcc_lo
	s_delay_alu instid0(SALU_CYCLE_1)
	s_and_saveexec_b32 s15, s16
	s_cbranch_execz .LBB1966_144
; %bb.143:                              ;   in Loop: Header=BB1966_104 Depth=2
	s_wait_dscnt 0x0
	v_bcnt_u32_b32 v61, v61, v145
	ds_store_b32 v147, v61 offset:1056
.LBB1966_144:                           ;   in Loop: Header=BB1966_104 Depth=2
	s_or_b32 exec_lo, exec_lo, s15
	v_cmp_gt_i16_e64 vcc_lo, 0, v144
	; wave barrier
	s_delay_alu instid0(VALU_DEP_1) | instskip(NEXT) | instid1(VALU_DEP_1)
	v_cndmask_b32_e64 v61, 0x7fff, 0, vcc_lo
	v_xor_b32_e32 v144, v61, v144
	s_delay_alu instid0(VALU_DEP_1) | instskip(SKIP_1) | instid1(VALU_DEP_1)
	v_cmp_ne_u16_e64 vcc_lo, 0x8000, v144
	v_cndmask_b32_e32 v61, 0x7fff, v144, vcc_lo
	v_and_b32_e32 v61, 0xffff, v61
	s_delay_alu instid0(VALU_DEP_1) | instskip(NEXT) | instid1(VALU_DEP_1)
	v_lshrrev_b32_e32 v61, s48, v61
	v_bitop3_b32 v149, v61, 1, s52 bitop3:0x80
	v_and_b32_e32 v151, s52, v61
	s_delay_alu instid0(VALU_DEP_2) | instskip(NEXT) | instid1(VALU_DEP_1)
	v_add_co_u32 v61, s15, v149, -1
	v_cndmask_b32_e64 v149, 0, 1, s15
	s_delay_alu instid0(VALU_DEP_3) | instskip(NEXT) | instid1(VALU_DEP_2)
	v_dual_lshlrev_b32 v150, 30, v151 :: v_dual_lshlrev_b32 v153, 29, v151
	v_cmp_ne_u32_e32 vcc_lo, 0, v149
	s_delay_alu instid0(VALU_DEP_2) | instskip(SKIP_1) | instid1(VALU_DEP_4)
	v_cmp_gt_i32_e64 s15, 0, v150
	v_not_b32_e32 v149, v150
	v_not_b32_e32 v150, v153
	s_delay_alu instid0(VALU_DEP_1) | instskip(SKIP_3) | instid1(VALU_DEP_4)
	v_dual_ashrrev_i32 v150, 31, v150 :: v_dual_lshlrev_b32 v154, 28, v151
	v_dual_lshlrev_b32 v155, 27, v151 :: v_dual_lshlrev_b32 v157, 26, v151
	v_dual_lshlrev_b32 v158, 25, v151 :: v_dual_lshlrev_b32 v159, 24, v151
	v_cmp_gt_i32_e64 s16, 0, v153
	v_cmp_gt_i32_e64 s17, 0, v154
	v_not_b32_e32 v153, v154
	v_not_b32_e32 v154, v155
	v_ashrrev_i32_e32 v149, 31, v149
	v_cmp_gt_i32_e64 s18, 0, v155
	v_cmp_gt_i32_e64 s19, 0, v157
	v_not_b32_e32 v155, v157
	v_cmp_gt_i32_e64 s20, 0, v158
	v_not_b32_e32 v157, v158
	v_not_b32_e32 v158, v159
	s_delay_alu instid0(VALU_DEP_4) | instskip(SKIP_3) | instid1(VALU_DEP_3)
	v_dual_ashrrev_i32 v155, 31, v155 :: v_dual_bitop2_b32 v61, vcc_lo, v61 bitop3:0x14
	v_dual_ashrrev_i32 v153, 31, v153 :: v_dual_bitop2_b32 v150, s16, v150 bitop3:0x14
	v_dual_ashrrev_i32 v154, 31, v154 :: v_dual_bitop2_b32 v149, s15, v149 bitop3:0x14
	v_cmp_gt_i32_e64 s21, 0, v159
	v_xor_b32_e32 v153, s17, v153
	v_xor_b32_e32 v155, s19, v155
	s_delay_alu instid0(VALU_DEP_4) | instskip(SKIP_2) | instid1(VALU_DEP_2)
	v_xor_b32_e32 v154, s18, v154
	v_bitop3_b32 v61, v61, v149, exec_lo bitop3:0x80
	v_dual_ashrrev_i32 v149, 31, v157 :: v_dual_ashrrev_i32 v157, 31, v158
	v_bitop3_b32 v61, v61, v153, v150 bitop3:0x80
	v_mad_u32_u24 v150, v151, 36, v23
	s_delay_alu instid0(VALU_DEP_3) | instskip(NEXT) | instid1(VALU_DEP_4)
	v_xor_b32_e32 v153, s20, v149
	v_xor_b32_e32 v157, s21, v157
	v_mul_u32_u24_e32 v151, 36, v151
	v_bitop3_b32 v61, v61, v155, v154 bitop3:0x80
	ds_load_b32 v149, v150 offset:1056
	; wave barrier
	v_add_nc_u32_e32 v151, v23, v151
	v_bitop3_b32 v61, v61, v157, v153 bitop3:0x80
	s_delay_alu instid0(VALU_DEP_1) | instskip(SKIP_1) | instid1(VALU_DEP_2)
	v_mbcnt_lo_u32_b32 v150, v61, 0
	v_cmp_ne_u32_e64 s15, 0, v61
	v_cmp_eq_u32_e32 vcc_lo, 0, v150
	s_and_b32 s16, s15, vcc_lo
	s_delay_alu instid0(SALU_CYCLE_1)
	s_and_saveexec_b32 s15, s16
	s_cbranch_execz .LBB1966_146
; %bb.145:                              ;   in Loop: Header=BB1966_104 Depth=2
	s_wait_dscnt 0x0
	v_bcnt_u32_b32 v61, v61, v149
	ds_store_b32 v151, v61 offset:1056
.LBB1966_146:                           ;   in Loop: Header=BB1966_104 Depth=2
	s_or_b32 exec_lo, exec_lo, s15
	v_cmp_gt_i16_e64 vcc_lo, 0, v148
	; wave barrier
	s_delay_alu instid0(VALU_DEP_1) | instskip(NEXT) | instid1(VALU_DEP_1)
	v_cndmask_b32_e64 v61, 0x7fff, 0, vcc_lo
	v_xor_b32_e32 v148, v61, v148
	s_delay_alu instid0(VALU_DEP_1) | instskip(SKIP_1) | instid1(VALU_DEP_1)
	v_cmp_ne_u16_e64 vcc_lo, 0x8000, v148
	v_cndmask_b32_e32 v61, 0x7fff, v148, vcc_lo
	v_and_b32_e32 v61, 0xffff, v61
	s_delay_alu instid0(VALU_DEP_1) | instskip(NEXT) | instid1(VALU_DEP_1)
	v_lshrrev_b32_e32 v61, s48, v61
	v_bitop3_b32 v153, v61, 1, s52 bitop3:0x80
	v_and_b32_e32 v155, s52, v61
	s_delay_alu instid0(VALU_DEP_2) | instskip(NEXT) | instid1(VALU_DEP_1)
	v_add_co_u32 v61, s15, v153, -1
	v_cndmask_b32_e64 v153, 0, 1, s15
	s_delay_alu instid0(VALU_DEP_3) | instskip(NEXT) | instid1(VALU_DEP_2)
	v_dual_lshlrev_b32 v154, 30, v155 :: v_dual_lshlrev_b32 v157, 29, v155
	v_cmp_ne_u32_e32 vcc_lo, 0, v153
	s_delay_alu instid0(VALU_DEP_2) | instskip(SKIP_1) | instid1(VALU_DEP_4)
	v_cmp_gt_i32_e64 s15, 0, v154
	v_not_b32_e32 v153, v154
	v_not_b32_e32 v154, v157
	s_delay_alu instid0(VALU_DEP_1) | instskip(SKIP_3) | instid1(VALU_DEP_4)
	v_dual_ashrrev_i32 v154, 31, v154 :: v_dual_lshlrev_b32 v158, 28, v155
	v_dual_lshlrev_b32 v159, 27, v155 :: v_dual_lshlrev_b32 v161, 26, v155
	v_dual_lshlrev_b32 v162, 25, v155 :: v_dual_lshlrev_b32 v163, 24, v155
	v_cmp_gt_i32_e64 s16, 0, v157
	v_cmp_gt_i32_e64 s17, 0, v158
	v_not_b32_e32 v157, v158
	v_not_b32_e32 v158, v159
	v_ashrrev_i32_e32 v153, 31, v153
	v_cmp_gt_i32_e64 s18, 0, v159
	v_cmp_gt_i32_e64 s19, 0, v161
	v_not_b32_e32 v159, v161
	v_cmp_gt_i32_e64 s20, 0, v162
	v_not_b32_e32 v161, v162
	v_not_b32_e32 v162, v163
	s_delay_alu instid0(VALU_DEP_4) | instskip(SKIP_3) | instid1(VALU_DEP_3)
	v_dual_ashrrev_i32 v159, 31, v159 :: v_dual_bitop2_b32 v61, vcc_lo, v61 bitop3:0x14
	v_dual_ashrrev_i32 v157, 31, v157 :: v_dual_bitop2_b32 v154, s16, v154 bitop3:0x14
	v_dual_ashrrev_i32 v158, 31, v158 :: v_dual_bitop2_b32 v153, s15, v153 bitop3:0x14
	v_cmp_gt_i32_e64 s21, 0, v163
	v_xor_b32_e32 v157, s17, v157
	v_xor_b32_e32 v159, s19, v159
	s_delay_alu instid0(VALU_DEP_4) | instskip(SKIP_2) | instid1(VALU_DEP_2)
	v_xor_b32_e32 v158, s18, v158
	v_bitop3_b32 v61, v61, v153, exec_lo bitop3:0x80
	v_dual_ashrrev_i32 v153, 31, v161 :: v_dual_ashrrev_i32 v161, 31, v162
	v_bitop3_b32 v61, v61, v157, v154 bitop3:0x80
	v_mad_u32_u24 v154, v155, 36, v23
	s_delay_alu instid0(VALU_DEP_3) | instskip(NEXT) | instid1(VALU_DEP_4)
	v_xor_b32_e32 v157, s20, v153
	v_xor_b32_e32 v161, s21, v161
	v_mul_u32_u24_e32 v155, 36, v155
	v_bitop3_b32 v61, v61, v159, v158 bitop3:0x80
	ds_load_b32 v153, v154 offset:1056
	; wave barrier
	v_add_nc_u32_e32 v155, v23, v155
	v_bitop3_b32 v61, v61, v161, v157 bitop3:0x80
	s_delay_alu instid0(VALU_DEP_1) | instskip(SKIP_1) | instid1(VALU_DEP_2)
	v_mbcnt_lo_u32_b32 v154, v61, 0
	v_cmp_ne_u32_e64 s15, 0, v61
	v_cmp_eq_u32_e32 vcc_lo, 0, v154
	s_and_b32 s16, s15, vcc_lo
	s_delay_alu instid0(SALU_CYCLE_1)
	s_and_saveexec_b32 s15, s16
	s_cbranch_execz .LBB1966_148
; %bb.147:                              ;   in Loop: Header=BB1966_104 Depth=2
	s_wait_dscnt 0x0
	v_bcnt_u32_b32 v61, v61, v153
	ds_store_b32 v155, v61 offset:1056
.LBB1966_148:                           ;   in Loop: Header=BB1966_104 Depth=2
	s_or_b32 exec_lo, exec_lo, s15
	v_cmp_gt_i16_e64 vcc_lo, 0, v152
	; wave barrier
	s_delay_alu instid0(VALU_DEP_1) | instskip(NEXT) | instid1(VALU_DEP_1)
	v_cndmask_b32_e64 v61, 0x7fff, 0, vcc_lo
	v_xor_b32_e32 v152, v61, v152
	s_delay_alu instid0(VALU_DEP_1) | instskip(SKIP_1) | instid1(VALU_DEP_1)
	v_cmp_ne_u16_e64 vcc_lo, 0x8000, v152
	v_cndmask_b32_e32 v61, 0x7fff, v152, vcc_lo
	v_and_b32_e32 v61, 0xffff, v61
	s_delay_alu instid0(VALU_DEP_1) | instskip(NEXT) | instid1(VALU_DEP_1)
	v_lshrrev_b32_e32 v61, s48, v61
	v_bitop3_b32 v157, v61, 1, s52 bitop3:0x80
	v_and_b32_e32 v159, s52, v61
	s_delay_alu instid0(VALU_DEP_2) | instskip(NEXT) | instid1(VALU_DEP_1)
	v_add_co_u32 v61, s15, v157, -1
	v_cndmask_b32_e64 v157, 0, 1, s15
	s_delay_alu instid0(VALU_DEP_3) | instskip(NEXT) | instid1(VALU_DEP_2)
	v_dual_lshlrev_b32 v158, 30, v159 :: v_dual_lshlrev_b32 v161, 29, v159
	v_cmp_ne_u32_e32 vcc_lo, 0, v157
	s_delay_alu instid0(VALU_DEP_2) | instskip(SKIP_1) | instid1(VALU_DEP_4)
	v_cmp_gt_i32_e64 s15, 0, v158
	v_not_b32_e32 v157, v158
	v_not_b32_e32 v158, v161
	s_delay_alu instid0(VALU_DEP_1) | instskip(SKIP_3) | instid1(VALU_DEP_4)
	v_dual_ashrrev_i32 v158, 31, v158 :: v_dual_lshlrev_b32 v162, 28, v159
	v_dual_lshlrev_b32 v163, 27, v159 :: v_dual_lshlrev_b32 v165, 26, v159
	v_dual_lshlrev_b32 v166, 25, v159 :: v_dual_lshlrev_b32 v167, 24, v159
	v_cmp_gt_i32_e64 s16, 0, v161
	v_cmp_gt_i32_e64 s17, 0, v162
	v_not_b32_e32 v161, v162
	v_not_b32_e32 v162, v163
	v_ashrrev_i32_e32 v157, 31, v157
	v_cmp_gt_i32_e64 s18, 0, v163
	v_cmp_gt_i32_e64 s19, 0, v165
	v_not_b32_e32 v163, v165
	v_cmp_gt_i32_e64 s20, 0, v166
	v_not_b32_e32 v165, v166
	v_not_b32_e32 v166, v167
	s_delay_alu instid0(VALU_DEP_4) | instskip(SKIP_3) | instid1(VALU_DEP_3)
	v_dual_ashrrev_i32 v163, 31, v163 :: v_dual_bitop2_b32 v61, vcc_lo, v61 bitop3:0x14
	v_dual_ashrrev_i32 v161, 31, v161 :: v_dual_bitop2_b32 v158, s16, v158 bitop3:0x14
	v_dual_ashrrev_i32 v162, 31, v162 :: v_dual_bitop2_b32 v157, s15, v157 bitop3:0x14
	v_cmp_gt_i32_e64 s21, 0, v167
	v_xor_b32_e32 v161, s17, v161
	v_xor_b32_e32 v163, s19, v163
	s_delay_alu instid0(VALU_DEP_4) | instskip(SKIP_2) | instid1(VALU_DEP_2)
	v_xor_b32_e32 v162, s18, v162
	v_bitop3_b32 v61, v61, v157, exec_lo bitop3:0x80
	v_dual_ashrrev_i32 v157, 31, v165 :: v_dual_ashrrev_i32 v165, 31, v166
	v_bitop3_b32 v61, v61, v161, v158 bitop3:0x80
	v_mad_u32_u24 v158, v159, 36, v23
	s_delay_alu instid0(VALU_DEP_3) | instskip(NEXT) | instid1(VALU_DEP_4)
	v_xor_b32_e32 v161, s20, v157
	v_xor_b32_e32 v165, s21, v165
	v_mul_u32_u24_e32 v159, 36, v159
	v_bitop3_b32 v61, v61, v163, v162 bitop3:0x80
	ds_load_b32 v157, v158 offset:1056
	; wave barrier
	v_add_nc_u32_e32 v159, v23, v159
	v_bitop3_b32 v61, v61, v165, v161 bitop3:0x80
	s_delay_alu instid0(VALU_DEP_1) | instskip(SKIP_1) | instid1(VALU_DEP_2)
	v_mbcnt_lo_u32_b32 v158, v61, 0
	v_cmp_ne_u32_e64 s15, 0, v61
	v_cmp_eq_u32_e32 vcc_lo, 0, v158
	s_and_b32 s16, s15, vcc_lo
	s_delay_alu instid0(SALU_CYCLE_1)
	s_and_saveexec_b32 s15, s16
	s_cbranch_execz .LBB1966_150
; %bb.149:                              ;   in Loop: Header=BB1966_104 Depth=2
	s_wait_dscnt 0x0
	v_bcnt_u32_b32 v61, v61, v157
	ds_store_b32 v159, v61 offset:1056
.LBB1966_150:                           ;   in Loop: Header=BB1966_104 Depth=2
	s_or_b32 exec_lo, exec_lo, s15
	v_cmp_gt_i16_e64 vcc_lo, 0, v156
	; wave barrier
	s_delay_alu instid0(VALU_DEP_1) | instskip(NEXT) | instid1(VALU_DEP_1)
	v_cndmask_b32_e64 v61, 0x7fff, 0, vcc_lo
	v_xor_b32_e32 v156, v61, v156
	s_delay_alu instid0(VALU_DEP_1) | instskip(SKIP_1) | instid1(VALU_DEP_1)
	v_cmp_ne_u16_e64 vcc_lo, 0x8000, v156
	v_cndmask_b32_e32 v61, 0x7fff, v156, vcc_lo
	v_and_b32_e32 v61, 0xffff, v61
	s_delay_alu instid0(VALU_DEP_1) | instskip(NEXT) | instid1(VALU_DEP_1)
	v_lshrrev_b32_e32 v61, s48, v61
	v_bitop3_b32 v161, v61, 1, s52 bitop3:0x80
	v_and_b32_e32 v163, s52, v61
	s_delay_alu instid0(VALU_DEP_2) | instskip(NEXT) | instid1(VALU_DEP_1)
	v_add_co_u32 v61, s15, v161, -1
	v_cndmask_b32_e64 v161, 0, 1, s15
	s_delay_alu instid0(VALU_DEP_3) | instskip(NEXT) | instid1(VALU_DEP_2)
	v_dual_lshlrev_b32 v162, 30, v163 :: v_dual_lshlrev_b32 v165, 29, v163
	v_cmp_ne_u32_e32 vcc_lo, 0, v161
	s_delay_alu instid0(VALU_DEP_2) | instskip(SKIP_1) | instid1(VALU_DEP_4)
	v_cmp_gt_i32_e64 s15, 0, v162
	v_not_b32_e32 v161, v162
	v_not_b32_e32 v162, v165
	s_delay_alu instid0(VALU_DEP_1) | instskip(SKIP_3) | instid1(VALU_DEP_4)
	v_dual_ashrrev_i32 v162, 31, v162 :: v_dual_lshlrev_b32 v166, 28, v163
	v_dual_lshlrev_b32 v167, 27, v163 :: v_dual_lshlrev_b32 v169, 26, v163
	v_dual_lshlrev_b32 v170, 25, v163 :: v_dual_lshlrev_b32 v171, 24, v163
	v_cmp_gt_i32_e64 s16, 0, v165
	v_cmp_gt_i32_e64 s17, 0, v166
	v_not_b32_e32 v165, v166
	v_not_b32_e32 v166, v167
	v_ashrrev_i32_e32 v161, 31, v161
	v_cmp_gt_i32_e64 s18, 0, v167
	v_cmp_gt_i32_e64 s19, 0, v169
	v_not_b32_e32 v167, v169
	v_cmp_gt_i32_e64 s20, 0, v170
	v_not_b32_e32 v169, v170
	v_not_b32_e32 v170, v171
	s_delay_alu instid0(VALU_DEP_4) | instskip(SKIP_3) | instid1(VALU_DEP_3)
	v_dual_ashrrev_i32 v167, 31, v167 :: v_dual_bitop2_b32 v61, vcc_lo, v61 bitop3:0x14
	v_dual_ashrrev_i32 v165, 31, v165 :: v_dual_bitop2_b32 v162, s16, v162 bitop3:0x14
	v_dual_ashrrev_i32 v166, 31, v166 :: v_dual_bitop2_b32 v161, s15, v161 bitop3:0x14
	v_cmp_gt_i32_e64 s21, 0, v171
	v_xor_b32_e32 v165, s17, v165
	v_xor_b32_e32 v167, s19, v167
	s_delay_alu instid0(VALU_DEP_4) | instskip(SKIP_2) | instid1(VALU_DEP_2)
	v_xor_b32_e32 v166, s18, v166
	v_bitop3_b32 v61, v61, v161, exec_lo bitop3:0x80
	v_dual_ashrrev_i32 v161, 31, v169 :: v_dual_ashrrev_i32 v169, 31, v170
	v_bitop3_b32 v61, v61, v165, v162 bitop3:0x80
	v_mad_u32_u24 v162, v163, 36, v23
	s_delay_alu instid0(VALU_DEP_3) | instskip(NEXT) | instid1(VALU_DEP_4)
	v_xor_b32_e32 v165, s20, v161
	v_xor_b32_e32 v169, s21, v169
	v_mul_u32_u24_e32 v163, 36, v163
	v_bitop3_b32 v61, v61, v167, v166 bitop3:0x80
	ds_load_b32 v161, v162 offset:1056
	; wave barrier
	v_add_nc_u32_e32 v163, v23, v163
	v_bitop3_b32 v61, v61, v169, v165 bitop3:0x80
	s_delay_alu instid0(VALU_DEP_1) | instskip(SKIP_1) | instid1(VALU_DEP_2)
	v_mbcnt_lo_u32_b32 v162, v61, 0
	v_cmp_ne_u32_e64 s15, 0, v61
	v_cmp_eq_u32_e32 vcc_lo, 0, v162
	s_and_b32 s16, s15, vcc_lo
	s_delay_alu instid0(SALU_CYCLE_1)
	s_and_saveexec_b32 s15, s16
	s_cbranch_execz .LBB1966_152
; %bb.151:                              ;   in Loop: Header=BB1966_104 Depth=2
	s_wait_dscnt 0x0
	v_bcnt_u32_b32 v61, v61, v161
	ds_store_b32 v163, v61 offset:1056
.LBB1966_152:                           ;   in Loop: Header=BB1966_104 Depth=2
	s_or_b32 exec_lo, exec_lo, s15
	v_cmp_gt_i16_e64 vcc_lo, 0, v160
	; wave barrier
	s_delay_alu instid0(VALU_DEP_1) | instskip(NEXT) | instid1(VALU_DEP_1)
	v_cndmask_b32_e64 v61, 0x7fff, 0, vcc_lo
	v_xor_b32_e32 v160, v61, v160
	s_delay_alu instid0(VALU_DEP_1) | instskip(SKIP_1) | instid1(VALU_DEP_1)
	v_cmp_ne_u16_e64 vcc_lo, 0x8000, v160
	v_cndmask_b32_e32 v61, 0x7fff, v160, vcc_lo
	v_and_b32_e32 v61, 0xffff, v61
	s_delay_alu instid0(VALU_DEP_1) | instskip(NEXT) | instid1(VALU_DEP_1)
	v_lshrrev_b32_e32 v61, s48, v61
	v_bitop3_b32 v165, v61, 1, s52 bitop3:0x80
	v_and_b32_e32 v167, s52, v61
	s_delay_alu instid0(VALU_DEP_2) | instskip(NEXT) | instid1(VALU_DEP_1)
	v_add_co_u32 v61, s15, v165, -1
	v_cndmask_b32_e64 v165, 0, 1, s15
	s_delay_alu instid0(VALU_DEP_3) | instskip(NEXT) | instid1(VALU_DEP_2)
	v_dual_lshlrev_b32 v166, 30, v167 :: v_dual_lshlrev_b32 v169, 29, v167
	v_cmp_ne_u32_e32 vcc_lo, 0, v165
	s_delay_alu instid0(VALU_DEP_2) | instskip(SKIP_1) | instid1(VALU_DEP_4)
	v_cmp_gt_i32_e64 s15, 0, v166
	v_not_b32_e32 v165, v166
	v_not_b32_e32 v166, v169
	s_delay_alu instid0(VALU_DEP_1) | instskip(SKIP_3) | instid1(VALU_DEP_4)
	v_dual_ashrrev_i32 v166, 31, v166 :: v_dual_lshlrev_b32 v170, 28, v167
	v_dual_lshlrev_b32 v171, 27, v167 :: v_dual_lshlrev_b32 v172, 26, v167
	v_cmp_gt_i32_e64 s16, 0, v169
	v_dual_lshlrev_b32 v173, 25, v167 :: v_dual_lshlrev_b32 v174, 24, v167
	v_cmp_gt_i32_e64 s17, 0, v170
	v_not_b32_e32 v169, v170
	v_not_b32_e32 v170, v171
	v_ashrrev_i32_e32 v165, 31, v165
	v_cmp_gt_i32_e64 s18, 0, v171
	v_not_b32_e32 v171, v172
	v_xor_b32_e32 v61, vcc_lo, v61
	v_dual_ashrrev_i32 v169, 31, v169 :: v_dual_bitop2_b32 v166, s16, v166 bitop3:0x14
	v_dual_ashrrev_i32 v170, 31, v170 :: v_dual_bitop2_b32 v165, s15, v165 bitop3:0x14
	v_cmp_gt_i32_e64 s19, 0, v172
	v_cmp_gt_i32_e64 s20, 0, v173
	v_not_b32_e32 v172, v173
	v_not_b32_e32 v173, v174
	v_dual_ashrrev_i32 v171, 31, v171 :: v_dual_bitop2_b32 v169, s17, v169 bitop3:0x14
	v_bitop3_b32 v61, v61, v165, exec_lo bitop3:0x80
	v_cmp_gt_i32_e64 s21, 0, v174
	s_delay_alu instid0(VALU_DEP_4)
	v_dual_ashrrev_i32 v165, 31, v172 :: v_dual_ashrrev_i32 v172, 31, v173
	v_xor_b32_e32 v170, s18, v170
	v_xor_b32_e32 v171, s19, v171
	v_bitop3_b32 v61, v61, v169, v166 bitop3:0x80
	v_mad_u32_u24 v166, v167, 36, v23
	v_xor_b32_e32 v169, s20, v165
	v_xor_b32_e32 v172, s21, v172
	v_mul_u32_u24_e32 v167, 36, v167
	v_bitop3_b32 v61, v61, v171, v170 bitop3:0x80
	ds_load_b32 v165, v166 offset:1056
	; wave barrier
	v_add_nc_u32_e32 v167, v23, v167
	v_bitop3_b32 v61, v61, v172, v169 bitop3:0x80
	s_delay_alu instid0(VALU_DEP_1) | instskip(SKIP_1) | instid1(VALU_DEP_2)
	v_mbcnt_lo_u32_b32 v166, v61, 0
	v_cmp_ne_u32_e64 s15, 0, v61
	v_cmp_eq_u32_e32 vcc_lo, 0, v166
	s_and_b32 s16, s15, vcc_lo
	s_delay_alu instid0(SALU_CYCLE_1)
	s_and_saveexec_b32 s15, s16
	s_cbranch_execz .LBB1966_154
; %bb.153:                              ;   in Loop: Header=BB1966_104 Depth=2
	s_wait_dscnt 0x0
	v_bcnt_u32_b32 v61, v61, v165
	ds_store_b32 v167, v61 offset:1056
.LBB1966_154:                           ;   in Loop: Header=BB1966_104 Depth=2
	s_or_b32 exec_lo, exec_lo, s15
	v_cmp_gt_i16_e64 vcc_lo, 0, v164
	; wave barrier
	s_delay_alu instid0(VALU_DEP_1) | instskip(NEXT) | instid1(VALU_DEP_1)
	v_cndmask_b32_e64 v61, 0x7fff, 0, vcc_lo
	v_xor_b32_e32 v164, v61, v164
	s_delay_alu instid0(VALU_DEP_1) | instskip(SKIP_1) | instid1(VALU_DEP_1)
	v_cmp_ne_u16_e64 vcc_lo, 0x8000, v164
	v_cndmask_b32_e32 v61, 0x7fff, v164, vcc_lo
	v_and_b32_e32 v61, 0xffff, v61
	s_delay_alu instid0(VALU_DEP_1) | instskip(NEXT) | instid1(VALU_DEP_1)
	v_lshrrev_b32_e32 v61, s48, v61
	v_bitop3_b32 v169, v61, 1, s52 bitop3:0x80
	v_and_b32_e32 v171, s52, v61
	s_delay_alu instid0(VALU_DEP_2) | instskip(NEXT) | instid1(VALU_DEP_1)
	v_add_co_u32 v61, s15, v169, -1
	v_cndmask_b32_e64 v169, 0, 1, s15
	s_delay_alu instid0(VALU_DEP_3) | instskip(NEXT) | instid1(VALU_DEP_2)
	v_dual_lshlrev_b32 v170, 30, v171 :: v_dual_lshlrev_b32 v172, 29, v171
	v_cmp_ne_u32_e32 vcc_lo, 0, v169
	s_delay_alu instid0(VALU_DEP_2) | instskip(SKIP_1) | instid1(VALU_DEP_4)
	v_cmp_gt_i32_e64 s15, 0, v170
	v_not_b32_e32 v169, v170
	v_not_b32_e32 v170, v172
	s_delay_alu instid0(VALU_DEP_1) | instskip(SKIP_3) | instid1(VALU_DEP_4)
	v_dual_ashrrev_i32 v170, 31, v170 :: v_dual_lshlrev_b32 v173, 28, v171
	v_dual_lshlrev_b32 v174, 27, v171 :: v_dual_lshlrev_b32 v175, 26, v171
	v_dual_lshlrev_b32 v176, 25, v171 :: v_dual_lshlrev_b32 v177, 24, v171
	v_cmp_gt_i32_e64 s16, 0, v172
	v_not_b32_e32 v172, v173
	v_ashrrev_i32_e32 v169, 31, v169
	v_cmp_gt_i32_e64 s17, 0, v173
	v_cmp_gt_i32_e64 s18, 0, v174
	v_not_b32_e32 v173, v174
	v_cmp_gt_i32_e64 s19, 0, v175
	v_not_b32_e32 v174, v175
	;; [unrolled: 2-line block ×3, first 2 shown]
	v_not_b32_e32 v176, v177
	s_delay_alu instid0(VALU_DEP_4) | instskip(SKIP_3) | instid1(VALU_DEP_3)
	v_dual_ashrrev_i32 v174, 31, v174 :: v_dual_bitop2_b32 v61, vcc_lo, v61 bitop3:0x14
	v_dual_ashrrev_i32 v172, 31, v172 :: v_dual_bitop2_b32 v169, s15, v169 bitop3:0x14
	v_dual_ashrrev_i32 v173, 31, v173 :: v_dual_bitop2_b32 v170, s16, v170 bitop3:0x14
	v_cmp_gt_i32_e64 s21, 0, v177
	v_xor_b32_e32 v172, s17, v172
	s_delay_alu instid0(VALU_DEP_4) | instskip(SKIP_2) | instid1(VALU_DEP_3)
	v_bitop3_b32 v61, v61, v169, exec_lo bitop3:0x80
	v_dual_ashrrev_i32 v169, 31, v175 :: v_dual_ashrrev_i32 v175, 31, v176
	v_xor_b32_e32 v174, s19, v174
	v_bitop3_b32 v61, v61, v172, v170 bitop3:0x80
	v_mad_u32_u24 v170, v171, 36, v23
	v_mul_u32_u24_e32 v171, 36, v171
	v_xor_b32_e32 v173, s18, v173
	v_xor_b32_e32 v172, s20, v169
	;; [unrolled: 1-line block ×3, first 2 shown]
	ds_load_b32 v169, v170 offset:1056
	v_add_nc_u32_e32 v171, v23, v171
	v_bitop3_b32 v61, v61, v174, v173 bitop3:0x80
	; wave barrier
	s_delay_alu instid0(VALU_DEP_1) | instskip(NEXT) | instid1(VALU_DEP_1)
	v_bitop3_b32 v61, v61, v175, v172 bitop3:0x80
	v_mbcnt_lo_u32_b32 v170, v61, 0
	v_cmp_ne_u32_e64 s15, 0, v61
	s_delay_alu instid0(VALU_DEP_2) | instskip(SKIP_1) | instid1(SALU_CYCLE_1)
	v_cmp_eq_u32_e32 vcc_lo, 0, v170
	s_and_b32 s16, s15, vcc_lo
	s_and_saveexec_b32 s15, s16
	s_cbranch_execz .LBB1966_156
; %bb.155:                              ;   in Loop: Header=BB1966_104 Depth=2
	s_wait_dscnt 0x0
	v_bcnt_u32_b32 v61, v61, v169
	ds_store_b32 v171, v61 offset:1056
.LBB1966_156:                           ;   in Loop: Header=BB1966_104 Depth=2
	s_or_b32 exec_lo, exec_lo, s15
	v_cmp_gt_i16_e64 vcc_lo, 0, v168
	; wave barrier
	s_delay_alu instid0(VALU_DEP_1) | instskip(NEXT) | instid1(VALU_DEP_1)
	v_cndmask_b32_e64 v61, 0x7fff, 0, vcc_lo
	v_xor_b32_e32 v168, v61, v168
	s_delay_alu instid0(VALU_DEP_1) | instskip(SKIP_1) | instid1(VALU_DEP_1)
	v_cmp_ne_u16_e64 vcc_lo, 0x8000, v168
	v_cndmask_b32_e32 v61, 0x7fff, v168, vcc_lo
	v_and_b32_e32 v61, 0xffff, v61
	s_delay_alu instid0(VALU_DEP_1) | instskip(NEXT) | instid1(VALU_DEP_1)
	v_lshrrev_b32_e32 v61, s48, v61
	v_bitop3_b32 v172, v61, 1, s52 bitop3:0x80
	v_and_b32_e32 v175, s52, v61
	s_delay_alu instid0(VALU_DEP_2) | instskip(NEXT) | instid1(VALU_DEP_1)
	v_add_co_u32 v61, s15, v172, -1
	v_cndmask_b32_e64 v172, 0, 1, s15
	s_delay_alu instid0(VALU_DEP_3) | instskip(NEXT) | instid1(VALU_DEP_2)
	v_lshlrev_b32_e32 v173, 30, v175
	v_cmp_ne_u32_e32 vcc_lo, 0, v172
	s_delay_alu instid0(VALU_DEP_2) | instskip(NEXT) | instid1(VALU_DEP_1)
	v_not_b32_e32 v172, v173
	v_dual_ashrrev_i32 v172, 31, v172 :: v_dual_lshlrev_b32 v174, 29, v175
	v_dual_lshlrev_b32 v176, 28, v175 :: v_dual_lshlrev_b32 v177, 27, v175
	v_lshlrev_b32_e32 v178, 26, v175
	v_cmp_gt_i32_e64 s15, 0, v173
	s_delay_alu instid0(VALU_DEP_4)
	v_cmp_gt_i32_e64 s16, 0, v174
	v_not_b32_e32 v173, v174
	v_not_b32_e32 v174, v176
	v_dual_lshlrev_b32 v179, 25, v175 :: v_dual_lshlrev_b32 v180, 24, v175
	v_cmp_gt_i32_e64 s17, 0, v176
	v_cmp_gt_i32_e64 s18, 0, v177
	v_not_b32_e32 v176, v177
	v_not_b32_e32 v177, v178
	v_dual_ashrrev_i32 v174, 31, v174 :: v_dual_bitop2_b32 v61, vcc_lo, v61 bitop3:0x14
	v_dual_ashrrev_i32 v173, 31, v173 :: v_dual_bitop2_b32 v172, s15, v172 bitop3:0x14
	v_cmp_gt_i32_e64 s19, 0, v178
	v_cmp_gt_i32_e64 s20, 0, v179
	v_not_b32_e32 v178, v179
	v_not_b32_e32 v179, v180
	v_dual_ashrrev_i32 v176, 31, v176 :: v_dual_ashrrev_i32 v177, 31, v177
	v_xor_b32_e32 v173, s16, v173
	v_xor_b32_e32 v174, s17, v174
	v_bitop3_b32 v61, v61, v172, exec_lo bitop3:0x80
	v_cmp_gt_i32_e64 s21, 0, v180
	v_dual_ashrrev_i32 v172, 31, v178 :: v_dual_ashrrev_i32 v178, 31, v179
	v_xor_b32_e32 v176, s18, v176
	v_xor_b32_e32 v177, s19, v177
	v_bitop3_b32 v61, v61, v174, v173 bitop3:0x80
	v_mad_u32_u24 v173, v175, 36, v23
	v_xor_b32_e32 v172, s20, v172
	v_xor_b32_e32 v174, s21, v178
	s_delay_alu instid0(VALU_DEP_4) | instskip(SKIP_3) | instid1(VALU_DEP_2)
	v_bitop3_b32 v61, v61, v177, v176 bitop3:0x80
	ds_load_b32 v173, v173 offset:1056
	; wave barrier
	v_bitop3_b32 v61, v61, v174, v172 bitop3:0x80
	v_mul_u32_u24_e32 v172, 36, v175
	v_mbcnt_lo_u32_b32 v174, v61, 0
	v_cmp_ne_u32_e64 s15, 0, v61
	s_delay_alu instid0(VALU_DEP_3) | instskip(NEXT) | instid1(VALU_DEP_3)
	v_add_nc_u32_e32 v175, v23, v172
	v_cmp_eq_u32_e32 vcc_lo, 0, v174
	s_and_b32 s16, s15, vcc_lo
	s_delay_alu instid0(SALU_CYCLE_1)
	s_and_saveexec_b32 s15, s16
	s_cbranch_execz .LBB1966_158
; %bb.157:                              ;   in Loop: Header=BB1966_104 Depth=2
	s_wait_dscnt 0x0
	v_bcnt_u32_b32 v61, v61, v173
	ds_store_b32 v175, v61 offset:1056
.LBB1966_158:                           ;   in Loop: Header=BB1966_104 Depth=2
	s_or_b32 exec_lo, exec_lo, s15
	v_cmp_gt_i16_e32 vcc_lo, 0, v67
	; wave barrier
	v_cndmask_b32_e64 v61, 0x7fff, 0, vcc_lo
	s_delay_alu instid0(VALU_DEP_1) | instskip(NEXT) | instid1(VALU_DEP_1)
	v_xor_b32_e32 v172, v61, v67
	v_cmp_ne_u16_e64 vcc_lo, 0x8000, v172
	v_cndmask_b32_e32 v61, 0x7fff, v172, vcc_lo
	s_delay_alu instid0(VALU_DEP_1) | instskip(NEXT) | instid1(VALU_DEP_1)
	v_and_b32_e32 v61, 0xffff, v61
	v_lshrrev_b32_e32 v61, s48, v61
	s_delay_alu instid0(VALU_DEP_1) | instskip(SKIP_1) | instid1(VALU_DEP_2)
	v_bitop3_b32 v67, v61, 1, s52 bitop3:0x80
	v_and_b32_e32 v176, s52, v61
	v_add_co_u32 v61, s15, v67, -1
	s_delay_alu instid0(VALU_DEP_1) | instskip(NEXT) | instid1(VALU_DEP_3)
	v_cndmask_b32_e64 v67, 0, 1, s15
	v_lshlrev_b32_e32 v177, 30, v176
	s_delay_alu instid0(VALU_DEP_2) | instskip(NEXT) | instid1(VALU_DEP_2)
	v_cmp_ne_u32_e32 vcc_lo, 0, v67
	v_not_b32_e32 v67, v177
	s_delay_alu instid0(VALU_DEP_1) | instskip(SKIP_4) | instid1(VALU_DEP_4)
	v_dual_ashrrev_i32 v67, 31, v67 :: v_dual_bitop2_b32 v61, vcc_lo, v61 bitop3:0x14
	v_dual_lshlrev_b32 v178, 29, v176 :: v_dual_lshlrev_b32 v179, 28, v176
	v_dual_lshlrev_b32 v180, 27, v176 :: v_dual_lshlrev_b32 v181, 26, v176
	v_lshlrev_b32_e32 v182, 25, v176
	v_cmp_gt_i32_e64 s15, 0, v177
	v_cmp_gt_i32_e64 s16, 0, v178
	v_not_b32_e32 v177, v178
	v_not_b32_e32 v178, v179
	v_lshlrev_b32_e32 v183, 24, v176
	v_cmp_gt_i32_e64 s17, 0, v179
	v_cmp_gt_i32_e64 s18, 0, v180
	v_not_b32_e32 v179, v180
	v_not_b32_e32 v180, v181
	v_dual_ashrrev_i32 v177, 31, v177 :: v_dual_bitop2_b32 v67, s15, v67 bitop3:0x14
	v_ashrrev_i32_e32 v178, 31, v178
	v_cmp_gt_i32_e64 s19, 0, v181
	v_cmp_gt_i32_e64 s20, 0, v182
	v_not_b32_e32 v181, v182
	v_not_b32_e32 v182, v183
	v_dual_ashrrev_i32 v179, 31, v179 :: v_dual_ashrrev_i32 v180, 31, v180
	v_xor_b32_e32 v177, s16, v177
	v_xor_b32_e32 v178, s17, v178
	v_bitop3_b32 v61, v61, v67, exec_lo bitop3:0x80
	v_cmp_gt_i32_e64 s21, 0, v183
	v_dual_ashrrev_i32 v67, 31, v181 :: v_dual_ashrrev_i32 v181, 31, v182
	v_xor_b32_e32 v179, s18, v179
	v_xor_b32_e32 v180, s19, v180
	v_bitop3_b32 v61, v61, v178, v177 bitop3:0x80
	v_mad_u32_u24 v177, v176, 36, v23
	v_xor_b32_e32 v67, s20, v67
	v_xor_b32_e32 v178, s21, v181
	s_delay_alu instid0(VALU_DEP_4) | instskip(SKIP_3) | instid1(VALU_DEP_2)
	v_bitop3_b32 v61, v61, v180, v179 bitop3:0x80
	ds_load_b32 v177, v177 offset:1056
	; wave barrier
	v_bitop3_b32 v61, v61, v178, v67 bitop3:0x80
	v_mul_u32_u24_e32 v67, 36, v176
	v_mbcnt_lo_u32_b32 v178, v61, 0
	v_cmp_ne_u32_e64 s15, 0, v61
	s_delay_alu instid0(VALU_DEP_3) | instskip(NEXT) | instid1(VALU_DEP_3)
	v_add_nc_u32_e32 v179, v23, v67
	v_cmp_eq_u32_e32 vcc_lo, 0, v178
	s_and_b32 s16, s15, vcc_lo
	s_delay_alu instid0(SALU_CYCLE_1)
	s_and_saveexec_b32 s15, s16
	s_cbranch_execz .LBB1966_160
; %bb.159:                              ;   in Loop: Header=BB1966_104 Depth=2
	s_wait_dscnt 0x0
	v_bcnt_u32_b32 v61, v61, v177
	ds_store_b32 v179, v61 offset:1056
.LBB1966_160:                           ;   in Loop: Header=BB1966_104 Depth=2
	s_or_b32 exec_lo, exec_lo, s15
	v_cmp_gt_i16_e32 vcc_lo, 0, v66
	; wave barrier
	v_cndmask_b32_e64 v61, 0x7fff, 0, vcc_lo
	s_delay_alu instid0(VALU_DEP_1) | instskip(NEXT) | instid1(VALU_DEP_1)
	v_xor_b32_e32 v176, v61, v66
	v_cmp_ne_u16_e64 vcc_lo, 0x8000, v176
	v_cndmask_b32_e32 v61, 0x7fff, v176, vcc_lo
	s_delay_alu instid0(VALU_DEP_1) | instskip(NEXT) | instid1(VALU_DEP_1)
	v_and_b32_e32 v61, 0xffff, v61
	v_lshrrev_b32_e32 v61, s48, v61
	s_delay_alu instid0(VALU_DEP_1) | instskip(SKIP_1) | instid1(VALU_DEP_2)
	v_bitop3_b32 v66, v61, 1, s52 bitop3:0x80
	v_and_b32_e32 v67, s52, v61
	v_add_co_u32 v61, s15, v66, -1
	s_delay_alu instid0(VALU_DEP_1) | instskip(NEXT) | instid1(VALU_DEP_3)
	v_cndmask_b32_e64 v66, 0, 1, s15
	v_lshlrev_b32_e32 v180, 30, v67
	s_delay_alu instid0(VALU_DEP_2) | instskip(NEXT) | instid1(VALU_DEP_2)
	v_cmp_ne_u32_e32 vcc_lo, 0, v66
	v_not_b32_e32 v66, v180
	v_cmp_gt_i32_e64 s15, 0, v180
	s_delay_alu instid0(VALU_DEP_2) | instskip(SKIP_3) | instid1(VALU_DEP_4)
	v_dual_ashrrev_i32 v66, 31, v66 :: v_dual_lshlrev_b32 v181, 29, v67
	v_dual_lshlrev_b32 v182, 28, v67 :: v_dual_lshlrev_b32 v183, 27, v67
	v_dual_lshlrev_b32 v184, 26, v67 :: v_dual_lshlrev_b32 v185, 25, v67
	v_lshlrev_b32_e32 v186, 24, v67
	v_cmp_gt_i32_e64 s16, 0, v181
	v_not_b32_e32 v180, v181
	v_not_b32_e32 v181, v182
	v_cmp_gt_i32_e64 s17, 0, v182
	v_cmp_gt_i32_e64 s18, 0, v183
	v_not_b32_e32 v182, v183
	v_not_b32_e32 v183, v184
	v_dual_ashrrev_i32 v180, 31, v180 :: v_dual_bitop2_b32 v61, vcc_lo, v61 bitop3:0x14
	v_dual_ashrrev_i32 v181, 31, v181 :: v_dual_bitop2_b32 v66, s15, v66 bitop3:0x14
	v_cmp_gt_i32_e64 s19, 0, v184
	v_cmp_gt_i32_e64 s20, 0, v185
	v_not_b32_e32 v184, v185
	v_not_b32_e32 v185, v186
	v_dual_ashrrev_i32 v182, 31, v182 :: v_dual_ashrrev_i32 v183, 31, v183
	v_xor_b32_e32 v180, s16, v180
	v_xor_b32_e32 v181, s17, v181
	v_bitop3_b32 v61, v61, v66, exec_lo bitop3:0x80
	v_cmp_gt_i32_e64 s21, 0, v186
	v_dual_ashrrev_i32 v66, 31, v184 :: v_dual_ashrrev_i32 v184, 31, v185
	v_xor_b32_e32 v182, s18, v182
	v_xor_b32_e32 v183, s19, v183
	v_bitop3_b32 v61, v61, v181, v180 bitop3:0x80
	v_mad_u32_u24 v180, v67, 36, v23
	v_xor_b32_e32 v66, s20, v66
	v_xor_b32_e32 v184, s21, v184
	s_delay_alu instid0(VALU_DEP_4) | instskip(SKIP_3) | instid1(VALU_DEP_2)
	v_bitop3_b32 v61, v61, v183, v182 bitop3:0x80
	ds_load_b32 v181, v180 offset:1056
	; wave barrier
	v_bitop3_b32 v61, v61, v184, v66 bitop3:0x80
	v_mul_u32_u24_e32 v66, 36, v67
	v_mbcnt_lo_u32_b32 v182, v61, 0
	v_cmp_ne_u32_e64 s15, 0, v61
	s_delay_alu instid0(VALU_DEP_3) | instskip(NEXT) | instid1(VALU_DEP_3)
	v_add_nc_u32_e32 v183, v23, v66
	v_cmp_eq_u32_e32 vcc_lo, 0, v182
	s_and_b32 s16, s15, vcc_lo
	s_delay_alu instid0(SALU_CYCLE_1)
	s_and_saveexec_b32 s15, s16
	s_cbranch_execz .LBB1966_162
; %bb.161:                              ;   in Loop: Header=BB1966_104 Depth=2
	s_wait_dscnt 0x0
	v_bcnt_u32_b32 v61, v61, v181
	ds_store_b32 v183, v61 offset:1056
.LBB1966_162:                           ;   in Loop: Header=BB1966_104 Depth=2
	s_or_b32 exec_lo, exec_lo, s15
	v_cmp_gt_i16_e32 vcc_lo, 0, v65
	; wave barrier
	v_cndmask_b32_e64 v61, 0x7fff, 0, vcc_lo
	s_delay_alu instid0(VALU_DEP_1) | instskip(NEXT) | instid1(VALU_DEP_1)
	v_xor_b32_e32 v180, v61, v65
	v_cmp_ne_u16_e64 vcc_lo, 0x8000, v180
	v_cndmask_b32_e32 v61, 0x7fff, v180, vcc_lo
	s_delay_alu instid0(VALU_DEP_1) | instskip(NEXT) | instid1(VALU_DEP_1)
	v_and_b32_e32 v61, 0xffff, v61
	v_lshrrev_b32_e32 v61, s48, v61
	s_delay_alu instid0(VALU_DEP_1) | instskip(NEXT) | instid1(VALU_DEP_1)
	v_and_b32_e32 v66, s52, v61
	v_lshlrev_b32_e32 v185, 28, v66
	v_bitop3_b32 v65, v61, 1, s52 bitop3:0x80
	v_dual_lshlrev_b32 v67, 30, v66 :: v_dual_lshlrev_b32 v184, 29, v66
	s_delay_alu instid0(VALU_DEP_3) | instskip(NEXT) | instid1(VALU_DEP_3)
	v_cmp_gt_i32_e64 s17, 0, v185
	v_add_co_u32 v61, s15, v65, -1
	s_delay_alu instid0(VALU_DEP_1) | instskip(NEXT) | instid1(VALU_DEP_4)
	v_cndmask_b32_e64 v65, 0, 1, s15
	v_cmp_gt_i32_e64 s15, 0, v67
	v_cmp_gt_i32_e64 s16, 0, v184
	s_delay_alu instid0(VALU_DEP_3) | instskip(SKIP_3) | instid1(VALU_DEP_2)
	v_cmp_ne_u32_e32 vcc_lo, 0, v65
	v_not_b32_e32 v65, v67
	v_not_b32_e32 v67, v184
	;; [unrolled: 1-line block ×3, first 2 shown]
	v_dual_ashrrev_i32 v65, 31, v65 :: v_dual_ashrrev_i32 v67, 31, v67
	v_dual_lshlrev_b32 v186, 27, v66 :: v_dual_lshlrev_b32 v187, 26, v66
	v_dual_lshlrev_b32 v188, 25, v66 :: v_dual_lshlrev_b32 v189, 24, v66
	s_delay_alu instid0(VALU_DEP_4) | instskip(NEXT) | instid1(VALU_DEP_3)
	v_ashrrev_i32_e32 v184, 31, v184
	v_cmp_gt_i32_e64 s18, 0, v186
	v_not_b32_e32 v185, v186
	v_cmp_gt_i32_e64 s19, 0, v187
	v_not_b32_e32 v186, v187
	;; [unrolled: 2-line block ×3, first 2 shown]
	v_not_b32_e32 v188, v189
	s_delay_alu instid0(VALU_DEP_4) | instskip(SKIP_4) | instid1(VALU_DEP_4)
	v_dual_ashrrev_i32 v186, 31, v186 :: v_dual_bitop2_b32 v61, vcc_lo, v61 bitop3:0x14
	v_xor_b32_e32 v65, s15, v65
	v_dual_ashrrev_i32 v185, 31, v185 :: v_dual_bitop2_b32 v67, s16, v67 bitop3:0x14
	v_xor_b32_e32 v184, s17, v184
	v_cmp_gt_i32_e64 s21, 0, v189
	v_bitop3_b32 v61, v61, v65, exec_lo bitop3:0x80
	v_dual_ashrrev_i32 v65, 31, v187 :: v_dual_ashrrev_i32 v187, 31, v188
	v_xor_b32_e32 v185, s18, v185
	v_xor_b32_e32 v186, s19, v186
	s_delay_alu instid0(VALU_DEP_4) | instskip(SKIP_3) | instid1(VALU_DEP_4)
	v_bitop3_b32 v61, v61, v184, v67 bitop3:0x80
	v_mad_u32_u24 v67, v66, 36, v23
	v_xor_b32_e32 v65, s20, v65
	v_xor_b32_e32 v184, s21, v187
	v_bitop3_b32 v61, v61, v186, v185 bitop3:0x80
	ds_load_b32 v185, v67 offset:1056
	; wave barrier
	v_bitop3_b32 v61, v61, v184, v65 bitop3:0x80
	v_mul_u32_u24_e32 v65, 36, v66
	s_delay_alu instid0(VALU_DEP_2) | instskip(SKIP_1) | instid1(VALU_DEP_3)
	v_mbcnt_lo_u32_b32 v186, v61, 0
	v_cmp_ne_u32_e64 s15, 0, v61
	v_add_nc_u32_e32 v187, v23, v65
	s_delay_alu instid0(VALU_DEP_3) | instskip(SKIP_1) | instid1(SALU_CYCLE_1)
	v_cmp_eq_u32_e32 vcc_lo, 0, v186
	s_and_b32 s16, s15, vcc_lo
	s_and_saveexec_b32 s15, s16
	s_cbranch_execz .LBB1966_164
; %bb.163:                              ;   in Loop: Header=BB1966_104 Depth=2
	s_wait_dscnt 0x0
	v_bcnt_u32_b32 v61, v61, v185
	ds_store_b32 v187, v61 offset:1056
.LBB1966_164:                           ;   in Loop: Header=BB1966_104 Depth=2
	s_or_b32 exec_lo, exec_lo, s15
	v_cmp_gt_i16_e32 vcc_lo, 0, v64
	; wave barrier
	v_cndmask_b32_e64 v61, 0x7fff, 0, vcc_lo
	s_delay_alu instid0(VALU_DEP_1) | instskip(NEXT) | instid1(VALU_DEP_1)
	v_xor_b32_e32 v184, v61, v64
	v_cmp_ne_u16_e64 vcc_lo, 0x8000, v184
	v_cndmask_b32_e32 v61, 0x7fff, v184, vcc_lo
	s_delay_alu instid0(VALU_DEP_1) | instskip(NEXT) | instid1(VALU_DEP_1)
	v_and_b32_e32 v61, 0xffff, v61
	v_lshrrev_b32_e32 v61, s48, v61
	s_delay_alu instid0(VALU_DEP_1) | instskip(SKIP_1) | instid1(VALU_DEP_2)
	v_bitop3_b32 v64, v61, 1, s52 bitop3:0x80
	v_and_b32_e32 v65, s52, v61
	v_add_co_u32 v61, s15, v64, -1
	s_delay_alu instid0(VALU_DEP_1) | instskip(NEXT) | instid1(VALU_DEP_3)
	v_cndmask_b32_e64 v64, 0, 1, s15
	v_lshlrev_b32_e32 v66, 30, v65
	s_delay_alu instid0(VALU_DEP_2) | instskip(NEXT) | instid1(VALU_DEP_2)
	v_cmp_ne_u32_e32 vcc_lo, 0, v64
	v_not_b32_e32 v64, v66
	v_cmp_gt_i32_e64 s15, 0, v66
	s_delay_alu instid0(VALU_DEP_2) | instskip(SKIP_3) | instid1(VALU_DEP_4)
	v_dual_ashrrev_i32 v64, 31, v64 :: v_dual_lshlrev_b32 v67, 29, v65
	v_dual_lshlrev_b32 v188, 28, v65 :: v_dual_lshlrev_b32 v189, 27, v65
	v_dual_lshlrev_b32 v190, 26, v65 :: v_dual_lshlrev_b32 v191, 25, v65
	v_lshlrev_b32_e32 v192, 24, v65
	v_cmp_gt_i32_e64 s16, 0, v67
	v_not_b32_e32 v66, v67
	v_not_b32_e32 v67, v188
	v_cmp_gt_i32_e64 s17, 0, v188
	v_cmp_gt_i32_e64 s18, 0, v189
	v_not_b32_e32 v188, v189
	v_not_b32_e32 v189, v190
	v_dual_ashrrev_i32 v66, 31, v66 :: v_dual_bitop2_b32 v61, vcc_lo, v61 bitop3:0x14
	v_dual_ashrrev_i32 v67, 31, v67 :: v_dual_bitop2_b32 v64, s15, v64 bitop3:0x14
	v_cmp_gt_i32_e64 s19, 0, v190
	v_cmp_gt_i32_e64 s20, 0, v191
	v_not_b32_e32 v190, v191
	v_not_b32_e32 v191, v192
	v_dual_ashrrev_i32 v188, 31, v188 :: v_dual_ashrrev_i32 v189, 31, v189
	v_xor_b32_e32 v66, s16, v66
	v_xor_b32_e32 v67, s17, v67
	v_bitop3_b32 v61, v61, v64, exec_lo bitop3:0x80
	v_cmp_gt_i32_e64 s21, 0, v192
	v_dual_ashrrev_i32 v64, 31, v190 :: v_dual_ashrrev_i32 v190, 31, v191
	v_xor_b32_e32 v188, s18, v188
	v_xor_b32_e32 v189, s19, v189
	v_bitop3_b32 v61, v61, v67, v66 bitop3:0x80
	v_mad_u32_u24 v66, v65, 36, v23
	v_xor_b32_e32 v64, s20, v64
	v_xor_b32_e32 v67, s21, v190
	s_delay_alu instid0(VALU_DEP_4) | instskip(SKIP_3) | instid1(VALU_DEP_2)
	v_bitop3_b32 v61, v61, v189, v188 bitop3:0x80
	ds_load_b32 v189, v66 offset:1056
	; wave barrier
	v_bitop3_b32 v61, v61, v67, v64 bitop3:0x80
	v_mul_u32_u24_e32 v64, 36, v65
	v_mbcnt_lo_u32_b32 v190, v61, 0
	v_cmp_ne_u32_e64 s15, 0, v61
	s_delay_alu instid0(VALU_DEP_3) | instskip(NEXT) | instid1(VALU_DEP_3)
	v_add_nc_u32_e32 v191, v23, v64
	v_cmp_eq_u32_e32 vcc_lo, 0, v190
	s_and_b32 s16, s15, vcc_lo
	s_delay_alu instid0(SALU_CYCLE_1)
	s_and_saveexec_b32 s15, s16
	s_cbranch_execz .LBB1966_166
; %bb.165:                              ;   in Loop: Header=BB1966_104 Depth=2
	s_wait_dscnt 0x0
	v_bcnt_u32_b32 v61, v61, v189
	ds_store_b32 v191, v61 offset:1056
.LBB1966_166:                           ;   in Loop: Header=BB1966_104 Depth=2
	s_or_b32 exec_lo, exec_lo, s15
	v_cmp_gt_i16_e32 vcc_lo, 0, v63
	; wave barrier
	v_cndmask_b32_e64 v61, 0x7fff, 0, vcc_lo
	s_delay_alu instid0(VALU_DEP_1) | instskip(NEXT) | instid1(VALU_DEP_1)
	v_xor_b32_e32 v188, v61, v63
	v_cmp_ne_u16_e64 vcc_lo, 0x8000, v188
	v_cndmask_b32_e32 v61, 0x7fff, v188, vcc_lo
	s_delay_alu instid0(VALU_DEP_1) | instskip(NEXT) | instid1(VALU_DEP_1)
	v_and_b32_e32 v61, 0xffff, v61
	v_lshrrev_b32_e32 v61, s48, v61
	s_delay_alu instid0(VALU_DEP_1) | instskip(SKIP_1) | instid1(VALU_DEP_2)
	v_bitop3_b32 v63, v61, 1, s52 bitop3:0x80
	v_and_b32_e32 v64, s52, v61
	v_add_co_u32 v61, s15, v63, -1
	s_delay_alu instid0(VALU_DEP_1) | instskip(NEXT) | instid1(VALU_DEP_3)
	v_cndmask_b32_e64 v63, 0, 1, s15
	v_lshlrev_b32_e32 v65, 30, v64
	s_delay_alu instid0(VALU_DEP_2) | instskip(NEXT) | instid1(VALU_DEP_2)
	v_cmp_ne_u32_e32 vcc_lo, 0, v63
	v_not_b32_e32 v63, v65
	s_delay_alu instid0(VALU_DEP_1) | instskip(SKIP_4) | instid1(VALU_DEP_4)
	v_dual_ashrrev_i32 v63, 31, v63 :: v_dual_bitop2_b32 v61, vcc_lo, v61 bitop3:0x14
	v_dual_lshlrev_b32 v66, 29, v64 :: v_dual_lshlrev_b32 v67, 28, v64
	v_dual_lshlrev_b32 v192, 27, v64 :: v_dual_lshlrev_b32 v193, 26, v64
	v_lshlrev_b32_e32 v194, 25, v64
	v_cmp_gt_i32_e64 s15, 0, v65
	v_cmp_gt_i32_e64 s16, 0, v66
	v_not_b32_e32 v65, v66
	v_not_b32_e32 v66, v67
	v_lshlrev_b32_e32 v195, 24, v64
	v_cmp_gt_i32_e64 s17, 0, v67
	v_cmp_gt_i32_e64 s18, 0, v192
	v_not_b32_e32 v67, v192
	v_not_b32_e32 v192, v193
	v_dual_ashrrev_i32 v65, 31, v65 :: v_dual_bitop2_b32 v63, s15, v63 bitop3:0x14
	v_ashrrev_i32_e32 v66, 31, v66
	v_cmp_gt_i32_e64 s19, 0, v193
	v_cmp_gt_i32_e64 s20, 0, v194
	v_not_b32_e32 v193, v194
	v_not_b32_e32 v194, v195
	v_dual_ashrrev_i32 v67, 31, v67 :: v_dual_ashrrev_i32 v192, 31, v192
	v_xor_b32_e32 v65, s16, v65
	v_xor_b32_e32 v66, s17, v66
	v_bitop3_b32 v61, v61, v63, exec_lo bitop3:0x80
	v_cmp_gt_i32_e64 s21, 0, v195
	v_dual_ashrrev_i32 v63, 31, v193 :: v_dual_ashrrev_i32 v193, 31, v194
	v_xor_b32_e32 v67, s18, v67
	v_xor_b32_e32 v192, s19, v192
	v_bitop3_b32 v61, v61, v66, v65 bitop3:0x80
	v_mad_u32_u24 v65, v64, 36, v23
	v_xor_b32_e32 v63, s20, v63
	v_xor_b32_e32 v66, s21, v193
	s_delay_alu instid0(VALU_DEP_4) | instskip(SKIP_3) | instid1(VALU_DEP_2)
	v_bitop3_b32 v61, v61, v192, v67 bitop3:0x80
	ds_load_b32 v193, v65 offset:1056
	; wave barrier
	v_bitop3_b32 v61, v61, v66, v63 bitop3:0x80
	v_mul_u32_u24_e32 v63, 36, v64
	v_mbcnt_lo_u32_b32 v194, v61, 0
	v_cmp_ne_u32_e64 s15, 0, v61
	s_delay_alu instid0(VALU_DEP_3) | instskip(NEXT) | instid1(VALU_DEP_3)
	v_add_nc_u32_e32 v195, v23, v63
	v_cmp_eq_u32_e32 vcc_lo, 0, v194
	s_and_b32 s16, s15, vcc_lo
	s_delay_alu instid0(SALU_CYCLE_1)
	s_and_saveexec_b32 s15, s16
	s_cbranch_execz .LBB1966_168
; %bb.167:                              ;   in Loop: Header=BB1966_104 Depth=2
	s_wait_dscnt 0x0
	v_bcnt_u32_b32 v61, v61, v193
	ds_store_b32 v195, v61 offset:1056
.LBB1966_168:                           ;   in Loop: Header=BB1966_104 Depth=2
	s_or_b32 exec_lo, exec_lo, s15
	v_cmp_gt_i16_e32 vcc_lo, 0, v62
	; wave barrier
	v_cndmask_b32_e64 v61, 0x7fff, 0, vcc_lo
	s_delay_alu instid0(VALU_DEP_1) | instskip(NEXT) | instid1(VALU_DEP_1)
	v_xor_b32_e32 v192, v61, v62
	v_cmp_ne_u16_e64 vcc_lo, 0x8000, v192
	v_cndmask_b32_e32 v61, 0x7fff, v192, vcc_lo
	s_delay_alu instid0(VALU_DEP_1) | instskip(NEXT) | instid1(VALU_DEP_1)
	v_and_b32_e32 v61, 0xffff, v61
	v_lshrrev_b32_e32 v61, s48, v61
	s_delay_alu instid0(VALU_DEP_1) | instskip(SKIP_1) | instid1(VALU_DEP_2)
	v_bitop3_b32 v62, v61, 1, s52 bitop3:0x80
	v_and_b32_e32 v63, s52, v61
	v_add_co_u32 v61, s15, v62, -1
	s_delay_alu instid0(VALU_DEP_1) | instskip(NEXT) | instid1(VALU_DEP_3)
	v_cndmask_b32_e64 v62, 0, 1, s15
	v_lshlrev_b32_e32 v64, 30, v63
	s_delay_alu instid0(VALU_DEP_2) | instskip(NEXT) | instid1(VALU_DEP_2)
	v_cmp_ne_u32_e32 vcc_lo, 0, v62
	v_not_b32_e32 v62, v64
	v_cmp_gt_i32_e64 s15, 0, v64
	s_delay_alu instid0(VALU_DEP_2) | instskip(SKIP_3) | instid1(VALU_DEP_4)
	v_dual_ashrrev_i32 v62, 31, v62 :: v_dual_lshlrev_b32 v65, 29, v63
	v_dual_lshlrev_b32 v66, 28, v63 :: v_dual_lshlrev_b32 v67, 27, v63
	v_dual_lshlrev_b32 v196, 26, v63 :: v_dual_lshlrev_b32 v197, 25, v63
	v_lshlrev_b32_e32 v198, 24, v63
	v_cmp_gt_i32_e64 s16, 0, v65
	v_not_b32_e32 v64, v65
	v_not_b32_e32 v65, v66
	v_cmp_gt_i32_e64 s17, 0, v66
	v_cmp_gt_i32_e64 s18, 0, v67
	v_not_b32_e32 v66, v67
	v_not_b32_e32 v67, v196
	v_dual_ashrrev_i32 v64, 31, v64 :: v_dual_bitop2_b32 v61, vcc_lo, v61 bitop3:0x14
	v_dual_ashrrev_i32 v65, 31, v65 :: v_dual_bitop2_b32 v62, s15, v62 bitop3:0x14
	v_cmp_gt_i32_e64 s19, 0, v196
	v_cmp_gt_i32_e64 s20, 0, v197
	v_not_b32_e32 v196, v197
	v_not_b32_e32 v197, v198
	v_dual_ashrrev_i32 v66, 31, v66 :: v_dual_ashrrev_i32 v67, 31, v67
	v_xor_b32_e32 v64, s16, v64
	v_xor_b32_e32 v65, s17, v65
	v_bitop3_b32 v61, v61, v62, exec_lo bitop3:0x80
	v_cmp_gt_i32_e64 s21, 0, v198
	v_dual_ashrrev_i32 v62, 31, v196 :: v_dual_ashrrev_i32 v196, 31, v197
	v_xor_b32_e32 v66, s18, v66
	v_xor_b32_e32 v67, s19, v67
	v_bitop3_b32 v61, v61, v65, v64 bitop3:0x80
	v_mad_u32_u24 v64, v63, 36, v23
	v_xor_b32_e32 v62, s20, v62
	v_xor_b32_e32 v65, s21, v196
	s_delay_alu instid0(VALU_DEP_4) | instskip(SKIP_3) | instid1(VALU_DEP_2)
	v_bitop3_b32 v61, v61, v67, v66 bitop3:0x80
	ds_load_b32 v197, v64 offset:1056
	; wave barrier
	v_bitop3_b32 v61, v61, v65, v62 bitop3:0x80
	v_mul_u32_u24_e32 v62, 36, v63
	v_mbcnt_lo_u32_b32 v198, v61, 0
	v_cmp_ne_u32_e64 s15, 0, v61
	s_delay_alu instid0(VALU_DEP_3) | instskip(NEXT) | instid1(VALU_DEP_3)
	v_add_nc_u32_e32 v199, v23, v62
	v_cmp_eq_u32_e32 vcc_lo, 0, v198
	s_and_b32 s16, s15, vcc_lo
	s_delay_alu instid0(SALU_CYCLE_1)
	s_and_saveexec_b32 s15, s16
	s_cbranch_execz .LBB1966_170
; %bb.169:                              ;   in Loop: Header=BB1966_104 Depth=2
	s_wait_dscnt 0x0
	v_bcnt_u32_b32 v61, v61, v197
	ds_store_b32 v199, v61 offset:1056
.LBB1966_170:                           ;   in Loop: Header=BB1966_104 Depth=2
	s_or_b32 exec_lo, exec_lo, s15
	v_cmp_gt_i16_e32 vcc_lo, 0, v60
	; wave barrier
	v_cndmask_b32_e64 v61, 0x7fff, 0, vcc_lo
	s_delay_alu instid0(VALU_DEP_1) | instskip(NEXT) | instid1(VALU_DEP_1)
	v_xor_b32_e32 v196, v61, v60
	v_cmp_ne_u16_e64 vcc_lo, 0x8000, v196
	v_cndmask_b32_e32 v60, 0x7fff, v196, vcc_lo
	s_delay_alu instid0(VALU_DEP_1) | instskip(NEXT) | instid1(VALU_DEP_1)
	v_and_b32_e32 v60, 0xffff, v60
	v_lshrrev_b32_e32 v60, s48, v60
	s_delay_alu instid0(VALU_DEP_1) | instskip(SKIP_1) | instid1(VALU_DEP_2)
	v_bitop3_b32 v61, v60, 1, s52 bitop3:0x80
	v_and_b32_e32 v62, s52, v60
	v_add_co_u32 v60, s15, v61, -1
	s_delay_alu instid0(VALU_DEP_1) | instskip(NEXT) | instid1(VALU_DEP_3)
	v_cndmask_b32_e64 v61, 0, 1, s15
	v_lshlrev_b32_e32 v63, 30, v62
	s_delay_alu instid0(VALU_DEP_2) | instskip(NEXT) | instid1(VALU_DEP_2)
	v_cmp_ne_u32_e32 vcc_lo, 0, v61
	v_not_b32_e32 v61, v63
	v_cmp_gt_i32_e64 s15, 0, v63
	s_delay_alu instid0(VALU_DEP_2) | instskip(SKIP_3) | instid1(VALU_DEP_4)
	v_dual_ashrrev_i32 v61, 31, v61 :: v_dual_lshlrev_b32 v64, 29, v62
	v_dual_lshlrev_b32 v65, 28, v62 :: v_dual_lshlrev_b32 v66, 27, v62
	v_dual_lshlrev_b32 v67, 26, v62 :: v_dual_lshlrev_b32 v200, 25, v62
	v_lshlrev_b32_e32 v201, 24, v62
	v_cmp_gt_i32_e64 s16, 0, v64
	v_not_b32_e32 v63, v64
	v_not_b32_e32 v64, v65
	v_cmp_gt_i32_e64 s17, 0, v65
	v_cmp_gt_i32_e64 s18, 0, v66
	v_not_b32_e32 v65, v66
	v_not_b32_e32 v66, v67
	v_dual_ashrrev_i32 v63, 31, v63 :: v_dual_bitop2_b32 v60, vcc_lo, v60 bitop3:0x14
	v_dual_ashrrev_i32 v64, 31, v64 :: v_dual_bitop2_b32 v61, s15, v61 bitop3:0x14
	v_cmp_gt_i32_e64 s19, 0, v67
	v_cmp_gt_i32_e64 s20, 0, v200
	v_not_b32_e32 v67, v200
	v_not_b32_e32 v200, v201
	v_dual_ashrrev_i32 v65, 31, v65 :: v_dual_ashrrev_i32 v66, 31, v66
	v_xor_b32_e32 v63, s16, v63
	v_xor_b32_e32 v64, s17, v64
	v_bitop3_b32 v60, v60, v61, exec_lo bitop3:0x80
	v_cmp_gt_i32_e64 s21, 0, v201
	v_dual_ashrrev_i32 v61, 31, v67 :: v_dual_ashrrev_i32 v67, 31, v200
	v_xor_b32_e32 v65, s18, v65
	v_xor_b32_e32 v66, s19, v66
	v_bitop3_b32 v60, v60, v64, v63 bitop3:0x80
	v_mad_u32_u24 v63, v62, 36, v23
	v_xor_b32_e32 v61, s20, v61
	v_xor_b32_e32 v64, s21, v67
	s_delay_alu instid0(VALU_DEP_4) | instskip(SKIP_3) | instid1(VALU_DEP_2)
	v_bitop3_b32 v60, v60, v66, v65 bitop3:0x80
	ds_load_b32 v200, v63 offset:1056
	; wave barrier
	v_bitop3_b32 v60, v60, v64, v61 bitop3:0x80
	v_mul_u32_u24_e32 v61, 36, v62
	v_mbcnt_lo_u32_b32 v201, v60, 0
	v_cmp_ne_u32_e64 s15, 0, v60
	s_delay_alu instid0(VALU_DEP_3) | instskip(NEXT) | instid1(VALU_DEP_3)
	v_add_nc_u32_e32 v202, v23, v61
	v_cmp_eq_u32_e32 vcc_lo, 0, v201
	s_and_b32 s16, s15, vcc_lo
	s_delay_alu instid0(SALU_CYCLE_1)
	s_and_saveexec_b32 s15, s16
	s_cbranch_execz .LBB1966_172
; %bb.171:                              ;   in Loop: Header=BB1966_104 Depth=2
	s_wait_dscnt 0x0
	v_bcnt_u32_b32 v60, v60, v200
	ds_store_b32 v202, v60 offset:1056
.LBB1966_172:                           ;   in Loop: Header=BB1966_104 Depth=2
	s_or_b32 exec_lo, exec_lo, s15
	; wave barrier
	s_wait_dscnt 0x0
	s_barrier_signal -1
	s_barrier_wait -1
	ds_load_2addr_b32 v[66:67], v118 offset1:1
	ds_load_2addr_b32 v[64:65], v119 offset1:1
	ds_load_2addr_b32 v[62:63], v120 offset1:1
	ds_load_2addr_b32 v[60:61], v121 offset1:1
	ds_load_b32 v203, v91 offset:1088
	s_wait_dscnt 0x3
	v_add3_u32 v204, v67, v66, v64
	s_wait_dscnt 0x2
	s_delay_alu instid0(VALU_DEP_1) | instskip(SKIP_1) | instid1(VALU_DEP_1)
	v_add3_u32 v204, v204, v65, v62
	s_wait_dscnt 0x1
	v_add3_u32 v204, v204, v63, v60
	s_wait_dscnt 0x0
	s_delay_alu instid0(VALU_DEP_1) | instskip(NEXT) | instid1(VALU_DEP_1)
	v_add3_u32 v203, v204, v61, v203
	v_mov_b32_dpp v204, v203 row_shr:1 row_mask:0xf bank_mask:0xf
	s_delay_alu instid0(VALU_DEP_1) | instskip(NEXT) | instid1(VALU_DEP_1)
	v_cndmask_b32_e64 v204, v204, 0, s7
	v_add_nc_u32_e32 v203, v204, v203
	s_delay_alu instid0(VALU_DEP_1) | instskip(NEXT) | instid1(VALU_DEP_1)
	v_mov_b32_dpp v204, v203 row_shr:2 row_mask:0xf bank_mask:0xf
	v_cndmask_b32_e64 v204, 0, v204, s8
	s_delay_alu instid0(VALU_DEP_1) | instskip(NEXT) | instid1(VALU_DEP_1)
	v_add_nc_u32_e32 v203, v203, v204
	v_mov_b32_dpp v204, v203 row_shr:4 row_mask:0xf bank_mask:0xf
	s_delay_alu instid0(VALU_DEP_1) | instskip(NEXT) | instid1(VALU_DEP_1)
	v_cndmask_b32_e64 v204, 0, v204, s9
	v_add_nc_u32_e32 v203, v203, v204
	s_delay_alu instid0(VALU_DEP_1) | instskip(NEXT) | instid1(VALU_DEP_1)
	v_mov_b32_dpp v204, v203 row_shr:8 row_mask:0xf bank_mask:0xf
	v_cndmask_b32_e64 v204, 0, v204, s10
	s_delay_alu instid0(VALU_DEP_1) | instskip(SKIP_3) | instid1(VALU_DEP_1)
	v_add_nc_u32_e32 v203, v203, v204
	ds_swizzle_b32 v204, v203 offset:swizzle(BROADCAST,32,15)
	s_wait_dscnt 0x0
	v_cndmask_b32_e64 v204, v204, 0, s11
	v_add_nc_u32_e32 v203, v203, v204
	s_and_saveexec_b32 s15, s1
; %bb.173:                              ;   in Loop: Header=BB1966_104 Depth=2
	ds_store_b32 v84, v203 offset:1024
; %bb.174:                              ;   in Loop: Header=BB1966_104 Depth=2
	s_or_b32 exec_lo, exec_lo, s15
	s_wait_dscnt 0x0
	s_barrier_signal -1
	s_barrier_wait -1
	s_and_saveexec_b32 s15, s4
	s_cbranch_execz .LBB1966_176
; %bb.175:                              ;   in Loop: Header=BB1966_104 Depth=2
	ds_load_b32 v204, v92 offset:1024
	s_wait_dscnt 0x0
	v_mov_b32_dpp v205, v204 row_shr:1 row_mask:0xf bank_mask:0xf
	s_delay_alu instid0(VALU_DEP_1) | instskip(NEXT) | instid1(VALU_DEP_1)
	v_cndmask_b32_e64 v205, v205, 0, s12
	v_add_nc_u32_e32 v204, v205, v204
	s_delay_alu instid0(VALU_DEP_1) | instskip(NEXT) | instid1(VALU_DEP_1)
	v_mov_b32_dpp v205, v204 row_shr:2 row_mask:0xf bank_mask:0xf
	v_cndmask_b32_e64 v205, 0, v205, s13
	s_delay_alu instid0(VALU_DEP_1) | instskip(NEXT) | instid1(VALU_DEP_1)
	v_add_nc_u32_e32 v204, v204, v205
	v_mov_b32_dpp v205, v204 row_shr:4 row_mask:0xf bank_mask:0xf
	s_delay_alu instid0(VALU_DEP_1) | instskip(NEXT) | instid1(VALU_DEP_1)
	v_cndmask_b32_e64 v205, 0, v205, s14
	v_add_nc_u32_e32 v204, v204, v205
	ds_store_b32 v92, v204 offset:1024
.LBB1966_176:                           ;   in Loop: Header=BB1966_104 Depth=2
	s_or_b32 exec_lo, exec_lo, s15
	v_mov_b32_e32 v204, 0
	s_wait_dscnt 0x0
	s_barrier_signal -1
	s_barrier_wait -1
	s_and_saveexec_b32 s15, s5
; %bb.177:                              ;   in Loop: Header=BB1966_104 Depth=2
	ds_load_b32 v204, v84 offset:1020
; %bb.178:                              ;   in Loop: Header=BB1966_104 Depth=2
	s_or_b32 exec_lo, exec_lo, s15
	s_wait_dscnt 0x0
	v_add_nc_u32_e32 v203, v204, v203
	ds_bpermute_b32 v203, v122, v203
	s_wait_dscnt 0x0
	v_cndmask_b32_e64 v203, v203, v204, s6
	s_delay_alu instid0(VALU_DEP_1) | instskip(NEXT) | instid1(VALU_DEP_1)
	v_cndmask_b32_e64 v203, v203, 0, s2
	v_add_nc_u32_e32 v66, v203, v66
	s_delay_alu instid0(VALU_DEP_1) | instskip(NEXT) | instid1(VALU_DEP_1)
	v_add_nc_u32_e32 v67, v66, v67
	v_add_nc_u32_e32 v64, v67, v64
	s_delay_alu instid0(VALU_DEP_1) | instskip(NEXT) | instid1(VALU_DEP_1)
	v_add_nc_u32_e32 v65, v64, v65
	;; [unrolled: 3-line block ×3, first 2 shown]
	v_add_nc_u32_e32 v60, v63, v60
	s_delay_alu instid0(VALU_DEP_1)
	v_add_nc_u32_e32 v61, v60, v61
	ds_store_2addr_b32 v121, v63, v60 offset1:1
	ds_store_2addr_b32 v118, v203, v66 offset1:1
	;; [unrolled: 1-line block ×4, first 2 shown]
	ds_store_b32 v91, v61 offset:1088
	s_wait_dscnt 0x0
	s_barrier_signal -1
	s_barrier_wait -1
	ds_load_b32 v63, v143 offset:1056
	ds_load_b32 v65, v147 offset:1056
	;; [unrolled: 1-line block ×17, first 2 shown]
	v_mov_b32_e32 v62, 0x1000
	s_and_saveexec_b32 s15, s3
; %bb.179:                              ;   in Loop: Header=BB1966_104 Depth=2
	ds_load_b32 v62, v91 offset:1092
; %bb.180:                              ;   in Loop: Header=BB1966_104 Depth=2
	s_or_b32 exec_lo, exec_lo, s15
	s_wait_dscnt 0x0
	s_barrier_signal -1
	s_barrier_wait -1
	s_and_saveexec_b32 s15, s0
	s_cbranch_execz .LBB1966_182
; %bb.181:                              ;   in Loop: Header=BB1966_104 Depth=2
	ds_load_b32 v155, v3
	s_wait_dscnt 0x0
	v_sub_nc_u32_e32 v151, v155, v151
	ds_store_b32 v3, v151
.LBB1966_182:                           ;   in Loop: Header=BB1966_104 Depth=2
	s_or_b32 exec_lo, exec_lo, s15
	v_add3_u32 v159, v146, v145, v65
	v_add_nc_u32_e32 v163, v63, v142
	v_add3_u32 v155, v150, v149, v66
	v_add3_u32 v151, v154, v153, v67
	;; [unrolled: 1-line block ×4, first 2 shown]
	v_lshlrev_b32_e32 v60, 1, v159
	v_lshlrev_b32_e32 v153, 1, v163
	v_add3_u32 v150, v158, v157, v143
	v_add3_u32 v147, v166, v165, v203
	;; [unrolled: 1-line block ×4, first 2 shown]
	v_lshlrev_b32_e32 v61, 1, v155
	v_add3_u32 v145, v174, v173, v175
	v_lshlrev_b32_e32 v154, 1, v149
	ds_store_b16 v153, v140 offset:1024
	v_lshlrev_b32_e32 v140, 1, v151
	v_add3_u32 v143, v178, v177, v179
	v_lshlrev_b32_e32 v153, 1, v150
	v_add3_u32 v142, v182, v181, v183
	v_add3_u32 v63, v186, v185, v187
	ds_store_b16 v60, v141 offset:1024
	ds_store_b16 v61, v144 offset:1024
	;; [unrolled: 1-line block ×5, first 2 shown]
	v_dual_lshlrev_b32 v60, 1, v147 :: v_dual_lshlrev_b32 v140, 1, v145
	v_lshlrev_b32_e32 v61, 1, v146
	v_add3_u32 v65, v198, v197, v64
	v_dual_lshlrev_b32 v141, 1, v143 :: v_dual_lshlrev_b32 v144, 1, v142
	v_add3_u32 v64, v201, v200, v167
	ds_store_b16 v60, v160 offset:1024
	ds_store_b16 v61, v164 offset:1024
	;; [unrolled: 1-line block ×5, first 2 shown]
	v_dual_lshlrev_b32 v60, 1, v63 :: v_dual_lshlrev_b32 v140, 1, v66
	v_cmp_lt_u32_e32 vcc_lo, v2, v139
	v_dual_lshlrev_b32 v61, 1, v67 :: v_dual_lshlrev_b32 v141, 1, v65
	v_lshlrev_b32_e32 v144, 1, v64
	ds_store_b16 v60, v180 offset:1024
	ds_store_b16 v61, v184 offset:1024
	;; [unrolled: 1-line block ×5, first 2 shown]
	s_wait_dscnt 0x0
	s_barrier_signal -1
	s_barrier_wait -1
	s_and_saveexec_b32 s16, vcc_lo
	s_cbranch_execnz .LBB1966_251
; %bb.183:                              ;   in Loop: Header=BB1966_104 Depth=2
	s_or_b32 exec_lo, exec_lo, s16
	v_cmp_lt_u32_e64 s15, v68, v139
	s_and_saveexec_b32 s17, s15
	s_cbranch_execnz .LBB1966_252
.LBB1966_184:                           ;   in Loop: Header=BB1966_104 Depth=2
	s_or_b32 exec_lo, exec_lo, s17
	v_cmp_lt_u32_e64 s16, v69, v139
	s_and_saveexec_b32 s18, s16
	s_cbranch_execnz .LBB1966_253
.LBB1966_185:                           ;   in Loop: Header=BB1966_104 Depth=2
	s_or_b32 exec_lo, exec_lo, s18
	v_cmp_lt_u32_e64 s17, v70, v139
	s_and_saveexec_b32 s19, s17
	s_cbranch_execnz .LBB1966_254
.LBB1966_186:                           ;   in Loop: Header=BB1966_104 Depth=2
	s_or_b32 exec_lo, exec_lo, s19
	v_cmp_lt_u32_e64 s18, v71, v139
	s_and_saveexec_b32 s20, s18
	s_cbranch_execnz .LBB1966_255
.LBB1966_187:                           ;   in Loop: Header=BB1966_104 Depth=2
	s_or_b32 exec_lo, exec_lo, s20
	v_cmp_lt_u32_e64 s19, v72, v139
	s_and_saveexec_b32 s21, s19
	s_cbranch_execnz .LBB1966_256
.LBB1966_188:                           ;   in Loop: Header=BB1966_104 Depth=2
	s_or_b32 exec_lo, exec_lo, s21
	v_cmp_lt_u32_e64 s20, v73, v139
	s_and_saveexec_b32 s22, s20
	s_cbranch_execnz .LBB1966_257
.LBB1966_189:                           ;   in Loop: Header=BB1966_104 Depth=2
	s_or_b32 exec_lo, exec_lo, s22
	v_cmp_lt_u32_e64 s21, v74, v139
	s_and_saveexec_b32 s23, s21
	s_cbranch_execnz .LBB1966_258
.LBB1966_190:                           ;   in Loop: Header=BB1966_104 Depth=2
	s_or_b32 exec_lo, exec_lo, s23
	v_cmp_lt_u32_e64 s22, v75, v139
	s_and_saveexec_b32 s24, s22
	s_cbranch_execnz .LBB1966_259
.LBB1966_191:                           ;   in Loop: Header=BB1966_104 Depth=2
	s_or_b32 exec_lo, exec_lo, s24
	v_cmp_lt_u32_e64 s23, v76, v139
	s_and_saveexec_b32 s25, s23
	s_cbranch_execnz .LBB1966_260
.LBB1966_192:                           ;   in Loop: Header=BB1966_104 Depth=2
	s_or_b32 exec_lo, exec_lo, s25
	v_cmp_lt_u32_e64 s24, v77, v139
	s_and_saveexec_b32 s26, s24
	s_cbranch_execnz .LBB1966_261
.LBB1966_193:                           ;   in Loop: Header=BB1966_104 Depth=2
	s_or_b32 exec_lo, exec_lo, s26
	v_cmp_lt_u32_e64 s25, v78, v139
	s_and_saveexec_b32 s27, s25
	s_cbranch_execnz .LBB1966_262
.LBB1966_194:                           ;   in Loop: Header=BB1966_104 Depth=2
	s_or_b32 exec_lo, exec_lo, s27
	v_cmp_lt_u32_e64 s26, v79, v139
	s_and_saveexec_b32 s28, s26
	s_cbranch_execnz .LBB1966_263
.LBB1966_195:                           ;   in Loop: Header=BB1966_104 Depth=2
	s_or_b32 exec_lo, exec_lo, s28
	v_cmp_lt_u32_e64 s27, v80, v139
	s_and_saveexec_b32 s29, s27
	s_cbranch_execnz .LBB1966_264
.LBB1966_196:                           ;   in Loop: Header=BB1966_104 Depth=2
	s_or_b32 exec_lo, exec_lo, s29
	v_cmp_lt_u32_e64 s28, v81, v139
	s_and_saveexec_b32 s30, s28
	s_cbranch_execnz .LBB1966_265
.LBB1966_197:                           ;   in Loop: Header=BB1966_104 Depth=2
	s_or_b32 exec_lo, exec_lo, s30
	v_cmp_lt_u32_e64 s29, v82, v139
	s_and_saveexec_b32 s58, s29
	s_cbranch_execz .LBB1966_199
.LBB1966_198:                           ;   in Loop: Header=BB1966_104 Depth=2
	ds_load_u16 v60, v93 offset:8704
	s_wait_dscnt 0x0
	v_cmp_ne_u16_e64 s30, 0x8000, v60
	s_delay_alu instid0(VALU_DEP_1) | instskip(SKIP_1) | instid1(VALU_DEP_2)
	v_cndmask_b32_e64 v61, 0x7fff, v60, s30
	v_cmp_gt_i16_e64 s30, 0, v60
	v_and_b32_e32 v61, 0xffff, v61
	s_delay_alu instid0(VALU_DEP_2) | instskip(NEXT) | instid1(VALU_DEP_1)
	v_cndmask_b32_e64 v140, 0x7fff, 0, s30
	v_dual_lshrrev_b32 v61, s48, v61 :: v_dual_bitop2_b32 v60, v140, v60 bitop3:0x14
	s_delay_alu instid0(VALU_DEP_1) | instskip(NEXT) | instid1(VALU_DEP_1)
	v_and_b32_e32 v61, s52, v61
	v_lshlrev_b32_e32 v61, 2, v61
	ds_load_b32 v61, v61
	s_wait_dscnt 0x0
	v_add_nc_u32_e32 v61, v61, v82
	global_store_b16 v61, v60, s[38:39] scale_offset
.LBB1966_199:                           ;   in Loop: Header=BB1966_104 Depth=2
	s_wait_xcnt 0x0
	s_or_b32 exec_lo, exec_lo, s58
	v_lshl_add_u64 v[60:61], s[42:43], 3, v[24:25]
	v_cmp_lt_u32_e64 s30, v100, v139
	s_and_saveexec_b32 s42, s30
	s_delay_alu instid0(SALU_CYCLE_1)
	s_xor_b32 s30, exec_lo, s42
	s_cbranch_execnz .LBB1966_266
; %bb.200:                              ;   in Loop: Header=BB1966_104 Depth=2
	s_or_b32 exec_lo, exec_lo, s30
	s_delay_alu instid0(SALU_CYCLE_1)
	s_mov_b32 s42, exec_lo
	v_cmpx_lt_u32_e64 v103, v139
	s_cbranch_execnz .LBB1966_267
.LBB1966_201:                           ;   in Loop: Header=BB1966_104 Depth=2
	s_or_b32 exec_lo, exec_lo, s42
	s_delay_alu instid0(SALU_CYCLE_1)
	s_mov_b32 s42, exec_lo
	v_cmpx_lt_u32_e64 v104, v139
	s_cbranch_execnz .LBB1966_268
.LBB1966_202:                           ;   in Loop: Header=BB1966_104 Depth=2
	s_or_b32 exec_lo, exec_lo, s42
	s_delay_alu instid0(SALU_CYCLE_1)
	s_mov_b32 s42, exec_lo
	v_cmpx_lt_u32_e64 v105, v139
	s_cbranch_execnz .LBB1966_269
.LBB1966_203:                           ;   in Loop: Header=BB1966_104 Depth=2
	s_or_b32 exec_lo, exec_lo, s42
	s_delay_alu instid0(SALU_CYCLE_1)
	s_mov_b32 s42, exec_lo
	v_cmpx_lt_u32_e64 v106, v139
	s_cbranch_execnz .LBB1966_270
.LBB1966_204:                           ;   in Loop: Header=BB1966_104 Depth=2
	s_or_b32 exec_lo, exec_lo, s42
	s_delay_alu instid0(SALU_CYCLE_1)
	s_mov_b32 s42, exec_lo
	v_cmpx_lt_u32_e64 v107, v139
	s_cbranch_execnz .LBB1966_271
.LBB1966_205:                           ;   in Loop: Header=BB1966_104 Depth=2
	s_or_b32 exec_lo, exec_lo, s42
	s_delay_alu instid0(SALU_CYCLE_1)
	s_mov_b32 s42, exec_lo
	v_cmpx_lt_u32_e64 v108, v139
	s_cbranch_execnz .LBB1966_272
.LBB1966_206:                           ;   in Loop: Header=BB1966_104 Depth=2
	s_or_b32 exec_lo, exec_lo, s42
	s_delay_alu instid0(SALU_CYCLE_1)
	s_mov_b32 s42, exec_lo
	v_cmpx_lt_u32_e64 v109, v139
	s_cbranch_execnz .LBB1966_273
.LBB1966_207:                           ;   in Loop: Header=BB1966_104 Depth=2
	s_or_b32 exec_lo, exec_lo, s42
	s_delay_alu instid0(SALU_CYCLE_1)
	s_mov_b32 s42, exec_lo
	v_cmpx_lt_u32_e64 v110, v139
	s_cbranch_execnz .LBB1966_274
.LBB1966_208:                           ;   in Loop: Header=BB1966_104 Depth=2
	s_or_b32 exec_lo, exec_lo, s42
	s_delay_alu instid0(SALU_CYCLE_1)
	s_mov_b32 s42, exec_lo
	v_cmpx_lt_u32_e64 v111, v139
	s_cbranch_execnz .LBB1966_275
.LBB1966_209:                           ;   in Loop: Header=BB1966_104 Depth=2
	s_or_b32 exec_lo, exec_lo, s42
	s_delay_alu instid0(SALU_CYCLE_1)
	s_mov_b32 s42, exec_lo
	v_cmpx_lt_u32_e64 v112, v139
	s_cbranch_execnz .LBB1966_276
.LBB1966_210:                           ;   in Loop: Header=BB1966_104 Depth=2
	s_or_b32 exec_lo, exec_lo, s42
	s_delay_alu instid0(SALU_CYCLE_1)
	s_mov_b32 s42, exec_lo
	v_cmpx_lt_u32_e64 v113, v139
	s_cbranch_execnz .LBB1966_277
.LBB1966_211:                           ;   in Loop: Header=BB1966_104 Depth=2
	s_or_b32 exec_lo, exec_lo, s42
	s_delay_alu instid0(SALU_CYCLE_1)
	s_mov_b32 s42, exec_lo
	v_cmpx_lt_u32_e64 v114, v139
	s_cbranch_execnz .LBB1966_278
.LBB1966_212:                           ;   in Loop: Header=BB1966_104 Depth=2
	s_or_b32 exec_lo, exec_lo, s42
	s_delay_alu instid0(SALU_CYCLE_1)
	s_mov_b32 s42, exec_lo
	v_cmpx_lt_u32_e64 v115, v139
	s_cbranch_execnz .LBB1966_279
.LBB1966_213:                           ;   in Loop: Header=BB1966_104 Depth=2
	s_or_b32 exec_lo, exec_lo, s42
	s_delay_alu instid0(SALU_CYCLE_1)
	s_mov_b32 s42, exec_lo
	v_cmpx_lt_u32_e64 v116, v139
	s_cbranch_execnz .LBB1966_280
.LBB1966_214:                           ;   in Loop: Header=BB1966_104 Depth=2
	s_or_b32 exec_lo, exec_lo, s42
	s_delay_alu instid0(SALU_CYCLE_1)
	s_mov_b32 s42, exec_lo
	v_cmpx_lt_u32_e64 v117, v139
	s_cbranch_execnz .LBB1966_281
.LBB1966_215:                           ;   in Loop: Header=BB1966_104 Depth=2
	s_or_b32 exec_lo, exec_lo, s42
	s_and_saveexec_b32 s42, vcc_lo
	s_cbranch_execnz .LBB1966_282
.LBB1966_216:                           ;   in Loop: Header=BB1966_104 Depth=2
	s_or_b32 exec_lo, exec_lo, s42
	s_and_saveexec_b32 s42, s15
	s_cbranch_execnz .LBB1966_283
.LBB1966_217:                           ;   in Loop: Header=BB1966_104 Depth=2
	s_or_b32 exec_lo, exec_lo, s42
	s_and_saveexec_b32 s42, s16
	s_cbranch_execnz .LBB1966_284
.LBB1966_218:                           ;   in Loop: Header=BB1966_104 Depth=2
	s_or_b32 exec_lo, exec_lo, s42
	s_and_saveexec_b32 s42, s17
	s_cbranch_execnz .LBB1966_285
.LBB1966_219:                           ;   in Loop: Header=BB1966_104 Depth=2
	s_or_b32 exec_lo, exec_lo, s42
	s_and_saveexec_b32 s42, s18
	s_cbranch_execnz .LBB1966_286
.LBB1966_220:                           ;   in Loop: Header=BB1966_104 Depth=2
	s_or_b32 exec_lo, exec_lo, s42
	s_and_saveexec_b32 s42, s19
	s_cbranch_execnz .LBB1966_287
.LBB1966_221:                           ;   in Loop: Header=BB1966_104 Depth=2
	s_or_b32 exec_lo, exec_lo, s42
	s_and_saveexec_b32 s42, s20
	s_cbranch_execnz .LBB1966_288
.LBB1966_222:                           ;   in Loop: Header=BB1966_104 Depth=2
	s_or_b32 exec_lo, exec_lo, s42
	s_and_saveexec_b32 s42, s21
	s_cbranch_execnz .LBB1966_289
.LBB1966_223:                           ;   in Loop: Header=BB1966_104 Depth=2
	s_or_b32 exec_lo, exec_lo, s42
	s_and_saveexec_b32 s42, s22
	s_cbranch_execnz .LBB1966_290
.LBB1966_224:                           ;   in Loop: Header=BB1966_104 Depth=2
	s_or_b32 exec_lo, exec_lo, s42
	s_and_saveexec_b32 s42, s23
	s_cbranch_execnz .LBB1966_291
.LBB1966_225:                           ;   in Loop: Header=BB1966_104 Depth=2
	s_or_b32 exec_lo, exec_lo, s42
	s_and_saveexec_b32 s42, s24
	s_cbranch_execnz .LBB1966_292
.LBB1966_226:                           ;   in Loop: Header=BB1966_104 Depth=2
	s_or_b32 exec_lo, exec_lo, s42
	s_and_saveexec_b32 s42, s25
	s_cbranch_execnz .LBB1966_293
.LBB1966_227:                           ;   in Loop: Header=BB1966_104 Depth=2
	s_or_b32 exec_lo, exec_lo, s42
	s_and_saveexec_b32 s42, s26
	s_cbranch_execnz .LBB1966_294
.LBB1966_228:                           ;   in Loop: Header=BB1966_104 Depth=2
	s_or_b32 exec_lo, exec_lo, s42
	s_and_saveexec_b32 s42, s27
	s_cbranch_execnz .LBB1966_295
.LBB1966_229:                           ;   in Loop: Header=BB1966_104 Depth=2
	s_or_b32 exec_lo, exec_lo, s42
	s_and_saveexec_b32 s42, s28
	s_cbranch_execnz .LBB1966_296
.LBB1966_230:                           ;   in Loop: Header=BB1966_104 Depth=2
	s_or_b32 exec_lo, exec_lo, s42
	s_and_saveexec_b32 s42, s29
	s_cbranch_execz .LBB1966_232
.LBB1966_231:                           ;   in Loop: Header=BB1966_104 Depth=2
	ds_load_u16 v60, v93 offset:8704
	s_wait_dscnt 0x0
	v_cmp_ne_u16_e64 s30, 0x8000, v60
	s_delay_alu instid0(VALU_DEP_1) | instskip(NEXT) | instid1(VALU_DEP_1)
	v_cndmask_b32_e64 v60, 0x7fff, v60, s30
	v_and_b32_e32 v60, 0xffff, v60
	s_delay_alu instid0(VALU_DEP_1) | instskip(NEXT) | instid1(VALU_DEP_1)
	v_lshrrev_b32_e32 v60, s48, v60
	v_and_b32_e32 v123, s52, v60
.LBB1966_232:                           ;   in Loop: Header=BB1966_104 Depth=2
	s_or_b32 exec_lo, exec_lo, s42
	v_dual_lshlrev_b32 v60, 3, v163 :: v_dual_lshlrev_b32 v140, 3, v150
	s_wait_loadcnt 0x0
	s_wait_storecnt 0x0
	s_barrier_signal -1
	s_barrier_wait -1
	ds_store_b64 v60, v[58:59] offset:1024
	v_dual_lshlrev_b32 v60, 3, v159 :: v_dual_lshlrev_b32 v141, 3, v149
	v_lshlrev_b32_e32 v61, 3, v155
	v_lshlrev_b32_e32 v139, 3, v151
	ds_store_b64 v60, v[56:57] offset:1024
	ds_store_b64 v61, v[54:55] offset:1024
	;; [unrolled: 1-line block ×5, first 2 shown]
	v_dual_lshlrev_b32 v60, 3, v147 :: v_dual_lshlrev_b32 v141, 3, v142
	v_dual_lshlrev_b32 v61, 3, v146 :: v_dual_lshlrev_b32 v139, 3, v145
	v_lshlrev_b32_e32 v140, 3, v143
	ds_store_b64 v60, v[46:47] offset:1024
	ds_store_b64 v61, v[44:45] offset:1024
	;; [unrolled: 1-line block ×5, first 2 shown]
	v_dual_lshlrev_b32 v60, 3, v63 :: v_dual_lshlrev_b32 v65, 3, v65
	v_dual_lshlrev_b32 v61, 3, v67 :: v_dual_lshlrev_b32 v64, 3, v64
	v_lshlrev_b32_e32 v63, 3, v66
	ds_store_b64 v60, v[36:37] offset:1024
	ds_store_b64 v61, v[34:35] offset:1024
	ds_store_b64 v63, v[32:33] offset:1024
	ds_store_b64 v65, v[30:31] offset:1024
	ds_store_b64 v64, v[28:29] offset:1024
	s_wait_dscnt 0x0
	s_barrier_signal -1
	s_barrier_wait -1
	s_and_saveexec_b32 s30, vcc_lo
	s_cbranch_execnz .LBB1966_297
; %bb.233:                              ;   in Loop: Header=BB1966_104 Depth=2
	s_or_b32 exec_lo, exec_lo, s30
	s_and_saveexec_b32 s30, s15
	s_cbranch_execnz .LBB1966_298
.LBB1966_234:                           ;   in Loop: Header=BB1966_104 Depth=2
	s_or_b32 exec_lo, exec_lo, s30
	s_and_saveexec_b32 s15, s16
	s_cbranch_execnz .LBB1966_299
.LBB1966_235:                           ;   in Loop: Header=BB1966_104 Depth=2
	s_or_b32 exec_lo, exec_lo, s15
	s_and_saveexec_b32 s15, s17
	s_cbranch_execnz .LBB1966_300
.LBB1966_236:                           ;   in Loop: Header=BB1966_104 Depth=2
	s_or_b32 exec_lo, exec_lo, s15
	s_and_saveexec_b32 s15, s18
	s_cbranch_execnz .LBB1966_301
.LBB1966_237:                           ;   in Loop: Header=BB1966_104 Depth=2
	s_or_b32 exec_lo, exec_lo, s15
	s_and_saveexec_b32 s15, s19
	s_cbranch_execnz .LBB1966_302
.LBB1966_238:                           ;   in Loop: Header=BB1966_104 Depth=2
	s_or_b32 exec_lo, exec_lo, s15
	s_and_saveexec_b32 s15, s20
	s_cbranch_execnz .LBB1966_303
.LBB1966_239:                           ;   in Loop: Header=BB1966_104 Depth=2
	s_or_b32 exec_lo, exec_lo, s15
	s_and_saveexec_b32 s15, s21
	s_cbranch_execnz .LBB1966_304
.LBB1966_240:                           ;   in Loop: Header=BB1966_104 Depth=2
	s_or_b32 exec_lo, exec_lo, s15
	s_and_saveexec_b32 s15, s22
	s_cbranch_execnz .LBB1966_305
.LBB1966_241:                           ;   in Loop: Header=BB1966_104 Depth=2
	s_or_b32 exec_lo, exec_lo, s15
	s_and_saveexec_b32 s15, s23
	s_cbranch_execnz .LBB1966_306
.LBB1966_242:                           ;   in Loop: Header=BB1966_104 Depth=2
	s_or_b32 exec_lo, exec_lo, s15
	s_and_saveexec_b32 s15, s24
	s_cbranch_execnz .LBB1966_307
.LBB1966_243:                           ;   in Loop: Header=BB1966_104 Depth=2
	s_or_b32 exec_lo, exec_lo, s15
	s_and_saveexec_b32 s15, s25
	s_cbranch_execnz .LBB1966_308
.LBB1966_244:                           ;   in Loop: Header=BB1966_104 Depth=2
	s_or_b32 exec_lo, exec_lo, s15
	s_and_saveexec_b32 s15, s26
	s_cbranch_execnz .LBB1966_309
.LBB1966_245:                           ;   in Loop: Header=BB1966_104 Depth=2
	s_or_b32 exec_lo, exec_lo, s15
	s_and_saveexec_b32 s15, s27
	s_cbranch_execnz .LBB1966_310
.LBB1966_246:                           ;   in Loop: Header=BB1966_104 Depth=2
	s_or_b32 exec_lo, exec_lo, s15
	s_and_saveexec_b32 s15, s28
	s_cbranch_execnz .LBB1966_311
.LBB1966_247:                           ;   in Loop: Header=BB1966_104 Depth=2
	s_or_b32 exec_lo, exec_lo, s15
	s_and_saveexec_b32 s15, s29
	s_cbranch_execz .LBB1966_249
.LBB1966_248:                           ;   in Loop: Header=BB1966_104 Depth=2
	v_dual_lshlrev_b32 v60, 2, v123 :: v_dual_add_nc_u32 v61, v93, v94
	ds_load_b32 v63, v60
	ds_load_b64 v[60:61], v61 offset:31744
	s_wait_dscnt 0x1
	v_add_nc_u32_e32 v63, v63, v82
	s_wait_dscnt 0x0
	global_store_b64 v63, v[60:61], s[44:45] scale_offset
.LBB1966_249:                           ;   in Loop: Header=BB1966_104 Depth=2
	s_wait_xcnt 0x0
	s_or_b32 exec_lo, exec_lo, s15
	s_wait_storecnt 0x0
	s_barrier_signal -1
	s_barrier_wait -1
	s_and_saveexec_b32 s15, s0
	s_cbranch_execz .LBB1966_103
; %bb.250:                              ;   in Loop: Header=BB1966_104 Depth=2
	ds_load_b32 v60, v3
	s_wait_dscnt 0x0
	v_add_nc_u32_e32 v60, v60, v62
	ds_store_b32 v3, v60
	s_branch .LBB1966_103
.LBB1966_251:                           ;   in Loop: Header=BB1966_104 Depth=2
	ds_load_u16 v60, v93 offset:1024
	s_wait_dscnt 0x0
	v_cmp_ne_u16_e64 s15, 0x8000, v60
	s_delay_alu instid0(VALU_DEP_1) | instskip(SKIP_1) | instid1(VALU_DEP_2)
	v_cndmask_b32_e64 v61, 0x7fff, v60, s15
	v_cmp_gt_i16_e64 s15, 0, v60
	v_and_b32_e32 v61, 0xffff, v61
	s_delay_alu instid0(VALU_DEP_2) | instskip(NEXT) | instid1(VALU_DEP_1)
	v_cndmask_b32_e64 v140, 0x7fff, 0, s15
	v_dual_lshrrev_b32 v61, s48, v61 :: v_dual_bitop2_b32 v60, v140, v60 bitop3:0x14
	s_delay_alu instid0(VALU_DEP_1) | instskip(NEXT) | instid1(VALU_DEP_1)
	v_and_b32_e32 v61, s52, v61
	v_lshlrev_b32_e32 v61, 2, v61
	ds_load_b32 v61, v61
	s_wait_dscnt 0x0
	v_add_nc_u32_e32 v61, v61, v2
	global_store_b16 v61, v60, s[38:39] scale_offset
	s_wait_xcnt 0x0
	s_or_b32 exec_lo, exec_lo, s16
	v_cmp_lt_u32_e64 s15, v68, v139
	s_and_saveexec_b32 s17, s15
	s_cbranch_execz .LBB1966_184
.LBB1966_252:                           ;   in Loop: Header=BB1966_104 Depth=2
	ds_load_u16 v60, v93 offset:1536
	s_wait_dscnt 0x0
	v_cmp_ne_u16_e64 s16, 0x8000, v60
	s_delay_alu instid0(VALU_DEP_1) | instskip(SKIP_1) | instid1(VALU_DEP_2)
	v_cndmask_b32_e64 v61, 0x7fff, v60, s16
	v_cmp_gt_i16_e64 s16, 0, v60
	v_and_b32_e32 v61, 0xffff, v61
	s_delay_alu instid0(VALU_DEP_2) | instskip(NEXT) | instid1(VALU_DEP_1)
	v_cndmask_b32_e64 v140, 0x7fff, 0, s16
	v_dual_lshrrev_b32 v61, s48, v61 :: v_dual_bitop2_b32 v60, v140, v60 bitop3:0x14
	s_delay_alu instid0(VALU_DEP_1) | instskip(NEXT) | instid1(VALU_DEP_1)
	v_and_b32_e32 v61, s52, v61
	v_lshlrev_b32_e32 v61, 2, v61
	ds_load_b32 v61, v61
	s_wait_dscnt 0x0
	v_add_nc_u32_e32 v61, v61, v68
	global_store_b16 v61, v60, s[38:39] scale_offset
	s_wait_xcnt 0x0
	s_or_b32 exec_lo, exec_lo, s17
	v_cmp_lt_u32_e64 s16, v69, v139
	s_and_saveexec_b32 s18, s16
	s_cbranch_execz .LBB1966_185
.LBB1966_253:                           ;   in Loop: Header=BB1966_104 Depth=2
	ds_load_u16 v60, v93 offset:2048
	s_wait_dscnt 0x0
	v_cmp_ne_u16_e64 s17, 0x8000, v60
	s_delay_alu instid0(VALU_DEP_1) | instskip(SKIP_1) | instid1(VALU_DEP_2)
	v_cndmask_b32_e64 v61, 0x7fff, v60, s17
	v_cmp_gt_i16_e64 s17, 0, v60
	v_and_b32_e32 v61, 0xffff, v61
	s_delay_alu instid0(VALU_DEP_2) | instskip(NEXT) | instid1(VALU_DEP_1)
	v_cndmask_b32_e64 v140, 0x7fff, 0, s17
	v_dual_lshrrev_b32 v61, s48, v61 :: v_dual_bitop2_b32 v60, v140, v60 bitop3:0x14
	s_delay_alu instid0(VALU_DEP_1) | instskip(NEXT) | instid1(VALU_DEP_1)
	v_and_b32_e32 v61, s52, v61
	v_lshlrev_b32_e32 v61, 2, v61
	ds_load_b32 v61, v61
	s_wait_dscnt 0x0
	v_add_nc_u32_e32 v61, v61, v69
	global_store_b16 v61, v60, s[38:39] scale_offset
	s_wait_xcnt 0x0
	s_or_b32 exec_lo, exec_lo, s18
	v_cmp_lt_u32_e64 s17, v70, v139
	s_and_saveexec_b32 s19, s17
	s_cbranch_execz .LBB1966_186
.LBB1966_254:                           ;   in Loop: Header=BB1966_104 Depth=2
	ds_load_u16 v60, v93 offset:2560
	s_wait_dscnt 0x0
	v_cmp_ne_u16_e64 s18, 0x8000, v60
	s_delay_alu instid0(VALU_DEP_1) | instskip(SKIP_1) | instid1(VALU_DEP_2)
	v_cndmask_b32_e64 v61, 0x7fff, v60, s18
	v_cmp_gt_i16_e64 s18, 0, v60
	v_and_b32_e32 v61, 0xffff, v61
	s_delay_alu instid0(VALU_DEP_2) | instskip(NEXT) | instid1(VALU_DEP_1)
	v_cndmask_b32_e64 v140, 0x7fff, 0, s18
	v_dual_lshrrev_b32 v61, s48, v61 :: v_dual_bitop2_b32 v60, v140, v60 bitop3:0x14
	s_delay_alu instid0(VALU_DEP_1) | instskip(NEXT) | instid1(VALU_DEP_1)
	v_and_b32_e32 v61, s52, v61
	v_lshlrev_b32_e32 v61, 2, v61
	ds_load_b32 v61, v61
	s_wait_dscnt 0x0
	v_add_nc_u32_e32 v61, v61, v70
	global_store_b16 v61, v60, s[38:39] scale_offset
	s_wait_xcnt 0x0
	s_or_b32 exec_lo, exec_lo, s19
	v_cmp_lt_u32_e64 s18, v71, v139
	s_and_saveexec_b32 s20, s18
	s_cbranch_execz .LBB1966_187
.LBB1966_255:                           ;   in Loop: Header=BB1966_104 Depth=2
	ds_load_u16 v60, v93 offset:3072
	s_wait_dscnt 0x0
	v_cmp_ne_u16_e64 s19, 0x8000, v60
	s_delay_alu instid0(VALU_DEP_1) | instskip(SKIP_1) | instid1(VALU_DEP_2)
	v_cndmask_b32_e64 v61, 0x7fff, v60, s19
	v_cmp_gt_i16_e64 s19, 0, v60
	v_and_b32_e32 v61, 0xffff, v61
	s_delay_alu instid0(VALU_DEP_2) | instskip(NEXT) | instid1(VALU_DEP_1)
	v_cndmask_b32_e64 v140, 0x7fff, 0, s19
	v_dual_lshrrev_b32 v61, s48, v61 :: v_dual_bitop2_b32 v60, v140, v60 bitop3:0x14
	s_delay_alu instid0(VALU_DEP_1) | instskip(NEXT) | instid1(VALU_DEP_1)
	v_and_b32_e32 v61, s52, v61
	v_lshlrev_b32_e32 v61, 2, v61
	ds_load_b32 v61, v61
	s_wait_dscnt 0x0
	v_add_nc_u32_e32 v61, v61, v71
	global_store_b16 v61, v60, s[38:39] scale_offset
	s_wait_xcnt 0x0
	s_or_b32 exec_lo, exec_lo, s20
	v_cmp_lt_u32_e64 s19, v72, v139
	s_and_saveexec_b32 s21, s19
	s_cbranch_execz .LBB1966_188
.LBB1966_256:                           ;   in Loop: Header=BB1966_104 Depth=2
	ds_load_u16 v60, v93 offset:3584
	s_wait_dscnt 0x0
	v_cmp_ne_u16_e64 s20, 0x8000, v60
	s_delay_alu instid0(VALU_DEP_1) | instskip(SKIP_1) | instid1(VALU_DEP_2)
	v_cndmask_b32_e64 v61, 0x7fff, v60, s20
	v_cmp_gt_i16_e64 s20, 0, v60
	v_and_b32_e32 v61, 0xffff, v61
	s_delay_alu instid0(VALU_DEP_2) | instskip(NEXT) | instid1(VALU_DEP_1)
	v_cndmask_b32_e64 v140, 0x7fff, 0, s20
	v_dual_lshrrev_b32 v61, s48, v61 :: v_dual_bitop2_b32 v60, v140, v60 bitop3:0x14
	s_delay_alu instid0(VALU_DEP_1) | instskip(NEXT) | instid1(VALU_DEP_1)
	v_and_b32_e32 v61, s52, v61
	v_lshlrev_b32_e32 v61, 2, v61
	ds_load_b32 v61, v61
	s_wait_dscnt 0x0
	v_add_nc_u32_e32 v61, v61, v72
	global_store_b16 v61, v60, s[38:39] scale_offset
	s_wait_xcnt 0x0
	s_or_b32 exec_lo, exec_lo, s21
	v_cmp_lt_u32_e64 s20, v73, v139
	s_and_saveexec_b32 s22, s20
	s_cbranch_execz .LBB1966_189
.LBB1966_257:                           ;   in Loop: Header=BB1966_104 Depth=2
	ds_load_u16 v60, v93 offset:4096
	s_wait_dscnt 0x0
	v_cmp_ne_u16_e64 s21, 0x8000, v60
	s_delay_alu instid0(VALU_DEP_1) | instskip(SKIP_1) | instid1(VALU_DEP_2)
	v_cndmask_b32_e64 v61, 0x7fff, v60, s21
	v_cmp_gt_i16_e64 s21, 0, v60
	v_and_b32_e32 v61, 0xffff, v61
	s_delay_alu instid0(VALU_DEP_2) | instskip(NEXT) | instid1(VALU_DEP_1)
	v_cndmask_b32_e64 v140, 0x7fff, 0, s21
	v_dual_lshrrev_b32 v61, s48, v61 :: v_dual_bitop2_b32 v60, v140, v60 bitop3:0x14
	s_delay_alu instid0(VALU_DEP_1) | instskip(NEXT) | instid1(VALU_DEP_1)
	v_and_b32_e32 v61, s52, v61
	v_lshlrev_b32_e32 v61, 2, v61
	ds_load_b32 v61, v61
	s_wait_dscnt 0x0
	v_add_nc_u32_e32 v61, v61, v73
	global_store_b16 v61, v60, s[38:39] scale_offset
	s_wait_xcnt 0x0
	s_or_b32 exec_lo, exec_lo, s22
	v_cmp_lt_u32_e64 s21, v74, v139
	s_and_saveexec_b32 s23, s21
	s_cbranch_execz .LBB1966_190
.LBB1966_258:                           ;   in Loop: Header=BB1966_104 Depth=2
	ds_load_u16 v60, v93 offset:4608
	s_wait_dscnt 0x0
	v_cmp_ne_u16_e64 s22, 0x8000, v60
	s_delay_alu instid0(VALU_DEP_1) | instskip(SKIP_1) | instid1(VALU_DEP_2)
	v_cndmask_b32_e64 v61, 0x7fff, v60, s22
	v_cmp_gt_i16_e64 s22, 0, v60
	v_and_b32_e32 v61, 0xffff, v61
	s_delay_alu instid0(VALU_DEP_2) | instskip(NEXT) | instid1(VALU_DEP_1)
	v_cndmask_b32_e64 v140, 0x7fff, 0, s22
	v_dual_lshrrev_b32 v61, s48, v61 :: v_dual_bitop2_b32 v60, v140, v60 bitop3:0x14
	s_delay_alu instid0(VALU_DEP_1) | instskip(NEXT) | instid1(VALU_DEP_1)
	v_and_b32_e32 v61, s52, v61
	v_lshlrev_b32_e32 v61, 2, v61
	ds_load_b32 v61, v61
	s_wait_dscnt 0x0
	v_add_nc_u32_e32 v61, v61, v74
	global_store_b16 v61, v60, s[38:39] scale_offset
	s_wait_xcnt 0x0
	s_or_b32 exec_lo, exec_lo, s23
	v_cmp_lt_u32_e64 s22, v75, v139
	s_and_saveexec_b32 s24, s22
	s_cbranch_execz .LBB1966_191
.LBB1966_259:                           ;   in Loop: Header=BB1966_104 Depth=2
	ds_load_u16 v60, v93 offset:5120
	s_wait_dscnt 0x0
	v_cmp_ne_u16_e64 s23, 0x8000, v60
	s_delay_alu instid0(VALU_DEP_1) | instskip(SKIP_1) | instid1(VALU_DEP_2)
	v_cndmask_b32_e64 v61, 0x7fff, v60, s23
	v_cmp_gt_i16_e64 s23, 0, v60
	v_and_b32_e32 v61, 0xffff, v61
	s_delay_alu instid0(VALU_DEP_2) | instskip(NEXT) | instid1(VALU_DEP_1)
	v_cndmask_b32_e64 v140, 0x7fff, 0, s23
	v_dual_lshrrev_b32 v61, s48, v61 :: v_dual_bitop2_b32 v60, v140, v60 bitop3:0x14
	s_delay_alu instid0(VALU_DEP_1) | instskip(NEXT) | instid1(VALU_DEP_1)
	v_and_b32_e32 v61, s52, v61
	v_lshlrev_b32_e32 v61, 2, v61
	ds_load_b32 v61, v61
	s_wait_dscnt 0x0
	v_add_nc_u32_e32 v61, v61, v75
	global_store_b16 v61, v60, s[38:39] scale_offset
	s_wait_xcnt 0x0
	s_or_b32 exec_lo, exec_lo, s24
	v_cmp_lt_u32_e64 s23, v76, v139
	s_and_saveexec_b32 s25, s23
	s_cbranch_execz .LBB1966_192
.LBB1966_260:                           ;   in Loop: Header=BB1966_104 Depth=2
	ds_load_u16 v60, v93 offset:5632
	s_wait_dscnt 0x0
	v_cmp_ne_u16_e64 s24, 0x8000, v60
	s_delay_alu instid0(VALU_DEP_1) | instskip(SKIP_1) | instid1(VALU_DEP_2)
	v_cndmask_b32_e64 v61, 0x7fff, v60, s24
	v_cmp_gt_i16_e64 s24, 0, v60
	v_and_b32_e32 v61, 0xffff, v61
	s_delay_alu instid0(VALU_DEP_2) | instskip(NEXT) | instid1(VALU_DEP_1)
	v_cndmask_b32_e64 v140, 0x7fff, 0, s24
	v_dual_lshrrev_b32 v61, s48, v61 :: v_dual_bitop2_b32 v60, v140, v60 bitop3:0x14
	s_delay_alu instid0(VALU_DEP_1) | instskip(NEXT) | instid1(VALU_DEP_1)
	v_and_b32_e32 v61, s52, v61
	v_lshlrev_b32_e32 v61, 2, v61
	ds_load_b32 v61, v61
	s_wait_dscnt 0x0
	v_add_nc_u32_e32 v61, v61, v76
	global_store_b16 v61, v60, s[38:39] scale_offset
	s_wait_xcnt 0x0
	s_or_b32 exec_lo, exec_lo, s25
	v_cmp_lt_u32_e64 s24, v77, v139
	s_and_saveexec_b32 s26, s24
	s_cbranch_execz .LBB1966_193
.LBB1966_261:                           ;   in Loop: Header=BB1966_104 Depth=2
	ds_load_u16 v60, v93 offset:6144
	s_wait_dscnt 0x0
	v_cmp_ne_u16_e64 s25, 0x8000, v60
	s_delay_alu instid0(VALU_DEP_1) | instskip(SKIP_1) | instid1(VALU_DEP_2)
	v_cndmask_b32_e64 v61, 0x7fff, v60, s25
	v_cmp_gt_i16_e64 s25, 0, v60
	v_and_b32_e32 v61, 0xffff, v61
	s_delay_alu instid0(VALU_DEP_2) | instskip(NEXT) | instid1(VALU_DEP_1)
	v_cndmask_b32_e64 v140, 0x7fff, 0, s25
	v_dual_lshrrev_b32 v61, s48, v61 :: v_dual_bitop2_b32 v60, v140, v60 bitop3:0x14
	s_delay_alu instid0(VALU_DEP_1) | instskip(NEXT) | instid1(VALU_DEP_1)
	v_and_b32_e32 v61, s52, v61
	v_lshlrev_b32_e32 v61, 2, v61
	ds_load_b32 v61, v61
	s_wait_dscnt 0x0
	v_add_nc_u32_e32 v61, v61, v77
	global_store_b16 v61, v60, s[38:39] scale_offset
	s_wait_xcnt 0x0
	s_or_b32 exec_lo, exec_lo, s26
	v_cmp_lt_u32_e64 s25, v78, v139
	s_and_saveexec_b32 s27, s25
	s_cbranch_execz .LBB1966_194
.LBB1966_262:                           ;   in Loop: Header=BB1966_104 Depth=2
	ds_load_u16 v60, v93 offset:6656
	s_wait_dscnt 0x0
	v_cmp_ne_u16_e64 s26, 0x8000, v60
	s_delay_alu instid0(VALU_DEP_1) | instskip(SKIP_1) | instid1(VALU_DEP_2)
	v_cndmask_b32_e64 v61, 0x7fff, v60, s26
	v_cmp_gt_i16_e64 s26, 0, v60
	v_and_b32_e32 v61, 0xffff, v61
	s_delay_alu instid0(VALU_DEP_2) | instskip(NEXT) | instid1(VALU_DEP_1)
	v_cndmask_b32_e64 v140, 0x7fff, 0, s26
	v_dual_lshrrev_b32 v61, s48, v61 :: v_dual_bitop2_b32 v60, v140, v60 bitop3:0x14
	s_delay_alu instid0(VALU_DEP_1) | instskip(NEXT) | instid1(VALU_DEP_1)
	v_and_b32_e32 v61, s52, v61
	v_lshlrev_b32_e32 v61, 2, v61
	ds_load_b32 v61, v61
	s_wait_dscnt 0x0
	v_add_nc_u32_e32 v61, v61, v78
	global_store_b16 v61, v60, s[38:39] scale_offset
	s_wait_xcnt 0x0
	s_or_b32 exec_lo, exec_lo, s27
	v_cmp_lt_u32_e64 s26, v79, v139
	s_and_saveexec_b32 s28, s26
	s_cbranch_execz .LBB1966_195
.LBB1966_263:                           ;   in Loop: Header=BB1966_104 Depth=2
	ds_load_u16 v60, v93 offset:7168
	s_wait_dscnt 0x0
	v_cmp_ne_u16_e64 s27, 0x8000, v60
	s_delay_alu instid0(VALU_DEP_1) | instskip(SKIP_1) | instid1(VALU_DEP_2)
	v_cndmask_b32_e64 v61, 0x7fff, v60, s27
	v_cmp_gt_i16_e64 s27, 0, v60
	v_and_b32_e32 v61, 0xffff, v61
	s_delay_alu instid0(VALU_DEP_2) | instskip(NEXT) | instid1(VALU_DEP_1)
	v_cndmask_b32_e64 v140, 0x7fff, 0, s27
	v_dual_lshrrev_b32 v61, s48, v61 :: v_dual_bitop2_b32 v60, v140, v60 bitop3:0x14
	s_delay_alu instid0(VALU_DEP_1) | instskip(NEXT) | instid1(VALU_DEP_1)
	v_and_b32_e32 v61, s52, v61
	v_lshlrev_b32_e32 v61, 2, v61
	ds_load_b32 v61, v61
	s_wait_dscnt 0x0
	v_add_nc_u32_e32 v61, v61, v79
	global_store_b16 v61, v60, s[38:39] scale_offset
	s_wait_xcnt 0x0
	s_or_b32 exec_lo, exec_lo, s28
	v_cmp_lt_u32_e64 s27, v80, v139
	s_and_saveexec_b32 s29, s27
	s_cbranch_execz .LBB1966_196
.LBB1966_264:                           ;   in Loop: Header=BB1966_104 Depth=2
	ds_load_u16 v60, v93 offset:7680
	s_wait_dscnt 0x0
	v_cmp_ne_u16_e64 s28, 0x8000, v60
	s_delay_alu instid0(VALU_DEP_1) | instskip(SKIP_1) | instid1(VALU_DEP_2)
	v_cndmask_b32_e64 v61, 0x7fff, v60, s28
	v_cmp_gt_i16_e64 s28, 0, v60
	v_and_b32_e32 v61, 0xffff, v61
	s_delay_alu instid0(VALU_DEP_2) | instskip(NEXT) | instid1(VALU_DEP_1)
	v_cndmask_b32_e64 v140, 0x7fff, 0, s28
	v_dual_lshrrev_b32 v61, s48, v61 :: v_dual_bitop2_b32 v60, v140, v60 bitop3:0x14
	s_delay_alu instid0(VALU_DEP_1) | instskip(NEXT) | instid1(VALU_DEP_1)
	v_and_b32_e32 v61, s52, v61
	v_lshlrev_b32_e32 v61, 2, v61
	ds_load_b32 v61, v61
	s_wait_dscnt 0x0
	v_add_nc_u32_e32 v61, v61, v80
	global_store_b16 v61, v60, s[38:39] scale_offset
	s_wait_xcnt 0x0
	s_or_b32 exec_lo, exec_lo, s29
	v_cmp_lt_u32_e64 s28, v81, v139
	s_and_saveexec_b32 s30, s28
	s_cbranch_execz .LBB1966_197
.LBB1966_265:                           ;   in Loop: Header=BB1966_104 Depth=2
	ds_load_u16 v60, v93 offset:8192
	s_wait_dscnt 0x0
	v_cmp_ne_u16_e64 s29, 0x8000, v60
	s_delay_alu instid0(VALU_DEP_1) | instskip(SKIP_1) | instid1(VALU_DEP_2)
	v_cndmask_b32_e64 v61, 0x7fff, v60, s29
	v_cmp_gt_i16_e64 s29, 0, v60
	v_and_b32_e32 v61, 0xffff, v61
	s_delay_alu instid0(VALU_DEP_2) | instskip(NEXT) | instid1(VALU_DEP_1)
	v_cndmask_b32_e64 v140, 0x7fff, 0, s29
	v_dual_lshrrev_b32 v61, s48, v61 :: v_dual_bitop2_b32 v60, v140, v60 bitop3:0x14
	s_delay_alu instid0(VALU_DEP_1) | instskip(NEXT) | instid1(VALU_DEP_1)
	v_and_b32_e32 v61, s52, v61
	v_lshlrev_b32_e32 v61, 2, v61
	ds_load_b32 v61, v61
	s_wait_dscnt 0x0
	v_add_nc_u32_e32 v61, v61, v81
	global_store_b16 v61, v60, s[38:39] scale_offset
	s_wait_xcnt 0x0
	s_or_b32 exec_lo, exec_lo, s30
	v_cmp_lt_u32_e64 s29, v82, v139
	s_and_saveexec_b32 s58, s29
	s_cbranch_execnz .LBB1966_198
	s_branch .LBB1966_199
.LBB1966_266:                           ;   in Loop: Header=BB1966_104 Depth=2
	global_load_b64 v[58:59], v[60:61], off
	s_wait_xcnt 0x0
	s_or_b32 exec_lo, exec_lo, s30
	s_delay_alu instid0(SALU_CYCLE_1)
	s_mov_b32 s42, exec_lo
	v_cmpx_lt_u32_e64 v103, v139
	s_cbranch_execz .LBB1966_201
.LBB1966_267:                           ;   in Loop: Header=BB1966_104 Depth=2
	global_load_b64 v[56:57], v[60:61], off offset:256
	s_wait_xcnt 0x0
	s_or_b32 exec_lo, exec_lo, s42
	s_delay_alu instid0(SALU_CYCLE_1)
	s_mov_b32 s42, exec_lo
	v_cmpx_lt_u32_e64 v104, v139
	s_cbranch_execz .LBB1966_202
.LBB1966_268:                           ;   in Loop: Header=BB1966_104 Depth=2
	global_load_b64 v[54:55], v[60:61], off offset:512
	s_wait_xcnt 0x0
	s_or_b32 exec_lo, exec_lo, s42
	s_delay_alu instid0(SALU_CYCLE_1)
	s_mov_b32 s42, exec_lo
	v_cmpx_lt_u32_e64 v105, v139
	s_cbranch_execz .LBB1966_203
.LBB1966_269:                           ;   in Loop: Header=BB1966_104 Depth=2
	global_load_b64 v[52:53], v[60:61], off offset:768
	s_wait_xcnt 0x0
	s_or_b32 exec_lo, exec_lo, s42
	s_delay_alu instid0(SALU_CYCLE_1)
	s_mov_b32 s42, exec_lo
	v_cmpx_lt_u32_e64 v106, v139
	s_cbranch_execz .LBB1966_204
.LBB1966_270:                           ;   in Loop: Header=BB1966_104 Depth=2
	global_load_b64 v[50:51], v[60:61], off offset:1024
	s_wait_xcnt 0x0
	s_or_b32 exec_lo, exec_lo, s42
	s_delay_alu instid0(SALU_CYCLE_1)
	s_mov_b32 s42, exec_lo
	v_cmpx_lt_u32_e64 v107, v139
	s_cbranch_execz .LBB1966_205
.LBB1966_271:                           ;   in Loop: Header=BB1966_104 Depth=2
	global_load_b64 v[48:49], v[60:61], off offset:1280
	s_wait_xcnt 0x0
	s_or_b32 exec_lo, exec_lo, s42
	s_delay_alu instid0(SALU_CYCLE_1)
	s_mov_b32 s42, exec_lo
	v_cmpx_lt_u32_e64 v108, v139
	s_cbranch_execz .LBB1966_206
.LBB1966_272:                           ;   in Loop: Header=BB1966_104 Depth=2
	global_load_b64 v[46:47], v[60:61], off offset:1536
	s_wait_xcnt 0x0
	s_or_b32 exec_lo, exec_lo, s42
	s_delay_alu instid0(SALU_CYCLE_1)
	s_mov_b32 s42, exec_lo
	v_cmpx_lt_u32_e64 v109, v139
	s_cbranch_execz .LBB1966_207
.LBB1966_273:                           ;   in Loop: Header=BB1966_104 Depth=2
	global_load_b64 v[44:45], v[60:61], off offset:1792
	s_wait_xcnt 0x0
	s_or_b32 exec_lo, exec_lo, s42
	s_delay_alu instid0(SALU_CYCLE_1)
	s_mov_b32 s42, exec_lo
	v_cmpx_lt_u32_e64 v110, v139
	s_cbranch_execz .LBB1966_208
.LBB1966_274:                           ;   in Loop: Header=BB1966_104 Depth=2
	global_load_b64 v[42:43], v[60:61], off offset:2048
	s_wait_xcnt 0x0
	s_or_b32 exec_lo, exec_lo, s42
	s_delay_alu instid0(SALU_CYCLE_1)
	s_mov_b32 s42, exec_lo
	v_cmpx_lt_u32_e64 v111, v139
	s_cbranch_execz .LBB1966_209
.LBB1966_275:                           ;   in Loop: Header=BB1966_104 Depth=2
	global_load_b64 v[40:41], v[60:61], off offset:2304
	s_wait_xcnt 0x0
	s_or_b32 exec_lo, exec_lo, s42
	s_delay_alu instid0(SALU_CYCLE_1)
	s_mov_b32 s42, exec_lo
	v_cmpx_lt_u32_e64 v112, v139
	s_cbranch_execz .LBB1966_210
.LBB1966_276:                           ;   in Loop: Header=BB1966_104 Depth=2
	global_load_b64 v[38:39], v[60:61], off offset:2560
	s_wait_xcnt 0x0
	s_or_b32 exec_lo, exec_lo, s42
	s_delay_alu instid0(SALU_CYCLE_1)
	s_mov_b32 s42, exec_lo
	v_cmpx_lt_u32_e64 v113, v139
	s_cbranch_execz .LBB1966_211
.LBB1966_277:                           ;   in Loop: Header=BB1966_104 Depth=2
	global_load_b64 v[36:37], v[60:61], off offset:2816
	s_wait_xcnt 0x0
	s_or_b32 exec_lo, exec_lo, s42
	s_delay_alu instid0(SALU_CYCLE_1)
	s_mov_b32 s42, exec_lo
	v_cmpx_lt_u32_e64 v114, v139
	s_cbranch_execz .LBB1966_212
.LBB1966_278:                           ;   in Loop: Header=BB1966_104 Depth=2
	global_load_b64 v[34:35], v[60:61], off offset:3072
	s_wait_xcnt 0x0
	s_or_b32 exec_lo, exec_lo, s42
	s_delay_alu instid0(SALU_CYCLE_1)
	s_mov_b32 s42, exec_lo
	v_cmpx_lt_u32_e64 v115, v139
	s_cbranch_execz .LBB1966_213
.LBB1966_279:                           ;   in Loop: Header=BB1966_104 Depth=2
	global_load_b64 v[32:33], v[60:61], off offset:3328
	s_wait_xcnt 0x0
	s_or_b32 exec_lo, exec_lo, s42
	s_delay_alu instid0(SALU_CYCLE_1)
	s_mov_b32 s42, exec_lo
	v_cmpx_lt_u32_e64 v116, v139
	s_cbranch_execz .LBB1966_214
.LBB1966_280:                           ;   in Loop: Header=BB1966_104 Depth=2
	global_load_b64 v[30:31], v[60:61], off offset:3584
	s_wait_xcnt 0x0
	s_or_b32 exec_lo, exec_lo, s42
	s_delay_alu instid0(SALU_CYCLE_1)
	s_mov_b32 s42, exec_lo
	v_cmpx_lt_u32_e64 v117, v139
	s_cbranch_execz .LBB1966_215
.LBB1966_281:                           ;   in Loop: Header=BB1966_104 Depth=2
	global_load_b64 v[28:29], v[60:61], off offset:3840
	s_wait_xcnt 0x0
	s_or_b32 exec_lo, exec_lo, s42
	s_and_saveexec_b32 s42, vcc_lo
	s_cbranch_execz .LBB1966_216
.LBB1966_282:                           ;   in Loop: Header=BB1966_104 Depth=2
	ds_load_u16 v60, v93 offset:1024
	s_wait_dscnt 0x0
	v_cmp_ne_u16_e64 s30, 0x8000, v60
	s_delay_alu instid0(VALU_DEP_1) | instskip(NEXT) | instid1(VALU_DEP_1)
	v_cndmask_b32_e64 v60, 0x7fff, v60, s30
	v_and_b32_e32 v60, 0xffff, v60
	s_delay_alu instid0(VALU_DEP_1) | instskip(NEXT) | instid1(VALU_DEP_1)
	v_lshrrev_b32_e32 v60, s48, v60
	v_and_b32_e32 v138, s52, v60
	s_or_b32 exec_lo, exec_lo, s42
	s_and_saveexec_b32 s42, s15
	s_cbranch_execz .LBB1966_217
.LBB1966_283:                           ;   in Loop: Header=BB1966_104 Depth=2
	ds_load_u16 v60, v93 offset:1536
	s_wait_dscnt 0x0
	v_cmp_ne_u16_e64 s30, 0x8000, v60
	s_delay_alu instid0(VALU_DEP_1) | instskip(NEXT) | instid1(VALU_DEP_1)
	v_cndmask_b32_e64 v60, 0x7fff, v60, s30
	v_and_b32_e32 v60, 0xffff, v60
	s_delay_alu instid0(VALU_DEP_1) | instskip(NEXT) | instid1(VALU_DEP_1)
	v_lshrrev_b32_e32 v60, s48, v60
	v_and_b32_e32 v137, s52, v60
	s_or_b32 exec_lo, exec_lo, s42
	s_and_saveexec_b32 s42, s16
	s_cbranch_execz .LBB1966_218
.LBB1966_284:                           ;   in Loop: Header=BB1966_104 Depth=2
	ds_load_u16 v60, v93 offset:2048
	s_wait_dscnt 0x0
	v_cmp_ne_u16_e64 s30, 0x8000, v60
	s_delay_alu instid0(VALU_DEP_1) | instskip(NEXT) | instid1(VALU_DEP_1)
	v_cndmask_b32_e64 v60, 0x7fff, v60, s30
	v_and_b32_e32 v60, 0xffff, v60
	s_delay_alu instid0(VALU_DEP_1) | instskip(NEXT) | instid1(VALU_DEP_1)
	v_lshrrev_b32_e32 v60, s48, v60
	v_and_b32_e32 v136, s52, v60
	s_or_b32 exec_lo, exec_lo, s42
	s_and_saveexec_b32 s42, s17
	s_cbranch_execz .LBB1966_219
.LBB1966_285:                           ;   in Loop: Header=BB1966_104 Depth=2
	ds_load_u16 v60, v93 offset:2560
	s_wait_dscnt 0x0
	v_cmp_ne_u16_e64 s30, 0x8000, v60
	s_delay_alu instid0(VALU_DEP_1) | instskip(NEXT) | instid1(VALU_DEP_1)
	v_cndmask_b32_e64 v60, 0x7fff, v60, s30
	v_and_b32_e32 v60, 0xffff, v60
	s_delay_alu instid0(VALU_DEP_1) | instskip(NEXT) | instid1(VALU_DEP_1)
	v_lshrrev_b32_e32 v60, s48, v60
	v_and_b32_e32 v135, s52, v60
	s_or_b32 exec_lo, exec_lo, s42
	s_and_saveexec_b32 s42, s18
	s_cbranch_execz .LBB1966_220
.LBB1966_286:                           ;   in Loop: Header=BB1966_104 Depth=2
	ds_load_u16 v60, v93 offset:3072
	s_wait_dscnt 0x0
	v_cmp_ne_u16_e64 s30, 0x8000, v60
	s_delay_alu instid0(VALU_DEP_1) | instskip(NEXT) | instid1(VALU_DEP_1)
	v_cndmask_b32_e64 v60, 0x7fff, v60, s30
	v_and_b32_e32 v60, 0xffff, v60
	s_delay_alu instid0(VALU_DEP_1) | instskip(NEXT) | instid1(VALU_DEP_1)
	v_lshrrev_b32_e32 v60, s48, v60
	v_and_b32_e32 v134, s52, v60
	s_or_b32 exec_lo, exec_lo, s42
	s_and_saveexec_b32 s42, s19
	s_cbranch_execz .LBB1966_221
.LBB1966_287:                           ;   in Loop: Header=BB1966_104 Depth=2
	ds_load_u16 v60, v93 offset:3584
	s_wait_dscnt 0x0
	v_cmp_ne_u16_e64 s30, 0x8000, v60
	s_delay_alu instid0(VALU_DEP_1) | instskip(NEXT) | instid1(VALU_DEP_1)
	v_cndmask_b32_e64 v60, 0x7fff, v60, s30
	v_and_b32_e32 v60, 0xffff, v60
	s_delay_alu instid0(VALU_DEP_1) | instskip(NEXT) | instid1(VALU_DEP_1)
	v_lshrrev_b32_e32 v60, s48, v60
	v_and_b32_e32 v133, s52, v60
	s_or_b32 exec_lo, exec_lo, s42
	s_and_saveexec_b32 s42, s20
	s_cbranch_execz .LBB1966_222
.LBB1966_288:                           ;   in Loop: Header=BB1966_104 Depth=2
	ds_load_u16 v60, v93 offset:4096
	s_wait_dscnt 0x0
	v_cmp_ne_u16_e64 s30, 0x8000, v60
	s_delay_alu instid0(VALU_DEP_1) | instskip(NEXT) | instid1(VALU_DEP_1)
	v_cndmask_b32_e64 v60, 0x7fff, v60, s30
	v_and_b32_e32 v60, 0xffff, v60
	s_delay_alu instid0(VALU_DEP_1) | instskip(NEXT) | instid1(VALU_DEP_1)
	v_lshrrev_b32_e32 v60, s48, v60
	v_and_b32_e32 v132, s52, v60
	s_or_b32 exec_lo, exec_lo, s42
	s_and_saveexec_b32 s42, s21
	s_cbranch_execz .LBB1966_223
.LBB1966_289:                           ;   in Loop: Header=BB1966_104 Depth=2
	ds_load_u16 v60, v93 offset:4608
	s_wait_dscnt 0x0
	v_cmp_ne_u16_e64 s30, 0x8000, v60
	s_delay_alu instid0(VALU_DEP_1) | instskip(NEXT) | instid1(VALU_DEP_1)
	v_cndmask_b32_e64 v60, 0x7fff, v60, s30
	v_and_b32_e32 v60, 0xffff, v60
	s_delay_alu instid0(VALU_DEP_1) | instskip(NEXT) | instid1(VALU_DEP_1)
	v_lshrrev_b32_e32 v60, s48, v60
	v_and_b32_e32 v131, s52, v60
	s_or_b32 exec_lo, exec_lo, s42
	s_and_saveexec_b32 s42, s22
	s_cbranch_execz .LBB1966_224
.LBB1966_290:                           ;   in Loop: Header=BB1966_104 Depth=2
	ds_load_u16 v60, v93 offset:5120
	s_wait_dscnt 0x0
	v_cmp_ne_u16_e64 s30, 0x8000, v60
	s_delay_alu instid0(VALU_DEP_1) | instskip(NEXT) | instid1(VALU_DEP_1)
	v_cndmask_b32_e64 v60, 0x7fff, v60, s30
	v_and_b32_e32 v60, 0xffff, v60
	s_delay_alu instid0(VALU_DEP_1) | instskip(NEXT) | instid1(VALU_DEP_1)
	v_lshrrev_b32_e32 v60, s48, v60
	v_and_b32_e32 v130, s52, v60
	s_or_b32 exec_lo, exec_lo, s42
	s_and_saveexec_b32 s42, s23
	s_cbranch_execz .LBB1966_225
.LBB1966_291:                           ;   in Loop: Header=BB1966_104 Depth=2
	ds_load_u16 v60, v93 offset:5632
	s_wait_dscnt 0x0
	v_cmp_ne_u16_e64 s30, 0x8000, v60
	s_delay_alu instid0(VALU_DEP_1) | instskip(NEXT) | instid1(VALU_DEP_1)
	v_cndmask_b32_e64 v60, 0x7fff, v60, s30
	v_and_b32_e32 v60, 0xffff, v60
	s_delay_alu instid0(VALU_DEP_1) | instskip(NEXT) | instid1(VALU_DEP_1)
	v_lshrrev_b32_e32 v60, s48, v60
	v_and_b32_e32 v129, s52, v60
	s_or_b32 exec_lo, exec_lo, s42
	s_and_saveexec_b32 s42, s24
	s_cbranch_execz .LBB1966_226
.LBB1966_292:                           ;   in Loop: Header=BB1966_104 Depth=2
	ds_load_u16 v60, v93 offset:6144
	s_wait_dscnt 0x0
	v_cmp_ne_u16_e64 s30, 0x8000, v60
	s_delay_alu instid0(VALU_DEP_1) | instskip(NEXT) | instid1(VALU_DEP_1)
	v_cndmask_b32_e64 v60, 0x7fff, v60, s30
	v_and_b32_e32 v60, 0xffff, v60
	s_delay_alu instid0(VALU_DEP_1) | instskip(NEXT) | instid1(VALU_DEP_1)
	v_lshrrev_b32_e32 v60, s48, v60
	v_and_b32_e32 v128, s52, v60
	s_or_b32 exec_lo, exec_lo, s42
	s_and_saveexec_b32 s42, s25
	s_cbranch_execz .LBB1966_227
.LBB1966_293:                           ;   in Loop: Header=BB1966_104 Depth=2
	ds_load_u16 v60, v93 offset:6656
	s_wait_dscnt 0x0
	v_cmp_ne_u16_e64 s30, 0x8000, v60
	s_delay_alu instid0(VALU_DEP_1) | instskip(NEXT) | instid1(VALU_DEP_1)
	v_cndmask_b32_e64 v60, 0x7fff, v60, s30
	v_and_b32_e32 v60, 0xffff, v60
	s_delay_alu instid0(VALU_DEP_1) | instskip(NEXT) | instid1(VALU_DEP_1)
	v_lshrrev_b32_e32 v60, s48, v60
	v_and_b32_e32 v127, s52, v60
	s_or_b32 exec_lo, exec_lo, s42
	s_and_saveexec_b32 s42, s26
	s_cbranch_execz .LBB1966_228
.LBB1966_294:                           ;   in Loop: Header=BB1966_104 Depth=2
	ds_load_u16 v60, v93 offset:7168
	s_wait_dscnt 0x0
	v_cmp_ne_u16_e64 s30, 0x8000, v60
	s_delay_alu instid0(VALU_DEP_1) | instskip(NEXT) | instid1(VALU_DEP_1)
	v_cndmask_b32_e64 v60, 0x7fff, v60, s30
	v_and_b32_e32 v60, 0xffff, v60
	s_delay_alu instid0(VALU_DEP_1) | instskip(NEXT) | instid1(VALU_DEP_1)
	v_lshrrev_b32_e32 v60, s48, v60
	v_and_b32_e32 v126, s52, v60
	s_or_b32 exec_lo, exec_lo, s42
	s_and_saveexec_b32 s42, s27
	s_cbranch_execz .LBB1966_229
.LBB1966_295:                           ;   in Loop: Header=BB1966_104 Depth=2
	ds_load_u16 v60, v93 offset:7680
	s_wait_dscnt 0x0
	v_cmp_ne_u16_e64 s30, 0x8000, v60
	s_delay_alu instid0(VALU_DEP_1) | instskip(NEXT) | instid1(VALU_DEP_1)
	v_cndmask_b32_e64 v60, 0x7fff, v60, s30
	v_and_b32_e32 v60, 0xffff, v60
	s_delay_alu instid0(VALU_DEP_1) | instskip(NEXT) | instid1(VALU_DEP_1)
	v_lshrrev_b32_e32 v60, s48, v60
	v_and_b32_e32 v125, s52, v60
	s_or_b32 exec_lo, exec_lo, s42
	s_and_saveexec_b32 s42, s28
	s_cbranch_execz .LBB1966_230
.LBB1966_296:                           ;   in Loop: Header=BB1966_104 Depth=2
	ds_load_u16 v60, v93 offset:8192
	s_wait_dscnt 0x0
	v_cmp_ne_u16_e64 s30, 0x8000, v60
	s_delay_alu instid0(VALU_DEP_1) | instskip(NEXT) | instid1(VALU_DEP_1)
	v_cndmask_b32_e64 v60, 0x7fff, v60, s30
	v_and_b32_e32 v60, 0xffff, v60
	s_delay_alu instid0(VALU_DEP_1) | instskip(NEXT) | instid1(VALU_DEP_1)
	v_lshrrev_b32_e32 v60, s48, v60
	v_and_b32_e32 v124, s52, v60
	s_or_b32 exec_lo, exec_lo, s42
	s_and_saveexec_b32 s42, s29
	s_cbranch_execnz .LBB1966_231
	s_branch .LBB1966_232
.LBB1966_297:                           ;   in Loop: Header=BB1966_104 Depth=2
	v_lshlrev_b32_e32 v60, 2, v138
	v_add_nc_u32_e32 v61, v93, v94
	ds_load_b32 v63, v60
	ds_load_b64 v[60:61], v61 offset:1024
	s_wait_dscnt 0x1
	v_add_nc_u32_e32 v63, v63, v2
	s_wait_dscnt 0x0
	global_store_b64 v63, v[60:61], s[44:45] scale_offset
	s_wait_xcnt 0x0
	s_or_b32 exec_lo, exec_lo, s30
	s_and_saveexec_b32 s30, s15
	s_cbranch_execz .LBB1966_234
.LBB1966_298:                           ;   in Loop: Header=BB1966_104 Depth=2
	v_dual_lshlrev_b32 v60, 2, v137 :: v_dual_add_nc_u32 v61, v93, v94
	ds_load_b32 v63, v60
	ds_load_b64 v[60:61], v61 offset:3072
	s_wait_dscnt 0x1
	v_add_nc_u32_e32 v63, v63, v68
	s_wait_dscnt 0x0
	global_store_b64 v63, v[60:61], s[44:45] scale_offset
	s_wait_xcnt 0x0
	s_or_b32 exec_lo, exec_lo, s30
	s_and_saveexec_b32 s15, s16
	s_cbranch_execz .LBB1966_235
.LBB1966_299:                           ;   in Loop: Header=BB1966_104 Depth=2
	v_dual_lshlrev_b32 v60, 2, v136 :: v_dual_add_nc_u32 v61, v93, v94
	ds_load_b32 v63, v60
	ds_load_b64 v[60:61], v61 offset:5120
	s_wait_dscnt 0x1
	v_add_nc_u32_e32 v63, v63, v69
	s_wait_dscnt 0x0
	global_store_b64 v63, v[60:61], s[44:45] scale_offset
	s_wait_xcnt 0x0
	s_or_b32 exec_lo, exec_lo, s15
	s_and_saveexec_b32 s15, s17
	s_cbranch_execz .LBB1966_236
.LBB1966_300:                           ;   in Loop: Header=BB1966_104 Depth=2
	v_dual_lshlrev_b32 v60, 2, v135 :: v_dual_add_nc_u32 v61, v93, v94
	ds_load_b32 v63, v60
	ds_load_b64 v[60:61], v61 offset:7168
	s_wait_dscnt 0x1
	v_add_nc_u32_e32 v63, v63, v70
	s_wait_dscnt 0x0
	global_store_b64 v63, v[60:61], s[44:45] scale_offset
	s_wait_xcnt 0x0
	s_or_b32 exec_lo, exec_lo, s15
	s_and_saveexec_b32 s15, s18
	s_cbranch_execz .LBB1966_237
.LBB1966_301:                           ;   in Loop: Header=BB1966_104 Depth=2
	v_lshlrev_b32_e32 v60, 2, v134
	v_add_nc_u32_e32 v61, v93, v94
	ds_load_b32 v63, v60
	ds_load_b64 v[60:61], v61 offset:9216
	s_wait_dscnt 0x1
	v_add_nc_u32_e32 v63, v63, v71
	s_wait_dscnt 0x0
	global_store_b64 v63, v[60:61], s[44:45] scale_offset
	s_wait_xcnt 0x0
	s_or_b32 exec_lo, exec_lo, s15
	s_and_saveexec_b32 s15, s19
	s_cbranch_execz .LBB1966_238
.LBB1966_302:                           ;   in Loop: Header=BB1966_104 Depth=2
	v_dual_lshlrev_b32 v60, 2, v133 :: v_dual_add_nc_u32 v61, v93, v94
	ds_load_b32 v63, v60
	ds_load_b64 v[60:61], v61 offset:11264
	s_wait_dscnt 0x1
	v_add_nc_u32_e32 v63, v63, v72
	s_wait_dscnt 0x0
	global_store_b64 v63, v[60:61], s[44:45] scale_offset
	s_wait_xcnt 0x0
	s_or_b32 exec_lo, exec_lo, s15
	s_and_saveexec_b32 s15, s20
	s_cbranch_execz .LBB1966_239
.LBB1966_303:                           ;   in Loop: Header=BB1966_104 Depth=2
	v_dual_lshlrev_b32 v60, 2, v132 :: v_dual_add_nc_u32 v61, v93, v94
	ds_load_b32 v63, v60
	ds_load_b64 v[60:61], v61 offset:13312
	s_wait_dscnt 0x1
	v_add_nc_u32_e32 v63, v63, v73
	s_wait_dscnt 0x0
	global_store_b64 v63, v[60:61], s[44:45] scale_offset
	s_wait_xcnt 0x0
	s_or_b32 exec_lo, exec_lo, s15
	s_and_saveexec_b32 s15, s21
	s_cbranch_execz .LBB1966_240
.LBB1966_304:                           ;   in Loop: Header=BB1966_104 Depth=2
	v_dual_lshlrev_b32 v60, 2, v131 :: v_dual_add_nc_u32 v61, v93, v94
	ds_load_b32 v63, v60
	ds_load_b64 v[60:61], v61 offset:15360
	s_wait_dscnt 0x1
	v_add_nc_u32_e32 v63, v63, v74
	s_wait_dscnt 0x0
	global_store_b64 v63, v[60:61], s[44:45] scale_offset
	s_wait_xcnt 0x0
	s_or_b32 exec_lo, exec_lo, s15
	s_and_saveexec_b32 s15, s22
	s_cbranch_execz .LBB1966_241
.LBB1966_305:                           ;   in Loop: Header=BB1966_104 Depth=2
	v_lshlrev_b32_e32 v60, 2, v130
	v_add_nc_u32_e32 v61, v93, v94
	ds_load_b32 v63, v60
	ds_load_b64 v[60:61], v61 offset:17408
	s_wait_dscnt 0x1
	v_add_nc_u32_e32 v63, v63, v75
	s_wait_dscnt 0x0
	global_store_b64 v63, v[60:61], s[44:45] scale_offset
	s_wait_xcnt 0x0
	s_or_b32 exec_lo, exec_lo, s15
	s_and_saveexec_b32 s15, s23
	s_cbranch_execz .LBB1966_242
.LBB1966_306:                           ;   in Loop: Header=BB1966_104 Depth=2
	v_dual_lshlrev_b32 v60, 2, v129 :: v_dual_add_nc_u32 v61, v93, v94
	ds_load_b32 v63, v60
	ds_load_b64 v[60:61], v61 offset:19456
	s_wait_dscnt 0x1
	v_add_nc_u32_e32 v63, v63, v76
	s_wait_dscnt 0x0
	global_store_b64 v63, v[60:61], s[44:45] scale_offset
	s_wait_xcnt 0x0
	s_or_b32 exec_lo, exec_lo, s15
	s_and_saveexec_b32 s15, s24
	s_cbranch_execz .LBB1966_243
.LBB1966_307:                           ;   in Loop: Header=BB1966_104 Depth=2
	v_dual_lshlrev_b32 v60, 2, v128 :: v_dual_add_nc_u32 v61, v93, v94
	ds_load_b32 v63, v60
	ds_load_b64 v[60:61], v61 offset:21504
	s_wait_dscnt 0x1
	v_add_nc_u32_e32 v63, v63, v77
	s_wait_dscnt 0x0
	global_store_b64 v63, v[60:61], s[44:45] scale_offset
	s_wait_xcnt 0x0
	s_or_b32 exec_lo, exec_lo, s15
	s_and_saveexec_b32 s15, s25
	s_cbranch_execz .LBB1966_244
.LBB1966_308:                           ;   in Loop: Header=BB1966_104 Depth=2
	v_dual_lshlrev_b32 v60, 2, v127 :: v_dual_add_nc_u32 v61, v93, v94
	ds_load_b32 v63, v60
	ds_load_b64 v[60:61], v61 offset:23552
	s_wait_dscnt 0x1
	v_add_nc_u32_e32 v63, v63, v78
	s_wait_dscnt 0x0
	global_store_b64 v63, v[60:61], s[44:45] scale_offset
	s_wait_xcnt 0x0
	s_or_b32 exec_lo, exec_lo, s15
	s_and_saveexec_b32 s15, s26
	s_cbranch_execz .LBB1966_245
.LBB1966_309:                           ;   in Loop: Header=BB1966_104 Depth=2
	v_lshlrev_b32_e32 v60, 2, v126
	v_add_nc_u32_e32 v61, v93, v94
	ds_load_b32 v63, v60
	ds_load_b64 v[60:61], v61 offset:25600
	s_wait_dscnt 0x1
	v_add_nc_u32_e32 v63, v63, v79
	s_wait_dscnt 0x0
	global_store_b64 v63, v[60:61], s[44:45] scale_offset
	s_wait_xcnt 0x0
	s_or_b32 exec_lo, exec_lo, s15
	s_and_saveexec_b32 s15, s27
	s_cbranch_execz .LBB1966_246
.LBB1966_310:                           ;   in Loop: Header=BB1966_104 Depth=2
	v_dual_lshlrev_b32 v60, 2, v125 :: v_dual_add_nc_u32 v61, v93, v94
	ds_load_b32 v63, v60
	ds_load_b64 v[60:61], v61 offset:27648
	s_wait_dscnt 0x1
	v_add_nc_u32_e32 v63, v63, v80
	s_wait_dscnt 0x0
	global_store_b64 v63, v[60:61], s[44:45] scale_offset
	s_wait_xcnt 0x0
	s_or_b32 exec_lo, exec_lo, s15
	s_and_saveexec_b32 s15, s28
	s_cbranch_execz .LBB1966_247
.LBB1966_311:                           ;   in Loop: Header=BB1966_104 Depth=2
	v_dual_lshlrev_b32 v60, 2, v124 :: v_dual_add_nc_u32 v61, v93, v94
	ds_load_b32 v63, v60
	ds_load_b64 v[60:61], v61 offset:29696
	s_wait_dscnt 0x1
	v_add_nc_u32_e32 v63, v63, v81
	s_wait_dscnt 0x0
	global_store_b64 v63, v[60:61], s[44:45] scale_offset
	s_wait_xcnt 0x0
	s_or_b32 exec_lo, exec_lo, s15
	s_and_saveexec_b32 s15, s29
	s_cbranch_execnz .LBB1966_248
	s_branch .LBB1966_249
.LBB1966_312:                           ;   in Loop: Header=BB1966_20 Depth=1
	s_wait_dscnt 0x0
	s_barrier_signal -1
	s_mov_b32 s7, 0
	s_barrier_wait -1
.LBB1966_313:                           ;   in Loop: Header=BB1966_20 Depth=1
	s_and_b32 vcc_lo, exec_lo, s7
	s_cbranch_vccz .LBB1966_605
; %bb.314:                              ;   in Loop: Header=BB1966_20 Depth=1
	s_mov_b32 s7, s56
	s_mov_b32 s42, s54
	s_barrier_signal -1
	s_barrier_wait -1
                                        ; implicit-def: $vgpr23
                                        ; implicit-def: $vgpr24
                                        ; implicit-def: $vgpr25
                                        ; implicit-def: $vgpr26
                                        ; implicit-def: $vgpr27
                                        ; implicit-def: $vgpr28
                                        ; implicit-def: $vgpr29
                                        ; implicit-def: $vgpr30
                                        ; implicit-def: $vgpr31
                                        ; implicit-def: $vgpr32
                                        ; implicit-def: $vgpr33
                                        ; implicit-def: $vgpr34
                                        ; implicit-def: $vgpr35
                                        ; implicit-def: $vgpr36
                                        ; implicit-def: $vgpr37
                                        ; implicit-def: $vgpr38
	s_branch .LBB1966_316
.LBB1966_315:                           ;   in Loop: Header=BB1966_316 Depth=2
	s_or_b32 exec_lo, exec_lo, s8
	s_addk_co_i32 s7, 0xf000
	s_cmp_ge_u32 s10, s51
	s_mov_b32 s42, s10
	s_cbranch_scc1 .LBB1966_384
.LBB1966_316:                           ;   Parent Loop BB1966_20 Depth=1
                                        ; =>  This Inner Loop Header: Depth=2
	s_add_co_i32 s10, s42, 0x1000
	s_mov_b32 s8, -1
	s_cmp_gt_u32 s10, s51
                                        ; implicit-def: $vgpr39
                                        ; implicit-def: $vgpr40
                                        ; implicit-def: $vgpr41
                                        ; implicit-def: $vgpr42
                                        ; implicit-def: $vgpr43
                                        ; implicit-def: $vgpr44
                                        ; implicit-def: $vgpr45
                                        ; implicit-def: $vgpr46
                                        ; implicit-def: $vgpr47
                                        ; implicit-def: $vgpr48
                                        ; implicit-def: $vgpr49
                                        ; implicit-def: $vgpr50
                                        ; implicit-def: $vgpr51
                                        ; implicit-def: $vgpr52
                                        ; implicit-def: $vgpr53
                                        ; implicit-def: $vgpr54
	s_cbranch_scc1 .LBB1966_318
; %bb.317:                              ;   in Loop: Header=BB1966_316 Depth=2
	v_lshl_add_u64 v[54:55], s[42:43], 1, v[10:11]
	s_mov_b32 s8, 0
	s_clause 0xf
	global_load_u16 v39, v[54:55], off
	global_load_u16 v40, v[54:55], off offset:512
	global_load_u16 v41, v[54:55], off offset:1024
	;; [unrolled: 1-line block ×15, first 2 shown]
.LBB1966_318:                           ;   in Loop: Header=BB1966_316 Depth=2
	s_and_not1_b32 vcc_lo, exec_lo, s8
	s_movk_i32 s8, 0x1000
	s_cbranch_vccnz .LBB1966_337
; %bb.319:                              ;   in Loop: Header=BB1966_316 Depth=2
	s_lshl_b64 s[8:9], s[42:43], 1
	s_mov_b32 s11, exec_lo
	s_add_nc_u64 s[8:9], s[38:39], s[8:9]
	s_wait_xcnt 0x0
	v_cmpx_gt_u32_e64 s7, v2
	s_cbranch_execnz .LBB1966_369
; %bb.320:                              ;   in Loop: Header=BB1966_316 Depth=2
	s_or_b32 exec_lo, exec_lo, s11
	s_delay_alu instid0(SALU_CYCLE_1)
	s_mov_b32 s11, exec_lo
	v_cmpx_gt_u32_e64 s7, v68
	s_cbranch_execnz .LBB1966_370
.LBB1966_321:                           ;   in Loop: Header=BB1966_316 Depth=2
	s_or_b32 exec_lo, exec_lo, s11
	s_delay_alu instid0(SALU_CYCLE_1)
	s_mov_b32 s11, exec_lo
	v_cmpx_gt_u32_e64 s7, v69
	s_cbranch_execnz .LBB1966_371
.LBB1966_322:                           ;   in Loop: Header=BB1966_316 Depth=2
	s_or_b32 exec_lo, exec_lo, s11
	s_delay_alu instid0(SALU_CYCLE_1)
	s_mov_b32 s11, exec_lo
	v_cmpx_gt_u32_e64 s7, v70
	s_cbranch_execnz .LBB1966_372
.LBB1966_323:                           ;   in Loop: Header=BB1966_316 Depth=2
	s_or_b32 exec_lo, exec_lo, s11
	s_delay_alu instid0(SALU_CYCLE_1)
	s_mov_b32 s11, exec_lo
	v_cmpx_gt_u32_e64 s7, v71
	s_cbranch_execnz .LBB1966_373
.LBB1966_324:                           ;   in Loop: Header=BB1966_316 Depth=2
	s_or_b32 exec_lo, exec_lo, s11
	s_delay_alu instid0(SALU_CYCLE_1)
	s_mov_b32 s11, exec_lo
	v_cmpx_gt_u32_e64 s7, v72
	s_cbranch_execnz .LBB1966_374
.LBB1966_325:                           ;   in Loop: Header=BB1966_316 Depth=2
	s_or_b32 exec_lo, exec_lo, s11
	s_delay_alu instid0(SALU_CYCLE_1)
	s_mov_b32 s11, exec_lo
	v_cmpx_gt_u32_e64 s7, v73
	s_cbranch_execnz .LBB1966_375
.LBB1966_326:                           ;   in Loop: Header=BB1966_316 Depth=2
	s_or_b32 exec_lo, exec_lo, s11
	s_delay_alu instid0(SALU_CYCLE_1)
	s_mov_b32 s11, exec_lo
	v_cmpx_gt_u32_e64 s7, v74
	s_cbranch_execnz .LBB1966_376
.LBB1966_327:                           ;   in Loop: Header=BB1966_316 Depth=2
	s_or_b32 exec_lo, exec_lo, s11
	s_delay_alu instid0(SALU_CYCLE_1)
	s_mov_b32 s11, exec_lo
	v_cmpx_gt_u32_e64 s7, v75
	s_cbranch_execnz .LBB1966_377
.LBB1966_328:                           ;   in Loop: Header=BB1966_316 Depth=2
	s_or_b32 exec_lo, exec_lo, s11
	s_delay_alu instid0(SALU_CYCLE_1)
	s_mov_b32 s11, exec_lo
	v_cmpx_gt_u32_e64 s7, v76
	s_cbranch_execnz .LBB1966_378
.LBB1966_329:                           ;   in Loop: Header=BB1966_316 Depth=2
	s_or_b32 exec_lo, exec_lo, s11
	s_delay_alu instid0(SALU_CYCLE_1)
	s_mov_b32 s11, exec_lo
	v_cmpx_gt_u32_e64 s7, v77
	s_cbranch_execnz .LBB1966_379
.LBB1966_330:                           ;   in Loop: Header=BB1966_316 Depth=2
	s_or_b32 exec_lo, exec_lo, s11
	s_delay_alu instid0(SALU_CYCLE_1)
	s_mov_b32 s11, exec_lo
	v_cmpx_gt_u32_e64 s7, v78
	s_cbranch_execnz .LBB1966_380
.LBB1966_331:                           ;   in Loop: Header=BB1966_316 Depth=2
	s_or_b32 exec_lo, exec_lo, s11
	s_delay_alu instid0(SALU_CYCLE_1)
	s_mov_b32 s11, exec_lo
	v_cmpx_gt_u32_e64 s7, v79
	s_cbranch_execnz .LBB1966_381
.LBB1966_332:                           ;   in Loop: Header=BB1966_316 Depth=2
	s_or_b32 exec_lo, exec_lo, s11
	s_delay_alu instid0(SALU_CYCLE_1)
	s_mov_b32 s11, exec_lo
	v_cmpx_gt_u32_e64 s7, v80
	s_cbranch_execnz .LBB1966_382
.LBB1966_333:                           ;   in Loop: Header=BB1966_316 Depth=2
	s_or_b32 exec_lo, exec_lo, s11
	s_delay_alu instid0(SALU_CYCLE_1)
	s_mov_b32 s11, exec_lo
	v_cmpx_gt_u32_e64 s7, v81
	s_cbranch_execnz .LBB1966_383
.LBB1966_334:                           ;   in Loop: Header=BB1966_316 Depth=2
	s_or_b32 exec_lo, exec_lo, s11
	s_delay_alu instid0(SALU_CYCLE_1)
	s_mov_b32 s11, exec_lo
	v_cmpx_gt_u32_e64 s7, v82
	s_cbranch_execz .LBB1966_336
.LBB1966_335:                           ;   in Loop: Header=BB1966_316 Depth=2
	global_load_u16 v23, v2, s[8:9] offset:7680 scale_offset
.LBB1966_336:                           ;   in Loop: Header=BB1966_316 Depth=2
	s_wait_xcnt 0x0
	s_or_b32 exec_lo, exec_lo, s11
	s_wait_loadcnt 0x0
	v_dual_mov_b32 v39, v38 :: v_dual_mov_b32 v40, v37
	v_dual_mov_b32 v41, v36 :: v_dual_mov_b32 v42, v35
	;; [unrolled: 1-line block ×8, first 2 shown]
	s_mov_b32 s8, s7
.LBB1966_337:                           ;   in Loop: Header=BB1966_316 Depth=2
	s_wait_loadcnt 0x0
	s_delay_alu instid0(VALU_DEP_1)
	v_dual_mov_b32 v23, v54 :: v_dual_mov_b32 v24, v53
	v_dual_mov_b32 v25, v52 :: v_dual_mov_b32 v26, v51
	;; [unrolled: 1-line block ×8, first 2 shown]
	s_mov_b32 s9, exec_lo
	s_wait_xcnt 0x0
	v_cmpx_gt_u32_e64 s8, v2
	s_cbranch_execnz .LBB1966_353
; %bb.338:                              ;   in Loop: Header=BB1966_316 Depth=2
	s_or_b32 exec_lo, exec_lo, s9
	s_delay_alu instid0(SALU_CYCLE_1)
	s_mov_b32 s9, exec_lo
	v_cmpx_gt_u32_e64 s8, v68
	s_cbranch_execnz .LBB1966_354
.LBB1966_339:                           ;   in Loop: Header=BB1966_316 Depth=2
	s_or_b32 exec_lo, exec_lo, s9
	s_delay_alu instid0(SALU_CYCLE_1)
	s_mov_b32 s9, exec_lo
	v_cmpx_gt_u32_e64 s8, v69
	s_cbranch_execnz .LBB1966_355
.LBB1966_340:                           ;   in Loop: Header=BB1966_316 Depth=2
	s_or_b32 exec_lo, exec_lo, s9
	s_delay_alu instid0(SALU_CYCLE_1)
	s_mov_b32 s9, exec_lo
	v_cmpx_gt_u32_e64 s8, v70
	s_cbranch_execnz .LBB1966_356
.LBB1966_341:                           ;   in Loop: Header=BB1966_316 Depth=2
	s_or_b32 exec_lo, exec_lo, s9
	s_delay_alu instid0(SALU_CYCLE_1)
	s_mov_b32 s9, exec_lo
	v_cmpx_gt_u32_e64 s8, v71
	s_cbranch_execnz .LBB1966_357
.LBB1966_342:                           ;   in Loop: Header=BB1966_316 Depth=2
	s_or_b32 exec_lo, exec_lo, s9
	s_delay_alu instid0(SALU_CYCLE_1)
	s_mov_b32 s9, exec_lo
	v_cmpx_gt_u32_e64 s8, v72
	s_cbranch_execnz .LBB1966_358
.LBB1966_343:                           ;   in Loop: Header=BB1966_316 Depth=2
	s_or_b32 exec_lo, exec_lo, s9
	s_delay_alu instid0(SALU_CYCLE_1)
	s_mov_b32 s9, exec_lo
	v_cmpx_gt_u32_e64 s8, v73
	s_cbranch_execnz .LBB1966_359
.LBB1966_344:                           ;   in Loop: Header=BB1966_316 Depth=2
	s_or_b32 exec_lo, exec_lo, s9
	s_delay_alu instid0(SALU_CYCLE_1)
	s_mov_b32 s9, exec_lo
	v_cmpx_gt_u32_e64 s8, v74
	s_cbranch_execnz .LBB1966_360
.LBB1966_345:                           ;   in Loop: Header=BB1966_316 Depth=2
	s_or_b32 exec_lo, exec_lo, s9
	s_delay_alu instid0(SALU_CYCLE_1)
	s_mov_b32 s9, exec_lo
	v_cmpx_gt_u32_e64 s8, v75
	s_cbranch_execnz .LBB1966_361
.LBB1966_346:                           ;   in Loop: Header=BB1966_316 Depth=2
	s_or_b32 exec_lo, exec_lo, s9
	s_delay_alu instid0(SALU_CYCLE_1)
	s_mov_b32 s9, exec_lo
	v_cmpx_gt_u32_e64 s8, v76
	s_cbranch_execnz .LBB1966_362
.LBB1966_347:                           ;   in Loop: Header=BB1966_316 Depth=2
	s_or_b32 exec_lo, exec_lo, s9
	s_delay_alu instid0(SALU_CYCLE_1)
	s_mov_b32 s9, exec_lo
	v_cmpx_gt_u32_e64 s8, v77
	s_cbranch_execnz .LBB1966_363
.LBB1966_348:                           ;   in Loop: Header=BB1966_316 Depth=2
	s_or_b32 exec_lo, exec_lo, s9
	s_delay_alu instid0(SALU_CYCLE_1)
	s_mov_b32 s9, exec_lo
	v_cmpx_gt_u32_e64 s8, v78
	s_cbranch_execnz .LBB1966_364
.LBB1966_349:                           ;   in Loop: Header=BB1966_316 Depth=2
	s_or_b32 exec_lo, exec_lo, s9
	s_delay_alu instid0(SALU_CYCLE_1)
	s_mov_b32 s9, exec_lo
	v_cmpx_gt_u32_e64 s8, v79
	s_cbranch_execnz .LBB1966_365
.LBB1966_350:                           ;   in Loop: Header=BB1966_316 Depth=2
	s_or_b32 exec_lo, exec_lo, s9
	s_delay_alu instid0(SALU_CYCLE_1)
	s_mov_b32 s9, exec_lo
	v_cmpx_gt_u32_e64 s8, v80
	s_cbranch_execnz .LBB1966_366
.LBB1966_351:                           ;   in Loop: Header=BB1966_316 Depth=2
	s_or_b32 exec_lo, exec_lo, s9
	s_delay_alu instid0(SALU_CYCLE_1)
	s_mov_b32 s9, exec_lo
	v_cmpx_gt_u32_e64 s8, v81
	s_cbranch_execnz .LBB1966_367
.LBB1966_352:                           ;   in Loop: Header=BB1966_316 Depth=2
	s_or_b32 exec_lo, exec_lo, s9
	v_cmp_gt_u32_e32 vcc_lo, s8, v82
	s_and_saveexec_b32 s8, vcc_lo
	s_cbranch_execz .LBB1966_315
	s_branch .LBB1966_368
.LBB1966_353:                           ;   in Loop: Header=BB1966_316 Depth=2
	v_cmp_gt_i16_e32 vcc_lo, 0, v38
	v_cndmask_b32_e64 v39, 0x7fff, 0, vcc_lo
	s_delay_alu instid0(VALU_DEP_1) | instskip(NEXT) | instid1(VALU_DEP_1)
	v_xor_b32_e32 v39, v39, v38
	v_cmp_ne_u16_e32 vcc_lo, 0x8000, v39
	v_cndmask_b32_e32 v39, 0x7fff, v39, vcc_lo
	s_delay_alu instid0(VALU_DEP_1) | instskip(NEXT) | instid1(VALU_DEP_1)
	v_and_b32_e32 v39, 0xffff, v39
	v_lshrrev_b32_e32 v39, s48, v39
	s_delay_alu instid0(VALU_DEP_1) | instskip(NEXT) | instid1(VALU_DEP_1)
	v_and_b32_e32 v39, s52, v39
	v_lshl_or_b32 v39, v39, 4, v83
	ds_add_u32 v39, v96
	s_or_b32 exec_lo, exec_lo, s9
	s_delay_alu instid0(SALU_CYCLE_1)
	s_mov_b32 s9, exec_lo
	v_cmpx_gt_u32_e64 s8, v68
	s_cbranch_execz .LBB1966_339
.LBB1966_354:                           ;   in Loop: Header=BB1966_316 Depth=2
	v_cmp_gt_i16_e32 vcc_lo, 0, v37
	v_cndmask_b32_e64 v39, 0x7fff, 0, vcc_lo
	s_delay_alu instid0(VALU_DEP_1) | instskip(NEXT) | instid1(VALU_DEP_1)
	v_xor_b32_e32 v39, v39, v37
	v_cmp_ne_u16_e32 vcc_lo, 0x8000, v39
	v_cndmask_b32_e32 v39, 0x7fff, v39, vcc_lo
	s_delay_alu instid0(VALU_DEP_1) | instskip(NEXT) | instid1(VALU_DEP_1)
	v_and_b32_e32 v39, 0xffff, v39
	v_lshrrev_b32_e32 v39, s48, v39
	s_delay_alu instid0(VALU_DEP_1) | instskip(NEXT) | instid1(VALU_DEP_1)
	v_and_b32_e32 v39, s52, v39
	v_lshl_or_b32 v39, v39, 4, v83
	ds_add_u32 v39, v96
	s_or_b32 exec_lo, exec_lo, s9
	s_delay_alu instid0(SALU_CYCLE_1)
	s_mov_b32 s9, exec_lo
	v_cmpx_gt_u32_e64 s8, v69
	s_cbranch_execz .LBB1966_340
.LBB1966_355:                           ;   in Loop: Header=BB1966_316 Depth=2
	v_cmp_gt_i16_e32 vcc_lo, 0, v36
	v_cndmask_b32_e64 v39, 0x7fff, 0, vcc_lo
	s_delay_alu instid0(VALU_DEP_1) | instskip(NEXT) | instid1(VALU_DEP_1)
	v_xor_b32_e32 v39, v39, v36
	v_cmp_ne_u16_e32 vcc_lo, 0x8000, v39
	v_cndmask_b32_e32 v39, 0x7fff, v39, vcc_lo
	s_delay_alu instid0(VALU_DEP_1) | instskip(NEXT) | instid1(VALU_DEP_1)
	v_and_b32_e32 v39, 0xffff, v39
	v_lshrrev_b32_e32 v39, s48, v39
	s_delay_alu instid0(VALU_DEP_1) | instskip(NEXT) | instid1(VALU_DEP_1)
	v_and_b32_e32 v39, s52, v39
	v_lshl_or_b32 v39, v39, 4, v83
	ds_add_u32 v39, v96
	s_or_b32 exec_lo, exec_lo, s9
	s_delay_alu instid0(SALU_CYCLE_1)
	s_mov_b32 s9, exec_lo
	v_cmpx_gt_u32_e64 s8, v70
	s_cbranch_execz .LBB1966_341
.LBB1966_356:                           ;   in Loop: Header=BB1966_316 Depth=2
	v_cmp_gt_i16_e32 vcc_lo, 0, v35
	v_cndmask_b32_e64 v39, 0x7fff, 0, vcc_lo
	s_delay_alu instid0(VALU_DEP_1) | instskip(NEXT) | instid1(VALU_DEP_1)
	v_xor_b32_e32 v39, v39, v35
	v_cmp_ne_u16_e32 vcc_lo, 0x8000, v39
	v_cndmask_b32_e32 v39, 0x7fff, v39, vcc_lo
	s_delay_alu instid0(VALU_DEP_1) | instskip(NEXT) | instid1(VALU_DEP_1)
	v_and_b32_e32 v39, 0xffff, v39
	v_lshrrev_b32_e32 v39, s48, v39
	s_delay_alu instid0(VALU_DEP_1) | instskip(NEXT) | instid1(VALU_DEP_1)
	v_and_b32_e32 v39, s52, v39
	v_lshl_or_b32 v39, v39, 4, v83
	ds_add_u32 v39, v96
	s_or_b32 exec_lo, exec_lo, s9
	s_delay_alu instid0(SALU_CYCLE_1)
	s_mov_b32 s9, exec_lo
	v_cmpx_gt_u32_e64 s8, v71
	s_cbranch_execz .LBB1966_342
.LBB1966_357:                           ;   in Loop: Header=BB1966_316 Depth=2
	v_cmp_gt_i16_e32 vcc_lo, 0, v34
	v_cndmask_b32_e64 v39, 0x7fff, 0, vcc_lo
	s_delay_alu instid0(VALU_DEP_1) | instskip(NEXT) | instid1(VALU_DEP_1)
	v_xor_b32_e32 v39, v39, v34
	v_cmp_ne_u16_e32 vcc_lo, 0x8000, v39
	v_cndmask_b32_e32 v39, 0x7fff, v39, vcc_lo
	s_delay_alu instid0(VALU_DEP_1) | instskip(NEXT) | instid1(VALU_DEP_1)
	v_and_b32_e32 v39, 0xffff, v39
	v_lshrrev_b32_e32 v39, s48, v39
	s_delay_alu instid0(VALU_DEP_1) | instskip(NEXT) | instid1(VALU_DEP_1)
	v_and_b32_e32 v39, s52, v39
	v_lshl_or_b32 v39, v39, 4, v83
	ds_add_u32 v39, v96
	s_or_b32 exec_lo, exec_lo, s9
	s_delay_alu instid0(SALU_CYCLE_1)
	s_mov_b32 s9, exec_lo
	v_cmpx_gt_u32_e64 s8, v72
	s_cbranch_execz .LBB1966_343
.LBB1966_358:                           ;   in Loop: Header=BB1966_316 Depth=2
	v_cmp_gt_i16_e32 vcc_lo, 0, v33
	v_cndmask_b32_e64 v39, 0x7fff, 0, vcc_lo
	s_delay_alu instid0(VALU_DEP_1) | instskip(NEXT) | instid1(VALU_DEP_1)
	v_xor_b32_e32 v39, v39, v33
	v_cmp_ne_u16_e32 vcc_lo, 0x8000, v39
	v_cndmask_b32_e32 v39, 0x7fff, v39, vcc_lo
	s_delay_alu instid0(VALU_DEP_1) | instskip(NEXT) | instid1(VALU_DEP_1)
	v_and_b32_e32 v39, 0xffff, v39
	v_lshrrev_b32_e32 v39, s48, v39
	s_delay_alu instid0(VALU_DEP_1) | instskip(NEXT) | instid1(VALU_DEP_1)
	v_and_b32_e32 v39, s52, v39
	v_lshl_or_b32 v39, v39, 4, v83
	ds_add_u32 v39, v96
	s_or_b32 exec_lo, exec_lo, s9
	s_delay_alu instid0(SALU_CYCLE_1)
	s_mov_b32 s9, exec_lo
	v_cmpx_gt_u32_e64 s8, v73
	s_cbranch_execz .LBB1966_344
.LBB1966_359:                           ;   in Loop: Header=BB1966_316 Depth=2
	v_cmp_gt_i16_e32 vcc_lo, 0, v32
	v_cndmask_b32_e64 v39, 0x7fff, 0, vcc_lo
	s_delay_alu instid0(VALU_DEP_1) | instskip(NEXT) | instid1(VALU_DEP_1)
	v_xor_b32_e32 v39, v39, v32
	v_cmp_ne_u16_e32 vcc_lo, 0x8000, v39
	v_cndmask_b32_e32 v39, 0x7fff, v39, vcc_lo
	s_delay_alu instid0(VALU_DEP_1) | instskip(NEXT) | instid1(VALU_DEP_1)
	v_and_b32_e32 v39, 0xffff, v39
	v_lshrrev_b32_e32 v39, s48, v39
	s_delay_alu instid0(VALU_DEP_1) | instskip(NEXT) | instid1(VALU_DEP_1)
	v_and_b32_e32 v39, s52, v39
	v_lshl_or_b32 v39, v39, 4, v83
	ds_add_u32 v39, v96
	s_or_b32 exec_lo, exec_lo, s9
	s_delay_alu instid0(SALU_CYCLE_1)
	s_mov_b32 s9, exec_lo
	v_cmpx_gt_u32_e64 s8, v74
	s_cbranch_execz .LBB1966_345
.LBB1966_360:                           ;   in Loop: Header=BB1966_316 Depth=2
	v_cmp_gt_i16_e32 vcc_lo, 0, v31
	v_cndmask_b32_e64 v39, 0x7fff, 0, vcc_lo
	s_delay_alu instid0(VALU_DEP_1) | instskip(NEXT) | instid1(VALU_DEP_1)
	v_xor_b32_e32 v39, v39, v31
	v_cmp_ne_u16_e32 vcc_lo, 0x8000, v39
	v_cndmask_b32_e32 v39, 0x7fff, v39, vcc_lo
	s_delay_alu instid0(VALU_DEP_1) | instskip(NEXT) | instid1(VALU_DEP_1)
	v_and_b32_e32 v39, 0xffff, v39
	v_lshrrev_b32_e32 v39, s48, v39
	s_delay_alu instid0(VALU_DEP_1) | instskip(NEXT) | instid1(VALU_DEP_1)
	v_and_b32_e32 v39, s52, v39
	v_lshl_or_b32 v39, v39, 4, v83
	ds_add_u32 v39, v96
	s_or_b32 exec_lo, exec_lo, s9
	s_delay_alu instid0(SALU_CYCLE_1)
	s_mov_b32 s9, exec_lo
	v_cmpx_gt_u32_e64 s8, v75
	s_cbranch_execz .LBB1966_346
.LBB1966_361:                           ;   in Loop: Header=BB1966_316 Depth=2
	v_cmp_gt_i16_e32 vcc_lo, 0, v30
	v_cndmask_b32_e64 v39, 0x7fff, 0, vcc_lo
	s_delay_alu instid0(VALU_DEP_1) | instskip(NEXT) | instid1(VALU_DEP_1)
	v_xor_b32_e32 v39, v39, v30
	v_cmp_ne_u16_e32 vcc_lo, 0x8000, v39
	v_cndmask_b32_e32 v39, 0x7fff, v39, vcc_lo
	s_delay_alu instid0(VALU_DEP_1) | instskip(NEXT) | instid1(VALU_DEP_1)
	v_and_b32_e32 v39, 0xffff, v39
	v_lshrrev_b32_e32 v39, s48, v39
	s_delay_alu instid0(VALU_DEP_1) | instskip(NEXT) | instid1(VALU_DEP_1)
	v_and_b32_e32 v39, s52, v39
	v_lshl_or_b32 v39, v39, 4, v83
	ds_add_u32 v39, v96
	s_or_b32 exec_lo, exec_lo, s9
	s_delay_alu instid0(SALU_CYCLE_1)
	s_mov_b32 s9, exec_lo
	v_cmpx_gt_u32_e64 s8, v76
	s_cbranch_execz .LBB1966_347
.LBB1966_362:                           ;   in Loop: Header=BB1966_316 Depth=2
	v_cmp_gt_i16_e32 vcc_lo, 0, v29
	v_cndmask_b32_e64 v39, 0x7fff, 0, vcc_lo
	s_delay_alu instid0(VALU_DEP_1) | instskip(NEXT) | instid1(VALU_DEP_1)
	v_xor_b32_e32 v39, v39, v29
	v_cmp_ne_u16_e32 vcc_lo, 0x8000, v39
	v_cndmask_b32_e32 v39, 0x7fff, v39, vcc_lo
	s_delay_alu instid0(VALU_DEP_1) | instskip(NEXT) | instid1(VALU_DEP_1)
	v_and_b32_e32 v39, 0xffff, v39
	v_lshrrev_b32_e32 v39, s48, v39
	s_delay_alu instid0(VALU_DEP_1) | instskip(NEXT) | instid1(VALU_DEP_1)
	v_and_b32_e32 v39, s52, v39
	v_lshl_or_b32 v39, v39, 4, v83
	ds_add_u32 v39, v96
	s_or_b32 exec_lo, exec_lo, s9
	s_delay_alu instid0(SALU_CYCLE_1)
	s_mov_b32 s9, exec_lo
	v_cmpx_gt_u32_e64 s8, v77
	s_cbranch_execz .LBB1966_348
.LBB1966_363:                           ;   in Loop: Header=BB1966_316 Depth=2
	v_cmp_gt_i16_e32 vcc_lo, 0, v28
	v_cndmask_b32_e64 v39, 0x7fff, 0, vcc_lo
	s_delay_alu instid0(VALU_DEP_1) | instskip(NEXT) | instid1(VALU_DEP_1)
	v_xor_b32_e32 v39, v39, v28
	v_cmp_ne_u16_e32 vcc_lo, 0x8000, v39
	v_cndmask_b32_e32 v39, 0x7fff, v39, vcc_lo
	s_delay_alu instid0(VALU_DEP_1) | instskip(NEXT) | instid1(VALU_DEP_1)
	v_and_b32_e32 v39, 0xffff, v39
	v_lshrrev_b32_e32 v39, s48, v39
	s_delay_alu instid0(VALU_DEP_1) | instskip(NEXT) | instid1(VALU_DEP_1)
	v_and_b32_e32 v39, s52, v39
	v_lshl_or_b32 v39, v39, 4, v83
	ds_add_u32 v39, v96
	s_or_b32 exec_lo, exec_lo, s9
	s_delay_alu instid0(SALU_CYCLE_1)
	s_mov_b32 s9, exec_lo
	v_cmpx_gt_u32_e64 s8, v78
	s_cbranch_execz .LBB1966_349
.LBB1966_364:                           ;   in Loop: Header=BB1966_316 Depth=2
	v_cmp_gt_i16_e32 vcc_lo, 0, v27
	v_cndmask_b32_e64 v39, 0x7fff, 0, vcc_lo
	s_delay_alu instid0(VALU_DEP_1) | instskip(NEXT) | instid1(VALU_DEP_1)
	v_xor_b32_e32 v39, v39, v27
	v_cmp_ne_u16_e32 vcc_lo, 0x8000, v39
	v_cndmask_b32_e32 v39, 0x7fff, v39, vcc_lo
	s_delay_alu instid0(VALU_DEP_1) | instskip(NEXT) | instid1(VALU_DEP_1)
	v_and_b32_e32 v39, 0xffff, v39
	v_lshrrev_b32_e32 v39, s48, v39
	s_delay_alu instid0(VALU_DEP_1) | instskip(NEXT) | instid1(VALU_DEP_1)
	v_and_b32_e32 v39, s52, v39
	v_lshl_or_b32 v39, v39, 4, v83
	ds_add_u32 v39, v96
	s_or_b32 exec_lo, exec_lo, s9
	s_delay_alu instid0(SALU_CYCLE_1)
	s_mov_b32 s9, exec_lo
	v_cmpx_gt_u32_e64 s8, v79
	s_cbranch_execz .LBB1966_350
.LBB1966_365:                           ;   in Loop: Header=BB1966_316 Depth=2
	v_cmp_gt_i16_e32 vcc_lo, 0, v26
	v_cndmask_b32_e64 v39, 0x7fff, 0, vcc_lo
	s_delay_alu instid0(VALU_DEP_1) | instskip(NEXT) | instid1(VALU_DEP_1)
	v_xor_b32_e32 v39, v39, v26
	v_cmp_ne_u16_e32 vcc_lo, 0x8000, v39
	v_cndmask_b32_e32 v39, 0x7fff, v39, vcc_lo
	s_delay_alu instid0(VALU_DEP_1) | instskip(NEXT) | instid1(VALU_DEP_1)
	v_and_b32_e32 v39, 0xffff, v39
	v_lshrrev_b32_e32 v39, s48, v39
	s_delay_alu instid0(VALU_DEP_1) | instskip(NEXT) | instid1(VALU_DEP_1)
	v_and_b32_e32 v39, s52, v39
	v_lshl_or_b32 v39, v39, 4, v83
	ds_add_u32 v39, v96
	s_or_b32 exec_lo, exec_lo, s9
	s_delay_alu instid0(SALU_CYCLE_1)
	s_mov_b32 s9, exec_lo
	v_cmpx_gt_u32_e64 s8, v80
	s_cbranch_execz .LBB1966_351
.LBB1966_366:                           ;   in Loop: Header=BB1966_316 Depth=2
	v_cmp_gt_i16_e32 vcc_lo, 0, v25
	v_cndmask_b32_e64 v39, 0x7fff, 0, vcc_lo
	s_delay_alu instid0(VALU_DEP_1) | instskip(NEXT) | instid1(VALU_DEP_1)
	v_xor_b32_e32 v39, v39, v25
	v_cmp_ne_u16_e32 vcc_lo, 0x8000, v39
	v_cndmask_b32_e32 v39, 0x7fff, v39, vcc_lo
	s_delay_alu instid0(VALU_DEP_1) | instskip(NEXT) | instid1(VALU_DEP_1)
	v_and_b32_e32 v39, 0xffff, v39
	v_lshrrev_b32_e32 v39, s48, v39
	s_delay_alu instid0(VALU_DEP_1) | instskip(NEXT) | instid1(VALU_DEP_1)
	v_and_b32_e32 v39, s52, v39
	v_lshl_or_b32 v39, v39, 4, v83
	ds_add_u32 v39, v96
	s_or_b32 exec_lo, exec_lo, s9
	s_delay_alu instid0(SALU_CYCLE_1)
	s_mov_b32 s9, exec_lo
	v_cmpx_gt_u32_e64 s8, v81
	s_cbranch_execz .LBB1966_352
.LBB1966_367:                           ;   in Loop: Header=BB1966_316 Depth=2
	v_cmp_gt_i16_e32 vcc_lo, 0, v24
	v_cndmask_b32_e64 v39, 0x7fff, 0, vcc_lo
	s_delay_alu instid0(VALU_DEP_1) | instskip(NEXT) | instid1(VALU_DEP_1)
	v_xor_b32_e32 v39, v39, v24
	v_cmp_ne_u16_e32 vcc_lo, 0x8000, v39
	v_cndmask_b32_e32 v39, 0x7fff, v39, vcc_lo
	s_delay_alu instid0(VALU_DEP_1) | instskip(NEXT) | instid1(VALU_DEP_1)
	v_and_b32_e32 v39, 0xffff, v39
	v_lshrrev_b32_e32 v39, s48, v39
	s_delay_alu instid0(VALU_DEP_1) | instskip(NEXT) | instid1(VALU_DEP_1)
	v_and_b32_e32 v39, s52, v39
	v_lshl_or_b32 v39, v39, 4, v83
	ds_add_u32 v39, v96
	s_or_b32 exec_lo, exec_lo, s9
	v_cmp_gt_u32_e32 vcc_lo, s8, v82
	s_and_saveexec_b32 s8, vcc_lo
	s_cbranch_execz .LBB1966_315
.LBB1966_368:                           ;   in Loop: Header=BB1966_316 Depth=2
	v_cmp_gt_i16_e32 vcc_lo, 0, v23
	v_cndmask_b32_e64 v39, 0x7fff, 0, vcc_lo
	s_delay_alu instid0(VALU_DEP_1) | instskip(NEXT) | instid1(VALU_DEP_1)
	v_xor_b32_e32 v39, v39, v23
	v_cmp_ne_u16_e32 vcc_lo, 0x8000, v39
	v_cndmask_b32_e32 v39, 0x7fff, v39, vcc_lo
	s_delay_alu instid0(VALU_DEP_1) | instskip(NEXT) | instid1(VALU_DEP_1)
	v_and_b32_e32 v39, 0xffff, v39
	v_lshrrev_b32_e32 v39, s48, v39
	s_delay_alu instid0(VALU_DEP_1) | instskip(NEXT) | instid1(VALU_DEP_1)
	v_and_b32_e32 v39, s52, v39
	v_lshl_or_b32 v39, v39, 4, v83
	ds_add_u32 v39, v96
	s_branch .LBB1966_315
.LBB1966_369:                           ;   in Loop: Header=BB1966_316 Depth=2
	global_load_u16 v38, v2, s[8:9] scale_offset
	s_wait_xcnt 0x0
	s_or_b32 exec_lo, exec_lo, s11
	s_delay_alu instid0(SALU_CYCLE_1)
	s_mov_b32 s11, exec_lo
	v_cmpx_gt_u32_e64 s7, v68
	s_cbranch_execz .LBB1966_321
.LBB1966_370:                           ;   in Loop: Header=BB1966_316 Depth=2
	global_load_u16 v37, v2, s[8:9] offset:512 scale_offset
	s_wait_xcnt 0x0
	s_or_b32 exec_lo, exec_lo, s11
	s_delay_alu instid0(SALU_CYCLE_1)
	s_mov_b32 s11, exec_lo
	v_cmpx_gt_u32_e64 s7, v69
	s_cbranch_execz .LBB1966_322
.LBB1966_371:                           ;   in Loop: Header=BB1966_316 Depth=2
	global_load_u16 v36, v2, s[8:9] offset:1024 scale_offset
	s_wait_xcnt 0x0
	s_or_b32 exec_lo, exec_lo, s11
	s_delay_alu instid0(SALU_CYCLE_1)
	s_mov_b32 s11, exec_lo
	v_cmpx_gt_u32_e64 s7, v70
	s_cbranch_execz .LBB1966_323
.LBB1966_372:                           ;   in Loop: Header=BB1966_316 Depth=2
	global_load_u16 v35, v2, s[8:9] offset:1536 scale_offset
	s_wait_xcnt 0x0
	s_or_b32 exec_lo, exec_lo, s11
	s_delay_alu instid0(SALU_CYCLE_1)
	s_mov_b32 s11, exec_lo
	v_cmpx_gt_u32_e64 s7, v71
	s_cbranch_execz .LBB1966_324
.LBB1966_373:                           ;   in Loop: Header=BB1966_316 Depth=2
	global_load_u16 v34, v2, s[8:9] offset:2048 scale_offset
	s_wait_xcnt 0x0
	s_or_b32 exec_lo, exec_lo, s11
	s_delay_alu instid0(SALU_CYCLE_1)
	s_mov_b32 s11, exec_lo
	v_cmpx_gt_u32_e64 s7, v72
	s_cbranch_execz .LBB1966_325
.LBB1966_374:                           ;   in Loop: Header=BB1966_316 Depth=2
	global_load_u16 v33, v2, s[8:9] offset:2560 scale_offset
	s_wait_xcnt 0x0
	s_or_b32 exec_lo, exec_lo, s11
	s_delay_alu instid0(SALU_CYCLE_1)
	s_mov_b32 s11, exec_lo
	v_cmpx_gt_u32_e64 s7, v73
	s_cbranch_execz .LBB1966_326
.LBB1966_375:                           ;   in Loop: Header=BB1966_316 Depth=2
	global_load_u16 v32, v2, s[8:9] offset:3072 scale_offset
	s_wait_xcnt 0x0
	s_or_b32 exec_lo, exec_lo, s11
	s_delay_alu instid0(SALU_CYCLE_1)
	s_mov_b32 s11, exec_lo
	v_cmpx_gt_u32_e64 s7, v74
	s_cbranch_execz .LBB1966_327
.LBB1966_376:                           ;   in Loop: Header=BB1966_316 Depth=2
	global_load_u16 v31, v2, s[8:9] offset:3584 scale_offset
	s_wait_xcnt 0x0
	s_or_b32 exec_lo, exec_lo, s11
	s_delay_alu instid0(SALU_CYCLE_1)
	s_mov_b32 s11, exec_lo
	v_cmpx_gt_u32_e64 s7, v75
	s_cbranch_execz .LBB1966_328
.LBB1966_377:                           ;   in Loop: Header=BB1966_316 Depth=2
	global_load_u16 v30, v2, s[8:9] offset:4096 scale_offset
	s_wait_xcnt 0x0
	s_or_b32 exec_lo, exec_lo, s11
	s_delay_alu instid0(SALU_CYCLE_1)
	s_mov_b32 s11, exec_lo
	v_cmpx_gt_u32_e64 s7, v76
	s_cbranch_execz .LBB1966_329
.LBB1966_378:                           ;   in Loop: Header=BB1966_316 Depth=2
	global_load_u16 v29, v2, s[8:9] offset:4608 scale_offset
	s_wait_xcnt 0x0
	s_or_b32 exec_lo, exec_lo, s11
	s_delay_alu instid0(SALU_CYCLE_1)
	s_mov_b32 s11, exec_lo
	v_cmpx_gt_u32_e64 s7, v77
	s_cbranch_execz .LBB1966_330
.LBB1966_379:                           ;   in Loop: Header=BB1966_316 Depth=2
	global_load_u16 v28, v2, s[8:9] offset:5120 scale_offset
	s_wait_xcnt 0x0
	s_or_b32 exec_lo, exec_lo, s11
	s_delay_alu instid0(SALU_CYCLE_1)
	s_mov_b32 s11, exec_lo
	v_cmpx_gt_u32_e64 s7, v78
	s_cbranch_execz .LBB1966_331
.LBB1966_380:                           ;   in Loop: Header=BB1966_316 Depth=2
	global_load_u16 v27, v2, s[8:9] offset:5632 scale_offset
	s_wait_xcnt 0x0
	s_or_b32 exec_lo, exec_lo, s11
	s_delay_alu instid0(SALU_CYCLE_1)
	s_mov_b32 s11, exec_lo
	v_cmpx_gt_u32_e64 s7, v79
	s_cbranch_execz .LBB1966_332
.LBB1966_381:                           ;   in Loop: Header=BB1966_316 Depth=2
	global_load_u16 v26, v2, s[8:9] offset:6144 scale_offset
	s_wait_xcnt 0x0
	s_or_b32 exec_lo, exec_lo, s11
	s_delay_alu instid0(SALU_CYCLE_1)
	s_mov_b32 s11, exec_lo
	v_cmpx_gt_u32_e64 s7, v80
	s_cbranch_execz .LBB1966_333
.LBB1966_382:                           ;   in Loop: Header=BB1966_316 Depth=2
	global_load_u16 v25, v2, s[8:9] offset:6656 scale_offset
	s_wait_xcnt 0x0
	s_or_b32 exec_lo, exec_lo, s11
	s_delay_alu instid0(SALU_CYCLE_1)
	s_mov_b32 s11, exec_lo
	v_cmpx_gt_u32_e64 s7, v81
	s_cbranch_execz .LBB1966_334
.LBB1966_383:                           ;   in Loop: Header=BB1966_316 Depth=2
	global_load_u16 v24, v2, s[8:9] offset:7168 scale_offset
	s_wait_xcnt 0x0
	s_or_b32 exec_lo, exec_lo, s11
	s_delay_alu instid0(SALU_CYCLE_1)
	s_mov_b32 s11, exec_lo
	v_cmpx_gt_u32_e64 s7, v82
	s_cbranch_execnz .LBB1966_335
	s_branch .LBB1966_336
.LBB1966_384:                           ;   in Loop: Header=BB1966_20 Depth=1
	v_mov_b32_e32 v23, 0
	s_wait_dscnt 0x0
	s_barrier_signal -1
	s_barrier_wait -1
	s_and_saveexec_b32 s7, s0
	s_cbranch_execz .LBB1966_386
; %bb.385:                              ;   in Loop: Header=BB1966_20 Depth=1
	ds_load_2addr_b64 v[24:27], v85 offset1:1
	s_wait_dscnt 0x0
	v_add_nc_u32_e32 v23, v25, v24
	s_delay_alu instid0(VALU_DEP_1)
	v_add3_u32 v23, v23, v26, v27
.LBB1966_386:                           ;   in Loop: Header=BB1966_20 Depth=1
	s_or_b32 exec_lo, exec_lo, s7
	s_delay_alu instid0(VALU_DEP_1)
	v_mov_b32_dpp v24, v23 row_shr:1 row_mask:0xf bank_mask:0xf
	v_cmp_eq_u32_e64 s7, 0, v97
	v_cmp_lt_u32_e64 s8, 1, v97
	v_cmp_lt_u32_e64 s9, 3, v97
	;; [unrolled: 1-line block ×3, first 2 shown]
	v_cmp_eq_u32_e64 s11, 0, v99
	v_cndmask_b32_e64 v24, v24, 0, s7
	s_delay_alu instid0(VALU_DEP_1) | instskip(NEXT) | instid1(VALU_DEP_1)
	v_add_nc_u32_e32 v23, v24, v23
	v_mov_b32_dpp v24, v23 row_shr:2 row_mask:0xf bank_mask:0xf
	s_delay_alu instid0(VALU_DEP_1) | instskip(NEXT) | instid1(VALU_DEP_1)
	v_cndmask_b32_e64 v24, 0, v24, s8
	v_add_nc_u32_e32 v23, v23, v24
	s_delay_alu instid0(VALU_DEP_1) | instskip(NEXT) | instid1(VALU_DEP_1)
	v_mov_b32_dpp v24, v23 row_shr:4 row_mask:0xf bank_mask:0xf
	v_cndmask_b32_e64 v24, 0, v24, s9
	s_delay_alu instid0(VALU_DEP_1) | instskip(NEXT) | instid1(VALU_DEP_1)
	v_add_nc_u32_e32 v23, v23, v24
	v_mov_b32_dpp v24, v23 row_shr:8 row_mask:0xf bank_mask:0xf
	s_delay_alu instid0(VALU_DEP_1) | instskip(NEXT) | instid1(VALU_DEP_1)
	v_cndmask_b32_e64 v24, 0, v24, s10
	v_add_nc_u32_e32 v23, v23, v24
	ds_swizzle_b32 v24, v23 offset:swizzle(BROADCAST,32,15)
	s_wait_dscnt 0x0
	v_and_b32_e32 v24, v98, v24
	s_delay_alu instid0(VALU_DEP_1)
	v_add_nc_u32_e32 v23, v23, v24
	s_and_saveexec_b32 s12, s1
; %bb.387:                              ;   in Loop: Header=BB1966_20 Depth=1
	ds_store_b32 v86, v23
; %bb.388:                              ;   in Loop: Header=BB1966_20 Depth=1
	s_or_b32 exec_lo, exec_lo, s12
	s_wait_dscnt 0x0
	s_barrier_signal -1
	s_barrier_wait -1
	s_and_saveexec_b32 s12, s4
	s_cbranch_execz .LBB1966_390
; %bb.389:                              ;   in Loop: Header=BB1966_20 Depth=1
	ds_load_b32 v24, v87
	v_cmp_ne_u32_e32 vcc_lo, 0, v101
	s_wait_dscnt 0x0
	v_mov_b32_dpp v25, v24 row_shr:1 row_mask:0xf bank_mask:0xf
	s_delay_alu instid0(VALU_DEP_1) | instskip(SKIP_1) | instid1(VALU_DEP_2)
	v_cndmask_b32_e32 v25, 0, v25, vcc_lo
	v_cmp_lt_u32_e32 vcc_lo, 1, v101
	v_add_nc_u32_e32 v24, v25, v24
	s_delay_alu instid0(VALU_DEP_1) | instskip(NEXT) | instid1(VALU_DEP_1)
	v_mov_b32_dpp v25, v24 row_shr:2 row_mask:0xf bank_mask:0xf
	v_cndmask_b32_e32 v25, 0, v25, vcc_lo
	v_cmp_lt_u32_e32 vcc_lo, 3, v101
	s_delay_alu instid0(VALU_DEP_2) | instskip(NEXT) | instid1(VALU_DEP_1)
	v_add_nc_u32_e32 v24, v24, v25
	v_mov_b32_dpp v25, v24 row_shr:4 row_mask:0xf bank_mask:0xf
	s_delay_alu instid0(VALU_DEP_1) | instskip(NEXT) | instid1(VALU_DEP_1)
	v_cndmask_b32_e32 v25, 0, v25, vcc_lo
	v_add_nc_u32_e32 v24, v24, v25
	ds_store_b32 v87, v24
.LBB1966_390:                           ;   in Loop: Header=BB1966_20 Depth=1
	s_or_b32 exec_lo, exec_lo, s12
	v_mov_b32_e32 v24, 0
	s_wait_dscnt 0x0
	s_barrier_signal -1
	s_barrier_wait -1
	s_and_saveexec_b32 s12, s5
; %bb.391:                              ;   in Loop: Header=BB1966_20 Depth=1
	ds_load_b32 v24, v88
; %bb.392:                              ;   in Loop: Header=BB1966_20 Depth=1
	s_or_b32 exec_lo, exec_lo, s12
	v_cmp_gt_i32_e32 vcc_lo, 0, v102
	s_wait_dscnt 0x0
	s_barrier_signal -1
	s_barrier_wait -1
	v_cndmask_b32_e32 v25, v102, v95, vcc_lo
	s_delay_alu instid0(VALU_DEP_1)
	v_dual_add_nc_u32 v23, v24, v23 :: v_dual_lshlrev_b32 v122, 2, v25
	ds_bpermute_b32 v23, v122, v23
	s_and_saveexec_b32 s12, s0
	s_cbranch_execz .LBB1966_394
; %bb.393:                              ;   in Loop: Header=BB1966_20 Depth=1
	s_wait_dscnt 0x0
	v_cndmask_b32_e64 v23, v23, v24, s6
	s_delay_alu instid0(VALU_DEP_1)
	v_add_nc_u32_e32 v23, s54, v23
	ds_store_b32 v3, v23
.LBB1966_394:                           ;   in Loop: Header=BB1966_20 Depth=1
	s_or_b32 exec_lo, exec_lo, s12
	s_load_b64 s[12:13], s[34:35], 0x0
	s_mov_b32 s53, s56
                                        ; implicit-def: $vgpr30_vgpr31
                                        ; implicit-def: $vgpr32_vgpr33
                                        ; implicit-def: $vgpr34_vgpr35
                                        ; implicit-def: $vgpr36_vgpr37
                                        ; implicit-def: $vgpr38_vgpr39
                                        ; implicit-def: $vgpr40_vgpr41
                                        ; implicit-def: $vgpr42_vgpr43
                                        ; implicit-def: $vgpr44_vgpr45
                                        ; implicit-def: $vgpr46_vgpr47
                                        ; implicit-def: $vgpr48_vgpr49
                                        ; implicit-def: $vgpr50_vgpr51
                                        ; implicit-def: $vgpr52_vgpr53
                                        ; implicit-def: $vgpr54_vgpr55
                                        ; implicit-def: $vgpr56_vgpr57
                                        ; implicit-def: $vgpr58_vgpr59
                                        ; implicit-def: $vgpr123
                                        ; implicit-def: $vgpr124
                                        ; implicit-def: $vgpr125
                                        ; implicit-def: $vgpr126
                                        ; implicit-def: $vgpr127
                                        ; implicit-def: $vgpr128
                                        ; implicit-def: $vgpr129
                                        ; implicit-def: $vgpr130
                                        ; implicit-def: $vgpr131
                                        ; implicit-def: $vgpr132
                                        ; implicit-def: $vgpr133
                                        ; implicit-def: $vgpr134
                                        ; implicit-def: $vgpr135
                                        ; implicit-def: $vgpr136
                                        ; implicit-def: $vgpr137
                                        ; implicit-def: $vgpr138
	s_wait_kmcnt 0x0
	s_cmp_lt_u32 s33, s12
	s_cselect_b32 s42, 12, 18
	s_cmp_lt_u32 s31, s13
	s_mov_b32 s13, s43
	s_cselect_b32 s12, 14, 20
	s_delay_alu instid0(SALU_CYCLE_1)
	s_add_nc_u64 s[12:13], s[34:35], s[12:13]
	s_load_u16 s14, s[12:13], 0x0
	s_wait_xcnt 0x0
	s_add_nc_u64 s[12:13], s[34:35], s[42:43]
	s_mov_b32 s42, s54
	s_load_u16 s12, s[12:13], 0x0
	s_wait_xcnt 0x0
	v_cmp_lt_u32_e64 s13, 1, v101
	s_wait_dscnt 0x0
	s_wait_kmcnt 0x0
	v_mad_u32_u24 v23, v89, s14, v90
	v_cmp_lt_u32_e64 s14, 3, v101
	s_delay_alu instid0(VALU_DEP_2) | instskip(SKIP_2) | instid1(VALU_DEP_3)
	v_mad_u32 v24, v23, s12, v2
	v_mov_b32_e32 v23, v5
	v_cmp_eq_u32_e64 s12, 0, v101
	v_lshrrev_b32_e32 v28, 3, v24
	v_add_nc_u64_e32 v[24:25], v[12:13], v[4:5]
	s_delay_alu instid0(VALU_DEP_4) | instskip(NEXT) | instid1(VALU_DEP_3)
	v_add_nc_u64_e32 v[26:27], v[14:15], v[22:23]
	v_and_b32_e32 v23, 0x1ffffffc, v28
                                        ; implicit-def: $vgpr28_vgpr29
	s_branch .LBB1966_396
.LBB1966_395:                           ;   in Loop: Header=BB1966_396 Depth=2
	s_or_b32 exec_lo, exec_lo, s15
	s_addk_co_i32 s53, 0xf000
	s_cmp_lt_u32 s57, s51
	s_mov_b32 s42, s57
	s_cbranch_scc0 .LBB1966_604
.LBB1966_396:                           ;   Parent Loop BB1966_20 Depth=1
                                        ; =>  This Inner Loop Header: Depth=2
	s_add_co_i32 s57, s42, 0x1000
	s_delay_alu instid0(SALU_CYCLE_1)
	s_cmp_gt_u32 s57, s51
	s_cbranch_scc1 .LBB1966_398
; %bb.397:                              ;   in Loop: Header=BB1966_396 Depth=2
	s_delay_alu instid0(VALU_DEP_2)
	v_lshl_add_u64 v[60:61], s[42:43], 1, v[26:27]
	s_mov_b32 s15, -1
	s_clause 0xe
	global_load_u16 v140, v[60:61], off
	global_load_u16 v141, v[60:61], off offset:64
	global_load_u16 v144, v[60:61], off offset:128
	;; [unrolled: 1-line block ×14, first 2 shown]
	s_movk_i32 s16, 0x1000
	s_cbranch_execz .LBB1966_399
	s_branch .LBB1966_430
.LBB1966_398:                           ;   in Loop: Header=BB1966_396 Depth=2
	s_mov_b32 s15, 0
                                        ; implicit-def: $vgpr140
                                        ; implicit-def: $vgpr141
                                        ; implicit-def: $vgpr144
                                        ; implicit-def: $vgpr148
                                        ; implicit-def: $vgpr152
                                        ; implicit-def: $vgpr156
                                        ; implicit-def: $vgpr160
                                        ; implicit-def: $vgpr164
                                        ; implicit-def: $vgpr168
                                        ; implicit-def: $vgpr67
                                        ; implicit-def: $vgpr66
                                        ; implicit-def: $vgpr65
                                        ; implicit-def: $vgpr64
                                        ; implicit-def: $vgpr63
                                        ; implicit-def: $vgpr62
	s_movk_i32 s16, 0x1000
.LBB1966_399:                           ;   in Loop: Header=BB1966_396 Depth=2
	s_wait_xcnt 0x0
	v_lshl_add_u64 v[60:61], s[42:43], 1, v[26:27]
	s_wait_loadcnt 0xd
	v_dual_mov_b32 v141, -1 :: v_dual_mov_b32 v140, -1
	s_mov_b32 s15, exec_lo
	v_cmpx_gt_u32_e64 s53, v100
	s_cbranch_execz .LBB1966_401
; %bb.400:                              ;   in Loop: Header=BB1966_396 Depth=2
	global_load_u16 v140, v[60:61], off
.LBB1966_401:                           ;   in Loop: Header=BB1966_396 Depth=2
	s_wait_xcnt 0x0
	s_or_b32 exec_lo, exec_lo, s15
	s_delay_alu instid0(SALU_CYCLE_1)
	s_mov_b32 s15, exec_lo
	v_cmpx_gt_u32_e64 s53, v103
	s_cbranch_execz .LBB1966_403
; %bb.402:                              ;   in Loop: Header=BB1966_396 Depth=2
	global_load_u16 v141, v[60:61], off offset:64
.LBB1966_403:                           ;   in Loop: Header=BB1966_396 Depth=2
	s_wait_xcnt 0x0
	s_or_b32 exec_lo, exec_lo, s15
	s_wait_loadcnt 0xb
	v_dual_mov_b32 v148, -1 :: v_dual_mov_b32 v144, -1
	s_mov_b32 s15, exec_lo
	v_cmpx_gt_u32_e64 s53, v104
	s_cbranch_execz .LBB1966_405
; %bb.404:                              ;   in Loop: Header=BB1966_396 Depth=2
	global_load_u16 v144, v[60:61], off offset:128
.LBB1966_405:                           ;   in Loop: Header=BB1966_396 Depth=2
	s_wait_xcnt 0x0
	s_or_b32 exec_lo, exec_lo, s15
	s_delay_alu instid0(SALU_CYCLE_1)
	s_mov_b32 s15, exec_lo
	v_cmpx_gt_u32_e64 s53, v105
	s_cbranch_execz .LBB1966_407
; %bb.406:                              ;   in Loop: Header=BB1966_396 Depth=2
	global_load_u16 v148, v[60:61], off offset:192
.LBB1966_407:                           ;   in Loop: Header=BB1966_396 Depth=2
	s_wait_xcnt 0x0
	s_or_b32 exec_lo, exec_lo, s15
	s_wait_loadcnt 0x9
	v_dual_mov_b32 v156, -1 :: v_dual_mov_b32 v152, -1
	s_mov_b32 s15, exec_lo
	v_cmpx_gt_u32_e64 s53, v106
	s_cbranch_execz .LBB1966_409
; %bb.408:                              ;   in Loop: Header=BB1966_396 Depth=2
	global_load_u16 v152, v[60:61], off offset:256
.LBB1966_409:                           ;   in Loop: Header=BB1966_396 Depth=2
	;; [unrolled: 19-line block ×6, first 2 shown]
	s_wait_xcnt 0x0
	s_or_b32 exec_lo, exec_lo, s15
	s_delay_alu instid0(SALU_CYCLE_1)
	s_mov_b32 s15, exec_lo
	v_cmpx_gt_u32_e64 s53, v115
	s_cbranch_execz .LBB1966_427
; %bb.426:                              ;   in Loop: Header=BB1966_396 Depth=2
	global_load_u16 v63, v[60:61], off offset:832
.LBB1966_427:                           ;   in Loop: Header=BB1966_396 Depth=2
	s_wait_xcnt 0x0
	s_or_b32 exec_lo, exec_lo, s15
	s_wait_loadcnt 0x0
	v_mov_b32_e32 v62, -1
	s_mov_b32 s15, exec_lo
	v_cmpx_gt_u32_e64 s53, v116
	s_cbranch_execz .LBB1966_429
; %bb.428:                              ;   in Loop: Header=BB1966_396 Depth=2
	global_load_u16 v62, v[60:61], off offset:896
.LBB1966_429:                           ;   in Loop: Header=BB1966_396 Depth=2
	s_wait_xcnt 0x0
	s_or_b32 exec_lo, exec_lo, s15
	v_cmp_gt_u32_e64 s15, s53, v117
	s_sub_co_i32 s16, s51, s42
.LBB1966_430:                           ;   in Loop: Header=BB1966_396 Depth=2
	s_wait_xcnt 0x0
	v_dual_mov_b32 v60, -1 :: v_dual_mov_b32 v139, s53
	s_and_saveexec_b32 s17, s15
	s_cbranch_execz .LBB1966_432
; %bb.431:                              ;   in Loop: Header=BB1966_396 Depth=2
	v_lshl_add_u64 v[60:61], s[42:43], 1, v[26:27]
	v_mov_b32_e32 v139, s16
	global_load_u16 v60, v[60:61], off offset:960
.LBB1966_432:                           ;   in Loop: Header=BB1966_396 Depth=2
	s_wait_xcnt 0x0
	s_or_b32 exec_lo, exec_lo, s17
	s_wait_loadcnt 0xe
	v_cmp_gt_i16_e64 vcc_lo, 0, v140
	ds_store_2addr_b32 v121, v5, v5 offset1:1
	ds_store_2addr_b32 v118, v5, v5 offset1:1
	ds_store_2addr_b32 v119, v5, v5 offset1:1
	ds_store_2addr_b32 v120, v5, v5 offset1:1
	ds_store_b32 v91, v5 offset:1088
	s_wait_loadcnt_dscnt 0x0
	s_barrier_signal -1
	v_cndmask_b32_e64 v61, 0x7fff, 0, vcc_lo
	s_barrier_wait -1
	; wave barrier
	s_delay_alu instid0(VALU_DEP_1) | instskip(NEXT) | instid1(VALU_DEP_1)
	v_xor_b32_e32 v140, v61, v140
	v_cmp_ne_u16_e64 vcc_lo, 0x8000, v140
	v_cndmask_b32_e32 v61, 0x7fff, v140, vcc_lo
	s_delay_alu instid0(VALU_DEP_1) | instskip(NEXT) | instid1(VALU_DEP_1)
	v_and_b32_e32 v61, 0xffff, v61
	v_lshrrev_b32_e32 v61, s48, v61
	s_delay_alu instid0(VALU_DEP_1) | instskip(SKIP_1) | instid1(VALU_DEP_2)
	v_bitop3_b32 v142, v61, 1, s52 bitop3:0x80
	v_and_b32_e32 v143, s52, v61
	v_add_co_u32 v61, s15, v142, -1
	s_delay_alu instid0(VALU_DEP_1) | instskip(NEXT) | instid1(VALU_DEP_3)
	v_cndmask_b32_e64 v142, 0, 1, s15
	v_lshlrev_b32_e32 v145, 30, v143
	s_delay_alu instid0(VALU_DEP_2) | instskip(NEXT) | instid1(VALU_DEP_2)
	v_cmp_ne_u32_e32 vcc_lo, 0, v142
	v_not_b32_e32 v142, v145
	s_delay_alu instid0(VALU_DEP_1) | instskip(SKIP_3) | instid1(VALU_DEP_4)
	v_dual_ashrrev_i32 v142, 31, v142 :: v_dual_lshlrev_b32 v146, 29, v143
	v_dual_lshlrev_b32 v147, 28, v143 :: v_dual_lshlrev_b32 v149, 27, v143
	v_lshlrev_b32_e32 v150, 26, v143
	v_cmp_gt_i32_e64 s15, 0, v145
	v_cmp_gt_i32_e64 s16, 0, v146
	v_not_b32_e32 v145, v146
	v_not_b32_e32 v146, v147
	v_dual_lshlrev_b32 v151, 25, v143 :: v_dual_lshlrev_b32 v153, 24, v143
	v_cmp_gt_i32_e64 s17, 0, v147
	v_cmp_gt_i32_e64 s18, 0, v149
	v_not_b32_e32 v147, v149
	v_not_b32_e32 v149, v150
	v_dual_ashrrev_i32 v146, 31, v146 :: v_dual_bitop2_b32 v61, vcc_lo, v61 bitop3:0x14
	v_dual_ashrrev_i32 v145, 31, v145 :: v_dual_bitop2_b32 v142, s15, v142 bitop3:0x14
	v_cmp_gt_i32_e64 s19, 0, v150
	v_cmp_gt_i32_e64 s20, 0, v151
	v_not_b32_e32 v150, v151
	v_not_b32_e32 v151, v153
	v_dual_ashrrev_i32 v147, 31, v147 :: v_dual_ashrrev_i32 v149, 31, v149
	v_xor_b32_e32 v145, s16, v145
	v_xor_b32_e32 v146, s17, v146
	v_bitop3_b32 v61, v61, v142, exec_lo bitop3:0x80
	v_cmp_gt_i32_e64 s21, 0, v153
	v_dual_ashrrev_i32 v142, 31, v150 :: v_dual_ashrrev_i32 v150, 31, v151
	v_xor_b32_e32 v147, s18, v147
	s_delay_alu instid0(VALU_DEP_4) | instskip(SKIP_3) | instid1(VALU_DEP_3)
	v_bitop3_b32 v61, v61, v146, v145 bitop3:0x80
	v_mul_u32_u24_e32 v143, 36, v143
	v_xor_b32_e32 v149, s19, v149
	v_xor_b32_e32 v142, s20, v142
	v_dual_add_nc_u32 v143, v23, v143 :: v_dual_bitop2_b32 v145, s21, v150 bitop3:0x14
	s_delay_alu instid0(VALU_DEP_3) | instskip(NEXT) | instid1(VALU_DEP_1)
	v_bitop3_b32 v61, v61, v149, v147 bitop3:0x80
	v_bitop3_b32 v61, v61, v145, v142 bitop3:0x80
	s_delay_alu instid0(VALU_DEP_1) | instskip(SKIP_1) | instid1(VALU_DEP_2)
	v_mbcnt_lo_u32_b32 v142, v61, 0
	v_cmp_ne_u32_e64 s15, 0, v61
	v_cmp_eq_u32_e32 vcc_lo, 0, v142
	s_and_b32 s16, s15, vcc_lo
	s_delay_alu instid0(SALU_CYCLE_1)
	s_and_saveexec_b32 s15, s16
; %bb.433:                              ;   in Loop: Header=BB1966_396 Depth=2
	v_bcnt_u32_b32 v61, v61, 0
	ds_store_b32 v143, v61 offset:1056
; %bb.434:                              ;   in Loop: Header=BB1966_396 Depth=2
	s_or_b32 exec_lo, exec_lo, s15
	v_cmp_gt_i16_e64 vcc_lo, 0, v141
	; wave barrier
	s_delay_alu instid0(VALU_DEP_1) | instskip(NEXT) | instid1(VALU_DEP_1)
	v_cndmask_b32_e64 v61, 0x7fff, 0, vcc_lo
	v_xor_b32_e32 v141, v61, v141
	s_delay_alu instid0(VALU_DEP_1) | instskip(SKIP_1) | instid1(VALU_DEP_1)
	v_cmp_ne_u16_e64 vcc_lo, 0x8000, v141
	v_cndmask_b32_e32 v61, 0x7fff, v141, vcc_lo
	v_and_b32_e32 v61, 0xffff, v61
	s_delay_alu instid0(VALU_DEP_1) | instskip(NEXT) | instid1(VALU_DEP_1)
	v_lshrrev_b32_e32 v61, s48, v61
	v_and_b32_e32 v147, s52, v61
	s_delay_alu instid0(VALU_DEP_1) | instskip(SKIP_2) | instid1(VALU_DEP_3)
	v_lshlrev_b32_e32 v149, 29, v147
	v_bitop3_b32 v145, v61, 1, s52 bitop3:0x80
	v_lshlrev_b32_e32 v146, 30, v147
	v_cmp_gt_i32_e64 s16, 0, v149
	s_delay_alu instid0(VALU_DEP_3) | instskip(NEXT) | instid1(VALU_DEP_1)
	v_add_co_u32 v61, s15, v145, -1
	v_cndmask_b32_e64 v145, 0, 1, s15
	s_delay_alu instid0(VALU_DEP_4) | instskip(NEXT) | instid1(VALU_DEP_2)
	v_cmp_gt_i32_e64 s15, 0, v146
	v_cmp_ne_u32_e32 vcc_lo, 0, v145
	v_not_b32_e32 v145, v146
	v_not_b32_e32 v146, v149
	s_delay_alu instid0(VALU_DEP_1) | instskip(SKIP_2) | instid1(VALU_DEP_3)
	v_dual_ashrrev_i32 v146, 31, v146 :: v_dual_lshlrev_b32 v150, 28, v147
	v_dual_lshlrev_b32 v151, 27, v147 :: v_dual_lshlrev_b32 v153, 26, v147
	v_dual_lshlrev_b32 v154, 25, v147 :: v_dual_lshlrev_b32 v155, 24, v147
	v_cmp_gt_i32_e64 s17, 0, v150
	v_not_b32_e32 v149, v150
	s_delay_alu instid0(VALU_DEP_4)
	v_not_b32_e32 v150, v151
	v_ashrrev_i32_e32 v145, 31, v145
	v_cmp_gt_i32_e64 s18, 0, v151
	v_cmp_gt_i32_e64 s19, 0, v153
	v_not_b32_e32 v151, v153
	v_cmp_gt_i32_e64 s20, 0, v154
	v_not_b32_e32 v153, v154
	v_not_b32_e32 v154, v155
	s_delay_alu instid0(VALU_DEP_4) | instskip(SKIP_3) | instid1(VALU_DEP_3)
	v_dual_ashrrev_i32 v151, 31, v151 :: v_dual_bitop2_b32 v61, vcc_lo, v61 bitop3:0x14
	v_dual_ashrrev_i32 v149, 31, v149 :: v_dual_bitop2_b32 v146, s16, v146 bitop3:0x14
	v_dual_ashrrev_i32 v150, 31, v150 :: v_dual_bitop2_b32 v145, s15, v145 bitop3:0x14
	v_cmp_gt_i32_e64 s21, 0, v155
	v_xor_b32_e32 v149, s17, v149
	v_xor_b32_e32 v151, s19, v151
	s_delay_alu instid0(VALU_DEP_4) | instskip(SKIP_2) | instid1(VALU_DEP_2)
	v_xor_b32_e32 v150, s18, v150
	v_bitop3_b32 v61, v61, v145, exec_lo bitop3:0x80
	v_dual_ashrrev_i32 v145, 31, v153 :: v_dual_ashrrev_i32 v153, 31, v154
	v_bitop3_b32 v61, v61, v149, v146 bitop3:0x80
	v_mad_u32_u24 v146, v147, 36, v23
	s_delay_alu instid0(VALU_DEP_3) | instskip(NEXT) | instid1(VALU_DEP_4)
	v_xor_b32_e32 v149, s20, v145
	v_xor_b32_e32 v153, s21, v153
	v_mul_u32_u24_e32 v147, 36, v147
	v_bitop3_b32 v61, v61, v151, v150 bitop3:0x80
	ds_load_b32 v145, v146 offset:1056
	; wave barrier
	v_add_nc_u32_e32 v147, v23, v147
	v_bitop3_b32 v61, v61, v153, v149 bitop3:0x80
	s_delay_alu instid0(VALU_DEP_1) | instskip(SKIP_1) | instid1(VALU_DEP_2)
	v_mbcnt_lo_u32_b32 v146, v61, 0
	v_cmp_ne_u32_e64 s15, 0, v61
	v_cmp_eq_u32_e32 vcc_lo, 0, v146
	s_and_b32 s16, s15, vcc_lo
	s_delay_alu instid0(SALU_CYCLE_1)
	s_and_saveexec_b32 s15, s16
	s_cbranch_execz .LBB1966_436
; %bb.435:                              ;   in Loop: Header=BB1966_396 Depth=2
	s_wait_dscnt 0x0
	v_bcnt_u32_b32 v61, v61, v145
	ds_store_b32 v147, v61 offset:1056
.LBB1966_436:                           ;   in Loop: Header=BB1966_396 Depth=2
	s_or_b32 exec_lo, exec_lo, s15
	v_cmp_gt_i16_e64 vcc_lo, 0, v144
	; wave barrier
	s_delay_alu instid0(VALU_DEP_1) | instskip(NEXT) | instid1(VALU_DEP_1)
	v_cndmask_b32_e64 v61, 0x7fff, 0, vcc_lo
	v_xor_b32_e32 v144, v61, v144
	s_delay_alu instid0(VALU_DEP_1) | instskip(SKIP_1) | instid1(VALU_DEP_1)
	v_cmp_ne_u16_e64 vcc_lo, 0x8000, v144
	v_cndmask_b32_e32 v61, 0x7fff, v144, vcc_lo
	v_and_b32_e32 v61, 0xffff, v61
	s_delay_alu instid0(VALU_DEP_1) | instskip(NEXT) | instid1(VALU_DEP_1)
	v_lshrrev_b32_e32 v61, s48, v61
	v_bitop3_b32 v149, v61, 1, s52 bitop3:0x80
	v_and_b32_e32 v151, s52, v61
	s_delay_alu instid0(VALU_DEP_2) | instskip(NEXT) | instid1(VALU_DEP_1)
	v_add_co_u32 v61, s15, v149, -1
	v_cndmask_b32_e64 v149, 0, 1, s15
	s_delay_alu instid0(VALU_DEP_3) | instskip(NEXT) | instid1(VALU_DEP_2)
	v_dual_lshlrev_b32 v150, 30, v151 :: v_dual_lshlrev_b32 v153, 29, v151
	v_cmp_ne_u32_e32 vcc_lo, 0, v149
	s_delay_alu instid0(VALU_DEP_2) | instskip(SKIP_1) | instid1(VALU_DEP_4)
	v_cmp_gt_i32_e64 s15, 0, v150
	v_not_b32_e32 v149, v150
	v_not_b32_e32 v150, v153
	s_delay_alu instid0(VALU_DEP_1) | instskip(SKIP_3) | instid1(VALU_DEP_4)
	v_dual_ashrrev_i32 v150, 31, v150 :: v_dual_lshlrev_b32 v154, 28, v151
	v_dual_lshlrev_b32 v155, 27, v151 :: v_dual_lshlrev_b32 v157, 26, v151
	v_dual_lshlrev_b32 v158, 25, v151 :: v_dual_lshlrev_b32 v159, 24, v151
	v_cmp_gt_i32_e64 s16, 0, v153
	v_cmp_gt_i32_e64 s17, 0, v154
	v_not_b32_e32 v153, v154
	v_not_b32_e32 v154, v155
	v_ashrrev_i32_e32 v149, 31, v149
	v_cmp_gt_i32_e64 s18, 0, v155
	v_cmp_gt_i32_e64 s19, 0, v157
	v_not_b32_e32 v155, v157
	v_cmp_gt_i32_e64 s20, 0, v158
	v_not_b32_e32 v157, v158
	v_not_b32_e32 v158, v159
	s_delay_alu instid0(VALU_DEP_4) | instskip(SKIP_3) | instid1(VALU_DEP_3)
	v_dual_ashrrev_i32 v155, 31, v155 :: v_dual_bitop2_b32 v61, vcc_lo, v61 bitop3:0x14
	v_dual_ashrrev_i32 v153, 31, v153 :: v_dual_bitop2_b32 v150, s16, v150 bitop3:0x14
	v_dual_ashrrev_i32 v154, 31, v154 :: v_dual_bitop2_b32 v149, s15, v149 bitop3:0x14
	v_cmp_gt_i32_e64 s21, 0, v159
	v_xor_b32_e32 v153, s17, v153
	v_xor_b32_e32 v155, s19, v155
	s_delay_alu instid0(VALU_DEP_4) | instskip(SKIP_2) | instid1(VALU_DEP_2)
	v_xor_b32_e32 v154, s18, v154
	v_bitop3_b32 v61, v61, v149, exec_lo bitop3:0x80
	v_dual_ashrrev_i32 v149, 31, v157 :: v_dual_ashrrev_i32 v157, 31, v158
	v_bitop3_b32 v61, v61, v153, v150 bitop3:0x80
	v_mad_u32_u24 v150, v151, 36, v23
	s_delay_alu instid0(VALU_DEP_3) | instskip(NEXT) | instid1(VALU_DEP_4)
	v_xor_b32_e32 v153, s20, v149
	v_xor_b32_e32 v157, s21, v157
	v_mul_u32_u24_e32 v151, 36, v151
	v_bitop3_b32 v61, v61, v155, v154 bitop3:0x80
	ds_load_b32 v149, v150 offset:1056
	; wave barrier
	v_add_nc_u32_e32 v151, v23, v151
	v_bitop3_b32 v61, v61, v157, v153 bitop3:0x80
	s_delay_alu instid0(VALU_DEP_1) | instskip(SKIP_1) | instid1(VALU_DEP_2)
	v_mbcnt_lo_u32_b32 v150, v61, 0
	v_cmp_ne_u32_e64 s15, 0, v61
	v_cmp_eq_u32_e32 vcc_lo, 0, v150
	s_and_b32 s16, s15, vcc_lo
	s_delay_alu instid0(SALU_CYCLE_1)
	s_and_saveexec_b32 s15, s16
	s_cbranch_execz .LBB1966_438
; %bb.437:                              ;   in Loop: Header=BB1966_396 Depth=2
	s_wait_dscnt 0x0
	v_bcnt_u32_b32 v61, v61, v149
	ds_store_b32 v151, v61 offset:1056
.LBB1966_438:                           ;   in Loop: Header=BB1966_396 Depth=2
	s_or_b32 exec_lo, exec_lo, s15
	v_cmp_gt_i16_e64 vcc_lo, 0, v148
	; wave barrier
	s_delay_alu instid0(VALU_DEP_1) | instskip(NEXT) | instid1(VALU_DEP_1)
	v_cndmask_b32_e64 v61, 0x7fff, 0, vcc_lo
	v_xor_b32_e32 v148, v61, v148
	s_delay_alu instid0(VALU_DEP_1) | instskip(SKIP_1) | instid1(VALU_DEP_1)
	v_cmp_ne_u16_e64 vcc_lo, 0x8000, v148
	v_cndmask_b32_e32 v61, 0x7fff, v148, vcc_lo
	v_and_b32_e32 v61, 0xffff, v61
	s_delay_alu instid0(VALU_DEP_1) | instskip(NEXT) | instid1(VALU_DEP_1)
	v_lshrrev_b32_e32 v61, s48, v61
	v_bitop3_b32 v153, v61, 1, s52 bitop3:0x80
	v_and_b32_e32 v155, s52, v61
	s_delay_alu instid0(VALU_DEP_2) | instskip(NEXT) | instid1(VALU_DEP_1)
	v_add_co_u32 v61, s15, v153, -1
	v_cndmask_b32_e64 v153, 0, 1, s15
	s_delay_alu instid0(VALU_DEP_3) | instskip(NEXT) | instid1(VALU_DEP_2)
	v_dual_lshlrev_b32 v154, 30, v155 :: v_dual_lshlrev_b32 v157, 29, v155
	v_cmp_ne_u32_e32 vcc_lo, 0, v153
	s_delay_alu instid0(VALU_DEP_2) | instskip(SKIP_1) | instid1(VALU_DEP_4)
	v_cmp_gt_i32_e64 s15, 0, v154
	v_not_b32_e32 v153, v154
	v_not_b32_e32 v154, v157
	s_delay_alu instid0(VALU_DEP_1) | instskip(SKIP_3) | instid1(VALU_DEP_4)
	v_dual_ashrrev_i32 v154, 31, v154 :: v_dual_lshlrev_b32 v158, 28, v155
	v_dual_lshlrev_b32 v159, 27, v155 :: v_dual_lshlrev_b32 v161, 26, v155
	v_dual_lshlrev_b32 v162, 25, v155 :: v_dual_lshlrev_b32 v163, 24, v155
	v_cmp_gt_i32_e64 s16, 0, v157
	v_cmp_gt_i32_e64 s17, 0, v158
	v_not_b32_e32 v157, v158
	v_not_b32_e32 v158, v159
	v_ashrrev_i32_e32 v153, 31, v153
	v_cmp_gt_i32_e64 s18, 0, v159
	v_cmp_gt_i32_e64 s19, 0, v161
	v_not_b32_e32 v159, v161
	v_cmp_gt_i32_e64 s20, 0, v162
	v_not_b32_e32 v161, v162
	v_not_b32_e32 v162, v163
	s_delay_alu instid0(VALU_DEP_4) | instskip(SKIP_3) | instid1(VALU_DEP_3)
	v_dual_ashrrev_i32 v159, 31, v159 :: v_dual_bitop2_b32 v61, vcc_lo, v61 bitop3:0x14
	v_dual_ashrrev_i32 v157, 31, v157 :: v_dual_bitop2_b32 v154, s16, v154 bitop3:0x14
	v_dual_ashrrev_i32 v158, 31, v158 :: v_dual_bitop2_b32 v153, s15, v153 bitop3:0x14
	v_cmp_gt_i32_e64 s21, 0, v163
	v_xor_b32_e32 v157, s17, v157
	v_xor_b32_e32 v159, s19, v159
	s_delay_alu instid0(VALU_DEP_4) | instskip(SKIP_2) | instid1(VALU_DEP_2)
	v_xor_b32_e32 v158, s18, v158
	v_bitop3_b32 v61, v61, v153, exec_lo bitop3:0x80
	v_dual_ashrrev_i32 v153, 31, v161 :: v_dual_ashrrev_i32 v161, 31, v162
	v_bitop3_b32 v61, v61, v157, v154 bitop3:0x80
	v_mad_u32_u24 v154, v155, 36, v23
	s_delay_alu instid0(VALU_DEP_3) | instskip(NEXT) | instid1(VALU_DEP_4)
	v_xor_b32_e32 v157, s20, v153
	v_xor_b32_e32 v161, s21, v161
	v_mul_u32_u24_e32 v155, 36, v155
	v_bitop3_b32 v61, v61, v159, v158 bitop3:0x80
	ds_load_b32 v153, v154 offset:1056
	; wave barrier
	v_add_nc_u32_e32 v155, v23, v155
	v_bitop3_b32 v61, v61, v161, v157 bitop3:0x80
	s_delay_alu instid0(VALU_DEP_1) | instskip(SKIP_1) | instid1(VALU_DEP_2)
	v_mbcnt_lo_u32_b32 v154, v61, 0
	v_cmp_ne_u32_e64 s15, 0, v61
	v_cmp_eq_u32_e32 vcc_lo, 0, v154
	s_and_b32 s16, s15, vcc_lo
	s_delay_alu instid0(SALU_CYCLE_1)
	s_and_saveexec_b32 s15, s16
	s_cbranch_execz .LBB1966_440
; %bb.439:                              ;   in Loop: Header=BB1966_396 Depth=2
	s_wait_dscnt 0x0
	v_bcnt_u32_b32 v61, v61, v153
	ds_store_b32 v155, v61 offset:1056
.LBB1966_440:                           ;   in Loop: Header=BB1966_396 Depth=2
	s_or_b32 exec_lo, exec_lo, s15
	v_cmp_gt_i16_e64 vcc_lo, 0, v152
	; wave barrier
	s_delay_alu instid0(VALU_DEP_1) | instskip(NEXT) | instid1(VALU_DEP_1)
	v_cndmask_b32_e64 v61, 0x7fff, 0, vcc_lo
	v_xor_b32_e32 v152, v61, v152
	s_delay_alu instid0(VALU_DEP_1) | instskip(SKIP_1) | instid1(VALU_DEP_1)
	v_cmp_ne_u16_e64 vcc_lo, 0x8000, v152
	v_cndmask_b32_e32 v61, 0x7fff, v152, vcc_lo
	v_and_b32_e32 v61, 0xffff, v61
	s_delay_alu instid0(VALU_DEP_1) | instskip(NEXT) | instid1(VALU_DEP_1)
	v_lshrrev_b32_e32 v61, s48, v61
	v_bitop3_b32 v157, v61, 1, s52 bitop3:0x80
	v_and_b32_e32 v159, s52, v61
	s_delay_alu instid0(VALU_DEP_2) | instskip(NEXT) | instid1(VALU_DEP_1)
	v_add_co_u32 v61, s15, v157, -1
	v_cndmask_b32_e64 v157, 0, 1, s15
	s_delay_alu instid0(VALU_DEP_3) | instskip(NEXT) | instid1(VALU_DEP_2)
	v_dual_lshlrev_b32 v158, 30, v159 :: v_dual_lshlrev_b32 v161, 29, v159
	v_cmp_ne_u32_e32 vcc_lo, 0, v157
	s_delay_alu instid0(VALU_DEP_2) | instskip(SKIP_1) | instid1(VALU_DEP_4)
	v_cmp_gt_i32_e64 s15, 0, v158
	v_not_b32_e32 v157, v158
	v_not_b32_e32 v158, v161
	s_delay_alu instid0(VALU_DEP_1) | instskip(SKIP_3) | instid1(VALU_DEP_4)
	v_dual_ashrrev_i32 v158, 31, v158 :: v_dual_lshlrev_b32 v162, 28, v159
	v_dual_lshlrev_b32 v163, 27, v159 :: v_dual_lshlrev_b32 v165, 26, v159
	v_dual_lshlrev_b32 v166, 25, v159 :: v_dual_lshlrev_b32 v167, 24, v159
	v_cmp_gt_i32_e64 s16, 0, v161
	v_cmp_gt_i32_e64 s17, 0, v162
	v_not_b32_e32 v161, v162
	v_not_b32_e32 v162, v163
	v_ashrrev_i32_e32 v157, 31, v157
	v_cmp_gt_i32_e64 s18, 0, v163
	v_cmp_gt_i32_e64 s19, 0, v165
	v_not_b32_e32 v163, v165
	v_cmp_gt_i32_e64 s20, 0, v166
	v_not_b32_e32 v165, v166
	v_not_b32_e32 v166, v167
	s_delay_alu instid0(VALU_DEP_4) | instskip(SKIP_3) | instid1(VALU_DEP_3)
	v_dual_ashrrev_i32 v163, 31, v163 :: v_dual_bitop2_b32 v61, vcc_lo, v61 bitop3:0x14
	v_dual_ashrrev_i32 v161, 31, v161 :: v_dual_bitop2_b32 v158, s16, v158 bitop3:0x14
	v_dual_ashrrev_i32 v162, 31, v162 :: v_dual_bitop2_b32 v157, s15, v157 bitop3:0x14
	v_cmp_gt_i32_e64 s21, 0, v167
	v_xor_b32_e32 v161, s17, v161
	v_xor_b32_e32 v163, s19, v163
	s_delay_alu instid0(VALU_DEP_4) | instskip(SKIP_2) | instid1(VALU_DEP_2)
	v_xor_b32_e32 v162, s18, v162
	v_bitop3_b32 v61, v61, v157, exec_lo bitop3:0x80
	v_dual_ashrrev_i32 v157, 31, v165 :: v_dual_ashrrev_i32 v165, 31, v166
	v_bitop3_b32 v61, v61, v161, v158 bitop3:0x80
	v_mad_u32_u24 v158, v159, 36, v23
	s_delay_alu instid0(VALU_DEP_3) | instskip(NEXT) | instid1(VALU_DEP_4)
	v_xor_b32_e32 v161, s20, v157
	v_xor_b32_e32 v165, s21, v165
	v_mul_u32_u24_e32 v159, 36, v159
	v_bitop3_b32 v61, v61, v163, v162 bitop3:0x80
	ds_load_b32 v157, v158 offset:1056
	; wave barrier
	v_add_nc_u32_e32 v159, v23, v159
	v_bitop3_b32 v61, v61, v165, v161 bitop3:0x80
	s_delay_alu instid0(VALU_DEP_1) | instskip(SKIP_1) | instid1(VALU_DEP_2)
	v_mbcnt_lo_u32_b32 v158, v61, 0
	v_cmp_ne_u32_e64 s15, 0, v61
	v_cmp_eq_u32_e32 vcc_lo, 0, v158
	s_and_b32 s16, s15, vcc_lo
	s_delay_alu instid0(SALU_CYCLE_1)
	s_and_saveexec_b32 s15, s16
	s_cbranch_execz .LBB1966_442
; %bb.441:                              ;   in Loop: Header=BB1966_396 Depth=2
	s_wait_dscnt 0x0
	v_bcnt_u32_b32 v61, v61, v157
	ds_store_b32 v159, v61 offset:1056
.LBB1966_442:                           ;   in Loop: Header=BB1966_396 Depth=2
	s_or_b32 exec_lo, exec_lo, s15
	v_cmp_gt_i16_e64 vcc_lo, 0, v156
	; wave barrier
	s_delay_alu instid0(VALU_DEP_1) | instskip(NEXT) | instid1(VALU_DEP_1)
	v_cndmask_b32_e64 v61, 0x7fff, 0, vcc_lo
	v_xor_b32_e32 v156, v61, v156
	s_delay_alu instid0(VALU_DEP_1) | instskip(SKIP_1) | instid1(VALU_DEP_1)
	v_cmp_ne_u16_e64 vcc_lo, 0x8000, v156
	v_cndmask_b32_e32 v61, 0x7fff, v156, vcc_lo
	v_and_b32_e32 v61, 0xffff, v61
	s_delay_alu instid0(VALU_DEP_1) | instskip(NEXT) | instid1(VALU_DEP_1)
	v_lshrrev_b32_e32 v61, s48, v61
	v_bitop3_b32 v161, v61, 1, s52 bitop3:0x80
	v_and_b32_e32 v163, s52, v61
	s_delay_alu instid0(VALU_DEP_2) | instskip(NEXT) | instid1(VALU_DEP_1)
	v_add_co_u32 v61, s15, v161, -1
	v_cndmask_b32_e64 v161, 0, 1, s15
	s_delay_alu instid0(VALU_DEP_3) | instskip(NEXT) | instid1(VALU_DEP_2)
	v_dual_lshlrev_b32 v162, 30, v163 :: v_dual_lshlrev_b32 v165, 29, v163
	v_cmp_ne_u32_e32 vcc_lo, 0, v161
	s_delay_alu instid0(VALU_DEP_2) | instskip(SKIP_1) | instid1(VALU_DEP_4)
	v_cmp_gt_i32_e64 s15, 0, v162
	v_not_b32_e32 v161, v162
	v_not_b32_e32 v162, v165
	s_delay_alu instid0(VALU_DEP_1) | instskip(SKIP_3) | instid1(VALU_DEP_4)
	v_dual_ashrrev_i32 v162, 31, v162 :: v_dual_lshlrev_b32 v166, 28, v163
	v_dual_lshlrev_b32 v167, 27, v163 :: v_dual_lshlrev_b32 v169, 26, v163
	v_dual_lshlrev_b32 v170, 25, v163 :: v_dual_lshlrev_b32 v171, 24, v163
	v_cmp_gt_i32_e64 s16, 0, v165
	v_cmp_gt_i32_e64 s17, 0, v166
	v_not_b32_e32 v165, v166
	v_not_b32_e32 v166, v167
	v_ashrrev_i32_e32 v161, 31, v161
	v_cmp_gt_i32_e64 s18, 0, v167
	v_cmp_gt_i32_e64 s19, 0, v169
	v_not_b32_e32 v167, v169
	v_cmp_gt_i32_e64 s20, 0, v170
	v_not_b32_e32 v169, v170
	v_not_b32_e32 v170, v171
	s_delay_alu instid0(VALU_DEP_4) | instskip(SKIP_3) | instid1(VALU_DEP_3)
	v_dual_ashrrev_i32 v167, 31, v167 :: v_dual_bitop2_b32 v61, vcc_lo, v61 bitop3:0x14
	v_dual_ashrrev_i32 v165, 31, v165 :: v_dual_bitop2_b32 v162, s16, v162 bitop3:0x14
	v_dual_ashrrev_i32 v166, 31, v166 :: v_dual_bitop2_b32 v161, s15, v161 bitop3:0x14
	v_cmp_gt_i32_e64 s21, 0, v171
	v_xor_b32_e32 v165, s17, v165
	v_xor_b32_e32 v167, s19, v167
	s_delay_alu instid0(VALU_DEP_4) | instskip(SKIP_2) | instid1(VALU_DEP_2)
	v_xor_b32_e32 v166, s18, v166
	v_bitop3_b32 v61, v61, v161, exec_lo bitop3:0x80
	v_dual_ashrrev_i32 v161, 31, v169 :: v_dual_ashrrev_i32 v169, 31, v170
	v_bitop3_b32 v61, v61, v165, v162 bitop3:0x80
	v_mad_u32_u24 v162, v163, 36, v23
	s_delay_alu instid0(VALU_DEP_3) | instskip(NEXT) | instid1(VALU_DEP_4)
	v_xor_b32_e32 v165, s20, v161
	v_xor_b32_e32 v169, s21, v169
	v_mul_u32_u24_e32 v163, 36, v163
	v_bitop3_b32 v61, v61, v167, v166 bitop3:0x80
	ds_load_b32 v161, v162 offset:1056
	; wave barrier
	v_add_nc_u32_e32 v163, v23, v163
	v_bitop3_b32 v61, v61, v169, v165 bitop3:0x80
	s_delay_alu instid0(VALU_DEP_1) | instskip(SKIP_1) | instid1(VALU_DEP_2)
	v_mbcnt_lo_u32_b32 v162, v61, 0
	v_cmp_ne_u32_e64 s15, 0, v61
	v_cmp_eq_u32_e32 vcc_lo, 0, v162
	s_and_b32 s16, s15, vcc_lo
	s_delay_alu instid0(SALU_CYCLE_1)
	s_and_saveexec_b32 s15, s16
	s_cbranch_execz .LBB1966_444
; %bb.443:                              ;   in Loop: Header=BB1966_396 Depth=2
	s_wait_dscnt 0x0
	v_bcnt_u32_b32 v61, v61, v161
	ds_store_b32 v163, v61 offset:1056
.LBB1966_444:                           ;   in Loop: Header=BB1966_396 Depth=2
	s_or_b32 exec_lo, exec_lo, s15
	v_cmp_gt_i16_e64 vcc_lo, 0, v160
	; wave barrier
	s_delay_alu instid0(VALU_DEP_1) | instskip(NEXT) | instid1(VALU_DEP_1)
	v_cndmask_b32_e64 v61, 0x7fff, 0, vcc_lo
	v_xor_b32_e32 v160, v61, v160
	s_delay_alu instid0(VALU_DEP_1) | instskip(SKIP_1) | instid1(VALU_DEP_1)
	v_cmp_ne_u16_e64 vcc_lo, 0x8000, v160
	v_cndmask_b32_e32 v61, 0x7fff, v160, vcc_lo
	v_and_b32_e32 v61, 0xffff, v61
	s_delay_alu instid0(VALU_DEP_1) | instskip(NEXT) | instid1(VALU_DEP_1)
	v_lshrrev_b32_e32 v61, s48, v61
	v_bitop3_b32 v165, v61, 1, s52 bitop3:0x80
	v_and_b32_e32 v167, s52, v61
	s_delay_alu instid0(VALU_DEP_2) | instskip(NEXT) | instid1(VALU_DEP_1)
	v_add_co_u32 v61, s15, v165, -1
	v_cndmask_b32_e64 v165, 0, 1, s15
	s_delay_alu instid0(VALU_DEP_3) | instskip(NEXT) | instid1(VALU_DEP_2)
	v_dual_lshlrev_b32 v166, 30, v167 :: v_dual_lshlrev_b32 v169, 29, v167
	v_cmp_ne_u32_e32 vcc_lo, 0, v165
	s_delay_alu instid0(VALU_DEP_2) | instskip(SKIP_1) | instid1(VALU_DEP_4)
	v_cmp_gt_i32_e64 s15, 0, v166
	v_not_b32_e32 v165, v166
	v_not_b32_e32 v166, v169
	s_delay_alu instid0(VALU_DEP_1) | instskip(SKIP_3) | instid1(VALU_DEP_4)
	v_dual_ashrrev_i32 v166, 31, v166 :: v_dual_lshlrev_b32 v170, 28, v167
	v_dual_lshlrev_b32 v171, 27, v167 :: v_dual_lshlrev_b32 v172, 26, v167
	v_cmp_gt_i32_e64 s16, 0, v169
	v_dual_lshlrev_b32 v173, 25, v167 :: v_dual_lshlrev_b32 v174, 24, v167
	v_cmp_gt_i32_e64 s17, 0, v170
	v_not_b32_e32 v169, v170
	v_not_b32_e32 v170, v171
	v_ashrrev_i32_e32 v165, 31, v165
	v_cmp_gt_i32_e64 s18, 0, v171
	v_not_b32_e32 v171, v172
	v_xor_b32_e32 v61, vcc_lo, v61
	v_dual_ashrrev_i32 v169, 31, v169 :: v_dual_bitop2_b32 v166, s16, v166 bitop3:0x14
	v_dual_ashrrev_i32 v170, 31, v170 :: v_dual_bitop2_b32 v165, s15, v165 bitop3:0x14
	v_cmp_gt_i32_e64 s19, 0, v172
	v_cmp_gt_i32_e64 s20, 0, v173
	v_not_b32_e32 v172, v173
	v_not_b32_e32 v173, v174
	v_dual_ashrrev_i32 v171, 31, v171 :: v_dual_bitop2_b32 v169, s17, v169 bitop3:0x14
	v_bitop3_b32 v61, v61, v165, exec_lo bitop3:0x80
	v_cmp_gt_i32_e64 s21, 0, v174
	s_delay_alu instid0(VALU_DEP_4)
	v_dual_ashrrev_i32 v165, 31, v172 :: v_dual_ashrrev_i32 v172, 31, v173
	v_xor_b32_e32 v170, s18, v170
	v_xor_b32_e32 v171, s19, v171
	v_bitop3_b32 v61, v61, v169, v166 bitop3:0x80
	v_mad_u32_u24 v166, v167, 36, v23
	v_xor_b32_e32 v169, s20, v165
	v_xor_b32_e32 v172, s21, v172
	v_mul_u32_u24_e32 v167, 36, v167
	v_bitop3_b32 v61, v61, v171, v170 bitop3:0x80
	ds_load_b32 v165, v166 offset:1056
	; wave barrier
	v_add_nc_u32_e32 v167, v23, v167
	v_bitop3_b32 v61, v61, v172, v169 bitop3:0x80
	s_delay_alu instid0(VALU_DEP_1) | instskip(SKIP_1) | instid1(VALU_DEP_2)
	v_mbcnt_lo_u32_b32 v166, v61, 0
	v_cmp_ne_u32_e64 s15, 0, v61
	v_cmp_eq_u32_e32 vcc_lo, 0, v166
	s_and_b32 s16, s15, vcc_lo
	s_delay_alu instid0(SALU_CYCLE_1)
	s_and_saveexec_b32 s15, s16
	s_cbranch_execz .LBB1966_446
; %bb.445:                              ;   in Loop: Header=BB1966_396 Depth=2
	s_wait_dscnt 0x0
	v_bcnt_u32_b32 v61, v61, v165
	ds_store_b32 v167, v61 offset:1056
.LBB1966_446:                           ;   in Loop: Header=BB1966_396 Depth=2
	s_or_b32 exec_lo, exec_lo, s15
	v_cmp_gt_i16_e64 vcc_lo, 0, v164
	; wave barrier
	s_delay_alu instid0(VALU_DEP_1) | instskip(NEXT) | instid1(VALU_DEP_1)
	v_cndmask_b32_e64 v61, 0x7fff, 0, vcc_lo
	v_xor_b32_e32 v164, v61, v164
	s_delay_alu instid0(VALU_DEP_1) | instskip(SKIP_1) | instid1(VALU_DEP_1)
	v_cmp_ne_u16_e64 vcc_lo, 0x8000, v164
	v_cndmask_b32_e32 v61, 0x7fff, v164, vcc_lo
	v_and_b32_e32 v61, 0xffff, v61
	s_delay_alu instid0(VALU_DEP_1) | instskip(NEXT) | instid1(VALU_DEP_1)
	v_lshrrev_b32_e32 v61, s48, v61
	v_bitop3_b32 v169, v61, 1, s52 bitop3:0x80
	v_and_b32_e32 v171, s52, v61
	s_delay_alu instid0(VALU_DEP_2) | instskip(NEXT) | instid1(VALU_DEP_1)
	v_add_co_u32 v61, s15, v169, -1
	v_cndmask_b32_e64 v169, 0, 1, s15
	s_delay_alu instid0(VALU_DEP_3) | instskip(NEXT) | instid1(VALU_DEP_2)
	v_dual_lshlrev_b32 v170, 30, v171 :: v_dual_lshlrev_b32 v172, 29, v171
	v_cmp_ne_u32_e32 vcc_lo, 0, v169
	s_delay_alu instid0(VALU_DEP_2) | instskip(SKIP_1) | instid1(VALU_DEP_4)
	v_cmp_gt_i32_e64 s15, 0, v170
	v_not_b32_e32 v169, v170
	v_not_b32_e32 v170, v172
	s_delay_alu instid0(VALU_DEP_1) | instskip(SKIP_3) | instid1(VALU_DEP_4)
	v_dual_ashrrev_i32 v170, 31, v170 :: v_dual_lshlrev_b32 v173, 28, v171
	v_dual_lshlrev_b32 v174, 27, v171 :: v_dual_lshlrev_b32 v175, 26, v171
	v_dual_lshlrev_b32 v176, 25, v171 :: v_dual_lshlrev_b32 v177, 24, v171
	v_cmp_gt_i32_e64 s16, 0, v172
	v_not_b32_e32 v172, v173
	v_ashrrev_i32_e32 v169, 31, v169
	v_cmp_gt_i32_e64 s17, 0, v173
	v_cmp_gt_i32_e64 s18, 0, v174
	v_not_b32_e32 v173, v174
	v_cmp_gt_i32_e64 s19, 0, v175
	v_not_b32_e32 v174, v175
	;; [unrolled: 2-line block ×3, first 2 shown]
	v_not_b32_e32 v176, v177
	s_delay_alu instid0(VALU_DEP_4) | instskip(SKIP_3) | instid1(VALU_DEP_3)
	v_dual_ashrrev_i32 v174, 31, v174 :: v_dual_bitop2_b32 v61, vcc_lo, v61 bitop3:0x14
	v_dual_ashrrev_i32 v172, 31, v172 :: v_dual_bitop2_b32 v169, s15, v169 bitop3:0x14
	v_dual_ashrrev_i32 v173, 31, v173 :: v_dual_bitop2_b32 v170, s16, v170 bitop3:0x14
	v_cmp_gt_i32_e64 s21, 0, v177
	v_xor_b32_e32 v172, s17, v172
	s_delay_alu instid0(VALU_DEP_4) | instskip(SKIP_2) | instid1(VALU_DEP_3)
	v_bitop3_b32 v61, v61, v169, exec_lo bitop3:0x80
	v_dual_ashrrev_i32 v169, 31, v175 :: v_dual_ashrrev_i32 v175, 31, v176
	v_xor_b32_e32 v174, s19, v174
	v_bitop3_b32 v61, v61, v172, v170 bitop3:0x80
	v_mad_u32_u24 v170, v171, 36, v23
	v_mul_u32_u24_e32 v171, 36, v171
	v_xor_b32_e32 v173, s18, v173
	v_xor_b32_e32 v172, s20, v169
	;; [unrolled: 1-line block ×3, first 2 shown]
	ds_load_b32 v169, v170 offset:1056
	v_add_nc_u32_e32 v171, v23, v171
	v_bitop3_b32 v61, v61, v174, v173 bitop3:0x80
	; wave barrier
	s_delay_alu instid0(VALU_DEP_1) | instskip(NEXT) | instid1(VALU_DEP_1)
	v_bitop3_b32 v61, v61, v175, v172 bitop3:0x80
	v_mbcnt_lo_u32_b32 v170, v61, 0
	v_cmp_ne_u32_e64 s15, 0, v61
	s_delay_alu instid0(VALU_DEP_2) | instskip(SKIP_1) | instid1(SALU_CYCLE_1)
	v_cmp_eq_u32_e32 vcc_lo, 0, v170
	s_and_b32 s16, s15, vcc_lo
	s_and_saveexec_b32 s15, s16
	s_cbranch_execz .LBB1966_448
; %bb.447:                              ;   in Loop: Header=BB1966_396 Depth=2
	s_wait_dscnt 0x0
	v_bcnt_u32_b32 v61, v61, v169
	ds_store_b32 v171, v61 offset:1056
.LBB1966_448:                           ;   in Loop: Header=BB1966_396 Depth=2
	s_or_b32 exec_lo, exec_lo, s15
	v_cmp_gt_i16_e64 vcc_lo, 0, v168
	; wave barrier
	s_delay_alu instid0(VALU_DEP_1) | instskip(NEXT) | instid1(VALU_DEP_1)
	v_cndmask_b32_e64 v61, 0x7fff, 0, vcc_lo
	v_xor_b32_e32 v168, v61, v168
	s_delay_alu instid0(VALU_DEP_1) | instskip(SKIP_1) | instid1(VALU_DEP_1)
	v_cmp_ne_u16_e64 vcc_lo, 0x8000, v168
	v_cndmask_b32_e32 v61, 0x7fff, v168, vcc_lo
	v_and_b32_e32 v61, 0xffff, v61
	s_delay_alu instid0(VALU_DEP_1) | instskip(NEXT) | instid1(VALU_DEP_1)
	v_lshrrev_b32_e32 v61, s48, v61
	v_bitop3_b32 v172, v61, 1, s52 bitop3:0x80
	v_and_b32_e32 v175, s52, v61
	s_delay_alu instid0(VALU_DEP_2) | instskip(NEXT) | instid1(VALU_DEP_1)
	v_add_co_u32 v61, s15, v172, -1
	v_cndmask_b32_e64 v172, 0, 1, s15
	s_delay_alu instid0(VALU_DEP_3) | instskip(NEXT) | instid1(VALU_DEP_2)
	v_lshlrev_b32_e32 v173, 30, v175
	v_cmp_ne_u32_e32 vcc_lo, 0, v172
	s_delay_alu instid0(VALU_DEP_2) | instskip(NEXT) | instid1(VALU_DEP_1)
	v_not_b32_e32 v172, v173
	v_dual_ashrrev_i32 v172, 31, v172 :: v_dual_lshlrev_b32 v174, 29, v175
	v_dual_lshlrev_b32 v176, 28, v175 :: v_dual_lshlrev_b32 v177, 27, v175
	v_lshlrev_b32_e32 v178, 26, v175
	v_cmp_gt_i32_e64 s15, 0, v173
	s_delay_alu instid0(VALU_DEP_4)
	v_cmp_gt_i32_e64 s16, 0, v174
	v_not_b32_e32 v173, v174
	v_not_b32_e32 v174, v176
	v_dual_lshlrev_b32 v179, 25, v175 :: v_dual_lshlrev_b32 v180, 24, v175
	v_cmp_gt_i32_e64 s17, 0, v176
	v_cmp_gt_i32_e64 s18, 0, v177
	v_not_b32_e32 v176, v177
	v_not_b32_e32 v177, v178
	v_dual_ashrrev_i32 v174, 31, v174 :: v_dual_bitop2_b32 v61, vcc_lo, v61 bitop3:0x14
	v_dual_ashrrev_i32 v173, 31, v173 :: v_dual_bitop2_b32 v172, s15, v172 bitop3:0x14
	v_cmp_gt_i32_e64 s19, 0, v178
	v_cmp_gt_i32_e64 s20, 0, v179
	v_not_b32_e32 v178, v179
	v_not_b32_e32 v179, v180
	v_dual_ashrrev_i32 v176, 31, v176 :: v_dual_ashrrev_i32 v177, 31, v177
	v_xor_b32_e32 v173, s16, v173
	v_xor_b32_e32 v174, s17, v174
	v_bitop3_b32 v61, v61, v172, exec_lo bitop3:0x80
	v_cmp_gt_i32_e64 s21, 0, v180
	v_dual_ashrrev_i32 v172, 31, v178 :: v_dual_ashrrev_i32 v178, 31, v179
	v_xor_b32_e32 v176, s18, v176
	v_xor_b32_e32 v177, s19, v177
	v_bitop3_b32 v61, v61, v174, v173 bitop3:0x80
	v_mad_u32_u24 v173, v175, 36, v23
	v_xor_b32_e32 v172, s20, v172
	v_xor_b32_e32 v174, s21, v178
	s_delay_alu instid0(VALU_DEP_4) | instskip(SKIP_3) | instid1(VALU_DEP_2)
	v_bitop3_b32 v61, v61, v177, v176 bitop3:0x80
	ds_load_b32 v173, v173 offset:1056
	; wave barrier
	v_bitop3_b32 v61, v61, v174, v172 bitop3:0x80
	v_mul_u32_u24_e32 v172, 36, v175
	v_mbcnt_lo_u32_b32 v174, v61, 0
	v_cmp_ne_u32_e64 s15, 0, v61
	s_delay_alu instid0(VALU_DEP_3) | instskip(NEXT) | instid1(VALU_DEP_3)
	v_add_nc_u32_e32 v175, v23, v172
	v_cmp_eq_u32_e32 vcc_lo, 0, v174
	s_and_b32 s16, s15, vcc_lo
	s_delay_alu instid0(SALU_CYCLE_1)
	s_and_saveexec_b32 s15, s16
	s_cbranch_execz .LBB1966_450
; %bb.449:                              ;   in Loop: Header=BB1966_396 Depth=2
	s_wait_dscnt 0x0
	v_bcnt_u32_b32 v61, v61, v173
	ds_store_b32 v175, v61 offset:1056
.LBB1966_450:                           ;   in Loop: Header=BB1966_396 Depth=2
	s_or_b32 exec_lo, exec_lo, s15
	v_cmp_gt_i16_e32 vcc_lo, 0, v67
	; wave barrier
	v_cndmask_b32_e64 v61, 0x7fff, 0, vcc_lo
	s_delay_alu instid0(VALU_DEP_1) | instskip(NEXT) | instid1(VALU_DEP_1)
	v_xor_b32_e32 v172, v61, v67
	v_cmp_ne_u16_e64 vcc_lo, 0x8000, v172
	v_cndmask_b32_e32 v61, 0x7fff, v172, vcc_lo
	s_delay_alu instid0(VALU_DEP_1) | instskip(NEXT) | instid1(VALU_DEP_1)
	v_and_b32_e32 v61, 0xffff, v61
	v_lshrrev_b32_e32 v61, s48, v61
	s_delay_alu instid0(VALU_DEP_1) | instskip(SKIP_1) | instid1(VALU_DEP_2)
	v_bitop3_b32 v67, v61, 1, s52 bitop3:0x80
	v_and_b32_e32 v176, s52, v61
	v_add_co_u32 v61, s15, v67, -1
	s_delay_alu instid0(VALU_DEP_1) | instskip(NEXT) | instid1(VALU_DEP_3)
	v_cndmask_b32_e64 v67, 0, 1, s15
	v_lshlrev_b32_e32 v177, 30, v176
	s_delay_alu instid0(VALU_DEP_2) | instskip(NEXT) | instid1(VALU_DEP_2)
	v_cmp_ne_u32_e32 vcc_lo, 0, v67
	v_not_b32_e32 v67, v177
	s_delay_alu instid0(VALU_DEP_1) | instskip(SKIP_4) | instid1(VALU_DEP_4)
	v_dual_ashrrev_i32 v67, 31, v67 :: v_dual_bitop2_b32 v61, vcc_lo, v61 bitop3:0x14
	v_dual_lshlrev_b32 v178, 29, v176 :: v_dual_lshlrev_b32 v179, 28, v176
	v_dual_lshlrev_b32 v180, 27, v176 :: v_dual_lshlrev_b32 v181, 26, v176
	v_lshlrev_b32_e32 v182, 25, v176
	v_cmp_gt_i32_e64 s15, 0, v177
	v_cmp_gt_i32_e64 s16, 0, v178
	v_not_b32_e32 v177, v178
	v_not_b32_e32 v178, v179
	v_lshlrev_b32_e32 v183, 24, v176
	v_cmp_gt_i32_e64 s17, 0, v179
	v_cmp_gt_i32_e64 s18, 0, v180
	v_not_b32_e32 v179, v180
	v_not_b32_e32 v180, v181
	v_dual_ashrrev_i32 v177, 31, v177 :: v_dual_bitop2_b32 v67, s15, v67 bitop3:0x14
	v_ashrrev_i32_e32 v178, 31, v178
	v_cmp_gt_i32_e64 s19, 0, v181
	v_cmp_gt_i32_e64 s20, 0, v182
	v_not_b32_e32 v181, v182
	v_not_b32_e32 v182, v183
	v_dual_ashrrev_i32 v179, 31, v179 :: v_dual_ashrrev_i32 v180, 31, v180
	v_xor_b32_e32 v177, s16, v177
	v_xor_b32_e32 v178, s17, v178
	v_bitop3_b32 v61, v61, v67, exec_lo bitop3:0x80
	v_cmp_gt_i32_e64 s21, 0, v183
	v_dual_ashrrev_i32 v67, 31, v181 :: v_dual_ashrrev_i32 v181, 31, v182
	v_xor_b32_e32 v179, s18, v179
	v_xor_b32_e32 v180, s19, v180
	v_bitop3_b32 v61, v61, v178, v177 bitop3:0x80
	v_mad_u32_u24 v177, v176, 36, v23
	v_xor_b32_e32 v67, s20, v67
	v_xor_b32_e32 v178, s21, v181
	s_delay_alu instid0(VALU_DEP_4) | instskip(SKIP_3) | instid1(VALU_DEP_2)
	v_bitop3_b32 v61, v61, v180, v179 bitop3:0x80
	ds_load_b32 v177, v177 offset:1056
	; wave barrier
	v_bitop3_b32 v61, v61, v178, v67 bitop3:0x80
	v_mul_u32_u24_e32 v67, 36, v176
	v_mbcnt_lo_u32_b32 v178, v61, 0
	v_cmp_ne_u32_e64 s15, 0, v61
	s_delay_alu instid0(VALU_DEP_3) | instskip(NEXT) | instid1(VALU_DEP_3)
	v_add_nc_u32_e32 v179, v23, v67
	v_cmp_eq_u32_e32 vcc_lo, 0, v178
	s_and_b32 s16, s15, vcc_lo
	s_delay_alu instid0(SALU_CYCLE_1)
	s_and_saveexec_b32 s15, s16
	s_cbranch_execz .LBB1966_452
; %bb.451:                              ;   in Loop: Header=BB1966_396 Depth=2
	s_wait_dscnt 0x0
	v_bcnt_u32_b32 v61, v61, v177
	ds_store_b32 v179, v61 offset:1056
.LBB1966_452:                           ;   in Loop: Header=BB1966_396 Depth=2
	s_or_b32 exec_lo, exec_lo, s15
	v_cmp_gt_i16_e32 vcc_lo, 0, v66
	; wave barrier
	v_cndmask_b32_e64 v61, 0x7fff, 0, vcc_lo
	s_delay_alu instid0(VALU_DEP_1) | instskip(NEXT) | instid1(VALU_DEP_1)
	v_xor_b32_e32 v176, v61, v66
	v_cmp_ne_u16_e64 vcc_lo, 0x8000, v176
	v_cndmask_b32_e32 v61, 0x7fff, v176, vcc_lo
	s_delay_alu instid0(VALU_DEP_1) | instskip(NEXT) | instid1(VALU_DEP_1)
	v_and_b32_e32 v61, 0xffff, v61
	v_lshrrev_b32_e32 v61, s48, v61
	s_delay_alu instid0(VALU_DEP_1) | instskip(SKIP_1) | instid1(VALU_DEP_2)
	v_bitop3_b32 v66, v61, 1, s52 bitop3:0x80
	v_and_b32_e32 v67, s52, v61
	v_add_co_u32 v61, s15, v66, -1
	s_delay_alu instid0(VALU_DEP_1) | instskip(NEXT) | instid1(VALU_DEP_3)
	v_cndmask_b32_e64 v66, 0, 1, s15
	v_lshlrev_b32_e32 v180, 30, v67
	s_delay_alu instid0(VALU_DEP_2) | instskip(NEXT) | instid1(VALU_DEP_2)
	v_cmp_ne_u32_e32 vcc_lo, 0, v66
	v_not_b32_e32 v66, v180
	v_cmp_gt_i32_e64 s15, 0, v180
	s_delay_alu instid0(VALU_DEP_2) | instskip(SKIP_3) | instid1(VALU_DEP_4)
	v_dual_ashrrev_i32 v66, 31, v66 :: v_dual_lshlrev_b32 v181, 29, v67
	v_dual_lshlrev_b32 v182, 28, v67 :: v_dual_lshlrev_b32 v183, 27, v67
	v_dual_lshlrev_b32 v184, 26, v67 :: v_dual_lshlrev_b32 v185, 25, v67
	v_lshlrev_b32_e32 v186, 24, v67
	v_cmp_gt_i32_e64 s16, 0, v181
	v_not_b32_e32 v180, v181
	v_not_b32_e32 v181, v182
	v_cmp_gt_i32_e64 s17, 0, v182
	v_cmp_gt_i32_e64 s18, 0, v183
	v_not_b32_e32 v182, v183
	v_not_b32_e32 v183, v184
	v_dual_ashrrev_i32 v180, 31, v180 :: v_dual_bitop2_b32 v61, vcc_lo, v61 bitop3:0x14
	v_dual_ashrrev_i32 v181, 31, v181 :: v_dual_bitop2_b32 v66, s15, v66 bitop3:0x14
	v_cmp_gt_i32_e64 s19, 0, v184
	v_cmp_gt_i32_e64 s20, 0, v185
	v_not_b32_e32 v184, v185
	v_not_b32_e32 v185, v186
	v_dual_ashrrev_i32 v182, 31, v182 :: v_dual_ashrrev_i32 v183, 31, v183
	v_xor_b32_e32 v180, s16, v180
	v_xor_b32_e32 v181, s17, v181
	v_bitop3_b32 v61, v61, v66, exec_lo bitop3:0x80
	v_cmp_gt_i32_e64 s21, 0, v186
	v_dual_ashrrev_i32 v66, 31, v184 :: v_dual_ashrrev_i32 v184, 31, v185
	v_xor_b32_e32 v182, s18, v182
	v_xor_b32_e32 v183, s19, v183
	v_bitop3_b32 v61, v61, v181, v180 bitop3:0x80
	v_mad_u32_u24 v180, v67, 36, v23
	v_xor_b32_e32 v66, s20, v66
	v_xor_b32_e32 v184, s21, v184
	s_delay_alu instid0(VALU_DEP_4) | instskip(SKIP_3) | instid1(VALU_DEP_2)
	v_bitop3_b32 v61, v61, v183, v182 bitop3:0x80
	ds_load_b32 v181, v180 offset:1056
	; wave barrier
	v_bitop3_b32 v61, v61, v184, v66 bitop3:0x80
	v_mul_u32_u24_e32 v66, 36, v67
	v_mbcnt_lo_u32_b32 v182, v61, 0
	v_cmp_ne_u32_e64 s15, 0, v61
	s_delay_alu instid0(VALU_DEP_3) | instskip(NEXT) | instid1(VALU_DEP_3)
	v_add_nc_u32_e32 v183, v23, v66
	v_cmp_eq_u32_e32 vcc_lo, 0, v182
	s_and_b32 s16, s15, vcc_lo
	s_delay_alu instid0(SALU_CYCLE_1)
	s_and_saveexec_b32 s15, s16
	s_cbranch_execz .LBB1966_454
; %bb.453:                              ;   in Loop: Header=BB1966_396 Depth=2
	s_wait_dscnt 0x0
	v_bcnt_u32_b32 v61, v61, v181
	ds_store_b32 v183, v61 offset:1056
.LBB1966_454:                           ;   in Loop: Header=BB1966_396 Depth=2
	s_or_b32 exec_lo, exec_lo, s15
	v_cmp_gt_i16_e32 vcc_lo, 0, v65
	; wave barrier
	v_cndmask_b32_e64 v61, 0x7fff, 0, vcc_lo
	s_delay_alu instid0(VALU_DEP_1) | instskip(NEXT) | instid1(VALU_DEP_1)
	v_xor_b32_e32 v180, v61, v65
	v_cmp_ne_u16_e64 vcc_lo, 0x8000, v180
	v_cndmask_b32_e32 v61, 0x7fff, v180, vcc_lo
	s_delay_alu instid0(VALU_DEP_1) | instskip(NEXT) | instid1(VALU_DEP_1)
	v_and_b32_e32 v61, 0xffff, v61
	v_lshrrev_b32_e32 v61, s48, v61
	s_delay_alu instid0(VALU_DEP_1) | instskip(NEXT) | instid1(VALU_DEP_1)
	v_and_b32_e32 v66, s52, v61
	v_lshlrev_b32_e32 v185, 28, v66
	v_bitop3_b32 v65, v61, 1, s52 bitop3:0x80
	v_dual_lshlrev_b32 v67, 30, v66 :: v_dual_lshlrev_b32 v184, 29, v66
	s_delay_alu instid0(VALU_DEP_3) | instskip(NEXT) | instid1(VALU_DEP_3)
	v_cmp_gt_i32_e64 s17, 0, v185
	v_add_co_u32 v61, s15, v65, -1
	s_delay_alu instid0(VALU_DEP_1) | instskip(NEXT) | instid1(VALU_DEP_4)
	v_cndmask_b32_e64 v65, 0, 1, s15
	v_cmp_gt_i32_e64 s15, 0, v67
	v_cmp_gt_i32_e64 s16, 0, v184
	s_delay_alu instid0(VALU_DEP_3) | instskip(SKIP_3) | instid1(VALU_DEP_2)
	v_cmp_ne_u32_e32 vcc_lo, 0, v65
	v_not_b32_e32 v65, v67
	v_not_b32_e32 v67, v184
	v_not_b32_e32 v184, v185
	v_dual_ashrrev_i32 v65, 31, v65 :: v_dual_ashrrev_i32 v67, 31, v67
	v_dual_lshlrev_b32 v186, 27, v66 :: v_dual_lshlrev_b32 v187, 26, v66
	v_dual_lshlrev_b32 v188, 25, v66 :: v_dual_lshlrev_b32 v189, 24, v66
	s_delay_alu instid0(VALU_DEP_4) | instskip(NEXT) | instid1(VALU_DEP_3)
	v_ashrrev_i32_e32 v184, 31, v184
	v_cmp_gt_i32_e64 s18, 0, v186
	v_not_b32_e32 v185, v186
	v_cmp_gt_i32_e64 s19, 0, v187
	v_not_b32_e32 v186, v187
	;; [unrolled: 2-line block ×3, first 2 shown]
	v_not_b32_e32 v188, v189
	s_delay_alu instid0(VALU_DEP_4) | instskip(SKIP_4) | instid1(VALU_DEP_4)
	v_dual_ashrrev_i32 v186, 31, v186 :: v_dual_bitop2_b32 v61, vcc_lo, v61 bitop3:0x14
	v_xor_b32_e32 v65, s15, v65
	v_dual_ashrrev_i32 v185, 31, v185 :: v_dual_bitop2_b32 v67, s16, v67 bitop3:0x14
	v_xor_b32_e32 v184, s17, v184
	v_cmp_gt_i32_e64 s21, 0, v189
	v_bitop3_b32 v61, v61, v65, exec_lo bitop3:0x80
	v_dual_ashrrev_i32 v65, 31, v187 :: v_dual_ashrrev_i32 v187, 31, v188
	v_xor_b32_e32 v185, s18, v185
	v_xor_b32_e32 v186, s19, v186
	s_delay_alu instid0(VALU_DEP_4) | instskip(SKIP_3) | instid1(VALU_DEP_4)
	v_bitop3_b32 v61, v61, v184, v67 bitop3:0x80
	v_mad_u32_u24 v67, v66, 36, v23
	v_xor_b32_e32 v65, s20, v65
	v_xor_b32_e32 v184, s21, v187
	v_bitop3_b32 v61, v61, v186, v185 bitop3:0x80
	ds_load_b32 v185, v67 offset:1056
	; wave barrier
	v_bitop3_b32 v61, v61, v184, v65 bitop3:0x80
	v_mul_u32_u24_e32 v65, 36, v66
	s_delay_alu instid0(VALU_DEP_2) | instskip(SKIP_1) | instid1(VALU_DEP_3)
	v_mbcnt_lo_u32_b32 v186, v61, 0
	v_cmp_ne_u32_e64 s15, 0, v61
	v_add_nc_u32_e32 v187, v23, v65
	s_delay_alu instid0(VALU_DEP_3) | instskip(SKIP_1) | instid1(SALU_CYCLE_1)
	v_cmp_eq_u32_e32 vcc_lo, 0, v186
	s_and_b32 s16, s15, vcc_lo
	s_and_saveexec_b32 s15, s16
	s_cbranch_execz .LBB1966_456
; %bb.455:                              ;   in Loop: Header=BB1966_396 Depth=2
	s_wait_dscnt 0x0
	v_bcnt_u32_b32 v61, v61, v185
	ds_store_b32 v187, v61 offset:1056
.LBB1966_456:                           ;   in Loop: Header=BB1966_396 Depth=2
	s_or_b32 exec_lo, exec_lo, s15
	v_cmp_gt_i16_e32 vcc_lo, 0, v64
	; wave barrier
	v_cndmask_b32_e64 v61, 0x7fff, 0, vcc_lo
	s_delay_alu instid0(VALU_DEP_1) | instskip(NEXT) | instid1(VALU_DEP_1)
	v_xor_b32_e32 v184, v61, v64
	v_cmp_ne_u16_e64 vcc_lo, 0x8000, v184
	v_cndmask_b32_e32 v61, 0x7fff, v184, vcc_lo
	s_delay_alu instid0(VALU_DEP_1) | instskip(NEXT) | instid1(VALU_DEP_1)
	v_and_b32_e32 v61, 0xffff, v61
	v_lshrrev_b32_e32 v61, s48, v61
	s_delay_alu instid0(VALU_DEP_1) | instskip(SKIP_1) | instid1(VALU_DEP_2)
	v_bitop3_b32 v64, v61, 1, s52 bitop3:0x80
	v_and_b32_e32 v65, s52, v61
	v_add_co_u32 v61, s15, v64, -1
	s_delay_alu instid0(VALU_DEP_1) | instskip(NEXT) | instid1(VALU_DEP_3)
	v_cndmask_b32_e64 v64, 0, 1, s15
	v_lshlrev_b32_e32 v66, 30, v65
	s_delay_alu instid0(VALU_DEP_2) | instskip(NEXT) | instid1(VALU_DEP_2)
	v_cmp_ne_u32_e32 vcc_lo, 0, v64
	v_not_b32_e32 v64, v66
	v_cmp_gt_i32_e64 s15, 0, v66
	s_delay_alu instid0(VALU_DEP_2) | instskip(SKIP_3) | instid1(VALU_DEP_4)
	v_dual_ashrrev_i32 v64, 31, v64 :: v_dual_lshlrev_b32 v67, 29, v65
	v_dual_lshlrev_b32 v188, 28, v65 :: v_dual_lshlrev_b32 v189, 27, v65
	v_dual_lshlrev_b32 v190, 26, v65 :: v_dual_lshlrev_b32 v191, 25, v65
	v_lshlrev_b32_e32 v192, 24, v65
	v_cmp_gt_i32_e64 s16, 0, v67
	v_not_b32_e32 v66, v67
	v_not_b32_e32 v67, v188
	v_cmp_gt_i32_e64 s17, 0, v188
	v_cmp_gt_i32_e64 s18, 0, v189
	v_not_b32_e32 v188, v189
	v_not_b32_e32 v189, v190
	v_dual_ashrrev_i32 v66, 31, v66 :: v_dual_bitop2_b32 v61, vcc_lo, v61 bitop3:0x14
	v_dual_ashrrev_i32 v67, 31, v67 :: v_dual_bitop2_b32 v64, s15, v64 bitop3:0x14
	v_cmp_gt_i32_e64 s19, 0, v190
	v_cmp_gt_i32_e64 s20, 0, v191
	v_not_b32_e32 v190, v191
	v_not_b32_e32 v191, v192
	v_dual_ashrrev_i32 v188, 31, v188 :: v_dual_ashrrev_i32 v189, 31, v189
	v_xor_b32_e32 v66, s16, v66
	v_xor_b32_e32 v67, s17, v67
	v_bitop3_b32 v61, v61, v64, exec_lo bitop3:0x80
	v_cmp_gt_i32_e64 s21, 0, v192
	v_dual_ashrrev_i32 v64, 31, v190 :: v_dual_ashrrev_i32 v190, 31, v191
	v_xor_b32_e32 v188, s18, v188
	v_xor_b32_e32 v189, s19, v189
	v_bitop3_b32 v61, v61, v67, v66 bitop3:0x80
	v_mad_u32_u24 v66, v65, 36, v23
	v_xor_b32_e32 v64, s20, v64
	v_xor_b32_e32 v67, s21, v190
	s_delay_alu instid0(VALU_DEP_4) | instskip(SKIP_3) | instid1(VALU_DEP_2)
	v_bitop3_b32 v61, v61, v189, v188 bitop3:0x80
	ds_load_b32 v189, v66 offset:1056
	; wave barrier
	v_bitop3_b32 v61, v61, v67, v64 bitop3:0x80
	v_mul_u32_u24_e32 v64, 36, v65
	v_mbcnt_lo_u32_b32 v190, v61, 0
	v_cmp_ne_u32_e64 s15, 0, v61
	s_delay_alu instid0(VALU_DEP_3) | instskip(NEXT) | instid1(VALU_DEP_3)
	v_add_nc_u32_e32 v191, v23, v64
	v_cmp_eq_u32_e32 vcc_lo, 0, v190
	s_and_b32 s16, s15, vcc_lo
	s_delay_alu instid0(SALU_CYCLE_1)
	s_and_saveexec_b32 s15, s16
	s_cbranch_execz .LBB1966_458
; %bb.457:                              ;   in Loop: Header=BB1966_396 Depth=2
	s_wait_dscnt 0x0
	v_bcnt_u32_b32 v61, v61, v189
	ds_store_b32 v191, v61 offset:1056
.LBB1966_458:                           ;   in Loop: Header=BB1966_396 Depth=2
	s_or_b32 exec_lo, exec_lo, s15
	v_cmp_gt_i16_e32 vcc_lo, 0, v63
	; wave barrier
	v_cndmask_b32_e64 v61, 0x7fff, 0, vcc_lo
	s_delay_alu instid0(VALU_DEP_1) | instskip(NEXT) | instid1(VALU_DEP_1)
	v_xor_b32_e32 v188, v61, v63
	v_cmp_ne_u16_e64 vcc_lo, 0x8000, v188
	v_cndmask_b32_e32 v61, 0x7fff, v188, vcc_lo
	s_delay_alu instid0(VALU_DEP_1) | instskip(NEXT) | instid1(VALU_DEP_1)
	v_and_b32_e32 v61, 0xffff, v61
	v_lshrrev_b32_e32 v61, s48, v61
	s_delay_alu instid0(VALU_DEP_1) | instskip(SKIP_1) | instid1(VALU_DEP_2)
	v_bitop3_b32 v63, v61, 1, s52 bitop3:0x80
	v_and_b32_e32 v64, s52, v61
	v_add_co_u32 v61, s15, v63, -1
	s_delay_alu instid0(VALU_DEP_1) | instskip(NEXT) | instid1(VALU_DEP_3)
	v_cndmask_b32_e64 v63, 0, 1, s15
	v_lshlrev_b32_e32 v65, 30, v64
	s_delay_alu instid0(VALU_DEP_2) | instskip(NEXT) | instid1(VALU_DEP_2)
	v_cmp_ne_u32_e32 vcc_lo, 0, v63
	v_not_b32_e32 v63, v65
	s_delay_alu instid0(VALU_DEP_1) | instskip(SKIP_4) | instid1(VALU_DEP_4)
	v_dual_ashrrev_i32 v63, 31, v63 :: v_dual_bitop2_b32 v61, vcc_lo, v61 bitop3:0x14
	v_dual_lshlrev_b32 v66, 29, v64 :: v_dual_lshlrev_b32 v67, 28, v64
	v_dual_lshlrev_b32 v192, 27, v64 :: v_dual_lshlrev_b32 v193, 26, v64
	v_lshlrev_b32_e32 v194, 25, v64
	v_cmp_gt_i32_e64 s15, 0, v65
	v_cmp_gt_i32_e64 s16, 0, v66
	v_not_b32_e32 v65, v66
	v_not_b32_e32 v66, v67
	v_lshlrev_b32_e32 v195, 24, v64
	v_cmp_gt_i32_e64 s17, 0, v67
	v_cmp_gt_i32_e64 s18, 0, v192
	v_not_b32_e32 v67, v192
	v_not_b32_e32 v192, v193
	v_dual_ashrrev_i32 v65, 31, v65 :: v_dual_bitop2_b32 v63, s15, v63 bitop3:0x14
	v_ashrrev_i32_e32 v66, 31, v66
	v_cmp_gt_i32_e64 s19, 0, v193
	v_cmp_gt_i32_e64 s20, 0, v194
	v_not_b32_e32 v193, v194
	v_not_b32_e32 v194, v195
	v_dual_ashrrev_i32 v67, 31, v67 :: v_dual_ashrrev_i32 v192, 31, v192
	v_xor_b32_e32 v65, s16, v65
	v_xor_b32_e32 v66, s17, v66
	v_bitop3_b32 v61, v61, v63, exec_lo bitop3:0x80
	v_cmp_gt_i32_e64 s21, 0, v195
	v_dual_ashrrev_i32 v63, 31, v193 :: v_dual_ashrrev_i32 v193, 31, v194
	v_xor_b32_e32 v67, s18, v67
	v_xor_b32_e32 v192, s19, v192
	v_bitop3_b32 v61, v61, v66, v65 bitop3:0x80
	v_mad_u32_u24 v65, v64, 36, v23
	v_xor_b32_e32 v63, s20, v63
	v_xor_b32_e32 v66, s21, v193
	s_delay_alu instid0(VALU_DEP_4) | instskip(SKIP_3) | instid1(VALU_DEP_2)
	v_bitop3_b32 v61, v61, v192, v67 bitop3:0x80
	ds_load_b32 v193, v65 offset:1056
	; wave barrier
	v_bitop3_b32 v61, v61, v66, v63 bitop3:0x80
	v_mul_u32_u24_e32 v63, 36, v64
	v_mbcnt_lo_u32_b32 v194, v61, 0
	v_cmp_ne_u32_e64 s15, 0, v61
	s_delay_alu instid0(VALU_DEP_3) | instskip(NEXT) | instid1(VALU_DEP_3)
	v_add_nc_u32_e32 v195, v23, v63
	v_cmp_eq_u32_e32 vcc_lo, 0, v194
	s_and_b32 s16, s15, vcc_lo
	s_delay_alu instid0(SALU_CYCLE_1)
	s_and_saveexec_b32 s15, s16
	s_cbranch_execz .LBB1966_460
; %bb.459:                              ;   in Loop: Header=BB1966_396 Depth=2
	s_wait_dscnt 0x0
	v_bcnt_u32_b32 v61, v61, v193
	ds_store_b32 v195, v61 offset:1056
.LBB1966_460:                           ;   in Loop: Header=BB1966_396 Depth=2
	s_or_b32 exec_lo, exec_lo, s15
	v_cmp_gt_i16_e32 vcc_lo, 0, v62
	; wave barrier
	v_cndmask_b32_e64 v61, 0x7fff, 0, vcc_lo
	s_delay_alu instid0(VALU_DEP_1) | instskip(NEXT) | instid1(VALU_DEP_1)
	v_xor_b32_e32 v192, v61, v62
	v_cmp_ne_u16_e64 vcc_lo, 0x8000, v192
	v_cndmask_b32_e32 v61, 0x7fff, v192, vcc_lo
	s_delay_alu instid0(VALU_DEP_1) | instskip(NEXT) | instid1(VALU_DEP_1)
	v_and_b32_e32 v61, 0xffff, v61
	v_lshrrev_b32_e32 v61, s48, v61
	s_delay_alu instid0(VALU_DEP_1) | instskip(SKIP_1) | instid1(VALU_DEP_2)
	v_bitop3_b32 v62, v61, 1, s52 bitop3:0x80
	v_and_b32_e32 v63, s52, v61
	v_add_co_u32 v61, s15, v62, -1
	s_delay_alu instid0(VALU_DEP_1) | instskip(NEXT) | instid1(VALU_DEP_3)
	v_cndmask_b32_e64 v62, 0, 1, s15
	v_lshlrev_b32_e32 v64, 30, v63
	s_delay_alu instid0(VALU_DEP_2) | instskip(NEXT) | instid1(VALU_DEP_2)
	v_cmp_ne_u32_e32 vcc_lo, 0, v62
	v_not_b32_e32 v62, v64
	v_cmp_gt_i32_e64 s15, 0, v64
	s_delay_alu instid0(VALU_DEP_2) | instskip(SKIP_3) | instid1(VALU_DEP_4)
	v_dual_ashrrev_i32 v62, 31, v62 :: v_dual_lshlrev_b32 v65, 29, v63
	v_dual_lshlrev_b32 v66, 28, v63 :: v_dual_lshlrev_b32 v67, 27, v63
	v_dual_lshlrev_b32 v196, 26, v63 :: v_dual_lshlrev_b32 v197, 25, v63
	v_lshlrev_b32_e32 v198, 24, v63
	v_cmp_gt_i32_e64 s16, 0, v65
	v_not_b32_e32 v64, v65
	v_not_b32_e32 v65, v66
	v_cmp_gt_i32_e64 s17, 0, v66
	v_cmp_gt_i32_e64 s18, 0, v67
	v_not_b32_e32 v66, v67
	v_not_b32_e32 v67, v196
	v_dual_ashrrev_i32 v64, 31, v64 :: v_dual_bitop2_b32 v61, vcc_lo, v61 bitop3:0x14
	v_dual_ashrrev_i32 v65, 31, v65 :: v_dual_bitop2_b32 v62, s15, v62 bitop3:0x14
	v_cmp_gt_i32_e64 s19, 0, v196
	v_cmp_gt_i32_e64 s20, 0, v197
	v_not_b32_e32 v196, v197
	v_not_b32_e32 v197, v198
	v_dual_ashrrev_i32 v66, 31, v66 :: v_dual_ashrrev_i32 v67, 31, v67
	v_xor_b32_e32 v64, s16, v64
	v_xor_b32_e32 v65, s17, v65
	v_bitop3_b32 v61, v61, v62, exec_lo bitop3:0x80
	v_cmp_gt_i32_e64 s21, 0, v198
	v_dual_ashrrev_i32 v62, 31, v196 :: v_dual_ashrrev_i32 v196, 31, v197
	v_xor_b32_e32 v66, s18, v66
	v_xor_b32_e32 v67, s19, v67
	v_bitop3_b32 v61, v61, v65, v64 bitop3:0x80
	v_mad_u32_u24 v64, v63, 36, v23
	v_xor_b32_e32 v62, s20, v62
	v_xor_b32_e32 v65, s21, v196
	s_delay_alu instid0(VALU_DEP_4) | instskip(SKIP_3) | instid1(VALU_DEP_2)
	v_bitop3_b32 v61, v61, v67, v66 bitop3:0x80
	ds_load_b32 v197, v64 offset:1056
	; wave barrier
	v_bitop3_b32 v61, v61, v65, v62 bitop3:0x80
	v_mul_u32_u24_e32 v62, 36, v63
	v_mbcnt_lo_u32_b32 v198, v61, 0
	v_cmp_ne_u32_e64 s15, 0, v61
	s_delay_alu instid0(VALU_DEP_3) | instskip(NEXT) | instid1(VALU_DEP_3)
	v_add_nc_u32_e32 v199, v23, v62
	v_cmp_eq_u32_e32 vcc_lo, 0, v198
	s_and_b32 s16, s15, vcc_lo
	s_delay_alu instid0(SALU_CYCLE_1)
	s_and_saveexec_b32 s15, s16
	s_cbranch_execz .LBB1966_462
; %bb.461:                              ;   in Loop: Header=BB1966_396 Depth=2
	s_wait_dscnt 0x0
	v_bcnt_u32_b32 v61, v61, v197
	ds_store_b32 v199, v61 offset:1056
.LBB1966_462:                           ;   in Loop: Header=BB1966_396 Depth=2
	s_or_b32 exec_lo, exec_lo, s15
	v_cmp_gt_i16_e32 vcc_lo, 0, v60
	; wave barrier
	v_cndmask_b32_e64 v61, 0x7fff, 0, vcc_lo
	s_delay_alu instid0(VALU_DEP_1) | instskip(NEXT) | instid1(VALU_DEP_1)
	v_xor_b32_e32 v196, v61, v60
	v_cmp_ne_u16_e64 vcc_lo, 0x8000, v196
	v_cndmask_b32_e32 v60, 0x7fff, v196, vcc_lo
	s_delay_alu instid0(VALU_DEP_1) | instskip(NEXT) | instid1(VALU_DEP_1)
	v_and_b32_e32 v60, 0xffff, v60
	v_lshrrev_b32_e32 v60, s48, v60
	s_delay_alu instid0(VALU_DEP_1) | instskip(SKIP_1) | instid1(VALU_DEP_2)
	v_bitop3_b32 v61, v60, 1, s52 bitop3:0x80
	v_and_b32_e32 v62, s52, v60
	v_add_co_u32 v60, s15, v61, -1
	s_delay_alu instid0(VALU_DEP_1) | instskip(NEXT) | instid1(VALU_DEP_3)
	v_cndmask_b32_e64 v61, 0, 1, s15
	v_lshlrev_b32_e32 v63, 30, v62
	s_delay_alu instid0(VALU_DEP_2) | instskip(NEXT) | instid1(VALU_DEP_2)
	v_cmp_ne_u32_e32 vcc_lo, 0, v61
	v_not_b32_e32 v61, v63
	v_cmp_gt_i32_e64 s15, 0, v63
	s_delay_alu instid0(VALU_DEP_2) | instskip(SKIP_3) | instid1(VALU_DEP_4)
	v_dual_ashrrev_i32 v61, 31, v61 :: v_dual_lshlrev_b32 v64, 29, v62
	v_dual_lshlrev_b32 v65, 28, v62 :: v_dual_lshlrev_b32 v66, 27, v62
	v_dual_lshlrev_b32 v67, 26, v62 :: v_dual_lshlrev_b32 v200, 25, v62
	v_lshlrev_b32_e32 v201, 24, v62
	v_cmp_gt_i32_e64 s16, 0, v64
	v_not_b32_e32 v63, v64
	v_not_b32_e32 v64, v65
	v_cmp_gt_i32_e64 s17, 0, v65
	v_cmp_gt_i32_e64 s18, 0, v66
	v_not_b32_e32 v65, v66
	v_not_b32_e32 v66, v67
	v_dual_ashrrev_i32 v63, 31, v63 :: v_dual_bitop2_b32 v60, vcc_lo, v60 bitop3:0x14
	v_dual_ashrrev_i32 v64, 31, v64 :: v_dual_bitop2_b32 v61, s15, v61 bitop3:0x14
	v_cmp_gt_i32_e64 s19, 0, v67
	v_cmp_gt_i32_e64 s20, 0, v200
	v_not_b32_e32 v67, v200
	v_not_b32_e32 v200, v201
	v_dual_ashrrev_i32 v65, 31, v65 :: v_dual_ashrrev_i32 v66, 31, v66
	v_xor_b32_e32 v63, s16, v63
	v_xor_b32_e32 v64, s17, v64
	v_bitop3_b32 v60, v60, v61, exec_lo bitop3:0x80
	v_cmp_gt_i32_e64 s21, 0, v201
	v_dual_ashrrev_i32 v61, 31, v67 :: v_dual_ashrrev_i32 v67, 31, v200
	v_xor_b32_e32 v65, s18, v65
	v_xor_b32_e32 v66, s19, v66
	v_bitop3_b32 v60, v60, v64, v63 bitop3:0x80
	v_mad_u32_u24 v63, v62, 36, v23
	v_xor_b32_e32 v61, s20, v61
	v_xor_b32_e32 v64, s21, v67
	s_delay_alu instid0(VALU_DEP_4) | instskip(SKIP_3) | instid1(VALU_DEP_2)
	v_bitop3_b32 v60, v60, v66, v65 bitop3:0x80
	ds_load_b32 v200, v63 offset:1056
	; wave barrier
	v_bitop3_b32 v60, v60, v64, v61 bitop3:0x80
	v_mul_u32_u24_e32 v61, 36, v62
	v_mbcnt_lo_u32_b32 v201, v60, 0
	v_cmp_ne_u32_e64 s15, 0, v60
	s_delay_alu instid0(VALU_DEP_3) | instskip(NEXT) | instid1(VALU_DEP_3)
	v_add_nc_u32_e32 v202, v23, v61
	v_cmp_eq_u32_e32 vcc_lo, 0, v201
	s_and_b32 s16, s15, vcc_lo
	s_delay_alu instid0(SALU_CYCLE_1)
	s_and_saveexec_b32 s15, s16
	s_cbranch_execz .LBB1966_464
; %bb.463:                              ;   in Loop: Header=BB1966_396 Depth=2
	s_wait_dscnt 0x0
	v_bcnt_u32_b32 v60, v60, v200
	ds_store_b32 v202, v60 offset:1056
.LBB1966_464:                           ;   in Loop: Header=BB1966_396 Depth=2
	s_or_b32 exec_lo, exec_lo, s15
	; wave barrier
	s_wait_dscnt 0x0
	s_barrier_signal -1
	s_barrier_wait -1
	ds_load_2addr_b32 v[66:67], v118 offset1:1
	ds_load_2addr_b32 v[64:65], v119 offset1:1
	;; [unrolled: 1-line block ×4, first 2 shown]
	ds_load_b32 v203, v91 offset:1088
	s_wait_dscnt 0x3
	v_add3_u32 v204, v67, v66, v64
	s_wait_dscnt 0x2
	s_delay_alu instid0(VALU_DEP_1) | instskip(SKIP_1) | instid1(VALU_DEP_1)
	v_add3_u32 v204, v204, v65, v62
	s_wait_dscnt 0x1
	v_add3_u32 v204, v204, v63, v60
	s_wait_dscnt 0x0
	s_delay_alu instid0(VALU_DEP_1) | instskip(NEXT) | instid1(VALU_DEP_1)
	v_add3_u32 v203, v204, v61, v203
	v_mov_b32_dpp v204, v203 row_shr:1 row_mask:0xf bank_mask:0xf
	s_delay_alu instid0(VALU_DEP_1) | instskip(NEXT) | instid1(VALU_DEP_1)
	v_cndmask_b32_e64 v204, v204, 0, s7
	v_add_nc_u32_e32 v203, v204, v203
	s_delay_alu instid0(VALU_DEP_1) | instskip(NEXT) | instid1(VALU_DEP_1)
	v_mov_b32_dpp v204, v203 row_shr:2 row_mask:0xf bank_mask:0xf
	v_cndmask_b32_e64 v204, 0, v204, s8
	s_delay_alu instid0(VALU_DEP_1) | instskip(NEXT) | instid1(VALU_DEP_1)
	v_add_nc_u32_e32 v203, v203, v204
	v_mov_b32_dpp v204, v203 row_shr:4 row_mask:0xf bank_mask:0xf
	s_delay_alu instid0(VALU_DEP_1) | instskip(NEXT) | instid1(VALU_DEP_1)
	v_cndmask_b32_e64 v204, 0, v204, s9
	v_add_nc_u32_e32 v203, v203, v204
	s_delay_alu instid0(VALU_DEP_1) | instskip(NEXT) | instid1(VALU_DEP_1)
	v_mov_b32_dpp v204, v203 row_shr:8 row_mask:0xf bank_mask:0xf
	v_cndmask_b32_e64 v204, 0, v204, s10
	s_delay_alu instid0(VALU_DEP_1) | instskip(SKIP_3) | instid1(VALU_DEP_1)
	v_add_nc_u32_e32 v203, v203, v204
	ds_swizzle_b32 v204, v203 offset:swizzle(BROADCAST,32,15)
	s_wait_dscnt 0x0
	v_cndmask_b32_e64 v204, v204, 0, s11
	v_add_nc_u32_e32 v203, v203, v204
	s_and_saveexec_b32 s15, s1
; %bb.465:                              ;   in Loop: Header=BB1966_396 Depth=2
	ds_store_b32 v84, v203 offset:1024
; %bb.466:                              ;   in Loop: Header=BB1966_396 Depth=2
	s_or_b32 exec_lo, exec_lo, s15
	s_wait_dscnt 0x0
	s_barrier_signal -1
	s_barrier_wait -1
	s_and_saveexec_b32 s15, s4
	s_cbranch_execz .LBB1966_468
; %bb.467:                              ;   in Loop: Header=BB1966_396 Depth=2
	ds_load_b32 v204, v92 offset:1024
	s_wait_dscnt 0x0
	v_mov_b32_dpp v205, v204 row_shr:1 row_mask:0xf bank_mask:0xf
	s_delay_alu instid0(VALU_DEP_1) | instskip(NEXT) | instid1(VALU_DEP_1)
	v_cndmask_b32_e64 v205, v205, 0, s12
	v_add_nc_u32_e32 v204, v205, v204
	s_delay_alu instid0(VALU_DEP_1) | instskip(NEXT) | instid1(VALU_DEP_1)
	v_mov_b32_dpp v205, v204 row_shr:2 row_mask:0xf bank_mask:0xf
	v_cndmask_b32_e64 v205, 0, v205, s13
	s_delay_alu instid0(VALU_DEP_1) | instskip(NEXT) | instid1(VALU_DEP_1)
	v_add_nc_u32_e32 v204, v204, v205
	v_mov_b32_dpp v205, v204 row_shr:4 row_mask:0xf bank_mask:0xf
	s_delay_alu instid0(VALU_DEP_1) | instskip(NEXT) | instid1(VALU_DEP_1)
	v_cndmask_b32_e64 v205, 0, v205, s14
	v_add_nc_u32_e32 v204, v204, v205
	ds_store_b32 v92, v204 offset:1024
.LBB1966_468:                           ;   in Loop: Header=BB1966_396 Depth=2
	s_or_b32 exec_lo, exec_lo, s15
	v_mov_b32_e32 v204, 0
	s_wait_dscnt 0x0
	s_barrier_signal -1
	s_barrier_wait -1
	s_and_saveexec_b32 s15, s5
; %bb.469:                              ;   in Loop: Header=BB1966_396 Depth=2
	ds_load_b32 v204, v84 offset:1020
; %bb.470:                              ;   in Loop: Header=BB1966_396 Depth=2
	s_or_b32 exec_lo, exec_lo, s15
	s_wait_dscnt 0x0
	v_add_nc_u32_e32 v203, v204, v203
	ds_bpermute_b32 v203, v122, v203
	s_wait_dscnt 0x0
	v_cndmask_b32_e64 v203, v203, v204, s6
	s_delay_alu instid0(VALU_DEP_1) | instskip(NEXT) | instid1(VALU_DEP_1)
	v_cndmask_b32_e64 v203, v203, 0, s2
	v_add_nc_u32_e32 v66, v203, v66
	s_delay_alu instid0(VALU_DEP_1) | instskip(NEXT) | instid1(VALU_DEP_1)
	v_add_nc_u32_e32 v67, v66, v67
	v_add_nc_u32_e32 v64, v67, v64
	s_delay_alu instid0(VALU_DEP_1) | instskip(NEXT) | instid1(VALU_DEP_1)
	v_add_nc_u32_e32 v65, v64, v65
	;; [unrolled: 3-line block ×3, first 2 shown]
	v_add_nc_u32_e32 v60, v63, v60
	s_delay_alu instid0(VALU_DEP_1)
	v_add_nc_u32_e32 v61, v60, v61
	ds_store_2addr_b32 v121, v63, v60 offset1:1
	ds_store_2addr_b32 v118, v203, v66 offset1:1
	;; [unrolled: 1-line block ×4, first 2 shown]
	ds_store_b32 v91, v61 offset:1088
	s_wait_dscnt 0x0
	s_barrier_signal -1
	s_barrier_wait -1
	ds_load_b32 v63, v143 offset:1056
	ds_load_b32 v65, v147 offset:1056
	;; [unrolled: 1-line block ×17, first 2 shown]
	v_mov_b32_e32 v62, 0x1000
	s_and_saveexec_b32 s15, s3
; %bb.471:                              ;   in Loop: Header=BB1966_396 Depth=2
	ds_load_b32 v62, v91 offset:1092
; %bb.472:                              ;   in Loop: Header=BB1966_396 Depth=2
	s_or_b32 exec_lo, exec_lo, s15
	s_wait_dscnt 0x0
	s_barrier_signal -1
	s_barrier_wait -1
	s_and_saveexec_b32 s15, s0
	s_cbranch_execz .LBB1966_474
; %bb.473:                              ;   in Loop: Header=BB1966_396 Depth=2
	ds_load_b32 v155, v3
	s_wait_dscnt 0x0
	v_sub_nc_u32_e32 v151, v155, v151
	ds_store_b32 v3, v151
.LBB1966_474:                           ;   in Loop: Header=BB1966_396 Depth=2
	s_or_b32 exec_lo, exec_lo, s15
	v_add3_u32 v159, v146, v145, v65
	v_add_nc_u32_e32 v163, v63, v142
	v_add3_u32 v155, v150, v149, v66
	v_add3_u32 v151, v154, v153, v67
	;; [unrolled: 1-line block ×4, first 2 shown]
	v_lshlrev_b32_e32 v60, 1, v159
	v_lshlrev_b32_e32 v153, 1, v163
	v_add3_u32 v150, v158, v157, v143
	v_add3_u32 v147, v166, v165, v203
	;; [unrolled: 1-line block ×4, first 2 shown]
	v_lshlrev_b32_e32 v61, 1, v155
	v_add3_u32 v145, v174, v173, v175
	v_lshlrev_b32_e32 v154, 1, v149
	ds_store_b16 v153, v140 offset:1024
	v_lshlrev_b32_e32 v140, 1, v151
	v_add3_u32 v143, v178, v177, v179
	v_lshlrev_b32_e32 v153, 1, v150
	v_add3_u32 v142, v182, v181, v183
	v_add3_u32 v63, v186, v185, v187
	ds_store_b16 v60, v141 offset:1024
	ds_store_b16 v61, v144 offset:1024
	;; [unrolled: 1-line block ×5, first 2 shown]
	v_dual_lshlrev_b32 v60, 1, v147 :: v_dual_lshlrev_b32 v140, 1, v145
	v_lshlrev_b32_e32 v61, 1, v146
	v_add3_u32 v65, v198, v197, v64
	v_dual_lshlrev_b32 v141, 1, v143 :: v_dual_lshlrev_b32 v144, 1, v142
	v_add3_u32 v64, v201, v200, v167
	ds_store_b16 v60, v160 offset:1024
	ds_store_b16 v61, v164 offset:1024
	;; [unrolled: 1-line block ×5, first 2 shown]
	v_dual_lshlrev_b32 v60, 1, v63 :: v_dual_lshlrev_b32 v140, 1, v66
	v_cmp_lt_u32_e32 vcc_lo, v2, v139
	v_dual_lshlrev_b32 v61, 1, v67 :: v_dual_lshlrev_b32 v141, 1, v65
	v_lshlrev_b32_e32 v144, 1, v64
	ds_store_b16 v60, v180 offset:1024
	ds_store_b16 v61, v184 offset:1024
	;; [unrolled: 1-line block ×5, first 2 shown]
	s_wait_dscnt 0x0
	s_barrier_signal -1
	s_barrier_wait -1
	s_and_saveexec_b32 s16, vcc_lo
	s_cbranch_execnz .LBB1966_543
; %bb.475:                              ;   in Loop: Header=BB1966_396 Depth=2
	s_or_b32 exec_lo, exec_lo, s16
	v_cmp_lt_u32_e64 s15, v68, v139
	s_and_saveexec_b32 s17, s15
	s_cbranch_execnz .LBB1966_544
.LBB1966_476:                           ;   in Loop: Header=BB1966_396 Depth=2
	s_or_b32 exec_lo, exec_lo, s17
	v_cmp_lt_u32_e64 s16, v69, v139
	s_and_saveexec_b32 s18, s16
	s_cbranch_execnz .LBB1966_545
.LBB1966_477:                           ;   in Loop: Header=BB1966_396 Depth=2
	s_or_b32 exec_lo, exec_lo, s18
	v_cmp_lt_u32_e64 s17, v70, v139
	s_and_saveexec_b32 s19, s17
	s_cbranch_execnz .LBB1966_546
.LBB1966_478:                           ;   in Loop: Header=BB1966_396 Depth=2
	s_or_b32 exec_lo, exec_lo, s19
	v_cmp_lt_u32_e64 s18, v71, v139
	s_and_saveexec_b32 s20, s18
	s_cbranch_execnz .LBB1966_547
.LBB1966_479:                           ;   in Loop: Header=BB1966_396 Depth=2
	s_or_b32 exec_lo, exec_lo, s20
	v_cmp_lt_u32_e64 s19, v72, v139
	s_and_saveexec_b32 s21, s19
	s_cbranch_execnz .LBB1966_548
.LBB1966_480:                           ;   in Loop: Header=BB1966_396 Depth=2
	s_or_b32 exec_lo, exec_lo, s21
	v_cmp_lt_u32_e64 s20, v73, v139
	s_and_saveexec_b32 s22, s20
	s_cbranch_execnz .LBB1966_549
.LBB1966_481:                           ;   in Loop: Header=BB1966_396 Depth=2
	s_or_b32 exec_lo, exec_lo, s22
	v_cmp_lt_u32_e64 s21, v74, v139
	s_and_saveexec_b32 s23, s21
	s_cbranch_execnz .LBB1966_550
.LBB1966_482:                           ;   in Loop: Header=BB1966_396 Depth=2
	s_or_b32 exec_lo, exec_lo, s23
	v_cmp_lt_u32_e64 s22, v75, v139
	s_and_saveexec_b32 s24, s22
	s_cbranch_execnz .LBB1966_551
.LBB1966_483:                           ;   in Loop: Header=BB1966_396 Depth=2
	s_or_b32 exec_lo, exec_lo, s24
	v_cmp_lt_u32_e64 s23, v76, v139
	s_and_saveexec_b32 s25, s23
	s_cbranch_execnz .LBB1966_552
.LBB1966_484:                           ;   in Loop: Header=BB1966_396 Depth=2
	s_or_b32 exec_lo, exec_lo, s25
	v_cmp_lt_u32_e64 s24, v77, v139
	s_and_saveexec_b32 s26, s24
	s_cbranch_execnz .LBB1966_553
.LBB1966_485:                           ;   in Loop: Header=BB1966_396 Depth=2
	s_or_b32 exec_lo, exec_lo, s26
	v_cmp_lt_u32_e64 s25, v78, v139
	s_and_saveexec_b32 s27, s25
	s_cbranch_execnz .LBB1966_554
.LBB1966_486:                           ;   in Loop: Header=BB1966_396 Depth=2
	s_or_b32 exec_lo, exec_lo, s27
	v_cmp_lt_u32_e64 s26, v79, v139
	s_and_saveexec_b32 s28, s26
	s_cbranch_execnz .LBB1966_555
.LBB1966_487:                           ;   in Loop: Header=BB1966_396 Depth=2
	s_or_b32 exec_lo, exec_lo, s28
	v_cmp_lt_u32_e64 s27, v80, v139
	s_and_saveexec_b32 s29, s27
	s_cbranch_execnz .LBB1966_556
.LBB1966_488:                           ;   in Loop: Header=BB1966_396 Depth=2
	s_or_b32 exec_lo, exec_lo, s29
	v_cmp_lt_u32_e64 s28, v81, v139
	s_and_saveexec_b32 s30, s28
	s_cbranch_execnz .LBB1966_557
.LBB1966_489:                           ;   in Loop: Header=BB1966_396 Depth=2
	s_or_b32 exec_lo, exec_lo, s30
	v_cmp_lt_u32_e64 s29, v82, v139
	s_and_saveexec_b32 s58, s29
	s_cbranch_execz .LBB1966_491
.LBB1966_490:                           ;   in Loop: Header=BB1966_396 Depth=2
	ds_load_u16 v60, v93 offset:8704
	s_wait_dscnt 0x0
	v_cmp_ne_u16_e64 s30, 0x8000, v60
	s_delay_alu instid0(VALU_DEP_1) | instskip(SKIP_1) | instid1(VALU_DEP_2)
	v_cndmask_b32_e64 v61, 0x7fff, v60, s30
	v_cmp_gt_i16_e64 s30, 0, v60
	v_and_b32_e32 v61, 0xffff, v61
	s_delay_alu instid0(VALU_DEP_2) | instskip(NEXT) | instid1(VALU_DEP_1)
	v_cndmask_b32_e64 v140, 0x7fff, 0, s30
	v_dual_lshrrev_b32 v61, s48, v61 :: v_dual_bitop2_b32 v60, v140, v60 bitop3:0x14
	s_delay_alu instid0(VALU_DEP_1) | instskip(NEXT) | instid1(VALU_DEP_1)
	v_and_b32_e32 v61, s52, v61
	v_lshlrev_b32_e32 v61, 2, v61
	ds_load_b32 v61, v61
	s_wait_dscnt 0x0
	v_add_nc_u32_e32 v61, v61, v82
	global_store_b16 v61, v60, s[40:41] scale_offset
.LBB1966_491:                           ;   in Loop: Header=BB1966_396 Depth=2
	s_wait_xcnt 0x0
	s_or_b32 exec_lo, exec_lo, s58
	v_lshl_add_u64 v[60:61], s[42:43], 3, v[24:25]
	v_cmp_lt_u32_e64 s30, v100, v139
	s_and_saveexec_b32 s42, s30
	s_delay_alu instid0(SALU_CYCLE_1)
	s_xor_b32 s30, exec_lo, s42
	s_cbranch_execnz .LBB1966_558
; %bb.492:                              ;   in Loop: Header=BB1966_396 Depth=2
	s_or_b32 exec_lo, exec_lo, s30
	s_delay_alu instid0(SALU_CYCLE_1)
	s_mov_b32 s42, exec_lo
	v_cmpx_lt_u32_e64 v103, v139
	s_cbranch_execnz .LBB1966_559
.LBB1966_493:                           ;   in Loop: Header=BB1966_396 Depth=2
	s_or_b32 exec_lo, exec_lo, s42
	s_delay_alu instid0(SALU_CYCLE_1)
	s_mov_b32 s42, exec_lo
	v_cmpx_lt_u32_e64 v104, v139
	s_cbranch_execnz .LBB1966_560
.LBB1966_494:                           ;   in Loop: Header=BB1966_396 Depth=2
	s_or_b32 exec_lo, exec_lo, s42
	s_delay_alu instid0(SALU_CYCLE_1)
	s_mov_b32 s42, exec_lo
	v_cmpx_lt_u32_e64 v105, v139
	s_cbranch_execnz .LBB1966_561
.LBB1966_495:                           ;   in Loop: Header=BB1966_396 Depth=2
	s_or_b32 exec_lo, exec_lo, s42
	s_delay_alu instid0(SALU_CYCLE_1)
	s_mov_b32 s42, exec_lo
	v_cmpx_lt_u32_e64 v106, v139
	s_cbranch_execnz .LBB1966_562
.LBB1966_496:                           ;   in Loop: Header=BB1966_396 Depth=2
	s_or_b32 exec_lo, exec_lo, s42
	s_delay_alu instid0(SALU_CYCLE_1)
	s_mov_b32 s42, exec_lo
	v_cmpx_lt_u32_e64 v107, v139
	s_cbranch_execnz .LBB1966_563
.LBB1966_497:                           ;   in Loop: Header=BB1966_396 Depth=2
	s_or_b32 exec_lo, exec_lo, s42
	s_delay_alu instid0(SALU_CYCLE_1)
	s_mov_b32 s42, exec_lo
	v_cmpx_lt_u32_e64 v108, v139
	s_cbranch_execnz .LBB1966_564
.LBB1966_498:                           ;   in Loop: Header=BB1966_396 Depth=2
	s_or_b32 exec_lo, exec_lo, s42
	s_delay_alu instid0(SALU_CYCLE_1)
	s_mov_b32 s42, exec_lo
	v_cmpx_lt_u32_e64 v109, v139
	s_cbranch_execnz .LBB1966_565
.LBB1966_499:                           ;   in Loop: Header=BB1966_396 Depth=2
	s_or_b32 exec_lo, exec_lo, s42
	s_delay_alu instid0(SALU_CYCLE_1)
	s_mov_b32 s42, exec_lo
	v_cmpx_lt_u32_e64 v110, v139
	s_cbranch_execnz .LBB1966_566
.LBB1966_500:                           ;   in Loop: Header=BB1966_396 Depth=2
	s_or_b32 exec_lo, exec_lo, s42
	s_delay_alu instid0(SALU_CYCLE_1)
	s_mov_b32 s42, exec_lo
	v_cmpx_lt_u32_e64 v111, v139
	s_cbranch_execnz .LBB1966_567
.LBB1966_501:                           ;   in Loop: Header=BB1966_396 Depth=2
	s_or_b32 exec_lo, exec_lo, s42
	s_delay_alu instid0(SALU_CYCLE_1)
	s_mov_b32 s42, exec_lo
	v_cmpx_lt_u32_e64 v112, v139
	s_cbranch_execnz .LBB1966_568
.LBB1966_502:                           ;   in Loop: Header=BB1966_396 Depth=2
	s_or_b32 exec_lo, exec_lo, s42
	s_delay_alu instid0(SALU_CYCLE_1)
	s_mov_b32 s42, exec_lo
	v_cmpx_lt_u32_e64 v113, v139
	s_cbranch_execnz .LBB1966_569
.LBB1966_503:                           ;   in Loop: Header=BB1966_396 Depth=2
	s_or_b32 exec_lo, exec_lo, s42
	s_delay_alu instid0(SALU_CYCLE_1)
	s_mov_b32 s42, exec_lo
	v_cmpx_lt_u32_e64 v114, v139
	s_cbranch_execnz .LBB1966_570
.LBB1966_504:                           ;   in Loop: Header=BB1966_396 Depth=2
	s_or_b32 exec_lo, exec_lo, s42
	s_delay_alu instid0(SALU_CYCLE_1)
	s_mov_b32 s42, exec_lo
	v_cmpx_lt_u32_e64 v115, v139
	s_cbranch_execnz .LBB1966_571
.LBB1966_505:                           ;   in Loop: Header=BB1966_396 Depth=2
	s_or_b32 exec_lo, exec_lo, s42
	s_delay_alu instid0(SALU_CYCLE_1)
	s_mov_b32 s42, exec_lo
	v_cmpx_lt_u32_e64 v116, v139
	s_cbranch_execnz .LBB1966_572
.LBB1966_506:                           ;   in Loop: Header=BB1966_396 Depth=2
	s_or_b32 exec_lo, exec_lo, s42
	s_delay_alu instid0(SALU_CYCLE_1)
	s_mov_b32 s42, exec_lo
	v_cmpx_lt_u32_e64 v117, v139
	s_cbranch_execnz .LBB1966_573
.LBB1966_507:                           ;   in Loop: Header=BB1966_396 Depth=2
	s_or_b32 exec_lo, exec_lo, s42
	s_and_saveexec_b32 s42, vcc_lo
	s_cbranch_execnz .LBB1966_574
.LBB1966_508:                           ;   in Loop: Header=BB1966_396 Depth=2
	s_or_b32 exec_lo, exec_lo, s42
	s_and_saveexec_b32 s42, s15
	s_cbranch_execnz .LBB1966_575
.LBB1966_509:                           ;   in Loop: Header=BB1966_396 Depth=2
	s_or_b32 exec_lo, exec_lo, s42
	s_and_saveexec_b32 s42, s16
	s_cbranch_execnz .LBB1966_576
.LBB1966_510:                           ;   in Loop: Header=BB1966_396 Depth=2
	s_or_b32 exec_lo, exec_lo, s42
	s_and_saveexec_b32 s42, s17
	s_cbranch_execnz .LBB1966_577
.LBB1966_511:                           ;   in Loop: Header=BB1966_396 Depth=2
	s_or_b32 exec_lo, exec_lo, s42
	s_and_saveexec_b32 s42, s18
	s_cbranch_execnz .LBB1966_578
.LBB1966_512:                           ;   in Loop: Header=BB1966_396 Depth=2
	s_or_b32 exec_lo, exec_lo, s42
	s_and_saveexec_b32 s42, s19
	s_cbranch_execnz .LBB1966_579
.LBB1966_513:                           ;   in Loop: Header=BB1966_396 Depth=2
	s_or_b32 exec_lo, exec_lo, s42
	s_and_saveexec_b32 s42, s20
	s_cbranch_execnz .LBB1966_580
.LBB1966_514:                           ;   in Loop: Header=BB1966_396 Depth=2
	s_or_b32 exec_lo, exec_lo, s42
	s_and_saveexec_b32 s42, s21
	s_cbranch_execnz .LBB1966_581
.LBB1966_515:                           ;   in Loop: Header=BB1966_396 Depth=2
	s_or_b32 exec_lo, exec_lo, s42
	s_and_saveexec_b32 s42, s22
	s_cbranch_execnz .LBB1966_582
.LBB1966_516:                           ;   in Loop: Header=BB1966_396 Depth=2
	s_or_b32 exec_lo, exec_lo, s42
	s_and_saveexec_b32 s42, s23
	s_cbranch_execnz .LBB1966_583
.LBB1966_517:                           ;   in Loop: Header=BB1966_396 Depth=2
	s_or_b32 exec_lo, exec_lo, s42
	s_and_saveexec_b32 s42, s24
	s_cbranch_execnz .LBB1966_584
.LBB1966_518:                           ;   in Loop: Header=BB1966_396 Depth=2
	s_or_b32 exec_lo, exec_lo, s42
	s_and_saveexec_b32 s42, s25
	s_cbranch_execnz .LBB1966_585
.LBB1966_519:                           ;   in Loop: Header=BB1966_396 Depth=2
	s_or_b32 exec_lo, exec_lo, s42
	s_and_saveexec_b32 s42, s26
	s_cbranch_execnz .LBB1966_586
.LBB1966_520:                           ;   in Loop: Header=BB1966_396 Depth=2
	s_or_b32 exec_lo, exec_lo, s42
	s_and_saveexec_b32 s42, s27
	s_cbranch_execnz .LBB1966_587
.LBB1966_521:                           ;   in Loop: Header=BB1966_396 Depth=2
	s_or_b32 exec_lo, exec_lo, s42
	s_and_saveexec_b32 s42, s28
	s_cbranch_execnz .LBB1966_588
.LBB1966_522:                           ;   in Loop: Header=BB1966_396 Depth=2
	s_or_b32 exec_lo, exec_lo, s42
	s_and_saveexec_b32 s42, s29
	s_cbranch_execz .LBB1966_524
.LBB1966_523:                           ;   in Loop: Header=BB1966_396 Depth=2
	ds_load_u16 v60, v93 offset:8704
	s_wait_dscnt 0x0
	v_cmp_ne_u16_e64 s30, 0x8000, v60
	s_delay_alu instid0(VALU_DEP_1) | instskip(NEXT) | instid1(VALU_DEP_1)
	v_cndmask_b32_e64 v60, 0x7fff, v60, s30
	v_and_b32_e32 v60, 0xffff, v60
	s_delay_alu instid0(VALU_DEP_1) | instskip(NEXT) | instid1(VALU_DEP_1)
	v_lshrrev_b32_e32 v60, s48, v60
	v_and_b32_e32 v123, s52, v60
.LBB1966_524:                           ;   in Loop: Header=BB1966_396 Depth=2
	s_or_b32 exec_lo, exec_lo, s42
	v_dual_lshlrev_b32 v60, 3, v163 :: v_dual_lshlrev_b32 v140, 3, v150
	s_wait_loadcnt 0x0
	s_wait_storecnt 0x0
	s_barrier_signal -1
	s_barrier_wait -1
	ds_store_b64 v60, v[58:59] offset:1024
	v_dual_lshlrev_b32 v60, 3, v159 :: v_dual_lshlrev_b32 v141, 3, v149
	v_lshlrev_b32_e32 v61, 3, v155
	v_lshlrev_b32_e32 v139, 3, v151
	ds_store_b64 v60, v[56:57] offset:1024
	ds_store_b64 v61, v[54:55] offset:1024
	;; [unrolled: 1-line block ×5, first 2 shown]
	v_dual_lshlrev_b32 v60, 3, v147 :: v_dual_lshlrev_b32 v141, 3, v142
	v_dual_lshlrev_b32 v61, 3, v146 :: v_dual_lshlrev_b32 v139, 3, v145
	v_lshlrev_b32_e32 v140, 3, v143
	ds_store_b64 v60, v[46:47] offset:1024
	ds_store_b64 v61, v[44:45] offset:1024
	;; [unrolled: 1-line block ×5, first 2 shown]
	v_dual_lshlrev_b32 v60, 3, v63 :: v_dual_lshlrev_b32 v65, 3, v65
	v_dual_lshlrev_b32 v61, 3, v67 :: v_dual_lshlrev_b32 v64, 3, v64
	v_lshlrev_b32_e32 v63, 3, v66
	ds_store_b64 v60, v[36:37] offset:1024
	ds_store_b64 v61, v[34:35] offset:1024
	;; [unrolled: 1-line block ×5, first 2 shown]
	s_wait_dscnt 0x0
	s_barrier_signal -1
	s_barrier_wait -1
	s_and_saveexec_b32 s30, vcc_lo
	s_cbranch_execnz .LBB1966_589
; %bb.525:                              ;   in Loop: Header=BB1966_396 Depth=2
	s_or_b32 exec_lo, exec_lo, s30
	s_and_saveexec_b32 s30, s15
	s_cbranch_execnz .LBB1966_590
.LBB1966_526:                           ;   in Loop: Header=BB1966_396 Depth=2
	s_or_b32 exec_lo, exec_lo, s30
	s_and_saveexec_b32 s15, s16
	s_cbranch_execnz .LBB1966_591
.LBB1966_527:                           ;   in Loop: Header=BB1966_396 Depth=2
	s_or_b32 exec_lo, exec_lo, s15
	s_and_saveexec_b32 s15, s17
	s_cbranch_execnz .LBB1966_592
.LBB1966_528:                           ;   in Loop: Header=BB1966_396 Depth=2
	s_or_b32 exec_lo, exec_lo, s15
	s_and_saveexec_b32 s15, s18
	s_cbranch_execnz .LBB1966_593
.LBB1966_529:                           ;   in Loop: Header=BB1966_396 Depth=2
	s_or_b32 exec_lo, exec_lo, s15
	s_and_saveexec_b32 s15, s19
	s_cbranch_execnz .LBB1966_594
.LBB1966_530:                           ;   in Loop: Header=BB1966_396 Depth=2
	s_or_b32 exec_lo, exec_lo, s15
	s_and_saveexec_b32 s15, s20
	s_cbranch_execnz .LBB1966_595
.LBB1966_531:                           ;   in Loop: Header=BB1966_396 Depth=2
	s_or_b32 exec_lo, exec_lo, s15
	s_and_saveexec_b32 s15, s21
	s_cbranch_execnz .LBB1966_596
.LBB1966_532:                           ;   in Loop: Header=BB1966_396 Depth=2
	s_or_b32 exec_lo, exec_lo, s15
	s_and_saveexec_b32 s15, s22
	s_cbranch_execnz .LBB1966_597
.LBB1966_533:                           ;   in Loop: Header=BB1966_396 Depth=2
	s_or_b32 exec_lo, exec_lo, s15
	s_and_saveexec_b32 s15, s23
	s_cbranch_execnz .LBB1966_598
.LBB1966_534:                           ;   in Loop: Header=BB1966_396 Depth=2
	s_or_b32 exec_lo, exec_lo, s15
	s_and_saveexec_b32 s15, s24
	s_cbranch_execnz .LBB1966_599
.LBB1966_535:                           ;   in Loop: Header=BB1966_396 Depth=2
	s_or_b32 exec_lo, exec_lo, s15
	s_and_saveexec_b32 s15, s25
	s_cbranch_execnz .LBB1966_600
.LBB1966_536:                           ;   in Loop: Header=BB1966_396 Depth=2
	s_or_b32 exec_lo, exec_lo, s15
	s_and_saveexec_b32 s15, s26
	s_cbranch_execnz .LBB1966_601
.LBB1966_537:                           ;   in Loop: Header=BB1966_396 Depth=2
	s_or_b32 exec_lo, exec_lo, s15
	s_and_saveexec_b32 s15, s27
	s_cbranch_execnz .LBB1966_602
.LBB1966_538:                           ;   in Loop: Header=BB1966_396 Depth=2
	s_or_b32 exec_lo, exec_lo, s15
	s_and_saveexec_b32 s15, s28
	s_cbranch_execnz .LBB1966_603
.LBB1966_539:                           ;   in Loop: Header=BB1966_396 Depth=2
	s_or_b32 exec_lo, exec_lo, s15
	s_and_saveexec_b32 s15, s29
	s_cbranch_execz .LBB1966_541
.LBB1966_540:                           ;   in Loop: Header=BB1966_396 Depth=2
	v_dual_lshlrev_b32 v60, 2, v123 :: v_dual_add_nc_u32 v61, v93, v94
	ds_load_b32 v63, v60
	ds_load_b64 v[60:61], v61 offset:31744
	s_wait_dscnt 0x1
	v_add_nc_u32_e32 v63, v63, v82
	s_wait_dscnt 0x0
	global_store_b64 v63, v[60:61], s[46:47] scale_offset
.LBB1966_541:                           ;   in Loop: Header=BB1966_396 Depth=2
	s_wait_xcnt 0x0
	s_or_b32 exec_lo, exec_lo, s15
	s_wait_storecnt 0x0
	s_barrier_signal -1
	s_barrier_wait -1
	s_and_saveexec_b32 s15, s0
	s_cbranch_execz .LBB1966_395
; %bb.542:                              ;   in Loop: Header=BB1966_396 Depth=2
	ds_load_b32 v60, v3
	s_wait_dscnt 0x0
	v_add_nc_u32_e32 v60, v60, v62
	ds_store_b32 v3, v60
	s_branch .LBB1966_395
.LBB1966_543:                           ;   in Loop: Header=BB1966_396 Depth=2
	ds_load_u16 v60, v93 offset:1024
	s_wait_dscnt 0x0
	v_cmp_ne_u16_e64 s15, 0x8000, v60
	s_delay_alu instid0(VALU_DEP_1) | instskip(SKIP_1) | instid1(VALU_DEP_2)
	v_cndmask_b32_e64 v61, 0x7fff, v60, s15
	v_cmp_gt_i16_e64 s15, 0, v60
	v_and_b32_e32 v61, 0xffff, v61
	s_delay_alu instid0(VALU_DEP_2) | instskip(NEXT) | instid1(VALU_DEP_1)
	v_cndmask_b32_e64 v140, 0x7fff, 0, s15
	v_dual_lshrrev_b32 v61, s48, v61 :: v_dual_bitop2_b32 v60, v140, v60 bitop3:0x14
	s_delay_alu instid0(VALU_DEP_1) | instskip(NEXT) | instid1(VALU_DEP_1)
	v_and_b32_e32 v61, s52, v61
	v_lshlrev_b32_e32 v61, 2, v61
	ds_load_b32 v61, v61
	s_wait_dscnt 0x0
	v_add_nc_u32_e32 v61, v61, v2
	global_store_b16 v61, v60, s[40:41] scale_offset
	s_wait_xcnt 0x0
	s_or_b32 exec_lo, exec_lo, s16
	v_cmp_lt_u32_e64 s15, v68, v139
	s_and_saveexec_b32 s17, s15
	s_cbranch_execz .LBB1966_476
.LBB1966_544:                           ;   in Loop: Header=BB1966_396 Depth=2
	ds_load_u16 v60, v93 offset:1536
	s_wait_dscnt 0x0
	v_cmp_ne_u16_e64 s16, 0x8000, v60
	s_delay_alu instid0(VALU_DEP_1) | instskip(SKIP_1) | instid1(VALU_DEP_2)
	v_cndmask_b32_e64 v61, 0x7fff, v60, s16
	v_cmp_gt_i16_e64 s16, 0, v60
	v_and_b32_e32 v61, 0xffff, v61
	s_delay_alu instid0(VALU_DEP_2) | instskip(NEXT) | instid1(VALU_DEP_1)
	v_cndmask_b32_e64 v140, 0x7fff, 0, s16
	v_dual_lshrrev_b32 v61, s48, v61 :: v_dual_bitop2_b32 v60, v140, v60 bitop3:0x14
	s_delay_alu instid0(VALU_DEP_1) | instskip(NEXT) | instid1(VALU_DEP_1)
	v_and_b32_e32 v61, s52, v61
	v_lshlrev_b32_e32 v61, 2, v61
	ds_load_b32 v61, v61
	s_wait_dscnt 0x0
	v_add_nc_u32_e32 v61, v61, v68
	global_store_b16 v61, v60, s[40:41] scale_offset
	s_wait_xcnt 0x0
	s_or_b32 exec_lo, exec_lo, s17
	v_cmp_lt_u32_e64 s16, v69, v139
	s_and_saveexec_b32 s18, s16
	s_cbranch_execz .LBB1966_477
.LBB1966_545:                           ;   in Loop: Header=BB1966_396 Depth=2
	ds_load_u16 v60, v93 offset:2048
	s_wait_dscnt 0x0
	v_cmp_ne_u16_e64 s17, 0x8000, v60
	s_delay_alu instid0(VALU_DEP_1) | instskip(SKIP_1) | instid1(VALU_DEP_2)
	v_cndmask_b32_e64 v61, 0x7fff, v60, s17
	v_cmp_gt_i16_e64 s17, 0, v60
	v_and_b32_e32 v61, 0xffff, v61
	s_delay_alu instid0(VALU_DEP_2) | instskip(NEXT) | instid1(VALU_DEP_1)
	v_cndmask_b32_e64 v140, 0x7fff, 0, s17
	v_dual_lshrrev_b32 v61, s48, v61 :: v_dual_bitop2_b32 v60, v140, v60 bitop3:0x14
	s_delay_alu instid0(VALU_DEP_1) | instskip(NEXT) | instid1(VALU_DEP_1)
	v_and_b32_e32 v61, s52, v61
	v_lshlrev_b32_e32 v61, 2, v61
	ds_load_b32 v61, v61
	s_wait_dscnt 0x0
	v_add_nc_u32_e32 v61, v61, v69
	global_store_b16 v61, v60, s[40:41] scale_offset
	s_wait_xcnt 0x0
	s_or_b32 exec_lo, exec_lo, s18
	v_cmp_lt_u32_e64 s17, v70, v139
	s_and_saveexec_b32 s19, s17
	s_cbranch_execz .LBB1966_478
.LBB1966_546:                           ;   in Loop: Header=BB1966_396 Depth=2
	ds_load_u16 v60, v93 offset:2560
	s_wait_dscnt 0x0
	v_cmp_ne_u16_e64 s18, 0x8000, v60
	s_delay_alu instid0(VALU_DEP_1) | instskip(SKIP_1) | instid1(VALU_DEP_2)
	v_cndmask_b32_e64 v61, 0x7fff, v60, s18
	v_cmp_gt_i16_e64 s18, 0, v60
	v_and_b32_e32 v61, 0xffff, v61
	s_delay_alu instid0(VALU_DEP_2) | instskip(NEXT) | instid1(VALU_DEP_1)
	v_cndmask_b32_e64 v140, 0x7fff, 0, s18
	v_dual_lshrrev_b32 v61, s48, v61 :: v_dual_bitop2_b32 v60, v140, v60 bitop3:0x14
	s_delay_alu instid0(VALU_DEP_1) | instskip(NEXT) | instid1(VALU_DEP_1)
	v_and_b32_e32 v61, s52, v61
	v_lshlrev_b32_e32 v61, 2, v61
	ds_load_b32 v61, v61
	s_wait_dscnt 0x0
	v_add_nc_u32_e32 v61, v61, v70
	global_store_b16 v61, v60, s[40:41] scale_offset
	s_wait_xcnt 0x0
	s_or_b32 exec_lo, exec_lo, s19
	v_cmp_lt_u32_e64 s18, v71, v139
	s_and_saveexec_b32 s20, s18
	s_cbranch_execz .LBB1966_479
.LBB1966_547:                           ;   in Loop: Header=BB1966_396 Depth=2
	ds_load_u16 v60, v93 offset:3072
	s_wait_dscnt 0x0
	v_cmp_ne_u16_e64 s19, 0x8000, v60
	s_delay_alu instid0(VALU_DEP_1) | instskip(SKIP_1) | instid1(VALU_DEP_2)
	v_cndmask_b32_e64 v61, 0x7fff, v60, s19
	v_cmp_gt_i16_e64 s19, 0, v60
	v_and_b32_e32 v61, 0xffff, v61
	s_delay_alu instid0(VALU_DEP_2) | instskip(NEXT) | instid1(VALU_DEP_1)
	v_cndmask_b32_e64 v140, 0x7fff, 0, s19
	v_dual_lshrrev_b32 v61, s48, v61 :: v_dual_bitop2_b32 v60, v140, v60 bitop3:0x14
	s_delay_alu instid0(VALU_DEP_1) | instskip(NEXT) | instid1(VALU_DEP_1)
	v_and_b32_e32 v61, s52, v61
	v_lshlrev_b32_e32 v61, 2, v61
	ds_load_b32 v61, v61
	s_wait_dscnt 0x0
	v_add_nc_u32_e32 v61, v61, v71
	global_store_b16 v61, v60, s[40:41] scale_offset
	s_wait_xcnt 0x0
	s_or_b32 exec_lo, exec_lo, s20
	v_cmp_lt_u32_e64 s19, v72, v139
	s_and_saveexec_b32 s21, s19
	s_cbranch_execz .LBB1966_480
.LBB1966_548:                           ;   in Loop: Header=BB1966_396 Depth=2
	ds_load_u16 v60, v93 offset:3584
	s_wait_dscnt 0x0
	v_cmp_ne_u16_e64 s20, 0x8000, v60
	s_delay_alu instid0(VALU_DEP_1) | instskip(SKIP_1) | instid1(VALU_DEP_2)
	v_cndmask_b32_e64 v61, 0x7fff, v60, s20
	v_cmp_gt_i16_e64 s20, 0, v60
	v_and_b32_e32 v61, 0xffff, v61
	s_delay_alu instid0(VALU_DEP_2) | instskip(NEXT) | instid1(VALU_DEP_1)
	v_cndmask_b32_e64 v140, 0x7fff, 0, s20
	v_dual_lshrrev_b32 v61, s48, v61 :: v_dual_bitop2_b32 v60, v140, v60 bitop3:0x14
	s_delay_alu instid0(VALU_DEP_1) | instskip(NEXT) | instid1(VALU_DEP_1)
	v_and_b32_e32 v61, s52, v61
	v_lshlrev_b32_e32 v61, 2, v61
	ds_load_b32 v61, v61
	s_wait_dscnt 0x0
	v_add_nc_u32_e32 v61, v61, v72
	global_store_b16 v61, v60, s[40:41] scale_offset
	s_wait_xcnt 0x0
	s_or_b32 exec_lo, exec_lo, s21
	v_cmp_lt_u32_e64 s20, v73, v139
	s_and_saveexec_b32 s22, s20
	s_cbranch_execz .LBB1966_481
.LBB1966_549:                           ;   in Loop: Header=BB1966_396 Depth=2
	ds_load_u16 v60, v93 offset:4096
	s_wait_dscnt 0x0
	v_cmp_ne_u16_e64 s21, 0x8000, v60
	s_delay_alu instid0(VALU_DEP_1) | instskip(SKIP_1) | instid1(VALU_DEP_2)
	v_cndmask_b32_e64 v61, 0x7fff, v60, s21
	v_cmp_gt_i16_e64 s21, 0, v60
	v_and_b32_e32 v61, 0xffff, v61
	s_delay_alu instid0(VALU_DEP_2) | instskip(NEXT) | instid1(VALU_DEP_1)
	v_cndmask_b32_e64 v140, 0x7fff, 0, s21
	v_dual_lshrrev_b32 v61, s48, v61 :: v_dual_bitop2_b32 v60, v140, v60 bitop3:0x14
	s_delay_alu instid0(VALU_DEP_1) | instskip(NEXT) | instid1(VALU_DEP_1)
	v_and_b32_e32 v61, s52, v61
	v_lshlrev_b32_e32 v61, 2, v61
	ds_load_b32 v61, v61
	s_wait_dscnt 0x0
	v_add_nc_u32_e32 v61, v61, v73
	global_store_b16 v61, v60, s[40:41] scale_offset
	s_wait_xcnt 0x0
	s_or_b32 exec_lo, exec_lo, s22
	v_cmp_lt_u32_e64 s21, v74, v139
	s_and_saveexec_b32 s23, s21
	s_cbranch_execz .LBB1966_482
.LBB1966_550:                           ;   in Loop: Header=BB1966_396 Depth=2
	ds_load_u16 v60, v93 offset:4608
	s_wait_dscnt 0x0
	v_cmp_ne_u16_e64 s22, 0x8000, v60
	s_delay_alu instid0(VALU_DEP_1) | instskip(SKIP_1) | instid1(VALU_DEP_2)
	v_cndmask_b32_e64 v61, 0x7fff, v60, s22
	v_cmp_gt_i16_e64 s22, 0, v60
	v_and_b32_e32 v61, 0xffff, v61
	s_delay_alu instid0(VALU_DEP_2) | instskip(NEXT) | instid1(VALU_DEP_1)
	v_cndmask_b32_e64 v140, 0x7fff, 0, s22
	v_dual_lshrrev_b32 v61, s48, v61 :: v_dual_bitop2_b32 v60, v140, v60 bitop3:0x14
	s_delay_alu instid0(VALU_DEP_1) | instskip(NEXT) | instid1(VALU_DEP_1)
	v_and_b32_e32 v61, s52, v61
	v_lshlrev_b32_e32 v61, 2, v61
	ds_load_b32 v61, v61
	s_wait_dscnt 0x0
	v_add_nc_u32_e32 v61, v61, v74
	global_store_b16 v61, v60, s[40:41] scale_offset
	s_wait_xcnt 0x0
	s_or_b32 exec_lo, exec_lo, s23
	v_cmp_lt_u32_e64 s22, v75, v139
	s_and_saveexec_b32 s24, s22
	s_cbranch_execz .LBB1966_483
.LBB1966_551:                           ;   in Loop: Header=BB1966_396 Depth=2
	ds_load_u16 v60, v93 offset:5120
	s_wait_dscnt 0x0
	v_cmp_ne_u16_e64 s23, 0x8000, v60
	s_delay_alu instid0(VALU_DEP_1) | instskip(SKIP_1) | instid1(VALU_DEP_2)
	v_cndmask_b32_e64 v61, 0x7fff, v60, s23
	v_cmp_gt_i16_e64 s23, 0, v60
	v_and_b32_e32 v61, 0xffff, v61
	s_delay_alu instid0(VALU_DEP_2) | instskip(NEXT) | instid1(VALU_DEP_1)
	v_cndmask_b32_e64 v140, 0x7fff, 0, s23
	v_dual_lshrrev_b32 v61, s48, v61 :: v_dual_bitop2_b32 v60, v140, v60 bitop3:0x14
	s_delay_alu instid0(VALU_DEP_1) | instskip(NEXT) | instid1(VALU_DEP_1)
	v_and_b32_e32 v61, s52, v61
	v_lshlrev_b32_e32 v61, 2, v61
	ds_load_b32 v61, v61
	s_wait_dscnt 0x0
	v_add_nc_u32_e32 v61, v61, v75
	global_store_b16 v61, v60, s[40:41] scale_offset
	s_wait_xcnt 0x0
	s_or_b32 exec_lo, exec_lo, s24
	v_cmp_lt_u32_e64 s23, v76, v139
	s_and_saveexec_b32 s25, s23
	s_cbranch_execz .LBB1966_484
.LBB1966_552:                           ;   in Loop: Header=BB1966_396 Depth=2
	ds_load_u16 v60, v93 offset:5632
	s_wait_dscnt 0x0
	v_cmp_ne_u16_e64 s24, 0x8000, v60
	s_delay_alu instid0(VALU_DEP_1) | instskip(SKIP_1) | instid1(VALU_DEP_2)
	v_cndmask_b32_e64 v61, 0x7fff, v60, s24
	v_cmp_gt_i16_e64 s24, 0, v60
	v_and_b32_e32 v61, 0xffff, v61
	s_delay_alu instid0(VALU_DEP_2) | instskip(NEXT) | instid1(VALU_DEP_1)
	v_cndmask_b32_e64 v140, 0x7fff, 0, s24
	v_dual_lshrrev_b32 v61, s48, v61 :: v_dual_bitop2_b32 v60, v140, v60 bitop3:0x14
	s_delay_alu instid0(VALU_DEP_1) | instskip(NEXT) | instid1(VALU_DEP_1)
	v_and_b32_e32 v61, s52, v61
	v_lshlrev_b32_e32 v61, 2, v61
	ds_load_b32 v61, v61
	s_wait_dscnt 0x0
	v_add_nc_u32_e32 v61, v61, v76
	global_store_b16 v61, v60, s[40:41] scale_offset
	s_wait_xcnt 0x0
	s_or_b32 exec_lo, exec_lo, s25
	v_cmp_lt_u32_e64 s24, v77, v139
	s_and_saveexec_b32 s26, s24
	s_cbranch_execz .LBB1966_485
.LBB1966_553:                           ;   in Loop: Header=BB1966_396 Depth=2
	ds_load_u16 v60, v93 offset:6144
	s_wait_dscnt 0x0
	v_cmp_ne_u16_e64 s25, 0x8000, v60
	s_delay_alu instid0(VALU_DEP_1) | instskip(SKIP_1) | instid1(VALU_DEP_2)
	v_cndmask_b32_e64 v61, 0x7fff, v60, s25
	v_cmp_gt_i16_e64 s25, 0, v60
	v_and_b32_e32 v61, 0xffff, v61
	s_delay_alu instid0(VALU_DEP_2) | instskip(NEXT) | instid1(VALU_DEP_1)
	v_cndmask_b32_e64 v140, 0x7fff, 0, s25
	v_dual_lshrrev_b32 v61, s48, v61 :: v_dual_bitop2_b32 v60, v140, v60 bitop3:0x14
	s_delay_alu instid0(VALU_DEP_1) | instskip(NEXT) | instid1(VALU_DEP_1)
	v_and_b32_e32 v61, s52, v61
	v_lshlrev_b32_e32 v61, 2, v61
	ds_load_b32 v61, v61
	s_wait_dscnt 0x0
	v_add_nc_u32_e32 v61, v61, v77
	global_store_b16 v61, v60, s[40:41] scale_offset
	s_wait_xcnt 0x0
	s_or_b32 exec_lo, exec_lo, s26
	v_cmp_lt_u32_e64 s25, v78, v139
	s_and_saveexec_b32 s27, s25
	s_cbranch_execz .LBB1966_486
.LBB1966_554:                           ;   in Loop: Header=BB1966_396 Depth=2
	ds_load_u16 v60, v93 offset:6656
	s_wait_dscnt 0x0
	v_cmp_ne_u16_e64 s26, 0x8000, v60
	s_delay_alu instid0(VALU_DEP_1) | instskip(SKIP_1) | instid1(VALU_DEP_2)
	v_cndmask_b32_e64 v61, 0x7fff, v60, s26
	v_cmp_gt_i16_e64 s26, 0, v60
	v_and_b32_e32 v61, 0xffff, v61
	s_delay_alu instid0(VALU_DEP_2) | instskip(NEXT) | instid1(VALU_DEP_1)
	v_cndmask_b32_e64 v140, 0x7fff, 0, s26
	v_dual_lshrrev_b32 v61, s48, v61 :: v_dual_bitop2_b32 v60, v140, v60 bitop3:0x14
	s_delay_alu instid0(VALU_DEP_1) | instskip(NEXT) | instid1(VALU_DEP_1)
	v_and_b32_e32 v61, s52, v61
	v_lshlrev_b32_e32 v61, 2, v61
	ds_load_b32 v61, v61
	s_wait_dscnt 0x0
	v_add_nc_u32_e32 v61, v61, v78
	global_store_b16 v61, v60, s[40:41] scale_offset
	s_wait_xcnt 0x0
	s_or_b32 exec_lo, exec_lo, s27
	v_cmp_lt_u32_e64 s26, v79, v139
	s_and_saveexec_b32 s28, s26
	s_cbranch_execz .LBB1966_487
.LBB1966_555:                           ;   in Loop: Header=BB1966_396 Depth=2
	ds_load_u16 v60, v93 offset:7168
	s_wait_dscnt 0x0
	v_cmp_ne_u16_e64 s27, 0x8000, v60
	s_delay_alu instid0(VALU_DEP_1) | instskip(SKIP_1) | instid1(VALU_DEP_2)
	v_cndmask_b32_e64 v61, 0x7fff, v60, s27
	v_cmp_gt_i16_e64 s27, 0, v60
	v_and_b32_e32 v61, 0xffff, v61
	s_delay_alu instid0(VALU_DEP_2) | instskip(NEXT) | instid1(VALU_DEP_1)
	v_cndmask_b32_e64 v140, 0x7fff, 0, s27
	v_dual_lshrrev_b32 v61, s48, v61 :: v_dual_bitop2_b32 v60, v140, v60 bitop3:0x14
	s_delay_alu instid0(VALU_DEP_1) | instskip(NEXT) | instid1(VALU_DEP_1)
	v_and_b32_e32 v61, s52, v61
	v_lshlrev_b32_e32 v61, 2, v61
	ds_load_b32 v61, v61
	s_wait_dscnt 0x0
	v_add_nc_u32_e32 v61, v61, v79
	global_store_b16 v61, v60, s[40:41] scale_offset
	s_wait_xcnt 0x0
	s_or_b32 exec_lo, exec_lo, s28
	v_cmp_lt_u32_e64 s27, v80, v139
	s_and_saveexec_b32 s29, s27
	s_cbranch_execz .LBB1966_488
.LBB1966_556:                           ;   in Loop: Header=BB1966_396 Depth=2
	ds_load_u16 v60, v93 offset:7680
	s_wait_dscnt 0x0
	v_cmp_ne_u16_e64 s28, 0x8000, v60
	s_delay_alu instid0(VALU_DEP_1) | instskip(SKIP_1) | instid1(VALU_DEP_2)
	v_cndmask_b32_e64 v61, 0x7fff, v60, s28
	v_cmp_gt_i16_e64 s28, 0, v60
	v_and_b32_e32 v61, 0xffff, v61
	s_delay_alu instid0(VALU_DEP_2) | instskip(NEXT) | instid1(VALU_DEP_1)
	v_cndmask_b32_e64 v140, 0x7fff, 0, s28
	v_dual_lshrrev_b32 v61, s48, v61 :: v_dual_bitop2_b32 v60, v140, v60 bitop3:0x14
	s_delay_alu instid0(VALU_DEP_1) | instskip(NEXT) | instid1(VALU_DEP_1)
	v_and_b32_e32 v61, s52, v61
	v_lshlrev_b32_e32 v61, 2, v61
	ds_load_b32 v61, v61
	s_wait_dscnt 0x0
	v_add_nc_u32_e32 v61, v61, v80
	global_store_b16 v61, v60, s[40:41] scale_offset
	s_wait_xcnt 0x0
	s_or_b32 exec_lo, exec_lo, s29
	v_cmp_lt_u32_e64 s28, v81, v139
	s_and_saveexec_b32 s30, s28
	s_cbranch_execz .LBB1966_489
.LBB1966_557:                           ;   in Loop: Header=BB1966_396 Depth=2
	ds_load_u16 v60, v93 offset:8192
	s_wait_dscnt 0x0
	v_cmp_ne_u16_e64 s29, 0x8000, v60
	s_delay_alu instid0(VALU_DEP_1) | instskip(SKIP_1) | instid1(VALU_DEP_2)
	v_cndmask_b32_e64 v61, 0x7fff, v60, s29
	v_cmp_gt_i16_e64 s29, 0, v60
	v_and_b32_e32 v61, 0xffff, v61
	s_delay_alu instid0(VALU_DEP_2) | instskip(NEXT) | instid1(VALU_DEP_1)
	v_cndmask_b32_e64 v140, 0x7fff, 0, s29
	v_dual_lshrrev_b32 v61, s48, v61 :: v_dual_bitop2_b32 v60, v140, v60 bitop3:0x14
	s_delay_alu instid0(VALU_DEP_1) | instskip(NEXT) | instid1(VALU_DEP_1)
	v_and_b32_e32 v61, s52, v61
	v_lshlrev_b32_e32 v61, 2, v61
	ds_load_b32 v61, v61
	s_wait_dscnt 0x0
	v_add_nc_u32_e32 v61, v61, v81
	global_store_b16 v61, v60, s[40:41] scale_offset
	s_wait_xcnt 0x0
	s_or_b32 exec_lo, exec_lo, s30
	v_cmp_lt_u32_e64 s29, v82, v139
	s_and_saveexec_b32 s58, s29
	s_cbranch_execnz .LBB1966_490
	s_branch .LBB1966_491
.LBB1966_558:                           ;   in Loop: Header=BB1966_396 Depth=2
	global_load_b64 v[58:59], v[60:61], off
	s_wait_xcnt 0x0
	s_or_b32 exec_lo, exec_lo, s30
	s_delay_alu instid0(SALU_CYCLE_1)
	s_mov_b32 s42, exec_lo
	v_cmpx_lt_u32_e64 v103, v139
	s_cbranch_execz .LBB1966_493
.LBB1966_559:                           ;   in Loop: Header=BB1966_396 Depth=2
	global_load_b64 v[56:57], v[60:61], off offset:256
	s_wait_xcnt 0x0
	s_or_b32 exec_lo, exec_lo, s42
	s_delay_alu instid0(SALU_CYCLE_1)
	s_mov_b32 s42, exec_lo
	v_cmpx_lt_u32_e64 v104, v139
	s_cbranch_execz .LBB1966_494
.LBB1966_560:                           ;   in Loop: Header=BB1966_396 Depth=2
	global_load_b64 v[54:55], v[60:61], off offset:512
	s_wait_xcnt 0x0
	s_or_b32 exec_lo, exec_lo, s42
	s_delay_alu instid0(SALU_CYCLE_1)
	s_mov_b32 s42, exec_lo
	v_cmpx_lt_u32_e64 v105, v139
	s_cbranch_execz .LBB1966_495
.LBB1966_561:                           ;   in Loop: Header=BB1966_396 Depth=2
	global_load_b64 v[52:53], v[60:61], off offset:768
	s_wait_xcnt 0x0
	s_or_b32 exec_lo, exec_lo, s42
	s_delay_alu instid0(SALU_CYCLE_1)
	s_mov_b32 s42, exec_lo
	v_cmpx_lt_u32_e64 v106, v139
	s_cbranch_execz .LBB1966_496
.LBB1966_562:                           ;   in Loop: Header=BB1966_396 Depth=2
	global_load_b64 v[50:51], v[60:61], off offset:1024
	s_wait_xcnt 0x0
	s_or_b32 exec_lo, exec_lo, s42
	s_delay_alu instid0(SALU_CYCLE_1)
	s_mov_b32 s42, exec_lo
	v_cmpx_lt_u32_e64 v107, v139
	s_cbranch_execz .LBB1966_497
.LBB1966_563:                           ;   in Loop: Header=BB1966_396 Depth=2
	global_load_b64 v[48:49], v[60:61], off offset:1280
	s_wait_xcnt 0x0
	s_or_b32 exec_lo, exec_lo, s42
	s_delay_alu instid0(SALU_CYCLE_1)
	s_mov_b32 s42, exec_lo
	v_cmpx_lt_u32_e64 v108, v139
	s_cbranch_execz .LBB1966_498
.LBB1966_564:                           ;   in Loop: Header=BB1966_396 Depth=2
	global_load_b64 v[46:47], v[60:61], off offset:1536
	s_wait_xcnt 0x0
	s_or_b32 exec_lo, exec_lo, s42
	s_delay_alu instid0(SALU_CYCLE_1)
	s_mov_b32 s42, exec_lo
	v_cmpx_lt_u32_e64 v109, v139
	s_cbranch_execz .LBB1966_499
.LBB1966_565:                           ;   in Loop: Header=BB1966_396 Depth=2
	global_load_b64 v[44:45], v[60:61], off offset:1792
	s_wait_xcnt 0x0
	s_or_b32 exec_lo, exec_lo, s42
	s_delay_alu instid0(SALU_CYCLE_1)
	s_mov_b32 s42, exec_lo
	v_cmpx_lt_u32_e64 v110, v139
	s_cbranch_execz .LBB1966_500
.LBB1966_566:                           ;   in Loop: Header=BB1966_396 Depth=2
	global_load_b64 v[42:43], v[60:61], off offset:2048
	s_wait_xcnt 0x0
	s_or_b32 exec_lo, exec_lo, s42
	s_delay_alu instid0(SALU_CYCLE_1)
	s_mov_b32 s42, exec_lo
	v_cmpx_lt_u32_e64 v111, v139
	s_cbranch_execz .LBB1966_501
.LBB1966_567:                           ;   in Loop: Header=BB1966_396 Depth=2
	global_load_b64 v[40:41], v[60:61], off offset:2304
	s_wait_xcnt 0x0
	s_or_b32 exec_lo, exec_lo, s42
	s_delay_alu instid0(SALU_CYCLE_1)
	s_mov_b32 s42, exec_lo
	v_cmpx_lt_u32_e64 v112, v139
	s_cbranch_execz .LBB1966_502
.LBB1966_568:                           ;   in Loop: Header=BB1966_396 Depth=2
	global_load_b64 v[38:39], v[60:61], off offset:2560
	s_wait_xcnt 0x0
	s_or_b32 exec_lo, exec_lo, s42
	s_delay_alu instid0(SALU_CYCLE_1)
	s_mov_b32 s42, exec_lo
	v_cmpx_lt_u32_e64 v113, v139
	s_cbranch_execz .LBB1966_503
.LBB1966_569:                           ;   in Loop: Header=BB1966_396 Depth=2
	global_load_b64 v[36:37], v[60:61], off offset:2816
	s_wait_xcnt 0x0
	s_or_b32 exec_lo, exec_lo, s42
	s_delay_alu instid0(SALU_CYCLE_1)
	s_mov_b32 s42, exec_lo
	v_cmpx_lt_u32_e64 v114, v139
	s_cbranch_execz .LBB1966_504
.LBB1966_570:                           ;   in Loop: Header=BB1966_396 Depth=2
	global_load_b64 v[34:35], v[60:61], off offset:3072
	s_wait_xcnt 0x0
	s_or_b32 exec_lo, exec_lo, s42
	s_delay_alu instid0(SALU_CYCLE_1)
	s_mov_b32 s42, exec_lo
	v_cmpx_lt_u32_e64 v115, v139
	s_cbranch_execz .LBB1966_505
.LBB1966_571:                           ;   in Loop: Header=BB1966_396 Depth=2
	global_load_b64 v[32:33], v[60:61], off offset:3328
	s_wait_xcnt 0x0
	s_or_b32 exec_lo, exec_lo, s42
	s_delay_alu instid0(SALU_CYCLE_1)
	s_mov_b32 s42, exec_lo
	v_cmpx_lt_u32_e64 v116, v139
	s_cbranch_execz .LBB1966_506
.LBB1966_572:                           ;   in Loop: Header=BB1966_396 Depth=2
	global_load_b64 v[30:31], v[60:61], off offset:3584
	s_wait_xcnt 0x0
	s_or_b32 exec_lo, exec_lo, s42
	s_delay_alu instid0(SALU_CYCLE_1)
	s_mov_b32 s42, exec_lo
	v_cmpx_lt_u32_e64 v117, v139
	s_cbranch_execz .LBB1966_507
.LBB1966_573:                           ;   in Loop: Header=BB1966_396 Depth=2
	global_load_b64 v[28:29], v[60:61], off offset:3840
	s_wait_xcnt 0x0
	s_or_b32 exec_lo, exec_lo, s42
	s_and_saveexec_b32 s42, vcc_lo
	s_cbranch_execz .LBB1966_508
.LBB1966_574:                           ;   in Loop: Header=BB1966_396 Depth=2
	ds_load_u16 v60, v93 offset:1024
	s_wait_dscnt 0x0
	v_cmp_ne_u16_e64 s30, 0x8000, v60
	s_delay_alu instid0(VALU_DEP_1) | instskip(NEXT) | instid1(VALU_DEP_1)
	v_cndmask_b32_e64 v60, 0x7fff, v60, s30
	v_and_b32_e32 v60, 0xffff, v60
	s_delay_alu instid0(VALU_DEP_1) | instskip(NEXT) | instid1(VALU_DEP_1)
	v_lshrrev_b32_e32 v60, s48, v60
	v_and_b32_e32 v138, s52, v60
	s_or_b32 exec_lo, exec_lo, s42
	s_and_saveexec_b32 s42, s15
	s_cbranch_execz .LBB1966_509
.LBB1966_575:                           ;   in Loop: Header=BB1966_396 Depth=2
	ds_load_u16 v60, v93 offset:1536
	s_wait_dscnt 0x0
	v_cmp_ne_u16_e64 s30, 0x8000, v60
	s_delay_alu instid0(VALU_DEP_1) | instskip(NEXT) | instid1(VALU_DEP_1)
	v_cndmask_b32_e64 v60, 0x7fff, v60, s30
	v_and_b32_e32 v60, 0xffff, v60
	s_delay_alu instid0(VALU_DEP_1) | instskip(NEXT) | instid1(VALU_DEP_1)
	v_lshrrev_b32_e32 v60, s48, v60
	v_and_b32_e32 v137, s52, v60
	s_or_b32 exec_lo, exec_lo, s42
	s_and_saveexec_b32 s42, s16
	s_cbranch_execz .LBB1966_510
.LBB1966_576:                           ;   in Loop: Header=BB1966_396 Depth=2
	ds_load_u16 v60, v93 offset:2048
	s_wait_dscnt 0x0
	v_cmp_ne_u16_e64 s30, 0x8000, v60
	s_delay_alu instid0(VALU_DEP_1) | instskip(NEXT) | instid1(VALU_DEP_1)
	v_cndmask_b32_e64 v60, 0x7fff, v60, s30
	v_and_b32_e32 v60, 0xffff, v60
	s_delay_alu instid0(VALU_DEP_1) | instskip(NEXT) | instid1(VALU_DEP_1)
	v_lshrrev_b32_e32 v60, s48, v60
	v_and_b32_e32 v136, s52, v60
	s_or_b32 exec_lo, exec_lo, s42
	s_and_saveexec_b32 s42, s17
	s_cbranch_execz .LBB1966_511
.LBB1966_577:                           ;   in Loop: Header=BB1966_396 Depth=2
	ds_load_u16 v60, v93 offset:2560
	s_wait_dscnt 0x0
	v_cmp_ne_u16_e64 s30, 0x8000, v60
	s_delay_alu instid0(VALU_DEP_1) | instskip(NEXT) | instid1(VALU_DEP_1)
	v_cndmask_b32_e64 v60, 0x7fff, v60, s30
	v_and_b32_e32 v60, 0xffff, v60
	s_delay_alu instid0(VALU_DEP_1) | instskip(NEXT) | instid1(VALU_DEP_1)
	v_lshrrev_b32_e32 v60, s48, v60
	v_and_b32_e32 v135, s52, v60
	s_or_b32 exec_lo, exec_lo, s42
	s_and_saveexec_b32 s42, s18
	s_cbranch_execz .LBB1966_512
.LBB1966_578:                           ;   in Loop: Header=BB1966_396 Depth=2
	ds_load_u16 v60, v93 offset:3072
	s_wait_dscnt 0x0
	v_cmp_ne_u16_e64 s30, 0x8000, v60
	s_delay_alu instid0(VALU_DEP_1) | instskip(NEXT) | instid1(VALU_DEP_1)
	v_cndmask_b32_e64 v60, 0x7fff, v60, s30
	v_and_b32_e32 v60, 0xffff, v60
	s_delay_alu instid0(VALU_DEP_1) | instskip(NEXT) | instid1(VALU_DEP_1)
	v_lshrrev_b32_e32 v60, s48, v60
	v_and_b32_e32 v134, s52, v60
	s_or_b32 exec_lo, exec_lo, s42
	s_and_saveexec_b32 s42, s19
	s_cbranch_execz .LBB1966_513
.LBB1966_579:                           ;   in Loop: Header=BB1966_396 Depth=2
	ds_load_u16 v60, v93 offset:3584
	s_wait_dscnt 0x0
	v_cmp_ne_u16_e64 s30, 0x8000, v60
	s_delay_alu instid0(VALU_DEP_1) | instskip(NEXT) | instid1(VALU_DEP_1)
	v_cndmask_b32_e64 v60, 0x7fff, v60, s30
	v_and_b32_e32 v60, 0xffff, v60
	s_delay_alu instid0(VALU_DEP_1) | instskip(NEXT) | instid1(VALU_DEP_1)
	v_lshrrev_b32_e32 v60, s48, v60
	v_and_b32_e32 v133, s52, v60
	s_or_b32 exec_lo, exec_lo, s42
	s_and_saveexec_b32 s42, s20
	s_cbranch_execz .LBB1966_514
.LBB1966_580:                           ;   in Loop: Header=BB1966_396 Depth=2
	ds_load_u16 v60, v93 offset:4096
	s_wait_dscnt 0x0
	v_cmp_ne_u16_e64 s30, 0x8000, v60
	s_delay_alu instid0(VALU_DEP_1) | instskip(NEXT) | instid1(VALU_DEP_1)
	v_cndmask_b32_e64 v60, 0x7fff, v60, s30
	v_and_b32_e32 v60, 0xffff, v60
	s_delay_alu instid0(VALU_DEP_1) | instskip(NEXT) | instid1(VALU_DEP_1)
	v_lshrrev_b32_e32 v60, s48, v60
	v_and_b32_e32 v132, s52, v60
	s_or_b32 exec_lo, exec_lo, s42
	s_and_saveexec_b32 s42, s21
	s_cbranch_execz .LBB1966_515
.LBB1966_581:                           ;   in Loop: Header=BB1966_396 Depth=2
	ds_load_u16 v60, v93 offset:4608
	s_wait_dscnt 0x0
	v_cmp_ne_u16_e64 s30, 0x8000, v60
	s_delay_alu instid0(VALU_DEP_1) | instskip(NEXT) | instid1(VALU_DEP_1)
	v_cndmask_b32_e64 v60, 0x7fff, v60, s30
	v_and_b32_e32 v60, 0xffff, v60
	s_delay_alu instid0(VALU_DEP_1) | instskip(NEXT) | instid1(VALU_DEP_1)
	v_lshrrev_b32_e32 v60, s48, v60
	v_and_b32_e32 v131, s52, v60
	s_or_b32 exec_lo, exec_lo, s42
	s_and_saveexec_b32 s42, s22
	s_cbranch_execz .LBB1966_516
.LBB1966_582:                           ;   in Loop: Header=BB1966_396 Depth=2
	ds_load_u16 v60, v93 offset:5120
	s_wait_dscnt 0x0
	v_cmp_ne_u16_e64 s30, 0x8000, v60
	s_delay_alu instid0(VALU_DEP_1) | instskip(NEXT) | instid1(VALU_DEP_1)
	v_cndmask_b32_e64 v60, 0x7fff, v60, s30
	v_and_b32_e32 v60, 0xffff, v60
	s_delay_alu instid0(VALU_DEP_1) | instskip(NEXT) | instid1(VALU_DEP_1)
	v_lshrrev_b32_e32 v60, s48, v60
	v_and_b32_e32 v130, s52, v60
	s_or_b32 exec_lo, exec_lo, s42
	s_and_saveexec_b32 s42, s23
	s_cbranch_execz .LBB1966_517
.LBB1966_583:                           ;   in Loop: Header=BB1966_396 Depth=2
	ds_load_u16 v60, v93 offset:5632
	s_wait_dscnt 0x0
	v_cmp_ne_u16_e64 s30, 0x8000, v60
	s_delay_alu instid0(VALU_DEP_1) | instskip(NEXT) | instid1(VALU_DEP_1)
	v_cndmask_b32_e64 v60, 0x7fff, v60, s30
	v_and_b32_e32 v60, 0xffff, v60
	s_delay_alu instid0(VALU_DEP_1) | instskip(NEXT) | instid1(VALU_DEP_1)
	v_lshrrev_b32_e32 v60, s48, v60
	v_and_b32_e32 v129, s52, v60
	s_or_b32 exec_lo, exec_lo, s42
	s_and_saveexec_b32 s42, s24
	s_cbranch_execz .LBB1966_518
.LBB1966_584:                           ;   in Loop: Header=BB1966_396 Depth=2
	ds_load_u16 v60, v93 offset:6144
	s_wait_dscnt 0x0
	v_cmp_ne_u16_e64 s30, 0x8000, v60
	s_delay_alu instid0(VALU_DEP_1) | instskip(NEXT) | instid1(VALU_DEP_1)
	v_cndmask_b32_e64 v60, 0x7fff, v60, s30
	v_and_b32_e32 v60, 0xffff, v60
	s_delay_alu instid0(VALU_DEP_1) | instskip(NEXT) | instid1(VALU_DEP_1)
	v_lshrrev_b32_e32 v60, s48, v60
	v_and_b32_e32 v128, s52, v60
	s_or_b32 exec_lo, exec_lo, s42
	s_and_saveexec_b32 s42, s25
	s_cbranch_execz .LBB1966_519
.LBB1966_585:                           ;   in Loop: Header=BB1966_396 Depth=2
	ds_load_u16 v60, v93 offset:6656
	s_wait_dscnt 0x0
	v_cmp_ne_u16_e64 s30, 0x8000, v60
	s_delay_alu instid0(VALU_DEP_1) | instskip(NEXT) | instid1(VALU_DEP_1)
	v_cndmask_b32_e64 v60, 0x7fff, v60, s30
	v_and_b32_e32 v60, 0xffff, v60
	s_delay_alu instid0(VALU_DEP_1) | instskip(NEXT) | instid1(VALU_DEP_1)
	v_lshrrev_b32_e32 v60, s48, v60
	v_and_b32_e32 v127, s52, v60
	s_or_b32 exec_lo, exec_lo, s42
	s_and_saveexec_b32 s42, s26
	s_cbranch_execz .LBB1966_520
.LBB1966_586:                           ;   in Loop: Header=BB1966_396 Depth=2
	ds_load_u16 v60, v93 offset:7168
	s_wait_dscnt 0x0
	v_cmp_ne_u16_e64 s30, 0x8000, v60
	s_delay_alu instid0(VALU_DEP_1) | instskip(NEXT) | instid1(VALU_DEP_1)
	v_cndmask_b32_e64 v60, 0x7fff, v60, s30
	v_and_b32_e32 v60, 0xffff, v60
	s_delay_alu instid0(VALU_DEP_1) | instskip(NEXT) | instid1(VALU_DEP_1)
	v_lshrrev_b32_e32 v60, s48, v60
	v_and_b32_e32 v126, s52, v60
	s_or_b32 exec_lo, exec_lo, s42
	s_and_saveexec_b32 s42, s27
	s_cbranch_execz .LBB1966_521
.LBB1966_587:                           ;   in Loop: Header=BB1966_396 Depth=2
	ds_load_u16 v60, v93 offset:7680
	s_wait_dscnt 0x0
	v_cmp_ne_u16_e64 s30, 0x8000, v60
	s_delay_alu instid0(VALU_DEP_1) | instskip(NEXT) | instid1(VALU_DEP_1)
	v_cndmask_b32_e64 v60, 0x7fff, v60, s30
	v_and_b32_e32 v60, 0xffff, v60
	s_delay_alu instid0(VALU_DEP_1) | instskip(NEXT) | instid1(VALU_DEP_1)
	v_lshrrev_b32_e32 v60, s48, v60
	v_and_b32_e32 v125, s52, v60
	s_or_b32 exec_lo, exec_lo, s42
	s_and_saveexec_b32 s42, s28
	s_cbranch_execz .LBB1966_522
.LBB1966_588:                           ;   in Loop: Header=BB1966_396 Depth=2
	ds_load_u16 v60, v93 offset:8192
	s_wait_dscnt 0x0
	v_cmp_ne_u16_e64 s30, 0x8000, v60
	s_delay_alu instid0(VALU_DEP_1) | instskip(NEXT) | instid1(VALU_DEP_1)
	v_cndmask_b32_e64 v60, 0x7fff, v60, s30
	v_and_b32_e32 v60, 0xffff, v60
	s_delay_alu instid0(VALU_DEP_1) | instskip(NEXT) | instid1(VALU_DEP_1)
	v_lshrrev_b32_e32 v60, s48, v60
	v_and_b32_e32 v124, s52, v60
	s_or_b32 exec_lo, exec_lo, s42
	s_and_saveexec_b32 s42, s29
	s_cbranch_execnz .LBB1966_523
	s_branch .LBB1966_524
.LBB1966_589:                           ;   in Loop: Header=BB1966_396 Depth=2
	v_lshlrev_b32_e32 v60, 2, v138
	v_add_nc_u32_e32 v61, v93, v94
	ds_load_b32 v63, v60
	ds_load_b64 v[60:61], v61 offset:1024
	s_wait_dscnt 0x1
	v_add_nc_u32_e32 v63, v63, v2
	s_wait_dscnt 0x0
	global_store_b64 v63, v[60:61], s[46:47] scale_offset
	s_wait_xcnt 0x0
	s_or_b32 exec_lo, exec_lo, s30
	s_and_saveexec_b32 s30, s15
	s_cbranch_execz .LBB1966_526
.LBB1966_590:                           ;   in Loop: Header=BB1966_396 Depth=2
	v_dual_lshlrev_b32 v60, 2, v137 :: v_dual_add_nc_u32 v61, v93, v94
	ds_load_b32 v63, v60
	ds_load_b64 v[60:61], v61 offset:3072
	s_wait_dscnt 0x1
	v_add_nc_u32_e32 v63, v63, v68
	s_wait_dscnt 0x0
	global_store_b64 v63, v[60:61], s[46:47] scale_offset
	s_wait_xcnt 0x0
	s_or_b32 exec_lo, exec_lo, s30
	s_and_saveexec_b32 s15, s16
	s_cbranch_execz .LBB1966_527
.LBB1966_591:                           ;   in Loop: Header=BB1966_396 Depth=2
	v_dual_lshlrev_b32 v60, 2, v136 :: v_dual_add_nc_u32 v61, v93, v94
	ds_load_b32 v63, v60
	ds_load_b64 v[60:61], v61 offset:5120
	s_wait_dscnt 0x1
	v_add_nc_u32_e32 v63, v63, v69
	s_wait_dscnt 0x0
	global_store_b64 v63, v[60:61], s[46:47] scale_offset
	s_wait_xcnt 0x0
	s_or_b32 exec_lo, exec_lo, s15
	s_and_saveexec_b32 s15, s17
	s_cbranch_execz .LBB1966_528
.LBB1966_592:                           ;   in Loop: Header=BB1966_396 Depth=2
	v_dual_lshlrev_b32 v60, 2, v135 :: v_dual_add_nc_u32 v61, v93, v94
	ds_load_b32 v63, v60
	ds_load_b64 v[60:61], v61 offset:7168
	s_wait_dscnt 0x1
	v_add_nc_u32_e32 v63, v63, v70
	s_wait_dscnt 0x0
	global_store_b64 v63, v[60:61], s[46:47] scale_offset
	s_wait_xcnt 0x0
	s_or_b32 exec_lo, exec_lo, s15
	s_and_saveexec_b32 s15, s18
	s_cbranch_execz .LBB1966_529
.LBB1966_593:                           ;   in Loop: Header=BB1966_396 Depth=2
	v_lshlrev_b32_e32 v60, 2, v134
	v_add_nc_u32_e32 v61, v93, v94
	ds_load_b32 v63, v60
	ds_load_b64 v[60:61], v61 offset:9216
	s_wait_dscnt 0x1
	v_add_nc_u32_e32 v63, v63, v71
	s_wait_dscnt 0x0
	global_store_b64 v63, v[60:61], s[46:47] scale_offset
	s_wait_xcnt 0x0
	s_or_b32 exec_lo, exec_lo, s15
	s_and_saveexec_b32 s15, s19
	s_cbranch_execz .LBB1966_530
.LBB1966_594:                           ;   in Loop: Header=BB1966_396 Depth=2
	v_dual_lshlrev_b32 v60, 2, v133 :: v_dual_add_nc_u32 v61, v93, v94
	ds_load_b32 v63, v60
	ds_load_b64 v[60:61], v61 offset:11264
	s_wait_dscnt 0x1
	v_add_nc_u32_e32 v63, v63, v72
	s_wait_dscnt 0x0
	global_store_b64 v63, v[60:61], s[46:47] scale_offset
	s_wait_xcnt 0x0
	s_or_b32 exec_lo, exec_lo, s15
	s_and_saveexec_b32 s15, s20
	s_cbranch_execz .LBB1966_531
.LBB1966_595:                           ;   in Loop: Header=BB1966_396 Depth=2
	v_dual_lshlrev_b32 v60, 2, v132 :: v_dual_add_nc_u32 v61, v93, v94
	ds_load_b32 v63, v60
	ds_load_b64 v[60:61], v61 offset:13312
	s_wait_dscnt 0x1
	v_add_nc_u32_e32 v63, v63, v73
	s_wait_dscnt 0x0
	global_store_b64 v63, v[60:61], s[46:47] scale_offset
	s_wait_xcnt 0x0
	s_or_b32 exec_lo, exec_lo, s15
	s_and_saveexec_b32 s15, s21
	s_cbranch_execz .LBB1966_532
.LBB1966_596:                           ;   in Loop: Header=BB1966_396 Depth=2
	v_dual_lshlrev_b32 v60, 2, v131 :: v_dual_add_nc_u32 v61, v93, v94
	ds_load_b32 v63, v60
	ds_load_b64 v[60:61], v61 offset:15360
	s_wait_dscnt 0x1
	v_add_nc_u32_e32 v63, v63, v74
	s_wait_dscnt 0x0
	global_store_b64 v63, v[60:61], s[46:47] scale_offset
	s_wait_xcnt 0x0
	s_or_b32 exec_lo, exec_lo, s15
	s_and_saveexec_b32 s15, s22
	s_cbranch_execz .LBB1966_533
.LBB1966_597:                           ;   in Loop: Header=BB1966_396 Depth=2
	v_lshlrev_b32_e32 v60, 2, v130
	v_add_nc_u32_e32 v61, v93, v94
	ds_load_b32 v63, v60
	ds_load_b64 v[60:61], v61 offset:17408
	s_wait_dscnt 0x1
	v_add_nc_u32_e32 v63, v63, v75
	s_wait_dscnt 0x0
	global_store_b64 v63, v[60:61], s[46:47] scale_offset
	s_wait_xcnt 0x0
	s_or_b32 exec_lo, exec_lo, s15
	s_and_saveexec_b32 s15, s23
	s_cbranch_execz .LBB1966_534
.LBB1966_598:                           ;   in Loop: Header=BB1966_396 Depth=2
	v_dual_lshlrev_b32 v60, 2, v129 :: v_dual_add_nc_u32 v61, v93, v94
	ds_load_b32 v63, v60
	ds_load_b64 v[60:61], v61 offset:19456
	s_wait_dscnt 0x1
	v_add_nc_u32_e32 v63, v63, v76
	s_wait_dscnt 0x0
	global_store_b64 v63, v[60:61], s[46:47] scale_offset
	s_wait_xcnt 0x0
	s_or_b32 exec_lo, exec_lo, s15
	s_and_saveexec_b32 s15, s24
	s_cbranch_execz .LBB1966_535
.LBB1966_599:                           ;   in Loop: Header=BB1966_396 Depth=2
	v_dual_lshlrev_b32 v60, 2, v128 :: v_dual_add_nc_u32 v61, v93, v94
	ds_load_b32 v63, v60
	ds_load_b64 v[60:61], v61 offset:21504
	s_wait_dscnt 0x1
	v_add_nc_u32_e32 v63, v63, v77
	s_wait_dscnt 0x0
	global_store_b64 v63, v[60:61], s[46:47] scale_offset
	s_wait_xcnt 0x0
	s_or_b32 exec_lo, exec_lo, s15
	s_and_saveexec_b32 s15, s25
	s_cbranch_execz .LBB1966_536
.LBB1966_600:                           ;   in Loop: Header=BB1966_396 Depth=2
	v_dual_lshlrev_b32 v60, 2, v127 :: v_dual_add_nc_u32 v61, v93, v94
	ds_load_b32 v63, v60
	ds_load_b64 v[60:61], v61 offset:23552
	s_wait_dscnt 0x1
	v_add_nc_u32_e32 v63, v63, v78
	s_wait_dscnt 0x0
	global_store_b64 v63, v[60:61], s[46:47] scale_offset
	s_wait_xcnt 0x0
	s_or_b32 exec_lo, exec_lo, s15
	s_and_saveexec_b32 s15, s26
	s_cbranch_execz .LBB1966_537
.LBB1966_601:                           ;   in Loop: Header=BB1966_396 Depth=2
	v_lshlrev_b32_e32 v60, 2, v126
	v_add_nc_u32_e32 v61, v93, v94
	ds_load_b32 v63, v60
	ds_load_b64 v[60:61], v61 offset:25600
	s_wait_dscnt 0x1
	v_add_nc_u32_e32 v63, v63, v79
	s_wait_dscnt 0x0
	global_store_b64 v63, v[60:61], s[46:47] scale_offset
	s_wait_xcnt 0x0
	s_or_b32 exec_lo, exec_lo, s15
	s_and_saveexec_b32 s15, s27
	s_cbranch_execz .LBB1966_538
.LBB1966_602:                           ;   in Loop: Header=BB1966_396 Depth=2
	v_dual_lshlrev_b32 v60, 2, v125 :: v_dual_add_nc_u32 v61, v93, v94
	ds_load_b32 v63, v60
	ds_load_b64 v[60:61], v61 offset:27648
	s_wait_dscnt 0x1
	v_add_nc_u32_e32 v63, v63, v80
	s_wait_dscnt 0x0
	global_store_b64 v63, v[60:61], s[46:47] scale_offset
	s_wait_xcnt 0x0
	s_or_b32 exec_lo, exec_lo, s15
	s_and_saveexec_b32 s15, s28
	s_cbranch_execz .LBB1966_539
.LBB1966_603:                           ;   in Loop: Header=BB1966_396 Depth=2
	v_dual_lshlrev_b32 v60, 2, v124 :: v_dual_add_nc_u32 v61, v93, v94
	ds_load_b32 v63, v60
	ds_load_b64 v[60:61], v61 offset:29696
	s_wait_dscnt 0x1
	v_add_nc_u32_e32 v63, v63, v81
	s_wait_dscnt 0x0
	global_store_b64 v63, v[60:61], s[46:47] scale_offset
	s_wait_xcnt 0x0
	s_or_b32 exec_lo, exec_lo, s15
	s_and_saveexec_b32 s15, s29
	s_cbranch_execnz .LBB1966_540
	s_branch .LBB1966_541
.LBB1966_604:                           ;   in Loop: Header=BB1966_20 Depth=1
	s_wait_dscnt 0x0
	s_barrier_signal -1
	s_barrier_wait -1
.LBB1966_605:                           ;   in Loop: Header=BB1966_20 Depth=1
	s_mov_b32 s7, 0
.LBB1966_606:                           ;   in Loop: Header=BB1966_20 Depth=1
	s_delay_alu instid0(SALU_CYCLE_1)
	s_and_not1_b32 vcc_lo, exec_lo, s7
	s_cbranch_vccnz .LBB1966_19
; %bb.607:                              ;   in Loop: Header=BB1966_20 Depth=1
	s_and_b32 vcc_lo, exec_lo, s55
	s_mov_b32 s7, -1
	s_cbranch_vccz .LBB1966_899
; %bb.608:                              ;   in Loop: Header=BB1966_20 Depth=1
	s_mov_b32 s7, s56
	s_mov_b32 s42, s54
	s_barrier_signal -1
	s_barrier_wait -1
                                        ; implicit-def: $vgpr23
                                        ; implicit-def: $vgpr24
                                        ; implicit-def: $vgpr25
                                        ; implicit-def: $vgpr26
                                        ; implicit-def: $vgpr27
                                        ; implicit-def: $vgpr28
                                        ; implicit-def: $vgpr29
                                        ; implicit-def: $vgpr30
                                        ; implicit-def: $vgpr31
                                        ; implicit-def: $vgpr32
                                        ; implicit-def: $vgpr33
                                        ; implicit-def: $vgpr34
                                        ; implicit-def: $vgpr35
                                        ; implicit-def: $vgpr36
                                        ; implicit-def: $vgpr37
                                        ; implicit-def: $vgpr38
	s_branch .LBB1966_610
.LBB1966_609:                           ;   in Loop: Header=BB1966_610 Depth=2
	s_or_b32 exec_lo, exec_lo, s8
	s_addk_co_i32 s7, 0xf000
	s_cmp_ge_u32 s10, s51
	s_mov_b32 s42, s10
	s_cbranch_scc1 .LBB1966_678
.LBB1966_610:                           ;   Parent Loop BB1966_20 Depth=1
                                        ; =>  This Inner Loop Header: Depth=2
	s_add_co_i32 s10, s42, 0x1000
	s_mov_b32 s8, -1
	s_cmp_gt_u32 s10, s51
                                        ; implicit-def: $vgpr39
                                        ; implicit-def: $vgpr40
                                        ; implicit-def: $vgpr41
                                        ; implicit-def: $vgpr42
                                        ; implicit-def: $vgpr43
                                        ; implicit-def: $vgpr44
                                        ; implicit-def: $vgpr45
                                        ; implicit-def: $vgpr46
                                        ; implicit-def: $vgpr47
                                        ; implicit-def: $vgpr48
                                        ; implicit-def: $vgpr49
                                        ; implicit-def: $vgpr50
                                        ; implicit-def: $vgpr51
                                        ; implicit-def: $vgpr52
                                        ; implicit-def: $vgpr53
                                        ; implicit-def: $vgpr54
	s_cbranch_scc1 .LBB1966_612
; %bb.611:                              ;   in Loop: Header=BB1966_610 Depth=2
	v_lshl_add_u64 v[54:55], s[42:43], 1, v[16:17]
	s_mov_b32 s8, 0
	s_clause 0xf
	global_load_u16 v39, v[54:55], off
	global_load_u16 v40, v[54:55], off offset:512
	global_load_u16 v41, v[54:55], off offset:1024
	;; [unrolled: 1-line block ×15, first 2 shown]
.LBB1966_612:                           ;   in Loop: Header=BB1966_610 Depth=2
	s_and_not1_b32 vcc_lo, exec_lo, s8
	s_movk_i32 s8, 0x1000
	s_cbranch_vccnz .LBB1966_631
; %bb.613:                              ;   in Loop: Header=BB1966_610 Depth=2
	s_lshl_b64 s[8:9], s[42:43], 1
	s_mov_b32 s11, exec_lo
	s_add_nc_u64 s[8:9], s[36:37], s[8:9]
	s_wait_xcnt 0x0
	v_cmpx_gt_u32_e64 s7, v2
	s_cbranch_execnz .LBB1966_663
; %bb.614:                              ;   in Loop: Header=BB1966_610 Depth=2
	s_or_b32 exec_lo, exec_lo, s11
	s_delay_alu instid0(SALU_CYCLE_1)
	s_mov_b32 s11, exec_lo
	v_cmpx_gt_u32_e64 s7, v68
	s_cbranch_execnz .LBB1966_664
.LBB1966_615:                           ;   in Loop: Header=BB1966_610 Depth=2
	s_or_b32 exec_lo, exec_lo, s11
	s_delay_alu instid0(SALU_CYCLE_1)
	s_mov_b32 s11, exec_lo
	v_cmpx_gt_u32_e64 s7, v69
	s_cbranch_execnz .LBB1966_665
.LBB1966_616:                           ;   in Loop: Header=BB1966_610 Depth=2
	s_or_b32 exec_lo, exec_lo, s11
	s_delay_alu instid0(SALU_CYCLE_1)
	s_mov_b32 s11, exec_lo
	v_cmpx_gt_u32_e64 s7, v70
	s_cbranch_execnz .LBB1966_666
.LBB1966_617:                           ;   in Loop: Header=BB1966_610 Depth=2
	s_or_b32 exec_lo, exec_lo, s11
	s_delay_alu instid0(SALU_CYCLE_1)
	s_mov_b32 s11, exec_lo
	v_cmpx_gt_u32_e64 s7, v71
	s_cbranch_execnz .LBB1966_667
.LBB1966_618:                           ;   in Loop: Header=BB1966_610 Depth=2
	s_or_b32 exec_lo, exec_lo, s11
	s_delay_alu instid0(SALU_CYCLE_1)
	s_mov_b32 s11, exec_lo
	v_cmpx_gt_u32_e64 s7, v72
	s_cbranch_execnz .LBB1966_668
.LBB1966_619:                           ;   in Loop: Header=BB1966_610 Depth=2
	s_or_b32 exec_lo, exec_lo, s11
	s_delay_alu instid0(SALU_CYCLE_1)
	s_mov_b32 s11, exec_lo
	v_cmpx_gt_u32_e64 s7, v73
	s_cbranch_execnz .LBB1966_669
.LBB1966_620:                           ;   in Loop: Header=BB1966_610 Depth=2
	s_or_b32 exec_lo, exec_lo, s11
	s_delay_alu instid0(SALU_CYCLE_1)
	s_mov_b32 s11, exec_lo
	v_cmpx_gt_u32_e64 s7, v74
	s_cbranch_execnz .LBB1966_670
.LBB1966_621:                           ;   in Loop: Header=BB1966_610 Depth=2
	s_or_b32 exec_lo, exec_lo, s11
	s_delay_alu instid0(SALU_CYCLE_1)
	s_mov_b32 s11, exec_lo
	v_cmpx_gt_u32_e64 s7, v75
	s_cbranch_execnz .LBB1966_671
.LBB1966_622:                           ;   in Loop: Header=BB1966_610 Depth=2
	s_or_b32 exec_lo, exec_lo, s11
	s_delay_alu instid0(SALU_CYCLE_1)
	s_mov_b32 s11, exec_lo
	v_cmpx_gt_u32_e64 s7, v76
	s_cbranch_execnz .LBB1966_672
.LBB1966_623:                           ;   in Loop: Header=BB1966_610 Depth=2
	s_or_b32 exec_lo, exec_lo, s11
	s_delay_alu instid0(SALU_CYCLE_1)
	s_mov_b32 s11, exec_lo
	v_cmpx_gt_u32_e64 s7, v77
	s_cbranch_execnz .LBB1966_673
.LBB1966_624:                           ;   in Loop: Header=BB1966_610 Depth=2
	s_or_b32 exec_lo, exec_lo, s11
	s_delay_alu instid0(SALU_CYCLE_1)
	s_mov_b32 s11, exec_lo
	v_cmpx_gt_u32_e64 s7, v78
	s_cbranch_execnz .LBB1966_674
.LBB1966_625:                           ;   in Loop: Header=BB1966_610 Depth=2
	s_or_b32 exec_lo, exec_lo, s11
	s_delay_alu instid0(SALU_CYCLE_1)
	s_mov_b32 s11, exec_lo
	v_cmpx_gt_u32_e64 s7, v79
	s_cbranch_execnz .LBB1966_675
.LBB1966_626:                           ;   in Loop: Header=BB1966_610 Depth=2
	s_or_b32 exec_lo, exec_lo, s11
	s_delay_alu instid0(SALU_CYCLE_1)
	s_mov_b32 s11, exec_lo
	v_cmpx_gt_u32_e64 s7, v80
	s_cbranch_execnz .LBB1966_676
.LBB1966_627:                           ;   in Loop: Header=BB1966_610 Depth=2
	s_or_b32 exec_lo, exec_lo, s11
	s_delay_alu instid0(SALU_CYCLE_1)
	s_mov_b32 s11, exec_lo
	v_cmpx_gt_u32_e64 s7, v81
	s_cbranch_execnz .LBB1966_677
.LBB1966_628:                           ;   in Loop: Header=BB1966_610 Depth=2
	s_or_b32 exec_lo, exec_lo, s11
	s_delay_alu instid0(SALU_CYCLE_1)
	s_mov_b32 s11, exec_lo
	v_cmpx_gt_u32_e64 s7, v82
	s_cbranch_execz .LBB1966_630
.LBB1966_629:                           ;   in Loop: Header=BB1966_610 Depth=2
	global_load_u16 v23, v2, s[8:9] offset:7680 scale_offset
.LBB1966_630:                           ;   in Loop: Header=BB1966_610 Depth=2
	s_wait_xcnt 0x0
	s_or_b32 exec_lo, exec_lo, s11
	s_wait_loadcnt 0x0
	v_dual_mov_b32 v39, v38 :: v_dual_mov_b32 v40, v37
	v_dual_mov_b32 v41, v36 :: v_dual_mov_b32 v42, v35
	;; [unrolled: 1-line block ×8, first 2 shown]
	s_mov_b32 s8, s7
.LBB1966_631:                           ;   in Loop: Header=BB1966_610 Depth=2
	s_wait_loadcnt 0x0
	s_delay_alu instid0(VALU_DEP_1)
	v_dual_mov_b32 v23, v54 :: v_dual_mov_b32 v24, v53
	v_dual_mov_b32 v25, v52 :: v_dual_mov_b32 v26, v51
	;; [unrolled: 1-line block ×8, first 2 shown]
	s_mov_b32 s9, exec_lo
	s_wait_xcnt 0x0
	v_cmpx_gt_u32_e64 s8, v2
	s_cbranch_execnz .LBB1966_647
; %bb.632:                              ;   in Loop: Header=BB1966_610 Depth=2
	s_or_b32 exec_lo, exec_lo, s9
	s_delay_alu instid0(SALU_CYCLE_1)
	s_mov_b32 s9, exec_lo
	v_cmpx_gt_u32_e64 s8, v68
	s_cbranch_execnz .LBB1966_648
.LBB1966_633:                           ;   in Loop: Header=BB1966_610 Depth=2
	s_or_b32 exec_lo, exec_lo, s9
	s_delay_alu instid0(SALU_CYCLE_1)
	s_mov_b32 s9, exec_lo
	v_cmpx_gt_u32_e64 s8, v69
	s_cbranch_execnz .LBB1966_649
.LBB1966_634:                           ;   in Loop: Header=BB1966_610 Depth=2
	s_or_b32 exec_lo, exec_lo, s9
	s_delay_alu instid0(SALU_CYCLE_1)
	s_mov_b32 s9, exec_lo
	v_cmpx_gt_u32_e64 s8, v70
	s_cbranch_execnz .LBB1966_650
.LBB1966_635:                           ;   in Loop: Header=BB1966_610 Depth=2
	s_or_b32 exec_lo, exec_lo, s9
	s_delay_alu instid0(SALU_CYCLE_1)
	s_mov_b32 s9, exec_lo
	v_cmpx_gt_u32_e64 s8, v71
	s_cbranch_execnz .LBB1966_651
.LBB1966_636:                           ;   in Loop: Header=BB1966_610 Depth=2
	s_or_b32 exec_lo, exec_lo, s9
	s_delay_alu instid0(SALU_CYCLE_1)
	s_mov_b32 s9, exec_lo
	v_cmpx_gt_u32_e64 s8, v72
	s_cbranch_execnz .LBB1966_652
.LBB1966_637:                           ;   in Loop: Header=BB1966_610 Depth=2
	s_or_b32 exec_lo, exec_lo, s9
	s_delay_alu instid0(SALU_CYCLE_1)
	s_mov_b32 s9, exec_lo
	v_cmpx_gt_u32_e64 s8, v73
	s_cbranch_execnz .LBB1966_653
.LBB1966_638:                           ;   in Loop: Header=BB1966_610 Depth=2
	s_or_b32 exec_lo, exec_lo, s9
	s_delay_alu instid0(SALU_CYCLE_1)
	s_mov_b32 s9, exec_lo
	v_cmpx_gt_u32_e64 s8, v74
	s_cbranch_execnz .LBB1966_654
.LBB1966_639:                           ;   in Loop: Header=BB1966_610 Depth=2
	s_or_b32 exec_lo, exec_lo, s9
	s_delay_alu instid0(SALU_CYCLE_1)
	s_mov_b32 s9, exec_lo
	v_cmpx_gt_u32_e64 s8, v75
	s_cbranch_execnz .LBB1966_655
.LBB1966_640:                           ;   in Loop: Header=BB1966_610 Depth=2
	s_or_b32 exec_lo, exec_lo, s9
	s_delay_alu instid0(SALU_CYCLE_1)
	s_mov_b32 s9, exec_lo
	v_cmpx_gt_u32_e64 s8, v76
	s_cbranch_execnz .LBB1966_656
.LBB1966_641:                           ;   in Loop: Header=BB1966_610 Depth=2
	s_or_b32 exec_lo, exec_lo, s9
	s_delay_alu instid0(SALU_CYCLE_1)
	s_mov_b32 s9, exec_lo
	v_cmpx_gt_u32_e64 s8, v77
	s_cbranch_execnz .LBB1966_657
.LBB1966_642:                           ;   in Loop: Header=BB1966_610 Depth=2
	s_or_b32 exec_lo, exec_lo, s9
	s_delay_alu instid0(SALU_CYCLE_1)
	s_mov_b32 s9, exec_lo
	v_cmpx_gt_u32_e64 s8, v78
	s_cbranch_execnz .LBB1966_658
.LBB1966_643:                           ;   in Loop: Header=BB1966_610 Depth=2
	s_or_b32 exec_lo, exec_lo, s9
	s_delay_alu instid0(SALU_CYCLE_1)
	s_mov_b32 s9, exec_lo
	v_cmpx_gt_u32_e64 s8, v79
	s_cbranch_execnz .LBB1966_659
.LBB1966_644:                           ;   in Loop: Header=BB1966_610 Depth=2
	s_or_b32 exec_lo, exec_lo, s9
	s_delay_alu instid0(SALU_CYCLE_1)
	s_mov_b32 s9, exec_lo
	v_cmpx_gt_u32_e64 s8, v80
	s_cbranch_execnz .LBB1966_660
.LBB1966_645:                           ;   in Loop: Header=BB1966_610 Depth=2
	s_or_b32 exec_lo, exec_lo, s9
	s_delay_alu instid0(SALU_CYCLE_1)
	s_mov_b32 s9, exec_lo
	v_cmpx_gt_u32_e64 s8, v81
	s_cbranch_execnz .LBB1966_661
.LBB1966_646:                           ;   in Loop: Header=BB1966_610 Depth=2
	s_or_b32 exec_lo, exec_lo, s9
	v_cmp_gt_u32_e32 vcc_lo, s8, v82
	s_and_saveexec_b32 s8, vcc_lo
	s_cbranch_execz .LBB1966_609
	s_branch .LBB1966_662
.LBB1966_647:                           ;   in Loop: Header=BB1966_610 Depth=2
	v_cmp_gt_i16_e32 vcc_lo, 0, v38
	v_cndmask_b32_e64 v39, 0x7fff, 0, vcc_lo
	s_delay_alu instid0(VALU_DEP_1) | instskip(NEXT) | instid1(VALU_DEP_1)
	v_xor_b32_e32 v39, v39, v38
	v_cmp_ne_u16_e32 vcc_lo, 0x8000, v39
	v_cndmask_b32_e32 v39, 0x7fff, v39, vcc_lo
	s_delay_alu instid0(VALU_DEP_1) | instskip(NEXT) | instid1(VALU_DEP_1)
	v_and_b32_e32 v39, 0xffff, v39
	v_lshrrev_b32_e32 v39, s49, v39
	s_delay_alu instid0(VALU_DEP_1) | instskip(NEXT) | instid1(VALU_DEP_1)
	v_and_b32_e32 v39, s52, v39
	v_lshl_or_b32 v39, v39, 4, v83
	ds_add_u32 v39, v96
	s_or_b32 exec_lo, exec_lo, s9
	s_delay_alu instid0(SALU_CYCLE_1)
	s_mov_b32 s9, exec_lo
	v_cmpx_gt_u32_e64 s8, v68
	s_cbranch_execz .LBB1966_633
.LBB1966_648:                           ;   in Loop: Header=BB1966_610 Depth=2
	v_cmp_gt_i16_e32 vcc_lo, 0, v37
	v_cndmask_b32_e64 v39, 0x7fff, 0, vcc_lo
	s_delay_alu instid0(VALU_DEP_1) | instskip(NEXT) | instid1(VALU_DEP_1)
	v_xor_b32_e32 v39, v39, v37
	v_cmp_ne_u16_e32 vcc_lo, 0x8000, v39
	v_cndmask_b32_e32 v39, 0x7fff, v39, vcc_lo
	s_delay_alu instid0(VALU_DEP_1) | instskip(NEXT) | instid1(VALU_DEP_1)
	v_and_b32_e32 v39, 0xffff, v39
	v_lshrrev_b32_e32 v39, s49, v39
	s_delay_alu instid0(VALU_DEP_1) | instskip(NEXT) | instid1(VALU_DEP_1)
	v_and_b32_e32 v39, s52, v39
	v_lshl_or_b32 v39, v39, 4, v83
	ds_add_u32 v39, v96
	s_or_b32 exec_lo, exec_lo, s9
	s_delay_alu instid0(SALU_CYCLE_1)
	s_mov_b32 s9, exec_lo
	v_cmpx_gt_u32_e64 s8, v69
	s_cbranch_execz .LBB1966_634
.LBB1966_649:                           ;   in Loop: Header=BB1966_610 Depth=2
	v_cmp_gt_i16_e32 vcc_lo, 0, v36
	v_cndmask_b32_e64 v39, 0x7fff, 0, vcc_lo
	s_delay_alu instid0(VALU_DEP_1) | instskip(NEXT) | instid1(VALU_DEP_1)
	v_xor_b32_e32 v39, v39, v36
	v_cmp_ne_u16_e32 vcc_lo, 0x8000, v39
	v_cndmask_b32_e32 v39, 0x7fff, v39, vcc_lo
	s_delay_alu instid0(VALU_DEP_1) | instskip(NEXT) | instid1(VALU_DEP_1)
	v_and_b32_e32 v39, 0xffff, v39
	v_lshrrev_b32_e32 v39, s49, v39
	s_delay_alu instid0(VALU_DEP_1) | instskip(NEXT) | instid1(VALU_DEP_1)
	v_and_b32_e32 v39, s52, v39
	v_lshl_or_b32 v39, v39, 4, v83
	ds_add_u32 v39, v96
	s_or_b32 exec_lo, exec_lo, s9
	s_delay_alu instid0(SALU_CYCLE_1)
	s_mov_b32 s9, exec_lo
	v_cmpx_gt_u32_e64 s8, v70
	s_cbranch_execz .LBB1966_635
.LBB1966_650:                           ;   in Loop: Header=BB1966_610 Depth=2
	v_cmp_gt_i16_e32 vcc_lo, 0, v35
	v_cndmask_b32_e64 v39, 0x7fff, 0, vcc_lo
	s_delay_alu instid0(VALU_DEP_1) | instskip(NEXT) | instid1(VALU_DEP_1)
	v_xor_b32_e32 v39, v39, v35
	v_cmp_ne_u16_e32 vcc_lo, 0x8000, v39
	v_cndmask_b32_e32 v39, 0x7fff, v39, vcc_lo
	s_delay_alu instid0(VALU_DEP_1) | instskip(NEXT) | instid1(VALU_DEP_1)
	v_and_b32_e32 v39, 0xffff, v39
	v_lshrrev_b32_e32 v39, s49, v39
	s_delay_alu instid0(VALU_DEP_1) | instskip(NEXT) | instid1(VALU_DEP_1)
	v_and_b32_e32 v39, s52, v39
	v_lshl_or_b32 v39, v39, 4, v83
	ds_add_u32 v39, v96
	s_or_b32 exec_lo, exec_lo, s9
	s_delay_alu instid0(SALU_CYCLE_1)
	s_mov_b32 s9, exec_lo
	v_cmpx_gt_u32_e64 s8, v71
	s_cbranch_execz .LBB1966_636
.LBB1966_651:                           ;   in Loop: Header=BB1966_610 Depth=2
	v_cmp_gt_i16_e32 vcc_lo, 0, v34
	v_cndmask_b32_e64 v39, 0x7fff, 0, vcc_lo
	s_delay_alu instid0(VALU_DEP_1) | instskip(NEXT) | instid1(VALU_DEP_1)
	v_xor_b32_e32 v39, v39, v34
	v_cmp_ne_u16_e32 vcc_lo, 0x8000, v39
	v_cndmask_b32_e32 v39, 0x7fff, v39, vcc_lo
	s_delay_alu instid0(VALU_DEP_1) | instskip(NEXT) | instid1(VALU_DEP_1)
	v_and_b32_e32 v39, 0xffff, v39
	v_lshrrev_b32_e32 v39, s49, v39
	s_delay_alu instid0(VALU_DEP_1) | instskip(NEXT) | instid1(VALU_DEP_1)
	v_and_b32_e32 v39, s52, v39
	v_lshl_or_b32 v39, v39, 4, v83
	ds_add_u32 v39, v96
	s_or_b32 exec_lo, exec_lo, s9
	s_delay_alu instid0(SALU_CYCLE_1)
	s_mov_b32 s9, exec_lo
	v_cmpx_gt_u32_e64 s8, v72
	s_cbranch_execz .LBB1966_637
.LBB1966_652:                           ;   in Loop: Header=BB1966_610 Depth=2
	v_cmp_gt_i16_e32 vcc_lo, 0, v33
	v_cndmask_b32_e64 v39, 0x7fff, 0, vcc_lo
	s_delay_alu instid0(VALU_DEP_1) | instskip(NEXT) | instid1(VALU_DEP_1)
	v_xor_b32_e32 v39, v39, v33
	v_cmp_ne_u16_e32 vcc_lo, 0x8000, v39
	v_cndmask_b32_e32 v39, 0x7fff, v39, vcc_lo
	s_delay_alu instid0(VALU_DEP_1) | instskip(NEXT) | instid1(VALU_DEP_1)
	v_and_b32_e32 v39, 0xffff, v39
	v_lshrrev_b32_e32 v39, s49, v39
	s_delay_alu instid0(VALU_DEP_1) | instskip(NEXT) | instid1(VALU_DEP_1)
	v_and_b32_e32 v39, s52, v39
	v_lshl_or_b32 v39, v39, 4, v83
	ds_add_u32 v39, v96
	s_or_b32 exec_lo, exec_lo, s9
	s_delay_alu instid0(SALU_CYCLE_1)
	s_mov_b32 s9, exec_lo
	v_cmpx_gt_u32_e64 s8, v73
	s_cbranch_execz .LBB1966_638
.LBB1966_653:                           ;   in Loop: Header=BB1966_610 Depth=2
	v_cmp_gt_i16_e32 vcc_lo, 0, v32
	v_cndmask_b32_e64 v39, 0x7fff, 0, vcc_lo
	s_delay_alu instid0(VALU_DEP_1) | instskip(NEXT) | instid1(VALU_DEP_1)
	v_xor_b32_e32 v39, v39, v32
	v_cmp_ne_u16_e32 vcc_lo, 0x8000, v39
	v_cndmask_b32_e32 v39, 0x7fff, v39, vcc_lo
	s_delay_alu instid0(VALU_DEP_1) | instskip(NEXT) | instid1(VALU_DEP_1)
	v_and_b32_e32 v39, 0xffff, v39
	v_lshrrev_b32_e32 v39, s49, v39
	s_delay_alu instid0(VALU_DEP_1) | instskip(NEXT) | instid1(VALU_DEP_1)
	v_and_b32_e32 v39, s52, v39
	v_lshl_or_b32 v39, v39, 4, v83
	ds_add_u32 v39, v96
	s_or_b32 exec_lo, exec_lo, s9
	s_delay_alu instid0(SALU_CYCLE_1)
	s_mov_b32 s9, exec_lo
	v_cmpx_gt_u32_e64 s8, v74
	s_cbranch_execz .LBB1966_639
.LBB1966_654:                           ;   in Loop: Header=BB1966_610 Depth=2
	v_cmp_gt_i16_e32 vcc_lo, 0, v31
	v_cndmask_b32_e64 v39, 0x7fff, 0, vcc_lo
	s_delay_alu instid0(VALU_DEP_1) | instskip(NEXT) | instid1(VALU_DEP_1)
	v_xor_b32_e32 v39, v39, v31
	v_cmp_ne_u16_e32 vcc_lo, 0x8000, v39
	v_cndmask_b32_e32 v39, 0x7fff, v39, vcc_lo
	s_delay_alu instid0(VALU_DEP_1) | instskip(NEXT) | instid1(VALU_DEP_1)
	v_and_b32_e32 v39, 0xffff, v39
	v_lshrrev_b32_e32 v39, s49, v39
	s_delay_alu instid0(VALU_DEP_1) | instskip(NEXT) | instid1(VALU_DEP_1)
	v_and_b32_e32 v39, s52, v39
	v_lshl_or_b32 v39, v39, 4, v83
	ds_add_u32 v39, v96
	s_or_b32 exec_lo, exec_lo, s9
	s_delay_alu instid0(SALU_CYCLE_1)
	s_mov_b32 s9, exec_lo
	v_cmpx_gt_u32_e64 s8, v75
	s_cbranch_execz .LBB1966_640
.LBB1966_655:                           ;   in Loop: Header=BB1966_610 Depth=2
	v_cmp_gt_i16_e32 vcc_lo, 0, v30
	v_cndmask_b32_e64 v39, 0x7fff, 0, vcc_lo
	s_delay_alu instid0(VALU_DEP_1) | instskip(NEXT) | instid1(VALU_DEP_1)
	v_xor_b32_e32 v39, v39, v30
	v_cmp_ne_u16_e32 vcc_lo, 0x8000, v39
	v_cndmask_b32_e32 v39, 0x7fff, v39, vcc_lo
	s_delay_alu instid0(VALU_DEP_1) | instskip(NEXT) | instid1(VALU_DEP_1)
	v_and_b32_e32 v39, 0xffff, v39
	v_lshrrev_b32_e32 v39, s49, v39
	s_delay_alu instid0(VALU_DEP_1) | instskip(NEXT) | instid1(VALU_DEP_1)
	v_and_b32_e32 v39, s52, v39
	v_lshl_or_b32 v39, v39, 4, v83
	ds_add_u32 v39, v96
	s_or_b32 exec_lo, exec_lo, s9
	s_delay_alu instid0(SALU_CYCLE_1)
	s_mov_b32 s9, exec_lo
	v_cmpx_gt_u32_e64 s8, v76
	s_cbranch_execz .LBB1966_641
.LBB1966_656:                           ;   in Loop: Header=BB1966_610 Depth=2
	v_cmp_gt_i16_e32 vcc_lo, 0, v29
	v_cndmask_b32_e64 v39, 0x7fff, 0, vcc_lo
	s_delay_alu instid0(VALU_DEP_1) | instskip(NEXT) | instid1(VALU_DEP_1)
	v_xor_b32_e32 v39, v39, v29
	v_cmp_ne_u16_e32 vcc_lo, 0x8000, v39
	v_cndmask_b32_e32 v39, 0x7fff, v39, vcc_lo
	s_delay_alu instid0(VALU_DEP_1) | instskip(NEXT) | instid1(VALU_DEP_1)
	v_and_b32_e32 v39, 0xffff, v39
	v_lshrrev_b32_e32 v39, s49, v39
	s_delay_alu instid0(VALU_DEP_1) | instskip(NEXT) | instid1(VALU_DEP_1)
	v_and_b32_e32 v39, s52, v39
	v_lshl_or_b32 v39, v39, 4, v83
	ds_add_u32 v39, v96
	s_or_b32 exec_lo, exec_lo, s9
	s_delay_alu instid0(SALU_CYCLE_1)
	s_mov_b32 s9, exec_lo
	v_cmpx_gt_u32_e64 s8, v77
	s_cbranch_execz .LBB1966_642
.LBB1966_657:                           ;   in Loop: Header=BB1966_610 Depth=2
	v_cmp_gt_i16_e32 vcc_lo, 0, v28
	v_cndmask_b32_e64 v39, 0x7fff, 0, vcc_lo
	s_delay_alu instid0(VALU_DEP_1) | instskip(NEXT) | instid1(VALU_DEP_1)
	v_xor_b32_e32 v39, v39, v28
	v_cmp_ne_u16_e32 vcc_lo, 0x8000, v39
	v_cndmask_b32_e32 v39, 0x7fff, v39, vcc_lo
	s_delay_alu instid0(VALU_DEP_1) | instskip(NEXT) | instid1(VALU_DEP_1)
	v_and_b32_e32 v39, 0xffff, v39
	v_lshrrev_b32_e32 v39, s49, v39
	s_delay_alu instid0(VALU_DEP_1) | instskip(NEXT) | instid1(VALU_DEP_1)
	v_and_b32_e32 v39, s52, v39
	v_lshl_or_b32 v39, v39, 4, v83
	ds_add_u32 v39, v96
	s_or_b32 exec_lo, exec_lo, s9
	s_delay_alu instid0(SALU_CYCLE_1)
	s_mov_b32 s9, exec_lo
	v_cmpx_gt_u32_e64 s8, v78
	s_cbranch_execz .LBB1966_643
.LBB1966_658:                           ;   in Loop: Header=BB1966_610 Depth=2
	v_cmp_gt_i16_e32 vcc_lo, 0, v27
	v_cndmask_b32_e64 v39, 0x7fff, 0, vcc_lo
	s_delay_alu instid0(VALU_DEP_1) | instskip(NEXT) | instid1(VALU_DEP_1)
	v_xor_b32_e32 v39, v39, v27
	v_cmp_ne_u16_e32 vcc_lo, 0x8000, v39
	v_cndmask_b32_e32 v39, 0x7fff, v39, vcc_lo
	s_delay_alu instid0(VALU_DEP_1) | instskip(NEXT) | instid1(VALU_DEP_1)
	v_and_b32_e32 v39, 0xffff, v39
	v_lshrrev_b32_e32 v39, s49, v39
	s_delay_alu instid0(VALU_DEP_1) | instskip(NEXT) | instid1(VALU_DEP_1)
	v_and_b32_e32 v39, s52, v39
	v_lshl_or_b32 v39, v39, 4, v83
	ds_add_u32 v39, v96
	s_or_b32 exec_lo, exec_lo, s9
	s_delay_alu instid0(SALU_CYCLE_1)
	s_mov_b32 s9, exec_lo
	v_cmpx_gt_u32_e64 s8, v79
	s_cbranch_execz .LBB1966_644
.LBB1966_659:                           ;   in Loop: Header=BB1966_610 Depth=2
	v_cmp_gt_i16_e32 vcc_lo, 0, v26
	v_cndmask_b32_e64 v39, 0x7fff, 0, vcc_lo
	s_delay_alu instid0(VALU_DEP_1) | instskip(NEXT) | instid1(VALU_DEP_1)
	v_xor_b32_e32 v39, v39, v26
	v_cmp_ne_u16_e32 vcc_lo, 0x8000, v39
	v_cndmask_b32_e32 v39, 0x7fff, v39, vcc_lo
	s_delay_alu instid0(VALU_DEP_1) | instskip(NEXT) | instid1(VALU_DEP_1)
	v_and_b32_e32 v39, 0xffff, v39
	v_lshrrev_b32_e32 v39, s49, v39
	s_delay_alu instid0(VALU_DEP_1) | instskip(NEXT) | instid1(VALU_DEP_1)
	v_and_b32_e32 v39, s52, v39
	v_lshl_or_b32 v39, v39, 4, v83
	ds_add_u32 v39, v96
	s_or_b32 exec_lo, exec_lo, s9
	s_delay_alu instid0(SALU_CYCLE_1)
	s_mov_b32 s9, exec_lo
	v_cmpx_gt_u32_e64 s8, v80
	s_cbranch_execz .LBB1966_645
.LBB1966_660:                           ;   in Loop: Header=BB1966_610 Depth=2
	v_cmp_gt_i16_e32 vcc_lo, 0, v25
	v_cndmask_b32_e64 v39, 0x7fff, 0, vcc_lo
	s_delay_alu instid0(VALU_DEP_1) | instskip(NEXT) | instid1(VALU_DEP_1)
	v_xor_b32_e32 v39, v39, v25
	v_cmp_ne_u16_e32 vcc_lo, 0x8000, v39
	v_cndmask_b32_e32 v39, 0x7fff, v39, vcc_lo
	s_delay_alu instid0(VALU_DEP_1) | instskip(NEXT) | instid1(VALU_DEP_1)
	v_and_b32_e32 v39, 0xffff, v39
	v_lshrrev_b32_e32 v39, s49, v39
	s_delay_alu instid0(VALU_DEP_1) | instskip(NEXT) | instid1(VALU_DEP_1)
	v_and_b32_e32 v39, s52, v39
	v_lshl_or_b32 v39, v39, 4, v83
	ds_add_u32 v39, v96
	s_or_b32 exec_lo, exec_lo, s9
	s_delay_alu instid0(SALU_CYCLE_1)
	s_mov_b32 s9, exec_lo
	v_cmpx_gt_u32_e64 s8, v81
	s_cbranch_execz .LBB1966_646
.LBB1966_661:                           ;   in Loop: Header=BB1966_610 Depth=2
	v_cmp_gt_i16_e32 vcc_lo, 0, v24
	v_cndmask_b32_e64 v39, 0x7fff, 0, vcc_lo
	s_delay_alu instid0(VALU_DEP_1) | instskip(NEXT) | instid1(VALU_DEP_1)
	v_xor_b32_e32 v39, v39, v24
	v_cmp_ne_u16_e32 vcc_lo, 0x8000, v39
	v_cndmask_b32_e32 v39, 0x7fff, v39, vcc_lo
	s_delay_alu instid0(VALU_DEP_1) | instskip(NEXT) | instid1(VALU_DEP_1)
	v_and_b32_e32 v39, 0xffff, v39
	v_lshrrev_b32_e32 v39, s49, v39
	s_delay_alu instid0(VALU_DEP_1) | instskip(NEXT) | instid1(VALU_DEP_1)
	v_and_b32_e32 v39, s52, v39
	v_lshl_or_b32 v39, v39, 4, v83
	ds_add_u32 v39, v96
	s_or_b32 exec_lo, exec_lo, s9
	v_cmp_gt_u32_e32 vcc_lo, s8, v82
	s_and_saveexec_b32 s8, vcc_lo
	s_cbranch_execz .LBB1966_609
.LBB1966_662:                           ;   in Loop: Header=BB1966_610 Depth=2
	v_cmp_gt_i16_e32 vcc_lo, 0, v23
	v_cndmask_b32_e64 v39, 0x7fff, 0, vcc_lo
	s_delay_alu instid0(VALU_DEP_1) | instskip(NEXT) | instid1(VALU_DEP_1)
	v_xor_b32_e32 v39, v39, v23
	v_cmp_ne_u16_e32 vcc_lo, 0x8000, v39
	v_cndmask_b32_e32 v39, 0x7fff, v39, vcc_lo
	s_delay_alu instid0(VALU_DEP_1) | instskip(NEXT) | instid1(VALU_DEP_1)
	v_and_b32_e32 v39, 0xffff, v39
	v_lshrrev_b32_e32 v39, s49, v39
	s_delay_alu instid0(VALU_DEP_1) | instskip(NEXT) | instid1(VALU_DEP_1)
	v_and_b32_e32 v39, s52, v39
	v_lshl_or_b32 v39, v39, 4, v83
	ds_add_u32 v39, v96
	s_branch .LBB1966_609
.LBB1966_663:                           ;   in Loop: Header=BB1966_610 Depth=2
	global_load_u16 v38, v2, s[8:9] scale_offset
	s_wait_xcnt 0x0
	s_or_b32 exec_lo, exec_lo, s11
	s_delay_alu instid0(SALU_CYCLE_1)
	s_mov_b32 s11, exec_lo
	v_cmpx_gt_u32_e64 s7, v68
	s_cbranch_execz .LBB1966_615
.LBB1966_664:                           ;   in Loop: Header=BB1966_610 Depth=2
	global_load_u16 v37, v2, s[8:9] offset:512 scale_offset
	s_wait_xcnt 0x0
	s_or_b32 exec_lo, exec_lo, s11
	s_delay_alu instid0(SALU_CYCLE_1)
	s_mov_b32 s11, exec_lo
	v_cmpx_gt_u32_e64 s7, v69
	s_cbranch_execz .LBB1966_616
.LBB1966_665:                           ;   in Loop: Header=BB1966_610 Depth=2
	global_load_u16 v36, v2, s[8:9] offset:1024 scale_offset
	s_wait_xcnt 0x0
	s_or_b32 exec_lo, exec_lo, s11
	s_delay_alu instid0(SALU_CYCLE_1)
	s_mov_b32 s11, exec_lo
	v_cmpx_gt_u32_e64 s7, v70
	s_cbranch_execz .LBB1966_617
.LBB1966_666:                           ;   in Loop: Header=BB1966_610 Depth=2
	global_load_u16 v35, v2, s[8:9] offset:1536 scale_offset
	s_wait_xcnt 0x0
	s_or_b32 exec_lo, exec_lo, s11
	s_delay_alu instid0(SALU_CYCLE_1)
	s_mov_b32 s11, exec_lo
	v_cmpx_gt_u32_e64 s7, v71
	s_cbranch_execz .LBB1966_618
.LBB1966_667:                           ;   in Loop: Header=BB1966_610 Depth=2
	global_load_u16 v34, v2, s[8:9] offset:2048 scale_offset
	s_wait_xcnt 0x0
	s_or_b32 exec_lo, exec_lo, s11
	s_delay_alu instid0(SALU_CYCLE_1)
	s_mov_b32 s11, exec_lo
	v_cmpx_gt_u32_e64 s7, v72
	s_cbranch_execz .LBB1966_619
.LBB1966_668:                           ;   in Loop: Header=BB1966_610 Depth=2
	global_load_u16 v33, v2, s[8:9] offset:2560 scale_offset
	s_wait_xcnt 0x0
	s_or_b32 exec_lo, exec_lo, s11
	s_delay_alu instid0(SALU_CYCLE_1)
	s_mov_b32 s11, exec_lo
	v_cmpx_gt_u32_e64 s7, v73
	s_cbranch_execz .LBB1966_620
.LBB1966_669:                           ;   in Loop: Header=BB1966_610 Depth=2
	global_load_u16 v32, v2, s[8:9] offset:3072 scale_offset
	s_wait_xcnt 0x0
	s_or_b32 exec_lo, exec_lo, s11
	s_delay_alu instid0(SALU_CYCLE_1)
	s_mov_b32 s11, exec_lo
	v_cmpx_gt_u32_e64 s7, v74
	s_cbranch_execz .LBB1966_621
.LBB1966_670:                           ;   in Loop: Header=BB1966_610 Depth=2
	global_load_u16 v31, v2, s[8:9] offset:3584 scale_offset
	s_wait_xcnt 0x0
	s_or_b32 exec_lo, exec_lo, s11
	s_delay_alu instid0(SALU_CYCLE_1)
	s_mov_b32 s11, exec_lo
	v_cmpx_gt_u32_e64 s7, v75
	s_cbranch_execz .LBB1966_622
.LBB1966_671:                           ;   in Loop: Header=BB1966_610 Depth=2
	global_load_u16 v30, v2, s[8:9] offset:4096 scale_offset
	s_wait_xcnt 0x0
	s_or_b32 exec_lo, exec_lo, s11
	s_delay_alu instid0(SALU_CYCLE_1)
	s_mov_b32 s11, exec_lo
	v_cmpx_gt_u32_e64 s7, v76
	s_cbranch_execz .LBB1966_623
.LBB1966_672:                           ;   in Loop: Header=BB1966_610 Depth=2
	global_load_u16 v29, v2, s[8:9] offset:4608 scale_offset
	s_wait_xcnt 0x0
	s_or_b32 exec_lo, exec_lo, s11
	s_delay_alu instid0(SALU_CYCLE_1)
	s_mov_b32 s11, exec_lo
	v_cmpx_gt_u32_e64 s7, v77
	s_cbranch_execz .LBB1966_624
.LBB1966_673:                           ;   in Loop: Header=BB1966_610 Depth=2
	global_load_u16 v28, v2, s[8:9] offset:5120 scale_offset
	s_wait_xcnt 0x0
	s_or_b32 exec_lo, exec_lo, s11
	s_delay_alu instid0(SALU_CYCLE_1)
	s_mov_b32 s11, exec_lo
	v_cmpx_gt_u32_e64 s7, v78
	s_cbranch_execz .LBB1966_625
.LBB1966_674:                           ;   in Loop: Header=BB1966_610 Depth=2
	global_load_u16 v27, v2, s[8:9] offset:5632 scale_offset
	s_wait_xcnt 0x0
	s_or_b32 exec_lo, exec_lo, s11
	s_delay_alu instid0(SALU_CYCLE_1)
	s_mov_b32 s11, exec_lo
	v_cmpx_gt_u32_e64 s7, v79
	s_cbranch_execz .LBB1966_626
.LBB1966_675:                           ;   in Loop: Header=BB1966_610 Depth=2
	global_load_u16 v26, v2, s[8:9] offset:6144 scale_offset
	s_wait_xcnt 0x0
	s_or_b32 exec_lo, exec_lo, s11
	s_delay_alu instid0(SALU_CYCLE_1)
	s_mov_b32 s11, exec_lo
	v_cmpx_gt_u32_e64 s7, v80
	s_cbranch_execz .LBB1966_627
.LBB1966_676:                           ;   in Loop: Header=BB1966_610 Depth=2
	global_load_u16 v25, v2, s[8:9] offset:6656 scale_offset
	s_wait_xcnt 0x0
	s_or_b32 exec_lo, exec_lo, s11
	s_delay_alu instid0(SALU_CYCLE_1)
	s_mov_b32 s11, exec_lo
	v_cmpx_gt_u32_e64 s7, v81
	s_cbranch_execz .LBB1966_628
.LBB1966_677:                           ;   in Loop: Header=BB1966_610 Depth=2
	global_load_u16 v24, v2, s[8:9] offset:7168 scale_offset
	s_wait_xcnt 0x0
	s_or_b32 exec_lo, exec_lo, s11
	s_delay_alu instid0(SALU_CYCLE_1)
	s_mov_b32 s11, exec_lo
	v_cmpx_gt_u32_e64 s7, v82
	s_cbranch_execnz .LBB1966_629
	s_branch .LBB1966_630
.LBB1966_678:                           ;   in Loop: Header=BB1966_20 Depth=1
	v_mov_b32_e32 v23, 0
	s_wait_dscnt 0x0
	s_barrier_signal -1
	s_barrier_wait -1
	s_and_saveexec_b32 s7, s0
	s_cbranch_execz .LBB1966_680
; %bb.679:                              ;   in Loop: Header=BB1966_20 Depth=1
	ds_load_2addr_b64 v[24:27], v85 offset1:1
	s_wait_dscnt 0x0
	v_add_nc_u32_e32 v23, v25, v24
	s_delay_alu instid0(VALU_DEP_1)
	v_add3_u32 v23, v23, v26, v27
.LBB1966_680:                           ;   in Loop: Header=BB1966_20 Depth=1
	s_or_b32 exec_lo, exec_lo, s7
	s_delay_alu instid0(VALU_DEP_1)
	v_mov_b32_dpp v24, v23 row_shr:1 row_mask:0xf bank_mask:0xf
	v_cmp_eq_u32_e64 s7, 0, v97
	v_cmp_lt_u32_e64 s8, 1, v97
	v_cmp_lt_u32_e64 s9, 3, v97
	;; [unrolled: 1-line block ×3, first 2 shown]
	v_cmp_eq_u32_e64 s11, 0, v99
	v_cndmask_b32_e64 v24, v24, 0, s7
	s_delay_alu instid0(VALU_DEP_1) | instskip(NEXT) | instid1(VALU_DEP_1)
	v_add_nc_u32_e32 v23, v24, v23
	v_mov_b32_dpp v24, v23 row_shr:2 row_mask:0xf bank_mask:0xf
	s_delay_alu instid0(VALU_DEP_1) | instskip(NEXT) | instid1(VALU_DEP_1)
	v_cndmask_b32_e64 v24, 0, v24, s8
	v_add_nc_u32_e32 v23, v23, v24
	s_delay_alu instid0(VALU_DEP_1) | instskip(NEXT) | instid1(VALU_DEP_1)
	v_mov_b32_dpp v24, v23 row_shr:4 row_mask:0xf bank_mask:0xf
	v_cndmask_b32_e64 v24, 0, v24, s9
	s_delay_alu instid0(VALU_DEP_1) | instskip(NEXT) | instid1(VALU_DEP_1)
	v_add_nc_u32_e32 v23, v23, v24
	v_mov_b32_dpp v24, v23 row_shr:8 row_mask:0xf bank_mask:0xf
	s_delay_alu instid0(VALU_DEP_1) | instskip(NEXT) | instid1(VALU_DEP_1)
	v_cndmask_b32_e64 v24, 0, v24, s10
	v_add_nc_u32_e32 v23, v23, v24
	ds_swizzle_b32 v24, v23 offset:swizzle(BROADCAST,32,15)
	s_wait_dscnt 0x0
	v_and_b32_e32 v24, v98, v24
	s_delay_alu instid0(VALU_DEP_1)
	v_add_nc_u32_e32 v23, v23, v24
	s_and_saveexec_b32 s12, s1
; %bb.681:                              ;   in Loop: Header=BB1966_20 Depth=1
	ds_store_b32 v86, v23
; %bb.682:                              ;   in Loop: Header=BB1966_20 Depth=1
	s_or_b32 exec_lo, exec_lo, s12
	s_wait_dscnt 0x0
	s_barrier_signal -1
	s_barrier_wait -1
	s_and_saveexec_b32 s12, s4
	s_cbranch_execz .LBB1966_684
; %bb.683:                              ;   in Loop: Header=BB1966_20 Depth=1
	ds_load_b32 v24, v87
	v_cmp_ne_u32_e32 vcc_lo, 0, v101
	s_wait_dscnt 0x0
	v_mov_b32_dpp v25, v24 row_shr:1 row_mask:0xf bank_mask:0xf
	s_delay_alu instid0(VALU_DEP_1) | instskip(SKIP_1) | instid1(VALU_DEP_2)
	v_cndmask_b32_e32 v25, 0, v25, vcc_lo
	v_cmp_lt_u32_e32 vcc_lo, 1, v101
	v_add_nc_u32_e32 v24, v25, v24
	s_delay_alu instid0(VALU_DEP_1) | instskip(NEXT) | instid1(VALU_DEP_1)
	v_mov_b32_dpp v25, v24 row_shr:2 row_mask:0xf bank_mask:0xf
	v_cndmask_b32_e32 v25, 0, v25, vcc_lo
	v_cmp_lt_u32_e32 vcc_lo, 3, v101
	s_delay_alu instid0(VALU_DEP_2) | instskip(NEXT) | instid1(VALU_DEP_1)
	v_add_nc_u32_e32 v24, v24, v25
	v_mov_b32_dpp v25, v24 row_shr:4 row_mask:0xf bank_mask:0xf
	s_delay_alu instid0(VALU_DEP_1) | instskip(NEXT) | instid1(VALU_DEP_1)
	v_cndmask_b32_e32 v25, 0, v25, vcc_lo
	v_add_nc_u32_e32 v24, v24, v25
	ds_store_b32 v87, v24
.LBB1966_684:                           ;   in Loop: Header=BB1966_20 Depth=1
	s_or_b32 exec_lo, exec_lo, s12
	v_mov_b32_e32 v24, 0
	s_wait_dscnt 0x0
	s_barrier_signal -1
	s_barrier_wait -1
	s_and_saveexec_b32 s12, s5
; %bb.685:                              ;   in Loop: Header=BB1966_20 Depth=1
	ds_load_b32 v24, v88
; %bb.686:                              ;   in Loop: Header=BB1966_20 Depth=1
	s_or_b32 exec_lo, exec_lo, s12
	v_cmp_gt_i32_e32 vcc_lo, 0, v102
	s_wait_dscnt 0x0
	s_barrier_signal -1
	s_barrier_wait -1
	v_cndmask_b32_e32 v25, v102, v95, vcc_lo
	s_delay_alu instid0(VALU_DEP_1)
	v_dual_add_nc_u32 v23, v24, v23 :: v_dual_lshlrev_b32 v122, 2, v25
	ds_bpermute_b32 v23, v122, v23
	s_and_saveexec_b32 s12, s0
	s_cbranch_execz .LBB1966_688
; %bb.687:                              ;   in Loop: Header=BB1966_20 Depth=1
	s_wait_dscnt 0x0
	v_cndmask_b32_e64 v23, v23, v24, s6
	s_delay_alu instid0(VALU_DEP_1)
	v_add_nc_u32_e32 v23, s54, v23
	ds_store_b32 v3, v23
.LBB1966_688:                           ;   in Loop: Header=BB1966_20 Depth=1
	s_or_b32 exec_lo, exec_lo, s12
	s_load_b64 s[12:13], s[34:35], 0x0
	s_mov_b32 s53, s56
                                        ; implicit-def: $vgpr30_vgpr31
                                        ; implicit-def: $vgpr32_vgpr33
                                        ; implicit-def: $vgpr34_vgpr35
                                        ; implicit-def: $vgpr36_vgpr37
                                        ; implicit-def: $vgpr38_vgpr39
                                        ; implicit-def: $vgpr40_vgpr41
                                        ; implicit-def: $vgpr42_vgpr43
                                        ; implicit-def: $vgpr44_vgpr45
                                        ; implicit-def: $vgpr46_vgpr47
                                        ; implicit-def: $vgpr48_vgpr49
                                        ; implicit-def: $vgpr50_vgpr51
                                        ; implicit-def: $vgpr52_vgpr53
                                        ; implicit-def: $vgpr54_vgpr55
                                        ; implicit-def: $vgpr56_vgpr57
                                        ; implicit-def: $vgpr58_vgpr59
                                        ; implicit-def: $vgpr123
                                        ; implicit-def: $vgpr124
                                        ; implicit-def: $vgpr125
                                        ; implicit-def: $vgpr126
                                        ; implicit-def: $vgpr127
                                        ; implicit-def: $vgpr128
                                        ; implicit-def: $vgpr129
                                        ; implicit-def: $vgpr130
                                        ; implicit-def: $vgpr131
                                        ; implicit-def: $vgpr132
                                        ; implicit-def: $vgpr133
                                        ; implicit-def: $vgpr134
                                        ; implicit-def: $vgpr135
                                        ; implicit-def: $vgpr136
                                        ; implicit-def: $vgpr137
                                        ; implicit-def: $vgpr138
	s_wait_kmcnt 0x0
	s_cmp_lt_u32 s33, s12
	s_cselect_b32 s42, 12, 18
	s_cmp_lt_u32 s31, s13
	s_mov_b32 s13, s43
	s_cselect_b32 s12, 14, 20
	s_delay_alu instid0(SALU_CYCLE_1)
	s_add_nc_u64 s[12:13], s[34:35], s[12:13]
	s_load_u16 s14, s[12:13], 0x0
	s_wait_xcnt 0x0
	s_add_nc_u64 s[12:13], s[34:35], s[42:43]
	s_mov_b32 s42, s54
	s_load_u16 s12, s[12:13], 0x0
	s_wait_xcnt 0x0
	v_cmp_lt_u32_e64 s13, 1, v101
	s_wait_dscnt 0x0
	s_wait_kmcnt 0x0
	v_mad_u32_u24 v23, v89, s14, v90
	v_cmp_lt_u32_e64 s14, 3, v101
	s_delay_alu instid0(VALU_DEP_2) | instskip(SKIP_2) | instid1(VALU_DEP_3)
	v_mad_u32 v24, v23, s12, v2
	v_mov_b32_e32 v23, v5
	v_cmp_eq_u32_e64 s12, 0, v101
	v_lshrrev_b32_e32 v28, 3, v24
	v_add_nc_u64_e32 v[24:25], v[18:19], v[4:5]
	s_delay_alu instid0(VALU_DEP_4) | instskip(NEXT) | instid1(VALU_DEP_3)
	v_add_nc_u64_e32 v[26:27], v[20:21], v[22:23]
	v_and_b32_e32 v23, 0x1ffffffc, v28
                                        ; implicit-def: $vgpr28_vgpr29
	s_branch .LBB1966_690
.LBB1966_689:                           ;   in Loop: Header=BB1966_690 Depth=2
	s_or_b32 exec_lo, exec_lo, s15
	s_addk_co_i32 s53, 0xf000
	s_cmp_lt_u32 s57, s51
	s_mov_b32 s42, s57
	s_cbranch_scc0 .LBB1966_898
.LBB1966_690:                           ;   Parent Loop BB1966_20 Depth=1
                                        ; =>  This Inner Loop Header: Depth=2
	s_add_co_i32 s57, s42, 0x1000
	s_delay_alu instid0(SALU_CYCLE_1)
	s_cmp_gt_u32 s57, s51
	s_cbranch_scc1 .LBB1966_692
; %bb.691:                              ;   in Loop: Header=BB1966_690 Depth=2
	s_delay_alu instid0(VALU_DEP_2)
	v_lshl_add_u64 v[60:61], s[42:43], 1, v[26:27]
	s_mov_b32 s15, -1
	s_clause 0xe
	global_load_u16 v140, v[60:61], off
	global_load_u16 v141, v[60:61], off offset:64
	global_load_u16 v144, v[60:61], off offset:128
	;; [unrolled: 1-line block ×14, first 2 shown]
	s_movk_i32 s16, 0x1000
	s_cbranch_execz .LBB1966_693
	s_branch .LBB1966_724
.LBB1966_692:                           ;   in Loop: Header=BB1966_690 Depth=2
	s_mov_b32 s15, 0
                                        ; implicit-def: $vgpr140
                                        ; implicit-def: $vgpr141
                                        ; implicit-def: $vgpr144
                                        ; implicit-def: $vgpr148
                                        ; implicit-def: $vgpr152
                                        ; implicit-def: $vgpr156
                                        ; implicit-def: $vgpr160
                                        ; implicit-def: $vgpr164
                                        ; implicit-def: $vgpr168
                                        ; implicit-def: $vgpr67
                                        ; implicit-def: $vgpr66
                                        ; implicit-def: $vgpr65
                                        ; implicit-def: $vgpr64
                                        ; implicit-def: $vgpr63
                                        ; implicit-def: $vgpr62
	s_movk_i32 s16, 0x1000
.LBB1966_693:                           ;   in Loop: Header=BB1966_690 Depth=2
	s_wait_xcnt 0x0
	v_lshl_add_u64 v[60:61], s[42:43], 1, v[26:27]
	s_wait_loadcnt 0xd
	v_dual_mov_b32 v141, -1 :: v_dual_mov_b32 v140, -1
	s_mov_b32 s15, exec_lo
	v_cmpx_gt_u32_e64 s53, v100
	s_cbranch_execz .LBB1966_695
; %bb.694:                              ;   in Loop: Header=BB1966_690 Depth=2
	global_load_u16 v140, v[60:61], off
.LBB1966_695:                           ;   in Loop: Header=BB1966_690 Depth=2
	s_wait_xcnt 0x0
	s_or_b32 exec_lo, exec_lo, s15
	s_delay_alu instid0(SALU_CYCLE_1)
	s_mov_b32 s15, exec_lo
	v_cmpx_gt_u32_e64 s53, v103
	s_cbranch_execz .LBB1966_697
; %bb.696:                              ;   in Loop: Header=BB1966_690 Depth=2
	global_load_u16 v141, v[60:61], off offset:64
.LBB1966_697:                           ;   in Loop: Header=BB1966_690 Depth=2
	s_wait_xcnt 0x0
	s_or_b32 exec_lo, exec_lo, s15
	s_wait_loadcnt 0xb
	v_dual_mov_b32 v148, -1 :: v_dual_mov_b32 v144, -1
	s_mov_b32 s15, exec_lo
	v_cmpx_gt_u32_e64 s53, v104
	s_cbranch_execz .LBB1966_699
; %bb.698:                              ;   in Loop: Header=BB1966_690 Depth=2
	global_load_u16 v144, v[60:61], off offset:128
.LBB1966_699:                           ;   in Loop: Header=BB1966_690 Depth=2
	s_wait_xcnt 0x0
	s_or_b32 exec_lo, exec_lo, s15
	s_delay_alu instid0(SALU_CYCLE_1)
	s_mov_b32 s15, exec_lo
	v_cmpx_gt_u32_e64 s53, v105
	s_cbranch_execz .LBB1966_701
; %bb.700:                              ;   in Loop: Header=BB1966_690 Depth=2
	global_load_u16 v148, v[60:61], off offset:192
.LBB1966_701:                           ;   in Loop: Header=BB1966_690 Depth=2
	s_wait_xcnt 0x0
	s_or_b32 exec_lo, exec_lo, s15
	s_wait_loadcnt 0x9
	v_dual_mov_b32 v156, -1 :: v_dual_mov_b32 v152, -1
	s_mov_b32 s15, exec_lo
	v_cmpx_gt_u32_e64 s53, v106
	s_cbranch_execz .LBB1966_703
; %bb.702:                              ;   in Loop: Header=BB1966_690 Depth=2
	global_load_u16 v152, v[60:61], off offset:256
.LBB1966_703:                           ;   in Loop: Header=BB1966_690 Depth=2
	;; [unrolled: 19-line block ×6, first 2 shown]
	s_wait_xcnt 0x0
	s_or_b32 exec_lo, exec_lo, s15
	s_delay_alu instid0(SALU_CYCLE_1)
	s_mov_b32 s15, exec_lo
	v_cmpx_gt_u32_e64 s53, v115
	s_cbranch_execz .LBB1966_721
; %bb.720:                              ;   in Loop: Header=BB1966_690 Depth=2
	global_load_u16 v63, v[60:61], off offset:832
.LBB1966_721:                           ;   in Loop: Header=BB1966_690 Depth=2
	s_wait_xcnt 0x0
	s_or_b32 exec_lo, exec_lo, s15
	s_wait_loadcnt 0x0
	v_mov_b32_e32 v62, -1
	s_mov_b32 s15, exec_lo
	v_cmpx_gt_u32_e64 s53, v116
	s_cbranch_execz .LBB1966_723
; %bb.722:                              ;   in Loop: Header=BB1966_690 Depth=2
	global_load_u16 v62, v[60:61], off offset:896
.LBB1966_723:                           ;   in Loop: Header=BB1966_690 Depth=2
	s_wait_xcnt 0x0
	s_or_b32 exec_lo, exec_lo, s15
	v_cmp_gt_u32_e64 s15, s53, v117
	s_sub_co_i32 s16, s51, s42
.LBB1966_724:                           ;   in Loop: Header=BB1966_690 Depth=2
	s_wait_xcnt 0x0
	v_dual_mov_b32 v60, -1 :: v_dual_mov_b32 v139, s53
	s_and_saveexec_b32 s17, s15
	s_cbranch_execz .LBB1966_726
; %bb.725:                              ;   in Loop: Header=BB1966_690 Depth=2
	v_lshl_add_u64 v[60:61], s[42:43], 1, v[26:27]
	v_mov_b32_e32 v139, s16
	global_load_u16 v60, v[60:61], off offset:960
.LBB1966_726:                           ;   in Loop: Header=BB1966_690 Depth=2
	s_wait_xcnt 0x0
	s_or_b32 exec_lo, exec_lo, s17
	s_wait_loadcnt 0xe
	v_cmp_gt_i16_e64 vcc_lo, 0, v140
	ds_store_2addr_b32 v121, v5, v5 offset1:1
	ds_store_2addr_b32 v118, v5, v5 offset1:1
	;; [unrolled: 1-line block ×4, first 2 shown]
	ds_store_b32 v91, v5 offset:1088
	s_wait_loadcnt_dscnt 0x0
	s_barrier_signal -1
	v_cndmask_b32_e64 v61, 0x7fff, 0, vcc_lo
	s_barrier_wait -1
	; wave barrier
	s_delay_alu instid0(VALU_DEP_1) | instskip(NEXT) | instid1(VALU_DEP_1)
	v_xor_b32_e32 v140, v61, v140
	v_cmp_ne_u16_e64 vcc_lo, 0x8000, v140
	v_cndmask_b32_e32 v61, 0x7fff, v140, vcc_lo
	s_delay_alu instid0(VALU_DEP_1) | instskip(NEXT) | instid1(VALU_DEP_1)
	v_and_b32_e32 v61, 0xffff, v61
	v_lshrrev_b32_e32 v61, s49, v61
	s_delay_alu instid0(VALU_DEP_1) | instskip(SKIP_1) | instid1(VALU_DEP_2)
	v_bitop3_b32 v142, v61, 1, s52 bitop3:0x80
	v_and_b32_e32 v143, s52, v61
	v_add_co_u32 v61, s15, v142, -1
	s_delay_alu instid0(VALU_DEP_1) | instskip(NEXT) | instid1(VALU_DEP_3)
	v_cndmask_b32_e64 v142, 0, 1, s15
	v_lshlrev_b32_e32 v145, 30, v143
	s_delay_alu instid0(VALU_DEP_2) | instskip(NEXT) | instid1(VALU_DEP_2)
	v_cmp_ne_u32_e32 vcc_lo, 0, v142
	v_not_b32_e32 v142, v145
	s_delay_alu instid0(VALU_DEP_1) | instskip(SKIP_3) | instid1(VALU_DEP_4)
	v_dual_ashrrev_i32 v142, 31, v142 :: v_dual_lshlrev_b32 v146, 29, v143
	v_dual_lshlrev_b32 v147, 28, v143 :: v_dual_lshlrev_b32 v149, 27, v143
	v_lshlrev_b32_e32 v150, 26, v143
	v_cmp_gt_i32_e64 s15, 0, v145
	v_cmp_gt_i32_e64 s16, 0, v146
	v_not_b32_e32 v145, v146
	v_not_b32_e32 v146, v147
	v_dual_lshlrev_b32 v151, 25, v143 :: v_dual_lshlrev_b32 v153, 24, v143
	v_cmp_gt_i32_e64 s17, 0, v147
	v_cmp_gt_i32_e64 s18, 0, v149
	v_not_b32_e32 v147, v149
	v_not_b32_e32 v149, v150
	v_dual_ashrrev_i32 v146, 31, v146 :: v_dual_bitop2_b32 v61, vcc_lo, v61 bitop3:0x14
	v_dual_ashrrev_i32 v145, 31, v145 :: v_dual_bitop2_b32 v142, s15, v142 bitop3:0x14
	v_cmp_gt_i32_e64 s19, 0, v150
	v_cmp_gt_i32_e64 s20, 0, v151
	v_not_b32_e32 v150, v151
	v_not_b32_e32 v151, v153
	v_dual_ashrrev_i32 v147, 31, v147 :: v_dual_ashrrev_i32 v149, 31, v149
	v_xor_b32_e32 v145, s16, v145
	v_xor_b32_e32 v146, s17, v146
	v_bitop3_b32 v61, v61, v142, exec_lo bitop3:0x80
	v_cmp_gt_i32_e64 s21, 0, v153
	v_dual_ashrrev_i32 v142, 31, v150 :: v_dual_ashrrev_i32 v150, 31, v151
	v_xor_b32_e32 v147, s18, v147
	s_delay_alu instid0(VALU_DEP_4) | instskip(SKIP_3) | instid1(VALU_DEP_3)
	v_bitop3_b32 v61, v61, v146, v145 bitop3:0x80
	v_mul_u32_u24_e32 v143, 36, v143
	v_xor_b32_e32 v149, s19, v149
	v_xor_b32_e32 v142, s20, v142
	v_dual_add_nc_u32 v143, v23, v143 :: v_dual_bitop2_b32 v145, s21, v150 bitop3:0x14
	s_delay_alu instid0(VALU_DEP_3) | instskip(NEXT) | instid1(VALU_DEP_1)
	v_bitop3_b32 v61, v61, v149, v147 bitop3:0x80
	v_bitop3_b32 v61, v61, v145, v142 bitop3:0x80
	s_delay_alu instid0(VALU_DEP_1) | instskip(SKIP_1) | instid1(VALU_DEP_2)
	v_mbcnt_lo_u32_b32 v142, v61, 0
	v_cmp_ne_u32_e64 s15, 0, v61
	v_cmp_eq_u32_e32 vcc_lo, 0, v142
	s_and_b32 s16, s15, vcc_lo
	s_delay_alu instid0(SALU_CYCLE_1)
	s_and_saveexec_b32 s15, s16
; %bb.727:                              ;   in Loop: Header=BB1966_690 Depth=2
	v_bcnt_u32_b32 v61, v61, 0
	ds_store_b32 v143, v61 offset:1056
; %bb.728:                              ;   in Loop: Header=BB1966_690 Depth=2
	s_or_b32 exec_lo, exec_lo, s15
	v_cmp_gt_i16_e64 vcc_lo, 0, v141
	; wave barrier
	s_delay_alu instid0(VALU_DEP_1) | instskip(NEXT) | instid1(VALU_DEP_1)
	v_cndmask_b32_e64 v61, 0x7fff, 0, vcc_lo
	v_xor_b32_e32 v141, v61, v141
	s_delay_alu instid0(VALU_DEP_1) | instskip(SKIP_1) | instid1(VALU_DEP_1)
	v_cmp_ne_u16_e64 vcc_lo, 0x8000, v141
	v_cndmask_b32_e32 v61, 0x7fff, v141, vcc_lo
	v_and_b32_e32 v61, 0xffff, v61
	s_delay_alu instid0(VALU_DEP_1) | instskip(NEXT) | instid1(VALU_DEP_1)
	v_lshrrev_b32_e32 v61, s49, v61
	v_and_b32_e32 v147, s52, v61
	s_delay_alu instid0(VALU_DEP_1) | instskip(SKIP_2) | instid1(VALU_DEP_3)
	v_lshlrev_b32_e32 v149, 29, v147
	v_bitop3_b32 v145, v61, 1, s52 bitop3:0x80
	v_lshlrev_b32_e32 v146, 30, v147
	v_cmp_gt_i32_e64 s16, 0, v149
	s_delay_alu instid0(VALU_DEP_3) | instskip(NEXT) | instid1(VALU_DEP_1)
	v_add_co_u32 v61, s15, v145, -1
	v_cndmask_b32_e64 v145, 0, 1, s15
	s_delay_alu instid0(VALU_DEP_4) | instskip(NEXT) | instid1(VALU_DEP_2)
	v_cmp_gt_i32_e64 s15, 0, v146
	v_cmp_ne_u32_e32 vcc_lo, 0, v145
	v_not_b32_e32 v145, v146
	v_not_b32_e32 v146, v149
	s_delay_alu instid0(VALU_DEP_1) | instskip(SKIP_2) | instid1(VALU_DEP_3)
	v_dual_ashrrev_i32 v146, 31, v146 :: v_dual_lshlrev_b32 v150, 28, v147
	v_dual_lshlrev_b32 v151, 27, v147 :: v_dual_lshlrev_b32 v153, 26, v147
	v_dual_lshlrev_b32 v154, 25, v147 :: v_dual_lshlrev_b32 v155, 24, v147
	v_cmp_gt_i32_e64 s17, 0, v150
	v_not_b32_e32 v149, v150
	s_delay_alu instid0(VALU_DEP_4)
	v_not_b32_e32 v150, v151
	v_ashrrev_i32_e32 v145, 31, v145
	v_cmp_gt_i32_e64 s18, 0, v151
	v_cmp_gt_i32_e64 s19, 0, v153
	v_not_b32_e32 v151, v153
	v_cmp_gt_i32_e64 s20, 0, v154
	v_not_b32_e32 v153, v154
	v_not_b32_e32 v154, v155
	s_delay_alu instid0(VALU_DEP_4) | instskip(SKIP_3) | instid1(VALU_DEP_3)
	v_dual_ashrrev_i32 v151, 31, v151 :: v_dual_bitop2_b32 v61, vcc_lo, v61 bitop3:0x14
	v_dual_ashrrev_i32 v149, 31, v149 :: v_dual_bitop2_b32 v146, s16, v146 bitop3:0x14
	v_dual_ashrrev_i32 v150, 31, v150 :: v_dual_bitop2_b32 v145, s15, v145 bitop3:0x14
	v_cmp_gt_i32_e64 s21, 0, v155
	v_xor_b32_e32 v149, s17, v149
	v_xor_b32_e32 v151, s19, v151
	s_delay_alu instid0(VALU_DEP_4) | instskip(SKIP_2) | instid1(VALU_DEP_2)
	v_xor_b32_e32 v150, s18, v150
	v_bitop3_b32 v61, v61, v145, exec_lo bitop3:0x80
	v_dual_ashrrev_i32 v145, 31, v153 :: v_dual_ashrrev_i32 v153, 31, v154
	v_bitop3_b32 v61, v61, v149, v146 bitop3:0x80
	v_mad_u32_u24 v146, v147, 36, v23
	s_delay_alu instid0(VALU_DEP_3) | instskip(NEXT) | instid1(VALU_DEP_4)
	v_xor_b32_e32 v149, s20, v145
	v_xor_b32_e32 v153, s21, v153
	v_mul_u32_u24_e32 v147, 36, v147
	v_bitop3_b32 v61, v61, v151, v150 bitop3:0x80
	ds_load_b32 v145, v146 offset:1056
	; wave barrier
	v_add_nc_u32_e32 v147, v23, v147
	v_bitop3_b32 v61, v61, v153, v149 bitop3:0x80
	s_delay_alu instid0(VALU_DEP_1) | instskip(SKIP_1) | instid1(VALU_DEP_2)
	v_mbcnt_lo_u32_b32 v146, v61, 0
	v_cmp_ne_u32_e64 s15, 0, v61
	v_cmp_eq_u32_e32 vcc_lo, 0, v146
	s_and_b32 s16, s15, vcc_lo
	s_delay_alu instid0(SALU_CYCLE_1)
	s_and_saveexec_b32 s15, s16
	s_cbranch_execz .LBB1966_730
; %bb.729:                              ;   in Loop: Header=BB1966_690 Depth=2
	s_wait_dscnt 0x0
	v_bcnt_u32_b32 v61, v61, v145
	ds_store_b32 v147, v61 offset:1056
.LBB1966_730:                           ;   in Loop: Header=BB1966_690 Depth=2
	s_or_b32 exec_lo, exec_lo, s15
	v_cmp_gt_i16_e64 vcc_lo, 0, v144
	; wave barrier
	s_delay_alu instid0(VALU_DEP_1) | instskip(NEXT) | instid1(VALU_DEP_1)
	v_cndmask_b32_e64 v61, 0x7fff, 0, vcc_lo
	v_xor_b32_e32 v144, v61, v144
	s_delay_alu instid0(VALU_DEP_1) | instskip(SKIP_1) | instid1(VALU_DEP_1)
	v_cmp_ne_u16_e64 vcc_lo, 0x8000, v144
	v_cndmask_b32_e32 v61, 0x7fff, v144, vcc_lo
	v_and_b32_e32 v61, 0xffff, v61
	s_delay_alu instid0(VALU_DEP_1) | instskip(NEXT) | instid1(VALU_DEP_1)
	v_lshrrev_b32_e32 v61, s49, v61
	v_bitop3_b32 v149, v61, 1, s52 bitop3:0x80
	v_and_b32_e32 v151, s52, v61
	s_delay_alu instid0(VALU_DEP_2) | instskip(NEXT) | instid1(VALU_DEP_1)
	v_add_co_u32 v61, s15, v149, -1
	v_cndmask_b32_e64 v149, 0, 1, s15
	s_delay_alu instid0(VALU_DEP_3) | instskip(NEXT) | instid1(VALU_DEP_2)
	v_dual_lshlrev_b32 v150, 30, v151 :: v_dual_lshlrev_b32 v153, 29, v151
	v_cmp_ne_u32_e32 vcc_lo, 0, v149
	s_delay_alu instid0(VALU_DEP_2) | instskip(SKIP_1) | instid1(VALU_DEP_4)
	v_cmp_gt_i32_e64 s15, 0, v150
	v_not_b32_e32 v149, v150
	v_not_b32_e32 v150, v153
	s_delay_alu instid0(VALU_DEP_1) | instskip(SKIP_3) | instid1(VALU_DEP_4)
	v_dual_ashrrev_i32 v150, 31, v150 :: v_dual_lshlrev_b32 v154, 28, v151
	v_dual_lshlrev_b32 v155, 27, v151 :: v_dual_lshlrev_b32 v157, 26, v151
	v_dual_lshlrev_b32 v158, 25, v151 :: v_dual_lshlrev_b32 v159, 24, v151
	v_cmp_gt_i32_e64 s16, 0, v153
	v_cmp_gt_i32_e64 s17, 0, v154
	v_not_b32_e32 v153, v154
	v_not_b32_e32 v154, v155
	v_ashrrev_i32_e32 v149, 31, v149
	v_cmp_gt_i32_e64 s18, 0, v155
	v_cmp_gt_i32_e64 s19, 0, v157
	v_not_b32_e32 v155, v157
	v_cmp_gt_i32_e64 s20, 0, v158
	v_not_b32_e32 v157, v158
	v_not_b32_e32 v158, v159
	s_delay_alu instid0(VALU_DEP_4) | instskip(SKIP_3) | instid1(VALU_DEP_3)
	v_dual_ashrrev_i32 v155, 31, v155 :: v_dual_bitop2_b32 v61, vcc_lo, v61 bitop3:0x14
	v_dual_ashrrev_i32 v153, 31, v153 :: v_dual_bitop2_b32 v150, s16, v150 bitop3:0x14
	v_dual_ashrrev_i32 v154, 31, v154 :: v_dual_bitop2_b32 v149, s15, v149 bitop3:0x14
	v_cmp_gt_i32_e64 s21, 0, v159
	v_xor_b32_e32 v153, s17, v153
	v_xor_b32_e32 v155, s19, v155
	s_delay_alu instid0(VALU_DEP_4) | instskip(SKIP_2) | instid1(VALU_DEP_2)
	v_xor_b32_e32 v154, s18, v154
	v_bitop3_b32 v61, v61, v149, exec_lo bitop3:0x80
	v_dual_ashrrev_i32 v149, 31, v157 :: v_dual_ashrrev_i32 v157, 31, v158
	v_bitop3_b32 v61, v61, v153, v150 bitop3:0x80
	v_mad_u32_u24 v150, v151, 36, v23
	s_delay_alu instid0(VALU_DEP_3) | instskip(NEXT) | instid1(VALU_DEP_4)
	v_xor_b32_e32 v153, s20, v149
	v_xor_b32_e32 v157, s21, v157
	v_mul_u32_u24_e32 v151, 36, v151
	v_bitop3_b32 v61, v61, v155, v154 bitop3:0x80
	ds_load_b32 v149, v150 offset:1056
	; wave barrier
	v_add_nc_u32_e32 v151, v23, v151
	v_bitop3_b32 v61, v61, v157, v153 bitop3:0x80
	s_delay_alu instid0(VALU_DEP_1) | instskip(SKIP_1) | instid1(VALU_DEP_2)
	v_mbcnt_lo_u32_b32 v150, v61, 0
	v_cmp_ne_u32_e64 s15, 0, v61
	v_cmp_eq_u32_e32 vcc_lo, 0, v150
	s_and_b32 s16, s15, vcc_lo
	s_delay_alu instid0(SALU_CYCLE_1)
	s_and_saveexec_b32 s15, s16
	s_cbranch_execz .LBB1966_732
; %bb.731:                              ;   in Loop: Header=BB1966_690 Depth=2
	s_wait_dscnt 0x0
	v_bcnt_u32_b32 v61, v61, v149
	ds_store_b32 v151, v61 offset:1056
.LBB1966_732:                           ;   in Loop: Header=BB1966_690 Depth=2
	s_or_b32 exec_lo, exec_lo, s15
	v_cmp_gt_i16_e64 vcc_lo, 0, v148
	; wave barrier
	s_delay_alu instid0(VALU_DEP_1) | instskip(NEXT) | instid1(VALU_DEP_1)
	v_cndmask_b32_e64 v61, 0x7fff, 0, vcc_lo
	v_xor_b32_e32 v148, v61, v148
	s_delay_alu instid0(VALU_DEP_1) | instskip(SKIP_1) | instid1(VALU_DEP_1)
	v_cmp_ne_u16_e64 vcc_lo, 0x8000, v148
	v_cndmask_b32_e32 v61, 0x7fff, v148, vcc_lo
	v_and_b32_e32 v61, 0xffff, v61
	s_delay_alu instid0(VALU_DEP_1) | instskip(NEXT) | instid1(VALU_DEP_1)
	v_lshrrev_b32_e32 v61, s49, v61
	v_bitop3_b32 v153, v61, 1, s52 bitop3:0x80
	v_and_b32_e32 v155, s52, v61
	s_delay_alu instid0(VALU_DEP_2) | instskip(NEXT) | instid1(VALU_DEP_1)
	v_add_co_u32 v61, s15, v153, -1
	v_cndmask_b32_e64 v153, 0, 1, s15
	s_delay_alu instid0(VALU_DEP_3) | instskip(NEXT) | instid1(VALU_DEP_2)
	v_dual_lshlrev_b32 v154, 30, v155 :: v_dual_lshlrev_b32 v157, 29, v155
	v_cmp_ne_u32_e32 vcc_lo, 0, v153
	s_delay_alu instid0(VALU_DEP_2) | instskip(SKIP_1) | instid1(VALU_DEP_4)
	v_cmp_gt_i32_e64 s15, 0, v154
	v_not_b32_e32 v153, v154
	v_not_b32_e32 v154, v157
	s_delay_alu instid0(VALU_DEP_1) | instskip(SKIP_3) | instid1(VALU_DEP_4)
	v_dual_ashrrev_i32 v154, 31, v154 :: v_dual_lshlrev_b32 v158, 28, v155
	v_dual_lshlrev_b32 v159, 27, v155 :: v_dual_lshlrev_b32 v161, 26, v155
	v_dual_lshlrev_b32 v162, 25, v155 :: v_dual_lshlrev_b32 v163, 24, v155
	v_cmp_gt_i32_e64 s16, 0, v157
	v_cmp_gt_i32_e64 s17, 0, v158
	v_not_b32_e32 v157, v158
	v_not_b32_e32 v158, v159
	v_ashrrev_i32_e32 v153, 31, v153
	v_cmp_gt_i32_e64 s18, 0, v159
	v_cmp_gt_i32_e64 s19, 0, v161
	v_not_b32_e32 v159, v161
	v_cmp_gt_i32_e64 s20, 0, v162
	v_not_b32_e32 v161, v162
	v_not_b32_e32 v162, v163
	s_delay_alu instid0(VALU_DEP_4) | instskip(SKIP_3) | instid1(VALU_DEP_3)
	v_dual_ashrrev_i32 v159, 31, v159 :: v_dual_bitop2_b32 v61, vcc_lo, v61 bitop3:0x14
	v_dual_ashrrev_i32 v157, 31, v157 :: v_dual_bitop2_b32 v154, s16, v154 bitop3:0x14
	v_dual_ashrrev_i32 v158, 31, v158 :: v_dual_bitop2_b32 v153, s15, v153 bitop3:0x14
	v_cmp_gt_i32_e64 s21, 0, v163
	v_xor_b32_e32 v157, s17, v157
	v_xor_b32_e32 v159, s19, v159
	s_delay_alu instid0(VALU_DEP_4) | instskip(SKIP_2) | instid1(VALU_DEP_2)
	v_xor_b32_e32 v158, s18, v158
	v_bitop3_b32 v61, v61, v153, exec_lo bitop3:0x80
	v_dual_ashrrev_i32 v153, 31, v161 :: v_dual_ashrrev_i32 v161, 31, v162
	v_bitop3_b32 v61, v61, v157, v154 bitop3:0x80
	v_mad_u32_u24 v154, v155, 36, v23
	s_delay_alu instid0(VALU_DEP_3) | instskip(NEXT) | instid1(VALU_DEP_4)
	v_xor_b32_e32 v157, s20, v153
	v_xor_b32_e32 v161, s21, v161
	v_mul_u32_u24_e32 v155, 36, v155
	v_bitop3_b32 v61, v61, v159, v158 bitop3:0x80
	ds_load_b32 v153, v154 offset:1056
	; wave barrier
	v_add_nc_u32_e32 v155, v23, v155
	v_bitop3_b32 v61, v61, v161, v157 bitop3:0x80
	s_delay_alu instid0(VALU_DEP_1) | instskip(SKIP_1) | instid1(VALU_DEP_2)
	v_mbcnt_lo_u32_b32 v154, v61, 0
	v_cmp_ne_u32_e64 s15, 0, v61
	v_cmp_eq_u32_e32 vcc_lo, 0, v154
	s_and_b32 s16, s15, vcc_lo
	s_delay_alu instid0(SALU_CYCLE_1)
	s_and_saveexec_b32 s15, s16
	s_cbranch_execz .LBB1966_734
; %bb.733:                              ;   in Loop: Header=BB1966_690 Depth=2
	s_wait_dscnt 0x0
	v_bcnt_u32_b32 v61, v61, v153
	ds_store_b32 v155, v61 offset:1056
.LBB1966_734:                           ;   in Loop: Header=BB1966_690 Depth=2
	s_or_b32 exec_lo, exec_lo, s15
	v_cmp_gt_i16_e64 vcc_lo, 0, v152
	; wave barrier
	s_delay_alu instid0(VALU_DEP_1) | instskip(NEXT) | instid1(VALU_DEP_1)
	v_cndmask_b32_e64 v61, 0x7fff, 0, vcc_lo
	v_xor_b32_e32 v152, v61, v152
	s_delay_alu instid0(VALU_DEP_1) | instskip(SKIP_1) | instid1(VALU_DEP_1)
	v_cmp_ne_u16_e64 vcc_lo, 0x8000, v152
	v_cndmask_b32_e32 v61, 0x7fff, v152, vcc_lo
	v_and_b32_e32 v61, 0xffff, v61
	s_delay_alu instid0(VALU_DEP_1) | instskip(NEXT) | instid1(VALU_DEP_1)
	v_lshrrev_b32_e32 v61, s49, v61
	v_bitop3_b32 v157, v61, 1, s52 bitop3:0x80
	v_and_b32_e32 v159, s52, v61
	s_delay_alu instid0(VALU_DEP_2) | instskip(NEXT) | instid1(VALU_DEP_1)
	v_add_co_u32 v61, s15, v157, -1
	v_cndmask_b32_e64 v157, 0, 1, s15
	s_delay_alu instid0(VALU_DEP_3) | instskip(NEXT) | instid1(VALU_DEP_2)
	v_dual_lshlrev_b32 v158, 30, v159 :: v_dual_lshlrev_b32 v161, 29, v159
	v_cmp_ne_u32_e32 vcc_lo, 0, v157
	s_delay_alu instid0(VALU_DEP_2) | instskip(SKIP_1) | instid1(VALU_DEP_4)
	v_cmp_gt_i32_e64 s15, 0, v158
	v_not_b32_e32 v157, v158
	v_not_b32_e32 v158, v161
	s_delay_alu instid0(VALU_DEP_1) | instskip(SKIP_3) | instid1(VALU_DEP_4)
	v_dual_ashrrev_i32 v158, 31, v158 :: v_dual_lshlrev_b32 v162, 28, v159
	v_dual_lshlrev_b32 v163, 27, v159 :: v_dual_lshlrev_b32 v165, 26, v159
	v_dual_lshlrev_b32 v166, 25, v159 :: v_dual_lshlrev_b32 v167, 24, v159
	v_cmp_gt_i32_e64 s16, 0, v161
	v_cmp_gt_i32_e64 s17, 0, v162
	v_not_b32_e32 v161, v162
	v_not_b32_e32 v162, v163
	v_ashrrev_i32_e32 v157, 31, v157
	v_cmp_gt_i32_e64 s18, 0, v163
	v_cmp_gt_i32_e64 s19, 0, v165
	v_not_b32_e32 v163, v165
	v_cmp_gt_i32_e64 s20, 0, v166
	v_not_b32_e32 v165, v166
	v_not_b32_e32 v166, v167
	s_delay_alu instid0(VALU_DEP_4) | instskip(SKIP_3) | instid1(VALU_DEP_3)
	v_dual_ashrrev_i32 v163, 31, v163 :: v_dual_bitop2_b32 v61, vcc_lo, v61 bitop3:0x14
	v_dual_ashrrev_i32 v161, 31, v161 :: v_dual_bitop2_b32 v158, s16, v158 bitop3:0x14
	v_dual_ashrrev_i32 v162, 31, v162 :: v_dual_bitop2_b32 v157, s15, v157 bitop3:0x14
	v_cmp_gt_i32_e64 s21, 0, v167
	v_xor_b32_e32 v161, s17, v161
	v_xor_b32_e32 v163, s19, v163
	s_delay_alu instid0(VALU_DEP_4) | instskip(SKIP_2) | instid1(VALU_DEP_2)
	v_xor_b32_e32 v162, s18, v162
	v_bitop3_b32 v61, v61, v157, exec_lo bitop3:0x80
	v_dual_ashrrev_i32 v157, 31, v165 :: v_dual_ashrrev_i32 v165, 31, v166
	v_bitop3_b32 v61, v61, v161, v158 bitop3:0x80
	v_mad_u32_u24 v158, v159, 36, v23
	s_delay_alu instid0(VALU_DEP_3) | instskip(NEXT) | instid1(VALU_DEP_4)
	v_xor_b32_e32 v161, s20, v157
	v_xor_b32_e32 v165, s21, v165
	v_mul_u32_u24_e32 v159, 36, v159
	v_bitop3_b32 v61, v61, v163, v162 bitop3:0x80
	ds_load_b32 v157, v158 offset:1056
	; wave barrier
	v_add_nc_u32_e32 v159, v23, v159
	v_bitop3_b32 v61, v61, v165, v161 bitop3:0x80
	s_delay_alu instid0(VALU_DEP_1) | instskip(SKIP_1) | instid1(VALU_DEP_2)
	v_mbcnt_lo_u32_b32 v158, v61, 0
	v_cmp_ne_u32_e64 s15, 0, v61
	v_cmp_eq_u32_e32 vcc_lo, 0, v158
	s_and_b32 s16, s15, vcc_lo
	s_delay_alu instid0(SALU_CYCLE_1)
	s_and_saveexec_b32 s15, s16
	s_cbranch_execz .LBB1966_736
; %bb.735:                              ;   in Loop: Header=BB1966_690 Depth=2
	s_wait_dscnt 0x0
	v_bcnt_u32_b32 v61, v61, v157
	ds_store_b32 v159, v61 offset:1056
.LBB1966_736:                           ;   in Loop: Header=BB1966_690 Depth=2
	s_or_b32 exec_lo, exec_lo, s15
	v_cmp_gt_i16_e64 vcc_lo, 0, v156
	; wave barrier
	s_delay_alu instid0(VALU_DEP_1) | instskip(NEXT) | instid1(VALU_DEP_1)
	v_cndmask_b32_e64 v61, 0x7fff, 0, vcc_lo
	v_xor_b32_e32 v156, v61, v156
	s_delay_alu instid0(VALU_DEP_1) | instskip(SKIP_1) | instid1(VALU_DEP_1)
	v_cmp_ne_u16_e64 vcc_lo, 0x8000, v156
	v_cndmask_b32_e32 v61, 0x7fff, v156, vcc_lo
	v_and_b32_e32 v61, 0xffff, v61
	s_delay_alu instid0(VALU_DEP_1) | instskip(NEXT) | instid1(VALU_DEP_1)
	v_lshrrev_b32_e32 v61, s49, v61
	v_bitop3_b32 v161, v61, 1, s52 bitop3:0x80
	v_and_b32_e32 v163, s52, v61
	s_delay_alu instid0(VALU_DEP_2) | instskip(NEXT) | instid1(VALU_DEP_1)
	v_add_co_u32 v61, s15, v161, -1
	v_cndmask_b32_e64 v161, 0, 1, s15
	s_delay_alu instid0(VALU_DEP_3) | instskip(NEXT) | instid1(VALU_DEP_2)
	v_dual_lshlrev_b32 v162, 30, v163 :: v_dual_lshlrev_b32 v165, 29, v163
	v_cmp_ne_u32_e32 vcc_lo, 0, v161
	s_delay_alu instid0(VALU_DEP_2) | instskip(SKIP_1) | instid1(VALU_DEP_4)
	v_cmp_gt_i32_e64 s15, 0, v162
	v_not_b32_e32 v161, v162
	v_not_b32_e32 v162, v165
	s_delay_alu instid0(VALU_DEP_1) | instskip(SKIP_3) | instid1(VALU_DEP_4)
	v_dual_ashrrev_i32 v162, 31, v162 :: v_dual_lshlrev_b32 v166, 28, v163
	v_dual_lshlrev_b32 v167, 27, v163 :: v_dual_lshlrev_b32 v169, 26, v163
	v_dual_lshlrev_b32 v170, 25, v163 :: v_dual_lshlrev_b32 v171, 24, v163
	v_cmp_gt_i32_e64 s16, 0, v165
	v_cmp_gt_i32_e64 s17, 0, v166
	v_not_b32_e32 v165, v166
	v_not_b32_e32 v166, v167
	v_ashrrev_i32_e32 v161, 31, v161
	v_cmp_gt_i32_e64 s18, 0, v167
	v_cmp_gt_i32_e64 s19, 0, v169
	v_not_b32_e32 v167, v169
	v_cmp_gt_i32_e64 s20, 0, v170
	v_not_b32_e32 v169, v170
	v_not_b32_e32 v170, v171
	s_delay_alu instid0(VALU_DEP_4) | instskip(SKIP_3) | instid1(VALU_DEP_3)
	v_dual_ashrrev_i32 v167, 31, v167 :: v_dual_bitop2_b32 v61, vcc_lo, v61 bitop3:0x14
	v_dual_ashrrev_i32 v165, 31, v165 :: v_dual_bitop2_b32 v162, s16, v162 bitop3:0x14
	v_dual_ashrrev_i32 v166, 31, v166 :: v_dual_bitop2_b32 v161, s15, v161 bitop3:0x14
	v_cmp_gt_i32_e64 s21, 0, v171
	v_xor_b32_e32 v165, s17, v165
	v_xor_b32_e32 v167, s19, v167
	s_delay_alu instid0(VALU_DEP_4) | instskip(SKIP_2) | instid1(VALU_DEP_2)
	v_xor_b32_e32 v166, s18, v166
	v_bitop3_b32 v61, v61, v161, exec_lo bitop3:0x80
	v_dual_ashrrev_i32 v161, 31, v169 :: v_dual_ashrrev_i32 v169, 31, v170
	v_bitop3_b32 v61, v61, v165, v162 bitop3:0x80
	v_mad_u32_u24 v162, v163, 36, v23
	s_delay_alu instid0(VALU_DEP_3) | instskip(NEXT) | instid1(VALU_DEP_4)
	v_xor_b32_e32 v165, s20, v161
	v_xor_b32_e32 v169, s21, v169
	v_mul_u32_u24_e32 v163, 36, v163
	v_bitop3_b32 v61, v61, v167, v166 bitop3:0x80
	ds_load_b32 v161, v162 offset:1056
	; wave barrier
	v_add_nc_u32_e32 v163, v23, v163
	v_bitop3_b32 v61, v61, v169, v165 bitop3:0x80
	s_delay_alu instid0(VALU_DEP_1) | instskip(SKIP_1) | instid1(VALU_DEP_2)
	v_mbcnt_lo_u32_b32 v162, v61, 0
	v_cmp_ne_u32_e64 s15, 0, v61
	v_cmp_eq_u32_e32 vcc_lo, 0, v162
	s_and_b32 s16, s15, vcc_lo
	s_delay_alu instid0(SALU_CYCLE_1)
	s_and_saveexec_b32 s15, s16
	s_cbranch_execz .LBB1966_738
; %bb.737:                              ;   in Loop: Header=BB1966_690 Depth=2
	s_wait_dscnt 0x0
	v_bcnt_u32_b32 v61, v61, v161
	ds_store_b32 v163, v61 offset:1056
.LBB1966_738:                           ;   in Loop: Header=BB1966_690 Depth=2
	s_or_b32 exec_lo, exec_lo, s15
	v_cmp_gt_i16_e64 vcc_lo, 0, v160
	; wave barrier
	s_delay_alu instid0(VALU_DEP_1) | instskip(NEXT) | instid1(VALU_DEP_1)
	v_cndmask_b32_e64 v61, 0x7fff, 0, vcc_lo
	v_xor_b32_e32 v160, v61, v160
	s_delay_alu instid0(VALU_DEP_1) | instskip(SKIP_1) | instid1(VALU_DEP_1)
	v_cmp_ne_u16_e64 vcc_lo, 0x8000, v160
	v_cndmask_b32_e32 v61, 0x7fff, v160, vcc_lo
	v_and_b32_e32 v61, 0xffff, v61
	s_delay_alu instid0(VALU_DEP_1) | instskip(NEXT) | instid1(VALU_DEP_1)
	v_lshrrev_b32_e32 v61, s49, v61
	v_bitop3_b32 v165, v61, 1, s52 bitop3:0x80
	v_and_b32_e32 v167, s52, v61
	s_delay_alu instid0(VALU_DEP_2) | instskip(NEXT) | instid1(VALU_DEP_1)
	v_add_co_u32 v61, s15, v165, -1
	v_cndmask_b32_e64 v165, 0, 1, s15
	s_delay_alu instid0(VALU_DEP_3) | instskip(NEXT) | instid1(VALU_DEP_2)
	v_dual_lshlrev_b32 v166, 30, v167 :: v_dual_lshlrev_b32 v169, 29, v167
	v_cmp_ne_u32_e32 vcc_lo, 0, v165
	s_delay_alu instid0(VALU_DEP_2) | instskip(SKIP_1) | instid1(VALU_DEP_4)
	v_cmp_gt_i32_e64 s15, 0, v166
	v_not_b32_e32 v165, v166
	v_not_b32_e32 v166, v169
	s_delay_alu instid0(VALU_DEP_1) | instskip(SKIP_3) | instid1(VALU_DEP_4)
	v_dual_ashrrev_i32 v166, 31, v166 :: v_dual_lshlrev_b32 v170, 28, v167
	v_dual_lshlrev_b32 v171, 27, v167 :: v_dual_lshlrev_b32 v172, 26, v167
	v_cmp_gt_i32_e64 s16, 0, v169
	v_dual_lshlrev_b32 v173, 25, v167 :: v_dual_lshlrev_b32 v174, 24, v167
	v_cmp_gt_i32_e64 s17, 0, v170
	v_not_b32_e32 v169, v170
	v_not_b32_e32 v170, v171
	v_ashrrev_i32_e32 v165, 31, v165
	v_cmp_gt_i32_e64 s18, 0, v171
	v_not_b32_e32 v171, v172
	v_xor_b32_e32 v61, vcc_lo, v61
	v_dual_ashrrev_i32 v169, 31, v169 :: v_dual_bitop2_b32 v166, s16, v166 bitop3:0x14
	v_dual_ashrrev_i32 v170, 31, v170 :: v_dual_bitop2_b32 v165, s15, v165 bitop3:0x14
	v_cmp_gt_i32_e64 s19, 0, v172
	v_cmp_gt_i32_e64 s20, 0, v173
	v_not_b32_e32 v172, v173
	v_not_b32_e32 v173, v174
	v_dual_ashrrev_i32 v171, 31, v171 :: v_dual_bitop2_b32 v169, s17, v169 bitop3:0x14
	v_bitop3_b32 v61, v61, v165, exec_lo bitop3:0x80
	v_cmp_gt_i32_e64 s21, 0, v174
	s_delay_alu instid0(VALU_DEP_4)
	v_dual_ashrrev_i32 v165, 31, v172 :: v_dual_ashrrev_i32 v172, 31, v173
	v_xor_b32_e32 v170, s18, v170
	v_xor_b32_e32 v171, s19, v171
	v_bitop3_b32 v61, v61, v169, v166 bitop3:0x80
	v_mad_u32_u24 v166, v167, 36, v23
	v_xor_b32_e32 v169, s20, v165
	v_xor_b32_e32 v172, s21, v172
	v_mul_u32_u24_e32 v167, 36, v167
	v_bitop3_b32 v61, v61, v171, v170 bitop3:0x80
	ds_load_b32 v165, v166 offset:1056
	; wave barrier
	v_add_nc_u32_e32 v167, v23, v167
	v_bitop3_b32 v61, v61, v172, v169 bitop3:0x80
	s_delay_alu instid0(VALU_DEP_1) | instskip(SKIP_1) | instid1(VALU_DEP_2)
	v_mbcnt_lo_u32_b32 v166, v61, 0
	v_cmp_ne_u32_e64 s15, 0, v61
	v_cmp_eq_u32_e32 vcc_lo, 0, v166
	s_and_b32 s16, s15, vcc_lo
	s_delay_alu instid0(SALU_CYCLE_1)
	s_and_saveexec_b32 s15, s16
	s_cbranch_execz .LBB1966_740
; %bb.739:                              ;   in Loop: Header=BB1966_690 Depth=2
	s_wait_dscnt 0x0
	v_bcnt_u32_b32 v61, v61, v165
	ds_store_b32 v167, v61 offset:1056
.LBB1966_740:                           ;   in Loop: Header=BB1966_690 Depth=2
	s_or_b32 exec_lo, exec_lo, s15
	v_cmp_gt_i16_e64 vcc_lo, 0, v164
	; wave barrier
	s_delay_alu instid0(VALU_DEP_1) | instskip(NEXT) | instid1(VALU_DEP_1)
	v_cndmask_b32_e64 v61, 0x7fff, 0, vcc_lo
	v_xor_b32_e32 v164, v61, v164
	s_delay_alu instid0(VALU_DEP_1) | instskip(SKIP_1) | instid1(VALU_DEP_1)
	v_cmp_ne_u16_e64 vcc_lo, 0x8000, v164
	v_cndmask_b32_e32 v61, 0x7fff, v164, vcc_lo
	v_and_b32_e32 v61, 0xffff, v61
	s_delay_alu instid0(VALU_DEP_1) | instskip(NEXT) | instid1(VALU_DEP_1)
	v_lshrrev_b32_e32 v61, s49, v61
	v_bitop3_b32 v169, v61, 1, s52 bitop3:0x80
	v_and_b32_e32 v171, s52, v61
	s_delay_alu instid0(VALU_DEP_2) | instskip(NEXT) | instid1(VALU_DEP_1)
	v_add_co_u32 v61, s15, v169, -1
	v_cndmask_b32_e64 v169, 0, 1, s15
	s_delay_alu instid0(VALU_DEP_3) | instskip(NEXT) | instid1(VALU_DEP_2)
	v_dual_lshlrev_b32 v170, 30, v171 :: v_dual_lshlrev_b32 v172, 29, v171
	v_cmp_ne_u32_e32 vcc_lo, 0, v169
	s_delay_alu instid0(VALU_DEP_2) | instskip(SKIP_1) | instid1(VALU_DEP_4)
	v_cmp_gt_i32_e64 s15, 0, v170
	v_not_b32_e32 v169, v170
	v_not_b32_e32 v170, v172
	s_delay_alu instid0(VALU_DEP_1) | instskip(SKIP_3) | instid1(VALU_DEP_4)
	v_dual_ashrrev_i32 v170, 31, v170 :: v_dual_lshlrev_b32 v173, 28, v171
	v_dual_lshlrev_b32 v174, 27, v171 :: v_dual_lshlrev_b32 v175, 26, v171
	v_dual_lshlrev_b32 v176, 25, v171 :: v_dual_lshlrev_b32 v177, 24, v171
	v_cmp_gt_i32_e64 s16, 0, v172
	v_not_b32_e32 v172, v173
	v_ashrrev_i32_e32 v169, 31, v169
	v_cmp_gt_i32_e64 s17, 0, v173
	v_cmp_gt_i32_e64 s18, 0, v174
	v_not_b32_e32 v173, v174
	v_cmp_gt_i32_e64 s19, 0, v175
	v_not_b32_e32 v174, v175
	;; [unrolled: 2-line block ×3, first 2 shown]
	v_not_b32_e32 v176, v177
	s_delay_alu instid0(VALU_DEP_4) | instskip(SKIP_3) | instid1(VALU_DEP_3)
	v_dual_ashrrev_i32 v174, 31, v174 :: v_dual_bitop2_b32 v61, vcc_lo, v61 bitop3:0x14
	v_dual_ashrrev_i32 v172, 31, v172 :: v_dual_bitop2_b32 v169, s15, v169 bitop3:0x14
	v_dual_ashrrev_i32 v173, 31, v173 :: v_dual_bitop2_b32 v170, s16, v170 bitop3:0x14
	v_cmp_gt_i32_e64 s21, 0, v177
	v_xor_b32_e32 v172, s17, v172
	s_delay_alu instid0(VALU_DEP_4) | instskip(SKIP_2) | instid1(VALU_DEP_3)
	v_bitop3_b32 v61, v61, v169, exec_lo bitop3:0x80
	v_dual_ashrrev_i32 v169, 31, v175 :: v_dual_ashrrev_i32 v175, 31, v176
	v_xor_b32_e32 v174, s19, v174
	v_bitop3_b32 v61, v61, v172, v170 bitop3:0x80
	v_mad_u32_u24 v170, v171, 36, v23
	v_mul_u32_u24_e32 v171, 36, v171
	v_xor_b32_e32 v173, s18, v173
	v_xor_b32_e32 v172, s20, v169
	;; [unrolled: 1-line block ×3, first 2 shown]
	ds_load_b32 v169, v170 offset:1056
	v_add_nc_u32_e32 v171, v23, v171
	v_bitop3_b32 v61, v61, v174, v173 bitop3:0x80
	; wave barrier
	s_delay_alu instid0(VALU_DEP_1) | instskip(NEXT) | instid1(VALU_DEP_1)
	v_bitop3_b32 v61, v61, v175, v172 bitop3:0x80
	v_mbcnt_lo_u32_b32 v170, v61, 0
	v_cmp_ne_u32_e64 s15, 0, v61
	s_delay_alu instid0(VALU_DEP_2) | instskip(SKIP_1) | instid1(SALU_CYCLE_1)
	v_cmp_eq_u32_e32 vcc_lo, 0, v170
	s_and_b32 s16, s15, vcc_lo
	s_and_saveexec_b32 s15, s16
	s_cbranch_execz .LBB1966_742
; %bb.741:                              ;   in Loop: Header=BB1966_690 Depth=2
	s_wait_dscnt 0x0
	v_bcnt_u32_b32 v61, v61, v169
	ds_store_b32 v171, v61 offset:1056
.LBB1966_742:                           ;   in Loop: Header=BB1966_690 Depth=2
	s_or_b32 exec_lo, exec_lo, s15
	v_cmp_gt_i16_e64 vcc_lo, 0, v168
	; wave barrier
	s_delay_alu instid0(VALU_DEP_1) | instskip(NEXT) | instid1(VALU_DEP_1)
	v_cndmask_b32_e64 v61, 0x7fff, 0, vcc_lo
	v_xor_b32_e32 v168, v61, v168
	s_delay_alu instid0(VALU_DEP_1) | instskip(SKIP_1) | instid1(VALU_DEP_1)
	v_cmp_ne_u16_e64 vcc_lo, 0x8000, v168
	v_cndmask_b32_e32 v61, 0x7fff, v168, vcc_lo
	v_and_b32_e32 v61, 0xffff, v61
	s_delay_alu instid0(VALU_DEP_1) | instskip(NEXT) | instid1(VALU_DEP_1)
	v_lshrrev_b32_e32 v61, s49, v61
	v_bitop3_b32 v172, v61, 1, s52 bitop3:0x80
	v_and_b32_e32 v175, s52, v61
	s_delay_alu instid0(VALU_DEP_2) | instskip(NEXT) | instid1(VALU_DEP_1)
	v_add_co_u32 v61, s15, v172, -1
	v_cndmask_b32_e64 v172, 0, 1, s15
	s_delay_alu instid0(VALU_DEP_3) | instskip(NEXT) | instid1(VALU_DEP_2)
	v_lshlrev_b32_e32 v173, 30, v175
	v_cmp_ne_u32_e32 vcc_lo, 0, v172
	s_delay_alu instid0(VALU_DEP_2) | instskip(NEXT) | instid1(VALU_DEP_1)
	v_not_b32_e32 v172, v173
	v_dual_ashrrev_i32 v172, 31, v172 :: v_dual_lshlrev_b32 v174, 29, v175
	v_dual_lshlrev_b32 v176, 28, v175 :: v_dual_lshlrev_b32 v177, 27, v175
	v_lshlrev_b32_e32 v178, 26, v175
	v_cmp_gt_i32_e64 s15, 0, v173
	s_delay_alu instid0(VALU_DEP_4)
	v_cmp_gt_i32_e64 s16, 0, v174
	v_not_b32_e32 v173, v174
	v_not_b32_e32 v174, v176
	v_dual_lshlrev_b32 v179, 25, v175 :: v_dual_lshlrev_b32 v180, 24, v175
	v_cmp_gt_i32_e64 s17, 0, v176
	v_cmp_gt_i32_e64 s18, 0, v177
	v_not_b32_e32 v176, v177
	v_not_b32_e32 v177, v178
	v_dual_ashrrev_i32 v174, 31, v174 :: v_dual_bitop2_b32 v61, vcc_lo, v61 bitop3:0x14
	v_dual_ashrrev_i32 v173, 31, v173 :: v_dual_bitop2_b32 v172, s15, v172 bitop3:0x14
	v_cmp_gt_i32_e64 s19, 0, v178
	v_cmp_gt_i32_e64 s20, 0, v179
	v_not_b32_e32 v178, v179
	v_not_b32_e32 v179, v180
	v_dual_ashrrev_i32 v176, 31, v176 :: v_dual_ashrrev_i32 v177, 31, v177
	v_xor_b32_e32 v173, s16, v173
	v_xor_b32_e32 v174, s17, v174
	v_bitop3_b32 v61, v61, v172, exec_lo bitop3:0x80
	v_cmp_gt_i32_e64 s21, 0, v180
	v_dual_ashrrev_i32 v172, 31, v178 :: v_dual_ashrrev_i32 v178, 31, v179
	v_xor_b32_e32 v176, s18, v176
	v_xor_b32_e32 v177, s19, v177
	v_bitop3_b32 v61, v61, v174, v173 bitop3:0x80
	v_mad_u32_u24 v173, v175, 36, v23
	v_xor_b32_e32 v172, s20, v172
	v_xor_b32_e32 v174, s21, v178
	s_delay_alu instid0(VALU_DEP_4) | instskip(SKIP_3) | instid1(VALU_DEP_2)
	v_bitop3_b32 v61, v61, v177, v176 bitop3:0x80
	ds_load_b32 v173, v173 offset:1056
	; wave barrier
	v_bitop3_b32 v61, v61, v174, v172 bitop3:0x80
	v_mul_u32_u24_e32 v172, 36, v175
	v_mbcnt_lo_u32_b32 v174, v61, 0
	v_cmp_ne_u32_e64 s15, 0, v61
	s_delay_alu instid0(VALU_DEP_3) | instskip(NEXT) | instid1(VALU_DEP_3)
	v_add_nc_u32_e32 v175, v23, v172
	v_cmp_eq_u32_e32 vcc_lo, 0, v174
	s_and_b32 s16, s15, vcc_lo
	s_delay_alu instid0(SALU_CYCLE_1)
	s_and_saveexec_b32 s15, s16
	s_cbranch_execz .LBB1966_744
; %bb.743:                              ;   in Loop: Header=BB1966_690 Depth=2
	s_wait_dscnt 0x0
	v_bcnt_u32_b32 v61, v61, v173
	ds_store_b32 v175, v61 offset:1056
.LBB1966_744:                           ;   in Loop: Header=BB1966_690 Depth=2
	s_or_b32 exec_lo, exec_lo, s15
	v_cmp_gt_i16_e32 vcc_lo, 0, v67
	; wave barrier
	v_cndmask_b32_e64 v61, 0x7fff, 0, vcc_lo
	s_delay_alu instid0(VALU_DEP_1) | instskip(NEXT) | instid1(VALU_DEP_1)
	v_xor_b32_e32 v172, v61, v67
	v_cmp_ne_u16_e64 vcc_lo, 0x8000, v172
	v_cndmask_b32_e32 v61, 0x7fff, v172, vcc_lo
	s_delay_alu instid0(VALU_DEP_1) | instskip(NEXT) | instid1(VALU_DEP_1)
	v_and_b32_e32 v61, 0xffff, v61
	v_lshrrev_b32_e32 v61, s49, v61
	s_delay_alu instid0(VALU_DEP_1) | instskip(SKIP_1) | instid1(VALU_DEP_2)
	v_bitop3_b32 v67, v61, 1, s52 bitop3:0x80
	v_and_b32_e32 v176, s52, v61
	v_add_co_u32 v61, s15, v67, -1
	s_delay_alu instid0(VALU_DEP_1) | instskip(NEXT) | instid1(VALU_DEP_3)
	v_cndmask_b32_e64 v67, 0, 1, s15
	v_lshlrev_b32_e32 v177, 30, v176
	s_delay_alu instid0(VALU_DEP_2) | instskip(NEXT) | instid1(VALU_DEP_2)
	v_cmp_ne_u32_e32 vcc_lo, 0, v67
	v_not_b32_e32 v67, v177
	s_delay_alu instid0(VALU_DEP_1) | instskip(SKIP_4) | instid1(VALU_DEP_4)
	v_dual_ashrrev_i32 v67, 31, v67 :: v_dual_bitop2_b32 v61, vcc_lo, v61 bitop3:0x14
	v_dual_lshlrev_b32 v178, 29, v176 :: v_dual_lshlrev_b32 v179, 28, v176
	v_dual_lshlrev_b32 v180, 27, v176 :: v_dual_lshlrev_b32 v181, 26, v176
	v_lshlrev_b32_e32 v182, 25, v176
	v_cmp_gt_i32_e64 s15, 0, v177
	v_cmp_gt_i32_e64 s16, 0, v178
	v_not_b32_e32 v177, v178
	v_not_b32_e32 v178, v179
	v_lshlrev_b32_e32 v183, 24, v176
	v_cmp_gt_i32_e64 s17, 0, v179
	v_cmp_gt_i32_e64 s18, 0, v180
	v_not_b32_e32 v179, v180
	v_not_b32_e32 v180, v181
	v_dual_ashrrev_i32 v177, 31, v177 :: v_dual_bitop2_b32 v67, s15, v67 bitop3:0x14
	v_ashrrev_i32_e32 v178, 31, v178
	v_cmp_gt_i32_e64 s19, 0, v181
	v_cmp_gt_i32_e64 s20, 0, v182
	v_not_b32_e32 v181, v182
	v_not_b32_e32 v182, v183
	v_dual_ashrrev_i32 v179, 31, v179 :: v_dual_ashrrev_i32 v180, 31, v180
	v_xor_b32_e32 v177, s16, v177
	v_xor_b32_e32 v178, s17, v178
	v_bitop3_b32 v61, v61, v67, exec_lo bitop3:0x80
	v_cmp_gt_i32_e64 s21, 0, v183
	v_dual_ashrrev_i32 v67, 31, v181 :: v_dual_ashrrev_i32 v181, 31, v182
	v_xor_b32_e32 v179, s18, v179
	v_xor_b32_e32 v180, s19, v180
	v_bitop3_b32 v61, v61, v178, v177 bitop3:0x80
	v_mad_u32_u24 v177, v176, 36, v23
	v_xor_b32_e32 v67, s20, v67
	v_xor_b32_e32 v178, s21, v181
	s_delay_alu instid0(VALU_DEP_4) | instskip(SKIP_3) | instid1(VALU_DEP_2)
	v_bitop3_b32 v61, v61, v180, v179 bitop3:0x80
	ds_load_b32 v177, v177 offset:1056
	; wave barrier
	v_bitop3_b32 v61, v61, v178, v67 bitop3:0x80
	v_mul_u32_u24_e32 v67, 36, v176
	v_mbcnt_lo_u32_b32 v178, v61, 0
	v_cmp_ne_u32_e64 s15, 0, v61
	s_delay_alu instid0(VALU_DEP_3) | instskip(NEXT) | instid1(VALU_DEP_3)
	v_add_nc_u32_e32 v179, v23, v67
	v_cmp_eq_u32_e32 vcc_lo, 0, v178
	s_and_b32 s16, s15, vcc_lo
	s_delay_alu instid0(SALU_CYCLE_1)
	s_and_saveexec_b32 s15, s16
	s_cbranch_execz .LBB1966_746
; %bb.745:                              ;   in Loop: Header=BB1966_690 Depth=2
	s_wait_dscnt 0x0
	v_bcnt_u32_b32 v61, v61, v177
	ds_store_b32 v179, v61 offset:1056
.LBB1966_746:                           ;   in Loop: Header=BB1966_690 Depth=2
	s_or_b32 exec_lo, exec_lo, s15
	v_cmp_gt_i16_e32 vcc_lo, 0, v66
	; wave barrier
	v_cndmask_b32_e64 v61, 0x7fff, 0, vcc_lo
	s_delay_alu instid0(VALU_DEP_1) | instskip(NEXT) | instid1(VALU_DEP_1)
	v_xor_b32_e32 v176, v61, v66
	v_cmp_ne_u16_e64 vcc_lo, 0x8000, v176
	v_cndmask_b32_e32 v61, 0x7fff, v176, vcc_lo
	s_delay_alu instid0(VALU_DEP_1) | instskip(NEXT) | instid1(VALU_DEP_1)
	v_and_b32_e32 v61, 0xffff, v61
	v_lshrrev_b32_e32 v61, s49, v61
	s_delay_alu instid0(VALU_DEP_1) | instskip(SKIP_1) | instid1(VALU_DEP_2)
	v_bitop3_b32 v66, v61, 1, s52 bitop3:0x80
	v_and_b32_e32 v67, s52, v61
	v_add_co_u32 v61, s15, v66, -1
	s_delay_alu instid0(VALU_DEP_1) | instskip(NEXT) | instid1(VALU_DEP_3)
	v_cndmask_b32_e64 v66, 0, 1, s15
	v_lshlrev_b32_e32 v180, 30, v67
	s_delay_alu instid0(VALU_DEP_2) | instskip(NEXT) | instid1(VALU_DEP_2)
	v_cmp_ne_u32_e32 vcc_lo, 0, v66
	v_not_b32_e32 v66, v180
	v_cmp_gt_i32_e64 s15, 0, v180
	s_delay_alu instid0(VALU_DEP_2) | instskip(SKIP_3) | instid1(VALU_DEP_4)
	v_dual_ashrrev_i32 v66, 31, v66 :: v_dual_lshlrev_b32 v181, 29, v67
	v_dual_lshlrev_b32 v182, 28, v67 :: v_dual_lshlrev_b32 v183, 27, v67
	v_dual_lshlrev_b32 v184, 26, v67 :: v_dual_lshlrev_b32 v185, 25, v67
	v_lshlrev_b32_e32 v186, 24, v67
	v_cmp_gt_i32_e64 s16, 0, v181
	v_not_b32_e32 v180, v181
	v_not_b32_e32 v181, v182
	v_cmp_gt_i32_e64 s17, 0, v182
	v_cmp_gt_i32_e64 s18, 0, v183
	v_not_b32_e32 v182, v183
	v_not_b32_e32 v183, v184
	v_dual_ashrrev_i32 v180, 31, v180 :: v_dual_bitop2_b32 v61, vcc_lo, v61 bitop3:0x14
	v_dual_ashrrev_i32 v181, 31, v181 :: v_dual_bitop2_b32 v66, s15, v66 bitop3:0x14
	v_cmp_gt_i32_e64 s19, 0, v184
	v_cmp_gt_i32_e64 s20, 0, v185
	v_not_b32_e32 v184, v185
	v_not_b32_e32 v185, v186
	v_dual_ashrrev_i32 v182, 31, v182 :: v_dual_ashrrev_i32 v183, 31, v183
	v_xor_b32_e32 v180, s16, v180
	v_xor_b32_e32 v181, s17, v181
	v_bitop3_b32 v61, v61, v66, exec_lo bitop3:0x80
	v_cmp_gt_i32_e64 s21, 0, v186
	v_dual_ashrrev_i32 v66, 31, v184 :: v_dual_ashrrev_i32 v184, 31, v185
	v_xor_b32_e32 v182, s18, v182
	v_xor_b32_e32 v183, s19, v183
	v_bitop3_b32 v61, v61, v181, v180 bitop3:0x80
	v_mad_u32_u24 v180, v67, 36, v23
	v_xor_b32_e32 v66, s20, v66
	v_xor_b32_e32 v184, s21, v184
	s_delay_alu instid0(VALU_DEP_4) | instskip(SKIP_3) | instid1(VALU_DEP_2)
	v_bitop3_b32 v61, v61, v183, v182 bitop3:0x80
	ds_load_b32 v181, v180 offset:1056
	; wave barrier
	v_bitop3_b32 v61, v61, v184, v66 bitop3:0x80
	v_mul_u32_u24_e32 v66, 36, v67
	v_mbcnt_lo_u32_b32 v182, v61, 0
	v_cmp_ne_u32_e64 s15, 0, v61
	s_delay_alu instid0(VALU_DEP_3) | instskip(NEXT) | instid1(VALU_DEP_3)
	v_add_nc_u32_e32 v183, v23, v66
	v_cmp_eq_u32_e32 vcc_lo, 0, v182
	s_and_b32 s16, s15, vcc_lo
	s_delay_alu instid0(SALU_CYCLE_1)
	s_and_saveexec_b32 s15, s16
	s_cbranch_execz .LBB1966_748
; %bb.747:                              ;   in Loop: Header=BB1966_690 Depth=2
	s_wait_dscnt 0x0
	v_bcnt_u32_b32 v61, v61, v181
	ds_store_b32 v183, v61 offset:1056
.LBB1966_748:                           ;   in Loop: Header=BB1966_690 Depth=2
	s_or_b32 exec_lo, exec_lo, s15
	v_cmp_gt_i16_e32 vcc_lo, 0, v65
	; wave barrier
	v_cndmask_b32_e64 v61, 0x7fff, 0, vcc_lo
	s_delay_alu instid0(VALU_DEP_1) | instskip(NEXT) | instid1(VALU_DEP_1)
	v_xor_b32_e32 v180, v61, v65
	v_cmp_ne_u16_e64 vcc_lo, 0x8000, v180
	v_cndmask_b32_e32 v61, 0x7fff, v180, vcc_lo
	s_delay_alu instid0(VALU_DEP_1) | instskip(NEXT) | instid1(VALU_DEP_1)
	v_and_b32_e32 v61, 0xffff, v61
	v_lshrrev_b32_e32 v61, s49, v61
	s_delay_alu instid0(VALU_DEP_1) | instskip(NEXT) | instid1(VALU_DEP_1)
	v_and_b32_e32 v66, s52, v61
	v_lshlrev_b32_e32 v185, 28, v66
	v_bitop3_b32 v65, v61, 1, s52 bitop3:0x80
	v_dual_lshlrev_b32 v67, 30, v66 :: v_dual_lshlrev_b32 v184, 29, v66
	s_delay_alu instid0(VALU_DEP_3) | instskip(NEXT) | instid1(VALU_DEP_3)
	v_cmp_gt_i32_e64 s17, 0, v185
	v_add_co_u32 v61, s15, v65, -1
	s_delay_alu instid0(VALU_DEP_1) | instskip(NEXT) | instid1(VALU_DEP_4)
	v_cndmask_b32_e64 v65, 0, 1, s15
	v_cmp_gt_i32_e64 s15, 0, v67
	v_cmp_gt_i32_e64 s16, 0, v184
	s_delay_alu instid0(VALU_DEP_3) | instskip(SKIP_3) | instid1(VALU_DEP_2)
	v_cmp_ne_u32_e32 vcc_lo, 0, v65
	v_not_b32_e32 v65, v67
	v_not_b32_e32 v67, v184
	v_not_b32_e32 v184, v185
	v_dual_ashrrev_i32 v65, 31, v65 :: v_dual_ashrrev_i32 v67, 31, v67
	v_dual_lshlrev_b32 v186, 27, v66 :: v_dual_lshlrev_b32 v187, 26, v66
	v_dual_lshlrev_b32 v188, 25, v66 :: v_dual_lshlrev_b32 v189, 24, v66
	s_delay_alu instid0(VALU_DEP_4) | instskip(NEXT) | instid1(VALU_DEP_3)
	v_ashrrev_i32_e32 v184, 31, v184
	v_cmp_gt_i32_e64 s18, 0, v186
	v_not_b32_e32 v185, v186
	v_cmp_gt_i32_e64 s19, 0, v187
	v_not_b32_e32 v186, v187
	;; [unrolled: 2-line block ×3, first 2 shown]
	v_not_b32_e32 v188, v189
	s_delay_alu instid0(VALU_DEP_4) | instskip(SKIP_4) | instid1(VALU_DEP_4)
	v_dual_ashrrev_i32 v186, 31, v186 :: v_dual_bitop2_b32 v61, vcc_lo, v61 bitop3:0x14
	v_xor_b32_e32 v65, s15, v65
	v_dual_ashrrev_i32 v185, 31, v185 :: v_dual_bitop2_b32 v67, s16, v67 bitop3:0x14
	v_xor_b32_e32 v184, s17, v184
	v_cmp_gt_i32_e64 s21, 0, v189
	v_bitop3_b32 v61, v61, v65, exec_lo bitop3:0x80
	v_dual_ashrrev_i32 v65, 31, v187 :: v_dual_ashrrev_i32 v187, 31, v188
	v_xor_b32_e32 v185, s18, v185
	v_xor_b32_e32 v186, s19, v186
	s_delay_alu instid0(VALU_DEP_4) | instskip(SKIP_3) | instid1(VALU_DEP_4)
	v_bitop3_b32 v61, v61, v184, v67 bitop3:0x80
	v_mad_u32_u24 v67, v66, 36, v23
	v_xor_b32_e32 v65, s20, v65
	v_xor_b32_e32 v184, s21, v187
	v_bitop3_b32 v61, v61, v186, v185 bitop3:0x80
	ds_load_b32 v185, v67 offset:1056
	; wave barrier
	v_bitop3_b32 v61, v61, v184, v65 bitop3:0x80
	v_mul_u32_u24_e32 v65, 36, v66
	s_delay_alu instid0(VALU_DEP_2) | instskip(SKIP_1) | instid1(VALU_DEP_3)
	v_mbcnt_lo_u32_b32 v186, v61, 0
	v_cmp_ne_u32_e64 s15, 0, v61
	v_add_nc_u32_e32 v187, v23, v65
	s_delay_alu instid0(VALU_DEP_3) | instskip(SKIP_1) | instid1(SALU_CYCLE_1)
	v_cmp_eq_u32_e32 vcc_lo, 0, v186
	s_and_b32 s16, s15, vcc_lo
	s_and_saveexec_b32 s15, s16
	s_cbranch_execz .LBB1966_750
; %bb.749:                              ;   in Loop: Header=BB1966_690 Depth=2
	s_wait_dscnt 0x0
	v_bcnt_u32_b32 v61, v61, v185
	ds_store_b32 v187, v61 offset:1056
.LBB1966_750:                           ;   in Loop: Header=BB1966_690 Depth=2
	s_or_b32 exec_lo, exec_lo, s15
	v_cmp_gt_i16_e32 vcc_lo, 0, v64
	; wave barrier
	v_cndmask_b32_e64 v61, 0x7fff, 0, vcc_lo
	s_delay_alu instid0(VALU_DEP_1) | instskip(NEXT) | instid1(VALU_DEP_1)
	v_xor_b32_e32 v184, v61, v64
	v_cmp_ne_u16_e64 vcc_lo, 0x8000, v184
	v_cndmask_b32_e32 v61, 0x7fff, v184, vcc_lo
	s_delay_alu instid0(VALU_DEP_1) | instskip(NEXT) | instid1(VALU_DEP_1)
	v_and_b32_e32 v61, 0xffff, v61
	v_lshrrev_b32_e32 v61, s49, v61
	s_delay_alu instid0(VALU_DEP_1) | instskip(SKIP_1) | instid1(VALU_DEP_2)
	v_bitop3_b32 v64, v61, 1, s52 bitop3:0x80
	v_and_b32_e32 v65, s52, v61
	v_add_co_u32 v61, s15, v64, -1
	s_delay_alu instid0(VALU_DEP_1) | instskip(NEXT) | instid1(VALU_DEP_3)
	v_cndmask_b32_e64 v64, 0, 1, s15
	v_lshlrev_b32_e32 v66, 30, v65
	s_delay_alu instid0(VALU_DEP_2) | instskip(NEXT) | instid1(VALU_DEP_2)
	v_cmp_ne_u32_e32 vcc_lo, 0, v64
	v_not_b32_e32 v64, v66
	v_cmp_gt_i32_e64 s15, 0, v66
	s_delay_alu instid0(VALU_DEP_2) | instskip(SKIP_3) | instid1(VALU_DEP_4)
	v_dual_ashrrev_i32 v64, 31, v64 :: v_dual_lshlrev_b32 v67, 29, v65
	v_dual_lshlrev_b32 v188, 28, v65 :: v_dual_lshlrev_b32 v189, 27, v65
	v_dual_lshlrev_b32 v190, 26, v65 :: v_dual_lshlrev_b32 v191, 25, v65
	v_lshlrev_b32_e32 v192, 24, v65
	v_cmp_gt_i32_e64 s16, 0, v67
	v_not_b32_e32 v66, v67
	v_not_b32_e32 v67, v188
	v_cmp_gt_i32_e64 s17, 0, v188
	v_cmp_gt_i32_e64 s18, 0, v189
	v_not_b32_e32 v188, v189
	v_not_b32_e32 v189, v190
	v_dual_ashrrev_i32 v66, 31, v66 :: v_dual_bitop2_b32 v61, vcc_lo, v61 bitop3:0x14
	v_dual_ashrrev_i32 v67, 31, v67 :: v_dual_bitop2_b32 v64, s15, v64 bitop3:0x14
	v_cmp_gt_i32_e64 s19, 0, v190
	v_cmp_gt_i32_e64 s20, 0, v191
	v_not_b32_e32 v190, v191
	v_not_b32_e32 v191, v192
	v_dual_ashrrev_i32 v188, 31, v188 :: v_dual_ashrrev_i32 v189, 31, v189
	v_xor_b32_e32 v66, s16, v66
	v_xor_b32_e32 v67, s17, v67
	v_bitop3_b32 v61, v61, v64, exec_lo bitop3:0x80
	v_cmp_gt_i32_e64 s21, 0, v192
	v_dual_ashrrev_i32 v64, 31, v190 :: v_dual_ashrrev_i32 v190, 31, v191
	v_xor_b32_e32 v188, s18, v188
	v_xor_b32_e32 v189, s19, v189
	v_bitop3_b32 v61, v61, v67, v66 bitop3:0x80
	v_mad_u32_u24 v66, v65, 36, v23
	v_xor_b32_e32 v64, s20, v64
	v_xor_b32_e32 v67, s21, v190
	s_delay_alu instid0(VALU_DEP_4) | instskip(SKIP_3) | instid1(VALU_DEP_2)
	v_bitop3_b32 v61, v61, v189, v188 bitop3:0x80
	ds_load_b32 v189, v66 offset:1056
	; wave barrier
	v_bitop3_b32 v61, v61, v67, v64 bitop3:0x80
	v_mul_u32_u24_e32 v64, 36, v65
	v_mbcnt_lo_u32_b32 v190, v61, 0
	v_cmp_ne_u32_e64 s15, 0, v61
	s_delay_alu instid0(VALU_DEP_3) | instskip(NEXT) | instid1(VALU_DEP_3)
	v_add_nc_u32_e32 v191, v23, v64
	v_cmp_eq_u32_e32 vcc_lo, 0, v190
	s_and_b32 s16, s15, vcc_lo
	s_delay_alu instid0(SALU_CYCLE_1)
	s_and_saveexec_b32 s15, s16
	s_cbranch_execz .LBB1966_752
; %bb.751:                              ;   in Loop: Header=BB1966_690 Depth=2
	s_wait_dscnt 0x0
	v_bcnt_u32_b32 v61, v61, v189
	ds_store_b32 v191, v61 offset:1056
.LBB1966_752:                           ;   in Loop: Header=BB1966_690 Depth=2
	s_or_b32 exec_lo, exec_lo, s15
	v_cmp_gt_i16_e32 vcc_lo, 0, v63
	; wave barrier
	v_cndmask_b32_e64 v61, 0x7fff, 0, vcc_lo
	s_delay_alu instid0(VALU_DEP_1) | instskip(NEXT) | instid1(VALU_DEP_1)
	v_xor_b32_e32 v188, v61, v63
	v_cmp_ne_u16_e64 vcc_lo, 0x8000, v188
	v_cndmask_b32_e32 v61, 0x7fff, v188, vcc_lo
	s_delay_alu instid0(VALU_DEP_1) | instskip(NEXT) | instid1(VALU_DEP_1)
	v_and_b32_e32 v61, 0xffff, v61
	v_lshrrev_b32_e32 v61, s49, v61
	s_delay_alu instid0(VALU_DEP_1) | instskip(SKIP_1) | instid1(VALU_DEP_2)
	v_bitop3_b32 v63, v61, 1, s52 bitop3:0x80
	v_and_b32_e32 v64, s52, v61
	v_add_co_u32 v61, s15, v63, -1
	s_delay_alu instid0(VALU_DEP_1) | instskip(NEXT) | instid1(VALU_DEP_3)
	v_cndmask_b32_e64 v63, 0, 1, s15
	v_lshlrev_b32_e32 v65, 30, v64
	s_delay_alu instid0(VALU_DEP_2) | instskip(NEXT) | instid1(VALU_DEP_2)
	v_cmp_ne_u32_e32 vcc_lo, 0, v63
	v_not_b32_e32 v63, v65
	s_delay_alu instid0(VALU_DEP_1) | instskip(SKIP_4) | instid1(VALU_DEP_4)
	v_dual_ashrrev_i32 v63, 31, v63 :: v_dual_bitop2_b32 v61, vcc_lo, v61 bitop3:0x14
	v_dual_lshlrev_b32 v66, 29, v64 :: v_dual_lshlrev_b32 v67, 28, v64
	v_dual_lshlrev_b32 v192, 27, v64 :: v_dual_lshlrev_b32 v193, 26, v64
	v_lshlrev_b32_e32 v194, 25, v64
	v_cmp_gt_i32_e64 s15, 0, v65
	v_cmp_gt_i32_e64 s16, 0, v66
	v_not_b32_e32 v65, v66
	v_not_b32_e32 v66, v67
	v_lshlrev_b32_e32 v195, 24, v64
	v_cmp_gt_i32_e64 s17, 0, v67
	v_cmp_gt_i32_e64 s18, 0, v192
	v_not_b32_e32 v67, v192
	v_not_b32_e32 v192, v193
	v_dual_ashrrev_i32 v65, 31, v65 :: v_dual_bitop2_b32 v63, s15, v63 bitop3:0x14
	v_ashrrev_i32_e32 v66, 31, v66
	v_cmp_gt_i32_e64 s19, 0, v193
	v_cmp_gt_i32_e64 s20, 0, v194
	v_not_b32_e32 v193, v194
	v_not_b32_e32 v194, v195
	v_dual_ashrrev_i32 v67, 31, v67 :: v_dual_ashrrev_i32 v192, 31, v192
	v_xor_b32_e32 v65, s16, v65
	v_xor_b32_e32 v66, s17, v66
	v_bitop3_b32 v61, v61, v63, exec_lo bitop3:0x80
	v_cmp_gt_i32_e64 s21, 0, v195
	v_dual_ashrrev_i32 v63, 31, v193 :: v_dual_ashrrev_i32 v193, 31, v194
	v_xor_b32_e32 v67, s18, v67
	v_xor_b32_e32 v192, s19, v192
	v_bitop3_b32 v61, v61, v66, v65 bitop3:0x80
	v_mad_u32_u24 v65, v64, 36, v23
	v_xor_b32_e32 v63, s20, v63
	v_xor_b32_e32 v66, s21, v193
	s_delay_alu instid0(VALU_DEP_4) | instskip(SKIP_3) | instid1(VALU_DEP_2)
	v_bitop3_b32 v61, v61, v192, v67 bitop3:0x80
	ds_load_b32 v193, v65 offset:1056
	; wave barrier
	v_bitop3_b32 v61, v61, v66, v63 bitop3:0x80
	v_mul_u32_u24_e32 v63, 36, v64
	v_mbcnt_lo_u32_b32 v194, v61, 0
	v_cmp_ne_u32_e64 s15, 0, v61
	s_delay_alu instid0(VALU_DEP_3) | instskip(NEXT) | instid1(VALU_DEP_3)
	v_add_nc_u32_e32 v195, v23, v63
	v_cmp_eq_u32_e32 vcc_lo, 0, v194
	s_and_b32 s16, s15, vcc_lo
	s_delay_alu instid0(SALU_CYCLE_1)
	s_and_saveexec_b32 s15, s16
	s_cbranch_execz .LBB1966_754
; %bb.753:                              ;   in Loop: Header=BB1966_690 Depth=2
	s_wait_dscnt 0x0
	v_bcnt_u32_b32 v61, v61, v193
	ds_store_b32 v195, v61 offset:1056
.LBB1966_754:                           ;   in Loop: Header=BB1966_690 Depth=2
	s_or_b32 exec_lo, exec_lo, s15
	v_cmp_gt_i16_e32 vcc_lo, 0, v62
	; wave barrier
	v_cndmask_b32_e64 v61, 0x7fff, 0, vcc_lo
	s_delay_alu instid0(VALU_DEP_1) | instskip(NEXT) | instid1(VALU_DEP_1)
	v_xor_b32_e32 v192, v61, v62
	v_cmp_ne_u16_e64 vcc_lo, 0x8000, v192
	v_cndmask_b32_e32 v61, 0x7fff, v192, vcc_lo
	s_delay_alu instid0(VALU_DEP_1) | instskip(NEXT) | instid1(VALU_DEP_1)
	v_and_b32_e32 v61, 0xffff, v61
	v_lshrrev_b32_e32 v61, s49, v61
	s_delay_alu instid0(VALU_DEP_1) | instskip(SKIP_1) | instid1(VALU_DEP_2)
	v_bitop3_b32 v62, v61, 1, s52 bitop3:0x80
	v_and_b32_e32 v63, s52, v61
	v_add_co_u32 v61, s15, v62, -1
	s_delay_alu instid0(VALU_DEP_1) | instskip(NEXT) | instid1(VALU_DEP_3)
	v_cndmask_b32_e64 v62, 0, 1, s15
	v_lshlrev_b32_e32 v64, 30, v63
	s_delay_alu instid0(VALU_DEP_2) | instskip(NEXT) | instid1(VALU_DEP_2)
	v_cmp_ne_u32_e32 vcc_lo, 0, v62
	v_not_b32_e32 v62, v64
	v_cmp_gt_i32_e64 s15, 0, v64
	s_delay_alu instid0(VALU_DEP_2) | instskip(SKIP_3) | instid1(VALU_DEP_4)
	v_dual_ashrrev_i32 v62, 31, v62 :: v_dual_lshlrev_b32 v65, 29, v63
	v_dual_lshlrev_b32 v66, 28, v63 :: v_dual_lshlrev_b32 v67, 27, v63
	v_dual_lshlrev_b32 v196, 26, v63 :: v_dual_lshlrev_b32 v197, 25, v63
	v_lshlrev_b32_e32 v198, 24, v63
	v_cmp_gt_i32_e64 s16, 0, v65
	v_not_b32_e32 v64, v65
	v_not_b32_e32 v65, v66
	v_cmp_gt_i32_e64 s17, 0, v66
	v_cmp_gt_i32_e64 s18, 0, v67
	v_not_b32_e32 v66, v67
	v_not_b32_e32 v67, v196
	v_dual_ashrrev_i32 v64, 31, v64 :: v_dual_bitop2_b32 v61, vcc_lo, v61 bitop3:0x14
	v_dual_ashrrev_i32 v65, 31, v65 :: v_dual_bitop2_b32 v62, s15, v62 bitop3:0x14
	v_cmp_gt_i32_e64 s19, 0, v196
	v_cmp_gt_i32_e64 s20, 0, v197
	v_not_b32_e32 v196, v197
	v_not_b32_e32 v197, v198
	v_dual_ashrrev_i32 v66, 31, v66 :: v_dual_ashrrev_i32 v67, 31, v67
	v_xor_b32_e32 v64, s16, v64
	v_xor_b32_e32 v65, s17, v65
	v_bitop3_b32 v61, v61, v62, exec_lo bitop3:0x80
	v_cmp_gt_i32_e64 s21, 0, v198
	v_dual_ashrrev_i32 v62, 31, v196 :: v_dual_ashrrev_i32 v196, 31, v197
	v_xor_b32_e32 v66, s18, v66
	v_xor_b32_e32 v67, s19, v67
	v_bitop3_b32 v61, v61, v65, v64 bitop3:0x80
	v_mad_u32_u24 v64, v63, 36, v23
	v_xor_b32_e32 v62, s20, v62
	v_xor_b32_e32 v65, s21, v196
	s_delay_alu instid0(VALU_DEP_4) | instskip(SKIP_3) | instid1(VALU_DEP_2)
	v_bitop3_b32 v61, v61, v67, v66 bitop3:0x80
	ds_load_b32 v197, v64 offset:1056
	; wave barrier
	v_bitop3_b32 v61, v61, v65, v62 bitop3:0x80
	v_mul_u32_u24_e32 v62, 36, v63
	v_mbcnt_lo_u32_b32 v198, v61, 0
	v_cmp_ne_u32_e64 s15, 0, v61
	s_delay_alu instid0(VALU_DEP_3) | instskip(NEXT) | instid1(VALU_DEP_3)
	v_add_nc_u32_e32 v199, v23, v62
	v_cmp_eq_u32_e32 vcc_lo, 0, v198
	s_and_b32 s16, s15, vcc_lo
	s_delay_alu instid0(SALU_CYCLE_1)
	s_and_saveexec_b32 s15, s16
	s_cbranch_execz .LBB1966_756
; %bb.755:                              ;   in Loop: Header=BB1966_690 Depth=2
	s_wait_dscnt 0x0
	v_bcnt_u32_b32 v61, v61, v197
	ds_store_b32 v199, v61 offset:1056
.LBB1966_756:                           ;   in Loop: Header=BB1966_690 Depth=2
	s_or_b32 exec_lo, exec_lo, s15
	v_cmp_gt_i16_e32 vcc_lo, 0, v60
	; wave barrier
	v_cndmask_b32_e64 v61, 0x7fff, 0, vcc_lo
	s_delay_alu instid0(VALU_DEP_1) | instskip(NEXT) | instid1(VALU_DEP_1)
	v_xor_b32_e32 v196, v61, v60
	v_cmp_ne_u16_e64 vcc_lo, 0x8000, v196
	v_cndmask_b32_e32 v60, 0x7fff, v196, vcc_lo
	s_delay_alu instid0(VALU_DEP_1) | instskip(NEXT) | instid1(VALU_DEP_1)
	v_and_b32_e32 v60, 0xffff, v60
	v_lshrrev_b32_e32 v60, s49, v60
	s_delay_alu instid0(VALU_DEP_1) | instskip(SKIP_1) | instid1(VALU_DEP_2)
	v_bitop3_b32 v61, v60, 1, s52 bitop3:0x80
	v_and_b32_e32 v62, s52, v60
	v_add_co_u32 v60, s15, v61, -1
	s_delay_alu instid0(VALU_DEP_1) | instskip(NEXT) | instid1(VALU_DEP_3)
	v_cndmask_b32_e64 v61, 0, 1, s15
	v_lshlrev_b32_e32 v63, 30, v62
	s_delay_alu instid0(VALU_DEP_2) | instskip(NEXT) | instid1(VALU_DEP_2)
	v_cmp_ne_u32_e32 vcc_lo, 0, v61
	v_not_b32_e32 v61, v63
	v_cmp_gt_i32_e64 s15, 0, v63
	s_delay_alu instid0(VALU_DEP_2) | instskip(SKIP_3) | instid1(VALU_DEP_4)
	v_dual_ashrrev_i32 v61, 31, v61 :: v_dual_lshlrev_b32 v64, 29, v62
	v_dual_lshlrev_b32 v65, 28, v62 :: v_dual_lshlrev_b32 v66, 27, v62
	v_dual_lshlrev_b32 v67, 26, v62 :: v_dual_lshlrev_b32 v200, 25, v62
	v_lshlrev_b32_e32 v201, 24, v62
	v_cmp_gt_i32_e64 s16, 0, v64
	v_not_b32_e32 v63, v64
	v_not_b32_e32 v64, v65
	v_cmp_gt_i32_e64 s17, 0, v65
	v_cmp_gt_i32_e64 s18, 0, v66
	v_not_b32_e32 v65, v66
	v_not_b32_e32 v66, v67
	v_dual_ashrrev_i32 v63, 31, v63 :: v_dual_bitop2_b32 v60, vcc_lo, v60 bitop3:0x14
	v_dual_ashrrev_i32 v64, 31, v64 :: v_dual_bitop2_b32 v61, s15, v61 bitop3:0x14
	v_cmp_gt_i32_e64 s19, 0, v67
	v_cmp_gt_i32_e64 s20, 0, v200
	v_not_b32_e32 v67, v200
	v_not_b32_e32 v200, v201
	v_dual_ashrrev_i32 v65, 31, v65 :: v_dual_ashrrev_i32 v66, 31, v66
	v_xor_b32_e32 v63, s16, v63
	v_xor_b32_e32 v64, s17, v64
	v_bitop3_b32 v60, v60, v61, exec_lo bitop3:0x80
	v_cmp_gt_i32_e64 s21, 0, v201
	v_dual_ashrrev_i32 v61, 31, v67 :: v_dual_ashrrev_i32 v67, 31, v200
	v_xor_b32_e32 v65, s18, v65
	v_xor_b32_e32 v66, s19, v66
	v_bitop3_b32 v60, v60, v64, v63 bitop3:0x80
	v_mad_u32_u24 v63, v62, 36, v23
	v_xor_b32_e32 v61, s20, v61
	v_xor_b32_e32 v64, s21, v67
	s_delay_alu instid0(VALU_DEP_4) | instskip(SKIP_3) | instid1(VALU_DEP_2)
	v_bitop3_b32 v60, v60, v66, v65 bitop3:0x80
	ds_load_b32 v200, v63 offset:1056
	; wave barrier
	v_bitop3_b32 v60, v60, v64, v61 bitop3:0x80
	v_mul_u32_u24_e32 v61, 36, v62
	v_mbcnt_lo_u32_b32 v201, v60, 0
	v_cmp_ne_u32_e64 s15, 0, v60
	s_delay_alu instid0(VALU_DEP_3) | instskip(NEXT) | instid1(VALU_DEP_3)
	v_add_nc_u32_e32 v202, v23, v61
	v_cmp_eq_u32_e32 vcc_lo, 0, v201
	s_and_b32 s16, s15, vcc_lo
	s_delay_alu instid0(SALU_CYCLE_1)
	s_and_saveexec_b32 s15, s16
	s_cbranch_execz .LBB1966_758
; %bb.757:                              ;   in Loop: Header=BB1966_690 Depth=2
	s_wait_dscnt 0x0
	v_bcnt_u32_b32 v60, v60, v200
	ds_store_b32 v202, v60 offset:1056
.LBB1966_758:                           ;   in Loop: Header=BB1966_690 Depth=2
	s_or_b32 exec_lo, exec_lo, s15
	; wave barrier
	s_wait_dscnt 0x0
	s_barrier_signal -1
	s_barrier_wait -1
	ds_load_2addr_b32 v[66:67], v118 offset1:1
	ds_load_2addr_b32 v[64:65], v119 offset1:1
	;; [unrolled: 1-line block ×4, first 2 shown]
	ds_load_b32 v203, v91 offset:1088
	s_wait_dscnt 0x3
	v_add3_u32 v204, v67, v66, v64
	s_wait_dscnt 0x2
	s_delay_alu instid0(VALU_DEP_1) | instskip(SKIP_1) | instid1(VALU_DEP_1)
	v_add3_u32 v204, v204, v65, v62
	s_wait_dscnt 0x1
	v_add3_u32 v204, v204, v63, v60
	s_wait_dscnt 0x0
	s_delay_alu instid0(VALU_DEP_1) | instskip(NEXT) | instid1(VALU_DEP_1)
	v_add3_u32 v203, v204, v61, v203
	v_mov_b32_dpp v204, v203 row_shr:1 row_mask:0xf bank_mask:0xf
	s_delay_alu instid0(VALU_DEP_1) | instskip(NEXT) | instid1(VALU_DEP_1)
	v_cndmask_b32_e64 v204, v204, 0, s7
	v_add_nc_u32_e32 v203, v204, v203
	s_delay_alu instid0(VALU_DEP_1) | instskip(NEXT) | instid1(VALU_DEP_1)
	v_mov_b32_dpp v204, v203 row_shr:2 row_mask:0xf bank_mask:0xf
	v_cndmask_b32_e64 v204, 0, v204, s8
	s_delay_alu instid0(VALU_DEP_1) | instskip(NEXT) | instid1(VALU_DEP_1)
	v_add_nc_u32_e32 v203, v203, v204
	v_mov_b32_dpp v204, v203 row_shr:4 row_mask:0xf bank_mask:0xf
	s_delay_alu instid0(VALU_DEP_1) | instskip(NEXT) | instid1(VALU_DEP_1)
	v_cndmask_b32_e64 v204, 0, v204, s9
	v_add_nc_u32_e32 v203, v203, v204
	s_delay_alu instid0(VALU_DEP_1) | instskip(NEXT) | instid1(VALU_DEP_1)
	v_mov_b32_dpp v204, v203 row_shr:8 row_mask:0xf bank_mask:0xf
	v_cndmask_b32_e64 v204, 0, v204, s10
	s_delay_alu instid0(VALU_DEP_1) | instskip(SKIP_3) | instid1(VALU_DEP_1)
	v_add_nc_u32_e32 v203, v203, v204
	ds_swizzle_b32 v204, v203 offset:swizzle(BROADCAST,32,15)
	s_wait_dscnt 0x0
	v_cndmask_b32_e64 v204, v204, 0, s11
	v_add_nc_u32_e32 v203, v203, v204
	s_and_saveexec_b32 s15, s1
; %bb.759:                              ;   in Loop: Header=BB1966_690 Depth=2
	ds_store_b32 v84, v203 offset:1024
; %bb.760:                              ;   in Loop: Header=BB1966_690 Depth=2
	s_or_b32 exec_lo, exec_lo, s15
	s_wait_dscnt 0x0
	s_barrier_signal -1
	s_barrier_wait -1
	s_and_saveexec_b32 s15, s4
	s_cbranch_execz .LBB1966_762
; %bb.761:                              ;   in Loop: Header=BB1966_690 Depth=2
	ds_load_b32 v204, v92 offset:1024
	s_wait_dscnt 0x0
	v_mov_b32_dpp v205, v204 row_shr:1 row_mask:0xf bank_mask:0xf
	s_delay_alu instid0(VALU_DEP_1) | instskip(NEXT) | instid1(VALU_DEP_1)
	v_cndmask_b32_e64 v205, v205, 0, s12
	v_add_nc_u32_e32 v204, v205, v204
	s_delay_alu instid0(VALU_DEP_1) | instskip(NEXT) | instid1(VALU_DEP_1)
	v_mov_b32_dpp v205, v204 row_shr:2 row_mask:0xf bank_mask:0xf
	v_cndmask_b32_e64 v205, 0, v205, s13
	s_delay_alu instid0(VALU_DEP_1) | instskip(NEXT) | instid1(VALU_DEP_1)
	v_add_nc_u32_e32 v204, v204, v205
	v_mov_b32_dpp v205, v204 row_shr:4 row_mask:0xf bank_mask:0xf
	s_delay_alu instid0(VALU_DEP_1) | instskip(NEXT) | instid1(VALU_DEP_1)
	v_cndmask_b32_e64 v205, 0, v205, s14
	v_add_nc_u32_e32 v204, v204, v205
	ds_store_b32 v92, v204 offset:1024
.LBB1966_762:                           ;   in Loop: Header=BB1966_690 Depth=2
	s_or_b32 exec_lo, exec_lo, s15
	v_mov_b32_e32 v204, 0
	s_wait_dscnt 0x0
	s_barrier_signal -1
	s_barrier_wait -1
	s_and_saveexec_b32 s15, s5
; %bb.763:                              ;   in Loop: Header=BB1966_690 Depth=2
	ds_load_b32 v204, v84 offset:1020
; %bb.764:                              ;   in Loop: Header=BB1966_690 Depth=2
	s_or_b32 exec_lo, exec_lo, s15
	s_wait_dscnt 0x0
	v_add_nc_u32_e32 v203, v204, v203
	ds_bpermute_b32 v203, v122, v203
	s_wait_dscnt 0x0
	v_cndmask_b32_e64 v203, v203, v204, s6
	s_delay_alu instid0(VALU_DEP_1) | instskip(NEXT) | instid1(VALU_DEP_1)
	v_cndmask_b32_e64 v203, v203, 0, s2
	v_add_nc_u32_e32 v66, v203, v66
	s_delay_alu instid0(VALU_DEP_1) | instskip(NEXT) | instid1(VALU_DEP_1)
	v_add_nc_u32_e32 v67, v66, v67
	v_add_nc_u32_e32 v64, v67, v64
	s_delay_alu instid0(VALU_DEP_1) | instskip(NEXT) | instid1(VALU_DEP_1)
	v_add_nc_u32_e32 v65, v64, v65
	;; [unrolled: 3-line block ×3, first 2 shown]
	v_add_nc_u32_e32 v60, v63, v60
	s_delay_alu instid0(VALU_DEP_1)
	v_add_nc_u32_e32 v61, v60, v61
	ds_store_2addr_b32 v121, v63, v60 offset1:1
	ds_store_2addr_b32 v118, v203, v66 offset1:1
	;; [unrolled: 1-line block ×4, first 2 shown]
	ds_store_b32 v91, v61 offset:1088
	s_wait_dscnt 0x0
	s_barrier_signal -1
	s_barrier_wait -1
	ds_load_b32 v63, v143 offset:1056
	ds_load_b32 v65, v147 offset:1056
	;; [unrolled: 1-line block ×17, first 2 shown]
	v_mov_b32_e32 v62, 0x1000
	s_and_saveexec_b32 s15, s3
; %bb.765:                              ;   in Loop: Header=BB1966_690 Depth=2
	ds_load_b32 v62, v91 offset:1092
; %bb.766:                              ;   in Loop: Header=BB1966_690 Depth=2
	s_or_b32 exec_lo, exec_lo, s15
	s_wait_dscnt 0x0
	s_barrier_signal -1
	s_barrier_wait -1
	s_and_saveexec_b32 s15, s0
	s_cbranch_execz .LBB1966_768
; %bb.767:                              ;   in Loop: Header=BB1966_690 Depth=2
	ds_load_b32 v155, v3
	s_wait_dscnt 0x0
	v_sub_nc_u32_e32 v151, v155, v151
	ds_store_b32 v3, v151
.LBB1966_768:                           ;   in Loop: Header=BB1966_690 Depth=2
	s_or_b32 exec_lo, exec_lo, s15
	v_add3_u32 v159, v146, v145, v65
	v_add_nc_u32_e32 v163, v63, v142
	v_add3_u32 v155, v150, v149, v66
	v_add3_u32 v151, v154, v153, v67
	;; [unrolled: 1-line block ×4, first 2 shown]
	v_lshlrev_b32_e32 v60, 1, v159
	v_lshlrev_b32_e32 v153, 1, v163
	v_add3_u32 v150, v158, v157, v143
	v_add3_u32 v147, v166, v165, v203
	;; [unrolled: 1-line block ×4, first 2 shown]
	v_lshlrev_b32_e32 v61, 1, v155
	v_add3_u32 v145, v174, v173, v175
	v_lshlrev_b32_e32 v154, 1, v149
	ds_store_b16 v153, v140 offset:1024
	v_lshlrev_b32_e32 v140, 1, v151
	v_add3_u32 v143, v178, v177, v179
	v_lshlrev_b32_e32 v153, 1, v150
	v_add3_u32 v142, v182, v181, v183
	v_add3_u32 v63, v186, v185, v187
	ds_store_b16 v60, v141 offset:1024
	ds_store_b16 v61, v144 offset:1024
	;; [unrolled: 1-line block ×5, first 2 shown]
	v_dual_lshlrev_b32 v60, 1, v147 :: v_dual_lshlrev_b32 v140, 1, v145
	v_lshlrev_b32_e32 v61, 1, v146
	v_add3_u32 v65, v198, v197, v64
	v_dual_lshlrev_b32 v141, 1, v143 :: v_dual_lshlrev_b32 v144, 1, v142
	v_add3_u32 v64, v201, v200, v167
	ds_store_b16 v60, v160 offset:1024
	ds_store_b16 v61, v164 offset:1024
	;; [unrolled: 1-line block ×5, first 2 shown]
	v_dual_lshlrev_b32 v60, 1, v63 :: v_dual_lshlrev_b32 v140, 1, v66
	v_cmp_lt_u32_e32 vcc_lo, v2, v139
	v_dual_lshlrev_b32 v61, 1, v67 :: v_dual_lshlrev_b32 v141, 1, v65
	v_lshlrev_b32_e32 v144, 1, v64
	ds_store_b16 v60, v180 offset:1024
	ds_store_b16 v61, v184 offset:1024
	;; [unrolled: 1-line block ×5, first 2 shown]
	s_wait_dscnt 0x0
	s_barrier_signal -1
	s_barrier_wait -1
	s_and_saveexec_b32 s16, vcc_lo
	s_cbranch_execnz .LBB1966_837
; %bb.769:                              ;   in Loop: Header=BB1966_690 Depth=2
	s_or_b32 exec_lo, exec_lo, s16
	v_cmp_lt_u32_e64 s15, v68, v139
	s_and_saveexec_b32 s17, s15
	s_cbranch_execnz .LBB1966_838
.LBB1966_770:                           ;   in Loop: Header=BB1966_690 Depth=2
	s_or_b32 exec_lo, exec_lo, s17
	v_cmp_lt_u32_e64 s16, v69, v139
	s_and_saveexec_b32 s18, s16
	s_cbranch_execnz .LBB1966_839
.LBB1966_771:                           ;   in Loop: Header=BB1966_690 Depth=2
	s_or_b32 exec_lo, exec_lo, s18
	v_cmp_lt_u32_e64 s17, v70, v139
	s_and_saveexec_b32 s19, s17
	s_cbranch_execnz .LBB1966_840
.LBB1966_772:                           ;   in Loop: Header=BB1966_690 Depth=2
	s_or_b32 exec_lo, exec_lo, s19
	v_cmp_lt_u32_e64 s18, v71, v139
	s_and_saveexec_b32 s20, s18
	s_cbranch_execnz .LBB1966_841
.LBB1966_773:                           ;   in Loop: Header=BB1966_690 Depth=2
	s_or_b32 exec_lo, exec_lo, s20
	v_cmp_lt_u32_e64 s19, v72, v139
	s_and_saveexec_b32 s21, s19
	s_cbranch_execnz .LBB1966_842
.LBB1966_774:                           ;   in Loop: Header=BB1966_690 Depth=2
	s_or_b32 exec_lo, exec_lo, s21
	v_cmp_lt_u32_e64 s20, v73, v139
	s_and_saveexec_b32 s22, s20
	s_cbranch_execnz .LBB1966_843
.LBB1966_775:                           ;   in Loop: Header=BB1966_690 Depth=2
	s_or_b32 exec_lo, exec_lo, s22
	v_cmp_lt_u32_e64 s21, v74, v139
	s_and_saveexec_b32 s23, s21
	s_cbranch_execnz .LBB1966_844
.LBB1966_776:                           ;   in Loop: Header=BB1966_690 Depth=2
	s_or_b32 exec_lo, exec_lo, s23
	v_cmp_lt_u32_e64 s22, v75, v139
	s_and_saveexec_b32 s24, s22
	s_cbranch_execnz .LBB1966_845
.LBB1966_777:                           ;   in Loop: Header=BB1966_690 Depth=2
	s_or_b32 exec_lo, exec_lo, s24
	v_cmp_lt_u32_e64 s23, v76, v139
	s_and_saveexec_b32 s25, s23
	s_cbranch_execnz .LBB1966_846
.LBB1966_778:                           ;   in Loop: Header=BB1966_690 Depth=2
	s_or_b32 exec_lo, exec_lo, s25
	v_cmp_lt_u32_e64 s24, v77, v139
	s_and_saveexec_b32 s26, s24
	s_cbranch_execnz .LBB1966_847
.LBB1966_779:                           ;   in Loop: Header=BB1966_690 Depth=2
	s_or_b32 exec_lo, exec_lo, s26
	v_cmp_lt_u32_e64 s25, v78, v139
	s_and_saveexec_b32 s27, s25
	s_cbranch_execnz .LBB1966_848
.LBB1966_780:                           ;   in Loop: Header=BB1966_690 Depth=2
	s_or_b32 exec_lo, exec_lo, s27
	v_cmp_lt_u32_e64 s26, v79, v139
	s_and_saveexec_b32 s28, s26
	s_cbranch_execnz .LBB1966_849
.LBB1966_781:                           ;   in Loop: Header=BB1966_690 Depth=2
	s_or_b32 exec_lo, exec_lo, s28
	v_cmp_lt_u32_e64 s27, v80, v139
	s_and_saveexec_b32 s29, s27
	s_cbranch_execnz .LBB1966_850
.LBB1966_782:                           ;   in Loop: Header=BB1966_690 Depth=2
	s_or_b32 exec_lo, exec_lo, s29
	v_cmp_lt_u32_e64 s28, v81, v139
	s_and_saveexec_b32 s30, s28
	s_cbranch_execnz .LBB1966_851
.LBB1966_783:                           ;   in Loop: Header=BB1966_690 Depth=2
	s_or_b32 exec_lo, exec_lo, s30
	v_cmp_lt_u32_e64 s29, v82, v139
	s_and_saveexec_b32 s58, s29
	s_cbranch_execz .LBB1966_785
.LBB1966_784:                           ;   in Loop: Header=BB1966_690 Depth=2
	ds_load_u16 v60, v93 offset:8704
	s_wait_dscnt 0x0
	v_cmp_ne_u16_e64 s30, 0x8000, v60
	s_delay_alu instid0(VALU_DEP_1) | instskip(SKIP_1) | instid1(VALU_DEP_2)
	v_cndmask_b32_e64 v61, 0x7fff, v60, s30
	v_cmp_gt_i16_e64 s30, 0, v60
	v_and_b32_e32 v61, 0xffff, v61
	s_delay_alu instid0(VALU_DEP_2) | instskip(NEXT) | instid1(VALU_DEP_1)
	v_cndmask_b32_e64 v140, 0x7fff, 0, s30
	v_dual_lshrrev_b32 v61, s49, v61 :: v_dual_bitop2_b32 v60, v140, v60 bitop3:0x14
	s_delay_alu instid0(VALU_DEP_1) | instskip(NEXT) | instid1(VALU_DEP_1)
	v_and_b32_e32 v61, s52, v61
	v_lshlrev_b32_e32 v61, 2, v61
	ds_load_b32 v61, v61
	s_wait_dscnt 0x0
	v_add_nc_u32_e32 v61, v61, v82
	global_store_b16 v61, v60, s[38:39] scale_offset
.LBB1966_785:                           ;   in Loop: Header=BB1966_690 Depth=2
	s_wait_xcnt 0x0
	s_or_b32 exec_lo, exec_lo, s58
	v_lshl_add_u64 v[60:61], s[42:43], 3, v[24:25]
	v_cmp_lt_u32_e64 s30, v100, v139
	s_and_saveexec_b32 s42, s30
	s_delay_alu instid0(SALU_CYCLE_1)
	s_xor_b32 s30, exec_lo, s42
	s_cbranch_execnz .LBB1966_852
; %bb.786:                              ;   in Loop: Header=BB1966_690 Depth=2
	s_or_b32 exec_lo, exec_lo, s30
	s_delay_alu instid0(SALU_CYCLE_1)
	s_mov_b32 s42, exec_lo
	v_cmpx_lt_u32_e64 v103, v139
	s_cbranch_execnz .LBB1966_853
.LBB1966_787:                           ;   in Loop: Header=BB1966_690 Depth=2
	s_or_b32 exec_lo, exec_lo, s42
	s_delay_alu instid0(SALU_CYCLE_1)
	s_mov_b32 s42, exec_lo
	v_cmpx_lt_u32_e64 v104, v139
	s_cbranch_execnz .LBB1966_854
.LBB1966_788:                           ;   in Loop: Header=BB1966_690 Depth=2
	s_or_b32 exec_lo, exec_lo, s42
	s_delay_alu instid0(SALU_CYCLE_1)
	s_mov_b32 s42, exec_lo
	v_cmpx_lt_u32_e64 v105, v139
	s_cbranch_execnz .LBB1966_855
.LBB1966_789:                           ;   in Loop: Header=BB1966_690 Depth=2
	s_or_b32 exec_lo, exec_lo, s42
	s_delay_alu instid0(SALU_CYCLE_1)
	s_mov_b32 s42, exec_lo
	v_cmpx_lt_u32_e64 v106, v139
	s_cbranch_execnz .LBB1966_856
.LBB1966_790:                           ;   in Loop: Header=BB1966_690 Depth=2
	s_or_b32 exec_lo, exec_lo, s42
	s_delay_alu instid0(SALU_CYCLE_1)
	s_mov_b32 s42, exec_lo
	v_cmpx_lt_u32_e64 v107, v139
	s_cbranch_execnz .LBB1966_857
.LBB1966_791:                           ;   in Loop: Header=BB1966_690 Depth=2
	s_or_b32 exec_lo, exec_lo, s42
	s_delay_alu instid0(SALU_CYCLE_1)
	s_mov_b32 s42, exec_lo
	v_cmpx_lt_u32_e64 v108, v139
	s_cbranch_execnz .LBB1966_858
.LBB1966_792:                           ;   in Loop: Header=BB1966_690 Depth=2
	s_or_b32 exec_lo, exec_lo, s42
	s_delay_alu instid0(SALU_CYCLE_1)
	s_mov_b32 s42, exec_lo
	v_cmpx_lt_u32_e64 v109, v139
	s_cbranch_execnz .LBB1966_859
.LBB1966_793:                           ;   in Loop: Header=BB1966_690 Depth=2
	s_or_b32 exec_lo, exec_lo, s42
	s_delay_alu instid0(SALU_CYCLE_1)
	s_mov_b32 s42, exec_lo
	v_cmpx_lt_u32_e64 v110, v139
	s_cbranch_execnz .LBB1966_860
.LBB1966_794:                           ;   in Loop: Header=BB1966_690 Depth=2
	s_or_b32 exec_lo, exec_lo, s42
	s_delay_alu instid0(SALU_CYCLE_1)
	s_mov_b32 s42, exec_lo
	v_cmpx_lt_u32_e64 v111, v139
	s_cbranch_execnz .LBB1966_861
.LBB1966_795:                           ;   in Loop: Header=BB1966_690 Depth=2
	s_or_b32 exec_lo, exec_lo, s42
	s_delay_alu instid0(SALU_CYCLE_1)
	s_mov_b32 s42, exec_lo
	v_cmpx_lt_u32_e64 v112, v139
	s_cbranch_execnz .LBB1966_862
.LBB1966_796:                           ;   in Loop: Header=BB1966_690 Depth=2
	s_or_b32 exec_lo, exec_lo, s42
	s_delay_alu instid0(SALU_CYCLE_1)
	s_mov_b32 s42, exec_lo
	v_cmpx_lt_u32_e64 v113, v139
	s_cbranch_execnz .LBB1966_863
.LBB1966_797:                           ;   in Loop: Header=BB1966_690 Depth=2
	s_or_b32 exec_lo, exec_lo, s42
	s_delay_alu instid0(SALU_CYCLE_1)
	s_mov_b32 s42, exec_lo
	v_cmpx_lt_u32_e64 v114, v139
	s_cbranch_execnz .LBB1966_864
.LBB1966_798:                           ;   in Loop: Header=BB1966_690 Depth=2
	s_or_b32 exec_lo, exec_lo, s42
	s_delay_alu instid0(SALU_CYCLE_1)
	s_mov_b32 s42, exec_lo
	v_cmpx_lt_u32_e64 v115, v139
	s_cbranch_execnz .LBB1966_865
.LBB1966_799:                           ;   in Loop: Header=BB1966_690 Depth=2
	s_or_b32 exec_lo, exec_lo, s42
	s_delay_alu instid0(SALU_CYCLE_1)
	s_mov_b32 s42, exec_lo
	v_cmpx_lt_u32_e64 v116, v139
	s_cbranch_execnz .LBB1966_866
.LBB1966_800:                           ;   in Loop: Header=BB1966_690 Depth=2
	s_or_b32 exec_lo, exec_lo, s42
	s_delay_alu instid0(SALU_CYCLE_1)
	s_mov_b32 s42, exec_lo
	v_cmpx_lt_u32_e64 v117, v139
	s_cbranch_execnz .LBB1966_867
.LBB1966_801:                           ;   in Loop: Header=BB1966_690 Depth=2
	s_or_b32 exec_lo, exec_lo, s42
	s_and_saveexec_b32 s42, vcc_lo
	s_cbranch_execnz .LBB1966_868
.LBB1966_802:                           ;   in Loop: Header=BB1966_690 Depth=2
	s_or_b32 exec_lo, exec_lo, s42
	s_and_saveexec_b32 s42, s15
	s_cbranch_execnz .LBB1966_869
.LBB1966_803:                           ;   in Loop: Header=BB1966_690 Depth=2
	s_or_b32 exec_lo, exec_lo, s42
	s_and_saveexec_b32 s42, s16
	s_cbranch_execnz .LBB1966_870
.LBB1966_804:                           ;   in Loop: Header=BB1966_690 Depth=2
	s_or_b32 exec_lo, exec_lo, s42
	s_and_saveexec_b32 s42, s17
	s_cbranch_execnz .LBB1966_871
.LBB1966_805:                           ;   in Loop: Header=BB1966_690 Depth=2
	s_or_b32 exec_lo, exec_lo, s42
	s_and_saveexec_b32 s42, s18
	s_cbranch_execnz .LBB1966_872
.LBB1966_806:                           ;   in Loop: Header=BB1966_690 Depth=2
	s_or_b32 exec_lo, exec_lo, s42
	s_and_saveexec_b32 s42, s19
	s_cbranch_execnz .LBB1966_873
.LBB1966_807:                           ;   in Loop: Header=BB1966_690 Depth=2
	s_or_b32 exec_lo, exec_lo, s42
	s_and_saveexec_b32 s42, s20
	s_cbranch_execnz .LBB1966_874
.LBB1966_808:                           ;   in Loop: Header=BB1966_690 Depth=2
	s_or_b32 exec_lo, exec_lo, s42
	s_and_saveexec_b32 s42, s21
	s_cbranch_execnz .LBB1966_875
.LBB1966_809:                           ;   in Loop: Header=BB1966_690 Depth=2
	s_or_b32 exec_lo, exec_lo, s42
	s_and_saveexec_b32 s42, s22
	s_cbranch_execnz .LBB1966_876
.LBB1966_810:                           ;   in Loop: Header=BB1966_690 Depth=2
	s_or_b32 exec_lo, exec_lo, s42
	s_and_saveexec_b32 s42, s23
	s_cbranch_execnz .LBB1966_877
.LBB1966_811:                           ;   in Loop: Header=BB1966_690 Depth=2
	s_or_b32 exec_lo, exec_lo, s42
	s_and_saveexec_b32 s42, s24
	s_cbranch_execnz .LBB1966_878
.LBB1966_812:                           ;   in Loop: Header=BB1966_690 Depth=2
	s_or_b32 exec_lo, exec_lo, s42
	s_and_saveexec_b32 s42, s25
	s_cbranch_execnz .LBB1966_879
.LBB1966_813:                           ;   in Loop: Header=BB1966_690 Depth=2
	s_or_b32 exec_lo, exec_lo, s42
	s_and_saveexec_b32 s42, s26
	s_cbranch_execnz .LBB1966_880
.LBB1966_814:                           ;   in Loop: Header=BB1966_690 Depth=2
	s_or_b32 exec_lo, exec_lo, s42
	s_and_saveexec_b32 s42, s27
	s_cbranch_execnz .LBB1966_881
.LBB1966_815:                           ;   in Loop: Header=BB1966_690 Depth=2
	s_or_b32 exec_lo, exec_lo, s42
	s_and_saveexec_b32 s42, s28
	s_cbranch_execnz .LBB1966_882
.LBB1966_816:                           ;   in Loop: Header=BB1966_690 Depth=2
	s_or_b32 exec_lo, exec_lo, s42
	s_and_saveexec_b32 s42, s29
	s_cbranch_execz .LBB1966_818
.LBB1966_817:                           ;   in Loop: Header=BB1966_690 Depth=2
	ds_load_u16 v60, v93 offset:8704
	s_wait_dscnt 0x0
	v_cmp_ne_u16_e64 s30, 0x8000, v60
	s_delay_alu instid0(VALU_DEP_1) | instskip(NEXT) | instid1(VALU_DEP_1)
	v_cndmask_b32_e64 v60, 0x7fff, v60, s30
	v_and_b32_e32 v60, 0xffff, v60
	s_delay_alu instid0(VALU_DEP_1) | instskip(NEXT) | instid1(VALU_DEP_1)
	v_lshrrev_b32_e32 v60, s49, v60
	v_and_b32_e32 v123, s52, v60
.LBB1966_818:                           ;   in Loop: Header=BB1966_690 Depth=2
	s_or_b32 exec_lo, exec_lo, s42
	v_dual_lshlrev_b32 v60, 3, v163 :: v_dual_lshlrev_b32 v140, 3, v150
	s_wait_loadcnt 0x0
	s_wait_storecnt 0x0
	s_barrier_signal -1
	s_barrier_wait -1
	ds_store_b64 v60, v[58:59] offset:1024
	v_dual_lshlrev_b32 v60, 3, v159 :: v_dual_lshlrev_b32 v141, 3, v149
	v_lshlrev_b32_e32 v61, 3, v155
	v_lshlrev_b32_e32 v139, 3, v151
	ds_store_b64 v60, v[56:57] offset:1024
	ds_store_b64 v61, v[54:55] offset:1024
	;; [unrolled: 1-line block ×5, first 2 shown]
	v_dual_lshlrev_b32 v60, 3, v147 :: v_dual_lshlrev_b32 v141, 3, v142
	v_dual_lshlrev_b32 v61, 3, v146 :: v_dual_lshlrev_b32 v139, 3, v145
	v_lshlrev_b32_e32 v140, 3, v143
	ds_store_b64 v60, v[46:47] offset:1024
	ds_store_b64 v61, v[44:45] offset:1024
	;; [unrolled: 1-line block ×5, first 2 shown]
	v_dual_lshlrev_b32 v60, 3, v63 :: v_dual_lshlrev_b32 v65, 3, v65
	v_dual_lshlrev_b32 v61, 3, v67 :: v_dual_lshlrev_b32 v64, 3, v64
	v_lshlrev_b32_e32 v63, 3, v66
	ds_store_b64 v60, v[36:37] offset:1024
	ds_store_b64 v61, v[34:35] offset:1024
	;; [unrolled: 1-line block ×5, first 2 shown]
	s_wait_dscnt 0x0
	s_barrier_signal -1
	s_barrier_wait -1
	s_and_saveexec_b32 s30, vcc_lo
	s_cbranch_execnz .LBB1966_883
; %bb.819:                              ;   in Loop: Header=BB1966_690 Depth=2
	s_or_b32 exec_lo, exec_lo, s30
	s_and_saveexec_b32 s30, s15
	s_cbranch_execnz .LBB1966_884
.LBB1966_820:                           ;   in Loop: Header=BB1966_690 Depth=2
	s_or_b32 exec_lo, exec_lo, s30
	s_and_saveexec_b32 s15, s16
	s_cbranch_execnz .LBB1966_885
.LBB1966_821:                           ;   in Loop: Header=BB1966_690 Depth=2
	s_or_b32 exec_lo, exec_lo, s15
	s_and_saveexec_b32 s15, s17
	s_cbranch_execnz .LBB1966_886
.LBB1966_822:                           ;   in Loop: Header=BB1966_690 Depth=2
	s_or_b32 exec_lo, exec_lo, s15
	s_and_saveexec_b32 s15, s18
	s_cbranch_execnz .LBB1966_887
.LBB1966_823:                           ;   in Loop: Header=BB1966_690 Depth=2
	s_or_b32 exec_lo, exec_lo, s15
	s_and_saveexec_b32 s15, s19
	s_cbranch_execnz .LBB1966_888
.LBB1966_824:                           ;   in Loop: Header=BB1966_690 Depth=2
	s_or_b32 exec_lo, exec_lo, s15
	s_and_saveexec_b32 s15, s20
	s_cbranch_execnz .LBB1966_889
.LBB1966_825:                           ;   in Loop: Header=BB1966_690 Depth=2
	s_or_b32 exec_lo, exec_lo, s15
	s_and_saveexec_b32 s15, s21
	s_cbranch_execnz .LBB1966_890
.LBB1966_826:                           ;   in Loop: Header=BB1966_690 Depth=2
	s_or_b32 exec_lo, exec_lo, s15
	s_and_saveexec_b32 s15, s22
	s_cbranch_execnz .LBB1966_891
.LBB1966_827:                           ;   in Loop: Header=BB1966_690 Depth=2
	s_or_b32 exec_lo, exec_lo, s15
	s_and_saveexec_b32 s15, s23
	s_cbranch_execnz .LBB1966_892
.LBB1966_828:                           ;   in Loop: Header=BB1966_690 Depth=2
	s_or_b32 exec_lo, exec_lo, s15
	s_and_saveexec_b32 s15, s24
	s_cbranch_execnz .LBB1966_893
.LBB1966_829:                           ;   in Loop: Header=BB1966_690 Depth=2
	s_or_b32 exec_lo, exec_lo, s15
	s_and_saveexec_b32 s15, s25
	s_cbranch_execnz .LBB1966_894
.LBB1966_830:                           ;   in Loop: Header=BB1966_690 Depth=2
	s_or_b32 exec_lo, exec_lo, s15
	s_and_saveexec_b32 s15, s26
	s_cbranch_execnz .LBB1966_895
.LBB1966_831:                           ;   in Loop: Header=BB1966_690 Depth=2
	s_or_b32 exec_lo, exec_lo, s15
	s_and_saveexec_b32 s15, s27
	s_cbranch_execnz .LBB1966_896
.LBB1966_832:                           ;   in Loop: Header=BB1966_690 Depth=2
	s_or_b32 exec_lo, exec_lo, s15
	s_and_saveexec_b32 s15, s28
	s_cbranch_execnz .LBB1966_897
.LBB1966_833:                           ;   in Loop: Header=BB1966_690 Depth=2
	s_or_b32 exec_lo, exec_lo, s15
	s_and_saveexec_b32 s15, s29
	s_cbranch_execz .LBB1966_835
.LBB1966_834:                           ;   in Loop: Header=BB1966_690 Depth=2
	v_dual_lshlrev_b32 v60, 2, v123 :: v_dual_add_nc_u32 v61, v93, v94
	ds_load_b32 v63, v60
	ds_load_b64 v[60:61], v61 offset:31744
	s_wait_dscnt 0x1
	v_add_nc_u32_e32 v63, v63, v82
	s_wait_dscnt 0x0
	global_store_b64 v63, v[60:61], s[44:45] scale_offset
.LBB1966_835:                           ;   in Loop: Header=BB1966_690 Depth=2
	s_wait_xcnt 0x0
	s_or_b32 exec_lo, exec_lo, s15
	s_wait_storecnt 0x0
	s_barrier_signal -1
	s_barrier_wait -1
	s_and_saveexec_b32 s15, s0
	s_cbranch_execz .LBB1966_689
; %bb.836:                              ;   in Loop: Header=BB1966_690 Depth=2
	ds_load_b32 v60, v3
	s_wait_dscnt 0x0
	v_add_nc_u32_e32 v60, v60, v62
	ds_store_b32 v3, v60
	s_branch .LBB1966_689
.LBB1966_837:                           ;   in Loop: Header=BB1966_690 Depth=2
	ds_load_u16 v60, v93 offset:1024
	s_wait_dscnt 0x0
	v_cmp_ne_u16_e64 s15, 0x8000, v60
	s_delay_alu instid0(VALU_DEP_1) | instskip(SKIP_1) | instid1(VALU_DEP_2)
	v_cndmask_b32_e64 v61, 0x7fff, v60, s15
	v_cmp_gt_i16_e64 s15, 0, v60
	v_and_b32_e32 v61, 0xffff, v61
	s_delay_alu instid0(VALU_DEP_2) | instskip(NEXT) | instid1(VALU_DEP_1)
	v_cndmask_b32_e64 v140, 0x7fff, 0, s15
	v_dual_lshrrev_b32 v61, s49, v61 :: v_dual_bitop2_b32 v60, v140, v60 bitop3:0x14
	s_delay_alu instid0(VALU_DEP_1) | instskip(NEXT) | instid1(VALU_DEP_1)
	v_and_b32_e32 v61, s52, v61
	v_lshlrev_b32_e32 v61, 2, v61
	ds_load_b32 v61, v61
	s_wait_dscnt 0x0
	v_add_nc_u32_e32 v61, v61, v2
	global_store_b16 v61, v60, s[38:39] scale_offset
	s_wait_xcnt 0x0
	s_or_b32 exec_lo, exec_lo, s16
	v_cmp_lt_u32_e64 s15, v68, v139
	s_and_saveexec_b32 s17, s15
	s_cbranch_execz .LBB1966_770
.LBB1966_838:                           ;   in Loop: Header=BB1966_690 Depth=2
	ds_load_u16 v60, v93 offset:1536
	s_wait_dscnt 0x0
	v_cmp_ne_u16_e64 s16, 0x8000, v60
	s_delay_alu instid0(VALU_DEP_1) | instskip(SKIP_1) | instid1(VALU_DEP_2)
	v_cndmask_b32_e64 v61, 0x7fff, v60, s16
	v_cmp_gt_i16_e64 s16, 0, v60
	v_and_b32_e32 v61, 0xffff, v61
	s_delay_alu instid0(VALU_DEP_2) | instskip(NEXT) | instid1(VALU_DEP_1)
	v_cndmask_b32_e64 v140, 0x7fff, 0, s16
	v_dual_lshrrev_b32 v61, s49, v61 :: v_dual_bitop2_b32 v60, v140, v60 bitop3:0x14
	s_delay_alu instid0(VALU_DEP_1) | instskip(NEXT) | instid1(VALU_DEP_1)
	v_and_b32_e32 v61, s52, v61
	v_lshlrev_b32_e32 v61, 2, v61
	ds_load_b32 v61, v61
	s_wait_dscnt 0x0
	v_add_nc_u32_e32 v61, v61, v68
	global_store_b16 v61, v60, s[38:39] scale_offset
	s_wait_xcnt 0x0
	s_or_b32 exec_lo, exec_lo, s17
	v_cmp_lt_u32_e64 s16, v69, v139
	s_and_saveexec_b32 s18, s16
	s_cbranch_execz .LBB1966_771
.LBB1966_839:                           ;   in Loop: Header=BB1966_690 Depth=2
	ds_load_u16 v60, v93 offset:2048
	s_wait_dscnt 0x0
	v_cmp_ne_u16_e64 s17, 0x8000, v60
	s_delay_alu instid0(VALU_DEP_1) | instskip(SKIP_1) | instid1(VALU_DEP_2)
	v_cndmask_b32_e64 v61, 0x7fff, v60, s17
	v_cmp_gt_i16_e64 s17, 0, v60
	v_and_b32_e32 v61, 0xffff, v61
	s_delay_alu instid0(VALU_DEP_2) | instskip(NEXT) | instid1(VALU_DEP_1)
	v_cndmask_b32_e64 v140, 0x7fff, 0, s17
	v_dual_lshrrev_b32 v61, s49, v61 :: v_dual_bitop2_b32 v60, v140, v60 bitop3:0x14
	s_delay_alu instid0(VALU_DEP_1) | instskip(NEXT) | instid1(VALU_DEP_1)
	v_and_b32_e32 v61, s52, v61
	v_lshlrev_b32_e32 v61, 2, v61
	ds_load_b32 v61, v61
	s_wait_dscnt 0x0
	v_add_nc_u32_e32 v61, v61, v69
	global_store_b16 v61, v60, s[38:39] scale_offset
	s_wait_xcnt 0x0
	s_or_b32 exec_lo, exec_lo, s18
	v_cmp_lt_u32_e64 s17, v70, v139
	s_and_saveexec_b32 s19, s17
	s_cbranch_execz .LBB1966_772
.LBB1966_840:                           ;   in Loop: Header=BB1966_690 Depth=2
	ds_load_u16 v60, v93 offset:2560
	s_wait_dscnt 0x0
	v_cmp_ne_u16_e64 s18, 0x8000, v60
	s_delay_alu instid0(VALU_DEP_1) | instskip(SKIP_1) | instid1(VALU_DEP_2)
	v_cndmask_b32_e64 v61, 0x7fff, v60, s18
	v_cmp_gt_i16_e64 s18, 0, v60
	v_and_b32_e32 v61, 0xffff, v61
	s_delay_alu instid0(VALU_DEP_2) | instskip(NEXT) | instid1(VALU_DEP_1)
	v_cndmask_b32_e64 v140, 0x7fff, 0, s18
	v_dual_lshrrev_b32 v61, s49, v61 :: v_dual_bitop2_b32 v60, v140, v60 bitop3:0x14
	s_delay_alu instid0(VALU_DEP_1) | instskip(NEXT) | instid1(VALU_DEP_1)
	v_and_b32_e32 v61, s52, v61
	v_lshlrev_b32_e32 v61, 2, v61
	ds_load_b32 v61, v61
	s_wait_dscnt 0x0
	v_add_nc_u32_e32 v61, v61, v70
	global_store_b16 v61, v60, s[38:39] scale_offset
	s_wait_xcnt 0x0
	s_or_b32 exec_lo, exec_lo, s19
	v_cmp_lt_u32_e64 s18, v71, v139
	s_and_saveexec_b32 s20, s18
	s_cbranch_execz .LBB1966_773
.LBB1966_841:                           ;   in Loop: Header=BB1966_690 Depth=2
	ds_load_u16 v60, v93 offset:3072
	s_wait_dscnt 0x0
	v_cmp_ne_u16_e64 s19, 0x8000, v60
	s_delay_alu instid0(VALU_DEP_1) | instskip(SKIP_1) | instid1(VALU_DEP_2)
	v_cndmask_b32_e64 v61, 0x7fff, v60, s19
	v_cmp_gt_i16_e64 s19, 0, v60
	v_and_b32_e32 v61, 0xffff, v61
	s_delay_alu instid0(VALU_DEP_2) | instskip(NEXT) | instid1(VALU_DEP_1)
	v_cndmask_b32_e64 v140, 0x7fff, 0, s19
	v_dual_lshrrev_b32 v61, s49, v61 :: v_dual_bitop2_b32 v60, v140, v60 bitop3:0x14
	s_delay_alu instid0(VALU_DEP_1) | instskip(NEXT) | instid1(VALU_DEP_1)
	v_and_b32_e32 v61, s52, v61
	v_lshlrev_b32_e32 v61, 2, v61
	ds_load_b32 v61, v61
	s_wait_dscnt 0x0
	v_add_nc_u32_e32 v61, v61, v71
	global_store_b16 v61, v60, s[38:39] scale_offset
	s_wait_xcnt 0x0
	s_or_b32 exec_lo, exec_lo, s20
	v_cmp_lt_u32_e64 s19, v72, v139
	s_and_saveexec_b32 s21, s19
	s_cbranch_execz .LBB1966_774
.LBB1966_842:                           ;   in Loop: Header=BB1966_690 Depth=2
	ds_load_u16 v60, v93 offset:3584
	s_wait_dscnt 0x0
	v_cmp_ne_u16_e64 s20, 0x8000, v60
	s_delay_alu instid0(VALU_DEP_1) | instskip(SKIP_1) | instid1(VALU_DEP_2)
	v_cndmask_b32_e64 v61, 0x7fff, v60, s20
	v_cmp_gt_i16_e64 s20, 0, v60
	v_and_b32_e32 v61, 0xffff, v61
	s_delay_alu instid0(VALU_DEP_2) | instskip(NEXT) | instid1(VALU_DEP_1)
	v_cndmask_b32_e64 v140, 0x7fff, 0, s20
	v_dual_lshrrev_b32 v61, s49, v61 :: v_dual_bitop2_b32 v60, v140, v60 bitop3:0x14
	s_delay_alu instid0(VALU_DEP_1) | instskip(NEXT) | instid1(VALU_DEP_1)
	v_and_b32_e32 v61, s52, v61
	v_lshlrev_b32_e32 v61, 2, v61
	ds_load_b32 v61, v61
	s_wait_dscnt 0x0
	v_add_nc_u32_e32 v61, v61, v72
	global_store_b16 v61, v60, s[38:39] scale_offset
	s_wait_xcnt 0x0
	s_or_b32 exec_lo, exec_lo, s21
	v_cmp_lt_u32_e64 s20, v73, v139
	s_and_saveexec_b32 s22, s20
	s_cbranch_execz .LBB1966_775
.LBB1966_843:                           ;   in Loop: Header=BB1966_690 Depth=2
	ds_load_u16 v60, v93 offset:4096
	s_wait_dscnt 0x0
	v_cmp_ne_u16_e64 s21, 0x8000, v60
	s_delay_alu instid0(VALU_DEP_1) | instskip(SKIP_1) | instid1(VALU_DEP_2)
	v_cndmask_b32_e64 v61, 0x7fff, v60, s21
	v_cmp_gt_i16_e64 s21, 0, v60
	v_and_b32_e32 v61, 0xffff, v61
	s_delay_alu instid0(VALU_DEP_2) | instskip(NEXT) | instid1(VALU_DEP_1)
	v_cndmask_b32_e64 v140, 0x7fff, 0, s21
	v_dual_lshrrev_b32 v61, s49, v61 :: v_dual_bitop2_b32 v60, v140, v60 bitop3:0x14
	s_delay_alu instid0(VALU_DEP_1) | instskip(NEXT) | instid1(VALU_DEP_1)
	v_and_b32_e32 v61, s52, v61
	v_lshlrev_b32_e32 v61, 2, v61
	ds_load_b32 v61, v61
	s_wait_dscnt 0x0
	v_add_nc_u32_e32 v61, v61, v73
	global_store_b16 v61, v60, s[38:39] scale_offset
	s_wait_xcnt 0x0
	s_or_b32 exec_lo, exec_lo, s22
	v_cmp_lt_u32_e64 s21, v74, v139
	s_and_saveexec_b32 s23, s21
	s_cbranch_execz .LBB1966_776
.LBB1966_844:                           ;   in Loop: Header=BB1966_690 Depth=2
	ds_load_u16 v60, v93 offset:4608
	s_wait_dscnt 0x0
	v_cmp_ne_u16_e64 s22, 0x8000, v60
	s_delay_alu instid0(VALU_DEP_1) | instskip(SKIP_1) | instid1(VALU_DEP_2)
	v_cndmask_b32_e64 v61, 0x7fff, v60, s22
	v_cmp_gt_i16_e64 s22, 0, v60
	v_and_b32_e32 v61, 0xffff, v61
	s_delay_alu instid0(VALU_DEP_2) | instskip(NEXT) | instid1(VALU_DEP_1)
	v_cndmask_b32_e64 v140, 0x7fff, 0, s22
	v_dual_lshrrev_b32 v61, s49, v61 :: v_dual_bitop2_b32 v60, v140, v60 bitop3:0x14
	s_delay_alu instid0(VALU_DEP_1) | instskip(NEXT) | instid1(VALU_DEP_1)
	v_and_b32_e32 v61, s52, v61
	v_lshlrev_b32_e32 v61, 2, v61
	ds_load_b32 v61, v61
	s_wait_dscnt 0x0
	v_add_nc_u32_e32 v61, v61, v74
	global_store_b16 v61, v60, s[38:39] scale_offset
	s_wait_xcnt 0x0
	s_or_b32 exec_lo, exec_lo, s23
	v_cmp_lt_u32_e64 s22, v75, v139
	s_and_saveexec_b32 s24, s22
	s_cbranch_execz .LBB1966_777
.LBB1966_845:                           ;   in Loop: Header=BB1966_690 Depth=2
	ds_load_u16 v60, v93 offset:5120
	s_wait_dscnt 0x0
	v_cmp_ne_u16_e64 s23, 0x8000, v60
	s_delay_alu instid0(VALU_DEP_1) | instskip(SKIP_1) | instid1(VALU_DEP_2)
	v_cndmask_b32_e64 v61, 0x7fff, v60, s23
	v_cmp_gt_i16_e64 s23, 0, v60
	v_and_b32_e32 v61, 0xffff, v61
	s_delay_alu instid0(VALU_DEP_2) | instskip(NEXT) | instid1(VALU_DEP_1)
	v_cndmask_b32_e64 v140, 0x7fff, 0, s23
	v_dual_lshrrev_b32 v61, s49, v61 :: v_dual_bitop2_b32 v60, v140, v60 bitop3:0x14
	s_delay_alu instid0(VALU_DEP_1) | instskip(NEXT) | instid1(VALU_DEP_1)
	v_and_b32_e32 v61, s52, v61
	v_lshlrev_b32_e32 v61, 2, v61
	ds_load_b32 v61, v61
	s_wait_dscnt 0x0
	v_add_nc_u32_e32 v61, v61, v75
	global_store_b16 v61, v60, s[38:39] scale_offset
	s_wait_xcnt 0x0
	s_or_b32 exec_lo, exec_lo, s24
	v_cmp_lt_u32_e64 s23, v76, v139
	s_and_saveexec_b32 s25, s23
	s_cbranch_execz .LBB1966_778
.LBB1966_846:                           ;   in Loop: Header=BB1966_690 Depth=2
	ds_load_u16 v60, v93 offset:5632
	s_wait_dscnt 0x0
	v_cmp_ne_u16_e64 s24, 0x8000, v60
	s_delay_alu instid0(VALU_DEP_1) | instskip(SKIP_1) | instid1(VALU_DEP_2)
	v_cndmask_b32_e64 v61, 0x7fff, v60, s24
	v_cmp_gt_i16_e64 s24, 0, v60
	v_and_b32_e32 v61, 0xffff, v61
	s_delay_alu instid0(VALU_DEP_2) | instskip(NEXT) | instid1(VALU_DEP_1)
	v_cndmask_b32_e64 v140, 0x7fff, 0, s24
	v_dual_lshrrev_b32 v61, s49, v61 :: v_dual_bitop2_b32 v60, v140, v60 bitop3:0x14
	s_delay_alu instid0(VALU_DEP_1) | instskip(NEXT) | instid1(VALU_DEP_1)
	v_and_b32_e32 v61, s52, v61
	v_lshlrev_b32_e32 v61, 2, v61
	ds_load_b32 v61, v61
	s_wait_dscnt 0x0
	v_add_nc_u32_e32 v61, v61, v76
	global_store_b16 v61, v60, s[38:39] scale_offset
	s_wait_xcnt 0x0
	s_or_b32 exec_lo, exec_lo, s25
	v_cmp_lt_u32_e64 s24, v77, v139
	s_and_saveexec_b32 s26, s24
	s_cbranch_execz .LBB1966_779
.LBB1966_847:                           ;   in Loop: Header=BB1966_690 Depth=2
	ds_load_u16 v60, v93 offset:6144
	s_wait_dscnt 0x0
	v_cmp_ne_u16_e64 s25, 0x8000, v60
	s_delay_alu instid0(VALU_DEP_1) | instskip(SKIP_1) | instid1(VALU_DEP_2)
	v_cndmask_b32_e64 v61, 0x7fff, v60, s25
	v_cmp_gt_i16_e64 s25, 0, v60
	v_and_b32_e32 v61, 0xffff, v61
	s_delay_alu instid0(VALU_DEP_2) | instskip(NEXT) | instid1(VALU_DEP_1)
	v_cndmask_b32_e64 v140, 0x7fff, 0, s25
	v_dual_lshrrev_b32 v61, s49, v61 :: v_dual_bitop2_b32 v60, v140, v60 bitop3:0x14
	s_delay_alu instid0(VALU_DEP_1) | instskip(NEXT) | instid1(VALU_DEP_1)
	v_and_b32_e32 v61, s52, v61
	v_lshlrev_b32_e32 v61, 2, v61
	ds_load_b32 v61, v61
	s_wait_dscnt 0x0
	v_add_nc_u32_e32 v61, v61, v77
	global_store_b16 v61, v60, s[38:39] scale_offset
	s_wait_xcnt 0x0
	s_or_b32 exec_lo, exec_lo, s26
	v_cmp_lt_u32_e64 s25, v78, v139
	s_and_saveexec_b32 s27, s25
	s_cbranch_execz .LBB1966_780
.LBB1966_848:                           ;   in Loop: Header=BB1966_690 Depth=2
	ds_load_u16 v60, v93 offset:6656
	s_wait_dscnt 0x0
	v_cmp_ne_u16_e64 s26, 0x8000, v60
	s_delay_alu instid0(VALU_DEP_1) | instskip(SKIP_1) | instid1(VALU_DEP_2)
	v_cndmask_b32_e64 v61, 0x7fff, v60, s26
	v_cmp_gt_i16_e64 s26, 0, v60
	v_and_b32_e32 v61, 0xffff, v61
	s_delay_alu instid0(VALU_DEP_2) | instskip(NEXT) | instid1(VALU_DEP_1)
	v_cndmask_b32_e64 v140, 0x7fff, 0, s26
	v_dual_lshrrev_b32 v61, s49, v61 :: v_dual_bitop2_b32 v60, v140, v60 bitop3:0x14
	s_delay_alu instid0(VALU_DEP_1) | instskip(NEXT) | instid1(VALU_DEP_1)
	v_and_b32_e32 v61, s52, v61
	v_lshlrev_b32_e32 v61, 2, v61
	ds_load_b32 v61, v61
	s_wait_dscnt 0x0
	v_add_nc_u32_e32 v61, v61, v78
	global_store_b16 v61, v60, s[38:39] scale_offset
	s_wait_xcnt 0x0
	s_or_b32 exec_lo, exec_lo, s27
	v_cmp_lt_u32_e64 s26, v79, v139
	s_and_saveexec_b32 s28, s26
	s_cbranch_execz .LBB1966_781
.LBB1966_849:                           ;   in Loop: Header=BB1966_690 Depth=2
	ds_load_u16 v60, v93 offset:7168
	s_wait_dscnt 0x0
	v_cmp_ne_u16_e64 s27, 0x8000, v60
	s_delay_alu instid0(VALU_DEP_1) | instskip(SKIP_1) | instid1(VALU_DEP_2)
	v_cndmask_b32_e64 v61, 0x7fff, v60, s27
	v_cmp_gt_i16_e64 s27, 0, v60
	v_and_b32_e32 v61, 0xffff, v61
	s_delay_alu instid0(VALU_DEP_2) | instskip(NEXT) | instid1(VALU_DEP_1)
	v_cndmask_b32_e64 v140, 0x7fff, 0, s27
	v_dual_lshrrev_b32 v61, s49, v61 :: v_dual_bitop2_b32 v60, v140, v60 bitop3:0x14
	s_delay_alu instid0(VALU_DEP_1) | instskip(NEXT) | instid1(VALU_DEP_1)
	v_and_b32_e32 v61, s52, v61
	v_lshlrev_b32_e32 v61, 2, v61
	ds_load_b32 v61, v61
	s_wait_dscnt 0x0
	v_add_nc_u32_e32 v61, v61, v79
	global_store_b16 v61, v60, s[38:39] scale_offset
	s_wait_xcnt 0x0
	s_or_b32 exec_lo, exec_lo, s28
	v_cmp_lt_u32_e64 s27, v80, v139
	s_and_saveexec_b32 s29, s27
	s_cbranch_execz .LBB1966_782
.LBB1966_850:                           ;   in Loop: Header=BB1966_690 Depth=2
	ds_load_u16 v60, v93 offset:7680
	s_wait_dscnt 0x0
	v_cmp_ne_u16_e64 s28, 0x8000, v60
	s_delay_alu instid0(VALU_DEP_1) | instskip(SKIP_1) | instid1(VALU_DEP_2)
	v_cndmask_b32_e64 v61, 0x7fff, v60, s28
	v_cmp_gt_i16_e64 s28, 0, v60
	v_and_b32_e32 v61, 0xffff, v61
	s_delay_alu instid0(VALU_DEP_2) | instskip(NEXT) | instid1(VALU_DEP_1)
	v_cndmask_b32_e64 v140, 0x7fff, 0, s28
	v_dual_lshrrev_b32 v61, s49, v61 :: v_dual_bitop2_b32 v60, v140, v60 bitop3:0x14
	s_delay_alu instid0(VALU_DEP_1) | instskip(NEXT) | instid1(VALU_DEP_1)
	v_and_b32_e32 v61, s52, v61
	v_lshlrev_b32_e32 v61, 2, v61
	ds_load_b32 v61, v61
	s_wait_dscnt 0x0
	v_add_nc_u32_e32 v61, v61, v80
	global_store_b16 v61, v60, s[38:39] scale_offset
	s_wait_xcnt 0x0
	s_or_b32 exec_lo, exec_lo, s29
	v_cmp_lt_u32_e64 s28, v81, v139
	s_and_saveexec_b32 s30, s28
	s_cbranch_execz .LBB1966_783
.LBB1966_851:                           ;   in Loop: Header=BB1966_690 Depth=2
	ds_load_u16 v60, v93 offset:8192
	s_wait_dscnt 0x0
	v_cmp_ne_u16_e64 s29, 0x8000, v60
	s_delay_alu instid0(VALU_DEP_1) | instskip(SKIP_1) | instid1(VALU_DEP_2)
	v_cndmask_b32_e64 v61, 0x7fff, v60, s29
	v_cmp_gt_i16_e64 s29, 0, v60
	v_and_b32_e32 v61, 0xffff, v61
	s_delay_alu instid0(VALU_DEP_2) | instskip(NEXT) | instid1(VALU_DEP_1)
	v_cndmask_b32_e64 v140, 0x7fff, 0, s29
	v_dual_lshrrev_b32 v61, s49, v61 :: v_dual_bitop2_b32 v60, v140, v60 bitop3:0x14
	s_delay_alu instid0(VALU_DEP_1) | instskip(NEXT) | instid1(VALU_DEP_1)
	v_and_b32_e32 v61, s52, v61
	v_lshlrev_b32_e32 v61, 2, v61
	ds_load_b32 v61, v61
	s_wait_dscnt 0x0
	v_add_nc_u32_e32 v61, v61, v81
	global_store_b16 v61, v60, s[38:39] scale_offset
	s_wait_xcnt 0x0
	s_or_b32 exec_lo, exec_lo, s30
	v_cmp_lt_u32_e64 s29, v82, v139
	s_and_saveexec_b32 s58, s29
	s_cbranch_execnz .LBB1966_784
	s_branch .LBB1966_785
.LBB1966_852:                           ;   in Loop: Header=BB1966_690 Depth=2
	global_load_b64 v[58:59], v[60:61], off
	s_wait_xcnt 0x0
	s_or_b32 exec_lo, exec_lo, s30
	s_delay_alu instid0(SALU_CYCLE_1)
	s_mov_b32 s42, exec_lo
	v_cmpx_lt_u32_e64 v103, v139
	s_cbranch_execz .LBB1966_787
.LBB1966_853:                           ;   in Loop: Header=BB1966_690 Depth=2
	global_load_b64 v[56:57], v[60:61], off offset:256
	s_wait_xcnt 0x0
	s_or_b32 exec_lo, exec_lo, s42
	s_delay_alu instid0(SALU_CYCLE_1)
	s_mov_b32 s42, exec_lo
	v_cmpx_lt_u32_e64 v104, v139
	s_cbranch_execz .LBB1966_788
.LBB1966_854:                           ;   in Loop: Header=BB1966_690 Depth=2
	global_load_b64 v[54:55], v[60:61], off offset:512
	s_wait_xcnt 0x0
	s_or_b32 exec_lo, exec_lo, s42
	s_delay_alu instid0(SALU_CYCLE_1)
	s_mov_b32 s42, exec_lo
	v_cmpx_lt_u32_e64 v105, v139
	s_cbranch_execz .LBB1966_789
.LBB1966_855:                           ;   in Loop: Header=BB1966_690 Depth=2
	global_load_b64 v[52:53], v[60:61], off offset:768
	s_wait_xcnt 0x0
	s_or_b32 exec_lo, exec_lo, s42
	s_delay_alu instid0(SALU_CYCLE_1)
	s_mov_b32 s42, exec_lo
	v_cmpx_lt_u32_e64 v106, v139
	s_cbranch_execz .LBB1966_790
.LBB1966_856:                           ;   in Loop: Header=BB1966_690 Depth=2
	global_load_b64 v[50:51], v[60:61], off offset:1024
	s_wait_xcnt 0x0
	s_or_b32 exec_lo, exec_lo, s42
	s_delay_alu instid0(SALU_CYCLE_1)
	s_mov_b32 s42, exec_lo
	v_cmpx_lt_u32_e64 v107, v139
	s_cbranch_execz .LBB1966_791
.LBB1966_857:                           ;   in Loop: Header=BB1966_690 Depth=2
	global_load_b64 v[48:49], v[60:61], off offset:1280
	s_wait_xcnt 0x0
	s_or_b32 exec_lo, exec_lo, s42
	s_delay_alu instid0(SALU_CYCLE_1)
	s_mov_b32 s42, exec_lo
	v_cmpx_lt_u32_e64 v108, v139
	s_cbranch_execz .LBB1966_792
.LBB1966_858:                           ;   in Loop: Header=BB1966_690 Depth=2
	global_load_b64 v[46:47], v[60:61], off offset:1536
	s_wait_xcnt 0x0
	s_or_b32 exec_lo, exec_lo, s42
	s_delay_alu instid0(SALU_CYCLE_1)
	s_mov_b32 s42, exec_lo
	v_cmpx_lt_u32_e64 v109, v139
	s_cbranch_execz .LBB1966_793
.LBB1966_859:                           ;   in Loop: Header=BB1966_690 Depth=2
	global_load_b64 v[44:45], v[60:61], off offset:1792
	s_wait_xcnt 0x0
	s_or_b32 exec_lo, exec_lo, s42
	s_delay_alu instid0(SALU_CYCLE_1)
	s_mov_b32 s42, exec_lo
	v_cmpx_lt_u32_e64 v110, v139
	s_cbranch_execz .LBB1966_794
.LBB1966_860:                           ;   in Loop: Header=BB1966_690 Depth=2
	global_load_b64 v[42:43], v[60:61], off offset:2048
	s_wait_xcnt 0x0
	s_or_b32 exec_lo, exec_lo, s42
	s_delay_alu instid0(SALU_CYCLE_1)
	s_mov_b32 s42, exec_lo
	v_cmpx_lt_u32_e64 v111, v139
	s_cbranch_execz .LBB1966_795
.LBB1966_861:                           ;   in Loop: Header=BB1966_690 Depth=2
	global_load_b64 v[40:41], v[60:61], off offset:2304
	s_wait_xcnt 0x0
	s_or_b32 exec_lo, exec_lo, s42
	s_delay_alu instid0(SALU_CYCLE_1)
	s_mov_b32 s42, exec_lo
	v_cmpx_lt_u32_e64 v112, v139
	s_cbranch_execz .LBB1966_796
.LBB1966_862:                           ;   in Loop: Header=BB1966_690 Depth=2
	global_load_b64 v[38:39], v[60:61], off offset:2560
	s_wait_xcnt 0x0
	s_or_b32 exec_lo, exec_lo, s42
	s_delay_alu instid0(SALU_CYCLE_1)
	s_mov_b32 s42, exec_lo
	v_cmpx_lt_u32_e64 v113, v139
	s_cbranch_execz .LBB1966_797
.LBB1966_863:                           ;   in Loop: Header=BB1966_690 Depth=2
	global_load_b64 v[36:37], v[60:61], off offset:2816
	s_wait_xcnt 0x0
	s_or_b32 exec_lo, exec_lo, s42
	s_delay_alu instid0(SALU_CYCLE_1)
	s_mov_b32 s42, exec_lo
	v_cmpx_lt_u32_e64 v114, v139
	s_cbranch_execz .LBB1966_798
.LBB1966_864:                           ;   in Loop: Header=BB1966_690 Depth=2
	global_load_b64 v[34:35], v[60:61], off offset:3072
	s_wait_xcnt 0x0
	s_or_b32 exec_lo, exec_lo, s42
	s_delay_alu instid0(SALU_CYCLE_1)
	s_mov_b32 s42, exec_lo
	v_cmpx_lt_u32_e64 v115, v139
	s_cbranch_execz .LBB1966_799
.LBB1966_865:                           ;   in Loop: Header=BB1966_690 Depth=2
	global_load_b64 v[32:33], v[60:61], off offset:3328
	s_wait_xcnt 0x0
	s_or_b32 exec_lo, exec_lo, s42
	s_delay_alu instid0(SALU_CYCLE_1)
	s_mov_b32 s42, exec_lo
	v_cmpx_lt_u32_e64 v116, v139
	s_cbranch_execz .LBB1966_800
.LBB1966_866:                           ;   in Loop: Header=BB1966_690 Depth=2
	global_load_b64 v[30:31], v[60:61], off offset:3584
	s_wait_xcnt 0x0
	s_or_b32 exec_lo, exec_lo, s42
	s_delay_alu instid0(SALU_CYCLE_1)
	s_mov_b32 s42, exec_lo
	v_cmpx_lt_u32_e64 v117, v139
	s_cbranch_execz .LBB1966_801
.LBB1966_867:                           ;   in Loop: Header=BB1966_690 Depth=2
	global_load_b64 v[28:29], v[60:61], off offset:3840
	s_wait_xcnt 0x0
	s_or_b32 exec_lo, exec_lo, s42
	s_and_saveexec_b32 s42, vcc_lo
	s_cbranch_execz .LBB1966_802
.LBB1966_868:                           ;   in Loop: Header=BB1966_690 Depth=2
	ds_load_u16 v60, v93 offset:1024
	s_wait_dscnt 0x0
	v_cmp_ne_u16_e64 s30, 0x8000, v60
	s_delay_alu instid0(VALU_DEP_1) | instskip(NEXT) | instid1(VALU_DEP_1)
	v_cndmask_b32_e64 v60, 0x7fff, v60, s30
	v_and_b32_e32 v60, 0xffff, v60
	s_delay_alu instid0(VALU_DEP_1) | instskip(NEXT) | instid1(VALU_DEP_1)
	v_lshrrev_b32_e32 v60, s49, v60
	v_and_b32_e32 v138, s52, v60
	s_or_b32 exec_lo, exec_lo, s42
	s_and_saveexec_b32 s42, s15
	s_cbranch_execz .LBB1966_803
.LBB1966_869:                           ;   in Loop: Header=BB1966_690 Depth=2
	ds_load_u16 v60, v93 offset:1536
	s_wait_dscnt 0x0
	v_cmp_ne_u16_e64 s30, 0x8000, v60
	s_delay_alu instid0(VALU_DEP_1) | instskip(NEXT) | instid1(VALU_DEP_1)
	v_cndmask_b32_e64 v60, 0x7fff, v60, s30
	v_and_b32_e32 v60, 0xffff, v60
	s_delay_alu instid0(VALU_DEP_1) | instskip(NEXT) | instid1(VALU_DEP_1)
	v_lshrrev_b32_e32 v60, s49, v60
	v_and_b32_e32 v137, s52, v60
	s_or_b32 exec_lo, exec_lo, s42
	s_and_saveexec_b32 s42, s16
	s_cbranch_execz .LBB1966_804
.LBB1966_870:                           ;   in Loop: Header=BB1966_690 Depth=2
	ds_load_u16 v60, v93 offset:2048
	s_wait_dscnt 0x0
	v_cmp_ne_u16_e64 s30, 0x8000, v60
	s_delay_alu instid0(VALU_DEP_1) | instskip(NEXT) | instid1(VALU_DEP_1)
	v_cndmask_b32_e64 v60, 0x7fff, v60, s30
	v_and_b32_e32 v60, 0xffff, v60
	s_delay_alu instid0(VALU_DEP_1) | instskip(NEXT) | instid1(VALU_DEP_1)
	v_lshrrev_b32_e32 v60, s49, v60
	v_and_b32_e32 v136, s52, v60
	s_or_b32 exec_lo, exec_lo, s42
	s_and_saveexec_b32 s42, s17
	s_cbranch_execz .LBB1966_805
.LBB1966_871:                           ;   in Loop: Header=BB1966_690 Depth=2
	ds_load_u16 v60, v93 offset:2560
	s_wait_dscnt 0x0
	v_cmp_ne_u16_e64 s30, 0x8000, v60
	s_delay_alu instid0(VALU_DEP_1) | instskip(NEXT) | instid1(VALU_DEP_1)
	v_cndmask_b32_e64 v60, 0x7fff, v60, s30
	v_and_b32_e32 v60, 0xffff, v60
	s_delay_alu instid0(VALU_DEP_1) | instskip(NEXT) | instid1(VALU_DEP_1)
	v_lshrrev_b32_e32 v60, s49, v60
	v_and_b32_e32 v135, s52, v60
	s_or_b32 exec_lo, exec_lo, s42
	s_and_saveexec_b32 s42, s18
	s_cbranch_execz .LBB1966_806
.LBB1966_872:                           ;   in Loop: Header=BB1966_690 Depth=2
	ds_load_u16 v60, v93 offset:3072
	s_wait_dscnt 0x0
	v_cmp_ne_u16_e64 s30, 0x8000, v60
	s_delay_alu instid0(VALU_DEP_1) | instskip(NEXT) | instid1(VALU_DEP_1)
	v_cndmask_b32_e64 v60, 0x7fff, v60, s30
	v_and_b32_e32 v60, 0xffff, v60
	s_delay_alu instid0(VALU_DEP_1) | instskip(NEXT) | instid1(VALU_DEP_1)
	v_lshrrev_b32_e32 v60, s49, v60
	v_and_b32_e32 v134, s52, v60
	s_or_b32 exec_lo, exec_lo, s42
	s_and_saveexec_b32 s42, s19
	s_cbranch_execz .LBB1966_807
.LBB1966_873:                           ;   in Loop: Header=BB1966_690 Depth=2
	ds_load_u16 v60, v93 offset:3584
	s_wait_dscnt 0x0
	v_cmp_ne_u16_e64 s30, 0x8000, v60
	s_delay_alu instid0(VALU_DEP_1) | instskip(NEXT) | instid1(VALU_DEP_1)
	v_cndmask_b32_e64 v60, 0x7fff, v60, s30
	v_and_b32_e32 v60, 0xffff, v60
	s_delay_alu instid0(VALU_DEP_1) | instskip(NEXT) | instid1(VALU_DEP_1)
	v_lshrrev_b32_e32 v60, s49, v60
	v_and_b32_e32 v133, s52, v60
	s_or_b32 exec_lo, exec_lo, s42
	s_and_saveexec_b32 s42, s20
	s_cbranch_execz .LBB1966_808
.LBB1966_874:                           ;   in Loop: Header=BB1966_690 Depth=2
	ds_load_u16 v60, v93 offset:4096
	s_wait_dscnt 0x0
	v_cmp_ne_u16_e64 s30, 0x8000, v60
	s_delay_alu instid0(VALU_DEP_1) | instskip(NEXT) | instid1(VALU_DEP_1)
	v_cndmask_b32_e64 v60, 0x7fff, v60, s30
	v_and_b32_e32 v60, 0xffff, v60
	s_delay_alu instid0(VALU_DEP_1) | instskip(NEXT) | instid1(VALU_DEP_1)
	v_lshrrev_b32_e32 v60, s49, v60
	v_and_b32_e32 v132, s52, v60
	s_or_b32 exec_lo, exec_lo, s42
	s_and_saveexec_b32 s42, s21
	s_cbranch_execz .LBB1966_809
.LBB1966_875:                           ;   in Loop: Header=BB1966_690 Depth=2
	ds_load_u16 v60, v93 offset:4608
	s_wait_dscnt 0x0
	v_cmp_ne_u16_e64 s30, 0x8000, v60
	s_delay_alu instid0(VALU_DEP_1) | instskip(NEXT) | instid1(VALU_DEP_1)
	v_cndmask_b32_e64 v60, 0x7fff, v60, s30
	v_and_b32_e32 v60, 0xffff, v60
	s_delay_alu instid0(VALU_DEP_1) | instskip(NEXT) | instid1(VALU_DEP_1)
	v_lshrrev_b32_e32 v60, s49, v60
	v_and_b32_e32 v131, s52, v60
	s_or_b32 exec_lo, exec_lo, s42
	s_and_saveexec_b32 s42, s22
	s_cbranch_execz .LBB1966_810
.LBB1966_876:                           ;   in Loop: Header=BB1966_690 Depth=2
	ds_load_u16 v60, v93 offset:5120
	s_wait_dscnt 0x0
	v_cmp_ne_u16_e64 s30, 0x8000, v60
	s_delay_alu instid0(VALU_DEP_1) | instskip(NEXT) | instid1(VALU_DEP_1)
	v_cndmask_b32_e64 v60, 0x7fff, v60, s30
	v_and_b32_e32 v60, 0xffff, v60
	s_delay_alu instid0(VALU_DEP_1) | instskip(NEXT) | instid1(VALU_DEP_1)
	v_lshrrev_b32_e32 v60, s49, v60
	v_and_b32_e32 v130, s52, v60
	s_or_b32 exec_lo, exec_lo, s42
	s_and_saveexec_b32 s42, s23
	s_cbranch_execz .LBB1966_811
.LBB1966_877:                           ;   in Loop: Header=BB1966_690 Depth=2
	ds_load_u16 v60, v93 offset:5632
	s_wait_dscnt 0x0
	v_cmp_ne_u16_e64 s30, 0x8000, v60
	s_delay_alu instid0(VALU_DEP_1) | instskip(NEXT) | instid1(VALU_DEP_1)
	v_cndmask_b32_e64 v60, 0x7fff, v60, s30
	v_and_b32_e32 v60, 0xffff, v60
	s_delay_alu instid0(VALU_DEP_1) | instskip(NEXT) | instid1(VALU_DEP_1)
	v_lshrrev_b32_e32 v60, s49, v60
	v_and_b32_e32 v129, s52, v60
	s_or_b32 exec_lo, exec_lo, s42
	s_and_saveexec_b32 s42, s24
	s_cbranch_execz .LBB1966_812
.LBB1966_878:                           ;   in Loop: Header=BB1966_690 Depth=2
	ds_load_u16 v60, v93 offset:6144
	s_wait_dscnt 0x0
	v_cmp_ne_u16_e64 s30, 0x8000, v60
	s_delay_alu instid0(VALU_DEP_1) | instskip(NEXT) | instid1(VALU_DEP_1)
	v_cndmask_b32_e64 v60, 0x7fff, v60, s30
	v_and_b32_e32 v60, 0xffff, v60
	s_delay_alu instid0(VALU_DEP_1) | instskip(NEXT) | instid1(VALU_DEP_1)
	v_lshrrev_b32_e32 v60, s49, v60
	v_and_b32_e32 v128, s52, v60
	s_or_b32 exec_lo, exec_lo, s42
	s_and_saveexec_b32 s42, s25
	s_cbranch_execz .LBB1966_813
.LBB1966_879:                           ;   in Loop: Header=BB1966_690 Depth=2
	ds_load_u16 v60, v93 offset:6656
	s_wait_dscnt 0x0
	v_cmp_ne_u16_e64 s30, 0x8000, v60
	s_delay_alu instid0(VALU_DEP_1) | instskip(NEXT) | instid1(VALU_DEP_1)
	v_cndmask_b32_e64 v60, 0x7fff, v60, s30
	v_and_b32_e32 v60, 0xffff, v60
	s_delay_alu instid0(VALU_DEP_1) | instskip(NEXT) | instid1(VALU_DEP_1)
	v_lshrrev_b32_e32 v60, s49, v60
	v_and_b32_e32 v127, s52, v60
	s_or_b32 exec_lo, exec_lo, s42
	s_and_saveexec_b32 s42, s26
	s_cbranch_execz .LBB1966_814
.LBB1966_880:                           ;   in Loop: Header=BB1966_690 Depth=2
	ds_load_u16 v60, v93 offset:7168
	s_wait_dscnt 0x0
	v_cmp_ne_u16_e64 s30, 0x8000, v60
	s_delay_alu instid0(VALU_DEP_1) | instskip(NEXT) | instid1(VALU_DEP_1)
	v_cndmask_b32_e64 v60, 0x7fff, v60, s30
	v_and_b32_e32 v60, 0xffff, v60
	s_delay_alu instid0(VALU_DEP_1) | instskip(NEXT) | instid1(VALU_DEP_1)
	v_lshrrev_b32_e32 v60, s49, v60
	v_and_b32_e32 v126, s52, v60
	s_or_b32 exec_lo, exec_lo, s42
	s_and_saveexec_b32 s42, s27
	s_cbranch_execz .LBB1966_815
.LBB1966_881:                           ;   in Loop: Header=BB1966_690 Depth=2
	ds_load_u16 v60, v93 offset:7680
	s_wait_dscnt 0x0
	v_cmp_ne_u16_e64 s30, 0x8000, v60
	s_delay_alu instid0(VALU_DEP_1) | instskip(NEXT) | instid1(VALU_DEP_1)
	v_cndmask_b32_e64 v60, 0x7fff, v60, s30
	v_and_b32_e32 v60, 0xffff, v60
	s_delay_alu instid0(VALU_DEP_1) | instskip(NEXT) | instid1(VALU_DEP_1)
	v_lshrrev_b32_e32 v60, s49, v60
	v_and_b32_e32 v125, s52, v60
	s_or_b32 exec_lo, exec_lo, s42
	s_and_saveexec_b32 s42, s28
	s_cbranch_execz .LBB1966_816
.LBB1966_882:                           ;   in Loop: Header=BB1966_690 Depth=2
	ds_load_u16 v60, v93 offset:8192
	s_wait_dscnt 0x0
	v_cmp_ne_u16_e64 s30, 0x8000, v60
	s_delay_alu instid0(VALU_DEP_1) | instskip(NEXT) | instid1(VALU_DEP_1)
	v_cndmask_b32_e64 v60, 0x7fff, v60, s30
	v_and_b32_e32 v60, 0xffff, v60
	s_delay_alu instid0(VALU_DEP_1) | instskip(NEXT) | instid1(VALU_DEP_1)
	v_lshrrev_b32_e32 v60, s49, v60
	v_and_b32_e32 v124, s52, v60
	s_or_b32 exec_lo, exec_lo, s42
	s_and_saveexec_b32 s42, s29
	s_cbranch_execnz .LBB1966_817
	s_branch .LBB1966_818
.LBB1966_883:                           ;   in Loop: Header=BB1966_690 Depth=2
	v_lshlrev_b32_e32 v60, 2, v138
	v_add_nc_u32_e32 v61, v93, v94
	ds_load_b32 v63, v60
	ds_load_b64 v[60:61], v61 offset:1024
	s_wait_dscnt 0x1
	v_add_nc_u32_e32 v63, v63, v2
	s_wait_dscnt 0x0
	global_store_b64 v63, v[60:61], s[44:45] scale_offset
	s_wait_xcnt 0x0
	s_or_b32 exec_lo, exec_lo, s30
	s_and_saveexec_b32 s30, s15
	s_cbranch_execz .LBB1966_820
.LBB1966_884:                           ;   in Loop: Header=BB1966_690 Depth=2
	v_dual_lshlrev_b32 v60, 2, v137 :: v_dual_add_nc_u32 v61, v93, v94
	ds_load_b32 v63, v60
	ds_load_b64 v[60:61], v61 offset:3072
	s_wait_dscnt 0x1
	v_add_nc_u32_e32 v63, v63, v68
	s_wait_dscnt 0x0
	global_store_b64 v63, v[60:61], s[44:45] scale_offset
	s_wait_xcnt 0x0
	s_or_b32 exec_lo, exec_lo, s30
	s_and_saveexec_b32 s15, s16
	s_cbranch_execz .LBB1966_821
.LBB1966_885:                           ;   in Loop: Header=BB1966_690 Depth=2
	v_dual_lshlrev_b32 v60, 2, v136 :: v_dual_add_nc_u32 v61, v93, v94
	ds_load_b32 v63, v60
	ds_load_b64 v[60:61], v61 offset:5120
	s_wait_dscnt 0x1
	v_add_nc_u32_e32 v63, v63, v69
	s_wait_dscnt 0x0
	global_store_b64 v63, v[60:61], s[44:45] scale_offset
	s_wait_xcnt 0x0
	s_or_b32 exec_lo, exec_lo, s15
	s_and_saveexec_b32 s15, s17
	s_cbranch_execz .LBB1966_822
.LBB1966_886:                           ;   in Loop: Header=BB1966_690 Depth=2
	v_dual_lshlrev_b32 v60, 2, v135 :: v_dual_add_nc_u32 v61, v93, v94
	ds_load_b32 v63, v60
	ds_load_b64 v[60:61], v61 offset:7168
	s_wait_dscnt 0x1
	v_add_nc_u32_e32 v63, v63, v70
	s_wait_dscnt 0x0
	global_store_b64 v63, v[60:61], s[44:45] scale_offset
	s_wait_xcnt 0x0
	s_or_b32 exec_lo, exec_lo, s15
	s_and_saveexec_b32 s15, s18
	s_cbranch_execz .LBB1966_823
.LBB1966_887:                           ;   in Loop: Header=BB1966_690 Depth=2
	v_lshlrev_b32_e32 v60, 2, v134
	v_add_nc_u32_e32 v61, v93, v94
	ds_load_b32 v63, v60
	ds_load_b64 v[60:61], v61 offset:9216
	s_wait_dscnt 0x1
	v_add_nc_u32_e32 v63, v63, v71
	s_wait_dscnt 0x0
	global_store_b64 v63, v[60:61], s[44:45] scale_offset
	s_wait_xcnt 0x0
	s_or_b32 exec_lo, exec_lo, s15
	s_and_saveexec_b32 s15, s19
	s_cbranch_execz .LBB1966_824
.LBB1966_888:                           ;   in Loop: Header=BB1966_690 Depth=2
	v_dual_lshlrev_b32 v60, 2, v133 :: v_dual_add_nc_u32 v61, v93, v94
	ds_load_b32 v63, v60
	ds_load_b64 v[60:61], v61 offset:11264
	s_wait_dscnt 0x1
	v_add_nc_u32_e32 v63, v63, v72
	s_wait_dscnt 0x0
	global_store_b64 v63, v[60:61], s[44:45] scale_offset
	s_wait_xcnt 0x0
	s_or_b32 exec_lo, exec_lo, s15
	s_and_saveexec_b32 s15, s20
	s_cbranch_execz .LBB1966_825
.LBB1966_889:                           ;   in Loop: Header=BB1966_690 Depth=2
	v_dual_lshlrev_b32 v60, 2, v132 :: v_dual_add_nc_u32 v61, v93, v94
	ds_load_b32 v63, v60
	ds_load_b64 v[60:61], v61 offset:13312
	s_wait_dscnt 0x1
	v_add_nc_u32_e32 v63, v63, v73
	s_wait_dscnt 0x0
	global_store_b64 v63, v[60:61], s[44:45] scale_offset
	s_wait_xcnt 0x0
	s_or_b32 exec_lo, exec_lo, s15
	s_and_saveexec_b32 s15, s21
	s_cbranch_execz .LBB1966_826
.LBB1966_890:                           ;   in Loop: Header=BB1966_690 Depth=2
	v_dual_lshlrev_b32 v60, 2, v131 :: v_dual_add_nc_u32 v61, v93, v94
	ds_load_b32 v63, v60
	ds_load_b64 v[60:61], v61 offset:15360
	s_wait_dscnt 0x1
	v_add_nc_u32_e32 v63, v63, v74
	s_wait_dscnt 0x0
	global_store_b64 v63, v[60:61], s[44:45] scale_offset
	s_wait_xcnt 0x0
	s_or_b32 exec_lo, exec_lo, s15
	s_and_saveexec_b32 s15, s22
	s_cbranch_execz .LBB1966_827
.LBB1966_891:                           ;   in Loop: Header=BB1966_690 Depth=2
	v_lshlrev_b32_e32 v60, 2, v130
	v_add_nc_u32_e32 v61, v93, v94
	ds_load_b32 v63, v60
	ds_load_b64 v[60:61], v61 offset:17408
	s_wait_dscnt 0x1
	v_add_nc_u32_e32 v63, v63, v75
	s_wait_dscnt 0x0
	global_store_b64 v63, v[60:61], s[44:45] scale_offset
	s_wait_xcnt 0x0
	s_or_b32 exec_lo, exec_lo, s15
	s_and_saveexec_b32 s15, s23
	s_cbranch_execz .LBB1966_828
.LBB1966_892:                           ;   in Loop: Header=BB1966_690 Depth=2
	v_dual_lshlrev_b32 v60, 2, v129 :: v_dual_add_nc_u32 v61, v93, v94
	ds_load_b32 v63, v60
	ds_load_b64 v[60:61], v61 offset:19456
	s_wait_dscnt 0x1
	v_add_nc_u32_e32 v63, v63, v76
	s_wait_dscnt 0x0
	global_store_b64 v63, v[60:61], s[44:45] scale_offset
	s_wait_xcnt 0x0
	s_or_b32 exec_lo, exec_lo, s15
	s_and_saveexec_b32 s15, s24
	s_cbranch_execz .LBB1966_829
.LBB1966_893:                           ;   in Loop: Header=BB1966_690 Depth=2
	v_dual_lshlrev_b32 v60, 2, v128 :: v_dual_add_nc_u32 v61, v93, v94
	ds_load_b32 v63, v60
	ds_load_b64 v[60:61], v61 offset:21504
	s_wait_dscnt 0x1
	v_add_nc_u32_e32 v63, v63, v77
	s_wait_dscnt 0x0
	global_store_b64 v63, v[60:61], s[44:45] scale_offset
	s_wait_xcnt 0x0
	s_or_b32 exec_lo, exec_lo, s15
	s_and_saveexec_b32 s15, s25
	s_cbranch_execz .LBB1966_830
.LBB1966_894:                           ;   in Loop: Header=BB1966_690 Depth=2
	v_dual_lshlrev_b32 v60, 2, v127 :: v_dual_add_nc_u32 v61, v93, v94
	ds_load_b32 v63, v60
	ds_load_b64 v[60:61], v61 offset:23552
	s_wait_dscnt 0x1
	v_add_nc_u32_e32 v63, v63, v78
	s_wait_dscnt 0x0
	global_store_b64 v63, v[60:61], s[44:45] scale_offset
	s_wait_xcnt 0x0
	s_or_b32 exec_lo, exec_lo, s15
	s_and_saveexec_b32 s15, s26
	s_cbranch_execz .LBB1966_831
.LBB1966_895:                           ;   in Loop: Header=BB1966_690 Depth=2
	v_lshlrev_b32_e32 v60, 2, v126
	v_add_nc_u32_e32 v61, v93, v94
	ds_load_b32 v63, v60
	ds_load_b64 v[60:61], v61 offset:25600
	s_wait_dscnt 0x1
	v_add_nc_u32_e32 v63, v63, v79
	s_wait_dscnt 0x0
	global_store_b64 v63, v[60:61], s[44:45] scale_offset
	s_wait_xcnt 0x0
	s_or_b32 exec_lo, exec_lo, s15
	s_and_saveexec_b32 s15, s27
	s_cbranch_execz .LBB1966_832
.LBB1966_896:                           ;   in Loop: Header=BB1966_690 Depth=2
	v_dual_lshlrev_b32 v60, 2, v125 :: v_dual_add_nc_u32 v61, v93, v94
	ds_load_b32 v63, v60
	ds_load_b64 v[60:61], v61 offset:27648
	s_wait_dscnt 0x1
	v_add_nc_u32_e32 v63, v63, v80
	s_wait_dscnt 0x0
	global_store_b64 v63, v[60:61], s[44:45] scale_offset
	s_wait_xcnt 0x0
	s_or_b32 exec_lo, exec_lo, s15
	s_and_saveexec_b32 s15, s28
	s_cbranch_execz .LBB1966_833
.LBB1966_897:                           ;   in Loop: Header=BB1966_690 Depth=2
	v_dual_lshlrev_b32 v60, 2, v124 :: v_dual_add_nc_u32 v61, v93, v94
	ds_load_b32 v63, v60
	ds_load_b64 v[60:61], v61 offset:29696
	s_wait_dscnt 0x1
	v_add_nc_u32_e32 v63, v63, v81
	s_wait_dscnt 0x0
	global_store_b64 v63, v[60:61], s[44:45] scale_offset
	s_wait_xcnt 0x0
	s_or_b32 exec_lo, exec_lo, s15
	s_and_saveexec_b32 s15, s29
	s_cbranch_execnz .LBB1966_834
	s_branch .LBB1966_835
.LBB1966_898:                           ;   in Loop: Header=BB1966_20 Depth=1
	s_wait_dscnt 0x0
	s_barrier_signal -1
	s_mov_b32 s7, 0
	s_barrier_wait -1
.LBB1966_899:                           ;   in Loop: Header=BB1966_20 Depth=1
	s_and_b32 vcc_lo, exec_lo, s7
	s_cbranch_vccz .LBB1966_19
; %bb.900:                              ;   in Loop: Header=BB1966_20 Depth=1
	s_mov_b32 s7, s56
	s_mov_b32 s42, s54
	s_barrier_signal -1
	s_barrier_wait -1
                                        ; implicit-def: $vgpr23
                                        ; implicit-def: $vgpr24
                                        ; implicit-def: $vgpr25
                                        ; implicit-def: $vgpr26
                                        ; implicit-def: $vgpr27
                                        ; implicit-def: $vgpr28
                                        ; implicit-def: $vgpr29
                                        ; implicit-def: $vgpr30
                                        ; implicit-def: $vgpr31
                                        ; implicit-def: $vgpr32
                                        ; implicit-def: $vgpr33
                                        ; implicit-def: $vgpr34
                                        ; implicit-def: $vgpr35
                                        ; implicit-def: $vgpr36
                                        ; implicit-def: $vgpr37
                                        ; implicit-def: $vgpr38
	s_branch .LBB1966_902
.LBB1966_901:                           ;   in Loop: Header=BB1966_902 Depth=2
	s_or_b32 exec_lo, exec_lo, s8
	s_addk_co_i32 s7, 0xf000
	s_cmp_ge_u32 s10, s51
	s_mov_b32 s42, s10
	s_cbranch_scc1 .LBB1966_970
.LBB1966_902:                           ;   Parent Loop BB1966_20 Depth=1
                                        ; =>  This Inner Loop Header: Depth=2
	s_add_co_i32 s10, s42, 0x1000
	s_mov_b32 s8, -1
	s_cmp_gt_u32 s10, s51
                                        ; implicit-def: $vgpr39
                                        ; implicit-def: $vgpr40
                                        ; implicit-def: $vgpr41
                                        ; implicit-def: $vgpr42
                                        ; implicit-def: $vgpr43
                                        ; implicit-def: $vgpr44
                                        ; implicit-def: $vgpr45
                                        ; implicit-def: $vgpr46
                                        ; implicit-def: $vgpr47
                                        ; implicit-def: $vgpr48
                                        ; implicit-def: $vgpr49
                                        ; implicit-def: $vgpr50
                                        ; implicit-def: $vgpr51
                                        ; implicit-def: $vgpr52
                                        ; implicit-def: $vgpr53
                                        ; implicit-def: $vgpr54
	s_cbranch_scc1 .LBB1966_904
; %bb.903:                              ;   in Loop: Header=BB1966_902 Depth=2
	v_lshl_add_u64 v[54:55], s[42:43], 1, v[16:17]
	s_mov_b32 s8, 0
	s_clause 0xf
	global_load_u16 v39, v[54:55], off
	global_load_u16 v40, v[54:55], off offset:512
	global_load_u16 v41, v[54:55], off offset:1024
	;; [unrolled: 1-line block ×15, first 2 shown]
.LBB1966_904:                           ;   in Loop: Header=BB1966_902 Depth=2
	s_and_not1_b32 vcc_lo, exec_lo, s8
	s_movk_i32 s8, 0x1000
	s_cbranch_vccnz .LBB1966_923
; %bb.905:                              ;   in Loop: Header=BB1966_902 Depth=2
	s_lshl_b64 s[8:9], s[42:43], 1
	s_mov_b32 s11, exec_lo
	s_add_nc_u64 s[8:9], s[36:37], s[8:9]
	s_wait_xcnt 0x0
	v_cmpx_gt_u32_e64 s7, v2
	s_cbranch_execnz .LBB1966_955
; %bb.906:                              ;   in Loop: Header=BB1966_902 Depth=2
	s_or_b32 exec_lo, exec_lo, s11
	s_delay_alu instid0(SALU_CYCLE_1)
	s_mov_b32 s11, exec_lo
	v_cmpx_gt_u32_e64 s7, v68
	s_cbranch_execnz .LBB1966_956
.LBB1966_907:                           ;   in Loop: Header=BB1966_902 Depth=2
	s_or_b32 exec_lo, exec_lo, s11
	s_delay_alu instid0(SALU_CYCLE_1)
	s_mov_b32 s11, exec_lo
	v_cmpx_gt_u32_e64 s7, v69
	s_cbranch_execnz .LBB1966_957
.LBB1966_908:                           ;   in Loop: Header=BB1966_902 Depth=2
	s_or_b32 exec_lo, exec_lo, s11
	s_delay_alu instid0(SALU_CYCLE_1)
	s_mov_b32 s11, exec_lo
	v_cmpx_gt_u32_e64 s7, v70
	s_cbranch_execnz .LBB1966_958
.LBB1966_909:                           ;   in Loop: Header=BB1966_902 Depth=2
	s_or_b32 exec_lo, exec_lo, s11
	s_delay_alu instid0(SALU_CYCLE_1)
	s_mov_b32 s11, exec_lo
	v_cmpx_gt_u32_e64 s7, v71
	s_cbranch_execnz .LBB1966_959
.LBB1966_910:                           ;   in Loop: Header=BB1966_902 Depth=2
	s_or_b32 exec_lo, exec_lo, s11
	s_delay_alu instid0(SALU_CYCLE_1)
	s_mov_b32 s11, exec_lo
	v_cmpx_gt_u32_e64 s7, v72
	s_cbranch_execnz .LBB1966_960
.LBB1966_911:                           ;   in Loop: Header=BB1966_902 Depth=2
	s_or_b32 exec_lo, exec_lo, s11
	s_delay_alu instid0(SALU_CYCLE_1)
	s_mov_b32 s11, exec_lo
	v_cmpx_gt_u32_e64 s7, v73
	s_cbranch_execnz .LBB1966_961
.LBB1966_912:                           ;   in Loop: Header=BB1966_902 Depth=2
	s_or_b32 exec_lo, exec_lo, s11
	s_delay_alu instid0(SALU_CYCLE_1)
	s_mov_b32 s11, exec_lo
	v_cmpx_gt_u32_e64 s7, v74
	s_cbranch_execnz .LBB1966_962
.LBB1966_913:                           ;   in Loop: Header=BB1966_902 Depth=2
	s_or_b32 exec_lo, exec_lo, s11
	s_delay_alu instid0(SALU_CYCLE_1)
	s_mov_b32 s11, exec_lo
	v_cmpx_gt_u32_e64 s7, v75
	s_cbranch_execnz .LBB1966_963
.LBB1966_914:                           ;   in Loop: Header=BB1966_902 Depth=2
	s_or_b32 exec_lo, exec_lo, s11
	s_delay_alu instid0(SALU_CYCLE_1)
	s_mov_b32 s11, exec_lo
	v_cmpx_gt_u32_e64 s7, v76
	s_cbranch_execnz .LBB1966_964
.LBB1966_915:                           ;   in Loop: Header=BB1966_902 Depth=2
	s_or_b32 exec_lo, exec_lo, s11
	s_delay_alu instid0(SALU_CYCLE_1)
	s_mov_b32 s11, exec_lo
	v_cmpx_gt_u32_e64 s7, v77
	s_cbranch_execnz .LBB1966_965
.LBB1966_916:                           ;   in Loop: Header=BB1966_902 Depth=2
	s_or_b32 exec_lo, exec_lo, s11
	s_delay_alu instid0(SALU_CYCLE_1)
	s_mov_b32 s11, exec_lo
	v_cmpx_gt_u32_e64 s7, v78
	s_cbranch_execnz .LBB1966_966
.LBB1966_917:                           ;   in Loop: Header=BB1966_902 Depth=2
	s_or_b32 exec_lo, exec_lo, s11
	s_delay_alu instid0(SALU_CYCLE_1)
	s_mov_b32 s11, exec_lo
	v_cmpx_gt_u32_e64 s7, v79
	s_cbranch_execnz .LBB1966_967
.LBB1966_918:                           ;   in Loop: Header=BB1966_902 Depth=2
	s_or_b32 exec_lo, exec_lo, s11
	s_delay_alu instid0(SALU_CYCLE_1)
	s_mov_b32 s11, exec_lo
	v_cmpx_gt_u32_e64 s7, v80
	s_cbranch_execnz .LBB1966_968
.LBB1966_919:                           ;   in Loop: Header=BB1966_902 Depth=2
	s_or_b32 exec_lo, exec_lo, s11
	s_delay_alu instid0(SALU_CYCLE_1)
	s_mov_b32 s11, exec_lo
	v_cmpx_gt_u32_e64 s7, v81
	s_cbranch_execnz .LBB1966_969
.LBB1966_920:                           ;   in Loop: Header=BB1966_902 Depth=2
	s_or_b32 exec_lo, exec_lo, s11
	s_delay_alu instid0(SALU_CYCLE_1)
	s_mov_b32 s11, exec_lo
	v_cmpx_gt_u32_e64 s7, v82
	s_cbranch_execz .LBB1966_922
.LBB1966_921:                           ;   in Loop: Header=BB1966_902 Depth=2
	global_load_u16 v23, v2, s[8:9] offset:7680 scale_offset
.LBB1966_922:                           ;   in Loop: Header=BB1966_902 Depth=2
	s_wait_xcnt 0x0
	s_or_b32 exec_lo, exec_lo, s11
	s_wait_loadcnt 0x0
	v_dual_mov_b32 v39, v38 :: v_dual_mov_b32 v40, v37
	v_dual_mov_b32 v41, v36 :: v_dual_mov_b32 v42, v35
	;; [unrolled: 1-line block ×8, first 2 shown]
	s_mov_b32 s8, s7
.LBB1966_923:                           ;   in Loop: Header=BB1966_902 Depth=2
	s_wait_loadcnt 0x0
	s_delay_alu instid0(VALU_DEP_1)
	v_dual_mov_b32 v23, v54 :: v_dual_mov_b32 v24, v53
	v_dual_mov_b32 v25, v52 :: v_dual_mov_b32 v26, v51
	;; [unrolled: 1-line block ×8, first 2 shown]
	s_mov_b32 s9, exec_lo
	s_wait_xcnt 0x0
	v_cmpx_gt_u32_e64 s8, v2
	s_cbranch_execnz .LBB1966_939
; %bb.924:                              ;   in Loop: Header=BB1966_902 Depth=2
	s_or_b32 exec_lo, exec_lo, s9
	s_delay_alu instid0(SALU_CYCLE_1)
	s_mov_b32 s9, exec_lo
	v_cmpx_gt_u32_e64 s8, v68
	s_cbranch_execnz .LBB1966_940
.LBB1966_925:                           ;   in Loop: Header=BB1966_902 Depth=2
	s_or_b32 exec_lo, exec_lo, s9
	s_delay_alu instid0(SALU_CYCLE_1)
	s_mov_b32 s9, exec_lo
	v_cmpx_gt_u32_e64 s8, v69
	s_cbranch_execnz .LBB1966_941
.LBB1966_926:                           ;   in Loop: Header=BB1966_902 Depth=2
	s_or_b32 exec_lo, exec_lo, s9
	s_delay_alu instid0(SALU_CYCLE_1)
	s_mov_b32 s9, exec_lo
	v_cmpx_gt_u32_e64 s8, v70
	s_cbranch_execnz .LBB1966_942
.LBB1966_927:                           ;   in Loop: Header=BB1966_902 Depth=2
	s_or_b32 exec_lo, exec_lo, s9
	s_delay_alu instid0(SALU_CYCLE_1)
	s_mov_b32 s9, exec_lo
	v_cmpx_gt_u32_e64 s8, v71
	s_cbranch_execnz .LBB1966_943
.LBB1966_928:                           ;   in Loop: Header=BB1966_902 Depth=2
	s_or_b32 exec_lo, exec_lo, s9
	s_delay_alu instid0(SALU_CYCLE_1)
	s_mov_b32 s9, exec_lo
	v_cmpx_gt_u32_e64 s8, v72
	s_cbranch_execnz .LBB1966_944
.LBB1966_929:                           ;   in Loop: Header=BB1966_902 Depth=2
	s_or_b32 exec_lo, exec_lo, s9
	s_delay_alu instid0(SALU_CYCLE_1)
	s_mov_b32 s9, exec_lo
	v_cmpx_gt_u32_e64 s8, v73
	s_cbranch_execnz .LBB1966_945
.LBB1966_930:                           ;   in Loop: Header=BB1966_902 Depth=2
	s_or_b32 exec_lo, exec_lo, s9
	s_delay_alu instid0(SALU_CYCLE_1)
	s_mov_b32 s9, exec_lo
	v_cmpx_gt_u32_e64 s8, v74
	s_cbranch_execnz .LBB1966_946
.LBB1966_931:                           ;   in Loop: Header=BB1966_902 Depth=2
	s_or_b32 exec_lo, exec_lo, s9
	s_delay_alu instid0(SALU_CYCLE_1)
	s_mov_b32 s9, exec_lo
	v_cmpx_gt_u32_e64 s8, v75
	s_cbranch_execnz .LBB1966_947
.LBB1966_932:                           ;   in Loop: Header=BB1966_902 Depth=2
	s_or_b32 exec_lo, exec_lo, s9
	s_delay_alu instid0(SALU_CYCLE_1)
	s_mov_b32 s9, exec_lo
	v_cmpx_gt_u32_e64 s8, v76
	s_cbranch_execnz .LBB1966_948
.LBB1966_933:                           ;   in Loop: Header=BB1966_902 Depth=2
	s_or_b32 exec_lo, exec_lo, s9
	s_delay_alu instid0(SALU_CYCLE_1)
	s_mov_b32 s9, exec_lo
	v_cmpx_gt_u32_e64 s8, v77
	s_cbranch_execnz .LBB1966_949
.LBB1966_934:                           ;   in Loop: Header=BB1966_902 Depth=2
	s_or_b32 exec_lo, exec_lo, s9
	s_delay_alu instid0(SALU_CYCLE_1)
	s_mov_b32 s9, exec_lo
	v_cmpx_gt_u32_e64 s8, v78
	s_cbranch_execnz .LBB1966_950
.LBB1966_935:                           ;   in Loop: Header=BB1966_902 Depth=2
	s_or_b32 exec_lo, exec_lo, s9
	s_delay_alu instid0(SALU_CYCLE_1)
	s_mov_b32 s9, exec_lo
	v_cmpx_gt_u32_e64 s8, v79
	s_cbranch_execnz .LBB1966_951
.LBB1966_936:                           ;   in Loop: Header=BB1966_902 Depth=2
	s_or_b32 exec_lo, exec_lo, s9
	s_delay_alu instid0(SALU_CYCLE_1)
	s_mov_b32 s9, exec_lo
	v_cmpx_gt_u32_e64 s8, v80
	s_cbranch_execnz .LBB1966_952
.LBB1966_937:                           ;   in Loop: Header=BB1966_902 Depth=2
	s_or_b32 exec_lo, exec_lo, s9
	s_delay_alu instid0(SALU_CYCLE_1)
	s_mov_b32 s9, exec_lo
	v_cmpx_gt_u32_e64 s8, v81
	s_cbranch_execnz .LBB1966_953
.LBB1966_938:                           ;   in Loop: Header=BB1966_902 Depth=2
	s_or_b32 exec_lo, exec_lo, s9
	v_cmp_gt_u32_e32 vcc_lo, s8, v82
	s_and_saveexec_b32 s8, vcc_lo
	s_cbranch_execz .LBB1966_901
	s_branch .LBB1966_954
.LBB1966_939:                           ;   in Loop: Header=BB1966_902 Depth=2
	v_cmp_gt_i16_e32 vcc_lo, 0, v38
	v_cndmask_b32_e64 v39, 0x7fff, 0, vcc_lo
	s_delay_alu instid0(VALU_DEP_1) | instskip(NEXT) | instid1(VALU_DEP_1)
	v_xor_b32_e32 v39, v39, v38
	v_cmp_ne_u16_e32 vcc_lo, 0x8000, v39
	v_cndmask_b32_e32 v39, 0x7fff, v39, vcc_lo
	s_delay_alu instid0(VALU_DEP_1) | instskip(NEXT) | instid1(VALU_DEP_1)
	v_and_b32_e32 v39, 0xffff, v39
	v_lshrrev_b32_e32 v39, s49, v39
	s_delay_alu instid0(VALU_DEP_1) | instskip(NEXT) | instid1(VALU_DEP_1)
	v_and_b32_e32 v39, s52, v39
	v_lshl_or_b32 v39, v39, 4, v83
	ds_add_u32 v39, v96
	s_or_b32 exec_lo, exec_lo, s9
	s_delay_alu instid0(SALU_CYCLE_1)
	s_mov_b32 s9, exec_lo
	v_cmpx_gt_u32_e64 s8, v68
	s_cbranch_execz .LBB1966_925
.LBB1966_940:                           ;   in Loop: Header=BB1966_902 Depth=2
	v_cmp_gt_i16_e32 vcc_lo, 0, v37
	v_cndmask_b32_e64 v39, 0x7fff, 0, vcc_lo
	s_delay_alu instid0(VALU_DEP_1) | instskip(NEXT) | instid1(VALU_DEP_1)
	v_xor_b32_e32 v39, v39, v37
	v_cmp_ne_u16_e32 vcc_lo, 0x8000, v39
	v_cndmask_b32_e32 v39, 0x7fff, v39, vcc_lo
	s_delay_alu instid0(VALU_DEP_1) | instskip(NEXT) | instid1(VALU_DEP_1)
	v_and_b32_e32 v39, 0xffff, v39
	v_lshrrev_b32_e32 v39, s49, v39
	s_delay_alu instid0(VALU_DEP_1) | instskip(NEXT) | instid1(VALU_DEP_1)
	v_and_b32_e32 v39, s52, v39
	v_lshl_or_b32 v39, v39, 4, v83
	ds_add_u32 v39, v96
	s_or_b32 exec_lo, exec_lo, s9
	s_delay_alu instid0(SALU_CYCLE_1)
	s_mov_b32 s9, exec_lo
	v_cmpx_gt_u32_e64 s8, v69
	s_cbranch_execz .LBB1966_926
.LBB1966_941:                           ;   in Loop: Header=BB1966_902 Depth=2
	v_cmp_gt_i16_e32 vcc_lo, 0, v36
	v_cndmask_b32_e64 v39, 0x7fff, 0, vcc_lo
	s_delay_alu instid0(VALU_DEP_1) | instskip(NEXT) | instid1(VALU_DEP_1)
	v_xor_b32_e32 v39, v39, v36
	v_cmp_ne_u16_e32 vcc_lo, 0x8000, v39
	v_cndmask_b32_e32 v39, 0x7fff, v39, vcc_lo
	s_delay_alu instid0(VALU_DEP_1) | instskip(NEXT) | instid1(VALU_DEP_1)
	v_and_b32_e32 v39, 0xffff, v39
	v_lshrrev_b32_e32 v39, s49, v39
	s_delay_alu instid0(VALU_DEP_1) | instskip(NEXT) | instid1(VALU_DEP_1)
	v_and_b32_e32 v39, s52, v39
	v_lshl_or_b32 v39, v39, 4, v83
	ds_add_u32 v39, v96
	s_or_b32 exec_lo, exec_lo, s9
	s_delay_alu instid0(SALU_CYCLE_1)
	s_mov_b32 s9, exec_lo
	v_cmpx_gt_u32_e64 s8, v70
	s_cbranch_execz .LBB1966_927
.LBB1966_942:                           ;   in Loop: Header=BB1966_902 Depth=2
	v_cmp_gt_i16_e32 vcc_lo, 0, v35
	v_cndmask_b32_e64 v39, 0x7fff, 0, vcc_lo
	s_delay_alu instid0(VALU_DEP_1) | instskip(NEXT) | instid1(VALU_DEP_1)
	v_xor_b32_e32 v39, v39, v35
	v_cmp_ne_u16_e32 vcc_lo, 0x8000, v39
	v_cndmask_b32_e32 v39, 0x7fff, v39, vcc_lo
	s_delay_alu instid0(VALU_DEP_1) | instskip(NEXT) | instid1(VALU_DEP_1)
	v_and_b32_e32 v39, 0xffff, v39
	v_lshrrev_b32_e32 v39, s49, v39
	s_delay_alu instid0(VALU_DEP_1) | instskip(NEXT) | instid1(VALU_DEP_1)
	v_and_b32_e32 v39, s52, v39
	v_lshl_or_b32 v39, v39, 4, v83
	ds_add_u32 v39, v96
	s_or_b32 exec_lo, exec_lo, s9
	s_delay_alu instid0(SALU_CYCLE_1)
	s_mov_b32 s9, exec_lo
	v_cmpx_gt_u32_e64 s8, v71
	s_cbranch_execz .LBB1966_928
.LBB1966_943:                           ;   in Loop: Header=BB1966_902 Depth=2
	v_cmp_gt_i16_e32 vcc_lo, 0, v34
	v_cndmask_b32_e64 v39, 0x7fff, 0, vcc_lo
	s_delay_alu instid0(VALU_DEP_1) | instskip(NEXT) | instid1(VALU_DEP_1)
	v_xor_b32_e32 v39, v39, v34
	v_cmp_ne_u16_e32 vcc_lo, 0x8000, v39
	v_cndmask_b32_e32 v39, 0x7fff, v39, vcc_lo
	s_delay_alu instid0(VALU_DEP_1) | instskip(NEXT) | instid1(VALU_DEP_1)
	v_and_b32_e32 v39, 0xffff, v39
	v_lshrrev_b32_e32 v39, s49, v39
	s_delay_alu instid0(VALU_DEP_1) | instskip(NEXT) | instid1(VALU_DEP_1)
	v_and_b32_e32 v39, s52, v39
	v_lshl_or_b32 v39, v39, 4, v83
	ds_add_u32 v39, v96
	s_or_b32 exec_lo, exec_lo, s9
	s_delay_alu instid0(SALU_CYCLE_1)
	s_mov_b32 s9, exec_lo
	v_cmpx_gt_u32_e64 s8, v72
	s_cbranch_execz .LBB1966_929
.LBB1966_944:                           ;   in Loop: Header=BB1966_902 Depth=2
	v_cmp_gt_i16_e32 vcc_lo, 0, v33
	v_cndmask_b32_e64 v39, 0x7fff, 0, vcc_lo
	s_delay_alu instid0(VALU_DEP_1) | instskip(NEXT) | instid1(VALU_DEP_1)
	v_xor_b32_e32 v39, v39, v33
	v_cmp_ne_u16_e32 vcc_lo, 0x8000, v39
	v_cndmask_b32_e32 v39, 0x7fff, v39, vcc_lo
	s_delay_alu instid0(VALU_DEP_1) | instskip(NEXT) | instid1(VALU_DEP_1)
	v_and_b32_e32 v39, 0xffff, v39
	v_lshrrev_b32_e32 v39, s49, v39
	s_delay_alu instid0(VALU_DEP_1) | instskip(NEXT) | instid1(VALU_DEP_1)
	v_and_b32_e32 v39, s52, v39
	v_lshl_or_b32 v39, v39, 4, v83
	ds_add_u32 v39, v96
	s_or_b32 exec_lo, exec_lo, s9
	s_delay_alu instid0(SALU_CYCLE_1)
	s_mov_b32 s9, exec_lo
	v_cmpx_gt_u32_e64 s8, v73
	s_cbranch_execz .LBB1966_930
.LBB1966_945:                           ;   in Loop: Header=BB1966_902 Depth=2
	v_cmp_gt_i16_e32 vcc_lo, 0, v32
	v_cndmask_b32_e64 v39, 0x7fff, 0, vcc_lo
	s_delay_alu instid0(VALU_DEP_1) | instskip(NEXT) | instid1(VALU_DEP_1)
	v_xor_b32_e32 v39, v39, v32
	v_cmp_ne_u16_e32 vcc_lo, 0x8000, v39
	v_cndmask_b32_e32 v39, 0x7fff, v39, vcc_lo
	s_delay_alu instid0(VALU_DEP_1) | instskip(NEXT) | instid1(VALU_DEP_1)
	v_and_b32_e32 v39, 0xffff, v39
	v_lshrrev_b32_e32 v39, s49, v39
	s_delay_alu instid0(VALU_DEP_1) | instskip(NEXT) | instid1(VALU_DEP_1)
	v_and_b32_e32 v39, s52, v39
	v_lshl_or_b32 v39, v39, 4, v83
	ds_add_u32 v39, v96
	s_or_b32 exec_lo, exec_lo, s9
	s_delay_alu instid0(SALU_CYCLE_1)
	s_mov_b32 s9, exec_lo
	v_cmpx_gt_u32_e64 s8, v74
	s_cbranch_execz .LBB1966_931
.LBB1966_946:                           ;   in Loop: Header=BB1966_902 Depth=2
	v_cmp_gt_i16_e32 vcc_lo, 0, v31
	v_cndmask_b32_e64 v39, 0x7fff, 0, vcc_lo
	s_delay_alu instid0(VALU_DEP_1) | instskip(NEXT) | instid1(VALU_DEP_1)
	v_xor_b32_e32 v39, v39, v31
	v_cmp_ne_u16_e32 vcc_lo, 0x8000, v39
	v_cndmask_b32_e32 v39, 0x7fff, v39, vcc_lo
	s_delay_alu instid0(VALU_DEP_1) | instskip(NEXT) | instid1(VALU_DEP_1)
	v_and_b32_e32 v39, 0xffff, v39
	v_lshrrev_b32_e32 v39, s49, v39
	s_delay_alu instid0(VALU_DEP_1) | instskip(NEXT) | instid1(VALU_DEP_1)
	v_and_b32_e32 v39, s52, v39
	v_lshl_or_b32 v39, v39, 4, v83
	ds_add_u32 v39, v96
	s_or_b32 exec_lo, exec_lo, s9
	s_delay_alu instid0(SALU_CYCLE_1)
	s_mov_b32 s9, exec_lo
	v_cmpx_gt_u32_e64 s8, v75
	s_cbranch_execz .LBB1966_932
.LBB1966_947:                           ;   in Loop: Header=BB1966_902 Depth=2
	v_cmp_gt_i16_e32 vcc_lo, 0, v30
	v_cndmask_b32_e64 v39, 0x7fff, 0, vcc_lo
	s_delay_alu instid0(VALU_DEP_1) | instskip(NEXT) | instid1(VALU_DEP_1)
	v_xor_b32_e32 v39, v39, v30
	v_cmp_ne_u16_e32 vcc_lo, 0x8000, v39
	v_cndmask_b32_e32 v39, 0x7fff, v39, vcc_lo
	s_delay_alu instid0(VALU_DEP_1) | instskip(NEXT) | instid1(VALU_DEP_1)
	v_and_b32_e32 v39, 0xffff, v39
	v_lshrrev_b32_e32 v39, s49, v39
	s_delay_alu instid0(VALU_DEP_1) | instskip(NEXT) | instid1(VALU_DEP_1)
	v_and_b32_e32 v39, s52, v39
	v_lshl_or_b32 v39, v39, 4, v83
	ds_add_u32 v39, v96
	s_or_b32 exec_lo, exec_lo, s9
	s_delay_alu instid0(SALU_CYCLE_1)
	s_mov_b32 s9, exec_lo
	v_cmpx_gt_u32_e64 s8, v76
	s_cbranch_execz .LBB1966_933
.LBB1966_948:                           ;   in Loop: Header=BB1966_902 Depth=2
	v_cmp_gt_i16_e32 vcc_lo, 0, v29
	v_cndmask_b32_e64 v39, 0x7fff, 0, vcc_lo
	s_delay_alu instid0(VALU_DEP_1) | instskip(NEXT) | instid1(VALU_DEP_1)
	v_xor_b32_e32 v39, v39, v29
	v_cmp_ne_u16_e32 vcc_lo, 0x8000, v39
	v_cndmask_b32_e32 v39, 0x7fff, v39, vcc_lo
	s_delay_alu instid0(VALU_DEP_1) | instskip(NEXT) | instid1(VALU_DEP_1)
	v_and_b32_e32 v39, 0xffff, v39
	v_lshrrev_b32_e32 v39, s49, v39
	s_delay_alu instid0(VALU_DEP_1) | instskip(NEXT) | instid1(VALU_DEP_1)
	v_and_b32_e32 v39, s52, v39
	v_lshl_or_b32 v39, v39, 4, v83
	ds_add_u32 v39, v96
	s_or_b32 exec_lo, exec_lo, s9
	s_delay_alu instid0(SALU_CYCLE_1)
	s_mov_b32 s9, exec_lo
	v_cmpx_gt_u32_e64 s8, v77
	s_cbranch_execz .LBB1966_934
.LBB1966_949:                           ;   in Loop: Header=BB1966_902 Depth=2
	v_cmp_gt_i16_e32 vcc_lo, 0, v28
	v_cndmask_b32_e64 v39, 0x7fff, 0, vcc_lo
	s_delay_alu instid0(VALU_DEP_1) | instskip(NEXT) | instid1(VALU_DEP_1)
	v_xor_b32_e32 v39, v39, v28
	v_cmp_ne_u16_e32 vcc_lo, 0x8000, v39
	v_cndmask_b32_e32 v39, 0x7fff, v39, vcc_lo
	s_delay_alu instid0(VALU_DEP_1) | instskip(NEXT) | instid1(VALU_DEP_1)
	v_and_b32_e32 v39, 0xffff, v39
	v_lshrrev_b32_e32 v39, s49, v39
	s_delay_alu instid0(VALU_DEP_1) | instskip(NEXT) | instid1(VALU_DEP_1)
	v_and_b32_e32 v39, s52, v39
	v_lshl_or_b32 v39, v39, 4, v83
	ds_add_u32 v39, v96
	s_or_b32 exec_lo, exec_lo, s9
	s_delay_alu instid0(SALU_CYCLE_1)
	s_mov_b32 s9, exec_lo
	v_cmpx_gt_u32_e64 s8, v78
	s_cbranch_execz .LBB1966_935
.LBB1966_950:                           ;   in Loop: Header=BB1966_902 Depth=2
	v_cmp_gt_i16_e32 vcc_lo, 0, v27
	v_cndmask_b32_e64 v39, 0x7fff, 0, vcc_lo
	s_delay_alu instid0(VALU_DEP_1) | instskip(NEXT) | instid1(VALU_DEP_1)
	v_xor_b32_e32 v39, v39, v27
	v_cmp_ne_u16_e32 vcc_lo, 0x8000, v39
	v_cndmask_b32_e32 v39, 0x7fff, v39, vcc_lo
	s_delay_alu instid0(VALU_DEP_1) | instskip(NEXT) | instid1(VALU_DEP_1)
	v_and_b32_e32 v39, 0xffff, v39
	v_lshrrev_b32_e32 v39, s49, v39
	s_delay_alu instid0(VALU_DEP_1) | instskip(NEXT) | instid1(VALU_DEP_1)
	v_and_b32_e32 v39, s52, v39
	v_lshl_or_b32 v39, v39, 4, v83
	ds_add_u32 v39, v96
	s_or_b32 exec_lo, exec_lo, s9
	s_delay_alu instid0(SALU_CYCLE_1)
	s_mov_b32 s9, exec_lo
	v_cmpx_gt_u32_e64 s8, v79
	s_cbranch_execz .LBB1966_936
.LBB1966_951:                           ;   in Loop: Header=BB1966_902 Depth=2
	v_cmp_gt_i16_e32 vcc_lo, 0, v26
	v_cndmask_b32_e64 v39, 0x7fff, 0, vcc_lo
	s_delay_alu instid0(VALU_DEP_1) | instskip(NEXT) | instid1(VALU_DEP_1)
	v_xor_b32_e32 v39, v39, v26
	v_cmp_ne_u16_e32 vcc_lo, 0x8000, v39
	v_cndmask_b32_e32 v39, 0x7fff, v39, vcc_lo
	s_delay_alu instid0(VALU_DEP_1) | instskip(NEXT) | instid1(VALU_DEP_1)
	v_and_b32_e32 v39, 0xffff, v39
	v_lshrrev_b32_e32 v39, s49, v39
	s_delay_alu instid0(VALU_DEP_1) | instskip(NEXT) | instid1(VALU_DEP_1)
	v_and_b32_e32 v39, s52, v39
	v_lshl_or_b32 v39, v39, 4, v83
	ds_add_u32 v39, v96
	s_or_b32 exec_lo, exec_lo, s9
	s_delay_alu instid0(SALU_CYCLE_1)
	s_mov_b32 s9, exec_lo
	v_cmpx_gt_u32_e64 s8, v80
	s_cbranch_execz .LBB1966_937
.LBB1966_952:                           ;   in Loop: Header=BB1966_902 Depth=2
	v_cmp_gt_i16_e32 vcc_lo, 0, v25
	v_cndmask_b32_e64 v39, 0x7fff, 0, vcc_lo
	s_delay_alu instid0(VALU_DEP_1) | instskip(NEXT) | instid1(VALU_DEP_1)
	v_xor_b32_e32 v39, v39, v25
	v_cmp_ne_u16_e32 vcc_lo, 0x8000, v39
	v_cndmask_b32_e32 v39, 0x7fff, v39, vcc_lo
	s_delay_alu instid0(VALU_DEP_1) | instskip(NEXT) | instid1(VALU_DEP_1)
	v_and_b32_e32 v39, 0xffff, v39
	v_lshrrev_b32_e32 v39, s49, v39
	s_delay_alu instid0(VALU_DEP_1) | instskip(NEXT) | instid1(VALU_DEP_1)
	v_and_b32_e32 v39, s52, v39
	v_lshl_or_b32 v39, v39, 4, v83
	ds_add_u32 v39, v96
	s_or_b32 exec_lo, exec_lo, s9
	s_delay_alu instid0(SALU_CYCLE_1)
	s_mov_b32 s9, exec_lo
	v_cmpx_gt_u32_e64 s8, v81
	s_cbranch_execz .LBB1966_938
.LBB1966_953:                           ;   in Loop: Header=BB1966_902 Depth=2
	v_cmp_gt_i16_e32 vcc_lo, 0, v24
	v_cndmask_b32_e64 v39, 0x7fff, 0, vcc_lo
	s_delay_alu instid0(VALU_DEP_1) | instskip(NEXT) | instid1(VALU_DEP_1)
	v_xor_b32_e32 v39, v39, v24
	v_cmp_ne_u16_e32 vcc_lo, 0x8000, v39
	v_cndmask_b32_e32 v39, 0x7fff, v39, vcc_lo
	s_delay_alu instid0(VALU_DEP_1) | instskip(NEXT) | instid1(VALU_DEP_1)
	v_and_b32_e32 v39, 0xffff, v39
	v_lshrrev_b32_e32 v39, s49, v39
	s_delay_alu instid0(VALU_DEP_1) | instskip(NEXT) | instid1(VALU_DEP_1)
	v_and_b32_e32 v39, s52, v39
	v_lshl_or_b32 v39, v39, 4, v83
	ds_add_u32 v39, v96
	s_or_b32 exec_lo, exec_lo, s9
	v_cmp_gt_u32_e32 vcc_lo, s8, v82
	s_and_saveexec_b32 s8, vcc_lo
	s_cbranch_execz .LBB1966_901
.LBB1966_954:                           ;   in Loop: Header=BB1966_902 Depth=2
	v_cmp_gt_i16_e32 vcc_lo, 0, v23
	v_cndmask_b32_e64 v39, 0x7fff, 0, vcc_lo
	s_delay_alu instid0(VALU_DEP_1) | instskip(NEXT) | instid1(VALU_DEP_1)
	v_xor_b32_e32 v39, v39, v23
	v_cmp_ne_u16_e32 vcc_lo, 0x8000, v39
	v_cndmask_b32_e32 v39, 0x7fff, v39, vcc_lo
	s_delay_alu instid0(VALU_DEP_1) | instskip(NEXT) | instid1(VALU_DEP_1)
	v_and_b32_e32 v39, 0xffff, v39
	v_lshrrev_b32_e32 v39, s49, v39
	s_delay_alu instid0(VALU_DEP_1) | instskip(NEXT) | instid1(VALU_DEP_1)
	v_and_b32_e32 v39, s52, v39
	v_lshl_or_b32 v39, v39, 4, v83
	ds_add_u32 v39, v96
	s_branch .LBB1966_901
.LBB1966_955:                           ;   in Loop: Header=BB1966_902 Depth=2
	global_load_u16 v38, v2, s[8:9] scale_offset
	s_wait_xcnt 0x0
	s_or_b32 exec_lo, exec_lo, s11
	s_delay_alu instid0(SALU_CYCLE_1)
	s_mov_b32 s11, exec_lo
	v_cmpx_gt_u32_e64 s7, v68
	s_cbranch_execz .LBB1966_907
.LBB1966_956:                           ;   in Loop: Header=BB1966_902 Depth=2
	global_load_u16 v37, v2, s[8:9] offset:512 scale_offset
	s_wait_xcnt 0x0
	s_or_b32 exec_lo, exec_lo, s11
	s_delay_alu instid0(SALU_CYCLE_1)
	s_mov_b32 s11, exec_lo
	v_cmpx_gt_u32_e64 s7, v69
	s_cbranch_execz .LBB1966_908
.LBB1966_957:                           ;   in Loop: Header=BB1966_902 Depth=2
	global_load_u16 v36, v2, s[8:9] offset:1024 scale_offset
	s_wait_xcnt 0x0
	s_or_b32 exec_lo, exec_lo, s11
	s_delay_alu instid0(SALU_CYCLE_1)
	s_mov_b32 s11, exec_lo
	v_cmpx_gt_u32_e64 s7, v70
	s_cbranch_execz .LBB1966_909
.LBB1966_958:                           ;   in Loop: Header=BB1966_902 Depth=2
	global_load_u16 v35, v2, s[8:9] offset:1536 scale_offset
	s_wait_xcnt 0x0
	s_or_b32 exec_lo, exec_lo, s11
	s_delay_alu instid0(SALU_CYCLE_1)
	s_mov_b32 s11, exec_lo
	v_cmpx_gt_u32_e64 s7, v71
	s_cbranch_execz .LBB1966_910
.LBB1966_959:                           ;   in Loop: Header=BB1966_902 Depth=2
	global_load_u16 v34, v2, s[8:9] offset:2048 scale_offset
	s_wait_xcnt 0x0
	s_or_b32 exec_lo, exec_lo, s11
	s_delay_alu instid0(SALU_CYCLE_1)
	s_mov_b32 s11, exec_lo
	v_cmpx_gt_u32_e64 s7, v72
	s_cbranch_execz .LBB1966_911
.LBB1966_960:                           ;   in Loop: Header=BB1966_902 Depth=2
	global_load_u16 v33, v2, s[8:9] offset:2560 scale_offset
	s_wait_xcnt 0x0
	s_or_b32 exec_lo, exec_lo, s11
	s_delay_alu instid0(SALU_CYCLE_1)
	s_mov_b32 s11, exec_lo
	v_cmpx_gt_u32_e64 s7, v73
	s_cbranch_execz .LBB1966_912
.LBB1966_961:                           ;   in Loop: Header=BB1966_902 Depth=2
	global_load_u16 v32, v2, s[8:9] offset:3072 scale_offset
	s_wait_xcnt 0x0
	s_or_b32 exec_lo, exec_lo, s11
	s_delay_alu instid0(SALU_CYCLE_1)
	s_mov_b32 s11, exec_lo
	v_cmpx_gt_u32_e64 s7, v74
	s_cbranch_execz .LBB1966_913
.LBB1966_962:                           ;   in Loop: Header=BB1966_902 Depth=2
	global_load_u16 v31, v2, s[8:9] offset:3584 scale_offset
	s_wait_xcnt 0x0
	s_or_b32 exec_lo, exec_lo, s11
	s_delay_alu instid0(SALU_CYCLE_1)
	s_mov_b32 s11, exec_lo
	v_cmpx_gt_u32_e64 s7, v75
	s_cbranch_execz .LBB1966_914
.LBB1966_963:                           ;   in Loop: Header=BB1966_902 Depth=2
	global_load_u16 v30, v2, s[8:9] offset:4096 scale_offset
	s_wait_xcnt 0x0
	s_or_b32 exec_lo, exec_lo, s11
	s_delay_alu instid0(SALU_CYCLE_1)
	s_mov_b32 s11, exec_lo
	v_cmpx_gt_u32_e64 s7, v76
	s_cbranch_execz .LBB1966_915
.LBB1966_964:                           ;   in Loop: Header=BB1966_902 Depth=2
	global_load_u16 v29, v2, s[8:9] offset:4608 scale_offset
	s_wait_xcnt 0x0
	s_or_b32 exec_lo, exec_lo, s11
	s_delay_alu instid0(SALU_CYCLE_1)
	s_mov_b32 s11, exec_lo
	v_cmpx_gt_u32_e64 s7, v77
	s_cbranch_execz .LBB1966_916
.LBB1966_965:                           ;   in Loop: Header=BB1966_902 Depth=2
	global_load_u16 v28, v2, s[8:9] offset:5120 scale_offset
	s_wait_xcnt 0x0
	s_or_b32 exec_lo, exec_lo, s11
	s_delay_alu instid0(SALU_CYCLE_1)
	s_mov_b32 s11, exec_lo
	v_cmpx_gt_u32_e64 s7, v78
	s_cbranch_execz .LBB1966_917
.LBB1966_966:                           ;   in Loop: Header=BB1966_902 Depth=2
	global_load_u16 v27, v2, s[8:9] offset:5632 scale_offset
	s_wait_xcnt 0x0
	s_or_b32 exec_lo, exec_lo, s11
	s_delay_alu instid0(SALU_CYCLE_1)
	s_mov_b32 s11, exec_lo
	v_cmpx_gt_u32_e64 s7, v79
	s_cbranch_execz .LBB1966_918
.LBB1966_967:                           ;   in Loop: Header=BB1966_902 Depth=2
	global_load_u16 v26, v2, s[8:9] offset:6144 scale_offset
	s_wait_xcnt 0x0
	s_or_b32 exec_lo, exec_lo, s11
	s_delay_alu instid0(SALU_CYCLE_1)
	s_mov_b32 s11, exec_lo
	v_cmpx_gt_u32_e64 s7, v80
	s_cbranch_execz .LBB1966_919
.LBB1966_968:                           ;   in Loop: Header=BB1966_902 Depth=2
	global_load_u16 v25, v2, s[8:9] offset:6656 scale_offset
	s_wait_xcnt 0x0
	s_or_b32 exec_lo, exec_lo, s11
	s_delay_alu instid0(SALU_CYCLE_1)
	s_mov_b32 s11, exec_lo
	v_cmpx_gt_u32_e64 s7, v81
	s_cbranch_execz .LBB1966_920
.LBB1966_969:                           ;   in Loop: Header=BB1966_902 Depth=2
	global_load_u16 v24, v2, s[8:9] offset:7168 scale_offset
	s_wait_xcnt 0x0
	s_or_b32 exec_lo, exec_lo, s11
	s_delay_alu instid0(SALU_CYCLE_1)
	s_mov_b32 s11, exec_lo
	v_cmpx_gt_u32_e64 s7, v82
	s_cbranch_execnz .LBB1966_921
	s_branch .LBB1966_922
.LBB1966_970:                           ;   in Loop: Header=BB1966_20 Depth=1
	v_mov_b32_e32 v23, 0
	s_wait_dscnt 0x0
	s_barrier_signal -1
	s_barrier_wait -1
	s_and_saveexec_b32 s7, s0
	s_cbranch_execz .LBB1966_972
; %bb.971:                              ;   in Loop: Header=BB1966_20 Depth=1
	ds_load_2addr_b64 v[24:27], v85 offset1:1
	s_wait_dscnt 0x0
	v_add_nc_u32_e32 v23, v25, v24
	s_delay_alu instid0(VALU_DEP_1)
	v_add3_u32 v23, v23, v26, v27
.LBB1966_972:                           ;   in Loop: Header=BB1966_20 Depth=1
	s_or_b32 exec_lo, exec_lo, s7
	s_delay_alu instid0(VALU_DEP_1)
	v_mov_b32_dpp v24, v23 row_shr:1 row_mask:0xf bank_mask:0xf
	v_cmp_eq_u32_e64 s7, 0, v97
	v_cmp_lt_u32_e64 s8, 1, v97
	v_cmp_lt_u32_e64 s9, 3, v97
	;; [unrolled: 1-line block ×3, first 2 shown]
	v_cmp_eq_u32_e64 s11, 0, v99
	v_cndmask_b32_e64 v24, v24, 0, s7
	s_delay_alu instid0(VALU_DEP_1) | instskip(NEXT) | instid1(VALU_DEP_1)
	v_add_nc_u32_e32 v23, v24, v23
	v_mov_b32_dpp v24, v23 row_shr:2 row_mask:0xf bank_mask:0xf
	s_delay_alu instid0(VALU_DEP_1) | instskip(NEXT) | instid1(VALU_DEP_1)
	v_cndmask_b32_e64 v24, 0, v24, s8
	v_add_nc_u32_e32 v23, v23, v24
	s_delay_alu instid0(VALU_DEP_1) | instskip(NEXT) | instid1(VALU_DEP_1)
	v_mov_b32_dpp v24, v23 row_shr:4 row_mask:0xf bank_mask:0xf
	v_cndmask_b32_e64 v24, 0, v24, s9
	s_delay_alu instid0(VALU_DEP_1) | instskip(NEXT) | instid1(VALU_DEP_1)
	v_add_nc_u32_e32 v23, v23, v24
	v_mov_b32_dpp v24, v23 row_shr:8 row_mask:0xf bank_mask:0xf
	s_delay_alu instid0(VALU_DEP_1) | instskip(NEXT) | instid1(VALU_DEP_1)
	v_cndmask_b32_e64 v24, 0, v24, s10
	v_add_nc_u32_e32 v23, v23, v24
	ds_swizzle_b32 v24, v23 offset:swizzle(BROADCAST,32,15)
	s_wait_dscnt 0x0
	v_and_b32_e32 v24, v98, v24
	s_delay_alu instid0(VALU_DEP_1)
	v_add_nc_u32_e32 v23, v23, v24
	s_and_saveexec_b32 s12, s1
; %bb.973:                              ;   in Loop: Header=BB1966_20 Depth=1
	ds_store_b32 v86, v23
; %bb.974:                              ;   in Loop: Header=BB1966_20 Depth=1
	s_or_b32 exec_lo, exec_lo, s12
	s_wait_dscnt 0x0
	s_barrier_signal -1
	s_barrier_wait -1
	s_and_saveexec_b32 s12, s4
	s_cbranch_execz .LBB1966_976
; %bb.975:                              ;   in Loop: Header=BB1966_20 Depth=1
	ds_load_b32 v24, v87
	v_cmp_ne_u32_e32 vcc_lo, 0, v101
	s_wait_dscnt 0x0
	v_mov_b32_dpp v25, v24 row_shr:1 row_mask:0xf bank_mask:0xf
	s_delay_alu instid0(VALU_DEP_1) | instskip(SKIP_1) | instid1(VALU_DEP_2)
	v_cndmask_b32_e32 v25, 0, v25, vcc_lo
	v_cmp_lt_u32_e32 vcc_lo, 1, v101
	v_add_nc_u32_e32 v24, v25, v24
	s_delay_alu instid0(VALU_DEP_1) | instskip(NEXT) | instid1(VALU_DEP_1)
	v_mov_b32_dpp v25, v24 row_shr:2 row_mask:0xf bank_mask:0xf
	v_cndmask_b32_e32 v25, 0, v25, vcc_lo
	v_cmp_lt_u32_e32 vcc_lo, 3, v101
	s_delay_alu instid0(VALU_DEP_2) | instskip(NEXT) | instid1(VALU_DEP_1)
	v_add_nc_u32_e32 v24, v24, v25
	v_mov_b32_dpp v25, v24 row_shr:4 row_mask:0xf bank_mask:0xf
	s_delay_alu instid0(VALU_DEP_1) | instskip(NEXT) | instid1(VALU_DEP_1)
	v_cndmask_b32_e32 v25, 0, v25, vcc_lo
	v_add_nc_u32_e32 v24, v24, v25
	ds_store_b32 v87, v24
.LBB1966_976:                           ;   in Loop: Header=BB1966_20 Depth=1
	s_or_b32 exec_lo, exec_lo, s12
	v_mov_b32_e32 v24, 0
	s_wait_dscnt 0x0
	s_barrier_signal -1
	s_barrier_wait -1
	s_and_saveexec_b32 s12, s5
; %bb.977:                              ;   in Loop: Header=BB1966_20 Depth=1
	ds_load_b32 v24, v88
; %bb.978:                              ;   in Loop: Header=BB1966_20 Depth=1
	s_or_b32 exec_lo, exec_lo, s12
	v_cmp_gt_i32_e32 vcc_lo, 0, v102
	s_wait_dscnt 0x0
	s_barrier_signal -1
	s_barrier_wait -1
	v_cndmask_b32_e32 v25, v102, v95, vcc_lo
	s_delay_alu instid0(VALU_DEP_1)
	v_dual_add_nc_u32 v23, v24, v23 :: v_dual_lshlrev_b32 v122, 2, v25
	ds_bpermute_b32 v23, v122, v23
	s_and_saveexec_b32 s12, s0
	s_cbranch_execz .LBB1966_980
; %bb.979:                              ;   in Loop: Header=BB1966_20 Depth=1
	s_wait_dscnt 0x0
	v_cndmask_b32_e64 v23, v23, v24, s6
	s_delay_alu instid0(VALU_DEP_1)
	v_add_nc_u32_e32 v23, s54, v23
	ds_store_b32 v3, v23
.LBB1966_980:                           ;   in Loop: Header=BB1966_20 Depth=1
	s_or_b32 exec_lo, exec_lo, s12
	s_load_b64 s[12:13], s[34:35], 0x0
	s_mov_b32 s53, s56
                                        ; implicit-def: $vgpr30_vgpr31
                                        ; implicit-def: $vgpr32_vgpr33
                                        ; implicit-def: $vgpr34_vgpr35
                                        ; implicit-def: $vgpr36_vgpr37
                                        ; implicit-def: $vgpr38_vgpr39
                                        ; implicit-def: $vgpr40_vgpr41
                                        ; implicit-def: $vgpr42_vgpr43
                                        ; implicit-def: $vgpr44_vgpr45
                                        ; implicit-def: $vgpr46_vgpr47
                                        ; implicit-def: $vgpr48_vgpr49
                                        ; implicit-def: $vgpr50_vgpr51
                                        ; implicit-def: $vgpr52_vgpr53
                                        ; implicit-def: $vgpr54_vgpr55
                                        ; implicit-def: $vgpr56_vgpr57
                                        ; implicit-def: $vgpr58_vgpr59
                                        ; implicit-def: $vgpr123
                                        ; implicit-def: $vgpr124
                                        ; implicit-def: $vgpr125
                                        ; implicit-def: $vgpr126
                                        ; implicit-def: $vgpr127
                                        ; implicit-def: $vgpr128
                                        ; implicit-def: $vgpr129
                                        ; implicit-def: $vgpr130
                                        ; implicit-def: $vgpr131
                                        ; implicit-def: $vgpr132
                                        ; implicit-def: $vgpr133
                                        ; implicit-def: $vgpr134
                                        ; implicit-def: $vgpr135
                                        ; implicit-def: $vgpr136
                                        ; implicit-def: $vgpr137
                                        ; implicit-def: $vgpr138
	s_wait_kmcnt 0x0
	s_cmp_lt_u32 s33, s12
	s_cselect_b32 s42, 12, 18
	s_cmp_lt_u32 s31, s13
	s_mov_b32 s13, s43
	s_cselect_b32 s12, 14, 20
	s_delay_alu instid0(SALU_CYCLE_1)
	s_add_nc_u64 s[12:13], s[34:35], s[12:13]
	s_load_u16 s14, s[12:13], 0x0
	s_wait_xcnt 0x0
	s_add_nc_u64 s[12:13], s[34:35], s[42:43]
	s_mov_b32 s42, s54
	s_load_u16 s12, s[12:13], 0x0
	s_wait_xcnt 0x0
	v_cmp_lt_u32_e64 s13, 1, v101
	s_wait_dscnt 0x0
	s_wait_kmcnt 0x0
	v_mad_u32_u24 v23, v89, s14, v90
	v_cmp_lt_u32_e64 s14, 3, v101
	s_delay_alu instid0(VALU_DEP_2) | instskip(SKIP_2) | instid1(VALU_DEP_3)
	v_mad_u32 v24, v23, s12, v2
	v_mov_b32_e32 v23, v5
	v_cmp_eq_u32_e64 s12, 0, v101
	v_lshrrev_b32_e32 v28, 3, v24
	v_add_nc_u64_e32 v[24:25], v[18:19], v[4:5]
	s_delay_alu instid0(VALU_DEP_4) | instskip(NEXT) | instid1(VALU_DEP_3)
	v_add_nc_u64_e32 v[26:27], v[20:21], v[22:23]
	v_and_b32_e32 v23, 0x1ffffffc, v28
                                        ; implicit-def: $vgpr28_vgpr29
	s_branch .LBB1966_982
.LBB1966_981:                           ;   in Loop: Header=BB1966_982 Depth=2
	s_or_b32 exec_lo, exec_lo, s15
	s_addk_co_i32 s53, 0xf000
	s_cmp_lt_u32 s57, s51
	s_mov_b32 s42, s57
	s_cbranch_scc0 .LBB1966_18
.LBB1966_982:                           ;   Parent Loop BB1966_20 Depth=1
                                        ; =>  This Inner Loop Header: Depth=2
	s_add_co_i32 s57, s42, 0x1000
	s_delay_alu instid0(SALU_CYCLE_1)
	s_cmp_gt_u32 s57, s51
	s_cbranch_scc1 .LBB1966_984
; %bb.983:                              ;   in Loop: Header=BB1966_982 Depth=2
	s_delay_alu instid0(VALU_DEP_2)
	v_lshl_add_u64 v[60:61], s[42:43], 1, v[26:27]
	s_mov_b32 s15, -1
	s_clause 0xe
	global_load_u16 v140, v[60:61], off
	global_load_u16 v141, v[60:61], off offset:64
	global_load_u16 v144, v[60:61], off offset:128
	;; [unrolled: 1-line block ×14, first 2 shown]
	s_movk_i32 s16, 0x1000
	s_cbranch_execz .LBB1966_985
	s_branch .LBB1966_1016
.LBB1966_984:                           ;   in Loop: Header=BB1966_982 Depth=2
	s_mov_b32 s15, 0
                                        ; implicit-def: $vgpr140
                                        ; implicit-def: $vgpr141
                                        ; implicit-def: $vgpr144
                                        ; implicit-def: $vgpr148
                                        ; implicit-def: $vgpr152
                                        ; implicit-def: $vgpr156
                                        ; implicit-def: $vgpr160
                                        ; implicit-def: $vgpr164
                                        ; implicit-def: $vgpr168
                                        ; implicit-def: $vgpr67
                                        ; implicit-def: $vgpr66
                                        ; implicit-def: $vgpr65
                                        ; implicit-def: $vgpr64
                                        ; implicit-def: $vgpr63
                                        ; implicit-def: $vgpr62
	s_movk_i32 s16, 0x1000
.LBB1966_985:                           ;   in Loop: Header=BB1966_982 Depth=2
	s_wait_xcnt 0x0
	v_lshl_add_u64 v[60:61], s[42:43], 1, v[26:27]
	s_wait_loadcnt 0xd
	v_dual_mov_b32 v141, -1 :: v_dual_mov_b32 v140, -1
	s_mov_b32 s15, exec_lo
	v_cmpx_gt_u32_e64 s53, v100
	s_cbranch_execz .LBB1966_987
; %bb.986:                              ;   in Loop: Header=BB1966_982 Depth=2
	global_load_u16 v140, v[60:61], off
.LBB1966_987:                           ;   in Loop: Header=BB1966_982 Depth=2
	s_wait_xcnt 0x0
	s_or_b32 exec_lo, exec_lo, s15
	s_delay_alu instid0(SALU_CYCLE_1)
	s_mov_b32 s15, exec_lo
	v_cmpx_gt_u32_e64 s53, v103
	s_cbranch_execz .LBB1966_989
; %bb.988:                              ;   in Loop: Header=BB1966_982 Depth=2
	global_load_u16 v141, v[60:61], off offset:64
.LBB1966_989:                           ;   in Loop: Header=BB1966_982 Depth=2
	s_wait_xcnt 0x0
	s_or_b32 exec_lo, exec_lo, s15
	s_wait_loadcnt 0xb
	v_dual_mov_b32 v148, -1 :: v_dual_mov_b32 v144, -1
	s_mov_b32 s15, exec_lo
	v_cmpx_gt_u32_e64 s53, v104
	s_cbranch_execz .LBB1966_991
; %bb.990:                              ;   in Loop: Header=BB1966_982 Depth=2
	global_load_u16 v144, v[60:61], off offset:128
.LBB1966_991:                           ;   in Loop: Header=BB1966_982 Depth=2
	s_wait_xcnt 0x0
	s_or_b32 exec_lo, exec_lo, s15
	s_delay_alu instid0(SALU_CYCLE_1)
	s_mov_b32 s15, exec_lo
	v_cmpx_gt_u32_e64 s53, v105
	s_cbranch_execz .LBB1966_993
; %bb.992:                              ;   in Loop: Header=BB1966_982 Depth=2
	global_load_u16 v148, v[60:61], off offset:192
.LBB1966_993:                           ;   in Loop: Header=BB1966_982 Depth=2
	s_wait_xcnt 0x0
	s_or_b32 exec_lo, exec_lo, s15
	s_wait_loadcnt 0x9
	v_dual_mov_b32 v156, -1 :: v_dual_mov_b32 v152, -1
	s_mov_b32 s15, exec_lo
	v_cmpx_gt_u32_e64 s53, v106
	s_cbranch_execz .LBB1966_995
; %bb.994:                              ;   in Loop: Header=BB1966_982 Depth=2
	global_load_u16 v152, v[60:61], off offset:256
.LBB1966_995:                           ;   in Loop: Header=BB1966_982 Depth=2
	;; [unrolled: 19-line block ×3, first 2 shown]
	s_wait_xcnt 0x0
	s_or_b32 exec_lo, exec_lo, s15
	s_delay_alu instid0(SALU_CYCLE_1)
	s_mov_b32 s15, exec_lo
	v_cmpx_gt_u32_e64 s53, v109
	s_cbranch_execz .LBB1966_1001
; %bb.1000:                             ;   in Loop: Header=BB1966_982 Depth=2
	global_load_u16 v164, v[60:61], off offset:448
.LBB1966_1001:                          ;   in Loop: Header=BB1966_982 Depth=2
	s_wait_xcnt 0x0
	s_or_b32 exec_lo, exec_lo, s15
	s_wait_loadcnt 0x5
	v_dual_mov_b32 v67, -1 :: v_dual_mov_b32 v168, -1
	s_mov_b32 s15, exec_lo
	v_cmpx_gt_u32_e64 s53, v110
	s_cbranch_execz .LBB1966_1003
; %bb.1002:                             ;   in Loop: Header=BB1966_982 Depth=2
	global_load_u16 v168, v[60:61], off offset:512
.LBB1966_1003:                          ;   in Loop: Header=BB1966_982 Depth=2
	s_wait_xcnt 0x0
	s_or_b32 exec_lo, exec_lo, s15
	s_delay_alu instid0(SALU_CYCLE_1)
	s_mov_b32 s15, exec_lo
	v_cmpx_gt_u32_e64 s53, v111
	s_cbranch_execz .LBB1966_1005
; %bb.1004:                             ;   in Loop: Header=BB1966_982 Depth=2
	global_load_u16 v67, v[60:61], off offset:576
.LBB1966_1005:                          ;   in Loop: Header=BB1966_982 Depth=2
	s_wait_xcnt 0x0
	s_or_b32 exec_lo, exec_lo, s15
	s_wait_loadcnt 0x3
	v_dual_mov_b32 v65, -1 :: v_dual_mov_b32 v66, -1
	s_mov_b32 s15, exec_lo
	v_cmpx_gt_u32_e64 s53, v112
	s_cbranch_execz .LBB1966_1007
; %bb.1006:                             ;   in Loop: Header=BB1966_982 Depth=2
	global_load_u16 v66, v[60:61], off offset:640
.LBB1966_1007:                          ;   in Loop: Header=BB1966_982 Depth=2
	;; [unrolled: 19-line block ×3, first 2 shown]
	s_wait_xcnt 0x0
	s_or_b32 exec_lo, exec_lo, s15
	s_delay_alu instid0(SALU_CYCLE_1)
	s_mov_b32 s15, exec_lo
	v_cmpx_gt_u32_e64 s53, v115
	s_cbranch_execz .LBB1966_1013
; %bb.1012:                             ;   in Loop: Header=BB1966_982 Depth=2
	global_load_u16 v63, v[60:61], off offset:832
.LBB1966_1013:                          ;   in Loop: Header=BB1966_982 Depth=2
	s_wait_xcnt 0x0
	s_or_b32 exec_lo, exec_lo, s15
	s_wait_loadcnt 0x0
	v_mov_b32_e32 v62, -1
	s_mov_b32 s15, exec_lo
	v_cmpx_gt_u32_e64 s53, v116
	s_cbranch_execz .LBB1966_1015
; %bb.1014:                             ;   in Loop: Header=BB1966_982 Depth=2
	global_load_u16 v62, v[60:61], off offset:896
.LBB1966_1015:                          ;   in Loop: Header=BB1966_982 Depth=2
	s_wait_xcnt 0x0
	s_or_b32 exec_lo, exec_lo, s15
	v_cmp_gt_u32_e64 s15, s53, v117
	s_sub_co_i32 s16, s51, s42
.LBB1966_1016:                          ;   in Loop: Header=BB1966_982 Depth=2
	s_wait_xcnt 0x0
	v_dual_mov_b32 v60, -1 :: v_dual_mov_b32 v139, s53
	s_and_saveexec_b32 s17, s15
	s_cbranch_execz .LBB1966_1018
; %bb.1017:                             ;   in Loop: Header=BB1966_982 Depth=2
	v_lshl_add_u64 v[60:61], s[42:43], 1, v[26:27]
	v_mov_b32_e32 v139, s16
	global_load_u16 v60, v[60:61], off offset:960
.LBB1966_1018:                          ;   in Loop: Header=BB1966_982 Depth=2
	s_wait_xcnt 0x0
	s_or_b32 exec_lo, exec_lo, s17
	s_wait_loadcnt 0xe
	v_cmp_gt_i16_e64 vcc_lo, 0, v140
	ds_store_2addr_b32 v121, v5, v5 offset1:1
	ds_store_2addr_b32 v118, v5, v5 offset1:1
	;; [unrolled: 1-line block ×4, first 2 shown]
	ds_store_b32 v91, v5 offset:1088
	s_wait_loadcnt_dscnt 0x0
	s_barrier_signal -1
	v_cndmask_b32_e64 v61, 0x7fff, 0, vcc_lo
	s_barrier_wait -1
	; wave barrier
	s_delay_alu instid0(VALU_DEP_1) | instskip(NEXT) | instid1(VALU_DEP_1)
	v_xor_b32_e32 v140, v61, v140
	v_cmp_ne_u16_e64 vcc_lo, 0x8000, v140
	v_cndmask_b32_e32 v61, 0x7fff, v140, vcc_lo
	s_delay_alu instid0(VALU_DEP_1) | instskip(NEXT) | instid1(VALU_DEP_1)
	v_and_b32_e32 v61, 0xffff, v61
	v_lshrrev_b32_e32 v61, s49, v61
	s_delay_alu instid0(VALU_DEP_1) | instskip(SKIP_1) | instid1(VALU_DEP_2)
	v_bitop3_b32 v142, v61, 1, s52 bitop3:0x80
	v_and_b32_e32 v143, s52, v61
	v_add_co_u32 v61, s15, v142, -1
	s_delay_alu instid0(VALU_DEP_1) | instskip(NEXT) | instid1(VALU_DEP_3)
	v_cndmask_b32_e64 v142, 0, 1, s15
	v_lshlrev_b32_e32 v145, 30, v143
	s_delay_alu instid0(VALU_DEP_2) | instskip(NEXT) | instid1(VALU_DEP_2)
	v_cmp_ne_u32_e32 vcc_lo, 0, v142
	v_not_b32_e32 v142, v145
	s_delay_alu instid0(VALU_DEP_1) | instskip(SKIP_3) | instid1(VALU_DEP_4)
	v_dual_ashrrev_i32 v142, 31, v142 :: v_dual_lshlrev_b32 v146, 29, v143
	v_dual_lshlrev_b32 v147, 28, v143 :: v_dual_lshlrev_b32 v149, 27, v143
	v_lshlrev_b32_e32 v150, 26, v143
	v_cmp_gt_i32_e64 s15, 0, v145
	v_cmp_gt_i32_e64 s16, 0, v146
	v_not_b32_e32 v145, v146
	v_not_b32_e32 v146, v147
	v_dual_lshlrev_b32 v151, 25, v143 :: v_dual_lshlrev_b32 v153, 24, v143
	v_cmp_gt_i32_e64 s17, 0, v147
	v_cmp_gt_i32_e64 s18, 0, v149
	v_not_b32_e32 v147, v149
	v_not_b32_e32 v149, v150
	v_dual_ashrrev_i32 v146, 31, v146 :: v_dual_bitop2_b32 v61, vcc_lo, v61 bitop3:0x14
	v_dual_ashrrev_i32 v145, 31, v145 :: v_dual_bitop2_b32 v142, s15, v142 bitop3:0x14
	v_cmp_gt_i32_e64 s19, 0, v150
	v_cmp_gt_i32_e64 s20, 0, v151
	v_not_b32_e32 v150, v151
	v_not_b32_e32 v151, v153
	v_dual_ashrrev_i32 v147, 31, v147 :: v_dual_ashrrev_i32 v149, 31, v149
	v_xor_b32_e32 v145, s16, v145
	v_xor_b32_e32 v146, s17, v146
	v_bitop3_b32 v61, v61, v142, exec_lo bitop3:0x80
	v_cmp_gt_i32_e64 s21, 0, v153
	v_dual_ashrrev_i32 v142, 31, v150 :: v_dual_ashrrev_i32 v150, 31, v151
	v_xor_b32_e32 v147, s18, v147
	s_delay_alu instid0(VALU_DEP_4) | instskip(SKIP_3) | instid1(VALU_DEP_3)
	v_bitop3_b32 v61, v61, v146, v145 bitop3:0x80
	v_mul_u32_u24_e32 v143, 36, v143
	v_xor_b32_e32 v149, s19, v149
	v_xor_b32_e32 v142, s20, v142
	v_dual_add_nc_u32 v143, v23, v143 :: v_dual_bitop2_b32 v145, s21, v150 bitop3:0x14
	s_delay_alu instid0(VALU_DEP_3) | instskip(NEXT) | instid1(VALU_DEP_1)
	v_bitop3_b32 v61, v61, v149, v147 bitop3:0x80
	v_bitop3_b32 v61, v61, v145, v142 bitop3:0x80
	s_delay_alu instid0(VALU_DEP_1) | instskip(SKIP_1) | instid1(VALU_DEP_2)
	v_mbcnt_lo_u32_b32 v142, v61, 0
	v_cmp_ne_u32_e64 s15, 0, v61
	v_cmp_eq_u32_e32 vcc_lo, 0, v142
	s_and_b32 s16, s15, vcc_lo
	s_delay_alu instid0(SALU_CYCLE_1)
	s_and_saveexec_b32 s15, s16
; %bb.1019:                             ;   in Loop: Header=BB1966_982 Depth=2
	v_bcnt_u32_b32 v61, v61, 0
	ds_store_b32 v143, v61 offset:1056
; %bb.1020:                             ;   in Loop: Header=BB1966_982 Depth=2
	s_or_b32 exec_lo, exec_lo, s15
	v_cmp_gt_i16_e64 vcc_lo, 0, v141
	; wave barrier
	s_delay_alu instid0(VALU_DEP_1) | instskip(NEXT) | instid1(VALU_DEP_1)
	v_cndmask_b32_e64 v61, 0x7fff, 0, vcc_lo
	v_xor_b32_e32 v141, v61, v141
	s_delay_alu instid0(VALU_DEP_1) | instskip(SKIP_1) | instid1(VALU_DEP_1)
	v_cmp_ne_u16_e64 vcc_lo, 0x8000, v141
	v_cndmask_b32_e32 v61, 0x7fff, v141, vcc_lo
	v_and_b32_e32 v61, 0xffff, v61
	s_delay_alu instid0(VALU_DEP_1) | instskip(NEXT) | instid1(VALU_DEP_1)
	v_lshrrev_b32_e32 v61, s49, v61
	v_and_b32_e32 v147, s52, v61
	s_delay_alu instid0(VALU_DEP_1) | instskip(SKIP_2) | instid1(VALU_DEP_3)
	v_lshlrev_b32_e32 v149, 29, v147
	v_bitop3_b32 v145, v61, 1, s52 bitop3:0x80
	v_lshlrev_b32_e32 v146, 30, v147
	v_cmp_gt_i32_e64 s16, 0, v149
	s_delay_alu instid0(VALU_DEP_3) | instskip(NEXT) | instid1(VALU_DEP_1)
	v_add_co_u32 v61, s15, v145, -1
	v_cndmask_b32_e64 v145, 0, 1, s15
	s_delay_alu instid0(VALU_DEP_4) | instskip(NEXT) | instid1(VALU_DEP_2)
	v_cmp_gt_i32_e64 s15, 0, v146
	v_cmp_ne_u32_e32 vcc_lo, 0, v145
	v_not_b32_e32 v145, v146
	v_not_b32_e32 v146, v149
	s_delay_alu instid0(VALU_DEP_1) | instskip(SKIP_2) | instid1(VALU_DEP_3)
	v_dual_ashrrev_i32 v146, 31, v146 :: v_dual_lshlrev_b32 v150, 28, v147
	v_dual_lshlrev_b32 v151, 27, v147 :: v_dual_lshlrev_b32 v153, 26, v147
	v_dual_lshlrev_b32 v154, 25, v147 :: v_dual_lshlrev_b32 v155, 24, v147
	v_cmp_gt_i32_e64 s17, 0, v150
	v_not_b32_e32 v149, v150
	s_delay_alu instid0(VALU_DEP_4)
	v_not_b32_e32 v150, v151
	v_ashrrev_i32_e32 v145, 31, v145
	v_cmp_gt_i32_e64 s18, 0, v151
	v_cmp_gt_i32_e64 s19, 0, v153
	v_not_b32_e32 v151, v153
	v_cmp_gt_i32_e64 s20, 0, v154
	v_not_b32_e32 v153, v154
	v_not_b32_e32 v154, v155
	s_delay_alu instid0(VALU_DEP_4) | instskip(SKIP_3) | instid1(VALU_DEP_3)
	v_dual_ashrrev_i32 v151, 31, v151 :: v_dual_bitop2_b32 v61, vcc_lo, v61 bitop3:0x14
	v_dual_ashrrev_i32 v149, 31, v149 :: v_dual_bitop2_b32 v146, s16, v146 bitop3:0x14
	v_dual_ashrrev_i32 v150, 31, v150 :: v_dual_bitop2_b32 v145, s15, v145 bitop3:0x14
	v_cmp_gt_i32_e64 s21, 0, v155
	v_xor_b32_e32 v149, s17, v149
	v_xor_b32_e32 v151, s19, v151
	s_delay_alu instid0(VALU_DEP_4) | instskip(SKIP_2) | instid1(VALU_DEP_2)
	v_xor_b32_e32 v150, s18, v150
	v_bitop3_b32 v61, v61, v145, exec_lo bitop3:0x80
	v_dual_ashrrev_i32 v145, 31, v153 :: v_dual_ashrrev_i32 v153, 31, v154
	v_bitop3_b32 v61, v61, v149, v146 bitop3:0x80
	v_mad_u32_u24 v146, v147, 36, v23
	s_delay_alu instid0(VALU_DEP_3) | instskip(NEXT) | instid1(VALU_DEP_4)
	v_xor_b32_e32 v149, s20, v145
	v_xor_b32_e32 v153, s21, v153
	v_mul_u32_u24_e32 v147, 36, v147
	v_bitop3_b32 v61, v61, v151, v150 bitop3:0x80
	ds_load_b32 v145, v146 offset:1056
	; wave barrier
	v_add_nc_u32_e32 v147, v23, v147
	v_bitop3_b32 v61, v61, v153, v149 bitop3:0x80
	s_delay_alu instid0(VALU_DEP_1) | instskip(SKIP_1) | instid1(VALU_DEP_2)
	v_mbcnt_lo_u32_b32 v146, v61, 0
	v_cmp_ne_u32_e64 s15, 0, v61
	v_cmp_eq_u32_e32 vcc_lo, 0, v146
	s_and_b32 s16, s15, vcc_lo
	s_delay_alu instid0(SALU_CYCLE_1)
	s_and_saveexec_b32 s15, s16
	s_cbranch_execz .LBB1966_1022
; %bb.1021:                             ;   in Loop: Header=BB1966_982 Depth=2
	s_wait_dscnt 0x0
	v_bcnt_u32_b32 v61, v61, v145
	ds_store_b32 v147, v61 offset:1056
.LBB1966_1022:                          ;   in Loop: Header=BB1966_982 Depth=2
	s_or_b32 exec_lo, exec_lo, s15
	v_cmp_gt_i16_e64 vcc_lo, 0, v144
	; wave barrier
	s_delay_alu instid0(VALU_DEP_1) | instskip(NEXT) | instid1(VALU_DEP_1)
	v_cndmask_b32_e64 v61, 0x7fff, 0, vcc_lo
	v_xor_b32_e32 v144, v61, v144
	s_delay_alu instid0(VALU_DEP_1) | instskip(SKIP_1) | instid1(VALU_DEP_1)
	v_cmp_ne_u16_e64 vcc_lo, 0x8000, v144
	v_cndmask_b32_e32 v61, 0x7fff, v144, vcc_lo
	v_and_b32_e32 v61, 0xffff, v61
	s_delay_alu instid0(VALU_DEP_1) | instskip(NEXT) | instid1(VALU_DEP_1)
	v_lshrrev_b32_e32 v61, s49, v61
	v_bitop3_b32 v149, v61, 1, s52 bitop3:0x80
	v_and_b32_e32 v151, s52, v61
	s_delay_alu instid0(VALU_DEP_2) | instskip(NEXT) | instid1(VALU_DEP_1)
	v_add_co_u32 v61, s15, v149, -1
	v_cndmask_b32_e64 v149, 0, 1, s15
	s_delay_alu instid0(VALU_DEP_3) | instskip(NEXT) | instid1(VALU_DEP_2)
	v_dual_lshlrev_b32 v150, 30, v151 :: v_dual_lshlrev_b32 v153, 29, v151
	v_cmp_ne_u32_e32 vcc_lo, 0, v149
	s_delay_alu instid0(VALU_DEP_2) | instskip(SKIP_1) | instid1(VALU_DEP_4)
	v_cmp_gt_i32_e64 s15, 0, v150
	v_not_b32_e32 v149, v150
	v_not_b32_e32 v150, v153
	s_delay_alu instid0(VALU_DEP_1) | instskip(SKIP_3) | instid1(VALU_DEP_4)
	v_dual_ashrrev_i32 v150, 31, v150 :: v_dual_lshlrev_b32 v154, 28, v151
	v_dual_lshlrev_b32 v155, 27, v151 :: v_dual_lshlrev_b32 v157, 26, v151
	v_dual_lshlrev_b32 v158, 25, v151 :: v_dual_lshlrev_b32 v159, 24, v151
	v_cmp_gt_i32_e64 s16, 0, v153
	v_cmp_gt_i32_e64 s17, 0, v154
	v_not_b32_e32 v153, v154
	v_not_b32_e32 v154, v155
	v_ashrrev_i32_e32 v149, 31, v149
	v_cmp_gt_i32_e64 s18, 0, v155
	v_cmp_gt_i32_e64 s19, 0, v157
	v_not_b32_e32 v155, v157
	v_cmp_gt_i32_e64 s20, 0, v158
	v_not_b32_e32 v157, v158
	v_not_b32_e32 v158, v159
	s_delay_alu instid0(VALU_DEP_4) | instskip(SKIP_3) | instid1(VALU_DEP_3)
	v_dual_ashrrev_i32 v155, 31, v155 :: v_dual_bitop2_b32 v61, vcc_lo, v61 bitop3:0x14
	v_dual_ashrrev_i32 v153, 31, v153 :: v_dual_bitop2_b32 v150, s16, v150 bitop3:0x14
	v_dual_ashrrev_i32 v154, 31, v154 :: v_dual_bitop2_b32 v149, s15, v149 bitop3:0x14
	v_cmp_gt_i32_e64 s21, 0, v159
	v_xor_b32_e32 v153, s17, v153
	v_xor_b32_e32 v155, s19, v155
	s_delay_alu instid0(VALU_DEP_4) | instskip(SKIP_2) | instid1(VALU_DEP_2)
	v_xor_b32_e32 v154, s18, v154
	v_bitop3_b32 v61, v61, v149, exec_lo bitop3:0x80
	v_dual_ashrrev_i32 v149, 31, v157 :: v_dual_ashrrev_i32 v157, 31, v158
	v_bitop3_b32 v61, v61, v153, v150 bitop3:0x80
	v_mad_u32_u24 v150, v151, 36, v23
	s_delay_alu instid0(VALU_DEP_3) | instskip(NEXT) | instid1(VALU_DEP_4)
	v_xor_b32_e32 v153, s20, v149
	v_xor_b32_e32 v157, s21, v157
	v_mul_u32_u24_e32 v151, 36, v151
	v_bitop3_b32 v61, v61, v155, v154 bitop3:0x80
	ds_load_b32 v149, v150 offset:1056
	; wave barrier
	v_add_nc_u32_e32 v151, v23, v151
	v_bitop3_b32 v61, v61, v157, v153 bitop3:0x80
	s_delay_alu instid0(VALU_DEP_1) | instskip(SKIP_1) | instid1(VALU_DEP_2)
	v_mbcnt_lo_u32_b32 v150, v61, 0
	v_cmp_ne_u32_e64 s15, 0, v61
	v_cmp_eq_u32_e32 vcc_lo, 0, v150
	s_and_b32 s16, s15, vcc_lo
	s_delay_alu instid0(SALU_CYCLE_1)
	s_and_saveexec_b32 s15, s16
	s_cbranch_execz .LBB1966_1024
; %bb.1023:                             ;   in Loop: Header=BB1966_982 Depth=2
	s_wait_dscnt 0x0
	v_bcnt_u32_b32 v61, v61, v149
	ds_store_b32 v151, v61 offset:1056
.LBB1966_1024:                          ;   in Loop: Header=BB1966_982 Depth=2
	s_or_b32 exec_lo, exec_lo, s15
	v_cmp_gt_i16_e64 vcc_lo, 0, v148
	; wave barrier
	s_delay_alu instid0(VALU_DEP_1) | instskip(NEXT) | instid1(VALU_DEP_1)
	v_cndmask_b32_e64 v61, 0x7fff, 0, vcc_lo
	v_xor_b32_e32 v148, v61, v148
	s_delay_alu instid0(VALU_DEP_1) | instskip(SKIP_1) | instid1(VALU_DEP_1)
	v_cmp_ne_u16_e64 vcc_lo, 0x8000, v148
	v_cndmask_b32_e32 v61, 0x7fff, v148, vcc_lo
	v_and_b32_e32 v61, 0xffff, v61
	s_delay_alu instid0(VALU_DEP_1) | instskip(NEXT) | instid1(VALU_DEP_1)
	v_lshrrev_b32_e32 v61, s49, v61
	v_bitop3_b32 v153, v61, 1, s52 bitop3:0x80
	v_and_b32_e32 v155, s52, v61
	s_delay_alu instid0(VALU_DEP_2) | instskip(NEXT) | instid1(VALU_DEP_1)
	v_add_co_u32 v61, s15, v153, -1
	v_cndmask_b32_e64 v153, 0, 1, s15
	s_delay_alu instid0(VALU_DEP_3) | instskip(NEXT) | instid1(VALU_DEP_2)
	v_dual_lshlrev_b32 v154, 30, v155 :: v_dual_lshlrev_b32 v157, 29, v155
	v_cmp_ne_u32_e32 vcc_lo, 0, v153
	s_delay_alu instid0(VALU_DEP_2) | instskip(SKIP_1) | instid1(VALU_DEP_4)
	v_cmp_gt_i32_e64 s15, 0, v154
	v_not_b32_e32 v153, v154
	v_not_b32_e32 v154, v157
	s_delay_alu instid0(VALU_DEP_1) | instskip(SKIP_3) | instid1(VALU_DEP_4)
	v_dual_ashrrev_i32 v154, 31, v154 :: v_dual_lshlrev_b32 v158, 28, v155
	v_dual_lshlrev_b32 v159, 27, v155 :: v_dual_lshlrev_b32 v161, 26, v155
	v_dual_lshlrev_b32 v162, 25, v155 :: v_dual_lshlrev_b32 v163, 24, v155
	v_cmp_gt_i32_e64 s16, 0, v157
	v_cmp_gt_i32_e64 s17, 0, v158
	v_not_b32_e32 v157, v158
	v_not_b32_e32 v158, v159
	v_ashrrev_i32_e32 v153, 31, v153
	v_cmp_gt_i32_e64 s18, 0, v159
	v_cmp_gt_i32_e64 s19, 0, v161
	v_not_b32_e32 v159, v161
	v_cmp_gt_i32_e64 s20, 0, v162
	v_not_b32_e32 v161, v162
	v_not_b32_e32 v162, v163
	s_delay_alu instid0(VALU_DEP_4) | instskip(SKIP_3) | instid1(VALU_DEP_3)
	v_dual_ashrrev_i32 v159, 31, v159 :: v_dual_bitop2_b32 v61, vcc_lo, v61 bitop3:0x14
	v_dual_ashrrev_i32 v157, 31, v157 :: v_dual_bitop2_b32 v154, s16, v154 bitop3:0x14
	v_dual_ashrrev_i32 v158, 31, v158 :: v_dual_bitop2_b32 v153, s15, v153 bitop3:0x14
	v_cmp_gt_i32_e64 s21, 0, v163
	v_xor_b32_e32 v157, s17, v157
	v_xor_b32_e32 v159, s19, v159
	s_delay_alu instid0(VALU_DEP_4) | instskip(SKIP_2) | instid1(VALU_DEP_2)
	v_xor_b32_e32 v158, s18, v158
	v_bitop3_b32 v61, v61, v153, exec_lo bitop3:0x80
	v_dual_ashrrev_i32 v153, 31, v161 :: v_dual_ashrrev_i32 v161, 31, v162
	v_bitop3_b32 v61, v61, v157, v154 bitop3:0x80
	v_mad_u32_u24 v154, v155, 36, v23
	s_delay_alu instid0(VALU_DEP_3) | instskip(NEXT) | instid1(VALU_DEP_4)
	v_xor_b32_e32 v157, s20, v153
	v_xor_b32_e32 v161, s21, v161
	v_mul_u32_u24_e32 v155, 36, v155
	v_bitop3_b32 v61, v61, v159, v158 bitop3:0x80
	ds_load_b32 v153, v154 offset:1056
	; wave barrier
	v_add_nc_u32_e32 v155, v23, v155
	v_bitop3_b32 v61, v61, v161, v157 bitop3:0x80
	s_delay_alu instid0(VALU_DEP_1) | instskip(SKIP_1) | instid1(VALU_DEP_2)
	v_mbcnt_lo_u32_b32 v154, v61, 0
	v_cmp_ne_u32_e64 s15, 0, v61
	v_cmp_eq_u32_e32 vcc_lo, 0, v154
	s_and_b32 s16, s15, vcc_lo
	s_delay_alu instid0(SALU_CYCLE_1)
	s_and_saveexec_b32 s15, s16
	s_cbranch_execz .LBB1966_1026
; %bb.1025:                             ;   in Loop: Header=BB1966_982 Depth=2
	s_wait_dscnt 0x0
	v_bcnt_u32_b32 v61, v61, v153
	ds_store_b32 v155, v61 offset:1056
.LBB1966_1026:                          ;   in Loop: Header=BB1966_982 Depth=2
	s_or_b32 exec_lo, exec_lo, s15
	v_cmp_gt_i16_e64 vcc_lo, 0, v152
	; wave barrier
	s_delay_alu instid0(VALU_DEP_1) | instskip(NEXT) | instid1(VALU_DEP_1)
	v_cndmask_b32_e64 v61, 0x7fff, 0, vcc_lo
	v_xor_b32_e32 v152, v61, v152
	s_delay_alu instid0(VALU_DEP_1) | instskip(SKIP_1) | instid1(VALU_DEP_1)
	v_cmp_ne_u16_e64 vcc_lo, 0x8000, v152
	v_cndmask_b32_e32 v61, 0x7fff, v152, vcc_lo
	v_and_b32_e32 v61, 0xffff, v61
	s_delay_alu instid0(VALU_DEP_1) | instskip(NEXT) | instid1(VALU_DEP_1)
	v_lshrrev_b32_e32 v61, s49, v61
	v_bitop3_b32 v157, v61, 1, s52 bitop3:0x80
	v_and_b32_e32 v159, s52, v61
	s_delay_alu instid0(VALU_DEP_2) | instskip(NEXT) | instid1(VALU_DEP_1)
	v_add_co_u32 v61, s15, v157, -1
	v_cndmask_b32_e64 v157, 0, 1, s15
	s_delay_alu instid0(VALU_DEP_3) | instskip(NEXT) | instid1(VALU_DEP_2)
	v_dual_lshlrev_b32 v158, 30, v159 :: v_dual_lshlrev_b32 v161, 29, v159
	v_cmp_ne_u32_e32 vcc_lo, 0, v157
	s_delay_alu instid0(VALU_DEP_2) | instskip(SKIP_1) | instid1(VALU_DEP_4)
	v_cmp_gt_i32_e64 s15, 0, v158
	v_not_b32_e32 v157, v158
	v_not_b32_e32 v158, v161
	s_delay_alu instid0(VALU_DEP_1) | instskip(SKIP_3) | instid1(VALU_DEP_4)
	v_dual_ashrrev_i32 v158, 31, v158 :: v_dual_lshlrev_b32 v162, 28, v159
	v_dual_lshlrev_b32 v163, 27, v159 :: v_dual_lshlrev_b32 v165, 26, v159
	v_dual_lshlrev_b32 v166, 25, v159 :: v_dual_lshlrev_b32 v167, 24, v159
	v_cmp_gt_i32_e64 s16, 0, v161
	v_cmp_gt_i32_e64 s17, 0, v162
	v_not_b32_e32 v161, v162
	v_not_b32_e32 v162, v163
	v_ashrrev_i32_e32 v157, 31, v157
	v_cmp_gt_i32_e64 s18, 0, v163
	v_cmp_gt_i32_e64 s19, 0, v165
	v_not_b32_e32 v163, v165
	v_cmp_gt_i32_e64 s20, 0, v166
	v_not_b32_e32 v165, v166
	v_not_b32_e32 v166, v167
	s_delay_alu instid0(VALU_DEP_4) | instskip(SKIP_3) | instid1(VALU_DEP_3)
	v_dual_ashrrev_i32 v163, 31, v163 :: v_dual_bitop2_b32 v61, vcc_lo, v61 bitop3:0x14
	v_dual_ashrrev_i32 v161, 31, v161 :: v_dual_bitop2_b32 v158, s16, v158 bitop3:0x14
	v_dual_ashrrev_i32 v162, 31, v162 :: v_dual_bitop2_b32 v157, s15, v157 bitop3:0x14
	v_cmp_gt_i32_e64 s21, 0, v167
	v_xor_b32_e32 v161, s17, v161
	v_xor_b32_e32 v163, s19, v163
	s_delay_alu instid0(VALU_DEP_4) | instskip(SKIP_2) | instid1(VALU_DEP_2)
	v_xor_b32_e32 v162, s18, v162
	v_bitop3_b32 v61, v61, v157, exec_lo bitop3:0x80
	v_dual_ashrrev_i32 v157, 31, v165 :: v_dual_ashrrev_i32 v165, 31, v166
	v_bitop3_b32 v61, v61, v161, v158 bitop3:0x80
	v_mad_u32_u24 v158, v159, 36, v23
	s_delay_alu instid0(VALU_DEP_3) | instskip(NEXT) | instid1(VALU_DEP_4)
	v_xor_b32_e32 v161, s20, v157
	v_xor_b32_e32 v165, s21, v165
	v_mul_u32_u24_e32 v159, 36, v159
	v_bitop3_b32 v61, v61, v163, v162 bitop3:0x80
	ds_load_b32 v157, v158 offset:1056
	; wave barrier
	v_add_nc_u32_e32 v159, v23, v159
	v_bitop3_b32 v61, v61, v165, v161 bitop3:0x80
	s_delay_alu instid0(VALU_DEP_1) | instskip(SKIP_1) | instid1(VALU_DEP_2)
	v_mbcnt_lo_u32_b32 v158, v61, 0
	v_cmp_ne_u32_e64 s15, 0, v61
	v_cmp_eq_u32_e32 vcc_lo, 0, v158
	s_and_b32 s16, s15, vcc_lo
	s_delay_alu instid0(SALU_CYCLE_1)
	s_and_saveexec_b32 s15, s16
	s_cbranch_execz .LBB1966_1028
; %bb.1027:                             ;   in Loop: Header=BB1966_982 Depth=2
	s_wait_dscnt 0x0
	v_bcnt_u32_b32 v61, v61, v157
	ds_store_b32 v159, v61 offset:1056
.LBB1966_1028:                          ;   in Loop: Header=BB1966_982 Depth=2
	s_or_b32 exec_lo, exec_lo, s15
	v_cmp_gt_i16_e64 vcc_lo, 0, v156
	; wave barrier
	s_delay_alu instid0(VALU_DEP_1) | instskip(NEXT) | instid1(VALU_DEP_1)
	v_cndmask_b32_e64 v61, 0x7fff, 0, vcc_lo
	v_xor_b32_e32 v156, v61, v156
	s_delay_alu instid0(VALU_DEP_1) | instskip(SKIP_1) | instid1(VALU_DEP_1)
	v_cmp_ne_u16_e64 vcc_lo, 0x8000, v156
	v_cndmask_b32_e32 v61, 0x7fff, v156, vcc_lo
	v_and_b32_e32 v61, 0xffff, v61
	s_delay_alu instid0(VALU_DEP_1) | instskip(NEXT) | instid1(VALU_DEP_1)
	v_lshrrev_b32_e32 v61, s49, v61
	v_bitop3_b32 v161, v61, 1, s52 bitop3:0x80
	v_and_b32_e32 v163, s52, v61
	s_delay_alu instid0(VALU_DEP_2) | instskip(NEXT) | instid1(VALU_DEP_1)
	v_add_co_u32 v61, s15, v161, -1
	v_cndmask_b32_e64 v161, 0, 1, s15
	s_delay_alu instid0(VALU_DEP_3) | instskip(NEXT) | instid1(VALU_DEP_2)
	v_dual_lshlrev_b32 v162, 30, v163 :: v_dual_lshlrev_b32 v165, 29, v163
	v_cmp_ne_u32_e32 vcc_lo, 0, v161
	s_delay_alu instid0(VALU_DEP_2) | instskip(SKIP_1) | instid1(VALU_DEP_4)
	v_cmp_gt_i32_e64 s15, 0, v162
	v_not_b32_e32 v161, v162
	v_not_b32_e32 v162, v165
	s_delay_alu instid0(VALU_DEP_1) | instskip(SKIP_3) | instid1(VALU_DEP_4)
	v_dual_ashrrev_i32 v162, 31, v162 :: v_dual_lshlrev_b32 v166, 28, v163
	v_dual_lshlrev_b32 v167, 27, v163 :: v_dual_lshlrev_b32 v169, 26, v163
	v_dual_lshlrev_b32 v170, 25, v163 :: v_dual_lshlrev_b32 v171, 24, v163
	v_cmp_gt_i32_e64 s16, 0, v165
	v_cmp_gt_i32_e64 s17, 0, v166
	v_not_b32_e32 v165, v166
	v_not_b32_e32 v166, v167
	v_ashrrev_i32_e32 v161, 31, v161
	v_cmp_gt_i32_e64 s18, 0, v167
	v_cmp_gt_i32_e64 s19, 0, v169
	v_not_b32_e32 v167, v169
	v_cmp_gt_i32_e64 s20, 0, v170
	v_not_b32_e32 v169, v170
	v_not_b32_e32 v170, v171
	s_delay_alu instid0(VALU_DEP_4) | instskip(SKIP_3) | instid1(VALU_DEP_3)
	v_dual_ashrrev_i32 v167, 31, v167 :: v_dual_bitop2_b32 v61, vcc_lo, v61 bitop3:0x14
	v_dual_ashrrev_i32 v165, 31, v165 :: v_dual_bitop2_b32 v162, s16, v162 bitop3:0x14
	v_dual_ashrrev_i32 v166, 31, v166 :: v_dual_bitop2_b32 v161, s15, v161 bitop3:0x14
	v_cmp_gt_i32_e64 s21, 0, v171
	v_xor_b32_e32 v165, s17, v165
	v_xor_b32_e32 v167, s19, v167
	s_delay_alu instid0(VALU_DEP_4) | instskip(SKIP_2) | instid1(VALU_DEP_2)
	v_xor_b32_e32 v166, s18, v166
	v_bitop3_b32 v61, v61, v161, exec_lo bitop3:0x80
	v_dual_ashrrev_i32 v161, 31, v169 :: v_dual_ashrrev_i32 v169, 31, v170
	v_bitop3_b32 v61, v61, v165, v162 bitop3:0x80
	v_mad_u32_u24 v162, v163, 36, v23
	s_delay_alu instid0(VALU_DEP_3) | instskip(NEXT) | instid1(VALU_DEP_4)
	v_xor_b32_e32 v165, s20, v161
	v_xor_b32_e32 v169, s21, v169
	v_mul_u32_u24_e32 v163, 36, v163
	v_bitop3_b32 v61, v61, v167, v166 bitop3:0x80
	ds_load_b32 v161, v162 offset:1056
	; wave barrier
	v_add_nc_u32_e32 v163, v23, v163
	v_bitop3_b32 v61, v61, v169, v165 bitop3:0x80
	s_delay_alu instid0(VALU_DEP_1) | instskip(SKIP_1) | instid1(VALU_DEP_2)
	v_mbcnt_lo_u32_b32 v162, v61, 0
	v_cmp_ne_u32_e64 s15, 0, v61
	v_cmp_eq_u32_e32 vcc_lo, 0, v162
	s_and_b32 s16, s15, vcc_lo
	s_delay_alu instid0(SALU_CYCLE_1)
	s_and_saveexec_b32 s15, s16
	s_cbranch_execz .LBB1966_1030
; %bb.1029:                             ;   in Loop: Header=BB1966_982 Depth=2
	s_wait_dscnt 0x0
	v_bcnt_u32_b32 v61, v61, v161
	ds_store_b32 v163, v61 offset:1056
.LBB1966_1030:                          ;   in Loop: Header=BB1966_982 Depth=2
	s_or_b32 exec_lo, exec_lo, s15
	v_cmp_gt_i16_e64 vcc_lo, 0, v160
	; wave barrier
	s_delay_alu instid0(VALU_DEP_1) | instskip(NEXT) | instid1(VALU_DEP_1)
	v_cndmask_b32_e64 v61, 0x7fff, 0, vcc_lo
	v_xor_b32_e32 v160, v61, v160
	s_delay_alu instid0(VALU_DEP_1) | instskip(SKIP_1) | instid1(VALU_DEP_1)
	v_cmp_ne_u16_e64 vcc_lo, 0x8000, v160
	v_cndmask_b32_e32 v61, 0x7fff, v160, vcc_lo
	v_and_b32_e32 v61, 0xffff, v61
	s_delay_alu instid0(VALU_DEP_1) | instskip(NEXT) | instid1(VALU_DEP_1)
	v_lshrrev_b32_e32 v61, s49, v61
	v_bitop3_b32 v165, v61, 1, s52 bitop3:0x80
	v_and_b32_e32 v167, s52, v61
	s_delay_alu instid0(VALU_DEP_2) | instskip(NEXT) | instid1(VALU_DEP_1)
	v_add_co_u32 v61, s15, v165, -1
	v_cndmask_b32_e64 v165, 0, 1, s15
	s_delay_alu instid0(VALU_DEP_3) | instskip(NEXT) | instid1(VALU_DEP_2)
	v_dual_lshlrev_b32 v166, 30, v167 :: v_dual_lshlrev_b32 v169, 29, v167
	v_cmp_ne_u32_e32 vcc_lo, 0, v165
	s_delay_alu instid0(VALU_DEP_2) | instskip(SKIP_1) | instid1(VALU_DEP_4)
	v_cmp_gt_i32_e64 s15, 0, v166
	v_not_b32_e32 v165, v166
	v_not_b32_e32 v166, v169
	s_delay_alu instid0(VALU_DEP_1) | instskip(SKIP_3) | instid1(VALU_DEP_4)
	v_dual_ashrrev_i32 v166, 31, v166 :: v_dual_lshlrev_b32 v170, 28, v167
	v_dual_lshlrev_b32 v171, 27, v167 :: v_dual_lshlrev_b32 v172, 26, v167
	v_cmp_gt_i32_e64 s16, 0, v169
	v_dual_lshlrev_b32 v173, 25, v167 :: v_dual_lshlrev_b32 v174, 24, v167
	v_cmp_gt_i32_e64 s17, 0, v170
	v_not_b32_e32 v169, v170
	v_not_b32_e32 v170, v171
	v_ashrrev_i32_e32 v165, 31, v165
	v_cmp_gt_i32_e64 s18, 0, v171
	v_not_b32_e32 v171, v172
	v_xor_b32_e32 v61, vcc_lo, v61
	v_dual_ashrrev_i32 v169, 31, v169 :: v_dual_bitop2_b32 v166, s16, v166 bitop3:0x14
	v_dual_ashrrev_i32 v170, 31, v170 :: v_dual_bitop2_b32 v165, s15, v165 bitop3:0x14
	v_cmp_gt_i32_e64 s19, 0, v172
	v_cmp_gt_i32_e64 s20, 0, v173
	v_not_b32_e32 v172, v173
	v_not_b32_e32 v173, v174
	v_dual_ashrrev_i32 v171, 31, v171 :: v_dual_bitop2_b32 v169, s17, v169 bitop3:0x14
	v_bitop3_b32 v61, v61, v165, exec_lo bitop3:0x80
	v_cmp_gt_i32_e64 s21, 0, v174
	s_delay_alu instid0(VALU_DEP_4)
	v_dual_ashrrev_i32 v165, 31, v172 :: v_dual_ashrrev_i32 v172, 31, v173
	v_xor_b32_e32 v170, s18, v170
	v_xor_b32_e32 v171, s19, v171
	v_bitop3_b32 v61, v61, v169, v166 bitop3:0x80
	v_mad_u32_u24 v166, v167, 36, v23
	v_xor_b32_e32 v169, s20, v165
	v_xor_b32_e32 v172, s21, v172
	v_mul_u32_u24_e32 v167, 36, v167
	v_bitop3_b32 v61, v61, v171, v170 bitop3:0x80
	ds_load_b32 v165, v166 offset:1056
	; wave barrier
	v_add_nc_u32_e32 v167, v23, v167
	v_bitop3_b32 v61, v61, v172, v169 bitop3:0x80
	s_delay_alu instid0(VALU_DEP_1) | instskip(SKIP_1) | instid1(VALU_DEP_2)
	v_mbcnt_lo_u32_b32 v166, v61, 0
	v_cmp_ne_u32_e64 s15, 0, v61
	v_cmp_eq_u32_e32 vcc_lo, 0, v166
	s_and_b32 s16, s15, vcc_lo
	s_delay_alu instid0(SALU_CYCLE_1)
	s_and_saveexec_b32 s15, s16
	s_cbranch_execz .LBB1966_1032
; %bb.1031:                             ;   in Loop: Header=BB1966_982 Depth=2
	s_wait_dscnt 0x0
	v_bcnt_u32_b32 v61, v61, v165
	ds_store_b32 v167, v61 offset:1056
.LBB1966_1032:                          ;   in Loop: Header=BB1966_982 Depth=2
	s_or_b32 exec_lo, exec_lo, s15
	v_cmp_gt_i16_e64 vcc_lo, 0, v164
	; wave barrier
	s_delay_alu instid0(VALU_DEP_1) | instskip(NEXT) | instid1(VALU_DEP_1)
	v_cndmask_b32_e64 v61, 0x7fff, 0, vcc_lo
	v_xor_b32_e32 v164, v61, v164
	s_delay_alu instid0(VALU_DEP_1) | instskip(SKIP_1) | instid1(VALU_DEP_1)
	v_cmp_ne_u16_e64 vcc_lo, 0x8000, v164
	v_cndmask_b32_e32 v61, 0x7fff, v164, vcc_lo
	v_and_b32_e32 v61, 0xffff, v61
	s_delay_alu instid0(VALU_DEP_1) | instskip(NEXT) | instid1(VALU_DEP_1)
	v_lshrrev_b32_e32 v61, s49, v61
	v_bitop3_b32 v169, v61, 1, s52 bitop3:0x80
	v_and_b32_e32 v171, s52, v61
	s_delay_alu instid0(VALU_DEP_2) | instskip(NEXT) | instid1(VALU_DEP_1)
	v_add_co_u32 v61, s15, v169, -1
	v_cndmask_b32_e64 v169, 0, 1, s15
	s_delay_alu instid0(VALU_DEP_3) | instskip(NEXT) | instid1(VALU_DEP_2)
	v_dual_lshlrev_b32 v170, 30, v171 :: v_dual_lshlrev_b32 v172, 29, v171
	v_cmp_ne_u32_e32 vcc_lo, 0, v169
	s_delay_alu instid0(VALU_DEP_2) | instskip(SKIP_1) | instid1(VALU_DEP_4)
	v_cmp_gt_i32_e64 s15, 0, v170
	v_not_b32_e32 v169, v170
	v_not_b32_e32 v170, v172
	s_delay_alu instid0(VALU_DEP_1) | instskip(SKIP_3) | instid1(VALU_DEP_4)
	v_dual_ashrrev_i32 v170, 31, v170 :: v_dual_lshlrev_b32 v173, 28, v171
	v_dual_lshlrev_b32 v174, 27, v171 :: v_dual_lshlrev_b32 v175, 26, v171
	v_dual_lshlrev_b32 v176, 25, v171 :: v_dual_lshlrev_b32 v177, 24, v171
	v_cmp_gt_i32_e64 s16, 0, v172
	v_not_b32_e32 v172, v173
	v_ashrrev_i32_e32 v169, 31, v169
	v_cmp_gt_i32_e64 s17, 0, v173
	v_cmp_gt_i32_e64 s18, 0, v174
	v_not_b32_e32 v173, v174
	v_cmp_gt_i32_e64 s19, 0, v175
	v_not_b32_e32 v174, v175
	v_cmp_gt_i32_e64 s20, 0, v176
	v_not_b32_e32 v175, v176
	v_not_b32_e32 v176, v177
	s_delay_alu instid0(VALU_DEP_4) | instskip(SKIP_3) | instid1(VALU_DEP_3)
	v_dual_ashrrev_i32 v174, 31, v174 :: v_dual_bitop2_b32 v61, vcc_lo, v61 bitop3:0x14
	v_dual_ashrrev_i32 v172, 31, v172 :: v_dual_bitop2_b32 v169, s15, v169 bitop3:0x14
	v_dual_ashrrev_i32 v173, 31, v173 :: v_dual_bitop2_b32 v170, s16, v170 bitop3:0x14
	v_cmp_gt_i32_e64 s21, 0, v177
	v_xor_b32_e32 v172, s17, v172
	s_delay_alu instid0(VALU_DEP_4) | instskip(SKIP_2) | instid1(VALU_DEP_3)
	v_bitop3_b32 v61, v61, v169, exec_lo bitop3:0x80
	v_dual_ashrrev_i32 v169, 31, v175 :: v_dual_ashrrev_i32 v175, 31, v176
	v_xor_b32_e32 v174, s19, v174
	v_bitop3_b32 v61, v61, v172, v170 bitop3:0x80
	v_mad_u32_u24 v170, v171, 36, v23
	v_mul_u32_u24_e32 v171, 36, v171
	v_xor_b32_e32 v173, s18, v173
	v_xor_b32_e32 v172, s20, v169
	;; [unrolled: 1-line block ×3, first 2 shown]
	ds_load_b32 v169, v170 offset:1056
	v_add_nc_u32_e32 v171, v23, v171
	v_bitop3_b32 v61, v61, v174, v173 bitop3:0x80
	; wave barrier
	s_delay_alu instid0(VALU_DEP_1) | instskip(NEXT) | instid1(VALU_DEP_1)
	v_bitop3_b32 v61, v61, v175, v172 bitop3:0x80
	v_mbcnt_lo_u32_b32 v170, v61, 0
	v_cmp_ne_u32_e64 s15, 0, v61
	s_delay_alu instid0(VALU_DEP_2) | instskip(SKIP_1) | instid1(SALU_CYCLE_1)
	v_cmp_eq_u32_e32 vcc_lo, 0, v170
	s_and_b32 s16, s15, vcc_lo
	s_and_saveexec_b32 s15, s16
	s_cbranch_execz .LBB1966_1034
; %bb.1033:                             ;   in Loop: Header=BB1966_982 Depth=2
	s_wait_dscnt 0x0
	v_bcnt_u32_b32 v61, v61, v169
	ds_store_b32 v171, v61 offset:1056
.LBB1966_1034:                          ;   in Loop: Header=BB1966_982 Depth=2
	s_or_b32 exec_lo, exec_lo, s15
	v_cmp_gt_i16_e64 vcc_lo, 0, v168
	; wave barrier
	s_delay_alu instid0(VALU_DEP_1) | instskip(NEXT) | instid1(VALU_DEP_1)
	v_cndmask_b32_e64 v61, 0x7fff, 0, vcc_lo
	v_xor_b32_e32 v168, v61, v168
	s_delay_alu instid0(VALU_DEP_1) | instskip(SKIP_1) | instid1(VALU_DEP_1)
	v_cmp_ne_u16_e64 vcc_lo, 0x8000, v168
	v_cndmask_b32_e32 v61, 0x7fff, v168, vcc_lo
	v_and_b32_e32 v61, 0xffff, v61
	s_delay_alu instid0(VALU_DEP_1) | instskip(NEXT) | instid1(VALU_DEP_1)
	v_lshrrev_b32_e32 v61, s49, v61
	v_bitop3_b32 v172, v61, 1, s52 bitop3:0x80
	v_and_b32_e32 v175, s52, v61
	s_delay_alu instid0(VALU_DEP_2) | instskip(NEXT) | instid1(VALU_DEP_1)
	v_add_co_u32 v61, s15, v172, -1
	v_cndmask_b32_e64 v172, 0, 1, s15
	s_delay_alu instid0(VALU_DEP_3) | instskip(NEXT) | instid1(VALU_DEP_2)
	v_lshlrev_b32_e32 v173, 30, v175
	v_cmp_ne_u32_e32 vcc_lo, 0, v172
	s_delay_alu instid0(VALU_DEP_2) | instskip(NEXT) | instid1(VALU_DEP_1)
	v_not_b32_e32 v172, v173
	v_dual_ashrrev_i32 v172, 31, v172 :: v_dual_lshlrev_b32 v174, 29, v175
	v_dual_lshlrev_b32 v176, 28, v175 :: v_dual_lshlrev_b32 v177, 27, v175
	v_lshlrev_b32_e32 v178, 26, v175
	v_cmp_gt_i32_e64 s15, 0, v173
	s_delay_alu instid0(VALU_DEP_4)
	v_cmp_gt_i32_e64 s16, 0, v174
	v_not_b32_e32 v173, v174
	v_not_b32_e32 v174, v176
	v_dual_lshlrev_b32 v179, 25, v175 :: v_dual_lshlrev_b32 v180, 24, v175
	v_cmp_gt_i32_e64 s17, 0, v176
	v_cmp_gt_i32_e64 s18, 0, v177
	v_not_b32_e32 v176, v177
	v_not_b32_e32 v177, v178
	v_dual_ashrrev_i32 v174, 31, v174 :: v_dual_bitop2_b32 v61, vcc_lo, v61 bitop3:0x14
	v_dual_ashrrev_i32 v173, 31, v173 :: v_dual_bitop2_b32 v172, s15, v172 bitop3:0x14
	v_cmp_gt_i32_e64 s19, 0, v178
	v_cmp_gt_i32_e64 s20, 0, v179
	v_not_b32_e32 v178, v179
	v_not_b32_e32 v179, v180
	v_dual_ashrrev_i32 v176, 31, v176 :: v_dual_ashrrev_i32 v177, 31, v177
	v_xor_b32_e32 v173, s16, v173
	v_xor_b32_e32 v174, s17, v174
	v_bitop3_b32 v61, v61, v172, exec_lo bitop3:0x80
	v_cmp_gt_i32_e64 s21, 0, v180
	v_dual_ashrrev_i32 v172, 31, v178 :: v_dual_ashrrev_i32 v178, 31, v179
	v_xor_b32_e32 v176, s18, v176
	v_xor_b32_e32 v177, s19, v177
	v_bitop3_b32 v61, v61, v174, v173 bitop3:0x80
	v_mad_u32_u24 v173, v175, 36, v23
	v_xor_b32_e32 v172, s20, v172
	v_xor_b32_e32 v174, s21, v178
	s_delay_alu instid0(VALU_DEP_4) | instskip(SKIP_3) | instid1(VALU_DEP_2)
	v_bitop3_b32 v61, v61, v177, v176 bitop3:0x80
	ds_load_b32 v173, v173 offset:1056
	; wave barrier
	v_bitop3_b32 v61, v61, v174, v172 bitop3:0x80
	v_mul_u32_u24_e32 v172, 36, v175
	v_mbcnt_lo_u32_b32 v174, v61, 0
	v_cmp_ne_u32_e64 s15, 0, v61
	s_delay_alu instid0(VALU_DEP_3) | instskip(NEXT) | instid1(VALU_DEP_3)
	v_add_nc_u32_e32 v175, v23, v172
	v_cmp_eq_u32_e32 vcc_lo, 0, v174
	s_and_b32 s16, s15, vcc_lo
	s_delay_alu instid0(SALU_CYCLE_1)
	s_and_saveexec_b32 s15, s16
	s_cbranch_execz .LBB1966_1036
; %bb.1035:                             ;   in Loop: Header=BB1966_982 Depth=2
	s_wait_dscnt 0x0
	v_bcnt_u32_b32 v61, v61, v173
	ds_store_b32 v175, v61 offset:1056
.LBB1966_1036:                          ;   in Loop: Header=BB1966_982 Depth=2
	s_or_b32 exec_lo, exec_lo, s15
	v_cmp_gt_i16_e32 vcc_lo, 0, v67
	; wave barrier
	v_cndmask_b32_e64 v61, 0x7fff, 0, vcc_lo
	s_delay_alu instid0(VALU_DEP_1) | instskip(NEXT) | instid1(VALU_DEP_1)
	v_xor_b32_e32 v172, v61, v67
	v_cmp_ne_u16_e64 vcc_lo, 0x8000, v172
	v_cndmask_b32_e32 v61, 0x7fff, v172, vcc_lo
	s_delay_alu instid0(VALU_DEP_1) | instskip(NEXT) | instid1(VALU_DEP_1)
	v_and_b32_e32 v61, 0xffff, v61
	v_lshrrev_b32_e32 v61, s49, v61
	s_delay_alu instid0(VALU_DEP_1) | instskip(SKIP_1) | instid1(VALU_DEP_2)
	v_bitop3_b32 v67, v61, 1, s52 bitop3:0x80
	v_and_b32_e32 v176, s52, v61
	v_add_co_u32 v61, s15, v67, -1
	s_delay_alu instid0(VALU_DEP_1) | instskip(NEXT) | instid1(VALU_DEP_3)
	v_cndmask_b32_e64 v67, 0, 1, s15
	v_lshlrev_b32_e32 v177, 30, v176
	s_delay_alu instid0(VALU_DEP_2) | instskip(NEXT) | instid1(VALU_DEP_2)
	v_cmp_ne_u32_e32 vcc_lo, 0, v67
	v_not_b32_e32 v67, v177
	s_delay_alu instid0(VALU_DEP_1) | instskip(SKIP_4) | instid1(VALU_DEP_4)
	v_dual_ashrrev_i32 v67, 31, v67 :: v_dual_bitop2_b32 v61, vcc_lo, v61 bitop3:0x14
	v_dual_lshlrev_b32 v178, 29, v176 :: v_dual_lshlrev_b32 v179, 28, v176
	v_dual_lshlrev_b32 v180, 27, v176 :: v_dual_lshlrev_b32 v181, 26, v176
	v_lshlrev_b32_e32 v182, 25, v176
	v_cmp_gt_i32_e64 s15, 0, v177
	v_cmp_gt_i32_e64 s16, 0, v178
	v_not_b32_e32 v177, v178
	v_not_b32_e32 v178, v179
	v_lshlrev_b32_e32 v183, 24, v176
	v_cmp_gt_i32_e64 s17, 0, v179
	v_cmp_gt_i32_e64 s18, 0, v180
	v_not_b32_e32 v179, v180
	v_not_b32_e32 v180, v181
	v_dual_ashrrev_i32 v177, 31, v177 :: v_dual_bitop2_b32 v67, s15, v67 bitop3:0x14
	v_ashrrev_i32_e32 v178, 31, v178
	v_cmp_gt_i32_e64 s19, 0, v181
	v_cmp_gt_i32_e64 s20, 0, v182
	v_not_b32_e32 v181, v182
	v_not_b32_e32 v182, v183
	v_dual_ashrrev_i32 v179, 31, v179 :: v_dual_ashrrev_i32 v180, 31, v180
	v_xor_b32_e32 v177, s16, v177
	v_xor_b32_e32 v178, s17, v178
	v_bitop3_b32 v61, v61, v67, exec_lo bitop3:0x80
	v_cmp_gt_i32_e64 s21, 0, v183
	v_dual_ashrrev_i32 v67, 31, v181 :: v_dual_ashrrev_i32 v181, 31, v182
	v_xor_b32_e32 v179, s18, v179
	v_xor_b32_e32 v180, s19, v180
	v_bitop3_b32 v61, v61, v178, v177 bitop3:0x80
	v_mad_u32_u24 v177, v176, 36, v23
	v_xor_b32_e32 v67, s20, v67
	v_xor_b32_e32 v178, s21, v181
	s_delay_alu instid0(VALU_DEP_4) | instskip(SKIP_3) | instid1(VALU_DEP_2)
	v_bitop3_b32 v61, v61, v180, v179 bitop3:0x80
	ds_load_b32 v177, v177 offset:1056
	; wave barrier
	v_bitop3_b32 v61, v61, v178, v67 bitop3:0x80
	v_mul_u32_u24_e32 v67, 36, v176
	v_mbcnt_lo_u32_b32 v178, v61, 0
	v_cmp_ne_u32_e64 s15, 0, v61
	s_delay_alu instid0(VALU_DEP_3) | instskip(NEXT) | instid1(VALU_DEP_3)
	v_add_nc_u32_e32 v179, v23, v67
	v_cmp_eq_u32_e32 vcc_lo, 0, v178
	s_and_b32 s16, s15, vcc_lo
	s_delay_alu instid0(SALU_CYCLE_1)
	s_and_saveexec_b32 s15, s16
	s_cbranch_execz .LBB1966_1038
; %bb.1037:                             ;   in Loop: Header=BB1966_982 Depth=2
	s_wait_dscnt 0x0
	v_bcnt_u32_b32 v61, v61, v177
	ds_store_b32 v179, v61 offset:1056
.LBB1966_1038:                          ;   in Loop: Header=BB1966_982 Depth=2
	s_or_b32 exec_lo, exec_lo, s15
	v_cmp_gt_i16_e32 vcc_lo, 0, v66
	; wave barrier
	v_cndmask_b32_e64 v61, 0x7fff, 0, vcc_lo
	s_delay_alu instid0(VALU_DEP_1) | instskip(NEXT) | instid1(VALU_DEP_1)
	v_xor_b32_e32 v176, v61, v66
	v_cmp_ne_u16_e64 vcc_lo, 0x8000, v176
	v_cndmask_b32_e32 v61, 0x7fff, v176, vcc_lo
	s_delay_alu instid0(VALU_DEP_1) | instskip(NEXT) | instid1(VALU_DEP_1)
	v_and_b32_e32 v61, 0xffff, v61
	v_lshrrev_b32_e32 v61, s49, v61
	s_delay_alu instid0(VALU_DEP_1) | instskip(SKIP_1) | instid1(VALU_DEP_2)
	v_bitop3_b32 v66, v61, 1, s52 bitop3:0x80
	v_and_b32_e32 v67, s52, v61
	v_add_co_u32 v61, s15, v66, -1
	s_delay_alu instid0(VALU_DEP_1) | instskip(NEXT) | instid1(VALU_DEP_3)
	v_cndmask_b32_e64 v66, 0, 1, s15
	v_lshlrev_b32_e32 v180, 30, v67
	s_delay_alu instid0(VALU_DEP_2) | instskip(NEXT) | instid1(VALU_DEP_2)
	v_cmp_ne_u32_e32 vcc_lo, 0, v66
	v_not_b32_e32 v66, v180
	v_cmp_gt_i32_e64 s15, 0, v180
	s_delay_alu instid0(VALU_DEP_2) | instskip(SKIP_3) | instid1(VALU_DEP_4)
	v_dual_ashrrev_i32 v66, 31, v66 :: v_dual_lshlrev_b32 v181, 29, v67
	v_dual_lshlrev_b32 v182, 28, v67 :: v_dual_lshlrev_b32 v183, 27, v67
	v_dual_lshlrev_b32 v184, 26, v67 :: v_dual_lshlrev_b32 v185, 25, v67
	v_lshlrev_b32_e32 v186, 24, v67
	v_cmp_gt_i32_e64 s16, 0, v181
	v_not_b32_e32 v180, v181
	v_not_b32_e32 v181, v182
	v_cmp_gt_i32_e64 s17, 0, v182
	v_cmp_gt_i32_e64 s18, 0, v183
	v_not_b32_e32 v182, v183
	v_not_b32_e32 v183, v184
	v_dual_ashrrev_i32 v180, 31, v180 :: v_dual_bitop2_b32 v61, vcc_lo, v61 bitop3:0x14
	v_dual_ashrrev_i32 v181, 31, v181 :: v_dual_bitop2_b32 v66, s15, v66 bitop3:0x14
	v_cmp_gt_i32_e64 s19, 0, v184
	v_cmp_gt_i32_e64 s20, 0, v185
	v_not_b32_e32 v184, v185
	v_not_b32_e32 v185, v186
	v_dual_ashrrev_i32 v182, 31, v182 :: v_dual_ashrrev_i32 v183, 31, v183
	v_xor_b32_e32 v180, s16, v180
	v_xor_b32_e32 v181, s17, v181
	v_bitop3_b32 v61, v61, v66, exec_lo bitop3:0x80
	v_cmp_gt_i32_e64 s21, 0, v186
	v_dual_ashrrev_i32 v66, 31, v184 :: v_dual_ashrrev_i32 v184, 31, v185
	v_xor_b32_e32 v182, s18, v182
	v_xor_b32_e32 v183, s19, v183
	v_bitop3_b32 v61, v61, v181, v180 bitop3:0x80
	v_mad_u32_u24 v180, v67, 36, v23
	v_xor_b32_e32 v66, s20, v66
	v_xor_b32_e32 v184, s21, v184
	s_delay_alu instid0(VALU_DEP_4) | instskip(SKIP_3) | instid1(VALU_DEP_2)
	v_bitop3_b32 v61, v61, v183, v182 bitop3:0x80
	ds_load_b32 v181, v180 offset:1056
	; wave barrier
	v_bitop3_b32 v61, v61, v184, v66 bitop3:0x80
	v_mul_u32_u24_e32 v66, 36, v67
	v_mbcnt_lo_u32_b32 v182, v61, 0
	v_cmp_ne_u32_e64 s15, 0, v61
	s_delay_alu instid0(VALU_DEP_3) | instskip(NEXT) | instid1(VALU_DEP_3)
	v_add_nc_u32_e32 v183, v23, v66
	v_cmp_eq_u32_e32 vcc_lo, 0, v182
	s_and_b32 s16, s15, vcc_lo
	s_delay_alu instid0(SALU_CYCLE_1)
	s_and_saveexec_b32 s15, s16
	s_cbranch_execz .LBB1966_1040
; %bb.1039:                             ;   in Loop: Header=BB1966_982 Depth=2
	s_wait_dscnt 0x0
	v_bcnt_u32_b32 v61, v61, v181
	ds_store_b32 v183, v61 offset:1056
.LBB1966_1040:                          ;   in Loop: Header=BB1966_982 Depth=2
	s_or_b32 exec_lo, exec_lo, s15
	v_cmp_gt_i16_e32 vcc_lo, 0, v65
	; wave barrier
	v_cndmask_b32_e64 v61, 0x7fff, 0, vcc_lo
	s_delay_alu instid0(VALU_DEP_1) | instskip(NEXT) | instid1(VALU_DEP_1)
	v_xor_b32_e32 v180, v61, v65
	v_cmp_ne_u16_e64 vcc_lo, 0x8000, v180
	v_cndmask_b32_e32 v61, 0x7fff, v180, vcc_lo
	s_delay_alu instid0(VALU_DEP_1) | instskip(NEXT) | instid1(VALU_DEP_1)
	v_and_b32_e32 v61, 0xffff, v61
	v_lshrrev_b32_e32 v61, s49, v61
	s_delay_alu instid0(VALU_DEP_1) | instskip(NEXT) | instid1(VALU_DEP_1)
	v_and_b32_e32 v66, s52, v61
	v_lshlrev_b32_e32 v185, 28, v66
	v_bitop3_b32 v65, v61, 1, s52 bitop3:0x80
	v_dual_lshlrev_b32 v67, 30, v66 :: v_dual_lshlrev_b32 v184, 29, v66
	s_delay_alu instid0(VALU_DEP_3) | instskip(NEXT) | instid1(VALU_DEP_3)
	v_cmp_gt_i32_e64 s17, 0, v185
	v_add_co_u32 v61, s15, v65, -1
	s_delay_alu instid0(VALU_DEP_1) | instskip(NEXT) | instid1(VALU_DEP_4)
	v_cndmask_b32_e64 v65, 0, 1, s15
	v_cmp_gt_i32_e64 s15, 0, v67
	v_cmp_gt_i32_e64 s16, 0, v184
	s_delay_alu instid0(VALU_DEP_3) | instskip(SKIP_3) | instid1(VALU_DEP_2)
	v_cmp_ne_u32_e32 vcc_lo, 0, v65
	v_not_b32_e32 v65, v67
	v_not_b32_e32 v67, v184
	v_not_b32_e32 v184, v185
	v_dual_ashrrev_i32 v65, 31, v65 :: v_dual_ashrrev_i32 v67, 31, v67
	v_dual_lshlrev_b32 v186, 27, v66 :: v_dual_lshlrev_b32 v187, 26, v66
	v_dual_lshlrev_b32 v188, 25, v66 :: v_dual_lshlrev_b32 v189, 24, v66
	s_delay_alu instid0(VALU_DEP_4) | instskip(NEXT) | instid1(VALU_DEP_3)
	v_ashrrev_i32_e32 v184, 31, v184
	v_cmp_gt_i32_e64 s18, 0, v186
	v_not_b32_e32 v185, v186
	v_cmp_gt_i32_e64 s19, 0, v187
	v_not_b32_e32 v186, v187
	;; [unrolled: 2-line block ×3, first 2 shown]
	v_not_b32_e32 v188, v189
	s_delay_alu instid0(VALU_DEP_4) | instskip(SKIP_4) | instid1(VALU_DEP_4)
	v_dual_ashrrev_i32 v186, 31, v186 :: v_dual_bitop2_b32 v61, vcc_lo, v61 bitop3:0x14
	v_xor_b32_e32 v65, s15, v65
	v_dual_ashrrev_i32 v185, 31, v185 :: v_dual_bitop2_b32 v67, s16, v67 bitop3:0x14
	v_xor_b32_e32 v184, s17, v184
	v_cmp_gt_i32_e64 s21, 0, v189
	v_bitop3_b32 v61, v61, v65, exec_lo bitop3:0x80
	v_dual_ashrrev_i32 v65, 31, v187 :: v_dual_ashrrev_i32 v187, 31, v188
	v_xor_b32_e32 v185, s18, v185
	v_xor_b32_e32 v186, s19, v186
	s_delay_alu instid0(VALU_DEP_4) | instskip(SKIP_3) | instid1(VALU_DEP_4)
	v_bitop3_b32 v61, v61, v184, v67 bitop3:0x80
	v_mad_u32_u24 v67, v66, 36, v23
	v_xor_b32_e32 v65, s20, v65
	v_xor_b32_e32 v184, s21, v187
	v_bitop3_b32 v61, v61, v186, v185 bitop3:0x80
	ds_load_b32 v185, v67 offset:1056
	; wave barrier
	v_bitop3_b32 v61, v61, v184, v65 bitop3:0x80
	v_mul_u32_u24_e32 v65, 36, v66
	s_delay_alu instid0(VALU_DEP_2) | instskip(SKIP_1) | instid1(VALU_DEP_3)
	v_mbcnt_lo_u32_b32 v186, v61, 0
	v_cmp_ne_u32_e64 s15, 0, v61
	v_add_nc_u32_e32 v187, v23, v65
	s_delay_alu instid0(VALU_DEP_3) | instskip(SKIP_1) | instid1(SALU_CYCLE_1)
	v_cmp_eq_u32_e32 vcc_lo, 0, v186
	s_and_b32 s16, s15, vcc_lo
	s_and_saveexec_b32 s15, s16
	s_cbranch_execz .LBB1966_1042
; %bb.1041:                             ;   in Loop: Header=BB1966_982 Depth=2
	s_wait_dscnt 0x0
	v_bcnt_u32_b32 v61, v61, v185
	ds_store_b32 v187, v61 offset:1056
.LBB1966_1042:                          ;   in Loop: Header=BB1966_982 Depth=2
	s_or_b32 exec_lo, exec_lo, s15
	v_cmp_gt_i16_e32 vcc_lo, 0, v64
	; wave barrier
	v_cndmask_b32_e64 v61, 0x7fff, 0, vcc_lo
	s_delay_alu instid0(VALU_DEP_1) | instskip(NEXT) | instid1(VALU_DEP_1)
	v_xor_b32_e32 v184, v61, v64
	v_cmp_ne_u16_e64 vcc_lo, 0x8000, v184
	v_cndmask_b32_e32 v61, 0x7fff, v184, vcc_lo
	s_delay_alu instid0(VALU_DEP_1) | instskip(NEXT) | instid1(VALU_DEP_1)
	v_and_b32_e32 v61, 0xffff, v61
	v_lshrrev_b32_e32 v61, s49, v61
	s_delay_alu instid0(VALU_DEP_1) | instskip(SKIP_1) | instid1(VALU_DEP_2)
	v_bitop3_b32 v64, v61, 1, s52 bitop3:0x80
	v_and_b32_e32 v65, s52, v61
	v_add_co_u32 v61, s15, v64, -1
	s_delay_alu instid0(VALU_DEP_2) | instskip(SKIP_1) | instid1(VALU_DEP_2)
	v_lshlrev_b32_e32 v64, 30, v65
	v_cndmask_b32_e64 v192, 0, 1, s15
	v_cmp_gt_i32_e32 vcc_lo, 0, v64
	v_not_b32_e32 v64, v64
	s_delay_alu instid0(VALU_DEP_3) | instskip(NEXT) | instid1(VALU_DEP_2)
	v_cmp_ne_u32_e64 s21, 0, v192
	v_dual_ashrrev_i32 v64, 31, v64 :: v_dual_lshlrev_b32 v66, 29, v65
	v_dual_lshlrev_b32 v67, 28, v65 :: v_dual_lshlrev_b32 v188, 27, v65
	v_dual_lshlrev_b32 v189, 26, v65 :: v_dual_lshlrev_b32 v190, 25, v65
	v_lshlrev_b32_e32 v191, 24, v65
	s_delay_alu instid0(VALU_DEP_4)
	v_cmp_gt_i32_e64 s15, 0, v66
	v_not_b32_e32 v66, v66
	v_cmp_gt_i32_e64 s16, 0, v67
	v_not_b32_e32 v67, v67
	;; [unrolled: 2-line block ×4, first 2 shown]
	v_dual_ashrrev_i32 v66, 31, v66 :: v_dual_ashrrev_i32 v67, 31, v67
	s_delay_alu instid0(VALU_DEP_4) | instskip(NEXT) | instid1(VALU_DEP_3)
	v_dual_ashrrev_i32 v188, 31, v188 :: v_dual_bitop2_b32 v61, s21, v61 bitop3:0x14
	v_dual_ashrrev_i32 v189, 31, v189 :: v_dual_bitop2_b32 v64, vcc_lo, v64 bitop3:0x14
	v_cmp_gt_i32_e64 s19, 0, v190
	v_not_b32_e32 v190, v190
	v_cmp_gt_i32_e64 s20, 0, v191
	v_not_b32_e32 v191, v191
	v_xor_b32_e32 v66, s15, v66
	v_xor_b32_e32 v67, s16, v67
	v_bitop3_b32 v61, v61, v64, exec_lo bitop3:0x80
	s_delay_alu instid0(VALU_DEP_4) | instskip(SKIP_2) | instid1(VALU_DEP_4)
	v_dual_ashrrev_i32 v64, 31, v190 :: v_dual_ashrrev_i32 v190, 31, v191
	v_xor_b32_e32 v188, s17, v188
	v_xor_b32_e32 v189, s18, v189
	v_bitop3_b32 v61, v61, v67, v66 bitop3:0x80
	v_mad_u32_u24 v66, v65, 36, v23
	v_xor_b32_e32 v64, s19, v64
	v_xor_b32_e32 v67, s20, v190
	s_delay_alu instid0(VALU_DEP_4) | instskip(SKIP_3) | instid1(VALU_DEP_2)
	v_bitop3_b32 v61, v61, v189, v188 bitop3:0x80
	ds_load_b32 v189, v66 offset:1056
	; wave barrier
	v_bitop3_b32 v61, v61, v67, v64 bitop3:0x80
	v_mul_u32_u24_e32 v64, 36, v65
	v_mbcnt_lo_u32_b32 v190, v61, 0
	v_cmp_ne_u32_e64 s15, 0, v61
	s_delay_alu instid0(VALU_DEP_3) | instskip(NEXT) | instid1(VALU_DEP_3)
	v_add_nc_u32_e32 v191, v23, v64
	v_cmp_eq_u32_e32 vcc_lo, 0, v190
	s_and_b32 s16, s15, vcc_lo
	s_delay_alu instid0(SALU_CYCLE_1)
	s_and_saveexec_b32 s15, s16
	s_cbranch_execz .LBB1966_1044
; %bb.1043:                             ;   in Loop: Header=BB1966_982 Depth=2
	s_wait_dscnt 0x0
	v_bcnt_u32_b32 v61, v61, v189
	ds_store_b32 v191, v61 offset:1056
.LBB1966_1044:                          ;   in Loop: Header=BB1966_982 Depth=2
	s_or_b32 exec_lo, exec_lo, s15
	v_cmp_gt_i16_e32 vcc_lo, 0, v63
	; wave barrier
	v_cndmask_b32_e64 v61, 0x7fff, 0, vcc_lo
	s_delay_alu instid0(VALU_DEP_1) | instskip(NEXT) | instid1(VALU_DEP_1)
	v_xor_b32_e32 v188, v61, v63
	v_cmp_ne_u16_e64 vcc_lo, 0x8000, v188
	v_cndmask_b32_e32 v61, 0x7fff, v188, vcc_lo
	s_delay_alu instid0(VALU_DEP_1) | instskip(NEXT) | instid1(VALU_DEP_1)
	v_and_b32_e32 v61, 0xffff, v61
	v_lshrrev_b32_e32 v61, s49, v61
	s_delay_alu instid0(VALU_DEP_1) | instskip(SKIP_1) | instid1(VALU_DEP_2)
	v_bitop3_b32 v63, v61, 1, s52 bitop3:0x80
	v_and_b32_e32 v64, s52, v61
	v_add_co_u32 v61, s15, v63, -1
	s_delay_alu instid0(VALU_DEP_1) | instskip(NEXT) | instid1(VALU_DEP_3)
	v_cndmask_b32_e64 v63, 0, 1, s15
	v_lshlrev_b32_e32 v65, 30, v64
	s_delay_alu instid0(VALU_DEP_2) | instskip(NEXT) | instid1(VALU_DEP_2)
	v_cmp_ne_u32_e32 vcc_lo, 0, v63
	v_not_b32_e32 v63, v65
	s_delay_alu instid0(VALU_DEP_1) | instskip(SKIP_4) | instid1(VALU_DEP_4)
	v_dual_ashrrev_i32 v63, 31, v63 :: v_dual_bitop2_b32 v61, vcc_lo, v61 bitop3:0x14
	v_dual_lshlrev_b32 v66, 29, v64 :: v_dual_lshlrev_b32 v67, 28, v64
	v_dual_lshlrev_b32 v192, 27, v64 :: v_dual_lshlrev_b32 v193, 26, v64
	v_lshlrev_b32_e32 v194, 25, v64
	v_cmp_gt_i32_e64 s15, 0, v65
	v_cmp_gt_i32_e64 s16, 0, v66
	v_not_b32_e32 v65, v66
	v_not_b32_e32 v66, v67
	v_lshlrev_b32_e32 v195, 24, v64
	v_cmp_gt_i32_e64 s17, 0, v67
	v_cmp_gt_i32_e64 s18, 0, v192
	v_not_b32_e32 v67, v192
	v_not_b32_e32 v192, v193
	v_dual_ashrrev_i32 v65, 31, v65 :: v_dual_bitop2_b32 v63, s15, v63 bitop3:0x14
	v_ashrrev_i32_e32 v66, 31, v66
	v_cmp_gt_i32_e64 s19, 0, v193
	v_cmp_gt_i32_e64 s20, 0, v194
	v_not_b32_e32 v193, v194
	v_not_b32_e32 v194, v195
	v_dual_ashrrev_i32 v67, 31, v67 :: v_dual_ashrrev_i32 v192, 31, v192
	v_xor_b32_e32 v65, s16, v65
	v_xor_b32_e32 v66, s17, v66
	v_bitop3_b32 v61, v61, v63, exec_lo bitop3:0x80
	v_cmp_gt_i32_e64 s21, 0, v195
	v_dual_ashrrev_i32 v63, 31, v193 :: v_dual_ashrrev_i32 v193, 31, v194
	v_xor_b32_e32 v67, s18, v67
	v_xor_b32_e32 v192, s19, v192
	v_bitop3_b32 v61, v61, v66, v65 bitop3:0x80
	v_mad_u32_u24 v65, v64, 36, v23
	v_xor_b32_e32 v63, s20, v63
	v_xor_b32_e32 v66, s21, v193
	s_delay_alu instid0(VALU_DEP_4) | instskip(SKIP_3) | instid1(VALU_DEP_2)
	v_bitop3_b32 v61, v61, v192, v67 bitop3:0x80
	ds_load_b32 v193, v65 offset:1056
	; wave barrier
	v_bitop3_b32 v61, v61, v66, v63 bitop3:0x80
	v_mul_u32_u24_e32 v63, 36, v64
	v_mbcnt_lo_u32_b32 v194, v61, 0
	v_cmp_ne_u32_e64 s15, 0, v61
	s_delay_alu instid0(VALU_DEP_3) | instskip(NEXT) | instid1(VALU_DEP_3)
	v_add_nc_u32_e32 v195, v23, v63
	v_cmp_eq_u32_e32 vcc_lo, 0, v194
	s_and_b32 s16, s15, vcc_lo
	s_delay_alu instid0(SALU_CYCLE_1)
	s_and_saveexec_b32 s15, s16
	s_cbranch_execz .LBB1966_1046
; %bb.1045:                             ;   in Loop: Header=BB1966_982 Depth=2
	s_wait_dscnt 0x0
	v_bcnt_u32_b32 v61, v61, v193
	ds_store_b32 v195, v61 offset:1056
.LBB1966_1046:                          ;   in Loop: Header=BB1966_982 Depth=2
	s_or_b32 exec_lo, exec_lo, s15
	v_cmp_gt_i16_e32 vcc_lo, 0, v62
	; wave barrier
	v_cndmask_b32_e64 v61, 0x7fff, 0, vcc_lo
	s_delay_alu instid0(VALU_DEP_1) | instskip(NEXT) | instid1(VALU_DEP_1)
	v_xor_b32_e32 v192, v61, v62
	v_cmp_ne_u16_e64 vcc_lo, 0x8000, v192
	v_cndmask_b32_e32 v61, 0x7fff, v192, vcc_lo
	s_delay_alu instid0(VALU_DEP_1) | instskip(NEXT) | instid1(VALU_DEP_1)
	v_and_b32_e32 v61, 0xffff, v61
	v_lshrrev_b32_e32 v61, s49, v61
	s_delay_alu instid0(VALU_DEP_1) | instskip(SKIP_1) | instid1(VALU_DEP_2)
	v_bitop3_b32 v62, v61, 1, s52 bitop3:0x80
	v_and_b32_e32 v63, s52, v61
	v_add_co_u32 v61, s15, v62, -1
	s_delay_alu instid0(VALU_DEP_1) | instskip(NEXT) | instid1(VALU_DEP_3)
	v_cndmask_b32_e64 v62, 0, 1, s15
	v_lshlrev_b32_e32 v64, 30, v63
	s_delay_alu instid0(VALU_DEP_2) | instskip(NEXT) | instid1(VALU_DEP_2)
	v_cmp_ne_u32_e32 vcc_lo, 0, v62
	v_not_b32_e32 v62, v64
	v_cmp_gt_i32_e64 s15, 0, v64
	s_delay_alu instid0(VALU_DEP_2) | instskip(SKIP_3) | instid1(VALU_DEP_4)
	v_dual_ashrrev_i32 v62, 31, v62 :: v_dual_lshlrev_b32 v65, 29, v63
	v_dual_lshlrev_b32 v66, 28, v63 :: v_dual_lshlrev_b32 v67, 27, v63
	v_dual_lshlrev_b32 v196, 26, v63 :: v_dual_lshlrev_b32 v197, 25, v63
	v_lshlrev_b32_e32 v198, 24, v63
	v_cmp_gt_i32_e64 s16, 0, v65
	v_not_b32_e32 v64, v65
	v_not_b32_e32 v65, v66
	v_cmp_gt_i32_e64 s17, 0, v66
	v_cmp_gt_i32_e64 s18, 0, v67
	v_not_b32_e32 v66, v67
	v_not_b32_e32 v67, v196
	v_dual_ashrrev_i32 v64, 31, v64 :: v_dual_bitop2_b32 v61, vcc_lo, v61 bitop3:0x14
	v_dual_ashrrev_i32 v65, 31, v65 :: v_dual_bitop2_b32 v62, s15, v62 bitop3:0x14
	v_cmp_gt_i32_e64 s19, 0, v196
	v_cmp_gt_i32_e64 s20, 0, v197
	v_not_b32_e32 v196, v197
	v_not_b32_e32 v197, v198
	v_dual_ashrrev_i32 v66, 31, v66 :: v_dual_ashrrev_i32 v67, 31, v67
	v_xor_b32_e32 v64, s16, v64
	v_xor_b32_e32 v65, s17, v65
	v_bitop3_b32 v61, v61, v62, exec_lo bitop3:0x80
	v_cmp_gt_i32_e64 s21, 0, v198
	v_dual_ashrrev_i32 v62, 31, v196 :: v_dual_ashrrev_i32 v196, 31, v197
	v_xor_b32_e32 v66, s18, v66
	v_xor_b32_e32 v67, s19, v67
	v_bitop3_b32 v61, v61, v65, v64 bitop3:0x80
	v_mad_u32_u24 v64, v63, 36, v23
	v_xor_b32_e32 v62, s20, v62
	v_xor_b32_e32 v65, s21, v196
	s_delay_alu instid0(VALU_DEP_4) | instskip(SKIP_3) | instid1(VALU_DEP_2)
	v_bitop3_b32 v61, v61, v67, v66 bitop3:0x80
	ds_load_b32 v197, v64 offset:1056
	; wave barrier
	v_bitop3_b32 v61, v61, v65, v62 bitop3:0x80
	v_mul_u32_u24_e32 v62, 36, v63
	v_mbcnt_lo_u32_b32 v198, v61, 0
	v_cmp_ne_u32_e64 s15, 0, v61
	s_delay_alu instid0(VALU_DEP_3) | instskip(NEXT) | instid1(VALU_DEP_3)
	v_add_nc_u32_e32 v199, v23, v62
	v_cmp_eq_u32_e32 vcc_lo, 0, v198
	s_and_b32 s16, s15, vcc_lo
	s_delay_alu instid0(SALU_CYCLE_1)
	s_and_saveexec_b32 s15, s16
	s_cbranch_execz .LBB1966_1048
; %bb.1047:                             ;   in Loop: Header=BB1966_982 Depth=2
	s_wait_dscnt 0x0
	v_bcnt_u32_b32 v61, v61, v197
	ds_store_b32 v199, v61 offset:1056
.LBB1966_1048:                          ;   in Loop: Header=BB1966_982 Depth=2
	s_or_b32 exec_lo, exec_lo, s15
	v_cmp_gt_i16_e32 vcc_lo, 0, v60
	; wave barrier
	v_cndmask_b32_e64 v61, 0x7fff, 0, vcc_lo
	s_delay_alu instid0(VALU_DEP_1) | instskip(NEXT) | instid1(VALU_DEP_1)
	v_xor_b32_e32 v196, v61, v60
	v_cmp_ne_u16_e64 vcc_lo, 0x8000, v196
	v_cndmask_b32_e32 v60, 0x7fff, v196, vcc_lo
	s_delay_alu instid0(VALU_DEP_1) | instskip(NEXT) | instid1(VALU_DEP_1)
	v_and_b32_e32 v60, 0xffff, v60
	v_lshrrev_b32_e32 v60, s49, v60
	s_delay_alu instid0(VALU_DEP_1) | instskip(SKIP_1) | instid1(VALU_DEP_2)
	v_bitop3_b32 v61, v60, 1, s52 bitop3:0x80
	v_and_b32_e32 v62, s52, v60
	v_add_co_u32 v60, s15, v61, -1
	s_delay_alu instid0(VALU_DEP_1) | instskip(NEXT) | instid1(VALU_DEP_3)
	v_cndmask_b32_e64 v61, 0, 1, s15
	v_lshlrev_b32_e32 v63, 30, v62
	s_delay_alu instid0(VALU_DEP_2) | instskip(NEXT) | instid1(VALU_DEP_2)
	v_cmp_ne_u32_e32 vcc_lo, 0, v61
	v_not_b32_e32 v61, v63
	v_cmp_gt_i32_e64 s15, 0, v63
	s_delay_alu instid0(VALU_DEP_2) | instskip(SKIP_3) | instid1(VALU_DEP_4)
	v_dual_ashrrev_i32 v61, 31, v61 :: v_dual_lshlrev_b32 v64, 29, v62
	v_dual_lshlrev_b32 v65, 28, v62 :: v_dual_lshlrev_b32 v66, 27, v62
	v_dual_lshlrev_b32 v67, 26, v62 :: v_dual_lshlrev_b32 v200, 25, v62
	v_lshlrev_b32_e32 v201, 24, v62
	v_cmp_gt_i32_e64 s16, 0, v64
	v_not_b32_e32 v63, v64
	v_not_b32_e32 v64, v65
	v_cmp_gt_i32_e64 s17, 0, v65
	v_cmp_gt_i32_e64 s18, 0, v66
	v_not_b32_e32 v65, v66
	v_not_b32_e32 v66, v67
	v_dual_ashrrev_i32 v63, 31, v63 :: v_dual_bitop2_b32 v60, vcc_lo, v60 bitop3:0x14
	v_dual_ashrrev_i32 v64, 31, v64 :: v_dual_bitop2_b32 v61, s15, v61 bitop3:0x14
	v_cmp_gt_i32_e64 s19, 0, v67
	v_cmp_gt_i32_e64 s20, 0, v200
	v_not_b32_e32 v67, v200
	v_not_b32_e32 v200, v201
	v_dual_ashrrev_i32 v65, 31, v65 :: v_dual_ashrrev_i32 v66, 31, v66
	v_xor_b32_e32 v63, s16, v63
	v_xor_b32_e32 v64, s17, v64
	v_bitop3_b32 v60, v60, v61, exec_lo bitop3:0x80
	v_cmp_gt_i32_e64 s21, 0, v201
	v_dual_ashrrev_i32 v61, 31, v67 :: v_dual_ashrrev_i32 v67, 31, v200
	v_xor_b32_e32 v65, s18, v65
	v_xor_b32_e32 v66, s19, v66
	v_bitop3_b32 v60, v60, v64, v63 bitop3:0x80
	v_mad_u32_u24 v63, v62, 36, v23
	v_xor_b32_e32 v61, s20, v61
	v_xor_b32_e32 v64, s21, v67
	s_delay_alu instid0(VALU_DEP_4) | instskip(SKIP_3) | instid1(VALU_DEP_2)
	v_bitop3_b32 v60, v60, v66, v65 bitop3:0x80
	ds_load_b32 v200, v63 offset:1056
	; wave barrier
	v_bitop3_b32 v60, v60, v64, v61 bitop3:0x80
	v_mul_u32_u24_e32 v61, 36, v62
	v_mbcnt_lo_u32_b32 v201, v60, 0
	v_cmp_ne_u32_e64 s15, 0, v60
	s_delay_alu instid0(VALU_DEP_3) | instskip(NEXT) | instid1(VALU_DEP_3)
	v_add_nc_u32_e32 v202, v23, v61
	v_cmp_eq_u32_e32 vcc_lo, 0, v201
	s_and_b32 s16, s15, vcc_lo
	s_delay_alu instid0(SALU_CYCLE_1)
	s_and_saveexec_b32 s15, s16
	s_cbranch_execz .LBB1966_1050
; %bb.1049:                             ;   in Loop: Header=BB1966_982 Depth=2
	s_wait_dscnt 0x0
	v_bcnt_u32_b32 v60, v60, v200
	ds_store_b32 v202, v60 offset:1056
.LBB1966_1050:                          ;   in Loop: Header=BB1966_982 Depth=2
	s_or_b32 exec_lo, exec_lo, s15
	; wave barrier
	s_wait_dscnt 0x0
	s_barrier_signal -1
	s_barrier_wait -1
	ds_load_2addr_b32 v[66:67], v118 offset1:1
	ds_load_2addr_b32 v[64:65], v119 offset1:1
	;; [unrolled: 1-line block ×4, first 2 shown]
	ds_load_b32 v203, v91 offset:1088
	s_wait_dscnt 0x3
	v_add3_u32 v204, v67, v66, v64
	s_wait_dscnt 0x2
	s_delay_alu instid0(VALU_DEP_1) | instskip(SKIP_1) | instid1(VALU_DEP_1)
	v_add3_u32 v204, v204, v65, v62
	s_wait_dscnt 0x1
	v_add3_u32 v204, v204, v63, v60
	s_wait_dscnt 0x0
	s_delay_alu instid0(VALU_DEP_1) | instskip(NEXT) | instid1(VALU_DEP_1)
	v_add3_u32 v203, v204, v61, v203
	v_mov_b32_dpp v204, v203 row_shr:1 row_mask:0xf bank_mask:0xf
	s_delay_alu instid0(VALU_DEP_1) | instskip(NEXT) | instid1(VALU_DEP_1)
	v_cndmask_b32_e64 v204, v204, 0, s7
	v_add_nc_u32_e32 v203, v204, v203
	s_delay_alu instid0(VALU_DEP_1) | instskip(NEXT) | instid1(VALU_DEP_1)
	v_mov_b32_dpp v204, v203 row_shr:2 row_mask:0xf bank_mask:0xf
	v_cndmask_b32_e64 v204, 0, v204, s8
	s_delay_alu instid0(VALU_DEP_1) | instskip(NEXT) | instid1(VALU_DEP_1)
	v_add_nc_u32_e32 v203, v203, v204
	v_mov_b32_dpp v204, v203 row_shr:4 row_mask:0xf bank_mask:0xf
	s_delay_alu instid0(VALU_DEP_1) | instskip(NEXT) | instid1(VALU_DEP_1)
	v_cndmask_b32_e64 v204, 0, v204, s9
	v_add_nc_u32_e32 v203, v203, v204
	s_delay_alu instid0(VALU_DEP_1) | instskip(NEXT) | instid1(VALU_DEP_1)
	v_mov_b32_dpp v204, v203 row_shr:8 row_mask:0xf bank_mask:0xf
	v_cndmask_b32_e64 v204, 0, v204, s10
	s_delay_alu instid0(VALU_DEP_1) | instskip(SKIP_3) | instid1(VALU_DEP_1)
	v_add_nc_u32_e32 v203, v203, v204
	ds_swizzle_b32 v204, v203 offset:swizzle(BROADCAST,32,15)
	s_wait_dscnt 0x0
	v_cndmask_b32_e64 v204, v204, 0, s11
	v_add_nc_u32_e32 v203, v203, v204
	s_and_saveexec_b32 s15, s1
; %bb.1051:                             ;   in Loop: Header=BB1966_982 Depth=2
	ds_store_b32 v84, v203 offset:1024
; %bb.1052:                             ;   in Loop: Header=BB1966_982 Depth=2
	s_or_b32 exec_lo, exec_lo, s15
	s_wait_dscnt 0x0
	s_barrier_signal -1
	s_barrier_wait -1
	s_and_saveexec_b32 s15, s4
	s_cbranch_execz .LBB1966_1054
; %bb.1053:                             ;   in Loop: Header=BB1966_982 Depth=2
	ds_load_b32 v204, v92 offset:1024
	s_wait_dscnt 0x0
	v_mov_b32_dpp v205, v204 row_shr:1 row_mask:0xf bank_mask:0xf
	s_delay_alu instid0(VALU_DEP_1) | instskip(NEXT) | instid1(VALU_DEP_1)
	v_cndmask_b32_e64 v205, v205, 0, s12
	v_add_nc_u32_e32 v204, v205, v204
	s_delay_alu instid0(VALU_DEP_1) | instskip(NEXT) | instid1(VALU_DEP_1)
	v_mov_b32_dpp v205, v204 row_shr:2 row_mask:0xf bank_mask:0xf
	v_cndmask_b32_e64 v205, 0, v205, s13
	s_delay_alu instid0(VALU_DEP_1) | instskip(NEXT) | instid1(VALU_DEP_1)
	v_add_nc_u32_e32 v204, v204, v205
	v_mov_b32_dpp v205, v204 row_shr:4 row_mask:0xf bank_mask:0xf
	s_delay_alu instid0(VALU_DEP_1) | instskip(NEXT) | instid1(VALU_DEP_1)
	v_cndmask_b32_e64 v205, 0, v205, s14
	v_add_nc_u32_e32 v204, v204, v205
	ds_store_b32 v92, v204 offset:1024
.LBB1966_1054:                          ;   in Loop: Header=BB1966_982 Depth=2
	s_or_b32 exec_lo, exec_lo, s15
	v_mov_b32_e32 v204, 0
	s_wait_dscnt 0x0
	s_barrier_signal -1
	s_barrier_wait -1
	s_and_saveexec_b32 s15, s5
; %bb.1055:                             ;   in Loop: Header=BB1966_982 Depth=2
	ds_load_b32 v204, v84 offset:1020
; %bb.1056:                             ;   in Loop: Header=BB1966_982 Depth=2
	s_or_b32 exec_lo, exec_lo, s15
	s_wait_dscnt 0x0
	v_add_nc_u32_e32 v203, v204, v203
	ds_bpermute_b32 v203, v122, v203
	s_wait_dscnt 0x0
	v_cndmask_b32_e64 v203, v203, v204, s6
	s_delay_alu instid0(VALU_DEP_1) | instskip(NEXT) | instid1(VALU_DEP_1)
	v_cndmask_b32_e64 v203, v203, 0, s2
	v_add_nc_u32_e32 v66, v203, v66
	s_delay_alu instid0(VALU_DEP_1) | instskip(NEXT) | instid1(VALU_DEP_1)
	v_add_nc_u32_e32 v67, v66, v67
	v_add_nc_u32_e32 v64, v67, v64
	s_delay_alu instid0(VALU_DEP_1) | instskip(NEXT) | instid1(VALU_DEP_1)
	v_add_nc_u32_e32 v65, v64, v65
	;; [unrolled: 3-line block ×3, first 2 shown]
	v_add_nc_u32_e32 v60, v63, v60
	s_delay_alu instid0(VALU_DEP_1)
	v_add_nc_u32_e32 v61, v60, v61
	ds_store_2addr_b32 v121, v63, v60 offset1:1
	ds_store_2addr_b32 v118, v203, v66 offset1:1
	;; [unrolled: 1-line block ×4, first 2 shown]
	ds_store_b32 v91, v61 offset:1088
	s_wait_dscnt 0x0
	s_barrier_signal -1
	s_barrier_wait -1
	ds_load_b32 v63, v143 offset:1056
	ds_load_b32 v65, v147 offset:1056
	;; [unrolled: 1-line block ×17, first 2 shown]
	v_mov_b32_e32 v62, 0x1000
	s_and_saveexec_b32 s15, s3
; %bb.1057:                             ;   in Loop: Header=BB1966_982 Depth=2
	ds_load_b32 v62, v91 offset:1092
; %bb.1058:                             ;   in Loop: Header=BB1966_982 Depth=2
	s_or_b32 exec_lo, exec_lo, s15
	s_wait_dscnt 0x0
	s_barrier_signal -1
	s_barrier_wait -1
	s_and_saveexec_b32 s15, s0
	s_cbranch_execz .LBB1966_1060
; %bb.1059:                             ;   in Loop: Header=BB1966_982 Depth=2
	ds_load_b32 v155, v3
	s_wait_dscnt 0x0
	v_sub_nc_u32_e32 v151, v155, v151
	ds_store_b32 v3, v151
.LBB1966_1060:                          ;   in Loop: Header=BB1966_982 Depth=2
	s_or_b32 exec_lo, exec_lo, s15
	v_add3_u32 v159, v146, v145, v65
	v_add_nc_u32_e32 v163, v63, v142
	v_add3_u32 v155, v150, v149, v66
	v_add3_u32 v151, v154, v153, v67
	;; [unrolled: 1-line block ×4, first 2 shown]
	v_lshlrev_b32_e32 v60, 1, v159
	v_lshlrev_b32_e32 v153, 1, v163
	v_add3_u32 v150, v158, v157, v143
	v_add3_u32 v147, v166, v165, v203
	;; [unrolled: 1-line block ×4, first 2 shown]
	v_lshlrev_b32_e32 v61, 1, v155
	v_add3_u32 v145, v174, v173, v175
	v_lshlrev_b32_e32 v154, 1, v149
	ds_store_b16 v153, v140 offset:1024
	v_lshlrev_b32_e32 v140, 1, v151
	v_add3_u32 v143, v178, v177, v179
	v_lshlrev_b32_e32 v153, 1, v150
	v_add3_u32 v142, v182, v181, v183
	v_add3_u32 v63, v186, v185, v187
	ds_store_b16 v60, v141 offset:1024
	ds_store_b16 v61, v144 offset:1024
	;; [unrolled: 1-line block ×5, first 2 shown]
	v_dual_lshlrev_b32 v60, 1, v147 :: v_dual_lshlrev_b32 v140, 1, v145
	v_lshlrev_b32_e32 v61, 1, v146
	v_add3_u32 v65, v198, v197, v64
	v_dual_lshlrev_b32 v141, 1, v143 :: v_dual_lshlrev_b32 v144, 1, v142
	v_add3_u32 v64, v201, v200, v167
	ds_store_b16 v60, v160 offset:1024
	ds_store_b16 v61, v164 offset:1024
	;; [unrolled: 1-line block ×5, first 2 shown]
	v_dual_lshlrev_b32 v60, 1, v63 :: v_dual_lshlrev_b32 v140, 1, v66
	v_cmp_lt_u32_e32 vcc_lo, v2, v139
	v_dual_lshlrev_b32 v61, 1, v67 :: v_dual_lshlrev_b32 v141, 1, v65
	v_lshlrev_b32_e32 v144, 1, v64
	ds_store_b16 v60, v180 offset:1024
	ds_store_b16 v61, v184 offset:1024
	;; [unrolled: 1-line block ×5, first 2 shown]
	s_wait_dscnt 0x0
	s_barrier_signal -1
	s_barrier_wait -1
	s_and_saveexec_b32 s16, vcc_lo
	s_cbranch_execnz .LBB1966_1129
; %bb.1061:                             ;   in Loop: Header=BB1966_982 Depth=2
	s_or_b32 exec_lo, exec_lo, s16
	v_cmp_lt_u32_e64 s15, v68, v139
	s_and_saveexec_b32 s17, s15
	s_cbranch_execnz .LBB1966_1130
.LBB1966_1062:                          ;   in Loop: Header=BB1966_982 Depth=2
	s_or_b32 exec_lo, exec_lo, s17
	v_cmp_lt_u32_e64 s16, v69, v139
	s_and_saveexec_b32 s18, s16
	s_cbranch_execnz .LBB1966_1131
.LBB1966_1063:                          ;   in Loop: Header=BB1966_982 Depth=2
	s_or_b32 exec_lo, exec_lo, s18
	v_cmp_lt_u32_e64 s17, v70, v139
	s_and_saveexec_b32 s19, s17
	s_cbranch_execnz .LBB1966_1132
.LBB1966_1064:                          ;   in Loop: Header=BB1966_982 Depth=2
	s_or_b32 exec_lo, exec_lo, s19
	v_cmp_lt_u32_e64 s18, v71, v139
	s_and_saveexec_b32 s20, s18
	s_cbranch_execnz .LBB1966_1133
.LBB1966_1065:                          ;   in Loop: Header=BB1966_982 Depth=2
	s_or_b32 exec_lo, exec_lo, s20
	v_cmp_lt_u32_e64 s19, v72, v139
	s_and_saveexec_b32 s21, s19
	s_cbranch_execnz .LBB1966_1134
.LBB1966_1066:                          ;   in Loop: Header=BB1966_982 Depth=2
	s_or_b32 exec_lo, exec_lo, s21
	v_cmp_lt_u32_e64 s20, v73, v139
	s_and_saveexec_b32 s22, s20
	s_cbranch_execnz .LBB1966_1135
.LBB1966_1067:                          ;   in Loop: Header=BB1966_982 Depth=2
	s_or_b32 exec_lo, exec_lo, s22
	v_cmp_lt_u32_e64 s21, v74, v139
	s_and_saveexec_b32 s23, s21
	s_cbranch_execnz .LBB1966_1136
.LBB1966_1068:                          ;   in Loop: Header=BB1966_982 Depth=2
	s_or_b32 exec_lo, exec_lo, s23
	v_cmp_lt_u32_e64 s22, v75, v139
	s_and_saveexec_b32 s24, s22
	s_cbranch_execnz .LBB1966_1137
.LBB1966_1069:                          ;   in Loop: Header=BB1966_982 Depth=2
	s_or_b32 exec_lo, exec_lo, s24
	v_cmp_lt_u32_e64 s23, v76, v139
	s_and_saveexec_b32 s25, s23
	s_cbranch_execnz .LBB1966_1138
.LBB1966_1070:                          ;   in Loop: Header=BB1966_982 Depth=2
	s_or_b32 exec_lo, exec_lo, s25
	v_cmp_lt_u32_e64 s24, v77, v139
	s_and_saveexec_b32 s26, s24
	s_cbranch_execnz .LBB1966_1139
.LBB1966_1071:                          ;   in Loop: Header=BB1966_982 Depth=2
	s_or_b32 exec_lo, exec_lo, s26
	v_cmp_lt_u32_e64 s25, v78, v139
	s_and_saveexec_b32 s27, s25
	s_cbranch_execnz .LBB1966_1140
.LBB1966_1072:                          ;   in Loop: Header=BB1966_982 Depth=2
	s_or_b32 exec_lo, exec_lo, s27
	v_cmp_lt_u32_e64 s26, v79, v139
	s_and_saveexec_b32 s28, s26
	s_cbranch_execnz .LBB1966_1141
.LBB1966_1073:                          ;   in Loop: Header=BB1966_982 Depth=2
	s_or_b32 exec_lo, exec_lo, s28
	v_cmp_lt_u32_e64 s27, v80, v139
	s_and_saveexec_b32 s29, s27
	s_cbranch_execnz .LBB1966_1142
.LBB1966_1074:                          ;   in Loop: Header=BB1966_982 Depth=2
	s_or_b32 exec_lo, exec_lo, s29
	v_cmp_lt_u32_e64 s28, v81, v139
	s_and_saveexec_b32 s30, s28
	s_cbranch_execnz .LBB1966_1143
.LBB1966_1075:                          ;   in Loop: Header=BB1966_982 Depth=2
	s_or_b32 exec_lo, exec_lo, s30
	v_cmp_lt_u32_e64 s29, v82, v139
	s_and_saveexec_b32 s58, s29
	s_cbranch_execz .LBB1966_1077
.LBB1966_1076:                          ;   in Loop: Header=BB1966_982 Depth=2
	ds_load_u16 v60, v93 offset:8704
	s_wait_dscnt 0x0
	v_cmp_ne_u16_e64 s30, 0x8000, v60
	s_delay_alu instid0(VALU_DEP_1) | instskip(SKIP_1) | instid1(VALU_DEP_2)
	v_cndmask_b32_e64 v61, 0x7fff, v60, s30
	v_cmp_gt_i16_e64 s30, 0, v60
	v_and_b32_e32 v61, 0xffff, v61
	s_delay_alu instid0(VALU_DEP_2) | instskip(NEXT) | instid1(VALU_DEP_1)
	v_cndmask_b32_e64 v140, 0x7fff, 0, s30
	v_dual_lshrrev_b32 v61, s49, v61 :: v_dual_bitop2_b32 v60, v140, v60 bitop3:0x14
	s_delay_alu instid0(VALU_DEP_1) | instskip(NEXT) | instid1(VALU_DEP_1)
	v_and_b32_e32 v61, s52, v61
	v_lshlrev_b32_e32 v61, 2, v61
	ds_load_b32 v61, v61
	s_wait_dscnt 0x0
	v_add_nc_u32_e32 v61, v61, v82
	global_store_b16 v61, v60, s[40:41] scale_offset
.LBB1966_1077:                          ;   in Loop: Header=BB1966_982 Depth=2
	s_wait_xcnt 0x0
	s_or_b32 exec_lo, exec_lo, s58
	v_lshl_add_u64 v[60:61], s[42:43], 3, v[24:25]
	v_cmp_lt_u32_e64 s30, v100, v139
	s_and_saveexec_b32 s42, s30
	s_delay_alu instid0(SALU_CYCLE_1)
	s_xor_b32 s30, exec_lo, s42
	s_cbranch_execnz .LBB1966_1144
; %bb.1078:                             ;   in Loop: Header=BB1966_982 Depth=2
	s_or_b32 exec_lo, exec_lo, s30
	s_delay_alu instid0(SALU_CYCLE_1)
	s_mov_b32 s42, exec_lo
	v_cmpx_lt_u32_e64 v103, v139
	s_cbranch_execnz .LBB1966_1145
.LBB1966_1079:                          ;   in Loop: Header=BB1966_982 Depth=2
	s_or_b32 exec_lo, exec_lo, s42
	s_delay_alu instid0(SALU_CYCLE_1)
	s_mov_b32 s42, exec_lo
	v_cmpx_lt_u32_e64 v104, v139
	s_cbranch_execnz .LBB1966_1146
.LBB1966_1080:                          ;   in Loop: Header=BB1966_982 Depth=2
	s_or_b32 exec_lo, exec_lo, s42
	s_delay_alu instid0(SALU_CYCLE_1)
	s_mov_b32 s42, exec_lo
	v_cmpx_lt_u32_e64 v105, v139
	s_cbranch_execnz .LBB1966_1147
.LBB1966_1081:                          ;   in Loop: Header=BB1966_982 Depth=2
	s_or_b32 exec_lo, exec_lo, s42
	s_delay_alu instid0(SALU_CYCLE_1)
	s_mov_b32 s42, exec_lo
	v_cmpx_lt_u32_e64 v106, v139
	s_cbranch_execnz .LBB1966_1148
.LBB1966_1082:                          ;   in Loop: Header=BB1966_982 Depth=2
	s_or_b32 exec_lo, exec_lo, s42
	s_delay_alu instid0(SALU_CYCLE_1)
	s_mov_b32 s42, exec_lo
	v_cmpx_lt_u32_e64 v107, v139
	s_cbranch_execnz .LBB1966_1149
.LBB1966_1083:                          ;   in Loop: Header=BB1966_982 Depth=2
	s_or_b32 exec_lo, exec_lo, s42
	s_delay_alu instid0(SALU_CYCLE_1)
	s_mov_b32 s42, exec_lo
	v_cmpx_lt_u32_e64 v108, v139
	s_cbranch_execnz .LBB1966_1150
.LBB1966_1084:                          ;   in Loop: Header=BB1966_982 Depth=2
	s_or_b32 exec_lo, exec_lo, s42
	s_delay_alu instid0(SALU_CYCLE_1)
	s_mov_b32 s42, exec_lo
	v_cmpx_lt_u32_e64 v109, v139
	s_cbranch_execnz .LBB1966_1151
.LBB1966_1085:                          ;   in Loop: Header=BB1966_982 Depth=2
	s_or_b32 exec_lo, exec_lo, s42
	s_delay_alu instid0(SALU_CYCLE_1)
	s_mov_b32 s42, exec_lo
	v_cmpx_lt_u32_e64 v110, v139
	s_cbranch_execnz .LBB1966_1152
.LBB1966_1086:                          ;   in Loop: Header=BB1966_982 Depth=2
	s_or_b32 exec_lo, exec_lo, s42
	s_delay_alu instid0(SALU_CYCLE_1)
	s_mov_b32 s42, exec_lo
	v_cmpx_lt_u32_e64 v111, v139
	s_cbranch_execnz .LBB1966_1153
.LBB1966_1087:                          ;   in Loop: Header=BB1966_982 Depth=2
	s_or_b32 exec_lo, exec_lo, s42
	s_delay_alu instid0(SALU_CYCLE_1)
	s_mov_b32 s42, exec_lo
	v_cmpx_lt_u32_e64 v112, v139
	s_cbranch_execnz .LBB1966_1154
.LBB1966_1088:                          ;   in Loop: Header=BB1966_982 Depth=2
	s_or_b32 exec_lo, exec_lo, s42
	s_delay_alu instid0(SALU_CYCLE_1)
	s_mov_b32 s42, exec_lo
	v_cmpx_lt_u32_e64 v113, v139
	s_cbranch_execnz .LBB1966_1155
.LBB1966_1089:                          ;   in Loop: Header=BB1966_982 Depth=2
	s_or_b32 exec_lo, exec_lo, s42
	s_delay_alu instid0(SALU_CYCLE_1)
	s_mov_b32 s42, exec_lo
	v_cmpx_lt_u32_e64 v114, v139
	s_cbranch_execnz .LBB1966_1156
.LBB1966_1090:                          ;   in Loop: Header=BB1966_982 Depth=2
	s_or_b32 exec_lo, exec_lo, s42
	s_delay_alu instid0(SALU_CYCLE_1)
	s_mov_b32 s42, exec_lo
	v_cmpx_lt_u32_e64 v115, v139
	s_cbranch_execnz .LBB1966_1157
.LBB1966_1091:                          ;   in Loop: Header=BB1966_982 Depth=2
	s_or_b32 exec_lo, exec_lo, s42
	s_delay_alu instid0(SALU_CYCLE_1)
	s_mov_b32 s42, exec_lo
	v_cmpx_lt_u32_e64 v116, v139
	s_cbranch_execnz .LBB1966_1158
.LBB1966_1092:                          ;   in Loop: Header=BB1966_982 Depth=2
	s_or_b32 exec_lo, exec_lo, s42
	s_delay_alu instid0(SALU_CYCLE_1)
	s_mov_b32 s42, exec_lo
	v_cmpx_lt_u32_e64 v117, v139
	s_cbranch_execnz .LBB1966_1159
.LBB1966_1093:                          ;   in Loop: Header=BB1966_982 Depth=2
	s_or_b32 exec_lo, exec_lo, s42
	s_and_saveexec_b32 s42, vcc_lo
	s_cbranch_execnz .LBB1966_1160
.LBB1966_1094:                          ;   in Loop: Header=BB1966_982 Depth=2
	s_or_b32 exec_lo, exec_lo, s42
	s_and_saveexec_b32 s42, s15
	s_cbranch_execnz .LBB1966_1161
.LBB1966_1095:                          ;   in Loop: Header=BB1966_982 Depth=2
	s_or_b32 exec_lo, exec_lo, s42
	s_and_saveexec_b32 s42, s16
	s_cbranch_execnz .LBB1966_1162
.LBB1966_1096:                          ;   in Loop: Header=BB1966_982 Depth=2
	s_or_b32 exec_lo, exec_lo, s42
	s_and_saveexec_b32 s42, s17
	s_cbranch_execnz .LBB1966_1163
.LBB1966_1097:                          ;   in Loop: Header=BB1966_982 Depth=2
	s_or_b32 exec_lo, exec_lo, s42
	s_and_saveexec_b32 s42, s18
	s_cbranch_execnz .LBB1966_1164
.LBB1966_1098:                          ;   in Loop: Header=BB1966_982 Depth=2
	s_or_b32 exec_lo, exec_lo, s42
	s_and_saveexec_b32 s42, s19
	s_cbranch_execnz .LBB1966_1165
.LBB1966_1099:                          ;   in Loop: Header=BB1966_982 Depth=2
	s_or_b32 exec_lo, exec_lo, s42
	s_and_saveexec_b32 s42, s20
	s_cbranch_execnz .LBB1966_1166
.LBB1966_1100:                          ;   in Loop: Header=BB1966_982 Depth=2
	s_or_b32 exec_lo, exec_lo, s42
	s_and_saveexec_b32 s42, s21
	s_cbranch_execnz .LBB1966_1167
.LBB1966_1101:                          ;   in Loop: Header=BB1966_982 Depth=2
	s_or_b32 exec_lo, exec_lo, s42
	s_and_saveexec_b32 s42, s22
	s_cbranch_execnz .LBB1966_1168
.LBB1966_1102:                          ;   in Loop: Header=BB1966_982 Depth=2
	s_or_b32 exec_lo, exec_lo, s42
	s_and_saveexec_b32 s42, s23
	s_cbranch_execnz .LBB1966_1169
.LBB1966_1103:                          ;   in Loop: Header=BB1966_982 Depth=2
	s_or_b32 exec_lo, exec_lo, s42
	s_and_saveexec_b32 s42, s24
	s_cbranch_execnz .LBB1966_1170
.LBB1966_1104:                          ;   in Loop: Header=BB1966_982 Depth=2
	s_or_b32 exec_lo, exec_lo, s42
	s_and_saveexec_b32 s42, s25
	s_cbranch_execnz .LBB1966_1171
.LBB1966_1105:                          ;   in Loop: Header=BB1966_982 Depth=2
	s_or_b32 exec_lo, exec_lo, s42
	s_and_saveexec_b32 s42, s26
	s_cbranch_execnz .LBB1966_1172
.LBB1966_1106:                          ;   in Loop: Header=BB1966_982 Depth=2
	s_or_b32 exec_lo, exec_lo, s42
	s_and_saveexec_b32 s42, s27
	s_cbranch_execnz .LBB1966_1173
.LBB1966_1107:                          ;   in Loop: Header=BB1966_982 Depth=2
	s_or_b32 exec_lo, exec_lo, s42
	s_and_saveexec_b32 s42, s28
	s_cbranch_execnz .LBB1966_1174
.LBB1966_1108:                          ;   in Loop: Header=BB1966_982 Depth=2
	s_or_b32 exec_lo, exec_lo, s42
	s_and_saveexec_b32 s42, s29
	s_cbranch_execz .LBB1966_1110
.LBB1966_1109:                          ;   in Loop: Header=BB1966_982 Depth=2
	ds_load_u16 v60, v93 offset:8704
	s_wait_dscnt 0x0
	v_cmp_ne_u16_e64 s30, 0x8000, v60
	s_delay_alu instid0(VALU_DEP_1) | instskip(NEXT) | instid1(VALU_DEP_1)
	v_cndmask_b32_e64 v60, 0x7fff, v60, s30
	v_and_b32_e32 v60, 0xffff, v60
	s_delay_alu instid0(VALU_DEP_1) | instskip(NEXT) | instid1(VALU_DEP_1)
	v_lshrrev_b32_e32 v60, s49, v60
	v_and_b32_e32 v123, s52, v60
.LBB1966_1110:                          ;   in Loop: Header=BB1966_982 Depth=2
	s_or_b32 exec_lo, exec_lo, s42
	v_dual_lshlrev_b32 v60, 3, v163 :: v_dual_lshlrev_b32 v140, 3, v150
	s_wait_loadcnt 0x0
	s_wait_storecnt 0x0
	s_barrier_signal -1
	s_barrier_wait -1
	ds_store_b64 v60, v[58:59] offset:1024
	v_dual_lshlrev_b32 v60, 3, v159 :: v_dual_lshlrev_b32 v141, 3, v149
	v_lshlrev_b32_e32 v61, 3, v155
	v_lshlrev_b32_e32 v139, 3, v151
	ds_store_b64 v60, v[56:57] offset:1024
	ds_store_b64 v61, v[54:55] offset:1024
	;; [unrolled: 1-line block ×5, first 2 shown]
	v_dual_lshlrev_b32 v60, 3, v147 :: v_dual_lshlrev_b32 v141, 3, v142
	v_dual_lshlrev_b32 v61, 3, v146 :: v_dual_lshlrev_b32 v139, 3, v145
	v_lshlrev_b32_e32 v140, 3, v143
	ds_store_b64 v60, v[46:47] offset:1024
	ds_store_b64 v61, v[44:45] offset:1024
	;; [unrolled: 1-line block ×5, first 2 shown]
	v_dual_lshlrev_b32 v60, 3, v63 :: v_dual_lshlrev_b32 v65, 3, v65
	v_dual_lshlrev_b32 v61, 3, v67 :: v_dual_lshlrev_b32 v64, 3, v64
	v_lshlrev_b32_e32 v63, 3, v66
	ds_store_b64 v60, v[36:37] offset:1024
	ds_store_b64 v61, v[34:35] offset:1024
	;; [unrolled: 1-line block ×5, first 2 shown]
	v_add_nc_u32_e32 v60, v93, v94
	s_wait_dscnt 0x0
	s_barrier_signal -1
	s_barrier_wait -1
	s_and_saveexec_b32 s30, vcc_lo
	s_cbranch_execnz .LBB1966_1175
; %bb.1111:                             ;   in Loop: Header=BB1966_982 Depth=2
	s_or_b32 exec_lo, exec_lo, s30
	s_and_saveexec_b32 s30, s15
	s_cbranch_execnz .LBB1966_1176
.LBB1966_1112:                          ;   in Loop: Header=BB1966_982 Depth=2
	s_or_b32 exec_lo, exec_lo, s30
	s_and_saveexec_b32 s15, s16
	s_cbranch_execnz .LBB1966_1177
.LBB1966_1113:                          ;   in Loop: Header=BB1966_982 Depth=2
	s_or_b32 exec_lo, exec_lo, s15
	s_and_saveexec_b32 s15, s17
	s_cbranch_execnz .LBB1966_1178
.LBB1966_1114:                          ;   in Loop: Header=BB1966_982 Depth=2
	s_or_b32 exec_lo, exec_lo, s15
	s_and_saveexec_b32 s15, s18
	s_cbranch_execnz .LBB1966_1179
.LBB1966_1115:                          ;   in Loop: Header=BB1966_982 Depth=2
	s_or_b32 exec_lo, exec_lo, s15
	s_and_saveexec_b32 s15, s19
	s_cbranch_execnz .LBB1966_1180
.LBB1966_1116:                          ;   in Loop: Header=BB1966_982 Depth=2
	s_or_b32 exec_lo, exec_lo, s15
	s_and_saveexec_b32 s15, s20
	s_cbranch_execnz .LBB1966_1181
.LBB1966_1117:                          ;   in Loop: Header=BB1966_982 Depth=2
	s_or_b32 exec_lo, exec_lo, s15
	s_and_saveexec_b32 s15, s21
	s_cbranch_execnz .LBB1966_1182
.LBB1966_1118:                          ;   in Loop: Header=BB1966_982 Depth=2
	s_or_b32 exec_lo, exec_lo, s15
	s_and_saveexec_b32 s15, s22
	s_cbranch_execnz .LBB1966_1183
.LBB1966_1119:                          ;   in Loop: Header=BB1966_982 Depth=2
	s_or_b32 exec_lo, exec_lo, s15
	s_and_saveexec_b32 s15, s23
	s_cbranch_execnz .LBB1966_1184
.LBB1966_1120:                          ;   in Loop: Header=BB1966_982 Depth=2
	s_or_b32 exec_lo, exec_lo, s15
	s_and_saveexec_b32 s15, s24
	s_cbranch_execnz .LBB1966_1185
.LBB1966_1121:                          ;   in Loop: Header=BB1966_982 Depth=2
	s_or_b32 exec_lo, exec_lo, s15
	s_and_saveexec_b32 s15, s25
	s_cbranch_execnz .LBB1966_1186
.LBB1966_1122:                          ;   in Loop: Header=BB1966_982 Depth=2
	s_or_b32 exec_lo, exec_lo, s15
	s_and_saveexec_b32 s15, s26
	s_cbranch_execnz .LBB1966_1187
.LBB1966_1123:                          ;   in Loop: Header=BB1966_982 Depth=2
	s_or_b32 exec_lo, exec_lo, s15
	s_and_saveexec_b32 s15, s27
	s_cbranch_execnz .LBB1966_1188
.LBB1966_1124:                          ;   in Loop: Header=BB1966_982 Depth=2
	s_or_b32 exec_lo, exec_lo, s15
	s_and_saveexec_b32 s15, s28
	s_cbranch_execnz .LBB1966_1189
.LBB1966_1125:                          ;   in Loop: Header=BB1966_982 Depth=2
	s_or_b32 exec_lo, exec_lo, s15
	s_and_saveexec_b32 s15, s29
	s_cbranch_execz .LBB1966_1127
.LBB1966_1126:                          ;   in Loop: Header=BB1966_982 Depth=2
	v_lshlrev_b32_e32 v61, 2, v123
	ds_load_b32 v63, v61
	ds_load_b64 v[60:61], v60 offset:31744
	s_wait_dscnt 0x1
	v_add_nc_u32_e32 v63, v63, v82
	s_wait_dscnt 0x0
	global_store_b64 v63, v[60:61], s[46:47] scale_offset
.LBB1966_1127:                          ;   in Loop: Header=BB1966_982 Depth=2
	s_wait_xcnt 0x0
	s_or_b32 exec_lo, exec_lo, s15
	s_wait_storecnt 0x0
	s_barrier_signal -1
	s_barrier_wait -1
	s_and_saveexec_b32 s15, s0
	s_cbranch_execz .LBB1966_981
; %bb.1128:                             ;   in Loop: Header=BB1966_982 Depth=2
	ds_load_b32 v60, v3
	s_wait_dscnt 0x0
	v_add_nc_u32_e32 v60, v60, v62
	ds_store_b32 v3, v60
	s_branch .LBB1966_981
.LBB1966_1129:                          ;   in Loop: Header=BB1966_982 Depth=2
	ds_load_u16 v60, v93 offset:1024
	s_wait_dscnt 0x0
	v_cmp_ne_u16_e64 s15, 0x8000, v60
	s_delay_alu instid0(VALU_DEP_1) | instskip(SKIP_1) | instid1(VALU_DEP_2)
	v_cndmask_b32_e64 v61, 0x7fff, v60, s15
	v_cmp_gt_i16_e64 s15, 0, v60
	v_and_b32_e32 v61, 0xffff, v61
	s_delay_alu instid0(VALU_DEP_2) | instskip(NEXT) | instid1(VALU_DEP_1)
	v_cndmask_b32_e64 v140, 0x7fff, 0, s15
	v_dual_lshrrev_b32 v61, s49, v61 :: v_dual_bitop2_b32 v60, v140, v60 bitop3:0x14
	s_delay_alu instid0(VALU_DEP_1) | instskip(NEXT) | instid1(VALU_DEP_1)
	v_and_b32_e32 v61, s52, v61
	v_lshlrev_b32_e32 v61, 2, v61
	ds_load_b32 v61, v61
	s_wait_dscnt 0x0
	v_add_nc_u32_e32 v61, v61, v2
	global_store_b16 v61, v60, s[40:41] scale_offset
	s_wait_xcnt 0x0
	s_or_b32 exec_lo, exec_lo, s16
	v_cmp_lt_u32_e64 s15, v68, v139
	s_and_saveexec_b32 s17, s15
	s_cbranch_execz .LBB1966_1062
.LBB1966_1130:                          ;   in Loop: Header=BB1966_982 Depth=2
	ds_load_u16 v60, v93 offset:1536
	s_wait_dscnt 0x0
	v_cmp_ne_u16_e64 s16, 0x8000, v60
	s_delay_alu instid0(VALU_DEP_1) | instskip(SKIP_1) | instid1(VALU_DEP_2)
	v_cndmask_b32_e64 v61, 0x7fff, v60, s16
	v_cmp_gt_i16_e64 s16, 0, v60
	v_and_b32_e32 v61, 0xffff, v61
	s_delay_alu instid0(VALU_DEP_2) | instskip(NEXT) | instid1(VALU_DEP_1)
	v_cndmask_b32_e64 v140, 0x7fff, 0, s16
	v_dual_lshrrev_b32 v61, s49, v61 :: v_dual_bitop2_b32 v60, v140, v60 bitop3:0x14
	s_delay_alu instid0(VALU_DEP_1) | instskip(NEXT) | instid1(VALU_DEP_1)
	v_and_b32_e32 v61, s52, v61
	v_lshlrev_b32_e32 v61, 2, v61
	ds_load_b32 v61, v61
	s_wait_dscnt 0x0
	v_add_nc_u32_e32 v61, v61, v68
	global_store_b16 v61, v60, s[40:41] scale_offset
	s_wait_xcnt 0x0
	s_or_b32 exec_lo, exec_lo, s17
	v_cmp_lt_u32_e64 s16, v69, v139
	s_and_saveexec_b32 s18, s16
	s_cbranch_execz .LBB1966_1063
.LBB1966_1131:                          ;   in Loop: Header=BB1966_982 Depth=2
	ds_load_u16 v60, v93 offset:2048
	s_wait_dscnt 0x0
	v_cmp_ne_u16_e64 s17, 0x8000, v60
	s_delay_alu instid0(VALU_DEP_1) | instskip(SKIP_1) | instid1(VALU_DEP_2)
	v_cndmask_b32_e64 v61, 0x7fff, v60, s17
	v_cmp_gt_i16_e64 s17, 0, v60
	v_and_b32_e32 v61, 0xffff, v61
	s_delay_alu instid0(VALU_DEP_2) | instskip(NEXT) | instid1(VALU_DEP_1)
	v_cndmask_b32_e64 v140, 0x7fff, 0, s17
	v_dual_lshrrev_b32 v61, s49, v61 :: v_dual_bitop2_b32 v60, v140, v60 bitop3:0x14
	s_delay_alu instid0(VALU_DEP_1) | instskip(NEXT) | instid1(VALU_DEP_1)
	v_and_b32_e32 v61, s52, v61
	v_lshlrev_b32_e32 v61, 2, v61
	ds_load_b32 v61, v61
	s_wait_dscnt 0x0
	v_add_nc_u32_e32 v61, v61, v69
	global_store_b16 v61, v60, s[40:41] scale_offset
	s_wait_xcnt 0x0
	s_or_b32 exec_lo, exec_lo, s18
	v_cmp_lt_u32_e64 s17, v70, v139
	s_and_saveexec_b32 s19, s17
	s_cbranch_execz .LBB1966_1064
.LBB1966_1132:                          ;   in Loop: Header=BB1966_982 Depth=2
	ds_load_u16 v60, v93 offset:2560
	s_wait_dscnt 0x0
	v_cmp_ne_u16_e64 s18, 0x8000, v60
	s_delay_alu instid0(VALU_DEP_1) | instskip(SKIP_1) | instid1(VALU_DEP_2)
	v_cndmask_b32_e64 v61, 0x7fff, v60, s18
	v_cmp_gt_i16_e64 s18, 0, v60
	v_and_b32_e32 v61, 0xffff, v61
	s_delay_alu instid0(VALU_DEP_2) | instskip(NEXT) | instid1(VALU_DEP_1)
	v_cndmask_b32_e64 v140, 0x7fff, 0, s18
	v_dual_lshrrev_b32 v61, s49, v61 :: v_dual_bitop2_b32 v60, v140, v60 bitop3:0x14
	s_delay_alu instid0(VALU_DEP_1) | instskip(NEXT) | instid1(VALU_DEP_1)
	v_and_b32_e32 v61, s52, v61
	v_lshlrev_b32_e32 v61, 2, v61
	ds_load_b32 v61, v61
	s_wait_dscnt 0x0
	v_add_nc_u32_e32 v61, v61, v70
	global_store_b16 v61, v60, s[40:41] scale_offset
	s_wait_xcnt 0x0
	s_or_b32 exec_lo, exec_lo, s19
	v_cmp_lt_u32_e64 s18, v71, v139
	s_and_saveexec_b32 s20, s18
	s_cbranch_execz .LBB1966_1065
.LBB1966_1133:                          ;   in Loop: Header=BB1966_982 Depth=2
	ds_load_u16 v60, v93 offset:3072
	s_wait_dscnt 0x0
	v_cmp_ne_u16_e64 s19, 0x8000, v60
	s_delay_alu instid0(VALU_DEP_1) | instskip(SKIP_1) | instid1(VALU_DEP_2)
	v_cndmask_b32_e64 v61, 0x7fff, v60, s19
	v_cmp_gt_i16_e64 s19, 0, v60
	v_and_b32_e32 v61, 0xffff, v61
	s_delay_alu instid0(VALU_DEP_2) | instskip(NEXT) | instid1(VALU_DEP_1)
	v_cndmask_b32_e64 v140, 0x7fff, 0, s19
	v_dual_lshrrev_b32 v61, s49, v61 :: v_dual_bitop2_b32 v60, v140, v60 bitop3:0x14
	s_delay_alu instid0(VALU_DEP_1) | instskip(NEXT) | instid1(VALU_DEP_1)
	v_and_b32_e32 v61, s52, v61
	v_lshlrev_b32_e32 v61, 2, v61
	ds_load_b32 v61, v61
	s_wait_dscnt 0x0
	v_add_nc_u32_e32 v61, v61, v71
	global_store_b16 v61, v60, s[40:41] scale_offset
	s_wait_xcnt 0x0
	s_or_b32 exec_lo, exec_lo, s20
	v_cmp_lt_u32_e64 s19, v72, v139
	s_and_saveexec_b32 s21, s19
	s_cbranch_execz .LBB1966_1066
.LBB1966_1134:                          ;   in Loop: Header=BB1966_982 Depth=2
	ds_load_u16 v60, v93 offset:3584
	s_wait_dscnt 0x0
	v_cmp_ne_u16_e64 s20, 0x8000, v60
	s_delay_alu instid0(VALU_DEP_1) | instskip(SKIP_1) | instid1(VALU_DEP_2)
	v_cndmask_b32_e64 v61, 0x7fff, v60, s20
	v_cmp_gt_i16_e64 s20, 0, v60
	v_and_b32_e32 v61, 0xffff, v61
	s_delay_alu instid0(VALU_DEP_2) | instskip(NEXT) | instid1(VALU_DEP_1)
	v_cndmask_b32_e64 v140, 0x7fff, 0, s20
	v_dual_lshrrev_b32 v61, s49, v61 :: v_dual_bitop2_b32 v60, v140, v60 bitop3:0x14
	s_delay_alu instid0(VALU_DEP_1) | instskip(NEXT) | instid1(VALU_DEP_1)
	v_and_b32_e32 v61, s52, v61
	v_lshlrev_b32_e32 v61, 2, v61
	ds_load_b32 v61, v61
	s_wait_dscnt 0x0
	v_add_nc_u32_e32 v61, v61, v72
	global_store_b16 v61, v60, s[40:41] scale_offset
	s_wait_xcnt 0x0
	s_or_b32 exec_lo, exec_lo, s21
	v_cmp_lt_u32_e64 s20, v73, v139
	s_and_saveexec_b32 s22, s20
	s_cbranch_execz .LBB1966_1067
.LBB1966_1135:                          ;   in Loop: Header=BB1966_982 Depth=2
	ds_load_u16 v60, v93 offset:4096
	s_wait_dscnt 0x0
	v_cmp_ne_u16_e64 s21, 0x8000, v60
	s_delay_alu instid0(VALU_DEP_1) | instskip(SKIP_1) | instid1(VALU_DEP_2)
	v_cndmask_b32_e64 v61, 0x7fff, v60, s21
	v_cmp_gt_i16_e64 s21, 0, v60
	v_and_b32_e32 v61, 0xffff, v61
	s_delay_alu instid0(VALU_DEP_2) | instskip(NEXT) | instid1(VALU_DEP_1)
	v_cndmask_b32_e64 v140, 0x7fff, 0, s21
	v_dual_lshrrev_b32 v61, s49, v61 :: v_dual_bitop2_b32 v60, v140, v60 bitop3:0x14
	s_delay_alu instid0(VALU_DEP_1) | instskip(NEXT) | instid1(VALU_DEP_1)
	v_and_b32_e32 v61, s52, v61
	v_lshlrev_b32_e32 v61, 2, v61
	ds_load_b32 v61, v61
	s_wait_dscnt 0x0
	v_add_nc_u32_e32 v61, v61, v73
	global_store_b16 v61, v60, s[40:41] scale_offset
	s_wait_xcnt 0x0
	s_or_b32 exec_lo, exec_lo, s22
	v_cmp_lt_u32_e64 s21, v74, v139
	s_and_saveexec_b32 s23, s21
	s_cbranch_execz .LBB1966_1068
.LBB1966_1136:                          ;   in Loop: Header=BB1966_982 Depth=2
	ds_load_u16 v60, v93 offset:4608
	s_wait_dscnt 0x0
	v_cmp_ne_u16_e64 s22, 0x8000, v60
	s_delay_alu instid0(VALU_DEP_1) | instskip(SKIP_1) | instid1(VALU_DEP_2)
	v_cndmask_b32_e64 v61, 0x7fff, v60, s22
	v_cmp_gt_i16_e64 s22, 0, v60
	v_and_b32_e32 v61, 0xffff, v61
	s_delay_alu instid0(VALU_DEP_2) | instskip(NEXT) | instid1(VALU_DEP_1)
	v_cndmask_b32_e64 v140, 0x7fff, 0, s22
	v_dual_lshrrev_b32 v61, s49, v61 :: v_dual_bitop2_b32 v60, v140, v60 bitop3:0x14
	s_delay_alu instid0(VALU_DEP_1) | instskip(NEXT) | instid1(VALU_DEP_1)
	v_and_b32_e32 v61, s52, v61
	v_lshlrev_b32_e32 v61, 2, v61
	ds_load_b32 v61, v61
	s_wait_dscnt 0x0
	v_add_nc_u32_e32 v61, v61, v74
	global_store_b16 v61, v60, s[40:41] scale_offset
	s_wait_xcnt 0x0
	s_or_b32 exec_lo, exec_lo, s23
	v_cmp_lt_u32_e64 s22, v75, v139
	s_and_saveexec_b32 s24, s22
	s_cbranch_execz .LBB1966_1069
.LBB1966_1137:                          ;   in Loop: Header=BB1966_982 Depth=2
	ds_load_u16 v60, v93 offset:5120
	s_wait_dscnt 0x0
	v_cmp_ne_u16_e64 s23, 0x8000, v60
	s_delay_alu instid0(VALU_DEP_1) | instskip(SKIP_1) | instid1(VALU_DEP_2)
	v_cndmask_b32_e64 v61, 0x7fff, v60, s23
	v_cmp_gt_i16_e64 s23, 0, v60
	v_and_b32_e32 v61, 0xffff, v61
	s_delay_alu instid0(VALU_DEP_2) | instskip(NEXT) | instid1(VALU_DEP_1)
	v_cndmask_b32_e64 v140, 0x7fff, 0, s23
	v_dual_lshrrev_b32 v61, s49, v61 :: v_dual_bitop2_b32 v60, v140, v60 bitop3:0x14
	s_delay_alu instid0(VALU_DEP_1) | instskip(NEXT) | instid1(VALU_DEP_1)
	v_and_b32_e32 v61, s52, v61
	v_lshlrev_b32_e32 v61, 2, v61
	ds_load_b32 v61, v61
	s_wait_dscnt 0x0
	v_add_nc_u32_e32 v61, v61, v75
	global_store_b16 v61, v60, s[40:41] scale_offset
	s_wait_xcnt 0x0
	s_or_b32 exec_lo, exec_lo, s24
	v_cmp_lt_u32_e64 s23, v76, v139
	s_and_saveexec_b32 s25, s23
	s_cbranch_execz .LBB1966_1070
.LBB1966_1138:                          ;   in Loop: Header=BB1966_982 Depth=2
	ds_load_u16 v60, v93 offset:5632
	s_wait_dscnt 0x0
	v_cmp_ne_u16_e64 s24, 0x8000, v60
	s_delay_alu instid0(VALU_DEP_1) | instskip(SKIP_1) | instid1(VALU_DEP_2)
	v_cndmask_b32_e64 v61, 0x7fff, v60, s24
	v_cmp_gt_i16_e64 s24, 0, v60
	v_and_b32_e32 v61, 0xffff, v61
	s_delay_alu instid0(VALU_DEP_2) | instskip(NEXT) | instid1(VALU_DEP_1)
	v_cndmask_b32_e64 v140, 0x7fff, 0, s24
	v_dual_lshrrev_b32 v61, s49, v61 :: v_dual_bitop2_b32 v60, v140, v60 bitop3:0x14
	s_delay_alu instid0(VALU_DEP_1) | instskip(NEXT) | instid1(VALU_DEP_1)
	v_and_b32_e32 v61, s52, v61
	v_lshlrev_b32_e32 v61, 2, v61
	ds_load_b32 v61, v61
	s_wait_dscnt 0x0
	v_add_nc_u32_e32 v61, v61, v76
	global_store_b16 v61, v60, s[40:41] scale_offset
	s_wait_xcnt 0x0
	s_or_b32 exec_lo, exec_lo, s25
	v_cmp_lt_u32_e64 s24, v77, v139
	s_and_saveexec_b32 s26, s24
	s_cbranch_execz .LBB1966_1071
.LBB1966_1139:                          ;   in Loop: Header=BB1966_982 Depth=2
	ds_load_u16 v60, v93 offset:6144
	s_wait_dscnt 0x0
	v_cmp_ne_u16_e64 s25, 0x8000, v60
	s_delay_alu instid0(VALU_DEP_1) | instskip(SKIP_1) | instid1(VALU_DEP_2)
	v_cndmask_b32_e64 v61, 0x7fff, v60, s25
	v_cmp_gt_i16_e64 s25, 0, v60
	v_and_b32_e32 v61, 0xffff, v61
	s_delay_alu instid0(VALU_DEP_2) | instskip(NEXT) | instid1(VALU_DEP_1)
	v_cndmask_b32_e64 v140, 0x7fff, 0, s25
	v_dual_lshrrev_b32 v61, s49, v61 :: v_dual_bitop2_b32 v60, v140, v60 bitop3:0x14
	s_delay_alu instid0(VALU_DEP_1) | instskip(NEXT) | instid1(VALU_DEP_1)
	v_and_b32_e32 v61, s52, v61
	v_lshlrev_b32_e32 v61, 2, v61
	ds_load_b32 v61, v61
	s_wait_dscnt 0x0
	v_add_nc_u32_e32 v61, v61, v77
	global_store_b16 v61, v60, s[40:41] scale_offset
	s_wait_xcnt 0x0
	s_or_b32 exec_lo, exec_lo, s26
	v_cmp_lt_u32_e64 s25, v78, v139
	s_and_saveexec_b32 s27, s25
	s_cbranch_execz .LBB1966_1072
.LBB1966_1140:                          ;   in Loop: Header=BB1966_982 Depth=2
	ds_load_u16 v60, v93 offset:6656
	s_wait_dscnt 0x0
	v_cmp_ne_u16_e64 s26, 0x8000, v60
	s_delay_alu instid0(VALU_DEP_1) | instskip(SKIP_1) | instid1(VALU_DEP_2)
	v_cndmask_b32_e64 v61, 0x7fff, v60, s26
	v_cmp_gt_i16_e64 s26, 0, v60
	v_and_b32_e32 v61, 0xffff, v61
	s_delay_alu instid0(VALU_DEP_2) | instskip(NEXT) | instid1(VALU_DEP_1)
	v_cndmask_b32_e64 v140, 0x7fff, 0, s26
	v_dual_lshrrev_b32 v61, s49, v61 :: v_dual_bitop2_b32 v60, v140, v60 bitop3:0x14
	s_delay_alu instid0(VALU_DEP_1) | instskip(NEXT) | instid1(VALU_DEP_1)
	v_and_b32_e32 v61, s52, v61
	v_lshlrev_b32_e32 v61, 2, v61
	ds_load_b32 v61, v61
	s_wait_dscnt 0x0
	v_add_nc_u32_e32 v61, v61, v78
	global_store_b16 v61, v60, s[40:41] scale_offset
	s_wait_xcnt 0x0
	s_or_b32 exec_lo, exec_lo, s27
	v_cmp_lt_u32_e64 s26, v79, v139
	s_and_saveexec_b32 s28, s26
	s_cbranch_execz .LBB1966_1073
.LBB1966_1141:                          ;   in Loop: Header=BB1966_982 Depth=2
	ds_load_u16 v60, v93 offset:7168
	s_wait_dscnt 0x0
	v_cmp_ne_u16_e64 s27, 0x8000, v60
	s_delay_alu instid0(VALU_DEP_1) | instskip(SKIP_1) | instid1(VALU_DEP_2)
	v_cndmask_b32_e64 v61, 0x7fff, v60, s27
	v_cmp_gt_i16_e64 s27, 0, v60
	v_and_b32_e32 v61, 0xffff, v61
	s_delay_alu instid0(VALU_DEP_2) | instskip(NEXT) | instid1(VALU_DEP_1)
	v_cndmask_b32_e64 v140, 0x7fff, 0, s27
	v_dual_lshrrev_b32 v61, s49, v61 :: v_dual_bitop2_b32 v60, v140, v60 bitop3:0x14
	s_delay_alu instid0(VALU_DEP_1) | instskip(NEXT) | instid1(VALU_DEP_1)
	v_and_b32_e32 v61, s52, v61
	v_lshlrev_b32_e32 v61, 2, v61
	ds_load_b32 v61, v61
	s_wait_dscnt 0x0
	v_add_nc_u32_e32 v61, v61, v79
	global_store_b16 v61, v60, s[40:41] scale_offset
	s_wait_xcnt 0x0
	s_or_b32 exec_lo, exec_lo, s28
	v_cmp_lt_u32_e64 s27, v80, v139
	s_and_saveexec_b32 s29, s27
	s_cbranch_execz .LBB1966_1074
.LBB1966_1142:                          ;   in Loop: Header=BB1966_982 Depth=2
	ds_load_u16 v60, v93 offset:7680
	s_wait_dscnt 0x0
	v_cmp_ne_u16_e64 s28, 0x8000, v60
	s_delay_alu instid0(VALU_DEP_1) | instskip(SKIP_1) | instid1(VALU_DEP_2)
	v_cndmask_b32_e64 v61, 0x7fff, v60, s28
	v_cmp_gt_i16_e64 s28, 0, v60
	v_and_b32_e32 v61, 0xffff, v61
	s_delay_alu instid0(VALU_DEP_2) | instskip(NEXT) | instid1(VALU_DEP_1)
	v_cndmask_b32_e64 v140, 0x7fff, 0, s28
	v_dual_lshrrev_b32 v61, s49, v61 :: v_dual_bitop2_b32 v60, v140, v60 bitop3:0x14
	s_delay_alu instid0(VALU_DEP_1) | instskip(NEXT) | instid1(VALU_DEP_1)
	v_and_b32_e32 v61, s52, v61
	v_lshlrev_b32_e32 v61, 2, v61
	ds_load_b32 v61, v61
	s_wait_dscnt 0x0
	v_add_nc_u32_e32 v61, v61, v80
	global_store_b16 v61, v60, s[40:41] scale_offset
	s_wait_xcnt 0x0
	s_or_b32 exec_lo, exec_lo, s29
	v_cmp_lt_u32_e64 s28, v81, v139
	s_and_saveexec_b32 s30, s28
	s_cbranch_execz .LBB1966_1075
.LBB1966_1143:                          ;   in Loop: Header=BB1966_982 Depth=2
	ds_load_u16 v60, v93 offset:8192
	s_wait_dscnt 0x0
	v_cmp_ne_u16_e64 s29, 0x8000, v60
	s_delay_alu instid0(VALU_DEP_1) | instskip(SKIP_1) | instid1(VALU_DEP_2)
	v_cndmask_b32_e64 v61, 0x7fff, v60, s29
	v_cmp_gt_i16_e64 s29, 0, v60
	v_and_b32_e32 v61, 0xffff, v61
	s_delay_alu instid0(VALU_DEP_2) | instskip(NEXT) | instid1(VALU_DEP_1)
	v_cndmask_b32_e64 v140, 0x7fff, 0, s29
	v_dual_lshrrev_b32 v61, s49, v61 :: v_dual_bitop2_b32 v60, v140, v60 bitop3:0x14
	s_delay_alu instid0(VALU_DEP_1) | instskip(NEXT) | instid1(VALU_DEP_1)
	v_and_b32_e32 v61, s52, v61
	v_lshlrev_b32_e32 v61, 2, v61
	ds_load_b32 v61, v61
	s_wait_dscnt 0x0
	v_add_nc_u32_e32 v61, v61, v81
	global_store_b16 v61, v60, s[40:41] scale_offset
	s_wait_xcnt 0x0
	s_or_b32 exec_lo, exec_lo, s30
	v_cmp_lt_u32_e64 s29, v82, v139
	s_and_saveexec_b32 s58, s29
	s_cbranch_execnz .LBB1966_1076
	s_branch .LBB1966_1077
.LBB1966_1144:                          ;   in Loop: Header=BB1966_982 Depth=2
	global_load_b64 v[58:59], v[60:61], off
	s_wait_xcnt 0x0
	s_or_b32 exec_lo, exec_lo, s30
	s_delay_alu instid0(SALU_CYCLE_1)
	s_mov_b32 s42, exec_lo
	v_cmpx_lt_u32_e64 v103, v139
	s_cbranch_execz .LBB1966_1079
.LBB1966_1145:                          ;   in Loop: Header=BB1966_982 Depth=2
	global_load_b64 v[56:57], v[60:61], off offset:256
	s_wait_xcnt 0x0
	s_or_b32 exec_lo, exec_lo, s42
	s_delay_alu instid0(SALU_CYCLE_1)
	s_mov_b32 s42, exec_lo
	v_cmpx_lt_u32_e64 v104, v139
	s_cbranch_execz .LBB1966_1080
.LBB1966_1146:                          ;   in Loop: Header=BB1966_982 Depth=2
	global_load_b64 v[54:55], v[60:61], off offset:512
	s_wait_xcnt 0x0
	s_or_b32 exec_lo, exec_lo, s42
	s_delay_alu instid0(SALU_CYCLE_1)
	s_mov_b32 s42, exec_lo
	v_cmpx_lt_u32_e64 v105, v139
	s_cbranch_execz .LBB1966_1081
.LBB1966_1147:                          ;   in Loop: Header=BB1966_982 Depth=2
	global_load_b64 v[52:53], v[60:61], off offset:768
	s_wait_xcnt 0x0
	s_or_b32 exec_lo, exec_lo, s42
	s_delay_alu instid0(SALU_CYCLE_1)
	s_mov_b32 s42, exec_lo
	v_cmpx_lt_u32_e64 v106, v139
	s_cbranch_execz .LBB1966_1082
.LBB1966_1148:                          ;   in Loop: Header=BB1966_982 Depth=2
	global_load_b64 v[50:51], v[60:61], off offset:1024
	s_wait_xcnt 0x0
	s_or_b32 exec_lo, exec_lo, s42
	s_delay_alu instid0(SALU_CYCLE_1)
	s_mov_b32 s42, exec_lo
	v_cmpx_lt_u32_e64 v107, v139
	s_cbranch_execz .LBB1966_1083
.LBB1966_1149:                          ;   in Loop: Header=BB1966_982 Depth=2
	global_load_b64 v[48:49], v[60:61], off offset:1280
	s_wait_xcnt 0x0
	s_or_b32 exec_lo, exec_lo, s42
	s_delay_alu instid0(SALU_CYCLE_1)
	s_mov_b32 s42, exec_lo
	v_cmpx_lt_u32_e64 v108, v139
	s_cbranch_execz .LBB1966_1084
.LBB1966_1150:                          ;   in Loop: Header=BB1966_982 Depth=2
	global_load_b64 v[46:47], v[60:61], off offset:1536
	s_wait_xcnt 0x0
	s_or_b32 exec_lo, exec_lo, s42
	s_delay_alu instid0(SALU_CYCLE_1)
	s_mov_b32 s42, exec_lo
	v_cmpx_lt_u32_e64 v109, v139
	s_cbranch_execz .LBB1966_1085
.LBB1966_1151:                          ;   in Loop: Header=BB1966_982 Depth=2
	global_load_b64 v[44:45], v[60:61], off offset:1792
	s_wait_xcnt 0x0
	s_or_b32 exec_lo, exec_lo, s42
	s_delay_alu instid0(SALU_CYCLE_1)
	s_mov_b32 s42, exec_lo
	v_cmpx_lt_u32_e64 v110, v139
	s_cbranch_execz .LBB1966_1086
.LBB1966_1152:                          ;   in Loop: Header=BB1966_982 Depth=2
	global_load_b64 v[42:43], v[60:61], off offset:2048
	s_wait_xcnt 0x0
	s_or_b32 exec_lo, exec_lo, s42
	s_delay_alu instid0(SALU_CYCLE_1)
	s_mov_b32 s42, exec_lo
	v_cmpx_lt_u32_e64 v111, v139
	s_cbranch_execz .LBB1966_1087
.LBB1966_1153:                          ;   in Loop: Header=BB1966_982 Depth=2
	global_load_b64 v[40:41], v[60:61], off offset:2304
	s_wait_xcnt 0x0
	s_or_b32 exec_lo, exec_lo, s42
	s_delay_alu instid0(SALU_CYCLE_1)
	s_mov_b32 s42, exec_lo
	v_cmpx_lt_u32_e64 v112, v139
	s_cbranch_execz .LBB1966_1088
.LBB1966_1154:                          ;   in Loop: Header=BB1966_982 Depth=2
	global_load_b64 v[38:39], v[60:61], off offset:2560
	s_wait_xcnt 0x0
	s_or_b32 exec_lo, exec_lo, s42
	s_delay_alu instid0(SALU_CYCLE_1)
	s_mov_b32 s42, exec_lo
	v_cmpx_lt_u32_e64 v113, v139
	s_cbranch_execz .LBB1966_1089
.LBB1966_1155:                          ;   in Loop: Header=BB1966_982 Depth=2
	global_load_b64 v[36:37], v[60:61], off offset:2816
	s_wait_xcnt 0x0
	s_or_b32 exec_lo, exec_lo, s42
	s_delay_alu instid0(SALU_CYCLE_1)
	s_mov_b32 s42, exec_lo
	v_cmpx_lt_u32_e64 v114, v139
	s_cbranch_execz .LBB1966_1090
.LBB1966_1156:                          ;   in Loop: Header=BB1966_982 Depth=2
	global_load_b64 v[34:35], v[60:61], off offset:3072
	s_wait_xcnt 0x0
	s_or_b32 exec_lo, exec_lo, s42
	s_delay_alu instid0(SALU_CYCLE_1)
	s_mov_b32 s42, exec_lo
	v_cmpx_lt_u32_e64 v115, v139
	s_cbranch_execz .LBB1966_1091
.LBB1966_1157:                          ;   in Loop: Header=BB1966_982 Depth=2
	global_load_b64 v[32:33], v[60:61], off offset:3328
	s_wait_xcnt 0x0
	s_or_b32 exec_lo, exec_lo, s42
	s_delay_alu instid0(SALU_CYCLE_1)
	s_mov_b32 s42, exec_lo
	v_cmpx_lt_u32_e64 v116, v139
	s_cbranch_execz .LBB1966_1092
.LBB1966_1158:                          ;   in Loop: Header=BB1966_982 Depth=2
	global_load_b64 v[30:31], v[60:61], off offset:3584
	s_wait_xcnt 0x0
	s_or_b32 exec_lo, exec_lo, s42
	s_delay_alu instid0(SALU_CYCLE_1)
	s_mov_b32 s42, exec_lo
	v_cmpx_lt_u32_e64 v117, v139
	s_cbranch_execz .LBB1966_1093
.LBB1966_1159:                          ;   in Loop: Header=BB1966_982 Depth=2
	global_load_b64 v[28:29], v[60:61], off offset:3840
	s_wait_xcnt 0x0
	s_or_b32 exec_lo, exec_lo, s42
	s_and_saveexec_b32 s42, vcc_lo
	s_cbranch_execz .LBB1966_1094
.LBB1966_1160:                          ;   in Loop: Header=BB1966_982 Depth=2
	ds_load_u16 v60, v93 offset:1024
	s_wait_dscnt 0x0
	v_cmp_ne_u16_e64 s30, 0x8000, v60
	s_delay_alu instid0(VALU_DEP_1) | instskip(NEXT) | instid1(VALU_DEP_1)
	v_cndmask_b32_e64 v60, 0x7fff, v60, s30
	v_and_b32_e32 v60, 0xffff, v60
	s_delay_alu instid0(VALU_DEP_1) | instskip(NEXT) | instid1(VALU_DEP_1)
	v_lshrrev_b32_e32 v60, s49, v60
	v_and_b32_e32 v138, s52, v60
	s_or_b32 exec_lo, exec_lo, s42
	s_and_saveexec_b32 s42, s15
	s_cbranch_execz .LBB1966_1095
.LBB1966_1161:                          ;   in Loop: Header=BB1966_982 Depth=2
	ds_load_u16 v60, v93 offset:1536
	s_wait_dscnt 0x0
	v_cmp_ne_u16_e64 s30, 0x8000, v60
	s_delay_alu instid0(VALU_DEP_1) | instskip(NEXT) | instid1(VALU_DEP_1)
	v_cndmask_b32_e64 v60, 0x7fff, v60, s30
	v_and_b32_e32 v60, 0xffff, v60
	s_delay_alu instid0(VALU_DEP_1) | instskip(NEXT) | instid1(VALU_DEP_1)
	v_lshrrev_b32_e32 v60, s49, v60
	v_and_b32_e32 v137, s52, v60
	s_or_b32 exec_lo, exec_lo, s42
	s_and_saveexec_b32 s42, s16
	s_cbranch_execz .LBB1966_1096
.LBB1966_1162:                          ;   in Loop: Header=BB1966_982 Depth=2
	ds_load_u16 v60, v93 offset:2048
	s_wait_dscnt 0x0
	v_cmp_ne_u16_e64 s30, 0x8000, v60
	s_delay_alu instid0(VALU_DEP_1) | instskip(NEXT) | instid1(VALU_DEP_1)
	v_cndmask_b32_e64 v60, 0x7fff, v60, s30
	v_and_b32_e32 v60, 0xffff, v60
	s_delay_alu instid0(VALU_DEP_1) | instskip(NEXT) | instid1(VALU_DEP_1)
	v_lshrrev_b32_e32 v60, s49, v60
	v_and_b32_e32 v136, s52, v60
	s_or_b32 exec_lo, exec_lo, s42
	s_and_saveexec_b32 s42, s17
	s_cbranch_execz .LBB1966_1097
.LBB1966_1163:                          ;   in Loop: Header=BB1966_982 Depth=2
	ds_load_u16 v60, v93 offset:2560
	s_wait_dscnt 0x0
	v_cmp_ne_u16_e64 s30, 0x8000, v60
	s_delay_alu instid0(VALU_DEP_1) | instskip(NEXT) | instid1(VALU_DEP_1)
	v_cndmask_b32_e64 v60, 0x7fff, v60, s30
	v_and_b32_e32 v60, 0xffff, v60
	s_delay_alu instid0(VALU_DEP_1) | instskip(NEXT) | instid1(VALU_DEP_1)
	v_lshrrev_b32_e32 v60, s49, v60
	v_and_b32_e32 v135, s52, v60
	s_or_b32 exec_lo, exec_lo, s42
	s_and_saveexec_b32 s42, s18
	s_cbranch_execz .LBB1966_1098
.LBB1966_1164:                          ;   in Loop: Header=BB1966_982 Depth=2
	ds_load_u16 v60, v93 offset:3072
	s_wait_dscnt 0x0
	v_cmp_ne_u16_e64 s30, 0x8000, v60
	s_delay_alu instid0(VALU_DEP_1) | instskip(NEXT) | instid1(VALU_DEP_1)
	v_cndmask_b32_e64 v60, 0x7fff, v60, s30
	v_and_b32_e32 v60, 0xffff, v60
	s_delay_alu instid0(VALU_DEP_1) | instskip(NEXT) | instid1(VALU_DEP_1)
	v_lshrrev_b32_e32 v60, s49, v60
	v_and_b32_e32 v134, s52, v60
	s_or_b32 exec_lo, exec_lo, s42
	s_and_saveexec_b32 s42, s19
	s_cbranch_execz .LBB1966_1099
.LBB1966_1165:                          ;   in Loop: Header=BB1966_982 Depth=2
	ds_load_u16 v60, v93 offset:3584
	s_wait_dscnt 0x0
	v_cmp_ne_u16_e64 s30, 0x8000, v60
	s_delay_alu instid0(VALU_DEP_1) | instskip(NEXT) | instid1(VALU_DEP_1)
	v_cndmask_b32_e64 v60, 0x7fff, v60, s30
	v_and_b32_e32 v60, 0xffff, v60
	s_delay_alu instid0(VALU_DEP_1) | instskip(NEXT) | instid1(VALU_DEP_1)
	v_lshrrev_b32_e32 v60, s49, v60
	v_and_b32_e32 v133, s52, v60
	s_or_b32 exec_lo, exec_lo, s42
	s_and_saveexec_b32 s42, s20
	s_cbranch_execz .LBB1966_1100
.LBB1966_1166:                          ;   in Loop: Header=BB1966_982 Depth=2
	ds_load_u16 v60, v93 offset:4096
	s_wait_dscnt 0x0
	v_cmp_ne_u16_e64 s30, 0x8000, v60
	s_delay_alu instid0(VALU_DEP_1) | instskip(NEXT) | instid1(VALU_DEP_1)
	v_cndmask_b32_e64 v60, 0x7fff, v60, s30
	v_and_b32_e32 v60, 0xffff, v60
	s_delay_alu instid0(VALU_DEP_1) | instskip(NEXT) | instid1(VALU_DEP_1)
	v_lshrrev_b32_e32 v60, s49, v60
	v_and_b32_e32 v132, s52, v60
	s_or_b32 exec_lo, exec_lo, s42
	s_and_saveexec_b32 s42, s21
	s_cbranch_execz .LBB1966_1101
.LBB1966_1167:                          ;   in Loop: Header=BB1966_982 Depth=2
	ds_load_u16 v60, v93 offset:4608
	s_wait_dscnt 0x0
	v_cmp_ne_u16_e64 s30, 0x8000, v60
	s_delay_alu instid0(VALU_DEP_1) | instskip(NEXT) | instid1(VALU_DEP_1)
	v_cndmask_b32_e64 v60, 0x7fff, v60, s30
	v_and_b32_e32 v60, 0xffff, v60
	s_delay_alu instid0(VALU_DEP_1) | instskip(NEXT) | instid1(VALU_DEP_1)
	v_lshrrev_b32_e32 v60, s49, v60
	v_and_b32_e32 v131, s52, v60
	s_or_b32 exec_lo, exec_lo, s42
	s_and_saveexec_b32 s42, s22
	s_cbranch_execz .LBB1966_1102
.LBB1966_1168:                          ;   in Loop: Header=BB1966_982 Depth=2
	ds_load_u16 v60, v93 offset:5120
	s_wait_dscnt 0x0
	v_cmp_ne_u16_e64 s30, 0x8000, v60
	s_delay_alu instid0(VALU_DEP_1) | instskip(NEXT) | instid1(VALU_DEP_1)
	v_cndmask_b32_e64 v60, 0x7fff, v60, s30
	v_and_b32_e32 v60, 0xffff, v60
	s_delay_alu instid0(VALU_DEP_1) | instskip(NEXT) | instid1(VALU_DEP_1)
	v_lshrrev_b32_e32 v60, s49, v60
	v_and_b32_e32 v130, s52, v60
	s_or_b32 exec_lo, exec_lo, s42
	s_and_saveexec_b32 s42, s23
	s_cbranch_execz .LBB1966_1103
.LBB1966_1169:                          ;   in Loop: Header=BB1966_982 Depth=2
	ds_load_u16 v60, v93 offset:5632
	s_wait_dscnt 0x0
	v_cmp_ne_u16_e64 s30, 0x8000, v60
	s_delay_alu instid0(VALU_DEP_1) | instskip(NEXT) | instid1(VALU_DEP_1)
	v_cndmask_b32_e64 v60, 0x7fff, v60, s30
	v_and_b32_e32 v60, 0xffff, v60
	s_delay_alu instid0(VALU_DEP_1) | instskip(NEXT) | instid1(VALU_DEP_1)
	v_lshrrev_b32_e32 v60, s49, v60
	v_and_b32_e32 v129, s52, v60
	s_or_b32 exec_lo, exec_lo, s42
	s_and_saveexec_b32 s42, s24
	s_cbranch_execz .LBB1966_1104
.LBB1966_1170:                          ;   in Loop: Header=BB1966_982 Depth=2
	ds_load_u16 v60, v93 offset:6144
	s_wait_dscnt 0x0
	v_cmp_ne_u16_e64 s30, 0x8000, v60
	s_delay_alu instid0(VALU_DEP_1) | instskip(NEXT) | instid1(VALU_DEP_1)
	v_cndmask_b32_e64 v60, 0x7fff, v60, s30
	v_and_b32_e32 v60, 0xffff, v60
	s_delay_alu instid0(VALU_DEP_1) | instskip(NEXT) | instid1(VALU_DEP_1)
	v_lshrrev_b32_e32 v60, s49, v60
	v_and_b32_e32 v128, s52, v60
	s_or_b32 exec_lo, exec_lo, s42
	s_and_saveexec_b32 s42, s25
	s_cbranch_execz .LBB1966_1105
.LBB1966_1171:                          ;   in Loop: Header=BB1966_982 Depth=2
	ds_load_u16 v60, v93 offset:6656
	s_wait_dscnt 0x0
	v_cmp_ne_u16_e64 s30, 0x8000, v60
	s_delay_alu instid0(VALU_DEP_1) | instskip(NEXT) | instid1(VALU_DEP_1)
	v_cndmask_b32_e64 v60, 0x7fff, v60, s30
	v_and_b32_e32 v60, 0xffff, v60
	s_delay_alu instid0(VALU_DEP_1) | instskip(NEXT) | instid1(VALU_DEP_1)
	v_lshrrev_b32_e32 v60, s49, v60
	v_and_b32_e32 v127, s52, v60
	s_or_b32 exec_lo, exec_lo, s42
	s_and_saveexec_b32 s42, s26
	s_cbranch_execz .LBB1966_1106
.LBB1966_1172:                          ;   in Loop: Header=BB1966_982 Depth=2
	ds_load_u16 v60, v93 offset:7168
	s_wait_dscnt 0x0
	v_cmp_ne_u16_e64 s30, 0x8000, v60
	s_delay_alu instid0(VALU_DEP_1) | instskip(NEXT) | instid1(VALU_DEP_1)
	v_cndmask_b32_e64 v60, 0x7fff, v60, s30
	v_and_b32_e32 v60, 0xffff, v60
	s_delay_alu instid0(VALU_DEP_1) | instskip(NEXT) | instid1(VALU_DEP_1)
	v_lshrrev_b32_e32 v60, s49, v60
	v_and_b32_e32 v126, s52, v60
	s_or_b32 exec_lo, exec_lo, s42
	s_and_saveexec_b32 s42, s27
	s_cbranch_execz .LBB1966_1107
.LBB1966_1173:                          ;   in Loop: Header=BB1966_982 Depth=2
	ds_load_u16 v60, v93 offset:7680
	s_wait_dscnt 0x0
	v_cmp_ne_u16_e64 s30, 0x8000, v60
	s_delay_alu instid0(VALU_DEP_1) | instskip(NEXT) | instid1(VALU_DEP_1)
	v_cndmask_b32_e64 v60, 0x7fff, v60, s30
	v_and_b32_e32 v60, 0xffff, v60
	s_delay_alu instid0(VALU_DEP_1) | instskip(NEXT) | instid1(VALU_DEP_1)
	v_lshrrev_b32_e32 v60, s49, v60
	v_and_b32_e32 v125, s52, v60
	s_or_b32 exec_lo, exec_lo, s42
	s_and_saveexec_b32 s42, s28
	s_cbranch_execz .LBB1966_1108
.LBB1966_1174:                          ;   in Loop: Header=BB1966_982 Depth=2
	ds_load_u16 v60, v93 offset:8192
	s_wait_dscnt 0x0
	v_cmp_ne_u16_e64 s30, 0x8000, v60
	s_delay_alu instid0(VALU_DEP_1) | instskip(NEXT) | instid1(VALU_DEP_1)
	v_cndmask_b32_e64 v60, 0x7fff, v60, s30
	v_and_b32_e32 v60, 0xffff, v60
	s_delay_alu instid0(VALU_DEP_1) | instskip(NEXT) | instid1(VALU_DEP_1)
	v_lshrrev_b32_e32 v60, s49, v60
	v_and_b32_e32 v124, s52, v60
	s_or_b32 exec_lo, exec_lo, s42
	s_and_saveexec_b32 s42, s29
	s_cbranch_execnz .LBB1966_1109
	s_branch .LBB1966_1110
.LBB1966_1175:                          ;   in Loop: Header=BB1966_982 Depth=2
	v_lshlrev_b32_e32 v61, 2, v138
	ds_load_b32 v61, v61
	ds_load_b64 v[64:65], v60 offset:1024
	s_wait_dscnt 0x1
	v_add_nc_u32_e32 v61, v61, v2
	s_wait_dscnt 0x0
	global_store_b64 v61, v[64:65], s[46:47] scale_offset
	s_wait_xcnt 0x0
	s_or_b32 exec_lo, exec_lo, s30
	s_and_saveexec_b32 s30, s15
	s_cbranch_execz .LBB1966_1112
.LBB1966_1176:                          ;   in Loop: Header=BB1966_982 Depth=2
	v_lshlrev_b32_e32 v61, 2, v137
	ds_load_b32 v61, v61
	ds_load_b64 v[64:65], v60 offset:3072
	s_wait_dscnt 0x1
	v_add_nc_u32_e32 v61, v61, v68
	s_wait_dscnt 0x0
	global_store_b64 v61, v[64:65], s[46:47] scale_offset
	s_wait_xcnt 0x0
	s_or_b32 exec_lo, exec_lo, s30
	s_and_saveexec_b32 s15, s16
	s_cbranch_execz .LBB1966_1113
.LBB1966_1177:                          ;   in Loop: Header=BB1966_982 Depth=2
	v_lshlrev_b32_e32 v61, 2, v136
	ds_load_b32 v61, v61
	ds_load_b64 v[64:65], v60 offset:5120
	s_wait_dscnt 0x1
	v_add_nc_u32_e32 v61, v61, v69
	s_wait_dscnt 0x0
	global_store_b64 v61, v[64:65], s[46:47] scale_offset
	s_wait_xcnt 0x0
	s_or_b32 exec_lo, exec_lo, s15
	s_and_saveexec_b32 s15, s17
	s_cbranch_execz .LBB1966_1114
.LBB1966_1178:                          ;   in Loop: Header=BB1966_982 Depth=2
	v_lshlrev_b32_e32 v61, 2, v135
	ds_load_b32 v61, v61
	ds_load_b64 v[64:65], v60 offset:7168
	s_wait_dscnt 0x1
	v_add_nc_u32_e32 v61, v61, v70
	s_wait_dscnt 0x0
	global_store_b64 v61, v[64:65], s[46:47] scale_offset
	s_wait_xcnt 0x0
	s_or_b32 exec_lo, exec_lo, s15
	s_and_saveexec_b32 s15, s18
	s_cbranch_execz .LBB1966_1115
.LBB1966_1179:                          ;   in Loop: Header=BB1966_982 Depth=2
	v_lshlrev_b32_e32 v61, 2, v134
	ds_load_b32 v61, v61
	ds_load_b64 v[64:65], v60 offset:9216
	s_wait_dscnt 0x1
	v_add_nc_u32_e32 v61, v61, v71
	s_wait_dscnt 0x0
	global_store_b64 v61, v[64:65], s[46:47] scale_offset
	s_wait_xcnt 0x0
	s_or_b32 exec_lo, exec_lo, s15
	s_and_saveexec_b32 s15, s19
	s_cbranch_execz .LBB1966_1116
.LBB1966_1180:                          ;   in Loop: Header=BB1966_982 Depth=2
	v_lshlrev_b32_e32 v61, 2, v133
	ds_load_b32 v61, v61
	ds_load_b64 v[64:65], v60 offset:11264
	s_wait_dscnt 0x1
	v_add_nc_u32_e32 v61, v61, v72
	s_wait_dscnt 0x0
	global_store_b64 v61, v[64:65], s[46:47] scale_offset
	s_wait_xcnt 0x0
	s_or_b32 exec_lo, exec_lo, s15
	s_and_saveexec_b32 s15, s20
	s_cbranch_execz .LBB1966_1117
.LBB1966_1181:                          ;   in Loop: Header=BB1966_982 Depth=2
	v_lshlrev_b32_e32 v61, 2, v132
	ds_load_b32 v61, v61
	ds_load_b64 v[64:65], v60 offset:13312
	s_wait_dscnt 0x1
	v_add_nc_u32_e32 v61, v61, v73
	s_wait_dscnt 0x0
	global_store_b64 v61, v[64:65], s[46:47] scale_offset
	s_wait_xcnt 0x0
	s_or_b32 exec_lo, exec_lo, s15
	s_and_saveexec_b32 s15, s21
	s_cbranch_execz .LBB1966_1118
.LBB1966_1182:                          ;   in Loop: Header=BB1966_982 Depth=2
	v_lshlrev_b32_e32 v61, 2, v131
	ds_load_b32 v61, v61
	ds_load_b64 v[64:65], v60 offset:15360
	s_wait_dscnt 0x1
	v_add_nc_u32_e32 v61, v61, v74
	s_wait_dscnt 0x0
	global_store_b64 v61, v[64:65], s[46:47] scale_offset
	s_wait_xcnt 0x0
	s_or_b32 exec_lo, exec_lo, s15
	s_and_saveexec_b32 s15, s22
	s_cbranch_execz .LBB1966_1119
.LBB1966_1183:                          ;   in Loop: Header=BB1966_982 Depth=2
	v_lshlrev_b32_e32 v61, 2, v130
	ds_load_b32 v61, v61
	ds_load_b64 v[64:65], v60 offset:17408
	s_wait_dscnt 0x1
	v_add_nc_u32_e32 v61, v61, v75
	s_wait_dscnt 0x0
	global_store_b64 v61, v[64:65], s[46:47] scale_offset
	s_wait_xcnt 0x0
	s_or_b32 exec_lo, exec_lo, s15
	s_and_saveexec_b32 s15, s23
	s_cbranch_execz .LBB1966_1120
.LBB1966_1184:                          ;   in Loop: Header=BB1966_982 Depth=2
	v_lshlrev_b32_e32 v61, 2, v129
	ds_load_b32 v61, v61
	ds_load_b64 v[64:65], v60 offset:19456
	s_wait_dscnt 0x1
	v_add_nc_u32_e32 v61, v61, v76
	s_wait_dscnt 0x0
	global_store_b64 v61, v[64:65], s[46:47] scale_offset
	s_wait_xcnt 0x0
	s_or_b32 exec_lo, exec_lo, s15
	s_and_saveexec_b32 s15, s24
	s_cbranch_execz .LBB1966_1121
.LBB1966_1185:                          ;   in Loop: Header=BB1966_982 Depth=2
	v_lshlrev_b32_e32 v61, 2, v128
	ds_load_b32 v61, v61
	ds_load_b64 v[64:65], v60 offset:21504
	s_wait_dscnt 0x1
	v_add_nc_u32_e32 v61, v61, v77
	s_wait_dscnt 0x0
	global_store_b64 v61, v[64:65], s[46:47] scale_offset
	s_wait_xcnt 0x0
	s_or_b32 exec_lo, exec_lo, s15
	s_and_saveexec_b32 s15, s25
	s_cbranch_execz .LBB1966_1122
.LBB1966_1186:                          ;   in Loop: Header=BB1966_982 Depth=2
	v_lshlrev_b32_e32 v61, 2, v127
	ds_load_b32 v61, v61
	ds_load_b64 v[64:65], v60 offset:23552
	s_wait_dscnt 0x1
	v_add_nc_u32_e32 v61, v61, v78
	s_wait_dscnt 0x0
	global_store_b64 v61, v[64:65], s[46:47] scale_offset
	s_wait_xcnt 0x0
	s_or_b32 exec_lo, exec_lo, s15
	s_and_saveexec_b32 s15, s26
	s_cbranch_execz .LBB1966_1123
.LBB1966_1187:                          ;   in Loop: Header=BB1966_982 Depth=2
	v_lshlrev_b32_e32 v61, 2, v126
	ds_load_b32 v61, v61
	ds_load_b64 v[64:65], v60 offset:25600
	s_wait_dscnt 0x1
	v_add_nc_u32_e32 v61, v61, v79
	s_wait_dscnt 0x0
	global_store_b64 v61, v[64:65], s[46:47] scale_offset
	s_wait_xcnt 0x0
	s_or_b32 exec_lo, exec_lo, s15
	s_and_saveexec_b32 s15, s27
	s_cbranch_execz .LBB1966_1124
.LBB1966_1188:                          ;   in Loop: Header=BB1966_982 Depth=2
	v_lshlrev_b32_e32 v61, 2, v125
	ds_load_b32 v61, v61
	ds_load_b64 v[64:65], v60 offset:27648
	s_wait_dscnt 0x1
	v_add_nc_u32_e32 v61, v61, v80
	s_wait_dscnt 0x0
	global_store_b64 v61, v[64:65], s[46:47] scale_offset
	s_wait_xcnt 0x0
	s_or_b32 exec_lo, exec_lo, s15
	s_and_saveexec_b32 s15, s28
	s_cbranch_execz .LBB1966_1125
.LBB1966_1189:                          ;   in Loop: Header=BB1966_982 Depth=2
	v_lshlrev_b32_e32 v61, 2, v124
	ds_load_b32 v61, v61
	ds_load_b64 v[64:65], v60 offset:29696
	s_wait_dscnt 0x1
	v_add_nc_u32_e32 v61, v61, v81
	s_wait_dscnt 0x0
	global_store_b64 v61, v[64:65], s[46:47] scale_offset
	s_wait_xcnt 0x0
	s_or_b32 exec_lo, exec_lo, s15
	s_and_saveexec_b32 s15, s29
	s_cbranch_execnz .LBB1966_1126
	s_branch .LBB1966_1127
.LBB1966_1190:
	s_endpgm
	.section	.rodata,"a",@progbits
	.p2align	6, 0x0
	.amdhsa_kernel _ZN7rocprim17ROCPRIM_400000_NS6detail17trampoline_kernelINS0_14default_configENS1_36segmented_radix_sort_config_selectorI12hip_bfloat16lEEZNS1_25segmented_radix_sort_implIS3_Lb1EPKS5_PS5_PKlPlN2at6native12_GLOBAL__N_18offset_tEEE10hipError_tPvRmT1_PNSt15iterator_traitsISL_E10value_typeET2_T3_PNSM_ISR_E10value_typeET4_jRbjT5_SX_jjP12ihipStream_tbEUlT_E2_NS1_11comp_targetILNS1_3genE0ELNS1_11target_archE4294967295ELNS1_3gpuE0ELNS1_3repE0EEENS1_30default_config_static_selectorELNS0_4arch9wavefront6targetE0EEEvSL_
		.amdhsa_group_segment_fixed_size 33824
		.amdhsa_private_segment_fixed_size 0
		.amdhsa_kernarg_size 336
		.amdhsa_user_sgpr_count 4
		.amdhsa_user_sgpr_dispatch_ptr 0
		.amdhsa_user_sgpr_queue_ptr 1
		.amdhsa_user_sgpr_kernarg_segment_ptr 1
		.amdhsa_user_sgpr_dispatch_id 0
		.amdhsa_user_sgpr_kernarg_preload_length 0
		.amdhsa_user_sgpr_kernarg_preload_offset 0
		.amdhsa_user_sgpr_private_segment_size 0
		.amdhsa_wavefront_size32 1
		.amdhsa_uses_dynamic_stack 0
		.amdhsa_enable_private_segment 0
		.amdhsa_system_sgpr_workgroup_id_x 1
		.amdhsa_system_sgpr_workgroup_id_y 1
		.amdhsa_system_sgpr_workgroup_id_z 0
		.amdhsa_system_sgpr_workgroup_info 0
		.amdhsa_system_vgpr_workitem_id 2
		.amdhsa_next_free_vgpr 304
		.amdhsa_next_free_sgpr 59
		.amdhsa_named_barrier_count 0
		.amdhsa_reserve_vcc 1
		.amdhsa_float_round_mode_32 0
		.amdhsa_float_round_mode_16_64 0
		.amdhsa_float_denorm_mode_32 3
		.amdhsa_float_denorm_mode_16_64 3
		.amdhsa_fp16_overflow 0
		.amdhsa_memory_ordered 1
		.amdhsa_forward_progress 1
		.amdhsa_inst_pref_size 255
		.amdhsa_round_robin_scheduling 0
		.amdhsa_exception_fp_ieee_invalid_op 0
		.amdhsa_exception_fp_denorm_src 0
		.amdhsa_exception_fp_ieee_div_zero 0
		.amdhsa_exception_fp_ieee_overflow 0
		.amdhsa_exception_fp_ieee_underflow 0
		.amdhsa_exception_fp_ieee_inexact 0
		.amdhsa_exception_int_div_zero 0
	.end_amdhsa_kernel
	.section	.text._ZN7rocprim17ROCPRIM_400000_NS6detail17trampoline_kernelINS0_14default_configENS1_36segmented_radix_sort_config_selectorI12hip_bfloat16lEEZNS1_25segmented_radix_sort_implIS3_Lb1EPKS5_PS5_PKlPlN2at6native12_GLOBAL__N_18offset_tEEE10hipError_tPvRmT1_PNSt15iterator_traitsISL_E10value_typeET2_T3_PNSM_ISR_E10value_typeET4_jRbjT5_SX_jjP12ihipStream_tbEUlT_E2_NS1_11comp_targetILNS1_3genE0ELNS1_11target_archE4294967295ELNS1_3gpuE0ELNS1_3repE0EEENS1_30default_config_static_selectorELNS0_4arch9wavefront6targetE0EEEvSL_,"axG",@progbits,_ZN7rocprim17ROCPRIM_400000_NS6detail17trampoline_kernelINS0_14default_configENS1_36segmented_radix_sort_config_selectorI12hip_bfloat16lEEZNS1_25segmented_radix_sort_implIS3_Lb1EPKS5_PS5_PKlPlN2at6native12_GLOBAL__N_18offset_tEEE10hipError_tPvRmT1_PNSt15iterator_traitsISL_E10value_typeET2_T3_PNSM_ISR_E10value_typeET4_jRbjT5_SX_jjP12ihipStream_tbEUlT_E2_NS1_11comp_targetILNS1_3genE0ELNS1_11target_archE4294967295ELNS1_3gpuE0ELNS1_3repE0EEENS1_30default_config_static_selectorELNS0_4arch9wavefront6targetE0EEEvSL_,comdat
.Lfunc_end1966:
	.size	_ZN7rocprim17ROCPRIM_400000_NS6detail17trampoline_kernelINS0_14default_configENS1_36segmented_radix_sort_config_selectorI12hip_bfloat16lEEZNS1_25segmented_radix_sort_implIS3_Lb1EPKS5_PS5_PKlPlN2at6native12_GLOBAL__N_18offset_tEEE10hipError_tPvRmT1_PNSt15iterator_traitsISL_E10value_typeET2_T3_PNSM_ISR_E10value_typeET4_jRbjT5_SX_jjP12ihipStream_tbEUlT_E2_NS1_11comp_targetILNS1_3genE0ELNS1_11target_archE4294967295ELNS1_3gpuE0ELNS1_3repE0EEENS1_30default_config_static_selectorELNS0_4arch9wavefront6targetE0EEEvSL_, .Lfunc_end1966-_ZN7rocprim17ROCPRIM_400000_NS6detail17trampoline_kernelINS0_14default_configENS1_36segmented_radix_sort_config_selectorI12hip_bfloat16lEEZNS1_25segmented_radix_sort_implIS3_Lb1EPKS5_PS5_PKlPlN2at6native12_GLOBAL__N_18offset_tEEE10hipError_tPvRmT1_PNSt15iterator_traitsISL_E10value_typeET2_T3_PNSM_ISR_E10value_typeET4_jRbjT5_SX_jjP12ihipStream_tbEUlT_E2_NS1_11comp_targetILNS1_3genE0ELNS1_11target_archE4294967295ELNS1_3gpuE0ELNS1_3repE0EEENS1_30default_config_static_selectorELNS0_4arch9wavefront6targetE0EEEvSL_
                                        ; -- End function
	.set _ZN7rocprim17ROCPRIM_400000_NS6detail17trampoline_kernelINS0_14default_configENS1_36segmented_radix_sort_config_selectorI12hip_bfloat16lEEZNS1_25segmented_radix_sort_implIS3_Lb1EPKS5_PS5_PKlPlN2at6native12_GLOBAL__N_18offset_tEEE10hipError_tPvRmT1_PNSt15iterator_traitsISL_E10value_typeET2_T3_PNSM_ISR_E10value_typeET4_jRbjT5_SX_jjP12ihipStream_tbEUlT_E2_NS1_11comp_targetILNS1_3genE0ELNS1_11target_archE4294967295ELNS1_3gpuE0ELNS1_3repE0EEENS1_30default_config_static_selectorELNS0_4arch9wavefront6targetE0EEEvSL_.num_vgpr, max(206, .L_ZN7rocprim17ROCPRIM_400000_NS6detail26segmented_warp_sort_helperINS1_20WarpSortHelperConfigILj8ELj4ELj256EEE12hip_bfloat16lLi256ELb1EvE4sortIPKS5_PS5_PKlPlEEvT_T0_T1_T2_jjjjRNS6_12storage_typeE.num_vgpr, .L_ZN7rocprim17ROCPRIM_400000_NS6detail40segmented_radix_sort_single_block_helperI12hip_bfloat16lLj256ELj16ELb1EE4sortIPKS3_PS3_PKlPlEEbT_T0_T1_T2_jjjjRNS4_12storage_typeE.num_vgpr)
	.set _ZN7rocprim17ROCPRIM_400000_NS6detail17trampoline_kernelINS0_14default_configENS1_36segmented_radix_sort_config_selectorI12hip_bfloat16lEEZNS1_25segmented_radix_sort_implIS3_Lb1EPKS5_PS5_PKlPlN2at6native12_GLOBAL__N_18offset_tEEE10hipError_tPvRmT1_PNSt15iterator_traitsISL_E10value_typeET2_T3_PNSM_ISR_E10value_typeET4_jRbjT5_SX_jjP12ihipStream_tbEUlT_E2_NS1_11comp_targetILNS1_3genE0ELNS1_11target_archE4294967295ELNS1_3gpuE0ELNS1_3repE0EEENS1_30default_config_static_selectorELNS0_4arch9wavefront6targetE0EEEvSL_.num_agpr, max(0, .L_ZN7rocprim17ROCPRIM_400000_NS6detail26segmented_warp_sort_helperINS1_20WarpSortHelperConfigILj8ELj4ELj256EEE12hip_bfloat16lLi256ELb1EvE4sortIPKS5_PS5_PKlPlEEvT_T0_T1_T2_jjjjRNS6_12storage_typeE.num_agpr, .L_ZN7rocprim17ROCPRIM_400000_NS6detail40segmented_radix_sort_single_block_helperI12hip_bfloat16lLj256ELj16ELb1EE4sortIPKS3_PS3_PKlPlEEbT_T0_T1_T2_jjjjRNS4_12storage_typeE.num_agpr)
	.set _ZN7rocprim17ROCPRIM_400000_NS6detail17trampoline_kernelINS0_14default_configENS1_36segmented_radix_sort_config_selectorI12hip_bfloat16lEEZNS1_25segmented_radix_sort_implIS3_Lb1EPKS5_PS5_PKlPlN2at6native12_GLOBAL__N_18offset_tEEE10hipError_tPvRmT1_PNSt15iterator_traitsISL_E10value_typeET2_T3_PNSM_ISR_E10value_typeET4_jRbjT5_SX_jjP12ihipStream_tbEUlT_E2_NS1_11comp_targetILNS1_3genE0ELNS1_11target_archE4294967295ELNS1_3gpuE0ELNS1_3repE0EEENS1_30default_config_static_selectorELNS0_4arch9wavefront6targetE0EEEvSL_.numbered_sgpr, max(59, .L_ZN7rocprim17ROCPRIM_400000_NS6detail26segmented_warp_sort_helperINS1_20WarpSortHelperConfigILj8ELj4ELj256EEE12hip_bfloat16lLi256ELb1EvE4sortIPKS5_PS5_PKlPlEEvT_T0_T1_T2_jjjjRNS6_12storage_typeE.numbered_sgpr, .L_ZN7rocprim17ROCPRIM_400000_NS6detail40segmented_radix_sort_single_block_helperI12hip_bfloat16lLj256ELj16ELb1EE4sortIPKS3_PS3_PKlPlEEbT_T0_T1_T2_jjjjRNS4_12storage_typeE.numbered_sgpr)
	.set _ZN7rocprim17ROCPRIM_400000_NS6detail17trampoline_kernelINS0_14default_configENS1_36segmented_radix_sort_config_selectorI12hip_bfloat16lEEZNS1_25segmented_radix_sort_implIS3_Lb1EPKS5_PS5_PKlPlN2at6native12_GLOBAL__N_18offset_tEEE10hipError_tPvRmT1_PNSt15iterator_traitsISL_E10value_typeET2_T3_PNSM_ISR_E10value_typeET4_jRbjT5_SX_jjP12ihipStream_tbEUlT_E2_NS1_11comp_targetILNS1_3genE0ELNS1_11target_archE4294967295ELNS1_3gpuE0ELNS1_3repE0EEENS1_30default_config_static_selectorELNS0_4arch9wavefront6targetE0EEEvSL_.num_named_barrier, max(0, .L_ZN7rocprim17ROCPRIM_400000_NS6detail26segmented_warp_sort_helperINS1_20WarpSortHelperConfigILj8ELj4ELj256EEE12hip_bfloat16lLi256ELb1EvE4sortIPKS5_PS5_PKlPlEEvT_T0_T1_T2_jjjjRNS6_12storage_typeE.num_named_barrier, .L_ZN7rocprim17ROCPRIM_400000_NS6detail40segmented_radix_sort_single_block_helperI12hip_bfloat16lLj256ELj16ELb1EE4sortIPKS3_PS3_PKlPlEEbT_T0_T1_T2_jjjjRNS4_12storage_typeE.num_named_barrier)
	.set _ZN7rocprim17ROCPRIM_400000_NS6detail17trampoline_kernelINS0_14default_configENS1_36segmented_radix_sort_config_selectorI12hip_bfloat16lEEZNS1_25segmented_radix_sort_implIS3_Lb1EPKS5_PS5_PKlPlN2at6native12_GLOBAL__N_18offset_tEEE10hipError_tPvRmT1_PNSt15iterator_traitsISL_E10value_typeET2_T3_PNSM_ISR_E10value_typeET4_jRbjT5_SX_jjP12ihipStream_tbEUlT_E2_NS1_11comp_targetILNS1_3genE0ELNS1_11target_archE4294967295ELNS1_3gpuE0ELNS1_3repE0EEENS1_30default_config_static_selectorELNS0_4arch9wavefront6targetE0EEEvSL_.private_seg_size, 0+max(.L_ZN7rocprim17ROCPRIM_400000_NS6detail26segmented_warp_sort_helperINS1_20WarpSortHelperConfigILj8ELj4ELj256EEE12hip_bfloat16lLi256ELb1EvE4sortIPKS5_PS5_PKlPlEEvT_T0_T1_T2_jjjjRNS6_12storage_typeE.private_seg_size, .L_ZN7rocprim17ROCPRIM_400000_NS6detail40segmented_radix_sort_single_block_helperI12hip_bfloat16lLj256ELj16ELb1EE4sortIPKS3_PS3_PKlPlEEbT_T0_T1_T2_jjjjRNS4_12storage_typeE.private_seg_size)
	.set _ZN7rocprim17ROCPRIM_400000_NS6detail17trampoline_kernelINS0_14default_configENS1_36segmented_radix_sort_config_selectorI12hip_bfloat16lEEZNS1_25segmented_radix_sort_implIS3_Lb1EPKS5_PS5_PKlPlN2at6native12_GLOBAL__N_18offset_tEEE10hipError_tPvRmT1_PNSt15iterator_traitsISL_E10value_typeET2_T3_PNSM_ISR_E10value_typeET4_jRbjT5_SX_jjP12ihipStream_tbEUlT_E2_NS1_11comp_targetILNS1_3genE0ELNS1_11target_archE4294967295ELNS1_3gpuE0ELNS1_3repE0EEENS1_30default_config_static_selectorELNS0_4arch9wavefront6targetE0EEEvSL_.uses_vcc, or(1, .L_ZN7rocprim17ROCPRIM_400000_NS6detail26segmented_warp_sort_helperINS1_20WarpSortHelperConfigILj8ELj4ELj256EEE12hip_bfloat16lLi256ELb1EvE4sortIPKS5_PS5_PKlPlEEvT_T0_T1_T2_jjjjRNS6_12storage_typeE.uses_vcc, .L_ZN7rocprim17ROCPRIM_400000_NS6detail40segmented_radix_sort_single_block_helperI12hip_bfloat16lLj256ELj16ELb1EE4sortIPKS3_PS3_PKlPlEEbT_T0_T1_T2_jjjjRNS4_12storage_typeE.uses_vcc)
	.set _ZN7rocprim17ROCPRIM_400000_NS6detail17trampoline_kernelINS0_14default_configENS1_36segmented_radix_sort_config_selectorI12hip_bfloat16lEEZNS1_25segmented_radix_sort_implIS3_Lb1EPKS5_PS5_PKlPlN2at6native12_GLOBAL__N_18offset_tEEE10hipError_tPvRmT1_PNSt15iterator_traitsISL_E10value_typeET2_T3_PNSM_ISR_E10value_typeET4_jRbjT5_SX_jjP12ihipStream_tbEUlT_E2_NS1_11comp_targetILNS1_3genE0ELNS1_11target_archE4294967295ELNS1_3gpuE0ELNS1_3repE0EEENS1_30default_config_static_selectorELNS0_4arch9wavefront6targetE0EEEvSL_.uses_flat_scratch, or(0, .L_ZN7rocprim17ROCPRIM_400000_NS6detail26segmented_warp_sort_helperINS1_20WarpSortHelperConfigILj8ELj4ELj256EEE12hip_bfloat16lLi256ELb1EvE4sortIPKS5_PS5_PKlPlEEvT_T0_T1_T2_jjjjRNS6_12storage_typeE.uses_flat_scratch, .L_ZN7rocprim17ROCPRIM_400000_NS6detail40segmented_radix_sort_single_block_helperI12hip_bfloat16lLj256ELj16ELb1EE4sortIPKS3_PS3_PKlPlEEbT_T0_T1_T2_jjjjRNS4_12storage_typeE.uses_flat_scratch)
	.set _ZN7rocprim17ROCPRIM_400000_NS6detail17trampoline_kernelINS0_14default_configENS1_36segmented_radix_sort_config_selectorI12hip_bfloat16lEEZNS1_25segmented_radix_sort_implIS3_Lb1EPKS5_PS5_PKlPlN2at6native12_GLOBAL__N_18offset_tEEE10hipError_tPvRmT1_PNSt15iterator_traitsISL_E10value_typeET2_T3_PNSM_ISR_E10value_typeET4_jRbjT5_SX_jjP12ihipStream_tbEUlT_E2_NS1_11comp_targetILNS1_3genE0ELNS1_11target_archE4294967295ELNS1_3gpuE0ELNS1_3repE0EEENS1_30default_config_static_selectorELNS0_4arch9wavefront6targetE0EEEvSL_.has_dyn_sized_stack, or(0, .L_ZN7rocprim17ROCPRIM_400000_NS6detail26segmented_warp_sort_helperINS1_20WarpSortHelperConfigILj8ELj4ELj256EEE12hip_bfloat16lLi256ELb1EvE4sortIPKS5_PS5_PKlPlEEvT_T0_T1_T2_jjjjRNS6_12storage_typeE.has_dyn_sized_stack, .L_ZN7rocprim17ROCPRIM_400000_NS6detail40segmented_radix_sort_single_block_helperI12hip_bfloat16lLj256ELj16ELb1EE4sortIPKS3_PS3_PKlPlEEbT_T0_T1_T2_jjjjRNS4_12storage_typeE.has_dyn_sized_stack)
	.set _ZN7rocprim17ROCPRIM_400000_NS6detail17trampoline_kernelINS0_14default_configENS1_36segmented_radix_sort_config_selectorI12hip_bfloat16lEEZNS1_25segmented_radix_sort_implIS3_Lb1EPKS5_PS5_PKlPlN2at6native12_GLOBAL__N_18offset_tEEE10hipError_tPvRmT1_PNSt15iterator_traitsISL_E10value_typeET2_T3_PNSM_ISR_E10value_typeET4_jRbjT5_SX_jjP12ihipStream_tbEUlT_E2_NS1_11comp_targetILNS1_3genE0ELNS1_11target_archE4294967295ELNS1_3gpuE0ELNS1_3repE0EEENS1_30default_config_static_selectorELNS0_4arch9wavefront6targetE0EEEvSL_.has_recursion, or(0, .L_ZN7rocprim17ROCPRIM_400000_NS6detail26segmented_warp_sort_helperINS1_20WarpSortHelperConfigILj8ELj4ELj256EEE12hip_bfloat16lLi256ELb1EvE4sortIPKS5_PS5_PKlPlEEvT_T0_T1_T2_jjjjRNS6_12storage_typeE.has_recursion, .L_ZN7rocprim17ROCPRIM_400000_NS6detail40segmented_radix_sort_single_block_helperI12hip_bfloat16lLj256ELj16ELb1EE4sortIPKS3_PS3_PKlPlEEbT_T0_T1_T2_jjjjRNS4_12storage_typeE.has_recursion)
	.set _ZN7rocprim17ROCPRIM_400000_NS6detail17trampoline_kernelINS0_14default_configENS1_36segmented_radix_sort_config_selectorI12hip_bfloat16lEEZNS1_25segmented_radix_sort_implIS3_Lb1EPKS5_PS5_PKlPlN2at6native12_GLOBAL__N_18offset_tEEE10hipError_tPvRmT1_PNSt15iterator_traitsISL_E10value_typeET2_T3_PNSM_ISR_E10value_typeET4_jRbjT5_SX_jjP12ihipStream_tbEUlT_E2_NS1_11comp_targetILNS1_3genE0ELNS1_11target_archE4294967295ELNS1_3gpuE0ELNS1_3repE0EEENS1_30default_config_static_selectorELNS0_4arch9wavefront6targetE0EEEvSL_.has_indirect_call, or(0, .L_ZN7rocprim17ROCPRIM_400000_NS6detail26segmented_warp_sort_helperINS1_20WarpSortHelperConfigILj8ELj4ELj256EEE12hip_bfloat16lLi256ELb1EvE4sortIPKS5_PS5_PKlPlEEvT_T0_T1_T2_jjjjRNS6_12storage_typeE.has_indirect_call, .L_ZN7rocprim17ROCPRIM_400000_NS6detail40segmented_radix_sort_single_block_helperI12hip_bfloat16lLj256ELj16ELb1EE4sortIPKS3_PS3_PKlPlEEbT_T0_T1_T2_jjjjRNS4_12storage_typeE.has_indirect_call)
	.section	.AMDGPU.csdata,"",@progbits
; Kernel info:
; codeLenInByte = 80936
; TotalNumSgprs: 61
; NumVgprs: 304
; ScratchSize: 0
; MemoryBound: 0
; FloatMode: 240
; IeeeMode: 1
; LDSByteSize: 33824 bytes/workgroup (compile time only)
; SGPRBlocks: 0
; VGPRBlocks: 18
; NumSGPRsForWavesPerEU: 61
; NumVGPRsForWavesPerEU: 304
; NamedBarCnt: 0
; Occupancy: 3
; WaveLimiterHint : 1
; COMPUTE_PGM_RSRC2:SCRATCH_EN: 0
; COMPUTE_PGM_RSRC2:USER_SGPR: 4
; COMPUTE_PGM_RSRC2:TRAP_HANDLER: 0
; COMPUTE_PGM_RSRC2:TGID_X_EN: 1
; COMPUTE_PGM_RSRC2:TGID_Y_EN: 1
; COMPUTE_PGM_RSRC2:TGID_Z_EN: 0
; COMPUTE_PGM_RSRC2:TIDIG_COMP_CNT: 2
	.section	.text._ZN7rocprim17ROCPRIM_400000_NS6detail17trampoline_kernelINS0_14default_configENS1_36segmented_radix_sort_config_selectorI12hip_bfloat16lEEZNS1_25segmented_radix_sort_implIS3_Lb1EPKS5_PS5_PKlPlN2at6native12_GLOBAL__N_18offset_tEEE10hipError_tPvRmT1_PNSt15iterator_traitsISL_E10value_typeET2_T3_PNSM_ISR_E10value_typeET4_jRbjT5_SX_jjP12ihipStream_tbEUlT_E2_NS1_11comp_targetILNS1_3genE5ELNS1_11target_archE942ELNS1_3gpuE9ELNS1_3repE0EEENS1_30default_config_static_selectorELNS0_4arch9wavefront6targetE0EEEvSL_,"axG",@progbits,_ZN7rocprim17ROCPRIM_400000_NS6detail17trampoline_kernelINS0_14default_configENS1_36segmented_radix_sort_config_selectorI12hip_bfloat16lEEZNS1_25segmented_radix_sort_implIS3_Lb1EPKS5_PS5_PKlPlN2at6native12_GLOBAL__N_18offset_tEEE10hipError_tPvRmT1_PNSt15iterator_traitsISL_E10value_typeET2_T3_PNSM_ISR_E10value_typeET4_jRbjT5_SX_jjP12ihipStream_tbEUlT_E2_NS1_11comp_targetILNS1_3genE5ELNS1_11target_archE942ELNS1_3gpuE9ELNS1_3repE0EEENS1_30default_config_static_selectorELNS0_4arch9wavefront6targetE0EEEvSL_,comdat
	.globl	_ZN7rocprim17ROCPRIM_400000_NS6detail17trampoline_kernelINS0_14default_configENS1_36segmented_radix_sort_config_selectorI12hip_bfloat16lEEZNS1_25segmented_radix_sort_implIS3_Lb1EPKS5_PS5_PKlPlN2at6native12_GLOBAL__N_18offset_tEEE10hipError_tPvRmT1_PNSt15iterator_traitsISL_E10value_typeET2_T3_PNSM_ISR_E10value_typeET4_jRbjT5_SX_jjP12ihipStream_tbEUlT_E2_NS1_11comp_targetILNS1_3genE5ELNS1_11target_archE942ELNS1_3gpuE9ELNS1_3repE0EEENS1_30default_config_static_selectorELNS0_4arch9wavefront6targetE0EEEvSL_ ; -- Begin function _ZN7rocprim17ROCPRIM_400000_NS6detail17trampoline_kernelINS0_14default_configENS1_36segmented_radix_sort_config_selectorI12hip_bfloat16lEEZNS1_25segmented_radix_sort_implIS3_Lb1EPKS5_PS5_PKlPlN2at6native12_GLOBAL__N_18offset_tEEE10hipError_tPvRmT1_PNSt15iterator_traitsISL_E10value_typeET2_T3_PNSM_ISR_E10value_typeET4_jRbjT5_SX_jjP12ihipStream_tbEUlT_E2_NS1_11comp_targetILNS1_3genE5ELNS1_11target_archE942ELNS1_3gpuE9ELNS1_3repE0EEENS1_30default_config_static_selectorELNS0_4arch9wavefront6targetE0EEEvSL_
	.p2align	8
	.type	_ZN7rocprim17ROCPRIM_400000_NS6detail17trampoline_kernelINS0_14default_configENS1_36segmented_radix_sort_config_selectorI12hip_bfloat16lEEZNS1_25segmented_radix_sort_implIS3_Lb1EPKS5_PS5_PKlPlN2at6native12_GLOBAL__N_18offset_tEEE10hipError_tPvRmT1_PNSt15iterator_traitsISL_E10value_typeET2_T3_PNSM_ISR_E10value_typeET4_jRbjT5_SX_jjP12ihipStream_tbEUlT_E2_NS1_11comp_targetILNS1_3genE5ELNS1_11target_archE942ELNS1_3gpuE9ELNS1_3repE0EEENS1_30default_config_static_selectorELNS0_4arch9wavefront6targetE0EEEvSL_,@function
_ZN7rocprim17ROCPRIM_400000_NS6detail17trampoline_kernelINS0_14default_configENS1_36segmented_radix_sort_config_selectorI12hip_bfloat16lEEZNS1_25segmented_radix_sort_implIS3_Lb1EPKS5_PS5_PKlPlN2at6native12_GLOBAL__N_18offset_tEEE10hipError_tPvRmT1_PNSt15iterator_traitsISL_E10value_typeET2_T3_PNSM_ISR_E10value_typeET4_jRbjT5_SX_jjP12ihipStream_tbEUlT_E2_NS1_11comp_targetILNS1_3genE5ELNS1_11target_archE942ELNS1_3gpuE9ELNS1_3repE0EEENS1_30default_config_static_selectorELNS0_4arch9wavefront6targetE0EEEvSL_: ; @_ZN7rocprim17ROCPRIM_400000_NS6detail17trampoline_kernelINS0_14default_configENS1_36segmented_radix_sort_config_selectorI12hip_bfloat16lEEZNS1_25segmented_radix_sort_implIS3_Lb1EPKS5_PS5_PKlPlN2at6native12_GLOBAL__N_18offset_tEEE10hipError_tPvRmT1_PNSt15iterator_traitsISL_E10value_typeET2_T3_PNSM_ISR_E10value_typeET4_jRbjT5_SX_jjP12ihipStream_tbEUlT_E2_NS1_11comp_targetILNS1_3genE5ELNS1_11target_archE942ELNS1_3gpuE9ELNS1_3repE0EEENS1_30default_config_static_selectorELNS0_4arch9wavefront6targetE0EEEvSL_
; %bb.0:
	.section	.rodata,"a",@progbits
	.p2align	6, 0x0
	.amdhsa_kernel _ZN7rocprim17ROCPRIM_400000_NS6detail17trampoline_kernelINS0_14default_configENS1_36segmented_radix_sort_config_selectorI12hip_bfloat16lEEZNS1_25segmented_radix_sort_implIS3_Lb1EPKS5_PS5_PKlPlN2at6native12_GLOBAL__N_18offset_tEEE10hipError_tPvRmT1_PNSt15iterator_traitsISL_E10value_typeET2_T3_PNSM_ISR_E10value_typeET4_jRbjT5_SX_jjP12ihipStream_tbEUlT_E2_NS1_11comp_targetILNS1_3genE5ELNS1_11target_archE942ELNS1_3gpuE9ELNS1_3repE0EEENS1_30default_config_static_selectorELNS0_4arch9wavefront6targetE0EEEvSL_
		.amdhsa_group_segment_fixed_size 0
		.amdhsa_private_segment_fixed_size 0
		.amdhsa_kernarg_size 80
		.amdhsa_user_sgpr_count 2
		.amdhsa_user_sgpr_dispatch_ptr 0
		.amdhsa_user_sgpr_queue_ptr 0
		.amdhsa_user_sgpr_kernarg_segment_ptr 1
		.amdhsa_user_sgpr_dispatch_id 0
		.amdhsa_user_sgpr_kernarg_preload_length 0
		.amdhsa_user_sgpr_kernarg_preload_offset 0
		.amdhsa_user_sgpr_private_segment_size 0
		.amdhsa_wavefront_size32 1
		.amdhsa_uses_dynamic_stack 0
		.amdhsa_enable_private_segment 0
		.amdhsa_system_sgpr_workgroup_id_x 1
		.amdhsa_system_sgpr_workgroup_id_y 0
		.amdhsa_system_sgpr_workgroup_id_z 0
		.amdhsa_system_sgpr_workgroup_info 0
		.amdhsa_system_vgpr_workitem_id 0
		.amdhsa_next_free_vgpr 1
		.amdhsa_next_free_sgpr 1
		.amdhsa_named_barrier_count 0
		.amdhsa_reserve_vcc 0
		.amdhsa_float_round_mode_32 0
		.amdhsa_float_round_mode_16_64 0
		.amdhsa_float_denorm_mode_32 3
		.amdhsa_float_denorm_mode_16_64 3
		.amdhsa_fp16_overflow 0
		.amdhsa_memory_ordered 1
		.amdhsa_forward_progress 1
		.amdhsa_inst_pref_size 0
		.amdhsa_round_robin_scheduling 0
		.amdhsa_exception_fp_ieee_invalid_op 0
		.amdhsa_exception_fp_denorm_src 0
		.amdhsa_exception_fp_ieee_div_zero 0
		.amdhsa_exception_fp_ieee_overflow 0
		.amdhsa_exception_fp_ieee_underflow 0
		.amdhsa_exception_fp_ieee_inexact 0
		.amdhsa_exception_int_div_zero 0
	.end_amdhsa_kernel
	.section	.text._ZN7rocprim17ROCPRIM_400000_NS6detail17trampoline_kernelINS0_14default_configENS1_36segmented_radix_sort_config_selectorI12hip_bfloat16lEEZNS1_25segmented_radix_sort_implIS3_Lb1EPKS5_PS5_PKlPlN2at6native12_GLOBAL__N_18offset_tEEE10hipError_tPvRmT1_PNSt15iterator_traitsISL_E10value_typeET2_T3_PNSM_ISR_E10value_typeET4_jRbjT5_SX_jjP12ihipStream_tbEUlT_E2_NS1_11comp_targetILNS1_3genE5ELNS1_11target_archE942ELNS1_3gpuE9ELNS1_3repE0EEENS1_30default_config_static_selectorELNS0_4arch9wavefront6targetE0EEEvSL_,"axG",@progbits,_ZN7rocprim17ROCPRIM_400000_NS6detail17trampoline_kernelINS0_14default_configENS1_36segmented_radix_sort_config_selectorI12hip_bfloat16lEEZNS1_25segmented_radix_sort_implIS3_Lb1EPKS5_PS5_PKlPlN2at6native12_GLOBAL__N_18offset_tEEE10hipError_tPvRmT1_PNSt15iterator_traitsISL_E10value_typeET2_T3_PNSM_ISR_E10value_typeET4_jRbjT5_SX_jjP12ihipStream_tbEUlT_E2_NS1_11comp_targetILNS1_3genE5ELNS1_11target_archE942ELNS1_3gpuE9ELNS1_3repE0EEENS1_30default_config_static_selectorELNS0_4arch9wavefront6targetE0EEEvSL_,comdat
.Lfunc_end1967:
	.size	_ZN7rocprim17ROCPRIM_400000_NS6detail17trampoline_kernelINS0_14default_configENS1_36segmented_radix_sort_config_selectorI12hip_bfloat16lEEZNS1_25segmented_radix_sort_implIS3_Lb1EPKS5_PS5_PKlPlN2at6native12_GLOBAL__N_18offset_tEEE10hipError_tPvRmT1_PNSt15iterator_traitsISL_E10value_typeET2_T3_PNSM_ISR_E10value_typeET4_jRbjT5_SX_jjP12ihipStream_tbEUlT_E2_NS1_11comp_targetILNS1_3genE5ELNS1_11target_archE942ELNS1_3gpuE9ELNS1_3repE0EEENS1_30default_config_static_selectorELNS0_4arch9wavefront6targetE0EEEvSL_, .Lfunc_end1967-_ZN7rocprim17ROCPRIM_400000_NS6detail17trampoline_kernelINS0_14default_configENS1_36segmented_radix_sort_config_selectorI12hip_bfloat16lEEZNS1_25segmented_radix_sort_implIS3_Lb1EPKS5_PS5_PKlPlN2at6native12_GLOBAL__N_18offset_tEEE10hipError_tPvRmT1_PNSt15iterator_traitsISL_E10value_typeET2_T3_PNSM_ISR_E10value_typeET4_jRbjT5_SX_jjP12ihipStream_tbEUlT_E2_NS1_11comp_targetILNS1_3genE5ELNS1_11target_archE942ELNS1_3gpuE9ELNS1_3repE0EEENS1_30default_config_static_selectorELNS0_4arch9wavefront6targetE0EEEvSL_
                                        ; -- End function
	.set _ZN7rocprim17ROCPRIM_400000_NS6detail17trampoline_kernelINS0_14default_configENS1_36segmented_radix_sort_config_selectorI12hip_bfloat16lEEZNS1_25segmented_radix_sort_implIS3_Lb1EPKS5_PS5_PKlPlN2at6native12_GLOBAL__N_18offset_tEEE10hipError_tPvRmT1_PNSt15iterator_traitsISL_E10value_typeET2_T3_PNSM_ISR_E10value_typeET4_jRbjT5_SX_jjP12ihipStream_tbEUlT_E2_NS1_11comp_targetILNS1_3genE5ELNS1_11target_archE942ELNS1_3gpuE9ELNS1_3repE0EEENS1_30default_config_static_selectorELNS0_4arch9wavefront6targetE0EEEvSL_.num_vgpr, 0
	.set _ZN7rocprim17ROCPRIM_400000_NS6detail17trampoline_kernelINS0_14default_configENS1_36segmented_radix_sort_config_selectorI12hip_bfloat16lEEZNS1_25segmented_radix_sort_implIS3_Lb1EPKS5_PS5_PKlPlN2at6native12_GLOBAL__N_18offset_tEEE10hipError_tPvRmT1_PNSt15iterator_traitsISL_E10value_typeET2_T3_PNSM_ISR_E10value_typeET4_jRbjT5_SX_jjP12ihipStream_tbEUlT_E2_NS1_11comp_targetILNS1_3genE5ELNS1_11target_archE942ELNS1_3gpuE9ELNS1_3repE0EEENS1_30default_config_static_selectorELNS0_4arch9wavefront6targetE0EEEvSL_.num_agpr, 0
	.set _ZN7rocprim17ROCPRIM_400000_NS6detail17trampoline_kernelINS0_14default_configENS1_36segmented_radix_sort_config_selectorI12hip_bfloat16lEEZNS1_25segmented_radix_sort_implIS3_Lb1EPKS5_PS5_PKlPlN2at6native12_GLOBAL__N_18offset_tEEE10hipError_tPvRmT1_PNSt15iterator_traitsISL_E10value_typeET2_T3_PNSM_ISR_E10value_typeET4_jRbjT5_SX_jjP12ihipStream_tbEUlT_E2_NS1_11comp_targetILNS1_3genE5ELNS1_11target_archE942ELNS1_3gpuE9ELNS1_3repE0EEENS1_30default_config_static_selectorELNS0_4arch9wavefront6targetE0EEEvSL_.numbered_sgpr, 0
	.set _ZN7rocprim17ROCPRIM_400000_NS6detail17trampoline_kernelINS0_14default_configENS1_36segmented_radix_sort_config_selectorI12hip_bfloat16lEEZNS1_25segmented_radix_sort_implIS3_Lb1EPKS5_PS5_PKlPlN2at6native12_GLOBAL__N_18offset_tEEE10hipError_tPvRmT1_PNSt15iterator_traitsISL_E10value_typeET2_T3_PNSM_ISR_E10value_typeET4_jRbjT5_SX_jjP12ihipStream_tbEUlT_E2_NS1_11comp_targetILNS1_3genE5ELNS1_11target_archE942ELNS1_3gpuE9ELNS1_3repE0EEENS1_30default_config_static_selectorELNS0_4arch9wavefront6targetE0EEEvSL_.num_named_barrier, 0
	.set _ZN7rocprim17ROCPRIM_400000_NS6detail17trampoline_kernelINS0_14default_configENS1_36segmented_radix_sort_config_selectorI12hip_bfloat16lEEZNS1_25segmented_radix_sort_implIS3_Lb1EPKS5_PS5_PKlPlN2at6native12_GLOBAL__N_18offset_tEEE10hipError_tPvRmT1_PNSt15iterator_traitsISL_E10value_typeET2_T3_PNSM_ISR_E10value_typeET4_jRbjT5_SX_jjP12ihipStream_tbEUlT_E2_NS1_11comp_targetILNS1_3genE5ELNS1_11target_archE942ELNS1_3gpuE9ELNS1_3repE0EEENS1_30default_config_static_selectorELNS0_4arch9wavefront6targetE0EEEvSL_.private_seg_size, 0
	.set _ZN7rocprim17ROCPRIM_400000_NS6detail17trampoline_kernelINS0_14default_configENS1_36segmented_radix_sort_config_selectorI12hip_bfloat16lEEZNS1_25segmented_radix_sort_implIS3_Lb1EPKS5_PS5_PKlPlN2at6native12_GLOBAL__N_18offset_tEEE10hipError_tPvRmT1_PNSt15iterator_traitsISL_E10value_typeET2_T3_PNSM_ISR_E10value_typeET4_jRbjT5_SX_jjP12ihipStream_tbEUlT_E2_NS1_11comp_targetILNS1_3genE5ELNS1_11target_archE942ELNS1_3gpuE9ELNS1_3repE0EEENS1_30default_config_static_selectorELNS0_4arch9wavefront6targetE0EEEvSL_.uses_vcc, 0
	.set _ZN7rocprim17ROCPRIM_400000_NS6detail17trampoline_kernelINS0_14default_configENS1_36segmented_radix_sort_config_selectorI12hip_bfloat16lEEZNS1_25segmented_radix_sort_implIS3_Lb1EPKS5_PS5_PKlPlN2at6native12_GLOBAL__N_18offset_tEEE10hipError_tPvRmT1_PNSt15iterator_traitsISL_E10value_typeET2_T3_PNSM_ISR_E10value_typeET4_jRbjT5_SX_jjP12ihipStream_tbEUlT_E2_NS1_11comp_targetILNS1_3genE5ELNS1_11target_archE942ELNS1_3gpuE9ELNS1_3repE0EEENS1_30default_config_static_selectorELNS0_4arch9wavefront6targetE0EEEvSL_.uses_flat_scratch, 0
	.set _ZN7rocprim17ROCPRIM_400000_NS6detail17trampoline_kernelINS0_14default_configENS1_36segmented_radix_sort_config_selectorI12hip_bfloat16lEEZNS1_25segmented_radix_sort_implIS3_Lb1EPKS5_PS5_PKlPlN2at6native12_GLOBAL__N_18offset_tEEE10hipError_tPvRmT1_PNSt15iterator_traitsISL_E10value_typeET2_T3_PNSM_ISR_E10value_typeET4_jRbjT5_SX_jjP12ihipStream_tbEUlT_E2_NS1_11comp_targetILNS1_3genE5ELNS1_11target_archE942ELNS1_3gpuE9ELNS1_3repE0EEENS1_30default_config_static_selectorELNS0_4arch9wavefront6targetE0EEEvSL_.has_dyn_sized_stack, 0
	.set _ZN7rocprim17ROCPRIM_400000_NS6detail17trampoline_kernelINS0_14default_configENS1_36segmented_radix_sort_config_selectorI12hip_bfloat16lEEZNS1_25segmented_radix_sort_implIS3_Lb1EPKS5_PS5_PKlPlN2at6native12_GLOBAL__N_18offset_tEEE10hipError_tPvRmT1_PNSt15iterator_traitsISL_E10value_typeET2_T3_PNSM_ISR_E10value_typeET4_jRbjT5_SX_jjP12ihipStream_tbEUlT_E2_NS1_11comp_targetILNS1_3genE5ELNS1_11target_archE942ELNS1_3gpuE9ELNS1_3repE0EEENS1_30default_config_static_selectorELNS0_4arch9wavefront6targetE0EEEvSL_.has_recursion, 0
	.set _ZN7rocprim17ROCPRIM_400000_NS6detail17trampoline_kernelINS0_14default_configENS1_36segmented_radix_sort_config_selectorI12hip_bfloat16lEEZNS1_25segmented_radix_sort_implIS3_Lb1EPKS5_PS5_PKlPlN2at6native12_GLOBAL__N_18offset_tEEE10hipError_tPvRmT1_PNSt15iterator_traitsISL_E10value_typeET2_T3_PNSM_ISR_E10value_typeET4_jRbjT5_SX_jjP12ihipStream_tbEUlT_E2_NS1_11comp_targetILNS1_3genE5ELNS1_11target_archE942ELNS1_3gpuE9ELNS1_3repE0EEENS1_30default_config_static_selectorELNS0_4arch9wavefront6targetE0EEEvSL_.has_indirect_call, 0
	.section	.AMDGPU.csdata,"",@progbits
; Kernel info:
; codeLenInByte = 0
; TotalNumSgprs: 0
; NumVgprs: 0
; ScratchSize: 0
; MemoryBound: 0
; FloatMode: 240
; IeeeMode: 1
; LDSByteSize: 0 bytes/workgroup (compile time only)
; SGPRBlocks: 0
; VGPRBlocks: 0
; NumSGPRsForWavesPerEU: 1
; NumVGPRsForWavesPerEU: 1
; NamedBarCnt: 0
; Occupancy: 16
; WaveLimiterHint : 0
; COMPUTE_PGM_RSRC2:SCRATCH_EN: 0
; COMPUTE_PGM_RSRC2:USER_SGPR: 2
; COMPUTE_PGM_RSRC2:TRAP_HANDLER: 0
; COMPUTE_PGM_RSRC2:TGID_X_EN: 1
; COMPUTE_PGM_RSRC2:TGID_Y_EN: 0
; COMPUTE_PGM_RSRC2:TGID_Z_EN: 0
; COMPUTE_PGM_RSRC2:TIDIG_COMP_CNT: 0
	.section	.text._ZN7rocprim17ROCPRIM_400000_NS6detail17trampoline_kernelINS0_14default_configENS1_36segmented_radix_sort_config_selectorI12hip_bfloat16lEEZNS1_25segmented_radix_sort_implIS3_Lb1EPKS5_PS5_PKlPlN2at6native12_GLOBAL__N_18offset_tEEE10hipError_tPvRmT1_PNSt15iterator_traitsISL_E10value_typeET2_T3_PNSM_ISR_E10value_typeET4_jRbjT5_SX_jjP12ihipStream_tbEUlT_E2_NS1_11comp_targetILNS1_3genE4ELNS1_11target_archE910ELNS1_3gpuE8ELNS1_3repE0EEENS1_30default_config_static_selectorELNS0_4arch9wavefront6targetE0EEEvSL_,"axG",@progbits,_ZN7rocprim17ROCPRIM_400000_NS6detail17trampoline_kernelINS0_14default_configENS1_36segmented_radix_sort_config_selectorI12hip_bfloat16lEEZNS1_25segmented_radix_sort_implIS3_Lb1EPKS5_PS5_PKlPlN2at6native12_GLOBAL__N_18offset_tEEE10hipError_tPvRmT1_PNSt15iterator_traitsISL_E10value_typeET2_T3_PNSM_ISR_E10value_typeET4_jRbjT5_SX_jjP12ihipStream_tbEUlT_E2_NS1_11comp_targetILNS1_3genE4ELNS1_11target_archE910ELNS1_3gpuE8ELNS1_3repE0EEENS1_30default_config_static_selectorELNS0_4arch9wavefront6targetE0EEEvSL_,comdat
	.globl	_ZN7rocprim17ROCPRIM_400000_NS6detail17trampoline_kernelINS0_14default_configENS1_36segmented_radix_sort_config_selectorI12hip_bfloat16lEEZNS1_25segmented_radix_sort_implIS3_Lb1EPKS5_PS5_PKlPlN2at6native12_GLOBAL__N_18offset_tEEE10hipError_tPvRmT1_PNSt15iterator_traitsISL_E10value_typeET2_T3_PNSM_ISR_E10value_typeET4_jRbjT5_SX_jjP12ihipStream_tbEUlT_E2_NS1_11comp_targetILNS1_3genE4ELNS1_11target_archE910ELNS1_3gpuE8ELNS1_3repE0EEENS1_30default_config_static_selectorELNS0_4arch9wavefront6targetE0EEEvSL_ ; -- Begin function _ZN7rocprim17ROCPRIM_400000_NS6detail17trampoline_kernelINS0_14default_configENS1_36segmented_radix_sort_config_selectorI12hip_bfloat16lEEZNS1_25segmented_radix_sort_implIS3_Lb1EPKS5_PS5_PKlPlN2at6native12_GLOBAL__N_18offset_tEEE10hipError_tPvRmT1_PNSt15iterator_traitsISL_E10value_typeET2_T3_PNSM_ISR_E10value_typeET4_jRbjT5_SX_jjP12ihipStream_tbEUlT_E2_NS1_11comp_targetILNS1_3genE4ELNS1_11target_archE910ELNS1_3gpuE8ELNS1_3repE0EEENS1_30default_config_static_selectorELNS0_4arch9wavefront6targetE0EEEvSL_
	.p2align	8
	.type	_ZN7rocprim17ROCPRIM_400000_NS6detail17trampoline_kernelINS0_14default_configENS1_36segmented_radix_sort_config_selectorI12hip_bfloat16lEEZNS1_25segmented_radix_sort_implIS3_Lb1EPKS5_PS5_PKlPlN2at6native12_GLOBAL__N_18offset_tEEE10hipError_tPvRmT1_PNSt15iterator_traitsISL_E10value_typeET2_T3_PNSM_ISR_E10value_typeET4_jRbjT5_SX_jjP12ihipStream_tbEUlT_E2_NS1_11comp_targetILNS1_3genE4ELNS1_11target_archE910ELNS1_3gpuE8ELNS1_3repE0EEENS1_30default_config_static_selectorELNS0_4arch9wavefront6targetE0EEEvSL_,@function
_ZN7rocprim17ROCPRIM_400000_NS6detail17trampoline_kernelINS0_14default_configENS1_36segmented_radix_sort_config_selectorI12hip_bfloat16lEEZNS1_25segmented_radix_sort_implIS3_Lb1EPKS5_PS5_PKlPlN2at6native12_GLOBAL__N_18offset_tEEE10hipError_tPvRmT1_PNSt15iterator_traitsISL_E10value_typeET2_T3_PNSM_ISR_E10value_typeET4_jRbjT5_SX_jjP12ihipStream_tbEUlT_E2_NS1_11comp_targetILNS1_3genE4ELNS1_11target_archE910ELNS1_3gpuE8ELNS1_3repE0EEENS1_30default_config_static_selectorELNS0_4arch9wavefront6targetE0EEEvSL_: ; @_ZN7rocprim17ROCPRIM_400000_NS6detail17trampoline_kernelINS0_14default_configENS1_36segmented_radix_sort_config_selectorI12hip_bfloat16lEEZNS1_25segmented_radix_sort_implIS3_Lb1EPKS5_PS5_PKlPlN2at6native12_GLOBAL__N_18offset_tEEE10hipError_tPvRmT1_PNSt15iterator_traitsISL_E10value_typeET2_T3_PNSM_ISR_E10value_typeET4_jRbjT5_SX_jjP12ihipStream_tbEUlT_E2_NS1_11comp_targetILNS1_3genE4ELNS1_11target_archE910ELNS1_3gpuE8ELNS1_3repE0EEENS1_30default_config_static_selectorELNS0_4arch9wavefront6targetE0EEEvSL_
; %bb.0:
	.section	.rodata,"a",@progbits
	.p2align	6, 0x0
	.amdhsa_kernel _ZN7rocprim17ROCPRIM_400000_NS6detail17trampoline_kernelINS0_14default_configENS1_36segmented_radix_sort_config_selectorI12hip_bfloat16lEEZNS1_25segmented_radix_sort_implIS3_Lb1EPKS5_PS5_PKlPlN2at6native12_GLOBAL__N_18offset_tEEE10hipError_tPvRmT1_PNSt15iterator_traitsISL_E10value_typeET2_T3_PNSM_ISR_E10value_typeET4_jRbjT5_SX_jjP12ihipStream_tbEUlT_E2_NS1_11comp_targetILNS1_3genE4ELNS1_11target_archE910ELNS1_3gpuE8ELNS1_3repE0EEENS1_30default_config_static_selectorELNS0_4arch9wavefront6targetE0EEEvSL_
		.amdhsa_group_segment_fixed_size 0
		.amdhsa_private_segment_fixed_size 0
		.amdhsa_kernarg_size 80
		.amdhsa_user_sgpr_count 2
		.amdhsa_user_sgpr_dispatch_ptr 0
		.amdhsa_user_sgpr_queue_ptr 0
		.amdhsa_user_sgpr_kernarg_segment_ptr 1
		.amdhsa_user_sgpr_dispatch_id 0
		.amdhsa_user_sgpr_kernarg_preload_length 0
		.amdhsa_user_sgpr_kernarg_preload_offset 0
		.amdhsa_user_sgpr_private_segment_size 0
		.amdhsa_wavefront_size32 1
		.amdhsa_uses_dynamic_stack 0
		.amdhsa_enable_private_segment 0
		.amdhsa_system_sgpr_workgroup_id_x 1
		.amdhsa_system_sgpr_workgroup_id_y 0
		.amdhsa_system_sgpr_workgroup_id_z 0
		.amdhsa_system_sgpr_workgroup_info 0
		.amdhsa_system_vgpr_workitem_id 0
		.amdhsa_next_free_vgpr 1
		.amdhsa_next_free_sgpr 1
		.amdhsa_named_barrier_count 0
		.amdhsa_reserve_vcc 0
		.amdhsa_float_round_mode_32 0
		.amdhsa_float_round_mode_16_64 0
		.amdhsa_float_denorm_mode_32 3
		.amdhsa_float_denorm_mode_16_64 3
		.amdhsa_fp16_overflow 0
		.amdhsa_memory_ordered 1
		.amdhsa_forward_progress 1
		.amdhsa_inst_pref_size 0
		.amdhsa_round_robin_scheduling 0
		.amdhsa_exception_fp_ieee_invalid_op 0
		.amdhsa_exception_fp_denorm_src 0
		.amdhsa_exception_fp_ieee_div_zero 0
		.amdhsa_exception_fp_ieee_overflow 0
		.amdhsa_exception_fp_ieee_underflow 0
		.amdhsa_exception_fp_ieee_inexact 0
		.amdhsa_exception_int_div_zero 0
	.end_amdhsa_kernel
	.section	.text._ZN7rocprim17ROCPRIM_400000_NS6detail17trampoline_kernelINS0_14default_configENS1_36segmented_radix_sort_config_selectorI12hip_bfloat16lEEZNS1_25segmented_radix_sort_implIS3_Lb1EPKS5_PS5_PKlPlN2at6native12_GLOBAL__N_18offset_tEEE10hipError_tPvRmT1_PNSt15iterator_traitsISL_E10value_typeET2_T3_PNSM_ISR_E10value_typeET4_jRbjT5_SX_jjP12ihipStream_tbEUlT_E2_NS1_11comp_targetILNS1_3genE4ELNS1_11target_archE910ELNS1_3gpuE8ELNS1_3repE0EEENS1_30default_config_static_selectorELNS0_4arch9wavefront6targetE0EEEvSL_,"axG",@progbits,_ZN7rocprim17ROCPRIM_400000_NS6detail17trampoline_kernelINS0_14default_configENS1_36segmented_radix_sort_config_selectorI12hip_bfloat16lEEZNS1_25segmented_radix_sort_implIS3_Lb1EPKS5_PS5_PKlPlN2at6native12_GLOBAL__N_18offset_tEEE10hipError_tPvRmT1_PNSt15iterator_traitsISL_E10value_typeET2_T3_PNSM_ISR_E10value_typeET4_jRbjT5_SX_jjP12ihipStream_tbEUlT_E2_NS1_11comp_targetILNS1_3genE4ELNS1_11target_archE910ELNS1_3gpuE8ELNS1_3repE0EEENS1_30default_config_static_selectorELNS0_4arch9wavefront6targetE0EEEvSL_,comdat
.Lfunc_end1968:
	.size	_ZN7rocprim17ROCPRIM_400000_NS6detail17trampoline_kernelINS0_14default_configENS1_36segmented_radix_sort_config_selectorI12hip_bfloat16lEEZNS1_25segmented_radix_sort_implIS3_Lb1EPKS5_PS5_PKlPlN2at6native12_GLOBAL__N_18offset_tEEE10hipError_tPvRmT1_PNSt15iterator_traitsISL_E10value_typeET2_T3_PNSM_ISR_E10value_typeET4_jRbjT5_SX_jjP12ihipStream_tbEUlT_E2_NS1_11comp_targetILNS1_3genE4ELNS1_11target_archE910ELNS1_3gpuE8ELNS1_3repE0EEENS1_30default_config_static_selectorELNS0_4arch9wavefront6targetE0EEEvSL_, .Lfunc_end1968-_ZN7rocprim17ROCPRIM_400000_NS6detail17trampoline_kernelINS0_14default_configENS1_36segmented_radix_sort_config_selectorI12hip_bfloat16lEEZNS1_25segmented_radix_sort_implIS3_Lb1EPKS5_PS5_PKlPlN2at6native12_GLOBAL__N_18offset_tEEE10hipError_tPvRmT1_PNSt15iterator_traitsISL_E10value_typeET2_T3_PNSM_ISR_E10value_typeET4_jRbjT5_SX_jjP12ihipStream_tbEUlT_E2_NS1_11comp_targetILNS1_3genE4ELNS1_11target_archE910ELNS1_3gpuE8ELNS1_3repE0EEENS1_30default_config_static_selectorELNS0_4arch9wavefront6targetE0EEEvSL_
                                        ; -- End function
	.set _ZN7rocprim17ROCPRIM_400000_NS6detail17trampoline_kernelINS0_14default_configENS1_36segmented_radix_sort_config_selectorI12hip_bfloat16lEEZNS1_25segmented_radix_sort_implIS3_Lb1EPKS5_PS5_PKlPlN2at6native12_GLOBAL__N_18offset_tEEE10hipError_tPvRmT1_PNSt15iterator_traitsISL_E10value_typeET2_T3_PNSM_ISR_E10value_typeET4_jRbjT5_SX_jjP12ihipStream_tbEUlT_E2_NS1_11comp_targetILNS1_3genE4ELNS1_11target_archE910ELNS1_3gpuE8ELNS1_3repE0EEENS1_30default_config_static_selectorELNS0_4arch9wavefront6targetE0EEEvSL_.num_vgpr, 0
	.set _ZN7rocprim17ROCPRIM_400000_NS6detail17trampoline_kernelINS0_14default_configENS1_36segmented_radix_sort_config_selectorI12hip_bfloat16lEEZNS1_25segmented_radix_sort_implIS3_Lb1EPKS5_PS5_PKlPlN2at6native12_GLOBAL__N_18offset_tEEE10hipError_tPvRmT1_PNSt15iterator_traitsISL_E10value_typeET2_T3_PNSM_ISR_E10value_typeET4_jRbjT5_SX_jjP12ihipStream_tbEUlT_E2_NS1_11comp_targetILNS1_3genE4ELNS1_11target_archE910ELNS1_3gpuE8ELNS1_3repE0EEENS1_30default_config_static_selectorELNS0_4arch9wavefront6targetE0EEEvSL_.num_agpr, 0
	.set _ZN7rocprim17ROCPRIM_400000_NS6detail17trampoline_kernelINS0_14default_configENS1_36segmented_radix_sort_config_selectorI12hip_bfloat16lEEZNS1_25segmented_radix_sort_implIS3_Lb1EPKS5_PS5_PKlPlN2at6native12_GLOBAL__N_18offset_tEEE10hipError_tPvRmT1_PNSt15iterator_traitsISL_E10value_typeET2_T3_PNSM_ISR_E10value_typeET4_jRbjT5_SX_jjP12ihipStream_tbEUlT_E2_NS1_11comp_targetILNS1_3genE4ELNS1_11target_archE910ELNS1_3gpuE8ELNS1_3repE0EEENS1_30default_config_static_selectorELNS0_4arch9wavefront6targetE0EEEvSL_.numbered_sgpr, 0
	.set _ZN7rocprim17ROCPRIM_400000_NS6detail17trampoline_kernelINS0_14default_configENS1_36segmented_radix_sort_config_selectorI12hip_bfloat16lEEZNS1_25segmented_radix_sort_implIS3_Lb1EPKS5_PS5_PKlPlN2at6native12_GLOBAL__N_18offset_tEEE10hipError_tPvRmT1_PNSt15iterator_traitsISL_E10value_typeET2_T3_PNSM_ISR_E10value_typeET4_jRbjT5_SX_jjP12ihipStream_tbEUlT_E2_NS1_11comp_targetILNS1_3genE4ELNS1_11target_archE910ELNS1_3gpuE8ELNS1_3repE0EEENS1_30default_config_static_selectorELNS0_4arch9wavefront6targetE0EEEvSL_.num_named_barrier, 0
	.set _ZN7rocprim17ROCPRIM_400000_NS6detail17trampoline_kernelINS0_14default_configENS1_36segmented_radix_sort_config_selectorI12hip_bfloat16lEEZNS1_25segmented_radix_sort_implIS3_Lb1EPKS5_PS5_PKlPlN2at6native12_GLOBAL__N_18offset_tEEE10hipError_tPvRmT1_PNSt15iterator_traitsISL_E10value_typeET2_T3_PNSM_ISR_E10value_typeET4_jRbjT5_SX_jjP12ihipStream_tbEUlT_E2_NS1_11comp_targetILNS1_3genE4ELNS1_11target_archE910ELNS1_3gpuE8ELNS1_3repE0EEENS1_30default_config_static_selectorELNS0_4arch9wavefront6targetE0EEEvSL_.private_seg_size, 0
	.set _ZN7rocprim17ROCPRIM_400000_NS6detail17trampoline_kernelINS0_14default_configENS1_36segmented_radix_sort_config_selectorI12hip_bfloat16lEEZNS1_25segmented_radix_sort_implIS3_Lb1EPKS5_PS5_PKlPlN2at6native12_GLOBAL__N_18offset_tEEE10hipError_tPvRmT1_PNSt15iterator_traitsISL_E10value_typeET2_T3_PNSM_ISR_E10value_typeET4_jRbjT5_SX_jjP12ihipStream_tbEUlT_E2_NS1_11comp_targetILNS1_3genE4ELNS1_11target_archE910ELNS1_3gpuE8ELNS1_3repE0EEENS1_30default_config_static_selectorELNS0_4arch9wavefront6targetE0EEEvSL_.uses_vcc, 0
	.set _ZN7rocprim17ROCPRIM_400000_NS6detail17trampoline_kernelINS0_14default_configENS1_36segmented_radix_sort_config_selectorI12hip_bfloat16lEEZNS1_25segmented_radix_sort_implIS3_Lb1EPKS5_PS5_PKlPlN2at6native12_GLOBAL__N_18offset_tEEE10hipError_tPvRmT1_PNSt15iterator_traitsISL_E10value_typeET2_T3_PNSM_ISR_E10value_typeET4_jRbjT5_SX_jjP12ihipStream_tbEUlT_E2_NS1_11comp_targetILNS1_3genE4ELNS1_11target_archE910ELNS1_3gpuE8ELNS1_3repE0EEENS1_30default_config_static_selectorELNS0_4arch9wavefront6targetE0EEEvSL_.uses_flat_scratch, 0
	.set _ZN7rocprim17ROCPRIM_400000_NS6detail17trampoline_kernelINS0_14default_configENS1_36segmented_radix_sort_config_selectorI12hip_bfloat16lEEZNS1_25segmented_radix_sort_implIS3_Lb1EPKS5_PS5_PKlPlN2at6native12_GLOBAL__N_18offset_tEEE10hipError_tPvRmT1_PNSt15iterator_traitsISL_E10value_typeET2_T3_PNSM_ISR_E10value_typeET4_jRbjT5_SX_jjP12ihipStream_tbEUlT_E2_NS1_11comp_targetILNS1_3genE4ELNS1_11target_archE910ELNS1_3gpuE8ELNS1_3repE0EEENS1_30default_config_static_selectorELNS0_4arch9wavefront6targetE0EEEvSL_.has_dyn_sized_stack, 0
	.set _ZN7rocprim17ROCPRIM_400000_NS6detail17trampoline_kernelINS0_14default_configENS1_36segmented_radix_sort_config_selectorI12hip_bfloat16lEEZNS1_25segmented_radix_sort_implIS3_Lb1EPKS5_PS5_PKlPlN2at6native12_GLOBAL__N_18offset_tEEE10hipError_tPvRmT1_PNSt15iterator_traitsISL_E10value_typeET2_T3_PNSM_ISR_E10value_typeET4_jRbjT5_SX_jjP12ihipStream_tbEUlT_E2_NS1_11comp_targetILNS1_3genE4ELNS1_11target_archE910ELNS1_3gpuE8ELNS1_3repE0EEENS1_30default_config_static_selectorELNS0_4arch9wavefront6targetE0EEEvSL_.has_recursion, 0
	.set _ZN7rocprim17ROCPRIM_400000_NS6detail17trampoline_kernelINS0_14default_configENS1_36segmented_radix_sort_config_selectorI12hip_bfloat16lEEZNS1_25segmented_radix_sort_implIS3_Lb1EPKS5_PS5_PKlPlN2at6native12_GLOBAL__N_18offset_tEEE10hipError_tPvRmT1_PNSt15iterator_traitsISL_E10value_typeET2_T3_PNSM_ISR_E10value_typeET4_jRbjT5_SX_jjP12ihipStream_tbEUlT_E2_NS1_11comp_targetILNS1_3genE4ELNS1_11target_archE910ELNS1_3gpuE8ELNS1_3repE0EEENS1_30default_config_static_selectorELNS0_4arch9wavefront6targetE0EEEvSL_.has_indirect_call, 0
	.section	.AMDGPU.csdata,"",@progbits
; Kernel info:
; codeLenInByte = 0
; TotalNumSgprs: 0
; NumVgprs: 0
; ScratchSize: 0
; MemoryBound: 0
; FloatMode: 240
; IeeeMode: 1
; LDSByteSize: 0 bytes/workgroup (compile time only)
; SGPRBlocks: 0
; VGPRBlocks: 0
; NumSGPRsForWavesPerEU: 1
; NumVGPRsForWavesPerEU: 1
; NamedBarCnt: 0
; Occupancy: 16
; WaveLimiterHint : 0
; COMPUTE_PGM_RSRC2:SCRATCH_EN: 0
; COMPUTE_PGM_RSRC2:USER_SGPR: 2
; COMPUTE_PGM_RSRC2:TRAP_HANDLER: 0
; COMPUTE_PGM_RSRC2:TGID_X_EN: 1
; COMPUTE_PGM_RSRC2:TGID_Y_EN: 0
; COMPUTE_PGM_RSRC2:TGID_Z_EN: 0
; COMPUTE_PGM_RSRC2:TIDIG_COMP_CNT: 0
	.section	.text._ZN7rocprim17ROCPRIM_400000_NS6detail17trampoline_kernelINS0_14default_configENS1_36segmented_radix_sort_config_selectorI12hip_bfloat16lEEZNS1_25segmented_radix_sort_implIS3_Lb1EPKS5_PS5_PKlPlN2at6native12_GLOBAL__N_18offset_tEEE10hipError_tPvRmT1_PNSt15iterator_traitsISL_E10value_typeET2_T3_PNSM_ISR_E10value_typeET4_jRbjT5_SX_jjP12ihipStream_tbEUlT_E2_NS1_11comp_targetILNS1_3genE3ELNS1_11target_archE908ELNS1_3gpuE7ELNS1_3repE0EEENS1_30default_config_static_selectorELNS0_4arch9wavefront6targetE0EEEvSL_,"axG",@progbits,_ZN7rocprim17ROCPRIM_400000_NS6detail17trampoline_kernelINS0_14default_configENS1_36segmented_radix_sort_config_selectorI12hip_bfloat16lEEZNS1_25segmented_radix_sort_implIS3_Lb1EPKS5_PS5_PKlPlN2at6native12_GLOBAL__N_18offset_tEEE10hipError_tPvRmT1_PNSt15iterator_traitsISL_E10value_typeET2_T3_PNSM_ISR_E10value_typeET4_jRbjT5_SX_jjP12ihipStream_tbEUlT_E2_NS1_11comp_targetILNS1_3genE3ELNS1_11target_archE908ELNS1_3gpuE7ELNS1_3repE0EEENS1_30default_config_static_selectorELNS0_4arch9wavefront6targetE0EEEvSL_,comdat
	.globl	_ZN7rocprim17ROCPRIM_400000_NS6detail17trampoline_kernelINS0_14default_configENS1_36segmented_radix_sort_config_selectorI12hip_bfloat16lEEZNS1_25segmented_radix_sort_implIS3_Lb1EPKS5_PS5_PKlPlN2at6native12_GLOBAL__N_18offset_tEEE10hipError_tPvRmT1_PNSt15iterator_traitsISL_E10value_typeET2_T3_PNSM_ISR_E10value_typeET4_jRbjT5_SX_jjP12ihipStream_tbEUlT_E2_NS1_11comp_targetILNS1_3genE3ELNS1_11target_archE908ELNS1_3gpuE7ELNS1_3repE0EEENS1_30default_config_static_selectorELNS0_4arch9wavefront6targetE0EEEvSL_ ; -- Begin function _ZN7rocprim17ROCPRIM_400000_NS6detail17trampoline_kernelINS0_14default_configENS1_36segmented_radix_sort_config_selectorI12hip_bfloat16lEEZNS1_25segmented_radix_sort_implIS3_Lb1EPKS5_PS5_PKlPlN2at6native12_GLOBAL__N_18offset_tEEE10hipError_tPvRmT1_PNSt15iterator_traitsISL_E10value_typeET2_T3_PNSM_ISR_E10value_typeET4_jRbjT5_SX_jjP12ihipStream_tbEUlT_E2_NS1_11comp_targetILNS1_3genE3ELNS1_11target_archE908ELNS1_3gpuE7ELNS1_3repE0EEENS1_30default_config_static_selectorELNS0_4arch9wavefront6targetE0EEEvSL_
	.p2align	8
	.type	_ZN7rocprim17ROCPRIM_400000_NS6detail17trampoline_kernelINS0_14default_configENS1_36segmented_radix_sort_config_selectorI12hip_bfloat16lEEZNS1_25segmented_radix_sort_implIS3_Lb1EPKS5_PS5_PKlPlN2at6native12_GLOBAL__N_18offset_tEEE10hipError_tPvRmT1_PNSt15iterator_traitsISL_E10value_typeET2_T3_PNSM_ISR_E10value_typeET4_jRbjT5_SX_jjP12ihipStream_tbEUlT_E2_NS1_11comp_targetILNS1_3genE3ELNS1_11target_archE908ELNS1_3gpuE7ELNS1_3repE0EEENS1_30default_config_static_selectorELNS0_4arch9wavefront6targetE0EEEvSL_,@function
_ZN7rocprim17ROCPRIM_400000_NS6detail17trampoline_kernelINS0_14default_configENS1_36segmented_radix_sort_config_selectorI12hip_bfloat16lEEZNS1_25segmented_radix_sort_implIS3_Lb1EPKS5_PS5_PKlPlN2at6native12_GLOBAL__N_18offset_tEEE10hipError_tPvRmT1_PNSt15iterator_traitsISL_E10value_typeET2_T3_PNSM_ISR_E10value_typeET4_jRbjT5_SX_jjP12ihipStream_tbEUlT_E2_NS1_11comp_targetILNS1_3genE3ELNS1_11target_archE908ELNS1_3gpuE7ELNS1_3repE0EEENS1_30default_config_static_selectorELNS0_4arch9wavefront6targetE0EEEvSL_: ; @_ZN7rocprim17ROCPRIM_400000_NS6detail17trampoline_kernelINS0_14default_configENS1_36segmented_radix_sort_config_selectorI12hip_bfloat16lEEZNS1_25segmented_radix_sort_implIS3_Lb1EPKS5_PS5_PKlPlN2at6native12_GLOBAL__N_18offset_tEEE10hipError_tPvRmT1_PNSt15iterator_traitsISL_E10value_typeET2_T3_PNSM_ISR_E10value_typeET4_jRbjT5_SX_jjP12ihipStream_tbEUlT_E2_NS1_11comp_targetILNS1_3genE3ELNS1_11target_archE908ELNS1_3gpuE7ELNS1_3repE0EEENS1_30default_config_static_selectorELNS0_4arch9wavefront6targetE0EEEvSL_
; %bb.0:
	.section	.rodata,"a",@progbits
	.p2align	6, 0x0
	.amdhsa_kernel _ZN7rocprim17ROCPRIM_400000_NS6detail17trampoline_kernelINS0_14default_configENS1_36segmented_radix_sort_config_selectorI12hip_bfloat16lEEZNS1_25segmented_radix_sort_implIS3_Lb1EPKS5_PS5_PKlPlN2at6native12_GLOBAL__N_18offset_tEEE10hipError_tPvRmT1_PNSt15iterator_traitsISL_E10value_typeET2_T3_PNSM_ISR_E10value_typeET4_jRbjT5_SX_jjP12ihipStream_tbEUlT_E2_NS1_11comp_targetILNS1_3genE3ELNS1_11target_archE908ELNS1_3gpuE7ELNS1_3repE0EEENS1_30default_config_static_selectorELNS0_4arch9wavefront6targetE0EEEvSL_
		.amdhsa_group_segment_fixed_size 0
		.amdhsa_private_segment_fixed_size 0
		.amdhsa_kernarg_size 80
		.amdhsa_user_sgpr_count 2
		.amdhsa_user_sgpr_dispatch_ptr 0
		.amdhsa_user_sgpr_queue_ptr 0
		.amdhsa_user_sgpr_kernarg_segment_ptr 1
		.amdhsa_user_sgpr_dispatch_id 0
		.amdhsa_user_sgpr_kernarg_preload_length 0
		.amdhsa_user_sgpr_kernarg_preload_offset 0
		.amdhsa_user_sgpr_private_segment_size 0
		.amdhsa_wavefront_size32 1
		.amdhsa_uses_dynamic_stack 0
		.amdhsa_enable_private_segment 0
		.amdhsa_system_sgpr_workgroup_id_x 1
		.amdhsa_system_sgpr_workgroup_id_y 0
		.amdhsa_system_sgpr_workgroup_id_z 0
		.amdhsa_system_sgpr_workgroup_info 0
		.amdhsa_system_vgpr_workitem_id 0
		.amdhsa_next_free_vgpr 1
		.amdhsa_next_free_sgpr 1
		.amdhsa_named_barrier_count 0
		.amdhsa_reserve_vcc 0
		.amdhsa_float_round_mode_32 0
		.amdhsa_float_round_mode_16_64 0
		.amdhsa_float_denorm_mode_32 3
		.amdhsa_float_denorm_mode_16_64 3
		.amdhsa_fp16_overflow 0
		.amdhsa_memory_ordered 1
		.amdhsa_forward_progress 1
		.amdhsa_inst_pref_size 0
		.amdhsa_round_robin_scheduling 0
		.amdhsa_exception_fp_ieee_invalid_op 0
		.amdhsa_exception_fp_denorm_src 0
		.amdhsa_exception_fp_ieee_div_zero 0
		.amdhsa_exception_fp_ieee_overflow 0
		.amdhsa_exception_fp_ieee_underflow 0
		.amdhsa_exception_fp_ieee_inexact 0
		.amdhsa_exception_int_div_zero 0
	.end_amdhsa_kernel
	.section	.text._ZN7rocprim17ROCPRIM_400000_NS6detail17trampoline_kernelINS0_14default_configENS1_36segmented_radix_sort_config_selectorI12hip_bfloat16lEEZNS1_25segmented_radix_sort_implIS3_Lb1EPKS5_PS5_PKlPlN2at6native12_GLOBAL__N_18offset_tEEE10hipError_tPvRmT1_PNSt15iterator_traitsISL_E10value_typeET2_T3_PNSM_ISR_E10value_typeET4_jRbjT5_SX_jjP12ihipStream_tbEUlT_E2_NS1_11comp_targetILNS1_3genE3ELNS1_11target_archE908ELNS1_3gpuE7ELNS1_3repE0EEENS1_30default_config_static_selectorELNS0_4arch9wavefront6targetE0EEEvSL_,"axG",@progbits,_ZN7rocprim17ROCPRIM_400000_NS6detail17trampoline_kernelINS0_14default_configENS1_36segmented_radix_sort_config_selectorI12hip_bfloat16lEEZNS1_25segmented_radix_sort_implIS3_Lb1EPKS5_PS5_PKlPlN2at6native12_GLOBAL__N_18offset_tEEE10hipError_tPvRmT1_PNSt15iterator_traitsISL_E10value_typeET2_T3_PNSM_ISR_E10value_typeET4_jRbjT5_SX_jjP12ihipStream_tbEUlT_E2_NS1_11comp_targetILNS1_3genE3ELNS1_11target_archE908ELNS1_3gpuE7ELNS1_3repE0EEENS1_30default_config_static_selectorELNS0_4arch9wavefront6targetE0EEEvSL_,comdat
.Lfunc_end1969:
	.size	_ZN7rocprim17ROCPRIM_400000_NS6detail17trampoline_kernelINS0_14default_configENS1_36segmented_radix_sort_config_selectorI12hip_bfloat16lEEZNS1_25segmented_radix_sort_implIS3_Lb1EPKS5_PS5_PKlPlN2at6native12_GLOBAL__N_18offset_tEEE10hipError_tPvRmT1_PNSt15iterator_traitsISL_E10value_typeET2_T3_PNSM_ISR_E10value_typeET4_jRbjT5_SX_jjP12ihipStream_tbEUlT_E2_NS1_11comp_targetILNS1_3genE3ELNS1_11target_archE908ELNS1_3gpuE7ELNS1_3repE0EEENS1_30default_config_static_selectorELNS0_4arch9wavefront6targetE0EEEvSL_, .Lfunc_end1969-_ZN7rocprim17ROCPRIM_400000_NS6detail17trampoline_kernelINS0_14default_configENS1_36segmented_radix_sort_config_selectorI12hip_bfloat16lEEZNS1_25segmented_radix_sort_implIS3_Lb1EPKS5_PS5_PKlPlN2at6native12_GLOBAL__N_18offset_tEEE10hipError_tPvRmT1_PNSt15iterator_traitsISL_E10value_typeET2_T3_PNSM_ISR_E10value_typeET4_jRbjT5_SX_jjP12ihipStream_tbEUlT_E2_NS1_11comp_targetILNS1_3genE3ELNS1_11target_archE908ELNS1_3gpuE7ELNS1_3repE0EEENS1_30default_config_static_selectorELNS0_4arch9wavefront6targetE0EEEvSL_
                                        ; -- End function
	.set _ZN7rocprim17ROCPRIM_400000_NS6detail17trampoline_kernelINS0_14default_configENS1_36segmented_radix_sort_config_selectorI12hip_bfloat16lEEZNS1_25segmented_radix_sort_implIS3_Lb1EPKS5_PS5_PKlPlN2at6native12_GLOBAL__N_18offset_tEEE10hipError_tPvRmT1_PNSt15iterator_traitsISL_E10value_typeET2_T3_PNSM_ISR_E10value_typeET4_jRbjT5_SX_jjP12ihipStream_tbEUlT_E2_NS1_11comp_targetILNS1_3genE3ELNS1_11target_archE908ELNS1_3gpuE7ELNS1_3repE0EEENS1_30default_config_static_selectorELNS0_4arch9wavefront6targetE0EEEvSL_.num_vgpr, 0
	.set _ZN7rocprim17ROCPRIM_400000_NS6detail17trampoline_kernelINS0_14default_configENS1_36segmented_radix_sort_config_selectorI12hip_bfloat16lEEZNS1_25segmented_radix_sort_implIS3_Lb1EPKS5_PS5_PKlPlN2at6native12_GLOBAL__N_18offset_tEEE10hipError_tPvRmT1_PNSt15iterator_traitsISL_E10value_typeET2_T3_PNSM_ISR_E10value_typeET4_jRbjT5_SX_jjP12ihipStream_tbEUlT_E2_NS1_11comp_targetILNS1_3genE3ELNS1_11target_archE908ELNS1_3gpuE7ELNS1_3repE0EEENS1_30default_config_static_selectorELNS0_4arch9wavefront6targetE0EEEvSL_.num_agpr, 0
	.set _ZN7rocprim17ROCPRIM_400000_NS6detail17trampoline_kernelINS0_14default_configENS1_36segmented_radix_sort_config_selectorI12hip_bfloat16lEEZNS1_25segmented_radix_sort_implIS3_Lb1EPKS5_PS5_PKlPlN2at6native12_GLOBAL__N_18offset_tEEE10hipError_tPvRmT1_PNSt15iterator_traitsISL_E10value_typeET2_T3_PNSM_ISR_E10value_typeET4_jRbjT5_SX_jjP12ihipStream_tbEUlT_E2_NS1_11comp_targetILNS1_3genE3ELNS1_11target_archE908ELNS1_3gpuE7ELNS1_3repE0EEENS1_30default_config_static_selectorELNS0_4arch9wavefront6targetE0EEEvSL_.numbered_sgpr, 0
	.set _ZN7rocprim17ROCPRIM_400000_NS6detail17trampoline_kernelINS0_14default_configENS1_36segmented_radix_sort_config_selectorI12hip_bfloat16lEEZNS1_25segmented_radix_sort_implIS3_Lb1EPKS5_PS5_PKlPlN2at6native12_GLOBAL__N_18offset_tEEE10hipError_tPvRmT1_PNSt15iterator_traitsISL_E10value_typeET2_T3_PNSM_ISR_E10value_typeET4_jRbjT5_SX_jjP12ihipStream_tbEUlT_E2_NS1_11comp_targetILNS1_3genE3ELNS1_11target_archE908ELNS1_3gpuE7ELNS1_3repE0EEENS1_30default_config_static_selectorELNS0_4arch9wavefront6targetE0EEEvSL_.num_named_barrier, 0
	.set _ZN7rocprim17ROCPRIM_400000_NS6detail17trampoline_kernelINS0_14default_configENS1_36segmented_radix_sort_config_selectorI12hip_bfloat16lEEZNS1_25segmented_radix_sort_implIS3_Lb1EPKS5_PS5_PKlPlN2at6native12_GLOBAL__N_18offset_tEEE10hipError_tPvRmT1_PNSt15iterator_traitsISL_E10value_typeET2_T3_PNSM_ISR_E10value_typeET4_jRbjT5_SX_jjP12ihipStream_tbEUlT_E2_NS1_11comp_targetILNS1_3genE3ELNS1_11target_archE908ELNS1_3gpuE7ELNS1_3repE0EEENS1_30default_config_static_selectorELNS0_4arch9wavefront6targetE0EEEvSL_.private_seg_size, 0
	.set _ZN7rocprim17ROCPRIM_400000_NS6detail17trampoline_kernelINS0_14default_configENS1_36segmented_radix_sort_config_selectorI12hip_bfloat16lEEZNS1_25segmented_radix_sort_implIS3_Lb1EPKS5_PS5_PKlPlN2at6native12_GLOBAL__N_18offset_tEEE10hipError_tPvRmT1_PNSt15iterator_traitsISL_E10value_typeET2_T3_PNSM_ISR_E10value_typeET4_jRbjT5_SX_jjP12ihipStream_tbEUlT_E2_NS1_11comp_targetILNS1_3genE3ELNS1_11target_archE908ELNS1_3gpuE7ELNS1_3repE0EEENS1_30default_config_static_selectorELNS0_4arch9wavefront6targetE0EEEvSL_.uses_vcc, 0
	.set _ZN7rocprim17ROCPRIM_400000_NS6detail17trampoline_kernelINS0_14default_configENS1_36segmented_radix_sort_config_selectorI12hip_bfloat16lEEZNS1_25segmented_radix_sort_implIS3_Lb1EPKS5_PS5_PKlPlN2at6native12_GLOBAL__N_18offset_tEEE10hipError_tPvRmT1_PNSt15iterator_traitsISL_E10value_typeET2_T3_PNSM_ISR_E10value_typeET4_jRbjT5_SX_jjP12ihipStream_tbEUlT_E2_NS1_11comp_targetILNS1_3genE3ELNS1_11target_archE908ELNS1_3gpuE7ELNS1_3repE0EEENS1_30default_config_static_selectorELNS0_4arch9wavefront6targetE0EEEvSL_.uses_flat_scratch, 0
	.set _ZN7rocprim17ROCPRIM_400000_NS6detail17trampoline_kernelINS0_14default_configENS1_36segmented_radix_sort_config_selectorI12hip_bfloat16lEEZNS1_25segmented_radix_sort_implIS3_Lb1EPKS5_PS5_PKlPlN2at6native12_GLOBAL__N_18offset_tEEE10hipError_tPvRmT1_PNSt15iterator_traitsISL_E10value_typeET2_T3_PNSM_ISR_E10value_typeET4_jRbjT5_SX_jjP12ihipStream_tbEUlT_E2_NS1_11comp_targetILNS1_3genE3ELNS1_11target_archE908ELNS1_3gpuE7ELNS1_3repE0EEENS1_30default_config_static_selectorELNS0_4arch9wavefront6targetE0EEEvSL_.has_dyn_sized_stack, 0
	.set _ZN7rocprim17ROCPRIM_400000_NS6detail17trampoline_kernelINS0_14default_configENS1_36segmented_radix_sort_config_selectorI12hip_bfloat16lEEZNS1_25segmented_radix_sort_implIS3_Lb1EPKS5_PS5_PKlPlN2at6native12_GLOBAL__N_18offset_tEEE10hipError_tPvRmT1_PNSt15iterator_traitsISL_E10value_typeET2_T3_PNSM_ISR_E10value_typeET4_jRbjT5_SX_jjP12ihipStream_tbEUlT_E2_NS1_11comp_targetILNS1_3genE3ELNS1_11target_archE908ELNS1_3gpuE7ELNS1_3repE0EEENS1_30default_config_static_selectorELNS0_4arch9wavefront6targetE0EEEvSL_.has_recursion, 0
	.set _ZN7rocprim17ROCPRIM_400000_NS6detail17trampoline_kernelINS0_14default_configENS1_36segmented_radix_sort_config_selectorI12hip_bfloat16lEEZNS1_25segmented_radix_sort_implIS3_Lb1EPKS5_PS5_PKlPlN2at6native12_GLOBAL__N_18offset_tEEE10hipError_tPvRmT1_PNSt15iterator_traitsISL_E10value_typeET2_T3_PNSM_ISR_E10value_typeET4_jRbjT5_SX_jjP12ihipStream_tbEUlT_E2_NS1_11comp_targetILNS1_3genE3ELNS1_11target_archE908ELNS1_3gpuE7ELNS1_3repE0EEENS1_30default_config_static_selectorELNS0_4arch9wavefront6targetE0EEEvSL_.has_indirect_call, 0
	.section	.AMDGPU.csdata,"",@progbits
; Kernel info:
; codeLenInByte = 0
; TotalNumSgprs: 0
; NumVgprs: 0
; ScratchSize: 0
; MemoryBound: 0
; FloatMode: 240
; IeeeMode: 1
; LDSByteSize: 0 bytes/workgroup (compile time only)
; SGPRBlocks: 0
; VGPRBlocks: 0
; NumSGPRsForWavesPerEU: 1
; NumVGPRsForWavesPerEU: 1
; NamedBarCnt: 0
; Occupancy: 16
; WaveLimiterHint : 0
; COMPUTE_PGM_RSRC2:SCRATCH_EN: 0
; COMPUTE_PGM_RSRC2:USER_SGPR: 2
; COMPUTE_PGM_RSRC2:TRAP_HANDLER: 0
; COMPUTE_PGM_RSRC2:TGID_X_EN: 1
; COMPUTE_PGM_RSRC2:TGID_Y_EN: 0
; COMPUTE_PGM_RSRC2:TGID_Z_EN: 0
; COMPUTE_PGM_RSRC2:TIDIG_COMP_CNT: 0
	.section	.text._ZN7rocprim17ROCPRIM_400000_NS6detail17trampoline_kernelINS0_14default_configENS1_36segmented_radix_sort_config_selectorI12hip_bfloat16lEEZNS1_25segmented_radix_sort_implIS3_Lb1EPKS5_PS5_PKlPlN2at6native12_GLOBAL__N_18offset_tEEE10hipError_tPvRmT1_PNSt15iterator_traitsISL_E10value_typeET2_T3_PNSM_ISR_E10value_typeET4_jRbjT5_SX_jjP12ihipStream_tbEUlT_E2_NS1_11comp_targetILNS1_3genE2ELNS1_11target_archE906ELNS1_3gpuE6ELNS1_3repE0EEENS1_30default_config_static_selectorELNS0_4arch9wavefront6targetE0EEEvSL_,"axG",@progbits,_ZN7rocprim17ROCPRIM_400000_NS6detail17trampoline_kernelINS0_14default_configENS1_36segmented_radix_sort_config_selectorI12hip_bfloat16lEEZNS1_25segmented_radix_sort_implIS3_Lb1EPKS5_PS5_PKlPlN2at6native12_GLOBAL__N_18offset_tEEE10hipError_tPvRmT1_PNSt15iterator_traitsISL_E10value_typeET2_T3_PNSM_ISR_E10value_typeET4_jRbjT5_SX_jjP12ihipStream_tbEUlT_E2_NS1_11comp_targetILNS1_3genE2ELNS1_11target_archE906ELNS1_3gpuE6ELNS1_3repE0EEENS1_30default_config_static_selectorELNS0_4arch9wavefront6targetE0EEEvSL_,comdat
	.globl	_ZN7rocprim17ROCPRIM_400000_NS6detail17trampoline_kernelINS0_14default_configENS1_36segmented_radix_sort_config_selectorI12hip_bfloat16lEEZNS1_25segmented_radix_sort_implIS3_Lb1EPKS5_PS5_PKlPlN2at6native12_GLOBAL__N_18offset_tEEE10hipError_tPvRmT1_PNSt15iterator_traitsISL_E10value_typeET2_T3_PNSM_ISR_E10value_typeET4_jRbjT5_SX_jjP12ihipStream_tbEUlT_E2_NS1_11comp_targetILNS1_3genE2ELNS1_11target_archE906ELNS1_3gpuE6ELNS1_3repE0EEENS1_30default_config_static_selectorELNS0_4arch9wavefront6targetE0EEEvSL_ ; -- Begin function _ZN7rocprim17ROCPRIM_400000_NS6detail17trampoline_kernelINS0_14default_configENS1_36segmented_radix_sort_config_selectorI12hip_bfloat16lEEZNS1_25segmented_radix_sort_implIS3_Lb1EPKS5_PS5_PKlPlN2at6native12_GLOBAL__N_18offset_tEEE10hipError_tPvRmT1_PNSt15iterator_traitsISL_E10value_typeET2_T3_PNSM_ISR_E10value_typeET4_jRbjT5_SX_jjP12ihipStream_tbEUlT_E2_NS1_11comp_targetILNS1_3genE2ELNS1_11target_archE906ELNS1_3gpuE6ELNS1_3repE0EEENS1_30default_config_static_selectorELNS0_4arch9wavefront6targetE0EEEvSL_
	.p2align	8
	.type	_ZN7rocprim17ROCPRIM_400000_NS6detail17trampoline_kernelINS0_14default_configENS1_36segmented_radix_sort_config_selectorI12hip_bfloat16lEEZNS1_25segmented_radix_sort_implIS3_Lb1EPKS5_PS5_PKlPlN2at6native12_GLOBAL__N_18offset_tEEE10hipError_tPvRmT1_PNSt15iterator_traitsISL_E10value_typeET2_T3_PNSM_ISR_E10value_typeET4_jRbjT5_SX_jjP12ihipStream_tbEUlT_E2_NS1_11comp_targetILNS1_3genE2ELNS1_11target_archE906ELNS1_3gpuE6ELNS1_3repE0EEENS1_30default_config_static_selectorELNS0_4arch9wavefront6targetE0EEEvSL_,@function
_ZN7rocprim17ROCPRIM_400000_NS6detail17trampoline_kernelINS0_14default_configENS1_36segmented_radix_sort_config_selectorI12hip_bfloat16lEEZNS1_25segmented_radix_sort_implIS3_Lb1EPKS5_PS5_PKlPlN2at6native12_GLOBAL__N_18offset_tEEE10hipError_tPvRmT1_PNSt15iterator_traitsISL_E10value_typeET2_T3_PNSM_ISR_E10value_typeET4_jRbjT5_SX_jjP12ihipStream_tbEUlT_E2_NS1_11comp_targetILNS1_3genE2ELNS1_11target_archE906ELNS1_3gpuE6ELNS1_3repE0EEENS1_30default_config_static_selectorELNS0_4arch9wavefront6targetE0EEEvSL_: ; @_ZN7rocprim17ROCPRIM_400000_NS6detail17trampoline_kernelINS0_14default_configENS1_36segmented_radix_sort_config_selectorI12hip_bfloat16lEEZNS1_25segmented_radix_sort_implIS3_Lb1EPKS5_PS5_PKlPlN2at6native12_GLOBAL__N_18offset_tEEE10hipError_tPvRmT1_PNSt15iterator_traitsISL_E10value_typeET2_T3_PNSM_ISR_E10value_typeET4_jRbjT5_SX_jjP12ihipStream_tbEUlT_E2_NS1_11comp_targetILNS1_3genE2ELNS1_11target_archE906ELNS1_3gpuE6ELNS1_3repE0EEENS1_30default_config_static_selectorELNS0_4arch9wavefront6targetE0EEEvSL_
; %bb.0:
	.section	.rodata,"a",@progbits
	.p2align	6, 0x0
	.amdhsa_kernel _ZN7rocprim17ROCPRIM_400000_NS6detail17trampoline_kernelINS0_14default_configENS1_36segmented_radix_sort_config_selectorI12hip_bfloat16lEEZNS1_25segmented_radix_sort_implIS3_Lb1EPKS5_PS5_PKlPlN2at6native12_GLOBAL__N_18offset_tEEE10hipError_tPvRmT1_PNSt15iterator_traitsISL_E10value_typeET2_T3_PNSM_ISR_E10value_typeET4_jRbjT5_SX_jjP12ihipStream_tbEUlT_E2_NS1_11comp_targetILNS1_3genE2ELNS1_11target_archE906ELNS1_3gpuE6ELNS1_3repE0EEENS1_30default_config_static_selectorELNS0_4arch9wavefront6targetE0EEEvSL_
		.amdhsa_group_segment_fixed_size 0
		.amdhsa_private_segment_fixed_size 0
		.amdhsa_kernarg_size 80
		.amdhsa_user_sgpr_count 2
		.amdhsa_user_sgpr_dispatch_ptr 0
		.amdhsa_user_sgpr_queue_ptr 0
		.amdhsa_user_sgpr_kernarg_segment_ptr 1
		.amdhsa_user_sgpr_dispatch_id 0
		.amdhsa_user_sgpr_kernarg_preload_length 0
		.amdhsa_user_sgpr_kernarg_preload_offset 0
		.amdhsa_user_sgpr_private_segment_size 0
		.amdhsa_wavefront_size32 1
		.amdhsa_uses_dynamic_stack 0
		.amdhsa_enable_private_segment 0
		.amdhsa_system_sgpr_workgroup_id_x 1
		.amdhsa_system_sgpr_workgroup_id_y 0
		.amdhsa_system_sgpr_workgroup_id_z 0
		.amdhsa_system_sgpr_workgroup_info 0
		.amdhsa_system_vgpr_workitem_id 0
		.amdhsa_next_free_vgpr 1
		.amdhsa_next_free_sgpr 1
		.amdhsa_named_barrier_count 0
		.amdhsa_reserve_vcc 0
		.amdhsa_float_round_mode_32 0
		.amdhsa_float_round_mode_16_64 0
		.amdhsa_float_denorm_mode_32 3
		.amdhsa_float_denorm_mode_16_64 3
		.amdhsa_fp16_overflow 0
		.amdhsa_memory_ordered 1
		.amdhsa_forward_progress 1
		.amdhsa_inst_pref_size 0
		.amdhsa_round_robin_scheduling 0
		.amdhsa_exception_fp_ieee_invalid_op 0
		.amdhsa_exception_fp_denorm_src 0
		.amdhsa_exception_fp_ieee_div_zero 0
		.amdhsa_exception_fp_ieee_overflow 0
		.amdhsa_exception_fp_ieee_underflow 0
		.amdhsa_exception_fp_ieee_inexact 0
		.amdhsa_exception_int_div_zero 0
	.end_amdhsa_kernel
	.section	.text._ZN7rocprim17ROCPRIM_400000_NS6detail17trampoline_kernelINS0_14default_configENS1_36segmented_radix_sort_config_selectorI12hip_bfloat16lEEZNS1_25segmented_radix_sort_implIS3_Lb1EPKS5_PS5_PKlPlN2at6native12_GLOBAL__N_18offset_tEEE10hipError_tPvRmT1_PNSt15iterator_traitsISL_E10value_typeET2_T3_PNSM_ISR_E10value_typeET4_jRbjT5_SX_jjP12ihipStream_tbEUlT_E2_NS1_11comp_targetILNS1_3genE2ELNS1_11target_archE906ELNS1_3gpuE6ELNS1_3repE0EEENS1_30default_config_static_selectorELNS0_4arch9wavefront6targetE0EEEvSL_,"axG",@progbits,_ZN7rocprim17ROCPRIM_400000_NS6detail17trampoline_kernelINS0_14default_configENS1_36segmented_radix_sort_config_selectorI12hip_bfloat16lEEZNS1_25segmented_radix_sort_implIS3_Lb1EPKS5_PS5_PKlPlN2at6native12_GLOBAL__N_18offset_tEEE10hipError_tPvRmT1_PNSt15iterator_traitsISL_E10value_typeET2_T3_PNSM_ISR_E10value_typeET4_jRbjT5_SX_jjP12ihipStream_tbEUlT_E2_NS1_11comp_targetILNS1_3genE2ELNS1_11target_archE906ELNS1_3gpuE6ELNS1_3repE0EEENS1_30default_config_static_selectorELNS0_4arch9wavefront6targetE0EEEvSL_,comdat
.Lfunc_end1970:
	.size	_ZN7rocprim17ROCPRIM_400000_NS6detail17trampoline_kernelINS0_14default_configENS1_36segmented_radix_sort_config_selectorI12hip_bfloat16lEEZNS1_25segmented_radix_sort_implIS3_Lb1EPKS5_PS5_PKlPlN2at6native12_GLOBAL__N_18offset_tEEE10hipError_tPvRmT1_PNSt15iterator_traitsISL_E10value_typeET2_T3_PNSM_ISR_E10value_typeET4_jRbjT5_SX_jjP12ihipStream_tbEUlT_E2_NS1_11comp_targetILNS1_3genE2ELNS1_11target_archE906ELNS1_3gpuE6ELNS1_3repE0EEENS1_30default_config_static_selectorELNS0_4arch9wavefront6targetE0EEEvSL_, .Lfunc_end1970-_ZN7rocprim17ROCPRIM_400000_NS6detail17trampoline_kernelINS0_14default_configENS1_36segmented_radix_sort_config_selectorI12hip_bfloat16lEEZNS1_25segmented_radix_sort_implIS3_Lb1EPKS5_PS5_PKlPlN2at6native12_GLOBAL__N_18offset_tEEE10hipError_tPvRmT1_PNSt15iterator_traitsISL_E10value_typeET2_T3_PNSM_ISR_E10value_typeET4_jRbjT5_SX_jjP12ihipStream_tbEUlT_E2_NS1_11comp_targetILNS1_3genE2ELNS1_11target_archE906ELNS1_3gpuE6ELNS1_3repE0EEENS1_30default_config_static_selectorELNS0_4arch9wavefront6targetE0EEEvSL_
                                        ; -- End function
	.set _ZN7rocprim17ROCPRIM_400000_NS6detail17trampoline_kernelINS0_14default_configENS1_36segmented_radix_sort_config_selectorI12hip_bfloat16lEEZNS1_25segmented_radix_sort_implIS3_Lb1EPKS5_PS5_PKlPlN2at6native12_GLOBAL__N_18offset_tEEE10hipError_tPvRmT1_PNSt15iterator_traitsISL_E10value_typeET2_T3_PNSM_ISR_E10value_typeET4_jRbjT5_SX_jjP12ihipStream_tbEUlT_E2_NS1_11comp_targetILNS1_3genE2ELNS1_11target_archE906ELNS1_3gpuE6ELNS1_3repE0EEENS1_30default_config_static_selectorELNS0_4arch9wavefront6targetE0EEEvSL_.num_vgpr, 0
	.set _ZN7rocprim17ROCPRIM_400000_NS6detail17trampoline_kernelINS0_14default_configENS1_36segmented_radix_sort_config_selectorI12hip_bfloat16lEEZNS1_25segmented_radix_sort_implIS3_Lb1EPKS5_PS5_PKlPlN2at6native12_GLOBAL__N_18offset_tEEE10hipError_tPvRmT1_PNSt15iterator_traitsISL_E10value_typeET2_T3_PNSM_ISR_E10value_typeET4_jRbjT5_SX_jjP12ihipStream_tbEUlT_E2_NS1_11comp_targetILNS1_3genE2ELNS1_11target_archE906ELNS1_3gpuE6ELNS1_3repE0EEENS1_30default_config_static_selectorELNS0_4arch9wavefront6targetE0EEEvSL_.num_agpr, 0
	.set _ZN7rocprim17ROCPRIM_400000_NS6detail17trampoline_kernelINS0_14default_configENS1_36segmented_radix_sort_config_selectorI12hip_bfloat16lEEZNS1_25segmented_radix_sort_implIS3_Lb1EPKS5_PS5_PKlPlN2at6native12_GLOBAL__N_18offset_tEEE10hipError_tPvRmT1_PNSt15iterator_traitsISL_E10value_typeET2_T3_PNSM_ISR_E10value_typeET4_jRbjT5_SX_jjP12ihipStream_tbEUlT_E2_NS1_11comp_targetILNS1_3genE2ELNS1_11target_archE906ELNS1_3gpuE6ELNS1_3repE0EEENS1_30default_config_static_selectorELNS0_4arch9wavefront6targetE0EEEvSL_.numbered_sgpr, 0
	.set _ZN7rocprim17ROCPRIM_400000_NS6detail17trampoline_kernelINS0_14default_configENS1_36segmented_radix_sort_config_selectorI12hip_bfloat16lEEZNS1_25segmented_radix_sort_implIS3_Lb1EPKS5_PS5_PKlPlN2at6native12_GLOBAL__N_18offset_tEEE10hipError_tPvRmT1_PNSt15iterator_traitsISL_E10value_typeET2_T3_PNSM_ISR_E10value_typeET4_jRbjT5_SX_jjP12ihipStream_tbEUlT_E2_NS1_11comp_targetILNS1_3genE2ELNS1_11target_archE906ELNS1_3gpuE6ELNS1_3repE0EEENS1_30default_config_static_selectorELNS0_4arch9wavefront6targetE0EEEvSL_.num_named_barrier, 0
	.set _ZN7rocprim17ROCPRIM_400000_NS6detail17trampoline_kernelINS0_14default_configENS1_36segmented_radix_sort_config_selectorI12hip_bfloat16lEEZNS1_25segmented_radix_sort_implIS3_Lb1EPKS5_PS5_PKlPlN2at6native12_GLOBAL__N_18offset_tEEE10hipError_tPvRmT1_PNSt15iterator_traitsISL_E10value_typeET2_T3_PNSM_ISR_E10value_typeET4_jRbjT5_SX_jjP12ihipStream_tbEUlT_E2_NS1_11comp_targetILNS1_3genE2ELNS1_11target_archE906ELNS1_3gpuE6ELNS1_3repE0EEENS1_30default_config_static_selectorELNS0_4arch9wavefront6targetE0EEEvSL_.private_seg_size, 0
	.set _ZN7rocprim17ROCPRIM_400000_NS6detail17trampoline_kernelINS0_14default_configENS1_36segmented_radix_sort_config_selectorI12hip_bfloat16lEEZNS1_25segmented_radix_sort_implIS3_Lb1EPKS5_PS5_PKlPlN2at6native12_GLOBAL__N_18offset_tEEE10hipError_tPvRmT1_PNSt15iterator_traitsISL_E10value_typeET2_T3_PNSM_ISR_E10value_typeET4_jRbjT5_SX_jjP12ihipStream_tbEUlT_E2_NS1_11comp_targetILNS1_3genE2ELNS1_11target_archE906ELNS1_3gpuE6ELNS1_3repE0EEENS1_30default_config_static_selectorELNS0_4arch9wavefront6targetE0EEEvSL_.uses_vcc, 0
	.set _ZN7rocprim17ROCPRIM_400000_NS6detail17trampoline_kernelINS0_14default_configENS1_36segmented_radix_sort_config_selectorI12hip_bfloat16lEEZNS1_25segmented_radix_sort_implIS3_Lb1EPKS5_PS5_PKlPlN2at6native12_GLOBAL__N_18offset_tEEE10hipError_tPvRmT1_PNSt15iterator_traitsISL_E10value_typeET2_T3_PNSM_ISR_E10value_typeET4_jRbjT5_SX_jjP12ihipStream_tbEUlT_E2_NS1_11comp_targetILNS1_3genE2ELNS1_11target_archE906ELNS1_3gpuE6ELNS1_3repE0EEENS1_30default_config_static_selectorELNS0_4arch9wavefront6targetE0EEEvSL_.uses_flat_scratch, 0
	.set _ZN7rocprim17ROCPRIM_400000_NS6detail17trampoline_kernelINS0_14default_configENS1_36segmented_radix_sort_config_selectorI12hip_bfloat16lEEZNS1_25segmented_radix_sort_implIS3_Lb1EPKS5_PS5_PKlPlN2at6native12_GLOBAL__N_18offset_tEEE10hipError_tPvRmT1_PNSt15iterator_traitsISL_E10value_typeET2_T3_PNSM_ISR_E10value_typeET4_jRbjT5_SX_jjP12ihipStream_tbEUlT_E2_NS1_11comp_targetILNS1_3genE2ELNS1_11target_archE906ELNS1_3gpuE6ELNS1_3repE0EEENS1_30default_config_static_selectorELNS0_4arch9wavefront6targetE0EEEvSL_.has_dyn_sized_stack, 0
	.set _ZN7rocprim17ROCPRIM_400000_NS6detail17trampoline_kernelINS0_14default_configENS1_36segmented_radix_sort_config_selectorI12hip_bfloat16lEEZNS1_25segmented_radix_sort_implIS3_Lb1EPKS5_PS5_PKlPlN2at6native12_GLOBAL__N_18offset_tEEE10hipError_tPvRmT1_PNSt15iterator_traitsISL_E10value_typeET2_T3_PNSM_ISR_E10value_typeET4_jRbjT5_SX_jjP12ihipStream_tbEUlT_E2_NS1_11comp_targetILNS1_3genE2ELNS1_11target_archE906ELNS1_3gpuE6ELNS1_3repE0EEENS1_30default_config_static_selectorELNS0_4arch9wavefront6targetE0EEEvSL_.has_recursion, 0
	.set _ZN7rocprim17ROCPRIM_400000_NS6detail17trampoline_kernelINS0_14default_configENS1_36segmented_radix_sort_config_selectorI12hip_bfloat16lEEZNS1_25segmented_radix_sort_implIS3_Lb1EPKS5_PS5_PKlPlN2at6native12_GLOBAL__N_18offset_tEEE10hipError_tPvRmT1_PNSt15iterator_traitsISL_E10value_typeET2_T3_PNSM_ISR_E10value_typeET4_jRbjT5_SX_jjP12ihipStream_tbEUlT_E2_NS1_11comp_targetILNS1_3genE2ELNS1_11target_archE906ELNS1_3gpuE6ELNS1_3repE0EEENS1_30default_config_static_selectorELNS0_4arch9wavefront6targetE0EEEvSL_.has_indirect_call, 0
	.section	.AMDGPU.csdata,"",@progbits
; Kernel info:
; codeLenInByte = 0
; TotalNumSgprs: 0
; NumVgprs: 0
; ScratchSize: 0
; MemoryBound: 0
; FloatMode: 240
; IeeeMode: 1
; LDSByteSize: 0 bytes/workgroup (compile time only)
; SGPRBlocks: 0
; VGPRBlocks: 0
; NumSGPRsForWavesPerEU: 1
; NumVGPRsForWavesPerEU: 1
; NamedBarCnt: 0
; Occupancy: 16
; WaveLimiterHint : 0
; COMPUTE_PGM_RSRC2:SCRATCH_EN: 0
; COMPUTE_PGM_RSRC2:USER_SGPR: 2
; COMPUTE_PGM_RSRC2:TRAP_HANDLER: 0
; COMPUTE_PGM_RSRC2:TGID_X_EN: 1
; COMPUTE_PGM_RSRC2:TGID_Y_EN: 0
; COMPUTE_PGM_RSRC2:TGID_Z_EN: 0
; COMPUTE_PGM_RSRC2:TIDIG_COMP_CNT: 0
	.section	.text._ZN7rocprim17ROCPRIM_400000_NS6detail17trampoline_kernelINS0_14default_configENS1_36segmented_radix_sort_config_selectorI12hip_bfloat16lEEZNS1_25segmented_radix_sort_implIS3_Lb1EPKS5_PS5_PKlPlN2at6native12_GLOBAL__N_18offset_tEEE10hipError_tPvRmT1_PNSt15iterator_traitsISL_E10value_typeET2_T3_PNSM_ISR_E10value_typeET4_jRbjT5_SX_jjP12ihipStream_tbEUlT_E2_NS1_11comp_targetILNS1_3genE10ELNS1_11target_archE1201ELNS1_3gpuE5ELNS1_3repE0EEENS1_30default_config_static_selectorELNS0_4arch9wavefront6targetE0EEEvSL_,"axG",@progbits,_ZN7rocprim17ROCPRIM_400000_NS6detail17trampoline_kernelINS0_14default_configENS1_36segmented_radix_sort_config_selectorI12hip_bfloat16lEEZNS1_25segmented_radix_sort_implIS3_Lb1EPKS5_PS5_PKlPlN2at6native12_GLOBAL__N_18offset_tEEE10hipError_tPvRmT1_PNSt15iterator_traitsISL_E10value_typeET2_T3_PNSM_ISR_E10value_typeET4_jRbjT5_SX_jjP12ihipStream_tbEUlT_E2_NS1_11comp_targetILNS1_3genE10ELNS1_11target_archE1201ELNS1_3gpuE5ELNS1_3repE0EEENS1_30default_config_static_selectorELNS0_4arch9wavefront6targetE0EEEvSL_,comdat
	.globl	_ZN7rocprim17ROCPRIM_400000_NS6detail17trampoline_kernelINS0_14default_configENS1_36segmented_radix_sort_config_selectorI12hip_bfloat16lEEZNS1_25segmented_radix_sort_implIS3_Lb1EPKS5_PS5_PKlPlN2at6native12_GLOBAL__N_18offset_tEEE10hipError_tPvRmT1_PNSt15iterator_traitsISL_E10value_typeET2_T3_PNSM_ISR_E10value_typeET4_jRbjT5_SX_jjP12ihipStream_tbEUlT_E2_NS1_11comp_targetILNS1_3genE10ELNS1_11target_archE1201ELNS1_3gpuE5ELNS1_3repE0EEENS1_30default_config_static_selectorELNS0_4arch9wavefront6targetE0EEEvSL_ ; -- Begin function _ZN7rocprim17ROCPRIM_400000_NS6detail17trampoline_kernelINS0_14default_configENS1_36segmented_radix_sort_config_selectorI12hip_bfloat16lEEZNS1_25segmented_radix_sort_implIS3_Lb1EPKS5_PS5_PKlPlN2at6native12_GLOBAL__N_18offset_tEEE10hipError_tPvRmT1_PNSt15iterator_traitsISL_E10value_typeET2_T3_PNSM_ISR_E10value_typeET4_jRbjT5_SX_jjP12ihipStream_tbEUlT_E2_NS1_11comp_targetILNS1_3genE10ELNS1_11target_archE1201ELNS1_3gpuE5ELNS1_3repE0EEENS1_30default_config_static_selectorELNS0_4arch9wavefront6targetE0EEEvSL_
	.p2align	8
	.type	_ZN7rocprim17ROCPRIM_400000_NS6detail17trampoline_kernelINS0_14default_configENS1_36segmented_radix_sort_config_selectorI12hip_bfloat16lEEZNS1_25segmented_radix_sort_implIS3_Lb1EPKS5_PS5_PKlPlN2at6native12_GLOBAL__N_18offset_tEEE10hipError_tPvRmT1_PNSt15iterator_traitsISL_E10value_typeET2_T3_PNSM_ISR_E10value_typeET4_jRbjT5_SX_jjP12ihipStream_tbEUlT_E2_NS1_11comp_targetILNS1_3genE10ELNS1_11target_archE1201ELNS1_3gpuE5ELNS1_3repE0EEENS1_30default_config_static_selectorELNS0_4arch9wavefront6targetE0EEEvSL_,@function
_ZN7rocprim17ROCPRIM_400000_NS6detail17trampoline_kernelINS0_14default_configENS1_36segmented_radix_sort_config_selectorI12hip_bfloat16lEEZNS1_25segmented_radix_sort_implIS3_Lb1EPKS5_PS5_PKlPlN2at6native12_GLOBAL__N_18offset_tEEE10hipError_tPvRmT1_PNSt15iterator_traitsISL_E10value_typeET2_T3_PNSM_ISR_E10value_typeET4_jRbjT5_SX_jjP12ihipStream_tbEUlT_E2_NS1_11comp_targetILNS1_3genE10ELNS1_11target_archE1201ELNS1_3gpuE5ELNS1_3repE0EEENS1_30default_config_static_selectorELNS0_4arch9wavefront6targetE0EEEvSL_: ; @_ZN7rocprim17ROCPRIM_400000_NS6detail17trampoline_kernelINS0_14default_configENS1_36segmented_radix_sort_config_selectorI12hip_bfloat16lEEZNS1_25segmented_radix_sort_implIS3_Lb1EPKS5_PS5_PKlPlN2at6native12_GLOBAL__N_18offset_tEEE10hipError_tPvRmT1_PNSt15iterator_traitsISL_E10value_typeET2_T3_PNSM_ISR_E10value_typeET4_jRbjT5_SX_jjP12ihipStream_tbEUlT_E2_NS1_11comp_targetILNS1_3genE10ELNS1_11target_archE1201ELNS1_3gpuE5ELNS1_3repE0EEENS1_30default_config_static_selectorELNS0_4arch9wavefront6targetE0EEEvSL_
; %bb.0:
	.section	.rodata,"a",@progbits
	.p2align	6, 0x0
	.amdhsa_kernel _ZN7rocprim17ROCPRIM_400000_NS6detail17trampoline_kernelINS0_14default_configENS1_36segmented_radix_sort_config_selectorI12hip_bfloat16lEEZNS1_25segmented_radix_sort_implIS3_Lb1EPKS5_PS5_PKlPlN2at6native12_GLOBAL__N_18offset_tEEE10hipError_tPvRmT1_PNSt15iterator_traitsISL_E10value_typeET2_T3_PNSM_ISR_E10value_typeET4_jRbjT5_SX_jjP12ihipStream_tbEUlT_E2_NS1_11comp_targetILNS1_3genE10ELNS1_11target_archE1201ELNS1_3gpuE5ELNS1_3repE0EEENS1_30default_config_static_selectorELNS0_4arch9wavefront6targetE0EEEvSL_
		.amdhsa_group_segment_fixed_size 0
		.amdhsa_private_segment_fixed_size 0
		.amdhsa_kernarg_size 80
		.amdhsa_user_sgpr_count 2
		.amdhsa_user_sgpr_dispatch_ptr 0
		.amdhsa_user_sgpr_queue_ptr 0
		.amdhsa_user_sgpr_kernarg_segment_ptr 1
		.amdhsa_user_sgpr_dispatch_id 0
		.amdhsa_user_sgpr_kernarg_preload_length 0
		.amdhsa_user_sgpr_kernarg_preload_offset 0
		.amdhsa_user_sgpr_private_segment_size 0
		.amdhsa_wavefront_size32 1
		.amdhsa_uses_dynamic_stack 0
		.amdhsa_enable_private_segment 0
		.amdhsa_system_sgpr_workgroup_id_x 1
		.amdhsa_system_sgpr_workgroup_id_y 0
		.amdhsa_system_sgpr_workgroup_id_z 0
		.amdhsa_system_sgpr_workgroup_info 0
		.amdhsa_system_vgpr_workitem_id 0
		.amdhsa_next_free_vgpr 1
		.amdhsa_next_free_sgpr 1
		.amdhsa_named_barrier_count 0
		.amdhsa_reserve_vcc 0
		.amdhsa_float_round_mode_32 0
		.amdhsa_float_round_mode_16_64 0
		.amdhsa_float_denorm_mode_32 3
		.amdhsa_float_denorm_mode_16_64 3
		.amdhsa_fp16_overflow 0
		.amdhsa_memory_ordered 1
		.amdhsa_forward_progress 1
		.amdhsa_inst_pref_size 0
		.amdhsa_round_robin_scheduling 0
		.amdhsa_exception_fp_ieee_invalid_op 0
		.amdhsa_exception_fp_denorm_src 0
		.amdhsa_exception_fp_ieee_div_zero 0
		.amdhsa_exception_fp_ieee_overflow 0
		.amdhsa_exception_fp_ieee_underflow 0
		.amdhsa_exception_fp_ieee_inexact 0
		.amdhsa_exception_int_div_zero 0
	.end_amdhsa_kernel
	.section	.text._ZN7rocprim17ROCPRIM_400000_NS6detail17trampoline_kernelINS0_14default_configENS1_36segmented_radix_sort_config_selectorI12hip_bfloat16lEEZNS1_25segmented_radix_sort_implIS3_Lb1EPKS5_PS5_PKlPlN2at6native12_GLOBAL__N_18offset_tEEE10hipError_tPvRmT1_PNSt15iterator_traitsISL_E10value_typeET2_T3_PNSM_ISR_E10value_typeET4_jRbjT5_SX_jjP12ihipStream_tbEUlT_E2_NS1_11comp_targetILNS1_3genE10ELNS1_11target_archE1201ELNS1_3gpuE5ELNS1_3repE0EEENS1_30default_config_static_selectorELNS0_4arch9wavefront6targetE0EEEvSL_,"axG",@progbits,_ZN7rocprim17ROCPRIM_400000_NS6detail17trampoline_kernelINS0_14default_configENS1_36segmented_radix_sort_config_selectorI12hip_bfloat16lEEZNS1_25segmented_radix_sort_implIS3_Lb1EPKS5_PS5_PKlPlN2at6native12_GLOBAL__N_18offset_tEEE10hipError_tPvRmT1_PNSt15iterator_traitsISL_E10value_typeET2_T3_PNSM_ISR_E10value_typeET4_jRbjT5_SX_jjP12ihipStream_tbEUlT_E2_NS1_11comp_targetILNS1_3genE10ELNS1_11target_archE1201ELNS1_3gpuE5ELNS1_3repE0EEENS1_30default_config_static_selectorELNS0_4arch9wavefront6targetE0EEEvSL_,comdat
.Lfunc_end1971:
	.size	_ZN7rocprim17ROCPRIM_400000_NS6detail17trampoline_kernelINS0_14default_configENS1_36segmented_radix_sort_config_selectorI12hip_bfloat16lEEZNS1_25segmented_radix_sort_implIS3_Lb1EPKS5_PS5_PKlPlN2at6native12_GLOBAL__N_18offset_tEEE10hipError_tPvRmT1_PNSt15iterator_traitsISL_E10value_typeET2_T3_PNSM_ISR_E10value_typeET4_jRbjT5_SX_jjP12ihipStream_tbEUlT_E2_NS1_11comp_targetILNS1_3genE10ELNS1_11target_archE1201ELNS1_3gpuE5ELNS1_3repE0EEENS1_30default_config_static_selectorELNS0_4arch9wavefront6targetE0EEEvSL_, .Lfunc_end1971-_ZN7rocprim17ROCPRIM_400000_NS6detail17trampoline_kernelINS0_14default_configENS1_36segmented_radix_sort_config_selectorI12hip_bfloat16lEEZNS1_25segmented_radix_sort_implIS3_Lb1EPKS5_PS5_PKlPlN2at6native12_GLOBAL__N_18offset_tEEE10hipError_tPvRmT1_PNSt15iterator_traitsISL_E10value_typeET2_T3_PNSM_ISR_E10value_typeET4_jRbjT5_SX_jjP12ihipStream_tbEUlT_E2_NS1_11comp_targetILNS1_3genE10ELNS1_11target_archE1201ELNS1_3gpuE5ELNS1_3repE0EEENS1_30default_config_static_selectorELNS0_4arch9wavefront6targetE0EEEvSL_
                                        ; -- End function
	.set _ZN7rocprim17ROCPRIM_400000_NS6detail17trampoline_kernelINS0_14default_configENS1_36segmented_radix_sort_config_selectorI12hip_bfloat16lEEZNS1_25segmented_radix_sort_implIS3_Lb1EPKS5_PS5_PKlPlN2at6native12_GLOBAL__N_18offset_tEEE10hipError_tPvRmT1_PNSt15iterator_traitsISL_E10value_typeET2_T3_PNSM_ISR_E10value_typeET4_jRbjT5_SX_jjP12ihipStream_tbEUlT_E2_NS1_11comp_targetILNS1_3genE10ELNS1_11target_archE1201ELNS1_3gpuE5ELNS1_3repE0EEENS1_30default_config_static_selectorELNS0_4arch9wavefront6targetE0EEEvSL_.num_vgpr, 0
	.set _ZN7rocprim17ROCPRIM_400000_NS6detail17trampoline_kernelINS0_14default_configENS1_36segmented_radix_sort_config_selectorI12hip_bfloat16lEEZNS1_25segmented_radix_sort_implIS3_Lb1EPKS5_PS5_PKlPlN2at6native12_GLOBAL__N_18offset_tEEE10hipError_tPvRmT1_PNSt15iterator_traitsISL_E10value_typeET2_T3_PNSM_ISR_E10value_typeET4_jRbjT5_SX_jjP12ihipStream_tbEUlT_E2_NS1_11comp_targetILNS1_3genE10ELNS1_11target_archE1201ELNS1_3gpuE5ELNS1_3repE0EEENS1_30default_config_static_selectorELNS0_4arch9wavefront6targetE0EEEvSL_.num_agpr, 0
	.set _ZN7rocprim17ROCPRIM_400000_NS6detail17trampoline_kernelINS0_14default_configENS1_36segmented_radix_sort_config_selectorI12hip_bfloat16lEEZNS1_25segmented_radix_sort_implIS3_Lb1EPKS5_PS5_PKlPlN2at6native12_GLOBAL__N_18offset_tEEE10hipError_tPvRmT1_PNSt15iterator_traitsISL_E10value_typeET2_T3_PNSM_ISR_E10value_typeET4_jRbjT5_SX_jjP12ihipStream_tbEUlT_E2_NS1_11comp_targetILNS1_3genE10ELNS1_11target_archE1201ELNS1_3gpuE5ELNS1_3repE0EEENS1_30default_config_static_selectorELNS0_4arch9wavefront6targetE0EEEvSL_.numbered_sgpr, 0
	.set _ZN7rocprim17ROCPRIM_400000_NS6detail17trampoline_kernelINS0_14default_configENS1_36segmented_radix_sort_config_selectorI12hip_bfloat16lEEZNS1_25segmented_radix_sort_implIS3_Lb1EPKS5_PS5_PKlPlN2at6native12_GLOBAL__N_18offset_tEEE10hipError_tPvRmT1_PNSt15iterator_traitsISL_E10value_typeET2_T3_PNSM_ISR_E10value_typeET4_jRbjT5_SX_jjP12ihipStream_tbEUlT_E2_NS1_11comp_targetILNS1_3genE10ELNS1_11target_archE1201ELNS1_3gpuE5ELNS1_3repE0EEENS1_30default_config_static_selectorELNS0_4arch9wavefront6targetE0EEEvSL_.num_named_barrier, 0
	.set _ZN7rocprim17ROCPRIM_400000_NS6detail17trampoline_kernelINS0_14default_configENS1_36segmented_radix_sort_config_selectorI12hip_bfloat16lEEZNS1_25segmented_radix_sort_implIS3_Lb1EPKS5_PS5_PKlPlN2at6native12_GLOBAL__N_18offset_tEEE10hipError_tPvRmT1_PNSt15iterator_traitsISL_E10value_typeET2_T3_PNSM_ISR_E10value_typeET4_jRbjT5_SX_jjP12ihipStream_tbEUlT_E2_NS1_11comp_targetILNS1_3genE10ELNS1_11target_archE1201ELNS1_3gpuE5ELNS1_3repE0EEENS1_30default_config_static_selectorELNS0_4arch9wavefront6targetE0EEEvSL_.private_seg_size, 0
	.set _ZN7rocprim17ROCPRIM_400000_NS6detail17trampoline_kernelINS0_14default_configENS1_36segmented_radix_sort_config_selectorI12hip_bfloat16lEEZNS1_25segmented_radix_sort_implIS3_Lb1EPKS5_PS5_PKlPlN2at6native12_GLOBAL__N_18offset_tEEE10hipError_tPvRmT1_PNSt15iterator_traitsISL_E10value_typeET2_T3_PNSM_ISR_E10value_typeET4_jRbjT5_SX_jjP12ihipStream_tbEUlT_E2_NS1_11comp_targetILNS1_3genE10ELNS1_11target_archE1201ELNS1_3gpuE5ELNS1_3repE0EEENS1_30default_config_static_selectorELNS0_4arch9wavefront6targetE0EEEvSL_.uses_vcc, 0
	.set _ZN7rocprim17ROCPRIM_400000_NS6detail17trampoline_kernelINS0_14default_configENS1_36segmented_radix_sort_config_selectorI12hip_bfloat16lEEZNS1_25segmented_radix_sort_implIS3_Lb1EPKS5_PS5_PKlPlN2at6native12_GLOBAL__N_18offset_tEEE10hipError_tPvRmT1_PNSt15iterator_traitsISL_E10value_typeET2_T3_PNSM_ISR_E10value_typeET4_jRbjT5_SX_jjP12ihipStream_tbEUlT_E2_NS1_11comp_targetILNS1_3genE10ELNS1_11target_archE1201ELNS1_3gpuE5ELNS1_3repE0EEENS1_30default_config_static_selectorELNS0_4arch9wavefront6targetE0EEEvSL_.uses_flat_scratch, 0
	.set _ZN7rocprim17ROCPRIM_400000_NS6detail17trampoline_kernelINS0_14default_configENS1_36segmented_radix_sort_config_selectorI12hip_bfloat16lEEZNS1_25segmented_radix_sort_implIS3_Lb1EPKS5_PS5_PKlPlN2at6native12_GLOBAL__N_18offset_tEEE10hipError_tPvRmT1_PNSt15iterator_traitsISL_E10value_typeET2_T3_PNSM_ISR_E10value_typeET4_jRbjT5_SX_jjP12ihipStream_tbEUlT_E2_NS1_11comp_targetILNS1_3genE10ELNS1_11target_archE1201ELNS1_3gpuE5ELNS1_3repE0EEENS1_30default_config_static_selectorELNS0_4arch9wavefront6targetE0EEEvSL_.has_dyn_sized_stack, 0
	.set _ZN7rocprim17ROCPRIM_400000_NS6detail17trampoline_kernelINS0_14default_configENS1_36segmented_radix_sort_config_selectorI12hip_bfloat16lEEZNS1_25segmented_radix_sort_implIS3_Lb1EPKS5_PS5_PKlPlN2at6native12_GLOBAL__N_18offset_tEEE10hipError_tPvRmT1_PNSt15iterator_traitsISL_E10value_typeET2_T3_PNSM_ISR_E10value_typeET4_jRbjT5_SX_jjP12ihipStream_tbEUlT_E2_NS1_11comp_targetILNS1_3genE10ELNS1_11target_archE1201ELNS1_3gpuE5ELNS1_3repE0EEENS1_30default_config_static_selectorELNS0_4arch9wavefront6targetE0EEEvSL_.has_recursion, 0
	.set _ZN7rocprim17ROCPRIM_400000_NS6detail17trampoline_kernelINS0_14default_configENS1_36segmented_radix_sort_config_selectorI12hip_bfloat16lEEZNS1_25segmented_radix_sort_implIS3_Lb1EPKS5_PS5_PKlPlN2at6native12_GLOBAL__N_18offset_tEEE10hipError_tPvRmT1_PNSt15iterator_traitsISL_E10value_typeET2_T3_PNSM_ISR_E10value_typeET4_jRbjT5_SX_jjP12ihipStream_tbEUlT_E2_NS1_11comp_targetILNS1_3genE10ELNS1_11target_archE1201ELNS1_3gpuE5ELNS1_3repE0EEENS1_30default_config_static_selectorELNS0_4arch9wavefront6targetE0EEEvSL_.has_indirect_call, 0
	.section	.AMDGPU.csdata,"",@progbits
; Kernel info:
; codeLenInByte = 0
; TotalNumSgprs: 0
; NumVgprs: 0
; ScratchSize: 0
; MemoryBound: 0
; FloatMode: 240
; IeeeMode: 1
; LDSByteSize: 0 bytes/workgroup (compile time only)
; SGPRBlocks: 0
; VGPRBlocks: 0
; NumSGPRsForWavesPerEU: 1
; NumVGPRsForWavesPerEU: 1
; NamedBarCnt: 0
; Occupancy: 16
; WaveLimiterHint : 0
; COMPUTE_PGM_RSRC2:SCRATCH_EN: 0
; COMPUTE_PGM_RSRC2:USER_SGPR: 2
; COMPUTE_PGM_RSRC2:TRAP_HANDLER: 0
; COMPUTE_PGM_RSRC2:TGID_X_EN: 1
; COMPUTE_PGM_RSRC2:TGID_Y_EN: 0
; COMPUTE_PGM_RSRC2:TGID_Z_EN: 0
; COMPUTE_PGM_RSRC2:TIDIG_COMP_CNT: 0
	.section	.text._ZN7rocprim17ROCPRIM_400000_NS6detail17trampoline_kernelINS0_14default_configENS1_36segmented_radix_sort_config_selectorI12hip_bfloat16lEEZNS1_25segmented_radix_sort_implIS3_Lb1EPKS5_PS5_PKlPlN2at6native12_GLOBAL__N_18offset_tEEE10hipError_tPvRmT1_PNSt15iterator_traitsISL_E10value_typeET2_T3_PNSM_ISR_E10value_typeET4_jRbjT5_SX_jjP12ihipStream_tbEUlT_E2_NS1_11comp_targetILNS1_3genE10ELNS1_11target_archE1200ELNS1_3gpuE4ELNS1_3repE0EEENS1_30default_config_static_selectorELNS0_4arch9wavefront6targetE0EEEvSL_,"axG",@progbits,_ZN7rocprim17ROCPRIM_400000_NS6detail17trampoline_kernelINS0_14default_configENS1_36segmented_radix_sort_config_selectorI12hip_bfloat16lEEZNS1_25segmented_radix_sort_implIS3_Lb1EPKS5_PS5_PKlPlN2at6native12_GLOBAL__N_18offset_tEEE10hipError_tPvRmT1_PNSt15iterator_traitsISL_E10value_typeET2_T3_PNSM_ISR_E10value_typeET4_jRbjT5_SX_jjP12ihipStream_tbEUlT_E2_NS1_11comp_targetILNS1_3genE10ELNS1_11target_archE1200ELNS1_3gpuE4ELNS1_3repE0EEENS1_30default_config_static_selectorELNS0_4arch9wavefront6targetE0EEEvSL_,comdat
	.globl	_ZN7rocprim17ROCPRIM_400000_NS6detail17trampoline_kernelINS0_14default_configENS1_36segmented_radix_sort_config_selectorI12hip_bfloat16lEEZNS1_25segmented_radix_sort_implIS3_Lb1EPKS5_PS5_PKlPlN2at6native12_GLOBAL__N_18offset_tEEE10hipError_tPvRmT1_PNSt15iterator_traitsISL_E10value_typeET2_T3_PNSM_ISR_E10value_typeET4_jRbjT5_SX_jjP12ihipStream_tbEUlT_E2_NS1_11comp_targetILNS1_3genE10ELNS1_11target_archE1200ELNS1_3gpuE4ELNS1_3repE0EEENS1_30default_config_static_selectorELNS0_4arch9wavefront6targetE0EEEvSL_ ; -- Begin function _ZN7rocprim17ROCPRIM_400000_NS6detail17trampoline_kernelINS0_14default_configENS1_36segmented_radix_sort_config_selectorI12hip_bfloat16lEEZNS1_25segmented_radix_sort_implIS3_Lb1EPKS5_PS5_PKlPlN2at6native12_GLOBAL__N_18offset_tEEE10hipError_tPvRmT1_PNSt15iterator_traitsISL_E10value_typeET2_T3_PNSM_ISR_E10value_typeET4_jRbjT5_SX_jjP12ihipStream_tbEUlT_E2_NS1_11comp_targetILNS1_3genE10ELNS1_11target_archE1200ELNS1_3gpuE4ELNS1_3repE0EEENS1_30default_config_static_selectorELNS0_4arch9wavefront6targetE0EEEvSL_
	.p2align	8
	.type	_ZN7rocprim17ROCPRIM_400000_NS6detail17trampoline_kernelINS0_14default_configENS1_36segmented_radix_sort_config_selectorI12hip_bfloat16lEEZNS1_25segmented_radix_sort_implIS3_Lb1EPKS5_PS5_PKlPlN2at6native12_GLOBAL__N_18offset_tEEE10hipError_tPvRmT1_PNSt15iterator_traitsISL_E10value_typeET2_T3_PNSM_ISR_E10value_typeET4_jRbjT5_SX_jjP12ihipStream_tbEUlT_E2_NS1_11comp_targetILNS1_3genE10ELNS1_11target_archE1200ELNS1_3gpuE4ELNS1_3repE0EEENS1_30default_config_static_selectorELNS0_4arch9wavefront6targetE0EEEvSL_,@function
_ZN7rocprim17ROCPRIM_400000_NS6detail17trampoline_kernelINS0_14default_configENS1_36segmented_radix_sort_config_selectorI12hip_bfloat16lEEZNS1_25segmented_radix_sort_implIS3_Lb1EPKS5_PS5_PKlPlN2at6native12_GLOBAL__N_18offset_tEEE10hipError_tPvRmT1_PNSt15iterator_traitsISL_E10value_typeET2_T3_PNSM_ISR_E10value_typeET4_jRbjT5_SX_jjP12ihipStream_tbEUlT_E2_NS1_11comp_targetILNS1_3genE10ELNS1_11target_archE1200ELNS1_3gpuE4ELNS1_3repE0EEENS1_30default_config_static_selectorELNS0_4arch9wavefront6targetE0EEEvSL_: ; @_ZN7rocprim17ROCPRIM_400000_NS6detail17trampoline_kernelINS0_14default_configENS1_36segmented_radix_sort_config_selectorI12hip_bfloat16lEEZNS1_25segmented_radix_sort_implIS3_Lb1EPKS5_PS5_PKlPlN2at6native12_GLOBAL__N_18offset_tEEE10hipError_tPvRmT1_PNSt15iterator_traitsISL_E10value_typeET2_T3_PNSM_ISR_E10value_typeET4_jRbjT5_SX_jjP12ihipStream_tbEUlT_E2_NS1_11comp_targetILNS1_3genE10ELNS1_11target_archE1200ELNS1_3gpuE4ELNS1_3repE0EEENS1_30default_config_static_selectorELNS0_4arch9wavefront6targetE0EEEvSL_
; %bb.0:
	.section	.rodata,"a",@progbits
	.p2align	6, 0x0
	.amdhsa_kernel _ZN7rocprim17ROCPRIM_400000_NS6detail17trampoline_kernelINS0_14default_configENS1_36segmented_radix_sort_config_selectorI12hip_bfloat16lEEZNS1_25segmented_radix_sort_implIS3_Lb1EPKS5_PS5_PKlPlN2at6native12_GLOBAL__N_18offset_tEEE10hipError_tPvRmT1_PNSt15iterator_traitsISL_E10value_typeET2_T3_PNSM_ISR_E10value_typeET4_jRbjT5_SX_jjP12ihipStream_tbEUlT_E2_NS1_11comp_targetILNS1_3genE10ELNS1_11target_archE1200ELNS1_3gpuE4ELNS1_3repE0EEENS1_30default_config_static_selectorELNS0_4arch9wavefront6targetE0EEEvSL_
		.amdhsa_group_segment_fixed_size 0
		.amdhsa_private_segment_fixed_size 0
		.amdhsa_kernarg_size 80
		.amdhsa_user_sgpr_count 2
		.amdhsa_user_sgpr_dispatch_ptr 0
		.amdhsa_user_sgpr_queue_ptr 0
		.amdhsa_user_sgpr_kernarg_segment_ptr 1
		.amdhsa_user_sgpr_dispatch_id 0
		.amdhsa_user_sgpr_kernarg_preload_length 0
		.amdhsa_user_sgpr_kernarg_preload_offset 0
		.amdhsa_user_sgpr_private_segment_size 0
		.amdhsa_wavefront_size32 1
		.amdhsa_uses_dynamic_stack 0
		.amdhsa_enable_private_segment 0
		.amdhsa_system_sgpr_workgroup_id_x 1
		.amdhsa_system_sgpr_workgroup_id_y 0
		.amdhsa_system_sgpr_workgroup_id_z 0
		.amdhsa_system_sgpr_workgroup_info 0
		.amdhsa_system_vgpr_workitem_id 0
		.amdhsa_next_free_vgpr 1
		.amdhsa_next_free_sgpr 1
		.amdhsa_named_barrier_count 0
		.amdhsa_reserve_vcc 0
		.amdhsa_float_round_mode_32 0
		.amdhsa_float_round_mode_16_64 0
		.amdhsa_float_denorm_mode_32 3
		.amdhsa_float_denorm_mode_16_64 3
		.amdhsa_fp16_overflow 0
		.amdhsa_memory_ordered 1
		.amdhsa_forward_progress 1
		.amdhsa_inst_pref_size 0
		.amdhsa_round_robin_scheduling 0
		.amdhsa_exception_fp_ieee_invalid_op 0
		.amdhsa_exception_fp_denorm_src 0
		.amdhsa_exception_fp_ieee_div_zero 0
		.amdhsa_exception_fp_ieee_overflow 0
		.amdhsa_exception_fp_ieee_underflow 0
		.amdhsa_exception_fp_ieee_inexact 0
		.amdhsa_exception_int_div_zero 0
	.end_amdhsa_kernel
	.section	.text._ZN7rocprim17ROCPRIM_400000_NS6detail17trampoline_kernelINS0_14default_configENS1_36segmented_radix_sort_config_selectorI12hip_bfloat16lEEZNS1_25segmented_radix_sort_implIS3_Lb1EPKS5_PS5_PKlPlN2at6native12_GLOBAL__N_18offset_tEEE10hipError_tPvRmT1_PNSt15iterator_traitsISL_E10value_typeET2_T3_PNSM_ISR_E10value_typeET4_jRbjT5_SX_jjP12ihipStream_tbEUlT_E2_NS1_11comp_targetILNS1_3genE10ELNS1_11target_archE1200ELNS1_3gpuE4ELNS1_3repE0EEENS1_30default_config_static_selectorELNS0_4arch9wavefront6targetE0EEEvSL_,"axG",@progbits,_ZN7rocprim17ROCPRIM_400000_NS6detail17trampoline_kernelINS0_14default_configENS1_36segmented_radix_sort_config_selectorI12hip_bfloat16lEEZNS1_25segmented_radix_sort_implIS3_Lb1EPKS5_PS5_PKlPlN2at6native12_GLOBAL__N_18offset_tEEE10hipError_tPvRmT1_PNSt15iterator_traitsISL_E10value_typeET2_T3_PNSM_ISR_E10value_typeET4_jRbjT5_SX_jjP12ihipStream_tbEUlT_E2_NS1_11comp_targetILNS1_3genE10ELNS1_11target_archE1200ELNS1_3gpuE4ELNS1_3repE0EEENS1_30default_config_static_selectorELNS0_4arch9wavefront6targetE0EEEvSL_,comdat
.Lfunc_end1972:
	.size	_ZN7rocprim17ROCPRIM_400000_NS6detail17trampoline_kernelINS0_14default_configENS1_36segmented_radix_sort_config_selectorI12hip_bfloat16lEEZNS1_25segmented_radix_sort_implIS3_Lb1EPKS5_PS5_PKlPlN2at6native12_GLOBAL__N_18offset_tEEE10hipError_tPvRmT1_PNSt15iterator_traitsISL_E10value_typeET2_T3_PNSM_ISR_E10value_typeET4_jRbjT5_SX_jjP12ihipStream_tbEUlT_E2_NS1_11comp_targetILNS1_3genE10ELNS1_11target_archE1200ELNS1_3gpuE4ELNS1_3repE0EEENS1_30default_config_static_selectorELNS0_4arch9wavefront6targetE0EEEvSL_, .Lfunc_end1972-_ZN7rocprim17ROCPRIM_400000_NS6detail17trampoline_kernelINS0_14default_configENS1_36segmented_radix_sort_config_selectorI12hip_bfloat16lEEZNS1_25segmented_radix_sort_implIS3_Lb1EPKS5_PS5_PKlPlN2at6native12_GLOBAL__N_18offset_tEEE10hipError_tPvRmT1_PNSt15iterator_traitsISL_E10value_typeET2_T3_PNSM_ISR_E10value_typeET4_jRbjT5_SX_jjP12ihipStream_tbEUlT_E2_NS1_11comp_targetILNS1_3genE10ELNS1_11target_archE1200ELNS1_3gpuE4ELNS1_3repE0EEENS1_30default_config_static_selectorELNS0_4arch9wavefront6targetE0EEEvSL_
                                        ; -- End function
	.set _ZN7rocprim17ROCPRIM_400000_NS6detail17trampoline_kernelINS0_14default_configENS1_36segmented_radix_sort_config_selectorI12hip_bfloat16lEEZNS1_25segmented_radix_sort_implIS3_Lb1EPKS5_PS5_PKlPlN2at6native12_GLOBAL__N_18offset_tEEE10hipError_tPvRmT1_PNSt15iterator_traitsISL_E10value_typeET2_T3_PNSM_ISR_E10value_typeET4_jRbjT5_SX_jjP12ihipStream_tbEUlT_E2_NS1_11comp_targetILNS1_3genE10ELNS1_11target_archE1200ELNS1_3gpuE4ELNS1_3repE0EEENS1_30default_config_static_selectorELNS0_4arch9wavefront6targetE0EEEvSL_.num_vgpr, 0
	.set _ZN7rocprim17ROCPRIM_400000_NS6detail17trampoline_kernelINS0_14default_configENS1_36segmented_radix_sort_config_selectorI12hip_bfloat16lEEZNS1_25segmented_radix_sort_implIS3_Lb1EPKS5_PS5_PKlPlN2at6native12_GLOBAL__N_18offset_tEEE10hipError_tPvRmT1_PNSt15iterator_traitsISL_E10value_typeET2_T3_PNSM_ISR_E10value_typeET4_jRbjT5_SX_jjP12ihipStream_tbEUlT_E2_NS1_11comp_targetILNS1_3genE10ELNS1_11target_archE1200ELNS1_3gpuE4ELNS1_3repE0EEENS1_30default_config_static_selectorELNS0_4arch9wavefront6targetE0EEEvSL_.num_agpr, 0
	.set _ZN7rocprim17ROCPRIM_400000_NS6detail17trampoline_kernelINS0_14default_configENS1_36segmented_radix_sort_config_selectorI12hip_bfloat16lEEZNS1_25segmented_radix_sort_implIS3_Lb1EPKS5_PS5_PKlPlN2at6native12_GLOBAL__N_18offset_tEEE10hipError_tPvRmT1_PNSt15iterator_traitsISL_E10value_typeET2_T3_PNSM_ISR_E10value_typeET4_jRbjT5_SX_jjP12ihipStream_tbEUlT_E2_NS1_11comp_targetILNS1_3genE10ELNS1_11target_archE1200ELNS1_3gpuE4ELNS1_3repE0EEENS1_30default_config_static_selectorELNS0_4arch9wavefront6targetE0EEEvSL_.numbered_sgpr, 0
	.set _ZN7rocprim17ROCPRIM_400000_NS6detail17trampoline_kernelINS0_14default_configENS1_36segmented_radix_sort_config_selectorI12hip_bfloat16lEEZNS1_25segmented_radix_sort_implIS3_Lb1EPKS5_PS5_PKlPlN2at6native12_GLOBAL__N_18offset_tEEE10hipError_tPvRmT1_PNSt15iterator_traitsISL_E10value_typeET2_T3_PNSM_ISR_E10value_typeET4_jRbjT5_SX_jjP12ihipStream_tbEUlT_E2_NS1_11comp_targetILNS1_3genE10ELNS1_11target_archE1200ELNS1_3gpuE4ELNS1_3repE0EEENS1_30default_config_static_selectorELNS0_4arch9wavefront6targetE0EEEvSL_.num_named_barrier, 0
	.set _ZN7rocprim17ROCPRIM_400000_NS6detail17trampoline_kernelINS0_14default_configENS1_36segmented_radix_sort_config_selectorI12hip_bfloat16lEEZNS1_25segmented_radix_sort_implIS3_Lb1EPKS5_PS5_PKlPlN2at6native12_GLOBAL__N_18offset_tEEE10hipError_tPvRmT1_PNSt15iterator_traitsISL_E10value_typeET2_T3_PNSM_ISR_E10value_typeET4_jRbjT5_SX_jjP12ihipStream_tbEUlT_E2_NS1_11comp_targetILNS1_3genE10ELNS1_11target_archE1200ELNS1_3gpuE4ELNS1_3repE0EEENS1_30default_config_static_selectorELNS0_4arch9wavefront6targetE0EEEvSL_.private_seg_size, 0
	.set _ZN7rocprim17ROCPRIM_400000_NS6detail17trampoline_kernelINS0_14default_configENS1_36segmented_radix_sort_config_selectorI12hip_bfloat16lEEZNS1_25segmented_radix_sort_implIS3_Lb1EPKS5_PS5_PKlPlN2at6native12_GLOBAL__N_18offset_tEEE10hipError_tPvRmT1_PNSt15iterator_traitsISL_E10value_typeET2_T3_PNSM_ISR_E10value_typeET4_jRbjT5_SX_jjP12ihipStream_tbEUlT_E2_NS1_11comp_targetILNS1_3genE10ELNS1_11target_archE1200ELNS1_3gpuE4ELNS1_3repE0EEENS1_30default_config_static_selectorELNS0_4arch9wavefront6targetE0EEEvSL_.uses_vcc, 0
	.set _ZN7rocprim17ROCPRIM_400000_NS6detail17trampoline_kernelINS0_14default_configENS1_36segmented_radix_sort_config_selectorI12hip_bfloat16lEEZNS1_25segmented_radix_sort_implIS3_Lb1EPKS5_PS5_PKlPlN2at6native12_GLOBAL__N_18offset_tEEE10hipError_tPvRmT1_PNSt15iterator_traitsISL_E10value_typeET2_T3_PNSM_ISR_E10value_typeET4_jRbjT5_SX_jjP12ihipStream_tbEUlT_E2_NS1_11comp_targetILNS1_3genE10ELNS1_11target_archE1200ELNS1_3gpuE4ELNS1_3repE0EEENS1_30default_config_static_selectorELNS0_4arch9wavefront6targetE0EEEvSL_.uses_flat_scratch, 0
	.set _ZN7rocprim17ROCPRIM_400000_NS6detail17trampoline_kernelINS0_14default_configENS1_36segmented_radix_sort_config_selectorI12hip_bfloat16lEEZNS1_25segmented_radix_sort_implIS3_Lb1EPKS5_PS5_PKlPlN2at6native12_GLOBAL__N_18offset_tEEE10hipError_tPvRmT1_PNSt15iterator_traitsISL_E10value_typeET2_T3_PNSM_ISR_E10value_typeET4_jRbjT5_SX_jjP12ihipStream_tbEUlT_E2_NS1_11comp_targetILNS1_3genE10ELNS1_11target_archE1200ELNS1_3gpuE4ELNS1_3repE0EEENS1_30default_config_static_selectorELNS0_4arch9wavefront6targetE0EEEvSL_.has_dyn_sized_stack, 0
	.set _ZN7rocprim17ROCPRIM_400000_NS6detail17trampoline_kernelINS0_14default_configENS1_36segmented_radix_sort_config_selectorI12hip_bfloat16lEEZNS1_25segmented_radix_sort_implIS3_Lb1EPKS5_PS5_PKlPlN2at6native12_GLOBAL__N_18offset_tEEE10hipError_tPvRmT1_PNSt15iterator_traitsISL_E10value_typeET2_T3_PNSM_ISR_E10value_typeET4_jRbjT5_SX_jjP12ihipStream_tbEUlT_E2_NS1_11comp_targetILNS1_3genE10ELNS1_11target_archE1200ELNS1_3gpuE4ELNS1_3repE0EEENS1_30default_config_static_selectorELNS0_4arch9wavefront6targetE0EEEvSL_.has_recursion, 0
	.set _ZN7rocprim17ROCPRIM_400000_NS6detail17trampoline_kernelINS0_14default_configENS1_36segmented_radix_sort_config_selectorI12hip_bfloat16lEEZNS1_25segmented_radix_sort_implIS3_Lb1EPKS5_PS5_PKlPlN2at6native12_GLOBAL__N_18offset_tEEE10hipError_tPvRmT1_PNSt15iterator_traitsISL_E10value_typeET2_T3_PNSM_ISR_E10value_typeET4_jRbjT5_SX_jjP12ihipStream_tbEUlT_E2_NS1_11comp_targetILNS1_3genE10ELNS1_11target_archE1200ELNS1_3gpuE4ELNS1_3repE0EEENS1_30default_config_static_selectorELNS0_4arch9wavefront6targetE0EEEvSL_.has_indirect_call, 0
	.section	.AMDGPU.csdata,"",@progbits
; Kernel info:
; codeLenInByte = 0
; TotalNumSgprs: 0
; NumVgprs: 0
; ScratchSize: 0
; MemoryBound: 0
; FloatMode: 240
; IeeeMode: 1
; LDSByteSize: 0 bytes/workgroup (compile time only)
; SGPRBlocks: 0
; VGPRBlocks: 0
; NumSGPRsForWavesPerEU: 1
; NumVGPRsForWavesPerEU: 1
; NamedBarCnt: 0
; Occupancy: 16
; WaveLimiterHint : 0
; COMPUTE_PGM_RSRC2:SCRATCH_EN: 0
; COMPUTE_PGM_RSRC2:USER_SGPR: 2
; COMPUTE_PGM_RSRC2:TRAP_HANDLER: 0
; COMPUTE_PGM_RSRC2:TGID_X_EN: 1
; COMPUTE_PGM_RSRC2:TGID_Y_EN: 0
; COMPUTE_PGM_RSRC2:TGID_Z_EN: 0
; COMPUTE_PGM_RSRC2:TIDIG_COMP_CNT: 0
	.section	.text._ZN7rocprim17ROCPRIM_400000_NS6detail17trampoline_kernelINS0_14default_configENS1_36segmented_radix_sort_config_selectorI12hip_bfloat16lEEZNS1_25segmented_radix_sort_implIS3_Lb1EPKS5_PS5_PKlPlN2at6native12_GLOBAL__N_18offset_tEEE10hipError_tPvRmT1_PNSt15iterator_traitsISL_E10value_typeET2_T3_PNSM_ISR_E10value_typeET4_jRbjT5_SX_jjP12ihipStream_tbEUlT_E2_NS1_11comp_targetILNS1_3genE9ELNS1_11target_archE1100ELNS1_3gpuE3ELNS1_3repE0EEENS1_30default_config_static_selectorELNS0_4arch9wavefront6targetE0EEEvSL_,"axG",@progbits,_ZN7rocprim17ROCPRIM_400000_NS6detail17trampoline_kernelINS0_14default_configENS1_36segmented_radix_sort_config_selectorI12hip_bfloat16lEEZNS1_25segmented_radix_sort_implIS3_Lb1EPKS5_PS5_PKlPlN2at6native12_GLOBAL__N_18offset_tEEE10hipError_tPvRmT1_PNSt15iterator_traitsISL_E10value_typeET2_T3_PNSM_ISR_E10value_typeET4_jRbjT5_SX_jjP12ihipStream_tbEUlT_E2_NS1_11comp_targetILNS1_3genE9ELNS1_11target_archE1100ELNS1_3gpuE3ELNS1_3repE0EEENS1_30default_config_static_selectorELNS0_4arch9wavefront6targetE0EEEvSL_,comdat
	.globl	_ZN7rocprim17ROCPRIM_400000_NS6detail17trampoline_kernelINS0_14default_configENS1_36segmented_radix_sort_config_selectorI12hip_bfloat16lEEZNS1_25segmented_radix_sort_implIS3_Lb1EPKS5_PS5_PKlPlN2at6native12_GLOBAL__N_18offset_tEEE10hipError_tPvRmT1_PNSt15iterator_traitsISL_E10value_typeET2_T3_PNSM_ISR_E10value_typeET4_jRbjT5_SX_jjP12ihipStream_tbEUlT_E2_NS1_11comp_targetILNS1_3genE9ELNS1_11target_archE1100ELNS1_3gpuE3ELNS1_3repE0EEENS1_30default_config_static_selectorELNS0_4arch9wavefront6targetE0EEEvSL_ ; -- Begin function _ZN7rocprim17ROCPRIM_400000_NS6detail17trampoline_kernelINS0_14default_configENS1_36segmented_radix_sort_config_selectorI12hip_bfloat16lEEZNS1_25segmented_radix_sort_implIS3_Lb1EPKS5_PS5_PKlPlN2at6native12_GLOBAL__N_18offset_tEEE10hipError_tPvRmT1_PNSt15iterator_traitsISL_E10value_typeET2_T3_PNSM_ISR_E10value_typeET4_jRbjT5_SX_jjP12ihipStream_tbEUlT_E2_NS1_11comp_targetILNS1_3genE9ELNS1_11target_archE1100ELNS1_3gpuE3ELNS1_3repE0EEENS1_30default_config_static_selectorELNS0_4arch9wavefront6targetE0EEEvSL_
	.p2align	8
	.type	_ZN7rocprim17ROCPRIM_400000_NS6detail17trampoline_kernelINS0_14default_configENS1_36segmented_radix_sort_config_selectorI12hip_bfloat16lEEZNS1_25segmented_radix_sort_implIS3_Lb1EPKS5_PS5_PKlPlN2at6native12_GLOBAL__N_18offset_tEEE10hipError_tPvRmT1_PNSt15iterator_traitsISL_E10value_typeET2_T3_PNSM_ISR_E10value_typeET4_jRbjT5_SX_jjP12ihipStream_tbEUlT_E2_NS1_11comp_targetILNS1_3genE9ELNS1_11target_archE1100ELNS1_3gpuE3ELNS1_3repE0EEENS1_30default_config_static_selectorELNS0_4arch9wavefront6targetE0EEEvSL_,@function
_ZN7rocprim17ROCPRIM_400000_NS6detail17trampoline_kernelINS0_14default_configENS1_36segmented_radix_sort_config_selectorI12hip_bfloat16lEEZNS1_25segmented_radix_sort_implIS3_Lb1EPKS5_PS5_PKlPlN2at6native12_GLOBAL__N_18offset_tEEE10hipError_tPvRmT1_PNSt15iterator_traitsISL_E10value_typeET2_T3_PNSM_ISR_E10value_typeET4_jRbjT5_SX_jjP12ihipStream_tbEUlT_E2_NS1_11comp_targetILNS1_3genE9ELNS1_11target_archE1100ELNS1_3gpuE3ELNS1_3repE0EEENS1_30default_config_static_selectorELNS0_4arch9wavefront6targetE0EEEvSL_: ; @_ZN7rocprim17ROCPRIM_400000_NS6detail17trampoline_kernelINS0_14default_configENS1_36segmented_radix_sort_config_selectorI12hip_bfloat16lEEZNS1_25segmented_radix_sort_implIS3_Lb1EPKS5_PS5_PKlPlN2at6native12_GLOBAL__N_18offset_tEEE10hipError_tPvRmT1_PNSt15iterator_traitsISL_E10value_typeET2_T3_PNSM_ISR_E10value_typeET4_jRbjT5_SX_jjP12ihipStream_tbEUlT_E2_NS1_11comp_targetILNS1_3genE9ELNS1_11target_archE1100ELNS1_3gpuE3ELNS1_3repE0EEENS1_30default_config_static_selectorELNS0_4arch9wavefront6targetE0EEEvSL_
; %bb.0:
	.section	.rodata,"a",@progbits
	.p2align	6, 0x0
	.amdhsa_kernel _ZN7rocprim17ROCPRIM_400000_NS6detail17trampoline_kernelINS0_14default_configENS1_36segmented_radix_sort_config_selectorI12hip_bfloat16lEEZNS1_25segmented_radix_sort_implIS3_Lb1EPKS5_PS5_PKlPlN2at6native12_GLOBAL__N_18offset_tEEE10hipError_tPvRmT1_PNSt15iterator_traitsISL_E10value_typeET2_T3_PNSM_ISR_E10value_typeET4_jRbjT5_SX_jjP12ihipStream_tbEUlT_E2_NS1_11comp_targetILNS1_3genE9ELNS1_11target_archE1100ELNS1_3gpuE3ELNS1_3repE0EEENS1_30default_config_static_selectorELNS0_4arch9wavefront6targetE0EEEvSL_
		.amdhsa_group_segment_fixed_size 0
		.amdhsa_private_segment_fixed_size 0
		.amdhsa_kernarg_size 80
		.amdhsa_user_sgpr_count 2
		.amdhsa_user_sgpr_dispatch_ptr 0
		.amdhsa_user_sgpr_queue_ptr 0
		.amdhsa_user_sgpr_kernarg_segment_ptr 1
		.amdhsa_user_sgpr_dispatch_id 0
		.amdhsa_user_sgpr_kernarg_preload_length 0
		.amdhsa_user_sgpr_kernarg_preload_offset 0
		.amdhsa_user_sgpr_private_segment_size 0
		.amdhsa_wavefront_size32 1
		.amdhsa_uses_dynamic_stack 0
		.amdhsa_enable_private_segment 0
		.amdhsa_system_sgpr_workgroup_id_x 1
		.amdhsa_system_sgpr_workgroup_id_y 0
		.amdhsa_system_sgpr_workgroup_id_z 0
		.amdhsa_system_sgpr_workgroup_info 0
		.amdhsa_system_vgpr_workitem_id 0
		.amdhsa_next_free_vgpr 1
		.amdhsa_next_free_sgpr 1
		.amdhsa_named_barrier_count 0
		.amdhsa_reserve_vcc 0
		.amdhsa_float_round_mode_32 0
		.amdhsa_float_round_mode_16_64 0
		.amdhsa_float_denorm_mode_32 3
		.amdhsa_float_denorm_mode_16_64 3
		.amdhsa_fp16_overflow 0
		.amdhsa_memory_ordered 1
		.amdhsa_forward_progress 1
		.amdhsa_inst_pref_size 0
		.amdhsa_round_robin_scheduling 0
		.amdhsa_exception_fp_ieee_invalid_op 0
		.amdhsa_exception_fp_denorm_src 0
		.amdhsa_exception_fp_ieee_div_zero 0
		.amdhsa_exception_fp_ieee_overflow 0
		.amdhsa_exception_fp_ieee_underflow 0
		.amdhsa_exception_fp_ieee_inexact 0
		.amdhsa_exception_int_div_zero 0
	.end_amdhsa_kernel
	.section	.text._ZN7rocprim17ROCPRIM_400000_NS6detail17trampoline_kernelINS0_14default_configENS1_36segmented_radix_sort_config_selectorI12hip_bfloat16lEEZNS1_25segmented_radix_sort_implIS3_Lb1EPKS5_PS5_PKlPlN2at6native12_GLOBAL__N_18offset_tEEE10hipError_tPvRmT1_PNSt15iterator_traitsISL_E10value_typeET2_T3_PNSM_ISR_E10value_typeET4_jRbjT5_SX_jjP12ihipStream_tbEUlT_E2_NS1_11comp_targetILNS1_3genE9ELNS1_11target_archE1100ELNS1_3gpuE3ELNS1_3repE0EEENS1_30default_config_static_selectorELNS0_4arch9wavefront6targetE0EEEvSL_,"axG",@progbits,_ZN7rocprim17ROCPRIM_400000_NS6detail17trampoline_kernelINS0_14default_configENS1_36segmented_radix_sort_config_selectorI12hip_bfloat16lEEZNS1_25segmented_radix_sort_implIS3_Lb1EPKS5_PS5_PKlPlN2at6native12_GLOBAL__N_18offset_tEEE10hipError_tPvRmT1_PNSt15iterator_traitsISL_E10value_typeET2_T3_PNSM_ISR_E10value_typeET4_jRbjT5_SX_jjP12ihipStream_tbEUlT_E2_NS1_11comp_targetILNS1_3genE9ELNS1_11target_archE1100ELNS1_3gpuE3ELNS1_3repE0EEENS1_30default_config_static_selectorELNS0_4arch9wavefront6targetE0EEEvSL_,comdat
.Lfunc_end1973:
	.size	_ZN7rocprim17ROCPRIM_400000_NS6detail17trampoline_kernelINS0_14default_configENS1_36segmented_radix_sort_config_selectorI12hip_bfloat16lEEZNS1_25segmented_radix_sort_implIS3_Lb1EPKS5_PS5_PKlPlN2at6native12_GLOBAL__N_18offset_tEEE10hipError_tPvRmT1_PNSt15iterator_traitsISL_E10value_typeET2_T3_PNSM_ISR_E10value_typeET4_jRbjT5_SX_jjP12ihipStream_tbEUlT_E2_NS1_11comp_targetILNS1_3genE9ELNS1_11target_archE1100ELNS1_3gpuE3ELNS1_3repE0EEENS1_30default_config_static_selectorELNS0_4arch9wavefront6targetE0EEEvSL_, .Lfunc_end1973-_ZN7rocprim17ROCPRIM_400000_NS6detail17trampoline_kernelINS0_14default_configENS1_36segmented_radix_sort_config_selectorI12hip_bfloat16lEEZNS1_25segmented_radix_sort_implIS3_Lb1EPKS5_PS5_PKlPlN2at6native12_GLOBAL__N_18offset_tEEE10hipError_tPvRmT1_PNSt15iterator_traitsISL_E10value_typeET2_T3_PNSM_ISR_E10value_typeET4_jRbjT5_SX_jjP12ihipStream_tbEUlT_E2_NS1_11comp_targetILNS1_3genE9ELNS1_11target_archE1100ELNS1_3gpuE3ELNS1_3repE0EEENS1_30default_config_static_selectorELNS0_4arch9wavefront6targetE0EEEvSL_
                                        ; -- End function
	.set _ZN7rocprim17ROCPRIM_400000_NS6detail17trampoline_kernelINS0_14default_configENS1_36segmented_radix_sort_config_selectorI12hip_bfloat16lEEZNS1_25segmented_radix_sort_implIS3_Lb1EPKS5_PS5_PKlPlN2at6native12_GLOBAL__N_18offset_tEEE10hipError_tPvRmT1_PNSt15iterator_traitsISL_E10value_typeET2_T3_PNSM_ISR_E10value_typeET4_jRbjT5_SX_jjP12ihipStream_tbEUlT_E2_NS1_11comp_targetILNS1_3genE9ELNS1_11target_archE1100ELNS1_3gpuE3ELNS1_3repE0EEENS1_30default_config_static_selectorELNS0_4arch9wavefront6targetE0EEEvSL_.num_vgpr, 0
	.set _ZN7rocprim17ROCPRIM_400000_NS6detail17trampoline_kernelINS0_14default_configENS1_36segmented_radix_sort_config_selectorI12hip_bfloat16lEEZNS1_25segmented_radix_sort_implIS3_Lb1EPKS5_PS5_PKlPlN2at6native12_GLOBAL__N_18offset_tEEE10hipError_tPvRmT1_PNSt15iterator_traitsISL_E10value_typeET2_T3_PNSM_ISR_E10value_typeET4_jRbjT5_SX_jjP12ihipStream_tbEUlT_E2_NS1_11comp_targetILNS1_3genE9ELNS1_11target_archE1100ELNS1_3gpuE3ELNS1_3repE0EEENS1_30default_config_static_selectorELNS0_4arch9wavefront6targetE0EEEvSL_.num_agpr, 0
	.set _ZN7rocprim17ROCPRIM_400000_NS6detail17trampoline_kernelINS0_14default_configENS1_36segmented_radix_sort_config_selectorI12hip_bfloat16lEEZNS1_25segmented_radix_sort_implIS3_Lb1EPKS5_PS5_PKlPlN2at6native12_GLOBAL__N_18offset_tEEE10hipError_tPvRmT1_PNSt15iterator_traitsISL_E10value_typeET2_T3_PNSM_ISR_E10value_typeET4_jRbjT5_SX_jjP12ihipStream_tbEUlT_E2_NS1_11comp_targetILNS1_3genE9ELNS1_11target_archE1100ELNS1_3gpuE3ELNS1_3repE0EEENS1_30default_config_static_selectorELNS0_4arch9wavefront6targetE0EEEvSL_.numbered_sgpr, 0
	.set _ZN7rocprim17ROCPRIM_400000_NS6detail17trampoline_kernelINS0_14default_configENS1_36segmented_radix_sort_config_selectorI12hip_bfloat16lEEZNS1_25segmented_radix_sort_implIS3_Lb1EPKS5_PS5_PKlPlN2at6native12_GLOBAL__N_18offset_tEEE10hipError_tPvRmT1_PNSt15iterator_traitsISL_E10value_typeET2_T3_PNSM_ISR_E10value_typeET4_jRbjT5_SX_jjP12ihipStream_tbEUlT_E2_NS1_11comp_targetILNS1_3genE9ELNS1_11target_archE1100ELNS1_3gpuE3ELNS1_3repE0EEENS1_30default_config_static_selectorELNS0_4arch9wavefront6targetE0EEEvSL_.num_named_barrier, 0
	.set _ZN7rocprim17ROCPRIM_400000_NS6detail17trampoline_kernelINS0_14default_configENS1_36segmented_radix_sort_config_selectorI12hip_bfloat16lEEZNS1_25segmented_radix_sort_implIS3_Lb1EPKS5_PS5_PKlPlN2at6native12_GLOBAL__N_18offset_tEEE10hipError_tPvRmT1_PNSt15iterator_traitsISL_E10value_typeET2_T3_PNSM_ISR_E10value_typeET4_jRbjT5_SX_jjP12ihipStream_tbEUlT_E2_NS1_11comp_targetILNS1_3genE9ELNS1_11target_archE1100ELNS1_3gpuE3ELNS1_3repE0EEENS1_30default_config_static_selectorELNS0_4arch9wavefront6targetE0EEEvSL_.private_seg_size, 0
	.set _ZN7rocprim17ROCPRIM_400000_NS6detail17trampoline_kernelINS0_14default_configENS1_36segmented_radix_sort_config_selectorI12hip_bfloat16lEEZNS1_25segmented_radix_sort_implIS3_Lb1EPKS5_PS5_PKlPlN2at6native12_GLOBAL__N_18offset_tEEE10hipError_tPvRmT1_PNSt15iterator_traitsISL_E10value_typeET2_T3_PNSM_ISR_E10value_typeET4_jRbjT5_SX_jjP12ihipStream_tbEUlT_E2_NS1_11comp_targetILNS1_3genE9ELNS1_11target_archE1100ELNS1_3gpuE3ELNS1_3repE0EEENS1_30default_config_static_selectorELNS0_4arch9wavefront6targetE0EEEvSL_.uses_vcc, 0
	.set _ZN7rocprim17ROCPRIM_400000_NS6detail17trampoline_kernelINS0_14default_configENS1_36segmented_radix_sort_config_selectorI12hip_bfloat16lEEZNS1_25segmented_radix_sort_implIS3_Lb1EPKS5_PS5_PKlPlN2at6native12_GLOBAL__N_18offset_tEEE10hipError_tPvRmT1_PNSt15iterator_traitsISL_E10value_typeET2_T3_PNSM_ISR_E10value_typeET4_jRbjT5_SX_jjP12ihipStream_tbEUlT_E2_NS1_11comp_targetILNS1_3genE9ELNS1_11target_archE1100ELNS1_3gpuE3ELNS1_3repE0EEENS1_30default_config_static_selectorELNS0_4arch9wavefront6targetE0EEEvSL_.uses_flat_scratch, 0
	.set _ZN7rocprim17ROCPRIM_400000_NS6detail17trampoline_kernelINS0_14default_configENS1_36segmented_radix_sort_config_selectorI12hip_bfloat16lEEZNS1_25segmented_radix_sort_implIS3_Lb1EPKS5_PS5_PKlPlN2at6native12_GLOBAL__N_18offset_tEEE10hipError_tPvRmT1_PNSt15iterator_traitsISL_E10value_typeET2_T3_PNSM_ISR_E10value_typeET4_jRbjT5_SX_jjP12ihipStream_tbEUlT_E2_NS1_11comp_targetILNS1_3genE9ELNS1_11target_archE1100ELNS1_3gpuE3ELNS1_3repE0EEENS1_30default_config_static_selectorELNS0_4arch9wavefront6targetE0EEEvSL_.has_dyn_sized_stack, 0
	.set _ZN7rocprim17ROCPRIM_400000_NS6detail17trampoline_kernelINS0_14default_configENS1_36segmented_radix_sort_config_selectorI12hip_bfloat16lEEZNS1_25segmented_radix_sort_implIS3_Lb1EPKS5_PS5_PKlPlN2at6native12_GLOBAL__N_18offset_tEEE10hipError_tPvRmT1_PNSt15iterator_traitsISL_E10value_typeET2_T3_PNSM_ISR_E10value_typeET4_jRbjT5_SX_jjP12ihipStream_tbEUlT_E2_NS1_11comp_targetILNS1_3genE9ELNS1_11target_archE1100ELNS1_3gpuE3ELNS1_3repE0EEENS1_30default_config_static_selectorELNS0_4arch9wavefront6targetE0EEEvSL_.has_recursion, 0
	.set _ZN7rocprim17ROCPRIM_400000_NS6detail17trampoline_kernelINS0_14default_configENS1_36segmented_radix_sort_config_selectorI12hip_bfloat16lEEZNS1_25segmented_radix_sort_implIS3_Lb1EPKS5_PS5_PKlPlN2at6native12_GLOBAL__N_18offset_tEEE10hipError_tPvRmT1_PNSt15iterator_traitsISL_E10value_typeET2_T3_PNSM_ISR_E10value_typeET4_jRbjT5_SX_jjP12ihipStream_tbEUlT_E2_NS1_11comp_targetILNS1_3genE9ELNS1_11target_archE1100ELNS1_3gpuE3ELNS1_3repE0EEENS1_30default_config_static_selectorELNS0_4arch9wavefront6targetE0EEEvSL_.has_indirect_call, 0
	.section	.AMDGPU.csdata,"",@progbits
; Kernel info:
; codeLenInByte = 0
; TotalNumSgprs: 0
; NumVgprs: 0
; ScratchSize: 0
; MemoryBound: 0
; FloatMode: 240
; IeeeMode: 1
; LDSByteSize: 0 bytes/workgroup (compile time only)
; SGPRBlocks: 0
; VGPRBlocks: 0
; NumSGPRsForWavesPerEU: 1
; NumVGPRsForWavesPerEU: 1
; NamedBarCnt: 0
; Occupancy: 16
; WaveLimiterHint : 0
; COMPUTE_PGM_RSRC2:SCRATCH_EN: 0
; COMPUTE_PGM_RSRC2:USER_SGPR: 2
; COMPUTE_PGM_RSRC2:TRAP_HANDLER: 0
; COMPUTE_PGM_RSRC2:TGID_X_EN: 1
; COMPUTE_PGM_RSRC2:TGID_Y_EN: 0
; COMPUTE_PGM_RSRC2:TGID_Z_EN: 0
; COMPUTE_PGM_RSRC2:TIDIG_COMP_CNT: 0
	.section	.text._ZN7rocprim17ROCPRIM_400000_NS6detail17trampoline_kernelINS0_14default_configENS1_36segmented_radix_sort_config_selectorI12hip_bfloat16lEEZNS1_25segmented_radix_sort_implIS3_Lb1EPKS5_PS5_PKlPlN2at6native12_GLOBAL__N_18offset_tEEE10hipError_tPvRmT1_PNSt15iterator_traitsISL_E10value_typeET2_T3_PNSM_ISR_E10value_typeET4_jRbjT5_SX_jjP12ihipStream_tbEUlT_E2_NS1_11comp_targetILNS1_3genE8ELNS1_11target_archE1030ELNS1_3gpuE2ELNS1_3repE0EEENS1_30default_config_static_selectorELNS0_4arch9wavefront6targetE0EEEvSL_,"axG",@progbits,_ZN7rocprim17ROCPRIM_400000_NS6detail17trampoline_kernelINS0_14default_configENS1_36segmented_radix_sort_config_selectorI12hip_bfloat16lEEZNS1_25segmented_radix_sort_implIS3_Lb1EPKS5_PS5_PKlPlN2at6native12_GLOBAL__N_18offset_tEEE10hipError_tPvRmT1_PNSt15iterator_traitsISL_E10value_typeET2_T3_PNSM_ISR_E10value_typeET4_jRbjT5_SX_jjP12ihipStream_tbEUlT_E2_NS1_11comp_targetILNS1_3genE8ELNS1_11target_archE1030ELNS1_3gpuE2ELNS1_3repE0EEENS1_30default_config_static_selectorELNS0_4arch9wavefront6targetE0EEEvSL_,comdat
	.globl	_ZN7rocprim17ROCPRIM_400000_NS6detail17trampoline_kernelINS0_14default_configENS1_36segmented_radix_sort_config_selectorI12hip_bfloat16lEEZNS1_25segmented_radix_sort_implIS3_Lb1EPKS5_PS5_PKlPlN2at6native12_GLOBAL__N_18offset_tEEE10hipError_tPvRmT1_PNSt15iterator_traitsISL_E10value_typeET2_T3_PNSM_ISR_E10value_typeET4_jRbjT5_SX_jjP12ihipStream_tbEUlT_E2_NS1_11comp_targetILNS1_3genE8ELNS1_11target_archE1030ELNS1_3gpuE2ELNS1_3repE0EEENS1_30default_config_static_selectorELNS0_4arch9wavefront6targetE0EEEvSL_ ; -- Begin function _ZN7rocprim17ROCPRIM_400000_NS6detail17trampoline_kernelINS0_14default_configENS1_36segmented_radix_sort_config_selectorI12hip_bfloat16lEEZNS1_25segmented_radix_sort_implIS3_Lb1EPKS5_PS5_PKlPlN2at6native12_GLOBAL__N_18offset_tEEE10hipError_tPvRmT1_PNSt15iterator_traitsISL_E10value_typeET2_T3_PNSM_ISR_E10value_typeET4_jRbjT5_SX_jjP12ihipStream_tbEUlT_E2_NS1_11comp_targetILNS1_3genE8ELNS1_11target_archE1030ELNS1_3gpuE2ELNS1_3repE0EEENS1_30default_config_static_selectorELNS0_4arch9wavefront6targetE0EEEvSL_
	.p2align	8
	.type	_ZN7rocprim17ROCPRIM_400000_NS6detail17trampoline_kernelINS0_14default_configENS1_36segmented_radix_sort_config_selectorI12hip_bfloat16lEEZNS1_25segmented_radix_sort_implIS3_Lb1EPKS5_PS5_PKlPlN2at6native12_GLOBAL__N_18offset_tEEE10hipError_tPvRmT1_PNSt15iterator_traitsISL_E10value_typeET2_T3_PNSM_ISR_E10value_typeET4_jRbjT5_SX_jjP12ihipStream_tbEUlT_E2_NS1_11comp_targetILNS1_3genE8ELNS1_11target_archE1030ELNS1_3gpuE2ELNS1_3repE0EEENS1_30default_config_static_selectorELNS0_4arch9wavefront6targetE0EEEvSL_,@function
_ZN7rocprim17ROCPRIM_400000_NS6detail17trampoline_kernelINS0_14default_configENS1_36segmented_radix_sort_config_selectorI12hip_bfloat16lEEZNS1_25segmented_radix_sort_implIS3_Lb1EPKS5_PS5_PKlPlN2at6native12_GLOBAL__N_18offset_tEEE10hipError_tPvRmT1_PNSt15iterator_traitsISL_E10value_typeET2_T3_PNSM_ISR_E10value_typeET4_jRbjT5_SX_jjP12ihipStream_tbEUlT_E2_NS1_11comp_targetILNS1_3genE8ELNS1_11target_archE1030ELNS1_3gpuE2ELNS1_3repE0EEENS1_30default_config_static_selectorELNS0_4arch9wavefront6targetE0EEEvSL_: ; @_ZN7rocprim17ROCPRIM_400000_NS6detail17trampoline_kernelINS0_14default_configENS1_36segmented_radix_sort_config_selectorI12hip_bfloat16lEEZNS1_25segmented_radix_sort_implIS3_Lb1EPKS5_PS5_PKlPlN2at6native12_GLOBAL__N_18offset_tEEE10hipError_tPvRmT1_PNSt15iterator_traitsISL_E10value_typeET2_T3_PNSM_ISR_E10value_typeET4_jRbjT5_SX_jjP12ihipStream_tbEUlT_E2_NS1_11comp_targetILNS1_3genE8ELNS1_11target_archE1030ELNS1_3gpuE2ELNS1_3repE0EEENS1_30default_config_static_selectorELNS0_4arch9wavefront6targetE0EEEvSL_
; %bb.0:
	.section	.rodata,"a",@progbits
	.p2align	6, 0x0
	.amdhsa_kernel _ZN7rocprim17ROCPRIM_400000_NS6detail17trampoline_kernelINS0_14default_configENS1_36segmented_radix_sort_config_selectorI12hip_bfloat16lEEZNS1_25segmented_radix_sort_implIS3_Lb1EPKS5_PS5_PKlPlN2at6native12_GLOBAL__N_18offset_tEEE10hipError_tPvRmT1_PNSt15iterator_traitsISL_E10value_typeET2_T3_PNSM_ISR_E10value_typeET4_jRbjT5_SX_jjP12ihipStream_tbEUlT_E2_NS1_11comp_targetILNS1_3genE8ELNS1_11target_archE1030ELNS1_3gpuE2ELNS1_3repE0EEENS1_30default_config_static_selectorELNS0_4arch9wavefront6targetE0EEEvSL_
		.amdhsa_group_segment_fixed_size 0
		.amdhsa_private_segment_fixed_size 0
		.amdhsa_kernarg_size 80
		.amdhsa_user_sgpr_count 2
		.amdhsa_user_sgpr_dispatch_ptr 0
		.amdhsa_user_sgpr_queue_ptr 0
		.amdhsa_user_sgpr_kernarg_segment_ptr 1
		.amdhsa_user_sgpr_dispatch_id 0
		.amdhsa_user_sgpr_kernarg_preload_length 0
		.amdhsa_user_sgpr_kernarg_preload_offset 0
		.amdhsa_user_sgpr_private_segment_size 0
		.amdhsa_wavefront_size32 1
		.amdhsa_uses_dynamic_stack 0
		.amdhsa_enable_private_segment 0
		.amdhsa_system_sgpr_workgroup_id_x 1
		.amdhsa_system_sgpr_workgroup_id_y 0
		.amdhsa_system_sgpr_workgroup_id_z 0
		.amdhsa_system_sgpr_workgroup_info 0
		.amdhsa_system_vgpr_workitem_id 0
		.amdhsa_next_free_vgpr 1
		.amdhsa_next_free_sgpr 1
		.amdhsa_named_barrier_count 0
		.amdhsa_reserve_vcc 0
		.amdhsa_float_round_mode_32 0
		.amdhsa_float_round_mode_16_64 0
		.amdhsa_float_denorm_mode_32 3
		.amdhsa_float_denorm_mode_16_64 3
		.amdhsa_fp16_overflow 0
		.amdhsa_memory_ordered 1
		.amdhsa_forward_progress 1
		.amdhsa_inst_pref_size 0
		.amdhsa_round_robin_scheduling 0
		.amdhsa_exception_fp_ieee_invalid_op 0
		.amdhsa_exception_fp_denorm_src 0
		.amdhsa_exception_fp_ieee_div_zero 0
		.amdhsa_exception_fp_ieee_overflow 0
		.amdhsa_exception_fp_ieee_underflow 0
		.amdhsa_exception_fp_ieee_inexact 0
		.amdhsa_exception_int_div_zero 0
	.end_amdhsa_kernel
	.section	.text._ZN7rocprim17ROCPRIM_400000_NS6detail17trampoline_kernelINS0_14default_configENS1_36segmented_radix_sort_config_selectorI12hip_bfloat16lEEZNS1_25segmented_radix_sort_implIS3_Lb1EPKS5_PS5_PKlPlN2at6native12_GLOBAL__N_18offset_tEEE10hipError_tPvRmT1_PNSt15iterator_traitsISL_E10value_typeET2_T3_PNSM_ISR_E10value_typeET4_jRbjT5_SX_jjP12ihipStream_tbEUlT_E2_NS1_11comp_targetILNS1_3genE8ELNS1_11target_archE1030ELNS1_3gpuE2ELNS1_3repE0EEENS1_30default_config_static_selectorELNS0_4arch9wavefront6targetE0EEEvSL_,"axG",@progbits,_ZN7rocprim17ROCPRIM_400000_NS6detail17trampoline_kernelINS0_14default_configENS1_36segmented_radix_sort_config_selectorI12hip_bfloat16lEEZNS1_25segmented_radix_sort_implIS3_Lb1EPKS5_PS5_PKlPlN2at6native12_GLOBAL__N_18offset_tEEE10hipError_tPvRmT1_PNSt15iterator_traitsISL_E10value_typeET2_T3_PNSM_ISR_E10value_typeET4_jRbjT5_SX_jjP12ihipStream_tbEUlT_E2_NS1_11comp_targetILNS1_3genE8ELNS1_11target_archE1030ELNS1_3gpuE2ELNS1_3repE0EEENS1_30default_config_static_selectorELNS0_4arch9wavefront6targetE0EEEvSL_,comdat
.Lfunc_end1974:
	.size	_ZN7rocprim17ROCPRIM_400000_NS6detail17trampoline_kernelINS0_14default_configENS1_36segmented_radix_sort_config_selectorI12hip_bfloat16lEEZNS1_25segmented_radix_sort_implIS3_Lb1EPKS5_PS5_PKlPlN2at6native12_GLOBAL__N_18offset_tEEE10hipError_tPvRmT1_PNSt15iterator_traitsISL_E10value_typeET2_T3_PNSM_ISR_E10value_typeET4_jRbjT5_SX_jjP12ihipStream_tbEUlT_E2_NS1_11comp_targetILNS1_3genE8ELNS1_11target_archE1030ELNS1_3gpuE2ELNS1_3repE0EEENS1_30default_config_static_selectorELNS0_4arch9wavefront6targetE0EEEvSL_, .Lfunc_end1974-_ZN7rocprim17ROCPRIM_400000_NS6detail17trampoline_kernelINS0_14default_configENS1_36segmented_radix_sort_config_selectorI12hip_bfloat16lEEZNS1_25segmented_radix_sort_implIS3_Lb1EPKS5_PS5_PKlPlN2at6native12_GLOBAL__N_18offset_tEEE10hipError_tPvRmT1_PNSt15iterator_traitsISL_E10value_typeET2_T3_PNSM_ISR_E10value_typeET4_jRbjT5_SX_jjP12ihipStream_tbEUlT_E2_NS1_11comp_targetILNS1_3genE8ELNS1_11target_archE1030ELNS1_3gpuE2ELNS1_3repE0EEENS1_30default_config_static_selectorELNS0_4arch9wavefront6targetE0EEEvSL_
                                        ; -- End function
	.set _ZN7rocprim17ROCPRIM_400000_NS6detail17trampoline_kernelINS0_14default_configENS1_36segmented_radix_sort_config_selectorI12hip_bfloat16lEEZNS1_25segmented_radix_sort_implIS3_Lb1EPKS5_PS5_PKlPlN2at6native12_GLOBAL__N_18offset_tEEE10hipError_tPvRmT1_PNSt15iterator_traitsISL_E10value_typeET2_T3_PNSM_ISR_E10value_typeET4_jRbjT5_SX_jjP12ihipStream_tbEUlT_E2_NS1_11comp_targetILNS1_3genE8ELNS1_11target_archE1030ELNS1_3gpuE2ELNS1_3repE0EEENS1_30default_config_static_selectorELNS0_4arch9wavefront6targetE0EEEvSL_.num_vgpr, 0
	.set _ZN7rocprim17ROCPRIM_400000_NS6detail17trampoline_kernelINS0_14default_configENS1_36segmented_radix_sort_config_selectorI12hip_bfloat16lEEZNS1_25segmented_radix_sort_implIS3_Lb1EPKS5_PS5_PKlPlN2at6native12_GLOBAL__N_18offset_tEEE10hipError_tPvRmT1_PNSt15iterator_traitsISL_E10value_typeET2_T3_PNSM_ISR_E10value_typeET4_jRbjT5_SX_jjP12ihipStream_tbEUlT_E2_NS1_11comp_targetILNS1_3genE8ELNS1_11target_archE1030ELNS1_3gpuE2ELNS1_3repE0EEENS1_30default_config_static_selectorELNS0_4arch9wavefront6targetE0EEEvSL_.num_agpr, 0
	.set _ZN7rocprim17ROCPRIM_400000_NS6detail17trampoline_kernelINS0_14default_configENS1_36segmented_radix_sort_config_selectorI12hip_bfloat16lEEZNS1_25segmented_radix_sort_implIS3_Lb1EPKS5_PS5_PKlPlN2at6native12_GLOBAL__N_18offset_tEEE10hipError_tPvRmT1_PNSt15iterator_traitsISL_E10value_typeET2_T3_PNSM_ISR_E10value_typeET4_jRbjT5_SX_jjP12ihipStream_tbEUlT_E2_NS1_11comp_targetILNS1_3genE8ELNS1_11target_archE1030ELNS1_3gpuE2ELNS1_3repE0EEENS1_30default_config_static_selectorELNS0_4arch9wavefront6targetE0EEEvSL_.numbered_sgpr, 0
	.set _ZN7rocprim17ROCPRIM_400000_NS6detail17trampoline_kernelINS0_14default_configENS1_36segmented_radix_sort_config_selectorI12hip_bfloat16lEEZNS1_25segmented_radix_sort_implIS3_Lb1EPKS5_PS5_PKlPlN2at6native12_GLOBAL__N_18offset_tEEE10hipError_tPvRmT1_PNSt15iterator_traitsISL_E10value_typeET2_T3_PNSM_ISR_E10value_typeET4_jRbjT5_SX_jjP12ihipStream_tbEUlT_E2_NS1_11comp_targetILNS1_3genE8ELNS1_11target_archE1030ELNS1_3gpuE2ELNS1_3repE0EEENS1_30default_config_static_selectorELNS0_4arch9wavefront6targetE0EEEvSL_.num_named_barrier, 0
	.set _ZN7rocprim17ROCPRIM_400000_NS6detail17trampoline_kernelINS0_14default_configENS1_36segmented_radix_sort_config_selectorI12hip_bfloat16lEEZNS1_25segmented_radix_sort_implIS3_Lb1EPKS5_PS5_PKlPlN2at6native12_GLOBAL__N_18offset_tEEE10hipError_tPvRmT1_PNSt15iterator_traitsISL_E10value_typeET2_T3_PNSM_ISR_E10value_typeET4_jRbjT5_SX_jjP12ihipStream_tbEUlT_E2_NS1_11comp_targetILNS1_3genE8ELNS1_11target_archE1030ELNS1_3gpuE2ELNS1_3repE0EEENS1_30default_config_static_selectorELNS0_4arch9wavefront6targetE0EEEvSL_.private_seg_size, 0
	.set _ZN7rocprim17ROCPRIM_400000_NS6detail17trampoline_kernelINS0_14default_configENS1_36segmented_radix_sort_config_selectorI12hip_bfloat16lEEZNS1_25segmented_radix_sort_implIS3_Lb1EPKS5_PS5_PKlPlN2at6native12_GLOBAL__N_18offset_tEEE10hipError_tPvRmT1_PNSt15iterator_traitsISL_E10value_typeET2_T3_PNSM_ISR_E10value_typeET4_jRbjT5_SX_jjP12ihipStream_tbEUlT_E2_NS1_11comp_targetILNS1_3genE8ELNS1_11target_archE1030ELNS1_3gpuE2ELNS1_3repE0EEENS1_30default_config_static_selectorELNS0_4arch9wavefront6targetE0EEEvSL_.uses_vcc, 0
	.set _ZN7rocprim17ROCPRIM_400000_NS6detail17trampoline_kernelINS0_14default_configENS1_36segmented_radix_sort_config_selectorI12hip_bfloat16lEEZNS1_25segmented_radix_sort_implIS3_Lb1EPKS5_PS5_PKlPlN2at6native12_GLOBAL__N_18offset_tEEE10hipError_tPvRmT1_PNSt15iterator_traitsISL_E10value_typeET2_T3_PNSM_ISR_E10value_typeET4_jRbjT5_SX_jjP12ihipStream_tbEUlT_E2_NS1_11comp_targetILNS1_3genE8ELNS1_11target_archE1030ELNS1_3gpuE2ELNS1_3repE0EEENS1_30default_config_static_selectorELNS0_4arch9wavefront6targetE0EEEvSL_.uses_flat_scratch, 0
	.set _ZN7rocprim17ROCPRIM_400000_NS6detail17trampoline_kernelINS0_14default_configENS1_36segmented_radix_sort_config_selectorI12hip_bfloat16lEEZNS1_25segmented_radix_sort_implIS3_Lb1EPKS5_PS5_PKlPlN2at6native12_GLOBAL__N_18offset_tEEE10hipError_tPvRmT1_PNSt15iterator_traitsISL_E10value_typeET2_T3_PNSM_ISR_E10value_typeET4_jRbjT5_SX_jjP12ihipStream_tbEUlT_E2_NS1_11comp_targetILNS1_3genE8ELNS1_11target_archE1030ELNS1_3gpuE2ELNS1_3repE0EEENS1_30default_config_static_selectorELNS0_4arch9wavefront6targetE0EEEvSL_.has_dyn_sized_stack, 0
	.set _ZN7rocprim17ROCPRIM_400000_NS6detail17trampoline_kernelINS0_14default_configENS1_36segmented_radix_sort_config_selectorI12hip_bfloat16lEEZNS1_25segmented_radix_sort_implIS3_Lb1EPKS5_PS5_PKlPlN2at6native12_GLOBAL__N_18offset_tEEE10hipError_tPvRmT1_PNSt15iterator_traitsISL_E10value_typeET2_T3_PNSM_ISR_E10value_typeET4_jRbjT5_SX_jjP12ihipStream_tbEUlT_E2_NS1_11comp_targetILNS1_3genE8ELNS1_11target_archE1030ELNS1_3gpuE2ELNS1_3repE0EEENS1_30default_config_static_selectorELNS0_4arch9wavefront6targetE0EEEvSL_.has_recursion, 0
	.set _ZN7rocprim17ROCPRIM_400000_NS6detail17trampoline_kernelINS0_14default_configENS1_36segmented_radix_sort_config_selectorI12hip_bfloat16lEEZNS1_25segmented_radix_sort_implIS3_Lb1EPKS5_PS5_PKlPlN2at6native12_GLOBAL__N_18offset_tEEE10hipError_tPvRmT1_PNSt15iterator_traitsISL_E10value_typeET2_T3_PNSM_ISR_E10value_typeET4_jRbjT5_SX_jjP12ihipStream_tbEUlT_E2_NS1_11comp_targetILNS1_3genE8ELNS1_11target_archE1030ELNS1_3gpuE2ELNS1_3repE0EEENS1_30default_config_static_selectorELNS0_4arch9wavefront6targetE0EEEvSL_.has_indirect_call, 0
	.section	.AMDGPU.csdata,"",@progbits
; Kernel info:
; codeLenInByte = 0
; TotalNumSgprs: 0
; NumVgprs: 0
; ScratchSize: 0
; MemoryBound: 0
; FloatMode: 240
; IeeeMode: 1
; LDSByteSize: 0 bytes/workgroup (compile time only)
; SGPRBlocks: 0
; VGPRBlocks: 0
; NumSGPRsForWavesPerEU: 1
; NumVGPRsForWavesPerEU: 1
; NamedBarCnt: 0
; Occupancy: 16
; WaveLimiterHint : 0
; COMPUTE_PGM_RSRC2:SCRATCH_EN: 0
; COMPUTE_PGM_RSRC2:USER_SGPR: 2
; COMPUTE_PGM_RSRC2:TRAP_HANDLER: 0
; COMPUTE_PGM_RSRC2:TGID_X_EN: 1
; COMPUTE_PGM_RSRC2:TGID_Y_EN: 0
; COMPUTE_PGM_RSRC2:TGID_Z_EN: 0
; COMPUTE_PGM_RSRC2:TIDIG_COMP_CNT: 0
	.section	.text._ZN7rocprim17ROCPRIM_400000_NS6detail17trampoline_kernelINS0_13select_configILj256ELj13ELNS0_17block_load_methodE3ELS4_3ELS4_3ELNS0_20block_scan_algorithmE0ELj4294967295EEENS1_25partition_config_selectorILNS1_17partition_subalgoE4EjNS0_10empty_typeEbEEZZNS1_14partition_implILS8_4ELb0ES6_15HIP_vector_typeIjLj2EENS0_17counting_iteratorIjlEEPS9_SG_NS0_5tupleIJPjSI_NS0_16reverse_iteratorISI_EEEEENSH_IJSG_SG_SG_EEES9_SI_JZNS1_25segmented_radix_sort_implINS0_14default_configELb0EPK12hip_bfloat16PSP_PKlPlN2at6native12_GLOBAL__N_18offset_tEEE10hipError_tPvRmT1_PNSt15iterator_traitsIS13_E10value_typeET2_T3_PNS14_IS19_E10value_typeET4_jRbjT5_S1F_jjP12ihipStream_tbEUljE_ZNSN_ISO_Lb0ESR_SS_SU_SV_SZ_EES10_S11_S12_S13_S17_S18_S19_S1C_S1D_jS1E_jS1F_S1F_jjS1H_bEUljE0_EEES10_S11_S12_S19_S1D_S1F_T6_T7_T9_mT8_S1H_bDpT10_ENKUlT_T0_E_clISt17integral_constantIbLb0EES1V_EEDaS1Q_S1R_EUlS1Q_E_NS1_11comp_targetILNS1_3genE0ELNS1_11target_archE4294967295ELNS1_3gpuE0ELNS1_3repE0EEENS1_30default_config_static_selectorELNS0_4arch9wavefront6targetE0EEEvS13_,"axG",@progbits,_ZN7rocprim17ROCPRIM_400000_NS6detail17trampoline_kernelINS0_13select_configILj256ELj13ELNS0_17block_load_methodE3ELS4_3ELS4_3ELNS0_20block_scan_algorithmE0ELj4294967295EEENS1_25partition_config_selectorILNS1_17partition_subalgoE4EjNS0_10empty_typeEbEEZZNS1_14partition_implILS8_4ELb0ES6_15HIP_vector_typeIjLj2EENS0_17counting_iteratorIjlEEPS9_SG_NS0_5tupleIJPjSI_NS0_16reverse_iteratorISI_EEEEENSH_IJSG_SG_SG_EEES9_SI_JZNS1_25segmented_radix_sort_implINS0_14default_configELb0EPK12hip_bfloat16PSP_PKlPlN2at6native12_GLOBAL__N_18offset_tEEE10hipError_tPvRmT1_PNSt15iterator_traitsIS13_E10value_typeET2_T3_PNS14_IS19_E10value_typeET4_jRbjT5_S1F_jjP12ihipStream_tbEUljE_ZNSN_ISO_Lb0ESR_SS_SU_SV_SZ_EES10_S11_S12_S13_S17_S18_S19_S1C_S1D_jS1E_jS1F_S1F_jjS1H_bEUljE0_EEES10_S11_S12_S19_S1D_S1F_T6_T7_T9_mT8_S1H_bDpT10_ENKUlT_T0_E_clISt17integral_constantIbLb0EES1V_EEDaS1Q_S1R_EUlS1Q_E_NS1_11comp_targetILNS1_3genE0ELNS1_11target_archE4294967295ELNS1_3gpuE0ELNS1_3repE0EEENS1_30default_config_static_selectorELNS0_4arch9wavefront6targetE0EEEvS13_,comdat
	.globl	_ZN7rocprim17ROCPRIM_400000_NS6detail17trampoline_kernelINS0_13select_configILj256ELj13ELNS0_17block_load_methodE3ELS4_3ELS4_3ELNS0_20block_scan_algorithmE0ELj4294967295EEENS1_25partition_config_selectorILNS1_17partition_subalgoE4EjNS0_10empty_typeEbEEZZNS1_14partition_implILS8_4ELb0ES6_15HIP_vector_typeIjLj2EENS0_17counting_iteratorIjlEEPS9_SG_NS0_5tupleIJPjSI_NS0_16reverse_iteratorISI_EEEEENSH_IJSG_SG_SG_EEES9_SI_JZNS1_25segmented_radix_sort_implINS0_14default_configELb0EPK12hip_bfloat16PSP_PKlPlN2at6native12_GLOBAL__N_18offset_tEEE10hipError_tPvRmT1_PNSt15iterator_traitsIS13_E10value_typeET2_T3_PNS14_IS19_E10value_typeET4_jRbjT5_S1F_jjP12ihipStream_tbEUljE_ZNSN_ISO_Lb0ESR_SS_SU_SV_SZ_EES10_S11_S12_S13_S17_S18_S19_S1C_S1D_jS1E_jS1F_S1F_jjS1H_bEUljE0_EEES10_S11_S12_S19_S1D_S1F_T6_T7_T9_mT8_S1H_bDpT10_ENKUlT_T0_E_clISt17integral_constantIbLb0EES1V_EEDaS1Q_S1R_EUlS1Q_E_NS1_11comp_targetILNS1_3genE0ELNS1_11target_archE4294967295ELNS1_3gpuE0ELNS1_3repE0EEENS1_30default_config_static_selectorELNS0_4arch9wavefront6targetE0EEEvS13_ ; -- Begin function _ZN7rocprim17ROCPRIM_400000_NS6detail17trampoline_kernelINS0_13select_configILj256ELj13ELNS0_17block_load_methodE3ELS4_3ELS4_3ELNS0_20block_scan_algorithmE0ELj4294967295EEENS1_25partition_config_selectorILNS1_17partition_subalgoE4EjNS0_10empty_typeEbEEZZNS1_14partition_implILS8_4ELb0ES6_15HIP_vector_typeIjLj2EENS0_17counting_iteratorIjlEEPS9_SG_NS0_5tupleIJPjSI_NS0_16reverse_iteratorISI_EEEEENSH_IJSG_SG_SG_EEES9_SI_JZNS1_25segmented_radix_sort_implINS0_14default_configELb0EPK12hip_bfloat16PSP_PKlPlN2at6native12_GLOBAL__N_18offset_tEEE10hipError_tPvRmT1_PNSt15iterator_traitsIS13_E10value_typeET2_T3_PNS14_IS19_E10value_typeET4_jRbjT5_S1F_jjP12ihipStream_tbEUljE_ZNSN_ISO_Lb0ESR_SS_SU_SV_SZ_EES10_S11_S12_S13_S17_S18_S19_S1C_S1D_jS1E_jS1F_S1F_jjS1H_bEUljE0_EEES10_S11_S12_S19_S1D_S1F_T6_T7_T9_mT8_S1H_bDpT10_ENKUlT_T0_E_clISt17integral_constantIbLb0EES1V_EEDaS1Q_S1R_EUlS1Q_E_NS1_11comp_targetILNS1_3genE0ELNS1_11target_archE4294967295ELNS1_3gpuE0ELNS1_3repE0EEENS1_30default_config_static_selectorELNS0_4arch9wavefront6targetE0EEEvS13_
	.p2align	8
	.type	_ZN7rocprim17ROCPRIM_400000_NS6detail17trampoline_kernelINS0_13select_configILj256ELj13ELNS0_17block_load_methodE3ELS4_3ELS4_3ELNS0_20block_scan_algorithmE0ELj4294967295EEENS1_25partition_config_selectorILNS1_17partition_subalgoE4EjNS0_10empty_typeEbEEZZNS1_14partition_implILS8_4ELb0ES6_15HIP_vector_typeIjLj2EENS0_17counting_iteratorIjlEEPS9_SG_NS0_5tupleIJPjSI_NS0_16reverse_iteratorISI_EEEEENSH_IJSG_SG_SG_EEES9_SI_JZNS1_25segmented_radix_sort_implINS0_14default_configELb0EPK12hip_bfloat16PSP_PKlPlN2at6native12_GLOBAL__N_18offset_tEEE10hipError_tPvRmT1_PNSt15iterator_traitsIS13_E10value_typeET2_T3_PNS14_IS19_E10value_typeET4_jRbjT5_S1F_jjP12ihipStream_tbEUljE_ZNSN_ISO_Lb0ESR_SS_SU_SV_SZ_EES10_S11_S12_S13_S17_S18_S19_S1C_S1D_jS1E_jS1F_S1F_jjS1H_bEUljE0_EEES10_S11_S12_S19_S1D_S1F_T6_T7_T9_mT8_S1H_bDpT10_ENKUlT_T0_E_clISt17integral_constantIbLb0EES1V_EEDaS1Q_S1R_EUlS1Q_E_NS1_11comp_targetILNS1_3genE0ELNS1_11target_archE4294967295ELNS1_3gpuE0ELNS1_3repE0EEENS1_30default_config_static_selectorELNS0_4arch9wavefront6targetE0EEEvS13_,@function
_ZN7rocprim17ROCPRIM_400000_NS6detail17trampoline_kernelINS0_13select_configILj256ELj13ELNS0_17block_load_methodE3ELS4_3ELS4_3ELNS0_20block_scan_algorithmE0ELj4294967295EEENS1_25partition_config_selectorILNS1_17partition_subalgoE4EjNS0_10empty_typeEbEEZZNS1_14partition_implILS8_4ELb0ES6_15HIP_vector_typeIjLj2EENS0_17counting_iteratorIjlEEPS9_SG_NS0_5tupleIJPjSI_NS0_16reverse_iteratorISI_EEEEENSH_IJSG_SG_SG_EEES9_SI_JZNS1_25segmented_radix_sort_implINS0_14default_configELb0EPK12hip_bfloat16PSP_PKlPlN2at6native12_GLOBAL__N_18offset_tEEE10hipError_tPvRmT1_PNSt15iterator_traitsIS13_E10value_typeET2_T3_PNS14_IS19_E10value_typeET4_jRbjT5_S1F_jjP12ihipStream_tbEUljE_ZNSN_ISO_Lb0ESR_SS_SU_SV_SZ_EES10_S11_S12_S13_S17_S18_S19_S1C_S1D_jS1E_jS1F_S1F_jjS1H_bEUljE0_EEES10_S11_S12_S19_S1D_S1F_T6_T7_T9_mT8_S1H_bDpT10_ENKUlT_T0_E_clISt17integral_constantIbLb0EES1V_EEDaS1Q_S1R_EUlS1Q_E_NS1_11comp_targetILNS1_3genE0ELNS1_11target_archE4294967295ELNS1_3gpuE0ELNS1_3repE0EEENS1_30default_config_static_selectorELNS0_4arch9wavefront6targetE0EEEvS13_: ; @_ZN7rocprim17ROCPRIM_400000_NS6detail17trampoline_kernelINS0_13select_configILj256ELj13ELNS0_17block_load_methodE3ELS4_3ELS4_3ELNS0_20block_scan_algorithmE0ELj4294967295EEENS1_25partition_config_selectorILNS1_17partition_subalgoE4EjNS0_10empty_typeEbEEZZNS1_14partition_implILS8_4ELb0ES6_15HIP_vector_typeIjLj2EENS0_17counting_iteratorIjlEEPS9_SG_NS0_5tupleIJPjSI_NS0_16reverse_iteratorISI_EEEEENSH_IJSG_SG_SG_EEES9_SI_JZNS1_25segmented_radix_sort_implINS0_14default_configELb0EPK12hip_bfloat16PSP_PKlPlN2at6native12_GLOBAL__N_18offset_tEEE10hipError_tPvRmT1_PNSt15iterator_traitsIS13_E10value_typeET2_T3_PNS14_IS19_E10value_typeET4_jRbjT5_S1F_jjP12ihipStream_tbEUljE_ZNSN_ISO_Lb0ESR_SS_SU_SV_SZ_EES10_S11_S12_S13_S17_S18_S19_S1C_S1D_jS1E_jS1F_S1F_jjS1H_bEUljE0_EEES10_S11_S12_S19_S1D_S1F_T6_T7_T9_mT8_S1H_bDpT10_ENKUlT_T0_E_clISt17integral_constantIbLb0EES1V_EEDaS1Q_S1R_EUlS1Q_E_NS1_11comp_targetILNS1_3genE0ELNS1_11target_archE4294967295ELNS1_3gpuE0ELNS1_3repE0EEENS1_30default_config_static_selectorELNS0_4arch9wavefront6targetE0EEEvS13_
; %bb.0:
	s_clause 0x4
	s_load_b128 s[24:27], s[0:1], 0x58
	s_load_b32 s4, s[0:1], 0x80
	s_load_b64 s[34:35], s[0:1], 0x10
	s_load_b64 s[2:3], s[0:1], 0x68
	s_load_b32 s8, s[0:1], 0x8
	s_bfe_u32 s5, ttmp6, 0x4000c
	s_and_b32 s6, ttmp6, 15
	s_add_co_i32 s5, s5, 1
	s_getreg_b32 s7, hwreg(HW_REG_IB_STS2, 6, 4)
	s_mul_i32 s5, ttmp9, s5
	s_load_b64 s[42:43], s[0:1], 0xa8
	s_add_co_i32 s6, s6, s5
	s_cmp_eq_u32 s7, 0
	s_load_b256 s[16:23], s[0:1], 0x88
	s_cselect_b32 s33, ttmp9, s6
	s_mov_b32 s5, 0
	s_mul_i32 s40, s33, 0xd00
	s_wait_kmcnt 0x0
	s_add_co_i32 s9, s4, -1
	s_mulk_i32 s4, 0xd00
	s_load_b128 s[28:31], s[26:27], 0x0
	s_cmp_eq_u32 s33, s9
	s_add_nc_u64 s[6:7], s[34:35], s[4:5]
	s_cselect_b32 s15, -1, 0
	s_cmp_lg_u32 s33, s9
	v_cmp_gt_u64_e64 s3, s[2:3], s[6:7]
	s_cselect_b32 s5, -1, 0
	s_add_co_i32 s6, s8, s40
	s_delay_alu instid0(SALU_CYCLE_1) | instskip(NEXT) | instid1(SALU_CYCLE_1)
	s_add_co_i32 s6, s6, s34
	v_add_nc_u32_e32 v1, s6, v0
	s_or_b32 s3, s5, s3
	s_mov_b32 s5, -1
	s_and_b32 vcc_lo, exec_lo, s3
	s_delay_alu instid0(VALU_DEP_1)
	v_add_nc_u32_e32 v2, 0x100, v1
	v_add_nc_u32_e32 v3, 0x200, v1
	;; [unrolled: 1-line block ×12, first 2 shown]
	s_cbranch_vccz .LBB1975_2
; %bb.1:
	v_lshlrev_b32_e32 v14, 2, v0
	s_mov_b32 s5, 0
	ds_store_2addr_stride64_b32 v14, v1, v2 offset1:4
	ds_store_2addr_stride64_b32 v14, v3, v4 offset0:8 offset1:12
	ds_store_2addr_stride64_b32 v14, v5, v6 offset0:16 offset1:20
	ds_store_2addr_stride64_b32 v14, v7, v8 offset0:24 offset1:28
	ds_store_2addr_stride64_b32 v14, v9, v10 offset0:32 offset1:36
	ds_store_2addr_stride64_b32 v14, v11, v12 offset0:40 offset1:44
	ds_store_b32 v14, v13 offset:12288
	s_wait_dscnt 0x0
	s_barrier_signal -1
	s_barrier_wait -1
.LBB1975_2:
	s_and_not1_b32 vcc_lo, exec_lo, s5
	s_add_co_i32 s4, s4, s34
	s_cbranch_vccnz .LBB1975_4
; %bb.3:
	v_lshlrev_b32_e32 v14, 2, v0
	ds_store_2addr_stride64_b32 v14, v1, v2 offset1:4
	ds_store_2addr_stride64_b32 v14, v3, v4 offset0:8 offset1:12
	ds_store_2addr_stride64_b32 v14, v5, v6 offset0:16 offset1:20
	;; [unrolled: 1-line block ×5, first 2 shown]
	ds_store_b32 v14, v13 offset:12288
	s_wait_dscnt 0x0
	s_barrier_signal -1
	s_barrier_wait -1
.LBB1975_4:
	v_mul_u32_u24_e32 v30, 13, v0
	s_load_b128 s[36:39], s[0:1], 0x28
	s_wait_xcnt 0x0
	s_load_b64 s[26:27], s[0:1], 0x38
	v_cndmask_b32_e64 v29, 0, 1, s3
	s_sub_co_i32 s41, s2, s4
	v_lshlrev_b32_e32 v1, 2, v30
	s_and_not1_b32 vcc_lo, exec_lo, s3
	ds_load_b32 v28, v1 offset:48
	ds_load_2addr_b32 v[10:11], v1 offset0:10 offset1:11
	ds_load_2addr_b32 v[12:13], v1 offset0:8 offset1:9
	ds_load_2addr_b32 v[14:15], v1 offset0:6 offset1:7
	ds_load_2addr_b32 v[16:17], v1 offset0:4 offset1:5
	ds_load_2addr_b32 v[20:21], v1 offset1:1
	ds_load_2addr_b32 v[18:19], v1 offset0:2 offset1:3
	s_wait_dscnt 0x0
	s_barrier_signal -1
	s_barrier_wait -1
	s_cbranch_vccnz .LBB1975_32
; %bb.5:
	v_dual_add_nc_u32 v1, s17, v20 :: v_dual_add_nc_u32 v2, s19, v20
	s_mov_b32 s45, 0
	s_mov_b32 s44, 0
	s_mov_b32 s3, exec_lo
	s_delay_alu instid0(VALU_DEP_1) | instskip(SKIP_1) | instid1(VALU_DEP_1)
	v_mul_lo_u32 v1, v1, s16
	v_mul_lo_u32 v2, v2, s18
	v_sub_nc_u32_e32 v1, v1, v2
	s_delay_alu instid0(VALU_DEP_1)
	v_cmp_lt_u32_e32 vcc_lo, s20, v1
	v_cmpx_ge_u32_e64 s20, v1
	s_cbranch_execz .LBB1975_7
; %bb.6:
	v_dual_add_nc_u32 v1, s22, v20 :: v_dual_add_nc_u32 v2, s42, v20
	s_delay_alu instid0(VALU_DEP_1) | instskip(NEXT) | instid1(VALU_DEP_2)
	v_mul_lo_u32 v1, v1, s21
	v_mul_lo_u32 v2, v2, s23
	s_delay_alu instid0(VALU_DEP_1) | instskip(NEXT) | instid1(VALU_DEP_1)
	v_sub_nc_u32_e32 v1, v1, v2
	v_cmp_lt_u32_e64 s2, s43, v1
	s_and_b32 s44, s2, exec_lo
.LBB1975_7:
	s_or_b32 exec_lo, exec_lo, s3
	v_dual_add_nc_u32 v1, s17, v21 :: v_dual_add_nc_u32 v2, s19, v21
	s_mov_b32 s4, exec_lo
	s_delay_alu instid0(VALU_DEP_1) | instskip(NEXT) | instid1(VALU_DEP_2)
	v_mul_lo_u32 v1, v1, s16
	v_mul_lo_u32 v2, v2, s18
	s_delay_alu instid0(VALU_DEP_1) | instskip(NEXT) | instid1(VALU_DEP_1)
	v_sub_nc_u32_e32 v1, v1, v2
	v_cmp_lt_u32_e64 s2, s20, v1
	v_cmpx_ge_u32_e64 s20, v1
	s_cbranch_execz .LBB1975_9
; %bb.8:
	v_dual_add_nc_u32 v1, s22, v21 :: v_dual_add_nc_u32 v2, s42, v21
	s_delay_alu instid0(VALU_DEP_1) | instskip(NEXT) | instid1(VALU_DEP_2)
	v_mul_lo_u32 v1, v1, s21
	v_mul_lo_u32 v2, v2, s23
	s_delay_alu instid0(VALU_DEP_1) | instskip(NEXT) | instid1(VALU_DEP_1)
	v_sub_nc_u32_e32 v1, v1, v2
	v_cmp_lt_u32_e64 s3, s43, v1
	s_and_b32 s45, s3, exec_lo
.LBB1975_9:
	s_or_b32 exec_lo, exec_lo, s4
	v_dual_add_nc_u32 v1, s17, v18 :: v_dual_add_nc_u32 v2, s19, v18
	s_mov_b32 s47, 0
	s_mov_b32 s46, 0
	s_mov_b32 s5, exec_lo
	s_delay_alu instid0(VALU_DEP_1) | instskip(SKIP_1) | instid1(VALU_DEP_1)
	v_mul_lo_u32 v1, v1, s16
	v_mul_lo_u32 v2, v2, s18
	v_sub_nc_u32_e32 v1, v1, v2
	s_delay_alu instid0(VALU_DEP_1)
	v_cmp_lt_u32_e64 s3, s20, v1
	v_cmpx_ge_u32_e64 s20, v1
	s_cbranch_execz .LBB1975_11
; %bb.10:
	v_dual_add_nc_u32 v1, s22, v18 :: v_dual_add_nc_u32 v2, s42, v18
	s_delay_alu instid0(VALU_DEP_1) | instskip(NEXT) | instid1(VALU_DEP_2)
	v_mul_lo_u32 v1, v1, s21
	v_mul_lo_u32 v2, v2, s23
	s_delay_alu instid0(VALU_DEP_1) | instskip(NEXT) | instid1(VALU_DEP_1)
	v_sub_nc_u32_e32 v1, v1, v2
	v_cmp_lt_u32_e64 s4, s43, v1
	s_and_b32 s46, s4, exec_lo
.LBB1975_11:
	s_or_b32 exec_lo, exec_lo, s5
	v_dual_add_nc_u32 v1, s17, v19 :: v_dual_add_nc_u32 v2, s19, v19
	s_mov_b32 s6, exec_lo
	s_delay_alu instid0(VALU_DEP_1) | instskip(NEXT) | instid1(VALU_DEP_2)
	v_mul_lo_u32 v1, v1, s16
	v_mul_lo_u32 v2, v2, s18
	s_delay_alu instid0(VALU_DEP_1) | instskip(NEXT) | instid1(VALU_DEP_1)
	v_sub_nc_u32_e32 v1, v1, v2
	v_cmp_lt_u32_e64 s4, s20, v1
	v_cmpx_ge_u32_e64 s20, v1
	s_cbranch_execz .LBB1975_13
; %bb.12:
	v_dual_add_nc_u32 v1, s22, v19 :: v_dual_add_nc_u32 v2, s42, v19
	s_delay_alu instid0(VALU_DEP_1) | instskip(NEXT) | instid1(VALU_DEP_2)
	v_mul_lo_u32 v1, v1, s21
	v_mul_lo_u32 v2, v2, s23
	s_delay_alu instid0(VALU_DEP_1) | instskip(NEXT) | instid1(VALU_DEP_1)
	v_sub_nc_u32_e32 v1, v1, v2
	v_cmp_lt_u32_e64 s5, s43, v1
	s_and_b32 s47, s5, exec_lo
.LBB1975_13:
	s_or_b32 exec_lo, exec_lo, s6
	v_dual_add_nc_u32 v1, s17, v16 :: v_dual_add_nc_u32 v2, s19, v16
	s_mov_b32 s49, 0
	s_mov_b32 s48, 0
	s_mov_b32 s7, exec_lo
	s_delay_alu instid0(VALU_DEP_1) | instskip(SKIP_1) | instid1(VALU_DEP_1)
	v_mul_lo_u32 v1, v1, s16
	v_mul_lo_u32 v2, v2, s18
	v_sub_nc_u32_e32 v1, v1, v2
	s_delay_alu instid0(VALU_DEP_1)
	v_cmp_lt_u32_e64 s5, s20, v1
	v_cmpx_ge_u32_e64 s20, v1
	s_cbranch_execz .LBB1975_15
; %bb.14:
	v_dual_add_nc_u32 v1, s22, v16 :: v_dual_add_nc_u32 v2, s42, v16
	s_delay_alu instid0(VALU_DEP_1) | instskip(NEXT) | instid1(VALU_DEP_2)
	v_mul_lo_u32 v1, v1, s21
	v_mul_lo_u32 v2, v2, s23
	s_delay_alu instid0(VALU_DEP_1) | instskip(NEXT) | instid1(VALU_DEP_1)
	v_sub_nc_u32_e32 v1, v1, v2
	v_cmp_lt_u32_e64 s6, s43, v1
	s_and_b32 s48, s6, exec_lo
.LBB1975_15:
	s_or_b32 exec_lo, exec_lo, s7
	v_dual_add_nc_u32 v1, s17, v17 :: v_dual_add_nc_u32 v2, s19, v17
	s_mov_b32 s8, exec_lo
	s_delay_alu instid0(VALU_DEP_1) | instskip(NEXT) | instid1(VALU_DEP_2)
	v_mul_lo_u32 v1, v1, s16
	v_mul_lo_u32 v2, v2, s18
	s_delay_alu instid0(VALU_DEP_1) | instskip(NEXT) | instid1(VALU_DEP_1)
	v_sub_nc_u32_e32 v1, v1, v2
	v_cmp_lt_u32_e64 s6, s20, v1
	v_cmpx_ge_u32_e64 s20, v1
	s_cbranch_execz .LBB1975_17
; %bb.16:
	v_dual_add_nc_u32 v1, s22, v17 :: v_dual_add_nc_u32 v2, s42, v17
	s_delay_alu instid0(VALU_DEP_1) | instskip(NEXT) | instid1(VALU_DEP_2)
	v_mul_lo_u32 v1, v1, s21
	v_mul_lo_u32 v2, v2, s23
	s_delay_alu instid0(VALU_DEP_1) | instskip(NEXT) | instid1(VALU_DEP_1)
	v_sub_nc_u32_e32 v1, v1, v2
	v_cmp_lt_u32_e64 s7, s43, v1
	s_and_b32 s49, s7, exec_lo
.LBB1975_17:
	s_or_b32 exec_lo, exec_lo, s8
	v_dual_add_nc_u32 v1, s17, v14 :: v_dual_add_nc_u32 v2, s19, v14
	s_mov_b32 s51, 0
	s_mov_b32 s50, 0
	s_mov_b32 s9, exec_lo
	s_delay_alu instid0(VALU_DEP_1) | instskip(SKIP_1) | instid1(VALU_DEP_1)
	v_mul_lo_u32 v1, v1, s16
	v_mul_lo_u32 v2, v2, s18
	v_sub_nc_u32_e32 v1, v1, v2
	s_delay_alu instid0(VALU_DEP_1)
	v_cmp_lt_u32_e64 s7, s20, v1
	v_cmpx_ge_u32_e64 s20, v1
	s_cbranch_execz .LBB1975_19
; %bb.18:
	v_dual_add_nc_u32 v1, s22, v14 :: v_dual_add_nc_u32 v2, s42, v14
	s_delay_alu instid0(VALU_DEP_1) | instskip(NEXT) | instid1(VALU_DEP_2)
	v_mul_lo_u32 v1, v1, s21
	v_mul_lo_u32 v2, v2, s23
	s_delay_alu instid0(VALU_DEP_1) | instskip(NEXT) | instid1(VALU_DEP_1)
	v_sub_nc_u32_e32 v1, v1, v2
	v_cmp_lt_u32_e64 s8, s43, v1
	s_and_b32 s50, s8, exec_lo
.LBB1975_19:
	s_or_b32 exec_lo, exec_lo, s9
	v_dual_add_nc_u32 v1, s17, v15 :: v_dual_add_nc_u32 v2, s19, v15
	s_mov_b32 s10, exec_lo
	s_delay_alu instid0(VALU_DEP_1) | instskip(NEXT) | instid1(VALU_DEP_2)
	v_mul_lo_u32 v1, v1, s16
	v_mul_lo_u32 v2, v2, s18
	s_delay_alu instid0(VALU_DEP_1) | instskip(NEXT) | instid1(VALU_DEP_1)
	v_sub_nc_u32_e32 v1, v1, v2
	v_cmp_lt_u32_e64 s8, s20, v1
	v_cmpx_ge_u32_e64 s20, v1
	s_cbranch_execz .LBB1975_21
; %bb.20:
	v_dual_add_nc_u32 v1, s22, v15 :: v_dual_add_nc_u32 v2, s42, v15
	s_delay_alu instid0(VALU_DEP_1) | instskip(NEXT) | instid1(VALU_DEP_2)
	v_mul_lo_u32 v1, v1, s21
	v_mul_lo_u32 v2, v2, s23
	s_delay_alu instid0(VALU_DEP_1) | instskip(NEXT) | instid1(VALU_DEP_1)
	v_sub_nc_u32_e32 v1, v1, v2
	v_cmp_lt_u32_e64 s9, s43, v1
	s_and_b32 s51, s9, exec_lo
.LBB1975_21:
	s_or_b32 exec_lo, exec_lo, s10
	v_dual_add_nc_u32 v1, s17, v12 :: v_dual_add_nc_u32 v2, s19, v12
	s_mov_b32 s54, 0
	s_mov_b32 s53, 0
	s_mov_b32 s11, exec_lo
	s_delay_alu instid0(VALU_DEP_1) | instskip(SKIP_1) | instid1(VALU_DEP_1)
	v_mul_lo_u32 v1, v1, s16
	v_mul_lo_u32 v2, v2, s18
	v_sub_nc_u32_e32 v1, v1, v2
	s_delay_alu instid0(VALU_DEP_1)
	v_cmp_lt_u32_e64 s9, s20, v1
	v_cmpx_ge_u32_e64 s20, v1
	s_cbranch_execz .LBB1975_23
; %bb.22:
	v_dual_add_nc_u32 v1, s22, v12 :: v_dual_add_nc_u32 v2, s42, v12
	s_delay_alu instid0(VALU_DEP_1) | instskip(NEXT) | instid1(VALU_DEP_2)
	v_mul_lo_u32 v1, v1, s21
	v_mul_lo_u32 v2, v2, s23
	s_delay_alu instid0(VALU_DEP_1) | instskip(NEXT) | instid1(VALU_DEP_1)
	v_sub_nc_u32_e32 v1, v1, v2
	v_cmp_lt_u32_e64 s10, s43, v1
	s_and_b32 s53, s10, exec_lo
.LBB1975_23:
	s_or_b32 exec_lo, exec_lo, s11
	v_dual_add_nc_u32 v1, s17, v13 :: v_dual_add_nc_u32 v2, s19, v13
	s_mov_b32 s12, exec_lo
	s_delay_alu instid0(VALU_DEP_1) | instskip(NEXT) | instid1(VALU_DEP_2)
	v_mul_lo_u32 v1, v1, s16
	v_mul_lo_u32 v2, v2, s18
	s_delay_alu instid0(VALU_DEP_1) | instskip(NEXT) | instid1(VALU_DEP_1)
	v_sub_nc_u32_e32 v1, v1, v2
	v_cmp_lt_u32_e64 s10, s20, v1
	v_cmpx_ge_u32_e64 s20, v1
	s_cbranch_execz .LBB1975_25
; %bb.24:
	v_dual_add_nc_u32 v1, s22, v13 :: v_dual_add_nc_u32 v2, s42, v13
	s_delay_alu instid0(VALU_DEP_1) | instskip(NEXT) | instid1(VALU_DEP_2)
	v_mul_lo_u32 v1, v1, s21
	v_mul_lo_u32 v2, v2, s23
	s_delay_alu instid0(VALU_DEP_1) | instskip(NEXT) | instid1(VALU_DEP_1)
	v_sub_nc_u32_e32 v1, v1, v2
	v_cmp_lt_u32_e64 s11, s43, v1
	s_and_b32 s54, s11, exec_lo
.LBB1975_25:
	s_or_b32 exec_lo, exec_lo, s12
	v_dual_add_nc_u32 v1, s17, v10 :: v_dual_add_nc_u32 v2, s19, v10
	s_mov_b32 s55, 0
	s_mov_b32 s56, 0
	s_mov_b32 s13, exec_lo
	s_delay_alu instid0(VALU_DEP_1) | instskip(SKIP_1) | instid1(VALU_DEP_1)
	v_mul_lo_u32 v1, v1, s16
	v_mul_lo_u32 v2, v2, s18
	v_sub_nc_u32_e32 v1, v1, v2
	s_delay_alu instid0(VALU_DEP_1)
	v_cmp_lt_u32_e64 s11, s20, v1
	v_cmpx_ge_u32_e64 s20, v1
	s_cbranch_execz .LBB1975_27
; %bb.26:
	v_dual_add_nc_u32 v1, s22, v10 :: v_dual_add_nc_u32 v2, s42, v10
	s_delay_alu instid0(VALU_DEP_1) | instskip(NEXT) | instid1(VALU_DEP_2)
	v_mul_lo_u32 v1, v1, s21
	v_mul_lo_u32 v2, v2, s23
	s_delay_alu instid0(VALU_DEP_1) | instskip(NEXT) | instid1(VALU_DEP_1)
	v_sub_nc_u32_e32 v1, v1, v2
	v_cmp_lt_u32_e64 s12, s43, v1
	s_and_b32 s56, s12, exec_lo
.LBB1975_27:
	s_or_b32 exec_lo, exec_lo, s13
	v_dual_add_nc_u32 v1, s17, v11 :: v_dual_add_nc_u32 v2, s19, v11
	s_mov_b32 s14, exec_lo
	s_delay_alu instid0(VALU_DEP_1) | instskip(NEXT) | instid1(VALU_DEP_2)
	v_mul_lo_u32 v1, v1, s16
	v_mul_lo_u32 v2, v2, s18
	s_delay_alu instid0(VALU_DEP_1) | instskip(NEXT) | instid1(VALU_DEP_1)
	v_sub_nc_u32_e32 v1, v1, v2
	v_cmp_lt_u32_e64 s13, s20, v1
	v_cmpx_ge_u32_e64 s20, v1
	s_cbranch_execz .LBB1975_29
; %bb.28:
	v_dual_add_nc_u32 v1, s22, v11 :: v_dual_add_nc_u32 v2, s42, v11
	s_delay_alu instid0(VALU_DEP_1) | instskip(NEXT) | instid1(VALU_DEP_2)
	v_mul_lo_u32 v1, v1, s21
	v_mul_lo_u32 v2, v2, s23
	s_delay_alu instid0(VALU_DEP_1) | instskip(NEXT) | instid1(VALU_DEP_1)
	v_sub_nc_u32_e32 v1, v1, v2
	v_cmp_lt_u32_e64 s12, s43, v1
	s_and_b32 s55, s12, exec_lo
.LBB1975_29:
	s_or_b32 exec_lo, exec_lo, s14
	v_dual_add_nc_u32 v1, s17, v28 :: v_dual_add_nc_u32 v2, s19, v28
	s_mov_b32 s52, 0
	s_mov_b32 s57, 0
	s_mov_b32 s58, exec_lo
	s_delay_alu instid0(VALU_DEP_1) | instskip(SKIP_1) | instid1(VALU_DEP_1)
	v_mul_lo_u32 v1, v1, s16
	v_mul_lo_u32 v2, v2, s18
	v_sub_nc_u32_e32 v1, v1, v2
	s_delay_alu instid0(VALU_DEP_1)
	v_cmp_lt_u32_e64 s12, s20, v1
	v_cmpx_ge_u32_e64 s20, v1
	s_cbranch_execz .LBB1975_31
; %bb.30:
	v_dual_add_nc_u32 v1, s22, v28 :: v_dual_add_nc_u32 v2, s42, v28
	s_delay_alu instid0(VALU_DEP_1) | instskip(NEXT) | instid1(VALU_DEP_2)
	v_mul_lo_u32 v1, v1, s21
	v_mul_lo_u32 v2, v2, s23
	s_delay_alu instid0(VALU_DEP_1) | instskip(NEXT) | instid1(VALU_DEP_1)
	v_sub_nc_u32_e32 v1, v1, v2
	v_cmp_lt_u32_e64 s14, s43, v1
	s_and_b32 s57, s14, exec_lo
.LBB1975_31:
	s_or_b32 exec_lo, exec_lo, s58
	v_cndmask_b32_e64 v2, 0, 1, s2
	v_cndmask_b32_e64 v4, 0, 1, s4
	v_cndmask_b32_e64 v1, 0, 1, vcc_lo
	v_cndmask_b32_e64 v3, 0, 1, s3
	v_cndmask_b32_e64 v6, 0, 1, s6
	v_lshlrev_b16 v2, 8, v2
	v_lshlrev_b16 v4, 8, v4
	v_cndmask_b32_e64 v8, 0, 1, s8
	v_cndmask_b32_e64 v22, 0, 1, s10
	v_cndmask_b32_e64 v25, 0, 1, s13
	v_or_b32_e32 v1, v1, v2
	v_or_b32_e32 v2, v3, v4
	v_cndmask_b32_e64 v4, 0, 1, s46
	v_cndmask_b32_e64 v5, 0, 1, s5
	;; [unrolled: 1-line block ×4, first 2 shown]
	v_lshlrev_b32_e32 v2, 16, v2
	v_and_b32_e32 v1, 0xffff, v1
	v_cndmask_b32_e64 v33, 0, 1, s50
	v_cndmask_b32_e64 v36, 0, 1, s48
	;; [unrolled: 1-line block ×4, first 2 shown]
	v_or_b32_e32 v31, v1, v2
	v_lshlrev_b16 v1, 8, v6
	v_lshlrev_b16 v2, 8, v8
	;; [unrolled: 1-line block ×5, first 2 shown]
	v_cndmask_b32_e64 v7, 0, 1, s7
	v_cndmask_b32_e64 v24, 0, 1, s56
	;; [unrolled: 1-line block ×6, first 2 shown]
	v_lshlrev_b16 v22, 8, v39
	v_or_b32_e32 v4, v37, v4
	v_or_b32_e32 v1, v5, v1
	;; [unrolled: 1-line block ×4, first 2 shown]
	v_lshlrev_b16 v8, 8, v36
	v_lshlrev_b16 v9, 8, v33
	v_cndmask_b32_e64 v26, 0, 1, s54
	v_cndmask_b32_e64 v32, 0, 1, s51
	v_lshlrev_b16 v23, 8, v24
	v_or_b32_e32 v3, v3, v8
	v_or_b32_e32 v8, v35, v9
	;; [unrolled: 1-line block ×4, first 2 shown]
	v_lshlrev_b16 v22, 8, v27
	v_and_b32_e32 v5, 0xffff, v5
	v_lshlrev_b32_e32 v4, 16, v4
	v_and_b32_e32 v1, 0xffff, v1
	v_and_b32_e32 v7, 0xffff, v7
	v_or_b32_e32 v9, v32, v22
	v_or_b32_e32 v22, v26, v23
	v_and_b32_e32 v3, 0xffff, v3
	v_dual_lshlrev_b32 v8, 16, v8 :: v_dual_lshlrev_b32 v2, 16, v2
	s_delay_alu instid0(VALU_DEP_4) | instskip(NEXT) | instid1(VALU_DEP_4)
	v_and_b32_e32 v9, 0xffff, v9
	v_lshlrev_b32_e32 v22, 16, v22
	v_lshlrev_b32_e32 v6, 16, v6
	v_cndmask_b32_e64 v34, 0, 1, s55
	v_cndmask_b32_e64 v38, 0, 1, s57
	v_or_b32_e32 v33, v1, v2
	v_or_b32_e32 v37, v7, v4
	;; [unrolled: 1-line block ×5, first 2 shown]
	s_load_b64 s[4:5], s[0:1], 0x78
	s_and_b32 vcc_lo, exec_lo, s52
	s_add_co_i32 s6, s41, 0xd00
	s_cbranch_vccnz .LBB1975_33
	s_branch .LBB1975_110
.LBB1975_32:
                                        ; implicit-def: $vgpr38
                                        ; implicit-def: $vgpr34
                                        ; implicit-def: $vgpr35
                                        ; implicit-def: $vgpr32
                                        ; implicit-def: $vgpr37
                                        ; implicit-def: $vgpr36
                                        ; implicit-def: $vgpr33
                                        ; implicit-def: $vgpr31
	s_load_b64 s[4:5], s[0:1], 0x78
	s_add_co_i32 s6, s41, 0xd00
	s_cbranch_execz .LBB1975_110
.LBB1975_33:
	v_dual_mov_b32 v2, 0 :: v_dual_mov_b32 v1, 0
	s_wait_xcnt 0x0
	s_mov_b32 s1, exec_lo
	v_cmpx_gt_u32_e64 s6, v30
	s_cbranch_execz .LBB1975_37
; %bb.34:
	v_dual_add_nc_u32 v1, s17, v20 :: v_dual_add_nc_u32 v2, s19, v20
	s_mov_b32 s3, 0
	s_mov_b32 s2, exec_lo
	s_delay_alu instid0(VALU_DEP_1) | instskip(NEXT) | instid1(VALU_DEP_2)
	v_mul_lo_u32 v1, v1, s16
	v_mul_lo_u32 v2, v2, s18
	s_delay_alu instid0(VALU_DEP_1) | instskip(NEXT) | instid1(VALU_DEP_1)
	v_sub_nc_u32_e32 v1, v1, v2
	v_cmp_lt_u32_e32 vcc_lo, s20, v1
	v_cmpx_ge_u32_e64 s20, v1
	s_cbranch_execz .LBB1975_36
; %bb.35:
	v_dual_add_nc_u32 v1, s22, v20 :: v_dual_add_nc_u32 v2, s42, v20
	s_delay_alu instid0(VALU_DEP_1) | instskip(NEXT) | instid1(VALU_DEP_2)
	v_mul_lo_u32 v1, v1, s21
	v_mul_lo_u32 v2, v2, s23
	s_delay_alu instid0(VALU_DEP_1) | instskip(NEXT) | instid1(VALU_DEP_1)
	v_sub_nc_u32_e32 v1, v1, v2
	v_cmp_lt_u32_e64 s0, s43, v1
	s_and_b32 s3, s0, exec_lo
.LBB1975_36:
	s_or_b32 exec_lo, exec_lo, s2
	v_cndmask_b32_e64 v2, 0, 1, s3
	v_cndmask_b32_e64 v1, 0, 1, vcc_lo
.LBB1975_37:
	s_or_b32 exec_lo, exec_lo, s1
	s_delay_alu instid0(VALU_DEP_2) | instskip(SKIP_2) | instid1(VALU_DEP_3)
	v_lshlrev_b16 v2, 8, v2
	v_add_nc_u32_e32 v3, 1, v30
	v_lshlrev_b16 v9, 8, 0
                                        ; implicit-def: $vgpr5
                                        ; implicit-def: $vgpr7
                                        ; implicit-def: $vgpr4
                                        ; implicit-def: $vgpr8
	v_and_b32_e32 v6, 0xffff, v2
	s_delay_alu instid0(VALU_DEP_3) | instskip(NEXT) | instid1(VALU_DEP_2)
	v_cmp_le_u32_e32 vcc_lo, s6, v3
                                        ; implicit-def: $vgpr3
                                        ; implicit-def: $vgpr2
	v_lshrrev_b32_e32 v22, 8, v6
	s_and_saveexec_b32 s0, vcc_lo
	s_delay_alu instid0(SALU_CYCLE_1)
	s_xor_b32 s0, exec_lo, s0
	s_cbranch_execz .LBB1975_39
; %bb.38:
	s_delay_alu instid0(VALU_DEP_1) | instskip(SKIP_3) | instid1(VALU_DEP_4)
	v_lshlrev_b16 v2, 8, v22
	v_bitop3_b16 v3, 0, v9, 0xff bitop3:0xec
	v_and_b32_e32 v8, 0xff, v1
                                        ; implicit-def: $vgpr1
                                        ; implicit-def: $vgpr9
                                        ; implicit-def: $vgpr22
	v_mov_b32_e32 v5, 0
	v_bitop3_b16 v6, v6, v2, 0xff bitop3:0xec
	v_mov_b32_e32 v2, 0
	v_and_b32_e32 v4, 0xffff, v3
	v_and_b32_e32 v3, 0xffff, v3
	s_delay_alu instid0(VALU_DEP_4)
	v_and_b32_e32 v7, 0xffff, v6
                                        ; implicit-def: $vgpr6
.LBB1975_39:
	s_and_not1_saveexec_b32 s1, s0
	s_cbranch_execz .LBB1975_43
; %bb.40:
	v_dual_add_nc_u32 v2, s17, v21 :: v_dual_add_nc_u32 v3, s19, v21
	s_mov_b32 s2, 0
	s_mov_b32 s3, exec_lo
	s_delay_alu instid0(VALU_DEP_1) | instskip(NEXT) | instid1(VALU_DEP_2)
	v_mul_lo_u32 v2, v2, s16
	v_mul_lo_u32 v3, v3, s18
	s_delay_alu instid0(VALU_DEP_1) | instskip(NEXT) | instid1(VALU_DEP_1)
	v_sub_nc_u32_e32 v2, v2, v3
	v_cmp_lt_u32_e32 vcc_lo, s20, v2
	v_cmpx_ge_u32_e64 s20, v2
	s_cbranch_execz .LBB1975_42
; %bb.41:
	v_dual_add_nc_u32 v2, s22, v21 :: v_dual_add_nc_u32 v3, s42, v21
	s_delay_alu instid0(VALU_DEP_1) | instskip(NEXT) | instid1(VALU_DEP_2)
	v_mul_lo_u32 v2, v2, s21
	v_mul_lo_u32 v3, v3, s23
	s_delay_alu instid0(VALU_DEP_1) | instskip(NEXT) | instid1(VALU_DEP_1)
	v_sub_nc_u32_e32 v2, v2, v3
	v_cmp_lt_u32_e64 s0, s43, v2
	s_and_b32 s2, s0, exec_lo
.LBB1975_42:
	s_or_b32 exec_lo, exec_lo, s3
	v_cndmask_b32_e64 v2, 0, 1, vcc_lo
	v_lshlrev_b16 v3, 8, v22
	v_cndmask_b32_e64 v7, 0, 1, s2
	v_mov_b32_e32 v5, 0
	s_delay_alu instid0(VALU_DEP_4) | instskip(NEXT) | instid1(VALU_DEP_4)
	v_lshlrev_b16 v2, 8, v2
	v_bitop3_b16 v3, v6, v3, 0xff bitop3:0xec
	v_bitop3_b16 v6, 0, v9, 0xff bitop3:0xec
	s_delay_alu instid0(VALU_DEP_3) | instskip(NEXT) | instid1(VALU_DEP_3)
	v_bitop3_b16 v1, v1, v2, 0xff bitop3:0xec
	v_and_b32_e32 v3, 0xffff, v3
	v_mov_b32_e32 v2, 0
	s_delay_alu instid0(VALU_DEP_4) | instskip(NEXT) | instid1(VALU_DEP_4)
	v_and_b32_e32 v4, 0xffff, v6
	v_and_b32_e32 v8, 0xffff, v1
	s_delay_alu instid0(VALU_DEP_4)
	v_lshl_or_b32 v7, v7, 16, v3
	v_and_b32_e32 v3, 0xffff, v6
.LBB1975_43:
	s_or_b32 exec_lo, exec_lo, s1
	s_delay_alu instid0(VALU_DEP_3) | instskip(NEXT) | instid1(VALU_DEP_1)
	v_dual_add_nc_u32 v1, 2, v30 :: v_dual_lshrrev_b32 v9, 8, v8
                                        ; implicit-def: $vgpr6
	v_cmp_le_u32_e32 vcc_lo, s6, v1
                                        ; implicit-def: $vgpr1
	s_and_saveexec_b32 s0, vcc_lo
	s_delay_alu instid0(SALU_CYCLE_1)
	s_xor_b32 s0, exec_lo, s0
	s_cbranch_execz .LBB1975_45
; %bb.44:
	v_lshlrev_b16 v1, 8, v9
	v_and_b32_e32 v9, 0xff0000, v7
	v_perm_b32 v4, v4, v4, 0x3060504
	s_delay_alu instid0(VALU_DEP_3) | instskip(NEXT) | instid1(VALU_DEP_1)
	v_bitop3_b16 v1, v8, v1, 0xff bitop3:0xec
	v_and_b32_e32 v1, 0xffff, v1
	s_delay_alu instid0(VALU_DEP_1)
	v_and_or_b32 v6, 0xff000000, v8, v1
	v_perm_b32 v1, v7, v9, 0x3020504
                                        ; implicit-def: $vgpr9
                                        ; implicit-def: $vgpr8
                                        ; implicit-def: $vgpr7
.LBB1975_45:
	s_and_not1_saveexec_b32 s1, s0
	s_cbranch_execz .LBB1975_49
; %bb.46:
	v_dual_add_nc_u32 v1, s17, v18 :: v_dual_add_nc_u32 v6, s19, v18
	s_mov_b32 s2, 0
	s_mov_b32 s3, exec_lo
	s_delay_alu instid0(VALU_DEP_1) | instskip(NEXT) | instid1(VALU_DEP_2)
	v_mul_lo_u32 v1, v1, s16
	v_mul_lo_u32 v6, v6, s18
	s_delay_alu instid0(VALU_DEP_1) | instskip(NEXT) | instid1(VALU_DEP_1)
	v_sub_nc_u32_e32 v1, v1, v6
	v_cmp_lt_u32_e32 vcc_lo, s20, v1
	v_cmpx_ge_u32_e64 s20, v1
	s_cbranch_execz .LBB1975_48
; %bb.47:
	v_dual_add_nc_u32 v1, s22, v18 :: v_dual_add_nc_u32 v6, s42, v18
	s_delay_alu instid0(VALU_DEP_1) | instskip(NEXT) | instid1(VALU_DEP_2)
	v_mul_lo_u32 v1, v1, s21
	v_mul_lo_u32 v6, v6, s23
	s_delay_alu instid0(VALU_DEP_1) | instskip(NEXT) | instid1(VALU_DEP_1)
	v_sub_nc_u32_e32 v1, v1, v6
	v_cmp_lt_u32_e64 s0, s43, v1
	s_and_b32 s2, s0, exec_lo
.LBB1975_48:
	s_or_b32 exec_lo, exec_lo, s3
	v_dual_lshrrev_b32 v1, 24, v8 :: v_dual_lshrrev_b32 v23, 8, v7
	v_cndmask_b32_e64 v6, 0, 1, s2
	v_cndmask_b32_e64 v22, 0, 1, vcc_lo
	v_lshlrev_b16 v9, 8, v9
	s_delay_alu instid0(VALU_DEP_4)
	v_lshlrev_b16 v1, 8, v1
	v_lshrrev_b32_e32 v24, 16, v7
	v_lshlrev_b16 v6, 8, v6
	v_lshlrev_b16 v23, 8, v23
	v_bitop3_b16 v8, v8, v9, 0xff bitop3:0xec
	v_or_b32_e32 v1, v22, v1
	s_delay_alu instid0(VALU_DEP_4) | instskip(NEXT) | instid1(VALU_DEP_4)
	v_bitop3_b16 v6, v24, v6, 0xff bitop3:0xec
	v_bitop3_b16 v7, v7, v23, 0xff bitop3:0xec
	s_delay_alu instid0(VALU_DEP_4) | instskip(NEXT) | instid1(VALU_DEP_3)
	v_and_b32_e32 v8, 0xffff, v8
	v_dual_lshlrev_b32 v1, 16, v1 :: v_dual_lshlrev_b32 v9, 16, v6
	s_delay_alu instid0(VALU_DEP_3) | instskip(NEXT) | instid1(VALU_DEP_2)
	v_and_b32_e32 v7, 0xffff, v7
	v_or_b32_e32 v6, v8, v1
	s_delay_alu instid0(VALU_DEP_2)
	v_or_b32_e32 v1, v7, v9
.LBB1975_49:
	s_or_b32 exec_lo, exec_lo, s1
	v_dual_add_nc_u32 v8, 3, v30 :: v_dual_lshrrev_b32 v9, 24, v5
	v_lshrrev_b32_e32 v7, 16, v5
                                        ; implicit-def: $vgpr31
	s_delay_alu instid0(VALU_DEP_2) | instskip(SKIP_2) | instid1(SALU_CYCLE_1)
	v_cmp_le_u32_e32 vcc_lo, s6, v8
	v_lshrrev_b32_e32 v8, 8, v5
                                        ; implicit-def: $vgpr5
	s_and_saveexec_b32 s0, vcc_lo
	s_xor_b32 s0, exec_lo, s0
	s_cbranch_execz .LBB1975_51
; %bb.50:
	v_lshlrev_b16 v5, 8, v9
	v_lshlrev_b16 v8, 8, v8
	v_perm_b32 v4, v4, v4, 0x3060504
	v_perm_b32 v3, v3, v3, 0x3060504
                                        ; implicit-def: $vgpr9
	s_delay_alu instid0(VALU_DEP_4) | instskip(SKIP_2) | instid1(VALU_DEP_3)
	v_bitop3_b16 v5, v7, v5, 0xff bitop3:0xec
	v_and_b32_e32 v7, 0xff0000, v6
	v_and_b32_e32 v8, 0xffff, v8
	v_lshlrev_b32_e32 v5, 16, v5
	s_delay_alu instid0(VALU_DEP_3) | instskip(NEXT) | instid1(VALU_DEP_2)
	v_perm_b32 v31, v6, v7, 0x3020504
                                        ; implicit-def: $vgpr6
                                        ; implicit-def: $vgpr7
	v_or_b32_e32 v5, v8, v5
                                        ; implicit-def: $vgpr8
.LBB1975_51:
	s_and_not1_saveexec_b32 s1, s0
	s_cbranch_execz .LBB1975_55
; %bb.52:
	v_dual_add_nc_u32 v5, s17, v19 :: v_dual_add_nc_u32 v22, s19, v19
	s_mov_b32 s2, 0
	s_mov_b32 s3, exec_lo
	s_delay_alu instid0(VALU_DEP_1) | instskip(NEXT) | instid1(VALU_DEP_2)
	v_mul_lo_u32 v5, v5, s16
	v_mul_lo_u32 v22, v22, s18
	s_delay_alu instid0(VALU_DEP_1) | instskip(NEXT) | instid1(VALU_DEP_1)
	v_sub_nc_u32_e32 v5, v5, v22
	v_cmp_lt_u32_e32 vcc_lo, s20, v5
	v_cmpx_ge_u32_e64 s20, v5
	s_cbranch_execz .LBB1975_54
; %bb.53:
	v_dual_add_nc_u32 v5, s22, v19 :: v_dual_add_nc_u32 v22, s42, v19
	s_delay_alu instid0(VALU_DEP_1) | instskip(NEXT) | instid1(VALU_DEP_2)
	v_mul_lo_u32 v5, v5, s21
	v_mul_lo_u32 v22, v22, s23
	s_delay_alu instid0(VALU_DEP_1) | instskip(NEXT) | instid1(VALU_DEP_1)
	v_sub_nc_u32_e32 v5, v5, v22
	v_cmp_lt_u32_e64 s0, s43, v5
	s_and_b32 s2, s0, exec_lo
.LBB1975_54:
	s_or_b32 exec_lo, exec_lo, s3
	v_cndmask_b32_e64 v5, 0, 1, vcc_lo
	v_dual_lshrrev_b32 v22, 8, v6 :: v_dual_lshrrev_b32 v24, 16, v6
	v_cndmask_b32_e64 v23, 0, 1, s2
	v_lshlrev_b16 v9, 8, v9
	s_delay_alu instid0(VALU_DEP_4) | instskip(NEXT) | instid1(VALU_DEP_4)
	v_lshlrev_b16 v5, 8, v5
	v_lshlrev_b16 v22, 8, v22
	;; [unrolled: 1-line block ×3, first 2 shown]
	s_delay_alu instid0(VALU_DEP_4) | instskip(NEXT) | instid1(VALU_DEP_4)
	v_bitop3_b16 v7, v7, v9, 0xff bitop3:0xec
	v_bitop3_b16 v5, v24, v5, 0xff bitop3:0xec
	s_delay_alu instid0(VALU_DEP_4) | instskip(NEXT) | instid1(VALU_DEP_3)
	v_bitop3_b16 v6, v6, v22, 0xff bitop3:0xec
	v_dual_lshlrev_b32 v7, 16, v7 :: v_dual_bitop2_b32 v8, v23, v8 bitop3:0x54
	s_delay_alu instid0(VALU_DEP_3) | instskip(NEXT) | instid1(VALU_DEP_3)
	v_lshlrev_b32_e32 v5, 16, v5
	v_and_b32_e32 v6, 0xffff, v6
	s_delay_alu instid0(VALU_DEP_3) | instskip(NEXT) | instid1(VALU_DEP_2)
	v_and_b32_e32 v8, 0xffff, v8
	v_or_b32_e32 v31, v6, v5
	s_delay_alu instid0(VALU_DEP_2)
	v_or_b32_e32 v5, v8, v7
.LBB1975_55:
	s_or_b32 exec_lo, exec_lo, s1
	v_dual_add_nc_u32 v6, 4, v30 :: v_dual_lshrrev_b32 v22, 8, v4
	v_dual_lshrrev_b32 v7, 16, v4 :: v_dual_lshrrev_b32 v23, 24, v4
	s_delay_alu instid0(VALU_DEP_3) | instskip(NEXT) | instid1(VALU_DEP_3)
	v_dual_lshrrev_b32 v9, 24, v5 :: v_dual_lshrrev_b32 v8, 16, v5
	v_cmp_le_u32_e32 vcc_lo, s6, v6
                                        ; implicit-def: $vgpr4
                                        ; implicit-def: $vgpr6
	s_and_saveexec_b32 s0, vcc_lo
	s_delay_alu instid0(SALU_CYCLE_1)
	s_xor_b32 s0, exec_lo, s0
	s_cbranch_execz .LBB1975_57
; %bb.56:
	v_lshlrev_b16 v4, 8, v23
	v_lshlrev_b16 v6, 8, v22
	;; [unrolled: 1-line block ×3, first 2 shown]
	v_perm_b32 v3, v3, v3, 0x3060504
                                        ; implicit-def: $vgpr22
                                        ; implicit-def: $vgpr23
	s_delay_alu instid0(VALU_DEP_4) | instskip(NEXT) | instid1(VALU_DEP_4)
	v_bitop3_b16 v4, v7, v4, 0xff bitop3:0xec
	v_and_b32_e32 v6, 0xffff, v6
	s_delay_alu instid0(VALU_DEP_4) | instskip(NEXT) | instid1(VALU_DEP_3)
	v_bitop3_b16 v7, v8, v9, 0xff bitop3:0xec
                                        ; implicit-def: $vgpr9
	v_lshlrev_b32_e32 v8, 16, v4
	s_delay_alu instid0(VALU_DEP_2) | instskip(NEXT) | instid1(VALU_DEP_2)
	v_perm_b32 v4, v7, v5, 0x5040c00
                                        ; implicit-def: $vgpr5
                                        ; implicit-def: $vgpr7
	v_or_b32_e32 v6, v6, v8
                                        ; implicit-def: $vgpr8
.LBB1975_57:
	s_and_not1_saveexec_b32 s1, s0
	s_cbranch_execz .LBB1975_61
; %bb.58:
	v_dual_add_nc_u32 v4, s17, v16 :: v_dual_add_nc_u32 v6, s19, v16
	s_mov_b32 s2, 0
	s_mov_b32 s3, exec_lo
	s_delay_alu instid0(VALU_DEP_1) | instskip(NEXT) | instid1(VALU_DEP_2)
	v_mul_lo_u32 v4, v4, s16
	v_mul_lo_u32 v6, v6, s18
	s_delay_alu instid0(VALU_DEP_1) | instskip(NEXT) | instid1(VALU_DEP_1)
	v_sub_nc_u32_e32 v4, v4, v6
	v_cmp_lt_u32_e32 vcc_lo, s20, v4
	v_cmpx_ge_u32_e64 s20, v4
	s_cbranch_execz .LBB1975_60
; %bb.59:
	v_dual_add_nc_u32 v4, s22, v16 :: v_dual_add_nc_u32 v6, s42, v16
	s_delay_alu instid0(VALU_DEP_1) | instskip(NEXT) | instid1(VALU_DEP_2)
	v_mul_lo_u32 v4, v4, s21
	v_mul_lo_u32 v6, v6, s23
	s_delay_alu instid0(VALU_DEP_1) | instskip(NEXT) | instid1(VALU_DEP_1)
	v_sub_nc_u32_e32 v4, v4, v6
	v_cmp_lt_u32_e64 s0, s43, v4
	s_and_b32 s2, s0, exec_lo
.LBB1975_60:
	s_or_b32 exec_lo, exec_lo, s3
	v_cndmask_b32_e64 v4, 0, 1, s2
	v_cndmask_b32_e64 v6, 0, 1, vcc_lo
	v_lshlrev_b16 v23, 8, v23
	v_lshlrev_b16 v22, 8, v22
	;; [unrolled: 1-line block ×4, first 2 shown]
	s_delay_alu instid0(VALU_DEP_4) | instskip(NEXT) | instid1(VALU_DEP_4)
	v_bitop3_b16 v7, v7, v23, 0xff bitop3:0xec
	v_or_b32_e32 v6, v6, v22
	s_delay_alu instid0(VALU_DEP_4) | instskip(NEXT) | instid1(VALU_DEP_4)
	v_bitop3_b16 v8, v8, v9, 0xff bitop3:0xec
	v_bitop3_b16 v4, v5, v4, 0xff bitop3:0xec
	s_delay_alu instid0(VALU_DEP_4) | instskip(NEXT) | instid1(VALU_DEP_4)
	v_lshlrev_b32_e32 v5, 16, v7
	v_and_b32_e32 v6, 0xffff, v6
	s_delay_alu instid0(VALU_DEP_4) | instskip(NEXT) | instid1(VALU_DEP_4)
	v_lshlrev_b32_e32 v7, 16, v8
	v_and_b32_e32 v4, 0xffff, v4
	s_delay_alu instid0(VALU_DEP_3) | instskip(NEXT) | instid1(VALU_DEP_2)
	v_or_b32_e32 v6, v6, v5
	v_or_b32_e32 v4, v4, v7
.LBB1975_61:
	s_or_b32 exec_lo, exec_lo, s1
	s_delay_alu instid0(VALU_DEP_1) | instskip(NEXT) | instid1(VALU_DEP_2)
	v_dual_add_nc_u32 v5, 5, v30 :: v_dual_lshrrev_b32 v22, 8, v4
	v_dual_lshrrev_b32 v8, 16, v6 :: v_dual_lshrrev_b32 v9, 24, v6
                                        ; implicit-def: $vgpr7
	s_delay_alu instid0(VALU_DEP_2) | instskip(SKIP_1) | instid1(SALU_CYCLE_1)
	v_cmp_le_u32_e32 vcc_lo, s6, v5
                                        ; implicit-def: $vgpr5
	s_and_saveexec_b32 s0, vcc_lo
	s_xor_b32 s0, exec_lo, s0
	s_cbranch_execz .LBB1975_63
; %bb.62:
	v_lshlrev_b16 v5, 8, v22
	v_lshlrev_b16 v7, 8, v9
	v_perm_b32 v3, v3, v3, 0x3060504
                                        ; implicit-def: $vgpr9
                                        ; implicit-def: $vgpr22
	s_delay_alu instid0(VALU_DEP_3) | instskip(NEXT) | instid1(VALU_DEP_3)
	v_bitop3_b16 v5, v4, v5, 0xff bitop3:0xec
	v_bitop3_b16 v7, v8, v7, 0xff bitop3:0xec
                                        ; implicit-def: $vgpr8
	s_delay_alu instid0(VALU_DEP_2) | instskip(NEXT) | instid1(VALU_DEP_2)
	v_and_b32_e32 v5, 0xffff, v5
	v_perm_b32 v7, v7, v6, 0x5040c00
                                        ; implicit-def: $vgpr6
	s_delay_alu instid0(VALU_DEP_2)
	v_and_or_b32 v5, 0xff000000, v4, v5
                                        ; implicit-def: $vgpr4
.LBB1975_63:
	s_and_not1_saveexec_b32 s1, s0
	s_cbranch_execz .LBB1975_67
; %bb.64:
	v_dual_add_nc_u32 v5, s17, v17 :: v_dual_add_nc_u32 v7, s19, v17
	s_mov_b32 s2, 0
	s_mov_b32 s3, exec_lo
	s_delay_alu instid0(VALU_DEP_1) | instskip(NEXT) | instid1(VALU_DEP_2)
	v_mul_lo_u32 v5, v5, s16
	v_mul_lo_u32 v7, v7, s18
	s_delay_alu instid0(VALU_DEP_1) | instskip(NEXT) | instid1(VALU_DEP_1)
	v_sub_nc_u32_e32 v5, v5, v7
	v_cmp_lt_u32_e32 vcc_lo, s20, v5
	v_cmpx_ge_u32_e64 s20, v5
	s_cbranch_execz .LBB1975_66
; %bb.65:
	v_dual_add_nc_u32 v5, s22, v17 :: v_dual_add_nc_u32 v7, s42, v17
	s_delay_alu instid0(VALU_DEP_1) | instskip(NEXT) | instid1(VALU_DEP_2)
	v_mul_lo_u32 v5, v5, s21
	v_mul_lo_u32 v7, v7, s23
	s_delay_alu instid0(VALU_DEP_1) | instskip(NEXT) | instid1(VALU_DEP_1)
	v_sub_nc_u32_e32 v5, v5, v7
	v_cmp_lt_u32_e64 s0, s43, v5
	s_and_b32 s2, s0, exec_lo
.LBB1975_66:
	s_or_b32 exec_lo, exec_lo, s3
	v_cndmask_b32_e64 v5, 0, 1, vcc_lo
	v_lshrrev_b32_e32 v7, 24, v4
	v_cndmask_b32_e64 v23, 0, 1, s2
	v_lshlrev_b16 v9, 8, v9
	v_lshlrev_b16 v22, 8, v22
	;; [unrolled: 1-line block ×4, first 2 shown]
	s_delay_alu instid0(VALU_DEP_4) | instskip(NEXT) | instid1(VALU_DEP_4)
	v_bitop3_b16 v8, v8, v9, 0xff bitop3:0xec
	v_bitop3_b16 v4, v4, v22, 0xff bitop3:0xec
	s_delay_alu instid0(VALU_DEP_4) | instskip(NEXT) | instid1(VALU_DEP_3)
	v_bitop3_b16 v5, v6, v5, 0xff bitop3:0xec
	v_dual_lshlrev_b32 v7, 16, v8 :: v_dual_bitop2_b32 v6, v23, v7 bitop3:0x54
	s_delay_alu instid0(VALU_DEP_3) | instskip(NEXT) | instid1(VALU_DEP_3)
	v_and_b32_e32 v4, 0xffff, v4
	v_and_b32_e32 v5, 0xffff, v5
	s_delay_alu instid0(VALU_DEP_1) | instskip(NEXT) | instid1(VALU_DEP_1)
	v_dual_lshlrev_b32 v6, 16, v6 :: v_dual_bitop2_b32 v7, v5, v7 bitop3:0x54
	v_or_b32_e32 v5, v4, v6
.LBB1975_67:
	s_or_b32 exec_lo, exec_lo, s1
	s_delay_alu instid0(VALU_DEP_2) | instskip(NEXT) | instid1(VALU_DEP_1)
	v_dual_add_nc_u32 v4, 6, v30 :: v_dual_lshrrev_b32 v6, 8, v7
                                        ; implicit-def: $vgpr32
	v_cmp_le_u32_e32 vcc_lo, s6, v4
                                        ; implicit-def: $vgpr4
	s_and_saveexec_b32 s0, vcc_lo
	s_delay_alu instid0(SALU_CYCLE_1)
	s_xor_b32 s0, exec_lo, s0
	s_cbranch_execz .LBB1975_69
; %bb.68:
	v_lshlrev_b16 v4, 8, v6
	v_and_b32_e32 v6, 0xff0000, v5
	v_perm_b32 v3, v3, v3, 0x3060504
	s_delay_alu instid0(VALU_DEP_3) | instskip(NEXT) | instid1(VALU_DEP_3)
	v_bitop3_b16 v4, v7, v4, 0xff bitop3:0xec
	v_perm_b32 v32, v5, v6, 0x3020504
                                        ; implicit-def: $vgpr6
                                        ; implicit-def: $vgpr5
	s_delay_alu instid0(VALU_DEP_2) | instskip(NEXT) | instid1(VALU_DEP_1)
	v_and_b32_e32 v4, 0xffff, v4
	v_and_or_b32 v4, 0xff000000, v7, v4
                                        ; implicit-def: $vgpr7
.LBB1975_69:
	s_and_not1_saveexec_b32 s1, s0
	s_cbranch_execz .LBB1975_73
; %bb.70:
	v_dual_add_nc_u32 v4, s17, v14 :: v_dual_add_nc_u32 v8, s19, v14
	s_mov_b32 s2, 0
	s_mov_b32 s3, exec_lo
	s_delay_alu instid0(VALU_DEP_1) | instskip(NEXT) | instid1(VALU_DEP_2)
	v_mul_lo_u32 v4, v4, s16
	v_mul_lo_u32 v8, v8, s18
	s_delay_alu instid0(VALU_DEP_1) | instskip(NEXT) | instid1(VALU_DEP_1)
	v_sub_nc_u32_e32 v4, v4, v8
	v_cmp_lt_u32_e32 vcc_lo, s20, v4
	v_cmpx_ge_u32_e64 s20, v4
	s_cbranch_execz .LBB1975_72
; %bb.71:
	v_dual_add_nc_u32 v4, s22, v14 :: v_dual_add_nc_u32 v8, s42, v14
	s_delay_alu instid0(VALU_DEP_1) | instskip(NEXT) | instid1(VALU_DEP_2)
	v_mul_lo_u32 v4, v4, s21
	v_mul_lo_u32 v8, v8, s23
	s_delay_alu instid0(VALU_DEP_1) | instskip(NEXT) | instid1(VALU_DEP_1)
	v_sub_nc_u32_e32 v4, v4, v8
	v_cmp_lt_u32_e64 s0, s43, v4
	s_and_b32 s2, s0, exec_lo
.LBB1975_72:
	s_or_b32 exec_lo, exec_lo, s3
	v_dual_lshrrev_b32 v4, 24, v7 :: v_dual_lshrrev_b32 v22, 8, v5
	v_cndmask_b32_e64 v8, 0, 1, s2
	v_cndmask_b32_e64 v9, 0, 1, vcc_lo
	v_lshlrev_b16 v6, 8, v6
	s_delay_alu instid0(VALU_DEP_4)
	v_lshlrev_b16 v4, 8, v4
	v_lshrrev_b32_e32 v23, 16, v5
	v_lshlrev_b16 v8, 8, v8
	v_lshlrev_b16 v22, 8, v22
	v_bitop3_b16 v6, v7, v6, 0xff bitop3:0xec
	v_or_b32_e32 v4, v9, v4
	s_delay_alu instid0(VALU_DEP_4) | instskip(NEXT) | instid1(VALU_DEP_4)
	v_bitop3_b16 v7, v23, v8, 0xff bitop3:0xec
	v_bitop3_b16 v5, v5, v22, 0xff bitop3:0xec
	s_delay_alu instid0(VALU_DEP_4) | instskip(NEXT) | instid1(VALU_DEP_3)
	v_and_b32_e32 v6, 0xffff, v6
	v_dual_lshlrev_b32 v4, 16, v4 :: v_dual_lshlrev_b32 v7, 16, v7
	s_delay_alu instid0(VALU_DEP_3) | instskip(NEXT) | instid1(VALU_DEP_2)
	v_and_b32_e32 v5, 0xffff, v5
	v_or_b32_e32 v4, v6, v4
	s_delay_alu instid0(VALU_DEP_2)
	v_or_b32_e32 v32, v5, v7
.LBB1975_73:
	s_or_b32 exec_lo, exec_lo, s1
	v_dual_add_nc_u32 v7, 7, v30 :: v_dual_lshrrev_b32 v5, 8, v3
	v_lshrrev_b32_e32 v6, 16, v3
                                        ; implicit-def: $vgpr33
	s_delay_alu instid0(VALU_DEP_2) | instskip(SKIP_2) | instid1(SALU_CYCLE_1)
	v_cmp_le_u32_e32 vcc_lo, s6, v7
	v_lshrrev_b32_e32 v7, 24, v3
                                        ; implicit-def: $vgpr3
	s_and_saveexec_b32 s0, vcc_lo
	s_xor_b32 s0, exec_lo, s0
	s_cbranch_execz .LBB1975_75
; %bb.74:
	s_delay_alu instid0(VALU_DEP_1) | instskip(SKIP_1) | instid1(VALU_DEP_2)
	v_lshlrev_b16 v3, 8, v7
	v_lshlrev_b16 v5, 8, v5
                                        ; implicit-def: $vgpr7
	v_bitop3_b16 v3, v6, v3, 0xff bitop3:0xec
	v_and_b32_e32 v6, 0xff0000, v4
	s_delay_alu instid0(VALU_DEP_3) | instskip(NEXT) | instid1(VALU_DEP_3)
	v_and_b32_e32 v5, 0xffff, v5
	v_lshlrev_b32_e32 v3, 16, v3
	s_delay_alu instid0(VALU_DEP_3) | instskip(NEXT) | instid1(VALU_DEP_2)
	v_perm_b32 v33, v4, v6, 0x3020504
                                        ; implicit-def: $vgpr4
                                        ; implicit-def: $vgpr6
	v_or_b32_e32 v3, v5, v3
                                        ; implicit-def: $vgpr5
.LBB1975_75:
	s_and_not1_saveexec_b32 s1, s0
	s_cbranch_execz .LBB1975_79
; %bb.76:
	v_dual_add_nc_u32 v3, s17, v15 :: v_dual_add_nc_u32 v8, s19, v15
	s_mov_b32 s2, 0
	s_mov_b32 s3, exec_lo
	s_delay_alu instid0(VALU_DEP_1) | instskip(NEXT) | instid1(VALU_DEP_2)
	v_mul_lo_u32 v3, v3, s16
	v_mul_lo_u32 v8, v8, s18
	s_delay_alu instid0(VALU_DEP_1) | instskip(NEXT) | instid1(VALU_DEP_1)
	v_sub_nc_u32_e32 v3, v3, v8
	v_cmp_lt_u32_e32 vcc_lo, s20, v3
	v_cmpx_ge_u32_e64 s20, v3
	s_cbranch_execz .LBB1975_78
; %bb.77:
	v_dual_add_nc_u32 v3, s22, v15 :: v_dual_add_nc_u32 v8, s42, v15
	s_delay_alu instid0(VALU_DEP_1) | instskip(NEXT) | instid1(VALU_DEP_2)
	v_mul_lo_u32 v3, v3, s21
	v_mul_lo_u32 v8, v8, s23
	s_delay_alu instid0(VALU_DEP_1) | instskip(NEXT) | instid1(VALU_DEP_1)
	v_sub_nc_u32_e32 v3, v3, v8
	v_cmp_lt_u32_e64 s0, s43, v3
	s_and_b32 s2, s0, exec_lo
.LBB1975_78:
	s_or_b32 exec_lo, exec_lo, s3
	v_cndmask_b32_e64 v3, 0, 1, vcc_lo
	v_dual_lshrrev_b32 v8, 8, v4 :: v_dual_lshrrev_b32 v22, 16, v4
	v_cndmask_b32_e64 v9, 0, 1, s2
	v_lshlrev_b16 v7, 8, v7
	s_delay_alu instid0(VALU_DEP_4) | instskip(NEXT) | instid1(VALU_DEP_4)
	v_lshlrev_b16 v3, 8, v3
	v_lshlrev_b16 v8, 8, v8
	;; [unrolled: 1-line block ×3, first 2 shown]
	s_delay_alu instid0(VALU_DEP_4) | instskip(NEXT) | instid1(VALU_DEP_4)
	v_bitop3_b16 v6, v6, v7, 0xff bitop3:0xec
	v_bitop3_b16 v3, v22, v3, 0xff bitop3:0xec
	s_delay_alu instid0(VALU_DEP_4) | instskip(NEXT) | instid1(VALU_DEP_3)
	v_bitop3_b16 v4, v4, v8, 0xff bitop3:0xec
	v_dual_lshlrev_b32 v6, 16, v6 :: v_dual_bitop2_b32 v5, v9, v5 bitop3:0x54
	s_delay_alu instid0(VALU_DEP_3) | instskip(NEXT) | instid1(VALU_DEP_3)
	v_lshlrev_b32_e32 v3, 16, v3
	v_and_b32_e32 v4, 0xffff, v4
	s_delay_alu instid0(VALU_DEP_3) | instskip(NEXT) | instid1(VALU_DEP_2)
	v_and_b32_e32 v5, 0xffff, v5
	v_or_b32_e32 v33, v4, v3
	s_delay_alu instid0(VALU_DEP_2)
	v_or_b32_e32 v3, v5, v6
.LBB1975_79:
	s_or_b32 exec_lo, exec_lo, s1
	s_delay_alu instid0(VALU_DEP_1) | instskip(SKIP_2) | instid1(VALU_DEP_3)
	v_dual_add_nc_u32 v4, 8, v30 :: v_dual_lshrrev_b32 v5, 16, v3
	v_dual_lshrrev_b32 v6, 24, v3 :: v_dual_lshrrev_b32 v9, 24, v2
	v_dual_lshrrev_b32 v7, 16, v2 :: v_dual_lshrrev_b32 v8, 8, v2
	v_cmp_le_u32_e32 vcc_lo, s6, v4
                                        ; implicit-def: $vgpr2
                                        ; implicit-def: $vgpr4
	s_and_saveexec_b32 s0, vcc_lo
	s_delay_alu instid0(SALU_CYCLE_1)
	s_xor_b32 s0, exec_lo, s0
	s_cbranch_execz .LBB1975_81
; %bb.80:
	v_lshlrev_b16 v2, 8, v9
	v_lshlrev_b16 v4, 8, v8
	;; [unrolled: 1-line block ×3, first 2 shown]
	v_perm_b32 v1, v1, v1, 0x3060504
                                        ; implicit-def: $vgpr9
                                        ; implicit-def: $vgpr8
	s_delay_alu instid0(VALU_DEP_4) | instskip(NEXT) | instid1(VALU_DEP_4)
	v_bitop3_b16 v2, v7, v2, 0xff bitop3:0xec
	v_and_b32_e32 v4, 0xffff, v4
	s_delay_alu instid0(VALU_DEP_4) | instskip(NEXT) | instid1(VALU_DEP_3)
	v_bitop3_b16 v5, v5, v6, 0xff bitop3:0xec
                                        ; implicit-def: $vgpr6
                                        ; implicit-def: $vgpr7
	v_lshlrev_b32_e32 v2, 16, v2
	s_delay_alu instid0(VALU_DEP_1) | instskip(NEXT) | instid1(VALU_DEP_3)
	v_or_b32_e32 v4, v4, v2
	v_perm_b32 v2, v5, v3, 0x5040c00
                                        ; implicit-def: $vgpr3
                                        ; implicit-def: $vgpr5
.LBB1975_81:
	s_and_not1_saveexec_b32 s1, s0
	s_cbranch_execz .LBB1975_85
; %bb.82:
	v_dual_add_nc_u32 v2, s17, v12 :: v_dual_add_nc_u32 v4, s19, v12
	s_mov_b32 s2, 0
	s_mov_b32 s3, exec_lo
	s_delay_alu instid0(VALU_DEP_1) | instskip(NEXT) | instid1(VALU_DEP_2)
	v_mul_lo_u32 v2, v2, s16
	v_mul_lo_u32 v4, v4, s18
	s_delay_alu instid0(VALU_DEP_1) | instskip(NEXT) | instid1(VALU_DEP_1)
	v_sub_nc_u32_e32 v2, v2, v4
	v_cmp_lt_u32_e32 vcc_lo, s20, v2
	v_cmpx_ge_u32_e64 s20, v2
	s_cbranch_execz .LBB1975_84
; %bb.83:
	v_dual_add_nc_u32 v2, s22, v12 :: v_dual_add_nc_u32 v4, s42, v12
	s_delay_alu instid0(VALU_DEP_1) | instskip(NEXT) | instid1(VALU_DEP_2)
	v_mul_lo_u32 v2, v2, s21
	v_mul_lo_u32 v4, v4, s23
	s_delay_alu instid0(VALU_DEP_1) | instskip(NEXT) | instid1(VALU_DEP_1)
	v_sub_nc_u32_e32 v2, v2, v4
	v_cmp_lt_u32_e64 s0, s43, v2
	s_and_b32 s2, s0, exec_lo
.LBB1975_84:
	s_or_b32 exec_lo, exec_lo, s3
	v_cndmask_b32_e64 v2, 0, 1, s2
	v_cndmask_b32_e64 v4, 0, 1, vcc_lo
	v_lshlrev_b16 v9, 8, v9
	v_lshlrev_b16 v8, 8, v8
	;; [unrolled: 1-line block ×4, first 2 shown]
	s_delay_alu instid0(VALU_DEP_4) | instskip(NEXT) | instid1(VALU_DEP_4)
	v_bitop3_b16 v7, v7, v9, 0xff bitop3:0xec
	v_or_b32_e32 v4, v4, v8
	s_delay_alu instid0(VALU_DEP_4) | instskip(NEXT) | instid1(VALU_DEP_4)
	v_bitop3_b16 v5, v5, v6, 0xff bitop3:0xec
	v_bitop3_b16 v2, v3, v2, 0xff bitop3:0xec
	s_delay_alu instid0(VALU_DEP_4) | instskip(NEXT) | instid1(VALU_DEP_4)
	v_lshlrev_b32_e32 v3, 16, v7
	v_and_b32_e32 v4, 0xffff, v4
	s_delay_alu instid0(VALU_DEP_4) | instskip(NEXT) | instid1(VALU_DEP_4)
	v_lshlrev_b32_e32 v5, 16, v5
	v_and_b32_e32 v2, 0xffff, v2
	s_delay_alu instid0(VALU_DEP_3) | instskip(NEXT) | instid1(VALU_DEP_2)
	v_or_b32_e32 v4, v4, v3
	v_or_b32_e32 v2, v2, v5
.LBB1975_85:
	s_or_b32 exec_lo, exec_lo, s1
	s_delay_alu instid0(VALU_DEP_2) | instskip(NEXT) | instid1(VALU_DEP_2)
	v_dual_add_nc_u32 v3, 9, v30 :: v_dual_lshrrev_b32 v8, 24, v4
	v_dual_lshrrev_b32 v7, 8, v2 :: v_dual_lshrrev_b32 v6, 16, v4
                                        ; implicit-def: $vgpr5
	s_delay_alu instid0(VALU_DEP_2) | instskip(SKIP_1) | instid1(SALU_CYCLE_1)
	v_cmp_le_u32_e32 vcc_lo, s6, v3
                                        ; implicit-def: $vgpr3
	s_and_saveexec_b32 s0, vcc_lo
	s_xor_b32 s0, exec_lo, s0
	s_cbranch_execz .LBB1975_87
; %bb.86:
	v_lshlrev_b16 v3, 8, v7
	v_lshlrev_b16 v5, 8, v8
	v_perm_b32 v1, v1, v1, 0x3060504
                                        ; implicit-def: $vgpr7
                                        ; implicit-def: $vgpr8
	s_delay_alu instid0(VALU_DEP_3) | instskip(NEXT) | instid1(VALU_DEP_3)
	v_bitop3_b16 v3, v2, v3, 0xff bitop3:0xec
	v_bitop3_b16 v5, v6, v5, 0xff bitop3:0xec
                                        ; implicit-def: $vgpr6
	s_delay_alu instid0(VALU_DEP_2) | instskip(NEXT) | instid1(VALU_DEP_2)
	v_and_b32_e32 v3, 0xffff, v3
	v_perm_b32 v5, v5, v4, 0x5040c00
                                        ; implicit-def: $vgpr4
	s_delay_alu instid0(VALU_DEP_2)
	v_and_or_b32 v3, 0xff000000, v2, v3
                                        ; implicit-def: $vgpr2
.LBB1975_87:
	s_and_not1_saveexec_b32 s1, s0
	s_cbranch_execz .LBB1975_91
; %bb.88:
	v_dual_add_nc_u32 v3, s17, v13 :: v_dual_add_nc_u32 v5, s19, v13
	s_mov_b32 s2, 0
	s_mov_b32 s3, exec_lo
	s_delay_alu instid0(VALU_DEP_1) | instskip(NEXT) | instid1(VALU_DEP_2)
	v_mul_lo_u32 v3, v3, s16
	v_mul_lo_u32 v5, v5, s18
	s_delay_alu instid0(VALU_DEP_1) | instskip(NEXT) | instid1(VALU_DEP_1)
	v_sub_nc_u32_e32 v3, v3, v5
	v_cmp_lt_u32_e32 vcc_lo, s20, v3
	v_cmpx_ge_u32_e64 s20, v3
	s_cbranch_execz .LBB1975_90
; %bb.89:
	v_dual_add_nc_u32 v3, s22, v13 :: v_dual_add_nc_u32 v5, s42, v13
	s_delay_alu instid0(VALU_DEP_1) | instskip(NEXT) | instid1(VALU_DEP_2)
	v_mul_lo_u32 v3, v3, s21
	v_mul_lo_u32 v5, v5, s23
	s_delay_alu instid0(VALU_DEP_1) | instskip(NEXT) | instid1(VALU_DEP_1)
	v_sub_nc_u32_e32 v3, v3, v5
	v_cmp_lt_u32_e64 s0, s43, v3
	s_and_b32 s2, s0, exec_lo
.LBB1975_90:
	s_or_b32 exec_lo, exec_lo, s3
	v_cndmask_b32_e64 v3, 0, 1, vcc_lo
	v_lshrrev_b32_e32 v5, 24, v2
	v_cndmask_b32_e64 v9, 0, 1, s2
	v_lshlrev_b16 v8, 8, v8
	v_lshlrev_b16 v7, 8, v7
	;; [unrolled: 1-line block ×4, first 2 shown]
	s_delay_alu instid0(VALU_DEP_4) | instskip(NEXT) | instid1(VALU_DEP_4)
	v_bitop3_b16 v6, v6, v8, 0xff bitop3:0xec
	v_bitop3_b16 v2, v2, v7, 0xff bitop3:0xec
	s_delay_alu instid0(VALU_DEP_4) | instskip(NEXT) | instid1(VALU_DEP_3)
	v_bitop3_b16 v3, v4, v3, 0xff bitop3:0xec
	v_dual_lshlrev_b32 v5, 16, v6 :: v_dual_bitop2_b32 v4, v9, v5 bitop3:0x54
	s_delay_alu instid0(VALU_DEP_3) | instskip(NEXT) | instid1(VALU_DEP_3)
	v_and_b32_e32 v2, 0xffff, v2
	v_and_b32_e32 v3, 0xffff, v3
	s_delay_alu instid0(VALU_DEP_1) | instskip(NEXT) | instid1(VALU_DEP_1)
	v_dual_lshlrev_b32 v4, 16, v4 :: v_dual_bitop2_b32 v5, v3, v5 bitop3:0x54
	v_or_b32_e32 v3, v2, v4
.LBB1975_91:
	s_or_b32 exec_lo, exec_lo, s1
	s_delay_alu instid0(VALU_DEP_2) | instskip(NEXT) | instid1(VALU_DEP_1)
	v_dual_add_nc_u32 v2, 10, v30 :: v_dual_lshrrev_b32 v4, 8, v5
                                        ; implicit-def: $vgpr35
	v_cmp_le_u32_e32 vcc_lo, s6, v2
                                        ; implicit-def: $vgpr2
	s_and_saveexec_b32 s0, vcc_lo
	s_delay_alu instid0(SALU_CYCLE_1)
	s_xor_b32 s0, exec_lo, s0
	s_cbranch_execz .LBB1975_93
; %bb.92:
	v_lshlrev_b16 v2, 8, v4
	v_and_b32_e32 v4, 0xff0000, v3
	v_perm_b32 v1, v1, v1, 0x3060504
	s_delay_alu instid0(VALU_DEP_3) | instskip(NEXT) | instid1(VALU_DEP_3)
	v_bitop3_b16 v2, v5, v2, 0xff bitop3:0xec
	v_perm_b32 v35, v3, v4, 0x3020504
                                        ; implicit-def: $vgpr4
                                        ; implicit-def: $vgpr3
	s_delay_alu instid0(VALU_DEP_2) | instskip(NEXT) | instid1(VALU_DEP_1)
	v_and_b32_e32 v2, 0xffff, v2
	v_and_or_b32 v2, 0xff000000, v5, v2
                                        ; implicit-def: $vgpr5
.LBB1975_93:
	s_and_not1_saveexec_b32 s1, s0
	s_cbranch_execz .LBB1975_97
; %bb.94:
	v_dual_add_nc_u32 v2, s17, v10 :: v_dual_add_nc_u32 v6, s19, v10
	s_mov_b32 s2, 0
	s_mov_b32 s3, exec_lo
	s_delay_alu instid0(VALU_DEP_1) | instskip(NEXT) | instid1(VALU_DEP_2)
	v_mul_lo_u32 v2, v2, s16
	v_mul_lo_u32 v6, v6, s18
	s_delay_alu instid0(VALU_DEP_1) | instskip(NEXT) | instid1(VALU_DEP_1)
	v_sub_nc_u32_e32 v2, v2, v6
	v_cmp_lt_u32_e32 vcc_lo, s20, v2
	v_cmpx_ge_u32_e64 s20, v2
	s_cbranch_execz .LBB1975_96
; %bb.95:
	v_dual_add_nc_u32 v2, s22, v10 :: v_dual_add_nc_u32 v6, s42, v10
	s_delay_alu instid0(VALU_DEP_1) | instskip(NEXT) | instid1(VALU_DEP_2)
	v_mul_lo_u32 v2, v2, s21
	v_mul_lo_u32 v6, v6, s23
	s_delay_alu instid0(VALU_DEP_1) | instskip(NEXT) | instid1(VALU_DEP_1)
	v_sub_nc_u32_e32 v2, v2, v6
	v_cmp_lt_u32_e64 s0, s43, v2
	s_and_b32 s2, s0, exec_lo
.LBB1975_96:
	s_or_b32 exec_lo, exec_lo, s3
	v_dual_lshrrev_b32 v2, 24, v5 :: v_dual_lshrrev_b32 v8, 8, v3
	v_cndmask_b32_e64 v6, 0, 1, s2
	v_cndmask_b32_e64 v7, 0, 1, vcc_lo
	v_lshlrev_b16 v4, 8, v4
	s_delay_alu instid0(VALU_DEP_4)
	v_lshlrev_b16 v2, 8, v2
	v_lshrrev_b32_e32 v9, 16, v3
	v_lshlrev_b16 v6, 8, v6
	v_lshlrev_b16 v8, 8, v8
	v_bitop3_b16 v4, v5, v4, 0xff bitop3:0xec
	v_or_b32_e32 v2, v7, v2
	s_delay_alu instid0(VALU_DEP_4) | instskip(NEXT) | instid1(VALU_DEP_4)
	v_bitop3_b16 v5, v9, v6, 0xff bitop3:0xec
	v_bitop3_b16 v3, v3, v8, 0xff bitop3:0xec
	s_delay_alu instid0(VALU_DEP_4) | instskip(NEXT) | instid1(VALU_DEP_3)
	v_and_b32_e32 v4, 0xffff, v4
	v_dual_lshlrev_b32 v2, 16, v2 :: v_dual_lshlrev_b32 v5, 16, v5
	s_delay_alu instid0(VALU_DEP_3) | instskip(NEXT) | instid1(VALU_DEP_2)
	v_and_b32_e32 v3, 0xffff, v3
	v_or_b32_e32 v2, v4, v2
	s_delay_alu instid0(VALU_DEP_2)
	v_or_b32_e32 v35, v3, v5
.LBB1975_97:
	s_or_b32 exec_lo, exec_lo, s1
	v_dual_mov_b32 v34, 0 :: v_dual_add_nc_u32 v3, 11, v30
	s_mov_b32 s0, exec_lo
                                        ; implicit-def: $vgpr36
	s_delay_alu instid0(VALU_DEP_1)
	v_cmpx_le_u32_e64 s6, v3
	s_xor_b32 s0, exec_lo, s0
; %bb.98:
	v_and_b32_e32 v3, 0xff0000, v2
	v_perm_b32 v1, v1, v1, 0x3060504
	s_delay_alu instid0(VALU_DEP_2)
	v_perm_b32 v36, v2, v3, 0x3020504
                                        ; implicit-def: $vgpr2
; %bb.99:
	s_and_not1_saveexec_b32 s1, s0
	s_cbranch_execz .LBB1975_103
; %bb.100:
	v_dual_add_nc_u32 v3, s17, v11 :: v_dual_add_nc_u32 v4, s19, v11
	s_mov_b32 s2, 0
	s_mov_b32 s3, exec_lo
	s_delay_alu instid0(VALU_DEP_1) | instskip(NEXT) | instid1(VALU_DEP_2)
	v_mul_lo_u32 v3, v3, s16
	v_mul_lo_u32 v4, v4, s18
	s_delay_alu instid0(VALU_DEP_1) | instskip(NEXT) | instid1(VALU_DEP_1)
	v_sub_nc_u32_e32 v3, v3, v4
	v_cmp_lt_u32_e32 vcc_lo, s20, v3
	v_cmpx_ge_u32_e64 s20, v3
	s_cbranch_execz .LBB1975_102
; %bb.101:
	v_dual_add_nc_u32 v3, s22, v11 :: v_dual_add_nc_u32 v4, s42, v11
	s_delay_alu instid0(VALU_DEP_1) | instskip(NEXT) | instid1(VALU_DEP_2)
	v_mul_lo_u32 v3, v3, s21
	v_mul_lo_u32 v4, v4, s23
	s_delay_alu instid0(VALU_DEP_1) | instskip(NEXT) | instid1(VALU_DEP_1)
	v_sub_nc_u32_e32 v3, v3, v4
	v_cmp_lt_u32_e64 s0, s43, v3
	s_and_b32 s2, s0, exec_lo
.LBB1975_102:
	s_or_b32 exec_lo, exec_lo, s3
	v_cndmask_b32_e64 v3, 0, 1, vcc_lo
	v_dual_lshrrev_b32 v4, 8, v2 :: v_dual_lshrrev_b32 v5, 16, v2
	v_cndmask_b32_e64 v34, 0, 1, s2
	s_delay_alu instid0(VALU_DEP_3) | instskip(NEXT) | instid1(VALU_DEP_3)
	v_lshlrev_b16 v3, 8, v3
	v_lshlrev_b16 v4, 8, v4
	s_delay_alu instid0(VALU_DEP_2) | instskip(NEXT) | instid1(VALU_DEP_2)
	v_bitop3_b16 v3, v5, v3, 0xff bitop3:0xec
	v_bitop3_b16 v2, v2, v4, 0xff bitop3:0xec
	s_delay_alu instid0(VALU_DEP_2) | instskip(NEXT) | instid1(VALU_DEP_2)
	v_lshlrev_b32_e32 v3, 16, v3
	v_and_b32_e32 v2, 0xffff, v2
	s_delay_alu instid0(VALU_DEP_1)
	v_or_b32_e32 v36, v2, v3
.LBB1975_103:
	s_or_b32 exec_lo, exec_lo, s1
	v_dual_add_nc_u32 v4, 12, v30 :: v_dual_lshrrev_b32 v2, 8, v1
	v_dual_lshrrev_b32 v3, 16, v1 :: v_dual_lshrrev_b32 v1, 24, v1
	s_mov_b32 s0, exec_lo
                                        ; implicit-def: $vgpr37
	s_delay_alu instid0(VALU_DEP_2)
	v_cmpx_le_u32_e64 s6, v4
	s_xor_b32 s0, exec_lo, s0
; %bb.104:
	s_delay_alu instid0(VALU_DEP_2) | instskip(SKIP_1) | instid1(VALU_DEP_2)
	v_lshlrev_b16 v1, 8, v1
	v_lshlrev_b16 v2, 8, v2
	v_bitop3_b16 v1, v3, v1, 0xff bitop3:0xec
	s_delay_alu instid0(VALU_DEP_2) | instskip(NEXT) | instid1(VALU_DEP_2)
	v_and_b32_e32 v2, 0xffff, v2
                                        ; implicit-def: $vgpr3
	v_lshlrev_b32_e32 v1, 16, v1
	s_delay_alu instid0(VALU_DEP_1)
	v_or_b32_e32 v37, v2, v1
                                        ; implicit-def: $vgpr1
                                        ; implicit-def: $vgpr2
; %bb.105:
	s_or_saveexec_b32 s1, s0
	v_mov_b32_e32 v38, 0
	s_xor_b32 exec_lo, exec_lo, s1
	s_cbranch_execz .LBB1975_109
; %bb.106:
	v_dual_add_nc_u32 v4, s19, v28 :: v_dual_add_nc_u32 v5, s17, v28
	s_mov_b32 s2, 0
	s_mov_b32 s3, exec_lo
	s_delay_alu instid0(VALU_DEP_1) | instskip(NEXT) | instid1(VALU_DEP_2)
	v_mul_lo_u32 v4, v4, s18
	v_mul_lo_u32 v5, v5, s16
	s_delay_alu instid0(VALU_DEP_1) | instskip(NEXT) | instid1(VALU_DEP_1)
	v_sub_nc_u32_e32 v4, v5, v4
	v_cmp_lt_u32_e32 vcc_lo, s20, v4
	v_cmpx_ge_u32_e64 s20, v4
	s_cbranch_execz .LBB1975_108
; %bb.107:
	v_dual_add_nc_u32 v4, s42, v28 :: v_dual_add_nc_u32 v5, s22, v28
	s_delay_alu instid0(VALU_DEP_1) | instskip(NEXT) | instid1(VALU_DEP_2)
	v_mul_lo_u32 v4, v4, s23
	v_mul_lo_u32 v5, v5, s21
	s_delay_alu instid0(VALU_DEP_1) | instskip(NEXT) | instid1(VALU_DEP_1)
	v_sub_nc_u32_e32 v4, v5, v4
	v_cmp_lt_u32_e64 s0, s43, v4
	s_and_b32 s2, s0, exec_lo
.LBB1975_108:
	s_or_b32 exec_lo, exec_lo, s3
	v_cndmask_b32_e64 v4, 0, 1, vcc_lo
	v_lshlrev_b16 v1, 8, v1
	v_lshlrev_b16 v2, 8, v2
	v_cndmask_b32_e64 v38, 0, 1, s2
	s_delay_alu instid0(VALU_DEP_3) | instskip(NEXT) | instid1(VALU_DEP_1)
	v_bitop3_b16 v1, v3, v1, 0xff bitop3:0xec
	v_dual_lshlrev_b32 v1, 16, v1 :: v_dual_bitop2_b32 v2, v4, v2 bitop3:0x54
	s_delay_alu instid0(VALU_DEP_1) | instskip(NEXT) | instid1(VALU_DEP_1)
	v_and_b32_e32 v2, 0xffff, v2
	v_or_b32_e32 v37, v2, v1
.LBB1975_109:
	s_or_b32 exec_lo, exec_lo, s1
.LBB1975_110:
	v_and_b32_e32 v61, 0xff, v31
	s_delay_alu instid0(VALU_DEP_2)
	v_bfe_u32 v62, v37, 8, 8
	v_bfe_u32 v59, v31, 8, 8
	;; [unrolled: 1-line block ×4, first 2 shown]
	v_dual_lshrrev_b32 v44, 24, v37 :: v_dual_lshrrev_b32 v43, 24, v31
	v_and_b32_e32 v57, 0xff, v32
	v_and_b32_e32 v55, 0xff, v33
	v_bfe_u32 v56, v32, 8, 8
	v_add3_u32 v1, v59, v61, v58
	v_add3_u32 v2, v60, v62, v44
	v_bfe_u32 v53, v33, 8, 8
	v_bfe_u32 v54, v32, 16, 8
	v_bfe_u32 v51, v33, 16, 8
	v_dual_lshrrev_b32 v42, 24, v32 :: v_dual_lshrrev_b32 v41, 24, v33
	v_add3_u32 v1, v1, v43, v55
	v_add3_u32 v2, v2, v57, v56
	v_and_b32_e32 v52, 0xff, v35
	v_and_b32_e32 v48, 0xff, v36
	v_bfe_u32 v50, v35, 8, 8
	v_add3_u32 v1, v1, v53, v51
	v_add3_u32 v2, v2, v54, v42
	v_bfe_u32 v47, v36, 8, 8
	v_bfe_u32 v49, v35, 16, 8
	v_bfe_u32 v46, v36, 16, 8
	v_dual_lshrrev_b32 v40, 24, v35 :: v_dual_lshrrev_b32 v39, 24, v36
	v_add3_u32 v1, v1, v41, v48
	v_add3_u32 v2, v2, v52, v50
	v_mbcnt_lo_u32_b32 v63, -1, 0
	v_and_b32_e32 v45, 0xff, v34
	v_and_b32_e32 v3, 0xff, v37
	;; [unrolled: 1-line block ×3, first 2 shown]
	v_add3_u32 v1, v1, v47, v46
	v_add3_u32 v2, v2, v49, v40
	v_dual_lshrrev_b32 v64, 5, v0 :: v_dual_bitop2_b32 v65, 15, v63 bitop3:0x40
	v_and_b32_e32 v67, 16, v63
	s_delay_alu instid0(VALU_DEP_4) | instskip(NEXT) | instid1(VALU_DEP_4)
	v_add3_u32 v68, v1, v39, v3
	v_add3_u32 v69, v2, v45, v4
	s_wait_xcnt 0x0
	v_cmp_eq_u32_e64 s1, 0, v65
	v_cmp_lt_u32_e64 s0, 1, v65
	v_cmp_lt_u32_e64 s2, 3, v65
	v_or_b32_e32 v66, 31, v0
	s_cmp_lg_u32 s33, 0
	s_mov_b32 s3, -1
	v_cmp_lt_u32_e32 vcc_lo, 7, v65
	s_cbranch_scc0 .LBB1975_131
; %bb.111:
	v_mov_b32_dpp v1, v69 row_shr:1 row_mask:0xf bank_mask:0xf
	v_mov_b32_dpp v2, v68 row_shr:1 row_mask:0xf bank_mask:0xf
	s_mov_b32 s3, exec_lo
	s_delay_alu instid0(VALU_DEP_1) | instskip(NEXT) | instid1(VALU_DEP_1)
	v_dual_add_nc_u32 v1, v1, v69 :: v_dual_add_nc_u32 v2, v2, v68
	v_dual_cndmask_b32 v1, v1, v69, s1 :: v_dual_cndmask_b32 v2, v2, v68, s1
	s_delay_alu instid0(VALU_DEP_1) | instskip(NEXT) | instid1(VALU_DEP_2)
	v_mov_b32_dpp v3, v1 row_shr:2 row_mask:0xf bank_mask:0xf
	v_mov_b32_dpp v4, v2 row_shr:2 row_mask:0xf bank_mask:0xf
	s_delay_alu instid0(VALU_DEP_1) | instskip(NEXT) | instid1(VALU_DEP_1)
	v_dual_add_nc_u32 v3, v1, v3 :: v_dual_add_nc_u32 v4, v2, v4
	v_dual_cndmask_b32 v1, v1, v3, s0 :: v_dual_cndmask_b32 v2, v2, v4, s0
	s_delay_alu instid0(VALU_DEP_1) | instskip(NEXT) | instid1(VALU_DEP_2)
	v_mov_b32_dpp v3, v1 row_shr:4 row_mask:0xf bank_mask:0xf
	v_mov_b32_dpp v4, v2 row_shr:4 row_mask:0xf bank_mask:0xf
	s_delay_alu instid0(VALU_DEP_1) | instskip(NEXT) | instid1(VALU_DEP_1)
	v_dual_add_nc_u32 v3, v1, v3 :: v_dual_add_nc_u32 v4, v2, v4
	v_dual_cndmask_b32 v1, v1, v3, s2 :: v_dual_cndmask_b32 v2, v2, v4, s2
	s_delay_alu instid0(VALU_DEP_1) | instskip(NEXT) | instid1(VALU_DEP_2)
	v_mov_b32_dpp v3, v1 row_shr:8 row_mask:0xf bank_mask:0xf
	v_mov_b32_dpp v4, v2 row_shr:8 row_mask:0xf bank_mask:0xf
	s_delay_alu instid0(VALU_DEP_1) | instskip(NEXT) | instid1(VALU_DEP_1)
	v_dual_add_nc_u32 v3, v1, v3 :: v_dual_add_nc_u32 v4, v2, v4
	v_dual_cndmask_b32 v1, v1, v3 :: v_dual_cndmask_b32 v2, v2, v4
	v_cmp_eq_u32_e32 vcc_lo, 0, v67
	ds_swizzle_b32 v3, v1 offset:swizzle(BROADCAST,32,15)
	ds_swizzle_b32 v4, v2 offset:swizzle(BROADCAST,32,15)
	s_wait_dscnt 0x0
	v_dual_add_nc_u32 v3, v1, v3 :: v_dual_add_nc_u32 v4, v2, v4
	v_cmpx_eq_u32_e64 v0, v66
; %bb.112:
	s_delay_alu instid0(VALU_DEP_2) | instskip(NEXT) | instid1(VALU_DEP_3)
	v_dual_lshlrev_b32 v5, 3, v64 :: v_dual_cndmask_b32 v7, v3, v1, vcc_lo
	v_cndmask_b32_e32 v6, v4, v2, vcc_lo
	ds_store_b64 v5, v[6:7]
; %bb.113:
	s_or_b32 exec_lo, exec_lo, s3
	s_delay_alu instid0(SALU_CYCLE_1)
	s_mov_b32 s3, exec_lo
	s_wait_dscnt 0x0
	s_barrier_signal -1
	s_barrier_wait -1
	v_cmpx_gt_u32_e32 8, v0
	s_cbranch_execz .LBB1975_115
; %bb.114:
	v_dual_lshlrev_b32 v5, 3, v0 :: v_dual_bitop2_b32 v22, 7, v63 bitop3:0x40
	ds_load_b64 v[6:7], v5
	v_cmp_eq_u32_e64 s2, 0, v22
	s_wait_dscnt 0x0
	v_mov_b32_dpp v8, v6 row_shr:1 row_mask:0xf bank_mask:0xf
	v_mov_b32_dpp v9, v7 row_shr:1 row_mask:0xf bank_mask:0xf
	s_delay_alu instid0(VALU_DEP_1) | instskip(NEXT) | instid1(VALU_DEP_1)
	v_dual_add_nc_u32 v8, v8, v6 :: v_dual_add_nc_u32 v9, v9, v7
	v_dual_cndmask_b32 v6, v8, v6, s2 :: v_dual_cndmask_b32 v7, v9, v7, s2
	v_cmp_lt_u32_e64 s2, 1, v22
	s_delay_alu instid0(VALU_DEP_2) | instskip(NEXT) | instid1(VALU_DEP_3)
	v_mov_b32_dpp v8, v6 row_shr:2 row_mask:0xf bank_mask:0xf
	v_mov_b32_dpp v9, v7 row_shr:2 row_mask:0xf bank_mask:0xf
	s_delay_alu instid0(VALU_DEP_1) | instskip(NEXT) | instid1(VALU_DEP_1)
	v_dual_add_nc_u32 v8, v6, v8 :: v_dual_add_nc_u32 v9, v7, v9
	v_dual_cndmask_b32 v6, v6, v8, s2 :: v_dual_cndmask_b32 v7, v7, v9, s2
	v_cmp_lt_u32_e64 s2, 3, v22
	s_delay_alu instid0(VALU_DEP_2) | instskip(NEXT) | instid1(VALU_DEP_3)
	v_mov_b32_dpp v8, v6 row_shr:4 row_mask:0xf bank_mask:0xf
	v_mov_b32_dpp v9, v7 row_shr:4 row_mask:0xf bank_mask:0xf
	s_delay_alu instid0(VALU_DEP_1) | instskip(NEXT) | instid1(VALU_DEP_1)
	v_dual_cndmask_b32 v8, 0, v8, s2 :: v_dual_cndmask_b32 v9, 0, v9, s2
	v_dual_add_nc_u32 v6, v8, v6 :: v_dual_add_nc_u32 v7, v9, v7
	ds_store_b64 v5, v[6:7]
.LBB1975_115:
	s_or_b32 exec_lo, exec_lo, s3
	v_dual_cndmask_b32 v1, v3, v1 :: v_dual_cndmask_b32 v2, v4, v2
	s_mov_b32 s3, exec_lo
	v_cmp_gt_u32_e32 vcc_lo, 32, v0
	s_wait_dscnt 0x0
	s_barrier_signal -1
	s_barrier_wait -1
                                        ; implicit-def: $vgpr22
	v_cmpx_lt_u32_e32 31, v0
	s_cbranch_execz .LBB1975_117
; %bb.116:
	v_lshl_add_u32 v3, v64, 3, -8
	ds_load_b64 v[22:23], v3
	s_wait_dscnt 0x0
	v_dual_add_nc_u32 v1, v23, v1 :: v_dual_add_nc_u32 v2, v22, v2
.LBB1975_117:
	s_or_b32 exec_lo, exec_lo, s3
	v_sub_co_u32 v3, s2, v63, 1
	s_delay_alu instid0(VALU_DEP_1) | instskip(NEXT) | instid1(VALU_DEP_1)
	v_cmp_gt_i32_e64 s3, 0, v3
	v_cndmask_b32_e64 v3, v3, v63, s3
	s_delay_alu instid0(VALU_DEP_1)
	v_lshlrev_b32_e32 v3, 2, v3
	ds_bpermute_b32 v70, v3, v2
	ds_bpermute_b32 v1, v3, v1
	s_and_saveexec_b32 s3, vcc_lo
	s_cbranch_execz .LBB1975_136
; %bb.118:
	v_mov_b32_e32 v5, 0
	ds_load_b64 v[2:3], v5 offset:56
	s_and_saveexec_b32 s7, s2
	s_cbranch_execz .LBB1975_120
; %bb.119:
	s_add_co_i32 s8, s33, 32
	s_mov_b32 s9, 0
	v_mov_b32_e32 v4, 1
	s_lshl_b64 s[8:9], s[8:9], 4
	s_wait_kmcnt 0x0
	s_add_nc_u64 s[8:9], s[4:5], s[8:9]
	s_delay_alu instid0(SALU_CYCLE_1)
	v_mov_b64_e32 v[6:7], s[8:9]
	s_wait_dscnt 0x0
	;;#ASMSTART
	global_store_b128 v[6:7], v[2:5] off scope:SCOPE_DEV	
s_wait_storecnt 0x0
	;;#ASMEND
.LBB1975_120:
	s_or_b32 exec_lo, exec_lo, s7
	v_xad_u32 v24, v63, -1, s33
	s_mov_b32 s8, 0
	s_mov_b32 s7, exec_lo
	s_delay_alu instid0(VALU_DEP_1) | instskip(SKIP_1) | instid1(VALU_DEP_1)
	v_add_nc_u32_e32 v4, 32, v24
	s_wait_kmcnt 0x0
	v_lshl_add_u64 v[4:5], v[4:5], 4, s[4:5]
	;;#ASMSTART
	global_load_b128 v[6:9], v[4:5] off scope:SCOPE_DEV	
s_wait_loadcnt 0x0
	;;#ASMEND
	v_and_b32_e32 v9, 0xff, v8
	s_delay_alu instid0(VALU_DEP_1)
	v_cmpx_eq_u16_e32 0, v9
	s_cbranch_execz .LBB1975_123
.LBB1975_121:                           ; =>This Inner Loop Header: Depth=1
	;;#ASMSTART
	global_load_b128 v[6:9], v[4:5] off scope:SCOPE_DEV	
s_wait_loadcnt 0x0
	;;#ASMEND
	v_and_b32_e32 v9, 0xff, v8
	s_delay_alu instid0(VALU_DEP_1) | instskip(SKIP_1) | instid1(SALU_CYCLE_1)
	v_cmp_ne_u16_e32 vcc_lo, 0, v9
	s_or_b32 s8, vcc_lo, s8
	s_and_not1_b32 exec_lo, exec_lo, s8
	s_cbranch_execnz .LBB1975_121
; %bb.122:
	s_or_b32 exec_lo, exec_lo, s8
.LBB1975_123:
	s_delay_alu instid0(SALU_CYCLE_1)
	s_or_b32 exec_lo, exec_lo, s7
	v_cmp_ne_u32_e32 vcc_lo, 31, v63
	v_lshlrev_b32_e64 v72, v63, -1
	v_lshl_or_b32 v79, v63, 2, 64
	v_dual_add_nc_u32 v76, 4, v63 :: v_dual_add_nc_u32 v80, 16, v63
	v_add_co_ci_u32_e64 v4, null, 0, v63, vcc_lo
	s_delay_alu instid0(VALU_DEP_1)
	v_lshlrev_b32_e32 v71, 2, v4
	v_and_b32_e32 v4, 0xff, v8
	ds_bpermute_b32 v5, v71, v7
	v_cmp_eq_u16_e32 vcc_lo, 2, v4
	s_wait_dscnt 0x0
	v_add_nc_u32_e32 v5, v5, v7
	ds_bpermute_b32 v4, v71, v6
	v_and_b32_e32 v9, vcc_lo, v72
	v_cmp_gt_u32_e32 vcc_lo, 30, v63
	v_cndmask_b32_e64 v25, 0, 2, vcc_lo
	s_delay_alu instid0(VALU_DEP_1) | instskip(SKIP_3) | instid1(VALU_DEP_1)
	v_add_lshl_u32 v73, v25, v63, 2
	s_wait_dscnt 0x0
	v_add_nc_u32_e32 v4, v4, v6
	v_or_b32_e32 v9, 0x80000000, v9
	v_ctz_i32_b32_e32 v9, v9
	s_delay_alu instid0(VALU_DEP_1) | instskip(NEXT) | instid1(VALU_DEP_4)
	v_cmp_lt_u32_e32 vcc_lo, v63, v9
	v_dual_cndmask_b32 v5, v7, v5 :: v_dual_cndmask_b32 v4, v6, v4
	v_cmp_gt_u32_e32 vcc_lo, 28, v63
	ds_bpermute_b32 v6, v73, v5
	ds_bpermute_b32 v7, v73, v4
	v_add_nc_u32_e32 v74, 2, v63
	v_cndmask_b32_e64 v25, 0, 4, vcc_lo
	s_delay_alu instid0(VALU_DEP_1) | instskip(SKIP_4) | instid1(VALU_DEP_2)
	v_add_lshl_u32 v75, v25, v63, 2
	s_wait_dscnt 0x1
	v_add_nc_u32_e32 v6, v5, v6
	v_cmp_gt_u32_e32 vcc_lo, v74, v9
	s_wait_dscnt 0x0
	v_dual_add_nc_u32 v7, v4, v7 :: v_dual_cndmask_b32 v5, v6, v5, vcc_lo
	s_delay_alu instid0(VALU_DEP_1)
	v_cndmask_b32_e32 v4, v7, v4, vcc_lo
	v_cmp_gt_u32_e32 vcc_lo, 24, v63
	ds_bpermute_b32 v6, v75, v5
	ds_bpermute_b32 v7, v75, v4
	v_cndmask_b32_e64 v25, 0, 8, vcc_lo
	v_cmp_gt_u32_e32 vcc_lo, v76, v9
	s_delay_alu instid0(VALU_DEP_2) | instskip(SKIP_3) | instid1(VALU_DEP_1)
	v_add_lshl_u32 v77, v25, v63, 2
	s_wait_dscnt 0x1
	v_dual_mov_b32 v25, 0 :: v_dual_add_nc_u32 v6, v5, v6
	s_wait_dscnt 0x0
	v_dual_add_nc_u32 v7, v4, v7 :: v_dual_cndmask_b32 v5, v6, v5, vcc_lo
	s_delay_alu instid0(VALU_DEP_1) | instskip(SKIP_4) | instid1(VALU_DEP_1)
	v_cndmask_b32_e32 v4, v7, v4, vcc_lo
	ds_bpermute_b32 v6, v77, v5
	ds_bpermute_b32 v7, v77, v4
	s_wait_dscnt 0x1
	v_dual_add_nc_u32 v78, 8, v63 :: v_dual_add_nc_u32 v6, v5, v6
	v_cmp_gt_u32_e32 vcc_lo, v78, v9
	s_wait_dscnt 0x0
	s_delay_alu instid0(VALU_DEP_2) | instskip(NEXT) | instid1(VALU_DEP_1)
	v_dual_add_nc_u32 v7, v4, v7 :: v_dual_cndmask_b32 v5, v6, v5, vcc_lo
	v_cndmask_b32_e32 v4, v7, v4, vcc_lo
	v_cmp_le_u32_e32 vcc_lo, v80, v9
	ds_bpermute_b32 v7, v79, v5
	ds_bpermute_b32 v6, v79, v4
	s_wait_dscnt 0x0
	v_dual_cndmask_b32 v7, 0, v7 :: v_dual_cndmask_b32 v6, 0, v6
	s_delay_alu instid0(VALU_DEP_1)
	v_dual_add_nc_u32 v7, v7, v5 :: v_dual_add_nc_u32 v6, v6, v4
	s_branch .LBB1975_127
.LBB1975_124:                           ;   in Loop: Header=BB1975_127 Depth=1
	s_or_b32 exec_lo, exec_lo, s8
.LBB1975_125:                           ;   in Loop: Header=BB1975_127 Depth=1
	s_delay_alu instid0(SALU_CYCLE_1)
	s_or_b32 exec_lo, exec_lo, s7
	ds_bpermute_b32 v9, v71, v6
	ds_bpermute_b32 v26, v71, v7
	v_and_b32_e32 v27, 0xff, v8
	v_subrev_nc_u32_e32 v24, 32, v24
	s_mov_b32 s7, 0
	s_delay_alu instid0(VALU_DEP_2) | instskip(SKIP_1) | instid1(VALU_DEP_1)
	v_cmp_eq_u16_e32 vcc_lo, 2, v27
	v_and_or_b32 v27, vcc_lo, v72, 0x80000000
	v_ctz_i32_b32_e32 v27, v27
	s_wait_dscnt 0x0
	v_dual_add_nc_u32 v9, v9, v6 :: v_dual_add_nc_u32 v26, v26, v7
	s_delay_alu instid0(VALU_DEP_2) | instskip(NEXT) | instid1(VALU_DEP_2)
	v_cmp_lt_u32_e32 vcc_lo, v63, v27
	v_dual_cndmask_b32 v7, v7, v26 :: v_dual_cndmask_b32 v6, v6, v9
	v_cmp_gt_u32_e32 vcc_lo, v74, v27
	ds_bpermute_b32 v26, v73, v7
	ds_bpermute_b32 v9, v73, v6
	s_wait_dscnt 0x0
	v_dual_add_nc_u32 v26, v7, v26 :: v_dual_add_nc_u32 v9, v6, v9
	s_delay_alu instid0(VALU_DEP_1)
	v_dual_cndmask_b32 v7, v26, v7 :: v_dual_cndmask_b32 v6, v9, v6
	v_cmp_gt_u32_e32 vcc_lo, v76, v27
	ds_bpermute_b32 v26, v75, v7
	ds_bpermute_b32 v9, v75, v6
	s_wait_dscnt 0x0
	v_dual_add_nc_u32 v26, v7, v26 :: v_dual_add_nc_u32 v9, v6, v9
	s_delay_alu instid0(VALU_DEP_1)
	;; [unrolled: 7-line block ×3, first 2 shown]
	v_dual_cndmask_b32 v7, v26, v7 :: v_dual_cndmask_b32 v6, v9, v6
	v_cmp_le_u32_e32 vcc_lo, v80, v27
	ds_bpermute_b32 v26, v79, v7
	ds_bpermute_b32 v9, v79, v6
	s_wait_dscnt 0x0
	v_dual_cndmask_b32 v26, 0, v26 :: v_dual_cndmask_b32 v9, 0, v9
	s_delay_alu instid0(VALU_DEP_1) | instskip(NEXT) | instid1(VALU_DEP_2)
	v_add3_u32 v7, v7, v5, v26
	v_add3_u32 v6, v6, v4, v9
.LBB1975_126:                           ;   in Loop: Header=BB1975_127 Depth=1
	s_and_b32 vcc_lo, exec_lo, s7
	s_cbranch_vccnz .LBB1975_132
.LBB1975_127:                           ; =>This Loop Header: Depth=1
                                        ;     Child Loop BB1975_130 Depth 2
	v_and_b32_e32 v4, 0xff, v8
	s_mov_b32 s7, -1
                                        ; implicit-def: $vgpr8
	s_delay_alu instid0(VALU_DEP_1)
	v_cmp_ne_u16_e32 vcc_lo, 2, v4
	v_mov_b64_e32 v[4:5], v[6:7]
                                        ; implicit-def: $vgpr6_vgpr7
	s_cmp_lg_u32 vcc_lo, exec_lo
	s_cbranch_scc1 .LBB1975_126
; %bb.128:                              ;   in Loop: Header=BB1975_127 Depth=1
	v_lshl_add_u64 v[26:27], v[24:25], 4, s[4:5]
	;;#ASMSTART
	global_load_b128 v[6:9], v[26:27] off scope:SCOPE_DEV	
s_wait_loadcnt 0x0
	;;#ASMEND
	v_and_b32_e32 v9, 0xff, v8
	s_mov_b32 s7, exec_lo
	s_delay_alu instid0(VALU_DEP_1)
	v_cmpx_eq_u16_e32 0, v9
	s_cbranch_execz .LBB1975_125
; %bb.129:                              ;   in Loop: Header=BB1975_127 Depth=1
	s_mov_b32 s8, 0
.LBB1975_130:                           ;   Parent Loop BB1975_127 Depth=1
                                        ; =>  This Inner Loop Header: Depth=2
	;;#ASMSTART
	global_load_b128 v[6:9], v[26:27] off scope:SCOPE_DEV	
s_wait_loadcnt 0x0
	;;#ASMEND
	v_and_b32_e32 v9, 0xff, v8
	s_delay_alu instid0(VALU_DEP_1) | instskip(SKIP_1) | instid1(SALU_CYCLE_1)
	v_cmp_ne_u16_e32 vcc_lo, 0, v9
	s_or_b32 s8, vcc_lo, s8
	s_and_not1_b32 exec_lo, exec_lo, s8
	s_cbranch_execnz .LBB1975_130
	s_branch .LBB1975_124
.LBB1975_131:
                                        ; implicit-def: $vgpr1
                                        ; implicit-def: $vgpr4
                                        ; implicit-def: $vgpr6
                                        ; implicit-def: $vgpr8
                                        ; implicit-def: $vgpr22
	s_and_b32 vcc_lo, exec_lo, s3
	s_cbranch_vccnz .LBB1975_137
	s_branch .LBB1975_146
.LBB1975_132:
	s_and_saveexec_b32 s7, s2
	s_cbranch_execz .LBB1975_134
; %bb.133:
	s_add_co_i32 s8, s33, 32
	s_mov_b32 s9, 0
	v_dual_mov_b32 v8, 2 :: v_dual_mov_b32 v9, 0
	s_lshl_b64 s[8:9], s[8:9], 4
	v_dual_add_nc_u32 v7, v5, v3 :: v_dual_add_nc_u32 v6, v4, v2
	s_add_nc_u64 s[8:9], s[4:5], s[8:9]
	s_delay_alu instid0(SALU_CYCLE_1)
	v_mov_b64_e32 v[24:25], s[8:9]
	;;#ASMSTART
	global_store_b128 v[24:25], v[6:9] off scope:SCOPE_DEV	
s_wait_storecnt 0x0
	;;#ASMEND
	ds_store_b128 v9, v[2:5] offset:13312
.LBB1975_134:
	s_or_b32 exec_lo, exec_lo, s7
	v_cmp_eq_u32_e32 vcc_lo, 0, v0
	s_and_b32 exec_lo, exec_lo, vcc_lo
; %bb.135:
	v_mov_b32_e32 v2, 0
	ds_store_b64 v2, v[4:5] offset:56
.LBB1975_136:
	s_or_b32 exec_lo, exec_lo, s3
	s_wait_dscnt 0x0
	v_dual_mov_b32 v2, 0 :: v_dual_cndmask_b32 v1, v1, v23, s2
	s_barrier_signal -1
	s_barrier_wait -1
	ds_load_b64 v[8:9], v2 offset:56
	s_wait_dscnt 0x0
	s_barrier_signal -1
	s_barrier_wait -1
	ds_load_b128 v[2:5], v2 offset:13312
	v_cndmask_b32_e64 v6, v70, v22, s2
	v_cmp_eq_u32_e32 vcc_lo, 0, v0
	s_delay_alu instid0(VALU_DEP_2) | instskip(SKIP_2) | instid1(VALU_DEP_2)
	v_dual_add_nc_u32 v1, v9, v1 :: v_dual_add_nc_u32 v7, v8, v6
	s_wait_dscnt 0x0
	v_mov_b32_e32 v6, v5
	v_dual_cndmask_b32 v1, v1, v9 :: v_dual_cndmask_b32 v22, v7, v8
	v_mov_b32_e32 v8, v3
	s_branch .LBB1975_146
.LBB1975_137:
	v_mov_b32_dpp v1, v68 row_shr:1 row_mask:0xf bank_mask:0xf
	v_mov_b32_dpp v2, v69 row_shr:1 row_mask:0xf bank_mask:0xf
	v_cmp_lt_u32_e32 vcc_lo, 3, v65
	s_delay_alu instid0(VALU_DEP_2) | instskip(NEXT) | instid1(VALU_DEP_1)
	v_dual_add_nc_u32 v1, v1, v68 :: v_dual_add_nc_u32 v2, v2, v69
	v_dual_cndmask_b32 v1, v1, v68, s1 :: v_dual_cndmask_b32 v2, v2, v69, s1
	s_mov_b32 s1, exec_lo
	s_delay_alu instid0(VALU_DEP_1) | instskip(NEXT) | instid1(VALU_DEP_2)
	v_mov_b32_dpp v3, v1 row_shr:2 row_mask:0xf bank_mask:0xf
	v_mov_b32_dpp v4, v2 row_shr:2 row_mask:0xf bank_mask:0xf
	s_delay_alu instid0(VALU_DEP_1) | instskip(NEXT) | instid1(VALU_DEP_1)
	v_dual_add_nc_u32 v3, v1, v3 :: v_dual_add_nc_u32 v4, v2, v4
	v_dual_cndmask_b32 v1, v1, v3, s0 :: v_dual_cndmask_b32 v2, v2, v4, s0
	s_delay_alu instid0(VALU_DEP_1) | instskip(NEXT) | instid1(VALU_DEP_2)
	v_mov_b32_dpp v3, v1 row_shr:4 row_mask:0xf bank_mask:0xf
	v_mov_b32_dpp v4, v2 row_shr:4 row_mask:0xf bank_mask:0xf
	s_delay_alu instid0(VALU_DEP_1) | instskip(NEXT) | instid1(VALU_DEP_1)
	v_dual_add_nc_u32 v3, v1, v3 :: v_dual_add_nc_u32 v4, v2, v4
	v_dual_cndmask_b32 v3, v1, v3 :: v_dual_cndmask_b32 v2, v2, v4
	v_cmp_lt_u32_e32 vcc_lo, 7, v65
	s_delay_alu instid0(VALU_DEP_2) | instskip(NEXT) | instid1(VALU_DEP_3)
	v_mov_b32_dpp v1, v3 row_shr:8 row_mask:0xf bank_mask:0xf
	v_mov_b32_dpp v4, v2 row_shr:8 row_mask:0xf bank_mask:0xf
	s_delay_alu instid0(VALU_DEP_1) | instskip(NEXT) | instid1(VALU_DEP_1)
	v_dual_add_nc_u32 v5, v3, v1 :: v_dual_add_nc_u32 v1, v2, v4
	v_cndmask_b32_e32 v1, v2, v1, vcc_lo
	s_delay_alu instid0(VALU_DEP_2)
	v_cndmask_b32_e32 v2, v3, v5, vcc_lo
	v_cmp_eq_u32_e32 vcc_lo, 0, v67
	ds_swizzle_b32 v4, v2 offset:swizzle(BROADCAST,32,15)
	s_wait_dscnt 0x0
	v_add_nc_u32_e32 v4, v2, v4
	ds_swizzle_b32 v3, v1 offset:swizzle(BROADCAST,32,15)
	s_wait_dscnt 0x0
	v_add_nc_u32_e32 v3, v1, v3
	v_cmpx_eq_u32_e64 v0, v66
; %bb.138:
	s_delay_alu instid0(VALU_DEP_2)
	v_dual_cndmask_b32 v6, v4, v2 :: v_dual_cndmask_b32 v7, v3, v1
	v_lshlrev_b32_e32 v5, 3, v64
	ds_store_b64 v5, v[6:7]
; %bb.139:
	s_or_b32 exec_lo, exec_lo, s1
	s_delay_alu instid0(SALU_CYCLE_1)
	s_mov_b32 s1, exec_lo
	s_wait_dscnt 0x0
	s_barrier_signal -1
	s_barrier_wait -1
	v_cmpx_gt_u32_e32 8, v0
	s_cbranch_execz .LBB1975_141
; %bb.140:
	v_dual_lshlrev_b32 v5, 3, v0 :: v_dual_bitop2_b32 v22, 7, v63 bitop3:0x40
	ds_load_b64 v[6:7], v5
	v_cmp_eq_u32_e64 s0, 0, v22
	s_wait_dscnt 0x0
	v_mov_b32_dpp v8, v6 row_shr:1 row_mask:0xf bank_mask:0xf
	v_mov_b32_dpp v9, v7 row_shr:1 row_mask:0xf bank_mask:0xf
	s_delay_alu instid0(VALU_DEP_1) | instskip(NEXT) | instid1(VALU_DEP_1)
	v_dual_add_nc_u32 v8, v8, v6 :: v_dual_add_nc_u32 v9, v9, v7
	v_dual_cndmask_b32 v6, v8, v6, s0 :: v_dual_cndmask_b32 v7, v9, v7, s0
	v_cmp_lt_u32_e64 s0, 1, v22
	s_delay_alu instid0(VALU_DEP_2) | instskip(NEXT) | instid1(VALU_DEP_3)
	v_mov_b32_dpp v8, v6 row_shr:2 row_mask:0xf bank_mask:0xf
	v_mov_b32_dpp v9, v7 row_shr:2 row_mask:0xf bank_mask:0xf
	s_delay_alu instid0(VALU_DEP_1) | instskip(NEXT) | instid1(VALU_DEP_1)
	v_dual_add_nc_u32 v8, v6, v8 :: v_dual_add_nc_u32 v9, v7, v9
	v_dual_cndmask_b32 v6, v6, v8, s0 :: v_dual_cndmask_b32 v7, v7, v9, s0
	v_cmp_lt_u32_e64 s0, 3, v22
	s_delay_alu instid0(VALU_DEP_2) | instskip(NEXT) | instid1(VALU_DEP_3)
	v_mov_b32_dpp v8, v6 row_shr:4 row_mask:0xf bank_mask:0xf
	v_mov_b32_dpp v9, v7 row_shr:4 row_mask:0xf bank_mask:0xf
	s_delay_alu instid0(VALU_DEP_1) | instskip(NEXT) | instid1(VALU_DEP_1)
	v_dual_cndmask_b32 v8, 0, v8, s0 :: v_dual_cndmask_b32 v9, 0, v9, s0
	v_dual_add_nc_u32 v6, v8, v6 :: v_dual_add_nc_u32 v7, v9, v7
	ds_store_b64 v5, v[6:7]
.LBB1975_141:
	s_or_b32 exec_lo, exec_lo, s1
	v_dual_mov_b32 v5, 0 :: v_dual_mov_b32 v6, 0
	v_mov_b32_e32 v7, 0
	s_mov_b32 s1, exec_lo
	s_wait_dscnt 0x0
	s_barrier_signal -1
	s_barrier_wait -1
	v_cmpx_lt_u32_e32 31, v0
; %bb.142:
	v_lshl_add_u32 v6, v64, 3, -8
	ds_load_b64 v[6:7], v6
; %bb.143:
	s_or_b32 exec_lo, exec_lo, s1
	v_sub_co_u32 v8, s0, v63, 1
	v_dual_cndmask_b32 v2, v4, v2 :: v_dual_cndmask_b32 v1, v3, v1
	v_cmp_eq_u32_e32 vcc_lo, 0, v0
	s_delay_alu instid0(VALU_DEP_3) | instskip(SKIP_1) | instid1(VALU_DEP_1)
	v_cmp_gt_i32_e64 s1, 0, v8
	s_wait_dscnt 0x0
	v_dual_add_nc_u32 v2, v6, v2 :: v_dual_cndmask_b32 v4, v8, v63, s1
	s_delay_alu instid0(VALU_DEP_1)
	v_dual_lshlrev_b32 v3, 2, v4 :: v_dual_add_nc_u32 v4, v7, v1
	ds_bpermute_b32 v1, v3, v2
	ds_bpermute_b32 v8, v3, v4
	ds_load_b64 v[2:3], v5 offset:56
	s_and_saveexec_b32 s1, vcc_lo
	s_cbranch_execz .LBB1975_145
; %bb.144:
	s_wait_kmcnt 0x0
	s_add_nc_u64 s[2:3], s[4:5], 0x200
	v_dual_mov_b32 v4, 2 :: v_dual_mov_b32 v5, 0
	v_mov_b64_e32 v[22:23], s[2:3]
	s_wait_dscnt 0x0
	;;#ASMSTART
	global_store_b128 v[22:23], v[2:5] off scope:SCOPE_DEV	
s_wait_storecnt 0x0
	;;#ASMEND
.LBB1975_145:
	s_or_b32 exec_lo, exec_lo, s1
	s_wait_dscnt 0x1
	v_dual_cndmask_b32 v5, v8, v7, s0 :: v_dual_cndmask_b32 v7, v1, v6, s0
	v_dual_mov_b32 v6, 0 :: v_dual_mov_b32 v4, 0
	s_wait_dscnt 0x0
	v_mov_b32_e32 v8, v3
	s_delay_alu instid0(VALU_DEP_3)
	v_cndmask_b32_e64 v1, v5, 0, vcc_lo
	v_cndmask_b32_e64 v22, v7, 0, vcc_lo
	s_barrier_signal -1
	s_barrier_wait -1
.LBB1975_146:
	s_delay_alu instid0(VALU_DEP_1) | instskip(SKIP_1) | instid1(VALU_DEP_2)
	v_dual_add_nc_u32 v62, v1, v62 :: v_dual_add_nc_u32 v70, v22, v61
	v_dual_mov_b32 v5, 0 :: v_dual_lshrrev_b32 v68, 16, v37
	v_dual_lshrrev_b32 v3, 8, v37 :: v_dual_add_nc_u32 v71, v62, v60
	s_delay_alu instid0(VALU_DEP_3) | instskip(SKIP_1) | instid1(VALU_DEP_3)
	v_dual_add_nc_u32 v59, v70, v59 :: v_dual_lshlrev_b32 v60, 1, v2
	v_dual_sub_nc_u32 v72, v22, v4 :: v_dual_sub_nc_u32 v1, v1, v6
	v_dual_add_nc_u32 v73, v71, v44 :: v_dual_bitop2_b32 v74, 1, v31 bitop3:0x40
	s_delay_alu instid0(VALU_DEP_3) | instskip(NEXT) | instid1(VALU_DEP_3)
	v_dual_add_nc_u32 v58, v59, v58 :: v_dual_bitop2_b32 v75, 1, v3 bitop3:0x40
	v_dual_add_nc_u32 v1, v1, v2 :: v_dual_sub_nc_u32 v70, v70, v4
	s_delay_alu instid0(VALU_DEP_2)
	v_dual_add_nc_u32 v57, v73, v57 :: v_dual_add_nc_u32 v76, v58, v43
	v_mov_b32_e32 v61, v5
	s_wait_kmcnt 0x0
	v_add_nc_u64_e32 v[22:23], s[28:29], v[4:5]
	v_dual_mov_b32 v3, v5 :: v_dual_mov_b32 v7, v5
	v_dual_add_nc_u32 v55, v76, v55 :: v_dual_add_nc_u32 v56, v57, v56
	v_cmp_eq_u32_e32 vcc_lo, 1, v75
	v_dual_lshrrev_b32 v69, 8, v31 :: v_dual_lshrrev_b32 v67, 16, v31
	s_delay_alu instid0(VALU_DEP_3) | instskip(NEXT) | instid1(VALU_DEP_4)
	v_dual_add_nc_u32 v53, v55, v53 :: v_dual_mov_b32 v9, v5
	v_add_nc_u32_e32 v54, v56, v54
	v_add3_u32 v5, v60, v8, v30
	s_delay_alu instid0(VALU_DEP_3) | instskip(NEXT) | instid1(VALU_DEP_3)
	v_dual_sub_nc_u32 v62, v62, v6 :: v_dual_add_nc_u32 v51, v53, v51
	v_dual_add_nc_u32 v78, v72, v1 :: v_dual_add_nc_u32 v77, v54, v42
	s_delay_alu instid0(VALU_DEP_2) | instskip(NEXT) | instid1(VALU_DEP_2)
	v_dual_sub_nc_u32 v59, v59, v4 :: v_dual_add_nc_u32 v62, v62, v2
	v_dual_add_nc_u32 v79, v51, v41 :: v_dual_sub_nc_u32 v78, v5, v78
	s_delay_alu instid0(VALU_DEP_3) | instskip(SKIP_1) | instid1(VALU_DEP_3)
	v_add_nc_u32_e32 v52, v77, v52
	v_dual_sub_nc_u32 v73, v73, v6 :: v_dual_sub_nc_u32 v58, v58, v4
	v_add_nc_u32_e32 v48, v79, v48
	s_delay_alu instid0(VALU_DEP_4) | instskip(SKIP_2) | instid1(VALU_DEP_4)
	v_dual_sub_nc_u32 v71, v71, v6 :: v_dual_cndmask_b32 v1, v78, v1, vcc_lo
	v_cmp_eq_u32_e32 vcc_lo, 1, v74
	v_add_nc_u32_e32 v50, v52, v50
	v_dual_add_nc_u32 v80, v62, v70 :: v_dual_add_nc_u32 v47, v48, v47
	v_dual_lshrrev_b32 v66, 8, v32 :: v_dual_lshrrev_b32 v65, 16, v32
	v_dual_cndmask_b32 v1, v1, v72, vcc_lo :: v_dual_add_nc_u32 v71, v71, v2
	s_delay_alu instid0(VALU_DEP_3) | instskip(NEXT) | instid1(VALU_DEP_4)
	v_dual_add_nc_u32 v49, v50, v49 :: v_dual_add_nc_u32 v46, v47, v46
	v_sub_nc_u32_e32 v74, v5, v80
	s_delay_alu instid0(VALU_DEP_3) | instskip(NEXT) | instid1(VALU_DEP_3)
	v_dual_add_nc_u32 v75, v71, v59 :: v_dual_bitop2_b32 v68, 1, v68 bitop3:0x40
	v_dual_add_nc_u32 v72, v49, v40 :: v_dual_bitop2_b32 v69, 1, v69 bitop3:0x40
	s_delay_alu instid0(VALU_DEP_3) | instskip(NEXT) | instid1(VALU_DEP_3)
	v_add_nc_u32_e32 v74, 1, v74
	v_cmp_eq_u32_e32 vcc_lo, 1, v68
	s_delay_alu instid0(VALU_DEP_3) | instskip(SKIP_1) | instid1(VALU_DEP_4)
	v_dual_sub_nc_u32 v75, v5, v75 :: v_dual_add_nc_u32 v45, v72, v45
	v_dual_add_nc_u32 v68, v73, v2 :: v_dual_bitop2_b32 v44, 1, v44 bitop3:0x40
	v_cndmask_b32_e32 v62, v74, v62, vcc_lo
	v_cmp_eq_u32_e32 vcc_lo, 1, v69
	s_delay_alu instid0(VALU_DEP_3)
	v_dual_add_nc_u32 v73, 2, v75 :: v_dual_add_nc_u32 v69, v58, v68
	v_dual_lshlrev_b32 v1, 2, v1 :: v_dual_bitop2_b32 v67, 1, v67 bitop3:0x40
	v_add_nc_u32_e32 v78, v46, v39
	v_cndmask_b32_e32 v62, v62, v70, vcc_lo
	v_cmp_eq_u32_e32 vcc_lo, 1, v44
	v_dual_sub_nc_u32 v57, v57, v6 :: v_dual_bitop2_b32 v43, 1, v43 bitop3:0x40
	ds_store_b32 v1, v20
	v_dual_lshlrev_b32 v20, 2, v62 :: v_dual_cndmask_b32 v44, v73, v71, vcc_lo
	v_cmp_eq_u32_e32 vcc_lo, 1, v67
	v_sub_nc_u32_e32 v1, v5, v69
	v_dual_lshrrev_b32 v63, 16, v33 :: v_dual_lshrrev_b32 v64, 8, v33
	ds_store_b32 v20, v21
	v_dual_cndmask_b32 v44, v44, v59, vcc_lo :: v_dual_bitop2_b32 v32, 1, v32 bitop3:0x40
	v_dual_add_nc_u32 v1, 3, v1 :: v_dual_add_nc_u32 v57, v57, v2
	v_dual_sub_nc_u32 v54, v54, v6 :: v_dual_lshrrev_b32 v25, 16, v35
	v_lshrrev_b32_e32 v27, 8, v35
	s_delay_alu instid0(VALU_DEP_4)
	v_cmp_eq_u32_e32 vcc_lo, 1, v32
	v_sub_nc_u32_e32 v56, v56, v6
	v_sub_nc_u32_e32 v32, v76, v4
	v_dual_lshrrev_b32 v26, 8, v36 :: v_dual_lshrrev_b32 v24, 16, v36
	v_cndmask_b32_e32 v1, v1, v68, vcc_lo
	v_cmp_eq_u32_e32 vcc_lo, 1, v43
	v_dual_sub_nc_u32 v55, v55, v4 :: v_dual_add_nc_u32 v56, v56, v2
	v_dual_add_nc_u32 v43, v32, v57 :: v_dual_lshlrev_b32 v21, 2, v44
	s_delay_alu instid0(VALU_DEP_4) | instskip(NEXT) | instid1(VALU_DEP_2)
	v_dual_cndmask_b32 v1, v1, v58, vcc_lo :: v_dual_bitop2_b32 v58, 1, v65 bitop3:0x40
	v_dual_add_nc_u32 v20, v55, v56 :: v_dual_sub_nc_u32 v43, v5, v43
	s_delay_alu instid0(VALU_DEP_2) | instskip(NEXT) | instid1(VALU_DEP_2)
	v_dual_lshlrev_b32 v1, 2, v1 :: v_dual_bitop2_b32 v44, 1, v66 bitop3:0x40
	v_dual_sub_nc_u32 v20, v5, v20 :: v_dual_bitop2_b32 v33, 1, v33 bitop3:0x40
	s_delay_alu instid0(VALU_DEP_3) | instskip(NEXT) | instid1(VALU_DEP_3)
	v_add_nc_u32_e32 v43, 4, v43
	v_cmp_eq_u32_e32 vcc_lo, 1, v44
	v_dual_sub_nc_u32 v53, v53, v4 :: v_dual_add_nc_u32 v54, v54, v2
	s_delay_alu instid0(VALU_DEP_4)
	v_add_nc_u32_e32 v20, 5, v20
	ds_store_b32 v21, v18
	v_cndmask_b32_e32 v43, v43, v57, vcc_lo
	v_cmp_eq_u32_e32 vcc_lo, 1, v58
	v_and_b32_e32 v44, 1, v64
	ds_store_b32 v1, v19
	v_and_b32_e32 v21, 1, v63
	v_sub_nc_u64_e32 v[30:31], s[30:31], v[2:3]
	v_dual_cndmask_b32 v20, v20, v56, vcc_lo :: v_dual_add_nc_u32 v56, v53, v54
	v_cmp_eq_u32_e32 vcc_lo, 1, v33
	v_sub_nc_u32_e32 v33, v52, v6
	s_mov_b32 s41, 0
	s_delay_alu instid0(VALU_DEP_3)
	v_dual_sub_nc_u32 v18, v5, v56 :: v_dual_bitop2_b32 v27, 1, v27 bitop3:0x40
	v_cndmask_b32_e32 v32, v43, v32, vcc_lo
	v_cmp_eq_u32_e32 vcc_lo, 1, v44
	v_add_nc_u64_e32 v[30:31], v[30:31], v[6:7]
	s_add_nc_u64 s[0:1], s[34:35], s[40:41]
	v_dual_add_nc_u32 v18, 6, v18 :: v_dual_cndmask_b32 v20, v20, v55, vcc_lo
	v_dual_lshlrev_b32 v1, 2, v32 :: v_dual_sub_nc_u32 v32, v77, v6
	s_delay_alu instid0(VALU_DEP_2)
	v_dual_lshlrev_b32 v19, 2, v20 :: v_dual_bitop2_b32 v20, 1, v42 bitop3:0x40
	v_sub_nc_u32_e32 v42, v79, v4
	ds_store_b32 v1, v16
	ds_store_b32 v19, v17
	v_cmp_eq_u32_e32 vcc_lo, 1, v20
	v_dual_sub_nc_u32 v20, v51, v4 :: v_dual_add_nc_u32 v32, v32, v2
	v_dual_add_nc_u32 v33, v33, v2 :: v_dual_bitop2_b32 v19, 1, v35 bitop3:0x40
	v_cndmask_b32_e32 v18, v18, v54, vcc_lo
	v_cmp_eq_u32_e32 vcc_lo, 1, v21
	s_delay_alu instid0(VALU_DEP_4) | instskip(NEXT) | instid1(VALU_DEP_3)
	v_add_nc_u32_e32 v21, v20, v32
	v_dual_cndmask_b32 v18, v18, v53 :: v_dual_sub_nc_u32 v35, v48, v4
	v_add_nc_u32_e32 v1, v42, v33
	s_delay_alu instid0(VALU_DEP_3) | instskip(SKIP_1) | instid1(VALU_DEP_4)
	v_dual_sub_nc_u32 v17, v5, v21 :: v_dual_sub_nc_u32 v21, v50, v6
	v_cmp_eq_u32_e32 vcc_lo, 1, v19
	v_dual_lshlrev_b32 v16, 2, v18 :: v_dual_bitop2_b32 v18, 1, v41 bitop3:0x40
	s_delay_alu instid0(VALU_DEP_4) | instskip(NEXT) | instid1(VALU_DEP_4)
	v_sub_nc_u32_e32 v1, v5, v1
	v_dual_add_nc_u32 v17, 7, v17 :: v_dual_add_nc_u32 v21, v21, v2
	ds_store_b32 v16, v14
	v_dual_add_nc_u32 v1, 8, v1 :: v_dual_cndmask_b32 v17, v17, v32, vcc_lo
	v_cmp_eq_u32_e32 vcc_lo, 1, v27
	v_dual_add_nc_u32 v27, v35, v21 :: v_dual_bitop2_b32 v19, 1, v36 bitop3:0x40
	s_delay_alu instid0(VALU_DEP_3) | instskip(SKIP_1) | instid1(VALU_DEP_3)
	v_cndmask_b32_e32 v1, v1, v33, vcc_lo
	v_cmp_eq_u32_e32 vcc_lo, 1, v18
	v_dual_sub_nc_u32 v14, v5, v27 :: v_dual_bitop2_b32 v18, 1, v25 bitop3:0x40
	v_cndmask_b32_e32 v17, v17, v20, vcc_lo
	v_cmp_eq_u32_e32 vcc_lo, 1, v19
	v_dual_sub_nc_u32 v19, v47, v4 :: v_dual_cndmask_b32 v1, v1, v42, vcc_lo
	s_delay_alu instid0(VALU_DEP_4) | instskip(NEXT) | instid1(VALU_DEP_2)
	v_cmp_eq_u32_e32 vcc_lo, 1, v18
	v_lshlrev_b32_e32 v1, 2, v1
	v_dual_lshlrev_b32 v16, 2, v17 :: v_dual_sub_nc_u32 v17, v49, v6
	ds_store_b32 v16, v15
	v_add_nc_u32_e32 v17, v17, v2
	v_add_nc_u32_e32 v14, 9, v14
	ds_store_b32 v1, v12
	v_dual_sub_nc_u32 v16, v45, v6 :: v_dual_add_nc_u32 v15, v19, v17
	v_dual_cndmask_b32 v14, v14, v21, vcc_lo :: v_dual_bitop2_b32 v20, 1, v26 bitop3:0x40
	v_sub_nc_u32_e32 v12, v72, v6
	s_delay_alu instid0(VALU_DEP_3) | instskip(NEXT) | instid1(VALU_DEP_3)
	v_add_nc_u32_e32 v16, v16, v2
	v_cmp_eq_u32_e32 vcc_lo, 1, v20
	v_sub_nc_u32_e32 v20, v78, v4
	v_cndmask_b32_e32 v1, v14, v35, vcc_lo
	v_dual_sub_nc_u32 v14, v5, v15 :: v_dual_bitop2_b32 v15, 1, v40 bitop3:0x40
	v_dual_sub_nc_u32 v18, v46, v4 :: v_dual_add_nc_u32 v12, v12, v2
	s_delay_alu instid0(VALU_DEP_2) | instskip(NEXT) | instid1(VALU_DEP_3)
	v_dual_add_nc_u32 v14, 10, v14 :: v_dual_bitop2_b32 v4, 1, v24 bitop3:0x40
	v_cmp_eq_u32_e32 vcc_lo, 1, v15
	v_add_nc_u32_e32 v15, v20, v16
	s_delay_alu instid0(VALU_DEP_4) | instskip(NEXT) | instid1(VALU_DEP_4)
	v_dual_add_nc_u32 v21, v18, v12 :: v_dual_lshlrev_b32 v1, 2, v1
	v_cndmask_b32_e32 v14, v14, v17, vcc_lo
	v_cmp_eq_u32_e32 vcc_lo, 1, v4
	s_delay_alu instid0(VALU_DEP_3) | instskip(SKIP_4) | instid1(VALU_DEP_3)
	v_dual_sub_nc_u32 v17, v5, v21 :: v_dual_sub_nc_u32 v4, v5, v15
	ds_store_b32 v1, v13
	v_dual_cndmask_b32 v14, v14, v19, vcc_lo :: v_dual_bitop2_b32 v19, 1, v34 bitop3:0x40
	v_dual_add_nc_u32 v17, 11, v17 :: v_dual_bitop2_b32 v15, 1, v39 bitop3:0x40
	v_dual_add_nc_u32 v24, 12, v4 :: v_dual_bitop2_b32 v21, 1, v38 bitop3:0x40
	v_cmp_eq_u32_e32 vcc_lo, 1, v19
	v_add_nc_u64_e32 v[4:5], v[8:9], v[60:61]
	s_delay_alu instid0(VALU_DEP_4) | instskip(SKIP_2) | instid1(VALU_DEP_4)
	v_dual_lshlrev_b32 v14, 2, v14 :: v_dual_cndmask_b32 v12, v17, v12, vcc_lo
	v_and_b32_e32 v17, 1, v37
	v_cmp_eq_u32_e32 vcc_lo, 1, v21
	v_add_nc_u64_e32 v[4:5], v[4:5], v[30:31]
	ds_store_b32 v14, v10
	v_cndmask_b32_e32 v16, v24, v16, vcc_lo
	v_cmp_eq_u32_e32 vcc_lo, 1, v15
	v_add_nc_u64_e32 v[4:5], v[4:5], v[22:23]
	v_cndmask_b32_e32 v12, v12, v18, vcc_lo
	v_cmp_eq_u32_e32 vcc_lo, 1, v17
	v_cndmask_b32_e32 v15, v16, v20, vcc_lo
	v_cmp_ne_u32_e32 vcc_lo, 1, v29
	s_delay_alu instid0(VALU_DEP_2)
	v_dual_lshlrev_b32 v10, 2, v15 :: v_dual_lshlrev_b32 v1, 2, v12
	v_lshlrev_b64_e32 v[12:13], 2, v[30:31]
	v_lshlrev_b64_e32 v[14:15], 2, v[22:23]
	s_and_b32 vcc_lo, exec_lo, vcc_lo
	ds_store_b32 v1, v11
	ds_store_b32 v10, v28
	v_sub_nc_u64_e32 v[10:11], s[0:1], v[4:5]
	v_add_nc_u64_e32 v[4:5], s[38:39], v[12:13]
	v_add_nc_u64_e32 v[12:13], s[36:37], v[14:15]
	v_add_nc_u32_e32 v14, v2, v8
	s_mov_b32 s0, -1
	s_wait_dscnt 0x0
	s_barrier_signal -1
	s_barrier_wait -1
	s_cbranch_vccz .LBB1975_150
; %bb.147:
	s_and_b32 vcc_lo, exec_lo, s0
	s_cbranch_vccnz .LBB1975_255
.LBB1975_148:
	v_cmp_eq_u32_e32 vcc_lo, 0, v0
	s_and_b32 s0, vcc_lo, s15
	s_delay_alu instid0(SALU_CYCLE_1)
	s_and_saveexec_b32 s1, s0
	s_cbranch_execnz .LBB1975_373
.LBB1975_149:
	s_sendmsg sendmsg(MSG_DEALLOC_VGPRS)
	s_endpgm
.LBB1975_150:
	s_mov_b32 s0, exec_lo
	v_cmpx_ge_u32_e64 v0, v2
	s_xor_b32 s0, exec_lo, s0
	s_cbranch_execz .LBB1975_156
; %bb.151:
	v_mov_b32_e32 v1, 0
	s_mov_b32 s1, exec_lo
	v_cmpx_ge_u32_e64 v0, v14
	s_xor_b32 s1, exec_lo, s1
	s_cbranch_execz .LBB1975_153
; %bb.152:
	v_lshlrev_b32_e32 v15, 2, v0
	v_add_nc_u64_e32 v[16:17], v[10:11], v[0:1]
	ds_load_b32 v1, v15
	v_lshlrev_b64_e32 v[16:17], 2, v[16:17]
	s_delay_alu instid0(VALU_DEP_1)
	v_sub_nc_u64_e32 v[16:17], s[26:27], v[16:17]
	s_wait_dscnt 0x0
	global_store_b32 v[16:17], v1, off offset:-4
.LBB1975_153:
	s_wait_xcnt 0x0
	s_and_not1_saveexec_b32 s1, s1
	s_cbranch_execz .LBB1975_155
; %bb.154:
	v_lshlrev_b32_e32 v1, 2, v0
	v_readfirstlane_b32 s2, v4
	v_readfirstlane_b32 s3, v5
	ds_load_b32 v1, v1
	s_wait_dscnt 0x0
	global_store_b32 v0, v1, s[2:3] scale_offset
.LBB1975_155:
	s_wait_xcnt 0x0
	s_or_b32 exec_lo, exec_lo, s1
.LBB1975_156:
	s_and_not1_saveexec_b32 s0, s0
	s_cbranch_execz .LBB1975_158
; %bb.157:
	v_lshlrev_b32_e32 v1, 2, v0
	v_readfirstlane_b32 s2, v12
	v_readfirstlane_b32 s3, v13
	ds_load_b32 v1, v1
	s_wait_dscnt 0x0
	global_store_b32 v0, v1, s[2:3] scale_offset
.LBB1975_158:
	s_wait_xcnt 0x0
	s_or_b32 exec_lo, exec_lo, s0
	v_or_b32_e32 v1, 0x100, v0
	s_mov_b32 s0, exec_lo
	s_delay_alu instid0(VALU_DEP_1)
	v_cmpx_ge_u32_e64 v1, v2
	s_xor_b32 s0, exec_lo, s0
	s_cbranch_execz .LBB1975_164
; %bb.159:
	s_mov_b32 s1, exec_lo
	v_cmpx_ge_u32_e64 v1, v14
	s_xor_b32 s1, exec_lo, s1
	s_cbranch_execz .LBB1975_161
; %bb.160:
	v_dual_mov_b32 v1, 0 :: v_dual_lshlrev_b32 v15, 2, v0
	s_delay_alu instid0(VALU_DEP_1) | instskip(SKIP_2) | instid1(VALU_DEP_1)
	v_add_nc_u64_e32 v[16:17], v[10:11], v[0:1]
	ds_load_b32 v1, v15 offset:1024
	v_lshlrev_b64_e32 v[16:17], 2, v[16:17]
	v_sub_nc_u64_e32 v[16:17], s[26:27], v[16:17]
	s_wait_dscnt 0x0
	global_store_b32 v[16:17], v1, off offset:-1028
.LBB1975_161:
	s_wait_xcnt 0x0
	s_and_not1_saveexec_b32 s1, s1
	s_cbranch_execz .LBB1975_163
; %bb.162:
	v_lshlrev_b32_e32 v1, 2, v0
	v_readfirstlane_b32 s2, v4
	v_readfirstlane_b32 s3, v5
	ds_load_b32 v1, v1 offset:1024
	s_wait_dscnt 0x0
	global_store_b32 v0, v1, s[2:3] offset:1024 scale_offset
.LBB1975_163:
	s_wait_xcnt 0x0
	s_or_b32 exec_lo, exec_lo, s1
.LBB1975_164:
	s_and_not1_saveexec_b32 s0, s0
	s_cbranch_execz .LBB1975_166
; %bb.165:
	v_lshlrev_b32_e32 v1, 2, v0
	v_readfirstlane_b32 s2, v12
	v_readfirstlane_b32 s3, v13
	ds_load_b32 v1, v1 offset:1024
	s_wait_dscnt 0x0
	global_store_b32 v0, v1, s[2:3] offset:1024 scale_offset
.LBB1975_166:
	s_wait_xcnt 0x0
	s_or_b32 exec_lo, exec_lo, s0
	v_or_b32_e32 v1, 0x200, v0
	s_mov_b32 s0, exec_lo
	s_delay_alu instid0(VALU_DEP_1)
	v_cmpx_ge_u32_e64 v1, v2
	s_xor_b32 s0, exec_lo, s0
	s_cbranch_execz .LBB1975_172
; %bb.167:
	s_mov_b32 s1, exec_lo
	v_cmpx_ge_u32_e64 v1, v14
	s_xor_b32 s1, exec_lo, s1
	s_cbranch_execz .LBB1975_169
; %bb.168:
	v_dual_mov_b32 v1, 0 :: v_dual_lshlrev_b32 v15, 2, v0
	s_delay_alu instid0(VALU_DEP_1) | instskip(SKIP_2) | instid1(VALU_DEP_1)
	v_add_nc_u64_e32 v[16:17], v[10:11], v[0:1]
	ds_load_b32 v1, v15 offset:2048
	v_lshlrev_b64_e32 v[16:17], 2, v[16:17]
	v_sub_nc_u64_e32 v[16:17], s[26:27], v[16:17]
	s_wait_dscnt 0x0
	global_store_b32 v[16:17], v1, off offset:-2052
.LBB1975_169:
	s_wait_xcnt 0x0
	s_and_not1_saveexec_b32 s1, s1
	s_cbranch_execz .LBB1975_171
; %bb.170:
	v_lshlrev_b32_e32 v1, 2, v0
	v_readfirstlane_b32 s2, v4
	v_readfirstlane_b32 s3, v5
	ds_load_b32 v1, v1 offset:2048
	s_wait_dscnt 0x0
	global_store_b32 v0, v1, s[2:3] offset:2048 scale_offset
.LBB1975_171:
	s_wait_xcnt 0x0
	s_or_b32 exec_lo, exec_lo, s1
.LBB1975_172:
	s_and_not1_saveexec_b32 s0, s0
	s_cbranch_execz .LBB1975_174
; %bb.173:
	v_lshlrev_b32_e32 v1, 2, v0
	v_readfirstlane_b32 s2, v12
	v_readfirstlane_b32 s3, v13
	ds_load_b32 v1, v1 offset:2048
	s_wait_dscnt 0x0
	global_store_b32 v0, v1, s[2:3] offset:2048 scale_offset
.LBB1975_174:
	;; [unrolled: 47-line block ×12, first 2 shown]
	s_wait_xcnt 0x0
	s_or_b32 exec_lo, exec_lo, s0
	s_branch .LBB1975_148
.LBB1975_255:
	s_mov_b32 s0, exec_lo
	v_cmpx_gt_u32_e64 s6, v0
	s_cbranch_execz .LBB1975_264
; %bb.256:
	s_mov_b32 s1, exec_lo
	v_cmpx_ge_u32_e64 v0, v2
	s_xor_b32 s1, exec_lo, s1
	s_cbranch_execz .LBB1975_262
; %bb.257:
	v_mov_b32_e32 v1, 0
	s_mov_b32 s2, exec_lo
	v_cmpx_ge_u32_e64 v0, v14
	s_xor_b32 s2, exec_lo, s2
	s_cbranch_execz .LBB1975_259
; %bb.258:
	v_lshlrev_b32_e32 v15, 2, v0
	v_add_nc_u64_e32 v[16:17], v[10:11], v[0:1]
	ds_load_b32 v1, v15
	v_lshlrev_b64_e32 v[16:17], 2, v[16:17]
	s_delay_alu instid0(VALU_DEP_1)
	v_sub_nc_u64_e32 v[16:17], s[26:27], v[16:17]
	s_wait_dscnt 0x0
	global_store_b32 v[16:17], v1, off offset:-4
.LBB1975_259:
	s_wait_xcnt 0x0
	s_and_not1_saveexec_b32 s2, s2
	s_cbranch_execz .LBB1975_261
; %bb.260:
	v_lshlrev_b32_e32 v1, 2, v0
	v_readfirstlane_b32 s4, v4
	v_readfirstlane_b32 s5, v5
	ds_load_b32 v1, v1
	s_wait_dscnt 0x0
	global_store_b32 v0, v1, s[4:5] scale_offset
.LBB1975_261:
	s_wait_xcnt 0x0
	s_or_b32 exec_lo, exec_lo, s2
.LBB1975_262:
	s_and_not1_saveexec_b32 s1, s1
	s_cbranch_execz .LBB1975_264
; %bb.263:
	v_lshlrev_b32_e32 v1, 2, v0
	v_readfirstlane_b32 s2, v12
	v_readfirstlane_b32 s3, v13
	ds_load_b32 v1, v1
	s_wait_dscnt 0x0
	global_store_b32 v0, v1, s[2:3] scale_offset
.LBB1975_264:
	s_wait_xcnt 0x0
	s_or_b32 exec_lo, exec_lo, s0
	v_or_b32_e32 v1, 0x100, v0
	s_mov_b32 s0, exec_lo
	s_delay_alu instid0(VALU_DEP_1)
	v_cmpx_gt_u32_e64 s6, v1
	s_cbranch_execz .LBB1975_273
; %bb.265:
	s_mov_b32 s1, exec_lo
	v_cmpx_ge_u32_e64 v1, v2
	s_xor_b32 s1, exec_lo, s1
	s_cbranch_execz .LBB1975_271
; %bb.266:
	s_mov_b32 s2, exec_lo
	v_cmpx_ge_u32_e64 v1, v14
	s_xor_b32 s2, exec_lo, s2
	s_cbranch_execz .LBB1975_268
; %bb.267:
	v_dual_mov_b32 v1, 0 :: v_dual_lshlrev_b32 v15, 2, v0
	s_delay_alu instid0(VALU_DEP_1) | instskip(SKIP_2) | instid1(VALU_DEP_1)
	v_add_nc_u64_e32 v[16:17], v[10:11], v[0:1]
	ds_load_b32 v1, v15 offset:1024
	v_lshlrev_b64_e32 v[16:17], 2, v[16:17]
	v_sub_nc_u64_e32 v[16:17], s[26:27], v[16:17]
	s_wait_dscnt 0x0
	global_store_b32 v[16:17], v1, off offset:-1028
.LBB1975_268:
	s_wait_xcnt 0x0
	s_and_not1_saveexec_b32 s2, s2
	s_cbranch_execz .LBB1975_270
; %bb.269:
	v_lshlrev_b32_e32 v1, 2, v0
	v_readfirstlane_b32 s4, v4
	v_readfirstlane_b32 s5, v5
	ds_load_b32 v1, v1 offset:1024
	s_wait_dscnt 0x0
	global_store_b32 v0, v1, s[4:5] offset:1024 scale_offset
.LBB1975_270:
	s_wait_xcnt 0x0
	s_or_b32 exec_lo, exec_lo, s2
.LBB1975_271:
	s_and_not1_saveexec_b32 s1, s1
	s_cbranch_execz .LBB1975_273
; %bb.272:
	v_lshlrev_b32_e32 v1, 2, v0
	v_readfirstlane_b32 s2, v12
	v_readfirstlane_b32 s3, v13
	ds_load_b32 v1, v1 offset:1024
	s_wait_dscnt 0x0
	global_store_b32 v0, v1, s[2:3] offset:1024 scale_offset
.LBB1975_273:
	s_wait_xcnt 0x0
	s_or_b32 exec_lo, exec_lo, s0
	v_or_b32_e32 v1, 0x200, v0
	s_mov_b32 s0, exec_lo
	s_delay_alu instid0(VALU_DEP_1)
	v_cmpx_gt_u32_e64 s6, v1
	s_cbranch_execz .LBB1975_282
; %bb.274:
	s_mov_b32 s1, exec_lo
	v_cmpx_ge_u32_e64 v1, v2
	s_xor_b32 s1, exec_lo, s1
	s_cbranch_execz .LBB1975_280
; %bb.275:
	s_mov_b32 s2, exec_lo
	v_cmpx_ge_u32_e64 v1, v14
	s_xor_b32 s2, exec_lo, s2
	s_cbranch_execz .LBB1975_277
; %bb.276:
	v_dual_mov_b32 v1, 0 :: v_dual_lshlrev_b32 v15, 2, v0
	s_delay_alu instid0(VALU_DEP_1) | instskip(SKIP_2) | instid1(VALU_DEP_1)
	v_add_nc_u64_e32 v[16:17], v[10:11], v[0:1]
	ds_load_b32 v1, v15 offset:2048
	v_lshlrev_b64_e32 v[16:17], 2, v[16:17]
	v_sub_nc_u64_e32 v[16:17], s[26:27], v[16:17]
	s_wait_dscnt 0x0
	global_store_b32 v[16:17], v1, off offset:-2052
.LBB1975_277:
	s_wait_xcnt 0x0
	s_and_not1_saveexec_b32 s2, s2
	s_cbranch_execz .LBB1975_279
; %bb.278:
	v_lshlrev_b32_e32 v1, 2, v0
	v_readfirstlane_b32 s4, v4
	v_readfirstlane_b32 s5, v5
	ds_load_b32 v1, v1 offset:2048
	s_wait_dscnt 0x0
	global_store_b32 v0, v1, s[4:5] offset:2048 scale_offset
.LBB1975_279:
	s_wait_xcnt 0x0
	s_or_b32 exec_lo, exec_lo, s2
.LBB1975_280:
	s_and_not1_saveexec_b32 s1, s1
	s_cbranch_execz .LBB1975_282
; %bb.281:
	v_lshlrev_b32_e32 v1, 2, v0
	v_readfirstlane_b32 s2, v12
	v_readfirstlane_b32 s3, v13
	ds_load_b32 v1, v1 offset:2048
	s_wait_dscnt 0x0
	global_store_b32 v0, v1, s[2:3] offset:2048 scale_offset
.LBB1975_282:
	;; [unrolled: 51-line block ×11, first 2 shown]
	s_wait_xcnt 0x0
	s_or_b32 exec_lo, exec_lo, s0
	v_or_b32_e32 v1, 0xc00, v0
	s_mov_b32 s0, exec_lo
	s_delay_alu instid0(VALU_DEP_1)
	v_cmpx_gt_u32_e64 s6, v1
	s_cbranch_execz .LBB1975_372
; %bb.364:
	s_mov_b32 s1, exec_lo
	v_cmpx_ge_u32_e64 v1, v2
	s_xor_b32 s1, exec_lo, s1
	s_cbranch_execz .LBB1975_370
; %bb.365:
	s_mov_b32 s2, exec_lo
	v_cmpx_ge_u32_e64 v1, v14
	s_xor_b32 s2, exec_lo, s2
	s_cbranch_execz .LBB1975_367
; %bb.366:
	v_dual_mov_b32 v1, 0 :: v_dual_lshlrev_b32 v12, 2, v0
	s_delay_alu instid0(VALU_DEP_1) | instskip(SKIP_2) | instid1(VALU_DEP_1)
	v_add_nc_u64_e32 v[4:5], v[10:11], v[0:1]
	ds_load_b32 v1, v12 offset:12288
	v_lshlrev_b64_e32 v[4:5], 2, v[4:5]
	v_sub_nc_u64_e32 v[4:5], s[26:27], v[4:5]
	s_wait_dscnt 0x0
	global_store_b32 v[4:5], v1, off offset:-12292
                                        ; implicit-def: $vgpr4_vgpr5
.LBB1975_367:
	s_wait_xcnt 0x0
	s_and_not1_saveexec_b32 s2, s2
	s_cbranch_execz .LBB1975_369
; %bb.368:
	v_lshlrev_b32_e32 v1, 2, v0
	v_readfirstlane_b32 s4, v4
	v_readfirstlane_b32 s5, v5
	ds_load_b32 v1, v1 offset:12288
	s_wait_dscnt 0x0
	global_store_b32 v0, v1, s[4:5] offset:12288 scale_offset
.LBB1975_369:
	s_wait_xcnt 0x0
	s_or_b32 exec_lo, exec_lo, s2
                                        ; implicit-def: $vgpr12_vgpr13
.LBB1975_370:
	s_and_not1_saveexec_b32 s1, s1
	s_cbranch_execz .LBB1975_372
; %bb.371:
	v_lshlrev_b32_e32 v1, 2, v0
	v_readfirstlane_b32 s2, v12
	v_readfirstlane_b32 s3, v13
	ds_load_b32 v1, v1 offset:12288
	s_wait_dscnt 0x0
	global_store_b32 v0, v1, s[2:3] offset:12288 scale_offset
.LBB1975_372:
	s_wait_xcnt 0x0
	s_or_b32 exec_lo, exec_lo, s0
	v_cmp_eq_u32_e32 vcc_lo, 0, v0
	s_and_b32 s0, vcc_lo, s15
	s_delay_alu instid0(SALU_CYCLE_1)
	s_and_saveexec_b32 s1, s0
	s_cbranch_execz .LBB1975_149
.LBB1975_373:
	v_add_nc_u64_e32 v[0:1], s[30:31], v[8:9]
	v_add_nc_u64_e32 v[2:3], v[22:23], v[2:3]
	s_delay_alu instid0(VALU_DEP_2)
	v_add_nc_u64_e32 v[4:5], v[0:1], v[6:7]
	v_mov_b32_e32 v0, 0
	global_store_b128 v0, v[2:5], s[24:25]
	s_sendmsg sendmsg(MSG_DEALLOC_VGPRS)
	s_endpgm
	.section	.rodata,"a",@progbits
	.p2align	6, 0x0
	.amdhsa_kernel _ZN7rocprim17ROCPRIM_400000_NS6detail17trampoline_kernelINS0_13select_configILj256ELj13ELNS0_17block_load_methodE3ELS4_3ELS4_3ELNS0_20block_scan_algorithmE0ELj4294967295EEENS1_25partition_config_selectorILNS1_17partition_subalgoE4EjNS0_10empty_typeEbEEZZNS1_14partition_implILS8_4ELb0ES6_15HIP_vector_typeIjLj2EENS0_17counting_iteratorIjlEEPS9_SG_NS0_5tupleIJPjSI_NS0_16reverse_iteratorISI_EEEEENSH_IJSG_SG_SG_EEES9_SI_JZNS1_25segmented_radix_sort_implINS0_14default_configELb0EPK12hip_bfloat16PSP_PKlPlN2at6native12_GLOBAL__N_18offset_tEEE10hipError_tPvRmT1_PNSt15iterator_traitsIS13_E10value_typeET2_T3_PNS14_IS19_E10value_typeET4_jRbjT5_S1F_jjP12ihipStream_tbEUljE_ZNSN_ISO_Lb0ESR_SS_SU_SV_SZ_EES10_S11_S12_S13_S17_S18_S19_S1C_S1D_jS1E_jS1F_S1F_jjS1H_bEUljE0_EEES10_S11_S12_S19_S1D_S1F_T6_T7_T9_mT8_S1H_bDpT10_ENKUlT_T0_E_clISt17integral_constantIbLb0EES1V_EEDaS1Q_S1R_EUlS1Q_E_NS1_11comp_targetILNS1_3genE0ELNS1_11target_archE4294967295ELNS1_3gpuE0ELNS1_3repE0EEENS1_30default_config_static_selectorELNS0_4arch9wavefront6targetE0EEEvS13_
		.amdhsa_group_segment_fixed_size 13328
		.amdhsa_private_segment_fixed_size 0
		.amdhsa_kernarg_size 176
		.amdhsa_user_sgpr_count 2
		.amdhsa_user_sgpr_dispatch_ptr 0
		.amdhsa_user_sgpr_queue_ptr 0
		.amdhsa_user_sgpr_kernarg_segment_ptr 1
		.amdhsa_user_sgpr_dispatch_id 0
		.amdhsa_user_sgpr_kernarg_preload_length 0
		.amdhsa_user_sgpr_kernarg_preload_offset 0
		.amdhsa_user_sgpr_private_segment_size 0
		.amdhsa_wavefront_size32 1
		.amdhsa_uses_dynamic_stack 0
		.amdhsa_enable_private_segment 0
		.amdhsa_system_sgpr_workgroup_id_x 1
		.amdhsa_system_sgpr_workgroup_id_y 0
		.amdhsa_system_sgpr_workgroup_id_z 0
		.amdhsa_system_sgpr_workgroup_info 0
		.amdhsa_system_vgpr_workitem_id 0
		.amdhsa_next_free_vgpr 81
		.amdhsa_next_free_sgpr 59
		.amdhsa_named_barrier_count 0
		.amdhsa_reserve_vcc 1
		.amdhsa_float_round_mode_32 0
		.amdhsa_float_round_mode_16_64 0
		.amdhsa_float_denorm_mode_32 3
		.amdhsa_float_denorm_mode_16_64 3
		.amdhsa_fp16_overflow 0
		.amdhsa_memory_ordered 1
		.amdhsa_forward_progress 1
		.amdhsa_inst_pref_size 139
		.amdhsa_round_robin_scheduling 0
		.amdhsa_exception_fp_ieee_invalid_op 0
		.amdhsa_exception_fp_denorm_src 0
		.amdhsa_exception_fp_ieee_div_zero 0
		.amdhsa_exception_fp_ieee_overflow 0
		.amdhsa_exception_fp_ieee_underflow 0
		.amdhsa_exception_fp_ieee_inexact 0
		.amdhsa_exception_int_div_zero 0
	.end_amdhsa_kernel
	.section	.text._ZN7rocprim17ROCPRIM_400000_NS6detail17trampoline_kernelINS0_13select_configILj256ELj13ELNS0_17block_load_methodE3ELS4_3ELS4_3ELNS0_20block_scan_algorithmE0ELj4294967295EEENS1_25partition_config_selectorILNS1_17partition_subalgoE4EjNS0_10empty_typeEbEEZZNS1_14partition_implILS8_4ELb0ES6_15HIP_vector_typeIjLj2EENS0_17counting_iteratorIjlEEPS9_SG_NS0_5tupleIJPjSI_NS0_16reverse_iteratorISI_EEEEENSH_IJSG_SG_SG_EEES9_SI_JZNS1_25segmented_radix_sort_implINS0_14default_configELb0EPK12hip_bfloat16PSP_PKlPlN2at6native12_GLOBAL__N_18offset_tEEE10hipError_tPvRmT1_PNSt15iterator_traitsIS13_E10value_typeET2_T3_PNS14_IS19_E10value_typeET4_jRbjT5_S1F_jjP12ihipStream_tbEUljE_ZNSN_ISO_Lb0ESR_SS_SU_SV_SZ_EES10_S11_S12_S13_S17_S18_S19_S1C_S1D_jS1E_jS1F_S1F_jjS1H_bEUljE0_EEES10_S11_S12_S19_S1D_S1F_T6_T7_T9_mT8_S1H_bDpT10_ENKUlT_T0_E_clISt17integral_constantIbLb0EES1V_EEDaS1Q_S1R_EUlS1Q_E_NS1_11comp_targetILNS1_3genE0ELNS1_11target_archE4294967295ELNS1_3gpuE0ELNS1_3repE0EEENS1_30default_config_static_selectorELNS0_4arch9wavefront6targetE0EEEvS13_,"axG",@progbits,_ZN7rocprim17ROCPRIM_400000_NS6detail17trampoline_kernelINS0_13select_configILj256ELj13ELNS0_17block_load_methodE3ELS4_3ELS4_3ELNS0_20block_scan_algorithmE0ELj4294967295EEENS1_25partition_config_selectorILNS1_17partition_subalgoE4EjNS0_10empty_typeEbEEZZNS1_14partition_implILS8_4ELb0ES6_15HIP_vector_typeIjLj2EENS0_17counting_iteratorIjlEEPS9_SG_NS0_5tupleIJPjSI_NS0_16reverse_iteratorISI_EEEEENSH_IJSG_SG_SG_EEES9_SI_JZNS1_25segmented_radix_sort_implINS0_14default_configELb0EPK12hip_bfloat16PSP_PKlPlN2at6native12_GLOBAL__N_18offset_tEEE10hipError_tPvRmT1_PNSt15iterator_traitsIS13_E10value_typeET2_T3_PNS14_IS19_E10value_typeET4_jRbjT5_S1F_jjP12ihipStream_tbEUljE_ZNSN_ISO_Lb0ESR_SS_SU_SV_SZ_EES10_S11_S12_S13_S17_S18_S19_S1C_S1D_jS1E_jS1F_S1F_jjS1H_bEUljE0_EEES10_S11_S12_S19_S1D_S1F_T6_T7_T9_mT8_S1H_bDpT10_ENKUlT_T0_E_clISt17integral_constantIbLb0EES1V_EEDaS1Q_S1R_EUlS1Q_E_NS1_11comp_targetILNS1_3genE0ELNS1_11target_archE4294967295ELNS1_3gpuE0ELNS1_3repE0EEENS1_30default_config_static_selectorELNS0_4arch9wavefront6targetE0EEEvS13_,comdat
.Lfunc_end1975:
	.size	_ZN7rocprim17ROCPRIM_400000_NS6detail17trampoline_kernelINS0_13select_configILj256ELj13ELNS0_17block_load_methodE3ELS4_3ELS4_3ELNS0_20block_scan_algorithmE0ELj4294967295EEENS1_25partition_config_selectorILNS1_17partition_subalgoE4EjNS0_10empty_typeEbEEZZNS1_14partition_implILS8_4ELb0ES6_15HIP_vector_typeIjLj2EENS0_17counting_iteratorIjlEEPS9_SG_NS0_5tupleIJPjSI_NS0_16reverse_iteratorISI_EEEEENSH_IJSG_SG_SG_EEES9_SI_JZNS1_25segmented_radix_sort_implINS0_14default_configELb0EPK12hip_bfloat16PSP_PKlPlN2at6native12_GLOBAL__N_18offset_tEEE10hipError_tPvRmT1_PNSt15iterator_traitsIS13_E10value_typeET2_T3_PNS14_IS19_E10value_typeET4_jRbjT5_S1F_jjP12ihipStream_tbEUljE_ZNSN_ISO_Lb0ESR_SS_SU_SV_SZ_EES10_S11_S12_S13_S17_S18_S19_S1C_S1D_jS1E_jS1F_S1F_jjS1H_bEUljE0_EEES10_S11_S12_S19_S1D_S1F_T6_T7_T9_mT8_S1H_bDpT10_ENKUlT_T0_E_clISt17integral_constantIbLb0EES1V_EEDaS1Q_S1R_EUlS1Q_E_NS1_11comp_targetILNS1_3genE0ELNS1_11target_archE4294967295ELNS1_3gpuE0ELNS1_3repE0EEENS1_30default_config_static_selectorELNS0_4arch9wavefront6targetE0EEEvS13_, .Lfunc_end1975-_ZN7rocprim17ROCPRIM_400000_NS6detail17trampoline_kernelINS0_13select_configILj256ELj13ELNS0_17block_load_methodE3ELS4_3ELS4_3ELNS0_20block_scan_algorithmE0ELj4294967295EEENS1_25partition_config_selectorILNS1_17partition_subalgoE4EjNS0_10empty_typeEbEEZZNS1_14partition_implILS8_4ELb0ES6_15HIP_vector_typeIjLj2EENS0_17counting_iteratorIjlEEPS9_SG_NS0_5tupleIJPjSI_NS0_16reverse_iteratorISI_EEEEENSH_IJSG_SG_SG_EEES9_SI_JZNS1_25segmented_radix_sort_implINS0_14default_configELb0EPK12hip_bfloat16PSP_PKlPlN2at6native12_GLOBAL__N_18offset_tEEE10hipError_tPvRmT1_PNSt15iterator_traitsIS13_E10value_typeET2_T3_PNS14_IS19_E10value_typeET4_jRbjT5_S1F_jjP12ihipStream_tbEUljE_ZNSN_ISO_Lb0ESR_SS_SU_SV_SZ_EES10_S11_S12_S13_S17_S18_S19_S1C_S1D_jS1E_jS1F_S1F_jjS1H_bEUljE0_EEES10_S11_S12_S19_S1D_S1F_T6_T7_T9_mT8_S1H_bDpT10_ENKUlT_T0_E_clISt17integral_constantIbLb0EES1V_EEDaS1Q_S1R_EUlS1Q_E_NS1_11comp_targetILNS1_3genE0ELNS1_11target_archE4294967295ELNS1_3gpuE0ELNS1_3repE0EEENS1_30default_config_static_selectorELNS0_4arch9wavefront6targetE0EEEvS13_
                                        ; -- End function
	.set _ZN7rocprim17ROCPRIM_400000_NS6detail17trampoline_kernelINS0_13select_configILj256ELj13ELNS0_17block_load_methodE3ELS4_3ELS4_3ELNS0_20block_scan_algorithmE0ELj4294967295EEENS1_25partition_config_selectorILNS1_17partition_subalgoE4EjNS0_10empty_typeEbEEZZNS1_14partition_implILS8_4ELb0ES6_15HIP_vector_typeIjLj2EENS0_17counting_iteratorIjlEEPS9_SG_NS0_5tupleIJPjSI_NS0_16reverse_iteratorISI_EEEEENSH_IJSG_SG_SG_EEES9_SI_JZNS1_25segmented_radix_sort_implINS0_14default_configELb0EPK12hip_bfloat16PSP_PKlPlN2at6native12_GLOBAL__N_18offset_tEEE10hipError_tPvRmT1_PNSt15iterator_traitsIS13_E10value_typeET2_T3_PNS14_IS19_E10value_typeET4_jRbjT5_S1F_jjP12ihipStream_tbEUljE_ZNSN_ISO_Lb0ESR_SS_SU_SV_SZ_EES10_S11_S12_S13_S17_S18_S19_S1C_S1D_jS1E_jS1F_S1F_jjS1H_bEUljE0_EEES10_S11_S12_S19_S1D_S1F_T6_T7_T9_mT8_S1H_bDpT10_ENKUlT_T0_E_clISt17integral_constantIbLb0EES1V_EEDaS1Q_S1R_EUlS1Q_E_NS1_11comp_targetILNS1_3genE0ELNS1_11target_archE4294967295ELNS1_3gpuE0ELNS1_3repE0EEENS1_30default_config_static_selectorELNS0_4arch9wavefront6targetE0EEEvS13_.num_vgpr, 81
	.set _ZN7rocprim17ROCPRIM_400000_NS6detail17trampoline_kernelINS0_13select_configILj256ELj13ELNS0_17block_load_methodE3ELS4_3ELS4_3ELNS0_20block_scan_algorithmE0ELj4294967295EEENS1_25partition_config_selectorILNS1_17partition_subalgoE4EjNS0_10empty_typeEbEEZZNS1_14partition_implILS8_4ELb0ES6_15HIP_vector_typeIjLj2EENS0_17counting_iteratorIjlEEPS9_SG_NS0_5tupleIJPjSI_NS0_16reverse_iteratorISI_EEEEENSH_IJSG_SG_SG_EEES9_SI_JZNS1_25segmented_radix_sort_implINS0_14default_configELb0EPK12hip_bfloat16PSP_PKlPlN2at6native12_GLOBAL__N_18offset_tEEE10hipError_tPvRmT1_PNSt15iterator_traitsIS13_E10value_typeET2_T3_PNS14_IS19_E10value_typeET4_jRbjT5_S1F_jjP12ihipStream_tbEUljE_ZNSN_ISO_Lb0ESR_SS_SU_SV_SZ_EES10_S11_S12_S13_S17_S18_S19_S1C_S1D_jS1E_jS1F_S1F_jjS1H_bEUljE0_EEES10_S11_S12_S19_S1D_S1F_T6_T7_T9_mT8_S1H_bDpT10_ENKUlT_T0_E_clISt17integral_constantIbLb0EES1V_EEDaS1Q_S1R_EUlS1Q_E_NS1_11comp_targetILNS1_3genE0ELNS1_11target_archE4294967295ELNS1_3gpuE0ELNS1_3repE0EEENS1_30default_config_static_selectorELNS0_4arch9wavefront6targetE0EEEvS13_.num_agpr, 0
	.set _ZN7rocprim17ROCPRIM_400000_NS6detail17trampoline_kernelINS0_13select_configILj256ELj13ELNS0_17block_load_methodE3ELS4_3ELS4_3ELNS0_20block_scan_algorithmE0ELj4294967295EEENS1_25partition_config_selectorILNS1_17partition_subalgoE4EjNS0_10empty_typeEbEEZZNS1_14partition_implILS8_4ELb0ES6_15HIP_vector_typeIjLj2EENS0_17counting_iteratorIjlEEPS9_SG_NS0_5tupleIJPjSI_NS0_16reverse_iteratorISI_EEEEENSH_IJSG_SG_SG_EEES9_SI_JZNS1_25segmented_radix_sort_implINS0_14default_configELb0EPK12hip_bfloat16PSP_PKlPlN2at6native12_GLOBAL__N_18offset_tEEE10hipError_tPvRmT1_PNSt15iterator_traitsIS13_E10value_typeET2_T3_PNS14_IS19_E10value_typeET4_jRbjT5_S1F_jjP12ihipStream_tbEUljE_ZNSN_ISO_Lb0ESR_SS_SU_SV_SZ_EES10_S11_S12_S13_S17_S18_S19_S1C_S1D_jS1E_jS1F_S1F_jjS1H_bEUljE0_EEES10_S11_S12_S19_S1D_S1F_T6_T7_T9_mT8_S1H_bDpT10_ENKUlT_T0_E_clISt17integral_constantIbLb0EES1V_EEDaS1Q_S1R_EUlS1Q_E_NS1_11comp_targetILNS1_3genE0ELNS1_11target_archE4294967295ELNS1_3gpuE0ELNS1_3repE0EEENS1_30default_config_static_selectorELNS0_4arch9wavefront6targetE0EEEvS13_.numbered_sgpr, 59
	.set _ZN7rocprim17ROCPRIM_400000_NS6detail17trampoline_kernelINS0_13select_configILj256ELj13ELNS0_17block_load_methodE3ELS4_3ELS4_3ELNS0_20block_scan_algorithmE0ELj4294967295EEENS1_25partition_config_selectorILNS1_17partition_subalgoE4EjNS0_10empty_typeEbEEZZNS1_14partition_implILS8_4ELb0ES6_15HIP_vector_typeIjLj2EENS0_17counting_iteratorIjlEEPS9_SG_NS0_5tupleIJPjSI_NS0_16reverse_iteratorISI_EEEEENSH_IJSG_SG_SG_EEES9_SI_JZNS1_25segmented_radix_sort_implINS0_14default_configELb0EPK12hip_bfloat16PSP_PKlPlN2at6native12_GLOBAL__N_18offset_tEEE10hipError_tPvRmT1_PNSt15iterator_traitsIS13_E10value_typeET2_T3_PNS14_IS19_E10value_typeET4_jRbjT5_S1F_jjP12ihipStream_tbEUljE_ZNSN_ISO_Lb0ESR_SS_SU_SV_SZ_EES10_S11_S12_S13_S17_S18_S19_S1C_S1D_jS1E_jS1F_S1F_jjS1H_bEUljE0_EEES10_S11_S12_S19_S1D_S1F_T6_T7_T9_mT8_S1H_bDpT10_ENKUlT_T0_E_clISt17integral_constantIbLb0EES1V_EEDaS1Q_S1R_EUlS1Q_E_NS1_11comp_targetILNS1_3genE0ELNS1_11target_archE4294967295ELNS1_3gpuE0ELNS1_3repE0EEENS1_30default_config_static_selectorELNS0_4arch9wavefront6targetE0EEEvS13_.num_named_barrier, 0
	.set _ZN7rocprim17ROCPRIM_400000_NS6detail17trampoline_kernelINS0_13select_configILj256ELj13ELNS0_17block_load_methodE3ELS4_3ELS4_3ELNS0_20block_scan_algorithmE0ELj4294967295EEENS1_25partition_config_selectorILNS1_17partition_subalgoE4EjNS0_10empty_typeEbEEZZNS1_14partition_implILS8_4ELb0ES6_15HIP_vector_typeIjLj2EENS0_17counting_iteratorIjlEEPS9_SG_NS0_5tupleIJPjSI_NS0_16reverse_iteratorISI_EEEEENSH_IJSG_SG_SG_EEES9_SI_JZNS1_25segmented_radix_sort_implINS0_14default_configELb0EPK12hip_bfloat16PSP_PKlPlN2at6native12_GLOBAL__N_18offset_tEEE10hipError_tPvRmT1_PNSt15iterator_traitsIS13_E10value_typeET2_T3_PNS14_IS19_E10value_typeET4_jRbjT5_S1F_jjP12ihipStream_tbEUljE_ZNSN_ISO_Lb0ESR_SS_SU_SV_SZ_EES10_S11_S12_S13_S17_S18_S19_S1C_S1D_jS1E_jS1F_S1F_jjS1H_bEUljE0_EEES10_S11_S12_S19_S1D_S1F_T6_T7_T9_mT8_S1H_bDpT10_ENKUlT_T0_E_clISt17integral_constantIbLb0EES1V_EEDaS1Q_S1R_EUlS1Q_E_NS1_11comp_targetILNS1_3genE0ELNS1_11target_archE4294967295ELNS1_3gpuE0ELNS1_3repE0EEENS1_30default_config_static_selectorELNS0_4arch9wavefront6targetE0EEEvS13_.private_seg_size, 0
	.set _ZN7rocprim17ROCPRIM_400000_NS6detail17trampoline_kernelINS0_13select_configILj256ELj13ELNS0_17block_load_methodE3ELS4_3ELS4_3ELNS0_20block_scan_algorithmE0ELj4294967295EEENS1_25partition_config_selectorILNS1_17partition_subalgoE4EjNS0_10empty_typeEbEEZZNS1_14partition_implILS8_4ELb0ES6_15HIP_vector_typeIjLj2EENS0_17counting_iteratorIjlEEPS9_SG_NS0_5tupleIJPjSI_NS0_16reverse_iteratorISI_EEEEENSH_IJSG_SG_SG_EEES9_SI_JZNS1_25segmented_radix_sort_implINS0_14default_configELb0EPK12hip_bfloat16PSP_PKlPlN2at6native12_GLOBAL__N_18offset_tEEE10hipError_tPvRmT1_PNSt15iterator_traitsIS13_E10value_typeET2_T3_PNS14_IS19_E10value_typeET4_jRbjT5_S1F_jjP12ihipStream_tbEUljE_ZNSN_ISO_Lb0ESR_SS_SU_SV_SZ_EES10_S11_S12_S13_S17_S18_S19_S1C_S1D_jS1E_jS1F_S1F_jjS1H_bEUljE0_EEES10_S11_S12_S19_S1D_S1F_T6_T7_T9_mT8_S1H_bDpT10_ENKUlT_T0_E_clISt17integral_constantIbLb0EES1V_EEDaS1Q_S1R_EUlS1Q_E_NS1_11comp_targetILNS1_3genE0ELNS1_11target_archE4294967295ELNS1_3gpuE0ELNS1_3repE0EEENS1_30default_config_static_selectorELNS0_4arch9wavefront6targetE0EEEvS13_.uses_vcc, 1
	.set _ZN7rocprim17ROCPRIM_400000_NS6detail17trampoline_kernelINS0_13select_configILj256ELj13ELNS0_17block_load_methodE3ELS4_3ELS4_3ELNS0_20block_scan_algorithmE0ELj4294967295EEENS1_25partition_config_selectorILNS1_17partition_subalgoE4EjNS0_10empty_typeEbEEZZNS1_14partition_implILS8_4ELb0ES6_15HIP_vector_typeIjLj2EENS0_17counting_iteratorIjlEEPS9_SG_NS0_5tupleIJPjSI_NS0_16reverse_iteratorISI_EEEEENSH_IJSG_SG_SG_EEES9_SI_JZNS1_25segmented_radix_sort_implINS0_14default_configELb0EPK12hip_bfloat16PSP_PKlPlN2at6native12_GLOBAL__N_18offset_tEEE10hipError_tPvRmT1_PNSt15iterator_traitsIS13_E10value_typeET2_T3_PNS14_IS19_E10value_typeET4_jRbjT5_S1F_jjP12ihipStream_tbEUljE_ZNSN_ISO_Lb0ESR_SS_SU_SV_SZ_EES10_S11_S12_S13_S17_S18_S19_S1C_S1D_jS1E_jS1F_S1F_jjS1H_bEUljE0_EEES10_S11_S12_S19_S1D_S1F_T6_T7_T9_mT8_S1H_bDpT10_ENKUlT_T0_E_clISt17integral_constantIbLb0EES1V_EEDaS1Q_S1R_EUlS1Q_E_NS1_11comp_targetILNS1_3genE0ELNS1_11target_archE4294967295ELNS1_3gpuE0ELNS1_3repE0EEENS1_30default_config_static_selectorELNS0_4arch9wavefront6targetE0EEEvS13_.uses_flat_scratch, 0
	.set _ZN7rocprim17ROCPRIM_400000_NS6detail17trampoline_kernelINS0_13select_configILj256ELj13ELNS0_17block_load_methodE3ELS4_3ELS4_3ELNS0_20block_scan_algorithmE0ELj4294967295EEENS1_25partition_config_selectorILNS1_17partition_subalgoE4EjNS0_10empty_typeEbEEZZNS1_14partition_implILS8_4ELb0ES6_15HIP_vector_typeIjLj2EENS0_17counting_iteratorIjlEEPS9_SG_NS0_5tupleIJPjSI_NS0_16reverse_iteratorISI_EEEEENSH_IJSG_SG_SG_EEES9_SI_JZNS1_25segmented_radix_sort_implINS0_14default_configELb0EPK12hip_bfloat16PSP_PKlPlN2at6native12_GLOBAL__N_18offset_tEEE10hipError_tPvRmT1_PNSt15iterator_traitsIS13_E10value_typeET2_T3_PNS14_IS19_E10value_typeET4_jRbjT5_S1F_jjP12ihipStream_tbEUljE_ZNSN_ISO_Lb0ESR_SS_SU_SV_SZ_EES10_S11_S12_S13_S17_S18_S19_S1C_S1D_jS1E_jS1F_S1F_jjS1H_bEUljE0_EEES10_S11_S12_S19_S1D_S1F_T6_T7_T9_mT8_S1H_bDpT10_ENKUlT_T0_E_clISt17integral_constantIbLb0EES1V_EEDaS1Q_S1R_EUlS1Q_E_NS1_11comp_targetILNS1_3genE0ELNS1_11target_archE4294967295ELNS1_3gpuE0ELNS1_3repE0EEENS1_30default_config_static_selectorELNS0_4arch9wavefront6targetE0EEEvS13_.has_dyn_sized_stack, 0
	.set _ZN7rocprim17ROCPRIM_400000_NS6detail17trampoline_kernelINS0_13select_configILj256ELj13ELNS0_17block_load_methodE3ELS4_3ELS4_3ELNS0_20block_scan_algorithmE0ELj4294967295EEENS1_25partition_config_selectorILNS1_17partition_subalgoE4EjNS0_10empty_typeEbEEZZNS1_14partition_implILS8_4ELb0ES6_15HIP_vector_typeIjLj2EENS0_17counting_iteratorIjlEEPS9_SG_NS0_5tupleIJPjSI_NS0_16reverse_iteratorISI_EEEEENSH_IJSG_SG_SG_EEES9_SI_JZNS1_25segmented_radix_sort_implINS0_14default_configELb0EPK12hip_bfloat16PSP_PKlPlN2at6native12_GLOBAL__N_18offset_tEEE10hipError_tPvRmT1_PNSt15iterator_traitsIS13_E10value_typeET2_T3_PNS14_IS19_E10value_typeET4_jRbjT5_S1F_jjP12ihipStream_tbEUljE_ZNSN_ISO_Lb0ESR_SS_SU_SV_SZ_EES10_S11_S12_S13_S17_S18_S19_S1C_S1D_jS1E_jS1F_S1F_jjS1H_bEUljE0_EEES10_S11_S12_S19_S1D_S1F_T6_T7_T9_mT8_S1H_bDpT10_ENKUlT_T0_E_clISt17integral_constantIbLb0EES1V_EEDaS1Q_S1R_EUlS1Q_E_NS1_11comp_targetILNS1_3genE0ELNS1_11target_archE4294967295ELNS1_3gpuE0ELNS1_3repE0EEENS1_30default_config_static_selectorELNS0_4arch9wavefront6targetE0EEEvS13_.has_recursion, 0
	.set _ZN7rocprim17ROCPRIM_400000_NS6detail17trampoline_kernelINS0_13select_configILj256ELj13ELNS0_17block_load_methodE3ELS4_3ELS4_3ELNS0_20block_scan_algorithmE0ELj4294967295EEENS1_25partition_config_selectorILNS1_17partition_subalgoE4EjNS0_10empty_typeEbEEZZNS1_14partition_implILS8_4ELb0ES6_15HIP_vector_typeIjLj2EENS0_17counting_iteratorIjlEEPS9_SG_NS0_5tupleIJPjSI_NS0_16reverse_iteratorISI_EEEEENSH_IJSG_SG_SG_EEES9_SI_JZNS1_25segmented_radix_sort_implINS0_14default_configELb0EPK12hip_bfloat16PSP_PKlPlN2at6native12_GLOBAL__N_18offset_tEEE10hipError_tPvRmT1_PNSt15iterator_traitsIS13_E10value_typeET2_T3_PNS14_IS19_E10value_typeET4_jRbjT5_S1F_jjP12ihipStream_tbEUljE_ZNSN_ISO_Lb0ESR_SS_SU_SV_SZ_EES10_S11_S12_S13_S17_S18_S19_S1C_S1D_jS1E_jS1F_S1F_jjS1H_bEUljE0_EEES10_S11_S12_S19_S1D_S1F_T6_T7_T9_mT8_S1H_bDpT10_ENKUlT_T0_E_clISt17integral_constantIbLb0EES1V_EEDaS1Q_S1R_EUlS1Q_E_NS1_11comp_targetILNS1_3genE0ELNS1_11target_archE4294967295ELNS1_3gpuE0ELNS1_3repE0EEENS1_30default_config_static_selectorELNS0_4arch9wavefront6targetE0EEEvS13_.has_indirect_call, 0
	.section	.AMDGPU.csdata,"",@progbits
; Kernel info:
; codeLenInByte = 17784
; TotalNumSgprs: 61
; NumVgprs: 81
; ScratchSize: 0
; MemoryBound: 0
; FloatMode: 240
; IeeeMode: 1
; LDSByteSize: 13328 bytes/workgroup (compile time only)
; SGPRBlocks: 0
; VGPRBlocks: 5
; NumSGPRsForWavesPerEU: 61
; NumVGPRsForWavesPerEU: 81
; NamedBarCnt: 0
; Occupancy: 10
; WaveLimiterHint : 1
; COMPUTE_PGM_RSRC2:SCRATCH_EN: 0
; COMPUTE_PGM_RSRC2:USER_SGPR: 2
; COMPUTE_PGM_RSRC2:TRAP_HANDLER: 0
; COMPUTE_PGM_RSRC2:TGID_X_EN: 1
; COMPUTE_PGM_RSRC2:TGID_Y_EN: 0
; COMPUTE_PGM_RSRC2:TGID_Z_EN: 0
; COMPUTE_PGM_RSRC2:TIDIG_COMP_CNT: 0
	.section	.text._ZN7rocprim17ROCPRIM_400000_NS6detail17trampoline_kernelINS0_13select_configILj256ELj13ELNS0_17block_load_methodE3ELS4_3ELS4_3ELNS0_20block_scan_algorithmE0ELj4294967295EEENS1_25partition_config_selectorILNS1_17partition_subalgoE4EjNS0_10empty_typeEbEEZZNS1_14partition_implILS8_4ELb0ES6_15HIP_vector_typeIjLj2EENS0_17counting_iteratorIjlEEPS9_SG_NS0_5tupleIJPjSI_NS0_16reverse_iteratorISI_EEEEENSH_IJSG_SG_SG_EEES9_SI_JZNS1_25segmented_radix_sort_implINS0_14default_configELb0EPK12hip_bfloat16PSP_PKlPlN2at6native12_GLOBAL__N_18offset_tEEE10hipError_tPvRmT1_PNSt15iterator_traitsIS13_E10value_typeET2_T3_PNS14_IS19_E10value_typeET4_jRbjT5_S1F_jjP12ihipStream_tbEUljE_ZNSN_ISO_Lb0ESR_SS_SU_SV_SZ_EES10_S11_S12_S13_S17_S18_S19_S1C_S1D_jS1E_jS1F_S1F_jjS1H_bEUljE0_EEES10_S11_S12_S19_S1D_S1F_T6_T7_T9_mT8_S1H_bDpT10_ENKUlT_T0_E_clISt17integral_constantIbLb0EES1V_EEDaS1Q_S1R_EUlS1Q_E_NS1_11comp_targetILNS1_3genE5ELNS1_11target_archE942ELNS1_3gpuE9ELNS1_3repE0EEENS1_30default_config_static_selectorELNS0_4arch9wavefront6targetE0EEEvS13_,"axG",@progbits,_ZN7rocprim17ROCPRIM_400000_NS6detail17trampoline_kernelINS0_13select_configILj256ELj13ELNS0_17block_load_methodE3ELS4_3ELS4_3ELNS0_20block_scan_algorithmE0ELj4294967295EEENS1_25partition_config_selectorILNS1_17partition_subalgoE4EjNS0_10empty_typeEbEEZZNS1_14partition_implILS8_4ELb0ES6_15HIP_vector_typeIjLj2EENS0_17counting_iteratorIjlEEPS9_SG_NS0_5tupleIJPjSI_NS0_16reverse_iteratorISI_EEEEENSH_IJSG_SG_SG_EEES9_SI_JZNS1_25segmented_radix_sort_implINS0_14default_configELb0EPK12hip_bfloat16PSP_PKlPlN2at6native12_GLOBAL__N_18offset_tEEE10hipError_tPvRmT1_PNSt15iterator_traitsIS13_E10value_typeET2_T3_PNS14_IS19_E10value_typeET4_jRbjT5_S1F_jjP12ihipStream_tbEUljE_ZNSN_ISO_Lb0ESR_SS_SU_SV_SZ_EES10_S11_S12_S13_S17_S18_S19_S1C_S1D_jS1E_jS1F_S1F_jjS1H_bEUljE0_EEES10_S11_S12_S19_S1D_S1F_T6_T7_T9_mT8_S1H_bDpT10_ENKUlT_T0_E_clISt17integral_constantIbLb0EES1V_EEDaS1Q_S1R_EUlS1Q_E_NS1_11comp_targetILNS1_3genE5ELNS1_11target_archE942ELNS1_3gpuE9ELNS1_3repE0EEENS1_30default_config_static_selectorELNS0_4arch9wavefront6targetE0EEEvS13_,comdat
	.globl	_ZN7rocprim17ROCPRIM_400000_NS6detail17trampoline_kernelINS0_13select_configILj256ELj13ELNS0_17block_load_methodE3ELS4_3ELS4_3ELNS0_20block_scan_algorithmE0ELj4294967295EEENS1_25partition_config_selectorILNS1_17partition_subalgoE4EjNS0_10empty_typeEbEEZZNS1_14partition_implILS8_4ELb0ES6_15HIP_vector_typeIjLj2EENS0_17counting_iteratorIjlEEPS9_SG_NS0_5tupleIJPjSI_NS0_16reverse_iteratorISI_EEEEENSH_IJSG_SG_SG_EEES9_SI_JZNS1_25segmented_radix_sort_implINS0_14default_configELb0EPK12hip_bfloat16PSP_PKlPlN2at6native12_GLOBAL__N_18offset_tEEE10hipError_tPvRmT1_PNSt15iterator_traitsIS13_E10value_typeET2_T3_PNS14_IS19_E10value_typeET4_jRbjT5_S1F_jjP12ihipStream_tbEUljE_ZNSN_ISO_Lb0ESR_SS_SU_SV_SZ_EES10_S11_S12_S13_S17_S18_S19_S1C_S1D_jS1E_jS1F_S1F_jjS1H_bEUljE0_EEES10_S11_S12_S19_S1D_S1F_T6_T7_T9_mT8_S1H_bDpT10_ENKUlT_T0_E_clISt17integral_constantIbLb0EES1V_EEDaS1Q_S1R_EUlS1Q_E_NS1_11comp_targetILNS1_3genE5ELNS1_11target_archE942ELNS1_3gpuE9ELNS1_3repE0EEENS1_30default_config_static_selectorELNS0_4arch9wavefront6targetE0EEEvS13_ ; -- Begin function _ZN7rocprim17ROCPRIM_400000_NS6detail17trampoline_kernelINS0_13select_configILj256ELj13ELNS0_17block_load_methodE3ELS4_3ELS4_3ELNS0_20block_scan_algorithmE0ELj4294967295EEENS1_25partition_config_selectorILNS1_17partition_subalgoE4EjNS0_10empty_typeEbEEZZNS1_14partition_implILS8_4ELb0ES6_15HIP_vector_typeIjLj2EENS0_17counting_iteratorIjlEEPS9_SG_NS0_5tupleIJPjSI_NS0_16reverse_iteratorISI_EEEEENSH_IJSG_SG_SG_EEES9_SI_JZNS1_25segmented_radix_sort_implINS0_14default_configELb0EPK12hip_bfloat16PSP_PKlPlN2at6native12_GLOBAL__N_18offset_tEEE10hipError_tPvRmT1_PNSt15iterator_traitsIS13_E10value_typeET2_T3_PNS14_IS19_E10value_typeET4_jRbjT5_S1F_jjP12ihipStream_tbEUljE_ZNSN_ISO_Lb0ESR_SS_SU_SV_SZ_EES10_S11_S12_S13_S17_S18_S19_S1C_S1D_jS1E_jS1F_S1F_jjS1H_bEUljE0_EEES10_S11_S12_S19_S1D_S1F_T6_T7_T9_mT8_S1H_bDpT10_ENKUlT_T0_E_clISt17integral_constantIbLb0EES1V_EEDaS1Q_S1R_EUlS1Q_E_NS1_11comp_targetILNS1_3genE5ELNS1_11target_archE942ELNS1_3gpuE9ELNS1_3repE0EEENS1_30default_config_static_selectorELNS0_4arch9wavefront6targetE0EEEvS13_
	.p2align	8
	.type	_ZN7rocprim17ROCPRIM_400000_NS6detail17trampoline_kernelINS0_13select_configILj256ELj13ELNS0_17block_load_methodE3ELS4_3ELS4_3ELNS0_20block_scan_algorithmE0ELj4294967295EEENS1_25partition_config_selectorILNS1_17partition_subalgoE4EjNS0_10empty_typeEbEEZZNS1_14partition_implILS8_4ELb0ES6_15HIP_vector_typeIjLj2EENS0_17counting_iteratorIjlEEPS9_SG_NS0_5tupleIJPjSI_NS0_16reverse_iteratorISI_EEEEENSH_IJSG_SG_SG_EEES9_SI_JZNS1_25segmented_radix_sort_implINS0_14default_configELb0EPK12hip_bfloat16PSP_PKlPlN2at6native12_GLOBAL__N_18offset_tEEE10hipError_tPvRmT1_PNSt15iterator_traitsIS13_E10value_typeET2_T3_PNS14_IS19_E10value_typeET4_jRbjT5_S1F_jjP12ihipStream_tbEUljE_ZNSN_ISO_Lb0ESR_SS_SU_SV_SZ_EES10_S11_S12_S13_S17_S18_S19_S1C_S1D_jS1E_jS1F_S1F_jjS1H_bEUljE0_EEES10_S11_S12_S19_S1D_S1F_T6_T7_T9_mT8_S1H_bDpT10_ENKUlT_T0_E_clISt17integral_constantIbLb0EES1V_EEDaS1Q_S1R_EUlS1Q_E_NS1_11comp_targetILNS1_3genE5ELNS1_11target_archE942ELNS1_3gpuE9ELNS1_3repE0EEENS1_30default_config_static_selectorELNS0_4arch9wavefront6targetE0EEEvS13_,@function
_ZN7rocprim17ROCPRIM_400000_NS6detail17trampoline_kernelINS0_13select_configILj256ELj13ELNS0_17block_load_methodE3ELS4_3ELS4_3ELNS0_20block_scan_algorithmE0ELj4294967295EEENS1_25partition_config_selectorILNS1_17partition_subalgoE4EjNS0_10empty_typeEbEEZZNS1_14partition_implILS8_4ELb0ES6_15HIP_vector_typeIjLj2EENS0_17counting_iteratorIjlEEPS9_SG_NS0_5tupleIJPjSI_NS0_16reverse_iteratorISI_EEEEENSH_IJSG_SG_SG_EEES9_SI_JZNS1_25segmented_radix_sort_implINS0_14default_configELb0EPK12hip_bfloat16PSP_PKlPlN2at6native12_GLOBAL__N_18offset_tEEE10hipError_tPvRmT1_PNSt15iterator_traitsIS13_E10value_typeET2_T3_PNS14_IS19_E10value_typeET4_jRbjT5_S1F_jjP12ihipStream_tbEUljE_ZNSN_ISO_Lb0ESR_SS_SU_SV_SZ_EES10_S11_S12_S13_S17_S18_S19_S1C_S1D_jS1E_jS1F_S1F_jjS1H_bEUljE0_EEES10_S11_S12_S19_S1D_S1F_T6_T7_T9_mT8_S1H_bDpT10_ENKUlT_T0_E_clISt17integral_constantIbLb0EES1V_EEDaS1Q_S1R_EUlS1Q_E_NS1_11comp_targetILNS1_3genE5ELNS1_11target_archE942ELNS1_3gpuE9ELNS1_3repE0EEENS1_30default_config_static_selectorELNS0_4arch9wavefront6targetE0EEEvS13_: ; @_ZN7rocprim17ROCPRIM_400000_NS6detail17trampoline_kernelINS0_13select_configILj256ELj13ELNS0_17block_load_methodE3ELS4_3ELS4_3ELNS0_20block_scan_algorithmE0ELj4294967295EEENS1_25partition_config_selectorILNS1_17partition_subalgoE4EjNS0_10empty_typeEbEEZZNS1_14partition_implILS8_4ELb0ES6_15HIP_vector_typeIjLj2EENS0_17counting_iteratorIjlEEPS9_SG_NS0_5tupleIJPjSI_NS0_16reverse_iteratorISI_EEEEENSH_IJSG_SG_SG_EEES9_SI_JZNS1_25segmented_radix_sort_implINS0_14default_configELb0EPK12hip_bfloat16PSP_PKlPlN2at6native12_GLOBAL__N_18offset_tEEE10hipError_tPvRmT1_PNSt15iterator_traitsIS13_E10value_typeET2_T3_PNS14_IS19_E10value_typeET4_jRbjT5_S1F_jjP12ihipStream_tbEUljE_ZNSN_ISO_Lb0ESR_SS_SU_SV_SZ_EES10_S11_S12_S13_S17_S18_S19_S1C_S1D_jS1E_jS1F_S1F_jjS1H_bEUljE0_EEES10_S11_S12_S19_S1D_S1F_T6_T7_T9_mT8_S1H_bDpT10_ENKUlT_T0_E_clISt17integral_constantIbLb0EES1V_EEDaS1Q_S1R_EUlS1Q_E_NS1_11comp_targetILNS1_3genE5ELNS1_11target_archE942ELNS1_3gpuE9ELNS1_3repE0EEENS1_30default_config_static_selectorELNS0_4arch9wavefront6targetE0EEEvS13_
; %bb.0:
	.section	.rodata,"a",@progbits
	.p2align	6, 0x0
	.amdhsa_kernel _ZN7rocprim17ROCPRIM_400000_NS6detail17trampoline_kernelINS0_13select_configILj256ELj13ELNS0_17block_load_methodE3ELS4_3ELS4_3ELNS0_20block_scan_algorithmE0ELj4294967295EEENS1_25partition_config_selectorILNS1_17partition_subalgoE4EjNS0_10empty_typeEbEEZZNS1_14partition_implILS8_4ELb0ES6_15HIP_vector_typeIjLj2EENS0_17counting_iteratorIjlEEPS9_SG_NS0_5tupleIJPjSI_NS0_16reverse_iteratorISI_EEEEENSH_IJSG_SG_SG_EEES9_SI_JZNS1_25segmented_radix_sort_implINS0_14default_configELb0EPK12hip_bfloat16PSP_PKlPlN2at6native12_GLOBAL__N_18offset_tEEE10hipError_tPvRmT1_PNSt15iterator_traitsIS13_E10value_typeET2_T3_PNS14_IS19_E10value_typeET4_jRbjT5_S1F_jjP12ihipStream_tbEUljE_ZNSN_ISO_Lb0ESR_SS_SU_SV_SZ_EES10_S11_S12_S13_S17_S18_S19_S1C_S1D_jS1E_jS1F_S1F_jjS1H_bEUljE0_EEES10_S11_S12_S19_S1D_S1F_T6_T7_T9_mT8_S1H_bDpT10_ENKUlT_T0_E_clISt17integral_constantIbLb0EES1V_EEDaS1Q_S1R_EUlS1Q_E_NS1_11comp_targetILNS1_3genE5ELNS1_11target_archE942ELNS1_3gpuE9ELNS1_3repE0EEENS1_30default_config_static_selectorELNS0_4arch9wavefront6targetE0EEEvS13_
		.amdhsa_group_segment_fixed_size 0
		.amdhsa_private_segment_fixed_size 0
		.amdhsa_kernarg_size 176
		.amdhsa_user_sgpr_count 2
		.amdhsa_user_sgpr_dispatch_ptr 0
		.amdhsa_user_sgpr_queue_ptr 0
		.amdhsa_user_sgpr_kernarg_segment_ptr 1
		.amdhsa_user_sgpr_dispatch_id 0
		.amdhsa_user_sgpr_kernarg_preload_length 0
		.amdhsa_user_sgpr_kernarg_preload_offset 0
		.amdhsa_user_sgpr_private_segment_size 0
		.amdhsa_wavefront_size32 1
		.amdhsa_uses_dynamic_stack 0
		.amdhsa_enable_private_segment 0
		.amdhsa_system_sgpr_workgroup_id_x 1
		.amdhsa_system_sgpr_workgroup_id_y 0
		.amdhsa_system_sgpr_workgroup_id_z 0
		.amdhsa_system_sgpr_workgroup_info 0
		.amdhsa_system_vgpr_workitem_id 0
		.amdhsa_next_free_vgpr 1
		.amdhsa_next_free_sgpr 1
		.amdhsa_named_barrier_count 0
		.amdhsa_reserve_vcc 0
		.amdhsa_float_round_mode_32 0
		.amdhsa_float_round_mode_16_64 0
		.amdhsa_float_denorm_mode_32 3
		.amdhsa_float_denorm_mode_16_64 3
		.amdhsa_fp16_overflow 0
		.amdhsa_memory_ordered 1
		.amdhsa_forward_progress 1
		.amdhsa_inst_pref_size 0
		.amdhsa_round_robin_scheduling 0
		.amdhsa_exception_fp_ieee_invalid_op 0
		.amdhsa_exception_fp_denorm_src 0
		.amdhsa_exception_fp_ieee_div_zero 0
		.amdhsa_exception_fp_ieee_overflow 0
		.amdhsa_exception_fp_ieee_underflow 0
		.amdhsa_exception_fp_ieee_inexact 0
		.amdhsa_exception_int_div_zero 0
	.end_amdhsa_kernel
	.section	.text._ZN7rocprim17ROCPRIM_400000_NS6detail17trampoline_kernelINS0_13select_configILj256ELj13ELNS0_17block_load_methodE3ELS4_3ELS4_3ELNS0_20block_scan_algorithmE0ELj4294967295EEENS1_25partition_config_selectorILNS1_17partition_subalgoE4EjNS0_10empty_typeEbEEZZNS1_14partition_implILS8_4ELb0ES6_15HIP_vector_typeIjLj2EENS0_17counting_iteratorIjlEEPS9_SG_NS0_5tupleIJPjSI_NS0_16reverse_iteratorISI_EEEEENSH_IJSG_SG_SG_EEES9_SI_JZNS1_25segmented_radix_sort_implINS0_14default_configELb0EPK12hip_bfloat16PSP_PKlPlN2at6native12_GLOBAL__N_18offset_tEEE10hipError_tPvRmT1_PNSt15iterator_traitsIS13_E10value_typeET2_T3_PNS14_IS19_E10value_typeET4_jRbjT5_S1F_jjP12ihipStream_tbEUljE_ZNSN_ISO_Lb0ESR_SS_SU_SV_SZ_EES10_S11_S12_S13_S17_S18_S19_S1C_S1D_jS1E_jS1F_S1F_jjS1H_bEUljE0_EEES10_S11_S12_S19_S1D_S1F_T6_T7_T9_mT8_S1H_bDpT10_ENKUlT_T0_E_clISt17integral_constantIbLb0EES1V_EEDaS1Q_S1R_EUlS1Q_E_NS1_11comp_targetILNS1_3genE5ELNS1_11target_archE942ELNS1_3gpuE9ELNS1_3repE0EEENS1_30default_config_static_selectorELNS0_4arch9wavefront6targetE0EEEvS13_,"axG",@progbits,_ZN7rocprim17ROCPRIM_400000_NS6detail17trampoline_kernelINS0_13select_configILj256ELj13ELNS0_17block_load_methodE3ELS4_3ELS4_3ELNS0_20block_scan_algorithmE0ELj4294967295EEENS1_25partition_config_selectorILNS1_17partition_subalgoE4EjNS0_10empty_typeEbEEZZNS1_14partition_implILS8_4ELb0ES6_15HIP_vector_typeIjLj2EENS0_17counting_iteratorIjlEEPS9_SG_NS0_5tupleIJPjSI_NS0_16reverse_iteratorISI_EEEEENSH_IJSG_SG_SG_EEES9_SI_JZNS1_25segmented_radix_sort_implINS0_14default_configELb0EPK12hip_bfloat16PSP_PKlPlN2at6native12_GLOBAL__N_18offset_tEEE10hipError_tPvRmT1_PNSt15iterator_traitsIS13_E10value_typeET2_T3_PNS14_IS19_E10value_typeET4_jRbjT5_S1F_jjP12ihipStream_tbEUljE_ZNSN_ISO_Lb0ESR_SS_SU_SV_SZ_EES10_S11_S12_S13_S17_S18_S19_S1C_S1D_jS1E_jS1F_S1F_jjS1H_bEUljE0_EEES10_S11_S12_S19_S1D_S1F_T6_T7_T9_mT8_S1H_bDpT10_ENKUlT_T0_E_clISt17integral_constantIbLb0EES1V_EEDaS1Q_S1R_EUlS1Q_E_NS1_11comp_targetILNS1_3genE5ELNS1_11target_archE942ELNS1_3gpuE9ELNS1_3repE0EEENS1_30default_config_static_selectorELNS0_4arch9wavefront6targetE0EEEvS13_,comdat
.Lfunc_end1976:
	.size	_ZN7rocprim17ROCPRIM_400000_NS6detail17trampoline_kernelINS0_13select_configILj256ELj13ELNS0_17block_load_methodE3ELS4_3ELS4_3ELNS0_20block_scan_algorithmE0ELj4294967295EEENS1_25partition_config_selectorILNS1_17partition_subalgoE4EjNS0_10empty_typeEbEEZZNS1_14partition_implILS8_4ELb0ES6_15HIP_vector_typeIjLj2EENS0_17counting_iteratorIjlEEPS9_SG_NS0_5tupleIJPjSI_NS0_16reverse_iteratorISI_EEEEENSH_IJSG_SG_SG_EEES9_SI_JZNS1_25segmented_radix_sort_implINS0_14default_configELb0EPK12hip_bfloat16PSP_PKlPlN2at6native12_GLOBAL__N_18offset_tEEE10hipError_tPvRmT1_PNSt15iterator_traitsIS13_E10value_typeET2_T3_PNS14_IS19_E10value_typeET4_jRbjT5_S1F_jjP12ihipStream_tbEUljE_ZNSN_ISO_Lb0ESR_SS_SU_SV_SZ_EES10_S11_S12_S13_S17_S18_S19_S1C_S1D_jS1E_jS1F_S1F_jjS1H_bEUljE0_EEES10_S11_S12_S19_S1D_S1F_T6_T7_T9_mT8_S1H_bDpT10_ENKUlT_T0_E_clISt17integral_constantIbLb0EES1V_EEDaS1Q_S1R_EUlS1Q_E_NS1_11comp_targetILNS1_3genE5ELNS1_11target_archE942ELNS1_3gpuE9ELNS1_3repE0EEENS1_30default_config_static_selectorELNS0_4arch9wavefront6targetE0EEEvS13_, .Lfunc_end1976-_ZN7rocprim17ROCPRIM_400000_NS6detail17trampoline_kernelINS0_13select_configILj256ELj13ELNS0_17block_load_methodE3ELS4_3ELS4_3ELNS0_20block_scan_algorithmE0ELj4294967295EEENS1_25partition_config_selectorILNS1_17partition_subalgoE4EjNS0_10empty_typeEbEEZZNS1_14partition_implILS8_4ELb0ES6_15HIP_vector_typeIjLj2EENS0_17counting_iteratorIjlEEPS9_SG_NS0_5tupleIJPjSI_NS0_16reverse_iteratorISI_EEEEENSH_IJSG_SG_SG_EEES9_SI_JZNS1_25segmented_radix_sort_implINS0_14default_configELb0EPK12hip_bfloat16PSP_PKlPlN2at6native12_GLOBAL__N_18offset_tEEE10hipError_tPvRmT1_PNSt15iterator_traitsIS13_E10value_typeET2_T3_PNS14_IS19_E10value_typeET4_jRbjT5_S1F_jjP12ihipStream_tbEUljE_ZNSN_ISO_Lb0ESR_SS_SU_SV_SZ_EES10_S11_S12_S13_S17_S18_S19_S1C_S1D_jS1E_jS1F_S1F_jjS1H_bEUljE0_EEES10_S11_S12_S19_S1D_S1F_T6_T7_T9_mT8_S1H_bDpT10_ENKUlT_T0_E_clISt17integral_constantIbLb0EES1V_EEDaS1Q_S1R_EUlS1Q_E_NS1_11comp_targetILNS1_3genE5ELNS1_11target_archE942ELNS1_3gpuE9ELNS1_3repE0EEENS1_30default_config_static_selectorELNS0_4arch9wavefront6targetE0EEEvS13_
                                        ; -- End function
	.set _ZN7rocprim17ROCPRIM_400000_NS6detail17trampoline_kernelINS0_13select_configILj256ELj13ELNS0_17block_load_methodE3ELS4_3ELS4_3ELNS0_20block_scan_algorithmE0ELj4294967295EEENS1_25partition_config_selectorILNS1_17partition_subalgoE4EjNS0_10empty_typeEbEEZZNS1_14partition_implILS8_4ELb0ES6_15HIP_vector_typeIjLj2EENS0_17counting_iteratorIjlEEPS9_SG_NS0_5tupleIJPjSI_NS0_16reverse_iteratorISI_EEEEENSH_IJSG_SG_SG_EEES9_SI_JZNS1_25segmented_radix_sort_implINS0_14default_configELb0EPK12hip_bfloat16PSP_PKlPlN2at6native12_GLOBAL__N_18offset_tEEE10hipError_tPvRmT1_PNSt15iterator_traitsIS13_E10value_typeET2_T3_PNS14_IS19_E10value_typeET4_jRbjT5_S1F_jjP12ihipStream_tbEUljE_ZNSN_ISO_Lb0ESR_SS_SU_SV_SZ_EES10_S11_S12_S13_S17_S18_S19_S1C_S1D_jS1E_jS1F_S1F_jjS1H_bEUljE0_EEES10_S11_S12_S19_S1D_S1F_T6_T7_T9_mT8_S1H_bDpT10_ENKUlT_T0_E_clISt17integral_constantIbLb0EES1V_EEDaS1Q_S1R_EUlS1Q_E_NS1_11comp_targetILNS1_3genE5ELNS1_11target_archE942ELNS1_3gpuE9ELNS1_3repE0EEENS1_30default_config_static_selectorELNS0_4arch9wavefront6targetE0EEEvS13_.num_vgpr, 0
	.set _ZN7rocprim17ROCPRIM_400000_NS6detail17trampoline_kernelINS0_13select_configILj256ELj13ELNS0_17block_load_methodE3ELS4_3ELS4_3ELNS0_20block_scan_algorithmE0ELj4294967295EEENS1_25partition_config_selectorILNS1_17partition_subalgoE4EjNS0_10empty_typeEbEEZZNS1_14partition_implILS8_4ELb0ES6_15HIP_vector_typeIjLj2EENS0_17counting_iteratorIjlEEPS9_SG_NS0_5tupleIJPjSI_NS0_16reverse_iteratorISI_EEEEENSH_IJSG_SG_SG_EEES9_SI_JZNS1_25segmented_radix_sort_implINS0_14default_configELb0EPK12hip_bfloat16PSP_PKlPlN2at6native12_GLOBAL__N_18offset_tEEE10hipError_tPvRmT1_PNSt15iterator_traitsIS13_E10value_typeET2_T3_PNS14_IS19_E10value_typeET4_jRbjT5_S1F_jjP12ihipStream_tbEUljE_ZNSN_ISO_Lb0ESR_SS_SU_SV_SZ_EES10_S11_S12_S13_S17_S18_S19_S1C_S1D_jS1E_jS1F_S1F_jjS1H_bEUljE0_EEES10_S11_S12_S19_S1D_S1F_T6_T7_T9_mT8_S1H_bDpT10_ENKUlT_T0_E_clISt17integral_constantIbLb0EES1V_EEDaS1Q_S1R_EUlS1Q_E_NS1_11comp_targetILNS1_3genE5ELNS1_11target_archE942ELNS1_3gpuE9ELNS1_3repE0EEENS1_30default_config_static_selectorELNS0_4arch9wavefront6targetE0EEEvS13_.num_agpr, 0
	.set _ZN7rocprim17ROCPRIM_400000_NS6detail17trampoline_kernelINS0_13select_configILj256ELj13ELNS0_17block_load_methodE3ELS4_3ELS4_3ELNS0_20block_scan_algorithmE0ELj4294967295EEENS1_25partition_config_selectorILNS1_17partition_subalgoE4EjNS0_10empty_typeEbEEZZNS1_14partition_implILS8_4ELb0ES6_15HIP_vector_typeIjLj2EENS0_17counting_iteratorIjlEEPS9_SG_NS0_5tupleIJPjSI_NS0_16reverse_iteratorISI_EEEEENSH_IJSG_SG_SG_EEES9_SI_JZNS1_25segmented_radix_sort_implINS0_14default_configELb0EPK12hip_bfloat16PSP_PKlPlN2at6native12_GLOBAL__N_18offset_tEEE10hipError_tPvRmT1_PNSt15iterator_traitsIS13_E10value_typeET2_T3_PNS14_IS19_E10value_typeET4_jRbjT5_S1F_jjP12ihipStream_tbEUljE_ZNSN_ISO_Lb0ESR_SS_SU_SV_SZ_EES10_S11_S12_S13_S17_S18_S19_S1C_S1D_jS1E_jS1F_S1F_jjS1H_bEUljE0_EEES10_S11_S12_S19_S1D_S1F_T6_T7_T9_mT8_S1H_bDpT10_ENKUlT_T0_E_clISt17integral_constantIbLb0EES1V_EEDaS1Q_S1R_EUlS1Q_E_NS1_11comp_targetILNS1_3genE5ELNS1_11target_archE942ELNS1_3gpuE9ELNS1_3repE0EEENS1_30default_config_static_selectorELNS0_4arch9wavefront6targetE0EEEvS13_.numbered_sgpr, 0
	.set _ZN7rocprim17ROCPRIM_400000_NS6detail17trampoline_kernelINS0_13select_configILj256ELj13ELNS0_17block_load_methodE3ELS4_3ELS4_3ELNS0_20block_scan_algorithmE0ELj4294967295EEENS1_25partition_config_selectorILNS1_17partition_subalgoE4EjNS0_10empty_typeEbEEZZNS1_14partition_implILS8_4ELb0ES6_15HIP_vector_typeIjLj2EENS0_17counting_iteratorIjlEEPS9_SG_NS0_5tupleIJPjSI_NS0_16reverse_iteratorISI_EEEEENSH_IJSG_SG_SG_EEES9_SI_JZNS1_25segmented_radix_sort_implINS0_14default_configELb0EPK12hip_bfloat16PSP_PKlPlN2at6native12_GLOBAL__N_18offset_tEEE10hipError_tPvRmT1_PNSt15iterator_traitsIS13_E10value_typeET2_T3_PNS14_IS19_E10value_typeET4_jRbjT5_S1F_jjP12ihipStream_tbEUljE_ZNSN_ISO_Lb0ESR_SS_SU_SV_SZ_EES10_S11_S12_S13_S17_S18_S19_S1C_S1D_jS1E_jS1F_S1F_jjS1H_bEUljE0_EEES10_S11_S12_S19_S1D_S1F_T6_T7_T9_mT8_S1H_bDpT10_ENKUlT_T0_E_clISt17integral_constantIbLb0EES1V_EEDaS1Q_S1R_EUlS1Q_E_NS1_11comp_targetILNS1_3genE5ELNS1_11target_archE942ELNS1_3gpuE9ELNS1_3repE0EEENS1_30default_config_static_selectorELNS0_4arch9wavefront6targetE0EEEvS13_.num_named_barrier, 0
	.set _ZN7rocprim17ROCPRIM_400000_NS6detail17trampoline_kernelINS0_13select_configILj256ELj13ELNS0_17block_load_methodE3ELS4_3ELS4_3ELNS0_20block_scan_algorithmE0ELj4294967295EEENS1_25partition_config_selectorILNS1_17partition_subalgoE4EjNS0_10empty_typeEbEEZZNS1_14partition_implILS8_4ELb0ES6_15HIP_vector_typeIjLj2EENS0_17counting_iteratorIjlEEPS9_SG_NS0_5tupleIJPjSI_NS0_16reverse_iteratorISI_EEEEENSH_IJSG_SG_SG_EEES9_SI_JZNS1_25segmented_radix_sort_implINS0_14default_configELb0EPK12hip_bfloat16PSP_PKlPlN2at6native12_GLOBAL__N_18offset_tEEE10hipError_tPvRmT1_PNSt15iterator_traitsIS13_E10value_typeET2_T3_PNS14_IS19_E10value_typeET4_jRbjT5_S1F_jjP12ihipStream_tbEUljE_ZNSN_ISO_Lb0ESR_SS_SU_SV_SZ_EES10_S11_S12_S13_S17_S18_S19_S1C_S1D_jS1E_jS1F_S1F_jjS1H_bEUljE0_EEES10_S11_S12_S19_S1D_S1F_T6_T7_T9_mT8_S1H_bDpT10_ENKUlT_T0_E_clISt17integral_constantIbLb0EES1V_EEDaS1Q_S1R_EUlS1Q_E_NS1_11comp_targetILNS1_3genE5ELNS1_11target_archE942ELNS1_3gpuE9ELNS1_3repE0EEENS1_30default_config_static_selectorELNS0_4arch9wavefront6targetE0EEEvS13_.private_seg_size, 0
	.set _ZN7rocprim17ROCPRIM_400000_NS6detail17trampoline_kernelINS0_13select_configILj256ELj13ELNS0_17block_load_methodE3ELS4_3ELS4_3ELNS0_20block_scan_algorithmE0ELj4294967295EEENS1_25partition_config_selectorILNS1_17partition_subalgoE4EjNS0_10empty_typeEbEEZZNS1_14partition_implILS8_4ELb0ES6_15HIP_vector_typeIjLj2EENS0_17counting_iteratorIjlEEPS9_SG_NS0_5tupleIJPjSI_NS0_16reverse_iteratorISI_EEEEENSH_IJSG_SG_SG_EEES9_SI_JZNS1_25segmented_radix_sort_implINS0_14default_configELb0EPK12hip_bfloat16PSP_PKlPlN2at6native12_GLOBAL__N_18offset_tEEE10hipError_tPvRmT1_PNSt15iterator_traitsIS13_E10value_typeET2_T3_PNS14_IS19_E10value_typeET4_jRbjT5_S1F_jjP12ihipStream_tbEUljE_ZNSN_ISO_Lb0ESR_SS_SU_SV_SZ_EES10_S11_S12_S13_S17_S18_S19_S1C_S1D_jS1E_jS1F_S1F_jjS1H_bEUljE0_EEES10_S11_S12_S19_S1D_S1F_T6_T7_T9_mT8_S1H_bDpT10_ENKUlT_T0_E_clISt17integral_constantIbLb0EES1V_EEDaS1Q_S1R_EUlS1Q_E_NS1_11comp_targetILNS1_3genE5ELNS1_11target_archE942ELNS1_3gpuE9ELNS1_3repE0EEENS1_30default_config_static_selectorELNS0_4arch9wavefront6targetE0EEEvS13_.uses_vcc, 0
	.set _ZN7rocprim17ROCPRIM_400000_NS6detail17trampoline_kernelINS0_13select_configILj256ELj13ELNS0_17block_load_methodE3ELS4_3ELS4_3ELNS0_20block_scan_algorithmE0ELj4294967295EEENS1_25partition_config_selectorILNS1_17partition_subalgoE4EjNS0_10empty_typeEbEEZZNS1_14partition_implILS8_4ELb0ES6_15HIP_vector_typeIjLj2EENS0_17counting_iteratorIjlEEPS9_SG_NS0_5tupleIJPjSI_NS0_16reverse_iteratorISI_EEEEENSH_IJSG_SG_SG_EEES9_SI_JZNS1_25segmented_radix_sort_implINS0_14default_configELb0EPK12hip_bfloat16PSP_PKlPlN2at6native12_GLOBAL__N_18offset_tEEE10hipError_tPvRmT1_PNSt15iterator_traitsIS13_E10value_typeET2_T3_PNS14_IS19_E10value_typeET4_jRbjT5_S1F_jjP12ihipStream_tbEUljE_ZNSN_ISO_Lb0ESR_SS_SU_SV_SZ_EES10_S11_S12_S13_S17_S18_S19_S1C_S1D_jS1E_jS1F_S1F_jjS1H_bEUljE0_EEES10_S11_S12_S19_S1D_S1F_T6_T7_T9_mT8_S1H_bDpT10_ENKUlT_T0_E_clISt17integral_constantIbLb0EES1V_EEDaS1Q_S1R_EUlS1Q_E_NS1_11comp_targetILNS1_3genE5ELNS1_11target_archE942ELNS1_3gpuE9ELNS1_3repE0EEENS1_30default_config_static_selectorELNS0_4arch9wavefront6targetE0EEEvS13_.uses_flat_scratch, 0
	.set _ZN7rocprim17ROCPRIM_400000_NS6detail17trampoline_kernelINS0_13select_configILj256ELj13ELNS0_17block_load_methodE3ELS4_3ELS4_3ELNS0_20block_scan_algorithmE0ELj4294967295EEENS1_25partition_config_selectorILNS1_17partition_subalgoE4EjNS0_10empty_typeEbEEZZNS1_14partition_implILS8_4ELb0ES6_15HIP_vector_typeIjLj2EENS0_17counting_iteratorIjlEEPS9_SG_NS0_5tupleIJPjSI_NS0_16reverse_iteratorISI_EEEEENSH_IJSG_SG_SG_EEES9_SI_JZNS1_25segmented_radix_sort_implINS0_14default_configELb0EPK12hip_bfloat16PSP_PKlPlN2at6native12_GLOBAL__N_18offset_tEEE10hipError_tPvRmT1_PNSt15iterator_traitsIS13_E10value_typeET2_T3_PNS14_IS19_E10value_typeET4_jRbjT5_S1F_jjP12ihipStream_tbEUljE_ZNSN_ISO_Lb0ESR_SS_SU_SV_SZ_EES10_S11_S12_S13_S17_S18_S19_S1C_S1D_jS1E_jS1F_S1F_jjS1H_bEUljE0_EEES10_S11_S12_S19_S1D_S1F_T6_T7_T9_mT8_S1H_bDpT10_ENKUlT_T0_E_clISt17integral_constantIbLb0EES1V_EEDaS1Q_S1R_EUlS1Q_E_NS1_11comp_targetILNS1_3genE5ELNS1_11target_archE942ELNS1_3gpuE9ELNS1_3repE0EEENS1_30default_config_static_selectorELNS0_4arch9wavefront6targetE0EEEvS13_.has_dyn_sized_stack, 0
	.set _ZN7rocprim17ROCPRIM_400000_NS6detail17trampoline_kernelINS0_13select_configILj256ELj13ELNS0_17block_load_methodE3ELS4_3ELS4_3ELNS0_20block_scan_algorithmE0ELj4294967295EEENS1_25partition_config_selectorILNS1_17partition_subalgoE4EjNS0_10empty_typeEbEEZZNS1_14partition_implILS8_4ELb0ES6_15HIP_vector_typeIjLj2EENS0_17counting_iteratorIjlEEPS9_SG_NS0_5tupleIJPjSI_NS0_16reverse_iteratorISI_EEEEENSH_IJSG_SG_SG_EEES9_SI_JZNS1_25segmented_radix_sort_implINS0_14default_configELb0EPK12hip_bfloat16PSP_PKlPlN2at6native12_GLOBAL__N_18offset_tEEE10hipError_tPvRmT1_PNSt15iterator_traitsIS13_E10value_typeET2_T3_PNS14_IS19_E10value_typeET4_jRbjT5_S1F_jjP12ihipStream_tbEUljE_ZNSN_ISO_Lb0ESR_SS_SU_SV_SZ_EES10_S11_S12_S13_S17_S18_S19_S1C_S1D_jS1E_jS1F_S1F_jjS1H_bEUljE0_EEES10_S11_S12_S19_S1D_S1F_T6_T7_T9_mT8_S1H_bDpT10_ENKUlT_T0_E_clISt17integral_constantIbLb0EES1V_EEDaS1Q_S1R_EUlS1Q_E_NS1_11comp_targetILNS1_3genE5ELNS1_11target_archE942ELNS1_3gpuE9ELNS1_3repE0EEENS1_30default_config_static_selectorELNS0_4arch9wavefront6targetE0EEEvS13_.has_recursion, 0
	.set _ZN7rocprim17ROCPRIM_400000_NS6detail17trampoline_kernelINS0_13select_configILj256ELj13ELNS0_17block_load_methodE3ELS4_3ELS4_3ELNS0_20block_scan_algorithmE0ELj4294967295EEENS1_25partition_config_selectorILNS1_17partition_subalgoE4EjNS0_10empty_typeEbEEZZNS1_14partition_implILS8_4ELb0ES6_15HIP_vector_typeIjLj2EENS0_17counting_iteratorIjlEEPS9_SG_NS0_5tupleIJPjSI_NS0_16reverse_iteratorISI_EEEEENSH_IJSG_SG_SG_EEES9_SI_JZNS1_25segmented_radix_sort_implINS0_14default_configELb0EPK12hip_bfloat16PSP_PKlPlN2at6native12_GLOBAL__N_18offset_tEEE10hipError_tPvRmT1_PNSt15iterator_traitsIS13_E10value_typeET2_T3_PNS14_IS19_E10value_typeET4_jRbjT5_S1F_jjP12ihipStream_tbEUljE_ZNSN_ISO_Lb0ESR_SS_SU_SV_SZ_EES10_S11_S12_S13_S17_S18_S19_S1C_S1D_jS1E_jS1F_S1F_jjS1H_bEUljE0_EEES10_S11_S12_S19_S1D_S1F_T6_T7_T9_mT8_S1H_bDpT10_ENKUlT_T0_E_clISt17integral_constantIbLb0EES1V_EEDaS1Q_S1R_EUlS1Q_E_NS1_11comp_targetILNS1_3genE5ELNS1_11target_archE942ELNS1_3gpuE9ELNS1_3repE0EEENS1_30default_config_static_selectorELNS0_4arch9wavefront6targetE0EEEvS13_.has_indirect_call, 0
	.section	.AMDGPU.csdata,"",@progbits
; Kernel info:
; codeLenInByte = 0
; TotalNumSgprs: 0
; NumVgprs: 0
; ScratchSize: 0
; MemoryBound: 0
; FloatMode: 240
; IeeeMode: 1
; LDSByteSize: 0 bytes/workgroup (compile time only)
; SGPRBlocks: 0
; VGPRBlocks: 0
; NumSGPRsForWavesPerEU: 1
; NumVGPRsForWavesPerEU: 1
; NamedBarCnt: 0
; Occupancy: 16
; WaveLimiterHint : 0
; COMPUTE_PGM_RSRC2:SCRATCH_EN: 0
; COMPUTE_PGM_RSRC2:USER_SGPR: 2
; COMPUTE_PGM_RSRC2:TRAP_HANDLER: 0
; COMPUTE_PGM_RSRC2:TGID_X_EN: 1
; COMPUTE_PGM_RSRC2:TGID_Y_EN: 0
; COMPUTE_PGM_RSRC2:TGID_Z_EN: 0
; COMPUTE_PGM_RSRC2:TIDIG_COMP_CNT: 0
	.section	.text._ZN7rocprim17ROCPRIM_400000_NS6detail17trampoline_kernelINS0_13select_configILj256ELj13ELNS0_17block_load_methodE3ELS4_3ELS4_3ELNS0_20block_scan_algorithmE0ELj4294967295EEENS1_25partition_config_selectorILNS1_17partition_subalgoE4EjNS0_10empty_typeEbEEZZNS1_14partition_implILS8_4ELb0ES6_15HIP_vector_typeIjLj2EENS0_17counting_iteratorIjlEEPS9_SG_NS0_5tupleIJPjSI_NS0_16reverse_iteratorISI_EEEEENSH_IJSG_SG_SG_EEES9_SI_JZNS1_25segmented_radix_sort_implINS0_14default_configELb0EPK12hip_bfloat16PSP_PKlPlN2at6native12_GLOBAL__N_18offset_tEEE10hipError_tPvRmT1_PNSt15iterator_traitsIS13_E10value_typeET2_T3_PNS14_IS19_E10value_typeET4_jRbjT5_S1F_jjP12ihipStream_tbEUljE_ZNSN_ISO_Lb0ESR_SS_SU_SV_SZ_EES10_S11_S12_S13_S17_S18_S19_S1C_S1D_jS1E_jS1F_S1F_jjS1H_bEUljE0_EEES10_S11_S12_S19_S1D_S1F_T6_T7_T9_mT8_S1H_bDpT10_ENKUlT_T0_E_clISt17integral_constantIbLb0EES1V_EEDaS1Q_S1R_EUlS1Q_E_NS1_11comp_targetILNS1_3genE4ELNS1_11target_archE910ELNS1_3gpuE8ELNS1_3repE0EEENS1_30default_config_static_selectorELNS0_4arch9wavefront6targetE0EEEvS13_,"axG",@progbits,_ZN7rocprim17ROCPRIM_400000_NS6detail17trampoline_kernelINS0_13select_configILj256ELj13ELNS0_17block_load_methodE3ELS4_3ELS4_3ELNS0_20block_scan_algorithmE0ELj4294967295EEENS1_25partition_config_selectorILNS1_17partition_subalgoE4EjNS0_10empty_typeEbEEZZNS1_14partition_implILS8_4ELb0ES6_15HIP_vector_typeIjLj2EENS0_17counting_iteratorIjlEEPS9_SG_NS0_5tupleIJPjSI_NS0_16reverse_iteratorISI_EEEEENSH_IJSG_SG_SG_EEES9_SI_JZNS1_25segmented_radix_sort_implINS0_14default_configELb0EPK12hip_bfloat16PSP_PKlPlN2at6native12_GLOBAL__N_18offset_tEEE10hipError_tPvRmT1_PNSt15iterator_traitsIS13_E10value_typeET2_T3_PNS14_IS19_E10value_typeET4_jRbjT5_S1F_jjP12ihipStream_tbEUljE_ZNSN_ISO_Lb0ESR_SS_SU_SV_SZ_EES10_S11_S12_S13_S17_S18_S19_S1C_S1D_jS1E_jS1F_S1F_jjS1H_bEUljE0_EEES10_S11_S12_S19_S1D_S1F_T6_T7_T9_mT8_S1H_bDpT10_ENKUlT_T0_E_clISt17integral_constantIbLb0EES1V_EEDaS1Q_S1R_EUlS1Q_E_NS1_11comp_targetILNS1_3genE4ELNS1_11target_archE910ELNS1_3gpuE8ELNS1_3repE0EEENS1_30default_config_static_selectorELNS0_4arch9wavefront6targetE0EEEvS13_,comdat
	.globl	_ZN7rocprim17ROCPRIM_400000_NS6detail17trampoline_kernelINS0_13select_configILj256ELj13ELNS0_17block_load_methodE3ELS4_3ELS4_3ELNS0_20block_scan_algorithmE0ELj4294967295EEENS1_25partition_config_selectorILNS1_17partition_subalgoE4EjNS0_10empty_typeEbEEZZNS1_14partition_implILS8_4ELb0ES6_15HIP_vector_typeIjLj2EENS0_17counting_iteratorIjlEEPS9_SG_NS0_5tupleIJPjSI_NS0_16reverse_iteratorISI_EEEEENSH_IJSG_SG_SG_EEES9_SI_JZNS1_25segmented_radix_sort_implINS0_14default_configELb0EPK12hip_bfloat16PSP_PKlPlN2at6native12_GLOBAL__N_18offset_tEEE10hipError_tPvRmT1_PNSt15iterator_traitsIS13_E10value_typeET2_T3_PNS14_IS19_E10value_typeET4_jRbjT5_S1F_jjP12ihipStream_tbEUljE_ZNSN_ISO_Lb0ESR_SS_SU_SV_SZ_EES10_S11_S12_S13_S17_S18_S19_S1C_S1D_jS1E_jS1F_S1F_jjS1H_bEUljE0_EEES10_S11_S12_S19_S1D_S1F_T6_T7_T9_mT8_S1H_bDpT10_ENKUlT_T0_E_clISt17integral_constantIbLb0EES1V_EEDaS1Q_S1R_EUlS1Q_E_NS1_11comp_targetILNS1_3genE4ELNS1_11target_archE910ELNS1_3gpuE8ELNS1_3repE0EEENS1_30default_config_static_selectorELNS0_4arch9wavefront6targetE0EEEvS13_ ; -- Begin function _ZN7rocprim17ROCPRIM_400000_NS6detail17trampoline_kernelINS0_13select_configILj256ELj13ELNS0_17block_load_methodE3ELS4_3ELS4_3ELNS0_20block_scan_algorithmE0ELj4294967295EEENS1_25partition_config_selectorILNS1_17partition_subalgoE4EjNS0_10empty_typeEbEEZZNS1_14partition_implILS8_4ELb0ES6_15HIP_vector_typeIjLj2EENS0_17counting_iteratorIjlEEPS9_SG_NS0_5tupleIJPjSI_NS0_16reverse_iteratorISI_EEEEENSH_IJSG_SG_SG_EEES9_SI_JZNS1_25segmented_radix_sort_implINS0_14default_configELb0EPK12hip_bfloat16PSP_PKlPlN2at6native12_GLOBAL__N_18offset_tEEE10hipError_tPvRmT1_PNSt15iterator_traitsIS13_E10value_typeET2_T3_PNS14_IS19_E10value_typeET4_jRbjT5_S1F_jjP12ihipStream_tbEUljE_ZNSN_ISO_Lb0ESR_SS_SU_SV_SZ_EES10_S11_S12_S13_S17_S18_S19_S1C_S1D_jS1E_jS1F_S1F_jjS1H_bEUljE0_EEES10_S11_S12_S19_S1D_S1F_T6_T7_T9_mT8_S1H_bDpT10_ENKUlT_T0_E_clISt17integral_constantIbLb0EES1V_EEDaS1Q_S1R_EUlS1Q_E_NS1_11comp_targetILNS1_3genE4ELNS1_11target_archE910ELNS1_3gpuE8ELNS1_3repE0EEENS1_30default_config_static_selectorELNS0_4arch9wavefront6targetE0EEEvS13_
	.p2align	8
	.type	_ZN7rocprim17ROCPRIM_400000_NS6detail17trampoline_kernelINS0_13select_configILj256ELj13ELNS0_17block_load_methodE3ELS4_3ELS4_3ELNS0_20block_scan_algorithmE0ELj4294967295EEENS1_25partition_config_selectorILNS1_17partition_subalgoE4EjNS0_10empty_typeEbEEZZNS1_14partition_implILS8_4ELb0ES6_15HIP_vector_typeIjLj2EENS0_17counting_iteratorIjlEEPS9_SG_NS0_5tupleIJPjSI_NS0_16reverse_iteratorISI_EEEEENSH_IJSG_SG_SG_EEES9_SI_JZNS1_25segmented_radix_sort_implINS0_14default_configELb0EPK12hip_bfloat16PSP_PKlPlN2at6native12_GLOBAL__N_18offset_tEEE10hipError_tPvRmT1_PNSt15iterator_traitsIS13_E10value_typeET2_T3_PNS14_IS19_E10value_typeET4_jRbjT5_S1F_jjP12ihipStream_tbEUljE_ZNSN_ISO_Lb0ESR_SS_SU_SV_SZ_EES10_S11_S12_S13_S17_S18_S19_S1C_S1D_jS1E_jS1F_S1F_jjS1H_bEUljE0_EEES10_S11_S12_S19_S1D_S1F_T6_T7_T9_mT8_S1H_bDpT10_ENKUlT_T0_E_clISt17integral_constantIbLb0EES1V_EEDaS1Q_S1R_EUlS1Q_E_NS1_11comp_targetILNS1_3genE4ELNS1_11target_archE910ELNS1_3gpuE8ELNS1_3repE0EEENS1_30default_config_static_selectorELNS0_4arch9wavefront6targetE0EEEvS13_,@function
_ZN7rocprim17ROCPRIM_400000_NS6detail17trampoline_kernelINS0_13select_configILj256ELj13ELNS0_17block_load_methodE3ELS4_3ELS4_3ELNS0_20block_scan_algorithmE0ELj4294967295EEENS1_25partition_config_selectorILNS1_17partition_subalgoE4EjNS0_10empty_typeEbEEZZNS1_14partition_implILS8_4ELb0ES6_15HIP_vector_typeIjLj2EENS0_17counting_iteratorIjlEEPS9_SG_NS0_5tupleIJPjSI_NS0_16reverse_iteratorISI_EEEEENSH_IJSG_SG_SG_EEES9_SI_JZNS1_25segmented_radix_sort_implINS0_14default_configELb0EPK12hip_bfloat16PSP_PKlPlN2at6native12_GLOBAL__N_18offset_tEEE10hipError_tPvRmT1_PNSt15iterator_traitsIS13_E10value_typeET2_T3_PNS14_IS19_E10value_typeET4_jRbjT5_S1F_jjP12ihipStream_tbEUljE_ZNSN_ISO_Lb0ESR_SS_SU_SV_SZ_EES10_S11_S12_S13_S17_S18_S19_S1C_S1D_jS1E_jS1F_S1F_jjS1H_bEUljE0_EEES10_S11_S12_S19_S1D_S1F_T6_T7_T9_mT8_S1H_bDpT10_ENKUlT_T0_E_clISt17integral_constantIbLb0EES1V_EEDaS1Q_S1R_EUlS1Q_E_NS1_11comp_targetILNS1_3genE4ELNS1_11target_archE910ELNS1_3gpuE8ELNS1_3repE0EEENS1_30default_config_static_selectorELNS0_4arch9wavefront6targetE0EEEvS13_: ; @_ZN7rocprim17ROCPRIM_400000_NS6detail17trampoline_kernelINS0_13select_configILj256ELj13ELNS0_17block_load_methodE3ELS4_3ELS4_3ELNS0_20block_scan_algorithmE0ELj4294967295EEENS1_25partition_config_selectorILNS1_17partition_subalgoE4EjNS0_10empty_typeEbEEZZNS1_14partition_implILS8_4ELb0ES6_15HIP_vector_typeIjLj2EENS0_17counting_iteratorIjlEEPS9_SG_NS0_5tupleIJPjSI_NS0_16reverse_iteratorISI_EEEEENSH_IJSG_SG_SG_EEES9_SI_JZNS1_25segmented_radix_sort_implINS0_14default_configELb0EPK12hip_bfloat16PSP_PKlPlN2at6native12_GLOBAL__N_18offset_tEEE10hipError_tPvRmT1_PNSt15iterator_traitsIS13_E10value_typeET2_T3_PNS14_IS19_E10value_typeET4_jRbjT5_S1F_jjP12ihipStream_tbEUljE_ZNSN_ISO_Lb0ESR_SS_SU_SV_SZ_EES10_S11_S12_S13_S17_S18_S19_S1C_S1D_jS1E_jS1F_S1F_jjS1H_bEUljE0_EEES10_S11_S12_S19_S1D_S1F_T6_T7_T9_mT8_S1H_bDpT10_ENKUlT_T0_E_clISt17integral_constantIbLb0EES1V_EEDaS1Q_S1R_EUlS1Q_E_NS1_11comp_targetILNS1_3genE4ELNS1_11target_archE910ELNS1_3gpuE8ELNS1_3repE0EEENS1_30default_config_static_selectorELNS0_4arch9wavefront6targetE0EEEvS13_
; %bb.0:
	.section	.rodata,"a",@progbits
	.p2align	6, 0x0
	.amdhsa_kernel _ZN7rocprim17ROCPRIM_400000_NS6detail17trampoline_kernelINS0_13select_configILj256ELj13ELNS0_17block_load_methodE3ELS4_3ELS4_3ELNS0_20block_scan_algorithmE0ELj4294967295EEENS1_25partition_config_selectorILNS1_17partition_subalgoE4EjNS0_10empty_typeEbEEZZNS1_14partition_implILS8_4ELb0ES6_15HIP_vector_typeIjLj2EENS0_17counting_iteratorIjlEEPS9_SG_NS0_5tupleIJPjSI_NS0_16reverse_iteratorISI_EEEEENSH_IJSG_SG_SG_EEES9_SI_JZNS1_25segmented_radix_sort_implINS0_14default_configELb0EPK12hip_bfloat16PSP_PKlPlN2at6native12_GLOBAL__N_18offset_tEEE10hipError_tPvRmT1_PNSt15iterator_traitsIS13_E10value_typeET2_T3_PNS14_IS19_E10value_typeET4_jRbjT5_S1F_jjP12ihipStream_tbEUljE_ZNSN_ISO_Lb0ESR_SS_SU_SV_SZ_EES10_S11_S12_S13_S17_S18_S19_S1C_S1D_jS1E_jS1F_S1F_jjS1H_bEUljE0_EEES10_S11_S12_S19_S1D_S1F_T6_T7_T9_mT8_S1H_bDpT10_ENKUlT_T0_E_clISt17integral_constantIbLb0EES1V_EEDaS1Q_S1R_EUlS1Q_E_NS1_11comp_targetILNS1_3genE4ELNS1_11target_archE910ELNS1_3gpuE8ELNS1_3repE0EEENS1_30default_config_static_selectorELNS0_4arch9wavefront6targetE0EEEvS13_
		.amdhsa_group_segment_fixed_size 0
		.amdhsa_private_segment_fixed_size 0
		.amdhsa_kernarg_size 176
		.amdhsa_user_sgpr_count 2
		.amdhsa_user_sgpr_dispatch_ptr 0
		.amdhsa_user_sgpr_queue_ptr 0
		.amdhsa_user_sgpr_kernarg_segment_ptr 1
		.amdhsa_user_sgpr_dispatch_id 0
		.amdhsa_user_sgpr_kernarg_preload_length 0
		.amdhsa_user_sgpr_kernarg_preload_offset 0
		.amdhsa_user_sgpr_private_segment_size 0
		.amdhsa_wavefront_size32 1
		.amdhsa_uses_dynamic_stack 0
		.amdhsa_enable_private_segment 0
		.amdhsa_system_sgpr_workgroup_id_x 1
		.amdhsa_system_sgpr_workgroup_id_y 0
		.amdhsa_system_sgpr_workgroup_id_z 0
		.amdhsa_system_sgpr_workgroup_info 0
		.amdhsa_system_vgpr_workitem_id 0
		.amdhsa_next_free_vgpr 1
		.amdhsa_next_free_sgpr 1
		.amdhsa_named_barrier_count 0
		.amdhsa_reserve_vcc 0
		.amdhsa_float_round_mode_32 0
		.amdhsa_float_round_mode_16_64 0
		.amdhsa_float_denorm_mode_32 3
		.amdhsa_float_denorm_mode_16_64 3
		.amdhsa_fp16_overflow 0
		.amdhsa_memory_ordered 1
		.amdhsa_forward_progress 1
		.amdhsa_inst_pref_size 0
		.amdhsa_round_robin_scheduling 0
		.amdhsa_exception_fp_ieee_invalid_op 0
		.amdhsa_exception_fp_denorm_src 0
		.amdhsa_exception_fp_ieee_div_zero 0
		.amdhsa_exception_fp_ieee_overflow 0
		.amdhsa_exception_fp_ieee_underflow 0
		.amdhsa_exception_fp_ieee_inexact 0
		.amdhsa_exception_int_div_zero 0
	.end_amdhsa_kernel
	.section	.text._ZN7rocprim17ROCPRIM_400000_NS6detail17trampoline_kernelINS0_13select_configILj256ELj13ELNS0_17block_load_methodE3ELS4_3ELS4_3ELNS0_20block_scan_algorithmE0ELj4294967295EEENS1_25partition_config_selectorILNS1_17partition_subalgoE4EjNS0_10empty_typeEbEEZZNS1_14partition_implILS8_4ELb0ES6_15HIP_vector_typeIjLj2EENS0_17counting_iteratorIjlEEPS9_SG_NS0_5tupleIJPjSI_NS0_16reverse_iteratorISI_EEEEENSH_IJSG_SG_SG_EEES9_SI_JZNS1_25segmented_radix_sort_implINS0_14default_configELb0EPK12hip_bfloat16PSP_PKlPlN2at6native12_GLOBAL__N_18offset_tEEE10hipError_tPvRmT1_PNSt15iterator_traitsIS13_E10value_typeET2_T3_PNS14_IS19_E10value_typeET4_jRbjT5_S1F_jjP12ihipStream_tbEUljE_ZNSN_ISO_Lb0ESR_SS_SU_SV_SZ_EES10_S11_S12_S13_S17_S18_S19_S1C_S1D_jS1E_jS1F_S1F_jjS1H_bEUljE0_EEES10_S11_S12_S19_S1D_S1F_T6_T7_T9_mT8_S1H_bDpT10_ENKUlT_T0_E_clISt17integral_constantIbLb0EES1V_EEDaS1Q_S1R_EUlS1Q_E_NS1_11comp_targetILNS1_3genE4ELNS1_11target_archE910ELNS1_3gpuE8ELNS1_3repE0EEENS1_30default_config_static_selectorELNS0_4arch9wavefront6targetE0EEEvS13_,"axG",@progbits,_ZN7rocprim17ROCPRIM_400000_NS6detail17trampoline_kernelINS0_13select_configILj256ELj13ELNS0_17block_load_methodE3ELS4_3ELS4_3ELNS0_20block_scan_algorithmE0ELj4294967295EEENS1_25partition_config_selectorILNS1_17partition_subalgoE4EjNS0_10empty_typeEbEEZZNS1_14partition_implILS8_4ELb0ES6_15HIP_vector_typeIjLj2EENS0_17counting_iteratorIjlEEPS9_SG_NS0_5tupleIJPjSI_NS0_16reverse_iteratorISI_EEEEENSH_IJSG_SG_SG_EEES9_SI_JZNS1_25segmented_radix_sort_implINS0_14default_configELb0EPK12hip_bfloat16PSP_PKlPlN2at6native12_GLOBAL__N_18offset_tEEE10hipError_tPvRmT1_PNSt15iterator_traitsIS13_E10value_typeET2_T3_PNS14_IS19_E10value_typeET4_jRbjT5_S1F_jjP12ihipStream_tbEUljE_ZNSN_ISO_Lb0ESR_SS_SU_SV_SZ_EES10_S11_S12_S13_S17_S18_S19_S1C_S1D_jS1E_jS1F_S1F_jjS1H_bEUljE0_EEES10_S11_S12_S19_S1D_S1F_T6_T7_T9_mT8_S1H_bDpT10_ENKUlT_T0_E_clISt17integral_constantIbLb0EES1V_EEDaS1Q_S1R_EUlS1Q_E_NS1_11comp_targetILNS1_3genE4ELNS1_11target_archE910ELNS1_3gpuE8ELNS1_3repE0EEENS1_30default_config_static_selectorELNS0_4arch9wavefront6targetE0EEEvS13_,comdat
.Lfunc_end1977:
	.size	_ZN7rocprim17ROCPRIM_400000_NS6detail17trampoline_kernelINS0_13select_configILj256ELj13ELNS0_17block_load_methodE3ELS4_3ELS4_3ELNS0_20block_scan_algorithmE0ELj4294967295EEENS1_25partition_config_selectorILNS1_17partition_subalgoE4EjNS0_10empty_typeEbEEZZNS1_14partition_implILS8_4ELb0ES6_15HIP_vector_typeIjLj2EENS0_17counting_iteratorIjlEEPS9_SG_NS0_5tupleIJPjSI_NS0_16reverse_iteratorISI_EEEEENSH_IJSG_SG_SG_EEES9_SI_JZNS1_25segmented_radix_sort_implINS0_14default_configELb0EPK12hip_bfloat16PSP_PKlPlN2at6native12_GLOBAL__N_18offset_tEEE10hipError_tPvRmT1_PNSt15iterator_traitsIS13_E10value_typeET2_T3_PNS14_IS19_E10value_typeET4_jRbjT5_S1F_jjP12ihipStream_tbEUljE_ZNSN_ISO_Lb0ESR_SS_SU_SV_SZ_EES10_S11_S12_S13_S17_S18_S19_S1C_S1D_jS1E_jS1F_S1F_jjS1H_bEUljE0_EEES10_S11_S12_S19_S1D_S1F_T6_T7_T9_mT8_S1H_bDpT10_ENKUlT_T0_E_clISt17integral_constantIbLb0EES1V_EEDaS1Q_S1R_EUlS1Q_E_NS1_11comp_targetILNS1_3genE4ELNS1_11target_archE910ELNS1_3gpuE8ELNS1_3repE0EEENS1_30default_config_static_selectorELNS0_4arch9wavefront6targetE0EEEvS13_, .Lfunc_end1977-_ZN7rocprim17ROCPRIM_400000_NS6detail17trampoline_kernelINS0_13select_configILj256ELj13ELNS0_17block_load_methodE3ELS4_3ELS4_3ELNS0_20block_scan_algorithmE0ELj4294967295EEENS1_25partition_config_selectorILNS1_17partition_subalgoE4EjNS0_10empty_typeEbEEZZNS1_14partition_implILS8_4ELb0ES6_15HIP_vector_typeIjLj2EENS0_17counting_iteratorIjlEEPS9_SG_NS0_5tupleIJPjSI_NS0_16reverse_iteratorISI_EEEEENSH_IJSG_SG_SG_EEES9_SI_JZNS1_25segmented_radix_sort_implINS0_14default_configELb0EPK12hip_bfloat16PSP_PKlPlN2at6native12_GLOBAL__N_18offset_tEEE10hipError_tPvRmT1_PNSt15iterator_traitsIS13_E10value_typeET2_T3_PNS14_IS19_E10value_typeET4_jRbjT5_S1F_jjP12ihipStream_tbEUljE_ZNSN_ISO_Lb0ESR_SS_SU_SV_SZ_EES10_S11_S12_S13_S17_S18_S19_S1C_S1D_jS1E_jS1F_S1F_jjS1H_bEUljE0_EEES10_S11_S12_S19_S1D_S1F_T6_T7_T9_mT8_S1H_bDpT10_ENKUlT_T0_E_clISt17integral_constantIbLb0EES1V_EEDaS1Q_S1R_EUlS1Q_E_NS1_11comp_targetILNS1_3genE4ELNS1_11target_archE910ELNS1_3gpuE8ELNS1_3repE0EEENS1_30default_config_static_selectorELNS0_4arch9wavefront6targetE0EEEvS13_
                                        ; -- End function
	.set _ZN7rocprim17ROCPRIM_400000_NS6detail17trampoline_kernelINS0_13select_configILj256ELj13ELNS0_17block_load_methodE3ELS4_3ELS4_3ELNS0_20block_scan_algorithmE0ELj4294967295EEENS1_25partition_config_selectorILNS1_17partition_subalgoE4EjNS0_10empty_typeEbEEZZNS1_14partition_implILS8_4ELb0ES6_15HIP_vector_typeIjLj2EENS0_17counting_iteratorIjlEEPS9_SG_NS0_5tupleIJPjSI_NS0_16reverse_iteratorISI_EEEEENSH_IJSG_SG_SG_EEES9_SI_JZNS1_25segmented_radix_sort_implINS0_14default_configELb0EPK12hip_bfloat16PSP_PKlPlN2at6native12_GLOBAL__N_18offset_tEEE10hipError_tPvRmT1_PNSt15iterator_traitsIS13_E10value_typeET2_T3_PNS14_IS19_E10value_typeET4_jRbjT5_S1F_jjP12ihipStream_tbEUljE_ZNSN_ISO_Lb0ESR_SS_SU_SV_SZ_EES10_S11_S12_S13_S17_S18_S19_S1C_S1D_jS1E_jS1F_S1F_jjS1H_bEUljE0_EEES10_S11_S12_S19_S1D_S1F_T6_T7_T9_mT8_S1H_bDpT10_ENKUlT_T0_E_clISt17integral_constantIbLb0EES1V_EEDaS1Q_S1R_EUlS1Q_E_NS1_11comp_targetILNS1_3genE4ELNS1_11target_archE910ELNS1_3gpuE8ELNS1_3repE0EEENS1_30default_config_static_selectorELNS0_4arch9wavefront6targetE0EEEvS13_.num_vgpr, 0
	.set _ZN7rocprim17ROCPRIM_400000_NS6detail17trampoline_kernelINS0_13select_configILj256ELj13ELNS0_17block_load_methodE3ELS4_3ELS4_3ELNS0_20block_scan_algorithmE0ELj4294967295EEENS1_25partition_config_selectorILNS1_17partition_subalgoE4EjNS0_10empty_typeEbEEZZNS1_14partition_implILS8_4ELb0ES6_15HIP_vector_typeIjLj2EENS0_17counting_iteratorIjlEEPS9_SG_NS0_5tupleIJPjSI_NS0_16reverse_iteratorISI_EEEEENSH_IJSG_SG_SG_EEES9_SI_JZNS1_25segmented_radix_sort_implINS0_14default_configELb0EPK12hip_bfloat16PSP_PKlPlN2at6native12_GLOBAL__N_18offset_tEEE10hipError_tPvRmT1_PNSt15iterator_traitsIS13_E10value_typeET2_T3_PNS14_IS19_E10value_typeET4_jRbjT5_S1F_jjP12ihipStream_tbEUljE_ZNSN_ISO_Lb0ESR_SS_SU_SV_SZ_EES10_S11_S12_S13_S17_S18_S19_S1C_S1D_jS1E_jS1F_S1F_jjS1H_bEUljE0_EEES10_S11_S12_S19_S1D_S1F_T6_T7_T9_mT8_S1H_bDpT10_ENKUlT_T0_E_clISt17integral_constantIbLb0EES1V_EEDaS1Q_S1R_EUlS1Q_E_NS1_11comp_targetILNS1_3genE4ELNS1_11target_archE910ELNS1_3gpuE8ELNS1_3repE0EEENS1_30default_config_static_selectorELNS0_4arch9wavefront6targetE0EEEvS13_.num_agpr, 0
	.set _ZN7rocprim17ROCPRIM_400000_NS6detail17trampoline_kernelINS0_13select_configILj256ELj13ELNS0_17block_load_methodE3ELS4_3ELS4_3ELNS0_20block_scan_algorithmE0ELj4294967295EEENS1_25partition_config_selectorILNS1_17partition_subalgoE4EjNS0_10empty_typeEbEEZZNS1_14partition_implILS8_4ELb0ES6_15HIP_vector_typeIjLj2EENS0_17counting_iteratorIjlEEPS9_SG_NS0_5tupleIJPjSI_NS0_16reverse_iteratorISI_EEEEENSH_IJSG_SG_SG_EEES9_SI_JZNS1_25segmented_radix_sort_implINS0_14default_configELb0EPK12hip_bfloat16PSP_PKlPlN2at6native12_GLOBAL__N_18offset_tEEE10hipError_tPvRmT1_PNSt15iterator_traitsIS13_E10value_typeET2_T3_PNS14_IS19_E10value_typeET4_jRbjT5_S1F_jjP12ihipStream_tbEUljE_ZNSN_ISO_Lb0ESR_SS_SU_SV_SZ_EES10_S11_S12_S13_S17_S18_S19_S1C_S1D_jS1E_jS1F_S1F_jjS1H_bEUljE0_EEES10_S11_S12_S19_S1D_S1F_T6_T7_T9_mT8_S1H_bDpT10_ENKUlT_T0_E_clISt17integral_constantIbLb0EES1V_EEDaS1Q_S1R_EUlS1Q_E_NS1_11comp_targetILNS1_3genE4ELNS1_11target_archE910ELNS1_3gpuE8ELNS1_3repE0EEENS1_30default_config_static_selectorELNS0_4arch9wavefront6targetE0EEEvS13_.numbered_sgpr, 0
	.set _ZN7rocprim17ROCPRIM_400000_NS6detail17trampoline_kernelINS0_13select_configILj256ELj13ELNS0_17block_load_methodE3ELS4_3ELS4_3ELNS0_20block_scan_algorithmE0ELj4294967295EEENS1_25partition_config_selectorILNS1_17partition_subalgoE4EjNS0_10empty_typeEbEEZZNS1_14partition_implILS8_4ELb0ES6_15HIP_vector_typeIjLj2EENS0_17counting_iteratorIjlEEPS9_SG_NS0_5tupleIJPjSI_NS0_16reverse_iteratorISI_EEEEENSH_IJSG_SG_SG_EEES9_SI_JZNS1_25segmented_radix_sort_implINS0_14default_configELb0EPK12hip_bfloat16PSP_PKlPlN2at6native12_GLOBAL__N_18offset_tEEE10hipError_tPvRmT1_PNSt15iterator_traitsIS13_E10value_typeET2_T3_PNS14_IS19_E10value_typeET4_jRbjT5_S1F_jjP12ihipStream_tbEUljE_ZNSN_ISO_Lb0ESR_SS_SU_SV_SZ_EES10_S11_S12_S13_S17_S18_S19_S1C_S1D_jS1E_jS1F_S1F_jjS1H_bEUljE0_EEES10_S11_S12_S19_S1D_S1F_T6_T7_T9_mT8_S1H_bDpT10_ENKUlT_T0_E_clISt17integral_constantIbLb0EES1V_EEDaS1Q_S1R_EUlS1Q_E_NS1_11comp_targetILNS1_3genE4ELNS1_11target_archE910ELNS1_3gpuE8ELNS1_3repE0EEENS1_30default_config_static_selectorELNS0_4arch9wavefront6targetE0EEEvS13_.num_named_barrier, 0
	.set _ZN7rocprim17ROCPRIM_400000_NS6detail17trampoline_kernelINS0_13select_configILj256ELj13ELNS0_17block_load_methodE3ELS4_3ELS4_3ELNS0_20block_scan_algorithmE0ELj4294967295EEENS1_25partition_config_selectorILNS1_17partition_subalgoE4EjNS0_10empty_typeEbEEZZNS1_14partition_implILS8_4ELb0ES6_15HIP_vector_typeIjLj2EENS0_17counting_iteratorIjlEEPS9_SG_NS0_5tupleIJPjSI_NS0_16reverse_iteratorISI_EEEEENSH_IJSG_SG_SG_EEES9_SI_JZNS1_25segmented_radix_sort_implINS0_14default_configELb0EPK12hip_bfloat16PSP_PKlPlN2at6native12_GLOBAL__N_18offset_tEEE10hipError_tPvRmT1_PNSt15iterator_traitsIS13_E10value_typeET2_T3_PNS14_IS19_E10value_typeET4_jRbjT5_S1F_jjP12ihipStream_tbEUljE_ZNSN_ISO_Lb0ESR_SS_SU_SV_SZ_EES10_S11_S12_S13_S17_S18_S19_S1C_S1D_jS1E_jS1F_S1F_jjS1H_bEUljE0_EEES10_S11_S12_S19_S1D_S1F_T6_T7_T9_mT8_S1H_bDpT10_ENKUlT_T0_E_clISt17integral_constantIbLb0EES1V_EEDaS1Q_S1R_EUlS1Q_E_NS1_11comp_targetILNS1_3genE4ELNS1_11target_archE910ELNS1_3gpuE8ELNS1_3repE0EEENS1_30default_config_static_selectorELNS0_4arch9wavefront6targetE0EEEvS13_.private_seg_size, 0
	.set _ZN7rocprim17ROCPRIM_400000_NS6detail17trampoline_kernelINS0_13select_configILj256ELj13ELNS0_17block_load_methodE3ELS4_3ELS4_3ELNS0_20block_scan_algorithmE0ELj4294967295EEENS1_25partition_config_selectorILNS1_17partition_subalgoE4EjNS0_10empty_typeEbEEZZNS1_14partition_implILS8_4ELb0ES6_15HIP_vector_typeIjLj2EENS0_17counting_iteratorIjlEEPS9_SG_NS0_5tupleIJPjSI_NS0_16reverse_iteratorISI_EEEEENSH_IJSG_SG_SG_EEES9_SI_JZNS1_25segmented_radix_sort_implINS0_14default_configELb0EPK12hip_bfloat16PSP_PKlPlN2at6native12_GLOBAL__N_18offset_tEEE10hipError_tPvRmT1_PNSt15iterator_traitsIS13_E10value_typeET2_T3_PNS14_IS19_E10value_typeET4_jRbjT5_S1F_jjP12ihipStream_tbEUljE_ZNSN_ISO_Lb0ESR_SS_SU_SV_SZ_EES10_S11_S12_S13_S17_S18_S19_S1C_S1D_jS1E_jS1F_S1F_jjS1H_bEUljE0_EEES10_S11_S12_S19_S1D_S1F_T6_T7_T9_mT8_S1H_bDpT10_ENKUlT_T0_E_clISt17integral_constantIbLb0EES1V_EEDaS1Q_S1R_EUlS1Q_E_NS1_11comp_targetILNS1_3genE4ELNS1_11target_archE910ELNS1_3gpuE8ELNS1_3repE0EEENS1_30default_config_static_selectorELNS0_4arch9wavefront6targetE0EEEvS13_.uses_vcc, 0
	.set _ZN7rocprim17ROCPRIM_400000_NS6detail17trampoline_kernelINS0_13select_configILj256ELj13ELNS0_17block_load_methodE3ELS4_3ELS4_3ELNS0_20block_scan_algorithmE0ELj4294967295EEENS1_25partition_config_selectorILNS1_17partition_subalgoE4EjNS0_10empty_typeEbEEZZNS1_14partition_implILS8_4ELb0ES6_15HIP_vector_typeIjLj2EENS0_17counting_iteratorIjlEEPS9_SG_NS0_5tupleIJPjSI_NS0_16reverse_iteratorISI_EEEEENSH_IJSG_SG_SG_EEES9_SI_JZNS1_25segmented_radix_sort_implINS0_14default_configELb0EPK12hip_bfloat16PSP_PKlPlN2at6native12_GLOBAL__N_18offset_tEEE10hipError_tPvRmT1_PNSt15iterator_traitsIS13_E10value_typeET2_T3_PNS14_IS19_E10value_typeET4_jRbjT5_S1F_jjP12ihipStream_tbEUljE_ZNSN_ISO_Lb0ESR_SS_SU_SV_SZ_EES10_S11_S12_S13_S17_S18_S19_S1C_S1D_jS1E_jS1F_S1F_jjS1H_bEUljE0_EEES10_S11_S12_S19_S1D_S1F_T6_T7_T9_mT8_S1H_bDpT10_ENKUlT_T0_E_clISt17integral_constantIbLb0EES1V_EEDaS1Q_S1R_EUlS1Q_E_NS1_11comp_targetILNS1_3genE4ELNS1_11target_archE910ELNS1_3gpuE8ELNS1_3repE0EEENS1_30default_config_static_selectorELNS0_4arch9wavefront6targetE0EEEvS13_.uses_flat_scratch, 0
	.set _ZN7rocprim17ROCPRIM_400000_NS6detail17trampoline_kernelINS0_13select_configILj256ELj13ELNS0_17block_load_methodE3ELS4_3ELS4_3ELNS0_20block_scan_algorithmE0ELj4294967295EEENS1_25partition_config_selectorILNS1_17partition_subalgoE4EjNS0_10empty_typeEbEEZZNS1_14partition_implILS8_4ELb0ES6_15HIP_vector_typeIjLj2EENS0_17counting_iteratorIjlEEPS9_SG_NS0_5tupleIJPjSI_NS0_16reverse_iteratorISI_EEEEENSH_IJSG_SG_SG_EEES9_SI_JZNS1_25segmented_radix_sort_implINS0_14default_configELb0EPK12hip_bfloat16PSP_PKlPlN2at6native12_GLOBAL__N_18offset_tEEE10hipError_tPvRmT1_PNSt15iterator_traitsIS13_E10value_typeET2_T3_PNS14_IS19_E10value_typeET4_jRbjT5_S1F_jjP12ihipStream_tbEUljE_ZNSN_ISO_Lb0ESR_SS_SU_SV_SZ_EES10_S11_S12_S13_S17_S18_S19_S1C_S1D_jS1E_jS1F_S1F_jjS1H_bEUljE0_EEES10_S11_S12_S19_S1D_S1F_T6_T7_T9_mT8_S1H_bDpT10_ENKUlT_T0_E_clISt17integral_constantIbLb0EES1V_EEDaS1Q_S1R_EUlS1Q_E_NS1_11comp_targetILNS1_3genE4ELNS1_11target_archE910ELNS1_3gpuE8ELNS1_3repE0EEENS1_30default_config_static_selectorELNS0_4arch9wavefront6targetE0EEEvS13_.has_dyn_sized_stack, 0
	.set _ZN7rocprim17ROCPRIM_400000_NS6detail17trampoline_kernelINS0_13select_configILj256ELj13ELNS0_17block_load_methodE3ELS4_3ELS4_3ELNS0_20block_scan_algorithmE0ELj4294967295EEENS1_25partition_config_selectorILNS1_17partition_subalgoE4EjNS0_10empty_typeEbEEZZNS1_14partition_implILS8_4ELb0ES6_15HIP_vector_typeIjLj2EENS0_17counting_iteratorIjlEEPS9_SG_NS0_5tupleIJPjSI_NS0_16reverse_iteratorISI_EEEEENSH_IJSG_SG_SG_EEES9_SI_JZNS1_25segmented_radix_sort_implINS0_14default_configELb0EPK12hip_bfloat16PSP_PKlPlN2at6native12_GLOBAL__N_18offset_tEEE10hipError_tPvRmT1_PNSt15iterator_traitsIS13_E10value_typeET2_T3_PNS14_IS19_E10value_typeET4_jRbjT5_S1F_jjP12ihipStream_tbEUljE_ZNSN_ISO_Lb0ESR_SS_SU_SV_SZ_EES10_S11_S12_S13_S17_S18_S19_S1C_S1D_jS1E_jS1F_S1F_jjS1H_bEUljE0_EEES10_S11_S12_S19_S1D_S1F_T6_T7_T9_mT8_S1H_bDpT10_ENKUlT_T0_E_clISt17integral_constantIbLb0EES1V_EEDaS1Q_S1R_EUlS1Q_E_NS1_11comp_targetILNS1_3genE4ELNS1_11target_archE910ELNS1_3gpuE8ELNS1_3repE0EEENS1_30default_config_static_selectorELNS0_4arch9wavefront6targetE0EEEvS13_.has_recursion, 0
	.set _ZN7rocprim17ROCPRIM_400000_NS6detail17trampoline_kernelINS0_13select_configILj256ELj13ELNS0_17block_load_methodE3ELS4_3ELS4_3ELNS0_20block_scan_algorithmE0ELj4294967295EEENS1_25partition_config_selectorILNS1_17partition_subalgoE4EjNS0_10empty_typeEbEEZZNS1_14partition_implILS8_4ELb0ES6_15HIP_vector_typeIjLj2EENS0_17counting_iteratorIjlEEPS9_SG_NS0_5tupleIJPjSI_NS0_16reverse_iteratorISI_EEEEENSH_IJSG_SG_SG_EEES9_SI_JZNS1_25segmented_radix_sort_implINS0_14default_configELb0EPK12hip_bfloat16PSP_PKlPlN2at6native12_GLOBAL__N_18offset_tEEE10hipError_tPvRmT1_PNSt15iterator_traitsIS13_E10value_typeET2_T3_PNS14_IS19_E10value_typeET4_jRbjT5_S1F_jjP12ihipStream_tbEUljE_ZNSN_ISO_Lb0ESR_SS_SU_SV_SZ_EES10_S11_S12_S13_S17_S18_S19_S1C_S1D_jS1E_jS1F_S1F_jjS1H_bEUljE0_EEES10_S11_S12_S19_S1D_S1F_T6_T7_T9_mT8_S1H_bDpT10_ENKUlT_T0_E_clISt17integral_constantIbLb0EES1V_EEDaS1Q_S1R_EUlS1Q_E_NS1_11comp_targetILNS1_3genE4ELNS1_11target_archE910ELNS1_3gpuE8ELNS1_3repE0EEENS1_30default_config_static_selectorELNS0_4arch9wavefront6targetE0EEEvS13_.has_indirect_call, 0
	.section	.AMDGPU.csdata,"",@progbits
; Kernel info:
; codeLenInByte = 0
; TotalNumSgprs: 0
; NumVgprs: 0
; ScratchSize: 0
; MemoryBound: 0
; FloatMode: 240
; IeeeMode: 1
; LDSByteSize: 0 bytes/workgroup (compile time only)
; SGPRBlocks: 0
; VGPRBlocks: 0
; NumSGPRsForWavesPerEU: 1
; NumVGPRsForWavesPerEU: 1
; NamedBarCnt: 0
; Occupancy: 16
; WaveLimiterHint : 0
; COMPUTE_PGM_RSRC2:SCRATCH_EN: 0
; COMPUTE_PGM_RSRC2:USER_SGPR: 2
; COMPUTE_PGM_RSRC2:TRAP_HANDLER: 0
; COMPUTE_PGM_RSRC2:TGID_X_EN: 1
; COMPUTE_PGM_RSRC2:TGID_Y_EN: 0
; COMPUTE_PGM_RSRC2:TGID_Z_EN: 0
; COMPUTE_PGM_RSRC2:TIDIG_COMP_CNT: 0
	.section	.text._ZN7rocprim17ROCPRIM_400000_NS6detail17trampoline_kernelINS0_13select_configILj256ELj13ELNS0_17block_load_methodE3ELS4_3ELS4_3ELNS0_20block_scan_algorithmE0ELj4294967295EEENS1_25partition_config_selectorILNS1_17partition_subalgoE4EjNS0_10empty_typeEbEEZZNS1_14partition_implILS8_4ELb0ES6_15HIP_vector_typeIjLj2EENS0_17counting_iteratorIjlEEPS9_SG_NS0_5tupleIJPjSI_NS0_16reverse_iteratorISI_EEEEENSH_IJSG_SG_SG_EEES9_SI_JZNS1_25segmented_radix_sort_implINS0_14default_configELb0EPK12hip_bfloat16PSP_PKlPlN2at6native12_GLOBAL__N_18offset_tEEE10hipError_tPvRmT1_PNSt15iterator_traitsIS13_E10value_typeET2_T3_PNS14_IS19_E10value_typeET4_jRbjT5_S1F_jjP12ihipStream_tbEUljE_ZNSN_ISO_Lb0ESR_SS_SU_SV_SZ_EES10_S11_S12_S13_S17_S18_S19_S1C_S1D_jS1E_jS1F_S1F_jjS1H_bEUljE0_EEES10_S11_S12_S19_S1D_S1F_T6_T7_T9_mT8_S1H_bDpT10_ENKUlT_T0_E_clISt17integral_constantIbLb0EES1V_EEDaS1Q_S1R_EUlS1Q_E_NS1_11comp_targetILNS1_3genE3ELNS1_11target_archE908ELNS1_3gpuE7ELNS1_3repE0EEENS1_30default_config_static_selectorELNS0_4arch9wavefront6targetE0EEEvS13_,"axG",@progbits,_ZN7rocprim17ROCPRIM_400000_NS6detail17trampoline_kernelINS0_13select_configILj256ELj13ELNS0_17block_load_methodE3ELS4_3ELS4_3ELNS0_20block_scan_algorithmE0ELj4294967295EEENS1_25partition_config_selectorILNS1_17partition_subalgoE4EjNS0_10empty_typeEbEEZZNS1_14partition_implILS8_4ELb0ES6_15HIP_vector_typeIjLj2EENS0_17counting_iteratorIjlEEPS9_SG_NS0_5tupleIJPjSI_NS0_16reverse_iteratorISI_EEEEENSH_IJSG_SG_SG_EEES9_SI_JZNS1_25segmented_radix_sort_implINS0_14default_configELb0EPK12hip_bfloat16PSP_PKlPlN2at6native12_GLOBAL__N_18offset_tEEE10hipError_tPvRmT1_PNSt15iterator_traitsIS13_E10value_typeET2_T3_PNS14_IS19_E10value_typeET4_jRbjT5_S1F_jjP12ihipStream_tbEUljE_ZNSN_ISO_Lb0ESR_SS_SU_SV_SZ_EES10_S11_S12_S13_S17_S18_S19_S1C_S1D_jS1E_jS1F_S1F_jjS1H_bEUljE0_EEES10_S11_S12_S19_S1D_S1F_T6_T7_T9_mT8_S1H_bDpT10_ENKUlT_T0_E_clISt17integral_constantIbLb0EES1V_EEDaS1Q_S1R_EUlS1Q_E_NS1_11comp_targetILNS1_3genE3ELNS1_11target_archE908ELNS1_3gpuE7ELNS1_3repE0EEENS1_30default_config_static_selectorELNS0_4arch9wavefront6targetE0EEEvS13_,comdat
	.globl	_ZN7rocprim17ROCPRIM_400000_NS6detail17trampoline_kernelINS0_13select_configILj256ELj13ELNS0_17block_load_methodE3ELS4_3ELS4_3ELNS0_20block_scan_algorithmE0ELj4294967295EEENS1_25partition_config_selectorILNS1_17partition_subalgoE4EjNS0_10empty_typeEbEEZZNS1_14partition_implILS8_4ELb0ES6_15HIP_vector_typeIjLj2EENS0_17counting_iteratorIjlEEPS9_SG_NS0_5tupleIJPjSI_NS0_16reverse_iteratorISI_EEEEENSH_IJSG_SG_SG_EEES9_SI_JZNS1_25segmented_radix_sort_implINS0_14default_configELb0EPK12hip_bfloat16PSP_PKlPlN2at6native12_GLOBAL__N_18offset_tEEE10hipError_tPvRmT1_PNSt15iterator_traitsIS13_E10value_typeET2_T3_PNS14_IS19_E10value_typeET4_jRbjT5_S1F_jjP12ihipStream_tbEUljE_ZNSN_ISO_Lb0ESR_SS_SU_SV_SZ_EES10_S11_S12_S13_S17_S18_S19_S1C_S1D_jS1E_jS1F_S1F_jjS1H_bEUljE0_EEES10_S11_S12_S19_S1D_S1F_T6_T7_T9_mT8_S1H_bDpT10_ENKUlT_T0_E_clISt17integral_constantIbLb0EES1V_EEDaS1Q_S1R_EUlS1Q_E_NS1_11comp_targetILNS1_3genE3ELNS1_11target_archE908ELNS1_3gpuE7ELNS1_3repE0EEENS1_30default_config_static_selectorELNS0_4arch9wavefront6targetE0EEEvS13_ ; -- Begin function _ZN7rocprim17ROCPRIM_400000_NS6detail17trampoline_kernelINS0_13select_configILj256ELj13ELNS0_17block_load_methodE3ELS4_3ELS4_3ELNS0_20block_scan_algorithmE0ELj4294967295EEENS1_25partition_config_selectorILNS1_17partition_subalgoE4EjNS0_10empty_typeEbEEZZNS1_14partition_implILS8_4ELb0ES6_15HIP_vector_typeIjLj2EENS0_17counting_iteratorIjlEEPS9_SG_NS0_5tupleIJPjSI_NS0_16reverse_iteratorISI_EEEEENSH_IJSG_SG_SG_EEES9_SI_JZNS1_25segmented_radix_sort_implINS0_14default_configELb0EPK12hip_bfloat16PSP_PKlPlN2at6native12_GLOBAL__N_18offset_tEEE10hipError_tPvRmT1_PNSt15iterator_traitsIS13_E10value_typeET2_T3_PNS14_IS19_E10value_typeET4_jRbjT5_S1F_jjP12ihipStream_tbEUljE_ZNSN_ISO_Lb0ESR_SS_SU_SV_SZ_EES10_S11_S12_S13_S17_S18_S19_S1C_S1D_jS1E_jS1F_S1F_jjS1H_bEUljE0_EEES10_S11_S12_S19_S1D_S1F_T6_T7_T9_mT8_S1H_bDpT10_ENKUlT_T0_E_clISt17integral_constantIbLb0EES1V_EEDaS1Q_S1R_EUlS1Q_E_NS1_11comp_targetILNS1_3genE3ELNS1_11target_archE908ELNS1_3gpuE7ELNS1_3repE0EEENS1_30default_config_static_selectorELNS0_4arch9wavefront6targetE0EEEvS13_
	.p2align	8
	.type	_ZN7rocprim17ROCPRIM_400000_NS6detail17trampoline_kernelINS0_13select_configILj256ELj13ELNS0_17block_load_methodE3ELS4_3ELS4_3ELNS0_20block_scan_algorithmE0ELj4294967295EEENS1_25partition_config_selectorILNS1_17partition_subalgoE4EjNS0_10empty_typeEbEEZZNS1_14partition_implILS8_4ELb0ES6_15HIP_vector_typeIjLj2EENS0_17counting_iteratorIjlEEPS9_SG_NS0_5tupleIJPjSI_NS0_16reverse_iteratorISI_EEEEENSH_IJSG_SG_SG_EEES9_SI_JZNS1_25segmented_radix_sort_implINS0_14default_configELb0EPK12hip_bfloat16PSP_PKlPlN2at6native12_GLOBAL__N_18offset_tEEE10hipError_tPvRmT1_PNSt15iterator_traitsIS13_E10value_typeET2_T3_PNS14_IS19_E10value_typeET4_jRbjT5_S1F_jjP12ihipStream_tbEUljE_ZNSN_ISO_Lb0ESR_SS_SU_SV_SZ_EES10_S11_S12_S13_S17_S18_S19_S1C_S1D_jS1E_jS1F_S1F_jjS1H_bEUljE0_EEES10_S11_S12_S19_S1D_S1F_T6_T7_T9_mT8_S1H_bDpT10_ENKUlT_T0_E_clISt17integral_constantIbLb0EES1V_EEDaS1Q_S1R_EUlS1Q_E_NS1_11comp_targetILNS1_3genE3ELNS1_11target_archE908ELNS1_3gpuE7ELNS1_3repE0EEENS1_30default_config_static_selectorELNS0_4arch9wavefront6targetE0EEEvS13_,@function
_ZN7rocprim17ROCPRIM_400000_NS6detail17trampoline_kernelINS0_13select_configILj256ELj13ELNS0_17block_load_methodE3ELS4_3ELS4_3ELNS0_20block_scan_algorithmE0ELj4294967295EEENS1_25partition_config_selectorILNS1_17partition_subalgoE4EjNS0_10empty_typeEbEEZZNS1_14partition_implILS8_4ELb0ES6_15HIP_vector_typeIjLj2EENS0_17counting_iteratorIjlEEPS9_SG_NS0_5tupleIJPjSI_NS0_16reverse_iteratorISI_EEEEENSH_IJSG_SG_SG_EEES9_SI_JZNS1_25segmented_radix_sort_implINS0_14default_configELb0EPK12hip_bfloat16PSP_PKlPlN2at6native12_GLOBAL__N_18offset_tEEE10hipError_tPvRmT1_PNSt15iterator_traitsIS13_E10value_typeET2_T3_PNS14_IS19_E10value_typeET4_jRbjT5_S1F_jjP12ihipStream_tbEUljE_ZNSN_ISO_Lb0ESR_SS_SU_SV_SZ_EES10_S11_S12_S13_S17_S18_S19_S1C_S1D_jS1E_jS1F_S1F_jjS1H_bEUljE0_EEES10_S11_S12_S19_S1D_S1F_T6_T7_T9_mT8_S1H_bDpT10_ENKUlT_T0_E_clISt17integral_constantIbLb0EES1V_EEDaS1Q_S1R_EUlS1Q_E_NS1_11comp_targetILNS1_3genE3ELNS1_11target_archE908ELNS1_3gpuE7ELNS1_3repE0EEENS1_30default_config_static_selectorELNS0_4arch9wavefront6targetE0EEEvS13_: ; @_ZN7rocprim17ROCPRIM_400000_NS6detail17trampoline_kernelINS0_13select_configILj256ELj13ELNS0_17block_load_methodE3ELS4_3ELS4_3ELNS0_20block_scan_algorithmE0ELj4294967295EEENS1_25partition_config_selectorILNS1_17partition_subalgoE4EjNS0_10empty_typeEbEEZZNS1_14partition_implILS8_4ELb0ES6_15HIP_vector_typeIjLj2EENS0_17counting_iteratorIjlEEPS9_SG_NS0_5tupleIJPjSI_NS0_16reverse_iteratorISI_EEEEENSH_IJSG_SG_SG_EEES9_SI_JZNS1_25segmented_radix_sort_implINS0_14default_configELb0EPK12hip_bfloat16PSP_PKlPlN2at6native12_GLOBAL__N_18offset_tEEE10hipError_tPvRmT1_PNSt15iterator_traitsIS13_E10value_typeET2_T3_PNS14_IS19_E10value_typeET4_jRbjT5_S1F_jjP12ihipStream_tbEUljE_ZNSN_ISO_Lb0ESR_SS_SU_SV_SZ_EES10_S11_S12_S13_S17_S18_S19_S1C_S1D_jS1E_jS1F_S1F_jjS1H_bEUljE0_EEES10_S11_S12_S19_S1D_S1F_T6_T7_T9_mT8_S1H_bDpT10_ENKUlT_T0_E_clISt17integral_constantIbLb0EES1V_EEDaS1Q_S1R_EUlS1Q_E_NS1_11comp_targetILNS1_3genE3ELNS1_11target_archE908ELNS1_3gpuE7ELNS1_3repE0EEENS1_30default_config_static_selectorELNS0_4arch9wavefront6targetE0EEEvS13_
; %bb.0:
	.section	.rodata,"a",@progbits
	.p2align	6, 0x0
	.amdhsa_kernel _ZN7rocprim17ROCPRIM_400000_NS6detail17trampoline_kernelINS0_13select_configILj256ELj13ELNS0_17block_load_methodE3ELS4_3ELS4_3ELNS0_20block_scan_algorithmE0ELj4294967295EEENS1_25partition_config_selectorILNS1_17partition_subalgoE4EjNS0_10empty_typeEbEEZZNS1_14partition_implILS8_4ELb0ES6_15HIP_vector_typeIjLj2EENS0_17counting_iteratorIjlEEPS9_SG_NS0_5tupleIJPjSI_NS0_16reverse_iteratorISI_EEEEENSH_IJSG_SG_SG_EEES9_SI_JZNS1_25segmented_radix_sort_implINS0_14default_configELb0EPK12hip_bfloat16PSP_PKlPlN2at6native12_GLOBAL__N_18offset_tEEE10hipError_tPvRmT1_PNSt15iterator_traitsIS13_E10value_typeET2_T3_PNS14_IS19_E10value_typeET4_jRbjT5_S1F_jjP12ihipStream_tbEUljE_ZNSN_ISO_Lb0ESR_SS_SU_SV_SZ_EES10_S11_S12_S13_S17_S18_S19_S1C_S1D_jS1E_jS1F_S1F_jjS1H_bEUljE0_EEES10_S11_S12_S19_S1D_S1F_T6_T7_T9_mT8_S1H_bDpT10_ENKUlT_T0_E_clISt17integral_constantIbLb0EES1V_EEDaS1Q_S1R_EUlS1Q_E_NS1_11comp_targetILNS1_3genE3ELNS1_11target_archE908ELNS1_3gpuE7ELNS1_3repE0EEENS1_30default_config_static_selectorELNS0_4arch9wavefront6targetE0EEEvS13_
		.amdhsa_group_segment_fixed_size 0
		.amdhsa_private_segment_fixed_size 0
		.amdhsa_kernarg_size 176
		.amdhsa_user_sgpr_count 2
		.amdhsa_user_sgpr_dispatch_ptr 0
		.amdhsa_user_sgpr_queue_ptr 0
		.amdhsa_user_sgpr_kernarg_segment_ptr 1
		.amdhsa_user_sgpr_dispatch_id 0
		.amdhsa_user_sgpr_kernarg_preload_length 0
		.amdhsa_user_sgpr_kernarg_preload_offset 0
		.amdhsa_user_sgpr_private_segment_size 0
		.amdhsa_wavefront_size32 1
		.amdhsa_uses_dynamic_stack 0
		.amdhsa_enable_private_segment 0
		.amdhsa_system_sgpr_workgroup_id_x 1
		.amdhsa_system_sgpr_workgroup_id_y 0
		.amdhsa_system_sgpr_workgroup_id_z 0
		.amdhsa_system_sgpr_workgroup_info 0
		.amdhsa_system_vgpr_workitem_id 0
		.amdhsa_next_free_vgpr 1
		.amdhsa_next_free_sgpr 1
		.amdhsa_named_barrier_count 0
		.amdhsa_reserve_vcc 0
		.amdhsa_float_round_mode_32 0
		.amdhsa_float_round_mode_16_64 0
		.amdhsa_float_denorm_mode_32 3
		.amdhsa_float_denorm_mode_16_64 3
		.amdhsa_fp16_overflow 0
		.amdhsa_memory_ordered 1
		.amdhsa_forward_progress 1
		.amdhsa_inst_pref_size 0
		.amdhsa_round_robin_scheduling 0
		.amdhsa_exception_fp_ieee_invalid_op 0
		.amdhsa_exception_fp_denorm_src 0
		.amdhsa_exception_fp_ieee_div_zero 0
		.amdhsa_exception_fp_ieee_overflow 0
		.amdhsa_exception_fp_ieee_underflow 0
		.amdhsa_exception_fp_ieee_inexact 0
		.amdhsa_exception_int_div_zero 0
	.end_amdhsa_kernel
	.section	.text._ZN7rocprim17ROCPRIM_400000_NS6detail17trampoline_kernelINS0_13select_configILj256ELj13ELNS0_17block_load_methodE3ELS4_3ELS4_3ELNS0_20block_scan_algorithmE0ELj4294967295EEENS1_25partition_config_selectorILNS1_17partition_subalgoE4EjNS0_10empty_typeEbEEZZNS1_14partition_implILS8_4ELb0ES6_15HIP_vector_typeIjLj2EENS0_17counting_iteratorIjlEEPS9_SG_NS0_5tupleIJPjSI_NS0_16reverse_iteratorISI_EEEEENSH_IJSG_SG_SG_EEES9_SI_JZNS1_25segmented_radix_sort_implINS0_14default_configELb0EPK12hip_bfloat16PSP_PKlPlN2at6native12_GLOBAL__N_18offset_tEEE10hipError_tPvRmT1_PNSt15iterator_traitsIS13_E10value_typeET2_T3_PNS14_IS19_E10value_typeET4_jRbjT5_S1F_jjP12ihipStream_tbEUljE_ZNSN_ISO_Lb0ESR_SS_SU_SV_SZ_EES10_S11_S12_S13_S17_S18_S19_S1C_S1D_jS1E_jS1F_S1F_jjS1H_bEUljE0_EEES10_S11_S12_S19_S1D_S1F_T6_T7_T9_mT8_S1H_bDpT10_ENKUlT_T0_E_clISt17integral_constantIbLb0EES1V_EEDaS1Q_S1R_EUlS1Q_E_NS1_11comp_targetILNS1_3genE3ELNS1_11target_archE908ELNS1_3gpuE7ELNS1_3repE0EEENS1_30default_config_static_selectorELNS0_4arch9wavefront6targetE0EEEvS13_,"axG",@progbits,_ZN7rocprim17ROCPRIM_400000_NS6detail17trampoline_kernelINS0_13select_configILj256ELj13ELNS0_17block_load_methodE3ELS4_3ELS4_3ELNS0_20block_scan_algorithmE0ELj4294967295EEENS1_25partition_config_selectorILNS1_17partition_subalgoE4EjNS0_10empty_typeEbEEZZNS1_14partition_implILS8_4ELb0ES6_15HIP_vector_typeIjLj2EENS0_17counting_iteratorIjlEEPS9_SG_NS0_5tupleIJPjSI_NS0_16reverse_iteratorISI_EEEEENSH_IJSG_SG_SG_EEES9_SI_JZNS1_25segmented_radix_sort_implINS0_14default_configELb0EPK12hip_bfloat16PSP_PKlPlN2at6native12_GLOBAL__N_18offset_tEEE10hipError_tPvRmT1_PNSt15iterator_traitsIS13_E10value_typeET2_T3_PNS14_IS19_E10value_typeET4_jRbjT5_S1F_jjP12ihipStream_tbEUljE_ZNSN_ISO_Lb0ESR_SS_SU_SV_SZ_EES10_S11_S12_S13_S17_S18_S19_S1C_S1D_jS1E_jS1F_S1F_jjS1H_bEUljE0_EEES10_S11_S12_S19_S1D_S1F_T6_T7_T9_mT8_S1H_bDpT10_ENKUlT_T0_E_clISt17integral_constantIbLb0EES1V_EEDaS1Q_S1R_EUlS1Q_E_NS1_11comp_targetILNS1_3genE3ELNS1_11target_archE908ELNS1_3gpuE7ELNS1_3repE0EEENS1_30default_config_static_selectorELNS0_4arch9wavefront6targetE0EEEvS13_,comdat
.Lfunc_end1978:
	.size	_ZN7rocprim17ROCPRIM_400000_NS6detail17trampoline_kernelINS0_13select_configILj256ELj13ELNS0_17block_load_methodE3ELS4_3ELS4_3ELNS0_20block_scan_algorithmE0ELj4294967295EEENS1_25partition_config_selectorILNS1_17partition_subalgoE4EjNS0_10empty_typeEbEEZZNS1_14partition_implILS8_4ELb0ES6_15HIP_vector_typeIjLj2EENS0_17counting_iteratorIjlEEPS9_SG_NS0_5tupleIJPjSI_NS0_16reverse_iteratorISI_EEEEENSH_IJSG_SG_SG_EEES9_SI_JZNS1_25segmented_radix_sort_implINS0_14default_configELb0EPK12hip_bfloat16PSP_PKlPlN2at6native12_GLOBAL__N_18offset_tEEE10hipError_tPvRmT1_PNSt15iterator_traitsIS13_E10value_typeET2_T3_PNS14_IS19_E10value_typeET4_jRbjT5_S1F_jjP12ihipStream_tbEUljE_ZNSN_ISO_Lb0ESR_SS_SU_SV_SZ_EES10_S11_S12_S13_S17_S18_S19_S1C_S1D_jS1E_jS1F_S1F_jjS1H_bEUljE0_EEES10_S11_S12_S19_S1D_S1F_T6_T7_T9_mT8_S1H_bDpT10_ENKUlT_T0_E_clISt17integral_constantIbLb0EES1V_EEDaS1Q_S1R_EUlS1Q_E_NS1_11comp_targetILNS1_3genE3ELNS1_11target_archE908ELNS1_3gpuE7ELNS1_3repE0EEENS1_30default_config_static_selectorELNS0_4arch9wavefront6targetE0EEEvS13_, .Lfunc_end1978-_ZN7rocprim17ROCPRIM_400000_NS6detail17trampoline_kernelINS0_13select_configILj256ELj13ELNS0_17block_load_methodE3ELS4_3ELS4_3ELNS0_20block_scan_algorithmE0ELj4294967295EEENS1_25partition_config_selectorILNS1_17partition_subalgoE4EjNS0_10empty_typeEbEEZZNS1_14partition_implILS8_4ELb0ES6_15HIP_vector_typeIjLj2EENS0_17counting_iteratorIjlEEPS9_SG_NS0_5tupleIJPjSI_NS0_16reverse_iteratorISI_EEEEENSH_IJSG_SG_SG_EEES9_SI_JZNS1_25segmented_radix_sort_implINS0_14default_configELb0EPK12hip_bfloat16PSP_PKlPlN2at6native12_GLOBAL__N_18offset_tEEE10hipError_tPvRmT1_PNSt15iterator_traitsIS13_E10value_typeET2_T3_PNS14_IS19_E10value_typeET4_jRbjT5_S1F_jjP12ihipStream_tbEUljE_ZNSN_ISO_Lb0ESR_SS_SU_SV_SZ_EES10_S11_S12_S13_S17_S18_S19_S1C_S1D_jS1E_jS1F_S1F_jjS1H_bEUljE0_EEES10_S11_S12_S19_S1D_S1F_T6_T7_T9_mT8_S1H_bDpT10_ENKUlT_T0_E_clISt17integral_constantIbLb0EES1V_EEDaS1Q_S1R_EUlS1Q_E_NS1_11comp_targetILNS1_3genE3ELNS1_11target_archE908ELNS1_3gpuE7ELNS1_3repE0EEENS1_30default_config_static_selectorELNS0_4arch9wavefront6targetE0EEEvS13_
                                        ; -- End function
	.set _ZN7rocprim17ROCPRIM_400000_NS6detail17trampoline_kernelINS0_13select_configILj256ELj13ELNS0_17block_load_methodE3ELS4_3ELS4_3ELNS0_20block_scan_algorithmE0ELj4294967295EEENS1_25partition_config_selectorILNS1_17partition_subalgoE4EjNS0_10empty_typeEbEEZZNS1_14partition_implILS8_4ELb0ES6_15HIP_vector_typeIjLj2EENS0_17counting_iteratorIjlEEPS9_SG_NS0_5tupleIJPjSI_NS0_16reverse_iteratorISI_EEEEENSH_IJSG_SG_SG_EEES9_SI_JZNS1_25segmented_radix_sort_implINS0_14default_configELb0EPK12hip_bfloat16PSP_PKlPlN2at6native12_GLOBAL__N_18offset_tEEE10hipError_tPvRmT1_PNSt15iterator_traitsIS13_E10value_typeET2_T3_PNS14_IS19_E10value_typeET4_jRbjT5_S1F_jjP12ihipStream_tbEUljE_ZNSN_ISO_Lb0ESR_SS_SU_SV_SZ_EES10_S11_S12_S13_S17_S18_S19_S1C_S1D_jS1E_jS1F_S1F_jjS1H_bEUljE0_EEES10_S11_S12_S19_S1D_S1F_T6_T7_T9_mT8_S1H_bDpT10_ENKUlT_T0_E_clISt17integral_constantIbLb0EES1V_EEDaS1Q_S1R_EUlS1Q_E_NS1_11comp_targetILNS1_3genE3ELNS1_11target_archE908ELNS1_3gpuE7ELNS1_3repE0EEENS1_30default_config_static_selectorELNS0_4arch9wavefront6targetE0EEEvS13_.num_vgpr, 0
	.set _ZN7rocprim17ROCPRIM_400000_NS6detail17trampoline_kernelINS0_13select_configILj256ELj13ELNS0_17block_load_methodE3ELS4_3ELS4_3ELNS0_20block_scan_algorithmE0ELj4294967295EEENS1_25partition_config_selectorILNS1_17partition_subalgoE4EjNS0_10empty_typeEbEEZZNS1_14partition_implILS8_4ELb0ES6_15HIP_vector_typeIjLj2EENS0_17counting_iteratorIjlEEPS9_SG_NS0_5tupleIJPjSI_NS0_16reverse_iteratorISI_EEEEENSH_IJSG_SG_SG_EEES9_SI_JZNS1_25segmented_radix_sort_implINS0_14default_configELb0EPK12hip_bfloat16PSP_PKlPlN2at6native12_GLOBAL__N_18offset_tEEE10hipError_tPvRmT1_PNSt15iterator_traitsIS13_E10value_typeET2_T3_PNS14_IS19_E10value_typeET4_jRbjT5_S1F_jjP12ihipStream_tbEUljE_ZNSN_ISO_Lb0ESR_SS_SU_SV_SZ_EES10_S11_S12_S13_S17_S18_S19_S1C_S1D_jS1E_jS1F_S1F_jjS1H_bEUljE0_EEES10_S11_S12_S19_S1D_S1F_T6_T7_T9_mT8_S1H_bDpT10_ENKUlT_T0_E_clISt17integral_constantIbLb0EES1V_EEDaS1Q_S1R_EUlS1Q_E_NS1_11comp_targetILNS1_3genE3ELNS1_11target_archE908ELNS1_3gpuE7ELNS1_3repE0EEENS1_30default_config_static_selectorELNS0_4arch9wavefront6targetE0EEEvS13_.num_agpr, 0
	.set _ZN7rocprim17ROCPRIM_400000_NS6detail17trampoline_kernelINS0_13select_configILj256ELj13ELNS0_17block_load_methodE3ELS4_3ELS4_3ELNS0_20block_scan_algorithmE0ELj4294967295EEENS1_25partition_config_selectorILNS1_17partition_subalgoE4EjNS0_10empty_typeEbEEZZNS1_14partition_implILS8_4ELb0ES6_15HIP_vector_typeIjLj2EENS0_17counting_iteratorIjlEEPS9_SG_NS0_5tupleIJPjSI_NS0_16reverse_iteratorISI_EEEEENSH_IJSG_SG_SG_EEES9_SI_JZNS1_25segmented_radix_sort_implINS0_14default_configELb0EPK12hip_bfloat16PSP_PKlPlN2at6native12_GLOBAL__N_18offset_tEEE10hipError_tPvRmT1_PNSt15iterator_traitsIS13_E10value_typeET2_T3_PNS14_IS19_E10value_typeET4_jRbjT5_S1F_jjP12ihipStream_tbEUljE_ZNSN_ISO_Lb0ESR_SS_SU_SV_SZ_EES10_S11_S12_S13_S17_S18_S19_S1C_S1D_jS1E_jS1F_S1F_jjS1H_bEUljE0_EEES10_S11_S12_S19_S1D_S1F_T6_T7_T9_mT8_S1H_bDpT10_ENKUlT_T0_E_clISt17integral_constantIbLb0EES1V_EEDaS1Q_S1R_EUlS1Q_E_NS1_11comp_targetILNS1_3genE3ELNS1_11target_archE908ELNS1_3gpuE7ELNS1_3repE0EEENS1_30default_config_static_selectorELNS0_4arch9wavefront6targetE0EEEvS13_.numbered_sgpr, 0
	.set _ZN7rocprim17ROCPRIM_400000_NS6detail17trampoline_kernelINS0_13select_configILj256ELj13ELNS0_17block_load_methodE3ELS4_3ELS4_3ELNS0_20block_scan_algorithmE0ELj4294967295EEENS1_25partition_config_selectorILNS1_17partition_subalgoE4EjNS0_10empty_typeEbEEZZNS1_14partition_implILS8_4ELb0ES6_15HIP_vector_typeIjLj2EENS0_17counting_iteratorIjlEEPS9_SG_NS0_5tupleIJPjSI_NS0_16reverse_iteratorISI_EEEEENSH_IJSG_SG_SG_EEES9_SI_JZNS1_25segmented_radix_sort_implINS0_14default_configELb0EPK12hip_bfloat16PSP_PKlPlN2at6native12_GLOBAL__N_18offset_tEEE10hipError_tPvRmT1_PNSt15iterator_traitsIS13_E10value_typeET2_T3_PNS14_IS19_E10value_typeET4_jRbjT5_S1F_jjP12ihipStream_tbEUljE_ZNSN_ISO_Lb0ESR_SS_SU_SV_SZ_EES10_S11_S12_S13_S17_S18_S19_S1C_S1D_jS1E_jS1F_S1F_jjS1H_bEUljE0_EEES10_S11_S12_S19_S1D_S1F_T6_T7_T9_mT8_S1H_bDpT10_ENKUlT_T0_E_clISt17integral_constantIbLb0EES1V_EEDaS1Q_S1R_EUlS1Q_E_NS1_11comp_targetILNS1_3genE3ELNS1_11target_archE908ELNS1_3gpuE7ELNS1_3repE0EEENS1_30default_config_static_selectorELNS0_4arch9wavefront6targetE0EEEvS13_.num_named_barrier, 0
	.set _ZN7rocprim17ROCPRIM_400000_NS6detail17trampoline_kernelINS0_13select_configILj256ELj13ELNS0_17block_load_methodE3ELS4_3ELS4_3ELNS0_20block_scan_algorithmE0ELj4294967295EEENS1_25partition_config_selectorILNS1_17partition_subalgoE4EjNS0_10empty_typeEbEEZZNS1_14partition_implILS8_4ELb0ES6_15HIP_vector_typeIjLj2EENS0_17counting_iteratorIjlEEPS9_SG_NS0_5tupleIJPjSI_NS0_16reverse_iteratorISI_EEEEENSH_IJSG_SG_SG_EEES9_SI_JZNS1_25segmented_radix_sort_implINS0_14default_configELb0EPK12hip_bfloat16PSP_PKlPlN2at6native12_GLOBAL__N_18offset_tEEE10hipError_tPvRmT1_PNSt15iterator_traitsIS13_E10value_typeET2_T3_PNS14_IS19_E10value_typeET4_jRbjT5_S1F_jjP12ihipStream_tbEUljE_ZNSN_ISO_Lb0ESR_SS_SU_SV_SZ_EES10_S11_S12_S13_S17_S18_S19_S1C_S1D_jS1E_jS1F_S1F_jjS1H_bEUljE0_EEES10_S11_S12_S19_S1D_S1F_T6_T7_T9_mT8_S1H_bDpT10_ENKUlT_T0_E_clISt17integral_constantIbLb0EES1V_EEDaS1Q_S1R_EUlS1Q_E_NS1_11comp_targetILNS1_3genE3ELNS1_11target_archE908ELNS1_3gpuE7ELNS1_3repE0EEENS1_30default_config_static_selectorELNS0_4arch9wavefront6targetE0EEEvS13_.private_seg_size, 0
	.set _ZN7rocprim17ROCPRIM_400000_NS6detail17trampoline_kernelINS0_13select_configILj256ELj13ELNS0_17block_load_methodE3ELS4_3ELS4_3ELNS0_20block_scan_algorithmE0ELj4294967295EEENS1_25partition_config_selectorILNS1_17partition_subalgoE4EjNS0_10empty_typeEbEEZZNS1_14partition_implILS8_4ELb0ES6_15HIP_vector_typeIjLj2EENS0_17counting_iteratorIjlEEPS9_SG_NS0_5tupleIJPjSI_NS0_16reverse_iteratorISI_EEEEENSH_IJSG_SG_SG_EEES9_SI_JZNS1_25segmented_radix_sort_implINS0_14default_configELb0EPK12hip_bfloat16PSP_PKlPlN2at6native12_GLOBAL__N_18offset_tEEE10hipError_tPvRmT1_PNSt15iterator_traitsIS13_E10value_typeET2_T3_PNS14_IS19_E10value_typeET4_jRbjT5_S1F_jjP12ihipStream_tbEUljE_ZNSN_ISO_Lb0ESR_SS_SU_SV_SZ_EES10_S11_S12_S13_S17_S18_S19_S1C_S1D_jS1E_jS1F_S1F_jjS1H_bEUljE0_EEES10_S11_S12_S19_S1D_S1F_T6_T7_T9_mT8_S1H_bDpT10_ENKUlT_T0_E_clISt17integral_constantIbLb0EES1V_EEDaS1Q_S1R_EUlS1Q_E_NS1_11comp_targetILNS1_3genE3ELNS1_11target_archE908ELNS1_3gpuE7ELNS1_3repE0EEENS1_30default_config_static_selectorELNS0_4arch9wavefront6targetE0EEEvS13_.uses_vcc, 0
	.set _ZN7rocprim17ROCPRIM_400000_NS6detail17trampoline_kernelINS0_13select_configILj256ELj13ELNS0_17block_load_methodE3ELS4_3ELS4_3ELNS0_20block_scan_algorithmE0ELj4294967295EEENS1_25partition_config_selectorILNS1_17partition_subalgoE4EjNS0_10empty_typeEbEEZZNS1_14partition_implILS8_4ELb0ES6_15HIP_vector_typeIjLj2EENS0_17counting_iteratorIjlEEPS9_SG_NS0_5tupleIJPjSI_NS0_16reverse_iteratorISI_EEEEENSH_IJSG_SG_SG_EEES9_SI_JZNS1_25segmented_radix_sort_implINS0_14default_configELb0EPK12hip_bfloat16PSP_PKlPlN2at6native12_GLOBAL__N_18offset_tEEE10hipError_tPvRmT1_PNSt15iterator_traitsIS13_E10value_typeET2_T3_PNS14_IS19_E10value_typeET4_jRbjT5_S1F_jjP12ihipStream_tbEUljE_ZNSN_ISO_Lb0ESR_SS_SU_SV_SZ_EES10_S11_S12_S13_S17_S18_S19_S1C_S1D_jS1E_jS1F_S1F_jjS1H_bEUljE0_EEES10_S11_S12_S19_S1D_S1F_T6_T7_T9_mT8_S1H_bDpT10_ENKUlT_T0_E_clISt17integral_constantIbLb0EES1V_EEDaS1Q_S1R_EUlS1Q_E_NS1_11comp_targetILNS1_3genE3ELNS1_11target_archE908ELNS1_3gpuE7ELNS1_3repE0EEENS1_30default_config_static_selectorELNS0_4arch9wavefront6targetE0EEEvS13_.uses_flat_scratch, 0
	.set _ZN7rocprim17ROCPRIM_400000_NS6detail17trampoline_kernelINS0_13select_configILj256ELj13ELNS0_17block_load_methodE3ELS4_3ELS4_3ELNS0_20block_scan_algorithmE0ELj4294967295EEENS1_25partition_config_selectorILNS1_17partition_subalgoE4EjNS0_10empty_typeEbEEZZNS1_14partition_implILS8_4ELb0ES6_15HIP_vector_typeIjLj2EENS0_17counting_iteratorIjlEEPS9_SG_NS0_5tupleIJPjSI_NS0_16reverse_iteratorISI_EEEEENSH_IJSG_SG_SG_EEES9_SI_JZNS1_25segmented_radix_sort_implINS0_14default_configELb0EPK12hip_bfloat16PSP_PKlPlN2at6native12_GLOBAL__N_18offset_tEEE10hipError_tPvRmT1_PNSt15iterator_traitsIS13_E10value_typeET2_T3_PNS14_IS19_E10value_typeET4_jRbjT5_S1F_jjP12ihipStream_tbEUljE_ZNSN_ISO_Lb0ESR_SS_SU_SV_SZ_EES10_S11_S12_S13_S17_S18_S19_S1C_S1D_jS1E_jS1F_S1F_jjS1H_bEUljE0_EEES10_S11_S12_S19_S1D_S1F_T6_T7_T9_mT8_S1H_bDpT10_ENKUlT_T0_E_clISt17integral_constantIbLb0EES1V_EEDaS1Q_S1R_EUlS1Q_E_NS1_11comp_targetILNS1_3genE3ELNS1_11target_archE908ELNS1_3gpuE7ELNS1_3repE0EEENS1_30default_config_static_selectorELNS0_4arch9wavefront6targetE0EEEvS13_.has_dyn_sized_stack, 0
	.set _ZN7rocprim17ROCPRIM_400000_NS6detail17trampoline_kernelINS0_13select_configILj256ELj13ELNS0_17block_load_methodE3ELS4_3ELS4_3ELNS0_20block_scan_algorithmE0ELj4294967295EEENS1_25partition_config_selectorILNS1_17partition_subalgoE4EjNS0_10empty_typeEbEEZZNS1_14partition_implILS8_4ELb0ES6_15HIP_vector_typeIjLj2EENS0_17counting_iteratorIjlEEPS9_SG_NS0_5tupleIJPjSI_NS0_16reverse_iteratorISI_EEEEENSH_IJSG_SG_SG_EEES9_SI_JZNS1_25segmented_radix_sort_implINS0_14default_configELb0EPK12hip_bfloat16PSP_PKlPlN2at6native12_GLOBAL__N_18offset_tEEE10hipError_tPvRmT1_PNSt15iterator_traitsIS13_E10value_typeET2_T3_PNS14_IS19_E10value_typeET4_jRbjT5_S1F_jjP12ihipStream_tbEUljE_ZNSN_ISO_Lb0ESR_SS_SU_SV_SZ_EES10_S11_S12_S13_S17_S18_S19_S1C_S1D_jS1E_jS1F_S1F_jjS1H_bEUljE0_EEES10_S11_S12_S19_S1D_S1F_T6_T7_T9_mT8_S1H_bDpT10_ENKUlT_T0_E_clISt17integral_constantIbLb0EES1V_EEDaS1Q_S1R_EUlS1Q_E_NS1_11comp_targetILNS1_3genE3ELNS1_11target_archE908ELNS1_3gpuE7ELNS1_3repE0EEENS1_30default_config_static_selectorELNS0_4arch9wavefront6targetE0EEEvS13_.has_recursion, 0
	.set _ZN7rocprim17ROCPRIM_400000_NS6detail17trampoline_kernelINS0_13select_configILj256ELj13ELNS0_17block_load_methodE3ELS4_3ELS4_3ELNS0_20block_scan_algorithmE0ELj4294967295EEENS1_25partition_config_selectorILNS1_17partition_subalgoE4EjNS0_10empty_typeEbEEZZNS1_14partition_implILS8_4ELb0ES6_15HIP_vector_typeIjLj2EENS0_17counting_iteratorIjlEEPS9_SG_NS0_5tupleIJPjSI_NS0_16reverse_iteratorISI_EEEEENSH_IJSG_SG_SG_EEES9_SI_JZNS1_25segmented_radix_sort_implINS0_14default_configELb0EPK12hip_bfloat16PSP_PKlPlN2at6native12_GLOBAL__N_18offset_tEEE10hipError_tPvRmT1_PNSt15iterator_traitsIS13_E10value_typeET2_T3_PNS14_IS19_E10value_typeET4_jRbjT5_S1F_jjP12ihipStream_tbEUljE_ZNSN_ISO_Lb0ESR_SS_SU_SV_SZ_EES10_S11_S12_S13_S17_S18_S19_S1C_S1D_jS1E_jS1F_S1F_jjS1H_bEUljE0_EEES10_S11_S12_S19_S1D_S1F_T6_T7_T9_mT8_S1H_bDpT10_ENKUlT_T0_E_clISt17integral_constantIbLb0EES1V_EEDaS1Q_S1R_EUlS1Q_E_NS1_11comp_targetILNS1_3genE3ELNS1_11target_archE908ELNS1_3gpuE7ELNS1_3repE0EEENS1_30default_config_static_selectorELNS0_4arch9wavefront6targetE0EEEvS13_.has_indirect_call, 0
	.section	.AMDGPU.csdata,"",@progbits
; Kernel info:
; codeLenInByte = 0
; TotalNumSgprs: 0
; NumVgprs: 0
; ScratchSize: 0
; MemoryBound: 0
; FloatMode: 240
; IeeeMode: 1
; LDSByteSize: 0 bytes/workgroup (compile time only)
; SGPRBlocks: 0
; VGPRBlocks: 0
; NumSGPRsForWavesPerEU: 1
; NumVGPRsForWavesPerEU: 1
; NamedBarCnt: 0
; Occupancy: 16
; WaveLimiterHint : 0
; COMPUTE_PGM_RSRC2:SCRATCH_EN: 0
; COMPUTE_PGM_RSRC2:USER_SGPR: 2
; COMPUTE_PGM_RSRC2:TRAP_HANDLER: 0
; COMPUTE_PGM_RSRC2:TGID_X_EN: 1
; COMPUTE_PGM_RSRC2:TGID_Y_EN: 0
; COMPUTE_PGM_RSRC2:TGID_Z_EN: 0
; COMPUTE_PGM_RSRC2:TIDIG_COMP_CNT: 0
	.section	.text._ZN7rocprim17ROCPRIM_400000_NS6detail17trampoline_kernelINS0_13select_configILj256ELj13ELNS0_17block_load_methodE3ELS4_3ELS4_3ELNS0_20block_scan_algorithmE0ELj4294967295EEENS1_25partition_config_selectorILNS1_17partition_subalgoE4EjNS0_10empty_typeEbEEZZNS1_14partition_implILS8_4ELb0ES6_15HIP_vector_typeIjLj2EENS0_17counting_iteratorIjlEEPS9_SG_NS0_5tupleIJPjSI_NS0_16reverse_iteratorISI_EEEEENSH_IJSG_SG_SG_EEES9_SI_JZNS1_25segmented_radix_sort_implINS0_14default_configELb0EPK12hip_bfloat16PSP_PKlPlN2at6native12_GLOBAL__N_18offset_tEEE10hipError_tPvRmT1_PNSt15iterator_traitsIS13_E10value_typeET2_T3_PNS14_IS19_E10value_typeET4_jRbjT5_S1F_jjP12ihipStream_tbEUljE_ZNSN_ISO_Lb0ESR_SS_SU_SV_SZ_EES10_S11_S12_S13_S17_S18_S19_S1C_S1D_jS1E_jS1F_S1F_jjS1H_bEUljE0_EEES10_S11_S12_S19_S1D_S1F_T6_T7_T9_mT8_S1H_bDpT10_ENKUlT_T0_E_clISt17integral_constantIbLb0EES1V_EEDaS1Q_S1R_EUlS1Q_E_NS1_11comp_targetILNS1_3genE2ELNS1_11target_archE906ELNS1_3gpuE6ELNS1_3repE0EEENS1_30default_config_static_selectorELNS0_4arch9wavefront6targetE0EEEvS13_,"axG",@progbits,_ZN7rocprim17ROCPRIM_400000_NS6detail17trampoline_kernelINS0_13select_configILj256ELj13ELNS0_17block_load_methodE3ELS4_3ELS4_3ELNS0_20block_scan_algorithmE0ELj4294967295EEENS1_25partition_config_selectorILNS1_17partition_subalgoE4EjNS0_10empty_typeEbEEZZNS1_14partition_implILS8_4ELb0ES6_15HIP_vector_typeIjLj2EENS0_17counting_iteratorIjlEEPS9_SG_NS0_5tupleIJPjSI_NS0_16reverse_iteratorISI_EEEEENSH_IJSG_SG_SG_EEES9_SI_JZNS1_25segmented_radix_sort_implINS0_14default_configELb0EPK12hip_bfloat16PSP_PKlPlN2at6native12_GLOBAL__N_18offset_tEEE10hipError_tPvRmT1_PNSt15iterator_traitsIS13_E10value_typeET2_T3_PNS14_IS19_E10value_typeET4_jRbjT5_S1F_jjP12ihipStream_tbEUljE_ZNSN_ISO_Lb0ESR_SS_SU_SV_SZ_EES10_S11_S12_S13_S17_S18_S19_S1C_S1D_jS1E_jS1F_S1F_jjS1H_bEUljE0_EEES10_S11_S12_S19_S1D_S1F_T6_T7_T9_mT8_S1H_bDpT10_ENKUlT_T0_E_clISt17integral_constantIbLb0EES1V_EEDaS1Q_S1R_EUlS1Q_E_NS1_11comp_targetILNS1_3genE2ELNS1_11target_archE906ELNS1_3gpuE6ELNS1_3repE0EEENS1_30default_config_static_selectorELNS0_4arch9wavefront6targetE0EEEvS13_,comdat
	.globl	_ZN7rocprim17ROCPRIM_400000_NS6detail17trampoline_kernelINS0_13select_configILj256ELj13ELNS0_17block_load_methodE3ELS4_3ELS4_3ELNS0_20block_scan_algorithmE0ELj4294967295EEENS1_25partition_config_selectorILNS1_17partition_subalgoE4EjNS0_10empty_typeEbEEZZNS1_14partition_implILS8_4ELb0ES6_15HIP_vector_typeIjLj2EENS0_17counting_iteratorIjlEEPS9_SG_NS0_5tupleIJPjSI_NS0_16reverse_iteratorISI_EEEEENSH_IJSG_SG_SG_EEES9_SI_JZNS1_25segmented_radix_sort_implINS0_14default_configELb0EPK12hip_bfloat16PSP_PKlPlN2at6native12_GLOBAL__N_18offset_tEEE10hipError_tPvRmT1_PNSt15iterator_traitsIS13_E10value_typeET2_T3_PNS14_IS19_E10value_typeET4_jRbjT5_S1F_jjP12ihipStream_tbEUljE_ZNSN_ISO_Lb0ESR_SS_SU_SV_SZ_EES10_S11_S12_S13_S17_S18_S19_S1C_S1D_jS1E_jS1F_S1F_jjS1H_bEUljE0_EEES10_S11_S12_S19_S1D_S1F_T6_T7_T9_mT8_S1H_bDpT10_ENKUlT_T0_E_clISt17integral_constantIbLb0EES1V_EEDaS1Q_S1R_EUlS1Q_E_NS1_11comp_targetILNS1_3genE2ELNS1_11target_archE906ELNS1_3gpuE6ELNS1_3repE0EEENS1_30default_config_static_selectorELNS0_4arch9wavefront6targetE0EEEvS13_ ; -- Begin function _ZN7rocprim17ROCPRIM_400000_NS6detail17trampoline_kernelINS0_13select_configILj256ELj13ELNS0_17block_load_methodE3ELS4_3ELS4_3ELNS0_20block_scan_algorithmE0ELj4294967295EEENS1_25partition_config_selectorILNS1_17partition_subalgoE4EjNS0_10empty_typeEbEEZZNS1_14partition_implILS8_4ELb0ES6_15HIP_vector_typeIjLj2EENS0_17counting_iteratorIjlEEPS9_SG_NS0_5tupleIJPjSI_NS0_16reverse_iteratorISI_EEEEENSH_IJSG_SG_SG_EEES9_SI_JZNS1_25segmented_radix_sort_implINS0_14default_configELb0EPK12hip_bfloat16PSP_PKlPlN2at6native12_GLOBAL__N_18offset_tEEE10hipError_tPvRmT1_PNSt15iterator_traitsIS13_E10value_typeET2_T3_PNS14_IS19_E10value_typeET4_jRbjT5_S1F_jjP12ihipStream_tbEUljE_ZNSN_ISO_Lb0ESR_SS_SU_SV_SZ_EES10_S11_S12_S13_S17_S18_S19_S1C_S1D_jS1E_jS1F_S1F_jjS1H_bEUljE0_EEES10_S11_S12_S19_S1D_S1F_T6_T7_T9_mT8_S1H_bDpT10_ENKUlT_T0_E_clISt17integral_constantIbLb0EES1V_EEDaS1Q_S1R_EUlS1Q_E_NS1_11comp_targetILNS1_3genE2ELNS1_11target_archE906ELNS1_3gpuE6ELNS1_3repE0EEENS1_30default_config_static_selectorELNS0_4arch9wavefront6targetE0EEEvS13_
	.p2align	8
	.type	_ZN7rocprim17ROCPRIM_400000_NS6detail17trampoline_kernelINS0_13select_configILj256ELj13ELNS0_17block_load_methodE3ELS4_3ELS4_3ELNS0_20block_scan_algorithmE0ELj4294967295EEENS1_25partition_config_selectorILNS1_17partition_subalgoE4EjNS0_10empty_typeEbEEZZNS1_14partition_implILS8_4ELb0ES6_15HIP_vector_typeIjLj2EENS0_17counting_iteratorIjlEEPS9_SG_NS0_5tupleIJPjSI_NS0_16reverse_iteratorISI_EEEEENSH_IJSG_SG_SG_EEES9_SI_JZNS1_25segmented_radix_sort_implINS0_14default_configELb0EPK12hip_bfloat16PSP_PKlPlN2at6native12_GLOBAL__N_18offset_tEEE10hipError_tPvRmT1_PNSt15iterator_traitsIS13_E10value_typeET2_T3_PNS14_IS19_E10value_typeET4_jRbjT5_S1F_jjP12ihipStream_tbEUljE_ZNSN_ISO_Lb0ESR_SS_SU_SV_SZ_EES10_S11_S12_S13_S17_S18_S19_S1C_S1D_jS1E_jS1F_S1F_jjS1H_bEUljE0_EEES10_S11_S12_S19_S1D_S1F_T6_T7_T9_mT8_S1H_bDpT10_ENKUlT_T0_E_clISt17integral_constantIbLb0EES1V_EEDaS1Q_S1R_EUlS1Q_E_NS1_11comp_targetILNS1_3genE2ELNS1_11target_archE906ELNS1_3gpuE6ELNS1_3repE0EEENS1_30default_config_static_selectorELNS0_4arch9wavefront6targetE0EEEvS13_,@function
_ZN7rocprim17ROCPRIM_400000_NS6detail17trampoline_kernelINS0_13select_configILj256ELj13ELNS0_17block_load_methodE3ELS4_3ELS4_3ELNS0_20block_scan_algorithmE0ELj4294967295EEENS1_25partition_config_selectorILNS1_17partition_subalgoE4EjNS0_10empty_typeEbEEZZNS1_14partition_implILS8_4ELb0ES6_15HIP_vector_typeIjLj2EENS0_17counting_iteratorIjlEEPS9_SG_NS0_5tupleIJPjSI_NS0_16reverse_iteratorISI_EEEEENSH_IJSG_SG_SG_EEES9_SI_JZNS1_25segmented_radix_sort_implINS0_14default_configELb0EPK12hip_bfloat16PSP_PKlPlN2at6native12_GLOBAL__N_18offset_tEEE10hipError_tPvRmT1_PNSt15iterator_traitsIS13_E10value_typeET2_T3_PNS14_IS19_E10value_typeET4_jRbjT5_S1F_jjP12ihipStream_tbEUljE_ZNSN_ISO_Lb0ESR_SS_SU_SV_SZ_EES10_S11_S12_S13_S17_S18_S19_S1C_S1D_jS1E_jS1F_S1F_jjS1H_bEUljE0_EEES10_S11_S12_S19_S1D_S1F_T6_T7_T9_mT8_S1H_bDpT10_ENKUlT_T0_E_clISt17integral_constantIbLb0EES1V_EEDaS1Q_S1R_EUlS1Q_E_NS1_11comp_targetILNS1_3genE2ELNS1_11target_archE906ELNS1_3gpuE6ELNS1_3repE0EEENS1_30default_config_static_selectorELNS0_4arch9wavefront6targetE0EEEvS13_: ; @_ZN7rocprim17ROCPRIM_400000_NS6detail17trampoline_kernelINS0_13select_configILj256ELj13ELNS0_17block_load_methodE3ELS4_3ELS4_3ELNS0_20block_scan_algorithmE0ELj4294967295EEENS1_25partition_config_selectorILNS1_17partition_subalgoE4EjNS0_10empty_typeEbEEZZNS1_14partition_implILS8_4ELb0ES6_15HIP_vector_typeIjLj2EENS0_17counting_iteratorIjlEEPS9_SG_NS0_5tupleIJPjSI_NS0_16reverse_iteratorISI_EEEEENSH_IJSG_SG_SG_EEES9_SI_JZNS1_25segmented_radix_sort_implINS0_14default_configELb0EPK12hip_bfloat16PSP_PKlPlN2at6native12_GLOBAL__N_18offset_tEEE10hipError_tPvRmT1_PNSt15iterator_traitsIS13_E10value_typeET2_T3_PNS14_IS19_E10value_typeET4_jRbjT5_S1F_jjP12ihipStream_tbEUljE_ZNSN_ISO_Lb0ESR_SS_SU_SV_SZ_EES10_S11_S12_S13_S17_S18_S19_S1C_S1D_jS1E_jS1F_S1F_jjS1H_bEUljE0_EEES10_S11_S12_S19_S1D_S1F_T6_T7_T9_mT8_S1H_bDpT10_ENKUlT_T0_E_clISt17integral_constantIbLb0EES1V_EEDaS1Q_S1R_EUlS1Q_E_NS1_11comp_targetILNS1_3genE2ELNS1_11target_archE906ELNS1_3gpuE6ELNS1_3repE0EEENS1_30default_config_static_selectorELNS0_4arch9wavefront6targetE0EEEvS13_
; %bb.0:
	.section	.rodata,"a",@progbits
	.p2align	6, 0x0
	.amdhsa_kernel _ZN7rocprim17ROCPRIM_400000_NS6detail17trampoline_kernelINS0_13select_configILj256ELj13ELNS0_17block_load_methodE3ELS4_3ELS4_3ELNS0_20block_scan_algorithmE0ELj4294967295EEENS1_25partition_config_selectorILNS1_17partition_subalgoE4EjNS0_10empty_typeEbEEZZNS1_14partition_implILS8_4ELb0ES6_15HIP_vector_typeIjLj2EENS0_17counting_iteratorIjlEEPS9_SG_NS0_5tupleIJPjSI_NS0_16reverse_iteratorISI_EEEEENSH_IJSG_SG_SG_EEES9_SI_JZNS1_25segmented_radix_sort_implINS0_14default_configELb0EPK12hip_bfloat16PSP_PKlPlN2at6native12_GLOBAL__N_18offset_tEEE10hipError_tPvRmT1_PNSt15iterator_traitsIS13_E10value_typeET2_T3_PNS14_IS19_E10value_typeET4_jRbjT5_S1F_jjP12ihipStream_tbEUljE_ZNSN_ISO_Lb0ESR_SS_SU_SV_SZ_EES10_S11_S12_S13_S17_S18_S19_S1C_S1D_jS1E_jS1F_S1F_jjS1H_bEUljE0_EEES10_S11_S12_S19_S1D_S1F_T6_T7_T9_mT8_S1H_bDpT10_ENKUlT_T0_E_clISt17integral_constantIbLb0EES1V_EEDaS1Q_S1R_EUlS1Q_E_NS1_11comp_targetILNS1_3genE2ELNS1_11target_archE906ELNS1_3gpuE6ELNS1_3repE0EEENS1_30default_config_static_selectorELNS0_4arch9wavefront6targetE0EEEvS13_
		.amdhsa_group_segment_fixed_size 0
		.amdhsa_private_segment_fixed_size 0
		.amdhsa_kernarg_size 176
		.amdhsa_user_sgpr_count 2
		.amdhsa_user_sgpr_dispatch_ptr 0
		.amdhsa_user_sgpr_queue_ptr 0
		.amdhsa_user_sgpr_kernarg_segment_ptr 1
		.amdhsa_user_sgpr_dispatch_id 0
		.amdhsa_user_sgpr_kernarg_preload_length 0
		.amdhsa_user_sgpr_kernarg_preload_offset 0
		.amdhsa_user_sgpr_private_segment_size 0
		.amdhsa_wavefront_size32 1
		.amdhsa_uses_dynamic_stack 0
		.amdhsa_enable_private_segment 0
		.amdhsa_system_sgpr_workgroup_id_x 1
		.amdhsa_system_sgpr_workgroup_id_y 0
		.amdhsa_system_sgpr_workgroup_id_z 0
		.amdhsa_system_sgpr_workgroup_info 0
		.amdhsa_system_vgpr_workitem_id 0
		.amdhsa_next_free_vgpr 1
		.amdhsa_next_free_sgpr 1
		.amdhsa_named_barrier_count 0
		.amdhsa_reserve_vcc 0
		.amdhsa_float_round_mode_32 0
		.amdhsa_float_round_mode_16_64 0
		.amdhsa_float_denorm_mode_32 3
		.amdhsa_float_denorm_mode_16_64 3
		.amdhsa_fp16_overflow 0
		.amdhsa_memory_ordered 1
		.amdhsa_forward_progress 1
		.amdhsa_inst_pref_size 0
		.amdhsa_round_robin_scheduling 0
		.amdhsa_exception_fp_ieee_invalid_op 0
		.amdhsa_exception_fp_denorm_src 0
		.amdhsa_exception_fp_ieee_div_zero 0
		.amdhsa_exception_fp_ieee_overflow 0
		.amdhsa_exception_fp_ieee_underflow 0
		.amdhsa_exception_fp_ieee_inexact 0
		.amdhsa_exception_int_div_zero 0
	.end_amdhsa_kernel
	.section	.text._ZN7rocprim17ROCPRIM_400000_NS6detail17trampoline_kernelINS0_13select_configILj256ELj13ELNS0_17block_load_methodE3ELS4_3ELS4_3ELNS0_20block_scan_algorithmE0ELj4294967295EEENS1_25partition_config_selectorILNS1_17partition_subalgoE4EjNS0_10empty_typeEbEEZZNS1_14partition_implILS8_4ELb0ES6_15HIP_vector_typeIjLj2EENS0_17counting_iteratorIjlEEPS9_SG_NS0_5tupleIJPjSI_NS0_16reverse_iteratorISI_EEEEENSH_IJSG_SG_SG_EEES9_SI_JZNS1_25segmented_radix_sort_implINS0_14default_configELb0EPK12hip_bfloat16PSP_PKlPlN2at6native12_GLOBAL__N_18offset_tEEE10hipError_tPvRmT1_PNSt15iterator_traitsIS13_E10value_typeET2_T3_PNS14_IS19_E10value_typeET4_jRbjT5_S1F_jjP12ihipStream_tbEUljE_ZNSN_ISO_Lb0ESR_SS_SU_SV_SZ_EES10_S11_S12_S13_S17_S18_S19_S1C_S1D_jS1E_jS1F_S1F_jjS1H_bEUljE0_EEES10_S11_S12_S19_S1D_S1F_T6_T7_T9_mT8_S1H_bDpT10_ENKUlT_T0_E_clISt17integral_constantIbLb0EES1V_EEDaS1Q_S1R_EUlS1Q_E_NS1_11comp_targetILNS1_3genE2ELNS1_11target_archE906ELNS1_3gpuE6ELNS1_3repE0EEENS1_30default_config_static_selectorELNS0_4arch9wavefront6targetE0EEEvS13_,"axG",@progbits,_ZN7rocprim17ROCPRIM_400000_NS6detail17trampoline_kernelINS0_13select_configILj256ELj13ELNS0_17block_load_methodE3ELS4_3ELS4_3ELNS0_20block_scan_algorithmE0ELj4294967295EEENS1_25partition_config_selectorILNS1_17partition_subalgoE4EjNS0_10empty_typeEbEEZZNS1_14partition_implILS8_4ELb0ES6_15HIP_vector_typeIjLj2EENS0_17counting_iteratorIjlEEPS9_SG_NS0_5tupleIJPjSI_NS0_16reverse_iteratorISI_EEEEENSH_IJSG_SG_SG_EEES9_SI_JZNS1_25segmented_radix_sort_implINS0_14default_configELb0EPK12hip_bfloat16PSP_PKlPlN2at6native12_GLOBAL__N_18offset_tEEE10hipError_tPvRmT1_PNSt15iterator_traitsIS13_E10value_typeET2_T3_PNS14_IS19_E10value_typeET4_jRbjT5_S1F_jjP12ihipStream_tbEUljE_ZNSN_ISO_Lb0ESR_SS_SU_SV_SZ_EES10_S11_S12_S13_S17_S18_S19_S1C_S1D_jS1E_jS1F_S1F_jjS1H_bEUljE0_EEES10_S11_S12_S19_S1D_S1F_T6_T7_T9_mT8_S1H_bDpT10_ENKUlT_T0_E_clISt17integral_constantIbLb0EES1V_EEDaS1Q_S1R_EUlS1Q_E_NS1_11comp_targetILNS1_3genE2ELNS1_11target_archE906ELNS1_3gpuE6ELNS1_3repE0EEENS1_30default_config_static_selectorELNS0_4arch9wavefront6targetE0EEEvS13_,comdat
.Lfunc_end1979:
	.size	_ZN7rocprim17ROCPRIM_400000_NS6detail17trampoline_kernelINS0_13select_configILj256ELj13ELNS0_17block_load_methodE3ELS4_3ELS4_3ELNS0_20block_scan_algorithmE0ELj4294967295EEENS1_25partition_config_selectorILNS1_17partition_subalgoE4EjNS0_10empty_typeEbEEZZNS1_14partition_implILS8_4ELb0ES6_15HIP_vector_typeIjLj2EENS0_17counting_iteratorIjlEEPS9_SG_NS0_5tupleIJPjSI_NS0_16reverse_iteratorISI_EEEEENSH_IJSG_SG_SG_EEES9_SI_JZNS1_25segmented_radix_sort_implINS0_14default_configELb0EPK12hip_bfloat16PSP_PKlPlN2at6native12_GLOBAL__N_18offset_tEEE10hipError_tPvRmT1_PNSt15iterator_traitsIS13_E10value_typeET2_T3_PNS14_IS19_E10value_typeET4_jRbjT5_S1F_jjP12ihipStream_tbEUljE_ZNSN_ISO_Lb0ESR_SS_SU_SV_SZ_EES10_S11_S12_S13_S17_S18_S19_S1C_S1D_jS1E_jS1F_S1F_jjS1H_bEUljE0_EEES10_S11_S12_S19_S1D_S1F_T6_T7_T9_mT8_S1H_bDpT10_ENKUlT_T0_E_clISt17integral_constantIbLb0EES1V_EEDaS1Q_S1R_EUlS1Q_E_NS1_11comp_targetILNS1_3genE2ELNS1_11target_archE906ELNS1_3gpuE6ELNS1_3repE0EEENS1_30default_config_static_selectorELNS0_4arch9wavefront6targetE0EEEvS13_, .Lfunc_end1979-_ZN7rocprim17ROCPRIM_400000_NS6detail17trampoline_kernelINS0_13select_configILj256ELj13ELNS0_17block_load_methodE3ELS4_3ELS4_3ELNS0_20block_scan_algorithmE0ELj4294967295EEENS1_25partition_config_selectorILNS1_17partition_subalgoE4EjNS0_10empty_typeEbEEZZNS1_14partition_implILS8_4ELb0ES6_15HIP_vector_typeIjLj2EENS0_17counting_iteratorIjlEEPS9_SG_NS0_5tupleIJPjSI_NS0_16reverse_iteratorISI_EEEEENSH_IJSG_SG_SG_EEES9_SI_JZNS1_25segmented_radix_sort_implINS0_14default_configELb0EPK12hip_bfloat16PSP_PKlPlN2at6native12_GLOBAL__N_18offset_tEEE10hipError_tPvRmT1_PNSt15iterator_traitsIS13_E10value_typeET2_T3_PNS14_IS19_E10value_typeET4_jRbjT5_S1F_jjP12ihipStream_tbEUljE_ZNSN_ISO_Lb0ESR_SS_SU_SV_SZ_EES10_S11_S12_S13_S17_S18_S19_S1C_S1D_jS1E_jS1F_S1F_jjS1H_bEUljE0_EEES10_S11_S12_S19_S1D_S1F_T6_T7_T9_mT8_S1H_bDpT10_ENKUlT_T0_E_clISt17integral_constantIbLb0EES1V_EEDaS1Q_S1R_EUlS1Q_E_NS1_11comp_targetILNS1_3genE2ELNS1_11target_archE906ELNS1_3gpuE6ELNS1_3repE0EEENS1_30default_config_static_selectorELNS0_4arch9wavefront6targetE0EEEvS13_
                                        ; -- End function
	.set _ZN7rocprim17ROCPRIM_400000_NS6detail17trampoline_kernelINS0_13select_configILj256ELj13ELNS0_17block_load_methodE3ELS4_3ELS4_3ELNS0_20block_scan_algorithmE0ELj4294967295EEENS1_25partition_config_selectorILNS1_17partition_subalgoE4EjNS0_10empty_typeEbEEZZNS1_14partition_implILS8_4ELb0ES6_15HIP_vector_typeIjLj2EENS0_17counting_iteratorIjlEEPS9_SG_NS0_5tupleIJPjSI_NS0_16reverse_iteratorISI_EEEEENSH_IJSG_SG_SG_EEES9_SI_JZNS1_25segmented_radix_sort_implINS0_14default_configELb0EPK12hip_bfloat16PSP_PKlPlN2at6native12_GLOBAL__N_18offset_tEEE10hipError_tPvRmT1_PNSt15iterator_traitsIS13_E10value_typeET2_T3_PNS14_IS19_E10value_typeET4_jRbjT5_S1F_jjP12ihipStream_tbEUljE_ZNSN_ISO_Lb0ESR_SS_SU_SV_SZ_EES10_S11_S12_S13_S17_S18_S19_S1C_S1D_jS1E_jS1F_S1F_jjS1H_bEUljE0_EEES10_S11_S12_S19_S1D_S1F_T6_T7_T9_mT8_S1H_bDpT10_ENKUlT_T0_E_clISt17integral_constantIbLb0EES1V_EEDaS1Q_S1R_EUlS1Q_E_NS1_11comp_targetILNS1_3genE2ELNS1_11target_archE906ELNS1_3gpuE6ELNS1_3repE0EEENS1_30default_config_static_selectorELNS0_4arch9wavefront6targetE0EEEvS13_.num_vgpr, 0
	.set _ZN7rocprim17ROCPRIM_400000_NS6detail17trampoline_kernelINS0_13select_configILj256ELj13ELNS0_17block_load_methodE3ELS4_3ELS4_3ELNS0_20block_scan_algorithmE0ELj4294967295EEENS1_25partition_config_selectorILNS1_17partition_subalgoE4EjNS0_10empty_typeEbEEZZNS1_14partition_implILS8_4ELb0ES6_15HIP_vector_typeIjLj2EENS0_17counting_iteratorIjlEEPS9_SG_NS0_5tupleIJPjSI_NS0_16reverse_iteratorISI_EEEEENSH_IJSG_SG_SG_EEES9_SI_JZNS1_25segmented_radix_sort_implINS0_14default_configELb0EPK12hip_bfloat16PSP_PKlPlN2at6native12_GLOBAL__N_18offset_tEEE10hipError_tPvRmT1_PNSt15iterator_traitsIS13_E10value_typeET2_T3_PNS14_IS19_E10value_typeET4_jRbjT5_S1F_jjP12ihipStream_tbEUljE_ZNSN_ISO_Lb0ESR_SS_SU_SV_SZ_EES10_S11_S12_S13_S17_S18_S19_S1C_S1D_jS1E_jS1F_S1F_jjS1H_bEUljE0_EEES10_S11_S12_S19_S1D_S1F_T6_T7_T9_mT8_S1H_bDpT10_ENKUlT_T0_E_clISt17integral_constantIbLb0EES1V_EEDaS1Q_S1R_EUlS1Q_E_NS1_11comp_targetILNS1_3genE2ELNS1_11target_archE906ELNS1_3gpuE6ELNS1_3repE0EEENS1_30default_config_static_selectorELNS0_4arch9wavefront6targetE0EEEvS13_.num_agpr, 0
	.set _ZN7rocprim17ROCPRIM_400000_NS6detail17trampoline_kernelINS0_13select_configILj256ELj13ELNS0_17block_load_methodE3ELS4_3ELS4_3ELNS0_20block_scan_algorithmE0ELj4294967295EEENS1_25partition_config_selectorILNS1_17partition_subalgoE4EjNS0_10empty_typeEbEEZZNS1_14partition_implILS8_4ELb0ES6_15HIP_vector_typeIjLj2EENS0_17counting_iteratorIjlEEPS9_SG_NS0_5tupleIJPjSI_NS0_16reverse_iteratorISI_EEEEENSH_IJSG_SG_SG_EEES9_SI_JZNS1_25segmented_radix_sort_implINS0_14default_configELb0EPK12hip_bfloat16PSP_PKlPlN2at6native12_GLOBAL__N_18offset_tEEE10hipError_tPvRmT1_PNSt15iterator_traitsIS13_E10value_typeET2_T3_PNS14_IS19_E10value_typeET4_jRbjT5_S1F_jjP12ihipStream_tbEUljE_ZNSN_ISO_Lb0ESR_SS_SU_SV_SZ_EES10_S11_S12_S13_S17_S18_S19_S1C_S1D_jS1E_jS1F_S1F_jjS1H_bEUljE0_EEES10_S11_S12_S19_S1D_S1F_T6_T7_T9_mT8_S1H_bDpT10_ENKUlT_T0_E_clISt17integral_constantIbLb0EES1V_EEDaS1Q_S1R_EUlS1Q_E_NS1_11comp_targetILNS1_3genE2ELNS1_11target_archE906ELNS1_3gpuE6ELNS1_3repE0EEENS1_30default_config_static_selectorELNS0_4arch9wavefront6targetE0EEEvS13_.numbered_sgpr, 0
	.set _ZN7rocprim17ROCPRIM_400000_NS6detail17trampoline_kernelINS0_13select_configILj256ELj13ELNS0_17block_load_methodE3ELS4_3ELS4_3ELNS0_20block_scan_algorithmE0ELj4294967295EEENS1_25partition_config_selectorILNS1_17partition_subalgoE4EjNS0_10empty_typeEbEEZZNS1_14partition_implILS8_4ELb0ES6_15HIP_vector_typeIjLj2EENS0_17counting_iteratorIjlEEPS9_SG_NS0_5tupleIJPjSI_NS0_16reverse_iteratorISI_EEEEENSH_IJSG_SG_SG_EEES9_SI_JZNS1_25segmented_radix_sort_implINS0_14default_configELb0EPK12hip_bfloat16PSP_PKlPlN2at6native12_GLOBAL__N_18offset_tEEE10hipError_tPvRmT1_PNSt15iterator_traitsIS13_E10value_typeET2_T3_PNS14_IS19_E10value_typeET4_jRbjT5_S1F_jjP12ihipStream_tbEUljE_ZNSN_ISO_Lb0ESR_SS_SU_SV_SZ_EES10_S11_S12_S13_S17_S18_S19_S1C_S1D_jS1E_jS1F_S1F_jjS1H_bEUljE0_EEES10_S11_S12_S19_S1D_S1F_T6_T7_T9_mT8_S1H_bDpT10_ENKUlT_T0_E_clISt17integral_constantIbLb0EES1V_EEDaS1Q_S1R_EUlS1Q_E_NS1_11comp_targetILNS1_3genE2ELNS1_11target_archE906ELNS1_3gpuE6ELNS1_3repE0EEENS1_30default_config_static_selectorELNS0_4arch9wavefront6targetE0EEEvS13_.num_named_barrier, 0
	.set _ZN7rocprim17ROCPRIM_400000_NS6detail17trampoline_kernelINS0_13select_configILj256ELj13ELNS0_17block_load_methodE3ELS4_3ELS4_3ELNS0_20block_scan_algorithmE0ELj4294967295EEENS1_25partition_config_selectorILNS1_17partition_subalgoE4EjNS0_10empty_typeEbEEZZNS1_14partition_implILS8_4ELb0ES6_15HIP_vector_typeIjLj2EENS0_17counting_iteratorIjlEEPS9_SG_NS0_5tupleIJPjSI_NS0_16reverse_iteratorISI_EEEEENSH_IJSG_SG_SG_EEES9_SI_JZNS1_25segmented_radix_sort_implINS0_14default_configELb0EPK12hip_bfloat16PSP_PKlPlN2at6native12_GLOBAL__N_18offset_tEEE10hipError_tPvRmT1_PNSt15iterator_traitsIS13_E10value_typeET2_T3_PNS14_IS19_E10value_typeET4_jRbjT5_S1F_jjP12ihipStream_tbEUljE_ZNSN_ISO_Lb0ESR_SS_SU_SV_SZ_EES10_S11_S12_S13_S17_S18_S19_S1C_S1D_jS1E_jS1F_S1F_jjS1H_bEUljE0_EEES10_S11_S12_S19_S1D_S1F_T6_T7_T9_mT8_S1H_bDpT10_ENKUlT_T0_E_clISt17integral_constantIbLb0EES1V_EEDaS1Q_S1R_EUlS1Q_E_NS1_11comp_targetILNS1_3genE2ELNS1_11target_archE906ELNS1_3gpuE6ELNS1_3repE0EEENS1_30default_config_static_selectorELNS0_4arch9wavefront6targetE0EEEvS13_.private_seg_size, 0
	.set _ZN7rocprim17ROCPRIM_400000_NS6detail17trampoline_kernelINS0_13select_configILj256ELj13ELNS0_17block_load_methodE3ELS4_3ELS4_3ELNS0_20block_scan_algorithmE0ELj4294967295EEENS1_25partition_config_selectorILNS1_17partition_subalgoE4EjNS0_10empty_typeEbEEZZNS1_14partition_implILS8_4ELb0ES6_15HIP_vector_typeIjLj2EENS0_17counting_iteratorIjlEEPS9_SG_NS0_5tupleIJPjSI_NS0_16reverse_iteratorISI_EEEEENSH_IJSG_SG_SG_EEES9_SI_JZNS1_25segmented_radix_sort_implINS0_14default_configELb0EPK12hip_bfloat16PSP_PKlPlN2at6native12_GLOBAL__N_18offset_tEEE10hipError_tPvRmT1_PNSt15iterator_traitsIS13_E10value_typeET2_T3_PNS14_IS19_E10value_typeET4_jRbjT5_S1F_jjP12ihipStream_tbEUljE_ZNSN_ISO_Lb0ESR_SS_SU_SV_SZ_EES10_S11_S12_S13_S17_S18_S19_S1C_S1D_jS1E_jS1F_S1F_jjS1H_bEUljE0_EEES10_S11_S12_S19_S1D_S1F_T6_T7_T9_mT8_S1H_bDpT10_ENKUlT_T0_E_clISt17integral_constantIbLb0EES1V_EEDaS1Q_S1R_EUlS1Q_E_NS1_11comp_targetILNS1_3genE2ELNS1_11target_archE906ELNS1_3gpuE6ELNS1_3repE0EEENS1_30default_config_static_selectorELNS0_4arch9wavefront6targetE0EEEvS13_.uses_vcc, 0
	.set _ZN7rocprim17ROCPRIM_400000_NS6detail17trampoline_kernelINS0_13select_configILj256ELj13ELNS0_17block_load_methodE3ELS4_3ELS4_3ELNS0_20block_scan_algorithmE0ELj4294967295EEENS1_25partition_config_selectorILNS1_17partition_subalgoE4EjNS0_10empty_typeEbEEZZNS1_14partition_implILS8_4ELb0ES6_15HIP_vector_typeIjLj2EENS0_17counting_iteratorIjlEEPS9_SG_NS0_5tupleIJPjSI_NS0_16reverse_iteratorISI_EEEEENSH_IJSG_SG_SG_EEES9_SI_JZNS1_25segmented_radix_sort_implINS0_14default_configELb0EPK12hip_bfloat16PSP_PKlPlN2at6native12_GLOBAL__N_18offset_tEEE10hipError_tPvRmT1_PNSt15iterator_traitsIS13_E10value_typeET2_T3_PNS14_IS19_E10value_typeET4_jRbjT5_S1F_jjP12ihipStream_tbEUljE_ZNSN_ISO_Lb0ESR_SS_SU_SV_SZ_EES10_S11_S12_S13_S17_S18_S19_S1C_S1D_jS1E_jS1F_S1F_jjS1H_bEUljE0_EEES10_S11_S12_S19_S1D_S1F_T6_T7_T9_mT8_S1H_bDpT10_ENKUlT_T0_E_clISt17integral_constantIbLb0EES1V_EEDaS1Q_S1R_EUlS1Q_E_NS1_11comp_targetILNS1_3genE2ELNS1_11target_archE906ELNS1_3gpuE6ELNS1_3repE0EEENS1_30default_config_static_selectorELNS0_4arch9wavefront6targetE0EEEvS13_.uses_flat_scratch, 0
	.set _ZN7rocprim17ROCPRIM_400000_NS6detail17trampoline_kernelINS0_13select_configILj256ELj13ELNS0_17block_load_methodE3ELS4_3ELS4_3ELNS0_20block_scan_algorithmE0ELj4294967295EEENS1_25partition_config_selectorILNS1_17partition_subalgoE4EjNS0_10empty_typeEbEEZZNS1_14partition_implILS8_4ELb0ES6_15HIP_vector_typeIjLj2EENS0_17counting_iteratorIjlEEPS9_SG_NS0_5tupleIJPjSI_NS0_16reverse_iteratorISI_EEEEENSH_IJSG_SG_SG_EEES9_SI_JZNS1_25segmented_radix_sort_implINS0_14default_configELb0EPK12hip_bfloat16PSP_PKlPlN2at6native12_GLOBAL__N_18offset_tEEE10hipError_tPvRmT1_PNSt15iterator_traitsIS13_E10value_typeET2_T3_PNS14_IS19_E10value_typeET4_jRbjT5_S1F_jjP12ihipStream_tbEUljE_ZNSN_ISO_Lb0ESR_SS_SU_SV_SZ_EES10_S11_S12_S13_S17_S18_S19_S1C_S1D_jS1E_jS1F_S1F_jjS1H_bEUljE0_EEES10_S11_S12_S19_S1D_S1F_T6_T7_T9_mT8_S1H_bDpT10_ENKUlT_T0_E_clISt17integral_constantIbLb0EES1V_EEDaS1Q_S1R_EUlS1Q_E_NS1_11comp_targetILNS1_3genE2ELNS1_11target_archE906ELNS1_3gpuE6ELNS1_3repE0EEENS1_30default_config_static_selectorELNS0_4arch9wavefront6targetE0EEEvS13_.has_dyn_sized_stack, 0
	.set _ZN7rocprim17ROCPRIM_400000_NS6detail17trampoline_kernelINS0_13select_configILj256ELj13ELNS0_17block_load_methodE3ELS4_3ELS4_3ELNS0_20block_scan_algorithmE0ELj4294967295EEENS1_25partition_config_selectorILNS1_17partition_subalgoE4EjNS0_10empty_typeEbEEZZNS1_14partition_implILS8_4ELb0ES6_15HIP_vector_typeIjLj2EENS0_17counting_iteratorIjlEEPS9_SG_NS0_5tupleIJPjSI_NS0_16reverse_iteratorISI_EEEEENSH_IJSG_SG_SG_EEES9_SI_JZNS1_25segmented_radix_sort_implINS0_14default_configELb0EPK12hip_bfloat16PSP_PKlPlN2at6native12_GLOBAL__N_18offset_tEEE10hipError_tPvRmT1_PNSt15iterator_traitsIS13_E10value_typeET2_T3_PNS14_IS19_E10value_typeET4_jRbjT5_S1F_jjP12ihipStream_tbEUljE_ZNSN_ISO_Lb0ESR_SS_SU_SV_SZ_EES10_S11_S12_S13_S17_S18_S19_S1C_S1D_jS1E_jS1F_S1F_jjS1H_bEUljE0_EEES10_S11_S12_S19_S1D_S1F_T6_T7_T9_mT8_S1H_bDpT10_ENKUlT_T0_E_clISt17integral_constantIbLb0EES1V_EEDaS1Q_S1R_EUlS1Q_E_NS1_11comp_targetILNS1_3genE2ELNS1_11target_archE906ELNS1_3gpuE6ELNS1_3repE0EEENS1_30default_config_static_selectorELNS0_4arch9wavefront6targetE0EEEvS13_.has_recursion, 0
	.set _ZN7rocprim17ROCPRIM_400000_NS6detail17trampoline_kernelINS0_13select_configILj256ELj13ELNS0_17block_load_methodE3ELS4_3ELS4_3ELNS0_20block_scan_algorithmE0ELj4294967295EEENS1_25partition_config_selectorILNS1_17partition_subalgoE4EjNS0_10empty_typeEbEEZZNS1_14partition_implILS8_4ELb0ES6_15HIP_vector_typeIjLj2EENS0_17counting_iteratorIjlEEPS9_SG_NS0_5tupleIJPjSI_NS0_16reverse_iteratorISI_EEEEENSH_IJSG_SG_SG_EEES9_SI_JZNS1_25segmented_radix_sort_implINS0_14default_configELb0EPK12hip_bfloat16PSP_PKlPlN2at6native12_GLOBAL__N_18offset_tEEE10hipError_tPvRmT1_PNSt15iterator_traitsIS13_E10value_typeET2_T3_PNS14_IS19_E10value_typeET4_jRbjT5_S1F_jjP12ihipStream_tbEUljE_ZNSN_ISO_Lb0ESR_SS_SU_SV_SZ_EES10_S11_S12_S13_S17_S18_S19_S1C_S1D_jS1E_jS1F_S1F_jjS1H_bEUljE0_EEES10_S11_S12_S19_S1D_S1F_T6_T7_T9_mT8_S1H_bDpT10_ENKUlT_T0_E_clISt17integral_constantIbLb0EES1V_EEDaS1Q_S1R_EUlS1Q_E_NS1_11comp_targetILNS1_3genE2ELNS1_11target_archE906ELNS1_3gpuE6ELNS1_3repE0EEENS1_30default_config_static_selectorELNS0_4arch9wavefront6targetE0EEEvS13_.has_indirect_call, 0
	.section	.AMDGPU.csdata,"",@progbits
; Kernel info:
; codeLenInByte = 0
; TotalNumSgprs: 0
; NumVgprs: 0
; ScratchSize: 0
; MemoryBound: 0
; FloatMode: 240
; IeeeMode: 1
; LDSByteSize: 0 bytes/workgroup (compile time only)
; SGPRBlocks: 0
; VGPRBlocks: 0
; NumSGPRsForWavesPerEU: 1
; NumVGPRsForWavesPerEU: 1
; NamedBarCnt: 0
; Occupancy: 16
; WaveLimiterHint : 0
; COMPUTE_PGM_RSRC2:SCRATCH_EN: 0
; COMPUTE_PGM_RSRC2:USER_SGPR: 2
; COMPUTE_PGM_RSRC2:TRAP_HANDLER: 0
; COMPUTE_PGM_RSRC2:TGID_X_EN: 1
; COMPUTE_PGM_RSRC2:TGID_Y_EN: 0
; COMPUTE_PGM_RSRC2:TGID_Z_EN: 0
; COMPUTE_PGM_RSRC2:TIDIG_COMP_CNT: 0
	.section	.text._ZN7rocprim17ROCPRIM_400000_NS6detail17trampoline_kernelINS0_13select_configILj256ELj13ELNS0_17block_load_methodE3ELS4_3ELS4_3ELNS0_20block_scan_algorithmE0ELj4294967295EEENS1_25partition_config_selectorILNS1_17partition_subalgoE4EjNS0_10empty_typeEbEEZZNS1_14partition_implILS8_4ELb0ES6_15HIP_vector_typeIjLj2EENS0_17counting_iteratorIjlEEPS9_SG_NS0_5tupleIJPjSI_NS0_16reverse_iteratorISI_EEEEENSH_IJSG_SG_SG_EEES9_SI_JZNS1_25segmented_radix_sort_implINS0_14default_configELb0EPK12hip_bfloat16PSP_PKlPlN2at6native12_GLOBAL__N_18offset_tEEE10hipError_tPvRmT1_PNSt15iterator_traitsIS13_E10value_typeET2_T3_PNS14_IS19_E10value_typeET4_jRbjT5_S1F_jjP12ihipStream_tbEUljE_ZNSN_ISO_Lb0ESR_SS_SU_SV_SZ_EES10_S11_S12_S13_S17_S18_S19_S1C_S1D_jS1E_jS1F_S1F_jjS1H_bEUljE0_EEES10_S11_S12_S19_S1D_S1F_T6_T7_T9_mT8_S1H_bDpT10_ENKUlT_T0_E_clISt17integral_constantIbLb0EES1V_EEDaS1Q_S1R_EUlS1Q_E_NS1_11comp_targetILNS1_3genE10ELNS1_11target_archE1200ELNS1_3gpuE4ELNS1_3repE0EEENS1_30default_config_static_selectorELNS0_4arch9wavefront6targetE0EEEvS13_,"axG",@progbits,_ZN7rocprim17ROCPRIM_400000_NS6detail17trampoline_kernelINS0_13select_configILj256ELj13ELNS0_17block_load_methodE3ELS4_3ELS4_3ELNS0_20block_scan_algorithmE0ELj4294967295EEENS1_25partition_config_selectorILNS1_17partition_subalgoE4EjNS0_10empty_typeEbEEZZNS1_14partition_implILS8_4ELb0ES6_15HIP_vector_typeIjLj2EENS0_17counting_iteratorIjlEEPS9_SG_NS0_5tupleIJPjSI_NS0_16reverse_iteratorISI_EEEEENSH_IJSG_SG_SG_EEES9_SI_JZNS1_25segmented_radix_sort_implINS0_14default_configELb0EPK12hip_bfloat16PSP_PKlPlN2at6native12_GLOBAL__N_18offset_tEEE10hipError_tPvRmT1_PNSt15iterator_traitsIS13_E10value_typeET2_T3_PNS14_IS19_E10value_typeET4_jRbjT5_S1F_jjP12ihipStream_tbEUljE_ZNSN_ISO_Lb0ESR_SS_SU_SV_SZ_EES10_S11_S12_S13_S17_S18_S19_S1C_S1D_jS1E_jS1F_S1F_jjS1H_bEUljE0_EEES10_S11_S12_S19_S1D_S1F_T6_T7_T9_mT8_S1H_bDpT10_ENKUlT_T0_E_clISt17integral_constantIbLb0EES1V_EEDaS1Q_S1R_EUlS1Q_E_NS1_11comp_targetILNS1_3genE10ELNS1_11target_archE1200ELNS1_3gpuE4ELNS1_3repE0EEENS1_30default_config_static_selectorELNS0_4arch9wavefront6targetE0EEEvS13_,comdat
	.globl	_ZN7rocprim17ROCPRIM_400000_NS6detail17trampoline_kernelINS0_13select_configILj256ELj13ELNS0_17block_load_methodE3ELS4_3ELS4_3ELNS0_20block_scan_algorithmE0ELj4294967295EEENS1_25partition_config_selectorILNS1_17partition_subalgoE4EjNS0_10empty_typeEbEEZZNS1_14partition_implILS8_4ELb0ES6_15HIP_vector_typeIjLj2EENS0_17counting_iteratorIjlEEPS9_SG_NS0_5tupleIJPjSI_NS0_16reverse_iteratorISI_EEEEENSH_IJSG_SG_SG_EEES9_SI_JZNS1_25segmented_radix_sort_implINS0_14default_configELb0EPK12hip_bfloat16PSP_PKlPlN2at6native12_GLOBAL__N_18offset_tEEE10hipError_tPvRmT1_PNSt15iterator_traitsIS13_E10value_typeET2_T3_PNS14_IS19_E10value_typeET4_jRbjT5_S1F_jjP12ihipStream_tbEUljE_ZNSN_ISO_Lb0ESR_SS_SU_SV_SZ_EES10_S11_S12_S13_S17_S18_S19_S1C_S1D_jS1E_jS1F_S1F_jjS1H_bEUljE0_EEES10_S11_S12_S19_S1D_S1F_T6_T7_T9_mT8_S1H_bDpT10_ENKUlT_T0_E_clISt17integral_constantIbLb0EES1V_EEDaS1Q_S1R_EUlS1Q_E_NS1_11comp_targetILNS1_3genE10ELNS1_11target_archE1200ELNS1_3gpuE4ELNS1_3repE0EEENS1_30default_config_static_selectorELNS0_4arch9wavefront6targetE0EEEvS13_ ; -- Begin function _ZN7rocprim17ROCPRIM_400000_NS6detail17trampoline_kernelINS0_13select_configILj256ELj13ELNS0_17block_load_methodE3ELS4_3ELS4_3ELNS0_20block_scan_algorithmE0ELj4294967295EEENS1_25partition_config_selectorILNS1_17partition_subalgoE4EjNS0_10empty_typeEbEEZZNS1_14partition_implILS8_4ELb0ES6_15HIP_vector_typeIjLj2EENS0_17counting_iteratorIjlEEPS9_SG_NS0_5tupleIJPjSI_NS0_16reverse_iteratorISI_EEEEENSH_IJSG_SG_SG_EEES9_SI_JZNS1_25segmented_radix_sort_implINS0_14default_configELb0EPK12hip_bfloat16PSP_PKlPlN2at6native12_GLOBAL__N_18offset_tEEE10hipError_tPvRmT1_PNSt15iterator_traitsIS13_E10value_typeET2_T3_PNS14_IS19_E10value_typeET4_jRbjT5_S1F_jjP12ihipStream_tbEUljE_ZNSN_ISO_Lb0ESR_SS_SU_SV_SZ_EES10_S11_S12_S13_S17_S18_S19_S1C_S1D_jS1E_jS1F_S1F_jjS1H_bEUljE0_EEES10_S11_S12_S19_S1D_S1F_T6_T7_T9_mT8_S1H_bDpT10_ENKUlT_T0_E_clISt17integral_constantIbLb0EES1V_EEDaS1Q_S1R_EUlS1Q_E_NS1_11comp_targetILNS1_3genE10ELNS1_11target_archE1200ELNS1_3gpuE4ELNS1_3repE0EEENS1_30default_config_static_selectorELNS0_4arch9wavefront6targetE0EEEvS13_
	.p2align	8
	.type	_ZN7rocprim17ROCPRIM_400000_NS6detail17trampoline_kernelINS0_13select_configILj256ELj13ELNS0_17block_load_methodE3ELS4_3ELS4_3ELNS0_20block_scan_algorithmE0ELj4294967295EEENS1_25partition_config_selectorILNS1_17partition_subalgoE4EjNS0_10empty_typeEbEEZZNS1_14partition_implILS8_4ELb0ES6_15HIP_vector_typeIjLj2EENS0_17counting_iteratorIjlEEPS9_SG_NS0_5tupleIJPjSI_NS0_16reverse_iteratorISI_EEEEENSH_IJSG_SG_SG_EEES9_SI_JZNS1_25segmented_radix_sort_implINS0_14default_configELb0EPK12hip_bfloat16PSP_PKlPlN2at6native12_GLOBAL__N_18offset_tEEE10hipError_tPvRmT1_PNSt15iterator_traitsIS13_E10value_typeET2_T3_PNS14_IS19_E10value_typeET4_jRbjT5_S1F_jjP12ihipStream_tbEUljE_ZNSN_ISO_Lb0ESR_SS_SU_SV_SZ_EES10_S11_S12_S13_S17_S18_S19_S1C_S1D_jS1E_jS1F_S1F_jjS1H_bEUljE0_EEES10_S11_S12_S19_S1D_S1F_T6_T7_T9_mT8_S1H_bDpT10_ENKUlT_T0_E_clISt17integral_constantIbLb0EES1V_EEDaS1Q_S1R_EUlS1Q_E_NS1_11comp_targetILNS1_3genE10ELNS1_11target_archE1200ELNS1_3gpuE4ELNS1_3repE0EEENS1_30default_config_static_selectorELNS0_4arch9wavefront6targetE0EEEvS13_,@function
_ZN7rocprim17ROCPRIM_400000_NS6detail17trampoline_kernelINS0_13select_configILj256ELj13ELNS0_17block_load_methodE3ELS4_3ELS4_3ELNS0_20block_scan_algorithmE0ELj4294967295EEENS1_25partition_config_selectorILNS1_17partition_subalgoE4EjNS0_10empty_typeEbEEZZNS1_14partition_implILS8_4ELb0ES6_15HIP_vector_typeIjLj2EENS0_17counting_iteratorIjlEEPS9_SG_NS0_5tupleIJPjSI_NS0_16reverse_iteratorISI_EEEEENSH_IJSG_SG_SG_EEES9_SI_JZNS1_25segmented_radix_sort_implINS0_14default_configELb0EPK12hip_bfloat16PSP_PKlPlN2at6native12_GLOBAL__N_18offset_tEEE10hipError_tPvRmT1_PNSt15iterator_traitsIS13_E10value_typeET2_T3_PNS14_IS19_E10value_typeET4_jRbjT5_S1F_jjP12ihipStream_tbEUljE_ZNSN_ISO_Lb0ESR_SS_SU_SV_SZ_EES10_S11_S12_S13_S17_S18_S19_S1C_S1D_jS1E_jS1F_S1F_jjS1H_bEUljE0_EEES10_S11_S12_S19_S1D_S1F_T6_T7_T9_mT8_S1H_bDpT10_ENKUlT_T0_E_clISt17integral_constantIbLb0EES1V_EEDaS1Q_S1R_EUlS1Q_E_NS1_11comp_targetILNS1_3genE10ELNS1_11target_archE1200ELNS1_3gpuE4ELNS1_3repE0EEENS1_30default_config_static_selectorELNS0_4arch9wavefront6targetE0EEEvS13_: ; @_ZN7rocprim17ROCPRIM_400000_NS6detail17trampoline_kernelINS0_13select_configILj256ELj13ELNS0_17block_load_methodE3ELS4_3ELS4_3ELNS0_20block_scan_algorithmE0ELj4294967295EEENS1_25partition_config_selectorILNS1_17partition_subalgoE4EjNS0_10empty_typeEbEEZZNS1_14partition_implILS8_4ELb0ES6_15HIP_vector_typeIjLj2EENS0_17counting_iteratorIjlEEPS9_SG_NS0_5tupleIJPjSI_NS0_16reverse_iteratorISI_EEEEENSH_IJSG_SG_SG_EEES9_SI_JZNS1_25segmented_radix_sort_implINS0_14default_configELb0EPK12hip_bfloat16PSP_PKlPlN2at6native12_GLOBAL__N_18offset_tEEE10hipError_tPvRmT1_PNSt15iterator_traitsIS13_E10value_typeET2_T3_PNS14_IS19_E10value_typeET4_jRbjT5_S1F_jjP12ihipStream_tbEUljE_ZNSN_ISO_Lb0ESR_SS_SU_SV_SZ_EES10_S11_S12_S13_S17_S18_S19_S1C_S1D_jS1E_jS1F_S1F_jjS1H_bEUljE0_EEES10_S11_S12_S19_S1D_S1F_T6_T7_T9_mT8_S1H_bDpT10_ENKUlT_T0_E_clISt17integral_constantIbLb0EES1V_EEDaS1Q_S1R_EUlS1Q_E_NS1_11comp_targetILNS1_3genE10ELNS1_11target_archE1200ELNS1_3gpuE4ELNS1_3repE0EEENS1_30default_config_static_selectorELNS0_4arch9wavefront6targetE0EEEvS13_
; %bb.0:
	.section	.rodata,"a",@progbits
	.p2align	6, 0x0
	.amdhsa_kernel _ZN7rocprim17ROCPRIM_400000_NS6detail17trampoline_kernelINS0_13select_configILj256ELj13ELNS0_17block_load_methodE3ELS4_3ELS4_3ELNS0_20block_scan_algorithmE0ELj4294967295EEENS1_25partition_config_selectorILNS1_17partition_subalgoE4EjNS0_10empty_typeEbEEZZNS1_14partition_implILS8_4ELb0ES6_15HIP_vector_typeIjLj2EENS0_17counting_iteratorIjlEEPS9_SG_NS0_5tupleIJPjSI_NS0_16reverse_iteratorISI_EEEEENSH_IJSG_SG_SG_EEES9_SI_JZNS1_25segmented_radix_sort_implINS0_14default_configELb0EPK12hip_bfloat16PSP_PKlPlN2at6native12_GLOBAL__N_18offset_tEEE10hipError_tPvRmT1_PNSt15iterator_traitsIS13_E10value_typeET2_T3_PNS14_IS19_E10value_typeET4_jRbjT5_S1F_jjP12ihipStream_tbEUljE_ZNSN_ISO_Lb0ESR_SS_SU_SV_SZ_EES10_S11_S12_S13_S17_S18_S19_S1C_S1D_jS1E_jS1F_S1F_jjS1H_bEUljE0_EEES10_S11_S12_S19_S1D_S1F_T6_T7_T9_mT8_S1H_bDpT10_ENKUlT_T0_E_clISt17integral_constantIbLb0EES1V_EEDaS1Q_S1R_EUlS1Q_E_NS1_11comp_targetILNS1_3genE10ELNS1_11target_archE1200ELNS1_3gpuE4ELNS1_3repE0EEENS1_30default_config_static_selectorELNS0_4arch9wavefront6targetE0EEEvS13_
		.amdhsa_group_segment_fixed_size 0
		.amdhsa_private_segment_fixed_size 0
		.amdhsa_kernarg_size 176
		.amdhsa_user_sgpr_count 2
		.amdhsa_user_sgpr_dispatch_ptr 0
		.amdhsa_user_sgpr_queue_ptr 0
		.amdhsa_user_sgpr_kernarg_segment_ptr 1
		.amdhsa_user_sgpr_dispatch_id 0
		.amdhsa_user_sgpr_kernarg_preload_length 0
		.amdhsa_user_sgpr_kernarg_preload_offset 0
		.amdhsa_user_sgpr_private_segment_size 0
		.amdhsa_wavefront_size32 1
		.amdhsa_uses_dynamic_stack 0
		.amdhsa_enable_private_segment 0
		.amdhsa_system_sgpr_workgroup_id_x 1
		.amdhsa_system_sgpr_workgroup_id_y 0
		.amdhsa_system_sgpr_workgroup_id_z 0
		.amdhsa_system_sgpr_workgroup_info 0
		.amdhsa_system_vgpr_workitem_id 0
		.amdhsa_next_free_vgpr 1
		.amdhsa_next_free_sgpr 1
		.amdhsa_named_barrier_count 0
		.amdhsa_reserve_vcc 0
		.amdhsa_float_round_mode_32 0
		.amdhsa_float_round_mode_16_64 0
		.amdhsa_float_denorm_mode_32 3
		.amdhsa_float_denorm_mode_16_64 3
		.amdhsa_fp16_overflow 0
		.amdhsa_memory_ordered 1
		.amdhsa_forward_progress 1
		.amdhsa_inst_pref_size 0
		.amdhsa_round_robin_scheduling 0
		.amdhsa_exception_fp_ieee_invalid_op 0
		.amdhsa_exception_fp_denorm_src 0
		.amdhsa_exception_fp_ieee_div_zero 0
		.amdhsa_exception_fp_ieee_overflow 0
		.amdhsa_exception_fp_ieee_underflow 0
		.amdhsa_exception_fp_ieee_inexact 0
		.amdhsa_exception_int_div_zero 0
	.end_amdhsa_kernel
	.section	.text._ZN7rocprim17ROCPRIM_400000_NS6detail17trampoline_kernelINS0_13select_configILj256ELj13ELNS0_17block_load_methodE3ELS4_3ELS4_3ELNS0_20block_scan_algorithmE0ELj4294967295EEENS1_25partition_config_selectorILNS1_17partition_subalgoE4EjNS0_10empty_typeEbEEZZNS1_14partition_implILS8_4ELb0ES6_15HIP_vector_typeIjLj2EENS0_17counting_iteratorIjlEEPS9_SG_NS0_5tupleIJPjSI_NS0_16reverse_iteratorISI_EEEEENSH_IJSG_SG_SG_EEES9_SI_JZNS1_25segmented_radix_sort_implINS0_14default_configELb0EPK12hip_bfloat16PSP_PKlPlN2at6native12_GLOBAL__N_18offset_tEEE10hipError_tPvRmT1_PNSt15iterator_traitsIS13_E10value_typeET2_T3_PNS14_IS19_E10value_typeET4_jRbjT5_S1F_jjP12ihipStream_tbEUljE_ZNSN_ISO_Lb0ESR_SS_SU_SV_SZ_EES10_S11_S12_S13_S17_S18_S19_S1C_S1D_jS1E_jS1F_S1F_jjS1H_bEUljE0_EEES10_S11_S12_S19_S1D_S1F_T6_T7_T9_mT8_S1H_bDpT10_ENKUlT_T0_E_clISt17integral_constantIbLb0EES1V_EEDaS1Q_S1R_EUlS1Q_E_NS1_11comp_targetILNS1_3genE10ELNS1_11target_archE1200ELNS1_3gpuE4ELNS1_3repE0EEENS1_30default_config_static_selectorELNS0_4arch9wavefront6targetE0EEEvS13_,"axG",@progbits,_ZN7rocprim17ROCPRIM_400000_NS6detail17trampoline_kernelINS0_13select_configILj256ELj13ELNS0_17block_load_methodE3ELS4_3ELS4_3ELNS0_20block_scan_algorithmE0ELj4294967295EEENS1_25partition_config_selectorILNS1_17partition_subalgoE4EjNS0_10empty_typeEbEEZZNS1_14partition_implILS8_4ELb0ES6_15HIP_vector_typeIjLj2EENS0_17counting_iteratorIjlEEPS9_SG_NS0_5tupleIJPjSI_NS0_16reverse_iteratorISI_EEEEENSH_IJSG_SG_SG_EEES9_SI_JZNS1_25segmented_radix_sort_implINS0_14default_configELb0EPK12hip_bfloat16PSP_PKlPlN2at6native12_GLOBAL__N_18offset_tEEE10hipError_tPvRmT1_PNSt15iterator_traitsIS13_E10value_typeET2_T3_PNS14_IS19_E10value_typeET4_jRbjT5_S1F_jjP12ihipStream_tbEUljE_ZNSN_ISO_Lb0ESR_SS_SU_SV_SZ_EES10_S11_S12_S13_S17_S18_S19_S1C_S1D_jS1E_jS1F_S1F_jjS1H_bEUljE0_EEES10_S11_S12_S19_S1D_S1F_T6_T7_T9_mT8_S1H_bDpT10_ENKUlT_T0_E_clISt17integral_constantIbLb0EES1V_EEDaS1Q_S1R_EUlS1Q_E_NS1_11comp_targetILNS1_3genE10ELNS1_11target_archE1200ELNS1_3gpuE4ELNS1_3repE0EEENS1_30default_config_static_selectorELNS0_4arch9wavefront6targetE0EEEvS13_,comdat
.Lfunc_end1980:
	.size	_ZN7rocprim17ROCPRIM_400000_NS6detail17trampoline_kernelINS0_13select_configILj256ELj13ELNS0_17block_load_methodE3ELS4_3ELS4_3ELNS0_20block_scan_algorithmE0ELj4294967295EEENS1_25partition_config_selectorILNS1_17partition_subalgoE4EjNS0_10empty_typeEbEEZZNS1_14partition_implILS8_4ELb0ES6_15HIP_vector_typeIjLj2EENS0_17counting_iteratorIjlEEPS9_SG_NS0_5tupleIJPjSI_NS0_16reverse_iteratorISI_EEEEENSH_IJSG_SG_SG_EEES9_SI_JZNS1_25segmented_radix_sort_implINS0_14default_configELb0EPK12hip_bfloat16PSP_PKlPlN2at6native12_GLOBAL__N_18offset_tEEE10hipError_tPvRmT1_PNSt15iterator_traitsIS13_E10value_typeET2_T3_PNS14_IS19_E10value_typeET4_jRbjT5_S1F_jjP12ihipStream_tbEUljE_ZNSN_ISO_Lb0ESR_SS_SU_SV_SZ_EES10_S11_S12_S13_S17_S18_S19_S1C_S1D_jS1E_jS1F_S1F_jjS1H_bEUljE0_EEES10_S11_S12_S19_S1D_S1F_T6_T7_T9_mT8_S1H_bDpT10_ENKUlT_T0_E_clISt17integral_constantIbLb0EES1V_EEDaS1Q_S1R_EUlS1Q_E_NS1_11comp_targetILNS1_3genE10ELNS1_11target_archE1200ELNS1_3gpuE4ELNS1_3repE0EEENS1_30default_config_static_selectorELNS0_4arch9wavefront6targetE0EEEvS13_, .Lfunc_end1980-_ZN7rocprim17ROCPRIM_400000_NS6detail17trampoline_kernelINS0_13select_configILj256ELj13ELNS0_17block_load_methodE3ELS4_3ELS4_3ELNS0_20block_scan_algorithmE0ELj4294967295EEENS1_25partition_config_selectorILNS1_17partition_subalgoE4EjNS0_10empty_typeEbEEZZNS1_14partition_implILS8_4ELb0ES6_15HIP_vector_typeIjLj2EENS0_17counting_iteratorIjlEEPS9_SG_NS0_5tupleIJPjSI_NS0_16reverse_iteratorISI_EEEEENSH_IJSG_SG_SG_EEES9_SI_JZNS1_25segmented_radix_sort_implINS0_14default_configELb0EPK12hip_bfloat16PSP_PKlPlN2at6native12_GLOBAL__N_18offset_tEEE10hipError_tPvRmT1_PNSt15iterator_traitsIS13_E10value_typeET2_T3_PNS14_IS19_E10value_typeET4_jRbjT5_S1F_jjP12ihipStream_tbEUljE_ZNSN_ISO_Lb0ESR_SS_SU_SV_SZ_EES10_S11_S12_S13_S17_S18_S19_S1C_S1D_jS1E_jS1F_S1F_jjS1H_bEUljE0_EEES10_S11_S12_S19_S1D_S1F_T6_T7_T9_mT8_S1H_bDpT10_ENKUlT_T0_E_clISt17integral_constantIbLb0EES1V_EEDaS1Q_S1R_EUlS1Q_E_NS1_11comp_targetILNS1_3genE10ELNS1_11target_archE1200ELNS1_3gpuE4ELNS1_3repE0EEENS1_30default_config_static_selectorELNS0_4arch9wavefront6targetE0EEEvS13_
                                        ; -- End function
	.set _ZN7rocprim17ROCPRIM_400000_NS6detail17trampoline_kernelINS0_13select_configILj256ELj13ELNS0_17block_load_methodE3ELS4_3ELS4_3ELNS0_20block_scan_algorithmE0ELj4294967295EEENS1_25partition_config_selectorILNS1_17partition_subalgoE4EjNS0_10empty_typeEbEEZZNS1_14partition_implILS8_4ELb0ES6_15HIP_vector_typeIjLj2EENS0_17counting_iteratorIjlEEPS9_SG_NS0_5tupleIJPjSI_NS0_16reverse_iteratorISI_EEEEENSH_IJSG_SG_SG_EEES9_SI_JZNS1_25segmented_radix_sort_implINS0_14default_configELb0EPK12hip_bfloat16PSP_PKlPlN2at6native12_GLOBAL__N_18offset_tEEE10hipError_tPvRmT1_PNSt15iterator_traitsIS13_E10value_typeET2_T3_PNS14_IS19_E10value_typeET4_jRbjT5_S1F_jjP12ihipStream_tbEUljE_ZNSN_ISO_Lb0ESR_SS_SU_SV_SZ_EES10_S11_S12_S13_S17_S18_S19_S1C_S1D_jS1E_jS1F_S1F_jjS1H_bEUljE0_EEES10_S11_S12_S19_S1D_S1F_T6_T7_T9_mT8_S1H_bDpT10_ENKUlT_T0_E_clISt17integral_constantIbLb0EES1V_EEDaS1Q_S1R_EUlS1Q_E_NS1_11comp_targetILNS1_3genE10ELNS1_11target_archE1200ELNS1_3gpuE4ELNS1_3repE0EEENS1_30default_config_static_selectorELNS0_4arch9wavefront6targetE0EEEvS13_.num_vgpr, 0
	.set _ZN7rocprim17ROCPRIM_400000_NS6detail17trampoline_kernelINS0_13select_configILj256ELj13ELNS0_17block_load_methodE3ELS4_3ELS4_3ELNS0_20block_scan_algorithmE0ELj4294967295EEENS1_25partition_config_selectorILNS1_17partition_subalgoE4EjNS0_10empty_typeEbEEZZNS1_14partition_implILS8_4ELb0ES6_15HIP_vector_typeIjLj2EENS0_17counting_iteratorIjlEEPS9_SG_NS0_5tupleIJPjSI_NS0_16reverse_iteratorISI_EEEEENSH_IJSG_SG_SG_EEES9_SI_JZNS1_25segmented_radix_sort_implINS0_14default_configELb0EPK12hip_bfloat16PSP_PKlPlN2at6native12_GLOBAL__N_18offset_tEEE10hipError_tPvRmT1_PNSt15iterator_traitsIS13_E10value_typeET2_T3_PNS14_IS19_E10value_typeET4_jRbjT5_S1F_jjP12ihipStream_tbEUljE_ZNSN_ISO_Lb0ESR_SS_SU_SV_SZ_EES10_S11_S12_S13_S17_S18_S19_S1C_S1D_jS1E_jS1F_S1F_jjS1H_bEUljE0_EEES10_S11_S12_S19_S1D_S1F_T6_T7_T9_mT8_S1H_bDpT10_ENKUlT_T0_E_clISt17integral_constantIbLb0EES1V_EEDaS1Q_S1R_EUlS1Q_E_NS1_11comp_targetILNS1_3genE10ELNS1_11target_archE1200ELNS1_3gpuE4ELNS1_3repE0EEENS1_30default_config_static_selectorELNS0_4arch9wavefront6targetE0EEEvS13_.num_agpr, 0
	.set _ZN7rocprim17ROCPRIM_400000_NS6detail17trampoline_kernelINS0_13select_configILj256ELj13ELNS0_17block_load_methodE3ELS4_3ELS4_3ELNS0_20block_scan_algorithmE0ELj4294967295EEENS1_25partition_config_selectorILNS1_17partition_subalgoE4EjNS0_10empty_typeEbEEZZNS1_14partition_implILS8_4ELb0ES6_15HIP_vector_typeIjLj2EENS0_17counting_iteratorIjlEEPS9_SG_NS0_5tupleIJPjSI_NS0_16reverse_iteratorISI_EEEEENSH_IJSG_SG_SG_EEES9_SI_JZNS1_25segmented_radix_sort_implINS0_14default_configELb0EPK12hip_bfloat16PSP_PKlPlN2at6native12_GLOBAL__N_18offset_tEEE10hipError_tPvRmT1_PNSt15iterator_traitsIS13_E10value_typeET2_T3_PNS14_IS19_E10value_typeET4_jRbjT5_S1F_jjP12ihipStream_tbEUljE_ZNSN_ISO_Lb0ESR_SS_SU_SV_SZ_EES10_S11_S12_S13_S17_S18_S19_S1C_S1D_jS1E_jS1F_S1F_jjS1H_bEUljE0_EEES10_S11_S12_S19_S1D_S1F_T6_T7_T9_mT8_S1H_bDpT10_ENKUlT_T0_E_clISt17integral_constantIbLb0EES1V_EEDaS1Q_S1R_EUlS1Q_E_NS1_11comp_targetILNS1_3genE10ELNS1_11target_archE1200ELNS1_3gpuE4ELNS1_3repE0EEENS1_30default_config_static_selectorELNS0_4arch9wavefront6targetE0EEEvS13_.numbered_sgpr, 0
	.set _ZN7rocprim17ROCPRIM_400000_NS6detail17trampoline_kernelINS0_13select_configILj256ELj13ELNS0_17block_load_methodE3ELS4_3ELS4_3ELNS0_20block_scan_algorithmE0ELj4294967295EEENS1_25partition_config_selectorILNS1_17partition_subalgoE4EjNS0_10empty_typeEbEEZZNS1_14partition_implILS8_4ELb0ES6_15HIP_vector_typeIjLj2EENS0_17counting_iteratorIjlEEPS9_SG_NS0_5tupleIJPjSI_NS0_16reverse_iteratorISI_EEEEENSH_IJSG_SG_SG_EEES9_SI_JZNS1_25segmented_radix_sort_implINS0_14default_configELb0EPK12hip_bfloat16PSP_PKlPlN2at6native12_GLOBAL__N_18offset_tEEE10hipError_tPvRmT1_PNSt15iterator_traitsIS13_E10value_typeET2_T3_PNS14_IS19_E10value_typeET4_jRbjT5_S1F_jjP12ihipStream_tbEUljE_ZNSN_ISO_Lb0ESR_SS_SU_SV_SZ_EES10_S11_S12_S13_S17_S18_S19_S1C_S1D_jS1E_jS1F_S1F_jjS1H_bEUljE0_EEES10_S11_S12_S19_S1D_S1F_T6_T7_T9_mT8_S1H_bDpT10_ENKUlT_T0_E_clISt17integral_constantIbLb0EES1V_EEDaS1Q_S1R_EUlS1Q_E_NS1_11comp_targetILNS1_3genE10ELNS1_11target_archE1200ELNS1_3gpuE4ELNS1_3repE0EEENS1_30default_config_static_selectorELNS0_4arch9wavefront6targetE0EEEvS13_.num_named_barrier, 0
	.set _ZN7rocprim17ROCPRIM_400000_NS6detail17trampoline_kernelINS0_13select_configILj256ELj13ELNS0_17block_load_methodE3ELS4_3ELS4_3ELNS0_20block_scan_algorithmE0ELj4294967295EEENS1_25partition_config_selectorILNS1_17partition_subalgoE4EjNS0_10empty_typeEbEEZZNS1_14partition_implILS8_4ELb0ES6_15HIP_vector_typeIjLj2EENS0_17counting_iteratorIjlEEPS9_SG_NS0_5tupleIJPjSI_NS0_16reverse_iteratorISI_EEEEENSH_IJSG_SG_SG_EEES9_SI_JZNS1_25segmented_radix_sort_implINS0_14default_configELb0EPK12hip_bfloat16PSP_PKlPlN2at6native12_GLOBAL__N_18offset_tEEE10hipError_tPvRmT1_PNSt15iterator_traitsIS13_E10value_typeET2_T3_PNS14_IS19_E10value_typeET4_jRbjT5_S1F_jjP12ihipStream_tbEUljE_ZNSN_ISO_Lb0ESR_SS_SU_SV_SZ_EES10_S11_S12_S13_S17_S18_S19_S1C_S1D_jS1E_jS1F_S1F_jjS1H_bEUljE0_EEES10_S11_S12_S19_S1D_S1F_T6_T7_T9_mT8_S1H_bDpT10_ENKUlT_T0_E_clISt17integral_constantIbLb0EES1V_EEDaS1Q_S1R_EUlS1Q_E_NS1_11comp_targetILNS1_3genE10ELNS1_11target_archE1200ELNS1_3gpuE4ELNS1_3repE0EEENS1_30default_config_static_selectorELNS0_4arch9wavefront6targetE0EEEvS13_.private_seg_size, 0
	.set _ZN7rocprim17ROCPRIM_400000_NS6detail17trampoline_kernelINS0_13select_configILj256ELj13ELNS0_17block_load_methodE3ELS4_3ELS4_3ELNS0_20block_scan_algorithmE0ELj4294967295EEENS1_25partition_config_selectorILNS1_17partition_subalgoE4EjNS0_10empty_typeEbEEZZNS1_14partition_implILS8_4ELb0ES6_15HIP_vector_typeIjLj2EENS0_17counting_iteratorIjlEEPS9_SG_NS0_5tupleIJPjSI_NS0_16reverse_iteratorISI_EEEEENSH_IJSG_SG_SG_EEES9_SI_JZNS1_25segmented_radix_sort_implINS0_14default_configELb0EPK12hip_bfloat16PSP_PKlPlN2at6native12_GLOBAL__N_18offset_tEEE10hipError_tPvRmT1_PNSt15iterator_traitsIS13_E10value_typeET2_T3_PNS14_IS19_E10value_typeET4_jRbjT5_S1F_jjP12ihipStream_tbEUljE_ZNSN_ISO_Lb0ESR_SS_SU_SV_SZ_EES10_S11_S12_S13_S17_S18_S19_S1C_S1D_jS1E_jS1F_S1F_jjS1H_bEUljE0_EEES10_S11_S12_S19_S1D_S1F_T6_T7_T9_mT8_S1H_bDpT10_ENKUlT_T0_E_clISt17integral_constantIbLb0EES1V_EEDaS1Q_S1R_EUlS1Q_E_NS1_11comp_targetILNS1_3genE10ELNS1_11target_archE1200ELNS1_3gpuE4ELNS1_3repE0EEENS1_30default_config_static_selectorELNS0_4arch9wavefront6targetE0EEEvS13_.uses_vcc, 0
	.set _ZN7rocprim17ROCPRIM_400000_NS6detail17trampoline_kernelINS0_13select_configILj256ELj13ELNS0_17block_load_methodE3ELS4_3ELS4_3ELNS0_20block_scan_algorithmE0ELj4294967295EEENS1_25partition_config_selectorILNS1_17partition_subalgoE4EjNS0_10empty_typeEbEEZZNS1_14partition_implILS8_4ELb0ES6_15HIP_vector_typeIjLj2EENS0_17counting_iteratorIjlEEPS9_SG_NS0_5tupleIJPjSI_NS0_16reverse_iteratorISI_EEEEENSH_IJSG_SG_SG_EEES9_SI_JZNS1_25segmented_radix_sort_implINS0_14default_configELb0EPK12hip_bfloat16PSP_PKlPlN2at6native12_GLOBAL__N_18offset_tEEE10hipError_tPvRmT1_PNSt15iterator_traitsIS13_E10value_typeET2_T3_PNS14_IS19_E10value_typeET4_jRbjT5_S1F_jjP12ihipStream_tbEUljE_ZNSN_ISO_Lb0ESR_SS_SU_SV_SZ_EES10_S11_S12_S13_S17_S18_S19_S1C_S1D_jS1E_jS1F_S1F_jjS1H_bEUljE0_EEES10_S11_S12_S19_S1D_S1F_T6_T7_T9_mT8_S1H_bDpT10_ENKUlT_T0_E_clISt17integral_constantIbLb0EES1V_EEDaS1Q_S1R_EUlS1Q_E_NS1_11comp_targetILNS1_3genE10ELNS1_11target_archE1200ELNS1_3gpuE4ELNS1_3repE0EEENS1_30default_config_static_selectorELNS0_4arch9wavefront6targetE0EEEvS13_.uses_flat_scratch, 0
	.set _ZN7rocprim17ROCPRIM_400000_NS6detail17trampoline_kernelINS0_13select_configILj256ELj13ELNS0_17block_load_methodE3ELS4_3ELS4_3ELNS0_20block_scan_algorithmE0ELj4294967295EEENS1_25partition_config_selectorILNS1_17partition_subalgoE4EjNS0_10empty_typeEbEEZZNS1_14partition_implILS8_4ELb0ES6_15HIP_vector_typeIjLj2EENS0_17counting_iteratorIjlEEPS9_SG_NS0_5tupleIJPjSI_NS0_16reverse_iteratorISI_EEEEENSH_IJSG_SG_SG_EEES9_SI_JZNS1_25segmented_radix_sort_implINS0_14default_configELb0EPK12hip_bfloat16PSP_PKlPlN2at6native12_GLOBAL__N_18offset_tEEE10hipError_tPvRmT1_PNSt15iterator_traitsIS13_E10value_typeET2_T3_PNS14_IS19_E10value_typeET4_jRbjT5_S1F_jjP12ihipStream_tbEUljE_ZNSN_ISO_Lb0ESR_SS_SU_SV_SZ_EES10_S11_S12_S13_S17_S18_S19_S1C_S1D_jS1E_jS1F_S1F_jjS1H_bEUljE0_EEES10_S11_S12_S19_S1D_S1F_T6_T7_T9_mT8_S1H_bDpT10_ENKUlT_T0_E_clISt17integral_constantIbLb0EES1V_EEDaS1Q_S1R_EUlS1Q_E_NS1_11comp_targetILNS1_3genE10ELNS1_11target_archE1200ELNS1_3gpuE4ELNS1_3repE0EEENS1_30default_config_static_selectorELNS0_4arch9wavefront6targetE0EEEvS13_.has_dyn_sized_stack, 0
	.set _ZN7rocprim17ROCPRIM_400000_NS6detail17trampoline_kernelINS0_13select_configILj256ELj13ELNS0_17block_load_methodE3ELS4_3ELS4_3ELNS0_20block_scan_algorithmE0ELj4294967295EEENS1_25partition_config_selectorILNS1_17partition_subalgoE4EjNS0_10empty_typeEbEEZZNS1_14partition_implILS8_4ELb0ES6_15HIP_vector_typeIjLj2EENS0_17counting_iteratorIjlEEPS9_SG_NS0_5tupleIJPjSI_NS0_16reverse_iteratorISI_EEEEENSH_IJSG_SG_SG_EEES9_SI_JZNS1_25segmented_radix_sort_implINS0_14default_configELb0EPK12hip_bfloat16PSP_PKlPlN2at6native12_GLOBAL__N_18offset_tEEE10hipError_tPvRmT1_PNSt15iterator_traitsIS13_E10value_typeET2_T3_PNS14_IS19_E10value_typeET4_jRbjT5_S1F_jjP12ihipStream_tbEUljE_ZNSN_ISO_Lb0ESR_SS_SU_SV_SZ_EES10_S11_S12_S13_S17_S18_S19_S1C_S1D_jS1E_jS1F_S1F_jjS1H_bEUljE0_EEES10_S11_S12_S19_S1D_S1F_T6_T7_T9_mT8_S1H_bDpT10_ENKUlT_T0_E_clISt17integral_constantIbLb0EES1V_EEDaS1Q_S1R_EUlS1Q_E_NS1_11comp_targetILNS1_3genE10ELNS1_11target_archE1200ELNS1_3gpuE4ELNS1_3repE0EEENS1_30default_config_static_selectorELNS0_4arch9wavefront6targetE0EEEvS13_.has_recursion, 0
	.set _ZN7rocprim17ROCPRIM_400000_NS6detail17trampoline_kernelINS0_13select_configILj256ELj13ELNS0_17block_load_methodE3ELS4_3ELS4_3ELNS0_20block_scan_algorithmE0ELj4294967295EEENS1_25partition_config_selectorILNS1_17partition_subalgoE4EjNS0_10empty_typeEbEEZZNS1_14partition_implILS8_4ELb0ES6_15HIP_vector_typeIjLj2EENS0_17counting_iteratorIjlEEPS9_SG_NS0_5tupleIJPjSI_NS0_16reverse_iteratorISI_EEEEENSH_IJSG_SG_SG_EEES9_SI_JZNS1_25segmented_radix_sort_implINS0_14default_configELb0EPK12hip_bfloat16PSP_PKlPlN2at6native12_GLOBAL__N_18offset_tEEE10hipError_tPvRmT1_PNSt15iterator_traitsIS13_E10value_typeET2_T3_PNS14_IS19_E10value_typeET4_jRbjT5_S1F_jjP12ihipStream_tbEUljE_ZNSN_ISO_Lb0ESR_SS_SU_SV_SZ_EES10_S11_S12_S13_S17_S18_S19_S1C_S1D_jS1E_jS1F_S1F_jjS1H_bEUljE0_EEES10_S11_S12_S19_S1D_S1F_T6_T7_T9_mT8_S1H_bDpT10_ENKUlT_T0_E_clISt17integral_constantIbLb0EES1V_EEDaS1Q_S1R_EUlS1Q_E_NS1_11comp_targetILNS1_3genE10ELNS1_11target_archE1200ELNS1_3gpuE4ELNS1_3repE0EEENS1_30default_config_static_selectorELNS0_4arch9wavefront6targetE0EEEvS13_.has_indirect_call, 0
	.section	.AMDGPU.csdata,"",@progbits
; Kernel info:
; codeLenInByte = 0
; TotalNumSgprs: 0
; NumVgprs: 0
; ScratchSize: 0
; MemoryBound: 0
; FloatMode: 240
; IeeeMode: 1
; LDSByteSize: 0 bytes/workgroup (compile time only)
; SGPRBlocks: 0
; VGPRBlocks: 0
; NumSGPRsForWavesPerEU: 1
; NumVGPRsForWavesPerEU: 1
; NamedBarCnt: 0
; Occupancy: 16
; WaveLimiterHint : 0
; COMPUTE_PGM_RSRC2:SCRATCH_EN: 0
; COMPUTE_PGM_RSRC2:USER_SGPR: 2
; COMPUTE_PGM_RSRC2:TRAP_HANDLER: 0
; COMPUTE_PGM_RSRC2:TGID_X_EN: 1
; COMPUTE_PGM_RSRC2:TGID_Y_EN: 0
; COMPUTE_PGM_RSRC2:TGID_Z_EN: 0
; COMPUTE_PGM_RSRC2:TIDIG_COMP_CNT: 0
	.section	.text._ZN7rocprim17ROCPRIM_400000_NS6detail17trampoline_kernelINS0_13select_configILj256ELj13ELNS0_17block_load_methodE3ELS4_3ELS4_3ELNS0_20block_scan_algorithmE0ELj4294967295EEENS1_25partition_config_selectorILNS1_17partition_subalgoE4EjNS0_10empty_typeEbEEZZNS1_14partition_implILS8_4ELb0ES6_15HIP_vector_typeIjLj2EENS0_17counting_iteratorIjlEEPS9_SG_NS0_5tupleIJPjSI_NS0_16reverse_iteratorISI_EEEEENSH_IJSG_SG_SG_EEES9_SI_JZNS1_25segmented_radix_sort_implINS0_14default_configELb0EPK12hip_bfloat16PSP_PKlPlN2at6native12_GLOBAL__N_18offset_tEEE10hipError_tPvRmT1_PNSt15iterator_traitsIS13_E10value_typeET2_T3_PNS14_IS19_E10value_typeET4_jRbjT5_S1F_jjP12ihipStream_tbEUljE_ZNSN_ISO_Lb0ESR_SS_SU_SV_SZ_EES10_S11_S12_S13_S17_S18_S19_S1C_S1D_jS1E_jS1F_S1F_jjS1H_bEUljE0_EEES10_S11_S12_S19_S1D_S1F_T6_T7_T9_mT8_S1H_bDpT10_ENKUlT_T0_E_clISt17integral_constantIbLb0EES1V_EEDaS1Q_S1R_EUlS1Q_E_NS1_11comp_targetILNS1_3genE9ELNS1_11target_archE1100ELNS1_3gpuE3ELNS1_3repE0EEENS1_30default_config_static_selectorELNS0_4arch9wavefront6targetE0EEEvS13_,"axG",@progbits,_ZN7rocprim17ROCPRIM_400000_NS6detail17trampoline_kernelINS0_13select_configILj256ELj13ELNS0_17block_load_methodE3ELS4_3ELS4_3ELNS0_20block_scan_algorithmE0ELj4294967295EEENS1_25partition_config_selectorILNS1_17partition_subalgoE4EjNS0_10empty_typeEbEEZZNS1_14partition_implILS8_4ELb0ES6_15HIP_vector_typeIjLj2EENS0_17counting_iteratorIjlEEPS9_SG_NS0_5tupleIJPjSI_NS0_16reverse_iteratorISI_EEEEENSH_IJSG_SG_SG_EEES9_SI_JZNS1_25segmented_radix_sort_implINS0_14default_configELb0EPK12hip_bfloat16PSP_PKlPlN2at6native12_GLOBAL__N_18offset_tEEE10hipError_tPvRmT1_PNSt15iterator_traitsIS13_E10value_typeET2_T3_PNS14_IS19_E10value_typeET4_jRbjT5_S1F_jjP12ihipStream_tbEUljE_ZNSN_ISO_Lb0ESR_SS_SU_SV_SZ_EES10_S11_S12_S13_S17_S18_S19_S1C_S1D_jS1E_jS1F_S1F_jjS1H_bEUljE0_EEES10_S11_S12_S19_S1D_S1F_T6_T7_T9_mT8_S1H_bDpT10_ENKUlT_T0_E_clISt17integral_constantIbLb0EES1V_EEDaS1Q_S1R_EUlS1Q_E_NS1_11comp_targetILNS1_3genE9ELNS1_11target_archE1100ELNS1_3gpuE3ELNS1_3repE0EEENS1_30default_config_static_selectorELNS0_4arch9wavefront6targetE0EEEvS13_,comdat
	.globl	_ZN7rocprim17ROCPRIM_400000_NS6detail17trampoline_kernelINS0_13select_configILj256ELj13ELNS0_17block_load_methodE3ELS4_3ELS4_3ELNS0_20block_scan_algorithmE0ELj4294967295EEENS1_25partition_config_selectorILNS1_17partition_subalgoE4EjNS0_10empty_typeEbEEZZNS1_14partition_implILS8_4ELb0ES6_15HIP_vector_typeIjLj2EENS0_17counting_iteratorIjlEEPS9_SG_NS0_5tupleIJPjSI_NS0_16reverse_iteratorISI_EEEEENSH_IJSG_SG_SG_EEES9_SI_JZNS1_25segmented_radix_sort_implINS0_14default_configELb0EPK12hip_bfloat16PSP_PKlPlN2at6native12_GLOBAL__N_18offset_tEEE10hipError_tPvRmT1_PNSt15iterator_traitsIS13_E10value_typeET2_T3_PNS14_IS19_E10value_typeET4_jRbjT5_S1F_jjP12ihipStream_tbEUljE_ZNSN_ISO_Lb0ESR_SS_SU_SV_SZ_EES10_S11_S12_S13_S17_S18_S19_S1C_S1D_jS1E_jS1F_S1F_jjS1H_bEUljE0_EEES10_S11_S12_S19_S1D_S1F_T6_T7_T9_mT8_S1H_bDpT10_ENKUlT_T0_E_clISt17integral_constantIbLb0EES1V_EEDaS1Q_S1R_EUlS1Q_E_NS1_11comp_targetILNS1_3genE9ELNS1_11target_archE1100ELNS1_3gpuE3ELNS1_3repE0EEENS1_30default_config_static_selectorELNS0_4arch9wavefront6targetE0EEEvS13_ ; -- Begin function _ZN7rocprim17ROCPRIM_400000_NS6detail17trampoline_kernelINS0_13select_configILj256ELj13ELNS0_17block_load_methodE3ELS4_3ELS4_3ELNS0_20block_scan_algorithmE0ELj4294967295EEENS1_25partition_config_selectorILNS1_17partition_subalgoE4EjNS0_10empty_typeEbEEZZNS1_14partition_implILS8_4ELb0ES6_15HIP_vector_typeIjLj2EENS0_17counting_iteratorIjlEEPS9_SG_NS0_5tupleIJPjSI_NS0_16reverse_iteratorISI_EEEEENSH_IJSG_SG_SG_EEES9_SI_JZNS1_25segmented_radix_sort_implINS0_14default_configELb0EPK12hip_bfloat16PSP_PKlPlN2at6native12_GLOBAL__N_18offset_tEEE10hipError_tPvRmT1_PNSt15iterator_traitsIS13_E10value_typeET2_T3_PNS14_IS19_E10value_typeET4_jRbjT5_S1F_jjP12ihipStream_tbEUljE_ZNSN_ISO_Lb0ESR_SS_SU_SV_SZ_EES10_S11_S12_S13_S17_S18_S19_S1C_S1D_jS1E_jS1F_S1F_jjS1H_bEUljE0_EEES10_S11_S12_S19_S1D_S1F_T6_T7_T9_mT8_S1H_bDpT10_ENKUlT_T0_E_clISt17integral_constantIbLb0EES1V_EEDaS1Q_S1R_EUlS1Q_E_NS1_11comp_targetILNS1_3genE9ELNS1_11target_archE1100ELNS1_3gpuE3ELNS1_3repE0EEENS1_30default_config_static_selectorELNS0_4arch9wavefront6targetE0EEEvS13_
	.p2align	8
	.type	_ZN7rocprim17ROCPRIM_400000_NS6detail17trampoline_kernelINS0_13select_configILj256ELj13ELNS0_17block_load_methodE3ELS4_3ELS4_3ELNS0_20block_scan_algorithmE0ELj4294967295EEENS1_25partition_config_selectorILNS1_17partition_subalgoE4EjNS0_10empty_typeEbEEZZNS1_14partition_implILS8_4ELb0ES6_15HIP_vector_typeIjLj2EENS0_17counting_iteratorIjlEEPS9_SG_NS0_5tupleIJPjSI_NS0_16reverse_iteratorISI_EEEEENSH_IJSG_SG_SG_EEES9_SI_JZNS1_25segmented_radix_sort_implINS0_14default_configELb0EPK12hip_bfloat16PSP_PKlPlN2at6native12_GLOBAL__N_18offset_tEEE10hipError_tPvRmT1_PNSt15iterator_traitsIS13_E10value_typeET2_T3_PNS14_IS19_E10value_typeET4_jRbjT5_S1F_jjP12ihipStream_tbEUljE_ZNSN_ISO_Lb0ESR_SS_SU_SV_SZ_EES10_S11_S12_S13_S17_S18_S19_S1C_S1D_jS1E_jS1F_S1F_jjS1H_bEUljE0_EEES10_S11_S12_S19_S1D_S1F_T6_T7_T9_mT8_S1H_bDpT10_ENKUlT_T0_E_clISt17integral_constantIbLb0EES1V_EEDaS1Q_S1R_EUlS1Q_E_NS1_11comp_targetILNS1_3genE9ELNS1_11target_archE1100ELNS1_3gpuE3ELNS1_3repE0EEENS1_30default_config_static_selectorELNS0_4arch9wavefront6targetE0EEEvS13_,@function
_ZN7rocprim17ROCPRIM_400000_NS6detail17trampoline_kernelINS0_13select_configILj256ELj13ELNS0_17block_load_methodE3ELS4_3ELS4_3ELNS0_20block_scan_algorithmE0ELj4294967295EEENS1_25partition_config_selectorILNS1_17partition_subalgoE4EjNS0_10empty_typeEbEEZZNS1_14partition_implILS8_4ELb0ES6_15HIP_vector_typeIjLj2EENS0_17counting_iteratorIjlEEPS9_SG_NS0_5tupleIJPjSI_NS0_16reverse_iteratorISI_EEEEENSH_IJSG_SG_SG_EEES9_SI_JZNS1_25segmented_radix_sort_implINS0_14default_configELb0EPK12hip_bfloat16PSP_PKlPlN2at6native12_GLOBAL__N_18offset_tEEE10hipError_tPvRmT1_PNSt15iterator_traitsIS13_E10value_typeET2_T3_PNS14_IS19_E10value_typeET4_jRbjT5_S1F_jjP12ihipStream_tbEUljE_ZNSN_ISO_Lb0ESR_SS_SU_SV_SZ_EES10_S11_S12_S13_S17_S18_S19_S1C_S1D_jS1E_jS1F_S1F_jjS1H_bEUljE0_EEES10_S11_S12_S19_S1D_S1F_T6_T7_T9_mT8_S1H_bDpT10_ENKUlT_T0_E_clISt17integral_constantIbLb0EES1V_EEDaS1Q_S1R_EUlS1Q_E_NS1_11comp_targetILNS1_3genE9ELNS1_11target_archE1100ELNS1_3gpuE3ELNS1_3repE0EEENS1_30default_config_static_selectorELNS0_4arch9wavefront6targetE0EEEvS13_: ; @_ZN7rocprim17ROCPRIM_400000_NS6detail17trampoline_kernelINS0_13select_configILj256ELj13ELNS0_17block_load_methodE3ELS4_3ELS4_3ELNS0_20block_scan_algorithmE0ELj4294967295EEENS1_25partition_config_selectorILNS1_17partition_subalgoE4EjNS0_10empty_typeEbEEZZNS1_14partition_implILS8_4ELb0ES6_15HIP_vector_typeIjLj2EENS0_17counting_iteratorIjlEEPS9_SG_NS0_5tupleIJPjSI_NS0_16reverse_iteratorISI_EEEEENSH_IJSG_SG_SG_EEES9_SI_JZNS1_25segmented_radix_sort_implINS0_14default_configELb0EPK12hip_bfloat16PSP_PKlPlN2at6native12_GLOBAL__N_18offset_tEEE10hipError_tPvRmT1_PNSt15iterator_traitsIS13_E10value_typeET2_T3_PNS14_IS19_E10value_typeET4_jRbjT5_S1F_jjP12ihipStream_tbEUljE_ZNSN_ISO_Lb0ESR_SS_SU_SV_SZ_EES10_S11_S12_S13_S17_S18_S19_S1C_S1D_jS1E_jS1F_S1F_jjS1H_bEUljE0_EEES10_S11_S12_S19_S1D_S1F_T6_T7_T9_mT8_S1H_bDpT10_ENKUlT_T0_E_clISt17integral_constantIbLb0EES1V_EEDaS1Q_S1R_EUlS1Q_E_NS1_11comp_targetILNS1_3genE9ELNS1_11target_archE1100ELNS1_3gpuE3ELNS1_3repE0EEENS1_30default_config_static_selectorELNS0_4arch9wavefront6targetE0EEEvS13_
; %bb.0:
	.section	.rodata,"a",@progbits
	.p2align	6, 0x0
	.amdhsa_kernel _ZN7rocprim17ROCPRIM_400000_NS6detail17trampoline_kernelINS0_13select_configILj256ELj13ELNS0_17block_load_methodE3ELS4_3ELS4_3ELNS0_20block_scan_algorithmE0ELj4294967295EEENS1_25partition_config_selectorILNS1_17partition_subalgoE4EjNS0_10empty_typeEbEEZZNS1_14partition_implILS8_4ELb0ES6_15HIP_vector_typeIjLj2EENS0_17counting_iteratorIjlEEPS9_SG_NS0_5tupleIJPjSI_NS0_16reverse_iteratorISI_EEEEENSH_IJSG_SG_SG_EEES9_SI_JZNS1_25segmented_radix_sort_implINS0_14default_configELb0EPK12hip_bfloat16PSP_PKlPlN2at6native12_GLOBAL__N_18offset_tEEE10hipError_tPvRmT1_PNSt15iterator_traitsIS13_E10value_typeET2_T3_PNS14_IS19_E10value_typeET4_jRbjT5_S1F_jjP12ihipStream_tbEUljE_ZNSN_ISO_Lb0ESR_SS_SU_SV_SZ_EES10_S11_S12_S13_S17_S18_S19_S1C_S1D_jS1E_jS1F_S1F_jjS1H_bEUljE0_EEES10_S11_S12_S19_S1D_S1F_T6_T7_T9_mT8_S1H_bDpT10_ENKUlT_T0_E_clISt17integral_constantIbLb0EES1V_EEDaS1Q_S1R_EUlS1Q_E_NS1_11comp_targetILNS1_3genE9ELNS1_11target_archE1100ELNS1_3gpuE3ELNS1_3repE0EEENS1_30default_config_static_selectorELNS0_4arch9wavefront6targetE0EEEvS13_
		.amdhsa_group_segment_fixed_size 0
		.amdhsa_private_segment_fixed_size 0
		.amdhsa_kernarg_size 176
		.amdhsa_user_sgpr_count 2
		.amdhsa_user_sgpr_dispatch_ptr 0
		.amdhsa_user_sgpr_queue_ptr 0
		.amdhsa_user_sgpr_kernarg_segment_ptr 1
		.amdhsa_user_sgpr_dispatch_id 0
		.amdhsa_user_sgpr_kernarg_preload_length 0
		.amdhsa_user_sgpr_kernarg_preload_offset 0
		.amdhsa_user_sgpr_private_segment_size 0
		.amdhsa_wavefront_size32 1
		.amdhsa_uses_dynamic_stack 0
		.amdhsa_enable_private_segment 0
		.amdhsa_system_sgpr_workgroup_id_x 1
		.amdhsa_system_sgpr_workgroup_id_y 0
		.amdhsa_system_sgpr_workgroup_id_z 0
		.amdhsa_system_sgpr_workgroup_info 0
		.amdhsa_system_vgpr_workitem_id 0
		.amdhsa_next_free_vgpr 1
		.amdhsa_next_free_sgpr 1
		.amdhsa_named_barrier_count 0
		.amdhsa_reserve_vcc 0
		.amdhsa_float_round_mode_32 0
		.amdhsa_float_round_mode_16_64 0
		.amdhsa_float_denorm_mode_32 3
		.amdhsa_float_denorm_mode_16_64 3
		.amdhsa_fp16_overflow 0
		.amdhsa_memory_ordered 1
		.amdhsa_forward_progress 1
		.amdhsa_inst_pref_size 0
		.amdhsa_round_robin_scheduling 0
		.amdhsa_exception_fp_ieee_invalid_op 0
		.amdhsa_exception_fp_denorm_src 0
		.amdhsa_exception_fp_ieee_div_zero 0
		.amdhsa_exception_fp_ieee_overflow 0
		.amdhsa_exception_fp_ieee_underflow 0
		.amdhsa_exception_fp_ieee_inexact 0
		.amdhsa_exception_int_div_zero 0
	.end_amdhsa_kernel
	.section	.text._ZN7rocprim17ROCPRIM_400000_NS6detail17trampoline_kernelINS0_13select_configILj256ELj13ELNS0_17block_load_methodE3ELS4_3ELS4_3ELNS0_20block_scan_algorithmE0ELj4294967295EEENS1_25partition_config_selectorILNS1_17partition_subalgoE4EjNS0_10empty_typeEbEEZZNS1_14partition_implILS8_4ELb0ES6_15HIP_vector_typeIjLj2EENS0_17counting_iteratorIjlEEPS9_SG_NS0_5tupleIJPjSI_NS0_16reverse_iteratorISI_EEEEENSH_IJSG_SG_SG_EEES9_SI_JZNS1_25segmented_radix_sort_implINS0_14default_configELb0EPK12hip_bfloat16PSP_PKlPlN2at6native12_GLOBAL__N_18offset_tEEE10hipError_tPvRmT1_PNSt15iterator_traitsIS13_E10value_typeET2_T3_PNS14_IS19_E10value_typeET4_jRbjT5_S1F_jjP12ihipStream_tbEUljE_ZNSN_ISO_Lb0ESR_SS_SU_SV_SZ_EES10_S11_S12_S13_S17_S18_S19_S1C_S1D_jS1E_jS1F_S1F_jjS1H_bEUljE0_EEES10_S11_S12_S19_S1D_S1F_T6_T7_T9_mT8_S1H_bDpT10_ENKUlT_T0_E_clISt17integral_constantIbLb0EES1V_EEDaS1Q_S1R_EUlS1Q_E_NS1_11comp_targetILNS1_3genE9ELNS1_11target_archE1100ELNS1_3gpuE3ELNS1_3repE0EEENS1_30default_config_static_selectorELNS0_4arch9wavefront6targetE0EEEvS13_,"axG",@progbits,_ZN7rocprim17ROCPRIM_400000_NS6detail17trampoline_kernelINS0_13select_configILj256ELj13ELNS0_17block_load_methodE3ELS4_3ELS4_3ELNS0_20block_scan_algorithmE0ELj4294967295EEENS1_25partition_config_selectorILNS1_17partition_subalgoE4EjNS0_10empty_typeEbEEZZNS1_14partition_implILS8_4ELb0ES6_15HIP_vector_typeIjLj2EENS0_17counting_iteratorIjlEEPS9_SG_NS0_5tupleIJPjSI_NS0_16reverse_iteratorISI_EEEEENSH_IJSG_SG_SG_EEES9_SI_JZNS1_25segmented_radix_sort_implINS0_14default_configELb0EPK12hip_bfloat16PSP_PKlPlN2at6native12_GLOBAL__N_18offset_tEEE10hipError_tPvRmT1_PNSt15iterator_traitsIS13_E10value_typeET2_T3_PNS14_IS19_E10value_typeET4_jRbjT5_S1F_jjP12ihipStream_tbEUljE_ZNSN_ISO_Lb0ESR_SS_SU_SV_SZ_EES10_S11_S12_S13_S17_S18_S19_S1C_S1D_jS1E_jS1F_S1F_jjS1H_bEUljE0_EEES10_S11_S12_S19_S1D_S1F_T6_T7_T9_mT8_S1H_bDpT10_ENKUlT_T0_E_clISt17integral_constantIbLb0EES1V_EEDaS1Q_S1R_EUlS1Q_E_NS1_11comp_targetILNS1_3genE9ELNS1_11target_archE1100ELNS1_3gpuE3ELNS1_3repE0EEENS1_30default_config_static_selectorELNS0_4arch9wavefront6targetE0EEEvS13_,comdat
.Lfunc_end1981:
	.size	_ZN7rocprim17ROCPRIM_400000_NS6detail17trampoline_kernelINS0_13select_configILj256ELj13ELNS0_17block_load_methodE3ELS4_3ELS4_3ELNS0_20block_scan_algorithmE0ELj4294967295EEENS1_25partition_config_selectorILNS1_17partition_subalgoE4EjNS0_10empty_typeEbEEZZNS1_14partition_implILS8_4ELb0ES6_15HIP_vector_typeIjLj2EENS0_17counting_iteratorIjlEEPS9_SG_NS0_5tupleIJPjSI_NS0_16reverse_iteratorISI_EEEEENSH_IJSG_SG_SG_EEES9_SI_JZNS1_25segmented_radix_sort_implINS0_14default_configELb0EPK12hip_bfloat16PSP_PKlPlN2at6native12_GLOBAL__N_18offset_tEEE10hipError_tPvRmT1_PNSt15iterator_traitsIS13_E10value_typeET2_T3_PNS14_IS19_E10value_typeET4_jRbjT5_S1F_jjP12ihipStream_tbEUljE_ZNSN_ISO_Lb0ESR_SS_SU_SV_SZ_EES10_S11_S12_S13_S17_S18_S19_S1C_S1D_jS1E_jS1F_S1F_jjS1H_bEUljE0_EEES10_S11_S12_S19_S1D_S1F_T6_T7_T9_mT8_S1H_bDpT10_ENKUlT_T0_E_clISt17integral_constantIbLb0EES1V_EEDaS1Q_S1R_EUlS1Q_E_NS1_11comp_targetILNS1_3genE9ELNS1_11target_archE1100ELNS1_3gpuE3ELNS1_3repE0EEENS1_30default_config_static_selectorELNS0_4arch9wavefront6targetE0EEEvS13_, .Lfunc_end1981-_ZN7rocprim17ROCPRIM_400000_NS6detail17trampoline_kernelINS0_13select_configILj256ELj13ELNS0_17block_load_methodE3ELS4_3ELS4_3ELNS0_20block_scan_algorithmE0ELj4294967295EEENS1_25partition_config_selectorILNS1_17partition_subalgoE4EjNS0_10empty_typeEbEEZZNS1_14partition_implILS8_4ELb0ES6_15HIP_vector_typeIjLj2EENS0_17counting_iteratorIjlEEPS9_SG_NS0_5tupleIJPjSI_NS0_16reverse_iteratorISI_EEEEENSH_IJSG_SG_SG_EEES9_SI_JZNS1_25segmented_radix_sort_implINS0_14default_configELb0EPK12hip_bfloat16PSP_PKlPlN2at6native12_GLOBAL__N_18offset_tEEE10hipError_tPvRmT1_PNSt15iterator_traitsIS13_E10value_typeET2_T3_PNS14_IS19_E10value_typeET4_jRbjT5_S1F_jjP12ihipStream_tbEUljE_ZNSN_ISO_Lb0ESR_SS_SU_SV_SZ_EES10_S11_S12_S13_S17_S18_S19_S1C_S1D_jS1E_jS1F_S1F_jjS1H_bEUljE0_EEES10_S11_S12_S19_S1D_S1F_T6_T7_T9_mT8_S1H_bDpT10_ENKUlT_T0_E_clISt17integral_constantIbLb0EES1V_EEDaS1Q_S1R_EUlS1Q_E_NS1_11comp_targetILNS1_3genE9ELNS1_11target_archE1100ELNS1_3gpuE3ELNS1_3repE0EEENS1_30default_config_static_selectorELNS0_4arch9wavefront6targetE0EEEvS13_
                                        ; -- End function
	.set _ZN7rocprim17ROCPRIM_400000_NS6detail17trampoline_kernelINS0_13select_configILj256ELj13ELNS0_17block_load_methodE3ELS4_3ELS4_3ELNS0_20block_scan_algorithmE0ELj4294967295EEENS1_25partition_config_selectorILNS1_17partition_subalgoE4EjNS0_10empty_typeEbEEZZNS1_14partition_implILS8_4ELb0ES6_15HIP_vector_typeIjLj2EENS0_17counting_iteratorIjlEEPS9_SG_NS0_5tupleIJPjSI_NS0_16reverse_iteratorISI_EEEEENSH_IJSG_SG_SG_EEES9_SI_JZNS1_25segmented_radix_sort_implINS0_14default_configELb0EPK12hip_bfloat16PSP_PKlPlN2at6native12_GLOBAL__N_18offset_tEEE10hipError_tPvRmT1_PNSt15iterator_traitsIS13_E10value_typeET2_T3_PNS14_IS19_E10value_typeET4_jRbjT5_S1F_jjP12ihipStream_tbEUljE_ZNSN_ISO_Lb0ESR_SS_SU_SV_SZ_EES10_S11_S12_S13_S17_S18_S19_S1C_S1D_jS1E_jS1F_S1F_jjS1H_bEUljE0_EEES10_S11_S12_S19_S1D_S1F_T6_T7_T9_mT8_S1H_bDpT10_ENKUlT_T0_E_clISt17integral_constantIbLb0EES1V_EEDaS1Q_S1R_EUlS1Q_E_NS1_11comp_targetILNS1_3genE9ELNS1_11target_archE1100ELNS1_3gpuE3ELNS1_3repE0EEENS1_30default_config_static_selectorELNS0_4arch9wavefront6targetE0EEEvS13_.num_vgpr, 0
	.set _ZN7rocprim17ROCPRIM_400000_NS6detail17trampoline_kernelINS0_13select_configILj256ELj13ELNS0_17block_load_methodE3ELS4_3ELS4_3ELNS0_20block_scan_algorithmE0ELj4294967295EEENS1_25partition_config_selectorILNS1_17partition_subalgoE4EjNS0_10empty_typeEbEEZZNS1_14partition_implILS8_4ELb0ES6_15HIP_vector_typeIjLj2EENS0_17counting_iteratorIjlEEPS9_SG_NS0_5tupleIJPjSI_NS0_16reverse_iteratorISI_EEEEENSH_IJSG_SG_SG_EEES9_SI_JZNS1_25segmented_radix_sort_implINS0_14default_configELb0EPK12hip_bfloat16PSP_PKlPlN2at6native12_GLOBAL__N_18offset_tEEE10hipError_tPvRmT1_PNSt15iterator_traitsIS13_E10value_typeET2_T3_PNS14_IS19_E10value_typeET4_jRbjT5_S1F_jjP12ihipStream_tbEUljE_ZNSN_ISO_Lb0ESR_SS_SU_SV_SZ_EES10_S11_S12_S13_S17_S18_S19_S1C_S1D_jS1E_jS1F_S1F_jjS1H_bEUljE0_EEES10_S11_S12_S19_S1D_S1F_T6_T7_T9_mT8_S1H_bDpT10_ENKUlT_T0_E_clISt17integral_constantIbLb0EES1V_EEDaS1Q_S1R_EUlS1Q_E_NS1_11comp_targetILNS1_3genE9ELNS1_11target_archE1100ELNS1_3gpuE3ELNS1_3repE0EEENS1_30default_config_static_selectorELNS0_4arch9wavefront6targetE0EEEvS13_.num_agpr, 0
	.set _ZN7rocprim17ROCPRIM_400000_NS6detail17trampoline_kernelINS0_13select_configILj256ELj13ELNS0_17block_load_methodE3ELS4_3ELS4_3ELNS0_20block_scan_algorithmE0ELj4294967295EEENS1_25partition_config_selectorILNS1_17partition_subalgoE4EjNS0_10empty_typeEbEEZZNS1_14partition_implILS8_4ELb0ES6_15HIP_vector_typeIjLj2EENS0_17counting_iteratorIjlEEPS9_SG_NS0_5tupleIJPjSI_NS0_16reverse_iteratorISI_EEEEENSH_IJSG_SG_SG_EEES9_SI_JZNS1_25segmented_radix_sort_implINS0_14default_configELb0EPK12hip_bfloat16PSP_PKlPlN2at6native12_GLOBAL__N_18offset_tEEE10hipError_tPvRmT1_PNSt15iterator_traitsIS13_E10value_typeET2_T3_PNS14_IS19_E10value_typeET4_jRbjT5_S1F_jjP12ihipStream_tbEUljE_ZNSN_ISO_Lb0ESR_SS_SU_SV_SZ_EES10_S11_S12_S13_S17_S18_S19_S1C_S1D_jS1E_jS1F_S1F_jjS1H_bEUljE0_EEES10_S11_S12_S19_S1D_S1F_T6_T7_T9_mT8_S1H_bDpT10_ENKUlT_T0_E_clISt17integral_constantIbLb0EES1V_EEDaS1Q_S1R_EUlS1Q_E_NS1_11comp_targetILNS1_3genE9ELNS1_11target_archE1100ELNS1_3gpuE3ELNS1_3repE0EEENS1_30default_config_static_selectorELNS0_4arch9wavefront6targetE0EEEvS13_.numbered_sgpr, 0
	.set _ZN7rocprim17ROCPRIM_400000_NS6detail17trampoline_kernelINS0_13select_configILj256ELj13ELNS0_17block_load_methodE3ELS4_3ELS4_3ELNS0_20block_scan_algorithmE0ELj4294967295EEENS1_25partition_config_selectorILNS1_17partition_subalgoE4EjNS0_10empty_typeEbEEZZNS1_14partition_implILS8_4ELb0ES6_15HIP_vector_typeIjLj2EENS0_17counting_iteratorIjlEEPS9_SG_NS0_5tupleIJPjSI_NS0_16reverse_iteratorISI_EEEEENSH_IJSG_SG_SG_EEES9_SI_JZNS1_25segmented_radix_sort_implINS0_14default_configELb0EPK12hip_bfloat16PSP_PKlPlN2at6native12_GLOBAL__N_18offset_tEEE10hipError_tPvRmT1_PNSt15iterator_traitsIS13_E10value_typeET2_T3_PNS14_IS19_E10value_typeET4_jRbjT5_S1F_jjP12ihipStream_tbEUljE_ZNSN_ISO_Lb0ESR_SS_SU_SV_SZ_EES10_S11_S12_S13_S17_S18_S19_S1C_S1D_jS1E_jS1F_S1F_jjS1H_bEUljE0_EEES10_S11_S12_S19_S1D_S1F_T6_T7_T9_mT8_S1H_bDpT10_ENKUlT_T0_E_clISt17integral_constantIbLb0EES1V_EEDaS1Q_S1R_EUlS1Q_E_NS1_11comp_targetILNS1_3genE9ELNS1_11target_archE1100ELNS1_3gpuE3ELNS1_3repE0EEENS1_30default_config_static_selectorELNS0_4arch9wavefront6targetE0EEEvS13_.num_named_barrier, 0
	.set _ZN7rocprim17ROCPRIM_400000_NS6detail17trampoline_kernelINS0_13select_configILj256ELj13ELNS0_17block_load_methodE3ELS4_3ELS4_3ELNS0_20block_scan_algorithmE0ELj4294967295EEENS1_25partition_config_selectorILNS1_17partition_subalgoE4EjNS0_10empty_typeEbEEZZNS1_14partition_implILS8_4ELb0ES6_15HIP_vector_typeIjLj2EENS0_17counting_iteratorIjlEEPS9_SG_NS0_5tupleIJPjSI_NS0_16reverse_iteratorISI_EEEEENSH_IJSG_SG_SG_EEES9_SI_JZNS1_25segmented_radix_sort_implINS0_14default_configELb0EPK12hip_bfloat16PSP_PKlPlN2at6native12_GLOBAL__N_18offset_tEEE10hipError_tPvRmT1_PNSt15iterator_traitsIS13_E10value_typeET2_T3_PNS14_IS19_E10value_typeET4_jRbjT5_S1F_jjP12ihipStream_tbEUljE_ZNSN_ISO_Lb0ESR_SS_SU_SV_SZ_EES10_S11_S12_S13_S17_S18_S19_S1C_S1D_jS1E_jS1F_S1F_jjS1H_bEUljE0_EEES10_S11_S12_S19_S1D_S1F_T6_T7_T9_mT8_S1H_bDpT10_ENKUlT_T0_E_clISt17integral_constantIbLb0EES1V_EEDaS1Q_S1R_EUlS1Q_E_NS1_11comp_targetILNS1_3genE9ELNS1_11target_archE1100ELNS1_3gpuE3ELNS1_3repE0EEENS1_30default_config_static_selectorELNS0_4arch9wavefront6targetE0EEEvS13_.private_seg_size, 0
	.set _ZN7rocprim17ROCPRIM_400000_NS6detail17trampoline_kernelINS0_13select_configILj256ELj13ELNS0_17block_load_methodE3ELS4_3ELS4_3ELNS0_20block_scan_algorithmE0ELj4294967295EEENS1_25partition_config_selectorILNS1_17partition_subalgoE4EjNS0_10empty_typeEbEEZZNS1_14partition_implILS8_4ELb0ES6_15HIP_vector_typeIjLj2EENS0_17counting_iteratorIjlEEPS9_SG_NS0_5tupleIJPjSI_NS0_16reverse_iteratorISI_EEEEENSH_IJSG_SG_SG_EEES9_SI_JZNS1_25segmented_radix_sort_implINS0_14default_configELb0EPK12hip_bfloat16PSP_PKlPlN2at6native12_GLOBAL__N_18offset_tEEE10hipError_tPvRmT1_PNSt15iterator_traitsIS13_E10value_typeET2_T3_PNS14_IS19_E10value_typeET4_jRbjT5_S1F_jjP12ihipStream_tbEUljE_ZNSN_ISO_Lb0ESR_SS_SU_SV_SZ_EES10_S11_S12_S13_S17_S18_S19_S1C_S1D_jS1E_jS1F_S1F_jjS1H_bEUljE0_EEES10_S11_S12_S19_S1D_S1F_T6_T7_T9_mT8_S1H_bDpT10_ENKUlT_T0_E_clISt17integral_constantIbLb0EES1V_EEDaS1Q_S1R_EUlS1Q_E_NS1_11comp_targetILNS1_3genE9ELNS1_11target_archE1100ELNS1_3gpuE3ELNS1_3repE0EEENS1_30default_config_static_selectorELNS0_4arch9wavefront6targetE0EEEvS13_.uses_vcc, 0
	.set _ZN7rocprim17ROCPRIM_400000_NS6detail17trampoline_kernelINS0_13select_configILj256ELj13ELNS0_17block_load_methodE3ELS4_3ELS4_3ELNS0_20block_scan_algorithmE0ELj4294967295EEENS1_25partition_config_selectorILNS1_17partition_subalgoE4EjNS0_10empty_typeEbEEZZNS1_14partition_implILS8_4ELb0ES6_15HIP_vector_typeIjLj2EENS0_17counting_iteratorIjlEEPS9_SG_NS0_5tupleIJPjSI_NS0_16reverse_iteratorISI_EEEEENSH_IJSG_SG_SG_EEES9_SI_JZNS1_25segmented_radix_sort_implINS0_14default_configELb0EPK12hip_bfloat16PSP_PKlPlN2at6native12_GLOBAL__N_18offset_tEEE10hipError_tPvRmT1_PNSt15iterator_traitsIS13_E10value_typeET2_T3_PNS14_IS19_E10value_typeET4_jRbjT5_S1F_jjP12ihipStream_tbEUljE_ZNSN_ISO_Lb0ESR_SS_SU_SV_SZ_EES10_S11_S12_S13_S17_S18_S19_S1C_S1D_jS1E_jS1F_S1F_jjS1H_bEUljE0_EEES10_S11_S12_S19_S1D_S1F_T6_T7_T9_mT8_S1H_bDpT10_ENKUlT_T0_E_clISt17integral_constantIbLb0EES1V_EEDaS1Q_S1R_EUlS1Q_E_NS1_11comp_targetILNS1_3genE9ELNS1_11target_archE1100ELNS1_3gpuE3ELNS1_3repE0EEENS1_30default_config_static_selectorELNS0_4arch9wavefront6targetE0EEEvS13_.uses_flat_scratch, 0
	.set _ZN7rocprim17ROCPRIM_400000_NS6detail17trampoline_kernelINS0_13select_configILj256ELj13ELNS0_17block_load_methodE3ELS4_3ELS4_3ELNS0_20block_scan_algorithmE0ELj4294967295EEENS1_25partition_config_selectorILNS1_17partition_subalgoE4EjNS0_10empty_typeEbEEZZNS1_14partition_implILS8_4ELb0ES6_15HIP_vector_typeIjLj2EENS0_17counting_iteratorIjlEEPS9_SG_NS0_5tupleIJPjSI_NS0_16reverse_iteratorISI_EEEEENSH_IJSG_SG_SG_EEES9_SI_JZNS1_25segmented_radix_sort_implINS0_14default_configELb0EPK12hip_bfloat16PSP_PKlPlN2at6native12_GLOBAL__N_18offset_tEEE10hipError_tPvRmT1_PNSt15iterator_traitsIS13_E10value_typeET2_T3_PNS14_IS19_E10value_typeET4_jRbjT5_S1F_jjP12ihipStream_tbEUljE_ZNSN_ISO_Lb0ESR_SS_SU_SV_SZ_EES10_S11_S12_S13_S17_S18_S19_S1C_S1D_jS1E_jS1F_S1F_jjS1H_bEUljE0_EEES10_S11_S12_S19_S1D_S1F_T6_T7_T9_mT8_S1H_bDpT10_ENKUlT_T0_E_clISt17integral_constantIbLb0EES1V_EEDaS1Q_S1R_EUlS1Q_E_NS1_11comp_targetILNS1_3genE9ELNS1_11target_archE1100ELNS1_3gpuE3ELNS1_3repE0EEENS1_30default_config_static_selectorELNS0_4arch9wavefront6targetE0EEEvS13_.has_dyn_sized_stack, 0
	.set _ZN7rocprim17ROCPRIM_400000_NS6detail17trampoline_kernelINS0_13select_configILj256ELj13ELNS0_17block_load_methodE3ELS4_3ELS4_3ELNS0_20block_scan_algorithmE0ELj4294967295EEENS1_25partition_config_selectorILNS1_17partition_subalgoE4EjNS0_10empty_typeEbEEZZNS1_14partition_implILS8_4ELb0ES6_15HIP_vector_typeIjLj2EENS0_17counting_iteratorIjlEEPS9_SG_NS0_5tupleIJPjSI_NS0_16reverse_iteratorISI_EEEEENSH_IJSG_SG_SG_EEES9_SI_JZNS1_25segmented_radix_sort_implINS0_14default_configELb0EPK12hip_bfloat16PSP_PKlPlN2at6native12_GLOBAL__N_18offset_tEEE10hipError_tPvRmT1_PNSt15iterator_traitsIS13_E10value_typeET2_T3_PNS14_IS19_E10value_typeET4_jRbjT5_S1F_jjP12ihipStream_tbEUljE_ZNSN_ISO_Lb0ESR_SS_SU_SV_SZ_EES10_S11_S12_S13_S17_S18_S19_S1C_S1D_jS1E_jS1F_S1F_jjS1H_bEUljE0_EEES10_S11_S12_S19_S1D_S1F_T6_T7_T9_mT8_S1H_bDpT10_ENKUlT_T0_E_clISt17integral_constantIbLb0EES1V_EEDaS1Q_S1R_EUlS1Q_E_NS1_11comp_targetILNS1_3genE9ELNS1_11target_archE1100ELNS1_3gpuE3ELNS1_3repE0EEENS1_30default_config_static_selectorELNS0_4arch9wavefront6targetE0EEEvS13_.has_recursion, 0
	.set _ZN7rocprim17ROCPRIM_400000_NS6detail17trampoline_kernelINS0_13select_configILj256ELj13ELNS0_17block_load_methodE3ELS4_3ELS4_3ELNS0_20block_scan_algorithmE0ELj4294967295EEENS1_25partition_config_selectorILNS1_17partition_subalgoE4EjNS0_10empty_typeEbEEZZNS1_14partition_implILS8_4ELb0ES6_15HIP_vector_typeIjLj2EENS0_17counting_iteratorIjlEEPS9_SG_NS0_5tupleIJPjSI_NS0_16reverse_iteratorISI_EEEEENSH_IJSG_SG_SG_EEES9_SI_JZNS1_25segmented_radix_sort_implINS0_14default_configELb0EPK12hip_bfloat16PSP_PKlPlN2at6native12_GLOBAL__N_18offset_tEEE10hipError_tPvRmT1_PNSt15iterator_traitsIS13_E10value_typeET2_T3_PNS14_IS19_E10value_typeET4_jRbjT5_S1F_jjP12ihipStream_tbEUljE_ZNSN_ISO_Lb0ESR_SS_SU_SV_SZ_EES10_S11_S12_S13_S17_S18_S19_S1C_S1D_jS1E_jS1F_S1F_jjS1H_bEUljE0_EEES10_S11_S12_S19_S1D_S1F_T6_T7_T9_mT8_S1H_bDpT10_ENKUlT_T0_E_clISt17integral_constantIbLb0EES1V_EEDaS1Q_S1R_EUlS1Q_E_NS1_11comp_targetILNS1_3genE9ELNS1_11target_archE1100ELNS1_3gpuE3ELNS1_3repE0EEENS1_30default_config_static_selectorELNS0_4arch9wavefront6targetE0EEEvS13_.has_indirect_call, 0
	.section	.AMDGPU.csdata,"",@progbits
; Kernel info:
; codeLenInByte = 0
; TotalNumSgprs: 0
; NumVgprs: 0
; ScratchSize: 0
; MemoryBound: 0
; FloatMode: 240
; IeeeMode: 1
; LDSByteSize: 0 bytes/workgroup (compile time only)
; SGPRBlocks: 0
; VGPRBlocks: 0
; NumSGPRsForWavesPerEU: 1
; NumVGPRsForWavesPerEU: 1
; NamedBarCnt: 0
; Occupancy: 16
; WaveLimiterHint : 0
; COMPUTE_PGM_RSRC2:SCRATCH_EN: 0
; COMPUTE_PGM_RSRC2:USER_SGPR: 2
; COMPUTE_PGM_RSRC2:TRAP_HANDLER: 0
; COMPUTE_PGM_RSRC2:TGID_X_EN: 1
; COMPUTE_PGM_RSRC2:TGID_Y_EN: 0
; COMPUTE_PGM_RSRC2:TGID_Z_EN: 0
; COMPUTE_PGM_RSRC2:TIDIG_COMP_CNT: 0
	.section	.text._ZN7rocprim17ROCPRIM_400000_NS6detail17trampoline_kernelINS0_13select_configILj256ELj13ELNS0_17block_load_methodE3ELS4_3ELS4_3ELNS0_20block_scan_algorithmE0ELj4294967295EEENS1_25partition_config_selectorILNS1_17partition_subalgoE4EjNS0_10empty_typeEbEEZZNS1_14partition_implILS8_4ELb0ES6_15HIP_vector_typeIjLj2EENS0_17counting_iteratorIjlEEPS9_SG_NS0_5tupleIJPjSI_NS0_16reverse_iteratorISI_EEEEENSH_IJSG_SG_SG_EEES9_SI_JZNS1_25segmented_radix_sort_implINS0_14default_configELb0EPK12hip_bfloat16PSP_PKlPlN2at6native12_GLOBAL__N_18offset_tEEE10hipError_tPvRmT1_PNSt15iterator_traitsIS13_E10value_typeET2_T3_PNS14_IS19_E10value_typeET4_jRbjT5_S1F_jjP12ihipStream_tbEUljE_ZNSN_ISO_Lb0ESR_SS_SU_SV_SZ_EES10_S11_S12_S13_S17_S18_S19_S1C_S1D_jS1E_jS1F_S1F_jjS1H_bEUljE0_EEES10_S11_S12_S19_S1D_S1F_T6_T7_T9_mT8_S1H_bDpT10_ENKUlT_T0_E_clISt17integral_constantIbLb0EES1V_EEDaS1Q_S1R_EUlS1Q_E_NS1_11comp_targetILNS1_3genE8ELNS1_11target_archE1030ELNS1_3gpuE2ELNS1_3repE0EEENS1_30default_config_static_selectorELNS0_4arch9wavefront6targetE0EEEvS13_,"axG",@progbits,_ZN7rocprim17ROCPRIM_400000_NS6detail17trampoline_kernelINS0_13select_configILj256ELj13ELNS0_17block_load_methodE3ELS4_3ELS4_3ELNS0_20block_scan_algorithmE0ELj4294967295EEENS1_25partition_config_selectorILNS1_17partition_subalgoE4EjNS0_10empty_typeEbEEZZNS1_14partition_implILS8_4ELb0ES6_15HIP_vector_typeIjLj2EENS0_17counting_iteratorIjlEEPS9_SG_NS0_5tupleIJPjSI_NS0_16reverse_iteratorISI_EEEEENSH_IJSG_SG_SG_EEES9_SI_JZNS1_25segmented_radix_sort_implINS0_14default_configELb0EPK12hip_bfloat16PSP_PKlPlN2at6native12_GLOBAL__N_18offset_tEEE10hipError_tPvRmT1_PNSt15iterator_traitsIS13_E10value_typeET2_T3_PNS14_IS19_E10value_typeET4_jRbjT5_S1F_jjP12ihipStream_tbEUljE_ZNSN_ISO_Lb0ESR_SS_SU_SV_SZ_EES10_S11_S12_S13_S17_S18_S19_S1C_S1D_jS1E_jS1F_S1F_jjS1H_bEUljE0_EEES10_S11_S12_S19_S1D_S1F_T6_T7_T9_mT8_S1H_bDpT10_ENKUlT_T0_E_clISt17integral_constantIbLb0EES1V_EEDaS1Q_S1R_EUlS1Q_E_NS1_11comp_targetILNS1_3genE8ELNS1_11target_archE1030ELNS1_3gpuE2ELNS1_3repE0EEENS1_30default_config_static_selectorELNS0_4arch9wavefront6targetE0EEEvS13_,comdat
	.globl	_ZN7rocprim17ROCPRIM_400000_NS6detail17trampoline_kernelINS0_13select_configILj256ELj13ELNS0_17block_load_methodE3ELS4_3ELS4_3ELNS0_20block_scan_algorithmE0ELj4294967295EEENS1_25partition_config_selectorILNS1_17partition_subalgoE4EjNS0_10empty_typeEbEEZZNS1_14partition_implILS8_4ELb0ES6_15HIP_vector_typeIjLj2EENS0_17counting_iteratorIjlEEPS9_SG_NS0_5tupleIJPjSI_NS0_16reverse_iteratorISI_EEEEENSH_IJSG_SG_SG_EEES9_SI_JZNS1_25segmented_radix_sort_implINS0_14default_configELb0EPK12hip_bfloat16PSP_PKlPlN2at6native12_GLOBAL__N_18offset_tEEE10hipError_tPvRmT1_PNSt15iterator_traitsIS13_E10value_typeET2_T3_PNS14_IS19_E10value_typeET4_jRbjT5_S1F_jjP12ihipStream_tbEUljE_ZNSN_ISO_Lb0ESR_SS_SU_SV_SZ_EES10_S11_S12_S13_S17_S18_S19_S1C_S1D_jS1E_jS1F_S1F_jjS1H_bEUljE0_EEES10_S11_S12_S19_S1D_S1F_T6_T7_T9_mT8_S1H_bDpT10_ENKUlT_T0_E_clISt17integral_constantIbLb0EES1V_EEDaS1Q_S1R_EUlS1Q_E_NS1_11comp_targetILNS1_3genE8ELNS1_11target_archE1030ELNS1_3gpuE2ELNS1_3repE0EEENS1_30default_config_static_selectorELNS0_4arch9wavefront6targetE0EEEvS13_ ; -- Begin function _ZN7rocprim17ROCPRIM_400000_NS6detail17trampoline_kernelINS0_13select_configILj256ELj13ELNS0_17block_load_methodE3ELS4_3ELS4_3ELNS0_20block_scan_algorithmE0ELj4294967295EEENS1_25partition_config_selectorILNS1_17partition_subalgoE4EjNS0_10empty_typeEbEEZZNS1_14partition_implILS8_4ELb0ES6_15HIP_vector_typeIjLj2EENS0_17counting_iteratorIjlEEPS9_SG_NS0_5tupleIJPjSI_NS0_16reverse_iteratorISI_EEEEENSH_IJSG_SG_SG_EEES9_SI_JZNS1_25segmented_radix_sort_implINS0_14default_configELb0EPK12hip_bfloat16PSP_PKlPlN2at6native12_GLOBAL__N_18offset_tEEE10hipError_tPvRmT1_PNSt15iterator_traitsIS13_E10value_typeET2_T3_PNS14_IS19_E10value_typeET4_jRbjT5_S1F_jjP12ihipStream_tbEUljE_ZNSN_ISO_Lb0ESR_SS_SU_SV_SZ_EES10_S11_S12_S13_S17_S18_S19_S1C_S1D_jS1E_jS1F_S1F_jjS1H_bEUljE0_EEES10_S11_S12_S19_S1D_S1F_T6_T7_T9_mT8_S1H_bDpT10_ENKUlT_T0_E_clISt17integral_constantIbLb0EES1V_EEDaS1Q_S1R_EUlS1Q_E_NS1_11comp_targetILNS1_3genE8ELNS1_11target_archE1030ELNS1_3gpuE2ELNS1_3repE0EEENS1_30default_config_static_selectorELNS0_4arch9wavefront6targetE0EEEvS13_
	.p2align	8
	.type	_ZN7rocprim17ROCPRIM_400000_NS6detail17trampoline_kernelINS0_13select_configILj256ELj13ELNS0_17block_load_methodE3ELS4_3ELS4_3ELNS0_20block_scan_algorithmE0ELj4294967295EEENS1_25partition_config_selectorILNS1_17partition_subalgoE4EjNS0_10empty_typeEbEEZZNS1_14partition_implILS8_4ELb0ES6_15HIP_vector_typeIjLj2EENS0_17counting_iteratorIjlEEPS9_SG_NS0_5tupleIJPjSI_NS0_16reverse_iteratorISI_EEEEENSH_IJSG_SG_SG_EEES9_SI_JZNS1_25segmented_radix_sort_implINS0_14default_configELb0EPK12hip_bfloat16PSP_PKlPlN2at6native12_GLOBAL__N_18offset_tEEE10hipError_tPvRmT1_PNSt15iterator_traitsIS13_E10value_typeET2_T3_PNS14_IS19_E10value_typeET4_jRbjT5_S1F_jjP12ihipStream_tbEUljE_ZNSN_ISO_Lb0ESR_SS_SU_SV_SZ_EES10_S11_S12_S13_S17_S18_S19_S1C_S1D_jS1E_jS1F_S1F_jjS1H_bEUljE0_EEES10_S11_S12_S19_S1D_S1F_T6_T7_T9_mT8_S1H_bDpT10_ENKUlT_T0_E_clISt17integral_constantIbLb0EES1V_EEDaS1Q_S1R_EUlS1Q_E_NS1_11comp_targetILNS1_3genE8ELNS1_11target_archE1030ELNS1_3gpuE2ELNS1_3repE0EEENS1_30default_config_static_selectorELNS0_4arch9wavefront6targetE0EEEvS13_,@function
_ZN7rocprim17ROCPRIM_400000_NS6detail17trampoline_kernelINS0_13select_configILj256ELj13ELNS0_17block_load_methodE3ELS4_3ELS4_3ELNS0_20block_scan_algorithmE0ELj4294967295EEENS1_25partition_config_selectorILNS1_17partition_subalgoE4EjNS0_10empty_typeEbEEZZNS1_14partition_implILS8_4ELb0ES6_15HIP_vector_typeIjLj2EENS0_17counting_iteratorIjlEEPS9_SG_NS0_5tupleIJPjSI_NS0_16reverse_iteratorISI_EEEEENSH_IJSG_SG_SG_EEES9_SI_JZNS1_25segmented_radix_sort_implINS0_14default_configELb0EPK12hip_bfloat16PSP_PKlPlN2at6native12_GLOBAL__N_18offset_tEEE10hipError_tPvRmT1_PNSt15iterator_traitsIS13_E10value_typeET2_T3_PNS14_IS19_E10value_typeET4_jRbjT5_S1F_jjP12ihipStream_tbEUljE_ZNSN_ISO_Lb0ESR_SS_SU_SV_SZ_EES10_S11_S12_S13_S17_S18_S19_S1C_S1D_jS1E_jS1F_S1F_jjS1H_bEUljE0_EEES10_S11_S12_S19_S1D_S1F_T6_T7_T9_mT8_S1H_bDpT10_ENKUlT_T0_E_clISt17integral_constantIbLb0EES1V_EEDaS1Q_S1R_EUlS1Q_E_NS1_11comp_targetILNS1_3genE8ELNS1_11target_archE1030ELNS1_3gpuE2ELNS1_3repE0EEENS1_30default_config_static_selectorELNS0_4arch9wavefront6targetE0EEEvS13_: ; @_ZN7rocprim17ROCPRIM_400000_NS6detail17trampoline_kernelINS0_13select_configILj256ELj13ELNS0_17block_load_methodE3ELS4_3ELS4_3ELNS0_20block_scan_algorithmE0ELj4294967295EEENS1_25partition_config_selectorILNS1_17partition_subalgoE4EjNS0_10empty_typeEbEEZZNS1_14partition_implILS8_4ELb0ES6_15HIP_vector_typeIjLj2EENS0_17counting_iteratorIjlEEPS9_SG_NS0_5tupleIJPjSI_NS0_16reverse_iteratorISI_EEEEENSH_IJSG_SG_SG_EEES9_SI_JZNS1_25segmented_radix_sort_implINS0_14default_configELb0EPK12hip_bfloat16PSP_PKlPlN2at6native12_GLOBAL__N_18offset_tEEE10hipError_tPvRmT1_PNSt15iterator_traitsIS13_E10value_typeET2_T3_PNS14_IS19_E10value_typeET4_jRbjT5_S1F_jjP12ihipStream_tbEUljE_ZNSN_ISO_Lb0ESR_SS_SU_SV_SZ_EES10_S11_S12_S13_S17_S18_S19_S1C_S1D_jS1E_jS1F_S1F_jjS1H_bEUljE0_EEES10_S11_S12_S19_S1D_S1F_T6_T7_T9_mT8_S1H_bDpT10_ENKUlT_T0_E_clISt17integral_constantIbLb0EES1V_EEDaS1Q_S1R_EUlS1Q_E_NS1_11comp_targetILNS1_3genE8ELNS1_11target_archE1030ELNS1_3gpuE2ELNS1_3repE0EEENS1_30default_config_static_selectorELNS0_4arch9wavefront6targetE0EEEvS13_
; %bb.0:
	.section	.rodata,"a",@progbits
	.p2align	6, 0x0
	.amdhsa_kernel _ZN7rocprim17ROCPRIM_400000_NS6detail17trampoline_kernelINS0_13select_configILj256ELj13ELNS0_17block_load_methodE3ELS4_3ELS4_3ELNS0_20block_scan_algorithmE0ELj4294967295EEENS1_25partition_config_selectorILNS1_17partition_subalgoE4EjNS0_10empty_typeEbEEZZNS1_14partition_implILS8_4ELb0ES6_15HIP_vector_typeIjLj2EENS0_17counting_iteratorIjlEEPS9_SG_NS0_5tupleIJPjSI_NS0_16reverse_iteratorISI_EEEEENSH_IJSG_SG_SG_EEES9_SI_JZNS1_25segmented_radix_sort_implINS0_14default_configELb0EPK12hip_bfloat16PSP_PKlPlN2at6native12_GLOBAL__N_18offset_tEEE10hipError_tPvRmT1_PNSt15iterator_traitsIS13_E10value_typeET2_T3_PNS14_IS19_E10value_typeET4_jRbjT5_S1F_jjP12ihipStream_tbEUljE_ZNSN_ISO_Lb0ESR_SS_SU_SV_SZ_EES10_S11_S12_S13_S17_S18_S19_S1C_S1D_jS1E_jS1F_S1F_jjS1H_bEUljE0_EEES10_S11_S12_S19_S1D_S1F_T6_T7_T9_mT8_S1H_bDpT10_ENKUlT_T0_E_clISt17integral_constantIbLb0EES1V_EEDaS1Q_S1R_EUlS1Q_E_NS1_11comp_targetILNS1_3genE8ELNS1_11target_archE1030ELNS1_3gpuE2ELNS1_3repE0EEENS1_30default_config_static_selectorELNS0_4arch9wavefront6targetE0EEEvS13_
		.amdhsa_group_segment_fixed_size 0
		.amdhsa_private_segment_fixed_size 0
		.amdhsa_kernarg_size 176
		.amdhsa_user_sgpr_count 2
		.amdhsa_user_sgpr_dispatch_ptr 0
		.amdhsa_user_sgpr_queue_ptr 0
		.amdhsa_user_sgpr_kernarg_segment_ptr 1
		.amdhsa_user_sgpr_dispatch_id 0
		.amdhsa_user_sgpr_kernarg_preload_length 0
		.amdhsa_user_sgpr_kernarg_preload_offset 0
		.amdhsa_user_sgpr_private_segment_size 0
		.amdhsa_wavefront_size32 1
		.amdhsa_uses_dynamic_stack 0
		.amdhsa_enable_private_segment 0
		.amdhsa_system_sgpr_workgroup_id_x 1
		.amdhsa_system_sgpr_workgroup_id_y 0
		.amdhsa_system_sgpr_workgroup_id_z 0
		.amdhsa_system_sgpr_workgroup_info 0
		.amdhsa_system_vgpr_workitem_id 0
		.amdhsa_next_free_vgpr 1
		.amdhsa_next_free_sgpr 1
		.amdhsa_named_barrier_count 0
		.amdhsa_reserve_vcc 0
		.amdhsa_float_round_mode_32 0
		.amdhsa_float_round_mode_16_64 0
		.amdhsa_float_denorm_mode_32 3
		.amdhsa_float_denorm_mode_16_64 3
		.amdhsa_fp16_overflow 0
		.amdhsa_memory_ordered 1
		.amdhsa_forward_progress 1
		.amdhsa_inst_pref_size 0
		.amdhsa_round_robin_scheduling 0
		.amdhsa_exception_fp_ieee_invalid_op 0
		.amdhsa_exception_fp_denorm_src 0
		.amdhsa_exception_fp_ieee_div_zero 0
		.amdhsa_exception_fp_ieee_overflow 0
		.amdhsa_exception_fp_ieee_underflow 0
		.amdhsa_exception_fp_ieee_inexact 0
		.amdhsa_exception_int_div_zero 0
	.end_amdhsa_kernel
	.section	.text._ZN7rocprim17ROCPRIM_400000_NS6detail17trampoline_kernelINS0_13select_configILj256ELj13ELNS0_17block_load_methodE3ELS4_3ELS4_3ELNS0_20block_scan_algorithmE0ELj4294967295EEENS1_25partition_config_selectorILNS1_17partition_subalgoE4EjNS0_10empty_typeEbEEZZNS1_14partition_implILS8_4ELb0ES6_15HIP_vector_typeIjLj2EENS0_17counting_iteratorIjlEEPS9_SG_NS0_5tupleIJPjSI_NS0_16reverse_iteratorISI_EEEEENSH_IJSG_SG_SG_EEES9_SI_JZNS1_25segmented_radix_sort_implINS0_14default_configELb0EPK12hip_bfloat16PSP_PKlPlN2at6native12_GLOBAL__N_18offset_tEEE10hipError_tPvRmT1_PNSt15iterator_traitsIS13_E10value_typeET2_T3_PNS14_IS19_E10value_typeET4_jRbjT5_S1F_jjP12ihipStream_tbEUljE_ZNSN_ISO_Lb0ESR_SS_SU_SV_SZ_EES10_S11_S12_S13_S17_S18_S19_S1C_S1D_jS1E_jS1F_S1F_jjS1H_bEUljE0_EEES10_S11_S12_S19_S1D_S1F_T6_T7_T9_mT8_S1H_bDpT10_ENKUlT_T0_E_clISt17integral_constantIbLb0EES1V_EEDaS1Q_S1R_EUlS1Q_E_NS1_11comp_targetILNS1_3genE8ELNS1_11target_archE1030ELNS1_3gpuE2ELNS1_3repE0EEENS1_30default_config_static_selectorELNS0_4arch9wavefront6targetE0EEEvS13_,"axG",@progbits,_ZN7rocprim17ROCPRIM_400000_NS6detail17trampoline_kernelINS0_13select_configILj256ELj13ELNS0_17block_load_methodE3ELS4_3ELS4_3ELNS0_20block_scan_algorithmE0ELj4294967295EEENS1_25partition_config_selectorILNS1_17partition_subalgoE4EjNS0_10empty_typeEbEEZZNS1_14partition_implILS8_4ELb0ES6_15HIP_vector_typeIjLj2EENS0_17counting_iteratorIjlEEPS9_SG_NS0_5tupleIJPjSI_NS0_16reverse_iteratorISI_EEEEENSH_IJSG_SG_SG_EEES9_SI_JZNS1_25segmented_radix_sort_implINS0_14default_configELb0EPK12hip_bfloat16PSP_PKlPlN2at6native12_GLOBAL__N_18offset_tEEE10hipError_tPvRmT1_PNSt15iterator_traitsIS13_E10value_typeET2_T3_PNS14_IS19_E10value_typeET4_jRbjT5_S1F_jjP12ihipStream_tbEUljE_ZNSN_ISO_Lb0ESR_SS_SU_SV_SZ_EES10_S11_S12_S13_S17_S18_S19_S1C_S1D_jS1E_jS1F_S1F_jjS1H_bEUljE0_EEES10_S11_S12_S19_S1D_S1F_T6_T7_T9_mT8_S1H_bDpT10_ENKUlT_T0_E_clISt17integral_constantIbLb0EES1V_EEDaS1Q_S1R_EUlS1Q_E_NS1_11comp_targetILNS1_3genE8ELNS1_11target_archE1030ELNS1_3gpuE2ELNS1_3repE0EEENS1_30default_config_static_selectorELNS0_4arch9wavefront6targetE0EEEvS13_,comdat
.Lfunc_end1982:
	.size	_ZN7rocprim17ROCPRIM_400000_NS6detail17trampoline_kernelINS0_13select_configILj256ELj13ELNS0_17block_load_methodE3ELS4_3ELS4_3ELNS0_20block_scan_algorithmE0ELj4294967295EEENS1_25partition_config_selectorILNS1_17partition_subalgoE4EjNS0_10empty_typeEbEEZZNS1_14partition_implILS8_4ELb0ES6_15HIP_vector_typeIjLj2EENS0_17counting_iteratorIjlEEPS9_SG_NS0_5tupleIJPjSI_NS0_16reverse_iteratorISI_EEEEENSH_IJSG_SG_SG_EEES9_SI_JZNS1_25segmented_radix_sort_implINS0_14default_configELb0EPK12hip_bfloat16PSP_PKlPlN2at6native12_GLOBAL__N_18offset_tEEE10hipError_tPvRmT1_PNSt15iterator_traitsIS13_E10value_typeET2_T3_PNS14_IS19_E10value_typeET4_jRbjT5_S1F_jjP12ihipStream_tbEUljE_ZNSN_ISO_Lb0ESR_SS_SU_SV_SZ_EES10_S11_S12_S13_S17_S18_S19_S1C_S1D_jS1E_jS1F_S1F_jjS1H_bEUljE0_EEES10_S11_S12_S19_S1D_S1F_T6_T7_T9_mT8_S1H_bDpT10_ENKUlT_T0_E_clISt17integral_constantIbLb0EES1V_EEDaS1Q_S1R_EUlS1Q_E_NS1_11comp_targetILNS1_3genE8ELNS1_11target_archE1030ELNS1_3gpuE2ELNS1_3repE0EEENS1_30default_config_static_selectorELNS0_4arch9wavefront6targetE0EEEvS13_, .Lfunc_end1982-_ZN7rocprim17ROCPRIM_400000_NS6detail17trampoline_kernelINS0_13select_configILj256ELj13ELNS0_17block_load_methodE3ELS4_3ELS4_3ELNS0_20block_scan_algorithmE0ELj4294967295EEENS1_25partition_config_selectorILNS1_17partition_subalgoE4EjNS0_10empty_typeEbEEZZNS1_14partition_implILS8_4ELb0ES6_15HIP_vector_typeIjLj2EENS0_17counting_iteratorIjlEEPS9_SG_NS0_5tupleIJPjSI_NS0_16reverse_iteratorISI_EEEEENSH_IJSG_SG_SG_EEES9_SI_JZNS1_25segmented_radix_sort_implINS0_14default_configELb0EPK12hip_bfloat16PSP_PKlPlN2at6native12_GLOBAL__N_18offset_tEEE10hipError_tPvRmT1_PNSt15iterator_traitsIS13_E10value_typeET2_T3_PNS14_IS19_E10value_typeET4_jRbjT5_S1F_jjP12ihipStream_tbEUljE_ZNSN_ISO_Lb0ESR_SS_SU_SV_SZ_EES10_S11_S12_S13_S17_S18_S19_S1C_S1D_jS1E_jS1F_S1F_jjS1H_bEUljE0_EEES10_S11_S12_S19_S1D_S1F_T6_T7_T9_mT8_S1H_bDpT10_ENKUlT_T0_E_clISt17integral_constantIbLb0EES1V_EEDaS1Q_S1R_EUlS1Q_E_NS1_11comp_targetILNS1_3genE8ELNS1_11target_archE1030ELNS1_3gpuE2ELNS1_3repE0EEENS1_30default_config_static_selectorELNS0_4arch9wavefront6targetE0EEEvS13_
                                        ; -- End function
	.set _ZN7rocprim17ROCPRIM_400000_NS6detail17trampoline_kernelINS0_13select_configILj256ELj13ELNS0_17block_load_methodE3ELS4_3ELS4_3ELNS0_20block_scan_algorithmE0ELj4294967295EEENS1_25partition_config_selectorILNS1_17partition_subalgoE4EjNS0_10empty_typeEbEEZZNS1_14partition_implILS8_4ELb0ES6_15HIP_vector_typeIjLj2EENS0_17counting_iteratorIjlEEPS9_SG_NS0_5tupleIJPjSI_NS0_16reverse_iteratorISI_EEEEENSH_IJSG_SG_SG_EEES9_SI_JZNS1_25segmented_radix_sort_implINS0_14default_configELb0EPK12hip_bfloat16PSP_PKlPlN2at6native12_GLOBAL__N_18offset_tEEE10hipError_tPvRmT1_PNSt15iterator_traitsIS13_E10value_typeET2_T3_PNS14_IS19_E10value_typeET4_jRbjT5_S1F_jjP12ihipStream_tbEUljE_ZNSN_ISO_Lb0ESR_SS_SU_SV_SZ_EES10_S11_S12_S13_S17_S18_S19_S1C_S1D_jS1E_jS1F_S1F_jjS1H_bEUljE0_EEES10_S11_S12_S19_S1D_S1F_T6_T7_T9_mT8_S1H_bDpT10_ENKUlT_T0_E_clISt17integral_constantIbLb0EES1V_EEDaS1Q_S1R_EUlS1Q_E_NS1_11comp_targetILNS1_3genE8ELNS1_11target_archE1030ELNS1_3gpuE2ELNS1_3repE0EEENS1_30default_config_static_selectorELNS0_4arch9wavefront6targetE0EEEvS13_.num_vgpr, 0
	.set _ZN7rocprim17ROCPRIM_400000_NS6detail17trampoline_kernelINS0_13select_configILj256ELj13ELNS0_17block_load_methodE3ELS4_3ELS4_3ELNS0_20block_scan_algorithmE0ELj4294967295EEENS1_25partition_config_selectorILNS1_17partition_subalgoE4EjNS0_10empty_typeEbEEZZNS1_14partition_implILS8_4ELb0ES6_15HIP_vector_typeIjLj2EENS0_17counting_iteratorIjlEEPS9_SG_NS0_5tupleIJPjSI_NS0_16reverse_iteratorISI_EEEEENSH_IJSG_SG_SG_EEES9_SI_JZNS1_25segmented_radix_sort_implINS0_14default_configELb0EPK12hip_bfloat16PSP_PKlPlN2at6native12_GLOBAL__N_18offset_tEEE10hipError_tPvRmT1_PNSt15iterator_traitsIS13_E10value_typeET2_T3_PNS14_IS19_E10value_typeET4_jRbjT5_S1F_jjP12ihipStream_tbEUljE_ZNSN_ISO_Lb0ESR_SS_SU_SV_SZ_EES10_S11_S12_S13_S17_S18_S19_S1C_S1D_jS1E_jS1F_S1F_jjS1H_bEUljE0_EEES10_S11_S12_S19_S1D_S1F_T6_T7_T9_mT8_S1H_bDpT10_ENKUlT_T0_E_clISt17integral_constantIbLb0EES1V_EEDaS1Q_S1R_EUlS1Q_E_NS1_11comp_targetILNS1_3genE8ELNS1_11target_archE1030ELNS1_3gpuE2ELNS1_3repE0EEENS1_30default_config_static_selectorELNS0_4arch9wavefront6targetE0EEEvS13_.num_agpr, 0
	.set _ZN7rocprim17ROCPRIM_400000_NS6detail17trampoline_kernelINS0_13select_configILj256ELj13ELNS0_17block_load_methodE3ELS4_3ELS4_3ELNS0_20block_scan_algorithmE0ELj4294967295EEENS1_25partition_config_selectorILNS1_17partition_subalgoE4EjNS0_10empty_typeEbEEZZNS1_14partition_implILS8_4ELb0ES6_15HIP_vector_typeIjLj2EENS0_17counting_iteratorIjlEEPS9_SG_NS0_5tupleIJPjSI_NS0_16reverse_iteratorISI_EEEEENSH_IJSG_SG_SG_EEES9_SI_JZNS1_25segmented_radix_sort_implINS0_14default_configELb0EPK12hip_bfloat16PSP_PKlPlN2at6native12_GLOBAL__N_18offset_tEEE10hipError_tPvRmT1_PNSt15iterator_traitsIS13_E10value_typeET2_T3_PNS14_IS19_E10value_typeET4_jRbjT5_S1F_jjP12ihipStream_tbEUljE_ZNSN_ISO_Lb0ESR_SS_SU_SV_SZ_EES10_S11_S12_S13_S17_S18_S19_S1C_S1D_jS1E_jS1F_S1F_jjS1H_bEUljE0_EEES10_S11_S12_S19_S1D_S1F_T6_T7_T9_mT8_S1H_bDpT10_ENKUlT_T0_E_clISt17integral_constantIbLb0EES1V_EEDaS1Q_S1R_EUlS1Q_E_NS1_11comp_targetILNS1_3genE8ELNS1_11target_archE1030ELNS1_3gpuE2ELNS1_3repE0EEENS1_30default_config_static_selectorELNS0_4arch9wavefront6targetE0EEEvS13_.numbered_sgpr, 0
	.set _ZN7rocprim17ROCPRIM_400000_NS6detail17trampoline_kernelINS0_13select_configILj256ELj13ELNS0_17block_load_methodE3ELS4_3ELS4_3ELNS0_20block_scan_algorithmE0ELj4294967295EEENS1_25partition_config_selectorILNS1_17partition_subalgoE4EjNS0_10empty_typeEbEEZZNS1_14partition_implILS8_4ELb0ES6_15HIP_vector_typeIjLj2EENS0_17counting_iteratorIjlEEPS9_SG_NS0_5tupleIJPjSI_NS0_16reverse_iteratorISI_EEEEENSH_IJSG_SG_SG_EEES9_SI_JZNS1_25segmented_radix_sort_implINS0_14default_configELb0EPK12hip_bfloat16PSP_PKlPlN2at6native12_GLOBAL__N_18offset_tEEE10hipError_tPvRmT1_PNSt15iterator_traitsIS13_E10value_typeET2_T3_PNS14_IS19_E10value_typeET4_jRbjT5_S1F_jjP12ihipStream_tbEUljE_ZNSN_ISO_Lb0ESR_SS_SU_SV_SZ_EES10_S11_S12_S13_S17_S18_S19_S1C_S1D_jS1E_jS1F_S1F_jjS1H_bEUljE0_EEES10_S11_S12_S19_S1D_S1F_T6_T7_T9_mT8_S1H_bDpT10_ENKUlT_T0_E_clISt17integral_constantIbLb0EES1V_EEDaS1Q_S1R_EUlS1Q_E_NS1_11comp_targetILNS1_3genE8ELNS1_11target_archE1030ELNS1_3gpuE2ELNS1_3repE0EEENS1_30default_config_static_selectorELNS0_4arch9wavefront6targetE0EEEvS13_.num_named_barrier, 0
	.set _ZN7rocprim17ROCPRIM_400000_NS6detail17trampoline_kernelINS0_13select_configILj256ELj13ELNS0_17block_load_methodE3ELS4_3ELS4_3ELNS0_20block_scan_algorithmE0ELj4294967295EEENS1_25partition_config_selectorILNS1_17partition_subalgoE4EjNS0_10empty_typeEbEEZZNS1_14partition_implILS8_4ELb0ES6_15HIP_vector_typeIjLj2EENS0_17counting_iteratorIjlEEPS9_SG_NS0_5tupleIJPjSI_NS0_16reverse_iteratorISI_EEEEENSH_IJSG_SG_SG_EEES9_SI_JZNS1_25segmented_radix_sort_implINS0_14default_configELb0EPK12hip_bfloat16PSP_PKlPlN2at6native12_GLOBAL__N_18offset_tEEE10hipError_tPvRmT1_PNSt15iterator_traitsIS13_E10value_typeET2_T3_PNS14_IS19_E10value_typeET4_jRbjT5_S1F_jjP12ihipStream_tbEUljE_ZNSN_ISO_Lb0ESR_SS_SU_SV_SZ_EES10_S11_S12_S13_S17_S18_S19_S1C_S1D_jS1E_jS1F_S1F_jjS1H_bEUljE0_EEES10_S11_S12_S19_S1D_S1F_T6_T7_T9_mT8_S1H_bDpT10_ENKUlT_T0_E_clISt17integral_constantIbLb0EES1V_EEDaS1Q_S1R_EUlS1Q_E_NS1_11comp_targetILNS1_3genE8ELNS1_11target_archE1030ELNS1_3gpuE2ELNS1_3repE0EEENS1_30default_config_static_selectorELNS0_4arch9wavefront6targetE0EEEvS13_.private_seg_size, 0
	.set _ZN7rocprim17ROCPRIM_400000_NS6detail17trampoline_kernelINS0_13select_configILj256ELj13ELNS0_17block_load_methodE3ELS4_3ELS4_3ELNS0_20block_scan_algorithmE0ELj4294967295EEENS1_25partition_config_selectorILNS1_17partition_subalgoE4EjNS0_10empty_typeEbEEZZNS1_14partition_implILS8_4ELb0ES6_15HIP_vector_typeIjLj2EENS0_17counting_iteratorIjlEEPS9_SG_NS0_5tupleIJPjSI_NS0_16reverse_iteratorISI_EEEEENSH_IJSG_SG_SG_EEES9_SI_JZNS1_25segmented_radix_sort_implINS0_14default_configELb0EPK12hip_bfloat16PSP_PKlPlN2at6native12_GLOBAL__N_18offset_tEEE10hipError_tPvRmT1_PNSt15iterator_traitsIS13_E10value_typeET2_T3_PNS14_IS19_E10value_typeET4_jRbjT5_S1F_jjP12ihipStream_tbEUljE_ZNSN_ISO_Lb0ESR_SS_SU_SV_SZ_EES10_S11_S12_S13_S17_S18_S19_S1C_S1D_jS1E_jS1F_S1F_jjS1H_bEUljE0_EEES10_S11_S12_S19_S1D_S1F_T6_T7_T9_mT8_S1H_bDpT10_ENKUlT_T0_E_clISt17integral_constantIbLb0EES1V_EEDaS1Q_S1R_EUlS1Q_E_NS1_11comp_targetILNS1_3genE8ELNS1_11target_archE1030ELNS1_3gpuE2ELNS1_3repE0EEENS1_30default_config_static_selectorELNS0_4arch9wavefront6targetE0EEEvS13_.uses_vcc, 0
	.set _ZN7rocprim17ROCPRIM_400000_NS6detail17trampoline_kernelINS0_13select_configILj256ELj13ELNS0_17block_load_methodE3ELS4_3ELS4_3ELNS0_20block_scan_algorithmE0ELj4294967295EEENS1_25partition_config_selectorILNS1_17partition_subalgoE4EjNS0_10empty_typeEbEEZZNS1_14partition_implILS8_4ELb0ES6_15HIP_vector_typeIjLj2EENS0_17counting_iteratorIjlEEPS9_SG_NS0_5tupleIJPjSI_NS0_16reverse_iteratorISI_EEEEENSH_IJSG_SG_SG_EEES9_SI_JZNS1_25segmented_radix_sort_implINS0_14default_configELb0EPK12hip_bfloat16PSP_PKlPlN2at6native12_GLOBAL__N_18offset_tEEE10hipError_tPvRmT1_PNSt15iterator_traitsIS13_E10value_typeET2_T3_PNS14_IS19_E10value_typeET4_jRbjT5_S1F_jjP12ihipStream_tbEUljE_ZNSN_ISO_Lb0ESR_SS_SU_SV_SZ_EES10_S11_S12_S13_S17_S18_S19_S1C_S1D_jS1E_jS1F_S1F_jjS1H_bEUljE0_EEES10_S11_S12_S19_S1D_S1F_T6_T7_T9_mT8_S1H_bDpT10_ENKUlT_T0_E_clISt17integral_constantIbLb0EES1V_EEDaS1Q_S1R_EUlS1Q_E_NS1_11comp_targetILNS1_3genE8ELNS1_11target_archE1030ELNS1_3gpuE2ELNS1_3repE0EEENS1_30default_config_static_selectorELNS0_4arch9wavefront6targetE0EEEvS13_.uses_flat_scratch, 0
	.set _ZN7rocprim17ROCPRIM_400000_NS6detail17trampoline_kernelINS0_13select_configILj256ELj13ELNS0_17block_load_methodE3ELS4_3ELS4_3ELNS0_20block_scan_algorithmE0ELj4294967295EEENS1_25partition_config_selectorILNS1_17partition_subalgoE4EjNS0_10empty_typeEbEEZZNS1_14partition_implILS8_4ELb0ES6_15HIP_vector_typeIjLj2EENS0_17counting_iteratorIjlEEPS9_SG_NS0_5tupleIJPjSI_NS0_16reverse_iteratorISI_EEEEENSH_IJSG_SG_SG_EEES9_SI_JZNS1_25segmented_radix_sort_implINS0_14default_configELb0EPK12hip_bfloat16PSP_PKlPlN2at6native12_GLOBAL__N_18offset_tEEE10hipError_tPvRmT1_PNSt15iterator_traitsIS13_E10value_typeET2_T3_PNS14_IS19_E10value_typeET4_jRbjT5_S1F_jjP12ihipStream_tbEUljE_ZNSN_ISO_Lb0ESR_SS_SU_SV_SZ_EES10_S11_S12_S13_S17_S18_S19_S1C_S1D_jS1E_jS1F_S1F_jjS1H_bEUljE0_EEES10_S11_S12_S19_S1D_S1F_T6_T7_T9_mT8_S1H_bDpT10_ENKUlT_T0_E_clISt17integral_constantIbLb0EES1V_EEDaS1Q_S1R_EUlS1Q_E_NS1_11comp_targetILNS1_3genE8ELNS1_11target_archE1030ELNS1_3gpuE2ELNS1_3repE0EEENS1_30default_config_static_selectorELNS0_4arch9wavefront6targetE0EEEvS13_.has_dyn_sized_stack, 0
	.set _ZN7rocprim17ROCPRIM_400000_NS6detail17trampoline_kernelINS0_13select_configILj256ELj13ELNS0_17block_load_methodE3ELS4_3ELS4_3ELNS0_20block_scan_algorithmE0ELj4294967295EEENS1_25partition_config_selectorILNS1_17partition_subalgoE4EjNS0_10empty_typeEbEEZZNS1_14partition_implILS8_4ELb0ES6_15HIP_vector_typeIjLj2EENS0_17counting_iteratorIjlEEPS9_SG_NS0_5tupleIJPjSI_NS0_16reverse_iteratorISI_EEEEENSH_IJSG_SG_SG_EEES9_SI_JZNS1_25segmented_radix_sort_implINS0_14default_configELb0EPK12hip_bfloat16PSP_PKlPlN2at6native12_GLOBAL__N_18offset_tEEE10hipError_tPvRmT1_PNSt15iterator_traitsIS13_E10value_typeET2_T3_PNS14_IS19_E10value_typeET4_jRbjT5_S1F_jjP12ihipStream_tbEUljE_ZNSN_ISO_Lb0ESR_SS_SU_SV_SZ_EES10_S11_S12_S13_S17_S18_S19_S1C_S1D_jS1E_jS1F_S1F_jjS1H_bEUljE0_EEES10_S11_S12_S19_S1D_S1F_T6_T7_T9_mT8_S1H_bDpT10_ENKUlT_T0_E_clISt17integral_constantIbLb0EES1V_EEDaS1Q_S1R_EUlS1Q_E_NS1_11comp_targetILNS1_3genE8ELNS1_11target_archE1030ELNS1_3gpuE2ELNS1_3repE0EEENS1_30default_config_static_selectorELNS0_4arch9wavefront6targetE0EEEvS13_.has_recursion, 0
	.set _ZN7rocprim17ROCPRIM_400000_NS6detail17trampoline_kernelINS0_13select_configILj256ELj13ELNS0_17block_load_methodE3ELS4_3ELS4_3ELNS0_20block_scan_algorithmE0ELj4294967295EEENS1_25partition_config_selectorILNS1_17partition_subalgoE4EjNS0_10empty_typeEbEEZZNS1_14partition_implILS8_4ELb0ES6_15HIP_vector_typeIjLj2EENS0_17counting_iteratorIjlEEPS9_SG_NS0_5tupleIJPjSI_NS0_16reverse_iteratorISI_EEEEENSH_IJSG_SG_SG_EEES9_SI_JZNS1_25segmented_radix_sort_implINS0_14default_configELb0EPK12hip_bfloat16PSP_PKlPlN2at6native12_GLOBAL__N_18offset_tEEE10hipError_tPvRmT1_PNSt15iterator_traitsIS13_E10value_typeET2_T3_PNS14_IS19_E10value_typeET4_jRbjT5_S1F_jjP12ihipStream_tbEUljE_ZNSN_ISO_Lb0ESR_SS_SU_SV_SZ_EES10_S11_S12_S13_S17_S18_S19_S1C_S1D_jS1E_jS1F_S1F_jjS1H_bEUljE0_EEES10_S11_S12_S19_S1D_S1F_T6_T7_T9_mT8_S1H_bDpT10_ENKUlT_T0_E_clISt17integral_constantIbLb0EES1V_EEDaS1Q_S1R_EUlS1Q_E_NS1_11comp_targetILNS1_3genE8ELNS1_11target_archE1030ELNS1_3gpuE2ELNS1_3repE0EEENS1_30default_config_static_selectorELNS0_4arch9wavefront6targetE0EEEvS13_.has_indirect_call, 0
	.section	.AMDGPU.csdata,"",@progbits
; Kernel info:
; codeLenInByte = 0
; TotalNumSgprs: 0
; NumVgprs: 0
; ScratchSize: 0
; MemoryBound: 0
; FloatMode: 240
; IeeeMode: 1
; LDSByteSize: 0 bytes/workgroup (compile time only)
; SGPRBlocks: 0
; VGPRBlocks: 0
; NumSGPRsForWavesPerEU: 1
; NumVGPRsForWavesPerEU: 1
; NamedBarCnt: 0
; Occupancy: 16
; WaveLimiterHint : 0
; COMPUTE_PGM_RSRC2:SCRATCH_EN: 0
; COMPUTE_PGM_RSRC2:USER_SGPR: 2
; COMPUTE_PGM_RSRC2:TRAP_HANDLER: 0
; COMPUTE_PGM_RSRC2:TGID_X_EN: 1
; COMPUTE_PGM_RSRC2:TGID_Y_EN: 0
; COMPUTE_PGM_RSRC2:TGID_Z_EN: 0
; COMPUTE_PGM_RSRC2:TIDIG_COMP_CNT: 0
	.section	.text._ZN7rocprim17ROCPRIM_400000_NS6detail17trampoline_kernelINS0_13select_configILj256ELj13ELNS0_17block_load_methodE3ELS4_3ELS4_3ELNS0_20block_scan_algorithmE0ELj4294967295EEENS1_25partition_config_selectorILNS1_17partition_subalgoE4EjNS0_10empty_typeEbEEZZNS1_14partition_implILS8_4ELb0ES6_15HIP_vector_typeIjLj2EENS0_17counting_iteratorIjlEEPS9_SG_NS0_5tupleIJPjSI_NS0_16reverse_iteratorISI_EEEEENSH_IJSG_SG_SG_EEES9_SI_JZNS1_25segmented_radix_sort_implINS0_14default_configELb0EPK12hip_bfloat16PSP_PKlPlN2at6native12_GLOBAL__N_18offset_tEEE10hipError_tPvRmT1_PNSt15iterator_traitsIS13_E10value_typeET2_T3_PNS14_IS19_E10value_typeET4_jRbjT5_S1F_jjP12ihipStream_tbEUljE_ZNSN_ISO_Lb0ESR_SS_SU_SV_SZ_EES10_S11_S12_S13_S17_S18_S19_S1C_S1D_jS1E_jS1F_S1F_jjS1H_bEUljE0_EEES10_S11_S12_S19_S1D_S1F_T6_T7_T9_mT8_S1H_bDpT10_ENKUlT_T0_E_clISt17integral_constantIbLb1EES1V_EEDaS1Q_S1R_EUlS1Q_E_NS1_11comp_targetILNS1_3genE0ELNS1_11target_archE4294967295ELNS1_3gpuE0ELNS1_3repE0EEENS1_30default_config_static_selectorELNS0_4arch9wavefront6targetE0EEEvS13_,"axG",@progbits,_ZN7rocprim17ROCPRIM_400000_NS6detail17trampoline_kernelINS0_13select_configILj256ELj13ELNS0_17block_load_methodE3ELS4_3ELS4_3ELNS0_20block_scan_algorithmE0ELj4294967295EEENS1_25partition_config_selectorILNS1_17partition_subalgoE4EjNS0_10empty_typeEbEEZZNS1_14partition_implILS8_4ELb0ES6_15HIP_vector_typeIjLj2EENS0_17counting_iteratorIjlEEPS9_SG_NS0_5tupleIJPjSI_NS0_16reverse_iteratorISI_EEEEENSH_IJSG_SG_SG_EEES9_SI_JZNS1_25segmented_radix_sort_implINS0_14default_configELb0EPK12hip_bfloat16PSP_PKlPlN2at6native12_GLOBAL__N_18offset_tEEE10hipError_tPvRmT1_PNSt15iterator_traitsIS13_E10value_typeET2_T3_PNS14_IS19_E10value_typeET4_jRbjT5_S1F_jjP12ihipStream_tbEUljE_ZNSN_ISO_Lb0ESR_SS_SU_SV_SZ_EES10_S11_S12_S13_S17_S18_S19_S1C_S1D_jS1E_jS1F_S1F_jjS1H_bEUljE0_EEES10_S11_S12_S19_S1D_S1F_T6_T7_T9_mT8_S1H_bDpT10_ENKUlT_T0_E_clISt17integral_constantIbLb1EES1V_EEDaS1Q_S1R_EUlS1Q_E_NS1_11comp_targetILNS1_3genE0ELNS1_11target_archE4294967295ELNS1_3gpuE0ELNS1_3repE0EEENS1_30default_config_static_selectorELNS0_4arch9wavefront6targetE0EEEvS13_,comdat
	.globl	_ZN7rocprim17ROCPRIM_400000_NS6detail17trampoline_kernelINS0_13select_configILj256ELj13ELNS0_17block_load_methodE3ELS4_3ELS4_3ELNS0_20block_scan_algorithmE0ELj4294967295EEENS1_25partition_config_selectorILNS1_17partition_subalgoE4EjNS0_10empty_typeEbEEZZNS1_14partition_implILS8_4ELb0ES6_15HIP_vector_typeIjLj2EENS0_17counting_iteratorIjlEEPS9_SG_NS0_5tupleIJPjSI_NS0_16reverse_iteratorISI_EEEEENSH_IJSG_SG_SG_EEES9_SI_JZNS1_25segmented_radix_sort_implINS0_14default_configELb0EPK12hip_bfloat16PSP_PKlPlN2at6native12_GLOBAL__N_18offset_tEEE10hipError_tPvRmT1_PNSt15iterator_traitsIS13_E10value_typeET2_T3_PNS14_IS19_E10value_typeET4_jRbjT5_S1F_jjP12ihipStream_tbEUljE_ZNSN_ISO_Lb0ESR_SS_SU_SV_SZ_EES10_S11_S12_S13_S17_S18_S19_S1C_S1D_jS1E_jS1F_S1F_jjS1H_bEUljE0_EEES10_S11_S12_S19_S1D_S1F_T6_T7_T9_mT8_S1H_bDpT10_ENKUlT_T0_E_clISt17integral_constantIbLb1EES1V_EEDaS1Q_S1R_EUlS1Q_E_NS1_11comp_targetILNS1_3genE0ELNS1_11target_archE4294967295ELNS1_3gpuE0ELNS1_3repE0EEENS1_30default_config_static_selectorELNS0_4arch9wavefront6targetE0EEEvS13_ ; -- Begin function _ZN7rocprim17ROCPRIM_400000_NS6detail17trampoline_kernelINS0_13select_configILj256ELj13ELNS0_17block_load_methodE3ELS4_3ELS4_3ELNS0_20block_scan_algorithmE0ELj4294967295EEENS1_25partition_config_selectorILNS1_17partition_subalgoE4EjNS0_10empty_typeEbEEZZNS1_14partition_implILS8_4ELb0ES6_15HIP_vector_typeIjLj2EENS0_17counting_iteratorIjlEEPS9_SG_NS0_5tupleIJPjSI_NS0_16reverse_iteratorISI_EEEEENSH_IJSG_SG_SG_EEES9_SI_JZNS1_25segmented_radix_sort_implINS0_14default_configELb0EPK12hip_bfloat16PSP_PKlPlN2at6native12_GLOBAL__N_18offset_tEEE10hipError_tPvRmT1_PNSt15iterator_traitsIS13_E10value_typeET2_T3_PNS14_IS19_E10value_typeET4_jRbjT5_S1F_jjP12ihipStream_tbEUljE_ZNSN_ISO_Lb0ESR_SS_SU_SV_SZ_EES10_S11_S12_S13_S17_S18_S19_S1C_S1D_jS1E_jS1F_S1F_jjS1H_bEUljE0_EEES10_S11_S12_S19_S1D_S1F_T6_T7_T9_mT8_S1H_bDpT10_ENKUlT_T0_E_clISt17integral_constantIbLb1EES1V_EEDaS1Q_S1R_EUlS1Q_E_NS1_11comp_targetILNS1_3genE0ELNS1_11target_archE4294967295ELNS1_3gpuE0ELNS1_3repE0EEENS1_30default_config_static_selectorELNS0_4arch9wavefront6targetE0EEEvS13_
	.p2align	8
	.type	_ZN7rocprim17ROCPRIM_400000_NS6detail17trampoline_kernelINS0_13select_configILj256ELj13ELNS0_17block_load_methodE3ELS4_3ELS4_3ELNS0_20block_scan_algorithmE0ELj4294967295EEENS1_25partition_config_selectorILNS1_17partition_subalgoE4EjNS0_10empty_typeEbEEZZNS1_14partition_implILS8_4ELb0ES6_15HIP_vector_typeIjLj2EENS0_17counting_iteratorIjlEEPS9_SG_NS0_5tupleIJPjSI_NS0_16reverse_iteratorISI_EEEEENSH_IJSG_SG_SG_EEES9_SI_JZNS1_25segmented_radix_sort_implINS0_14default_configELb0EPK12hip_bfloat16PSP_PKlPlN2at6native12_GLOBAL__N_18offset_tEEE10hipError_tPvRmT1_PNSt15iterator_traitsIS13_E10value_typeET2_T3_PNS14_IS19_E10value_typeET4_jRbjT5_S1F_jjP12ihipStream_tbEUljE_ZNSN_ISO_Lb0ESR_SS_SU_SV_SZ_EES10_S11_S12_S13_S17_S18_S19_S1C_S1D_jS1E_jS1F_S1F_jjS1H_bEUljE0_EEES10_S11_S12_S19_S1D_S1F_T6_T7_T9_mT8_S1H_bDpT10_ENKUlT_T0_E_clISt17integral_constantIbLb1EES1V_EEDaS1Q_S1R_EUlS1Q_E_NS1_11comp_targetILNS1_3genE0ELNS1_11target_archE4294967295ELNS1_3gpuE0ELNS1_3repE0EEENS1_30default_config_static_selectorELNS0_4arch9wavefront6targetE0EEEvS13_,@function
_ZN7rocprim17ROCPRIM_400000_NS6detail17trampoline_kernelINS0_13select_configILj256ELj13ELNS0_17block_load_methodE3ELS4_3ELS4_3ELNS0_20block_scan_algorithmE0ELj4294967295EEENS1_25partition_config_selectorILNS1_17partition_subalgoE4EjNS0_10empty_typeEbEEZZNS1_14partition_implILS8_4ELb0ES6_15HIP_vector_typeIjLj2EENS0_17counting_iteratorIjlEEPS9_SG_NS0_5tupleIJPjSI_NS0_16reverse_iteratorISI_EEEEENSH_IJSG_SG_SG_EEES9_SI_JZNS1_25segmented_radix_sort_implINS0_14default_configELb0EPK12hip_bfloat16PSP_PKlPlN2at6native12_GLOBAL__N_18offset_tEEE10hipError_tPvRmT1_PNSt15iterator_traitsIS13_E10value_typeET2_T3_PNS14_IS19_E10value_typeET4_jRbjT5_S1F_jjP12ihipStream_tbEUljE_ZNSN_ISO_Lb0ESR_SS_SU_SV_SZ_EES10_S11_S12_S13_S17_S18_S19_S1C_S1D_jS1E_jS1F_S1F_jjS1H_bEUljE0_EEES10_S11_S12_S19_S1D_S1F_T6_T7_T9_mT8_S1H_bDpT10_ENKUlT_T0_E_clISt17integral_constantIbLb1EES1V_EEDaS1Q_S1R_EUlS1Q_E_NS1_11comp_targetILNS1_3genE0ELNS1_11target_archE4294967295ELNS1_3gpuE0ELNS1_3repE0EEENS1_30default_config_static_selectorELNS0_4arch9wavefront6targetE0EEEvS13_: ; @_ZN7rocprim17ROCPRIM_400000_NS6detail17trampoline_kernelINS0_13select_configILj256ELj13ELNS0_17block_load_methodE3ELS4_3ELS4_3ELNS0_20block_scan_algorithmE0ELj4294967295EEENS1_25partition_config_selectorILNS1_17partition_subalgoE4EjNS0_10empty_typeEbEEZZNS1_14partition_implILS8_4ELb0ES6_15HIP_vector_typeIjLj2EENS0_17counting_iteratorIjlEEPS9_SG_NS0_5tupleIJPjSI_NS0_16reverse_iteratorISI_EEEEENSH_IJSG_SG_SG_EEES9_SI_JZNS1_25segmented_radix_sort_implINS0_14default_configELb0EPK12hip_bfloat16PSP_PKlPlN2at6native12_GLOBAL__N_18offset_tEEE10hipError_tPvRmT1_PNSt15iterator_traitsIS13_E10value_typeET2_T3_PNS14_IS19_E10value_typeET4_jRbjT5_S1F_jjP12ihipStream_tbEUljE_ZNSN_ISO_Lb0ESR_SS_SU_SV_SZ_EES10_S11_S12_S13_S17_S18_S19_S1C_S1D_jS1E_jS1F_S1F_jjS1H_bEUljE0_EEES10_S11_S12_S19_S1D_S1F_T6_T7_T9_mT8_S1H_bDpT10_ENKUlT_T0_E_clISt17integral_constantIbLb1EES1V_EEDaS1Q_S1R_EUlS1Q_E_NS1_11comp_targetILNS1_3genE0ELNS1_11target_archE4294967295ELNS1_3gpuE0ELNS1_3repE0EEENS1_30default_config_static_selectorELNS0_4arch9wavefront6targetE0EEEvS13_
; %bb.0:
	s_endpgm
	.section	.rodata,"a",@progbits
	.p2align	6, 0x0
	.amdhsa_kernel _ZN7rocprim17ROCPRIM_400000_NS6detail17trampoline_kernelINS0_13select_configILj256ELj13ELNS0_17block_load_methodE3ELS4_3ELS4_3ELNS0_20block_scan_algorithmE0ELj4294967295EEENS1_25partition_config_selectorILNS1_17partition_subalgoE4EjNS0_10empty_typeEbEEZZNS1_14partition_implILS8_4ELb0ES6_15HIP_vector_typeIjLj2EENS0_17counting_iteratorIjlEEPS9_SG_NS0_5tupleIJPjSI_NS0_16reverse_iteratorISI_EEEEENSH_IJSG_SG_SG_EEES9_SI_JZNS1_25segmented_radix_sort_implINS0_14default_configELb0EPK12hip_bfloat16PSP_PKlPlN2at6native12_GLOBAL__N_18offset_tEEE10hipError_tPvRmT1_PNSt15iterator_traitsIS13_E10value_typeET2_T3_PNS14_IS19_E10value_typeET4_jRbjT5_S1F_jjP12ihipStream_tbEUljE_ZNSN_ISO_Lb0ESR_SS_SU_SV_SZ_EES10_S11_S12_S13_S17_S18_S19_S1C_S1D_jS1E_jS1F_S1F_jjS1H_bEUljE0_EEES10_S11_S12_S19_S1D_S1F_T6_T7_T9_mT8_S1H_bDpT10_ENKUlT_T0_E_clISt17integral_constantIbLb1EES1V_EEDaS1Q_S1R_EUlS1Q_E_NS1_11comp_targetILNS1_3genE0ELNS1_11target_archE4294967295ELNS1_3gpuE0ELNS1_3repE0EEENS1_30default_config_static_selectorELNS0_4arch9wavefront6targetE0EEEvS13_
		.amdhsa_group_segment_fixed_size 0
		.amdhsa_private_segment_fixed_size 0
		.amdhsa_kernarg_size 184
		.amdhsa_user_sgpr_count 2
		.amdhsa_user_sgpr_dispatch_ptr 0
		.amdhsa_user_sgpr_queue_ptr 0
		.amdhsa_user_sgpr_kernarg_segment_ptr 1
		.amdhsa_user_sgpr_dispatch_id 0
		.amdhsa_user_sgpr_kernarg_preload_length 0
		.amdhsa_user_sgpr_kernarg_preload_offset 0
		.amdhsa_user_sgpr_private_segment_size 0
		.amdhsa_wavefront_size32 1
		.amdhsa_uses_dynamic_stack 0
		.amdhsa_enable_private_segment 0
		.amdhsa_system_sgpr_workgroup_id_x 1
		.amdhsa_system_sgpr_workgroup_id_y 0
		.amdhsa_system_sgpr_workgroup_id_z 0
		.amdhsa_system_sgpr_workgroup_info 0
		.amdhsa_system_vgpr_workitem_id 0
		.amdhsa_next_free_vgpr 1
		.amdhsa_next_free_sgpr 1
		.amdhsa_named_barrier_count 0
		.amdhsa_reserve_vcc 0
		.amdhsa_float_round_mode_32 0
		.amdhsa_float_round_mode_16_64 0
		.amdhsa_float_denorm_mode_32 3
		.amdhsa_float_denorm_mode_16_64 3
		.amdhsa_fp16_overflow 0
		.amdhsa_memory_ordered 1
		.amdhsa_forward_progress 1
		.amdhsa_inst_pref_size 1
		.amdhsa_round_robin_scheduling 0
		.amdhsa_exception_fp_ieee_invalid_op 0
		.amdhsa_exception_fp_denorm_src 0
		.amdhsa_exception_fp_ieee_div_zero 0
		.amdhsa_exception_fp_ieee_overflow 0
		.amdhsa_exception_fp_ieee_underflow 0
		.amdhsa_exception_fp_ieee_inexact 0
		.amdhsa_exception_int_div_zero 0
	.end_amdhsa_kernel
	.section	.text._ZN7rocprim17ROCPRIM_400000_NS6detail17trampoline_kernelINS0_13select_configILj256ELj13ELNS0_17block_load_methodE3ELS4_3ELS4_3ELNS0_20block_scan_algorithmE0ELj4294967295EEENS1_25partition_config_selectorILNS1_17partition_subalgoE4EjNS0_10empty_typeEbEEZZNS1_14partition_implILS8_4ELb0ES6_15HIP_vector_typeIjLj2EENS0_17counting_iteratorIjlEEPS9_SG_NS0_5tupleIJPjSI_NS0_16reverse_iteratorISI_EEEEENSH_IJSG_SG_SG_EEES9_SI_JZNS1_25segmented_radix_sort_implINS0_14default_configELb0EPK12hip_bfloat16PSP_PKlPlN2at6native12_GLOBAL__N_18offset_tEEE10hipError_tPvRmT1_PNSt15iterator_traitsIS13_E10value_typeET2_T3_PNS14_IS19_E10value_typeET4_jRbjT5_S1F_jjP12ihipStream_tbEUljE_ZNSN_ISO_Lb0ESR_SS_SU_SV_SZ_EES10_S11_S12_S13_S17_S18_S19_S1C_S1D_jS1E_jS1F_S1F_jjS1H_bEUljE0_EEES10_S11_S12_S19_S1D_S1F_T6_T7_T9_mT8_S1H_bDpT10_ENKUlT_T0_E_clISt17integral_constantIbLb1EES1V_EEDaS1Q_S1R_EUlS1Q_E_NS1_11comp_targetILNS1_3genE0ELNS1_11target_archE4294967295ELNS1_3gpuE0ELNS1_3repE0EEENS1_30default_config_static_selectorELNS0_4arch9wavefront6targetE0EEEvS13_,"axG",@progbits,_ZN7rocprim17ROCPRIM_400000_NS6detail17trampoline_kernelINS0_13select_configILj256ELj13ELNS0_17block_load_methodE3ELS4_3ELS4_3ELNS0_20block_scan_algorithmE0ELj4294967295EEENS1_25partition_config_selectorILNS1_17partition_subalgoE4EjNS0_10empty_typeEbEEZZNS1_14partition_implILS8_4ELb0ES6_15HIP_vector_typeIjLj2EENS0_17counting_iteratorIjlEEPS9_SG_NS0_5tupleIJPjSI_NS0_16reverse_iteratorISI_EEEEENSH_IJSG_SG_SG_EEES9_SI_JZNS1_25segmented_radix_sort_implINS0_14default_configELb0EPK12hip_bfloat16PSP_PKlPlN2at6native12_GLOBAL__N_18offset_tEEE10hipError_tPvRmT1_PNSt15iterator_traitsIS13_E10value_typeET2_T3_PNS14_IS19_E10value_typeET4_jRbjT5_S1F_jjP12ihipStream_tbEUljE_ZNSN_ISO_Lb0ESR_SS_SU_SV_SZ_EES10_S11_S12_S13_S17_S18_S19_S1C_S1D_jS1E_jS1F_S1F_jjS1H_bEUljE0_EEES10_S11_S12_S19_S1D_S1F_T6_T7_T9_mT8_S1H_bDpT10_ENKUlT_T0_E_clISt17integral_constantIbLb1EES1V_EEDaS1Q_S1R_EUlS1Q_E_NS1_11comp_targetILNS1_3genE0ELNS1_11target_archE4294967295ELNS1_3gpuE0ELNS1_3repE0EEENS1_30default_config_static_selectorELNS0_4arch9wavefront6targetE0EEEvS13_,comdat
.Lfunc_end1983:
	.size	_ZN7rocprim17ROCPRIM_400000_NS6detail17trampoline_kernelINS0_13select_configILj256ELj13ELNS0_17block_load_methodE3ELS4_3ELS4_3ELNS0_20block_scan_algorithmE0ELj4294967295EEENS1_25partition_config_selectorILNS1_17partition_subalgoE4EjNS0_10empty_typeEbEEZZNS1_14partition_implILS8_4ELb0ES6_15HIP_vector_typeIjLj2EENS0_17counting_iteratorIjlEEPS9_SG_NS0_5tupleIJPjSI_NS0_16reverse_iteratorISI_EEEEENSH_IJSG_SG_SG_EEES9_SI_JZNS1_25segmented_radix_sort_implINS0_14default_configELb0EPK12hip_bfloat16PSP_PKlPlN2at6native12_GLOBAL__N_18offset_tEEE10hipError_tPvRmT1_PNSt15iterator_traitsIS13_E10value_typeET2_T3_PNS14_IS19_E10value_typeET4_jRbjT5_S1F_jjP12ihipStream_tbEUljE_ZNSN_ISO_Lb0ESR_SS_SU_SV_SZ_EES10_S11_S12_S13_S17_S18_S19_S1C_S1D_jS1E_jS1F_S1F_jjS1H_bEUljE0_EEES10_S11_S12_S19_S1D_S1F_T6_T7_T9_mT8_S1H_bDpT10_ENKUlT_T0_E_clISt17integral_constantIbLb1EES1V_EEDaS1Q_S1R_EUlS1Q_E_NS1_11comp_targetILNS1_3genE0ELNS1_11target_archE4294967295ELNS1_3gpuE0ELNS1_3repE0EEENS1_30default_config_static_selectorELNS0_4arch9wavefront6targetE0EEEvS13_, .Lfunc_end1983-_ZN7rocprim17ROCPRIM_400000_NS6detail17trampoline_kernelINS0_13select_configILj256ELj13ELNS0_17block_load_methodE3ELS4_3ELS4_3ELNS0_20block_scan_algorithmE0ELj4294967295EEENS1_25partition_config_selectorILNS1_17partition_subalgoE4EjNS0_10empty_typeEbEEZZNS1_14partition_implILS8_4ELb0ES6_15HIP_vector_typeIjLj2EENS0_17counting_iteratorIjlEEPS9_SG_NS0_5tupleIJPjSI_NS0_16reverse_iteratorISI_EEEEENSH_IJSG_SG_SG_EEES9_SI_JZNS1_25segmented_radix_sort_implINS0_14default_configELb0EPK12hip_bfloat16PSP_PKlPlN2at6native12_GLOBAL__N_18offset_tEEE10hipError_tPvRmT1_PNSt15iterator_traitsIS13_E10value_typeET2_T3_PNS14_IS19_E10value_typeET4_jRbjT5_S1F_jjP12ihipStream_tbEUljE_ZNSN_ISO_Lb0ESR_SS_SU_SV_SZ_EES10_S11_S12_S13_S17_S18_S19_S1C_S1D_jS1E_jS1F_S1F_jjS1H_bEUljE0_EEES10_S11_S12_S19_S1D_S1F_T6_T7_T9_mT8_S1H_bDpT10_ENKUlT_T0_E_clISt17integral_constantIbLb1EES1V_EEDaS1Q_S1R_EUlS1Q_E_NS1_11comp_targetILNS1_3genE0ELNS1_11target_archE4294967295ELNS1_3gpuE0ELNS1_3repE0EEENS1_30default_config_static_selectorELNS0_4arch9wavefront6targetE0EEEvS13_
                                        ; -- End function
	.set _ZN7rocprim17ROCPRIM_400000_NS6detail17trampoline_kernelINS0_13select_configILj256ELj13ELNS0_17block_load_methodE3ELS4_3ELS4_3ELNS0_20block_scan_algorithmE0ELj4294967295EEENS1_25partition_config_selectorILNS1_17partition_subalgoE4EjNS0_10empty_typeEbEEZZNS1_14partition_implILS8_4ELb0ES6_15HIP_vector_typeIjLj2EENS0_17counting_iteratorIjlEEPS9_SG_NS0_5tupleIJPjSI_NS0_16reverse_iteratorISI_EEEEENSH_IJSG_SG_SG_EEES9_SI_JZNS1_25segmented_radix_sort_implINS0_14default_configELb0EPK12hip_bfloat16PSP_PKlPlN2at6native12_GLOBAL__N_18offset_tEEE10hipError_tPvRmT1_PNSt15iterator_traitsIS13_E10value_typeET2_T3_PNS14_IS19_E10value_typeET4_jRbjT5_S1F_jjP12ihipStream_tbEUljE_ZNSN_ISO_Lb0ESR_SS_SU_SV_SZ_EES10_S11_S12_S13_S17_S18_S19_S1C_S1D_jS1E_jS1F_S1F_jjS1H_bEUljE0_EEES10_S11_S12_S19_S1D_S1F_T6_T7_T9_mT8_S1H_bDpT10_ENKUlT_T0_E_clISt17integral_constantIbLb1EES1V_EEDaS1Q_S1R_EUlS1Q_E_NS1_11comp_targetILNS1_3genE0ELNS1_11target_archE4294967295ELNS1_3gpuE0ELNS1_3repE0EEENS1_30default_config_static_selectorELNS0_4arch9wavefront6targetE0EEEvS13_.num_vgpr, 0
	.set _ZN7rocprim17ROCPRIM_400000_NS6detail17trampoline_kernelINS0_13select_configILj256ELj13ELNS0_17block_load_methodE3ELS4_3ELS4_3ELNS0_20block_scan_algorithmE0ELj4294967295EEENS1_25partition_config_selectorILNS1_17partition_subalgoE4EjNS0_10empty_typeEbEEZZNS1_14partition_implILS8_4ELb0ES6_15HIP_vector_typeIjLj2EENS0_17counting_iteratorIjlEEPS9_SG_NS0_5tupleIJPjSI_NS0_16reverse_iteratorISI_EEEEENSH_IJSG_SG_SG_EEES9_SI_JZNS1_25segmented_radix_sort_implINS0_14default_configELb0EPK12hip_bfloat16PSP_PKlPlN2at6native12_GLOBAL__N_18offset_tEEE10hipError_tPvRmT1_PNSt15iterator_traitsIS13_E10value_typeET2_T3_PNS14_IS19_E10value_typeET4_jRbjT5_S1F_jjP12ihipStream_tbEUljE_ZNSN_ISO_Lb0ESR_SS_SU_SV_SZ_EES10_S11_S12_S13_S17_S18_S19_S1C_S1D_jS1E_jS1F_S1F_jjS1H_bEUljE0_EEES10_S11_S12_S19_S1D_S1F_T6_T7_T9_mT8_S1H_bDpT10_ENKUlT_T0_E_clISt17integral_constantIbLb1EES1V_EEDaS1Q_S1R_EUlS1Q_E_NS1_11comp_targetILNS1_3genE0ELNS1_11target_archE4294967295ELNS1_3gpuE0ELNS1_3repE0EEENS1_30default_config_static_selectorELNS0_4arch9wavefront6targetE0EEEvS13_.num_agpr, 0
	.set _ZN7rocprim17ROCPRIM_400000_NS6detail17trampoline_kernelINS0_13select_configILj256ELj13ELNS0_17block_load_methodE3ELS4_3ELS4_3ELNS0_20block_scan_algorithmE0ELj4294967295EEENS1_25partition_config_selectorILNS1_17partition_subalgoE4EjNS0_10empty_typeEbEEZZNS1_14partition_implILS8_4ELb0ES6_15HIP_vector_typeIjLj2EENS0_17counting_iteratorIjlEEPS9_SG_NS0_5tupleIJPjSI_NS0_16reverse_iteratorISI_EEEEENSH_IJSG_SG_SG_EEES9_SI_JZNS1_25segmented_radix_sort_implINS0_14default_configELb0EPK12hip_bfloat16PSP_PKlPlN2at6native12_GLOBAL__N_18offset_tEEE10hipError_tPvRmT1_PNSt15iterator_traitsIS13_E10value_typeET2_T3_PNS14_IS19_E10value_typeET4_jRbjT5_S1F_jjP12ihipStream_tbEUljE_ZNSN_ISO_Lb0ESR_SS_SU_SV_SZ_EES10_S11_S12_S13_S17_S18_S19_S1C_S1D_jS1E_jS1F_S1F_jjS1H_bEUljE0_EEES10_S11_S12_S19_S1D_S1F_T6_T7_T9_mT8_S1H_bDpT10_ENKUlT_T0_E_clISt17integral_constantIbLb1EES1V_EEDaS1Q_S1R_EUlS1Q_E_NS1_11comp_targetILNS1_3genE0ELNS1_11target_archE4294967295ELNS1_3gpuE0ELNS1_3repE0EEENS1_30default_config_static_selectorELNS0_4arch9wavefront6targetE0EEEvS13_.numbered_sgpr, 0
	.set _ZN7rocprim17ROCPRIM_400000_NS6detail17trampoline_kernelINS0_13select_configILj256ELj13ELNS0_17block_load_methodE3ELS4_3ELS4_3ELNS0_20block_scan_algorithmE0ELj4294967295EEENS1_25partition_config_selectorILNS1_17partition_subalgoE4EjNS0_10empty_typeEbEEZZNS1_14partition_implILS8_4ELb0ES6_15HIP_vector_typeIjLj2EENS0_17counting_iteratorIjlEEPS9_SG_NS0_5tupleIJPjSI_NS0_16reverse_iteratorISI_EEEEENSH_IJSG_SG_SG_EEES9_SI_JZNS1_25segmented_radix_sort_implINS0_14default_configELb0EPK12hip_bfloat16PSP_PKlPlN2at6native12_GLOBAL__N_18offset_tEEE10hipError_tPvRmT1_PNSt15iterator_traitsIS13_E10value_typeET2_T3_PNS14_IS19_E10value_typeET4_jRbjT5_S1F_jjP12ihipStream_tbEUljE_ZNSN_ISO_Lb0ESR_SS_SU_SV_SZ_EES10_S11_S12_S13_S17_S18_S19_S1C_S1D_jS1E_jS1F_S1F_jjS1H_bEUljE0_EEES10_S11_S12_S19_S1D_S1F_T6_T7_T9_mT8_S1H_bDpT10_ENKUlT_T0_E_clISt17integral_constantIbLb1EES1V_EEDaS1Q_S1R_EUlS1Q_E_NS1_11comp_targetILNS1_3genE0ELNS1_11target_archE4294967295ELNS1_3gpuE0ELNS1_3repE0EEENS1_30default_config_static_selectorELNS0_4arch9wavefront6targetE0EEEvS13_.num_named_barrier, 0
	.set _ZN7rocprim17ROCPRIM_400000_NS6detail17trampoline_kernelINS0_13select_configILj256ELj13ELNS0_17block_load_methodE3ELS4_3ELS4_3ELNS0_20block_scan_algorithmE0ELj4294967295EEENS1_25partition_config_selectorILNS1_17partition_subalgoE4EjNS0_10empty_typeEbEEZZNS1_14partition_implILS8_4ELb0ES6_15HIP_vector_typeIjLj2EENS0_17counting_iteratorIjlEEPS9_SG_NS0_5tupleIJPjSI_NS0_16reverse_iteratorISI_EEEEENSH_IJSG_SG_SG_EEES9_SI_JZNS1_25segmented_radix_sort_implINS0_14default_configELb0EPK12hip_bfloat16PSP_PKlPlN2at6native12_GLOBAL__N_18offset_tEEE10hipError_tPvRmT1_PNSt15iterator_traitsIS13_E10value_typeET2_T3_PNS14_IS19_E10value_typeET4_jRbjT5_S1F_jjP12ihipStream_tbEUljE_ZNSN_ISO_Lb0ESR_SS_SU_SV_SZ_EES10_S11_S12_S13_S17_S18_S19_S1C_S1D_jS1E_jS1F_S1F_jjS1H_bEUljE0_EEES10_S11_S12_S19_S1D_S1F_T6_T7_T9_mT8_S1H_bDpT10_ENKUlT_T0_E_clISt17integral_constantIbLb1EES1V_EEDaS1Q_S1R_EUlS1Q_E_NS1_11comp_targetILNS1_3genE0ELNS1_11target_archE4294967295ELNS1_3gpuE0ELNS1_3repE0EEENS1_30default_config_static_selectorELNS0_4arch9wavefront6targetE0EEEvS13_.private_seg_size, 0
	.set _ZN7rocprim17ROCPRIM_400000_NS6detail17trampoline_kernelINS0_13select_configILj256ELj13ELNS0_17block_load_methodE3ELS4_3ELS4_3ELNS0_20block_scan_algorithmE0ELj4294967295EEENS1_25partition_config_selectorILNS1_17partition_subalgoE4EjNS0_10empty_typeEbEEZZNS1_14partition_implILS8_4ELb0ES6_15HIP_vector_typeIjLj2EENS0_17counting_iteratorIjlEEPS9_SG_NS0_5tupleIJPjSI_NS0_16reverse_iteratorISI_EEEEENSH_IJSG_SG_SG_EEES9_SI_JZNS1_25segmented_radix_sort_implINS0_14default_configELb0EPK12hip_bfloat16PSP_PKlPlN2at6native12_GLOBAL__N_18offset_tEEE10hipError_tPvRmT1_PNSt15iterator_traitsIS13_E10value_typeET2_T3_PNS14_IS19_E10value_typeET4_jRbjT5_S1F_jjP12ihipStream_tbEUljE_ZNSN_ISO_Lb0ESR_SS_SU_SV_SZ_EES10_S11_S12_S13_S17_S18_S19_S1C_S1D_jS1E_jS1F_S1F_jjS1H_bEUljE0_EEES10_S11_S12_S19_S1D_S1F_T6_T7_T9_mT8_S1H_bDpT10_ENKUlT_T0_E_clISt17integral_constantIbLb1EES1V_EEDaS1Q_S1R_EUlS1Q_E_NS1_11comp_targetILNS1_3genE0ELNS1_11target_archE4294967295ELNS1_3gpuE0ELNS1_3repE0EEENS1_30default_config_static_selectorELNS0_4arch9wavefront6targetE0EEEvS13_.uses_vcc, 0
	.set _ZN7rocprim17ROCPRIM_400000_NS6detail17trampoline_kernelINS0_13select_configILj256ELj13ELNS0_17block_load_methodE3ELS4_3ELS4_3ELNS0_20block_scan_algorithmE0ELj4294967295EEENS1_25partition_config_selectorILNS1_17partition_subalgoE4EjNS0_10empty_typeEbEEZZNS1_14partition_implILS8_4ELb0ES6_15HIP_vector_typeIjLj2EENS0_17counting_iteratorIjlEEPS9_SG_NS0_5tupleIJPjSI_NS0_16reverse_iteratorISI_EEEEENSH_IJSG_SG_SG_EEES9_SI_JZNS1_25segmented_radix_sort_implINS0_14default_configELb0EPK12hip_bfloat16PSP_PKlPlN2at6native12_GLOBAL__N_18offset_tEEE10hipError_tPvRmT1_PNSt15iterator_traitsIS13_E10value_typeET2_T3_PNS14_IS19_E10value_typeET4_jRbjT5_S1F_jjP12ihipStream_tbEUljE_ZNSN_ISO_Lb0ESR_SS_SU_SV_SZ_EES10_S11_S12_S13_S17_S18_S19_S1C_S1D_jS1E_jS1F_S1F_jjS1H_bEUljE0_EEES10_S11_S12_S19_S1D_S1F_T6_T7_T9_mT8_S1H_bDpT10_ENKUlT_T0_E_clISt17integral_constantIbLb1EES1V_EEDaS1Q_S1R_EUlS1Q_E_NS1_11comp_targetILNS1_3genE0ELNS1_11target_archE4294967295ELNS1_3gpuE0ELNS1_3repE0EEENS1_30default_config_static_selectorELNS0_4arch9wavefront6targetE0EEEvS13_.uses_flat_scratch, 0
	.set _ZN7rocprim17ROCPRIM_400000_NS6detail17trampoline_kernelINS0_13select_configILj256ELj13ELNS0_17block_load_methodE3ELS4_3ELS4_3ELNS0_20block_scan_algorithmE0ELj4294967295EEENS1_25partition_config_selectorILNS1_17partition_subalgoE4EjNS0_10empty_typeEbEEZZNS1_14partition_implILS8_4ELb0ES6_15HIP_vector_typeIjLj2EENS0_17counting_iteratorIjlEEPS9_SG_NS0_5tupleIJPjSI_NS0_16reverse_iteratorISI_EEEEENSH_IJSG_SG_SG_EEES9_SI_JZNS1_25segmented_radix_sort_implINS0_14default_configELb0EPK12hip_bfloat16PSP_PKlPlN2at6native12_GLOBAL__N_18offset_tEEE10hipError_tPvRmT1_PNSt15iterator_traitsIS13_E10value_typeET2_T3_PNS14_IS19_E10value_typeET4_jRbjT5_S1F_jjP12ihipStream_tbEUljE_ZNSN_ISO_Lb0ESR_SS_SU_SV_SZ_EES10_S11_S12_S13_S17_S18_S19_S1C_S1D_jS1E_jS1F_S1F_jjS1H_bEUljE0_EEES10_S11_S12_S19_S1D_S1F_T6_T7_T9_mT8_S1H_bDpT10_ENKUlT_T0_E_clISt17integral_constantIbLb1EES1V_EEDaS1Q_S1R_EUlS1Q_E_NS1_11comp_targetILNS1_3genE0ELNS1_11target_archE4294967295ELNS1_3gpuE0ELNS1_3repE0EEENS1_30default_config_static_selectorELNS0_4arch9wavefront6targetE0EEEvS13_.has_dyn_sized_stack, 0
	.set _ZN7rocprim17ROCPRIM_400000_NS6detail17trampoline_kernelINS0_13select_configILj256ELj13ELNS0_17block_load_methodE3ELS4_3ELS4_3ELNS0_20block_scan_algorithmE0ELj4294967295EEENS1_25partition_config_selectorILNS1_17partition_subalgoE4EjNS0_10empty_typeEbEEZZNS1_14partition_implILS8_4ELb0ES6_15HIP_vector_typeIjLj2EENS0_17counting_iteratorIjlEEPS9_SG_NS0_5tupleIJPjSI_NS0_16reverse_iteratorISI_EEEEENSH_IJSG_SG_SG_EEES9_SI_JZNS1_25segmented_radix_sort_implINS0_14default_configELb0EPK12hip_bfloat16PSP_PKlPlN2at6native12_GLOBAL__N_18offset_tEEE10hipError_tPvRmT1_PNSt15iterator_traitsIS13_E10value_typeET2_T3_PNS14_IS19_E10value_typeET4_jRbjT5_S1F_jjP12ihipStream_tbEUljE_ZNSN_ISO_Lb0ESR_SS_SU_SV_SZ_EES10_S11_S12_S13_S17_S18_S19_S1C_S1D_jS1E_jS1F_S1F_jjS1H_bEUljE0_EEES10_S11_S12_S19_S1D_S1F_T6_T7_T9_mT8_S1H_bDpT10_ENKUlT_T0_E_clISt17integral_constantIbLb1EES1V_EEDaS1Q_S1R_EUlS1Q_E_NS1_11comp_targetILNS1_3genE0ELNS1_11target_archE4294967295ELNS1_3gpuE0ELNS1_3repE0EEENS1_30default_config_static_selectorELNS0_4arch9wavefront6targetE0EEEvS13_.has_recursion, 0
	.set _ZN7rocprim17ROCPRIM_400000_NS6detail17trampoline_kernelINS0_13select_configILj256ELj13ELNS0_17block_load_methodE3ELS4_3ELS4_3ELNS0_20block_scan_algorithmE0ELj4294967295EEENS1_25partition_config_selectorILNS1_17partition_subalgoE4EjNS0_10empty_typeEbEEZZNS1_14partition_implILS8_4ELb0ES6_15HIP_vector_typeIjLj2EENS0_17counting_iteratorIjlEEPS9_SG_NS0_5tupleIJPjSI_NS0_16reverse_iteratorISI_EEEEENSH_IJSG_SG_SG_EEES9_SI_JZNS1_25segmented_radix_sort_implINS0_14default_configELb0EPK12hip_bfloat16PSP_PKlPlN2at6native12_GLOBAL__N_18offset_tEEE10hipError_tPvRmT1_PNSt15iterator_traitsIS13_E10value_typeET2_T3_PNS14_IS19_E10value_typeET4_jRbjT5_S1F_jjP12ihipStream_tbEUljE_ZNSN_ISO_Lb0ESR_SS_SU_SV_SZ_EES10_S11_S12_S13_S17_S18_S19_S1C_S1D_jS1E_jS1F_S1F_jjS1H_bEUljE0_EEES10_S11_S12_S19_S1D_S1F_T6_T7_T9_mT8_S1H_bDpT10_ENKUlT_T0_E_clISt17integral_constantIbLb1EES1V_EEDaS1Q_S1R_EUlS1Q_E_NS1_11comp_targetILNS1_3genE0ELNS1_11target_archE4294967295ELNS1_3gpuE0ELNS1_3repE0EEENS1_30default_config_static_selectorELNS0_4arch9wavefront6targetE0EEEvS13_.has_indirect_call, 0
	.section	.AMDGPU.csdata,"",@progbits
; Kernel info:
; codeLenInByte = 4
; TotalNumSgprs: 0
; NumVgprs: 0
; ScratchSize: 0
; MemoryBound: 0
; FloatMode: 240
; IeeeMode: 1
; LDSByteSize: 0 bytes/workgroup (compile time only)
; SGPRBlocks: 0
; VGPRBlocks: 0
; NumSGPRsForWavesPerEU: 1
; NumVGPRsForWavesPerEU: 1
; NamedBarCnt: 0
; Occupancy: 16
; WaveLimiterHint : 0
; COMPUTE_PGM_RSRC2:SCRATCH_EN: 0
; COMPUTE_PGM_RSRC2:USER_SGPR: 2
; COMPUTE_PGM_RSRC2:TRAP_HANDLER: 0
; COMPUTE_PGM_RSRC2:TGID_X_EN: 1
; COMPUTE_PGM_RSRC2:TGID_Y_EN: 0
; COMPUTE_PGM_RSRC2:TGID_Z_EN: 0
; COMPUTE_PGM_RSRC2:TIDIG_COMP_CNT: 0
	.section	.text._ZN7rocprim17ROCPRIM_400000_NS6detail17trampoline_kernelINS0_13select_configILj256ELj13ELNS0_17block_load_methodE3ELS4_3ELS4_3ELNS0_20block_scan_algorithmE0ELj4294967295EEENS1_25partition_config_selectorILNS1_17partition_subalgoE4EjNS0_10empty_typeEbEEZZNS1_14partition_implILS8_4ELb0ES6_15HIP_vector_typeIjLj2EENS0_17counting_iteratorIjlEEPS9_SG_NS0_5tupleIJPjSI_NS0_16reverse_iteratorISI_EEEEENSH_IJSG_SG_SG_EEES9_SI_JZNS1_25segmented_radix_sort_implINS0_14default_configELb0EPK12hip_bfloat16PSP_PKlPlN2at6native12_GLOBAL__N_18offset_tEEE10hipError_tPvRmT1_PNSt15iterator_traitsIS13_E10value_typeET2_T3_PNS14_IS19_E10value_typeET4_jRbjT5_S1F_jjP12ihipStream_tbEUljE_ZNSN_ISO_Lb0ESR_SS_SU_SV_SZ_EES10_S11_S12_S13_S17_S18_S19_S1C_S1D_jS1E_jS1F_S1F_jjS1H_bEUljE0_EEES10_S11_S12_S19_S1D_S1F_T6_T7_T9_mT8_S1H_bDpT10_ENKUlT_T0_E_clISt17integral_constantIbLb1EES1V_EEDaS1Q_S1R_EUlS1Q_E_NS1_11comp_targetILNS1_3genE5ELNS1_11target_archE942ELNS1_3gpuE9ELNS1_3repE0EEENS1_30default_config_static_selectorELNS0_4arch9wavefront6targetE0EEEvS13_,"axG",@progbits,_ZN7rocprim17ROCPRIM_400000_NS6detail17trampoline_kernelINS0_13select_configILj256ELj13ELNS0_17block_load_methodE3ELS4_3ELS4_3ELNS0_20block_scan_algorithmE0ELj4294967295EEENS1_25partition_config_selectorILNS1_17partition_subalgoE4EjNS0_10empty_typeEbEEZZNS1_14partition_implILS8_4ELb0ES6_15HIP_vector_typeIjLj2EENS0_17counting_iteratorIjlEEPS9_SG_NS0_5tupleIJPjSI_NS0_16reverse_iteratorISI_EEEEENSH_IJSG_SG_SG_EEES9_SI_JZNS1_25segmented_radix_sort_implINS0_14default_configELb0EPK12hip_bfloat16PSP_PKlPlN2at6native12_GLOBAL__N_18offset_tEEE10hipError_tPvRmT1_PNSt15iterator_traitsIS13_E10value_typeET2_T3_PNS14_IS19_E10value_typeET4_jRbjT5_S1F_jjP12ihipStream_tbEUljE_ZNSN_ISO_Lb0ESR_SS_SU_SV_SZ_EES10_S11_S12_S13_S17_S18_S19_S1C_S1D_jS1E_jS1F_S1F_jjS1H_bEUljE0_EEES10_S11_S12_S19_S1D_S1F_T6_T7_T9_mT8_S1H_bDpT10_ENKUlT_T0_E_clISt17integral_constantIbLb1EES1V_EEDaS1Q_S1R_EUlS1Q_E_NS1_11comp_targetILNS1_3genE5ELNS1_11target_archE942ELNS1_3gpuE9ELNS1_3repE0EEENS1_30default_config_static_selectorELNS0_4arch9wavefront6targetE0EEEvS13_,comdat
	.globl	_ZN7rocprim17ROCPRIM_400000_NS6detail17trampoline_kernelINS0_13select_configILj256ELj13ELNS0_17block_load_methodE3ELS4_3ELS4_3ELNS0_20block_scan_algorithmE0ELj4294967295EEENS1_25partition_config_selectorILNS1_17partition_subalgoE4EjNS0_10empty_typeEbEEZZNS1_14partition_implILS8_4ELb0ES6_15HIP_vector_typeIjLj2EENS0_17counting_iteratorIjlEEPS9_SG_NS0_5tupleIJPjSI_NS0_16reverse_iteratorISI_EEEEENSH_IJSG_SG_SG_EEES9_SI_JZNS1_25segmented_radix_sort_implINS0_14default_configELb0EPK12hip_bfloat16PSP_PKlPlN2at6native12_GLOBAL__N_18offset_tEEE10hipError_tPvRmT1_PNSt15iterator_traitsIS13_E10value_typeET2_T3_PNS14_IS19_E10value_typeET4_jRbjT5_S1F_jjP12ihipStream_tbEUljE_ZNSN_ISO_Lb0ESR_SS_SU_SV_SZ_EES10_S11_S12_S13_S17_S18_S19_S1C_S1D_jS1E_jS1F_S1F_jjS1H_bEUljE0_EEES10_S11_S12_S19_S1D_S1F_T6_T7_T9_mT8_S1H_bDpT10_ENKUlT_T0_E_clISt17integral_constantIbLb1EES1V_EEDaS1Q_S1R_EUlS1Q_E_NS1_11comp_targetILNS1_3genE5ELNS1_11target_archE942ELNS1_3gpuE9ELNS1_3repE0EEENS1_30default_config_static_selectorELNS0_4arch9wavefront6targetE0EEEvS13_ ; -- Begin function _ZN7rocprim17ROCPRIM_400000_NS6detail17trampoline_kernelINS0_13select_configILj256ELj13ELNS0_17block_load_methodE3ELS4_3ELS4_3ELNS0_20block_scan_algorithmE0ELj4294967295EEENS1_25partition_config_selectorILNS1_17partition_subalgoE4EjNS0_10empty_typeEbEEZZNS1_14partition_implILS8_4ELb0ES6_15HIP_vector_typeIjLj2EENS0_17counting_iteratorIjlEEPS9_SG_NS0_5tupleIJPjSI_NS0_16reverse_iteratorISI_EEEEENSH_IJSG_SG_SG_EEES9_SI_JZNS1_25segmented_radix_sort_implINS0_14default_configELb0EPK12hip_bfloat16PSP_PKlPlN2at6native12_GLOBAL__N_18offset_tEEE10hipError_tPvRmT1_PNSt15iterator_traitsIS13_E10value_typeET2_T3_PNS14_IS19_E10value_typeET4_jRbjT5_S1F_jjP12ihipStream_tbEUljE_ZNSN_ISO_Lb0ESR_SS_SU_SV_SZ_EES10_S11_S12_S13_S17_S18_S19_S1C_S1D_jS1E_jS1F_S1F_jjS1H_bEUljE0_EEES10_S11_S12_S19_S1D_S1F_T6_T7_T9_mT8_S1H_bDpT10_ENKUlT_T0_E_clISt17integral_constantIbLb1EES1V_EEDaS1Q_S1R_EUlS1Q_E_NS1_11comp_targetILNS1_3genE5ELNS1_11target_archE942ELNS1_3gpuE9ELNS1_3repE0EEENS1_30default_config_static_selectorELNS0_4arch9wavefront6targetE0EEEvS13_
	.p2align	8
	.type	_ZN7rocprim17ROCPRIM_400000_NS6detail17trampoline_kernelINS0_13select_configILj256ELj13ELNS0_17block_load_methodE3ELS4_3ELS4_3ELNS0_20block_scan_algorithmE0ELj4294967295EEENS1_25partition_config_selectorILNS1_17partition_subalgoE4EjNS0_10empty_typeEbEEZZNS1_14partition_implILS8_4ELb0ES6_15HIP_vector_typeIjLj2EENS0_17counting_iteratorIjlEEPS9_SG_NS0_5tupleIJPjSI_NS0_16reverse_iteratorISI_EEEEENSH_IJSG_SG_SG_EEES9_SI_JZNS1_25segmented_radix_sort_implINS0_14default_configELb0EPK12hip_bfloat16PSP_PKlPlN2at6native12_GLOBAL__N_18offset_tEEE10hipError_tPvRmT1_PNSt15iterator_traitsIS13_E10value_typeET2_T3_PNS14_IS19_E10value_typeET4_jRbjT5_S1F_jjP12ihipStream_tbEUljE_ZNSN_ISO_Lb0ESR_SS_SU_SV_SZ_EES10_S11_S12_S13_S17_S18_S19_S1C_S1D_jS1E_jS1F_S1F_jjS1H_bEUljE0_EEES10_S11_S12_S19_S1D_S1F_T6_T7_T9_mT8_S1H_bDpT10_ENKUlT_T0_E_clISt17integral_constantIbLb1EES1V_EEDaS1Q_S1R_EUlS1Q_E_NS1_11comp_targetILNS1_3genE5ELNS1_11target_archE942ELNS1_3gpuE9ELNS1_3repE0EEENS1_30default_config_static_selectorELNS0_4arch9wavefront6targetE0EEEvS13_,@function
_ZN7rocprim17ROCPRIM_400000_NS6detail17trampoline_kernelINS0_13select_configILj256ELj13ELNS0_17block_load_methodE3ELS4_3ELS4_3ELNS0_20block_scan_algorithmE0ELj4294967295EEENS1_25partition_config_selectorILNS1_17partition_subalgoE4EjNS0_10empty_typeEbEEZZNS1_14partition_implILS8_4ELb0ES6_15HIP_vector_typeIjLj2EENS0_17counting_iteratorIjlEEPS9_SG_NS0_5tupleIJPjSI_NS0_16reverse_iteratorISI_EEEEENSH_IJSG_SG_SG_EEES9_SI_JZNS1_25segmented_radix_sort_implINS0_14default_configELb0EPK12hip_bfloat16PSP_PKlPlN2at6native12_GLOBAL__N_18offset_tEEE10hipError_tPvRmT1_PNSt15iterator_traitsIS13_E10value_typeET2_T3_PNS14_IS19_E10value_typeET4_jRbjT5_S1F_jjP12ihipStream_tbEUljE_ZNSN_ISO_Lb0ESR_SS_SU_SV_SZ_EES10_S11_S12_S13_S17_S18_S19_S1C_S1D_jS1E_jS1F_S1F_jjS1H_bEUljE0_EEES10_S11_S12_S19_S1D_S1F_T6_T7_T9_mT8_S1H_bDpT10_ENKUlT_T0_E_clISt17integral_constantIbLb1EES1V_EEDaS1Q_S1R_EUlS1Q_E_NS1_11comp_targetILNS1_3genE5ELNS1_11target_archE942ELNS1_3gpuE9ELNS1_3repE0EEENS1_30default_config_static_selectorELNS0_4arch9wavefront6targetE0EEEvS13_: ; @_ZN7rocprim17ROCPRIM_400000_NS6detail17trampoline_kernelINS0_13select_configILj256ELj13ELNS0_17block_load_methodE3ELS4_3ELS4_3ELNS0_20block_scan_algorithmE0ELj4294967295EEENS1_25partition_config_selectorILNS1_17partition_subalgoE4EjNS0_10empty_typeEbEEZZNS1_14partition_implILS8_4ELb0ES6_15HIP_vector_typeIjLj2EENS0_17counting_iteratorIjlEEPS9_SG_NS0_5tupleIJPjSI_NS0_16reverse_iteratorISI_EEEEENSH_IJSG_SG_SG_EEES9_SI_JZNS1_25segmented_radix_sort_implINS0_14default_configELb0EPK12hip_bfloat16PSP_PKlPlN2at6native12_GLOBAL__N_18offset_tEEE10hipError_tPvRmT1_PNSt15iterator_traitsIS13_E10value_typeET2_T3_PNS14_IS19_E10value_typeET4_jRbjT5_S1F_jjP12ihipStream_tbEUljE_ZNSN_ISO_Lb0ESR_SS_SU_SV_SZ_EES10_S11_S12_S13_S17_S18_S19_S1C_S1D_jS1E_jS1F_S1F_jjS1H_bEUljE0_EEES10_S11_S12_S19_S1D_S1F_T6_T7_T9_mT8_S1H_bDpT10_ENKUlT_T0_E_clISt17integral_constantIbLb1EES1V_EEDaS1Q_S1R_EUlS1Q_E_NS1_11comp_targetILNS1_3genE5ELNS1_11target_archE942ELNS1_3gpuE9ELNS1_3repE0EEENS1_30default_config_static_selectorELNS0_4arch9wavefront6targetE0EEEvS13_
; %bb.0:
	.section	.rodata,"a",@progbits
	.p2align	6, 0x0
	.amdhsa_kernel _ZN7rocprim17ROCPRIM_400000_NS6detail17trampoline_kernelINS0_13select_configILj256ELj13ELNS0_17block_load_methodE3ELS4_3ELS4_3ELNS0_20block_scan_algorithmE0ELj4294967295EEENS1_25partition_config_selectorILNS1_17partition_subalgoE4EjNS0_10empty_typeEbEEZZNS1_14partition_implILS8_4ELb0ES6_15HIP_vector_typeIjLj2EENS0_17counting_iteratorIjlEEPS9_SG_NS0_5tupleIJPjSI_NS0_16reverse_iteratorISI_EEEEENSH_IJSG_SG_SG_EEES9_SI_JZNS1_25segmented_radix_sort_implINS0_14default_configELb0EPK12hip_bfloat16PSP_PKlPlN2at6native12_GLOBAL__N_18offset_tEEE10hipError_tPvRmT1_PNSt15iterator_traitsIS13_E10value_typeET2_T3_PNS14_IS19_E10value_typeET4_jRbjT5_S1F_jjP12ihipStream_tbEUljE_ZNSN_ISO_Lb0ESR_SS_SU_SV_SZ_EES10_S11_S12_S13_S17_S18_S19_S1C_S1D_jS1E_jS1F_S1F_jjS1H_bEUljE0_EEES10_S11_S12_S19_S1D_S1F_T6_T7_T9_mT8_S1H_bDpT10_ENKUlT_T0_E_clISt17integral_constantIbLb1EES1V_EEDaS1Q_S1R_EUlS1Q_E_NS1_11comp_targetILNS1_3genE5ELNS1_11target_archE942ELNS1_3gpuE9ELNS1_3repE0EEENS1_30default_config_static_selectorELNS0_4arch9wavefront6targetE0EEEvS13_
		.amdhsa_group_segment_fixed_size 0
		.amdhsa_private_segment_fixed_size 0
		.amdhsa_kernarg_size 184
		.amdhsa_user_sgpr_count 2
		.amdhsa_user_sgpr_dispatch_ptr 0
		.amdhsa_user_sgpr_queue_ptr 0
		.amdhsa_user_sgpr_kernarg_segment_ptr 1
		.amdhsa_user_sgpr_dispatch_id 0
		.amdhsa_user_sgpr_kernarg_preload_length 0
		.amdhsa_user_sgpr_kernarg_preload_offset 0
		.amdhsa_user_sgpr_private_segment_size 0
		.amdhsa_wavefront_size32 1
		.amdhsa_uses_dynamic_stack 0
		.amdhsa_enable_private_segment 0
		.amdhsa_system_sgpr_workgroup_id_x 1
		.amdhsa_system_sgpr_workgroup_id_y 0
		.amdhsa_system_sgpr_workgroup_id_z 0
		.amdhsa_system_sgpr_workgroup_info 0
		.amdhsa_system_vgpr_workitem_id 0
		.amdhsa_next_free_vgpr 1
		.amdhsa_next_free_sgpr 1
		.amdhsa_named_barrier_count 0
		.amdhsa_reserve_vcc 0
		.amdhsa_float_round_mode_32 0
		.amdhsa_float_round_mode_16_64 0
		.amdhsa_float_denorm_mode_32 3
		.amdhsa_float_denorm_mode_16_64 3
		.amdhsa_fp16_overflow 0
		.amdhsa_memory_ordered 1
		.amdhsa_forward_progress 1
		.amdhsa_inst_pref_size 0
		.amdhsa_round_robin_scheduling 0
		.amdhsa_exception_fp_ieee_invalid_op 0
		.amdhsa_exception_fp_denorm_src 0
		.amdhsa_exception_fp_ieee_div_zero 0
		.amdhsa_exception_fp_ieee_overflow 0
		.amdhsa_exception_fp_ieee_underflow 0
		.amdhsa_exception_fp_ieee_inexact 0
		.amdhsa_exception_int_div_zero 0
	.end_amdhsa_kernel
	.section	.text._ZN7rocprim17ROCPRIM_400000_NS6detail17trampoline_kernelINS0_13select_configILj256ELj13ELNS0_17block_load_methodE3ELS4_3ELS4_3ELNS0_20block_scan_algorithmE0ELj4294967295EEENS1_25partition_config_selectorILNS1_17partition_subalgoE4EjNS0_10empty_typeEbEEZZNS1_14partition_implILS8_4ELb0ES6_15HIP_vector_typeIjLj2EENS0_17counting_iteratorIjlEEPS9_SG_NS0_5tupleIJPjSI_NS0_16reverse_iteratorISI_EEEEENSH_IJSG_SG_SG_EEES9_SI_JZNS1_25segmented_radix_sort_implINS0_14default_configELb0EPK12hip_bfloat16PSP_PKlPlN2at6native12_GLOBAL__N_18offset_tEEE10hipError_tPvRmT1_PNSt15iterator_traitsIS13_E10value_typeET2_T3_PNS14_IS19_E10value_typeET4_jRbjT5_S1F_jjP12ihipStream_tbEUljE_ZNSN_ISO_Lb0ESR_SS_SU_SV_SZ_EES10_S11_S12_S13_S17_S18_S19_S1C_S1D_jS1E_jS1F_S1F_jjS1H_bEUljE0_EEES10_S11_S12_S19_S1D_S1F_T6_T7_T9_mT8_S1H_bDpT10_ENKUlT_T0_E_clISt17integral_constantIbLb1EES1V_EEDaS1Q_S1R_EUlS1Q_E_NS1_11comp_targetILNS1_3genE5ELNS1_11target_archE942ELNS1_3gpuE9ELNS1_3repE0EEENS1_30default_config_static_selectorELNS0_4arch9wavefront6targetE0EEEvS13_,"axG",@progbits,_ZN7rocprim17ROCPRIM_400000_NS6detail17trampoline_kernelINS0_13select_configILj256ELj13ELNS0_17block_load_methodE3ELS4_3ELS4_3ELNS0_20block_scan_algorithmE0ELj4294967295EEENS1_25partition_config_selectorILNS1_17partition_subalgoE4EjNS0_10empty_typeEbEEZZNS1_14partition_implILS8_4ELb0ES6_15HIP_vector_typeIjLj2EENS0_17counting_iteratorIjlEEPS9_SG_NS0_5tupleIJPjSI_NS0_16reverse_iteratorISI_EEEEENSH_IJSG_SG_SG_EEES9_SI_JZNS1_25segmented_radix_sort_implINS0_14default_configELb0EPK12hip_bfloat16PSP_PKlPlN2at6native12_GLOBAL__N_18offset_tEEE10hipError_tPvRmT1_PNSt15iterator_traitsIS13_E10value_typeET2_T3_PNS14_IS19_E10value_typeET4_jRbjT5_S1F_jjP12ihipStream_tbEUljE_ZNSN_ISO_Lb0ESR_SS_SU_SV_SZ_EES10_S11_S12_S13_S17_S18_S19_S1C_S1D_jS1E_jS1F_S1F_jjS1H_bEUljE0_EEES10_S11_S12_S19_S1D_S1F_T6_T7_T9_mT8_S1H_bDpT10_ENKUlT_T0_E_clISt17integral_constantIbLb1EES1V_EEDaS1Q_S1R_EUlS1Q_E_NS1_11comp_targetILNS1_3genE5ELNS1_11target_archE942ELNS1_3gpuE9ELNS1_3repE0EEENS1_30default_config_static_selectorELNS0_4arch9wavefront6targetE0EEEvS13_,comdat
.Lfunc_end1984:
	.size	_ZN7rocprim17ROCPRIM_400000_NS6detail17trampoline_kernelINS0_13select_configILj256ELj13ELNS0_17block_load_methodE3ELS4_3ELS4_3ELNS0_20block_scan_algorithmE0ELj4294967295EEENS1_25partition_config_selectorILNS1_17partition_subalgoE4EjNS0_10empty_typeEbEEZZNS1_14partition_implILS8_4ELb0ES6_15HIP_vector_typeIjLj2EENS0_17counting_iteratorIjlEEPS9_SG_NS0_5tupleIJPjSI_NS0_16reverse_iteratorISI_EEEEENSH_IJSG_SG_SG_EEES9_SI_JZNS1_25segmented_radix_sort_implINS0_14default_configELb0EPK12hip_bfloat16PSP_PKlPlN2at6native12_GLOBAL__N_18offset_tEEE10hipError_tPvRmT1_PNSt15iterator_traitsIS13_E10value_typeET2_T3_PNS14_IS19_E10value_typeET4_jRbjT5_S1F_jjP12ihipStream_tbEUljE_ZNSN_ISO_Lb0ESR_SS_SU_SV_SZ_EES10_S11_S12_S13_S17_S18_S19_S1C_S1D_jS1E_jS1F_S1F_jjS1H_bEUljE0_EEES10_S11_S12_S19_S1D_S1F_T6_T7_T9_mT8_S1H_bDpT10_ENKUlT_T0_E_clISt17integral_constantIbLb1EES1V_EEDaS1Q_S1R_EUlS1Q_E_NS1_11comp_targetILNS1_3genE5ELNS1_11target_archE942ELNS1_3gpuE9ELNS1_3repE0EEENS1_30default_config_static_selectorELNS0_4arch9wavefront6targetE0EEEvS13_, .Lfunc_end1984-_ZN7rocprim17ROCPRIM_400000_NS6detail17trampoline_kernelINS0_13select_configILj256ELj13ELNS0_17block_load_methodE3ELS4_3ELS4_3ELNS0_20block_scan_algorithmE0ELj4294967295EEENS1_25partition_config_selectorILNS1_17partition_subalgoE4EjNS0_10empty_typeEbEEZZNS1_14partition_implILS8_4ELb0ES6_15HIP_vector_typeIjLj2EENS0_17counting_iteratorIjlEEPS9_SG_NS0_5tupleIJPjSI_NS0_16reverse_iteratorISI_EEEEENSH_IJSG_SG_SG_EEES9_SI_JZNS1_25segmented_radix_sort_implINS0_14default_configELb0EPK12hip_bfloat16PSP_PKlPlN2at6native12_GLOBAL__N_18offset_tEEE10hipError_tPvRmT1_PNSt15iterator_traitsIS13_E10value_typeET2_T3_PNS14_IS19_E10value_typeET4_jRbjT5_S1F_jjP12ihipStream_tbEUljE_ZNSN_ISO_Lb0ESR_SS_SU_SV_SZ_EES10_S11_S12_S13_S17_S18_S19_S1C_S1D_jS1E_jS1F_S1F_jjS1H_bEUljE0_EEES10_S11_S12_S19_S1D_S1F_T6_T7_T9_mT8_S1H_bDpT10_ENKUlT_T0_E_clISt17integral_constantIbLb1EES1V_EEDaS1Q_S1R_EUlS1Q_E_NS1_11comp_targetILNS1_3genE5ELNS1_11target_archE942ELNS1_3gpuE9ELNS1_3repE0EEENS1_30default_config_static_selectorELNS0_4arch9wavefront6targetE0EEEvS13_
                                        ; -- End function
	.set _ZN7rocprim17ROCPRIM_400000_NS6detail17trampoline_kernelINS0_13select_configILj256ELj13ELNS0_17block_load_methodE3ELS4_3ELS4_3ELNS0_20block_scan_algorithmE0ELj4294967295EEENS1_25partition_config_selectorILNS1_17partition_subalgoE4EjNS0_10empty_typeEbEEZZNS1_14partition_implILS8_4ELb0ES6_15HIP_vector_typeIjLj2EENS0_17counting_iteratorIjlEEPS9_SG_NS0_5tupleIJPjSI_NS0_16reverse_iteratorISI_EEEEENSH_IJSG_SG_SG_EEES9_SI_JZNS1_25segmented_radix_sort_implINS0_14default_configELb0EPK12hip_bfloat16PSP_PKlPlN2at6native12_GLOBAL__N_18offset_tEEE10hipError_tPvRmT1_PNSt15iterator_traitsIS13_E10value_typeET2_T3_PNS14_IS19_E10value_typeET4_jRbjT5_S1F_jjP12ihipStream_tbEUljE_ZNSN_ISO_Lb0ESR_SS_SU_SV_SZ_EES10_S11_S12_S13_S17_S18_S19_S1C_S1D_jS1E_jS1F_S1F_jjS1H_bEUljE0_EEES10_S11_S12_S19_S1D_S1F_T6_T7_T9_mT8_S1H_bDpT10_ENKUlT_T0_E_clISt17integral_constantIbLb1EES1V_EEDaS1Q_S1R_EUlS1Q_E_NS1_11comp_targetILNS1_3genE5ELNS1_11target_archE942ELNS1_3gpuE9ELNS1_3repE0EEENS1_30default_config_static_selectorELNS0_4arch9wavefront6targetE0EEEvS13_.num_vgpr, 0
	.set _ZN7rocprim17ROCPRIM_400000_NS6detail17trampoline_kernelINS0_13select_configILj256ELj13ELNS0_17block_load_methodE3ELS4_3ELS4_3ELNS0_20block_scan_algorithmE0ELj4294967295EEENS1_25partition_config_selectorILNS1_17partition_subalgoE4EjNS0_10empty_typeEbEEZZNS1_14partition_implILS8_4ELb0ES6_15HIP_vector_typeIjLj2EENS0_17counting_iteratorIjlEEPS9_SG_NS0_5tupleIJPjSI_NS0_16reverse_iteratorISI_EEEEENSH_IJSG_SG_SG_EEES9_SI_JZNS1_25segmented_radix_sort_implINS0_14default_configELb0EPK12hip_bfloat16PSP_PKlPlN2at6native12_GLOBAL__N_18offset_tEEE10hipError_tPvRmT1_PNSt15iterator_traitsIS13_E10value_typeET2_T3_PNS14_IS19_E10value_typeET4_jRbjT5_S1F_jjP12ihipStream_tbEUljE_ZNSN_ISO_Lb0ESR_SS_SU_SV_SZ_EES10_S11_S12_S13_S17_S18_S19_S1C_S1D_jS1E_jS1F_S1F_jjS1H_bEUljE0_EEES10_S11_S12_S19_S1D_S1F_T6_T7_T9_mT8_S1H_bDpT10_ENKUlT_T0_E_clISt17integral_constantIbLb1EES1V_EEDaS1Q_S1R_EUlS1Q_E_NS1_11comp_targetILNS1_3genE5ELNS1_11target_archE942ELNS1_3gpuE9ELNS1_3repE0EEENS1_30default_config_static_selectorELNS0_4arch9wavefront6targetE0EEEvS13_.num_agpr, 0
	.set _ZN7rocprim17ROCPRIM_400000_NS6detail17trampoline_kernelINS0_13select_configILj256ELj13ELNS0_17block_load_methodE3ELS4_3ELS4_3ELNS0_20block_scan_algorithmE0ELj4294967295EEENS1_25partition_config_selectorILNS1_17partition_subalgoE4EjNS0_10empty_typeEbEEZZNS1_14partition_implILS8_4ELb0ES6_15HIP_vector_typeIjLj2EENS0_17counting_iteratorIjlEEPS9_SG_NS0_5tupleIJPjSI_NS0_16reverse_iteratorISI_EEEEENSH_IJSG_SG_SG_EEES9_SI_JZNS1_25segmented_radix_sort_implINS0_14default_configELb0EPK12hip_bfloat16PSP_PKlPlN2at6native12_GLOBAL__N_18offset_tEEE10hipError_tPvRmT1_PNSt15iterator_traitsIS13_E10value_typeET2_T3_PNS14_IS19_E10value_typeET4_jRbjT5_S1F_jjP12ihipStream_tbEUljE_ZNSN_ISO_Lb0ESR_SS_SU_SV_SZ_EES10_S11_S12_S13_S17_S18_S19_S1C_S1D_jS1E_jS1F_S1F_jjS1H_bEUljE0_EEES10_S11_S12_S19_S1D_S1F_T6_T7_T9_mT8_S1H_bDpT10_ENKUlT_T0_E_clISt17integral_constantIbLb1EES1V_EEDaS1Q_S1R_EUlS1Q_E_NS1_11comp_targetILNS1_3genE5ELNS1_11target_archE942ELNS1_3gpuE9ELNS1_3repE0EEENS1_30default_config_static_selectorELNS0_4arch9wavefront6targetE0EEEvS13_.numbered_sgpr, 0
	.set _ZN7rocprim17ROCPRIM_400000_NS6detail17trampoline_kernelINS0_13select_configILj256ELj13ELNS0_17block_load_methodE3ELS4_3ELS4_3ELNS0_20block_scan_algorithmE0ELj4294967295EEENS1_25partition_config_selectorILNS1_17partition_subalgoE4EjNS0_10empty_typeEbEEZZNS1_14partition_implILS8_4ELb0ES6_15HIP_vector_typeIjLj2EENS0_17counting_iteratorIjlEEPS9_SG_NS0_5tupleIJPjSI_NS0_16reverse_iteratorISI_EEEEENSH_IJSG_SG_SG_EEES9_SI_JZNS1_25segmented_radix_sort_implINS0_14default_configELb0EPK12hip_bfloat16PSP_PKlPlN2at6native12_GLOBAL__N_18offset_tEEE10hipError_tPvRmT1_PNSt15iterator_traitsIS13_E10value_typeET2_T3_PNS14_IS19_E10value_typeET4_jRbjT5_S1F_jjP12ihipStream_tbEUljE_ZNSN_ISO_Lb0ESR_SS_SU_SV_SZ_EES10_S11_S12_S13_S17_S18_S19_S1C_S1D_jS1E_jS1F_S1F_jjS1H_bEUljE0_EEES10_S11_S12_S19_S1D_S1F_T6_T7_T9_mT8_S1H_bDpT10_ENKUlT_T0_E_clISt17integral_constantIbLb1EES1V_EEDaS1Q_S1R_EUlS1Q_E_NS1_11comp_targetILNS1_3genE5ELNS1_11target_archE942ELNS1_3gpuE9ELNS1_3repE0EEENS1_30default_config_static_selectorELNS0_4arch9wavefront6targetE0EEEvS13_.num_named_barrier, 0
	.set _ZN7rocprim17ROCPRIM_400000_NS6detail17trampoline_kernelINS0_13select_configILj256ELj13ELNS0_17block_load_methodE3ELS4_3ELS4_3ELNS0_20block_scan_algorithmE0ELj4294967295EEENS1_25partition_config_selectorILNS1_17partition_subalgoE4EjNS0_10empty_typeEbEEZZNS1_14partition_implILS8_4ELb0ES6_15HIP_vector_typeIjLj2EENS0_17counting_iteratorIjlEEPS9_SG_NS0_5tupleIJPjSI_NS0_16reverse_iteratorISI_EEEEENSH_IJSG_SG_SG_EEES9_SI_JZNS1_25segmented_radix_sort_implINS0_14default_configELb0EPK12hip_bfloat16PSP_PKlPlN2at6native12_GLOBAL__N_18offset_tEEE10hipError_tPvRmT1_PNSt15iterator_traitsIS13_E10value_typeET2_T3_PNS14_IS19_E10value_typeET4_jRbjT5_S1F_jjP12ihipStream_tbEUljE_ZNSN_ISO_Lb0ESR_SS_SU_SV_SZ_EES10_S11_S12_S13_S17_S18_S19_S1C_S1D_jS1E_jS1F_S1F_jjS1H_bEUljE0_EEES10_S11_S12_S19_S1D_S1F_T6_T7_T9_mT8_S1H_bDpT10_ENKUlT_T0_E_clISt17integral_constantIbLb1EES1V_EEDaS1Q_S1R_EUlS1Q_E_NS1_11comp_targetILNS1_3genE5ELNS1_11target_archE942ELNS1_3gpuE9ELNS1_3repE0EEENS1_30default_config_static_selectorELNS0_4arch9wavefront6targetE0EEEvS13_.private_seg_size, 0
	.set _ZN7rocprim17ROCPRIM_400000_NS6detail17trampoline_kernelINS0_13select_configILj256ELj13ELNS0_17block_load_methodE3ELS4_3ELS4_3ELNS0_20block_scan_algorithmE0ELj4294967295EEENS1_25partition_config_selectorILNS1_17partition_subalgoE4EjNS0_10empty_typeEbEEZZNS1_14partition_implILS8_4ELb0ES6_15HIP_vector_typeIjLj2EENS0_17counting_iteratorIjlEEPS9_SG_NS0_5tupleIJPjSI_NS0_16reverse_iteratorISI_EEEEENSH_IJSG_SG_SG_EEES9_SI_JZNS1_25segmented_radix_sort_implINS0_14default_configELb0EPK12hip_bfloat16PSP_PKlPlN2at6native12_GLOBAL__N_18offset_tEEE10hipError_tPvRmT1_PNSt15iterator_traitsIS13_E10value_typeET2_T3_PNS14_IS19_E10value_typeET4_jRbjT5_S1F_jjP12ihipStream_tbEUljE_ZNSN_ISO_Lb0ESR_SS_SU_SV_SZ_EES10_S11_S12_S13_S17_S18_S19_S1C_S1D_jS1E_jS1F_S1F_jjS1H_bEUljE0_EEES10_S11_S12_S19_S1D_S1F_T6_T7_T9_mT8_S1H_bDpT10_ENKUlT_T0_E_clISt17integral_constantIbLb1EES1V_EEDaS1Q_S1R_EUlS1Q_E_NS1_11comp_targetILNS1_3genE5ELNS1_11target_archE942ELNS1_3gpuE9ELNS1_3repE0EEENS1_30default_config_static_selectorELNS0_4arch9wavefront6targetE0EEEvS13_.uses_vcc, 0
	.set _ZN7rocprim17ROCPRIM_400000_NS6detail17trampoline_kernelINS0_13select_configILj256ELj13ELNS0_17block_load_methodE3ELS4_3ELS4_3ELNS0_20block_scan_algorithmE0ELj4294967295EEENS1_25partition_config_selectorILNS1_17partition_subalgoE4EjNS0_10empty_typeEbEEZZNS1_14partition_implILS8_4ELb0ES6_15HIP_vector_typeIjLj2EENS0_17counting_iteratorIjlEEPS9_SG_NS0_5tupleIJPjSI_NS0_16reverse_iteratorISI_EEEEENSH_IJSG_SG_SG_EEES9_SI_JZNS1_25segmented_radix_sort_implINS0_14default_configELb0EPK12hip_bfloat16PSP_PKlPlN2at6native12_GLOBAL__N_18offset_tEEE10hipError_tPvRmT1_PNSt15iterator_traitsIS13_E10value_typeET2_T3_PNS14_IS19_E10value_typeET4_jRbjT5_S1F_jjP12ihipStream_tbEUljE_ZNSN_ISO_Lb0ESR_SS_SU_SV_SZ_EES10_S11_S12_S13_S17_S18_S19_S1C_S1D_jS1E_jS1F_S1F_jjS1H_bEUljE0_EEES10_S11_S12_S19_S1D_S1F_T6_T7_T9_mT8_S1H_bDpT10_ENKUlT_T0_E_clISt17integral_constantIbLb1EES1V_EEDaS1Q_S1R_EUlS1Q_E_NS1_11comp_targetILNS1_3genE5ELNS1_11target_archE942ELNS1_3gpuE9ELNS1_3repE0EEENS1_30default_config_static_selectorELNS0_4arch9wavefront6targetE0EEEvS13_.uses_flat_scratch, 0
	.set _ZN7rocprim17ROCPRIM_400000_NS6detail17trampoline_kernelINS0_13select_configILj256ELj13ELNS0_17block_load_methodE3ELS4_3ELS4_3ELNS0_20block_scan_algorithmE0ELj4294967295EEENS1_25partition_config_selectorILNS1_17partition_subalgoE4EjNS0_10empty_typeEbEEZZNS1_14partition_implILS8_4ELb0ES6_15HIP_vector_typeIjLj2EENS0_17counting_iteratorIjlEEPS9_SG_NS0_5tupleIJPjSI_NS0_16reverse_iteratorISI_EEEEENSH_IJSG_SG_SG_EEES9_SI_JZNS1_25segmented_radix_sort_implINS0_14default_configELb0EPK12hip_bfloat16PSP_PKlPlN2at6native12_GLOBAL__N_18offset_tEEE10hipError_tPvRmT1_PNSt15iterator_traitsIS13_E10value_typeET2_T3_PNS14_IS19_E10value_typeET4_jRbjT5_S1F_jjP12ihipStream_tbEUljE_ZNSN_ISO_Lb0ESR_SS_SU_SV_SZ_EES10_S11_S12_S13_S17_S18_S19_S1C_S1D_jS1E_jS1F_S1F_jjS1H_bEUljE0_EEES10_S11_S12_S19_S1D_S1F_T6_T7_T9_mT8_S1H_bDpT10_ENKUlT_T0_E_clISt17integral_constantIbLb1EES1V_EEDaS1Q_S1R_EUlS1Q_E_NS1_11comp_targetILNS1_3genE5ELNS1_11target_archE942ELNS1_3gpuE9ELNS1_3repE0EEENS1_30default_config_static_selectorELNS0_4arch9wavefront6targetE0EEEvS13_.has_dyn_sized_stack, 0
	.set _ZN7rocprim17ROCPRIM_400000_NS6detail17trampoline_kernelINS0_13select_configILj256ELj13ELNS0_17block_load_methodE3ELS4_3ELS4_3ELNS0_20block_scan_algorithmE0ELj4294967295EEENS1_25partition_config_selectorILNS1_17partition_subalgoE4EjNS0_10empty_typeEbEEZZNS1_14partition_implILS8_4ELb0ES6_15HIP_vector_typeIjLj2EENS0_17counting_iteratorIjlEEPS9_SG_NS0_5tupleIJPjSI_NS0_16reverse_iteratorISI_EEEEENSH_IJSG_SG_SG_EEES9_SI_JZNS1_25segmented_radix_sort_implINS0_14default_configELb0EPK12hip_bfloat16PSP_PKlPlN2at6native12_GLOBAL__N_18offset_tEEE10hipError_tPvRmT1_PNSt15iterator_traitsIS13_E10value_typeET2_T3_PNS14_IS19_E10value_typeET4_jRbjT5_S1F_jjP12ihipStream_tbEUljE_ZNSN_ISO_Lb0ESR_SS_SU_SV_SZ_EES10_S11_S12_S13_S17_S18_S19_S1C_S1D_jS1E_jS1F_S1F_jjS1H_bEUljE0_EEES10_S11_S12_S19_S1D_S1F_T6_T7_T9_mT8_S1H_bDpT10_ENKUlT_T0_E_clISt17integral_constantIbLb1EES1V_EEDaS1Q_S1R_EUlS1Q_E_NS1_11comp_targetILNS1_3genE5ELNS1_11target_archE942ELNS1_3gpuE9ELNS1_3repE0EEENS1_30default_config_static_selectorELNS0_4arch9wavefront6targetE0EEEvS13_.has_recursion, 0
	.set _ZN7rocprim17ROCPRIM_400000_NS6detail17trampoline_kernelINS0_13select_configILj256ELj13ELNS0_17block_load_methodE3ELS4_3ELS4_3ELNS0_20block_scan_algorithmE0ELj4294967295EEENS1_25partition_config_selectorILNS1_17partition_subalgoE4EjNS0_10empty_typeEbEEZZNS1_14partition_implILS8_4ELb0ES6_15HIP_vector_typeIjLj2EENS0_17counting_iteratorIjlEEPS9_SG_NS0_5tupleIJPjSI_NS0_16reverse_iteratorISI_EEEEENSH_IJSG_SG_SG_EEES9_SI_JZNS1_25segmented_radix_sort_implINS0_14default_configELb0EPK12hip_bfloat16PSP_PKlPlN2at6native12_GLOBAL__N_18offset_tEEE10hipError_tPvRmT1_PNSt15iterator_traitsIS13_E10value_typeET2_T3_PNS14_IS19_E10value_typeET4_jRbjT5_S1F_jjP12ihipStream_tbEUljE_ZNSN_ISO_Lb0ESR_SS_SU_SV_SZ_EES10_S11_S12_S13_S17_S18_S19_S1C_S1D_jS1E_jS1F_S1F_jjS1H_bEUljE0_EEES10_S11_S12_S19_S1D_S1F_T6_T7_T9_mT8_S1H_bDpT10_ENKUlT_T0_E_clISt17integral_constantIbLb1EES1V_EEDaS1Q_S1R_EUlS1Q_E_NS1_11comp_targetILNS1_3genE5ELNS1_11target_archE942ELNS1_3gpuE9ELNS1_3repE0EEENS1_30default_config_static_selectorELNS0_4arch9wavefront6targetE0EEEvS13_.has_indirect_call, 0
	.section	.AMDGPU.csdata,"",@progbits
; Kernel info:
; codeLenInByte = 0
; TotalNumSgprs: 0
; NumVgprs: 0
; ScratchSize: 0
; MemoryBound: 0
; FloatMode: 240
; IeeeMode: 1
; LDSByteSize: 0 bytes/workgroup (compile time only)
; SGPRBlocks: 0
; VGPRBlocks: 0
; NumSGPRsForWavesPerEU: 1
; NumVGPRsForWavesPerEU: 1
; NamedBarCnt: 0
; Occupancy: 16
; WaveLimiterHint : 0
; COMPUTE_PGM_RSRC2:SCRATCH_EN: 0
; COMPUTE_PGM_RSRC2:USER_SGPR: 2
; COMPUTE_PGM_RSRC2:TRAP_HANDLER: 0
; COMPUTE_PGM_RSRC2:TGID_X_EN: 1
; COMPUTE_PGM_RSRC2:TGID_Y_EN: 0
; COMPUTE_PGM_RSRC2:TGID_Z_EN: 0
; COMPUTE_PGM_RSRC2:TIDIG_COMP_CNT: 0
	.section	.text._ZN7rocprim17ROCPRIM_400000_NS6detail17trampoline_kernelINS0_13select_configILj256ELj13ELNS0_17block_load_methodE3ELS4_3ELS4_3ELNS0_20block_scan_algorithmE0ELj4294967295EEENS1_25partition_config_selectorILNS1_17partition_subalgoE4EjNS0_10empty_typeEbEEZZNS1_14partition_implILS8_4ELb0ES6_15HIP_vector_typeIjLj2EENS0_17counting_iteratorIjlEEPS9_SG_NS0_5tupleIJPjSI_NS0_16reverse_iteratorISI_EEEEENSH_IJSG_SG_SG_EEES9_SI_JZNS1_25segmented_radix_sort_implINS0_14default_configELb0EPK12hip_bfloat16PSP_PKlPlN2at6native12_GLOBAL__N_18offset_tEEE10hipError_tPvRmT1_PNSt15iterator_traitsIS13_E10value_typeET2_T3_PNS14_IS19_E10value_typeET4_jRbjT5_S1F_jjP12ihipStream_tbEUljE_ZNSN_ISO_Lb0ESR_SS_SU_SV_SZ_EES10_S11_S12_S13_S17_S18_S19_S1C_S1D_jS1E_jS1F_S1F_jjS1H_bEUljE0_EEES10_S11_S12_S19_S1D_S1F_T6_T7_T9_mT8_S1H_bDpT10_ENKUlT_T0_E_clISt17integral_constantIbLb1EES1V_EEDaS1Q_S1R_EUlS1Q_E_NS1_11comp_targetILNS1_3genE4ELNS1_11target_archE910ELNS1_3gpuE8ELNS1_3repE0EEENS1_30default_config_static_selectorELNS0_4arch9wavefront6targetE0EEEvS13_,"axG",@progbits,_ZN7rocprim17ROCPRIM_400000_NS6detail17trampoline_kernelINS0_13select_configILj256ELj13ELNS0_17block_load_methodE3ELS4_3ELS4_3ELNS0_20block_scan_algorithmE0ELj4294967295EEENS1_25partition_config_selectorILNS1_17partition_subalgoE4EjNS0_10empty_typeEbEEZZNS1_14partition_implILS8_4ELb0ES6_15HIP_vector_typeIjLj2EENS0_17counting_iteratorIjlEEPS9_SG_NS0_5tupleIJPjSI_NS0_16reverse_iteratorISI_EEEEENSH_IJSG_SG_SG_EEES9_SI_JZNS1_25segmented_radix_sort_implINS0_14default_configELb0EPK12hip_bfloat16PSP_PKlPlN2at6native12_GLOBAL__N_18offset_tEEE10hipError_tPvRmT1_PNSt15iterator_traitsIS13_E10value_typeET2_T3_PNS14_IS19_E10value_typeET4_jRbjT5_S1F_jjP12ihipStream_tbEUljE_ZNSN_ISO_Lb0ESR_SS_SU_SV_SZ_EES10_S11_S12_S13_S17_S18_S19_S1C_S1D_jS1E_jS1F_S1F_jjS1H_bEUljE0_EEES10_S11_S12_S19_S1D_S1F_T6_T7_T9_mT8_S1H_bDpT10_ENKUlT_T0_E_clISt17integral_constantIbLb1EES1V_EEDaS1Q_S1R_EUlS1Q_E_NS1_11comp_targetILNS1_3genE4ELNS1_11target_archE910ELNS1_3gpuE8ELNS1_3repE0EEENS1_30default_config_static_selectorELNS0_4arch9wavefront6targetE0EEEvS13_,comdat
	.globl	_ZN7rocprim17ROCPRIM_400000_NS6detail17trampoline_kernelINS0_13select_configILj256ELj13ELNS0_17block_load_methodE3ELS4_3ELS4_3ELNS0_20block_scan_algorithmE0ELj4294967295EEENS1_25partition_config_selectorILNS1_17partition_subalgoE4EjNS0_10empty_typeEbEEZZNS1_14partition_implILS8_4ELb0ES6_15HIP_vector_typeIjLj2EENS0_17counting_iteratorIjlEEPS9_SG_NS0_5tupleIJPjSI_NS0_16reverse_iteratorISI_EEEEENSH_IJSG_SG_SG_EEES9_SI_JZNS1_25segmented_radix_sort_implINS0_14default_configELb0EPK12hip_bfloat16PSP_PKlPlN2at6native12_GLOBAL__N_18offset_tEEE10hipError_tPvRmT1_PNSt15iterator_traitsIS13_E10value_typeET2_T3_PNS14_IS19_E10value_typeET4_jRbjT5_S1F_jjP12ihipStream_tbEUljE_ZNSN_ISO_Lb0ESR_SS_SU_SV_SZ_EES10_S11_S12_S13_S17_S18_S19_S1C_S1D_jS1E_jS1F_S1F_jjS1H_bEUljE0_EEES10_S11_S12_S19_S1D_S1F_T6_T7_T9_mT8_S1H_bDpT10_ENKUlT_T0_E_clISt17integral_constantIbLb1EES1V_EEDaS1Q_S1R_EUlS1Q_E_NS1_11comp_targetILNS1_3genE4ELNS1_11target_archE910ELNS1_3gpuE8ELNS1_3repE0EEENS1_30default_config_static_selectorELNS0_4arch9wavefront6targetE0EEEvS13_ ; -- Begin function _ZN7rocprim17ROCPRIM_400000_NS6detail17trampoline_kernelINS0_13select_configILj256ELj13ELNS0_17block_load_methodE3ELS4_3ELS4_3ELNS0_20block_scan_algorithmE0ELj4294967295EEENS1_25partition_config_selectorILNS1_17partition_subalgoE4EjNS0_10empty_typeEbEEZZNS1_14partition_implILS8_4ELb0ES6_15HIP_vector_typeIjLj2EENS0_17counting_iteratorIjlEEPS9_SG_NS0_5tupleIJPjSI_NS0_16reverse_iteratorISI_EEEEENSH_IJSG_SG_SG_EEES9_SI_JZNS1_25segmented_radix_sort_implINS0_14default_configELb0EPK12hip_bfloat16PSP_PKlPlN2at6native12_GLOBAL__N_18offset_tEEE10hipError_tPvRmT1_PNSt15iterator_traitsIS13_E10value_typeET2_T3_PNS14_IS19_E10value_typeET4_jRbjT5_S1F_jjP12ihipStream_tbEUljE_ZNSN_ISO_Lb0ESR_SS_SU_SV_SZ_EES10_S11_S12_S13_S17_S18_S19_S1C_S1D_jS1E_jS1F_S1F_jjS1H_bEUljE0_EEES10_S11_S12_S19_S1D_S1F_T6_T7_T9_mT8_S1H_bDpT10_ENKUlT_T0_E_clISt17integral_constantIbLb1EES1V_EEDaS1Q_S1R_EUlS1Q_E_NS1_11comp_targetILNS1_3genE4ELNS1_11target_archE910ELNS1_3gpuE8ELNS1_3repE0EEENS1_30default_config_static_selectorELNS0_4arch9wavefront6targetE0EEEvS13_
	.p2align	8
	.type	_ZN7rocprim17ROCPRIM_400000_NS6detail17trampoline_kernelINS0_13select_configILj256ELj13ELNS0_17block_load_methodE3ELS4_3ELS4_3ELNS0_20block_scan_algorithmE0ELj4294967295EEENS1_25partition_config_selectorILNS1_17partition_subalgoE4EjNS0_10empty_typeEbEEZZNS1_14partition_implILS8_4ELb0ES6_15HIP_vector_typeIjLj2EENS0_17counting_iteratorIjlEEPS9_SG_NS0_5tupleIJPjSI_NS0_16reverse_iteratorISI_EEEEENSH_IJSG_SG_SG_EEES9_SI_JZNS1_25segmented_radix_sort_implINS0_14default_configELb0EPK12hip_bfloat16PSP_PKlPlN2at6native12_GLOBAL__N_18offset_tEEE10hipError_tPvRmT1_PNSt15iterator_traitsIS13_E10value_typeET2_T3_PNS14_IS19_E10value_typeET4_jRbjT5_S1F_jjP12ihipStream_tbEUljE_ZNSN_ISO_Lb0ESR_SS_SU_SV_SZ_EES10_S11_S12_S13_S17_S18_S19_S1C_S1D_jS1E_jS1F_S1F_jjS1H_bEUljE0_EEES10_S11_S12_S19_S1D_S1F_T6_T7_T9_mT8_S1H_bDpT10_ENKUlT_T0_E_clISt17integral_constantIbLb1EES1V_EEDaS1Q_S1R_EUlS1Q_E_NS1_11comp_targetILNS1_3genE4ELNS1_11target_archE910ELNS1_3gpuE8ELNS1_3repE0EEENS1_30default_config_static_selectorELNS0_4arch9wavefront6targetE0EEEvS13_,@function
_ZN7rocprim17ROCPRIM_400000_NS6detail17trampoline_kernelINS0_13select_configILj256ELj13ELNS0_17block_load_methodE3ELS4_3ELS4_3ELNS0_20block_scan_algorithmE0ELj4294967295EEENS1_25partition_config_selectorILNS1_17partition_subalgoE4EjNS0_10empty_typeEbEEZZNS1_14partition_implILS8_4ELb0ES6_15HIP_vector_typeIjLj2EENS0_17counting_iteratorIjlEEPS9_SG_NS0_5tupleIJPjSI_NS0_16reverse_iteratorISI_EEEEENSH_IJSG_SG_SG_EEES9_SI_JZNS1_25segmented_radix_sort_implINS0_14default_configELb0EPK12hip_bfloat16PSP_PKlPlN2at6native12_GLOBAL__N_18offset_tEEE10hipError_tPvRmT1_PNSt15iterator_traitsIS13_E10value_typeET2_T3_PNS14_IS19_E10value_typeET4_jRbjT5_S1F_jjP12ihipStream_tbEUljE_ZNSN_ISO_Lb0ESR_SS_SU_SV_SZ_EES10_S11_S12_S13_S17_S18_S19_S1C_S1D_jS1E_jS1F_S1F_jjS1H_bEUljE0_EEES10_S11_S12_S19_S1D_S1F_T6_T7_T9_mT8_S1H_bDpT10_ENKUlT_T0_E_clISt17integral_constantIbLb1EES1V_EEDaS1Q_S1R_EUlS1Q_E_NS1_11comp_targetILNS1_3genE4ELNS1_11target_archE910ELNS1_3gpuE8ELNS1_3repE0EEENS1_30default_config_static_selectorELNS0_4arch9wavefront6targetE0EEEvS13_: ; @_ZN7rocprim17ROCPRIM_400000_NS6detail17trampoline_kernelINS0_13select_configILj256ELj13ELNS0_17block_load_methodE3ELS4_3ELS4_3ELNS0_20block_scan_algorithmE0ELj4294967295EEENS1_25partition_config_selectorILNS1_17partition_subalgoE4EjNS0_10empty_typeEbEEZZNS1_14partition_implILS8_4ELb0ES6_15HIP_vector_typeIjLj2EENS0_17counting_iteratorIjlEEPS9_SG_NS0_5tupleIJPjSI_NS0_16reverse_iteratorISI_EEEEENSH_IJSG_SG_SG_EEES9_SI_JZNS1_25segmented_radix_sort_implINS0_14default_configELb0EPK12hip_bfloat16PSP_PKlPlN2at6native12_GLOBAL__N_18offset_tEEE10hipError_tPvRmT1_PNSt15iterator_traitsIS13_E10value_typeET2_T3_PNS14_IS19_E10value_typeET4_jRbjT5_S1F_jjP12ihipStream_tbEUljE_ZNSN_ISO_Lb0ESR_SS_SU_SV_SZ_EES10_S11_S12_S13_S17_S18_S19_S1C_S1D_jS1E_jS1F_S1F_jjS1H_bEUljE0_EEES10_S11_S12_S19_S1D_S1F_T6_T7_T9_mT8_S1H_bDpT10_ENKUlT_T0_E_clISt17integral_constantIbLb1EES1V_EEDaS1Q_S1R_EUlS1Q_E_NS1_11comp_targetILNS1_3genE4ELNS1_11target_archE910ELNS1_3gpuE8ELNS1_3repE0EEENS1_30default_config_static_selectorELNS0_4arch9wavefront6targetE0EEEvS13_
; %bb.0:
	.section	.rodata,"a",@progbits
	.p2align	6, 0x0
	.amdhsa_kernel _ZN7rocprim17ROCPRIM_400000_NS6detail17trampoline_kernelINS0_13select_configILj256ELj13ELNS0_17block_load_methodE3ELS4_3ELS4_3ELNS0_20block_scan_algorithmE0ELj4294967295EEENS1_25partition_config_selectorILNS1_17partition_subalgoE4EjNS0_10empty_typeEbEEZZNS1_14partition_implILS8_4ELb0ES6_15HIP_vector_typeIjLj2EENS0_17counting_iteratorIjlEEPS9_SG_NS0_5tupleIJPjSI_NS0_16reverse_iteratorISI_EEEEENSH_IJSG_SG_SG_EEES9_SI_JZNS1_25segmented_radix_sort_implINS0_14default_configELb0EPK12hip_bfloat16PSP_PKlPlN2at6native12_GLOBAL__N_18offset_tEEE10hipError_tPvRmT1_PNSt15iterator_traitsIS13_E10value_typeET2_T3_PNS14_IS19_E10value_typeET4_jRbjT5_S1F_jjP12ihipStream_tbEUljE_ZNSN_ISO_Lb0ESR_SS_SU_SV_SZ_EES10_S11_S12_S13_S17_S18_S19_S1C_S1D_jS1E_jS1F_S1F_jjS1H_bEUljE0_EEES10_S11_S12_S19_S1D_S1F_T6_T7_T9_mT8_S1H_bDpT10_ENKUlT_T0_E_clISt17integral_constantIbLb1EES1V_EEDaS1Q_S1R_EUlS1Q_E_NS1_11comp_targetILNS1_3genE4ELNS1_11target_archE910ELNS1_3gpuE8ELNS1_3repE0EEENS1_30default_config_static_selectorELNS0_4arch9wavefront6targetE0EEEvS13_
		.amdhsa_group_segment_fixed_size 0
		.amdhsa_private_segment_fixed_size 0
		.amdhsa_kernarg_size 184
		.amdhsa_user_sgpr_count 2
		.amdhsa_user_sgpr_dispatch_ptr 0
		.amdhsa_user_sgpr_queue_ptr 0
		.amdhsa_user_sgpr_kernarg_segment_ptr 1
		.amdhsa_user_sgpr_dispatch_id 0
		.amdhsa_user_sgpr_kernarg_preload_length 0
		.amdhsa_user_sgpr_kernarg_preload_offset 0
		.amdhsa_user_sgpr_private_segment_size 0
		.amdhsa_wavefront_size32 1
		.amdhsa_uses_dynamic_stack 0
		.amdhsa_enable_private_segment 0
		.amdhsa_system_sgpr_workgroup_id_x 1
		.amdhsa_system_sgpr_workgroup_id_y 0
		.amdhsa_system_sgpr_workgroup_id_z 0
		.amdhsa_system_sgpr_workgroup_info 0
		.amdhsa_system_vgpr_workitem_id 0
		.amdhsa_next_free_vgpr 1
		.amdhsa_next_free_sgpr 1
		.amdhsa_named_barrier_count 0
		.amdhsa_reserve_vcc 0
		.amdhsa_float_round_mode_32 0
		.amdhsa_float_round_mode_16_64 0
		.amdhsa_float_denorm_mode_32 3
		.amdhsa_float_denorm_mode_16_64 3
		.amdhsa_fp16_overflow 0
		.amdhsa_memory_ordered 1
		.amdhsa_forward_progress 1
		.amdhsa_inst_pref_size 0
		.amdhsa_round_robin_scheduling 0
		.amdhsa_exception_fp_ieee_invalid_op 0
		.amdhsa_exception_fp_denorm_src 0
		.amdhsa_exception_fp_ieee_div_zero 0
		.amdhsa_exception_fp_ieee_overflow 0
		.amdhsa_exception_fp_ieee_underflow 0
		.amdhsa_exception_fp_ieee_inexact 0
		.amdhsa_exception_int_div_zero 0
	.end_amdhsa_kernel
	.section	.text._ZN7rocprim17ROCPRIM_400000_NS6detail17trampoline_kernelINS0_13select_configILj256ELj13ELNS0_17block_load_methodE3ELS4_3ELS4_3ELNS0_20block_scan_algorithmE0ELj4294967295EEENS1_25partition_config_selectorILNS1_17partition_subalgoE4EjNS0_10empty_typeEbEEZZNS1_14partition_implILS8_4ELb0ES6_15HIP_vector_typeIjLj2EENS0_17counting_iteratorIjlEEPS9_SG_NS0_5tupleIJPjSI_NS0_16reverse_iteratorISI_EEEEENSH_IJSG_SG_SG_EEES9_SI_JZNS1_25segmented_radix_sort_implINS0_14default_configELb0EPK12hip_bfloat16PSP_PKlPlN2at6native12_GLOBAL__N_18offset_tEEE10hipError_tPvRmT1_PNSt15iterator_traitsIS13_E10value_typeET2_T3_PNS14_IS19_E10value_typeET4_jRbjT5_S1F_jjP12ihipStream_tbEUljE_ZNSN_ISO_Lb0ESR_SS_SU_SV_SZ_EES10_S11_S12_S13_S17_S18_S19_S1C_S1D_jS1E_jS1F_S1F_jjS1H_bEUljE0_EEES10_S11_S12_S19_S1D_S1F_T6_T7_T9_mT8_S1H_bDpT10_ENKUlT_T0_E_clISt17integral_constantIbLb1EES1V_EEDaS1Q_S1R_EUlS1Q_E_NS1_11comp_targetILNS1_3genE4ELNS1_11target_archE910ELNS1_3gpuE8ELNS1_3repE0EEENS1_30default_config_static_selectorELNS0_4arch9wavefront6targetE0EEEvS13_,"axG",@progbits,_ZN7rocprim17ROCPRIM_400000_NS6detail17trampoline_kernelINS0_13select_configILj256ELj13ELNS0_17block_load_methodE3ELS4_3ELS4_3ELNS0_20block_scan_algorithmE0ELj4294967295EEENS1_25partition_config_selectorILNS1_17partition_subalgoE4EjNS0_10empty_typeEbEEZZNS1_14partition_implILS8_4ELb0ES6_15HIP_vector_typeIjLj2EENS0_17counting_iteratorIjlEEPS9_SG_NS0_5tupleIJPjSI_NS0_16reverse_iteratorISI_EEEEENSH_IJSG_SG_SG_EEES9_SI_JZNS1_25segmented_radix_sort_implINS0_14default_configELb0EPK12hip_bfloat16PSP_PKlPlN2at6native12_GLOBAL__N_18offset_tEEE10hipError_tPvRmT1_PNSt15iterator_traitsIS13_E10value_typeET2_T3_PNS14_IS19_E10value_typeET4_jRbjT5_S1F_jjP12ihipStream_tbEUljE_ZNSN_ISO_Lb0ESR_SS_SU_SV_SZ_EES10_S11_S12_S13_S17_S18_S19_S1C_S1D_jS1E_jS1F_S1F_jjS1H_bEUljE0_EEES10_S11_S12_S19_S1D_S1F_T6_T7_T9_mT8_S1H_bDpT10_ENKUlT_T0_E_clISt17integral_constantIbLb1EES1V_EEDaS1Q_S1R_EUlS1Q_E_NS1_11comp_targetILNS1_3genE4ELNS1_11target_archE910ELNS1_3gpuE8ELNS1_3repE0EEENS1_30default_config_static_selectorELNS0_4arch9wavefront6targetE0EEEvS13_,comdat
.Lfunc_end1985:
	.size	_ZN7rocprim17ROCPRIM_400000_NS6detail17trampoline_kernelINS0_13select_configILj256ELj13ELNS0_17block_load_methodE3ELS4_3ELS4_3ELNS0_20block_scan_algorithmE0ELj4294967295EEENS1_25partition_config_selectorILNS1_17partition_subalgoE4EjNS0_10empty_typeEbEEZZNS1_14partition_implILS8_4ELb0ES6_15HIP_vector_typeIjLj2EENS0_17counting_iteratorIjlEEPS9_SG_NS0_5tupleIJPjSI_NS0_16reverse_iteratorISI_EEEEENSH_IJSG_SG_SG_EEES9_SI_JZNS1_25segmented_radix_sort_implINS0_14default_configELb0EPK12hip_bfloat16PSP_PKlPlN2at6native12_GLOBAL__N_18offset_tEEE10hipError_tPvRmT1_PNSt15iterator_traitsIS13_E10value_typeET2_T3_PNS14_IS19_E10value_typeET4_jRbjT5_S1F_jjP12ihipStream_tbEUljE_ZNSN_ISO_Lb0ESR_SS_SU_SV_SZ_EES10_S11_S12_S13_S17_S18_S19_S1C_S1D_jS1E_jS1F_S1F_jjS1H_bEUljE0_EEES10_S11_S12_S19_S1D_S1F_T6_T7_T9_mT8_S1H_bDpT10_ENKUlT_T0_E_clISt17integral_constantIbLb1EES1V_EEDaS1Q_S1R_EUlS1Q_E_NS1_11comp_targetILNS1_3genE4ELNS1_11target_archE910ELNS1_3gpuE8ELNS1_3repE0EEENS1_30default_config_static_selectorELNS0_4arch9wavefront6targetE0EEEvS13_, .Lfunc_end1985-_ZN7rocprim17ROCPRIM_400000_NS6detail17trampoline_kernelINS0_13select_configILj256ELj13ELNS0_17block_load_methodE3ELS4_3ELS4_3ELNS0_20block_scan_algorithmE0ELj4294967295EEENS1_25partition_config_selectorILNS1_17partition_subalgoE4EjNS0_10empty_typeEbEEZZNS1_14partition_implILS8_4ELb0ES6_15HIP_vector_typeIjLj2EENS0_17counting_iteratorIjlEEPS9_SG_NS0_5tupleIJPjSI_NS0_16reverse_iteratorISI_EEEEENSH_IJSG_SG_SG_EEES9_SI_JZNS1_25segmented_radix_sort_implINS0_14default_configELb0EPK12hip_bfloat16PSP_PKlPlN2at6native12_GLOBAL__N_18offset_tEEE10hipError_tPvRmT1_PNSt15iterator_traitsIS13_E10value_typeET2_T3_PNS14_IS19_E10value_typeET4_jRbjT5_S1F_jjP12ihipStream_tbEUljE_ZNSN_ISO_Lb0ESR_SS_SU_SV_SZ_EES10_S11_S12_S13_S17_S18_S19_S1C_S1D_jS1E_jS1F_S1F_jjS1H_bEUljE0_EEES10_S11_S12_S19_S1D_S1F_T6_T7_T9_mT8_S1H_bDpT10_ENKUlT_T0_E_clISt17integral_constantIbLb1EES1V_EEDaS1Q_S1R_EUlS1Q_E_NS1_11comp_targetILNS1_3genE4ELNS1_11target_archE910ELNS1_3gpuE8ELNS1_3repE0EEENS1_30default_config_static_selectorELNS0_4arch9wavefront6targetE0EEEvS13_
                                        ; -- End function
	.set _ZN7rocprim17ROCPRIM_400000_NS6detail17trampoline_kernelINS0_13select_configILj256ELj13ELNS0_17block_load_methodE3ELS4_3ELS4_3ELNS0_20block_scan_algorithmE0ELj4294967295EEENS1_25partition_config_selectorILNS1_17partition_subalgoE4EjNS0_10empty_typeEbEEZZNS1_14partition_implILS8_4ELb0ES6_15HIP_vector_typeIjLj2EENS0_17counting_iteratorIjlEEPS9_SG_NS0_5tupleIJPjSI_NS0_16reverse_iteratorISI_EEEEENSH_IJSG_SG_SG_EEES9_SI_JZNS1_25segmented_radix_sort_implINS0_14default_configELb0EPK12hip_bfloat16PSP_PKlPlN2at6native12_GLOBAL__N_18offset_tEEE10hipError_tPvRmT1_PNSt15iterator_traitsIS13_E10value_typeET2_T3_PNS14_IS19_E10value_typeET4_jRbjT5_S1F_jjP12ihipStream_tbEUljE_ZNSN_ISO_Lb0ESR_SS_SU_SV_SZ_EES10_S11_S12_S13_S17_S18_S19_S1C_S1D_jS1E_jS1F_S1F_jjS1H_bEUljE0_EEES10_S11_S12_S19_S1D_S1F_T6_T7_T9_mT8_S1H_bDpT10_ENKUlT_T0_E_clISt17integral_constantIbLb1EES1V_EEDaS1Q_S1R_EUlS1Q_E_NS1_11comp_targetILNS1_3genE4ELNS1_11target_archE910ELNS1_3gpuE8ELNS1_3repE0EEENS1_30default_config_static_selectorELNS0_4arch9wavefront6targetE0EEEvS13_.num_vgpr, 0
	.set _ZN7rocprim17ROCPRIM_400000_NS6detail17trampoline_kernelINS0_13select_configILj256ELj13ELNS0_17block_load_methodE3ELS4_3ELS4_3ELNS0_20block_scan_algorithmE0ELj4294967295EEENS1_25partition_config_selectorILNS1_17partition_subalgoE4EjNS0_10empty_typeEbEEZZNS1_14partition_implILS8_4ELb0ES6_15HIP_vector_typeIjLj2EENS0_17counting_iteratorIjlEEPS9_SG_NS0_5tupleIJPjSI_NS0_16reverse_iteratorISI_EEEEENSH_IJSG_SG_SG_EEES9_SI_JZNS1_25segmented_radix_sort_implINS0_14default_configELb0EPK12hip_bfloat16PSP_PKlPlN2at6native12_GLOBAL__N_18offset_tEEE10hipError_tPvRmT1_PNSt15iterator_traitsIS13_E10value_typeET2_T3_PNS14_IS19_E10value_typeET4_jRbjT5_S1F_jjP12ihipStream_tbEUljE_ZNSN_ISO_Lb0ESR_SS_SU_SV_SZ_EES10_S11_S12_S13_S17_S18_S19_S1C_S1D_jS1E_jS1F_S1F_jjS1H_bEUljE0_EEES10_S11_S12_S19_S1D_S1F_T6_T7_T9_mT8_S1H_bDpT10_ENKUlT_T0_E_clISt17integral_constantIbLb1EES1V_EEDaS1Q_S1R_EUlS1Q_E_NS1_11comp_targetILNS1_3genE4ELNS1_11target_archE910ELNS1_3gpuE8ELNS1_3repE0EEENS1_30default_config_static_selectorELNS0_4arch9wavefront6targetE0EEEvS13_.num_agpr, 0
	.set _ZN7rocprim17ROCPRIM_400000_NS6detail17trampoline_kernelINS0_13select_configILj256ELj13ELNS0_17block_load_methodE3ELS4_3ELS4_3ELNS0_20block_scan_algorithmE0ELj4294967295EEENS1_25partition_config_selectorILNS1_17partition_subalgoE4EjNS0_10empty_typeEbEEZZNS1_14partition_implILS8_4ELb0ES6_15HIP_vector_typeIjLj2EENS0_17counting_iteratorIjlEEPS9_SG_NS0_5tupleIJPjSI_NS0_16reverse_iteratorISI_EEEEENSH_IJSG_SG_SG_EEES9_SI_JZNS1_25segmented_radix_sort_implINS0_14default_configELb0EPK12hip_bfloat16PSP_PKlPlN2at6native12_GLOBAL__N_18offset_tEEE10hipError_tPvRmT1_PNSt15iterator_traitsIS13_E10value_typeET2_T3_PNS14_IS19_E10value_typeET4_jRbjT5_S1F_jjP12ihipStream_tbEUljE_ZNSN_ISO_Lb0ESR_SS_SU_SV_SZ_EES10_S11_S12_S13_S17_S18_S19_S1C_S1D_jS1E_jS1F_S1F_jjS1H_bEUljE0_EEES10_S11_S12_S19_S1D_S1F_T6_T7_T9_mT8_S1H_bDpT10_ENKUlT_T0_E_clISt17integral_constantIbLb1EES1V_EEDaS1Q_S1R_EUlS1Q_E_NS1_11comp_targetILNS1_3genE4ELNS1_11target_archE910ELNS1_3gpuE8ELNS1_3repE0EEENS1_30default_config_static_selectorELNS0_4arch9wavefront6targetE0EEEvS13_.numbered_sgpr, 0
	.set _ZN7rocprim17ROCPRIM_400000_NS6detail17trampoline_kernelINS0_13select_configILj256ELj13ELNS0_17block_load_methodE3ELS4_3ELS4_3ELNS0_20block_scan_algorithmE0ELj4294967295EEENS1_25partition_config_selectorILNS1_17partition_subalgoE4EjNS0_10empty_typeEbEEZZNS1_14partition_implILS8_4ELb0ES6_15HIP_vector_typeIjLj2EENS0_17counting_iteratorIjlEEPS9_SG_NS0_5tupleIJPjSI_NS0_16reverse_iteratorISI_EEEEENSH_IJSG_SG_SG_EEES9_SI_JZNS1_25segmented_radix_sort_implINS0_14default_configELb0EPK12hip_bfloat16PSP_PKlPlN2at6native12_GLOBAL__N_18offset_tEEE10hipError_tPvRmT1_PNSt15iterator_traitsIS13_E10value_typeET2_T3_PNS14_IS19_E10value_typeET4_jRbjT5_S1F_jjP12ihipStream_tbEUljE_ZNSN_ISO_Lb0ESR_SS_SU_SV_SZ_EES10_S11_S12_S13_S17_S18_S19_S1C_S1D_jS1E_jS1F_S1F_jjS1H_bEUljE0_EEES10_S11_S12_S19_S1D_S1F_T6_T7_T9_mT8_S1H_bDpT10_ENKUlT_T0_E_clISt17integral_constantIbLb1EES1V_EEDaS1Q_S1R_EUlS1Q_E_NS1_11comp_targetILNS1_3genE4ELNS1_11target_archE910ELNS1_3gpuE8ELNS1_3repE0EEENS1_30default_config_static_selectorELNS0_4arch9wavefront6targetE0EEEvS13_.num_named_barrier, 0
	.set _ZN7rocprim17ROCPRIM_400000_NS6detail17trampoline_kernelINS0_13select_configILj256ELj13ELNS0_17block_load_methodE3ELS4_3ELS4_3ELNS0_20block_scan_algorithmE0ELj4294967295EEENS1_25partition_config_selectorILNS1_17partition_subalgoE4EjNS0_10empty_typeEbEEZZNS1_14partition_implILS8_4ELb0ES6_15HIP_vector_typeIjLj2EENS0_17counting_iteratorIjlEEPS9_SG_NS0_5tupleIJPjSI_NS0_16reverse_iteratorISI_EEEEENSH_IJSG_SG_SG_EEES9_SI_JZNS1_25segmented_radix_sort_implINS0_14default_configELb0EPK12hip_bfloat16PSP_PKlPlN2at6native12_GLOBAL__N_18offset_tEEE10hipError_tPvRmT1_PNSt15iterator_traitsIS13_E10value_typeET2_T3_PNS14_IS19_E10value_typeET4_jRbjT5_S1F_jjP12ihipStream_tbEUljE_ZNSN_ISO_Lb0ESR_SS_SU_SV_SZ_EES10_S11_S12_S13_S17_S18_S19_S1C_S1D_jS1E_jS1F_S1F_jjS1H_bEUljE0_EEES10_S11_S12_S19_S1D_S1F_T6_T7_T9_mT8_S1H_bDpT10_ENKUlT_T0_E_clISt17integral_constantIbLb1EES1V_EEDaS1Q_S1R_EUlS1Q_E_NS1_11comp_targetILNS1_3genE4ELNS1_11target_archE910ELNS1_3gpuE8ELNS1_3repE0EEENS1_30default_config_static_selectorELNS0_4arch9wavefront6targetE0EEEvS13_.private_seg_size, 0
	.set _ZN7rocprim17ROCPRIM_400000_NS6detail17trampoline_kernelINS0_13select_configILj256ELj13ELNS0_17block_load_methodE3ELS4_3ELS4_3ELNS0_20block_scan_algorithmE0ELj4294967295EEENS1_25partition_config_selectorILNS1_17partition_subalgoE4EjNS0_10empty_typeEbEEZZNS1_14partition_implILS8_4ELb0ES6_15HIP_vector_typeIjLj2EENS0_17counting_iteratorIjlEEPS9_SG_NS0_5tupleIJPjSI_NS0_16reverse_iteratorISI_EEEEENSH_IJSG_SG_SG_EEES9_SI_JZNS1_25segmented_radix_sort_implINS0_14default_configELb0EPK12hip_bfloat16PSP_PKlPlN2at6native12_GLOBAL__N_18offset_tEEE10hipError_tPvRmT1_PNSt15iterator_traitsIS13_E10value_typeET2_T3_PNS14_IS19_E10value_typeET4_jRbjT5_S1F_jjP12ihipStream_tbEUljE_ZNSN_ISO_Lb0ESR_SS_SU_SV_SZ_EES10_S11_S12_S13_S17_S18_S19_S1C_S1D_jS1E_jS1F_S1F_jjS1H_bEUljE0_EEES10_S11_S12_S19_S1D_S1F_T6_T7_T9_mT8_S1H_bDpT10_ENKUlT_T0_E_clISt17integral_constantIbLb1EES1V_EEDaS1Q_S1R_EUlS1Q_E_NS1_11comp_targetILNS1_3genE4ELNS1_11target_archE910ELNS1_3gpuE8ELNS1_3repE0EEENS1_30default_config_static_selectorELNS0_4arch9wavefront6targetE0EEEvS13_.uses_vcc, 0
	.set _ZN7rocprim17ROCPRIM_400000_NS6detail17trampoline_kernelINS0_13select_configILj256ELj13ELNS0_17block_load_methodE3ELS4_3ELS4_3ELNS0_20block_scan_algorithmE0ELj4294967295EEENS1_25partition_config_selectorILNS1_17partition_subalgoE4EjNS0_10empty_typeEbEEZZNS1_14partition_implILS8_4ELb0ES6_15HIP_vector_typeIjLj2EENS0_17counting_iteratorIjlEEPS9_SG_NS0_5tupleIJPjSI_NS0_16reverse_iteratorISI_EEEEENSH_IJSG_SG_SG_EEES9_SI_JZNS1_25segmented_radix_sort_implINS0_14default_configELb0EPK12hip_bfloat16PSP_PKlPlN2at6native12_GLOBAL__N_18offset_tEEE10hipError_tPvRmT1_PNSt15iterator_traitsIS13_E10value_typeET2_T3_PNS14_IS19_E10value_typeET4_jRbjT5_S1F_jjP12ihipStream_tbEUljE_ZNSN_ISO_Lb0ESR_SS_SU_SV_SZ_EES10_S11_S12_S13_S17_S18_S19_S1C_S1D_jS1E_jS1F_S1F_jjS1H_bEUljE0_EEES10_S11_S12_S19_S1D_S1F_T6_T7_T9_mT8_S1H_bDpT10_ENKUlT_T0_E_clISt17integral_constantIbLb1EES1V_EEDaS1Q_S1R_EUlS1Q_E_NS1_11comp_targetILNS1_3genE4ELNS1_11target_archE910ELNS1_3gpuE8ELNS1_3repE0EEENS1_30default_config_static_selectorELNS0_4arch9wavefront6targetE0EEEvS13_.uses_flat_scratch, 0
	.set _ZN7rocprim17ROCPRIM_400000_NS6detail17trampoline_kernelINS0_13select_configILj256ELj13ELNS0_17block_load_methodE3ELS4_3ELS4_3ELNS0_20block_scan_algorithmE0ELj4294967295EEENS1_25partition_config_selectorILNS1_17partition_subalgoE4EjNS0_10empty_typeEbEEZZNS1_14partition_implILS8_4ELb0ES6_15HIP_vector_typeIjLj2EENS0_17counting_iteratorIjlEEPS9_SG_NS0_5tupleIJPjSI_NS0_16reverse_iteratorISI_EEEEENSH_IJSG_SG_SG_EEES9_SI_JZNS1_25segmented_radix_sort_implINS0_14default_configELb0EPK12hip_bfloat16PSP_PKlPlN2at6native12_GLOBAL__N_18offset_tEEE10hipError_tPvRmT1_PNSt15iterator_traitsIS13_E10value_typeET2_T3_PNS14_IS19_E10value_typeET4_jRbjT5_S1F_jjP12ihipStream_tbEUljE_ZNSN_ISO_Lb0ESR_SS_SU_SV_SZ_EES10_S11_S12_S13_S17_S18_S19_S1C_S1D_jS1E_jS1F_S1F_jjS1H_bEUljE0_EEES10_S11_S12_S19_S1D_S1F_T6_T7_T9_mT8_S1H_bDpT10_ENKUlT_T0_E_clISt17integral_constantIbLb1EES1V_EEDaS1Q_S1R_EUlS1Q_E_NS1_11comp_targetILNS1_3genE4ELNS1_11target_archE910ELNS1_3gpuE8ELNS1_3repE0EEENS1_30default_config_static_selectorELNS0_4arch9wavefront6targetE0EEEvS13_.has_dyn_sized_stack, 0
	.set _ZN7rocprim17ROCPRIM_400000_NS6detail17trampoline_kernelINS0_13select_configILj256ELj13ELNS0_17block_load_methodE3ELS4_3ELS4_3ELNS0_20block_scan_algorithmE0ELj4294967295EEENS1_25partition_config_selectorILNS1_17partition_subalgoE4EjNS0_10empty_typeEbEEZZNS1_14partition_implILS8_4ELb0ES6_15HIP_vector_typeIjLj2EENS0_17counting_iteratorIjlEEPS9_SG_NS0_5tupleIJPjSI_NS0_16reverse_iteratorISI_EEEEENSH_IJSG_SG_SG_EEES9_SI_JZNS1_25segmented_radix_sort_implINS0_14default_configELb0EPK12hip_bfloat16PSP_PKlPlN2at6native12_GLOBAL__N_18offset_tEEE10hipError_tPvRmT1_PNSt15iterator_traitsIS13_E10value_typeET2_T3_PNS14_IS19_E10value_typeET4_jRbjT5_S1F_jjP12ihipStream_tbEUljE_ZNSN_ISO_Lb0ESR_SS_SU_SV_SZ_EES10_S11_S12_S13_S17_S18_S19_S1C_S1D_jS1E_jS1F_S1F_jjS1H_bEUljE0_EEES10_S11_S12_S19_S1D_S1F_T6_T7_T9_mT8_S1H_bDpT10_ENKUlT_T0_E_clISt17integral_constantIbLb1EES1V_EEDaS1Q_S1R_EUlS1Q_E_NS1_11comp_targetILNS1_3genE4ELNS1_11target_archE910ELNS1_3gpuE8ELNS1_3repE0EEENS1_30default_config_static_selectorELNS0_4arch9wavefront6targetE0EEEvS13_.has_recursion, 0
	.set _ZN7rocprim17ROCPRIM_400000_NS6detail17trampoline_kernelINS0_13select_configILj256ELj13ELNS0_17block_load_methodE3ELS4_3ELS4_3ELNS0_20block_scan_algorithmE0ELj4294967295EEENS1_25partition_config_selectorILNS1_17partition_subalgoE4EjNS0_10empty_typeEbEEZZNS1_14partition_implILS8_4ELb0ES6_15HIP_vector_typeIjLj2EENS0_17counting_iteratorIjlEEPS9_SG_NS0_5tupleIJPjSI_NS0_16reverse_iteratorISI_EEEEENSH_IJSG_SG_SG_EEES9_SI_JZNS1_25segmented_radix_sort_implINS0_14default_configELb0EPK12hip_bfloat16PSP_PKlPlN2at6native12_GLOBAL__N_18offset_tEEE10hipError_tPvRmT1_PNSt15iterator_traitsIS13_E10value_typeET2_T3_PNS14_IS19_E10value_typeET4_jRbjT5_S1F_jjP12ihipStream_tbEUljE_ZNSN_ISO_Lb0ESR_SS_SU_SV_SZ_EES10_S11_S12_S13_S17_S18_S19_S1C_S1D_jS1E_jS1F_S1F_jjS1H_bEUljE0_EEES10_S11_S12_S19_S1D_S1F_T6_T7_T9_mT8_S1H_bDpT10_ENKUlT_T0_E_clISt17integral_constantIbLb1EES1V_EEDaS1Q_S1R_EUlS1Q_E_NS1_11comp_targetILNS1_3genE4ELNS1_11target_archE910ELNS1_3gpuE8ELNS1_3repE0EEENS1_30default_config_static_selectorELNS0_4arch9wavefront6targetE0EEEvS13_.has_indirect_call, 0
	.section	.AMDGPU.csdata,"",@progbits
; Kernel info:
; codeLenInByte = 0
; TotalNumSgprs: 0
; NumVgprs: 0
; ScratchSize: 0
; MemoryBound: 0
; FloatMode: 240
; IeeeMode: 1
; LDSByteSize: 0 bytes/workgroup (compile time only)
; SGPRBlocks: 0
; VGPRBlocks: 0
; NumSGPRsForWavesPerEU: 1
; NumVGPRsForWavesPerEU: 1
; NamedBarCnt: 0
; Occupancy: 16
; WaveLimiterHint : 0
; COMPUTE_PGM_RSRC2:SCRATCH_EN: 0
; COMPUTE_PGM_RSRC2:USER_SGPR: 2
; COMPUTE_PGM_RSRC2:TRAP_HANDLER: 0
; COMPUTE_PGM_RSRC2:TGID_X_EN: 1
; COMPUTE_PGM_RSRC2:TGID_Y_EN: 0
; COMPUTE_PGM_RSRC2:TGID_Z_EN: 0
; COMPUTE_PGM_RSRC2:TIDIG_COMP_CNT: 0
	.section	.text._ZN7rocprim17ROCPRIM_400000_NS6detail17trampoline_kernelINS0_13select_configILj256ELj13ELNS0_17block_load_methodE3ELS4_3ELS4_3ELNS0_20block_scan_algorithmE0ELj4294967295EEENS1_25partition_config_selectorILNS1_17partition_subalgoE4EjNS0_10empty_typeEbEEZZNS1_14partition_implILS8_4ELb0ES6_15HIP_vector_typeIjLj2EENS0_17counting_iteratorIjlEEPS9_SG_NS0_5tupleIJPjSI_NS0_16reverse_iteratorISI_EEEEENSH_IJSG_SG_SG_EEES9_SI_JZNS1_25segmented_radix_sort_implINS0_14default_configELb0EPK12hip_bfloat16PSP_PKlPlN2at6native12_GLOBAL__N_18offset_tEEE10hipError_tPvRmT1_PNSt15iterator_traitsIS13_E10value_typeET2_T3_PNS14_IS19_E10value_typeET4_jRbjT5_S1F_jjP12ihipStream_tbEUljE_ZNSN_ISO_Lb0ESR_SS_SU_SV_SZ_EES10_S11_S12_S13_S17_S18_S19_S1C_S1D_jS1E_jS1F_S1F_jjS1H_bEUljE0_EEES10_S11_S12_S19_S1D_S1F_T6_T7_T9_mT8_S1H_bDpT10_ENKUlT_T0_E_clISt17integral_constantIbLb1EES1V_EEDaS1Q_S1R_EUlS1Q_E_NS1_11comp_targetILNS1_3genE3ELNS1_11target_archE908ELNS1_3gpuE7ELNS1_3repE0EEENS1_30default_config_static_selectorELNS0_4arch9wavefront6targetE0EEEvS13_,"axG",@progbits,_ZN7rocprim17ROCPRIM_400000_NS6detail17trampoline_kernelINS0_13select_configILj256ELj13ELNS0_17block_load_methodE3ELS4_3ELS4_3ELNS0_20block_scan_algorithmE0ELj4294967295EEENS1_25partition_config_selectorILNS1_17partition_subalgoE4EjNS0_10empty_typeEbEEZZNS1_14partition_implILS8_4ELb0ES6_15HIP_vector_typeIjLj2EENS0_17counting_iteratorIjlEEPS9_SG_NS0_5tupleIJPjSI_NS0_16reverse_iteratorISI_EEEEENSH_IJSG_SG_SG_EEES9_SI_JZNS1_25segmented_radix_sort_implINS0_14default_configELb0EPK12hip_bfloat16PSP_PKlPlN2at6native12_GLOBAL__N_18offset_tEEE10hipError_tPvRmT1_PNSt15iterator_traitsIS13_E10value_typeET2_T3_PNS14_IS19_E10value_typeET4_jRbjT5_S1F_jjP12ihipStream_tbEUljE_ZNSN_ISO_Lb0ESR_SS_SU_SV_SZ_EES10_S11_S12_S13_S17_S18_S19_S1C_S1D_jS1E_jS1F_S1F_jjS1H_bEUljE0_EEES10_S11_S12_S19_S1D_S1F_T6_T7_T9_mT8_S1H_bDpT10_ENKUlT_T0_E_clISt17integral_constantIbLb1EES1V_EEDaS1Q_S1R_EUlS1Q_E_NS1_11comp_targetILNS1_3genE3ELNS1_11target_archE908ELNS1_3gpuE7ELNS1_3repE0EEENS1_30default_config_static_selectorELNS0_4arch9wavefront6targetE0EEEvS13_,comdat
	.globl	_ZN7rocprim17ROCPRIM_400000_NS6detail17trampoline_kernelINS0_13select_configILj256ELj13ELNS0_17block_load_methodE3ELS4_3ELS4_3ELNS0_20block_scan_algorithmE0ELj4294967295EEENS1_25partition_config_selectorILNS1_17partition_subalgoE4EjNS0_10empty_typeEbEEZZNS1_14partition_implILS8_4ELb0ES6_15HIP_vector_typeIjLj2EENS0_17counting_iteratorIjlEEPS9_SG_NS0_5tupleIJPjSI_NS0_16reverse_iteratorISI_EEEEENSH_IJSG_SG_SG_EEES9_SI_JZNS1_25segmented_radix_sort_implINS0_14default_configELb0EPK12hip_bfloat16PSP_PKlPlN2at6native12_GLOBAL__N_18offset_tEEE10hipError_tPvRmT1_PNSt15iterator_traitsIS13_E10value_typeET2_T3_PNS14_IS19_E10value_typeET4_jRbjT5_S1F_jjP12ihipStream_tbEUljE_ZNSN_ISO_Lb0ESR_SS_SU_SV_SZ_EES10_S11_S12_S13_S17_S18_S19_S1C_S1D_jS1E_jS1F_S1F_jjS1H_bEUljE0_EEES10_S11_S12_S19_S1D_S1F_T6_T7_T9_mT8_S1H_bDpT10_ENKUlT_T0_E_clISt17integral_constantIbLb1EES1V_EEDaS1Q_S1R_EUlS1Q_E_NS1_11comp_targetILNS1_3genE3ELNS1_11target_archE908ELNS1_3gpuE7ELNS1_3repE0EEENS1_30default_config_static_selectorELNS0_4arch9wavefront6targetE0EEEvS13_ ; -- Begin function _ZN7rocprim17ROCPRIM_400000_NS6detail17trampoline_kernelINS0_13select_configILj256ELj13ELNS0_17block_load_methodE3ELS4_3ELS4_3ELNS0_20block_scan_algorithmE0ELj4294967295EEENS1_25partition_config_selectorILNS1_17partition_subalgoE4EjNS0_10empty_typeEbEEZZNS1_14partition_implILS8_4ELb0ES6_15HIP_vector_typeIjLj2EENS0_17counting_iteratorIjlEEPS9_SG_NS0_5tupleIJPjSI_NS0_16reverse_iteratorISI_EEEEENSH_IJSG_SG_SG_EEES9_SI_JZNS1_25segmented_radix_sort_implINS0_14default_configELb0EPK12hip_bfloat16PSP_PKlPlN2at6native12_GLOBAL__N_18offset_tEEE10hipError_tPvRmT1_PNSt15iterator_traitsIS13_E10value_typeET2_T3_PNS14_IS19_E10value_typeET4_jRbjT5_S1F_jjP12ihipStream_tbEUljE_ZNSN_ISO_Lb0ESR_SS_SU_SV_SZ_EES10_S11_S12_S13_S17_S18_S19_S1C_S1D_jS1E_jS1F_S1F_jjS1H_bEUljE0_EEES10_S11_S12_S19_S1D_S1F_T6_T7_T9_mT8_S1H_bDpT10_ENKUlT_T0_E_clISt17integral_constantIbLb1EES1V_EEDaS1Q_S1R_EUlS1Q_E_NS1_11comp_targetILNS1_3genE3ELNS1_11target_archE908ELNS1_3gpuE7ELNS1_3repE0EEENS1_30default_config_static_selectorELNS0_4arch9wavefront6targetE0EEEvS13_
	.p2align	8
	.type	_ZN7rocprim17ROCPRIM_400000_NS6detail17trampoline_kernelINS0_13select_configILj256ELj13ELNS0_17block_load_methodE3ELS4_3ELS4_3ELNS0_20block_scan_algorithmE0ELj4294967295EEENS1_25partition_config_selectorILNS1_17partition_subalgoE4EjNS0_10empty_typeEbEEZZNS1_14partition_implILS8_4ELb0ES6_15HIP_vector_typeIjLj2EENS0_17counting_iteratorIjlEEPS9_SG_NS0_5tupleIJPjSI_NS0_16reverse_iteratorISI_EEEEENSH_IJSG_SG_SG_EEES9_SI_JZNS1_25segmented_radix_sort_implINS0_14default_configELb0EPK12hip_bfloat16PSP_PKlPlN2at6native12_GLOBAL__N_18offset_tEEE10hipError_tPvRmT1_PNSt15iterator_traitsIS13_E10value_typeET2_T3_PNS14_IS19_E10value_typeET4_jRbjT5_S1F_jjP12ihipStream_tbEUljE_ZNSN_ISO_Lb0ESR_SS_SU_SV_SZ_EES10_S11_S12_S13_S17_S18_S19_S1C_S1D_jS1E_jS1F_S1F_jjS1H_bEUljE0_EEES10_S11_S12_S19_S1D_S1F_T6_T7_T9_mT8_S1H_bDpT10_ENKUlT_T0_E_clISt17integral_constantIbLb1EES1V_EEDaS1Q_S1R_EUlS1Q_E_NS1_11comp_targetILNS1_3genE3ELNS1_11target_archE908ELNS1_3gpuE7ELNS1_3repE0EEENS1_30default_config_static_selectorELNS0_4arch9wavefront6targetE0EEEvS13_,@function
_ZN7rocprim17ROCPRIM_400000_NS6detail17trampoline_kernelINS0_13select_configILj256ELj13ELNS0_17block_load_methodE3ELS4_3ELS4_3ELNS0_20block_scan_algorithmE0ELj4294967295EEENS1_25partition_config_selectorILNS1_17partition_subalgoE4EjNS0_10empty_typeEbEEZZNS1_14partition_implILS8_4ELb0ES6_15HIP_vector_typeIjLj2EENS0_17counting_iteratorIjlEEPS9_SG_NS0_5tupleIJPjSI_NS0_16reverse_iteratorISI_EEEEENSH_IJSG_SG_SG_EEES9_SI_JZNS1_25segmented_radix_sort_implINS0_14default_configELb0EPK12hip_bfloat16PSP_PKlPlN2at6native12_GLOBAL__N_18offset_tEEE10hipError_tPvRmT1_PNSt15iterator_traitsIS13_E10value_typeET2_T3_PNS14_IS19_E10value_typeET4_jRbjT5_S1F_jjP12ihipStream_tbEUljE_ZNSN_ISO_Lb0ESR_SS_SU_SV_SZ_EES10_S11_S12_S13_S17_S18_S19_S1C_S1D_jS1E_jS1F_S1F_jjS1H_bEUljE0_EEES10_S11_S12_S19_S1D_S1F_T6_T7_T9_mT8_S1H_bDpT10_ENKUlT_T0_E_clISt17integral_constantIbLb1EES1V_EEDaS1Q_S1R_EUlS1Q_E_NS1_11comp_targetILNS1_3genE3ELNS1_11target_archE908ELNS1_3gpuE7ELNS1_3repE0EEENS1_30default_config_static_selectorELNS0_4arch9wavefront6targetE0EEEvS13_: ; @_ZN7rocprim17ROCPRIM_400000_NS6detail17trampoline_kernelINS0_13select_configILj256ELj13ELNS0_17block_load_methodE3ELS4_3ELS4_3ELNS0_20block_scan_algorithmE0ELj4294967295EEENS1_25partition_config_selectorILNS1_17partition_subalgoE4EjNS0_10empty_typeEbEEZZNS1_14partition_implILS8_4ELb0ES6_15HIP_vector_typeIjLj2EENS0_17counting_iteratorIjlEEPS9_SG_NS0_5tupleIJPjSI_NS0_16reverse_iteratorISI_EEEEENSH_IJSG_SG_SG_EEES9_SI_JZNS1_25segmented_radix_sort_implINS0_14default_configELb0EPK12hip_bfloat16PSP_PKlPlN2at6native12_GLOBAL__N_18offset_tEEE10hipError_tPvRmT1_PNSt15iterator_traitsIS13_E10value_typeET2_T3_PNS14_IS19_E10value_typeET4_jRbjT5_S1F_jjP12ihipStream_tbEUljE_ZNSN_ISO_Lb0ESR_SS_SU_SV_SZ_EES10_S11_S12_S13_S17_S18_S19_S1C_S1D_jS1E_jS1F_S1F_jjS1H_bEUljE0_EEES10_S11_S12_S19_S1D_S1F_T6_T7_T9_mT8_S1H_bDpT10_ENKUlT_T0_E_clISt17integral_constantIbLb1EES1V_EEDaS1Q_S1R_EUlS1Q_E_NS1_11comp_targetILNS1_3genE3ELNS1_11target_archE908ELNS1_3gpuE7ELNS1_3repE0EEENS1_30default_config_static_selectorELNS0_4arch9wavefront6targetE0EEEvS13_
; %bb.0:
	.section	.rodata,"a",@progbits
	.p2align	6, 0x0
	.amdhsa_kernel _ZN7rocprim17ROCPRIM_400000_NS6detail17trampoline_kernelINS0_13select_configILj256ELj13ELNS0_17block_load_methodE3ELS4_3ELS4_3ELNS0_20block_scan_algorithmE0ELj4294967295EEENS1_25partition_config_selectorILNS1_17partition_subalgoE4EjNS0_10empty_typeEbEEZZNS1_14partition_implILS8_4ELb0ES6_15HIP_vector_typeIjLj2EENS0_17counting_iteratorIjlEEPS9_SG_NS0_5tupleIJPjSI_NS0_16reverse_iteratorISI_EEEEENSH_IJSG_SG_SG_EEES9_SI_JZNS1_25segmented_radix_sort_implINS0_14default_configELb0EPK12hip_bfloat16PSP_PKlPlN2at6native12_GLOBAL__N_18offset_tEEE10hipError_tPvRmT1_PNSt15iterator_traitsIS13_E10value_typeET2_T3_PNS14_IS19_E10value_typeET4_jRbjT5_S1F_jjP12ihipStream_tbEUljE_ZNSN_ISO_Lb0ESR_SS_SU_SV_SZ_EES10_S11_S12_S13_S17_S18_S19_S1C_S1D_jS1E_jS1F_S1F_jjS1H_bEUljE0_EEES10_S11_S12_S19_S1D_S1F_T6_T7_T9_mT8_S1H_bDpT10_ENKUlT_T0_E_clISt17integral_constantIbLb1EES1V_EEDaS1Q_S1R_EUlS1Q_E_NS1_11comp_targetILNS1_3genE3ELNS1_11target_archE908ELNS1_3gpuE7ELNS1_3repE0EEENS1_30default_config_static_selectorELNS0_4arch9wavefront6targetE0EEEvS13_
		.amdhsa_group_segment_fixed_size 0
		.amdhsa_private_segment_fixed_size 0
		.amdhsa_kernarg_size 184
		.amdhsa_user_sgpr_count 2
		.amdhsa_user_sgpr_dispatch_ptr 0
		.amdhsa_user_sgpr_queue_ptr 0
		.amdhsa_user_sgpr_kernarg_segment_ptr 1
		.amdhsa_user_sgpr_dispatch_id 0
		.amdhsa_user_sgpr_kernarg_preload_length 0
		.amdhsa_user_sgpr_kernarg_preload_offset 0
		.amdhsa_user_sgpr_private_segment_size 0
		.amdhsa_wavefront_size32 1
		.amdhsa_uses_dynamic_stack 0
		.amdhsa_enable_private_segment 0
		.amdhsa_system_sgpr_workgroup_id_x 1
		.amdhsa_system_sgpr_workgroup_id_y 0
		.amdhsa_system_sgpr_workgroup_id_z 0
		.amdhsa_system_sgpr_workgroup_info 0
		.amdhsa_system_vgpr_workitem_id 0
		.amdhsa_next_free_vgpr 1
		.amdhsa_next_free_sgpr 1
		.amdhsa_named_barrier_count 0
		.amdhsa_reserve_vcc 0
		.amdhsa_float_round_mode_32 0
		.amdhsa_float_round_mode_16_64 0
		.amdhsa_float_denorm_mode_32 3
		.amdhsa_float_denorm_mode_16_64 3
		.amdhsa_fp16_overflow 0
		.amdhsa_memory_ordered 1
		.amdhsa_forward_progress 1
		.amdhsa_inst_pref_size 0
		.amdhsa_round_robin_scheduling 0
		.amdhsa_exception_fp_ieee_invalid_op 0
		.amdhsa_exception_fp_denorm_src 0
		.amdhsa_exception_fp_ieee_div_zero 0
		.amdhsa_exception_fp_ieee_overflow 0
		.amdhsa_exception_fp_ieee_underflow 0
		.amdhsa_exception_fp_ieee_inexact 0
		.amdhsa_exception_int_div_zero 0
	.end_amdhsa_kernel
	.section	.text._ZN7rocprim17ROCPRIM_400000_NS6detail17trampoline_kernelINS0_13select_configILj256ELj13ELNS0_17block_load_methodE3ELS4_3ELS4_3ELNS0_20block_scan_algorithmE0ELj4294967295EEENS1_25partition_config_selectorILNS1_17partition_subalgoE4EjNS0_10empty_typeEbEEZZNS1_14partition_implILS8_4ELb0ES6_15HIP_vector_typeIjLj2EENS0_17counting_iteratorIjlEEPS9_SG_NS0_5tupleIJPjSI_NS0_16reverse_iteratorISI_EEEEENSH_IJSG_SG_SG_EEES9_SI_JZNS1_25segmented_radix_sort_implINS0_14default_configELb0EPK12hip_bfloat16PSP_PKlPlN2at6native12_GLOBAL__N_18offset_tEEE10hipError_tPvRmT1_PNSt15iterator_traitsIS13_E10value_typeET2_T3_PNS14_IS19_E10value_typeET4_jRbjT5_S1F_jjP12ihipStream_tbEUljE_ZNSN_ISO_Lb0ESR_SS_SU_SV_SZ_EES10_S11_S12_S13_S17_S18_S19_S1C_S1D_jS1E_jS1F_S1F_jjS1H_bEUljE0_EEES10_S11_S12_S19_S1D_S1F_T6_T7_T9_mT8_S1H_bDpT10_ENKUlT_T0_E_clISt17integral_constantIbLb1EES1V_EEDaS1Q_S1R_EUlS1Q_E_NS1_11comp_targetILNS1_3genE3ELNS1_11target_archE908ELNS1_3gpuE7ELNS1_3repE0EEENS1_30default_config_static_selectorELNS0_4arch9wavefront6targetE0EEEvS13_,"axG",@progbits,_ZN7rocprim17ROCPRIM_400000_NS6detail17trampoline_kernelINS0_13select_configILj256ELj13ELNS0_17block_load_methodE3ELS4_3ELS4_3ELNS0_20block_scan_algorithmE0ELj4294967295EEENS1_25partition_config_selectorILNS1_17partition_subalgoE4EjNS0_10empty_typeEbEEZZNS1_14partition_implILS8_4ELb0ES6_15HIP_vector_typeIjLj2EENS0_17counting_iteratorIjlEEPS9_SG_NS0_5tupleIJPjSI_NS0_16reverse_iteratorISI_EEEEENSH_IJSG_SG_SG_EEES9_SI_JZNS1_25segmented_radix_sort_implINS0_14default_configELb0EPK12hip_bfloat16PSP_PKlPlN2at6native12_GLOBAL__N_18offset_tEEE10hipError_tPvRmT1_PNSt15iterator_traitsIS13_E10value_typeET2_T3_PNS14_IS19_E10value_typeET4_jRbjT5_S1F_jjP12ihipStream_tbEUljE_ZNSN_ISO_Lb0ESR_SS_SU_SV_SZ_EES10_S11_S12_S13_S17_S18_S19_S1C_S1D_jS1E_jS1F_S1F_jjS1H_bEUljE0_EEES10_S11_S12_S19_S1D_S1F_T6_T7_T9_mT8_S1H_bDpT10_ENKUlT_T0_E_clISt17integral_constantIbLb1EES1V_EEDaS1Q_S1R_EUlS1Q_E_NS1_11comp_targetILNS1_3genE3ELNS1_11target_archE908ELNS1_3gpuE7ELNS1_3repE0EEENS1_30default_config_static_selectorELNS0_4arch9wavefront6targetE0EEEvS13_,comdat
.Lfunc_end1986:
	.size	_ZN7rocprim17ROCPRIM_400000_NS6detail17trampoline_kernelINS0_13select_configILj256ELj13ELNS0_17block_load_methodE3ELS4_3ELS4_3ELNS0_20block_scan_algorithmE0ELj4294967295EEENS1_25partition_config_selectorILNS1_17partition_subalgoE4EjNS0_10empty_typeEbEEZZNS1_14partition_implILS8_4ELb0ES6_15HIP_vector_typeIjLj2EENS0_17counting_iteratorIjlEEPS9_SG_NS0_5tupleIJPjSI_NS0_16reverse_iteratorISI_EEEEENSH_IJSG_SG_SG_EEES9_SI_JZNS1_25segmented_radix_sort_implINS0_14default_configELb0EPK12hip_bfloat16PSP_PKlPlN2at6native12_GLOBAL__N_18offset_tEEE10hipError_tPvRmT1_PNSt15iterator_traitsIS13_E10value_typeET2_T3_PNS14_IS19_E10value_typeET4_jRbjT5_S1F_jjP12ihipStream_tbEUljE_ZNSN_ISO_Lb0ESR_SS_SU_SV_SZ_EES10_S11_S12_S13_S17_S18_S19_S1C_S1D_jS1E_jS1F_S1F_jjS1H_bEUljE0_EEES10_S11_S12_S19_S1D_S1F_T6_T7_T9_mT8_S1H_bDpT10_ENKUlT_T0_E_clISt17integral_constantIbLb1EES1V_EEDaS1Q_S1R_EUlS1Q_E_NS1_11comp_targetILNS1_3genE3ELNS1_11target_archE908ELNS1_3gpuE7ELNS1_3repE0EEENS1_30default_config_static_selectorELNS0_4arch9wavefront6targetE0EEEvS13_, .Lfunc_end1986-_ZN7rocprim17ROCPRIM_400000_NS6detail17trampoline_kernelINS0_13select_configILj256ELj13ELNS0_17block_load_methodE3ELS4_3ELS4_3ELNS0_20block_scan_algorithmE0ELj4294967295EEENS1_25partition_config_selectorILNS1_17partition_subalgoE4EjNS0_10empty_typeEbEEZZNS1_14partition_implILS8_4ELb0ES6_15HIP_vector_typeIjLj2EENS0_17counting_iteratorIjlEEPS9_SG_NS0_5tupleIJPjSI_NS0_16reverse_iteratorISI_EEEEENSH_IJSG_SG_SG_EEES9_SI_JZNS1_25segmented_radix_sort_implINS0_14default_configELb0EPK12hip_bfloat16PSP_PKlPlN2at6native12_GLOBAL__N_18offset_tEEE10hipError_tPvRmT1_PNSt15iterator_traitsIS13_E10value_typeET2_T3_PNS14_IS19_E10value_typeET4_jRbjT5_S1F_jjP12ihipStream_tbEUljE_ZNSN_ISO_Lb0ESR_SS_SU_SV_SZ_EES10_S11_S12_S13_S17_S18_S19_S1C_S1D_jS1E_jS1F_S1F_jjS1H_bEUljE0_EEES10_S11_S12_S19_S1D_S1F_T6_T7_T9_mT8_S1H_bDpT10_ENKUlT_T0_E_clISt17integral_constantIbLb1EES1V_EEDaS1Q_S1R_EUlS1Q_E_NS1_11comp_targetILNS1_3genE3ELNS1_11target_archE908ELNS1_3gpuE7ELNS1_3repE0EEENS1_30default_config_static_selectorELNS0_4arch9wavefront6targetE0EEEvS13_
                                        ; -- End function
	.set _ZN7rocprim17ROCPRIM_400000_NS6detail17trampoline_kernelINS0_13select_configILj256ELj13ELNS0_17block_load_methodE3ELS4_3ELS4_3ELNS0_20block_scan_algorithmE0ELj4294967295EEENS1_25partition_config_selectorILNS1_17partition_subalgoE4EjNS0_10empty_typeEbEEZZNS1_14partition_implILS8_4ELb0ES6_15HIP_vector_typeIjLj2EENS0_17counting_iteratorIjlEEPS9_SG_NS0_5tupleIJPjSI_NS0_16reverse_iteratorISI_EEEEENSH_IJSG_SG_SG_EEES9_SI_JZNS1_25segmented_radix_sort_implINS0_14default_configELb0EPK12hip_bfloat16PSP_PKlPlN2at6native12_GLOBAL__N_18offset_tEEE10hipError_tPvRmT1_PNSt15iterator_traitsIS13_E10value_typeET2_T3_PNS14_IS19_E10value_typeET4_jRbjT5_S1F_jjP12ihipStream_tbEUljE_ZNSN_ISO_Lb0ESR_SS_SU_SV_SZ_EES10_S11_S12_S13_S17_S18_S19_S1C_S1D_jS1E_jS1F_S1F_jjS1H_bEUljE0_EEES10_S11_S12_S19_S1D_S1F_T6_T7_T9_mT8_S1H_bDpT10_ENKUlT_T0_E_clISt17integral_constantIbLb1EES1V_EEDaS1Q_S1R_EUlS1Q_E_NS1_11comp_targetILNS1_3genE3ELNS1_11target_archE908ELNS1_3gpuE7ELNS1_3repE0EEENS1_30default_config_static_selectorELNS0_4arch9wavefront6targetE0EEEvS13_.num_vgpr, 0
	.set _ZN7rocprim17ROCPRIM_400000_NS6detail17trampoline_kernelINS0_13select_configILj256ELj13ELNS0_17block_load_methodE3ELS4_3ELS4_3ELNS0_20block_scan_algorithmE0ELj4294967295EEENS1_25partition_config_selectorILNS1_17partition_subalgoE4EjNS0_10empty_typeEbEEZZNS1_14partition_implILS8_4ELb0ES6_15HIP_vector_typeIjLj2EENS0_17counting_iteratorIjlEEPS9_SG_NS0_5tupleIJPjSI_NS0_16reverse_iteratorISI_EEEEENSH_IJSG_SG_SG_EEES9_SI_JZNS1_25segmented_radix_sort_implINS0_14default_configELb0EPK12hip_bfloat16PSP_PKlPlN2at6native12_GLOBAL__N_18offset_tEEE10hipError_tPvRmT1_PNSt15iterator_traitsIS13_E10value_typeET2_T3_PNS14_IS19_E10value_typeET4_jRbjT5_S1F_jjP12ihipStream_tbEUljE_ZNSN_ISO_Lb0ESR_SS_SU_SV_SZ_EES10_S11_S12_S13_S17_S18_S19_S1C_S1D_jS1E_jS1F_S1F_jjS1H_bEUljE0_EEES10_S11_S12_S19_S1D_S1F_T6_T7_T9_mT8_S1H_bDpT10_ENKUlT_T0_E_clISt17integral_constantIbLb1EES1V_EEDaS1Q_S1R_EUlS1Q_E_NS1_11comp_targetILNS1_3genE3ELNS1_11target_archE908ELNS1_3gpuE7ELNS1_3repE0EEENS1_30default_config_static_selectorELNS0_4arch9wavefront6targetE0EEEvS13_.num_agpr, 0
	.set _ZN7rocprim17ROCPRIM_400000_NS6detail17trampoline_kernelINS0_13select_configILj256ELj13ELNS0_17block_load_methodE3ELS4_3ELS4_3ELNS0_20block_scan_algorithmE0ELj4294967295EEENS1_25partition_config_selectorILNS1_17partition_subalgoE4EjNS0_10empty_typeEbEEZZNS1_14partition_implILS8_4ELb0ES6_15HIP_vector_typeIjLj2EENS0_17counting_iteratorIjlEEPS9_SG_NS0_5tupleIJPjSI_NS0_16reverse_iteratorISI_EEEEENSH_IJSG_SG_SG_EEES9_SI_JZNS1_25segmented_radix_sort_implINS0_14default_configELb0EPK12hip_bfloat16PSP_PKlPlN2at6native12_GLOBAL__N_18offset_tEEE10hipError_tPvRmT1_PNSt15iterator_traitsIS13_E10value_typeET2_T3_PNS14_IS19_E10value_typeET4_jRbjT5_S1F_jjP12ihipStream_tbEUljE_ZNSN_ISO_Lb0ESR_SS_SU_SV_SZ_EES10_S11_S12_S13_S17_S18_S19_S1C_S1D_jS1E_jS1F_S1F_jjS1H_bEUljE0_EEES10_S11_S12_S19_S1D_S1F_T6_T7_T9_mT8_S1H_bDpT10_ENKUlT_T0_E_clISt17integral_constantIbLb1EES1V_EEDaS1Q_S1R_EUlS1Q_E_NS1_11comp_targetILNS1_3genE3ELNS1_11target_archE908ELNS1_3gpuE7ELNS1_3repE0EEENS1_30default_config_static_selectorELNS0_4arch9wavefront6targetE0EEEvS13_.numbered_sgpr, 0
	.set _ZN7rocprim17ROCPRIM_400000_NS6detail17trampoline_kernelINS0_13select_configILj256ELj13ELNS0_17block_load_methodE3ELS4_3ELS4_3ELNS0_20block_scan_algorithmE0ELj4294967295EEENS1_25partition_config_selectorILNS1_17partition_subalgoE4EjNS0_10empty_typeEbEEZZNS1_14partition_implILS8_4ELb0ES6_15HIP_vector_typeIjLj2EENS0_17counting_iteratorIjlEEPS9_SG_NS0_5tupleIJPjSI_NS0_16reverse_iteratorISI_EEEEENSH_IJSG_SG_SG_EEES9_SI_JZNS1_25segmented_radix_sort_implINS0_14default_configELb0EPK12hip_bfloat16PSP_PKlPlN2at6native12_GLOBAL__N_18offset_tEEE10hipError_tPvRmT1_PNSt15iterator_traitsIS13_E10value_typeET2_T3_PNS14_IS19_E10value_typeET4_jRbjT5_S1F_jjP12ihipStream_tbEUljE_ZNSN_ISO_Lb0ESR_SS_SU_SV_SZ_EES10_S11_S12_S13_S17_S18_S19_S1C_S1D_jS1E_jS1F_S1F_jjS1H_bEUljE0_EEES10_S11_S12_S19_S1D_S1F_T6_T7_T9_mT8_S1H_bDpT10_ENKUlT_T0_E_clISt17integral_constantIbLb1EES1V_EEDaS1Q_S1R_EUlS1Q_E_NS1_11comp_targetILNS1_3genE3ELNS1_11target_archE908ELNS1_3gpuE7ELNS1_3repE0EEENS1_30default_config_static_selectorELNS0_4arch9wavefront6targetE0EEEvS13_.num_named_barrier, 0
	.set _ZN7rocprim17ROCPRIM_400000_NS6detail17trampoline_kernelINS0_13select_configILj256ELj13ELNS0_17block_load_methodE3ELS4_3ELS4_3ELNS0_20block_scan_algorithmE0ELj4294967295EEENS1_25partition_config_selectorILNS1_17partition_subalgoE4EjNS0_10empty_typeEbEEZZNS1_14partition_implILS8_4ELb0ES6_15HIP_vector_typeIjLj2EENS0_17counting_iteratorIjlEEPS9_SG_NS0_5tupleIJPjSI_NS0_16reverse_iteratorISI_EEEEENSH_IJSG_SG_SG_EEES9_SI_JZNS1_25segmented_radix_sort_implINS0_14default_configELb0EPK12hip_bfloat16PSP_PKlPlN2at6native12_GLOBAL__N_18offset_tEEE10hipError_tPvRmT1_PNSt15iterator_traitsIS13_E10value_typeET2_T3_PNS14_IS19_E10value_typeET4_jRbjT5_S1F_jjP12ihipStream_tbEUljE_ZNSN_ISO_Lb0ESR_SS_SU_SV_SZ_EES10_S11_S12_S13_S17_S18_S19_S1C_S1D_jS1E_jS1F_S1F_jjS1H_bEUljE0_EEES10_S11_S12_S19_S1D_S1F_T6_T7_T9_mT8_S1H_bDpT10_ENKUlT_T0_E_clISt17integral_constantIbLb1EES1V_EEDaS1Q_S1R_EUlS1Q_E_NS1_11comp_targetILNS1_3genE3ELNS1_11target_archE908ELNS1_3gpuE7ELNS1_3repE0EEENS1_30default_config_static_selectorELNS0_4arch9wavefront6targetE0EEEvS13_.private_seg_size, 0
	.set _ZN7rocprim17ROCPRIM_400000_NS6detail17trampoline_kernelINS0_13select_configILj256ELj13ELNS0_17block_load_methodE3ELS4_3ELS4_3ELNS0_20block_scan_algorithmE0ELj4294967295EEENS1_25partition_config_selectorILNS1_17partition_subalgoE4EjNS0_10empty_typeEbEEZZNS1_14partition_implILS8_4ELb0ES6_15HIP_vector_typeIjLj2EENS0_17counting_iteratorIjlEEPS9_SG_NS0_5tupleIJPjSI_NS0_16reverse_iteratorISI_EEEEENSH_IJSG_SG_SG_EEES9_SI_JZNS1_25segmented_radix_sort_implINS0_14default_configELb0EPK12hip_bfloat16PSP_PKlPlN2at6native12_GLOBAL__N_18offset_tEEE10hipError_tPvRmT1_PNSt15iterator_traitsIS13_E10value_typeET2_T3_PNS14_IS19_E10value_typeET4_jRbjT5_S1F_jjP12ihipStream_tbEUljE_ZNSN_ISO_Lb0ESR_SS_SU_SV_SZ_EES10_S11_S12_S13_S17_S18_S19_S1C_S1D_jS1E_jS1F_S1F_jjS1H_bEUljE0_EEES10_S11_S12_S19_S1D_S1F_T6_T7_T9_mT8_S1H_bDpT10_ENKUlT_T0_E_clISt17integral_constantIbLb1EES1V_EEDaS1Q_S1R_EUlS1Q_E_NS1_11comp_targetILNS1_3genE3ELNS1_11target_archE908ELNS1_3gpuE7ELNS1_3repE0EEENS1_30default_config_static_selectorELNS0_4arch9wavefront6targetE0EEEvS13_.uses_vcc, 0
	.set _ZN7rocprim17ROCPRIM_400000_NS6detail17trampoline_kernelINS0_13select_configILj256ELj13ELNS0_17block_load_methodE3ELS4_3ELS4_3ELNS0_20block_scan_algorithmE0ELj4294967295EEENS1_25partition_config_selectorILNS1_17partition_subalgoE4EjNS0_10empty_typeEbEEZZNS1_14partition_implILS8_4ELb0ES6_15HIP_vector_typeIjLj2EENS0_17counting_iteratorIjlEEPS9_SG_NS0_5tupleIJPjSI_NS0_16reverse_iteratorISI_EEEEENSH_IJSG_SG_SG_EEES9_SI_JZNS1_25segmented_radix_sort_implINS0_14default_configELb0EPK12hip_bfloat16PSP_PKlPlN2at6native12_GLOBAL__N_18offset_tEEE10hipError_tPvRmT1_PNSt15iterator_traitsIS13_E10value_typeET2_T3_PNS14_IS19_E10value_typeET4_jRbjT5_S1F_jjP12ihipStream_tbEUljE_ZNSN_ISO_Lb0ESR_SS_SU_SV_SZ_EES10_S11_S12_S13_S17_S18_S19_S1C_S1D_jS1E_jS1F_S1F_jjS1H_bEUljE0_EEES10_S11_S12_S19_S1D_S1F_T6_T7_T9_mT8_S1H_bDpT10_ENKUlT_T0_E_clISt17integral_constantIbLb1EES1V_EEDaS1Q_S1R_EUlS1Q_E_NS1_11comp_targetILNS1_3genE3ELNS1_11target_archE908ELNS1_3gpuE7ELNS1_3repE0EEENS1_30default_config_static_selectorELNS0_4arch9wavefront6targetE0EEEvS13_.uses_flat_scratch, 0
	.set _ZN7rocprim17ROCPRIM_400000_NS6detail17trampoline_kernelINS0_13select_configILj256ELj13ELNS0_17block_load_methodE3ELS4_3ELS4_3ELNS0_20block_scan_algorithmE0ELj4294967295EEENS1_25partition_config_selectorILNS1_17partition_subalgoE4EjNS0_10empty_typeEbEEZZNS1_14partition_implILS8_4ELb0ES6_15HIP_vector_typeIjLj2EENS0_17counting_iteratorIjlEEPS9_SG_NS0_5tupleIJPjSI_NS0_16reverse_iteratorISI_EEEEENSH_IJSG_SG_SG_EEES9_SI_JZNS1_25segmented_radix_sort_implINS0_14default_configELb0EPK12hip_bfloat16PSP_PKlPlN2at6native12_GLOBAL__N_18offset_tEEE10hipError_tPvRmT1_PNSt15iterator_traitsIS13_E10value_typeET2_T3_PNS14_IS19_E10value_typeET4_jRbjT5_S1F_jjP12ihipStream_tbEUljE_ZNSN_ISO_Lb0ESR_SS_SU_SV_SZ_EES10_S11_S12_S13_S17_S18_S19_S1C_S1D_jS1E_jS1F_S1F_jjS1H_bEUljE0_EEES10_S11_S12_S19_S1D_S1F_T6_T7_T9_mT8_S1H_bDpT10_ENKUlT_T0_E_clISt17integral_constantIbLb1EES1V_EEDaS1Q_S1R_EUlS1Q_E_NS1_11comp_targetILNS1_3genE3ELNS1_11target_archE908ELNS1_3gpuE7ELNS1_3repE0EEENS1_30default_config_static_selectorELNS0_4arch9wavefront6targetE0EEEvS13_.has_dyn_sized_stack, 0
	.set _ZN7rocprim17ROCPRIM_400000_NS6detail17trampoline_kernelINS0_13select_configILj256ELj13ELNS0_17block_load_methodE3ELS4_3ELS4_3ELNS0_20block_scan_algorithmE0ELj4294967295EEENS1_25partition_config_selectorILNS1_17partition_subalgoE4EjNS0_10empty_typeEbEEZZNS1_14partition_implILS8_4ELb0ES6_15HIP_vector_typeIjLj2EENS0_17counting_iteratorIjlEEPS9_SG_NS0_5tupleIJPjSI_NS0_16reverse_iteratorISI_EEEEENSH_IJSG_SG_SG_EEES9_SI_JZNS1_25segmented_radix_sort_implINS0_14default_configELb0EPK12hip_bfloat16PSP_PKlPlN2at6native12_GLOBAL__N_18offset_tEEE10hipError_tPvRmT1_PNSt15iterator_traitsIS13_E10value_typeET2_T3_PNS14_IS19_E10value_typeET4_jRbjT5_S1F_jjP12ihipStream_tbEUljE_ZNSN_ISO_Lb0ESR_SS_SU_SV_SZ_EES10_S11_S12_S13_S17_S18_S19_S1C_S1D_jS1E_jS1F_S1F_jjS1H_bEUljE0_EEES10_S11_S12_S19_S1D_S1F_T6_T7_T9_mT8_S1H_bDpT10_ENKUlT_T0_E_clISt17integral_constantIbLb1EES1V_EEDaS1Q_S1R_EUlS1Q_E_NS1_11comp_targetILNS1_3genE3ELNS1_11target_archE908ELNS1_3gpuE7ELNS1_3repE0EEENS1_30default_config_static_selectorELNS0_4arch9wavefront6targetE0EEEvS13_.has_recursion, 0
	.set _ZN7rocprim17ROCPRIM_400000_NS6detail17trampoline_kernelINS0_13select_configILj256ELj13ELNS0_17block_load_methodE3ELS4_3ELS4_3ELNS0_20block_scan_algorithmE0ELj4294967295EEENS1_25partition_config_selectorILNS1_17partition_subalgoE4EjNS0_10empty_typeEbEEZZNS1_14partition_implILS8_4ELb0ES6_15HIP_vector_typeIjLj2EENS0_17counting_iteratorIjlEEPS9_SG_NS0_5tupleIJPjSI_NS0_16reverse_iteratorISI_EEEEENSH_IJSG_SG_SG_EEES9_SI_JZNS1_25segmented_radix_sort_implINS0_14default_configELb0EPK12hip_bfloat16PSP_PKlPlN2at6native12_GLOBAL__N_18offset_tEEE10hipError_tPvRmT1_PNSt15iterator_traitsIS13_E10value_typeET2_T3_PNS14_IS19_E10value_typeET4_jRbjT5_S1F_jjP12ihipStream_tbEUljE_ZNSN_ISO_Lb0ESR_SS_SU_SV_SZ_EES10_S11_S12_S13_S17_S18_S19_S1C_S1D_jS1E_jS1F_S1F_jjS1H_bEUljE0_EEES10_S11_S12_S19_S1D_S1F_T6_T7_T9_mT8_S1H_bDpT10_ENKUlT_T0_E_clISt17integral_constantIbLb1EES1V_EEDaS1Q_S1R_EUlS1Q_E_NS1_11comp_targetILNS1_3genE3ELNS1_11target_archE908ELNS1_3gpuE7ELNS1_3repE0EEENS1_30default_config_static_selectorELNS0_4arch9wavefront6targetE0EEEvS13_.has_indirect_call, 0
	.section	.AMDGPU.csdata,"",@progbits
; Kernel info:
; codeLenInByte = 0
; TotalNumSgprs: 0
; NumVgprs: 0
; ScratchSize: 0
; MemoryBound: 0
; FloatMode: 240
; IeeeMode: 1
; LDSByteSize: 0 bytes/workgroup (compile time only)
; SGPRBlocks: 0
; VGPRBlocks: 0
; NumSGPRsForWavesPerEU: 1
; NumVGPRsForWavesPerEU: 1
; NamedBarCnt: 0
; Occupancy: 16
; WaveLimiterHint : 0
; COMPUTE_PGM_RSRC2:SCRATCH_EN: 0
; COMPUTE_PGM_RSRC2:USER_SGPR: 2
; COMPUTE_PGM_RSRC2:TRAP_HANDLER: 0
; COMPUTE_PGM_RSRC2:TGID_X_EN: 1
; COMPUTE_PGM_RSRC2:TGID_Y_EN: 0
; COMPUTE_PGM_RSRC2:TGID_Z_EN: 0
; COMPUTE_PGM_RSRC2:TIDIG_COMP_CNT: 0
	.section	.text._ZN7rocprim17ROCPRIM_400000_NS6detail17trampoline_kernelINS0_13select_configILj256ELj13ELNS0_17block_load_methodE3ELS4_3ELS4_3ELNS0_20block_scan_algorithmE0ELj4294967295EEENS1_25partition_config_selectorILNS1_17partition_subalgoE4EjNS0_10empty_typeEbEEZZNS1_14partition_implILS8_4ELb0ES6_15HIP_vector_typeIjLj2EENS0_17counting_iteratorIjlEEPS9_SG_NS0_5tupleIJPjSI_NS0_16reverse_iteratorISI_EEEEENSH_IJSG_SG_SG_EEES9_SI_JZNS1_25segmented_radix_sort_implINS0_14default_configELb0EPK12hip_bfloat16PSP_PKlPlN2at6native12_GLOBAL__N_18offset_tEEE10hipError_tPvRmT1_PNSt15iterator_traitsIS13_E10value_typeET2_T3_PNS14_IS19_E10value_typeET4_jRbjT5_S1F_jjP12ihipStream_tbEUljE_ZNSN_ISO_Lb0ESR_SS_SU_SV_SZ_EES10_S11_S12_S13_S17_S18_S19_S1C_S1D_jS1E_jS1F_S1F_jjS1H_bEUljE0_EEES10_S11_S12_S19_S1D_S1F_T6_T7_T9_mT8_S1H_bDpT10_ENKUlT_T0_E_clISt17integral_constantIbLb1EES1V_EEDaS1Q_S1R_EUlS1Q_E_NS1_11comp_targetILNS1_3genE2ELNS1_11target_archE906ELNS1_3gpuE6ELNS1_3repE0EEENS1_30default_config_static_selectorELNS0_4arch9wavefront6targetE0EEEvS13_,"axG",@progbits,_ZN7rocprim17ROCPRIM_400000_NS6detail17trampoline_kernelINS0_13select_configILj256ELj13ELNS0_17block_load_methodE3ELS4_3ELS4_3ELNS0_20block_scan_algorithmE0ELj4294967295EEENS1_25partition_config_selectorILNS1_17partition_subalgoE4EjNS0_10empty_typeEbEEZZNS1_14partition_implILS8_4ELb0ES6_15HIP_vector_typeIjLj2EENS0_17counting_iteratorIjlEEPS9_SG_NS0_5tupleIJPjSI_NS0_16reverse_iteratorISI_EEEEENSH_IJSG_SG_SG_EEES9_SI_JZNS1_25segmented_radix_sort_implINS0_14default_configELb0EPK12hip_bfloat16PSP_PKlPlN2at6native12_GLOBAL__N_18offset_tEEE10hipError_tPvRmT1_PNSt15iterator_traitsIS13_E10value_typeET2_T3_PNS14_IS19_E10value_typeET4_jRbjT5_S1F_jjP12ihipStream_tbEUljE_ZNSN_ISO_Lb0ESR_SS_SU_SV_SZ_EES10_S11_S12_S13_S17_S18_S19_S1C_S1D_jS1E_jS1F_S1F_jjS1H_bEUljE0_EEES10_S11_S12_S19_S1D_S1F_T6_T7_T9_mT8_S1H_bDpT10_ENKUlT_T0_E_clISt17integral_constantIbLb1EES1V_EEDaS1Q_S1R_EUlS1Q_E_NS1_11comp_targetILNS1_3genE2ELNS1_11target_archE906ELNS1_3gpuE6ELNS1_3repE0EEENS1_30default_config_static_selectorELNS0_4arch9wavefront6targetE0EEEvS13_,comdat
	.globl	_ZN7rocprim17ROCPRIM_400000_NS6detail17trampoline_kernelINS0_13select_configILj256ELj13ELNS0_17block_load_methodE3ELS4_3ELS4_3ELNS0_20block_scan_algorithmE0ELj4294967295EEENS1_25partition_config_selectorILNS1_17partition_subalgoE4EjNS0_10empty_typeEbEEZZNS1_14partition_implILS8_4ELb0ES6_15HIP_vector_typeIjLj2EENS0_17counting_iteratorIjlEEPS9_SG_NS0_5tupleIJPjSI_NS0_16reverse_iteratorISI_EEEEENSH_IJSG_SG_SG_EEES9_SI_JZNS1_25segmented_radix_sort_implINS0_14default_configELb0EPK12hip_bfloat16PSP_PKlPlN2at6native12_GLOBAL__N_18offset_tEEE10hipError_tPvRmT1_PNSt15iterator_traitsIS13_E10value_typeET2_T3_PNS14_IS19_E10value_typeET4_jRbjT5_S1F_jjP12ihipStream_tbEUljE_ZNSN_ISO_Lb0ESR_SS_SU_SV_SZ_EES10_S11_S12_S13_S17_S18_S19_S1C_S1D_jS1E_jS1F_S1F_jjS1H_bEUljE0_EEES10_S11_S12_S19_S1D_S1F_T6_T7_T9_mT8_S1H_bDpT10_ENKUlT_T0_E_clISt17integral_constantIbLb1EES1V_EEDaS1Q_S1R_EUlS1Q_E_NS1_11comp_targetILNS1_3genE2ELNS1_11target_archE906ELNS1_3gpuE6ELNS1_3repE0EEENS1_30default_config_static_selectorELNS0_4arch9wavefront6targetE0EEEvS13_ ; -- Begin function _ZN7rocprim17ROCPRIM_400000_NS6detail17trampoline_kernelINS0_13select_configILj256ELj13ELNS0_17block_load_methodE3ELS4_3ELS4_3ELNS0_20block_scan_algorithmE0ELj4294967295EEENS1_25partition_config_selectorILNS1_17partition_subalgoE4EjNS0_10empty_typeEbEEZZNS1_14partition_implILS8_4ELb0ES6_15HIP_vector_typeIjLj2EENS0_17counting_iteratorIjlEEPS9_SG_NS0_5tupleIJPjSI_NS0_16reverse_iteratorISI_EEEEENSH_IJSG_SG_SG_EEES9_SI_JZNS1_25segmented_radix_sort_implINS0_14default_configELb0EPK12hip_bfloat16PSP_PKlPlN2at6native12_GLOBAL__N_18offset_tEEE10hipError_tPvRmT1_PNSt15iterator_traitsIS13_E10value_typeET2_T3_PNS14_IS19_E10value_typeET4_jRbjT5_S1F_jjP12ihipStream_tbEUljE_ZNSN_ISO_Lb0ESR_SS_SU_SV_SZ_EES10_S11_S12_S13_S17_S18_S19_S1C_S1D_jS1E_jS1F_S1F_jjS1H_bEUljE0_EEES10_S11_S12_S19_S1D_S1F_T6_T7_T9_mT8_S1H_bDpT10_ENKUlT_T0_E_clISt17integral_constantIbLb1EES1V_EEDaS1Q_S1R_EUlS1Q_E_NS1_11comp_targetILNS1_3genE2ELNS1_11target_archE906ELNS1_3gpuE6ELNS1_3repE0EEENS1_30default_config_static_selectorELNS0_4arch9wavefront6targetE0EEEvS13_
	.p2align	8
	.type	_ZN7rocprim17ROCPRIM_400000_NS6detail17trampoline_kernelINS0_13select_configILj256ELj13ELNS0_17block_load_methodE3ELS4_3ELS4_3ELNS0_20block_scan_algorithmE0ELj4294967295EEENS1_25partition_config_selectorILNS1_17partition_subalgoE4EjNS0_10empty_typeEbEEZZNS1_14partition_implILS8_4ELb0ES6_15HIP_vector_typeIjLj2EENS0_17counting_iteratorIjlEEPS9_SG_NS0_5tupleIJPjSI_NS0_16reverse_iteratorISI_EEEEENSH_IJSG_SG_SG_EEES9_SI_JZNS1_25segmented_radix_sort_implINS0_14default_configELb0EPK12hip_bfloat16PSP_PKlPlN2at6native12_GLOBAL__N_18offset_tEEE10hipError_tPvRmT1_PNSt15iterator_traitsIS13_E10value_typeET2_T3_PNS14_IS19_E10value_typeET4_jRbjT5_S1F_jjP12ihipStream_tbEUljE_ZNSN_ISO_Lb0ESR_SS_SU_SV_SZ_EES10_S11_S12_S13_S17_S18_S19_S1C_S1D_jS1E_jS1F_S1F_jjS1H_bEUljE0_EEES10_S11_S12_S19_S1D_S1F_T6_T7_T9_mT8_S1H_bDpT10_ENKUlT_T0_E_clISt17integral_constantIbLb1EES1V_EEDaS1Q_S1R_EUlS1Q_E_NS1_11comp_targetILNS1_3genE2ELNS1_11target_archE906ELNS1_3gpuE6ELNS1_3repE0EEENS1_30default_config_static_selectorELNS0_4arch9wavefront6targetE0EEEvS13_,@function
_ZN7rocprim17ROCPRIM_400000_NS6detail17trampoline_kernelINS0_13select_configILj256ELj13ELNS0_17block_load_methodE3ELS4_3ELS4_3ELNS0_20block_scan_algorithmE0ELj4294967295EEENS1_25partition_config_selectorILNS1_17partition_subalgoE4EjNS0_10empty_typeEbEEZZNS1_14partition_implILS8_4ELb0ES6_15HIP_vector_typeIjLj2EENS0_17counting_iteratorIjlEEPS9_SG_NS0_5tupleIJPjSI_NS0_16reverse_iteratorISI_EEEEENSH_IJSG_SG_SG_EEES9_SI_JZNS1_25segmented_radix_sort_implINS0_14default_configELb0EPK12hip_bfloat16PSP_PKlPlN2at6native12_GLOBAL__N_18offset_tEEE10hipError_tPvRmT1_PNSt15iterator_traitsIS13_E10value_typeET2_T3_PNS14_IS19_E10value_typeET4_jRbjT5_S1F_jjP12ihipStream_tbEUljE_ZNSN_ISO_Lb0ESR_SS_SU_SV_SZ_EES10_S11_S12_S13_S17_S18_S19_S1C_S1D_jS1E_jS1F_S1F_jjS1H_bEUljE0_EEES10_S11_S12_S19_S1D_S1F_T6_T7_T9_mT8_S1H_bDpT10_ENKUlT_T0_E_clISt17integral_constantIbLb1EES1V_EEDaS1Q_S1R_EUlS1Q_E_NS1_11comp_targetILNS1_3genE2ELNS1_11target_archE906ELNS1_3gpuE6ELNS1_3repE0EEENS1_30default_config_static_selectorELNS0_4arch9wavefront6targetE0EEEvS13_: ; @_ZN7rocprim17ROCPRIM_400000_NS6detail17trampoline_kernelINS0_13select_configILj256ELj13ELNS0_17block_load_methodE3ELS4_3ELS4_3ELNS0_20block_scan_algorithmE0ELj4294967295EEENS1_25partition_config_selectorILNS1_17partition_subalgoE4EjNS0_10empty_typeEbEEZZNS1_14partition_implILS8_4ELb0ES6_15HIP_vector_typeIjLj2EENS0_17counting_iteratorIjlEEPS9_SG_NS0_5tupleIJPjSI_NS0_16reverse_iteratorISI_EEEEENSH_IJSG_SG_SG_EEES9_SI_JZNS1_25segmented_radix_sort_implINS0_14default_configELb0EPK12hip_bfloat16PSP_PKlPlN2at6native12_GLOBAL__N_18offset_tEEE10hipError_tPvRmT1_PNSt15iterator_traitsIS13_E10value_typeET2_T3_PNS14_IS19_E10value_typeET4_jRbjT5_S1F_jjP12ihipStream_tbEUljE_ZNSN_ISO_Lb0ESR_SS_SU_SV_SZ_EES10_S11_S12_S13_S17_S18_S19_S1C_S1D_jS1E_jS1F_S1F_jjS1H_bEUljE0_EEES10_S11_S12_S19_S1D_S1F_T6_T7_T9_mT8_S1H_bDpT10_ENKUlT_T0_E_clISt17integral_constantIbLb1EES1V_EEDaS1Q_S1R_EUlS1Q_E_NS1_11comp_targetILNS1_3genE2ELNS1_11target_archE906ELNS1_3gpuE6ELNS1_3repE0EEENS1_30default_config_static_selectorELNS0_4arch9wavefront6targetE0EEEvS13_
; %bb.0:
	.section	.rodata,"a",@progbits
	.p2align	6, 0x0
	.amdhsa_kernel _ZN7rocprim17ROCPRIM_400000_NS6detail17trampoline_kernelINS0_13select_configILj256ELj13ELNS0_17block_load_methodE3ELS4_3ELS4_3ELNS0_20block_scan_algorithmE0ELj4294967295EEENS1_25partition_config_selectorILNS1_17partition_subalgoE4EjNS0_10empty_typeEbEEZZNS1_14partition_implILS8_4ELb0ES6_15HIP_vector_typeIjLj2EENS0_17counting_iteratorIjlEEPS9_SG_NS0_5tupleIJPjSI_NS0_16reverse_iteratorISI_EEEEENSH_IJSG_SG_SG_EEES9_SI_JZNS1_25segmented_radix_sort_implINS0_14default_configELb0EPK12hip_bfloat16PSP_PKlPlN2at6native12_GLOBAL__N_18offset_tEEE10hipError_tPvRmT1_PNSt15iterator_traitsIS13_E10value_typeET2_T3_PNS14_IS19_E10value_typeET4_jRbjT5_S1F_jjP12ihipStream_tbEUljE_ZNSN_ISO_Lb0ESR_SS_SU_SV_SZ_EES10_S11_S12_S13_S17_S18_S19_S1C_S1D_jS1E_jS1F_S1F_jjS1H_bEUljE0_EEES10_S11_S12_S19_S1D_S1F_T6_T7_T9_mT8_S1H_bDpT10_ENKUlT_T0_E_clISt17integral_constantIbLb1EES1V_EEDaS1Q_S1R_EUlS1Q_E_NS1_11comp_targetILNS1_3genE2ELNS1_11target_archE906ELNS1_3gpuE6ELNS1_3repE0EEENS1_30default_config_static_selectorELNS0_4arch9wavefront6targetE0EEEvS13_
		.amdhsa_group_segment_fixed_size 0
		.amdhsa_private_segment_fixed_size 0
		.amdhsa_kernarg_size 184
		.amdhsa_user_sgpr_count 2
		.amdhsa_user_sgpr_dispatch_ptr 0
		.amdhsa_user_sgpr_queue_ptr 0
		.amdhsa_user_sgpr_kernarg_segment_ptr 1
		.amdhsa_user_sgpr_dispatch_id 0
		.amdhsa_user_sgpr_kernarg_preload_length 0
		.amdhsa_user_sgpr_kernarg_preload_offset 0
		.amdhsa_user_sgpr_private_segment_size 0
		.amdhsa_wavefront_size32 1
		.amdhsa_uses_dynamic_stack 0
		.amdhsa_enable_private_segment 0
		.amdhsa_system_sgpr_workgroup_id_x 1
		.amdhsa_system_sgpr_workgroup_id_y 0
		.amdhsa_system_sgpr_workgroup_id_z 0
		.amdhsa_system_sgpr_workgroup_info 0
		.amdhsa_system_vgpr_workitem_id 0
		.amdhsa_next_free_vgpr 1
		.amdhsa_next_free_sgpr 1
		.amdhsa_named_barrier_count 0
		.amdhsa_reserve_vcc 0
		.amdhsa_float_round_mode_32 0
		.amdhsa_float_round_mode_16_64 0
		.amdhsa_float_denorm_mode_32 3
		.amdhsa_float_denorm_mode_16_64 3
		.amdhsa_fp16_overflow 0
		.amdhsa_memory_ordered 1
		.amdhsa_forward_progress 1
		.amdhsa_inst_pref_size 0
		.amdhsa_round_robin_scheduling 0
		.amdhsa_exception_fp_ieee_invalid_op 0
		.amdhsa_exception_fp_denorm_src 0
		.amdhsa_exception_fp_ieee_div_zero 0
		.amdhsa_exception_fp_ieee_overflow 0
		.amdhsa_exception_fp_ieee_underflow 0
		.amdhsa_exception_fp_ieee_inexact 0
		.amdhsa_exception_int_div_zero 0
	.end_amdhsa_kernel
	.section	.text._ZN7rocprim17ROCPRIM_400000_NS6detail17trampoline_kernelINS0_13select_configILj256ELj13ELNS0_17block_load_methodE3ELS4_3ELS4_3ELNS0_20block_scan_algorithmE0ELj4294967295EEENS1_25partition_config_selectorILNS1_17partition_subalgoE4EjNS0_10empty_typeEbEEZZNS1_14partition_implILS8_4ELb0ES6_15HIP_vector_typeIjLj2EENS0_17counting_iteratorIjlEEPS9_SG_NS0_5tupleIJPjSI_NS0_16reverse_iteratorISI_EEEEENSH_IJSG_SG_SG_EEES9_SI_JZNS1_25segmented_radix_sort_implINS0_14default_configELb0EPK12hip_bfloat16PSP_PKlPlN2at6native12_GLOBAL__N_18offset_tEEE10hipError_tPvRmT1_PNSt15iterator_traitsIS13_E10value_typeET2_T3_PNS14_IS19_E10value_typeET4_jRbjT5_S1F_jjP12ihipStream_tbEUljE_ZNSN_ISO_Lb0ESR_SS_SU_SV_SZ_EES10_S11_S12_S13_S17_S18_S19_S1C_S1D_jS1E_jS1F_S1F_jjS1H_bEUljE0_EEES10_S11_S12_S19_S1D_S1F_T6_T7_T9_mT8_S1H_bDpT10_ENKUlT_T0_E_clISt17integral_constantIbLb1EES1V_EEDaS1Q_S1R_EUlS1Q_E_NS1_11comp_targetILNS1_3genE2ELNS1_11target_archE906ELNS1_3gpuE6ELNS1_3repE0EEENS1_30default_config_static_selectorELNS0_4arch9wavefront6targetE0EEEvS13_,"axG",@progbits,_ZN7rocprim17ROCPRIM_400000_NS6detail17trampoline_kernelINS0_13select_configILj256ELj13ELNS0_17block_load_methodE3ELS4_3ELS4_3ELNS0_20block_scan_algorithmE0ELj4294967295EEENS1_25partition_config_selectorILNS1_17partition_subalgoE4EjNS0_10empty_typeEbEEZZNS1_14partition_implILS8_4ELb0ES6_15HIP_vector_typeIjLj2EENS0_17counting_iteratorIjlEEPS9_SG_NS0_5tupleIJPjSI_NS0_16reverse_iteratorISI_EEEEENSH_IJSG_SG_SG_EEES9_SI_JZNS1_25segmented_radix_sort_implINS0_14default_configELb0EPK12hip_bfloat16PSP_PKlPlN2at6native12_GLOBAL__N_18offset_tEEE10hipError_tPvRmT1_PNSt15iterator_traitsIS13_E10value_typeET2_T3_PNS14_IS19_E10value_typeET4_jRbjT5_S1F_jjP12ihipStream_tbEUljE_ZNSN_ISO_Lb0ESR_SS_SU_SV_SZ_EES10_S11_S12_S13_S17_S18_S19_S1C_S1D_jS1E_jS1F_S1F_jjS1H_bEUljE0_EEES10_S11_S12_S19_S1D_S1F_T6_T7_T9_mT8_S1H_bDpT10_ENKUlT_T0_E_clISt17integral_constantIbLb1EES1V_EEDaS1Q_S1R_EUlS1Q_E_NS1_11comp_targetILNS1_3genE2ELNS1_11target_archE906ELNS1_3gpuE6ELNS1_3repE0EEENS1_30default_config_static_selectorELNS0_4arch9wavefront6targetE0EEEvS13_,comdat
.Lfunc_end1987:
	.size	_ZN7rocprim17ROCPRIM_400000_NS6detail17trampoline_kernelINS0_13select_configILj256ELj13ELNS0_17block_load_methodE3ELS4_3ELS4_3ELNS0_20block_scan_algorithmE0ELj4294967295EEENS1_25partition_config_selectorILNS1_17partition_subalgoE4EjNS0_10empty_typeEbEEZZNS1_14partition_implILS8_4ELb0ES6_15HIP_vector_typeIjLj2EENS0_17counting_iteratorIjlEEPS9_SG_NS0_5tupleIJPjSI_NS0_16reverse_iteratorISI_EEEEENSH_IJSG_SG_SG_EEES9_SI_JZNS1_25segmented_radix_sort_implINS0_14default_configELb0EPK12hip_bfloat16PSP_PKlPlN2at6native12_GLOBAL__N_18offset_tEEE10hipError_tPvRmT1_PNSt15iterator_traitsIS13_E10value_typeET2_T3_PNS14_IS19_E10value_typeET4_jRbjT5_S1F_jjP12ihipStream_tbEUljE_ZNSN_ISO_Lb0ESR_SS_SU_SV_SZ_EES10_S11_S12_S13_S17_S18_S19_S1C_S1D_jS1E_jS1F_S1F_jjS1H_bEUljE0_EEES10_S11_S12_S19_S1D_S1F_T6_T7_T9_mT8_S1H_bDpT10_ENKUlT_T0_E_clISt17integral_constantIbLb1EES1V_EEDaS1Q_S1R_EUlS1Q_E_NS1_11comp_targetILNS1_3genE2ELNS1_11target_archE906ELNS1_3gpuE6ELNS1_3repE0EEENS1_30default_config_static_selectorELNS0_4arch9wavefront6targetE0EEEvS13_, .Lfunc_end1987-_ZN7rocprim17ROCPRIM_400000_NS6detail17trampoline_kernelINS0_13select_configILj256ELj13ELNS0_17block_load_methodE3ELS4_3ELS4_3ELNS0_20block_scan_algorithmE0ELj4294967295EEENS1_25partition_config_selectorILNS1_17partition_subalgoE4EjNS0_10empty_typeEbEEZZNS1_14partition_implILS8_4ELb0ES6_15HIP_vector_typeIjLj2EENS0_17counting_iteratorIjlEEPS9_SG_NS0_5tupleIJPjSI_NS0_16reverse_iteratorISI_EEEEENSH_IJSG_SG_SG_EEES9_SI_JZNS1_25segmented_radix_sort_implINS0_14default_configELb0EPK12hip_bfloat16PSP_PKlPlN2at6native12_GLOBAL__N_18offset_tEEE10hipError_tPvRmT1_PNSt15iterator_traitsIS13_E10value_typeET2_T3_PNS14_IS19_E10value_typeET4_jRbjT5_S1F_jjP12ihipStream_tbEUljE_ZNSN_ISO_Lb0ESR_SS_SU_SV_SZ_EES10_S11_S12_S13_S17_S18_S19_S1C_S1D_jS1E_jS1F_S1F_jjS1H_bEUljE0_EEES10_S11_S12_S19_S1D_S1F_T6_T7_T9_mT8_S1H_bDpT10_ENKUlT_T0_E_clISt17integral_constantIbLb1EES1V_EEDaS1Q_S1R_EUlS1Q_E_NS1_11comp_targetILNS1_3genE2ELNS1_11target_archE906ELNS1_3gpuE6ELNS1_3repE0EEENS1_30default_config_static_selectorELNS0_4arch9wavefront6targetE0EEEvS13_
                                        ; -- End function
	.set _ZN7rocprim17ROCPRIM_400000_NS6detail17trampoline_kernelINS0_13select_configILj256ELj13ELNS0_17block_load_methodE3ELS4_3ELS4_3ELNS0_20block_scan_algorithmE0ELj4294967295EEENS1_25partition_config_selectorILNS1_17partition_subalgoE4EjNS0_10empty_typeEbEEZZNS1_14partition_implILS8_4ELb0ES6_15HIP_vector_typeIjLj2EENS0_17counting_iteratorIjlEEPS9_SG_NS0_5tupleIJPjSI_NS0_16reverse_iteratorISI_EEEEENSH_IJSG_SG_SG_EEES9_SI_JZNS1_25segmented_radix_sort_implINS0_14default_configELb0EPK12hip_bfloat16PSP_PKlPlN2at6native12_GLOBAL__N_18offset_tEEE10hipError_tPvRmT1_PNSt15iterator_traitsIS13_E10value_typeET2_T3_PNS14_IS19_E10value_typeET4_jRbjT5_S1F_jjP12ihipStream_tbEUljE_ZNSN_ISO_Lb0ESR_SS_SU_SV_SZ_EES10_S11_S12_S13_S17_S18_S19_S1C_S1D_jS1E_jS1F_S1F_jjS1H_bEUljE0_EEES10_S11_S12_S19_S1D_S1F_T6_T7_T9_mT8_S1H_bDpT10_ENKUlT_T0_E_clISt17integral_constantIbLb1EES1V_EEDaS1Q_S1R_EUlS1Q_E_NS1_11comp_targetILNS1_3genE2ELNS1_11target_archE906ELNS1_3gpuE6ELNS1_3repE0EEENS1_30default_config_static_selectorELNS0_4arch9wavefront6targetE0EEEvS13_.num_vgpr, 0
	.set _ZN7rocprim17ROCPRIM_400000_NS6detail17trampoline_kernelINS0_13select_configILj256ELj13ELNS0_17block_load_methodE3ELS4_3ELS4_3ELNS0_20block_scan_algorithmE0ELj4294967295EEENS1_25partition_config_selectorILNS1_17partition_subalgoE4EjNS0_10empty_typeEbEEZZNS1_14partition_implILS8_4ELb0ES6_15HIP_vector_typeIjLj2EENS0_17counting_iteratorIjlEEPS9_SG_NS0_5tupleIJPjSI_NS0_16reverse_iteratorISI_EEEEENSH_IJSG_SG_SG_EEES9_SI_JZNS1_25segmented_radix_sort_implINS0_14default_configELb0EPK12hip_bfloat16PSP_PKlPlN2at6native12_GLOBAL__N_18offset_tEEE10hipError_tPvRmT1_PNSt15iterator_traitsIS13_E10value_typeET2_T3_PNS14_IS19_E10value_typeET4_jRbjT5_S1F_jjP12ihipStream_tbEUljE_ZNSN_ISO_Lb0ESR_SS_SU_SV_SZ_EES10_S11_S12_S13_S17_S18_S19_S1C_S1D_jS1E_jS1F_S1F_jjS1H_bEUljE0_EEES10_S11_S12_S19_S1D_S1F_T6_T7_T9_mT8_S1H_bDpT10_ENKUlT_T0_E_clISt17integral_constantIbLb1EES1V_EEDaS1Q_S1R_EUlS1Q_E_NS1_11comp_targetILNS1_3genE2ELNS1_11target_archE906ELNS1_3gpuE6ELNS1_3repE0EEENS1_30default_config_static_selectorELNS0_4arch9wavefront6targetE0EEEvS13_.num_agpr, 0
	.set _ZN7rocprim17ROCPRIM_400000_NS6detail17trampoline_kernelINS0_13select_configILj256ELj13ELNS0_17block_load_methodE3ELS4_3ELS4_3ELNS0_20block_scan_algorithmE0ELj4294967295EEENS1_25partition_config_selectorILNS1_17partition_subalgoE4EjNS0_10empty_typeEbEEZZNS1_14partition_implILS8_4ELb0ES6_15HIP_vector_typeIjLj2EENS0_17counting_iteratorIjlEEPS9_SG_NS0_5tupleIJPjSI_NS0_16reverse_iteratorISI_EEEEENSH_IJSG_SG_SG_EEES9_SI_JZNS1_25segmented_radix_sort_implINS0_14default_configELb0EPK12hip_bfloat16PSP_PKlPlN2at6native12_GLOBAL__N_18offset_tEEE10hipError_tPvRmT1_PNSt15iterator_traitsIS13_E10value_typeET2_T3_PNS14_IS19_E10value_typeET4_jRbjT5_S1F_jjP12ihipStream_tbEUljE_ZNSN_ISO_Lb0ESR_SS_SU_SV_SZ_EES10_S11_S12_S13_S17_S18_S19_S1C_S1D_jS1E_jS1F_S1F_jjS1H_bEUljE0_EEES10_S11_S12_S19_S1D_S1F_T6_T7_T9_mT8_S1H_bDpT10_ENKUlT_T0_E_clISt17integral_constantIbLb1EES1V_EEDaS1Q_S1R_EUlS1Q_E_NS1_11comp_targetILNS1_3genE2ELNS1_11target_archE906ELNS1_3gpuE6ELNS1_3repE0EEENS1_30default_config_static_selectorELNS0_4arch9wavefront6targetE0EEEvS13_.numbered_sgpr, 0
	.set _ZN7rocprim17ROCPRIM_400000_NS6detail17trampoline_kernelINS0_13select_configILj256ELj13ELNS0_17block_load_methodE3ELS4_3ELS4_3ELNS0_20block_scan_algorithmE0ELj4294967295EEENS1_25partition_config_selectorILNS1_17partition_subalgoE4EjNS0_10empty_typeEbEEZZNS1_14partition_implILS8_4ELb0ES6_15HIP_vector_typeIjLj2EENS0_17counting_iteratorIjlEEPS9_SG_NS0_5tupleIJPjSI_NS0_16reverse_iteratorISI_EEEEENSH_IJSG_SG_SG_EEES9_SI_JZNS1_25segmented_radix_sort_implINS0_14default_configELb0EPK12hip_bfloat16PSP_PKlPlN2at6native12_GLOBAL__N_18offset_tEEE10hipError_tPvRmT1_PNSt15iterator_traitsIS13_E10value_typeET2_T3_PNS14_IS19_E10value_typeET4_jRbjT5_S1F_jjP12ihipStream_tbEUljE_ZNSN_ISO_Lb0ESR_SS_SU_SV_SZ_EES10_S11_S12_S13_S17_S18_S19_S1C_S1D_jS1E_jS1F_S1F_jjS1H_bEUljE0_EEES10_S11_S12_S19_S1D_S1F_T6_T7_T9_mT8_S1H_bDpT10_ENKUlT_T0_E_clISt17integral_constantIbLb1EES1V_EEDaS1Q_S1R_EUlS1Q_E_NS1_11comp_targetILNS1_3genE2ELNS1_11target_archE906ELNS1_3gpuE6ELNS1_3repE0EEENS1_30default_config_static_selectorELNS0_4arch9wavefront6targetE0EEEvS13_.num_named_barrier, 0
	.set _ZN7rocprim17ROCPRIM_400000_NS6detail17trampoline_kernelINS0_13select_configILj256ELj13ELNS0_17block_load_methodE3ELS4_3ELS4_3ELNS0_20block_scan_algorithmE0ELj4294967295EEENS1_25partition_config_selectorILNS1_17partition_subalgoE4EjNS0_10empty_typeEbEEZZNS1_14partition_implILS8_4ELb0ES6_15HIP_vector_typeIjLj2EENS0_17counting_iteratorIjlEEPS9_SG_NS0_5tupleIJPjSI_NS0_16reverse_iteratorISI_EEEEENSH_IJSG_SG_SG_EEES9_SI_JZNS1_25segmented_radix_sort_implINS0_14default_configELb0EPK12hip_bfloat16PSP_PKlPlN2at6native12_GLOBAL__N_18offset_tEEE10hipError_tPvRmT1_PNSt15iterator_traitsIS13_E10value_typeET2_T3_PNS14_IS19_E10value_typeET4_jRbjT5_S1F_jjP12ihipStream_tbEUljE_ZNSN_ISO_Lb0ESR_SS_SU_SV_SZ_EES10_S11_S12_S13_S17_S18_S19_S1C_S1D_jS1E_jS1F_S1F_jjS1H_bEUljE0_EEES10_S11_S12_S19_S1D_S1F_T6_T7_T9_mT8_S1H_bDpT10_ENKUlT_T0_E_clISt17integral_constantIbLb1EES1V_EEDaS1Q_S1R_EUlS1Q_E_NS1_11comp_targetILNS1_3genE2ELNS1_11target_archE906ELNS1_3gpuE6ELNS1_3repE0EEENS1_30default_config_static_selectorELNS0_4arch9wavefront6targetE0EEEvS13_.private_seg_size, 0
	.set _ZN7rocprim17ROCPRIM_400000_NS6detail17trampoline_kernelINS0_13select_configILj256ELj13ELNS0_17block_load_methodE3ELS4_3ELS4_3ELNS0_20block_scan_algorithmE0ELj4294967295EEENS1_25partition_config_selectorILNS1_17partition_subalgoE4EjNS0_10empty_typeEbEEZZNS1_14partition_implILS8_4ELb0ES6_15HIP_vector_typeIjLj2EENS0_17counting_iteratorIjlEEPS9_SG_NS0_5tupleIJPjSI_NS0_16reverse_iteratorISI_EEEEENSH_IJSG_SG_SG_EEES9_SI_JZNS1_25segmented_radix_sort_implINS0_14default_configELb0EPK12hip_bfloat16PSP_PKlPlN2at6native12_GLOBAL__N_18offset_tEEE10hipError_tPvRmT1_PNSt15iterator_traitsIS13_E10value_typeET2_T3_PNS14_IS19_E10value_typeET4_jRbjT5_S1F_jjP12ihipStream_tbEUljE_ZNSN_ISO_Lb0ESR_SS_SU_SV_SZ_EES10_S11_S12_S13_S17_S18_S19_S1C_S1D_jS1E_jS1F_S1F_jjS1H_bEUljE0_EEES10_S11_S12_S19_S1D_S1F_T6_T7_T9_mT8_S1H_bDpT10_ENKUlT_T0_E_clISt17integral_constantIbLb1EES1V_EEDaS1Q_S1R_EUlS1Q_E_NS1_11comp_targetILNS1_3genE2ELNS1_11target_archE906ELNS1_3gpuE6ELNS1_3repE0EEENS1_30default_config_static_selectorELNS0_4arch9wavefront6targetE0EEEvS13_.uses_vcc, 0
	.set _ZN7rocprim17ROCPRIM_400000_NS6detail17trampoline_kernelINS0_13select_configILj256ELj13ELNS0_17block_load_methodE3ELS4_3ELS4_3ELNS0_20block_scan_algorithmE0ELj4294967295EEENS1_25partition_config_selectorILNS1_17partition_subalgoE4EjNS0_10empty_typeEbEEZZNS1_14partition_implILS8_4ELb0ES6_15HIP_vector_typeIjLj2EENS0_17counting_iteratorIjlEEPS9_SG_NS0_5tupleIJPjSI_NS0_16reverse_iteratorISI_EEEEENSH_IJSG_SG_SG_EEES9_SI_JZNS1_25segmented_radix_sort_implINS0_14default_configELb0EPK12hip_bfloat16PSP_PKlPlN2at6native12_GLOBAL__N_18offset_tEEE10hipError_tPvRmT1_PNSt15iterator_traitsIS13_E10value_typeET2_T3_PNS14_IS19_E10value_typeET4_jRbjT5_S1F_jjP12ihipStream_tbEUljE_ZNSN_ISO_Lb0ESR_SS_SU_SV_SZ_EES10_S11_S12_S13_S17_S18_S19_S1C_S1D_jS1E_jS1F_S1F_jjS1H_bEUljE0_EEES10_S11_S12_S19_S1D_S1F_T6_T7_T9_mT8_S1H_bDpT10_ENKUlT_T0_E_clISt17integral_constantIbLb1EES1V_EEDaS1Q_S1R_EUlS1Q_E_NS1_11comp_targetILNS1_3genE2ELNS1_11target_archE906ELNS1_3gpuE6ELNS1_3repE0EEENS1_30default_config_static_selectorELNS0_4arch9wavefront6targetE0EEEvS13_.uses_flat_scratch, 0
	.set _ZN7rocprim17ROCPRIM_400000_NS6detail17trampoline_kernelINS0_13select_configILj256ELj13ELNS0_17block_load_methodE3ELS4_3ELS4_3ELNS0_20block_scan_algorithmE0ELj4294967295EEENS1_25partition_config_selectorILNS1_17partition_subalgoE4EjNS0_10empty_typeEbEEZZNS1_14partition_implILS8_4ELb0ES6_15HIP_vector_typeIjLj2EENS0_17counting_iteratorIjlEEPS9_SG_NS0_5tupleIJPjSI_NS0_16reverse_iteratorISI_EEEEENSH_IJSG_SG_SG_EEES9_SI_JZNS1_25segmented_radix_sort_implINS0_14default_configELb0EPK12hip_bfloat16PSP_PKlPlN2at6native12_GLOBAL__N_18offset_tEEE10hipError_tPvRmT1_PNSt15iterator_traitsIS13_E10value_typeET2_T3_PNS14_IS19_E10value_typeET4_jRbjT5_S1F_jjP12ihipStream_tbEUljE_ZNSN_ISO_Lb0ESR_SS_SU_SV_SZ_EES10_S11_S12_S13_S17_S18_S19_S1C_S1D_jS1E_jS1F_S1F_jjS1H_bEUljE0_EEES10_S11_S12_S19_S1D_S1F_T6_T7_T9_mT8_S1H_bDpT10_ENKUlT_T0_E_clISt17integral_constantIbLb1EES1V_EEDaS1Q_S1R_EUlS1Q_E_NS1_11comp_targetILNS1_3genE2ELNS1_11target_archE906ELNS1_3gpuE6ELNS1_3repE0EEENS1_30default_config_static_selectorELNS0_4arch9wavefront6targetE0EEEvS13_.has_dyn_sized_stack, 0
	.set _ZN7rocprim17ROCPRIM_400000_NS6detail17trampoline_kernelINS0_13select_configILj256ELj13ELNS0_17block_load_methodE3ELS4_3ELS4_3ELNS0_20block_scan_algorithmE0ELj4294967295EEENS1_25partition_config_selectorILNS1_17partition_subalgoE4EjNS0_10empty_typeEbEEZZNS1_14partition_implILS8_4ELb0ES6_15HIP_vector_typeIjLj2EENS0_17counting_iteratorIjlEEPS9_SG_NS0_5tupleIJPjSI_NS0_16reverse_iteratorISI_EEEEENSH_IJSG_SG_SG_EEES9_SI_JZNS1_25segmented_radix_sort_implINS0_14default_configELb0EPK12hip_bfloat16PSP_PKlPlN2at6native12_GLOBAL__N_18offset_tEEE10hipError_tPvRmT1_PNSt15iterator_traitsIS13_E10value_typeET2_T3_PNS14_IS19_E10value_typeET4_jRbjT5_S1F_jjP12ihipStream_tbEUljE_ZNSN_ISO_Lb0ESR_SS_SU_SV_SZ_EES10_S11_S12_S13_S17_S18_S19_S1C_S1D_jS1E_jS1F_S1F_jjS1H_bEUljE0_EEES10_S11_S12_S19_S1D_S1F_T6_T7_T9_mT8_S1H_bDpT10_ENKUlT_T0_E_clISt17integral_constantIbLb1EES1V_EEDaS1Q_S1R_EUlS1Q_E_NS1_11comp_targetILNS1_3genE2ELNS1_11target_archE906ELNS1_3gpuE6ELNS1_3repE0EEENS1_30default_config_static_selectorELNS0_4arch9wavefront6targetE0EEEvS13_.has_recursion, 0
	.set _ZN7rocprim17ROCPRIM_400000_NS6detail17trampoline_kernelINS0_13select_configILj256ELj13ELNS0_17block_load_methodE3ELS4_3ELS4_3ELNS0_20block_scan_algorithmE0ELj4294967295EEENS1_25partition_config_selectorILNS1_17partition_subalgoE4EjNS0_10empty_typeEbEEZZNS1_14partition_implILS8_4ELb0ES6_15HIP_vector_typeIjLj2EENS0_17counting_iteratorIjlEEPS9_SG_NS0_5tupleIJPjSI_NS0_16reverse_iteratorISI_EEEEENSH_IJSG_SG_SG_EEES9_SI_JZNS1_25segmented_radix_sort_implINS0_14default_configELb0EPK12hip_bfloat16PSP_PKlPlN2at6native12_GLOBAL__N_18offset_tEEE10hipError_tPvRmT1_PNSt15iterator_traitsIS13_E10value_typeET2_T3_PNS14_IS19_E10value_typeET4_jRbjT5_S1F_jjP12ihipStream_tbEUljE_ZNSN_ISO_Lb0ESR_SS_SU_SV_SZ_EES10_S11_S12_S13_S17_S18_S19_S1C_S1D_jS1E_jS1F_S1F_jjS1H_bEUljE0_EEES10_S11_S12_S19_S1D_S1F_T6_T7_T9_mT8_S1H_bDpT10_ENKUlT_T0_E_clISt17integral_constantIbLb1EES1V_EEDaS1Q_S1R_EUlS1Q_E_NS1_11comp_targetILNS1_3genE2ELNS1_11target_archE906ELNS1_3gpuE6ELNS1_3repE0EEENS1_30default_config_static_selectorELNS0_4arch9wavefront6targetE0EEEvS13_.has_indirect_call, 0
	.section	.AMDGPU.csdata,"",@progbits
; Kernel info:
; codeLenInByte = 0
; TotalNumSgprs: 0
; NumVgprs: 0
; ScratchSize: 0
; MemoryBound: 0
; FloatMode: 240
; IeeeMode: 1
; LDSByteSize: 0 bytes/workgroup (compile time only)
; SGPRBlocks: 0
; VGPRBlocks: 0
; NumSGPRsForWavesPerEU: 1
; NumVGPRsForWavesPerEU: 1
; NamedBarCnt: 0
; Occupancy: 16
; WaveLimiterHint : 0
; COMPUTE_PGM_RSRC2:SCRATCH_EN: 0
; COMPUTE_PGM_RSRC2:USER_SGPR: 2
; COMPUTE_PGM_RSRC2:TRAP_HANDLER: 0
; COMPUTE_PGM_RSRC2:TGID_X_EN: 1
; COMPUTE_PGM_RSRC2:TGID_Y_EN: 0
; COMPUTE_PGM_RSRC2:TGID_Z_EN: 0
; COMPUTE_PGM_RSRC2:TIDIG_COMP_CNT: 0
	.section	.text._ZN7rocprim17ROCPRIM_400000_NS6detail17trampoline_kernelINS0_13select_configILj256ELj13ELNS0_17block_load_methodE3ELS4_3ELS4_3ELNS0_20block_scan_algorithmE0ELj4294967295EEENS1_25partition_config_selectorILNS1_17partition_subalgoE4EjNS0_10empty_typeEbEEZZNS1_14partition_implILS8_4ELb0ES6_15HIP_vector_typeIjLj2EENS0_17counting_iteratorIjlEEPS9_SG_NS0_5tupleIJPjSI_NS0_16reverse_iteratorISI_EEEEENSH_IJSG_SG_SG_EEES9_SI_JZNS1_25segmented_radix_sort_implINS0_14default_configELb0EPK12hip_bfloat16PSP_PKlPlN2at6native12_GLOBAL__N_18offset_tEEE10hipError_tPvRmT1_PNSt15iterator_traitsIS13_E10value_typeET2_T3_PNS14_IS19_E10value_typeET4_jRbjT5_S1F_jjP12ihipStream_tbEUljE_ZNSN_ISO_Lb0ESR_SS_SU_SV_SZ_EES10_S11_S12_S13_S17_S18_S19_S1C_S1D_jS1E_jS1F_S1F_jjS1H_bEUljE0_EEES10_S11_S12_S19_S1D_S1F_T6_T7_T9_mT8_S1H_bDpT10_ENKUlT_T0_E_clISt17integral_constantIbLb1EES1V_EEDaS1Q_S1R_EUlS1Q_E_NS1_11comp_targetILNS1_3genE10ELNS1_11target_archE1200ELNS1_3gpuE4ELNS1_3repE0EEENS1_30default_config_static_selectorELNS0_4arch9wavefront6targetE0EEEvS13_,"axG",@progbits,_ZN7rocprim17ROCPRIM_400000_NS6detail17trampoline_kernelINS0_13select_configILj256ELj13ELNS0_17block_load_methodE3ELS4_3ELS4_3ELNS0_20block_scan_algorithmE0ELj4294967295EEENS1_25partition_config_selectorILNS1_17partition_subalgoE4EjNS0_10empty_typeEbEEZZNS1_14partition_implILS8_4ELb0ES6_15HIP_vector_typeIjLj2EENS0_17counting_iteratorIjlEEPS9_SG_NS0_5tupleIJPjSI_NS0_16reverse_iteratorISI_EEEEENSH_IJSG_SG_SG_EEES9_SI_JZNS1_25segmented_radix_sort_implINS0_14default_configELb0EPK12hip_bfloat16PSP_PKlPlN2at6native12_GLOBAL__N_18offset_tEEE10hipError_tPvRmT1_PNSt15iterator_traitsIS13_E10value_typeET2_T3_PNS14_IS19_E10value_typeET4_jRbjT5_S1F_jjP12ihipStream_tbEUljE_ZNSN_ISO_Lb0ESR_SS_SU_SV_SZ_EES10_S11_S12_S13_S17_S18_S19_S1C_S1D_jS1E_jS1F_S1F_jjS1H_bEUljE0_EEES10_S11_S12_S19_S1D_S1F_T6_T7_T9_mT8_S1H_bDpT10_ENKUlT_T0_E_clISt17integral_constantIbLb1EES1V_EEDaS1Q_S1R_EUlS1Q_E_NS1_11comp_targetILNS1_3genE10ELNS1_11target_archE1200ELNS1_3gpuE4ELNS1_3repE0EEENS1_30default_config_static_selectorELNS0_4arch9wavefront6targetE0EEEvS13_,comdat
	.globl	_ZN7rocprim17ROCPRIM_400000_NS6detail17trampoline_kernelINS0_13select_configILj256ELj13ELNS0_17block_load_methodE3ELS4_3ELS4_3ELNS0_20block_scan_algorithmE0ELj4294967295EEENS1_25partition_config_selectorILNS1_17partition_subalgoE4EjNS0_10empty_typeEbEEZZNS1_14partition_implILS8_4ELb0ES6_15HIP_vector_typeIjLj2EENS0_17counting_iteratorIjlEEPS9_SG_NS0_5tupleIJPjSI_NS0_16reverse_iteratorISI_EEEEENSH_IJSG_SG_SG_EEES9_SI_JZNS1_25segmented_radix_sort_implINS0_14default_configELb0EPK12hip_bfloat16PSP_PKlPlN2at6native12_GLOBAL__N_18offset_tEEE10hipError_tPvRmT1_PNSt15iterator_traitsIS13_E10value_typeET2_T3_PNS14_IS19_E10value_typeET4_jRbjT5_S1F_jjP12ihipStream_tbEUljE_ZNSN_ISO_Lb0ESR_SS_SU_SV_SZ_EES10_S11_S12_S13_S17_S18_S19_S1C_S1D_jS1E_jS1F_S1F_jjS1H_bEUljE0_EEES10_S11_S12_S19_S1D_S1F_T6_T7_T9_mT8_S1H_bDpT10_ENKUlT_T0_E_clISt17integral_constantIbLb1EES1V_EEDaS1Q_S1R_EUlS1Q_E_NS1_11comp_targetILNS1_3genE10ELNS1_11target_archE1200ELNS1_3gpuE4ELNS1_3repE0EEENS1_30default_config_static_selectorELNS0_4arch9wavefront6targetE0EEEvS13_ ; -- Begin function _ZN7rocprim17ROCPRIM_400000_NS6detail17trampoline_kernelINS0_13select_configILj256ELj13ELNS0_17block_load_methodE3ELS4_3ELS4_3ELNS0_20block_scan_algorithmE0ELj4294967295EEENS1_25partition_config_selectorILNS1_17partition_subalgoE4EjNS0_10empty_typeEbEEZZNS1_14partition_implILS8_4ELb0ES6_15HIP_vector_typeIjLj2EENS0_17counting_iteratorIjlEEPS9_SG_NS0_5tupleIJPjSI_NS0_16reverse_iteratorISI_EEEEENSH_IJSG_SG_SG_EEES9_SI_JZNS1_25segmented_radix_sort_implINS0_14default_configELb0EPK12hip_bfloat16PSP_PKlPlN2at6native12_GLOBAL__N_18offset_tEEE10hipError_tPvRmT1_PNSt15iterator_traitsIS13_E10value_typeET2_T3_PNS14_IS19_E10value_typeET4_jRbjT5_S1F_jjP12ihipStream_tbEUljE_ZNSN_ISO_Lb0ESR_SS_SU_SV_SZ_EES10_S11_S12_S13_S17_S18_S19_S1C_S1D_jS1E_jS1F_S1F_jjS1H_bEUljE0_EEES10_S11_S12_S19_S1D_S1F_T6_T7_T9_mT8_S1H_bDpT10_ENKUlT_T0_E_clISt17integral_constantIbLb1EES1V_EEDaS1Q_S1R_EUlS1Q_E_NS1_11comp_targetILNS1_3genE10ELNS1_11target_archE1200ELNS1_3gpuE4ELNS1_3repE0EEENS1_30default_config_static_selectorELNS0_4arch9wavefront6targetE0EEEvS13_
	.p2align	8
	.type	_ZN7rocprim17ROCPRIM_400000_NS6detail17trampoline_kernelINS0_13select_configILj256ELj13ELNS0_17block_load_methodE3ELS4_3ELS4_3ELNS0_20block_scan_algorithmE0ELj4294967295EEENS1_25partition_config_selectorILNS1_17partition_subalgoE4EjNS0_10empty_typeEbEEZZNS1_14partition_implILS8_4ELb0ES6_15HIP_vector_typeIjLj2EENS0_17counting_iteratorIjlEEPS9_SG_NS0_5tupleIJPjSI_NS0_16reverse_iteratorISI_EEEEENSH_IJSG_SG_SG_EEES9_SI_JZNS1_25segmented_radix_sort_implINS0_14default_configELb0EPK12hip_bfloat16PSP_PKlPlN2at6native12_GLOBAL__N_18offset_tEEE10hipError_tPvRmT1_PNSt15iterator_traitsIS13_E10value_typeET2_T3_PNS14_IS19_E10value_typeET4_jRbjT5_S1F_jjP12ihipStream_tbEUljE_ZNSN_ISO_Lb0ESR_SS_SU_SV_SZ_EES10_S11_S12_S13_S17_S18_S19_S1C_S1D_jS1E_jS1F_S1F_jjS1H_bEUljE0_EEES10_S11_S12_S19_S1D_S1F_T6_T7_T9_mT8_S1H_bDpT10_ENKUlT_T0_E_clISt17integral_constantIbLb1EES1V_EEDaS1Q_S1R_EUlS1Q_E_NS1_11comp_targetILNS1_3genE10ELNS1_11target_archE1200ELNS1_3gpuE4ELNS1_3repE0EEENS1_30default_config_static_selectorELNS0_4arch9wavefront6targetE0EEEvS13_,@function
_ZN7rocprim17ROCPRIM_400000_NS6detail17trampoline_kernelINS0_13select_configILj256ELj13ELNS0_17block_load_methodE3ELS4_3ELS4_3ELNS0_20block_scan_algorithmE0ELj4294967295EEENS1_25partition_config_selectorILNS1_17partition_subalgoE4EjNS0_10empty_typeEbEEZZNS1_14partition_implILS8_4ELb0ES6_15HIP_vector_typeIjLj2EENS0_17counting_iteratorIjlEEPS9_SG_NS0_5tupleIJPjSI_NS0_16reverse_iteratorISI_EEEEENSH_IJSG_SG_SG_EEES9_SI_JZNS1_25segmented_radix_sort_implINS0_14default_configELb0EPK12hip_bfloat16PSP_PKlPlN2at6native12_GLOBAL__N_18offset_tEEE10hipError_tPvRmT1_PNSt15iterator_traitsIS13_E10value_typeET2_T3_PNS14_IS19_E10value_typeET4_jRbjT5_S1F_jjP12ihipStream_tbEUljE_ZNSN_ISO_Lb0ESR_SS_SU_SV_SZ_EES10_S11_S12_S13_S17_S18_S19_S1C_S1D_jS1E_jS1F_S1F_jjS1H_bEUljE0_EEES10_S11_S12_S19_S1D_S1F_T6_T7_T9_mT8_S1H_bDpT10_ENKUlT_T0_E_clISt17integral_constantIbLb1EES1V_EEDaS1Q_S1R_EUlS1Q_E_NS1_11comp_targetILNS1_3genE10ELNS1_11target_archE1200ELNS1_3gpuE4ELNS1_3repE0EEENS1_30default_config_static_selectorELNS0_4arch9wavefront6targetE0EEEvS13_: ; @_ZN7rocprim17ROCPRIM_400000_NS6detail17trampoline_kernelINS0_13select_configILj256ELj13ELNS0_17block_load_methodE3ELS4_3ELS4_3ELNS0_20block_scan_algorithmE0ELj4294967295EEENS1_25partition_config_selectorILNS1_17partition_subalgoE4EjNS0_10empty_typeEbEEZZNS1_14partition_implILS8_4ELb0ES6_15HIP_vector_typeIjLj2EENS0_17counting_iteratorIjlEEPS9_SG_NS0_5tupleIJPjSI_NS0_16reverse_iteratorISI_EEEEENSH_IJSG_SG_SG_EEES9_SI_JZNS1_25segmented_radix_sort_implINS0_14default_configELb0EPK12hip_bfloat16PSP_PKlPlN2at6native12_GLOBAL__N_18offset_tEEE10hipError_tPvRmT1_PNSt15iterator_traitsIS13_E10value_typeET2_T3_PNS14_IS19_E10value_typeET4_jRbjT5_S1F_jjP12ihipStream_tbEUljE_ZNSN_ISO_Lb0ESR_SS_SU_SV_SZ_EES10_S11_S12_S13_S17_S18_S19_S1C_S1D_jS1E_jS1F_S1F_jjS1H_bEUljE0_EEES10_S11_S12_S19_S1D_S1F_T6_T7_T9_mT8_S1H_bDpT10_ENKUlT_T0_E_clISt17integral_constantIbLb1EES1V_EEDaS1Q_S1R_EUlS1Q_E_NS1_11comp_targetILNS1_3genE10ELNS1_11target_archE1200ELNS1_3gpuE4ELNS1_3repE0EEENS1_30default_config_static_selectorELNS0_4arch9wavefront6targetE0EEEvS13_
; %bb.0:
	.section	.rodata,"a",@progbits
	.p2align	6, 0x0
	.amdhsa_kernel _ZN7rocprim17ROCPRIM_400000_NS6detail17trampoline_kernelINS0_13select_configILj256ELj13ELNS0_17block_load_methodE3ELS4_3ELS4_3ELNS0_20block_scan_algorithmE0ELj4294967295EEENS1_25partition_config_selectorILNS1_17partition_subalgoE4EjNS0_10empty_typeEbEEZZNS1_14partition_implILS8_4ELb0ES6_15HIP_vector_typeIjLj2EENS0_17counting_iteratorIjlEEPS9_SG_NS0_5tupleIJPjSI_NS0_16reverse_iteratorISI_EEEEENSH_IJSG_SG_SG_EEES9_SI_JZNS1_25segmented_radix_sort_implINS0_14default_configELb0EPK12hip_bfloat16PSP_PKlPlN2at6native12_GLOBAL__N_18offset_tEEE10hipError_tPvRmT1_PNSt15iterator_traitsIS13_E10value_typeET2_T3_PNS14_IS19_E10value_typeET4_jRbjT5_S1F_jjP12ihipStream_tbEUljE_ZNSN_ISO_Lb0ESR_SS_SU_SV_SZ_EES10_S11_S12_S13_S17_S18_S19_S1C_S1D_jS1E_jS1F_S1F_jjS1H_bEUljE0_EEES10_S11_S12_S19_S1D_S1F_T6_T7_T9_mT8_S1H_bDpT10_ENKUlT_T0_E_clISt17integral_constantIbLb1EES1V_EEDaS1Q_S1R_EUlS1Q_E_NS1_11comp_targetILNS1_3genE10ELNS1_11target_archE1200ELNS1_3gpuE4ELNS1_3repE0EEENS1_30default_config_static_selectorELNS0_4arch9wavefront6targetE0EEEvS13_
		.amdhsa_group_segment_fixed_size 0
		.amdhsa_private_segment_fixed_size 0
		.amdhsa_kernarg_size 184
		.amdhsa_user_sgpr_count 2
		.amdhsa_user_sgpr_dispatch_ptr 0
		.amdhsa_user_sgpr_queue_ptr 0
		.amdhsa_user_sgpr_kernarg_segment_ptr 1
		.amdhsa_user_sgpr_dispatch_id 0
		.amdhsa_user_sgpr_kernarg_preload_length 0
		.amdhsa_user_sgpr_kernarg_preload_offset 0
		.amdhsa_user_sgpr_private_segment_size 0
		.amdhsa_wavefront_size32 1
		.amdhsa_uses_dynamic_stack 0
		.amdhsa_enable_private_segment 0
		.amdhsa_system_sgpr_workgroup_id_x 1
		.amdhsa_system_sgpr_workgroup_id_y 0
		.amdhsa_system_sgpr_workgroup_id_z 0
		.amdhsa_system_sgpr_workgroup_info 0
		.amdhsa_system_vgpr_workitem_id 0
		.amdhsa_next_free_vgpr 1
		.amdhsa_next_free_sgpr 1
		.amdhsa_named_barrier_count 0
		.amdhsa_reserve_vcc 0
		.amdhsa_float_round_mode_32 0
		.amdhsa_float_round_mode_16_64 0
		.amdhsa_float_denorm_mode_32 3
		.amdhsa_float_denorm_mode_16_64 3
		.amdhsa_fp16_overflow 0
		.amdhsa_memory_ordered 1
		.amdhsa_forward_progress 1
		.amdhsa_inst_pref_size 0
		.amdhsa_round_robin_scheduling 0
		.amdhsa_exception_fp_ieee_invalid_op 0
		.amdhsa_exception_fp_denorm_src 0
		.amdhsa_exception_fp_ieee_div_zero 0
		.amdhsa_exception_fp_ieee_overflow 0
		.amdhsa_exception_fp_ieee_underflow 0
		.amdhsa_exception_fp_ieee_inexact 0
		.amdhsa_exception_int_div_zero 0
	.end_amdhsa_kernel
	.section	.text._ZN7rocprim17ROCPRIM_400000_NS6detail17trampoline_kernelINS0_13select_configILj256ELj13ELNS0_17block_load_methodE3ELS4_3ELS4_3ELNS0_20block_scan_algorithmE0ELj4294967295EEENS1_25partition_config_selectorILNS1_17partition_subalgoE4EjNS0_10empty_typeEbEEZZNS1_14partition_implILS8_4ELb0ES6_15HIP_vector_typeIjLj2EENS0_17counting_iteratorIjlEEPS9_SG_NS0_5tupleIJPjSI_NS0_16reverse_iteratorISI_EEEEENSH_IJSG_SG_SG_EEES9_SI_JZNS1_25segmented_radix_sort_implINS0_14default_configELb0EPK12hip_bfloat16PSP_PKlPlN2at6native12_GLOBAL__N_18offset_tEEE10hipError_tPvRmT1_PNSt15iterator_traitsIS13_E10value_typeET2_T3_PNS14_IS19_E10value_typeET4_jRbjT5_S1F_jjP12ihipStream_tbEUljE_ZNSN_ISO_Lb0ESR_SS_SU_SV_SZ_EES10_S11_S12_S13_S17_S18_S19_S1C_S1D_jS1E_jS1F_S1F_jjS1H_bEUljE0_EEES10_S11_S12_S19_S1D_S1F_T6_T7_T9_mT8_S1H_bDpT10_ENKUlT_T0_E_clISt17integral_constantIbLb1EES1V_EEDaS1Q_S1R_EUlS1Q_E_NS1_11comp_targetILNS1_3genE10ELNS1_11target_archE1200ELNS1_3gpuE4ELNS1_3repE0EEENS1_30default_config_static_selectorELNS0_4arch9wavefront6targetE0EEEvS13_,"axG",@progbits,_ZN7rocprim17ROCPRIM_400000_NS6detail17trampoline_kernelINS0_13select_configILj256ELj13ELNS0_17block_load_methodE3ELS4_3ELS4_3ELNS0_20block_scan_algorithmE0ELj4294967295EEENS1_25partition_config_selectorILNS1_17partition_subalgoE4EjNS0_10empty_typeEbEEZZNS1_14partition_implILS8_4ELb0ES6_15HIP_vector_typeIjLj2EENS0_17counting_iteratorIjlEEPS9_SG_NS0_5tupleIJPjSI_NS0_16reverse_iteratorISI_EEEEENSH_IJSG_SG_SG_EEES9_SI_JZNS1_25segmented_radix_sort_implINS0_14default_configELb0EPK12hip_bfloat16PSP_PKlPlN2at6native12_GLOBAL__N_18offset_tEEE10hipError_tPvRmT1_PNSt15iterator_traitsIS13_E10value_typeET2_T3_PNS14_IS19_E10value_typeET4_jRbjT5_S1F_jjP12ihipStream_tbEUljE_ZNSN_ISO_Lb0ESR_SS_SU_SV_SZ_EES10_S11_S12_S13_S17_S18_S19_S1C_S1D_jS1E_jS1F_S1F_jjS1H_bEUljE0_EEES10_S11_S12_S19_S1D_S1F_T6_T7_T9_mT8_S1H_bDpT10_ENKUlT_T0_E_clISt17integral_constantIbLb1EES1V_EEDaS1Q_S1R_EUlS1Q_E_NS1_11comp_targetILNS1_3genE10ELNS1_11target_archE1200ELNS1_3gpuE4ELNS1_3repE0EEENS1_30default_config_static_selectorELNS0_4arch9wavefront6targetE0EEEvS13_,comdat
.Lfunc_end1988:
	.size	_ZN7rocprim17ROCPRIM_400000_NS6detail17trampoline_kernelINS0_13select_configILj256ELj13ELNS0_17block_load_methodE3ELS4_3ELS4_3ELNS0_20block_scan_algorithmE0ELj4294967295EEENS1_25partition_config_selectorILNS1_17partition_subalgoE4EjNS0_10empty_typeEbEEZZNS1_14partition_implILS8_4ELb0ES6_15HIP_vector_typeIjLj2EENS0_17counting_iteratorIjlEEPS9_SG_NS0_5tupleIJPjSI_NS0_16reverse_iteratorISI_EEEEENSH_IJSG_SG_SG_EEES9_SI_JZNS1_25segmented_radix_sort_implINS0_14default_configELb0EPK12hip_bfloat16PSP_PKlPlN2at6native12_GLOBAL__N_18offset_tEEE10hipError_tPvRmT1_PNSt15iterator_traitsIS13_E10value_typeET2_T3_PNS14_IS19_E10value_typeET4_jRbjT5_S1F_jjP12ihipStream_tbEUljE_ZNSN_ISO_Lb0ESR_SS_SU_SV_SZ_EES10_S11_S12_S13_S17_S18_S19_S1C_S1D_jS1E_jS1F_S1F_jjS1H_bEUljE0_EEES10_S11_S12_S19_S1D_S1F_T6_T7_T9_mT8_S1H_bDpT10_ENKUlT_T0_E_clISt17integral_constantIbLb1EES1V_EEDaS1Q_S1R_EUlS1Q_E_NS1_11comp_targetILNS1_3genE10ELNS1_11target_archE1200ELNS1_3gpuE4ELNS1_3repE0EEENS1_30default_config_static_selectorELNS0_4arch9wavefront6targetE0EEEvS13_, .Lfunc_end1988-_ZN7rocprim17ROCPRIM_400000_NS6detail17trampoline_kernelINS0_13select_configILj256ELj13ELNS0_17block_load_methodE3ELS4_3ELS4_3ELNS0_20block_scan_algorithmE0ELj4294967295EEENS1_25partition_config_selectorILNS1_17partition_subalgoE4EjNS0_10empty_typeEbEEZZNS1_14partition_implILS8_4ELb0ES6_15HIP_vector_typeIjLj2EENS0_17counting_iteratorIjlEEPS9_SG_NS0_5tupleIJPjSI_NS0_16reverse_iteratorISI_EEEEENSH_IJSG_SG_SG_EEES9_SI_JZNS1_25segmented_radix_sort_implINS0_14default_configELb0EPK12hip_bfloat16PSP_PKlPlN2at6native12_GLOBAL__N_18offset_tEEE10hipError_tPvRmT1_PNSt15iterator_traitsIS13_E10value_typeET2_T3_PNS14_IS19_E10value_typeET4_jRbjT5_S1F_jjP12ihipStream_tbEUljE_ZNSN_ISO_Lb0ESR_SS_SU_SV_SZ_EES10_S11_S12_S13_S17_S18_S19_S1C_S1D_jS1E_jS1F_S1F_jjS1H_bEUljE0_EEES10_S11_S12_S19_S1D_S1F_T6_T7_T9_mT8_S1H_bDpT10_ENKUlT_T0_E_clISt17integral_constantIbLb1EES1V_EEDaS1Q_S1R_EUlS1Q_E_NS1_11comp_targetILNS1_3genE10ELNS1_11target_archE1200ELNS1_3gpuE4ELNS1_3repE0EEENS1_30default_config_static_selectorELNS0_4arch9wavefront6targetE0EEEvS13_
                                        ; -- End function
	.set _ZN7rocprim17ROCPRIM_400000_NS6detail17trampoline_kernelINS0_13select_configILj256ELj13ELNS0_17block_load_methodE3ELS4_3ELS4_3ELNS0_20block_scan_algorithmE0ELj4294967295EEENS1_25partition_config_selectorILNS1_17partition_subalgoE4EjNS0_10empty_typeEbEEZZNS1_14partition_implILS8_4ELb0ES6_15HIP_vector_typeIjLj2EENS0_17counting_iteratorIjlEEPS9_SG_NS0_5tupleIJPjSI_NS0_16reverse_iteratorISI_EEEEENSH_IJSG_SG_SG_EEES9_SI_JZNS1_25segmented_radix_sort_implINS0_14default_configELb0EPK12hip_bfloat16PSP_PKlPlN2at6native12_GLOBAL__N_18offset_tEEE10hipError_tPvRmT1_PNSt15iterator_traitsIS13_E10value_typeET2_T3_PNS14_IS19_E10value_typeET4_jRbjT5_S1F_jjP12ihipStream_tbEUljE_ZNSN_ISO_Lb0ESR_SS_SU_SV_SZ_EES10_S11_S12_S13_S17_S18_S19_S1C_S1D_jS1E_jS1F_S1F_jjS1H_bEUljE0_EEES10_S11_S12_S19_S1D_S1F_T6_T7_T9_mT8_S1H_bDpT10_ENKUlT_T0_E_clISt17integral_constantIbLb1EES1V_EEDaS1Q_S1R_EUlS1Q_E_NS1_11comp_targetILNS1_3genE10ELNS1_11target_archE1200ELNS1_3gpuE4ELNS1_3repE0EEENS1_30default_config_static_selectorELNS0_4arch9wavefront6targetE0EEEvS13_.num_vgpr, 0
	.set _ZN7rocprim17ROCPRIM_400000_NS6detail17trampoline_kernelINS0_13select_configILj256ELj13ELNS0_17block_load_methodE3ELS4_3ELS4_3ELNS0_20block_scan_algorithmE0ELj4294967295EEENS1_25partition_config_selectorILNS1_17partition_subalgoE4EjNS0_10empty_typeEbEEZZNS1_14partition_implILS8_4ELb0ES6_15HIP_vector_typeIjLj2EENS0_17counting_iteratorIjlEEPS9_SG_NS0_5tupleIJPjSI_NS0_16reverse_iteratorISI_EEEEENSH_IJSG_SG_SG_EEES9_SI_JZNS1_25segmented_radix_sort_implINS0_14default_configELb0EPK12hip_bfloat16PSP_PKlPlN2at6native12_GLOBAL__N_18offset_tEEE10hipError_tPvRmT1_PNSt15iterator_traitsIS13_E10value_typeET2_T3_PNS14_IS19_E10value_typeET4_jRbjT5_S1F_jjP12ihipStream_tbEUljE_ZNSN_ISO_Lb0ESR_SS_SU_SV_SZ_EES10_S11_S12_S13_S17_S18_S19_S1C_S1D_jS1E_jS1F_S1F_jjS1H_bEUljE0_EEES10_S11_S12_S19_S1D_S1F_T6_T7_T9_mT8_S1H_bDpT10_ENKUlT_T0_E_clISt17integral_constantIbLb1EES1V_EEDaS1Q_S1R_EUlS1Q_E_NS1_11comp_targetILNS1_3genE10ELNS1_11target_archE1200ELNS1_3gpuE4ELNS1_3repE0EEENS1_30default_config_static_selectorELNS0_4arch9wavefront6targetE0EEEvS13_.num_agpr, 0
	.set _ZN7rocprim17ROCPRIM_400000_NS6detail17trampoline_kernelINS0_13select_configILj256ELj13ELNS0_17block_load_methodE3ELS4_3ELS4_3ELNS0_20block_scan_algorithmE0ELj4294967295EEENS1_25partition_config_selectorILNS1_17partition_subalgoE4EjNS0_10empty_typeEbEEZZNS1_14partition_implILS8_4ELb0ES6_15HIP_vector_typeIjLj2EENS0_17counting_iteratorIjlEEPS9_SG_NS0_5tupleIJPjSI_NS0_16reverse_iteratorISI_EEEEENSH_IJSG_SG_SG_EEES9_SI_JZNS1_25segmented_radix_sort_implINS0_14default_configELb0EPK12hip_bfloat16PSP_PKlPlN2at6native12_GLOBAL__N_18offset_tEEE10hipError_tPvRmT1_PNSt15iterator_traitsIS13_E10value_typeET2_T3_PNS14_IS19_E10value_typeET4_jRbjT5_S1F_jjP12ihipStream_tbEUljE_ZNSN_ISO_Lb0ESR_SS_SU_SV_SZ_EES10_S11_S12_S13_S17_S18_S19_S1C_S1D_jS1E_jS1F_S1F_jjS1H_bEUljE0_EEES10_S11_S12_S19_S1D_S1F_T6_T7_T9_mT8_S1H_bDpT10_ENKUlT_T0_E_clISt17integral_constantIbLb1EES1V_EEDaS1Q_S1R_EUlS1Q_E_NS1_11comp_targetILNS1_3genE10ELNS1_11target_archE1200ELNS1_3gpuE4ELNS1_3repE0EEENS1_30default_config_static_selectorELNS0_4arch9wavefront6targetE0EEEvS13_.numbered_sgpr, 0
	.set _ZN7rocprim17ROCPRIM_400000_NS6detail17trampoline_kernelINS0_13select_configILj256ELj13ELNS0_17block_load_methodE3ELS4_3ELS4_3ELNS0_20block_scan_algorithmE0ELj4294967295EEENS1_25partition_config_selectorILNS1_17partition_subalgoE4EjNS0_10empty_typeEbEEZZNS1_14partition_implILS8_4ELb0ES6_15HIP_vector_typeIjLj2EENS0_17counting_iteratorIjlEEPS9_SG_NS0_5tupleIJPjSI_NS0_16reverse_iteratorISI_EEEEENSH_IJSG_SG_SG_EEES9_SI_JZNS1_25segmented_radix_sort_implINS0_14default_configELb0EPK12hip_bfloat16PSP_PKlPlN2at6native12_GLOBAL__N_18offset_tEEE10hipError_tPvRmT1_PNSt15iterator_traitsIS13_E10value_typeET2_T3_PNS14_IS19_E10value_typeET4_jRbjT5_S1F_jjP12ihipStream_tbEUljE_ZNSN_ISO_Lb0ESR_SS_SU_SV_SZ_EES10_S11_S12_S13_S17_S18_S19_S1C_S1D_jS1E_jS1F_S1F_jjS1H_bEUljE0_EEES10_S11_S12_S19_S1D_S1F_T6_T7_T9_mT8_S1H_bDpT10_ENKUlT_T0_E_clISt17integral_constantIbLb1EES1V_EEDaS1Q_S1R_EUlS1Q_E_NS1_11comp_targetILNS1_3genE10ELNS1_11target_archE1200ELNS1_3gpuE4ELNS1_3repE0EEENS1_30default_config_static_selectorELNS0_4arch9wavefront6targetE0EEEvS13_.num_named_barrier, 0
	.set _ZN7rocprim17ROCPRIM_400000_NS6detail17trampoline_kernelINS0_13select_configILj256ELj13ELNS0_17block_load_methodE3ELS4_3ELS4_3ELNS0_20block_scan_algorithmE0ELj4294967295EEENS1_25partition_config_selectorILNS1_17partition_subalgoE4EjNS0_10empty_typeEbEEZZNS1_14partition_implILS8_4ELb0ES6_15HIP_vector_typeIjLj2EENS0_17counting_iteratorIjlEEPS9_SG_NS0_5tupleIJPjSI_NS0_16reverse_iteratorISI_EEEEENSH_IJSG_SG_SG_EEES9_SI_JZNS1_25segmented_radix_sort_implINS0_14default_configELb0EPK12hip_bfloat16PSP_PKlPlN2at6native12_GLOBAL__N_18offset_tEEE10hipError_tPvRmT1_PNSt15iterator_traitsIS13_E10value_typeET2_T3_PNS14_IS19_E10value_typeET4_jRbjT5_S1F_jjP12ihipStream_tbEUljE_ZNSN_ISO_Lb0ESR_SS_SU_SV_SZ_EES10_S11_S12_S13_S17_S18_S19_S1C_S1D_jS1E_jS1F_S1F_jjS1H_bEUljE0_EEES10_S11_S12_S19_S1D_S1F_T6_T7_T9_mT8_S1H_bDpT10_ENKUlT_T0_E_clISt17integral_constantIbLb1EES1V_EEDaS1Q_S1R_EUlS1Q_E_NS1_11comp_targetILNS1_3genE10ELNS1_11target_archE1200ELNS1_3gpuE4ELNS1_3repE0EEENS1_30default_config_static_selectorELNS0_4arch9wavefront6targetE0EEEvS13_.private_seg_size, 0
	.set _ZN7rocprim17ROCPRIM_400000_NS6detail17trampoline_kernelINS0_13select_configILj256ELj13ELNS0_17block_load_methodE3ELS4_3ELS4_3ELNS0_20block_scan_algorithmE0ELj4294967295EEENS1_25partition_config_selectorILNS1_17partition_subalgoE4EjNS0_10empty_typeEbEEZZNS1_14partition_implILS8_4ELb0ES6_15HIP_vector_typeIjLj2EENS0_17counting_iteratorIjlEEPS9_SG_NS0_5tupleIJPjSI_NS0_16reverse_iteratorISI_EEEEENSH_IJSG_SG_SG_EEES9_SI_JZNS1_25segmented_radix_sort_implINS0_14default_configELb0EPK12hip_bfloat16PSP_PKlPlN2at6native12_GLOBAL__N_18offset_tEEE10hipError_tPvRmT1_PNSt15iterator_traitsIS13_E10value_typeET2_T3_PNS14_IS19_E10value_typeET4_jRbjT5_S1F_jjP12ihipStream_tbEUljE_ZNSN_ISO_Lb0ESR_SS_SU_SV_SZ_EES10_S11_S12_S13_S17_S18_S19_S1C_S1D_jS1E_jS1F_S1F_jjS1H_bEUljE0_EEES10_S11_S12_S19_S1D_S1F_T6_T7_T9_mT8_S1H_bDpT10_ENKUlT_T0_E_clISt17integral_constantIbLb1EES1V_EEDaS1Q_S1R_EUlS1Q_E_NS1_11comp_targetILNS1_3genE10ELNS1_11target_archE1200ELNS1_3gpuE4ELNS1_3repE0EEENS1_30default_config_static_selectorELNS0_4arch9wavefront6targetE0EEEvS13_.uses_vcc, 0
	.set _ZN7rocprim17ROCPRIM_400000_NS6detail17trampoline_kernelINS0_13select_configILj256ELj13ELNS0_17block_load_methodE3ELS4_3ELS4_3ELNS0_20block_scan_algorithmE0ELj4294967295EEENS1_25partition_config_selectorILNS1_17partition_subalgoE4EjNS0_10empty_typeEbEEZZNS1_14partition_implILS8_4ELb0ES6_15HIP_vector_typeIjLj2EENS0_17counting_iteratorIjlEEPS9_SG_NS0_5tupleIJPjSI_NS0_16reverse_iteratorISI_EEEEENSH_IJSG_SG_SG_EEES9_SI_JZNS1_25segmented_radix_sort_implINS0_14default_configELb0EPK12hip_bfloat16PSP_PKlPlN2at6native12_GLOBAL__N_18offset_tEEE10hipError_tPvRmT1_PNSt15iterator_traitsIS13_E10value_typeET2_T3_PNS14_IS19_E10value_typeET4_jRbjT5_S1F_jjP12ihipStream_tbEUljE_ZNSN_ISO_Lb0ESR_SS_SU_SV_SZ_EES10_S11_S12_S13_S17_S18_S19_S1C_S1D_jS1E_jS1F_S1F_jjS1H_bEUljE0_EEES10_S11_S12_S19_S1D_S1F_T6_T7_T9_mT8_S1H_bDpT10_ENKUlT_T0_E_clISt17integral_constantIbLb1EES1V_EEDaS1Q_S1R_EUlS1Q_E_NS1_11comp_targetILNS1_3genE10ELNS1_11target_archE1200ELNS1_3gpuE4ELNS1_3repE0EEENS1_30default_config_static_selectorELNS0_4arch9wavefront6targetE0EEEvS13_.uses_flat_scratch, 0
	.set _ZN7rocprim17ROCPRIM_400000_NS6detail17trampoline_kernelINS0_13select_configILj256ELj13ELNS0_17block_load_methodE3ELS4_3ELS4_3ELNS0_20block_scan_algorithmE0ELj4294967295EEENS1_25partition_config_selectorILNS1_17partition_subalgoE4EjNS0_10empty_typeEbEEZZNS1_14partition_implILS8_4ELb0ES6_15HIP_vector_typeIjLj2EENS0_17counting_iteratorIjlEEPS9_SG_NS0_5tupleIJPjSI_NS0_16reverse_iteratorISI_EEEEENSH_IJSG_SG_SG_EEES9_SI_JZNS1_25segmented_radix_sort_implINS0_14default_configELb0EPK12hip_bfloat16PSP_PKlPlN2at6native12_GLOBAL__N_18offset_tEEE10hipError_tPvRmT1_PNSt15iterator_traitsIS13_E10value_typeET2_T3_PNS14_IS19_E10value_typeET4_jRbjT5_S1F_jjP12ihipStream_tbEUljE_ZNSN_ISO_Lb0ESR_SS_SU_SV_SZ_EES10_S11_S12_S13_S17_S18_S19_S1C_S1D_jS1E_jS1F_S1F_jjS1H_bEUljE0_EEES10_S11_S12_S19_S1D_S1F_T6_T7_T9_mT8_S1H_bDpT10_ENKUlT_T0_E_clISt17integral_constantIbLb1EES1V_EEDaS1Q_S1R_EUlS1Q_E_NS1_11comp_targetILNS1_3genE10ELNS1_11target_archE1200ELNS1_3gpuE4ELNS1_3repE0EEENS1_30default_config_static_selectorELNS0_4arch9wavefront6targetE0EEEvS13_.has_dyn_sized_stack, 0
	.set _ZN7rocprim17ROCPRIM_400000_NS6detail17trampoline_kernelINS0_13select_configILj256ELj13ELNS0_17block_load_methodE3ELS4_3ELS4_3ELNS0_20block_scan_algorithmE0ELj4294967295EEENS1_25partition_config_selectorILNS1_17partition_subalgoE4EjNS0_10empty_typeEbEEZZNS1_14partition_implILS8_4ELb0ES6_15HIP_vector_typeIjLj2EENS0_17counting_iteratorIjlEEPS9_SG_NS0_5tupleIJPjSI_NS0_16reverse_iteratorISI_EEEEENSH_IJSG_SG_SG_EEES9_SI_JZNS1_25segmented_radix_sort_implINS0_14default_configELb0EPK12hip_bfloat16PSP_PKlPlN2at6native12_GLOBAL__N_18offset_tEEE10hipError_tPvRmT1_PNSt15iterator_traitsIS13_E10value_typeET2_T3_PNS14_IS19_E10value_typeET4_jRbjT5_S1F_jjP12ihipStream_tbEUljE_ZNSN_ISO_Lb0ESR_SS_SU_SV_SZ_EES10_S11_S12_S13_S17_S18_S19_S1C_S1D_jS1E_jS1F_S1F_jjS1H_bEUljE0_EEES10_S11_S12_S19_S1D_S1F_T6_T7_T9_mT8_S1H_bDpT10_ENKUlT_T0_E_clISt17integral_constantIbLb1EES1V_EEDaS1Q_S1R_EUlS1Q_E_NS1_11comp_targetILNS1_3genE10ELNS1_11target_archE1200ELNS1_3gpuE4ELNS1_3repE0EEENS1_30default_config_static_selectorELNS0_4arch9wavefront6targetE0EEEvS13_.has_recursion, 0
	.set _ZN7rocprim17ROCPRIM_400000_NS6detail17trampoline_kernelINS0_13select_configILj256ELj13ELNS0_17block_load_methodE3ELS4_3ELS4_3ELNS0_20block_scan_algorithmE0ELj4294967295EEENS1_25partition_config_selectorILNS1_17partition_subalgoE4EjNS0_10empty_typeEbEEZZNS1_14partition_implILS8_4ELb0ES6_15HIP_vector_typeIjLj2EENS0_17counting_iteratorIjlEEPS9_SG_NS0_5tupleIJPjSI_NS0_16reverse_iteratorISI_EEEEENSH_IJSG_SG_SG_EEES9_SI_JZNS1_25segmented_radix_sort_implINS0_14default_configELb0EPK12hip_bfloat16PSP_PKlPlN2at6native12_GLOBAL__N_18offset_tEEE10hipError_tPvRmT1_PNSt15iterator_traitsIS13_E10value_typeET2_T3_PNS14_IS19_E10value_typeET4_jRbjT5_S1F_jjP12ihipStream_tbEUljE_ZNSN_ISO_Lb0ESR_SS_SU_SV_SZ_EES10_S11_S12_S13_S17_S18_S19_S1C_S1D_jS1E_jS1F_S1F_jjS1H_bEUljE0_EEES10_S11_S12_S19_S1D_S1F_T6_T7_T9_mT8_S1H_bDpT10_ENKUlT_T0_E_clISt17integral_constantIbLb1EES1V_EEDaS1Q_S1R_EUlS1Q_E_NS1_11comp_targetILNS1_3genE10ELNS1_11target_archE1200ELNS1_3gpuE4ELNS1_3repE0EEENS1_30default_config_static_selectorELNS0_4arch9wavefront6targetE0EEEvS13_.has_indirect_call, 0
	.section	.AMDGPU.csdata,"",@progbits
; Kernel info:
; codeLenInByte = 0
; TotalNumSgprs: 0
; NumVgprs: 0
; ScratchSize: 0
; MemoryBound: 0
; FloatMode: 240
; IeeeMode: 1
; LDSByteSize: 0 bytes/workgroup (compile time only)
; SGPRBlocks: 0
; VGPRBlocks: 0
; NumSGPRsForWavesPerEU: 1
; NumVGPRsForWavesPerEU: 1
; NamedBarCnt: 0
; Occupancy: 16
; WaveLimiterHint : 0
; COMPUTE_PGM_RSRC2:SCRATCH_EN: 0
; COMPUTE_PGM_RSRC2:USER_SGPR: 2
; COMPUTE_PGM_RSRC2:TRAP_HANDLER: 0
; COMPUTE_PGM_RSRC2:TGID_X_EN: 1
; COMPUTE_PGM_RSRC2:TGID_Y_EN: 0
; COMPUTE_PGM_RSRC2:TGID_Z_EN: 0
; COMPUTE_PGM_RSRC2:TIDIG_COMP_CNT: 0
	.section	.text._ZN7rocprim17ROCPRIM_400000_NS6detail17trampoline_kernelINS0_13select_configILj256ELj13ELNS0_17block_load_methodE3ELS4_3ELS4_3ELNS0_20block_scan_algorithmE0ELj4294967295EEENS1_25partition_config_selectorILNS1_17partition_subalgoE4EjNS0_10empty_typeEbEEZZNS1_14partition_implILS8_4ELb0ES6_15HIP_vector_typeIjLj2EENS0_17counting_iteratorIjlEEPS9_SG_NS0_5tupleIJPjSI_NS0_16reverse_iteratorISI_EEEEENSH_IJSG_SG_SG_EEES9_SI_JZNS1_25segmented_radix_sort_implINS0_14default_configELb0EPK12hip_bfloat16PSP_PKlPlN2at6native12_GLOBAL__N_18offset_tEEE10hipError_tPvRmT1_PNSt15iterator_traitsIS13_E10value_typeET2_T3_PNS14_IS19_E10value_typeET4_jRbjT5_S1F_jjP12ihipStream_tbEUljE_ZNSN_ISO_Lb0ESR_SS_SU_SV_SZ_EES10_S11_S12_S13_S17_S18_S19_S1C_S1D_jS1E_jS1F_S1F_jjS1H_bEUljE0_EEES10_S11_S12_S19_S1D_S1F_T6_T7_T9_mT8_S1H_bDpT10_ENKUlT_T0_E_clISt17integral_constantIbLb1EES1V_EEDaS1Q_S1R_EUlS1Q_E_NS1_11comp_targetILNS1_3genE9ELNS1_11target_archE1100ELNS1_3gpuE3ELNS1_3repE0EEENS1_30default_config_static_selectorELNS0_4arch9wavefront6targetE0EEEvS13_,"axG",@progbits,_ZN7rocprim17ROCPRIM_400000_NS6detail17trampoline_kernelINS0_13select_configILj256ELj13ELNS0_17block_load_methodE3ELS4_3ELS4_3ELNS0_20block_scan_algorithmE0ELj4294967295EEENS1_25partition_config_selectorILNS1_17partition_subalgoE4EjNS0_10empty_typeEbEEZZNS1_14partition_implILS8_4ELb0ES6_15HIP_vector_typeIjLj2EENS0_17counting_iteratorIjlEEPS9_SG_NS0_5tupleIJPjSI_NS0_16reverse_iteratorISI_EEEEENSH_IJSG_SG_SG_EEES9_SI_JZNS1_25segmented_radix_sort_implINS0_14default_configELb0EPK12hip_bfloat16PSP_PKlPlN2at6native12_GLOBAL__N_18offset_tEEE10hipError_tPvRmT1_PNSt15iterator_traitsIS13_E10value_typeET2_T3_PNS14_IS19_E10value_typeET4_jRbjT5_S1F_jjP12ihipStream_tbEUljE_ZNSN_ISO_Lb0ESR_SS_SU_SV_SZ_EES10_S11_S12_S13_S17_S18_S19_S1C_S1D_jS1E_jS1F_S1F_jjS1H_bEUljE0_EEES10_S11_S12_S19_S1D_S1F_T6_T7_T9_mT8_S1H_bDpT10_ENKUlT_T0_E_clISt17integral_constantIbLb1EES1V_EEDaS1Q_S1R_EUlS1Q_E_NS1_11comp_targetILNS1_3genE9ELNS1_11target_archE1100ELNS1_3gpuE3ELNS1_3repE0EEENS1_30default_config_static_selectorELNS0_4arch9wavefront6targetE0EEEvS13_,comdat
	.globl	_ZN7rocprim17ROCPRIM_400000_NS6detail17trampoline_kernelINS0_13select_configILj256ELj13ELNS0_17block_load_methodE3ELS4_3ELS4_3ELNS0_20block_scan_algorithmE0ELj4294967295EEENS1_25partition_config_selectorILNS1_17partition_subalgoE4EjNS0_10empty_typeEbEEZZNS1_14partition_implILS8_4ELb0ES6_15HIP_vector_typeIjLj2EENS0_17counting_iteratorIjlEEPS9_SG_NS0_5tupleIJPjSI_NS0_16reverse_iteratorISI_EEEEENSH_IJSG_SG_SG_EEES9_SI_JZNS1_25segmented_radix_sort_implINS0_14default_configELb0EPK12hip_bfloat16PSP_PKlPlN2at6native12_GLOBAL__N_18offset_tEEE10hipError_tPvRmT1_PNSt15iterator_traitsIS13_E10value_typeET2_T3_PNS14_IS19_E10value_typeET4_jRbjT5_S1F_jjP12ihipStream_tbEUljE_ZNSN_ISO_Lb0ESR_SS_SU_SV_SZ_EES10_S11_S12_S13_S17_S18_S19_S1C_S1D_jS1E_jS1F_S1F_jjS1H_bEUljE0_EEES10_S11_S12_S19_S1D_S1F_T6_T7_T9_mT8_S1H_bDpT10_ENKUlT_T0_E_clISt17integral_constantIbLb1EES1V_EEDaS1Q_S1R_EUlS1Q_E_NS1_11comp_targetILNS1_3genE9ELNS1_11target_archE1100ELNS1_3gpuE3ELNS1_3repE0EEENS1_30default_config_static_selectorELNS0_4arch9wavefront6targetE0EEEvS13_ ; -- Begin function _ZN7rocprim17ROCPRIM_400000_NS6detail17trampoline_kernelINS0_13select_configILj256ELj13ELNS0_17block_load_methodE3ELS4_3ELS4_3ELNS0_20block_scan_algorithmE0ELj4294967295EEENS1_25partition_config_selectorILNS1_17partition_subalgoE4EjNS0_10empty_typeEbEEZZNS1_14partition_implILS8_4ELb0ES6_15HIP_vector_typeIjLj2EENS0_17counting_iteratorIjlEEPS9_SG_NS0_5tupleIJPjSI_NS0_16reverse_iteratorISI_EEEEENSH_IJSG_SG_SG_EEES9_SI_JZNS1_25segmented_radix_sort_implINS0_14default_configELb0EPK12hip_bfloat16PSP_PKlPlN2at6native12_GLOBAL__N_18offset_tEEE10hipError_tPvRmT1_PNSt15iterator_traitsIS13_E10value_typeET2_T3_PNS14_IS19_E10value_typeET4_jRbjT5_S1F_jjP12ihipStream_tbEUljE_ZNSN_ISO_Lb0ESR_SS_SU_SV_SZ_EES10_S11_S12_S13_S17_S18_S19_S1C_S1D_jS1E_jS1F_S1F_jjS1H_bEUljE0_EEES10_S11_S12_S19_S1D_S1F_T6_T7_T9_mT8_S1H_bDpT10_ENKUlT_T0_E_clISt17integral_constantIbLb1EES1V_EEDaS1Q_S1R_EUlS1Q_E_NS1_11comp_targetILNS1_3genE9ELNS1_11target_archE1100ELNS1_3gpuE3ELNS1_3repE0EEENS1_30default_config_static_selectorELNS0_4arch9wavefront6targetE0EEEvS13_
	.p2align	8
	.type	_ZN7rocprim17ROCPRIM_400000_NS6detail17trampoline_kernelINS0_13select_configILj256ELj13ELNS0_17block_load_methodE3ELS4_3ELS4_3ELNS0_20block_scan_algorithmE0ELj4294967295EEENS1_25partition_config_selectorILNS1_17partition_subalgoE4EjNS0_10empty_typeEbEEZZNS1_14partition_implILS8_4ELb0ES6_15HIP_vector_typeIjLj2EENS0_17counting_iteratorIjlEEPS9_SG_NS0_5tupleIJPjSI_NS0_16reverse_iteratorISI_EEEEENSH_IJSG_SG_SG_EEES9_SI_JZNS1_25segmented_radix_sort_implINS0_14default_configELb0EPK12hip_bfloat16PSP_PKlPlN2at6native12_GLOBAL__N_18offset_tEEE10hipError_tPvRmT1_PNSt15iterator_traitsIS13_E10value_typeET2_T3_PNS14_IS19_E10value_typeET4_jRbjT5_S1F_jjP12ihipStream_tbEUljE_ZNSN_ISO_Lb0ESR_SS_SU_SV_SZ_EES10_S11_S12_S13_S17_S18_S19_S1C_S1D_jS1E_jS1F_S1F_jjS1H_bEUljE0_EEES10_S11_S12_S19_S1D_S1F_T6_T7_T9_mT8_S1H_bDpT10_ENKUlT_T0_E_clISt17integral_constantIbLb1EES1V_EEDaS1Q_S1R_EUlS1Q_E_NS1_11comp_targetILNS1_3genE9ELNS1_11target_archE1100ELNS1_3gpuE3ELNS1_3repE0EEENS1_30default_config_static_selectorELNS0_4arch9wavefront6targetE0EEEvS13_,@function
_ZN7rocprim17ROCPRIM_400000_NS6detail17trampoline_kernelINS0_13select_configILj256ELj13ELNS0_17block_load_methodE3ELS4_3ELS4_3ELNS0_20block_scan_algorithmE0ELj4294967295EEENS1_25partition_config_selectorILNS1_17partition_subalgoE4EjNS0_10empty_typeEbEEZZNS1_14partition_implILS8_4ELb0ES6_15HIP_vector_typeIjLj2EENS0_17counting_iteratorIjlEEPS9_SG_NS0_5tupleIJPjSI_NS0_16reverse_iteratorISI_EEEEENSH_IJSG_SG_SG_EEES9_SI_JZNS1_25segmented_radix_sort_implINS0_14default_configELb0EPK12hip_bfloat16PSP_PKlPlN2at6native12_GLOBAL__N_18offset_tEEE10hipError_tPvRmT1_PNSt15iterator_traitsIS13_E10value_typeET2_T3_PNS14_IS19_E10value_typeET4_jRbjT5_S1F_jjP12ihipStream_tbEUljE_ZNSN_ISO_Lb0ESR_SS_SU_SV_SZ_EES10_S11_S12_S13_S17_S18_S19_S1C_S1D_jS1E_jS1F_S1F_jjS1H_bEUljE0_EEES10_S11_S12_S19_S1D_S1F_T6_T7_T9_mT8_S1H_bDpT10_ENKUlT_T0_E_clISt17integral_constantIbLb1EES1V_EEDaS1Q_S1R_EUlS1Q_E_NS1_11comp_targetILNS1_3genE9ELNS1_11target_archE1100ELNS1_3gpuE3ELNS1_3repE0EEENS1_30default_config_static_selectorELNS0_4arch9wavefront6targetE0EEEvS13_: ; @_ZN7rocprim17ROCPRIM_400000_NS6detail17trampoline_kernelINS0_13select_configILj256ELj13ELNS0_17block_load_methodE3ELS4_3ELS4_3ELNS0_20block_scan_algorithmE0ELj4294967295EEENS1_25partition_config_selectorILNS1_17partition_subalgoE4EjNS0_10empty_typeEbEEZZNS1_14partition_implILS8_4ELb0ES6_15HIP_vector_typeIjLj2EENS0_17counting_iteratorIjlEEPS9_SG_NS0_5tupleIJPjSI_NS0_16reverse_iteratorISI_EEEEENSH_IJSG_SG_SG_EEES9_SI_JZNS1_25segmented_radix_sort_implINS0_14default_configELb0EPK12hip_bfloat16PSP_PKlPlN2at6native12_GLOBAL__N_18offset_tEEE10hipError_tPvRmT1_PNSt15iterator_traitsIS13_E10value_typeET2_T3_PNS14_IS19_E10value_typeET4_jRbjT5_S1F_jjP12ihipStream_tbEUljE_ZNSN_ISO_Lb0ESR_SS_SU_SV_SZ_EES10_S11_S12_S13_S17_S18_S19_S1C_S1D_jS1E_jS1F_S1F_jjS1H_bEUljE0_EEES10_S11_S12_S19_S1D_S1F_T6_T7_T9_mT8_S1H_bDpT10_ENKUlT_T0_E_clISt17integral_constantIbLb1EES1V_EEDaS1Q_S1R_EUlS1Q_E_NS1_11comp_targetILNS1_3genE9ELNS1_11target_archE1100ELNS1_3gpuE3ELNS1_3repE0EEENS1_30default_config_static_selectorELNS0_4arch9wavefront6targetE0EEEvS13_
; %bb.0:
	.section	.rodata,"a",@progbits
	.p2align	6, 0x0
	.amdhsa_kernel _ZN7rocprim17ROCPRIM_400000_NS6detail17trampoline_kernelINS0_13select_configILj256ELj13ELNS0_17block_load_methodE3ELS4_3ELS4_3ELNS0_20block_scan_algorithmE0ELj4294967295EEENS1_25partition_config_selectorILNS1_17partition_subalgoE4EjNS0_10empty_typeEbEEZZNS1_14partition_implILS8_4ELb0ES6_15HIP_vector_typeIjLj2EENS0_17counting_iteratorIjlEEPS9_SG_NS0_5tupleIJPjSI_NS0_16reverse_iteratorISI_EEEEENSH_IJSG_SG_SG_EEES9_SI_JZNS1_25segmented_radix_sort_implINS0_14default_configELb0EPK12hip_bfloat16PSP_PKlPlN2at6native12_GLOBAL__N_18offset_tEEE10hipError_tPvRmT1_PNSt15iterator_traitsIS13_E10value_typeET2_T3_PNS14_IS19_E10value_typeET4_jRbjT5_S1F_jjP12ihipStream_tbEUljE_ZNSN_ISO_Lb0ESR_SS_SU_SV_SZ_EES10_S11_S12_S13_S17_S18_S19_S1C_S1D_jS1E_jS1F_S1F_jjS1H_bEUljE0_EEES10_S11_S12_S19_S1D_S1F_T6_T7_T9_mT8_S1H_bDpT10_ENKUlT_T0_E_clISt17integral_constantIbLb1EES1V_EEDaS1Q_S1R_EUlS1Q_E_NS1_11comp_targetILNS1_3genE9ELNS1_11target_archE1100ELNS1_3gpuE3ELNS1_3repE0EEENS1_30default_config_static_selectorELNS0_4arch9wavefront6targetE0EEEvS13_
		.amdhsa_group_segment_fixed_size 0
		.amdhsa_private_segment_fixed_size 0
		.amdhsa_kernarg_size 184
		.amdhsa_user_sgpr_count 2
		.amdhsa_user_sgpr_dispatch_ptr 0
		.amdhsa_user_sgpr_queue_ptr 0
		.amdhsa_user_sgpr_kernarg_segment_ptr 1
		.amdhsa_user_sgpr_dispatch_id 0
		.amdhsa_user_sgpr_kernarg_preload_length 0
		.amdhsa_user_sgpr_kernarg_preload_offset 0
		.amdhsa_user_sgpr_private_segment_size 0
		.amdhsa_wavefront_size32 1
		.amdhsa_uses_dynamic_stack 0
		.amdhsa_enable_private_segment 0
		.amdhsa_system_sgpr_workgroup_id_x 1
		.amdhsa_system_sgpr_workgroup_id_y 0
		.amdhsa_system_sgpr_workgroup_id_z 0
		.amdhsa_system_sgpr_workgroup_info 0
		.amdhsa_system_vgpr_workitem_id 0
		.amdhsa_next_free_vgpr 1
		.amdhsa_next_free_sgpr 1
		.amdhsa_named_barrier_count 0
		.amdhsa_reserve_vcc 0
		.amdhsa_float_round_mode_32 0
		.amdhsa_float_round_mode_16_64 0
		.amdhsa_float_denorm_mode_32 3
		.amdhsa_float_denorm_mode_16_64 3
		.amdhsa_fp16_overflow 0
		.amdhsa_memory_ordered 1
		.amdhsa_forward_progress 1
		.amdhsa_inst_pref_size 0
		.amdhsa_round_robin_scheduling 0
		.amdhsa_exception_fp_ieee_invalid_op 0
		.amdhsa_exception_fp_denorm_src 0
		.amdhsa_exception_fp_ieee_div_zero 0
		.amdhsa_exception_fp_ieee_overflow 0
		.amdhsa_exception_fp_ieee_underflow 0
		.amdhsa_exception_fp_ieee_inexact 0
		.amdhsa_exception_int_div_zero 0
	.end_amdhsa_kernel
	.section	.text._ZN7rocprim17ROCPRIM_400000_NS6detail17trampoline_kernelINS0_13select_configILj256ELj13ELNS0_17block_load_methodE3ELS4_3ELS4_3ELNS0_20block_scan_algorithmE0ELj4294967295EEENS1_25partition_config_selectorILNS1_17partition_subalgoE4EjNS0_10empty_typeEbEEZZNS1_14partition_implILS8_4ELb0ES6_15HIP_vector_typeIjLj2EENS0_17counting_iteratorIjlEEPS9_SG_NS0_5tupleIJPjSI_NS0_16reverse_iteratorISI_EEEEENSH_IJSG_SG_SG_EEES9_SI_JZNS1_25segmented_radix_sort_implINS0_14default_configELb0EPK12hip_bfloat16PSP_PKlPlN2at6native12_GLOBAL__N_18offset_tEEE10hipError_tPvRmT1_PNSt15iterator_traitsIS13_E10value_typeET2_T3_PNS14_IS19_E10value_typeET4_jRbjT5_S1F_jjP12ihipStream_tbEUljE_ZNSN_ISO_Lb0ESR_SS_SU_SV_SZ_EES10_S11_S12_S13_S17_S18_S19_S1C_S1D_jS1E_jS1F_S1F_jjS1H_bEUljE0_EEES10_S11_S12_S19_S1D_S1F_T6_T7_T9_mT8_S1H_bDpT10_ENKUlT_T0_E_clISt17integral_constantIbLb1EES1V_EEDaS1Q_S1R_EUlS1Q_E_NS1_11comp_targetILNS1_3genE9ELNS1_11target_archE1100ELNS1_3gpuE3ELNS1_3repE0EEENS1_30default_config_static_selectorELNS0_4arch9wavefront6targetE0EEEvS13_,"axG",@progbits,_ZN7rocprim17ROCPRIM_400000_NS6detail17trampoline_kernelINS0_13select_configILj256ELj13ELNS0_17block_load_methodE3ELS4_3ELS4_3ELNS0_20block_scan_algorithmE0ELj4294967295EEENS1_25partition_config_selectorILNS1_17partition_subalgoE4EjNS0_10empty_typeEbEEZZNS1_14partition_implILS8_4ELb0ES6_15HIP_vector_typeIjLj2EENS0_17counting_iteratorIjlEEPS9_SG_NS0_5tupleIJPjSI_NS0_16reverse_iteratorISI_EEEEENSH_IJSG_SG_SG_EEES9_SI_JZNS1_25segmented_radix_sort_implINS0_14default_configELb0EPK12hip_bfloat16PSP_PKlPlN2at6native12_GLOBAL__N_18offset_tEEE10hipError_tPvRmT1_PNSt15iterator_traitsIS13_E10value_typeET2_T3_PNS14_IS19_E10value_typeET4_jRbjT5_S1F_jjP12ihipStream_tbEUljE_ZNSN_ISO_Lb0ESR_SS_SU_SV_SZ_EES10_S11_S12_S13_S17_S18_S19_S1C_S1D_jS1E_jS1F_S1F_jjS1H_bEUljE0_EEES10_S11_S12_S19_S1D_S1F_T6_T7_T9_mT8_S1H_bDpT10_ENKUlT_T0_E_clISt17integral_constantIbLb1EES1V_EEDaS1Q_S1R_EUlS1Q_E_NS1_11comp_targetILNS1_3genE9ELNS1_11target_archE1100ELNS1_3gpuE3ELNS1_3repE0EEENS1_30default_config_static_selectorELNS0_4arch9wavefront6targetE0EEEvS13_,comdat
.Lfunc_end1989:
	.size	_ZN7rocprim17ROCPRIM_400000_NS6detail17trampoline_kernelINS0_13select_configILj256ELj13ELNS0_17block_load_methodE3ELS4_3ELS4_3ELNS0_20block_scan_algorithmE0ELj4294967295EEENS1_25partition_config_selectorILNS1_17partition_subalgoE4EjNS0_10empty_typeEbEEZZNS1_14partition_implILS8_4ELb0ES6_15HIP_vector_typeIjLj2EENS0_17counting_iteratorIjlEEPS9_SG_NS0_5tupleIJPjSI_NS0_16reverse_iteratorISI_EEEEENSH_IJSG_SG_SG_EEES9_SI_JZNS1_25segmented_radix_sort_implINS0_14default_configELb0EPK12hip_bfloat16PSP_PKlPlN2at6native12_GLOBAL__N_18offset_tEEE10hipError_tPvRmT1_PNSt15iterator_traitsIS13_E10value_typeET2_T3_PNS14_IS19_E10value_typeET4_jRbjT5_S1F_jjP12ihipStream_tbEUljE_ZNSN_ISO_Lb0ESR_SS_SU_SV_SZ_EES10_S11_S12_S13_S17_S18_S19_S1C_S1D_jS1E_jS1F_S1F_jjS1H_bEUljE0_EEES10_S11_S12_S19_S1D_S1F_T6_T7_T9_mT8_S1H_bDpT10_ENKUlT_T0_E_clISt17integral_constantIbLb1EES1V_EEDaS1Q_S1R_EUlS1Q_E_NS1_11comp_targetILNS1_3genE9ELNS1_11target_archE1100ELNS1_3gpuE3ELNS1_3repE0EEENS1_30default_config_static_selectorELNS0_4arch9wavefront6targetE0EEEvS13_, .Lfunc_end1989-_ZN7rocprim17ROCPRIM_400000_NS6detail17trampoline_kernelINS0_13select_configILj256ELj13ELNS0_17block_load_methodE3ELS4_3ELS4_3ELNS0_20block_scan_algorithmE0ELj4294967295EEENS1_25partition_config_selectorILNS1_17partition_subalgoE4EjNS0_10empty_typeEbEEZZNS1_14partition_implILS8_4ELb0ES6_15HIP_vector_typeIjLj2EENS0_17counting_iteratorIjlEEPS9_SG_NS0_5tupleIJPjSI_NS0_16reverse_iteratorISI_EEEEENSH_IJSG_SG_SG_EEES9_SI_JZNS1_25segmented_radix_sort_implINS0_14default_configELb0EPK12hip_bfloat16PSP_PKlPlN2at6native12_GLOBAL__N_18offset_tEEE10hipError_tPvRmT1_PNSt15iterator_traitsIS13_E10value_typeET2_T3_PNS14_IS19_E10value_typeET4_jRbjT5_S1F_jjP12ihipStream_tbEUljE_ZNSN_ISO_Lb0ESR_SS_SU_SV_SZ_EES10_S11_S12_S13_S17_S18_S19_S1C_S1D_jS1E_jS1F_S1F_jjS1H_bEUljE0_EEES10_S11_S12_S19_S1D_S1F_T6_T7_T9_mT8_S1H_bDpT10_ENKUlT_T0_E_clISt17integral_constantIbLb1EES1V_EEDaS1Q_S1R_EUlS1Q_E_NS1_11comp_targetILNS1_3genE9ELNS1_11target_archE1100ELNS1_3gpuE3ELNS1_3repE0EEENS1_30default_config_static_selectorELNS0_4arch9wavefront6targetE0EEEvS13_
                                        ; -- End function
	.set _ZN7rocprim17ROCPRIM_400000_NS6detail17trampoline_kernelINS0_13select_configILj256ELj13ELNS0_17block_load_methodE3ELS4_3ELS4_3ELNS0_20block_scan_algorithmE0ELj4294967295EEENS1_25partition_config_selectorILNS1_17partition_subalgoE4EjNS0_10empty_typeEbEEZZNS1_14partition_implILS8_4ELb0ES6_15HIP_vector_typeIjLj2EENS0_17counting_iteratorIjlEEPS9_SG_NS0_5tupleIJPjSI_NS0_16reverse_iteratorISI_EEEEENSH_IJSG_SG_SG_EEES9_SI_JZNS1_25segmented_radix_sort_implINS0_14default_configELb0EPK12hip_bfloat16PSP_PKlPlN2at6native12_GLOBAL__N_18offset_tEEE10hipError_tPvRmT1_PNSt15iterator_traitsIS13_E10value_typeET2_T3_PNS14_IS19_E10value_typeET4_jRbjT5_S1F_jjP12ihipStream_tbEUljE_ZNSN_ISO_Lb0ESR_SS_SU_SV_SZ_EES10_S11_S12_S13_S17_S18_S19_S1C_S1D_jS1E_jS1F_S1F_jjS1H_bEUljE0_EEES10_S11_S12_S19_S1D_S1F_T6_T7_T9_mT8_S1H_bDpT10_ENKUlT_T0_E_clISt17integral_constantIbLb1EES1V_EEDaS1Q_S1R_EUlS1Q_E_NS1_11comp_targetILNS1_3genE9ELNS1_11target_archE1100ELNS1_3gpuE3ELNS1_3repE0EEENS1_30default_config_static_selectorELNS0_4arch9wavefront6targetE0EEEvS13_.num_vgpr, 0
	.set _ZN7rocprim17ROCPRIM_400000_NS6detail17trampoline_kernelINS0_13select_configILj256ELj13ELNS0_17block_load_methodE3ELS4_3ELS4_3ELNS0_20block_scan_algorithmE0ELj4294967295EEENS1_25partition_config_selectorILNS1_17partition_subalgoE4EjNS0_10empty_typeEbEEZZNS1_14partition_implILS8_4ELb0ES6_15HIP_vector_typeIjLj2EENS0_17counting_iteratorIjlEEPS9_SG_NS0_5tupleIJPjSI_NS0_16reverse_iteratorISI_EEEEENSH_IJSG_SG_SG_EEES9_SI_JZNS1_25segmented_radix_sort_implINS0_14default_configELb0EPK12hip_bfloat16PSP_PKlPlN2at6native12_GLOBAL__N_18offset_tEEE10hipError_tPvRmT1_PNSt15iterator_traitsIS13_E10value_typeET2_T3_PNS14_IS19_E10value_typeET4_jRbjT5_S1F_jjP12ihipStream_tbEUljE_ZNSN_ISO_Lb0ESR_SS_SU_SV_SZ_EES10_S11_S12_S13_S17_S18_S19_S1C_S1D_jS1E_jS1F_S1F_jjS1H_bEUljE0_EEES10_S11_S12_S19_S1D_S1F_T6_T7_T9_mT8_S1H_bDpT10_ENKUlT_T0_E_clISt17integral_constantIbLb1EES1V_EEDaS1Q_S1R_EUlS1Q_E_NS1_11comp_targetILNS1_3genE9ELNS1_11target_archE1100ELNS1_3gpuE3ELNS1_3repE0EEENS1_30default_config_static_selectorELNS0_4arch9wavefront6targetE0EEEvS13_.num_agpr, 0
	.set _ZN7rocprim17ROCPRIM_400000_NS6detail17trampoline_kernelINS0_13select_configILj256ELj13ELNS0_17block_load_methodE3ELS4_3ELS4_3ELNS0_20block_scan_algorithmE0ELj4294967295EEENS1_25partition_config_selectorILNS1_17partition_subalgoE4EjNS0_10empty_typeEbEEZZNS1_14partition_implILS8_4ELb0ES6_15HIP_vector_typeIjLj2EENS0_17counting_iteratorIjlEEPS9_SG_NS0_5tupleIJPjSI_NS0_16reverse_iteratorISI_EEEEENSH_IJSG_SG_SG_EEES9_SI_JZNS1_25segmented_radix_sort_implINS0_14default_configELb0EPK12hip_bfloat16PSP_PKlPlN2at6native12_GLOBAL__N_18offset_tEEE10hipError_tPvRmT1_PNSt15iterator_traitsIS13_E10value_typeET2_T3_PNS14_IS19_E10value_typeET4_jRbjT5_S1F_jjP12ihipStream_tbEUljE_ZNSN_ISO_Lb0ESR_SS_SU_SV_SZ_EES10_S11_S12_S13_S17_S18_S19_S1C_S1D_jS1E_jS1F_S1F_jjS1H_bEUljE0_EEES10_S11_S12_S19_S1D_S1F_T6_T7_T9_mT8_S1H_bDpT10_ENKUlT_T0_E_clISt17integral_constantIbLb1EES1V_EEDaS1Q_S1R_EUlS1Q_E_NS1_11comp_targetILNS1_3genE9ELNS1_11target_archE1100ELNS1_3gpuE3ELNS1_3repE0EEENS1_30default_config_static_selectorELNS0_4arch9wavefront6targetE0EEEvS13_.numbered_sgpr, 0
	.set _ZN7rocprim17ROCPRIM_400000_NS6detail17trampoline_kernelINS0_13select_configILj256ELj13ELNS0_17block_load_methodE3ELS4_3ELS4_3ELNS0_20block_scan_algorithmE0ELj4294967295EEENS1_25partition_config_selectorILNS1_17partition_subalgoE4EjNS0_10empty_typeEbEEZZNS1_14partition_implILS8_4ELb0ES6_15HIP_vector_typeIjLj2EENS0_17counting_iteratorIjlEEPS9_SG_NS0_5tupleIJPjSI_NS0_16reverse_iteratorISI_EEEEENSH_IJSG_SG_SG_EEES9_SI_JZNS1_25segmented_radix_sort_implINS0_14default_configELb0EPK12hip_bfloat16PSP_PKlPlN2at6native12_GLOBAL__N_18offset_tEEE10hipError_tPvRmT1_PNSt15iterator_traitsIS13_E10value_typeET2_T3_PNS14_IS19_E10value_typeET4_jRbjT5_S1F_jjP12ihipStream_tbEUljE_ZNSN_ISO_Lb0ESR_SS_SU_SV_SZ_EES10_S11_S12_S13_S17_S18_S19_S1C_S1D_jS1E_jS1F_S1F_jjS1H_bEUljE0_EEES10_S11_S12_S19_S1D_S1F_T6_T7_T9_mT8_S1H_bDpT10_ENKUlT_T0_E_clISt17integral_constantIbLb1EES1V_EEDaS1Q_S1R_EUlS1Q_E_NS1_11comp_targetILNS1_3genE9ELNS1_11target_archE1100ELNS1_3gpuE3ELNS1_3repE0EEENS1_30default_config_static_selectorELNS0_4arch9wavefront6targetE0EEEvS13_.num_named_barrier, 0
	.set _ZN7rocprim17ROCPRIM_400000_NS6detail17trampoline_kernelINS0_13select_configILj256ELj13ELNS0_17block_load_methodE3ELS4_3ELS4_3ELNS0_20block_scan_algorithmE0ELj4294967295EEENS1_25partition_config_selectorILNS1_17partition_subalgoE4EjNS0_10empty_typeEbEEZZNS1_14partition_implILS8_4ELb0ES6_15HIP_vector_typeIjLj2EENS0_17counting_iteratorIjlEEPS9_SG_NS0_5tupleIJPjSI_NS0_16reverse_iteratorISI_EEEEENSH_IJSG_SG_SG_EEES9_SI_JZNS1_25segmented_radix_sort_implINS0_14default_configELb0EPK12hip_bfloat16PSP_PKlPlN2at6native12_GLOBAL__N_18offset_tEEE10hipError_tPvRmT1_PNSt15iterator_traitsIS13_E10value_typeET2_T3_PNS14_IS19_E10value_typeET4_jRbjT5_S1F_jjP12ihipStream_tbEUljE_ZNSN_ISO_Lb0ESR_SS_SU_SV_SZ_EES10_S11_S12_S13_S17_S18_S19_S1C_S1D_jS1E_jS1F_S1F_jjS1H_bEUljE0_EEES10_S11_S12_S19_S1D_S1F_T6_T7_T9_mT8_S1H_bDpT10_ENKUlT_T0_E_clISt17integral_constantIbLb1EES1V_EEDaS1Q_S1R_EUlS1Q_E_NS1_11comp_targetILNS1_3genE9ELNS1_11target_archE1100ELNS1_3gpuE3ELNS1_3repE0EEENS1_30default_config_static_selectorELNS0_4arch9wavefront6targetE0EEEvS13_.private_seg_size, 0
	.set _ZN7rocprim17ROCPRIM_400000_NS6detail17trampoline_kernelINS0_13select_configILj256ELj13ELNS0_17block_load_methodE3ELS4_3ELS4_3ELNS0_20block_scan_algorithmE0ELj4294967295EEENS1_25partition_config_selectorILNS1_17partition_subalgoE4EjNS0_10empty_typeEbEEZZNS1_14partition_implILS8_4ELb0ES6_15HIP_vector_typeIjLj2EENS0_17counting_iteratorIjlEEPS9_SG_NS0_5tupleIJPjSI_NS0_16reverse_iteratorISI_EEEEENSH_IJSG_SG_SG_EEES9_SI_JZNS1_25segmented_radix_sort_implINS0_14default_configELb0EPK12hip_bfloat16PSP_PKlPlN2at6native12_GLOBAL__N_18offset_tEEE10hipError_tPvRmT1_PNSt15iterator_traitsIS13_E10value_typeET2_T3_PNS14_IS19_E10value_typeET4_jRbjT5_S1F_jjP12ihipStream_tbEUljE_ZNSN_ISO_Lb0ESR_SS_SU_SV_SZ_EES10_S11_S12_S13_S17_S18_S19_S1C_S1D_jS1E_jS1F_S1F_jjS1H_bEUljE0_EEES10_S11_S12_S19_S1D_S1F_T6_T7_T9_mT8_S1H_bDpT10_ENKUlT_T0_E_clISt17integral_constantIbLb1EES1V_EEDaS1Q_S1R_EUlS1Q_E_NS1_11comp_targetILNS1_3genE9ELNS1_11target_archE1100ELNS1_3gpuE3ELNS1_3repE0EEENS1_30default_config_static_selectorELNS0_4arch9wavefront6targetE0EEEvS13_.uses_vcc, 0
	.set _ZN7rocprim17ROCPRIM_400000_NS6detail17trampoline_kernelINS0_13select_configILj256ELj13ELNS0_17block_load_methodE3ELS4_3ELS4_3ELNS0_20block_scan_algorithmE0ELj4294967295EEENS1_25partition_config_selectorILNS1_17partition_subalgoE4EjNS0_10empty_typeEbEEZZNS1_14partition_implILS8_4ELb0ES6_15HIP_vector_typeIjLj2EENS0_17counting_iteratorIjlEEPS9_SG_NS0_5tupleIJPjSI_NS0_16reverse_iteratorISI_EEEEENSH_IJSG_SG_SG_EEES9_SI_JZNS1_25segmented_radix_sort_implINS0_14default_configELb0EPK12hip_bfloat16PSP_PKlPlN2at6native12_GLOBAL__N_18offset_tEEE10hipError_tPvRmT1_PNSt15iterator_traitsIS13_E10value_typeET2_T3_PNS14_IS19_E10value_typeET4_jRbjT5_S1F_jjP12ihipStream_tbEUljE_ZNSN_ISO_Lb0ESR_SS_SU_SV_SZ_EES10_S11_S12_S13_S17_S18_S19_S1C_S1D_jS1E_jS1F_S1F_jjS1H_bEUljE0_EEES10_S11_S12_S19_S1D_S1F_T6_T7_T9_mT8_S1H_bDpT10_ENKUlT_T0_E_clISt17integral_constantIbLb1EES1V_EEDaS1Q_S1R_EUlS1Q_E_NS1_11comp_targetILNS1_3genE9ELNS1_11target_archE1100ELNS1_3gpuE3ELNS1_3repE0EEENS1_30default_config_static_selectorELNS0_4arch9wavefront6targetE0EEEvS13_.uses_flat_scratch, 0
	.set _ZN7rocprim17ROCPRIM_400000_NS6detail17trampoline_kernelINS0_13select_configILj256ELj13ELNS0_17block_load_methodE3ELS4_3ELS4_3ELNS0_20block_scan_algorithmE0ELj4294967295EEENS1_25partition_config_selectorILNS1_17partition_subalgoE4EjNS0_10empty_typeEbEEZZNS1_14partition_implILS8_4ELb0ES6_15HIP_vector_typeIjLj2EENS0_17counting_iteratorIjlEEPS9_SG_NS0_5tupleIJPjSI_NS0_16reverse_iteratorISI_EEEEENSH_IJSG_SG_SG_EEES9_SI_JZNS1_25segmented_radix_sort_implINS0_14default_configELb0EPK12hip_bfloat16PSP_PKlPlN2at6native12_GLOBAL__N_18offset_tEEE10hipError_tPvRmT1_PNSt15iterator_traitsIS13_E10value_typeET2_T3_PNS14_IS19_E10value_typeET4_jRbjT5_S1F_jjP12ihipStream_tbEUljE_ZNSN_ISO_Lb0ESR_SS_SU_SV_SZ_EES10_S11_S12_S13_S17_S18_S19_S1C_S1D_jS1E_jS1F_S1F_jjS1H_bEUljE0_EEES10_S11_S12_S19_S1D_S1F_T6_T7_T9_mT8_S1H_bDpT10_ENKUlT_T0_E_clISt17integral_constantIbLb1EES1V_EEDaS1Q_S1R_EUlS1Q_E_NS1_11comp_targetILNS1_3genE9ELNS1_11target_archE1100ELNS1_3gpuE3ELNS1_3repE0EEENS1_30default_config_static_selectorELNS0_4arch9wavefront6targetE0EEEvS13_.has_dyn_sized_stack, 0
	.set _ZN7rocprim17ROCPRIM_400000_NS6detail17trampoline_kernelINS0_13select_configILj256ELj13ELNS0_17block_load_methodE3ELS4_3ELS4_3ELNS0_20block_scan_algorithmE0ELj4294967295EEENS1_25partition_config_selectorILNS1_17partition_subalgoE4EjNS0_10empty_typeEbEEZZNS1_14partition_implILS8_4ELb0ES6_15HIP_vector_typeIjLj2EENS0_17counting_iteratorIjlEEPS9_SG_NS0_5tupleIJPjSI_NS0_16reverse_iteratorISI_EEEEENSH_IJSG_SG_SG_EEES9_SI_JZNS1_25segmented_radix_sort_implINS0_14default_configELb0EPK12hip_bfloat16PSP_PKlPlN2at6native12_GLOBAL__N_18offset_tEEE10hipError_tPvRmT1_PNSt15iterator_traitsIS13_E10value_typeET2_T3_PNS14_IS19_E10value_typeET4_jRbjT5_S1F_jjP12ihipStream_tbEUljE_ZNSN_ISO_Lb0ESR_SS_SU_SV_SZ_EES10_S11_S12_S13_S17_S18_S19_S1C_S1D_jS1E_jS1F_S1F_jjS1H_bEUljE0_EEES10_S11_S12_S19_S1D_S1F_T6_T7_T9_mT8_S1H_bDpT10_ENKUlT_T0_E_clISt17integral_constantIbLb1EES1V_EEDaS1Q_S1R_EUlS1Q_E_NS1_11comp_targetILNS1_3genE9ELNS1_11target_archE1100ELNS1_3gpuE3ELNS1_3repE0EEENS1_30default_config_static_selectorELNS0_4arch9wavefront6targetE0EEEvS13_.has_recursion, 0
	.set _ZN7rocprim17ROCPRIM_400000_NS6detail17trampoline_kernelINS0_13select_configILj256ELj13ELNS0_17block_load_methodE3ELS4_3ELS4_3ELNS0_20block_scan_algorithmE0ELj4294967295EEENS1_25partition_config_selectorILNS1_17partition_subalgoE4EjNS0_10empty_typeEbEEZZNS1_14partition_implILS8_4ELb0ES6_15HIP_vector_typeIjLj2EENS0_17counting_iteratorIjlEEPS9_SG_NS0_5tupleIJPjSI_NS0_16reverse_iteratorISI_EEEEENSH_IJSG_SG_SG_EEES9_SI_JZNS1_25segmented_radix_sort_implINS0_14default_configELb0EPK12hip_bfloat16PSP_PKlPlN2at6native12_GLOBAL__N_18offset_tEEE10hipError_tPvRmT1_PNSt15iterator_traitsIS13_E10value_typeET2_T3_PNS14_IS19_E10value_typeET4_jRbjT5_S1F_jjP12ihipStream_tbEUljE_ZNSN_ISO_Lb0ESR_SS_SU_SV_SZ_EES10_S11_S12_S13_S17_S18_S19_S1C_S1D_jS1E_jS1F_S1F_jjS1H_bEUljE0_EEES10_S11_S12_S19_S1D_S1F_T6_T7_T9_mT8_S1H_bDpT10_ENKUlT_T0_E_clISt17integral_constantIbLb1EES1V_EEDaS1Q_S1R_EUlS1Q_E_NS1_11comp_targetILNS1_3genE9ELNS1_11target_archE1100ELNS1_3gpuE3ELNS1_3repE0EEENS1_30default_config_static_selectorELNS0_4arch9wavefront6targetE0EEEvS13_.has_indirect_call, 0
	.section	.AMDGPU.csdata,"",@progbits
; Kernel info:
; codeLenInByte = 0
; TotalNumSgprs: 0
; NumVgprs: 0
; ScratchSize: 0
; MemoryBound: 0
; FloatMode: 240
; IeeeMode: 1
; LDSByteSize: 0 bytes/workgroup (compile time only)
; SGPRBlocks: 0
; VGPRBlocks: 0
; NumSGPRsForWavesPerEU: 1
; NumVGPRsForWavesPerEU: 1
; NamedBarCnt: 0
; Occupancy: 16
; WaveLimiterHint : 0
; COMPUTE_PGM_RSRC2:SCRATCH_EN: 0
; COMPUTE_PGM_RSRC2:USER_SGPR: 2
; COMPUTE_PGM_RSRC2:TRAP_HANDLER: 0
; COMPUTE_PGM_RSRC2:TGID_X_EN: 1
; COMPUTE_PGM_RSRC2:TGID_Y_EN: 0
; COMPUTE_PGM_RSRC2:TGID_Z_EN: 0
; COMPUTE_PGM_RSRC2:TIDIG_COMP_CNT: 0
	.section	.text._ZN7rocprim17ROCPRIM_400000_NS6detail17trampoline_kernelINS0_13select_configILj256ELj13ELNS0_17block_load_methodE3ELS4_3ELS4_3ELNS0_20block_scan_algorithmE0ELj4294967295EEENS1_25partition_config_selectorILNS1_17partition_subalgoE4EjNS0_10empty_typeEbEEZZNS1_14partition_implILS8_4ELb0ES6_15HIP_vector_typeIjLj2EENS0_17counting_iteratorIjlEEPS9_SG_NS0_5tupleIJPjSI_NS0_16reverse_iteratorISI_EEEEENSH_IJSG_SG_SG_EEES9_SI_JZNS1_25segmented_radix_sort_implINS0_14default_configELb0EPK12hip_bfloat16PSP_PKlPlN2at6native12_GLOBAL__N_18offset_tEEE10hipError_tPvRmT1_PNSt15iterator_traitsIS13_E10value_typeET2_T3_PNS14_IS19_E10value_typeET4_jRbjT5_S1F_jjP12ihipStream_tbEUljE_ZNSN_ISO_Lb0ESR_SS_SU_SV_SZ_EES10_S11_S12_S13_S17_S18_S19_S1C_S1D_jS1E_jS1F_S1F_jjS1H_bEUljE0_EEES10_S11_S12_S19_S1D_S1F_T6_T7_T9_mT8_S1H_bDpT10_ENKUlT_T0_E_clISt17integral_constantIbLb1EES1V_EEDaS1Q_S1R_EUlS1Q_E_NS1_11comp_targetILNS1_3genE8ELNS1_11target_archE1030ELNS1_3gpuE2ELNS1_3repE0EEENS1_30default_config_static_selectorELNS0_4arch9wavefront6targetE0EEEvS13_,"axG",@progbits,_ZN7rocprim17ROCPRIM_400000_NS6detail17trampoline_kernelINS0_13select_configILj256ELj13ELNS0_17block_load_methodE3ELS4_3ELS4_3ELNS0_20block_scan_algorithmE0ELj4294967295EEENS1_25partition_config_selectorILNS1_17partition_subalgoE4EjNS0_10empty_typeEbEEZZNS1_14partition_implILS8_4ELb0ES6_15HIP_vector_typeIjLj2EENS0_17counting_iteratorIjlEEPS9_SG_NS0_5tupleIJPjSI_NS0_16reverse_iteratorISI_EEEEENSH_IJSG_SG_SG_EEES9_SI_JZNS1_25segmented_radix_sort_implINS0_14default_configELb0EPK12hip_bfloat16PSP_PKlPlN2at6native12_GLOBAL__N_18offset_tEEE10hipError_tPvRmT1_PNSt15iterator_traitsIS13_E10value_typeET2_T3_PNS14_IS19_E10value_typeET4_jRbjT5_S1F_jjP12ihipStream_tbEUljE_ZNSN_ISO_Lb0ESR_SS_SU_SV_SZ_EES10_S11_S12_S13_S17_S18_S19_S1C_S1D_jS1E_jS1F_S1F_jjS1H_bEUljE0_EEES10_S11_S12_S19_S1D_S1F_T6_T7_T9_mT8_S1H_bDpT10_ENKUlT_T0_E_clISt17integral_constantIbLb1EES1V_EEDaS1Q_S1R_EUlS1Q_E_NS1_11comp_targetILNS1_3genE8ELNS1_11target_archE1030ELNS1_3gpuE2ELNS1_3repE0EEENS1_30default_config_static_selectorELNS0_4arch9wavefront6targetE0EEEvS13_,comdat
	.globl	_ZN7rocprim17ROCPRIM_400000_NS6detail17trampoline_kernelINS0_13select_configILj256ELj13ELNS0_17block_load_methodE3ELS4_3ELS4_3ELNS0_20block_scan_algorithmE0ELj4294967295EEENS1_25partition_config_selectorILNS1_17partition_subalgoE4EjNS0_10empty_typeEbEEZZNS1_14partition_implILS8_4ELb0ES6_15HIP_vector_typeIjLj2EENS0_17counting_iteratorIjlEEPS9_SG_NS0_5tupleIJPjSI_NS0_16reverse_iteratorISI_EEEEENSH_IJSG_SG_SG_EEES9_SI_JZNS1_25segmented_radix_sort_implINS0_14default_configELb0EPK12hip_bfloat16PSP_PKlPlN2at6native12_GLOBAL__N_18offset_tEEE10hipError_tPvRmT1_PNSt15iterator_traitsIS13_E10value_typeET2_T3_PNS14_IS19_E10value_typeET4_jRbjT5_S1F_jjP12ihipStream_tbEUljE_ZNSN_ISO_Lb0ESR_SS_SU_SV_SZ_EES10_S11_S12_S13_S17_S18_S19_S1C_S1D_jS1E_jS1F_S1F_jjS1H_bEUljE0_EEES10_S11_S12_S19_S1D_S1F_T6_T7_T9_mT8_S1H_bDpT10_ENKUlT_T0_E_clISt17integral_constantIbLb1EES1V_EEDaS1Q_S1R_EUlS1Q_E_NS1_11comp_targetILNS1_3genE8ELNS1_11target_archE1030ELNS1_3gpuE2ELNS1_3repE0EEENS1_30default_config_static_selectorELNS0_4arch9wavefront6targetE0EEEvS13_ ; -- Begin function _ZN7rocprim17ROCPRIM_400000_NS6detail17trampoline_kernelINS0_13select_configILj256ELj13ELNS0_17block_load_methodE3ELS4_3ELS4_3ELNS0_20block_scan_algorithmE0ELj4294967295EEENS1_25partition_config_selectorILNS1_17partition_subalgoE4EjNS0_10empty_typeEbEEZZNS1_14partition_implILS8_4ELb0ES6_15HIP_vector_typeIjLj2EENS0_17counting_iteratorIjlEEPS9_SG_NS0_5tupleIJPjSI_NS0_16reverse_iteratorISI_EEEEENSH_IJSG_SG_SG_EEES9_SI_JZNS1_25segmented_radix_sort_implINS0_14default_configELb0EPK12hip_bfloat16PSP_PKlPlN2at6native12_GLOBAL__N_18offset_tEEE10hipError_tPvRmT1_PNSt15iterator_traitsIS13_E10value_typeET2_T3_PNS14_IS19_E10value_typeET4_jRbjT5_S1F_jjP12ihipStream_tbEUljE_ZNSN_ISO_Lb0ESR_SS_SU_SV_SZ_EES10_S11_S12_S13_S17_S18_S19_S1C_S1D_jS1E_jS1F_S1F_jjS1H_bEUljE0_EEES10_S11_S12_S19_S1D_S1F_T6_T7_T9_mT8_S1H_bDpT10_ENKUlT_T0_E_clISt17integral_constantIbLb1EES1V_EEDaS1Q_S1R_EUlS1Q_E_NS1_11comp_targetILNS1_3genE8ELNS1_11target_archE1030ELNS1_3gpuE2ELNS1_3repE0EEENS1_30default_config_static_selectorELNS0_4arch9wavefront6targetE0EEEvS13_
	.p2align	8
	.type	_ZN7rocprim17ROCPRIM_400000_NS6detail17trampoline_kernelINS0_13select_configILj256ELj13ELNS0_17block_load_methodE3ELS4_3ELS4_3ELNS0_20block_scan_algorithmE0ELj4294967295EEENS1_25partition_config_selectorILNS1_17partition_subalgoE4EjNS0_10empty_typeEbEEZZNS1_14partition_implILS8_4ELb0ES6_15HIP_vector_typeIjLj2EENS0_17counting_iteratorIjlEEPS9_SG_NS0_5tupleIJPjSI_NS0_16reverse_iteratorISI_EEEEENSH_IJSG_SG_SG_EEES9_SI_JZNS1_25segmented_radix_sort_implINS0_14default_configELb0EPK12hip_bfloat16PSP_PKlPlN2at6native12_GLOBAL__N_18offset_tEEE10hipError_tPvRmT1_PNSt15iterator_traitsIS13_E10value_typeET2_T3_PNS14_IS19_E10value_typeET4_jRbjT5_S1F_jjP12ihipStream_tbEUljE_ZNSN_ISO_Lb0ESR_SS_SU_SV_SZ_EES10_S11_S12_S13_S17_S18_S19_S1C_S1D_jS1E_jS1F_S1F_jjS1H_bEUljE0_EEES10_S11_S12_S19_S1D_S1F_T6_T7_T9_mT8_S1H_bDpT10_ENKUlT_T0_E_clISt17integral_constantIbLb1EES1V_EEDaS1Q_S1R_EUlS1Q_E_NS1_11comp_targetILNS1_3genE8ELNS1_11target_archE1030ELNS1_3gpuE2ELNS1_3repE0EEENS1_30default_config_static_selectorELNS0_4arch9wavefront6targetE0EEEvS13_,@function
_ZN7rocprim17ROCPRIM_400000_NS6detail17trampoline_kernelINS0_13select_configILj256ELj13ELNS0_17block_load_methodE3ELS4_3ELS4_3ELNS0_20block_scan_algorithmE0ELj4294967295EEENS1_25partition_config_selectorILNS1_17partition_subalgoE4EjNS0_10empty_typeEbEEZZNS1_14partition_implILS8_4ELb0ES6_15HIP_vector_typeIjLj2EENS0_17counting_iteratorIjlEEPS9_SG_NS0_5tupleIJPjSI_NS0_16reverse_iteratorISI_EEEEENSH_IJSG_SG_SG_EEES9_SI_JZNS1_25segmented_radix_sort_implINS0_14default_configELb0EPK12hip_bfloat16PSP_PKlPlN2at6native12_GLOBAL__N_18offset_tEEE10hipError_tPvRmT1_PNSt15iterator_traitsIS13_E10value_typeET2_T3_PNS14_IS19_E10value_typeET4_jRbjT5_S1F_jjP12ihipStream_tbEUljE_ZNSN_ISO_Lb0ESR_SS_SU_SV_SZ_EES10_S11_S12_S13_S17_S18_S19_S1C_S1D_jS1E_jS1F_S1F_jjS1H_bEUljE0_EEES10_S11_S12_S19_S1D_S1F_T6_T7_T9_mT8_S1H_bDpT10_ENKUlT_T0_E_clISt17integral_constantIbLb1EES1V_EEDaS1Q_S1R_EUlS1Q_E_NS1_11comp_targetILNS1_3genE8ELNS1_11target_archE1030ELNS1_3gpuE2ELNS1_3repE0EEENS1_30default_config_static_selectorELNS0_4arch9wavefront6targetE0EEEvS13_: ; @_ZN7rocprim17ROCPRIM_400000_NS6detail17trampoline_kernelINS0_13select_configILj256ELj13ELNS0_17block_load_methodE3ELS4_3ELS4_3ELNS0_20block_scan_algorithmE0ELj4294967295EEENS1_25partition_config_selectorILNS1_17partition_subalgoE4EjNS0_10empty_typeEbEEZZNS1_14partition_implILS8_4ELb0ES6_15HIP_vector_typeIjLj2EENS0_17counting_iteratorIjlEEPS9_SG_NS0_5tupleIJPjSI_NS0_16reverse_iteratorISI_EEEEENSH_IJSG_SG_SG_EEES9_SI_JZNS1_25segmented_radix_sort_implINS0_14default_configELb0EPK12hip_bfloat16PSP_PKlPlN2at6native12_GLOBAL__N_18offset_tEEE10hipError_tPvRmT1_PNSt15iterator_traitsIS13_E10value_typeET2_T3_PNS14_IS19_E10value_typeET4_jRbjT5_S1F_jjP12ihipStream_tbEUljE_ZNSN_ISO_Lb0ESR_SS_SU_SV_SZ_EES10_S11_S12_S13_S17_S18_S19_S1C_S1D_jS1E_jS1F_S1F_jjS1H_bEUljE0_EEES10_S11_S12_S19_S1D_S1F_T6_T7_T9_mT8_S1H_bDpT10_ENKUlT_T0_E_clISt17integral_constantIbLb1EES1V_EEDaS1Q_S1R_EUlS1Q_E_NS1_11comp_targetILNS1_3genE8ELNS1_11target_archE1030ELNS1_3gpuE2ELNS1_3repE0EEENS1_30default_config_static_selectorELNS0_4arch9wavefront6targetE0EEEvS13_
; %bb.0:
	.section	.rodata,"a",@progbits
	.p2align	6, 0x0
	.amdhsa_kernel _ZN7rocprim17ROCPRIM_400000_NS6detail17trampoline_kernelINS0_13select_configILj256ELj13ELNS0_17block_load_methodE3ELS4_3ELS4_3ELNS0_20block_scan_algorithmE0ELj4294967295EEENS1_25partition_config_selectorILNS1_17partition_subalgoE4EjNS0_10empty_typeEbEEZZNS1_14partition_implILS8_4ELb0ES6_15HIP_vector_typeIjLj2EENS0_17counting_iteratorIjlEEPS9_SG_NS0_5tupleIJPjSI_NS0_16reverse_iteratorISI_EEEEENSH_IJSG_SG_SG_EEES9_SI_JZNS1_25segmented_radix_sort_implINS0_14default_configELb0EPK12hip_bfloat16PSP_PKlPlN2at6native12_GLOBAL__N_18offset_tEEE10hipError_tPvRmT1_PNSt15iterator_traitsIS13_E10value_typeET2_T3_PNS14_IS19_E10value_typeET4_jRbjT5_S1F_jjP12ihipStream_tbEUljE_ZNSN_ISO_Lb0ESR_SS_SU_SV_SZ_EES10_S11_S12_S13_S17_S18_S19_S1C_S1D_jS1E_jS1F_S1F_jjS1H_bEUljE0_EEES10_S11_S12_S19_S1D_S1F_T6_T7_T9_mT8_S1H_bDpT10_ENKUlT_T0_E_clISt17integral_constantIbLb1EES1V_EEDaS1Q_S1R_EUlS1Q_E_NS1_11comp_targetILNS1_3genE8ELNS1_11target_archE1030ELNS1_3gpuE2ELNS1_3repE0EEENS1_30default_config_static_selectorELNS0_4arch9wavefront6targetE0EEEvS13_
		.amdhsa_group_segment_fixed_size 0
		.amdhsa_private_segment_fixed_size 0
		.amdhsa_kernarg_size 184
		.amdhsa_user_sgpr_count 2
		.amdhsa_user_sgpr_dispatch_ptr 0
		.amdhsa_user_sgpr_queue_ptr 0
		.amdhsa_user_sgpr_kernarg_segment_ptr 1
		.amdhsa_user_sgpr_dispatch_id 0
		.amdhsa_user_sgpr_kernarg_preload_length 0
		.amdhsa_user_sgpr_kernarg_preload_offset 0
		.amdhsa_user_sgpr_private_segment_size 0
		.amdhsa_wavefront_size32 1
		.amdhsa_uses_dynamic_stack 0
		.amdhsa_enable_private_segment 0
		.amdhsa_system_sgpr_workgroup_id_x 1
		.amdhsa_system_sgpr_workgroup_id_y 0
		.amdhsa_system_sgpr_workgroup_id_z 0
		.amdhsa_system_sgpr_workgroup_info 0
		.amdhsa_system_vgpr_workitem_id 0
		.amdhsa_next_free_vgpr 1
		.amdhsa_next_free_sgpr 1
		.amdhsa_named_barrier_count 0
		.amdhsa_reserve_vcc 0
		.amdhsa_float_round_mode_32 0
		.amdhsa_float_round_mode_16_64 0
		.amdhsa_float_denorm_mode_32 3
		.amdhsa_float_denorm_mode_16_64 3
		.amdhsa_fp16_overflow 0
		.amdhsa_memory_ordered 1
		.amdhsa_forward_progress 1
		.amdhsa_inst_pref_size 0
		.amdhsa_round_robin_scheduling 0
		.amdhsa_exception_fp_ieee_invalid_op 0
		.amdhsa_exception_fp_denorm_src 0
		.amdhsa_exception_fp_ieee_div_zero 0
		.amdhsa_exception_fp_ieee_overflow 0
		.amdhsa_exception_fp_ieee_underflow 0
		.amdhsa_exception_fp_ieee_inexact 0
		.amdhsa_exception_int_div_zero 0
	.end_amdhsa_kernel
	.section	.text._ZN7rocprim17ROCPRIM_400000_NS6detail17trampoline_kernelINS0_13select_configILj256ELj13ELNS0_17block_load_methodE3ELS4_3ELS4_3ELNS0_20block_scan_algorithmE0ELj4294967295EEENS1_25partition_config_selectorILNS1_17partition_subalgoE4EjNS0_10empty_typeEbEEZZNS1_14partition_implILS8_4ELb0ES6_15HIP_vector_typeIjLj2EENS0_17counting_iteratorIjlEEPS9_SG_NS0_5tupleIJPjSI_NS0_16reverse_iteratorISI_EEEEENSH_IJSG_SG_SG_EEES9_SI_JZNS1_25segmented_radix_sort_implINS0_14default_configELb0EPK12hip_bfloat16PSP_PKlPlN2at6native12_GLOBAL__N_18offset_tEEE10hipError_tPvRmT1_PNSt15iterator_traitsIS13_E10value_typeET2_T3_PNS14_IS19_E10value_typeET4_jRbjT5_S1F_jjP12ihipStream_tbEUljE_ZNSN_ISO_Lb0ESR_SS_SU_SV_SZ_EES10_S11_S12_S13_S17_S18_S19_S1C_S1D_jS1E_jS1F_S1F_jjS1H_bEUljE0_EEES10_S11_S12_S19_S1D_S1F_T6_T7_T9_mT8_S1H_bDpT10_ENKUlT_T0_E_clISt17integral_constantIbLb1EES1V_EEDaS1Q_S1R_EUlS1Q_E_NS1_11comp_targetILNS1_3genE8ELNS1_11target_archE1030ELNS1_3gpuE2ELNS1_3repE0EEENS1_30default_config_static_selectorELNS0_4arch9wavefront6targetE0EEEvS13_,"axG",@progbits,_ZN7rocprim17ROCPRIM_400000_NS6detail17trampoline_kernelINS0_13select_configILj256ELj13ELNS0_17block_load_methodE3ELS4_3ELS4_3ELNS0_20block_scan_algorithmE0ELj4294967295EEENS1_25partition_config_selectorILNS1_17partition_subalgoE4EjNS0_10empty_typeEbEEZZNS1_14partition_implILS8_4ELb0ES6_15HIP_vector_typeIjLj2EENS0_17counting_iteratorIjlEEPS9_SG_NS0_5tupleIJPjSI_NS0_16reverse_iteratorISI_EEEEENSH_IJSG_SG_SG_EEES9_SI_JZNS1_25segmented_radix_sort_implINS0_14default_configELb0EPK12hip_bfloat16PSP_PKlPlN2at6native12_GLOBAL__N_18offset_tEEE10hipError_tPvRmT1_PNSt15iterator_traitsIS13_E10value_typeET2_T3_PNS14_IS19_E10value_typeET4_jRbjT5_S1F_jjP12ihipStream_tbEUljE_ZNSN_ISO_Lb0ESR_SS_SU_SV_SZ_EES10_S11_S12_S13_S17_S18_S19_S1C_S1D_jS1E_jS1F_S1F_jjS1H_bEUljE0_EEES10_S11_S12_S19_S1D_S1F_T6_T7_T9_mT8_S1H_bDpT10_ENKUlT_T0_E_clISt17integral_constantIbLb1EES1V_EEDaS1Q_S1R_EUlS1Q_E_NS1_11comp_targetILNS1_3genE8ELNS1_11target_archE1030ELNS1_3gpuE2ELNS1_3repE0EEENS1_30default_config_static_selectorELNS0_4arch9wavefront6targetE0EEEvS13_,comdat
.Lfunc_end1990:
	.size	_ZN7rocprim17ROCPRIM_400000_NS6detail17trampoline_kernelINS0_13select_configILj256ELj13ELNS0_17block_load_methodE3ELS4_3ELS4_3ELNS0_20block_scan_algorithmE0ELj4294967295EEENS1_25partition_config_selectorILNS1_17partition_subalgoE4EjNS0_10empty_typeEbEEZZNS1_14partition_implILS8_4ELb0ES6_15HIP_vector_typeIjLj2EENS0_17counting_iteratorIjlEEPS9_SG_NS0_5tupleIJPjSI_NS0_16reverse_iteratorISI_EEEEENSH_IJSG_SG_SG_EEES9_SI_JZNS1_25segmented_radix_sort_implINS0_14default_configELb0EPK12hip_bfloat16PSP_PKlPlN2at6native12_GLOBAL__N_18offset_tEEE10hipError_tPvRmT1_PNSt15iterator_traitsIS13_E10value_typeET2_T3_PNS14_IS19_E10value_typeET4_jRbjT5_S1F_jjP12ihipStream_tbEUljE_ZNSN_ISO_Lb0ESR_SS_SU_SV_SZ_EES10_S11_S12_S13_S17_S18_S19_S1C_S1D_jS1E_jS1F_S1F_jjS1H_bEUljE0_EEES10_S11_S12_S19_S1D_S1F_T6_T7_T9_mT8_S1H_bDpT10_ENKUlT_T0_E_clISt17integral_constantIbLb1EES1V_EEDaS1Q_S1R_EUlS1Q_E_NS1_11comp_targetILNS1_3genE8ELNS1_11target_archE1030ELNS1_3gpuE2ELNS1_3repE0EEENS1_30default_config_static_selectorELNS0_4arch9wavefront6targetE0EEEvS13_, .Lfunc_end1990-_ZN7rocprim17ROCPRIM_400000_NS6detail17trampoline_kernelINS0_13select_configILj256ELj13ELNS0_17block_load_methodE3ELS4_3ELS4_3ELNS0_20block_scan_algorithmE0ELj4294967295EEENS1_25partition_config_selectorILNS1_17partition_subalgoE4EjNS0_10empty_typeEbEEZZNS1_14partition_implILS8_4ELb0ES6_15HIP_vector_typeIjLj2EENS0_17counting_iteratorIjlEEPS9_SG_NS0_5tupleIJPjSI_NS0_16reverse_iteratorISI_EEEEENSH_IJSG_SG_SG_EEES9_SI_JZNS1_25segmented_radix_sort_implINS0_14default_configELb0EPK12hip_bfloat16PSP_PKlPlN2at6native12_GLOBAL__N_18offset_tEEE10hipError_tPvRmT1_PNSt15iterator_traitsIS13_E10value_typeET2_T3_PNS14_IS19_E10value_typeET4_jRbjT5_S1F_jjP12ihipStream_tbEUljE_ZNSN_ISO_Lb0ESR_SS_SU_SV_SZ_EES10_S11_S12_S13_S17_S18_S19_S1C_S1D_jS1E_jS1F_S1F_jjS1H_bEUljE0_EEES10_S11_S12_S19_S1D_S1F_T6_T7_T9_mT8_S1H_bDpT10_ENKUlT_T0_E_clISt17integral_constantIbLb1EES1V_EEDaS1Q_S1R_EUlS1Q_E_NS1_11comp_targetILNS1_3genE8ELNS1_11target_archE1030ELNS1_3gpuE2ELNS1_3repE0EEENS1_30default_config_static_selectorELNS0_4arch9wavefront6targetE0EEEvS13_
                                        ; -- End function
	.set _ZN7rocprim17ROCPRIM_400000_NS6detail17trampoline_kernelINS0_13select_configILj256ELj13ELNS0_17block_load_methodE3ELS4_3ELS4_3ELNS0_20block_scan_algorithmE0ELj4294967295EEENS1_25partition_config_selectorILNS1_17partition_subalgoE4EjNS0_10empty_typeEbEEZZNS1_14partition_implILS8_4ELb0ES6_15HIP_vector_typeIjLj2EENS0_17counting_iteratorIjlEEPS9_SG_NS0_5tupleIJPjSI_NS0_16reverse_iteratorISI_EEEEENSH_IJSG_SG_SG_EEES9_SI_JZNS1_25segmented_radix_sort_implINS0_14default_configELb0EPK12hip_bfloat16PSP_PKlPlN2at6native12_GLOBAL__N_18offset_tEEE10hipError_tPvRmT1_PNSt15iterator_traitsIS13_E10value_typeET2_T3_PNS14_IS19_E10value_typeET4_jRbjT5_S1F_jjP12ihipStream_tbEUljE_ZNSN_ISO_Lb0ESR_SS_SU_SV_SZ_EES10_S11_S12_S13_S17_S18_S19_S1C_S1D_jS1E_jS1F_S1F_jjS1H_bEUljE0_EEES10_S11_S12_S19_S1D_S1F_T6_T7_T9_mT8_S1H_bDpT10_ENKUlT_T0_E_clISt17integral_constantIbLb1EES1V_EEDaS1Q_S1R_EUlS1Q_E_NS1_11comp_targetILNS1_3genE8ELNS1_11target_archE1030ELNS1_3gpuE2ELNS1_3repE0EEENS1_30default_config_static_selectorELNS0_4arch9wavefront6targetE0EEEvS13_.num_vgpr, 0
	.set _ZN7rocprim17ROCPRIM_400000_NS6detail17trampoline_kernelINS0_13select_configILj256ELj13ELNS0_17block_load_methodE3ELS4_3ELS4_3ELNS0_20block_scan_algorithmE0ELj4294967295EEENS1_25partition_config_selectorILNS1_17partition_subalgoE4EjNS0_10empty_typeEbEEZZNS1_14partition_implILS8_4ELb0ES6_15HIP_vector_typeIjLj2EENS0_17counting_iteratorIjlEEPS9_SG_NS0_5tupleIJPjSI_NS0_16reverse_iteratorISI_EEEEENSH_IJSG_SG_SG_EEES9_SI_JZNS1_25segmented_radix_sort_implINS0_14default_configELb0EPK12hip_bfloat16PSP_PKlPlN2at6native12_GLOBAL__N_18offset_tEEE10hipError_tPvRmT1_PNSt15iterator_traitsIS13_E10value_typeET2_T3_PNS14_IS19_E10value_typeET4_jRbjT5_S1F_jjP12ihipStream_tbEUljE_ZNSN_ISO_Lb0ESR_SS_SU_SV_SZ_EES10_S11_S12_S13_S17_S18_S19_S1C_S1D_jS1E_jS1F_S1F_jjS1H_bEUljE0_EEES10_S11_S12_S19_S1D_S1F_T6_T7_T9_mT8_S1H_bDpT10_ENKUlT_T0_E_clISt17integral_constantIbLb1EES1V_EEDaS1Q_S1R_EUlS1Q_E_NS1_11comp_targetILNS1_3genE8ELNS1_11target_archE1030ELNS1_3gpuE2ELNS1_3repE0EEENS1_30default_config_static_selectorELNS0_4arch9wavefront6targetE0EEEvS13_.num_agpr, 0
	.set _ZN7rocprim17ROCPRIM_400000_NS6detail17trampoline_kernelINS0_13select_configILj256ELj13ELNS0_17block_load_methodE3ELS4_3ELS4_3ELNS0_20block_scan_algorithmE0ELj4294967295EEENS1_25partition_config_selectorILNS1_17partition_subalgoE4EjNS0_10empty_typeEbEEZZNS1_14partition_implILS8_4ELb0ES6_15HIP_vector_typeIjLj2EENS0_17counting_iteratorIjlEEPS9_SG_NS0_5tupleIJPjSI_NS0_16reverse_iteratorISI_EEEEENSH_IJSG_SG_SG_EEES9_SI_JZNS1_25segmented_radix_sort_implINS0_14default_configELb0EPK12hip_bfloat16PSP_PKlPlN2at6native12_GLOBAL__N_18offset_tEEE10hipError_tPvRmT1_PNSt15iterator_traitsIS13_E10value_typeET2_T3_PNS14_IS19_E10value_typeET4_jRbjT5_S1F_jjP12ihipStream_tbEUljE_ZNSN_ISO_Lb0ESR_SS_SU_SV_SZ_EES10_S11_S12_S13_S17_S18_S19_S1C_S1D_jS1E_jS1F_S1F_jjS1H_bEUljE0_EEES10_S11_S12_S19_S1D_S1F_T6_T7_T9_mT8_S1H_bDpT10_ENKUlT_T0_E_clISt17integral_constantIbLb1EES1V_EEDaS1Q_S1R_EUlS1Q_E_NS1_11comp_targetILNS1_3genE8ELNS1_11target_archE1030ELNS1_3gpuE2ELNS1_3repE0EEENS1_30default_config_static_selectorELNS0_4arch9wavefront6targetE0EEEvS13_.numbered_sgpr, 0
	.set _ZN7rocprim17ROCPRIM_400000_NS6detail17trampoline_kernelINS0_13select_configILj256ELj13ELNS0_17block_load_methodE3ELS4_3ELS4_3ELNS0_20block_scan_algorithmE0ELj4294967295EEENS1_25partition_config_selectorILNS1_17partition_subalgoE4EjNS0_10empty_typeEbEEZZNS1_14partition_implILS8_4ELb0ES6_15HIP_vector_typeIjLj2EENS0_17counting_iteratorIjlEEPS9_SG_NS0_5tupleIJPjSI_NS0_16reverse_iteratorISI_EEEEENSH_IJSG_SG_SG_EEES9_SI_JZNS1_25segmented_radix_sort_implINS0_14default_configELb0EPK12hip_bfloat16PSP_PKlPlN2at6native12_GLOBAL__N_18offset_tEEE10hipError_tPvRmT1_PNSt15iterator_traitsIS13_E10value_typeET2_T3_PNS14_IS19_E10value_typeET4_jRbjT5_S1F_jjP12ihipStream_tbEUljE_ZNSN_ISO_Lb0ESR_SS_SU_SV_SZ_EES10_S11_S12_S13_S17_S18_S19_S1C_S1D_jS1E_jS1F_S1F_jjS1H_bEUljE0_EEES10_S11_S12_S19_S1D_S1F_T6_T7_T9_mT8_S1H_bDpT10_ENKUlT_T0_E_clISt17integral_constantIbLb1EES1V_EEDaS1Q_S1R_EUlS1Q_E_NS1_11comp_targetILNS1_3genE8ELNS1_11target_archE1030ELNS1_3gpuE2ELNS1_3repE0EEENS1_30default_config_static_selectorELNS0_4arch9wavefront6targetE0EEEvS13_.num_named_barrier, 0
	.set _ZN7rocprim17ROCPRIM_400000_NS6detail17trampoline_kernelINS0_13select_configILj256ELj13ELNS0_17block_load_methodE3ELS4_3ELS4_3ELNS0_20block_scan_algorithmE0ELj4294967295EEENS1_25partition_config_selectorILNS1_17partition_subalgoE4EjNS0_10empty_typeEbEEZZNS1_14partition_implILS8_4ELb0ES6_15HIP_vector_typeIjLj2EENS0_17counting_iteratorIjlEEPS9_SG_NS0_5tupleIJPjSI_NS0_16reverse_iteratorISI_EEEEENSH_IJSG_SG_SG_EEES9_SI_JZNS1_25segmented_radix_sort_implINS0_14default_configELb0EPK12hip_bfloat16PSP_PKlPlN2at6native12_GLOBAL__N_18offset_tEEE10hipError_tPvRmT1_PNSt15iterator_traitsIS13_E10value_typeET2_T3_PNS14_IS19_E10value_typeET4_jRbjT5_S1F_jjP12ihipStream_tbEUljE_ZNSN_ISO_Lb0ESR_SS_SU_SV_SZ_EES10_S11_S12_S13_S17_S18_S19_S1C_S1D_jS1E_jS1F_S1F_jjS1H_bEUljE0_EEES10_S11_S12_S19_S1D_S1F_T6_T7_T9_mT8_S1H_bDpT10_ENKUlT_T0_E_clISt17integral_constantIbLb1EES1V_EEDaS1Q_S1R_EUlS1Q_E_NS1_11comp_targetILNS1_3genE8ELNS1_11target_archE1030ELNS1_3gpuE2ELNS1_3repE0EEENS1_30default_config_static_selectorELNS0_4arch9wavefront6targetE0EEEvS13_.private_seg_size, 0
	.set _ZN7rocprim17ROCPRIM_400000_NS6detail17trampoline_kernelINS0_13select_configILj256ELj13ELNS0_17block_load_methodE3ELS4_3ELS4_3ELNS0_20block_scan_algorithmE0ELj4294967295EEENS1_25partition_config_selectorILNS1_17partition_subalgoE4EjNS0_10empty_typeEbEEZZNS1_14partition_implILS8_4ELb0ES6_15HIP_vector_typeIjLj2EENS0_17counting_iteratorIjlEEPS9_SG_NS0_5tupleIJPjSI_NS0_16reverse_iteratorISI_EEEEENSH_IJSG_SG_SG_EEES9_SI_JZNS1_25segmented_radix_sort_implINS0_14default_configELb0EPK12hip_bfloat16PSP_PKlPlN2at6native12_GLOBAL__N_18offset_tEEE10hipError_tPvRmT1_PNSt15iterator_traitsIS13_E10value_typeET2_T3_PNS14_IS19_E10value_typeET4_jRbjT5_S1F_jjP12ihipStream_tbEUljE_ZNSN_ISO_Lb0ESR_SS_SU_SV_SZ_EES10_S11_S12_S13_S17_S18_S19_S1C_S1D_jS1E_jS1F_S1F_jjS1H_bEUljE0_EEES10_S11_S12_S19_S1D_S1F_T6_T7_T9_mT8_S1H_bDpT10_ENKUlT_T0_E_clISt17integral_constantIbLb1EES1V_EEDaS1Q_S1R_EUlS1Q_E_NS1_11comp_targetILNS1_3genE8ELNS1_11target_archE1030ELNS1_3gpuE2ELNS1_3repE0EEENS1_30default_config_static_selectorELNS0_4arch9wavefront6targetE0EEEvS13_.uses_vcc, 0
	.set _ZN7rocprim17ROCPRIM_400000_NS6detail17trampoline_kernelINS0_13select_configILj256ELj13ELNS0_17block_load_methodE3ELS4_3ELS4_3ELNS0_20block_scan_algorithmE0ELj4294967295EEENS1_25partition_config_selectorILNS1_17partition_subalgoE4EjNS0_10empty_typeEbEEZZNS1_14partition_implILS8_4ELb0ES6_15HIP_vector_typeIjLj2EENS0_17counting_iteratorIjlEEPS9_SG_NS0_5tupleIJPjSI_NS0_16reverse_iteratorISI_EEEEENSH_IJSG_SG_SG_EEES9_SI_JZNS1_25segmented_radix_sort_implINS0_14default_configELb0EPK12hip_bfloat16PSP_PKlPlN2at6native12_GLOBAL__N_18offset_tEEE10hipError_tPvRmT1_PNSt15iterator_traitsIS13_E10value_typeET2_T3_PNS14_IS19_E10value_typeET4_jRbjT5_S1F_jjP12ihipStream_tbEUljE_ZNSN_ISO_Lb0ESR_SS_SU_SV_SZ_EES10_S11_S12_S13_S17_S18_S19_S1C_S1D_jS1E_jS1F_S1F_jjS1H_bEUljE0_EEES10_S11_S12_S19_S1D_S1F_T6_T7_T9_mT8_S1H_bDpT10_ENKUlT_T0_E_clISt17integral_constantIbLb1EES1V_EEDaS1Q_S1R_EUlS1Q_E_NS1_11comp_targetILNS1_3genE8ELNS1_11target_archE1030ELNS1_3gpuE2ELNS1_3repE0EEENS1_30default_config_static_selectorELNS0_4arch9wavefront6targetE0EEEvS13_.uses_flat_scratch, 0
	.set _ZN7rocprim17ROCPRIM_400000_NS6detail17trampoline_kernelINS0_13select_configILj256ELj13ELNS0_17block_load_methodE3ELS4_3ELS4_3ELNS0_20block_scan_algorithmE0ELj4294967295EEENS1_25partition_config_selectorILNS1_17partition_subalgoE4EjNS0_10empty_typeEbEEZZNS1_14partition_implILS8_4ELb0ES6_15HIP_vector_typeIjLj2EENS0_17counting_iteratorIjlEEPS9_SG_NS0_5tupleIJPjSI_NS0_16reverse_iteratorISI_EEEEENSH_IJSG_SG_SG_EEES9_SI_JZNS1_25segmented_radix_sort_implINS0_14default_configELb0EPK12hip_bfloat16PSP_PKlPlN2at6native12_GLOBAL__N_18offset_tEEE10hipError_tPvRmT1_PNSt15iterator_traitsIS13_E10value_typeET2_T3_PNS14_IS19_E10value_typeET4_jRbjT5_S1F_jjP12ihipStream_tbEUljE_ZNSN_ISO_Lb0ESR_SS_SU_SV_SZ_EES10_S11_S12_S13_S17_S18_S19_S1C_S1D_jS1E_jS1F_S1F_jjS1H_bEUljE0_EEES10_S11_S12_S19_S1D_S1F_T6_T7_T9_mT8_S1H_bDpT10_ENKUlT_T0_E_clISt17integral_constantIbLb1EES1V_EEDaS1Q_S1R_EUlS1Q_E_NS1_11comp_targetILNS1_3genE8ELNS1_11target_archE1030ELNS1_3gpuE2ELNS1_3repE0EEENS1_30default_config_static_selectorELNS0_4arch9wavefront6targetE0EEEvS13_.has_dyn_sized_stack, 0
	.set _ZN7rocprim17ROCPRIM_400000_NS6detail17trampoline_kernelINS0_13select_configILj256ELj13ELNS0_17block_load_methodE3ELS4_3ELS4_3ELNS0_20block_scan_algorithmE0ELj4294967295EEENS1_25partition_config_selectorILNS1_17partition_subalgoE4EjNS0_10empty_typeEbEEZZNS1_14partition_implILS8_4ELb0ES6_15HIP_vector_typeIjLj2EENS0_17counting_iteratorIjlEEPS9_SG_NS0_5tupleIJPjSI_NS0_16reverse_iteratorISI_EEEEENSH_IJSG_SG_SG_EEES9_SI_JZNS1_25segmented_radix_sort_implINS0_14default_configELb0EPK12hip_bfloat16PSP_PKlPlN2at6native12_GLOBAL__N_18offset_tEEE10hipError_tPvRmT1_PNSt15iterator_traitsIS13_E10value_typeET2_T3_PNS14_IS19_E10value_typeET4_jRbjT5_S1F_jjP12ihipStream_tbEUljE_ZNSN_ISO_Lb0ESR_SS_SU_SV_SZ_EES10_S11_S12_S13_S17_S18_S19_S1C_S1D_jS1E_jS1F_S1F_jjS1H_bEUljE0_EEES10_S11_S12_S19_S1D_S1F_T6_T7_T9_mT8_S1H_bDpT10_ENKUlT_T0_E_clISt17integral_constantIbLb1EES1V_EEDaS1Q_S1R_EUlS1Q_E_NS1_11comp_targetILNS1_3genE8ELNS1_11target_archE1030ELNS1_3gpuE2ELNS1_3repE0EEENS1_30default_config_static_selectorELNS0_4arch9wavefront6targetE0EEEvS13_.has_recursion, 0
	.set _ZN7rocprim17ROCPRIM_400000_NS6detail17trampoline_kernelINS0_13select_configILj256ELj13ELNS0_17block_load_methodE3ELS4_3ELS4_3ELNS0_20block_scan_algorithmE0ELj4294967295EEENS1_25partition_config_selectorILNS1_17partition_subalgoE4EjNS0_10empty_typeEbEEZZNS1_14partition_implILS8_4ELb0ES6_15HIP_vector_typeIjLj2EENS0_17counting_iteratorIjlEEPS9_SG_NS0_5tupleIJPjSI_NS0_16reverse_iteratorISI_EEEEENSH_IJSG_SG_SG_EEES9_SI_JZNS1_25segmented_radix_sort_implINS0_14default_configELb0EPK12hip_bfloat16PSP_PKlPlN2at6native12_GLOBAL__N_18offset_tEEE10hipError_tPvRmT1_PNSt15iterator_traitsIS13_E10value_typeET2_T3_PNS14_IS19_E10value_typeET4_jRbjT5_S1F_jjP12ihipStream_tbEUljE_ZNSN_ISO_Lb0ESR_SS_SU_SV_SZ_EES10_S11_S12_S13_S17_S18_S19_S1C_S1D_jS1E_jS1F_S1F_jjS1H_bEUljE0_EEES10_S11_S12_S19_S1D_S1F_T6_T7_T9_mT8_S1H_bDpT10_ENKUlT_T0_E_clISt17integral_constantIbLb1EES1V_EEDaS1Q_S1R_EUlS1Q_E_NS1_11comp_targetILNS1_3genE8ELNS1_11target_archE1030ELNS1_3gpuE2ELNS1_3repE0EEENS1_30default_config_static_selectorELNS0_4arch9wavefront6targetE0EEEvS13_.has_indirect_call, 0
	.section	.AMDGPU.csdata,"",@progbits
; Kernel info:
; codeLenInByte = 0
; TotalNumSgprs: 0
; NumVgprs: 0
; ScratchSize: 0
; MemoryBound: 0
; FloatMode: 240
; IeeeMode: 1
; LDSByteSize: 0 bytes/workgroup (compile time only)
; SGPRBlocks: 0
; VGPRBlocks: 0
; NumSGPRsForWavesPerEU: 1
; NumVGPRsForWavesPerEU: 1
; NamedBarCnt: 0
; Occupancy: 16
; WaveLimiterHint : 0
; COMPUTE_PGM_RSRC2:SCRATCH_EN: 0
; COMPUTE_PGM_RSRC2:USER_SGPR: 2
; COMPUTE_PGM_RSRC2:TRAP_HANDLER: 0
; COMPUTE_PGM_RSRC2:TGID_X_EN: 1
; COMPUTE_PGM_RSRC2:TGID_Y_EN: 0
; COMPUTE_PGM_RSRC2:TGID_Z_EN: 0
; COMPUTE_PGM_RSRC2:TIDIG_COMP_CNT: 0
	.section	.text._ZN7rocprim17ROCPRIM_400000_NS6detail17trampoline_kernelINS0_13select_configILj256ELj13ELNS0_17block_load_methodE3ELS4_3ELS4_3ELNS0_20block_scan_algorithmE0ELj4294967295EEENS1_25partition_config_selectorILNS1_17partition_subalgoE4EjNS0_10empty_typeEbEEZZNS1_14partition_implILS8_4ELb0ES6_15HIP_vector_typeIjLj2EENS0_17counting_iteratorIjlEEPS9_SG_NS0_5tupleIJPjSI_NS0_16reverse_iteratorISI_EEEEENSH_IJSG_SG_SG_EEES9_SI_JZNS1_25segmented_radix_sort_implINS0_14default_configELb0EPK12hip_bfloat16PSP_PKlPlN2at6native12_GLOBAL__N_18offset_tEEE10hipError_tPvRmT1_PNSt15iterator_traitsIS13_E10value_typeET2_T3_PNS14_IS19_E10value_typeET4_jRbjT5_S1F_jjP12ihipStream_tbEUljE_ZNSN_ISO_Lb0ESR_SS_SU_SV_SZ_EES10_S11_S12_S13_S17_S18_S19_S1C_S1D_jS1E_jS1F_S1F_jjS1H_bEUljE0_EEES10_S11_S12_S19_S1D_S1F_T6_T7_T9_mT8_S1H_bDpT10_ENKUlT_T0_E_clISt17integral_constantIbLb1EES1U_IbLb0EEEEDaS1Q_S1R_EUlS1Q_E_NS1_11comp_targetILNS1_3genE0ELNS1_11target_archE4294967295ELNS1_3gpuE0ELNS1_3repE0EEENS1_30default_config_static_selectorELNS0_4arch9wavefront6targetE0EEEvS13_,"axG",@progbits,_ZN7rocprim17ROCPRIM_400000_NS6detail17trampoline_kernelINS0_13select_configILj256ELj13ELNS0_17block_load_methodE3ELS4_3ELS4_3ELNS0_20block_scan_algorithmE0ELj4294967295EEENS1_25partition_config_selectorILNS1_17partition_subalgoE4EjNS0_10empty_typeEbEEZZNS1_14partition_implILS8_4ELb0ES6_15HIP_vector_typeIjLj2EENS0_17counting_iteratorIjlEEPS9_SG_NS0_5tupleIJPjSI_NS0_16reverse_iteratorISI_EEEEENSH_IJSG_SG_SG_EEES9_SI_JZNS1_25segmented_radix_sort_implINS0_14default_configELb0EPK12hip_bfloat16PSP_PKlPlN2at6native12_GLOBAL__N_18offset_tEEE10hipError_tPvRmT1_PNSt15iterator_traitsIS13_E10value_typeET2_T3_PNS14_IS19_E10value_typeET4_jRbjT5_S1F_jjP12ihipStream_tbEUljE_ZNSN_ISO_Lb0ESR_SS_SU_SV_SZ_EES10_S11_S12_S13_S17_S18_S19_S1C_S1D_jS1E_jS1F_S1F_jjS1H_bEUljE0_EEES10_S11_S12_S19_S1D_S1F_T6_T7_T9_mT8_S1H_bDpT10_ENKUlT_T0_E_clISt17integral_constantIbLb1EES1U_IbLb0EEEEDaS1Q_S1R_EUlS1Q_E_NS1_11comp_targetILNS1_3genE0ELNS1_11target_archE4294967295ELNS1_3gpuE0ELNS1_3repE0EEENS1_30default_config_static_selectorELNS0_4arch9wavefront6targetE0EEEvS13_,comdat
	.globl	_ZN7rocprim17ROCPRIM_400000_NS6detail17trampoline_kernelINS0_13select_configILj256ELj13ELNS0_17block_load_methodE3ELS4_3ELS4_3ELNS0_20block_scan_algorithmE0ELj4294967295EEENS1_25partition_config_selectorILNS1_17partition_subalgoE4EjNS0_10empty_typeEbEEZZNS1_14partition_implILS8_4ELb0ES6_15HIP_vector_typeIjLj2EENS0_17counting_iteratorIjlEEPS9_SG_NS0_5tupleIJPjSI_NS0_16reverse_iteratorISI_EEEEENSH_IJSG_SG_SG_EEES9_SI_JZNS1_25segmented_radix_sort_implINS0_14default_configELb0EPK12hip_bfloat16PSP_PKlPlN2at6native12_GLOBAL__N_18offset_tEEE10hipError_tPvRmT1_PNSt15iterator_traitsIS13_E10value_typeET2_T3_PNS14_IS19_E10value_typeET4_jRbjT5_S1F_jjP12ihipStream_tbEUljE_ZNSN_ISO_Lb0ESR_SS_SU_SV_SZ_EES10_S11_S12_S13_S17_S18_S19_S1C_S1D_jS1E_jS1F_S1F_jjS1H_bEUljE0_EEES10_S11_S12_S19_S1D_S1F_T6_T7_T9_mT8_S1H_bDpT10_ENKUlT_T0_E_clISt17integral_constantIbLb1EES1U_IbLb0EEEEDaS1Q_S1R_EUlS1Q_E_NS1_11comp_targetILNS1_3genE0ELNS1_11target_archE4294967295ELNS1_3gpuE0ELNS1_3repE0EEENS1_30default_config_static_selectorELNS0_4arch9wavefront6targetE0EEEvS13_ ; -- Begin function _ZN7rocprim17ROCPRIM_400000_NS6detail17trampoline_kernelINS0_13select_configILj256ELj13ELNS0_17block_load_methodE3ELS4_3ELS4_3ELNS0_20block_scan_algorithmE0ELj4294967295EEENS1_25partition_config_selectorILNS1_17partition_subalgoE4EjNS0_10empty_typeEbEEZZNS1_14partition_implILS8_4ELb0ES6_15HIP_vector_typeIjLj2EENS0_17counting_iteratorIjlEEPS9_SG_NS0_5tupleIJPjSI_NS0_16reverse_iteratorISI_EEEEENSH_IJSG_SG_SG_EEES9_SI_JZNS1_25segmented_radix_sort_implINS0_14default_configELb0EPK12hip_bfloat16PSP_PKlPlN2at6native12_GLOBAL__N_18offset_tEEE10hipError_tPvRmT1_PNSt15iterator_traitsIS13_E10value_typeET2_T3_PNS14_IS19_E10value_typeET4_jRbjT5_S1F_jjP12ihipStream_tbEUljE_ZNSN_ISO_Lb0ESR_SS_SU_SV_SZ_EES10_S11_S12_S13_S17_S18_S19_S1C_S1D_jS1E_jS1F_S1F_jjS1H_bEUljE0_EEES10_S11_S12_S19_S1D_S1F_T6_T7_T9_mT8_S1H_bDpT10_ENKUlT_T0_E_clISt17integral_constantIbLb1EES1U_IbLb0EEEEDaS1Q_S1R_EUlS1Q_E_NS1_11comp_targetILNS1_3genE0ELNS1_11target_archE4294967295ELNS1_3gpuE0ELNS1_3repE0EEENS1_30default_config_static_selectorELNS0_4arch9wavefront6targetE0EEEvS13_
	.p2align	8
	.type	_ZN7rocprim17ROCPRIM_400000_NS6detail17trampoline_kernelINS0_13select_configILj256ELj13ELNS0_17block_load_methodE3ELS4_3ELS4_3ELNS0_20block_scan_algorithmE0ELj4294967295EEENS1_25partition_config_selectorILNS1_17partition_subalgoE4EjNS0_10empty_typeEbEEZZNS1_14partition_implILS8_4ELb0ES6_15HIP_vector_typeIjLj2EENS0_17counting_iteratorIjlEEPS9_SG_NS0_5tupleIJPjSI_NS0_16reverse_iteratorISI_EEEEENSH_IJSG_SG_SG_EEES9_SI_JZNS1_25segmented_radix_sort_implINS0_14default_configELb0EPK12hip_bfloat16PSP_PKlPlN2at6native12_GLOBAL__N_18offset_tEEE10hipError_tPvRmT1_PNSt15iterator_traitsIS13_E10value_typeET2_T3_PNS14_IS19_E10value_typeET4_jRbjT5_S1F_jjP12ihipStream_tbEUljE_ZNSN_ISO_Lb0ESR_SS_SU_SV_SZ_EES10_S11_S12_S13_S17_S18_S19_S1C_S1D_jS1E_jS1F_S1F_jjS1H_bEUljE0_EEES10_S11_S12_S19_S1D_S1F_T6_T7_T9_mT8_S1H_bDpT10_ENKUlT_T0_E_clISt17integral_constantIbLb1EES1U_IbLb0EEEEDaS1Q_S1R_EUlS1Q_E_NS1_11comp_targetILNS1_3genE0ELNS1_11target_archE4294967295ELNS1_3gpuE0ELNS1_3repE0EEENS1_30default_config_static_selectorELNS0_4arch9wavefront6targetE0EEEvS13_,@function
_ZN7rocprim17ROCPRIM_400000_NS6detail17trampoline_kernelINS0_13select_configILj256ELj13ELNS0_17block_load_methodE3ELS4_3ELS4_3ELNS0_20block_scan_algorithmE0ELj4294967295EEENS1_25partition_config_selectorILNS1_17partition_subalgoE4EjNS0_10empty_typeEbEEZZNS1_14partition_implILS8_4ELb0ES6_15HIP_vector_typeIjLj2EENS0_17counting_iteratorIjlEEPS9_SG_NS0_5tupleIJPjSI_NS0_16reverse_iteratorISI_EEEEENSH_IJSG_SG_SG_EEES9_SI_JZNS1_25segmented_radix_sort_implINS0_14default_configELb0EPK12hip_bfloat16PSP_PKlPlN2at6native12_GLOBAL__N_18offset_tEEE10hipError_tPvRmT1_PNSt15iterator_traitsIS13_E10value_typeET2_T3_PNS14_IS19_E10value_typeET4_jRbjT5_S1F_jjP12ihipStream_tbEUljE_ZNSN_ISO_Lb0ESR_SS_SU_SV_SZ_EES10_S11_S12_S13_S17_S18_S19_S1C_S1D_jS1E_jS1F_S1F_jjS1H_bEUljE0_EEES10_S11_S12_S19_S1D_S1F_T6_T7_T9_mT8_S1H_bDpT10_ENKUlT_T0_E_clISt17integral_constantIbLb1EES1U_IbLb0EEEEDaS1Q_S1R_EUlS1Q_E_NS1_11comp_targetILNS1_3genE0ELNS1_11target_archE4294967295ELNS1_3gpuE0ELNS1_3repE0EEENS1_30default_config_static_selectorELNS0_4arch9wavefront6targetE0EEEvS13_: ; @_ZN7rocprim17ROCPRIM_400000_NS6detail17trampoline_kernelINS0_13select_configILj256ELj13ELNS0_17block_load_methodE3ELS4_3ELS4_3ELNS0_20block_scan_algorithmE0ELj4294967295EEENS1_25partition_config_selectorILNS1_17partition_subalgoE4EjNS0_10empty_typeEbEEZZNS1_14partition_implILS8_4ELb0ES6_15HIP_vector_typeIjLj2EENS0_17counting_iteratorIjlEEPS9_SG_NS0_5tupleIJPjSI_NS0_16reverse_iteratorISI_EEEEENSH_IJSG_SG_SG_EEES9_SI_JZNS1_25segmented_radix_sort_implINS0_14default_configELb0EPK12hip_bfloat16PSP_PKlPlN2at6native12_GLOBAL__N_18offset_tEEE10hipError_tPvRmT1_PNSt15iterator_traitsIS13_E10value_typeET2_T3_PNS14_IS19_E10value_typeET4_jRbjT5_S1F_jjP12ihipStream_tbEUljE_ZNSN_ISO_Lb0ESR_SS_SU_SV_SZ_EES10_S11_S12_S13_S17_S18_S19_S1C_S1D_jS1E_jS1F_S1F_jjS1H_bEUljE0_EEES10_S11_S12_S19_S1D_S1F_T6_T7_T9_mT8_S1H_bDpT10_ENKUlT_T0_E_clISt17integral_constantIbLb1EES1U_IbLb0EEEEDaS1Q_S1R_EUlS1Q_E_NS1_11comp_targetILNS1_3genE0ELNS1_11target_archE4294967295ELNS1_3gpuE0ELNS1_3repE0EEENS1_30default_config_static_selectorELNS0_4arch9wavefront6targetE0EEEvS13_
; %bb.0:
	s_endpgm
	.section	.rodata,"a",@progbits
	.p2align	6, 0x0
	.amdhsa_kernel _ZN7rocprim17ROCPRIM_400000_NS6detail17trampoline_kernelINS0_13select_configILj256ELj13ELNS0_17block_load_methodE3ELS4_3ELS4_3ELNS0_20block_scan_algorithmE0ELj4294967295EEENS1_25partition_config_selectorILNS1_17partition_subalgoE4EjNS0_10empty_typeEbEEZZNS1_14partition_implILS8_4ELb0ES6_15HIP_vector_typeIjLj2EENS0_17counting_iteratorIjlEEPS9_SG_NS0_5tupleIJPjSI_NS0_16reverse_iteratorISI_EEEEENSH_IJSG_SG_SG_EEES9_SI_JZNS1_25segmented_radix_sort_implINS0_14default_configELb0EPK12hip_bfloat16PSP_PKlPlN2at6native12_GLOBAL__N_18offset_tEEE10hipError_tPvRmT1_PNSt15iterator_traitsIS13_E10value_typeET2_T3_PNS14_IS19_E10value_typeET4_jRbjT5_S1F_jjP12ihipStream_tbEUljE_ZNSN_ISO_Lb0ESR_SS_SU_SV_SZ_EES10_S11_S12_S13_S17_S18_S19_S1C_S1D_jS1E_jS1F_S1F_jjS1H_bEUljE0_EEES10_S11_S12_S19_S1D_S1F_T6_T7_T9_mT8_S1H_bDpT10_ENKUlT_T0_E_clISt17integral_constantIbLb1EES1U_IbLb0EEEEDaS1Q_S1R_EUlS1Q_E_NS1_11comp_targetILNS1_3genE0ELNS1_11target_archE4294967295ELNS1_3gpuE0ELNS1_3repE0EEENS1_30default_config_static_selectorELNS0_4arch9wavefront6targetE0EEEvS13_
		.amdhsa_group_segment_fixed_size 0
		.amdhsa_private_segment_fixed_size 0
		.amdhsa_kernarg_size 176
		.amdhsa_user_sgpr_count 2
		.amdhsa_user_sgpr_dispatch_ptr 0
		.amdhsa_user_sgpr_queue_ptr 0
		.amdhsa_user_sgpr_kernarg_segment_ptr 1
		.amdhsa_user_sgpr_dispatch_id 0
		.amdhsa_user_sgpr_kernarg_preload_length 0
		.amdhsa_user_sgpr_kernarg_preload_offset 0
		.amdhsa_user_sgpr_private_segment_size 0
		.amdhsa_wavefront_size32 1
		.amdhsa_uses_dynamic_stack 0
		.amdhsa_enable_private_segment 0
		.amdhsa_system_sgpr_workgroup_id_x 1
		.amdhsa_system_sgpr_workgroup_id_y 0
		.amdhsa_system_sgpr_workgroup_id_z 0
		.amdhsa_system_sgpr_workgroup_info 0
		.amdhsa_system_vgpr_workitem_id 0
		.amdhsa_next_free_vgpr 1
		.amdhsa_next_free_sgpr 1
		.amdhsa_named_barrier_count 0
		.amdhsa_reserve_vcc 0
		.amdhsa_float_round_mode_32 0
		.amdhsa_float_round_mode_16_64 0
		.amdhsa_float_denorm_mode_32 3
		.amdhsa_float_denorm_mode_16_64 3
		.amdhsa_fp16_overflow 0
		.amdhsa_memory_ordered 1
		.amdhsa_forward_progress 1
		.amdhsa_inst_pref_size 1
		.amdhsa_round_robin_scheduling 0
		.amdhsa_exception_fp_ieee_invalid_op 0
		.amdhsa_exception_fp_denorm_src 0
		.amdhsa_exception_fp_ieee_div_zero 0
		.amdhsa_exception_fp_ieee_overflow 0
		.amdhsa_exception_fp_ieee_underflow 0
		.amdhsa_exception_fp_ieee_inexact 0
		.amdhsa_exception_int_div_zero 0
	.end_amdhsa_kernel
	.section	.text._ZN7rocprim17ROCPRIM_400000_NS6detail17trampoline_kernelINS0_13select_configILj256ELj13ELNS0_17block_load_methodE3ELS4_3ELS4_3ELNS0_20block_scan_algorithmE0ELj4294967295EEENS1_25partition_config_selectorILNS1_17partition_subalgoE4EjNS0_10empty_typeEbEEZZNS1_14partition_implILS8_4ELb0ES6_15HIP_vector_typeIjLj2EENS0_17counting_iteratorIjlEEPS9_SG_NS0_5tupleIJPjSI_NS0_16reverse_iteratorISI_EEEEENSH_IJSG_SG_SG_EEES9_SI_JZNS1_25segmented_radix_sort_implINS0_14default_configELb0EPK12hip_bfloat16PSP_PKlPlN2at6native12_GLOBAL__N_18offset_tEEE10hipError_tPvRmT1_PNSt15iterator_traitsIS13_E10value_typeET2_T3_PNS14_IS19_E10value_typeET4_jRbjT5_S1F_jjP12ihipStream_tbEUljE_ZNSN_ISO_Lb0ESR_SS_SU_SV_SZ_EES10_S11_S12_S13_S17_S18_S19_S1C_S1D_jS1E_jS1F_S1F_jjS1H_bEUljE0_EEES10_S11_S12_S19_S1D_S1F_T6_T7_T9_mT8_S1H_bDpT10_ENKUlT_T0_E_clISt17integral_constantIbLb1EES1U_IbLb0EEEEDaS1Q_S1R_EUlS1Q_E_NS1_11comp_targetILNS1_3genE0ELNS1_11target_archE4294967295ELNS1_3gpuE0ELNS1_3repE0EEENS1_30default_config_static_selectorELNS0_4arch9wavefront6targetE0EEEvS13_,"axG",@progbits,_ZN7rocprim17ROCPRIM_400000_NS6detail17trampoline_kernelINS0_13select_configILj256ELj13ELNS0_17block_load_methodE3ELS4_3ELS4_3ELNS0_20block_scan_algorithmE0ELj4294967295EEENS1_25partition_config_selectorILNS1_17partition_subalgoE4EjNS0_10empty_typeEbEEZZNS1_14partition_implILS8_4ELb0ES6_15HIP_vector_typeIjLj2EENS0_17counting_iteratorIjlEEPS9_SG_NS0_5tupleIJPjSI_NS0_16reverse_iteratorISI_EEEEENSH_IJSG_SG_SG_EEES9_SI_JZNS1_25segmented_radix_sort_implINS0_14default_configELb0EPK12hip_bfloat16PSP_PKlPlN2at6native12_GLOBAL__N_18offset_tEEE10hipError_tPvRmT1_PNSt15iterator_traitsIS13_E10value_typeET2_T3_PNS14_IS19_E10value_typeET4_jRbjT5_S1F_jjP12ihipStream_tbEUljE_ZNSN_ISO_Lb0ESR_SS_SU_SV_SZ_EES10_S11_S12_S13_S17_S18_S19_S1C_S1D_jS1E_jS1F_S1F_jjS1H_bEUljE0_EEES10_S11_S12_S19_S1D_S1F_T6_T7_T9_mT8_S1H_bDpT10_ENKUlT_T0_E_clISt17integral_constantIbLb1EES1U_IbLb0EEEEDaS1Q_S1R_EUlS1Q_E_NS1_11comp_targetILNS1_3genE0ELNS1_11target_archE4294967295ELNS1_3gpuE0ELNS1_3repE0EEENS1_30default_config_static_selectorELNS0_4arch9wavefront6targetE0EEEvS13_,comdat
.Lfunc_end1991:
	.size	_ZN7rocprim17ROCPRIM_400000_NS6detail17trampoline_kernelINS0_13select_configILj256ELj13ELNS0_17block_load_methodE3ELS4_3ELS4_3ELNS0_20block_scan_algorithmE0ELj4294967295EEENS1_25partition_config_selectorILNS1_17partition_subalgoE4EjNS0_10empty_typeEbEEZZNS1_14partition_implILS8_4ELb0ES6_15HIP_vector_typeIjLj2EENS0_17counting_iteratorIjlEEPS9_SG_NS0_5tupleIJPjSI_NS0_16reverse_iteratorISI_EEEEENSH_IJSG_SG_SG_EEES9_SI_JZNS1_25segmented_radix_sort_implINS0_14default_configELb0EPK12hip_bfloat16PSP_PKlPlN2at6native12_GLOBAL__N_18offset_tEEE10hipError_tPvRmT1_PNSt15iterator_traitsIS13_E10value_typeET2_T3_PNS14_IS19_E10value_typeET4_jRbjT5_S1F_jjP12ihipStream_tbEUljE_ZNSN_ISO_Lb0ESR_SS_SU_SV_SZ_EES10_S11_S12_S13_S17_S18_S19_S1C_S1D_jS1E_jS1F_S1F_jjS1H_bEUljE0_EEES10_S11_S12_S19_S1D_S1F_T6_T7_T9_mT8_S1H_bDpT10_ENKUlT_T0_E_clISt17integral_constantIbLb1EES1U_IbLb0EEEEDaS1Q_S1R_EUlS1Q_E_NS1_11comp_targetILNS1_3genE0ELNS1_11target_archE4294967295ELNS1_3gpuE0ELNS1_3repE0EEENS1_30default_config_static_selectorELNS0_4arch9wavefront6targetE0EEEvS13_, .Lfunc_end1991-_ZN7rocprim17ROCPRIM_400000_NS6detail17trampoline_kernelINS0_13select_configILj256ELj13ELNS0_17block_load_methodE3ELS4_3ELS4_3ELNS0_20block_scan_algorithmE0ELj4294967295EEENS1_25partition_config_selectorILNS1_17partition_subalgoE4EjNS0_10empty_typeEbEEZZNS1_14partition_implILS8_4ELb0ES6_15HIP_vector_typeIjLj2EENS0_17counting_iteratorIjlEEPS9_SG_NS0_5tupleIJPjSI_NS0_16reverse_iteratorISI_EEEEENSH_IJSG_SG_SG_EEES9_SI_JZNS1_25segmented_radix_sort_implINS0_14default_configELb0EPK12hip_bfloat16PSP_PKlPlN2at6native12_GLOBAL__N_18offset_tEEE10hipError_tPvRmT1_PNSt15iterator_traitsIS13_E10value_typeET2_T3_PNS14_IS19_E10value_typeET4_jRbjT5_S1F_jjP12ihipStream_tbEUljE_ZNSN_ISO_Lb0ESR_SS_SU_SV_SZ_EES10_S11_S12_S13_S17_S18_S19_S1C_S1D_jS1E_jS1F_S1F_jjS1H_bEUljE0_EEES10_S11_S12_S19_S1D_S1F_T6_T7_T9_mT8_S1H_bDpT10_ENKUlT_T0_E_clISt17integral_constantIbLb1EES1U_IbLb0EEEEDaS1Q_S1R_EUlS1Q_E_NS1_11comp_targetILNS1_3genE0ELNS1_11target_archE4294967295ELNS1_3gpuE0ELNS1_3repE0EEENS1_30default_config_static_selectorELNS0_4arch9wavefront6targetE0EEEvS13_
                                        ; -- End function
	.set _ZN7rocprim17ROCPRIM_400000_NS6detail17trampoline_kernelINS0_13select_configILj256ELj13ELNS0_17block_load_methodE3ELS4_3ELS4_3ELNS0_20block_scan_algorithmE0ELj4294967295EEENS1_25partition_config_selectorILNS1_17partition_subalgoE4EjNS0_10empty_typeEbEEZZNS1_14partition_implILS8_4ELb0ES6_15HIP_vector_typeIjLj2EENS0_17counting_iteratorIjlEEPS9_SG_NS0_5tupleIJPjSI_NS0_16reverse_iteratorISI_EEEEENSH_IJSG_SG_SG_EEES9_SI_JZNS1_25segmented_radix_sort_implINS0_14default_configELb0EPK12hip_bfloat16PSP_PKlPlN2at6native12_GLOBAL__N_18offset_tEEE10hipError_tPvRmT1_PNSt15iterator_traitsIS13_E10value_typeET2_T3_PNS14_IS19_E10value_typeET4_jRbjT5_S1F_jjP12ihipStream_tbEUljE_ZNSN_ISO_Lb0ESR_SS_SU_SV_SZ_EES10_S11_S12_S13_S17_S18_S19_S1C_S1D_jS1E_jS1F_S1F_jjS1H_bEUljE0_EEES10_S11_S12_S19_S1D_S1F_T6_T7_T9_mT8_S1H_bDpT10_ENKUlT_T0_E_clISt17integral_constantIbLb1EES1U_IbLb0EEEEDaS1Q_S1R_EUlS1Q_E_NS1_11comp_targetILNS1_3genE0ELNS1_11target_archE4294967295ELNS1_3gpuE0ELNS1_3repE0EEENS1_30default_config_static_selectorELNS0_4arch9wavefront6targetE0EEEvS13_.num_vgpr, 0
	.set _ZN7rocprim17ROCPRIM_400000_NS6detail17trampoline_kernelINS0_13select_configILj256ELj13ELNS0_17block_load_methodE3ELS4_3ELS4_3ELNS0_20block_scan_algorithmE0ELj4294967295EEENS1_25partition_config_selectorILNS1_17partition_subalgoE4EjNS0_10empty_typeEbEEZZNS1_14partition_implILS8_4ELb0ES6_15HIP_vector_typeIjLj2EENS0_17counting_iteratorIjlEEPS9_SG_NS0_5tupleIJPjSI_NS0_16reverse_iteratorISI_EEEEENSH_IJSG_SG_SG_EEES9_SI_JZNS1_25segmented_radix_sort_implINS0_14default_configELb0EPK12hip_bfloat16PSP_PKlPlN2at6native12_GLOBAL__N_18offset_tEEE10hipError_tPvRmT1_PNSt15iterator_traitsIS13_E10value_typeET2_T3_PNS14_IS19_E10value_typeET4_jRbjT5_S1F_jjP12ihipStream_tbEUljE_ZNSN_ISO_Lb0ESR_SS_SU_SV_SZ_EES10_S11_S12_S13_S17_S18_S19_S1C_S1D_jS1E_jS1F_S1F_jjS1H_bEUljE0_EEES10_S11_S12_S19_S1D_S1F_T6_T7_T9_mT8_S1H_bDpT10_ENKUlT_T0_E_clISt17integral_constantIbLb1EES1U_IbLb0EEEEDaS1Q_S1R_EUlS1Q_E_NS1_11comp_targetILNS1_3genE0ELNS1_11target_archE4294967295ELNS1_3gpuE0ELNS1_3repE0EEENS1_30default_config_static_selectorELNS0_4arch9wavefront6targetE0EEEvS13_.num_agpr, 0
	.set _ZN7rocprim17ROCPRIM_400000_NS6detail17trampoline_kernelINS0_13select_configILj256ELj13ELNS0_17block_load_methodE3ELS4_3ELS4_3ELNS0_20block_scan_algorithmE0ELj4294967295EEENS1_25partition_config_selectorILNS1_17partition_subalgoE4EjNS0_10empty_typeEbEEZZNS1_14partition_implILS8_4ELb0ES6_15HIP_vector_typeIjLj2EENS0_17counting_iteratorIjlEEPS9_SG_NS0_5tupleIJPjSI_NS0_16reverse_iteratorISI_EEEEENSH_IJSG_SG_SG_EEES9_SI_JZNS1_25segmented_radix_sort_implINS0_14default_configELb0EPK12hip_bfloat16PSP_PKlPlN2at6native12_GLOBAL__N_18offset_tEEE10hipError_tPvRmT1_PNSt15iterator_traitsIS13_E10value_typeET2_T3_PNS14_IS19_E10value_typeET4_jRbjT5_S1F_jjP12ihipStream_tbEUljE_ZNSN_ISO_Lb0ESR_SS_SU_SV_SZ_EES10_S11_S12_S13_S17_S18_S19_S1C_S1D_jS1E_jS1F_S1F_jjS1H_bEUljE0_EEES10_S11_S12_S19_S1D_S1F_T6_T7_T9_mT8_S1H_bDpT10_ENKUlT_T0_E_clISt17integral_constantIbLb1EES1U_IbLb0EEEEDaS1Q_S1R_EUlS1Q_E_NS1_11comp_targetILNS1_3genE0ELNS1_11target_archE4294967295ELNS1_3gpuE0ELNS1_3repE0EEENS1_30default_config_static_selectorELNS0_4arch9wavefront6targetE0EEEvS13_.numbered_sgpr, 0
	.set _ZN7rocprim17ROCPRIM_400000_NS6detail17trampoline_kernelINS0_13select_configILj256ELj13ELNS0_17block_load_methodE3ELS4_3ELS4_3ELNS0_20block_scan_algorithmE0ELj4294967295EEENS1_25partition_config_selectorILNS1_17partition_subalgoE4EjNS0_10empty_typeEbEEZZNS1_14partition_implILS8_4ELb0ES6_15HIP_vector_typeIjLj2EENS0_17counting_iteratorIjlEEPS9_SG_NS0_5tupleIJPjSI_NS0_16reverse_iteratorISI_EEEEENSH_IJSG_SG_SG_EEES9_SI_JZNS1_25segmented_radix_sort_implINS0_14default_configELb0EPK12hip_bfloat16PSP_PKlPlN2at6native12_GLOBAL__N_18offset_tEEE10hipError_tPvRmT1_PNSt15iterator_traitsIS13_E10value_typeET2_T3_PNS14_IS19_E10value_typeET4_jRbjT5_S1F_jjP12ihipStream_tbEUljE_ZNSN_ISO_Lb0ESR_SS_SU_SV_SZ_EES10_S11_S12_S13_S17_S18_S19_S1C_S1D_jS1E_jS1F_S1F_jjS1H_bEUljE0_EEES10_S11_S12_S19_S1D_S1F_T6_T7_T9_mT8_S1H_bDpT10_ENKUlT_T0_E_clISt17integral_constantIbLb1EES1U_IbLb0EEEEDaS1Q_S1R_EUlS1Q_E_NS1_11comp_targetILNS1_3genE0ELNS1_11target_archE4294967295ELNS1_3gpuE0ELNS1_3repE0EEENS1_30default_config_static_selectorELNS0_4arch9wavefront6targetE0EEEvS13_.num_named_barrier, 0
	.set _ZN7rocprim17ROCPRIM_400000_NS6detail17trampoline_kernelINS0_13select_configILj256ELj13ELNS0_17block_load_methodE3ELS4_3ELS4_3ELNS0_20block_scan_algorithmE0ELj4294967295EEENS1_25partition_config_selectorILNS1_17partition_subalgoE4EjNS0_10empty_typeEbEEZZNS1_14partition_implILS8_4ELb0ES6_15HIP_vector_typeIjLj2EENS0_17counting_iteratorIjlEEPS9_SG_NS0_5tupleIJPjSI_NS0_16reverse_iteratorISI_EEEEENSH_IJSG_SG_SG_EEES9_SI_JZNS1_25segmented_radix_sort_implINS0_14default_configELb0EPK12hip_bfloat16PSP_PKlPlN2at6native12_GLOBAL__N_18offset_tEEE10hipError_tPvRmT1_PNSt15iterator_traitsIS13_E10value_typeET2_T3_PNS14_IS19_E10value_typeET4_jRbjT5_S1F_jjP12ihipStream_tbEUljE_ZNSN_ISO_Lb0ESR_SS_SU_SV_SZ_EES10_S11_S12_S13_S17_S18_S19_S1C_S1D_jS1E_jS1F_S1F_jjS1H_bEUljE0_EEES10_S11_S12_S19_S1D_S1F_T6_T7_T9_mT8_S1H_bDpT10_ENKUlT_T0_E_clISt17integral_constantIbLb1EES1U_IbLb0EEEEDaS1Q_S1R_EUlS1Q_E_NS1_11comp_targetILNS1_3genE0ELNS1_11target_archE4294967295ELNS1_3gpuE0ELNS1_3repE0EEENS1_30default_config_static_selectorELNS0_4arch9wavefront6targetE0EEEvS13_.private_seg_size, 0
	.set _ZN7rocprim17ROCPRIM_400000_NS6detail17trampoline_kernelINS0_13select_configILj256ELj13ELNS0_17block_load_methodE3ELS4_3ELS4_3ELNS0_20block_scan_algorithmE0ELj4294967295EEENS1_25partition_config_selectorILNS1_17partition_subalgoE4EjNS0_10empty_typeEbEEZZNS1_14partition_implILS8_4ELb0ES6_15HIP_vector_typeIjLj2EENS0_17counting_iteratorIjlEEPS9_SG_NS0_5tupleIJPjSI_NS0_16reverse_iteratorISI_EEEEENSH_IJSG_SG_SG_EEES9_SI_JZNS1_25segmented_radix_sort_implINS0_14default_configELb0EPK12hip_bfloat16PSP_PKlPlN2at6native12_GLOBAL__N_18offset_tEEE10hipError_tPvRmT1_PNSt15iterator_traitsIS13_E10value_typeET2_T3_PNS14_IS19_E10value_typeET4_jRbjT5_S1F_jjP12ihipStream_tbEUljE_ZNSN_ISO_Lb0ESR_SS_SU_SV_SZ_EES10_S11_S12_S13_S17_S18_S19_S1C_S1D_jS1E_jS1F_S1F_jjS1H_bEUljE0_EEES10_S11_S12_S19_S1D_S1F_T6_T7_T9_mT8_S1H_bDpT10_ENKUlT_T0_E_clISt17integral_constantIbLb1EES1U_IbLb0EEEEDaS1Q_S1R_EUlS1Q_E_NS1_11comp_targetILNS1_3genE0ELNS1_11target_archE4294967295ELNS1_3gpuE0ELNS1_3repE0EEENS1_30default_config_static_selectorELNS0_4arch9wavefront6targetE0EEEvS13_.uses_vcc, 0
	.set _ZN7rocprim17ROCPRIM_400000_NS6detail17trampoline_kernelINS0_13select_configILj256ELj13ELNS0_17block_load_methodE3ELS4_3ELS4_3ELNS0_20block_scan_algorithmE0ELj4294967295EEENS1_25partition_config_selectorILNS1_17partition_subalgoE4EjNS0_10empty_typeEbEEZZNS1_14partition_implILS8_4ELb0ES6_15HIP_vector_typeIjLj2EENS0_17counting_iteratorIjlEEPS9_SG_NS0_5tupleIJPjSI_NS0_16reverse_iteratorISI_EEEEENSH_IJSG_SG_SG_EEES9_SI_JZNS1_25segmented_radix_sort_implINS0_14default_configELb0EPK12hip_bfloat16PSP_PKlPlN2at6native12_GLOBAL__N_18offset_tEEE10hipError_tPvRmT1_PNSt15iterator_traitsIS13_E10value_typeET2_T3_PNS14_IS19_E10value_typeET4_jRbjT5_S1F_jjP12ihipStream_tbEUljE_ZNSN_ISO_Lb0ESR_SS_SU_SV_SZ_EES10_S11_S12_S13_S17_S18_S19_S1C_S1D_jS1E_jS1F_S1F_jjS1H_bEUljE0_EEES10_S11_S12_S19_S1D_S1F_T6_T7_T9_mT8_S1H_bDpT10_ENKUlT_T0_E_clISt17integral_constantIbLb1EES1U_IbLb0EEEEDaS1Q_S1R_EUlS1Q_E_NS1_11comp_targetILNS1_3genE0ELNS1_11target_archE4294967295ELNS1_3gpuE0ELNS1_3repE0EEENS1_30default_config_static_selectorELNS0_4arch9wavefront6targetE0EEEvS13_.uses_flat_scratch, 0
	.set _ZN7rocprim17ROCPRIM_400000_NS6detail17trampoline_kernelINS0_13select_configILj256ELj13ELNS0_17block_load_methodE3ELS4_3ELS4_3ELNS0_20block_scan_algorithmE0ELj4294967295EEENS1_25partition_config_selectorILNS1_17partition_subalgoE4EjNS0_10empty_typeEbEEZZNS1_14partition_implILS8_4ELb0ES6_15HIP_vector_typeIjLj2EENS0_17counting_iteratorIjlEEPS9_SG_NS0_5tupleIJPjSI_NS0_16reverse_iteratorISI_EEEEENSH_IJSG_SG_SG_EEES9_SI_JZNS1_25segmented_radix_sort_implINS0_14default_configELb0EPK12hip_bfloat16PSP_PKlPlN2at6native12_GLOBAL__N_18offset_tEEE10hipError_tPvRmT1_PNSt15iterator_traitsIS13_E10value_typeET2_T3_PNS14_IS19_E10value_typeET4_jRbjT5_S1F_jjP12ihipStream_tbEUljE_ZNSN_ISO_Lb0ESR_SS_SU_SV_SZ_EES10_S11_S12_S13_S17_S18_S19_S1C_S1D_jS1E_jS1F_S1F_jjS1H_bEUljE0_EEES10_S11_S12_S19_S1D_S1F_T6_T7_T9_mT8_S1H_bDpT10_ENKUlT_T0_E_clISt17integral_constantIbLb1EES1U_IbLb0EEEEDaS1Q_S1R_EUlS1Q_E_NS1_11comp_targetILNS1_3genE0ELNS1_11target_archE4294967295ELNS1_3gpuE0ELNS1_3repE0EEENS1_30default_config_static_selectorELNS0_4arch9wavefront6targetE0EEEvS13_.has_dyn_sized_stack, 0
	.set _ZN7rocprim17ROCPRIM_400000_NS6detail17trampoline_kernelINS0_13select_configILj256ELj13ELNS0_17block_load_methodE3ELS4_3ELS4_3ELNS0_20block_scan_algorithmE0ELj4294967295EEENS1_25partition_config_selectorILNS1_17partition_subalgoE4EjNS0_10empty_typeEbEEZZNS1_14partition_implILS8_4ELb0ES6_15HIP_vector_typeIjLj2EENS0_17counting_iteratorIjlEEPS9_SG_NS0_5tupleIJPjSI_NS0_16reverse_iteratorISI_EEEEENSH_IJSG_SG_SG_EEES9_SI_JZNS1_25segmented_radix_sort_implINS0_14default_configELb0EPK12hip_bfloat16PSP_PKlPlN2at6native12_GLOBAL__N_18offset_tEEE10hipError_tPvRmT1_PNSt15iterator_traitsIS13_E10value_typeET2_T3_PNS14_IS19_E10value_typeET4_jRbjT5_S1F_jjP12ihipStream_tbEUljE_ZNSN_ISO_Lb0ESR_SS_SU_SV_SZ_EES10_S11_S12_S13_S17_S18_S19_S1C_S1D_jS1E_jS1F_S1F_jjS1H_bEUljE0_EEES10_S11_S12_S19_S1D_S1F_T6_T7_T9_mT8_S1H_bDpT10_ENKUlT_T0_E_clISt17integral_constantIbLb1EES1U_IbLb0EEEEDaS1Q_S1R_EUlS1Q_E_NS1_11comp_targetILNS1_3genE0ELNS1_11target_archE4294967295ELNS1_3gpuE0ELNS1_3repE0EEENS1_30default_config_static_selectorELNS0_4arch9wavefront6targetE0EEEvS13_.has_recursion, 0
	.set _ZN7rocprim17ROCPRIM_400000_NS6detail17trampoline_kernelINS0_13select_configILj256ELj13ELNS0_17block_load_methodE3ELS4_3ELS4_3ELNS0_20block_scan_algorithmE0ELj4294967295EEENS1_25partition_config_selectorILNS1_17partition_subalgoE4EjNS0_10empty_typeEbEEZZNS1_14partition_implILS8_4ELb0ES6_15HIP_vector_typeIjLj2EENS0_17counting_iteratorIjlEEPS9_SG_NS0_5tupleIJPjSI_NS0_16reverse_iteratorISI_EEEEENSH_IJSG_SG_SG_EEES9_SI_JZNS1_25segmented_radix_sort_implINS0_14default_configELb0EPK12hip_bfloat16PSP_PKlPlN2at6native12_GLOBAL__N_18offset_tEEE10hipError_tPvRmT1_PNSt15iterator_traitsIS13_E10value_typeET2_T3_PNS14_IS19_E10value_typeET4_jRbjT5_S1F_jjP12ihipStream_tbEUljE_ZNSN_ISO_Lb0ESR_SS_SU_SV_SZ_EES10_S11_S12_S13_S17_S18_S19_S1C_S1D_jS1E_jS1F_S1F_jjS1H_bEUljE0_EEES10_S11_S12_S19_S1D_S1F_T6_T7_T9_mT8_S1H_bDpT10_ENKUlT_T0_E_clISt17integral_constantIbLb1EES1U_IbLb0EEEEDaS1Q_S1R_EUlS1Q_E_NS1_11comp_targetILNS1_3genE0ELNS1_11target_archE4294967295ELNS1_3gpuE0ELNS1_3repE0EEENS1_30default_config_static_selectorELNS0_4arch9wavefront6targetE0EEEvS13_.has_indirect_call, 0
	.section	.AMDGPU.csdata,"",@progbits
; Kernel info:
; codeLenInByte = 4
; TotalNumSgprs: 0
; NumVgprs: 0
; ScratchSize: 0
; MemoryBound: 0
; FloatMode: 240
; IeeeMode: 1
; LDSByteSize: 0 bytes/workgroup (compile time only)
; SGPRBlocks: 0
; VGPRBlocks: 0
; NumSGPRsForWavesPerEU: 1
; NumVGPRsForWavesPerEU: 1
; NamedBarCnt: 0
; Occupancy: 16
; WaveLimiterHint : 0
; COMPUTE_PGM_RSRC2:SCRATCH_EN: 0
; COMPUTE_PGM_RSRC2:USER_SGPR: 2
; COMPUTE_PGM_RSRC2:TRAP_HANDLER: 0
; COMPUTE_PGM_RSRC2:TGID_X_EN: 1
; COMPUTE_PGM_RSRC2:TGID_Y_EN: 0
; COMPUTE_PGM_RSRC2:TGID_Z_EN: 0
; COMPUTE_PGM_RSRC2:TIDIG_COMP_CNT: 0
	.section	.text._ZN7rocprim17ROCPRIM_400000_NS6detail17trampoline_kernelINS0_13select_configILj256ELj13ELNS0_17block_load_methodE3ELS4_3ELS4_3ELNS0_20block_scan_algorithmE0ELj4294967295EEENS1_25partition_config_selectorILNS1_17partition_subalgoE4EjNS0_10empty_typeEbEEZZNS1_14partition_implILS8_4ELb0ES6_15HIP_vector_typeIjLj2EENS0_17counting_iteratorIjlEEPS9_SG_NS0_5tupleIJPjSI_NS0_16reverse_iteratorISI_EEEEENSH_IJSG_SG_SG_EEES9_SI_JZNS1_25segmented_radix_sort_implINS0_14default_configELb0EPK12hip_bfloat16PSP_PKlPlN2at6native12_GLOBAL__N_18offset_tEEE10hipError_tPvRmT1_PNSt15iterator_traitsIS13_E10value_typeET2_T3_PNS14_IS19_E10value_typeET4_jRbjT5_S1F_jjP12ihipStream_tbEUljE_ZNSN_ISO_Lb0ESR_SS_SU_SV_SZ_EES10_S11_S12_S13_S17_S18_S19_S1C_S1D_jS1E_jS1F_S1F_jjS1H_bEUljE0_EEES10_S11_S12_S19_S1D_S1F_T6_T7_T9_mT8_S1H_bDpT10_ENKUlT_T0_E_clISt17integral_constantIbLb1EES1U_IbLb0EEEEDaS1Q_S1R_EUlS1Q_E_NS1_11comp_targetILNS1_3genE5ELNS1_11target_archE942ELNS1_3gpuE9ELNS1_3repE0EEENS1_30default_config_static_selectorELNS0_4arch9wavefront6targetE0EEEvS13_,"axG",@progbits,_ZN7rocprim17ROCPRIM_400000_NS6detail17trampoline_kernelINS0_13select_configILj256ELj13ELNS0_17block_load_methodE3ELS4_3ELS4_3ELNS0_20block_scan_algorithmE0ELj4294967295EEENS1_25partition_config_selectorILNS1_17partition_subalgoE4EjNS0_10empty_typeEbEEZZNS1_14partition_implILS8_4ELb0ES6_15HIP_vector_typeIjLj2EENS0_17counting_iteratorIjlEEPS9_SG_NS0_5tupleIJPjSI_NS0_16reverse_iteratorISI_EEEEENSH_IJSG_SG_SG_EEES9_SI_JZNS1_25segmented_radix_sort_implINS0_14default_configELb0EPK12hip_bfloat16PSP_PKlPlN2at6native12_GLOBAL__N_18offset_tEEE10hipError_tPvRmT1_PNSt15iterator_traitsIS13_E10value_typeET2_T3_PNS14_IS19_E10value_typeET4_jRbjT5_S1F_jjP12ihipStream_tbEUljE_ZNSN_ISO_Lb0ESR_SS_SU_SV_SZ_EES10_S11_S12_S13_S17_S18_S19_S1C_S1D_jS1E_jS1F_S1F_jjS1H_bEUljE0_EEES10_S11_S12_S19_S1D_S1F_T6_T7_T9_mT8_S1H_bDpT10_ENKUlT_T0_E_clISt17integral_constantIbLb1EES1U_IbLb0EEEEDaS1Q_S1R_EUlS1Q_E_NS1_11comp_targetILNS1_3genE5ELNS1_11target_archE942ELNS1_3gpuE9ELNS1_3repE0EEENS1_30default_config_static_selectorELNS0_4arch9wavefront6targetE0EEEvS13_,comdat
	.globl	_ZN7rocprim17ROCPRIM_400000_NS6detail17trampoline_kernelINS0_13select_configILj256ELj13ELNS0_17block_load_methodE3ELS4_3ELS4_3ELNS0_20block_scan_algorithmE0ELj4294967295EEENS1_25partition_config_selectorILNS1_17partition_subalgoE4EjNS0_10empty_typeEbEEZZNS1_14partition_implILS8_4ELb0ES6_15HIP_vector_typeIjLj2EENS0_17counting_iteratorIjlEEPS9_SG_NS0_5tupleIJPjSI_NS0_16reverse_iteratorISI_EEEEENSH_IJSG_SG_SG_EEES9_SI_JZNS1_25segmented_radix_sort_implINS0_14default_configELb0EPK12hip_bfloat16PSP_PKlPlN2at6native12_GLOBAL__N_18offset_tEEE10hipError_tPvRmT1_PNSt15iterator_traitsIS13_E10value_typeET2_T3_PNS14_IS19_E10value_typeET4_jRbjT5_S1F_jjP12ihipStream_tbEUljE_ZNSN_ISO_Lb0ESR_SS_SU_SV_SZ_EES10_S11_S12_S13_S17_S18_S19_S1C_S1D_jS1E_jS1F_S1F_jjS1H_bEUljE0_EEES10_S11_S12_S19_S1D_S1F_T6_T7_T9_mT8_S1H_bDpT10_ENKUlT_T0_E_clISt17integral_constantIbLb1EES1U_IbLb0EEEEDaS1Q_S1R_EUlS1Q_E_NS1_11comp_targetILNS1_3genE5ELNS1_11target_archE942ELNS1_3gpuE9ELNS1_3repE0EEENS1_30default_config_static_selectorELNS0_4arch9wavefront6targetE0EEEvS13_ ; -- Begin function _ZN7rocprim17ROCPRIM_400000_NS6detail17trampoline_kernelINS0_13select_configILj256ELj13ELNS0_17block_load_methodE3ELS4_3ELS4_3ELNS0_20block_scan_algorithmE0ELj4294967295EEENS1_25partition_config_selectorILNS1_17partition_subalgoE4EjNS0_10empty_typeEbEEZZNS1_14partition_implILS8_4ELb0ES6_15HIP_vector_typeIjLj2EENS0_17counting_iteratorIjlEEPS9_SG_NS0_5tupleIJPjSI_NS0_16reverse_iteratorISI_EEEEENSH_IJSG_SG_SG_EEES9_SI_JZNS1_25segmented_radix_sort_implINS0_14default_configELb0EPK12hip_bfloat16PSP_PKlPlN2at6native12_GLOBAL__N_18offset_tEEE10hipError_tPvRmT1_PNSt15iterator_traitsIS13_E10value_typeET2_T3_PNS14_IS19_E10value_typeET4_jRbjT5_S1F_jjP12ihipStream_tbEUljE_ZNSN_ISO_Lb0ESR_SS_SU_SV_SZ_EES10_S11_S12_S13_S17_S18_S19_S1C_S1D_jS1E_jS1F_S1F_jjS1H_bEUljE0_EEES10_S11_S12_S19_S1D_S1F_T6_T7_T9_mT8_S1H_bDpT10_ENKUlT_T0_E_clISt17integral_constantIbLb1EES1U_IbLb0EEEEDaS1Q_S1R_EUlS1Q_E_NS1_11comp_targetILNS1_3genE5ELNS1_11target_archE942ELNS1_3gpuE9ELNS1_3repE0EEENS1_30default_config_static_selectorELNS0_4arch9wavefront6targetE0EEEvS13_
	.p2align	8
	.type	_ZN7rocprim17ROCPRIM_400000_NS6detail17trampoline_kernelINS0_13select_configILj256ELj13ELNS0_17block_load_methodE3ELS4_3ELS4_3ELNS0_20block_scan_algorithmE0ELj4294967295EEENS1_25partition_config_selectorILNS1_17partition_subalgoE4EjNS0_10empty_typeEbEEZZNS1_14partition_implILS8_4ELb0ES6_15HIP_vector_typeIjLj2EENS0_17counting_iteratorIjlEEPS9_SG_NS0_5tupleIJPjSI_NS0_16reverse_iteratorISI_EEEEENSH_IJSG_SG_SG_EEES9_SI_JZNS1_25segmented_radix_sort_implINS0_14default_configELb0EPK12hip_bfloat16PSP_PKlPlN2at6native12_GLOBAL__N_18offset_tEEE10hipError_tPvRmT1_PNSt15iterator_traitsIS13_E10value_typeET2_T3_PNS14_IS19_E10value_typeET4_jRbjT5_S1F_jjP12ihipStream_tbEUljE_ZNSN_ISO_Lb0ESR_SS_SU_SV_SZ_EES10_S11_S12_S13_S17_S18_S19_S1C_S1D_jS1E_jS1F_S1F_jjS1H_bEUljE0_EEES10_S11_S12_S19_S1D_S1F_T6_T7_T9_mT8_S1H_bDpT10_ENKUlT_T0_E_clISt17integral_constantIbLb1EES1U_IbLb0EEEEDaS1Q_S1R_EUlS1Q_E_NS1_11comp_targetILNS1_3genE5ELNS1_11target_archE942ELNS1_3gpuE9ELNS1_3repE0EEENS1_30default_config_static_selectorELNS0_4arch9wavefront6targetE0EEEvS13_,@function
_ZN7rocprim17ROCPRIM_400000_NS6detail17trampoline_kernelINS0_13select_configILj256ELj13ELNS0_17block_load_methodE3ELS4_3ELS4_3ELNS0_20block_scan_algorithmE0ELj4294967295EEENS1_25partition_config_selectorILNS1_17partition_subalgoE4EjNS0_10empty_typeEbEEZZNS1_14partition_implILS8_4ELb0ES6_15HIP_vector_typeIjLj2EENS0_17counting_iteratorIjlEEPS9_SG_NS0_5tupleIJPjSI_NS0_16reverse_iteratorISI_EEEEENSH_IJSG_SG_SG_EEES9_SI_JZNS1_25segmented_radix_sort_implINS0_14default_configELb0EPK12hip_bfloat16PSP_PKlPlN2at6native12_GLOBAL__N_18offset_tEEE10hipError_tPvRmT1_PNSt15iterator_traitsIS13_E10value_typeET2_T3_PNS14_IS19_E10value_typeET4_jRbjT5_S1F_jjP12ihipStream_tbEUljE_ZNSN_ISO_Lb0ESR_SS_SU_SV_SZ_EES10_S11_S12_S13_S17_S18_S19_S1C_S1D_jS1E_jS1F_S1F_jjS1H_bEUljE0_EEES10_S11_S12_S19_S1D_S1F_T6_T7_T9_mT8_S1H_bDpT10_ENKUlT_T0_E_clISt17integral_constantIbLb1EES1U_IbLb0EEEEDaS1Q_S1R_EUlS1Q_E_NS1_11comp_targetILNS1_3genE5ELNS1_11target_archE942ELNS1_3gpuE9ELNS1_3repE0EEENS1_30default_config_static_selectorELNS0_4arch9wavefront6targetE0EEEvS13_: ; @_ZN7rocprim17ROCPRIM_400000_NS6detail17trampoline_kernelINS0_13select_configILj256ELj13ELNS0_17block_load_methodE3ELS4_3ELS4_3ELNS0_20block_scan_algorithmE0ELj4294967295EEENS1_25partition_config_selectorILNS1_17partition_subalgoE4EjNS0_10empty_typeEbEEZZNS1_14partition_implILS8_4ELb0ES6_15HIP_vector_typeIjLj2EENS0_17counting_iteratorIjlEEPS9_SG_NS0_5tupleIJPjSI_NS0_16reverse_iteratorISI_EEEEENSH_IJSG_SG_SG_EEES9_SI_JZNS1_25segmented_radix_sort_implINS0_14default_configELb0EPK12hip_bfloat16PSP_PKlPlN2at6native12_GLOBAL__N_18offset_tEEE10hipError_tPvRmT1_PNSt15iterator_traitsIS13_E10value_typeET2_T3_PNS14_IS19_E10value_typeET4_jRbjT5_S1F_jjP12ihipStream_tbEUljE_ZNSN_ISO_Lb0ESR_SS_SU_SV_SZ_EES10_S11_S12_S13_S17_S18_S19_S1C_S1D_jS1E_jS1F_S1F_jjS1H_bEUljE0_EEES10_S11_S12_S19_S1D_S1F_T6_T7_T9_mT8_S1H_bDpT10_ENKUlT_T0_E_clISt17integral_constantIbLb1EES1U_IbLb0EEEEDaS1Q_S1R_EUlS1Q_E_NS1_11comp_targetILNS1_3genE5ELNS1_11target_archE942ELNS1_3gpuE9ELNS1_3repE0EEENS1_30default_config_static_selectorELNS0_4arch9wavefront6targetE0EEEvS13_
; %bb.0:
	.section	.rodata,"a",@progbits
	.p2align	6, 0x0
	.amdhsa_kernel _ZN7rocprim17ROCPRIM_400000_NS6detail17trampoline_kernelINS0_13select_configILj256ELj13ELNS0_17block_load_methodE3ELS4_3ELS4_3ELNS0_20block_scan_algorithmE0ELj4294967295EEENS1_25partition_config_selectorILNS1_17partition_subalgoE4EjNS0_10empty_typeEbEEZZNS1_14partition_implILS8_4ELb0ES6_15HIP_vector_typeIjLj2EENS0_17counting_iteratorIjlEEPS9_SG_NS0_5tupleIJPjSI_NS0_16reverse_iteratorISI_EEEEENSH_IJSG_SG_SG_EEES9_SI_JZNS1_25segmented_radix_sort_implINS0_14default_configELb0EPK12hip_bfloat16PSP_PKlPlN2at6native12_GLOBAL__N_18offset_tEEE10hipError_tPvRmT1_PNSt15iterator_traitsIS13_E10value_typeET2_T3_PNS14_IS19_E10value_typeET4_jRbjT5_S1F_jjP12ihipStream_tbEUljE_ZNSN_ISO_Lb0ESR_SS_SU_SV_SZ_EES10_S11_S12_S13_S17_S18_S19_S1C_S1D_jS1E_jS1F_S1F_jjS1H_bEUljE0_EEES10_S11_S12_S19_S1D_S1F_T6_T7_T9_mT8_S1H_bDpT10_ENKUlT_T0_E_clISt17integral_constantIbLb1EES1U_IbLb0EEEEDaS1Q_S1R_EUlS1Q_E_NS1_11comp_targetILNS1_3genE5ELNS1_11target_archE942ELNS1_3gpuE9ELNS1_3repE0EEENS1_30default_config_static_selectorELNS0_4arch9wavefront6targetE0EEEvS13_
		.amdhsa_group_segment_fixed_size 0
		.amdhsa_private_segment_fixed_size 0
		.amdhsa_kernarg_size 176
		.amdhsa_user_sgpr_count 2
		.amdhsa_user_sgpr_dispatch_ptr 0
		.amdhsa_user_sgpr_queue_ptr 0
		.amdhsa_user_sgpr_kernarg_segment_ptr 1
		.amdhsa_user_sgpr_dispatch_id 0
		.amdhsa_user_sgpr_kernarg_preload_length 0
		.amdhsa_user_sgpr_kernarg_preload_offset 0
		.amdhsa_user_sgpr_private_segment_size 0
		.amdhsa_wavefront_size32 1
		.amdhsa_uses_dynamic_stack 0
		.amdhsa_enable_private_segment 0
		.amdhsa_system_sgpr_workgroup_id_x 1
		.amdhsa_system_sgpr_workgroup_id_y 0
		.amdhsa_system_sgpr_workgroup_id_z 0
		.amdhsa_system_sgpr_workgroup_info 0
		.amdhsa_system_vgpr_workitem_id 0
		.amdhsa_next_free_vgpr 1
		.amdhsa_next_free_sgpr 1
		.amdhsa_named_barrier_count 0
		.amdhsa_reserve_vcc 0
		.amdhsa_float_round_mode_32 0
		.amdhsa_float_round_mode_16_64 0
		.amdhsa_float_denorm_mode_32 3
		.amdhsa_float_denorm_mode_16_64 3
		.amdhsa_fp16_overflow 0
		.amdhsa_memory_ordered 1
		.amdhsa_forward_progress 1
		.amdhsa_inst_pref_size 0
		.amdhsa_round_robin_scheduling 0
		.amdhsa_exception_fp_ieee_invalid_op 0
		.amdhsa_exception_fp_denorm_src 0
		.amdhsa_exception_fp_ieee_div_zero 0
		.amdhsa_exception_fp_ieee_overflow 0
		.amdhsa_exception_fp_ieee_underflow 0
		.amdhsa_exception_fp_ieee_inexact 0
		.amdhsa_exception_int_div_zero 0
	.end_amdhsa_kernel
	.section	.text._ZN7rocprim17ROCPRIM_400000_NS6detail17trampoline_kernelINS0_13select_configILj256ELj13ELNS0_17block_load_methodE3ELS4_3ELS4_3ELNS0_20block_scan_algorithmE0ELj4294967295EEENS1_25partition_config_selectorILNS1_17partition_subalgoE4EjNS0_10empty_typeEbEEZZNS1_14partition_implILS8_4ELb0ES6_15HIP_vector_typeIjLj2EENS0_17counting_iteratorIjlEEPS9_SG_NS0_5tupleIJPjSI_NS0_16reverse_iteratorISI_EEEEENSH_IJSG_SG_SG_EEES9_SI_JZNS1_25segmented_radix_sort_implINS0_14default_configELb0EPK12hip_bfloat16PSP_PKlPlN2at6native12_GLOBAL__N_18offset_tEEE10hipError_tPvRmT1_PNSt15iterator_traitsIS13_E10value_typeET2_T3_PNS14_IS19_E10value_typeET4_jRbjT5_S1F_jjP12ihipStream_tbEUljE_ZNSN_ISO_Lb0ESR_SS_SU_SV_SZ_EES10_S11_S12_S13_S17_S18_S19_S1C_S1D_jS1E_jS1F_S1F_jjS1H_bEUljE0_EEES10_S11_S12_S19_S1D_S1F_T6_T7_T9_mT8_S1H_bDpT10_ENKUlT_T0_E_clISt17integral_constantIbLb1EES1U_IbLb0EEEEDaS1Q_S1R_EUlS1Q_E_NS1_11comp_targetILNS1_3genE5ELNS1_11target_archE942ELNS1_3gpuE9ELNS1_3repE0EEENS1_30default_config_static_selectorELNS0_4arch9wavefront6targetE0EEEvS13_,"axG",@progbits,_ZN7rocprim17ROCPRIM_400000_NS6detail17trampoline_kernelINS0_13select_configILj256ELj13ELNS0_17block_load_methodE3ELS4_3ELS4_3ELNS0_20block_scan_algorithmE0ELj4294967295EEENS1_25partition_config_selectorILNS1_17partition_subalgoE4EjNS0_10empty_typeEbEEZZNS1_14partition_implILS8_4ELb0ES6_15HIP_vector_typeIjLj2EENS0_17counting_iteratorIjlEEPS9_SG_NS0_5tupleIJPjSI_NS0_16reverse_iteratorISI_EEEEENSH_IJSG_SG_SG_EEES9_SI_JZNS1_25segmented_radix_sort_implINS0_14default_configELb0EPK12hip_bfloat16PSP_PKlPlN2at6native12_GLOBAL__N_18offset_tEEE10hipError_tPvRmT1_PNSt15iterator_traitsIS13_E10value_typeET2_T3_PNS14_IS19_E10value_typeET4_jRbjT5_S1F_jjP12ihipStream_tbEUljE_ZNSN_ISO_Lb0ESR_SS_SU_SV_SZ_EES10_S11_S12_S13_S17_S18_S19_S1C_S1D_jS1E_jS1F_S1F_jjS1H_bEUljE0_EEES10_S11_S12_S19_S1D_S1F_T6_T7_T9_mT8_S1H_bDpT10_ENKUlT_T0_E_clISt17integral_constantIbLb1EES1U_IbLb0EEEEDaS1Q_S1R_EUlS1Q_E_NS1_11comp_targetILNS1_3genE5ELNS1_11target_archE942ELNS1_3gpuE9ELNS1_3repE0EEENS1_30default_config_static_selectorELNS0_4arch9wavefront6targetE0EEEvS13_,comdat
.Lfunc_end1992:
	.size	_ZN7rocprim17ROCPRIM_400000_NS6detail17trampoline_kernelINS0_13select_configILj256ELj13ELNS0_17block_load_methodE3ELS4_3ELS4_3ELNS0_20block_scan_algorithmE0ELj4294967295EEENS1_25partition_config_selectorILNS1_17partition_subalgoE4EjNS0_10empty_typeEbEEZZNS1_14partition_implILS8_4ELb0ES6_15HIP_vector_typeIjLj2EENS0_17counting_iteratorIjlEEPS9_SG_NS0_5tupleIJPjSI_NS0_16reverse_iteratorISI_EEEEENSH_IJSG_SG_SG_EEES9_SI_JZNS1_25segmented_radix_sort_implINS0_14default_configELb0EPK12hip_bfloat16PSP_PKlPlN2at6native12_GLOBAL__N_18offset_tEEE10hipError_tPvRmT1_PNSt15iterator_traitsIS13_E10value_typeET2_T3_PNS14_IS19_E10value_typeET4_jRbjT5_S1F_jjP12ihipStream_tbEUljE_ZNSN_ISO_Lb0ESR_SS_SU_SV_SZ_EES10_S11_S12_S13_S17_S18_S19_S1C_S1D_jS1E_jS1F_S1F_jjS1H_bEUljE0_EEES10_S11_S12_S19_S1D_S1F_T6_T7_T9_mT8_S1H_bDpT10_ENKUlT_T0_E_clISt17integral_constantIbLb1EES1U_IbLb0EEEEDaS1Q_S1R_EUlS1Q_E_NS1_11comp_targetILNS1_3genE5ELNS1_11target_archE942ELNS1_3gpuE9ELNS1_3repE0EEENS1_30default_config_static_selectorELNS0_4arch9wavefront6targetE0EEEvS13_, .Lfunc_end1992-_ZN7rocprim17ROCPRIM_400000_NS6detail17trampoline_kernelINS0_13select_configILj256ELj13ELNS0_17block_load_methodE3ELS4_3ELS4_3ELNS0_20block_scan_algorithmE0ELj4294967295EEENS1_25partition_config_selectorILNS1_17partition_subalgoE4EjNS0_10empty_typeEbEEZZNS1_14partition_implILS8_4ELb0ES6_15HIP_vector_typeIjLj2EENS0_17counting_iteratorIjlEEPS9_SG_NS0_5tupleIJPjSI_NS0_16reverse_iteratorISI_EEEEENSH_IJSG_SG_SG_EEES9_SI_JZNS1_25segmented_radix_sort_implINS0_14default_configELb0EPK12hip_bfloat16PSP_PKlPlN2at6native12_GLOBAL__N_18offset_tEEE10hipError_tPvRmT1_PNSt15iterator_traitsIS13_E10value_typeET2_T3_PNS14_IS19_E10value_typeET4_jRbjT5_S1F_jjP12ihipStream_tbEUljE_ZNSN_ISO_Lb0ESR_SS_SU_SV_SZ_EES10_S11_S12_S13_S17_S18_S19_S1C_S1D_jS1E_jS1F_S1F_jjS1H_bEUljE0_EEES10_S11_S12_S19_S1D_S1F_T6_T7_T9_mT8_S1H_bDpT10_ENKUlT_T0_E_clISt17integral_constantIbLb1EES1U_IbLb0EEEEDaS1Q_S1R_EUlS1Q_E_NS1_11comp_targetILNS1_3genE5ELNS1_11target_archE942ELNS1_3gpuE9ELNS1_3repE0EEENS1_30default_config_static_selectorELNS0_4arch9wavefront6targetE0EEEvS13_
                                        ; -- End function
	.set _ZN7rocprim17ROCPRIM_400000_NS6detail17trampoline_kernelINS0_13select_configILj256ELj13ELNS0_17block_load_methodE3ELS4_3ELS4_3ELNS0_20block_scan_algorithmE0ELj4294967295EEENS1_25partition_config_selectorILNS1_17partition_subalgoE4EjNS0_10empty_typeEbEEZZNS1_14partition_implILS8_4ELb0ES6_15HIP_vector_typeIjLj2EENS0_17counting_iteratorIjlEEPS9_SG_NS0_5tupleIJPjSI_NS0_16reverse_iteratorISI_EEEEENSH_IJSG_SG_SG_EEES9_SI_JZNS1_25segmented_radix_sort_implINS0_14default_configELb0EPK12hip_bfloat16PSP_PKlPlN2at6native12_GLOBAL__N_18offset_tEEE10hipError_tPvRmT1_PNSt15iterator_traitsIS13_E10value_typeET2_T3_PNS14_IS19_E10value_typeET4_jRbjT5_S1F_jjP12ihipStream_tbEUljE_ZNSN_ISO_Lb0ESR_SS_SU_SV_SZ_EES10_S11_S12_S13_S17_S18_S19_S1C_S1D_jS1E_jS1F_S1F_jjS1H_bEUljE0_EEES10_S11_S12_S19_S1D_S1F_T6_T7_T9_mT8_S1H_bDpT10_ENKUlT_T0_E_clISt17integral_constantIbLb1EES1U_IbLb0EEEEDaS1Q_S1R_EUlS1Q_E_NS1_11comp_targetILNS1_3genE5ELNS1_11target_archE942ELNS1_3gpuE9ELNS1_3repE0EEENS1_30default_config_static_selectorELNS0_4arch9wavefront6targetE0EEEvS13_.num_vgpr, 0
	.set _ZN7rocprim17ROCPRIM_400000_NS6detail17trampoline_kernelINS0_13select_configILj256ELj13ELNS0_17block_load_methodE3ELS4_3ELS4_3ELNS0_20block_scan_algorithmE0ELj4294967295EEENS1_25partition_config_selectorILNS1_17partition_subalgoE4EjNS0_10empty_typeEbEEZZNS1_14partition_implILS8_4ELb0ES6_15HIP_vector_typeIjLj2EENS0_17counting_iteratorIjlEEPS9_SG_NS0_5tupleIJPjSI_NS0_16reverse_iteratorISI_EEEEENSH_IJSG_SG_SG_EEES9_SI_JZNS1_25segmented_radix_sort_implINS0_14default_configELb0EPK12hip_bfloat16PSP_PKlPlN2at6native12_GLOBAL__N_18offset_tEEE10hipError_tPvRmT1_PNSt15iterator_traitsIS13_E10value_typeET2_T3_PNS14_IS19_E10value_typeET4_jRbjT5_S1F_jjP12ihipStream_tbEUljE_ZNSN_ISO_Lb0ESR_SS_SU_SV_SZ_EES10_S11_S12_S13_S17_S18_S19_S1C_S1D_jS1E_jS1F_S1F_jjS1H_bEUljE0_EEES10_S11_S12_S19_S1D_S1F_T6_T7_T9_mT8_S1H_bDpT10_ENKUlT_T0_E_clISt17integral_constantIbLb1EES1U_IbLb0EEEEDaS1Q_S1R_EUlS1Q_E_NS1_11comp_targetILNS1_3genE5ELNS1_11target_archE942ELNS1_3gpuE9ELNS1_3repE0EEENS1_30default_config_static_selectorELNS0_4arch9wavefront6targetE0EEEvS13_.num_agpr, 0
	.set _ZN7rocprim17ROCPRIM_400000_NS6detail17trampoline_kernelINS0_13select_configILj256ELj13ELNS0_17block_load_methodE3ELS4_3ELS4_3ELNS0_20block_scan_algorithmE0ELj4294967295EEENS1_25partition_config_selectorILNS1_17partition_subalgoE4EjNS0_10empty_typeEbEEZZNS1_14partition_implILS8_4ELb0ES6_15HIP_vector_typeIjLj2EENS0_17counting_iteratorIjlEEPS9_SG_NS0_5tupleIJPjSI_NS0_16reverse_iteratorISI_EEEEENSH_IJSG_SG_SG_EEES9_SI_JZNS1_25segmented_radix_sort_implINS0_14default_configELb0EPK12hip_bfloat16PSP_PKlPlN2at6native12_GLOBAL__N_18offset_tEEE10hipError_tPvRmT1_PNSt15iterator_traitsIS13_E10value_typeET2_T3_PNS14_IS19_E10value_typeET4_jRbjT5_S1F_jjP12ihipStream_tbEUljE_ZNSN_ISO_Lb0ESR_SS_SU_SV_SZ_EES10_S11_S12_S13_S17_S18_S19_S1C_S1D_jS1E_jS1F_S1F_jjS1H_bEUljE0_EEES10_S11_S12_S19_S1D_S1F_T6_T7_T9_mT8_S1H_bDpT10_ENKUlT_T0_E_clISt17integral_constantIbLb1EES1U_IbLb0EEEEDaS1Q_S1R_EUlS1Q_E_NS1_11comp_targetILNS1_3genE5ELNS1_11target_archE942ELNS1_3gpuE9ELNS1_3repE0EEENS1_30default_config_static_selectorELNS0_4arch9wavefront6targetE0EEEvS13_.numbered_sgpr, 0
	.set _ZN7rocprim17ROCPRIM_400000_NS6detail17trampoline_kernelINS0_13select_configILj256ELj13ELNS0_17block_load_methodE3ELS4_3ELS4_3ELNS0_20block_scan_algorithmE0ELj4294967295EEENS1_25partition_config_selectorILNS1_17partition_subalgoE4EjNS0_10empty_typeEbEEZZNS1_14partition_implILS8_4ELb0ES6_15HIP_vector_typeIjLj2EENS0_17counting_iteratorIjlEEPS9_SG_NS0_5tupleIJPjSI_NS0_16reverse_iteratorISI_EEEEENSH_IJSG_SG_SG_EEES9_SI_JZNS1_25segmented_radix_sort_implINS0_14default_configELb0EPK12hip_bfloat16PSP_PKlPlN2at6native12_GLOBAL__N_18offset_tEEE10hipError_tPvRmT1_PNSt15iterator_traitsIS13_E10value_typeET2_T3_PNS14_IS19_E10value_typeET4_jRbjT5_S1F_jjP12ihipStream_tbEUljE_ZNSN_ISO_Lb0ESR_SS_SU_SV_SZ_EES10_S11_S12_S13_S17_S18_S19_S1C_S1D_jS1E_jS1F_S1F_jjS1H_bEUljE0_EEES10_S11_S12_S19_S1D_S1F_T6_T7_T9_mT8_S1H_bDpT10_ENKUlT_T0_E_clISt17integral_constantIbLb1EES1U_IbLb0EEEEDaS1Q_S1R_EUlS1Q_E_NS1_11comp_targetILNS1_3genE5ELNS1_11target_archE942ELNS1_3gpuE9ELNS1_3repE0EEENS1_30default_config_static_selectorELNS0_4arch9wavefront6targetE0EEEvS13_.num_named_barrier, 0
	.set _ZN7rocprim17ROCPRIM_400000_NS6detail17trampoline_kernelINS0_13select_configILj256ELj13ELNS0_17block_load_methodE3ELS4_3ELS4_3ELNS0_20block_scan_algorithmE0ELj4294967295EEENS1_25partition_config_selectorILNS1_17partition_subalgoE4EjNS0_10empty_typeEbEEZZNS1_14partition_implILS8_4ELb0ES6_15HIP_vector_typeIjLj2EENS0_17counting_iteratorIjlEEPS9_SG_NS0_5tupleIJPjSI_NS0_16reverse_iteratorISI_EEEEENSH_IJSG_SG_SG_EEES9_SI_JZNS1_25segmented_radix_sort_implINS0_14default_configELb0EPK12hip_bfloat16PSP_PKlPlN2at6native12_GLOBAL__N_18offset_tEEE10hipError_tPvRmT1_PNSt15iterator_traitsIS13_E10value_typeET2_T3_PNS14_IS19_E10value_typeET4_jRbjT5_S1F_jjP12ihipStream_tbEUljE_ZNSN_ISO_Lb0ESR_SS_SU_SV_SZ_EES10_S11_S12_S13_S17_S18_S19_S1C_S1D_jS1E_jS1F_S1F_jjS1H_bEUljE0_EEES10_S11_S12_S19_S1D_S1F_T6_T7_T9_mT8_S1H_bDpT10_ENKUlT_T0_E_clISt17integral_constantIbLb1EES1U_IbLb0EEEEDaS1Q_S1R_EUlS1Q_E_NS1_11comp_targetILNS1_3genE5ELNS1_11target_archE942ELNS1_3gpuE9ELNS1_3repE0EEENS1_30default_config_static_selectorELNS0_4arch9wavefront6targetE0EEEvS13_.private_seg_size, 0
	.set _ZN7rocprim17ROCPRIM_400000_NS6detail17trampoline_kernelINS0_13select_configILj256ELj13ELNS0_17block_load_methodE3ELS4_3ELS4_3ELNS0_20block_scan_algorithmE0ELj4294967295EEENS1_25partition_config_selectorILNS1_17partition_subalgoE4EjNS0_10empty_typeEbEEZZNS1_14partition_implILS8_4ELb0ES6_15HIP_vector_typeIjLj2EENS0_17counting_iteratorIjlEEPS9_SG_NS0_5tupleIJPjSI_NS0_16reverse_iteratorISI_EEEEENSH_IJSG_SG_SG_EEES9_SI_JZNS1_25segmented_radix_sort_implINS0_14default_configELb0EPK12hip_bfloat16PSP_PKlPlN2at6native12_GLOBAL__N_18offset_tEEE10hipError_tPvRmT1_PNSt15iterator_traitsIS13_E10value_typeET2_T3_PNS14_IS19_E10value_typeET4_jRbjT5_S1F_jjP12ihipStream_tbEUljE_ZNSN_ISO_Lb0ESR_SS_SU_SV_SZ_EES10_S11_S12_S13_S17_S18_S19_S1C_S1D_jS1E_jS1F_S1F_jjS1H_bEUljE0_EEES10_S11_S12_S19_S1D_S1F_T6_T7_T9_mT8_S1H_bDpT10_ENKUlT_T0_E_clISt17integral_constantIbLb1EES1U_IbLb0EEEEDaS1Q_S1R_EUlS1Q_E_NS1_11comp_targetILNS1_3genE5ELNS1_11target_archE942ELNS1_3gpuE9ELNS1_3repE0EEENS1_30default_config_static_selectorELNS0_4arch9wavefront6targetE0EEEvS13_.uses_vcc, 0
	.set _ZN7rocprim17ROCPRIM_400000_NS6detail17trampoline_kernelINS0_13select_configILj256ELj13ELNS0_17block_load_methodE3ELS4_3ELS4_3ELNS0_20block_scan_algorithmE0ELj4294967295EEENS1_25partition_config_selectorILNS1_17partition_subalgoE4EjNS0_10empty_typeEbEEZZNS1_14partition_implILS8_4ELb0ES6_15HIP_vector_typeIjLj2EENS0_17counting_iteratorIjlEEPS9_SG_NS0_5tupleIJPjSI_NS0_16reverse_iteratorISI_EEEEENSH_IJSG_SG_SG_EEES9_SI_JZNS1_25segmented_radix_sort_implINS0_14default_configELb0EPK12hip_bfloat16PSP_PKlPlN2at6native12_GLOBAL__N_18offset_tEEE10hipError_tPvRmT1_PNSt15iterator_traitsIS13_E10value_typeET2_T3_PNS14_IS19_E10value_typeET4_jRbjT5_S1F_jjP12ihipStream_tbEUljE_ZNSN_ISO_Lb0ESR_SS_SU_SV_SZ_EES10_S11_S12_S13_S17_S18_S19_S1C_S1D_jS1E_jS1F_S1F_jjS1H_bEUljE0_EEES10_S11_S12_S19_S1D_S1F_T6_T7_T9_mT8_S1H_bDpT10_ENKUlT_T0_E_clISt17integral_constantIbLb1EES1U_IbLb0EEEEDaS1Q_S1R_EUlS1Q_E_NS1_11comp_targetILNS1_3genE5ELNS1_11target_archE942ELNS1_3gpuE9ELNS1_3repE0EEENS1_30default_config_static_selectorELNS0_4arch9wavefront6targetE0EEEvS13_.uses_flat_scratch, 0
	.set _ZN7rocprim17ROCPRIM_400000_NS6detail17trampoline_kernelINS0_13select_configILj256ELj13ELNS0_17block_load_methodE3ELS4_3ELS4_3ELNS0_20block_scan_algorithmE0ELj4294967295EEENS1_25partition_config_selectorILNS1_17partition_subalgoE4EjNS0_10empty_typeEbEEZZNS1_14partition_implILS8_4ELb0ES6_15HIP_vector_typeIjLj2EENS0_17counting_iteratorIjlEEPS9_SG_NS0_5tupleIJPjSI_NS0_16reverse_iteratorISI_EEEEENSH_IJSG_SG_SG_EEES9_SI_JZNS1_25segmented_radix_sort_implINS0_14default_configELb0EPK12hip_bfloat16PSP_PKlPlN2at6native12_GLOBAL__N_18offset_tEEE10hipError_tPvRmT1_PNSt15iterator_traitsIS13_E10value_typeET2_T3_PNS14_IS19_E10value_typeET4_jRbjT5_S1F_jjP12ihipStream_tbEUljE_ZNSN_ISO_Lb0ESR_SS_SU_SV_SZ_EES10_S11_S12_S13_S17_S18_S19_S1C_S1D_jS1E_jS1F_S1F_jjS1H_bEUljE0_EEES10_S11_S12_S19_S1D_S1F_T6_T7_T9_mT8_S1H_bDpT10_ENKUlT_T0_E_clISt17integral_constantIbLb1EES1U_IbLb0EEEEDaS1Q_S1R_EUlS1Q_E_NS1_11comp_targetILNS1_3genE5ELNS1_11target_archE942ELNS1_3gpuE9ELNS1_3repE0EEENS1_30default_config_static_selectorELNS0_4arch9wavefront6targetE0EEEvS13_.has_dyn_sized_stack, 0
	.set _ZN7rocprim17ROCPRIM_400000_NS6detail17trampoline_kernelINS0_13select_configILj256ELj13ELNS0_17block_load_methodE3ELS4_3ELS4_3ELNS0_20block_scan_algorithmE0ELj4294967295EEENS1_25partition_config_selectorILNS1_17partition_subalgoE4EjNS0_10empty_typeEbEEZZNS1_14partition_implILS8_4ELb0ES6_15HIP_vector_typeIjLj2EENS0_17counting_iteratorIjlEEPS9_SG_NS0_5tupleIJPjSI_NS0_16reverse_iteratorISI_EEEEENSH_IJSG_SG_SG_EEES9_SI_JZNS1_25segmented_radix_sort_implINS0_14default_configELb0EPK12hip_bfloat16PSP_PKlPlN2at6native12_GLOBAL__N_18offset_tEEE10hipError_tPvRmT1_PNSt15iterator_traitsIS13_E10value_typeET2_T3_PNS14_IS19_E10value_typeET4_jRbjT5_S1F_jjP12ihipStream_tbEUljE_ZNSN_ISO_Lb0ESR_SS_SU_SV_SZ_EES10_S11_S12_S13_S17_S18_S19_S1C_S1D_jS1E_jS1F_S1F_jjS1H_bEUljE0_EEES10_S11_S12_S19_S1D_S1F_T6_T7_T9_mT8_S1H_bDpT10_ENKUlT_T0_E_clISt17integral_constantIbLb1EES1U_IbLb0EEEEDaS1Q_S1R_EUlS1Q_E_NS1_11comp_targetILNS1_3genE5ELNS1_11target_archE942ELNS1_3gpuE9ELNS1_3repE0EEENS1_30default_config_static_selectorELNS0_4arch9wavefront6targetE0EEEvS13_.has_recursion, 0
	.set _ZN7rocprim17ROCPRIM_400000_NS6detail17trampoline_kernelINS0_13select_configILj256ELj13ELNS0_17block_load_methodE3ELS4_3ELS4_3ELNS0_20block_scan_algorithmE0ELj4294967295EEENS1_25partition_config_selectorILNS1_17partition_subalgoE4EjNS0_10empty_typeEbEEZZNS1_14partition_implILS8_4ELb0ES6_15HIP_vector_typeIjLj2EENS0_17counting_iteratorIjlEEPS9_SG_NS0_5tupleIJPjSI_NS0_16reverse_iteratorISI_EEEEENSH_IJSG_SG_SG_EEES9_SI_JZNS1_25segmented_radix_sort_implINS0_14default_configELb0EPK12hip_bfloat16PSP_PKlPlN2at6native12_GLOBAL__N_18offset_tEEE10hipError_tPvRmT1_PNSt15iterator_traitsIS13_E10value_typeET2_T3_PNS14_IS19_E10value_typeET4_jRbjT5_S1F_jjP12ihipStream_tbEUljE_ZNSN_ISO_Lb0ESR_SS_SU_SV_SZ_EES10_S11_S12_S13_S17_S18_S19_S1C_S1D_jS1E_jS1F_S1F_jjS1H_bEUljE0_EEES10_S11_S12_S19_S1D_S1F_T6_T7_T9_mT8_S1H_bDpT10_ENKUlT_T0_E_clISt17integral_constantIbLb1EES1U_IbLb0EEEEDaS1Q_S1R_EUlS1Q_E_NS1_11comp_targetILNS1_3genE5ELNS1_11target_archE942ELNS1_3gpuE9ELNS1_3repE0EEENS1_30default_config_static_selectorELNS0_4arch9wavefront6targetE0EEEvS13_.has_indirect_call, 0
	.section	.AMDGPU.csdata,"",@progbits
; Kernel info:
; codeLenInByte = 0
; TotalNumSgprs: 0
; NumVgprs: 0
; ScratchSize: 0
; MemoryBound: 0
; FloatMode: 240
; IeeeMode: 1
; LDSByteSize: 0 bytes/workgroup (compile time only)
; SGPRBlocks: 0
; VGPRBlocks: 0
; NumSGPRsForWavesPerEU: 1
; NumVGPRsForWavesPerEU: 1
; NamedBarCnt: 0
; Occupancy: 16
; WaveLimiterHint : 0
; COMPUTE_PGM_RSRC2:SCRATCH_EN: 0
; COMPUTE_PGM_RSRC2:USER_SGPR: 2
; COMPUTE_PGM_RSRC2:TRAP_HANDLER: 0
; COMPUTE_PGM_RSRC2:TGID_X_EN: 1
; COMPUTE_PGM_RSRC2:TGID_Y_EN: 0
; COMPUTE_PGM_RSRC2:TGID_Z_EN: 0
; COMPUTE_PGM_RSRC2:TIDIG_COMP_CNT: 0
	.section	.text._ZN7rocprim17ROCPRIM_400000_NS6detail17trampoline_kernelINS0_13select_configILj256ELj13ELNS0_17block_load_methodE3ELS4_3ELS4_3ELNS0_20block_scan_algorithmE0ELj4294967295EEENS1_25partition_config_selectorILNS1_17partition_subalgoE4EjNS0_10empty_typeEbEEZZNS1_14partition_implILS8_4ELb0ES6_15HIP_vector_typeIjLj2EENS0_17counting_iteratorIjlEEPS9_SG_NS0_5tupleIJPjSI_NS0_16reverse_iteratorISI_EEEEENSH_IJSG_SG_SG_EEES9_SI_JZNS1_25segmented_radix_sort_implINS0_14default_configELb0EPK12hip_bfloat16PSP_PKlPlN2at6native12_GLOBAL__N_18offset_tEEE10hipError_tPvRmT1_PNSt15iterator_traitsIS13_E10value_typeET2_T3_PNS14_IS19_E10value_typeET4_jRbjT5_S1F_jjP12ihipStream_tbEUljE_ZNSN_ISO_Lb0ESR_SS_SU_SV_SZ_EES10_S11_S12_S13_S17_S18_S19_S1C_S1D_jS1E_jS1F_S1F_jjS1H_bEUljE0_EEES10_S11_S12_S19_S1D_S1F_T6_T7_T9_mT8_S1H_bDpT10_ENKUlT_T0_E_clISt17integral_constantIbLb1EES1U_IbLb0EEEEDaS1Q_S1R_EUlS1Q_E_NS1_11comp_targetILNS1_3genE4ELNS1_11target_archE910ELNS1_3gpuE8ELNS1_3repE0EEENS1_30default_config_static_selectorELNS0_4arch9wavefront6targetE0EEEvS13_,"axG",@progbits,_ZN7rocprim17ROCPRIM_400000_NS6detail17trampoline_kernelINS0_13select_configILj256ELj13ELNS0_17block_load_methodE3ELS4_3ELS4_3ELNS0_20block_scan_algorithmE0ELj4294967295EEENS1_25partition_config_selectorILNS1_17partition_subalgoE4EjNS0_10empty_typeEbEEZZNS1_14partition_implILS8_4ELb0ES6_15HIP_vector_typeIjLj2EENS0_17counting_iteratorIjlEEPS9_SG_NS0_5tupleIJPjSI_NS0_16reverse_iteratorISI_EEEEENSH_IJSG_SG_SG_EEES9_SI_JZNS1_25segmented_radix_sort_implINS0_14default_configELb0EPK12hip_bfloat16PSP_PKlPlN2at6native12_GLOBAL__N_18offset_tEEE10hipError_tPvRmT1_PNSt15iterator_traitsIS13_E10value_typeET2_T3_PNS14_IS19_E10value_typeET4_jRbjT5_S1F_jjP12ihipStream_tbEUljE_ZNSN_ISO_Lb0ESR_SS_SU_SV_SZ_EES10_S11_S12_S13_S17_S18_S19_S1C_S1D_jS1E_jS1F_S1F_jjS1H_bEUljE0_EEES10_S11_S12_S19_S1D_S1F_T6_T7_T9_mT8_S1H_bDpT10_ENKUlT_T0_E_clISt17integral_constantIbLb1EES1U_IbLb0EEEEDaS1Q_S1R_EUlS1Q_E_NS1_11comp_targetILNS1_3genE4ELNS1_11target_archE910ELNS1_3gpuE8ELNS1_3repE0EEENS1_30default_config_static_selectorELNS0_4arch9wavefront6targetE0EEEvS13_,comdat
	.globl	_ZN7rocprim17ROCPRIM_400000_NS6detail17trampoline_kernelINS0_13select_configILj256ELj13ELNS0_17block_load_methodE3ELS4_3ELS4_3ELNS0_20block_scan_algorithmE0ELj4294967295EEENS1_25partition_config_selectorILNS1_17partition_subalgoE4EjNS0_10empty_typeEbEEZZNS1_14partition_implILS8_4ELb0ES6_15HIP_vector_typeIjLj2EENS0_17counting_iteratorIjlEEPS9_SG_NS0_5tupleIJPjSI_NS0_16reverse_iteratorISI_EEEEENSH_IJSG_SG_SG_EEES9_SI_JZNS1_25segmented_radix_sort_implINS0_14default_configELb0EPK12hip_bfloat16PSP_PKlPlN2at6native12_GLOBAL__N_18offset_tEEE10hipError_tPvRmT1_PNSt15iterator_traitsIS13_E10value_typeET2_T3_PNS14_IS19_E10value_typeET4_jRbjT5_S1F_jjP12ihipStream_tbEUljE_ZNSN_ISO_Lb0ESR_SS_SU_SV_SZ_EES10_S11_S12_S13_S17_S18_S19_S1C_S1D_jS1E_jS1F_S1F_jjS1H_bEUljE0_EEES10_S11_S12_S19_S1D_S1F_T6_T7_T9_mT8_S1H_bDpT10_ENKUlT_T0_E_clISt17integral_constantIbLb1EES1U_IbLb0EEEEDaS1Q_S1R_EUlS1Q_E_NS1_11comp_targetILNS1_3genE4ELNS1_11target_archE910ELNS1_3gpuE8ELNS1_3repE0EEENS1_30default_config_static_selectorELNS0_4arch9wavefront6targetE0EEEvS13_ ; -- Begin function _ZN7rocprim17ROCPRIM_400000_NS6detail17trampoline_kernelINS0_13select_configILj256ELj13ELNS0_17block_load_methodE3ELS4_3ELS4_3ELNS0_20block_scan_algorithmE0ELj4294967295EEENS1_25partition_config_selectorILNS1_17partition_subalgoE4EjNS0_10empty_typeEbEEZZNS1_14partition_implILS8_4ELb0ES6_15HIP_vector_typeIjLj2EENS0_17counting_iteratorIjlEEPS9_SG_NS0_5tupleIJPjSI_NS0_16reverse_iteratorISI_EEEEENSH_IJSG_SG_SG_EEES9_SI_JZNS1_25segmented_radix_sort_implINS0_14default_configELb0EPK12hip_bfloat16PSP_PKlPlN2at6native12_GLOBAL__N_18offset_tEEE10hipError_tPvRmT1_PNSt15iterator_traitsIS13_E10value_typeET2_T3_PNS14_IS19_E10value_typeET4_jRbjT5_S1F_jjP12ihipStream_tbEUljE_ZNSN_ISO_Lb0ESR_SS_SU_SV_SZ_EES10_S11_S12_S13_S17_S18_S19_S1C_S1D_jS1E_jS1F_S1F_jjS1H_bEUljE0_EEES10_S11_S12_S19_S1D_S1F_T6_T7_T9_mT8_S1H_bDpT10_ENKUlT_T0_E_clISt17integral_constantIbLb1EES1U_IbLb0EEEEDaS1Q_S1R_EUlS1Q_E_NS1_11comp_targetILNS1_3genE4ELNS1_11target_archE910ELNS1_3gpuE8ELNS1_3repE0EEENS1_30default_config_static_selectorELNS0_4arch9wavefront6targetE0EEEvS13_
	.p2align	8
	.type	_ZN7rocprim17ROCPRIM_400000_NS6detail17trampoline_kernelINS0_13select_configILj256ELj13ELNS0_17block_load_methodE3ELS4_3ELS4_3ELNS0_20block_scan_algorithmE0ELj4294967295EEENS1_25partition_config_selectorILNS1_17partition_subalgoE4EjNS0_10empty_typeEbEEZZNS1_14partition_implILS8_4ELb0ES6_15HIP_vector_typeIjLj2EENS0_17counting_iteratorIjlEEPS9_SG_NS0_5tupleIJPjSI_NS0_16reverse_iteratorISI_EEEEENSH_IJSG_SG_SG_EEES9_SI_JZNS1_25segmented_radix_sort_implINS0_14default_configELb0EPK12hip_bfloat16PSP_PKlPlN2at6native12_GLOBAL__N_18offset_tEEE10hipError_tPvRmT1_PNSt15iterator_traitsIS13_E10value_typeET2_T3_PNS14_IS19_E10value_typeET4_jRbjT5_S1F_jjP12ihipStream_tbEUljE_ZNSN_ISO_Lb0ESR_SS_SU_SV_SZ_EES10_S11_S12_S13_S17_S18_S19_S1C_S1D_jS1E_jS1F_S1F_jjS1H_bEUljE0_EEES10_S11_S12_S19_S1D_S1F_T6_T7_T9_mT8_S1H_bDpT10_ENKUlT_T0_E_clISt17integral_constantIbLb1EES1U_IbLb0EEEEDaS1Q_S1R_EUlS1Q_E_NS1_11comp_targetILNS1_3genE4ELNS1_11target_archE910ELNS1_3gpuE8ELNS1_3repE0EEENS1_30default_config_static_selectorELNS0_4arch9wavefront6targetE0EEEvS13_,@function
_ZN7rocprim17ROCPRIM_400000_NS6detail17trampoline_kernelINS0_13select_configILj256ELj13ELNS0_17block_load_methodE3ELS4_3ELS4_3ELNS0_20block_scan_algorithmE0ELj4294967295EEENS1_25partition_config_selectorILNS1_17partition_subalgoE4EjNS0_10empty_typeEbEEZZNS1_14partition_implILS8_4ELb0ES6_15HIP_vector_typeIjLj2EENS0_17counting_iteratorIjlEEPS9_SG_NS0_5tupleIJPjSI_NS0_16reverse_iteratorISI_EEEEENSH_IJSG_SG_SG_EEES9_SI_JZNS1_25segmented_radix_sort_implINS0_14default_configELb0EPK12hip_bfloat16PSP_PKlPlN2at6native12_GLOBAL__N_18offset_tEEE10hipError_tPvRmT1_PNSt15iterator_traitsIS13_E10value_typeET2_T3_PNS14_IS19_E10value_typeET4_jRbjT5_S1F_jjP12ihipStream_tbEUljE_ZNSN_ISO_Lb0ESR_SS_SU_SV_SZ_EES10_S11_S12_S13_S17_S18_S19_S1C_S1D_jS1E_jS1F_S1F_jjS1H_bEUljE0_EEES10_S11_S12_S19_S1D_S1F_T6_T7_T9_mT8_S1H_bDpT10_ENKUlT_T0_E_clISt17integral_constantIbLb1EES1U_IbLb0EEEEDaS1Q_S1R_EUlS1Q_E_NS1_11comp_targetILNS1_3genE4ELNS1_11target_archE910ELNS1_3gpuE8ELNS1_3repE0EEENS1_30default_config_static_selectorELNS0_4arch9wavefront6targetE0EEEvS13_: ; @_ZN7rocprim17ROCPRIM_400000_NS6detail17trampoline_kernelINS0_13select_configILj256ELj13ELNS0_17block_load_methodE3ELS4_3ELS4_3ELNS0_20block_scan_algorithmE0ELj4294967295EEENS1_25partition_config_selectorILNS1_17partition_subalgoE4EjNS0_10empty_typeEbEEZZNS1_14partition_implILS8_4ELb0ES6_15HIP_vector_typeIjLj2EENS0_17counting_iteratorIjlEEPS9_SG_NS0_5tupleIJPjSI_NS0_16reverse_iteratorISI_EEEEENSH_IJSG_SG_SG_EEES9_SI_JZNS1_25segmented_radix_sort_implINS0_14default_configELb0EPK12hip_bfloat16PSP_PKlPlN2at6native12_GLOBAL__N_18offset_tEEE10hipError_tPvRmT1_PNSt15iterator_traitsIS13_E10value_typeET2_T3_PNS14_IS19_E10value_typeET4_jRbjT5_S1F_jjP12ihipStream_tbEUljE_ZNSN_ISO_Lb0ESR_SS_SU_SV_SZ_EES10_S11_S12_S13_S17_S18_S19_S1C_S1D_jS1E_jS1F_S1F_jjS1H_bEUljE0_EEES10_S11_S12_S19_S1D_S1F_T6_T7_T9_mT8_S1H_bDpT10_ENKUlT_T0_E_clISt17integral_constantIbLb1EES1U_IbLb0EEEEDaS1Q_S1R_EUlS1Q_E_NS1_11comp_targetILNS1_3genE4ELNS1_11target_archE910ELNS1_3gpuE8ELNS1_3repE0EEENS1_30default_config_static_selectorELNS0_4arch9wavefront6targetE0EEEvS13_
; %bb.0:
	.section	.rodata,"a",@progbits
	.p2align	6, 0x0
	.amdhsa_kernel _ZN7rocprim17ROCPRIM_400000_NS6detail17trampoline_kernelINS0_13select_configILj256ELj13ELNS0_17block_load_methodE3ELS4_3ELS4_3ELNS0_20block_scan_algorithmE0ELj4294967295EEENS1_25partition_config_selectorILNS1_17partition_subalgoE4EjNS0_10empty_typeEbEEZZNS1_14partition_implILS8_4ELb0ES6_15HIP_vector_typeIjLj2EENS0_17counting_iteratorIjlEEPS9_SG_NS0_5tupleIJPjSI_NS0_16reverse_iteratorISI_EEEEENSH_IJSG_SG_SG_EEES9_SI_JZNS1_25segmented_radix_sort_implINS0_14default_configELb0EPK12hip_bfloat16PSP_PKlPlN2at6native12_GLOBAL__N_18offset_tEEE10hipError_tPvRmT1_PNSt15iterator_traitsIS13_E10value_typeET2_T3_PNS14_IS19_E10value_typeET4_jRbjT5_S1F_jjP12ihipStream_tbEUljE_ZNSN_ISO_Lb0ESR_SS_SU_SV_SZ_EES10_S11_S12_S13_S17_S18_S19_S1C_S1D_jS1E_jS1F_S1F_jjS1H_bEUljE0_EEES10_S11_S12_S19_S1D_S1F_T6_T7_T9_mT8_S1H_bDpT10_ENKUlT_T0_E_clISt17integral_constantIbLb1EES1U_IbLb0EEEEDaS1Q_S1R_EUlS1Q_E_NS1_11comp_targetILNS1_3genE4ELNS1_11target_archE910ELNS1_3gpuE8ELNS1_3repE0EEENS1_30default_config_static_selectorELNS0_4arch9wavefront6targetE0EEEvS13_
		.amdhsa_group_segment_fixed_size 0
		.amdhsa_private_segment_fixed_size 0
		.amdhsa_kernarg_size 176
		.amdhsa_user_sgpr_count 2
		.amdhsa_user_sgpr_dispatch_ptr 0
		.amdhsa_user_sgpr_queue_ptr 0
		.amdhsa_user_sgpr_kernarg_segment_ptr 1
		.amdhsa_user_sgpr_dispatch_id 0
		.amdhsa_user_sgpr_kernarg_preload_length 0
		.amdhsa_user_sgpr_kernarg_preload_offset 0
		.amdhsa_user_sgpr_private_segment_size 0
		.amdhsa_wavefront_size32 1
		.amdhsa_uses_dynamic_stack 0
		.amdhsa_enable_private_segment 0
		.amdhsa_system_sgpr_workgroup_id_x 1
		.amdhsa_system_sgpr_workgroup_id_y 0
		.amdhsa_system_sgpr_workgroup_id_z 0
		.amdhsa_system_sgpr_workgroup_info 0
		.amdhsa_system_vgpr_workitem_id 0
		.amdhsa_next_free_vgpr 1
		.amdhsa_next_free_sgpr 1
		.amdhsa_named_barrier_count 0
		.amdhsa_reserve_vcc 0
		.amdhsa_float_round_mode_32 0
		.amdhsa_float_round_mode_16_64 0
		.amdhsa_float_denorm_mode_32 3
		.amdhsa_float_denorm_mode_16_64 3
		.amdhsa_fp16_overflow 0
		.amdhsa_memory_ordered 1
		.amdhsa_forward_progress 1
		.amdhsa_inst_pref_size 0
		.amdhsa_round_robin_scheduling 0
		.amdhsa_exception_fp_ieee_invalid_op 0
		.amdhsa_exception_fp_denorm_src 0
		.amdhsa_exception_fp_ieee_div_zero 0
		.amdhsa_exception_fp_ieee_overflow 0
		.amdhsa_exception_fp_ieee_underflow 0
		.amdhsa_exception_fp_ieee_inexact 0
		.amdhsa_exception_int_div_zero 0
	.end_amdhsa_kernel
	.section	.text._ZN7rocprim17ROCPRIM_400000_NS6detail17trampoline_kernelINS0_13select_configILj256ELj13ELNS0_17block_load_methodE3ELS4_3ELS4_3ELNS0_20block_scan_algorithmE0ELj4294967295EEENS1_25partition_config_selectorILNS1_17partition_subalgoE4EjNS0_10empty_typeEbEEZZNS1_14partition_implILS8_4ELb0ES6_15HIP_vector_typeIjLj2EENS0_17counting_iteratorIjlEEPS9_SG_NS0_5tupleIJPjSI_NS0_16reverse_iteratorISI_EEEEENSH_IJSG_SG_SG_EEES9_SI_JZNS1_25segmented_radix_sort_implINS0_14default_configELb0EPK12hip_bfloat16PSP_PKlPlN2at6native12_GLOBAL__N_18offset_tEEE10hipError_tPvRmT1_PNSt15iterator_traitsIS13_E10value_typeET2_T3_PNS14_IS19_E10value_typeET4_jRbjT5_S1F_jjP12ihipStream_tbEUljE_ZNSN_ISO_Lb0ESR_SS_SU_SV_SZ_EES10_S11_S12_S13_S17_S18_S19_S1C_S1D_jS1E_jS1F_S1F_jjS1H_bEUljE0_EEES10_S11_S12_S19_S1D_S1F_T6_T7_T9_mT8_S1H_bDpT10_ENKUlT_T0_E_clISt17integral_constantIbLb1EES1U_IbLb0EEEEDaS1Q_S1R_EUlS1Q_E_NS1_11comp_targetILNS1_3genE4ELNS1_11target_archE910ELNS1_3gpuE8ELNS1_3repE0EEENS1_30default_config_static_selectorELNS0_4arch9wavefront6targetE0EEEvS13_,"axG",@progbits,_ZN7rocprim17ROCPRIM_400000_NS6detail17trampoline_kernelINS0_13select_configILj256ELj13ELNS0_17block_load_methodE3ELS4_3ELS4_3ELNS0_20block_scan_algorithmE0ELj4294967295EEENS1_25partition_config_selectorILNS1_17partition_subalgoE4EjNS0_10empty_typeEbEEZZNS1_14partition_implILS8_4ELb0ES6_15HIP_vector_typeIjLj2EENS0_17counting_iteratorIjlEEPS9_SG_NS0_5tupleIJPjSI_NS0_16reverse_iteratorISI_EEEEENSH_IJSG_SG_SG_EEES9_SI_JZNS1_25segmented_radix_sort_implINS0_14default_configELb0EPK12hip_bfloat16PSP_PKlPlN2at6native12_GLOBAL__N_18offset_tEEE10hipError_tPvRmT1_PNSt15iterator_traitsIS13_E10value_typeET2_T3_PNS14_IS19_E10value_typeET4_jRbjT5_S1F_jjP12ihipStream_tbEUljE_ZNSN_ISO_Lb0ESR_SS_SU_SV_SZ_EES10_S11_S12_S13_S17_S18_S19_S1C_S1D_jS1E_jS1F_S1F_jjS1H_bEUljE0_EEES10_S11_S12_S19_S1D_S1F_T6_T7_T9_mT8_S1H_bDpT10_ENKUlT_T0_E_clISt17integral_constantIbLb1EES1U_IbLb0EEEEDaS1Q_S1R_EUlS1Q_E_NS1_11comp_targetILNS1_3genE4ELNS1_11target_archE910ELNS1_3gpuE8ELNS1_3repE0EEENS1_30default_config_static_selectorELNS0_4arch9wavefront6targetE0EEEvS13_,comdat
.Lfunc_end1993:
	.size	_ZN7rocprim17ROCPRIM_400000_NS6detail17trampoline_kernelINS0_13select_configILj256ELj13ELNS0_17block_load_methodE3ELS4_3ELS4_3ELNS0_20block_scan_algorithmE0ELj4294967295EEENS1_25partition_config_selectorILNS1_17partition_subalgoE4EjNS0_10empty_typeEbEEZZNS1_14partition_implILS8_4ELb0ES6_15HIP_vector_typeIjLj2EENS0_17counting_iteratorIjlEEPS9_SG_NS0_5tupleIJPjSI_NS0_16reverse_iteratorISI_EEEEENSH_IJSG_SG_SG_EEES9_SI_JZNS1_25segmented_radix_sort_implINS0_14default_configELb0EPK12hip_bfloat16PSP_PKlPlN2at6native12_GLOBAL__N_18offset_tEEE10hipError_tPvRmT1_PNSt15iterator_traitsIS13_E10value_typeET2_T3_PNS14_IS19_E10value_typeET4_jRbjT5_S1F_jjP12ihipStream_tbEUljE_ZNSN_ISO_Lb0ESR_SS_SU_SV_SZ_EES10_S11_S12_S13_S17_S18_S19_S1C_S1D_jS1E_jS1F_S1F_jjS1H_bEUljE0_EEES10_S11_S12_S19_S1D_S1F_T6_T7_T9_mT8_S1H_bDpT10_ENKUlT_T0_E_clISt17integral_constantIbLb1EES1U_IbLb0EEEEDaS1Q_S1R_EUlS1Q_E_NS1_11comp_targetILNS1_3genE4ELNS1_11target_archE910ELNS1_3gpuE8ELNS1_3repE0EEENS1_30default_config_static_selectorELNS0_4arch9wavefront6targetE0EEEvS13_, .Lfunc_end1993-_ZN7rocprim17ROCPRIM_400000_NS6detail17trampoline_kernelINS0_13select_configILj256ELj13ELNS0_17block_load_methodE3ELS4_3ELS4_3ELNS0_20block_scan_algorithmE0ELj4294967295EEENS1_25partition_config_selectorILNS1_17partition_subalgoE4EjNS0_10empty_typeEbEEZZNS1_14partition_implILS8_4ELb0ES6_15HIP_vector_typeIjLj2EENS0_17counting_iteratorIjlEEPS9_SG_NS0_5tupleIJPjSI_NS0_16reverse_iteratorISI_EEEEENSH_IJSG_SG_SG_EEES9_SI_JZNS1_25segmented_radix_sort_implINS0_14default_configELb0EPK12hip_bfloat16PSP_PKlPlN2at6native12_GLOBAL__N_18offset_tEEE10hipError_tPvRmT1_PNSt15iterator_traitsIS13_E10value_typeET2_T3_PNS14_IS19_E10value_typeET4_jRbjT5_S1F_jjP12ihipStream_tbEUljE_ZNSN_ISO_Lb0ESR_SS_SU_SV_SZ_EES10_S11_S12_S13_S17_S18_S19_S1C_S1D_jS1E_jS1F_S1F_jjS1H_bEUljE0_EEES10_S11_S12_S19_S1D_S1F_T6_T7_T9_mT8_S1H_bDpT10_ENKUlT_T0_E_clISt17integral_constantIbLb1EES1U_IbLb0EEEEDaS1Q_S1R_EUlS1Q_E_NS1_11comp_targetILNS1_3genE4ELNS1_11target_archE910ELNS1_3gpuE8ELNS1_3repE0EEENS1_30default_config_static_selectorELNS0_4arch9wavefront6targetE0EEEvS13_
                                        ; -- End function
	.set _ZN7rocprim17ROCPRIM_400000_NS6detail17trampoline_kernelINS0_13select_configILj256ELj13ELNS0_17block_load_methodE3ELS4_3ELS4_3ELNS0_20block_scan_algorithmE0ELj4294967295EEENS1_25partition_config_selectorILNS1_17partition_subalgoE4EjNS0_10empty_typeEbEEZZNS1_14partition_implILS8_4ELb0ES6_15HIP_vector_typeIjLj2EENS0_17counting_iteratorIjlEEPS9_SG_NS0_5tupleIJPjSI_NS0_16reverse_iteratorISI_EEEEENSH_IJSG_SG_SG_EEES9_SI_JZNS1_25segmented_radix_sort_implINS0_14default_configELb0EPK12hip_bfloat16PSP_PKlPlN2at6native12_GLOBAL__N_18offset_tEEE10hipError_tPvRmT1_PNSt15iterator_traitsIS13_E10value_typeET2_T3_PNS14_IS19_E10value_typeET4_jRbjT5_S1F_jjP12ihipStream_tbEUljE_ZNSN_ISO_Lb0ESR_SS_SU_SV_SZ_EES10_S11_S12_S13_S17_S18_S19_S1C_S1D_jS1E_jS1F_S1F_jjS1H_bEUljE0_EEES10_S11_S12_S19_S1D_S1F_T6_T7_T9_mT8_S1H_bDpT10_ENKUlT_T0_E_clISt17integral_constantIbLb1EES1U_IbLb0EEEEDaS1Q_S1R_EUlS1Q_E_NS1_11comp_targetILNS1_3genE4ELNS1_11target_archE910ELNS1_3gpuE8ELNS1_3repE0EEENS1_30default_config_static_selectorELNS0_4arch9wavefront6targetE0EEEvS13_.num_vgpr, 0
	.set _ZN7rocprim17ROCPRIM_400000_NS6detail17trampoline_kernelINS0_13select_configILj256ELj13ELNS0_17block_load_methodE3ELS4_3ELS4_3ELNS0_20block_scan_algorithmE0ELj4294967295EEENS1_25partition_config_selectorILNS1_17partition_subalgoE4EjNS0_10empty_typeEbEEZZNS1_14partition_implILS8_4ELb0ES6_15HIP_vector_typeIjLj2EENS0_17counting_iteratorIjlEEPS9_SG_NS0_5tupleIJPjSI_NS0_16reverse_iteratorISI_EEEEENSH_IJSG_SG_SG_EEES9_SI_JZNS1_25segmented_radix_sort_implINS0_14default_configELb0EPK12hip_bfloat16PSP_PKlPlN2at6native12_GLOBAL__N_18offset_tEEE10hipError_tPvRmT1_PNSt15iterator_traitsIS13_E10value_typeET2_T3_PNS14_IS19_E10value_typeET4_jRbjT5_S1F_jjP12ihipStream_tbEUljE_ZNSN_ISO_Lb0ESR_SS_SU_SV_SZ_EES10_S11_S12_S13_S17_S18_S19_S1C_S1D_jS1E_jS1F_S1F_jjS1H_bEUljE0_EEES10_S11_S12_S19_S1D_S1F_T6_T7_T9_mT8_S1H_bDpT10_ENKUlT_T0_E_clISt17integral_constantIbLb1EES1U_IbLb0EEEEDaS1Q_S1R_EUlS1Q_E_NS1_11comp_targetILNS1_3genE4ELNS1_11target_archE910ELNS1_3gpuE8ELNS1_3repE0EEENS1_30default_config_static_selectorELNS0_4arch9wavefront6targetE0EEEvS13_.num_agpr, 0
	.set _ZN7rocprim17ROCPRIM_400000_NS6detail17trampoline_kernelINS0_13select_configILj256ELj13ELNS0_17block_load_methodE3ELS4_3ELS4_3ELNS0_20block_scan_algorithmE0ELj4294967295EEENS1_25partition_config_selectorILNS1_17partition_subalgoE4EjNS0_10empty_typeEbEEZZNS1_14partition_implILS8_4ELb0ES6_15HIP_vector_typeIjLj2EENS0_17counting_iteratorIjlEEPS9_SG_NS0_5tupleIJPjSI_NS0_16reverse_iteratorISI_EEEEENSH_IJSG_SG_SG_EEES9_SI_JZNS1_25segmented_radix_sort_implINS0_14default_configELb0EPK12hip_bfloat16PSP_PKlPlN2at6native12_GLOBAL__N_18offset_tEEE10hipError_tPvRmT1_PNSt15iterator_traitsIS13_E10value_typeET2_T3_PNS14_IS19_E10value_typeET4_jRbjT5_S1F_jjP12ihipStream_tbEUljE_ZNSN_ISO_Lb0ESR_SS_SU_SV_SZ_EES10_S11_S12_S13_S17_S18_S19_S1C_S1D_jS1E_jS1F_S1F_jjS1H_bEUljE0_EEES10_S11_S12_S19_S1D_S1F_T6_T7_T9_mT8_S1H_bDpT10_ENKUlT_T0_E_clISt17integral_constantIbLb1EES1U_IbLb0EEEEDaS1Q_S1R_EUlS1Q_E_NS1_11comp_targetILNS1_3genE4ELNS1_11target_archE910ELNS1_3gpuE8ELNS1_3repE0EEENS1_30default_config_static_selectorELNS0_4arch9wavefront6targetE0EEEvS13_.numbered_sgpr, 0
	.set _ZN7rocprim17ROCPRIM_400000_NS6detail17trampoline_kernelINS0_13select_configILj256ELj13ELNS0_17block_load_methodE3ELS4_3ELS4_3ELNS0_20block_scan_algorithmE0ELj4294967295EEENS1_25partition_config_selectorILNS1_17partition_subalgoE4EjNS0_10empty_typeEbEEZZNS1_14partition_implILS8_4ELb0ES6_15HIP_vector_typeIjLj2EENS0_17counting_iteratorIjlEEPS9_SG_NS0_5tupleIJPjSI_NS0_16reverse_iteratorISI_EEEEENSH_IJSG_SG_SG_EEES9_SI_JZNS1_25segmented_radix_sort_implINS0_14default_configELb0EPK12hip_bfloat16PSP_PKlPlN2at6native12_GLOBAL__N_18offset_tEEE10hipError_tPvRmT1_PNSt15iterator_traitsIS13_E10value_typeET2_T3_PNS14_IS19_E10value_typeET4_jRbjT5_S1F_jjP12ihipStream_tbEUljE_ZNSN_ISO_Lb0ESR_SS_SU_SV_SZ_EES10_S11_S12_S13_S17_S18_S19_S1C_S1D_jS1E_jS1F_S1F_jjS1H_bEUljE0_EEES10_S11_S12_S19_S1D_S1F_T6_T7_T9_mT8_S1H_bDpT10_ENKUlT_T0_E_clISt17integral_constantIbLb1EES1U_IbLb0EEEEDaS1Q_S1R_EUlS1Q_E_NS1_11comp_targetILNS1_3genE4ELNS1_11target_archE910ELNS1_3gpuE8ELNS1_3repE0EEENS1_30default_config_static_selectorELNS0_4arch9wavefront6targetE0EEEvS13_.num_named_barrier, 0
	.set _ZN7rocprim17ROCPRIM_400000_NS6detail17trampoline_kernelINS0_13select_configILj256ELj13ELNS0_17block_load_methodE3ELS4_3ELS4_3ELNS0_20block_scan_algorithmE0ELj4294967295EEENS1_25partition_config_selectorILNS1_17partition_subalgoE4EjNS0_10empty_typeEbEEZZNS1_14partition_implILS8_4ELb0ES6_15HIP_vector_typeIjLj2EENS0_17counting_iteratorIjlEEPS9_SG_NS0_5tupleIJPjSI_NS0_16reverse_iteratorISI_EEEEENSH_IJSG_SG_SG_EEES9_SI_JZNS1_25segmented_radix_sort_implINS0_14default_configELb0EPK12hip_bfloat16PSP_PKlPlN2at6native12_GLOBAL__N_18offset_tEEE10hipError_tPvRmT1_PNSt15iterator_traitsIS13_E10value_typeET2_T3_PNS14_IS19_E10value_typeET4_jRbjT5_S1F_jjP12ihipStream_tbEUljE_ZNSN_ISO_Lb0ESR_SS_SU_SV_SZ_EES10_S11_S12_S13_S17_S18_S19_S1C_S1D_jS1E_jS1F_S1F_jjS1H_bEUljE0_EEES10_S11_S12_S19_S1D_S1F_T6_T7_T9_mT8_S1H_bDpT10_ENKUlT_T0_E_clISt17integral_constantIbLb1EES1U_IbLb0EEEEDaS1Q_S1R_EUlS1Q_E_NS1_11comp_targetILNS1_3genE4ELNS1_11target_archE910ELNS1_3gpuE8ELNS1_3repE0EEENS1_30default_config_static_selectorELNS0_4arch9wavefront6targetE0EEEvS13_.private_seg_size, 0
	.set _ZN7rocprim17ROCPRIM_400000_NS6detail17trampoline_kernelINS0_13select_configILj256ELj13ELNS0_17block_load_methodE3ELS4_3ELS4_3ELNS0_20block_scan_algorithmE0ELj4294967295EEENS1_25partition_config_selectorILNS1_17partition_subalgoE4EjNS0_10empty_typeEbEEZZNS1_14partition_implILS8_4ELb0ES6_15HIP_vector_typeIjLj2EENS0_17counting_iteratorIjlEEPS9_SG_NS0_5tupleIJPjSI_NS0_16reverse_iteratorISI_EEEEENSH_IJSG_SG_SG_EEES9_SI_JZNS1_25segmented_radix_sort_implINS0_14default_configELb0EPK12hip_bfloat16PSP_PKlPlN2at6native12_GLOBAL__N_18offset_tEEE10hipError_tPvRmT1_PNSt15iterator_traitsIS13_E10value_typeET2_T3_PNS14_IS19_E10value_typeET4_jRbjT5_S1F_jjP12ihipStream_tbEUljE_ZNSN_ISO_Lb0ESR_SS_SU_SV_SZ_EES10_S11_S12_S13_S17_S18_S19_S1C_S1D_jS1E_jS1F_S1F_jjS1H_bEUljE0_EEES10_S11_S12_S19_S1D_S1F_T6_T7_T9_mT8_S1H_bDpT10_ENKUlT_T0_E_clISt17integral_constantIbLb1EES1U_IbLb0EEEEDaS1Q_S1R_EUlS1Q_E_NS1_11comp_targetILNS1_3genE4ELNS1_11target_archE910ELNS1_3gpuE8ELNS1_3repE0EEENS1_30default_config_static_selectorELNS0_4arch9wavefront6targetE0EEEvS13_.uses_vcc, 0
	.set _ZN7rocprim17ROCPRIM_400000_NS6detail17trampoline_kernelINS0_13select_configILj256ELj13ELNS0_17block_load_methodE3ELS4_3ELS4_3ELNS0_20block_scan_algorithmE0ELj4294967295EEENS1_25partition_config_selectorILNS1_17partition_subalgoE4EjNS0_10empty_typeEbEEZZNS1_14partition_implILS8_4ELb0ES6_15HIP_vector_typeIjLj2EENS0_17counting_iteratorIjlEEPS9_SG_NS0_5tupleIJPjSI_NS0_16reverse_iteratorISI_EEEEENSH_IJSG_SG_SG_EEES9_SI_JZNS1_25segmented_radix_sort_implINS0_14default_configELb0EPK12hip_bfloat16PSP_PKlPlN2at6native12_GLOBAL__N_18offset_tEEE10hipError_tPvRmT1_PNSt15iterator_traitsIS13_E10value_typeET2_T3_PNS14_IS19_E10value_typeET4_jRbjT5_S1F_jjP12ihipStream_tbEUljE_ZNSN_ISO_Lb0ESR_SS_SU_SV_SZ_EES10_S11_S12_S13_S17_S18_S19_S1C_S1D_jS1E_jS1F_S1F_jjS1H_bEUljE0_EEES10_S11_S12_S19_S1D_S1F_T6_T7_T9_mT8_S1H_bDpT10_ENKUlT_T0_E_clISt17integral_constantIbLb1EES1U_IbLb0EEEEDaS1Q_S1R_EUlS1Q_E_NS1_11comp_targetILNS1_3genE4ELNS1_11target_archE910ELNS1_3gpuE8ELNS1_3repE0EEENS1_30default_config_static_selectorELNS0_4arch9wavefront6targetE0EEEvS13_.uses_flat_scratch, 0
	.set _ZN7rocprim17ROCPRIM_400000_NS6detail17trampoline_kernelINS0_13select_configILj256ELj13ELNS0_17block_load_methodE3ELS4_3ELS4_3ELNS0_20block_scan_algorithmE0ELj4294967295EEENS1_25partition_config_selectorILNS1_17partition_subalgoE4EjNS0_10empty_typeEbEEZZNS1_14partition_implILS8_4ELb0ES6_15HIP_vector_typeIjLj2EENS0_17counting_iteratorIjlEEPS9_SG_NS0_5tupleIJPjSI_NS0_16reverse_iteratorISI_EEEEENSH_IJSG_SG_SG_EEES9_SI_JZNS1_25segmented_radix_sort_implINS0_14default_configELb0EPK12hip_bfloat16PSP_PKlPlN2at6native12_GLOBAL__N_18offset_tEEE10hipError_tPvRmT1_PNSt15iterator_traitsIS13_E10value_typeET2_T3_PNS14_IS19_E10value_typeET4_jRbjT5_S1F_jjP12ihipStream_tbEUljE_ZNSN_ISO_Lb0ESR_SS_SU_SV_SZ_EES10_S11_S12_S13_S17_S18_S19_S1C_S1D_jS1E_jS1F_S1F_jjS1H_bEUljE0_EEES10_S11_S12_S19_S1D_S1F_T6_T7_T9_mT8_S1H_bDpT10_ENKUlT_T0_E_clISt17integral_constantIbLb1EES1U_IbLb0EEEEDaS1Q_S1R_EUlS1Q_E_NS1_11comp_targetILNS1_3genE4ELNS1_11target_archE910ELNS1_3gpuE8ELNS1_3repE0EEENS1_30default_config_static_selectorELNS0_4arch9wavefront6targetE0EEEvS13_.has_dyn_sized_stack, 0
	.set _ZN7rocprim17ROCPRIM_400000_NS6detail17trampoline_kernelINS0_13select_configILj256ELj13ELNS0_17block_load_methodE3ELS4_3ELS4_3ELNS0_20block_scan_algorithmE0ELj4294967295EEENS1_25partition_config_selectorILNS1_17partition_subalgoE4EjNS0_10empty_typeEbEEZZNS1_14partition_implILS8_4ELb0ES6_15HIP_vector_typeIjLj2EENS0_17counting_iteratorIjlEEPS9_SG_NS0_5tupleIJPjSI_NS0_16reverse_iteratorISI_EEEEENSH_IJSG_SG_SG_EEES9_SI_JZNS1_25segmented_radix_sort_implINS0_14default_configELb0EPK12hip_bfloat16PSP_PKlPlN2at6native12_GLOBAL__N_18offset_tEEE10hipError_tPvRmT1_PNSt15iterator_traitsIS13_E10value_typeET2_T3_PNS14_IS19_E10value_typeET4_jRbjT5_S1F_jjP12ihipStream_tbEUljE_ZNSN_ISO_Lb0ESR_SS_SU_SV_SZ_EES10_S11_S12_S13_S17_S18_S19_S1C_S1D_jS1E_jS1F_S1F_jjS1H_bEUljE0_EEES10_S11_S12_S19_S1D_S1F_T6_T7_T9_mT8_S1H_bDpT10_ENKUlT_T0_E_clISt17integral_constantIbLb1EES1U_IbLb0EEEEDaS1Q_S1R_EUlS1Q_E_NS1_11comp_targetILNS1_3genE4ELNS1_11target_archE910ELNS1_3gpuE8ELNS1_3repE0EEENS1_30default_config_static_selectorELNS0_4arch9wavefront6targetE0EEEvS13_.has_recursion, 0
	.set _ZN7rocprim17ROCPRIM_400000_NS6detail17trampoline_kernelINS0_13select_configILj256ELj13ELNS0_17block_load_methodE3ELS4_3ELS4_3ELNS0_20block_scan_algorithmE0ELj4294967295EEENS1_25partition_config_selectorILNS1_17partition_subalgoE4EjNS0_10empty_typeEbEEZZNS1_14partition_implILS8_4ELb0ES6_15HIP_vector_typeIjLj2EENS0_17counting_iteratorIjlEEPS9_SG_NS0_5tupleIJPjSI_NS0_16reverse_iteratorISI_EEEEENSH_IJSG_SG_SG_EEES9_SI_JZNS1_25segmented_radix_sort_implINS0_14default_configELb0EPK12hip_bfloat16PSP_PKlPlN2at6native12_GLOBAL__N_18offset_tEEE10hipError_tPvRmT1_PNSt15iterator_traitsIS13_E10value_typeET2_T3_PNS14_IS19_E10value_typeET4_jRbjT5_S1F_jjP12ihipStream_tbEUljE_ZNSN_ISO_Lb0ESR_SS_SU_SV_SZ_EES10_S11_S12_S13_S17_S18_S19_S1C_S1D_jS1E_jS1F_S1F_jjS1H_bEUljE0_EEES10_S11_S12_S19_S1D_S1F_T6_T7_T9_mT8_S1H_bDpT10_ENKUlT_T0_E_clISt17integral_constantIbLb1EES1U_IbLb0EEEEDaS1Q_S1R_EUlS1Q_E_NS1_11comp_targetILNS1_3genE4ELNS1_11target_archE910ELNS1_3gpuE8ELNS1_3repE0EEENS1_30default_config_static_selectorELNS0_4arch9wavefront6targetE0EEEvS13_.has_indirect_call, 0
	.section	.AMDGPU.csdata,"",@progbits
; Kernel info:
; codeLenInByte = 0
; TotalNumSgprs: 0
; NumVgprs: 0
; ScratchSize: 0
; MemoryBound: 0
; FloatMode: 240
; IeeeMode: 1
; LDSByteSize: 0 bytes/workgroup (compile time only)
; SGPRBlocks: 0
; VGPRBlocks: 0
; NumSGPRsForWavesPerEU: 1
; NumVGPRsForWavesPerEU: 1
; NamedBarCnt: 0
; Occupancy: 16
; WaveLimiterHint : 0
; COMPUTE_PGM_RSRC2:SCRATCH_EN: 0
; COMPUTE_PGM_RSRC2:USER_SGPR: 2
; COMPUTE_PGM_RSRC2:TRAP_HANDLER: 0
; COMPUTE_PGM_RSRC2:TGID_X_EN: 1
; COMPUTE_PGM_RSRC2:TGID_Y_EN: 0
; COMPUTE_PGM_RSRC2:TGID_Z_EN: 0
; COMPUTE_PGM_RSRC2:TIDIG_COMP_CNT: 0
	.section	.text._ZN7rocprim17ROCPRIM_400000_NS6detail17trampoline_kernelINS0_13select_configILj256ELj13ELNS0_17block_load_methodE3ELS4_3ELS4_3ELNS0_20block_scan_algorithmE0ELj4294967295EEENS1_25partition_config_selectorILNS1_17partition_subalgoE4EjNS0_10empty_typeEbEEZZNS1_14partition_implILS8_4ELb0ES6_15HIP_vector_typeIjLj2EENS0_17counting_iteratorIjlEEPS9_SG_NS0_5tupleIJPjSI_NS0_16reverse_iteratorISI_EEEEENSH_IJSG_SG_SG_EEES9_SI_JZNS1_25segmented_radix_sort_implINS0_14default_configELb0EPK12hip_bfloat16PSP_PKlPlN2at6native12_GLOBAL__N_18offset_tEEE10hipError_tPvRmT1_PNSt15iterator_traitsIS13_E10value_typeET2_T3_PNS14_IS19_E10value_typeET4_jRbjT5_S1F_jjP12ihipStream_tbEUljE_ZNSN_ISO_Lb0ESR_SS_SU_SV_SZ_EES10_S11_S12_S13_S17_S18_S19_S1C_S1D_jS1E_jS1F_S1F_jjS1H_bEUljE0_EEES10_S11_S12_S19_S1D_S1F_T6_T7_T9_mT8_S1H_bDpT10_ENKUlT_T0_E_clISt17integral_constantIbLb1EES1U_IbLb0EEEEDaS1Q_S1R_EUlS1Q_E_NS1_11comp_targetILNS1_3genE3ELNS1_11target_archE908ELNS1_3gpuE7ELNS1_3repE0EEENS1_30default_config_static_selectorELNS0_4arch9wavefront6targetE0EEEvS13_,"axG",@progbits,_ZN7rocprim17ROCPRIM_400000_NS6detail17trampoline_kernelINS0_13select_configILj256ELj13ELNS0_17block_load_methodE3ELS4_3ELS4_3ELNS0_20block_scan_algorithmE0ELj4294967295EEENS1_25partition_config_selectorILNS1_17partition_subalgoE4EjNS0_10empty_typeEbEEZZNS1_14partition_implILS8_4ELb0ES6_15HIP_vector_typeIjLj2EENS0_17counting_iteratorIjlEEPS9_SG_NS0_5tupleIJPjSI_NS0_16reverse_iteratorISI_EEEEENSH_IJSG_SG_SG_EEES9_SI_JZNS1_25segmented_radix_sort_implINS0_14default_configELb0EPK12hip_bfloat16PSP_PKlPlN2at6native12_GLOBAL__N_18offset_tEEE10hipError_tPvRmT1_PNSt15iterator_traitsIS13_E10value_typeET2_T3_PNS14_IS19_E10value_typeET4_jRbjT5_S1F_jjP12ihipStream_tbEUljE_ZNSN_ISO_Lb0ESR_SS_SU_SV_SZ_EES10_S11_S12_S13_S17_S18_S19_S1C_S1D_jS1E_jS1F_S1F_jjS1H_bEUljE0_EEES10_S11_S12_S19_S1D_S1F_T6_T7_T9_mT8_S1H_bDpT10_ENKUlT_T0_E_clISt17integral_constantIbLb1EES1U_IbLb0EEEEDaS1Q_S1R_EUlS1Q_E_NS1_11comp_targetILNS1_3genE3ELNS1_11target_archE908ELNS1_3gpuE7ELNS1_3repE0EEENS1_30default_config_static_selectorELNS0_4arch9wavefront6targetE0EEEvS13_,comdat
	.globl	_ZN7rocprim17ROCPRIM_400000_NS6detail17trampoline_kernelINS0_13select_configILj256ELj13ELNS0_17block_load_methodE3ELS4_3ELS4_3ELNS0_20block_scan_algorithmE0ELj4294967295EEENS1_25partition_config_selectorILNS1_17partition_subalgoE4EjNS0_10empty_typeEbEEZZNS1_14partition_implILS8_4ELb0ES6_15HIP_vector_typeIjLj2EENS0_17counting_iteratorIjlEEPS9_SG_NS0_5tupleIJPjSI_NS0_16reverse_iteratorISI_EEEEENSH_IJSG_SG_SG_EEES9_SI_JZNS1_25segmented_radix_sort_implINS0_14default_configELb0EPK12hip_bfloat16PSP_PKlPlN2at6native12_GLOBAL__N_18offset_tEEE10hipError_tPvRmT1_PNSt15iterator_traitsIS13_E10value_typeET2_T3_PNS14_IS19_E10value_typeET4_jRbjT5_S1F_jjP12ihipStream_tbEUljE_ZNSN_ISO_Lb0ESR_SS_SU_SV_SZ_EES10_S11_S12_S13_S17_S18_S19_S1C_S1D_jS1E_jS1F_S1F_jjS1H_bEUljE0_EEES10_S11_S12_S19_S1D_S1F_T6_T7_T9_mT8_S1H_bDpT10_ENKUlT_T0_E_clISt17integral_constantIbLb1EES1U_IbLb0EEEEDaS1Q_S1R_EUlS1Q_E_NS1_11comp_targetILNS1_3genE3ELNS1_11target_archE908ELNS1_3gpuE7ELNS1_3repE0EEENS1_30default_config_static_selectorELNS0_4arch9wavefront6targetE0EEEvS13_ ; -- Begin function _ZN7rocprim17ROCPRIM_400000_NS6detail17trampoline_kernelINS0_13select_configILj256ELj13ELNS0_17block_load_methodE3ELS4_3ELS4_3ELNS0_20block_scan_algorithmE0ELj4294967295EEENS1_25partition_config_selectorILNS1_17partition_subalgoE4EjNS0_10empty_typeEbEEZZNS1_14partition_implILS8_4ELb0ES6_15HIP_vector_typeIjLj2EENS0_17counting_iteratorIjlEEPS9_SG_NS0_5tupleIJPjSI_NS0_16reverse_iteratorISI_EEEEENSH_IJSG_SG_SG_EEES9_SI_JZNS1_25segmented_radix_sort_implINS0_14default_configELb0EPK12hip_bfloat16PSP_PKlPlN2at6native12_GLOBAL__N_18offset_tEEE10hipError_tPvRmT1_PNSt15iterator_traitsIS13_E10value_typeET2_T3_PNS14_IS19_E10value_typeET4_jRbjT5_S1F_jjP12ihipStream_tbEUljE_ZNSN_ISO_Lb0ESR_SS_SU_SV_SZ_EES10_S11_S12_S13_S17_S18_S19_S1C_S1D_jS1E_jS1F_S1F_jjS1H_bEUljE0_EEES10_S11_S12_S19_S1D_S1F_T6_T7_T9_mT8_S1H_bDpT10_ENKUlT_T0_E_clISt17integral_constantIbLb1EES1U_IbLb0EEEEDaS1Q_S1R_EUlS1Q_E_NS1_11comp_targetILNS1_3genE3ELNS1_11target_archE908ELNS1_3gpuE7ELNS1_3repE0EEENS1_30default_config_static_selectorELNS0_4arch9wavefront6targetE0EEEvS13_
	.p2align	8
	.type	_ZN7rocprim17ROCPRIM_400000_NS6detail17trampoline_kernelINS0_13select_configILj256ELj13ELNS0_17block_load_methodE3ELS4_3ELS4_3ELNS0_20block_scan_algorithmE0ELj4294967295EEENS1_25partition_config_selectorILNS1_17partition_subalgoE4EjNS0_10empty_typeEbEEZZNS1_14partition_implILS8_4ELb0ES6_15HIP_vector_typeIjLj2EENS0_17counting_iteratorIjlEEPS9_SG_NS0_5tupleIJPjSI_NS0_16reverse_iteratorISI_EEEEENSH_IJSG_SG_SG_EEES9_SI_JZNS1_25segmented_radix_sort_implINS0_14default_configELb0EPK12hip_bfloat16PSP_PKlPlN2at6native12_GLOBAL__N_18offset_tEEE10hipError_tPvRmT1_PNSt15iterator_traitsIS13_E10value_typeET2_T3_PNS14_IS19_E10value_typeET4_jRbjT5_S1F_jjP12ihipStream_tbEUljE_ZNSN_ISO_Lb0ESR_SS_SU_SV_SZ_EES10_S11_S12_S13_S17_S18_S19_S1C_S1D_jS1E_jS1F_S1F_jjS1H_bEUljE0_EEES10_S11_S12_S19_S1D_S1F_T6_T7_T9_mT8_S1H_bDpT10_ENKUlT_T0_E_clISt17integral_constantIbLb1EES1U_IbLb0EEEEDaS1Q_S1R_EUlS1Q_E_NS1_11comp_targetILNS1_3genE3ELNS1_11target_archE908ELNS1_3gpuE7ELNS1_3repE0EEENS1_30default_config_static_selectorELNS0_4arch9wavefront6targetE0EEEvS13_,@function
_ZN7rocprim17ROCPRIM_400000_NS6detail17trampoline_kernelINS0_13select_configILj256ELj13ELNS0_17block_load_methodE3ELS4_3ELS4_3ELNS0_20block_scan_algorithmE0ELj4294967295EEENS1_25partition_config_selectorILNS1_17partition_subalgoE4EjNS0_10empty_typeEbEEZZNS1_14partition_implILS8_4ELb0ES6_15HIP_vector_typeIjLj2EENS0_17counting_iteratorIjlEEPS9_SG_NS0_5tupleIJPjSI_NS0_16reverse_iteratorISI_EEEEENSH_IJSG_SG_SG_EEES9_SI_JZNS1_25segmented_radix_sort_implINS0_14default_configELb0EPK12hip_bfloat16PSP_PKlPlN2at6native12_GLOBAL__N_18offset_tEEE10hipError_tPvRmT1_PNSt15iterator_traitsIS13_E10value_typeET2_T3_PNS14_IS19_E10value_typeET4_jRbjT5_S1F_jjP12ihipStream_tbEUljE_ZNSN_ISO_Lb0ESR_SS_SU_SV_SZ_EES10_S11_S12_S13_S17_S18_S19_S1C_S1D_jS1E_jS1F_S1F_jjS1H_bEUljE0_EEES10_S11_S12_S19_S1D_S1F_T6_T7_T9_mT8_S1H_bDpT10_ENKUlT_T0_E_clISt17integral_constantIbLb1EES1U_IbLb0EEEEDaS1Q_S1R_EUlS1Q_E_NS1_11comp_targetILNS1_3genE3ELNS1_11target_archE908ELNS1_3gpuE7ELNS1_3repE0EEENS1_30default_config_static_selectorELNS0_4arch9wavefront6targetE0EEEvS13_: ; @_ZN7rocprim17ROCPRIM_400000_NS6detail17trampoline_kernelINS0_13select_configILj256ELj13ELNS0_17block_load_methodE3ELS4_3ELS4_3ELNS0_20block_scan_algorithmE0ELj4294967295EEENS1_25partition_config_selectorILNS1_17partition_subalgoE4EjNS0_10empty_typeEbEEZZNS1_14partition_implILS8_4ELb0ES6_15HIP_vector_typeIjLj2EENS0_17counting_iteratorIjlEEPS9_SG_NS0_5tupleIJPjSI_NS0_16reverse_iteratorISI_EEEEENSH_IJSG_SG_SG_EEES9_SI_JZNS1_25segmented_radix_sort_implINS0_14default_configELb0EPK12hip_bfloat16PSP_PKlPlN2at6native12_GLOBAL__N_18offset_tEEE10hipError_tPvRmT1_PNSt15iterator_traitsIS13_E10value_typeET2_T3_PNS14_IS19_E10value_typeET4_jRbjT5_S1F_jjP12ihipStream_tbEUljE_ZNSN_ISO_Lb0ESR_SS_SU_SV_SZ_EES10_S11_S12_S13_S17_S18_S19_S1C_S1D_jS1E_jS1F_S1F_jjS1H_bEUljE0_EEES10_S11_S12_S19_S1D_S1F_T6_T7_T9_mT8_S1H_bDpT10_ENKUlT_T0_E_clISt17integral_constantIbLb1EES1U_IbLb0EEEEDaS1Q_S1R_EUlS1Q_E_NS1_11comp_targetILNS1_3genE3ELNS1_11target_archE908ELNS1_3gpuE7ELNS1_3repE0EEENS1_30default_config_static_selectorELNS0_4arch9wavefront6targetE0EEEvS13_
; %bb.0:
	.section	.rodata,"a",@progbits
	.p2align	6, 0x0
	.amdhsa_kernel _ZN7rocprim17ROCPRIM_400000_NS6detail17trampoline_kernelINS0_13select_configILj256ELj13ELNS0_17block_load_methodE3ELS4_3ELS4_3ELNS0_20block_scan_algorithmE0ELj4294967295EEENS1_25partition_config_selectorILNS1_17partition_subalgoE4EjNS0_10empty_typeEbEEZZNS1_14partition_implILS8_4ELb0ES6_15HIP_vector_typeIjLj2EENS0_17counting_iteratorIjlEEPS9_SG_NS0_5tupleIJPjSI_NS0_16reverse_iteratorISI_EEEEENSH_IJSG_SG_SG_EEES9_SI_JZNS1_25segmented_radix_sort_implINS0_14default_configELb0EPK12hip_bfloat16PSP_PKlPlN2at6native12_GLOBAL__N_18offset_tEEE10hipError_tPvRmT1_PNSt15iterator_traitsIS13_E10value_typeET2_T3_PNS14_IS19_E10value_typeET4_jRbjT5_S1F_jjP12ihipStream_tbEUljE_ZNSN_ISO_Lb0ESR_SS_SU_SV_SZ_EES10_S11_S12_S13_S17_S18_S19_S1C_S1D_jS1E_jS1F_S1F_jjS1H_bEUljE0_EEES10_S11_S12_S19_S1D_S1F_T6_T7_T9_mT8_S1H_bDpT10_ENKUlT_T0_E_clISt17integral_constantIbLb1EES1U_IbLb0EEEEDaS1Q_S1R_EUlS1Q_E_NS1_11comp_targetILNS1_3genE3ELNS1_11target_archE908ELNS1_3gpuE7ELNS1_3repE0EEENS1_30default_config_static_selectorELNS0_4arch9wavefront6targetE0EEEvS13_
		.amdhsa_group_segment_fixed_size 0
		.amdhsa_private_segment_fixed_size 0
		.amdhsa_kernarg_size 176
		.amdhsa_user_sgpr_count 2
		.amdhsa_user_sgpr_dispatch_ptr 0
		.amdhsa_user_sgpr_queue_ptr 0
		.amdhsa_user_sgpr_kernarg_segment_ptr 1
		.amdhsa_user_sgpr_dispatch_id 0
		.amdhsa_user_sgpr_kernarg_preload_length 0
		.amdhsa_user_sgpr_kernarg_preload_offset 0
		.amdhsa_user_sgpr_private_segment_size 0
		.amdhsa_wavefront_size32 1
		.amdhsa_uses_dynamic_stack 0
		.amdhsa_enable_private_segment 0
		.amdhsa_system_sgpr_workgroup_id_x 1
		.amdhsa_system_sgpr_workgroup_id_y 0
		.amdhsa_system_sgpr_workgroup_id_z 0
		.amdhsa_system_sgpr_workgroup_info 0
		.amdhsa_system_vgpr_workitem_id 0
		.amdhsa_next_free_vgpr 1
		.amdhsa_next_free_sgpr 1
		.amdhsa_named_barrier_count 0
		.amdhsa_reserve_vcc 0
		.amdhsa_float_round_mode_32 0
		.amdhsa_float_round_mode_16_64 0
		.amdhsa_float_denorm_mode_32 3
		.amdhsa_float_denorm_mode_16_64 3
		.amdhsa_fp16_overflow 0
		.amdhsa_memory_ordered 1
		.amdhsa_forward_progress 1
		.amdhsa_inst_pref_size 0
		.amdhsa_round_robin_scheduling 0
		.amdhsa_exception_fp_ieee_invalid_op 0
		.amdhsa_exception_fp_denorm_src 0
		.amdhsa_exception_fp_ieee_div_zero 0
		.amdhsa_exception_fp_ieee_overflow 0
		.amdhsa_exception_fp_ieee_underflow 0
		.amdhsa_exception_fp_ieee_inexact 0
		.amdhsa_exception_int_div_zero 0
	.end_amdhsa_kernel
	.section	.text._ZN7rocprim17ROCPRIM_400000_NS6detail17trampoline_kernelINS0_13select_configILj256ELj13ELNS0_17block_load_methodE3ELS4_3ELS4_3ELNS0_20block_scan_algorithmE0ELj4294967295EEENS1_25partition_config_selectorILNS1_17partition_subalgoE4EjNS0_10empty_typeEbEEZZNS1_14partition_implILS8_4ELb0ES6_15HIP_vector_typeIjLj2EENS0_17counting_iteratorIjlEEPS9_SG_NS0_5tupleIJPjSI_NS0_16reverse_iteratorISI_EEEEENSH_IJSG_SG_SG_EEES9_SI_JZNS1_25segmented_radix_sort_implINS0_14default_configELb0EPK12hip_bfloat16PSP_PKlPlN2at6native12_GLOBAL__N_18offset_tEEE10hipError_tPvRmT1_PNSt15iterator_traitsIS13_E10value_typeET2_T3_PNS14_IS19_E10value_typeET4_jRbjT5_S1F_jjP12ihipStream_tbEUljE_ZNSN_ISO_Lb0ESR_SS_SU_SV_SZ_EES10_S11_S12_S13_S17_S18_S19_S1C_S1D_jS1E_jS1F_S1F_jjS1H_bEUljE0_EEES10_S11_S12_S19_S1D_S1F_T6_T7_T9_mT8_S1H_bDpT10_ENKUlT_T0_E_clISt17integral_constantIbLb1EES1U_IbLb0EEEEDaS1Q_S1R_EUlS1Q_E_NS1_11comp_targetILNS1_3genE3ELNS1_11target_archE908ELNS1_3gpuE7ELNS1_3repE0EEENS1_30default_config_static_selectorELNS0_4arch9wavefront6targetE0EEEvS13_,"axG",@progbits,_ZN7rocprim17ROCPRIM_400000_NS6detail17trampoline_kernelINS0_13select_configILj256ELj13ELNS0_17block_load_methodE3ELS4_3ELS4_3ELNS0_20block_scan_algorithmE0ELj4294967295EEENS1_25partition_config_selectorILNS1_17partition_subalgoE4EjNS0_10empty_typeEbEEZZNS1_14partition_implILS8_4ELb0ES6_15HIP_vector_typeIjLj2EENS0_17counting_iteratorIjlEEPS9_SG_NS0_5tupleIJPjSI_NS0_16reverse_iteratorISI_EEEEENSH_IJSG_SG_SG_EEES9_SI_JZNS1_25segmented_radix_sort_implINS0_14default_configELb0EPK12hip_bfloat16PSP_PKlPlN2at6native12_GLOBAL__N_18offset_tEEE10hipError_tPvRmT1_PNSt15iterator_traitsIS13_E10value_typeET2_T3_PNS14_IS19_E10value_typeET4_jRbjT5_S1F_jjP12ihipStream_tbEUljE_ZNSN_ISO_Lb0ESR_SS_SU_SV_SZ_EES10_S11_S12_S13_S17_S18_S19_S1C_S1D_jS1E_jS1F_S1F_jjS1H_bEUljE0_EEES10_S11_S12_S19_S1D_S1F_T6_T7_T9_mT8_S1H_bDpT10_ENKUlT_T0_E_clISt17integral_constantIbLb1EES1U_IbLb0EEEEDaS1Q_S1R_EUlS1Q_E_NS1_11comp_targetILNS1_3genE3ELNS1_11target_archE908ELNS1_3gpuE7ELNS1_3repE0EEENS1_30default_config_static_selectorELNS0_4arch9wavefront6targetE0EEEvS13_,comdat
.Lfunc_end1994:
	.size	_ZN7rocprim17ROCPRIM_400000_NS6detail17trampoline_kernelINS0_13select_configILj256ELj13ELNS0_17block_load_methodE3ELS4_3ELS4_3ELNS0_20block_scan_algorithmE0ELj4294967295EEENS1_25partition_config_selectorILNS1_17partition_subalgoE4EjNS0_10empty_typeEbEEZZNS1_14partition_implILS8_4ELb0ES6_15HIP_vector_typeIjLj2EENS0_17counting_iteratorIjlEEPS9_SG_NS0_5tupleIJPjSI_NS0_16reverse_iteratorISI_EEEEENSH_IJSG_SG_SG_EEES9_SI_JZNS1_25segmented_radix_sort_implINS0_14default_configELb0EPK12hip_bfloat16PSP_PKlPlN2at6native12_GLOBAL__N_18offset_tEEE10hipError_tPvRmT1_PNSt15iterator_traitsIS13_E10value_typeET2_T3_PNS14_IS19_E10value_typeET4_jRbjT5_S1F_jjP12ihipStream_tbEUljE_ZNSN_ISO_Lb0ESR_SS_SU_SV_SZ_EES10_S11_S12_S13_S17_S18_S19_S1C_S1D_jS1E_jS1F_S1F_jjS1H_bEUljE0_EEES10_S11_S12_S19_S1D_S1F_T6_T7_T9_mT8_S1H_bDpT10_ENKUlT_T0_E_clISt17integral_constantIbLb1EES1U_IbLb0EEEEDaS1Q_S1R_EUlS1Q_E_NS1_11comp_targetILNS1_3genE3ELNS1_11target_archE908ELNS1_3gpuE7ELNS1_3repE0EEENS1_30default_config_static_selectorELNS0_4arch9wavefront6targetE0EEEvS13_, .Lfunc_end1994-_ZN7rocprim17ROCPRIM_400000_NS6detail17trampoline_kernelINS0_13select_configILj256ELj13ELNS0_17block_load_methodE3ELS4_3ELS4_3ELNS0_20block_scan_algorithmE0ELj4294967295EEENS1_25partition_config_selectorILNS1_17partition_subalgoE4EjNS0_10empty_typeEbEEZZNS1_14partition_implILS8_4ELb0ES6_15HIP_vector_typeIjLj2EENS0_17counting_iteratorIjlEEPS9_SG_NS0_5tupleIJPjSI_NS0_16reverse_iteratorISI_EEEEENSH_IJSG_SG_SG_EEES9_SI_JZNS1_25segmented_radix_sort_implINS0_14default_configELb0EPK12hip_bfloat16PSP_PKlPlN2at6native12_GLOBAL__N_18offset_tEEE10hipError_tPvRmT1_PNSt15iterator_traitsIS13_E10value_typeET2_T3_PNS14_IS19_E10value_typeET4_jRbjT5_S1F_jjP12ihipStream_tbEUljE_ZNSN_ISO_Lb0ESR_SS_SU_SV_SZ_EES10_S11_S12_S13_S17_S18_S19_S1C_S1D_jS1E_jS1F_S1F_jjS1H_bEUljE0_EEES10_S11_S12_S19_S1D_S1F_T6_T7_T9_mT8_S1H_bDpT10_ENKUlT_T0_E_clISt17integral_constantIbLb1EES1U_IbLb0EEEEDaS1Q_S1R_EUlS1Q_E_NS1_11comp_targetILNS1_3genE3ELNS1_11target_archE908ELNS1_3gpuE7ELNS1_3repE0EEENS1_30default_config_static_selectorELNS0_4arch9wavefront6targetE0EEEvS13_
                                        ; -- End function
	.set _ZN7rocprim17ROCPRIM_400000_NS6detail17trampoline_kernelINS0_13select_configILj256ELj13ELNS0_17block_load_methodE3ELS4_3ELS4_3ELNS0_20block_scan_algorithmE0ELj4294967295EEENS1_25partition_config_selectorILNS1_17partition_subalgoE4EjNS0_10empty_typeEbEEZZNS1_14partition_implILS8_4ELb0ES6_15HIP_vector_typeIjLj2EENS0_17counting_iteratorIjlEEPS9_SG_NS0_5tupleIJPjSI_NS0_16reverse_iteratorISI_EEEEENSH_IJSG_SG_SG_EEES9_SI_JZNS1_25segmented_radix_sort_implINS0_14default_configELb0EPK12hip_bfloat16PSP_PKlPlN2at6native12_GLOBAL__N_18offset_tEEE10hipError_tPvRmT1_PNSt15iterator_traitsIS13_E10value_typeET2_T3_PNS14_IS19_E10value_typeET4_jRbjT5_S1F_jjP12ihipStream_tbEUljE_ZNSN_ISO_Lb0ESR_SS_SU_SV_SZ_EES10_S11_S12_S13_S17_S18_S19_S1C_S1D_jS1E_jS1F_S1F_jjS1H_bEUljE0_EEES10_S11_S12_S19_S1D_S1F_T6_T7_T9_mT8_S1H_bDpT10_ENKUlT_T0_E_clISt17integral_constantIbLb1EES1U_IbLb0EEEEDaS1Q_S1R_EUlS1Q_E_NS1_11comp_targetILNS1_3genE3ELNS1_11target_archE908ELNS1_3gpuE7ELNS1_3repE0EEENS1_30default_config_static_selectorELNS0_4arch9wavefront6targetE0EEEvS13_.num_vgpr, 0
	.set _ZN7rocprim17ROCPRIM_400000_NS6detail17trampoline_kernelINS0_13select_configILj256ELj13ELNS0_17block_load_methodE3ELS4_3ELS4_3ELNS0_20block_scan_algorithmE0ELj4294967295EEENS1_25partition_config_selectorILNS1_17partition_subalgoE4EjNS0_10empty_typeEbEEZZNS1_14partition_implILS8_4ELb0ES6_15HIP_vector_typeIjLj2EENS0_17counting_iteratorIjlEEPS9_SG_NS0_5tupleIJPjSI_NS0_16reverse_iteratorISI_EEEEENSH_IJSG_SG_SG_EEES9_SI_JZNS1_25segmented_radix_sort_implINS0_14default_configELb0EPK12hip_bfloat16PSP_PKlPlN2at6native12_GLOBAL__N_18offset_tEEE10hipError_tPvRmT1_PNSt15iterator_traitsIS13_E10value_typeET2_T3_PNS14_IS19_E10value_typeET4_jRbjT5_S1F_jjP12ihipStream_tbEUljE_ZNSN_ISO_Lb0ESR_SS_SU_SV_SZ_EES10_S11_S12_S13_S17_S18_S19_S1C_S1D_jS1E_jS1F_S1F_jjS1H_bEUljE0_EEES10_S11_S12_S19_S1D_S1F_T6_T7_T9_mT8_S1H_bDpT10_ENKUlT_T0_E_clISt17integral_constantIbLb1EES1U_IbLb0EEEEDaS1Q_S1R_EUlS1Q_E_NS1_11comp_targetILNS1_3genE3ELNS1_11target_archE908ELNS1_3gpuE7ELNS1_3repE0EEENS1_30default_config_static_selectorELNS0_4arch9wavefront6targetE0EEEvS13_.num_agpr, 0
	.set _ZN7rocprim17ROCPRIM_400000_NS6detail17trampoline_kernelINS0_13select_configILj256ELj13ELNS0_17block_load_methodE3ELS4_3ELS4_3ELNS0_20block_scan_algorithmE0ELj4294967295EEENS1_25partition_config_selectorILNS1_17partition_subalgoE4EjNS0_10empty_typeEbEEZZNS1_14partition_implILS8_4ELb0ES6_15HIP_vector_typeIjLj2EENS0_17counting_iteratorIjlEEPS9_SG_NS0_5tupleIJPjSI_NS0_16reverse_iteratorISI_EEEEENSH_IJSG_SG_SG_EEES9_SI_JZNS1_25segmented_radix_sort_implINS0_14default_configELb0EPK12hip_bfloat16PSP_PKlPlN2at6native12_GLOBAL__N_18offset_tEEE10hipError_tPvRmT1_PNSt15iterator_traitsIS13_E10value_typeET2_T3_PNS14_IS19_E10value_typeET4_jRbjT5_S1F_jjP12ihipStream_tbEUljE_ZNSN_ISO_Lb0ESR_SS_SU_SV_SZ_EES10_S11_S12_S13_S17_S18_S19_S1C_S1D_jS1E_jS1F_S1F_jjS1H_bEUljE0_EEES10_S11_S12_S19_S1D_S1F_T6_T7_T9_mT8_S1H_bDpT10_ENKUlT_T0_E_clISt17integral_constantIbLb1EES1U_IbLb0EEEEDaS1Q_S1R_EUlS1Q_E_NS1_11comp_targetILNS1_3genE3ELNS1_11target_archE908ELNS1_3gpuE7ELNS1_3repE0EEENS1_30default_config_static_selectorELNS0_4arch9wavefront6targetE0EEEvS13_.numbered_sgpr, 0
	.set _ZN7rocprim17ROCPRIM_400000_NS6detail17trampoline_kernelINS0_13select_configILj256ELj13ELNS0_17block_load_methodE3ELS4_3ELS4_3ELNS0_20block_scan_algorithmE0ELj4294967295EEENS1_25partition_config_selectorILNS1_17partition_subalgoE4EjNS0_10empty_typeEbEEZZNS1_14partition_implILS8_4ELb0ES6_15HIP_vector_typeIjLj2EENS0_17counting_iteratorIjlEEPS9_SG_NS0_5tupleIJPjSI_NS0_16reverse_iteratorISI_EEEEENSH_IJSG_SG_SG_EEES9_SI_JZNS1_25segmented_radix_sort_implINS0_14default_configELb0EPK12hip_bfloat16PSP_PKlPlN2at6native12_GLOBAL__N_18offset_tEEE10hipError_tPvRmT1_PNSt15iterator_traitsIS13_E10value_typeET2_T3_PNS14_IS19_E10value_typeET4_jRbjT5_S1F_jjP12ihipStream_tbEUljE_ZNSN_ISO_Lb0ESR_SS_SU_SV_SZ_EES10_S11_S12_S13_S17_S18_S19_S1C_S1D_jS1E_jS1F_S1F_jjS1H_bEUljE0_EEES10_S11_S12_S19_S1D_S1F_T6_T7_T9_mT8_S1H_bDpT10_ENKUlT_T0_E_clISt17integral_constantIbLb1EES1U_IbLb0EEEEDaS1Q_S1R_EUlS1Q_E_NS1_11comp_targetILNS1_3genE3ELNS1_11target_archE908ELNS1_3gpuE7ELNS1_3repE0EEENS1_30default_config_static_selectorELNS0_4arch9wavefront6targetE0EEEvS13_.num_named_barrier, 0
	.set _ZN7rocprim17ROCPRIM_400000_NS6detail17trampoline_kernelINS0_13select_configILj256ELj13ELNS0_17block_load_methodE3ELS4_3ELS4_3ELNS0_20block_scan_algorithmE0ELj4294967295EEENS1_25partition_config_selectorILNS1_17partition_subalgoE4EjNS0_10empty_typeEbEEZZNS1_14partition_implILS8_4ELb0ES6_15HIP_vector_typeIjLj2EENS0_17counting_iteratorIjlEEPS9_SG_NS0_5tupleIJPjSI_NS0_16reverse_iteratorISI_EEEEENSH_IJSG_SG_SG_EEES9_SI_JZNS1_25segmented_radix_sort_implINS0_14default_configELb0EPK12hip_bfloat16PSP_PKlPlN2at6native12_GLOBAL__N_18offset_tEEE10hipError_tPvRmT1_PNSt15iterator_traitsIS13_E10value_typeET2_T3_PNS14_IS19_E10value_typeET4_jRbjT5_S1F_jjP12ihipStream_tbEUljE_ZNSN_ISO_Lb0ESR_SS_SU_SV_SZ_EES10_S11_S12_S13_S17_S18_S19_S1C_S1D_jS1E_jS1F_S1F_jjS1H_bEUljE0_EEES10_S11_S12_S19_S1D_S1F_T6_T7_T9_mT8_S1H_bDpT10_ENKUlT_T0_E_clISt17integral_constantIbLb1EES1U_IbLb0EEEEDaS1Q_S1R_EUlS1Q_E_NS1_11comp_targetILNS1_3genE3ELNS1_11target_archE908ELNS1_3gpuE7ELNS1_3repE0EEENS1_30default_config_static_selectorELNS0_4arch9wavefront6targetE0EEEvS13_.private_seg_size, 0
	.set _ZN7rocprim17ROCPRIM_400000_NS6detail17trampoline_kernelINS0_13select_configILj256ELj13ELNS0_17block_load_methodE3ELS4_3ELS4_3ELNS0_20block_scan_algorithmE0ELj4294967295EEENS1_25partition_config_selectorILNS1_17partition_subalgoE4EjNS0_10empty_typeEbEEZZNS1_14partition_implILS8_4ELb0ES6_15HIP_vector_typeIjLj2EENS0_17counting_iteratorIjlEEPS9_SG_NS0_5tupleIJPjSI_NS0_16reverse_iteratorISI_EEEEENSH_IJSG_SG_SG_EEES9_SI_JZNS1_25segmented_radix_sort_implINS0_14default_configELb0EPK12hip_bfloat16PSP_PKlPlN2at6native12_GLOBAL__N_18offset_tEEE10hipError_tPvRmT1_PNSt15iterator_traitsIS13_E10value_typeET2_T3_PNS14_IS19_E10value_typeET4_jRbjT5_S1F_jjP12ihipStream_tbEUljE_ZNSN_ISO_Lb0ESR_SS_SU_SV_SZ_EES10_S11_S12_S13_S17_S18_S19_S1C_S1D_jS1E_jS1F_S1F_jjS1H_bEUljE0_EEES10_S11_S12_S19_S1D_S1F_T6_T7_T9_mT8_S1H_bDpT10_ENKUlT_T0_E_clISt17integral_constantIbLb1EES1U_IbLb0EEEEDaS1Q_S1R_EUlS1Q_E_NS1_11comp_targetILNS1_3genE3ELNS1_11target_archE908ELNS1_3gpuE7ELNS1_3repE0EEENS1_30default_config_static_selectorELNS0_4arch9wavefront6targetE0EEEvS13_.uses_vcc, 0
	.set _ZN7rocprim17ROCPRIM_400000_NS6detail17trampoline_kernelINS0_13select_configILj256ELj13ELNS0_17block_load_methodE3ELS4_3ELS4_3ELNS0_20block_scan_algorithmE0ELj4294967295EEENS1_25partition_config_selectorILNS1_17partition_subalgoE4EjNS0_10empty_typeEbEEZZNS1_14partition_implILS8_4ELb0ES6_15HIP_vector_typeIjLj2EENS0_17counting_iteratorIjlEEPS9_SG_NS0_5tupleIJPjSI_NS0_16reverse_iteratorISI_EEEEENSH_IJSG_SG_SG_EEES9_SI_JZNS1_25segmented_radix_sort_implINS0_14default_configELb0EPK12hip_bfloat16PSP_PKlPlN2at6native12_GLOBAL__N_18offset_tEEE10hipError_tPvRmT1_PNSt15iterator_traitsIS13_E10value_typeET2_T3_PNS14_IS19_E10value_typeET4_jRbjT5_S1F_jjP12ihipStream_tbEUljE_ZNSN_ISO_Lb0ESR_SS_SU_SV_SZ_EES10_S11_S12_S13_S17_S18_S19_S1C_S1D_jS1E_jS1F_S1F_jjS1H_bEUljE0_EEES10_S11_S12_S19_S1D_S1F_T6_T7_T9_mT8_S1H_bDpT10_ENKUlT_T0_E_clISt17integral_constantIbLb1EES1U_IbLb0EEEEDaS1Q_S1R_EUlS1Q_E_NS1_11comp_targetILNS1_3genE3ELNS1_11target_archE908ELNS1_3gpuE7ELNS1_3repE0EEENS1_30default_config_static_selectorELNS0_4arch9wavefront6targetE0EEEvS13_.uses_flat_scratch, 0
	.set _ZN7rocprim17ROCPRIM_400000_NS6detail17trampoline_kernelINS0_13select_configILj256ELj13ELNS0_17block_load_methodE3ELS4_3ELS4_3ELNS0_20block_scan_algorithmE0ELj4294967295EEENS1_25partition_config_selectorILNS1_17partition_subalgoE4EjNS0_10empty_typeEbEEZZNS1_14partition_implILS8_4ELb0ES6_15HIP_vector_typeIjLj2EENS0_17counting_iteratorIjlEEPS9_SG_NS0_5tupleIJPjSI_NS0_16reverse_iteratorISI_EEEEENSH_IJSG_SG_SG_EEES9_SI_JZNS1_25segmented_radix_sort_implINS0_14default_configELb0EPK12hip_bfloat16PSP_PKlPlN2at6native12_GLOBAL__N_18offset_tEEE10hipError_tPvRmT1_PNSt15iterator_traitsIS13_E10value_typeET2_T3_PNS14_IS19_E10value_typeET4_jRbjT5_S1F_jjP12ihipStream_tbEUljE_ZNSN_ISO_Lb0ESR_SS_SU_SV_SZ_EES10_S11_S12_S13_S17_S18_S19_S1C_S1D_jS1E_jS1F_S1F_jjS1H_bEUljE0_EEES10_S11_S12_S19_S1D_S1F_T6_T7_T9_mT8_S1H_bDpT10_ENKUlT_T0_E_clISt17integral_constantIbLb1EES1U_IbLb0EEEEDaS1Q_S1R_EUlS1Q_E_NS1_11comp_targetILNS1_3genE3ELNS1_11target_archE908ELNS1_3gpuE7ELNS1_3repE0EEENS1_30default_config_static_selectorELNS0_4arch9wavefront6targetE0EEEvS13_.has_dyn_sized_stack, 0
	.set _ZN7rocprim17ROCPRIM_400000_NS6detail17trampoline_kernelINS0_13select_configILj256ELj13ELNS0_17block_load_methodE3ELS4_3ELS4_3ELNS0_20block_scan_algorithmE0ELj4294967295EEENS1_25partition_config_selectorILNS1_17partition_subalgoE4EjNS0_10empty_typeEbEEZZNS1_14partition_implILS8_4ELb0ES6_15HIP_vector_typeIjLj2EENS0_17counting_iteratorIjlEEPS9_SG_NS0_5tupleIJPjSI_NS0_16reverse_iteratorISI_EEEEENSH_IJSG_SG_SG_EEES9_SI_JZNS1_25segmented_radix_sort_implINS0_14default_configELb0EPK12hip_bfloat16PSP_PKlPlN2at6native12_GLOBAL__N_18offset_tEEE10hipError_tPvRmT1_PNSt15iterator_traitsIS13_E10value_typeET2_T3_PNS14_IS19_E10value_typeET4_jRbjT5_S1F_jjP12ihipStream_tbEUljE_ZNSN_ISO_Lb0ESR_SS_SU_SV_SZ_EES10_S11_S12_S13_S17_S18_S19_S1C_S1D_jS1E_jS1F_S1F_jjS1H_bEUljE0_EEES10_S11_S12_S19_S1D_S1F_T6_T7_T9_mT8_S1H_bDpT10_ENKUlT_T0_E_clISt17integral_constantIbLb1EES1U_IbLb0EEEEDaS1Q_S1R_EUlS1Q_E_NS1_11comp_targetILNS1_3genE3ELNS1_11target_archE908ELNS1_3gpuE7ELNS1_3repE0EEENS1_30default_config_static_selectorELNS0_4arch9wavefront6targetE0EEEvS13_.has_recursion, 0
	.set _ZN7rocprim17ROCPRIM_400000_NS6detail17trampoline_kernelINS0_13select_configILj256ELj13ELNS0_17block_load_methodE3ELS4_3ELS4_3ELNS0_20block_scan_algorithmE0ELj4294967295EEENS1_25partition_config_selectorILNS1_17partition_subalgoE4EjNS0_10empty_typeEbEEZZNS1_14partition_implILS8_4ELb0ES6_15HIP_vector_typeIjLj2EENS0_17counting_iteratorIjlEEPS9_SG_NS0_5tupleIJPjSI_NS0_16reverse_iteratorISI_EEEEENSH_IJSG_SG_SG_EEES9_SI_JZNS1_25segmented_radix_sort_implINS0_14default_configELb0EPK12hip_bfloat16PSP_PKlPlN2at6native12_GLOBAL__N_18offset_tEEE10hipError_tPvRmT1_PNSt15iterator_traitsIS13_E10value_typeET2_T3_PNS14_IS19_E10value_typeET4_jRbjT5_S1F_jjP12ihipStream_tbEUljE_ZNSN_ISO_Lb0ESR_SS_SU_SV_SZ_EES10_S11_S12_S13_S17_S18_S19_S1C_S1D_jS1E_jS1F_S1F_jjS1H_bEUljE0_EEES10_S11_S12_S19_S1D_S1F_T6_T7_T9_mT8_S1H_bDpT10_ENKUlT_T0_E_clISt17integral_constantIbLb1EES1U_IbLb0EEEEDaS1Q_S1R_EUlS1Q_E_NS1_11comp_targetILNS1_3genE3ELNS1_11target_archE908ELNS1_3gpuE7ELNS1_3repE0EEENS1_30default_config_static_selectorELNS0_4arch9wavefront6targetE0EEEvS13_.has_indirect_call, 0
	.section	.AMDGPU.csdata,"",@progbits
; Kernel info:
; codeLenInByte = 0
; TotalNumSgprs: 0
; NumVgprs: 0
; ScratchSize: 0
; MemoryBound: 0
; FloatMode: 240
; IeeeMode: 1
; LDSByteSize: 0 bytes/workgroup (compile time only)
; SGPRBlocks: 0
; VGPRBlocks: 0
; NumSGPRsForWavesPerEU: 1
; NumVGPRsForWavesPerEU: 1
; NamedBarCnt: 0
; Occupancy: 16
; WaveLimiterHint : 0
; COMPUTE_PGM_RSRC2:SCRATCH_EN: 0
; COMPUTE_PGM_RSRC2:USER_SGPR: 2
; COMPUTE_PGM_RSRC2:TRAP_HANDLER: 0
; COMPUTE_PGM_RSRC2:TGID_X_EN: 1
; COMPUTE_PGM_RSRC2:TGID_Y_EN: 0
; COMPUTE_PGM_RSRC2:TGID_Z_EN: 0
; COMPUTE_PGM_RSRC2:TIDIG_COMP_CNT: 0
	.section	.text._ZN7rocprim17ROCPRIM_400000_NS6detail17trampoline_kernelINS0_13select_configILj256ELj13ELNS0_17block_load_methodE3ELS4_3ELS4_3ELNS0_20block_scan_algorithmE0ELj4294967295EEENS1_25partition_config_selectorILNS1_17partition_subalgoE4EjNS0_10empty_typeEbEEZZNS1_14partition_implILS8_4ELb0ES6_15HIP_vector_typeIjLj2EENS0_17counting_iteratorIjlEEPS9_SG_NS0_5tupleIJPjSI_NS0_16reverse_iteratorISI_EEEEENSH_IJSG_SG_SG_EEES9_SI_JZNS1_25segmented_radix_sort_implINS0_14default_configELb0EPK12hip_bfloat16PSP_PKlPlN2at6native12_GLOBAL__N_18offset_tEEE10hipError_tPvRmT1_PNSt15iterator_traitsIS13_E10value_typeET2_T3_PNS14_IS19_E10value_typeET4_jRbjT5_S1F_jjP12ihipStream_tbEUljE_ZNSN_ISO_Lb0ESR_SS_SU_SV_SZ_EES10_S11_S12_S13_S17_S18_S19_S1C_S1D_jS1E_jS1F_S1F_jjS1H_bEUljE0_EEES10_S11_S12_S19_S1D_S1F_T6_T7_T9_mT8_S1H_bDpT10_ENKUlT_T0_E_clISt17integral_constantIbLb1EES1U_IbLb0EEEEDaS1Q_S1R_EUlS1Q_E_NS1_11comp_targetILNS1_3genE2ELNS1_11target_archE906ELNS1_3gpuE6ELNS1_3repE0EEENS1_30default_config_static_selectorELNS0_4arch9wavefront6targetE0EEEvS13_,"axG",@progbits,_ZN7rocprim17ROCPRIM_400000_NS6detail17trampoline_kernelINS0_13select_configILj256ELj13ELNS0_17block_load_methodE3ELS4_3ELS4_3ELNS0_20block_scan_algorithmE0ELj4294967295EEENS1_25partition_config_selectorILNS1_17partition_subalgoE4EjNS0_10empty_typeEbEEZZNS1_14partition_implILS8_4ELb0ES6_15HIP_vector_typeIjLj2EENS0_17counting_iteratorIjlEEPS9_SG_NS0_5tupleIJPjSI_NS0_16reverse_iteratorISI_EEEEENSH_IJSG_SG_SG_EEES9_SI_JZNS1_25segmented_radix_sort_implINS0_14default_configELb0EPK12hip_bfloat16PSP_PKlPlN2at6native12_GLOBAL__N_18offset_tEEE10hipError_tPvRmT1_PNSt15iterator_traitsIS13_E10value_typeET2_T3_PNS14_IS19_E10value_typeET4_jRbjT5_S1F_jjP12ihipStream_tbEUljE_ZNSN_ISO_Lb0ESR_SS_SU_SV_SZ_EES10_S11_S12_S13_S17_S18_S19_S1C_S1D_jS1E_jS1F_S1F_jjS1H_bEUljE0_EEES10_S11_S12_S19_S1D_S1F_T6_T7_T9_mT8_S1H_bDpT10_ENKUlT_T0_E_clISt17integral_constantIbLb1EES1U_IbLb0EEEEDaS1Q_S1R_EUlS1Q_E_NS1_11comp_targetILNS1_3genE2ELNS1_11target_archE906ELNS1_3gpuE6ELNS1_3repE0EEENS1_30default_config_static_selectorELNS0_4arch9wavefront6targetE0EEEvS13_,comdat
	.globl	_ZN7rocprim17ROCPRIM_400000_NS6detail17trampoline_kernelINS0_13select_configILj256ELj13ELNS0_17block_load_methodE3ELS4_3ELS4_3ELNS0_20block_scan_algorithmE0ELj4294967295EEENS1_25partition_config_selectorILNS1_17partition_subalgoE4EjNS0_10empty_typeEbEEZZNS1_14partition_implILS8_4ELb0ES6_15HIP_vector_typeIjLj2EENS0_17counting_iteratorIjlEEPS9_SG_NS0_5tupleIJPjSI_NS0_16reverse_iteratorISI_EEEEENSH_IJSG_SG_SG_EEES9_SI_JZNS1_25segmented_radix_sort_implINS0_14default_configELb0EPK12hip_bfloat16PSP_PKlPlN2at6native12_GLOBAL__N_18offset_tEEE10hipError_tPvRmT1_PNSt15iterator_traitsIS13_E10value_typeET2_T3_PNS14_IS19_E10value_typeET4_jRbjT5_S1F_jjP12ihipStream_tbEUljE_ZNSN_ISO_Lb0ESR_SS_SU_SV_SZ_EES10_S11_S12_S13_S17_S18_S19_S1C_S1D_jS1E_jS1F_S1F_jjS1H_bEUljE0_EEES10_S11_S12_S19_S1D_S1F_T6_T7_T9_mT8_S1H_bDpT10_ENKUlT_T0_E_clISt17integral_constantIbLb1EES1U_IbLb0EEEEDaS1Q_S1R_EUlS1Q_E_NS1_11comp_targetILNS1_3genE2ELNS1_11target_archE906ELNS1_3gpuE6ELNS1_3repE0EEENS1_30default_config_static_selectorELNS0_4arch9wavefront6targetE0EEEvS13_ ; -- Begin function _ZN7rocprim17ROCPRIM_400000_NS6detail17trampoline_kernelINS0_13select_configILj256ELj13ELNS0_17block_load_methodE3ELS4_3ELS4_3ELNS0_20block_scan_algorithmE0ELj4294967295EEENS1_25partition_config_selectorILNS1_17partition_subalgoE4EjNS0_10empty_typeEbEEZZNS1_14partition_implILS8_4ELb0ES6_15HIP_vector_typeIjLj2EENS0_17counting_iteratorIjlEEPS9_SG_NS0_5tupleIJPjSI_NS0_16reverse_iteratorISI_EEEEENSH_IJSG_SG_SG_EEES9_SI_JZNS1_25segmented_radix_sort_implINS0_14default_configELb0EPK12hip_bfloat16PSP_PKlPlN2at6native12_GLOBAL__N_18offset_tEEE10hipError_tPvRmT1_PNSt15iterator_traitsIS13_E10value_typeET2_T3_PNS14_IS19_E10value_typeET4_jRbjT5_S1F_jjP12ihipStream_tbEUljE_ZNSN_ISO_Lb0ESR_SS_SU_SV_SZ_EES10_S11_S12_S13_S17_S18_S19_S1C_S1D_jS1E_jS1F_S1F_jjS1H_bEUljE0_EEES10_S11_S12_S19_S1D_S1F_T6_T7_T9_mT8_S1H_bDpT10_ENKUlT_T0_E_clISt17integral_constantIbLb1EES1U_IbLb0EEEEDaS1Q_S1R_EUlS1Q_E_NS1_11comp_targetILNS1_3genE2ELNS1_11target_archE906ELNS1_3gpuE6ELNS1_3repE0EEENS1_30default_config_static_selectorELNS0_4arch9wavefront6targetE0EEEvS13_
	.p2align	8
	.type	_ZN7rocprim17ROCPRIM_400000_NS6detail17trampoline_kernelINS0_13select_configILj256ELj13ELNS0_17block_load_methodE3ELS4_3ELS4_3ELNS0_20block_scan_algorithmE0ELj4294967295EEENS1_25partition_config_selectorILNS1_17partition_subalgoE4EjNS0_10empty_typeEbEEZZNS1_14partition_implILS8_4ELb0ES6_15HIP_vector_typeIjLj2EENS0_17counting_iteratorIjlEEPS9_SG_NS0_5tupleIJPjSI_NS0_16reverse_iteratorISI_EEEEENSH_IJSG_SG_SG_EEES9_SI_JZNS1_25segmented_radix_sort_implINS0_14default_configELb0EPK12hip_bfloat16PSP_PKlPlN2at6native12_GLOBAL__N_18offset_tEEE10hipError_tPvRmT1_PNSt15iterator_traitsIS13_E10value_typeET2_T3_PNS14_IS19_E10value_typeET4_jRbjT5_S1F_jjP12ihipStream_tbEUljE_ZNSN_ISO_Lb0ESR_SS_SU_SV_SZ_EES10_S11_S12_S13_S17_S18_S19_S1C_S1D_jS1E_jS1F_S1F_jjS1H_bEUljE0_EEES10_S11_S12_S19_S1D_S1F_T6_T7_T9_mT8_S1H_bDpT10_ENKUlT_T0_E_clISt17integral_constantIbLb1EES1U_IbLb0EEEEDaS1Q_S1R_EUlS1Q_E_NS1_11comp_targetILNS1_3genE2ELNS1_11target_archE906ELNS1_3gpuE6ELNS1_3repE0EEENS1_30default_config_static_selectorELNS0_4arch9wavefront6targetE0EEEvS13_,@function
_ZN7rocprim17ROCPRIM_400000_NS6detail17trampoline_kernelINS0_13select_configILj256ELj13ELNS0_17block_load_methodE3ELS4_3ELS4_3ELNS0_20block_scan_algorithmE0ELj4294967295EEENS1_25partition_config_selectorILNS1_17partition_subalgoE4EjNS0_10empty_typeEbEEZZNS1_14partition_implILS8_4ELb0ES6_15HIP_vector_typeIjLj2EENS0_17counting_iteratorIjlEEPS9_SG_NS0_5tupleIJPjSI_NS0_16reverse_iteratorISI_EEEEENSH_IJSG_SG_SG_EEES9_SI_JZNS1_25segmented_radix_sort_implINS0_14default_configELb0EPK12hip_bfloat16PSP_PKlPlN2at6native12_GLOBAL__N_18offset_tEEE10hipError_tPvRmT1_PNSt15iterator_traitsIS13_E10value_typeET2_T3_PNS14_IS19_E10value_typeET4_jRbjT5_S1F_jjP12ihipStream_tbEUljE_ZNSN_ISO_Lb0ESR_SS_SU_SV_SZ_EES10_S11_S12_S13_S17_S18_S19_S1C_S1D_jS1E_jS1F_S1F_jjS1H_bEUljE0_EEES10_S11_S12_S19_S1D_S1F_T6_T7_T9_mT8_S1H_bDpT10_ENKUlT_T0_E_clISt17integral_constantIbLb1EES1U_IbLb0EEEEDaS1Q_S1R_EUlS1Q_E_NS1_11comp_targetILNS1_3genE2ELNS1_11target_archE906ELNS1_3gpuE6ELNS1_3repE0EEENS1_30default_config_static_selectorELNS0_4arch9wavefront6targetE0EEEvS13_: ; @_ZN7rocprim17ROCPRIM_400000_NS6detail17trampoline_kernelINS0_13select_configILj256ELj13ELNS0_17block_load_methodE3ELS4_3ELS4_3ELNS0_20block_scan_algorithmE0ELj4294967295EEENS1_25partition_config_selectorILNS1_17partition_subalgoE4EjNS0_10empty_typeEbEEZZNS1_14partition_implILS8_4ELb0ES6_15HIP_vector_typeIjLj2EENS0_17counting_iteratorIjlEEPS9_SG_NS0_5tupleIJPjSI_NS0_16reverse_iteratorISI_EEEEENSH_IJSG_SG_SG_EEES9_SI_JZNS1_25segmented_radix_sort_implINS0_14default_configELb0EPK12hip_bfloat16PSP_PKlPlN2at6native12_GLOBAL__N_18offset_tEEE10hipError_tPvRmT1_PNSt15iterator_traitsIS13_E10value_typeET2_T3_PNS14_IS19_E10value_typeET4_jRbjT5_S1F_jjP12ihipStream_tbEUljE_ZNSN_ISO_Lb0ESR_SS_SU_SV_SZ_EES10_S11_S12_S13_S17_S18_S19_S1C_S1D_jS1E_jS1F_S1F_jjS1H_bEUljE0_EEES10_S11_S12_S19_S1D_S1F_T6_T7_T9_mT8_S1H_bDpT10_ENKUlT_T0_E_clISt17integral_constantIbLb1EES1U_IbLb0EEEEDaS1Q_S1R_EUlS1Q_E_NS1_11comp_targetILNS1_3genE2ELNS1_11target_archE906ELNS1_3gpuE6ELNS1_3repE0EEENS1_30default_config_static_selectorELNS0_4arch9wavefront6targetE0EEEvS13_
; %bb.0:
	.section	.rodata,"a",@progbits
	.p2align	6, 0x0
	.amdhsa_kernel _ZN7rocprim17ROCPRIM_400000_NS6detail17trampoline_kernelINS0_13select_configILj256ELj13ELNS0_17block_load_methodE3ELS4_3ELS4_3ELNS0_20block_scan_algorithmE0ELj4294967295EEENS1_25partition_config_selectorILNS1_17partition_subalgoE4EjNS0_10empty_typeEbEEZZNS1_14partition_implILS8_4ELb0ES6_15HIP_vector_typeIjLj2EENS0_17counting_iteratorIjlEEPS9_SG_NS0_5tupleIJPjSI_NS0_16reverse_iteratorISI_EEEEENSH_IJSG_SG_SG_EEES9_SI_JZNS1_25segmented_radix_sort_implINS0_14default_configELb0EPK12hip_bfloat16PSP_PKlPlN2at6native12_GLOBAL__N_18offset_tEEE10hipError_tPvRmT1_PNSt15iterator_traitsIS13_E10value_typeET2_T3_PNS14_IS19_E10value_typeET4_jRbjT5_S1F_jjP12ihipStream_tbEUljE_ZNSN_ISO_Lb0ESR_SS_SU_SV_SZ_EES10_S11_S12_S13_S17_S18_S19_S1C_S1D_jS1E_jS1F_S1F_jjS1H_bEUljE0_EEES10_S11_S12_S19_S1D_S1F_T6_T7_T9_mT8_S1H_bDpT10_ENKUlT_T0_E_clISt17integral_constantIbLb1EES1U_IbLb0EEEEDaS1Q_S1R_EUlS1Q_E_NS1_11comp_targetILNS1_3genE2ELNS1_11target_archE906ELNS1_3gpuE6ELNS1_3repE0EEENS1_30default_config_static_selectorELNS0_4arch9wavefront6targetE0EEEvS13_
		.amdhsa_group_segment_fixed_size 0
		.amdhsa_private_segment_fixed_size 0
		.amdhsa_kernarg_size 176
		.amdhsa_user_sgpr_count 2
		.amdhsa_user_sgpr_dispatch_ptr 0
		.amdhsa_user_sgpr_queue_ptr 0
		.amdhsa_user_sgpr_kernarg_segment_ptr 1
		.amdhsa_user_sgpr_dispatch_id 0
		.amdhsa_user_sgpr_kernarg_preload_length 0
		.amdhsa_user_sgpr_kernarg_preload_offset 0
		.amdhsa_user_sgpr_private_segment_size 0
		.amdhsa_wavefront_size32 1
		.amdhsa_uses_dynamic_stack 0
		.amdhsa_enable_private_segment 0
		.amdhsa_system_sgpr_workgroup_id_x 1
		.amdhsa_system_sgpr_workgroup_id_y 0
		.amdhsa_system_sgpr_workgroup_id_z 0
		.amdhsa_system_sgpr_workgroup_info 0
		.amdhsa_system_vgpr_workitem_id 0
		.amdhsa_next_free_vgpr 1
		.amdhsa_next_free_sgpr 1
		.amdhsa_named_barrier_count 0
		.amdhsa_reserve_vcc 0
		.amdhsa_float_round_mode_32 0
		.amdhsa_float_round_mode_16_64 0
		.amdhsa_float_denorm_mode_32 3
		.amdhsa_float_denorm_mode_16_64 3
		.amdhsa_fp16_overflow 0
		.amdhsa_memory_ordered 1
		.amdhsa_forward_progress 1
		.amdhsa_inst_pref_size 0
		.amdhsa_round_robin_scheduling 0
		.amdhsa_exception_fp_ieee_invalid_op 0
		.amdhsa_exception_fp_denorm_src 0
		.amdhsa_exception_fp_ieee_div_zero 0
		.amdhsa_exception_fp_ieee_overflow 0
		.amdhsa_exception_fp_ieee_underflow 0
		.amdhsa_exception_fp_ieee_inexact 0
		.amdhsa_exception_int_div_zero 0
	.end_amdhsa_kernel
	.section	.text._ZN7rocprim17ROCPRIM_400000_NS6detail17trampoline_kernelINS0_13select_configILj256ELj13ELNS0_17block_load_methodE3ELS4_3ELS4_3ELNS0_20block_scan_algorithmE0ELj4294967295EEENS1_25partition_config_selectorILNS1_17partition_subalgoE4EjNS0_10empty_typeEbEEZZNS1_14partition_implILS8_4ELb0ES6_15HIP_vector_typeIjLj2EENS0_17counting_iteratorIjlEEPS9_SG_NS0_5tupleIJPjSI_NS0_16reverse_iteratorISI_EEEEENSH_IJSG_SG_SG_EEES9_SI_JZNS1_25segmented_radix_sort_implINS0_14default_configELb0EPK12hip_bfloat16PSP_PKlPlN2at6native12_GLOBAL__N_18offset_tEEE10hipError_tPvRmT1_PNSt15iterator_traitsIS13_E10value_typeET2_T3_PNS14_IS19_E10value_typeET4_jRbjT5_S1F_jjP12ihipStream_tbEUljE_ZNSN_ISO_Lb0ESR_SS_SU_SV_SZ_EES10_S11_S12_S13_S17_S18_S19_S1C_S1D_jS1E_jS1F_S1F_jjS1H_bEUljE0_EEES10_S11_S12_S19_S1D_S1F_T6_T7_T9_mT8_S1H_bDpT10_ENKUlT_T0_E_clISt17integral_constantIbLb1EES1U_IbLb0EEEEDaS1Q_S1R_EUlS1Q_E_NS1_11comp_targetILNS1_3genE2ELNS1_11target_archE906ELNS1_3gpuE6ELNS1_3repE0EEENS1_30default_config_static_selectorELNS0_4arch9wavefront6targetE0EEEvS13_,"axG",@progbits,_ZN7rocprim17ROCPRIM_400000_NS6detail17trampoline_kernelINS0_13select_configILj256ELj13ELNS0_17block_load_methodE3ELS4_3ELS4_3ELNS0_20block_scan_algorithmE0ELj4294967295EEENS1_25partition_config_selectorILNS1_17partition_subalgoE4EjNS0_10empty_typeEbEEZZNS1_14partition_implILS8_4ELb0ES6_15HIP_vector_typeIjLj2EENS0_17counting_iteratorIjlEEPS9_SG_NS0_5tupleIJPjSI_NS0_16reverse_iteratorISI_EEEEENSH_IJSG_SG_SG_EEES9_SI_JZNS1_25segmented_radix_sort_implINS0_14default_configELb0EPK12hip_bfloat16PSP_PKlPlN2at6native12_GLOBAL__N_18offset_tEEE10hipError_tPvRmT1_PNSt15iterator_traitsIS13_E10value_typeET2_T3_PNS14_IS19_E10value_typeET4_jRbjT5_S1F_jjP12ihipStream_tbEUljE_ZNSN_ISO_Lb0ESR_SS_SU_SV_SZ_EES10_S11_S12_S13_S17_S18_S19_S1C_S1D_jS1E_jS1F_S1F_jjS1H_bEUljE0_EEES10_S11_S12_S19_S1D_S1F_T6_T7_T9_mT8_S1H_bDpT10_ENKUlT_T0_E_clISt17integral_constantIbLb1EES1U_IbLb0EEEEDaS1Q_S1R_EUlS1Q_E_NS1_11comp_targetILNS1_3genE2ELNS1_11target_archE906ELNS1_3gpuE6ELNS1_3repE0EEENS1_30default_config_static_selectorELNS0_4arch9wavefront6targetE0EEEvS13_,comdat
.Lfunc_end1995:
	.size	_ZN7rocprim17ROCPRIM_400000_NS6detail17trampoline_kernelINS0_13select_configILj256ELj13ELNS0_17block_load_methodE3ELS4_3ELS4_3ELNS0_20block_scan_algorithmE0ELj4294967295EEENS1_25partition_config_selectorILNS1_17partition_subalgoE4EjNS0_10empty_typeEbEEZZNS1_14partition_implILS8_4ELb0ES6_15HIP_vector_typeIjLj2EENS0_17counting_iteratorIjlEEPS9_SG_NS0_5tupleIJPjSI_NS0_16reverse_iteratorISI_EEEEENSH_IJSG_SG_SG_EEES9_SI_JZNS1_25segmented_radix_sort_implINS0_14default_configELb0EPK12hip_bfloat16PSP_PKlPlN2at6native12_GLOBAL__N_18offset_tEEE10hipError_tPvRmT1_PNSt15iterator_traitsIS13_E10value_typeET2_T3_PNS14_IS19_E10value_typeET4_jRbjT5_S1F_jjP12ihipStream_tbEUljE_ZNSN_ISO_Lb0ESR_SS_SU_SV_SZ_EES10_S11_S12_S13_S17_S18_S19_S1C_S1D_jS1E_jS1F_S1F_jjS1H_bEUljE0_EEES10_S11_S12_S19_S1D_S1F_T6_T7_T9_mT8_S1H_bDpT10_ENKUlT_T0_E_clISt17integral_constantIbLb1EES1U_IbLb0EEEEDaS1Q_S1R_EUlS1Q_E_NS1_11comp_targetILNS1_3genE2ELNS1_11target_archE906ELNS1_3gpuE6ELNS1_3repE0EEENS1_30default_config_static_selectorELNS0_4arch9wavefront6targetE0EEEvS13_, .Lfunc_end1995-_ZN7rocprim17ROCPRIM_400000_NS6detail17trampoline_kernelINS0_13select_configILj256ELj13ELNS0_17block_load_methodE3ELS4_3ELS4_3ELNS0_20block_scan_algorithmE0ELj4294967295EEENS1_25partition_config_selectorILNS1_17partition_subalgoE4EjNS0_10empty_typeEbEEZZNS1_14partition_implILS8_4ELb0ES6_15HIP_vector_typeIjLj2EENS0_17counting_iteratorIjlEEPS9_SG_NS0_5tupleIJPjSI_NS0_16reverse_iteratorISI_EEEEENSH_IJSG_SG_SG_EEES9_SI_JZNS1_25segmented_radix_sort_implINS0_14default_configELb0EPK12hip_bfloat16PSP_PKlPlN2at6native12_GLOBAL__N_18offset_tEEE10hipError_tPvRmT1_PNSt15iterator_traitsIS13_E10value_typeET2_T3_PNS14_IS19_E10value_typeET4_jRbjT5_S1F_jjP12ihipStream_tbEUljE_ZNSN_ISO_Lb0ESR_SS_SU_SV_SZ_EES10_S11_S12_S13_S17_S18_S19_S1C_S1D_jS1E_jS1F_S1F_jjS1H_bEUljE0_EEES10_S11_S12_S19_S1D_S1F_T6_T7_T9_mT8_S1H_bDpT10_ENKUlT_T0_E_clISt17integral_constantIbLb1EES1U_IbLb0EEEEDaS1Q_S1R_EUlS1Q_E_NS1_11comp_targetILNS1_3genE2ELNS1_11target_archE906ELNS1_3gpuE6ELNS1_3repE0EEENS1_30default_config_static_selectorELNS0_4arch9wavefront6targetE0EEEvS13_
                                        ; -- End function
	.set _ZN7rocprim17ROCPRIM_400000_NS6detail17trampoline_kernelINS0_13select_configILj256ELj13ELNS0_17block_load_methodE3ELS4_3ELS4_3ELNS0_20block_scan_algorithmE0ELj4294967295EEENS1_25partition_config_selectorILNS1_17partition_subalgoE4EjNS0_10empty_typeEbEEZZNS1_14partition_implILS8_4ELb0ES6_15HIP_vector_typeIjLj2EENS0_17counting_iteratorIjlEEPS9_SG_NS0_5tupleIJPjSI_NS0_16reverse_iteratorISI_EEEEENSH_IJSG_SG_SG_EEES9_SI_JZNS1_25segmented_radix_sort_implINS0_14default_configELb0EPK12hip_bfloat16PSP_PKlPlN2at6native12_GLOBAL__N_18offset_tEEE10hipError_tPvRmT1_PNSt15iterator_traitsIS13_E10value_typeET2_T3_PNS14_IS19_E10value_typeET4_jRbjT5_S1F_jjP12ihipStream_tbEUljE_ZNSN_ISO_Lb0ESR_SS_SU_SV_SZ_EES10_S11_S12_S13_S17_S18_S19_S1C_S1D_jS1E_jS1F_S1F_jjS1H_bEUljE0_EEES10_S11_S12_S19_S1D_S1F_T6_T7_T9_mT8_S1H_bDpT10_ENKUlT_T0_E_clISt17integral_constantIbLb1EES1U_IbLb0EEEEDaS1Q_S1R_EUlS1Q_E_NS1_11comp_targetILNS1_3genE2ELNS1_11target_archE906ELNS1_3gpuE6ELNS1_3repE0EEENS1_30default_config_static_selectorELNS0_4arch9wavefront6targetE0EEEvS13_.num_vgpr, 0
	.set _ZN7rocprim17ROCPRIM_400000_NS6detail17trampoline_kernelINS0_13select_configILj256ELj13ELNS0_17block_load_methodE3ELS4_3ELS4_3ELNS0_20block_scan_algorithmE0ELj4294967295EEENS1_25partition_config_selectorILNS1_17partition_subalgoE4EjNS0_10empty_typeEbEEZZNS1_14partition_implILS8_4ELb0ES6_15HIP_vector_typeIjLj2EENS0_17counting_iteratorIjlEEPS9_SG_NS0_5tupleIJPjSI_NS0_16reverse_iteratorISI_EEEEENSH_IJSG_SG_SG_EEES9_SI_JZNS1_25segmented_radix_sort_implINS0_14default_configELb0EPK12hip_bfloat16PSP_PKlPlN2at6native12_GLOBAL__N_18offset_tEEE10hipError_tPvRmT1_PNSt15iterator_traitsIS13_E10value_typeET2_T3_PNS14_IS19_E10value_typeET4_jRbjT5_S1F_jjP12ihipStream_tbEUljE_ZNSN_ISO_Lb0ESR_SS_SU_SV_SZ_EES10_S11_S12_S13_S17_S18_S19_S1C_S1D_jS1E_jS1F_S1F_jjS1H_bEUljE0_EEES10_S11_S12_S19_S1D_S1F_T6_T7_T9_mT8_S1H_bDpT10_ENKUlT_T0_E_clISt17integral_constantIbLb1EES1U_IbLb0EEEEDaS1Q_S1R_EUlS1Q_E_NS1_11comp_targetILNS1_3genE2ELNS1_11target_archE906ELNS1_3gpuE6ELNS1_3repE0EEENS1_30default_config_static_selectorELNS0_4arch9wavefront6targetE0EEEvS13_.num_agpr, 0
	.set _ZN7rocprim17ROCPRIM_400000_NS6detail17trampoline_kernelINS0_13select_configILj256ELj13ELNS0_17block_load_methodE3ELS4_3ELS4_3ELNS0_20block_scan_algorithmE0ELj4294967295EEENS1_25partition_config_selectorILNS1_17partition_subalgoE4EjNS0_10empty_typeEbEEZZNS1_14partition_implILS8_4ELb0ES6_15HIP_vector_typeIjLj2EENS0_17counting_iteratorIjlEEPS9_SG_NS0_5tupleIJPjSI_NS0_16reverse_iteratorISI_EEEEENSH_IJSG_SG_SG_EEES9_SI_JZNS1_25segmented_radix_sort_implINS0_14default_configELb0EPK12hip_bfloat16PSP_PKlPlN2at6native12_GLOBAL__N_18offset_tEEE10hipError_tPvRmT1_PNSt15iterator_traitsIS13_E10value_typeET2_T3_PNS14_IS19_E10value_typeET4_jRbjT5_S1F_jjP12ihipStream_tbEUljE_ZNSN_ISO_Lb0ESR_SS_SU_SV_SZ_EES10_S11_S12_S13_S17_S18_S19_S1C_S1D_jS1E_jS1F_S1F_jjS1H_bEUljE0_EEES10_S11_S12_S19_S1D_S1F_T6_T7_T9_mT8_S1H_bDpT10_ENKUlT_T0_E_clISt17integral_constantIbLb1EES1U_IbLb0EEEEDaS1Q_S1R_EUlS1Q_E_NS1_11comp_targetILNS1_3genE2ELNS1_11target_archE906ELNS1_3gpuE6ELNS1_3repE0EEENS1_30default_config_static_selectorELNS0_4arch9wavefront6targetE0EEEvS13_.numbered_sgpr, 0
	.set _ZN7rocprim17ROCPRIM_400000_NS6detail17trampoline_kernelINS0_13select_configILj256ELj13ELNS0_17block_load_methodE3ELS4_3ELS4_3ELNS0_20block_scan_algorithmE0ELj4294967295EEENS1_25partition_config_selectorILNS1_17partition_subalgoE4EjNS0_10empty_typeEbEEZZNS1_14partition_implILS8_4ELb0ES6_15HIP_vector_typeIjLj2EENS0_17counting_iteratorIjlEEPS9_SG_NS0_5tupleIJPjSI_NS0_16reverse_iteratorISI_EEEEENSH_IJSG_SG_SG_EEES9_SI_JZNS1_25segmented_radix_sort_implINS0_14default_configELb0EPK12hip_bfloat16PSP_PKlPlN2at6native12_GLOBAL__N_18offset_tEEE10hipError_tPvRmT1_PNSt15iterator_traitsIS13_E10value_typeET2_T3_PNS14_IS19_E10value_typeET4_jRbjT5_S1F_jjP12ihipStream_tbEUljE_ZNSN_ISO_Lb0ESR_SS_SU_SV_SZ_EES10_S11_S12_S13_S17_S18_S19_S1C_S1D_jS1E_jS1F_S1F_jjS1H_bEUljE0_EEES10_S11_S12_S19_S1D_S1F_T6_T7_T9_mT8_S1H_bDpT10_ENKUlT_T0_E_clISt17integral_constantIbLb1EES1U_IbLb0EEEEDaS1Q_S1R_EUlS1Q_E_NS1_11comp_targetILNS1_3genE2ELNS1_11target_archE906ELNS1_3gpuE6ELNS1_3repE0EEENS1_30default_config_static_selectorELNS0_4arch9wavefront6targetE0EEEvS13_.num_named_barrier, 0
	.set _ZN7rocprim17ROCPRIM_400000_NS6detail17trampoline_kernelINS0_13select_configILj256ELj13ELNS0_17block_load_methodE3ELS4_3ELS4_3ELNS0_20block_scan_algorithmE0ELj4294967295EEENS1_25partition_config_selectorILNS1_17partition_subalgoE4EjNS0_10empty_typeEbEEZZNS1_14partition_implILS8_4ELb0ES6_15HIP_vector_typeIjLj2EENS0_17counting_iteratorIjlEEPS9_SG_NS0_5tupleIJPjSI_NS0_16reverse_iteratorISI_EEEEENSH_IJSG_SG_SG_EEES9_SI_JZNS1_25segmented_radix_sort_implINS0_14default_configELb0EPK12hip_bfloat16PSP_PKlPlN2at6native12_GLOBAL__N_18offset_tEEE10hipError_tPvRmT1_PNSt15iterator_traitsIS13_E10value_typeET2_T3_PNS14_IS19_E10value_typeET4_jRbjT5_S1F_jjP12ihipStream_tbEUljE_ZNSN_ISO_Lb0ESR_SS_SU_SV_SZ_EES10_S11_S12_S13_S17_S18_S19_S1C_S1D_jS1E_jS1F_S1F_jjS1H_bEUljE0_EEES10_S11_S12_S19_S1D_S1F_T6_T7_T9_mT8_S1H_bDpT10_ENKUlT_T0_E_clISt17integral_constantIbLb1EES1U_IbLb0EEEEDaS1Q_S1R_EUlS1Q_E_NS1_11comp_targetILNS1_3genE2ELNS1_11target_archE906ELNS1_3gpuE6ELNS1_3repE0EEENS1_30default_config_static_selectorELNS0_4arch9wavefront6targetE0EEEvS13_.private_seg_size, 0
	.set _ZN7rocprim17ROCPRIM_400000_NS6detail17trampoline_kernelINS0_13select_configILj256ELj13ELNS0_17block_load_methodE3ELS4_3ELS4_3ELNS0_20block_scan_algorithmE0ELj4294967295EEENS1_25partition_config_selectorILNS1_17partition_subalgoE4EjNS0_10empty_typeEbEEZZNS1_14partition_implILS8_4ELb0ES6_15HIP_vector_typeIjLj2EENS0_17counting_iteratorIjlEEPS9_SG_NS0_5tupleIJPjSI_NS0_16reverse_iteratorISI_EEEEENSH_IJSG_SG_SG_EEES9_SI_JZNS1_25segmented_radix_sort_implINS0_14default_configELb0EPK12hip_bfloat16PSP_PKlPlN2at6native12_GLOBAL__N_18offset_tEEE10hipError_tPvRmT1_PNSt15iterator_traitsIS13_E10value_typeET2_T3_PNS14_IS19_E10value_typeET4_jRbjT5_S1F_jjP12ihipStream_tbEUljE_ZNSN_ISO_Lb0ESR_SS_SU_SV_SZ_EES10_S11_S12_S13_S17_S18_S19_S1C_S1D_jS1E_jS1F_S1F_jjS1H_bEUljE0_EEES10_S11_S12_S19_S1D_S1F_T6_T7_T9_mT8_S1H_bDpT10_ENKUlT_T0_E_clISt17integral_constantIbLb1EES1U_IbLb0EEEEDaS1Q_S1R_EUlS1Q_E_NS1_11comp_targetILNS1_3genE2ELNS1_11target_archE906ELNS1_3gpuE6ELNS1_3repE0EEENS1_30default_config_static_selectorELNS0_4arch9wavefront6targetE0EEEvS13_.uses_vcc, 0
	.set _ZN7rocprim17ROCPRIM_400000_NS6detail17trampoline_kernelINS0_13select_configILj256ELj13ELNS0_17block_load_methodE3ELS4_3ELS4_3ELNS0_20block_scan_algorithmE0ELj4294967295EEENS1_25partition_config_selectorILNS1_17partition_subalgoE4EjNS0_10empty_typeEbEEZZNS1_14partition_implILS8_4ELb0ES6_15HIP_vector_typeIjLj2EENS0_17counting_iteratorIjlEEPS9_SG_NS0_5tupleIJPjSI_NS0_16reverse_iteratorISI_EEEEENSH_IJSG_SG_SG_EEES9_SI_JZNS1_25segmented_radix_sort_implINS0_14default_configELb0EPK12hip_bfloat16PSP_PKlPlN2at6native12_GLOBAL__N_18offset_tEEE10hipError_tPvRmT1_PNSt15iterator_traitsIS13_E10value_typeET2_T3_PNS14_IS19_E10value_typeET4_jRbjT5_S1F_jjP12ihipStream_tbEUljE_ZNSN_ISO_Lb0ESR_SS_SU_SV_SZ_EES10_S11_S12_S13_S17_S18_S19_S1C_S1D_jS1E_jS1F_S1F_jjS1H_bEUljE0_EEES10_S11_S12_S19_S1D_S1F_T6_T7_T9_mT8_S1H_bDpT10_ENKUlT_T0_E_clISt17integral_constantIbLb1EES1U_IbLb0EEEEDaS1Q_S1R_EUlS1Q_E_NS1_11comp_targetILNS1_3genE2ELNS1_11target_archE906ELNS1_3gpuE6ELNS1_3repE0EEENS1_30default_config_static_selectorELNS0_4arch9wavefront6targetE0EEEvS13_.uses_flat_scratch, 0
	.set _ZN7rocprim17ROCPRIM_400000_NS6detail17trampoline_kernelINS0_13select_configILj256ELj13ELNS0_17block_load_methodE3ELS4_3ELS4_3ELNS0_20block_scan_algorithmE0ELj4294967295EEENS1_25partition_config_selectorILNS1_17partition_subalgoE4EjNS0_10empty_typeEbEEZZNS1_14partition_implILS8_4ELb0ES6_15HIP_vector_typeIjLj2EENS0_17counting_iteratorIjlEEPS9_SG_NS0_5tupleIJPjSI_NS0_16reverse_iteratorISI_EEEEENSH_IJSG_SG_SG_EEES9_SI_JZNS1_25segmented_radix_sort_implINS0_14default_configELb0EPK12hip_bfloat16PSP_PKlPlN2at6native12_GLOBAL__N_18offset_tEEE10hipError_tPvRmT1_PNSt15iterator_traitsIS13_E10value_typeET2_T3_PNS14_IS19_E10value_typeET4_jRbjT5_S1F_jjP12ihipStream_tbEUljE_ZNSN_ISO_Lb0ESR_SS_SU_SV_SZ_EES10_S11_S12_S13_S17_S18_S19_S1C_S1D_jS1E_jS1F_S1F_jjS1H_bEUljE0_EEES10_S11_S12_S19_S1D_S1F_T6_T7_T9_mT8_S1H_bDpT10_ENKUlT_T0_E_clISt17integral_constantIbLb1EES1U_IbLb0EEEEDaS1Q_S1R_EUlS1Q_E_NS1_11comp_targetILNS1_3genE2ELNS1_11target_archE906ELNS1_3gpuE6ELNS1_3repE0EEENS1_30default_config_static_selectorELNS0_4arch9wavefront6targetE0EEEvS13_.has_dyn_sized_stack, 0
	.set _ZN7rocprim17ROCPRIM_400000_NS6detail17trampoline_kernelINS0_13select_configILj256ELj13ELNS0_17block_load_methodE3ELS4_3ELS4_3ELNS0_20block_scan_algorithmE0ELj4294967295EEENS1_25partition_config_selectorILNS1_17partition_subalgoE4EjNS0_10empty_typeEbEEZZNS1_14partition_implILS8_4ELb0ES6_15HIP_vector_typeIjLj2EENS0_17counting_iteratorIjlEEPS9_SG_NS0_5tupleIJPjSI_NS0_16reverse_iteratorISI_EEEEENSH_IJSG_SG_SG_EEES9_SI_JZNS1_25segmented_radix_sort_implINS0_14default_configELb0EPK12hip_bfloat16PSP_PKlPlN2at6native12_GLOBAL__N_18offset_tEEE10hipError_tPvRmT1_PNSt15iterator_traitsIS13_E10value_typeET2_T3_PNS14_IS19_E10value_typeET4_jRbjT5_S1F_jjP12ihipStream_tbEUljE_ZNSN_ISO_Lb0ESR_SS_SU_SV_SZ_EES10_S11_S12_S13_S17_S18_S19_S1C_S1D_jS1E_jS1F_S1F_jjS1H_bEUljE0_EEES10_S11_S12_S19_S1D_S1F_T6_T7_T9_mT8_S1H_bDpT10_ENKUlT_T0_E_clISt17integral_constantIbLb1EES1U_IbLb0EEEEDaS1Q_S1R_EUlS1Q_E_NS1_11comp_targetILNS1_3genE2ELNS1_11target_archE906ELNS1_3gpuE6ELNS1_3repE0EEENS1_30default_config_static_selectorELNS0_4arch9wavefront6targetE0EEEvS13_.has_recursion, 0
	.set _ZN7rocprim17ROCPRIM_400000_NS6detail17trampoline_kernelINS0_13select_configILj256ELj13ELNS0_17block_load_methodE3ELS4_3ELS4_3ELNS0_20block_scan_algorithmE0ELj4294967295EEENS1_25partition_config_selectorILNS1_17partition_subalgoE4EjNS0_10empty_typeEbEEZZNS1_14partition_implILS8_4ELb0ES6_15HIP_vector_typeIjLj2EENS0_17counting_iteratorIjlEEPS9_SG_NS0_5tupleIJPjSI_NS0_16reverse_iteratorISI_EEEEENSH_IJSG_SG_SG_EEES9_SI_JZNS1_25segmented_radix_sort_implINS0_14default_configELb0EPK12hip_bfloat16PSP_PKlPlN2at6native12_GLOBAL__N_18offset_tEEE10hipError_tPvRmT1_PNSt15iterator_traitsIS13_E10value_typeET2_T3_PNS14_IS19_E10value_typeET4_jRbjT5_S1F_jjP12ihipStream_tbEUljE_ZNSN_ISO_Lb0ESR_SS_SU_SV_SZ_EES10_S11_S12_S13_S17_S18_S19_S1C_S1D_jS1E_jS1F_S1F_jjS1H_bEUljE0_EEES10_S11_S12_S19_S1D_S1F_T6_T7_T9_mT8_S1H_bDpT10_ENKUlT_T0_E_clISt17integral_constantIbLb1EES1U_IbLb0EEEEDaS1Q_S1R_EUlS1Q_E_NS1_11comp_targetILNS1_3genE2ELNS1_11target_archE906ELNS1_3gpuE6ELNS1_3repE0EEENS1_30default_config_static_selectorELNS0_4arch9wavefront6targetE0EEEvS13_.has_indirect_call, 0
	.section	.AMDGPU.csdata,"",@progbits
; Kernel info:
; codeLenInByte = 0
; TotalNumSgprs: 0
; NumVgprs: 0
; ScratchSize: 0
; MemoryBound: 0
; FloatMode: 240
; IeeeMode: 1
; LDSByteSize: 0 bytes/workgroup (compile time only)
; SGPRBlocks: 0
; VGPRBlocks: 0
; NumSGPRsForWavesPerEU: 1
; NumVGPRsForWavesPerEU: 1
; NamedBarCnt: 0
; Occupancy: 16
; WaveLimiterHint : 0
; COMPUTE_PGM_RSRC2:SCRATCH_EN: 0
; COMPUTE_PGM_RSRC2:USER_SGPR: 2
; COMPUTE_PGM_RSRC2:TRAP_HANDLER: 0
; COMPUTE_PGM_RSRC2:TGID_X_EN: 1
; COMPUTE_PGM_RSRC2:TGID_Y_EN: 0
; COMPUTE_PGM_RSRC2:TGID_Z_EN: 0
; COMPUTE_PGM_RSRC2:TIDIG_COMP_CNT: 0
	.section	.text._ZN7rocprim17ROCPRIM_400000_NS6detail17trampoline_kernelINS0_13select_configILj256ELj13ELNS0_17block_load_methodE3ELS4_3ELS4_3ELNS0_20block_scan_algorithmE0ELj4294967295EEENS1_25partition_config_selectorILNS1_17partition_subalgoE4EjNS0_10empty_typeEbEEZZNS1_14partition_implILS8_4ELb0ES6_15HIP_vector_typeIjLj2EENS0_17counting_iteratorIjlEEPS9_SG_NS0_5tupleIJPjSI_NS0_16reverse_iteratorISI_EEEEENSH_IJSG_SG_SG_EEES9_SI_JZNS1_25segmented_radix_sort_implINS0_14default_configELb0EPK12hip_bfloat16PSP_PKlPlN2at6native12_GLOBAL__N_18offset_tEEE10hipError_tPvRmT1_PNSt15iterator_traitsIS13_E10value_typeET2_T3_PNS14_IS19_E10value_typeET4_jRbjT5_S1F_jjP12ihipStream_tbEUljE_ZNSN_ISO_Lb0ESR_SS_SU_SV_SZ_EES10_S11_S12_S13_S17_S18_S19_S1C_S1D_jS1E_jS1F_S1F_jjS1H_bEUljE0_EEES10_S11_S12_S19_S1D_S1F_T6_T7_T9_mT8_S1H_bDpT10_ENKUlT_T0_E_clISt17integral_constantIbLb1EES1U_IbLb0EEEEDaS1Q_S1R_EUlS1Q_E_NS1_11comp_targetILNS1_3genE10ELNS1_11target_archE1200ELNS1_3gpuE4ELNS1_3repE0EEENS1_30default_config_static_selectorELNS0_4arch9wavefront6targetE0EEEvS13_,"axG",@progbits,_ZN7rocprim17ROCPRIM_400000_NS6detail17trampoline_kernelINS0_13select_configILj256ELj13ELNS0_17block_load_methodE3ELS4_3ELS4_3ELNS0_20block_scan_algorithmE0ELj4294967295EEENS1_25partition_config_selectorILNS1_17partition_subalgoE4EjNS0_10empty_typeEbEEZZNS1_14partition_implILS8_4ELb0ES6_15HIP_vector_typeIjLj2EENS0_17counting_iteratorIjlEEPS9_SG_NS0_5tupleIJPjSI_NS0_16reverse_iteratorISI_EEEEENSH_IJSG_SG_SG_EEES9_SI_JZNS1_25segmented_radix_sort_implINS0_14default_configELb0EPK12hip_bfloat16PSP_PKlPlN2at6native12_GLOBAL__N_18offset_tEEE10hipError_tPvRmT1_PNSt15iterator_traitsIS13_E10value_typeET2_T3_PNS14_IS19_E10value_typeET4_jRbjT5_S1F_jjP12ihipStream_tbEUljE_ZNSN_ISO_Lb0ESR_SS_SU_SV_SZ_EES10_S11_S12_S13_S17_S18_S19_S1C_S1D_jS1E_jS1F_S1F_jjS1H_bEUljE0_EEES10_S11_S12_S19_S1D_S1F_T6_T7_T9_mT8_S1H_bDpT10_ENKUlT_T0_E_clISt17integral_constantIbLb1EES1U_IbLb0EEEEDaS1Q_S1R_EUlS1Q_E_NS1_11comp_targetILNS1_3genE10ELNS1_11target_archE1200ELNS1_3gpuE4ELNS1_3repE0EEENS1_30default_config_static_selectorELNS0_4arch9wavefront6targetE0EEEvS13_,comdat
	.globl	_ZN7rocprim17ROCPRIM_400000_NS6detail17trampoline_kernelINS0_13select_configILj256ELj13ELNS0_17block_load_methodE3ELS4_3ELS4_3ELNS0_20block_scan_algorithmE0ELj4294967295EEENS1_25partition_config_selectorILNS1_17partition_subalgoE4EjNS0_10empty_typeEbEEZZNS1_14partition_implILS8_4ELb0ES6_15HIP_vector_typeIjLj2EENS0_17counting_iteratorIjlEEPS9_SG_NS0_5tupleIJPjSI_NS0_16reverse_iteratorISI_EEEEENSH_IJSG_SG_SG_EEES9_SI_JZNS1_25segmented_radix_sort_implINS0_14default_configELb0EPK12hip_bfloat16PSP_PKlPlN2at6native12_GLOBAL__N_18offset_tEEE10hipError_tPvRmT1_PNSt15iterator_traitsIS13_E10value_typeET2_T3_PNS14_IS19_E10value_typeET4_jRbjT5_S1F_jjP12ihipStream_tbEUljE_ZNSN_ISO_Lb0ESR_SS_SU_SV_SZ_EES10_S11_S12_S13_S17_S18_S19_S1C_S1D_jS1E_jS1F_S1F_jjS1H_bEUljE0_EEES10_S11_S12_S19_S1D_S1F_T6_T7_T9_mT8_S1H_bDpT10_ENKUlT_T0_E_clISt17integral_constantIbLb1EES1U_IbLb0EEEEDaS1Q_S1R_EUlS1Q_E_NS1_11comp_targetILNS1_3genE10ELNS1_11target_archE1200ELNS1_3gpuE4ELNS1_3repE0EEENS1_30default_config_static_selectorELNS0_4arch9wavefront6targetE0EEEvS13_ ; -- Begin function _ZN7rocprim17ROCPRIM_400000_NS6detail17trampoline_kernelINS0_13select_configILj256ELj13ELNS0_17block_load_methodE3ELS4_3ELS4_3ELNS0_20block_scan_algorithmE0ELj4294967295EEENS1_25partition_config_selectorILNS1_17partition_subalgoE4EjNS0_10empty_typeEbEEZZNS1_14partition_implILS8_4ELb0ES6_15HIP_vector_typeIjLj2EENS0_17counting_iteratorIjlEEPS9_SG_NS0_5tupleIJPjSI_NS0_16reverse_iteratorISI_EEEEENSH_IJSG_SG_SG_EEES9_SI_JZNS1_25segmented_radix_sort_implINS0_14default_configELb0EPK12hip_bfloat16PSP_PKlPlN2at6native12_GLOBAL__N_18offset_tEEE10hipError_tPvRmT1_PNSt15iterator_traitsIS13_E10value_typeET2_T3_PNS14_IS19_E10value_typeET4_jRbjT5_S1F_jjP12ihipStream_tbEUljE_ZNSN_ISO_Lb0ESR_SS_SU_SV_SZ_EES10_S11_S12_S13_S17_S18_S19_S1C_S1D_jS1E_jS1F_S1F_jjS1H_bEUljE0_EEES10_S11_S12_S19_S1D_S1F_T6_T7_T9_mT8_S1H_bDpT10_ENKUlT_T0_E_clISt17integral_constantIbLb1EES1U_IbLb0EEEEDaS1Q_S1R_EUlS1Q_E_NS1_11comp_targetILNS1_3genE10ELNS1_11target_archE1200ELNS1_3gpuE4ELNS1_3repE0EEENS1_30default_config_static_selectorELNS0_4arch9wavefront6targetE0EEEvS13_
	.p2align	8
	.type	_ZN7rocprim17ROCPRIM_400000_NS6detail17trampoline_kernelINS0_13select_configILj256ELj13ELNS0_17block_load_methodE3ELS4_3ELS4_3ELNS0_20block_scan_algorithmE0ELj4294967295EEENS1_25partition_config_selectorILNS1_17partition_subalgoE4EjNS0_10empty_typeEbEEZZNS1_14partition_implILS8_4ELb0ES6_15HIP_vector_typeIjLj2EENS0_17counting_iteratorIjlEEPS9_SG_NS0_5tupleIJPjSI_NS0_16reverse_iteratorISI_EEEEENSH_IJSG_SG_SG_EEES9_SI_JZNS1_25segmented_radix_sort_implINS0_14default_configELb0EPK12hip_bfloat16PSP_PKlPlN2at6native12_GLOBAL__N_18offset_tEEE10hipError_tPvRmT1_PNSt15iterator_traitsIS13_E10value_typeET2_T3_PNS14_IS19_E10value_typeET4_jRbjT5_S1F_jjP12ihipStream_tbEUljE_ZNSN_ISO_Lb0ESR_SS_SU_SV_SZ_EES10_S11_S12_S13_S17_S18_S19_S1C_S1D_jS1E_jS1F_S1F_jjS1H_bEUljE0_EEES10_S11_S12_S19_S1D_S1F_T6_T7_T9_mT8_S1H_bDpT10_ENKUlT_T0_E_clISt17integral_constantIbLb1EES1U_IbLb0EEEEDaS1Q_S1R_EUlS1Q_E_NS1_11comp_targetILNS1_3genE10ELNS1_11target_archE1200ELNS1_3gpuE4ELNS1_3repE0EEENS1_30default_config_static_selectorELNS0_4arch9wavefront6targetE0EEEvS13_,@function
_ZN7rocprim17ROCPRIM_400000_NS6detail17trampoline_kernelINS0_13select_configILj256ELj13ELNS0_17block_load_methodE3ELS4_3ELS4_3ELNS0_20block_scan_algorithmE0ELj4294967295EEENS1_25partition_config_selectorILNS1_17partition_subalgoE4EjNS0_10empty_typeEbEEZZNS1_14partition_implILS8_4ELb0ES6_15HIP_vector_typeIjLj2EENS0_17counting_iteratorIjlEEPS9_SG_NS0_5tupleIJPjSI_NS0_16reverse_iteratorISI_EEEEENSH_IJSG_SG_SG_EEES9_SI_JZNS1_25segmented_radix_sort_implINS0_14default_configELb0EPK12hip_bfloat16PSP_PKlPlN2at6native12_GLOBAL__N_18offset_tEEE10hipError_tPvRmT1_PNSt15iterator_traitsIS13_E10value_typeET2_T3_PNS14_IS19_E10value_typeET4_jRbjT5_S1F_jjP12ihipStream_tbEUljE_ZNSN_ISO_Lb0ESR_SS_SU_SV_SZ_EES10_S11_S12_S13_S17_S18_S19_S1C_S1D_jS1E_jS1F_S1F_jjS1H_bEUljE0_EEES10_S11_S12_S19_S1D_S1F_T6_T7_T9_mT8_S1H_bDpT10_ENKUlT_T0_E_clISt17integral_constantIbLb1EES1U_IbLb0EEEEDaS1Q_S1R_EUlS1Q_E_NS1_11comp_targetILNS1_3genE10ELNS1_11target_archE1200ELNS1_3gpuE4ELNS1_3repE0EEENS1_30default_config_static_selectorELNS0_4arch9wavefront6targetE0EEEvS13_: ; @_ZN7rocprim17ROCPRIM_400000_NS6detail17trampoline_kernelINS0_13select_configILj256ELj13ELNS0_17block_load_methodE3ELS4_3ELS4_3ELNS0_20block_scan_algorithmE0ELj4294967295EEENS1_25partition_config_selectorILNS1_17partition_subalgoE4EjNS0_10empty_typeEbEEZZNS1_14partition_implILS8_4ELb0ES6_15HIP_vector_typeIjLj2EENS0_17counting_iteratorIjlEEPS9_SG_NS0_5tupleIJPjSI_NS0_16reverse_iteratorISI_EEEEENSH_IJSG_SG_SG_EEES9_SI_JZNS1_25segmented_radix_sort_implINS0_14default_configELb0EPK12hip_bfloat16PSP_PKlPlN2at6native12_GLOBAL__N_18offset_tEEE10hipError_tPvRmT1_PNSt15iterator_traitsIS13_E10value_typeET2_T3_PNS14_IS19_E10value_typeET4_jRbjT5_S1F_jjP12ihipStream_tbEUljE_ZNSN_ISO_Lb0ESR_SS_SU_SV_SZ_EES10_S11_S12_S13_S17_S18_S19_S1C_S1D_jS1E_jS1F_S1F_jjS1H_bEUljE0_EEES10_S11_S12_S19_S1D_S1F_T6_T7_T9_mT8_S1H_bDpT10_ENKUlT_T0_E_clISt17integral_constantIbLb1EES1U_IbLb0EEEEDaS1Q_S1R_EUlS1Q_E_NS1_11comp_targetILNS1_3genE10ELNS1_11target_archE1200ELNS1_3gpuE4ELNS1_3repE0EEENS1_30default_config_static_selectorELNS0_4arch9wavefront6targetE0EEEvS13_
; %bb.0:
	.section	.rodata,"a",@progbits
	.p2align	6, 0x0
	.amdhsa_kernel _ZN7rocprim17ROCPRIM_400000_NS6detail17trampoline_kernelINS0_13select_configILj256ELj13ELNS0_17block_load_methodE3ELS4_3ELS4_3ELNS0_20block_scan_algorithmE0ELj4294967295EEENS1_25partition_config_selectorILNS1_17partition_subalgoE4EjNS0_10empty_typeEbEEZZNS1_14partition_implILS8_4ELb0ES6_15HIP_vector_typeIjLj2EENS0_17counting_iteratorIjlEEPS9_SG_NS0_5tupleIJPjSI_NS0_16reverse_iteratorISI_EEEEENSH_IJSG_SG_SG_EEES9_SI_JZNS1_25segmented_radix_sort_implINS0_14default_configELb0EPK12hip_bfloat16PSP_PKlPlN2at6native12_GLOBAL__N_18offset_tEEE10hipError_tPvRmT1_PNSt15iterator_traitsIS13_E10value_typeET2_T3_PNS14_IS19_E10value_typeET4_jRbjT5_S1F_jjP12ihipStream_tbEUljE_ZNSN_ISO_Lb0ESR_SS_SU_SV_SZ_EES10_S11_S12_S13_S17_S18_S19_S1C_S1D_jS1E_jS1F_S1F_jjS1H_bEUljE0_EEES10_S11_S12_S19_S1D_S1F_T6_T7_T9_mT8_S1H_bDpT10_ENKUlT_T0_E_clISt17integral_constantIbLb1EES1U_IbLb0EEEEDaS1Q_S1R_EUlS1Q_E_NS1_11comp_targetILNS1_3genE10ELNS1_11target_archE1200ELNS1_3gpuE4ELNS1_3repE0EEENS1_30default_config_static_selectorELNS0_4arch9wavefront6targetE0EEEvS13_
		.amdhsa_group_segment_fixed_size 0
		.amdhsa_private_segment_fixed_size 0
		.amdhsa_kernarg_size 176
		.amdhsa_user_sgpr_count 2
		.amdhsa_user_sgpr_dispatch_ptr 0
		.amdhsa_user_sgpr_queue_ptr 0
		.amdhsa_user_sgpr_kernarg_segment_ptr 1
		.amdhsa_user_sgpr_dispatch_id 0
		.amdhsa_user_sgpr_kernarg_preload_length 0
		.amdhsa_user_sgpr_kernarg_preload_offset 0
		.amdhsa_user_sgpr_private_segment_size 0
		.amdhsa_wavefront_size32 1
		.amdhsa_uses_dynamic_stack 0
		.amdhsa_enable_private_segment 0
		.amdhsa_system_sgpr_workgroup_id_x 1
		.amdhsa_system_sgpr_workgroup_id_y 0
		.amdhsa_system_sgpr_workgroup_id_z 0
		.amdhsa_system_sgpr_workgroup_info 0
		.amdhsa_system_vgpr_workitem_id 0
		.amdhsa_next_free_vgpr 1
		.amdhsa_next_free_sgpr 1
		.amdhsa_named_barrier_count 0
		.amdhsa_reserve_vcc 0
		.amdhsa_float_round_mode_32 0
		.amdhsa_float_round_mode_16_64 0
		.amdhsa_float_denorm_mode_32 3
		.amdhsa_float_denorm_mode_16_64 3
		.amdhsa_fp16_overflow 0
		.amdhsa_memory_ordered 1
		.amdhsa_forward_progress 1
		.amdhsa_inst_pref_size 0
		.amdhsa_round_robin_scheduling 0
		.amdhsa_exception_fp_ieee_invalid_op 0
		.amdhsa_exception_fp_denorm_src 0
		.amdhsa_exception_fp_ieee_div_zero 0
		.amdhsa_exception_fp_ieee_overflow 0
		.amdhsa_exception_fp_ieee_underflow 0
		.amdhsa_exception_fp_ieee_inexact 0
		.amdhsa_exception_int_div_zero 0
	.end_amdhsa_kernel
	.section	.text._ZN7rocprim17ROCPRIM_400000_NS6detail17trampoline_kernelINS0_13select_configILj256ELj13ELNS0_17block_load_methodE3ELS4_3ELS4_3ELNS0_20block_scan_algorithmE0ELj4294967295EEENS1_25partition_config_selectorILNS1_17partition_subalgoE4EjNS0_10empty_typeEbEEZZNS1_14partition_implILS8_4ELb0ES6_15HIP_vector_typeIjLj2EENS0_17counting_iteratorIjlEEPS9_SG_NS0_5tupleIJPjSI_NS0_16reverse_iteratorISI_EEEEENSH_IJSG_SG_SG_EEES9_SI_JZNS1_25segmented_radix_sort_implINS0_14default_configELb0EPK12hip_bfloat16PSP_PKlPlN2at6native12_GLOBAL__N_18offset_tEEE10hipError_tPvRmT1_PNSt15iterator_traitsIS13_E10value_typeET2_T3_PNS14_IS19_E10value_typeET4_jRbjT5_S1F_jjP12ihipStream_tbEUljE_ZNSN_ISO_Lb0ESR_SS_SU_SV_SZ_EES10_S11_S12_S13_S17_S18_S19_S1C_S1D_jS1E_jS1F_S1F_jjS1H_bEUljE0_EEES10_S11_S12_S19_S1D_S1F_T6_T7_T9_mT8_S1H_bDpT10_ENKUlT_T0_E_clISt17integral_constantIbLb1EES1U_IbLb0EEEEDaS1Q_S1R_EUlS1Q_E_NS1_11comp_targetILNS1_3genE10ELNS1_11target_archE1200ELNS1_3gpuE4ELNS1_3repE0EEENS1_30default_config_static_selectorELNS0_4arch9wavefront6targetE0EEEvS13_,"axG",@progbits,_ZN7rocprim17ROCPRIM_400000_NS6detail17trampoline_kernelINS0_13select_configILj256ELj13ELNS0_17block_load_methodE3ELS4_3ELS4_3ELNS0_20block_scan_algorithmE0ELj4294967295EEENS1_25partition_config_selectorILNS1_17partition_subalgoE4EjNS0_10empty_typeEbEEZZNS1_14partition_implILS8_4ELb0ES6_15HIP_vector_typeIjLj2EENS0_17counting_iteratorIjlEEPS9_SG_NS0_5tupleIJPjSI_NS0_16reverse_iteratorISI_EEEEENSH_IJSG_SG_SG_EEES9_SI_JZNS1_25segmented_radix_sort_implINS0_14default_configELb0EPK12hip_bfloat16PSP_PKlPlN2at6native12_GLOBAL__N_18offset_tEEE10hipError_tPvRmT1_PNSt15iterator_traitsIS13_E10value_typeET2_T3_PNS14_IS19_E10value_typeET4_jRbjT5_S1F_jjP12ihipStream_tbEUljE_ZNSN_ISO_Lb0ESR_SS_SU_SV_SZ_EES10_S11_S12_S13_S17_S18_S19_S1C_S1D_jS1E_jS1F_S1F_jjS1H_bEUljE0_EEES10_S11_S12_S19_S1D_S1F_T6_T7_T9_mT8_S1H_bDpT10_ENKUlT_T0_E_clISt17integral_constantIbLb1EES1U_IbLb0EEEEDaS1Q_S1R_EUlS1Q_E_NS1_11comp_targetILNS1_3genE10ELNS1_11target_archE1200ELNS1_3gpuE4ELNS1_3repE0EEENS1_30default_config_static_selectorELNS0_4arch9wavefront6targetE0EEEvS13_,comdat
.Lfunc_end1996:
	.size	_ZN7rocprim17ROCPRIM_400000_NS6detail17trampoline_kernelINS0_13select_configILj256ELj13ELNS0_17block_load_methodE3ELS4_3ELS4_3ELNS0_20block_scan_algorithmE0ELj4294967295EEENS1_25partition_config_selectorILNS1_17partition_subalgoE4EjNS0_10empty_typeEbEEZZNS1_14partition_implILS8_4ELb0ES6_15HIP_vector_typeIjLj2EENS0_17counting_iteratorIjlEEPS9_SG_NS0_5tupleIJPjSI_NS0_16reverse_iteratorISI_EEEEENSH_IJSG_SG_SG_EEES9_SI_JZNS1_25segmented_radix_sort_implINS0_14default_configELb0EPK12hip_bfloat16PSP_PKlPlN2at6native12_GLOBAL__N_18offset_tEEE10hipError_tPvRmT1_PNSt15iterator_traitsIS13_E10value_typeET2_T3_PNS14_IS19_E10value_typeET4_jRbjT5_S1F_jjP12ihipStream_tbEUljE_ZNSN_ISO_Lb0ESR_SS_SU_SV_SZ_EES10_S11_S12_S13_S17_S18_S19_S1C_S1D_jS1E_jS1F_S1F_jjS1H_bEUljE0_EEES10_S11_S12_S19_S1D_S1F_T6_T7_T9_mT8_S1H_bDpT10_ENKUlT_T0_E_clISt17integral_constantIbLb1EES1U_IbLb0EEEEDaS1Q_S1R_EUlS1Q_E_NS1_11comp_targetILNS1_3genE10ELNS1_11target_archE1200ELNS1_3gpuE4ELNS1_3repE0EEENS1_30default_config_static_selectorELNS0_4arch9wavefront6targetE0EEEvS13_, .Lfunc_end1996-_ZN7rocprim17ROCPRIM_400000_NS6detail17trampoline_kernelINS0_13select_configILj256ELj13ELNS0_17block_load_methodE3ELS4_3ELS4_3ELNS0_20block_scan_algorithmE0ELj4294967295EEENS1_25partition_config_selectorILNS1_17partition_subalgoE4EjNS0_10empty_typeEbEEZZNS1_14partition_implILS8_4ELb0ES6_15HIP_vector_typeIjLj2EENS0_17counting_iteratorIjlEEPS9_SG_NS0_5tupleIJPjSI_NS0_16reverse_iteratorISI_EEEEENSH_IJSG_SG_SG_EEES9_SI_JZNS1_25segmented_radix_sort_implINS0_14default_configELb0EPK12hip_bfloat16PSP_PKlPlN2at6native12_GLOBAL__N_18offset_tEEE10hipError_tPvRmT1_PNSt15iterator_traitsIS13_E10value_typeET2_T3_PNS14_IS19_E10value_typeET4_jRbjT5_S1F_jjP12ihipStream_tbEUljE_ZNSN_ISO_Lb0ESR_SS_SU_SV_SZ_EES10_S11_S12_S13_S17_S18_S19_S1C_S1D_jS1E_jS1F_S1F_jjS1H_bEUljE0_EEES10_S11_S12_S19_S1D_S1F_T6_T7_T9_mT8_S1H_bDpT10_ENKUlT_T0_E_clISt17integral_constantIbLb1EES1U_IbLb0EEEEDaS1Q_S1R_EUlS1Q_E_NS1_11comp_targetILNS1_3genE10ELNS1_11target_archE1200ELNS1_3gpuE4ELNS1_3repE0EEENS1_30default_config_static_selectorELNS0_4arch9wavefront6targetE0EEEvS13_
                                        ; -- End function
	.set _ZN7rocprim17ROCPRIM_400000_NS6detail17trampoline_kernelINS0_13select_configILj256ELj13ELNS0_17block_load_methodE3ELS4_3ELS4_3ELNS0_20block_scan_algorithmE0ELj4294967295EEENS1_25partition_config_selectorILNS1_17partition_subalgoE4EjNS0_10empty_typeEbEEZZNS1_14partition_implILS8_4ELb0ES6_15HIP_vector_typeIjLj2EENS0_17counting_iteratorIjlEEPS9_SG_NS0_5tupleIJPjSI_NS0_16reverse_iteratorISI_EEEEENSH_IJSG_SG_SG_EEES9_SI_JZNS1_25segmented_radix_sort_implINS0_14default_configELb0EPK12hip_bfloat16PSP_PKlPlN2at6native12_GLOBAL__N_18offset_tEEE10hipError_tPvRmT1_PNSt15iterator_traitsIS13_E10value_typeET2_T3_PNS14_IS19_E10value_typeET4_jRbjT5_S1F_jjP12ihipStream_tbEUljE_ZNSN_ISO_Lb0ESR_SS_SU_SV_SZ_EES10_S11_S12_S13_S17_S18_S19_S1C_S1D_jS1E_jS1F_S1F_jjS1H_bEUljE0_EEES10_S11_S12_S19_S1D_S1F_T6_T7_T9_mT8_S1H_bDpT10_ENKUlT_T0_E_clISt17integral_constantIbLb1EES1U_IbLb0EEEEDaS1Q_S1R_EUlS1Q_E_NS1_11comp_targetILNS1_3genE10ELNS1_11target_archE1200ELNS1_3gpuE4ELNS1_3repE0EEENS1_30default_config_static_selectorELNS0_4arch9wavefront6targetE0EEEvS13_.num_vgpr, 0
	.set _ZN7rocprim17ROCPRIM_400000_NS6detail17trampoline_kernelINS0_13select_configILj256ELj13ELNS0_17block_load_methodE3ELS4_3ELS4_3ELNS0_20block_scan_algorithmE0ELj4294967295EEENS1_25partition_config_selectorILNS1_17partition_subalgoE4EjNS0_10empty_typeEbEEZZNS1_14partition_implILS8_4ELb0ES6_15HIP_vector_typeIjLj2EENS0_17counting_iteratorIjlEEPS9_SG_NS0_5tupleIJPjSI_NS0_16reverse_iteratorISI_EEEEENSH_IJSG_SG_SG_EEES9_SI_JZNS1_25segmented_radix_sort_implINS0_14default_configELb0EPK12hip_bfloat16PSP_PKlPlN2at6native12_GLOBAL__N_18offset_tEEE10hipError_tPvRmT1_PNSt15iterator_traitsIS13_E10value_typeET2_T3_PNS14_IS19_E10value_typeET4_jRbjT5_S1F_jjP12ihipStream_tbEUljE_ZNSN_ISO_Lb0ESR_SS_SU_SV_SZ_EES10_S11_S12_S13_S17_S18_S19_S1C_S1D_jS1E_jS1F_S1F_jjS1H_bEUljE0_EEES10_S11_S12_S19_S1D_S1F_T6_T7_T9_mT8_S1H_bDpT10_ENKUlT_T0_E_clISt17integral_constantIbLb1EES1U_IbLb0EEEEDaS1Q_S1R_EUlS1Q_E_NS1_11comp_targetILNS1_3genE10ELNS1_11target_archE1200ELNS1_3gpuE4ELNS1_3repE0EEENS1_30default_config_static_selectorELNS0_4arch9wavefront6targetE0EEEvS13_.num_agpr, 0
	.set _ZN7rocprim17ROCPRIM_400000_NS6detail17trampoline_kernelINS0_13select_configILj256ELj13ELNS0_17block_load_methodE3ELS4_3ELS4_3ELNS0_20block_scan_algorithmE0ELj4294967295EEENS1_25partition_config_selectorILNS1_17partition_subalgoE4EjNS0_10empty_typeEbEEZZNS1_14partition_implILS8_4ELb0ES6_15HIP_vector_typeIjLj2EENS0_17counting_iteratorIjlEEPS9_SG_NS0_5tupleIJPjSI_NS0_16reverse_iteratorISI_EEEEENSH_IJSG_SG_SG_EEES9_SI_JZNS1_25segmented_radix_sort_implINS0_14default_configELb0EPK12hip_bfloat16PSP_PKlPlN2at6native12_GLOBAL__N_18offset_tEEE10hipError_tPvRmT1_PNSt15iterator_traitsIS13_E10value_typeET2_T3_PNS14_IS19_E10value_typeET4_jRbjT5_S1F_jjP12ihipStream_tbEUljE_ZNSN_ISO_Lb0ESR_SS_SU_SV_SZ_EES10_S11_S12_S13_S17_S18_S19_S1C_S1D_jS1E_jS1F_S1F_jjS1H_bEUljE0_EEES10_S11_S12_S19_S1D_S1F_T6_T7_T9_mT8_S1H_bDpT10_ENKUlT_T0_E_clISt17integral_constantIbLb1EES1U_IbLb0EEEEDaS1Q_S1R_EUlS1Q_E_NS1_11comp_targetILNS1_3genE10ELNS1_11target_archE1200ELNS1_3gpuE4ELNS1_3repE0EEENS1_30default_config_static_selectorELNS0_4arch9wavefront6targetE0EEEvS13_.numbered_sgpr, 0
	.set _ZN7rocprim17ROCPRIM_400000_NS6detail17trampoline_kernelINS0_13select_configILj256ELj13ELNS0_17block_load_methodE3ELS4_3ELS4_3ELNS0_20block_scan_algorithmE0ELj4294967295EEENS1_25partition_config_selectorILNS1_17partition_subalgoE4EjNS0_10empty_typeEbEEZZNS1_14partition_implILS8_4ELb0ES6_15HIP_vector_typeIjLj2EENS0_17counting_iteratorIjlEEPS9_SG_NS0_5tupleIJPjSI_NS0_16reverse_iteratorISI_EEEEENSH_IJSG_SG_SG_EEES9_SI_JZNS1_25segmented_radix_sort_implINS0_14default_configELb0EPK12hip_bfloat16PSP_PKlPlN2at6native12_GLOBAL__N_18offset_tEEE10hipError_tPvRmT1_PNSt15iterator_traitsIS13_E10value_typeET2_T3_PNS14_IS19_E10value_typeET4_jRbjT5_S1F_jjP12ihipStream_tbEUljE_ZNSN_ISO_Lb0ESR_SS_SU_SV_SZ_EES10_S11_S12_S13_S17_S18_S19_S1C_S1D_jS1E_jS1F_S1F_jjS1H_bEUljE0_EEES10_S11_S12_S19_S1D_S1F_T6_T7_T9_mT8_S1H_bDpT10_ENKUlT_T0_E_clISt17integral_constantIbLb1EES1U_IbLb0EEEEDaS1Q_S1R_EUlS1Q_E_NS1_11comp_targetILNS1_3genE10ELNS1_11target_archE1200ELNS1_3gpuE4ELNS1_3repE0EEENS1_30default_config_static_selectorELNS0_4arch9wavefront6targetE0EEEvS13_.num_named_barrier, 0
	.set _ZN7rocprim17ROCPRIM_400000_NS6detail17trampoline_kernelINS0_13select_configILj256ELj13ELNS0_17block_load_methodE3ELS4_3ELS4_3ELNS0_20block_scan_algorithmE0ELj4294967295EEENS1_25partition_config_selectorILNS1_17partition_subalgoE4EjNS0_10empty_typeEbEEZZNS1_14partition_implILS8_4ELb0ES6_15HIP_vector_typeIjLj2EENS0_17counting_iteratorIjlEEPS9_SG_NS0_5tupleIJPjSI_NS0_16reverse_iteratorISI_EEEEENSH_IJSG_SG_SG_EEES9_SI_JZNS1_25segmented_radix_sort_implINS0_14default_configELb0EPK12hip_bfloat16PSP_PKlPlN2at6native12_GLOBAL__N_18offset_tEEE10hipError_tPvRmT1_PNSt15iterator_traitsIS13_E10value_typeET2_T3_PNS14_IS19_E10value_typeET4_jRbjT5_S1F_jjP12ihipStream_tbEUljE_ZNSN_ISO_Lb0ESR_SS_SU_SV_SZ_EES10_S11_S12_S13_S17_S18_S19_S1C_S1D_jS1E_jS1F_S1F_jjS1H_bEUljE0_EEES10_S11_S12_S19_S1D_S1F_T6_T7_T9_mT8_S1H_bDpT10_ENKUlT_T0_E_clISt17integral_constantIbLb1EES1U_IbLb0EEEEDaS1Q_S1R_EUlS1Q_E_NS1_11comp_targetILNS1_3genE10ELNS1_11target_archE1200ELNS1_3gpuE4ELNS1_3repE0EEENS1_30default_config_static_selectorELNS0_4arch9wavefront6targetE0EEEvS13_.private_seg_size, 0
	.set _ZN7rocprim17ROCPRIM_400000_NS6detail17trampoline_kernelINS0_13select_configILj256ELj13ELNS0_17block_load_methodE3ELS4_3ELS4_3ELNS0_20block_scan_algorithmE0ELj4294967295EEENS1_25partition_config_selectorILNS1_17partition_subalgoE4EjNS0_10empty_typeEbEEZZNS1_14partition_implILS8_4ELb0ES6_15HIP_vector_typeIjLj2EENS0_17counting_iteratorIjlEEPS9_SG_NS0_5tupleIJPjSI_NS0_16reverse_iteratorISI_EEEEENSH_IJSG_SG_SG_EEES9_SI_JZNS1_25segmented_radix_sort_implINS0_14default_configELb0EPK12hip_bfloat16PSP_PKlPlN2at6native12_GLOBAL__N_18offset_tEEE10hipError_tPvRmT1_PNSt15iterator_traitsIS13_E10value_typeET2_T3_PNS14_IS19_E10value_typeET4_jRbjT5_S1F_jjP12ihipStream_tbEUljE_ZNSN_ISO_Lb0ESR_SS_SU_SV_SZ_EES10_S11_S12_S13_S17_S18_S19_S1C_S1D_jS1E_jS1F_S1F_jjS1H_bEUljE0_EEES10_S11_S12_S19_S1D_S1F_T6_T7_T9_mT8_S1H_bDpT10_ENKUlT_T0_E_clISt17integral_constantIbLb1EES1U_IbLb0EEEEDaS1Q_S1R_EUlS1Q_E_NS1_11comp_targetILNS1_3genE10ELNS1_11target_archE1200ELNS1_3gpuE4ELNS1_3repE0EEENS1_30default_config_static_selectorELNS0_4arch9wavefront6targetE0EEEvS13_.uses_vcc, 0
	.set _ZN7rocprim17ROCPRIM_400000_NS6detail17trampoline_kernelINS0_13select_configILj256ELj13ELNS0_17block_load_methodE3ELS4_3ELS4_3ELNS0_20block_scan_algorithmE0ELj4294967295EEENS1_25partition_config_selectorILNS1_17partition_subalgoE4EjNS0_10empty_typeEbEEZZNS1_14partition_implILS8_4ELb0ES6_15HIP_vector_typeIjLj2EENS0_17counting_iteratorIjlEEPS9_SG_NS0_5tupleIJPjSI_NS0_16reverse_iteratorISI_EEEEENSH_IJSG_SG_SG_EEES9_SI_JZNS1_25segmented_radix_sort_implINS0_14default_configELb0EPK12hip_bfloat16PSP_PKlPlN2at6native12_GLOBAL__N_18offset_tEEE10hipError_tPvRmT1_PNSt15iterator_traitsIS13_E10value_typeET2_T3_PNS14_IS19_E10value_typeET4_jRbjT5_S1F_jjP12ihipStream_tbEUljE_ZNSN_ISO_Lb0ESR_SS_SU_SV_SZ_EES10_S11_S12_S13_S17_S18_S19_S1C_S1D_jS1E_jS1F_S1F_jjS1H_bEUljE0_EEES10_S11_S12_S19_S1D_S1F_T6_T7_T9_mT8_S1H_bDpT10_ENKUlT_T0_E_clISt17integral_constantIbLb1EES1U_IbLb0EEEEDaS1Q_S1R_EUlS1Q_E_NS1_11comp_targetILNS1_3genE10ELNS1_11target_archE1200ELNS1_3gpuE4ELNS1_3repE0EEENS1_30default_config_static_selectorELNS0_4arch9wavefront6targetE0EEEvS13_.uses_flat_scratch, 0
	.set _ZN7rocprim17ROCPRIM_400000_NS6detail17trampoline_kernelINS0_13select_configILj256ELj13ELNS0_17block_load_methodE3ELS4_3ELS4_3ELNS0_20block_scan_algorithmE0ELj4294967295EEENS1_25partition_config_selectorILNS1_17partition_subalgoE4EjNS0_10empty_typeEbEEZZNS1_14partition_implILS8_4ELb0ES6_15HIP_vector_typeIjLj2EENS0_17counting_iteratorIjlEEPS9_SG_NS0_5tupleIJPjSI_NS0_16reverse_iteratorISI_EEEEENSH_IJSG_SG_SG_EEES9_SI_JZNS1_25segmented_radix_sort_implINS0_14default_configELb0EPK12hip_bfloat16PSP_PKlPlN2at6native12_GLOBAL__N_18offset_tEEE10hipError_tPvRmT1_PNSt15iterator_traitsIS13_E10value_typeET2_T3_PNS14_IS19_E10value_typeET4_jRbjT5_S1F_jjP12ihipStream_tbEUljE_ZNSN_ISO_Lb0ESR_SS_SU_SV_SZ_EES10_S11_S12_S13_S17_S18_S19_S1C_S1D_jS1E_jS1F_S1F_jjS1H_bEUljE0_EEES10_S11_S12_S19_S1D_S1F_T6_T7_T9_mT8_S1H_bDpT10_ENKUlT_T0_E_clISt17integral_constantIbLb1EES1U_IbLb0EEEEDaS1Q_S1R_EUlS1Q_E_NS1_11comp_targetILNS1_3genE10ELNS1_11target_archE1200ELNS1_3gpuE4ELNS1_3repE0EEENS1_30default_config_static_selectorELNS0_4arch9wavefront6targetE0EEEvS13_.has_dyn_sized_stack, 0
	.set _ZN7rocprim17ROCPRIM_400000_NS6detail17trampoline_kernelINS0_13select_configILj256ELj13ELNS0_17block_load_methodE3ELS4_3ELS4_3ELNS0_20block_scan_algorithmE0ELj4294967295EEENS1_25partition_config_selectorILNS1_17partition_subalgoE4EjNS0_10empty_typeEbEEZZNS1_14partition_implILS8_4ELb0ES6_15HIP_vector_typeIjLj2EENS0_17counting_iteratorIjlEEPS9_SG_NS0_5tupleIJPjSI_NS0_16reverse_iteratorISI_EEEEENSH_IJSG_SG_SG_EEES9_SI_JZNS1_25segmented_radix_sort_implINS0_14default_configELb0EPK12hip_bfloat16PSP_PKlPlN2at6native12_GLOBAL__N_18offset_tEEE10hipError_tPvRmT1_PNSt15iterator_traitsIS13_E10value_typeET2_T3_PNS14_IS19_E10value_typeET4_jRbjT5_S1F_jjP12ihipStream_tbEUljE_ZNSN_ISO_Lb0ESR_SS_SU_SV_SZ_EES10_S11_S12_S13_S17_S18_S19_S1C_S1D_jS1E_jS1F_S1F_jjS1H_bEUljE0_EEES10_S11_S12_S19_S1D_S1F_T6_T7_T9_mT8_S1H_bDpT10_ENKUlT_T0_E_clISt17integral_constantIbLb1EES1U_IbLb0EEEEDaS1Q_S1R_EUlS1Q_E_NS1_11comp_targetILNS1_3genE10ELNS1_11target_archE1200ELNS1_3gpuE4ELNS1_3repE0EEENS1_30default_config_static_selectorELNS0_4arch9wavefront6targetE0EEEvS13_.has_recursion, 0
	.set _ZN7rocprim17ROCPRIM_400000_NS6detail17trampoline_kernelINS0_13select_configILj256ELj13ELNS0_17block_load_methodE3ELS4_3ELS4_3ELNS0_20block_scan_algorithmE0ELj4294967295EEENS1_25partition_config_selectorILNS1_17partition_subalgoE4EjNS0_10empty_typeEbEEZZNS1_14partition_implILS8_4ELb0ES6_15HIP_vector_typeIjLj2EENS0_17counting_iteratorIjlEEPS9_SG_NS0_5tupleIJPjSI_NS0_16reverse_iteratorISI_EEEEENSH_IJSG_SG_SG_EEES9_SI_JZNS1_25segmented_radix_sort_implINS0_14default_configELb0EPK12hip_bfloat16PSP_PKlPlN2at6native12_GLOBAL__N_18offset_tEEE10hipError_tPvRmT1_PNSt15iterator_traitsIS13_E10value_typeET2_T3_PNS14_IS19_E10value_typeET4_jRbjT5_S1F_jjP12ihipStream_tbEUljE_ZNSN_ISO_Lb0ESR_SS_SU_SV_SZ_EES10_S11_S12_S13_S17_S18_S19_S1C_S1D_jS1E_jS1F_S1F_jjS1H_bEUljE0_EEES10_S11_S12_S19_S1D_S1F_T6_T7_T9_mT8_S1H_bDpT10_ENKUlT_T0_E_clISt17integral_constantIbLb1EES1U_IbLb0EEEEDaS1Q_S1R_EUlS1Q_E_NS1_11comp_targetILNS1_3genE10ELNS1_11target_archE1200ELNS1_3gpuE4ELNS1_3repE0EEENS1_30default_config_static_selectorELNS0_4arch9wavefront6targetE0EEEvS13_.has_indirect_call, 0
	.section	.AMDGPU.csdata,"",@progbits
; Kernel info:
; codeLenInByte = 0
; TotalNumSgprs: 0
; NumVgprs: 0
; ScratchSize: 0
; MemoryBound: 0
; FloatMode: 240
; IeeeMode: 1
; LDSByteSize: 0 bytes/workgroup (compile time only)
; SGPRBlocks: 0
; VGPRBlocks: 0
; NumSGPRsForWavesPerEU: 1
; NumVGPRsForWavesPerEU: 1
; NamedBarCnt: 0
; Occupancy: 16
; WaveLimiterHint : 0
; COMPUTE_PGM_RSRC2:SCRATCH_EN: 0
; COMPUTE_PGM_RSRC2:USER_SGPR: 2
; COMPUTE_PGM_RSRC2:TRAP_HANDLER: 0
; COMPUTE_PGM_RSRC2:TGID_X_EN: 1
; COMPUTE_PGM_RSRC2:TGID_Y_EN: 0
; COMPUTE_PGM_RSRC2:TGID_Z_EN: 0
; COMPUTE_PGM_RSRC2:TIDIG_COMP_CNT: 0
	.section	.text._ZN7rocprim17ROCPRIM_400000_NS6detail17trampoline_kernelINS0_13select_configILj256ELj13ELNS0_17block_load_methodE3ELS4_3ELS4_3ELNS0_20block_scan_algorithmE0ELj4294967295EEENS1_25partition_config_selectorILNS1_17partition_subalgoE4EjNS0_10empty_typeEbEEZZNS1_14partition_implILS8_4ELb0ES6_15HIP_vector_typeIjLj2EENS0_17counting_iteratorIjlEEPS9_SG_NS0_5tupleIJPjSI_NS0_16reverse_iteratorISI_EEEEENSH_IJSG_SG_SG_EEES9_SI_JZNS1_25segmented_radix_sort_implINS0_14default_configELb0EPK12hip_bfloat16PSP_PKlPlN2at6native12_GLOBAL__N_18offset_tEEE10hipError_tPvRmT1_PNSt15iterator_traitsIS13_E10value_typeET2_T3_PNS14_IS19_E10value_typeET4_jRbjT5_S1F_jjP12ihipStream_tbEUljE_ZNSN_ISO_Lb0ESR_SS_SU_SV_SZ_EES10_S11_S12_S13_S17_S18_S19_S1C_S1D_jS1E_jS1F_S1F_jjS1H_bEUljE0_EEES10_S11_S12_S19_S1D_S1F_T6_T7_T9_mT8_S1H_bDpT10_ENKUlT_T0_E_clISt17integral_constantIbLb1EES1U_IbLb0EEEEDaS1Q_S1R_EUlS1Q_E_NS1_11comp_targetILNS1_3genE9ELNS1_11target_archE1100ELNS1_3gpuE3ELNS1_3repE0EEENS1_30default_config_static_selectorELNS0_4arch9wavefront6targetE0EEEvS13_,"axG",@progbits,_ZN7rocprim17ROCPRIM_400000_NS6detail17trampoline_kernelINS0_13select_configILj256ELj13ELNS0_17block_load_methodE3ELS4_3ELS4_3ELNS0_20block_scan_algorithmE0ELj4294967295EEENS1_25partition_config_selectorILNS1_17partition_subalgoE4EjNS0_10empty_typeEbEEZZNS1_14partition_implILS8_4ELb0ES6_15HIP_vector_typeIjLj2EENS0_17counting_iteratorIjlEEPS9_SG_NS0_5tupleIJPjSI_NS0_16reverse_iteratorISI_EEEEENSH_IJSG_SG_SG_EEES9_SI_JZNS1_25segmented_radix_sort_implINS0_14default_configELb0EPK12hip_bfloat16PSP_PKlPlN2at6native12_GLOBAL__N_18offset_tEEE10hipError_tPvRmT1_PNSt15iterator_traitsIS13_E10value_typeET2_T3_PNS14_IS19_E10value_typeET4_jRbjT5_S1F_jjP12ihipStream_tbEUljE_ZNSN_ISO_Lb0ESR_SS_SU_SV_SZ_EES10_S11_S12_S13_S17_S18_S19_S1C_S1D_jS1E_jS1F_S1F_jjS1H_bEUljE0_EEES10_S11_S12_S19_S1D_S1F_T6_T7_T9_mT8_S1H_bDpT10_ENKUlT_T0_E_clISt17integral_constantIbLb1EES1U_IbLb0EEEEDaS1Q_S1R_EUlS1Q_E_NS1_11comp_targetILNS1_3genE9ELNS1_11target_archE1100ELNS1_3gpuE3ELNS1_3repE0EEENS1_30default_config_static_selectorELNS0_4arch9wavefront6targetE0EEEvS13_,comdat
	.globl	_ZN7rocprim17ROCPRIM_400000_NS6detail17trampoline_kernelINS0_13select_configILj256ELj13ELNS0_17block_load_methodE3ELS4_3ELS4_3ELNS0_20block_scan_algorithmE0ELj4294967295EEENS1_25partition_config_selectorILNS1_17partition_subalgoE4EjNS0_10empty_typeEbEEZZNS1_14partition_implILS8_4ELb0ES6_15HIP_vector_typeIjLj2EENS0_17counting_iteratorIjlEEPS9_SG_NS0_5tupleIJPjSI_NS0_16reverse_iteratorISI_EEEEENSH_IJSG_SG_SG_EEES9_SI_JZNS1_25segmented_radix_sort_implINS0_14default_configELb0EPK12hip_bfloat16PSP_PKlPlN2at6native12_GLOBAL__N_18offset_tEEE10hipError_tPvRmT1_PNSt15iterator_traitsIS13_E10value_typeET2_T3_PNS14_IS19_E10value_typeET4_jRbjT5_S1F_jjP12ihipStream_tbEUljE_ZNSN_ISO_Lb0ESR_SS_SU_SV_SZ_EES10_S11_S12_S13_S17_S18_S19_S1C_S1D_jS1E_jS1F_S1F_jjS1H_bEUljE0_EEES10_S11_S12_S19_S1D_S1F_T6_T7_T9_mT8_S1H_bDpT10_ENKUlT_T0_E_clISt17integral_constantIbLb1EES1U_IbLb0EEEEDaS1Q_S1R_EUlS1Q_E_NS1_11comp_targetILNS1_3genE9ELNS1_11target_archE1100ELNS1_3gpuE3ELNS1_3repE0EEENS1_30default_config_static_selectorELNS0_4arch9wavefront6targetE0EEEvS13_ ; -- Begin function _ZN7rocprim17ROCPRIM_400000_NS6detail17trampoline_kernelINS0_13select_configILj256ELj13ELNS0_17block_load_methodE3ELS4_3ELS4_3ELNS0_20block_scan_algorithmE0ELj4294967295EEENS1_25partition_config_selectorILNS1_17partition_subalgoE4EjNS0_10empty_typeEbEEZZNS1_14partition_implILS8_4ELb0ES6_15HIP_vector_typeIjLj2EENS0_17counting_iteratorIjlEEPS9_SG_NS0_5tupleIJPjSI_NS0_16reverse_iteratorISI_EEEEENSH_IJSG_SG_SG_EEES9_SI_JZNS1_25segmented_radix_sort_implINS0_14default_configELb0EPK12hip_bfloat16PSP_PKlPlN2at6native12_GLOBAL__N_18offset_tEEE10hipError_tPvRmT1_PNSt15iterator_traitsIS13_E10value_typeET2_T3_PNS14_IS19_E10value_typeET4_jRbjT5_S1F_jjP12ihipStream_tbEUljE_ZNSN_ISO_Lb0ESR_SS_SU_SV_SZ_EES10_S11_S12_S13_S17_S18_S19_S1C_S1D_jS1E_jS1F_S1F_jjS1H_bEUljE0_EEES10_S11_S12_S19_S1D_S1F_T6_T7_T9_mT8_S1H_bDpT10_ENKUlT_T0_E_clISt17integral_constantIbLb1EES1U_IbLb0EEEEDaS1Q_S1R_EUlS1Q_E_NS1_11comp_targetILNS1_3genE9ELNS1_11target_archE1100ELNS1_3gpuE3ELNS1_3repE0EEENS1_30default_config_static_selectorELNS0_4arch9wavefront6targetE0EEEvS13_
	.p2align	8
	.type	_ZN7rocprim17ROCPRIM_400000_NS6detail17trampoline_kernelINS0_13select_configILj256ELj13ELNS0_17block_load_methodE3ELS4_3ELS4_3ELNS0_20block_scan_algorithmE0ELj4294967295EEENS1_25partition_config_selectorILNS1_17partition_subalgoE4EjNS0_10empty_typeEbEEZZNS1_14partition_implILS8_4ELb0ES6_15HIP_vector_typeIjLj2EENS0_17counting_iteratorIjlEEPS9_SG_NS0_5tupleIJPjSI_NS0_16reverse_iteratorISI_EEEEENSH_IJSG_SG_SG_EEES9_SI_JZNS1_25segmented_radix_sort_implINS0_14default_configELb0EPK12hip_bfloat16PSP_PKlPlN2at6native12_GLOBAL__N_18offset_tEEE10hipError_tPvRmT1_PNSt15iterator_traitsIS13_E10value_typeET2_T3_PNS14_IS19_E10value_typeET4_jRbjT5_S1F_jjP12ihipStream_tbEUljE_ZNSN_ISO_Lb0ESR_SS_SU_SV_SZ_EES10_S11_S12_S13_S17_S18_S19_S1C_S1D_jS1E_jS1F_S1F_jjS1H_bEUljE0_EEES10_S11_S12_S19_S1D_S1F_T6_T7_T9_mT8_S1H_bDpT10_ENKUlT_T0_E_clISt17integral_constantIbLb1EES1U_IbLb0EEEEDaS1Q_S1R_EUlS1Q_E_NS1_11comp_targetILNS1_3genE9ELNS1_11target_archE1100ELNS1_3gpuE3ELNS1_3repE0EEENS1_30default_config_static_selectorELNS0_4arch9wavefront6targetE0EEEvS13_,@function
_ZN7rocprim17ROCPRIM_400000_NS6detail17trampoline_kernelINS0_13select_configILj256ELj13ELNS0_17block_load_methodE3ELS4_3ELS4_3ELNS0_20block_scan_algorithmE0ELj4294967295EEENS1_25partition_config_selectorILNS1_17partition_subalgoE4EjNS0_10empty_typeEbEEZZNS1_14partition_implILS8_4ELb0ES6_15HIP_vector_typeIjLj2EENS0_17counting_iteratorIjlEEPS9_SG_NS0_5tupleIJPjSI_NS0_16reverse_iteratorISI_EEEEENSH_IJSG_SG_SG_EEES9_SI_JZNS1_25segmented_radix_sort_implINS0_14default_configELb0EPK12hip_bfloat16PSP_PKlPlN2at6native12_GLOBAL__N_18offset_tEEE10hipError_tPvRmT1_PNSt15iterator_traitsIS13_E10value_typeET2_T3_PNS14_IS19_E10value_typeET4_jRbjT5_S1F_jjP12ihipStream_tbEUljE_ZNSN_ISO_Lb0ESR_SS_SU_SV_SZ_EES10_S11_S12_S13_S17_S18_S19_S1C_S1D_jS1E_jS1F_S1F_jjS1H_bEUljE0_EEES10_S11_S12_S19_S1D_S1F_T6_T7_T9_mT8_S1H_bDpT10_ENKUlT_T0_E_clISt17integral_constantIbLb1EES1U_IbLb0EEEEDaS1Q_S1R_EUlS1Q_E_NS1_11comp_targetILNS1_3genE9ELNS1_11target_archE1100ELNS1_3gpuE3ELNS1_3repE0EEENS1_30default_config_static_selectorELNS0_4arch9wavefront6targetE0EEEvS13_: ; @_ZN7rocprim17ROCPRIM_400000_NS6detail17trampoline_kernelINS0_13select_configILj256ELj13ELNS0_17block_load_methodE3ELS4_3ELS4_3ELNS0_20block_scan_algorithmE0ELj4294967295EEENS1_25partition_config_selectorILNS1_17partition_subalgoE4EjNS0_10empty_typeEbEEZZNS1_14partition_implILS8_4ELb0ES6_15HIP_vector_typeIjLj2EENS0_17counting_iteratorIjlEEPS9_SG_NS0_5tupleIJPjSI_NS0_16reverse_iteratorISI_EEEEENSH_IJSG_SG_SG_EEES9_SI_JZNS1_25segmented_radix_sort_implINS0_14default_configELb0EPK12hip_bfloat16PSP_PKlPlN2at6native12_GLOBAL__N_18offset_tEEE10hipError_tPvRmT1_PNSt15iterator_traitsIS13_E10value_typeET2_T3_PNS14_IS19_E10value_typeET4_jRbjT5_S1F_jjP12ihipStream_tbEUljE_ZNSN_ISO_Lb0ESR_SS_SU_SV_SZ_EES10_S11_S12_S13_S17_S18_S19_S1C_S1D_jS1E_jS1F_S1F_jjS1H_bEUljE0_EEES10_S11_S12_S19_S1D_S1F_T6_T7_T9_mT8_S1H_bDpT10_ENKUlT_T0_E_clISt17integral_constantIbLb1EES1U_IbLb0EEEEDaS1Q_S1R_EUlS1Q_E_NS1_11comp_targetILNS1_3genE9ELNS1_11target_archE1100ELNS1_3gpuE3ELNS1_3repE0EEENS1_30default_config_static_selectorELNS0_4arch9wavefront6targetE0EEEvS13_
; %bb.0:
	.section	.rodata,"a",@progbits
	.p2align	6, 0x0
	.amdhsa_kernel _ZN7rocprim17ROCPRIM_400000_NS6detail17trampoline_kernelINS0_13select_configILj256ELj13ELNS0_17block_load_methodE3ELS4_3ELS4_3ELNS0_20block_scan_algorithmE0ELj4294967295EEENS1_25partition_config_selectorILNS1_17partition_subalgoE4EjNS0_10empty_typeEbEEZZNS1_14partition_implILS8_4ELb0ES6_15HIP_vector_typeIjLj2EENS0_17counting_iteratorIjlEEPS9_SG_NS0_5tupleIJPjSI_NS0_16reverse_iteratorISI_EEEEENSH_IJSG_SG_SG_EEES9_SI_JZNS1_25segmented_radix_sort_implINS0_14default_configELb0EPK12hip_bfloat16PSP_PKlPlN2at6native12_GLOBAL__N_18offset_tEEE10hipError_tPvRmT1_PNSt15iterator_traitsIS13_E10value_typeET2_T3_PNS14_IS19_E10value_typeET4_jRbjT5_S1F_jjP12ihipStream_tbEUljE_ZNSN_ISO_Lb0ESR_SS_SU_SV_SZ_EES10_S11_S12_S13_S17_S18_S19_S1C_S1D_jS1E_jS1F_S1F_jjS1H_bEUljE0_EEES10_S11_S12_S19_S1D_S1F_T6_T7_T9_mT8_S1H_bDpT10_ENKUlT_T0_E_clISt17integral_constantIbLb1EES1U_IbLb0EEEEDaS1Q_S1R_EUlS1Q_E_NS1_11comp_targetILNS1_3genE9ELNS1_11target_archE1100ELNS1_3gpuE3ELNS1_3repE0EEENS1_30default_config_static_selectorELNS0_4arch9wavefront6targetE0EEEvS13_
		.amdhsa_group_segment_fixed_size 0
		.amdhsa_private_segment_fixed_size 0
		.amdhsa_kernarg_size 176
		.amdhsa_user_sgpr_count 2
		.amdhsa_user_sgpr_dispatch_ptr 0
		.amdhsa_user_sgpr_queue_ptr 0
		.amdhsa_user_sgpr_kernarg_segment_ptr 1
		.amdhsa_user_sgpr_dispatch_id 0
		.amdhsa_user_sgpr_kernarg_preload_length 0
		.amdhsa_user_sgpr_kernarg_preload_offset 0
		.amdhsa_user_sgpr_private_segment_size 0
		.amdhsa_wavefront_size32 1
		.amdhsa_uses_dynamic_stack 0
		.amdhsa_enable_private_segment 0
		.amdhsa_system_sgpr_workgroup_id_x 1
		.amdhsa_system_sgpr_workgroup_id_y 0
		.amdhsa_system_sgpr_workgroup_id_z 0
		.amdhsa_system_sgpr_workgroup_info 0
		.amdhsa_system_vgpr_workitem_id 0
		.amdhsa_next_free_vgpr 1
		.amdhsa_next_free_sgpr 1
		.amdhsa_named_barrier_count 0
		.amdhsa_reserve_vcc 0
		.amdhsa_float_round_mode_32 0
		.amdhsa_float_round_mode_16_64 0
		.amdhsa_float_denorm_mode_32 3
		.amdhsa_float_denorm_mode_16_64 3
		.amdhsa_fp16_overflow 0
		.amdhsa_memory_ordered 1
		.amdhsa_forward_progress 1
		.amdhsa_inst_pref_size 0
		.amdhsa_round_robin_scheduling 0
		.amdhsa_exception_fp_ieee_invalid_op 0
		.amdhsa_exception_fp_denorm_src 0
		.amdhsa_exception_fp_ieee_div_zero 0
		.amdhsa_exception_fp_ieee_overflow 0
		.amdhsa_exception_fp_ieee_underflow 0
		.amdhsa_exception_fp_ieee_inexact 0
		.amdhsa_exception_int_div_zero 0
	.end_amdhsa_kernel
	.section	.text._ZN7rocprim17ROCPRIM_400000_NS6detail17trampoline_kernelINS0_13select_configILj256ELj13ELNS0_17block_load_methodE3ELS4_3ELS4_3ELNS0_20block_scan_algorithmE0ELj4294967295EEENS1_25partition_config_selectorILNS1_17partition_subalgoE4EjNS0_10empty_typeEbEEZZNS1_14partition_implILS8_4ELb0ES6_15HIP_vector_typeIjLj2EENS0_17counting_iteratorIjlEEPS9_SG_NS0_5tupleIJPjSI_NS0_16reverse_iteratorISI_EEEEENSH_IJSG_SG_SG_EEES9_SI_JZNS1_25segmented_radix_sort_implINS0_14default_configELb0EPK12hip_bfloat16PSP_PKlPlN2at6native12_GLOBAL__N_18offset_tEEE10hipError_tPvRmT1_PNSt15iterator_traitsIS13_E10value_typeET2_T3_PNS14_IS19_E10value_typeET4_jRbjT5_S1F_jjP12ihipStream_tbEUljE_ZNSN_ISO_Lb0ESR_SS_SU_SV_SZ_EES10_S11_S12_S13_S17_S18_S19_S1C_S1D_jS1E_jS1F_S1F_jjS1H_bEUljE0_EEES10_S11_S12_S19_S1D_S1F_T6_T7_T9_mT8_S1H_bDpT10_ENKUlT_T0_E_clISt17integral_constantIbLb1EES1U_IbLb0EEEEDaS1Q_S1R_EUlS1Q_E_NS1_11comp_targetILNS1_3genE9ELNS1_11target_archE1100ELNS1_3gpuE3ELNS1_3repE0EEENS1_30default_config_static_selectorELNS0_4arch9wavefront6targetE0EEEvS13_,"axG",@progbits,_ZN7rocprim17ROCPRIM_400000_NS6detail17trampoline_kernelINS0_13select_configILj256ELj13ELNS0_17block_load_methodE3ELS4_3ELS4_3ELNS0_20block_scan_algorithmE0ELj4294967295EEENS1_25partition_config_selectorILNS1_17partition_subalgoE4EjNS0_10empty_typeEbEEZZNS1_14partition_implILS8_4ELb0ES6_15HIP_vector_typeIjLj2EENS0_17counting_iteratorIjlEEPS9_SG_NS0_5tupleIJPjSI_NS0_16reverse_iteratorISI_EEEEENSH_IJSG_SG_SG_EEES9_SI_JZNS1_25segmented_radix_sort_implINS0_14default_configELb0EPK12hip_bfloat16PSP_PKlPlN2at6native12_GLOBAL__N_18offset_tEEE10hipError_tPvRmT1_PNSt15iterator_traitsIS13_E10value_typeET2_T3_PNS14_IS19_E10value_typeET4_jRbjT5_S1F_jjP12ihipStream_tbEUljE_ZNSN_ISO_Lb0ESR_SS_SU_SV_SZ_EES10_S11_S12_S13_S17_S18_S19_S1C_S1D_jS1E_jS1F_S1F_jjS1H_bEUljE0_EEES10_S11_S12_S19_S1D_S1F_T6_T7_T9_mT8_S1H_bDpT10_ENKUlT_T0_E_clISt17integral_constantIbLb1EES1U_IbLb0EEEEDaS1Q_S1R_EUlS1Q_E_NS1_11comp_targetILNS1_3genE9ELNS1_11target_archE1100ELNS1_3gpuE3ELNS1_3repE0EEENS1_30default_config_static_selectorELNS0_4arch9wavefront6targetE0EEEvS13_,comdat
.Lfunc_end1997:
	.size	_ZN7rocprim17ROCPRIM_400000_NS6detail17trampoline_kernelINS0_13select_configILj256ELj13ELNS0_17block_load_methodE3ELS4_3ELS4_3ELNS0_20block_scan_algorithmE0ELj4294967295EEENS1_25partition_config_selectorILNS1_17partition_subalgoE4EjNS0_10empty_typeEbEEZZNS1_14partition_implILS8_4ELb0ES6_15HIP_vector_typeIjLj2EENS0_17counting_iteratorIjlEEPS9_SG_NS0_5tupleIJPjSI_NS0_16reverse_iteratorISI_EEEEENSH_IJSG_SG_SG_EEES9_SI_JZNS1_25segmented_radix_sort_implINS0_14default_configELb0EPK12hip_bfloat16PSP_PKlPlN2at6native12_GLOBAL__N_18offset_tEEE10hipError_tPvRmT1_PNSt15iterator_traitsIS13_E10value_typeET2_T3_PNS14_IS19_E10value_typeET4_jRbjT5_S1F_jjP12ihipStream_tbEUljE_ZNSN_ISO_Lb0ESR_SS_SU_SV_SZ_EES10_S11_S12_S13_S17_S18_S19_S1C_S1D_jS1E_jS1F_S1F_jjS1H_bEUljE0_EEES10_S11_S12_S19_S1D_S1F_T6_T7_T9_mT8_S1H_bDpT10_ENKUlT_T0_E_clISt17integral_constantIbLb1EES1U_IbLb0EEEEDaS1Q_S1R_EUlS1Q_E_NS1_11comp_targetILNS1_3genE9ELNS1_11target_archE1100ELNS1_3gpuE3ELNS1_3repE0EEENS1_30default_config_static_selectorELNS0_4arch9wavefront6targetE0EEEvS13_, .Lfunc_end1997-_ZN7rocprim17ROCPRIM_400000_NS6detail17trampoline_kernelINS0_13select_configILj256ELj13ELNS0_17block_load_methodE3ELS4_3ELS4_3ELNS0_20block_scan_algorithmE0ELj4294967295EEENS1_25partition_config_selectorILNS1_17partition_subalgoE4EjNS0_10empty_typeEbEEZZNS1_14partition_implILS8_4ELb0ES6_15HIP_vector_typeIjLj2EENS0_17counting_iteratorIjlEEPS9_SG_NS0_5tupleIJPjSI_NS0_16reverse_iteratorISI_EEEEENSH_IJSG_SG_SG_EEES9_SI_JZNS1_25segmented_radix_sort_implINS0_14default_configELb0EPK12hip_bfloat16PSP_PKlPlN2at6native12_GLOBAL__N_18offset_tEEE10hipError_tPvRmT1_PNSt15iterator_traitsIS13_E10value_typeET2_T3_PNS14_IS19_E10value_typeET4_jRbjT5_S1F_jjP12ihipStream_tbEUljE_ZNSN_ISO_Lb0ESR_SS_SU_SV_SZ_EES10_S11_S12_S13_S17_S18_S19_S1C_S1D_jS1E_jS1F_S1F_jjS1H_bEUljE0_EEES10_S11_S12_S19_S1D_S1F_T6_T7_T9_mT8_S1H_bDpT10_ENKUlT_T0_E_clISt17integral_constantIbLb1EES1U_IbLb0EEEEDaS1Q_S1R_EUlS1Q_E_NS1_11comp_targetILNS1_3genE9ELNS1_11target_archE1100ELNS1_3gpuE3ELNS1_3repE0EEENS1_30default_config_static_selectorELNS0_4arch9wavefront6targetE0EEEvS13_
                                        ; -- End function
	.set _ZN7rocprim17ROCPRIM_400000_NS6detail17trampoline_kernelINS0_13select_configILj256ELj13ELNS0_17block_load_methodE3ELS4_3ELS4_3ELNS0_20block_scan_algorithmE0ELj4294967295EEENS1_25partition_config_selectorILNS1_17partition_subalgoE4EjNS0_10empty_typeEbEEZZNS1_14partition_implILS8_4ELb0ES6_15HIP_vector_typeIjLj2EENS0_17counting_iteratorIjlEEPS9_SG_NS0_5tupleIJPjSI_NS0_16reverse_iteratorISI_EEEEENSH_IJSG_SG_SG_EEES9_SI_JZNS1_25segmented_radix_sort_implINS0_14default_configELb0EPK12hip_bfloat16PSP_PKlPlN2at6native12_GLOBAL__N_18offset_tEEE10hipError_tPvRmT1_PNSt15iterator_traitsIS13_E10value_typeET2_T3_PNS14_IS19_E10value_typeET4_jRbjT5_S1F_jjP12ihipStream_tbEUljE_ZNSN_ISO_Lb0ESR_SS_SU_SV_SZ_EES10_S11_S12_S13_S17_S18_S19_S1C_S1D_jS1E_jS1F_S1F_jjS1H_bEUljE0_EEES10_S11_S12_S19_S1D_S1F_T6_T7_T9_mT8_S1H_bDpT10_ENKUlT_T0_E_clISt17integral_constantIbLb1EES1U_IbLb0EEEEDaS1Q_S1R_EUlS1Q_E_NS1_11comp_targetILNS1_3genE9ELNS1_11target_archE1100ELNS1_3gpuE3ELNS1_3repE0EEENS1_30default_config_static_selectorELNS0_4arch9wavefront6targetE0EEEvS13_.num_vgpr, 0
	.set _ZN7rocprim17ROCPRIM_400000_NS6detail17trampoline_kernelINS0_13select_configILj256ELj13ELNS0_17block_load_methodE3ELS4_3ELS4_3ELNS0_20block_scan_algorithmE0ELj4294967295EEENS1_25partition_config_selectorILNS1_17partition_subalgoE4EjNS0_10empty_typeEbEEZZNS1_14partition_implILS8_4ELb0ES6_15HIP_vector_typeIjLj2EENS0_17counting_iteratorIjlEEPS9_SG_NS0_5tupleIJPjSI_NS0_16reverse_iteratorISI_EEEEENSH_IJSG_SG_SG_EEES9_SI_JZNS1_25segmented_radix_sort_implINS0_14default_configELb0EPK12hip_bfloat16PSP_PKlPlN2at6native12_GLOBAL__N_18offset_tEEE10hipError_tPvRmT1_PNSt15iterator_traitsIS13_E10value_typeET2_T3_PNS14_IS19_E10value_typeET4_jRbjT5_S1F_jjP12ihipStream_tbEUljE_ZNSN_ISO_Lb0ESR_SS_SU_SV_SZ_EES10_S11_S12_S13_S17_S18_S19_S1C_S1D_jS1E_jS1F_S1F_jjS1H_bEUljE0_EEES10_S11_S12_S19_S1D_S1F_T6_T7_T9_mT8_S1H_bDpT10_ENKUlT_T0_E_clISt17integral_constantIbLb1EES1U_IbLb0EEEEDaS1Q_S1R_EUlS1Q_E_NS1_11comp_targetILNS1_3genE9ELNS1_11target_archE1100ELNS1_3gpuE3ELNS1_3repE0EEENS1_30default_config_static_selectorELNS0_4arch9wavefront6targetE0EEEvS13_.num_agpr, 0
	.set _ZN7rocprim17ROCPRIM_400000_NS6detail17trampoline_kernelINS0_13select_configILj256ELj13ELNS0_17block_load_methodE3ELS4_3ELS4_3ELNS0_20block_scan_algorithmE0ELj4294967295EEENS1_25partition_config_selectorILNS1_17partition_subalgoE4EjNS0_10empty_typeEbEEZZNS1_14partition_implILS8_4ELb0ES6_15HIP_vector_typeIjLj2EENS0_17counting_iteratorIjlEEPS9_SG_NS0_5tupleIJPjSI_NS0_16reverse_iteratorISI_EEEEENSH_IJSG_SG_SG_EEES9_SI_JZNS1_25segmented_radix_sort_implINS0_14default_configELb0EPK12hip_bfloat16PSP_PKlPlN2at6native12_GLOBAL__N_18offset_tEEE10hipError_tPvRmT1_PNSt15iterator_traitsIS13_E10value_typeET2_T3_PNS14_IS19_E10value_typeET4_jRbjT5_S1F_jjP12ihipStream_tbEUljE_ZNSN_ISO_Lb0ESR_SS_SU_SV_SZ_EES10_S11_S12_S13_S17_S18_S19_S1C_S1D_jS1E_jS1F_S1F_jjS1H_bEUljE0_EEES10_S11_S12_S19_S1D_S1F_T6_T7_T9_mT8_S1H_bDpT10_ENKUlT_T0_E_clISt17integral_constantIbLb1EES1U_IbLb0EEEEDaS1Q_S1R_EUlS1Q_E_NS1_11comp_targetILNS1_3genE9ELNS1_11target_archE1100ELNS1_3gpuE3ELNS1_3repE0EEENS1_30default_config_static_selectorELNS0_4arch9wavefront6targetE0EEEvS13_.numbered_sgpr, 0
	.set _ZN7rocprim17ROCPRIM_400000_NS6detail17trampoline_kernelINS0_13select_configILj256ELj13ELNS0_17block_load_methodE3ELS4_3ELS4_3ELNS0_20block_scan_algorithmE0ELj4294967295EEENS1_25partition_config_selectorILNS1_17partition_subalgoE4EjNS0_10empty_typeEbEEZZNS1_14partition_implILS8_4ELb0ES6_15HIP_vector_typeIjLj2EENS0_17counting_iteratorIjlEEPS9_SG_NS0_5tupleIJPjSI_NS0_16reverse_iteratorISI_EEEEENSH_IJSG_SG_SG_EEES9_SI_JZNS1_25segmented_radix_sort_implINS0_14default_configELb0EPK12hip_bfloat16PSP_PKlPlN2at6native12_GLOBAL__N_18offset_tEEE10hipError_tPvRmT1_PNSt15iterator_traitsIS13_E10value_typeET2_T3_PNS14_IS19_E10value_typeET4_jRbjT5_S1F_jjP12ihipStream_tbEUljE_ZNSN_ISO_Lb0ESR_SS_SU_SV_SZ_EES10_S11_S12_S13_S17_S18_S19_S1C_S1D_jS1E_jS1F_S1F_jjS1H_bEUljE0_EEES10_S11_S12_S19_S1D_S1F_T6_T7_T9_mT8_S1H_bDpT10_ENKUlT_T0_E_clISt17integral_constantIbLb1EES1U_IbLb0EEEEDaS1Q_S1R_EUlS1Q_E_NS1_11comp_targetILNS1_3genE9ELNS1_11target_archE1100ELNS1_3gpuE3ELNS1_3repE0EEENS1_30default_config_static_selectorELNS0_4arch9wavefront6targetE0EEEvS13_.num_named_barrier, 0
	.set _ZN7rocprim17ROCPRIM_400000_NS6detail17trampoline_kernelINS0_13select_configILj256ELj13ELNS0_17block_load_methodE3ELS4_3ELS4_3ELNS0_20block_scan_algorithmE0ELj4294967295EEENS1_25partition_config_selectorILNS1_17partition_subalgoE4EjNS0_10empty_typeEbEEZZNS1_14partition_implILS8_4ELb0ES6_15HIP_vector_typeIjLj2EENS0_17counting_iteratorIjlEEPS9_SG_NS0_5tupleIJPjSI_NS0_16reverse_iteratorISI_EEEEENSH_IJSG_SG_SG_EEES9_SI_JZNS1_25segmented_radix_sort_implINS0_14default_configELb0EPK12hip_bfloat16PSP_PKlPlN2at6native12_GLOBAL__N_18offset_tEEE10hipError_tPvRmT1_PNSt15iterator_traitsIS13_E10value_typeET2_T3_PNS14_IS19_E10value_typeET4_jRbjT5_S1F_jjP12ihipStream_tbEUljE_ZNSN_ISO_Lb0ESR_SS_SU_SV_SZ_EES10_S11_S12_S13_S17_S18_S19_S1C_S1D_jS1E_jS1F_S1F_jjS1H_bEUljE0_EEES10_S11_S12_S19_S1D_S1F_T6_T7_T9_mT8_S1H_bDpT10_ENKUlT_T0_E_clISt17integral_constantIbLb1EES1U_IbLb0EEEEDaS1Q_S1R_EUlS1Q_E_NS1_11comp_targetILNS1_3genE9ELNS1_11target_archE1100ELNS1_3gpuE3ELNS1_3repE0EEENS1_30default_config_static_selectorELNS0_4arch9wavefront6targetE0EEEvS13_.private_seg_size, 0
	.set _ZN7rocprim17ROCPRIM_400000_NS6detail17trampoline_kernelINS0_13select_configILj256ELj13ELNS0_17block_load_methodE3ELS4_3ELS4_3ELNS0_20block_scan_algorithmE0ELj4294967295EEENS1_25partition_config_selectorILNS1_17partition_subalgoE4EjNS0_10empty_typeEbEEZZNS1_14partition_implILS8_4ELb0ES6_15HIP_vector_typeIjLj2EENS0_17counting_iteratorIjlEEPS9_SG_NS0_5tupleIJPjSI_NS0_16reverse_iteratorISI_EEEEENSH_IJSG_SG_SG_EEES9_SI_JZNS1_25segmented_radix_sort_implINS0_14default_configELb0EPK12hip_bfloat16PSP_PKlPlN2at6native12_GLOBAL__N_18offset_tEEE10hipError_tPvRmT1_PNSt15iterator_traitsIS13_E10value_typeET2_T3_PNS14_IS19_E10value_typeET4_jRbjT5_S1F_jjP12ihipStream_tbEUljE_ZNSN_ISO_Lb0ESR_SS_SU_SV_SZ_EES10_S11_S12_S13_S17_S18_S19_S1C_S1D_jS1E_jS1F_S1F_jjS1H_bEUljE0_EEES10_S11_S12_S19_S1D_S1F_T6_T7_T9_mT8_S1H_bDpT10_ENKUlT_T0_E_clISt17integral_constantIbLb1EES1U_IbLb0EEEEDaS1Q_S1R_EUlS1Q_E_NS1_11comp_targetILNS1_3genE9ELNS1_11target_archE1100ELNS1_3gpuE3ELNS1_3repE0EEENS1_30default_config_static_selectorELNS0_4arch9wavefront6targetE0EEEvS13_.uses_vcc, 0
	.set _ZN7rocprim17ROCPRIM_400000_NS6detail17trampoline_kernelINS0_13select_configILj256ELj13ELNS0_17block_load_methodE3ELS4_3ELS4_3ELNS0_20block_scan_algorithmE0ELj4294967295EEENS1_25partition_config_selectorILNS1_17partition_subalgoE4EjNS0_10empty_typeEbEEZZNS1_14partition_implILS8_4ELb0ES6_15HIP_vector_typeIjLj2EENS0_17counting_iteratorIjlEEPS9_SG_NS0_5tupleIJPjSI_NS0_16reverse_iteratorISI_EEEEENSH_IJSG_SG_SG_EEES9_SI_JZNS1_25segmented_radix_sort_implINS0_14default_configELb0EPK12hip_bfloat16PSP_PKlPlN2at6native12_GLOBAL__N_18offset_tEEE10hipError_tPvRmT1_PNSt15iterator_traitsIS13_E10value_typeET2_T3_PNS14_IS19_E10value_typeET4_jRbjT5_S1F_jjP12ihipStream_tbEUljE_ZNSN_ISO_Lb0ESR_SS_SU_SV_SZ_EES10_S11_S12_S13_S17_S18_S19_S1C_S1D_jS1E_jS1F_S1F_jjS1H_bEUljE0_EEES10_S11_S12_S19_S1D_S1F_T6_T7_T9_mT8_S1H_bDpT10_ENKUlT_T0_E_clISt17integral_constantIbLb1EES1U_IbLb0EEEEDaS1Q_S1R_EUlS1Q_E_NS1_11comp_targetILNS1_3genE9ELNS1_11target_archE1100ELNS1_3gpuE3ELNS1_3repE0EEENS1_30default_config_static_selectorELNS0_4arch9wavefront6targetE0EEEvS13_.uses_flat_scratch, 0
	.set _ZN7rocprim17ROCPRIM_400000_NS6detail17trampoline_kernelINS0_13select_configILj256ELj13ELNS0_17block_load_methodE3ELS4_3ELS4_3ELNS0_20block_scan_algorithmE0ELj4294967295EEENS1_25partition_config_selectorILNS1_17partition_subalgoE4EjNS0_10empty_typeEbEEZZNS1_14partition_implILS8_4ELb0ES6_15HIP_vector_typeIjLj2EENS0_17counting_iteratorIjlEEPS9_SG_NS0_5tupleIJPjSI_NS0_16reverse_iteratorISI_EEEEENSH_IJSG_SG_SG_EEES9_SI_JZNS1_25segmented_radix_sort_implINS0_14default_configELb0EPK12hip_bfloat16PSP_PKlPlN2at6native12_GLOBAL__N_18offset_tEEE10hipError_tPvRmT1_PNSt15iterator_traitsIS13_E10value_typeET2_T3_PNS14_IS19_E10value_typeET4_jRbjT5_S1F_jjP12ihipStream_tbEUljE_ZNSN_ISO_Lb0ESR_SS_SU_SV_SZ_EES10_S11_S12_S13_S17_S18_S19_S1C_S1D_jS1E_jS1F_S1F_jjS1H_bEUljE0_EEES10_S11_S12_S19_S1D_S1F_T6_T7_T9_mT8_S1H_bDpT10_ENKUlT_T0_E_clISt17integral_constantIbLb1EES1U_IbLb0EEEEDaS1Q_S1R_EUlS1Q_E_NS1_11comp_targetILNS1_3genE9ELNS1_11target_archE1100ELNS1_3gpuE3ELNS1_3repE0EEENS1_30default_config_static_selectorELNS0_4arch9wavefront6targetE0EEEvS13_.has_dyn_sized_stack, 0
	.set _ZN7rocprim17ROCPRIM_400000_NS6detail17trampoline_kernelINS0_13select_configILj256ELj13ELNS0_17block_load_methodE3ELS4_3ELS4_3ELNS0_20block_scan_algorithmE0ELj4294967295EEENS1_25partition_config_selectorILNS1_17partition_subalgoE4EjNS0_10empty_typeEbEEZZNS1_14partition_implILS8_4ELb0ES6_15HIP_vector_typeIjLj2EENS0_17counting_iteratorIjlEEPS9_SG_NS0_5tupleIJPjSI_NS0_16reverse_iteratorISI_EEEEENSH_IJSG_SG_SG_EEES9_SI_JZNS1_25segmented_radix_sort_implINS0_14default_configELb0EPK12hip_bfloat16PSP_PKlPlN2at6native12_GLOBAL__N_18offset_tEEE10hipError_tPvRmT1_PNSt15iterator_traitsIS13_E10value_typeET2_T3_PNS14_IS19_E10value_typeET4_jRbjT5_S1F_jjP12ihipStream_tbEUljE_ZNSN_ISO_Lb0ESR_SS_SU_SV_SZ_EES10_S11_S12_S13_S17_S18_S19_S1C_S1D_jS1E_jS1F_S1F_jjS1H_bEUljE0_EEES10_S11_S12_S19_S1D_S1F_T6_T7_T9_mT8_S1H_bDpT10_ENKUlT_T0_E_clISt17integral_constantIbLb1EES1U_IbLb0EEEEDaS1Q_S1R_EUlS1Q_E_NS1_11comp_targetILNS1_3genE9ELNS1_11target_archE1100ELNS1_3gpuE3ELNS1_3repE0EEENS1_30default_config_static_selectorELNS0_4arch9wavefront6targetE0EEEvS13_.has_recursion, 0
	.set _ZN7rocprim17ROCPRIM_400000_NS6detail17trampoline_kernelINS0_13select_configILj256ELj13ELNS0_17block_load_methodE3ELS4_3ELS4_3ELNS0_20block_scan_algorithmE0ELj4294967295EEENS1_25partition_config_selectorILNS1_17partition_subalgoE4EjNS0_10empty_typeEbEEZZNS1_14partition_implILS8_4ELb0ES6_15HIP_vector_typeIjLj2EENS0_17counting_iteratorIjlEEPS9_SG_NS0_5tupleIJPjSI_NS0_16reverse_iteratorISI_EEEEENSH_IJSG_SG_SG_EEES9_SI_JZNS1_25segmented_radix_sort_implINS0_14default_configELb0EPK12hip_bfloat16PSP_PKlPlN2at6native12_GLOBAL__N_18offset_tEEE10hipError_tPvRmT1_PNSt15iterator_traitsIS13_E10value_typeET2_T3_PNS14_IS19_E10value_typeET4_jRbjT5_S1F_jjP12ihipStream_tbEUljE_ZNSN_ISO_Lb0ESR_SS_SU_SV_SZ_EES10_S11_S12_S13_S17_S18_S19_S1C_S1D_jS1E_jS1F_S1F_jjS1H_bEUljE0_EEES10_S11_S12_S19_S1D_S1F_T6_T7_T9_mT8_S1H_bDpT10_ENKUlT_T0_E_clISt17integral_constantIbLb1EES1U_IbLb0EEEEDaS1Q_S1R_EUlS1Q_E_NS1_11comp_targetILNS1_3genE9ELNS1_11target_archE1100ELNS1_3gpuE3ELNS1_3repE0EEENS1_30default_config_static_selectorELNS0_4arch9wavefront6targetE0EEEvS13_.has_indirect_call, 0
	.section	.AMDGPU.csdata,"",@progbits
; Kernel info:
; codeLenInByte = 0
; TotalNumSgprs: 0
; NumVgprs: 0
; ScratchSize: 0
; MemoryBound: 0
; FloatMode: 240
; IeeeMode: 1
; LDSByteSize: 0 bytes/workgroup (compile time only)
; SGPRBlocks: 0
; VGPRBlocks: 0
; NumSGPRsForWavesPerEU: 1
; NumVGPRsForWavesPerEU: 1
; NamedBarCnt: 0
; Occupancy: 16
; WaveLimiterHint : 0
; COMPUTE_PGM_RSRC2:SCRATCH_EN: 0
; COMPUTE_PGM_RSRC2:USER_SGPR: 2
; COMPUTE_PGM_RSRC2:TRAP_HANDLER: 0
; COMPUTE_PGM_RSRC2:TGID_X_EN: 1
; COMPUTE_PGM_RSRC2:TGID_Y_EN: 0
; COMPUTE_PGM_RSRC2:TGID_Z_EN: 0
; COMPUTE_PGM_RSRC2:TIDIG_COMP_CNT: 0
	.section	.text._ZN7rocprim17ROCPRIM_400000_NS6detail17trampoline_kernelINS0_13select_configILj256ELj13ELNS0_17block_load_methodE3ELS4_3ELS4_3ELNS0_20block_scan_algorithmE0ELj4294967295EEENS1_25partition_config_selectorILNS1_17partition_subalgoE4EjNS0_10empty_typeEbEEZZNS1_14partition_implILS8_4ELb0ES6_15HIP_vector_typeIjLj2EENS0_17counting_iteratorIjlEEPS9_SG_NS0_5tupleIJPjSI_NS0_16reverse_iteratorISI_EEEEENSH_IJSG_SG_SG_EEES9_SI_JZNS1_25segmented_radix_sort_implINS0_14default_configELb0EPK12hip_bfloat16PSP_PKlPlN2at6native12_GLOBAL__N_18offset_tEEE10hipError_tPvRmT1_PNSt15iterator_traitsIS13_E10value_typeET2_T3_PNS14_IS19_E10value_typeET4_jRbjT5_S1F_jjP12ihipStream_tbEUljE_ZNSN_ISO_Lb0ESR_SS_SU_SV_SZ_EES10_S11_S12_S13_S17_S18_S19_S1C_S1D_jS1E_jS1F_S1F_jjS1H_bEUljE0_EEES10_S11_S12_S19_S1D_S1F_T6_T7_T9_mT8_S1H_bDpT10_ENKUlT_T0_E_clISt17integral_constantIbLb1EES1U_IbLb0EEEEDaS1Q_S1R_EUlS1Q_E_NS1_11comp_targetILNS1_3genE8ELNS1_11target_archE1030ELNS1_3gpuE2ELNS1_3repE0EEENS1_30default_config_static_selectorELNS0_4arch9wavefront6targetE0EEEvS13_,"axG",@progbits,_ZN7rocprim17ROCPRIM_400000_NS6detail17trampoline_kernelINS0_13select_configILj256ELj13ELNS0_17block_load_methodE3ELS4_3ELS4_3ELNS0_20block_scan_algorithmE0ELj4294967295EEENS1_25partition_config_selectorILNS1_17partition_subalgoE4EjNS0_10empty_typeEbEEZZNS1_14partition_implILS8_4ELb0ES6_15HIP_vector_typeIjLj2EENS0_17counting_iteratorIjlEEPS9_SG_NS0_5tupleIJPjSI_NS0_16reverse_iteratorISI_EEEEENSH_IJSG_SG_SG_EEES9_SI_JZNS1_25segmented_radix_sort_implINS0_14default_configELb0EPK12hip_bfloat16PSP_PKlPlN2at6native12_GLOBAL__N_18offset_tEEE10hipError_tPvRmT1_PNSt15iterator_traitsIS13_E10value_typeET2_T3_PNS14_IS19_E10value_typeET4_jRbjT5_S1F_jjP12ihipStream_tbEUljE_ZNSN_ISO_Lb0ESR_SS_SU_SV_SZ_EES10_S11_S12_S13_S17_S18_S19_S1C_S1D_jS1E_jS1F_S1F_jjS1H_bEUljE0_EEES10_S11_S12_S19_S1D_S1F_T6_T7_T9_mT8_S1H_bDpT10_ENKUlT_T0_E_clISt17integral_constantIbLb1EES1U_IbLb0EEEEDaS1Q_S1R_EUlS1Q_E_NS1_11comp_targetILNS1_3genE8ELNS1_11target_archE1030ELNS1_3gpuE2ELNS1_3repE0EEENS1_30default_config_static_selectorELNS0_4arch9wavefront6targetE0EEEvS13_,comdat
	.globl	_ZN7rocprim17ROCPRIM_400000_NS6detail17trampoline_kernelINS0_13select_configILj256ELj13ELNS0_17block_load_methodE3ELS4_3ELS4_3ELNS0_20block_scan_algorithmE0ELj4294967295EEENS1_25partition_config_selectorILNS1_17partition_subalgoE4EjNS0_10empty_typeEbEEZZNS1_14partition_implILS8_4ELb0ES6_15HIP_vector_typeIjLj2EENS0_17counting_iteratorIjlEEPS9_SG_NS0_5tupleIJPjSI_NS0_16reverse_iteratorISI_EEEEENSH_IJSG_SG_SG_EEES9_SI_JZNS1_25segmented_radix_sort_implINS0_14default_configELb0EPK12hip_bfloat16PSP_PKlPlN2at6native12_GLOBAL__N_18offset_tEEE10hipError_tPvRmT1_PNSt15iterator_traitsIS13_E10value_typeET2_T3_PNS14_IS19_E10value_typeET4_jRbjT5_S1F_jjP12ihipStream_tbEUljE_ZNSN_ISO_Lb0ESR_SS_SU_SV_SZ_EES10_S11_S12_S13_S17_S18_S19_S1C_S1D_jS1E_jS1F_S1F_jjS1H_bEUljE0_EEES10_S11_S12_S19_S1D_S1F_T6_T7_T9_mT8_S1H_bDpT10_ENKUlT_T0_E_clISt17integral_constantIbLb1EES1U_IbLb0EEEEDaS1Q_S1R_EUlS1Q_E_NS1_11comp_targetILNS1_3genE8ELNS1_11target_archE1030ELNS1_3gpuE2ELNS1_3repE0EEENS1_30default_config_static_selectorELNS0_4arch9wavefront6targetE0EEEvS13_ ; -- Begin function _ZN7rocprim17ROCPRIM_400000_NS6detail17trampoline_kernelINS0_13select_configILj256ELj13ELNS0_17block_load_methodE3ELS4_3ELS4_3ELNS0_20block_scan_algorithmE0ELj4294967295EEENS1_25partition_config_selectorILNS1_17partition_subalgoE4EjNS0_10empty_typeEbEEZZNS1_14partition_implILS8_4ELb0ES6_15HIP_vector_typeIjLj2EENS0_17counting_iteratorIjlEEPS9_SG_NS0_5tupleIJPjSI_NS0_16reverse_iteratorISI_EEEEENSH_IJSG_SG_SG_EEES9_SI_JZNS1_25segmented_radix_sort_implINS0_14default_configELb0EPK12hip_bfloat16PSP_PKlPlN2at6native12_GLOBAL__N_18offset_tEEE10hipError_tPvRmT1_PNSt15iterator_traitsIS13_E10value_typeET2_T3_PNS14_IS19_E10value_typeET4_jRbjT5_S1F_jjP12ihipStream_tbEUljE_ZNSN_ISO_Lb0ESR_SS_SU_SV_SZ_EES10_S11_S12_S13_S17_S18_S19_S1C_S1D_jS1E_jS1F_S1F_jjS1H_bEUljE0_EEES10_S11_S12_S19_S1D_S1F_T6_T7_T9_mT8_S1H_bDpT10_ENKUlT_T0_E_clISt17integral_constantIbLb1EES1U_IbLb0EEEEDaS1Q_S1R_EUlS1Q_E_NS1_11comp_targetILNS1_3genE8ELNS1_11target_archE1030ELNS1_3gpuE2ELNS1_3repE0EEENS1_30default_config_static_selectorELNS0_4arch9wavefront6targetE0EEEvS13_
	.p2align	8
	.type	_ZN7rocprim17ROCPRIM_400000_NS6detail17trampoline_kernelINS0_13select_configILj256ELj13ELNS0_17block_load_methodE3ELS4_3ELS4_3ELNS0_20block_scan_algorithmE0ELj4294967295EEENS1_25partition_config_selectorILNS1_17partition_subalgoE4EjNS0_10empty_typeEbEEZZNS1_14partition_implILS8_4ELb0ES6_15HIP_vector_typeIjLj2EENS0_17counting_iteratorIjlEEPS9_SG_NS0_5tupleIJPjSI_NS0_16reverse_iteratorISI_EEEEENSH_IJSG_SG_SG_EEES9_SI_JZNS1_25segmented_radix_sort_implINS0_14default_configELb0EPK12hip_bfloat16PSP_PKlPlN2at6native12_GLOBAL__N_18offset_tEEE10hipError_tPvRmT1_PNSt15iterator_traitsIS13_E10value_typeET2_T3_PNS14_IS19_E10value_typeET4_jRbjT5_S1F_jjP12ihipStream_tbEUljE_ZNSN_ISO_Lb0ESR_SS_SU_SV_SZ_EES10_S11_S12_S13_S17_S18_S19_S1C_S1D_jS1E_jS1F_S1F_jjS1H_bEUljE0_EEES10_S11_S12_S19_S1D_S1F_T6_T7_T9_mT8_S1H_bDpT10_ENKUlT_T0_E_clISt17integral_constantIbLb1EES1U_IbLb0EEEEDaS1Q_S1R_EUlS1Q_E_NS1_11comp_targetILNS1_3genE8ELNS1_11target_archE1030ELNS1_3gpuE2ELNS1_3repE0EEENS1_30default_config_static_selectorELNS0_4arch9wavefront6targetE0EEEvS13_,@function
_ZN7rocprim17ROCPRIM_400000_NS6detail17trampoline_kernelINS0_13select_configILj256ELj13ELNS0_17block_load_methodE3ELS4_3ELS4_3ELNS0_20block_scan_algorithmE0ELj4294967295EEENS1_25partition_config_selectorILNS1_17partition_subalgoE4EjNS0_10empty_typeEbEEZZNS1_14partition_implILS8_4ELb0ES6_15HIP_vector_typeIjLj2EENS0_17counting_iteratorIjlEEPS9_SG_NS0_5tupleIJPjSI_NS0_16reverse_iteratorISI_EEEEENSH_IJSG_SG_SG_EEES9_SI_JZNS1_25segmented_radix_sort_implINS0_14default_configELb0EPK12hip_bfloat16PSP_PKlPlN2at6native12_GLOBAL__N_18offset_tEEE10hipError_tPvRmT1_PNSt15iterator_traitsIS13_E10value_typeET2_T3_PNS14_IS19_E10value_typeET4_jRbjT5_S1F_jjP12ihipStream_tbEUljE_ZNSN_ISO_Lb0ESR_SS_SU_SV_SZ_EES10_S11_S12_S13_S17_S18_S19_S1C_S1D_jS1E_jS1F_S1F_jjS1H_bEUljE0_EEES10_S11_S12_S19_S1D_S1F_T6_T7_T9_mT8_S1H_bDpT10_ENKUlT_T0_E_clISt17integral_constantIbLb1EES1U_IbLb0EEEEDaS1Q_S1R_EUlS1Q_E_NS1_11comp_targetILNS1_3genE8ELNS1_11target_archE1030ELNS1_3gpuE2ELNS1_3repE0EEENS1_30default_config_static_selectorELNS0_4arch9wavefront6targetE0EEEvS13_: ; @_ZN7rocprim17ROCPRIM_400000_NS6detail17trampoline_kernelINS0_13select_configILj256ELj13ELNS0_17block_load_methodE3ELS4_3ELS4_3ELNS0_20block_scan_algorithmE0ELj4294967295EEENS1_25partition_config_selectorILNS1_17partition_subalgoE4EjNS0_10empty_typeEbEEZZNS1_14partition_implILS8_4ELb0ES6_15HIP_vector_typeIjLj2EENS0_17counting_iteratorIjlEEPS9_SG_NS0_5tupleIJPjSI_NS0_16reverse_iteratorISI_EEEEENSH_IJSG_SG_SG_EEES9_SI_JZNS1_25segmented_radix_sort_implINS0_14default_configELb0EPK12hip_bfloat16PSP_PKlPlN2at6native12_GLOBAL__N_18offset_tEEE10hipError_tPvRmT1_PNSt15iterator_traitsIS13_E10value_typeET2_T3_PNS14_IS19_E10value_typeET4_jRbjT5_S1F_jjP12ihipStream_tbEUljE_ZNSN_ISO_Lb0ESR_SS_SU_SV_SZ_EES10_S11_S12_S13_S17_S18_S19_S1C_S1D_jS1E_jS1F_S1F_jjS1H_bEUljE0_EEES10_S11_S12_S19_S1D_S1F_T6_T7_T9_mT8_S1H_bDpT10_ENKUlT_T0_E_clISt17integral_constantIbLb1EES1U_IbLb0EEEEDaS1Q_S1R_EUlS1Q_E_NS1_11comp_targetILNS1_3genE8ELNS1_11target_archE1030ELNS1_3gpuE2ELNS1_3repE0EEENS1_30default_config_static_selectorELNS0_4arch9wavefront6targetE0EEEvS13_
; %bb.0:
	.section	.rodata,"a",@progbits
	.p2align	6, 0x0
	.amdhsa_kernel _ZN7rocprim17ROCPRIM_400000_NS6detail17trampoline_kernelINS0_13select_configILj256ELj13ELNS0_17block_load_methodE3ELS4_3ELS4_3ELNS0_20block_scan_algorithmE0ELj4294967295EEENS1_25partition_config_selectorILNS1_17partition_subalgoE4EjNS0_10empty_typeEbEEZZNS1_14partition_implILS8_4ELb0ES6_15HIP_vector_typeIjLj2EENS0_17counting_iteratorIjlEEPS9_SG_NS0_5tupleIJPjSI_NS0_16reverse_iteratorISI_EEEEENSH_IJSG_SG_SG_EEES9_SI_JZNS1_25segmented_radix_sort_implINS0_14default_configELb0EPK12hip_bfloat16PSP_PKlPlN2at6native12_GLOBAL__N_18offset_tEEE10hipError_tPvRmT1_PNSt15iterator_traitsIS13_E10value_typeET2_T3_PNS14_IS19_E10value_typeET4_jRbjT5_S1F_jjP12ihipStream_tbEUljE_ZNSN_ISO_Lb0ESR_SS_SU_SV_SZ_EES10_S11_S12_S13_S17_S18_S19_S1C_S1D_jS1E_jS1F_S1F_jjS1H_bEUljE0_EEES10_S11_S12_S19_S1D_S1F_T6_T7_T9_mT8_S1H_bDpT10_ENKUlT_T0_E_clISt17integral_constantIbLb1EES1U_IbLb0EEEEDaS1Q_S1R_EUlS1Q_E_NS1_11comp_targetILNS1_3genE8ELNS1_11target_archE1030ELNS1_3gpuE2ELNS1_3repE0EEENS1_30default_config_static_selectorELNS0_4arch9wavefront6targetE0EEEvS13_
		.amdhsa_group_segment_fixed_size 0
		.amdhsa_private_segment_fixed_size 0
		.amdhsa_kernarg_size 176
		.amdhsa_user_sgpr_count 2
		.amdhsa_user_sgpr_dispatch_ptr 0
		.amdhsa_user_sgpr_queue_ptr 0
		.amdhsa_user_sgpr_kernarg_segment_ptr 1
		.amdhsa_user_sgpr_dispatch_id 0
		.amdhsa_user_sgpr_kernarg_preload_length 0
		.amdhsa_user_sgpr_kernarg_preload_offset 0
		.amdhsa_user_sgpr_private_segment_size 0
		.amdhsa_wavefront_size32 1
		.amdhsa_uses_dynamic_stack 0
		.amdhsa_enable_private_segment 0
		.amdhsa_system_sgpr_workgroup_id_x 1
		.amdhsa_system_sgpr_workgroup_id_y 0
		.amdhsa_system_sgpr_workgroup_id_z 0
		.amdhsa_system_sgpr_workgroup_info 0
		.amdhsa_system_vgpr_workitem_id 0
		.amdhsa_next_free_vgpr 1
		.amdhsa_next_free_sgpr 1
		.amdhsa_named_barrier_count 0
		.amdhsa_reserve_vcc 0
		.amdhsa_float_round_mode_32 0
		.amdhsa_float_round_mode_16_64 0
		.amdhsa_float_denorm_mode_32 3
		.amdhsa_float_denorm_mode_16_64 3
		.amdhsa_fp16_overflow 0
		.amdhsa_memory_ordered 1
		.amdhsa_forward_progress 1
		.amdhsa_inst_pref_size 0
		.amdhsa_round_robin_scheduling 0
		.amdhsa_exception_fp_ieee_invalid_op 0
		.amdhsa_exception_fp_denorm_src 0
		.amdhsa_exception_fp_ieee_div_zero 0
		.amdhsa_exception_fp_ieee_overflow 0
		.amdhsa_exception_fp_ieee_underflow 0
		.amdhsa_exception_fp_ieee_inexact 0
		.amdhsa_exception_int_div_zero 0
	.end_amdhsa_kernel
	.section	.text._ZN7rocprim17ROCPRIM_400000_NS6detail17trampoline_kernelINS0_13select_configILj256ELj13ELNS0_17block_load_methodE3ELS4_3ELS4_3ELNS0_20block_scan_algorithmE0ELj4294967295EEENS1_25partition_config_selectorILNS1_17partition_subalgoE4EjNS0_10empty_typeEbEEZZNS1_14partition_implILS8_4ELb0ES6_15HIP_vector_typeIjLj2EENS0_17counting_iteratorIjlEEPS9_SG_NS0_5tupleIJPjSI_NS0_16reverse_iteratorISI_EEEEENSH_IJSG_SG_SG_EEES9_SI_JZNS1_25segmented_radix_sort_implINS0_14default_configELb0EPK12hip_bfloat16PSP_PKlPlN2at6native12_GLOBAL__N_18offset_tEEE10hipError_tPvRmT1_PNSt15iterator_traitsIS13_E10value_typeET2_T3_PNS14_IS19_E10value_typeET4_jRbjT5_S1F_jjP12ihipStream_tbEUljE_ZNSN_ISO_Lb0ESR_SS_SU_SV_SZ_EES10_S11_S12_S13_S17_S18_S19_S1C_S1D_jS1E_jS1F_S1F_jjS1H_bEUljE0_EEES10_S11_S12_S19_S1D_S1F_T6_T7_T9_mT8_S1H_bDpT10_ENKUlT_T0_E_clISt17integral_constantIbLb1EES1U_IbLb0EEEEDaS1Q_S1R_EUlS1Q_E_NS1_11comp_targetILNS1_3genE8ELNS1_11target_archE1030ELNS1_3gpuE2ELNS1_3repE0EEENS1_30default_config_static_selectorELNS0_4arch9wavefront6targetE0EEEvS13_,"axG",@progbits,_ZN7rocprim17ROCPRIM_400000_NS6detail17trampoline_kernelINS0_13select_configILj256ELj13ELNS0_17block_load_methodE3ELS4_3ELS4_3ELNS0_20block_scan_algorithmE0ELj4294967295EEENS1_25partition_config_selectorILNS1_17partition_subalgoE4EjNS0_10empty_typeEbEEZZNS1_14partition_implILS8_4ELb0ES6_15HIP_vector_typeIjLj2EENS0_17counting_iteratorIjlEEPS9_SG_NS0_5tupleIJPjSI_NS0_16reverse_iteratorISI_EEEEENSH_IJSG_SG_SG_EEES9_SI_JZNS1_25segmented_radix_sort_implINS0_14default_configELb0EPK12hip_bfloat16PSP_PKlPlN2at6native12_GLOBAL__N_18offset_tEEE10hipError_tPvRmT1_PNSt15iterator_traitsIS13_E10value_typeET2_T3_PNS14_IS19_E10value_typeET4_jRbjT5_S1F_jjP12ihipStream_tbEUljE_ZNSN_ISO_Lb0ESR_SS_SU_SV_SZ_EES10_S11_S12_S13_S17_S18_S19_S1C_S1D_jS1E_jS1F_S1F_jjS1H_bEUljE0_EEES10_S11_S12_S19_S1D_S1F_T6_T7_T9_mT8_S1H_bDpT10_ENKUlT_T0_E_clISt17integral_constantIbLb1EES1U_IbLb0EEEEDaS1Q_S1R_EUlS1Q_E_NS1_11comp_targetILNS1_3genE8ELNS1_11target_archE1030ELNS1_3gpuE2ELNS1_3repE0EEENS1_30default_config_static_selectorELNS0_4arch9wavefront6targetE0EEEvS13_,comdat
.Lfunc_end1998:
	.size	_ZN7rocprim17ROCPRIM_400000_NS6detail17trampoline_kernelINS0_13select_configILj256ELj13ELNS0_17block_load_methodE3ELS4_3ELS4_3ELNS0_20block_scan_algorithmE0ELj4294967295EEENS1_25partition_config_selectorILNS1_17partition_subalgoE4EjNS0_10empty_typeEbEEZZNS1_14partition_implILS8_4ELb0ES6_15HIP_vector_typeIjLj2EENS0_17counting_iteratorIjlEEPS9_SG_NS0_5tupleIJPjSI_NS0_16reverse_iteratorISI_EEEEENSH_IJSG_SG_SG_EEES9_SI_JZNS1_25segmented_radix_sort_implINS0_14default_configELb0EPK12hip_bfloat16PSP_PKlPlN2at6native12_GLOBAL__N_18offset_tEEE10hipError_tPvRmT1_PNSt15iterator_traitsIS13_E10value_typeET2_T3_PNS14_IS19_E10value_typeET4_jRbjT5_S1F_jjP12ihipStream_tbEUljE_ZNSN_ISO_Lb0ESR_SS_SU_SV_SZ_EES10_S11_S12_S13_S17_S18_S19_S1C_S1D_jS1E_jS1F_S1F_jjS1H_bEUljE0_EEES10_S11_S12_S19_S1D_S1F_T6_T7_T9_mT8_S1H_bDpT10_ENKUlT_T0_E_clISt17integral_constantIbLb1EES1U_IbLb0EEEEDaS1Q_S1R_EUlS1Q_E_NS1_11comp_targetILNS1_3genE8ELNS1_11target_archE1030ELNS1_3gpuE2ELNS1_3repE0EEENS1_30default_config_static_selectorELNS0_4arch9wavefront6targetE0EEEvS13_, .Lfunc_end1998-_ZN7rocprim17ROCPRIM_400000_NS6detail17trampoline_kernelINS0_13select_configILj256ELj13ELNS0_17block_load_methodE3ELS4_3ELS4_3ELNS0_20block_scan_algorithmE0ELj4294967295EEENS1_25partition_config_selectorILNS1_17partition_subalgoE4EjNS0_10empty_typeEbEEZZNS1_14partition_implILS8_4ELb0ES6_15HIP_vector_typeIjLj2EENS0_17counting_iteratorIjlEEPS9_SG_NS0_5tupleIJPjSI_NS0_16reverse_iteratorISI_EEEEENSH_IJSG_SG_SG_EEES9_SI_JZNS1_25segmented_radix_sort_implINS0_14default_configELb0EPK12hip_bfloat16PSP_PKlPlN2at6native12_GLOBAL__N_18offset_tEEE10hipError_tPvRmT1_PNSt15iterator_traitsIS13_E10value_typeET2_T3_PNS14_IS19_E10value_typeET4_jRbjT5_S1F_jjP12ihipStream_tbEUljE_ZNSN_ISO_Lb0ESR_SS_SU_SV_SZ_EES10_S11_S12_S13_S17_S18_S19_S1C_S1D_jS1E_jS1F_S1F_jjS1H_bEUljE0_EEES10_S11_S12_S19_S1D_S1F_T6_T7_T9_mT8_S1H_bDpT10_ENKUlT_T0_E_clISt17integral_constantIbLb1EES1U_IbLb0EEEEDaS1Q_S1R_EUlS1Q_E_NS1_11comp_targetILNS1_3genE8ELNS1_11target_archE1030ELNS1_3gpuE2ELNS1_3repE0EEENS1_30default_config_static_selectorELNS0_4arch9wavefront6targetE0EEEvS13_
                                        ; -- End function
	.set _ZN7rocprim17ROCPRIM_400000_NS6detail17trampoline_kernelINS0_13select_configILj256ELj13ELNS0_17block_load_methodE3ELS4_3ELS4_3ELNS0_20block_scan_algorithmE0ELj4294967295EEENS1_25partition_config_selectorILNS1_17partition_subalgoE4EjNS0_10empty_typeEbEEZZNS1_14partition_implILS8_4ELb0ES6_15HIP_vector_typeIjLj2EENS0_17counting_iteratorIjlEEPS9_SG_NS0_5tupleIJPjSI_NS0_16reverse_iteratorISI_EEEEENSH_IJSG_SG_SG_EEES9_SI_JZNS1_25segmented_radix_sort_implINS0_14default_configELb0EPK12hip_bfloat16PSP_PKlPlN2at6native12_GLOBAL__N_18offset_tEEE10hipError_tPvRmT1_PNSt15iterator_traitsIS13_E10value_typeET2_T3_PNS14_IS19_E10value_typeET4_jRbjT5_S1F_jjP12ihipStream_tbEUljE_ZNSN_ISO_Lb0ESR_SS_SU_SV_SZ_EES10_S11_S12_S13_S17_S18_S19_S1C_S1D_jS1E_jS1F_S1F_jjS1H_bEUljE0_EEES10_S11_S12_S19_S1D_S1F_T6_T7_T9_mT8_S1H_bDpT10_ENKUlT_T0_E_clISt17integral_constantIbLb1EES1U_IbLb0EEEEDaS1Q_S1R_EUlS1Q_E_NS1_11comp_targetILNS1_3genE8ELNS1_11target_archE1030ELNS1_3gpuE2ELNS1_3repE0EEENS1_30default_config_static_selectorELNS0_4arch9wavefront6targetE0EEEvS13_.num_vgpr, 0
	.set _ZN7rocprim17ROCPRIM_400000_NS6detail17trampoline_kernelINS0_13select_configILj256ELj13ELNS0_17block_load_methodE3ELS4_3ELS4_3ELNS0_20block_scan_algorithmE0ELj4294967295EEENS1_25partition_config_selectorILNS1_17partition_subalgoE4EjNS0_10empty_typeEbEEZZNS1_14partition_implILS8_4ELb0ES6_15HIP_vector_typeIjLj2EENS0_17counting_iteratorIjlEEPS9_SG_NS0_5tupleIJPjSI_NS0_16reverse_iteratorISI_EEEEENSH_IJSG_SG_SG_EEES9_SI_JZNS1_25segmented_radix_sort_implINS0_14default_configELb0EPK12hip_bfloat16PSP_PKlPlN2at6native12_GLOBAL__N_18offset_tEEE10hipError_tPvRmT1_PNSt15iterator_traitsIS13_E10value_typeET2_T3_PNS14_IS19_E10value_typeET4_jRbjT5_S1F_jjP12ihipStream_tbEUljE_ZNSN_ISO_Lb0ESR_SS_SU_SV_SZ_EES10_S11_S12_S13_S17_S18_S19_S1C_S1D_jS1E_jS1F_S1F_jjS1H_bEUljE0_EEES10_S11_S12_S19_S1D_S1F_T6_T7_T9_mT8_S1H_bDpT10_ENKUlT_T0_E_clISt17integral_constantIbLb1EES1U_IbLb0EEEEDaS1Q_S1R_EUlS1Q_E_NS1_11comp_targetILNS1_3genE8ELNS1_11target_archE1030ELNS1_3gpuE2ELNS1_3repE0EEENS1_30default_config_static_selectorELNS0_4arch9wavefront6targetE0EEEvS13_.num_agpr, 0
	.set _ZN7rocprim17ROCPRIM_400000_NS6detail17trampoline_kernelINS0_13select_configILj256ELj13ELNS0_17block_load_methodE3ELS4_3ELS4_3ELNS0_20block_scan_algorithmE0ELj4294967295EEENS1_25partition_config_selectorILNS1_17partition_subalgoE4EjNS0_10empty_typeEbEEZZNS1_14partition_implILS8_4ELb0ES6_15HIP_vector_typeIjLj2EENS0_17counting_iteratorIjlEEPS9_SG_NS0_5tupleIJPjSI_NS0_16reverse_iteratorISI_EEEEENSH_IJSG_SG_SG_EEES9_SI_JZNS1_25segmented_radix_sort_implINS0_14default_configELb0EPK12hip_bfloat16PSP_PKlPlN2at6native12_GLOBAL__N_18offset_tEEE10hipError_tPvRmT1_PNSt15iterator_traitsIS13_E10value_typeET2_T3_PNS14_IS19_E10value_typeET4_jRbjT5_S1F_jjP12ihipStream_tbEUljE_ZNSN_ISO_Lb0ESR_SS_SU_SV_SZ_EES10_S11_S12_S13_S17_S18_S19_S1C_S1D_jS1E_jS1F_S1F_jjS1H_bEUljE0_EEES10_S11_S12_S19_S1D_S1F_T6_T7_T9_mT8_S1H_bDpT10_ENKUlT_T0_E_clISt17integral_constantIbLb1EES1U_IbLb0EEEEDaS1Q_S1R_EUlS1Q_E_NS1_11comp_targetILNS1_3genE8ELNS1_11target_archE1030ELNS1_3gpuE2ELNS1_3repE0EEENS1_30default_config_static_selectorELNS0_4arch9wavefront6targetE0EEEvS13_.numbered_sgpr, 0
	.set _ZN7rocprim17ROCPRIM_400000_NS6detail17trampoline_kernelINS0_13select_configILj256ELj13ELNS0_17block_load_methodE3ELS4_3ELS4_3ELNS0_20block_scan_algorithmE0ELj4294967295EEENS1_25partition_config_selectorILNS1_17partition_subalgoE4EjNS0_10empty_typeEbEEZZNS1_14partition_implILS8_4ELb0ES6_15HIP_vector_typeIjLj2EENS0_17counting_iteratorIjlEEPS9_SG_NS0_5tupleIJPjSI_NS0_16reverse_iteratorISI_EEEEENSH_IJSG_SG_SG_EEES9_SI_JZNS1_25segmented_radix_sort_implINS0_14default_configELb0EPK12hip_bfloat16PSP_PKlPlN2at6native12_GLOBAL__N_18offset_tEEE10hipError_tPvRmT1_PNSt15iterator_traitsIS13_E10value_typeET2_T3_PNS14_IS19_E10value_typeET4_jRbjT5_S1F_jjP12ihipStream_tbEUljE_ZNSN_ISO_Lb0ESR_SS_SU_SV_SZ_EES10_S11_S12_S13_S17_S18_S19_S1C_S1D_jS1E_jS1F_S1F_jjS1H_bEUljE0_EEES10_S11_S12_S19_S1D_S1F_T6_T7_T9_mT8_S1H_bDpT10_ENKUlT_T0_E_clISt17integral_constantIbLb1EES1U_IbLb0EEEEDaS1Q_S1R_EUlS1Q_E_NS1_11comp_targetILNS1_3genE8ELNS1_11target_archE1030ELNS1_3gpuE2ELNS1_3repE0EEENS1_30default_config_static_selectorELNS0_4arch9wavefront6targetE0EEEvS13_.num_named_barrier, 0
	.set _ZN7rocprim17ROCPRIM_400000_NS6detail17trampoline_kernelINS0_13select_configILj256ELj13ELNS0_17block_load_methodE3ELS4_3ELS4_3ELNS0_20block_scan_algorithmE0ELj4294967295EEENS1_25partition_config_selectorILNS1_17partition_subalgoE4EjNS0_10empty_typeEbEEZZNS1_14partition_implILS8_4ELb0ES6_15HIP_vector_typeIjLj2EENS0_17counting_iteratorIjlEEPS9_SG_NS0_5tupleIJPjSI_NS0_16reverse_iteratorISI_EEEEENSH_IJSG_SG_SG_EEES9_SI_JZNS1_25segmented_radix_sort_implINS0_14default_configELb0EPK12hip_bfloat16PSP_PKlPlN2at6native12_GLOBAL__N_18offset_tEEE10hipError_tPvRmT1_PNSt15iterator_traitsIS13_E10value_typeET2_T3_PNS14_IS19_E10value_typeET4_jRbjT5_S1F_jjP12ihipStream_tbEUljE_ZNSN_ISO_Lb0ESR_SS_SU_SV_SZ_EES10_S11_S12_S13_S17_S18_S19_S1C_S1D_jS1E_jS1F_S1F_jjS1H_bEUljE0_EEES10_S11_S12_S19_S1D_S1F_T6_T7_T9_mT8_S1H_bDpT10_ENKUlT_T0_E_clISt17integral_constantIbLb1EES1U_IbLb0EEEEDaS1Q_S1R_EUlS1Q_E_NS1_11comp_targetILNS1_3genE8ELNS1_11target_archE1030ELNS1_3gpuE2ELNS1_3repE0EEENS1_30default_config_static_selectorELNS0_4arch9wavefront6targetE0EEEvS13_.private_seg_size, 0
	.set _ZN7rocprim17ROCPRIM_400000_NS6detail17trampoline_kernelINS0_13select_configILj256ELj13ELNS0_17block_load_methodE3ELS4_3ELS4_3ELNS0_20block_scan_algorithmE0ELj4294967295EEENS1_25partition_config_selectorILNS1_17partition_subalgoE4EjNS0_10empty_typeEbEEZZNS1_14partition_implILS8_4ELb0ES6_15HIP_vector_typeIjLj2EENS0_17counting_iteratorIjlEEPS9_SG_NS0_5tupleIJPjSI_NS0_16reverse_iteratorISI_EEEEENSH_IJSG_SG_SG_EEES9_SI_JZNS1_25segmented_radix_sort_implINS0_14default_configELb0EPK12hip_bfloat16PSP_PKlPlN2at6native12_GLOBAL__N_18offset_tEEE10hipError_tPvRmT1_PNSt15iterator_traitsIS13_E10value_typeET2_T3_PNS14_IS19_E10value_typeET4_jRbjT5_S1F_jjP12ihipStream_tbEUljE_ZNSN_ISO_Lb0ESR_SS_SU_SV_SZ_EES10_S11_S12_S13_S17_S18_S19_S1C_S1D_jS1E_jS1F_S1F_jjS1H_bEUljE0_EEES10_S11_S12_S19_S1D_S1F_T6_T7_T9_mT8_S1H_bDpT10_ENKUlT_T0_E_clISt17integral_constantIbLb1EES1U_IbLb0EEEEDaS1Q_S1R_EUlS1Q_E_NS1_11comp_targetILNS1_3genE8ELNS1_11target_archE1030ELNS1_3gpuE2ELNS1_3repE0EEENS1_30default_config_static_selectorELNS0_4arch9wavefront6targetE0EEEvS13_.uses_vcc, 0
	.set _ZN7rocprim17ROCPRIM_400000_NS6detail17trampoline_kernelINS0_13select_configILj256ELj13ELNS0_17block_load_methodE3ELS4_3ELS4_3ELNS0_20block_scan_algorithmE0ELj4294967295EEENS1_25partition_config_selectorILNS1_17partition_subalgoE4EjNS0_10empty_typeEbEEZZNS1_14partition_implILS8_4ELb0ES6_15HIP_vector_typeIjLj2EENS0_17counting_iteratorIjlEEPS9_SG_NS0_5tupleIJPjSI_NS0_16reverse_iteratorISI_EEEEENSH_IJSG_SG_SG_EEES9_SI_JZNS1_25segmented_radix_sort_implINS0_14default_configELb0EPK12hip_bfloat16PSP_PKlPlN2at6native12_GLOBAL__N_18offset_tEEE10hipError_tPvRmT1_PNSt15iterator_traitsIS13_E10value_typeET2_T3_PNS14_IS19_E10value_typeET4_jRbjT5_S1F_jjP12ihipStream_tbEUljE_ZNSN_ISO_Lb0ESR_SS_SU_SV_SZ_EES10_S11_S12_S13_S17_S18_S19_S1C_S1D_jS1E_jS1F_S1F_jjS1H_bEUljE0_EEES10_S11_S12_S19_S1D_S1F_T6_T7_T9_mT8_S1H_bDpT10_ENKUlT_T0_E_clISt17integral_constantIbLb1EES1U_IbLb0EEEEDaS1Q_S1R_EUlS1Q_E_NS1_11comp_targetILNS1_3genE8ELNS1_11target_archE1030ELNS1_3gpuE2ELNS1_3repE0EEENS1_30default_config_static_selectorELNS0_4arch9wavefront6targetE0EEEvS13_.uses_flat_scratch, 0
	.set _ZN7rocprim17ROCPRIM_400000_NS6detail17trampoline_kernelINS0_13select_configILj256ELj13ELNS0_17block_load_methodE3ELS4_3ELS4_3ELNS0_20block_scan_algorithmE0ELj4294967295EEENS1_25partition_config_selectorILNS1_17partition_subalgoE4EjNS0_10empty_typeEbEEZZNS1_14partition_implILS8_4ELb0ES6_15HIP_vector_typeIjLj2EENS0_17counting_iteratorIjlEEPS9_SG_NS0_5tupleIJPjSI_NS0_16reverse_iteratorISI_EEEEENSH_IJSG_SG_SG_EEES9_SI_JZNS1_25segmented_radix_sort_implINS0_14default_configELb0EPK12hip_bfloat16PSP_PKlPlN2at6native12_GLOBAL__N_18offset_tEEE10hipError_tPvRmT1_PNSt15iterator_traitsIS13_E10value_typeET2_T3_PNS14_IS19_E10value_typeET4_jRbjT5_S1F_jjP12ihipStream_tbEUljE_ZNSN_ISO_Lb0ESR_SS_SU_SV_SZ_EES10_S11_S12_S13_S17_S18_S19_S1C_S1D_jS1E_jS1F_S1F_jjS1H_bEUljE0_EEES10_S11_S12_S19_S1D_S1F_T6_T7_T9_mT8_S1H_bDpT10_ENKUlT_T0_E_clISt17integral_constantIbLb1EES1U_IbLb0EEEEDaS1Q_S1R_EUlS1Q_E_NS1_11comp_targetILNS1_3genE8ELNS1_11target_archE1030ELNS1_3gpuE2ELNS1_3repE0EEENS1_30default_config_static_selectorELNS0_4arch9wavefront6targetE0EEEvS13_.has_dyn_sized_stack, 0
	.set _ZN7rocprim17ROCPRIM_400000_NS6detail17trampoline_kernelINS0_13select_configILj256ELj13ELNS0_17block_load_methodE3ELS4_3ELS4_3ELNS0_20block_scan_algorithmE0ELj4294967295EEENS1_25partition_config_selectorILNS1_17partition_subalgoE4EjNS0_10empty_typeEbEEZZNS1_14partition_implILS8_4ELb0ES6_15HIP_vector_typeIjLj2EENS0_17counting_iteratorIjlEEPS9_SG_NS0_5tupleIJPjSI_NS0_16reverse_iteratorISI_EEEEENSH_IJSG_SG_SG_EEES9_SI_JZNS1_25segmented_radix_sort_implINS0_14default_configELb0EPK12hip_bfloat16PSP_PKlPlN2at6native12_GLOBAL__N_18offset_tEEE10hipError_tPvRmT1_PNSt15iterator_traitsIS13_E10value_typeET2_T3_PNS14_IS19_E10value_typeET4_jRbjT5_S1F_jjP12ihipStream_tbEUljE_ZNSN_ISO_Lb0ESR_SS_SU_SV_SZ_EES10_S11_S12_S13_S17_S18_S19_S1C_S1D_jS1E_jS1F_S1F_jjS1H_bEUljE0_EEES10_S11_S12_S19_S1D_S1F_T6_T7_T9_mT8_S1H_bDpT10_ENKUlT_T0_E_clISt17integral_constantIbLb1EES1U_IbLb0EEEEDaS1Q_S1R_EUlS1Q_E_NS1_11comp_targetILNS1_3genE8ELNS1_11target_archE1030ELNS1_3gpuE2ELNS1_3repE0EEENS1_30default_config_static_selectorELNS0_4arch9wavefront6targetE0EEEvS13_.has_recursion, 0
	.set _ZN7rocprim17ROCPRIM_400000_NS6detail17trampoline_kernelINS0_13select_configILj256ELj13ELNS0_17block_load_methodE3ELS4_3ELS4_3ELNS0_20block_scan_algorithmE0ELj4294967295EEENS1_25partition_config_selectorILNS1_17partition_subalgoE4EjNS0_10empty_typeEbEEZZNS1_14partition_implILS8_4ELb0ES6_15HIP_vector_typeIjLj2EENS0_17counting_iteratorIjlEEPS9_SG_NS0_5tupleIJPjSI_NS0_16reverse_iteratorISI_EEEEENSH_IJSG_SG_SG_EEES9_SI_JZNS1_25segmented_radix_sort_implINS0_14default_configELb0EPK12hip_bfloat16PSP_PKlPlN2at6native12_GLOBAL__N_18offset_tEEE10hipError_tPvRmT1_PNSt15iterator_traitsIS13_E10value_typeET2_T3_PNS14_IS19_E10value_typeET4_jRbjT5_S1F_jjP12ihipStream_tbEUljE_ZNSN_ISO_Lb0ESR_SS_SU_SV_SZ_EES10_S11_S12_S13_S17_S18_S19_S1C_S1D_jS1E_jS1F_S1F_jjS1H_bEUljE0_EEES10_S11_S12_S19_S1D_S1F_T6_T7_T9_mT8_S1H_bDpT10_ENKUlT_T0_E_clISt17integral_constantIbLb1EES1U_IbLb0EEEEDaS1Q_S1R_EUlS1Q_E_NS1_11comp_targetILNS1_3genE8ELNS1_11target_archE1030ELNS1_3gpuE2ELNS1_3repE0EEENS1_30default_config_static_selectorELNS0_4arch9wavefront6targetE0EEEvS13_.has_indirect_call, 0
	.section	.AMDGPU.csdata,"",@progbits
; Kernel info:
; codeLenInByte = 0
; TotalNumSgprs: 0
; NumVgprs: 0
; ScratchSize: 0
; MemoryBound: 0
; FloatMode: 240
; IeeeMode: 1
; LDSByteSize: 0 bytes/workgroup (compile time only)
; SGPRBlocks: 0
; VGPRBlocks: 0
; NumSGPRsForWavesPerEU: 1
; NumVGPRsForWavesPerEU: 1
; NamedBarCnt: 0
; Occupancy: 16
; WaveLimiterHint : 0
; COMPUTE_PGM_RSRC2:SCRATCH_EN: 0
; COMPUTE_PGM_RSRC2:USER_SGPR: 2
; COMPUTE_PGM_RSRC2:TRAP_HANDLER: 0
; COMPUTE_PGM_RSRC2:TGID_X_EN: 1
; COMPUTE_PGM_RSRC2:TGID_Y_EN: 0
; COMPUTE_PGM_RSRC2:TGID_Z_EN: 0
; COMPUTE_PGM_RSRC2:TIDIG_COMP_CNT: 0
	.section	.text._ZN7rocprim17ROCPRIM_400000_NS6detail17trampoline_kernelINS0_13select_configILj256ELj13ELNS0_17block_load_methodE3ELS4_3ELS4_3ELNS0_20block_scan_algorithmE0ELj4294967295EEENS1_25partition_config_selectorILNS1_17partition_subalgoE4EjNS0_10empty_typeEbEEZZNS1_14partition_implILS8_4ELb0ES6_15HIP_vector_typeIjLj2EENS0_17counting_iteratorIjlEEPS9_SG_NS0_5tupleIJPjSI_NS0_16reverse_iteratorISI_EEEEENSH_IJSG_SG_SG_EEES9_SI_JZNS1_25segmented_radix_sort_implINS0_14default_configELb0EPK12hip_bfloat16PSP_PKlPlN2at6native12_GLOBAL__N_18offset_tEEE10hipError_tPvRmT1_PNSt15iterator_traitsIS13_E10value_typeET2_T3_PNS14_IS19_E10value_typeET4_jRbjT5_S1F_jjP12ihipStream_tbEUljE_ZNSN_ISO_Lb0ESR_SS_SU_SV_SZ_EES10_S11_S12_S13_S17_S18_S19_S1C_S1D_jS1E_jS1F_S1F_jjS1H_bEUljE0_EEES10_S11_S12_S19_S1D_S1F_T6_T7_T9_mT8_S1H_bDpT10_ENKUlT_T0_E_clISt17integral_constantIbLb0EES1U_IbLb1EEEEDaS1Q_S1R_EUlS1Q_E_NS1_11comp_targetILNS1_3genE0ELNS1_11target_archE4294967295ELNS1_3gpuE0ELNS1_3repE0EEENS1_30default_config_static_selectorELNS0_4arch9wavefront6targetE0EEEvS13_,"axG",@progbits,_ZN7rocprim17ROCPRIM_400000_NS6detail17trampoline_kernelINS0_13select_configILj256ELj13ELNS0_17block_load_methodE3ELS4_3ELS4_3ELNS0_20block_scan_algorithmE0ELj4294967295EEENS1_25partition_config_selectorILNS1_17partition_subalgoE4EjNS0_10empty_typeEbEEZZNS1_14partition_implILS8_4ELb0ES6_15HIP_vector_typeIjLj2EENS0_17counting_iteratorIjlEEPS9_SG_NS0_5tupleIJPjSI_NS0_16reverse_iteratorISI_EEEEENSH_IJSG_SG_SG_EEES9_SI_JZNS1_25segmented_radix_sort_implINS0_14default_configELb0EPK12hip_bfloat16PSP_PKlPlN2at6native12_GLOBAL__N_18offset_tEEE10hipError_tPvRmT1_PNSt15iterator_traitsIS13_E10value_typeET2_T3_PNS14_IS19_E10value_typeET4_jRbjT5_S1F_jjP12ihipStream_tbEUljE_ZNSN_ISO_Lb0ESR_SS_SU_SV_SZ_EES10_S11_S12_S13_S17_S18_S19_S1C_S1D_jS1E_jS1F_S1F_jjS1H_bEUljE0_EEES10_S11_S12_S19_S1D_S1F_T6_T7_T9_mT8_S1H_bDpT10_ENKUlT_T0_E_clISt17integral_constantIbLb0EES1U_IbLb1EEEEDaS1Q_S1R_EUlS1Q_E_NS1_11comp_targetILNS1_3genE0ELNS1_11target_archE4294967295ELNS1_3gpuE0ELNS1_3repE0EEENS1_30default_config_static_selectorELNS0_4arch9wavefront6targetE0EEEvS13_,comdat
	.globl	_ZN7rocprim17ROCPRIM_400000_NS6detail17trampoline_kernelINS0_13select_configILj256ELj13ELNS0_17block_load_methodE3ELS4_3ELS4_3ELNS0_20block_scan_algorithmE0ELj4294967295EEENS1_25partition_config_selectorILNS1_17partition_subalgoE4EjNS0_10empty_typeEbEEZZNS1_14partition_implILS8_4ELb0ES6_15HIP_vector_typeIjLj2EENS0_17counting_iteratorIjlEEPS9_SG_NS0_5tupleIJPjSI_NS0_16reverse_iteratorISI_EEEEENSH_IJSG_SG_SG_EEES9_SI_JZNS1_25segmented_radix_sort_implINS0_14default_configELb0EPK12hip_bfloat16PSP_PKlPlN2at6native12_GLOBAL__N_18offset_tEEE10hipError_tPvRmT1_PNSt15iterator_traitsIS13_E10value_typeET2_T3_PNS14_IS19_E10value_typeET4_jRbjT5_S1F_jjP12ihipStream_tbEUljE_ZNSN_ISO_Lb0ESR_SS_SU_SV_SZ_EES10_S11_S12_S13_S17_S18_S19_S1C_S1D_jS1E_jS1F_S1F_jjS1H_bEUljE0_EEES10_S11_S12_S19_S1D_S1F_T6_T7_T9_mT8_S1H_bDpT10_ENKUlT_T0_E_clISt17integral_constantIbLb0EES1U_IbLb1EEEEDaS1Q_S1R_EUlS1Q_E_NS1_11comp_targetILNS1_3genE0ELNS1_11target_archE4294967295ELNS1_3gpuE0ELNS1_3repE0EEENS1_30default_config_static_selectorELNS0_4arch9wavefront6targetE0EEEvS13_ ; -- Begin function _ZN7rocprim17ROCPRIM_400000_NS6detail17trampoline_kernelINS0_13select_configILj256ELj13ELNS0_17block_load_methodE3ELS4_3ELS4_3ELNS0_20block_scan_algorithmE0ELj4294967295EEENS1_25partition_config_selectorILNS1_17partition_subalgoE4EjNS0_10empty_typeEbEEZZNS1_14partition_implILS8_4ELb0ES6_15HIP_vector_typeIjLj2EENS0_17counting_iteratorIjlEEPS9_SG_NS0_5tupleIJPjSI_NS0_16reverse_iteratorISI_EEEEENSH_IJSG_SG_SG_EEES9_SI_JZNS1_25segmented_radix_sort_implINS0_14default_configELb0EPK12hip_bfloat16PSP_PKlPlN2at6native12_GLOBAL__N_18offset_tEEE10hipError_tPvRmT1_PNSt15iterator_traitsIS13_E10value_typeET2_T3_PNS14_IS19_E10value_typeET4_jRbjT5_S1F_jjP12ihipStream_tbEUljE_ZNSN_ISO_Lb0ESR_SS_SU_SV_SZ_EES10_S11_S12_S13_S17_S18_S19_S1C_S1D_jS1E_jS1F_S1F_jjS1H_bEUljE0_EEES10_S11_S12_S19_S1D_S1F_T6_T7_T9_mT8_S1H_bDpT10_ENKUlT_T0_E_clISt17integral_constantIbLb0EES1U_IbLb1EEEEDaS1Q_S1R_EUlS1Q_E_NS1_11comp_targetILNS1_3genE0ELNS1_11target_archE4294967295ELNS1_3gpuE0ELNS1_3repE0EEENS1_30default_config_static_selectorELNS0_4arch9wavefront6targetE0EEEvS13_
	.p2align	8
	.type	_ZN7rocprim17ROCPRIM_400000_NS6detail17trampoline_kernelINS0_13select_configILj256ELj13ELNS0_17block_load_methodE3ELS4_3ELS4_3ELNS0_20block_scan_algorithmE0ELj4294967295EEENS1_25partition_config_selectorILNS1_17partition_subalgoE4EjNS0_10empty_typeEbEEZZNS1_14partition_implILS8_4ELb0ES6_15HIP_vector_typeIjLj2EENS0_17counting_iteratorIjlEEPS9_SG_NS0_5tupleIJPjSI_NS0_16reverse_iteratorISI_EEEEENSH_IJSG_SG_SG_EEES9_SI_JZNS1_25segmented_radix_sort_implINS0_14default_configELb0EPK12hip_bfloat16PSP_PKlPlN2at6native12_GLOBAL__N_18offset_tEEE10hipError_tPvRmT1_PNSt15iterator_traitsIS13_E10value_typeET2_T3_PNS14_IS19_E10value_typeET4_jRbjT5_S1F_jjP12ihipStream_tbEUljE_ZNSN_ISO_Lb0ESR_SS_SU_SV_SZ_EES10_S11_S12_S13_S17_S18_S19_S1C_S1D_jS1E_jS1F_S1F_jjS1H_bEUljE0_EEES10_S11_S12_S19_S1D_S1F_T6_T7_T9_mT8_S1H_bDpT10_ENKUlT_T0_E_clISt17integral_constantIbLb0EES1U_IbLb1EEEEDaS1Q_S1R_EUlS1Q_E_NS1_11comp_targetILNS1_3genE0ELNS1_11target_archE4294967295ELNS1_3gpuE0ELNS1_3repE0EEENS1_30default_config_static_selectorELNS0_4arch9wavefront6targetE0EEEvS13_,@function
_ZN7rocprim17ROCPRIM_400000_NS6detail17trampoline_kernelINS0_13select_configILj256ELj13ELNS0_17block_load_methodE3ELS4_3ELS4_3ELNS0_20block_scan_algorithmE0ELj4294967295EEENS1_25partition_config_selectorILNS1_17partition_subalgoE4EjNS0_10empty_typeEbEEZZNS1_14partition_implILS8_4ELb0ES6_15HIP_vector_typeIjLj2EENS0_17counting_iteratorIjlEEPS9_SG_NS0_5tupleIJPjSI_NS0_16reverse_iteratorISI_EEEEENSH_IJSG_SG_SG_EEES9_SI_JZNS1_25segmented_radix_sort_implINS0_14default_configELb0EPK12hip_bfloat16PSP_PKlPlN2at6native12_GLOBAL__N_18offset_tEEE10hipError_tPvRmT1_PNSt15iterator_traitsIS13_E10value_typeET2_T3_PNS14_IS19_E10value_typeET4_jRbjT5_S1F_jjP12ihipStream_tbEUljE_ZNSN_ISO_Lb0ESR_SS_SU_SV_SZ_EES10_S11_S12_S13_S17_S18_S19_S1C_S1D_jS1E_jS1F_S1F_jjS1H_bEUljE0_EEES10_S11_S12_S19_S1D_S1F_T6_T7_T9_mT8_S1H_bDpT10_ENKUlT_T0_E_clISt17integral_constantIbLb0EES1U_IbLb1EEEEDaS1Q_S1R_EUlS1Q_E_NS1_11comp_targetILNS1_3genE0ELNS1_11target_archE4294967295ELNS1_3gpuE0ELNS1_3repE0EEENS1_30default_config_static_selectorELNS0_4arch9wavefront6targetE0EEEvS13_: ; @_ZN7rocprim17ROCPRIM_400000_NS6detail17trampoline_kernelINS0_13select_configILj256ELj13ELNS0_17block_load_methodE3ELS4_3ELS4_3ELNS0_20block_scan_algorithmE0ELj4294967295EEENS1_25partition_config_selectorILNS1_17partition_subalgoE4EjNS0_10empty_typeEbEEZZNS1_14partition_implILS8_4ELb0ES6_15HIP_vector_typeIjLj2EENS0_17counting_iteratorIjlEEPS9_SG_NS0_5tupleIJPjSI_NS0_16reverse_iteratorISI_EEEEENSH_IJSG_SG_SG_EEES9_SI_JZNS1_25segmented_radix_sort_implINS0_14default_configELb0EPK12hip_bfloat16PSP_PKlPlN2at6native12_GLOBAL__N_18offset_tEEE10hipError_tPvRmT1_PNSt15iterator_traitsIS13_E10value_typeET2_T3_PNS14_IS19_E10value_typeET4_jRbjT5_S1F_jjP12ihipStream_tbEUljE_ZNSN_ISO_Lb0ESR_SS_SU_SV_SZ_EES10_S11_S12_S13_S17_S18_S19_S1C_S1D_jS1E_jS1F_S1F_jjS1H_bEUljE0_EEES10_S11_S12_S19_S1D_S1F_T6_T7_T9_mT8_S1H_bDpT10_ENKUlT_T0_E_clISt17integral_constantIbLb0EES1U_IbLb1EEEEDaS1Q_S1R_EUlS1Q_E_NS1_11comp_targetILNS1_3genE0ELNS1_11target_archE4294967295ELNS1_3gpuE0ELNS1_3repE0EEENS1_30default_config_static_selectorELNS0_4arch9wavefront6targetE0EEEvS13_
; %bb.0:
	s_clause 0x7
	s_load_b64 s[34:35], s[0:1], 0x10
	s_load_b128 s[28:31], s[0:1], 0x28
	s_load_b64 s[14:15], s[0:1], 0x38
	s_load_b128 s[24:27], s[0:1], 0x58
	s_load_b64 s[4:5], s[0:1], 0x68
	s_load_b64 s[36:37], s[0:1], 0x78
	;; [unrolled: 1-line block ×3, first 2 shown]
	s_load_b256 s[16:23], s[0:1], 0x90
	v_cmp_eq_u32_e64 s2, 0, v0
	s_and_saveexec_b32 s3, s2
	s_cbranch_execz .LBB1999_4
; %bb.1:
	s_mov_b32 s7, exec_lo
	s_mov_b32 s6, exec_lo
	v_mbcnt_lo_u32_b32 v1, s7, 0
                                        ; implicit-def: $vgpr2
	s_delay_alu instid0(VALU_DEP_1)
	v_cmpx_eq_u32_e32 0, v1
	s_cbranch_execz .LBB1999_3
; %bb.2:
	s_load_b64 s[8:9], s[0:1], 0x88
	s_bcnt1_i32_b32 s7, s7
	s_delay_alu instid0(SALU_CYCLE_1)
	v_dual_mov_b32 v2, 0 :: v_dual_mov_b32 v3, s7
	s_wait_xcnt 0x0
	s_wait_kmcnt 0x0
	global_atomic_add_u32 v2, v2, v3, s[8:9] th:TH_ATOMIC_RETURN scope:SCOPE_DEV
.LBB1999_3:
	s_wait_xcnt 0x0
	s_or_b32 exec_lo, exec_lo, s6
	s_wait_loadcnt 0x0
	v_readfirstlane_b32 s6, v2
	s_delay_alu instid0(VALU_DEP_1)
	v_dual_mov_b32 v2, 0 :: v_dual_add_nc_u32 v1, s6, v1
	ds_store_b32 v2, v1
.LBB1999_4:
	s_or_b32 exec_lo, exec_lo, s3
	v_mov_b32_e32 v1, 0
	s_clause 0x1
	s_load_b32 s3, s[0:1], 0x8
	s_load_b32 s6, s[0:1], 0x80
	s_wait_dscnt 0x0
	s_barrier_signal -1
	s_barrier_wait -1
	ds_load_b32 v6, v1
	s_wait_dscnt 0x0
	s_barrier_signal -1
	s_barrier_wait -1
	s_wait_kmcnt 0x0
	global_load_b128 v[2:5], v1, s[26:27]
	s_mov_b32 s1, 0
	s_add_co_i32 s3, s3, s34
	s_mul_i32 s0, s6, 0xd00
	s_add_co_i32 s6, s6, -1
	s_add_nc_u64 s[8:9], s[34:35], s[0:1]
	s_delay_alu instid0(SALU_CYCLE_1)
	v_cmp_gt_u64_e64 s1, s[4:5], s[8:9]
	v_mul_lo_u32 v14, 0xd00, v6
	s_wait_xcnt 0x0
	v_readfirstlane_b32 s27, v6
	v_cmp_ne_u32_e32 vcc_lo, s6, v6
	s_cmp_eq_u32 s27, s6
	s_cselect_b32 s26, -1, 0
	s_or_b32 s1, s1, vcc_lo
	v_add3_u32 v1, v14, s3, v0
	s_and_b32 vcc_lo, exec_lo, s1
	s_mov_b32 s3, -1
	s_delay_alu instid0(VALU_DEP_1)
	v_add_nc_u32_e32 v6, 0x100, v1
	v_add_nc_u32_e32 v7, 0x200, v1
	;; [unrolled: 1-line block ×12, first 2 shown]
	s_cbranch_vccz .LBB1999_6
; %bb.5:
	v_lshlrev_b32_e32 v19, 2, v0
	s_mov_b32 s3, 0
	ds_store_2addr_stride64_b32 v19, v1, v6 offset1:4
	ds_store_2addr_stride64_b32 v19, v7, v8 offset0:8 offset1:12
	ds_store_2addr_stride64_b32 v19, v9, v10 offset0:16 offset1:20
	;; [unrolled: 1-line block ×5, first 2 shown]
	ds_store_b32 v19, v18 offset:12288
	s_wait_loadcnt_dscnt 0x0
	s_barrier_signal -1
	s_barrier_wait -1
.LBB1999_6:
	s_and_not1_b32 vcc_lo, exec_lo, s3
	s_add_co_i32 s0, s0, s34
	s_cbranch_vccnz .LBB1999_8
; %bb.7:
	v_lshlrev_b32_e32 v19, 2, v0
	ds_store_2addr_stride64_b32 v19, v1, v6 offset1:4
	ds_store_2addr_stride64_b32 v19, v7, v8 offset0:8 offset1:12
	ds_store_2addr_stride64_b32 v19, v9, v10 offset0:16 offset1:20
	ds_store_2addr_stride64_b32 v19, v11, v12 offset0:24 offset1:28
	ds_store_2addr_stride64_b32 v19, v13, v15 offset0:32 offset1:36
	ds_store_2addr_stride64_b32 v19, v16, v17 offset0:40 offset1:44
	ds_store_b32 v19, v18 offset:12288
	s_wait_loadcnt_dscnt 0x0
	s_barrier_signal -1
	s_barrier_wait -1
.LBB1999_8:
	v_mul_u32_u24_e32 v15, 13, v0
	s_wait_loadcnt 0x0
	v_cndmask_b32_e64 v35, 0, 1, s1
	s_sub_co_i32 s33, s4, s0
	s_and_not1_b32 vcc_lo, exec_lo, s1
	v_lshlrev_b32_e32 v1, 2, v15
	ds_load_b32 v34, v1 offset:48
	ds_load_2addr_b32 v[16:17], v1 offset0:10 offset1:11
	ds_load_2addr_b32 v[18:19], v1 offset0:8 offset1:9
	;; [unrolled: 1-line block ×4, first 2 shown]
	ds_load_2addr_b32 v[26:27], v1 offset1:1
	ds_load_2addr_b32 v[24:25], v1 offset0:2 offset1:3
	s_wait_dscnt 0x0
	s_barrier_signal -1
	s_barrier_wait -1
	s_cbranch_vccnz .LBB1999_36
; %bb.9:
	v_dual_add_nc_u32 v1, s17, v26 :: v_dual_add_nc_u32 v6, s19, v26
	s_mov_b32 s41, 0
	s_mov_b32 s40, 0
	s_mov_b32 s1, exec_lo
	s_delay_alu instid0(VALU_DEP_1) | instskip(SKIP_1) | instid1(VALU_DEP_1)
	v_mul_lo_u32 v1, v1, s16
	v_mul_lo_u32 v6, v6, s18
	v_sub_nc_u32_e32 v1, v1, v6
	s_delay_alu instid0(VALU_DEP_1)
	v_cmp_lt_u32_e32 vcc_lo, s20, v1
	v_cmpx_ge_u32_e64 s20, v1
	s_cbranch_execz .LBB1999_11
; %bb.10:
	v_dual_add_nc_u32 v1, s22, v26 :: v_dual_add_nc_u32 v6, s38, v26
	s_delay_alu instid0(VALU_DEP_1) | instskip(NEXT) | instid1(VALU_DEP_2)
	v_mul_lo_u32 v1, v1, s21
	v_mul_lo_u32 v6, v6, s23
	s_delay_alu instid0(VALU_DEP_1) | instskip(NEXT) | instid1(VALU_DEP_1)
	v_sub_nc_u32_e32 v1, v1, v6
	v_cmp_lt_u32_e64 s0, s39, v1
	s_and_b32 s40, s0, exec_lo
.LBB1999_11:
	s_or_b32 exec_lo, exec_lo, s1
	v_dual_add_nc_u32 v1, s17, v27 :: v_dual_add_nc_u32 v6, s19, v27
	s_mov_b32 s3, exec_lo
	s_delay_alu instid0(VALU_DEP_1) | instskip(NEXT) | instid1(VALU_DEP_2)
	v_mul_lo_u32 v1, v1, s16
	v_mul_lo_u32 v6, v6, s18
	s_delay_alu instid0(VALU_DEP_1) | instskip(NEXT) | instid1(VALU_DEP_1)
	v_sub_nc_u32_e32 v1, v1, v6
	v_cmp_lt_u32_e64 s0, s20, v1
	v_cmpx_ge_u32_e64 s20, v1
	s_cbranch_execz .LBB1999_13
; %bb.12:
	v_dual_add_nc_u32 v1, s22, v27 :: v_dual_add_nc_u32 v6, s38, v27
	s_delay_alu instid0(VALU_DEP_1) | instskip(NEXT) | instid1(VALU_DEP_2)
	v_mul_lo_u32 v1, v1, s21
	v_mul_lo_u32 v6, v6, s23
	s_delay_alu instid0(VALU_DEP_1) | instskip(NEXT) | instid1(VALU_DEP_1)
	v_sub_nc_u32_e32 v1, v1, v6
	v_cmp_lt_u32_e64 s1, s39, v1
	s_and_b32 s41, s1, exec_lo
.LBB1999_13:
	s_or_b32 exec_lo, exec_lo, s3
	v_dual_add_nc_u32 v1, s17, v24 :: v_dual_add_nc_u32 v6, s19, v24
	s_mov_b32 s43, 0
	s_mov_b32 s42, 0
	s_mov_b32 s4, exec_lo
	s_delay_alu instid0(VALU_DEP_1) | instskip(SKIP_1) | instid1(VALU_DEP_1)
	v_mul_lo_u32 v1, v1, s16
	v_mul_lo_u32 v6, v6, s18
	v_sub_nc_u32_e32 v1, v1, v6
	s_delay_alu instid0(VALU_DEP_1)
	v_cmp_lt_u32_e64 s1, s20, v1
	v_cmpx_ge_u32_e64 s20, v1
	s_cbranch_execz .LBB1999_15
; %bb.14:
	v_dual_add_nc_u32 v1, s22, v24 :: v_dual_add_nc_u32 v6, s38, v24
	s_delay_alu instid0(VALU_DEP_1) | instskip(NEXT) | instid1(VALU_DEP_2)
	v_mul_lo_u32 v1, v1, s21
	v_mul_lo_u32 v6, v6, s23
	s_delay_alu instid0(VALU_DEP_1) | instskip(NEXT) | instid1(VALU_DEP_1)
	v_sub_nc_u32_e32 v1, v1, v6
	v_cmp_lt_u32_e64 s3, s39, v1
	s_and_b32 s42, s3, exec_lo
.LBB1999_15:
	s_or_b32 exec_lo, exec_lo, s4
	v_dual_add_nc_u32 v1, s17, v25 :: v_dual_add_nc_u32 v6, s19, v25
	s_mov_b32 s5, exec_lo
	s_delay_alu instid0(VALU_DEP_1) | instskip(NEXT) | instid1(VALU_DEP_2)
	v_mul_lo_u32 v1, v1, s16
	v_mul_lo_u32 v6, v6, s18
	s_delay_alu instid0(VALU_DEP_1) | instskip(NEXT) | instid1(VALU_DEP_1)
	v_sub_nc_u32_e32 v1, v1, v6
	v_cmp_lt_u32_e64 s3, s20, v1
	v_cmpx_ge_u32_e64 s20, v1
	s_cbranch_execz .LBB1999_17
; %bb.16:
	v_dual_add_nc_u32 v1, s22, v25 :: v_dual_add_nc_u32 v6, s38, v25
	s_delay_alu instid0(VALU_DEP_1) | instskip(NEXT) | instid1(VALU_DEP_2)
	v_mul_lo_u32 v1, v1, s21
	v_mul_lo_u32 v6, v6, s23
	s_delay_alu instid0(VALU_DEP_1) | instskip(NEXT) | instid1(VALU_DEP_1)
	v_sub_nc_u32_e32 v1, v1, v6
	v_cmp_lt_u32_e64 s4, s39, v1
	s_and_b32 s43, s4, exec_lo
.LBB1999_17:
	s_or_b32 exec_lo, exec_lo, s5
	v_dual_add_nc_u32 v1, s17, v22 :: v_dual_add_nc_u32 v6, s19, v22
	s_mov_b32 s45, 0
	s_mov_b32 s44, 0
	s_mov_b32 s6, exec_lo
	s_delay_alu instid0(VALU_DEP_1) | instskip(SKIP_1) | instid1(VALU_DEP_1)
	v_mul_lo_u32 v1, v1, s16
	v_mul_lo_u32 v6, v6, s18
	v_sub_nc_u32_e32 v1, v1, v6
	s_delay_alu instid0(VALU_DEP_1)
	v_cmp_lt_u32_e64 s4, s20, v1
	;; [unrolled: 44-line block ×6, first 2 shown]
	v_cmpx_ge_u32_e64 s20, v1
	s_cbranch_execz .LBB1999_35
; %bb.34:
	v_dual_add_nc_u32 v1, s22, v34 :: v_dual_add_nc_u32 v6, s38, v34
	s_delay_alu instid0(VALU_DEP_1) | instskip(NEXT) | instid1(VALU_DEP_2)
	v_mul_lo_u32 v1, v1, s21
	v_mul_lo_u32 v6, v6, s23
	s_delay_alu instid0(VALU_DEP_1) | instskip(NEXT) | instid1(VALU_DEP_1)
	v_sub_nc_u32_e32 v1, v1, v6
	v_cmp_lt_u32_e64 s13, s39, v1
	s_and_b32 s53, s13, exec_lo
.LBB1999_35:
	s_or_b32 exec_lo, exec_lo, s54
	v_cndmask_b32_e64 v6, 0, 1, s0
	v_cndmask_b32_e64 v8, 0, 1, s3
	v_cndmask_b32_e64 v1, 0, 1, vcc_lo
	v_cndmask_b32_e64 v7, 0, 1, s1
	v_cndmask_b32_e64 v10, 0, 1, s5
	v_lshlrev_b16 v6, 8, v6
	v_lshlrev_b16 v8, 8, v8
	v_cndmask_b32_e64 v12, 0, 1, s7
	v_cndmask_b32_e64 v28, 0, 1, s9
	;; [unrolled: 1-line block ×3, first 2 shown]
	v_or_b32_e32 v1, v1, v6
	v_or_b32_e32 v6, v7, v8
	v_cndmask_b32_e64 v8, 0, 1, s42
	v_cndmask_b32_e64 v9, 0, 1, s4
	;; [unrolled: 1-line block ×4, first 2 shown]
	v_lshlrev_b32_e32 v6, 16, v6
	v_and_b32_e32 v1, 0xffff, v1
	v_cndmask_b32_e64 v38, 0, 1, s46
	v_cndmask_b32_e64 v41, 0, 1, s44
	;; [unrolled: 1-line block ×4, first 2 shown]
	v_or_b32_e32 v36, v1, v6
	v_lshlrev_b16 v1, 8, v10
	v_lshlrev_b16 v6, 8, v12
	;; [unrolled: 1-line block ×5, first 2 shown]
	v_cndmask_b32_e64 v11, 0, 1, s6
	v_cndmask_b32_e64 v30, 0, 1, s52
	v_cndmask_b32_e64 v33, 0, 1, s49
	v_cndmask_b32_e64 v40, 0, 1, s45
	v_cndmask_b32_e64 v7, 0, 1, s43
	v_cndmask_b32_e64 v45, 0, 1, s11
	v_lshlrev_b16 v28, 8, v44
	v_or_b32_e32 v8, v42, v8
	v_or_b32_e32 v1, v9, v1
	;; [unrolled: 1-line block ×4, first 2 shown]
	v_lshlrev_b16 v12, 8, v41
	v_lshlrev_b16 v13, 8, v38
	v_cndmask_b32_e64 v32, 0, 1, s50
	v_cndmask_b32_e64 v37, 0, 1, s47
	v_lshlrev_b16 v29, 8, v30
	v_or_b32_e32 v7, v7, v12
	v_or_b32_e32 v12, v40, v13
	;; [unrolled: 1-line block ×4, first 2 shown]
	v_lshlrev_b16 v28, 8, v33
	v_dual_lshlrev_b32 v10, 16, v10 :: v_dual_lshlrev_b32 v8, 16, v8
	v_and_b32_e32 v1, 0xffff, v1
	s_delay_alu instid0(VALU_DEP_4) | instskip(NEXT) | instid1(VALU_DEP_4)
	v_and_b32_e32 v11, 0xffff, v11
	v_or_b32_e32 v13, v37, v28
	v_or_b32_e32 v28, v32, v29
	v_and_b32_e32 v7, 0xffff, v7
	v_dual_lshlrev_b32 v12, 16, v12 :: v_dual_lshlrev_b32 v6, 16, v6
	s_delay_alu instid0(VALU_DEP_4) | instskip(NEXT) | instid1(VALU_DEP_4)
	v_and_b32_e32 v13, 0xffff, v13
	v_lshlrev_b32_e32 v28, 16, v28
	v_and_b32_e32 v9, 0xffff, v9
	v_cndmask_b32_e64 v39, 0, 1, s51
	v_cndmask_b32_e64 v43, 0, 1, s53
	v_or_b32_e32 v38, v1, v6
	v_or_b32_e32 v42, v11, v8
	;; [unrolled: 1-line block ×5, first 2 shown]
	s_and_b32 vcc_lo, exec_lo, s48
	s_add_co_i32 s5, s33, 0xd00
	s_cbranch_vccnz .LBB1999_37
	s_branch .LBB1999_114
.LBB1999_36:
                                        ; implicit-def: $vgpr43
                                        ; implicit-def: $vgpr39
                                        ; implicit-def: $vgpr40
                                        ; implicit-def: $vgpr37
                                        ; implicit-def: $vgpr42
                                        ; implicit-def: $vgpr41
                                        ; implicit-def: $vgpr38
                                        ; implicit-def: $vgpr36
	s_add_co_i32 s5, s33, 0xd00
	s_cbranch_execz .LBB1999_114
.LBB1999_37:
	v_dual_mov_b32 v6, 0 :: v_dual_mov_b32 v1, 0
	s_mov_b32 s1, exec_lo
	v_cmpx_gt_u32_e64 s5, v15
	s_cbranch_execz .LBB1999_41
; %bb.38:
	v_dual_add_nc_u32 v1, s17, v26 :: v_dual_add_nc_u32 v6, s19, v26
	s_mov_b32 s4, 0
	s_mov_b32 s3, exec_lo
	s_delay_alu instid0(VALU_DEP_1) | instskip(NEXT) | instid1(VALU_DEP_2)
	v_mul_lo_u32 v1, v1, s16
	v_mul_lo_u32 v6, v6, s18
	s_delay_alu instid0(VALU_DEP_1) | instskip(NEXT) | instid1(VALU_DEP_1)
	v_sub_nc_u32_e32 v1, v1, v6
	v_cmp_lt_u32_e32 vcc_lo, s20, v1
	v_cmpx_ge_u32_e64 s20, v1
	s_cbranch_execz .LBB1999_40
; %bb.39:
	v_dual_add_nc_u32 v1, s22, v26 :: v_dual_add_nc_u32 v6, s38, v26
	s_delay_alu instid0(VALU_DEP_1) | instskip(NEXT) | instid1(VALU_DEP_2)
	v_mul_lo_u32 v1, v1, s21
	v_mul_lo_u32 v6, v6, s23
	s_delay_alu instid0(VALU_DEP_1) | instskip(NEXT) | instid1(VALU_DEP_1)
	v_sub_nc_u32_e32 v1, v1, v6
	v_cmp_lt_u32_e64 s0, s39, v1
	s_and_b32 s4, s0, exec_lo
.LBB1999_40:
	s_or_b32 exec_lo, exec_lo, s3
	v_cndmask_b32_e64 v6, 0, 1, s4
	v_cndmask_b32_e64 v1, 0, 1, vcc_lo
.LBB1999_41:
	s_or_b32 exec_lo, exec_lo, s1
	s_delay_alu instid0(VALU_DEP_2) | instskip(SKIP_1) | instid1(VALU_DEP_2)
	v_lshlrev_b16 v6, 8, v6
	v_lshlrev_b16 v13, 8, 0
                                        ; implicit-def: $vgpr9
                                        ; implicit-def: $vgpr11
                                        ; implicit-def: $vgpr8
                                        ; implicit-def: $vgpr12
	v_and_b32_e32 v10, 0xffff, v6
	v_add_nc_u32_e32 v7, 1, v15
                                        ; implicit-def: $vgpr6
	s_delay_alu instid0(VALU_DEP_2) | instskip(NEXT) | instid1(VALU_DEP_2)
	v_lshrrev_b32_e32 v28, 8, v10
	v_cmp_le_u32_e32 vcc_lo, s5, v7
                                        ; implicit-def: $vgpr7
	s_and_saveexec_b32 s0, vcc_lo
	s_delay_alu instid0(SALU_CYCLE_1)
	s_xor_b32 s0, exec_lo, s0
	s_cbranch_execz .LBB1999_43
; %bb.42:
	v_lshlrev_b16 v6, 8, v28
	v_bitop3_b16 v7, 0, v13, 0xff bitop3:0xec
	v_and_b32_e32 v12, 0xff, v1
                                        ; implicit-def: $vgpr1
                                        ; implicit-def: $vgpr13
                                        ; implicit-def: $vgpr28
	v_mov_b32_e32 v9, 0
	s_delay_alu instid0(VALU_DEP_4) | instskip(SKIP_3) | instid1(VALU_DEP_4)
	v_bitop3_b16 v10, v10, v6, 0xff bitop3:0xec
	v_mov_b32_e32 v6, 0
	v_and_b32_e32 v8, 0xffff, v7
	v_and_b32_e32 v7, 0xffff, v7
	;; [unrolled: 1-line block ×3, first 2 shown]
                                        ; implicit-def: $vgpr10
.LBB1999_43:
	s_and_not1_saveexec_b32 s1, s0
	s_cbranch_execz .LBB1999_47
; %bb.44:
	v_dual_add_nc_u32 v6, s17, v27 :: v_dual_add_nc_u32 v7, s19, v27
	s_mov_b32 s3, 0
	s_mov_b32 s4, exec_lo
	s_delay_alu instid0(VALU_DEP_1) | instskip(NEXT) | instid1(VALU_DEP_2)
	v_mul_lo_u32 v6, v6, s16
	v_mul_lo_u32 v7, v7, s18
	s_delay_alu instid0(VALU_DEP_1) | instskip(NEXT) | instid1(VALU_DEP_1)
	v_sub_nc_u32_e32 v6, v6, v7
	v_cmp_lt_u32_e32 vcc_lo, s20, v6
	v_cmpx_ge_u32_e64 s20, v6
	s_cbranch_execz .LBB1999_46
; %bb.45:
	v_dual_add_nc_u32 v6, s22, v27 :: v_dual_add_nc_u32 v7, s38, v27
	s_delay_alu instid0(VALU_DEP_1) | instskip(NEXT) | instid1(VALU_DEP_2)
	v_mul_lo_u32 v6, v6, s21
	v_mul_lo_u32 v7, v7, s23
	s_delay_alu instid0(VALU_DEP_1) | instskip(NEXT) | instid1(VALU_DEP_1)
	v_sub_nc_u32_e32 v6, v6, v7
	v_cmp_lt_u32_e64 s0, s39, v6
	s_and_b32 s3, s0, exec_lo
.LBB1999_46:
	s_or_b32 exec_lo, exec_lo, s4
	v_cndmask_b32_e64 v6, 0, 1, vcc_lo
	v_lshlrev_b16 v7, 8, v28
	v_cndmask_b32_e64 v11, 0, 1, s3
	v_mov_b32_e32 v9, 0
	s_delay_alu instid0(VALU_DEP_4) | instskip(NEXT) | instid1(VALU_DEP_4)
	v_lshlrev_b16 v6, 8, v6
	v_bitop3_b16 v7, v10, v7, 0xff bitop3:0xec
	v_bitop3_b16 v10, 0, v13, 0xff bitop3:0xec
	s_delay_alu instid0(VALU_DEP_3) | instskip(NEXT) | instid1(VALU_DEP_3)
	v_bitop3_b16 v1, v1, v6, 0xff bitop3:0xec
	v_and_b32_e32 v7, 0xffff, v7
	v_mov_b32_e32 v6, 0
	s_delay_alu instid0(VALU_DEP_4) | instskip(NEXT) | instid1(VALU_DEP_4)
	v_and_b32_e32 v8, 0xffff, v10
	v_and_b32_e32 v12, 0xffff, v1
	s_delay_alu instid0(VALU_DEP_4)
	v_lshl_or_b32 v11, v11, 16, v7
	v_and_b32_e32 v7, 0xffff, v10
.LBB1999_47:
	s_or_b32 exec_lo, exec_lo, s1
	s_delay_alu instid0(VALU_DEP_3) | instskip(NEXT) | instid1(VALU_DEP_1)
	v_dual_add_nc_u32 v1, 2, v15 :: v_dual_lshrrev_b32 v13, 8, v12
                                        ; implicit-def: $vgpr10
	v_cmp_le_u32_e32 vcc_lo, s5, v1
                                        ; implicit-def: $vgpr1
	s_and_saveexec_b32 s0, vcc_lo
	s_delay_alu instid0(SALU_CYCLE_1)
	s_xor_b32 s0, exec_lo, s0
	s_cbranch_execz .LBB1999_49
; %bb.48:
	v_lshlrev_b16 v1, 8, v13
	v_and_b32_e32 v13, 0xff0000, v11
	v_perm_b32 v8, v8, v8, 0x3060504
	s_delay_alu instid0(VALU_DEP_3) | instskip(NEXT) | instid1(VALU_DEP_1)
	v_bitop3_b16 v1, v12, v1, 0xff bitop3:0xec
	v_and_b32_e32 v1, 0xffff, v1
	s_delay_alu instid0(VALU_DEP_1)
	v_and_or_b32 v10, 0xff000000, v12, v1
	v_perm_b32 v1, v11, v13, 0x3020504
                                        ; implicit-def: $vgpr13
                                        ; implicit-def: $vgpr12
                                        ; implicit-def: $vgpr11
.LBB1999_49:
	s_and_not1_saveexec_b32 s1, s0
	s_cbranch_execz .LBB1999_53
; %bb.50:
	v_dual_add_nc_u32 v1, s17, v24 :: v_dual_add_nc_u32 v10, s19, v24
	s_mov_b32 s3, 0
	s_mov_b32 s4, exec_lo
	s_delay_alu instid0(VALU_DEP_1) | instskip(NEXT) | instid1(VALU_DEP_2)
	v_mul_lo_u32 v1, v1, s16
	v_mul_lo_u32 v10, v10, s18
	s_delay_alu instid0(VALU_DEP_1) | instskip(NEXT) | instid1(VALU_DEP_1)
	v_sub_nc_u32_e32 v1, v1, v10
	v_cmp_lt_u32_e32 vcc_lo, s20, v1
	v_cmpx_ge_u32_e64 s20, v1
	s_cbranch_execz .LBB1999_52
; %bb.51:
	v_dual_add_nc_u32 v1, s22, v24 :: v_dual_add_nc_u32 v10, s38, v24
	s_delay_alu instid0(VALU_DEP_1) | instskip(NEXT) | instid1(VALU_DEP_2)
	v_mul_lo_u32 v1, v1, s21
	v_mul_lo_u32 v10, v10, s23
	s_delay_alu instid0(VALU_DEP_1) | instskip(NEXT) | instid1(VALU_DEP_1)
	v_sub_nc_u32_e32 v1, v1, v10
	v_cmp_lt_u32_e64 s0, s39, v1
	s_and_b32 s3, s0, exec_lo
.LBB1999_52:
	s_or_b32 exec_lo, exec_lo, s4
	v_dual_lshrrev_b32 v1, 24, v12 :: v_dual_lshrrev_b32 v29, 8, v11
	v_cndmask_b32_e64 v10, 0, 1, s3
	v_cndmask_b32_e64 v28, 0, 1, vcc_lo
	v_lshlrev_b16 v13, 8, v13
	s_delay_alu instid0(VALU_DEP_4)
	v_lshlrev_b16 v1, 8, v1
	v_lshrrev_b32_e32 v30, 16, v11
	v_lshlrev_b16 v10, 8, v10
	v_lshlrev_b16 v29, 8, v29
	v_bitop3_b16 v12, v12, v13, 0xff bitop3:0xec
	v_or_b32_e32 v1, v28, v1
	s_delay_alu instid0(VALU_DEP_4) | instskip(NEXT) | instid1(VALU_DEP_4)
	v_bitop3_b16 v10, v30, v10, 0xff bitop3:0xec
	v_bitop3_b16 v11, v11, v29, 0xff bitop3:0xec
	s_delay_alu instid0(VALU_DEP_4) | instskip(NEXT) | instid1(VALU_DEP_3)
	v_and_b32_e32 v12, 0xffff, v12
	v_dual_lshlrev_b32 v1, 16, v1 :: v_dual_lshlrev_b32 v13, 16, v10
	s_delay_alu instid0(VALU_DEP_3) | instskip(NEXT) | instid1(VALU_DEP_2)
	v_and_b32_e32 v11, 0xffff, v11
	v_or_b32_e32 v10, v12, v1
	s_delay_alu instid0(VALU_DEP_2)
	v_or_b32_e32 v1, v11, v13
.LBB1999_53:
	s_or_b32 exec_lo, exec_lo, s1
	v_dual_add_nc_u32 v12, 3, v15 :: v_dual_lshrrev_b32 v13, 24, v9
	v_lshrrev_b32_e32 v11, 16, v9
                                        ; implicit-def: $vgpr36
	s_delay_alu instid0(VALU_DEP_2) | instskip(SKIP_2) | instid1(SALU_CYCLE_1)
	v_cmp_le_u32_e32 vcc_lo, s5, v12
	v_lshrrev_b32_e32 v12, 8, v9
                                        ; implicit-def: $vgpr9
	s_and_saveexec_b32 s0, vcc_lo
	s_xor_b32 s0, exec_lo, s0
	s_cbranch_execz .LBB1999_55
; %bb.54:
	v_lshlrev_b16 v9, 8, v13
	v_lshlrev_b16 v12, 8, v12
	v_perm_b32 v8, v8, v8, 0x3060504
	v_perm_b32 v7, v7, v7, 0x3060504
                                        ; implicit-def: $vgpr13
	s_delay_alu instid0(VALU_DEP_4) | instskip(SKIP_2) | instid1(VALU_DEP_3)
	v_bitop3_b16 v9, v11, v9, 0xff bitop3:0xec
	v_and_b32_e32 v11, 0xff0000, v10
	v_and_b32_e32 v12, 0xffff, v12
	v_lshlrev_b32_e32 v9, 16, v9
	s_delay_alu instid0(VALU_DEP_3) | instskip(NEXT) | instid1(VALU_DEP_2)
	v_perm_b32 v36, v10, v11, 0x3020504
                                        ; implicit-def: $vgpr10
                                        ; implicit-def: $vgpr11
	v_or_b32_e32 v9, v12, v9
                                        ; implicit-def: $vgpr12
.LBB1999_55:
	s_and_not1_saveexec_b32 s1, s0
	s_cbranch_execz .LBB1999_59
; %bb.56:
	v_dual_add_nc_u32 v9, s17, v25 :: v_dual_add_nc_u32 v28, s19, v25
	s_mov_b32 s3, 0
	s_mov_b32 s4, exec_lo
	s_delay_alu instid0(VALU_DEP_1) | instskip(NEXT) | instid1(VALU_DEP_2)
	v_mul_lo_u32 v9, v9, s16
	v_mul_lo_u32 v28, v28, s18
	s_delay_alu instid0(VALU_DEP_1) | instskip(NEXT) | instid1(VALU_DEP_1)
	v_sub_nc_u32_e32 v9, v9, v28
	v_cmp_lt_u32_e32 vcc_lo, s20, v9
	v_cmpx_ge_u32_e64 s20, v9
	s_cbranch_execz .LBB1999_58
; %bb.57:
	v_dual_add_nc_u32 v9, s22, v25 :: v_dual_add_nc_u32 v28, s38, v25
	s_delay_alu instid0(VALU_DEP_1) | instskip(NEXT) | instid1(VALU_DEP_2)
	v_mul_lo_u32 v9, v9, s21
	v_mul_lo_u32 v28, v28, s23
	s_delay_alu instid0(VALU_DEP_1) | instskip(NEXT) | instid1(VALU_DEP_1)
	v_sub_nc_u32_e32 v9, v9, v28
	v_cmp_lt_u32_e64 s0, s39, v9
	s_and_b32 s3, s0, exec_lo
.LBB1999_58:
	s_or_b32 exec_lo, exec_lo, s4
	v_cndmask_b32_e64 v9, 0, 1, vcc_lo
	v_dual_lshrrev_b32 v28, 8, v10 :: v_dual_lshrrev_b32 v30, 16, v10
	v_cndmask_b32_e64 v29, 0, 1, s3
	v_lshlrev_b16 v13, 8, v13
	s_delay_alu instid0(VALU_DEP_4) | instskip(NEXT) | instid1(VALU_DEP_4)
	v_lshlrev_b16 v9, 8, v9
	v_lshlrev_b16 v28, 8, v28
	;; [unrolled: 1-line block ×3, first 2 shown]
	s_delay_alu instid0(VALU_DEP_4) | instskip(NEXT) | instid1(VALU_DEP_4)
	v_bitop3_b16 v11, v11, v13, 0xff bitop3:0xec
	v_bitop3_b16 v9, v30, v9, 0xff bitop3:0xec
	s_delay_alu instid0(VALU_DEP_4) | instskip(NEXT) | instid1(VALU_DEP_3)
	v_bitop3_b16 v10, v10, v28, 0xff bitop3:0xec
	v_dual_lshlrev_b32 v11, 16, v11 :: v_dual_bitop2_b32 v12, v29, v12 bitop3:0x54
	s_delay_alu instid0(VALU_DEP_3) | instskip(NEXT) | instid1(VALU_DEP_3)
	v_lshlrev_b32_e32 v9, 16, v9
	v_and_b32_e32 v10, 0xffff, v10
	s_delay_alu instid0(VALU_DEP_3) | instskip(NEXT) | instid1(VALU_DEP_2)
	v_and_b32_e32 v12, 0xffff, v12
	v_or_b32_e32 v36, v10, v9
	s_delay_alu instid0(VALU_DEP_2)
	v_or_b32_e32 v9, v12, v11
.LBB1999_59:
	s_or_b32 exec_lo, exec_lo, s1
	v_dual_add_nc_u32 v10, 4, v15 :: v_dual_lshrrev_b32 v28, 8, v8
	v_dual_lshrrev_b32 v11, 16, v8 :: v_dual_lshrrev_b32 v29, 24, v8
	s_delay_alu instid0(VALU_DEP_3) | instskip(NEXT) | instid1(VALU_DEP_3)
	v_dual_lshrrev_b32 v13, 24, v9 :: v_dual_lshrrev_b32 v12, 16, v9
	v_cmp_le_u32_e32 vcc_lo, s5, v10
                                        ; implicit-def: $vgpr8
                                        ; implicit-def: $vgpr10
	s_and_saveexec_b32 s0, vcc_lo
	s_delay_alu instid0(SALU_CYCLE_1)
	s_xor_b32 s0, exec_lo, s0
	s_cbranch_execz .LBB1999_61
; %bb.60:
	v_lshlrev_b16 v8, 8, v29
	v_lshlrev_b16 v10, 8, v28
	;; [unrolled: 1-line block ×3, first 2 shown]
	v_perm_b32 v7, v7, v7, 0x3060504
                                        ; implicit-def: $vgpr28
                                        ; implicit-def: $vgpr29
	s_delay_alu instid0(VALU_DEP_4) | instskip(NEXT) | instid1(VALU_DEP_4)
	v_bitop3_b16 v8, v11, v8, 0xff bitop3:0xec
	v_and_b32_e32 v10, 0xffff, v10
	s_delay_alu instid0(VALU_DEP_4) | instskip(NEXT) | instid1(VALU_DEP_3)
	v_bitop3_b16 v11, v12, v13, 0xff bitop3:0xec
                                        ; implicit-def: $vgpr13
	v_lshlrev_b32_e32 v12, 16, v8
	s_delay_alu instid0(VALU_DEP_2) | instskip(NEXT) | instid1(VALU_DEP_2)
	v_perm_b32 v8, v11, v9, 0x5040c00
                                        ; implicit-def: $vgpr9
                                        ; implicit-def: $vgpr11
	v_or_b32_e32 v10, v10, v12
                                        ; implicit-def: $vgpr12
.LBB1999_61:
	s_and_not1_saveexec_b32 s1, s0
	s_cbranch_execz .LBB1999_65
; %bb.62:
	v_dual_add_nc_u32 v8, s17, v22 :: v_dual_add_nc_u32 v10, s19, v22
	s_mov_b32 s3, 0
	s_mov_b32 s4, exec_lo
	s_delay_alu instid0(VALU_DEP_1) | instskip(NEXT) | instid1(VALU_DEP_2)
	v_mul_lo_u32 v8, v8, s16
	v_mul_lo_u32 v10, v10, s18
	s_delay_alu instid0(VALU_DEP_1) | instskip(NEXT) | instid1(VALU_DEP_1)
	v_sub_nc_u32_e32 v8, v8, v10
	v_cmp_lt_u32_e32 vcc_lo, s20, v8
	v_cmpx_ge_u32_e64 s20, v8
	s_cbranch_execz .LBB1999_64
; %bb.63:
	v_dual_add_nc_u32 v8, s22, v22 :: v_dual_add_nc_u32 v10, s38, v22
	s_delay_alu instid0(VALU_DEP_1) | instskip(NEXT) | instid1(VALU_DEP_2)
	v_mul_lo_u32 v8, v8, s21
	v_mul_lo_u32 v10, v10, s23
	s_delay_alu instid0(VALU_DEP_1) | instskip(NEXT) | instid1(VALU_DEP_1)
	v_sub_nc_u32_e32 v8, v8, v10
	v_cmp_lt_u32_e64 s0, s39, v8
	s_and_b32 s3, s0, exec_lo
.LBB1999_64:
	s_or_b32 exec_lo, exec_lo, s4
	v_cndmask_b32_e64 v8, 0, 1, s3
	v_cndmask_b32_e64 v10, 0, 1, vcc_lo
	v_lshlrev_b16 v29, 8, v29
	v_lshlrev_b16 v28, 8, v28
	;; [unrolled: 1-line block ×4, first 2 shown]
	s_delay_alu instid0(VALU_DEP_4) | instskip(NEXT) | instid1(VALU_DEP_4)
	v_bitop3_b16 v11, v11, v29, 0xff bitop3:0xec
	v_or_b32_e32 v10, v10, v28
	s_delay_alu instid0(VALU_DEP_4) | instskip(NEXT) | instid1(VALU_DEP_4)
	v_bitop3_b16 v12, v12, v13, 0xff bitop3:0xec
	v_bitop3_b16 v8, v9, v8, 0xff bitop3:0xec
	s_delay_alu instid0(VALU_DEP_4) | instskip(NEXT) | instid1(VALU_DEP_4)
	v_lshlrev_b32_e32 v9, 16, v11
	v_and_b32_e32 v10, 0xffff, v10
	s_delay_alu instid0(VALU_DEP_4) | instskip(NEXT) | instid1(VALU_DEP_4)
	v_lshlrev_b32_e32 v11, 16, v12
	v_and_b32_e32 v8, 0xffff, v8
	s_delay_alu instid0(VALU_DEP_3) | instskip(NEXT) | instid1(VALU_DEP_2)
	v_or_b32_e32 v10, v10, v9
	v_or_b32_e32 v8, v8, v11
.LBB1999_65:
	s_or_b32 exec_lo, exec_lo, s1
	s_delay_alu instid0(VALU_DEP_1) | instskip(NEXT) | instid1(VALU_DEP_2)
	v_dual_add_nc_u32 v9, 5, v15 :: v_dual_lshrrev_b32 v12, 16, v10
	v_dual_lshrrev_b32 v13, 24, v10 :: v_dual_lshrrev_b32 v28, 8, v8
                                        ; implicit-def: $vgpr11
	s_delay_alu instid0(VALU_DEP_2) | instskip(SKIP_1) | instid1(SALU_CYCLE_1)
	v_cmp_le_u32_e32 vcc_lo, s5, v9
                                        ; implicit-def: $vgpr9
	s_and_saveexec_b32 s0, vcc_lo
	s_xor_b32 s0, exec_lo, s0
	s_cbranch_execz .LBB1999_67
; %bb.66:
	v_lshlrev_b16 v9, 8, v28
	v_lshlrev_b16 v11, 8, v13
	v_perm_b32 v7, v7, v7, 0x3060504
                                        ; implicit-def: $vgpr13
                                        ; implicit-def: $vgpr28
	s_delay_alu instid0(VALU_DEP_3) | instskip(NEXT) | instid1(VALU_DEP_3)
	v_bitop3_b16 v9, v8, v9, 0xff bitop3:0xec
	v_bitop3_b16 v11, v12, v11, 0xff bitop3:0xec
                                        ; implicit-def: $vgpr12
	s_delay_alu instid0(VALU_DEP_2) | instskip(NEXT) | instid1(VALU_DEP_2)
	v_and_b32_e32 v9, 0xffff, v9
	v_perm_b32 v11, v11, v10, 0x5040c00
                                        ; implicit-def: $vgpr10
	s_delay_alu instid0(VALU_DEP_2)
	v_and_or_b32 v9, 0xff000000, v8, v9
                                        ; implicit-def: $vgpr8
.LBB1999_67:
	s_and_not1_saveexec_b32 s1, s0
	s_cbranch_execz .LBB1999_71
; %bb.68:
	v_dual_add_nc_u32 v9, s17, v23 :: v_dual_add_nc_u32 v11, s19, v23
	s_mov_b32 s3, 0
	s_mov_b32 s4, exec_lo
	s_delay_alu instid0(VALU_DEP_1) | instskip(NEXT) | instid1(VALU_DEP_2)
	v_mul_lo_u32 v9, v9, s16
	v_mul_lo_u32 v11, v11, s18
	s_delay_alu instid0(VALU_DEP_1) | instskip(NEXT) | instid1(VALU_DEP_1)
	v_sub_nc_u32_e32 v9, v9, v11
	v_cmp_lt_u32_e32 vcc_lo, s20, v9
	v_cmpx_ge_u32_e64 s20, v9
	s_cbranch_execz .LBB1999_70
; %bb.69:
	v_dual_add_nc_u32 v9, s22, v23 :: v_dual_add_nc_u32 v11, s38, v23
	s_delay_alu instid0(VALU_DEP_1) | instskip(NEXT) | instid1(VALU_DEP_2)
	v_mul_lo_u32 v9, v9, s21
	v_mul_lo_u32 v11, v11, s23
	s_delay_alu instid0(VALU_DEP_1) | instskip(NEXT) | instid1(VALU_DEP_1)
	v_sub_nc_u32_e32 v9, v9, v11
	v_cmp_lt_u32_e64 s0, s39, v9
	s_and_b32 s3, s0, exec_lo
.LBB1999_70:
	s_or_b32 exec_lo, exec_lo, s4
	v_cndmask_b32_e64 v9, 0, 1, vcc_lo
	v_lshrrev_b32_e32 v11, 24, v8
	v_cndmask_b32_e64 v29, 0, 1, s3
	v_lshlrev_b16 v13, 8, v13
	v_lshlrev_b16 v28, 8, v28
	;; [unrolled: 1-line block ×4, first 2 shown]
	s_delay_alu instid0(VALU_DEP_4) | instskip(NEXT) | instid1(VALU_DEP_4)
	v_bitop3_b16 v12, v12, v13, 0xff bitop3:0xec
	v_bitop3_b16 v8, v8, v28, 0xff bitop3:0xec
	s_delay_alu instid0(VALU_DEP_4) | instskip(NEXT) | instid1(VALU_DEP_3)
	v_bitop3_b16 v9, v10, v9, 0xff bitop3:0xec
	v_dual_lshlrev_b32 v11, 16, v12 :: v_dual_bitop2_b32 v10, v29, v11 bitop3:0x54
	s_delay_alu instid0(VALU_DEP_3) | instskip(NEXT) | instid1(VALU_DEP_3)
	v_and_b32_e32 v8, 0xffff, v8
	v_and_b32_e32 v9, 0xffff, v9
	s_delay_alu instid0(VALU_DEP_1) | instskip(NEXT) | instid1(VALU_DEP_1)
	v_dual_lshlrev_b32 v10, 16, v10 :: v_dual_bitop2_b32 v11, v9, v11 bitop3:0x54
	v_or_b32_e32 v9, v8, v10
.LBB1999_71:
	s_or_b32 exec_lo, exec_lo, s1
	v_add_nc_u32_e32 v8, 6, v15
	s_delay_alu instid0(VALU_DEP_3) | instskip(NEXT) | instid1(VALU_DEP_2)
	v_lshrrev_b32_e32 v10, 8, v11
                                        ; implicit-def: $vgpr37
	v_cmp_le_u32_e32 vcc_lo, s5, v8
                                        ; implicit-def: $vgpr8
	s_and_saveexec_b32 s0, vcc_lo
	s_delay_alu instid0(SALU_CYCLE_1)
	s_xor_b32 s0, exec_lo, s0
	s_cbranch_execz .LBB1999_73
; %bb.72:
	v_lshlrev_b16 v8, 8, v10
	v_and_b32_e32 v10, 0xff0000, v9
	v_perm_b32 v7, v7, v7, 0x3060504
	s_delay_alu instid0(VALU_DEP_3) | instskip(NEXT) | instid1(VALU_DEP_3)
	v_bitop3_b16 v8, v11, v8, 0xff bitop3:0xec
	v_perm_b32 v37, v9, v10, 0x3020504
                                        ; implicit-def: $vgpr10
                                        ; implicit-def: $vgpr9
	s_delay_alu instid0(VALU_DEP_2) | instskip(NEXT) | instid1(VALU_DEP_1)
	v_and_b32_e32 v8, 0xffff, v8
	v_and_or_b32 v8, 0xff000000, v11, v8
                                        ; implicit-def: $vgpr11
.LBB1999_73:
	s_and_not1_saveexec_b32 s1, s0
	s_cbranch_execz .LBB1999_77
; %bb.74:
	v_dual_add_nc_u32 v8, s17, v20 :: v_dual_add_nc_u32 v12, s19, v20
	s_mov_b32 s3, 0
	s_mov_b32 s4, exec_lo
	s_delay_alu instid0(VALU_DEP_1) | instskip(NEXT) | instid1(VALU_DEP_2)
	v_mul_lo_u32 v8, v8, s16
	v_mul_lo_u32 v12, v12, s18
	s_delay_alu instid0(VALU_DEP_1) | instskip(NEXT) | instid1(VALU_DEP_1)
	v_sub_nc_u32_e32 v8, v8, v12
	v_cmp_lt_u32_e32 vcc_lo, s20, v8
	v_cmpx_ge_u32_e64 s20, v8
	s_cbranch_execz .LBB1999_76
; %bb.75:
	v_dual_add_nc_u32 v8, s22, v20 :: v_dual_add_nc_u32 v12, s38, v20
	s_delay_alu instid0(VALU_DEP_1) | instskip(NEXT) | instid1(VALU_DEP_2)
	v_mul_lo_u32 v8, v8, s21
	v_mul_lo_u32 v12, v12, s23
	s_delay_alu instid0(VALU_DEP_1) | instskip(NEXT) | instid1(VALU_DEP_1)
	v_sub_nc_u32_e32 v8, v8, v12
	v_cmp_lt_u32_e64 s0, s39, v8
	s_and_b32 s3, s0, exec_lo
.LBB1999_76:
	s_or_b32 exec_lo, exec_lo, s4
	v_dual_lshrrev_b32 v8, 24, v11 :: v_dual_lshrrev_b32 v28, 8, v9
	v_cndmask_b32_e64 v12, 0, 1, s3
	v_cndmask_b32_e64 v13, 0, 1, vcc_lo
	v_lshlrev_b16 v10, 8, v10
	s_delay_alu instid0(VALU_DEP_4)
	v_lshlrev_b16 v8, 8, v8
	v_lshrrev_b32_e32 v29, 16, v9
	v_lshlrev_b16 v12, 8, v12
	v_lshlrev_b16 v28, 8, v28
	v_bitop3_b16 v10, v11, v10, 0xff bitop3:0xec
	v_or_b32_e32 v8, v13, v8
	s_delay_alu instid0(VALU_DEP_4) | instskip(NEXT) | instid1(VALU_DEP_4)
	v_bitop3_b16 v11, v29, v12, 0xff bitop3:0xec
	v_bitop3_b16 v9, v9, v28, 0xff bitop3:0xec
	s_delay_alu instid0(VALU_DEP_4) | instskip(NEXT) | instid1(VALU_DEP_3)
	v_and_b32_e32 v10, 0xffff, v10
	v_dual_lshlrev_b32 v8, 16, v8 :: v_dual_lshlrev_b32 v11, 16, v11
	s_delay_alu instid0(VALU_DEP_3) | instskip(NEXT) | instid1(VALU_DEP_2)
	v_and_b32_e32 v9, 0xffff, v9
	v_or_b32_e32 v8, v10, v8
	s_delay_alu instid0(VALU_DEP_2)
	v_or_b32_e32 v37, v9, v11
.LBB1999_77:
	s_or_b32 exec_lo, exec_lo, s1
	v_add_nc_u32_e32 v11, 7, v15
	v_dual_lshrrev_b32 v9, 8, v7 :: v_dual_lshrrev_b32 v10, 16, v7
                                        ; implicit-def: $vgpr38
	s_delay_alu instid0(VALU_DEP_2) | instskip(SKIP_2) | instid1(SALU_CYCLE_1)
	v_cmp_le_u32_e32 vcc_lo, s5, v11
	v_lshrrev_b32_e32 v11, 24, v7
                                        ; implicit-def: $vgpr7
	s_and_saveexec_b32 s0, vcc_lo
	s_xor_b32 s0, exec_lo, s0
	s_cbranch_execz .LBB1999_79
; %bb.78:
	s_delay_alu instid0(VALU_DEP_1) | instskip(SKIP_1) | instid1(VALU_DEP_2)
	v_lshlrev_b16 v7, 8, v11
	v_lshlrev_b16 v9, 8, v9
                                        ; implicit-def: $vgpr11
	v_bitop3_b16 v7, v10, v7, 0xff bitop3:0xec
	v_and_b32_e32 v10, 0xff0000, v8
	s_delay_alu instid0(VALU_DEP_3) | instskip(NEXT) | instid1(VALU_DEP_3)
	v_and_b32_e32 v9, 0xffff, v9
	v_lshlrev_b32_e32 v7, 16, v7
	s_delay_alu instid0(VALU_DEP_3) | instskip(NEXT) | instid1(VALU_DEP_2)
	v_perm_b32 v38, v8, v10, 0x3020504
                                        ; implicit-def: $vgpr8
                                        ; implicit-def: $vgpr10
	v_or_b32_e32 v7, v9, v7
                                        ; implicit-def: $vgpr9
.LBB1999_79:
	s_and_not1_saveexec_b32 s1, s0
	s_cbranch_execz .LBB1999_83
; %bb.80:
	v_dual_add_nc_u32 v7, s17, v21 :: v_dual_add_nc_u32 v12, s19, v21
	s_mov_b32 s3, 0
	s_mov_b32 s4, exec_lo
	s_delay_alu instid0(VALU_DEP_1) | instskip(NEXT) | instid1(VALU_DEP_2)
	v_mul_lo_u32 v7, v7, s16
	v_mul_lo_u32 v12, v12, s18
	s_delay_alu instid0(VALU_DEP_1) | instskip(NEXT) | instid1(VALU_DEP_1)
	v_sub_nc_u32_e32 v7, v7, v12
	v_cmp_lt_u32_e32 vcc_lo, s20, v7
	v_cmpx_ge_u32_e64 s20, v7
	s_cbranch_execz .LBB1999_82
; %bb.81:
	v_dual_add_nc_u32 v7, s22, v21 :: v_dual_add_nc_u32 v12, s38, v21
	s_delay_alu instid0(VALU_DEP_1) | instskip(NEXT) | instid1(VALU_DEP_2)
	v_mul_lo_u32 v7, v7, s21
	v_mul_lo_u32 v12, v12, s23
	s_delay_alu instid0(VALU_DEP_1) | instskip(NEXT) | instid1(VALU_DEP_1)
	v_sub_nc_u32_e32 v7, v7, v12
	v_cmp_lt_u32_e64 s0, s39, v7
	s_and_b32 s3, s0, exec_lo
.LBB1999_82:
	s_or_b32 exec_lo, exec_lo, s4
	v_cndmask_b32_e64 v7, 0, 1, vcc_lo
	v_dual_lshrrev_b32 v12, 8, v8 :: v_dual_lshrrev_b32 v28, 16, v8
	v_cndmask_b32_e64 v13, 0, 1, s3
	v_lshlrev_b16 v11, 8, v11
	s_delay_alu instid0(VALU_DEP_4) | instskip(NEXT) | instid1(VALU_DEP_4)
	v_lshlrev_b16 v7, 8, v7
	v_lshlrev_b16 v12, 8, v12
	v_lshlrev_b16 v9, 8, v9
	s_delay_alu instid0(VALU_DEP_4) | instskip(NEXT) | instid1(VALU_DEP_4)
	v_bitop3_b16 v10, v10, v11, 0xff bitop3:0xec
	v_bitop3_b16 v7, v28, v7, 0xff bitop3:0xec
	s_delay_alu instid0(VALU_DEP_4) | instskip(NEXT) | instid1(VALU_DEP_3)
	v_bitop3_b16 v8, v8, v12, 0xff bitop3:0xec
	v_dual_lshlrev_b32 v10, 16, v10 :: v_dual_bitop2_b32 v9, v13, v9 bitop3:0x54
	s_delay_alu instid0(VALU_DEP_3) | instskip(NEXT) | instid1(VALU_DEP_3)
	v_lshlrev_b32_e32 v7, 16, v7
	v_and_b32_e32 v8, 0xffff, v8
	s_delay_alu instid0(VALU_DEP_3) | instskip(NEXT) | instid1(VALU_DEP_2)
	v_and_b32_e32 v9, 0xffff, v9
	v_or_b32_e32 v38, v8, v7
	s_delay_alu instid0(VALU_DEP_2)
	v_or_b32_e32 v7, v9, v10
.LBB1999_83:
	s_or_b32 exec_lo, exec_lo, s1
	v_dual_add_nc_u32 v8, 8, v15 :: v_dual_lshrrev_b32 v13, 24, v6
	s_delay_alu instid0(VALU_DEP_2) | instskip(SKIP_1) | instid1(VALU_DEP_3)
	v_dual_lshrrev_b32 v9, 16, v7 :: v_dual_lshrrev_b32 v10, 24, v7
	v_dual_lshrrev_b32 v11, 16, v6 :: v_dual_lshrrev_b32 v12, 8, v6
	v_cmp_le_u32_e32 vcc_lo, s5, v8
                                        ; implicit-def: $vgpr6
                                        ; implicit-def: $vgpr8
	s_and_saveexec_b32 s0, vcc_lo
	s_delay_alu instid0(SALU_CYCLE_1)
	s_xor_b32 s0, exec_lo, s0
	s_cbranch_execz .LBB1999_85
; %bb.84:
	v_lshlrev_b16 v6, 8, v13
	v_lshlrev_b16 v8, 8, v12
	;; [unrolled: 1-line block ×3, first 2 shown]
	v_perm_b32 v1, v1, v1, 0x3060504
                                        ; implicit-def: $vgpr13
                                        ; implicit-def: $vgpr12
	s_delay_alu instid0(VALU_DEP_4) | instskip(NEXT) | instid1(VALU_DEP_4)
	v_bitop3_b16 v6, v11, v6, 0xff bitop3:0xec
	v_and_b32_e32 v8, 0xffff, v8
	s_delay_alu instid0(VALU_DEP_4) | instskip(NEXT) | instid1(VALU_DEP_3)
	v_bitop3_b16 v9, v9, v10, 0xff bitop3:0xec
                                        ; implicit-def: $vgpr10
                                        ; implicit-def: $vgpr11
	v_lshlrev_b32_e32 v6, 16, v6
	s_delay_alu instid0(VALU_DEP_1) | instskip(NEXT) | instid1(VALU_DEP_3)
	v_or_b32_e32 v8, v8, v6
	v_perm_b32 v6, v9, v7, 0x5040c00
                                        ; implicit-def: $vgpr7
                                        ; implicit-def: $vgpr9
.LBB1999_85:
	s_and_not1_saveexec_b32 s1, s0
	s_cbranch_execz .LBB1999_89
; %bb.86:
	v_dual_add_nc_u32 v6, s17, v18 :: v_dual_add_nc_u32 v8, s19, v18
	s_mov_b32 s3, 0
	s_mov_b32 s4, exec_lo
	s_delay_alu instid0(VALU_DEP_1) | instskip(NEXT) | instid1(VALU_DEP_2)
	v_mul_lo_u32 v6, v6, s16
	v_mul_lo_u32 v8, v8, s18
	s_delay_alu instid0(VALU_DEP_1) | instskip(NEXT) | instid1(VALU_DEP_1)
	v_sub_nc_u32_e32 v6, v6, v8
	v_cmp_lt_u32_e32 vcc_lo, s20, v6
	v_cmpx_ge_u32_e64 s20, v6
	s_cbranch_execz .LBB1999_88
; %bb.87:
	v_dual_add_nc_u32 v6, s22, v18 :: v_dual_add_nc_u32 v8, s38, v18
	s_delay_alu instid0(VALU_DEP_1) | instskip(NEXT) | instid1(VALU_DEP_2)
	v_mul_lo_u32 v6, v6, s21
	v_mul_lo_u32 v8, v8, s23
	s_delay_alu instid0(VALU_DEP_1) | instskip(NEXT) | instid1(VALU_DEP_1)
	v_sub_nc_u32_e32 v6, v6, v8
	v_cmp_lt_u32_e64 s0, s39, v6
	s_and_b32 s3, s0, exec_lo
.LBB1999_88:
	s_or_b32 exec_lo, exec_lo, s4
	v_cndmask_b32_e64 v6, 0, 1, s3
	v_cndmask_b32_e64 v8, 0, 1, vcc_lo
	v_lshlrev_b16 v13, 8, v13
	v_lshlrev_b16 v12, 8, v12
	;; [unrolled: 1-line block ×4, first 2 shown]
	s_delay_alu instid0(VALU_DEP_4) | instskip(NEXT) | instid1(VALU_DEP_4)
	v_bitop3_b16 v11, v11, v13, 0xff bitop3:0xec
	v_or_b32_e32 v8, v8, v12
	s_delay_alu instid0(VALU_DEP_4) | instskip(NEXT) | instid1(VALU_DEP_4)
	v_bitop3_b16 v9, v9, v10, 0xff bitop3:0xec
	v_bitop3_b16 v6, v7, v6, 0xff bitop3:0xec
	s_delay_alu instid0(VALU_DEP_4) | instskip(NEXT) | instid1(VALU_DEP_4)
	v_lshlrev_b32_e32 v7, 16, v11
	v_and_b32_e32 v8, 0xffff, v8
	s_delay_alu instid0(VALU_DEP_4) | instskip(NEXT) | instid1(VALU_DEP_4)
	v_lshlrev_b32_e32 v9, 16, v9
	v_and_b32_e32 v6, 0xffff, v6
	s_delay_alu instid0(VALU_DEP_3) | instskip(NEXT) | instid1(VALU_DEP_2)
	v_or_b32_e32 v8, v8, v7
	v_or_b32_e32 v6, v6, v9
.LBB1999_89:
	s_or_b32 exec_lo, exec_lo, s1
	s_delay_alu instid0(VALU_DEP_1) | instskip(NEXT) | instid1(VALU_DEP_3)
	v_dual_add_nc_u32 v7, 9, v15 :: v_dual_lshrrev_b32 v11, 8, v6
	v_dual_lshrrev_b32 v12, 24, v8 :: v_dual_lshrrev_b32 v10, 16, v8
                                        ; implicit-def: $vgpr9
	s_delay_alu instid0(VALU_DEP_2) | instskip(SKIP_1) | instid1(SALU_CYCLE_1)
	v_cmp_le_u32_e32 vcc_lo, s5, v7
                                        ; implicit-def: $vgpr7
	s_and_saveexec_b32 s0, vcc_lo
	s_xor_b32 s0, exec_lo, s0
	s_cbranch_execz .LBB1999_91
; %bb.90:
	v_lshlrev_b16 v7, 8, v11
	v_lshlrev_b16 v9, 8, v12
	v_perm_b32 v1, v1, v1, 0x3060504
                                        ; implicit-def: $vgpr11
                                        ; implicit-def: $vgpr12
	s_delay_alu instid0(VALU_DEP_3) | instskip(NEXT) | instid1(VALU_DEP_3)
	v_bitop3_b16 v7, v6, v7, 0xff bitop3:0xec
	v_bitop3_b16 v9, v10, v9, 0xff bitop3:0xec
                                        ; implicit-def: $vgpr10
	s_delay_alu instid0(VALU_DEP_2) | instskip(NEXT) | instid1(VALU_DEP_2)
	v_and_b32_e32 v7, 0xffff, v7
	v_perm_b32 v9, v9, v8, 0x5040c00
                                        ; implicit-def: $vgpr8
	s_delay_alu instid0(VALU_DEP_2)
	v_and_or_b32 v7, 0xff000000, v6, v7
                                        ; implicit-def: $vgpr6
.LBB1999_91:
	s_and_not1_saveexec_b32 s1, s0
	s_cbranch_execz .LBB1999_95
; %bb.92:
	v_dual_add_nc_u32 v7, s17, v19 :: v_dual_add_nc_u32 v9, s19, v19
	s_mov_b32 s3, 0
	s_mov_b32 s4, exec_lo
	s_delay_alu instid0(VALU_DEP_1) | instskip(NEXT) | instid1(VALU_DEP_2)
	v_mul_lo_u32 v7, v7, s16
	v_mul_lo_u32 v9, v9, s18
	s_delay_alu instid0(VALU_DEP_1) | instskip(NEXT) | instid1(VALU_DEP_1)
	v_sub_nc_u32_e32 v7, v7, v9
	v_cmp_lt_u32_e32 vcc_lo, s20, v7
	v_cmpx_ge_u32_e64 s20, v7
	s_cbranch_execz .LBB1999_94
; %bb.93:
	v_dual_add_nc_u32 v7, s22, v19 :: v_dual_add_nc_u32 v9, s38, v19
	s_delay_alu instid0(VALU_DEP_1) | instskip(NEXT) | instid1(VALU_DEP_2)
	v_mul_lo_u32 v7, v7, s21
	v_mul_lo_u32 v9, v9, s23
	s_delay_alu instid0(VALU_DEP_1) | instskip(NEXT) | instid1(VALU_DEP_1)
	v_sub_nc_u32_e32 v7, v7, v9
	v_cmp_lt_u32_e64 s0, s39, v7
	s_and_b32 s3, s0, exec_lo
.LBB1999_94:
	s_or_b32 exec_lo, exec_lo, s4
	v_cndmask_b32_e64 v7, 0, 1, vcc_lo
	v_lshrrev_b32_e32 v9, 24, v6
	v_cndmask_b32_e64 v13, 0, 1, s3
	v_lshlrev_b16 v12, 8, v12
	v_lshlrev_b16 v11, 8, v11
	;; [unrolled: 1-line block ×4, first 2 shown]
	s_delay_alu instid0(VALU_DEP_4) | instskip(NEXT) | instid1(VALU_DEP_4)
	v_bitop3_b16 v10, v10, v12, 0xff bitop3:0xec
	v_bitop3_b16 v6, v6, v11, 0xff bitop3:0xec
	s_delay_alu instid0(VALU_DEP_4) | instskip(NEXT) | instid1(VALU_DEP_3)
	v_bitop3_b16 v7, v8, v7, 0xff bitop3:0xec
	v_dual_lshlrev_b32 v9, 16, v10 :: v_dual_bitop2_b32 v8, v13, v9 bitop3:0x54
	s_delay_alu instid0(VALU_DEP_3) | instskip(NEXT) | instid1(VALU_DEP_3)
	v_and_b32_e32 v6, 0xffff, v6
	v_and_b32_e32 v7, 0xffff, v7
	s_delay_alu instid0(VALU_DEP_1) | instskip(NEXT) | instid1(VALU_DEP_1)
	v_dual_lshlrev_b32 v8, 16, v8 :: v_dual_bitop2_b32 v9, v7, v9 bitop3:0x54
	v_or_b32_e32 v7, v6, v8
.LBB1999_95:
	s_or_b32 exec_lo, exec_lo, s1
	s_delay_alu instid0(VALU_DEP_2) | instskip(NEXT) | instid1(VALU_DEP_1)
	v_dual_add_nc_u32 v6, 10, v15 :: v_dual_lshrrev_b32 v8, 8, v9
                                        ; implicit-def: $vgpr40
	v_cmp_le_u32_e32 vcc_lo, s5, v6
                                        ; implicit-def: $vgpr6
	s_and_saveexec_b32 s0, vcc_lo
	s_delay_alu instid0(SALU_CYCLE_1)
	s_xor_b32 s0, exec_lo, s0
	s_cbranch_execz .LBB1999_97
; %bb.96:
	v_lshlrev_b16 v6, 8, v8
	v_and_b32_e32 v8, 0xff0000, v7
	v_perm_b32 v1, v1, v1, 0x3060504
	s_delay_alu instid0(VALU_DEP_3) | instskip(NEXT) | instid1(VALU_DEP_3)
	v_bitop3_b16 v6, v9, v6, 0xff bitop3:0xec
	v_perm_b32 v40, v7, v8, 0x3020504
                                        ; implicit-def: $vgpr8
                                        ; implicit-def: $vgpr7
	s_delay_alu instid0(VALU_DEP_2) | instskip(NEXT) | instid1(VALU_DEP_1)
	v_and_b32_e32 v6, 0xffff, v6
	v_and_or_b32 v6, 0xff000000, v9, v6
                                        ; implicit-def: $vgpr9
.LBB1999_97:
	s_and_not1_saveexec_b32 s1, s0
	s_cbranch_execz .LBB1999_101
; %bb.98:
	v_dual_add_nc_u32 v6, s17, v16 :: v_dual_add_nc_u32 v10, s19, v16
	s_mov_b32 s3, 0
	s_mov_b32 s4, exec_lo
	s_delay_alu instid0(VALU_DEP_1) | instskip(NEXT) | instid1(VALU_DEP_2)
	v_mul_lo_u32 v6, v6, s16
	v_mul_lo_u32 v10, v10, s18
	s_delay_alu instid0(VALU_DEP_1) | instskip(NEXT) | instid1(VALU_DEP_1)
	v_sub_nc_u32_e32 v6, v6, v10
	v_cmp_lt_u32_e32 vcc_lo, s20, v6
	v_cmpx_ge_u32_e64 s20, v6
	s_cbranch_execz .LBB1999_100
; %bb.99:
	v_dual_add_nc_u32 v6, s22, v16 :: v_dual_add_nc_u32 v10, s38, v16
	s_delay_alu instid0(VALU_DEP_1) | instskip(NEXT) | instid1(VALU_DEP_2)
	v_mul_lo_u32 v6, v6, s21
	v_mul_lo_u32 v10, v10, s23
	s_delay_alu instid0(VALU_DEP_1) | instskip(NEXT) | instid1(VALU_DEP_1)
	v_sub_nc_u32_e32 v6, v6, v10
	v_cmp_lt_u32_e64 s0, s39, v6
	s_and_b32 s3, s0, exec_lo
.LBB1999_100:
	s_or_b32 exec_lo, exec_lo, s4
	v_dual_lshrrev_b32 v6, 24, v9 :: v_dual_lshrrev_b32 v12, 8, v7
	v_cndmask_b32_e64 v10, 0, 1, s3
	v_cndmask_b32_e64 v11, 0, 1, vcc_lo
	v_lshlrev_b16 v8, 8, v8
	s_delay_alu instid0(VALU_DEP_4)
	v_lshlrev_b16 v6, 8, v6
	v_lshrrev_b32_e32 v13, 16, v7
	v_lshlrev_b16 v10, 8, v10
	v_lshlrev_b16 v12, 8, v12
	v_bitop3_b16 v8, v9, v8, 0xff bitop3:0xec
	v_or_b32_e32 v6, v11, v6
	s_delay_alu instid0(VALU_DEP_4) | instskip(NEXT) | instid1(VALU_DEP_4)
	v_bitop3_b16 v9, v13, v10, 0xff bitop3:0xec
	v_bitop3_b16 v7, v7, v12, 0xff bitop3:0xec
	s_delay_alu instid0(VALU_DEP_4) | instskip(NEXT) | instid1(VALU_DEP_3)
	v_and_b32_e32 v8, 0xffff, v8
	v_dual_lshlrev_b32 v6, 16, v6 :: v_dual_lshlrev_b32 v9, 16, v9
	s_delay_alu instid0(VALU_DEP_3) | instskip(NEXT) | instid1(VALU_DEP_2)
	v_and_b32_e32 v7, 0xffff, v7
	v_or_b32_e32 v6, v8, v6
	s_delay_alu instid0(VALU_DEP_2)
	v_or_b32_e32 v40, v7, v9
.LBB1999_101:
	s_or_b32 exec_lo, exec_lo, s1
	v_dual_add_nc_u32 v7, 11, v15 :: v_dual_mov_b32 v39, 0
	s_mov_b32 s0, exec_lo
                                        ; implicit-def: $vgpr41
	s_delay_alu instid0(VALU_DEP_1)
	v_cmpx_le_u32_e64 s5, v7
	s_xor_b32 s0, exec_lo, s0
; %bb.102:
	v_and_b32_e32 v7, 0xff0000, v6
	v_perm_b32 v1, v1, v1, 0x3060504
	s_delay_alu instid0(VALU_DEP_2)
	v_perm_b32 v41, v6, v7, 0x3020504
                                        ; implicit-def: $vgpr6
; %bb.103:
	s_and_not1_saveexec_b32 s1, s0
	s_cbranch_execz .LBB1999_107
; %bb.104:
	v_dual_add_nc_u32 v7, s17, v17 :: v_dual_add_nc_u32 v8, s19, v17
	s_mov_b32 s3, 0
	s_mov_b32 s4, exec_lo
	s_delay_alu instid0(VALU_DEP_1) | instskip(NEXT) | instid1(VALU_DEP_2)
	v_mul_lo_u32 v7, v7, s16
	v_mul_lo_u32 v8, v8, s18
	s_delay_alu instid0(VALU_DEP_1) | instskip(NEXT) | instid1(VALU_DEP_1)
	v_sub_nc_u32_e32 v7, v7, v8
	v_cmp_lt_u32_e32 vcc_lo, s20, v7
	v_cmpx_ge_u32_e64 s20, v7
	s_cbranch_execz .LBB1999_106
; %bb.105:
	v_dual_add_nc_u32 v7, s22, v17 :: v_dual_add_nc_u32 v8, s38, v17
	s_delay_alu instid0(VALU_DEP_1) | instskip(NEXT) | instid1(VALU_DEP_2)
	v_mul_lo_u32 v7, v7, s21
	v_mul_lo_u32 v8, v8, s23
	s_delay_alu instid0(VALU_DEP_1) | instskip(NEXT) | instid1(VALU_DEP_1)
	v_sub_nc_u32_e32 v7, v7, v8
	v_cmp_lt_u32_e64 s0, s39, v7
	s_and_b32 s3, s0, exec_lo
.LBB1999_106:
	s_or_b32 exec_lo, exec_lo, s4
	v_cndmask_b32_e64 v7, 0, 1, vcc_lo
	v_dual_lshrrev_b32 v8, 8, v6 :: v_dual_lshrrev_b32 v9, 16, v6
	v_cndmask_b32_e64 v39, 0, 1, s3
	s_delay_alu instid0(VALU_DEP_3) | instskip(NEXT) | instid1(VALU_DEP_3)
	v_lshlrev_b16 v7, 8, v7
	v_lshlrev_b16 v8, 8, v8
	s_delay_alu instid0(VALU_DEP_2) | instskip(NEXT) | instid1(VALU_DEP_2)
	v_bitop3_b16 v7, v9, v7, 0xff bitop3:0xec
	v_bitop3_b16 v6, v6, v8, 0xff bitop3:0xec
	s_delay_alu instid0(VALU_DEP_2) | instskip(NEXT) | instid1(VALU_DEP_2)
	v_lshlrev_b32_e32 v7, 16, v7
	v_and_b32_e32 v6, 0xffff, v6
	s_delay_alu instid0(VALU_DEP_1)
	v_or_b32_e32 v41, v6, v7
.LBB1999_107:
	s_or_b32 exec_lo, exec_lo, s1
	v_dual_add_nc_u32 v8, 12, v15 :: v_dual_lshrrev_b32 v6, 8, v1
	v_dual_lshrrev_b32 v7, 16, v1 :: v_dual_lshrrev_b32 v1, 24, v1
	s_mov_b32 s0, exec_lo
                                        ; implicit-def: $vgpr42
	s_delay_alu instid0(VALU_DEP_2)
	v_cmpx_le_u32_e64 s5, v8
	s_xor_b32 s0, exec_lo, s0
; %bb.108:
	s_delay_alu instid0(VALU_DEP_2) | instskip(SKIP_1) | instid1(VALU_DEP_2)
	v_lshlrev_b16 v1, 8, v1
	v_lshlrev_b16 v6, 8, v6
	v_bitop3_b16 v1, v7, v1, 0xff bitop3:0xec
	s_delay_alu instid0(VALU_DEP_2) | instskip(NEXT) | instid1(VALU_DEP_2)
	v_and_b32_e32 v6, 0xffff, v6
                                        ; implicit-def: $vgpr7
	v_lshlrev_b32_e32 v1, 16, v1
	s_delay_alu instid0(VALU_DEP_1)
	v_or_b32_e32 v42, v6, v1
                                        ; implicit-def: $vgpr1
                                        ; implicit-def: $vgpr6
; %bb.109:
	s_or_saveexec_b32 s1, s0
	v_mov_b32_e32 v43, 0
	s_xor_b32 exec_lo, exec_lo, s1
	s_cbranch_execz .LBB1999_113
; %bb.110:
	v_dual_add_nc_u32 v8, s19, v34 :: v_dual_add_nc_u32 v9, s17, v34
	s_mov_b32 s3, 0
	s_mov_b32 s4, exec_lo
	s_delay_alu instid0(VALU_DEP_1) | instskip(NEXT) | instid1(VALU_DEP_2)
	v_mul_lo_u32 v8, v8, s18
	v_mul_lo_u32 v9, v9, s16
	s_delay_alu instid0(VALU_DEP_1) | instskip(NEXT) | instid1(VALU_DEP_1)
	v_sub_nc_u32_e32 v8, v9, v8
	v_cmp_lt_u32_e32 vcc_lo, s20, v8
	v_cmpx_ge_u32_e64 s20, v8
	s_cbranch_execz .LBB1999_112
; %bb.111:
	v_dual_add_nc_u32 v8, s38, v34 :: v_dual_add_nc_u32 v9, s22, v34
	s_delay_alu instid0(VALU_DEP_1) | instskip(NEXT) | instid1(VALU_DEP_2)
	v_mul_lo_u32 v8, v8, s23
	v_mul_lo_u32 v9, v9, s21
	s_delay_alu instid0(VALU_DEP_1) | instskip(NEXT) | instid1(VALU_DEP_1)
	v_sub_nc_u32_e32 v8, v9, v8
	v_cmp_lt_u32_e64 s0, s39, v8
	s_and_b32 s3, s0, exec_lo
.LBB1999_112:
	s_or_b32 exec_lo, exec_lo, s4
	v_cndmask_b32_e64 v8, 0, 1, vcc_lo
	v_lshlrev_b16 v1, 8, v1
	v_lshlrev_b16 v6, 8, v6
	v_cndmask_b32_e64 v43, 0, 1, s3
	s_delay_alu instid0(VALU_DEP_3) | instskip(NEXT) | instid1(VALU_DEP_1)
	v_bitop3_b16 v1, v7, v1, 0xff bitop3:0xec
	v_dual_lshlrev_b32 v1, 16, v1 :: v_dual_bitop2_b32 v6, v8, v6 bitop3:0x54
	s_delay_alu instid0(VALU_DEP_1) | instskip(NEXT) | instid1(VALU_DEP_1)
	v_and_b32_e32 v6, 0xffff, v6
	v_or_b32_e32 v42, v6, v1
.LBB1999_113:
	s_or_b32 exec_lo, exec_lo, s1
.LBB1999_114:
	v_and_b32_e32 v66, 0xff, v36
	s_delay_alu instid0(VALU_DEP_2)
	v_bfe_u32 v67, v42, 8, 8
	v_bfe_u32 v64, v36, 8, 8
	;; [unrolled: 1-line block ×4, first 2 shown]
	v_dual_lshrrev_b32 v49, 24, v42 :: v_dual_lshrrev_b32 v48, 24, v36
	v_and_b32_e32 v62, 0xff, v37
	v_and_b32_e32 v60, 0xff, v38
	v_bfe_u32 v61, v37, 8, 8
	v_add3_u32 v1, v64, v66, v63
	v_add3_u32 v6, v65, v67, v49
	v_bfe_u32 v58, v38, 8, 8
	v_bfe_u32 v59, v37, 16, 8
	;; [unrolled: 1-line block ×3, first 2 shown]
	v_dual_lshrrev_b32 v47, 24, v37 :: v_dual_lshrrev_b32 v46, 24, v38
	v_add3_u32 v1, v1, v48, v60
	v_add3_u32 v6, v6, v62, v61
	v_and_b32_e32 v57, 0xff, v40
	v_and_b32_e32 v53, 0xff, v41
	v_bfe_u32 v55, v40, 8, 8
	v_add3_u32 v1, v1, v58, v56
	v_add3_u32 v6, v6, v59, v47
	v_bfe_u32 v52, v41, 8, 8
	v_bfe_u32 v54, v40, 16, 8
	;; [unrolled: 1-line block ×3, first 2 shown]
	v_dual_lshrrev_b32 v45, 24, v40 :: v_dual_lshrrev_b32 v44, 24, v41
	v_add3_u32 v1, v1, v46, v53
	v_add3_u32 v6, v6, v57, v55
	v_mbcnt_lo_u32_b32 v68, -1, 0
	v_and_b32_e32 v50, 0xff, v39
	v_and_b32_e32 v7, 0xff, v42
	;; [unrolled: 1-line block ×3, first 2 shown]
	v_add3_u32 v1, v1, v52, v51
	v_add3_u32 v6, v6, v54, v45
	v_and_b32_e32 v70, 15, v68
	v_and_b32_e32 v72, 16, v68
	v_dual_lshrrev_b32 v69, 5, v0 :: v_dual_bitop2_b32 v71, 31, v0 bitop3:0x54
	v_add3_u32 v73, v1, v44, v7
	v_add3_u32 v74, v6, v50, v8
	v_cmp_eq_u32_e64 s1, 0, v70
	v_cmp_lt_u32_e64 s0, 1, v70
	v_cmp_lt_u32_e64 s3, 3, v70
	s_cmp_lg_u32 s27, 0
	s_mov_b32 s4, -1
	v_cmp_lt_u32_e32 vcc_lo, 7, v70
	s_cbranch_scc0 .LBB1999_135
; %bb.115:
	v_mov_b32_dpp v1, v74 row_shr:1 row_mask:0xf bank_mask:0xf
	v_mov_b32_dpp v6, v73 row_shr:1 row_mask:0xf bank_mask:0xf
	s_mov_b32 s4, exec_lo
	s_delay_alu instid0(VALU_DEP_1) | instskip(NEXT) | instid1(VALU_DEP_1)
	v_dual_add_nc_u32 v1, v1, v74 :: v_dual_add_nc_u32 v6, v6, v73
	v_dual_cndmask_b32 v1, v1, v74, s1 :: v_dual_cndmask_b32 v6, v6, v73, s1
	s_delay_alu instid0(VALU_DEP_1) | instskip(NEXT) | instid1(VALU_DEP_2)
	v_mov_b32_dpp v7, v1 row_shr:2 row_mask:0xf bank_mask:0xf
	v_mov_b32_dpp v8, v6 row_shr:2 row_mask:0xf bank_mask:0xf
	s_delay_alu instid0(VALU_DEP_1) | instskip(NEXT) | instid1(VALU_DEP_1)
	v_dual_add_nc_u32 v7, v1, v7 :: v_dual_add_nc_u32 v8, v6, v8
	v_dual_cndmask_b32 v1, v1, v7, s0 :: v_dual_cndmask_b32 v6, v6, v8, s0
	s_delay_alu instid0(VALU_DEP_1) | instskip(NEXT) | instid1(VALU_DEP_2)
	v_mov_b32_dpp v7, v1 row_shr:4 row_mask:0xf bank_mask:0xf
	v_mov_b32_dpp v8, v6 row_shr:4 row_mask:0xf bank_mask:0xf
	;; [unrolled: 6-line block ×3, first 2 shown]
	s_delay_alu instid0(VALU_DEP_1) | instskip(NEXT) | instid1(VALU_DEP_1)
	v_dual_add_nc_u32 v7, v1, v7 :: v_dual_add_nc_u32 v8, v6, v8
	v_dual_cndmask_b32 v1, v1, v7 :: v_dual_cndmask_b32 v6, v6, v8
	v_cmp_eq_u32_e32 vcc_lo, 0, v72
	ds_swizzle_b32 v7, v1 offset:swizzle(BROADCAST,32,15)
	ds_swizzle_b32 v8, v6 offset:swizzle(BROADCAST,32,15)
	s_wait_dscnt 0x0
	v_dual_add_nc_u32 v7, v1, v7 :: v_dual_add_nc_u32 v8, v6, v8
	v_cmpx_eq_u32_e64 v0, v71
; %bb.116:
	s_delay_alu instid0(VALU_DEP_2) | instskip(NEXT) | instid1(VALU_DEP_3)
	v_dual_cndmask_b32 v10, v8, v6 :: v_dual_lshlrev_b32 v9, 3, v69
	v_cndmask_b32_e32 v11, v7, v1, vcc_lo
	ds_store_b64 v9, v[10:11]
; %bb.117:
	s_or_b32 exec_lo, exec_lo, s4
	s_delay_alu instid0(SALU_CYCLE_1)
	s_mov_b32 s4, exec_lo
	s_wait_dscnt 0x0
	s_barrier_signal -1
	s_barrier_wait -1
	v_cmpx_gt_u32_e32 8, v0
	s_cbranch_execz .LBB1999_119
; %bb.118:
	v_lshlrev_b32_e32 v9, 3, v0
	ds_load_b64 v[10:11], v9
	s_wait_dscnt 0x0
	v_mov_b32_dpp v12, v10 row_shr:1 row_mask:0xf bank_mask:0xf
	v_mov_b32_dpp v13, v11 row_shr:1 row_mask:0xf bank_mask:0xf
	s_delay_alu instid0(VALU_DEP_2) | instskip(NEXT) | instid1(VALU_DEP_2)
	v_dual_add_nc_u32 v12, v12, v10 :: v_dual_bitop2_b32 v28, 7, v68 bitop3:0x40
	v_add_nc_u32_e32 v13, v13, v11
	s_delay_alu instid0(VALU_DEP_2) | instskip(NEXT) | instid1(VALU_DEP_1)
	v_cmp_eq_u32_e64 s3, 0, v28
	v_dual_cndmask_b32 v11, v13, v11, s3 :: v_dual_cndmask_b32 v10, v12, v10, s3
	v_cmp_lt_u32_e64 s3, 1, v28
	s_delay_alu instid0(VALU_DEP_2) | instskip(NEXT) | instid1(VALU_DEP_3)
	v_mov_b32_dpp v13, v11 row_shr:2 row_mask:0xf bank_mask:0xf
	v_mov_b32_dpp v12, v10 row_shr:2 row_mask:0xf bank_mask:0xf
	s_delay_alu instid0(VALU_DEP_1) | instskip(NEXT) | instid1(VALU_DEP_1)
	v_dual_add_nc_u32 v13, v11, v13 :: v_dual_add_nc_u32 v12, v10, v12
	v_dual_cndmask_b32 v11, v11, v13, s3 :: v_dual_cndmask_b32 v10, v10, v12, s3
	v_cmp_lt_u32_e64 s3, 3, v28
	s_delay_alu instid0(VALU_DEP_2) | instskip(NEXT) | instid1(VALU_DEP_3)
	v_mov_b32_dpp v13, v11 row_shr:4 row_mask:0xf bank_mask:0xf
	v_mov_b32_dpp v12, v10 row_shr:4 row_mask:0xf bank_mask:0xf
	s_delay_alu instid0(VALU_DEP_1) | instskip(NEXT) | instid1(VALU_DEP_1)
	v_dual_cndmask_b32 v13, 0, v13, s3 :: v_dual_cndmask_b32 v12, 0, v12, s3
	v_dual_add_nc_u32 v11, v13, v11 :: v_dual_add_nc_u32 v10, v12, v10
	ds_store_b64 v9, v[10:11]
.LBB1999_119:
	s_or_b32 exec_lo, exec_lo, s4
	v_dual_cndmask_b32 v1, v7, v1 :: v_dual_cndmask_b32 v6, v8, v6
	s_mov_b32 s4, exec_lo
	v_cmp_gt_u32_e32 vcc_lo, 32, v0
	s_wait_dscnt 0x0
	s_barrier_signal -1
	s_barrier_wait -1
                                        ; implicit-def: $vgpr28
	v_cmpx_lt_u32_e32 31, v0
	s_cbranch_execz .LBB1999_121
; %bb.120:
	v_lshl_add_u32 v7, v69, 3, -8
	ds_load_b64 v[28:29], v7
	s_wait_dscnt 0x0
	v_dual_add_nc_u32 v1, v29, v1 :: v_dual_add_nc_u32 v6, v28, v6
.LBB1999_121:
	s_or_b32 exec_lo, exec_lo, s4
	v_sub_co_u32 v7, s3, v68, 1
	s_delay_alu instid0(VALU_DEP_1) | instskip(NEXT) | instid1(VALU_DEP_1)
	v_cmp_gt_i32_e64 s4, 0, v7
	v_cndmask_b32_e64 v7, v7, v68, s4
	s_delay_alu instid0(VALU_DEP_1)
	v_lshlrev_b32_e32 v7, 2, v7
	ds_bpermute_b32 v75, v7, v6
	ds_bpermute_b32 v1, v7, v1
	s_and_saveexec_b32 s4, vcc_lo
	s_cbranch_execz .LBB1999_140
; %bb.122:
	v_mov_b32_e32 v9, 0
	ds_load_b64 v[6:7], v9 offset:56
	s_and_saveexec_b32 s6, s3
	s_cbranch_execz .LBB1999_124
; %bb.123:
	s_add_co_i32 s8, s27, 32
	s_mov_b32 s9, 0
	v_mov_b32_e32 v8, 1
	s_lshl_b64 s[8:9], s[8:9], 4
	s_delay_alu instid0(SALU_CYCLE_1) | instskip(NEXT) | instid1(SALU_CYCLE_1)
	s_add_nc_u64 s[8:9], s[36:37], s[8:9]
	v_mov_b64_e32 v[10:11], s[8:9]
	s_wait_dscnt 0x0
	;;#ASMSTART
	global_store_b128 v[10:11], v[6:9] off scope:SCOPE_DEV	
s_wait_storecnt 0x0
	;;#ASMEND
.LBB1999_124:
	s_or_b32 exec_lo, exec_lo, s6
	v_xad_u32 v30, v68, -1, s27
	s_mov_b32 s7, 0
	s_mov_b32 s6, exec_lo
	s_delay_alu instid0(VALU_DEP_1) | instskip(NEXT) | instid1(VALU_DEP_1)
	v_add_nc_u32_e32 v8, 32, v30
	v_lshl_add_u64 v[8:9], v[8:9], 4, s[36:37]
	;;#ASMSTART
	global_load_b128 v[10:13], v[8:9] off scope:SCOPE_DEV	
s_wait_loadcnt 0x0
	;;#ASMEND
	v_and_b32_e32 v13, 0xff, v12
	s_delay_alu instid0(VALU_DEP_1)
	v_cmpx_eq_u16_e32 0, v13
	s_cbranch_execz .LBB1999_127
.LBB1999_125:                           ; =>This Inner Loop Header: Depth=1
	;;#ASMSTART
	global_load_b128 v[10:13], v[8:9] off scope:SCOPE_DEV	
s_wait_loadcnt 0x0
	;;#ASMEND
	v_and_b32_e32 v13, 0xff, v12
	s_delay_alu instid0(VALU_DEP_1) | instskip(SKIP_1) | instid1(SALU_CYCLE_1)
	v_cmp_ne_u16_e32 vcc_lo, 0, v13
	s_or_b32 s7, vcc_lo, s7
	s_and_not1_b32 exec_lo, exec_lo, s7
	s_cbranch_execnz .LBB1999_125
; %bb.126:
	s_or_b32 exec_lo, exec_lo, s7
.LBB1999_127:
	s_delay_alu instid0(SALU_CYCLE_1) | instskip(SKIP_4) | instid1(VALU_DEP_1)
	s_or_b32 exec_lo, exec_lo, s6
	v_cmp_ne_u32_e32 vcc_lo, 31, v68
	v_lshlrev_b32_e64 v77, v68, -1
	v_lshl_or_b32 v84, v68, 2, 64
	v_add_co_ci_u32_e64 v8, null, 0, v68, vcc_lo
	v_lshlrev_b32_e32 v76, 2, v8
	v_and_b32_e32 v8, 0xff, v12
	s_delay_alu instid0(VALU_DEP_1)
	v_cmp_eq_u16_e32 vcc_lo, 2, v8
	v_and_b32_e32 v13, vcc_lo, v77
	ds_bpermute_b32 v9, v76, v11
	ds_bpermute_b32 v8, v76, v10
	v_cmp_gt_u32_e32 vcc_lo, 30, v68
	v_or_b32_e32 v13, 0x80000000, v13
	v_cndmask_b32_e64 v31, 0, 2, vcc_lo
	s_delay_alu instid0(VALU_DEP_2) | instskip(NEXT) | instid1(VALU_DEP_2)
	v_ctz_i32_b32_e32 v13, v13
	v_add_lshl_u32 v78, v31, v68, 2
	s_delay_alu instid0(VALU_DEP_2) | instskip(SKIP_2) | instid1(VALU_DEP_1)
	v_cmp_lt_u32_e32 vcc_lo, v68, v13
	s_wait_dscnt 0x0
	v_dual_add_nc_u32 v9, v9, v11 :: v_dual_add_nc_u32 v8, v8, v10
	v_dual_cndmask_b32 v9, v11, v9 :: v_dual_cndmask_b32 v8, v10, v8
	v_cmp_gt_u32_e32 vcc_lo, 28, v68
	ds_bpermute_b32 v10, v78, v9
	ds_bpermute_b32 v11, v78, v8
	v_add_nc_u32_e32 v79, 2, v68
	v_cndmask_b32_e64 v31, 0, 4, vcc_lo
	s_delay_alu instid0(VALU_DEP_1) | instskip(SKIP_4) | instid1(VALU_DEP_2)
	v_add_lshl_u32 v80, v31, v68, 2
	s_wait_dscnt 0x1
	v_add_nc_u32_e32 v10, v9, v10
	v_cmp_gt_u32_e32 vcc_lo, v79, v13
	s_wait_dscnt 0x0
	v_dual_add_nc_u32 v11, v8, v11 :: v_dual_cndmask_b32 v9, v10, v9, vcc_lo
	ds_bpermute_b32 v10, v80, v9
	v_cndmask_b32_e32 v8, v11, v8, vcc_lo
	v_cmp_gt_u32_e32 vcc_lo, 24, v68
	v_cndmask_b32_e64 v31, 0, 8, vcc_lo
	s_delay_alu instid0(VALU_DEP_1)
	v_add_lshl_u32 v82, v31, v68, 2
	s_wait_dscnt 0x0
	v_dual_mov_b32 v31, 0 :: v_dual_add_nc_u32 v10, v9, v10
	ds_bpermute_b32 v11, v80, v8
	s_wait_dscnt 0x0
	v_dual_add_nc_u32 v81, 4, v68 :: v_dual_add_nc_u32 v11, v8, v11
	s_delay_alu instid0(VALU_DEP_1) | instskip(NEXT) | instid1(VALU_DEP_2)
	v_cmp_gt_u32_e32 vcc_lo, v81, v13
	v_dual_cndmask_b32 v9, v10, v9 :: v_dual_cndmask_b32 v8, v11, v8
	ds_bpermute_b32 v10, v82, v9
	ds_bpermute_b32 v11, v82, v8
	s_wait_dscnt 0x1
	v_dual_add_nc_u32 v83, 8, v68 :: v_dual_add_nc_u32 v10, v9, v10
	s_delay_alu instid0(VALU_DEP_1) | instskip(SKIP_1) | instid1(VALU_DEP_2)
	v_cmp_gt_u32_e32 vcc_lo, v83, v13
	s_wait_dscnt 0x0
	v_dual_add_nc_u32 v11, v8, v11 :: v_dual_cndmask_b32 v9, v10, v9, vcc_lo
	s_delay_alu instid0(VALU_DEP_1) | instskip(SKIP_3) | instid1(VALU_DEP_1)
	v_cndmask_b32_e32 v8, v11, v8, vcc_lo
	ds_bpermute_b32 v11, v84, v9
	ds_bpermute_b32 v10, v84, v8
	v_add_nc_u32_e32 v85, 16, v68
	v_cmp_le_u32_e32 vcc_lo, v85, v13
	s_wait_dscnt 0x0
	v_dual_cndmask_b32 v11, 0, v11 :: v_dual_cndmask_b32 v10, 0, v10
	s_delay_alu instid0(VALU_DEP_1)
	v_dual_add_nc_u32 v11, v11, v9 :: v_dual_add_nc_u32 v10, v10, v8
	s_branch .LBB1999_131
.LBB1999_128:                           ;   in Loop: Header=BB1999_131 Depth=1
	s_or_b32 exec_lo, exec_lo, s7
.LBB1999_129:                           ;   in Loop: Header=BB1999_131 Depth=1
	s_delay_alu instid0(SALU_CYCLE_1)
	s_or_b32 exec_lo, exec_lo, s6
	ds_bpermute_b32 v13, v76, v10
	ds_bpermute_b32 v32, v76, v11
	v_and_b32_e32 v33, 0xff, v12
	v_subrev_nc_u32_e32 v30, 32, v30
	s_mov_b32 s6, 0
	s_delay_alu instid0(VALU_DEP_2) | instskip(SKIP_1) | instid1(VALU_DEP_1)
	v_cmp_eq_u16_e32 vcc_lo, 2, v33
	v_and_or_b32 v33, vcc_lo, v77, 0x80000000
	v_ctz_i32_b32_e32 v33, v33
	s_wait_dscnt 0x0
	v_dual_add_nc_u32 v13, v13, v10 :: v_dual_add_nc_u32 v32, v32, v11
	s_delay_alu instid0(VALU_DEP_2) | instskip(NEXT) | instid1(VALU_DEP_2)
	v_cmp_lt_u32_e32 vcc_lo, v68, v33
	v_dual_cndmask_b32 v11, v11, v32 :: v_dual_cndmask_b32 v10, v10, v13
	v_cmp_gt_u32_e32 vcc_lo, v79, v33
	ds_bpermute_b32 v32, v78, v11
	ds_bpermute_b32 v13, v78, v10
	s_wait_dscnt 0x0
	v_dual_add_nc_u32 v32, v11, v32 :: v_dual_add_nc_u32 v13, v10, v13
	s_delay_alu instid0(VALU_DEP_1)
	v_dual_cndmask_b32 v11, v32, v11 :: v_dual_cndmask_b32 v10, v13, v10
	v_cmp_gt_u32_e32 vcc_lo, v81, v33
	ds_bpermute_b32 v32, v80, v11
	ds_bpermute_b32 v13, v80, v10
	s_wait_dscnt 0x0
	v_dual_add_nc_u32 v32, v11, v32 :: v_dual_add_nc_u32 v13, v10, v13
	s_delay_alu instid0(VALU_DEP_1)
	;; [unrolled: 7-line block ×3, first 2 shown]
	v_dual_cndmask_b32 v11, v32, v11 :: v_dual_cndmask_b32 v10, v13, v10
	v_cmp_le_u32_e32 vcc_lo, v85, v33
	ds_bpermute_b32 v32, v84, v11
	ds_bpermute_b32 v13, v84, v10
	s_wait_dscnt 0x0
	v_dual_cndmask_b32 v32, 0, v32 :: v_dual_cndmask_b32 v13, 0, v13
	s_delay_alu instid0(VALU_DEP_1) | instskip(NEXT) | instid1(VALU_DEP_2)
	v_add3_u32 v11, v11, v9, v32
	v_add3_u32 v10, v10, v8, v13
.LBB1999_130:                           ;   in Loop: Header=BB1999_131 Depth=1
	s_and_b32 vcc_lo, exec_lo, s6
	s_cbranch_vccnz .LBB1999_136
.LBB1999_131:                           ; =>This Loop Header: Depth=1
                                        ;     Child Loop BB1999_134 Depth 2
	v_and_b32_e32 v8, 0xff, v12
	s_mov_b32 s6, -1
                                        ; implicit-def: $vgpr12
	s_delay_alu instid0(VALU_DEP_1)
	v_cmp_ne_u16_e32 vcc_lo, 2, v8
	v_mov_b64_e32 v[8:9], v[10:11]
                                        ; implicit-def: $vgpr10_vgpr11
	s_cmp_lg_u32 vcc_lo, exec_lo
	s_cbranch_scc1 .LBB1999_130
; %bb.132:                              ;   in Loop: Header=BB1999_131 Depth=1
	v_lshl_add_u64 v[32:33], v[30:31], 4, s[36:37]
	;;#ASMSTART
	global_load_b128 v[10:13], v[32:33] off scope:SCOPE_DEV	
s_wait_loadcnt 0x0
	;;#ASMEND
	v_and_b32_e32 v13, 0xff, v12
	s_mov_b32 s6, exec_lo
	s_delay_alu instid0(VALU_DEP_1)
	v_cmpx_eq_u16_e32 0, v13
	s_cbranch_execz .LBB1999_129
; %bb.133:                              ;   in Loop: Header=BB1999_131 Depth=1
	s_mov_b32 s7, 0
.LBB1999_134:                           ;   Parent Loop BB1999_131 Depth=1
                                        ; =>  This Inner Loop Header: Depth=2
	;;#ASMSTART
	global_load_b128 v[10:13], v[32:33] off scope:SCOPE_DEV	
s_wait_loadcnt 0x0
	;;#ASMEND
	v_and_b32_e32 v13, 0xff, v12
	s_delay_alu instid0(VALU_DEP_1) | instskip(SKIP_1) | instid1(SALU_CYCLE_1)
	v_cmp_ne_u16_e32 vcc_lo, 0, v13
	s_or_b32 s7, vcc_lo, s7
	s_and_not1_b32 exec_lo, exec_lo, s7
	s_cbranch_execnz .LBB1999_134
	s_branch .LBB1999_128
.LBB1999_135:
                                        ; implicit-def: $vgpr1
                                        ; implicit-def: $vgpr8
                                        ; implicit-def: $vgpr10
                                        ; implicit-def: $vgpr12
                                        ; implicit-def: $vgpr28
	s_and_b32 vcc_lo, exec_lo, s4
	s_cbranch_vccnz .LBB1999_141
	s_branch .LBB1999_150
.LBB1999_136:
	s_and_saveexec_b32 s6, s3
	s_cbranch_execz .LBB1999_138
; %bb.137:
	s_add_co_i32 s8, s27, 32
	s_mov_b32 s9, 0
	v_dual_mov_b32 v12, 2 :: v_dual_mov_b32 v13, 0
	s_lshl_b64 s[8:9], s[8:9], 4
	v_dual_add_nc_u32 v11, v9, v7 :: v_dual_add_nc_u32 v10, v8, v6
	s_add_nc_u64 s[8:9], s[36:37], s[8:9]
	s_delay_alu instid0(SALU_CYCLE_1)
	v_mov_b64_e32 v[30:31], s[8:9]
	;;#ASMSTART
	global_store_b128 v[30:31], v[10:13] off scope:SCOPE_DEV	
s_wait_storecnt 0x0
	;;#ASMEND
	ds_store_b128 v13, v[6:9] offset:13312
.LBB1999_138:
	s_or_b32 exec_lo, exec_lo, s6
	s_delay_alu instid0(SALU_CYCLE_1)
	s_and_b32 exec_lo, exec_lo, s2
; %bb.139:
	v_mov_b32_e32 v6, 0
	ds_store_b64 v6, v[8:9] offset:56
.LBB1999_140:
	s_or_b32 exec_lo, exec_lo, s4
	s_wait_dscnt 0x0
	v_dual_mov_b32 v6, 0 :: v_dual_cndmask_b32 v1, v1, v29, s3
	s_barrier_signal -1
	s_barrier_wait -1
	ds_load_b64 v[12:13], v6 offset:56
	s_wait_dscnt 0x0
	s_barrier_signal -1
	s_barrier_wait -1
	ds_load_b128 v[6:9], v6 offset:13312
	v_cndmask_b32_e64 v10, v75, v28, s3
	s_delay_alu instid0(VALU_DEP_1) | instskip(SKIP_2) | instid1(VALU_DEP_2)
	v_dual_add_nc_u32 v1, v13, v1 :: v_dual_add_nc_u32 v11, v12, v10
	s_wait_dscnt 0x0
	v_mov_b32_e32 v10, v9
	v_dual_cndmask_b32 v1, v1, v13, s2 :: v_dual_cndmask_b32 v28, v11, v12, s2
	v_mov_b32_e32 v12, v7
	s_branch .LBB1999_150
.LBB1999_141:
	v_mov_b32_dpp v1, v73 row_shr:1 row_mask:0xf bank_mask:0xf
	v_mov_b32_dpp v6, v74 row_shr:1 row_mask:0xf bank_mask:0xf
	v_cmp_lt_u32_e32 vcc_lo, 3, v70
	s_delay_alu instid0(VALU_DEP_2) | instskip(NEXT) | instid1(VALU_DEP_1)
	v_dual_add_nc_u32 v1, v1, v73 :: v_dual_add_nc_u32 v6, v6, v74
	v_dual_cndmask_b32 v1, v1, v73, s1 :: v_dual_cndmask_b32 v6, v6, v74, s1
	s_mov_b32 s1, exec_lo
	s_delay_alu instid0(VALU_DEP_1) | instskip(NEXT) | instid1(VALU_DEP_2)
	v_mov_b32_dpp v7, v1 row_shr:2 row_mask:0xf bank_mask:0xf
	v_mov_b32_dpp v8, v6 row_shr:2 row_mask:0xf bank_mask:0xf
	s_delay_alu instid0(VALU_DEP_1) | instskip(NEXT) | instid1(VALU_DEP_1)
	v_dual_add_nc_u32 v7, v1, v7 :: v_dual_add_nc_u32 v8, v6, v8
	v_dual_cndmask_b32 v1, v1, v7, s0 :: v_dual_cndmask_b32 v6, v6, v8, s0
	s_delay_alu instid0(VALU_DEP_1) | instskip(NEXT) | instid1(VALU_DEP_2)
	v_mov_b32_dpp v7, v1 row_shr:4 row_mask:0xf bank_mask:0xf
	v_mov_b32_dpp v8, v6 row_shr:4 row_mask:0xf bank_mask:0xf
	s_delay_alu instid0(VALU_DEP_1) | instskip(NEXT) | instid1(VALU_DEP_1)
	v_dual_add_nc_u32 v7, v1, v7 :: v_dual_add_nc_u32 v8, v6, v8
	v_dual_cndmask_b32 v7, v1, v7 :: v_dual_cndmask_b32 v6, v6, v8
	v_cmp_lt_u32_e32 vcc_lo, 7, v70
	s_delay_alu instid0(VALU_DEP_2) | instskip(NEXT) | instid1(VALU_DEP_3)
	v_mov_b32_dpp v1, v7 row_shr:8 row_mask:0xf bank_mask:0xf
	v_mov_b32_dpp v8, v6 row_shr:8 row_mask:0xf bank_mask:0xf
	s_delay_alu instid0(VALU_DEP_1) | instskip(NEXT) | instid1(VALU_DEP_1)
	v_dual_add_nc_u32 v9, v7, v1 :: v_dual_add_nc_u32 v1, v6, v8
	v_cndmask_b32_e32 v1, v6, v1, vcc_lo
	s_delay_alu instid0(VALU_DEP_2)
	v_cndmask_b32_e32 v6, v7, v9, vcc_lo
	v_cmp_eq_u32_e32 vcc_lo, 0, v72
	ds_swizzle_b32 v8, v6 offset:swizzle(BROADCAST,32,15)
	s_wait_dscnt 0x0
	v_add_nc_u32_e32 v8, v6, v8
	ds_swizzle_b32 v7, v1 offset:swizzle(BROADCAST,32,15)
	s_wait_dscnt 0x0
	v_add_nc_u32_e32 v7, v1, v7
	v_cmpx_eq_u32_e64 v0, v71
; %bb.142:
	s_delay_alu instid0(VALU_DEP_2)
	v_dual_cndmask_b32 v10, v8, v6 :: v_dual_cndmask_b32 v11, v7, v1
	v_lshlrev_b32_e32 v9, 3, v69
	ds_store_b64 v9, v[10:11]
; %bb.143:
	s_or_b32 exec_lo, exec_lo, s1
	s_delay_alu instid0(SALU_CYCLE_1)
	s_mov_b32 s1, exec_lo
	s_wait_dscnt 0x0
	s_barrier_signal -1
	s_barrier_wait -1
	v_cmpx_gt_u32_e32 8, v0
	s_cbranch_execz .LBB1999_145
; %bb.144:
	v_lshlrev_b32_e32 v9, 3, v0
	ds_load_b64 v[10:11], v9
	s_wait_dscnt 0x0
	v_mov_b32_dpp v12, v10 row_shr:1 row_mask:0xf bank_mask:0xf
	v_mov_b32_dpp v13, v11 row_shr:1 row_mask:0xf bank_mask:0xf
	s_delay_alu instid0(VALU_DEP_2) | instskip(NEXT) | instid1(VALU_DEP_2)
	v_dual_add_nc_u32 v12, v12, v10 :: v_dual_bitop2_b32 v28, 7, v68 bitop3:0x40
	v_add_nc_u32_e32 v13, v13, v11
	s_delay_alu instid0(VALU_DEP_2) | instskip(NEXT) | instid1(VALU_DEP_1)
	v_cmp_eq_u32_e64 s0, 0, v28
	v_dual_cndmask_b32 v11, v13, v11, s0 :: v_dual_cndmask_b32 v10, v12, v10, s0
	v_cmp_lt_u32_e64 s0, 1, v28
	s_delay_alu instid0(VALU_DEP_2) | instskip(NEXT) | instid1(VALU_DEP_3)
	v_mov_b32_dpp v13, v11 row_shr:2 row_mask:0xf bank_mask:0xf
	v_mov_b32_dpp v12, v10 row_shr:2 row_mask:0xf bank_mask:0xf
	s_delay_alu instid0(VALU_DEP_1) | instskip(NEXT) | instid1(VALU_DEP_1)
	v_dual_add_nc_u32 v13, v11, v13 :: v_dual_add_nc_u32 v12, v10, v12
	v_dual_cndmask_b32 v11, v11, v13, s0 :: v_dual_cndmask_b32 v10, v10, v12, s0
	v_cmp_lt_u32_e64 s0, 3, v28
	s_delay_alu instid0(VALU_DEP_2) | instskip(NEXT) | instid1(VALU_DEP_3)
	v_mov_b32_dpp v13, v11 row_shr:4 row_mask:0xf bank_mask:0xf
	v_mov_b32_dpp v12, v10 row_shr:4 row_mask:0xf bank_mask:0xf
	s_delay_alu instid0(VALU_DEP_1) | instskip(NEXT) | instid1(VALU_DEP_1)
	v_dual_cndmask_b32 v13, 0, v13, s0 :: v_dual_cndmask_b32 v12, 0, v12, s0
	v_dual_add_nc_u32 v11, v13, v11 :: v_dual_add_nc_u32 v10, v12, v10
	ds_store_b64 v9, v[10:11]
.LBB1999_145:
	s_or_b32 exec_lo, exec_lo, s1
	v_dual_mov_b32 v9, 0 :: v_dual_mov_b32 v10, 0
	v_mov_b32_e32 v11, 0
	s_mov_b32 s1, exec_lo
	s_wait_dscnt 0x0
	s_barrier_signal -1
	s_barrier_wait -1
	v_cmpx_lt_u32_e32 31, v0
; %bb.146:
	v_lshl_add_u32 v10, v69, 3, -8
	ds_load_b64 v[10:11], v10
; %bb.147:
	s_or_b32 exec_lo, exec_lo, s1
	v_sub_co_u32 v12, s0, v68, 1
	v_dual_cndmask_b32 v6, v8, v6 :: v_dual_cndmask_b32 v1, v7, v1
	s_delay_alu instid0(VALU_DEP_2) | instskip(SKIP_1) | instid1(VALU_DEP_1)
	v_cmp_gt_i32_e64 s1, 0, v12
	s_wait_dscnt 0x0
	v_dual_add_nc_u32 v6, v10, v6 :: v_dual_cndmask_b32 v8, v12, v68, s1
	s_delay_alu instid0(VALU_DEP_1)
	v_dual_lshlrev_b32 v7, 2, v8 :: v_dual_add_nc_u32 v8, v11, v1
	ds_bpermute_b32 v1, v7, v6
	ds_bpermute_b32 v12, v7, v8
	ds_load_b64 v[6:7], v9 offset:56
	s_and_saveexec_b32 s1, s2
	s_cbranch_execz .LBB1999_149
; %bb.148:
	s_add_nc_u64 s[6:7], s[36:37], 0x200
	v_dual_mov_b32 v8, 2 :: v_dual_mov_b32 v9, 0
	v_mov_b64_e32 v[28:29], s[6:7]
	s_wait_dscnt 0x0
	;;#ASMSTART
	global_store_b128 v[28:29], v[6:9] off scope:SCOPE_DEV	
s_wait_storecnt 0x0
	;;#ASMEND
.LBB1999_149:
	s_or_b32 exec_lo, exec_lo, s1
	s_wait_dscnt 0x1
	v_dual_cndmask_b32 v9, v12, v11, s0 :: v_dual_cndmask_b32 v11, v1, v10, s0
	v_dual_mov_b32 v10, 0 :: v_dual_mov_b32 v8, 0
	s_wait_dscnt 0x0
	v_mov_b32_e32 v12, v7
	s_delay_alu instid0(VALU_DEP_3)
	v_cndmask_b32_e64 v1, v9, 0, s2
	v_cndmask_b32_e64 v28, v11, 0, s2
	s_barrier_signal -1
	s_barrier_wait -1
.LBB1999_150:
	s_delay_alu instid0(VALU_DEP_1) | instskip(SKIP_2) | instid1(VALU_DEP_3)
	v_dual_add_nc_u32 v74, v1, v67 :: v_dual_add_nc_u32 v75, v28, v66
	v_dual_lshrrev_b32 v72, 16, v42 :: v_dual_lshrrev_b32 v7, 8, v42
	v_dual_lshrrev_b32 v73, 8, v36 :: v_dual_lshrrev_b32 v71, 16, v36
	v_dual_add_nc_u32 v65, v74, v65 :: v_dual_add_nc_u32 v64, v75, v64
	v_dual_mov_b32 v9, 0 :: v_dual_lshlrev_b32 v66, 1, v6
	s_delay_alu instid0(VALU_DEP_2) | instskip(NEXT) | instid1(VALU_DEP_3)
	v_dual_add_nc_u32 v76, v65, v49 :: v_dual_bitop2_b32 v36, 1, v36 bitop3:0x40
	v_add_nc_u32_e32 v63, v64, v63
	v_dual_sub_nc_u32 v28, v28, v8 :: v_dual_sub_nc_u32 v1, v1, v10
	s_delay_alu instid0(VALU_DEP_3) | instskip(NEXT) | instid1(VALU_DEP_3)
	v_dual_add_nc_u32 v62, v76, v62 :: v_dual_bitop2_b32 v77, 1, v7 bitop3:0x40
	v_dual_mov_b32 v7, v9 :: v_dual_add_nc_u32 v78, v63, v48
	v_mov_b32_e32 v11, v9
	s_delay_alu instid0(VALU_DEP_3) | instskip(SKIP_1) | instid1(VALU_DEP_4)
	v_dual_add_nc_u32 v1, v1, v6 :: v_dual_add_nc_u32 v61, v62, v61
	v_add3_u32 v15, v66, v12, v15
	v_add_nc_u32_e32 v60, v78, v60
	s_delay_alu instid0(VALU_DEP_3) | instskip(NEXT) | instid1(VALU_DEP_4)
	v_dual_sub_nc_u32 v74, v74, v10 :: v_dual_add_nc_u32 v81, v28, v1
	v_dual_add_nc_u32 v79, v61, v59 :: v_dual_sub_nc_u32 v75, v75, v8
	s_delay_alu instid0(VALU_DEP_3) | instskip(SKIP_1) | instid1(VALU_DEP_4)
	v_add_nc_u32_e32 v80, v60, v58
	v_cmp_eq_u32_e32 vcc_lo, 1, v77
	v_dual_add_nc_u32 v74, v74, v6 :: v_dual_sub_nc_u32 v64, v64, v8
	s_delay_alu instid0(VALU_DEP_3) | instskip(SKIP_2) | instid1(VALU_DEP_3)
	v_dual_add_nc_u32 v82, v79, v47 :: v_dual_add_nc_u32 v56, v80, v56
	v_dual_sub_nc_u32 v81, v15, v81 :: v_dual_sub_nc_u32 v65, v65, v10
	v_sub_nc_u64_e32 v[58:59], v[4:5], v[6:7]
	v_dual_add_nc_u32 v57, v82, v57 :: v_dual_add_nc_u32 v83, v56, v46
	s_delay_alu instid0(VALU_DEP_3) | instskip(SKIP_1) | instid1(VALU_DEP_3)
	v_dual_cndmask_b32 v1, v81, v1, vcc_lo :: v_dual_add_nc_u32 v81, v74, v75
	v_cmp_eq_u32_e32 vcc_lo, 1, v36
	v_dual_add_nc_u32 v55, v57, v55 :: v_dual_add_nc_u32 v77, v83, v53
	v_and_b32_e32 v72, 1, v72
	v_dual_sub_nc_u32 v63, v63, v8 :: v_dual_bitop2_b32 v49, 1, v49 bitop3:0x40
	s_delay_alu instid0(VALU_DEP_3) | instskip(NEXT) | instid1(VALU_DEP_4)
	v_dual_cndmask_b32 v1, v1, v28 :: v_dual_add_nc_u32 v28, v55, v54
	v_add_nc_u32_e32 v36, v77, v52
	v_add_nc_u32_e32 v54, v65, v6
	v_add_nc_u64_e32 v[52:53], v[58:59], v[10:11]
	s_delay_alu instid0(VALU_DEP_4)
	v_lshlrev_b32_e32 v1, 2, v1
	v_add_nc_u32_e32 v58, v28, v45
	v_dual_add_nc_u32 v51, v36, v51 :: v_dual_sub_nc_u32 v59, v15, v81
	v_add_nc_u32_e32 v65, v54, v64
	ds_store_b32 v1, v26
	v_dual_add_nc_u32 v1, v58, v50 :: v_dual_add_nc_u32 v26, v51, v44
	v_dual_sub_nc_u32 v73, v76, v10 :: v_dual_bitop2_b32 v50, 1, v73 bitop3:0x40
	v_dual_sub_nc_u32 v65, v15, v65 :: v_dual_add_nc_u32 v59, 1, v59
	v_cmp_eq_u32_e32 vcc_lo, 1, v72
	s_delay_alu instid0(VALU_DEP_3) | instskip(NEXT) | instid1(VALU_DEP_3)
	v_dual_add_nc_u32 v73, v73, v6 :: v_dual_bitop2_b32 v71, 1, v71 bitop3:0x40
	v_add_nc_u32_e32 v65, 2, v65
	v_dual_lshrrev_b32 v70, 8, v37 :: v_dual_lshrrev_b32 v69, 16, v37
	v_cndmask_b32_e32 v59, v59, v74, vcc_lo
	v_cmp_eq_u32_e32 vcc_lo, 1, v49
	v_dual_add_nc_u32 v72, v63, v73 :: v_dual_lshrrev_b32 v33, 16, v38
	v_dual_lshrrev_b32 v68, 8, v38 :: v_dual_lshrrev_b32 v31, 16, v40
	v_dual_cndmask_b32 v49, v65, v54 :: v_dual_lshrrev_b32 v32, 8, v40
	v_cmp_eq_u32_e32 vcc_lo, 1, v50
	s_delay_alu instid0(VALU_DEP_4)
	v_dual_sub_nc_u32 v54, v15, v72 :: v_dual_lshrrev_b32 v30, 8, v41
	v_dual_lshrrev_b32 v29, 16, v41 :: v_dual_sub_nc_u32 v1, v1, v10
	v_cndmask_b32_e32 v50, v59, v75, vcc_lo
	v_cmp_eq_u32_e32 vcc_lo, 1, v71
	v_dual_sub_nc_u32 v59, v62, v10 :: v_dual_bitop2_b32 v37, 1, v37 bitop3:0x40
	v_dual_add_nc_u32 v54, 3, v54 :: v_dual_bitop2_b32 v48, 1, v48 bitop3:0x40
	v_cndmask_b32_e32 v49, v49, v64, vcc_lo
	v_dual_sub_nc_u32 v62, v78, v8 :: v_dual_lshlrev_b32 v50, 2, v50
	s_delay_alu instid0(VALU_DEP_4) | instskip(SKIP_1) | instid1(VALU_DEP_4)
	v_add_nc_u32_e32 v59, v59, v6
	v_cmp_eq_u32_e32 vcc_lo, 1, v37
	v_lshlrev_b32_e32 v49, 2, v49
	v_add_nc_u64_e32 v[2:3], v[2:3], v[8:9]
	ds_store_b32 v50, v27
	v_dual_sub_nc_u32 v27, v61, v10 :: v_dual_cndmask_b32 v37, v54, v73, vcc_lo
	v_add_nc_u32_e32 v54, v62, v59
	v_cmp_eq_u32_e32 vcc_lo, 1, v48
	ds_store_b32 v49, v24
	v_dual_sub_nc_u32 v48, v60, v8 :: v_dual_sub_nc_u32 v50, v79, v10
	v_dual_cndmask_b32 v37, v37, v63 :: v_dual_sub_nc_u32 v24, v15, v54
	v_dual_add_nc_u32 v27, v27, v6 :: v_dual_mov_b32 v67, v9
	s_delay_alu instid0(VALU_DEP_2) | instskip(NEXT) | instid1(VALU_DEP_3)
	v_dual_mov_b32 v13, v9 :: v_dual_add_nc_u32 v24, 4, v24
	v_dual_lshlrev_b32 v37, 2, v37 :: v_dual_bitop2_b32 v49, 1, v70 bitop3:0x40
	s_delay_alu instid0(VALU_DEP_3)
	v_add_nc_u32_e32 v54, v48, v27
	s_mov_b32 s0, -1
	v_and_b32_e32 v40, 1, v40
	ds_store_b32 v37, v25
	v_cmp_eq_u32_e32 vcc_lo, 1, v49
	v_dual_sub_nc_u32 v49, v80, v8 :: v_dual_bitop2_b32 v38, 1, v38 bitop3:0x40
	v_dual_add_nc_u32 v50, v50, v6 :: v_dual_bitop2_b32 v37, 1, v69 bitop3:0x40
	v_cndmask_b32_e32 v24, v24, v59, vcc_lo
	s_delay_alu instid0(VALU_DEP_3) | instskip(SKIP_1) | instid1(VALU_DEP_3)
	v_cmp_eq_u32_e32 vcc_lo, 1, v38
	v_and_b32_e32 v32, 1, v32
	v_dual_cndmask_b32 v24, v24, v62, vcc_lo :: v_dual_bitop2_b32 v31, 1, v31 bitop3:0x40
	v_sub_nc_u32_e32 v54, v15, v54
	v_cmp_eq_u32_e32 vcc_lo, 1, v37
	s_delay_alu instid0(VALU_DEP_3) | instskip(NEXT) | instid1(VALU_DEP_3)
	v_dual_sub_nc_u32 v37, v57, v10 :: v_dual_lshlrev_b32 v24, 2, v24
	v_add_nc_u32_e32 v38, 5, v54
	v_dual_add_nc_u32 v25, v49, v50 :: v_dual_bitop2_b32 v54, 1, v68 bitop3:0x40
	ds_store_b32 v24, v22
	v_dual_cndmask_b32 v27, v38, v27, vcc_lo :: v_dual_sub_nc_u32 v25, v15, v25
	v_and_b32_e32 v22, 1, v47
	v_cmp_eq_u32_e32 vcc_lo, 1, v54
	v_dual_sub_nc_u32 v38, v55, v10 :: v_dual_sub_nc_u32 v47, v77, v8
	s_delay_alu instid0(VALU_DEP_4) | instskip(SKIP_3) | instid1(VALU_DEP_3)
	v_dual_cndmask_b32 v25, v27, v48 :: v_dual_add_nc_u32 v24, 6, v25
	v_sub_nc_u32_e32 v27, v82, v10
	v_cmp_eq_u32_e32 vcc_lo, 1, v22
	v_and_b32_e32 v33, 1, v33
	v_dual_lshlrev_b32 v25, 2, v25 :: v_dual_add_nc_u32 v27, v27, v6
	v_cndmask_b32_e32 v22, v24, v50, vcc_lo
	v_sub_nc_u32_e32 v24, v56, v8
	s_delay_alu instid0(VALU_DEP_4)
	v_cmp_eq_u32_e32 vcc_lo, 1, v33
	ds_store_b32 v25, v23
	v_dual_sub_nc_u32 v23, v83, v8 :: v_dual_add_nc_u32 v25, v37, v6
	v_dual_cndmask_b32 v22, v22, v49 :: v_dual_add_nc_u32 v33, v24, v27
	v_and_b32_e32 v37, 1, v46
	v_cmp_eq_u32_e32 vcc_lo, 1, v40
	s_delay_alu instid0(VALU_DEP_4) | instskip(NEXT) | instid1(VALU_DEP_4)
	v_add_nc_u32_e32 v46, v23, v25
	v_dual_sub_nc_u32 v33, v15, v33 :: v_dual_lshlrev_b32 v22, 2, v22
	s_delay_alu instid0(VALU_DEP_1)
	v_dual_sub_nc_u32 v46, v15, v46 :: v_dual_add_nc_u32 v33, 7, v33
	v_add_nc_u32_e32 v38, v38, v6
	ds_store_b32 v22, v20
	v_dual_cndmask_b32 v27, v33, v27, vcc_lo :: v_dual_bitop2_b32 v22, 1, v45 bitop3:0x40
	v_cmp_eq_u32_e32 vcc_lo, 1, v37
	v_add_nc_u32_e32 v33, v47, v38
	s_delay_alu instid0(VALU_DEP_3) | instskip(SKIP_2) | instid1(VALU_DEP_3)
	v_dual_add_nc_u32 v40, 8, v46 :: v_dual_cndmask_b32 v24, v27, v24, vcc_lo
	v_and_b32_e32 v27, 1, v41
	v_cmp_eq_u32_e32 vcc_lo, 1, v32
	v_dual_sub_nc_u32 v33, v15, v33 :: v_dual_lshlrev_b32 v24, 2, v24
	s_delay_alu instid0(VALU_DEP_4) | instskip(NEXT) | instid1(VALU_DEP_4)
	v_cndmask_b32_e32 v25, v40, v25, vcc_lo
	v_cmp_eq_u32_e32 vcc_lo, 1, v27
	s_delay_alu instid0(VALU_DEP_3) | instskip(NEXT) | instid1(VALU_DEP_3)
	v_dual_add_nc_u32 v32, 9, v33 :: v_dual_bitop2_b32 v27, 1, v30 bitop3:0x40
	v_dual_cndmask_b32 v23, v25, v23 :: v_dual_sub_nc_u32 v30, v36, v8
	v_sub_nc_u32_e32 v25, v28, v10
	v_cmp_eq_u32_e32 vcc_lo, 1, v31
	s_delay_alu instid0(VALU_DEP_2)
	v_dual_lshlrev_b32 v23, 2, v23 :: v_dual_add_nc_u32 v25, v25, v6
	v_cndmask_b32_e32 v28, v32, v38, vcc_lo
	v_cmp_eq_u32_e32 vcc_lo, 1, v27
	ds_store_b32 v24, v21
	ds_store_b32 v23, v18
	v_sub_nc_u32_e32 v21, v58, v10
	v_dual_add_nc_u32 v20, v30, v25 :: v_dual_sub_nc_u32 v23, v51, v8
	v_dual_cndmask_b32 v27, v28, v47 :: v_dual_sub_nc_u32 v8, v26, v8
	s_delay_alu instid0(VALU_DEP_2) | instskip(NEXT) | instid1(VALU_DEP_2)
	v_dual_add_nc_u32 v1, v1, v6 :: v_dual_sub_nc_u32 v20, v15, v20
	v_dual_add_nc_u32 v21, v21, v6 :: v_dual_lshlrev_b32 v18, 2, v27
	v_cmp_eq_u32_e32 vcc_lo, 1, v22
	s_delay_alu instid0(VALU_DEP_3) | instskip(SKIP_3) | instid1(VALU_DEP_1)
	v_dual_add_nc_u32 v22, v8, v1 :: v_dual_add_nc_u32 v20, 10, v20
	ds_store_b32 v18, v19
	v_cndmask_b32_e32 v20, v20, v25, vcc_lo
	v_add_nc_u32_e32 v26, v23, v21
	v_dual_sub_nc_u32 v18, v15, v26 :: v_dual_bitop2_b32 v24, 1, v29 bitop3:0x40
	s_delay_alu instid0(VALU_DEP_1) | instskip(SKIP_1) | instid1(VALU_DEP_3)
	v_cmp_eq_u32_e32 vcc_lo, 1, v24
	v_dual_sub_nc_u32 v15, v15, v22 :: v_dual_bitop2_b32 v24, 1, v39 bitop3:0x40
	v_dual_add_nc_u32 v25, 11, v18 :: v_dual_bitop2_b32 v22, 1, v44 bitop3:0x40
	v_cndmask_b32_e32 v20, v20, v30, vcc_lo
	s_delay_alu instid0(VALU_DEP_3) | instskip(SKIP_4) | instid1(VALU_DEP_4)
	v_cmp_eq_u32_e32 vcc_lo, 1, v24
	v_and_b32_e32 v26, 1, v43
	v_dual_add_nc_u32 v15, 12, v15 :: v_dual_bitop2_b32 v24, 1, v42 bitop3:0x40
	v_add_nc_u64_e32 v[18:19], v[12:13], v[66:67]
	v_cndmask_b32_e32 v21, v25, v21, vcc_lo
	v_cmp_eq_u32_e32 vcc_lo, 1, v26
	s_delay_alu instid0(VALU_DEP_4)
	v_dual_cndmask_b32 v1, v15, v1 :: v_dual_lshlrev_b32 v20, 2, v20
	v_cmp_eq_u32_e32 vcc_lo, 1, v22
	v_add_nc_u64_e32 v[18:19], v[18:19], v[52:53]
	v_mov_b32_e32 v15, v9
	ds_store_b32 v20, v16
	v_cndmask_b32_e32 v21, v21, v23, vcc_lo
	v_cmp_eq_u32_e32 vcc_lo, 1, v24
	s_delay_alu instid0(VALU_DEP_2)
	v_dual_cndmask_b32 v1, v1, v8 :: v_dual_lshlrev_b32 v22, 2, v21
	v_add_nc_u64_e32 v[8:9], s[34:35], v[14:15]
	v_add_nc_u64_e32 v[14:15], v[18:19], v[2:3]
	v_lshlrev_b64_e32 v[18:19], 2, v[52:53]
	v_lshlrev_b64_e32 v[20:21], 2, v[2:3]
	v_lshlrev_b32_e32 v1, 2, v1
	v_cmp_ne_u32_e32 vcc_lo, 1, v35
	v_sub_nc_u64_e32 v[14:15], v[8:9], v[14:15]
	v_add_nc_u64_e32 v[8:9], s[30:31], v[18:19]
	v_add_nc_u32_e32 v18, v6, v12
	ds_store_b32 v22, v17
	ds_store_b32 v1, v34
	v_add_nc_u64_e32 v[16:17], s[28:29], v[20:21]
	s_wait_dscnt 0x0
	s_barrier_signal -1
	s_barrier_wait -1
	s_cbranch_vccz .LBB1999_154
; %bb.151:
	s_and_b32 vcc_lo, exec_lo, s0
	s_cbranch_vccnz .LBB1999_259
.LBB1999_152:
	s_and_b32 s0, s2, s26
	s_delay_alu instid0(SALU_CYCLE_1)
	s_and_saveexec_b32 s1, s0
	s_cbranch_execnz .LBB1999_377
.LBB1999_153:
	s_sendmsg sendmsg(MSG_DEALLOC_VGPRS)
	s_endpgm
.LBB1999_154:
	s_mov_b32 s0, exec_lo
	v_cmpx_ge_u32_e64 v0, v6
	s_xor_b32 s0, exec_lo, s0
	s_cbranch_execz .LBB1999_160
; %bb.155:
	v_mov_b32_e32 v1, 0
	s_mov_b32 s1, exec_lo
	v_cmpx_ge_u32_e64 v0, v18
	s_xor_b32 s1, exec_lo, s1
	s_cbranch_execz .LBB1999_157
; %bb.156:
	v_lshlrev_b32_e32 v19, 2, v0
	v_add_nc_u64_e32 v[20:21], v[14:15], v[0:1]
	ds_load_b32 v1, v19
	v_lshlrev_b64_e32 v[20:21], 2, v[20:21]
	s_delay_alu instid0(VALU_DEP_1)
	v_sub_nc_u64_e32 v[20:21], s[14:15], v[20:21]
	s_wait_dscnt 0x0
	global_store_b32 v[20:21], v1, off offset:-4
.LBB1999_157:
	s_wait_xcnt 0x0
	s_and_not1_saveexec_b32 s1, s1
	s_cbranch_execz .LBB1999_159
; %bb.158:
	v_lshlrev_b32_e32 v1, 2, v0
	v_readfirstlane_b32 s6, v8
	v_readfirstlane_b32 s7, v9
	ds_load_b32 v1, v1
	s_wait_dscnt 0x0
	global_store_b32 v0, v1, s[6:7] scale_offset
.LBB1999_159:
	s_wait_xcnt 0x0
	s_or_b32 exec_lo, exec_lo, s1
.LBB1999_160:
	s_and_not1_saveexec_b32 s0, s0
	s_cbranch_execz .LBB1999_162
; %bb.161:
	v_lshlrev_b32_e32 v1, 2, v0
	v_readfirstlane_b32 s6, v16
	v_readfirstlane_b32 s7, v17
	ds_load_b32 v1, v1
	s_wait_dscnt 0x0
	global_store_b32 v0, v1, s[6:7] scale_offset
.LBB1999_162:
	s_wait_xcnt 0x0
	s_or_b32 exec_lo, exec_lo, s0
	v_or_b32_e32 v1, 0x100, v0
	s_mov_b32 s0, exec_lo
	s_delay_alu instid0(VALU_DEP_1)
	v_cmpx_ge_u32_e64 v1, v6
	s_xor_b32 s0, exec_lo, s0
	s_cbranch_execz .LBB1999_168
; %bb.163:
	s_mov_b32 s1, exec_lo
	v_cmpx_ge_u32_e64 v1, v18
	s_xor_b32 s1, exec_lo, s1
	s_cbranch_execz .LBB1999_165
; %bb.164:
	v_dual_mov_b32 v1, 0 :: v_dual_lshlrev_b32 v19, 2, v0
	s_delay_alu instid0(VALU_DEP_1) | instskip(SKIP_2) | instid1(VALU_DEP_1)
	v_add_nc_u64_e32 v[20:21], v[14:15], v[0:1]
	ds_load_b32 v1, v19 offset:1024
	v_lshlrev_b64_e32 v[20:21], 2, v[20:21]
	v_sub_nc_u64_e32 v[20:21], s[14:15], v[20:21]
	s_wait_dscnt 0x0
	global_store_b32 v[20:21], v1, off offset:-1028
.LBB1999_165:
	s_wait_xcnt 0x0
	s_and_not1_saveexec_b32 s1, s1
	s_cbranch_execz .LBB1999_167
; %bb.166:
	v_lshlrev_b32_e32 v1, 2, v0
	v_readfirstlane_b32 s6, v8
	v_readfirstlane_b32 s7, v9
	ds_load_b32 v1, v1 offset:1024
	s_wait_dscnt 0x0
	global_store_b32 v0, v1, s[6:7] offset:1024 scale_offset
.LBB1999_167:
	s_wait_xcnt 0x0
	s_or_b32 exec_lo, exec_lo, s1
.LBB1999_168:
	s_and_not1_saveexec_b32 s0, s0
	s_cbranch_execz .LBB1999_170
; %bb.169:
	v_lshlrev_b32_e32 v1, 2, v0
	v_readfirstlane_b32 s6, v16
	v_readfirstlane_b32 s7, v17
	ds_load_b32 v1, v1 offset:1024
	s_wait_dscnt 0x0
	global_store_b32 v0, v1, s[6:7] offset:1024 scale_offset
.LBB1999_170:
	s_wait_xcnt 0x0
	s_or_b32 exec_lo, exec_lo, s0
	v_or_b32_e32 v1, 0x200, v0
	s_mov_b32 s0, exec_lo
	s_delay_alu instid0(VALU_DEP_1)
	v_cmpx_ge_u32_e64 v1, v6
	s_xor_b32 s0, exec_lo, s0
	s_cbranch_execz .LBB1999_176
; %bb.171:
	s_mov_b32 s1, exec_lo
	v_cmpx_ge_u32_e64 v1, v18
	s_xor_b32 s1, exec_lo, s1
	s_cbranch_execz .LBB1999_173
; %bb.172:
	v_dual_mov_b32 v1, 0 :: v_dual_lshlrev_b32 v19, 2, v0
	s_delay_alu instid0(VALU_DEP_1) | instskip(SKIP_2) | instid1(VALU_DEP_1)
	v_add_nc_u64_e32 v[20:21], v[14:15], v[0:1]
	ds_load_b32 v1, v19 offset:2048
	v_lshlrev_b64_e32 v[20:21], 2, v[20:21]
	v_sub_nc_u64_e32 v[20:21], s[14:15], v[20:21]
	s_wait_dscnt 0x0
	global_store_b32 v[20:21], v1, off offset:-2052
.LBB1999_173:
	s_wait_xcnt 0x0
	s_and_not1_saveexec_b32 s1, s1
	s_cbranch_execz .LBB1999_175
; %bb.174:
	v_lshlrev_b32_e32 v1, 2, v0
	v_readfirstlane_b32 s6, v8
	v_readfirstlane_b32 s7, v9
	ds_load_b32 v1, v1 offset:2048
	s_wait_dscnt 0x0
	global_store_b32 v0, v1, s[6:7] offset:2048 scale_offset
.LBB1999_175:
	s_wait_xcnt 0x0
	s_or_b32 exec_lo, exec_lo, s1
.LBB1999_176:
	s_and_not1_saveexec_b32 s0, s0
	s_cbranch_execz .LBB1999_178
; %bb.177:
	v_lshlrev_b32_e32 v1, 2, v0
	v_readfirstlane_b32 s6, v16
	v_readfirstlane_b32 s7, v17
	ds_load_b32 v1, v1 offset:2048
	s_wait_dscnt 0x0
	global_store_b32 v0, v1, s[6:7] offset:2048 scale_offset
.LBB1999_178:
	;; [unrolled: 47-line block ×12, first 2 shown]
	s_wait_xcnt 0x0
	s_or_b32 exec_lo, exec_lo, s0
	s_branch .LBB1999_152
.LBB1999_259:
	s_mov_b32 s0, exec_lo
	v_cmpx_gt_u32_e64 s5, v0
	s_cbranch_execz .LBB1999_268
; %bb.260:
	s_mov_b32 s1, exec_lo
	v_cmpx_ge_u32_e64 v0, v6
	s_xor_b32 s1, exec_lo, s1
	s_cbranch_execz .LBB1999_266
; %bb.261:
	v_mov_b32_e32 v1, 0
	s_mov_b32 s3, exec_lo
	v_cmpx_ge_u32_e64 v0, v18
	s_xor_b32 s3, exec_lo, s3
	s_cbranch_execz .LBB1999_263
; %bb.262:
	v_lshlrev_b32_e32 v19, 2, v0
	v_add_nc_u64_e32 v[20:21], v[14:15], v[0:1]
	ds_load_b32 v1, v19
	v_lshlrev_b64_e32 v[20:21], 2, v[20:21]
	s_delay_alu instid0(VALU_DEP_1)
	v_sub_nc_u64_e32 v[20:21], s[14:15], v[20:21]
	s_wait_dscnt 0x0
	global_store_b32 v[20:21], v1, off offset:-4
.LBB1999_263:
	s_wait_xcnt 0x0
	s_and_not1_saveexec_b32 s3, s3
	s_cbranch_execz .LBB1999_265
; %bb.264:
	v_lshlrev_b32_e32 v1, 2, v0
	v_readfirstlane_b32 s6, v8
	v_readfirstlane_b32 s7, v9
	ds_load_b32 v1, v1
	s_wait_dscnt 0x0
	global_store_b32 v0, v1, s[6:7] scale_offset
.LBB1999_265:
	s_wait_xcnt 0x0
	s_or_b32 exec_lo, exec_lo, s3
.LBB1999_266:
	s_and_not1_saveexec_b32 s1, s1
	s_cbranch_execz .LBB1999_268
; %bb.267:
	v_lshlrev_b32_e32 v1, 2, v0
	v_readfirstlane_b32 s6, v16
	v_readfirstlane_b32 s7, v17
	ds_load_b32 v1, v1
	s_wait_dscnt 0x0
	global_store_b32 v0, v1, s[6:7] scale_offset
.LBB1999_268:
	s_wait_xcnt 0x0
	s_or_b32 exec_lo, exec_lo, s0
	v_or_b32_e32 v1, 0x100, v0
	s_mov_b32 s0, exec_lo
	s_delay_alu instid0(VALU_DEP_1)
	v_cmpx_gt_u32_e64 s5, v1
	s_cbranch_execz .LBB1999_277
; %bb.269:
	s_mov_b32 s1, exec_lo
	v_cmpx_ge_u32_e64 v1, v6
	s_xor_b32 s1, exec_lo, s1
	s_cbranch_execz .LBB1999_275
; %bb.270:
	s_mov_b32 s3, exec_lo
	v_cmpx_ge_u32_e64 v1, v18
	s_xor_b32 s3, exec_lo, s3
	s_cbranch_execz .LBB1999_272
; %bb.271:
	v_dual_mov_b32 v1, 0 :: v_dual_lshlrev_b32 v19, 2, v0
	s_delay_alu instid0(VALU_DEP_1) | instskip(SKIP_2) | instid1(VALU_DEP_1)
	v_add_nc_u64_e32 v[20:21], v[14:15], v[0:1]
	ds_load_b32 v1, v19 offset:1024
	v_lshlrev_b64_e32 v[20:21], 2, v[20:21]
	v_sub_nc_u64_e32 v[20:21], s[14:15], v[20:21]
	s_wait_dscnt 0x0
	global_store_b32 v[20:21], v1, off offset:-1028
.LBB1999_272:
	s_wait_xcnt 0x0
	s_and_not1_saveexec_b32 s3, s3
	s_cbranch_execz .LBB1999_274
; %bb.273:
	v_lshlrev_b32_e32 v1, 2, v0
	v_readfirstlane_b32 s6, v8
	v_readfirstlane_b32 s7, v9
	ds_load_b32 v1, v1 offset:1024
	s_wait_dscnt 0x0
	global_store_b32 v0, v1, s[6:7] offset:1024 scale_offset
.LBB1999_274:
	s_wait_xcnt 0x0
	s_or_b32 exec_lo, exec_lo, s3
.LBB1999_275:
	s_and_not1_saveexec_b32 s1, s1
	s_cbranch_execz .LBB1999_277
; %bb.276:
	v_lshlrev_b32_e32 v1, 2, v0
	v_readfirstlane_b32 s6, v16
	v_readfirstlane_b32 s7, v17
	ds_load_b32 v1, v1 offset:1024
	s_wait_dscnt 0x0
	global_store_b32 v0, v1, s[6:7] offset:1024 scale_offset
.LBB1999_277:
	s_wait_xcnt 0x0
	s_or_b32 exec_lo, exec_lo, s0
	v_or_b32_e32 v1, 0x200, v0
	s_mov_b32 s0, exec_lo
	s_delay_alu instid0(VALU_DEP_1)
	v_cmpx_gt_u32_e64 s5, v1
	s_cbranch_execz .LBB1999_286
; %bb.278:
	s_mov_b32 s1, exec_lo
	v_cmpx_ge_u32_e64 v1, v6
	s_xor_b32 s1, exec_lo, s1
	s_cbranch_execz .LBB1999_284
; %bb.279:
	s_mov_b32 s3, exec_lo
	v_cmpx_ge_u32_e64 v1, v18
	s_xor_b32 s3, exec_lo, s3
	s_cbranch_execz .LBB1999_281
; %bb.280:
	v_dual_mov_b32 v1, 0 :: v_dual_lshlrev_b32 v19, 2, v0
	s_delay_alu instid0(VALU_DEP_1) | instskip(SKIP_2) | instid1(VALU_DEP_1)
	v_add_nc_u64_e32 v[20:21], v[14:15], v[0:1]
	ds_load_b32 v1, v19 offset:2048
	v_lshlrev_b64_e32 v[20:21], 2, v[20:21]
	v_sub_nc_u64_e32 v[20:21], s[14:15], v[20:21]
	s_wait_dscnt 0x0
	global_store_b32 v[20:21], v1, off offset:-2052
.LBB1999_281:
	s_wait_xcnt 0x0
	s_and_not1_saveexec_b32 s3, s3
	s_cbranch_execz .LBB1999_283
; %bb.282:
	v_lshlrev_b32_e32 v1, 2, v0
	v_readfirstlane_b32 s6, v8
	v_readfirstlane_b32 s7, v9
	ds_load_b32 v1, v1 offset:2048
	s_wait_dscnt 0x0
	global_store_b32 v0, v1, s[6:7] offset:2048 scale_offset
.LBB1999_283:
	s_wait_xcnt 0x0
	s_or_b32 exec_lo, exec_lo, s3
.LBB1999_284:
	s_and_not1_saveexec_b32 s1, s1
	s_cbranch_execz .LBB1999_286
; %bb.285:
	v_lshlrev_b32_e32 v1, 2, v0
	v_readfirstlane_b32 s6, v16
	v_readfirstlane_b32 s7, v17
	ds_load_b32 v1, v1 offset:2048
	s_wait_dscnt 0x0
	global_store_b32 v0, v1, s[6:7] offset:2048 scale_offset
.LBB1999_286:
	;; [unrolled: 51-line block ×11, first 2 shown]
	s_wait_xcnt 0x0
	s_or_b32 exec_lo, exec_lo, s0
	v_or_b32_e32 v1, 0xc00, v0
	s_mov_b32 s0, exec_lo
	s_delay_alu instid0(VALU_DEP_1)
	v_cmpx_gt_u32_e64 s5, v1
	s_cbranch_execz .LBB1999_376
; %bb.368:
	s_mov_b32 s1, exec_lo
	v_cmpx_ge_u32_e64 v1, v6
	s_xor_b32 s1, exec_lo, s1
	s_cbranch_execz .LBB1999_374
; %bb.369:
	s_mov_b32 s3, exec_lo
	v_cmpx_ge_u32_e64 v1, v18
	s_xor_b32 s3, exec_lo, s3
	s_cbranch_execz .LBB1999_371
; %bb.370:
	v_dual_mov_b32 v1, 0 :: v_dual_lshlrev_b32 v8, 2, v0
	s_delay_alu instid0(VALU_DEP_1) | instskip(SKIP_2) | instid1(VALU_DEP_1)
	v_add_nc_u64_e32 v[0:1], v[14:15], v[0:1]
	ds_load_b32 v8, v8 offset:12288
	v_lshlrev_b64_e32 v[0:1], 2, v[0:1]
	v_sub_nc_u64_e32 v[0:1], s[14:15], v[0:1]
	s_wait_dscnt 0x0
	global_store_b32 v[0:1], v8, off offset:-12292
                                        ; implicit-def: $vgpr0
                                        ; implicit-def: $vgpr8_vgpr9
.LBB1999_371:
	s_wait_xcnt 0x0
	s_and_not1_saveexec_b32 s3, s3
	s_cbranch_execz .LBB1999_373
; %bb.372:
	v_lshlrev_b32_e32 v1, 2, v0
	v_readfirstlane_b32 s4, v8
	v_readfirstlane_b32 s5, v9
	ds_load_b32 v1, v1 offset:12288
	s_wait_dscnt 0x0
	global_store_b32 v0, v1, s[4:5] offset:12288 scale_offset
.LBB1999_373:
	s_wait_xcnt 0x0
	s_or_b32 exec_lo, exec_lo, s3
                                        ; implicit-def: $vgpr0
                                        ; implicit-def: $vgpr16_vgpr17
.LBB1999_374:
	s_and_not1_saveexec_b32 s1, s1
	s_cbranch_execz .LBB1999_376
; %bb.375:
	v_lshlrev_b32_e32 v1, 2, v0
	v_readfirstlane_b32 s4, v16
	v_readfirstlane_b32 s5, v17
	ds_load_b32 v1, v1 offset:12288
	s_wait_dscnt 0x0
	global_store_b32 v0, v1, s[4:5] offset:12288 scale_offset
.LBB1999_376:
	s_wait_xcnt 0x0
	s_or_b32 exec_lo, exec_lo, s0
	s_and_b32 s0, s2, s26
	s_delay_alu instid0(SALU_CYCLE_1)
	s_and_saveexec_b32 s1, s0
	s_cbranch_execz .LBB1999_153
.LBB1999_377:
	v_add_nc_u64_e32 v[0:1], v[4:5], v[12:13]
	v_add_nc_u64_e32 v[2:3], v[2:3], v[6:7]
	s_delay_alu instid0(VALU_DEP_2)
	v_add_nc_u64_e32 v[4:5], v[0:1], v[10:11]
	v_mov_b32_e32 v0, 0
	global_store_b128 v0, v[2:5], s[24:25]
	s_sendmsg sendmsg(MSG_DEALLOC_VGPRS)
	s_endpgm
	.section	.rodata,"a",@progbits
	.p2align	6, 0x0
	.amdhsa_kernel _ZN7rocprim17ROCPRIM_400000_NS6detail17trampoline_kernelINS0_13select_configILj256ELj13ELNS0_17block_load_methodE3ELS4_3ELS4_3ELNS0_20block_scan_algorithmE0ELj4294967295EEENS1_25partition_config_selectorILNS1_17partition_subalgoE4EjNS0_10empty_typeEbEEZZNS1_14partition_implILS8_4ELb0ES6_15HIP_vector_typeIjLj2EENS0_17counting_iteratorIjlEEPS9_SG_NS0_5tupleIJPjSI_NS0_16reverse_iteratorISI_EEEEENSH_IJSG_SG_SG_EEES9_SI_JZNS1_25segmented_radix_sort_implINS0_14default_configELb0EPK12hip_bfloat16PSP_PKlPlN2at6native12_GLOBAL__N_18offset_tEEE10hipError_tPvRmT1_PNSt15iterator_traitsIS13_E10value_typeET2_T3_PNS14_IS19_E10value_typeET4_jRbjT5_S1F_jjP12ihipStream_tbEUljE_ZNSN_ISO_Lb0ESR_SS_SU_SV_SZ_EES10_S11_S12_S13_S17_S18_S19_S1C_S1D_jS1E_jS1F_S1F_jjS1H_bEUljE0_EEES10_S11_S12_S19_S1D_S1F_T6_T7_T9_mT8_S1H_bDpT10_ENKUlT_T0_E_clISt17integral_constantIbLb0EES1U_IbLb1EEEEDaS1Q_S1R_EUlS1Q_E_NS1_11comp_targetILNS1_3genE0ELNS1_11target_archE4294967295ELNS1_3gpuE0ELNS1_3repE0EEENS1_30default_config_static_selectorELNS0_4arch9wavefront6targetE0EEEvS13_
		.amdhsa_group_segment_fixed_size 13328
		.amdhsa_private_segment_fixed_size 0
		.amdhsa_kernarg_size 184
		.amdhsa_user_sgpr_count 2
		.amdhsa_user_sgpr_dispatch_ptr 0
		.amdhsa_user_sgpr_queue_ptr 0
		.amdhsa_user_sgpr_kernarg_segment_ptr 1
		.amdhsa_user_sgpr_dispatch_id 0
		.amdhsa_user_sgpr_kernarg_preload_length 0
		.amdhsa_user_sgpr_kernarg_preload_offset 0
		.amdhsa_user_sgpr_private_segment_size 0
		.amdhsa_wavefront_size32 1
		.amdhsa_uses_dynamic_stack 0
		.amdhsa_enable_private_segment 0
		.amdhsa_system_sgpr_workgroup_id_x 1
		.amdhsa_system_sgpr_workgroup_id_y 0
		.amdhsa_system_sgpr_workgroup_id_z 0
		.amdhsa_system_sgpr_workgroup_info 0
		.amdhsa_system_vgpr_workitem_id 0
		.amdhsa_next_free_vgpr 86
		.amdhsa_next_free_sgpr 55
		.amdhsa_named_barrier_count 0
		.amdhsa_reserve_vcc 1
		.amdhsa_float_round_mode_32 0
		.amdhsa_float_round_mode_16_64 0
		.amdhsa_float_denorm_mode_32 3
		.amdhsa_float_denorm_mode_16_64 3
		.amdhsa_fp16_overflow 0
		.amdhsa_memory_ordered 1
		.amdhsa_forward_progress 1
		.amdhsa_inst_pref_size 140
		.amdhsa_round_robin_scheduling 0
		.amdhsa_exception_fp_ieee_invalid_op 0
		.amdhsa_exception_fp_denorm_src 0
		.amdhsa_exception_fp_ieee_div_zero 0
		.amdhsa_exception_fp_ieee_overflow 0
		.amdhsa_exception_fp_ieee_underflow 0
		.amdhsa_exception_fp_ieee_inexact 0
		.amdhsa_exception_int_div_zero 0
	.end_amdhsa_kernel
	.section	.text._ZN7rocprim17ROCPRIM_400000_NS6detail17trampoline_kernelINS0_13select_configILj256ELj13ELNS0_17block_load_methodE3ELS4_3ELS4_3ELNS0_20block_scan_algorithmE0ELj4294967295EEENS1_25partition_config_selectorILNS1_17partition_subalgoE4EjNS0_10empty_typeEbEEZZNS1_14partition_implILS8_4ELb0ES6_15HIP_vector_typeIjLj2EENS0_17counting_iteratorIjlEEPS9_SG_NS0_5tupleIJPjSI_NS0_16reverse_iteratorISI_EEEEENSH_IJSG_SG_SG_EEES9_SI_JZNS1_25segmented_radix_sort_implINS0_14default_configELb0EPK12hip_bfloat16PSP_PKlPlN2at6native12_GLOBAL__N_18offset_tEEE10hipError_tPvRmT1_PNSt15iterator_traitsIS13_E10value_typeET2_T3_PNS14_IS19_E10value_typeET4_jRbjT5_S1F_jjP12ihipStream_tbEUljE_ZNSN_ISO_Lb0ESR_SS_SU_SV_SZ_EES10_S11_S12_S13_S17_S18_S19_S1C_S1D_jS1E_jS1F_S1F_jjS1H_bEUljE0_EEES10_S11_S12_S19_S1D_S1F_T6_T7_T9_mT8_S1H_bDpT10_ENKUlT_T0_E_clISt17integral_constantIbLb0EES1U_IbLb1EEEEDaS1Q_S1R_EUlS1Q_E_NS1_11comp_targetILNS1_3genE0ELNS1_11target_archE4294967295ELNS1_3gpuE0ELNS1_3repE0EEENS1_30default_config_static_selectorELNS0_4arch9wavefront6targetE0EEEvS13_,"axG",@progbits,_ZN7rocprim17ROCPRIM_400000_NS6detail17trampoline_kernelINS0_13select_configILj256ELj13ELNS0_17block_load_methodE3ELS4_3ELS4_3ELNS0_20block_scan_algorithmE0ELj4294967295EEENS1_25partition_config_selectorILNS1_17partition_subalgoE4EjNS0_10empty_typeEbEEZZNS1_14partition_implILS8_4ELb0ES6_15HIP_vector_typeIjLj2EENS0_17counting_iteratorIjlEEPS9_SG_NS0_5tupleIJPjSI_NS0_16reverse_iteratorISI_EEEEENSH_IJSG_SG_SG_EEES9_SI_JZNS1_25segmented_radix_sort_implINS0_14default_configELb0EPK12hip_bfloat16PSP_PKlPlN2at6native12_GLOBAL__N_18offset_tEEE10hipError_tPvRmT1_PNSt15iterator_traitsIS13_E10value_typeET2_T3_PNS14_IS19_E10value_typeET4_jRbjT5_S1F_jjP12ihipStream_tbEUljE_ZNSN_ISO_Lb0ESR_SS_SU_SV_SZ_EES10_S11_S12_S13_S17_S18_S19_S1C_S1D_jS1E_jS1F_S1F_jjS1H_bEUljE0_EEES10_S11_S12_S19_S1D_S1F_T6_T7_T9_mT8_S1H_bDpT10_ENKUlT_T0_E_clISt17integral_constantIbLb0EES1U_IbLb1EEEEDaS1Q_S1R_EUlS1Q_E_NS1_11comp_targetILNS1_3genE0ELNS1_11target_archE4294967295ELNS1_3gpuE0ELNS1_3repE0EEENS1_30default_config_static_selectorELNS0_4arch9wavefront6targetE0EEEvS13_,comdat
.Lfunc_end1999:
	.size	_ZN7rocprim17ROCPRIM_400000_NS6detail17trampoline_kernelINS0_13select_configILj256ELj13ELNS0_17block_load_methodE3ELS4_3ELS4_3ELNS0_20block_scan_algorithmE0ELj4294967295EEENS1_25partition_config_selectorILNS1_17partition_subalgoE4EjNS0_10empty_typeEbEEZZNS1_14partition_implILS8_4ELb0ES6_15HIP_vector_typeIjLj2EENS0_17counting_iteratorIjlEEPS9_SG_NS0_5tupleIJPjSI_NS0_16reverse_iteratorISI_EEEEENSH_IJSG_SG_SG_EEES9_SI_JZNS1_25segmented_radix_sort_implINS0_14default_configELb0EPK12hip_bfloat16PSP_PKlPlN2at6native12_GLOBAL__N_18offset_tEEE10hipError_tPvRmT1_PNSt15iterator_traitsIS13_E10value_typeET2_T3_PNS14_IS19_E10value_typeET4_jRbjT5_S1F_jjP12ihipStream_tbEUljE_ZNSN_ISO_Lb0ESR_SS_SU_SV_SZ_EES10_S11_S12_S13_S17_S18_S19_S1C_S1D_jS1E_jS1F_S1F_jjS1H_bEUljE0_EEES10_S11_S12_S19_S1D_S1F_T6_T7_T9_mT8_S1H_bDpT10_ENKUlT_T0_E_clISt17integral_constantIbLb0EES1U_IbLb1EEEEDaS1Q_S1R_EUlS1Q_E_NS1_11comp_targetILNS1_3genE0ELNS1_11target_archE4294967295ELNS1_3gpuE0ELNS1_3repE0EEENS1_30default_config_static_selectorELNS0_4arch9wavefront6targetE0EEEvS13_, .Lfunc_end1999-_ZN7rocprim17ROCPRIM_400000_NS6detail17trampoline_kernelINS0_13select_configILj256ELj13ELNS0_17block_load_methodE3ELS4_3ELS4_3ELNS0_20block_scan_algorithmE0ELj4294967295EEENS1_25partition_config_selectorILNS1_17partition_subalgoE4EjNS0_10empty_typeEbEEZZNS1_14partition_implILS8_4ELb0ES6_15HIP_vector_typeIjLj2EENS0_17counting_iteratorIjlEEPS9_SG_NS0_5tupleIJPjSI_NS0_16reverse_iteratorISI_EEEEENSH_IJSG_SG_SG_EEES9_SI_JZNS1_25segmented_radix_sort_implINS0_14default_configELb0EPK12hip_bfloat16PSP_PKlPlN2at6native12_GLOBAL__N_18offset_tEEE10hipError_tPvRmT1_PNSt15iterator_traitsIS13_E10value_typeET2_T3_PNS14_IS19_E10value_typeET4_jRbjT5_S1F_jjP12ihipStream_tbEUljE_ZNSN_ISO_Lb0ESR_SS_SU_SV_SZ_EES10_S11_S12_S13_S17_S18_S19_S1C_S1D_jS1E_jS1F_S1F_jjS1H_bEUljE0_EEES10_S11_S12_S19_S1D_S1F_T6_T7_T9_mT8_S1H_bDpT10_ENKUlT_T0_E_clISt17integral_constantIbLb0EES1U_IbLb1EEEEDaS1Q_S1R_EUlS1Q_E_NS1_11comp_targetILNS1_3genE0ELNS1_11target_archE4294967295ELNS1_3gpuE0ELNS1_3repE0EEENS1_30default_config_static_selectorELNS0_4arch9wavefront6targetE0EEEvS13_
                                        ; -- End function
	.set _ZN7rocprim17ROCPRIM_400000_NS6detail17trampoline_kernelINS0_13select_configILj256ELj13ELNS0_17block_load_methodE3ELS4_3ELS4_3ELNS0_20block_scan_algorithmE0ELj4294967295EEENS1_25partition_config_selectorILNS1_17partition_subalgoE4EjNS0_10empty_typeEbEEZZNS1_14partition_implILS8_4ELb0ES6_15HIP_vector_typeIjLj2EENS0_17counting_iteratorIjlEEPS9_SG_NS0_5tupleIJPjSI_NS0_16reverse_iteratorISI_EEEEENSH_IJSG_SG_SG_EEES9_SI_JZNS1_25segmented_radix_sort_implINS0_14default_configELb0EPK12hip_bfloat16PSP_PKlPlN2at6native12_GLOBAL__N_18offset_tEEE10hipError_tPvRmT1_PNSt15iterator_traitsIS13_E10value_typeET2_T3_PNS14_IS19_E10value_typeET4_jRbjT5_S1F_jjP12ihipStream_tbEUljE_ZNSN_ISO_Lb0ESR_SS_SU_SV_SZ_EES10_S11_S12_S13_S17_S18_S19_S1C_S1D_jS1E_jS1F_S1F_jjS1H_bEUljE0_EEES10_S11_S12_S19_S1D_S1F_T6_T7_T9_mT8_S1H_bDpT10_ENKUlT_T0_E_clISt17integral_constantIbLb0EES1U_IbLb1EEEEDaS1Q_S1R_EUlS1Q_E_NS1_11comp_targetILNS1_3genE0ELNS1_11target_archE4294967295ELNS1_3gpuE0ELNS1_3repE0EEENS1_30default_config_static_selectorELNS0_4arch9wavefront6targetE0EEEvS13_.num_vgpr, 86
	.set _ZN7rocprim17ROCPRIM_400000_NS6detail17trampoline_kernelINS0_13select_configILj256ELj13ELNS0_17block_load_methodE3ELS4_3ELS4_3ELNS0_20block_scan_algorithmE0ELj4294967295EEENS1_25partition_config_selectorILNS1_17partition_subalgoE4EjNS0_10empty_typeEbEEZZNS1_14partition_implILS8_4ELb0ES6_15HIP_vector_typeIjLj2EENS0_17counting_iteratorIjlEEPS9_SG_NS0_5tupleIJPjSI_NS0_16reverse_iteratorISI_EEEEENSH_IJSG_SG_SG_EEES9_SI_JZNS1_25segmented_radix_sort_implINS0_14default_configELb0EPK12hip_bfloat16PSP_PKlPlN2at6native12_GLOBAL__N_18offset_tEEE10hipError_tPvRmT1_PNSt15iterator_traitsIS13_E10value_typeET2_T3_PNS14_IS19_E10value_typeET4_jRbjT5_S1F_jjP12ihipStream_tbEUljE_ZNSN_ISO_Lb0ESR_SS_SU_SV_SZ_EES10_S11_S12_S13_S17_S18_S19_S1C_S1D_jS1E_jS1F_S1F_jjS1H_bEUljE0_EEES10_S11_S12_S19_S1D_S1F_T6_T7_T9_mT8_S1H_bDpT10_ENKUlT_T0_E_clISt17integral_constantIbLb0EES1U_IbLb1EEEEDaS1Q_S1R_EUlS1Q_E_NS1_11comp_targetILNS1_3genE0ELNS1_11target_archE4294967295ELNS1_3gpuE0ELNS1_3repE0EEENS1_30default_config_static_selectorELNS0_4arch9wavefront6targetE0EEEvS13_.num_agpr, 0
	.set _ZN7rocprim17ROCPRIM_400000_NS6detail17trampoline_kernelINS0_13select_configILj256ELj13ELNS0_17block_load_methodE3ELS4_3ELS4_3ELNS0_20block_scan_algorithmE0ELj4294967295EEENS1_25partition_config_selectorILNS1_17partition_subalgoE4EjNS0_10empty_typeEbEEZZNS1_14partition_implILS8_4ELb0ES6_15HIP_vector_typeIjLj2EENS0_17counting_iteratorIjlEEPS9_SG_NS0_5tupleIJPjSI_NS0_16reverse_iteratorISI_EEEEENSH_IJSG_SG_SG_EEES9_SI_JZNS1_25segmented_radix_sort_implINS0_14default_configELb0EPK12hip_bfloat16PSP_PKlPlN2at6native12_GLOBAL__N_18offset_tEEE10hipError_tPvRmT1_PNSt15iterator_traitsIS13_E10value_typeET2_T3_PNS14_IS19_E10value_typeET4_jRbjT5_S1F_jjP12ihipStream_tbEUljE_ZNSN_ISO_Lb0ESR_SS_SU_SV_SZ_EES10_S11_S12_S13_S17_S18_S19_S1C_S1D_jS1E_jS1F_S1F_jjS1H_bEUljE0_EEES10_S11_S12_S19_S1D_S1F_T6_T7_T9_mT8_S1H_bDpT10_ENKUlT_T0_E_clISt17integral_constantIbLb0EES1U_IbLb1EEEEDaS1Q_S1R_EUlS1Q_E_NS1_11comp_targetILNS1_3genE0ELNS1_11target_archE4294967295ELNS1_3gpuE0ELNS1_3repE0EEENS1_30default_config_static_selectorELNS0_4arch9wavefront6targetE0EEEvS13_.numbered_sgpr, 55
	.set _ZN7rocprim17ROCPRIM_400000_NS6detail17trampoline_kernelINS0_13select_configILj256ELj13ELNS0_17block_load_methodE3ELS4_3ELS4_3ELNS0_20block_scan_algorithmE0ELj4294967295EEENS1_25partition_config_selectorILNS1_17partition_subalgoE4EjNS0_10empty_typeEbEEZZNS1_14partition_implILS8_4ELb0ES6_15HIP_vector_typeIjLj2EENS0_17counting_iteratorIjlEEPS9_SG_NS0_5tupleIJPjSI_NS0_16reverse_iteratorISI_EEEEENSH_IJSG_SG_SG_EEES9_SI_JZNS1_25segmented_radix_sort_implINS0_14default_configELb0EPK12hip_bfloat16PSP_PKlPlN2at6native12_GLOBAL__N_18offset_tEEE10hipError_tPvRmT1_PNSt15iterator_traitsIS13_E10value_typeET2_T3_PNS14_IS19_E10value_typeET4_jRbjT5_S1F_jjP12ihipStream_tbEUljE_ZNSN_ISO_Lb0ESR_SS_SU_SV_SZ_EES10_S11_S12_S13_S17_S18_S19_S1C_S1D_jS1E_jS1F_S1F_jjS1H_bEUljE0_EEES10_S11_S12_S19_S1D_S1F_T6_T7_T9_mT8_S1H_bDpT10_ENKUlT_T0_E_clISt17integral_constantIbLb0EES1U_IbLb1EEEEDaS1Q_S1R_EUlS1Q_E_NS1_11comp_targetILNS1_3genE0ELNS1_11target_archE4294967295ELNS1_3gpuE0ELNS1_3repE0EEENS1_30default_config_static_selectorELNS0_4arch9wavefront6targetE0EEEvS13_.num_named_barrier, 0
	.set _ZN7rocprim17ROCPRIM_400000_NS6detail17trampoline_kernelINS0_13select_configILj256ELj13ELNS0_17block_load_methodE3ELS4_3ELS4_3ELNS0_20block_scan_algorithmE0ELj4294967295EEENS1_25partition_config_selectorILNS1_17partition_subalgoE4EjNS0_10empty_typeEbEEZZNS1_14partition_implILS8_4ELb0ES6_15HIP_vector_typeIjLj2EENS0_17counting_iteratorIjlEEPS9_SG_NS0_5tupleIJPjSI_NS0_16reverse_iteratorISI_EEEEENSH_IJSG_SG_SG_EEES9_SI_JZNS1_25segmented_radix_sort_implINS0_14default_configELb0EPK12hip_bfloat16PSP_PKlPlN2at6native12_GLOBAL__N_18offset_tEEE10hipError_tPvRmT1_PNSt15iterator_traitsIS13_E10value_typeET2_T3_PNS14_IS19_E10value_typeET4_jRbjT5_S1F_jjP12ihipStream_tbEUljE_ZNSN_ISO_Lb0ESR_SS_SU_SV_SZ_EES10_S11_S12_S13_S17_S18_S19_S1C_S1D_jS1E_jS1F_S1F_jjS1H_bEUljE0_EEES10_S11_S12_S19_S1D_S1F_T6_T7_T9_mT8_S1H_bDpT10_ENKUlT_T0_E_clISt17integral_constantIbLb0EES1U_IbLb1EEEEDaS1Q_S1R_EUlS1Q_E_NS1_11comp_targetILNS1_3genE0ELNS1_11target_archE4294967295ELNS1_3gpuE0ELNS1_3repE0EEENS1_30default_config_static_selectorELNS0_4arch9wavefront6targetE0EEEvS13_.private_seg_size, 0
	.set _ZN7rocprim17ROCPRIM_400000_NS6detail17trampoline_kernelINS0_13select_configILj256ELj13ELNS0_17block_load_methodE3ELS4_3ELS4_3ELNS0_20block_scan_algorithmE0ELj4294967295EEENS1_25partition_config_selectorILNS1_17partition_subalgoE4EjNS0_10empty_typeEbEEZZNS1_14partition_implILS8_4ELb0ES6_15HIP_vector_typeIjLj2EENS0_17counting_iteratorIjlEEPS9_SG_NS0_5tupleIJPjSI_NS0_16reverse_iteratorISI_EEEEENSH_IJSG_SG_SG_EEES9_SI_JZNS1_25segmented_radix_sort_implINS0_14default_configELb0EPK12hip_bfloat16PSP_PKlPlN2at6native12_GLOBAL__N_18offset_tEEE10hipError_tPvRmT1_PNSt15iterator_traitsIS13_E10value_typeET2_T3_PNS14_IS19_E10value_typeET4_jRbjT5_S1F_jjP12ihipStream_tbEUljE_ZNSN_ISO_Lb0ESR_SS_SU_SV_SZ_EES10_S11_S12_S13_S17_S18_S19_S1C_S1D_jS1E_jS1F_S1F_jjS1H_bEUljE0_EEES10_S11_S12_S19_S1D_S1F_T6_T7_T9_mT8_S1H_bDpT10_ENKUlT_T0_E_clISt17integral_constantIbLb0EES1U_IbLb1EEEEDaS1Q_S1R_EUlS1Q_E_NS1_11comp_targetILNS1_3genE0ELNS1_11target_archE4294967295ELNS1_3gpuE0ELNS1_3repE0EEENS1_30default_config_static_selectorELNS0_4arch9wavefront6targetE0EEEvS13_.uses_vcc, 1
	.set _ZN7rocprim17ROCPRIM_400000_NS6detail17trampoline_kernelINS0_13select_configILj256ELj13ELNS0_17block_load_methodE3ELS4_3ELS4_3ELNS0_20block_scan_algorithmE0ELj4294967295EEENS1_25partition_config_selectorILNS1_17partition_subalgoE4EjNS0_10empty_typeEbEEZZNS1_14partition_implILS8_4ELb0ES6_15HIP_vector_typeIjLj2EENS0_17counting_iteratorIjlEEPS9_SG_NS0_5tupleIJPjSI_NS0_16reverse_iteratorISI_EEEEENSH_IJSG_SG_SG_EEES9_SI_JZNS1_25segmented_radix_sort_implINS0_14default_configELb0EPK12hip_bfloat16PSP_PKlPlN2at6native12_GLOBAL__N_18offset_tEEE10hipError_tPvRmT1_PNSt15iterator_traitsIS13_E10value_typeET2_T3_PNS14_IS19_E10value_typeET4_jRbjT5_S1F_jjP12ihipStream_tbEUljE_ZNSN_ISO_Lb0ESR_SS_SU_SV_SZ_EES10_S11_S12_S13_S17_S18_S19_S1C_S1D_jS1E_jS1F_S1F_jjS1H_bEUljE0_EEES10_S11_S12_S19_S1D_S1F_T6_T7_T9_mT8_S1H_bDpT10_ENKUlT_T0_E_clISt17integral_constantIbLb0EES1U_IbLb1EEEEDaS1Q_S1R_EUlS1Q_E_NS1_11comp_targetILNS1_3genE0ELNS1_11target_archE4294967295ELNS1_3gpuE0ELNS1_3repE0EEENS1_30default_config_static_selectorELNS0_4arch9wavefront6targetE0EEEvS13_.uses_flat_scratch, 0
	.set _ZN7rocprim17ROCPRIM_400000_NS6detail17trampoline_kernelINS0_13select_configILj256ELj13ELNS0_17block_load_methodE3ELS4_3ELS4_3ELNS0_20block_scan_algorithmE0ELj4294967295EEENS1_25partition_config_selectorILNS1_17partition_subalgoE4EjNS0_10empty_typeEbEEZZNS1_14partition_implILS8_4ELb0ES6_15HIP_vector_typeIjLj2EENS0_17counting_iteratorIjlEEPS9_SG_NS0_5tupleIJPjSI_NS0_16reverse_iteratorISI_EEEEENSH_IJSG_SG_SG_EEES9_SI_JZNS1_25segmented_radix_sort_implINS0_14default_configELb0EPK12hip_bfloat16PSP_PKlPlN2at6native12_GLOBAL__N_18offset_tEEE10hipError_tPvRmT1_PNSt15iterator_traitsIS13_E10value_typeET2_T3_PNS14_IS19_E10value_typeET4_jRbjT5_S1F_jjP12ihipStream_tbEUljE_ZNSN_ISO_Lb0ESR_SS_SU_SV_SZ_EES10_S11_S12_S13_S17_S18_S19_S1C_S1D_jS1E_jS1F_S1F_jjS1H_bEUljE0_EEES10_S11_S12_S19_S1D_S1F_T6_T7_T9_mT8_S1H_bDpT10_ENKUlT_T0_E_clISt17integral_constantIbLb0EES1U_IbLb1EEEEDaS1Q_S1R_EUlS1Q_E_NS1_11comp_targetILNS1_3genE0ELNS1_11target_archE4294967295ELNS1_3gpuE0ELNS1_3repE0EEENS1_30default_config_static_selectorELNS0_4arch9wavefront6targetE0EEEvS13_.has_dyn_sized_stack, 0
	.set _ZN7rocprim17ROCPRIM_400000_NS6detail17trampoline_kernelINS0_13select_configILj256ELj13ELNS0_17block_load_methodE3ELS4_3ELS4_3ELNS0_20block_scan_algorithmE0ELj4294967295EEENS1_25partition_config_selectorILNS1_17partition_subalgoE4EjNS0_10empty_typeEbEEZZNS1_14partition_implILS8_4ELb0ES6_15HIP_vector_typeIjLj2EENS0_17counting_iteratorIjlEEPS9_SG_NS0_5tupleIJPjSI_NS0_16reverse_iteratorISI_EEEEENSH_IJSG_SG_SG_EEES9_SI_JZNS1_25segmented_radix_sort_implINS0_14default_configELb0EPK12hip_bfloat16PSP_PKlPlN2at6native12_GLOBAL__N_18offset_tEEE10hipError_tPvRmT1_PNSt15iterator_traitsIS13_E10value_typeET2_T3_PNS14_IS19_E10value_typeET4_jRbjT5_S1F_jjP12ihipStream_tbEUljE_ZNSN_ISO_Lb0ESR_SS_SU_SV_SZ_EES10_S11_S12_S13_S17_S18_S19_S1C_S1D_jS1E_jS1F_S1F_jjS1H_bEUljE0_EEES10_S11_S12_S19_S1D_S1F_T6_T7_T9_mT8_S1H_bDpT10_ENKUlT_T0_E_clISt17integral_constantIbLb0EES1U_IbLb1EEEEDaS1Q_S1R_EUlS1Q_E_NS1_11comp_targetILNS1_3genE0ELNS1_11target_archE4294967295ELNS1_3gpuE0ELNS1_3repE0EEENS1_30default_config_static_selectorELNS0_4arch9wavefront6targetE0EEEvS13_.has_recursion, 0
	.set _ZN7rocprim17ROCPRIM_400000_NS6detail17trampoline_kernelINS0_13select_configILj256ELj13ELNS0_17block_load_methodE3ELS4_3ELS4_3ELNS0_20block_scan_algorithmE0ELj4294967295EEENS1_25partition_config_selectorILNS1_17partition_subalgoE4EjNS0_10empty_typeEbEEZZNS1_14partition_implILS8_4ELb0ES6_15HIP_vector_typeIjLj2EENS0_17counting_iteratorIjlEEPS9_SG_NS0_5tupleIJPjSI_NS0_16reverse_iteratorISI_EEEEENSH_IJSG_SG_SG_EEES9_SI_JZNS1_25segmented_radix_sort_implINS0_14default_configELb0EPK12hip_bfloat16PSP_PKlPlN2at6native12_GLOBAL__N_18offset_tEEE10hipError_tPvRmT1_PNSt15iterator_traitsIS13_E10value_typeET2_T3_PNS14_IS19_E10value_typeET4_jRbjT5_S1F_jjP12ihipStream_tbEUljE_ZNSN_ISO_Lb0ESR_SS_SU_SV_SZ_EES10_S11_S12_S13_S17_S18_S19_S1C_S1D_jS1E_jS1F_S1F_jjS1H_bEUljE0_EEES10_S11_S12_S19_S1D_S1F_T6_T7_T9_mT8_S1H_bDpT10_ENKUlT_T0_E_clISt17integral_constantIbLb0EES1U_IbLb1EEEEDaS1Q_S1R_EUlS1Q_E_NS1_11comp_targetILNS1_3genE0ELNS1_11target_archE4294967295ELNS1_3gpuE0ELNS1_3repE0EEENS1_30default_config_static_selectorELNS0_4arch9wavefront6targetE0EEEvS13_.has_indirect_call, 0
	.section	.AMDGPU.csdata,"",@progbits
; Kernel info:
; codeLenInByte = 17828
; TotalNumSgprs: 57
; NumVgprs: 86
; ScratchSize: 0
; MemoryBound: 0
; FloatMode: 240
; IeeeMode: 1
; LDSByteSize: 13328 bytes/workgroup (compile time only)
; SGPRBlocks: 0
; VGPRBlocks: 5
; NumSGPRsForWavesPerEU: 57
; NumVGPRsForWavesPerEU: 86
; NamedBarCnt: 0
; Occupancy: 10
; WaveLimiterHint : 1
; COMPUTE_PGM_RSRC2:SCRATCH_EN: 0
; COMPUTE_PGM_RSRC2:USER_SGPR: 2
; COMPUTE_PGM_RSRC2:TRAP_HANDLER: 0
; COMPUTE_PGM_RSRC2:TGID_X_EN: 1
; COMPUTE_PGM_RSRC2:TGID_Y_EN: 0
; COMPUTE_PGM_RSRC2:TGID_Z_EN: 0
; COMPUTE_PGM_RSRC2:TIDIG_COMP_CNT: 0
	.section	.text._ZN7rocprim17ROCPRIM_400000_NS6detail17trampoline_kernelINS0_13select_configILj256ELj13ELNS0_17block_load_methodE3ELS4_3ELS4_3ELNS0_20block_scan_algorithmE0ELj4294967295EEENS1_25partition_config_selectorILNS1_17partition_subalgoE4EjNS0_10empty_typeEbEEZZNS1_14partition_implILS8_4ELb0ES6_15HIP_vector_typeIjLj2EENS0_17counting_iteratorIjlEEPS9_SG_NS0_5tupleIJPjSI_NS0_16reverse_iteratorISI_EEEEENSH_IJSG_SG_SG_EEES9_SI_JZNS1_25segmented_radix_sort_implINS0_14default_configELb0EPK12hip_bfloat16PSP_PKlPlN2at6native12_GLOBAL__N_18offset_tEEE10hipError_tPvRmT1_PNSt15iterator_traitsIS13_E10value_typeET2_T3_PNS14_IS19_E10value_typeET4_jRbjT5_S1F_jjP12ihipStream_tbEUljE_ZNSN_ISO_Lb0ESR_SS_SU_SV_SZ_EES10_S11_S12_S13_S17_S18_S19_S1C_S1D_jS1E_jS1F_S1F_jjS1H_bEUljE0_EEES10_S11_S12_S19_S1D_S1F_T6_T7_T9_mT8_S1H_bDpT10_ENKUlT_T0_E_clISt17integral_constantIbLb0EES1U_IbLb1EEEEDaS1Q_S1R_EUlS1Q_E_NS1_11comp_targetILNS1_3genE5ELNS1_11target_archE942ELNS1_3gpuE9ELNS1_3repE0EEENS1_30default_config_static_selectorELNS0_4arch9wavefront6targetE0EEEvS13_,"axG",@progbits,_ZN7rocprim17ROCPRIM_400000_NS6detail17trampoline_kernelINS0_13select_configILj256ELj13ELNS0_17block_load_methodE3ELS4_3ELS4_3ELNS0_20block_scan_algorithmE0ELj4294967295EEENS1_25partition_config_selectorILNS1_17partition_subalgoE4EjNS0_10empty_typeEbEEZZNS1_14partition_implILS8_4ELb0ES6_15HIP_vector_typeIjLj2EENS0_17counting_iteratorIjlEEPS9_SG_NS0_5tupleIJPjSI_NS0_16reverse_iteratorISI_EEEEENSH_IJSG_SG_SG_EEES9_SI_JZNS1_25segmented_radix_sort_implINS0_14default_configELb0EPK12hip_bfloat16PSP_PKlPlN2at6native12_GLOBAL__N_18offset_tEEE10hipError_tPvRmT1_PNSt15iterator_traitsIS13_E10value_typeET2_T3_PNS14_IS19_E10value_typeET4_jRbjT5_S1F_jjP12ihipStream_tbEUljE_ZNSN_ISO_Lb0ESR_SS_SU_SV_SZ_EES10_S11_S12_S13_S17_S18_S19_S1C_S1D_jS1E_jS1F_S1F_jjS1H_bEUljE0_EEES10_S11_S12_S19_S1D_S1F_T6_T7_T9_mT8_S1H_bDpT10_ENKUlT_T0_E_clISt17integral_constantIbLb0EES1U_IbLb1EEEEDaS1Q_S1R_EUlS1Q_E_NS1_11comp_targetILNS1_3genE5ELNS1_11target_archE942ELNS1_3gpuE9ELNS1_3repE0EEENS1_30default_config_static_selectorELNS0_4arch9wavefront6targetE0EEEvS13_,comdat
	.globl	_ZN7rocprim17ROCPRIM_400000_NS6detail17trampoline_kernelINS0_13select_configILj256ELj13ELNS0_17block_load_methodE3ELS4_3ELS4_3ELNS0_20block_scan_algorithmE0ELj4294967295EEENS1_25partition_config_selectorILNS1_17partition_subalgoE4EjNS0_10empty_typeEbEEZZNS1_14partition_implILS8_4ELb0ES6_15HIP_vector_typeIjLj2EENS0_17counting_iteratorIjlEEPS9_SG_NS0_5tupleIJPjSI_NS0_16reverse_iteratorISI_EEEEENSH_IJSG_SG_SG_EEES9_SI_JZNS1_25segmented_radix_sort_implINS0_14default_configELb0EPK12hip_bfloat16PSP_PKlPlN2at6native12_GLOBAL__N_18offset_tEEE10hipError_tPvRmT1_PNSt15iterator_traitsIS13_E10value_typeET2_T3_PNS14_IS19_E10value_typeET4_jRbjT5_S1F_jjP12ihipStream_tbEUljE_ZNSN_ISO_Lb0ESR_SS_SU_SV_SZ_EES10_S11_S12_S13_S17_S18_S19_S1C_S1D_jS1E_jS1F_S1F_jjS1H_bEUljE0_EEES10_S11_S12_S19_S1D_S1F_T6_T7_T9_mT8_S1H_bDpT10_ENKUlT_T0_E_clISt17integral_constantIbLb0EES1U_IbLb1EEEEDaS1Q_S1R_EUlS1Q_E_NS1_11comp_targetILNS1_3genE5ELNS1_11target_archE942ELNS1_3gpuE9ELNS1_3repE0EEENS1_30default_config_static_selectorELNS0_4arch9wavefront6targetE0EEEvS13_ ; -- Begin function _ZN7rocprim17ROCPRIM_400000_NS6detail17trampoline_kernelINS0_13select_configILj256ELj13ELNS0_17block_load_methodE3ELS4_3ELS4_3ELNS0_20block_scan_algorithmE0ELj4294967295EEENS1_25partition_config_selectorILNS1_17partition_subalgoE4EjNS0_10empty_typeEbEEZZNS1_14partition_implILS8_4ELb0ES6_15HIP_vector_typeIjLj2EENS0_17counting_iteratorIjlEEPS9_SG_NS0_5tupleIJPjSI_NS0_16reverse_iteratorISI_EEEEENSH_IJSG_SG_SG_EEES9_SI_JZNS1_25segmented_radix_sort_implINS0_14default_configELb0EPK12hip_bfloat16PSP_PKlPlN2at6native12_GLOBAL__N_18offset_tEEE10hipError_tPvRmT1_PNSt15iterator_traitsIS13_E10value_typeET2_T3_PNS14_IS19_E10value_typeET4_jRbjT5_S1F_jjP12ihipStream_tbEUljE_ZNSN_ISO_Lb0ESR_SS_SU_SV_SZ_EES10_S11_S12_S13_S17_S18_S19_S1C_S1D_jS1E_jS1F_S1F_jjS1H_bEUljE0_EEES10_S11_S12_S19_S1D_S1F_T6_T7_T9_mT8_S1H_bDpT10_ENKUlT_T0_E_clISt17integral_constantIbLb0EES1U_IbLb1EEEEDaS1Q_S1R_EUlS1Q_E_NS1_11comp_targetILNS1_3genE5ELNS1_11target_archE942ELNS1_3gpuE9ELNS1_3repE0EEENS1_30default_config_static_selectorELNS0_4arch9wavefront6targetE0EEEvS13_
	.p2align	8
	.type	_ZN7rocprim17ROCPRIM_400000_NS6detail17trampoline_kernelINS0_13select_configILj256ELj13ELNS0_17block_load_methodE3ELS4_3ELS4_3ELNS0_20block_scan_algorithmE0ELj4294967295EEENS1_25partition_config_selectorILNS1_17partition_subalgoE4EjNS0_10empty_typeEbEEZZNS1_14partition_implILS8_4ELb0ES6_15HIP_vector_typeIjLj2EENS0_17counting_iteratorIjlEEPS9_SG_NS0_5tupleIJPjSI_NS0_16reverse_iteratorISI_EEEEENSH_IJSG_SG_SG_EEES9_SI_JZNS1_25segmented_radix_sort_implINS0_14default_configELb0EPK12hip_bfloat16PSP_PKlPlN2at6native12_GLOBAL__N_18offset_tEEE10hipError_tPvRmT1_PNSt15iterator_traitsIS13_E10value_typeET2_T3_PNS14_IS19_E10value_typeET4_jRbjT5_S1F_jjP12ihipStream_tbEUljE_ZNSN_ISO_Lb0ESR_SS_SU_SV_SZ_EES10_S11_S12_S13_S17_S18_S19_S1C_S1D_jS1E_jS1F_S1F_jjS1H_bEUljE0_EEES10_S11_S12_S19_S1D_S1F_T6_T7_T9_mT8_S1H_bDpT10_ENKUlT_T0_E_clISt17integral_constantIbLb0EES1U_IbLb1EEEEDaS1Q_S1R_EUlS1Q_E_NS1_11comp_targetILNS1_3genE5ELNS1_11target_archE942ELNS1_3gpuE9ELNS1_3repE0EEENS1_30default_config_static_selectorELNS0_4arch9wavefront6targetE0EEEvS13_,@function
_ZN7rocprim17ROCPRIM_400000_NS6detail17trampoline_kernelINS0_13select_configILj256ELj13ELNS0_17block_load_methodE3ELS4_3ELS4_3ELNS0_20block_scan_algorithmE0ELj4294967295EEENS1_25partition_config_selectorILNS1_17partition_subalgoE4EjNS0_10empty_typeEbEEZZNS1_14partition_implILS8_4ELb0ES6_15HIP_vector_typeIjLj2EENS0_17counting_iteratorIjlEEPS9_SG_NS0_5tupleIJPjSI_NS0_16reverse_iteratorISI_EEEEENSH_IJSG_SG_SG_EEES9_SI_JZNS1_25segmented_radix_sort_implINS0_14default_configELb0EPK12hip_bfloat16PSP_PKlPlN2at6native12_GLOBAL__N_18offset_tEEE10hipError_tPvRmT1_PNSt15iterator_traitsIS13_E10value_typeET2_T3_PNS14_IS19_E10value_typeET4_jRbjT5_S1F_jjP12ihipStream_tbEUljE_ZNSN_ISO_Lb0ESR_SS_SU_SV_SZ_EES10_S11_S12_S13_S17_S18_S19_S1C_S1D_jS1E_jS1F_S1F_jjS1H_bEUljE0_EEES10_S11_S12_S19_S1D_S1F_T6_T7_T9_mT8_S1H_bDpT10_ENKUlT_T0_E_clISt17integral_constantIbLb0EES1U_IbLb1EEEEDaS1Q_S1R_EUlS1Q_E_NS1_11comp_targetILNS1_3genE5ELNS1_11target_archE942ELNS1_3gpuE9ELNS1_3repE0EEENS1_30default_config_static_selectorELNS0_4arch9wavefront6targetE0EEEvS13_: ; @_ZN7rocprim17ROCPRIM_400000_NS6detail17trampoline_kernelINS0_13select_configILj256ELj13ELNS0_17block_load_methodE3ELS4_3ELS4_3ELNS0_20block_scan_algorithmE0ELj4294967295EEENS1_25partition_config_selectorILNS1_17partition_subalgoE4EjNS0_10empty_typeEbEEZZNS1_14partition_implILS8_4ELb0ES6_15HIP_vector_typeIjLj2EENS0_17counting_iteratorIjlEEPS9_SG_NS0_5tupleIJPjSI_NS0_16reverse_iteratorISI_EEEEENSH_IJSG_SG_SG_EEES9_SI_JZNS1_25segmented_radix_sort_implINS0_14default_configELb0EPK12hip_bfloat16PSP_PKlPlN2at6native12_GLOBAL__N_18offset_tEEE10hipError_tPvRmT1_PNSt15iterator_traitsIS13_E10value_typeET2_T3_PNS14_IS19_E10value_typeET4_jRbjT5_S1F_jjP12ihipStream_tbEUljE_ZNSN_ISO_Lb0ESR_SS_SU_SV_SZ_EES10_S11_S12_S13_S17_S18_S19_S1C_S1D_jS1E_jS1F_S1F_jjS1H_bEUljE0_EEES10_S11_S12_S19_S1D_S1F_T6_T7_T9_mT8_S1H_bDpT10_ENKUlT_T0_E_clISt17integral_constantIbLb0EES1U_IbLb1EEEEDaS1Q_S1R_EUlS1Q_E_NS1_11comp_targetILNS1_3genE5ELNS1_11target_archE942ELNS1_3gpuE9ELNS1_3repE0EEENS1_30default_config_static_selectorELNS0_4arch9wavefront6targetE0EEEvS13_
; %bb.0:
	.section	.rodata,"a",@progbits
	.p2align	6, 0x0
	.amdhsa_kernel _ZN7rocprim17ROCPRIM_400000_NS6detail17trampoline_kernelINS0_13select_configILj256ELj13ELNS0_17block_load_methodE3ELS4_3ELS4_3ELNS0_20block_scan_algorithmE0ELj4294967295EEENS1_25partition_config_selectorILNS1_17partition_subalgoE4EjNS0_10empty_typeEbEEZZNS1_14partition_implILS8_4ELb0ES6_15HIP_vector_typeIjLj2EENS0_17counting_iteratorIjlEEPS9_SG_NS0_5tupleIJPjSI_NS0_16reverse_iteratorISI_EEEEENSH_IJSG_SG_SG_EEES9_SI_JZNS1_25segmented_radix_sort_implINS0_14default_configELb0EPK12hip_bfloat16PSP_PKlPlN2at6native12_GLOBAL__N_18offset_tEEE10hipError_tPvRmT1_PNSt15iterator_traitsIS13_E10value_typeET2_T3_PNS14_IS19_E10value_typeET4_jRbjT5_S1F_jjP12ihipStream_tbEUljE_ZNSN_ISO_Lb0ESR_SS_SU_SV_SZ_EES10_S11_S12_S13_S17_S18_S19_S1C_S1D_jS1E_jS1F_S1F_jjS1H_bEUljE0_EEES10_S11_S12_S19_S1D_S1F_T6_T7_T9_mT8_S1H_bDpT10_ENKUlT_T0_E_clISt17integral_constantIbLb0EES1U_IbLb1EEEEDaS1Q_S1R_EUlS1Q_E_NS1_11comp_targetILNS1_3genE5ELNS1_11target_archE942ELNS1_3gpuE9ELNS1_3repE0EEENS1_30default_config_static_selectorELNS0_4arch9wavefront6targetE0EEEvS13_
		.amdhsa_group_segment_fixed_size 0
		.amdhsa_private_segment_fixed_size 0
		.amdhsa_kernarg_size 184
		.amdhsa_user_sgpr_count 2
		.amdhsa_user_sgpr_dispatch_ptr 0
		.amdhsa_user_sgpr_queue_ptr 0
		.amdhsa_user_sgpr_kernarg_segment_ptr 1
		.amdhsa_user_sgpr_dispatch_id 0
		.amdhsa_user_sgpr_kernarg_preload_length 0
		.amdhsa_user_sgpr_kernarg_preload_offset 0
		.amdhsa_user_sgpr_private_segment_size 0
		.amdhsa_wavefront_size32 1
		.amdhsa_uses_dynamic_stack 0
		.amdhsa_enable_private_segment 0
		.amdhsa_system_sgpr_workgroup_id_x 1
		.amdhsa_system_sgpr_workgroup_id_y 0
		.amdhsa_system_sgpr_workgroup_id_z 0
		.amdhsa_system_sgpr_workgroup_info 0
		.amdhsa_system_vgpr_workitem_id 0
		.amdhsa_next_free_vgpr 1
		.amdhsa_next_free_sgpr 1
		.amdhsa_named_barrier_count 0
		.amdhsa_reserve_vcc 0
		.amdhsa_float_round_mode_32 0
		.amdhsa_float_round_mode_16_64 0
		.amdhsa_float_denorm_mode_32 3
		.amdhsa_float_denorm_mode_16_64 3
		.amdhsa_fp16_overflow 0
		.amdhsa_memory_ordered 1
		.amdhsa_forward_progress 1
		.amdhsa_inst_pref_size 0
		.amdhsa_round_robin_scheduling 0
		.amdhsa_exception_fp_ieee_invalid_op 0
		.amdhsa_exception_fp_denorm_src 0
		.amdhsa_exception_fp_ieee_div_zero 0
		.amdhsa_exception_fp_ieee_overflow 0
		.amdhsa_exception_fp_ieee_underflow 0
		.amdhsa_exception_fp_ieee_inexact 0
		.amdhsa_exception_int_div_zero 0
	.end_amdhsa_kernel
	.section	.text._ZN7rocprim17ROCPRIM_400000_NS6detail17trampoline_kernelINS0_13select_configILj256ELj13ELNS0_17block_load_methodE3ELS4_3ELS4_3ELNS0_20block_scan_algorithmE0ELj4294967295EEENS1_25partition_config_selectorILNS1_17partition_subalgoE4EjNS0_10empty_typeEbEEZZNS1_14partition_implILS8_4ELb0ES6_15HIP_vector_typeIjLj2EENS0_17counting_iteratorIjlEEPS9_SG_NS0_5tupleIJPjSI_NS0_16reverse_iteratorISI_EEEEENSH_IJSG_SG_SG_EEES9_SI_JZNS1_25segmented_radix_sort_implINS0_14default_configELb0EPK12hip_bfloat16PSP_PKlPlN2at6native12_GLOBAL__N_18offset_tEEE10hipError_tPvRmT1_PNSt15iterator_traitsIS13_E10value_typeET2_T3_PNS14_IS19_E10value_typeET4_jRbjT5_S1F_jjP12ihipStream_tbEUljE_ZNSN_ISO_Lb0ESR_SS_SU_SV_SZ_EES10_S11_S12_S13_S17_S18_S19_S1C_S1D_jS1E_jS1F_S1F_jjS1H_bEUljE0_EEES10_S11_S12_S19_S1D_S1F_T6_T7_T9_mT8_S1H_bDpT10_ENKUlT_T0_E_clISt17integral_constantIbLb0EES1U_IbLb1EEEEDaS1Q_S1R_EUlS1Q_E_NS1_11comp_targetILNS1_3genE5ELNS1_11target_archE942ELNS1_3gpuE9ELNS1_3repE0EEENS1_30default_config_static_selectorELNS0_4arch9wavefront6targetE0EEEvS13_,"axG",@progbits,_ZN7rocprim17ROCPRIM_400000_NS6detail17trampoline_kernelINS0_13select_configILj256ELj13ELNS0_17block_load_methodE3ELS4_3ELS4_3ELNS0_20block_scan_algorithmE0ELj4294967295EEENS1_25partition_config_selectorILNS1_17partition_subalgoE4EjNS0_10empty_typeEbEEZZNS1_14partition_implILS8_4ELb0ES6_15HIP_vector_typeIjLj2EENS0_17counting_iteratorIjlEEPS9_SG_NS0_5tupleIJPjSI_NS0_16reverse_iteratorISI_EEEEENSH_IJSG_SG_SG_EEES9_SI_JZNS1_25segmented_radix_sort_implINS0_14default_configELb0EPK12hip_bfloat16PSP_PKlPlN2at6native12_GLOBAL__N_18offset_tEEE10hipError_tPvRmT1_PNSt15iterator_traitsIS13_E10value_typeET2_T3_PNS14_IS19_E10value_typeET4_jRbjT5_S1F_jjP12ihipStream_tbEUljE_ZNSN_ISO_Lb0ESR_SS_SU_SV_SZ_EES10_S11_S12_S13_S17_S18_S19_S1C_S1D_jS1E_jS1F_S1F_jjS1H_bEUljE0_EEES10_S11_S12_S19_S1D_S1F_T6_T7_T9_mT8_S1H_bDpT10_ENKUlT_T0_E_clISt17integral_constantIbLb0EES1U_IbLb1EEEEDaS1Q_S1R_EUlS1Q_E_NS1_11comp_targetILNS1_3genE5ELNS1_11target_archE942ELNS1_3gpuE9ELNS1_3repE0EEENS1_30default_config_static_selectorELNS0_4arch9wavefront6targetE0EEEvS13_,comdat
.Lfunc_end2000:
	.size	_ZN7rocprim17ROCPRIM_400000_NS6detail17trampoline_kernelINS0_13select_configILj256ELj13ELNS0_17block_load_methodE3ELS4_3ELS4_3ELNS0_20block_scan_algorithmE0ELj4294967295EEENS1_25partition_config_selectorILNS1_17partition_subalgoE4EjNS0_10empty_typeEbEEZZNS1_14partition_implILS8_4ELb0ES6_15HIP_vector_typeIjLj2EENS0_17counting_iteratorIjlEEPS9_SG_NS0_5tupleIJPjSI_NS0_16reverse_iteratorISI_EEEEENSH_IJSG_SG_SG_EEES9_SI_JZNS1_25segmented_radix_sort_implINS0_14default_configELb0EPK12hip_bfloat16PSP_PKlPlN2at6native12_GLOBAL__N_18offset_tEEE10hipError_tPvRmT1_PNSt15iterator_traitsIS13_E10value_typeET2_T3_PNS14_IS19_E10value_typeET4_jRbjT5_S1F_jjP12ihipStream_tbEUljE_ZNSN_ISO_Lb0ESR_SS_SU_SV_SZ_EES10_S11_S12_S13_S17_S18_S19_S1C_S1D_jS1E_jS1F_S1F_jjS1H_bEUljE0_EEES10_S11_S12_S19_S1D_S1F_T6_T7_T9_mT8_S1H_bDpT10_ENKUlT_T0_E_clISt17integral_constantIbLb0EES1U_IbLb1EEEEDaS1Q_S1R_EUlS1Q_E_NS1_11comp_targetILNS1_3genE5ELNS1_11target_archE942ELNS1_3gpuE9ELNS1_3repE0EEENS1_30default_config_static_selectorELNS0_4arch9wavefront6targetE0EEEvS13_, .Lfunc_end2000-_ZN7rocprim17ROCPRIM_400000_NS6detail17trampoline_kernelINS0_13select_configILj256ELj13ELNS0_17block_load_methodE3ELS4_3ELS4_3ELNS0_20block_scan_algorithmE0ELj4294967295EEENS1_25partition_config_selectorILNS1_17partition_subalgoE4EjNS0_10empty_typeEbEEZZNS1_14partition_implILS8_4ELb0ES6_15HIP_vector_typeIjLj2EENS0_17counting_iteratorIjlEEPS9_SG_NS0_5tupleIJPjSI_NS0_16reverse_iteratorISI_EEEEENSH_IJSG_SG_SG_EEES9_SI_JZNS1_25segmented_radix_sort_implINS0_14default_configELb0EPK12hip_bfloat16PSP_PKlPlN2at6native12_GLOBAL__N_18offset_tEEE10hipError_tPvRmT1_PNSt15iterator_traitsIS13_E10value_typeET2_T3_PNS14_IS19_E10value_typeET4_jRbjT5_S1F_jjP12ihipStream_tbEUljE_ZNSN_ISO_Lb0ESR_SS_SU_SV_SZ_EES10_S11_S12_S13_S17_S18_S19_S1C_S1D_jS1E_jS1F_S1F_jjS1H_bEUljE0_EEES10_S11_S12_S19_S1D_S1F_T6_T7_T9_mT8_S1H_bDpT10_ENKUlT_T0_E_clISt17integral_constantIbLb0EES1U_IbLb1EEEEDaS1Q_S1R_EUlS1Q_E_NS1_11comp_targetILNS1_3genE5ELNS1_11target_archE942ELNS1_3gpuE9ELNS1_3repE0EEENS1_30default_config_static_selectorELNS0_4arch9wavefront6targetE0EEEvS13_
                                        ; -- End function
	.set _ZN7rocprim17ROCPRIM_400000_NS6detail17trampoline_kernelINS0_13select_configILj256ELj13ELNS0_17block_load_methodE3ELS4_3ELS4_3ELNS0_20block_scan_algorithmE0ELj4294967295EEENS1_25partition_config_selectorILNS1_17partition_subalgoE4EjNS0_10empty_typeEbEEZZNS1_14partition_implILS8_4ELb0ES6_15HIP_vector_typeIjLj2EENS0_17counting_iteratorIjlEEPS9_SG_NS0_5tupleIJPjSI_NS0_16reverse_iteratorISI_EEEEENSH_IJSG_SG_SG_EEES9_SI_JZNS1_25segmented_radix_sort_implINS0_14default_configELb0EPK12hip_bfloat16PSP_PKlPlN2at6native12_GLOBAL__N_18offset_tEEE10hipError_tPvRmT1_PNSt15iterator_traitsIS13_E10value_typeET2_T3_PNS14_IS19_E10value_typeET4_jRbjT5_S1F_jjP12ihipStream_tbEUljE_ZNSN_ISO_Lb0ESR_SS_SU_SV_SZ_EES10_S11_S12_S13_S17_S18_S19_S1C_S1D_jS1E_jS1F_S1F_jjS1H_bEUljE0_EEES10_S11_S12_S19_S1D_S1F_T6_T7_T9_mT8_S1H_bDpT10_ENKUlT_T0_E_clISt17integral_constantIbLb0EES1U_IbLb1EEEEDaS1Q_S1R_EUlS1Q_E_NS1_11comp_targetILNS1_3genE5ELNS1_11target_archE942ELNS1_3gpuE9ELNS1_3repE0EEENS1_30default_config_static_selectorELNS0_4arch9wavefront6targetE0EEEvS13_.num_vgpr, 0
	.set _ZN7rocprim17ROCPRIM_400000_NS6detail17trampoline_kernelINS0_13select_configILj256ELj13ELNS0_17block_load_methodE3ELS4_3ELS4_3ELNS0_20block_scan_algorithmE0ELj4294967295EEENS1_25partition_config_selectorILNS1_17partition_subalgoE4EjNS0_10empty_typeEbEEZZNS1_14partition_implILS8_4ELb0ES6_15HIP_vector_typeIjLj2EENS0_17counting_iteratorIjlEEPS9_SG_NS0_5tupleIJPjSI_NS0_16reverse_iteratorISI_EEEEENSH_IJSG_SG_SG_EEES9_SI_JZNS1_25segmented_radix_sort_implINS0_14default_configELb0EPK12hip_bfloat16PSP_PKlPlN2at6native12_GLOBAL__N_18offset_tEEE10hipError_tPvRmT1_PNSt15iterator_traitsIS13_E10value_typeET2_T3_PNS14_IS19_E10value_typeET4_jRbjT5_S1F_jjP12ihipStream_tbEUljE_ZNSN_ISO_Lb0ESR_SS_SU_SV_SZ_EES10_S11_S12_S13_S17_S18_S19_S1C_S1D_jS1E_jS1F_S1F_jjS1H_bEUljE0_EEES10_S11_S12_S19_S1D_S1F_T6_T7_T9_mT8_S1H_bDpT10_ENKUlT_T0_E_clISt17integral_constantIbLb0EES1U_IbLb1EEEEDaS1Q_S1R_EUlS1Q_E_NS1_11comp_targetILNS1_3genE5ELNS1_11target_archE942ELNS1_3gpuE9ELNS1_3repE0EEENS1_30default_config_static_selectorELNS0_4arch9wavefront6targetE0EEEvS13_.num_agpr, 0
	.set _ZN7rocprim17ROCPRIM_400000_NS6detail17trampoline_kernelINS0_13select_configILj256ELj13ELNS0_17block_load_methodE3ELS4_3ELS4_3ELNS0_20block_scan_algorithmE0ELj4294967295EEENS1_25partition_config_selectorILNS1_17partition_subalgoE4EjNS0_10empty_typeEbEEZZNS1_14partition_implILS8_4ELb0ES6_15HIP_vector_typeIjLj2EENS0_17counting_iteratorIjlEEPS9_SG_NS0_5tupleIJPjSI_NS0_16reverse_iteratorISI_EEEEENSH_IJSG_SG_SG_EEES9_SI_JZNS1_25segmented_radix_sort_implINS0_14default_configELb0EPK12hip_bfloat16PSP_PKlPlN2at6native12_GLOBAL__N_18offset_tEEE10hipError_tPvRmT1_PNSt15iterator_traitsIS13_E10value_typeET2_T3_PNS14_IS19_E10value_typeET4_jRbjT5_S1F_jjP12ihipStream_tbEUljE_ZNSN_ISO_Lb0ESR_SS_SU_SV_SZ_EES10_S11_S12_S13_S17_S18_S19_S1C_S1D_jS1E_jS1F_S1F_jjS1H_bEUljE0_EEES10_S11_S12_S19_S1D_S1F_T6_T7_T9_mT8_S1H_bDpT10_ENKUlT_T0_E_clISt17integral_constantIbLb0EES1U_IbLb1EEEEDaS1Q_S1R_EUlS1Q_E_NS1_11comp_targetILNS1_3genE5ELNS1_11target_archE942ELNS1_3gpuE9ELNS1_3repE0EEENS1_30default_config_static_selectorELNS0_4arch9wavefront6targetE0EEEvS13_.numbered_sgpr, 0
	.set _ZN7rocprim17ROCPRIM_400000_NS6detail17trampoline_kernelINS0_13select_configILj256ELj13ELNS0_17block_load_methodE3ELS4_3ELS4_3ELNS0_20block_scan_algorithmE0ELj4294967295EEENS1_25partition_config_selectorILNS1_17partition_subalgoE4EjNS0_10empty_typeEbEEZZNS1_14partition_implILS8_4ELb0ES6_15HIP_vector_typeIjLj2EENS0_17counting_iteratorIjlEEPS9_SG_NS0_5tupleIJPjSI_NS0_16reverse_iteratorISI_EEEEENSH_IJSG_SG_SG_EEES9_SI_JZNS1_25segmented_radix_sort_implINS0_14default_configELb0EPK12hip_bfloat16PSP_PKlPlN2at6native12_GLOBAL__N_18offset_tEEE10hipError_tPvRmT1_PNSt15iterator_traitsIS13_E10value_typeET2_T3_PNS14_IS19_E10value_typeET4_jRbjT5_S1F_jjP12ihipStream_tbEUljE_ZNSN_ISO_Lb0ESR_SS_SU_SV_SZ_EES10_S11_S12_S13_S17_S18_S19_S1C_S1D_jS1E_jS1F_S1F_jjS1H_bEUljE0_EEES10_S11_S12_S19_S1D_S1F_T6_T7_T9_mT8_S1H_bDpT10_ENKUlT_T0_E_clISt17integral_constantIbLb0EES1U_IbLb1EEEEDaS1Q_S1R_EUlS1Q_E_NS1_11comp_targetILNS1_3genE5ELNS1_11target_archE942ELNS1_3gpuE9ELNS1_3repE0EEENS1_30default_config_static_selectorELNS0_4arch9wavefront6targetE0EEEvS13_.num_named_barrier, 0
	.set _ZN7rocprim17ROCPRIM_400000_NS6detail17trampoline_kernelINS0_13select_configILj256ELj13ELNS0_17block_load_methodE3ELS4_3ELS4_3ELNS0_20block_scan_algorithmE0ELj4294967295EEENS1_25partition_config_selectorILNS1_17partition_subalgoE4EjNS0_10empty_typeEbEEZZNS1_14partition_implILS8_4ELb0ES6_15HIP_vector_typeIjLj2EENS0_17counting_iteratorIjlEEPS9_SG_NS0_5tupleIJPjSI_NS0_16reverse_iteratorISI_EEEEENSH_IJSG_SG_SG_EEES9_SI_JZNS1_25segmented_radix_sort_implINS0_14default_configELb0EPK12hip_bfloat16PSP_PKlPlN2at6native12_GLOBAL__N_18offset_tEEE10hipError_tPvRmT1_PNSt15iterator_traitsIS13_E10value_typeET2_T3_PNS14_IS19_E10value_typeET4_jRbjT5_S1F_jjP12ihipStream_tbEUljE_ZNSN_ISO_Lb0ESR_SS_SU_SV_SZ_EES10_S11_S12_S13_S17_S18_S19_S1C_S1D_jS1E_jS1F_S1F_jjS1H_bEUljE0_EEES10_S11_S12_S19_S1D_S1F_T6_T7_T9_mT8_S1H_bDpT10_ENKUlT_T0_E_clISt17integral_constantIbLb0EES1U_IbLb1EEEEDaS1Q_S1R_EUlS1Q_E_NS1_11comp_targetILNS1_3genE5ELNS1_11target_archE942ELNS1_3gpuE9ELNS1_3repE0EEENS1_30default_config_static_selectorELNS0_4arch9wavefront6targetE0EEEvS13_.private_seg_size, 0
	.set _ZN7rocprim17ROCPRIM_400000_NS6detail17trampoline_kernelINS0_13select_configILj256ELj13ELNS0_17block_load_methodE3ELS4_3ELS4_3ELNS0_20block_scan_algorithmE0ELj4294967295EEENS1_25partition_config_selectorILNS1_17partition_subalgoE4EjNS0_10empty_typeEbEEZZNS1_14partition_implILS8_4ELb0ES6_15HIP_vector_typeIjLj2EENS0_17counting_iteratorIjlEEPS9_SG_NS0_5tupleIJPjSI_NS0_16reverse_iteratorISI_EEEEENSH_IJSG_SG_SG_EEES9_SI_JZNS1_25segmented_radix_sort_implINS0_14default_configELb0EPK12hip_bfloat16PSP_PKlPlN2at6native12_GLOBAL__N_18offset_tEEE10hipError_tPvRmT1_PNSt15iterator_traitsIS13_E10value_typeET2_T3_PNS14_IS19_E10value_typeET4_jRbjT5_S1F_jjP12ihipStream_tbEUljE_ZNSN_ISO_Lb0ESR_SS_SU_SV_SZ_EES10_S11_S12_S13_S17_S18_S19_S1C_S1D_jS1E_jS1F_S1F_jjS1H_bEUljE0_EEES10_S11_S12_S19_S1D_S1F_T6_T7_T9_mT8_S1H_bDpT10_ENKUlT_T0_E_clISt17integral_constantIbLb0EES1U_IbLb1EEEEDaS1Q_S1R_EUlS1Q_E_NS1_11comp_targetILNS1_3genE5ELNS1_11target_archE942ELNS1_3gpuE9ELNS1_3repE0EEENS1_30default_config_static_selectorELNS0_4arch9wavefront6targetE0EEEvS13_.uses_vcc, 0
	.set _ZN7rocprim17ROCPRIM_400000_NS6detail17trampoline_kernelINS0_13select_configILj256ELj13ELNS0_17block_load_methodE3ELS4_3ELS4_3ELNS0_20block_scan_algorithmE0ELj4294967295EEENS1_25partition_config_selectorILNS1_17partition_subalgoE4EjNS0_10empty_typeEbEEZZNS1_14partition_implILS8_4ELb0ES6_15HIP_vector_typeIjLj2EENS0_17counting_iteratorIjlEEPS9_SG_NS0_5tupleIJPjSI_NS0_16reverse_iteratorISI_EEEEENSH_IJSG_SG_SG_EEES9_SI_JZNS1_25segmented_radix_sort_implINS0_14default_configELb0EPK12hip_bfloat16PSP_PKlPlN2at6native12_GLOBAL__N_18offset_tEEE10hipError_tPvRmT1_PNSt15iterator_traitsIS13_E10value_typeET2_T3_PNS14_IS19_E10value_typeET4_jRbjT5_S1F_jjP12ihipStream_tbEUljE_ZNSN_ISO_Lb0ESR_SS_SU_SV_SZ_EES10_S11_S12_S13_S17_S18_S19_S1C_S1D_jS1E_jS1F_S1F_jjS1H_bEUljE0_EEES10_S11_S12_S19_S1D_S1F_T6_T7_T9_mT8_S1H_bDpT10_ENKUlT_T0_E_clISt17integral_constantIbLb0EES1U_IbLb1EEEEDaS1Q_S1R_EUlS1Q_E_NS1_11comp_targetILNS1_3genE5ELNS1_11target_archE942ELNS1_3gpuE9ELNS1_3repE0EEENS1_30default_config_static_selectorELNS0_4arch9wavefront6targetE0EEEvS13_.uses_flat_scratch, 0
	.set _ZN7rocprim17ROCPRIM_400000_NS6detail17trampoline_kernelINS0_13select_configILj256ELj13ELNS0_17block_load_methodE3ELS4_3ELS4_3ELNS0_20block_scan_algorithmE0ELj4294967295EEENS1_25partition_config_selectorILNS1_17partition_subalgoE4EjNS0_10empty_typeEbEEZZNS1_14partition_implILS8_4ELb0ES6_15HIP_vector_typeIjLj2EENS0_17counting_iteratorIjlEEPS9_SG_NS0_5tupleIJPjSI_NS0_16reverse_iteratorISI_EEEEENSH_IJSG_SG_SG_EEES9_SI_JZNS1_25segmented_radix_sort_implINS0_14default_configELb0EPK12hip_bfloat16PSP_PKlPlN2at6native12_GLOBAL__N_18offset_tEEE10hipError_tPvRmT1_PNSt15iterator_traitsIS13_E10value_typeET2_T3_PNS14_IS19_E10value_typeET4_jRbjT5_S1F_jjP12ihipStream_tbEUljE_ZNSN_ISO_Lb0ESR_SS_SU_SV_SZ_EES10_S11_S12_S13_S17_S18_S19_S1C_S1D_jS1E_jS1F_S1F_jjS1H_bEUljE0_EEES10_S11_S12_S19_S1D_S1F_T6_T7_T9_mT8_S1H_bDpT10_ENKUlT_T0_E_clISt17integral_constantIbLb0EES1U_IbLb1EEEEDaS1Q_S1R_EUlS1Q_E_NS1_11comp_targetILNS1_3genE5ELNS1_11target_archE942ELNS1_3gpuE9ELNS1_3repE0EEENS1_30default_config_static_selectorELNS0_4arch9wavefront6targetE0EEEvS13_.has_dyn_sized_stack, 0
	.set _ZN7rocprim17ROCPRIM_400000_NS6detail17trampoline_kernelINS0_13select_configILj256ELj13ELNS0_17block_load_methodE3ELS4_3ELS4_3ELNS0_20block_scan_algorithmE0ELj4294967295EEENS1_25partition_config_selectorILNS1_17partition_subalgoE4EjNS0_10empty_typeEbEEZZNS1_14partition_implILS8_4ELb0ES6_15HIP_vector_typeIjLj2EENS0_17counting_iteratorIjlEEPS9_SG_NS0_5tupleIJPjSI_NS0_16reverse_iteratorISI_EEEEENSH_IJSG_SG_SG_EEES9_SI_JZNS1_25segmented_radix_sort_implINS0_14default_configELb0EPK12hip_bfloat16PSP_PKlPlN2at6native12_GLOBAL__N_18offset_tEEE10hipError_tPvRmT1_PNSt15iterator_traitsIS13_E10value_typeET2_T3_PNS14_IS19_E10value_typeET4_jRbjT5_S1F_jjP12ihipStream_tbEUljE_ZNSN_ISO_Lb0ESR_SS_SU_SV_SZ_EES10_S11_S12_S13_S17_S18_S19_S1C_S1D_jS1E_jS1F_S1F_jjS1H_bEUljE0_EEES10_S11_S12_S19_S1D_S1F_T6_T7_T9_mT8_S1H_bDpT10_ENKUlT_T0_E_clISt17integral_constantIbLb0EES1U_IbLb1EEEEDaS1Q_S1R_EUlS1Q_E_NS1_11comp_targetILNS1_3genE5ELNS1_11target_archE942ELNS1_3gpuE9ELNS1_3repE0EEENS1_30default_config_static_selectorELNS0_4arch9wavefront6targetE0EEEvS13_.has_recursion, 0
	.set _ZN7rocprim17ROCPRIM_400000_NS6detail17trampoline_kernelINS0_13select_configILj256ELj13ELNS0_17block_load_methodE3ELS4_3ELS4_3ELNS0_20block_scan_algorithmE0ELj4294967295EEENS1_25partition_config_selectorILNS1_17partition_subalgoE4EjNS0_10empty_typeEbEEZZNS1_14partition_implILS8_4ELb0ES6_15HIP_vector_typeIjLj2EENS0_17counting_iteratorIjlEEPS9_SG_NS0_5tupleIJPjSI_NS0_16reverse_iteratorISI_EEEEENSH_IJSG_SG_SG_EEES9_SI_JZNS1_25segmented_radix_sort_implINS0_14default_configELb0EPK12hip_bfloat16PSP_PKlPlN2at6native12_GLOBAL__N_18offset_tEEE10hipError_tPvRmT1_PNSt15iterator_traitsIS13_E10value_typeET2_T3_PNS14_IS19_E10value_typeET4_jRbjT5_S1F_jjP12ihipStream_tbEUljE_ZNSN_ISO_Lb0ESR_SS_SU_SV_SZ_EES10_S11_S12_S13_S17_S18_S19_S1C_S1D_jS1E_jS1F_S1F_jjS1H_bEUljE0_EEES10_S11_S12_S19_S1D_S1F_T6_T7_T9_mT8_S1H_bDpT10_ENKUlT_T0_E_clISt17integral_constantIbLb0EES1U_IbLb1EEEEDaS1Q_S1R_EUlS1Q_E_NS1_11comp_targetILNS1_3genE5ELNS1_11target_archE942ELNS1_3gpuE9ELNS1_3repE0EEENS1_30default_config_static_selectorELNS0_4arch9wavefront6targetE0EEEvS13_.has_indirect_call, 0
	.section	.AMDGPU.csdata,"",@progbits
; Kernel info:
; codeLenInByte = 0
; TotalNumSgprs: 0
; NumVgprs: 0
; ScratchSize: 0
; MemoryBound: 0
; FloatMode: 240
; IeeeMode: 1
; LDSByteSize: 0 bytes/workgroup (compile time only)
; SGPRBlocks: 0
; VGPRBlocks: 0
; NumSGPRsForWavesPerEU: 1
; NumVGPRsForWavesPerEU: 1
; NamedBarCnt: 0
; Occupancy: 16
; WaveLimiterHint : 0
; COMPUTE_PGM_RSRC2:SCRATCH_EN: 0
; COMPUTE_PGM_RSRC2:USER_SGPR: 2
; COMPUTE_PGM_RSRC2:TRAP_HANDLER: 0
; COMPUTE_PGM_RSRC2:TGID_X_EN: 1
; COMPUTE_PGM_RSRC2:TGID_Y_EN: 0
; COMPUTE_PGM_RSRC2:TGID_Z_EN: 0
; COMPUTE_PGM_RSRC2:TIDIG_COMP_CNT: 0
	.section	.text._ZN7rocprim17ROCPRIM_400000_NS6detail17trampoline_kernelINS0_13select_configILj256ELj13ELNS0_17block_load_methodE3ELS4_3ELS4_3ELNS0_20block_scan_algorithmE0ELj4294967295EEENS1_25partition_config_selectorILNS1_17partition_subalgoE4EjNS0_10empty_typeEbEEZZNS1_14partition_implILS8_4ELb0ES6_15HIP_vector_typeIjLj2EENS0_17counting_iteratorIjlEEPS9_SG_NS0_5tupleIJPjSI_NS0_16reverse_iteratorISI_EEEEENSH_IJSG_SG_SG_EEES9_SI_JZNS1_25segmented_radix_sort_implINS0_14default_configELb0EPK12hip_bfloat16PSP_PKlPlN2at6native12_GLOBAL__N_18offset_tEEE10hipError_tPvRmT1_PNSt15iterator_traitsIS13_E10value_typeET2_T3_PNS14_IS19_E10value_typeET4_jRbjT5_S1F_jjP12ihipStream_tbEUljE_ZNSN_ISO_Lb0ESR_SS_SU_SV_SZ_EES10_S11_S12_S13_S17_S18_S19_S1C_S1D_jS1E_jS1F_S1F_jjS1H_bEUljE0_EEES10_S11_S12_S19_S1D_S1F_T6_T7_T9_mT8_S1H_bDpT10_ENKUlT_T0_E_clISt17integral_constantIbLb0EES1U_IbLb1EEEEDaS1Q_S1R_EUlS1Q_E_NS1_11comp_targetILNS1_3genE4ELNS1_11target_archE910ELNS1_3gpuE8ELNS1_3repE0EEENS1_30default_config_static_selectorELNS0_4arch9wavefront6targetE0EEEvS13_,"axG",@progbits,_ZN7rocprim17ROCPRIM_400000_NS6detail17trampoline_kernelINS0_13select_configILj256ELj13ELNS0_17block_load_methodE3ELS4_3ELS4_3ELNS0_20block_scan_algorithmE0ELj4294967295EEENS1_25partition_config_selectorILNS1_17partition_subalgoE4EjNS0_10empty_typeEbEEZZNS1_14partition_implILS8_4ELb0ES6_15HIP_vector_typeIjLj2EENS0_17counting_iteratorIjlEEPS9_SG_NS0_5tupleIJPjSI_NS0_16reverse_iteratorISI_EEEEENSH_IJSG_SG_SG_EEES9_SI_JZNS1_25segmented_radix_sort_implINS0_14default_configELb0EPK12hip_bfloat16PSP_PKlPlN2at6native12_GLOBAL__N_18offset_tEEE10hipError_tPvRmT1_PNSt15iterator_traitsIS13_E10value_typeET2_T3_PNS14_IS19_E10value_typeET4_jRbjT5_S1F_jjP12ihipStream_tbEUljE_ZNSN_ISO_Lb0ESR_SS_SU_SV_SZ_EES10_S11_S12_S13_S17_S18_S19_S1C_S1D_jS1E_jS1F_S1F_jjS1H_bEUljE0_EEES10_S11_S12_S19_S1D_S1F_T6_T7_T9_mT8_S1H_bDpT10_ENKUlT_T0_E_clISt17integral_constantIbLb0EES1U_IbLb1EEEEDaS1Q_S1R_EUlS1Q_E_NS1_11comp_targetILNS1_3genE4ELNS1_11target_archE910ELNS1_3gpuE8ELNS1_3repE0EEENS1_30default_config_static_selectorELNS0_4arch9wavefront6targetE0EEEvS13_,comdat
	.globl	_ZN7rocprim17ROCPRIM_400000_NS6detail17trampoline_kernelINS0_13select_configILj256ELj13ELNS0_17block_load_methodE3ELS4_3ELS4_3ELNS0_20block_scan_algorithmE0ELj4294967295EEENS1_25partition_config_selectorILNS1_17partition_subalgoE4EjNS0_10empty_typeEbEEZZNS1_14partition_implILS8_4ELb0ES6_15HIP_vector_typeIjLj2EENS0_17counting_iteratorIjlEEPS9_SG_NS0_5tupleIJPjSI_NS0_16reverse_iteratorISI_EEEEENSH_IJSG_SG_SG_EEES9_SI_JZNS1_25segmented_radix_sort_implINS0_14default_configELb0EPK12hip_bfloat16PSP_PKlPlN2at6native12_GLOBAL__N_18offset_tEEE10hipError_tPvRmT1_PNSt15iterator_traitsIS13_E10value_typeET2_T3_PNS14_IS19_E10value_typeET4_jRbjT5_S1F_jjP12ihipStream_tbEUljE_ZNSN_ISO_Lb0ESR_SS_SU_SV_SZ_EES10_S11_S12_S13_S17_S18_S19_S1C_S1D_jS1E_jS1F_S1F_jjS1H_bEUljE0_EEES10_S11_S12_S19_S1D_S1F_T6_T7_T9_mT8_S1H_bDpT10_ENKUlT_T0_E_clISt17integral_constantIbLb0EES1U_IbLb1EEEEDaS1Q_S1R_EUlS1Q_E_NS1_11comp_targetILNS1_3genE4ELNS1_11target_archE910ELNS1_3gpuE8ELNS1_3repE0EEENS1_30default_config_static_selectorELNS0_4arch9wavefront6targetE0EEEvS13_ ; -- Begin function _ZN7rocprim17ROCPRIM_400000_NS6detail17trampoline_kernelINS0_13select_configILj256ELj13ELNS0_17block_load_methodE3ELS4_3ELS4_3ELNS0_20block_scan_algorithmE0ELj4294967295EEENS1_25partition_config_selectorILNS1_17partition_subalgoE4EjNS0_10empty_typeEbEEZZNS1_14partition_implILS8_4ELb0ES6_15HIP_vector_typeIjLj2EENS0_17counting_iteratorIjlEEPS9_SG_NS0_5tupleIJPjSI_NS0_16reverse_iteratorISI_EEEEENSH_IJSG_SG_SG_EEES9_SI_JZNS1_25segmented_radix_sort_implINS0_14default_configELb0EPK12hip_bfloat16PSP_PKlPlN2at6native12_GLOBAL__N_18offset_tEEE10hipError_tPvRmT1_PNSt15iterator_traitsIS13_E10value_typeET2_T3_PNS14_IS19_E10value_typeET4_jRbjT5_S1F_jjP12ihipStream_tbEUljE_ZNSN_ISO_Lb0ESR_SS_SU_SV_SZ_EES10_S11_S12_S13_S17_S18_S19_S1C_S1D_jS1E_jS1F_S1F_jjS1H_bEUljE0_EEES10_S11_S12_S19_S1D_S1F_T6_T7_T9_mT8_S1H_bDpT10_ENKUlT_T0_E_clISt17integral_constantIbLb0EES1U_IbLb1EEEEDaS1Q_S1R_EUlS1Q_E_NS1_11comp_targetILNS1_3genE4ELNS1_11target_archE910ELNS1_3gpuE8ELNS1_3repE0EEENS1_30default_config_static_selectorELNS0_4arch9wavefront6targetE0EEEvS13_
	.p2align	8
	.type	_ZN7rocprim17ROCPRIM_400000_NS6detail17trampoline_kernelINS0_13select_configILj256ELj13ELNS0_17block_load_methodE3ELS4_3ELS4_3ELNS0_20block_scan_algorithmE0ELj4294967295EEENS1_25partition_config_selectorILNS1_17partition_subalgoE4EjNS0_10empty_typeEbEEZZNS1_14partition_implILS8_4ELb0ES6_15HIP_vector_typeIjLj2EENS0_17counting_iteratorIjlEEPS9_SG_NS0_5tupleIJPjSI_NS0_16reverse_iteratorISI_EEEEENSH_IJSG_SG_SG_EEES9_SI_JZNS1_25segmented_radix_sort_implINS0_14default_configELb0EPK12hip_bfloat16PSP_PKlPlN2at6native12_GLOBAL__N_18offset_tEEE10hipError_tPvRmT1_PNSt15iterator_traitsIS13_E10value_typeET2_T3_PNS14_IS19_E10value_typeET4_jRbjT5_S1F_jjP12ihipStream_tbEUljE_ZNSN_ISO_Lb0ESR_SS_SU_SV_SZ_EES10_S11_S12_S13_S17_S18_S19_S1C_S1D_jS1E_jS1F_S1F_jjS1H_bEUljE0_EEES10_S11_S12_S19_S1D_S1F_T6_T7_T9_mT8_S1H_bDpT10_ENKUlT_T0_E_clISt17integral_constantIbLb0EES1U_IbLb1EEEEDaS1Q_S1R_EUlS1Q_E_NS1_11comp_targetILNS1_3genE4ELNS1_11target_archE910ELNS1_3gpuE8ELNS1_3repE0EEENS1_30default_config_static_selectorELNS0_4arch9wavefront6targetE0EEEvS13_,@function
_ZN7rocprim17ROCPRIM_400000_NS6detail17trampoline_kernelINS0_13select_configILj256ELj13ELNS0_17block_load_methodE3ELS4_3ELS4_3ELNS0_20block_scan_algorithmE0ELj4294967295EEENS1_25partition_config_selectorILNS1_17partition_subalgoE4EjNS0_10empty_typeEbEEZZNS1_14partition_implILS8_4ELb0ES6_15HIP_vector_typeIjLj2EENS0_17counting_iteratorIjlEEPS9_SG_NS0_5tupleIJPjSI_NS0_16reverse_iteratorISI_EEEEENSH_IJSG_SG_SG_EEES9_SI_JZNS1_25segmented_radix_sort_implINS0_14default_configELb0EPK12hip_bfloat16PSP_PKlPlN2at6native12_GLOBAL__N_18offset_tEEE10hipError_tPvRmT1_PNSt15iterator_traitsIS13_E10value_typeET2_T3_PNS14_IS19_E10value_typeET4_jRbjT5_S1F_jjP12ihipStream_tbEUljE_ZNSN_ISO_Lb0ESR_SS_SU_SV_SZ_EES10_S11_S12_S13_S17_S18_S19_S1C_S1D_jS1E_jS1F_S1F_jjS1H_bEUljE0_EEES10_S11_S12_S19_S1D_S1F_T6_T7_T9_mT8_S1H_bDpT10_ENKUlT_T0_E_clISt17integral_constantIbLb0EES1U_IbLb1EEEEDaS1Q_S1R_EUlS1Q_E_NS1_11comp_targetILNS1_3genE4ELNS1_11target_archE910ELNS1_3gpuE8ELNS1_3repE0EEENS1_30default_config_static_selectorELNS0_4arch9wavefront6targetE0EEEvS13_: ; @_ZN7rocprim17ROCPRIM_400000_NS6detail17trampoline_kernelINS0_13select_configILj256ELj13ELNS0_17block_load_methodE3ELS4_3ELS4_3ELNS0_20block_scan_algorithmE0ELj4294967295EEENS1_25partition_config_selectorILNS1_17partition_subalgoE4EjNS0_10empty_typeEbEEZZNS1_14partition_implILS8_4ELb0ES6_15HIP_vector_typeIjLj2EENS0_17counting_iteratorIjlEEPS9_SG_NS0_5tupleIJPjSI_NS0_16reverse_iteratorISI_EEEEENSH_IJSG_SG_SG_EEES9_SI_JZNS1_25segmented_radix_sort_implINS0_14default_configELb0EPK12hip_bfloat16PSP_PKlPlN2at6native12_GLOBAL__N_18offset_tEEE10hipError_tPvRmT1_PNSt15iterator_traitsIS13_E10value_typeET2_T3_PNS14_IS19_E10value_typeET4_jRbjT5_S1F_jjP12ihipStream_tbEUljE_ZNSN_ISO_Lb0ESR_SS_SU_SV_SZ_EES10_S11_S12_S13_S17_S18_S19_S1C_S1D_jS1E_jS1F_S1F_jjS1H_bEUljE0_EEES10_S11_S12_S19_S1D_S1F_T6_T7_T9_mT8_S1H_bDpT10_ENKUlT_T0_E_clISt17integral_constantIbLb0EES1U_IbLb1EEEEDaS1Q_S1R_EUlS1Q_E_NS1_11comp_targetILNS1_3genE4ELNS1_11target_archE910ELNS1_3gpuE8ELNS1_3repE0EEENS1_30default_config_static_selectorELNS0_4arch9wavefront6targetE0EEEvS13_
; %bb.0:
	.section	.rodata,"a",@progbits
	.p2align	6, 0x0
	.amdhsa_kernel _ZN7rocprim17ROCPRIM_400000_NS6detail17trampoline_kernelINS0_13select_configILj256ELj13ELNS0_17block_load_methodE3ELS4_3ELS4_3ELNS0_20block_scan_algorithmE0ELj4294967295EEENS1_25partition_config_selectorILNS1_17partition_subalgoE4EjNS0_10empty_typeEbEEZZNS1_14partition_implILS8_4ELb0ES6_15HIP_vector_typeIjLj2EENS0_17counting_iteratorIjlEEPS9_SG_NS0_5tupleIJPjSI_NS0_16reverse_iteratorISI_EEEEENSH_IJSG_SG_SG_EEES9_SI_JZNS1_25segmented_radix_sort_implINS0_14default_configELb0EPK12hip_bfloat16PSP_PKlPlN2at6native12_GLOBAL__N_18offset_tEEE10hipError_tPvRmT1_PNSt15iterator_traitsIS13_E10value_typeET2_T3_PNS14_IS19_E10value_typeET4_jRbjT5_S1F_jjP12ihipStream_tbEUljE_ZNSN_ISO_Lb0ESR_SS_SU_SV_SZ_EES10_S11_S12_S13_S17_S18_S19_S1C_S1D_jS1E_jS1F_S1F_jjS1H_bEUljE0_EEES10_S11_S12_S19_S1D_S1F_T6_T7_T9_mT8_S1H_bDpT10_ENKUlT_T0_E_clISt17integral_constantIbLb0EES1U_IbLb1EEEEDaS1Q_S1R_EUlS1Q_E_NS1_11comp_targetILNS1_3genE4ELNS1_11target_archE910ELNS1_3gpuE8ELNS1_3repE0EEENS1_30default_config_static_selectorELNS0_4arch9wavefront6targetE0EEEvS13_
		.amdhsa_group_segment_fixed_size 0
		.amdhsa_private_segment_fixed_size 0
		.amdhsa_kernarg_size 184
		.amdhsa_user_sgpr_count 2
		.amdhsa_user_sgpr_dispatch_ptr 0
		.amdhsa_user_sgpr_queue_ptr 0
		.amdhsa_user_sgpr_kernarg_segment_ptr 1
		.amdhsa_user_sgpr_dispatch_id 0
		.amdhsa_user_sgpr_kernarg_preload_length 0
		.amdhsa_user_sgpr_kernarg_preload_offset 0
		.amdhsa_user_sgpr_private_segment_size 0
		.amdhsa_wavefront_size32 1
		.amdhsa_uses_dynamic_stack 0
		.amdhsa_enable_private_segment 0
		.amdhsa_system_sgpr_workgroup_id_x 1
		.amdhsa_system_sgpr_workgroup_id_y 0
		.amdhsa_system_sgpr_workgroup_id_z 0
		.amdhsa_system_sgpr_workgroup_info 0
		.amdhsa_system_vgpr_workitem_id 0
		.amdhsa_next_free_vgpr 1
		.amdhsa_next_free_sgpr 1
		.amdhsa_named_barrier_count 0
		.amdhsa_reserve_vcc 0
		.amdhsa_float_round_mode_32 0
		.amdhsa_float_round_mode_16_64 0
		.amdhsa_float_denorm_mode_32 3
		.amdhsa_float_denorm_mode_16_64 3
		.amdhsa_fp16_overflow 0
		.amdhsa_memory_ordered 1
		.amdhsa_forward_progress 1
		.amdhsa_inst_pref_size 0
		.amdhsa_round_robin_scheduling 0
		.amdhsa_exception_fp_ieee_invalid_op 0
		.amdhsa_exception_fp_denorm_src 0
		.amdhsa_exception_fp_ieee_div_zero 0
		.amdhsa_exception_fp_ieee_overflow 0
		.amdhsa_exception_fp_ieee_underflow 0
		.amdhsa_exception_fp_ieee_inexact 0
		.amdhsa_exception_int_div_zero 0
	.end_amdhsa_kernel
	.section	.text._ZN7rocprim17ROCPRIM_400000_NS6detail17trampoline_kernelINS0_13select_configILj256ELj13ELNS0_17block_load_methodE3ELS4_3ELS4_3ELNS0_20block_scan_algorithmE0ELj4294967295EEENS1_25partition_config_selectorILNS1_17partition_subalgoE4EjNS0_10empty_typeEbEEZZNS1_14partition_implILS8_4ELb0ES6_15HIP_vector_typeIjLj2EENS0_17counting_iteratorIjlEEPS9_SG_NS0_5tupleIJPjSI_NS0_16reverse_iteratorISI_EEEEENSH_IJSG_SG_SG_EEES9_SI_JZNS1_25segmented_radix_sort_implINS0_14default_configELb0EPK12hip_bfloat16PSP_PKlPlN2at6native12_GLOBAL__N_18offset_tEEE10hipError_tPvRmT1_PNSt15iterator_traitsIS13_E10value_typeET2_T3_PNS14_IS19_E10value_typeET4_jRbjT5_S1F_jjP12ihipStream_tbEUljE_ZNSN_ISO_Lb0ESR_SS_SU_SV_SZ_EES10_S11_S12_S13_S17_S18_S19_S1C_S1D_jS1E_jS1F_S1F_jjS1H_bEUljE0_EEES10_S11_S12_S19_S1D_S1F_T6_T7_T9_mT8_S1H_bDpT10_ENKUlT_T0_E_clISt17integral_constantIbLb0EES1U_IbLb1EEEEDaS1Q_S1R_EUlS1Q_E_NS1_11comp_targetILNS1_3genE4ELNS1_11target_archE910ELNS1_3gpuE8ELNS1_3repE0EEENS1_30default_config_static_selectorELNS0_4arch9wavefront6targetE0EEEvS13_,"axG",@progbits,_ZN7rocprim17ROCPRIM_400000_NS6detail17trampoline_kernelINS0_13select_configILj256ELj13ELNS0_17block_load_methodE3ELS4_3ELS4_3ELNS0_20block_scan_algorithmE0ELj4294967295EEENS1_25partition_config_selectorILNS1_17partition_subalgoE4EjNS0_10empty_typeEbEEZZNS1_14partition_implILS8_4ELb0ES6_15HIP_vector_typeIjLj2EENS0_17counting_iteratorIjlEEPS9_SG_NS0_5tupleIJPjSI_NS0_16reverse_iteratorISI_EEEEENSH_IJSG_SG_SG_EEES9_SI_JZNS1_25segmented_radix_sort_implINS0_14default_configELb0EPK12hip_bfloat16PSP_PKlPlN2at6native12_GLOBAL__N_18offset_tEEE10hipError_tPvRmT1_PNSt15iterator_traitsIS13_E10value_typeET2_T3_PNS14_IS19_E10value_typeET4_jRbjT5_S1F_jjP12ihipStream_tbEUljE_ZNSN_ISO_Lb0ESR_SS_SU_SV_SZ_EES10_S11_S12_S13_S17_S18_S19_S1C_S1D_jS1E_jS1F_S1F_jjS1H_bEUljE0_EEES10_S11_S12_S19_S1D_S1F_T6_T7_T9_mT8_S1H_bDpT10_ENKUlT_T0_E_clISt17integral_constantIbLb0EES1U_IbLb1EEEEDaS1Q_S1R_EUlS1Q_E_NS1_11comp_targetILNS1_3genE4ELNS1_11target_archE910ELNS1_3gpuE8ELNS1_3repE0EEENS1_30default_config_static_selectorELNS0_4arch9wavefront6targetE0EEEvS13_,comdat
.Lfunc_end2001:
	.size	_ZN7rocprim17ROCPRIM_400000_NS6detail17trampoline_kernelINS0_13select_configILj256ELj13ELNS0_17block_load_methodE3ELS4_3ELS4_3ELNS0_20block_scan_algorithmE0ELj4294967295EEENS1_25partition_config_selectorILNS1_17partition_subalgoE4EjNS0_10empty_typeEbEEZZNS1_14partition_implILS8_4ELb0ES6_15HIP_vector_typeIjLj2EENS0_17counting_iteratorIjlEEPS9_SG_NS0_5tupleIJPjSI_NS0_16reverse_iteratorISI_EEEEENSH_IJSG_SG_SG_EEES9_SI_JZNS1_25segmented_radix_sort_implINS0_14default_configELb0EPK12hip_bfloat16PSP_PKlPlN2at6native12_GLOBAL__N_18offset_tEEE10hipError_tPvRmT1_PNSt15iterator_traitsIS13_E10value_typeET2_T3_PNS14_IS19_E10value_typeET4_jRbjT5_S1F_jjP12ihipStream_tbEUljE_ZNSN_ISO_Lb0ESR_SS_SU_SV_SZ_EES10_S11_S12_S13_S17_S18_S19_S1C_S1D_jS1E_jS1F_S1F_jjS1H_bEUljE0_EEES10_S11_S12_S19_S1D_S1F_T6_T7_T9_mT8_S1H_bDpT10_ENKUlT_T0_E_clISt17integral_constantIbLb0EES1U_IbLb1EEEEDaS1Q_S1R_EUlS1Q_E_NS1_11comp_targetILNS1_3genE4ELNS1_11target_archE910ELNS1_3gpuE8ELNS1_3repE0EEENS1_30default_config_static_selectorELNS0_4arch9wavefront6targetE0EEEvS13_, .Lfunc_end2001-_ZN7rocprim17ROCPRIM_400000_NS6detail17trampoline_kernelINS0_13select_configILj256ELj13ELNS0_17block_load_methodE3ELS4_3ELS4_3ELNS0_20block_scan_algorithmE0ELj4294967295EEENS1_25partition_config_selectorILNS1_17partition_subalgoE4EjNS0_10empty_typeEbEEZZNS1_14partition_implILS8_4ELb0ES6_15HIP_vector_typeIjLj2EENS0_17counting_iteratorIjlEEPS9_SG_NS0_5tupleIJPjSI_NS0_16reverse_iteratorISI_EEEEENSH_IJSG_SG_SG_EEES9_SI_JZNS1_25segmented_radix_sort_implINS0_14default_configELb0EPK12hip_bfloat16PSP_PKlPlN2at6native12_GLOBAL__N_18offset_tEEE10hipError_tPvRmT1_PNSt15iterator_traitsIS13_E10value_typeET2_T3_PNS14_IS19_E10value_typeET4_jRbjT5_S1F_jjP12ihipStream_tbEUljE_ZNSN_ISO_Lb0ESR_SS_SU_SV_SZ_EES10_S11_S12_S13_S17_S18_S19_S1C_S1D_jS1E_jS1F_S1F_jjS1H_bEUljE0_EEES10_S11_S12_S19_S1D_S1F_T6_T7_T9_mT8_S1H_bDpT10_ENKUlT_T0_E_clISt17integral_constantIbLb0EES1U_IbLb1EEEEDaS1Q_S1R_EUlS1Q_E_NS1_11comp_targetILNS1_3genE4ELNS1_11target_archE910ELNS1_3gpuE8ELNS1_3repE0EEENS1_30default_config_static_selectorELNS0_4arch9wavefront6targetE0EEEvS13_
                                        ; -- End function
	.set _ZN7rocprim17ROCPRIM_400000_NS6detail17trampoline_kernelINS0_13select_configILj256ELj13ELNS0_17block_load_methodE3ELS4_3ELS4_3ELNS0_20block_scan_algorithmE0ELj4294967295EEENS1_25partition_config_selectorILNS1_17partition_subalgoE4EjNS0_10empty_typeEbEEZZNS1_14partition_implILS8_4ELb0ES6_15HIP_vector_typeIjLj2EENS0_17counting_iteratorIjlEEPS9_SG_NS0_5tupleIJPjSI_NS0_16reverse_iteratorISI_EEEEENSH_IJSG_SG_SG_EEES9_SI_JZNS1_25segmented_radix_sort_implINS0_14default_configELb0EPK12hip_bfloat16PSP_PKlPlN2at6native12_GLOBAL__N_18offset_tEEE10hipError_tPvRmT1_PNSt15iterator_traitsIS13_E10value_typeET2_T3_PNS14_IS19_E10value_typeET4_jRbjT5_S1F_jjP12ihipStream_tbEUljE_ZNSN_ISO_Lb0ESR_SS_SU_SV_SZ_EES10_S11_S12_S13_S17_S18_S19_S1C_S1D_jS1E_jS1F_S1F_jjS1H_bEUljE0_EEES10_S11_S12_S19_S1D_S1F_T6_T7_T9_mT8_S1H_bDpT10_ENKUlT_T0_E_clISt17integral_constantIbLb0EES1U_IbLb1EEEEDaS1Q_S1R_EUlS1Q_E_NS1_11comp_targetILNS1_3genE4ELNS1_11target_archE910ELNS1_3gpuE8ELNS1_3repE0EEENS1_30default_config_static_selectorELNS0_4arch9wavefront6targetE0EEEvS13_.num_vgpr, 0
	.set _ZN7rocprim17ROCPRIM_400000_NS6detail17trampoline_kernelINS0_13select_configILj256ELj13ELNS0_17block_load_methodE3ELS4_3ELS4_3ELNS0_20block_scan_algorithmE0ELj4294967295EEENS1_25partition_config_selectorILNS1_17partition_subalgoE4EjNS0_10empty_typeEbEEZZNS1_14partition_implILS8_4ELb0ES6_15HIP_vector_typeIjLj2EENS0_17counting_iteratorIjlEEPS9_SG_NS0_5tupleIJPjSI_NS0_16reverse_iteratorISI_EEEEENSH_IJSG_SG_SG_EEES9_SI_JZNS1_25segmented_radix_sort_implINS0_14default_configELb0EPK12hip_bfloat16PSP_PKlPlN2at6native12_GLOBAL__N_18offset_tEEE10hipError_tPvRmT1_PNSt15iterator_traitsIS13_E10value_typeET2_T3_PNS14_IS19_E10value_typeET4_jRbjT5_S1F_jjP12ihipStream_tbEUljE_ZNSN_ISO_Lb0ESR_SS_SU_SV_SZ_EES10_S11_S12_S13_S17_S18_S19_S1C_S1D_jS1E_jS1F_S1F_jjS1H_bEUljE0_EEES10_S11_S12_S19_S1D_S1F_T6_T7_T9_mT8_S1H_bDpT10_ENKUlT_T0_E_clISt17integral_constantIbLb0EES1U_IbLb1EEEEDaS1Q_S1R_EUlS1Q_E_NS1_11comp_targetILNS1_3genE4ELNS1_11target_archE910ELNS1_3gpuE8ELNS1_3repE0EEENS1_30default_config_static_selectorELNS0_4arch9wavefront6targetE0EEEvS13_.num_agpr, 0
	.set _ZN7rocprim17ROCPRIM_400000_NS6detail17trampoline_kernelINS0_13select_configILj256ELj13ELNS0_17block_load_methodE3ELS4_3ELS4_3ELNS0_20block_scan_algorithmE0ELj4294967295EEENS1_25partition_config_selectorILNS1_17partition_subalgoE4EjNS0_10empty_typeEbEEZZNS1_14partition_implILS8_4ELb0ES6_15HIP_vector_typeIjLj2EENS0_17counting_iteratorIjlEEPS9_SG_NS0_5tupleIJPjSI_NS0_16reverse_iteratorISI_EEEEENSH_IJSG_SG_SG_EEES9_SI_JZNS1_25segmented_radix_sort_implINS0_14default_configELb0EPK12hip_bfloat16PSP_PKlPlN2at6native12_GLOBAL__N_18offset_tEEE10hipError_tPvRmT1_PNSt15iterator_traitsIS13_E10value_typeET2_T3_PNS14_IS19_E10value_typeET4_jRbjT5_S1F_jjP12ihipStream_tbEUljE_ZNSN_ISO_Lb0ESR_SS_SU_SV_SZ_EES10_S11_S12_S13_S17_S18_S19_S1C_S1D_jS1E_jS1F_S1F_jjS1H_bEUljE0_EEES10_S11_S12_S19_S1D_S1F_T6_T7_T9_mT8_S1H_bDpT10_ENKUlT_T0_E_clISt17integral_constantIbLb0EES1U_IbLb1EEEEDaS1Q_S1R_EUlS1Q_E_NS1_11comp_targetILNS1_3genE4ELNS1_11target_archE910ELNS1_3gpuE8ELNS1_3repE0EEENS1_30default_config_static_selectorELNS0_4arch9wavefront6targetE0EEEvS13_.numbered_sgpr, 0
	.set _ZN7rocprim17ROCPRIM_400000_NS6detail17trampoline_kernelINS0_13select_configILj256ELj13ELNS0_17block_load_methodE3ELS4_3ELS4_3ELNS0_20block_scan_algorithmE0ELj4294967295EEENS1_25partition_config_selectorILNS1_17partition_subalgoE4EjNS0_10empty_typeEbEEZZNS1_14partition_implILS8_4ELb0ES6_15HIP_vector_typeIjLj2EENS0_17counting_iteratorIjlEEPS9_SG_NS0_5tupleIJPjSI_NS0_16reverse_iteratorISI_EEEEENSH_IJSG_SG_SG_EEES9_SI_JZNS1_25segmented_radix_sort_implINS0_14default_configELb0EPK12hip_bfloat16PSP_PKlPlN2at6native12_GLOBAL__N_18offset_tEEE10hipError_tPvRmT1_PNSt15iterator_traitsIS13_E10value_typeET2_T3_PNS14_IS19_E10value_typeET4_jRbjT5_S1F_jjP12ihipStream_tbEUljE_ZNSN_ISO_Lb0ESR_SS_SU_SV_SZ_EES10_S11_S12_S13_S17_S18_S19_S1C_S1D_jS1E_jS1F_S1F_jjS1H_bEUljE0_EEES10_S11_S12_S19_S1D_S1F_T6_T7_T9_mT8_S1H_bDpT10_ENKUlT_T0_E_clISt17integral_constantIbLb0EES1U_IbLb1EEEEDaS1Q_S1R_EUlS1Q_E_NS1_11comp_targetILNS1_3genE4ELNS1_11target_archE910ELNS1_3gpuE8ELNS1_3repE0EEENS1_30default_config_static_selectorELNS0_4arch9wavefront6targetE0EEEvS13_.num_named_barrier, 0
	.set _ZN7rocprim17ROCPRIM_400000_NS6detail17trampoline_kernelINS0_13select_configILj256ELj13ELNS0_17block_load_methodE3ELS4_3ELS4_3ELNS0_20block_scan_algorithmE0ELj4294967295EEENS1_25partition_config_selectorILNS1_17partition_subalgoE4EjNS0_10empty_typeEbEEZZNS1_14partition_implILS8_4ELb0ES6_15HIP_vector_typeIjLj2EENS0_17counting_iteratorIjlEEPS9_SG_NS0_5tupleIJPjSI_NS0_16reverse_iteratorISI_EEEEENSH_IJSG_SG_SG_EEES9_SI_JZNS1_25segmented_radix_sort_implINS0_14default_configELb0EPK12hip_bfloat16PSP_PKlPlN2at6native12_GLOBAL__N_18offset_tEEE10hipError_tPvRmT1_PNSt15iterator_traitsIS13_E10value_typeET2_T3_PNS14_IS19_E10value_typeET4_jRbjT5_S1F_jjP12ihipStream_tbEUljE_ZNSN_ISO_Lb0ESR_SS_SU_SV_SZ_EES10_S11_S12_S13_S17_S18_S19_S1C_S1D_jS1E_jS1F_S1F_jjS1H_bEUljE0_EEES10_S11_S12_S19_S1D_S1F_T6_T7_T9_mT8_S1H_bDpT10_ENKUlT_T0_E_clISt17integral_constantIbLb0EES1U_IbLb1EEEEDaS1Q_S1R_EUlS1Q_E_NS1_11comp_targetILNS1_3genE4ELNS1_11target_archE910ELNS1_3gpuE8ELNS1_3repE0EEENS1_30default_config_static_selectorELNS0_4arch9wavefront6targetE0EEEvS13_.private_seg_size, 0
	.set _ZN7rocprim17ROCPRIM_400000_NS6detail17trampoline_kernelINS0_13select_configILj256ELj13ELNS0_17block_load_methodE3ELS4_3ELS4_3ELNS0_20block_scan_algorithmE0ELj4294967295EEENS1_25partition_config_selectorILNS1_17partition_subalgoE4EjNS0_10empty_typeEbEEZZNS1_14partition_implILS8_4ELb0ES6_15HIP_vector_typeIjLj2EENS0_17counting_iteratorIjlEEPS9_SG_NS0_5tupleIJPjSI_NS0_16reverse_iteratorISI_EEEEENSH_IJSG_SG_SG_EEES9_SI_JZNS1_25segmented_radix_sort_implINS0_14default_configELb0EPK12hip_bfloat16PSP_PKlPlN2at6native12_GLOBAL__N_18offset_tEEE10hipError_tPvRmT1_PNSt15iterator_traitsIS13_E10value_typeET2_T3_PNS14_IS19_E10value_typeET4_jRbjT5_S1F_jjP12ihipStream_tbEUljE_ZNSN_ISO_Lb0ESR_SS_SU_SV_SZ_EES10_S11_S12_S13_S17_S18_S19_S1C_S1D_jS1E_jS1F_S1F_jjS1H_bEUljE0_EEES10_S11_S12_S19_S1D_S1F_T6_T7_T9_mT8_S1H_bDpT10_ENKUlT_T0_E_clISt17integral_constantIbLb0EES1U_IbLb1EEEEDaS1Q_S1R_EUlS1Q_E_NS1_11comp_targetILNS1_3genE4ELNS1_11target_archE910ELNS1_3gpuE8ELNS1_3repE0EEENS1_30default_config_static_selectorELNS0_4arch9wavefront6targetE0EEEvS13_.uses_vcc, 0
	.set _ZN7rocprim17ROCPRIM_400000_NS6detail17trampoline_kernelINS0_13select_configILj256ELj13ELNS0_17block_load_methodE3ELS4_3ELS4_3ELNS0_20block_scan_algorithmE0ELj4294967295EEENS1_25partition_config_selectorILNS1_17partition_subalgoE4EjNS0_10empty_typeEbEEZZNS1_14partition_implILS8_4ELb0ES6_15HIP_vector_typeIjLj2EENS0_17counting_iteratorIjlEEPS9_SG_NS0_5tupleIJPjSI_NS0_16reverse_iteratorISI_EEEEENSH_IJSG_SG_SG_EEES9_SI_JZNS1_25segmented_radix_sort_implINS0_14default_configELb0EPK12hip_bfloat16PSP_PKlPlN2at6native12_GLOBAL__N_18offset_tEEE10hipError_tPvRmT1_PNSt15iterator_traitsIS13_E10value_typeET2_T3_PNS14_IS19_E10value_typeET4_jRbjT5_S1F_jjP12ihipStream_tbEUljE_ZNSN_ISO_Lb0ESR_SS_SU_SV_SZ_EES10_S11_S12_S13_S17_S18_S19_S1C_S1D_jS1E_jS1F_S1F_jjS1H_bEUljE0_EEES10_S11_S12_S19_S1D_S1F_T6_T7_T9_mT8_S1H_bDpT10_ENKUlT_T0_E_clISt17integral_constantIbLb0EES1U_IbLb1EEEEDaS1Q_S1R_EUlS1Q_E_NS1_11comp_targetILNS1_3genE4ELNS1_11target_archE910ELNS1_3gpuE8ELNS1_3repE0EEENS1_30default_config_static_selectorELNS0_4arch9wavefront6targetE0EEEvS13_.uses_flat_scratch, 0
	.set _ZN7rocprim17ROCPRIM_400000_NS6detail17trampoline_kernelINS0_13select_configILj256ELj13ELNS0_17block_load_methodE3ELS4_3ELS4_3ELNS0_20block_scan_algorithmE0ELj4294967295EEENS1_25partition_config_selectorILNS1_17partition_subalgoE4EjNS0_10empty_typeEbEEZZNS1_14partition_implILS8_4ELb0ES6_15HIP_vector_typeIjLj2EENS0_17counting_iteratorIjlEEPS9_SG_NS0_5tupleIJPjSI_NS0_16reverse_iteratorISI_EEEEENSH_IJSG_SG_SG_EEES9_SI_JZNS1_25segmented_radix_sort_implINS0_14default_configELb0EPK12hip_bfloat16PSP_PKlPlN2at6native12_GLOBAL__N_18offset_tEEE10hipError_tPvRmT1_PNSt15iterator_traitsIS13_E10value_typeET2_T3_PNS14_IS19_E10value_typeET4_jRbjT5_S1F_jjP12ihipStream_tbEUljE_ZNSN_ISO_Lb0ESR_SS_SU_SV_SZ_EES10_S11_S12_S13_S17_S18_S19_S1C_S1D_jS1E_jS1F_S1F_jjS1H_bEUljE0_EEES10_S11_S12_S19_S1D_S1F_T6_T7_T9_mT8_S1H_bDpT10_ENKUlT_T0_E_clISt17integral_constantIbLb0EES1U_IbLb1EEEEDaS1Q_S1R_EUlS1Q_E_NS1_11comp_targetILNS1_3genE4ELNS1_11target_archE910ELNS1_3gpuE8ELNS1_3repE0EEENS1_30default_config_static_selectorELNS0_4arch9wavefront6targetE0EEEvS13_.has_dyn_sized_stack, 0
	.set _ZN7rocprim17ROCPRIM_400000_NS6detail17trampoline_kernelINS0_13select_configILj256ELj13ELNS0_17block_load_methodE3ELS4_3ELS4_3ELNS0_20block_scan_algorithmE0ELj4294967295EEENS1_25partition_config_selectorILNS1_17partition_subalgoE4EjNS0_10empty_typeEbEEZZNS1_14partition_implILS8_4ELb0ES6_15HIP_vector_typeIjLj2EENS0_17counting_iteratorIjlEEPS9_SG_NS0_5tupleIJPjSI_NS0_16reverse_iteratorISI_EEEEENSH_IJSG_SG_SG_EEES9_SI_JZNS1_25segmented_radix_sort_implINS0_14default_configELb0EPK12hip_bfloat16PSP_PKlPlN2at6native12_GLOBAL__N_18offset_tEEE10hipError_tPvRmT1_PNSt15iterator_traitsIS13_E10value_typeET2_T3_PNS14_IS19_E10value_typeET4_jRbjT5_S1F_jjP12ihipStream_tbEUljE_ZNSN_ISO_Lb0ESR_SS_SU_SV_SZ_EES10_S11_S12_S13_S17_S18_S19_S1C_S1D_jS1E_jS1F_S1F_jjS1H_bEUljE0_EEES10_S11_S12_S19_S1D_S1F_T6_T7_T9_mT8_S1H_bDpT10_ENKUlT_T0_E_clISt17integral_constantIbLb0EES1U_IbLb1EEEEDaS1Q_S1R_EUlS1Q_E_NS1_11comp_targetILNS1_3genE4ELNS1_11target_archE910ELNS1_3gpuE8ELNS1_3repE0EEENS1_30default_config_static_selectorELNS0_4arch9wavefront6targetE0EEEvS13_.has_recursion, 0
	.set _ZN7rocprim17ROCPRIM_400000_NS6detail17trampoline_kernelINS0_13select_configILj256ELj13ELNS0_17block_load_methodE3ELS4_3ELS4_3ELNS0_20block_scan_algorithmE0ELj4294967295EEENS1_25partition_config_selectorILNS1_17partition_subalgoE4EjNS0_10empty_typeEbEEZZNS1_14partition_implILS8_4ELb0ES6_15HIP_vector_typeIjLj2EENS0_17counting_iteratorIjlEEPS9_SG_NS0_5tupleIJPjSI_NS0_16reverse_iteratorISI_EEEEENSH_IJSG_SG_SG_EEES9_SI_JZNS1_25segmented_radix_sort_implINS0_14default_configELb0EPK12hip_bfloat16PSP_PKlPlN2at6native12_GLOBAL__N_18offset_tEEE10hipError_tPvRmT1_PNSt15iterator_traitsIS13_E10value_typeET2_T3_PNS14_IS19_E10value_typeET4_jRbjT5_S1F_jjP12ihipStream_tbEUljE_ZNSN_ISO_Lb0ESR_SS_SU_SV_SZ_EES10_S11_S12_S13_S17_S18_S19_S1C_S1D_jS1E_jS1F_S1F_jjS1H_bEUljE0_EEES10_S11_S12_S19_S1D_S1F_T6_T7_T9_mT8_S1H_bDpT10_ENKUlT_T0_E_clISt17integral_constantIbLb0EES1U_IbLb1EEEEDaS1Q_S1R_EUlS1Q_E_NS1_11comp_targetILNS1_3genE4ELNS1_11target_archE910ELNS1_3gpuE8ELNS1_3repE0EEENS1_30default_config_static_selectorELNS0_4arch9wavefront6targetE0EEEvS13_.has_indirect_call, 0
	.section	.AMDGPU.csdata,"",@progbits
; Kernel info:
; codeLenInByte = 0
; TotalNumSgprs: 0
; NumVgprs: 0
; ScratchSize: 0
; MemoryBound: 0
; FloatMode: 240
; IeeeMode: 1
; LDSByteSize: 0 bytes/workgroup (compile time only)
; SGPRBlocks: 0
; VGPRBlocks: 0
; NumSGPRsForWavesPerEU: 1
; NumVGPRsForWavesPerEU: 1
; NamedBarCnt: 0
; Occupancy: 16
; WaveLimiterHint : 0
; COMPUTE_PGM_RSRC2:SCRATCH_EN: 0
; COMPUTE_PGM_RSRC2:USER_SGPR: 2
; COMPUTE_PGM_RSRC2:TRAP_HANDLER: 0
; COMPUTE_PGM_RSRC2:TGID_X_EN: 1
; COMPUTE_PGM_RSRC2:TGID_Y_EN: 0
; COMPUTE_PGM_RSRC2:TGID_Z_EN: 0
; COMPUTE_PGM_RSRC2:TIDIG_COMP_CNT: 0
	.section	.text._ZN7rocprim17ROCPRIM_400000_NS6detail17trampoline_kernelINS0_13select_configILj256ELj13ELNS0_17block_load_methodE3ELS4_3ELS4_3ELNS0_20block_scan_algorithmE0ELj4294967295EEENS1_25partition_config_selectorILNS1_17partition_subalgoE4EjNS0_10empty_typeEbEEZZNS1_14partition_implILS8_4ELb0ES6_15HIP_vector_typeIjLj2EENS0_17counting_iteratorIjlEEPS9_SG_NS0_5tupleIJPjSI_NS0_16reverse_iteratorISI_EEEEENSH_IJSG_SG_SG_EEES9_SI_JZNS1_25segmented_radix_sort_implINS0_14default_configELb0EPK12hip_bfloat16PSP_PKlPlN2at6native12_GLOBAL__N_18offset_tEEE10hipError_tPvRmT1_PNSt15iterator_traitsIS13_E10value_typeET2_T3_PNS14_IS19_E10value_typeET4_jRbjT5_S1F_jjP12ihipStream_tbEUljE_ZNSN_ISO_Lb0ESR_SS_SU_SV_SZ_EES10_S11_S12_S13_S17_S18_S19_S1C_S1D_jS1E_jS1F_S1F_jjS1H_bEUljE0_EEES10_S11_S12_S19_S1D_S1F_T6_T7_T9_mT8_S1H_bDpT10_ENKUlT_T0_E_clISt17integral_constantIbLb0EES1U_IbLb1EEEEDaS1Q_S1R_EUlS1Q_E_NS1_11comp_targetILNS1_3genE3ELNS1_11target_archE908ELNS1_3gpuE7ELNS1_3repE0EEENS1_30default_config_static_selectorELNS0_4arch9wavefront6targetE0EEEvS13_,"axG",@progbits,_ZN7rocprim17ROCPRIM_400000_NS6detail17trampoline_kernelINS0_13select_configILj256ELj13ELNS0_17block_load_methodE3ELS4_3ELS4_3ELNS0_20block_scan_algorithmE0ELj4294967295EEENS1_25partition_config_selectorILNS1_17partition_subalgoE4EjNS0_10empty_typeEbEEZZNS1_14partition_implILS8_4ELb0ES6_15HIP_vector_typeIjLj2EENS0_17counting_iteratorIjlEEPS9_SG_NS0_5tupleIJPjSI_NS0_16reverse_iteratorISI_EEEEENSH_IJSG_SG_SG_EEES9_SI_JZNS1_25segmented_radix_sort_implINS0_14default_configELb0EPK12hip_bfloat16PSP_PKlPlN2at6native12_GLOBAL__N_18offset_tEEE10hipError_tPvRmT1_PNSt15iterator_traitsIS13_E10value_typeET2_T3_PNS14_IS19_E10value_typeET4_jRbjT5_S1F_jjP12ihipStream_tbEUljE_ZNSN_ISO_Lb0ESR_SS_SU_SV_SZ_EES10_S11_S12_S13_S17_S18_S19_S1C_S1D_jS1E_jS1F_S1F_jjS1H_bEUljE0_EEES10_S11_S12_S19_S1D_S1F_T6_T7_T9_mT8_S1H_bDpT10_ENKUlT_T0_E_clISt17integral_constantIbLb0EES1U_IbLb1EEEEDaS1Q_S1R_EUlS1Q_E_NS1_11comp_targetILNS1_3genE3ELNS1_11target_archE908ELNS1_3gpuE7ELNS1_3repE0EEENS1_30default_config_static_selectorELNS0_4arch9wavefront6targetE0EEEvS13_,comdat
	.globl	_ZN7rocprim17ROCPRIM_400000_NS6detail17trampoline_kernelINS0_13select_configILj256ELj13ELNS0_17block_load_methodE3ELS4_3ELS4_3ELNS0_20block_scan_algorithmE0ELj4294967295EEENS1_25partition_config_selectorILNS1_17partition_subalgoE4EjNS0_10empty_typeEbEEZZNS1_14partition_implILS8_4ELb0ES6_15HIP_vector_typeIjLj2EENS0_17counting_iteratorIjlEEPS9_SG_NS0_5tupleIJPjSI_NS0_16reverse_iteratorISI_EEEEENSH_IJSG_SG_SG_EEES9_SI_JZNS1_25segmented_radix_sort_implINS0_14default_configELb0EPK12hip_bfloat16PSP_PKlPlN2at6native12_GLOBAL__N_18offset_tEEE10hipError_tPvRmT1_PNSt15iterator_traitsIS13_E10value_typeET2_T3_PNS14_IS19_E10value_typeET4_jRbjT5_S1F_jjP12ihipStream_tbEUljE_ZNSN_ISO_Lb0ESR_SS_SU_SV_SZ_EES10_S11_S12_S13_S17_S18_S19_S1C_S1D_jS1E_jS1F_S1F_jjS1H_bEUljE0_EEES10_S11_S12_S19_S1D_S1F_T6_T7_T9_mT8_S1H_bDpT10_ENKUlT_T0_E_clISt17integral_constantIbLb0EES1U_IbLb1EEEEDaS1Q_S1R_EUlS1Q_E_NS1_11comp_targetILNS1_3genE3ELNS1_11target_archE908ELNS1_3gpuE7ELNS1_3repE0EEENS1_30default_config_static_selectorELNS0_4arch9wavefront6targetE0EEEvS13_ ; -- Begin function _ZN7rocprim17ROCPRIM_400000_NS6detail17trampoline_kernelINS0_13select_configILj256ELj13ELNS0_17block_load_methodE3ELS4_3ELS4_3ELNS0_20block_scan_algorithmE0ELj4294967295EEENS1_25partition_config_selectorILNS1_17partition_subalgoE4EjNS0_10empty_typeEbEEZZNS1_14partition_implILS8_4ELb0ES6_15HIP_vector_typeIjLj2EENS0_17counting_iteratorIjlEEPS9_SG_NS0_5tupleIJPjSI_NS0_16reverse_iteratorISI_EEEEENSH_IJSG_SG_SG_EEES9_SI_JZNS1_25segmented_radix_sort_implINS0_14default_configELb0EPK12hip_bfloat16PSP_PKlPlN2at6native12_GLOBAL__N_18offset_tEEE10hipError_tPvRmT1_PNSt15iterator_traitsIS13_E10value_typeET2_T3_PNS14_IS19_E10value_typeET4_jRbjT5_S1F_jjP12ihipStream_tbEUljE_ZNSN_ISO_Lb0ESR_SS_SU_SV_SZ_EES10_S11_S12_S13_S17_S18_S19_S1C_S1D_jS1E_jS1F_S1F_jjS1H_bEUljE0_EEES10_S11_S12_S19_S1D_S1F_T6_T7_T9_mT8_S1H_bDpT10_ENKUlT_T0_E_clISt17integral_constantIbLb0EES1U_IbLb1EEEEDaS1Q_S1R_EUlS1Q_E_NS1_11comp_targetILNS1_3genE3ELNS1_11target_archE908ELNS1_3gpuE7ELNS1_3repE0EEENS1_30default_config_static_selectorELNS0_4arch9wavefront6targetE0EEEvS13_
	.p2align	8
	.type	_ZN7rocprim17ROCPRIM_400000_NS6detail17trampoline_kernelINS0_13select_configILj256ELj13ELNS0_17block_load_methodE3ELS4_3ELS4_3ELNS0_20block_scan_algorithmE0ELj4294967295EEENS1_25partition_config_selectorILNS1_17partition_subalgoE4EjNS0_10empty_typeEbEEZZNS1_14partition_implILS8_4ELb0ES6_15HIP_vector_typeIjLj2EENS0_17counting_iteratorIjlEEPS9_SG_NS0_5tupleIJPjSI_NS0_16reverse_iteratorISI_EEEEENSH_IJSG_SG_SG_EEES9_SI_JZNS1_25segmented_radix_sort_implINS0_14default_configELb0EPK12hip_bfloat16PSP_PKlPlN2at6native12_GLOBAL__N_18offset_tEEE10hipError_tPvRmT1_PNSt15iterator_traitsIS13_E10value_typeET2_T3_PNS14_IS19_E10value_typeET4_jRbjT5_S1F_jjP12ihipStream_tbEUljE_ZNSN_ISO_Lb0ESR_SS_SU_SV_SZ_EES10_S11_S12_S13_S17_S18_S19_S1C_S1D_jS1E_jS1F_S1F_jjS1H_bEUljE0_EEES10_S11_S12_S19_S1D_S1F_T6_T7_T9_mT8_S1H_bDpT10_ENKUlT_T0_E_clISt17integral_constantIbLb0EES1U_IbLb1EEEEDaS1Q_S1R_EUlS1Q_E_NS1_11comp_targetILNS1_3genE3ELNS1_11target_archE908ELNS1_3gpuE7ELNS1_3repE0EEENS1_30default_config_static_selectorELNS0_4arch9wavefront6targetE0EEEvS13_,@function
_ZN7rocprim17ROCPRIM_400000_NS6detail17trampoline_kernelINS0_13select_configILj256ELj13ELNS0_17block_load_methodE3ELS4_3ELS4_3ELNS0_20block_scan_algorithmE0ELj4294967295EEENS1_25partition_config_selectorILNS1_17partition_subalgoE4EjNS0_10empty_typeEbEEZZNS1_14partition_implILS8_4ELb0ES6_15HIP_vector_typeIjLj2EENS0_17counting_iteratorIjlEEPS9_SG_NS0_5tupleIJPjSI_NS0_16reverse_iteratorISI_EEEEENSH_IJSG_SG_SG_EEES9_SI_JZNS1_25segmented_radix_sort_implINS0_14default_configELb0EPK12hip_bfloat16PSP_PKlPlN2at6native12_GLOBAL__N_18offset_tEEE10hipError_tPvRmT1_PNSt15iterator_traitsIS13_E10value_typeET2_T3_PNS14_IS19_E10value_typeET4_jRbjT5_S1F_jjP12ihipStream_tbEUljE_ZNSN_ISO_Lb0ESR_SS_SU_SV_SZ_EES10_S11_S12_S13_S17_S18_S19_S1C_S1D_jS1E_jS1F_S1F_jjS1H_bEUljE0_EEES10_S11_S12_S19_S1D_S1F_T6_T7_T9_mT8_S1H_bDpT10_ENKUlT_T0_E_clISt17integral_constantIbLb0EES1U_IbLb1EEEEDaS1Q_S1R_EUlS1Q_E_NS1_11comp_targetILNS1_3genE3ELNS1_11target_archE908ELNS1_3gpuE7ELNS1_3repE0EEENS1_30default_config_static_selectorELNS0_4arch9wavefront6targetE0EEEvS13_: ; @_ZN7rocprim17ROCPRIM_400000_NS6detail17trampoline_kernelINS0_13select_configILj256ELj13ELNS0_17block_load_methodE3ELS4_3ELS4_3ELNS0_20block_scan_algorithmE0ELj4294967295EEENS1_25partition_config_selectorILNS1_17partition_subalgoE4EjNS0_10empty_typeEbEEZZNS1_14partition_implILS8_4ELb0ES6_15HIP_vector_typeIjLj2EENS0_17counting_iteratorIjlEEPS9_SG_NS0_5tupleIJPjSI_NS0_16reverse_iteratorISI_EEEEENSH_IJSG_SG_SG_EEES9_SI_JZNS1_25segmented_radix_sort_implINS0_14default_configELb0EPK12hip_bfloat16PSP_PKlPlN2at6native12_GLOBAL__N_18offset_tEEE10hipError_tPvRmT1_PNSt15iterator_traitsIS13_E10value_typeET2_T3_PNS14_IS19_E10value_typeET4_jRbjT5_S1F_jjP12ihipStream_tbEUljE_ZNSN_ISO_Lb0ESR_SS_SU_SV_SZ_EES10_S11_S12_S13_S17_S18_S19_S1C_S1D_jS1E_jS1F_S1F_jjS1H_bEUljE0_EEES10_S11_S12_S19_S1D_S1F_T6_T7_T9_mT8_S1H_bDpT10_ENKUlT_T0_E_clISt17integral_constantIbLb0EES1U_IbLb1EEEEDaS1Q_S1R_EUlS1Q_E_NS1_11comp_targetILNS1_3genE3ELNS1_11target_archE908ELNS1_3gpuE7ELNS1_3repE0EEENS1_30default_config_static_selectorELNS0_4arch9wavefront6targetE0EEEvS13_
; %bb.0:
	.section	.rodata,"a",@progbits
	.p2align	6, 0x0
	.amdhsa_kernel _ZN7rocprim17ROCPRIM_400000_NS6detail17trampoline_kernelINS0_13select_configILj256ELj13ELNS0_17block_load_methodE3ELS4_3ELS4_3ELNS0_20block_scan_algorithmE0ELj4294967295EEENS1_25partition_config_selectorILNS1_17partition_subalgoE4EjNS0_10empty_typeEbEEZZNS1_14partition_implILS8_4ELb0ES6_15HIP_vector_typeIjLj2EENS0_17counting_iteratorIjlEEPS9_SG_NS0_5tupleIJPjSI_NS0_16reverse_iteratorISI_EEEEENSH_IJSG_SG_SG_EEES9_SI_JZNS1_25segmented_radix_sort_implINS0_14default_configELb0EPK12hip_bfloat16PSP_PKlPlN2at6native12_GLOBAL__N_18offset_tEEE10hipError_tPvRmT1_PNSt15iterator_traitsIS13_E10value_typeET2_T3_PNS14_IS19_E10value_typeET4_jRbjT5_S1F_jjP12ihipStream_tbEUljE_ZNSN_ISO_Lb0ESR_SS_SU_SV_SZ_EES10_S11_S12_S13_S17_S18_S19_S1C_S1D_jS1E_jS1F_S1F_jjS1H_bEUljE0_EEES10_S11_S12_S19_S1D_S1F_T6_T7_T9_mT8_S1H_bDpT10_ENKUlT_T0_E_clISt17integral_constantIbLb0EES1U_IbLb1EEEEDaS1Q_S1R_EUlS1Q_E_NS1_11comp_targetILNS1_3genE3ELNS1_11target_archE908ELNS1_3gpuE7ELNS1_3repE0EEENS1_30default_config_static_selectorELNS0_4arch9wavefront6targetE0EEEvS13_
		.amdhsa_group_segment_fixed_size 0
		.amdhsa_private_segment_fixed_size 0
		.amdhsa_kernarg_size 184
		.amdhsa_user_sgpr_count 2
		.amdhsa_user_sgpr_dispatch_ptr 0
		.amdhsa_user_sgpr_queue_ptr 0
		.amdhsa_user_sgpr_kernarg_segment_ptr 1
		.amdhsa_user_sgpr_dispatch_id 0
		.amdhsa_user_sgpr_kernarg_preload_length 0
		.amdhsa_user_sgpr_kernarg_preload_offset 0
		.amdhsa_user_sgpr_private_segment_size 0
		.amdhsa_wavefront_size32 1
		.amdhsa_uses_dynamic_stack 0
		.amdhsa_enable_private_segment 0
		.amdhsa_system_sgpr_workgroup_id_x 1
		.amdhsa_system_sgpr_workgroup_id_y 0
		.amdhsa_system_sgpr_workgroup_id_z 0
		.amdhsa_system_sgpr_workgroup_info 0
		.amdhsa_system_vgpr_workitem_id 0
		.amdhsa_next_free_vgpr 1
		.amdhsa_next_free_sgpr 1
		.amdhsa_named_barrier_count 0
		.amdhsa_reserve_vcc 0
		.amdhsa_float_round_mode_32 0
		.amdhsa_float_round_mode_16_64 0
		.amdhsa_float_denorm_mode_32 3
		.amdhsa_float_denorm_mode_16_64 3
		.amdhsa_fp16_overflow 0
		.amdhsa_memory_ordered 1
		.amdhsa_forward_progress 1
		.amdhsa_inst_pref_size 0
		.amdhsa_round_robin_scheduling 0
		.amdhsa_exception_fp_ieee_invalid_op 0
		.amdhsa_exception_fp_denorm_src 0
		.amdhsa_exception_fp_ieee_div_zero 0
		.amdhsa_exception_fp_ieee_overflow 0
		.amdhsa_exception_fp_ieee_underflow 0
		.amdhsa_exception_fp_ieee_inexact 0
		.amdhsa_exception_int_div_zero 0
	.end_amdhsa_kernel
	.section	.text._ZN7rocprim17ROCPRIM_400000_NS6detail17trampoline_kernelINS0_13select_configILj256ELj13ELNS0_17block_load_methodE3ELS4_3ELS4_3ELNS0_20block_scan_algorithmE0ELj4294967295EEENS1_25partition_config_selectorILNS1_17partition_subalgoE4EjNS0_10empty_typeEbEEZZNS1_14partition_implILS8_4ELb0ES6_15HIP_vector_typeIjLj2EENS0_17counting_iteratorIjlEEPS9_SG_NS0_5tupleIJPjSI_NS0_16reverse_iteratorISI_EEEEENSH_IJSG_SG_SG_EEES9_SI_JZNS1_25segmented_radix_sort_implINS0_14default_configELb0EPK12hip_bfloat16PSP_PKlPlN2at6native12_GLOBAL__N_18offset_tEEE10hipError_tPvRmT1_PNSt15iterator_traitsIS13_E10value_typeET2_T3_PNS14_IS19_E10value_typeET4_jRbjT5_S1F_jjP12ihipStream_tbEUljE_ZNSN_ISO_Lb0ESR_SS_SU_SV_SZ_EES10_S11_S12_S13_S17_S18_S19_S1C_S1D_jS1E_jS1F_S1F_jjS1H_bEUljE0_EEES10_S11_S12_S19_S1D_S1F_T6_T7_T9_mT8_S1H_bDpT10_ENKUlT_T0_E_clISt17integral_constantIbLb0EES1U_IbLb1EEEEDaS1Q_S1R_EUlS1Q_E_NS1_11comp_targetILNS1_3genE3ELNS1_11target_archE908ELNS1_3gpuE7ELNS1_3repE0EEENS1_30default_config_static_selectorELNS0_4arch9wavefront6targetE0EEEvS13_,"axG",@progbits,_ZN7rocprim17ROCPRIM_400000_NS6detail17trampoline_kernelINS0_13select_configILj256ELj13ELNS0_17block_load_methodE3ELS4_3ELS4_3ELNS0_20block_scan_algorithmE0ELj4294967295EEENS1_25partition_config_selectorILNS1_17partition_subalgoE4EjNS0_10empty_typeEbEEZZNS1_14partition_implILS8_4ELb0ES6_15HIP_vector_typeIjLj2EENS0_17counting_iteratorIjlEEPS9_SG_NS0_5tupleIJPjSI_NS0_16reverse_iteratorISI_EEEEENSH_IJSG_SG_SG_EEES9_SI_JZNS1_25segmented_radix_sort_implINS0_14default_configELb0EPK12hip_bfloat16PSP_PKlPlN2at6native12_GLOBAL__N_18offset_tEEE10hipError_tPvRmT1_PNSt15iterator_traitsIS13_E10value_typeET2_T3_PNS14_IS19_E10value_typeET4_jRbjT5_S1F_jjP12ihipStream_tbEUljE_ZNSN_ISO_Lb0ESR_SS_SU_SV_SZ_EES10_S11_S12_S13_S17_S18_S19_S1C_S1D_jS1E_jS1F_S1F_jjS1H_bEUljE0_EEES10_S11_S12_S19_S1D_S1F_T6_T7_T9_mT8_S1H_bDpT10_ENKUlT_T0_E_clISt17integral_constantIbLb0EES1U_IbLb1EEEEDaS1Q_S1R_EUlS1Q_E_NS1_11comp_targetILNS1_3genE3ELNS1_11target_archE908ELNS1_3gpuE7ELNS1_3repE0EEENS1_30default_config_static_selectorELNS0_4arch9wavefront6targetE0EEEvS13_,comdat
.Lfunc_end2002:
	.size	_ZN7rocprim17ROCPRIM_400000_NS6detail17trampoline_kernelINS0_13select_configILj256ELj13ELNS0_17block_load_methodE3ELS4_3ELS4_3ELNS0_20block_scan_algorithmE0ELj4294967295EEENS1_25partition_config_selectorILNS1_17partition_subalgoE4EjNS0_10empty_typeEbEEZZNS1_14partition_implILS8_4ELb0ES6_15HIP_vector_typeIjLj2EENS0_17counting_iteratorIjlEEPS9_SG_NS0_5tupleIJPjSI_NS0_16reverse_iteratorISI_EEEEENSH_IJSG_SG_SG_EEES9_SI_JZNS1_25segmented_radix_sort_implINS0_14default_configELb0EPK12hip_bfloat16PSP_PKlPlN2at6native12_GLOBAL__N_18offset_tEEE10hipError_tPvRmT1_PNSt15iterator_traitsIS13_E10value_typeET2_T3_PNS14_IS19_E10value_typeET4_jRbjT5_S1F_jjP12ihipStream_tbEUljE_ZNSN_ISO_Lb0ESR_SS_SU_SV_SZ_EES10_S11_S12_S13_S17_S18_S19_S1C_S1D_jS1E_jS1F_S1F_jjS1H_bEUljE0_EEES10_S11_S12_S19_S1D_S1F_T6_T7_T9_mT8_S1H_bDpT10_ENKUlT_T0_E_clISt17integral_constantIbLb0EES1U_IbLb1EEEEDaS1Q_S1R_EUlS1Q_E_NS1_11comp_targetILNS1_3genE3ELNS1_11target_archE908ELNS1_3gpuE7ELNS1_3repE0EEENS1_30default_config_static_selectorELNS0_4arch9wavefront6targetE0EEEvS13_, .Lfunc_end2002-_ZN7rocprim17ROCPRIM_400000_NS6detail17trampoline_kernelINS0_13select_configILj256ELj13ELNS0_17block_load_methodE3ELS4_3ELS4_3ELNS0_20block_scan_algorithmE0ELj4294967295EEENS1_25partition_config_selectorILNS1_17partition_subalgoE4EjNS0_10empty_typeEbEEZZNS1_14partition_implILS8_4ELb0ES6_15HIP_vector_typeIjLj2EENS0_17counting_iteratorIjlEEPS9_SG_NS0_5tupleIJPjSI_NS0_16reverse_iteratorISI_EEEEENSH_IJSG_SG_SG_EEES9_SI_JZNS1_25segmented_radix_sort_implINS0_14default_configELb0EPK12hip_bfloat16PSP_PKlPlN2at6native12_GLOBAL__N_18offset_tEEE10hipError_tPvRmT1_PNSt15iterator_traitsIS13_E10value_typeET2_T3_PNS14_IS19_E10value_typeET4_jRbjT5_S1F_jjP12ihipStream_tbEUljE_ZNSN_ISO_Lb0ESR_SS_SU_SV_SZ_EES10_S11_S12_S13_S17_S18_S19_S1C_S1D_jS1E_jS1F_S1F_jjS1H_bEUljE0_EEES10_S11_S12_S19_S1D_S1F_T6_T7_T9_mT8_S1H_bDpT10_ENKUlT_T0_E_clISt17integral_constantIbLb0EES1U_IbLb1EEEEDaS1Q_S1R_EUlS1Q_E_NS1_11comp_targetILNS1_3genE3ELNS1_11target_archE908ELNS1_3gpuE7ELNS1_3repE0EEENS1_30default_config_static_selectorELNS0_4arch9wavefront6targetE0EEEvS13_
                                        ; -- End function
	.set _ZN7rocprim17ROCPRIM_400000_NS6detail17trampoline_kernelINS0_13select_configILj256ELj13ELNS0_17block_load_methodE3ELS4_3ELS4_3ELNS0_20block_scan_algorithmE0ELj4294967295EEENS1_25partition_config_selectorILNS1_17partition_subalgoE4EjNS0_10empty_typeEbEEZZNS1_14partition_implILS8_4ELb0ES6_15HIP_vector_typeIjLj2EENS0_17counting_iteratorIjlEEPS9_SG_NS0_5tupleIJPjSI_NS0_16reverse_iteratorISI_EEEEENSH_IJSG_SG_SG_EEES9_SI_JZNS1_25segmented_radix_sort_implINS0_14default_configELb0EPK12hip_bfloat16PSP_PKlPlN2at6native12_GLOBAL__N_18offset_tEEE10hipError_tPvRmT1_PNSt15iterator_traitsIS13_E10value_typeET2_T3_PNS14_IS19_E10value_typeET4_jRbjT5_S1F_jjP12ihipStream_tbEUljE_ZNSN_ISO_Lb0ESR_SS_SU_SV_SZ_EES10_S11_S12_S13_S17_S18_S19_S1C_S1D_jS1E_jS1F_S1F_jjS1H_bEUljE0_EEES10_S11_S12_S19_S1D_S1F_T6_T7_T9_mT8_S1H_bDpT10_ENKUlT_T0_E_clISt17integral_constantIbLb0EES1U_IbLb1EEEEDaS1Q_S1R_EUlS1Q_E_NS1_11comp_targetILNS1_3genE3ELNS1_11target_archE908ELNS1_3gpuE7ELNS1_3repE0EEENS1_30default_config_static_selectorELNS0_4arch9wavefront6targetE0EEEvS13_.num_vgpr, 0
	.set _ZN7rocprim17ROCPRIM_400000_NS6detail17trampoline_kernelINS0_13select_configILj256ELj13ELNS0_17block_load_methodE3ELS4_3ELS4_3ELNS0_20block_scan_algorithmE0ELj4294967295EEENS1_25partition_config_selectorILNS1_17partition_subalgoE4EjNS0_10empty_typeEbEEZZNS1_14partition_implILS8_4ELb0ES6_15HIP_vector_typeIjLj2EENS0_17counting_iteratorIjlEEPS9_SG_NS0_5tupleIJPjSI_NS0_16reverse_iteratorISI_EEEEENSH_IJSG_SG_SG_EEES9_SI_JZNS1_25segmented_radix_sort_implINS0_14default_configELb0EPK12hip_bfloat16PSP_PKlPlN2at6native12_GLOBAL__N_18offset_tEEE10hipError_tPvRmT1_PNSt15iterator_traitsIS13_E10value_typeET2_T3_PNS14_IS19_E10value_typeET4_jRbjT5_S1F_jjP12ihipStream_tbEUljE_ZNSN_ISO_Lb0ESR_SS_SU_SV_SZ_EES10_S11_S12_S13_S17_S18_S19_S1C_S1D_jS1E_jS1F_S1F_jjS1H_bEUljE0_EEES10_S11_S12_S19_S1D_S1F_T6_T7_T9_mT8_S1H_bDpT10_ENKUlT_T0_E_clISt17integral_constantIbLb0EES1U_IbLb1EEEEDaS1Q_S1R_EUlS1Q_E_NS1_11comp_targetILNS1_3genE3ELNS1_11target_archE908ELNS1_3gpuE7ELNS1_3repE0EEENS1_30default_config_static_selectorELNS0_4arch9wavefront6targetE0EEEvS13_.num_agpr, 0
	.set _ZN7rocprim17ROCPRIM_400000_NS6detail17trampoline_kernelINS0_13select_configILj256ELj13ELNS0_17block_load_methodE3ELS4_3ELS4_3ELNS0_20block_scan_algorithmE0ELj4294967295EEENS1_25partition_config_selectorILNS1_17partition_subalgoE4EjNS0_10empty_typeEbEEZZNS1_14partition_implILS8_4ELb0ES6_15HIP_vector_typeIjLj2EENS0_17counting_iteratorIjlEEPS9_SG_NS0_5tupleIJPjSI_NS0_16reverse_iteratorISI_EEEEENSH_IJSG_SG_SG_EEES9_SI_JZNS1_25segmented_radix_sort_implINS0_14default_configELb0EPK12hip_bfloat16PSP_PKlPlN2at6native12_GLOBAL__N_18offset_tEEE10hipError_tPvRmT1_PNSt15iterator_traitsIS13_E10value_typeET2_T3_PNS14_IS19_E10value_typeET4_jRbjT5_S1F_jjP12ihipStream_tbEUljE_ZNSN_ISO_Lb0ESR_SS_SU_SV_SZ_EES10_S11_S12_S13_S17_S18_S19_S1C_S1D_jS1E_jS1F_S1F_jjS1H_bEUljE0_EEES10_S11_S12_S19_S1D_S1F_T6_T7_T9_mT8_S1H_bDpT10_ENKUlT_T0_E_clISt17integral_constantIbLb0EES1U_IbLb1EEEEDaS1Q_S1R_EUlS1Q_E_NS1_11comp_targetILNS1_3genE3ELNS1_11target_archE908ELNS1_3gpuE7ELNS1_3repE0EEENS1_30default_config_static_selectorELNS0_4arch9wavefront6targetE0EEEvS13_.numbered_sgpr, 0
	.set _ZN7rocprim17ROCPRIM_400000_NS6detail17trampoline_kernelINS0_13select_configILj256ELj13ELNS0_17block_load_methodE3ELS4_3ELS4_3ELNS0_20block_scan_algorithmE0ELj4294967295EEENS1_25partition_config_selectorILNS1_17partition_subalgoE4EjNS0_10empty_typeEbEEZZNS1_14partition_implILS8_4ELb0ES6_15HIP_vector_typeIjLj2EENS0_17counting_iteratorIjlEEPS9_SG_NS0_5tupleIJPjSI_NS0_16reverse_iteratorISI_EEEEENSH_IJSG_SG_SG_EEES9_SI_JZNS1_25segmented_radix_sort_implINS0_14default_configELb0EPK12hip_bfloat16PSP_PKlPlN2at6native12_GLOBAL__N_18offset_tEEE10hipError_tPvRmT1_PNSt15iterator_traitsIS13_E10value_typeET2_T3_PNS14_IS19_E10value_typeET4_jRbjT5_S1F_jjP12ihipStream_tbEUljE_ZNSN_ISO_Lb0ESR_SS_SU_SV_SZ_EES10_S11_S12_S13_S17_S18_S19_S1C_S1D_jS1E_jS1F_S1F_jjS1H_bEUljE0_EEES10_S11_S12_S19_S1D_S1F_T6_T7_T9_mT8_S1H_bDpT10_ENKUlT_T0_E_clISt17integral_constantIbLb0EES1U_IbLb1EEEEDaS1Q_S1R_EUlS1Q_E_NS1_11comp_targetILNS1_3genE3ELNS1_11target_archE908ELNS1_3gpuE7ELNS1_3repE0EEENS1_30default_config_static_selectorELNS0_4arch9wavefront6targetE0EEEvS13_.num_named_barrier, 0
	.set _ZN7rocprim17ROCPRIM_400000_NS6detail17trampoline_kernelINS0_13select_configILj256ELj13ELNS0_17block_load_methodE3ELS4_3ELS4_3ELNS0_20block_scan_algorithmE0ELj4294967295EEENS1_25partition_config_selectorILNS1_17partition_subalgoE4EjNS0_10empty_typeEbEEZZNS1_14partition_implILS8_4ELb0ES6_15HIP_vector_typeIjLj2EENS0_17counting_iteratorIjlEEPS9_SG_NS0_5tupleIJPjSI_NS0_16reverse_iteratorISI_EEEEENSH_IJSG_SG_SG_EEES9_SI_JZNS1_25segmented_radix_sort_implINS0_14default_configELb0EPK12hip_bfloat16PSP_PKlPlN2at6native12_GLOBAL__N_18offset_tEEE10hipError_tPvRmT1_PNSt15iterator_traitsIS13_E10value_typeET2_T3_PNS14_IS19_E10value_typeET4_jRbjT5_S1F_jjP12ihipStream_tbEUljE_ZNSN_ISO_Lb0ESR_SS_SU_SV_SZ_EES10_S11_S12_S13_S17_S18_S19_S1C_S1D_jS1E_jS1F_S1F_jjS1H_bEUljE0_EEES10_S11_S12_S19_S1D_S1F_T6_T7_T9_mT8_S1H_bDpT10_ENKUlT_T0_E_clISt17integral_constantIbLb0EES1U_IbLb1EEEEDaS1Q_S1R_EUlS1Q_E_NS1_11comp_targetILNS1_3genE3ELNS1_11target_archE908ELNS1_3gpuE7ELNS1_3repE0EEENS1_30default_config_static_selectorELNS0_4arch9wavefront6targetE0EEEvS13_.private_seg_size, 0
	.set _ZN7rocprim17ROCPRIM_400000_NS6detail17trampoline_kernelINS0_13select_configILj256ELj13ELNS0_17block_load_methodE3ELS4_3ELS4_3ELNS0_20block_scan_algorithmE0ELj4294967295EEENS1_25partition_config_selectorILNS1_17partition_subalgoE4EjNS0_10empty_typeEbEEZZNS1_14partition_implILS8_4ELb0ES6_15HIP_vector_typeIjLj2EENS0_17counting_iteratorIjlEEPS9_SG_NS0_5tupleIJPjSI_NS0_16reverse_iteratorISI_EEEEENSH_IJSG_SG_SG_EEES9_SI_JZNS1_25segmented_radix_sort_implINS0_14default_configELb0EPK12hip_bfloat16PSP_PKlPlN2at6native12_GLOBAL__N_18offset_tEEE10hipError_tPvRmT1_PNSt15iterator_traitsIS13_E10value_typeET2_T3_PNS14_IS19_E10value_typeET4_jRbjT5_S1F_jjP12ihipStream_tbEUljE_ZNSN_ISO_Lb0ESR_SS_SU_SV_SZ_EES10_S11_S12_S13_S17_S18_S19_S1C_S1D_jS1E_jS1F_S1F_jjS1H_bEUljE0_EEES10_S11_S12_S19_S1D_S1F_T6_T7_T9_mT8_S1H_bDpT10_ENKUlT_T0_E_clISt17integral_constantIbLb0EES1U_IbLb1EEEEDaS1Q_S1R_EUlS1Q_E_NS1_11comp_targetILNS1_3genE3ELNS1_11target_archE908ELNS1_3gpuE7ELNS1_3repE0EEENS1_30default_config_static_selectorELNS0_4arch9wavefront6targetE0EEEvS13_.uses_vcc, 0
	.set _ZN7rocprim17ROCPRIM_400000_NS6detail17trampoline_kernelINS0_13select_configILj256ELj13ELNS0_17block_load_methodE3ELS4_3ELS4_3ELNS0_20block_scan_algorithmE0ELj4294967295EEENS1_25partition_config_selectorILNS1_17partition_subalgoE4EjNS0_10empty_typeEbEEZZNS1_14partition_implILS8_4ELb0ES6_15HIP_vector_typeIjLj2EENS0_17counting_iteratorIjlEEPS9_SG_NS0_5tupleIJPjSI_NS0_16reverse_iteratorISI_EEEEENSH_IJSG_SG_SG_EEES9_SI_JZNS1_25segmented_radix_sort_implINS0_14default_configELb0EPK12hip_bfloat16PSP_PKlPlN2at6native12_GLOBAL__N_18offset_tEEE10hipError_tPvRmT1_PNSt15iterator_traitsIS13_E10value_typeET2_T3_PNS14_IS19_E10value_typeET4_jRbjT5_S1F_jjP12ihipStream_tbEUljE_ZNSN_ISO_Lb0ESR_SS_SU_SV_SZ_EES10_S11_S12_S13_S17_S18_S19_S1C_S1D_jS1E_jS1F_S1F_jjS1H_bEUljE0_EEES10_S11_S12_S19_S1D_S1F_T6_T7_T9_mT8_S1H_bDpT10_ENKUlT_T0_E_clISt17integral_constantIbLb0EES1U_IbLb1EEEEDaS1Q_S1R_EUlS1Q_E_NS1_11comp_targetILNS1_3genE3ELNS1_11target_archE908ELNS1_3gpuE7ELNS1_3repE0EEENS1_30default_config_static_selectorELNS0_4arch9wavefront6targetE0EEEvS13_.uses_flat_scratch, 0
	.set _ZN7rocprim17ROCPRIM_400000_NS6detail17trampoline_kernelINS0_13select_configILj256ELj13ELNS0_17block_load_methodE3ELS4_3ELS4_3ELNS0_20block_scan_algorithmE0ELj4294967295EEENS1_25partition_config_selectorILNS1_17partition_subalgoE4EjNS0_10empty_typeEbEEZZNS1_14partition_implILS8_4ELb0ES6_15HIP_vector_typeIjLj2EENS0_17counting_iteratorIjlEEPS9_SG_NS0_5tupleIJPjSI_NS0_16reverse_iteratorISI_EEEEENSH_IJSG_SG_SG_EEES9_SI_JZNS1_25segmented_radix_sort_implINS0_14default_configELb0EPK12hip_bfloat16PSP_PKlPlN2at6native12_GLOBAL__N_18offset_tEEE10hipError_tPvRmT1_PNSt15iterator_traitsIS13_E10value_typeET2_T3_PNS14_IS19_E10value_typeET4_jRbjT5_S1F_jjP12ihipStream_tbEUljE_ZNSN_ISO_Lb0ESR_SS_SU_SV_SZ_EES10_S11_S12_S13_S17_S18_S19_S1C_S1D_jS1E_jS1F_S1F_jjS1H_bEUljE0_EEES10_S11_S12_S19_S1D_S1F_T6_T7_T9_mT8_S1H_bDpT10_ENKUlT_T0_E_clISt17integral_constantIbLb0EES1U_IbLb1EEEEDaS1Q_S1R_EUlS1Q_E_NS1_11comp_targetILNS1_3genE3ELNS1_11target_archE908ELNS1_3gpuE7ELNS1_3repE0EEENS1_30default_config_static_selectorELNS0_4arch9wavefront6targetE0EEEvS13_.has_dyn_sized_stack, 0
	.set _ZN7rocprim17ROCPRIM_400000_NS6detail17trampoline_kernelINS0_13select_configILj256ELj13ELNS0_17block_load_methodE3ELS4_3ELS4_3ELNS0_20block_scan_algorithmE0ELj4294967295EEENS1_25partition_config_selectorILNS1_17partition_subalgoE4EjNS0_10empty_typeEbEEZZNS1_14partition_implILS8_4ELb0ES6_15HIP_vector_typeIjLj2EENS0_17counting_iteratorIjlEEPS9_SG_NS0_5tupleIJPjSI_NS0_16reverse_iteratorISI_EEEEENSH_IJSG_SG_SG_EEES9_SI_JZNS1_25segmented_radix_sort_implINS0_14default_configELb0EPK12hip_bfloat16PSP_PKlPlN2at6native12_GLOBAL__N_18offset_tEEE10hipError_tPvRmT1_PNSt15iterator_traitsIS13_E10value_typeET2_T3_PNS14_IS19_E10value_typeET4_jRbjT5_S1F_jjP12ihipStream_tbEUljE_ZNSN_ISO_Lb0ESR_SS_SU_SV_SZ_EES10_S11_S12_S13_S17_S18_S19_S1C_S1D_jS1E_jS1F_S1F_jjS1H_bEUljE0_EEES10_S11_S12_S19_S1D_S1F_T6_T7_T9_mT8_S1H_bDpT10_ENKUlT_T0_E_clISt17integral_constantIbLb0EES1U_IbLb1EEEEDaS1Q_S1R_EUlS1Q_E_NS1_11comp_targetILNS1_3genE3ELNS1_11target_archE908ELNS1_3gpuE7ELNS1_3repE0EEENS1_30default_config_static_selectorELNS0_4arch9wavefront6targetE0EEEvS13_.has_recursion, 0
	.set _ZN7rocprim17ROCPRIM_400000_NS6detail17trampoline_kernelINS0_13select_configILj256ELj13ELNS0_17block_load_methodE3ELS4_3ELS4_3ELNS0_20block_scan_algorithmE0ELj4294967295EEENS1_25partition_config_selectorILNS1_17partition_subalgoE4EjNS0_10empty_typeEbEEZZNS1_14partition_implILS8_4ELb0ES6_15HIP_vector_typeIjLj2EENS0_17counting_iteratorIjlEEPS9_SG_NS0_5tupleIJPjSI_NS0_16reverse_iteratorISI_EEEEENSH_IJSG_SG_SG_EEES9_SI_JZNS1_25segmented_radix_sort_implINS0_14default_configELb0EPK12hip_bfloat16PSP_PKlPlN2at6native12_GLOBAL__N_18offset_tEEE10hipError_tPvRmT1_PNSt15iterator_traitsIS13_E10value_typeET2_T3_PNS14_IS19_E10value_typeET4_jRbjT5_S1F_jjP12ihipStream_tbEUljE_ZNSN_ISO_Lb0ESR_SS_SU_SV_SZ_EES10_S11_S12_S13_S17_S18_S19_S1C_S1D_jS1E_jS1F_S1F_jjS1H_bEUljE0_EEES10_S11_S12_S19_S1D_S1F_T6_T7_T9_mT8_S1H_bDpT10_ENKUlT_T0_E_clISt17integral_constantIbLb0EES1U_IbLb1EEEEDaS1Q_S1R_EUlS1Q_E_NS1_11comp_targetILNS1_3genE3ELNS1_11target_archE908ELNS1_3gpuE7ELNS1_3repE0EEENS1_30default_config_static_selectorELNS0_4arch9wavefront6targetE0EEEvS13_.has_indirect_call, 0
	.section	.AMDGPU.csdata,"",@progbits
; Kernel info:
; codeLenInByte = 0
; TotalNumSgprs: 0
; NumVgprs: 0
; ScratchSize: 0
; MemoryBound: 0
; FloatMode: 240
; IeeeMode: 1
; LDSByteSize: 0 bytes/workgroup (compile time only)
; SGPRBlocks: 0
; VGPRBlocks: 0
; NumSGPRsForWavesPerEU: 1
; NumVGPRsForWavesPerEU: 1
; NamedBarCnt: 0
; Occupancy: 16
; WaveLimiterHint : 0
; COMPUTE_PGM_RSRC2:SCRATCH_EN: 0
; COMPUTE_PGM_RSRC2:USER_SGPR: 2
; COMPUTE_PGM_RSRC2:TRAP_HANDLER: 0
; COMPUTE_PGM_RSRC2:TGID_X_EN: 1
; COMPUTE_PGM_RSRC2:TGID_Y_EN: 0
; COMPUTE_PGM_RSRC2:TGID_Z_EN: 0
; COMPUTE_PGM_RSRC2:TIDIG_COMP_CNT: 0
	.section	.text._ZN7rocprim17ROCPRIM_400000_NS6detail17trampoline_kernelINS0_13select_configILj256ELj13ELNS0_17block_load_methodE3ELS4_3ELS4_3ELNS0_20block_scan_algorithmE0ELj4294967295EEENS1_25partition_config_selectorILNS1_17partition_subalgoE4EjNS0_10empty_typeEbEEZZNS1_14partition_implILS8_4ELb0ES6_15HIP_vector_typeIjLj2EENS0_17counting_iteratorIjlEEPS9_SG_NS0_5tupleIJPjSI_NS0_16reverse_iteratorISI_EEEEENSH_IJSG_SG_SG_EEES9_SI_JZNS1_25segmented_radix_sort_implINS0_14default_configELb0EPK12hip_bfloat16PSP_PKlPlN2at6native12_GLOBAL__N_18offset_tEEE10hipError_tPvRmT1_PNSt15iterator_traitsIS13_E10value_typeET2_T3_PNS14_IS19_E10value_typeET4_jRbjT5_S1F_jjP12ihipStream_tbEUljE_ZNSN_ISO_Lb0ESR_SS_SU_SV_SZ_EES10_S11_S12_S13_S17_S18_S19_S1C_S1D_jS1E_jS1F_S1F_jjS1H_bEUljE0_EEES10_S11_S12_S19_S1D_S1F_T6_T7_T9_mT8_S1H_bDpT10_ENKUlT_T0_E_clISt17integral_constantIbLb0EES1U_IbLb1EEEEDaS1Q_S1R_EUlS1Q_E_NS1_11comp_targetILNS1_3genE2ELNS1_11target_archE906ELNS1_3gpuE6ELNS1_3repE0EEENS1_30default_config_static_selectorELNS0_4arch9wavefront6targetE0EEEvS13_,"axG",@progbits,_ZN7rocprim17ROCPRIM_400000_NS6detail17trampoline_kernelINS0_13select_configILj256ELj13ELNS0_17block_load_methodE3ELS4_3ELS4_3ELNS0_20block_scan_algorithmE0ELj4294967295EEENS1_25partition_config_selectorILNS1_17partition_subalgoE4EjNS0_10empty_typeEbEEZZNS1_14partition_implILS8_4ELb0ES6_15HIP_vector_typeIjLj2EENS0_17counting_iteratorIjlEEPS9_SG_NS0_5tupleIJPjSI_NS0_16reverse_iteratorISI_EEEEENSH_IJSG_SG_SG_EEES9_SI_JZNS1_25segmented_radix_sort_implINS0_14default_configELb0EPK12hip_bfloat16PSP_PKlPlN2at6native12_GLOBAL__N_18offset_tEEE10hipError_tPvRmT1_PNSt15iterator_traitsIS13_E10value_typeET2_T3_PNS14_IS19_E10value_typeET4_jRbjT5_S1F_jjP12ihipStream_tbEUljE_ZNSN_ISO_Lb0ESR_SS_SU_SV_SZ_EES10_S11_S12_S13_S17_S18_S19_S1C_S1D_jS1E_jS1F_S1F_jjS1H_bEUljE0_EEES10_S11_S12_S19_S1D_S1F_T6_T7_T9_mT8_S1H_bDpT10_ENKUlT_T0_E_clISt17integral_constantIbLb0EES1U_IbLb1EEEEDaS1Q_S1R_EUlS1Q_E_NS1_11comp_targetILNS1_3genE2ELNS1_11target_archE906ELNS1_3gpuE6ELNS1_3repE0EEENS1_30default_config_static_selectorELNS0_4arch9wavefront6targetE0EEEvS13_,comdat
	.globl	_ZN7rocprim17ROCPRIM_400000_NS6detail17trampoline_kernelINS0_13select_configILj256ELj13ELNS0_17block_load_methodE3ELS4_3ELS4_3ELNS0_20block_scan_algorithmE0ELj4294967295EEENS1_25partition_config_selectorILNS1_17partition_subalgoE4EjNS0_10empty_typeEbEEZZNS1_14partition_implILS8_4ELb0ES6_15HIP_vector_typeIjLj2EENS0_17counting_iteratorIjlEEPS9_SG_NS0_5tupleIJPjSI_NS0_16reverse_iteratorISI_EEEEENSH_IJSG_SG_SG_EEES9_SI_JZNS1_25segmented_radix_sort_implINS0_14default_configELb0EPK12hip_bfloat16PSP_PKlPlN2at6native12_GLOBAL__N_18offset_tEEE10hipError_tPvRmT1_PNSt15iterator_traitsIS13_E10value_typeET2_T3_PNS14_IS19_E10value_typeET4_jRbjT5_S1F_jjP12ihipStream_tbEUljE_ZNSN_ISO_Lb0ESR_SS_SU_SV_SZ_EES10_S11_S12_S13_S17_S18_S19_S1C_S1D_jS1E_jS1F_S1F_jjS1H_bEUljE0_EEES10_S11_S12_S19_S1D_S1F_T6_T7_T9_mT8_S1H_bDpT10_ENKUlT_T0_E_clISt17integral_constantIbLb0EES1U_IbLb1EEEEDaS1Q_S1R_EUlS1Q_E_NS1_11comp_targetILNS1_3genE2ELNS1_11target_archE906ELNS1_3gpuE6ELNS1_3repE0EEENS1_30default_config_static_selectorELNS0_4arch9wavefront6targetE0EEEvS13_ ; -- Begin function _ZN7rocprim17ROCPRIM_400000_NS6detail17trampoline_kernelINS0_13select_configILj256ELj13ELNS0_17block_load_methodE3ELS4_3ELS4_3ELNS0_20block_scan_algorithmE0ELj4294967295EEENS1_25partition_config_selectorILNS1_17partition_subalgoE4EjNS0_10empty_typeEbEEZZNS1_14partition_implILS8_4ELb0ES6_15HIP_vector_typeIjLj2EENS0_17counting_iteratorIjlEEPS9_SG_NS0_5tupleIJPjSI_NS0_16reverse_iteratorISI_EEEEENSH_IJSG_SG_SG_EEES9_SI_JZNS1_25segmented_radix_sort_implINS0_14default_configELb0EPK12hip_bfloat16PSP_PKlPlN2at6native12_GLOBAL__N_18offset_tEEE10hipError_tPvRmT1_PNSt15iterator_traitsIS13_E10value_typeET2_T3_PNS14_IS19_E10value_typeET4_jRbjT5_S1F_jjP12ihipStream_tbEUljE_ZNSN_ISO_Lb0ESR_SS_SU_SV_SZ_EES10_S11_S12_S13_S17_S18_S19_S1C_S1D_jS1E_jS1F_S1F_jjS1H_bEUljE0_EEES10_S11_S12_S19_S1D_S1F_T6_T7_T9_mT8_S1H_bDpT10_ENKUlT_T0_E_clISt17integral_constantIbLb0EES1U_IbLb1EEEEDaS1Q_S1R_EUlS1Q_E_NS1_11comp_targetILNS1_3genE2ELNS1_11target_archE906ELNS1_3gpuE6ELNS1_3repE0EEENS1_30default_config_static_selectorELNS0_4arch9wavefront6targetE0EEEvS13_
	.p2align	8
	.type	_ZN7rocprim17ROCPRIM_400000_NS6detail17trampoline_kernelINS0_13select_configILj256ELj13ELNS0_17block_load_methodE3ELS4_3ELS4_3ELNS0_20block_scan_algorithmE0ELj4294967295EEENS1_25partition_config_selectorILNS1_17partition_subalgoE4EjNS0_10empty_typeEbEEZZNS1_14partition_implILS8_4ELb0ES6_15HIP_vector_typeIjLj2EENS0_17counting_iteratorIjlEEPS9_SG_NS0_5tupleIJPjSI_NS0_16reverse_iteratorISI_EEEEENSH_IJSG_SG_SG_EEES9_SI_JZNS1_25segmented_radix_sort_implINS0_14default_configELb0EPK12hip_bfloat16PSP_PKlPlN2at6native12_GLOBAL__N_18offset_tEEE10hipError_tPvRmT1_PNSt15iterator_traitsIS13_E10value_typeET2_T3_PNS14_IS19_E10value_typeET4_jRbjT5_S1F_jjP12ihipStream_tbEUljE_ZNSN_ISO_Lb0ESR_SS_SU_SV_SZ_EES10_S11_S12_S13_S17_S18_S19_S1C_S1D_jS1E_jS1F_S1F_jjS1H_bEUljE0_EEES10_S11_S12_S19_S1D_S1F_T6_T7_T9_mT8_S1H_bDpT10_ENKUlT_T0_E_clISt17integral_constantIbLb0EES1U_IbLb1EEEEDaS1Q_S1R_EUlS1Q_E_NS1_11comp_targetILNS1_3genE2ELNS1_11target_archE906ELNS1_3gpuE6ELNS1_3repE0EEENS1_30default_config_static_selectorELNS0_4arch9wavefront6targetE0EEEvS13_,@function
_ZN7rocprim17ROCPRIM_400000_NS6detail17trampoline_kernelINS0_13select_configILj256ELj13ELNS0_17block_load_methodE3ELS4_3ELS4_3ELNS0_20block_scan_algorithmE0ELj4294967295EEENS1_25partition_config_selectorILNS1_17partition_subalgoE4EjNS0_10empty_typeEbEEZZNS1_14partition_implILS8_4ELb0ES6_15HIP_vector_typeIjLj2EENS0_17counting_iteratorIjlEEPS9_SG_NS0_5tupleIJPjSI_NS0_16reverse_iteratorISI_EEEEENSH_IJSG_SG_SG_EEES9_SI_JZNS1_25segmented_radix_sort_implINS0_14default_configELb0EPK12hip_bfloat16PSP_PKlPlN2at6native12_GLOBAL__N_18offset_tEEE10hipError_tPvRmT1_PNSt15iterator_traitsIS13_E10value_typeET2_T3_PNS14_IS19_E10value_typeET4_jRbjT5_S1F_jjP12ihipStream_tbEUljE_ZNSN_ISO_Lb0ESR_SS_SU_SV_SZ_EES10_S11_S12_S13_S17_S18_S19_S1C_S1D_jS1E_jS1F_S1F_jjS1H_bEUljE0_EEES10_S11_S12_S19_S1D_S1F_T6_T7_T9_mT8_S1H_bDpT10_ENKUlT_T0_E_clISt17integral_constantIbLb0EES1U_IbLb1EEEEDaS1Q_S1R_EUlS1Q_E_NS1_11comp_targetILNS1_3genE2ELNS1_11target_archE906ELNS1_3gpuE6ELNS1_3repE0EEENS1_30default_config_static_selectorELNS0_4arch9wavefront6targetE0EEEvS13_: ; @_ZN7rocprim17ROCPRIM_400000_NS6detail17trampoline_kernelINS0_13select_configILj256ELj13ELNS0_17block_load_methodE3ELS4_3ELS4_3ELNS0_20block_scan_algorithmE0ELj4294967295EEENS1_25partition_config_selectorILNS1_17partition_subalgoE4EjNS0_10empty_typeEbEEZZNS1_14partition_implILS8_4ELb0ES6_15HIP_vector_typeIjLj2EENS0_17counting_iteratorIjlEEPS9_SG_NS0_5tupleIJPjSI_NS0_16reverse_iteratorISI_EEEEENSH_IJSG_SG_SG_EEES9_SI_JZNS1_25segmented_radix_sort_implINS0_14default_configELb0EPK12hip_bfloat16PSP_PKlPlN2at6native12_GLOBAL__N_18offset_tEEE10hipError_tPvRmT1_PNSt15iterator_traitsIS13_E10value_typeET2_T3_PNS14_IS19_E10value_typeET4_jRbjT5_S1F_jjP12ihipStream_tbEUljE_ZNSN_ISO_Lb0ESR_SS_SU_SV_SZ_EES10_S11_S12_S13_S17_S18_S19_S1C_S1D_jS1E_jS1F_S1F_jjS1H_bEUljE0_EEES10_S11_S12_S19_S1D_S1F_T6_T7_T9_mT8_S1H_bDpT10_ENKUlT_T0_E_clISt17integral_constantIbLb0EES1U_IbLb1EEEEDaS1Q_S1R_EUlS1Q_E_NS1_11comp_targetILNS1_3genE2ELNS1_11target_archE906ELNS1_3gpuE6ELNS1_3repE0EEENS1_30default_config_static_selectorELNS0_4arch9wavefront6targetE0EEEvS13_
; %bb.0:
	.section	.rodata,"a",@progbits
	.p2align	6, 0x0
	.amdhsa_kernel _ZN7rocprim17ROCPRIM_400000_NS6detail17trampoline_kernelINS0_13select_configILj256ELj13ELNS0_17block_load_methodE3ELS4_3ELS4_3ELNS0_20block_scan_algorithmE0ELj4294967295EEENS1_25partition_config_selectorILNS1_17partition_subalgoE4EjNS0_10empty_typeEbEEZZNS1_14partition_implILS8_4ELb0ES6_15HIP_vector_typeIjLj2EENS0_17counting_iteratorIjlEEPS9_SG_NS0_5tupleIJPjSI_NS0_16reverse_iteratorISI_EEEEENSH_IJSG_SG_SG_EEES9_SI_JZNS1_25segmented_radix_sort_implINS0_14default_configELb0EPK12hip_bfloat16PSP_PKlPlN2at6native12_GLOBAL__N_18offset_tEEE10hipError_tPvRmT1_PNSt15iterator_traitsIS13_E10value_typeET2_T3_PNS14_IS19_E10value_typeET4_jRbjT5_S1F_jjP12ihipStream_tbEUljE_ZNSN_ISO_Lb0ESR_SS_SU_SV_SZ_EES10_S11_S12_S13_S17_S18_S19_S1C_S1D_jS1E_jS1F_S1F_jjS1H_bEUljE0_EEES10_S11_S12_S19_S1D_S1F_T6_T7_T9_mT8_S1H_bDpT10_ENKUlT_T0_E_clISt17integral_constantIbLb0EES1U_IbLb1EEEEDaS1Q_S1R_EUlS1Q_E_NS1_11comp_targetILNS1_3genE2ELNS1_11target_archE906ELNS1_3gpuE6ELNS1_3repE0EEENS1_30default_config_static_selectorELNS0_4arch9wavefront6targetE0EEEvS13_
		.amdhsa_group_segment_fixed_size 0
		.amdhsa_private_segment_fixed_size 0
		.amdhsa_kernarg_size 184
		.amdhsa_user_sgpr_count 2
		.amdhsa_user_sgpr_dispatch_ptr 0
		.amdhsa_user_sgpr_queue_ptr 0
		.amdhsa_user_sgpr_kernarg_segment_ptr 1
		.amdhsa_user_sgpr_dispatch_id 0
		.amdhsa_user_sgpr_kernarg_preload_length 0
		.amdhsa_user_sgpr_kernarg_preload_offset 0
		.amdhsa_user_sgpr_private_segment_size 0
		.amdhsa_wavefront_size32 1
		.amdhsa_uses_dynamic_stack 0
		.amdhsa_enable_private_segment 0
		.amdhsa_system_sgpr_workgroup_id_x 1
		.amdhsa_system_sgpr_workgroup_id_y 0
		.amdhsa_system_sgpr_workgroup_id_z 0
		.amdhsa_system_sgpr_workgroup_info 0
		.amdhsa_system_vgpr_workitem_id 0
		.amdhsa_next_free_vgpr 1
		.amdhsa_next_free_sgpr 1
		.amdhsa_named_barrier_count 0
		.amdhsa_reserve_vcc 0
		.amdhsa_float_round_mode_32 0
		.amdhsa_float_round_mode_16_64 0
		.amdhsa_float_denorm_mode_32 3
		.amdhsa_float_denorm_mode_16_64 3
		.amdhsa_fp16_overflow 0
		.amdhsa_memory_ordered 1
		.amdhsa_forward_progress 1
		.amdhsa_inst_pref_size 0
		.amdhsa_round_robin_scheduling 0
		.amdhsa_exception_fp_ieee_invalid_op 0
		.amdhsa_exception_fp_denorm_src 0
		.amdhsa_exception_fp_ieee_div_zero 0
		.amdhsa_exception_fp_ieee_overflow 0
		.amdhsa_exception_fp_ieee_underflow 0
		.amdhsa_exception_fp_ieee_inexact 0
		.amdhsa_exception_int_div_zero 0
	.end_amdhsa_kernel
	.section	.text._ZN7rocprim17ROCPRIM_400000_NS6detail17trampoline_kernelINS0_13select_configILj256ELj13ELNS0_17block_load_methodE3ELS4_3ELS4_3ELNS0_20block_scan_algorithmE0ELj4294967295EEENS1_25partition_config_selectorILNS1_17partition_subalgoE4EjNS0_10empty_typeEbEEZZNS1_14partition_implILS8_4ELb0ES6_15HIP_vector_typeIjLj2EENS0_17counting_iteratorIjlEEPS9_SG_NS0_5tupleIJPjSI_NS0_16reverse_iteratorISI_EEEEENSH_IJSG_SG_SG_EEES9_SI_JZNS1_25segmented_radix_sort_implINS0_14default_configELb0EPK12hip_bfloat16PSP_PKlPlN2at6native12_GLOBAL__N_18offset_tEEE10hipError_tPvRmT1_PNSt15iterator_traitsIS13_E10value_typeET2_T3_PNS14_IS19_E10value_typeET4_jRbjT5_S1F_jjP12ihipStream_tbEUljE_ZNSN_ISO_Lb0ESR_SS_SU_SV_SZ_EES10_S11_S12_S13_S17_S18_S19_S1C_S1D_jS1E_jS1F_S1F_jjS1H_bEUljE0_EEES10_S11_S12_S19_S1D_S1F_T6_T7_T9_mT8_S1H_bDpT10_ENKUlT_T0_E_clISt17integral_constantIbLb0EES1U_IbLb1EEEEDaS1Q_S1R_EUlS1Q_E_NS1_11comp_targetILNS1_3genE2ELNS1_11target_archE906ELNS1_3gpuE6ELNS1_3repE0EEENS1_30default_config_static_selectorELNS0_4arch9wavefront6targetE0EEEvS13_,"axG",@progbits,_ZN7rocprim17ROCPRIM_400000_NS6detail17trampoline_kernelINS0_13select_configILj256ELj13ELNS0_17block_load_methodE3ELS4_3ELS4_3ELNS0_20block_scan_algorithmE0ELj4294967295EEENS1_25partition_config_selectorILNS1_17partition_subalgoE4EjNS0_10empty_typeEbEEZZNS1_14partition_implILS8_4ELb0ES6_15HIP_vector_typeIjLj2EENS0_17counting_iteratorIjlEEPS9_SG_NS0_5tupleIJPjSI_NS0_16reverse_iteratorISI_EEEEENSH_IJSG_SG_SG_EEES9_SI_JZNS1_25segmented_radix_sort_implINS0_14default_configELb0EPK12hip_bfloat16PSP_PKlPlN2at6native12_GLOBAL__N_18offset_tEEE10hipError_tPvRmT1_PNSt15iterator_traitsIS13_E10value_typeET2_T3_PNS14_IS19_E10value_typeET4_jRbjT5_S1F_jjP12ihipStream_tbEUljE_ZNSN_ISO_Lb0ESR_SS_SU_SV_SZ_EES10_S11_S12_S13_S17_S18_S19_S1C_S1D_jS1E_jS1F_S1F_jjS1H_bEUljE0_EEES10_S11_S12_S19_S1D_S1F_T6_T7_T9_mT8_S1H_bDpT10_ENKUlT_T0_E_clISt17integral_constantIbLb0EES1U_IbLb1EEEEDaS1Q_S1R_EUlS1Q_E_NS1_11comp_targetILNS1_3genE2ELNS1_11target_archE906ELNS1_3gpuE6ELNS1_3repE0EEENS1_30default_config_static_selectorELNS0_4arch9wavefront6targetE0EEEvS13_,comdat
.Lfunc_end2003:
	.size	_ZN7rocprim17ROCPRIM_400000_NS6detail17trampoline_kernelINS0_13select_configILj256ELj13ELNS0_17block_load_methodE3ELS4_3ELS4_3ELNS0_20block_scan_algorithmE0ELj4294967295EEENS1_25partition_config_selectorILNS1_17partition_subalgoE4EjNS0_10empty_typeEbEEZZNS1_14partition_implILS8_4ELb0ES6_15HIP_vector_typeIjLj2EENS0_17counting_iteratorIjlEEPS9_SG_NS0_5tupleIJPjSI_NS0_16reverse_iteratorISI_EEEEENSH_IJSG_SG_SG_EEES9_SI_JZNS1_25segmented_radix_sort_implINS0_14default_configELb0EPK12hip_bfloat16PSP_PKlPlN2at6native12_GLOBAL__N_18offset_tEEE10hipError_tPvRmT1_PNSt15iterator_traitsIS13_E10value_typeET2_T3_PNS14_IS19_E10value_typeET4_jRbjT5_S1F_jjP12ihipStream_tbEUljE_ZNSN_ISO_Lb0ESR_SS_SU_SV_SZ_EES10_S11_S12_S13_S17_S18_S19_S1C_S1D_jS1E_jS1F_S1F_jjS1H_bEUljE0_EEES10_S11_S12_S19_S1D_S1F_T6_T7_T9_mT8_S1H_bDpT10_ENKUlT_T0_E_clISt17integral_constantIbLb0EES1U_IbLb1EEEEDaS1Q_S1R_EUlS1Q_E_NS1_11comp_targetILNS1_3genE2ELNS1_11target_archE906ELNS1_3gpuE6ELNS1_3repE0EEENS1_30default_config_static_selectorELNS0_4arch9wavefront6targetE0EEEvS13_, .Lfunc_end2003-_ZN7rocprim17ROCPRIM_400000_NS6detail17trampoline_kernelINS0_13select_configILj256ELj13ELNS0_17block_load_methodE3ELS4_3ELS4_3ELNS0_20block_scan_algorithmE0ELj4294967295EEENS1_25partition_config_selectorILNS1_17partition_subalgoE4EjNS0_10empty_typeEbEEZZNS1_14partition_implILS8_4ELb0ES6_15HIP_vector_typeIjLj2EENS0_17counting_iteratorIjlEEPS9_SG_NS0_5tupleIJPjSI_NS0_16reverse_iteratorISI_EEEEENSH_IJSG_SG_SG_EEES9_SI_JZNS1_25segmented_radix_sort_implINS0_14default_configELb0EPK12hip_bfloat16PSP_PKlPlN2at6native12_GLOBAL__N_18offset_tEEE10hipError_tPvRmT1_PNSt15iterator_traitsIS13_E10value_typeET2_T3_PNS14_IS19_E10value_typeET4_jRbjT5_S1F_jjP12ihipStream_tbEUljE_ZNSN_ISO_Lb0ESR_SS_SU_SV_SZ_EES10_S11_S12_S13_S17_S18_S19_S1C_S1D_jS1E_jS1F_S1F_jjS1H_bEUljE0_EEES10_S11_S12_S19_S1D_S1F_T6_T7_T9_mT8_S1H_bDpT10_ENKUlT_T0_E_clISt17integral_constantIbLb0EES1U_IbLb1EEEEDaS1Q_S1R_EUlS1Q_E_NS1_11comp_targetILNS1_3genE2ELNS1_11target_archE906ELNS1_3gpuE6ELNS1_3repE0EEENS1_30default_config_static_selectorELNS0_4arch9wavefront6targetE0EEEvS13_
                                        ; -- End function
	.set _ZN7rocprim17ROCPRIM_400000_NS6detail17trampoline_kernelINS0_13select_configILj256ELj13ELNS0_17block_load_methodE3ELS4_3ELS4_3ELNS0_20block_scan_algorithmE0ELj4294967295EEENS1_25partition_config_selectorILNS1_17partition_subalgoE4EjNS0_10empty_typeEbEEZZNS1_14partition_implILS8_4ELb0ES6_15HIP_vector_typeIjLj2EENS0_17counting_iteratorIjlEEPS9_SG_NS0_5tupleIJPjSI_NS0_16reverse_iteratorISI_EEEEENSH_IJSG_SG_SG_EEES9_SI_JZNS1_25segmented_radix_sort_implINS0_14default_configELb0EPK12hip_bfloat16PSP_PKlPlN2at6native12_GLOBAL__N_18offset_tEEE10hipError_tPvRmT1_PNSt15iterator_traitsIS13_E10value_typeET2_T3_PNS14_IS19_E10value_typeET4_jRbjT5_S1F_jjP12ihipStream_tbEUljE_ZNSN_ISO_Lb0ESR_SS_SU_SV_SZ_EES10_S11_S12_S13_S17_S18_S19_S1C_S1D_jS1E_jS1F_S1F_jjS1H_bEUljE0_EEES10_S11_S12_S19_S1D_S1F_T6_T7_T9_mT8_S1H_bDpT10_ENKUlT_T0_E_clISt17integral_constantIbLb0EES1U_IbLb1EEEEDaS1Q_S1R_EUlS1Q_E_NS1_11comp_targetILNS1_3genE2ELNS1_11target_archE906ELNS1_3gpuE6ELNS1_3repE0EEENS1_30default_config_static_selectorELNS0_4arch9wavefront6targetE0EEEvS13_.num_vgpr, 0
	.set _ZN7rocprim17ROCPRIM_400000_NS6detail17trampoline_kernelINS0_13select_configILj256ELj13ELNS0_17block_load_methodE3ELS4_3ELS4_3ELNS0_20block_scan_algorithmE0ELj4294967295EEENS1_25partition_config_selectorILNS1_17partition_subalgoE4EjNS0_10empty_typeEbEEZZNS1_14partition_implILS8_4ELb0ES6_15HIP_vector_typeIjLj2EENS0_17counting_iteratorIjlEEPS9_SG_NS0_5tupleIJPjSI_NS0_16reverse_iteratorISI_EEEEENSH_IJSG_SG_SG_EEES9_SI_JZNS1_25segmented_radix_sort_implINS0_14default_configELb0EPK12hip_bfloat16PSP_PKlPlN2at6native12_GLOBAL__N_18offset_tEEE10hipError_tPvRmT1_PNSt15iterator_traitsIS13_E10value_typeET2_T3_PNS14_IS19_E10value_typeET4_jRbjT5_S1F_jjP12ihipStream_tbEUljE_ZNSN_ISO_Lb0ESR_SS_SU_SV_SZ_EES10_S11_S12_S13_S17_S18_S19_S1C_S1D_jS1E_jS1F_S1F_jjS1H_bEUljE0_EEES10_S11_S12_S19_S1D_S1F_T6_T7_T9_mT8_S1H_bDpT10_ENKUlT_T0_E_clISt17integral_constantIbLb0EES1U_IbLb1EEEEDaS1Q_S1R_EUlS1Q_E_NS1_11comp_targetILNS1_3genE2ELNS1_11target_archE906ELNS1_3gpuE6ELNS1_3repE0EEENS1_30default_config_static_selectorELNS0_4arch9wavefront6targetE0EEEvS13_.num_agpr, 0
	.set _ZN7rocprim17ROCPRIM_400000_NS6detail17trampoline_kernelINS0_13select_configILj256ELj13ELNS0_17block_load_methodE3ELS4_3ELS4_3ELNS0_20block_scan_algorithmE0ELj4294967295EEENS1_25partition_config_selectorILNS1_17partition_subalgoE4EjNS0_10empty_typeEbEEZZNS1_14partition_implILS8_4ELb0ES6_15HIP_vector_typeIjLj2EENS0_17counting_iteratorIjlEEPS9_SG_NS0_5tupleIJPjSI_NS0_16reverse_iteratorISI_EEEEENSH_IJSG_SG_SG_EEES9_SI_JZNS1_25segmented_radix_sort_implINS0_14default_configELb0EPK12hip_bfloat16PSP_PKlPlN2at6native12_GLOBAL__N_18offset_tEEE10hipError_tPvRmT1_PNSt15iterator_traitsIS13_E10value_typeET2_T3_PNS14_IS19_E10value_typeET4_jRbjT5_S1F_jjP12ihipStream_tbEUljE_ZNSN_ISO_Lb0ESR_SS_SU_SV_SZ_EES10_S11_S12_S13_S17_S18_S19_S1C_S1D_jS1E_jS1F_S1F_jjS1H_bEUljE0_EEES10_S11_S12_S19_S1D_S1F_T6_T7_T9_mT8_S1H_bDpT10_ENKUlT_T0_E_clISt17integral_constantIbLb0EES1U_IbLb1EEEEDaS1Q_S1R_EUlS1Q_E_NS1_11comp_targetILNS1_3genE2ELNS1_11target_archE906ELNS1_3gpuE6ELNS1_3repE0EEENS1_30default_config_static_selectorELNS0_4arch9wavefront6targetE0EEEvS13_.numbered_sgpr, 0
	.set _ZN7rocprim17ROCPRIM_400000_NS6detail17trampoline_kernelINS0_13select_configILj256ELj13ELNS0_17block_load_methodE3ELS4_3ELS4_3ELNS0_20block_scan_algorithmE0ELj4294967295EEENS1_25partition_config_selectorILNS1_17partition_subalgoE4EjNS0_10empty_typeEbEEZZNS1_14partition_implILS8_4ELb0ES6_15HIP_vector_typeIjLj2EENS0_17counting_iteratorIjlEEPS9_SG_NS0_5tupleIJPjSI_NS0_16reverse_iteratorISI_EEEEENSH_IJSG_SG_SG_EEES9_SI_JZNS1_25segmented_radix_sort_implINS0_14default_configELb0EPK12hip_bfloat16PSP_PKlPlN2at6native12_GLOBAL__N_18offset_tEEE10hipError_tPvRmT1_PNSt15iterator_traitsIS13_E10value_typeET2_T3_PNS14_IS19_E10value_typeET4_jRbjT5_S1F_jjP12ihipStream_tbEUljE_ZNSN_ISO_Lb0ESR_SS_SU_SV_SZ_EES10_S11_S12_S13_S17_S18_S19_S1C_S1D_jS1E_jS1F_S1F_jjS1H_bEUljE0_EEES10_S11_S12_S19_S1D_S1F_T6_T7_T9_mT8_S1H_bDpT10_ENKUlT_T0_E_clISt17integral_constantIbLb0EES1U_IbLb1EEEEDaS1Q_S1R_EUlS1Q_E_NS1_11comp_targetILNS1_3genE2ELNS1_11target_archE906ELNS1_3gpuE6ELNS1_3repE0EEENS1_30default_config_static_selectorELNS0_4arch9wavefront6targetE0EEEvS13_.num_named_barrier, 0
	.set _ZN7rocprim17ROCPRIM_400000_NS6detail17trampoline_kernelINS0_13select_configILj256ELj13ELNS0_17block_load_methodE3ELS4_3ELS4_3ELNS0_20block_scan_algorithmE0ELj4294967295EEENS1_25partition_config_selectorILNS1_17partition_subalgoE4EjNS0_10empty_typeEbEEZZNS1_14partition_implILS8_4ELb0ES6_15HIP_vector_typeIjLj2EENS0_17counting_iteratorIjlEEPS9_SG_NS0_5tupleIJPjSI_NS0_16reverse_iteratorISI_EEEEENSH_IJSG_SG_SG_EEES9_SI_JZNS1_25segmented_radix_sort_implINS0_14default_configELb0EPK12hip_bfloat16PSP_PKlPlN2at6native12_GLOBAL__N_18offset_tEEE10hipError_tPvRmT1_PNSt15iterator_traitsIS13_E10value_typeET2_T3_PNS14_IS19_E10value_typeET4_jRbjT5_S1F_jjP12ihipStream_tbEUljE_ZNSN_ISO_Lb0ESR_SS_SU_SV_SZ_EES10_S11_S12_S13_S17_S18_S19_S1C_S1D_jS1E_jS1F_S1F_jjS1H_bEUljE0_EEES10_S11_S12_S19_S1D_S1F_T6_T7_T9_mT8_S1H_bDpT10_ENKUlT_T0_E_clISt17integral_constantIbLb0EES1U_IbLb1EEEEDaS1Q_S1R_EUlS1Q_E_NS1_11comp_targetILNS1_3genE2ELNS1_11target_archE906ELNS1_3gpuE6ELNS1_3repE0EEENS1_30default_config_static_selectorELNS0_4arch9wavefront6targetE0EEEvS13_.private_seg_size, 0
	.set _ZN7rocprim17ROCPRIM_400000_NS6detail17trampoline_kernelINS0_13select_configILj256ELj13ELNS0_17block_load_methodE3ELS4_3ELS4_3ELNS0_20block_scan_algorithmE0ELj4294967295EEENS1_25partition_config_selectorILNS1_17partition_subalgoE4EjNS0_10empty_typeEbEEZZNS1_14partition_implILS8_4ELb0ES6_15HIP_vector_typeIjLj2EENS0_17counting_iteratorIjlEEPS9_SG_NS0_5tupleIJPjSI_NS0_16reverse_iteratorISI_EEEEENSH_IJSG_SG_SG_EEES9_SI_JZNS1_25segmented_radix_sort_implINS0_14default_configELb0EPK12hip_bfloat16PSP_PKlPlN2at6native12_GLOBAL__N_18offset_tEEE10hipError_tPvRmT1_PNSt15iterator_traitsIS13_E10value_typeET2_T3_PNS14_IS19_E10value_typeET4_jRbjT5_S1F_jjP12ihipStream_tbEUljE_ZNSN_ISO_Lb0ESR_SS_SU_SV_SZ_EES10_S11_S12_S13_S17_S18_S19_S1C_S1D_jS1E_jS1F_S1F_jjS1H_bEUljE0_EEES10_S11_S12_S19_S1D_S1F_T6_T7_T9_mT8_S1H_bDpT10_ENKUlT_T0_E_clISt17integral_constantIbLb0EES1U_IbLb1EEEEDaS1Q_S1R_EUlS1Q_E_NS1_11comp_targetILNS1_3genE2ELNS1_11target_archE906ELNS1_3gpuE6ELNS1_3repE0EEENS1_30default_config_static_selectorELNS0_4arch9wavefront6targetE0EEEvS13_.uses_vcc, 0
	.set _ZN7rocprim17ROCPRIM_400000_NS6detail17trampoline_kernelINS0_13select_configILj256ELj13ELNS0_17block_load_methodE3ELS4_3ELS4_3ELNS0_20block_scan_algorithmE0ELj4294967295EEENS1_25partition_config_selectorILNS1_17partition_subalgoE4EjNS0_10empty_typeEbEEZZNS1_14partition_implILS8_4ELb0ES6_15HIP_vector_typeIjLj2EENS0_17counting_iteratorIjlEEPS9_SG_NS0_5tupleIJPjSI_NS0_16reverse_iteratorISI_EEEEENSH_IJSG_SG_SG_EEES9_SI_JZNS1_25segmented_radix_sort_implINS0_14default_configELb0EPK12hip_bfloat16PSP_PKlPlN2at6native12_GLOBAL__N_18offset_tEEE10hipError_tPvRmT1_PNSt15iterator_traitsIS13_E10value_typeET2_T3_PNS14_IS19_E10value_typeET4_jRbjT5_S1F_jjP12ihipStream_tbEUljE_ZNSN_ISO_Lb0ESR_SS_SU_SV_SZ_EES10_S11_S12_S13_S17_S18_S19_S1C_S1D_jS1E_jS1F_S1F_jjS1H_bEUljE0_EEES10_S11_S12_S19_S1D_S1F_T6_T7_T9_mT8_S1H_bDpT10_ENKUlT_T0_E_clISt17integral_constantIbLb0EES1U_IbLb1EEEEDaS1Q_S1R_EUlS1Q_E_NS1_11comp_targetILNS1_3genE2ELNS1_11target_archE906ELNS1_3gpuE6ELNS1_3repE0EEENS1_30default_config_static_selectorELNS0_4arch9wavefront6targetE0EEEvS13_.uses_flat_scratch, 0
	.set _ZN7rocprim17ROCPRIM_400000_NS6detail17trampoline_kernelINS0_13select_configILj256ELj13ELNS0_17block_load_methodE3ELS4_3ELS4_3ELNS0_20block_scan_algorithmE0ELj4294967295EEENS1_25partition_config_selectorILNS1_17partition_subalgoE4EjNS0_10empty_typeEbEEZZNS1_14partition_implILS8_4ELb0ES6_15HIP_vector_typeIjLj2EENS0_17counting_iteratorIjlEEPS9_SG_NS0_5tupleIJPjSI_NS0_16reverse_iteratorISI_EEEEENSH_IJSG_SG_SG_EEES9_SI_JZNS1_25segmented_radix_sort_implINS0_14default_configELb0EPK12hip_bfloat16PSP_PKlPlN2at6native12_GLOBAL__N_18offset_tEEE10hipError_tPvRmT1_PNSt15iterator_traitsIS13_E10value_typeET2_T3_PNS14_IS19_E10value_typeET4_jRbjT5_S1F_jjP12ihipStream_tbEUljE_ZNSN_ISO_Lb0ESR_SS_SU_SV_SZ_EES10_S11_S12_S13_S17_S18_S19_S1C_S1D_jS1E_jS1F_S1F_jjS1H_bEUljE0_EEES10_S11_S12_S19_S1D_S1F_T6_T7_T9_mT8_S1H_bDpT10_ENKUlT_T0_E_clISt17integral_constantIbLb0EES1U_IbLb1EEEEDaS1Q_S1R_EUlS1Q_E_NS1_11comp_targetILNS1_3genE2ELNS1_11target_archE906ELNS1_3gpuE6ELNS1_3repE0EEENS1_30default_config_static_selectorELNS0_4arch9wavefront6targetE0EEEvS13_.has_dyn_sized_stack, 0
	.set _ZN7rocprim17ROCPRIM_400000_NS6detail17trampoline_kernelINS0_13select_configILj256ELj13ELNS0_17block_load_methodE3ELS4_3ELS4_3ELNS0_20block_scan_algorithmE0ELj4294967295EEENS1_25partition_config_selectorILNS1_17partition_subalgoE4EjNS0_10empty_typeEbEEZZNS1_14partition_implILS8_4ELb0ES6_15HIP_vector_typeIjLj2EENS0_17counting_iteratorIjlEEPS9_SG_NS0_5tupleIJPjSI_NS0_16reverse_iteratorISI_EEEEENSH_IJSG_SG_SG_EEES9_SI_JZNS1_25segmented_radix_sort_implINS0_14default_configELb0EPK12hip_bfloat16PSP_PKlPlN2at6native12_GLOBAL__N_18offset_tEEE10hipError_tPvRmT1_PNSt15iterator_traitsIS13_E10value_typeET2_T3_PNS14_IS19_E10value_typeET4_jRbjT5_S1F_jjP12ihipStream_tbEUljE_ZNSN_ISO_Lb0ESR_SS_SU_SV_SZ_EES10_S11_S12_S13_S17_S18_S19_S1C_S1D_jS1E_jS1F_S1F_jjS1H_bEUljE0_EEES10_S11_S12_S19_S1D_S1F_T6_T7_T9_mT8_S1H_bDpT10_ENKUlT_T0_E_clISt17integral_constantIbLb0EES1U_IbLb1EEEEDaS1Q_S1R_EUlS1Q_E_NS1_11comp_targetILNS1_3genE2ELNS1_11target_archE906ELNS1_3gpuE6ELNS1_3repE0EEENS1_30default_config_static_selectorELNS0_4arch9wavefront6targetE0EEEvS13_.has_recursion, 0
	.set _ZN7rocprim17ROCPRIM_400000_NS6detail17trampoline_kernelINS0_13select_configILj256ELj13ELNS0_17block_load_methodE3ELS4_3ELS4_3ELNS0_20block_scan_algorithmE0ELj4294967295EEENS1_25partition_config_selectorILNS1_17partition_subalgoE4EjNS0_10empty_typeEbEEZZNS1_14partition_implILS8_4ELb0ES6_15HIP_vector_typeIjLj2EENS0_17counting_iteratorIjlEEPS9_SG_NS0_5tupleIJPjSI_NS0_16reverse_iteratorISI_EEEEENSH_IJSG_SG_SG_EEES9_SI_JZNS1_25segmented_radix_sort_implINS0_14default_configELb0EPK12hip_bfloat16PSP_PKlPlN2at6native12_GLOBAL__N_18offset_tEEE10hipError_tPvRmT1_PNSt15iterator_traitsIS13_E10value_typeET2_T3_PNS14_IS19_E10value_typeET4_jRbjT5_S1F_jjP12ihipStream_tbEUljE_ZNSN_ISO_Lb0ESR_SS_SU_SV_SZ_EES10_S11_S12_S13_S17_S18_S19_S1C_S1D_jS1E_jS1F_S1F_jjS1H_bEUljE0_EEES10_S11_S12_S19_S1D_S1F_T6_T7_T9_mT8_S1H_bDpT10_ENKUlT_T0_E_clISt17integral_constantIbLb0EES1U_IbLb1EEEEDaS1Q_S1R_EUlS1Q_E_NS1_11comp_targetILNS1_3genE2ELNS1_11target_archE906ELNS1_3gpuE6ELNS1_3repE0EEENS1_30default_config_static_selectorELNS0_4arch9wavefront6targetE0EEEvS13_.has_indirect_call, 0
	.section	.AMDGPU.csdata,"",@progbits
; Kernel info:
; codeLenInByte = 0
; TotalNumSgprs: 0
; NumVgprs: 0
; ScratchSize: 0
; MemoryBound: 0
; FloatMode: 240
; IeeeMode: 1
; LDSByteSize: 0 bytes/workgroup (compile time only)
; SGPRBlocks: 0
; VGPRBlocks: 0
; NumSGPRsForWavesPerEU: 1
; NumVGPRsForWavesPerEU: 1
; NamedBarCnt: 0
; Occupancy: 16
; WaveLimiterHint : 0
; COMPUTE_PGM_RSRC2:SCRATCH_EN: 0
; COMPUTE_PGM_RSRC2:USER_SGPR: 2
; COMPUTE_PGM_RSRC2:TRAP_HANDLER: 0
; COMPUTE_PGM_RSRC2:TGID_X_EN: 1
; COMPUTE_PGM_RSRC2:TGID_Y_EN: 0
; COMPUTE_PGM_RSRC2:TGID_Z_EN: 0
; COMPUTE_PGM_RSRC2:TIDIG_COMP_CNT: 0
	.section	.text._ZN7rocprim17ROCPRIM_400000_NS6detail17trampoline_kernelINS0_13select_configILj256ELj13ELNS0_17block_load_methodE3ELS4_3ELS4_3ELNS0_20block_scan_algorithmE0ELj4294967295EEENS1_25partition_config_selectorILNS1_17partition_subalgoE4EjNS0_10empty_typeEbEEZZNS1_14partition_implILS8_4ELb0ES6_15HIP_vector_typeIjLj2EENS0_17counting_iteratorIjlEEPS9_SG_NS0_5tupleIJPjSI_NS0_16reverse_iteratorISI_EEEEENSH_IJSG_SG_SG_EEES9_SI_JZNS1_25segmented_radix_sort_implINS0_14default_configELb0EPK12hip_bfloat16PSP_PKlPlN2at6native12_GLOBAL__N_18offset_tEEE10hipError_tPvRmT1_PNSt15iterator_traitsIS13_E10value_typeET2_T3_PNS14_IS19_E10value_typeET4_jRbjT5_S1F_jjP12ihipStream_tbEUljE_ZNSN_ISO_Lb0ESR_SS_SU_SV_SZ_EES10_S11_S12_S13_S17_S18_S19_S1C_S1D_jS1E_jS1F_S1F_jjS1H_bEUljE0_EEES10_S11_S12_S19_S1D_S1F_T6_T7_T9_mT8_S1H_bDpT10_ENKUlT_T0_E_clISt17integral_constantIbLb0EES1U_IbLb1EEEEDaS1Q_S1R_EUlS1Q_E_NS1_11comp_targetILNS1_3genE10ELNS1_11target_archE1200ELNS1_3gpuE4ELNS1_3repE0EEENS1_30default_config_static_selectorELNS0_4arch9wavefront6targetE0EEEvS13_,"axG",@progbits,_ZN7rocprim17ROCPRIM_400000_NS6detail17trampoline_kernelINS0_13select_configILj256ELj13ELNS0_17block_load_methodE3ELS4_3ELS4_3ELNS0_20block_scan_algorithmE0ELj4294967295EEENS1_25partition_config_selectorILNS1_17partition_subalgoE4EjNS0_10empty_typeEbEEZZNS1_14partition_implILS8_4ELb0ES6_15HIP_vector_typeIjLj2EENS0_17counting_iteratorIjlEEPS9_SG_NS0_5tupleIJPjSI_NS0_16reverse_iteratorISI_EEEEENSH_IJSG_SG_SG_EEES9_SI_JZNS1_25segmented_radix_sort_implINS0_14default_configELb0EPK12hip_bfloat16PSP_PKlPlN2at6native12_GLOBAL__N_18offset_tEEE10hipError_tPvRmT1_PNSt15iterator_traitsIS13_E10value_typeET2_T3_PNS14_IS19_E10value_typeET4_jRbjT5_S1F_jjP12ihipStream_tbEUljE_ZNSN_ISO_Lb0ESR_SS_SU_SV_SZ_EES10_S11_S12_S13_S17_S18_S19_S1C_S1D_jS1E_jS1F_S1F_jjS1H_bEUljE0_EEES10_S11_S12_S19_S1D_S1F_T6_T7_T9_mT8_S1H_bDpT10_ENKUlT_T0_E_clISt17integral_constantIbLb0EES1U_IbLb1EEEEDaS1Q_S1R_EUlS1Q_E_NS1_11comp_targetILNS1_3genE10ELNS1_11target_archE1200ELNS1_3gpuE4ELNS1_3repE0EEENS1_30default_config_static_selectorELNS0_4arch9wavefront6targetE0EEEvS13_,comdat
	.globl	_ZN7rocprim17ROCPRIM_400000_NS6detail17trampoline_kernelINS0_13select_configILj256ELj13ELNS0_17block_load_methodE3ELS4_3ELS4_3ELNS0_20block_scan_algorithmE0ELj4294967295EEENS1_25partition_config_selectorILNS1_17partition_subalgoE4EjNS0_10empty_typeEbEEZZNS1_14partition_implILS8_4ELb0ES6_15HIP_vector_typeIjLj2EENS0_17counting_iteratorIjlEEPS9_SG_NS0_5tupleIJPjSI_NS0_16reverse_iteratorISI_EEEEENSH_IJSG_SG_SG_EEES9_SI_JZNS1_25segmented_radix_sort_implINS0_14default_configELb0EPK12hip_bfloat16PSP_PKlPlN2at6native12_GLOBAL__N_18offset_tEEE10hipError_tPvRmT1_PNSt15iterator_traitsIS13_E10value_typeET2_T3_PNS14_IS19_E10value_typeET4_jRbjT5_S1F_jjP12ihipStream_tbEUljE_ZNSN_ISO_Lb0ESR_SS_SU_SV_SZ_EES10_S11_S12_S13_S17_S18_S19_S1C_S1D_jS1E_jS1F_S1F_jjS1H_bEUljE0_EEES10_S11_S12_S19_S1D_S1F_T6_T7_T9_mT8_S1H_bDpT10_ENKUlT_T0_E_clISt17integral_constantIbLb0EES1U_IbLb1EEEEDaS1Q_S1R_EUlS1Q_E_NS1_11comp_targetILNS1_3genE10ELNS1_11target_archE1200ELNS1_3gpuE4ELNS1_3repE0EEENS1_30default_config_static_selectorELNS0_4arch9wavefront6targetE0EEEvS13_ ; -- Begin function _ZN7rocprim17ROCPRIM_400000_NS6detail17trampoline_kernelINS0_13select_configILj256ELj13ELNS0_17block_load_methodE3ELS4_3ELS4_3ELNS0_20block_scan_algorithmE0ELj4294967295EEENS1_25partition_config_selectorILNS1_17partition_subalgoE4EjNS0_10empty_typeEbEEZZNS1_14partition_implILS8_4ELb0ES6_15HIP_vector_typeIjLj2EENS0_17counting_iteratorIjlEEPS9_SG_NS0_5tupleIJPjSI_NS0_16reverse_iteratorISI_EEEEENSH_IJSG_SG_SG_EEES9_SI_JZNS1_25segmented_radix_sort_implINS0_14default_configELb0EPK12hip_bfloat16PSP_PKlPlN2at6native12_GLOBAL__N_18offset_tEEE10hipError_tPvRmT1_PNSt15iterator_traitsIS13_E10value_typeET2_T3_PNS14_IS19_E10value_typeET4_jRbjT5_S1F_jjP12ihipStream_tbEUljE_ZNSN_ISO_Lb0ESR_SS_SU_SV_SZ_EES10_S11_S12_S13_S17_S18_S19_S1C_S1D_jS1E_jS1F_S1F_jjS1H_bEUljE0_EEES10_S11_S12_S19_S1D_S1F_T6_T7_T9_mT8_S1H_bDpT10_ENKUlT_T0_E_clISt17integral_constantIbLb0EES1U_IbLb1EEEEDaS1Q_S1R_EUlS1Q_E_NS1_11comp_targetILNS1_3genE10ELNS1_11target_archE1200ELNS1_3gpuE4ELNS1_3repE0EEENS1_30default_config_static_selectorELNS0_4arch9wavefront6targetE0EEEvS13_
	.p2align	8
	.type	_ZN7rocprim17ROCPRIM_400000_NS6detail17trampoline_kernelINS0_13select_configILj256ELj13ELNS0_17block_load_methodE3ELS4_3ELS4_3ELNS0_20block_scan_algorithmE0ELj4294967295EEENS1_25partition_config_selectorILNS1_17partition_subalgoE4EjNS0_10empty_typeEbEEZZNS1_14partition_implILS8_4ELb0ES6_15HIP_vector_typeIjLj2EENS0_17counting_iteratorIjlEEPS9_SG_NS0_5tupleIJPjSI_NS0_16reverse_iteratorISI_EEEEENSH_IJSG_SG_SG_EEES9_SI_JZNS1_25segmented_radix_sort_implINS0_14default_configELb0EPK12hip_bfloat16PSP_PKlPlN2at6native12_GLOBAL__N_18offset_tEEE10hipError_tPvRmT1_PNSt15iterator_traitsIS13_E10value_typeET2_T3_PNS14_IS19_E10value_typeET4_jRbjT5_S1F_jjP12ihipStream_tbEUljE_ZNSN_ISO_Lb0ESR_SS_SU_SV_SZ_EES10_S11_S12_S13_S17_S18_S19_S1C_S1D_jS1E_jS1F_S1F_jjS1H_bEUljE0_EEES10_S11_S12_S19_S1D_S1F_T6_T7_T9_mT8_S1H_bDpT10_ENKUlT_T0_E_clISt17integral_constantIbLb0EES1U_IbLb1EEEEDaS1Q_S1R_EUlS1Q_E_NS1_11comp_targetILNS1_3genE10ELNS1_11target_archE1200ELNS1_3gpuE4ELNS1_3repE0EEENS1_30default_config_static_selectorELNS0_4arch9wavefront6targetE0EEEvS13_,@function
_ZN7rocprim17ROCPRIM_400000_NS6detail17trampoline_kernelINS0_13select_configILj256ELj13ELNS0_17block_load_methodE3ELS4_3ELS4_3ELNS0_20block_scan_algorithmE0ELj4294967295EEENS1_25partition_config_selectorILNS1_17partition_subalgoE4EjNS0_10empty_typeEbEEZZNS1_14partition_implILS8_4ELb0ES6_15HIP_vector_typeIjLj2EENS0_17counting_iteratorIjlEEPS9_SG_NS0_5tupleIJPjSI_NS0_16reverse_iteratorISI_EEEEENSH_IJSG_SG_SG_EEES9_SI_JZNS1_25segmented_radix_sort_implINS0_14default_configELb0EPK12hip_bfloat16PSP_PKlPlN2at6native12_GLOBAL__N_18offset_tEEE10hipError_tPvRmT1_PNSt15iterator_traitsIS13_E10value_typeET2_T3_PNS14_IS19_E10value_typeET4_jRbjT5_S1F_jjP12ihipStream_tbEUljE_ZNSN_ISO_Lb0ESR_SS_SU_SV_SZ_EES10_S11_S12_S13_S17_S18_S19_S1C_S1D_jS1E_jS1F_S1F_jjS1H_bEUljE0_EEES10_S11_S12_S19_S1D_S1F_T6_T7_T9_mT8_S1H_bDpT10_ENKUlT_T0_E_clISt17integral_constantIbLb0EES1U_IbLb1EEEEDaS1Q_S1R_EUlS1Q_E_NS1_11comp_targetILNS1_3genE10ELNS1_11target_archE1200ELNS1_3gpuE4ELNS1_3repE0EEENS1_30default_config_static_selectorELNS0_4arch9wavefront6targetE0EEEvS13_: ; @_ZN7rocprim17ROCPRIM_400000_NS6detail17trampoline_kernelINS0_13select_configILj256ELj13ELNS0_17block_load_methodE3ELS4_3ELS4_3ELNS0_20block_scan_algorithmE0ELj4294967295EEENS1_25partition_config_selectorILNS1_17partition_subalgoE4EjNS0_10empty_typeEbEEZZNS1_14partition_implILS8_4ELb0ES6_15HIP_vector_typeIjLj2EENS0_17counting_iteratorIjlEEPS9_SG_NS0_5tupleIJPjSI_NS0_16reverse_iteratorISI_EEEEENSH_IJSG_SG_SG_EEES9_SI_JZNS1_25segmented_radix_sort_implINS0_14default_configELb0EPK12hip_bfloat16PSP_PKlPlN2at6native12_GLOBAL__N_18offset_tEEE10hipError_tPvRmT1_PNSt15iterator_traitsIS13_E10value_typeET2_T3_PNS14_IS19_E10value_typeET4_jRbjT5_S1F_jjP12ihipStream_tbEUljE_ZNSN_ISO_Lb0ESR_SS_SU_SV_SZ_EES10_S11_S12_S13_S17_S18_S19_S1C_S1D_jS1E_jS1F_S1F_jjS1H_bEUljE0_EEES10_S11_S12_S19_S1D_S1F_T6_T7_T9_mT8_S1H_bDpT10_ENKUlT_T0_E_clISt17integral_constantIbLb0EES1U_IbLb1EEEEDaS1Q_S1R_EUlS1Q_E_NS1_11comp_targetILNS1_3genE10ELNS1_11target_archE1200ELNS1_3gpuE4ELNS1_3repE0EEENS1_30default_config_static_selectorELNS0_4arch9wavefront6targetE0EEEvS13_
; %bb.0:
	.section	.rodata,"a",@progbits
	.p2align	6, 0x0
	.amdhsa_kernel _ZN7rocprim17ROCPRIM_400000_NS6detail17trampoline_kernelINS0_13select_configILj256ELj13ELNS0_17block_load_methodE3ELS4_3ELS4_3ELNS0_20block_scan_algorithmE0ELj4294967295EEENS1_25partition_config_selectorILNS1_17partition_subalgoE4EjNS0_10empty_typeEbEEZZNS1_14partition_implILS8_4ELb0ES6_15HIP_vector_typeIjLj2EENS0_17counting_iteratorIjlEEPS9_SG_NS0_5tupleIJPjSI_NS0_16reverse_iteratorISI_EEEEENSH_IJSG_SG_SG_EEES9_SI_JZNS1_25segmented_radix_sort_implINS0_14default_configELb0EPK12hip_bfloat16PSP_PKlPlN2at6native12_GLOBAL__N_18offset_tEEE10hipError_tPvRmT1_PNSt15iterator_traitsIS13_E10value_typeET2_T3_PNS14_IS19_E10value_typeET4_jRbjT5_S1F_jjP12ihipStream_tbEUljE_ZNSN_ISO_Lb0ESR_SS_SU_SV_SZ_EES10_S11_S12_S13_S17_S18_S19_S1C_S1D_jS1E_jS1F_S1F_jjS1H_bEUljE0_EEES10_S11_S12_S19_S1D_S1F_T6_T7_T9_mT8_S1H_bDpT10_ENKUlT_T0_E_clISt17integral_constantIbLb0EES1U_IbLb1EEEEDaS1Q_S1R_EUlS1Q_E_NS1_11comp_targetILNS1_3genE10ELNS1_11target_archE1200ELNS1_3gpuE4ELNS1_3repE0EEENS1_30default_config_static_selectorELNS0_4arch9wavefront6targetE0EEEvS13_
		.amdhsa_group_segment_fixed_size 0
		.amdhsa_private_segment_fixed_size 0
		.amdhsa_kernarg_size 184
		.amdhsa_user_sgpr_count 2
		.amdhsa_user_sgpr_dispatch_ptr 0
		.amdhsa_user_sgpr_queue_ptr 0
		.amdhsa_user_sgpr_kernarg_segment_ptr 1
		.amdhsa_user_sgpr_dispatch_id 0
		.amdhsa_user_sgpr_kernarg_preload_length 0
		.amdhsa_user_sgpr_kernarg_preload_offset 0
		.amdhsa_user_sgpr_private_segment_size 0
		.amdhsa_wavefront_size32 1
		.amdhsa_uses_dynamic_stack 0
		.amdhsa_enable_private_segment 0
		.amdhsa_system_sgpr_workgroup_id_x 1
		.amdhsa_system_sgpr_workgroup_id_y 0
		.amdhsa_system_sgpr_workgroup_id_z 0
		.amdhsa_system_sgpr_workgroup_info 0
		.amdhsa_system_vgpr_workitem_id 0
		.amdhsa_next_free_vgpr 1
		.amdhsa_next_free_sgpr 1
		.amdhsa_named_barrier_count 0
		.amdhsa_reserve_vcc 0
		.amdhsa_float_round_mode_32 0
		.amdhsa_float_round_mode_16_64 0
		.amdhsa_float_denorm_mode_32 3
		.amdhsa_float_denorm_mode_16_64 3
		.amdhsa_fp16_overflow 0
		.amdhsa_memory_ordered 1
		.amdhsa_forward_progress 1
		.amdhsa_inst_pref_size 0
		.amdhsa_round_robin_scheduling 0
		.amdhsa_exception_fp_ieee_invalid_op 0
		.amdhsa_exception_fp_denorm_src 0
		.amdhsa_exception_fp_ieee_div_zero 0
		.amdhsa_exception_fp_ieee_overflow 0
		.amdhsa_exception_fp_ieee_underflow 0
		.amdhsa_exception_fp_ieee_inexact 0
		.amdhsa_exception_int_div_zero 0
	.end_amdhsa_kernel
	.section	.text._ZN7rocprim17ROCPRIM_400000_NS6detail17trampoline_kernelINS0_13select_configILj256ELj13ELNS0_17block_load_methodE3ELS4_3ELS4_3ELNS0_20block_scan_algorithmE0ELj4294967295EEENS1_25partition_config_selectorILNS1_17partition_subalgoE4EjNS0_10empty_typeEbEEZZNS1_14partition_implILS8_4ELb0ES6_15HIP_vector_typeIjLj2EENS0_17counting_iteratorIjlEEPS9_SG_NS0_5tupleIJPjSI_NS0_16reverse_iteratorISI_EEEEENSH_IJSG_SG_SG_EEES9_SI_JZNS1_25segmented_radix_sort_implINS0_14default_configELb0EPK12hip_bfloat16PSP_PKlPlN2at6native12_GLOBAL__N_18offset_tEEE10hipError_tPvRmT1_PNSt15iterator_traitsIS13_E10value_typeET2_T3_PNS14_IS19_E10value_typeET4_jRbjT5_S1F_jjP12ihipStream_tbEUljE_ZNSN_ISO_Lb0ESR_SS_SU_SV_SZ_EES10_S11_S12_S13_S17_S18_S19_S1C_S1D_jS1E_jS1F_S1F_jjS1H_bEUljE0_EEES10_S11_S12_S19_S1D_S1F_T6_T7_T9_mT8_S1H_bDpT10_ENKUlT_T0_E_clISt17integral_constantIbLb0EES1U_IbLb1EEEEDaS1Q_S1R_EUlS1Q_E_NS1_11comp_targetILNS1_3genE10ELNS1_11target_archE1200ELNS1_3gpuE4ELNS1_3repE0EEENS1_30default_config_static_selectorELNS0_4arch9wavefront6targetE0EEEvS13_,"axG",@progbits,_ZN7rocprim17ROCPRIM_400000_NS6detail17trampoline_kernelINS0_13select_configILj256ELj13ELNS0_17block_load_methodE3ELS4_3ELS4_3ELNS0_20block_scan_algorithmE0ELj4294967295EEENS1_25partition_config_selectorILNS1_17partition_subalgoE4EjNS0_10empty_typeEbEEZZNS1_14partition_implILS8_4ELb0ES6_15HIP_vector_typeIjLj2EENS0_17counting_iteratorIjlEEPS9_SG_NS0_5tupleIJPjSI_NS0_16reverse_iteratorISI_EEEEENSH_IJSG_SG_SG_EEES9_SI_JZNS1_25segmented_radix_sort_implINS0_14default_configELb0EPK12hip_bfloat16PSP_PKlPlN2at6native12_GLOBAL__N_18offset_tEEE10hipError_tPvRmT1_PNSt15iterator_traitsIS13_E10value_typeET2_T3_PNS14_IS19_E10value_typeET4_jRbjT5_S1F_jjP12ihipStream_tbEUljE_ZNSN_ISO_Lb0ESR_SS_SU_SV_SZ_EES10_S11_S12_S13_S17_S18_S19_S1C_S1D_jS1E_jS1F_S1F_jjS1H_bEUljE0_EEES10_S11_S12_S19_S1D_S1F_T6_T7_T9_mT8_S1H_bDpT10_ENKUlT_T0_E_clISt17integral_constantIbLb0EES1U_IbLb1EEEEDaS1Q_S1R_EUlS1Q_E_NS1_11comp_targetILNS1_3genE10ELNS1_11target_archE1200ELNS1_3gpuE4ELNS1_3repE0EEENS1_30default_config_static_selectorELNS0_4arch9wavefront6targetE0EEEvS13_,comdat
.Lfunc_end2004:
	.size	_ZN7rocprim17ROCPRIM_400000_NS6detail17trampoline_kernelINS0_13select_configILj256ELj13ELNS0_17block_load_methodE3ELS4_3ELS4_3ELNS0_20block_scan_algorithmE0ELj4294967295EEENS1_25partition_config_selectorILNS1_17partition_subalgoE4EjNS0_10empty_typeEbEEZZNS1_14partition_implILS8_4ELb0ES6_15HIP_vector_typeIjLj2EENS0_17counting_iteratorIjlEEPS9_SG_NS0_5tupleIJPjSI_NS0_16reverse_iteratorISI_EEEEENSH_IJSG_SG_SG_EEES9_SI_JZNS1_25segmented_radix_sort_implINS0_14default_configELb0EPK12hip_bfloat16PSP_PKlPlN2at6native12_GLOBAL__N_18offset_tEEE10hipError_tPvRmT1_PNSt15iterator_traitsIS13_E10value_typeET2_T3_PNS14_IS19_E10value_typeET4_jRbjT5_S1F_jjP12ihipStream_tbEUljE_ZNSN_ISO_Lb0ESR_SS_SU_SV_SZ_EES10_S11_S12_S13_S17_S18_S19_S1C_S1D_jS1E_jS1F_S1F_jjS1H_bEUljE0_EEES10_S11_S12_S19_S1D_S1F_T6_T7_T9_mT8_S1H_bDpT10_ENKUlT_T0_E_clISt17integral_constantIbLb0EES1U_IbLb1EEEEDaS1Q_S1R_EUlS1Q_E_NS1_11comp_targetILNS1_3genE10ELNS1_11target_archE1200ELNS1_3gpuE4ELNS1_3repE0EEENS1_30default_config_static_selectorELNS0_4arch9wavefront6targetE0EEEvS13_, .Lfunc_end2004-_ZN7rocprim17ROCPRIM_400000_NS6detail17trampoline_kernelINS0_13select_configILj256ELj13ELNS0_17block_load_methodE3ELS4_3ELS4_3ELNS0_20block_scan_algorithmE0ELj4294967295EEENS1_25partition_config_selectorILNS1_17partition_subalgoE4EjNS0_10empty_typeEbEEZZNS1_14partition_implILS8_4ELb0ES6_15HIP_vector_typeIjLj2EENS0_17counting_iteratorIjlEEPS9_SG_NS0_5tupleIJPjSI_NS0_16reverse_iteratorISI_EEEEENSH_IJSG_SG_SG_EEES9_SI_JZNS1_25segmented_radix_sort_implINS0_14default_configELb0EPK12hip_bfloat16PSP_PKlPlN2at6native12_GLOBAL__N_18offset_tEEE10hipError_tPvRmT1_PNSt15iterator_traitsIS13_E10value_typeET2_T3_PNS14_IS19_E10value_typeET4_jRbjT5_S1F_jjP12ihipStream_tbEUljE_ZNSN_ISO_Lb0ESR_SS_SU_SV_SZ_EES10_S11_S12_S13_S17_S18_S19_S1C_S1D_jS1E_jS1F_S1F_jjS1H_bEUljE0_EEES10_S11_S12_S19_S1D_S1F_T6_T7_T9_mT8_S1H_bDpT10_ENKUlT_T0_E_clISt17integral_constantIbLb0EES1U_IbLb1EEEEDaS1Q_S1R_EUlS1Q_E_NS1_11comp_targetILNS1_3genE10ELNS1_11target_archE1200ELNS1_3gpuE4ELNS1_3repE0EEENS1_30default_config_static_selectorELNS0_4arch9wavefront6targetE0EEEvS13_
                                        ; -- End function
	.set _ZN7rocprim17ROCPRIM_400000_NS6detail17trampoline_kernelINS0_13select_configILj256ELj13ELNS0_17block_load_methodE3ELS4_3ELS4_3ELNS0_20block_scan_algorithmE0ELj4294967295EEENS1_25partition_config_selectorILNS1_17partition_subalgoE4EjNS0_10empty_typeEbEEZZNS1_14partition_implILS8_4ELb0ES6_15HIP_vector_typeIjLj2EENS0_17counting_iteratorIjlEEPS9_SG_NS0_5tupleIJPjSI_NS0_16reverse_iteratorISI_EEEEENSH_IJSG_SG_SG_EEES9_SI_JZNS1_25segmented_radix_sort_implINS0_14default_configELb0EPK12hip_bfloat16PSP_PKlPlN2at6native12_GLOBAL__N_18offset_tEEE10hipError_tPvRmT1_PNSt15iterator_traitsIS13_E10value_typeET2_T3_PNS14_IS19_E10value_typeET4_jRbjT5_S1F_jjP12ihipStream_tbEUljE_ZNSN_ISO_Lb0ESR_SS_SU_SV_SZ_EES10_S11_S12_S13_S17_S18_S19_S1C_S1D_jS1E_jS1F_S1F_jjS1H_bEUljE0_EEES10_S11_S12_S19_S1D_S1F_T6_T7_T9_mT8_S1H_bDpT10_ENKUlT_T0_E_clISt17integral_constantIbLb0EES1U_IbLb1EEEEDaS1Q_S1R_EUlS1Q_E_NS1_11comp_targetILNS1_3genE10ELNS1_11target_archE1200ELNS1_3gpuE4ELNS1_3repE0EEENS1_30default_config_static_selectorELNS0_4arch9wavefront6targetE0EEEvS13_.num_vgpr, 0
	.set _ZN7rocprim17ROCPRIM_400000_NS6detail17trampoline_kernelINS0_13select_configILj256ELj13ELNS0_17block_load_methodE3ELS4_3ELS4_3ELNS0_20block_scan_algorithmE0ELj4294967295EEENS1_25partition_config_selectorILNS1_17partition_subalgoE4EjNS0_10empty_typeEbEEZZNS1_14partition_implILS8_4ELb0ES6_15HIP_vector_typeIjLj2EENS0_17counting_iteratorIjlEEPS9_SG_NS0_5tupleIJPjSI_NS0_16reverse_iteratorISI_EEEEENSH_IJSG_SG_SG_EEES9_SI_JZNS1_25segmented_radix_sort_implINS0_14default_configELb0EPK12hip_bfloat16PSP_PKlPlN2at6native12_GLOBAL__N_18offset_tEEE10hipError_tPvRmT1_PNSt15iterator_traitsIS13_E10value_typeET2_T3_PNS14_IS19_E10value_typeET4_jRbjT5_S1F_jjP12ihipStream_tbEUljE_ZNSN_ISO_Lb0ESR_SS_SU_SV_SZ_EES10_S11_S12_S13_S17_S18_S19_S1C_S1D_jS1E_jS1F_S1F_jjS1H_bEUljE0_EEES10_S11_S12_S19_S1D_S1F_T6_T7_T9_mT8_S1H_bDpT10_ENKUlT_T0_E_clISt17integral_constantIbLb0EES1U_IbLb1EEEEDaS1Q_S1R_EUlS1Q_E_NS1_11comp_targetILNS1_3genE10ELNS1_11target_archE1200ELNS1_3gpuE4ELNS1_3repE0EEENS1_30default_config_static_selectorELNS0_4arch9wavefront6targetE0EEEvS13_.num_agpr, 0
	.set _ZN7rocprim17ROCPRIM_400000_NS6detail17trampoline_kernelINS0_13select_configILj256ELj13ELNS0_17block_load_methodE3ELS4_3ELS4_3ELNS0_20block_scan_algorithmE0ELj4294967295EEENS1_25partition_config_selectorILNS1_17partition_subalgoE4EjNS0_10empty_typeEbEEZZNS1_14partition_implILS8_4ELb0ES6_15HIP_vector_typeIjLj2EENS0_17counting_iteratorIjlEEPS9_SG_NS0_5tupleIJPjSI_NS0_16reverse_iteratorISI_EEEEENSH_IJSG_SG_SG_EEES9_SI_JZNS1_25segmented_radix_sort_implINS0_14default_configELb0EPK12hip_bfloat16PSP_PKlPlN2at6native12_GLOBAL__N_18offset_tEEE10hipError_tPvRmT1_PNSt15iterator_traitsIS13_E10value_typeET2_T3_PNS14_IS19_E10value_typeET4_jRbjT5_S1F_jjP12ihipStream_tbEUljE_ZNSN_ISO_Lb0ESR_SS_SU_SV_SZ_EES10_S11_S12_S13_S17_S18_S19_S1C_S1D_jS1E_jS1F_S1F_jjS1H_bEUljE0_EEES10_S11_S12_S19_S1D_S1F_T6_T7_T9_mT8_S1H_bDpT10_ENKUlT_T0_E_clISt17integral_constantIbLb0EES1U_IbLb1EEEEDaS1Q_S1R_EUlS1Q_E_NS1_11comp_targetILNS1_3genE10ELNS1_11target_archE1200ELNS1_3gpuE4ELNS1_3repE0EEENS1_30default_config_static_selectorELNS0_4arch9wavefront6targetE0EEEvS13_.numbered_sgpr, 0
	.set _ZN7rocprim17ROCPRIM_400000_NS6detail17trampoline_kernelINS0_13select_configILj256ELj13ELNS0_17block_load_methodE3ELS4_3ELS4_3ELNS0_20block_scan_algorithmE0ELj4294967295EEENS1_25partition_config_selectorILNS1_17partition_subalgoE4EjNS0_10empty_typeEbEEZZNS1_14partition_implILS8_4ELb0ES6_15HIP_vector_typeIjLj2EENS0_17counting_iteratorIjlEEPS9_SG_NS0_5tupleIJPjSI_NS0_16reverse_iteratorISI_EEEEENSH_IJSG_SG_SG_EEES9_SI_JZNS1_25segmented_radix_sort_implINS0_14default_configELb0EPK12hip_bfloat16PSP_PKlPlN2at6native12_GLOBAL__N_18offset_tEEE10hipError_tPvRmT1_PNSt15iterator_traitsIS13_E10value_typeET2_T3_PNS14_IS19_E10value_typeET4_jRbjT5_S1F_jjP12ihipStream_tbEUljE_ZNSN_ISO_Lb0ESR_SS_SU_SV_SZ_EES10_S11_S12_S13_S17_S18_S19_S1C_S1D_jS1E_jS1F_S1F_jjS1H_bEUljE0_EEES10_S11_S12_S19_S1D_S1F_T6_T7_T9_mT8_S1H_bDpT10_ENKUlT_T0_E_clISt17integral_constantIbLb0EES1U_IbLb1EEEEDaS1Q_S1R_EUlS1Q_E_NS1_11comp_targetILNS1_3genE10ELNS1_11target_archE1200ELNS1_3gpuE4ELNS1_3repE0EEENS1_30default_config_static_selectorELNS0_4arch9wavefront6targetE0EEEvS13_.num_named_barrier, 0
	.set _ZN7rocprim17ROCPRIM_400000_NS6detail17trampoline_kernelINS0_13select_configILj256ELj13ELNS0_17block_load_methodE3ELS4_3ELS4_3ELNS0_20block_scan_algorithmE0ELj4294967295EEENS1_25partition_config_selectorILNS1_17partition_subalgoE4EjNS0_10empty_typeEbEEZZNS1_14partition_implILS8_4ELb0ES6_15HIP_vector_typeIjLj2EENS0_17counting_iteratorIjlEEPS9_SG_NS0_5tupleIJPjSI_NS0_16reverse_iteratorISI_EEEEENSH_IJSG_SG_SG_EEES9_SI_JZNS1_25segmented_radix_sort_implINS0_14default_configELb0EPK12hip_bfloat16PSP_PKlPlN2at6native12_GLOBAL__N_18offset_tEEE10hipError_tPvRmT1_PNSt15iterator_traitsIS13_E10value_typeET2_T3_PNS14_IS19_E10value_typeET4_jRbjT5_S1F_jjP12ihipStream_tbEUljE_ZNSN_ISO_Lb0ESR_SS_SU_SV_SZ_EES10_S11_S12_S13_S17_S18_S19_S1C_S1D_jS1E_jS1F_S1F_jjS1H_bEUljE0_EEES10_S11_S12_S19_S1D_S1F_T6_T7_T9_mT8_S1H_bDpT10_ENKUlT_T0_E_clISt17integral_constantIbLb0EES1U_IbLb1EEEEDaS1Q_S1R_EUlS1Q_E_NS1_11comp_targetILNS1_3genE10ELNS1_11target_archE1200ELNS1_3gpuE4ELNS1_3repE0EEENS1_30default_config_static_selectorELNS0_4arch9wavefront6targetE0EEEvS13_.private_seg_size, 0
	.set _ZN7rocprim17ROCPRIM_400000_NS6detail17trampoline_kernelINS0_13select_configILj256ELj13ELNS0_17block_load_methodE3ELS4_3ELS4_3ELNS0_20block_scan_algorithmE0ELj4294967295EEENS1_25partition_config_selectorILNS1_17partition_subalgoE4EjNS0_10empty_typeEbEEZZNS1_14partition_implILS8_4ELb0ES6_15HIP_vector_typeIjLj2EENS0_17counting_iteratorIjlEEPS9_SG_NS0_5tupleIJPjSI_NS0_16reverse_iteratorISI_EEEEENSH_IJSG_SG_SG_EEES9_SI_JZNS1_25segmented_radix_sort_implINS0_14default_configELb0EPK12hip_bfloat16PSP_PKlPlN2at6native12_GLOBAL__N_18offset_tEEE10hipError_tPvRmT1_PNSt15iterator_traitsIS13_E10value_typeET2_T3_PNS14_IS19_E10value_typeET4_jRbjT5_S1F_jjP12ihipStream_tbEUljE_ZNSN_ISO_Lb0ESR_SS_SU_SV_SZ_EES10_S11_S12_S13_S17_S18_S19_S1C_S1D_jS1E_jS1F_S1F_jjS1H_bEUljE0_EEES10_S11_S12_S19_S1D_S1F_T6_T7_T9_mT8_S1H_bDpT10_ENKUlT_T0_E_clISt17integral_constantIbLb0EES1U_IbLb1EEEEDaS1Q_S1R_EUlS1Q_E_NS1_11comp_targetILNS1_3genE10ELNS1_11target_archE1200ELNS1_3gpuE4ELNS1_3repE0EEENS1_30default_config_static_selectorELNS0_4arch9wavefront6targetE0EEEvS13_.uses_vcc, 0
	.set _ZN7rocprim17ROCPRIM_400000_NS6detail17trampoline_kernelINS0_13select_configILj256ELj13ELNS0_17block_load_methodE3ELS4_3ELS4_3ELNS0_20block_scan_algorithmE0ELj4294967295EEENS1_25partition_config_selectorILNS1_17partition_subalgoE4EjNS0_10empty_typeEbEEZZNS1_14partition_implILS8_4ELb0ES6_15HIP_vector_typeIjLj2EENS0_17counting_iteratorIjlEEPS9_SG_NS0_5tupleIJPjSI_NS0_16reverse_iteratorISI_EEEEENSH_IJSG_SG_SG_EEES9_SI_JZNS1_25segmented_radix_sort_implINS0_14default_configELb0EPK12hip_bfloat16PSP_PKlPlN2at6native12_GLOBAL__N_18offset_tEEE10hipError_tPvRmT1_PNSt15iterator_traitsIS13_E10value_typeET2_T3_PNS14_IS19_E10value_typeET4_jRbjT5_S1F_jjP12ihipStream_tbEUljE_ZNSN_ISO_Lb0ESR_SS_SU_SV_SZ_EES10_S11_S12_S13_S17_S18_S19_S1C_S1D_jS1E_jS1F_S1F_jjS1H_bEUljE0_EEES10_S11_S12_S19_S1D_S1F_T6_T7_T9_mT8_S1H_bDpT10_ENKUlT_T0_E_clISt17integral_constantIbLb0EES1U_IbLb1EEEEDaS1Q_S1R_EUlS1Q_E_NS1_11comp_targetILNS1_3genE10ELNS1_11target_archE1200ELNS1_3gpuE4ELNS1_3repE0EEENS1_30default_config_static_selectorELNS0_4arch9wavefront6targetE0EEEvS13_.uses_flat_scratch, 0
	.set _ZN7rocprim17ROCPRIM_400000_NS6detail17trampoline_kernelINS0_13select_configILj256ELj13ELNS0_17block_load_methodE3ELS4_3ELS4_3ELNS0_20block_scan_algorithmE0ELj4294967295EEENS1_25partition_config_selectorILNS1_17partition_subalgoE4EjNS0_10empty_typeEbEEZZNS1_14partition_implILS8_4ELb0ES6_15HIP_vector_typeIjLj2EENS0_17counting_iteratorIjlEEPS9_SG_NS0_5tupleIJPjSI_NS0_16reverse_iteratorISI_EEEEENSH_IJSG_SG_SG_EEES9_SI_JZNS1_25segmented_radix_sort_implINS0_14default_configELb0EPK12hip_bfloat16PSP_PKlPlN2at6native12_GLOBAL__N_18offset_tEEE10hipError_tPvRmT1_PNSt15iterator_traitsIS13_E10value_typeET2_T3_PNS14_IS19_E10value_typeET4_jRbjT5_S1F_jjP12ihipStream_tbEUljE_ZNSN_ISO_Lb0ESR_SS_SU_SV_SZ_EES10_S11_S12_S13_S17_S18_S19_S1C_S1D_jS1E_jS1F_S1F_jjS1H_bEUljE0_EEES10_S11_S12_S19_S1D_S1F_T6_T7_T9_mT8_S1H_bDpT10_ENKUlT_T0_E_clISt17integral_constantIbLb0EES1U_IbLb1EEEEDaS1Q_S1R_EUlS1Q_E_NS1_11comp_targetILNS1_3genE10ELNS1_11target_archE1200ELNS1_3gpuE4ELNS1_3repE0EEENS1_30default_config_static_selectorELNS0_4arch9wavefront6targetE0EEEvS13_.has_dyn_sized_stack, 0
	.set _ZN7rocprim17ROCPRIM_400000_NS6detail17trampoline_kernelINS0_13select_configILj256ELj13ELNS0_17block_load_methodE3ELS4_3ELS4_3ELNS0_20block_scan_algorithmE0ELj4294967295EEENS1_25partition_config_selectorILNS1_17partition_subalgoE4EjNS0_10empty_typeEbEEZZNS1_14partition_implILS8_4ELb0ES6_15HIP_vector_typeIjLj2EENS0_17counting_iteratorIjlEEPS9_SG_NS0_5tupleIJPjSI_NS0_16reverse_iteratorISI_EEEEENSH_IJSG_SG_SG_EEES9_SI_JZNS1_25segmented_radix_sort_implINS0_14default_configELb0EPK12hip_bfloat16PSP_PKlPlN2at6native12_GLOBAL__N_18offset_tEEE10hipError_tPvRmT1_PNSt15iterator_traitsIS13_E10value_typeET2_T3_PNS14_IS19_E10value_typeET4_jRbjT5_S1F_jjP12ihipStream_tbEUljE_ZNSN_ISO_Lb0ESR_SS_SU_SV_SZ_EES10_S11_S12_S13_S17_S18_S19_S1C_S1D_jS1E_jS1F_S1F_jjS1H_bEUljE0_EEES10_S11_S12_S19_S1D_S1F_T6_T7_T9_mT8_S1H_bDpT10_ENKUlT_T0_E_clISt17integral_constantIbLb0EES1U_IbLb1EEEEDaS1Q_S1R_EUlS1Q_E_NS1_11comp_targetILNS1_3genE10ELNS1_11target_archE1200ELNS1_3gpuE4ELNS1_3repE0EEENS1_30default_config_static_selectorELNS0_4arch9wavefront6targetE0EEEvS13_.has_recursion, 0
	.set _ZN7rocprim17ROCPRIM_400000_NS6detail17trampoline_kernelINS0_13select_configILj256ELj13ELNS0_17block_load_methodE3ELS4_3ELS4_3ELNS0_20block_scan_algorithmE0ELj4294967295EEENS1_25partition_config_selectorILNS1_17partition_subalgoE4EjNS0_10empty_typeEbEEZZNS1_14partition_implILS8_4ELb0ES6_15HIP_vector_typeIjLj2EENS0_17counting_iteratorIjlEEPS9_SG_NS0_5tupleIJPjSI_NS0_16reverse_iteratorISI_EEEEENSH_IJSG_SG_SG_EEES9_SI_JZNS1_25segmented_radix_sort_implINS0_14default_configELb0EPK12hip_bfloat16PSP_PKlPlN2at6native12_GLOBAL__N_18offset_tEEE10hipError_tPvRmT1_PNSt15iterator_traitsIS13_E10value_typeET2_T3_PNS14_IS19_E10value_typeET4_jRbjT5_S1F_jjP12ihipStream_tbEUljE_ZNSN_ISO_Lb0ESR_SS_SU_SV_SZ_EES10_S11_S12_S13_S17_S18_S19_S1C_S1D_jS1E_jS1F_S1F_jjS1H_bEUljE0_EEES10_S11_S12_S19_S1D_S1F_T6_T7_T9_mT8_S1H_bDpT10_ENKUlT_T0_E_clISt17integral_constantIbLb0EES1U_IbLb1EEEEDaS1Q_S1R_EUlS1Q_E_NS1_11comp_targetILNS1_3genE10ELNS1_11target_archE1200ELNS1_3gpuE4ELNS1_3repE0EEENS1_30default_config_static_selectorELNS0_4arch9wavefront6targetE0EEEvS13_.has_indirect_call, 0
	.section	.AMDGPU.csdata,"",@progbits
; Kernel info:
; codeLenInByte = 0
; TotalNumSgprs: 0
; NumVgprs: 0
; ScratchSize: 0
; MemoryBound: 0
; FloatMode: 240
; IeeeMode: 1
; LDSByteSize: 0 bytes/workgroup (compile time only)
; SGPRBlocks: 0
; VGPRBlocks: 0
; NumSGPRsForWavesPerEU: 1
; NumVGPRsForWavesPerEU: 1
; NamedBarCnt: 0
; Occupancy: 16
; WaveLimiterHint : 0
; COMPUTE_PGM_RSRC2:SCRATCH_EN: 0
; COMPUTE_PGM_RSRC2:USER_SGPR: 2
; COMPUTE_PGM_RSRC2:TRAP_HANDLER: 0
; COMPUTE_PGM_RSRC2:TGID_X_EN: 1
; COMPUTE_PGM_RSRC2:TGID_Y_EN: 0
; COMPUTE_PGM_RSRC2:TGID_Z_EN: 0
; COMPUTE_PGM_RSRC2:TIDIG_COMP_CNT: 0
	.section	.text._ZN7rocprim17ROCPRIM_400000_NS6detail17trampoline_kernelINS0_13select_configILj256ELj13ELNS0_17block_load_methodE3ELS4_3ELS4_3ELNS0_20block_scan_algorithmE0ELj4294967295EEENS1_25partition_config_selectorILNS1_17partition_subalgoE4EjNS0_10empty_typeEbEEZZNS1_14partition_implILS8_4ELb0ES6_15HIP_vector_typeIjLj2EENS0_17counting_iteratorIjlEEPS9_SG_NS0_5tupleIJPjSI_NS0_16reverse_iteratorISI_EEEEENSH_IJSG_SG_SG_EEES9_SI_JZNS1_25segmented_radix_sort_implINS0_14default_configELb0EPK12hip_bfloat16PSP_PKlPlN2at6native12_GLOBAL__N_18offset_tEEE10hipError_tPvRmT1_PNSt15iterator_traitsIS13_E10value_typeET2_T3_PNS14_IS19_E10value_typeET4_jRbjT5_S1F_jjP12ihipStream_tbEUljE_ZNSN_ISO_Lb0ESR_SS_SU_SV_SZ_EES10_S11_S12_S13_S17_S18_S19_S1C_S1D_jS1E_jS1F_S1F_jjS1H_bEUljE0_EEES10_S11_S12_S19_S1D_S1F_T6_T7_T9_mT8_S1H_bDpT10_ENKUlT_T0_E_clISt17integral_constantIbLb0EES1U_IbLb1EEEEDaS1Q_S1R_EUlS1Q_E_NS1_11comp_targetILNS1_3genE9ELNS1_11target_archE1100ELNS1_3gpuE3ELNS1_3repE0EEENS1_30default_config_static_selectorELNS0_4arch9wavefront6targetE0EEEvS13_,"axG",@progbits,_ZN7rocprim17ROCPRIM_400000_NS6detail17trampoline_kernelINS0_13select_configILj256ELj13ELNS0_17block_load_methodE3ELS4_3ELS4_3ELNS0_20block_scan_algorithmE0ELj4294967295EEENS1_25partition_config_selectorILNS1_17partition_subalgoE4EjNS0_10empty_typeEbEEZZNS1_14partition_implILS8_4ELb0ES6_15HIP_vector_typeIjLj2EENS0_17counting_iteratorIjlEEPS9_SG_NS0_5tupleIJPjSI_NS0_16reverse_iteratorISI_EEEEENSH_IJSG_SG_SG_EEES9_SI_JZNS1_25segmented_radix_sort_implINS0_14default_configELb0EPK12hip_bfloat16PSP_PKlPlN2at6native12_GLOBAL__N_18offset_tEEE10hipError_tPvRmT1_PNSt15iterator_traitsIS13_E10value_typeET2_T3_PNS14_IS19_E10value_typeET4_jRbjT5_S1F_jjP12ihipStream_tbEUljE_ZNSN_ISO_Lb0ESR_SS_SU_SV_SZ_EES10_S11_S12_S13_S17_S18_S19_S1C_S1D_jS1E_jS1F_S1F_jjS1H_bEUljE0_EEES10_S11_S12_S19_S1D_S1F_T6_T7_T9_mT8_S1H_bDpT10_ENKUlT_T0_E_clISt17integral_constantIbLb0EES1U_IbLb1EEEEDaS1Q_S1R_EUlS1Q_E_NS1_11comp_targetILNS1_3genE9ELNS1_11target_archE1100ELNS1_3gpuE3ELNS1_3repE0EEENS1_30default_config_static_selectorELNS0_4arch9wavefront6targetE0EEEvS13_,comdat
	.globl	_ZN7rocprim17ROCPRIM_400000_NS6detail17trampoline_kernelINS0_13select_configILj256ELj13ELNS0_17block_load_methodE3ELS4_3ELS4_3ELNS0_20block_scan_algorithmE0ELj4294967295EEENS1_25partition_config_selectorILNS1_17partition_subalgoE4EjNS0_10empty_typeEbEEZZNS1_14partition_implILS8_4ELb0ES6_15HIP_vector_typeIjLj2EENS0_17counting_iteratorIjlEEPS9_SG_NS0_5tupleIJPjSI_NS0_16reverse_iteratorISI_EEEEENSH_IJSG_SG_SG_EEES9_SI_JZNS1_25segmented_radix_sort_implINS0_14default_configELb0EPK12hip_bfloat16PSP_PKlPlN2at6native12_GLOBAL__N_18offset_tEEE10hipError_tPvRmT1_PNSt15iterator_traitsIS13_E10value_typeET2_T3_PNS14_IS19_E10value_typeET4_jRbjT5_S1F_jjP12ihipStream_tbEUljE_ZNSN_ISO_Lb0ESR_SS_SU_SV_SZ_EES10_S11_S12_S13_S17_S18_S19_S1C_S1D_jS1E_jS1F_S1F_jjS1H_bEUljE0_EEES10_S11_S12_S19_S1D_S1F_T6_T7_T9_mT8_S1H_bDpT10_ENKUlT_T0_E_clISt17integral_constantIbLb0EES1U_IbLb1EEEEDaS1Q_S1R_EUlS1Q_E_NS1_11comp_targetILNS1_3genE9ELNS1_11target_archE1100ELNS1_3gpuE3ELNS1_3repE0EEENS1_30default_config_static_selectorELNS0_4arch9wavefront6targetE0EEEvS13_ ; -- Begin function _ZN7rocprim17ROCPRIM_400000_NS6detail17trampoline_kernelINS0_13select_configILj256ELj13ELNS0_17block_load_methodE3ELS4_3ELS4_3ELNS0_20block_scan_algorithmE0ELj4294967295EEENS1_25partition_config_selectorILNS1_17partition_subalgoE4EjNS0_10empty_typeEbEEZZNS1_14partition_implILS8_4ELb0ES6_15HIP_vector_typeIjLj2EENS0_17counting_iteratorIjlEEPS9_SG_NS0_5tupleIJPjSI_NS0_16reverse_iteratorISI_EEEEENSH_IJSG_SG_SG_EEES9_SI_JZNS1_25segmented_radix_sort_implINS0_14default_configELb0EPK12hip_bfloat16PSP_PKlPlN2at6native12_GLOBAL__N_18offset_tEEE10hipError_tPvRmT1_PNSt15iterator_traitsIS13_E10value_typeET2_T3_PNS14_IS19_E10value_typeET4_jRbjT5_S1F_jjP12ihipStream_tbEUljE_ZNSN_ISO_Lb0ESR_SS_SU_SV_SZ_EES10_S11_S12_S13_S17_S18_S19_S1C_S1D_jS1E_jS1F_S1F_jjS1H_bEUljE0_EEES10_S11_S12_S19_S1D_S1F_T6_T7_T9_mT8_S1H_bDpT10_ENKUlT_T0_E_clISt17integral_constantIbLb0EES1U_IbLb1EEEEDaS1Q_S1R_EUlS1Q_E_NS1_11comp_targetILNS1_3genE9ELNS1_11target_archE1100ELNS1_3gpuE3ELNS1_3repE0EEENS1_30default_config_static_selectorELNS0_4arch9wavefront6targetE0EEEvS13_
	.p2align	8
	.type	_ZN7rocprim17ROCPRIM_400000_NS6detail17trampoline_kernelINS0_13select_configILj256ELj13ELNS0_17block_load_methodE3ELS4_3ELS4_3ELNS0_20block_scan_algorithmE0ELj4294967295EEENS1_25partition_config_selectorILNS1_17partition_subalgoE4EjNS0_10empty_typeEbEEZZNS1_14partition_implILS8_4ELb0ES6_15HIP_vector_typeIjLj2EENS0_17counting_iteratorIjlEEPS9_SG_NS0_5tupleIJPjSI_NS0_16reverse_iteratorISI_EEEEENSH_IJSG_SG_SG_EEES9_SI_JZNS1_25segmented_radix_sort_implINS0_14default_configELb0EPK12hip_bfloat16PSP_PKlPlN2at6native12_GLOBAL__N_18offset_tEEE10hipError_tPvRmT1_PNSt15iterator_traitsIS13_E10value_typeET2_T3_PNS14_IS19_E10value_typeET4_jRbjT5_S1F_jjP12ihipStream_tbEUljE_ZNSN_ISO_Lb0ESR_SS_SU_SV_SZ_EES10_S11_S12_S13_S17_S18_S19_S1C_S1D_jS1E_jS1F_S1F_jjS1H_bEUljE0_EEES10_S11_S12_S19_S1D_S1F_T6_T7_T9_mT8_S1H_bDpT10_ENKUlT_T0_E_clISt17integral_constantIbLb0EES1U_IbLb1EEEEDaS1Q_S1R_EUlS1Q_E_NS1_11comp_targetILNS1_3genE9ELNS1_11target_archE1100ELNS1_3gpuE3ELNS1_3repE0EEENS1_30default_config_static_selectorELNS0_4arch9wavefront6targetE0EEEvS13_,@function
_ZN7rocprim17ROCPRIM_400000_NS6detail17trampoline_kernelINS0_13select_configILj256ELj13ELNS0_17block_load_methodE3ELS4_3ELS4_3ELNS0_20block_scan_algorithmE0ELj4294967295EEENS1_25partition_config_selectorILNS1_17partition_subalgoE4EjNS0_10empty_typeEbEEZZNS1_14partition_implILS8_4ELb0ES6_15HIP_vector_typeIjLj2EENS0_17counting_iteratorIjlEEPS9_SG_NS0_5tupleIJPjSI_NS0_16reverse_iteratorISI_EEEEENSH_IJSG_SG_SG_EEES9_SI_JZNS1_25segmented_radix_sort_implINS0_14default_configELb0EPK12hip_bfloat16PSP_PKlPlN2at6native12_GLOBAL__N_18offset_tEEE10hipError_tPvRmT1_PNSt15iterator_traitsIS13_E10value_typeET2_T3_PNS14_IS19_E10value_typeET4_jRbjT5_S1F_jjP12ihipStream_tbEUljE_ZNSN_ISO_Lb0ESR_SS_SU_SV_SZ_EES10_S11_S12_S13_S17_S18_S19_S1C_S1D_jS1E_jS1F_S1F_jjS1H_bEUljE0_EEES10_S11_S12_S19_S1D_S1F_T6_T7_T9_mT8_S1H_bDpT10_ENKUlT_T0_E_clISt17integral_constantIbLb0EES1U_IbLb1EEEEDaS1Q_S1R_EUlS1Q_E_NS1_11comp_targetILNS1_3genE9ELNS1_11target_archE1100ELNS1_3gpuE3ELNS1_3repE0EEENS1_30default_config_static_selectorELNS0_4arch9wavefront6targetE0EEEvS13_: ; @_ZN7rocprim17ROCPRIM_400000_NS6detail17trampoline_kernelINS0_13select_configILj256ELj13ELNS0_17block_load_methodE3ELS4_3ELS4_3ELNS0_20block_scan_algorithmE0ELj4294967295EEENS1_25partition_config_selectorILNS1_17partition_subalgoE4EjNS0_10empty_typeEbEEZZNS1_14partition_implILS8_4ELb0ES6_15HIP_vector_typeIjLj2EENS0_17counting_iteratorIjlEEPS9_SG_NS0_5tupleIJPjSI_NS0_16reverse_iteratorISI_EEEEENSH_IJSG_SG_SG_EEES9_SI_JZNS1_25segmented_radix_sort_implINS0_14default_configELb0EPK12hip_bfloat16PSP_PKlPlN2at6native12_GLOBAL__N_18offset_tEEE10hipError_tPvRmT1_PNSt15iterator_traitsIS13_E10value_typeET2_T3_PNS14_IS19_E10value_typeET4_jRbjT5_S1F_jjP12ihipStream_tbEUljE_ZNSN_ISO_Lb0ESR_SS_SU_SV_SZ_EES10_S11_S12_S13_S17_S18_S19_S1C_S1D_jS1E_jS1F_S1F_jjS1H_bEUljE0_EEES10_S11_S12_S19_S1D_S1F_T6_T7_T9_mT8_S1H_bDpT10_ENKUlT_T0_E_clISt17integral_constantIbLb0EES1U_IbLb1EEEEDaS1Q_S1R_EUlS1Q_E_NS1_11comp_targetILNS1_3genE9ELNS1_11target_archE1100ELNS1_3gpuE3ELNS1_3repE0EEENS1_30default_config_static_selectorELNS0_4arch9wavefront6targetE0EEEvS13_
; %bb.0:
	.section	.rodata,"a",@progbits
	.p2align	6, 0x0
	.amdhsa_kernel _ZN7rocprim17ROCPRIM_400000_NS6detail17trampoline_kernelINS0_13select_configILj256ELj13ELNS0_17block_load_methodE3ELS4_3ELS4_3ELNS0_20block_scan_algorithmE0ELj4294967295EEENS1_25partition_config_selectorILNS1_17partition_subalgoE4EjNS0_10empty_typeEbEEZZNS1_14partition_implILS8_4ELb0ES6_15HIP_vector_typeIjLj2EENS0_17counting_iteratorIjlEEPS9_SG_NS0_5tupleIJPjSI_NS0_16reverse_iteratorISI_EEEEENSH_IJSG_SG_SG_EEES9_SI_JZNS1_25segmented_radix_sort_implINS0_14default_configELb0EPK12hip_bfloat16PSP_PKlPlN2at6native12_GLOBAL__N_18offset_tEEE10hipError_tPvRmT1_PNSt15iterator_traitsIS13_E10value_typeET2_T3_PNS14_IS19_E10value_typeET4_jRbjT5_S1F_jjP12ihipStream_tbEUljE_ZNSN_ISO_Lb0ESR_SS_SU_SV_SZ_EES10_S11_S12_S13_S17_S18_S19_S1C_S1D_jS1E_jS1F_S1F_jjS1H_bEUljE0_EEES10_S11_S12_S19_S1D_S1F_T6_T7_T9_mT8_S1H_bDpT10_ENKUlT_T0_E_clISt17integral_constantIbLb0EES1U_IbLb1EEEEDaS1Q_S1R_EUlS1Q_E_NS1_11comp_targetILNS1_3genE9ELNS1_11target_archE1100ELNS1_3gpuE3ELNS1_3repE0EEENS1_30default_config_static_selectorELNS0_4arch9wavefront6targetE0EEEvS13_
		.amdhsa_group_segment_fixed_size 0
		.amdhsa_private_segment_fixed_size 0
		.amdhsa_kernarg_size 184
		.amdhsa_user_sgpr_count 2
		.amdhsa_user_sgpr_dispatch_ptr 0
		.amdhsa_user_sgpr_queue_ptr 0
		.amdhsa_user_sgpr_kernarg_segment_ptr 1
		.amdhsa_user_sgpr_dispatch_id 0
		.amdhsa_user_sgpr_kernarg_preload_length 0
		.amdhsa_user_sgpr_kernarg_preload_offset 0
		.amdhsa_user_sgpr_private_segment_size 0
		.amdhsa_wavefront_size32 1
		.amdhsa_uses_dynamic_stack 0
		.amdhsa_enable_private_segment 0
		.amdhsa_system_sgpr_workgroup_id_x 1
		.amdhsa_system_sgpr_workgroup_id_y 0
		.amdhsa_system_sgpr_workgroup_id_z 0
		.amdhsa_system_sgpr_workgroup_info 0
		.amdhsa_system_vgpr_workitem_id 0
		.amdhsa_next_free_vgpr 1
		.amdhsa_next_free_sgpr 1
		.amdhsa_named_barrier_count 0
		.amdhsa_reserve_vcc 0
		.amdhsa_float_round_mode_32 0
		.amdhsa_float_round_mode_16_64 0
		.amdhsa_float_denorm_mode_32 3
		.amdhsa_float_denorm_mode_16_64 3
		.amdhsa_fp16_overflow 0
		.amdhsa_memory_ordered 1
		.amdhsa_forward_progress 1
		.amdhsa_inst_pref_size 0
		.amdhsa_round_robin_scheduling 0
		.amdhsa_exception_fp_ieee_invalid_op 0
		.amdhsa_exception_fp_denorm_src 0
		.amdhsa_exception_fp_ieee_div_zero 0
		.amdhsa_exception_fp_ieee_overflow 0
		.amdhsa_exception_fp_ieee_underflow 0
		.amdhsa_exception_fp_ieee_inexact 0
		.amdhsa_exception_int_div_zero 0
	.end_amdhsa_kernel
	.section	.text._ZN7rocprim17ROCPRIM_400000_NS6detail17trampoline_kernelINS0_13select_configILj256ELj13ELNS0_17block_load_methodE3ELS4_3ELS4_3ELNS0_20block_scan_algorithmE0ELj4294967295EEENS1_25partition_config_selectorILNS1_17partition_subalgoE4EjNS0_10empty_typeEbEEZZNS1_14partition_implILS8_4ELb0ES6_15HIP_vector_typeIjLj2EENS0_17counting_iteratorIjlEEPS9_SG_NS0_5tupleIJPjSI_NS0_16reverse_iteratorISI_EEEEENSH_IJSG_SG_SG_EEES9_SI_JZNS1_25segmented_radix_sort_implINS0_14default_configELb0EPK12hip_bfloat16PSP_PKlPlN2at6native12_GLOBAL__N_18offset_tEEE10hipError_tPvRmT1_PNSt15iterator_traitsIS13_E10value_typeET2_T3_PNS14_IS19_E10value_typeET4_jRbjT5_S1F_jjP12ihipStream_tbEUljE_ZNSN_ISO_Lb0ESR_SS_SU_SV_SZ_EES10_S11_S12_S13_S17_S18_S19_S1C_S1D_jS1E_jS1F_S1F_jjS1H_bEUljE0_EEES10_S11_S12_S19_S1D_S1F_T6_T7_T9_mT8_S1H_bDpT10_ENKUlT_T0_E_clISt17integral_constantIbLb0EES1U_IbLb1EEEEDaS1Q_S1R_EUlS1Q_E_NS1_11comp_targetILNS1_3genE9ELNS1_11target_archE1100ELNS1_3gpuE3ELNS1_3repE0EEENS1_30default_config_static_selectorELNS0_4arch9wavefront6targetE0EEEvS13_,"axG",@progbits,_ZN7rocprim17ROCPRIM_400000_NS6detail17trampoline_kernelINS0_13select_configILj256ELj13ELNS0_17block_load_methodE3ELS4_3ELS4_3ELNS0_20block_scan_algorithmE0ELj4294967295EEENS1_25partition_config_selectorILNS1_17partition_subalgoE4EjNS0_10empty_typeEbEEZZNS1_14partition_implILS8_4ELb0ES6_15HIP_vector_typeIjLj2EENS0_17counting_iteratorIjlEEPS9_SG_NS0_5tupleIJPjSI_NS0_16reverse_iteratorISI_EEEEENSH_IJSG_SG_SG_EEES9_SI_JZNS1_25segmented_radix_sort_implINS0_14default_configELb0EPK12hip_bfloat16PSP_PKlPlN2at6native12_GLOBAL__N_18offset_tEEE10hipError_tPvRmT1_PNSt15iterator_traitsIS13_E10value_typeET2_T3_PNS14_IS19_E10value_typeET4_jRbjT5_S1F_jjP12ihipStream_tbEUljE_ZNSN_ISO_Lb0ESR_SS_SU_SV_SZ_EES10_S11_S12_S13_S17_S18_S19_S1C_S1D_jS1E_jS1F_S1F_jjS1H_bEUljE0_EEES10_S11_S12_S19_S1D_S1F_T6_T7_T9_mT8_S1H_bDpT10_ENKUlT_T0_E_clISt17integral_constantIbLb0EES1U_IbLb1EEEEDaS1Q_S1R_EUlS1Q_E_NS1_11comp_targetILNS1_3genE9ELNS1_11target_archE1100ELNS1_3gpuE3ELNS1_3repE0EEENS1_30default_config_static_selectorELNS0_4arch9wavefront6targetE0EEEvS13_,comdat
.Lfunc_end2005:
	.size	_ZN7rocprim17ROCPRIM_400000_NS6detail17trampoline_kernelINS0_13select_configILj256ELj13ELNS0_17block_load_methodE3ELS4_3ELS4_3ELNS0_20block_scan_algorithmE0ELj4294967295EEENS1_25partition_config_selectorILNS1_17partition_subalgoE4EjNS0_10empty_typeEbEEZZNS1_14partition_implILS8_4ELb0ES6_15HIP_vector_typeIjLj2EENS0_17counting_iteratorIjlEEPS9_SG_NS0_5tupleIJPjSI_NS0_16reverse_iteratorISI_EEEEENSH_IJSG_SG_SG_EEES9_SI_JZNS1_25segmented_radix_sort_implINS0_14default_configELb0EPK12hip_bfloat16PSP_PKlPlN2at6native12_GLOBAL__N_18offset_tEEE10hipError_tPvRmT1_PNSt15iterator_traitsIS13_E10value_typeET2_T3_PNS14_IS19_E10value_typeET4_jRbjT5_S1F_jjP12ihipStream_tbEUljE_ZNSN_ISO_Lb0ESR_SS_SU_SV_SZ_EES10_S11_S12_S13_S17_S18_S19_S1C_S1D_jS1E_jS1F_S1F_jjS1H_bEUljE0_EEES10_S11_S12_S19_S1D_S1F_T6_T7_T9_mT8_S1H_bDpT10_ENKUlT_T0_E_clISt17integral_constantIbLb0EES1U_IbLb1EEEEDaS1Q_S1R_EUlS1Q_E_NS1_11comp_targetILNS1_3genE9ELNS1_11target_archE1100ELNS1_3gpuE3ELNS1_3repE0EEENS1_30default_config_static_selectorELNS0_4arch9wavefront6targetE0EEEvS13_, .Lfunc_end2005-_ZN7rocprim17ROCPRIM_400000_NS6detail17trampoline_kernelINS0_13select_configILj256ELj13ELNS0_17block_load_methodE3ELS4_3ELS4_3ELNS0_20block_scan_algorithmE0ELj4294967295EEENS1_25partition_config_selectorILNS1_17partition_subalgoE4EjNS0_10empty_typeEbEEZZNS1_14partition_implILS8_4ELb0ES6_15HIP_vector_typeIjLj2EENS0_17counting_iteratorIjlEEPS9_SG_NS0_5tupleIJPjSI_NS0_16reverse_iteratorISI_EEEEENSH_IJSG_SG_SG_EEES9_SI_JZNS1_25segmented_radix_sort_implINS0_14default_configELb0EPK12hip_bfloat16PSP_PKlPlN2at6native12_GLOBAL__N_18offset_tEEE10hipError_tPvRmT1_PNSt15iterator_traitsIS13_E10value_typeET2_T3_PNS14_IS19_E10value_typeET4_jRbjT5_S1F_jjP12ihipStream_tbEUljE_ZNSN_ISO_Lb0ESR_SS_SU_SV_SZ_EES10_S11_S12_S13_S17_S18_S19_S1C_S1D_jS1E_jS1F_S1F_jjS1H_bEUljE0_EEES10_S11_S12_S19_S1D_S1F_T6_T7_T9_mT8_S1H_bDpT10_ENKUlT_T0_E_clISt17integral_constantIbLb0EES1U_IbLb1EEEEDaS1Q_S1R_EUlS1Q_E_NS1_11comp_targetILNS1_3genE9ELNS1_11target_archE1100ELNS1_3gpuE3ELNS1_3repE0EEENS1_30default_config_static_selectorELNS0_4arch9wavefront6targetE0EEEvS13_
                                        ; -- End function
	.set _ZN7rocprim17ROCPRIM_400000_NS6detail17trampoline_kernelINS0_13select_configILj256ELj13ELNS0_17block_load_methodE3ELS4_3ELS4_3ELNS0_20block_scan_algorithmE0ELj4294967295EEENS1_25partition_config_selectorILNS1_17partition_subalgoE4EjNS0_10empty_typeEbEEZZNS1_14partition_implILS8_4ELb0ES6_15HIP_vector_typeIjLj2EENS0_17counting_iteratorIjlEEPS9_SG_NS0_5tupleIJPjSI_NS0_16reverse_iteratorISI_EEEEENSH_IJSG_SG_SG_EEES9_SI_JZNS1_25segmented_radix_sort_implINS0_14default_configELb0EPK12hip_bfloat16PSP_PKlPlN2at6native12_GLOBAL__N_18offset_tEEE10hipError_tPvRmT1_PNSt15iterator_traitsIS13_E10value_typeET2_T3_PNS14_IS19_E10value_typeET4_jRbjT5_S1F_jjP12ihipStream_tbEUljE_ZNSN_ISO_Lb0ESR_SS_SU_SV_SZ_EES10_S11_S12_S13_S17_S18_S19_S1C_S1D_jS1E_jS1F_S1F_jjS1H_bEUljE0_EEES10_S11_S12_S19_S1D_S1F_T6_T7_T9_mT8_S1H_bDpT10_ENKUlT_T0_E_clISt17integral_constantIbLb0EES1U_IbLb1EEEEDaS1Q_S1R_EUlS1Q_E_NS1_11comp_targetILNS1_3genE9ELNS1_11target_archE1100ELNS1_3gpuE3ELNS1_3repE0EEENS1_30default_config_static_selectorELNS0_4arch9wavefront6targetE0EEEvS13_.num_vgpr, 0
	.set _ZN7rocprim17ROCPRIM_400000_NS6detail17trampoline_kernelINS0_13select_configILj256ELj13ELNS0_17block_load_methodE3ELS4_3ELS4_3ELNS0_20block_scan_algorithmE0ELj4294967295EEENS1_25partition_config_selectorILNS1_17partition_subalgoE4EjNS0_10empty_typeEbEEZZNS1_14partition_implILS8_4ELb0ES6_15HIP_vector_typeIjLj2EENS0_17counting_iteratorIjlEEPS9_SG_NS0_5tupleIJPjSI_NS0_16reverse_iteratorISI_EEEEENSH_IJSG_SG_SG_EEES9_SI_JZNS1_25segmented_radix_sort_implINS0_14default_configELb0EPK12hip_bfloat16PSP_PKlPlN2at6native12_GLOBAL__N_18offset_tEEE10hipError_tPvRmT1_PNSt15iterator_traitsIS13_E10value_typeET2_T3_PNS14_IS19_E10value_typeET4_jRbjT5_S1F_jjP12ihipStream_tbEUljE_ZNSN_ISO_Lb0ESR_SS_SU_SV_SZ_EES10_S11_S12_S13_S17_S18_S19_S1C_S1D_jS1E_jS1F_S1F_jjS1H_bEUljE0_EEES10_S11_S12_S19_S1D_S1F_T6_T7_T9_mT8_S1H_bDpT10_ENKUlT_T0_E_clISt17integral_constantIbLb0EES1U_IbLb1EEEEDaS1Q_S1R_EUlS1Q_E_NS1_11comp_targetILNS1_3genE9ELNS1_11target_archE1100ELNS1_3gpuE3ELNS1_3repE0EEENS1_30default_config_static_selectorELNS0_4arch9wavefront6targetE0EEEvS13_.num_agpr, 0
	.set _ZN7rocprim17ROCPRIM_400000_NS6detail17trampoline_kernelINS0_13select_configILj256ELj13ELNS0_17block_load_methodE3ELS4_3ELS4_3ELNS0_20block_scan_algorithmE0ELj4294967295EEENS1_25partition_config_selectorILNS1_17partition_subalgoE4EjNS0_10empty_typeEbEEZZNS1_14partition_implILS8_4ELb0ES6_15HIP_vector_typeIjLj2EENS0_17counting_iteratorIjlEEPS9_SG_NS0_5tupleIJPjSI_NS0_16reverse_iteratorISI_EEEEENSH_IJSG_SG_SG_EEES9_SI_JZNS1_25segmented_radix_sort_implINS0_14default_configELb0EPK12hip_bfloat16PSP_PKlPlN2at6native12_GLOBAL__N_18offset_tEEE10hipError_tPvRmT1_PNSt15iterator_traitsIS13_E10value_typeET2_T3_PNS14_IS19_E10value_typeET4_jRbjT5_S1F_jjP12ihipStream_tbEUljE_ZNSN_ISO_Lb0ESR_SS_SU_SV_SZ_EES10_S11_S12_S13_S17_S18_S19_S1C_S1D_jS1E_jS1F_S1F_jjS1H_bEUljE0_EEES10_S11_S12_S19_S1D_S1F_T6_T7_T9_mT8_S1H_bDpT10_ENKUlT_T0_E_clISt17integral_constantIbLb0EES1U_IbLb1EEEEDaS1Q_S1R_EUlS1Q_E_NS1_11comp_targetILNS1_3genE9ELNS1_11target_archE1100ELNS1_3gpuE3ELNS1_3repE0EEENS1_30default_config_static_selectorELNS0_4arch9wavefront6targetE0EEEvS13_.numbered_sgpr, 0
	.set _ZN7rocprim17ROCPRIM_400000_NS6detail17trampoline_kernelINS0_13select_configILj256ELj13ELNS0_17block_load_methodE3ELS4_3ELS4_3ELNS0_20block_scan_algorithmE0ELj4294967295EEENS1_25partition_config_selectorILNS1_17partition_subalgoE4EjNS0_10empty_typeEbEEZZNS1_14partition_implILS8_4ELb0ES6_15HIP_vector_typeIjLj2EENS0_17counting_iteratorIjlEEPS9_SG_NS0_5tupleIJPjSI_NS0_16reverse_iteratorISI_EEEEENSH_IJSG_SG_SG_EEES9_SI_JZNS1_25segmented_radix_sort_implINS0_14default_configELb0EPK12hip_bfloat16PSP_PKlPlN2at6native12_GLOBAL__N_18offset_tEEE10hipError_tPvRmT1_PNSt15iterator_traitsIS13_E10value_typeET2_T3_PNS14_IS19_E10value_typeET4_jRbjT5_S1F_jjP12ihipStream_tbEUljE_ZNSN_ISO_Lb0ESR_SS_SU_SV_SZ_EES10_S11_S12_S13_S17_S18_S19_S1C_S1D_jS1E_jS1F_S1F_jjS1H_bEUljE0_EEES10_S11_S12_S19_S1D_S1F_T6_T7_T9_mT8_S1H_bDpT10_ENKUlT_T0_E_clISt17integral_constantIbLb0EES1U_IbLb1EEEEDaS1Q_S1R_EUlS1Q_E_NS1_11comp_targetILNS1_3genE9ELNS1_11target_archE1100ELNS1_3gpuE3ELNS1_3repE0EEENS1_30default_config_static_selectorELNS0_4arch9wavefront6targetE0EEEvS13_.num_named_barrier, 0
	.set _ZN7rocprim17ROCPRIM_400000_NS6detail17trampoline_kernelINS0_13select_configILj256ELj13ELNS0_17block_load_methodE3ELS4_3ELS4_3ELNS0_20block_scan_algorithmE0ELj4294967295EEENS1_25partition_config_selectorILNS1_17partition_subalgoE4EjNS0_10empty_typeEbEEZZNS1_14partition_implILS8_4ELb0ES6_15HIP_vector_typeIjLj2EENS0_17counting_iteratorIjlEEPS9_SG_NS0_5tupleIJPjSI_NS0_16reverse_iteratorISI_EEEEENSH_IJSG_SG_SG_EEES9_SI_JZNS1_25segmented_radix_sort_implINS0_14default_configELb0EPK12hip_bfloat16PSP_PKlPlN2at6native12_GLOBAL__N_18offset_tEEE10hipError_tPvRmT1_PNSt15iterator_traitsIS13_E10value_typeET2_T3_PNS14_IS19_E10value_typeET4_jRbjT5_S1F_jjP12ihipStream_tbEUljE_ZNSN_ISO_Lb0ESR_SS_SU_SV_SZ_EES10_S11_S12_S13_S17_S18_S19_S1C_S1D_jS1E_jS1F_S1F_jjS1H_bEUljE0_EEES10_S11_S12_S19_S1D_S1F_T6_T7_T9_mT8_S1H_bDpT10_ENKUlT_T0_E_clISt17integral_constantIbLb0EES1U_IbLb1EEEEDaS1Q_S1R_EUlS1Q_E_NS1_11comp_targetILNS1_3genE9ELNS1_11target_archE1100ELNS1_3gpuE3ELNS1_3repE0EEENS1_30default_config_static_selectorELNS0_4arch9wavefront6targetE0EEEvS13_.private_seg_size, 0
	.set _ZN7rocprim17ROCPRIM_400000_NS6detail17trampoline_kernelINS0_13select_configILj256ELj13ELNS0_17block_load_methodE3ELS4_3ELS4_3ELNS0_20block_scan_algorithmE0ELj4294967295EEENS1_25partition_config_selectorILNS1_17partition_subalgoE4EjNS0_10empty_typeEbEEZZNS1_14partition_implILS8_4ELb0ES6_15HIP_vector_typeIjLj2EENS0_17counting_iteratorIjlEEPS9_SG_NS0_5tupleIJPjSI_NS0_16reverse_iteratorISI_EEEEENSH_IJSG_SG_SG_EEES9_SI_JZNS1_25segmented_radix_sort_implINS0_14default_configELb0EPK12hip_bfloat16PSP_PKlPlN2at6native12_GLOBAL__N_18offset_tEEE10hipError_tPvRmT1_PNSt15iterator_traitsIS13_E10value_typeET2_T3_PNS14_IS19_E10value_typeET4_jRbjT5_S1F_jjP12ihipStream_tbEUljE_ZNSN_ISO_Lb0ESR_SS_SU_SV_SZ_EES10_S11_S12_S13_S17_S18_S19_S1C_S1D_jS1E_jS1F_S1F_jjS1H_bEUljE0_EEES10_S11_S12_S19_S1D_S1F_T6_T7_T9_mT8_S1H_bDpT10_ENKUlT_T0_E_clISt17integral_constantIbLb0EES1U_IbLb1EEEEDaS1Q_S1R_EUlS1Q_E_NS1_11comp_targetILNS1_3genE9ELNS1_11target_archE1100ELNS1_3gpuE3ELNS1_3repE0EEENS1_30default_config_static_selectorELNS0_4arch9wavefront6targetE0EEEvS13_.uses_vcc, 0
	.set _ZN7rocprim17ROCPRIM_400000_NS6detail17trampoline_kernelINS0_13select_configILj256ELj13ELNS0_17block_load_methodE3ELS4_3ELS4_3ELNS0_20block_scan_algorithmE0ELj4294967295EEENS1_25partition_config_selectorILNS1_17partition_subalgoE4EjNS0_10empty_typeEbEEZZNS1_14partition_implILS8_4ELb0ES6_15HIP_vector_typeIjLj2EENS0_17counting_iteratorIjlEEPS9_SG_NS0_5tupleIJPjSI_NS0_16reverse_iteratorISI_EEEEENSH_IJSG_SG_SG_EEES9_SI_JZNS1_25segmented_radix_sort_implINS0_14default_configELb0EPK12hip_bfloat16PSP_PKlPlN2at6native12_GLOBAL__N_18offset_tEEE10hipError_tPvRmT1_PNSt15iterator_traitsIS13_E10value_typeET2_T3_PNS14_IS19_E10value_typeET4_jRbjT5_S1F_jjP12ihipStream_tbEUljE_ZNSN_ISO_Lb0ESR_SS_SU_SV_SZ_EES10_S11_S12_S13_S17_S18_S19_S1C_S1D_jS1E_jS1F_S1F_jjS1H_bEUljE0_EEES10_S11_S12_S19_S1D_S1F_T6_T7_T9_mT8_S1H_bDpT10_ENKUlT_T0_E_clISt17integral_constantIbLb0EES1U_IbLb1EEEEDaS1Q_S1R_EUlS1Q_E_NS1_11comp_targetILNS1_3genE9ELNS1_11target_archE1100ELNS1_3gpuE3ELNS1_3repE0EEENS1_30default_config_static_selectorELNS0_4arch9wavefront6targetE0EEEvS13_.uses_flat_scratch, 0
	.set _ZN7rocprim17ROCPRIM_400000_NS6detail17trampoline_kernelINS0_13select_configILj256ELj13ELNS0_17block_load_methodE3ELS4_3ELS4_3ELNS0_20block_scan_algorithmE0ELj4294967295EEENS1_25partition_config_selectorILNS1_17partition_subalgoE4EjNS0_10empty_typeEbEEZZNS1_14partition_implILS8_4ELb0ES6_15HIP_vector_typeIjLj2EENS0_17counting_iteratorIjlEEPS9_SG_NS0_5tupleIJPjSI_NS0_16reverse_iteratorISI_EEEEENSH_IJSG_SG_SG_EEES9_SI_JZNS1_25segmented_radix_sort_implINS0_14default_configELb0EPK12hip_bfloat16PSP_PKlPlN2at6native12_GLOBAL__N_18offset_tEEE10hipError_tPvRmT1_PNSt15iterator_traitsIS13_E10value_typeET2_T3_PNS14_IS19_E10value_typeET4_jRbjT5_S1F_jjP12ihipStream_tbEUljE_ZNSN_ISO_Lb0ESR_SS_SU_SV_SZ_EES10_S11_S12_S13_S17_S18_S19_S1C_S1D_jS1E_jS1F_S1F_jjS1H_bEUljE0_EEES10_S11_S12_S19_S1D_S1F_T6_T7_T9_mT8_S1H_bDpT10_ENKUlT_T0_E_clISt17integral_constantIbLb0EES1U_IbLb1EEEEDaS1Q_S1R_EUlS1Q_E_NS1_11comp_targetILNS1_3genE9ELNS1_11target_archE1100ELNS1_3gpuE3ELNS1_3repE0EEENS1_30default_config_static_selectorELNS0_4arch9wavefront6targetE0EEEvS13_.has_dyn_sized_stack, 0
	.set _ZN7rocprim17ROCPRIM_400000_NS6detail17trampoline_kernelINS0_13select_configILj256ELj13ELNS0_17block_load_methodE3ELS4_3ELS4_3ELNS0_20block_scan_algorithmE0ELj4294967295EEENS1_25partition_config_selectorILNS1_17partition_subalgoE4EjNS0_10empty_typeEbEEZZNS1_14partition_implILS8_4ELb0ES6_15HIP_vector_typeIjLj2EENS0_17counting_iteratorIjlEEPS9_SG_NS0_5tupleIJPjSI_NS0_16reverse_iteratorISI_EEEEENSH_IJSG_SG_SG_EEES9_SI_JZNS1_25segmented_radix_sort_implINS0_14default_configELb0EPK12hip_bfloat16PSP_PKlPlN2at6native12_GLOBAL__N_18offset_tEEE10hipError_tPvRmT1_PNSt15iterator_traitsIS13_E10value_typeET2_T3_PNS14_IS19_E10value_typeET4_jRbjT5_S1F_jjP12ihipStream_tbEUljE_ZNSN_ISO_Lb0ESR_SS_SU_SV_SZ_EES10_S11_S12_S13_S17_S18_S19_S1C_S1D_jS1E_jS1F_S1F_jjS1H_bEUljE0_EEES10_S11_S12_S19_S1D_S1F_T6_T7_T9_mT8_S1H_bDpT10_ENKUlT_T0_E_clISt17integral_constantIbLb0EES1U_IbLb1EEEEDaS1Q_S1R_EUlS1Q_E_NS1_11comp_targetILNS1_3genE9ELNS1_11target_archE1100ELNS1_3gpuE3ELNS1_3repE0EEENS1_30default_config_static_selectorELNS0_4arch9wavefront6targetE0EEEvS13_.has_recursion, 0
	.set _ZN7rocprim17ROCPRIM_400000_NS6detail17trampoline_kernelINS0_13select_configILj256ELj13ELNS0_17block_load_methodE3ELS4_3ELS4_3ELNS0_20block_scan_algorithmE0ELj4294967295EEENS1_25partition_config_selectorILNS1_17partition_subalgoE4EjNS0_10empty_typeEbEEZZNS1_14partition_implILS8_4ELb0ES6_15HIP_vector_typeIjLj2EENS0_17counting_iteratorIjlEEPS9_SG_NS0_5tupleIJPjSI_NS0_16reverse_iteratorISI_EEEEENSH_IJSG_SG_SG_EEES9_SI_JZNS1_25segmented_radix_sort_implINS0_14default_configELb0EPK12hip_bfloat16PSP_PKlPlN2at6native12_GLOBAL__N_18offset_tEEE10hipError_tPvRmT1_PNSt15iterator_traitsIS13_E10value_typeET2_T3_PNS14_IS19_E10value_typeET4_jRbjT5_S1F_jjP12ihipStream_tbEUljE_ZNSN_ISO_Lb0ESR_SS_SU_SV_SZ_EES10_S11_S12_S13_S17_S18_S19_S1C_S1D_jS1E_jS1F_S1F_jjS1H_bEUljE0_EEES10_S11_S12_S19_S1D_S1F_T6_T7_T9_mT8_S1H_bDpT10_ENKUlT_T0_E_clISt17integral_constantIbLb0EES1U_IbLb1EEEEDaS1Q_S1R_EUlS1Q_E_NS1_11comp_targetILNS1_3genE9ELNS1_11target_archE1100ELNS1_3gpuE3ELNS1_3repE0EEENS1_30default_config_static_selectorELNS0_4arch9wavefront6targetE0EEEvS13_.has_indirect_call, 0
	.section	.AMDGPU.csdata,"",@progbits
; Kernel info:
; codeLenInByte = 0
; TotalNumSgprs: 0
; NumVgprs: 0
; ScratchSize: 0
; MemoryBound: 0
; FloatMode: 240
; IeeeMode: 1
; LDSByteSize: 0 bytes/workgroup (compile time only)
; SGPRBlocks: 0
; VGPRBlocks: 0
; NumSGPRsForWavesPerEU: 1
; NumVGPRsForWavesPerEU: 1
; NamedBarCnt: 0
; Occupancy: 16
; WaveLimiterHint : 0
; COMPUTE_PGM_RSRC2:SCRATCH_EN: 0
; COMPUTE_PGM_RSRC2:USER_SGPR: 2
; COMPUTE_PGM_RSRC2:TRAP_HANDLER: 0
; COMPUTE_PGM_RSRC2:TGID_X_EN: 1
; COMPUTE_PGM_RSRC2:TGID_Y_EN: 0
; COMPUTE_PGM_RSRC2:TGID_Z_EN: 0
; COMPUTE_PGM_RSRC2:TIDIG_COMP_CNT: 0
	.section	.text._ZN7rocprim17ROCPRIM_400000_NS6detail17trampoline_kernelINS0_13select_configILj256ELj13ELNS0_17block_load_methodE3ELS4_3ELS4_3ELNS0_20block_scan_algorithmE0ELj4294967295EEENS1_25partition_config_selectorILNS1_17partition_subalgoE4EjNS0_10empty_typeEbEEZZNS1_14partition_implILS8_4ELb0ES6_15HIP_vector_typeIjLj2EENS0_17counting_iteratorIjlEEPS9_SG_NS0_5tupleIJPjSI_NS0_16reverse_iteratorISI_EEEEENSH_IJSG_SG_SG_EEES9_SI_JZNS1_25segmented_radix_sort_implINS0_14default_configELb0EPK12hip_bfloat16PSP_PKlPlN2at6native12_GLOBAL__N_18offset_tEEE10hipError_tPvRmT1_PNSt15iterator_traitsIS13_E10value_typeET2_T3_PNS14_IS19_E10value_typeET4_jRbjT5_S1F_jjP12ihipStream_tbEUljE_ZNSN_ISO_Lb0ESR_SS_SU_SV_SZ_EES10_S11_S12_S13_S17_S18_S19_S1C_S1D_jS1E_jS1F_S1F_jjS1H_bEUljE0_EEES10_S11_S12_S19_S1D_S1F_T6_T7_T9_mT8_S1H_bDpT10_ENKUlT_T0_E_clISt17integral_constantIbLb0EES1U_IbLb1EEEEDaS1Q_S1R_EUlS1Q_E_NS1_11comp_targetILNS1_3genE8ELNS1_11target_archE1030ELNS1_3gpuE2ELNS1_3repE0EEENS1_30default_config_static_selectorELNS0_4arch9wavefront6targetE0EEEvS13_,"axG",@progbits,_ZN7rocprim17ROCPRIM_400000_NS6detail17trampoline_kernelINS0_13select_configILj256ELj13ELNS0_17block_load_methodE3ELS4_3ELS4_3ELNS0_20block_scan_algorithmE0ELj4294967295EEENS1_25partition_config_selectorILNS1_17partition_subalgoE4EjNS0_10empty_typeEbEEZZNS1_14partition_implILS8_4ELb0ES6_15HIP_vector_typeIjLj2EENS0_17counting_iteratorIjlEEPS9_SG_NS0_5tupleIJPjSI_NS0_16reverse_iteratorISI_EEEEENSH_IJSG_SG_SG_EEES9_SI_JZNS1_25segmented_radix_sort_implINS0_14default_configELb0EPK12hip_bfloat16PSP_PKlPlN2at6native12_GLOBAL__N_18offset_tEEE10hipError_tPvRmT1_PNSt15iterator_traitsIS13_E10value_typeET2_T3_PNS14_IS19_E10value_typeET4_jRbjT5_S1F_jjP12ihipStream_tbEUljE_ZNSN_ISO_Lb0ESR_SS_SU_SV_SZ_EES10_S11_S12_S13_S17_S18_S19_S1C_S1D_jS1E_jS1F_S1F_jjS1H_bEUljE0_EEES10_S11_S12_S19_S1D_S1F_T6_T7_T9_mT8_S1H_bDpT10_ENKUlT_T0_E_clISt17integral_constantIbLb0EES1U_IbLb1EEEEDaS1Q_S1R_EUlS1Q_E_NS1_11comp_targetILNS1_3genE8ELNS1_11target_archE1030ELNS1_3gpuE2ELNS1_3repE0EEENS1_30default_config_static_selectorELNS0_4arch9wavefront6targetE0EEEvS13_,comdat
	.globl	_ZN7rocprim17ROCPRIM_400000_NS6detail17trampoline_kernelINS0_13select_configILj256ELj13ELNS0_17block_load_methodE3ELS4_3ELS4_3ELNS0_20block_scan_algorithmE0ELj4294967295EEENS1_25partition_config_selectorILNS1_17partition_subalgoE4EjNS0_10empty_typeEbEEZZNS1_14partition_implILS8_4ELb0ES6_15HIP_vector_typeIjLj2EENS0_17counting_iteratorIjlEEPS9_SG_NS0_5tupleIJPjSI_NS0_16reverse_iteratorISI_EEEEENSH_IJSG_SG_SG_EEES9_SI_JZNS1_25segmented_radix_sort_implINS0_14default_configELb0EPK12hip_bfloat16PSP_PKlPlN2at6native12_GLOBAL__N_18offset_tEEE10hipError_tPvRmT1_PNSt15iterator_traitsIS13_E10value_typeET2_T3_PNS14_IS19_E10value_typeET4_jRbjT5_S1F_jjP12ihipStream_tbEUljE_ZNSN_ISO_Lb0ESR_SS_SU_SV_SZ_EES10_S11_S12_S13_S17_S18_S19_S1C_S1D_jS1E_jS1F_S1F_jjS1H_bEUljE0_EEES10_S11_S12_S19_S1D_S1F_T6_T7_T9_mT8_S1H_bDpT10_ENKUlT_T0_E_clISt17integral_constantIbLb0EES1U_IbLb1EEEEDaS1Q_S1R_EUlS1Q_E_NS1_11comp_targetILNS1_3genE8ELNS1_11target_archE1030ELNS1_3gpuE2ELNS1_3repE0EEENS1_30default_config_static_selectorELNS0_4arch9wavefront6targetE0EEEvS13_ ; -- Begin function _ZN7rocprim17ROCPRIM_400000_NS6detail17trampoline_kernelINS0_13select_configILj256ELj13ELNS0_17block_load_methodE3ELS4_3ELS4_3ELNS0_20block_scan_algorithmE0ELj4294967295EEENS1_25partition_config_selectorILNS1_17partition_subalgoE4EjNS0_10empty_typeEbEEZZNS1_14partition_implILS8_4ELb0ES6_15HIP_vector_typeIjLj2EENS0_17counting_iteratorIjlEEPS9_SG_NS0_5tupleIJPjSI_NS0_16reverse_iteratorISI_EEEEENSH_IJSG_SG_SG_EEES9_SI_JZNS1_25segmented_radix_sort_implINS0_14default_configELb0EPK12hip_bfloat16PSP_PKlPlN2at6native12_GLOBAL__N_18offset_tEEE10hipError_tPvRmT1_PNSt15iterator_traitsIS13_E10value_typeET2_T3_PNS14_IS19_E10value_typeET4_jRbjT5_S1F_jjP12ihipStream_tbEUljE_ZNSN_ISO_Lb0ESR_SS_SU_SV_SZ_EES10_S11_S12_S13_S17_S18_S19_S1C_S1D_jS1E_jS1F_S1F_jjS1H_bEUljE0_EEES10_S11_S12_S19_S1D_S1F_T6_T7_T9_mT8_S1H_bDpT10_ENKUlT_T0_E_clISt17integral_constantIbLb0EES1U_IbLb1EEEEDaS1Q_S1R_EUlS1Q_E_NS1_11comp_targetILNS1_3genE8ELNS1_11target_archE1030ELNS1_3gpuE2ELNS1_3repE0EEENS1_30default_config_static_selectorELNS0_4arch9wavefront6targetE0EEEvS13_
	.p2align	8
	.type	_ZN7rocprim17ROCPRIM_400000_NS6detail17trampoline_kernelINS0_13select_configILj256ELj13ELNS0_17block_load_methodE3ELS4_3ELS4_3ELNS0_20block_scan_algorithmE0ELj4294967295EEENS1_25partition_config_selectorILNS1_17partition_subalgoE4EjNS0_10empty_typeEbEEZZNS1_14partition_implILS8_4ELb0ES6_15HIP_vector_typeIjLj2EENS0_17counting_iteratorIjlEEPS9_SG_NS0_5tupleIJPjSI_NS0_16reverse_iteratorISI_EEEEENSH_IJSG_SG_SG_EEES9_SI_JZNS1_25segmented_radix_sort_implINS0_14default_configELb0EPK12hip_bfloat16PSP_PKlPlN2at6native12_GLOBAL__N_18offset_tEEE10hipError_tPvRmT1_PNSt15iterator_traitsIS13_E10value_typeET2_T3_PNS14_IS19_E10value_typeET4_jRbjT5_S1F_jjP12ihipStream_tbEUljE_ZNSN_ISO_Lb0ESR_SS_SU_SV_SZ_EES10_S11_S12_S13_S17_S18_S19_S1C_S1D_jS1E_jS1F_S1F_jjS1H_bEUljE0_EEES10_S11_S12_S19_S1D_S1F_T6_T7_T9_mT8_S1H_bDpT10_ENKUlT_T0_E_clISt17integral_constantIbLb0EES1U_IbLb1EEEEDaS1Q_S1R_EUlS1Q_E_NS1_11comp_targetILNS1_3genE8ELNS1_11target_archE1030ELNS1_3gpuE2ELNS1_3repE0EEENS1_30default_config_static_selectorELNS0_4arch9wavefront6targetE0EEEvS13_,@function
_ZN7rocprim17ROCPRIM_400000_NS6detail17trampoline_kernelINS0_13select_configILj256ELj13ELNS0_17block_load_methodE3ELS4_3ELS4_3ELNS0_20block_scan_algorithmE0ELj4294967295EEENS1_25partition_config_selectorILNS1_17partition_subalgoE4EjNS0_10empty_typeEbEEZZNS1_14partition_implILS8_4ELb0ES6_15HIP_vector_typeIjLj2EENS0_17counting_iteratorIjlEEPS9_SG_NS0_5tupleIJPjSI_NS0_16reverse_iteratorISI_EEEEENSH_IJSG_SG_SG_EEES9_SI_JZNS1_25segmented_radix_sort_implINS0_14default_configELb0EPK12hip_bfloat16PSP_PKlPlN2at6native12_GLOBAL__N_18offset_tEEE10hipError_tPvRmT1_PNSt15iterator_traitsIS13_E10value_typeET2_T3_PNS14_IS19_E10value_typeET4_jRbjT5_S1F_jjP12ihipStream_tbEUljE_ZNSN_ISO_Lb0ESR_SS_SU_SV_SZ_EES10_S11_S12_S13_S17_S18_S19_S1C_S1D_jS1E_jS1F_S1F_jjS1H_bEUljE0_EEES10_S11_S12_S19_S1D_S1F_T6_T7_T9_mT8_S1H_bDpT10_ENKUlT_T0_E_clISt17integral_constantIbLb0EES1U_IbLb1EEEEDaS1Q_S1R_EUlS1Q_E_NS1_11comp_targetILNS1_3genE8ELNS1_11target_archE1030ELNS1_3gpuE2ELNS1_3repE0EEENS1_30default_config_static_selectorELNS0_4arch9wavefront6targetE0EEEvS13_: ; @_ZN7rocprim17ROCPRIM_400000_NS6detail17trampoline_kernelINS0_13select_configILj256ELj13ELNS0_17block_load_methodE3ELS4_3ELS4_3ELNS0_20block_scan_algorithmE0ELj4294967295EEENS1_25partition_config_selectorILNS1_17partition_subalgoE4EjNS0_10empty_typeEbEEZZNS1_14partition_implILS8_4ELb0ES6_15HIP_vector_typeIjLj2EENS0_17counting_iteratorIjlEEPS9_SG_NS0_5tupleIJPjSI_NS0_16reverse_iteratorISI_EEEEENSH_IJSG_SG_SG_EEES9_SI_JZNS1_25segmented_radix_sort_implINS0_14default_configELb0EPK12hip_bfloat16PSP_PKlPlN2at6native12_GLOBAL__N_18offset_tEEE10hipError_tPvRmT1_PNSt15iterator_traitsIS13_E10value_typeET2_T3_PNS14_IS19_E10value_typeET4_jRbjT5_S1F_jjP12ihipStream_tbEUljE_ZNSN_ISO_Lb0ESR_SS_SU_SV_SZ_EES10_S11_S12_S13_S17_S18_S19_S1C_S1D_jS1E_jS1F_S1F_jjS1H_bEUljE0_EEES10_S11_S12_S19_S1D_S1F_T6_T7_T9_mT8_S1H_bDpT10_ENKUlT_T0_E_clISt17integral_constantIbLb0EES1U_IbLb1EEEEDaS1Q_S1R_EUlS1Q_E_NS1_11comp_targetILNS1_3genE8ELNS1_11target_archE1030ELNS1_3gpuE2ELNS1_3repE0EEENS1_30default_config_static_selectorELNS0_4arch9wavefront6targetE0EEEvS13_
; %bb.0:
	.section	.rodata,"a",@progbits
	.p2align	6, 0x0
	.amdhsa_kernel _ZN7rocprim17ROCPRIM_400000_NS6detail17trampoline_kernelINS0_13select_configILj256ELj13ELNS0_17block_load_methodE3ELS4_3ELS4_3ELNS0_20block_scan_algorithmE0ELj4294967295EEENS1_25partition_config_selectorILNS1_17partition_subalgoE4EjNS0_10empty_typeEbEEZZNS1_14partition_implILS8_4ELb0ES6_15HIP_vector_typeIjLj2EENS0_17counting_iteratorIjlEEPS9_SG_NS0_5tupleIJPjSI_NS0_16reverse_iteratorISI_EEEEENSH_IJSG_SG_SG_EEES9_SI_JZNS1_25segmented_radix_sort_implINS0_14default_configELb0EPK12hip_bfloat16PSP_PKlPlN2at6native12_GLOBAL__N_18offset_tEEE10hipError_tPvRmT1_PNSt15iterator_traitsIS13_E10value_typeET2_T3_PNS14_IS19_E10value_typeET4_jRbjT5_S1F_jjP12ihipStream_tbEUljE_ZNSN_ISO_Lb0ESR_SS_SU_SV_SZ_EES10_S11_S12_S13_S17_S18_S19_S1C_S1D_jS1E_jS1F_S1F_jjS1H_bEUljE0_EEES10_S11_S12_S19_S1D_S1F_T6_T7_T9_mT8_S1H_bDpT10_ENKUlT_T0_E_clISt17integral_constantIbLb0EES1U_IbLb1EEEEDaS1Q_S1R_EUlS1Q_E_NS1_11comp_targetILNS1_3genE8ELNS1_11target_archE1030ELNS1_3gpuE2ELNS1_3repE0EEENS1_30default_config_static_selectorELNS0_4arch9wavefront6targetE0EEEvS13_
		.amdhsa_group_segment_fixed_size 0
		.amdhsa_private_segment_fixed_size 0
		.amdhsa_kernarg_size 184
		.amdhsa_user_sgpr_count 2
		.amdhsa_user_sgpr_dispatch_ptr 0
		.amdhsa_user_sgpr_queue_ptr 0
		.amdhsa_user_sgpr_kernarg_segment_ptr 1
		.amdhsa_user_sgpr_dispatch_id 0
		.amdhsa_user_sgpr_kernarg_preload_length 0
		.amdhsa_user_sgpr_kernarg_preload_offset 0
		.amdhsa_user_sgpr_private_segment_size 0
		.amdhsa_wavefront_size32 1
		.amdhsa_uses_dynamic_stack 0
		.amdhsa_enable_private_segment 0
		.amdhsa_system_sgpr_workgroup_id_x 1
		.amdhsa_system_sgpr_workgroup_id_y 0
		.amdhsa_system_sgpr_workgroup_id_z 0
		.amdhsa_system_sgpr_workgroup_info 0
		.amdhsa_system_vgpr_workitem_id 0
		.amdhsa_next_free_vgpr 1
		.amdhsa_next_free_sgpr 1
		.amdhsa_named_barrier_count 0
		.amdhsa_reserve_vcc 0
		.amdhsa_float_round_mode_32 0
		.amdhsa_float_round_mode_16_64 0
		.amdhsa_float_denorm_mode_32 3
		.amdhsa_float_denorm_mode_16_64 3
		.amdhsa_fp16_overflow 0
		.amdhsa_memory_ordered 1
		.amdhsa_forward_progress 1
		.amdhsa_inst_pref_size 0
		.amdhsa_round_robin_scheduling 0
		.amdhsa_exception_fp_ieee_invalid_op 0
		.amdhsa_exception_fp_denorm_src 0
		.amdhsa_exception_fp_ieee_div_zero 0
		.amdhsa_exception_fp_ieee_overflow 0
		.amdhsa_exception_fp_ieee_underflow 0
		.amdhsa_exception_fp_ieee_inexact 0
		.amdhsa_exception_int_div_zero 0
	.end_amdhsa_kernel
	.section	.text._ZN7rocprim17ROCPRIM_400000_NS6detail17trampoline_kernelINS0_13select_configILj256ELj13ELNS0_17block_load_methodE3ELS4_3ELS4_3ELNS0_20block_scan_algorithmE0ELj4294967295EEENS1_25partition_config_selectorILNS1_17partition_subalgoE4EjNS0_10empty_typeEbEEZZNS1_14partition_implILS8_4ELb0ES6_15HIP_vector_typeIjLj2EENS0_17counting_iteratorIjlEEPS9_SG_NS0_5tupleIJPjSI_NS0_16reverse_iteratorISI_EEEEENSH_IJSG_SG_SG_EEES9_SI_JZNS1_25segmented_radix_sort_implINS0_14default_configELb0EPK12hip_bfloat16PSP_PKlPlN2at6native12_GLOBAL__N_18offset_tEEE10hipError_tPvRmT1_PNSt15iterator_traitsIS13_E10value_typeET2_T3_PNS14_IS19_E10value_typeET4_jRbjT5_S1F_jjP12ihipStream_tbEUljE_ZNSN_ISO_Lb0ESR_SS_SU_SV_SZ_EES10_S11_S12_S13_S17_S18_S19_S1C_S1D_jS1E_jS1F_S1F_jjS1H_bEUljE0_EEES10_S11_S12_S19_S1D_S1F_T6_T7_T9_mT8_S1H_bDpT10_ENKUlT_T0_E_clISt17integral_constantIbLb0EES1U_IbLb1EEEEDaS1Q_S1R_EUlS1Q_E_NS1_11comp_targetILNS1_3genE8ELNS1_11target_archE1030ELNS1_3gpuE2ELNS1_3repE0EEENS1_30default_config_static_selectorELNS0_4arch9wavefront6targetE0EEEvS13_,"axG",@progbits,_ZN7rocprim17ROCPRIM_400000_NS6detail17trampoline_kernelINS0_13select_configILj256ELj13ELNS0_17block_load_methodE3ELS4_3ELS4_3ELNS0_20block_scan_algorithmE0ELj4294967295EEENS1_25partition_config_selectorILNS1_17partition_subalgoE4EjNS0_10empty_typeEbEEZZNS1_14partition_implILS8_4ELb0ES6_15HIP_vector_typeIjLj2EENS0_17counting_iteratorIjlEEPS9_SG_NS0_5tupleIJPjSI_NS0_16reverse_iteratorISI_EEEEENSH_IJSG_SG_SG_EEES9_SI_JZNS1_25segmented_radix_sort_implINS0_14default_configELb0EPK12hip_bfloat16PSP_PKlPlN2at6native12_GLOBAL__N_18offset_tEEE10hipError_tPvRmT1_PNSt15iterator_traitsIS13_E10value_typeET2_T3_PNS14_IS19_E10value_typeET4_jRbjT5_S1F_jjP12ihipStream_tbEUljE_ZNSN_ISO_Lb0ESR_SS_SU_SV_SZ_EES10_S11_S12_S13_S17_S18_S19_S1C_S1D_jS1E_jS1F_S1F_jjS1H_bEUljE0_EEES10_S11_S12_S19_S1D_S1F_T6_T7_T9_mT8_S1H_bDpT10_ENKUlT_T0_E_clISt17integral_constantIbLb0EES1U_IbLb1EEEEDaS1Q_S1R_EUlS1Q_E_NS1_11comp_targetILNS1_3genE8ELNS1_11target_archE1030ELNS1_3gpuE2ELNS1_3repE0EEENS1_30default_config_static_selectorELNS0_4arch9wavefront6targetE0EEEvS13_,comdat
.Lfunc_end2006:
	.size	_ZN7rocprim17ROCPRIM_400000_NS6detail17trampoline_kernelINS0_13select_configILj256ELj13ELNS0_17block_load_methodE3ELS4_3ELS4_3ELNS0_20block_scan_algorithmE0ELj4294967295EEENS1_25partition_config_selectorILNS1_17partition_subalgoE4EjNS0_10empty_typeEbEEZZNS1_14partition_implILS8_4ELb0ES6_15HIP_vector_typeIjLj2EENS0_17counting_iteratorIjlEEPS9_SG_NS0_5tupleIJPjSI_NS0_16reverse_iteratorISI_EEEEENSH_IJSG_SG_SG_EEES9_SI_JZNS1_25segmented_radix_sort_implINS0_14default_configELb0EPK12hip_bfloat16PSP_PKlPlN2at6native12_GLOBAL__N_18offset_tEEE10hipError_tPvRmT1_PNSt15iterator_traitsIS13_E10value_typeET2_T3_PNS14_IS19_E10value_typeET4_jRbjT5_S1F_jjP12ihipStream_tbEUljE_ZNSN_ISO_Lb0ESR_SS_SU_SV_SZ_EES10_S11_S12_S13_S17_S18_S19_S1C_S1D_jS1E_jS1F_S1F_jjS1H_bEUljE0_EEES10_S11_S12_S19_S1D_S1F_T6_T7_T9_mT8_S1H_bDpT10_ENKUlT_T0_E_clISt17integral_constantIbLb0EES1U_IbLb1EEEEDaS1Q_S1R_EUlS1Q_E_NS1_11comp_targetILNS1_3genE8ELNS1_11target_archE1030ELNS1_3gpuE2ELNS1_3repE0EEENS1_30default_config_static_selectorELNS0_4arch9wavefront6targetE0EEEvS13_, .Lfunc_end2006-_ZN7rocprim17ROCPRIM_400000_NS6detail17trampoline_kernelINS0_13select_configILj256ELj13ELNS0_17block_load_methodE3ELS4_3ELS4_3ELNS0_20block_scan_algorithmE0ELj4294967295EEENS1_25partition_config_selectorILNS1_17partition_subalgoE4EjNS0_10empty_typeEbEEZZNS1_14partition_implILS8_4ELb0ES6_15HIP_vector_typeIjLj2EENS0_17counting_iteratorIjlEEPS9_SG_NS0_5tupleIJPjSI_NS0_16reverse_iteratorISI_EEEEENSH_IJSG_SG_SG_EEES9_SI_JZNS1_25segmented_radix_sort_implINS0_14default_configELb0EPK12hip_bfloat16PSP_PKlPlN2at6native12_GLOBAL__N_18offset_tEEE10hipError_tPvRmT1_PNSt15iterator_traitsIS13_E10value_typeET2_T3_PNS14_IS19_E10value_typeET4_jRbjT5_S1F_jjP12ihipStream_tbEUljE_ZNSN_ISO_Lb0ESR_SS_SU_SV_SZ_EES10_S11_S12_S13_S17_S18_S19_S1C_S1D_jS1E_jS1F_S1F_jjS1H_bEUljE0_EEES10_S11_S12_S19_S1D_S1F_T6_T7_T9_mT8_S1H_bDpT10_ENKUlT_T0_E_clISt17integral_constantIbLb0EES1U_IbLb1EEEEDaS1Q_S1R_EUlS1Q_E_NS1_11comp_targetILNS1_3genE8ELNS1_11target_archE1030ELNS1_3gpuE2ELNS1_3repE0EEENS1_30default_config_static_selectorELNS0_4arch9wavefront6targetE0EEEvS13_
                                        ; -- End function
	.set _ZN7rocprim17ROCPRIM_400000_NS6detail17trampoline_kernelINS0_13select_configILj256ELj13ELNS0_17block_load_methodE3ELS4_3ELS4_3ELNS0_20block_scan_algorithmE0ELj4294967295EEENS1_25partition_config_selectorILNS1_17partition_subalgoE4EjNS0_10empty_typeEbEEZZNS1_14partition_implILS8_4ELb0ES6_15HIP_vector_typeIjLj2EENS0_17counting_iteratorIjlEEPS9_SG_NS0_5tupleIJPjSI_NS0_16reverse_iteratorISI_EEEEENSH_IJSG_SG_SG_EEES9_SI_JZNS1_25segmented_radix_sort_implINS0_14default_configELb0EPK12hip_bfloat16PSP_PKlPlN2at6native12_GLOBAL__N_18offset_tEEE10hipError_tPvRmT1_PNSt15iterator_traitsIS13_E10value_typeET2_T3_PNS14_IS19_E10value_typeET4_jRbjT5_S1F_jjP12ihipStream_tbEUljE_ZNSN_ISO_Lb0ESR_SS_SU_SV_SZ_EES10_S11_S12_S13_S17_S18_S19_S1C_S1D_jS1E_jS1F_S1F_jjS1H_bEUljE0_EEES10_S11_S12_S19_S1D_S1F_T6_T7_T9_mT8_S1H_bDpT10_ENKUlT_T0_E_clISt17integral_constantIbLb0EES1U_IbLb1EEEEDaS1Q_S1R_EUlS1Q_E_NS1_11comp_targetILNS1_3genE8ELNS1_11target_archE1030ELNS1_3gpuE2ELNS1_3repE0EEENS1_30default_config_static_selectorELNS0_4arch9wavefront6targetE0EEEvS13_.num_vgpr, 0
	.set _ZN7rocprim17ROCPRIM_400000_NS6detail17trampoline_kernelINS0_13select_configILj256ELj13ELNS0_17block_load_methodE3ELS4_3ELS4_3ELNS0_20block_scan_algorithmE0ELj4294967295EEENS1_25partition_config_selectorILNS1_17partition_subalgoE4EjNS0_10empty_typeEbEEZZNS1_14partition_implILS8_4ELb0ES6_15HIP_vector_typeIjLj2EENS0_17counting_iteratorIjlEEPS9_SG_NS0_5tupleIJPjSI_NS0_16reverse_iteratorISI_EEEEENSH_IJSG_SG_SG_EEES9_SI_JZNS1_25segmented_radix_sort_implINS0_14default_configELb0EPK12hip_bfloat16PSP_PKlPlN2at6native12_GLOBAL__N_18offset_tEEE10hipError_tPvRmT1_PNSt15iterator_traitsIS13_E10value_typeET2_T3_PNS14_IS19_E10value_typeET4_jRbjT5_S1F_jjP12ihipStream_tbEUljE_ZNSN_ISO_Lb0ESR_SS_SU_SV_SZ_EES10_S11_S12_S13_S17_S18_S19_S1C_S1D_jS1E_jS1F_S1F_jjS1H_bEUljE0_EEES10_S11_S12_S19_S1D_S1F_T6_T7_T9_mT8_S1H_bDpT10_ENKUlT_T0_E_clISt17integral_constantIbLb0EES1U_IbLb1EEEEDaS1Q_S1R_EUlS1Q_E_NS1_11comp_targetILNS1_3genE8ELNS1_11target_archE1030ELNS1_3gpuE2ELNS1_3repE0EEENS1_30default_config_static_selectorELNS0_4arch9wavefront6targetE0EEEvS13_.num_agpr, 0
	.set _ZN7rocprim17ROCPRIM_400000_NS6detail17trampoline_kernelINS0_13select_configILj256ELj13ELNS0_17block_load_methodE3ELS4_3ELS4_3ELNS0_20block_scan_algorithmE0ELj4294967295EEENS1_25partition_config_selectorILNS1_17partition_subalgoE4EjNS0_10empty_typeEbEEZZNS1_14partition_implILS8_4ELb0ES6_15HIP_vector_typeIjLj2EENS0_17counting_iteratorIjlEEPS9_SG_NS0_5tupleIJPjSI_NS0_16reverse_iteratorISI_EEEEENSH_IJSG_SG_SG_EEES9_SI_JZNS1_25segmented_radix_sort_implINS0_14default_configELb0EPK12hip_bfloat16PSP_PKlPlN2at6native12_GLOBAL__N_18offset_tEEE10hipError_tPvRmT1_PNSt15iterator_traitsIS13_E10value_typeET2_T3_PNS14_IS19_E10value_typeET4_jRbjT5_S1F_jjP12ihipStream_tbEUljE_ZNSN_ISO_Lb0ESR_SS_SU_SV_SZ_EES10_S11_S12_S13_S17_S18_S19_S1C_S1D_jS1E_jS1F_S1F_jjS1H_bEUljE0_EEES10_S11_S12_S19_S1D_S1F_T6_T7_T9_mT8_S1H_bDpT10_ENKUlT_T0_E_clISt17integral_constantIbLb0EES1U_IbLb1EEEEDaS1Q_S1R_EUlS1Q_E_NS1_11comp_targetILNS1_3genE8ELNS1_11target_archE1030ELNS1_3gpuE2ELNS1_3repE0EEENS1_30default_config_static_selectorELNS0_4arch9wavefront6targetE0EEEvS13_.numbered_sgpr, 0
	.set _ZN7rocprim17ROCPRIM_400000_NS6detail17trampoline_kernelINS0_13select_configILj256ELj13ELNS0_17block_load_methodE3ELS4_3ELS4_3ELNS0_20block_scan_algorithmE0ELj4294967295EEENS1_25partition_config_selectorILNS1_17partition_subalgoE4EjNS0_10empty_typeEbEEZZNS1_14partition_implILS8_4ELb0ES6_15HIP_vector_typeIjLj2EENS0_17counting_iteratorIjlEEPS9_SG_NS0_5tupleIJPjSI_NS0_16reverse_iteratorISI_EEEEENSH_IJSG_SG_SG_EEES9_SI_JZNS1_25segmented_radix_sort_implINS0_14default_configELb0EPK12hip_bfloat16PSP_PKlPlN2at6native12_GLOBAL__N_18offset_tEEE10hipError_tPvRmT1_PNSt15iterator_traitsIS13_E10value_typeET2_T3_PNS14_IS19_E10value_typeET4_jRbjT5_S1F_jjP12ihipStream_tbEUljE_ZNSN_ISO_Lb0ESR_SS_SU_SV_SZ_EES10_S11_S12_S13_S17_S18_S19_S1C_S1D_jS1E_jS1F_S1F_jjS1H_bEUljE0_EEES10_S11_S12_S19_S1D_S1F_T6_T7_T9_mT8_S1H_bDpT10_ENKUlT_T0_E_clISt17integral_constantIbLb0EES1U_IbLb1EEEEDaS1Q_S1R_EUlS1Q_E_NS1_11comp_targetILNS1_3genE8ELNS1_11target_archE1030ELNS1_3gpuE2ELNS1_3repE0EEENS1_30default_config_static_selectorELNS0_4arch9wavefront6targetE0EEEvS13_.num_named_barrier, 0
	.set _ZN7rocprim17ROCPRIM_400000_NS6detail17trampoline_kernelINS0_13select_configILj256ELj13ELNS0_17block_load_methodE3ELS4_3ELS4_3ELNS0_20block_scan_algorithmE0ELj4294967295EEENS1_25partition_config_selectorILNS1_17partition_subalgoE4EjNS0_10empty_typeEbEEZZNS1_14partition_implILS8_4ELb0ES6_15HIP_vector_typeIjLj2EENS0_17counting_iteratorIjlEEPS9_SG_NS0_5tupleIJPjSI_NS0_16reverse_iteratorISI_EEEEENSH_IJSG_SG_SG_EEES9_SI_JZNS1_25segmented_radix_sort_implINS0_14default_configELb0EPK12hip_bfloat16PSP_PKlPlN2at6native12_GLOBAL__N_18offset_tEEE10hipError_tPvRmT1_PNSt15iterator_traitsIS13_E10value_typeET2_T3_PNS14_IS19_E10value_typeET4_jRbjT5_S1F_jjP12ihipStream_tbEUljE_ZNSN_ISO_Lb0ESR_SS_SU_SV_SZ_EES10_S11_S12_S13_S17_S18_S19_S1C_S1D_jS1E_jS1F_S1F_jjS1H_bEUljE0_EEES10_S11_S12_S19_S1D_S1F_T6_T7_T9_mT8_S1H_bDpT10_ENKUlT_T0_E_clISt17integral_constantIbLb0EES1U_IbLb1EEEEDaS1Q_S1R_EUlS1Q_E_NS1_11comp_targetILNS1_3genE8ELNS1_11target_archE1030ELNS1_3gpuE2ELNS1_3repE0EEENS1_30default_config_static_selectorELNS0_4arch9wavefront6targetE0EEEvS13_.private_seg_size, 0
	.set _ZN7rocprim17ROCPRIM_400000_NS6detail17trampoline_kernelINS0_13select_configILj256ELj13ELNS0_17block_load_methodE3ELS4_3ELS4_3ELNS0_20block_scan_algorithmE0ELj4294967295EEENS1_25partition_config_selectorILNS1_17partition_subalgoE4EjNS0_10empty_typeEbEEZZNS1_14partition_implILS8_4ELb0ES6_15HIP_vector_typeIjLj2EENS0_17counting_iteratorIjlEEPS9_SG_NS0_5tupleIJPjSI_NS0_16reverse_iteratorISI_EEEEENSH_IJSG_SG_SG_EEES9_SI_JZNS1_25segmented_radix_sort_implINS0_14default_configELb0EPK12hip_bfloat16PSP_PKlPlN2at6native12_GLOBAL__N_18offset_tEEE10hipError_tPvRmT1_PNSt15iterator_traitsIS13_E10value_typeET2_T3_PNS14_IS19_E10value_typeET4_jRbjT5_S1F_jjP12ihipStream_tbEUljE_ZNSN_ISO_Lb0ESR_SS_SU_SV_SZ_EES10_S11_S12_S13_S17_S18_S19_S1C_S1D_jS1E_jS1F_S1F_jjS1H_bEUljE0_EEES10_S11_S12_S19_S1D_S1F_T6_T7_T9_mT8_S1H_bDpT10_ENKUlT_T0_E_clISt17integral_constantIbLb0EES1U_IbLb1EEEEDaS1Q_S1R_EUlS1Q_E_NS1_11comp_targetILNS1_3genE8ELNS1_11target_archE1030ELNS1_3gpuE2ELNS1_3repE0EEENS1_30default_config_static_selectorELNS0_4arch9wavefront6targetE0EEEvS13_.uses_vcc, 0
	.set _ZN7rocprim17ROCPRIM_400000_NS6detail17trampoline_kernelINS0_13select_configILj256ELj13ELNS0_17block_load_methodE3ELS4_3ELS4_3ELNS0_20block_scan_algorithmE0ELj4294967295EEENS1_25partition_config_selectorILNS1_17partition_subalgoE4EjNS0_10empty_typeEbEEZZNS1_14partition_implILS8_4ELb0ES6_15HIP_vector_typeIjLj2EENS0_17counting_iteratorIjlEEPS9_SG_NS0_5tupleIJPjSI_NS0_16reverse_iteratorISI_EEEEENSH_IJSG_SG_SG_EEES9_SI_JZNS1_25segmented_radix_sort_implINS0_14default_configELb0EPK12hip_bfloat16PSP_PKlPlN2at6native12_GLOBAL__N_18offset_tEEE10hipError_tPvRmT1_PNSt15iterator_traitsIS13_E10value_typeET2_T3_PNS14_IS19_E10value_typeET4_jRbjT5_S1F_jjP12ihipStream_tbEUljE_ZNSN_ISO_Lb0ESR_SS_SU_SV_SZ_EES10_S11_S12_S13_S17_S18_S19_S1C_S1D_jS1E_jS1F_S1F_jjS1H_bEUljE0_EEES10_S11_S12_S19_S1D_S1F_T6_T7_T9_mT8_S1H_bDpT10_ENKUlT_T0_E_clISt17integral_constantIbLb0EES1U_IbLb1EEEEDaS1Q_S1R_EUlS1Q_E_NS1_11comp_targetILNS1_3genE8ELNS1_11target_archE1030ELNS1_3gpuE2ELNS1_3repE0EEENS1_30default_config_static_selectorELNS0_4arch9wavefront6targetE0EEEvS13_.uses_flat_scratch, 0
	.set _ZN7rocprim17ROCPRIM_400000_NS6detail17trampoline_kernelINS0_13select_configILj256ELj13ELNS0_17block_load_methodE3ELS4_3ELS4_3ELNS0_20block_scan_algorithmE0ELj4294967295EEENS1_25partition_config_selectorILNS1_17partition_subalgoE4EjNS0_10empty_typeEbEEZZNS1_14partition_implILS8_4ELb0ES6_15HIP_vector_typeIjLj2EENS0_17counting_iteratorIjlEEPS9_SG_NS0_5tupleIJPjSI_NS0_16reverse_iteratorISI_EEEEENSH_IJSG_SG_SG_EEES9_SI_JZNS1_25segmented_radix_sort_implINS0_14default_configELb0EPK12hip_bfloat16PSP_PKlPlN2at6native12_GLOBAL__N_18offset_tEEE10hipError_tPvRmT1_PNSt15iterator_traitsIS13_E10value_typeET2_T3_PNS14_IS19_E10value_typeET4_jRbjT5_S1F_jjP12ihipStream_tbEUljE_ZNSN_ISO_Lb0ESR_SS_SU_SV_SZ_EES10_S11_S12_S13_S17_S18_S19_S1C_S1D_jS1E_jS1F_S1F_jjS1H_bEUljE0_EEES10_S11_S12_S19_S1D_S1F_T6_T7_T9_mT8_S1H_bDpT10_ENKUlT_T0_E_clISt17integral_constantIbLb0EES1U_IbLb1EEEEDaS1Q_S1R_EUlS1Q_E_NS1_11comp_targetILNS1_3genE8ELNS1_11target_archE1030ELNS1_3gpuE2ELNS1_3repE0EEENS1_30default_config_static_selectorELNS0_4arch9wavefront6targetE0EEEvS13_.has_dyn_sized_stack, 0
	.set _ZN7rocprim17ROCPRIM_400000_NS6detail17trampoline_kernelINS0_13select_configILj256ELj13ELNS0_17block_load_methodE3ELS4_3ELS4_3ELNS0_20block_scan_algorithmE0ELj4294967295EEENS1_25partition_config_selectorILNS1_17partition_subalgoE4EjNS0_10empty_typeEbEEZZNS1_14partition_implILS8_4ELb0ES6_15HIP_vector_typeIjLj2EENS0_17counting_iteratorIjlEEPS9_SG_NS0_5tupleIJPjSI_NS0_16reverse_iteratorISI_EEEEENSH_IJSG_SG_SG_EEES9_SI_JZNS1_25segmented_radix_sort_implINS0_14default_configELb0EPK12hip_bfloat16PSP_PKlPlN2at6native12_GLOBAL__N_18offset_tEEE10hipError_tPvRmT1_PNSt15iterator_traitsIS13_E10value_typeET2_T3_PNS14_IS19_E10value_typeET4_jRbjT5_S1F_jjP12ihipStream_tbEUljE_ZNSN_ISO_Lb0ESR_SS_SU_SV_SZ_EES10_S11_S12_S13_S17_S18_S19_S1C_S1D_jS1E_jS1F_S1F_jjS1H_bEUljE0_EEES10_S11_S12_S19_S1D_S1F_T6_T7_T9_mT8_S1H_bDpT10_ENKUlT_T0_E_clISt17integral_constantIbLb0EES1U_IbLb1EEEEDaS1Q_S1R_EUlS1Q_E_NS1_11comp_targetILNS1_3genE8ELNS1_11target_archE1030ELNS1_3gpuE2ELNS1_3repE0EEENS1_30default_config_static_selectorELNS0_4arch9wavefront6targetE0EEEvS13_.has_recursion, 0
	.set _ZN7rocprim17ROCPRIM_400000_NS6detail17trampoline_kernelINS0_13select_configILj256ELj13ELNS0_17block_load_methodE3ELS4_3ELS4_3ELNS0_20block_scan_algorithmE0ELj4294967295EEENS1_25partition_config_selectorILNS1_17partition_subalgoE4EjNS0_10empty_typeEbEEZZNS1_14partition_implILS8_4ELb0ES6_15HIP_vector_typeIjLj2EENS0_17counting_iteratorIjlEEPS9_SG_NS0_5tupleIJPjSI_NS0_16reverse_iteratorISI_EEEEENSH_IJSG_SG_SG_EEES9_SI_JZNS1_25segmented_radix_sort_implINS0_14default_configELb0EPK12hip_bfloat16PSP_PKlPlN2at6native12_GLOBAL__N_18offset_tEEE10hipError_tPvRmT1_PNSt15iterator_traitsIS13_E10value_typeET2_T3_PNS14_IS19_E10value_typeET4_jRbjT5_S1F_jjP12ihipStream_tbEUljE_ZNSN_ISO_Lb0ESR_SS_SU_SV_SZ_EES10_S11_S12_S13_S17_S18_S19_S1C_S1D_jS1E_jS1F_S1F_jjS1H_bEUljE0_EEES10_S11_S12_S19_S1D_S1F_T6_T7_T9_mT8_S1H_bDpT10_ENKUlT_T0_E_clISt17integral_constantIbLb0EES1U_IbLb1EEEEDaS1Q_S1R_EUlS1Q_E_NS1_11comp_targetILNS1_3genE8ELNS1_11target_archE1030ELNS1_3gpuE2ELNS1_3repE0EEENS1_30default_config_static_selectorELNS0_4arch9wavefront6targetE0EEEvS13_.has_indirect_call, 0
	.section	.AMDGPU.csdata,"",@progbits
; Kernel info:
; codeLenInByte = 0
; TotalNumSgprs: 0
; NumVgprs: 0
; ScratchSize: 0
; MemoryBound: 0
; FloatMode: 240
; IeeeMode: 1
; LDSByteSize: 0 bytes/workgroup (compile time only)
; SGPRBlocks: 0
; VGPRBlocks: 0
; NumSGPRsForWavesPerEU: 1
; NumVGPRsForWavesPerEU: 1
; NamedBarCnt: 0
; Occupancy: 16
; WaveLimiterHint : 0
; COMPUTE_PGM_RSRC2:SCRATCH_EN: 0
; COMPUTE_PGM_RSRC2:USER_SGPR: 2
; COMPUTE_PGM_RSRC2:TRAP_HANDLER: 0
; COMPUTE_PGM_RSRC2:TGID_X_EN: 1
; COMPUTE_PGM_RSRC2:TGID_Y_EN: 0
; COMPUTE_PGM_RSRC2:TGID_Z_EN: 0
; COMPUTE_PGM_RSRC2:TIDIG_COMP_CNT: 0
	.section	.text._ZN7rocprim17ROCPRIM_400000_NS6detail17trampoline_kernelINS0_13select_configILj256ELj13ELNS0_17block_load_methodE3ELS4_3ELS4_3ELNS0_20block_scan_algorithmE0ELj4294967295EEENS1_25partition_config_selectorILNS1_17partition_subalgoE3EjNS0_10empty_typeEbEEZZNS1_14partition_implILS8_3ELb0ES6_jNS0_17counting_iteratorIjlEEPS9_SE_NS0_5tupleIJPjSE_EEENSF_IJSE_SE_EEES9_SG_JZNS1_25segmented_radix_sort_implINS0_14default_configELb0EPK12hip_bfloat16PSL_PKlPlN2at6native12_GLOBAL__N_18offset_tEEE10hipError_tPvRmT1_PNSt15iterator_traitsISZ_E10value_typeET2_T3_PNS10_IS15_E10value_typeET4_jRbjT5_S1B_jjP12ihipStream_tbEUljE_EEESW_SX_SY_S15_S19_S1B_T6_T7_T9_mT8_S1D_bDpT10_ENKUlT_T0_E_clISt17integral_constantIbLb0EES1Q_EEDaS1L_S1M_EUlS1L_E_NS1_11comp_targetILNS1_3genE0ELNS1_11target_archE4294967295ELNS1_3gpuE0ELNS1_3repE0EEENS1_30default_config_static_selectorELNS0_4arch9wavefront6targetE0EEEvSZ_,"axG",@progbits,_ZN7rocprim17ROCPRIM_400000_NS6detail17trampoline_kernelINS0_13select_configILj256ELj13ELNS0_17block_load_methodE3ELS4_3ELS4_3ELNS0_20block_scan_algorithmE0ELj4294967295EEENS1_25partition_config_selectorILNS1_17partition_subalgoE3EjNS0_10empty_typeEbEEZZNS1_14partition_implILS8_3ELb0ES6_jNS0_17counting_iteratorIjlEEPS9_SE_NS0_5tupleIJPjSE_EEENSF_IJSE_SE_EEES9_SG_JZNS1_25segmented_radix_sort_implINS0_14default_configELb0EPK12hip_bfloat16PSL_PKlPlN2at6native12_GLOBAL__N_18offset_tEEE10hipError_tPvRmT1_PNSt15iterator_traitsISZ_E10value_typeET2_T3_PNS10_IS15_E10value_typeET4_jRbjT5_S1B_jjP12ihipStream_tbEUljE_EEESW_SX_SY_S15_S19_S1B_T6_T7_T9_mT8_S1D_bDpT10_ENKUlT_T0_E_clISt17integral_constantIbLb0EES1Q_EEDaS1L_S1M_EUlS1L_E_NS1_11comp_targetILNS1_3genE0ELNS1_11target_archE4294967295ELNS1_3gpuE0ELNS1_3repE0EEENS1_30default_config_static_selectorELNS0_4arch9wavefront6targetE0EEEvSZ_,comdat
	.globl	_ZN7rocprim17ROCPRIM_400000_NS6detail17trampoline_kernelINS0_13select_configILj256ELj13ELNS0_17block_load_methodE3ELS4_3ELS4_3ELNS0_20block_scan_algorithmE0ELj4294967295EEENS1_25partition_config_selectorILNS1_17partition_subalgoE3EjNS0_10empty_typeEbEEZZNS1_14partition_implILS8_3ELb0ES6_jNS0_17counting_iteratorIjlEEPS9_SE_NS0_5tupleIJPjSE_EEENSF_IJSE_SE_EEES9_SG_JZNS1_25segmented_radix_sort_implINS0_14default_configELb0EPK12hip_bfloat16PSL_PKlPlN2at6native12_GLOBAL__N_18offset_tEEE10hipError_tPvRmT1_PNSt15iterator_traitsISZ_E10value_typeET2_T3_PNS10_IS15_E10value_typeET4_jRbjT5_S1B_jjP12ihipStream_tbEUljE_EEESW_SX_SY_S15_S19_S1B_T6_T7_T9_mT8_S1D_bDpT10_ENKUlT_T0_E_clISt17integral_constantIbLb0EES1Q_EEDaS1L_S1M_EUlS1L_E_NS1_11comp_targetILNS1_3genE0ELNS1_11target_archE4294967295ELNS1_3gpuE0ELNS1_3repE0EEENS1_30default_config_static_selectorELNS0_4arch9wavefront6targetE0EEEvSZ_ ; -- Begin function _ZN7rocprim17ROCPRIM_400000_NS6detail17trampoline_kernelINS0_13select_configILj256ELj13ELNS0_17block_load_methodE3ELS4_3ELS4_3ELNS0_20block_scan_algorithmE0ELj4294967295EEENS1_25partition_config_selectorILNS1_17partition_subalgoE3EjNS0_10empty_typeEbEEZZNS1_14partition_implILS8_3ELb0ES6_jNS0_17counting_iteratorIjlEEPS9_SE_NS0_5tupleIJPjSE_EEENSF_IJSE_SE_EEES9_SG_JZNS1_25segmented_radix_sort_implINS0_14default_configELb0EPK12hip_bfloat16PSL_PKlPlN2at6native12_GLOBAL__N_18offset_tEEE10hipError_tPvRmT1_PNSt15iterator_traitsISZ_E10value_typeET2_T3_PNS10_IS15_E10value_typeET4_jRbjT5_S1B_jjP12ihipStream_tbEUljE_EEESW_SX_SY_S15_S19_S1B_T6_T7_T9_mT8_S1D_bDpT10_ENKUlT_T0_E_clISt17integral_constantIbLb0EES1Q_EEDaS1L_S1M_EUlS1L_E_NS1_11comp_targetILNS1_3genE0ELNS1_11target_archE4294967295ELNS1_3gpuE0ELNS1_3repE0EEENS1_30default_config_static_selectorELNS0_4arch9wavefront6targetE0EEEvSZ_
	.p2align	8
	.type	_ZN7rocprim17ROCPRIM_400000_NS6detail17trampoline_kernelINS0_13select_configILj256ELj13ELNS0_17block_load_methodE3ELS4_3ELS4_3ELNS0_20block_scan_algorithmE0ELj4294967295EEENS1_25partition_config_selectorILNS1_17partition_subalgoE3EjNS0_10empty_typeEbEEZZNS1_14partition_implILS8_3ELb0ES6_jNS0_17counting_iteratorIjlEEPS9_SE_NS0_5tupleIJPjSE_EEENSF_IJSE_SE_EEES9_SG_JZNS1_25segmented_radix_sort_implINS0_14default_configELb0EPK12hip_bfloat16PSL_PKlPlN2at6native12_GLOBAL__N_18offset_tEEE10hipError_tPvRmT1_PNSt15iterator_traitsISZ_E10value_typeET2_T3_PNS10_IS15_E10value_typeET4_jRbjT5_S1B_jjP12ihipStream_tbEUljE_EEESW_SX_SY_S15_S19_S1B_T6_T7_T9_mT8_S1D_bDpT10_ENKUlT_T0_E_clISt17integral_constantIbLb0EES1Q_EEDaS1L_S1M_EUlS1L_E_NS1_11comp_targetILNS1_3genE0ELNS1_11target_archE4294967295ELNS1_3gpuE0ELNS1_3repE0EEENS1_30default_config_static_selectorELNS0_4arch9wavefront6targetE0EEEvSZ_,@function
_ZN7rocprim17ROCPRIM_400000_NS6detail17trampoline_kernelINS0_13select_configILj256ELj13ELNS0_17block_load_methodE3ELS4_3ELS4_3ELNS0_20block_scan_algorithmE0ELj4294967295EEENS1_25partition_config_selectorILNS1_17partition_subalgoE3EjNS0_10empty_typeEbEEZZNS1_14partition_implILS8_3ELb0ES6_jNS0_17counting_iteratorIjlEEPS9_SE_NS0_5tupleIJPjSE_EEENSF_IJSE_SE_EEES9_SG_JZNS1_25segmented_radix_sort_implINS0_14default_configELb0EPK12hip_bfloat16PSL_PKlPlN2at6native12_GLOBAL__N_18offset_tEEE10hipError_tPvRmT1_PNSt15iterator_traitsISZ_E10value_typeET2_T3_PNS10_IS15_E10value_typeET4_jRbjT5_S1B_jjP12ihipStream_tbEUljE_EEESW_SX_SY_S15_S19_S1B_T6_T7_T9_mT8_S1D_bDpT10_ENKUlT_T0_E_clISt17integral_constantIbLb0EES1Q_EEDaS1L_S1M_EUlS1L_E_NS1_11comp_targetILNS1_3genE0ELNS1_11target_archE4294967295ELNS1_3gpuE0ELNS1_3repE0EEENS1_30default_config_static_selectorELNS0_4arch9wavefront6targetE0EEEvSZ_: ; @_ZN7rocprim17ROCPRIM_400000_NS6detail17trampoline_kernelINS0_13select_configILj256ELj13ELNS0_17block_load_methodE3ELS4_3ELS4_3ELNS0_20block_scan_algorithmE0ELj4294967295EEENS1_25partition_config_selectorILNS1_17partition_subalgoE3EjNS0_10empty_typeEbEEZZNS1_14partition_implILS8_3ELb0ES6_jNS0_17counting_iteratorIjlEEPS9_SE_NS0_5tupleIJPjSE_EEENSF_IJSE_SE_EEES9_SG_JZNS1_25segmented_radix_sort_implINS0_14default_configELb0EPK12hip_bfloat16PSL_PKlPlN2at6native12_GLOBAL__N_18offset_tEEE10hipError_tPvRmT1_PNSt15iterator_traitsISZ_E10value_typeET2_T3_PNS10_IS15_E10value_typeET4_jRbjT5_S1B_jjP12ihipStream_tbEUljE_EEESW_SX_SY_S15_S19_S1B_T6_T7_T9_mT8_S1D_bDpT10_ENKUlT_T0_E_clISt17integral_constantIbLb0EES1Q_EEDaS1L_S1M_EUlS1L_E_NS1_11comp_targetILNS1_3genE0ELNS1_11target_archE4294967295ELNS1_3gpuE0ELNS1_3repE0EEENS1_30default_config_static_selectorELNS0_4arch9wavefront6targetE0EEEvSZ_
; %bb.0:
	s_clause 0x4
	s_load_b128 s[8:11], s[0:1], 0x48
	s_load_b32 s2, s[0:1], 0x70
	s_load_b64 s[12:13], s[0:1], 0x10
	s_load_b64 s[14:15], s[0:1], 0x58
	s_load_b32 s20, s[0:1], 0x8
	s_bfe_u32 s3, ttmp6, 0x4000c
	s_and_b32 s4, ttmp6, 15
	s_add_co_i32 s3, s3, 1
	s_getreg_b32 s5, hwreg(HW_REG_IB_STS2, 6, 4)
	s_mul_i32 s3, ttmp9, s3
	s_mov_b32 s17, 0
	s_add_co_i32 s16, s4, s3
	s_cmp_eq_u32 s5, 0
	s_clause 0x1
	s_load_b32 s3, s[0:1], 0x88
	s_load_b128 s[4:7], s[0:1], 0x78
	s_cselect_b32 s24, ttmp9, s16
	v_lshlrev_b32_e32 v19, 2, v0
	s_wait_kmcnt 0x0
	s_load_b64 s[18:19], s[10:11], 0x0
	s_mul_i32 s16, s2, 0xd00
	s_add_co_i32 s2, s2, -1
	s_add_co_i32 s21, s16, s12
	s_wait_xcnt 0x0
	s_add_nc_u64 s[10:11], s[12:13], s[16:17]
	s_sub_co_i32 s23, s14, s21
	v_cmp_gt_u64_e64 s11, s[14:15], s[10:11]
	s_addk_co_i32 s23, 0xd00
	s_cmp_eq_u32 s24, s2
	s_mul_i32 s10, s24, 0xd00
	s_cselect_b32 s22, -1, 0
	s_cmp_lg_u32 s24, s2
	s_mov_b32 s17, -1
	s_cselect_b32 s2, -1, 0
	s_add_co_i32 s16, s20, s10
	s_or_b32 s11, s2, s11
	s_add_co_i32 s16, s16, s12
	s_and_b32 vcc_lo, exec_lo, s11
	v_add_nc_u32_e32 v1, s16, v0
	s_cbranch_vccz .LBB2007_2
; %bb.1:
	s_delay_alu instid0(VALU_DEP_1)
	v_add_nc_u32_e32 v2, 0x100, v1
	v_add_nc_u32_e32 v3, 0x200, v1
	;; [unrolled: 1-line block ×12, first 2 shown]
	ds_store_2addr_stride64_b32 v19, v1, v2 offset1:4
	ds_store_2addr_stride64_b32 v19, v3, v4 offset0:8 offset1:12
	ds_store_2addr_stride64_b32 v19, v5, v6 offset0:16 offset1:20
	ds_store_2addr_stride64_b32 v19, v7, v8 offset0:24 offset1:28
	ds_store_2addr_stride64_b32 v19, v9, v10 offset0:32 offset1:36
	ds_store_2addr_stride64_b32 v19, v11, v12 offset0:40 offset1:44
	ds_store_b32 v19, v13 offset:12288
	s_wait_dscnt 0x0
	s_barrier_signal -1
	s_mov_b32 s17, 0
	s_barrier_wait -1
.LBB2007_2:
	v_cmp_gt_u32_e64 s2, s23, v0
	v_or_b32_e32 v40, 0x100, v0
	v_or_b32_e32 v38, 0x200, v0
	;; [unrolled: 1-line block ×12, first 2 shown]
	s_and_not1_b32 vcc_lo, exec_lo, s17
	s_cbranch_vccnz .LBB2007_4
; %bb.3:
	v_dual_add_nc_u32 v2, s16, v40 :: v_dual_cndmask_b32 v1, 0, v1, s2
	v_cmp_gt_u32_e32 vcc_lo, s23, v40
	v_dual_add_nc_u32 v3, s16, v38 :: v_dual_add_nc_u32 v4, s16, v36
	v_dual_add_nc_u32 v7, s16, v30 :: v_dual_add_nc_u32 v8, s16, v28
	s_delay_alu instid0(VALU_DEP_4)
	v_cndmask_b32_e32 v2, 0, v2, vcc_lo
	v_cmp_gt_u32_e32 vcc_lo, s23, v38
	v_dual_add_nc_u32 v11, s16, v22 :: v_dual_add_nc_u32 v12, s16, v20
	v_cndmask_b32_e32 v3, 0, v3, vcc_lo
	v_cmp_gt_u32_e32 vcc_lo, s23, v36
	v_dual_cndmask_b32 v4, 0, v4 :: v_dual_add_nc_u32 v5, s16, v34
	v_cmp_gt_u32_e32 vcc_lo, s23, v34
	s_delay_alu instid0(VALU_DEP_2) | instskip(SKIP_1) | instid1(VALU_DEP_2)
	v_dual_cndmask_b32 v5, 0, v5 :: v_dual_add_nc_u32 v6, s16, v32
	v_cmp_gt_u32_e32 vcc_lo, s23, v32
	v_cndmask_b32_e32 v6, 0, v6, vcc_lo
	v_cmp_gt_u32_e32 vcc_lo, s23, v30
	v_cndmask_b32_e32 v7, 0, v7, vcc_lo
	v_cmp_gt_u32_e32 vcc_lo, s23, v28
	v_dual_cndmask_b32 v8, 0, v8 :: v_dual_add_nc_u32 v9, s16, v26
	v_cmp_gt_u32_e32 vcc_lo, s23, v26
	s_delay_alu instid0(VALU_DEP_2) | instskip(SKIP_1) | instid1(VALU_DEP_2)
	v_dual_cndmask_b32 v9, 0, v9 :: v_dual_add_nc_u32 v10, s16, v24
	v_cmp_gt_u32_e32 vcc_lo, s23, v24
	v_cndmask_b32_e32 v10, 0, v10, vcc_lo
	v_cmp_gt_u32_e32 vcc_lo, s23, v22
	v_cndmask_b32_e32 v11, 0, v11, vcc_lo
	v_cmp_gt_u32_e32 vcc_lo, s23, v20
	v_dual_cndmask_b32 v12, 0, v12 :: v_dual_add_nc_u32 v13, s16, v18
	v_cmp_gt_u32_e32 vcc_lo, s23, v18
	s_delay_alu instid0(VALU_DEP_2)
	v_cndmask_b32_e32 v13, 0, v13, vcc_lo
	ds_store_2addr_stride64_b32 v19, v1, v2 offset1:4
	ds_store_2addr_stride64_b32 v19, v3, v4 offset0:8 offset1:12
	ds_store_2addr_stride64_b32 v19, v5, v6 offset0:16 offset1:20
	;; [unrolled: 1-line block ×5, first 2 shown]
	ds_store_b32 v19, v13 offset:12288
	s_wait_dscnt 0x0
	s_barrier_signal -1
	s_barrier_wait -1
.LBB2007_4:
	v_mul_u32_u24_e32 v23, 13, v0
	v_cndmask_b32_e64 v21, 0, 1, s11
	s_and_not1_b32 vcc_lo, exec_lo, s11
	s_delay_alu instid0(VALU_DEP_2)
	v_lshlrev_b32_e32 v2, 2, v23
	ds_load_2addr_b32 v[50:51], v2 offset0:2 offset1:3
	ds_load_2addr_b32 v[46:47], v2 offset0:6 offset1:7
	;; [unrolled: 1-line block ×3, first 2 shown]
	ds_load_2addr_b32 v[52:53], v2 offset1:1
	ds_load_2addr_b32 v[42:43], v2 offset0:10 offset1:11
	ds_load_b32 v1, v2 offset:48
	ds_load_2addr_b32 v[44:45], v2 offset0:8 offset1:9
	s_wait_dscnt 0x0
	s_barrier_signal -1
	s_barrier_wait -1
	s_cbranch_vccnz .LBB2007_6
; %bb.5:
	v_dual_add_nc_u32 v2, s5, v51 :: v_dual_add_nc_u32 v3, s5, v53
	v_dual_add_nc_u32 v4, s5, v52 :: v_dual_add_nc_u32 v5, s5, v50
	;; [unrolled: 1-line block ×4, first 2 shown]
	s_delay_alu instid0(VALU_DEP_3) | instskip(NEXT) | instid1(VALU_DEP_4)
	v_mul_lo_u32 v5, v5, s4
	v_mul_lo_u32 v4, v4, s4
	;; [unrolled: 1-line block ×8, first 2 shown]
	v_dual_add_nc_u32 v10, s5, v48 :: v_dual_add_nc_u32 v11, s7, v48
	v_dual_add_nc_u32 v14, s7, v43 :: v_dual_add_nc_u32 v15, s5, v42
	;; [unrolled: 1-line block ×3, first 2 shown]
	s_delay_alu instid0(VALU_DEP_3)
	v_mul_lo_u32 v10, v10, s4
	v_dual_sub_nc_u32 v2, v2, v6 :: v_dual_sub_nc_u32 v3, v3, v7
	v_dual_sub_nc_u32 v4, v4, v8 :: v_dual_sub_nc_u32 v5, v5, v9
	v_dual_add_nc_u32 v6, s5, v49 :: v_dual_add_nc_u32 v7, s7, v49
	v_dual_add_nc_u32 v8, s5, v47 :: v_dual_add_nc_u32 v9, s7, v47
	v_mul_lo_u32 v11, v11, s6
	s_delay_alu instid0(VALU_DEP_3) | instskip(NEXT) | instid1(VALU_DEP_4)
	v_mul_lo_u32 v6, v6, s4
	v_mul_lo_u32 v7, v7, s6
	s_delay_alu instid0(VALU_DEP_4)
	v_mul_lo_u32 v8, v8, s4
	v_mul_lo_u32 v9, v9, s6
	v_cmp_lt_u32_e32 vcc_lo, s3, v2
	v_dual_add_nc_u32 v12, s5, v46 :: v_dual_add_nc_u32 v13, s5, v44
	v_mul_lo_u32 v14, v14, s6
	v_mul_lo_u32 v16, v16, s6
	v_cndmask_b32_e64 v2, 0, 1, vcc_lo
	v_cmp_lt_u32_e32 vcc_lo, s3, v3
	v_mul_lo_u32 v13, v13, s4
	v_dual_sub_nc_u32 v6, v6, v7 :: v_dual_add_nc_u32 v7, s7, v46
	v_dual_sub_nc_u32 v8, v8, v9 :: v_dual_sub_nc_u32 v9, v10, v11
	v_dual_add_nc_u32 v11, s5, v45 :: v_dual_add_nc_u32 v10, s5, v43
	v_cndmask_b32_e64 v3, 0, 1, vcc_lo
	s_delay_alu instid0(VALU_DEP_4)
	v_cmp_lt_u32_e32 vcc_lo, s3, v6
	v_mul_lo_u32 v12, v12, s4
	v_mul_lo_u32 v7, v7, s6
	;; [unrolled: 1-line block ×4, first 2 shown]
	v_cndmask_b32_e64 v6, 0, 1, vcc_lo
	v_cmp_lt_u32_e32 vcc_lo, s3, v8
	v_lshlrev_b16 v3, 8, v3
	v_add_nc_u32_e32 v25, s7, v42
	v_mul_lo_u32 v17, v17, s6
	v_lshlrev_b16 v6, 8, v6
	v_cndmask_b32_e64 v8, 0, 1, vcc_lo
	v_cmp_lt_u32_e32 vcc_lo, s3, v4
	v_dual_sub_nc_u32 v7, v12, v7 :: v_dual_sub_nc_u32 v10, v10, v14
	v_mul_lo_u32 v12, v15, s4
	v_mul_lo_u32 v15, v25, s6
	v_dual_add_nc_u32 v25, s7, v1 :: v_dual_lshrrev_b32 v3, 8, v3
	v_sub_nc_u32_e32 v11, v11, v16
	v_cndmask_b32_e64 v4, 0, 1, vcc_lo
	v_cmp_lt_u32_e32 vcc_lo, s3, v10
	v_dual_lshrrev_b32 v6, 8, v6 :: v_dual_add_nc_u32 v14, s5, v1
	v_mul_lo_u32 v16, v25, s6
	v_lshlrev_b16 v2, 8, v2
	v_cndmask_b32_e64 v10, 0, 1, vcc_lo
	v_cmp_lt_u32_e32 vcc_lo, s3, v11
	v_mul_lo_u32 v14, v14, s4
	v_dual_sub_nc_u32 v13, v13, v17 :: v_dual_sub_nc_u32 v12, v12, v15
	v_lshlrev_b16 v3, 8, v3
	v_cndmask_b32_e64 v11, 0, 1, vcc_lo
	v_cmp_lt_u32_e32 vcc_lo, s3, v5
	v_lshrrev_b32_e32 v2, 8, v2
	v_lshlrev_b16 v8, 8, v8
	v_or_b32_e32 v3, v4, v3
	v_lshlrev_b16 v4, 8, v10
	v_cndmask_b32_e64 v5, 0, 1, vcc_lo
	v_cmp_lt_u32_e32 vcc_lo, s3, v9
	v_lshlrev_b16 v10, 8, v11
	v_sub_nc_u32_e32 v11, v14, v16
	v_lshlrev_b16 v2, 8, v2
	v_lshrrev_b32_e32 v4, 8, v4
	v_cndmask_b32_e64 v9, 0, 1, vcc_lo
	v_cmp_lt_u32_e32 vcc_lo, s3, v7
	v_lshrrev_b32_e32 v10, 8, v10
	v_lshlrev_b16 v6, 8, v6
	v_or_b32_e32 v2, v5, v2
	v_lshlrev_b16 v4, 8, v4
	v_cndmask_b32_e64 v7, 0, 1, vcc_lo
	v_cmp_lt_u32_e32 vcc_lo, s3, v13
	v_lshlrev_b16 v10, 8, v10
	v_or_b32_e32 v5, v9, v6
	v_and_b32_e32 v3, 0xffff, v3
	v_dual_lshlrev_b32 v2, 16, v2 :: v_dual_bitop2_b32 v6, v7, v8 bitop3:0x54
	v_cndmask_b32_e64 v13, 0, 1, vcc_lo
	v_cmp_lt_u32_e32 vcc_lo, s3, v12
	s_delay_alu instid0(VALU_DEP_3) | instskip(SKIP_4) | instid1(VALU_DEP_4)
	v_lshlrev_b32_e32 v6, 16, v6
	v_and_b32_e32 v5, 0xffff, v5
	v_or_b32_e32 v35, v3, v2
	v_cndmask_b32_e64 v12, 0, 1, vcc_lo
	v_cmp_lt_u32_e32 vcc_lo, s3, v11
	v_or_b32_e32 v31, v5, v6
	s_delay_alu instid0(VALU_DEP_3) | instskip(SKIP_2) | instid1(VALU_DEP_3)
	v_or_b32_e32 v4, v12, v4
	v_or_b32_e32 v7, v13, v10
	v_cndmask_b32_e64 v25, 0, 1, vcc_lo
	v_lshlrev_b32_e32 v4, 16, v4
	s_delay_alu instid0(VALU_DEP_3) | instskip(NEXT) | instid1(VALU_DEP_1)
	v_and_b32_e32 v7, 0xffff, v7
	v_or_b32_e32 v27, v7, v4
	s_load_b64 s[20:21], s[0:1], 0x68
	s_cbranch_execz .LBB2007_7
	s_branch .LBB2007_34
.LBB2007_6:
                                        ; implicit-def: $vgpr25
                                        ; implicit-def: $vgpr27
                                        ; implicit-def: $vgpr31
                                        ; implicit-def: $vgpr35
	s_load_b64 s[20:21], s[0:1], 0x68
.LBB2007_7:
	v_dual_mov_b32 v3, 0 :: v_dual_mov_b32 v2, 0
	s_mov_b32 s2, exec_lo
	v_cmpx_gt_u32_e64 s23, v23
	s_cbranch_execz .LBB2007_9
; %bb.8:
	v_dual_add_nc_u32 v2, s5, v52 :: v_dual_add_nc_u32 v4, s7, v52
	s_delay_alu instid0(VALU_DEP_1) | instskip(NEXT) | instid1(VALU_DEP_2)
	v_mul_lo_u32 v2, v2, s4
	v_mul_lo_u32 v4, v4, s6
	s_delay_alu instid0(VALU_DEP_1) | instskip(NEXT) | instid1(VALU_DEP_1)
	v_sub_nc_u32_e32 v2, v2, v4
	v_cmp_lt_u32_e32 vcc_lo, s3, v2
	v_cndmask_b32_e64 v2, 0, 1, vcc_lo
.LBB2007_9:
	s_or_b32 exec_lo, exec_lo, s2
	v_add_nc_u32_e32 v4, 1, v23
	s_mov_b32 s2, exec_lo
	s_delay_alu instid0(VALU_DEP_1)
	v_cmpx_gt_u32_e64 s23, v4
	s_cbranch_execz .LBB2007_11
; %bb.10:
	v_dual_add_nc_u32 v3, s5, v53 :: v_dual_add_nc_u32 v4, s7, v53
	s_delay_alu instid0(VALU_DEP_1) | instskip(NEXT) | instid1(VALU_DEP_2)
	v_mul_lo_u32 v3, v3, s4
	v_mul_lo_u32 v4, v4, s6
	s_delay_alu instid0(VALU_DEP_1) | instskip(NEXT) | instid1(VALU_DEP_1)
	v_sub_nc_u32_e32 v3, v3, v4
	v_cmp_lt_u32_e32 vcc_lo, s3, v3
	v_cndmask_b32_e64 v3, 0, 1, vcc_lo
.LBB2007_11:
	s_or_b32 exec_lo, exec_lo, s2
	v_dual_mov_b32 v5, 0 :: v_dual_add_nc_u32 v4, 2, v23
	s_delay_alu instid0(VALU_DEP_1)
	v_cmp_gt_u32_e32 vcc_lo, s23, v4
	v_mov_b32_e32 v4, 0
	s_and_saveexec_b32 s2, vcc_lo
	s_cbranch_execz .LBB2007_13
; %bb.12:
	v_dual_add_nc_u32 v4, s5, v50 :: v_dual_add_nc_u32 v6, s7, v50
	s_delay_alu instid0(VALU_DEP_1) | instskip(NEXT) | instid1(VALU_DEP_2)
	v_mul_lo_u32 v4, v4, s4
	v_mul_lo_u32 v6, v6, s6
	s_delay_alu instid0(VALU_DEP_1) | instskip(NEXT) | instid1(VALU_DEP_1)
	v_sub_nc_u32_e32 v4, v4, v6
	v_cmp_lt_u32_e32 vcc_lo, s3, v4
	v_cndmask_b32_e64 v4, 0, 1, vcc_lo
.LBB2007_13:
	s_or_b32 exec_lo, exec_lo, s2
	v_add_nc_u32_e32 v6, 3, v23
	s_mov_b32 s2, exec_lo
	s_delay_alu instid0(VALU_DEP_1)
	v_cmpx_gt_u32_e64 s23, v6
	s_cbranch_execz .LBB2007_15
; %bb.14:
	v_dual_add_nc_u32 v5, s5, v51 :: v_dual_add_nc_u32 v6, s7, v51
	s_delay_alu instid0(VALU_DEP_1) | instskip(NEXT) | instid1(VALU_DEP_2)
	v_mul_lo_u32 v5, v5, s4
	v_mul_lo_u32 v6, v6, s6
	s_delay_alu instid0(VALU_DEP_1) | instskip(NEXT) | instid1(VALU_DEP_1)
	v_sub_nc_u32_e32 v5, v5, v6
	v_cmp_lt_u32_e32 vcc_lo, s3, v5
	v_cndmask_b32_e64 v5, 0, 1, vcc_lo
.LBB2007_15:
	s_or_b32 exec_lo, exec_lo, s2
	v_dual_mov_b32 v7, 0 :: v_dual_add_nc_u32 v6, 4, v23
	s_delay_alu instid0(VALU_DEP_1)
	v_cmp_gt_u32_e32 vcc_lo, s23, v6
	v_mov_b32_e32 v6, 0
	s_and_saveexec_b32 s2, vcc_lo
	;; [unrolled: 33-line block ×5, first 2 shown]
	s_cbranch_execz .LBB2007_29
; %bb.28:
	v_dual_add_nc_u32 v12, s5, v42 :: v_dual_add_nc_u32 v14, s7, v42
	s_delay_alu instid0(VALU_DEP_1) | instskip(NEXT) | instid1(VALU_DEP_2)
	v_mul_lo_u32 v12, v12, s4
	v_mul_lo_u32 v14, v14, s6
	s_delay_alu instid0(VALU_DEP_1) | instskip(NEXT) | instid1(VALU_DEP_1)
	v_sub_nc_u32_e32 v12, v12, v14
	v_cmp_lt_u32_e32 vcc_lo, s3, v12
	v_cndmask_b32_e64 v12, 0, 1, vcc_lo
.LBB2007_29:
	s_or_b32 exec_lo, exec_lo, s2
	v_add_nc_u32_e32 v14, 11, v23
	s_mov_b32 s2, exec_lo
	s_delay_alu instid0(VALU_DEP_1)
	v_cmpx_gt_u32_e64 s23, v14
	s_cbranch_execz .LBB2007_31
; %bb.30:
	v_dual_add_nc_u32 v13, s5, v43 :: v_dual_add_nc_u32 v14, s7, v43
	s_delay_alu instid0(VALU_DEP_1) | instskip(NEXT) | instid1(VALU_DEP_2)
	v_mul_lo_u32 v13, v13, s4
	v_mul_lo_u32 v14, v14, s6
	s_delay_alu instid0(VALU_DEP_1) | instskip(NEXT) | instid1(VALU_DEP_1)
	v_sub_nc_u32_e32 v13, v13, v14
	v_cmp_lt_u32_e32 vcc_lo, s3, v13
	v_cndmask_b32_e64 v13, 0, 1, vcc_lo
.LBB2007_31:
	s_or_b32 exec_lo, exec_lo, s2
	v_dual_mov_b32 v25, 0 :: v_dual_add_nc_u32 v14, 12, v23
	s_mov_b32 s2, exec_lo
	s_delay_alu instid0(VALU_DEP_1)
	v_cmpx_gt_u32_e64 s23, v14
	s_cbranch_execz .LBB2007_33
; %bb.32:
	v_dual_add_nc_u32 v14, s7, v1 :: v_dual_add_nc_u32 v15, s5, v1
	s_delay_alu instid0(VALU_DEP_1) | instskip(NEXT) | instid1(VALU_DEP_2)
	v_mul_lo_u32 v14, v14, s6
	v_mul_lo_u32 v15, v15, s4
	s_delay_alu instid0(VALU_DEP_1) | instskip(NEXT) | instid1(VALU_DEP_1)
	v_sub_nc_u32_e32 v14, v15, v14
	v_cmp_lt_u32_e32 vcc_lo, s3, v14
	v_cndmask_b32_e64 v25, 0, 1, vcc_lo
.LBB2007_33:
	s_or_b32 exec_lo, exec_lo, s2
	v_lshlrev_b16 v5, 8, v5
	v_lshlrev_b16 v7, 8, v7
	;; [unrolled: 1-line block ×5, first 2 shown]
	v_or_b32_e32 v4, v4, v5
	v_or_b32_e32 v5, v6, v7
	;; [unrolled: 1-line block ×3, first 2 shown]
	s_delay_alu instid0(VALU_DEP_4) | instskip(NEXT) | instid1(VALU_DEP_3)
	v_or_b32_e32 v7, v10, v11
	v_and_b32_e32 v5, 0xffff, v5
	s_delay_alu instid0(VALU_DEP_3) | instskip(SKIP_3) | instid1(VALU_DEP_4)
	v_dual_lshlrev_b32 v6, 16, v6 :: v_dual_bitop2_b32 v2, v2, v3 bitop3:0x54
	v_lshlrev_b32_e32 v4, 16, v4
	v_lshlrev_b16 v3, 8, v13
	v_and_b32_e32 v7, 0xffff, v7
	v_or_b32_e32 v31, v5, v6
	v_and_b32_e32 v2, 0xffff, v2
	s_delay_alu instid0(VALU_DEP_4) | instskip(NEXT) | instid1(VALU_DEP_1)
	v_or_b32_e32 v3, v12, v3
	v_dual_lshlrev_b32 v3, 16, v3 :: v_dual_bitop2_b32 v35, v2, v4 bitop3:0x54
	s_delay_alu instid0(VALU_DEP_1)
	v_or_b32_e32 v27, v7, v3
.LBB2007_34:
	s_delay_alu instid0(VALU_DEP_2)
	v_bfe_u32 v39, v35, 16, 8
	v_bfe_u32 v41, v35, 8, 8
	v_and_b32_e32 v55, 0xff, v35
	v_and_b32_e32 v56, 0xff, v31
	v_mbcnt_lo_u32_b32 v62, -1, 0
	v_lshrrev_b32_e32 v37, 24, v35
	v_bfe_u32 v57, v31, 16, 8
	v_add3_u32 v2, v41, v55, v39
	v_bfe_u32 v58, v31, 8, 8
	v_and_b32_e32 v4, 15, v62
	s_load_b64 s[16:17], s[0:1], 0x28
	v_dual_lshrrev_b32 v33, 24, v31 :: v_dual_lshrrev_b32 v63, 5, v0
	v_add3_u32 v2, v2, v37, v56
	v_and_b32_e32 v59, 0xff, v27
	v_bfe_u32 v60, v27, 16, 8
	v_bfe_u32 v61, v27, 8, 8
	v_dual_lshrrev_b32 v29, 24, v27 :: v_dual_bitop2_b32 v5, 31, v0 bitop3:0x54
	v_add3_u32 v2, v2, v58, v57
	v_and_b32_e32 v3, 0xff, v25
	v_and_b32_e32 v6, 16, v62
	v_cmp_eq_u32_e64 s5, 0, v4
	v_cmp_lt_u32_e64 s4, 1, v4
	v_add3_u32 v2, v2, v33, v59
	v_cmp_lt_u32_e64 s3, 3, v4
	v_cmp_lt_u32_e64 s2, 7, v4
	s_wait_xcnt 0x0
	v_cmp_eq_u32_e64 s1, 0, v6
	v_cmp_eq_u32_e64 s0, v0, v5
	v_add3_u32 v2, v2, v61, v60
	s_cmp_lg_u32 s24, 0
	s_mov_b32 s6, -1
	s_delay_alu instid0(VALU_DEP_1)
	v_add3_u32 v64, v2, v29, v3
	s_cbranch_scc0 .LBB2007_56
; %bb.35:
	s_delay_alu instid0(VALU_DEP_1) | instskip(NEXT) | instid1(VALU_DEP_1)
	v_mov_b32_dpp v2, v64 row_shr:1 row_mask:0xf bank_mask:0xf
	v_cndmask_b32_e64 v2, v2, 0, s5
	s_delay_alu instid0(VALU_DEP_1) | instskip(NEXT) | instid1(VALU_DEP_1)
	v_add_nc_u32_e32 v2, v2, v64
	v_mov_b32_dpp v3, v2 row_shr:2 row_mask:0xf bank_mask:0xf
	s_delay_alu instid0(VALU_DEP_1) | instskip(NEXT) | instid1(VALU_DEP_1)
	v_cndmask_b32_e64 v3, 0, v3, s4
	v_add_nc_u32_e32 v2, v2, v3
	s_delay_alu instid0(VALU_DEP_1) | instskip(NEXT) | instid1(VALU_DEP_1)
	v_mov_b32_dpp v3, v2 row_shr:4 row_mask:0xf bank_mask:0xf
	v_cndmask_b32_e64 v3, 0, v3, s3
	s_delay_alu instid0(VALU_DEP_1) | instskip(NEXT) | instid1(VALU_DEP_1)
	v_add_nc_u32_e32 v2, v2, v3
	v_mov_b32_dpp v3, v2 row_shr:8 row_mask:0xf bank_mask:0xf
	s_delay_alu instid0(VALU_DEP_1) | instskip(NEXT) | instid1(VALU_DEP_1)
	v_cndmask_b32_e64 v3, 0, v3, s2
	v_add_nc_u32_e32 v2, v2, v3
	ds_swizzle_b32 v3, v2 offset:swizzle(BROADCAST,32,15)
	s_wait_dscnt 0x0
	v_cndmask_b32_e64 v3, v3, 0, s1
	s_delay_alu instid0(VALU_DEP_1)
	v_add_nc_u32_e32 v2, v2, v3
	s_and_saveexec_b32 s6, s0
; %bb.36:
	v_lshlrev_b32_e32 v3, 2, v63
	ds_store_b32 v3, v2
; %bb.37:
	s_or_b32 exec_lo, exec_lo, s6
	s_delay_alu instid0(SALU_CYCLE_1)
	s_mov_b32 s6, exec_lo
	s_wait_dscnt 0x0
	s_barrier_signal -1
	s_barrier_wait -1
	v_cmpx_gt_u32_e32 8, v0
	s_cbranch_execz .LBB2007_39
; %bb.38:
	ds_load_b32 v3, v19
	s_wait_dscnt 0x0
	v_mov_b32_dpp v5, v3 row_shr:1 row_mask:0xf bank_mask:0xf
	v_and_b32_e32 v4, 7, v62
	s_delay_alu instid0(VALU_DEP_1) | instskip(NEXT) | instid1(VALU_DEP_3)
	v_cmp_ne_u32_e32 vcc_lo, 0, v4
	v_cndmask_b32_e32 v5, 0, v5, vcc_lo
	v_cmp_lt_u32_e32 vcc_lo, 1, v4
	s_delay_alu instid0(VALU_DEP_2) | instskip(NEXT) | instid1(VALU_DEP_1)
	v_add_nc_u32_e32 v3, v5, v3
	v_mov_b32_dpp v5, v3 row_shr:2 row_mask:0xf bank_mask:0xf
	s_delay_alu instid0(VALU_DEP_1) | instskip(SKIP_1) | instid1(VALU_DEP_2)
	v_cndmask_b32_e32 v5, 0, v5, vcc_lo
	v_cmp_lt_u32_e32 vcc_lo, 3, v4
	v_add_nc_u32_e32 v3, v3, v5
	s_delay_alu instid0(VALU_DEP_1) | instskip(NEXT) | instid1(VALU_DEP_1)
	v_mov_b32_dpp v5, v3 row_shr:4 row_mask:0xf bank_mask:0xf
	v_cndmask_b32_e32 v4, 0, v5, vcc_lo
	s_delay_alu instid0(VALU_DEP_1)
	v_add_nc_u32_e32 v3, v3, v4
	ds_store_b32 v19, v3
.LBB2007_39:
	s_or_b32 exec_lo, exec_lo, s6
	s_delay_alu instid0(SALU_CYCLE_1)
	s_mov_b32 s7, exec_lo
	v_cmp_gt_u32_e32 vcc_lo, 32, v0
	s_wait_dscnt 0x0
	s_barrier_signal -1
	s_barrier_wait -1
                                        ; implicit-def: $vgpr10
	v_cmpx_lt_u32_e32 31, v0
	s_cbranch_execz .LBB2007_41
; %bb.40:
	v_lshl_add_u32 v3, v63, 2, -4
	ds_load_b32 v10, v3
	s_wait_dscnt 0x0
	v_add_nc_u32_e32 v2, v10, v2
.LBB2007_41:
	s_or_b32 exec_lo, exec_lo, s7
	v_sub_co_u32 v3, s6, v62, 1
	s_delay_alu instid0(VALU_DEP_1) | instskip(NEXT) | instid1(VALU_DEP_1)
	v_cmp_gt_i32_e64 s7, 0, v3
	v_cndmask_b32_e64 v3, v3, v62, s7
	s_delay_alu instid0(VALU_DEP_1)
	v_lshlrev_b32_e32 v3, 2, v3
	ds_bpermute_b32 v11, v3, v2
	s_and_saveexec_b32 s7, vcc_lo
	s_cbranch_execz .LBB2007_61
; %bb.42:
	v_mov_b32_e32 v9, 0
	ds_load_b32 v2, v9 offset:28
	s_and_saveexec_b32 s11, s6
	s_cbranch_execz .LBB2007_44
; %bb.43:
	s_add_co_i32 s25, s24, 32
	s_delay_alu instid0(SALU_CYCLE_1)
	v_dual_mov_b32 v3, 1 :: v_dual_mov_b32 v4, s25
	s_wait_dscnt 0x0
	s_wait_kmcnt 0x0
	global_store_b64 v4, v[2:3], s[20:21] scale_offset scope:SCOPE_DEV
.LBB2007_44:
	s_wait_xcnt 0x0
	s_or_b32 exec_lo, exec_lo, s11
	v_xad_u32 v4, v62, -1, s24
	s_mov_b32 s25, 0
	s_mov_b32 s11, exec_lo
	s_delay_alu instid0(VALU_DEP_1)
	v_add_nc_u32_e32 v8, 32, v4
	s_wait_kmcnt 0x0
	global_load_b64 v[6:7], v8, s[20:21] scale_offset scope:SCOPE_DEV
	s_wait_loadcnt 0x0
	v_and_b32_e32 v3, 0xff, v7
	s_wait_xcnt 0x0
	s_delay_alu instid0(VALU_DEP_1)
	v_cmpx_eq_u16_e32 0, v3
	s_cbranch_execz .LBB2007_48
; %bb.45:
	v_lshl_add_u64 v[8:9], v[8:9], 3, s[20:21]
.LBB2007_46:                            ; =>This Inner Loop Header: Depth=1
	global_load_b64 v[6:7], v[8:9], off scope:SCOPE_DEV
	s_wait_loadcnt 0x0
	v_and_b32_e32 v3, 0xff, v7
	s_delay_alu instid0(VALU_DEP_1)
	v_cmp_ne_u16_e32 vcc_lo, 0, v3
	s_or_b32 s25, vcc_lo, s25
	s_wait_xcnt 0x0
	s_and_not1_b32 exec_lo, exec_lo, s25
	s_cbranch_execnz .LBB2007_46
; %bb.47:
	s_or_b32 exec_lo, exec_lo, s25
.LBB2007_48:
	s_delay_alu instid0(SALU_CYCLE_1)
	s_or_b32 exec_lo, exec_lo, s11
	v_cmp_ne_u32_e32 vcc_lo, 31, v62
	v_lshlrev_b32_e64 v13, v62, -1
	v_dual_add_nc_u32 v15, 2, v62 :: v_dual_add_nc_u32 v17, 4, v62
	v_dual_add_nc_u32 v65, 8, v62 :: v_dual_add_nc_u32 v67, 16, v62
	v_add_co_ci_u32_e64 v3, null, 0, v62, vcc_lo
	v_lshl_or_b32 v66, v62, 2, 64
	s_delay_alu instid0(VALU_DEP_2)
	v_lshlrev_b32_e32 v12, 2, v3
	v_and_b32_e32 v3, 0xff, v7
	ds_bpermute_b32 v5, v12, v6
	v_cmp_eq_u16_e32 vcc_lo, 2, v3
	v_and_or_b32 v3, vcc_lo, v13, 0x80000000
	v_cmp_gt_u32_e32 vcc_lo, 30, v62
	s_delay_alu instid0(VALU_DEP_2) | instskip(SKIP_1) | instid1(VALU_DEP_2)
	v_ctz_i32_b32_e32 v3, v3
	v_cndmask_b32_e64 v8, 0, 2, vcc_lo
	v_cmp_lt_u32_e32 vcc_lo, v62, v3
	s_delay_alu instid0(VALU_DEP_2)
	v_add_lshl_u32 v14, v8, v62, 2
	s_wait_dscnt 0x0
	v_cndmask_b32_e32 v5, 0, v5, vcc_lo
	v_cmp_gt_u32_e32 vcc_lo, 28, v62
	v_cndmask_b32_e64 v8, 0, 4, vcc_lo
	v_cmp_le_u32_e32 vcc_lo, v15, v3
	s_delay_alu instid0(VALU_DEP_4) | instskip(NEXT) | instid1(VALU_DEP_3)
	v_add_nc_u32_e32 v5, v5, v6
	v_add_lshl_u32 v16, v8, v62, 2
	ds_bpermute_b32 v6, v14, v5
	s_wait_dscnt 0x0
	v_cndmask_b32_e32 v6, 0, v6, vcc_lo
	v_cmp_gt_u32_e32 vcc_lo, 24, v62
	v_cndmask_b32_e64 v8, 0, 8, vcc_lo
	v_cmp_le_u32_e32 vcc_lo, v17, v3
	s_delay_alu instid0(VALU_DEP_4) | instskip(NEXT) | instid1(VALU_DEP_3)
	v_add_nc_u32_e32 v5, v5, v6
	v_add_lshl_u32 v54, v8, v62, 2
	ds_bpermute_b32 v6, v16, v5
	s_wait_dscnt 0x0
	v_cndmask_b32_e32 v6, 0, v6, vcc_lo
	v_cmp_le_u32_e32 vcc_lo, v65, v3
	s_delay_alu instid0(VALU_DEP_2) | instskip(SKIP_4) | instid1(VALU_DEP_2)
	v_add_nc_u32_e32 v5, v5, v6
	ds_bpermute_b32 v6, v54, v5
	s_wait_dscnt 0x0
	v_cndmask_b32_e32 v6, 0, v6, vcc_lo
	v_cmp_le_u32_e32 vcc_lo, v67, v3
	v_add_nc_u32_e32 v5, v5, v6
	ds_bpermute_b32 v6, v66, v5
	s_wait_dscnt 0x0
	v_cndmask_b32_e32 v3, 0, v6, vcc_lo
	s_delay_alu instid0(VALU_DEP_1)
	v_dual_mov_b32 v5, 0 :: v_dual_add_nc_u32 v6, v5, v3
	s_branch .LBB2007_52
.LBB2007_49:                            ;   in Loop: Header=BB2007_52 Depth=1
	s_or_b32 exec_lo, exec_lo, s25
.LBB2007_50:                            ;   in Loop: Header=BB2007_52 Depth=1
	s_delay_alu instid0(SALU_CYCLE_1)
	s_or_b32 exec_lo, exec_lo, s11
	v_and_b32_e32 v8, 0xff, v7
	ds_bpermute_b32 v9, v12, v6
	v_subrev_nc_u32_e32 v4, 32, v4
	s_mov_b32 s11, 0
	v_cmp_eq_u16_e32 vcc_lo, 2, v8
	v_and_or_b32 v8, vcc_lo, v13, 0x80000000
	s_delay_alu instid0(VALU_DEP_1) | instskip(NEXT) | instid1(VALU_DEP_1)
	v_ctz_i32_b32_e32 v8, v8
	v_cmp_lt_u32_e32 vcc_lo, v62, v8
	s_wait_dscnt 0x0
	v_cndmask_b32_e32 v9, 0, v9, vcc_lo
	v_cmp_le_u32_e32 vcc_lo, v15, v8
	s_delay_alu instid0(VALU_DEP_2) | instskip(SKIP_4) | instid1(VALU_DEP_2)
	v_add_nc_u32_e32 v6, v9, v6
	ds_bpermute_b32 v9, v14, v6
	s_wait_dscnt 0x0
	v_cndmask_b32_e32 v9, 0, v9, vcc_lo
	v_cmp_le_u32_e32 vcc_lo, v17, v8
	v_add_nc_u32_e32 v6, v6, v9
	ds_bpermute_b32 v9, v16, v6
	s_wait_dscnt 0x0
	v_cndmask_b32_e32 v9, 0, v9, vcc_lo
	v_cmp_le_u32_e32 vcc_lo, v65, v8
	s_delay_alu instid0(VALU_DEP_2) | instskip(SKIP_4) | instid1(VALU_DEP_2)
	v_add_nc_u32_e32 v6, v6, v9
	ds_bpermute_b32 v9, v54, v6
	s_wait_dscnt 0x0
	v_cndmask_b32_e32 v9, 0, v9, vcc_lo
	v_cmp_le_u32_e32 vcc_lo, v67, v8
	v_add_nc_u32_e32 v6, v6, v9
	ds_bpermute_b32 v9, v66, v6
	s_wait_dscnt 0x0
	v_cndmask_b32_e32 v8, 0, v9, vcc_lo
	s_delay_alu instid0(VALU_DEP_1)
	v_add3_u32 v6, v8, v3, v6
.LBB2007_51:                            ;   in Loop: Header=BB2007_52 Depth=1
	s_and_b32 vcc_lo, exec_lo, s11
	s_cbranch_vccnz .LBB2007_57
.LBB2007_52:                            ; =>This Loop Header: Depth=1
                                        ;     Child Loop BB2007_55 Depth 2
	v_and_b32_e32 v3, 0xff, v7
	s_mov_b32 s11, -1
                                        ; implicit-def: $vgpr7
	s_delay_alu instid0(VALU_DEP_1)
	v_cmp_ne_u16_e32 vcc_lo, 2, v3
	v_mov_b32_e32 v3, v6
                                        ; implicit-def: $vgpr6
	s_cmp_lg_u32 vcc_lo, exec_lo
	s_cbranch_scc1 .LBB2007_51
; %bb.53:                               ;   in Loop: Header=BB2007_52 Depth=1
	global_load_b64 v[6:7], v4, s[20:21] scale_offset scope:SCOPE_DEV
	s_mov_b32 s11, exec_lo
	s_wait_loadcnt 0x0
	v_and_b32_e32 v8, 0xff, v7
	s_wait_xcnt 0x0
	s_delay_alu instid0(VALU_DEP_1)
	v_cmpx_eq_u16_e32 0, v8
	s_cbranch_execz .LBB2007_50
; %bb.54:                               ;   in Loop: Header=BB2007_52 Depth=1
	v_lshl_add_u64 v[8:9], v[4:5], 3, s[20:21]
	s_mov_b32 s25, 0
.LBB2007_55:                            ;   Parent Loop BB2007_52 Depth=1
                                        ; =>  This Inner Loop Header: Depth=2
	global_load_b64 v[6:7], v[8:9], off scope:SCOPE_DEV
	s_wait_loadcnt 0x0
	v_and_b32_e32 v68, 0xff, v7
	s_delay_alu instid0(VALU_DEP_1)
	v_cmp_ne_u16_e32 vcc_lo, 0, v68
	s_or_b32 s25, vcc_lo, s25
	s_wait_xcnt 0x0
	s_and_not1_b32 exec_lo, exec_lo, s25
	s_cbranch_execnz .LBB2007_55
	s_branch .LBB2007_49
.LBB2007_56:
                                        ; implicit-def: $vgpr2_vgpr3_vgpr4_vgpr5_vgpr6_vgpr7_vgpr8_vgpr9_vgpr10_vgpr11_vgpr12_vgpr13_vgpr14_vgpr15_vgpr16_vgpr17
                                        ; implicit-def: $vgpr54
                                        ; implicit-def: $vgpr16
	s_and_b32 vcc_lo, exec_lo, s6
	s_cbranch_vccnz .LBB2007_62
	s_branch .LBB2007_71
.LBB2007_57:
	s_and_saveexec_b32 s11, s6
	s_cbranch_execz .LBB2007_59
; %bb.58:
	s_add_co_i32 s24, s24, 32
	v_dual_mov_b32 v5, 2 :: v_dual_add_nc_u32 v4, v3, v2
	v_dual_mov_b32 v6, s24 :: v_dual_mov_b32 v7, 0
	global_store_b64 v6, v[4:5], s[20:21] scale_offset scope:SCOPE_DEV
	ds_store_b64 v7, v[2:3] offset:13312
.LBB2007_59:
	s_wait_xcnt 0x0
	s_or_b32 exec_lo, exec_lo, s11
	v_cmp_eq_u32_e32 vcc_lo, 0, v0
	s_and_b32 exec_lo, exec_lo, vcc_lo
; %bb.60:
	v_mov_b32_e32 v2, 0
	ds_store_b32 v2, v3 offset:28
.LBB2007_61:
	s_or_b32 exec_lo, exec_lo, s7
	s_wait_dscnt 0x0
	v_dual_mov_b32 v12, 0 :: v_dual_cndmask_b32 v3, v11, v10, s6
	s_wait_storecnt 0x0
	s_barrier_signal -1
	s_barrier_wait -1
	ds_load_b32 v2, v12 offset:28
	v_cmp_ne_u32_e32 vcc_lo, 0, v0
	s_wait_dscnt 0x0
	s_barrier_signal -1
	s_barrier_wait -1
	v_cndmask_b32_e32 v3, 0, v3, vcc_lo
	ds_load_b64 v[16:17], v12 offset:13312
	v_add_nc_u32_e32 v2, v2, v3
	s_wait_dscnt 0x0
	s_delay_alu instid0(VALU_DEP_1) | instskip(NEXT) | instid1(VALU_DEP_1)
	v_dual_mov_b32 v54, v17 :: v_dual_add_nc_u32 v3, v2, v55
	v_add_nc_u32_e32 v4, v3, v41
	s_delay_alu instid0(VALU_DEP_1) | instskip(NEXT) | instid1(VALU_DEP_1)
	v_add_nc_u32_e32 v5, v4, v39
	v_add_nc_u32_e32 v6, v5, v37
	s_delay_alu instid0(VALU_DEP_1) | instskip(NEXT) | instid1(VALU_DEP_1)
	v_add_nc_u32_e32 v7, v6, v56
	v_add_nc_u32_e32 v8, v7, v58
	s_delay_alu instid0(VALU_DEP_1) | instskip(NEXT) | instid1(VALU_DEP_1)
	v_add_nc_u32_e32 v9, v8, v57
	v_add_nc_u32_e32 v10, v9, v33
	s_delay_alu instid0(VALU_DEP_1) | instskip(NEXT) | instid1(VALU_DEP_1)
	v_add_nc_u32_e32 v11, v10, v59
	v_add_nc_u32_e32 v12, v11, v61
	s_delay_alu instid0(VALU_DEP_1) | instskip(NEXT) | instid1(VALU_DEP_1)
	v_add_nc_u32_e32 v13, v12, v60
	v_add_nc_u32_e32 v14, v13, v29
	s_branch .LBB2007_71
.LBB2007_62:
	v_mov_b32_dpp v2, v64 row_shr:1 row_mask:0xf bank_mask:0xf
	s_delay_alu instid0(VALU_DEP_1) | instskip(NEXT) | instid1(VALU_DEP_1)
	v_cndmask_b32_e64 v2, v2, 0, s5
	v_add_nc_u32_e32 v2, v2, v64
	s_delay_alu instid0(VALU_DEP_1) | instskip(NEXT) | instid1(VALU_DEP_1)
	v_mov_b32_dpp v3, v2 row_shr:2 row_mask:0xf bank_mask:0xf
	v_cndmask_b32_e64 v3, 0, v3, s4
	s_delay_alu instid0(VALU_DEP_1) | instskip(NEXT) | instid1(VALU_DEP_1)
	v_add_nc_u32_e32 v2, v2, v3
	v_mov_b32_dpp v3, v2 row_shr:4 row_mask:0xf bank_mask:0xf
	s_delay_alu instid0(VALU_DEP_1) | instskip(NEXT) | instid1(VALU_DEP_1)
	v_cndmask_b32_e64 v3, 0, v3, s3
	v_add_nc_u32_e32 v2, v2, v3
	s_delay_alu instid0(VALU_DEP_1) | instskip(NEXT) | instid1(VALU_DEP_1)
	v_mov_b32_dpp v3, v2 row_shr:8 row_mask:0xf bank_mask:0xf
	v_cndmask_b32_e64 v3, 0, v3, s2
	s_delay_alu instid0(VALU_DEP_1) | instskip(SKIP_3) | instid1(VALU_DEP_1)
	v_add_nc_u32_e32 v2, v2, v3
	ds_swizzle_b32 v3, v2 offset:swizzle(BROADCAST,32,15)
	s_wait_dscnt 0x0
	v_cndmask_b32_e64 v3, v3, 0, s1
	v_add_nc_u32_e32 v2, v2, v3
	s_and_saveexec_b32 s1, s0
; %bb.63:
	v_lshlrev_b32_e32 v3, 2, v63
	ds_store_b32 v3, v2
; %bb.64:
	s_or_b32 exec_lo, exec_lo, s1
	s_delay_alu instid0(SALU_CYCLE_1)
	s_mov_b32 s0, exec_lo
	s_wait_dscnt 0x0
	s_barrier_signal -1
	s_barrier_wait -1
	v_cmpx_gt_u32_e32 8, v0
	s_cbranch_execz .LBB2007_66
; %bb.65:
	ds_load_b32 v3, v19
	s_wait_dscnt 0x0
	v_mov_b32_dpp v5, v3 row_shr:1 row_mask:0xf bank_mask:0xf
	v_and_b32_e32 v4, 7, v62
	s_delay_alu instid0(VALU_DEP_1) | instskip(NEXT) | instid1(VALU_DEP_3)
	v_cmp_ne_u32_e32 vcc_lo, 0, v4
	v_cndmask_b32_e32 v5, 0, v5, vcc_lo
	v_cmp_lt_u32_e32 vcc_lo, 1, v4
	s_delay_alu instid0(VALU_DEP_2) | instskip(NEXT) | instid1(VALU_DEP_1)
	v_add_nc_u32_e32 v3, v5, v3
	v_mov_b32_dpp v5, v3 row_shr:2 row_mask:0xf bank_mask:0xf
	s_delay_alu instid0(VALU_DEP_1) | instskip(SKIP_1) | instid1(VALU_DEP_2)
	v_cndmask_b32_e32 v5, 0, v5, vcc_lo
	v_cmp_lt_u32_e32 vcc_lo, 3, v4
	v_add_nc_u32_e32 v3, v3, v5
	s_delay_alu instid0(VALU_DEP_1) | instskip(NEXT) | instid1(VALU_DEP_1)
	v_mov_b32_dpp v5, v3 row_shr:4 row_mask:0xf bank_mask:0xf
	v_cndmask_b32_e32 v4, 0, v5, vcc_lo
	s_delay_alu instid0(VALU_DEP_1)
	v_add_nc_u32_e32 v3, v3, v4
	ds_store_b32 v19, v3
.LBB2007_66:
	s_or_b32 exec_lo, exec_lo, s0
	v_dual_mov_b32 v4, 0 :: v_dual_mov_b32 v3, 0
	s_mov_b32 s0, exec_lo
	s_wait_dscnt 0x0
	s_barrier_signal -1
	s_barrier_wait -1
	v_cmpx_lt_u32_e32 31, v0
; %bb.67:
	v_lshl_add_u32 v3, v63, 2, -4
	ds_load_b32 v3, v3
; %bb.68:
	s_or_b32 exec_lo, exec_lo, s0
	v_sub_co_u32 v5, vcc_lo, v62, 1
	ds_load_b32 v16, v4 offset:28
	v_cmp_gt_i32_e64 s0, 0, v5
	s_delay_alu instid0(VALU_DEP_1) | instskip(SKIP_3) | instid1(VALU_DEP_3)
	v_cndmask_b32_e64 v5, v5, v62, s0
	s_wait_dscnt 0x1
	v_add_nc_u32_e32 v2, v3, v2
	v_cmp_eq_u32_e64 s0, 0, v0
	v_lshlrev_b32_e32 v5, 2, v5
	ds_bpermute_b32 v2, v5, v2
	s_and_saveexec_b32 s1, s0
	s_cbranch_execz .LBB2007_70
; %bb.69:
	v_dual_mov_b32 v4, 0 :: v_dual_mov_b32 v17, 2
	s_wait_dscnt 0x1
	s_wait_kmcnt 0x0
	global_store_b64 v4, v[16:17], s[20:21] offset:256 scope:SCOPE_DEV
.LBB2007_70:
	s_wait_xcnt 0x0
	s_or_b32 exec_lo, exec_lo, s1
	s_wait_dscnt 0x0
	v_cndmask_b32_e32 v2, v2, v3, vcc_lo
	s_wait_storecnt 0x0
	s_barrier_signal -1
	s_barrier_wait -1
	s_delay_alu instid0(VALU_DEP_1) | instskip(NEXT) | instid1(VALU_DEP_1)
	v_cndmask_b32_e64 v2, v2, 0, s0
	v_dual_mov_b32 v54, 0 :: v_dual_add_nc_u32 v3, v2, v55
	s_delay_alu instid0(VALU_DEP_1) | instskip(NEXT) | instid1(VALU_DEP_1)
	v_add_nc_u32_e32 v4, v3, v41
	v_add_nc_u32_e32 v5, v4, v39
	s_delay_alu instid0(VALU_DEP_1) | instskip(NEXT) | instid1(VALU_DEP_1)
	v_add_nc_u32_e32 v6, v5, v37
	v_add_nc_u32_e32 v7, v6, v56
	;; [unrolled: 3-line block ×5, first 2 shown]
	s_delay_alu instid0(VALU_DEP_1)
	v_add_nc_u32_e32 v14, v13, v29
.LBB2007_71:
	v_dual_lshrrev_b32 v55, 16, v35 :: v_dual_lshrrev_b32 v56, 8, v35
	v_dual_add_nc_u32 v23, v16, v23 :: v_dual_sub_nc_u32 v3, v3, v54
	v_dual_sub_nc_u32 v2, v2, v54 :: v_dual_bitop2_b32 v35, 1, v35 bitop3:0x40
	s_delay_alu instid0(VALU_DEP_3) | instskip(NEXT) | instid1(VALU_DEP_4)
	v_dual_sub_nc_u32 v4, v4, v54 :: v_dual_bitop2_b32 v56, 1, v56 bitop3:0x40
	v_and_b32_e32 v55, 1, v55
	s_delay_alu instid0(VALU_DEP_3) | instskip(NEXT) | instid1(VALU_DEP_4)
	v_dual_sub_nc_u32 v57, v23, v3 :: v_dual_sub_nc_u32 v58, v23, v2
	v_cmp_eq_u32_e32 vcc_lo, 1, v35
	s_delay_alu instid0(VALU_DEP_4) | instskip(NEXT) | instid1(VALU_DEP_3)
	v_dual_sub_nc_u32 v5, v5, v54 :: v_dual_sub_nc_u32 v59, v23, v4
	v_dual_add_nc_u32 v57, 1, v57 :: v_dual_sub_nc_u32 v6, v6, v54
	s_delay_alu instid0(VALU_DEP_4) | instskip(SKIP_1) | instid1(VALU_DEP_4)
	v_cndmask_b32_e32 v2, v58, v2, vcc_lo
	v_cmp_eq_u32_e32 vcc_lo, 1, v56
	v_dual_sub_nc_u32 v35, v23, v5 :: v_dual_add_nc_u32 v56, 2, v59
	v_dual_lshrrev_b32 v41, 8, v31 :: v_dual_lshrrev_b32 v39, 16, v31
	v_dual_cndmask_b32 v3, v57, v3, vcc_lo :: v_dual_bitop2_b32 v37, 1, v37 bitop3:0x40
	v_lshlrev_b32_e32 v2, 2, v2
	v_cmp_eq_u32_e32 vcc_lo, 1, v55
	v_add_nc_u32_e32 v35, 3, v35
	s_delay_alu instid0(VALU_DEP_4)
	v_lshlrev_b32_e32 v3, 2, v3
	v_dual_lshrrev_b32 v15, 16, v27 :: v_dual_lshrrev_b32 v17, 8, v27
	v_cndmask_b32_e32 v4, v56, v4, vcc_lo
	v_cmp_eq_u32_e32 vcc_lo, 1, v37
	ds_store_b32 v2, v52
	ds_store_b32 v3, v53
	v_dual_lshlrev_b32 v3, 2, v4 :: v_dual_cndmask_b32 v5, v35, v5, vcc_lo
	s_delay_alu instid0(VALU_DEP_1) | instskip(SKIP_1) | instid1(VALU_DEP_2)
	v_dual_sub_nc_u32 v2, v23, v6 :: v_dual_lshlrev_b32 v4, 2, v5
	v_dual_sub_nc_u32 v5, v7, v54 :: v_dual_bitop2_b32 v7, 1, v31 bitop3:0x40
	v_add_nc_u32_e32 v2, 4, v2
	ds_store_b32 v3, v50
	ds_store_b32 v4, v51
	v_sub_nc_u32_e32 v3, v23, v5
	v_cmp_eq_u32_e32 vcc_lo, 1, v7
	s_delay_alu instid0(VALU_DEP_2) | instskip(SKIP_1) | instid1(VALU_DEP_2)
	v_dual_sub_nc_u32 v4, v8, v54 :: v_dual_add_nc_u32 v3, 5, v3
	v_dual_cndmask_b32 v2, v2, v6, vcc_lo :: v_dual_bitop2_b32 v6, 1, v41 bitop3:0x40
	v_dual_sub_nc_u32 v7, v9, v54 :: v_dual_sub_nc_u32 v8, v23, v4
	s_delay_alu instid0(VALU_DEP_2) | instskip(NEXT) | instid1(VALU_DEP_2)
	v_cmp_eq_u32_e32 vcc_lo, 1, v6
	v_dual_lshlrev_b32 v2, 2, v2 :: v_dual_add_nc_u32 v8, 6, v8
	v_cndmask_b32_e32 v3, v3, v5, vcc_lo
	s_delay_alu instid0(VALU_DEP_4)
	v_sub_nc_u32_e32 v5, v23, v7
	v_and_b32_e32 v6, 1, v39
	ds_store_b32 v2, v48
	v_dual_lshlrev_b32 v3, 2, v3 :: v_dual_add_nc_u32 v5, 7, v5
	v_cmp_eq_u32_e32 vcc_lo, 1, v6
	v_dual_sub_nc_u32 v6, v11, v54 :: v_dual_bitop2_b32 v2, 1, v33 bitop3:0x40
	ds_store_b32 v3, v49
	v_cndmask_b32_e32 v4, v8, v4, vcc_lo
	v_cmp_eq_u32_e32 vcc_lo, 1, v2
	s_delay_alu instid0(VALU_DEP_2)
	v_dual_lshlrev_b32 v4, 2, v4 :: v_dual_cndmask_b32 v2, v5, v7, vcc_lo
	v_dual_sub_nc_u32 v5, v10, v54 :: v_dual_bitop2_b32 v7, 1, v17 bitop3:0x40
	v_sub_nc_u32_e32 v3, v23, v6
	ds_store_b32 v4, v46
	v_dual_sub_nc_u32 v4, v23, v5 :: v_dual_lshlrev_b32 v2, 2, v2
	v_add_nc_u32_e32 v3, 9, v3
	v_cmp_eq_u32_e32 vcc_lo, 1, v7
	s_delay_alu instid0(VALU_DEP_3) | instskip(SKIP_3) | instid1(VALU_DEP_2)
	v_dual_sub_nc_u32 v7, v12, v54 :: v_dual_add_nc_u32 v4, 8, v4
	ds_store_b32 v2, v47
	v_dual_cndmask_b32 v3, v3, v6, vcc_lo :: v_dual_bitop2_b32 v2, 1, v27 bitop3:0x40
	v_dual_sub_nc_u32 v6, v13, v54 :: v_dual_sub_nc_u32 v8, v14, v54
	v_cmp_eq_u32_e32 vcc_lo, 1, v2
	v_dual_cndmask_b32 v2, v4, v5 :: v_dual_sub_nc_u32 v5, v23, v7
	s_delay_alu instid0(VALU_DEP_3) | instskip(SKIP_1) | instid1(VALU_DEP_3)
	v_dual_sub_nc_u32 v4, v23, v6 :: v_dual_sub_nc_u32 v9, v23, v8
	v_and_b32_e32 v10, 1, v15
	v_dual_lshlrev_b32 v2, 2, v2 :: v_dual_bitop2_b32 v12, 1, v25 bitop3:0x40
	s_delay_alu instid0(VALU_DEP_3) | instskip(NEXT) | instid1(VALU_DEP_1)
	v_dual_add_nc_u32 v4, 11, v4 :: v_dual_bitop2_b32 v11, 1, v29 bitop3:0x40
	v_cmp_eq_u32_e32 vcc_lo, 1, v11
	s_delay_alu instid0(VALU_DEP_2) | instskip(SKIP_3) | instid1(VALU_DEP_1)
	v_cndmask_b32_e32 v4, v4, v6, vcc_lo
	v_cmp_eq_u32_e32 vcc_lo, 1, v10
	v_add_nc_u32_e32 v9, 12, v9
	v_add_nc_u32_e32 v5, 10, v5
	v_cndmask_b32_e32 v5, v5, v7, vcc_lo
	v_cmp_eq_u32_e32 vcc_lo, 1, v12
	s_delay_alu instid0(VALU_DEP_2) | instskip(SKIP_3) | instid1(VALU_DEP_3)
	v_dual_lshlrev_b32 v3, 2, v3 :: v_dual_lshlrev_b32 v5, 2, v5
	v_cndmask_b32_e32 v6, v9, v8, vcc_lo
	v_lshlrev_b32_e32 v4, 2, v4
	v_cmp_ne_u32_e32 vcc_lo, 1, v21
	v_lshlrev_b32_e32 v6, 2, v6
	ds_store_b32 v2, v44
	ds_store_b32 v3, v45
	;; [unrolled: 1-line block ×5, first 2 shown]
	s_wait_dscnt 0x0
	s_barrier_signal -1
	s_barrier_wait -1
	ds_load_2addr_stride64_b32 v[14:15], v19 offset1:4
	ds_load_2addr_stride64_b32 v[12:13], v19 offset0:8 offset1:12
	ds_load_2addr_stride64_b32 v[10:11], v19 offset0:16 offset1:20
	;; [unrolled: 1-line block ×5, first 2 shown]
	ds_load_b32 v46, v19 offset:12288
	v_mov_b32_e32 v1, 0
	s_and_b32 vcc_lo, exec_lo, vcc_lo
	s_delay_alu instid0(VALU_DEP_1) | instskip(SKIP_3) | instid1(VALU_DEP_3)
	v_dual_mov_b32 v29, v1 :: v_dual_mov_b32 v55, v1
	v_dual_mov_b32 v41, v1 :: v_dual_mov_b32 v39, v1
	;; [unrolled: 1-line block ×3, first 2 shown]
	s_wait_kmcnt 0x0
	v_add_nc_u64_e32 v[2:3], s[18:19], v[54:55]
	v_dual_mov_b32 v33, v1 :: v_dual_mov_b32 v31, v1
	v_dual_mov_b32 v27, v1 :: v_dual_mov_b32 v25, v1
	;; [unrolled: 1-line block ×3, first 2 shown]
	v_mov_b32_e32 v19, v1
	s_cbranch_vccnz .LBB2007_125
; %bb.72:
	v_mov_b32_e32 v17, v1
	s_mov_b32 s11, 0
	v_sub_nc_u64_e64 v[42:43], v[2:3], s[12:13]
	s_sub_nc_u64 s[0:1], s[14:15], s[10:11]
	s_delay_alu instid0(VALU_DEP_2) | instid1(SALU_CYCLE_1)
	v_add_nc_u64_e32 v[44:45], s[0:1], v[16:17]
	s_mov_b32 s0, exec_lo
	s_delay_alu instid0(VALU_DEP_1)
	v_add_nc_u64_e32 v[42:43], v[44:45], v[42:43]
                                        ; implicit-def: $vgpr44_vgpr45
	v_cmpx_ge_u32_e64 v0, v16
	s_xor_b32 s0, exec_lo, s0
; %bb.73:
	v_not_b32_e32 v44, v0
	s_delay_alu instid0(VALU_DEP_1) | instskip(NEXT) | instid1(VALU_DEP_1)
	v_ashrrev_i32_e32 v45, 31, v44
	v_add_nc_u64_e32 v[44:45], v[42:43], v[44:45]
; %bb.74:
	s_and_not1_saveexec_b32 s0, s0
; %bb.75:
	v_add_nc_u64_e32 v[44:45], v[2:3], v[0:1]
; %bb.76:
	s_or_b32 exec_lo, exec_lo, s0
	s_delay_alu instid0(VALU_DEP_1)
	v_lshl_add_u64 v[44:45], v[44:45], 2, s[16:17]
	s_mov_b32 s0, exec_lo
	s_wait_dscnt 0x6
	global_store_b32 v[44:45], v14, off
                                        ; implicit-def: $vgpr44_vgpr45
	s_wait_xcnt 0x0
	v_cmpx_ge_u32_e64 v40, v16
	s_xor_b32 s0, exec_lo, s0
; %bb.77:
	v_xor_b32_e32 v44, 0xfffffeff, v0
	s_delay_alu instid0(VALU_DEP_1) | instskip(NEXT) | instid1(VALU_DEP_1)
	v_ashrrev_i32_e32 v45, 31, v44
	v_add_nc_u64_e32 v[44:45], v[42:43], v[44:45]
; %bb.78:
	s_and_not1_saveexec_b32 s0, s0
; %bb.79:
	v_add_nc_u64_e32 v[44:45], v[2:3], v[40:41]
; %bb.80:
	s_or_b32 exec_lo, exec_lo, s0
	s_delay_alu instid0(VALU_DEP_1)
	v_lshl_add_u64 v[44:45], v[44:45], 2, s[16:17]
	s_mov_b32 s0, exec_lo
	global_store_b32 v[44:45], v15, off
                                        ; implicit-def: $vgpr44_vgpr45
	s_wait_xcnt 0x0
	v_cmpx_ge_u32_e64 v38, v16
	s_xor_b32 s0, exec_lo, s0
; %bb.81:
	v_xor_b32_e32 v44, 0xfffffdff, v0
	s_delay_alu instid0(VALU_DEP_1) | instskip(NEXT) | instid1(VALU_DEP_1)
	v_ashrrev_i32_e32 v45, 31, v44
	v_add_nc_u64_e32 v[44:45], v[42:43], v[44:45]
; %bb.82:
	s_and_not1_saveexec_b32 s0, s0
; %bb.83:
	v_add_nc_u64_e32 v[44:45], v[2:3], v[38:39]
; %bb.84:
	s_or_b32 exec_lo, exec_lo, s0
	s_delay_alu instid0(VALU_DEP_1)
	v_lshl_add_u64 v[44:45], v[44:45], 2, s[16:17]
	s_mov_b32 s0, exec_lo
	s_wait_dscnt 0x5
	global_store_b32 v[44:45], v12, off
                                        ; implicit-def: $vgpr44_vgpr45
	s_wait_xcnt 0x0
	v_cmpx_ge_u32_e64 v36, v16
	s_xor_b32 s0, exec_lo, s0
; %bb.85:
	v_xor_b32_e32 v44, 0xfffffcff, v0
	s_delay_alu instid0(VALU_DEP_1) | instskip(NEXT) | instid1(VALU_DEP_1)
	v_ashrrev_i32_e32 v45, 31, v44
	v_add_nc_u64_e32 v[44:45], v[42:43], v[44:45]
; %bb.86:
	s_and_not1_saveexec_b32 s0, s0
; %bb.87:
	v_add_nc_u64_e32 v[44:45], v[2:3], v[36:37]
; %bb.88:
	s_or_b32 exec_lo, exec_lo, s0
	s_delay_alu instid0(VALU_DEP_1)
	v_lshl_add_u64 v[44:45], v[44:45], 2, s[16:17]
	s_mov_b32 s0, exec_lo
	global_store_b32 v[44:45], v13, off
                                        ; implicit-def: $vgpr44_vgpr45
	s_wait_xcnt 0x0
	v_cmpx_ge_u32_e64 v34, v16
	s_xor_b32 s0, exec_lo, s0
; %bb.89:
	v_xor_b32_e32 v44, 0xfffffbff, v0
	;; [unrolled: 39-line block ×6, first 2 shown]
	s_delay_alu instid0(VALU_DEP_1) | instskip(NEXT) | instid1(VALU_DEP_1)
	v_ashrrev_i32_e32 v45, 31, v44
	v_add_nc_u64_e32 v[44:45], v[42:43], v[44:45]
; %bb.122:
	s_and_not1_saveexec_b32 s0, s0
; %bb.123:
	v_add_nc_u64_e32 v[44:45], v[2:3], v[18:19]
; %bb.124:
	s_or_b32 exec_lo, exec_lo, s0
	s_mov_b32 s0, -1
	s_branch .LBB2007_205
.LBB2007_125:
	s_mov_b32 s0, 0
                                        ; implicit-def: $vgpr44_vgpr45
	s_cbranch_execz .LBB2007_205
; %bb.126:
	s_mov_b32 s11, 0
	v_mov_b32_e32 v17, 0
	s_add_nc_u64 s[2:3], s[12:13], s[10:11]
	s_mov_b32 s1, exec_lo
	s_sub_nc_u64 s[2:3], s[14:15], s[2:3]
	s_delay_alu instid0(VALU_DEP_1) | instid1(SALU_CYCLE_1)
	v_add_nc_u64_e32 v[42:43], s[2:3], v[16:17]
	s_delay_alu instid0(VALU_DEP_1)
	v_add_nc_u64_e32 v[42:43], v[42:43], v[2:3]
	v_cmpx_gt_u32_e64 s23, v0
	s_cbranch_execz .LBB2007_162
; %bb.127:
	s_mov_b32 s2, exec_lo
                                        ; implicit-def: $vgpr44_vgpr45
	v_cmpx_ge_u32_e64 v0, v16
	s_xor_b32 s2, exec_lo, s2
; %bb.128:
	v_not_b32_e32 v44, v0
	s_delay_alu instid0(VALU_DEP_1) | instskip(NEXT) | instid1(VALU_DEP_1)
	v_ashrrev_i32_e32 v45, 31, v44
	v_add_nc_u64_e32 v[44:45], v[42:43], v[44:45]
; %bb.129:
	s_and_not1_saveexec_b32 s2, s2
; %bb.130:
	v_add_nc_u64_e32 v[44:45], v[2:3], v[0:1]
; %bb.131:
	s_or_b32 exec_lo, exec_lo, s2
	s_delay_alu instid0(VALU_DEP_1) | instskip(SKIP_4) | instid1(SALU_CYCLE_1)
	v_lshl_add_u64 v[44:45], v[44:45], 2, s[16:17]
	s_wait_dscnt 0x6
	global_store_b32 v[44:45], v14, off
	s_wait_xcnt 0x0
	s_or_b32 exec_lo, exec_lo, s1
	s_mov_b32 s1, exec_lo
	v_cmpx_gt_u32_e64 s23, v40
	s_cbranch_execnz .LBB2007_163
.LBB2007_132:
	s_or_b32 exec_lo, exec_lo, s1
	s_delay_alu instid0(SALU_CYCLE_1)
	s_mov_b32 s1, exec_lo
	v_cmpx_gt_u32_e64 s23, v38
	s_cbranch_execz .LBB2007_168
.LBB2007_133:
	s_mov_b32 s2, exec_lo
                                        ; implicit-def: $vgpr14_vgpr15
	v_cmpx_ge_u32_e64 v38, v16
	s_xor_b32 s2, exec_lo, s2
	s_cbranch_execz .LBB2007_135
; %bb.134:
	s_wait_dscnt 0x6
	v_xor_b32_e32 v14, 0xfffffdff, v0
                                        ; implicit-def: $vgpr38_vgpr39
	s_delay_alu instid0(VALU_DEP_1) | instskip(NEXT) | instid1(VALU_DEP_1)
	v_ashrrev_i32_e32 v15, 31, v14
	v_add_nc_u64_e32 v[14:15], v[42:43], v[14:15]
.LBB2007_135:
	s_and_not1_saveexec_b32 s2, s2
	s_cbranch_execz .LBB2007_137
; %bb.136:
	s_wait_dscnt 0x6
	v_add_nc_u64_e32 v[14:15], v[2:3], v[38:39]
.LBB2007_137:
	s_or_b32 exec_lo, exec_lo, s2
	s_wait_dscnt 0x6
	s_delay_alu instid0(VALU_DEP_1) | instskip(SKIP_4) | instid1(SALU_CYCLE_1)
	v_lshl_add_u64 v[14:15], v[14:15], 2, s[16:17]
	s_wait_dscnt 0x5
	global_store_b32 v[14:15], v12, off
	s_wait_xcnt 0x0
	s_or_b32 exec_lo, exec_lo, s1
	s_mov_b32 s1, exec_lo
	v_cmpx_gt_u32_e64 s23, v36
	s_cbranch_execnz .LBB2007_169
.LBB2007_138:
	s_or_b32 exec_lo, exec_lo, s1
	s_delay_alu instid0(SALU_CYCLE_1)
	s_mov_b32 s1, exec_lo
	v_cmpx_gt_u32_e64 s23, v34
	s_cbranch_execz .LBB2007_174
.LBB2007_139:
	s_mov_b32 s2, exec_lo
                                        ; implicit-def: $vgpr12_vgpr13
	v_cmpx_ge_u32_e64 v34, v16
	s_xor_b32 s2, exec_lo, s2
	s_cbranch_execz .LBB2007_141
; %bb.140:
	s_wait_dscnt 0x5
	v_xor_b32_e32 v12, 0xfffffbff, v0
                                        ; implicit-def: $vgpr34_vgpr35
	s_delay_alu instid0(VALU_DEP_1) | instskip(NEXT) | instid1(VALU_DEP_1)
	v_ashrrev_i32_e32 v13, 31, v12
	v_add_nc_u64_e32 v[12:13], v[42:43], v[12:13]
.LBB2007_141:
	s_and_not1_saveexec_b32 s2, s2
	s_cbranch_execz .LBB2007_143
; %bb.142:
	s_wait_dscnt 0x5
	v_add_nc_u64_e32 v[12:13], v[2:3], v[34:35]
.LBB2007_143:
	s_or_b32 exec_lo, exec_lo, s2
	s_wait_dscnt 0x5
	s_delay_alu instid0(VALU_DEP_1) | instskip(SKIP_4) | instid1(SALU_CYCLE_1)
	v_lshl_add_u64 v[12:13], v[12:13], 2, s[16:17]
	s_wait_dscnt 0x4
	global_store_b32 v[12:13], v10, off
	s_wait_xcnt 0x0
	s_or_b32 exec_lo, exec_lo, s1
	s_mov_b32 s1, exec_lo
	v_cmpx_gt_u32_e64 s23, v32
	s_cbranch_execnz .LBB2007_175
.LBB2007_144:
	s_or_b32 exec_lo, exec_lo, s1
	s_delay_alu instid0(SALU_CYCLE_1)
	s_mov_b32 s1, exec_lo
	v_cmpx_gt_u32_e64 s23, v30
	s_cbranch_execz .LBB2007_180
.LBB2007_145:
	s_mov_b32 s2, exec_lo
                                        ; implicit-def: $vgpr10_vgpr11
	v_cmpx_ge_u32_e64 v30, v16
	s_xor_b32 s2, exec_lo, s2
	s_cbranch_execz .LBB2007_147
; %bb.146:
	s_wait_dscnt 0x4
	v_xor_b32_e32 v10, 0xfffff9ff, v0
                                        ; implicit-def: $vgpr30_vgpr31
	s_delay_alu instid0(VALU_DEP_1) | instskip(NEXT) | instid1(VALU_DEP_1)
	v_ashrrev_i32_e32 v11, 31, v10
	v_add_nc_u64_e32 v[10:11], v[42:43], v[10:11]
.LBB2007_147:
	s_and_not1_saveexec_b32 s2, s2
	s_cbranch_execz .LBB2007_149
; %bb.148:
	s_wait_dscnt 0x4
	v_add_nc_u64_e32 v[10:11], v[2:3], v[30:31]
.LBB2007_149:
	s_or_b32 exec_lo, exec_lo, s2
	s_wait_dscnt 0x4
	s_delay_alu instid0(VALU_DEP_1) | instskip(SKIP_4) | instid1(SALU_CYCLE_1)
	v_lshl_add_u64 v[10:11], v[10:11], 2, s[16:17]
	s_wait_dscnt 0x3
	global_store_b32 v[10:11], v8, off
	s_wait_xcnt 0x0
	s_or_b32 exec_lo, exec_lo, s1
	s_mov_b32 s1, exec_lo
	v_cmpx_gt_u32_e64 s23, v28
	s_cbranch_execnz .LBB2007_181
.LBB2007_150:
	s_or_b32 exec_lo, exec_lo, s1
	s_delay_alu instid0(SALU_CYCLE_1)
	s_mov_b32 s1, exec_lo
	v_cmpx_gt_u32_e64 s23, v26
	s_cbranch_execz .LBB2007_186
.LBB2007_151:
	s_mov_b32 s2, exec_lo
                                        ; implicit-def: $vgpr8_vgpr9
	v_cmpx_ge_u32_e64 v26, v16
	s_xor_b32 s2, exec_lo, s2
	s_cbranch_execz .LBB2007_153
; %bb.152:
	s_wait_dscnt 0x3
	v_xor_b32_e32 v8, 0xfffff7ff, v0
                                        ; implicit-def: $vgpr26_vgpr27
	s_delay_alu instid0(VALU_DEP_1) | instskip(NEXT) | instid1(VALU_DEP_1)
	v_ashrrev_i32_e32 v9, 31, v8
	v_add_nc_u64_e32 v[8:9], v[42:43], v[8:9]
.LBB2007_153:
	s_and_not1_saveexec_b32 s2, s2
	s_cbranch_execz .LBB2007_155
; %bb.154:
	s_wait_dscnt 0x3
	v_add_nc_u64_e32 v[8:9], v[2:3], v[26:27]
.LBB2007_155:
	s_or_b32 exec_lo, exec_lo, s2
	s_wait_dscnt 0x3
	s_delay_alu instid0(VALU_DEP_1) | instskip(SKIP_4) | instid1(SALU_CYCLE_1)
	v_lshl_add_u64 v[8:9], v[8:9], 2, s[16:17]
	s_wait_dscnt 0x2
	global_store_b32 v[8:9], v6, off
	s_wait_xcnt 0x0
	s_or_b32 exec_lo, exec_lo, s1
	s_mov_b32 s1, exec_lo
	v_cmpx_gt_u32_e64 s23, v24
	s_cbranch_execnz .LBB2007_187
.LBB2007_156:
	s_or_b32 exec_lo, exec_lo, s1
	s_delay_alu instid0(SALU_CYCLE_1)
	s_mov_b32 s1, exec_lo
	v_cmpx_gt_u32_e64 s23, v22
	s_cbranch_execz .LBB2007_192
.LBB2007_157:
	s_mov_b32 s2, exec_lo
                                        ; implicit-def: $vgpr6_vgpr7
	v_cmpx_ge_u32_e64 v22, v16
	s_xor_b32 s2, exec_lo, s2
	s_cbranch_execz .LBB2007_159
; %bb.158:
	s_wait_dscnt 0x2
	v_xor_b32_e32 v6, 0xfffff5ff, v0
                                        ; implicit-def: $vgpr22_vgpr23
	s_delay_alu instid0(VALU_DEP_1) | instskip(NEXT) | instid1(VALU_DEP_1)
	v_ashrrev_i32_e32 v7, 31, v6
	v_add_nc_u64_e32 v[6:7], v[42:43], v[6:7]
.LBB2007_159:
	s_and_not1_saveexec_b32 s2, s2
	s_cbranch_execz .LBB2007_161
; %bb.160:
	s_wait_dscnt 0x2
	v_add_nc_u64_e32 v[6:7], v[2:3], v[22:23]
.LBB2007_161:
	s_or_b32 exec_lo, exec_lo, s2
	s_wait_dscnt 0x2
	s_delay_alu instid0(VALU_DEP_1) | instskip(SKIP_4) | instid1(SALU_CYCLE_1)
	v_lshl_add_u64 v[6:7], v[6:7], 2, s[16:17]
	s_wait_dscnt 0x1
	global_store_b32 v[6:7], v4, off
	s_wait_xcnt 0x0
	s_or_b32 exec_lo, exec_lo, s1
	s_mov_b32 s1, exec_lo
	v_cmpx_gt_u32_e64 s23, v20
	s_cbranch_execz .LBB2007_198
	s_branch .LBB2007_193
.LBB2007_162:
	s_or_b32 exec_lo, exec_lo, s1
	s_delay_alu instid0(SALU_CYCLE_1)
	s_mov_b32 s1, exec_lo
	v_cmpx_gt_u32_e64 s23, v40
	s_cbranch_execz .LBB2007_132
.LBB2007_163:
	s_mov_b32 s2, exec_lo
                                        ; implicit-def: $vgpr44_vgpr45
	v_cmpx_ge_u32_e64 v40, v16
	s_xor_b32 s2, exec_lo, s2
; %bb.164:
	v_xor_b32_e32 v40, 0xfffffeff, v0
	s_delay_alu instid0(VALU_DEP_1) | instskip(NEXT) | instid1(VALU_DEP_1)
	v_ashrrev_i32_e32 v41, 31, v40
	v_add_nc_u64_e32 v[44:45], v[42:43], v[40:41]
                                        ; implicit-def: $vgpr40_vgpr41
; %bb.165:
	s_and_not1_saveexec_b32 s2, s2
; %bb.166:
	v_add_nc_u64_e32 v[44:45], v[2:3], v[40:41]
; %bb.167:
	s_or_b32 exec_lo, exec_lo, s2
	s_delay_alu instid0(VALU_DEP_1) | instskip(SKIP_4) | instid1(SALU_CYCLE_1)
	v_lshl_add_u64 v[40:41], v[44:45], 2, s[16:17]
	s_wait_dscnt 0x6
	global_store_b32 v[40:41], v15, off
	s_wait_xcnt 0x0
	s_or_b32 exec_lo, exec_lo, s1
	s_mov_b32 s1, exec_lo
	v_cmpx_gt_u32_e64 s23, v38
	s_cbranch_execnz .LBB2007_133
.LBB2007_168:
	s_or_b32 exec_lo, exec_lo, s1
	s_delay_alu instid0(SALU_CYCLE_1)
	s_mov_b32 s1, exec_lo
	v_cmpx_gt_u32_e64 s23, v36
	s_cbranch_execz .LBB2007_138
.LBB2007_169:
	s_mov_b32 s2, exec_lo
                                        ; implicit-def: $vgpr14_vgpr15
	v_cmpx_ge_u32_e64 v36, v16
	s_xor_b32 s2, exec_lo, s2
	s_cbranch_execz .LBB2007_171
; %bb.170:
	s_wait_dscnt 0x6
	v_xor_b32_e32 v14, 0xfffffcff, v0
                                        ; implicit-def: $vgpr36_vgpr37
	s_delay_alu instid0(VALU_DEP_1) | instskip(NEXT) | instid1(VALU_DEP_1)
	v_ashrrev_i32_e32 v15, 31, v14
	v_add_nc_u64_e32 v[14:15], v[42:43], v[14:15]
.LBB2007_171:
	s_and_not1_saveexec_b32 s2, s2
	s_cbranch_execz .LBB2007_173
; %bb.172:
	s_wait_dscnt 0x6
	v_add_nc_u64_e32 v[14:15], v[2:3], v[36:37]
.LBB2007_173:
	s_or_b32 exec_lo, exec_lo, s2
	s_wait_dscnt 0x6
	s_delay_alu instid0(VALU_DEP_1) | instskip(SKIP_4) | instid1(SALU_CYCLE_1)
	v_lshl_add_u64 v[14:15], v[14:15], 2, s[16:17]
	s_wait_dscnt 0x5
	global_store_b32 v[14:15], v13, off
	s_wait_xcnt 0x0
	s_or_b32 exec_lo, exec_lo, s1
	s_mov_b32 s1, exec_lo
	v_cmpx_gt_u32_e64 s23, v34
	s_cbranch_execnz .LBB2007_139
.LBB2007_174:
	s_or_b32 exec_lo, exec_lo, s1
	s_delay_alu instid0(SALU_CYCLE_1)
	s_mov_b32 s1, exec_lo
	v_cmpx_gt_u32_e64 s23, v32
	s_cbranch_execz .LBB2007_144
.LBB2007_175:
	s_mov_b32 s2, exec_lo
                                        ; implicit-def: $vgpr12_vgpr13
	v_cmpx_ge_u32_e64 v32, v16
	s_xor_b32 s2, exec_lo, s2
	s_cbranch_execz .LBB2007_177
; %bb.176:
	s_wait_dscnt 0x5
	v_xor_b32_e32 v12, 0xfffffaff, v0
                                        ; implicit-def: $vgpr32_vgpr33
	s_delay_alu instid0(VALU_DEP_1) | instskip(NEXT) | instid1(VALU_DEP_1)
	v_ashrrev_i32_e32 v13, 31, v12
	v_add_nc_u64_e32 v[12:13], v[42:43], v[12:13]
.LBB2007_177:
	s_and_not1_saveexec_b32 s2, s2
	s_cbranch_execz .LBB2007_179
; %bb.178:
	s_wait_dscnt 0x5
	v_add_nc_u64_e32 v[12:13], v[2:3], v[32:33]
.LBB2007_179:
	s_or_b32 exec_lo, exec_lo, s2
	s_wait_dscnt 0x5
	s_delay_alu instid0(VALU_DEP_1) | instskip(SKIP_4) | instid1(SALU_CYCLE_1)
	v_lshl_add_u64 v[12:13], v[12:13], 2, s[16:17]
	s_wait_dscnt 0x4
	global_store_b32 v[12:13], v11, off
	s_wait_xcnt 0x0
	s_or_b32 exec_lo, exec_lo, s1
	s_mov_b32 s1, exec_lo
	v_cmpx_gt_u32_e64 s23, v30
	s_cbranch_execnz .LBB2007_145
.LBB2007_180:
	s_or_b32 exec_lo, exec_lo, s1
	s_delay_alu instid0(SALU_CYCLE_1)
	s_mov_b32 s1, exec_lo
	v_cmpx_gt_u32_e64 s23, v28
	s_cbranch_execz .LBB2007_150
.LBB2007_181:
	s_mov_b32 s2, exec_lo
                                        ; implicit-def: $vgpr10_vgpr11
	v_cmpx_ge_u32_e64 v28, v16
	s_xor_b32 s2, exec_lo, s2
	s_cbranch_execz .LBB2007_183
; %bb.182:
	s_wait_dscnt 0x4
	v_xor_b32_e32 v10, 0xfffff8ff, v0
                                        ; implicit-def: $vgpr28_vgpr29
	s_delay_alu instid0(VALU_DEP_1) | instskip(NEXT) | instid1(VALU_DEP_1)
	v_ashrrev_i32_e32 v11, 31, v10
	v_add_nc_u64_e32 v[10:11], v[42:43], v[10:11]
.LBB2007_183:
	s_and_not1_saveexec_b32 s2, s2
	s_cbranch_execz .LBB2007_185
; %bb.184:
	s_wait_dscnt 0x4
	v_add_nc_u64_e32 v[10:11], v[2:3], v[28:29]
.LBB2007_185:
	s_or_b32 exec_lo, exec_lo, s2
	s_wait_dscnt 0x4
	s_delay_alu instid0(VALU_DEP_1) | instskip(SKIP_4) | instid1(SALU_CYCLE_1)
	v_lshl_add_u64 v[10:11], v[10:11], 2, s[16:17]
	s_wait_dscnt 0x3
	global_store_b32 v[10:11], v9, off
	s_wait_xcnt 0x0
	s_or_b32 exec_lo, exec_lo, s1
	s_mov_b32 s1, exec_lo
	v_cmpx_gt_u32_e64 s23, v26
	s_cbranch_execnz .LBB2007_151
.LBB2007_186:
	s_or_b32 exec_lo, exec_lo, s1
	s_delay_alu instid0(SALU_CYCLE_1)
	s_mov_b32 s1, exec_lo
	v_cmpx_gt_u32_e64 s23, v24
	s_cbranch_execz .LBB2007_156
.LBB2007_187:
	s_mov_b32 s2, exec_lo
                                        ; implicit-def: $vgpr8_vgpr9
	v_cmpx_ge_u32_e64 v24, v16
	s_xor_b32 s2, exec_lo, s2
	s_cbranch_execz .LBB2007_189
; %bb.188:
	s_wait_dscnt 0x3
	v_xor_b32_e32 v8, 0xfffff6ff, v0
                                        ; implicit-def: $vgpr24_vgpr25
	s_delay_alu instid0(VALU_DEP_1) | instskip(NEXT) | instid1(VALU_DEP_1)
	v_ashrrev_i32_e32 v9, 31, v8
	v_add_nc_u64_e32 v[8:9], v[42:43], v[8:9]
.LBB2007_189:
	s_and_not1_saveexec_b32 s2, s2
	s_cbranch_execz .LBB2007_191
; %bb.190:
	s_wait_dscnt 0x3
	v_add_nc_u64_e32 v[8:9], v[2:3], v[24:25]
.LBB2007_191:
	s_or_b32 exec_lo, exec_lo, s2
	s_wait_dscnt 0x3
	s_delay_alu instid0(VALU_DEP_1) | instskip(SKIP_4) | instid1(SALU_CYCLE_1)
	v_lshl_add_u64 v[8:9], v[8:9], 2, s[16:17]
	s_wait_dscnt 0x2
	global_store_b32 v[8:9], v7, off
	s_wait_xcnt 0x0
	s_or_b32 exec_lo, exec_lo, s1
	s_mov_b32 s1, exec_lo
	v_cmpx_gt_u32_e64 s23, v22
	s_cbranch_execnz .LBB2007_157
.LBB2007_192:
	s_or_b32 exec_lo, exec_lo, s1
	s_delay_alu instid0(SALU_CYCLE_1)
	s_mov_b32 s1, exec_lo
	v_cmpx_gt_u32_e64 s23, v20
	s_cbranch_execz .LBB2007_198
.LBB2007_193:
	s_mov_b32 s2, exec_lo
                                        ; implicit-def: $vgpr6_vgpr7
	v_cmpx_ge_u32_e64 v20, v16
	s_xor_b32 s2, exec_lo, s2
	s_cbranch_execz .LBB2007_195
; %bb.194:
	s_wait_dscnt 0x2
	v_xor_b32_e32 v6, 0xfffff4ff, v0
                                        ; implicit-def: $vgpr20_vgpr21
	s_delay_alu instid0(VALU_DEP_1) | instskip(NEXT) | instid1(VALU_DEP_1)
	v_ashrrev_i32_e32 v7, 31, v6
	v_add_nc_u64_e32 v[6:7], v[42:43], v[6:7]
.LBB2007_195:
	s_and_not1_saveexec_b32 s2, s2
	s_cbranch_execz .LBB2007_197
; %bb.196:
	s_wait_dscnt 0x2
	v_add_nc_u64_e32 v[6:7], v[2:3], v[20:21]
.LBB2007_197:
	s_or_b32 exec_lo, exec_lo, s2
	s_wait_dscnt 0x2
	s_delay_alu instid0(VALU_DEP_1)
	v_lshl_add_u64 v[6:7], v[6:7], 2, s[16:17]
	s_wait_dscnt 0x1
	global_store_b32 v[6:7], v5, off
.LBB2007_198:
	s_wait_xcnt 0x0
	s_or_b32 exec_lo, exec_lo, s1
	s_delay_alu instid0(SALU_CYCLE_1)
	s_mov_b32 s1, exec_lo
                                        ; implicit-def: $vgpr44_vgpr45
	v_cmpx_gt_u32_e64 s23, v18
	s_cbranch_execz .LBB2007_204
; %bb.199:
	s_mov_b32 s2, exec_lo
                                        ; implicit-def: $vgpr44_vgpr45
	v_cmpx_ge_u32_e64 v18, v16
	s_xor_b32 s2, exec_lo, s2
	s_cbranch_execz .LBB2007_201
; %bb.200:
	s_wait_dscnt 0x1
	v_xor_b32_e32 v4, 0xfffff3ff, v0
                                        ; implicit-def: $vgpr18_vgpr19
	s_delay_alu instid0(VALU_DEP_1) | instskip(NEXT) | instid1(VALU_DEP_1)
	v_ashrrev_i32_e32 v5, 31, v4
	v_add_nc_u64_e32 v[44:45], v[42:43], v[4:5]
.LBB2007_201:
	s_and_not1_saveexec_b32 s2, s2
; %bb.202:
	v_add_nc_u64_e32 v[44:45], v[2:3], v[18:19]
; %bb.203:
	s_or_b32 exec_lo, exec_lo, s2
	s_delay_alu instid0(SALU_CYCLE_1)
	s_or_b32 s0, s0, exec_lo
.LBB2007_204:
	s_or_b32 exec_lo, exec_lo, s1
.LBB2007_205:
	s_and_saveexec_b32 s1, s0
	s_cbranch_execz .LBB2007_207
; %bb.206:
	s_wait_dscnt 0x1
	v_lshl_add_u64 v[4:5], v[44:45], 2, s[16:17]
	s_wait_dscnt 0x0
	global_store_b32 v[4:5], v46, off
.LBB2007_207:
	s_wait_xcnt 0x0
	s_or_b32 exec_lo, exec_lo, s1
	v_cmp_eq_u32_e32 vcc_lo, 0, v0
	s_and_b32 s0, vcc_lo, s22
	s_delay_alu instid0(SALU_CYCLE_1)
	s_and_saveexec_b32 s1, s0
	s_cbranch_execz .LBB2007_209
; %bb.208:
	v_mov_b32_e32 v17, 0
	s_delay_alu instid0(VALU_DEP_1)
	v_add_nc_u64_e32 v[0:1], v[2:3], v[16:17]
	global_store_b64 v17, v[0:1], s[8:9]
.LBB2007_209:
	s_sendmsg sendmsg(MSG_DEALLOC_VGPRS)
	s_endpgm
	.section	.rodata,"a",@progbits
	.p2align	6, 0x0
	.amdhsa_kernel _ZN7rocprim17ROCPRIM_400000_NS6detail17trampoline_kernelINS0_13select_configILj256ELj13ELNS0_17block_load_methodE3ELS4_3ELS4_3ELNS0_20block_scan_algorithmE0ELj4294967295EEENS1_25partition_config_selectorILNS1_17partition_subalgoE3EjNS0_10empty_typeEbEEZZNS1_14partition_implILS8_3ELb0ES6_jNS0_17counting_iteratorIjlEEPS9_SE_NS0_5tupleIJPjSE_EEENSF_IJSE_SE_EEES9_SG_JZNS1_25segmented_radix_sort_implINS0_14default_configELb0EPK12hip_bfloat16PSL_PKlPlN2at6native12_GLOBAL__N_18offset_tEEE10hipError_tPvRmT1_PNSt15iterator_traitsISZ_E10value_typeET2_T3_PNS10_IS15_E10value_typeET4_jRbjT5_S1B_jjP12ihipStream_tbEUljE_EEESW_SX_SY_S15_S19_S1B_T6_T7_T9_mT8_S1D_bDpT10_ENKUlT_T0_E_clISt17integral_constantIbLb0EES1Q_EEDaS1L_S1M_EUlS1L_E_NS1_11comp_targetILNS1_3genE0ELNS1_11target_archE4294967295ELNS1_3gpuE0ELNS1_3repE0EEENS1_30default_config_static_selectorELNS0_4arch9wavefront6targetE0EEEvSZ_
		.amdhsa_group_segment_fixed_size 13320
		.amdhsa_private_segment_fixed_size 0
		.amdhsa_kernarg_size 144
		.amdhsa_user_sgpr_count 2
		.amdhsa_user_sgpr_dispatch_ptr 0
		.amdhsa_user_sgpr_queue_ptr 0
		.amdhsa_user_sgpr_kernarg_segment_ptr 1
		.amdhsa_user_sgpr_dispatch_id 0
		.amdhsa_user_sgpr_kernarg_preload_length 0
		.amdhsa_user_sgpr_kernarg_preload_offset 0
		.amdhsa_user_sgpr_private_segment_size 0
		.amdhsa_wavefront_size32 1
		.amdhsa_uses_dynamic_stack 0
		.amdhsa_enable_private_segment 0
		.amdhsa_system_sgpr_workgroup_id_x 1
		.amdhsa_system_sgpr_workgroup_id_y 0
		.amdhsa_system_sgpr_workgroup_id_z 0
		.amdhsa_system_sgpr_workgroup_info 0
		.amdhsa_system_vgpr_workitem_id 0
		.amdhsa_next_free_vgpr 69
		.amdhsa_next_free_sgpr 26
		.amdhsa_named_barrier_count 0
		.amdhsa_reserve_vcc 1
		.amdhsa_float_round_mode_32 0
		.amdhsa_float_round_mode_16_64 0
		.amdhsa_float_denorm_mode_32 3
		.amdhsa_float_denorm_mode_16_64 3
		.amdhsa_fp16_overflow 0
		.amdhsa_memory_ordered 1
		.amdhsa_forward_progress 1
		.amdhsa_inst_pref_size 70
		.amdhsa_round_robin_scheduling 0
		.amdhsa_exception_fp_ieee_invalid_op 0
		.amdhsa_exception_fp_denorm_src 0
		.amdhsa_exception_fp_ieee_div_zero 0
		.amdhsa_exception_fp_ieee_overflow 0
		.amdhsa_exception_fp_ieee_underflow 0
		.amdhsa_exception_fp_ieee_inexact 0
		.amdhsa_exception_int_div_zero 0
	.end_amdhsa_kernel
	.section	.text._ZN7rocprim17ROCPRIM_400000_NS6detail17trampoline_kernelINS0_13select_configILj256ELj13ELNS0_17block_load_methodE3ELS4_3ELS4_3ELNS0_20block_scan_algorithmE0ELj4294967295EEENS1_25partition_config_selectorILNS1_17partition_subalgoE3EjNS0_10empty_typeEbEEZZNS1_14partition_implILS8_3ELb0ES6_jNS0_17counting_iteratorIjlEEPS9_SE_NS0_5tupleIJPjSE_EEENSF_IJSE_SE_EEES9_SG_JZNS1_25segmented_radix_sort_implINS0_14default_configELb0EPK12hip_bfloat16PSL_PKlPlN2at6native12_GLOBAL__N_18offset_tEEE10hipError_tPvRmT1_PNSt15iterator_traitsISZ_E10value_typeET2_T3_PNS10_IS15_E10value_typeET4_jRbjT5_S1B_jjP12ihipStream_tbEUljE_EEESW_SX_SY_S15_S19_S1B_T6_T7_T9_mT8_S1D_bDpT10_ENKUlT_T0_E_clISt17integral_constantIbLb0EES1Q_EEDaS1L_S1M_EUlS1L_E_NS1_11comp_targetILNS1_3genE0ELNS1_11target_archE4294967295ELNS1_3gpuE0ELNS1_3repE0EEENS1_30default_config_static_selectorELNS0_4arch9wavefront6targetE0EEEvSZ_,"axG",@progbits,_ZN7rocprim17ROCPRIM_400000_NS6detail17trampoline_kernelINS0_13select_configILj256ELj13ELNS0_17block_load_methodE3ELS4_3ELS4_3ELNS0_20block_scan_algorithmE0ELj4294967295EEENS1_25partition_config_selectorILNS1_17partition_subalgoE3EjNS0_10empty_typeEbEEZZNS1_14partition_implILS8_3ELb0ES6_jNS0_17counting_iteratorIjlEEPS9_SE_NS0_5tupleIJPjSE_EEENSF_IJSE_SE_EEES9_SG_JZNS1_25segmented_radix_sort_implINS0_14default_configELb0EPK12hip_bfloat16PSL_PKlPlN2at6native12_GLOBAL__N_18offset_tEEE10hipError_tPvRmT1_PNSt15iterator_traitsISZ_E10value_typeET2_T3_PNS10_IS15_E10value_typeET4_jRbjT5_S1B_jjP12ihipStream_tbEUljE_EEESW_SX_SY_S15_S19_S1B_T6_T7_T9_mT8_S1D_bDpT10_ENKUlT_T0_E_clISt17integral_constantIbLb0EES1Q_EEDaS1L_S1M_EUlS1L_E_NS1_11comp_targetILNS1_3genE0ELNS1_11target_archE4294967295ELNS1_3gpuE0ELNS1_3repE0EEENS1_30default_config_static_selectorELNS0_4arch9wavefront6targetE0EEEvSZ_,comdat
.Lfunc_end2007:
	.size	_ZN7rocprim17ROCPRIM_400000_NS6detail17trampoline_kernelINS0_13select_configILj256ELj13ELNS0_17block_load_methodE3ELS4_3ELS4_3ELNS0_20block_scan_algorithmE0ELj4294967295EEENS1_25partition_config_selectorILNS1_17partition_subalgoE3EjNS0_10empty_typeEbEEZZNS1_14partition_implILS8_3ELb0ES6_jNS0_17counting_iteratorIjlEEPS9_SE_NS0_5tupleIJPjSE_EEENSF_IJSE_SE_EEES9_SG_JZNS1_25segmented_radix_sort_implINS0_14default_configELb0EPK12hip_bfloat16PSL_PKlPlN2at6native12_GLOBAL__N_18offset_tEEE10hipError_tPvRmT1_PNSt15iterator_traitsISZ_E10value_typeET2_T3_PNS10_IS15_E10value_typeET4_jRbjT5_S1B_jjP12ihipStream_tbEUljE_EEESW_SX_SY_S15_S19_S1B_T6_T7_T9_mT8_S1D_bDpT10_ENKUlT_T0_E_clISt17integral_constantIbLb0EES1Q_EEDaS1L_S1M_EUlS1L_E_NS1_11comp_targetILNS1_3genE0ELNS1_11target_archE4294967295ELNS1_3gpuE0ELNS1_3repE0EEENS1_30default_config_static_selectorELNS0_4arch9wavefront6targetE0EEEvSZ_, .Lfunc_end2007-_ZN7rocprim17ROCPRIM_400000_NS6detail17trampoline_kernelINS0_13select_configILj256ELj13ELNS0_17block_load_methodE3ELS4_3ELS4_3ELNS0_20block_scan_algorithmE0ELj4294967295EEENS1_25partition_config_selectorILNS1_17partition_subalgoE3EjNS0_10empty_typeEbEEZZNS1_14partition_implILS8_3ELb0ES6_jNS0_17counting_iteratorIjlEEPS9_SE_NS0_5tupleIJPjSE_EEENSF_IJSE_SE_EEES9_SG_JZNS1_25segmented_radix_sort_implINS0_14default_configELb0EPK12hip_bfloat16PSL_PKlPlN2at6native12_GLOBAL__N_18offset_tEEE10hipError_tPvRmT1_PNSt15iterator_traitsISZ_E10value_typeET2_T3_PNS10_IS15_E10value_typeET4_jRbjT5_S1B_jjP12ihipStream_tbEUljE_EEESW_SX_SY_S15_S19_S1B_T6_T7_T9_mT8_S1D_bDpT10_ENKUlT_T0_E_clISt17integral_constantIbLb0EES1Q_EEDaS1L_S1M_EUlS1L_E_NS1_11comp_targetILNS1_3genE0ELNS1_11target_archE4294967295ELNS1_3gpuE0ELNS1_3repE0EEENS1_30default_config_static_selectorELNS0_4arch9wavefront6targetE0EEEvSZ_
                                        ; -- End function
	.set _ZN7rocprim17ROCPRIM_400000_NS6detail17trampoline_kernelINS0_13select_configILj256ELj13ELNS0_17block_load_methodE3ELS4_3ELS4_3ELNS0_20block_scan_algorithmE0ELj4294967295EEENS1_25partition_config_selectorILNS1_17partition_subalgoE3EjNS0_10empty_typeEbEEZZNS1_14partition_implILS8_3ELb0ES6_jNS0_17counting_iteratorIjlEEPS9_SE_NS0_5tupleIJPjSE_EEENSF_IJSE_SE_EEES9_SG_JZNS1_25segmented_radix_sort_implINS0_14default_configELb0EPK12hip_bfloat16PSL_PKlPlN2at6native12_GLOBAL__N_18offset_tEEE10hipError_tPvRmT1_PNSt15iterator_traitsISZ_E10value_typeET2_T3_PNS10_IS15_E10value_typeET4_jRbjT5_S1B_jjP12ihipStream_tbEUljE_EEESW_SX_SY_S15_S19_S1B_T6_T7_T9_mT8_S1D_bDpT10_ENKUlT_T0_E_clISt17integral_constantIbLb0EES1Q_EEDaS1L_S1M_EUlS1L_E_NS1_11comp_targetILNS1_3genE0ELNS1_11target_archE4294967295ELNS1_3gpuE0ELNS1_3repE0EEENS1_30default_config_static_selectorELNS0_4arch9wavefront6targetE0EEEvSZ_.num_vgpr, 69
	.set _ZN7rocprim17ROCPRIM_400000_NS6detail17trampoline_kernelINS0_13select_configILj256ELj13ELNS0_17block_load_methodE3ELS4_3ELS4_3ELNS0_20block_scan_algorithmE0ELj4294967295EEENS1_25partition_config_selectorILNS1_17partition_subalgoE3EjNS0_10empty_typeEbEEZZNS1_14partition_implILS8_3ELb0ES6_jNS0_17counting_iteratorIjlEEPS9_SE_NS0_5tupleIJPjSE_EEENSF_IJSE_SE_EEES9_SG_JZNS1_25segmented_radix_sort_implINS0_14default_configELb0EPK12hip_bfloat16PSL_PKlPlN2at6native12_GLOBAL__N_18offset_tEEE10hipError_tPvRmT1_PNSt15iterator_traitsISZ_E10value_typeET2_T3_PNS10_IS15_E10value_typeET4_jRbjT5_S1B_jjP12ihipStream_tbEUljE_EEESW_SX_SY_S15_S19_S1B_T6_T7_T9_mT8_S1D_bDpT10_ENKUlT_T0_E_clISt17integral_constantIbLb0EES1Q_EEDaS1L_S1M_EUlS1L_E_NS1_11comp_targetILNS1_3genE0ELNS1_11target_archE4294967295ELNS1_3gpuE0ELNS1_3repE0EEENS1_30default_config_static_selectorELNS0_4arch9wavefront6targetE0EEEvSZ_.num_agpr, 0
	.set _ZN7rocprim17ROCPRIM_400000_NS6detail17trampoline_kernelINS0_13select_configILj256ELj13ELNS0_17block_load_methodE3ELS4_3ELS4_3ELNS0_20block_scan_algorithmE0ELj4294967295EEENS1_25partition_config_selectorILNS1_17partition_subalgoE3EjNS0_10empty_typeEbEEZZNS1_14partition_implILS8_3ELb0ES6_jNS0_17counting_iteratorIjlEEPS9_SE_NS0_5tupleIJPjSE_EEENSF_IJSE_SE_EEES9_SG_JZNS1_25segmented_radix_sort_implINS0_14default_configELb0EPK12hip_bfloat16PSL_PKlPlN2at6native12_GLOBAL__N_18offset_tEEE10hipError_tPvRmT1_PNSt15iterator_traitsISZ_E10value_typeET2_T3_PNS10_IS15_E10value_typeET4_jRbjT5_S1B_jjP12ihipStream_tbEUljE_EEESW_SX_SY_S15_S19_S1B_T6_T7_T9_mT8_S1D_bDpT10_ENKUlT_T0_E_clISt17integral_constantIbLb0EES1Q_EEDaS1L_S1M_EUlS1L_E_NS1_11comp_targetILNS1_3genE0ELNS1_11target_archE4294967295ELNS1_3gpuE0ELNS1_3repE0EEENS1_30default_config_static_selectorELNS0_4arch9wavefront6targetE0EEEvSZ_.numbered_sgpr, 26
	.set _ZN7rocprim17ROCPRIM_400000_NS6detail17trampoline_kernelINS0_13select_configILj256ELj13ELNS0_17block_load_methodE3ELS4_3ELS4_3ELNS0_20block_scan_algorithmE0ELj4294967295EEENS1_25partition_config_selectorILNS1_17partition_subalgoE3EjNS0_10empty_typeEbEEZZNS1_14partition_implILS8_3ELb0ES6_jNS0_17counting_iteratorIjlEEPS9_SE_NS0_5tupleIJPjSE_EEENSF_IJSE_SE_EEES9_SG_JZNS1_25segmented_radix_sort_implINS0_14default_configELb0EPK12hip_bfloat16PSL_PKlPlN2at6native12_GLOBAL__N_18offset_tEEE10hipError_tPvRmT1_PNSt15iterator_traitsISZ_E10value_typeET2_T3_PNS10_IS15_E10value_typeET4_jRbjT5_S1B_jjP12ihipStream_tbEUljE_EEESW_SX_SY_S15_S19_S1B_T6_T7_T9_mT8_S1D_bDpT10_ENKUlT_T0_E_clISt17integral_constantIbLb0EES1Q_EEDaS1L_S1M_EUlS1L_E_NS1_11comp_targetILNS1_3genE0ELNS1_11target_archE4294967295ELNS1_3gpuE0ELNS1_3repE0EEENS1_30default_config_static_selectorELNS0_4arch9wavefront6targetE0EEEvSZ_.num_named_barrier, 0
	.set _ZN7rocprim17ROCPRIM_400000_NS6detail17trampoline_kernelINS0_13select_configILj256ELj13ELNS0_17block_load_methodE3ELS4_3ELS4_3ELNS0_20block_scan_algorithmE0ELj4294967295EEENS1_25partition_config_selectorILNS1_17partition_subalgoE3EjNS0_10empty_typeEbEEZZNS1_14partition_implILS8_3ELb0ES6_jNS0_17counting_iteratorIjlEEPS9_SE_NS0_5tupleIJPjSE_EEENSF_IJSE_SE_EEES9_SG_JZNS1_25segmented_radix_sort_implINS0_14default_configELb0EPK12hip_bfloat16PSL_PKlPlN2at6native12_GLOBAL__N_18offset_tEEE10hipError_tPvRmT1_PNSt15iterator_traitsISZ_E10value_typeET2_T3_PNS10_IS15_E10value_typeET4_jRbjT5_S1B_jjP12ihipStream_tbEUljE_EEESW_SX_SY_S15_S19_S1B_T6_T7_T9_mT8_S1D_bDpT10_ENKUlT_T0_E_clISt17integral_constantIbLb0EES1Q_EEDaS1L_S1M_EUlS1L_E_NS1_11comp_targetILNS1_3genE0ELNS1_11target_archE4294967295ELNS1_3gpuE0ELNS1_3repE0EEENS1_30default_config_static_selectorELNS0_4arch9wavefront6targetE0EEEvSZ_.private_seg_size, 0
	.set _ZN7rocprim17ROCPRIM_400000_NS6detail17trampoline_kernelINS0_13select_configILj256ELj13ELNS0_17block_load_methodE3ELS4_3ELS4_3ELNS0_20block_scan_algorithmE0ELj4294967295EEENS1_25partition_config_selectorILNS1_17partition_subalgoE3EjNS0_10empty_typeEbEEZZNS1_14partition_implILS8_3ELb0ES6_jNS0_17counting_iteratorIjlEEPS9_SE_NS0_5tupleIJPjSE_EEENSF_IJSE_SE_EEES9_SG_JZNS1_25segmented_radix_sort_implINS0_14default_configELb0EPK12hip_bfloat16PSL_PKlPlN2at6native12_GLOBAL__N_18offset_tEEE10hipError_tPvRmT1_PNSt15iterator_traitsISZ_E10value_typeET2_T3_PNS10_IS15_E10value_typeET4_jRbjT5_S1B_jjP12ihipStream_tbEUljE_EEESW_SX_SY_S15_S19_S1B_T6_T7_T9_mT8_S1D_bDpT10_ENKUlT_T0_E_clISt17integral_constantIbLb0EES1Q_EEDaS1L_S1M_EUlS1L_E_NS1_11comp_targetILNS1_3genE0ELNS1_11target_archE4294967295ELNS1_3gpuE0ELNS1_3repE0EEENS1_30default_config_static_selectorELNS0_4arch9wavefront6targetE0EEEvSZ_.uses_vcc, 1
	.set _ZN7rocprim17ROCPRIM_400000_NS6detail17trampoline_kernelINS0_13select_configILj256ELj13ELNS0_17block_load_methodE3ELS4_3ELS4_3ELNS0_20block_scan_algorithmE0ELj4294967295EEENS1_25partition_config_selectorILNS1_17partition_subalgoE3EjNS0_10empty_typeEbEEZZNS1_14partition_implILS8_3ELb0ES6_jNS0_17counting_iteratorIjlEEPS9_SE_NS0_5tupleIJPjSE_EEENSF_IJSE_SE_EEES9_SG_JZNS1_25segmented_radix_sort_implINS0_14default_configELb0EPK12hip_bfloat16PSL_PKlPlN2at6native12_GLOBAL__N_18offset_tEEE10hipError_tPvRmT1_PNSt15iterator_traitsISZ_E10value_typeET2_T3_PNS10_IS15_E10value_typeET4_jRbjT5_S1B_jjP12ihipStream_tbEUljE_EEESW_SX_SY_S15_S19_S1B_T6_T7_T9_mT8_S1D_bDpT10_ENKUlT_T0_E_clISt17integral_constantIbLb0EES1Q_EEDaS1L_S1M_EUlS1L_E_NS1_11comp_targetILNS1_3genE0ELNS1_11target_archE4294967295ELNS1_3gpuE0ELNS1_3repE0EEENS1_30default_config_static_selectorELNS0_4arch9wavefront6targetE0EEEvSZ_.uses_flat_scratch, 0
	.set _ZN7rocprim17ROCPRIM_400000_NS6detail17trampoline_kernelINS0_13select_configILj256ELj13ELNS0_17block_load_methodE3ELS4_3ELS4_3ELNS0_20block_scan_algorithmE0ELj4294967295EEENS1_25partition_config_selectorILNS1_17partition_subalgoE3EjNS0_10empty_typeEbEEZZNS1_14partition_implILS8_3ELb0ES6_jNS0_17counting_iteratorIjlEEPS9_SE_NS0_5tupleIJPjSE_EEENSF_IJSE_SE_EEES9_SG_JZNS1_25segmented_radix_sort_implINS0_14default_configELb0EPK12hip_bfloat16PSL_PKlPlN2at6native12_GLOBAL__N_18offset_tEEE10hipError_tPvRmT1_PNSt15iterator_traitsISZ_E10value_typeET2_T3_PNS10_IS15_E10value_typeET4_jRbjT5_S1B_jjP12ihipStream_tbEUljE_EEESW_SX_SY_S15_S19_S1B_T6_T7_T9_mT8_S1D_bDpT10_ENKUlT_T0_E_clISt17integral_constantIbLb0EES1Q_EEDaS1L_S1M_EUlS1L_E_NS1_11comp_targetILNS1_3genE0ELNS1_11target_archE4294967295ELNS1_3gpuE0ELNS1_3repE0EEENS1_30default_config_static_selectorELNS0_4arch9wavefront6targetE0EEEvSZ_.has_dyn_sized_stack, 0
	.set _ZN7rocprim17ROCPRIM_400000_NS6detail17trampoline_kernelINS0_13select_configILj256ELj13ELNS0_17block_load_methodE3ELS4_3ELS4_3ELNS0_20block_scan_algorithmE0ELj4294967295EEENS1_25partition_config_selectorILNS1_17partition_subalgoE3EjNS0_10empty_typeEbEEZZNS1_14partition_implILS8_3ELb0ES6_jNS0_17counting_iteratorIjlEEPS9_SE_NS0_5tupleIJPjSE_EEENSF_IJSE_SE_EEES9_SG_JZNS1_25segmented_radix_sort_implINS0_14default_configELb0EPK12hip_bfloat16PSL_PKlPlN2at6native12_GLOBAL__N_18offset_tEEE10hipError_tPvRmT1_PNSt15iterator_traitsISZ_E10value_typeET2_T3_PNS10_IS15_E10value_typeET4_jRbjT5_S1B_jjP12ihipStream_tbEUljE_EEESW_SX_SY_S15_S19_S1B_T6_T7_T9_mT8_S1D_bDpT10_ENKUlT_T0_E_clISt17integral_constantIbLb0EES1Q_EEDaS1L_S1M_EUlS1L_E_NS1_11comp_targetILNS1_3genE0ELNS1_11target_archE4294967295ELNS1_3gpuE0ELNS1_3repE0EEENS1_30default_config_static_selectorELNS0_4arch9wavefront6targetE0EEEvSZ_.has_recursion, 0
	.set _ZN7rocprim17ROCPRIM_400000_NS6detail17trampoline_kernelINS0_13select_configILj256ELj13ELNS0_17block_load_methodE3ELS4_3ELS4_3ELNS0_20block_scan_algorithmE0ELj4294967295EEENS1_25partition_config_selectorILNS1_17partition_subalgoE3EjNS0_10empty_typeEbEEZZNS1_14partition_implILS8_3ELb0ES6_jNS0_17counting_iteratorIjlEEPS9_SE_NS0_5tupleIJPjSE_EEENSF_IJSE_SE_EEES9_SG_JZNS1_25segmented_radix_sort_implINS0_14default_configELb0EPK12hip_bfloat16PSL_PKlPlN2at6native12_GLOBAL__N_18offset_tEEE10hipError_tPvRmT1_PNSt15iterator_traitsISZ_E10value_typeET2_T3_PNS10_IS15_E10value_typeET4_jRbjT5_S1B_jjP12ihipStream_tbEUljE_EEESW_SX_SY_S15_S19_S1B_T6_T7_T9_mT8_S1D_bDpT10_ENKUlT_T0_E_clISt17integral_constantIbLb0EES1Q_EEDaS1L_S1M_EUlS1L_E_NS1_11comp_targetILNS1_3genE0ELNS1_11target_archE4294967295ELNS1_3gpuE0ELNS1_3repE0EEENS1_30default_config_static_selectorELNS0_4arch9wavefront6targetE0EEEvSZ_.has_indirect_call, 0
	.section	.AMDGPU.csdata,"",@progbits
; Kernel info:
; codeLenInByte = 8920
; TotalNumSgprs: 28
; NumVgprs: 69
; ScratchSize: 0
; MemoryBound: 0
; FloatMode: 240
; IeeeMode: 1
; LDSByteSize: 13320 bytes/workgroup (compile time only)
; SGPRBlocks: 0
; VGPRBlocks: 4
; NumSGPRsForWavesPerEU: 28
; NumVGPRsForWavesPerEU: 69
; NamedBarCnt: 0
; Occupancy: 12
; WaveLimiterHint : 0
; COMPUTE_PGM_RSRC2:SCRATCH_EN: 0
; COMPUTE_PGM_RSRC2:USER_SGPR: 2
; COMPUTE_PGM_RSRC2:TRAP_HANDLER: 0
; COMPUTE_PGM_RSRC2:TGID_X_EN: 1
; COMPUTE_PGM_RSRC2:TGID_Y_EN: 0
; COMPUTE_PGM_RSRC2:TGID_Z_EN: 0
; COMPUTE_PGM_RSRC2:TIDIG_COMP_CNT: 0
	.section	.text._ZN7rocprim17ROCPRIM_400000_NS6detail17trampoline_kernelINS0_13select_configILj256ELj13ELNS0_17block_load_methodE3ELS4_3ELS4_3ELNS0_20block_scan_algorithmE0ELj4294967295EEENS1_25partition_config_selectorILNS1_17partition_subalgoE3EjNS0_10empty_typeEbEEZZNS1_14partition_implILS8_3ELb0ES6_jNS0_17counting_iteratorIjlEEPS9_SE_NS0_5tupleIJPjSE_EEENSF_IJSE_SE_EEES9_SG_JZNS1_25segmented_radix_sort_implINS0_14default_configELb0EPK12hip_bfloat16PSL_PKlPlN2at6native12_GLOBAL__N_18offset_tEEE10hipError_tPvRmT1_PNSt15iterator_traitsISZ_E10value_typeET2_T3_PNS10_IS15_E10value_typeET4_jRbjT5_S1B_jjP12ihipStream_tbEUljE_EEESW_SX_SY_S15_S19_S1B_T6_T7_T9_mT8_S1D_bDpT10_ENKUlT_T0_E_clISt17integral_constantIbLb0EES1Q_EEDaS1L_S1M_EUlS1L_E_NS1_11comp_targetILNS1_3genE5ELNS1_11target_archE942ELNS1_3gpuE9ELNS1_3repE0EEENS1_30default_config_static_selectorELNS0_4arch9wavefront6targetE0EEEvSZ_,"axG",@progbits,_ZN7rocprim17ROCPRIM_400000_NS6detail17trampoline_kernelINS0_13select_configILj256ELj13ELNS0_17block_load_methodE3ELS4_3ELS4_3ELNS0_20block_scan_algorithmE0ELj4294967295EEENS1_25partition_config_selectorILNS1_17partition_subalgoE3EjNS0_10empty_typeEbEEZZNS1_14partition_implILS8_3ELb0ES6_jNS0_17counting_iteratorIjlEEPS9_SE_NS0_5tupleIJPjSE_EEENSF_IJSE_SE_EEES9_SG_JZNS1_25segmented_radix_sort_implINS0_14default_configELb0EPK12hip_bfloat16PSL_PKlPlN2at6native12_GLOBAL__N_18offset_tEEE10hipError_tPvRmT1_PNSt15iterator_traitsISZ_E10value_typeET2_T3_PNS10_IS15_E10value_typeET4_jRbjT5_S1B_jjP12ihipStream_tbEUljE_EEESW_SX_SY_S15_S19_S1B_T6_T7_T9_mT8_S1D_bDpT10_ENKUlT_T0_E_clISt17integral_constantIbLb0EES1Q_EEDaS1L_S1M_EUlS1L_E_NS1_11comp_targetILNS1_3genE5ELNS1_11target_archE942ELNS1_3gpuE9ELNS1_3repE0EEENS1_30default_config_static_selectorELNS0_4arch9wavefront6targetE0EEEvSZ_,comdat
	.globl	_ZN7rocprim17ROCPRIM_400000_NS6detail17trampoline_kernelINS0_13select_configILj256ELj13ELNS0_17block_load_methodE3ELS4_3ELS4_3ELNS0_20block_scan_algorithmE0ELj4294967295EEENS1_25partition_config_selectorILNS1_17partition_subalgoE3EjNS0_10empty_typeEbEEZZNS1_14partition_implILS8_3ELb0ES6_jNS0_17counting_iteratorIjlEEPS9_SE_NS0_5tupleIJPjSE_EEENSF_IJSE_SE_EEES9_SG_JZNS1_25segmented_radix_sort_implINS0_14default_configELb0EPK12hip_bfloat16PSL_PKlPlN2at6native12_GLOBAL__N_18offset_tEEE10hipError_tPvRmT1_PNSt15iterator_traitsISZ_E10value_typeET2_T3_PNS10_IS15_E10value_typeET4_jRbjT5_S1B_jjP12ihipStream_tbEUljE_EEESW_SX_SY_S15_S19_S1B_T6_T7_T9_mT8_S1D_bDpT10_ENKUlT_T0_E_clISt17integral_constantIbLb0EES1Q_EEDaS1L_S1M_EUlS1L_E_NS1_11comp_targetILNS1_3genE5ELNS1_11target_archE942ELNS1_3gpuE9ELNS1_3repE0EEENS1_30default_config_static_selectorELNS0_4arch9wavefront6targetE0EEEvSZ_ ; -- Begin function _ZN7rocprim17ROCPRIM_400000_NS6detail17trampoline_kernelINS0_13select_configILj256ELj13ELNS0_17block_load_methodE3ELS4_3ELS4_3ELNS0_20block_scan_algorithmE0ELj4294967295EEENS1_25partition_config_selectorILNS1_17partition_subalgoE3EjNS0_10empty_typeEbEEZZNS1_14partition_implILS8_3ELb0ES6_jNS0_17counting_iteratorIjlEEPS9_SE_NS0_5tupleIJPjSE_EEENSF_IJSE_SE_EEES9_SG_JZNS1_25segmented_radix_sort_implINS0_14default_configELb0EPK12hip_bfloat16PSL_PKlPlN2at6native12_GLOBAL__N_18offset_tEEE10hipError_tPvRmT1_PNSt15iterator_traitsISZ_E10value_typeET2_T3_PNS10_IS15_E10value_typeET4_jRbjT5_S1B_jjP12ihipStream_tbEUljE_EEESW_SX_SY_S15_S19_S1B_T6_T7_T9_mT8_S1D_bDpT10_ENKUlT_T0_E_clISt17integral_constantIbLb0EES1Q_EEDaS1L_S1M_EUlS1L_E_NS1_11comp_targetILNS1_3genE5ELNS1_11target_archE942ELNS1_3gpuE9ELNS1_3repE0EEENS1_30default_config_static_selectorELNS0_4arch9wavefront6targetE0EEEvSZ_
	.p2align	8
	.type	_ZN7rocprim17ROCPRIM_400000_NS6detail17trampoline_kernelINS0_13select_configILj256ELj13ELNS0_17block_load_methodE3ELS4_3ELS4_3ELNS0_20block_scan_algorithmE0ELj4294967295EEENS1_25partition_config_selectorILNS1_17partition_subalgoE3EjNS0_10empty_typeEbEEZZNS1_14partition_implILS8_3ELb0ES6_jNS0_17counting_iteratorIjlEEPS9_SE_NS0_5tupleIJPjSE_EEENSF_IJSE_SE_EEES9_SG_JZNS1_25segmented_radix_sort_implINS0_14default_configELb0EPK12hip_bfloat16PSL_PKlPlN2at6native12_GLOBAL__N_18offset_tEEE10hipError_tPvRmT1_PNSt15iterator_traitsISZ_E10value_typeET2_T3_PNS10_IS15_E10value_typeET4_jRbjT5_S1B_jjP12ihipStream_tbEUljE_EEESW_SX_SY_S15_S19_S1B_T6_T7_T9_mT8_S1D_bDpT10_ENKUlT_T0_E_clISt17integral_constantIbLb0EES1Q_EEDaS1L_S1M_EUlS1L_E_NS1_11comp_targetILNS1_3genE5ELNS1_11target_archE942ELNS1_3gpuE9ELNS1_3repE0EEENS1_30default_config_static_selectorELNS0_4arch9wavefront6targetE0EEEvSZ_,@function
_ZN7rocprim17ROCPRIM_400000_NS6detail17trampoline_kernelINS0_13select_configILj256ELj13ELNS0_17block_load_methodE3ELS4_3ELS4_3ELNS0_20block_scan_algorithmE0ELj4294967295EEENS1_25partition_config_selectorILNS1_17partition_subalgoE3EjNS0_10empty_typeEbEEZZNS1_14partition_implILS8_3ELb0ES6_jNS0_17counting_iteratorIjlEEPS9_SE_NS0_5tupleIJPjSE_EEENSF_IJSE_SE_EEES9_SG_JZNS1_25segmented_radix_sort_implINS0_14default_configELb0EPK12hip_bfloat16PSL_PKlPlN2at6native12_GLOBAL__N_18offset_tEEE10hipError_tPvRmT1_PNSt15iterator_traitsISZ_E10value_typeET2_T3_PNS10_IS15_E10value_typeET4_jRbjT5_S1B_jjP12ihipStream_tbEUljE_EEESW_SX_SY_S15_S19_S1B_T6_T7_T9_mT8_S1D_bDpT10_ENKUlT_T0_E_clISt17integral_constantIbLb0EES1Q_EEDaS1L_S1M_EUlS1L_E_NS1_11comp_targetILNS1_3genE5ELNS1_11target_archE942ELNS1_3gpuE9ELNS1_3repE0EEENS1_30default_config_static_selectorELNS0_4arch9wavefront6targetE0EEEvSZ_: ; @_ZN7rocprim17ROCPRIM_400000_NS6detail17trampoline_kernelINS0_13select_configILj256ELj13ELNS0_17block_load_methodE3ELS4_3ELS4_3ELNS0_20block_scan_algorithmE0ELj4294967295EEENS1_25partition_config_selectorILNS1_17partition_subalgoE3EjNS0_10empty_typeEbEEZZNS1_14partition_implILS8_3ELb0ES6_jNS0_17counting_iteratorIjlEEPS9_SE_NS0_5tupleIJPjSE_EEENSF_IJSE_SE_EEES9_SG_JZNS1_25segmented_radix_sort_implINS0_14default_configELb0EPK12hip_bfloat16PSL_PKlPlN2at6native12_GLOBAL__N_18offset_tEEE10hipError_tPvRmT1_PNSt15iterator_traitsISZ_E10value_typeET2_T3_PNS10_IS15_E10value_typeET4_jRbjT5_S1B_jjP12ihipStream_tbEUljE_EEESW_SX_SY_S15_S19_S1B_T6_T7_T9_mT8_S1D_bDpT10_ENKUlT_T0_E_clISt17integral_constantIbLb0EES1Q_EEDaS1L_S1M_EUlS1L_E_NS1_11comp_targetILNS1_3genE5ELNS1_11target_archE942ELNS1_3gpuE9ELNS1_3repE0EEENS1_30default_config_static_selectorELNS0_4arch9wavefront6targetE0EEEvSZ_
; %bb.0:
	.section	.rodata,"a",@progbits
	.p2align	6, 0x0
	.amdhsa_kernel _ZN7rocprim17ROCPRIM_400000_NS6detail17trampoline_kernelINS0_13select_configILj256ELj13ELNS0_17block_load_methodE3ELS4_3ELS4_3ELNS0_20block_scan_algorithmE0ELj4294967295EEENS1_25partition_config_selectorILNS1_17partition_subalgoE3EjNS0_10empty_typeEbEEZZNS1_14partition_implILS8_3ELb0ES6_jNS0_17counting_iteratorIjlEEPS9_SE_NS0_5tupleIJPjSE_EEENSF_IJSE_SE_EEES9_SG_JZNS1_25segmented_radix_sort_implINS0_14default_configELb0EPK12hip_bfloat16PSL_PKlPlN2at6native12_GLOBAL__N_18offset_tEEE10hipError_tPvRmT1_PNSt15iterator_traitsISZ_E10value_typeET2_T3_PNS10_IS15_E10value_typeET4_jRbjT5_S1B_jjP12ihipStream_tbEUljE_EEESW_SX_SY_S15_S19_S1B_T6_T7_T9_mT8_S1D_bDpT10_ENKUlT_T0_E_clISt17integral_constantIbLb0EES1Q_EEDaS1L_S1M_EUlS1L_E_NS1_11comp_targetILNS1_3genE5ELNS1_11target_archE942ELNS1_3gpuE9ELNS1_3repE0EEENS1_30default_config_static_selectorELNS0_4arch9wavefront6targetE0EEEvSZ_
		.amdhsa_group_segment_fixed_size 0
		.amdhsa_private_segment_fixed_size 0
		.amdhsa_kernarg_size 144
		.amdhsa_user_sgpr_count 2
		.amdhsa_user_sgpr_dispatch_ptr 0
		.amdhsa_user_sgpr_queue_ptr 0
		.amdhsa_user_sgpr_kernarg_segment_ptr 1
		.amdhsa_user_sgpr_dispatch_id 0
		.amdhsa_user_sgpr_kernarg_preload_length 0
		.amdhsa_user_sgpr_kernarg_preload_offset 0
		.amdhsa_user_sgpr_private_segment_size 0
		.amdhsa_wavefront_size32 1
		.amdhsa_uses_dynamic_stack 0
		.amdhsa_enable_private_segment 0
		.amdhsa_system_sgpr_workgroup_id_x 1
		.amdhsa_system_sgpr_workgroup_id_y 0
		.amdhsa_system_sgpr_workgroup_id_z 0
		.amdhsa_system_sgpr_workgroup_info 0
		.amdhsa_system_vgpr_workitem_id 0
		.amdhsa_next_free_vgpr 1
		.amdhsa_next_free_sgpr 1
		.amdhsa_named_barrier_count 0
		.amdhsa_reserve_vcc 0
		.amdhsa_float_round_mode_32 0
		.amdhsa_float_round_mode_16_64 0
		.amdhsa_float_denorm_mode_32 3
		.amdhsa_float_denorm_mode_16_64 3
		.amdhsa_fp16_overflow 0
		.amdhsa_memory_ordered 1
		.amdhsa_forward_progress 1
		.amdhsa_inst_pref_size 0
		.amdhsa_round_robin_scheduling 0
		.amdhsa_exception_fp_ieee_invalid_op 0
		.amdhsa_exception_fp_denorm_src 0
		.amdhsa_exception_fp_ieee_div_zero 0
		.amdhsa_exception_fp_ieee_overflow 0
		.amdhsa_exception_fp_ieee_underflow 0
		.amdhsa_exception_fp_ieee_inexact 0
		.amdhsa_exception_int_div_zero 0
	.end_amdhsa_kernel
	.section	.text._ZN7rocprim17ROCPRIM_400000_NS6detail17trampoline_kernelINS0_13select_configILj256ELj13ELNS0_17block_load_methodE3ELS4_3ELS4_3ELNS0_20block_scan_algorithmE0ELj4294967295EEENS1_25partition_config_selectorILNS1_17partition_subalgoE3EjNS0_10empty_typeEbEEZZNS1_14partition_implILS8_3ELb0ES6_jNS0_17counting_iteratorIjlEEPS9_SE_NS0_5tupleIJPjSE_EEENSF_IJSE_SE_EEES9_SG_JZNS1_25segmented_radix_sort_implINS0_14default_configELb0EPK12hip_bfloat16PSL_PKlPlN2at6native12_GLOBAL__N_18offset_tEEE10hipError_tPvRmT1_PNSt15iterator_traitsISZ_E10value_typeET2_T3_PNS10_IS15_E10value_typeET4_jRbjT5_S1B_jjP12ihipStream_tbEUljE_EEESW_SX_SY_S15_S19_S1B_T6_T7_T9_mT8_S1D_bDpT10_ENKUlT_T0_E_clISt17integral_constantIbLb0EES1Q_EEDaS1L_S1M_EUlS1L_E_NS1_11comp_targetILNS1_3genE5ELNS1_11target_archE942ELNS1_3gpuE9ELNS1_3repE0EEENS1_30default_config_static_selectorELNS0_4arch9wavefront6targetE0EEEvSZ_,"axG",@progbits,_ZN7rocprim17ROCPRIM_400000_NS6detail17trampoline_kernelINS0_13select_configILj256ELj13ELNS0_17block_load_methodE3ELS4_3ELS4_3ELNS0_20block_scan_algorithmE0ELj4294967295EEENS1_25partition_config_selectorILNS1_17partition_subalgoE3EjNS0_10empty_typeEbEEZZNS1_14partition_implILS8_3ELb0ES6_jNS0_17counting_iteratorIjlEEPS9_SE_NS0_5tupleIJPjSE_EEENSF_IJSE_SE_EEES9_SG_JZNS1_25segmented_radix_sort_implINS0_14default_configELb0EPK12hip_bfloat16PSL_PKlPlN2at6native12_GLOBAL__N_18offset_tEEE10hipError_tPvRmT1_PNSt15iterator_traitsISZ_E10value_typeET2_T3_PNS10_IS15_E10value_typeET4_jRbjT5_S1B_jjP12ihipStream_tbEUljE_EEESW_SX_SY_S15_S19_S1B_T6_T7_T9_mT8_S1D_bDpT10_ENKUlT_T0_E_clISt17integral_constantIbLb0EES1Q_EEDaS1L_S1M_EUlS1L_E_NS1_11comp_targetILNS1_3genE5ELNS1_11target_archE942ELNS1_3gpuE9ELNS1_3repE0EEENS1_30default_config_static_selectorELNS0_4arch9wavefront6targetE0EEEvSZ_,comdat
.Lfunc_end2008:
	.size	_ZN7rocprim17ROCPRIM_400000_NS6detail17trampoline_kernelINS0_13select_configILj256ELj13ELNS0_17block_load_methodE3ELS4_3ELS4_3ELNS0_20block_scan_algorithmE0ELj4294967295EEENS1_25partition_config_selectorILNS1_17partition_subalgoE3EjNS0_10empty_typeEbEEZZNS1_14partition_implILS8_3ELb0ES6_jNS0_17counting_iteratorIjlEEPS9_SE_NS0_5tupleIJPjSE_EEENSF_IJSE_SE_EEES9_SG_JZNS1_25segmented_radix_sort_implINS0_14default_configELb0EPK12hip_bfloat16PSL_PKlPlN2at6native12_GLOBAL__N_18offset_tEEE10hipError_tPvRmT1_PNSt15iterator_traitsISZ_E10value_typeET2_T3_PNS10_IS15_E10value_typeET4_jRbjT5_S1B_jjP12ihipStream_tbEUljE_EEESW_SX_SY_S15_S19_S1B_T6_T7_T9_mT8_S1D_bDpT10_ENKUlT_T0_E_clISt17integral_constantIbLb0EES1Q_EEDaS1L_S1M_EUlS1L_E_NS1_11comp_targetILNS1_3genE5ELNS1_11target_archE942ELNS1_3gpuE9ELNS1_3repE0EEENS1_30default_config_static_selectorELNS0_4arch9wavefront6targetE0EEEvSZ_, .Lfunc_end2008-_ZN7rocprim17ROCPRIM_400000_NS6detail17trampoline_kernelINS0_13select_configILj256ELj13ELNS0_17block_load_methodE3ELS4_3ELS4_3ELNS0_20block_scan_algorithmE0ELj4294967295EEENS1_25partition_config_selectorILNS1_17partition_subalgoE3EjNS0_10empty_typeEbEEZZNS1_14partition_implILS8_3ELb0ES6_jNS0_17counting_iteratorIjlEEPS9_SE_NS0_5tupleIJPjSE_EEENSF_IJSE_SE_EEES9_SG_JZNS1_25segmented_radix_sort_implINS0_14default_configELb0EPK12hip_bfloat16PSL_PKlPlN2at6native12_GLOBAL__N_18offset_tEEE10hipError_tPvRmT1_PNSt15iterator_traitsISZ_E10value_typeET2_T3_PNS10_IS15_E10value_typeET4_jRbjT5_S1B_jjP12ihipStream_tbEUljE_EEESW_SX_SY_S15_S19_S1B_T6_T7_T9_mT8_S1D_bDpT10_ENKUlT_T0_E_clISt17integral_constantIbLb0EES1Q_EEDaS1L_S1M_EUlS1L_E_NS1_11comp_targetILNS1_3genE5ELNS1_11target_archE942ELNS1_3gpuE9ELNS1_3repE0EEENS1_30default_config_static_selectorELNS0_4arch9wavefront6targetE0EEEvSZ_
                                        ; -- End function
	.set _ZN7rocprim17ROCPRIM_400000_NS6detail17trampoline_kernelINS0_13select_configILj256ELj13ELNS0_17block_load_methodE3ELS4_3ELS4_3ELNS0_20block_scan_algorithmE0ELj4294967295EEENS1_25partition_config_selectorILNS1_17partition_subalgoE3EjNS0_10empty_typeEbEEZZNS1_14partition_implILS8_3ELb0ES6_jNS0_17counting_iteratorIjlEEPS9_SE_NS0_5tupleIJPjSE_EEENSF_IJSE_SE_EEES9_SG_JZNS1_25segmented_radix_sort_implINS0_14default_configELb0EPK12hip_bfloat16PSL_PKlPlN2at6native12_GLOBAL__N_18offset_tEEE10hipError_tPvRmT1_PNSt15iterator_traitsISZ_E10value_typeET2_T3_PNS10_IS15_E10value_typeET4_jRbjT5_S1B_jjP12ihipStream_tbEUljE_EEESW_SX_SY_S15_S19_S1B_T6_T7_T9_mT8_S1D_bDpT10_ENKUlT_T0_E_clISt17integral_constantIbLb0EES1Q_EEDaS1L_S1M_EUlS1L_E_NS1_11comp_targetILNS1_3genE5ELNS1_11target_archE942ELNS1_3gpuE9ELNS1_3repE0EEENS1_30default_config_static_selectorELNS0_4arch9wavefront6targetE0EEEvSZ_.num_vgpr, 0
	.set _ZN7rocprim17ROCPRIM_400000_NS6detail17trampoline_kernelINS0_13select_configILj256ELj13ELNS0_17block_load_methodE3ELS4_3ELS4_3ELNS0_20block_scan_algorithmE0ELj4294967295EEENS1_25partition_config_selectorILNS1_17partition_subalgoE3EjNS0_10empty_typeEbEEZZNS1_14partition_implILS8_3ELb0ES6_jNS0_17counting_iteratorIjlEEPS9_SE_NS0_5tupleIJPjSE_EEENSF_IJSE_SE_EEES9_SG_JZNS1_25segmented_radix_sort_implINS0_14default_configELb0EPK12hip_bfloat16PSL_PKlPlN2at6native12_GLOBAL__N_18offset_tEEE10hipError_tPvRmT1_PNSt15iterator_traitsISZ_E10value_typeET2_T3_PNS10_IS15_E10value_typeET4_jRbjT5_S1B_jjP12ihipStream_tbEUljE_EEESW_SX_SY_S15_S19_S1B_T6_T7_T9_mT8_S1D_bDpT10_ENKUlT_T0_E_clISt17integral_constantIbLb0EES1Q_EEDaS1L_S1M_EUlS1L_E_NS1_11comp_targetILNS1_3genE5ELNS1_11target_archE942ELNS1_3gpuE9ELNS1_3repE0EEENS1_30default_config_static_selectorELNS0_4arch9wavefront6targetE0EEEvSZ_.num_agpr, 0
	.set _ZN7rocprim17ROCPRIM_400000_NS6detail17trampoline_kernelINS0_13select_configILj256ELj13ELNS0_17block_load_methodE3ELS4_3ELS4_3ELNS0_20block_scan_algorithmE0ELj4294967295EEENS1_25partition_config_selectorILNS1_17partition_subalgoE3EjNS0_10empty_typeEbEEZZNS1_14partition_implILS8_3ELb0ES6_jNS0_17counting_iteratorIjlEEPS9_SE_NS0_5tupleIJPjSE_EEENSF_IJSE_SE_EEES9_SG_JZNS1_25segmented_radix_sort_implINS0_14default_configELb0EPK12hip_bfloat16PSL_PKlPlN2at6native12_GLOBAL__N_18offset_tEEE10hipError_tPvRmT1_PNSt15iterator_traitsISZ_E10value_typeET2_T3_PNS10_IS15_E10value_typeET4_jRbjT5_S1B_jjP12ihipStream_tbEUljE_EEESW_SX_SY_S15_S19_S1B_T6_T7_T9_mT8_S1D_bDpT10_ENKUlT_T0_E_clISt17integral_constantIbLb0EES1Q_EEDaS1L_S1M_EUlS1L_E_NS1_11comp_targetILNS1_3genE5ELNS1_11target_archE942ELNS1_3gpuE9ELNS1_3repE0EEENS1_30default_config_static_selectorELNS0_4arch9wavefront6targetE0EEEvSZ_.numbered_sgpr, 0
	.set _ZN7rocprim17ROCPRIM_400000_NS6detail17trampoline_kernelINS0_13select_configILj256ELj13ELNS0_17block_load_methodE3ELS4_3ELS4_3ELNS0_20block_scan_algorithmE0ELj4294967295EEENS1_25partition_config_selectorILNS1_17partition_subalgoE3EjNS0_10empty_typeEbEEZZNS1_14partition_implILS8_3ELb0ES6_jNS0_17counting_iteratorIjlEEPS9_SE_NS0_5tupleIJPjSE_EEENSF_IJSE_SE_EEES9_SG_JZNS1_25segmented_radix_sort_implINS0_14default_configELb0EPK12hip_bfloat16PSL_PKlPlN2at6native12_GLOBAL__N_18offset_tEEE10hipError_tPvRmT1_PNSt15iterator_traitsISZ_E10value_typeET2_T3_PNS10_IS15_E10value_typeET4_jRbjT5_S1B_jjP12ihipStream_tbEUljE_EEESW_SX_SY_S15_S19_S1B_T6_T7_T9_mT8_S1D_bDpT10_ENKUlT_T0_E_clISt17integral_constantIbLb0EES1Q_EEDaS1L_S1M_EUlS1L_E_NS1_11comp_targetILNS1_3genE5ELNS1_11target_archE942ELNS1_3gpuE9ELNS1_3repE0EEENS1_30default_config_static_selectorELNS0_4arch9wavefront6targetE0EEEvSZ_.num_named_barrier, 0
	.set _ZN7rocprim17ROCPRIM_400000_NS6detail17trampoline_kernelINS0_13select_configILj256ELj13ELNS0_17block_load_methodE3ELS4_3ELS4_3ELNS0_20block_scan_algorithmE0ELj4294967295EEENS1_25partition_config_selectorILNS1_17partition_subalgoE3EjNS0_10empty_typeEbEEZZNS1_14partition_implILS8_3ELb0ES6_jNS0_17counting_iteratorIjlEEPS9_SE_NS0_5tupleIJPjSE_EEENSF_IJSE_SE_EEES9_SG_JZNS1_25segmented_radix_sort_implINS0_14default_configELb0EPK12hip_bfloat16PSL_PKlPlN2at6native12_GLOBAL__N_18offset_tEEE10hipError_tPvRmT1_PNSt15iterator_traitsISZ_E10value_typeET2_T3_PNS10_IS15_E10value_typeET4_jRbjT5_S1B_jjP12ihipStream_tbEUljE_EEESW_SX_SY_S15_S19_S1B_T6_T7_T9_mT8_S1D_bDpT10_ENKUlT_T0_E_clISt17integral_constantIbLb0EES1Q_EEDaS1L_S1M_EUlS1L_E_NS1_11comp_targetILNS1_3genE5ELNS1_11target_archE942ELNS1_3gpuE9ELNS1_3repE0EEENS1_30default_config_static_selectorELNS0_4arch9wavefront6targetE0EEEvSZ_.private_seg_size, 0
	.set _ZN7rocprim17ROCPRIM_400000_NS6detail17trampoline_kernelINS0_13select_configILj256ELj13ELNS0_17block_load_methodE3ELS4_3ELS4_3ELNS0_20block_scan_algorithmE0ELj4294967295EEENS1_25partition_config_selectorILNS1_17partition_subalgoE3EjNS0_10empty_typeEbEEZZNS1_14partition_implILS8_3ELb0ES6_jNS0_17counting_iteratorIjlEEPS9_SE_NS0_5tupleIJPjSE_EEENSF_IJSE_SE_EEES9_SG_JZNS1_25segmented_radix_sort_implINS0_14default_configELb0EPK12hip_bfloat16PSL_PKlPlN2at6native12_GLOBAL__N_18offset_tEEE10hipError_tPvRmT1_PNSt15iterator_traitsISZ_E10value_typeET2_T3_PNS10_IS15_E10value_typeET4_jRbjT5_S1B_jjP12ihipStream_tbEUljE_EEESW_SX_SY_S15_S19_S1B_T6_T7_T9_mT8_S1D_bDpT10_ENKUlT_T0_E_clISt17integral_constantIbLb0EES1Q_EEDaS1L_S1M_EUlS1L_E_NS1_11comp_targetILNS1_3genE5ELNS1_11target_archE942ELNS1_3gpuE9ELNS1_3repE0EEENS1_30default_config_static_selectorELNS0_4arch9wavefront6targetE0EEEvSZ_.uses_vcc, 0
	.set _ZN7rocprim17ROCPRIM_400000_NS6detail17trampoline_kernelINS0_13select_configILj256ELj13ELNS0_17block_load_methodE3ELS4_3ELS4_3ELNS0_20block_scan_algorithmE0ELj4294967295EEENS1_25partition_config_selectorILNS1_17partition_subalgoE3EjNS0_10empty_typeEbEEZZNS1_14partition_implILS8_3ELb0ES6_jNS0_17counting_iteratorIjlEEPS9_SE_NS0_5tupleIJPjSE_EEENSF_IJSE_SE_EEES9_SG_JZNS1_25segmented_radix_sort_implINS0_14default_configELb0EPK12hip_bfloat16PSL_PKlPlN2at6native12_GLOBAL__N_18offset_tEEE10hipError_tPvRmT1_PNSt15iterator_traitsISZ_E10value_typeET2_T3_PNS10_IS15_E10value_typeET4_jRbjT5_S1B_jjP12ihipStream_tbEUljE_EEESW_SX_SY_S15_S19_S1B_T6_T7_T9_mT8_S1D_bDpT10_ENKUlT_T0_E_clISt17integral_constantIbLb0EES1Q_EEDaS1L_S1M_EUlS1L_E_NS1_11comp_targetILNS1_3genE5ELNS1_11target_archE942ELNS1_3gpuE9ELNS1_3repE0EEENS1_30default_config_static_selectorELNS0_4arch9wavefront6targetE0EEEvSZ_.uses_flat_scratch, 0
	.set _ZN7rocprim17ROCPRIM_400000_NS6detail17trampoline_kernelINS0_13select_configILj256ELj13ELNS0_17block_load_methodE3ELS4_3ELS4_3ELNS0_20block_scan_algorithmE0ELj4294967295EEENS1_25partition_config_selectorILNS1_17partition_subalgoE3EjNS0_10empty_typeEbEEZZNS1_14partition_implILS8_3ELb0ES6_jNS0_17counting_iteratorIjlEEPS9_SE_NS0_5tupleIJPjSE_EEENSF_IJSE_SE_EEES9_SG_JZNS1_25segmented_radix_sort_implINS0_14default_configELb0EPK12hip_bfloat16PSL_PKlPlN2at6native12_GLOBAL__N_18offset_tEEE10hipError_tPvRmT1_PNSt15iterator_traitsISZ_E10value_typeET2_T3_PNS10_IS15_E10value_typeET4_jRbjT5_S1B_jjP12ihipStream_tbEUljE_EEESW_SX_SY_S15_S19_S1B_T6_T7_T9_mT8_S1D_bDpT10_ENKUlT_T0_E_clISt17integral_constantIbLb0EES1Q_EEDaS1L_S1M_EUlS1L_E_NS1_11comp_targetILNS1_3genE5ELNS1_11target_archE942ELNS1_3gpuE9ELNS1_3repE0EEENS1_30default_config_static_selectorELNS0_4arch9wavefront6targetE0EEEvSZ_.has_dyn_sized_stack, 0
	.set _ZN7rocprim17ROCPRIM_400000_NS6detail17trampoline_kernelINS0_13select_configILj256ELj13ELNS0_17block_load_methodE3ELS4_3ELS4_3ELNS0_20block_scan_algorithmE0ELj4294967295EEENS1_25partition_config_selectorILNS1_17partition_subalgoE3EjNS0_10empty_typeEbEEZZNS1_14partition_implILS8_3ELb0ES6_jNS0_17counting_iteratorIjlEEPS9_SE_NS0_5tupleIJPjSE_EEENSF_IJSE_SE_EEES9_SG_JZNS1_25segmented_radix_sort_implINS0_14default_configELb0EPK12hip_bfloat16PSL_PKlPlN2at6native12_GLOBAL__N_18offset_tEEE10hipError_tPvRmT1_PNSt15iterator_traitsISZ_E10value_typeET2_T3_PNS10_IS15_E10value_typeET4_jRbjT5_S1B_jjP12ihipStream_tbEUljE_EEESW_SX_SY_S15_S19_S1B_T6_T7_T9_mT8_S1D_bDpT10_ENKUlT_T0_E_clISt17integral_constantIbLb0EES1Q_EEDaS1L_S1M_EUlS1L_E_NS1_11comp_targetILNS1_3genE5ELNS1_11target_archE942ELNS1_3gpuE9ELNS1_3repE0EEENS1_30default_config_static_selectorELNS0_4arch9wavefront6targetE0EEEvSZ_.has_recursion, 0
	.set _ZN7rocprim17ROCPRIM_400000_NS6detail17trampoline_kernelINS0_13select_configILj256ELj13ELNS0_17block_load_methodE3ELS4_3ELS4_3ELNS0_20block_scan_algorithmE0ELj4294967295EEENS1_25partition_config_selectorILNS1_17partition_subalgoE3EjNS0_10empty_typeEbEEZZNS1_14partition_implILS8_3ELb0ES6_jNS0_17counting_iteratorIjlEEPS9_SE_NS0_5tupleIJPjSE_EEENSF_IJSE_SE_EEES9_SG_JZNS1_25segmented_radix_sort_implINS0_14default_configELb0EPK12hip_bfloat16PSL_PKlPlN2at6native12_GLOBAL__N_18offset_tEEE10hipError_tPvRmT1_PNSt15iterator_traitsISZ_E10value_typeET2_T3_PNS10_IS15_E10value_typeET4_jRbjT5_S1B_jjP12ihipStream_tbEUljE_EEESW_SX_SY_S15_S19_S1B_T6_T7_T9_mT8_S1D_bDpT10_ENKUlT_T0_E_clISt17integral_constantIbLb0EES1Q_EEDaS1L_S1M_EUlS1L_E_NS1_11comp_targetILNS1_3genE5ELNS1_11target_archE942ELNS1_3gpuE9ELNS1_3repE0EEENS1_30default_config_static_selectorELNS0_4arch9wavefront6targetE0EEEvSZ_.has_indirect_call, 0
	.section	.AMDGPU.csdata,"",@progbits
; Kernel info:
; codeLenInByte = 0
; TotalNumSgprs: 0
; NumVgprs: 0
; ScratchSize: 0
; MemoryBound: 0
; FloatMode: 240
; IeeeMode: 1
; LDSByteSize: 0 bytes/workgroup (compile time only)
; SGPRBlocks: 0
; VGPRBlocks: 0
; NumSGPRsForWavesPerEU: 1
; NumVGPRsForWavesPerEU: 1
; NamedBarCnt: 0
; Occupancy: 16
; WaveLimiterHint : 0
; COMPUTE_PGM_RSRC2:SCRATCH_EN: 0
; COMPUTE_PGM_RSRC2:USER_SGPR: 2
; COMPUTE_PGM_RSRC2:TRAP_HANDLER: 0
; COMPUTE_PGM_RSRC2:TGID_X_EN: 1
; COMPUTE_PGM_RSRC2:TGID_Y_EN: 0
; COMPUTE_PGM_RSRC2:TGID_Z_EN: 0
; COMPUTE_PGM_RSRC2:TIDIG_COMP_CNT: 0
	.section	.text._ZN7rocprim17ROCPRIM_400000_NS6detail17trampoline_kernelINS0_13select_configILj256ELj13ELNS0_17block_load_methodE3ELS4_3ELS4_3ELNS0_20block_scan_algorithmE0ELj4294967295EEENS1_25partition_config_selectorILNS1_17partition_subalgoE3EjNS0_10empty_typeEbEEZZNS1_14partition_implILS8_3ELb0ES6_jNS0_17counting_iteratorIjlEEPS9_SE_NS0_5tupleIJPjSE_EEENSF_IJSE_SE_EEES9_SG_JZNS1_25segmented_radix_sort_implINS0_14default_configELb0EPK12hip_bfloat16PSL_PKlPlN2at6native12_GLOBAL__N_18offset_tEEE10hipError_tPvRmT1_PNSt15iterator_traitsISZ_E10value_typeET2_T3_PNS10_IS15_E10value_typeET4_jRbjT5_S1B_jjP12ihipStream_tbEUljE_EEESW_SX_SY_S15_S19_S1B_T6_T7_T9_mT8_S1D_bDpT10_ENKUlT_T0_E_clISt17integral_constantIbLb0EES1Q_EEDaS1L_S1M_EUlS1L_E_NS1_11comp_targetILNS1_3genE4ELNS1_11target_archE910ELNS1_3gpuE8ELNS1_3repE0EEENS1_30default_config_static_selectorELNS0_4arch9wavefront6targetE0EEEvSZ_,"axG",@progbits,_ZN7rocprim17ROCPRIM_400000_NS6detail17trampoline_kernelINS0_13select_configILj256ELj13ELNS0_17block_load_methodE3ELS4_3ELS4_3ELNS0_20block_scan_algorithmE0ELj4294967295EEENS1_25partition_config_selectorILNS1_17partition_subalgoE3EjNS0_10empty_typeEbEEZZNS1_14partition_implILS8_3ELb0ES6_jNS0_17counting_iteratorIjlEEPS9_SE_NS0_5tupleIJPjSE_EEENSF_IJSE_SE_EEES9_SG_JZNS1_25segmented_radix_sort_implINS0_14default_configELb0EPK12hip_bfloat16PSL_PKlPlN2at6native12_GLOBAL__N_18offset_tEEE10hipError_tPvRmT1_PNSt15iterator_traitsISZ_E10value_typeET2_T3_PNS10_IS15_E10value_typeET4_jRbjT5_S1B_jjP12ihipStream_tbEUljE_EEESW_SX_SY_S15_S19_S1B_T6_T7_T9_mT8_S1D_bDpT10_ENKUlT_T0_E_clISt17integral_constantIbLb0EES1Q_EEDaS1L_S1M_EUlS1L_E_NS1_11comp_targetILNS1_3genE4ELNS1_11target_archE910ELNS1_3gpuE8ELNS1_3repE0EEENS1_30default_config_static_selectorELNS0_4arch9wavefront6targetE0EEEvSZ_,comdat
	.globl	_ZN7rocprim17ROCPRIM_400000_NS6detail17trampoline_kernelINS0_13select_configILj256ELj13ELNS0_17block_load_methodE3ELS4_3ELS4_3ELNS0_20block_scan_algorithmE0ELj4294967295EEENS1_25partition_config_selectorILNS1_17partition_subalgoE3EjNS0_10empty_typeEbEEZZNS1_14partition_implILS8_3ELb0ES6_jNS0_17counting_iteratorIjlEEPS9_SE_NS0_5tupleIJPjSE_EEENSF_IJSE_SE_EEES9_SG_JZNS1_25segmented_radix_sort_implINS0_14default_configELb0EPK12hip_bfloat16PSL_PKlPlN2at6native12_GLOBAL__N_18offset_tEEE10hipError_tPvRmT1_PNSt15iterator_traitsISZ_E10value_typeET2_T3_PNS10_IS15_E10value_typeET4_jRbjT5_S1B_jjP12ihipStream_tbEUljE_EEESW_SX_SY_S15_S19_S1B_T6_T7_T9_mT8_S1D_bDpT10_ENKUlT_T0_E_clISt17integral_constantIbLb0EES1Q_EEDaS1L_S1M_EUlS1L_E_NS1_11comp_targetILNS1_3genE4ELNS1_11target_archE910ELNS1_3gpuE8ELNS1_3repE0EEENS1_30default_config_static_selectorELNS0_4arch9wavefront6targetE0EEEvSZ_ ; -- Begin function _ZN7rocprim17ROCPRIM_400000_NS6detail17trampoline_kernelINS0_13select_configILj256ELj13ELNS0_17block_load_methodE3ELS4_3ELS4_3ELNS0_20block_scan_algorithmE0ELj4294967295EEENS1_25partition_config_selectorILNS1_17partition_subalgoE3EjNS0_10empty_typeEbEEZZNS1_14partition_implILS8_3ELb0ES6_jNS0_17counting_iteratorIjlEEPS9_SE_NS0_5tupleIJPjSE_EEENSF_IJSE_SE_EEES9_SG_JZNS1_25segmented_radix_sort_implINS0_14default_configELb0EPK12hip_bfloat16PSL_PKlPlN2at6native12_GLOBAL__N_18offset_tEEE10hipError_tPvRmT1_PNSt15iterator_traitsISZ_E10value_typeET2_T3_PNS10_IS15_E10value_typeET4_jRbjT5_S1B_jjP12ihipStream_tbEUljE_EEESW_SX_SY_S15_S19_S1B_T6_T7_T9_mT8_S1D_bDpT10_ENKUlT_T0_E_clISt17integral_constantIbLb0EES1Q_EEDaS1L_S1M_EUlS1L_E_NS1_11comp_targetILNS1_3genE4ELNS1_11target_archE910ELNS1_3gpuE8ELNS1_3repE0EEENS1_30default_config_static_selectorELNS0_4arch9wavefront6targetE0EEEvSZ_
	.p2align	8
	.type	_ZN7rocprim17ROCPRIM_400000_NS6detail17trampoline_kernelINS0_13select_configILj256ELj13ELNS0_17block_load_methodE3ELS4_3ELS4_3ELNS0_20block_scan_algorithmE0ELj4294967295EEENS1_25partition_config_selectorILNS1_17partition_subalgoE3EjNS0_10empty_typeEbEEZZNS1_14partition_implILS8_3ELb0ES6_jNS0_17counting_iteratorIjlEEPS9_SE_NS0_5tupleIJPjSE_EEENSF_IJSE_SE_EEES9_SG_JZNS1_25segmented_radix_sort_implINS0_14default_configELb0EPK12hip_bfloat16PSL_PKlPlN2at6native12_GLOBAL__N_18offset_tEEE10hipError_tPvRmT1_PNSt15iterator_traitsISZ_E10value_typeET2_T3_PNS10_IS15_E10value_typeET4_jRbjT5_S1B_jjP12ihipStream_tbEUljE_EEESW_SX_SY_S15_S19_S1B_T6_T7_T9_mT8_S1D_bDpT10_ENKUlT_T0_E_clISt17integral_constantIbLb0EES1Q_EEDaS1L_S1M_EUlS1L_E_NS1_11comp_targetILNS1_3genE4ELNS1_11target_archE910ELNS1_3gpuE8ELNS1_3repE0EEENS1_30default_config_static_selectorELNS0_4arch9wavefront6targetE0EEEvSZ_,@function
_ZN7rocprim17ROCPRIM_400000_NS6detail17trampoline_kernelINS0_13select_configILj256ELj13ELNS0_17block_load_methodE3ELS4_3ELS4_3ELNS0_20block_scan_algorithmE0ELj4294967295EEENS1_25partition_config_selectorILNS1_17partition_subalgoE3EjNS0_10empty_typeEbEEZZNS1_14partition_implILS8_3ELb0ES6_jNS0_17counting_iteratorIjlEEPS9_SE_NS0_5tupleIJPjSE_EEENSF_IJSE_SE_EEES9_SG_JZNS1_25segmented_radix_sort_implINS0_14default_configELb0EPK12hip_bfloat16PSL_PKlPlN2at6native12_GLOBAL__N_18offset_tEEE10hipError_tPvRmT1_PNSt15iterator_traitsISZ_E10value_typeET2_T3_PNS10_IS15_E10value_typeET4_jRbjT5_S1B_jjP12ihipStream_tbEUljE_EEESW_SX_SY_S15_S19_S1B_T6_T7_T9_mT8_S1D_bDpT10_ENKUlT_T0_E_clISt17integral_constantIbLb0EES1Q_EEDaS1L_S1M_EUlS1L_E_NS1_11comp_targetILNS1_3genE4ELNS1_11target_archE910ELNS1_3gpuE8ELNS1_3repE0EEENS1_30default_config_static_selectorELNS0_4arch9wavefront6targetE0EEEvSZ_: ; @_ZN7rocprim17ROCPRIM_400000_NS6detail17trampoline_kernelINS0_13select_configILj256ELj13ELNS0_17block_load_methodE3ELS4_3ELS4_3ELNS0_20block_scan_algorithmE0ELj4294967295EEENS1_25partition_config_selectorILNS1_17partition_subalgoE3EjNS0_10empty_typeEbEEZZNS1_14partition_implILS8_3ELb0ES6_jNS0_17counting_iteratorIjlEEPS9_SE_NS0_5tupleIJPjSE_EEENSF_IJSE_SE_EEES9_SG_JZNS1_25segmented_radix_sort_implINS0_14default_configELb0EPK12hip_bfloat16PSL_PKlPlN2at6native12_GLOBAL__N_18offset_tEEE10hipError_tPvRmT1_PNSt15iterator_traitsISZ_E10value_typeET2_T3_PNS10_IS15_E10value_typeET4_jRbjT5_S1B_jjP12ihipStream_tbEUljE_EEESW_SX_SY_S15_S19_S1B_T6_T7_T9_mT8_S1D_bDpT10_ENKUlT_T0_E_clISt17integral_constantIbLb0EES1Q_EEDaS1L_S1M_EUlS1L_E_NS1_11comp_targetILNS1_3genE4ELNS1_11target_archE910ELNS1_3gpuE8ELNS1_3repE0EEENS1_30default_config_static_selectorELNS0_4arch9wavefront6targetE0EEEvSZ_
; %bb.0:
	.section	.rodata,"a",@progbits
	.p2align	6, 0x0
	.amdhsa_kernel _ZN7rocprim17ROCPRIM_400000_NS6detail17trampoline_kernelINS0_13select_configILj256ELj13ELNS0_17block_load_methodE3ELS4_3ELS4_3ELNS0_20block_scan_algorithmE0ELj4294967295EEENS1_25partition_config_selectorILNS1_17partition_subalgoE3EjNS0_10empty_typeEbEEZZNS1_14partition_implILS8_3ELb0ES6_jNS0_17counting_iteratorIjlEEPS9_SE_NS0_5tupleIJPjSE_EEENSF_IJSE_SE_EEES9_SG_JZNS1_25segmented_radix_sort_implINS0_14default_configELb0EPK12hip_bfloat16PSL_PKlPlN2at6native12_GLOBAL__N_18offset_tEEE10hipError_tPvRmT1_PNSt15iterator_traitsISZ_E10value_typeET2_T3_PNS10_IS15_E10value_typeET4_jRbjT5_S1B_jjP12ihipStream_tbEUljE_EEESW_SX_SY_S15_S19_S1B_T6_T7_T9_mT8_S1D_bDpT10_ENKUlT_T0_E_clISt17integral_constantIbLb0EES1Q_EEDaS1L_S1M_EUlS1L_E_NS1_11comp_targetILNS1_3genE4ELNS1_11target_archE910ELNS1_3gpuE8ELNS1_3repE0EEENS1_30default_config_static_selectorELNS0_4arch9wavefront6targetE0EEEvSZ_
		.amdhsa_group_segment_fixed_size 0
		.amdhsa_private_segment_fixed_size 0
		.amdhsa_kernarg_size 144
		.amdhsa_user_sgpr_count 2
		.amdhsa_user_sgpr_dispatch_ptr 0
		.amdhsa_user_sgpr_queue_ptr 0
		.amdhsa_user_sgpr_kernarg_segment_ptr 1
		.amdhsa_user_sgpr_dispatch_id 0
		.amdhsa_user_sgpr_kernarg_preload_length 0
		.amdhsa_user_sgpr_kernarg_preload_offset 0
		.amdhsa_user_sgpr_private_segment_size 0
		.amdhsa_wavefront_size32 1
		.amdhsa_uses_dynamic_stack 0
		.amdhsa_enable_private_segment 0
		.amdhsa_system_sgpr_workgroup_id_x 1
		.amdhsa_system_sgpr_workgroup_id_y 0
		.amdhsa_system_sgpr_workgroup_id_z 0
		.amdhsa_system_sgpr_workgroup_info 0
		.amdhsa_system_vgpr_workitem_id 0
		.amdhsa_next_free_vgpr 1
		.amdhsa_next_free_sgpr 1
		.amdhsa_named_barrier_count 0
		.amdhsa_reserve_vcc 0
		.amdhsa_float_round_mode_32 0
		.amdhsa_float_round_mode_16_64 0
		.amdhsa_float_denorm_mode_32 3
		.amdhsa_float_denorm_mode_16_64 3
		.amdhsa_fp16_overflow 0
		.amdhsa_memory_ordered 1
		.amdhsa_forward_progress 1
		.amdhsa_inst_pref_size 0
		.amdhsa_round_robin_scheduling 0
		.amdhsa_exception_fp_ieee_invalid_op 0
		.amdhsa_exception_fp_denorm_src 0
		.amdhsa_exception_fp_ieee_div_zero 0
		.amdhsa_exception_fp_ieee_overflow 0
		.amdhsa_exception_fp_ieee_underflow 0
		.amdhsa_exception_fp_ieee_inexact 0
		.amdhsa_exception_int_div_zero 0
	.end_amdhsa_kernel
	.section	.text._ZN7rocprim17ROCPRIM_400000_NS6detail17trampoline_kernelINS0_13select_configILj256ELj13ELNS0_17block_load_methodE3ELS4_3ELS4_3ELNS0_20block_scan_algorithmE0ELj4294967295EEENS1_25partition_config_selectorILNS1_17partition_subalgoE3EjNS0_10empty_typeEbEEZZNS1_14partition_implILS8_3ELb0ES6_jNS0_17counting_iteratorIjlEEPS9_SE_NS0_5tupleIJPjSE_EEENSF_IJSE_SE_EEES9_SG_JZNS1_25segmented_radix_sort_implINS0_14default_configELb0EPK12hip_bfloat16PSL_PKlPlN2at6native12_GLOBAL__N_18offset_tEEE10hipError_tPvRmT1_PNSt15iterator_traitsISZ_E10value_typeET2_T3_PNS10_IS15_E10value_typeET4_jRbjT5_S1B_jjP12ihipStream_tbEUljE_EEESW_SX_SY_S15_S19_S1B_T6_T7_T9_mT8_S1D_bDpT10_ENKUlT_T0_E_clISt17integral_constantIbLb0EES1Q_EEDaS1L_S1M_EUlS1L_E_NS1_11comp_targetILNS1_3genE4ELNS1_11target_archE910ELNS1_3gpuE8ELNS1_3repE0EEENS1_30default_config_static_selectorELNS0_4arch9wavefront6targetE0EEEvSZ_,"axG",@progbits,_ZN7rocprim17ROCPRIM_400000_NS6detail17trampoline_kernelINS0_13select_configILj256ELj13ELNS0_17block_load_methodE3ELS4_3ELS4_3ELNS0_20block_scan_algorithmE0ELj4294967295EEENS1_25partition_config_selectorILNS1_17partition_subalgoE3EjNS0_10empty_typeEbEEZZNS1_14partition_implILS8_3ELb0ES6_jNS0_17counting_iteratorIjlEEPS9_SE_NS0_5tupleIJPjSE_EEENSF_IJSE_SE_EEES9_SG_JZNS1_25segmented_radix_sort_implINS0_14default_configELb0EPK12hip_bfloat16PSL_PKlPlN2at6native12_GLOBAL__N_18offset_tEEE10hipError_tPvRmT1_PNSt15iterator_traitsISZ_E10value_typeET2_T3_PNS10_IS15_E10value_typeET4_jRbjT5_S1B_jjP12ihipStream_tbEUljE_EEESW_SX_SY_S15_S19_S1B_T6_T7_T9_mT8_S1D_bDpT10_ENKUlT_T0_E_clISt17integral_constantIbLb0EES1Q_EEDaS1L_S1M_EUlS1L_E_NS1_11comp_targetILNS1_3genE4ELNS1_11target_archE910ELNS1_3gpuE8ELNS1_3repE0EEENS1_30default_config_static_selectorELNS0_4arch9wavefront6targetE0EEEvSZ_,comdat
.Lfunc_end2009:
	.size	_ZN7rocprim17ROCPRIM_400000_NS6detail17trampoline_kernelINS0_13select_configILj256ELj13ELNS0_17block_load_methodE3ELS4_3ELS4_3ELNS0_20block_scan_algorithmE0ELj4294967295EEENS1_25partition_config_selectorILNS1_17partition_subalgoE3EjNS0_10empty_typeEbEEZZNS1_14partition_implILS8_3ELb0ES6_jNS0_17counting_iteratorIjlEEPS9_SE_NS0_5tupleIJPjSE_EEENSF_IJSE_SE_EEES9_SG_JZNS1_25segmented_radix_sort_implINS0_14default_configELb0EPK12hip_bfloat16PSL_PKlPlN2at6native12_GLOBAL__N_18offset_tEEE10hipError_tPvRmT1_PNSt15iterator_traitsISZ_E10value_typeET2_T3_PNS10_IS15_E10value_typeET4_jRbjT5_S1B_jjP12ihipStream_tbEUljE_EEESW_SX_SY_S15_S19_S1B_T6_T7_T9_mT8_S1D_bDpT10_ENKUlT_T0_E_clISt17integral_constantIbLb0EES1Q_EEDaS1L_S1M_EUlS1L_E_NS1_11comp_targetILNS1_3genE4ELNS1_11target_archE910ELNS1_3gpuE8ELNS1_3repE0EEENS1_30default_config_static_selectorELNS0_4arch9wavefront6targetE0EEEvSZ_, .Lfunc_end2009-_ZN7rocprim17ROCPRIM_400000_NS6detail17trampoline_kernelINS0_13select_configILj256ELj13ELNS0_17block_load_methodE3ELS4_3ELS4_3ELNS0_20block_scan_algorithmE0ELj4294967295EEENS1_25partition_config_selectorILNS1_17partition_subalgoE3EjNS0_10empty_typeEbEEZZNS1_14partition_implILS8_3ELb0ES6_jNS0_17counting_iteratorIjlEEPS9_SE_NS0_5tupleIJPjSE_EEENSF_IJSE_SE_EEES9_SG_JZNS1_25segmented_radix_sort_implINS0_14default_configELb0EPK12hip_bfloat16PSL_PKlPlN2at6native12_GLOBAL__N_18offset_tEEE10hipError_tPvRmT1_PNSt15iterator_traitsISZ_E10value_typeET2_T3_PNS10_IS15_E10value_typeET4_jRbjT5_S1B_jjP12ihipStream_tbEUljE_EEESW_SX_SY_S15_S19_S1B_T6_T7_T9_mT8_S1D_bDpT10_ENKUlT_T0_E_clISt17integral_constantIbLb0EES1Q_EEDaS1L_S1M_EUlS1L_E_NS1_11comp_targetILNS1_3genE4ELNS1_11target_archE910ELNS1_3gpuE8ELNS1_3repE0EEENS1_30default_config_static_selectorELNS0_4arch9wavefront6targetE0EEEvSZ_
                                        ; -- End function
	.set _ZN7rocprim17ROCPRIM_400000_NS6detail17trampoline_kernelINS0_13select_configILj256ELj13ELNS0_17block_load_methodE3ELS4_3ELS4_3ELNS0_20block_scan_algorithmE0ELj4294967295EEENS1_25partition_config_selectorILNS1_17partition_subalgoE3EjNS0_10empty_typeEbEEZZNS1_14partition_implILS8_3ELb0ES6_jNS0_17counting_iteratorIjlEEPS9_SE_NS0_5tupleIJPjSE_EEENSF_IJSE_SE_EEES9_SG_JZNS1_25segmented_radix_sort_implINS0_14default_configELb0EPK12hip_bfloat16PSL_PKlPlN2at6native12_GLOBAL__N_18offset_tEEE10hipError_tPvRmT1_PNSt15iterator_traitsISZ_E10value_typeET2_T3_PNS10_IS15_E10value_typeET4_jRbjT5_S1B_jjP12ihipStream_tbEUljE_EEESW_SX_SY_S15_S19_S1B_T6_T7_T9_mT8_S1D_bDpT10_ENKUlT_T0_E_clISt17integral_constantIbLb0EES1Q_EEDaS1L_S1M_EUlS1L_E_NS1_11comp_targetILNS1_3genE4ELNS1_11target_archE910ELNS1_3gpuE8ELNS1_3repE0EEENS1_30default_config_static_selectorELNS0_4arch9wavefront6targetE0EEEvSZ_.num_vgpr, 0
	.set _ZN7rocprim17ROCPRIM_400000_NS6detail17trampoline_kernelINS0_13select_configILj256ELj13ELNS0_17block_load_methodE3ELS4_3ELS4_3ELNS0_20block_scan_algorithmE0ELj4294967295EEENS1_25partition_config_selectorILNS1_17partition_subalgoE3EjNS0_10empty_typeEbEEZZNS1_14partition_implILS8_3ELb0ES6_jNS0_17counting_iteratorIjlEEPS9_SE_NS0_5tupleIJPjSE_EEENSF_IJSE_SE_EEES9_SG_JZNS1_25segmented_radix_sort_implINS0_14default_configELb0EPK12hip_bfloat16PSL_PKlPlN2at6native12_GLOBAL__N_18offset_tEEE10hipError_tPvRmT1_PNSt15iterator_traitsISZ_E10value_typeET2_T3_PNS10_IS15_E10value_typeET4_jRbjT5_S1B_jjP12ihipStream_tbEUljE_EEESW_SX_SY_S15_S19_S1B_T6_T7_T9_mT8_S1D_bDpT10_ENKUlT_T0_E_clISt17integral_constantIbLb0EES1Q_EEDaS1L_S1M_EUlS1L_E_NS1_11comp_targetILNS1_3genE4ELNS1_11target_archE910ELNS1_3gpuE8ELNS1_3repE0EEENS1_30default_config_static_selectorELNS0_4arch9wavefront6targetE0EEEvSZ_.num_agpr, 0
	.set _ZN7rocprim17ROCPRIM_400000_NS6detail17trampoline_kernelINS0_13select_configILj256ELj13ELNS0_17block_load_methodE3ELS4_3ELS4_3ELNS0_20block_scan_algorithmE0ELj4294967295EEENS1_25partition_config_selectorILNS1_17partition_subalgoE3EjNS0_10empty_typeEbEEZZNS1_14partition_implILS8_3ELb0ES6_jNS0_17counting_iteratorIjlEEPS9_SE_NS0_5tupleIJPjSE_EEENSF_IJSE_SE_EEES9_SG_JZNS1_25segmented_radix_sort_implINS0_14default_configELb0EPK12hip_bfloat16PSL_PKlPlN2at6native12_GLOBAL__N_18offset_tEEE10hipError_tPvRmT1_PNSt15iterator_traitsISZ_E10value_typeET2_T3_PNS10_IS15_E10value_typeET4_jRbjT5_S1B_jjP12ihipStream_tbEUljE_EEESW_SX_SY_S15_S19_S1B_T6_T7_T9_mT8_S1D_bDpT10_ENKUlT_T0_E_clISt17integral_constantIbLb0EES1Q_EEDaS1L_S1M_EUlS1L_E_NS1_11comp_targetILNS1_3genE4ELNS1_11target_archE910ELNS1_3gpuE8ELNS1_3repE0EEENS1_30default_config_static_selectorELNS0_4arch9wavefront6targetE0EEEvSZ_.numbered_sgpr, 0
	.set _ZN7rocprim17ROCPRIM_400000_NS6detail17trampoline_kernelINS0_13select_configILj256ELj13ELNS0_17block_load_methodE3ELS4_3ELS4_3ELNS0_20block_scan_algorithmE0ELj4294967295EEENS1_25partition_config_selectorILNS1_17partition_subalgoE3EjNS0_10empty_typeEbEEZZNS1_14partition_implILS8_3ELb0ES6_jNS0_17counting_iteratorIjlEEPS9_SE_NS0_5tupleIJPjSE_EEENSF_IJSE_SE_EEES9_SG_JZNS1_25segmented_radix_sort_implINS0_14default_configELb0EPK12hip_bfloat16PSL_PKlPlN2at6native12_GLOBAL__N_18offset_tEEE10hipError_tPvRmT1_PNSt15iterator_traitsISZ_E10value_typeET2_T3_PNS10_IS15_E10value_typeET4_jRbjT5_S1B_jjP12ihipStream_tbEUljE_EEESW_SX_SY_S15_S19_S1B_T6_T7_T9_mT8_S1D_bDpT10_ENKUlT_T0_E_clISt17integral_constantIbLb0EES1Q_EEDaS1L_S1M_EUlS1L_E_NS1_11comp_targetILNS1_3genE4ELNS1_11target_archE910ELNS1_3gpuE8ELNS1_3repE0EEENS1_30default_config_static_selectorELNS0_4arch9wavefront6targetE0EEEvSZ_.num_named_barrier, 0
	.set _ZN7rocprim17ROCPRIM_400000_NS6detail17trampoline_kernelINS0_13select_configILj256ELj13ELNS0_17block_load_methodE3ELS4_3ELS4_3ELNS0_20block_scan_algorithmE0ELj4294967295EEENS1_25partition_config_selectorILNS1_17partition_subalgoE3EjNS0_10empty_typeEbEEZZNS1_14partition_implILS8_3ELb0ES6_jNS0_17counting_iteratorIjlEEPS9_SE_NS0_5tupleIJPjSE_EEENSF_IJSE_SE_EEES9_SG_JZNS1_25segmented_radix_sort_implINS0_14default_configELb0EPK12hip_bfloat16PSL_PKlPlN2at6native12_GLOBAL__N_18offset_tEEE10hipError_tPvRmT1_PNSt15iterator_traitsISZ_E10value_typeET2_T3_PNS10_IS15_E10value_typeET4_jRbjT5_S1B_jjP12ihipStream_tbEUljE_EEESW_SX_SY_S15_S19_S1B_T6_T7_T9_mT8_S1D_bDpT10_ENKUlT_T0_E_clISt17integral_constantIbLb0EES1Q_EEDaS1L_S1M_EUlS1L_E_NS1_11comp_targetILNS1_3genE4ELNS1_11target_archE910ELNS1_3gpuE8ELNS1_3repE0EEENS1_30default_config_static_selectorELNS0_4arch9wavefront6targetE0EEEvSZ_.private_seg_size, 0
	.set _ZN7rocprim17ROCPRIM_400000_NS6detail17trampoline_kernelINS0_13select_configILj256ELj13ELNS0_17block_load_methodE3ELS4_3ELS4_3ELNS0_20block_scan_algorithmE0ELj4294967295EEENS1_25partition_config_selectorILNS1_17partition_subalgoE3EjNS0_10empty_typeEbEEZZNS1_14partition_implILS8_3ELb0ES6_jNS0_17counting_iteratorIjlEEPS9_SE_NS0_5tupleIJPjSE_EEENSF_IJSE_SE_EEES9_SG_JZNS1_25segmented_radix_sort_implINS0_14default_configELb0EPK12hip_bfloat16PSL_PKlPlN2at6native12_GLOBAL__N_18offset_tEEE10hipError_tPvRmT1_PNSt15iterator_traitsISZ_E10value_typeET2_T3_PNS10_IS15_E10value_typeET4_jRbjT5_S1B_jjP12ihipStream_tbEUljE_EEESW_SX_SY_S15_S19_S1B_T6_T7_T9_mT8_S1D_bDpT10_ENKUlT_T0_E_clISt17integral_constantIbLb0EES1Q_EEDaS1L_S1M_EUlS1L_E_NS1_11comp_targetILNS1_3genE4ELNS1_11target_archE910ELNS1_3gpuE8ELNS1_3repE0EEENS1_30default_config_static_selectorELNS0_4arch9wavefront6targetE0EEEvSZ_.uses_vcc, 0
	.set _ZN7rocprim17ROCPRIM_400000_NS6detail17trampoline_kernelINS0_13select_configILj256ELj13ELNS0_17block_load_methodE3ELS4_3ELS4_3ELNS0_20block_scan_algorithmE0ELj4294967295EEENS1_25partition_config_selectorILNS1_17partition_subalgoE3EjNS0_10empty_typeEbEEZZNS1_14partition_implILS8_3ELb0ES6_jNS0_17counting_iteratorIjlEEPS9_SE_NS0_5tupleIJPjSE_EEENSF_IJSE_SE_EEES9_SG_JZNS1_25segmented_radix_sort_implINS0_14default_configELb0EPK12hip_bfloat16PSL_PKlPlN2at6native12_GLOBAL__N_18offset_tEEE10hipError_tPvRmT1_PNSt15iterator_traitsISZ_E10value_typeET2_T3_PNS10_IS15_E10value_typeET4_jRbjT5_S1B_jjP12ihipStream_tbEUljE_EEESW_SX_SY_S15_S19_S1B_T6_T7_T9_mT8_S1D_bDpT10_ENKUlT_T0_E_clISt17integral_constantIbLb0EES1Q_EEDaS1L_S1M_EUlS1L_E_NS1_11comp_targetILNS1_3genE4ELNS1_11target_archE910ELNS1_3gpuE8ELNS1_3repE0EEENS1_30default_config_static_selectorELNS0_4arch9wavefront6targetE0EEEvSZ_.uses_flat_scratch, 0
	.set _ZN7rocprim17ROCPRIM_400000_NS6detail17trampoline_kernelINS0_13select_configILj256ELj13ELNS0_17block_load_methodE3ELS4_3ELS4_3ELNS0_20block_scan_algorithmE0ELj4294967295EEENS1_25partition_config_selectorILNS1_17partition_subalgoE3EjNS0_10empty_typeEbEEZZNS1_14partition_implILS8_3ELb0ES6_jNS0_17counting_iteratorIjlEEPS9_SE_NS0_5tupleIJPjSE_EEENSF_IJSE_SE_EEES9_SG_JZNS1_25segmented_radix_sort_implINS0_14default_configELb0EPK12hip_bfloat16PSL_PKlPlN2at6native12_GLOBAL__N_18offset_tEEE10hipError_tPvRmT1_PNSt15iterator_traitsISZ_E10value_typeET2_T3_PNS10_IS15_E10value_typeET4_jRbjT5_S1B_jjP12ihipStream_tbEUljE_EEESW_SX_SY_S15_S19_S1B_T6_T7_T9_mT8_S1D_bDpT10_ENKUlT_T0_E_clISt17integral_constantIbLb0EES1Q_EEDaS1L_S1M_EUlS1L_E_NS1_11comp_targetILNS1_3genE4ELNS1_11target_archE910ELNS1_3gpuE8ELNS1_3repE0EEENS1_30default_config_static_selectorELNS0_4arch9wavefront6targetE0EEEvSZ_.has_dyn_sized_stack, 0
	.set _ZN7rocprim17ROCPRIM_400000_NS6detail17trampoline_kernelINS0_13select_configILj256ELj13ELNS0_17block_load_methodE3ELS4_3ELS4_3ELNS0_20block_scan_algorithmE0ELj4294967295EEENS1_25partition_config_selectorILNS1_17partition_subalgoE3EjNS0_10empty_typeEbEEZZNS1_14partition_implILS8_3ELb0ES6_jNS0_17counting_iteratorIjlEEPS9_SE_NS0_5tupleIJPjSE_EEENSF_IJSE_SE_EEES9_SG_JZNS1_25segmented_radix_sort_implINS0_14default_configELb0EPK12hip_bfloat16PSL_PKlPlN2at6native12_GLOBAL__N_18offset_tEEE10hipError_tPvRmT1_PNSt15iterator_traitsISZ_E10value_typeET2_T3_PNS10_IS15_E10value_typeET4_jRbjT5_S1B_jjP12ihipStream_tbEUljE_EEESW_SX_SY_S15_S19_S1B_T6_T7_T9_mT8_S1D_bDpT10_ENKUlT_T0_E_clISt17integral_constantIbLb0EES1Q_EEDaS1L_S1M_EUlS1L_E_NS1_11comp_targetILNS1_3genE4ELNS1_11target_archE910ELNS1_3gpuE8ELNS1_3repE0EEENS1_30default_config_static_selectorELNS0_4arch9wavefront6targetE0EEEvSZ_.has_recursion, 0
	.set _ZN7rocprim17ROCPRIM_400000_NS6detail17trampoline_kernelINS0_13select_configILj256ELj13ELNS0_17block_load_methodE3ELS4_3ELS4_3ELNS0_20block_scan_algorithmE0ELj4294967295EEENS1_25partition_config_selectorILNS1_17partition_subalgoE3EjNS0_10empty_typeEbEEZZNS1_14partition_implILS8_3ELb0ES6_jNS0_17counting_iteratorIjlEEPS9_SE_NS0_5tupleIJPjSE_EEENSF_IJSE_SE_EEES9_SG_JZNS1_25segmented_radix_sort_implINS0_14default_configELb0EPK12hip_bfloat16PSL_PKlPlN2at6native12_GLOBAL__N_18offset_tEEE10hipError_tPvRmT1_PNSt15iterator_traitsISZ_E10value_typeET2_T3_PNS10_IS15_E10value_typeET4_jRbjT5_S1B_jjP12ihipStream_tbEUljE_EEESW_SX_SY_S15_S19_S1B_T6_T7_T9_mT8_S1D_bDpT10_ENKUlT_T0_E_clISt17integral_constantIbLb0EES1Q_EEDaS1L_S1M_EUlS1L_E_NS1_11comp_targetILNS1_3genE4ELNS1_11target_archE910ELNS1_3gpuE8ELNS1_3repE0EEENS1_30default_config_static_selectorELNS0_4arch9wavefront6targetE0EEEvSZ_.has_indirect_call, 0
	.section	.AMDGPU.csdata,"",@progbits
; Kernel info:
; codeLenInByte = 0
; TotalNumSgprs: 0
; NumVgprs: 0
; ScratchSize: 0
; MemoryBound: 0
; FloatMode: 240
; IeeeMode: 1
; LDSByteSize: 0 bytes/workgroup (compile time only)
; SGPRBlocks: 0
; VGPRBlocks: 0
; NumSGPRsForWavesPerEU: 1
; NumVGPRsForWavesPerEU: 1
; NamedBarCnt: 0
; Occupancy: 16
; WaveLimiterHint : 0
; COMPUTE_PGM_RSRC2:SCRATCH_EN: 0
; COMPUTE_PGM_RSRC2:USER_SGPR: 2
; COMPUTE_PGM_RSRC2:TRAP_HANDLER: 0
; COMPUTE_PGM_RSRC2:TGID_X_EN: 1
; COMPUTE_PGM_RSRC2:TGID_Y_EN: 0
; COMPUTE_PGM_RSRC2:TGID_Z_EN: 0
; COMPUTE_PGM_RSRC2:TIDIG_COMP_CNT: 0
	.section	.text._ZN7rocprim17ROCPRIM_400000_NS6detail17trampoline_kernelINS0_13select_configILj256ELj13ELNS0_17block_load_methodE3ELS4_3ELS4_3ELNS0_20block_scan_algorithmE0ELj4294967295EEENS1_25partition_config_selectorILNS1_17partition_subalgoE3EjNS0_10empty_typeEbEEZZNS1_14partition_implILS8_3ELb0ES6_jNS0_17counting_iteratorIjlEEPS9_SE_NS0_5tupleIJPjSE_EEENSF_IJSE_SE_EEES9_SG_JZNS1_25segmented_radix_sort_implINS0_14default_configELb0EPK12hip_bfloat16PSL_PKlPlN2at6native12_GLOBAL__N_18offset_tEEE10hipError_tPvRmT1_PNSt15iterator_traitsISZ_E10value_typeET2_T3_PNS10_IS15_E10value_typeET4_jRbjT5_S1B_jjP12ihipStream_tbEUljE_EEESW_SX_SY_S15_S19_S1B_T6_T7_T9_mT8_S1D_bDpT10_ENKUlT_T0_E_clISt17integral_constantIbLb0EES1Q_EEDaS1L_S1M_EUlS1L_E_NS1_11comp_targetILNS1_3genE3ELNS1_11target_archE908ELNS1_3gpuE7ELNS1_3repE0EEENS1_30default_config_static_selectorELNS0_4arch9wavefront6targetE0EEEvSZ_,"axG",@progbits,_ZN7rocprim17ROCPRIM_400000_NS6detail17trampoline_kernelINS0_13select_configILj256ELj13ELNS0_17block_load_methodE3ELS4_3ELS4_3ELNS0_20block_scan_algorithmE0ELj4294967295EEENS1_25partition_config_selectorILNS1_17partition_subalgoE3EjNS0_10empty_typeEbEEZZNS1_14partition_implILS8_3ELb0ES6_jNS0_17counting_iteratorIjlEEPS9_SE_NS0_5tupleIJPjSE_EEENSF_IJSE_SE_EEES9_SG_JZNS1_25segmented_radix_sort_implINS0_14default_configELb0EPK12hip_bfloat16PSL_PKlPlN2at6native12_GLOBAL__N_18offset_tEEE10hipError_tPvRmT1_PNSt15iterator_traitsISZ_E10value_typeET2_T3_PNS10_IS15_E10value_typeET4_jRbjT5_S1B_jjP12ihipStream_tbEUljE_EEESW_SX_SY_S15_S19_S1B_T6_T7_T9_mT8_S1D_bDpT10_ENKUlT_T0_E_clISt17integral_constantIbLb0EES1Q_EEDaS1L_S1M_EUlS1L_E_NS1_11comp_targetILNS1_3genE3ELNS1_11target_archE908ELNS1_3gpuE7ELNS1_3repE0EEENS1_30default_config_static_selectorELNS0_4arch9wavefront6targetE0EEEvSZ_,comdat
	.globl	_ZN7rocprim17ROCPRIM_400000_NS6detail17trampoline_kernelINS0_13select_configILj256ELj13ELNS0_17block_load_methodE3ELS4_3ELS4_3ELNS0_20block_scan_algorithmE0ELj4294967295EEENS1_25partition_config_selectorILNS1_17partition_subalgoE3EjNS0_10empty_typeEbEEZZNS1_14partition_implILS8_3ELb0ES6_jNS0_17counting_iteratorIjlEEPS9_SE_NS0_5tupleIJPjSE_EEENSF_IJSE_SE_EEES9_SG_JZNS1_25segmented_radix_sort_implINS0_14default_configELb0EPK12hip_bfloat16PSL_PKlPlN2at6native12_GLOBAL__N_18offset_tEEE10hipError_tPvRmT1_PNSt15iterator_traitsISZ_E10value_typeET2_T3_PNS10_IS15_E10value_typeET4_jRbjT5_S1B_jjP12ihipStream_tbEUljE_EEESW_SX_SY_S15_S19_S1B_T6_T7_T9_mT8_S1D_bDpT10_ENKUlT_T0_E_clISt17integral_constantIbLb0EES1Q_EEDaS1L_S1M_EUlS1L_E_NS1_11comp_targetILNS1_3genE3ELNS1_11target_archE908ELNS1_3gpuE7ELNS1_3repE0EEENS1_30default_config_static_selectorELNS0_4arch9wavefront6targetE0EEEvSZ_ ; -- Begin function _ZN7rocprim17ROCPRIM_400000_NS6detail17trampoline_kernelINS0_13select_configILj256ELj13ELNS0_17block_load_methodE3ELS4_3ELS4_3ELNS0_20block_scan_algorithmE0ELj4294967295EEENS1_25partition_config_selectorILNS1_17partition_subalgoE3EjNS0_10empty_typeEbEEZZNS1_14partition_implILS8_3ELb0ES6_jNS0_17counting_iteratorIjlEEPS9_SE_NS0_5tupleIJPjSE_EEENSF_IJSE_SE_EEES9_SG_JZNS1_25segmented_radix_sort_implINS0_14default_configELb0EPK12hip_bfloat16PSL_PKlPlN2at6native12_GLOBAL__N_18offset_tEEE10hipError_tPvRmT1_PNSt15iterator_traitsISZ_E10value_typeET2_T3_PNS10_IS15_E10value_typeET4_jRbjT5_S1B_jjP12ihipStream_tbEUljE_EEESW_SX_SY_S15_S19_S1B_T6_T7_T9_mT8_S1D_bDpT10_ENKUlT_T0_E_clISt17integral_constantIbLb0EES1Q_EEDaS1L_S1M_EUlS1L_E_NS1_11comp_targetILNS1_3genE3ELNS1_11target_archE908ELNS1_3gpuE7ELNS1_3repE0EEENS1_30default_config_static_selectorELNS0_4arch9wavefront6targetE0EEEvSZ_
	.p2align	8
	.type	_ZN7rocprim17ROCPRIM_400000_NS6detail17trampoline_kernelINS0_13select_configILj256ELj13ELNS0_17block_load_methodE3ELS4_3ELS4_3ELNS0_20block_scan_algorithmE0ELj4294967295EEENS1_25partition_config_selectorILNS1_17partition_subalgoE3EjNS0_10empty_typeEbEEZZNS1_14partition_implILS8_3ELb0ES6_jNS0_17counting_iteratorIjlEEPS9_SE_NS0_5tupleIJPjSE_EEENSF_IJSE_SE_EEES9_SG_JZNS1_25segmented_radix_sort_implINS0_14default_configELb0EPK12hip_bfloat16PSL_PKlPlN2at6native12_GLOBAL__N_18offset_tEEE10hipError_tPvRmT1_PNSt15iterator_traitsISZ_E10value_typeET2_T3_PNS10_IS15_E10value_typeET4_jRbjT5_S1B_jjP12ihipStream_tbEUljE_EEESW_SX_SY_S15_S19_S1B_T6_T7_T9_mT8_S1D_bDpT10_ENKUlT_T0_E_clISt17integral_constantIbLb0EES1Q_EEDaS1L_S1M_EUlS1L_E_NS1_11comp_targetILNS1_3genE3ELNS1_11target_archE908ELNS1_3gpuE7ELNS1_3repE0EEENS1_30default_config_static_selectorELNS0_4arch9wavefront6targetE0EEEvSZ_,@function
_ZN7rocprim17ROCPRIM_400000_NS6detail17trampoline_kernelINS0_13select_configILj256ELj13ELNS0_17block_load_methodE3ELS4_3ELS4_3ELNS0_20block_scan_algorithmE0ELj4294967295EEENS1_25partition_config_selectorILNS1_17partition_subalgoE3EjNS0_10empty_typeEbEEZZNS1_14partition_implILS8_3ELb0ES6_jNS0_17counting_iteratorIjlEEPS9_SE_NS0_5tupleIJPjSE_EEENSF_IJSE_SE_EEES9_SG_JZNS1_25segmented_radix_sort_implINS0_14default_configELb0EPK12hip_bfloat16PSL_PKlPlN2at6native12_GLOBAL__N_18offset_tEEE10hipError_tPvRmT1_PNSt15iterator_traitsISZ_E10value_typeET2_T3_PNS10_IS15_E10value_typeET4_jRbjT5_S1B_jjP12ihipStream_tbEUljE_EEESW_SX_SY_S15_S19_S1B_T6_T7_T9_mT8_S1D_bDpT10_ENKUlT_T0_E_clISt17integral_constantIbLb0EES1Q_EEDaS1L_S1M_EUlS1L_E_NS1_11comp_targetILNS1_3genE3ELNS1_11target_archE908ELNS1_3gpuE7ELNS1_3repE0EEENS1_30default_config_static_selectorELNS0_4arch9wavefront6targetE0EEEvSZ_: ; @_ZN7rocprim17ROCPRIM_400000_NS6detail17trampoline_kernelINS0_13select_configILj256ELj13ELNS0_17block_load_methodE3ELS4_3ELS4_3ELNS0_20block_scan_algorithmE0ELj4294967295EEENS1_25partition_config_selectorILNS1_17partition_subalgoE3EjNS0_10empty_typeEbEEZZNS1_14partition_implILS8_3ELb0ES6_jNS0_17counting_iteratorIjlEEPS9_SE_NS0_5tupleIJPjSE_EEENSF_IJSE_SE_EEES9_SG_JZNS1_25segmented_radix_sort_implINS0_14default_configELb0EPK12hip_bfloat16PSL_PKlPlN2at6native12_GLOBAL__N_18offset_tEEE10hipError_tPvRmT1_PNSt15iterator_traitsISZ_E10value_typeET2_T3_PNS10_IS15_E10value_typeET4_jRbjT5_S1B_jjP12ihipStream_tbEUljE_EEESW_SX_SY_S15_S19_S1B_T6_T7_T9_mT8_S1D_bDpT10_ENKUlT_T0_E_clISt17integral_constantIbLb0EES1Q_EEDaS1L_S1M_EUlS1L_E_NS1_11comp_targetILNS1_3genE3ELNS1_11target_archE908ELNS1_3gpuE7ELNS1_3repE0EEENS1_30default_config_static_selectorELNS0_4arch9wavefront6targetE0EEEvSZ_
; %bb.0:
	.section	.rodata,"a",@progbits
	.p2align	6, 0x0
	.amdhsa_kernel _ZN7rocprim17ROCPRIM_400000_NS6detail17trampoline_kernelINS0_13select_configILj256ELj13ELNS0_17block_load_methodE3ELS4_3ELS4_3ELNS0_20block_scan_algorithmE0ELj4294967295EEENS1_25partition_config_selectorILNS1_17partition_subalgoE3EjNS0_10empty_typeEbEEZZNS1_14partition_implILS8_3ELb0ES6_jNS0_17counting_iteratorIjlEEPS9_SE_NS0_5tupleIJPjSE_EEENSF_IJSE_SE_EEES9_SG_JZNS1_25segmented_radix_sort_implINS0_14default_configELb0EPK12hip_bfloat16PSL_PKlPlN2at6native12_GLOBAL__N_18offset_tEEE10hipError_tPvRmT1_PNSt15iterator_traitsISZ_E10value_typeET2_T3_PNS10_IS15_E10value_typeET4_jRbjT5_S1B_jjP12ihipStream_tbEUljE_EEESW_SX_SY_S15_S19_S1B_T6_T7_T9_mT8_S1D_bDpT10_ENKUlT_T0_E_clISt17integral_constantIbLb0EES1Q_EEDaS1L_S1M_EUlS1L_E_NS1_11comp_targetILNS1_3genE3ELNS1_11target_archE908ELNS1_3gpuE7ELNS1_3repE0EEENS1_30default_config_static_selectorELNS0_4arch9wavefront6targetE0EEEvSZ_
		.amdhsa_group_segment_fixed_size 0
		.amdhsa_private_segment_fixed_size 0
		.amdhsa_kernarg_size 144
		.amdhsa_user_sgpr_count 2
		.amdhsa_user_sgpr_dispatch_ptr 0
		.amdhsa_user_sgpr_queue_ptr 0
		.amdhsa_user_sgpr_kernarg_segment_ptr 1
		.amdhsa_user_sgpr_dispatch_id 0
		.amdhsa_user_sgpr_kernarg_preload_length 0
		.amdhsa_user_sgpr_kernarg_preload_offset 0
		.amdhsa_user_sgpr_private_segment_size 0
		.amdhsa_wavefront_size32 1
		.amdhsa_uses_dynamic_stack 0
		.amdhsa_enable_private_segment 0
		.amdhsa_system_sgpr_workgroup_id_x 1
		.amdhsa_system_sgpr_workgroup_id_y 0
		.amdhsa_system_sgpr_workgroup_id_z 0
		.amdhsa_system_sgpr_workgroup_info 0
		.amdhsa_system_vgpr_workitem_id 0
		.amdhsa_next_free_vgpr 1
		.amdhsa_next_free_sgpr 1
		.amdhsa_named_barrier_count 0
		.amdhsa_reserve_vcc 0
		.amdhsa_float_round_mode_32 0
		.amdhsa_float_round_mode_16_64 0
		.amdhsa_float_denorm_mode_32 3
		.amdhsa_float_denorm_mode_16_64 3
		.amdhsa_fp16_overflow 0
		.amdhsa_memory_ordered 1
		.amdhsa_forward_progress 1
		.amdhsa_inst_pref_size 0
		.amdhsa_round_robin_scheduling 0
		.amdhsa_exception_fp_ieee_invalid_op 0
		.amdhsa_exception_fp_denorm_src 0
		.amdhsa_exception_fp_ieee_div_zero 0
		.amdhsa_exception_fp_ieee_overflow 0
		.amdhsa_exception_fp_ieee_underflow 0
		.amdhsa_exception_fp_ieee_inexact 0
		.amdhsa_exception_int_div_zero 0
	.end_amdhsa_kernel
	.section	.text._ZN7rocprim17ROCPRIM_400000_NS6detail17trampoline_kernelINS0_13select_configILj256ELj13ELNS0_17block_load_methodE3ELS4_3ELS4_3ELNS0_20block_scan_algorithmE0ELj4294967295EEENS1_25partition_config_selectorILNS1_17partition_subalgoE3EjNS0_10empty_typeEbEEZZNS1_14partition_implILS8_3ELb0ES6_jNS0_17counting_iteratorIjlEEPS9_SE_NS0_5tupleIJPjSE_EEENSF_IJSE_SE_EEES9_SG_JZNS1_25segmented_radix_sort_implINS0_14default_configELb0EPK12hip_bfloat16PSL_PKlPlN2at6native12_GLOBAL__N_18offset_tEEE10hipError_tPvRmT1_PNSt15iterator_traitsISZ_E10value_typeET2_T3_PNS10_IS15_E10value_typeET4_jRbjT5_S1B_jjP12ihipStream_tbEUljE_EEESW_SX_SY_S15_S19_S1B_T6_T7_T9_mT8_S1D_bDpT10_ENKUlT_T0_E_clISt17integral_constantIbLb0EES1Q_EEDaS1L_S1M_EUlS1L_E_NS1_11comp_targetILNS1_3genE3ELNS1_11target_archE908ELNS1_3gpuE7ELNS1_3repE0EEENS1_30default_config_static_selectorELNS0_4arch9wavefront6targetE0EEEvSZ_,"axG",@progbits,_ZN7rocprim17ROCPRIM_400000_NS6detail17trampoline_kernelINS0_13select_configILj256ELj13ELNS0_17block_load_methodE3ELS4_3ELS4_3ELNS0_20block_scan_algorithmE0ELj4294967295EEENS1_25partition_config_selectorILNS1_17partition_subalgoE3EjNS0_10empty_typeEbEEZZNS1_14partition_implILS8_3ELb0ES6_jNS0_17counting_iteratorIjlEEPS9_SE_NS0_5tupleIJPjSE_EEENSF_IJSE_SE_EEES9_SG_JZNS1_25segmented_radix_sort_implINS0_14default_configELb0EPK12hip_bfloat16PSL_PKlPlN2at6native12_GLOBAL__N_18offset_tEEE10hipError_tPvRmT1_PNSt15iterator_traitsISZ_E10value_typeET2_T3_PNS10_IS15_E10value_typeET4_jRbjT5_S1B_jjP12ihipStream_tbEUljE_EEESW_SX_SY_S15_S19_S1B_T6_T7_T9_mT8_S1D_bDpT10_ENKUlT_T0_E_clISt17integral_constantIbLb0EES1Q_EEDaS1L_S1M_EUlS1L_E_NS1_11comp_targetILNS1_3genE3ELNS1_11target_archE908ELNS1_3gpuE7ELNS1_3repE0EEENS1_30default_config_static_selectorELNS0_4arch9wavefront6targetE0EEEvSZ_,comdat
.Lfunc_end2010:
	.size	_ZN7rocprim17ROCPRIM_400000_NS6detail17trampoline_kernelINS0_13select_configILj256ELj13ELNS0_17block_load_methodE3ELS4_3ELS4_3ELNS0_20block_scan_algorithmE0ELj4294967295EEENS1_25partition_config_selectorILNS1_17partition_subalgoE3EjNS0_10empty_typeEbEEZZNS1_14partition_implILS8_3ELb0ES6_jNS0_17counting_iteratorIjlEEPS9_SE_NS0_5tupleIJPjSE_EEENSF_IJSE_SE_EEES9_SG_JZNS1_25segmented_radix_sort_implINS0_14default_configELb0EPK12hip_bfloat16PSL_PKlPlN2at6native12_GLOBAL__N_18offset_tEEE10hipError_tPvRmT1_PNSt15iterator_traitsISZ_E10value_typeET2_T3_PNS10_IS15_E10value_typeET4_jRbjT5_S1B_jjP12ihipStream_tbEUljE_EEESW_SX_SY_S15_S19_S1B_T6_T7_T9_mT8_S1D_bDpT10_ENKUlT_T0_E_clISt17integral_constantIbLb0EES1Q_EEDaS1L_S1M_EUlS1L_E_NS1_11comp_targetILNS1_3genE3ELNS1_11target_archE908ELNS1_3gpuE7ELNS1_3repE0EEENS1_30default_config_static_selectorELNS0_4arch9wavefront6targetE0EEEvSZ_, .Lfunc_end2010-_ZN7rocprim17ROCPRIM_400000_NS6detail17trampoline_kernelINS0_13select_configILj256ELj13ELNS0_17block_load_methodE3ELS4_3ELS4_3ELNS0_20block_scan_algorithmE0ELj4294967295EEENS1_25partition_config_selectorILNS1_17partition_subalgoE3EjNS0_10empty_typeEbEEZZNS1_14partition_implILS8_3ELb0ES6_jNS0_17counting_iteratorIjlEEPS9_SE_NS0_5tupleIJPjSE_EEENSF_IJSE_SE_EEES9_SG_JZNS1_25segmented_radix_sort_implINS0_14default_configELb0EPK12hip_bfloat16PSL_PKlPlN2at6native12_GLOBAL__N_18offset_tEEE10hipError_tPvRmT1_PNSt15iterator_traitsISZ_E10value_typeET2_T3_PNS10_IS15_E10value_typeET4_jRbjT5_S1B_jjP12ihipStream_tbEUljE_EEESW_SX_SY_S15_S19_S1B_T6_T7_T9_mT8_S1D_bDpT10_ENKUlT_T0_E_clISt17integral_constantIbLb0EES1Q_EEDaS1L_S1M_EUlS1L_E_NS1_11comp_targetILNS1_3genE3ELNS1_11target_archE908ELNS1_3gpuE7ELNS1_3repE0EEENS1_30default_config_static_selectorELNS0_4arch9wavefront6targetE0EEEvSZ_
                                        ; -- End function
	.set _ZN7rocprim17ROCPRIM_400000_NS6detail17trampoline_kernelINS0_13select_configILj256ELj13ELNS0_17block_load_methodE3ELS4_3ELS4_3ELNS0_20block_scan_algorithmE0ELj4294967295EEENS1_25partition_config_selectorILNS1_17partition_subalgoE3EjNS0_10empty_typeEbEEZZNS1_14partition_implILS8_3ELb0ES6_jNS0_17counting_iteratorIjlEEPS9_SE_NS0_5tupleIJPjSE_EEENSF_IJSE_SE_EEES9_SG_JZNS1_25segmented_radix_sort_implINS0_14default_configELb0EPK12hip_bfloat16PSL_PKlPlN2at6native12_GLOBAL__N_18offset_tEEE10hipError_tPvRmT1_PNSt15iterator_traitsISZ_E10value_typeET2_T3_PNS10_IS15_E10value_typeET4_jRbjT5_S1B_jjP12ihipStream_tbEUljE_EEESW_SX_SY_S15_S19_S1B_T6_T7_T9_mT8_S1D_bDpT10_ENKUlT_T0_E_clISt17integral_constantIbLb0EES1Q_EEDaS1L_S1M_EUlS1L_E_NS1_11comp_targetILNS1_3genE3ELNS1_11target_archE908ELNS1_3gpuE7ELNS1_3repE0EEENS1_30default_config_static_selectorELNS0_4arch9wavefront6targetE0EEEvSZ_.num_vgpr, 0
	.set _ZN7rocprim17ROCPRIM_400000_NS6detail17trampoline_kernelINS0_13select_configILj256ELj13ELNS0_17block_load_methodE3ELS4_3ELS4_3ELNS0_20block_scan_algorithmE0ELj4294967295EEENS1_25partition_config_selectorILNS1_17partition_subalgoE3EjNS0_10empty_typeEbEEZZNS1_14partition_implILS8_3ELb0ES6_jNS0_17counting_iteratorIjlEEPS9_SE_NS0_5tupleIJPjSE_EEENSF_IJSE_SE_EEES9_SG_JZNS1_25segmented_radix_sort_implINS0_14default_configELb0EPK12hip_bfloat16PSL_PKlPlN2at6native12_GLOBAL__N_18offset_tEEE10hipError_tPvRmT1_PNSt15iterator_traitsISZ_E10value_typeET2_T3_PNS10_IS15_E10value_typeET4_jRbjT5_S1B_jjP12ihipStream_tbEUljE_EEESW_SX_SY_S15_S19_S1B_T6_T7_T9_mT8_S1D_bDpT10_ENKUlT_T0_E_clISt17integral_constantIbLb0EES1Q_EEDaS1L_S1M_EUlS1L_E_NS1_11comp_targetILNS1_3genE3ELNS1_11target_archE908ELNS1_3gpuE7ELNS1_3repE0EEENS1_30default_config_static_selectorELNS0_4arch9wavefront6targetE0EEEvSZ_.num_agpr, 0
	.set _ZN7rocprim17ROCPRIM_400000_NS6detail17trampoline_kernelINS0_13select_configILj256ELj13ELNS0_17block_load_methodE3ELS4_3ELS4_3ELNS0_20block_scan_algorithmE0ELj4294967295EEENS1_25partition_config_selectorILNS1_17partition_subalgoE3EjNS0_10empty_typeEbEEZZNS1_14partition_implILS8_3ELb0ES6_jNS0_17counting_iteratorIjlEEPS9_SE_NS0_5tupleIJPjSE_EEENSF_IJSE_SE_EEES9_SG_JZNS1_25segmented_radix_sort_implINS0_14default_configELb0EPK12hip_bfloat16PSL_PKlPlN2at6native12_GLOBAL__N_18offset_tEEE10hipError_tPvRmT1_PNSt15iterator_traitsISZ_E10value_typeET2_T3_PNS10_IS15_E10value_typeET4_jRbjT5_S1B_jjP12ihipStream_tbEUljE_EEESW_SX_SY_S15_S19_S1B_T6_T7_T9_mT8_S1D_bDpT10_ENKUlT_T0_E_clISt17integral_constantIbLb0EES1Q_EEDaS1L_S1M_EUlS1L_E_NS1_11comp_targetILNS1_3genE3ELNS1_11target_archE908ELNS1_3gpuE7ELNS1_3repE0EEENS1_30default_config_static_selectorELNS0_4arch9wavefront6targetE0EEEvSZ_.numbered_sgpr, 0
	.set _ZN7rocprim17ROCPRIM_400000_NS6detail17trampoline_kernelINS0_13select_configILj256ELj13ELNS0_17block_load_methodE3ELS4_3ELS4_3ELNS0_20block_scan_algorithmE0ELj4294967295EEENS1_25partition_config_selectorILNS1_17partition_subalgoE3EjNS0_10empty_typeEbEEZZNS1_14partition_implILS8_3ELb0ES6_jNS0_17counting_iteratorIjlEEPS9_SE_NS0_5tupleIJPjSE_EEENSF_IJSE_SE_EEES9_SG_JZNS1_25segmented_radix_sort_implINS0_14default_configELb0EPK12hip_bfloat16PSL_PKlPlN2at6native12_GLOBAL__N_18offset_tEEE10hipError_tPvRmT1_PNSt15iterator_traitsISZ_E10value_typeET2_T3_PNS10_IS15_E10value_typeET4_jRbjT5_S1B_jjP12ihipStream_tbEUljE_EEESW_SX_SY_S15_S19_S1B_T6_T7_T9_mT8_S1D_bDpT10_ENKUlT_T0_E_clISt17integral_constantIbLb0EES1Q_EEDaS1L_S1M_EUlS1L_E_NS1_11comp_targetILNS1_3genE3ELNS1_11target_archE908ELNS1_3gpuE7ELNS1_3repE0EEENS1_30default_config_static_selectorELNS0_4arch9wavefront6targetE0EEEvSZ_.num_named_barrier, 0
	.set _ZN7rocprim17ROCPRIM_400000_NS6detail17trampoline_kernelINS0_13select_configILj256ELj13ELNS0_17block_load_methodE3ELS4_3ELS4_3ELNS0_20block_scan_algorithmE0ELj4294967295EEENS1_25partition_config_selectorILNS1_17partition_subalgoE3EjNS0_10empty_typeEbEEZZNS1_14partition_implILS8_3ELb0ES6_jNS0_17counting_iteratorIjlEEPS9_SE_NS0_5tupleIJPjSE_EEENSF_IJSE_SE_EEES9_SG_JZNS1_25segmented_radix_sort_implINS0_14default_configELb0EPK12hip_bfloat16PSL_PKlPlN2at6native12_GLOBAL__N_18offset_tEEE10hipError_tPvRmT1_PNSt15iterator_traitsISZ_E10value_typeET2_T3_PNS10_IS15_E10value_typeET4_jRbjT5_S1B_jjP12ihipStream_tbEUljE_EEESW_SX_SY_S15_S19_S1B_T6_T7_T9_mT8_S1D_bDpT10_ENKUlT_T0_E_clISt17integral_constantIbLb0EES1Q_EEDaS1L_S1M_EUlS1L_E_NS1_11comp_targetILNS1_3genE3ELNS1_11target_archE908ELNS1_3gpuE7ELNS1_3repE0EEENS1_30default_config_static_selectorELNS0_4arch9wavefront6targetE0EEEvSZ_.private_seg_size, 0
	.set _ZN7rocprim17ROCPRIM_400000_NS6detail17trampoline_kernelINS0_13select_configILj256ELj13ELNS0_17block_load_methodE3ELS4_3ELS4_3ELNS0_20block_scan_algorithmE0ELj4294967295EEENS1_25partition_config_selectorILNS1_17partition_subalgoE3EjNS0_10empty_typeEbEEZZNS1_14partition_implILS8_3ELb0ES6_jNS0_17counting_iteratorIjlEEPS9_SE_NS0_5tupleIJPjSE_EEENSF_IJSE_SE_EEES9_SG_JZNS1_25segmented_radix_sort_implINS0_14default_configELb0EPK12hip_bfloat16PSL_PKlPlN2at6native12_GLOBAL__N_18offset_tEEE10hipError_tPvRmT1_PNSt15iterator_traitsISZ_E10value_typeET2_T3_PNS10_IS15_E10value_typeET4_jRbjT5_S1B_jjP12ihipStream_tbEUljE_EEESW_SX_SY_S15_S19_S1B_T6_T7_T9_mT8_S1D_bDpT10_ENKUlT_T0_E_clISt17integral_constantIbLb0EES1Q_EEDaS1L_S1M_EUlS1L_E_NS1_11comp_targetILNS1_3genE3ELNS1_11target_archE908ELNS1_3gpuE7ELNS1_3repE0EEENS1_30default_config_static_selectorELNS0_4arch9wavefront6targetE0EEEvSZ_.uses_vcc, 0
	.set _ZN7rocprim17ROCPRIM_400000_NS6detail17trampoline_kernelINS0_13select_configILj256ELj13ELNS0_17block_load_methodE3ELS4_3ELS4_3ELNS0_20block_scan_algorithmE0ELj4294967295EEENS1_25partition_config_selectorILNS1_17partition_subalgoE3EjNS0_10empty_typeEbEEZZNS1_14partition_implILS8_3ELb0ES6_jNS0_17counting_iteratorIjlEEPS9_SE_NS0_5tupleIJPjSE_EEENSF_IJSE_SE_EEES9_SG_JZNS1_25segmented_radix_sort_implINS0_14default_configELb0EPK12hip_bfloat16PSL_PKlPlN2at6native12_GLOBAL__N_18offset_tEEE10hipError_tPvRmT1_PNSt15iterator_traitsISZ_E10value_typeET2_T3_PNS10_IS15_E10value_typeET4_jRbjT5_S1B_jjP12ihipStream_tbEUljE_EEESW_SX_SY_S15_S19_S1B_T6_T7_T9_mT8_S1D_bDpT10_ENKUlT_T0_E_clISt17integral_constantIbLb0EES1Q_EEDaS1L_S1M_EUlS1L_E_NS1_11comp_targetILNS1_3genE3ELNS1_11target_archE908ELNS1_3gpuE7ELNS1_3repE0EEENS1_30default_config_static_selectorELNS0_4arch9wavefront6targetE0EEEvSZ_.uses_flat_scratch, 0
	.set _ZN7rocprim17ROCPRIM_400000_NS6detail17trampoline_kernelINS0_13select_configILj256ELj13ELNS0_17block_load_methodE3ELS4_3ELS4_3ELNS0_20block_scan_algorithmE0ELj4294967295EEENS1_25partition_config_selectorILNS1_17partition_subalgoE3EjNS0_10empty_typeEbEEZZNS1_14partition_implILS8_3ELb0ES6_jNS0_17counting_iteratorIjlEEPS9_SE_NS0_5tupleIJPjSE_EEENSF_IJSE_SE_EEES9_SG_JZNS1_25segmented_radix_sort_implINS0_14default_configELb0EPK12hip_bfloat16PSL_PKlPlN2at6native12_GLOBAL__N_18offset_tEEE10hipError_tPvRmT1_PNSt15iterator_traitsISZ_E10value_typeET2_T3_PNS10_IS15_E10value_typeET4_jRbjT5_S1B_jjP12ihipStream_tbEUljE_EEESW_SX_SY_S15_S19_S1B_T6_T7_T9_mT8_S1D_bDpT10_ENKUlT_T0_E_clISt17integral_constantIbLb0EES1Q_EEDaS1L_S1M_EUlS1L_E_NS1_11comp_targetILNS1_3genE3ELNS1_11target_archE908ELNS1_3gpuE7ELNS1_3repE0EEENS1_30default_config_static_selectorELNS0_4arch9wavefront6targetE0EEEvSZ_.has_dyn_sized_stack, 0
	.set _ZN7rocprim17ROCPRIM_400000_NS6detail17trampoline_kernelINS0_13select_configILj256ELj13ELNS0_17block_load_methodE3ELS4_3ELS4_3ELNS0_20block_scan_algorithmE0ELj4294967295EEENS1_25partition_config_selectorILNS1_17partition_subalgoE3EjNS0_10empty_typeEbEEZZNS1_14partition_implILS8_3ELb0ES6_jNS0_17counting_iteratorIjlEEPS9_SE_NS0_5tupleIJPjSE_EEENSF_IJSE_SE_EEES9_SG_JZNS1_25segmented_radix_sort_implINS0_14default_configELb0EPK12hip_bfloat16PSL_PKlPlN2at6native12_GLOBAL__N_18offset_tEEE10hipError_tPvRmT1_PNSt15iterator_traitsISZ_E10value_typeET2_T3_PNS10_IS15_E10value_typeET4_jRbjT5_S1B_jjP12ihipStream_tbEUljE_EEESW_SX_SY_S15_S19_S1B_T6_T7_T9_mT8_S1D_bDpT10_ENKUlT_T0_E_clISt17integral_constantIbLb0EES1Q_EEDaS1L_S1M_EUlS1L_E_NS1_11comp_targetILNS1_3genE3ELNS1_11target_archE908ELNS1_3gpuE7ELNS1_3repE0EEENS1_30default_config_static_selectorELNS0_4arch9wavefront6targetE0EEEvSZ_.has_recursion, 0
	.set _ZN7rocprim17ROCPRIM_400000_NS6detail17trampoline_kernelINS0_13select_configILj256ELj13ELNS0_17block_load_methodE3ELS4_3ELS4_3ELNS0_20block_scan_algorithmE0ELj4294967295EEENS1_25partition_config_selectorILNS1_17partition_subalgoE3EjNS0_10empty_typeEbEEZZNS1_14partition_implILS8_3ELb0ES6_jNS0_17counting_iteratorIjlEEPS9_SE_NS0_5tupleIJPjSE_EEENSF_IJSE_SE_EEES9_SG_JZNS1_25segmented_radix_sort_implINS0_14default_configELb0EPK12hip_bfloat16PSL_PKlPlN2at6native12_GLOBAL__N_18offset_tEEE10hipError_tPvRmT1_PNSt15iterator_traitsISZ_E10value_typeET2_T3_PNS10_IS15_E10value_typeET4_jRbjT5_S1B_jjP12ihipStream_tbEUljE_EEESW_SX_SY_S15_S19_S1B_T6_T7_T9_mT8_S1D_bDpT10_ENKUlT_T0_E_clISt17integral_constantIbLb0EES1Q_EEDaS1L_S1M_EUlS1L_E_NS1_11comp_targetILNS1_3genE3ELNS1_11target_archE908ELNS1_3gpuE7ELNS1_3repE0EEENS1_30default_config_static_selectorELNS0_4arch9wavefront6targetE0EEEvSZ_.has_indirect_call, 0
	.section	.AMDGPU.csdata,"",@progbits
; Kernel info:
; codeLenInByte = 0
; TotalNumSgprs: 0
; NumVgprs: 0
; ScratchSize: 0
; MemoryBound: 0
; FloatMode: 240
; IeeeMode: 1
; LDSByteSize: 0 bytes/workgroup (compile time only)
; SGPRBlocks: 0
; VGPRBlocks: 0
; NumSGPRsForWavesPerEU: 1
; NumVGPRsForWavesPerEU: 1
; NamedBarCnt: 0
; Occupancy: 16
; WaveLimiterHint : 0
; COMPUTE_PGM_RSRC2:SCRATCH_EN: 0
; COMPUTE_PGM_RSRC2:USER_SGPR: 2
; COMPUTE_PGM_RSRC2:TRAP_HANDLER: 0
; COMPUTE_PGM_RSRC2:TGID_X_EN: 1
; COMPUTE_PGM_RSRC2:TGID_Y_EN: 0
; COMPUTE_PGM_RSRC2:TGID_Z_EN: 0
; COMPUTE_PGM_RSRC2:TIDIG_COMP_CNT: 0
	.section	.text._ZN7rocprim17ROCPRIM_400000_NS6detail17trampoline_kernelINS0_13select_configILj256ELj13ELNS0_17block_load_methodE3ELS4_3ELS4_3ELNS0_20block_scan_algorithmE0ELj4294967295EEENS1_25partition_config_selectorILNS1_17partition_subalgoE3EjNS0_10empty_typeEbEEZZNS1_14partition_implILS8_3ELb0ES6_jNS0_17counting_iteratorIjlEEPS9_SE_NS0_5tupleIJPjSE_EEENSF_IJSE_SE_EEES9_SG_JZNS1_25segmented_radix_sort_implINS0_14default_configELb0EPK12hip_bfloat16PSL_PKlPlN2at6native12_GLOBAL__N_18offset_tEEE10hipError_tPvRmT1_PNSt15iterator_traitsISZ_E10value_typeET2_T3_PNS10_IS15_E10value_typeET4_jRbjT5_S1B_jjP12ihipStream_tbEUljE_EEESW_SX_SY_S15_S19_S1B_T6_T7_T9_mT8_S1D_bDpT10_ENKUlT_T0_E_clISt17integral_constantIbLb0EES1Q_EEDaS1L_S1M_EUlS1L_E_NS1_11comp_targetILNS1_3genE2ELNS1_11target_archE906ELNS1_3gpuE6ELNS1_3repE0EEENS1_30default_config_static_selectorELNS0_4arch9wavefront6targetE0EEEvSZ_,"axG",@progbits,_ZN7rocprim17ROCPRIM_400000_NS6detail17trampoline_kernelINS0_13select_configILj256ELj13ELNS0_17block_load_methodE3ELS4_3ELS4_3ELNS0_20block_scan_algorithmE0ELj4294967295EEENS1_25partition_config_selectorILNS1_17partition_subalgoE3EjNS0_10empty_typeEbEEZZNS1_14partition_implILS8_3ELb0ES6_jNS0_17counting_iteratorIjlEEPS9_SE_NS0_5tupleIJPjSE_EEENSF_IJSE_SE_EEES9_SG_JZNS1_25segmented_radix_sort_implINS0_14default_configELb0EPK12hip_bfloat16PSL_PKlPlN2at6native12_GLOBAL__N_18offset_tEEE10hipError_tPvRmT1_PNSt15iterator_traitsISZ_E10value_typeET2_T3_PNS10_IS15_E10value_typeET4_jRbjT5_S1B_jjP12ihipStream_tbEUljE_EEESW_SX_SY_S15_S19_S1B_T6_T7_T9_mT8_S1D_bDpT10_ENKUlT_T0_E_clISt17integral_constantIbLb0EES1Q_EEDaS1L_S1M_EUlS1L_E_NS1_11comp_targetILNS1_3genE2ELNS1_11target_archE906ELNS1_3gpuE6ELNS1_3repE0EEENS1_30default_config_static_selectorELNS0_4arch9wavefront6targetE0EEEvSZ_,comdat
	.globl	_ZN7rocprim17ROCPRIM_400000_NS6detail17trampoline_kernelINS0_13select_configILj256ELj13ELNS0_17block_load_methodE3ELS4_3ELS4_3ELNS0_20block_scan_algorithmE0ELj4294967295EEENS1_25partition_config_selectorILNS1_17partition_subalgoE3EjNS0_10empty_typeEbEEZZNS1_14partition_implILS8_3ELb0ES6_jNS0_17counting_iteratorIjlEEPS9_SE_NS0_5tupleIJPjSE_EEENSF_IJSE_SE_EEES9_SG_JZNS1_25segmented_radix_sort_implINS0_14default_configELb0EPK12hip_bfloat16PSL_PKlPlN2at6native12_GLOBAL__N_18offset_tEEE10hipError_tPvRmT1_PNSt15iterator_traitsISZ_E10value_typeET2_T3_PNS10_IS15_E10value_typeET4_jRbjT5_S1B_jjP12ihipStream_tbEUljE_EEESW_SX_SY_S15_S19_S1B_T6_T7_T9_mT8_S1D_bDpT10_ENKUlT_T0_E_clISt17integral_constantIbLb0EES1Q_EEDaS1L_S1M_EUlS1L_E_NS1_11comp_targetILNS1_3genE2ELNS1_11target_archE906ELNS1_3gpuE6ELNS1_3repE0EEENS1_30default_config_static_selectorELNS0_4arch9wavefront6targetE0EEEvSZ_ ; -- Begin function _ZN7rocprim17ROCPRIM_400000_NS6detail17trampoline_kernelINS0_13select_configILj256ELj13ELNS0_17block_load_methodE3ELS4_3ELS4_3ELNS0_20block_scan_algorithmE0ELj4294967295EEENS1_25partition_config_selectorILNS1_17partition_subalgoE3EjNS0_10empty_typeEbEEZZNS1_14partition_implILS8_3ELb0ES6_jNS0_17counting_iteratorIjlEEPS9_SE_NS0_5tupleIJPjSE_EEENSF_IJSE_SE_EEES9_SG_JZNS1_25segmented_radix_sort_implINS0_14default_configELb0EPK12hip_bfloat16PSL_PKlPlN2at6native12_GLOBAL__N_18offset_tEEE10hipError_tPvRmT1_PNSt15iterator_traitsISZ_E10value_typeET2_T3_PNS10_IS15_E10value_typeET4_jRbjT5_S1B_jjP12ihipStream_tbEUljE_EEESW_SX_SY_S15_S19_S1B_T6_T7_T9_mT8_S1D_bDpT10_ENKUlT_T0_E_clISt17integral_constantIbLb0EES1Q_EEDaS1L_S1M_EUlS1L_E_NS1_11comp_targetILNS1_3genE2ELNS1_11target_archE906ELNS1_3gpuE6ELNS1_3repE0EEENS1_30default_config_static_selectorELNS0_4arch9wavefront6targetE0EEEvSZ_
	.p2align	8
	.type	_ZN7rocprim17ROCPRIM_400000_NS6detail17trampoline_kernelINS0_13select_configILj256ELj13ELNS0_17block_load_methodE3ELS4_3ELS4_3ELNS0_20block_scan_algorithmE0ELj4294967295EEENS1_25partition_config_selectorILNS1_17partition_subalgoE3EjNS0_10empty_typeEbEEZZNS1_14partition_implILS8_3ELb0ES6_jNS0_17counting_iteratorIjlEEPS9_SE_NS0_5tupleIJPjSE_EEENSF_IJSE_SE_EEES9_SG_JZNS1_25segmented_radix_sort_implINS0_14default_configELb0EPK12hip_bfloat16PSL_PKlPlN2at6native12_GLOBAL__N_18offset_tEEE10hipError_tPvRmT1_PNSt15iterator_traitsISZ_E10value_typeET2_T3_PNS10_IS15_E10value_typeET4_jRbjT5_S1B_jjP12ihipStream_tbEUljE_EEESW_SX_SY_S15_S19_S1B_T6_T7_T9_mT8_S1D_bDpT10_ENKUlT_T0_E_clISt17integral_constantIbLb0EES1Q_EEDaS1L_S1M_EUlS1L_E_NS1_11comp_targetILNS1_3genE2ELNS1_11target_archE906ELNS1_3gpuE6ELNS1_3repE0EEENS1_30default_config_static_selectorELNS0_4arch9wavefront6targetE0EEEvSZ_,@function
_ZN7rocprim17ROCPRIM_400000_NS6detail17trampoline_kernelINS0_13select_configILj256ELj13ELNS0_17block_load_methodE3ELS4_3ELS4_3ELNS0_20block_scan_algorithmE0ELj4294967295EEENS1_25partition_config_selectorILNS1_17partition_subalgoE3EjNS0_10empty_typeEbEEZZNS1_14partition_implILS8_3ELb0ES6_jNS0_17counting_iteratorIjlEEPS9_SE_NS0_5tupleIJPjSE_EEENSF_IJSE_SE_EEES9_SG_JZNS1_25segmented_radix_sort_implINS0_14default_configELb0EPK12hip_bfloat16PSL_PKlPlN2at6native12_GLOBAL__N_18offset_tEEE10hipError_tPvRmT1_PNSt15iterator_traitsISZ_E10value_typeET2_T3_PNS10_IS15_E10value_typeET4_jRbjT5_S1B_jjP12ihipStream_tbEUljE_EEESW_SX_SY_S15_S19_S1B_T6_T7_T9_mT8_S1D_bDpT10_ENKUlT_T0_E_clISt17integral_constantIbLb0EES1Q_EEDaS1L_S1M_EUlS1L_E_NS1_11comp_targetILNS1_3genE2ELNS1_11target_archE906ELNS1_3gpuE6ELNS1_3repE0EEENS1_30default_config_static_selectorELNS0_4arch9wavefront6targetE0EEEvSZ_: ; @_ZN7rocprim17ROCPRIM_400000_NS6detail17trampoline_kernelINS0_13select_configILj256ELj13ELNS0_17block_load_methodE3ELS4_3ELS4_3ELNS0_20block_scan_algorithmE0ELj4294967295EEENS1_25partition_config_selectorILNS1_17partition_subalgoE3EjNS0_10empty_typeEbEEZZNS1_14partition_implILS8_3ELb0ES6_jNS0_17counting_iteratorIjlEEPS9_SE_NS0_5tupleIJPjSE_EEENSF_IJSE_SE_EEES9_SG_JZNS1_25segmented_radix_sort_implINS0_14default_configELb0EPK12hip_bfloat16PSL_PKlPlN2at6native12_GLOBAL__N_18offset_tEEE10hipError_tPvRmT1_PNSt15iterator_traitsISZ_E10value_typeET2_T3_PNS10_IS15_E10value_typeET4_jRbjT5_S1B_jjP12ihipStream_tbEUljE_EEESW_SX_SY_S15_S19_S1B_T6_T7_T9_mT8_S1D_bDpT10_ENKUlT_T0_E_clISt17integral_constantIbLb0EES1Q_EEDaS1L_S1M_EUlS1L_E_NS1_11comp_targetILNS1_3genE2ELNS1_11target_archE906ELNS1_3gpuE6ELNS1_3repE0EEENS1_30default_config_static_selectorELNS0_4arch9wavefront6targetE0EEEvSZ_
; %bb.0:
	.section	.rodata,"a",@progbits
	.p2align	6, 0x0
	.amdhsa_kernel _ZN7rocprim17ROCPRIM_400000_NS6detail17trampoline_kernelINS0_13select_configILj256ELj13ELNS0_17block_load_methodE3ELS4_3ELS4_3ELNS0_20block_scan_algorithmE0ELj4294967295EEENS1_25partition_config_selectorILNS1_17partition_subalgoE3EjNS0_10empty_typeEbEEZZNS1_14partition_implILS8_3ELb0ES6_jNS0_17counting_iteratorIjlEEPS9_SE_NS0_5tupleIJPjSE_EEENSF_IJSE_SE_EEES9_SG_JZNS1_25segmented_radix_sort_implINS0_14default_configELb0EPK12hip_bfloat16PSL_PKlPlN2at6native12_GLOBAL__N_18offset_tEEE10hipError_tPvRmT1_PNSt15iterator_traitsISZ_E10value_typeET2_T3_PNS10_IS15_E10value_typeET4_jRbjT5_S1B_jjP12ihipStream_tbEUljE_EEESW_SX_SY_S15_S19_S1B_T6_T7_T9_mT8_S1D_bDpT10_ENKUlT_T0_E_clISt17integral_constantIbLb0EES1Q_EEDaS1L_S1M_EUlS1L_E_NS1_11comp_targetILNS1_3genE2ELNS1_11target_archE906ELNS1_3gpuE6ELNS1_3repE0EEENS1_30default_config_static_selectorELNS0_4arch9wavefront6targetE0EEEvSZ_
		.amdhsa_group_segment_fixed_size 0
		.amdhsa_private_segment_fixed_size 0
		.amdhsa_kernarg_size 144
		.amdhsa_user_sgpr_count 2
		.amdhsa_user_sgpr_dispatch_ptr 0
		.amdhsa_user_sgpr_queue_ptr 0
		.amdhsa_user_sgpr_kernarg_segment_ptr 1
		.amdhsa_user_sgpr_dispatch_id 0
		.amdhsa_user_sgpr_kernarg_preload_length 0
		.amdhsa_user_sgpr_kernarg_preload_offset 0
		.amdhsa_user_sgpr_private_segment_size 0
		.amdhsa_wavefront_size32 1
		.amdhsa_uses_dynamic_stack 0
		.amdhsa_enable_private_segment 0
		.amdhsa_system_sgpr_workgroup_id_x 1
		.amdhsa_system_sgpr_workgroup_id_y 0
		.amdhsa_system_sgpr_workgroup_id_z 0
		.amdhsa_system_sgpr_workgroup_info 0
		.amdhsa_system_vgpr_workitem_id 0
		.amdhsa_next_free_vgpr 1
		.amdhsa_next_free_sgpr 1
		.amdhsa_named_barrier_count 0
		.amdhsa_reserve_vcc 0
		.amdhsa_float_round_mode_32 0
		.amdhsa_float_round_mode_16_64 0
		.amdhsa_float_denorm_mode_32 3
		.amdhsa_float_denorm_mode_16_64 3
		.amdhsa_fp16_overflow 0
		.amdhsa_memory_ordered 1
		.amdhsa_forward_progress 1
		.amdhsa_inst_pref_size 0
		.amdhsa_round_robin_scheduling 0
		.amdhsa_exception_fp_ieee_invalid_op 0
		.amdhsa_exception_fp_denorm_src 0
		.amdhsa_exception_fp_ieee_div_zero 0
		.amdhsa_exception_fp_ieee_overflow 0
		.amdhsa_exception_fp_ieee_underflow 0
		.amdhsa_exception_fp_ieee_inexact 0
		.amdhsa_exception_int_div_zero 0
	.end_amdhsa_kernel
	.section	.text._ZN7rocprim17ROCPRIM_400000_NS6detail17trampoline_kernelINS0_13select_configILj256ELj13ELNS0_17block_load_methodE3ELS4_3ELS4_3ELNS0_20block_scan_algorithmE0ELj4294967295EEENS1_25partition_config_selectorILNS1_17partition_subalgoE3EjNS0_10empty_typeEbEEZZNS1_14partition_implILS8_3ELb0ES6_jNS0_17counting_iteratorIjlEEPS9_SE_NS0_5tupleIJPjSE_EEENSF_IJSE_SE_EEES9_SG_JZNS1_25segmented_radix_sort_implINS0_14default_configELb0EPK12hip_bfloat16PSL_PKlPlN2at6native12_GLOBAL__N_18offset_tEEE10hipError_tPvRmT1_PNSt15iterator_traitsISZ_E10value_typeET2_T3_PNS10_IS15_E10value_typeET4_jRbjT5_S1B_jjP12ihipStream_tbEUljE_EEESW_SX_SY_S15_S19_S1B_T6_T7_T9_mT8_S1D_bDpT10_ENKUlT_T0_E_clISt17integral_constantIbLb0EES1Q_EEDaS1L_S1M_EUlS1L_E_NS1_11comp_targetILNS1_3genE2ELNS1_11target_archE906ELNS1_3gpuE6ELNS1_3repE0EEENS1_30default_config_static_selectorELNS0_4arch9wavefront6targetE0EEEvSZ_,"axG",@progbits,_ZN7rocprim17ROCPRIM_400000_NS6detail17trampoline_kernelINS0_13select_configILj256ELj13ELNS0_17block_load_methodE3ELS4_3ELS4_3ELNS0_20block_scan_algorithmE0ELj4294967295EEENS1_25partition_config_selectorILNS1_17partition_subalgoE3EjNS0_10empty_typeEbEEZZNS1_14partition_implILS8_3ELb0ES6_jNS0_17counting_iteratorIjlEEPS9_SE_NS0_5tupleIJPjSE_EEENSF_IJSE_SE_EEES9_SG_JZNS1_25segmented_radix_sort_implINS0_14default_configELb0EPK12hip_bfloat16PSL_PKlPlN2at6native12_GLOBAL__N_18offset_tEEE10hipError_tPvRmT1_PNSt15iterator_traitsISZ_E10value_typeET2_T3_PNS10_IS15_E10value_typeET4_jRbjT5_S1B_jjP12ihipStream_tbEUljE_EEESW_SX_SY_S15_S19_S1B_T6_T7_T9_mT8_S1D_bDpT10_ENKUlT_T0_E_clISt17integral_constantIbLb0EES1Q_EEDaS1L_S1M_EUlS1L_E_NS1_11comp_targetILNS1_3genE2ELNS1_11target_archE906ELNS1_3gpuE6ELNS1_3repE0EEENS1_30default_config_static_selectorELNS0_4arch9wavefront6targetE0EEEvSZ_,comdat
.Lfunc_end2011:
	.size	_ZN7rocprim17ROCPRIM_400000_NS6detail17trampoline_kernelINS0_13select_configILj256ELj13ELNS0_17block_load_methodE3ELS4_3ELS4_3ELNS0_20block_scan_algorithmE0ELj4294967295EEENS1_25partition_config_selectorILNS1_17partition_subalgoE3EjNS0_10empty_typeEbEEZZNS1_14partition_implILS8_3ELb0ES6_jNS0_17counting_iteratorIjlEEPS9_SE_NS0_5tupleIJPjSE_EEENSF_IJSE_SE_EEES9_SG_JZNS1_25segmented_radix_sort_implINS0_14default_configELb0EPK12hip_bfloat16PSL_PKlPlN2at6native12_GLOBAL__N_18offset_tEEE10hipError_tPvRmT1_PNSt15iterator_traitsISZ_E10value_typeET2_T3_PNS10_IS15_E10value_typeET4_jRbjT5_S1B_jjP12ihipStream_tbEUljE_EEESW_SX_SY_S15_S19_S1B_T6_T7_T9_mT8_S1D_bDpT10_ENKUlT_T0_E_clISt17integral_constantIbLb0EES1Q_EEDaS1L_S1M_EUlS1L_E_NS1_11comp_targetILNS1_3genE2ELNS1_11target_archE906ELNS1_3gpuE6ELNS1_3repE0EEENS1_30default_config_static_selectorELNS0_4arch9wavefront6targetE0EEEvSZ_, .Lfunc_end2011-_ZN7rocprim17ROCPRIM_400000_NS6detail17trampoline_kernelINS0_13select_configILj256ELj13ELNS0_17block_load_methodE3ELS4_3ELS4_3ELNS0_20block_scan_algorithmE0ELj4294967295EEENS1_25partition_config_selectorILNS1_17partition_subalgoE3EjNS0_10empty_typeEbEEZZNS1_14partition_implILS8_3ELb0ES6_jNS0_17counting_iteratorIjlEEPS9_SE_NS0_5tupleIJPjSE_EEENSF_IJSE_SE_EEES9_SG_JZNS1_25segmented_radix_sort_implINS0_14default_configELb0EPK12hip_bfloat16PSL_PKlPlN2at6native12_GLOBAL__N_18offset_tEEE10hipError_tPvRmT1_PNSt15iterator_traitsISZ_E10value_typeET2_T3_PNS10_IS15_E10value_typeET4_jRbjT5_S1B_jjP12ihipStream_tbEUljE_EEESW_SX_SY_S15_S19_S1B_T6_T7_T9_mT8_S1D_bDpT10_ENKUlT_T0_E_clISt17integral_constantIbLb0EES1Q_EEDaS1L_S1M_EUlS1L_E_NS1_11comp_targetILNS1_3genE2ELNS1_11target_archE906ELNS1_3gpuE6ELNS1_3repE0EEENS1_30default_config_static_selectorELNS0_4arch9wavefront6targetE0EEEvSZ_
                                        ; -- End function
	.set _ZN7rocprim17ROCPRIM_400000_NS6detail17trampoline_kernelINS0_13select_configILj256ELj13ELNS0_17block_load_methodE3ELS4_3ELS4_3ELNS0_20block_scan_algorithmE0ELj4294967295EEENS1_25partition_config_selectorILNS1_17partition_subalgoE3EjNS0_10empty_typeEbEEZZNS1_14partition_implILS8_3ELb0ES6_jNS0_17counting_iteratorIjlEEPS9_SE_NS0_5tupleIJPjSE_EEENSF_IJSE_SE_EEES9_SG_JZNS1_25segmented_radix_sort_implINS0_14default_configELb0EPK12hip_bfloat16PSL_PKlPlN2at6native12_GLOBAL__N_18offset_tEEE10hipError_tPvRmT1_PNSt15iterator_traitsISZ_E10value_typeET2_T3_PNS10_IS15_E10value_typeET4_jRbjT5_S1B_jjP12ihipStream_tbEUljE_EEESW_SX_SY_S15_S19_S1B_T6_T7_T9_mT8_S1D_bDpT10_ENKUlT_T0_E_clISt17integral_constantIbLb0EES1Q_EEDaS1L_S1M_EUlS1L_E_NS1_11comp_targetILNS1_3genE2ELNS1_11target_archE906ELNS1_3gpuE6ELNS1_3repE0EEENS1_30default_config_static_selectorELNS0_4arch9wavefront6targetE0EEEvSZ_.num_vgpr, 0
	.set _ZN7rocprim17ROCPRIM_400000_NS6detail17trampoline_kernelINS0_13select_configILj256ELj13ELNS0_17block_load_methodE3ELS4_3ELS4_3ELNS0_20block_scan_algorithmE0ELj4294967295EEENS1_25partition_config_selectorILNS1_17partition_subalgoE3EjNS0_10empty_typeEbEEZZNS1_14partition_implILS8_3ELb0ES6_jNS0_17counting_iteratorIjlEEPS9_SE_NS0_5tupleIJPjSE_EEENSF_IJSE_SE_EEES9_SG_JZNS1_25segmented_radix_sort_implINS0_14default_configELb0EPK12hip_bfloat16PSL_PKlPlN2at6native12_GLOBAL__N_18offset_tEEE10hipError_tPvRmT1_PNSt15iterator_traitsISZ_E10value_typeET2_T3_PNS10_IS15_E10value_typeET4_jRbjT5_S1B_jjP12ihipStream_tbEUljE_EEESW_SX_SY_S15_S19_S1B_T6_T7_T9_mT8_S1D_bDpT10_ENKUlT_T0_E_clISt17integral_constantIbLb0EES1Q_EEDaS1L_S1M_EUlS1L_E_NS1_11comp_targetILNS1_3genE2ELNS1_11target_archE906ELNS1_3gpuE6ELNS1_3repE0EEENS1_30default_config_static_selectorELNS0_4arch9wavefront6targetE0EEEvSZ_.num_agpr, 0
	.set _ZN7rocprim17ROCPRIM_400000_NS6detail17trampoline_kernelINS0_13select_configILj256ELj13ELNS0_17block_load_methodE3ELS4_3ELS4_3ELNS0_20block_scan_algorithmE0ELj4294967295EEENS1_25partition_config_selectorILNS1_17partition_subalgoE3EjNS0_10empty_typeEbEEZZNS1_14partition_implILS8_3ELb0ES6_jNS0_17counting_iteratorIjlEEPS9_SE_NS0_5tupleIJPjSE_EEENSF_IJSE_SE_EEES9_SG_JZNS1_25segmented_radix_sort_implINS0_14default_configELb0EPK12hip_bfloat16PSL_PKlPlN2at6native12_GLOBAL__N_18offset_tEEE10hipError_tPvRmT1_PNSt15iterator_traitsISZ_E10value_typeET2_T3_PNS10_IS15_E10value_typeET4_jRbjT5_S1B_jjP12ihipStream_tbEUljE_EEESW_SX_SY_S15_S19_S1B_T6_T7_T9_mT8_S1D_bDpT10_ENKUlT_T0_E_clISt17integral_constantIbLb0EES1Q_EEDaS1L_S1M_EUlS1L_E_NS1_11comp_targetILNS1_3genE2ELNS1_11target_archE906ELNS1_3gpuE6ELNS1_3repE0EEENS1_30default_config_static_selectorELNS0_4arch9wavefront6targetE0EEEvSZ_.numbered_sgpr, 0
	.set _ZN7rocprim17ROCPRIM_400000_NS6detail17trampoline_kernelINS0_13select_configILj256ELj13ELNS0_17block_load_methodE3ELS4_3ELS4_3ELNS0_20block_scan_algorithmE0ELj4294967295EEENS1_25partition_config_selectorILNS1_17partition_subalgoE3EjNS0_10empty_typeEbEEZZNS1_14partition_implILS8_3ELb0ES6_jNS0_17counting_iteratorIjlEEPS9_SE_NS0_5tupleIJPjSE_EEENSF_IJSE_SE_EEES9_SG_JZNS1_25segmented_radix_sort_implINS0_14default_configELb0EPK12hip_bfloat16PSL_PKlPlN2at6native12_GLOBAL__N_18offset_tEEE10hipError_tPvRmT1_PNSt15iterator_traitsISZ_E10value_typeET2_T3_PNS10_IS15_E10value_typeET4_jRbjT5_S1B_jjP12ihipStream_tbEUljE_EEESW_SX_SY_S15_S19_S1B_T6_T7_T9_mT8_S1D_bDpT10_ENKUlT_T0_E_clISt17integral_constantIbLb0EES1Q_EEDaS1L_S1M_EUlS1L_E_NS1_11comp_targetILNS1_3genE2ELNS1_11target_archE906ELNS1_3gpuE6ELNS1_3repE0EEENS1_30default_config_static_selectorELNS0_4arch9wavefront6targetE0EEEvSZ_.num_named_barrier, 0
	.set _ZN7rocprim17ROCPRIM_400000_NS6detail17trampoline_kernelINS0_13select_configILj256ELj13ELNS0_17block_load_methodE3ELS4_3ELS4_3ELNS0_20block_scan_algorithmE0ELj4294967295EEENS1_25partition_config_selectorILNS1_17partition_subalgoE3EjNS0_10empty_typeEbEEZZNS1_14partition_implILS8_3ELb0ES6_jNS0_17counting_iteratorIjlEEPS9_SE_NS0_5tupleIJPjSE_EEENSF_IJSE_SE_EEES9_SG_JZNS1_25segmented_radix_sort_implINS0_14default_configELb0EPK12hip_bfloat16PSL_PKlPlN2at6native12_GLOBAL__N_18offset_tEEE10hipError_tPvRmT1_PNSt15iterator_traitsISZ_E10value_typeET2_T3_PNS10_IS15_E10value_typeET4_jRbjT5_S1B_jjP12ihipStream_tbEUljE_EEESW_SX_SY_S15_S19_S1B_T6_T7_T9_mT8_S1D_bDpT10_ENKUlT_T0_E_clISt17integral_constantIbLb0EES1Q_EEDaS1L_S1M_EUlS1L_E_NS1_11comp_targetILNS1_3genE2ELNS1_11target_archE906ELNS1_3gpuE6ELNS1_3repE0EEENS1_30default_config_static_selectorELNS0_4arch9wavefront6targetE0EEEvSZ_.private_seg_size, 0
	.set _ZN7rocprim17ROCPRIM_400000_NS6detail17trampoline_kernelINS0_13select_configILj256ELj13ELNS0_17block_load_methodE3ELS4_3ELS4_3ELNS0_20block_scan_algorithmE0ELj4294967295EEENS1_25partition_config_selectorILNS1_17partition_subalgoE3EjNS0_10empty_typeEbEEZZNS1_14partition_implILS8_3ELb0ES6_jNS0_17counting_iteratorIjlEEPS9_SE_NS0_5tupleIJPjSE_EEENSF_IJSE_SE_EEES9_SG_JZNS1_25segmented_radix_sort_implINS0_14default_configELb0EPK12hip_bfloat16PSL_PKlPlN2at6native12_GLOBAL__N_18offset_tEEE10hipError_tPvRmT1_PNSt15iterator_traitsISZ_E10value_typeET2_T3_PNS10_IS15_E10value_typeET4_jRbjT5_S1B_jjP12ihipStream_tbEUljE_EEESW_SX_SY_S15_S19_S1B_T6_T7_T9_mT8_S1D_bDpT10_ENKUlT_T0_E_clISt17integral_constantIbLb0EES1Q_EEDaS1L_S1M_EUlS1L_E_NS1_11comp_targetILNS1_3genE2ELNS1_11target_archE906ELNS1_3gpuE6ELNS1_3repE0EEENS1_30default_config_static_selectorELNS0_4arch9wavefront6targetE0EEEvSZ_.uses_vcc, 0
	.set _ZN7rocprim17ROCPRIM_400000_NS6detail17trampoline_kernelINS0_13select_configILj256ELj13ELNS0_17block_load_methodE3ELS4_3ELS4_3ELNS0_20block_scan_algorithmE0ELj4294967295EEENS1_25partition_config_selectorILNS1_17partition_subalgoE3EjNS0_10empty_typeEbEEZZNS1_14partition_implILS8_3ELb0ES6_jNS0_17counting_iteratorIjlEEPS9_SE_NS0_5tupleIJPjSE_EEENSF_IJSE_SE_EEES9_SG_JZNS1_25segmented_radix_sort_implINS0_14default_configELb0EPK12hip_bfloat16PSL_PKlPlN2at6native12_GLOBAL__N_18offset_tEEE10hipError_tPvRmT1_PNSt15iterator_traitsISZ_E10value_typeET2_T3_PNS10_IS15_E10value_typeET4_jRbjT5_S1B_jjP12ihipStream_tbEUljE_EEESW_SX_SY_S15_S19_S1B_T6_T7_T9_mT8_S1D_bDpT10_ENKUlT_T0_E_clISt17integral_constantIbLb0EES1Q_EEDaS1L_S1M_EUlS1L_E_NS1_11comp_targetILNS1_3genE2ELNS1_11target_archE906ELNS1_3gpuE6ELNS1_3repE0EEENS1_30default_config_static_selectorELNS0_4arch9wavefront6targetE0EEEvSZ_.uses_flat_scratch, 0
	.set _ZN7rocprim17ROCPRIM_400000_NS6detail17trampoline_kernelINS0_13select_configILj256ELj13ELNS0_17block_load_methodE3ELS4_3ELS4_3ELNS0_20block_scan_algorithmE0ELj4294967295EEENS1_25partition_config_selectorILNS1_17partition_subalgoE3EjNS0_10empty_typeEbEEZZNS1_14partition_implILS8_3ELb0ES6_jNS0_17counting_iteratorIjlEEPS9_SE_NS0_5tupleIJPjSE_EEENSF_IJSE_SE_EEES9_SG_JZNS1_25segmented_radix_sort_implINS0_14default_configELb0EPK12hip_bfloat16PSL_PKlPlN2at6native12_GLOBAL__N_18offset_tEEE10hipError_tPvRmT1_PNSt15iterator_traitsISZ_E10value_typeET2_T3_PNS10_IS15_E10value_typeET4_jRbjT5_S1B_jjP12ihipStream_tbEUljE_EEESW_SX_SY_S15_S19_S1B_T6_T7_T9_mT8_S1D_bDpT10_ENKUlT_T0_E_clISt17integral_constantIbLb0EES1Q_EEDaS1L_S1M_EUlS1L_E_NS1_11comp_targetILNS1_3genE2ELNS1_11target_archE906ELNS1_3gpuE6ELNS1_3repE0EEENS1_30default_config_static_selectorELNS0_4arch9wavefront6targetE0EEEvSZ_.has_dyn_sized_stack, 0
	.set _ZN7rocprim17ROCPRIM_400000_NS6detail17trampoline_kernelINS0_13select_configILj256ELj13ELNS0_17block_load_methodE3ELS4_3ELS4_3ELNS0_20block_scan_algorithmE0ELj4294967295EEENS1_25partition_config_selectorILNS1_17partition_subalgoE3EjNS0_10empty_typeEbEEZZNS1_14partition_implILS8_3ELb0ES6_jNS0_17counting_iteratorIjlEEPS9_SE_NS0_5tupleIJPjSE_EEENSF_IJSE_SE_EEES9_SG_JZNS1_25segmented_radix_sort_implINS0_14default_configELb0EPK12hip_bfloat16PSL_PKlPlN2at6native12_GLOBAL__N_18offset_tEEE10hipError_tPvRmT1_PNSt15iterator_traitsISZ_E10value_typeET2_T3_PNS10_IS15_E10value_typeET4_jRbjT5_S1B_jjP12ihipStream_tbEUljE_EEESW_SX_SY_S15_S19_S1B_T6_T7_T9_mT8_S1D_bDpT10_ENKUlT_T0_E_clISt17integral_constantIbLb0EES1Q_EEDaS1L_S1M_EUlS1L_E_NS1_11comp_targetILNS1_3genE2ELNS1_11target_archE906ELNS1_3gpuE6ELNS1_3repE0EEENS1_30default_config_static_selectorELNS0_4arch9wavefront6targetE0EEEvSZ_.has_recursion, 0
	.set _ZN7rocprim17ROCPRIM_400000_NS6detail17trampoline_kernelINS0_13select_configILj256ELj13ELNS0_17block_load_methodE3ELS4_3ELS4_3ELNS0_20block_scan_algorithmE0ELj4294967295EEENS1_25partition_config_selectorILNS1_17partition_subalgoE3EjNS0_10empty_typeEbEEZZNS1_14partition_implILS8_3ELb0ES6_jNS0_17counting_iteratorIjlEEPS9_SE_NS0_5tupleIJPjSE_EEENSF_IJSE_SE_EEES9_SG_JZNS1_25segmented_radix_sort_implINS0_14default_configELb0EPK12hip_bfloat16PSL_PKlPlN2at6native12_GLOBAL__N_18offset_tEEE10hipError_tPvRmT1_PNSt15iterator_traitsISZ_E10value_typeET2_T3_PNS10_IS15_E10value_typeET4_jRbjT5_S1B_jjP12ihipStream_tbEUljE_EEESW_SX_SY_S15_S19_S1B_T6_T7_T9_mT8_S1D_bDpT10_ENKUlT_T0_E_clISt17integral_constantIbLb0EES1Q_EEDaS1L_S1M_EUlS1L_E_NS1_11comp_targetILNS1_3genE2ELNS1_11target_archE906ELNS1_3gpuE6ELNS1_3repE0EEENS1_30default_config_static_selectorELNS0_4arch9wavefront6targetE0EEEvSZ_.has_indirect_call, 0
	.section	.AMDGPU.csdata,"",@progbits
; Kernel info:
; codeLenInByte = 0
; TotalNumSgprs: 0
; NumVgprs: 0
; ScratchSize: 0
; MemoryBound: 0
; FloatMode: 240
; IeeeMode: 1
; LDSByteSize: 0 bytes/workgroup (compile time only)
; SGPRBlocks: 0
; VGPRBlocks: 0
; NumSGPRsForWavesPerEU: 1
; NumVGPRsForWavesPerEU: 1
; NamedBarCnt: 0
; Occupancy: 16
; WaveLimiterHint : 0
; COMPUTE_PGM_RSRC2:SCRATCH_EN: 0
; COMPUTE_PGM_RSRC2:USER_SGPR: 2
; COMPUTE_PGM_RSRC2:TRAP_HANDLER: 0
; COMPUTE_PGM_RSRC2:TGID_X_EN: 1
; COMPUTE_PGM_RSRC2:TGID_Y_EN: 0
; COMPUTE_PGM_RSRC2:TGID_Z_EN: 0
; COMPUTE_PGM_RSRC2:TIDIG_COMP_CNT: 0
	.section	.text._ZN7rocprim17ROCPRIM_400000_NS6detail17trampoline_kernelINS0_13select_configILj256ELj13ELNS0_17block_load_methodE3ELS4_3ELS4_3ELNS0_20block_scan_algorithmE0ELj4294967295EEENS1_25partition_config_selectorILNS1_17partition_subalgoE3EjNS0_10empty_typeEbEEZZNS1_14partition_implILS8_3ELb0ES6_jNS0_17counting_iteratorIjlEEPS9_SE_NS0_5tupleIJPjSE_EEENSF_IJSE_SE_EEES9_SG_JZNS1_25segmented_radix_sort_implINS0_14default_configELb0EPK12hip_bfloat16PSL_PKlPlN2at6native12_GLOBAL__N_18offset_tEEE10hipError_tPvRmT1_PNSt15iterator_traitsISZ_E10value_typeET2_T3_PNS10_IS15_E10value_typeET4_jRbjT5_S1B_jjP12ihipStream_tbEUljE_EEESW_SX_SY_S15_S19_S1B_T6_T7_T9_mT8_S1D_bDpT10_ENKUlT_T0_E_clISt17integral_constantIbLb0EES1Q_EEDaS1L_S1M_EUlS1L_E_NS1_11comp_targetILNS1_3genE10ELNS1_11target_archE1200ELNS1_3gpuE4ELNS1_3repE0EEENS1_30default_config_static_selectorELNS0_4arch9wavefront6targetE0EEEvSZ_,"axG",@progbits,_ZN7rocprim17ROCPRIM_400000_NS6detail17trampoline_kernelINS0_13select_configILj256ELj13ELNS0_17block_load_methodE3ELS4_3ELS4_3ELNS0_20block_scan_algorithmE0ELj4294967295EEENS1_25partition_config_selectorILNS1_17partition_subalgoE3EjNS0_10empty_typeEbEEZZNS1_14partition_implILS8_3ELb0ES6_jNS0_17counting_iteratorIjlEEPS9_SE_NS0_5tupleIJPjSE_EEENSF_IJSE_SE_EEES9_SG_JZNS1_25segmented_radix_sort_implINS0_14default_configELb0EPK12hip_bfloat16PSL_PKlPlN2at6native12_GLOBAL__N_18offset_tEEE10hipError_tPvRmT1_PNSt15iterator_traitsISZ_E10value_typeET2_T3_PNS10_IS15_E10value_typeET4_jRbjT5_S1B_jjP12ihipStream_tbEUljE_EEESW_SX_SY_S15_S19_S1B_T6_T7_T9_mT8_S1D_bDpT10_ENKUlT_T0_E_clISt17integral_constantIbLb0EES1Q_EEDaS1L_S1M_EUlS1L_E_NS1_11comp_targetILNS1_3genE10ELNS1_11target_archE1200ELNS1_3gpuE4ELNS1_3repE0EEENS1_30default_config_static_selectorELNS0_4arch9wavefront6targetE0EEEvSZ_,comdat
	.globl	_ZN7rocprim17ROCPRIM_400000_NS6detail17trampoline_kernelINS0_13select_configILj256ELj13ELNS0_17block_load_methodE3ELS4_3ELS4_3ELNS0_20block_scan_algorithmE0ELj4294967295EEENS1_25partition_config_selectorILNS1_17partition_subalgoE3EjNS0_10empty_typeEbEEZZNS1_14partition_implILS8_3ELb0ES6_jNS0_17counting_iteratorIjlEEPS9_SE_NS0_5tupleIJPjSE_EEENSF_IJSE_SE_EEES9_SG_JZNS1_25segmented_radix_sort_implINS0_14default_configELb0EPK12hip_bfloat16PSL_PKlPlN2at6native12_GLOBAL__N_18offset_tEEE10hipError_tPvRmT1_PNSt15iterator_traitsISZ_E10value_typeET2_T3_PNS10_IS15_E10value_typeET4_jRbjT5_S1B_jjP12ihipStream_tbEUljE_EEESW_SX_SY_S15_S19_S1B_T6_T7_T9_mT8_S1D_bDpT10_ENKUlT_T0_E_clISt17integral_constantIbLb0EES1Q_EEDaS1L_S1M_EUlS1L_E_NS1_11comp_targetILNS1_3genE10ELNS1_11target_archE1200ELNS1_3gpuE4ELNS1_3repE0EEENS1_30default_config_static_selectorELNS0_4arch9wavefront6targetE0EEEvSZ_ ; -- Begin function _ZN7rocprim17ROCPRIM_400000_NS6detail17trampoline_kernelINS0_13select_configILj256ELj13ELNS0_17block_load_methodE3ELS4_3ELS4_3ELNS0_20block_scan_algorithmE0ELj4294967295EEENS1_25partition_config_selectorILNS1_17partition_subalgoE3EjNS0_10empty_typeEbEEZZNS1_14partition_implILS8_3ELb0ES6_jNS0_17counting_iteratorIjlEEPS9_SE_NS0_5tupleIJPjSE_EEENSF_IJSE_SE_EEES9_SG_JZNS1_25segmented_radix_sort_implINS0_14default_configELb0EPK12hip_bfloat16PSL_PKlPlN2at6native12_GLOBAL__N_18offset_tEEE10hipError_tPvRmT1_PNSt15iterator_traitsISZ_E10value_typeET2_T3_PNS10_IS15_E10value_typeET4_jRbjT5_S1B_jjP12ihipStream_tbEUljE_EEESW_SX_SY_S15_S19_S1B_T6_T7_T9_mT8_S1D_bDpT10_ENKUlT_T0_E_clISt17integral_constantIbLb0EES1Q_EEDaS1L_S1M_EUlS1L_E_NS1_11comp_targetILNS1_3genE10ELNS1_11target_archE1200ELNS1_3gpuE4ELNS1_3repE0EEENS1_30default_config_static_selectorELNS0_4arch9wavefront6targetE0EEEvSZ_
	.p2align	8
	.type	_ZN7rocprim17ROCPRIM_400000_NS6detail17trampoline_kernelINS0_13select_configILj256ELj13ELNS0_17block_load_methodE3ELS4_3ELS4_3ELNS0_20block_scan_algorithmE0ELj4294967295EEENS1_25partition_config_selectorILNS1_17partition_subalgoE3EjNS0_10empty_typeEbEEZZNS1_14partition_implILS8_3ELb0ES6_jNS0_17counting_iteratorIjlEEPS9_SE_NS0_5tupleIJPjSE_EEENSF_IJSE_SE_EEES9_SG_JZNS1_25segmented_radix_sort_implINS0_14default_configELb0EPK12hip_bfloat16PSL_PKlPlN2at6native12_GLOBAL__N_18offset_tEEE10hipError_tPvRmT1_PNSt15iterator_traitsISZ_E10value_typeET2_T3_PNS10_IS15_E10value_typeET4_jRbjT5_S1B_jjP12ihipStream_tbEUljE_EEESW_SX_SY_S15_S19_S1B_T6_T7_T9_mT8_S1D_bDpT10_ENKUlT_T0_E_clISt17integral_constantIbLb0EES1Q_EEDaS1L_S1M_EUlS1L_E_NS1_11comp_targetILNS1_3genE10ELNS1_11target_archE1200ELNS1_3gpuE4ELNS1_3repE0EEENS1_30default_config_static_selectorELNS0_4arch9wavefront6targetE0EEEvSZ_,@function
_ZN7rocprim17ROCPRIM_400000_NS6detail17trampoline_kernelINS0_13select_configILj256ELj13ELNS0_17block_load_methodE3ELS4_3ELS4_3ELNS0_20block_scan_algorithmE0ELj4294967295EEENS1_25partition_config_selectorILNS1_17partition_subalgoE3EjNS0_10empty_typeEbEEZZNS1_14partition_implILS8_3ELb0ES6_jNS0_17counting_iteratorIjlEEPS9_SE_NS0_5tupleIJPjSE_EEENSF_IJSE_SE_EEES9_SG_JZNS1_25segmented_radix_sort_implINS0_14default_configELb0EPK12hip_bfloat16PSL_PKlPlN2at6native12_GLOBAL__N_18offset_tEEE10hipError_tPvRmT1_PNSt15iterator_traitsISZ_E10value_typeET2_T3_PNS10_IS15_E10value_typeET4_jRbjT5_S1B_jjP12ihipStream_tbEUljE_EEESW_SX_SY_S15_S19_S1B_T6_T7_T9_mT8_S1D_bDpT10_ENKUlT_T0_E_clISt17integral_constantIbLb0EES1Q_EEDaS1L_S1M_EUlS1L_E_NS1_11comp_targetILNS1_3genE10ELNS1_11target_archE1200ELNS1_3gpuE4ELNS1_3repE0EEENS1_30default_config_static_selectorELNS0_4arch9wavefront6targetE0EEEvSZ_: ; @_ZN7rocprim17ROCPRIM_400000_NS6detail17trampoline_kernelINS0_13select_configILj256ELj13ELNS0_17block_load_methodE3ELS4_3ELS4_3ELNS0_20block_scan_algorithmE0ELj4294967295EEENS1_25partition_config_selectorILNS1_17partition_subalgoE3EjNS0_10empty_typeEbEEZZNS1_14partition_implILS8_3ELb0ES6_jNS0_17counting_iteratorIjlEEPS9_SE_NS0_5tupleIJPjSE_EEENSF_IJSE_SE_EEES9_SG_JZNS1_25segmented_radix_sort_implINS0_14default_configELb0EPK12hip_bfloat16PSL_PKlPlN2at6native12_GLOBAL__N_18offset_tEEE10hipError_tPvRmT1_PNSt15iterator_traitsISZ_E10value_typeET2_T3_PNS10_IS15_E10value_typeET4_jRbjT5_S1B_jjP12ihipStream_tbEUljE_EEESW_SX_SY_S15_S19_S1B_T6_T7_T9_mT8_S1D_bDpT10_ENKUlT_T0_E_clISt17integral_constantIbLb0EES1Q_EEDaS1L_S1M_EUlS1L_E_NS1_11comp_targetILNS1_3genE10ELNS1_11target_archE1200ELNS1_3gpuE4ELNS1_3repE0EEENS1_30default_config_static_selectorELNS0_4arch9wavefront6targetE0EEEvSZ_
; %bb.0:
	.section	.rodata,"a",@progbits
	.p2align	6, 0x0
	.amdhsa_kernel _ZN7rocprim17ROCPRIM_400000_NS6detail17trampoline_kernelINS0_13select_configILj256ELj13ELNS0_17block_load_methodE3ELS4_3ELS4_3ELNS0_20block_scan_algorithmE0ELj4294967295EEENS1_25partition_config_selectorILNS1_17partition_subalgoE3EjNS0_10empty_typeEbEEZZNS1_14partition_implILS8_3ELb0ES6_jNS0_17counting_iteratorIjlEEPS9_SE_NS0_5tupleIJPjSE_EEENSF_IJSE_SE_EEES9_SG_JZNS1_25segmented_radix_sort_implINS0_14default_configELb0EPK12hip_bfloat16PSL_PKlPlN2at6native12_GLOBAL__N_18offset_tEEE10hipError_tPvRmT1_PNSt15iterator_traitsISZ_E10value_typeET2_T3_PNS10_IS15_E10value_typeET4_jRbjT5_S1B_jjP12ihipStream_tbEUljE_EEESW_SX_SY_S15_S19_S1B_T6_T7_T9_mT8_S1D_bDpT10_ENKUlT_T0_E_clISt17integral_constantIbLb0EES1Q_EEDaS1L_S1M_EUlS1L_E_NS1_11comp_targetILNS1_3genE10ELNS1_11target_archE1200ELNS1_3gpuE4ELNS1_3repE0EEENS1_30default_config_static_selectorELNS0_4arch9wavefront6targetE0EEEvSZ_
		.amdhsa_group_segment_fixed_size 0
		.amdhsa_private_segment_fixed_size 0
		.amdhsa_kernarg_size 144
		.amdhsa_user_sgpr_count 2
		.amdhsa_user_sgpr_dispatch_ptr 0
		.amdhsa_user_sgpr_queue_ptr 0
		.amdhsa_user_sgpr_kernarg_segment_ptr 1
		.amdhsa_user_sgpr_dispatch_id 0
		.amdhsa_user_sgpr_kernarg_preload_length 0
		.amdhsa_user_sgpr_kernarg_preload_offset 0
		.amdhsa_user_sgpr_private_segment_size 0
		.amdhsa_wavefront_size32 1
		.amdhsa_uses_dynamic_stack 0
		.amdhsa_enable_private_segment 0
		.amdhsa_system_sgpr_workgroup_id_x 1
		.amdhsa_system_sgpr_workgroup_id_y 0
		.amdhsa_system_sgpr_workgroup_id_z 0
		.amdhsa_system_sgpr_workgroup_info 0
		.amdhsa_system_vgpr_workitem_id 0
		.amdhsa_next_free_vgpr 1
		.amdhsa_next_free_sgpr 1
		.amdhsa_named_barrier_count 0
		.amdhsa_reserve_vcc 0
		.amdhsa_float_round_mode_32 0
		.amdhsa_float_round_mode_16_64 0
		.amdhsa_float_denorm_mode_32 3
		.amdhsa_float_denorm_mode_16_64 3
		.amdhsa_fp16_overflow 0
		.amdhsa_memory_ordered 1
		.amdhsa_forward_progress 1
		.amdhsa_inst_pref_size 0
		.amdhsa_round_robin_scheduling 0
		.amdhsa_exception_fp_ieee_invalid_op 0
		.amdhsa_exception_fp_denorm_src 0
		.amdhsa_exception_fp_ieee_div_zero 0
		.amdhsa_exception_fp_ieee_overflow 0
		.amdhsa_exception_fp_ieee_underflow 0
		.amdhsa_exception_fp_ieee_inexact 0
		.amdhsa_exception_int_div_zero 0
	.end_amdhsa_kernel
	.section	.text._ZN7rocprim17ROCPRIM_400000_NS6detail17trampoline_kernelINS0_13select_configILj256ELj13ELNS0_17block_load_methodE3ELS4_3ELS4_3ELNS0_20block_scan_algorithmE0ELj4294967295EEENS1_25partition_config_selectorILNS1_17partition_subalgoE3EjNS0_10empty_typeEbEEZZNS1_14partition_implILS8_3ELb0ES6_jNS0_17counting_iteratorIjlEEPS9_SE_NS0_5tupleIJPjSE_EEENSF_IJSE_SE_EEES9_SG_JZNS1_25segmented_radix_sort_implINS0_14default_configELb0EPK12hip_bfloat16PSL_PKlPlN2at6native12_GLOBAL__N_18offset_tEEE10hipError_tPvRmT1_PNSt15iterator_traitsISZ_E10value_typeET2_T3_PNS10_IS15_E10value_typeET4_jRbjT5_S1B_jjP12ihipStream_tbEUljE_EEESW_SX_SY_S15_S19_S1B_T6_T7_T9_mT8_S1D_bDpT10_ENKUlT_T0_E_clISt17integral_constantIbLb0EES1Q_EEDaS1L_S1M_EUlS1L_E_NS1_11comp_targetILNS1_3genE10ELNS1_11target_archE1200ELNS1_3gpuE4ELNS1_3repE0EEENS1_30default_config_static_selectorELNS0_4arch9wavefront6targetE0EEEvSZ_,"axG",@progbits,_ZN7rocprim17ROCPRIM_400000_NS6detail17trampoline_kernelINS0_13select_configILj256ELj13ELNS0_17block_load_methodE3ELS4_3ELS4_3ELNS0_20block_scan_algorithmE0ELj4294967295EEENS1_25partition_config_selectorILNS1_17partition_subalgoE3EjNS0_10empty_typeEbEEZZNS1_14partition_implILS8_3ELb0ES6_jNS0_17counting_iteratorIjlEEPS9_SE_NS0_5tupleIJPjSE_EEENSF_IJSE_SE_EEES9_SG_JZNS1_25segmented_radix_sort_implINS0_14default_configELb0EPK12hip_bfloat16PSL_PKlPlN2at6native12_GLOBAL__N_18offset_tEEE10hipError_tPvRmT1_PNSt15iterator_traitsISZ_E10value_typeET2_T3_PNS10_IS15_E10value_typeET4_jRbjT5_S1B_jjP12ihipStream_tbEUljE_EEESW_SX_SY_S15_S19_S1B_T6_T7_T9_mT8_S1D_bDpT10_ENKUlT_T0_E_clISt17integral_constantIbLb0EES1Q_EEDaS1L_S1M_EUlS1L_E_NS1_11comp_targetILNS1_3genE10ELNS1_11target_archE1200ELNS1_3gpuE4ELNS1_3repE0EEENS1_30default_config_static_selectorELNS0_4arch9wavefront6targetE0EEEvSZ_,comdat
.Lfunc_end2012:
	.size	_ZN7rocprim17ROCPRIM_400000_NS6detail17trampoline_kernelINS0_13select_configILj256ELj13ELNS0_17block_load_methodE3ELS4_3ELS4_3ELNS0_20block_scan_algorithmE0ELj4294967295EEENS1_25partition_config_selectorILNS1_17partition_subalgoE3EjNS0_10empty_typeEbEEZZNS1_14partition_implILS8_3ELb0ES6_jNS0_17counting_iteratorIjlEEPS9_SE_NS0_5tupleIJPjSE_EEENSF_IJSE_SE_EEES9_SG_JZNS1_25segmented_radix_sort_implINS0_14default_configELb0EPK12hip_bfloat16PSL_PKlPlN2at6native12_GLOBAL__N_18offset_tEEE10hipError_tPvRmT1_PNSt15iterator_traitsISZ_E10value_typeET2_T3_PNS10_IS15_E10value_typeET4_jRbjT5_S1B_jjP12ihipStream_tbEUljE_EEESW_SX_SY_S15_S19_S1B_T6_T7_T9_mT8_S1D_bDpT10_ENKUlT_T0_E_clISt17integral_constantIbLb0EES1Q_EEDaS1L_S1M_EUlS1L_E_NS1_11comp_targetILNS1_3genE10ELNS1_11target_archE1200ELNS1_3gpuE4ELNS1_3repE0EEENS1_30default_config_static_selectorELNS0_4arch9wavefront6targetE0EEEvSZ_, .Lfunc_end2012-_ZN7rocprim17ROCPRIM_400000_NS6detail17trampoline_kernelINS0_13select_configILj256ELj13ELNS0_17block_load_methodE3ELS4_3ELS4_3ELNS0_20block_scan_algorithmE0ELj4294967295EEENS1_25partition_config_selectorILNS1_17partition_subalgoE3EjNS0_10empty_typeEbEEZZNS1_14partition_implILS8_3ELb0ES6_jNS0_17counting_iteratorIjlEEPS9_SE_NS0_5tupleIJPjSE_EEENSF_IJSE_SE_EEES9_SG_JZNS1_25segmented_radix_sort_implINS0_14default_configELb0EPK12hip_bfloat16PSL_PKlPlN2at6native12_GLOBAL__N_18offset_tEEE10hipError_tPvRmT1_PNSt15iterator_traitsISZ_E10value_typeET2_T3_PNS10_IS15_E10value_typeET4_jRbjT5_S1B_jjP12ihipStream_tbEUljE_EEESW_SX_SY_S15_S19_S1B_T6_T7_T9_mT8_S1D_bDpT10_ENKUlT_T0_E_clISt17integral_constantIbLb0EES1Q_EEDaS1L_S1M_EUlS1L_E_NS1_11comp_targetILNS1_3genE10ELNS1_11target_archE1200ELNS1_3gpuE4ELNS1_3repE0EEENS1_30default_config_static_selectorELNS0_4arch9wavefront6targetE0EEEvSZ_
                                        ; -- End function
	.set _ZN7rocprim17ROCPRIM_400000_NS6detail17trampoline_kernelINS0_13select_configILj256ELj13ELNS0_17block_load_methodE3ELS4_3ELS4_3ELNS0_20block_scan_algorithmE0ELj4294967295EEENS1_25partition_config_selectorILNS1_17partition_subalgoE3EjNS0_10empty_typeEbEEZZNS1_14partition_implILS8_3ELb0ES6_jNS0_17counting_iteratorIjlEEPS9_SE_NS0_5tupleIJPjSE_EEENSF_IJSE_SE_EEES9_SG_JZNS1_25segmented_radix_sort_implINS0_14default_configELb0EPK12hip_bfloat16PSL_PKlPlN2at6native12_GLOBAL__N_18offset_tEEE10hipError_tPvRmT1_PNSt15iterator_traitsISZ_E10value_typeET2_T3_PNS10_IS15_E10value_typeET4_jRbjT5_S1B_jjP12ihipStream_tbEUljE_EEESW_SX_SY_S15_S19_S1B_T6_T7_T9_mT8_S1D_bDpT10_ENKUlT_T0_E_clISt17integral_constantIbLb0EES1Q_EEDaS1L_S1M_EUlS1L_E_NS1_11comp_targetILNS1_3genE10ELNS1_11target_archE1200ELNS1_3gpuE4ELNS1_3repE0EEENS1_30default_config_static_selectorELNS0_4arch9wavefront6targetE0EEEvSZ_.num_vgpr, 0
	.set _ZN7rocprim17ROCPRIM_400000_NS6detail17trampoline_kernelINS0_13select_configILj256ELj13ELNS0_17block_load_methodE3ELS4_3ELS4_3ELNS0_20block_scan_algorithmE0ELj4294967295EEENS1_25partition_config_selectorILNS1_17partition_subalgoE3EjNS0_10empty_typeEbEEZZNS1_14partition_implILS8_3ELb0ES6_jNS0_17counting_iteratorIjlEEPS9_SE_NS0_5tupleIJPjSE_EEENSF_IJSE_SE_EEES9_SG_JZNS1_25segmented_radix_sort_implINS0_14default_configELb0EPK12hip_bfloat16PSL_PKlPlN2at6native12_GLOBAL__N_18offset_tEEE10hipError_tPvRmT1_PNSt15iterator_traitsISZ_E10value_typeET2_T3_PNS10_IS15_E10value_typeET4_jRbjT5_S1B_jjP12ihipStream_tbEUljE_EEESW_SX_SY_S15_S19_S1B_T6_T7_T9_mT8_S1D_bDpT10_ENKUlT_T0_E_clISt17integral_constantIbLb0EES1Q_EEDaS1L_S1M_EUlS1L_E_NS1_11comp_targetILNS1_3genE10ELNS1_11target_archE1200ELNS1_3gpuE4ELNS1_3repE0EEENS1_30default_config_static_selectorELNS0_4arch9wavefront6targetE0EEEvSZ_.num_agpr, 0
	.set _ZN7rocprim17ROCPRIM_400000_NS6detail17trampoline_kernelINS0_13select_configILj256ELj13ELNS0_17block_load_methodE3ELS4_3ELS4_3ELNS0_20block_scan_algorithmE0ELj4294967295EEENS1_25partition_config_selectorILNS1_17partition_subalgoE3EjNS0_10empty_typeEbEEZZNS1_14partition_implILS8_3ELb0ES6_jNS0_17counting_iteratorIjlEEPS9_SE_NS0_5tupleIJPjSE_EEENSF_IJSE_SE_EEES9_SG_JZNS1_25segmented_radix_sort_implINS0_14default_configELb0EPK12hip_bfloat16PSL_PKlPlN2at6native12_GLOBAL__N_18offset_tEEE10hipError_tPvRmT1_PNSt15iterator_traitsISZ_E10value_typeET2_T3_PNS10_IS15_E10value_typeET4_jRbjT5_S1B_jjP12ihipStream_tbEUljE_EEESW_SX_SY_S15_S19_S1B_T6_T7_T9_mT8_S1D_bDpT10_ENKUlT_T0_E_clISt17integral_constantIbLb0EES1Q_EEDaS1L_S1M_EUlS1L_E_NS1_11comp_targetILNS1_3genE10ELNS1_11target_archE1200ELNS1_3gpuE4ELNS1_3repE0EEENS1_30default_config_static_selectorELNS0_4arch9wavefront6targetE0EEEvSZ_.numbered_sgpr, 0
	.set _ZN7rocprim17ROCPRIM_400000_NS6detail17trampoline_kernelINS0_13select_configILj256ELj13ELNS0_17block_load_methodE3ELS4_3ELS4_3ELNS0_20block_scan_algorithmE0ELj4294967295EEENS1_25partition_config_selectorILNS1_17partition_subalgoE3EjNS0_10empty_typeEbEEZZNS1_14partition_implILS8_3ELb0ES6_jNS0_17counting_iteratorIjlEEPS9_SE_NS0_5tupleIJPjSE_EEENSF_IJSE_SE_EEES9_SG_JZNS1_25segmented_radix_sort_implINS0_14default_configELb0EPK12hip_bfloat16PSL_PKlPlN2at6native12_GLOBAL__N_18offset_tEEE10hipError_tPvRmT1_PNSt15iterator_traitsISZ_E10value_typeET2_T3_PNS10_IS15_E10value_typeET4_jRbjT5_S1B_jjP12ihipStream_tbEUljE_EEESW_SX_SY_S15_S19_S1B_T6_T7_T9_mT8_S1D_bDpT10_ENKUlT_T0_E_clISt17integral_constantIbLb0EES1Q_EEDaS1L_S1M_EUlS1L_E_NS1_11comp_targetILNS1_3genE10ELNS1_11target_archE1200ELNS1_3gpuE4ELNS1_3repE0EEENS1_30default_config_static_selectorELNS0_4arch9wavefront6targetE0EEEvSZ_.num_named_barrier, 0
	.set _ZN7rocprim17ROCPRIM_400000_NS6detail17trampoline_kernelINS0_13select_configILj256ELj13ELNS0_17block_load_methodE3ELS4_3ELS4_3ELNS0_20block_scan_algorithmE0ELj4294967295EEENS1_25partition_config_selectorILNS1_17partition_subalgoE3EjNS0_10empty_typeEbEEZZNS1_14partition_implILS8_3ELb0ES6_jNS0_17counting_iteratorIjlEEPS9_SE_NS0_5tupleIJPjSE_EEENSF_IJSE_SE_EEES9_SG_JZNS1_25segmented_radix_sort_implINS0_14default_configELb0EPK12hip_bfloat16PSL_PKlPlN2at6native12_GLOBAL__N_18offset_tEEE10hipError_tPvRmT1_PNSt15iterator_traitsISZ_E10value_typeET2_T3_PNS10_IS15_E10value_typeET4_jRbjT5_S1B_jjP12ihipStream_tbEUljE_EEESW_SX_SY_S15_S19_S1B_T6_T7_T9_mT8_S1D_bDpT10_ENKUlT_T0_E_clISt17integral_constantIbLb0EES1Q_EEDaS1L_S1M_EUlS1L_E_NS1_11comp_targetILNS1_3genE10ELNS1_11target_archE1200ELNS1_3gpuE4ELNS1_3repE0EEENS1_30default_config_static_selectorELNS0_4arch9wavefront6targetE0EEEvSZ_.private_seg_size, 0
	.set _ZN7rocprim17ROCPRIM_400000_NS6detail17trampoline_kernelINS0_13select_configILj256ELj13ELNS0_17block_load_methodE3ELS4_3ELS4_3ELNS0_20block_scan_algorithmE0ELj4294967295EEENS1_25partition_config_selectorILNS1_17partition_subalgoE3EjNS0_10empty_typeEbEEZZNS1_14partition_implILS8_3ELb0ES6_jNS0_17counting_iteratorIjlEEPS9_SE_NS0_5tupleIJPjSE_EEENSF_IJSE_SE_EEES9_SG_JZNS1_25segmented_radix_sort_implINS0_14default_configELb0EPK12hip_bfloat16PSL_PKlPlN2at6native12_GLOBAL__N_18offset_tEEE10hipError_tPvRmT1_PNSt15iterator_traitsISZ_E10value_typeET2_T3_PNS10_IS15_E10value_typeET4_jRbjT5_S1B_jjP12ihipStream_tbEUljE_EEESW_SX_SY_S15_S19_S1B_T6_T7_T9_mT8_S1D_bDpT10_ENKUlT_T0_E_clISt17integral_constantIbLb0EES1Q_EEDaS1L_S1M_EUlS1L_E_NS1_11comp_targetILNS1_3genE10ELNS1_11target_archE1200ELNS1_3gpuE4ELNS1_3repE0EEENS1_30default_config_static_selectorELNS0_4arch9wavefront6targetE0EEEvSZ_.uses_vcc, 0
	.set _ZN7rocprim17ROCPRIM_400000_NS6detail17trampoline_kernelINS0_13select_configILj256ELj13ELNS0_17block_load_methodE3ELS4_3ELS4_3ELNS0_20block_scan_algorithmE0ELj4294967295EEENS1_25partition_config_selectorILNS1_17partition_subalgoE3EjNS0_10empty_typeEbEEZZNS1_14partition_implILS8_3ELb0ES6_jNS0_17counting_iteratorIjlEEPS9_SE_NS0_5tupleIJPjSE_EEENSF_IJSE_SE_EEES9_SG_JZNS1_25segmented_radix_sort_implINS0_14default_configELb0EPK12hip_bfloat16PSL_PKlPlN2at6native12_GLOBAL__N_18offset_tEEE10hipError_tPvRmT1_PNSt15iterator_traitsISZ_E10value_typeET2_T3_PNS10_IS15_E10value_typeET4_jRbjT5_S1B_jjP12ihipStream_tbEUljE_EEESW_SX_SY_S15_S19_S1B_T6_T7_T9_mT8_S1D_bDpT10_ENKUlT_T0_E_clISt17integral_constantIbLb0EES1Q_EEDaS1L_S1M_EUlS1L_E_NS1_11comp_targetILNS1_3genE10ELNS1_11target_archE1200ELNS1_3gpuE4ELNS1_3repE0EEENS1_30default_config_static_selectorELNS0_4arch9wavefront6targetE0EEEvSZ_.uses_flat_scratch, 0
	.set _ZN7rocprim17ROCPRIM_400000_NS6detail17trampoline_kernelINS0_13select_configILj256ELj13ELNS0_17block_load_methodE3ELS4_3ELS4_3ELNS0_20block_scan_algorithmE0ELj4294967295EEENS1_25partition_config_selectorILNS1_17partition_subalgoE3EjNS0_10empty_typeEbEEZZNS1_14partition_implILS8_3ELb0ES6_jNS0_17counting_iteratorIjlEEPS9_SE_NS0_5tupleIJPjSE_EEENSF_IJSE_SE_EEES9_SG_JZNS1_25segmented_radix_sort_implINS0_14default_configELb0EPK12hip_bfloat16PSL_PKlPlN2at6native12_GLOBAL__N_18offset_tEEE10hipError_tPvRmT1_PNSt15iterator_traitsISZ_E10value_typeET2_T3_PNS10_IS15_E10value_typeET4_jRbjT5_S1B_jjP12ihipStream_tbEUljE_EEESW_SX_SY_S15_S19_S1B_T6_T7_T9_mT8_S1D_bDpT10_ENKUlT_T0_E_clISt17integral_constantIbLb0EES1Q_EEDaS1L_S1M_EUlS1L_E_NS1_11comp_targetILNS1_3genE10ELNS1_11target_archE1200ELNS1_3gpuE4ELNS1_3repE0EEENS1_30default_config_static_selectorELNS0_4arch9wavefront6targetE0EEEvSZ_.has_dyn_sized_stack, 0
	.set _ZN7rocprim17ROCPRIM_400000_NS6detail17trampoline_kernelINS0_13select_configILj256ELj13ELNS0_17block_load_methodE3ELS4_3ELS4_3ELNS0_20block_scan_algorithmE0ELj4294967295EEENS1_25partition_config_selectorILNS1_17partition_subalgoE3EjNS0_10empty_typeEbEEZZNS1_14partition_implILS8_3ELb0ES6_jNS0_17counting_iteratorIjlEEPS9_SE_NS0_5tupleIJPjSE_EEENSF_IJSE_SE_EEES9_SG_JZNS1_25segmented_radix_sort_implINS0_14default_configELb0EPK12hip_bfloat16PSL_PKlPlN2at6native12_GLOBAL__N_18offset_tEEE10hipError_tPvRmT1_PNSt15iterator_traitsISZ_E10value_typeET2_T3_PNS10_IS15_E10value_typeET4_jRbjT5_S1B_jjP12ihipStream_tbEUljE_EEESW_SX_SY_S15_S19_S1B_T6_T7_T9_mT8_S1D_bDpT10_ENKUlT_T0_E_clISt17integral_constantIbLb0EES1Q_EEDaS1L_S1M_EUlS1L_E_NS1_11comp_targetILNS1_3genE10ELNS1_11target_archE1200ELNS1_3gpuE4ELNS1_3repE0EEENS1_30default_config_static_selectorELNS0_4arch9wavefront6targetE0EEEvSZ_.has_recursion, 0
	.set _ZN7rocprim17ROCPRIM_400000_NS6detail17trampoline_kernelINS0_13select_configILj256ELj13ELNS0_17block_load_methodE3ELS4_3ELS4_3ELNS0_20block_scan_algorithmE0ELj4294967295EEENS1_25partition_config_selectorILNS1_17partition_subalgoE3EjNS0_10empty_typeEbEEZZNS1_14partition_implILS8_3ELb0ES6_jNS0_17counting_iteratorIjlEEPS9_SE_NS0_5tupleIJPjSE_EEENSF_IJSE_SE_EEES9_SG_JZNS1_25segmented_radix_sort_implINS0_14default_configELb0EPK12hip_bfloat16PSL_PKlPlN2at6native12_GLOBAL__N_18offset_tEEE10hipError_tPvRmT1_PNSt15iterator_traitsISZ_E10value_typeET2_T3_PNS10_IS15_E10value_typeET4_jRbjT5_S1B_jjP12ihipStream_tbEUljE_EEESW_SX_SY_S15_S19_S1B_T6_T7_T9_mT8_S1D_bDpT10_ENKUlT_T0_E_clISt17integral_constantIbLb0EES1Q_EEDaS1L_S1M_EUlS1L_E_NS1_11comp_targetILNS1_3genE10ELNS1_11target_archE1200ELNS1_3gpuE4ELNS1_3repE0EEENS1_30default_config_static_selectorELNS0_4arch9wavefront6targetE0EEEvSZ_.has_indirect_call, 0
	.section	.AMDGPU.csdata,"",@progbits
; Kernel info:
; codeLenInByte = 0
; TotalNumSgprs: 0
; NumVgprs: 0
; ScratchSize: 0
; MemoryBound: 0
; FloatMode: 240
; IeeeMode: 1
; LDSByteSize: 0 bytes/workgroup (compile time only)
; SGPRBlocks: 0
; VGPRBlocks: 0
; NumSGPRsForWavesPerEU: 1
; NumVGPRsForWavesPerEU: 1
; NamedBarCnt: 0
; Occupancy: 16
; WaveLimiterHint : 0
; COMPUTE_PGM_RSRC2:SCRATCH_EN: 0
; COMPUTE_PGM_RSRC2:USER_SGPR: 2
; COMPUTE_PGM_RSRC2:TRAP_HANDLER: 0
; COMPUTE_PGM_RSRC2:TGID_X_EN: 1
; COMPUTE_PGM_RSRC2:TGID_Y_EN: 0
; COMPUTE_PGM_RSRC2:TGID_Z_EN: 0
; COMPUTE_PGM_RSRC2:TIDIG_COMP_CNT: 0
	.section	.text._ZN7rocprim17ROCPRIM_400000_NS6detail17trampoline_kernelINS0_13select_configILj256ELj13ELNS0_17block_load_methodE3ELS4_3ELS4_3ELNS0_20block_scan_algorithmE0ELj4294967295EEENS1_25partition_config_selectorILNS1_17partition_subalgoE3EjNS0_10empty_typeEbEEZZNS1_14partition_implILS8_3ELb0ES6_jNS0_17counting_iteratorIjlEEPS9_SE_NS0_5tupleIJPjSE_EEENSF_IJSE_SE_EEES9_SG_JZNS1_25segmented_radix_sort_implINS0_14default_configELb0EPK12hip_bfloat16PSL_PKlPlN2at6native12_GLOBAL__N_18offset_tEEE10hipError_tPvRmT1_PNSt15iterator_traitsISZ_E10value_typeET2_T3_PNS10_IS15_E10value_typeET4_jRbjT5_S1B_jjP12ihipStream_tbEUljE_EEESW_SX_SY_S15_S19_S1B_T6_T7_T9_mT8_S1D_bDpT10_ENKUlT_T0_E_clISt17integral_constantIbLb0EES1Q_EEDaS1L_S1M_EUlS1L_E_NS1_11comp_targetILNS1_3genE9ELNS1_11target_archE1100ELNS1_3gpuE3ELNS1_3repE0EEENS1_30default_config_static_selectorELNS0_4arch9wavefront6targetE0EEEvSZ_,"axG",@progbits,_ZN7rocprim17ROCPRIM_400000_NS6detail17trampoline_kernelINS0_13select_configILj256ELj13ELNS0_17block_load_methodE3ELS4_3ELS4_3ELNS0_20block_scan_algorithmE0ELj4294967295EEENS1_25partition_config_selectorILNS1_17partition_subalgoE3EjNS0_10empty_typeEbEEZZNS1_14partition_implILS8_3ELb0ES6_jNS0_17counting_iteratorIjlEEPS9_SE_NS0_5tupleIJPjSE_EEENSF_IJSE_SE_EEES9_SG_JZNS1_25segmented_radix_sort_implINS0_14default_configELb0EPK12hip_bfloat16PSL_PKlPlN2at6native12_GLOBAL__N_18offset_tEEE10hipError_tPvRmT1_PNSt15iterator_traitsISZ_E10value_typeET2_T3_PNS10_IS15_E10value_typeET4_jRbjT5_S1B_jjP12ihipStream_tbEUljE_EEESW_SX_SY_S15_S19_S1B_T6_T7_T9_mT8_S1D_bDpT10_ENKUlT_T0_E_clISt17integral_constantIbLb0EES1Q_EEDaS1L_S1M_EUlS1L_E_NS1_11comp_targetILNS1_3genE9ELNS1_11target_archE1100ELNS1_3gpuE3ELNS1_3repE0EEENS1_30default_config_static_selectorELNS0_4arch9wavefront6targetE0EEEvSZ_,comdat
	.globl	_ZN7rocprim17ROCPRIM_400000_NS6detail17trampoline_kernelINS0_13select_configILj256ELj13ELNS0_17block_load_methodE3ELS4_3ELS4_3ELNS0_20block_scan_algorithmE0ELj4294967295EEENS1_25partition_config_selectorILNS1_17partition_subalgoE3EjNS0_10empty_typeEbEEZZNS1_14partition_implILS8_3ELb0ES6_jNS0_17counting_iteratorIjlEEPS9_SE_NS0_5tupleIJPjSE_EEENSF_IJSE_SE_EEES9_SG_JZNS1_25segmented_radix_sort_implINS0_14default_configELb0EPK12hip_bfloat16PSL_PKlPlN2at6native12_GLOBAL__N_18offset_tEEE10hipError_tPvRmT1_PNSt15iterator_traitsISZ_E10value_typeET2_T3_PNS10_IS15_E10value_typeET4_jRbjT5_S1B_jjP12ihipStream_tbEUljE_EEESW_SX_SY_S15_S19_S1B_T6_T7_T9_mT8_S1D_bDpT10_ENKUlT_T0_E_clISt17integral_constantIbLb0EES1Q_EEDaS1L_S1M_EUlS1L_E_NS1_11comp_targetILNS1_3genE9ELNS1_11target_archE1100ELNS1_3gpuE3ELNS1_3repE0EEENS1_30default_config_static_selectorELNS0_4arch9wavefront6targetE0EEEvSZ_ ; -- Begin function _ZN7rocprim17ROCPRIM_400000_NS6detail17trampoline_kernelINS0_13select_configILj256ELj13ELNS0_17block_load_methodE3ELS4_3ELS4_3ELNS0_20block_scan_algorithmE0ELj4294967295EEENS1_25partition_config_selectorILNS1_17partition_subalgoE3EjNS0_10empty_typeEbEEZZNS1_14partition_implILS8_3ELb0ES6_jNS0_17counting_iteratorIjlEEPS9_SE_NS0_5tupleIJPjSE_EEENSF_IJSE_SE_EEES9_SG_JZNS1_25segmented_radix_sort_implINS0_14default_configELb0EPK12hip_bfloat16PSL_PKlPlN2at6native12_GLOBAL__N_18offset_tEEE10hipError_tPvRmT1_PNSt15iterator_traitsISZ_E10value_typeET2_T3_PNS10_IS15_E10value_typeET4_jRbjT5_S1B_jjP12ihipStream_tbEUljE_EEESW_SX_SY_S15_S19_S1B_T6_T7_T9_mT8_S1D_bDpT10_ENKUlT_T0_E_clISt17integral_constantIbLb0EES1Q_EEDaS1L_S1M_EUlS1L_E_NS1_11comp_targetILNS1_3genE9ELNS1_11target_archE1100ELNS1_3gpuE3ELNS1_3repE0EEENS1_30default_config_static_selectorELNS0_4arch9wavefront6targetE0EEEvSZ_
	.p2align	8
	.type	_ZN7rocprim17ROCPRIM_400000_NS6detail17trampoline_kernelINS0_13select_configILj256ELj13ELNS0_17block_load_methodE3ELS4_3ELS4_3ELNS0_20block_scan_algorithmE0ELj4294967295EEENS1_25partition_config_selectorILNS1_17partition_subalgoE3EjNS0_10empty_typeEbEEZZNS1_14partition_implILS8_3ELb0ES6_jNS0_17counting_iteratorIjlEEPS9_SE_NS0_5tupleIJPjSE_EEENSF_IJSE_SE_EEES9_SG_JZNS1_25segmented_radix_sort_implINS0_14default_configELb0EPK12hip_bfloat16PSL_PKlPlN2at6native12_GLOBAL__N_18offset_tEEE10hipError_tPvRmT1_PNSt15iterator_traitsISZ_E10value_typeET2_T3_PNS10_IS15_E10value_typeET4_jRbjT5_S1B_jjP12ihipStream_tbEUljE_EEESW_SX_SY_S15_S19_S1B_T6_T7_T9_mT8_S1D_bDpT10_ENKUlT_T0_E_clISt17integral_constantIbLb0EES1Q_EEDaS1L_S1M_EUlS1L_E_NS1_11comp_targetILNS1_3genE9ELNS1_11target_archE1100ELNS1_3gpuE3ELNS1_3repE0EEENS1_30default_config_static_selectorELNS0_4arch9wavefront6targetE0EEEvSZ_,@function
_ZN7rocprim17ROCPRIM_400000_NS6detail17trampoline_kernelINS0_13select_configILj256ELj13ELNS0_17block_load_methodE3ELS4_3ELS4_3ELNS0_20block_scan_algorithmE0ELj4294967295EEENS1_25partition_config_selectorILNS1_17partition_subalgoE3EjNS0_10empty_typeEbEEZZNS1_14partition_implILS8_3ELb0ES6_jNS0_17counting_iteratorIjlEEPS9_SE_NS0_5tupleIJPjSE_EEENSF_IJSE_SE_EEES9_SG_JZNS1_25segmented_radix_sort_implINS0_14default_configELb0EPK12hip_bfloat16PSL_PKlPlN2at6native12_GLOBAL__N_18offset_tEEE10hipError_tPvRmT1_PNSt15iterator_traitsISZ_E10value_typeET2_T3_PNS10_IS15_E10value_typeET4_jRbjT5_S1B_jjP12ihipStream_tbEUljE_EEESW_SX_SY_S15_S19_S1B_T6_T7_T9_mT8_S1D_bDpT10_ENKUlT_T0_E_clISt17integral_constantIbLb0EES1Q_EEDaS1L_S1M_EUlS1L_E_NS1_11comp_targetILNS1_3genE9ELNS1_11target_archE1100ELNS1_3gpuE3ELNS1_3repE0EEENS1_30default_config_static_selectorELNS0_4arch9wavefront6targetE0EEEvSZ_: ; @_ZN7rocprim17ROCPRIM_400000_NS6detail17trampoline_kernelINS0_13select_configILj256ELj13ELNS0_17block_load_methodE3ELS4_3ELS4_3ELNS0_20block_scan_algorithmE0ELj4294967295EEENS1_25partition_config_selectorILNS1_17partition_subalgoE3EjNS0_10empty_typeEbEEZZNS1_14partition_implILS8_3ELb0ES6_jNS0_17counting_iteratorIjlEEPS9_SE_NS0_5tupleIJPjSE_EEENSF_IJSE_SE_EEES9_SG_JZNS1_25segmented_radix_sort_implINS0_14default_configELb0EPK12hip_bfloat16PSL_PKlPlN2at6native12_GLOBAL__N_18offset_tEEE10hipError_tPvRmT1_PNSt15iterator_traitsISZ_E10value_typeET2_T3_PNS10_IS15_E10value_typeET4_jRbjT5_S1B_jjP12ihipStream_tbEUljE_EEESW_SX_SY_S15_S19_S1B_T6_T7_T9_mT8_S1D_bDpT10_ENKUlT_T0_E_clISt17integral_constantIbLb0EES1Q_EEDaS1L_S1M_EUlS1L_E_NS1_11comp_targetILNS1_3genE9ELNS1_11target_archE1100ELNS1_3gpuE3ELNS1_3repE0EEENS1_30default_config_static_selectorELNS0_4arch9wavefront6targetE0EEEvSZ_
; %bb.0:
	.section	.rodata,"a",@progbits
	.p2align	6, 0x0
	.amdhsa_kernel _ZN7rocprim17ROCPRIM_400000_NS6detail17trampoline_kernelINS0_13select_configILj256ELj13ELNS0_17block_load_methodE3ELS4_3ELS4_3ELNS0_20block_scan_algorithmE0ELj4294967295EEENS1_25partition_config_selectorILNS1_17partition_subalgoE3EjNS0_10empty_typeEbEEZZNS1_14partition_implILS8_3ELb0ES6_jNS0_17counting_iteratorIjlEEPS9_SE_NS0_5tupleIJPjSE_EEENSF_IJSE_SE_EEES9_SG_JZNS1_25segmented_radix_sort_implINS0_14default_configELb0EPK12hip_bfloat16PSL_PKlPlN2at6native12_GLOBAL__N_18offset_tEEE10hipError_tPvRmT1_PNSt15iterator_traitsISZ_E10value_typeET2_T3_PNS10_IS15_E10value_typeET4_jRbjT5_S1B_jjP12ihipStream_tbEUljE_EEESW_SX_SY_S15_S19_S1B_T6_T7_T9_mT8_S1D_bDpT10_ENKUlT_T0_E_clISt17integral_constantIbLb0EES1Q_EEDaS1L_S1M_EUlS1L_E_NS1_11comp_targetILNS1_3genE9ELNS1_11target_archE1100ELNS1_3gpuE3ELNS1_3repE0EEENS1_30default_config_static_selectorELNS0_4arch9wavefront6targetE0EEEvSZ_
		.amdhsa_group_segment_fixed_size 0
		.amdhsa_private_segment_fixed_size 0
		.amdhsa_kernarg_size 144
		.amdhsa_user_sgpr_count 2
		.amdhsa_user_sgpr_dispatch_ptr 0
		.amdhsa_user_sgpr_queue_ptr 0
		.amdhsa_user_sgpr_kernarg_segment_ptr 1
		.amdhsa_user_sgpr_dispatch_id 0
		.amdhsa_user_sgpr_kernarg_preload_length 0
		.amdhsa_user_sgpr_kernarg_preload_offset 0
		.amdhsa_user_sgpr_private_segment_size 0
		.amdhsa_wavefront_size32 1
		.amdhsa_uses_dynamic_stack 0
		.amdhsa_enable_private_segment 0
		.amdhsa_system_sgpr_workgroup_id_x 1
		.amdhsa_system_sgpr_workgroup_id_y 0
		.amdhsa_system_sgpr_workgroup_id_z 0
		.amdhsa_system_sgpr_workgroup_info 0
		.amdhsa_system_vgpr_workitem_id 0
		.amdhsa_next_free_vgpr 1
		.amdhsa_next_free_sgpr 1
		.amdhsa_named_barrier_count 0
		.amdhsa_reserve_vcc 0
		.amdhsa_float_round_mode_32 0
		.amdhsa_float_round_mode_16_64 0
		.amdhsa_float_denorm_mode_32 3
		.amdhsa_float_denorm_mode_16_64 3
		.amdhsa_fp16_overflow 0
		.amdhsa_memory_ordered 1
		.amdhsa_forward_progress 1
		.amdhsa_inst_pref_size 0
		.amdhsa_round_robin_scheduling 0
		.amdhsa_exception_fp_ieee_invalid_op 0
		.amdhsa_exception_fp_denorm_src 0
		.amdhsa_exception_fp_ieee_div_zero 0
		.amdhsa_exception_fp_ieee_overflow 0
		.amdhsa_exception_fp_ieee_underflow 0
		.amdhsa_exception_fp_ieee_inexact 0
		.amdhsa_exception_int_div_zero 0
	.end_amdhsa_kernel
	.section	.text._ZN7rocprim17ROCPRIM_400000_NS6detail17trampoline_kernelINS0_13select_configILj256ELj13ELNS0_17block_load_methodE3ELS4_3ELS4_3ELNS0_20block_scan_algorithmE0ELj4294967295EEENS1_25partition_config_selectorILNS1_17partition_subalgoE3EjNS0_10empty_typeEbEEZZNS1_14partition_implILS8_3ELb0ES6_jNS0_17counting_iteratorIjlEEPS9_SE_NS0_5tupleIJPjSE_EEENSF_IJSE_SE_EEES9_SG_JZNS1_25segmented_radix_sort_implINS0_14default_configELb0EPK12hip_bfloat16PSL_PKlPlN2at6native12_GLOBAL__N_18offset_tEEE10hipError_tPvRmT1_PNSt15iterator_traitsISZ_E10value_typeET2_T3_PNS10_IS15_E10value_typeET4_jRbjT5_S1B_jjP12ihipStream_tbEUljE_EEESW_SX_SY_S15_S19_S1B_T6_T7_T9_mT8_S1D_bDpT10_ENKUlT_T0_E_clISt17integral_constantIbLb0EES1Q_EEDaS1L_S1M_EUlS1L_E_NS1_11comp_targetILNS1_3genE9ELNS1_11target_archE1100ELNS1_3gpuE3ELNS1_3repE0EEENS1_30default_config_static_selectorELNS0_4arch9wavefront6targetE0EEEvSZ_,"axG",@progbits,_ZN7rocprim17ROCPRIM_400000_NS6detail17trampoline_kernelINS0_13select_configILj256ELj13ELNS0_17block_load_methodE3ELS4_3ELS4_3ELNS0_20block_scan_algorithmE0ELj4294967295EEENS1_25partition_config_selectorILNS1_17partition_subalgoE3EjNS0_10empty_typeEbEEZZNS1_14partition_implILS8_3ELb0ES6_jNS0_17counting_iteratorIjlEEPS9_SE_NS0_5tupleIJPjSE_EEENSF_IJSE_SE_EEES9_SG_JZNS1_25segmented_radix_sort_implINS0_14default_configELb0EPK12hip_bfloat16PSL_PKlPlN2at6native12_GLOBAL__N_18offset_tEEE10hipError_tPvRmT1_PNSt15iterator_traitsISZ_E10value_typeET2_T3_PNS10_IS15_E10value_typeET4_jRbjT5_S1B_jjP12ihipStream_tbEUljE_EEESW_SX_SY_S15_S19_S1B_T6_T7_T9_mT8_S1D_bDpT10_ENKUlT_T0_E_clISt17integral_constantIbLb0EES1Q_EEDaS1L_S1M_EUlS1L_E_NS1_11comp_targetILNS1_3genE9ELNS1_11target_archE1100ELNS1_3gpuE3ELNS1_3repE0EEENS1_30default_config_static_selectorELNS0_4arch9wavefront6targetE0EEEvSZ_,comdat
.Lfunc_end2013:
	.size	_ZN7rocprim17ROCPRIM_400000_NS6detail17trampoline_kernelINS0_13select_configILj256ELj13ELNS0_17block_load_methodE3ELS4_3ELS4_3ELNS0_20block_scan_algorithmE0ELj4294967295EEENS1_25partition_config_selectorILNS1_17partition_subalgoE3EjNS0_10empty_typeEbEEZZNS1_14partition_implILS8_3ELb0ES6_jNS0_17counting_iteratorIjlEEPS9_SE_NS0_5tupleIJPjSE_EEENSF_IJSE_SE_EEES9_SG_JZNS1_25segmented_radix_sort_implINS0_14default_configELb0EPK12hip_bfloat16PSL_PKlPlN2at6native12_GLOBAL__N_18offset_tEEE10hipError_tPvRmT1_PNSt15iterator_traitsISZ_E10value_typeET2_T3_PNS10_IS15_E10value_typeET4_jRbjT5_S1B_jjP12ihipStream_tbEUljE_EEESW_SX_SY_S15_S19_S1B_T6_T7_T9_mT8_S1D_bDpT10_ENKUlT_T0_E_clISt17integral_constantIbLb0EES1Q_EEDaS1L_S1M_EUlS1L_E_NS1_11comp_targetILNS1_3genE9ELNS1_11target_archE1100ELNS1_3gpuE3ELNS1_3repE0EEENS1_30default_config_static_selectorELNS0_4arch9wavefront6targetE0EEEvSZ_, .Lfunc_end2013-_ZN7rocprim17ROCPRIM_400000_NS6detail17trampoline_kernelINS0_13select_configILj256ELj13ELNS0_17block_load_methodE3ELS4_3ELS4_3ELNS0_20block_scan_algorithmE0ELj4294967295EEENS1_25partition_config_selectorILNS1_17partition_subalgoE3EjNS0_10empty_typeEbEEZZNS1_14partition_implILS8_3ELb0ES6_jNS0_17counting_iteratorIjlEEPS9_SE_NS0_5tupleIJPjSE_EEENSF_IJSE_SE_EEES9_SG_JZNS1_25segmented_radix_sort_implINS0_14default_configELb0EPK12hip_bfloat16PSL_PKlPlN2at6native12_GLOBAL__N_18offset_tEEE10hipError_tPvRmT1_PNSt15iterator_traitsISZ_E10value_typeET2_T3_PNS10_IS15_E10value_typeET4_jRbjT5_S1B_jjP12ihipStream_tbEUljE_EEESW_SX_SY_S15_S19_S1B_T6_T7_T9_mT8_S1D_bDpT10_ENKUlT_T0_E_clISt17integral_constantIbLb0EES1Q_EEDaS1L_S1M_EUlS1L_E_NS1_11comp_targetILNS1_3genE9ELNS1_11target_archE1100ELNS1_3gpuE3ELNS1_3repE0EEENS1_30default_config_static_selectorELNS0_4arch9wavefront6targetE0EEEvSZ_
                                        ; -- End function
	.set _ZN7rocprim17ROCPRIM_400000_NS6detail17trampoline_kernelINS0_13select_configILj256ELj13ELNS0_17block_load_methodE3ELS4_3ELS4_3ELNS0_20block_scan_algorithmE0ELj4294967295EEENS1_25partition_config_selectorILNS1_17partition_subalgoE3EjNS0_10empty_typeEbEEZZNS1_14partition_implILS8_3ELb0ES6_jNS0_17counting_iteratorIjlEEPS9_SE_NS0_5tupleIJPjSE_EEENSF_IJSE_SE_EEES9_SG_JZNS1_25segmented_radix_sort_implINS0_14default_configELb0EPK12hip_bfloat16PSL_PKlPlN2at6native12_GLOBAL__N_18offset_tEEE10hipError_tPvRmT1_PNSt15iterator_traitsISZ_E10value_typeET2_T3_PNS10_IS15_E10value_typeET4_jRbjT5_S1B_jjP12ihipStream_tbEUljE_EEESW_SX_SY_S15_S19_S1B_T6_T7_T9_mT8_S1D_bDpT10_ENKUlT_T0_E_clISt17integral_constantIbLb0EES1Q_EEDaS1L_S1M_EUlS1L_E_NS1_11comp_targetILNS1_3genE9ELNS1_11target_archE1100ELNS1_3gpuE3ELNS1_3repE0EEENS1_30default_config_static_selectorELNS0_4arch9wavefront6targetE0EEEvSZ_.num_vgpr, 0
	.set _ZN7rocprim17ROCPRIM_400000_NS6detail17trampoline_kernelINS0_13select_configILj256ELj13ELNS0_17block_load_methodE3ELS4_3ELS4_3ELNS0_20block_scan_algorithmE0ELj4294967295EEENS1_25partition_config_selectorILNS1_17partition_subalgoE3EjNS0_10empty_typeEbEEZZNS1_14partition_implILS8_3ELb0ES6_jNS0_17counting_iteratorIjlEEPS9_SE_NS0_5tupleIJPjSE_EEENSF_IJSE_SE_EEES9_SG_JZNS1_25segmented_radix_sort_implINS0_14default_configELb0EPK12hip_bfloat16PSL_PKlPlN2at6native12_GLOBAL__N_18offset_tEEE10hipError_tPvRmT1_PNSt15iterator_traitsISZ_E10value_typeET2_T3_PNS10_IS15_E10value_typeET4_jRbjT5_S1B_jjP12ihipStream_tbEUljE_EEESW_SX_SY_S15_S19_S1B_T6_T7_T9_mT8_S1D_bDpT10_ENKUlT_T0_E_clISt17integral_constantIbLb0EES1Q_EEDaS1L_S1M_EUlS1L_E_NS1_11comp_targetILNS1_3genE9ELNS1_11target_archE1100ELNS1_3gpuE3ELNS1_3repE0EEENS1_30default_config_static_selectorELNS0_4arch9wavefront6targetE0EEEvSZ_.num_agpr, 0
	.set _ZN7rocprim17ROCPRIM_400000_NS6detail17trampoline_kernelINS0_13select_configILj256ELj13ELNS0_17block_load_methodE3ELS4_3ELS4_3ELNS0_20block_scan_algorithmE0ELj4294967295EEENS1_25partition_config_selectorILNS1_17partition_subalgoE3EjNS0_10empty_typeEbEEZZNS1_14partition_implILS8_3ELb0ES6_jNS0_17counting_iteratorIjlEEPS9_SE_NS0_5tupleIJPjSE_EEENSF_IJSE_SE_EEES9_SG_JZNS1_25segmented_radix_sort_implINS0_14default_configELb0EPK12hip_bfloat16PSL_PKlPlN2at6native12_GLOBAL__N_18offset_tEEE10hipError_tPvRmT1_PNSt15iterator_traitsISZ_E10value_typeET2_T3_PNS10_IS15_E10value_typeET4_jRbjT5_S1B_jjP12ihipStream_tbEUljE_EEESW_SX_SY_S15_S19_S1B_T6_T7_T9_mT8_S1D_bDpT10_ENKUlT_T0_E_clISt17integral_constantIbLb0EES1Q_EEDaS1L_S1M_EUlS1L_E_NS1_11comp_targetILNS1_3genE9ELNS1_11target_archE1100ELNS1_3gpuE3ELNS1_3repE0EEENS1_30default_config_static_selectorELNS0_4arch9wavefront6targetE0EEEvSZ_.numbered_sgpr, 0
	.set _ZN7rocprim17ROCPRIM_400000_NS6detail17trampoline_kernelINS0_13select_configILj256ELj13ELNS0_17block_load_methodE3ELS4_3ELS4_3ELNS0_20block_scan_algorithmE0ELj4294967295EEENS1_25partition_config_selectorILNS1_17partition_subalgoE3EjNS0_10empty_typeEbEEZZNS1_14partition_implILS8_3ELb0ES6_jNS0_17counting_iteratorIjlEEPS9_SE_NS0_5tupleIJPjSE_EEENSF_IJSE_SE_EEES9_SG_JZNS1_25segmented_radix_sort_implINS0_14default_configELb0EPK12hip_bfloat16PSL_PKlPlN2at6native12_GLOBAL__N_18offset_tEEE10hipError_tPvRmT1_PNSt15iterator_traitsISZ_E10value_typeET2_T3_PNS10_IS15_E10value_typeET4_jRbjT5_S1B_jjP12ihipStream_tbEUljE_EEESW_SX_SY_S15_S19_S1B_T6_T7_T9_mT8_S1D_bDpT10_ENKUlT_T0_E_clISt17integral_constantIbLb0EES1Q_EEDaS1L_S1M_EUlS1L_E_NS1_11comp_targetILNS1_3genE9ELNS1_11target_archE1100ELNS1_3gpuE3ELNS1_3repE0EEENS1_30default_config_static_selectorELNS0_4arch9wavefront6targetE0EEEvSZ_.num_named_barrier, 0
	.set _ZN7rocprim17ROCPRIM_400000_NS6detail17trampoline_kernelINS0_13select_configILj256ELj13ELNS0_17block_load_methodE3ELS4_3ELS4_3ELNS0_20block_scan_algorithmE0ELj4294967295EEENS1_25partition_config_selectorILNS1_17partition_subalgoE3EjNS0_10empty_typeEbEEZZNS1_14partition_implILS8_3ELb0ES6_jNS0_17counting_iteratorIjlEEPS9_SE_NS0_5tupleIJPjSE_EEENSF_IJSE_SE_EEES9_SG_JZNS1_25segmented_radix_sort_implINS0_14default_configELb0EPK12hip_bfloat16PSL_PKlPlN2at6native12_GLOBAL__N_18offset_tEEE10hipError_tPvRmT1_PNSt15iterator_traitsISZ_E10value_typeET2_T3_PNS10_IS15_E10value_typeET4_jRbjT5_S1B_jjP12ihipStream_tbEUljE_EEESW_SX_SY_S15_S19_S1B_T6_T7_T9_mT8_S1D_bDpT10_ENKUlT_T0_E_clISt17integral_constantIbLb0EES1Q_EEDaS1L_S1M_EUlS1L_E_NS1_11comp_targetILNS1_3genE9ELNS1_11target_archE1100ELNS1_3gpuE3ELNS1_3repE0EEENS1_30default_config_static_selectorELNS0_4arch9wavefront6targetE0EEEvSZ_.private_seg_size, 0
	.set _ZN7rocprim17ROCPRIM_400000_NS6detail17trampoline_kernelINS0_13select_configILj256ELj13ELNS0_17block_load_methodE3ELS4_3ELS4_3ELNS0_20block_scan_algorithmE0ELj4294967295EEENS1_25partition_config_selectorILNS1_17partition_subalgoE3EjNS0_10empty_typeEbEEZZNS1_14partition_implILS8_3ELb0ES6_jNS0_17counting_iteratorIjlEEPS9_SE_NS0_5tupleIJPjSE_EEENSF_IJSE_SE_EEES9_SG_JZNS1_25segmented_radix_sort_implINS0_14default_configELb0EPK12hip_bfloat16PSL_PKlPlN2at6native12_GLOBAL__N_18offset_tEEE10hipError_tPvRmT1_PNSt15iterator_traitsISZ_E10value_typeET2_T3_PNS10_IS15_E10value_typeET4_jRbjT5_S1B_jjP12ihipStream_tbEUljE_EEESW_SX_SY_S15_S19_S1B_T6_T7_T9_mT8_S1D_bDpT10_ENKUlT_T0_E_clISt17integral_constantIbLb0EES1Q_EEDaS1L_S1M_EUlS1L_E_NS1_11comp_targetILNS1_3genE9ELNS1_11target_archE1100ELNS1_3gpuE3ELNS1_3repE0EEENS1_30default_config_static_selectorELNS0_4arch9wavefront6targetE0EEEvSZ_.uses_vcc, 0
	.set _ZN7rocprim17ROCPRIM_400000_NS6detail17trampoline_kernelINS0_13select_configILj256ELj13ELNS0_17block_load_methodE3ELS4_3ELS4_3ELNS0_20block_scan_algorithmE0ELj4294967295EEENS1_25partition_config_selectorILNS1_17partition_subalgoE3EjNS0_10empty_typeEbEEZZNS1_14partition_implILS8_3ELb0ES6_jNS0_17counting_iteratorIjlEEPS9_SE_NS0_5tupleIJPjSE_EEENSF_IJSE_SE_EEES9_SG_JZNS1_25segmented_radix_sort_implINS0_14default_configELb0EPK12hip_bfloat16PSL_PKlPlN2at6native12_GLOBAL__N_18offset_tEEE10hipError_tPvRmT1_PNSt15iterator_traitsISZ_E10value_typeET2_T3_PNS10_IS15_E10value_typeET4_jRbjT5_S1B_jjP12ihipStream_tbEUljE_EEESW_SX_SY_S15_S19_S1B_T6_T7_T9_mT8_S1D_bDpT10_ENKUlT_T0_E_clISt17integral_constantIbLb0EES1Q_EEDaS1L_S1M_EUlS1L_E_NS1_11comp_targetILNS1_3genE9ELNS1_11target_archE1100ELNS1_3gpuE3ELNS1_3repE0EEENS1_30default_config_static_selectorELNS0_4arch9wavefront6targetE0EEEvSZ_.uses_flat_scratch, 0
	.set _ZN7rocprim17ROCPRIM_400000_NS6detail17trampoline_kernelINS0_13select_configILj256ELj13ELNS0_17block_load_methodE3ELS4_3ELS4_3ELNS0_20block_scan_algorithmE0ELj4294967295EEENS1_25partition_config_selectorILNS1_17partition_subalgoE3EjNS0_10empty_typeEbEEZZNS1_14partition_implILS8_3ELb0ES6_jNS0_17counting_iteratorIjlEEPS9_SE_NS0_5tupleIJPjSE_EEENSF_IJSE_SE_EEES9_SG_JZNS1_25segmented_radix_sort_implINS0_14default_configELb0EPK12hip_bfloat16PSL_PKlPlN2at6native12_GLOBAL__N_18offset_tEEE10hipError_tPvRmT1_PNSt15iterator_traitsISZ_E10value_typeET2_T3_PNS10_IS15_E10value_typeET4_jRbjT5_S1B_jjP12ihipStream_tbEUljE_EEESW_SX_SY_S15_S19_S1B_T6_T7_T9_mT8_S1D_bDpT10_ENKUlT_T0_E_clISt17integral_constantIbLb0EES1Q_EEDaS1L_S1M_EUlS1L_E_NS1_11comp_targetILNS1_3genE9ELNS1_11target_archE1100ELNS1_3gpuE3ELNS1_3repE0EEENS1_30default_config_static_selectorELNS0_4arch9wavefront6targetE0EEEvSZ_.has_dyn_sized_stack, 0
	.set _ZN7rocprim17ROCPRIM_400000_NS6detail17trampoline_kernelINS0_13select_configILj256ELj13ELNS0_17block_load_methodE3ELS4_3ELS4_3ELNS0_20block_scan_algorithmE0ELj4294967295EEENS1_25partition_config_selectorILNS1_17partition_subalgoE3EjNS0_10empty_typeEbEEZZNS1_14partition_implILS8_3ELb0ES6_jNS0_17counting_iteratorIjlEEPS9_SE_NS0_5tupleIJPjSE_EEENSF_IJSE_SE_EEES9_SG_JZNS1_25segmented_radix_sort_implINS0_14default_configELb0EPK12hip_bfloat16PSL_PKlPlN2at6native12_GLOBAL__N_18offset_tEEE10hipError_tPvRmT1_PNSt15iterator_traitsISZ_E10value_typeET2_T3_PNS10_IS15_E10value_typeET4_jRbjT5_S1B_jjP12ihipStream_tbEUljE_EEESW_SX_SY_S15_S19_S1B_T6_T7_T9_mT8_S1D_bDpT10_ENKUlT_T0_E_clISt17integral_constantIbLb0EES1Q_EEDaS1L_S1M_EUlS1L_E_NS1_11comp_targetILNS1_3genE9ELNS1_11target_archE1100ELNS1_3gpuE3ELNS1_3repE0EEENS1_30default_config_static_selectorELNS0_4arch9wavefront6targetE0EEEvSZ_.has_recursion, 0
	.set _ZN7rocprim17ROCPRIM_400000_NS6detail17trampoline_kernelINS0_13select_configILj256ELj13ELNS0_17block_load_methodE3ELS4_3ELS4_3ELNS0_20block_scan_algorithmE0ELj4294967295EEENS1_25partition_config_selectorILNS1_17partition_subalgoE3EjNS0_10empty_typeEbEEZZNS1_14partition_implILS8_3ELb0ES6_jNS0_17counting_iteratorIjlEEPS9_SE_NS0_5tupleIJPjSE_EEENSF_IJSE_SE_EEES9_SG_JZNS1_25segmented_radix_sort_implINS0_14default_configELb0EPK12hip_bfloat16PSL_PKlPlN2at6native12_GLOBAL__N_18offset_tEEE10hipError_tPvRmT1_PNSt15iterator_traitsISZ_E10value_typeET2_T3_PNS10_IS15_E10value_typeET4_jRbjT5_S1B_jjP12ihipStream_tbEUljE_EEESW_SX_SY_S15_S19_S1B_T6_T7_T9_mT8_S1D_bDpT10_ENKUlT_T0_E_clISt17integral_constantIbLb0EES1Q_EEDaS1L_S1M_EUlS1L_E_NS1_11comp_targetILNS1_3genE9ELNS1_11target_archE1100ELNS1_3gpuE3ELNS1_3repE0EEENS1_30default_config_static_selectorELNS0_4arch9wavefront6targetE0EEEvSZ_.has_indirect_call, 0
	.section	.AMDGPU.csdata,"",@progbits
; Kernel info:
; codeLenInByte = 0
; TotalNumSgprs: 0
; NumVgprs: 0
; ScratchSize: 0
; MemoryBound: 0
; FloatMode: 240
; IeeeMode: 1
; LDSByteSize: 0 bytes/workgroup (compile time only)
; SGPRBlocks: 0
; VGPRBlocks: 0
; NumSGPRsForWavesPerEU: 1
; NumVGPRsForWavesPerEU: 1
; NamedBarCnt: 0
; Occupancy: 16
; WaveLimiterHint : 0
; COMPUTE_PGM_RSRC2:SCRATCH_EN: 0
; COMPUTE_PGM_RSRC2:USER_SGPR: 2
; COMPUTE_PGM_RSRC2:TRAP_HANDLER: 0
; COMPUTE_PGM_RSRC2:TGID_X_EN: 1
; COMPUTE_PGM_RSRC2:TGID_Y_EN: 0
; COMPUTE_PGM_RSRC2:TGID_Z_EN: 0
; COMPUTE_PGM_RSRC2:TIDIG_COMP_CNT: 0
	.section	.text._ZN7rocprim17ROCPRIM_400000_NS6detail17trampoline_kernelINS0_13select_configILj256ELj13ELNS0_17block_load_methodE3ELS4_3ELS4_3ELNS0_20block_scan_algorithmE0ELj4294967295EEENS1_25partition_config_selectorILNS1_17partition_subalgoE3EjNS0_10empty_typeEbEEZZNS1_14partition_implILS8_3ELb0ES6_jNS0_17counting_iteratorIjlEEPS9_SE_NS0_5tupleIJPjSE_EEENSF_IJSE_SE_EEES9_SG_JZNS1_25segmented_radix_sort_implINS0_14default_configELb0EPK12hip_bfloat16PSL_PKlPlN2at6native12_GLOBAL__N_18offset_tEEE10hipError_tPvRmT1_PNSt15iterator_traitsISZ_E10value_typeET2_T3_PNS10_IS15_E10value_typeET4_jRbjT5_S1B_jjP12ihipStream_tbEUljE_EEESW_SX_SY_S15_S19_S1B_T6_T7_T9_mT8_S1D_bDpT10_ENKUlT_T0_E_clISt17integral_constantIbLb0EES1Q_EEDaS1L_S1M_EUlS1L_E_NS1_11comp_targetILNS1_3genE8ELNS1_11target_archE1030ELNS1_3gpuE2ELNS1_3repE0EEENS1_30default_config_static_selectorELNS0_4arch9wavefront6targetE0EEEvSZ_,"axG",@progbits,_ZN7rocprim17ROCPRIM_400000_NS6detail17trampoline_kernelINS0_13select_configILj256ELj13ELNS0_17block_load_methodE3ELS4_3ELS4_3ELNS0_20block_scan_algorithmE0ELj4294967295EEENS1_25partition_config_selectorILNS1_17partition_subalgoE3EjNS0_10empty_typeEbEEZZNS1_14partition_implILS8_3ELb0ES6_jNS0_17counting_iteratorIjlEEPS9_SE_NS0_5tupleIJPjSE_EEENSF_IJSE_SE_EEES9_SG_JZNS1_25segmented_radix_sort_implINS0_14default_configELb0EPK12hip_bfloat16PSL_PKlPlN2at6native12_GLOBAL__N_18offset_tEEE10hipError_tPvRmT1_PNSt15iterator_traitsISZ_E10value_typeET2_T3_PNS10_IS15_E10value_typeET4_jRbjT5_S1B_jjP12ihipStream_tbEUljE_EEESW_SX_SY_S15_S19_S1B_T6_T7_T9_mT8_S1D_bDpT10_ENKUlT_T0_E_clISt17integral_constantIbLb0EES1Q_EEDaS1L_S1M_EUlS1L_E_NS1_11comp_targetILNS1_3genE8ELNS1_11target_archE1030ELNS1_3gpuE2ELNS1_3repE0EEENS1_30default_config_static_selectorELNS0_4arch9wavefront6targetE0EEEvSZ_,comdat
	.globl	_ZN7rocprim17ROCPRIM_400000_NS6detail17trampoline_kernelINS0_13select_configILj256ELj13ELNS0_17block_load_methodE3ELS4_3ELS4_3ELNS0_20block_scan_algorithmE0ELj4294967295EEENS1_25partition_config_selectorILNS1_17partition_subalgoE3EjNS0_10empty_typeEbEEZZNS1_14partition_implILS8_3ELb0ES6_jNS0_17counting_iteratorIjlEEPS9_SE_NS0_5tupleIJPjSE_EEENSF_IJSE_SE_EEES9_SG_JZNS1_25segmented_radix_sort_implINS0_14default_configELb0EPK12hip_bfloat16PSL_PKlPlN2at6native12_GLOBAL__N_18offset_tEEE10hipError_tPvRmT1_PNSt15iterator_traitsISZ_E10value_typeET2_T3_PNS10_IS15_E10value_typeET4_jRbjT5_S1B_jjP12ihipStream_tbEUljE_EEESW_SX_SY_S15_S19_S1B_T6_T7_T9_mT8_S1D_bDpT10_ENKUlT_T0_E_clISt17integral_constantIbLb0EES1Q_EEDaS1L_S1M_EUlS1L_E_NS1_11comp_targetILNS1_3genE8ELNS1_11target_archE1030ELNS1_3gpuE2ELNS1_3repE0EEENS1_30default_config_static_selectorELNS0_4arch9wavefront6targetE0EEEvSZ_ ; -- Begin function _ZN7rocprim17ROCPRIM_400000_NS6detail17trampoline_kernelINS0_13select_configILj256ELj13ELNS0_17block_load_methodE3ELS4_3ELS4_3ELNS0_20block_scan_algorithmE0ELj4294967295EEENS1_25partition_config_selectorILNS1_17partition_subalgoE3EjNS0_10empty_typeEbEEZZNS1_14partition_implILS8_3ELb0ES6_jNS0_17counting_iteratorIjlEEPS9_SE_NS0_5tupleIJPjSE_EEENSF_IJSE_SE_EEES9_SG_JZNS1_25segmented_radix_sort_implINS0_14default_configELb0EPK12hip_bfloat16PSL_PKlPlN2at6native12_GLOBAL__N_18offset_tEEE10hipError_tPvRmT1_PNSt15iterator_traitsISZ_E10value_typeET2_T3_PNS10_IS15_E10value_typeET4_jRbjT5_S1B_jjP12ihipStream_tbEUljE_EEESW_SX_SY_S15_S19_S1B_T6_T7_T9_mT8_S1D_bDpT10_ENKUlT_T0_E_clISt17integral_constantIbLb0EES1Q_EEDaS1L_S1M_EUlS1L_E_NS1_11comp_targetILNS1_3genE8ELNS1_11target_archE1030ELNS1_3gpuE2ELNS1_3repE0EEENS1_30default_config_static_selectorELNS0_4arch9wavefront6targetE0EEEvSZ_
	.p2align	8
	.type	_ZN7rocprim17ROCPRIM_400000_NS6detail17trampoline_kernelINS0_13select_configILj256ELj13ELNS0_17block_load_methodE3ELS4_3ELS4_3ELNS0_20block_scan_algorithmE0ELj4294967295EEENS1_25partition_config_selectorILNS1_17partition_subalgoE3EjNS0_10empty_typeEbEEZZNS1_14partition_implILS8_3ELb0ES6_jNS0_17counting_iteratorIjlEEPS9_SE_NS0_5tupleIJPjSE_EEENSF_IJSE_SE_EEES9_SG_JZNS1_25segmented_radix_sort_implINS0_14default_configELb0EPK12hip_bfloat16PSL_PKlPlN2at6native12_GLOBAL__N_18offset_tEEE10hipError_tPvRmT1_PNSt15iterator_traitsISZ_E10value_typeET2_T3_PNS10_IS15_E10value_typeET4_jRbjT5_S1B_jjP12ihipStream_tbEUljE_EEESW_SX_SY_S15_S19_S1B_T6_T7_T9_mT8_S1D_bDpT10_ENKUlT_T0_E_clISt17integral_constantIbLb0EES1Q_EEDaS1L_S1M_EUlS1L_E_NS1_11comp_targetILNS1_3genE8ELNS1_11target_archE1030ELNS1_3gpuE2ELNS1_3repE0EEENS1_30default_config_static_selectorELNS0_4arch9wavefront6targetE0EEEvSZ_,@function
_ZN7rocprim17ROCPRIM_400000_NS6detail17trampoline_kernelINS0_13select_configILj256ELj13ELNS0_17block_load_methodE3ELS4_3ELS4_3ELNS0_20block_scan_algorithmE0ELj4294967295EEENS1_25partition_config_selectorILNS1_17partition_subalgoE3EjNS0_10empty_typeEbEEZZNS1_14partition_implILS8_3ELb0ES6_jNS0_17counting_iteratorIjlEEPS9_SE_NS0_5tupleIJPjSE_EEENSF_IJSE_SE_EEES9_SG_JZNS1_25segmented_radix_sort_implINS0_14default_configELb0EPK12hip_bfloat16PSL_PKlPlN2at6native12_GLOBAL__N_18offset_tEEE10hipError_tPvRmT1_PNSt15iterator_traitsISZ_E10value_typeET2_T3_PNS10_IS15_E10value_typeET4_jRbjT5_S1B_jjP12ihipStream_tbEUljE_EEESW_SX_SY_S15_S19_S1B_T6_T7_T9_mT8_S1D_bDpT10_ENKUlT_T0_E_clISt17integral_constantIbLb0EES1Q_EEDaS1L_S1M_EUlS1L_E_NS1_11comp_targetILNS1_3genE8ELNS1_11target_archE1030ELNS1_3gpuE2ELNS1_3repE0EEENS1_30default_config_static_selectorELNS0_4arch9wavefront6targetE0EEEvSZ_: ; @_ZN7rocprim17ROCPRIM_400000_NS6detail17trampoline_kernelINS0_13select_configILj256ELj13ELNS0_17block_load_methodE3ELS4_3ELS4_3ELNS0_20block_scan_algorithmE0ELj4294967295EEENS1_25partition_config_selectorILNS1_17partition_subalgoE3EjNS0_10empty_typeEbEEZZNS1_14partition_implILS8_3ELb0ES6_jNS0_17counting_iteratorIjlEEPS9_SE_NS0_5tupleIJPjSE_EEENSF_IJSE_SE_EEES9_SG_JZNS1_25segmented_radix_sort_implINS0_14default_configELb0EPK12hip_bfloat16PSL_PKlPlN2at6native12_GLOBAL__N_18offset_tEEE10hipError_tPvRmT1_PNSt15iterator_traitsISZ_E10value_typeET2_T3_PNS10_IS15_E10value_typeET4_jRbjT5_S1B_jjP12ihipStream_tbEUljE_EEESW_SX_SY_S15_S19_S1B_T6_T7_T9_mT8_S1D_bDpT10_ENKUlT_T0_E_clISt17integral_constantIbLb0EES1Q_EEDaS1L_S1M_EUlS1L_E_NS1_11comp_targetILNS1_3genE8ELNS1_11target_archE1030ELNS1_3gpuE2ELNS1_3repE0EEENS1_30default_config_static_selectorELNS0_4arch9wavefront6targetE0EEEvSZ_
; %bb.0:
	.section	.rodata,"a",@progbits
	.p2align	6, 0x0
	.amdhsa_kernel _ZN7rocprim17ROCPRIM_400000_NS6detail17trampoline_kernelINS0_13select_configILj256ELj13ELNS0_17block_load_methodE3ELS4_3ELS4_3ELNS0_20block_scan_algorithmE0ELj4294967295EEENS1_25partition_config_selectorILNS1_17partition_subalgoE3EjNS0_10empty_typeEbEEZZNS1_14partition_implILS8_3ELb0ES6_jNS0_17counting_iteratorIjlEEPS9_SE_NS0_5tupleIJPjSE_EEENSF_IJSE_SE_EEES9_SG_JZNS1_25segmented_radix_sort_implINS0_14default_configELb0EPK12hip_bfloat16PSL_PKlPlN2at6native12_GLOBAL__N_18offset_tEEE10hipError_tPvRmT1_PNSt15iterator_traitsISZ_E10value_typeET2_T3_PNS10_IS15_E10value_typeET4_jRbjT5_S1B_jjP12ihipStream_tbEUljE_EEESW_SX_SY_S15_S19_S1B_T6_T7_T9_mT8_S1D_bDpT10_ENKUlT_T0_E_clISt17integral_constantIbLb0EES1Q_EEDaS1L_S1M_EUlS1L_E_NS1_11comp_targetILNS1_3genE8ELNS1_11target_archE1030ELNS1_3gpuE2ELNS1_3repE0EEENS1_30default_config_static_selectorELNS0_4arch9wavefront6targetE0EEEvSZ_
		.amdhsa_group_segment_fixed_size 0
		.amdhsa_private_segment_fixed_size 0
		.amdhsa_kernarg_size 144
		.amdhsa_user_sgpr_count 2
		.amdhsa_user_sgpr_dispatch_ptr 0
		.amdhsa_user_sgpr_queue_ptr 0
		.amdhsa_user_sgpr_kernarg_segment_ptr 1
		.amdhsa_user_sgpr_dispatch_id 0
		.amdhsa_user_sgpr_kernarg_preload_length 0
		.amdhsa_user_sgpr_kernarg_preload_offset 0
		.amdhsa_user_sgpr_private_segment_size 0
		.amdhsa_wavefront_size32 1
		.amdhsa_uses_dynamic_stack 0
		.amdhsa_enable_private_segment 0
		.amdhsa_system_sgpr_workgroup_id_x 1
		.amdhsa_system_sgpr_workgroup_id_y 0
		.amdhsa_system_sgpr_workgroup_id_z 0
		.amdhsa_system_sgpr_workgroup_info 0
		.amdhsa_system_vgpr_workitem_id 0
		.amdhsa_next_free_vgpr 1
		.amdhsa_next_free_sgpr 1
		.amdhsa_named_barrier_count 0
		.amdhsa_reserve_vcc 0
		.amdhsa_float_round_mode_32 0
		.amdhsa_float_round_mode_16_64 0
		.amdhsa_float_denorm_mode_32 3
		.amdhsa_float_denorm_mode_16_64 3
		.amdhsa_fp16_overflow 0
		.amdhsa_memory_ordered 1
		.amdhsa_forward_progress 1
		.amdhsa_inst_pref_size 0
		.amdhsa_round_robin_scheduling 0
		.amdhsa_exception_fp_ieee_invalid_op 0
		.amdhsa_exception_fp_denorm_src 0
		.amdhsa_exception_fp_ieee_div_zero 0
		.amdhsa_exception_fp_ieee_overflow 0
		.amdhsa_exception_fp_ieee_underflow 0
		.amdhsa_exception_fp_ieee_inexact 0
		.amdhsa_exception_int_div_zero 0
	.end_amdhsa_kernel
	.section	.text._ZN7rocprim17ROCPRIM_400000_NS6detail17trampoline_kernelINS0_13select_configILj256ELj13ELNS0_17block_load_methodE3ELS4_3ELS4_3ELNS0_20block_scan_algorithmE0ELj4294967295EEENS1_25partition_config_selectorILNS1_17partition_subalgoE3EjNS0_10empty_typeEbEEZZNS1_14partition_implILS8_3ELb0ES6_jNS0_17counting_iteratorIjlEEPS9_SE_NS0_5tupleIJPjSE_EEENSF_IJSE_SE_EEES9_SG_JZNS1_25segmented_radix_sort_implINS0_14default_configELb0EPK12hip_bfloat16PSL_PKlPlN2at6native12_GLOBAL__N_18offset_tEEE10hipError_tPvRmT1_PNSt15iterator_traitsISZ_E10value_typeET2_T3_PNS10_IS15_E10value_typeET4_jRbjT5_S1B_jjP12ihipStream_tbEUljE_EEESW_SX_SY_S15_S19_S1B_T6_T7_T9_mT8_S1D_bDpT10_ENKUlT_T0_E_clISt17integral_constantIbLb0EES1Q_EEDaS1L_S1M_EUlS1L_E_NS1_11comp_targetILNS1_3genE8ELNS1_11target_archE1030ELNS1_3gpuE2ELNS1_3repE0EEENS1_30default_config_static_selectorELNS0_4arch9wavefront6targetE0EEEvSZ_,"axG",@progbits,_ZN7rocprim17ROCPRIM_400000_NS6detail17trampoline_kernelINS0_13select_configILj256ELj13ELNS0_17block_load_methodE3ELS4_3ELS4_3ELNS0_20block_scan_algorithmE0ELj4294967295EEENS1_25partition_config_selectorILNS1_17partition_subalgoE3EjNS0_10empty_typeEbEEZZNS1_14partition_implILS8_3ELb0ES6_jNS0_17counting_iteratorIjlEEPS9_SE_NS0_5tupleIJPjSE_EEENSF_IJSE_SE_EEES9_SG_JZNS1_25segmented_radix_sort_implINS0_14default_configELb0EPK12hip_bfloat16PSL_PKlPlN2at6native12_GLOBAL__N_18offset_tEEE10hipError_tPvRmT1_PNSt15iterator_traitsISZ_E10value_typeET2_T3_PNS10_IS15_E10value_typeET4_jRbjT5_S1B_jjP12ihipStream_tbEUljE_EEESW_SX_SY_S15_S19_S1B_T6_T7_T9_mT8_S1D_bDpT10_ENKUlT_T0_E_clISt17integral_constantIbLb0EES1Q_EEDaS1L_S1M_EUlS1L_E_NS1_11comp_targetILNS1_3genE8ELNS1_11target_archE1030ELNS1_3gpuE2ELNS1_3repE0EEENS1_30default_config_static_selectorELNS0_4arch9wavefront6targetE0EEEvSZ_,comdat
.Lfunc_end2014:
	.size	_ZN7rocprim17ROCPRIM_400000_NS6detail17trampoline_kernelINS0_13select_configILj256ELj13ELNS0_17block_load_methodE3ELS4_3ELS4_3ELNS0_20block_scan_algorithmE0ELj4294967295EEENS1_25partition_config_selectorILNS1_17partition_subalgoE3EjNS0_10empty_typeEbEEZZNS1_14partition_implILS8_3ELb0ES6_jNS0_17counting_iteratorIjlEEPS9_SE_NS0_5tupleIJPjSE_EEENSF_IJSE_SE_EEES9_SG_JZNS1_25segmented_radix_sort_implINS0_14default_configELb0EPK12hip_bfloat16PSL_PKlPlN2at6native12_GLOBAL__N_18offset_tEEE10hipError_tPvRmT1_PNSt15iterator_traitsISZ_E10value_typeET2_T3_PNS10_IS15_E10value_typeET4_jRbjT5_S1B_jjP12ihipStream_tbEUljE_EEESW_SX_SY_S15_S19_S1B_T6_T7_T9_mT8_S1D_bDpT10_ENKUlT_T0_E_clISt17integral_constantIbLb0EES1Q_EEDaS1L_S1M_EUlS1L_E_NS1_11comp_targetILNS1_3genE8ELNS1_11target_archE1030ELNS1_3gpuE2ELNS1_3repE0EEENS1_30default_config_static_selectorELNS0_4arch9wavefront6targetE0EEEvSZ_, .Lfunc_end2014-_ZN7rocprim17ROCPRIM_400000_NS6detail17trampoline_kernelINS0_13select_configILj256ELj13ELNS0_17block_load_methodE3ELS4_3ELS4_3ELNS0_20block_scan_algorithmE0ELj4294967295EEENS1_25partition_config_selectorILNS1_17partition_subalgoE3EjNS0_10empty_typeEbEEZZNS1_14partition_implILS8_3ELb0ES6_jNS0_17counting_iteratorIjlEEPS9_SE_NS0_5tupleIJPjSE_EEENSF_IJSE_SE_EEES9_SG_JZNS1_25segmented_radix_sort_implINS0_14default_configELb0EPK12hip_bfloat16PSL_PKlPlN2at6native12_GLOBAL__N_18offset_tEEE10hipError_tPvRmT1_PNSt15iterator_traitsISZ_E10value_typeET2_T3_PNS10_IS15_E10value_typeET4_jRbjT5_S1B_jjP12ihipStream_tbEUljE_EEESW_SX_SY_S15_S19_S1B_T6_T7_T9_mT8_S1D_bDpT10_ENKUlT_T0_E_clISt17integral_constantIbLb0EES1Q_EEDaS1L_S1M_EUlS1L_E_NS1_11comp_targetILNS1_3genE8ELNS1_11target_archE1030ELNS1_3gpuE2ELNS1_3repE0EEENS1_30default_config_static_selectorELNS0_4arch9wavefront6targetE0EEEvSZ_
                                        ; -- End function
	.set _ZN7rocprim17ROCPRIM_400000_NS6detail17trampoline_kernelINS0_13select_configILj256ELj13ELNS0_17block_load_methodE3ELS4_3ELS4_3ELNS0_20block_scan_algorithmE0ELj4294967295EEENS1_25partition_config_selectorILNS1_17partition_subalgoE3EjNS0_10empty_typeEbEEZZNS1_14partition_implILS8_3ELb0ES6_jNS0_17counting_iteratorIjlEEPS9_SE_NS0_5tupleIJPjSE_EEENSF_IJSE_SE_EEES9_SG_JZNS1_25segmented_radix_sort_implINS0_14default_configELb0EPK12hip_bfloat16PSL_PKlPlN2at6native12_GLOBAL__N_18offset_tEEE10hipError_tPvRmT1_PNSt15iterator_traitsISZ_E10value_typeET2_T3_PNS10_IS15_E10value_typeET4_jRbjT5_S1B_jjP12ihipStream_tbEUljE_EEESW_SX_SY_S15_S19_S1B_T6_T7_T9_mT8_S1D_bDpT10_ENKUlT_T0_E_clISt17integral_constantIbLb0EES1Q_EEDaS1L_S1M_EUlS1L_E_NS1_11comp_targetILNS1_3genE8ELNS1_11target_archE1030ELNS1_3gpuE2ELNS1_3repE0EEENS1_30default_config_static_selectorELNS0_4arch9wavefront6targetE0EEEvSZ_.num_vgpr, 0
	.set _ZN7rocprim17ROCPRIM_400000_NS6detail17trampoline_kernelINS0_13select_configILj256ELj13ELNS0_17block_load_methodE3ELS4_3ELS4_3ELNS0_20block_scan_algorithmE0ELj4294967295EEENS1_25partition_config_selectorILNS1_17partition_subalgoE3EjNS0_10empty_typeEbEEZZNS1_14partition_implILS8_3ELb0ES6_jNS0_17counting_iteratorIjlEEPS9_SE_NS0_5tupleIJPjSE_EEENSF_IJSE_SE_EEES9_SG_JZNS1_25segmented_radix_sort_implINS0_14default_configELb0EPK12hip_bfloat16PSL_PKlPlN2at6native12_GLOBAL__N_18offset_tEEE10hipError_tPvRmT1_PNSt15iterator_traitsISZ_E10value_typeET2_T3_PNS10_IS15_E10value_typeET4_jRbjT5_S1B_jjP12ihipStream_tbEUljE_EEESW_SX_SY_S15_S19_S1B_T6_T7_T9_mT8_S1D_bDpT10_ENKUlT_T0_E_clISt17integral_constantIbLb0EES1Q_EEDaS1L_S1M_EUlS1L_E_NS1_11comp_targetILNS1_3genE8ELNS1_11target_archE1030ELNS1_3gpuE2ELNS1_3repE0EEENS1_30default_config_static_selectorELNS0_4arch9wavefront6targetE0EEEvSZ_.num_agpr, 0
	.set _ZN7rocprim17ROCPRIM_400000_NS6detail17trampoline_kernelINS0_13select_configILj256ELj13ELNS0_17block_load_methodE3ELS4_3ELS4_3ELNS0_20block_scan_algorithmE0ELj4294967295EEENS1_25partition_config_selectorILNS1_17partition_subalgoE3EjNS0_10empty_typeEbEEZZNS1_14partition_implILS8_3ELb0ES6_jNS0_17counting_iteratorIjlEEPS9_SE_NS0_5tupleIJPjSE_EEENSF_IJSE_SE_EEES9_SG_JZNS1_25segmented_radix_sort_implINS0_14default_configELb0EPK12hip_bfloat16PSL_PKlPlN2at6native12_GLOBAL__N_18offset_tEEE10hipError_tPvRmT1_PNSt15iterator_traitsISZ_E10value_typeET2_T3_PNS10_IS15_E10value_typeET4_jRbjT5_S1B_jjP12ihipStream_tbEUljE_EEESW_SX_SY_S15_S19_S1B_T6_T7_T9_mT8_S1D_bDpT10_ENKUlT_T0_E_clISt17integral_constantIbLb0EES1Q_EEDaS1L_S1M_EUlS1L_E_NS1_11comp_targetILNS1_3genE8ELNS1_11target_archE1030ELNS1_3gpuE2ELNS1_3repE0EEENS1_30default_config_static_selectorELNS0_4arch9wavefront6targetE0EEEvSZ_.numbered_sgpr, 0
	.set _ZN7rocprim17ROCPRIM_400000_NS6detail17trampoline_kernelINS0_13select_configILj256ELj13ELNS0_17block_load_methodE3ELS4_3ELS4_3ELNS0_20block_scan_algorithmE0ELj4294967295EEENS1_25partition_config_selectorILNS1_17partition_subalgoE3EjNS0_10empty_typeEbEEZZNS1_14partition_implILS8_3ELb0ES6_jNS0_17counting_iteratorIjlEEPS9_SE_NS0_5tupleIJPjSE_EEENSF_IJSE_SE_EEES9_SG_JZNS1_25segmented_radix_sort_implINS0_14default_configELb0EPK12hip_bfloat16PSL_PKlPlN2at6native12_GLOBAL__N_18offset_tEEE10hipError_tPvRmT1_PNSt15iterator_traitsISZ_E10value_typeET2_T3_PNS10_IS15_E10value_typeET4_jRbjT5_S1B_jjP12ihipStream_tbEUljE_EEESW_SX_SY_S15_S19_S1B_T6_T7_T9_mT8_S1D_bDpT10_ENKUlT_T0_E_clISt17integral_constantIbLb0EES1Q_EEDaS1L_S1M_EUlS1L_E_NS1_11comp_targetILNS1_3genE8ELNS1_11target_archE1030ELNS1_3gpuE2ELNS1_3repE0EEENS1_30default_config_static_selectorELNS0_4arch9wavefront6targetE0EEEvSZ_.num_named_barrier, 0
	.set _ZN7rocprim17ROCPRIM_400000_NS6detail17trampoline_kernelINS0_13select_configILj256ELj13ELNS0_17block_load_methodE3ELS4_3ELS4_3ELNS0_20block_scan_algorithmE0ELj4294967295EEENS1_25partition_config_selectorILNS1_17partition_subalgoE3EjNS0_10empty_typeEbEEZZNS1_14partition_implILS8_3ELb0ES6_jNS0_17counting_iteratorIjlEEPS9_SE_NS0_5tupleIJPjSE_EEENSF_IJSE_SE_EEES9_SG_JZNS1_25segmented_radix_sort_implINS0_14default_configELb0EPK12hip_bfloat16PSL_PKlPlN2at6native12_GLOBAL__N_18offset_tEEE10hipError_tPvRmT1_PNSt15iterator_traitsISZ_E10value_typeET2_T3_PNS10_IS15_E10value_typeET4_jRbjT5_S1B_jjP12ihipStream_tbEUljE_EEESW_SX_SY_S15_S19_S1B_T6_T7_T9_mT8_S1D_bDpT10_ENKUlT_T0_E_clISt17integral_constantIbLb0EES1Q_EEDaS1L_S1M_EUlS1L_E_NS1_11comp_targetILNS1_3genE8ELNS1_11target_archE1030ELNS1_3gpuE2ELNS1_3repE0EEENS1_30default_config_static_selectorELNS0_4arch9wavefront6targetE0EEEvSZ_.private_seg_size, 0
	.set _ZN7rocprim17ROCPRIM_400000_NS6detail17trampoline_kernelINS0_13select_configILj256ELj13ELNS0_17block_load_methodE3ELS4_3ELS4_3ELNS0_20block_scan_algorithmE0ELj4294967295EEENS1_25partition_config_selectorILNS1_17partition_subalgoE3EjNS0_10empty_typeEbEEZZNS1_14partition_implILS8_3ELb0ES6_jNS0_17counting_iteratorIjlEEPS9_SE_NS0_5tupleIJPjSE_EEENSF_IJSE_SE_EEES9_SG_JZNS1_25segmented_radix_sort_implINS0_14default_configELb0EPK12hip_bfloat16PSL_PKlPlN2at6native12_GLOBAL__N_18offset_tEEE10hipError_tPvRmT1_PNSt15iterator_traitsISZ_E10value_typeET2_T3_PNS10_IS15_E10value_typeET4_jRbjT5_S1B_jjP12ihipStream_tbEUljE_EEESW_SX_SY_S15_S19_S1B_T6_T7_T9_mT8_S1D_bDpT10_ENKUlT_T0_E_clISt17integral_constantIbLb0EES1Q_EEDaS1L_S1M_EUlS1L_E_NS1_11comp_targetILNS1_3genE8ELNS1_11target_archE1030ELNS1_3gpuE2ELNS1_3repE0EEENS1_30default_config_static_selectorELNS0_4arch9wavefront6targetE0EEEvSZ_.uses_vcc, 0
	.set _ZN7rocprim17ROCPRIM_400000_NS6detail17trampoline_kernelINS0_13select_configILj256ELj13ELNS0_17block_load_methodE3ELS4_3ELS4_3ELNS0_20block_scan_algorithmE0ELj4294967295EEENS1_25partition_config_selectorILNS1_17partition_subalgoE3EjNS0_10empty_typeEbEEZZNS1_14partition_implILS8_3ELb0ES6_jNS0_17counting_iteratorIjlEEPS9_SE_NS0_5tupleIJPjSE_EEENSF_IJSE_SE_EEES9_SG_JZNS1_25segmented_radix_sort_implINS0_14default_configELb0EPK12hip_bfloat16PSL_PKlPlN2at6native12_GLOBAL__N_18offset_tEEE10hipError_tPvRmT1_PNSt15iterator_traitsISZ_E10value_typeET2_T3_PNS10_IS15_E10value_typeET4_jRbjT5_S1B_jjP12ihipStream_tbEUljE_EEESW_SX_SY_S15_S19_S1B_T6_T7_T9_mT8_S1D_bDpT10_ENKUlT_T0_E_clISt17integral_constantIbLb0EES1Q_EEDaS1L_S1M_EUlS1L_E_NS1_11comp_targetILNS1_3genE8ELNS1_11target_archE1030ELNS1_3gpuE2ELNS1_3repE0EEENS1_30default_config_static_selectorELNS0_4arch9wavefront6targetE0EEEvSZ_.uses_flat_scratch, 0
	.set _ZN7rocprim17ROCPRIM_400000_NS6detail17trampoline_kernelINS0_13select_configILj256ELj13ELNS0_17block_load_methodE3ELS4_3ELS4_3ELNS0_20block_scan_algorithmE0ELj4294967295EEENS1_25partition_config_selectorILNS1_17partition_subalgoE3EjNS0_10empty_typeEbEEZZNS1_14partition_implILS8_3ELb0ES6_jNS0_17counting_iteratorIjlEEPS9_SE_NS0_5tupleIJPjSE_EEENSF_IJSE_SE_EEES9_SG_JZNS1_25segmented_radix_sort_implINS0_14default_configELb0EPK12hip_bfloat16PSL_PKlPlN2at6native12_GLOBAL__N_18offset_tEEE10hipError_tPvRmT1_PNSt15iterator_traitsISZ_E10value_typeET2_T3_PNS10_IS15_E10value_typeET4_jRbjT5_S1B_jjP12ihipStream_tbEUljE_EEESW_SX_SY_S15_S19_S1B_T6_T7_T9_mT8_S1D_bDpT10_ENKUlT_T0_E_clISt17integral_constantIbLb0EES1Q_EEDaS1L_S1M_EUlS1L_E_NS1_11comp_targetILNS1_3genE8ELNS1_11target_archE1030ELNS1_3gpuE2ELNS1_3repE0EEENS1_30default_config_static_selectorELNS0_4arch9wavefront6targetE0EEEvSZ_.has_dyn_sized_stack, 0
	.set _ZN7rocprim17ROCPRIM_400000_NS6detail17trampoline_kernelINS0_13select_configILj256ELj13ELNS0_17block_load_methodE3ELS4_3ELS4_3ELNS0_20block_scan_algorithmE0ELj4294967295EEENS1_25partition_config_selectorILNS1_17partition_subalgoE3EjNS0_10empty_typeEbEEZZNS1_14partition_implILS8_3ELb0ES6_jNS0_17counting_iteratorIjlEEPS9_SE_NS0_5tupleIJPjSE_EEENSF_IJSE_SE_EEES9_SG_JZNS1_25segmented_radix_sort_implINS0_14default_configELb0EPK12hip_bfloat16PSL_PKlPlN2at6native12_GLOBAL__N_18offset_tEEE10hipError_tPvRmT1_PNSt15iterator_traitsISZ_E10value_typeET2_T3_PNS10_IS15_E10value_typeET4_jRbjT5_S1B_jjP12ihipStream_tbEUljE_EEESW_SX_SY_S15_S19_S1B_T6_T7_T9_mT8_S1D_bDpT10_ENKUlT_T0_E_clISt17integral_constantIbLb0EES1Q_EEDaS1L_S1M_EUlS1L_E_NS1_11comp_targetILNS1_3genE8ELNS1_11target_archE1030ELNS1_3gpuE2ELNS1_3repE0EEENS1_30default_config_static_selectorELNS0_4arch9wavefront6targetE0EEEvSZ_.has_recursion, 0
	.set _ZN7rocprim17ROCPRIM_400000_NS6detail17trampoline_kernelINS0_13select_configILj256ELj13ELNS0_17block_load_methodE3ELS4_3ELS4_3ELNS0_20block_scan_algorithmE0ELj4294967295EEENS1_25partition_config_selectorILNS1_17partition_subalgoE3EjNS0_10empty_typeEbEEZZNS1_14partition_implILS8_3ELb0ES6_jNS0_17counting_iteratorIjlEEPS9_SE_NS0_5tupleIJPjSE_EEENSF_IJSE_SE_EEES9_SG_JZNS1_25segmented_radix_sort_implINS0_14default_configELb0EPK12hip_bfloat16PSL_PKlPlN2at6native12_GLOBAL__N_18offset_tEEE10hipError_tPvRmT1_PNSt15iterator_traitsISZ_E10value_typeET2_T3_PNS10_IS15_E10value_typeET4_jRbjT5_S1B_jjP12ihipStream_tbEUljE_EEESW_SX_SY_S15_S19_S1B_T6_T7_T9_mT8_S1D_bDpT10_ENKUlT_T0_E_clISt17integral_constantIbLb0EES1Q_EEDaS1L_S1M_EUlS1L_E_NS1_11comp_targetILNS1_3genE8ELNS1_11target_archE1030ELNS1_3gpuE2ELNS1_3repE0EEENS1_30default_config_static_selectorELNS0_4arch9wavefront6targetE0EEEvSZ_.has_indirect_call, 0
	.section	.AMDGPU.csdata,"",@progbits
; Kernel info:
; codeLenInByte = 0
; TotalNumSgprs: 0
; NumVgprs: 0
; ScratchSize: 0
; MemoryBound: 0
; FloatMode: 240
; IeeeMode: 1
; LDSByteSize: 0 bytes/workgroup (compile time only)
; SGPRBlocks: 0
; VGPRBlocks: 0
; NumSGPRsForWavesPerEU: 1
; NumVGPRsForWavesPerEU: 1
; NamedBarCnt: 0
; Occupancy: 16
; WaveLimiterHint : 0
; COMPUTE_PGM_RSRC2:SCRATCH_EN: 0
; COMPUTE_PGM_RSRC2:USER_SGPR: 2
; COMPUTE_PGM_RSRC2:TRAP_HANDLER: 0
; COMPUTE_PGM_RSRC2:TGID_X_EN: 1
; COMPUTE_PGM_RSRC2:TGID_Y_EN: 0
; COMPUTE_PGM_RSRC2:TGID_Z_EN: 0
; COMPUTE_PGM_RSRC2:TIDIG_COMP_CNT: 0
	.section	.text._ZN7rocprim17ROCPRIM_400000_NS6detail17trampoline_kernelINS0_13select_configILj256ELj13ELNS0_17block_load_methodE3ELS4_3ELS4_3ELNS0_20block_scan_algorithmE0ELj4294967295EEENS1_25partition_config_selectorILNS1_17partition_subalgoE3EjNS0_10empty_typeEbEEZZNS1_14partition_implILS8_3ELb0ES6_jNS0_17counting_iteratorIjlEEPS9_SE_NS0_5tupleIJPjSE_EEENSF_IJSE_SE_EEES9_SG_JZNS1_25segmented_radix_sort_implINS0_14default_configELb0EPK12hip_bfloat16PSL_PKlPlN2at6native12_GLOBAL__N_18offset_tEEE10hipError_tPvRmT1_PNSt15iterator_traitsISZ_E10value_typeET2_T3_PNS10_IS15_E10value_typeET4_jRbjT5_S1B_jjP12ihipStream_tbEUljE_EEESW_SX_SY_S15_S19_S1B_T6_T7_T9_mT8_S1D_bDpT10_ENKUlT_T0_E_clISt17integral_constantIbLb1EES1Q_EEDaS1L_S1M_EUlS1L_E_NS1_11comp_targetILNS1_3genE0ELNS1_11target_archE4294967295ELNS1_3gpuE0ELNS1_3repE0EEENS1_30default_config_static_selectorELNS0_4arch9wavefront6targetE0EEEvSZ_,"axG",@progbits,_ZN7rocprim17ROCPRIM_400000_NS6detail17trampoline_kernelINS0_13select_configILj256ELj13ELNS0_17block_load_methodE3ELS4_3ELS4_3ELNS0_20block_scan_algorithmE0ELj4294967295EEENS1_25partition_config_selectorILNS1_17partition_subalgoE3EjNS0_10empty_typeEbEEZZNS1_14partition_implILS8_3ELb0ES6_jNS0_17counting_iteratorIjlEEPS9_SE_NS0_5tupleIJPjSE_EEENSF_IJSE_SE_EEES9_SG_JZNS1_25segmented_radix_sort_implINS0_14default_configELb0EPK12hip_bfloat16PSL_PKlPlN2at6native12_GLOBAL__N_18offset_tEEE10hipError_tPvRmT1_PNSt15iterator_traitsISZ_E10value_typeET2_T3_PNS10_IS15_E10value_typeET4_jRbjT5_S1B_jjP12ihipStream_tbEUljE_EEESW_SX_SY_S15_S19_S1B_T6_T7_T9_mT8_S1D_bDpT10_ENKUlT_T0_E_clISt17integral_constantIbLb1EES1Q_EEDaS1L_S1M_EUlS1L_E_NS1_11comp_targetILNS1_3genE0ELNS1_11target_archE4294967295ELNS1_3gpuE0ELNS1_3repE0EEENS1_30default_config_static_selectorELNS0_4arch9wavefront6targetE0EEEvSZ_,comdat
	.globl	_ZN7rocprim17ROCPRIM_400000_NS6detail17trampoline_kernelINS0_13select_configILj256ELj13ELNS0_17block_load_methodE3ELS4_3ELS4_3ELNS0_20block_scan_algorithmE0ELj4294967295EEENS1_25partition_config_selectorILNS1_17partition_subalgoE3EjNS0_10empty_typeEbEEZZNS1_14partition_implILS8_3ELb0ES6_jNS0_17counting_iteratorIjlEEPS9_SE_NS0_5tupleIJPjSE_EEENSF_IJSE_SE_EEES9_SG_JZNS1_25segmented_radix_sort_implINS0_14default_configELb0EPK12hip_bfloat16PSL_PKlPlN2at6native12_GLOBAL__N_18offset_tEEE10hipError_tPvRmT1_PNSt15iterator_traitsISZ_E10value_typeET2_T3_PNS10_IS15_E10value_typeET4_jRbjT5_S1B_jjP12ihipStream_tbEUljE_EEESW_SX_SY_S15_S19_S1B_T6_T7_T9_mT8_S1D_bDpT10_ENKUlT_T0_E_clISt17integral_constantIbLb1EES1Q_EEDaS1L_S1M_EUlS1L_E_NS1_11comp_targetILNS1_3genE0ELNS1_11target_archE4294967295ELNS1_3gpuE0ELNS1_3repE0EEENS1_30default_config_static_selectorELNS0_4arch9wavefront6targetE0EEEvSZ_ ; -- Begin function _ZN7rocprim17ROCPRIM_400000_NS6detail17trampoline_kernelINS0_13select_configILj256ELj13ELNS0_17block_load_methodE3ELS4_3ELS4_3ELNS0_20block_scan_algorithmE0ELj4294967295EEENS1_25partition_config_selectorILNS1_17partition_subalgoE3EjNS0_10empty_typeEbEEZZNS1_14partition_implILS8_3ELb0ES6_jNS0_17counting_iteratorIjlEEPS9_SE_NS0_5tupleIJPjSE_EEENSF_IJSE_SE_EEES9_SG_JZNS1_25segmented_radix_sort_implINS0_14default_configELb0EPK12hip_bfloat16PSL_PKlPlN2at6native12_GLOBAL__N_18offset_tEEE10hipError_tPvRmT1_PNSt15iterator_traitsISZ_E10value_typeET2_T3_PNS10_IS15_E10value_typeET4_jRbjT5_S1B_jjP12ihipStream_tbEUljE_EEESW_SX_SY_S15_S19_S1B_T6_T7_T9_mT8_S1D_bDpT10_ENKUlT_T0_E_clISt17integral_constantIbLb1EES1Q_EEDaS1L_S1M_EUlS1L_E_NS1_11comp_targetILNS1_3genE0ELNS1_11target_archE4294967295ELNS1_3gpuE0ELNS1_3repE0EEENS1_30default_config_static_selectorELNS0_4arch9wavefront6targetE0EEEvSZ_
	.p2align	8
	.type	_ZN7rocprim17ROCPRIM_400000_NS6detail17trampoline_kernelINS0_13select_configILj256ELj13ELNS0_17block_load_methodE3ELS4_3ELS4_3ELNS0_20block_scan_algorithmE0ELj4294967295EEENS1_25partition_config_selectorILNS1_17partition_subalgoE3EjNS0_10empty_typeEbEEZZNS1_14partition_implILS8_3ELb0ES6_jNS0_17counting_iteratorIjlEEPS9_SE_NS0_5tupleIJPjSE_EEENSF_IJSE_SE_EEES9_SG_JZNS1_25segmented_radix_sort_implINS0_14default_configELb0EPK12hip_bfloat16PSL_PKlPlN2at6native12_GLOBAL__N_18offset_tEEE10hipError_tPvRmT1_PNSt15iterator_traitsISZ_E10value_typeET2_T3_PNS10_IS15_E10value_typeET4_jRbjT5_S1B_jjP12ihipStream_tbEUljE_EEESW_SX_SY_S15_S19_S1B_T6_T7_T9_mT8_S1D_bDpT10_ENKUlT_T0_E_clISt17integral_constantIbLb1EES1Q_EEDaS1L_S1M_EUlS1L_E_NS1_11comp_targetILNS1_3genE0ELNS1_11target_archE4294967295ELNS1_3gpuE0ELNS1_3repE0EEENS1_30default_config_static_selectorELNS0_4arch9wavefront6targetE0EEEvSZ_,@function
_ZN7rocprim17ROCPRIM_400000_NS6detail17trampoline_kernelINS0_13select_configILj256ELj13ELNS0_17block_load_methodE3ELS4_3ELS4_3ELNS0_20block_scan_algorithmE0ELj4294967295EEENS1_25partition_config_selectorILNS1_17partition_subalgoE3EjNS0_10empty_typeEbEEZZNS1_14partition_implILS8_3ELb0ES6_jNS0_17counting_iteratorIjlEEPS9_SE_NS0_5tupleIJPjSE_EEENSF_IJSE_SE_EEES9_SG_JZNS1_25segmented_radix_sort_implINS0_14default_configELb0EPK12hip_bfloat16PSL_PKlPlN2at6native12_GLOBAL__N_18offset_tEEE10hipError_tPvRmT1_PNSt15iterator_traitsISZ_E10value_typeET2_T3_PNS10_IS15_E10value_typeET4_jRbjT5_S1B_jjP12ihipStream_tbEUljE_EEESW_SX_SY_S15_S19_S1B_T6_T7_T9_mT8_S1D_bDpT10_ENKUlT_T0_E_clISt17integral_constantIbLb1EES1Q_EEDaS1L_S1M_EUlS1L_E_NS1_11comp_targetILNS1_3genE0ELNS1_11target_archE4294967295ELNS1_3gpuE0ELNS1_3repE0EEENS1_30default_config_static_selectorELNS0_4arch9wavefront6targetE0EEEvSZ_: ; @_ZN7rocprim17ROCPRIM_400000_NS6detail17trampoline_kernelINS0_13select_configILj256ELj13ELNS0_17block_load_methodE3ELS4_3ELS4_3ELNS0_20block_scan_algorithmE0ELj4294967295EEENS1_25partition_config_selectorILNS1_17partition_subalgoE3EjNS0_10empty_typeEbEEZZNS1_14partition_implILS8_3ELb0ES6_jNS0_17counting_iteratorIjlEEPS9_SE_NS0_5tupleIJPjSE_EEENSF_IJSE_SE_EEES9_SG_JZNS1_25segmented_radix_sort_implINS0_14default_configELb0EPK12hip_bfloat16PSL_PKlPlN2at6native12_GLOBAL__N_18offset_tEEE10hipError_tPvRmT1_PNSt15iterator_traitsISZ_E10value_typeET2_T3_PNS10_IS15_E10value_typeET4_jRbjT5_S1B_jjP12ihipStream_tbEUljE_EEESW_SX_SY_S15_S19_S1B_T6_T7_T9_mT8_S1D_bDpT10_ENKUlT_T0_E_clISt17integral_constantIbLb1EES1Q_EEDaS1L_S1M_EUlS1L_E_NS1_11comp_targetILNS1_3genE0ELNS1_11target_archE4294967295ELNS1_3gpuE0ELNS1_3repE0EEENS1_30default_config_static_selectorELNS0_4arch9wavefront6targetE0EEEvSZ_
; %bb.0:
	s_endpgm
	.section	.rodata,"a",@progbits
	.p2align	6, 0x0
	.amdhsa_kernel _ZN7rocprim17ROCPRIM_400000_NS6detail17trampoline_kernelINS0_13select_configILj256ELj13ELNS0_17block_load_methodE3ELS4_3ELS4_3ELNS0_20block_scan_algorithmE0ELj4294967295EEENS1_25partition_config_selectorILNS1_17partition_subalgoE3EjNS0_10empty_typeEbEEZZNS1_14partition_implILS8_3ELb0ES6_jNS0_17counting_iteratorIjlEEPS9_SE_NS0_5tupleIJPjSE_EEENSF_IJSE_SE_EEES9_SG_JZNS1_25segmented_radix_sort_implINS0_14default_configELb0EPK12hip_bfloat16PSL_PKlPlN2at6native12_GLOBAL__N_18offset_tEEE10hipError_tPvRmT1_PNSt15iterator_traitsISZ_E10value_typeET2_T3_PNS10_IS15_E10value_typeET4_jRbjT5_S1B_jjP12ihipStream_tbEUljE_EEESW_SX_SY_S15_S19_S1B_T6_T7_T9_mT8_S1D_bDpT10_ENKUlT_T0_E_clISt17integral_constantIbLb1EES1Q_EEDaS1L_S1M_EUlS1L_E_NS1_11comp_targetILNS1_3genE0ELNS1_11target_archE4294967295ELNS1_3gpuE0ELNS1_3repE0EEENS1_30default_config_static_selectorELNS0_4arch9wavefront6targetE0EEEvSZ_
		.amdhsa_group_segment_fixed_size 0
		.amdhsa_private_segment_fixed_size 0
		.amdhsa_kernarg_size 152
		.amdhsa_user_sgpr_count 2
		.amdhsa_user_sgpr_dispatch_ptr 0
		.amdhsa_user_sgpr_queue_ptr 0
		.amdhsa_user_sgpr_kernarg_segment_ptr 1
		.amdhsa_user_sgpr_dispatch_id 0
		.amdhsa_user_sgpr_kernarg_preload_length 0
		.amdhsa_user_sgpr_kernarg_preload_offset 0
		.amdhsa_user_sgpr_private_segment_size 0
		.amdhsa_wavefront_size32 1
		.amdhsa_uses_dynamic_stack 0
		.amdhsa_enable_private_segment 0
		.amdhsa_system_sgpr_workgroup_id_x 1
		.amdhsa_system_sgpr_workgroup_id_y 0
		.amdhsa_system_sgpr_workgroup_id_z 0
		.amdhsa_system_sgpr_workgroup_info 0
		.amdhsa_system_vgpr_workitem_id 0
		.amdhsa_next_free_vgpr 1
		.amdhsa_next_free_sgpr 1
		.amdhsa_named_barrier_count 0
		.amdhsa_reserve_vcc 0
		.amdhsa_float_round_mode_32 0
		.amdhsa_float_round_mode_16_64 0
		.amdhsa_float_denorm_mode_32 3
		.amdhsa_float_denorm_mode_16_64 3
		.amdhsa_fp16_overflow 0
		.amdhsa_memory_ordered 1
		.amdhsa_forward_progress 1
		.amdhsa_inst_pref_size 1
		.amdhsa_round_robin_scheduling 0
		.amdhsa_exception_fp_ieee_invalid_op 0
		.amdhsa_exception_fp_denorm_src 0
		.amdhsa_exception_fp_ieee_div_zero 0
		.amdhsa_exception_fp_ieee_overflow 0
		.amdhsa_exception_fp_ieee_underflow 0
		.amdhsa_exception_fp_ieee_inexact 0
		.amdhsa_exception_int_div_zero 0
	.end_amdhsa_kernel
	.section	.text._ZN7rocprim17ROCPRIM_400000_NS6detail17trampoline_kernelINS0_13select_configILj256ELj13ELNS0_17block_load_methodE3ELS4_3ELS4_3ELNS0_20block_scan_algorithmE0ELj4294967295EEENS1_25partition_config_selectorILNS1_17partition_subalgoE3EjNS0_10empty_typeEbEEZZNS1_14partition_implILS8_3ELb0ES6_jNS0_17counting_iteratorIjlEEPS9_SE_NS0_5tupleIJPjSE_EEENSF_IJSE_SE_EEES9_SG_JZNS1_25segmented_radix_sort_implINS0_14default_configELb0EPK12hip_bfloat16PSL_PKlPlN2at6native12_GLOBAL__N_18offset_tEEE10hipError_tPvRmT1_PNSt15iterator_traitsISZ_E10value_typeET2_T3_PNS10_IS15_E10value_typeET4_jRbjT5_S1B_jjP12ihipStream_tbEUljE_EEESW_SX_SY_S15_S19_S1B_T6_T7_T9_mT8_S1D_bDpT10_ENKUlT_T0_E_clISt17integral_constantIbLb1EES1Q_EEDaS1L_S1M_EUlS1L_E_NS1_11comp_targetILNS1_3genE0ELNS1_11target_archE4294967295ELNS1_3gpuE0ELNS1_3repE0EEENS1_30default_config_static_selectorELNS0_4arch9wavefront6targetE0EEEvSZ_,"axG",@progbits,_ZN7rocprim17ROCPRIM_400000_NS6detail17trampoline_kernelINS0_13select_configILj256ELj13ELNS0_17block_load_methodE3ELS4_3ELS4_3ELNS0_20block_scan_algorithmE0ELj4294967295EEENS1_25partition_config_selectorILNS1_17partition_subalgoE3EjNS0_10empty_typeEbEEZZNS1_14partition_implILS8_3ELb0ES6_jNS0_17counting_iteratorIjlEEPS9_SE_NS0_5tupleIJPjSE_EEENSF_IJSE_SE_EEES9_SG_JZNS1_25segmented_radix_sort_implINS0_14default_configELb0EPK12hip_bfloat16PSL_PKlPlN2at6native12_GLOBAL__N_18offset_tEEE10hipError_tPvRmT1_PNSt15iterator_traitsISZ_E10value_typeET2_T3_PNS10_IS15_E10value_typeET4_jRbjT5_S1B_jjP12ihipStream_tbEUljE_EEESW_SX_SY_S15_S19_S1B_T6_T7_T9_mT8_S1D_bDpT10_ENKUlT_T0_E_clISt17integral_constantIbLb1EES1Q_EEDaS1L_S1M_EUlS1L_E_NS1_11comp_targetILNS1_3genE0ELNS1_11target_archE4294967295ELNS1_3gpuE0ELNS1_3repE0EEENS1_30default_config_static_selectorELNS0_4arch9wavefront6targetE0EEEvSZ_,comdat
.Lfunc_end2015:
	.size	_ZN7rocprim17ROCPRIM_400000_NS6detail17trampoline_kernelINS0_13select_configILj256ELj13ELNS0_17block_load_methodE3ELS4_3ELS4_3ELNS0_20block_scan_algorithmE0ELj4294967295EEENS1_25partition_config_selectorILNS1_17partition_subalgoE3EjNS0_10empty_typeEbEEZZNS1_14partition_implILS8_3ELb0ES6_jNS0_17counting_iteratorIjlEEPS9_SE_NS0_5tupleIJPjSE_EEENSF_IJSE_SE_EEES9_SG_JZNS1_25segmented_radix_sort_implINS0_14default_configELb0EPK12hip_bfloat16PSL_PKlPlN2at6native12_GLOBAL__N_18offset_tEEE10hipError_tPvRmT1_PNSt15iterator_traitsISZ_E10value_typeET2_T3_PNS10_IS15_E10value_typeET4_jRbjT5_S1B_jjP12ihipStream_tbEUljE_EEESW_SX_SY_S15_S19_S1B_T6_T7_T9_mT8_S1D_bDpT10_ENKUlT_T0_E_clISt17integral_constantIbLb1EES1Q_EEDaS1L_S1M_EUlS1L_E_NS1_11comp_targetILNS1_3genE0ELNS1_11target_archE4294967295ELNS1_3gpuE0ELNS1_3repE0EEENS1_30default_config_static_selectorELNS0_4arch9wavefront6targetE0EEEvSZ_, .Lfunc_end2015-_ZN7rocprim17ROCPRIM_400000_NS6detail17trampoline_kernelINS0_13select_configILj256ELj13ELNS0_17block_load_methodE3ELS4_3ELS4_3ELNS0_20block_scan_algorithmE0ELj4294967295EEENS1_25partition_config_selectorILNS1_17partition_subalgoE3EjNS0_10empty_typeEbEEZZNS1_14partition_implILS8_3ELb0ES6_jNS0_17counting_iteratorIjlEEPS9_SE_NS0_5tupleIJPjSE_EEENSF_IJSE_SE_EEES9_SG_JZNS1_25segmented_radix_sort_implINS0_14default_configELb0EPK12hip_bfloat16PSL_PKlPlN2at6native12_GLOBAL__N_18offset_tEEE10hipError_tPvRmT1_PNSt15iterator_traitsISZ_E10value_typeET2_T3_PNS10_IS15_E10value_typeET4_jRbjT5_S1B_jjP12ihipStream_tbEUljE_EEESW_SX_SY_S15_S19_S1B_T6_T7_T9_mT8_S1D_bDpT10_ENKUlT_T0_E_clISt17integral_constantIbLb1EES1Q_EEDaS1L_S1M_EUlS1L_E_NS1_11comp_targetILNS1_3genE0ELNS1_11target_archE4294967295ELNS1_3gpuE0ELNS1_3repE0EEENS1_30default_config_static_selectorELNS0_4arch9wavefront6targetE0EEEvSZ_
                                        ; -- End function
	.set _ZN7rocprim17ROCPRIM_400000_NS6detail17trampoline_kernelINS0_13select_configILj256ELj13ELNS0_17block_load_methodE3ELS4_3ELS4_3ELNS0_20block_scan_algorithmE0ELj4294967295EEENS1_25partition_config_selectorILNS1_17partition_subalgoE3EjNS0_10empty_typeEbEEZZNS1_14partition_implILS8_3ELb0ES6_jNS0_17counting_iteratorIjlEEPS9_SE_NS0_5tupleIJPjSE_EEENSF_IJSE_SE_EEES9_SG_JZNS1_25segmented_radix_sort_implINS0_14default_configELb0EPK12hip_bfloat16PSL_PKlPlN2at6native12_GLOBAL__N_18offset_tEEE10hipError_tPvRmT1_PNSt15iterator_traitsISZ_E10value_typeET2_T3_PNS10_IS15_E10value_typeET4_jRbjT5_S1B_jjP12ihipStream_tbEUljE_EEESW_SX_SY_S15_S19_S1B_T6_T7_T9_mT8_S1D_bDpT10_ENKUlT_T0_E_clISt17integral_constantIbLb1EES1Q_EEDaS1L_S1M_EUlS1L_E_NS1_11comp_targetILNS1_3genE0ELNS1_11target_archE4294967295ELNS1_3gpuE0ELNS1_3repE0EEENS1_30default_config_static_selectorELNS0_4arch9wavefront6targetE0EEEvSZ_.num_vgpr, 0
	.set _ZN7rocprim17ROCPRIM_400000_NS6detail17trampoline_kernelINS0_13select_configILj256ELj13ELNS0_17block_load_methodE3ELS4_3ELS4_3ELNS0_20block_scan_algorithmE0ELj4294967295EEENS1_25partition_config_selectorILNS1_17partition_subalgoE3EjNS0_10empty_typeEbEEZZNS1_14partition_implILS8_3ELb0ES6_jNS0_17counting_iteratorIjlEEPS9_SE_NS0_5tupleIJPjSE_EEENSF_IJSE_SE_EEES9_SG_JZNS1_25segmented_radix_sort_implINS0_14default_configELb0EPK12hip_bfloat16PSL_PKlPlN2at6native12_GLOBAL__N_18offset_tEEE10hipError_tPvRmT1_PNSt15iterator_traitsISZ_E10value_typeET2_T3_PNS10_IS15_E10value_typeET4_jRbjT5_S1B_jjP12ihipStream_tbEUljE_EEESW_SX_SY_S15_S19_S1B_T6_T7_T9_mT8_S1D_bDpT10_ENKUlT_T0_E_clISt17integral_constantIbLb1EES1Q_EEDaS1L_S1M_EUlS1L_E_NS1_11comp_targetILNS1_3genE0ELNS1_11target_archE4294967295ELNS1_3gpuE0ELNS1_3repE0EEENS1_30default_config_static_selectorELNS0_4arch9wavefront6targetE0EEEvSZ_.num_agpr, 0
	.set _ZN7rocprim17ROCPRIM_400000_NS6detail17trampoline_kernelINS0_13select_configILj256ELj13ELNS0_17block_load_methodE3ELS4_3ELS4_3ELNS0_20block_scan_algorithmE0ELj4294967295EEENS1_25partition_config_selectorILNS1_17partition_subalgoE3EjNS0_10empty_typeEbEEZZNS1_14partition_implILS8_3ELb0ES6_jNS0_17counting_iteratorIjlEEPS9_SE_NS0_5tupleIJPjSE_EEENSF_IJSE_SE_EEES9_SG_JZNS1_25segmented_radix_sort_implINS0_14default_configELb0EPK12hip_bfloat16PSL_PKlPlN2at6native12_GLOBAL__N_18offset_tEEE10hipError_tPvRmT1_PNSt15iterator_traitsISZ_E10value_typeET2_T3_PNS10_IS15_E10value_typeET4_jRbjT5_S1B_jjP12ihipStream_tbEUljE_EEESW_SX_SY_S15_S19_S1B_T6_T7_T9_mT8_S1D_bDpT10_ENKUlT_T0_E_clISt17integral_constantIbLb1EES1Q_EEDaS1L_S1M_EUlS1L_E_NS1_11comp_targetILNS1_3genE0ELNS1_11target_archE4294967295ELNS1_3gpuE0ELNS1_3repE0EEENS1_30default_config_static_selectorELNS0_4arch9wavefront6targetE0EEEvSZ_.numbered_sgpr, 0
	.set _ZN7rocprim17ROCPRIM_400000_NS6detail17trampoline_kernelINS0_13select_configILj256ELj13ELNS0_17block_load_methodE3ELS4_3ELS4_3ELNS0_20block_scan_algorithmE0ELj4294967295EEENS1_25partition_config_selectorILNS1_17partition_subalgoE3EjNS0_10empty_typeEbEEZZNS1_14partition_implILS8_3ELb0ES6_jNS0_17counting_iteratorIjlEEPS9_SE_NS0_5tupleIJPjSE_EEENSF_IJSE_SE_EEES9_SG_JZNS1_25segmented_radix_sort_implINS0_14default_configELb0EPK12hip_bfloat16PSL_PKlPlN2at6native12_GLOBAL__N_18offset_tEEE10hipError_tPvRmT1_PNSt15iterator_traitsISZ_E10value_typeET2_T3_PNS10_IS15_E10value_typeET4_jRbjT5_S1B_jjP12ihipStream_tbEUljE_EEESW_SX_SY_S15_S19_S1B_T6_T7_T9_mT8_S1D_bDpT10_ENKUlT_T0_E_clISt17integral_constantIbLb1EES1Q_EEDaS1L_S1M_EUlS1L_E_NS1_11comp_targetILNS1_3genE0ELNS1_11target_archE4294967295ELNS1_3gpuE0ELNS1_3repE0EEENS1_30default_config_static_selectorELNS0_4arch9wavefront6targetE0EEEvSZ_.num_named_barrier, 0
	.set _ZN7rocprim17ROCPRIM_400000_NS6detail17trampoline_kernelINS0_13select_configILj256ELj13ELNS0_17block_load_methodE3ELS4_3ELS4_3ELNS0_20block_scan_algorithmE0ELj4294967295EEENS1_25partition_config_selectorILNS1_17partition_subalgoE3EjNS0_10empty_typeEbEEZZNS1_14partition_implILS8_3ELb0ES6_jNS0_17counting_iteratorIjlEEPS9_SE_NS0_5tupleIJPjSE_EEENSF_IJSE_SE_EEES9_SG_JZNS1_25segmented_radix_sort_implINS0_14default_configELb0EPK12hip_bfloat16PSL_PKlPlN2at6native12_GLOBAL__N_18offset_tEEE10hipError_tPvRmT1_PNSt15iterator_traitsISZ_E10value_typeET2_T3_PNS10_IS15_E10value_typeET4_jRbjT5_S1B_jjP12ihipStream_tbEUljE_EEESW_SX_SY_S15_S19_S1B_T6_T7_T9_mT8_S1D_bDpT10_ENKUlT_T0_E_clISt17integral_constantIbLb1EES1Q_EEDaS1L_S1M_EUlS1L_E_NS1_11comp_targetILNS1_3genE0ELNS1_11target_archE4294967295ELNS1_3gpuE0ELNS1_3repE0EEENS1_30default_config_static_selectorELNS0_4arch9wavefront6targetE0EEEvSZ_.private_seg_size, 0
	.set _ZN7rocprim17ROCPRIM_400000_NS6detail17trampoline_kernelINS0_13select_configILj256ELj13ELNS0_17block_load_methodE3ELS4_3ELS4_3ELNS0_20block_scan_algorithmE0ELj4294967295EEENS1_25partition_config_selectorILNS1_17partition_subalgoE3EjNS0_10empty_typeEbEEZZNS1_14partition_implILS8_3ELb0ES6_jNS0_17counting_iteratorIjlEEPS9_SE_NS0_5tupleIJPjSE_EEENSF_IJSE_SE_EEES9_SG_JZNS1_25segmented_radix_sort_implINS0_14default_configELb0EPK12hip_bfloat16PSL_PKlPlN2at6native12_GLOBAL__N_18offset_tEEE10hipError_tPvRmT1_PNSt15iterator_traitsISZ_E10value_typeET2_T3_PNS10_IS15_E10value_typeET4_jRbjT5_S1B_jjP12ihipStream_tbEUljE_EEESW_SX_SY_S15_S19_S1B_T6_T7_T9_mT8_S1D_bDpT10_ENKUlT_T0_E_clISt17integral_constantIbLb1EES1Q_EEDaS1L_S1M_EUlS1L_E_NS1_11comp_targetILNS1_3genE0ELNS1_11target_archE4294967295ELNS1_3gpuE0ELNS1_3repE0EEENS1_30default_config_static_selectorELNS0_4arch9wavefront6targetE0EEEvSZ_.uses_vcc, 0
	.set _ZN7rocprim17ROCPRIM_400000_NS6detail17trampoline_kernelINS0_13select_configILj256ELj13ELNS0_17block_load_methodE3ELS4_3ELS4_3ELNS0_20block_scan_algorithmE0ELj4294967295EEENS1_25partition_config_selectorILNS1_17partition_subalgoE3EjNS0_10empty_typeEbEEZZNS1_14partition_implILS8_3ELb0ES6_jNS0_17counting_iteratorIjlEEPS9_SE_NS0_5tupleIJPjSE_EEENSF_IJSE_SE_EEES9_SG_JZNS1_25segmented_radix_sort_implINS0_14default_configELb0EPK12hip_bfloat16PSL_PKlPlN2at6native12_GLOBAL__N_18offset_tEEE10hipError_tPvRmT1_PNSt15iterator_traitsISZ_E10value_typeET2_T3_PNS10_IS15_E10value_typeET4_jRbjT5_S1B_jjP12ihipStream_tbEUljE_EEESW_SX_SY_S15_S19_S1B_T6_T7_T9_mT8_S1D_bDpT10_ENKUlT_T0_E_clISt17integral_constantIbLb1EES1Q_EEDaS1L_S1M_EUlS1L_E_NS1_11comp_targetILNS1_3genE0ELNS1_11target_archE4294967295ELNS1_3gpuE0ELNS1_3repE0EEENS1_30default_config_static_selectorELNS0_4arch9wavefront6targetE0EEEvSZ_.uses_flat_scratch, 0
	.set _ZN7rocprim17ROCPRIM_400000_NS6detail17trampoline_kernelINS0_13select_configILj256ELj13ELNS0_17block_load_methodE3ELS4_3ELS4_3ELNS0_20block_scan_algorithmE0ELj4294967295EEENS1_25partition_config_selectorILNS1_17partition_subalgoE3EjNS0_10empty_typeEbEEZZNS1_14partition_implILS8_3ELb0ES6_jNS0_17counting_iteratorIjlEEPS9_SE_NS0_5tupleIJPjSE_EEENSF_IJSE_SE_EEES9_SG_JZNS1_25segmented_radix_sort_implINS0_14default_configELb0EPK12hip_bfloat16PSL_PKlPlN2at6native12_GLOBAL__N_18offset_tEEE10hipError_tPvRmT1_PNSt15iterator_traitsISZ_E10value_typeET2_T3_PNS10_IS15_E10value_typeET4_jRbjT5_S1B_jjP12ihipStream_tbEUljE_EEESW_SX_SY_S15_S19_S1B_T6_T7_T9_mT8_S1D_bDpT10_ENKUlT_T0_E_clISt17integral_constantIbLb1EES1Q_EEDaS1L_S1M_EUlS1L_E_NS1_11comp_targetILNS1_3genE0ELNS1_11target_archE4294967295ELNS1_3gpuE0ELNS1_3repE0EEENS1_30default_config_static_selectorELNS0_4arch9wavefront6targetE0EEEvSZ_.has_dyn_sized_stack, 0
	.set _ZN7rocprim17ROCPRIM_400000_NS6detail17trampoline_kernelINS0_13select_configILj256ELj13ELNS0_17block_load_methodE3ELS4_3ELS4_3ELNS0_20block_scan_algorithmE0ELj4294967295EEENS1_25partition_config_selectorILNS1_17partition_subalgoE3EjNS0_10empty_typeEbEEZZNS1_14partition_implILS8_3ELb0ES6_jNS0_17counting_iteratorIjlEEPS9_SE_NS0_5tupleIJPjSE_EEENSF_IJSE_SE_EEES9_SG_JZNS1_25segmented_radix_sort_implINS0_14default_configELb0EPK12hip_bfloat16PSL_PKlPlN2at6native12_GLOBAL__N_18offset_tEEE10hipError_tPvRmT1_PNSt15iterator_traitsISZ_E10value_typeET2_T3_PNS10_IS15_E10value_typeET4_jRbjT5_S1B_jjP12ihipStream_tbEUljE_EEESW_SX_SY_S15_S19_S1B_T6_T7_T9_mT8_S1D_bDpT10_ENKUlT_T0_E_clISt17integral_constantIbLb1EES1Q_EEDaS1L_S1M_EUlS1L_E_NS1_11comp_targetILNS1_3genE0ELNS1_11target_archE4294967295ELNS1_3gpuE0ELNS1_3repE0EEENS1_30default_config_static_selectorELNS0_4arch9wavefront6targetE0EEEvSZ_.has_recursion, 0
	.set _ZN7rocprim17ROCPRIM_400000_NS6detail17trampoline_kernelINS0_13select_configILj256ELj13ELNS0_17block_load_methodE3ELS4_3ELS4_3ELNS0_20block_scan_algorithmE0ELj4294967295EEENS1_25partition_config_selectorILNS1_17partition_subalgoE3EjNS0_10empty_typeEbEEZZNS1_14partition_implILS8_3ELb0ES6_jNS0_17counting_iteratorIjlEEPS9_SE_NS0_5tupleIJPjSE_EEENSF_IJSE_SE_EEES9_SG_JZNS1_25segmented_radix_sort_implINS0_14default_configELb0EPK12hip_bfloat16PSL_PKlPlN2at6native12_GLOBAL__N_18offset_tEEE10hipError_tPvRmT1_PNSt15iterator_traitsISZ_E10value_typeET2_T3_PNS10_IS15_E10value_typeET4_jRbjT5_S1B_jjP12ihipStream_tbEUljE_EEESW_SX_SY_S15_S19_S1B_T6_T7_T9_mT8_S1D_bDpT10_ENKUlT_T0_E_clISt17integral_constantIbLb1EES1Q_EEDaS1L_S1M_EUlS1L_E_NS1_11comp_targetILNS1_3genE0ELNS1_11target_archE4294967295ELNS1_3gpuE0ELNS1_3repE0EEENS1_30default_config_static_selectorELNS0_4arch9wavefront6targetE0EEEvSZ_.has_indirect_call, 0
	.section	.AMDGPU.csdata,"",@progbits
; Kernel info:
; codeLenInByte = 4
; TotalNumSgprs: 0
; NumVgprs: 0
; ScratchSize: 0
; MemoryBound: 0
; FloatMode: 240
; IeeeMode: 1
; LDSByteSize: 0 bytes/workgroup (compile time only)
; SGPRBlocks: 0
; VGPRBlocks: 0
; NumSGPRsForWavesPerEU: 1
; NumVGPRsForWavesPerEU: 1
; NamedBarCnt: 0
; Occupancy: 16
; WaveLimiterHint : 0
; COMPUTE_PGM_RSRC2:SCRATCH_EN: 0
; COMPUTE_PGM_RSRC2:USER_SGPR: 2
; COMPUTE_PGM_RSRC2:TRAP_HANDLER: 0
; COMPUTE_PGM_RSRC2:TGID_X_EN: 1
; COMPUTE_PGM_RSRC2:TGID_Y_EN: 0
; COMPUTE_PGM_RSRC2:TGID_Z_EN: 0
; COMPUTE_PGM_RSRC2:TIDIG_COMP_CNT: 0
	.section	.text._ZN7rocprim17ROCPRIM_400000_NS6detail17trampoline_kernelINS0_13select_configILj256ELj13ELNS0_17block_load_methodE3ELS4_3ELS4_3ELNS0_20block_scan_algorithmE0ELj4294967295EEENS1_25partition_config_selectorILNS1_17partition_subalgoE3EjNS0_10empty_typeEbEEZZNS1_14partition_implILS8_3ELb0ES6_jNS0_17counting_iteratorIjlEEPS9_SE_NS0_5tupleIJPjSE_EEENSF_IJSE_SE_EEES9_SG_JZNS1_25segmented_radix_sort_implINS0_14default_configELb0EPK12hip_bfloat16PSL_PKlPlN2at6native12_GLOBAL__N_18offset_tEEE10hipError_tPvRmT1_PNSt15iterator_traitsISZ_E10value_typeET2_T3_PNS10_IS15_E10value_typeET4_jRbjT5_S1B_jjP12ihipStream_tbEUljE_EEESW_SX_SY_S15_S19_S1B_T6_T7_T9_mT8_S1D_bDpT10_ENKUlT_T0_E_clISt17integral_constantIbLb1EES1Q_EEDaS1L_S1M_EUlS1L_E_NS1_11comp_targetILNS1_3genE5ELNS1_11target_archE942ELNS1_3gpuE9ELNS1_3repE0EEENS1_30default_config_static_selectorELNS0_4arch9wavefront6targetE0EEEvSZ_,"axG",@progbits,_ZN7rocprim17ROCPRIM_400000_NS6detail17trampoline_kernelINS0_13select_configILj256ELj13ELNS0_17block_load_methodE3ELS4_3ELS4_3ELNS0_20block_scan_algorithmE0ELj4294967295EEENS1_25partition_config_selectorILNS1_17partition_subalgoE3EjNS0_10empty_typeEbEEZZNS1_14partition_implILS8_3ELb0ES6_jNS0_17counting_iteratorIjlEEPS9_SE_NS0_5tupleIJPjSE_EEENSF_IJSE_SE_EEES9_SG_JZNS1_25segmented_radix_sort_implINS0_14default_configELb0EPK12hip_bfloat16PSL_PKlPlN2at6native12_GLOBAL__N_18offset_tEEE10hipError_tPvRmT1_PNSt15iterator_traitsISZ_E10value_typeET2_T3_PNS10_IS15_E10value_typeET4_jRbjT5_S1B_jjP12ihipStream_tbEUljE_EEESW_SX_SY_S15_S19_S1B_T6_T7_T9_mT8_S1D_bDpT10_ENKUlT_T0_E_clISt17integral_constantIbLb1EES1Q_EEDaS1L_S1M_EUlS1L_E_NS1_11comp_targetILNS1_3genE5ELNS1_11target_archE942ELNS1_3gpuE9ELNS1_3repE0EEENS1_30default_config_static_selectorELNS0_4arch9wavefront6targetE0EEEvSZ_,comdat
	.globl	_ZN7rocprim17ROCPRIM_400000_NS6detail17trampoline_kernelINS0_13select_configILj256ELj13ELNS0_17block_load_methodE3ELS4_3ELS4_3ELNS0_20block_scan_algorithmE0ELj4294967295EEENS1_25partition_config_selectorILNS1_17partition_subalgoE3EjNS0_10empty_typeEbEEZZNS1_14partition_implILS8_3ELb0ES6_jNS0_17counting_iteratorIjlEEPS9_SE_NS0_5tupleIJPjSE_EEENSF_IJSE_SE_EEES9_SG_JZNS1_25segmented_radix_sort_implINS0_14default_configELb0EPK12hip_bfloat16PSL_PKlPlN2at6native12_GLOBAL__N_18offset_tEEE10hipError_tPvRmT1_PNSt15iterator_traitsISZ_E10value_typeET2_T3_PNS10_IS15_E10value_typeET4_jRbjT5_S1B_jjP12ihipStream_tbEUljE_EEESW_SX_SY_S15_S19_S1B_T6_T7_T9_mT8_S1D_bDpT10_ENKUlT_T0_E_clISt17integral_constantIbLb1EES1Q_EEDaS1L_S1M_EUlS1L_E_NS1_11comp_targetILNS1_3genE5ELNS1_11target_archE942ELNS1_3gpuE9ELNS1_3repE0EEENS1_30default_config_static_selectorELNS0_4arch9wavefront6targetE0EEEvSZ_ ; -- Begin function _ZN7rocprim17ROCPRIM_400000_NS6detail17trampoline_kernelINS0_13select_configILj256ELj13ELNS0_17block_load_methodE3ELS4_3ELS4_3ELNS0_20block_scan_algorithmE0ELj4294967295EEENS1_25partition_config_selectorILNS1_17partition_subalgoE3EjNS0_10empty_typeEbEEZZNS1_14partition_implILS8_3ELb0ES6_jNS0_17counting_iteratorIjlEEPS9_SE_NS0_5tupleIJPjSE_EEENSF_IJSE_SE_EEES9_SG_JZNS1_25segmented_radix_sort_implINS0_14default_configELb0EPK12hip_bfloat16PSL_PKlPlN2at6native12_GLOBAL__N_18offset_tEEE10hipError_tPvRmT1_PNSt15iterator_traitsISZ_E10value_typeET2_T3_PNS10_IS15_E10value_typeET4_jRbjT5_S1B_jjP12ihipStream_tbEUljE_EEESW_SX_SY_S15_S19_S1B_T6_T7_T9_mT8_S1D_bDpT10_ENKUlT_T0_E_clISt17integral_constantIbLb1EES1Q_EEDaS1L_S1M_EUlS1L_E_NS1_11comp_targetILNS1_3genE5ELNS1_11target_archE942ELNS1_3gpuE9ELNS1_3repE0EEENS1_30default_config_static_selectorELNS0_4arch9wavefront6targetE0EEEvSZ_
	.p2align	8
	.type	_ZN7rocprim17ROCPRIM_400000_NS6detail17trampoline_kernelINS0_13select_configILj256ELj13ELNS0_17block_load_methodE3ELS4_3ELS4_3ELNS0_20block_scan_algorithmE0ELj4294967295EEENS1_25partition_config_selectorILNS1_17partition_subalgoE3EjNS0_10empty_typeEbEEZZNS1_14partition_implILS8_3ELb0ES6_jNS0_17counting_iteratorIjlEEPS9_SE_NS0_5tupleIJPjSE_EEENSF_IJSE_SE_EEES9_SG_JZNS1_25segmented_radix_sort_implINS0_14default_configELb0EPK12hip_bfloat16PSL_PKlPlN2at6native12_GLOBAL__N_18offset_tEEE10hipError_tPvRmT1_PNSt15iterator_traitsISZ_E10value_typeET2_T3_PNS10_IS15_E10value_typeET4_jRbjT5_S1B_jjP12ihipStream_tbEUljE_EEESW_SX_SY_S15_S19_S1B_T6_T7_T9_mT8_S1D_bDpT10_ENKUlT_T0_E_clISt17integral_constantIbLb1EES1Q_EEDaS1L_S1M_EUlS1L_E_NS1_11comp_targetILNS1_3genE5ELNS1_11target_archE942ELNS1_3gpuE9ELNS1_3repE0EEENS1_30default_config_static_selectorELNS0_4arch9wavefront6targetE0EEEvSZ_,@function
_ZN7rocprim17ROCPRIM_400000_NS6detail17trampoline_kernelINS0_13select_configILj256ELj13ELNS0_17block_load_methodE3ELS4_3ELS4_3ELNS0_20block_scan_algorithmE0ELj4294967295EEENS1_25partition_config_selectorILNS1_17partition_subalgoE3EjNS0_10empty_typeEbEEZZNS1_14partition_implILS8_3ELb0ES6_jNS0_17counting_iteratorIjlEEPS9_SE_NS0_5tupleIJPjSE_EEENSF_IJSE_SE_EEES9_SG_JZNS1_25segmented_radix_sort_implINS0_14default_configELb0EPK12hip_bfloat16PSL_PKlPlN2at6native12_GLOBAL__N_18offset_tEEE10hipError_tPvRmT1_PNSt15iterator_traitsISZ_E10value_typeET2_T3_PNS10_IS15_E10value_typeET4_jRbjT5_S1B_jjP12ihipStream_tbEUljE_EEESW_SX_SY_S15_S19_S1B_T6_T7_T9_mT8_S1D_bDpT10_ENKUlT_T0_E_clISt17integral_constantIbLb1EES1Q_EEDaS1L_S1M_EUlS1L_E_NS1_11comp_targetILNS1_3genE5ELNS1_11target_archE942ELNS1_3gpuE9ELNS1_3repE0EEENS1_30default_config_static_selectorELNS0_4arch9wavefront6targetE0EEEvSZ_: ; @_ZN7rocprim17ROCPRIM_400000_NS6detail17trampoline_kernelINS0_13select_configILj256ELj13ELNS0_17block_load_methodE3ELS4_3ELS4_3ELNS0_20block_scan_algorithmE0ELj4294967295EEENS1_25partition_config_selectorILNS1_17partition_subalgoE3EjNS0_10empty_typeEbEEZZNS1_14partition_implILS8_3ELb0ES6_jNS0_17counting_iteratorIjlEEPS9_SE_NS0_5tupleIJPjSE_EEENSF_IJSE_SE_EEES9_SG_JZNS1_25segmented_radix_sort_implINS0_14default_configELb0EPK12hip_bfloat16PSL_PKlPlN2at6native12_GLOBAL__N_18offset_tEEE10hipError_tPvRmT1_PNSt15iterator_traitsISZ_E10value_typeET2_T3_PNS10_IS15_E10value_typeET4_jRbjT5_S1B_jjP12ihipStream_tbEUljE_EEESW_SX_SY_S15_S19_S1B_T6_T7_T9_mT8_S1D_bDpT10_ENKUlT_T0_E_clISt17integral_constantIbLb1EES1Q_EEDaS1L_S1M_EUlS1L_E_NS1_11comp_targetILNS1_3genE5ELNS1_11target_archE942ELNS1_3gpuE9ELNS1_3repE0EEENS1_30default_config_static_selectorELNS0_4arch9wavefront6targetE0EEEvSZ_
; %bb.0:
	.section	.rodata,"a",@progbits
	.p2align	6, 0x0
	.amdhsa_kernel _ZN7rocprim17ROCPRIM_400000_NS6detail17trampoline_kernelINS0_13select_configILj256ELj13ELNS0_17block_load_methodE3ELS4_3ELS4_3ELNS0_20block_scan_algorithmE0ELj4294967295EEENS1_25partition_config_selectorILNS1_17partition_subalgoE3EjNS0_10empty_typeEbEEZZNS1_14partition_implILS8_3ELb0ES6_jNS0_17counting_iteratorIjlEEPS9_SE_NS0_5tupleIJPjSE_EEENSF_IJSE_SE_EEES9_SG_JZNS1_25segmented_radix_sort_implINS0_14default_configELb0EPK12hip_bfloat16PSL_PKlPlN2at6native12_GLOBAL__N_18offset_tEEE10hipError_tPvRmT1_PNSt15iterator_traitsISZ_E10value_typeET2_T3_PNS10_IS15_E10value_typeET4_jRbjT5_S1B_jjP12ihipStream_tbEUljE_EEESW_SX_SY_S15_S19_S1B_T6_T7_T9_mT8_S1D_bDpT10_ENKUlT_T0_E_clISt17integral_constantIbLb1EES1Q_EEDaS1L_S1M_EUlS1L_E_NS1_11comp_targetILNS1_3genE5ELNS1_11target_archE942ELNS1_3gpuE9ELNS1_3repE0EEENS1_30default_config_static_selectorELNS0_4arch9wavefront6targetE0EEEvSZ_
		.amdhsa_group_segment_fixed_size 0
		.amdhsa_private_segment_fixed_size 0
		.amdhsa_kernarg_size 152
		.amdhsa_user_sgpr_count 2
		.amdhsa_user_sgpr_dispatch_ptr 0
		.amdhsa_user_sgpr_queue_ptr 0
		.amdhsa_user_sgpr_kernarg_segment_ptr 1
		.amdhsa_user_sgpr_dispatch_id 0
		.amdhsa_user_sgpr_kernarg_preload_length 0
		.amdhsa_user_sgpr_kernarg_preload_offset 0
		.amdhsa_user_sgpr_private_segment_size 0
		.amdhsa_wavefront_size32 1
		.amdhsa_uses_dynamic_stack 0
		.amdhsa_enable_private_segment 0
		.amdhsa_system_sgpr_workgroup_id_x 1
		.amdhsa_system_sgpr_workgroup_id_y 0
		.amdhsa_system_sgpr_workgroup_id_z 0
		.amdhsa_system_sgpr_workgroup_info 0
		.amdhsa_system_vgpr_workitem_id 0
		.amdhsa_next_free_vgpr 1
		.amdhsa_next_free_sgpr 1
		.amdhsa_named_barrier_count 0
		.amdhsa_reserve_vcc 0
		.amdhsa_float_round_mode_32 0
		.amdhsa_float_round_mode_16_64 0
		.amdhsa_float_denorm_mode_32 3
		.amdhsa_float_denorm_mode_16_64 3
		.amdhsa_fp16_overflow 0
		.amdhsa_memory_ordered 1
		.amdhsa_forward_progress 1
		.amdhsa_inst_pref_size 0
		.amdhsa_round_robin_scheduling 0
		.amdhsa_exception_fp_ieee_invalid_op 0
		.amdhsa_exception_fp_denorm_src 0
		.amdhsa_exception_fp_ieee_div_zero 0
		.amdhsa_exception_fp_ieee_overflow 0
		.amdhsa_exception_fp_ieee_underflow 0
		.amdhsa_exception_fp_ieee_inexact 0
		.amdhsa_exception_int_div_zero 0
	.end_amdhsa_kernel
	.section	.text._ZN7rocprim17ROCPRIM_400000_NS6detail17trampoline_kernelINS0_13select_configILj256ELj13ELNS0_17block_load_methodE3ELS4_3ELS4_3ELNS0_20block_scan_algorithmE0ELj4294967295EEENS1_25partition_config_selectorILNS1_17partition_subalgoE3EjNS0_10empty_typeEbEEZZNS1_14partition_implILS8_3ELb0ES6_jNS0_17counting_iteratorIjlEEPS9_SE_NS0_5tupleIJPjSE_EEENSF_IJSE_SE_EEES9_SG_JZNS1_25segmented_radix_sort_implINS0_14default_configELb0EPK12hip_bfloat16PSL_PKlPlN2at6native12_GLOBAL__N_18offset_tEEE10hipError_tPvRmT1_PNSt15iterator_traitsISZ_E10value_typeET2_T3_PNS10_IS15_E10value_typeET4_jRbjT5_S1B_jjP12ihipStream_tbEUljE_EEESW_SX_SY_S15_S19_S1B_T6_T7_T9_mT8_S1D_bDpT10_ENKUlT_T0_E_clISt17integral_constantIbLb1EES1Q_EEDaS1L_S1M_EUlS1L_E_NS1_11comp_targetILNS1_3genE5ELNS1_11target_archE942ELNS1_3gpuE9ELNS1_3repE0EEENS1_30default_config_static_selectorELNS0_4arch9wavefront6targetE0EEEvSZ_,"axG",@progbits,_ZN7rocprim17ROCPRIM_400000_NS6detail17trampoline_kernelINS0_13select_configILj256ELj13ELNS0_17block_load_methodE3ELS4_3ELS4_3ELNS0_20block_scan_algorithmE0ELj4294967295EEENS1_25partition_config_selectorILNS1_17partition_subalgoE3EjNS0_10empty_typeEbEEZZNS1_14partition_implILS8_3ELb0ES6_jNS0_17counting_iteratorIjlEEPS9_SE_NS0_5tupleIJPjSE_EEENSF_IJSE_SE_EEES9_SG_JZNS1_25segmented_radix_sort_implINS0_14default_configELb0EPK12hip_bfloat16PSL_PKlPlN2at6native12_GLOBAL__N_18offset_tEEE10hipError_tPvRmT1_PNSt15iterator_traitsISZ_E10value_typeET2_T3_PNS10_IS15_E10value_typeET4_jRbjT5_S1B_jjP12ihipStream_tbEUljE_EEESW_SX_SY_S15_S19_S1B_T6_T7_T9_mT8_S1D_bDpT10_ENKUlT_T0_E_clISt17integral_constantIbLb1EES1Q_EEDaS1L_S1M_EUlS1L_E_NS1_11comp_targetILNS1_3genE5ELNS1_11target_archE942ELNS1_3gpuE9ELNS1_3repE0EEENS1_30default_config_static_selectorELNS0_4arch9wavefront6targetE0EEEvSZ_,comdat
.Lfunc_end2016:
	.size	_ZN7rocprim17ROCPRIM_400000_NS6detail17trampoline_kernelINS0_13select_configILj256ELj13ELNS0_17block_load_methodE3ELS4_3ELS4_3ELNS0_20block_scan_algorithmE0ELj4294967295EEENS1_25partition_config_selectorILNS1_17partition_subalgoE3EjNS0_10empty_typeEbEEZZNS1_14partition_implILS8_3ELb0ES6_jNS0_17counting_iteratorIjlEEPS9_SE_NS0_5tupleIJPjSE_EEENSF_IJSE_SE_EEES9_SG_JZNS1_25segmented_radix_sort_implINS0_14default_configELb0EPK12hip_bfloat16PSL_PKlPlN2at6native12_GLOBAL__N_18offset_tEEE10hipError_tPvRmT1_PNSt15iterator_traitsISZ_E10value_typeET2_T3_PNS10_IS15_E10value_typeET4_jRbjT5_S1B_jjP12ihipStream_tbEUljE_EEESW_SX_SY_S15_S19_S1B_T6_T7_T9_mT8_S1D_bDpT10_ENKUlT_T0_E_clISt17integral_constantIbLb1EES1Q_EEDaS1L_S1M_EUlS1L_E_NS1_11comp_targetILNS1_3genE5ELNS1_11target_archE942ELNS1_3gpuE9ELNS1_3repE0EEENS1_30default_config_static_selectorELNS0_4arch9wavefront6targetE0EEEvSZ_, .Lfunc_end2016-_ZN7rocprim17ROCPRIM_400000_NS6detail17trampoline_kernelINS0_13select_configILj256ELj13ELNS0_17block_load_methodE3ELS4_3ELS4_3ELNS0_20block_scan_algorithmE0ELj4294967295EEENS1_25partition_config_selectorILNS1_17partition_subalgoE3EjNS0_10empty_typeEbEEZZNS1_14partition_implILS8_3ELb0ES6_jNS0_17counting_iteratorIjlEEPS9_SE_NS0_5tupleIJPjSE_EEENSF_IJSE_SE_EEES9_SG_JZNS1_25segmented_radix_sort_implINS0_14default_configELb0EPK12hip_bfloat16PSL_PKlPlN2at6native12_GLOBAL__N_18offset_tEEE10hipError_tPvRmT1_PNSt15iterator_traitsISZ_E10value_typeET2_T3_PNS10_IS15_E10value_typeET4_jRbjT5_S1B_jjP12ihipStream_tbEUljE_EEESW_SX_SY_S15_S19_S1B_T6_T7_T9_mT8_S1D_bDpT10_ENKUlT_T0_E_clISt17integral_constantIbLb1EES1Q_EEDaS1L_S1M_EUlS1L_E_NS1_11comp_targetILNS1_3genE5ELNS1_11target_archE942ELNS1_3gpuE9ELNS1_3repE0EEENS1_30default_config_static_selectorELNS0_4arch9wavefront6targetE0EEEvSZ_
                                        ; -- End function
	.set _ZN7rocprim17ROCPRIM_400000_NS6detail17trampoline_kernelINS0_13select_configILj256ELj13ELNS0_17block_load_methodE3ELS4_3ELS4_3ELNS0_20block_scan_algorithmE0ELj4294967295EEENS1_25partition_config_selectorILNS1_17partition_subalgoE3EjNS0_10empty_typeEbEEZZNS1_14partition_implILS8_3ELb0ES6_jNS0_17counting_iteratorIjlEEPS9_SE_NS0_5tupleIJPjSE_EEENSF_IJSE_SE_EEES9_SG_JZNS1_25segmented_radix_sort_implINS0_14default_configELb0EPK12hip_bfloat16PSL_PKlPlN2at6native12_GLOBAL__N_18offset_tEEE10hipError_tPvRmT1_PNSt15iterator_traitsISZ_E10value_typeET2_T3_PNS10_IS15_E10value_typeET4_jRbjT5_S1B_jjP12ihipStream_tbEUljE_EEESW_SX_SY_S15_S19_S1B_T6_T7_T9_mT8_S1D_bDpT10_ENKUlT_T0_E_clISt17integral_constantIbLb1EES1Q_EEDaS1L_S1M_EUlS1L_E_NS1_11comp_targetILNS1_3genE5ELNS1_11target_archE942ELNS1_3gpuE9ELNS1_3repE0EEENS1_30default_config_static_selectorELNS0_4arch9wavefront6targetE0EEEvSZ_.num_vgpr, 0
	.set _ZN7rocprim17ROCPRIM_400000_NS6detail17trampoline_kernelINS0_13select_configILj256ELj13ELNS0_17block_load_methodE3ELS4_3ELS4_3ELNS0_20block_scan_algorithmE0ELj4294967295EEENS1_25partition_config_selectorILNS1_17partition_subalgoE3EjNS0_10empty_typeEbEEZZNS1_14partition_implILS8_3ELb0ES6_jNS0_17counting_iteratorIjlEEPS9_SE_NS0_5tupleIJPjSE_EEENSF_IJSE_SE_EEES9_SG_JZNS1_25segmented_radix_sort_implINS0_14default_configELb0EPK12hip_bfloat16PSL_PKlPlN2at6native12_GLOBAL__N_18offset_tEEE10hipError_tPvRmT1_PNSt15iterator_traitsISZ_E10value_typeET2_T3_PNS10_IS15_E10value_typeET4_jRbjT5_S1B_jjP12ihipStream_tbEUljE_EEESW_SX_SY_S15_S19_S1B_T6_T7_T9_mT8_S1D_bDpT10_ENKUlT_T0_E_clISt17integral_constantIbLb1EES1Q_EEDaS1L_S1M_EUlS1L_E_NS1_11comp_targetILNS1_3genE5ELNS1_11target_archE942ELNS1_3gpuE9ELNS1_3repE0EEENS1_30default_config_static_selectorELNS0_4arch9wavefront6targetE0EEEvSZ_.num_agpr, 0
	.set _ZN7rocprim17ROCPRIM_400000_NS6detail17trampoline_kernelINS0_13select_configILj256ELj13ELNS0_17block_load_methodE3ELS4_3ELS4_3ELNS0_20block_scan_algorithmE0ELj4294967295EEENS1_25partition_config_selectorILNS1_17partition_subalgoE3EjNS0_10empty_typeEbEEZZNS1_14partition_implILS8_3ELb0ES6_jNS0_17counting_iteratorIjlEEPS9_SE_NS0_5tupleIJPjSE_EEENSF_IJSE_SE_EEES9_SG_JZNS1_25segmented_radix_sort_implINS0_14default_configELb0EPK12hip_bfloat16PSL_PKlPlN2at6native12_GLOBAL__N_18offset_tEEE10hipError_tPvRmT1_PNSt15iterator_traitsISZ_E10value_typeET2_T3_PNS10_IS15_E10value_typeET4_jRbjT5_S1B_jjP12ihipStream_tbEUljE_EEESW_SX_SY_S15_S19_S1B_T6_T7_T9_mT8_S1D_bDpT10_ENKUlT_T0_E_clISt17integral_constantIbLb1EES1Q_EEDaS1L_S1M_EUlS1L_E_NS1_11comp_targetILNS1_3genE5ELNS1_11target_archE942ELNS1_3gpuE9ELNS1_3repE0EEENS1_30default_config_static_selectorELNS0_4arch9wavefront6targetE0EEEvSZ_.numbered_sgpr, 0
	.set _ZN7rocprim17ROCPRIM_400000_NS6detail17trampoline_kernelINS0_13select_configILj256ELj13ELNS0_17block_load_methodE3ELS4_3ELS4_3ELNS0_20block_scan_algorithmE0ELj4294967295EEENS1_25partition_config_selectorILNS1_17partition_subalgoE3EjNS0_10empty_typeEbEEZZNS1_14partition_implILS8_3ELb0ES6_jNS0_17counting_iteratorIjlEEPS9_SE_NS0_5tupleIJPjSE_EEENSF_IJSE_SE_EEES9_SG_JZNS1_25segmented_radix_sort_implINS0_14default_configELb0EPK12hip_bfloat16PSL_PKlPlN2at6native12_GLOBAL__N_18offset_tEEE10hipError_tPvRmT1_PNSt15iterator_traitsISZ_E10value_typeET2_T3_PNS10_IS15_E10value_typeET4_jRbjT5_S1B_jjP12ihipStream_tbEUljE_EEESW_SX_SY_S15_S19_S1B_T6_T7_T9_mT8_S1D_bDpT10_ENKUlT_T0_E_clISt17integral_constantIbLb1EES1Q_EEDaS1L_S1M_EUlS1L_E_NS1_11comp_targetILNS1_3genE5ELNS1_11target_archE942ELNS1_3gpuE9ELNS1_3repE0EEENS1_30default_config_static_selectorELNS0_4arch9wavefront6targetE0EEEvSZ_.num_named_barrier, 0
	.set _ZN7rocprim17ROCPRIM_400000_NS6detail17trampoline_kernelINS0_13select_configILj256ELj13ELNS0_17block_load_methodE3ELS4_3ELS4_3ELNS0_20block_scan_algorithmE0ELj4294967295EEENS1_25partition_config_selectorILNS1_17partition_subalgoE3EjNS0_10empty_typeEbEEZZNS1_14partition_implILS8_3ELb0ES6_jNS0_17counting_iteratorIjlEEPS9_SE_NS0_5tupleIJPjSE_EEENSF_IJSE_SE_EEES9_SG_JZNS1_25segmented_radix_sort_implINS0_14default_configELb0EPK12hip_bfloat16PSL_PKlPlN2at6native12_GLOBAL__N_18offset_tEEE10hipError_tPvRmT1_PNSt15iterator_traitsISZ_E10value_typeET2_T3_PNS10_IS15_E10value_typeET4_jRbjT5_S1B_jjP12ihipStream_tbEUljE_EEESW_SX_SY_S15_S19_S1B_T6_T7_T9_mT8_S1D_bDpT10_ENKUlT_T0_E_clISt17integral_constantIbLb1EES1Q_EEDaS1L_S1M_EUlS1L_E_NS1_11comp_targetILNS1_3genE5ELNS1_11target_archE942ELNS1_3gpuE9ELNS1_3repE0EEENS1_30default_config_static_selectorELNS0_4arch9wavefront6targetE0EEEvSZ_.private_seg_size, 0
	.set _ZN7rocprim17ROCPRIM_400000_NS6detail17trampoline_kernelINS0_13select_configILj256ELj13ELNS0_17block_load_methodE3ELS4_3ELS4_3ELNS0_20block_scan_algorithmE0ELj4294967295EEENS1_25partition_config_selectorILNS1_17partition_subalgoE3EjNS0_10empty_typeEbEEZZNS1_14partition_implILS8_3ELb0ES6_jNS0_17counting_iteratorIjlEEPS9_SE_NS0_5tupleIJPjSE_EEENSF_IJSE_SE_EEES9_SG_JZNS1_25segmented_radix_sort_implINS0_14default_configELb0EPK12hip_bfloat16PSL_PKlPlN2at6native12_GLOBAL__N_18offset_tEEE10hipError_tPvRmT1_PNSt15iterator_traitsISZ_E10value_typeET2_T3_PNS10_IS15_E10value_typeET4_jRbjT5_S1B_jjP12ihipStream_tbEUljE_EEESW_SX_SY_S15_S19_S1B_T6_T7_T9_mT8_S1D_bDpT10_ENKUlT_T0_E_clISt17integral_constantIbLb1EES1Q_EEDaS1L_S1M_EUlS1L_E_NS1_11comp_targetILNS1_3genE5ELNS1_11target_archE942ELNS1_3gpuE9ELNS1_3repE0EEENS1_30default_config_static_selectorELNS0_4arch9wavefront6targetE0EEEvSZ_.uses_vcc, 0
	.set _ZN7rocprim17ROCPRIM_400000_NS6detail17trampoline_kernelINS0_13select_configILj256ELj13ELNS0_17block_load_methodE3ELS4_3ELS4_3ELNS0_20block_scan_algorithmE0ELj4294967295EEENS1_25partition_config_selectorILNS1_17partition_subalgoE3EjNS0_10empty_typeEbEEZZNS1_14partition_implILS8_3ELb0ES6_jNS0_17counting_iteratorIjlEEPS9_SE_NS0_5tupleIJPjSE_EEENSF_IJSE_SE_EEES9_SG_JZNS1_25segmented_radix_sort_implINS0_14default_configELb0EPK12hip_bfloat16PSL_PKlPlN2at6native12_GLOBAL__N_18offset_tEEE10hipError_tPvRmT1_PNSt15iterator_traitsISZ_E10value_typeET2_T3_PNS10_IS15_E10value_typeET4_jRbjT5_S1B_jjP12ihipStream_tbEUljE_EEESW_SX_SY_S15_S19_S1B_T6_T7_T9_mT8_S1D_bDpT10_ENKUlT_T0_E_clISt17integral_constantIbLb1EES1Q_EEDaS1L_S1M_EUlS1L_E_NS1_11comp_targetILNS1_3genE5ELNS1_11target_archE942ELNS1_3gpuE9ELNS1_3repE0EEENS1_30default_config_static_selectorELNS0_4arch9wavefront6targetE0EEEvSZ_.uses_flat_scratch, 0
	.set _ZN7rocprim17ROCPRIM_400000_NS6detail17trampoline_kernelINS0_13select_configILj256ELj13ELNS0_17block_load_methodE3ELS4_3ELS4_3ELNS0_20block_scan_algorithmE0ELj4294967295EEENS1_25partition_config_selectorILNS1_17partition_subalgoE3EjNS0_10empty_typeEbEEZZNS1_14partition_implILS8_3ELb0ES6_jNS0_17counting_iteratorIjlEEPS9_SE_NS0_5tupleIJPjSE_EEENSF_IJSE_SE_EEES9_SG_JZNS1_25segmented_radix_sort_implINS0_14default_configELb0EPK12hip_bfloat16PSL_PKlPlN2at6native12_GLOBAL__N_18offset_tEEE10hipError_tPvRmT1_PNSt15iterator_traitsISZ_E10value_typeET2_T3_PNS10_IS15_E10value_typeET4_jRbjT5_S1B_jjP12ihipStream_tbEUljE_EEESW_SX_SY_S15_S19_S1B_T6_T7_T9_mT8_S1D_bDpT10_ENKUlT_T0_E_clISt17integral_constantIbLb1EES1Q_EEDaS1L_S1M_EUlS1L_E_NS1_11comp_targetILNS1_3genE5ELNS1_11target_archE942ELNS1_3gpuE9ELNS1_3repE0EEENS1_30default_config_static_selectorELNS0_4arch9wavefront6targetE0EEEvSZ_.has_dyn_sized_stack, 0
	.set _ZN7rocprim17ROCPRIM_400000_NS6detail17trampoline_kernelINS0_13select_configILj256ELj13ELNS0_17block_load_methodE3ELS4_3ELS4_3ELNS0_20block_scan_algorithmE0ELj4294967295EEENS1_25partition_config_selectorILNS1_17partition_subalgoE3EjNS0_10empty_typeEbEEZZNS1_14partition_implILS8_3ELb0ES6_jNS0_17counting_iteratorIjlEEPS9_SE_NS0_5tupleIJPjSE_EEENSF_IJSE_SE_EEES9_SG_JZNS1_25segmented_radix_sort_implINS0_14default_configELb0EPK12hip_bfloat16PSL_PKlPlN2at6native12_GLOBAL__N_18offset_tEEE10hipError_tPvRmT1_PNSt15iterator_traitsISZ_E10value_typeET2_T3_PNS10_IS15_E10value_typeET4_jRbjT5_S1B_jjP12ihipStream_tbEUljE_EEESW_SX_SY_S15_S19_S1B_T6_T7_T9_mT8_S1D_bDpT10_ENKUlT_T0_E_clISt17integral_constantIbLb1EES1Q_EEDaS1L_S1M_EUlS1L_E_NS1_11comp_targetILNS1_3genE5ELNS1_11target_archE942ELNS1_3gpuE9ELNS1_3repE0EEENS1_30default_config_static_selectorELNS0_4arch9wavefront6targetE0EEEvSZ_.has_recursion, 0
	.set _ZN7rocprim17ROCPRIM_400000_NS6detail17trampoline_kernelINS0_13select_configILj256ELj13ELNS0_17block_load_methodE3ELS4_3ELS4_3ELNS0_20block_scan_algorithmE0ELj4294967295EEENS1_25partition_config_selectorILNS1_17partition_subalgoE3EjNS0_10empty_typeEbEEZZNS1_14partition_implILS8_3ELb0ES6_jNS0_17counting_iteratorIjlEEPS9_SE_NS0_5tupleIJPjSE_EEENSF_IJSE_SE_EEES9_SG_JZNS1_25segmented_radix_sort_implINS0_14default_configELb0EPK12hip_bfloat16PSL_PKlPlN2at6native12_GLOBAL__N_18offset_tEEE10hipError_tPvRmT1_PNSt15iterator_traitsISZ_E10value_typeET2_T3_PNS10_IS15_E10value_typeET4_jRbjT5_S1B_jjP12ihipStream_tbEUljE_EEESW_SX_SY_S15_S19_S1B_T6_T7_T9_mT8_S1D_bDpT10_ENKUlT_T0_E_clISt17integral_constantIbLb1EES1Q_EEDaS1L_S1M_EUlS1L_E_NS1_11comp_targetILNS1_3genE5ELNS1_11target_archE942ELNS1_3gpuE9ELNS1_3repE0EEENS1_30default_config_static_selectorELNS0_4arch9wavefront6targetE0EEEvSZ_.has_indirect_call, 0
	.section	.AMDGPU.csdata,"",@progbits
; Kernel info:
; codeLenInByte = 0
; TotalNumSgprs: 0
; NumVgprs: 0
; ScratchSize: 0
; MemoryBound: 0
; FloatMode: 240
; IeeeMode: 1
; LDSByteSize: 0 bytes/workgroup (compile time only)
; SGPRBlocks: 0
; VGPRBlocks: 0
; NumSGPRsForWavesPerEU: 1
; NumVGPRsForWavesPerEU: 1
; NamedBarCnt: 0
; Occupancy: 16
; WaveLimiterHint : 0
; COMPUTE_PGM_RSRC2:SCRATCH_EN: 0
; COMPUTE_PGM_RSRC2:USER_SGPR: 2
; COMPUTE_PGM_RSRC2:TRAP_HANDLER: 0
; COMPUTE_PGM_RSRC2:TGID_X_EN: 1
; COMPUTE_PGM_RSRC2:TGID_Y_EN: 0
; COMPUTE_PGM_RSRC2:TGID_Z_EN: 0
; COMPUTE_PGM_RSRC2:TIDIG_COMP_CNT: 0
	.section	.text._ZN7rocprim17ROCPRIM_400000_NS6detail17trampoline_kernelINS0_13select_configILj256ELj13ELNS0_17block_load_methodE3ELS4_3ELS4_3ELNS0_20block_scan_algorithmE0ELj4294967295EEENS1_25partition_config_selectorILNS1_17partition_subalgoE3EjNS0_10empty_typeEbEEZZNS1_14partition_implILS8_3ELb0ES6_jNS0_17counting_iteratorIjlEEPS9_SE_NS0_5tupleIJPjSE_EEENSF_IJSE_SE_EEES9_SG_JZNS1_25segmented_radix_sort_implINS0_14default_configELb0EPK12hip_bfloat16PSL_PKlPlN2at6native12_GLOBAL__N_18offset_tEEE10hipError_tPvRmT1_PNSt15iterator_traitsISZ_E10value_typeET2_T3_PNS10_IS15_E10value_typeET4_jRbjT5_S1B_jjP12ihipStream_tbEUljE_EEESW_SX_SY_S15_S19_S1B_T6_T7_T9_mT8_S1D_bDpT10_ENKUlT_T0_E_clISt17integral_constantIbLb1EES1Q_EEDaS1L_S1M_EUlS1L_E_NS1_11comp_targetILNS1_3genE4ELNS1_11target_archE910ELNS1_3gpuE8ELNS1_3repE0EEENS1_30default_config_static_selectorELNS0_4arch9wavefront6targetE0EEEvSZ_,"axG",@progbits,_ZN7rocprim17ROCPRIM_400000_NS6detail17trampoline_kernelINS0_13select_configILj256ELj13ELNS0_17block_load_methodE3ELS4_3ELS4_3ELNS0_20block_scan_algorithmE0ELj4294967295EEENS1_25partition_config_selectorILNS1_17partition_subalgoE3EjNS0_10empty_typeEbEEZZNS1_14partition_implILS8_3ELb0ES6_jNS0_17counting_iteratorIjlEEPS9_SE_NS0_5tupleIJPjSE_EEENSF_IJSE_SE_EEES9_SG_JZNS1_25segmented_radix_sort_implINS0_14default_configELb0EPK12hip_bfloat16PSL_PKlPlN2at6native12_GLOBAL__N_18offset_tEEE10hipError_tPvRmT1_PNSt15iterator_traitsISZ_E10value_typeET2_T3_PNS10_IS15_E10value_typeET4_jRbjT5_S1B_jjP12ihipStream_tbEUljE_EEESW_SX_SY_S15_S19_S1B_T6_T7_T9_mT8_S1D_bDpT10_ENKUlT_T0_E_clISt17integral_constantIbLb1EES1Q_EEDaS1L_S1M_EUlS1L_E_NS1_11comp_targetILNS1_3genE4ELNS1_11target_archE910ELNS1_3gpuE8ELNS1_3repE0EEENS1_30default_config_static_selectorELNS0_4arch9wavefront6targetE0EEEvSZ_,comdat
	.globl	_ZN7rocprim17ROCPRIM_400000_NS6detail17trampoline_kernelINS0_13select_configILj256ELj13ELNS0_17block_load_methodE3ELS4_3ELS4_3ELNS0_20block_scan_algorithmE0ELj4294967295EEENS1_25partition_config_selectorILNS1_17partition_subalgoE3EjNS0_10empty_typeEbEEZZNS1_14partition_implILS8_3ELb0ES6_jNS0_17counting_iteratorIjlEEPS9_SE_NS0_5tupleIJPjSE_EEENSF_IJSE_SE_EEES9_SG_JZNS1_25segmented_radix_sort_implINS0_14default_configELb0EPK12hip_bfloat16PSL_PKlPlN2at6native12_GLOBAL__N_18offset_tEEE10hipError_tPvRmT1_PNSt15iterator_traitsISZ_E10value_typeET2_T3_PNS10_IS15_E10value_typeET4_jRbjT5_S1B_jjP12ihipStream_tbEUljE_EEESW_SX_SY_S15_S19_S1B_T6_T7_T9_mT8_S1D_bDpT10_ENKUlT_T0_E_clISt17integral_constantIbLb1EES1Q_EEDaS1L_S1M_EUlS1L_E_NS1_11comp_targetILNS1_3genE4ELNS1_11target_archE910ELNS1_3gpuE8ELNS1_3repE0EEENS1_30default_config_static_selectorELNS0_4arch9wavefront6targetE0EEEvSZ_ ; -- Begin function _ZN7rocprim17ROCPRIM_400000_NS6detail17trampoline_kernelINS0_13select_configILj256ELj13ELNS0_17block_load_methodE3ELS4_3ELS4_3ELNS0_20block_scan_algorithmE0ELj4294967295EEENS1_25partition_config_selectorILNS1_17partition_subalgoE3EjNS0_10empty_typeEbEEZZNS1_14partition_implILS8_3ELb0ES6_jNS0_17counting_iteratorIjlEEPS9_SE_NS0_5tupleIJPjSE_EEENSF_IJSE_SE_EEES9_SG_JZNS1_25segmented_radix_sort_implINS0_14default_configELb0EPK12hip_bfloat16PSL_PKlPlN2at6native12_GLOBAL__N_18offset_tEEE10hipError_tPvRmT1_PNSt15iterator_traitsISZ_E10value_typeET2_T3_PNS10_IS15_E10value_typeET4_jRbjT5_S1B_jjP12ihipStream_tbEUljE_EEESW_SX_SY_S15_S19_S1B_T6_T7_T9_mT8_S1D_bDpT10_ENKUlT_T0_E_clISt17integral_constantIbLb1EES1Q_EEDaS1L_S1M_EUlS1L_E_NS1_11comp_targetILNS1_3genE4ELNS1_11target_archE910ELNS1_3gpuE8ELNS1_3repE0EEENS1_30default_config_static_selectorELNS0_4arch9wavefront6targetE0EEEvSZ_
	.p2align	8
	.type	_ZN7rocprim17ROCPRIM_400000_NS6detail17trampoline_kernelINS0_13select_configILj256ELj13ELNS0_17block_load_methodE3ELS4_3ELS4_3ELNS0_20block_scan_algorithmE0ELj4294967295EEENS1_25partition_config_selectorILNS1_17partition_subalgoE3EjNS0_10empty_typeEbEEZZNS1_14partition_implILS8_3ELb0ES6_jNS0_17counting_iteratorIjlEEPS9_SE_NS0_5tupleIJPjSE_EEENSF_IJSE_SE_EEES9_SG_JZNS1_25segmented_radix_sort_implINS0_14default_configELb0EPK12hip_bfloat16PSL_PKlPlN2at6native12_GLOBAL__N_18offset_tEEE10hipError_tPvRmT1_PNSt15iterator_traitsISZ_E10value_typeET2_T3_PNS10_IS15_E10value_typeET4_jRbjT5_S1B_jjP12ihipStream_tbEUljE_EEESW_SX_SY_S15_S19_S1B_T6_T7_T9_mT8_S1D_bDpT10_ENKUlT_T0_E_clISt17integral_constantIbLb1EES1Q_EEDaS1L_S1M_EUlS1L_E_NS1_11comp_targetILNS1_3genE4ELNS1_11target_archE910ELNS1_3gpuE8ELNS1_3repE0EEENS1_30default_config_static_selectorELNS0_4arch9wavefront6targetE0EEEvSZ_,@function
_ZN7rocprim17ROCPRIM_400000_NS6detail17trampoline_kernelINS0_13select_configILj256ELj13ELNS0_17block_load_methodE3ELS4_3ELS4_3ELNS0_20block_scan_algorithmE0ELj4294967295EEENS1_25partition_config_selectorILNS1_17partition_subalgoE3EjNS0_10empty_typeEbEEZZNS1_14partition_implILS8_3ELb0ES6_jNS0_17counting_iteratorIjlEEPS9_SE_NS0_5tupleIJPjSE_EEENSF_IJSE_SE_EEES9_SG_JZNS1_25segmented_radix_sort_implINS0_14default_configELb0EPK12hip_bfloat16PSL_PKlPlN2at6native12_GLOBAL__N_18offset_tEEE10hipError_tPvRmT1_PNSt15iterator_traitsISZ_E10value_typeET2_T3_PNS10_IS15_E10value_typeET4_jRbjT5_S1B_jjP12ihipStream_tbEUljE_EEESW_SX_SY_S15_S19_S1B_T6_T7_T9_mT8_S1D_bDpT10_ENKUlT_T0_E_clISt17integral_constantIbLb1EES1Q_EEDaS1L_S1M_EUlS1L_E_NS1_11comp_targetILNS1_3genE4ELNS1_11target_archE910ELNS1_3gpuE8ELNS1_3repE0EEENS1_30default_config_static_selectorELNS0_4arch9wavefront6targetE0EEEvSZ_: ; @_ZN7rocprim17ROCPRIM_400000_NS6detail17trampoline_kernelINS0_13select_configILj256ELj13ELNS0_17block_load_methodE3ELS4_3ELS4_3ELNS0_20block_scan_algorithmE0ELj4294967295EEENS1_25partition_config_selectorILNS1_17partition_subalgoE3EjNS0_10empty_typeEbEEZZNS1_14partition_implILS8_3ELb0ES6_jNS0_17counting_iteratorIjlEEPS9_SE_NS0_5tupleIJPjSE_EEENSF_IJSE_SE_EEES9_SG_JZNS1_25segmented_radix_sort_implINS0_14default_configELb0EPK12hip_bfloat16PSL_PKlPlN2at6native12_GLOBAL__N_18offset_tEEE10hipError_tPvRmT1_PNSt15iterator_traitsISZ_E10value_typeET2_T3_PNS10_IS15_E10value_typeET4_jRbjT5_S1B_jjP12ihipStream_tbEUljE_EEESW_SX_SY_S15_S19_S1B_T6_T7_T9_mT8_S1D_bDpT10_ENKUlT_T0_E_clISt17integral_constantIbLb1EES1Q_EEDaS1L_S1M_EUlS1L_E_NS1_11comp_targetILNS1_3genE4ELNS1_11target_archE910ELNS1_3gpuE8ELNS1_3repE0EEENS1_30default_config_static_selectorELNS0_4arch9wavefront6targetE0EEEvSZ_
; %bb.0:
	.section	.rodata,"a",@progbits
	.p2align	6, 0x0
	.amdhsa_kernel _ZN7rocprim17ROCPRIM_400000_NS6detail17trampoline_kernelINS0_13select_configILj256ELj13ELNS0_17block_load_methodE3ELS4_3ELS4_3ELNS0_20block_scan_algorithmE0ELj4294967295EEENS1_25partition_config_selectorILNS1_17partition_subalgoE3EjNS0_10empty_typeEbEEZZNS1_14partition_implILS8_3ELb0ES6_jNS0_17counting_iteratorIjlEEPS9_SE_NS0_5tupleIJPjSE_EEENSF_IJSE_SE_EEES9_SG_JZNS1_25segmented_radix_sort_implINS0_14default_configELb0EPK12hip_bfloat16PSL_PKlPlN2at6native12_GLOBAL__N_18offset_tEEE10hipError_tPvRmT1_PNSt15iterator_traitsISZ_E10value_typeET2_T3_PNS10_IS15_E10value_typeET4_jRbjT5_S1B_jjP12ihipStream_tbEUljE_EEESW_SX_SY_S15_S19_S1B_T6_T7_T9_mT8_S1D_bDpT10_ENKUlT_T0_E_clISt17integral_constantIbLb1EES1Q_EEDaS1L_S1M_EUlS1L_E_NS1_11comp_targetILNS1_3genE4ELNS1_11target_archE910ELNS1_3gpuE8ELNS1_3repE0EEENS1_30default_config_static_selectorELNS0_4arch9wavefront6targetE0EEEvSZ_
		.amdhsa_group_segment_fixed_size 0
		.amdhsa_private_segment_fixed_size 0
		.amdhsa_kernarg_size 152
		.amdhsa_user_sgpr_count 2
		.amdhsa_user_sgpr_dispatch_ptr 0
		.amdhsa_user_sgpr_queue_ptr 0
		.amdhsa_user_sgpr_kernarg_segment_ptr 1
		.amdhsa_user_sgpr_dispatch_id 0
		.amdhsa_user_sgpr_kernarg_preload_length 0
		.amdhsa_user_sgpr_kernarg_preload_offset 0
		.amdhsa_user_sgpr_private_segment_size 0
		.amdhsa_wavefront_size32 1
		.amdhsa_uses_dynamic_stack 0
		.amdhsa_enable_private_segment 0
		.amdhsa_system_sgpr_workgroup_id_x 1
		.amdhsa_system_sgpr_workgroup_id_y 0
		.amdhsa_system_sgpr_workgroup_id_z 0
		.amdhsa_system_sgpr_workgroup_info 0
		.amdhsa_system_vgpr_workitem_id 0
		.amdhsa_next_free_vgpr 1
		.amdhsa_next_free_sgpr 1
		.amdhsa_named_barrier_count 0
		.amdhsa_reserve_vcc 0
		.amdhsa_float_round_mode_32 0
		.amdhsa_float_round_mode_16_64 0
		.amdhsa_float_denorm_mode_32 3
		.amdhsa_float_denorm_mode_16_64 3
		.amdhsa_fp16_overflow 0
		.amdhsa_memory_ordered 1
		.amdhsa_forward_progress 1
		.amdhsa_inst_pref_size 0
		.amdhsa_round_robin_scheduling 0
		.amdhsa_exception_fp_ieee_invalid_op 0
		.amdhsa_exception_fp_denorm_src 0
		.amdhsa_exception_fp_ieee_div_zero 0
		.amdhsa_exception_fp_ieee_overflow 0
		.amdhsa_exception_fp_ieee_underflow 0
		.amdhsa_exception_fp_ieee_inexact 0
		.amdhsa_exception_int_div_zero 0
	.end_amdhsa_kernel
	.section	.text._ZN7rocprim17ROCPRIM_400000_NS6detail17trampoline_kernelINS0_13select_configILj256ELj13ELNS0_17block_load_methodE3ELS4_3ELS4_3ELNS0_20block_scan_algorithmE0ELj4294967295EEENS1_25partition_config_selectorILNS1_17partition_subalgoE3EjNS0_10empty_typeEbEEZZNS1_14partition_implILS8_3ELb0ES6_jNS0_17counting_iteratorIjlEEPS9_SE_NS0_5tupleIJPjSE_EEENSF_IJSE_SE_EEES9_SG_JZNS1_25segmented_radix_sort_implINS0_14default_configELb0EPK12hip_bfloat16PSL_PKlPlN2at6native12_GLOBAL__N_18offset_tEEE10hipError_tPvRmT1_PNSt15iterator_traitsISZ_E10value_typeET2_T3_PNS10_IS15_E10value_typeET4_jRbjT5_S1B_jjP12ihipStream_tbEUljE_EEESW_SX_SY_S15_S19_S1B_T6_T7_T9_mT8_S1D_bDpT10_ENKUlT_T0_E_clISt17integral_constantIbLb1EES1Q_EEDaS1L_S1M_EUlS1L_E_NS1_11comp_targetILNS1_3genE4ELNS1_11target_archE910ELNS1_3gpuE8ELNS1_3repE0EEENS1_30default_config_static_selectorELNS0_4arch9wavefront6targetE0EEEvSZ_,"axG",@progbits,_ZN7rocprim17ROCPRIM_400000_NS6detail17trampoline_kernelINS0_13select_configILj256ELj13ELNS0_17block_load_methodE3ELS4_3ELS4_3ELNS0_20block_scan_algorithmE0ELj4294967295EEENS1_25partition_config_selectorILNS1_17partition_subalgoE3EjNS0_10empty_typeEbEEZZNS1_14partition_implILS8_3ELb0ES6_jNS0_17counting_iteratorIjlEEPS9_SE_NS0_5tupleIJPjSE_EEENSF_IJSE_SE_EEES9_SG_JZNS1_25segmented_radix_sort_implINS0_14default_configELb0EPK12hip_bfloat16PSL_PKlPlN2at6native12_GLOBAL__N_18offset_tEEE10hipError_tPvRmT1_PNSt15iterator_traitsISZ_E10value_typeET2_T3_PNS10_IS15_E10value_typeET4_jRbjT5_S1B_jjP12ihipStream_tbEUljE_EEESW_SX_SY_S15_S19_S1B_T6_T7_T9_mT8_S1D_bDpT10_ENKUlT_T0_E_clISt17integral_constantIbLb1EES1Q_EEDaS1L_S1M_EUlS1L_E_NS1_11comp_targetILNS1_3genE4ELNS1_11target_archE910ELNS1_3gpuE8ELNS1_3repE0EEENS1_30default_config_static_selectorELNS0_4arch9wavefront6targetE0EEEvSZ_,comdat
.Lfunc_end2017:
	.size	_ZN7rocprim17ROCPRIM_400000_NS6detail17trampoline_kernelINS0_13select_configILj256ELj13ELNS0_17block_load_methodE3ELS4_3ELS4_3ELNS0_20block_scan_algorithmE0ELj4294967295EEENS1_25partition_config_selectorILNS1_17partition_subalgoE3EjNS0_10empty_typeEbEEZZNS1_14partition_implILS8_3ELb0ES6_jNS0_17counting_iteratorIjlEEPS9_SE_NS0_5tupleIJPjSE_EEENSF_IJSE_SE_EEES9_SG_JZNS1_25segmented_radix_sort_implINS0_14default_configELb0EPK12hip_bfloat16PSL_PKlPlN2at6native12_GLOBAL__N_18offset_tEEE10hipError_tPvRmT1_PNSt15iterator_traitsISZ_E10value_typeET2_T3_PNS10_IS15_E10value_typeET4_jRbjT5_S1B_jjP12ihipStream_tbEUljE_EEESW_SX_SY_S15_S19_S1B_T6_T7_T9_mT8_S1D_bDpT10_ENKUlT_T0_E_clISt17integral_constantIbLb1EES1Q_EEDaS1L_S1M_EUlS1L_E_NS1_11comp_targetILNS1_3genE4ELNS1_11target_archE910ELNS1_3gpuE8ELNS1_3repE0EEENS1_30default_config_static_selectorELNS0_4arch9wavefront6targetE0EEEvSZ_, .Lfunc_end2017-_ZN7rocprim17ROCPRIM_400000_NS6detail17trampoline_kernelINS0_13select_configILj256ELj13ELNS0_17block_load_methodE3ELS4_3ELS4_3ELNS0_20block_scan_algorithmE0ELj4294967295EEENS1_25partition_config_selectorILNS1_17partition_subalgoE3EjNS0_10empty_typeEbEEZZNS1_14partition_implILS8_3ELb0ES6_jNS0_17counting_iteratorIjlEEPS9_SE_NS0_5tupleIJPjSE_EEENSF_IJSE_SE_EEES9_SG_JZNS1_25segmented_radix_sort_implINS0_14default_configELb0EPK12hip_bfloat16PSL_PKlPlN2at6native12_GLOBAL__N_18offset_tEEE10hipError_tPvRmT1_PNSt15iterator_traitsISZ_E10value_typeET2_T3_PNS10_IS15_E10value_typeET4_jRbjT5_S1B_jjP12ihipStream_tbEUljE_EEESW_SX_SY_S15_S19_S1B_T6_T7_T9_mT8_S1D_bDpT10_ENKUlT_T0_E_clISt17integral_constantIbLb1EES1Q_EEDaS1L_S1M_EUlS1L_E_NS1_11comp_targetILNS1_3genE4ELNS1_11target_archE910ELNS1_3gpuE8ELNS1_3repE0EEENS1_30default_config_static_selectorELNS0_4arch9wavefront6targetE0EEEvSZ_
                                        ; -- End function
	.set _ZN7rocprim17ROCPRIM_400000_NS6detail17trampoline_kernelINS0_13select_configILj256ELj13ELNS0_17block_load_methodE3ELS4_3ELS4_3ELNS0_20block_scan_algorithmE0ELj4294967295EEENS1_25partition_config_selectorILNS1_17partition_subalgoE3EjNS0_10empty_typeEbEEZZNS1_14partition_implILS8_3ELb0ES6_jNS0_17counting_iteratorIjlEEPS9_SE_NS0_5tupleIJPjSE_EEENSF_IJSE_SE_EEES9_SG_JZNS1_25segmented_radix_sort_implINS0_14default_configELb0EPK12hip_bfloat16PSL_PKlPlN2at6native12_GLOBAL__N_18offset_tEEE10hipError_tPvRmT1_PNSt15iterator_traitsISZ_E10value_typeET2_T3_PNS10_IS15_E10value_typeET4_jRbjT5_S1B_jjP12ihipStream_tbEUljE_EEESW_SX_SY_S15_S19_S1B_T6_T7_T9_mT8_S1D_bDpT10_ENKUlT_T0_E_clISt17integral_constantIbLb1EES1Q_EEDaS1L_S1M_EUlS1L_E_NS1_11comp_targetILNS1_3genE4ELNS1_11target_archE910ELNS1_3gpuE8ELNS1_3repE0EEENS1_30default_config_static_selectorELNS0_4arch9wavefront6targetE0EEEvSZ_.num_vgpr, 0
	.set _ZN7rocprim17ROCPRIM_400000_NS6detail17trampoline_kernelINS0_13select_configILj256ELj13ELNS0_17block_load_methodE3ELS4_3ELS4_3ELNS0_20block_scan_algorithmE0ELj4294967295EEENS1_25partition_config_selectorILNS1_17partition_subalgoE3EjNS0_10empty_typeEbEEZZNS1_14partition_implILS8_3ELb0ES6_jNS0_17counting_iteratorIjlEEPS9_SE_NS0_5tupleIJPjSE_EEENSF_IJSE_SE_EEES9_SG_JZNS1_25segmented_radix_sort_implINS0_14default_configELb0EPK12hip_bfloat16PSL_PKlPlN2at6native12_GLOBAL__N_18offset_tEEE10hipError_tPvRmT1_PNSt15iterator_traitsISZ_E10value_typeET2_T3_PNS10_IS15_E10value_typeET4_jRbjT5_S1B_jjP12ihipStream_tbEUljE_EEESW_SX_SY_S15_S19_S1B_T6_T7_T9_mT8_S1D_bDpT10_ENKUlT_T0_E_clISt17integral_constantIbLb1EES1Q_EEDaS1L_S1M_EUlS1L_E_NS1_11comp_targetILNS1_3genE4ELNS1_11target_archE910ELNS1_3gpuE8ELNS1_3repE0EEENS1_30default_config_static_selectorELNS0_4arch9wavefront6targetE0EEEvSZ_.num_agpr, 0
	.set _ZN7rocprim17ROCPRIM_400000_NS6detail17trampoline_kernelINS0_13select_configILj256ELj13ELNS0_17block_load_methodE3ELS4_3ELS4_3ELNS0_20block_scan_algorithmE0ELj4294967295EEENS1_25partition_config_selectorILNS1_17partition_subalgoE3EjNS0_10empty_typeEbEEZZNS1_14partition_implILS8_3ELb0ES6_jNS0_17counting_iteratorIjlEEPS9_SE_NS0_5tupleIJPjSE_EEENSF_IJSE_SE_EEES9_SG_JZNS1_25segmented_radix_sort_implINS0_14default_configELb0EPK12hip_bfloat16PSL_PKlPlN2at6native12_GLOBAL__N_18offset_tEEE10hipError_tPvRmT1_PNSt15iterator_traitsISZ_E10value_typeET2_T3_PNS10_IS15_E10value_typeET4_jRbjT5_S1B_jjP12ihipStream_tbEUljE_EEESW_SX_SY_S15_S19_S1B_T6_T7_T9_mT8_S1D_bDpT10_ENKUlT_T0_E_clISt17integral_constantIbLb1EES1Q_EEDaS1L_S1M_EUlS1L_E_NS1_11comp_targetILNS1_3genE4ELNS1_11target_archE910ELNS1_3gpuE8ELNS1_3repE0EEENS1_30default_config_static_selectorELNS0_4arch9wavefront6targetE0EEEvSZ_.numbered_sgpr, 0
	.set _ZN7rocprim17ROCPRIM_400000_NS6detail17trampoline_kernelINS0_13select_configILj256ELj13ELNS0_17block_load_methodE3ELS4_3ELS4_3ELNS0_20block_scan_algorithmE0ELj4294967295EEENS1_25partition_config_selectorILNS1_17partition_subalgoE3EjNS0_10empty_typeEbEEZZNS1_14partition_implILS8_3ELb0ES6_jNS0_17counting_iteratorIjlEEPS9_SE_NS0_5tupleIJPjSE_EEENSF_IJSE_SE_EEES9_SG_JZNS1_25segmented_radix_sort_implINS0_14default_configELb0EPK12hip_bfloat16PSL_PKlPlN2at6native12_GLOBAL__N_18offset_tEEE10hipError_tPvRmT1_PNSt15iterator_traitsISZ_E10value_typeET2_T3_PNS10_IS15_E10value_typeET4_jRbjT5_S1B_jjP12ihipStream_tbEUljE_EEESW_SX_SY_S15_S19_S1B_T6_T7_T9_mT8_S1D_bDpT10_ENKUlT_T0_E_clISt17integral_constantIbLb1EES1Q_EEDaS1L_S1M_EUlS1L_E_NS1_11comp_targetILNS1_3genE4ELNS1_11target_archE910ELNS1_3gpuE8ELNS1_3repE0EEENS1_30default_config_static_selectorELNS0_4arch9wavefront6targetE0EEEvSZ_.num_named_barrier, 0
	.set _ZN7rocprim17ROCPRIM_400000_NS6detail17trampoline_kernelINS0_13select_configILj256ELj13ELNS0_17block_load_methodE3ELS4_3ELS4_3ELNS0_20block_scan_algorithmE0ELj4294967295EEENS1_25partition_config_selectorILNS1_17partition_subalgoE3EjNS0_10empty_typeEbEEZZNS1_14partition_implILS8_3ELb0ES6_jNS0_17counting_iteratorIjlEEPS9_SE_NS0_5tupleIJPjSE_EEENSF_IJSE_SE_EEES9_SG_JZNS1_25segmented_radix_sort_implINS0_14default_configELb0EPK12hip_bfloat16PSL_PKlPlN2at6native12_GLOBAL__N_18offset_tEEE10hipError_tPvRmT1_PNSt15iterator_traitsISZ_E10value_typeET2_T3_PNS10_IS15_E10value_typeET4_jRbjT5_S1B_jjP12ihipStream_tbEUljE_EEESW_SX_SY_S15_S19_S1B_T6_T7_T9_mT8_S1D_bDpT10_ENKUlT_T0_E_clISt17integral_constantIbLb1EES1Q_EEDaS1L_S1M_EUlS1L_E_NS1_11comp_targetILNS1_3genE4ELNS1_11target_archE910ELNS1_3gpuE8ELNS1_3repE0EEENS1_30default_config_static_selectorELNS0_4arch9wavefront6targetE0EEEvSZ_.private_seg_size, 0
	.set _ZN7rocprim17ROCPRIM_400000_NS6detail17trampoline_kernelINS0_13select_configILj256ELj13ELNS0_17block_load_methodE3ELS4_3ELS4_3ELNS0_20block_scan_algorithmE0ELj4294967295EEENS1_25partition_config_selectorILNS1_17partition_subalgoE3EjNS0_10empty_typeEbEEZZNS1_14partition_implILS8_3ELb0ES6_jNS0_17counting_iteratorIjlEEPS9_SE_NS0_5tupleIJPjSE_EEENSF_IJSE_SE_EEES9_SG_JZNS1_25segmented_radix_sort_implINS0_14default_configELb0EPK12hip_bfloat16PSL_PKlPlN2at6native12_GLOBAL__N_18offset_tEEE10hipError_tPvRmT1_PNSt15iterator_traitsISZ_E10value_typeET2_T3_PNS10_IS15_E10value_typeET4_jRbjT5_S1B_jjP12ihipStream_tbEUljE_EEESW_SX_SY_S15_S19_S1B_T6_T7_T9_mT8_S1D_bDpT10_ENKUlT_T0_E_clISt17integral_constantIbLb1EES1Q_EEDaS1L_S1M_EUlS1L_E_NS1_11comp_targetILNS1_3genE4ELNS1_11target_archE910ELNS1_3gpuE8ELNS1_3repE0EEENS1_30default_config_static_selectorELNS0_4arch9wavefront6targetE0EEEvSZ_.uses_vcc, 0
	.set _ZN7rocprim17ROCPRIM_400000_NS6detail17trampoline_kernelINS0_13select_configILj256ELj13ELNS0_17block_load_methodE3ELS4_3ELS4_3ELNS0_20block_scan_algorithmE0ELj4294967295EEENS1_25partition_config_selectorILNS1_17partition_subalgoE3EjNS0_10empty_typeEbEEZZNS1_14partition_implILS8_3ELb0ES6_jNS0_17counting_iteratorIjlEEPS9_SE_NS0_5tupleIJPjSE_EEENSF_IJSE_SE_EEES9_SG_JZNS1_25segmented_radix_sort_implINS0_14default_configELb0EPK12hip_bfloat16PSL_PKlPlN2at6native12_GLOBAL__N_18offset_tEEE10hipError_tPvRmT1_PNSt15iterator_traitsISZ_E10value_typeET2_T3_PNS10_IS15_E10value_typeET4_jRbjT5_S1B_jjP12ihipStream_tbEUljE_EEESW_SX_SY_S15_S19_S1B_T6_T7_T9_mT8_S1D_bDpT10_ENKUlT_T0_E_clISt17integral_constantIbLb1EES1Q_EEDaS1L_S1M_EUlS1L_E_NS1_11comp_targetILNS1_3genE4ELNS1_11target_archE910ELNS1_3gpuE8ELNS1_3repE0EEENS1_30default_config_static_selectorELNS0_4arch9wavefront6targetE0EEEvSZ_.uses_flat_scratch, 0
	.set _ZN7rocprim17ROCPRIM_400000_NS6detail17trampoline_kernelINS0_13select_configILj256ELj13ELNS0_17block_load_methodE3ELS4_3ELS4_3ELNS0_20block_scan_algorithmE0ELj4294967295EEENS1_25partition_config_selectorILNS1_17partition_subalgoE3EjNS0_10empty_typeEbEEZZNS1_14partition_implILS8_3ELb0ES6_jNS0_17counting_iteratorIjlEEPS9_SE_NS0_5tupleIJPjSE_EEENSF_IJSE_SE_EEES9_SG_JZNS1_25segmented_radix_sort_implINS0_14default_configELb0EPK12hip_bfloat16PSL_PKlPlN2at6native12_GLOBAL__N_18offset_tEEE10hipError_tPvRmT1_PNSt15iterator_traitsISZ_E10value_typeET2_T3_PNS10_IS15_E10value_typeET4_jRbjT5_S1B_jjP12ihipStream_tbEUljE_EEESW_SX_SY_S15_S19_S1B_T6_T7_T9_mT8_S1D_bDpT10_ENKUlT_T0_E_clISt17integral_constantIbLb1EES1Q_EEDaS1L_S1M_EUlS1L_E_NS1_11comp_targetILNS1_3genE4ELNS1_11target_archE910ELNS1_3gpuE8ELNS1_3repE0EEENS1_30default_config_static_selectorELNS0_4arch9wavefront6targetE0EEEvSZ_.has_dyn_sized_stack, 0
	.set _ZN7rocprim17ROCPRIM_400000_NS6detail17trampoline_kernelINS0_13select_configILj256ELj13ELNS0_17block_load_methodE3ELS4_3ELS4_3ELNS0_20block_scan_algorithmE0ELj4294967295EEENS1_25partition_config_selectorILNS1_17partition_subalgoE3EjNS0_10empty_typeEbEEZZNS1_14partition_implILS8_3ELb0ES6_jNS0_17counting_iteratorIjlEEPS9_SE_NS0_5tupleIJPjSE_EEENSF_IJSE_SE_EEES9_SG_JZNS1_25segmented_radix_sort_implINS0_14default_configELb0EPK12hip_bfloat16PSL_PKlPlN2at6native12_GLOBAL__N_18offset_tEEE10hipError_tPvRmT1_PNSt15iterator_traitsISZ_E10value_typeET2_T3_PNS10_IS15_E10value_typeET4_jRbjT5_S1B_jjP12ihipStream_tbEUljE_EEESW_SX_SY_S15_S19_S1B_T6_T7_T9_mT8_S1D_bDpT10_ENKUlT_T0_E_clISt17integral_constantIbLb1EES1Q_EEDaS1L_S1M_EUlS1L_E_NS1_11comp_targetILNS1_3genE4ELNS1_11target_archE910ELNS1_3gpuE8ELNS1_3repE0EEENS1_30default_config_static_selectorELNS0_4arch9wavefront6targetE0EEEvSZ_.has_recursion, 0
	.set _ZN7rocprim17ROCPRIM_400000_NS6detail17trampoline_kernelINS0_13select_configILj256ELj13ELNS0_17block_load_methodE3ELS4_3ELS4_3ELNS0_20block_scan_algorithmE0ELj4294967295EEENS1_25partition_config_selectorILNS1_17partition_subalgoE3EjNS0_10empty_typeEbEEZZNS1_14partition_implILS8_3ELb0ES6_jNS0_17counting_iteratorIjlEEPS9_SE_NS0_5tupleIJPjSE_EEENSF_IJSE_SE_EEES9_SG_JZNS1_25segmented_radix_sort_implINS0_14default_configELb0EPK12hip_bfloat16PSL_PKlPlN2at6native12_GLOBAL__N_18offset_tEEE10hipError_tPvRmT1_PNSt15iterator_traitsISZ_E10value_typeET2_T3_PNS10_IS15_E10value_typeET4_jRbjT5_S1B_jjP12ihipStream_tbEUljE_EEESW_SX_SY_S15_S19_S1B_T6_T7_T9_mT8_S1D_bDpT10_ENKUlT_T0_E_clISt17integral_constantIbLb1EES1Q_EEDaS1L_S1M_EUlS1L_E_NS1_11comp_targetILNS1_3genE4ELNS1_11target_archE910ELNS1_3gpuE8ELNS1_3repE0EEENS1_30default_config_static_selectorELNS0_4arch9wavefront6targetE0EEEvSZ_.has_indirect_call, 0
	.section	.AMDGPU.csdata,"",@progbits
; Kernel info:
; codeLenInByte = 0
; TotalNumSgprs: 0
; NumVgprs: 0
; ScratchSize: 0
; MemoryBound: 0
; FloatMode: 240
; IeeeMode: 1
; LDSByteSize: 0 bytes/workgroup (compile time only)
; SGPRBlocks: 0
; VGPRBlocks: 0
; NumSGPRsForWavesPerEU: 1
; NumVGPRsForWavesPerEU: 1
; NamedBarCnt: 0
; Occupancy: 16
; WaveLimiterHint : 0
; COMPUTE_PGM_RSRC2:SCRATCH_EN: 0
; COMPUTE_PGM_RSRC2:USER_SGPR: 2
; COMPUTE_PGM_RSRC2:TRAP_HANDLER: 0
; COMPUTE_PGM_RSRC2:TGID_X_EN: 1
; COMPUTE_PGM_RSRC2:TGID_Y_EN: 0
; COMPUTE_PGM_RSRC2:TGID_Z_EN: 0
; COMPUTE_PGM_RSRC2:TIDIG_COMP_CNT: 0
	.section	.text._ZN7rocprim17ROCPRIM_400000_NS6detail17trampoline_kernelINS0_13select_configILj256ELj13ELNS0_17block_load_methodE3ELS4_3ELS4_3ELNS0_20block_scan_algorithmE0ELj4294967295EEENS1_25partition_config_selectorILNS1_17partition_subalgoE3EjNS0_10empty_typeEbEEZZNS1_14partition_implILS8_3ELb0ES6_jNS0_17counting_iteratorIjlEEPS9_SE_NS0_5tupleIJPjSE_EEENSF_IJSE_SE_EEES9_SG_JZNS1_25segmented_radix_sort_implINS0_14default_configELb0EPK12hip_bfloat16PSL_PKlPlN2at6native12_GLOBAL__N_18offset_tEEE10hipError_tPvRmT1_PNSt15iterator_traitsISZ_E10value_typeET2_T3_PNS10_IS15_E10value_typeET4_jRbjT5_S1B_jjP12ihipStream_tbEUljE_EEESW_SX_SY_S15_S19_S1B_T6_T7_T9_mT8_S1D_bDpT10_ENKUlT_T0_E_clISt17integral_constantIbLb1EES1Q_EEDaS1L_S1M_EUlS1L_E_NS1_11comp_targetILNS1_3genE3ELNS1_11target_archE908ELNS1_3gpuE7ELNS1_3repE0EEENS1_30default_config_static_selectorELNS0_4arch9wavefront6targetE0EEEvSZ_,"axG",@progbits,_ZN7rocprim17ROCPRIM_400000_NS6detail17trampoline_kernelINS0_13select_configILj256ELj13ELNS0_17block_load_methodE3ELS4_3ELS4_3ELNS0_20block_scan_algorithmE0ELj4294967295EEENS1_25partition_config_selectorILNS1_17partition_subalgoE3EjNS0_10empty_typeEbEEZZNS1_14partition_implILS8_3ELb0ES6_jNS0_17counting_iteratorIjlEEPS9_SE_NS0_5tupleIJPjSE_EEENSF_IJSE_SE_EEES9_SG_JZNS1_25segmented_radix_sort_implINS0_14default_configELb0EPK12hip_bfloat16PSL_PKlPlN2at6native12_GLOBAL__N_18offset_tEEE10hipError_tPvRmT1_PNSt15iterator_traitsISZ_E10value_typeET2_T3_PNS10_IS15_E10value_typeET4_jRbjT5_S1B_jjP12ihipStream_tbEUljE_EEESW_SX_SY_S15_S19_S1B_T6_T7_T9_mT8_S1D_bDpT10_ENKUlT_T0_E_clISt17integral_constantIbLb1EES1Q_EEDaS1L_S1M_EUlS1L_E_NS1_11comp_targetILNS1_3genE3ELNS1_11target_archE908ELNS1_3gpuE7ELNS1_3repE0EEENS1_30default_config_static_selectorELNS0_4arch9wavefront6targetE0EEEvSZ_,comdat
	.globl	_ZN7rocprim17ROCPRIM_400000_NS6detail17trampoline_kernelINS0_13select_configILj256ELj13ELNS0_17block_load_methodE3ELS4_3ELS4_3ELNS0_20block_scan_algorithmE0ELj4294967295EEENS1_25partition_config_selectorILNS1_17partition_subalgoE3EjNS0_10empty_typeEbEEZZNS1_14partition_implILS8_3ELb0ES6_jNS0_17counting_iteratorIjlEEPS9_SE_NS0_5tupleIJPjSE_EEENSF_IJSE_SE_EEES9_SG_JZNS1_25segmented_radix_sort_implINS0_14default_configELb0EPK12hip_bfloat16PSL_PKlPlN2at6native12_GLOBAL__N_18offset_tEEE10hipError_tPvRmT1_PNSt15iterator_traitsISZ_E10value_typeET2_T3_PNS10_IS15_E10value_typeET4_jRbjT5_S1B_jjP12ihipStream_tbEUljE_EEESW_SX_SY_S15_S19_S1B_T6_T7_T9_mT8_S1D_bDpT10_ENKUlT_T0_E_clISt17integral_constantIbLb1EES1Q_EEDaS1L_S1M_EUlS1L_E_NS1_11comp_targetILNS1_3genE3ELNS1_11target_archE908ELNS1_3gpuE7ELNS1_3repE0EEENS1_30default_config_static_selectorELNS0_4arch9wavefront6targetE0EEEvSZ_ ; -- Begin function _ZN7rocprim17ROCPRIM_400000_NS6detail17trampoline_kernelINS0_13select_configILj256ELj13ELNS0_17block_load_methodE3ELS4_3ELS4_3ELNS0_20block_scan_algorithmE0ELj4294967295EEENS1_25partition_config_selectorILNS1_17partition_subalgoE3EjNS0_10empty_typeEbEEZZNS1_14partition_implILS8_3ELb0ES6_jNS0_17counting_iteratorIjlEEPS9_SE_NS0_5tupleIJPjSE_EEENSF_IJSE_SE_EEES9_SG_JZNS1_25segmented_radix_sort_implINS0_14default_configELb0EPK12hip_bfloat16PSL_PKlPlN2at6native12_GLOBAL__N_18offset_tEEE10hipError_tPvRmT1_PNSt15iterator_traitsISZ_E10value_typeET2_T3_PNS10_IS15_E10value_typeET4_jRbjT5_S1B_jjP12ihipStream_tbEUljE_EEESW_SX_SY_S15_S19_S1B_T6_T7_T9_mT8_S1D_bDpT10_ENKUlT_T0_E_clISt17integral_constantIbLb1EES1Q_EEDaS1L_S1M_EUlS1L_E_NS1_11comp_targetILNS1_3genE3ELNS1_11target_archE908ELNS1_3gpuE7ELNS1_3repE0EEENS1_30default_config_static_selectorELNS0_4arch9wavefront6targetE0EEEvSZ_
	.p2align	8
	.type	_ZN7rocprim17ROCPRIM_400000_NS6detail17trampoline_kernelINS0_13select_configILj256ELj13ELNS0_17block_load_methodE3ELS4_3ELS4_3ELNS0_20block_scan_algorithmE0ELj4294967295EEENS1_25partition_config_selectorILNS1_17partition_subalgoE3EjNS0_10empty_typeEbEEZZNS1_14partition_implILS8_3ELb0ES6_jNS0_17counting_iteratorIjlEEPS9_SE_NS0_5tupleIJPjSE_EEENSF_IJSE_SE_EEES9_SG_JZNS1_25segmented_radix_sort_implINS0_14default_configELb0EPK12hip_bfloat16PSL_PKlPlN2at6native12_GLOBAL__N_18offset_tEEE10hipError_tPvRmT1_PNSt15iterator_traitsISZ_E10value_typeET2_T3_PNS10_IS15_E10value_typeET4_jRbjT5_S1B_jjP12ihipStream_tbEUljE_EEESW_SX_SY_S15_S19_S1B_T6_T7_T9_mT8_S1D_bDpT10_ENKUlT_T0_E_clISt17integral_constantIbLb1EES1Q_EEDaS1L_S1M_EUlS1L_E_NS1_11comp_targetILNS1_3genE3ELNS1_11target_archE908ELNS1_3gpuE7ELNS1_3repE0EEENS1_30default_config_static_selectorELNS0_4arch9wavefront6targetE0EEEvSZ_,@function
_ZN7rocprim17ROCPRIM_400000_NS6detail17trampoline_kernelINS0_13select_configILj256ELj13ELNS0_17block_load_methodE3ELS4_3ELS4_3ELNS0_20block_scan_algorithmE0ELj4294967295EEENS1_25partition_config_selectorILNS1_17partition_subalgoE3EjNS0_10empty_typeEbEEZZNS1_14partition_implILS8_3ELb0ES6_jNS0_17counting_iteratorIjlEEPS9_SE_NS0_5tupleIJPjSE_EEENSF_IJSE_SE_EEES9_SG_JZNS1_25segmented_radix_sort_implINS0_14default_configELb0EPK12hip_bfloat16PSL_PKlPlN2at6native12_GLOBAL__N_18offset_tEEE10hipError_tPvRmT1_PNSt15iterator_traitsISZ_E10value_typeET2_T3_PNS10_IS15_E10value_typeET4_jRbjT5_S1B_jjP12ihipStream_tbEUljE_EEESW_SX_SY_S15_S19_S1B_T6_T7_T9_mT8_S1D_bDpT10_ENKUlT_T0_E_clISt17integral_constantIbLb1EES1Q_EEDaS1L_S1M_EUlS1L_E_NS1_11comp_targetILNS1_3genE3ELNS1_11target_archE908ELNS1_3gpuE7ELNS1_3repE0EEENS1_30default_config_static_selectorELNS0_4arch9wavefront6targetE0EEEvSZ_: ; @_ZN7rocprim17ROCPRIM_400000_NS6detail17trampoline_kernelINS0_13select_configILj256ELj13ELNS0_17block_load_methodE3ELS4_3ELS4_3ELNS0_20block_scan_algorithmE0ELj4294967295EEENS1_25partition_config_selectorILNS1_17partition_subalgoE3EjNS0_10empty_typeEbEEZZNS1_14partition_implILS8_3ELb0ES6_jNS0_17counting_iteratorIjlEEPS9_SE_NS0_5tupleIJPjSE_EEENSF_IJSE_SE_EEES9_SG_JZNS1_25segmented_radix_sort_implINS0_14default_configELb0EPK12hip_bfloat16PSL_PKlPlN2at6native12_GLOBAL__N_18offset_tEEE10hipError_tPvRmT1_PNSt15iterator_traitsISZ_E10value_typeET2_T3_PNS10_IS15_E10value_typeET4_jRbjT5_S1B_jjP12ihipStream_tbEUljE_EEESW_SX_SY_S15_S19_S1B_T6_T7_T9_mT8_S1D_bDpT10_ENKUlT_T0_E_clISt17integral_constantIbLb1EES1Q_EEDaS1L_S1M_EUlS1L_E_NS1_11comp_targetILNS1_3genE3ELNS1_11target_archE908ELNS1_3gpuE7ELNS1_3repE0EEENS1_30default_config_static_selectorELNS0_4arch9wavefront6targetE0EEEvSZ_
; %bb.0:
	.section	.rodata,"a",@progbits
	.p2align	6, 0x0
	.amdhsa_kernel _ZN7rocprim17ROCPRIM_400000_NS6detail17trampoline_kernelINS0_13select_configILj256ELj13ELNS0_17block_load_methodE3ELS4_3ELS4_3ELNS0_20block_scan_algorithmE0ELj4294967295EEENS1_25partition_config_selectorILNS1_17partition_subalgoE3EjNS0_10empty_typeEbEEZZNS1_14partition_implILS8_3ELb0ES6_jNS0_17counting_iteratorIjlEEPS9_SE_NS0_5tupleIJPjSE_EEENSF_IJSE_SE_EEES9_SG_JZNS1_25segmented_radix_sort_implINS0_14default_configELb0EPK12hip_bfloat16PSL_PKlPlN2at6native12_GLOBAL__N_18offset_tEEE10hipError_tPvRmT1_PNSt15iterator_traitsISZ_E10value_typeET2_T3_PNS10_IS15_E10value_typeET4_jRbjT5_S1B_jjP12ihipStream_tbEUljE_EEESW_SX_SY_S15_S19_S1B_T6_T7_T9_mT8_S1D_bDpT10_ENKUlT_T0_E_clISt17integral_constantIbLb1EES1Q_EEDaS1L_S1M_EUlS1L_E_NS1_11comp_targetILNS1_3genE3ELNS1_11target_archE908ELNS1_3gpuE7ELNS1_3repE0EEENS1_30default_config_static_selectorELNS0_4arch9wavefront6targetE0EEEvSZ_
		.amdhsa_group_segment_fixed_size 0
		.amdhsa_private_segment_fixed_size 0
		.amdhsa_kernarg_size 152
		.amdhsa_user_sgpr_count 2
		.amdhsa_user_sgpr_dispatch_ptr 0
		.amdhsa_user_sgpr_queue_ptr 0
		.amdhsa_user_sgpr_kernarg_segment_ptr 1
		.amdhsa_user_sgpr_dispatch_id 0
		.amdhsa_user_sgpr_kernarg_preload_length 0
		.amdhsa_user_sgpr_kernarg_preload_offset 0
		.amdhsa_user_sgpr_private_segment_size 0
		.amdhsa_wavefront_size32 1
		.amdhsa_uses_dynamic_stack 0
		.amdhsa_enable_private_segment 0
		.amdhsa_system_sgpr_workgroup_id_x 1
		.amdhsa_system_sgpr_workgroup_id_y 0
		.amdhsa_system_sgpr_workgroup_id_z 0
		.amdhsa_system_sgpr_workgroup_info 0
		.amdhsa_system_vgpr_workitem_id 0
		.amdhsa_next_free_vgpr 1
		.amdhsa_next_free_sgpr 1
		.amdhsa_named_barrier_count 0
		.amdhsa_reserve_vcc 0
		.amdhsa_float_round_mode_32 0
		.amdhsa_float_round_mode_16_64 0
		.amdhsa_float_denorm_mode_32 3
		.amdhsa_float_denorm_mode_16_64 3
		.amdhsa_fp16_overflow 0
		.amdhsa_memory_ordered 1
		.amdhsa_forward_progress 1
		.amdhsa_inst_pref_size 0
		.amdhsa_round_robin_scheduling 0
		.amdhsa_exception_fp_ieee_invalid_op 0
		.amdhsa_exception_fp_denorm_src 0
		.amdhsa_exception_fp_ieee_div_zero 0
		.amdhsa_exception_fp_ieee_overflow 0
		.amdhsa_exception_fp_ieee_underflow 0
		.amdhsa_exception_fp_ieee_inexact 0
		.amdhsa_exception_int_div_zero 0
	.end_amdhsa_kernel
	.section	.text._ZN7rocprim17ROCPRIM_400000_NS6detail17trampoline_kernelINS0_13select_configILj256ELj13ELNS0_17block_load_methodE3ELS4_3ELS4_3ELNS0_20block_scan_algorithmE0ELj4294967295EEENS1_25partition_config_selectorILNS1_17partition_subalgoE3EjNS0_10empty_typeEbEEZZNS1_14partition_implILS8_3ELb0ES6_jNS0_17counting_iteratorIjlEEPS9_SE_NS0_5tupleIJPjSE_EEENSF_IJSE_SE_EEES9_SG_JZNS1_25segmented_radix_sort_implINS0_14default_configELb0EPK12hip_bfloat16PSL_PKlPlN2at6native12_GLOBAL__N_18offset_tEEE10hipError_tPvRmT1_PNSt15iterator_traitsISZ_E10value_typeET2_T3_PNS10_IS15_E10value_typeET4_jRbjT5_S1B_jjP12ihipStream_tbEUljE_EEESW_SX_SY_S15_S19_S1B_T6_T7_T9_mT8_S1D_bDpT10_ENKUlT_T0_E_clISt17integral_constantIbLb1EES1Q_EEDaS1L_S1M_EUlS1L_E_NS1_11comp_targetILNS1_3genE3ELNS1_11target_archE908ELNS1_3gpuE7ELNS1_3repE0EEENS1_30default_config_static_selectorELNS0_4arch9wavefront6targetE0EEEvSZ_,"axG",@progbits,_ZN7rocprim17ROCPRIM_400000_NS6detail17trampoline_kernelINS0_13select_configILj256ELj13ELNS0_17block_load_methodE3ELS4_3ELS4_3ELNS0_20block_scan_algorithmE0ELj4294967295EEENS1_25partition_config_selectorILNS1_17partition_subalgoE3EjNS0_10empty_typeEbEEZZNS1_14partition_implILS8_3ELb0ES6_jNS0_17counting_iteratorIjlEEPS9_SE_NS0_5tupleIJPjSE_EEENSF_IJSE_SE_EEES9_SG_JZNS1_25segmented_radix_sort_implINS0_14default_configELb0EPK12hip_bfloat16PSL_PKlPlN2at6native12_GLOBAL__N_18offset_tEEE10hipError_tPvRmT1_PNSt15iterator_traitsISZ_E10value_typeET2_T3_PNS10_IS15_E10value_typeET4_jRbjT5_S1B_jjP12ihipStream_tbEUljE_EEESW_SX_SY_S15_S19_S1B_T6_T7_T9_mT8_S1D_bDpT10_ENKUlT_T0_E_clISt17integral_constantIbLb1EES1Q_EEDaS1L_S1M_EUlS1L_E_NS1_11comp_targetILNS1_3genE3ELNS1_11target_archE908ELNS1_3gpuE7ELNS1_3repE0EEENS1_30default_config_static_selectorELNS0_4arch9wavefront6targetE0EEEvSZ_,comdat
.Lfunc_end2018:
	.size	_ZN7rocprim17ROCPRIM_400000_NS6detail17trampoline_kernelINS0_13select_configILj256ELj13ELNS0_17block_load_methodE3ELS4_3ELS4_3ELNS0_20block_scan_algorithmE0ELj4294967295EEENS1_25partition_config_selectorILNS1_17partition_subalgoE3EjNS0_10empty_typeEbEEZZNS1_14partition_implILS8_3ELb0ES6_jNS0_17counting_iteratorIjlEEPS9_SE_NS0_5tupleIJPjSE_EEENSF_IJSE_SE_EEES9_SG_JZNS1_25segmented_radix_sort_implINS0_14default_configELb0EPK12hip_bfloat16PSL_PKlPlN2at6native12_GLOBAL__N_18offset_tEEE10hipError_tPvRmT1_PNSt15iterator_traitsISZ_E10value_typeET2_T3_PNS10_IS15_E10value_typeET4_jRbjT5_S1B_jjP12ihipStream_tbEUljE_EEESW_SX_SY_S15_S19_S1B_T6_T7_T9_mT8_S1D_bDpT10_ENKUlT_T0_E_clISt17integral_constantIbLb1EES1Q_EEDaS1L_S1M_EUlS1L_E_NS1_11comp_targetILNS1_3genE3ELNS1_11target_archE908ELNS1_3gpuE7ELNS1_3repE0EEENS1_30default_config_static_selectorELNS0_4arch9wavefront6targetE0EEEvSZ_, .Lfunc_end2018-_ZN7rocprim17ROCPRIM_400000_NS6detail17trampoline_kernelINS0_13select_configILj256ELj13ELNS0_17block_load_methodE3ELS4_3ELS4_3ELNS0_20block_scan_algorithmE0ELj4294967295EEENS1_25partition_config_selectorILNS1_17partition_subalgoE3EjNS0_10empty_typeEbEEZZNS1_14partition_implILS8_3ELb0ES6_jNS0_17counting_iteratorIjlEEPS9_SE_NS0_5tupleIJPjSE_EEENSF_IJSE_SE_EEES9_SG_JZNS1_25segmented_radix_sort_implINS0_14default_configELb0EPK12hip_bfloat16PSL_PKlPlN2at6native12_GLOBAL__N_18offset_tEEE10hipError_tPvRmT1_PNSt15iterator_traitsISZ_E10value_typeET2_T3_PNS10_IS15_E10value_typeET4_jRbjT5_S1B_jjP12ihipStream_tbEUljE_EEESW_SX_SY_S15_S19_S1B_T6_T7_T9_mT8_S1D_bDpT10_ENKUlT_T0_E_clISt17integral_constantIbLb1EES1Q_EEDaS1L_S1M_EUlS1L_E_NS1_11comp_targetILNS1_3genE3ELNS1_11target_archE908ELNS1_3gpuE7ELNS1_3repE0EEENS1_30default_config_static_selectorELNS0_4arch9wavefront6targetE0EEEvSZ_
                                        ; -- End function
	.set _ZN7rocprim17ROCPRIM_400000_NS6detail17trampoline_kernelINS0_13select_configILj256ELj13ELNS0_17block_load_methodE3ELS4_3ELS4_3ELNS0_20block_scan_algorithmE0ELj4294967295EEENS1_25partition_config_selectorILNS1_17partition_subalgoE3EjNS0_10empty_typeEbEEZZNS1_14partition_implILS8_3ELb0ES6_jNS0_17counting_iteratorIjlEEPS9_SE_NS0_5tupleIJPjSE_EEENSF_IJSE_SE_EEES9_SG_JZNS1_25segmented_radix_sort_implINS0_14default_configELb0EPK12hip_bfloat16PSL_PKlPlN2at6native12_GLOBAL__N_18offset_tEEE10hipError_tPvRmT1_PNSt15iterator_traitsISZ_E10value_typeET2_T3_PNS10_IS15_E10value_typeET4_jRbjT5_S1B_jjP12ihipStream_tbEUljE_EEESW_SX_SY_S15_S19_S1B_T6_T7_T9_mT8_S1D_bDpT10_ENKUlT_T0_E_clISt17integral_constantIbLb1EES1Q_EEDaS1L_S1M_EUlS1L_E_NS1_11comp_targetILNS1_3genE3ELNS1_11target_archE908ELNS1_3gpuE7ELNS1_3repE0EEENS1_30default_config_static_selectorELNS0_4arch9wavefront6targetE0EEEvSZ_.num_vgpr, 0
	.set _ZN7rocprim17ROCPRIM_400000_NS6detail17trampoline_kernelINS0_13select_configILj256ELj13ELNS0_17block_load_methodE3ELS4_3ELS4_3ELNS0_20block_scan_algorithmE0ELj4294967295EEENS1_25partition_config_selectorILNS1_17partition_subalgoE3EjNS0_10empty_typeEbEEZZNS1_14partition_implILS8_3ELb0ES6_jNS0_17counting_iteratorIjlEEPS9_SE_NS0_5tupleIJPjSE_EEENSF_IJSE_SE_EEES9_SG_JZNS1_25segmented_radix_sort_implINS0_14default_configELb0EPK12hip_bfloat16PSL_PKlPlN2at6native12_GLOBAL__N_18offset_tEEE10hipError_tPvRmT1_PNSt15iterator_traitsISZ_E10value_typeET2_T3_PNS10_IS15_E10value_typeET4_jRbjT5_S1B_jjP12ihipStream_tbEUljE_EEESW_SX_SY_S15_S19_S1B_T6_T7_T9_mT8_S1D_bDpT10_ENKUlT_T0_E_clISt17integral_constantIbLb1EES1Q_EEDaS1L_S1M_EUlS1L_E_NS1_11comp_targetILNS1_3genE3ELNS1_11target_archE908ELNS1_3gpuE7ELNS1_3repE0EEENS1_30default_config_static_selectorELNS0_4arch9wavefront6targetE0EEEvSZ_.num_agpr, 0
	.set _ZN7rocprim17ROCPRIM_400000_NS6detail17trampoline_kernelINS0_13select_configILj256ELj13ELNS0_17block_load_methodE3ELS4_3ELS4_3ELNS0_20block_scan_algorithmE0ELj4294967295EEENS1_25partition_config_selectorILNS1_17partition_subalgoE3EjNS0_10empty_typeEbEEZZNS1_14partition_implILS8_3ELb0ES6_jNS0_17counting_iteratorIjlEEPS9_SE_NS0_5tupleIJPjSE_EEENSF_IJSE_SE_EEES9_SG_JZNS1_25segmented_radix_sort_implINS0_14default_configELb0EPK12hip_bfloat16PSL_PKlPlN2at6native12_GLOBAL__N_18offset_tEEE10hipError_tPvRmT1_PNSt15iterator_traitsISZ_E10value_typeET2_T3_PNS10_IS15_E10value_typeET4_jRbjT5_S1B_jjP12ihipStream_tbEUljE_EEESW_SX_SY_S15_S19_S1B_T6_T7_T9_mT8_S1D_bDpT10_ENKUlT_T0_E_clISt17integral_constantIbLb1EES1Q_EEDaS1L_S1M_EUlS1L_E_NS1_11comp_targetILNS1_3genE3ELNS1_11target_archE908ELNS1_3gpuE7ELNS1_3repE0EEENS1_30default_config_static_selectorELNS0_4arch9wavefront6targetE0EEEvSZ_.numbered_sgpr, 0
	.set _ZN7rocprim17ROCPRIM_400000_NS6detail17trampoline_kernelINS0_13select_configILj256ELj13ELNS0_17block_load_methodE3ELS4_3ELS4_3ELNS0_20block_scan_algorithmE0ELj4294967295EEENS1_25partition_config_selectorILNS1_17partition_subalgoE3EjNS0_10empty_typeEbEEZZNS1_14partition_implILS8_3ELb0ES6_jNS0_17counting_iteratorIjlEEPS9_SE_NS0_5tupleIJPjSE_EEENSF_IJSE_SE_EEES9_SG_JZNS1_25segmented_radix_sort_implINS0_14default_configELb0EPK12hip_bfloat16PSL_PKlPlN2at6native12_GLOBAL__N_18offset_tEEE10hipError_tPvRmT1_PNSt15iterator_traitsISZ_E10value_typeET2_T3_PNS10_IS15_E10value_typeET4_jRbjT5_S1B_jjP12ihipStream_tbEUljE_EEESW_SX_SY_S15_S19_S1B_T6_T7_T9_mT8_S1D_bDpT10_ENKUlT_T0_E_clISt17integral_constantIbLb1EES1Q_EEDaS1L_S1M_EUlS1L_E_NS1_11comp_targetILNS1_3genE3ELNS1_11target_archE908ELNS1_3gpuE7ELNS1_3repE0EEENS1_30default_config_static_selectorELNS0_4arch9wavefront6targetE0EEEvSZ_.num_named_barrier, 0
	.set _ZN7rocprim17ROCPRIM_400000_NS6detail17trampoline_kernelINS0_13select_configILj256ELj13ELNS0_17block_load_methodE3ELS4_3ELS4_3ELNS0_20block_scan_algorithmE0ELj4294967295EEENS1_25partition_config_selectorILNS1_17partition_subalgoE3EjNS0_10empty_typeEbEEZZNS1_14partition_implILS8_3ELb0ES6_jNS0_17counting_iteratorIjlEEPS9_SE_NS0_5tupleIJPjSE_EEENSF_IJSE_SE_EEES9_SG_JZNS1_25segmented_radix_sort_implINS0_14default_configELb0EPK12hip_bfloat16PSL_PKlPlN2at6native12_GLOBAL__N_18offset_tEEE10hipError_tPvRmT1_PNSt15iterator_traitsISZ_E10value_typeET2_T3_PNS10_IS15_E10value_typeET4_jRbjT5_S1B_jjP12ihipStream_tbEUljE_EEESW_SX_SY_S15_S19_S1B_T6_T7_T9_mT8_S1D_bDpT10_ENKUlT_T0_E_clISt17integral_constantIbLb1EES1Q_EEDaS1L_S1M_EUlS1L_E_NS1_11comp_targetILNS1_3genE3ELNS1_11target_archE908ELNS1_3gpuE7ELNS1_3repE0EEENS1_30default_config_static_selectorELNS0_4arch9wavefront6targetE0EEEvSZ_.private_seg_size, 0
	.set _ZN7rocprim17ROCPRIM_400000_NS6detail17trampoline_kernelINS0_13select_configILj256ELj13ELNS0_17block_load_methodE3ELS4_3ELS4_3ELNS0_20block_scan_algorithmE0ELj4294967295EEENS1_25partition_config_selectorILNS1_17partition_subalgoE3EjNS0_10empty_typeEbEEZZNS1_14partition_implILS8_3ELb0ES6_jNS0_17counting_iteratorIjlEEPS9_SE_NS0_5tupleIJPjSE_EEENSF_IJSE_SE_EEES9_SG_JZNS1_25segmented_radix_sort_implINS0_14default_configELb0EPK12hip_bfloat16PSL_PKlPlN2at6native12_GLOBAL__N_18offset_tEEE10hipError_tPvRmT1_PNSt15iterator_traitsISZ_E10value_typeET2_T3_PNS10_IS15_E10value_typeET4_jRbjT5_S1B_jjP12ihipStream_tbEUljE_EEESW_SX_SY_S15_S19_S1B_T6_T7_T9_mT8_S1D_bDpT10_ENKUlT_T0_E_clISt17integral_constantIbLb1EES1Q_EEDaS1L_S1M_EUlS1L_E_NS1_11comp_targetILNS1_3genE3ELNS1_11target_archE908ELNS1_3gpuE7ELNS1_3repE0EEENS1_30default_config_static_selectorELNS0_4arch9wavefront6targetE0EEEvSZ_.uses_vcc, 0
	.set _ZN7rocprim17ROCPRIM_400000_NS6detail17trampoline_kernelINS0_13select_configILj256ELj13ELNS0_17block_load_methodE3ELS4_3ELS4_3ELNS0_20block_scan_algorithmE0ELj4294967295EEENS1_25partition_config_selectorILNS1_17partition_subalgoE3EjNS0_10empty_typeEbEEZZNS1_14partition_implILS8_3ELb0ES6_jNS0_17counting_iteratorIjlEEPS9_SE_NS0_5tupleIJPjSE_EEENSF_IJSE_SE_EEES9_SG_JZNS1_25segmented_radix_sort_implINS0_14default_configELb0EPK12hip_bfloat16PSL_PKlPlN2at6native12_GLOBAL__N_18offset_tEEE10hipError_tPvRmT1_PNSt15iterator_traitsISZ_E10value_typeET2_T3_PNS10_IS15_E10value_typeET4_jRbjT5_S1B_jjP12ihipStream_tbEUljE_EEESW_SX_SY_S15_S19_S1B_T6_T7_T9_mT8_S1D_bDpT10_ENKUlT_T0_E_clISt17integral_constantIbLb1EES1Q_EEDaS1L_S1M_EUlS1L_E_NS1_11comp_targetILNS1_3genE3ELNS1_11target_archE908ELNS1_3gpuE7ELNS1_3repE0EEENS1_30default_config_static_selectorELNS0_4arch9wavefront6targetE0EEEvSZ_.uses_flat_scratch, 0
	.set _ZN7rocprim17ROCPRIM_400000_NS6detail17trampoline_kernelINS0_13select_configILj256ELj13ELNS0_17block_load_methodE3ELS4_3ELS4_3ELNS0_20block_scan_algorithmE0ELj4294967295EEENS1_25partition_config_selectorILNS1_17partition_subalgoE3EjNS0_10empty_typeEbEEZZNS1_14partition_implILS8_3ELb0ES6_jNS0_17counting_iteratorIjlEEPS9_SE_NS0_5tupleIJPjSE_EEENSF_IJSE_SE_EEES9_SG_JZNS1_25segmented_radix_sort_implINS0_14default_configELb0EPK12hip_bfloat16PSL_PKlPlN2at6native12_GLOBAL__N_18offset_tEEE10hipError_tPvRmT1_PNSt15iterator_traitsISZ_E10value_typeET2_T3_PNS10_IS15_E10value_typeET4_jRbjT5_S1B_jjP12ihipStream_tbEUljE_EEESW_SX_SY_S15_S19_S1B_T6_T7_T9_mT8_S1D_bDpT10_ENKUlT_T0_E_clISt17integral_constantIbLb1EES1Q_EEDaS1L_S1M_EUlS1L_E_NS1_11comp_targetILNS1_3genE3ELNS1_11target_archE908ELNS1_3gpuE7ELNS1_3repE0EEENS1_30default_config_static_selectorELNS0_4arch9wavefront6targetE0EEEvSZ_.has_dyn_sized_stack, 0
	.set _ZN7rocprim17ROCPRIM_400000_NS6detail17trampoline_kernelINS0_13select_configILj256ELj13ELNS0_17block_load_methodE3ELS4_3ELS4_3ELNS0_20block_scan_algorithmE0ELj4294967295EEENS1_25partition_config_selectorILNS1_17partition_subalgoE3EjNS0_10empty_typeEbEEZZNS1_14partition_implILS8_3ELb0ES6_jNS0_17counting_iteratorIjlEEPS9_SE_NS0_5tupleIJPjSE_EEENSF_IJSE_SE_EEES9_SG_JZNS1_25segmented_radix_sort_implINS0_14default_configELb0EPK12hip_bfloat16PSL_PKlPlN2at6native12_GLOBAL__N_18offset_tEEE10hipError_tPvRmT1_PNSt15iterator_traitsISZ_E10value_typeET2_T3_PNS10_IS15_E10value_typeET4_jRbjT5_S1B_jjP12ihipStream_tbEUljE_EEESW_SX_SY_S15_S19_S1B_T6_T7_T9_mT8_S1D_bDpT10_ENKUlT_T0_E_clISt17integral_constantIbLb1EES1Q_EEDaS1L_S1M_EUlS1L_E_NS1_11comp_targetILNS1_3genE3ELNS1_11target_archE908ELNS1_3gpuE7ELNS1_3repE0EEENS1_30default_config_static_selectorELNS0_4arch9wavefront6targetE0EEEvSZ_.has_recursion, 0
	.set _ZN7rocprim17ROCPRIM_400000_NS6detail17trampoline_kernelINS0_13select_configILj256ELj13ELNS0_17block_load_methodE3ELS4_3ELS4_3ELNS0_20block_scan_algorithmE0ELj4294967295EEENS1_25partition_config_selectorILNS1_17partition_subalgoE3EjNS0_10empty_typeEbEEZZNS1_14partition_implILS8_3ELb0ES6_jNS0_17counting_iteratorIjlEEPS9_SE_NS0_5tupleIJPjSE_EEENSF_IJSE_SE_EEES9_SG_JZNS1_25segmented_radix_sort_implINS0_14default_configELb0EPK12hip_bfloat16PSL_PKlPlN2at6native12_GLOBAL__N_18offset_tEEE10hipError_tPvRmT1_PNSt15iterator_traitsISZ_E10value_typeET2_T3_PNS10_IS15_E10value_typeET4_jRbjT5_S1B_jjP12ihipStream_tbEUljE_EEESW_SX_SY_S15_S19_S1B_T6_T7_T9_mT8_S1D_bDpT10_ENKUlT_T0_E_clISt17integral_constantIbLb1EES1Q_EEDaS1L_S1M_EUlS1L_E_NS1_11comp_targetILNS1_3genE3ELNS1_11target_archE908ELNS1_3gpuE7ELNS1_3repE0EEENS1_30default_config_static_selectorELNS0_4arch9wavefront6targetE0EEEvSZ_.has_indirect_call, 0
	.section	.AMDGPU.csdata,"",@progbits
; Kernel info:
; codeLenInByte = 0
; TotalNumSgprs: 0
; NumVgprs: 0
; ScratchSize: 0
; MemoryBound: 0
; FloatMode: 240
; IeeeMode: 1
; LDSByteSize: 0 bytes/workgroup (compile time only)
; SGPRBlocks: 0
; VGPRBlocks: 0
; NumSGPRsForWavesPerEU: 1
; NumVGPRsForWavesPerEU: 1
; NamedBarCnt: 0
; Occupancy: 16
; WaveLimiterHint : 0
; COMPUTE_PGM_RSRC2:SCRATCH_EN: 0
; COMPUTE_PGM_RSRC2:USER_SGPR: 2
; COMPUTE_PGM_RSRC2:TRAP_HANDLER: 0
; COMPUTE_PGM_RSRC2:TGID_X_EN: 1
; COMPUTE_PGM_RSRC2:TGID_Y_EN: 0
; COMPUTE_PGM_RSRC2:TGID_Z_EN: 0
; COMPUTE_PGM_RSRC2:TIDIG_COMP_CNT: 0
	.section	.text._ZN7rocprim17ROCPRIM_400000_NS6detail17trampoline_kernelINS0_13select_configILj256ELj13ELNS0_17block_load_methodE3ELS4_3ELS4_3ELNS0_20block_scan_algorithmE0ELj4294967295EEENS1_25partition_config_selectorILNS1_17partition_subalgoE3EjNS0_10empty_typeEbEEZZNS1_14partition_implILS8_3ELb0ES6_jNS0_17counting_iteratorIjlEEPS9_SE_NS0_5tupleIJPjSE_EEENSF_IJSE_SE_EEES9_SG_JZNS1_25segmented_radix_sort_implINS0_14default_configELb0EPK12hip_bfloat16PSL_PKlPlN2at6native12_GLOBAL__N_18offset_tEEE10hipError_tPvRmT1_PNSt15iterator_traitsISZ_E10value_typeET2_T3_PNS10_IS15_E10value_typeET4_jRbjT5_S1B_jjP12ihipStream_tbEUljE_EEESW_SX_SY_S15_S19_S1B_T6_T7_T9_mT8_S1D_bDpT10_ENKUlT_T0_E_clISt17integral_constantIbLb1EES1Q_EEDaS1L_S1M_EUlS1L_E_NS1_11comp_targetILNS1_3genE2ELNS1_11target_archE906ELNS1_3gpuE6ELNS1_3repE0EEENS1_30default_config_static_selectorELNS0_4arch9wavefront6targetE0EEEvSZ_,"axG",@progbits,_ZN7rocprim17ROCPRIM_400000_NS6detail17trampoline_kernelINS0_13select_configILj256ELj13ELNS0_17block_load_methodE3ELS4_3ELS4_3ELNS0_20block_scan_algorithmE0ELj4294967295EEENS1_25partition_config_selectorILNS1_17partition_subalgoE3EjNS0_10empty_typeEbEEZZNS1_14partition_implILS8_3ELb0ES6_jNS0_17counting_iteratorIjlEEPS9_SE_NS0_5tupleIJPjSE_EEENSF_IJSE_SE_EEES9_SG_JZNS1_25segmented_radix_sort_implINS0_14default_configELb0EPK12hip_bfloat16PSL_PKlPlN2at6native12_GLOBAL__N_18offset_tEEE10hipError_tPvRmT1_PNSt15iterator_traitsISZ_E10value_typeET2_T3_PNS10_IS15_E10value_typeET4_jRbjT5_S1B_jjP12ihipStream_tbEUljE_EEESW_SX_SY_S15_S19_S1B_T6_T7_T9_mT8_S1D_bDpT10_ENKUlT_T0_E_clISt17integral_constantIbLb1EES1Q_EEDaS1L_S1M_EUlS1L_E_NS1_11comp_targetILNS1_3genE2ELNS1_11target_archE906ELNS1_3gpuE6ELNS1_3repE0EEENS1_30default_config_static_selectorELNS0_4arch9wavefront6targetE0EEEvSZ_,comdat
	.globl	_ZN7rocprim17ROCPRIM_400000_NS6detail17trampoline_kernelINS0_13select_configILj256ELj13ELNS0_17block_load_methodE3ELS4_3ELS4_3ELNS0_20block_scan_algorithmE0ELj4294967295EEENS1_25partition_config_selectorILNS1_17partition_subalgoE3EjNS0_10empty_typeEbEEZZNS1_14partition_implILS8_3ELb0ES6_jNS0_17counting_iteratorIjlEEPS9_SE_NS0_5tupleIJPjSE_EEENSF_IJSE_SE_EEES9_SG_JZNS1_25segmented_radix_sort_implINS0_14default_configELb0EPK12hip_bfloat16PSL_PKlPlN2at6native12_GLOBAL__N_18offset_tEEE10hipError_tPvRmT1_PNSt15iterator_traitsISZ_E10value_typeET2_T3_PNS10_IS15_E10value_typeET4_jRbjT5_S1B_jjP12ihipStream_tbEUljE_EEESW_SX_SY_S15_S19_S1B_T6_T7_T9_mT8_S1D_bDpT10_ENKUlT_T0_E_clISt17integral_constantIbLb1EES1Q_EEDaS1L_S1M_EUlS1L_E_NS1_11comp_targetILNS1_3genE2ELNS1_11target_archE906ELNS1_3gpuE6ELNS1_3repE0EEENS1_30default_config_static_selectorELNS0_4arch9wavefront6targetE0EEEvSZ_ ; -- Begin function _ZN7rocprim17ROCPRIM_400000_NS6detail17trampoline_kernelINS0_13select_configILj256ELj13ELNS0_17block_load_methodE3ELS4_3ELS4_3ELNS0_20block_scan_algorithmE0ELj4294967295EEENS1_25partition_config_selectorILNS1_17partition_subalgoE3EjNS0_10empty_typeEbEEZZNS1_14partition_implILS8_3ELb0ES6_jNS0_17counting_iteratorIjlEEPS9_SE_NS0_5tupleIJPjSE_EEENSF_IJSE_SE_EEES9_SG_JZNS1_25segmented_radix_sort_implINS0_14default_configELb0EPK12hip_bfloat16PSL_PKlPlN2at6native12_GLOBAL__N_18offset_tEEE10hipError_tPvRmT1_PNSt15iterator_traitsISZ_E10value_typeET2_T3_PNS10_IS15_E10value_typeET4_jRbjT5_S1B_jjP12ihipStream_tbEUljE_EEESW_SX_SY_S15_S19_S1B_T6_T7_T9_mT8_S1D_bDpT10_ENKUlT_T0_E_clISt17integral_constantIbLb1EES1Q_EEDaS1L_S1M_EUlS1L_E_NS1_11comp_targetILNS1_3genE2ELNS1_11target_archE906ELNS1_3gpuE6ELNS1_3repE0EEENS1_30default_config_static_selectorELNS0_4arch9wavefront6targetE0EEEvSZ_
	.p2align	8
	.type	_ZN7rocprim17ROCPRIM_400000_NS6detail17trampoline_kernelINS0_13select_configILj256ELj13ELNS0_17block_load_methodE3ELS4_3ELS4_3ELNS0_20block_scan_algorithmE0ELj4294967295EEENS1_25partition_config_selectorILNS1_17partition_subalgoE3EjNS0_10empty_typeEbEEZZNS1_14partition_implILS8_3ELb0ES6_jNS0_17counting_iteratorIjlEEPS9_SE_NS0_5tupleIJPjSE_EEENSF_IJSE_SE_EEES9_SG_JZNS1_25segmented_radix_sort_implINS0_14default_configELb0EPK12hip_bfloat16PSL_PKlPlN2at6native12_GLOBAL__N_18offset_tEEE10hipError_tPvRmT1_PNSt15iterator_traitsISZ_E10value_typeET2_T3_PNS10_IS15_E10value_typeET4_jRbjT5_S1B_jjP12ihipStream_tbEUljE_EEESW_SX_SY_S15_S19_S1B_T6_T7_T9_mT8_S1D_bDpT10_ENKUlT_T0_E_clISt17integral_constantIbLb1EES1Q_EEDaS1L_S1M_EUlS1L_E_NS1_11comp_targetILNS1_3genE2ELNS1_11target_archE906ELNS1_3gpuE6ELNS1_3repE0EEENS1_30default_config_static_selectorELNS0_4arch9wavefront6targetE0EEEvSZ_,@function
_ZN7rocprim17ROCPRIM_400000_NS6detail17trampoline_kernelINS0_13select_configILj256ELj13ELNS0_17block_load_methodE3ELS4_3ELS4_3ELNS0_20block_scan_algorithmE0ELj4294967295EEENS1_25partition_config_selectorILNS1_17partition_subalgoE3EjNS0_10empty_typeEbEEZZNS1_14partition_implILS8_3ELb0ES6_jNS0_17counting_iteratorIjlEEPS9_SE_NS0_5tupleIJPjSE_EEENSF_IJSE_SE_EEES9_SG_JZNS1_25segmented_radix_sort_implINS0_14default_configELb0EPK12hip_bfloat16PSL_PKlPlN2at6native12_GLOBAL__N_18offset_tEEE10hipError_tPvRmT1_PNSt15iterator_traitsISZ_E10value_typeET2_T3_PNS10_IS15_E10value_typeET4_jRbjT5_S1B_jjP12ihipStream_tbEUljE_EEESW_SX_SY_S15_S19_S1B_T6_T7_T9_mT8_S1D_bDpT10_ENKUlT_T0_E_clISt17integral_constantIbLb1EES1Q_EEDaS1L_S1M_EUlS1L_E_NS1_11comp_targetILNS1_3genE2ELNS1_11target_archE906ELNS1_3gpuE6ELNS1_3repE0EEENS1_30default_config_static_selectorELNS0_4arch9wavefront6targetE0EEEvSZ_: ; @_ZN7rocprim17ROCPRIM_400000_NS6detail17trampoline_kernelINS0_13select_configILj256ELj13ELNS0_17block_load_methodE3ELS4_3ELS4_3ELNS0_20block_scan_algorithmE0ELj4294967295EEENS1_25partition_config_selectorILNS1_17partition_subalgoE3EjNS0_10empty_typeEbEEZZNS1_14partition_implILS8_3ELb0ES6_jNS0_17counting_iteratorIjlEEPS9_SE_NS0_5tupleIJPjSE_EEENSF_IJSE_SE_EEES9_SG_JZNS1_25segmented_radix_sort_implINS0_14default_configELb0EPK12hip_bfloat16PSL_PKlPlN2at6native12_GLOBAL__N_18offset_tEEE10hipError_tPvRmT1_PNSt15iterator_traitsISZ_E10value_typeET2_T3_PNS10_IS15_E10value_typeET4_jRbjT5_S1B_jjP12ihipStream_tbEUljE_EEESW_SX_SY_S15_S19_S1B_T6_T7_T9_mT8_S1D_bDpT10_ENKUlT_T0_E_clISt17integral_constantIbLb1EES1Q_EEDaS1L_S1M_EUlS1L_E_NS1_11comp_targetILNS1_3genE2ELNS1_11target_archE906ELNS1_3gpuE6ELNS1_3repE0EEENS1_30default_config_static_selectorELNS0_4arch9wavefront6targetE0EEEvSZ_
; %bb.0:
	.section	.rodata,"a",@progbits
	.p2align	6, 0x0
	.amdhsa_kernel _ZN7rocprim17ROCPRIM_400000_NS6detail17trampoline_kernelINS0_13select_configILj256ELj13ELNS0_17block_load_methodE3ELS4_3ELS4_3ELNS0_20block_scan_algorithmE0ELj4294967295EEENS1_25partition_config_selectorILNS1_17partition_subalgoE3EjNS0_10empty_typeEbEEZZNS1_14partition_implILS8_3ELb0ES6_jNS0_17counting_iteratorIjlEEPS9_SE_NS0_5tupleIJPjSE_EEENSF_IJSE_SE_EEES9_SG_JZNS1_25segmented_radix_sort_implINS0_14default_configELb0EPK12hip_bfloat16PSL_PKlPlN2at6native12_GLOBAL__N_18offset_tEEE10hipError_tPvRmT1_PNSt15iterator_traitsISZ_E10value_typeET2_T3_PNS10_IS15_E10value_typeET4_jRbjT5_S1B_jjP12ihipStream_tbEUljE_EEESW_SX_SY_S15_S19_S1B_T6_T7_T9_mT8_S1D_bDpT10_ENKUlT_T0_E_clISt17integral_constantIbLb1EES1Q_EEDaS1L_S1M_EUlS1L_E_NS1_11comp_targetILNS1_3genE2ELNS1_11target_archE906ELNS1_3gpuE6ELNS1_3repE0EEENS1_30default_config_static_selectorELNS0_4arch9wavefront6targetE0EEEvSZ_
		.amdhsa_group_segment_fixed_size 0
		.amdhsa_private_segment_fixed_size 0
		.amdhsa_kernarg_size 152
		.amdhsa_user_sgpr_count 2
		.amdhsa_user_sgpr_dispatch_ptr 0
		.amdhsa_user_sgpr_queue_ptr 0
		.amdhsa_user_sgpr_kernarg_segment_ptr 1
		.amdhsa_user_sgpr_dispatch_id 0
		.amdhsa_user_sgpr_kernarg_preload_length 0
		.amdhsa_user_sgpr_kernarg_preload_offset 0
		.amdhsa_user_sgpr_private_segment_size 0
		.amdhsa_wavefront_size32 1
		.amdhsa_uses_dynamic_stack 0
		.amdhsa_enable_private_segment 0
		.amdhsa_system_sgpr_workgroup_id_x 1
		.amdhsa_system_sgpr_workgroup_id_y 0
		.amdhsa_system_sgpr_workgroup_id_z 0
		.amdhsa_system_sgpr_workgroup_info 0
		.amdhsa_system_vgpr_workitem_id 0
		.amdhsa_next_free_vgpr 1
		.amdhsa_next_free_sgpr 1
		.amdhsa_named_barrier_count 0
		.amdhsa_reserve_vcc 0
		.amdhsa_float_round_mode_32 0
		.amdhsa_float_round_mode_16_64 0
		.amdhsa_float_denorm_mode_32 3
		.amdhsa_float_denorm_mode_16_64 3
		.amdhsa_fp16_overflow 0
		.amdhsa_memory_ordered 1
		.amdhsa_forward_progress 1
		.amdhsa_inst_pref_size 0
		.amdhsa_round_robin_scheduling 0
		.amdhsa_exception_fp_ieee_invalid_op 0
		.amdhsa_exception_fp_denorm_src 0
		.amdhsa_exception_fp_ieee_div_zero 0
		.amdhsa_exception_fp_ieee_overflow 0
		.amdhsa_exception_fp_ieee_underflow 0
		.amdhsa_exception_fp_ieee_inexact 0
		.amdhsa_exception_int_div_zero 0
	.end_amdhsa_kernel
	.section	.text._ZN7rocprim17ROCPRIM_400000_NS6detail17trampoline_kernelINS0_13select_configILj256ELj13ELNS0_17block_load_methodE3ELS4_3ELS4_3ELNS0_20block_scan_algorithmE0ELj4294967295EEENS1_25partition_config_selectorILNS1_17partition_subalgoE3EjNS0_10empty_typeEbEEZZNS1_14partition_implILS8_3ELb0ES6_jNS0_17counting_iteratorIjlEEPS9_SE_NS0_5tupleIJPjSE_EEENSF_IJSE_SE_EEES9_SG_JZNS1_25segmented_radix_sort_implINS0_14default_configELb0EPK12hip_bfloat16PSL_PKlPlN2at6native12_GLOBAL__N_18offset_tEEE10hipError_tPvRmT1_PNSt15iterator_traitsISZ_E10value_typeET2_T3_PNS10_IS15_E10value_typeET4_jRbjT5_S1B_jjP12ihipStream_tbEUljE_EEESW_SX_SY_S15_S19_S1B_T6_T7_T9_mT8_S1D_bDpT10_ENKUlT_T0_E_clISt17integral_constantIbLb1EES1Q_EEDaS1L_S1M_EUlS1L_E_NS1_11comp_targetILNS1_3genE2ELNS1_11target_archE906ELNS1_3gpuE6ELNS1_3repE0EEENS1_30default_config_static_selectorELNS0_4arch9wavefront6targetE0EEEvSZ_,"axG",@progbits,_ZN7rocprim17ROCPRIM_400000_NS6detail17trampoline_kernelINS0_13select_configILj256ELj13ELNS0_17block_load_methodE3ELS4_3ELS4_3ELNS0_20block_scan_algorithmE0ELj4294967295EEENS1_25partition_config_selectorILNS1_17partition_subalgoE3EjNS0_10empty_typeEbEEZZNS1_14partition_implILS8_3ELb0ES6_jNS0_17counting_iteratorIjlEEPS9_SE_NS0_5tupleIJPjSE_EEENSF_IJSE_SE_EEES9_SG_JZNS1_25segmented_radix_sort_implINS0_14default_configELb0EPK12hip_bfloat16PSL_PKlPlN2at6native12_GLOBAL__N_18offset_tEEE10hipError_tPvRmT1_PNSt15iterator_traitsISZ_E10value_typeET2_T3_PNS10_IS15_E10value_typeET4_jRbjT5_S1B_jjP12ihipStream_tbEUljE_EEESW_SX_SY_S15_S19_S1B_T6_T7_T9_mT8_S1D_bDpT10_ENKUlT_T0_E_clISt17integral_constantIbLb1EES1Q_EEDaS1L_S1M_EUlS1L_E_NS1_11comp_targetILNS1_3genE2ELNS1_11target_archE906ELNS1_3gpuE6ELNS1_3repE0EEENS1_30default_config_static_selectorELNS0_4arch9wavefront6targetE0EEEvSZ_,comdat
.Lfunc_end2019:
	.size	_ZN7rocprim17ROCPRIM_400000_NS6detail17trampoline_kernelINS0_13select_configILj256ELj13ELNS0_17block_load_methodE3ELS4_3ELS4_3ELNS0_20block_scan_algorithmE0ELj4294967295EEENS1_25partition_config_selectorILNS1_17partition_subalgoE3EjNS0_10empty_typeEbEEZZNS1_14partition_implILS8_3ELb0ES6_jNS0_17counting_iteratorIjlEEPS9_SE_NS0_5tupleIJPjSE_EEENSF_IJSE_SE_EEES9_SG_JZNS1_25segmented_radix_sort_implINS0_14default_configELb0EPK12hip_bfloat16PSL_PKlPlN2at6native12_GLOBAL__N_18offset_tEEE10hipError_tPvRmT1_PNSt15iterator_traitsISZ_E10value_typeET2_T3_PNS10_IS15_E10value_typeET4_jRbjT5_S1B_jjP12ihipStream_tbEUljE_EEESW_SX_SY_S15_S19_S1B_T6_T7_T9_mT8_S1D_bDpT10_ENKUlT_T0_E_clISt17integral_constantIbLb1EES1Q_EEDaS1L_S1M_EUlS1L_E_NS1_11comp_targetILNS1_3genE2ELNS1_11target_archE906ELNS1_3gpuE6ELNS1_3repE0EEENS1_30default_config_static_selectorELNS0_4arch9wavefront6targetE0EEEvSZ_, .Lfunc_end2019-_ZN7rocprim17ROCPRIM_400000_NS6detail17trampoline_kernelINS0_13select_configILj256ELj13ELNS0_17block_load_methodE3ELS4_3ELS4_3ELNS0_20block_scan_algorithmE0ELj4294967295EEENS1_25partition_config_selectorILNS1_17partition_subalgoE3EjNS0_10empty_typeEbEEZZNS1_14partition_implILS8_3ELb0ES6_jNS0_17counting_iteratorIjlEEPS9_SE_NS0_5tupleIJPjSE_EEENSF_IJSE_SE_EEES9_SG_JZNS1_25segmented_radix_sort_implINS0_14default_configELb0EPK12hip_bfloat16PSL_PKlPlN2at6native12_GLOBAL__N_18offset_tEEE10hipError_tPvRmT1_PNSt15iterator_traitsISZ_E10value_typeET2_T3_PNS10_IS15_E10value_typeET4_jRbjT5_S1B_jjP12ihipStream_tbEUljE_EEESW_SX_SY_S15_S19_S1B_T6_T7_T9_mT8_S1D_bDpT10_ENKUlT_T0_E_clISt17integral_constantIbLb1EES1Q_EEDaS1L_S1M_EUlS1L_E_NS1_11comp_targetILNS1_3genE2ELNS1_11target_archE906ELNS1_3gpuE6ELNS1_3repE0EEENS1_30default_config_static_selectorELNS0_4arch9wavefront6targetE0EEEvSZ_
                                        ; -- End function
	.set _ZN7rocprim17ROCPRIM_400000_NS6detail17trampoline_kernelINS0_13select_configILj256ELj13ELNS0_17block_load_methodE3ELS4_3ELS4_3ELNS0_20block_scan_algorithmE0ELj4294967295EEENS1_25partition_config_selectorILNS1_17partition_subalgoE3EjNS0_10empty_typeEbEEZZNS1_14partition_implILS8_3ELb0ES6_jNS0_17counting_iteratorIjlEEPS9_SE_NS0_5tupleIJPjSE_EEENSF_IJSE_SE_EEES9_SG_JZNS1_25segmented_radix_sort_implINS0_14default_configELb0EPK12hip_bfloat16PSL_PKlPlN2at6native12_GLOBAL__N_18offset_tEEE10hipError_tPvRmT1_PNSt15iterator_traitsISZ_E10value_typeET2_T3_PNS10_IS15_E10value_typeET4_jRbjT5_S1B_jjP12ihipStream_tbEUljE_EEESW_SX_SY_S15_S19_S1B_T6_T7_T9_mT8_S1D_bDpT10_ENKUlT_T0_E_clISt17integral_constantIbLb1EES1Q_EEDaS1L_S1M_EUlS1L_E_NS1_11comp_targetILNS1_3genE2ELNS1_11target_archE906ELNS1_3gpuE6ELNS1_3repE0EEENS1_30default_config_static_selectorELNS0_4arch9wavefront6targetE0EEEvSZ_.num_vgpr, 0
	.set _ZN7rocprim17ROCPRIM_400000_NS6detail17trampoline_kernelINS0_13select_configILj256ELj13ELNS0_17block_load_methodE3ELS4_3ELS4_3ELNS0_20block_scan_algorithmE0ELj4294967295EEENS1_25partition_config_selectorILNS1_17partition_subalgoE3EjNS0_10empty_typeEbEEZZNS1_14partition_implILS8_3ELb0ES6_jNS0_17counting_iteratorIjlEEPS9_SE_NS0_5tupleIJPjSE_EEENSF_IJSE_SE_EEES9_SG_JZNS1_25segmented_radix_sort_implINS0_14default_configELb0EPK12hip_bfloat16PSL_PKlPlN2at6native12_GLOBAL__N_18offset_tEEE10hipError_tPvRmT1_PNSt15iterator_traitsISZ_E10value_typeET2_T3_PNS10_IS15_E10value_typeET4_jRbjT5_S1B_jjP12ihipStream_tbEUljE_EEESW_SX_SY_S15_S19_S1B_T6_T7_T9_mT8_S1D_bDpT10_ENKUlT_T0_E_clISt17integral_constantIbLb1EES1Q_EEDaS1L_S1M_EUlS1L_E_NS1_11comp_targetILNS1_3genE2ELNS1_11target_archE906ELNS1_3gpuE6ELNS1_3repE0EEENS1_30default_config_static_selectorELNS0_4arch9wavefront6targetE0EEEvSZ_.num_agpr, 0
	.set _ZN7rocprim17ROCPRIM_400000_NS6detail17trampoline_kernelINS0_13select_configILj256ELj13ELNS0_17block_load_methodE3ELS4_3ELS4_3ELNS0_20block_scan_algorithmE0ELj4294967295EEENS1_25partition_config_selectorILNS1_17partition_subalgoE3EjNS0_10empty_typeEbEEZZNS1_14partition_implILS8_3ELb0ES6_jNS0_17counting_iteratorIjlEEPS9_SE_NS0_5tupleIJPjSE_EEENSF_IJSE_SE_EEES9_SG_JZNS1_25segmented_radix_sort_implINS0_14default_configELb0EPK12hip_bfloat16PSL_PKlPlN2at6native12_GLOBAL__N_18offset_tEEE10hipError_tPvRmT1_PNSt15iterator_traitsISZ_E10value_typeET2_T3_PNS10_IS15_E10value_typeET4_jRbjT5_S1B_jjP12ihipStream_tbEUljE_EEESW_SX_SY_S15_S19_S1B_T6_T7_T9_mT8_S1D_bDpT10_ENKUlT_T0_E_clISt17integral_constantIbLb1EES1Q_EEDaS1L_S1M_EUlS1L_E_NS1_11comp_targetILNS1_3genE2ELNS1_11target_archE906ELNS1_3gpuE6ELNS1_3repE0EEENS1_30default_config_static_selectorELNS0_4arch9wavefront6targetE0EEEvSZ_.numbered_sgpr, 0
	.set _ZN7rocprim17ROCPRIM_400000_NS6detail17trampoline_kernelINS0_13select_configILj256ELj13ELNS0_17block_load_methodE3ELS4_3ELS4_3ELNS0_20block_scan_algorithmE0ELj4294967295EEENS1_25partition_config_selectorILNS1_17partition_subalgoE3EjNS0_10empty_typeEbEEZZNS1_14partition_implILS8_3ELb0ES6_jNS0_17counting_iteratorIjlEEPS9_SE_NS0_5tupleIJPjSE_EEENSF_IJSE_SE_EEES9_SG_JZNS1_25segmented_radix_sort_implINS0_14default_configELb0EPK12hip_bfloat16PSL_PKlPlN2at6native12_GLOBAL__N_18offset_tEEE10hipError_tPvRmT1_PNSt15iterator_traitsISZ_E10value_typeET2_T3_PNS10_IS15_E10value_typeET4_jRbjT5_S1B_jjP12ihipStream_tbEUljE_EEESW_SX_SY_S15_S19_S1B_T6_T7_T9_mT8_S1D_bDpT10_ENKUlT_T0_E_clISt17integral_constantIbLb1EES1Q_EEDaS1L_S1M_EUlS1L_E_NS1_11comp_targetILNS1_3genE2ELNS1_11target_archE906ELNS1_3gpuE6ELNS1_3repE0EEENS1_30default_config_static_selectorELNS0_4arch9wavefront6targetE0EEEvSZ_.num_named_barrier, 0
	.set _ZN7rocprim17ROCPRIM_400000_NS6detail17trampoline_kernelINS0_13select_configILj256ELj13ELNS0_17block_load_methodE3ELS4_3ELS4_3ELNS0_20block_scan_algorithmE0ELj4294967295EEENS1_25partition_config_selectorILNS1_17partition_subalgoE3EjNS0_10empty_typeEbEEZZNS1_14partition_implILS8_3ELb0ES6_jNS0_17counting_iteratorIjlEEPS9_SE_NS0_5tupleIJPjSE_EEENSF_IJSE_SE_EEES9_SG_JZNS1_25segmented_radix_sort_implINS0_14default_configELb0EPK12hip_bfloat16PSL_PKlPlN2at6native12_GLOBAL__N_18offset_tEEE10hipError_tPvRmT1_PNSt15iterator_traitsISZ_E10value_typeET2_T3_PNS10_IS15_E10value_typeET4_jRbjT5_S1B_jjP12ihipStream_tbEUljE_EEESW_SX_SY_S15_S19_S1B_T6_T7_T9_mT8_S1D_bDpT10_ENKUlT_T0_E_clISt17integral_constantIbLb1EES1Q_EEDaS1L_S1M_EUlS1L_E_NS1_11comp_targetILNS1_3genE2ELNS1_11target_archE906ELNS1_3gpuE6ELNS1_3repE0EEENS1_30default_config_static_selectorELNS0_4arch9wavefront6targetE0EEEvSZ_.private_seg_size, 0
	.set _ZN7rocprim17ROCPRIM_400000_NS6detail17trampoline_kernelINS0_13select_configILj256ELj13ELNS0_17block_load_methodE3ELS4_3ELS4_3ELNS0_20block_scan_algorithmE0ELj4294967295EEENS1_25partition_config_selectorILNS1_17partition_subalgoE3EjNS0_10empty_typeEbEEZZNS1_14partition_implILS8_3ELb0ES6_jNS0_17counting_iteratorIjlEEPS9_SE_NS0_5tupleIJPjSE_EEENSF_IJSE_SE_EEES9_SG_JZNS1_25segmented_radix_sort_implINS0_14default_configELb0EPK12hip_bfloat16PSL_PKlPlN2at6native12_GLOBAL__N_18offset_tEEE10hipError_tPvRmT1_PNSt15iterator_traitsISZ_E10value_typeET2_T3_PNS10_IS15_E10value_typeET4_jRbjT5_S1B_jjP12ihipStream_tbEUljE_EEESW_SX_SY_S15_S19_S1B_T6_T7_T9_mT8_S1D_bDpT10_ENKUlT_T0_E_clISt17integral_constantIbLb1EES1Q_EEDaS1L_S1M_EUlS1L_E_NS1_11comp_targetILNS1_3genE2ELNS1_11target_archE906ELNS1_3gpuE6ELNS1_3repE0EEENS1_30default_config_static_selectorELNS0_4arch9wavefront6targetE0EEEvSZ_.uses_vcc, 0
	.set _ZN7rocprim17ROCPRIM_400000_NS6detail17trampoline_kernelINS0_13select_configILj256ELj13ELNS0_17block_load_methodE3ELS4_3ELS4_3ELNS0_20block_scan_algorithmE0ELj4294967295EEENS1_25partition_config_selectorILNS1_17partition_subalgoE3EjNS0_10empty_typeEbEEZZNS1_14partition_implILS8_3ELb0ES6_jNS0_17counting_iteratorIjlEEPS9_SE_NS0_5tupleIJPjSE_EEENSF_IJSE_SE_EEES9_SG_JZNS1_25segmented_radix_sort_implINS0_14default_configELb0EPK12hip_bfloat16PSL_PKlPlN2at6native12_GLOBAL__N_18offset_tEEE10hipError_tPvRmT1_PNSt15iterator_traitsISZ_E10value_typeET2_T3_PNS10_IS15_E10value_typeET4_jRbjT5_S1B_jjP12ihipStream_tbEUljE_EEESW_SX_SY_S15_S19_S1B_T6_T7_T9_mT8_S1D_bDpT10_ENKUlT_T0_E_clISt17integral_constantIbLb1EES1Q_EEDaS1L_S1M_EUlS1L_E_NS1_11comp_targetILNS1_3genE2ELNS1_11target_archE906ELNS1_3gpuE6ELNS1_3repE0EEENS1_30default_config_static_selectorELNS0_4arch9wavefront6targetE0EEEvSZ_.uses_flat_scratch, 0
	.set _ZN7rocprim17ROCPRIM_400000_NS6detail17trampoline_kernelINS0_13select_configILj256ELj13ELNS0_17block_load_methodE3ELS4_3ELS4_3ELNS0_20block_scan_algorithmE0ELj4294967295EEENS1_25partition_config_selectorILNS1_17partition_subalgoE3EjNS0_10empty_typeEbEEZZNS1_14partition_implILS8_3ELb0ES6_jNS0_17counting_iteratorIjlEEPS9_SE_NS0_5tupleIJPjSE_EEENSF_IJSE_SE_EEES9_SG_JZNS1_25segmented_radix_sort_implINS0_14default_configELb0EPK12hip_bfloat16PSL_PKlPlN2at6native12_GLOBAL__N_18offset_tEEE10hipError_tPvRmT1_PNSt15iterator_traitsISZ_E10value_typeET2_T3_PNS10_IS15_E10value_typeET4_jRbjT5_S1B_jjP12ihipStream_tbEUljE_EEESW_SX_SY_S15_S19_S1B_T6_T7_T9_mT8_S1D_bDpT10_ENKUlT_T0_E_clISt17integral_constantIbLb1EES1Q_EEDaS1L_S1M_EUlS1L_E_NS1_11comp_targetILNS1_3genE2ELNS1_11target_archE906ELNS1_3gpuE6ELNS1_3repE0EEENS1_30default_config_static_selectorELNS0_4arch9wavefront6targetE0EEEvSZ_.has_dyn_sized_stack, 0
	.set _ZN7rocprim17ROCPRIM_400000_NS6detail17trampoline_kernelINS0_13select_configILj256ELj13ELNS0_17block_load_methodE3ELS4_3ELS4_3ELNS0_20block_scan_algorithmE0ELj4294967295EEENS1_25partition_config_selectorILNS1_17partition_subalgoE3EjNS0_10empty_typeEbEEZZNS1_14partition_implILS8_3ELb0ES6_jNS0_17counting_iteratorIjlEEPS9_SE_NS0_5tupleIJPjSE_EEENSF_IJSE_SE_EEES9_SG_JZNS1_25segmented_radix_sort_implINS0_14default_configELb0EPK12hip_bfloat16PSL_PKlPlN2at6native12_GLOBAL__N_18offset_tEEE10hipError_tPvRmT1_PNSt15iterator_traitsISZ_E10value_typeET2_T3_PNS10_IS15_E10value_typeET4_jRbjT5_S1B_jjP12ihipStream_tbEUljE_EEESW_SX_SY_S15_S19_S1B_T6_T7_T9_mT8_S1D_bDpT10_ENKUlT_T0_E_clISt17integral_constantIbLb1EES1Q_EEDaS1L_S1M_EUlS1L_E_NS1_11comp_targetILNS1_3genE2ELNS1_11target_archE906ELNS1_3gpuE6ELNS1_3repE0EEENS1_30default_config_static_selectorELNS0_4arch9wavefront6targetE0EEEvSZ_.has_recursion, 0
	.set _ZN7rocprim17ROCPRIM_400000_NS6detail17trampoline_kernelINS0_13select_configILj256ELj13ELNS0_17block_load_methodE3ELS4_3ELS4_3ELNS0_20block_scan_algorithmE0ELj4294967295EEENS1_25partition_config_selectorILNS1_17partition_subalgoE3EjNS0_10empty_typeEbEEZZNS1_14partition_implILS8_3ELb0ES6_jNS0_17counting_iteratorIjlEEPS9_SE_NS0_5tupleIJPjSE_EEENSF_IJSE_SE_EEES9_SG_JZNS1_25segmented_radix_sort_implINS0_14default_configELb0EPK12hip_bfloat16PSL_PKlPlN2at6native12_GLOBAL__N_18offset_tEEE10hipError_tPvRmT1_PNSt15iterator_traitsISZ_E10value_typeET2_T3_PNS10_IS15_E10value_typeET4_jRbjT5_S1B_jjP12ihipStream_tbEUljE_EEESW_SX_SY_S15_S19_S1B_T6_T7_T9_mT8_S1D_bDpT10_ENKUlT_T0_E_clISt17integral_constantIbLb1EES1Q_EEDaS1L_S1M_EUlS1L_E_NS1_11comp_targetILNS1_3genE2ELNS1_11target_archE906ELNS1_3gpuE6ELNS1_3repE0EEENS1_30default_config_static_selectorELNS0_4arch9wavefront6targetE0EEEvSZ_.has_indirect_call, 0
	.section	.AMDGPU.csdata,"",@progbits
; Kernel info:
; codeLenInByte = 0
; TotalNumSgprs: 0
; NumVgprs: 0
; ScratchSize: 0
; MemoryBound: 0
; FloatMode: 240
; IeeeMode: 1
; LDSByteSize: 0 bytes/workgroup (compile time only)
; SGPRBlocks: 0
; VGPRBlocks: 0
; NumSGPRsForWavesPerEU: 1
; NumVGPRsForWavesPerEU: 1
; NamedBarCnt: 0
; Occupancy: 16
; WaveLimiterHint : 0
; COMPUTE_PGM_RSRC2:SCRATCH_EN: 0
; COMPUTE_PGM_RSRC2:USER_SGPR: 2
; COMPUTE_PGM_RSRC2:TRAP_HANDLER: 0
; COMPUTE_PGM_RSRC2:TGID_X_EN: 1
; COMPUTE_PGM_RSRC2:TGID_Y_EN: 0
; COMPUTE_PGM_RSRC2:TGID_Z_EN: 0
; COMPUTE_PGM_RSRC2:TIDIG_COMP_CNT: 0
	.section	.text._ZN7rocprim17ROCPRIM_400000_NS6detail17trampoline_kernelINS0_13select_configILj256ELj13ELNS0_17block_load_methodE3ELS4_3ELS4_3ELNS0_20block_scan_algorithmE0ELj4294967295EEENS1_25partition_config_selectorILNS1_17partition_subalgoE3EjNS0_10empty_typeEbEEZZNS1_14partition_implILS8_3ELb0ES6_jNS0_17counting_iteratorIjlEEPS9_SE_NS0_5tupleIJPjSE_EEENSF_IJSE_SE_EEES9_SG_JZNS1_25segmented_radix_sort_implINS0_14default_configELb0EPK12hip_bfloat16PSL_PKlPlN2at6native12_GLOBAL__N_18offset_tEEE10hipError_tPvRmT1_PNSt15iterator_traitsISZ_E10value_typeET2_T3_PNS10_IS15_E10value_typeET4_jRbjT5_S1B_jjP12ihipStream_tbEUljE_EEESW_SX_SY_S15_S19_S1B_T6_T7_T9_mT8_S1D_bDpT10_ENKUlT_T0_E_clISt17integral_constantIbLb1EES1Q_EEDaS1L_S1M_EUlS1L_E_NS1_11comp_targetILNS1_3genE10ELNS1_11target_archE1200ELNS1_3gpuE4ELNS1_3repE0EEENS1_30default_config_static_selectorELNS0_4arch9wavefront6targetE0EEEvSZ_,"axG",@progbits,_ZN7rocprim17ROCPRIM_400000_NS6detail17trampoline_kernelINS0_13select_configILj256ELj13ELNS0_17block_load_methodE3ELS4_3ELS4_3ELNS0_20block_scan_algorithmE0ELj4294967295EEENS1_25partition_config_selectorILNS1_17partition_subalgoE3EjNS0_10empty_typeEbEEZZNS1_14partition_implILS8_3ELb0ES6_jNS0_17counting_iteratorIjlEEPS9_SE_NS0_5tupleIJPjSE_EEENSF_IJSE_SE_EEES9_SG_JZNS1_25segmented_radix_sort_implINS0_14default_configELb0EPK12hip_bfloat16PSL_PKlPlN2at6native12_GLOBAL__N_18offset_tEEE10hipError_tPvRmT1_PNSt15iterator_traitsISZ_E10value_typeET2_T3_PNS10_IS15_E10value_typeET4_jRbjT5_S1B_jjP12ihipStream_tbEUljE_EEESW_SX_SY_S15_S19_S1B_T6_T7_T9_mT8_S1D_bDpT10_ENKUlT_T0_E_clISt17integral_constantIbLb1EES1Q_EEDaS1L_S1M_EUlS1L_E_NS1_11comp_targetILNS1_3genE10ELNS1_11target_archE1200ELNS1_3gpuE4ELNS1_3repE0EEENS1_30default_config_static_selectorELNS0_4arch9wavefront6targetE0EEEvSZ_,comdat
	.globl	_ZN7rocprim17ROCPRIM_400000_NS6detail17trampoline_kernelINS0_13select_configILj256ELj13ELNS0_17block_load_methodE3ELS4_3ELS4_3ELNS0_20block_scan_algorithmE0ELj4294967295EEENS1_25partition_config_selectorILNS1_17partition_subalgoE3EjNS0_10empty_typeEbEEZZNS1_14partition_implILS8_3ELb0ES6_jNS0_17counting_iteratorIjlEEPS9_SE_NS0_5tupleIJPjSE_EEENSF_IJSE_SE_EEES9_SG_JZNS1_25segmented_radix_sort_implINS0_14default_configELb0EPK12hip_bfloat16PSL_PKlPlN2at6native12_GLOBAL__N_18offset_tEEE10hipError_tPvRmT1_PNSt15iterator_traitsISZ_E10value_typeET2_T3_PNS10_IS15_E10value_typeET4_jRbjT5_S1B_jjP12ihipStream_tbEUljE_EEESW_SX_SY_S15_S19_S1B_T6_T7_T9_mT8_S1D_bDpT10_ENKUlT_T0_E_clISt17integral_constantIbLb1EES1Q_EEDaS1L_S1M_EUlS1L_E_NS1_11comp_targetILNS1_3genE10ELNS1_11target_archE1200ELNS1_3gpuE4ELNS1_3repE0EEENS1_30default_config_static_selectorELNS0_4arch9wavefront6targetE0EEEvSZ_ ; -- Begin function _ZN7rocprim17ROCPRIM_400000_NS6detail17trampoline_kernelINS0_13select_configILj256ELj13ELNS0_17block_load_methodE3ELS4_3ELS4_3ELNS0_20block_scan_algorithmE0ELj4294967295EEENS1_25partition_config_selectorILNS1_17partition_subalgoE3EjNS0_10empty_typeEbEEZZNS1_14partition_implILS8_3ELb0ES6_jNS0_17counting_iteratorIjlEEPS9_SE_NS0_5tupleIJPjSE_EEENSF_IJSE_SE_EEES9_SG_JZNS1_25segmented_radix_sort_implINS0_14default_configELb0EPK12hip_bfloat16PSL_PKlPlN2at6native12_GLOBAL__N_18offset_tEEE10hipError_tPvRmT1_PNSt15iterator_traitsISZ_E10value_typeET2_T3_PNS10_IS15_E10value_typeET4_jRbjT5_S1B_jjP12ihipStream_tbEUljE_EEESW_SX_SY_S15_S19_S1B_T6_T7_T9_mT8_S1D_bDpT10_ENKUlT_T0_E_clISt17integral_constantIbLb1EES1Q_EEDaS1L_S1M_EUlS1L_E_NS1_11comp_targetILNS1_3genE10ELNS1_11target_archE1200ELNS1_3gpuE4ELNS1_3repE0EEENS1_30default_config_static_selectorELNS0_4arch9wavefront6targetE0EEEvSZ_
	.p2align	8
	.type	_ZN7rocprim17ROCPRIM_400000_NS6detail17trampoline_kernelINS0_13select_configILj256ELj13ELNS0_17block_load_methodE3ELS4_3ELS4_3ELNS0_20block_scan_algorithmE0ELj4294967295EEENS1_25partition_config_selectorILNS1_17partition_subalgoE3EjNS0_10empty_typeEbEEZZNS1_14partition_implILS8_3ELb0ES6_jNS0_17counting_iteratorIjlEEPS9_SE_NS0_5tupleIJPjSE_EEENSF_IJSE_SE_EEES9_SG_JZNS1_25segmented_radix_sort_implINS0_14default_configELb0EPK12hip_bfloat16PSL_PKlPlN2at6native12_GLOBAL__N_18offset_tEEE10hipError_tPvRmT1_PNSt15iterator_traitsISZ_E10value_typeET2_T3_PNS10_IS15_E10value_typeET4_jRbjT5_S1B_jjP12ihipStream_tbEUljE_EEESW_SX_SY_S15_S19_S1B_T6_T7_T9_mT8_S1D_bDpT10_ENKUlT_T0_E_clISt17integral_constantIbLb1EES1Q_EEDaS1L_S1M_EUlS1L_E_NS1_11comp_targetILNS1_3genE10ELNS1_11target_archE1200ELNS1_3gpuE4ELNS1_3repE0EEENS1_30default_config_static_selectorELNS0_4arch9wavefront6targetE0EEEvSZ_,@function
_ZN7rocprim17ROCPRIM_400000_NS6detail17trampoline_kernelINS0_13select_configILj256ELj13ELNS0_17block_load_methodE3ELS4_3ELS4_3ELNS0_20block_scan_algorithmE0ELj4294967295EEENS1_25partition_config_selectorILNS1_17partition_subalgoE3EjNS0_10empty_typeEbEEZZNS1_14partition_implILS8_3ELb0ES6_jNS0_17counting_iteratorIjlEEPS9_SE_NS0_5tupleIJPjSE_EEENSF_IJSE_SE_EEES9_SG_JZNS1_25segmented_radix_sort_implINS0_14default_configELb0EPK12hip_bfloat16PSL_PKlPlN2at6native12_GLOBAL__N_18offset_tEEE10hipError_tPvRmT1_PNSt15iterator_traitsISZ_E10value_typeET2_T3_PNS10_IS15_E10value_typeET4_jRbjT5_S1B_jjP12ihipStream_tbEUljE_EEESW_SX_SY_S15_S19_S1B_T6_T7_T9_mT8_S1D_bDpT10_ENKUlT_T0_E_clISt17integral_constantIbLb1EES1Q_EEDaS1L_S1M_EUlS1L_E_NS1_11comp_targetILNS1_3genE10ELNS1_11target_archE1200ELNS1_3gpuE4ELNS1_3repE0EEENS1_30default_config_static_selectorELNS0_4arch9wavefront6targetE0EEEvSZ_: ; @_ZN7rocprim17ROCPRIM_400000_NS6detail17trampoline_kernelINS0_13select_configILj256ELj13ELNS0_17block_load_methodE3ELS4_3ELS4_3ELNS0_20block_scan_algorithmE0ELj4294967295EEENS1_25partition_config_selectorILNS1_17partition_subalgoE3EjNS0_10empty_typeEbEEZZNS1_14partition_implILS8_3ELb0ES6_jNS0_17counting_iteratorIjlEEPS9_SE_NS0_5tupleIJPjSE_EEENSF_IJSE_SE_EEES9_SG_JZNS1_25segmented_radix_sort_implINS0_14default_configELb0EPK12hip_bfloat16PSL_PKlPlN2at6native12_GLOBAL__N_18offset_tEEE10hipError_tPvRmT1_PNSt15iterator_traitsISZ_E10value_typeET2_T3_PNS10_IS15_E10value_typeET4_jRbjT5_S1B_jjP12ihipStream_tbEUljE_EEESW_SX_SY_S15_S19_S1B_T6_T7_T9_mT8_S1D_bDpT10_ENKUlT_T0_E_clISt17integral_constantIbLb1EES1Q_EEDaS1L_S1M_EUlS1L_E_NS1_11comp_targetILNS1_3genE10ELNS1_11target_archE1200ELNS1_3gpuE4ELNS1_3repE0EEENS1_30default_config_static_selectorELNS0_4arch9wavefront6targetE0EEEvSZ_
; %bb.0:
	.section	.rodata,"a",@progbits
	.p2align	6, 0x0
	.amdhsa_kernel _ZN7rocprim17ROCPRIM_400000_NS6detail17trampoline_kernelINS0_13select_configILj256ELj13ELNS0_17block_load_methodE3ELS4_3ELS4_3ELNS0_20block_scan_algorithmE0ELj4294967295EEENS1_25partition_config_selectorILNS1_17partition_subalgoE3EjNS0_10empty_typeEbEEZZNS1_14partition_implILS8_3ELb0ES6_jNS0_17counting_iteratorIjlEEPS9_SE_NS0_5tupleIJPjSE_EEENSF_IJSE_SE_EEES9_SG_JZNS1_25segmented_radix_sort_implINS0_14default_configELb0EPK12hip_bfloat16PSL_PKlPlN2at6native12_GLOBAL__N_18offset_tEEE10hipError_tPvRmT1_PNSt15iterator_traitsISZ_E10value_typeET2_T3_PNS10_IS15_E10value_typeET4_jRbjT5_S1B_jjP12ihipStream_tbEUljE_EEESW_SX_SY_S15_S19_S1B_T6_T7_T9_mT8_S1D_bDpT10_ENKUlT_T0_E_clISt17integral_constantIbLb1EES1Q_EEDaS1L_S1M_EUlS1L_E_NS1_11comp_targetILNS1_3genE10ELNS1_11target_archE1200ELNS1_3gpuE4ELNS1_3repE0EEENS1_30default_config_static_selectorELNS0_4arch9wavefront6targetE0EEEvSZ_
		.amdhsa_group_segment_fixed_size 0
		.amdhsa_private_segment_fixed_size 0
		.amdhsa_kernarg_size 152
		.amdhsa_user_sgpr_count 2
		.amdhsa_user_sgpr_dispatch_ptr 0
		.amdhsa_user_sgpr_queue_ptr 0
		.amdhsa_user_sgpr_kernarg_segment_ptr 1
		.amdhsa_user_sgpr_dispatch_id 0
		.amdhsa_user_sgpr_kernarg_preload_length 0
		.amdhsa_user_sgpr_kernarg_preload_offset 0
		.amdhsa_user_sgpr_private_segment_size 0
		.amdhsa_wavefront_size32 1
		.amdhsa_uses_dynamic_stack 0
		.amdhsa_enable_private_segment 0
		.amdhsa_system_sgpr_workgroup_id_x 1
		.amdhsa_system_sgpr_workgroup_id_y 0
		.amdhsa_system_sgpr_workgroup_id_z 0
		.amdhsa_system_sgpr_workgroup_info 0
		.amdhsa_system_vgpr_workitem_id 0
		.amdhsa_next_free_vgpr 1
		.amdhsa_next_free_sgpr 1
		.amdhsa_named_barrier_count 0
		.amdhsa_reserve_vcc 0
		.amdhsa_float_round_mode_32 0
		.amdhsa_float_round_mode_16_64 0
		.amdhsa_float_denorm_mode_32 3
		.amdhsa_float_denorm_mode_16_64 3
		.amdhsa_fp16_overflow 0
		.amdhsa_memory_ordered 1
		.amdhsa_forward_progress 1
		.amdhsa_inst_pref_size 0
		.amdhsa_round_robin_scheduling 0
		.amdhsa_exception_fp_ieee_invalid_op 0
		.amdhsa_exception_fp_denorm_src 0
		.amdhsa_exception_fp_ieee_div_zero 0
		.amdhsa_exception_fp_ieee_overflow 0
		.amdhsa_exception_fp_ieee_underflow 0
		.amdhsa_exception_fp_ieee_inexact 0
		.amdhsa_exception_int_div_zero 0
	.end_amdhsa_kernel
	.section	.text._ZN7rocprim17ROCPRIM_400000_NS6detail17trampoline_kernelINS0_13select_configILj256ELj13ELNS0_17block_load_methodE3ELS4_3ELS4_3ELNS0_20block_scan_algorithmE0ELj4294967295EEENS1_25partition_config_selectorILNS1_17partition_subalgoE3EjNS0_10empty_typeEbEEZZNS1_14partition_implILS8_3ELb0ES6_jNS0_17counting_iteratorIjlEEPS9_SE_NS0_5tupleIJPjSE_EEENSF_IJSE_SE_EEES9_SG_JZNS1_25segmented_radix_sort_implINS0_14default_configELb0EPK12hip_bfloat16PSL_PKlPlN2at6native12_GLOBAL__N_18offset_tEEE10hipError_tPvRmT1_PNSt15iterator_traitsISZ_E10value_typeET2_T3_PNS10_IS15_E10value_typeET4_jRbjT5_S1B_jjP12ihipStream_tbEUljE_EEESW_SX_SY_S15_S19_S1B_T6_T7_T9_mT8_S1D_bDpT10_ENKUlT_T0_E_clISt17integral_constantIbLb1EES1Q_EEDaS1L_S1M_EUlS1L_E_NS1_11comp_targetILNS1_3genE10ELNS1_11target_archE1200ELNS1_3gpuE4ELNS1_3repE0EEENS1_30default_config_static_selectorELNS0_4arch9wavefront6targetE0EEEvSZ_,"axG",@progbits,_ZN7rocprim17ROCPRIM_400000_NS6detail17trampoline_kernelINS0_13select_configILj256ELj13ELNS0_17block_load_methodE3ELS4_3ELS4_3ELNS0_20block_scan_algorithmE0ELj4294967295EEENS1_25partition_config_selectorILNS1_17partition_subalgoE3EjNS0_10empty_typeEbEEZZNS1_14partition_implILS8_3ELb0ES6_jNS0_17counting_iteratorIjlEEPS9_SE_NS0_5tupleIJPjSE_EEENSF_IJSE_SE_EEES9_SG_JZNS1_25segmented_radix_sort_implINS0_14default_configELb0EPK12hip_bfloat16PSL_PKlPlN2at6native12_GLOBAL__N_18offset_tEEE10hipError_tPvRmT1_PNSt15iterator_traitsISZ_E10value_typeET2_T3_PNS10_IS15_E10value_typeET4_jRbjT5_S1B_jjP12ihipStream_tbEUljE_EEESW_SX_SY_S15_S19_S1B_T6_T7_T9_mT8_S1D_bDpT10_ENKUlT_T0_E_clISt17integral_constantIbLb1EES1Q_EEDaS1L_S1M_EUlS1L_E_NS1_11comp_targetILNS1_3genE10ELNS1_11target_archE1200ELNS1_3gpuE4ELNS1_3repE0EEENS1_30default_config_static_selectorELNS0_4arch9wavefront6targetE0EEEvSZ_,comdat
.Lfunc_end2020:
	.size	_ZN7rocprim17ROCPRIM_400000_NS6detail17trampoline_kernelINS0_13select_configILj256ELj13ELNS0_17block_load_methodE3ELS4_3ELS4_3ELNS0_20block_scan_algorithmE0ELj4294967295EEENS1_25partition_config_selectorILNS1_17partition_subalgoE3EjNS0_10empty_typeEbEEZZNS1_14partition_implILS8_3ELb0ES6_jNS0_17counting_iteratorIjlEEPS9_SE_NS0_5tupleIJPjSE_EEENSF_IJSE_SE_EEES9_SG_JZNS1_25segmented_radix_sort_implINS0_14default_configELb0EPK12hip_bfloat16PSL_PKlPlN2at6native12_GLOBAL__N_18offset_tEEE10hipError_tPvRmT1_PNSt15iterator_traitsISZ_E10value_typeET2_T3_PNS10_IS15_E10value_typeET4_jRbjT5_S1B_jjP12ihipStream_tbEUljE_EEESW_SX_SY_S15_S19_S1B_T6_T7_T9_mT8_S1D_bDpT10_ENKUlT_T0_E_clISt17integral_constantIbLb1EES1Q_EEDaS1L_S1M_EUlS1L_E_NS1_11comp_targetILNS1_3genE10ELNS1_11target_archE1200ELNS1_3gpuE4ELNS1_3repE0EEENS1_30default_config_static_selectorELNS0_4arch9wavefront6targetE0EEEvSZ_, .Lfunc_end2020-_ZN7rocprim17ROCPRIM_400000_NS6detail17trampoline_kernelINS0_13select_configILj256ELj13ELNS0_17block_load_methodE3ELS4_3ELS4_3ELNS0_20block_scan_algorithmE0ELj4294967295EEENS1_25partition_config_selectorILNS1_17partition_subalgoE3EjNS0_10empty_typeEbEEZZNS1_14partition_implILS8_3ELb0ES6_jNS0_17counting_iteratorIjlEEPS9_SE_NS0_5tupleIJPjSE_EEENSF_IJSE_SE_EEES9_SG_JZNS1_25segmented_radix_sort_implINS0_14default_configELb0EPK12hip_bfloat16PSL_PKlPlN2at6native12_GLOBAL__N_18offset_tEEE10hipError_tPvRmT1_PNSt15iterator_traitsISZ_E10value_typeET2_T3_PNS10_IS15_E10value_typeET4_jRbjT5_S1B_jjP12ihipStream_tbEUljE_EEESW_SX_SY_S15_S19_S1B_T6_T7_T9_mT8_S1D_bDpT10_ENKUlT_T0_E_clISt17integral_constantIbLb1EES1Q_EEDaS1L_S1M_EUlS1L_E_NS1_11comp_targetILNS1_3genE10ELNS1_11target_archE1200ELNS1_3gpuE4ELNS1_3repE0EEENS1_30default_config_static_selectorELNS0_4arch9wavefront6targetE0EEEvSZ_
                                        ; -- End function
	.set _ZN7rocprim17ROCPRIM_400000_NS6detail17trampoline_kernelINS0_13select_configILj256ELj13ELNS0_17block_load_methodE3ELS4_3ELS4_3ELNS0_20block_scan_algorithmE0ELj4294967295EEENS1_25partition_config_selectorILNS1_17partition_subalgoE3EjNS0_10empty_typeEbEEZZNS1_14partition_implILS8_3ELb0ES6_jNS0_17counting_iteratorIjlEEPS9_SE_NS0_5tupleIJPjSE_EEENSF_IJSE_SE_EEES9_SG_JZNS1_25segmented_radix_sort_implINS0_14default_configELb0EPK12hip_bfloat16PSL_PKlPlN2at6native12_GLOBAL__N_18offset_tEEE10hipError_tPvRmT1_PNSt15iterator_traitsISZ_E10value_typeET2_T3_PNS10_IS15_E10value_typeET4_jRbjT5_S1B_jjP12ihipStream_tbEUljE_EEESW_SX_SY_S15_S19_S1B_T6_T7_T9_mT8_S1D_bDpT10_ENKUlT_T0_E_clISt17integral_constantIbLb1EES1Q_EEDaS1L_S1M_EUlS1L_E_NS1_11comp_targetILNS1_3genE10ELNS1_11target_archE1200ELNS1_3gpuE4ELNS1_3repE0EEENS1_30default_config_static_selectorELNS0_4arch9wavefront6targetE0EEEvSZ_.num_vgpr, 0
	.set _ZN7rocprim17ROCPRIM_400000_NS6detail17trampoline_kernelINS0_13select_configILj256ELj13ELNS0_17block_load_methodE3ELS4_3ELS4_3ELNS0_20block_scan_algorithmE0ELj4294967295EEENS1_25partition_config_selectorILNS1_17partition_subalgoE3EjNS0_10empty_typeEbEEZZNS1_14partition_implILS8_3ELb0ES6_jNS0_17counting_iteratorIjlEEPS9_SE_NS0_5tupleIJPjSE_EEENSF_IJSE_SE_EEES9_SG_JZNS1_25segmented_radix_sort_implINS0_14default_configELb0EPK12hip_bfloat16PSL_PKlPlN2at6native12_GLOBAL__N_18offset_tEEE10hipError_tPvRmT1_PNSt15iterator_traitsISZ_E10value_typeET2_T3_PNS10_IS15_E10value_typeET4_jRbjT5_S1B_jjP12ihipStream_tbEUljE_EEESW_SX_SY_S15_S19_S1B_T6_T7_T9_mT8_S1D_bDpT10_ENKUlT_T0_E_clISt17integral_constantIbLb1EES1Q_EEDaS1L_S1M_EUlS1L_E_NS1_11comp_targetILNS1_3genE10ELNS1_11target_archE1200ELNS1_3gpuE4ELNS1_3repE0EEENS1_30default_config_static_selectorELNS0_4arch9wavefront6targetE0EEEvSZ_.num_agpr, 0
	.set _ZN7rocprim17ROCPRIM_400000_NS6detail17trampoline_kernelINS0_13select_configILj256ELj13ELNS0_17block_load_methodE3ELS4_3ELS4_3ELNS0_20block_scan_algorithmE0ELj4294967295EEENS1_25partition_config_selectorILNS1_17partition_subalgoE3EjNS0_10empty_typeEbEEZZNS1_14partition_implILS8_3ELb0ES6_jNS0_17counting_iteratorIjlEEPS9_SE_NS0_5tupleIJPjSE_EEENSF_IJSE_SE_EEES9_SG_JZNS1_25segmented_radix_sort_implINS0_14default_configELb0EPK12hip_bfloat16PSL_PKlPlN2at6native12_GLOBAL__N_18offset_tEEE10hipError_tPvRmT1_PNSt15iterator_traitsISZ_E10value_typeET2_T3_PNS10_IS15_E10value_typeET4_jRbjT5_S1B_jjP12ihipStream_tbEUljE_EEESW_SX_SY_S15_S19_S1B_T6_T7_T9_mT8_S1D_bDpT10_ENKUlT_T0_E_clISt17integral_constantIbLb1EES1Q_EEDaS1L_S1M_EUlS1L_E_NS1_11comp_targetILNS1_3genE10ELNS1_11target_archE1200ELNS1_3gpuE4ELNS1_3repE0EEENS1_30default_config_static_selectorELNS0_4arch9wavefront6targetE0EEEvSZ_.numbered_sgpr, 0
	.set _ZN7rocprim17ROCPRIM_400000_NS6detail17trampoline_kernelINS0_13select_configILj256ELj13ELNS0_17block_load_methodE3ELS4_3ELS4_3ELNS0_20block_scan_algorithmE0ELj4294967295EEENS1_25partition_config_selectorILNS1_17partition_subalgoE3EjNS0_10empty_typeEbEEZZNS1_14partition_implILS8_3ELb0ES6_jNS0_17counting_iteratorIjlEEPS9_SE_NS0_5tupleIJPjSE_EEENSF_IJSE_SE_EEES9_SG_JZNS1_25segmented_radix_sort_implINS0_14default_configELb0EPK12hip_bfloat16PSL_PKlPlN2at6native12_GLOBAL__N_18offset_tEEE10hipError_tPvRmT1_PNSt15iterator_traitsISZ_E10value_typeET2_T3_PNS10_IS15_E10value_typeET4_jRbjT5_S1B_jjP12ihipStream_tbEUljE_EEESW_SX_SY_S15_S19_S1B_T6_T7_T9_mT8_S1D_bDpT10_ENKUlT_T0_E_clISt17integral_constantIbLb1EES1Q_EEDaS1L_S1M_EUlS1L_E_NS1_11comp_targetILNS1_3genE10ELNS1_11target_archE1200ELNS1_3gpuE4ELNS1_3repE0EEENS1_30default_config_static_selectorELNS0_4arch9wavefront6targetE0EEEvSZ_.num_named_barrier, 0
	.set _ZN7rocprim17ROCPRIM_400000_NS6detail17trampoline_kernelINS0_13select_configILj256ELj13ELNS0_17block_load_methodE3ELS4_3ELS4_3ELNS0_20block_scan_algorithmE0ELj4294967295EEENS1_25partition_config_selectorILNS1_17partition_subalgoE3EjNS0_10empty_typeEbEEZZNS1_14partition_implILS8_3ELb0ES6_jNS0_17counting_iteratorIjlEEPS9_SE_NS0_5tupleIJPjSE_EEENSF_IJSE_SE_EEES9_SG_JZNS1_25segmented_radix_sort_implINS0_14default_configELb0EPK12hip_bfloat16PSL_PKlPlN2at6native12_GLOBAL__N_18offset_tEEE10hipError_tPvRmT1_PNSt15iterator_traitsISZ_E10value_typeET2_T3_PNS10_IS15_E10value_typeET4_jRbjT5_S1B_jjP12ihipStream_tbEUljE_EEESW_SX_SY_S15_S19_S1B_T6_T7_T9_mT8_S1D_bDpT10_ENKUlT_T0_E_clISt17integral_constantIbLb1EES1Q_EEDaS1L_S1M_EUlS1L_E_NS1_11comp_targetILNS1_3genE10ELNS1_11target_archE1200ELNS1_3gpuE4ELNS1_3repE0EEENS1_30default_config_static_selectorELNS0_4arch9wavefront6targetE0EEEvSZ_.private_seg_size, 0
	.set _ZN7rocprim17ROCPRIM_400000_NS6detail17trampoline_kernelINS0_13select_configILj256ELj13ELNS0_17block_load_methodE3ELS4_3ELS4_3ELNS0_20block_scan_algorithmE0ELj4294967295EEENS1_25partition_config_selectorILNS1_17partition_subalgoE3EjNS0_10empty_typeEbEEZZNS1_14partition_implILS8_3ELb0ES6_jNS0_17counting_iteratorIjlEEPS9_SE_NS0_5tupleIJPjSE_EEENSF_IJSE_SE_EEES9_SG_JZNS1_25segmented_radix_sort_implINS0_14default_configELb0EPK12hip_bfloat16PSL_PKlPlN2at6native12_GLOBAL__N_18offset_tEEE10hipError_tPvRmT1_PNSt15iterator_traitsISZ_E10value_typeET2_T3_PNS10_IS15_E10value_typeET4_jRbjT5_S1B_jjP12ihipStream_tbEUljE_EEESW_SX_SY_S15_S19_S1B_T6_T7_T9_mT8_S1D_bDpT10_ENKUlT_T0_E_clISt17integral_constantIbLb1EES1Q_EEDaS1L_S1M_EUlS1L_E_NS1_11comp_targetILNS1_3genE10ELNS1_11target_archE1200ELNS1_3gpuE4ELNS1_3repE0EEENS1_30default_config_static_selectorELNS0_4arch9wavefront6targetE0EEEvSZ_.uses_vcc, 0
	.set _ZN7rocprim17ROCPRIM_400000_NS6detail17trampoline_kernelINS0_13select_configILj256ELj13ELNS0_17block_load_methodE3ELS4_3ELS4_3ELNS0_20block_scan_algorithmE0ELj4294967295EEENS1_25partition_config_selectorILNS1_17partition_subalgoE3EjNS0_10empty_typeEbEEZZNS1_14partition_implILS8_3ELb0ES6_jNS0_17counting_iteratorIjlEEPS9_SE_NS0_5tupleIJPjSE_EEENSF_IJSE_SE_EEES9_SG_JZNS1_25segmented_radix_sort_implINS0_14default_configELb0EPK12hip_bfloat16PSL_PKlPlN2at6native12_GLOBAL__N_18offset_tEEE10hipError_tPvRmT1_PNSt15iterator_traitsISZ_E10value_typeET2_T3_PNS10_IS15_E10value_typeET4_jRbjT5_S1B_jjP12ihipStream_tbEUljE_EEESW_SX_SY_S15_S19_S1B_T6_T7_T9_mT8_S1D_bDpT10_ENKUlT_T0_E_clISt17integral_constantIbLb1EES1Q_EEDaS1L_S1M_EUlS1L_E_NS1_11comp_targetILNS1_3genE10ELNS1_11target_archE1200ELNS1_3gpuE4ELNS1_3repE0EEENS1_30default_config_static_selectorELNS0_4arch9wavefront6targetE0EEEvSZ_.uses_flat_scratch, 0
	.set _ZN7rocprim17ROCPRIM_400000_NS6detail17trampoline_kernelINS0_13select_configILj256ELj13ELNS0_17block_load_methodE3ELS4_3ELS4_3ELNS0_20block_scan_algorithmE0ELj4294967295EEENS1_25partition_config_selectorILNS1_17partition_subalgoE3EjNS0_10empty_typeEbEEZZNS1_14partition_implILS8_3ELb0ES6_jNS0_17counting_iteratorIjlEEPS9_SE_NS0_5tupleIJPjSE_EEENSF_IJSE_SE_EEES9_SG_JZNS1_25segmented_radix_sort_implINS0_14default_configELb0EPK12hip_bfloat16PSL_PKlPlN2at6native12_GLOBAL__N_18offset_tEEE10hipError_tPvRmT1_PNSt15iterator_traitsISZ_E10value_typeET2_T3_PNS10_IS15_E10value_typeET4_jRbjT5_S1B_jjP12ihipStream_tbEUljE_EEESW_SX_SY_S15_S19_S1B_T6_T7_T9_mT8_S1D_bDpT10_ENKUlT_T0_E_clISt17integral_constantIbLb1EES1Q_EEDaS1L_S1M_EUlS1L_E_NS1_11comp_targetILNS1_3genE10ELNS1_11target_archE1200ELNS1_3gpuE4ELNS1_3repE0EEENS1_30default_config_static_selectorELNS0_4arch9wavefront6targetE0EEEvSZ_.has_dyn_sized_stack, 0
	.set _ZN7rocprim17ROCPRIM_400000_NS6detail17trampoline_kernelINS0_13select_configILj256ELj13ELNS0_17block_load_methodE3ELS4_3ELS4_3ELNS0_20block_scan_algorithmE0ELj4294967295EEENS1_25partition_config_selectorILNS1_17partition_subalgoE3EjNS0_10empty_typeEbEEZZNS1_14partition_implILS8_3ELb0ES6_jNS0_17counting_iteratorIjlEEPS9_SE_NS0_5tupleIJPjSE_EEENSF_IJSE_SE_EEES9_SG_JZNS1_25segmented_radix_sort_implINS0_14default_configELb0EPK12hip_bfloat16PSL_PKlPlN2at6native12_GLOBAL__N_18offset_tEEE10hipError_tPvRmT1_PNSt15iterator_traitsISZ_E10value_typeET2_T3_PNS10_IS15_E10value_typeET4_jRbjT5_S1B_jjP12ihipStream_tbEUljE_EEESW_SX_SY_S15_S19_S1B_T6_T7_T9_mT8_S1D_bDpT10_ENKUlT_T0_E_clISt17integral_constantIbLb1EES1Q_EEDaS1L_S1M_EUlS1L_E_NS1_11comp_targetILNS1_3genE10ELNS1_11target_archE1200ELNS1_3gpuE4ELNS1_3repE0EEENS1_30default_config_static_selectorELNS0_4arch9wavefront6targetE0EEEvSZ_.has_recursion, 0
	.set _ZN7rocprim17ROCPRIM_400000_NS6detail17trampoline_kernelINS0_13select_configILj256ELj13ELNS0_17block_load_methodE3ELS4_3ELS4_3ELNS0_20block_scan_algorithmE0ELj4294967295EEENS1_25partition_config_selectorILNS1_17partition_subalgoE3EjNS0_10empty_typeEbEEZZNS1_14partition_implILS8_3ELb0ES6_jNS0_17counting_iteratorIjlEEPS9_SE_NS0_5tupleIJPjSE_EEENSF_IJSE_SE_EEES9_SG_JZNS1_25segmented_radix_sort_implINS0_14default_configELb0EPK12hip_bfloat16PSL_PKlPlN2at6native12_GLOBAL__N_18offset_tEEE10hipError_tPvRmT1_PNSt15iterator_traitsISZ_E10value_typeET2_T3_PNS10_IS15_E10value_typeET4_jRbjT5_S1B_jjP12ihipStream_tbEUljE_EEESW_SX_SY_S15_S19_S1B_T6_T7_T9_mT8_S1D_bDpT10_ENKUlT_T0_E_clISt17integral_constantIbLb1EES1Q_EEDaS1L_S1M_EUlS1L_E_NS1_11comp_targetILNS1_3genE10ELNS1_11target_archE1200ELNS1_3gpuE4ELNS1_3repE0EEENS1_30default_config_static_selectorELNS0_4arch9wavefront6targetE0EEEvSZ_.has_indirect_call, 0
	.section	.AMDGPU.csdata,"",@progbits
; Kernel info:
; codeLenInByte = 0
; TotalNumSgprs: 0
; NumVgprs: 0
; ScratchSize: 0
; MemoryBound: 0
; FloatMode: 240
; IeeeMode: 1
; LDSByteSize: 0 bytes/workgroup (compile time only)
; SGPRBlocks: 0
; VGPRBlocks: 0
; NumSGPRsForWavesPerEU: 1
; NumVGPRsForWavesPerEU: 1
; NamedBarCnt: 0
; Occupancy: 16
; WaveLimiterHint : 0
; COMPUTE_PGM_RSRC2:SCRATCH_EN: 0
; COMPUTE_PGM_RSRC2:USER_SGPR: 2
; COMPUTE_PGM_RSRC2:TRAP_HANDLER: 0
; COMPUTE_PGM_RSRC2:TGID_X_EN: 1
; COMPUTE_PGM_RSRC2:TGID_Y_EN: 0
; COMPUTE_PGM_RSRC2:TGID_Z_EN: 0
; COMPUTE_PGM_RSRC2:TIDIG_COMP_CNT: 0
	.section	.text._ZN7rocprim17ROCPRIM_400000_NS6detail17trampoline_kernelINS0_13select_configILj256ELj13ELNS0_17block_load_methodE3ELS4_3ELS4_3ELNS0_20block_scan_algorithmE0ELj4294967295EEENS1_25partition_config_selectorILNS1_17partition_subalgoE3EjNS0_10empty_typeEbEEZZNS1_14partition_implILS8_3ELb0ES6_jNS0_17counting_iteratorIjlEEPS9_SE_NS0_5tupleIJPjSE_EEENSF_IJSE_SE_EEES9_SG_JZNS1_25segmented_radix_sort_implINS0_14default_configELb0EPK12hip_bfloat16PSL_PKlPlN2at6native12_GLOBAL__N_18offset_tEEE10hipError_tPvRmT1_PNSt15iterator_traitsISZ_E10value_typeET2_T3_PNS10_IS15_E10value_typeET4_jRbjT5_S1B_jjP12ihipStream_tbEUljE_EEESW_SX_SY_S15_S19_S1B_T6_T7_T9_mT8_S1D_bDpT10_ENKUlT_T0_E_clISt17integral_constantIbLb1EES1Q_EEDaS1L_S1M_EUlS1L_E_NS1_11comp_targetILNS1_3genE9ELNS1_11target_archE1100ELNS1_3gpuE3ELNS1_3repE0EEENS1_30default_config_static_selectorELNS0_4arch9wavefront6targetE0EEEvSZ_,"axG",@progbits,_ZN7rocprim17ROCPRIM_400000_NS6detail17trampoline_kernelINS0_13select_configILj256ELj13ELNS0_17block_load_methodE3ELS4_3ELS4_3ELNS0_20block_scan_algorithmE0ELj4294967295EEENS1_25partition_config_selectorILNS1_17partition_subalgoE3EjNS0_10empty_typeEbEEZZNS1_14partition_implILS8_3ELb0ES6_jNS0_17counting_iteratorIjlEEPS9_SE_NS0_5tupleIJPjSE_EEENSF_IJSE_SE_EEES9_SG_JZNS1_25segmented_radix_sort_implINS0_14default_configELb0EPK12hip_bfloat16PSL_PKlPlN2at6native12_GLOBAL__N_18offset_tEEE10hipError_tPvRmT1_PNSt15iterator_traitsISZ_E10value_typeET2_T3_PNS10_IS15_E10value_typeET4_jRbjT5_S1B_jjP12ihipStream_tbEUljE_EEESW_SX_SY_S15_S19_S1B_T6_T7_T9_mT8_S1D_bDpT10_ENKUlT_T0_E_clISt17integral_constantIbLb1EES1Q_EEDaS1L_S1M_EUlS1L_E_NS1_11comp_targetILNS1_3genE9ELNS1_11target_archE1100ELNS1_3gpuE3ELNS1_3repE0EEENS1_30default_config_static_selectorELNS0_4arch9wavefront6targetE0EEEvSZ_,comdat
	.globl	_ZN7rocprim17ROCPRIM_400000_NS6detail17trampoline_kernelINS0_13select_configILj256ELj13ELNS0_17block_load_methodE3ELS4_3ELS4_3ELNS0_20block_scan_algorithmE0ELj4294967295EEENS1_25partition_config_selectorILNS1_17partition_subalgoE3EjNS0_10empty_typeEbEEZZNS1_14partition_implILS8_3ELb0ES6_jNS0_17counting_iteratorIjlEEPS9_SE_NS0_5tupleIJPjSE_EEENSF_IJSE_SE_EEES9_SG_JZNS1_25segmented_radix_sort_implINS0_14default_configELb0EPK12hip_bfloat16PSL_PKlPlN2at6native12_GLOBAL__N_18offset_tEEE10hipError_tPvRmT1_PNSt15iterator_traitsISZ_E10value_typeET2_T3_PNS10_IS15_E10value_typeET4_jRbjT5_S1B_jjP12ihipStream_tbEUljE_EEESW_SX_SY_S15_S19_S1B_T6_T7_T9_mT8_S1D_bDpT10_ENKUlT_T0_E_clISt17integral_constantIbLb1EES1Q_EEDaS1L_S1M_EUlS1L_E_NS1_11comp_targetILNS1_3genE9ELNS1_11target_archE1100ELNS1_3gpuE3ELNS1_3repE0EEENS1_30default_config_static_selectorELNS0_4arch9wavefront6targetE0EEEvSZ_ ; -- Begin function _ZN7rocprim17ROCPRIM_400000_NS6detail17trampoline_kernelINS0_13select_configILj256ELj13ELNS0_17block_load_methodE3ELS4_3ELS4_3ELNS0_20block_scan_algorithmE0ELj4294967295EEENS1_25partition_config_selectorILNS1_17partition_subalgoE3EjNS0_10empty_typeEbEEZZNS1_14partition_implILS8_3ELb0ES6_jNS0_17counting_iteratorIjlEEPS9_SE_NS0_5tupleIJPjSE_EEENSF_IJSE_SE_EEES9_SG_JZNS1_25segmented_radix_sort_implINS0_14default_configELb0EPK12hip_bfloat16PSL_PKlPlN2at6native12_GLOBAL__N_18offset_tEEE10hipError_tPvRmT1_PNSt15iterator_traitsISZ_E10value_typeET2_T3_PNS10_IS15_E10value_typeET4_jRbjT5_S1B_jjP12ihipStream_tbEUljE_EEESW_SX_SY_S15_S19_S1B_T6_T7_T9_mT8_S1D_bDpT10_ENKUlT_T0_E_clISt17integral_constantIbLb1EES1Q_EEDaS1L_S1M_EUlS1L_E_NS1_11comp_targetILNS1_3genE9ELNS1_11target_archE1100ELNS1_3gpuE3ELNS1_3repE0EEENS1_30default_config_static_selectorELNS0_4arch9wavefront6targetE0EEEvSZ_
	.p2align	8
	.type	_ZN7rocprim17ROCPRIM_400000_NS6detail17trampoline_kernelINS0_13select_configILj256ELj13ELNS0_17block_load_methodE3ELS4_3ELS4_3ELNS0_20block_scan_algorithmE0ELj4294967295EEENS1_25partition_config_selectorILNS1_17partition_subalgoE3EjNS0_10empty_typeEbEEZZNS1_14partition_implILS8_3ELb0ES6_jNS0_17counting_iteratorIjlEEPS9_SE_NS0_5tupleIJPjSE_EEENSF_IJSE_SE_EEES9_SG_JZNS1_25segmented_radix_sort_implINS0_14default_configELb0EPK12hip_bfloat16PSL_PKlPlN2at6native12_GLOBAL__N_18offset_tEEE10hipError_tPvRmT1_PNSt15iterator_traitsISZ_E10value_typeET2_T3_PNS10_IS15_E10value_typeET4_jRbjT5_S1B_jjP12ihipStream_tbEUljE_EEESW_SX_SY_S15_S19_S1B_T6_T7_T9_mT8_S1D_bDpT10_ENKUlT_T0_E_clISt17integral_constantIbLb1EES1Q_EEDaS1L_S1M_EUlS1L_E_NS1_11comp_targetILNS1_3genE9ELNS1_11target_archE1100ELNS1_3gpuE3ELNS1_3repE0EEENS1_30default_config_static_selectorELNS0_4arch9wavefront6targetE0EEEvSZ_,@function
_ZN7rocprim17ROCPRIM_400000_NS6detail17trampoline_kernelINS0_13select_configILj256ELj13ELNS0_17block_load_methodE3ELS4_3ELS4_3ELNS0_20block_scan_algorithmE0ELj4294967295EEENS1_25partition_config_selectorILNS1_17partition_subalgoE3EjNS0_10empty_typeEbEEZZNS1_14partition_implILS8_3ELb0ES6_jNS0_17counting_iteratorIjlEEPS9_SE_NS0_5tupleIJPjSE_EEENSF_IJSE_SE_EEES9_SG_JZNS1_25segmented_radix_sort_implINS0_14default_configELb0EPK12hip_bfloat16PSL_PKlPlN2at6native12_GLOBAL__N_18offset_tEEE10hipError_tPvRmT1_PNSt15iterator_traitsISZ_E10value_typeET2_T3_PNS10_IS15_E10value_typeET4_jRbjT5_S1B_jjP12ihipStream_tbEUljE_EEESW_SX_SY_S15_S19_S1B_T6_T7_T9_mT8_S1D_bDpT10_ENKUlT_T0_E_clISt17integral_constantIbLb1EES1Q_EEDaS1L_S1M_EUlS1L_E_NS1_11comp_targetILNS1_3genE9ELNS1_11target_archE1100ELNS1_3gpuE3ELNS1_3repE0EEENS1_30default_config_static_selectorELNS0_4arch9wavefront6targetE0EEEvSZ_: ; @_ZN7rocprim17ROCPRIM_400000_NS6detail17trampoline_kernelINS0_13select_configILj256ELj13ELNS0_17block_load_methodE3ELS4_3ELS4_3ELNS0_20block_scan_algorithmE0ELj4294967295EEENS1_25partition_config_selectorILNS1_17partition_subalgoE3EjNS0_10empty_typeEbEEZZNS1_14partition_implILS8_3ELb0ES6_jNS0_17counting_iteratorIjlEEPS9_SE_NS0_5tupleIJPjSE_EEENSF_IJSE_SE_EEES9_SG_JZNS1_25segmented_radix_sort_implINS0_14default_configELb0EPK12hip_bfloat16PSL_PKlPlN2at6native12_GLOBAL__N_18offset_tEEE10hipError_tPvRmT1_PNSt15iterator_traitsISZ_E10value_typeET2_T3_PNS10_IS15_E10value_typeET4_jRbjT5_S1B_jjP12ihipStream_tbEUljE_EEESW_SX_SY_S15_S19_S1B_T6_T7_T9_mT8_S1D_bDpT10_ENKUlT_T0_E_clISt17integral_constantIbLb1EES1Q_EEDaS1L_S1M_EUlS1L_E_NS1_11comp_targetILNS1_3genE9ELNS1_11target_archE1100ELNS1_3gpuE3ELNS1_3repE0EEENS1_30default_config_static_selectorELNS0_4arch9wavefront6targetE0EEEvSZ_
; %bb.0:
	.section	.rodata,"a",@progbits
	.p2align	6, 0x0
	.amdhsa_kernel _ZN7rocprim17ROCPRIM_400000_NS6detail17trampoline_kernelINS0_13select_configILj256ELj13ELNS0_17block_load_methodE3ELS4_3ELS4_3ELNS0_20block_scan_algorithmE0ELj4294967295EEENS1_25partition_config_selectorILNS1_17partition_subalgoE3EjNS0_10empty_typeEbEEZZNS1_14partition_implILS8_3ELb0ES6_jNS0_17counting_iteratorIjlEEPS9_SE_NS0_5tupleIJPjSE_EEENSF_IJSE_SE_EEES9_SG_JZNS1_25segmented_radix_sort_implINS0_14default_configELb0EPK12hip_bfloat16PSL_PKlPlN2at6native12_GLOBAL__N_18offset_tEEE10hipError_tPvRmT1_PNSt15iterator_traitsISZ_E10value_typeET2_T3_PNS10_IS15_E10value_typeET4_jRbjT5_S1B_jjP12ihipStream_tbEUljE_EEESW_SX_SY_S15_S19_S1B_T6_T7_T9_mT8_S1D_bDpT10_ENKUlT_T0_E_clISt17integral_constantIbLb1EES1Q_EEDaS1L_S1M_EUlS1L_E_NS1_11comp_targetILNS1_3genE9ELNS1_11target_archE1100ELNS1_3gpuE3ELNS1_3repE0EEENS1_30default_config_static_selectorELNS0_4arch9wavefront6targetE0EEEvSZ_
		.amdhsa_group_segment_fixed_size 0
		.amdhsa_private_segment_fixed_size 0
		.amdhsa_kernarg_size 152
		.amdhsa_user_sgpr_count 2
		.amdhsa_user_sgpr_dispatch_ptr 0
		.amdhsa_user_sgpr_queue_ptr 0
		.amdhsa_user_sgpr_kernarg_segment_ptr 1
		.amdhsa_user_sgpr_dispatch_id 0
		.amdhsa_user_sgpr_kernarg_preload_length 0
		.amdhsa_user_sgpr_kernarg_preload_offset 0
		.amdhsa_user_sgpr_private_segment_size 0
		.amdhsa_wavefront_size32 1
		.amdhsa_uses_dynamic_stack 0
		.amdhsa_enable_private_segment 0
		.amdhsa_system_sgpr_workgroup_id_x 1
		.amdhsa_system_sgpr_workgroup_id_y 0
		.amdhsa_system_sgpr_workgroup_id_z 0
		.amdhsa_system_sgpr_workgroup_info 0
		.amdhsa_system_vgpr_workitem_id 0
		.amdhsa_next_free_vgpr 1
		.amdhsa_next_free_sgpr 1
		.amdhsa_named_barrier_count 0
		.amdhsa_reserve_vcc 0
		.amdhsa_float_round_mode_32 0
		.amdhsa_float_round_mode_16_64 0
		.amdhsa_float_denorm_mode_32 3
		.amdhsa_float_denorm_mode_16_64 3
		.amdhsa_fp16_overflow 0
		.amdhsa_memory_ordered 1
		.amdhsa_forward_progress 1
		.amdhsa_inst_pref_size 0
		.amdhsa_round_robin_scheduling 0
		.amdhsa_exception_fp_ieee_invalid_op 0
		.amdhsa_exception_fp_denorm_src 0
		.amdhsa_exception_fp_ieee_div_zero 0
		.amdhsa_exception_fp_ieee_overflow 0
		.amdhsa_exception_fp_ieee_underflow 0
		.amdhsa_exception_fp_ieee_inexact 0
		.amdhsa_exception_int_div_zero 0
	.end_amdhsa_kernel
	.section	.text._ZN7rocprim17ROCPRIM_400000_NS6detail17trampoline_kernelINS0_13select_configILj256ELj13ELNS0_17block_load_methodE3ELS4_3ELS4_3ELNS0_20block_scan_algorithmE0ELj4294967295EEENS1_25partition_config_selectorILNS1_17partition_subalgoE3EjNS0_10empty_typeEbEEZZNS1_14partition_implILS8_3ELb0ES6_jNS0_17counting_iteratorIjlEEPS9_SE_NS0_5tupleIJPjSE_EEENSF_IJSE_SE_EEES9_SG_JZNS1_25segmented_radix_sort_implINS0_14default_configELb0EPK12hip_bfloat16PSL_PKlPlN2at6native12_GLOBAL__N_18offset_tEEE10hipError_tPvRmT1_PNSt15iterator_traitsISZ_E10value_typeET2_T3_PNS10_IS15_E10value_typeET4_jRbjT5_S1B_jjP12ihipStream_tbEUljE_EEESW_SX_SY_S15_S19_S1B_T6_T7_T9_mT8_S1D_bDpT10_ENKUlT_T0_E_clISt17integral_constantIbLb1EES1Q_EEDaS1L_S1M_EUlS1L_E_NS1_11comp_targetILNS1_3genE9ELNS1_11target_archE1100ELNS1_3gpuE3ELNS1_3repE0EEENS1_30default_config_static_selectorELNS0_4arch9wavefront6targetE0EEEvSZ_,"axG",@progbits,_ZN7rocprim17ROCPRIM_400000_NS6detail17trampoline_kernelINS0_13select_configILj256ELj13ELNS0_17block_load_methodE3ELS4_3ELS4_3ELNS0_20block_scan_algorithmE0ELj4294967295EEENS1_25partition_config_selectorILNS1_17partition_subalgoE3EjNS0_10empty_typeEbEEZZNS1_14partition_implILS8_3ELb0ES6_jNS0_17counting_iteratorIjlEEPS9_SE_NS0_5tupleIJPjSE_EEENSF_IJSE_SE_EEES9_SG_JZNS1_25segmented_radix_sort_implINS0_14default_configELb0EPK12hip_bfloat16PSL_PKlPlN2at6native12_GLOBAL__N_18offset_tEEE10hipError_tPvRmT1_PNSt15iterator_traitsISZ_E10value_typeET2_T3_PNS10_IS15_E10value_typeET4_jRbjT5_S1B_jjP12ihipStream_tbEUljE_EEESW_SX_SY_S15_S19_S1B_T6_T7_T9_mT8_S1D_bDpT10_ENKUlT_T0_E_clISt17integral_constantIbLb1EES1Q_EEDaS1L_S1M_EUlS1L_E_NS1_11comp_targetILNS1_3genE9ELNS1_11target_archE1100ELNS1_3gpuE3ELNS1_3repE0EEENS1_30default_config_static_selectorELNS0_4arch9wavefront6targetE0EEEvSZ_,comdat
.Lfunc_end2021:
	.size	_ZN7rocprim17ROCPRIM_400000_NS6detail17trampoline_kernelINS0_13select_configILj256ELj13ELNS0_17block_load_methodE3ELS4_3ELS4_3ELNS0_20block_scan_algorithmE0ELj4294967295EEENS1_25partition_config_selectorILNS1_17partition_subalgoE3EjNS0_10empty_typeEbEEZZNS1_14partition_implILS8_3ELb0ES6_jNS0_17counting_iteratorIjlEEPS9_SE_NS0_5tupleIJPjSE_EEENSF_IJSE_SE_EEES9_SG_JZNS1_25segmented_radix_sort_implINS0_14default_configELb0EPK12hip_bfloat16PSL_PKlPlN2at6native12_GLOBAL__N_18offset_tEEE10hipError_tPvRmT1_PNSt15iterator_traitsISZ_E10value_typeET2_T3_PNS10_IS15_E10value_typeET4_jRbjT5_S1B_jjP12ihipStream_tbEUljE_EEESW_SX_SY_S15_S19_S1B_T6_T7_T9_mT8_S1D_bDpT10_ENKUlT_T0_E_clISt17integral_constantIbLb1EES1Q_EEDaS1L_S1M_EUlS1L_E_NS1_11comp_targetILNS1_3genE9ELNS1_11target_archE1100ELNS1_3gpuE3ELNS1_3repE0EEENS1_30default_config_static_selectorELNS0_4arch9wavefront6targetE0EEEvSZ_, .Lfunc_end2021-_ZN7rocprim17ROCPRIM_400000_NS6detail17trampoline_kernelINS0_13select_configILj256ELj13ELNS0_17block_load_methodE3ELS4_3ELS4_3ELNS0_20block_scan_algorithmE0ELj4294967295EEENS1_25partition_config_selectorILNS1_17partition_subalgoE3EjNS0_10empty_typeEbEEZZNS1_14partition_implILS8_3ELb0ES6_jNS0_17counting_iteratorIjlEEPS9_SE_NS0_5tupleIJPjSE_EEENSF_IJSE_SE_EEES9_SG_JZNS1_25segmented_radix_sort_implINS0_14default_configELb0EPK12hip_bfloat16PSL_PKlPlN2at6native12_GLOBAL__N_18offset_tEEE10hipError_tPvRmT1_PNSt15iterator_traitsISZ_E10value_typeET2_T3_PNS10_IS15_E10value_typeET4_jRbjT5_S1B_jjP12ihipStream_tbEUljE_EEESW_SX_SY_S15_S19_S1B_T6_T7_T9_mT8_S1D_bDpT10_ENKUlT_T0_E_clISt17integral_constantIbLb1EES1Q_EEDaS1L_S1M_EUlS1L_E_NS1_11comp_targetILNS1_3genE9ELNS1_11target_archE1100ELNS1_3gpuE3ELNS1_3repE0EEENS1_30default_config_static_selectorELNS0_4arch9wavefront6targetE0EEEvSZ_
                                        ; -- End function
	.set _ZN7rocprim17ROCPRIM_400000_NS6detail17trampoline_kernelINS0_13select_configILj256ELj13ELNS0_17block_load_methodE3ELS4_3ELS4_3ELNS0_20block_scan_algorithmE0ELj4294967295EEENS1_25partition_config_selectorILNS1_17partition_subalgoE3EjNS0_10empty_typeEbEEZZNS1_14partition_implILS8_3ELb0ES6_jNS0_17counting_iteratorIjlEEPS9_SE_NS0_5tupleIJPjSE_EEENSF_IJSE_SE_EEES9_SG_JZNS1_25segmented_radix_sort_implINS0_14default_configELb0EPK12hip_bfloat16PSL_PKlPlN2at6native12_GLOBAL__N_18offset_tEEE10hipError_tPvRmT1_PNSt15iterator_traitsISZ_E10value_typeET2_T3_PNS10_IS15_E10value_typeET4_jRbjT5_S1B_jjP12ihipStream_tbEUljE_EEESW_SX_SY_S15_S19_S1B_T6_T7_T9_mT8_S1D_bDpT10_ENKUlT_T0_E_clISt17integral_constantIbLb1EES1Q_EEDaS1L_S1M_EUlS1L_E_NS1_11comp_targetILNS1_3genE9ELNS1_11target_archE1100ELNS1_3gpuE3ELNS1_3repE0EEENS1_30default_config_static_selectorELNS0_4arch9wavefront6targetE0EEEvSZ_.num_vgpr, 0
	.set _ZN7rocprim17ROCPRIM_400000_NS6detail17trampoline_kernelINS0_13select_configILj256ELj13ELNS0_17block_load_methodE3ELS4_3ELS4_3ELNS0_20block_scan_algorithmE0ELj4294967295EEENS1_25partition_config_selectorILNS1_17partition_subalgoE3EjNS0_10empty_typeEbEEZZNS1_14partition_implILS8_3ELb0ES6_jNS0_17counting_iteratorIjlEEPS9_SE_NS0_5tupleIJPjSE_EEENSF_IJSE_SE_EEES9_SG_JZNS1_25segmented_radix_sort_implINS0_14default_configELb0EPK12hip_bfloat16PSL_PKlPlN2at6native12_GLOBAL__N_18offset_tEEE10hipError_tPvRmT1_PNSt15iterator_traitsISZ_E10value_typeET2_T3_PNS10_IS15_E10value_typeET4_jRbjT5_S1B_jjP12ihipStream_tbEUljE_EEESW_SX_SY_S15_S19_S1B_T6_T7_T9_mT8_S1D_bDpT10_ENKUlT_T0_E_clISt17integral_constantIbLb1EES1Q_EEDaS1L_S1M_EUlS1L_E_NS1_11comp_targetILNS1_3genE9ELNS1_11target_archE1100ELNS1_3gpuE3ELNS1_3repE0EEENS1_30default_config_static_selectorELNS0_4arch9wavefront6targetE0EEEvSZ_.num_agpr, 0
	.set _ZN7rocprim17ROCPRIM_400000_NS6detail17trampoline_kernelINS0_13select_configILj256ELj13ELNS0_17block_load_methodE3ELS4_3ELS4_3ELNS0_20block_scan_algorithmE0ELj4294967295EEENS1_25partition_config_selectorILNS1_17partition_subalgoE3EjNS0_10empty_typeEbEEZZNS1_14partition_implILS8_3ELb0ES6_jNS0_17counting_iteratorIjlEEPS9_SE_NS0_5tupleIJPjSE_EEENSF_IJSE_SE_EEES9_SG_JZNS1_25segmented_radix_sort_implINS0_14default_configELb0EPK12hip_bfloat16PSL_PKlPlN2at6native12_GLOBAL__N_18offset_tEEE10hipError_tPvRmT1_PNSt15iterator_traitsISZ_E10value_typeET2_T3_PNS10_IS15_E10value_typeET4_jRbjT5_S1B_jjP12ihipStream_tbEUljE_EEESW_SX_SY_S15_S19_S1B_T6_T7_T9_mT8_S1D_bDpT10_ENKUlT_T0_E_clISt17integral_constantIbLb1EES1Q_EEDaS1L_S1M_EUlS1L_E_NS1_11comp_targetILNS1_3genE9ELNS1_11target_archE1100ELNS1_3gpuE3ELNS1_3repE0EEENS1_30default_config_static_selectorELNS0_4arch9wavefront6targetE0EEEvSZ_.numbered_sgpr, 0
	.set _ZN7rocprim17ROCPRIM_400000_NS6detail17trampoline_kernelINS0_13select_configILj256ELj13ELNS0_17block_load_methodE3ELS4_3ELS4_3ELNS0_20block_scan_algorithmE0ELj4294967295EEENS1_25partition_config_selectorILNS1_17partition_subalgoE3EjNS0_10empty_typeEbEEZZNS1_14partition_implILS8_3ELb0ES6_jNS0_17counting_iteratorIjlEEPS9_SE_NS0_5tupleIJPjSE_EEENSF_IJSE_SE_EEES9_SG_JZNS1_25segmented_radix_sort_implINS0_14default_configELb0EPK12hip_bfloat16PSL_PKlPlN2at6native12_GLOBAL__N_18offset_tEEE10hipError_tPvRmT1_PNSt15iterator_traitsISZ_E10value_typeET2_T3_PNS10_IS15_E10value_typeET4_jRbjT5_S1B_jjP12ihipStream_tbEUljE_EEESW_SX_SY_S15_S19_S1B_T6_T7_T9_mT8_S1D_bDpT10_ENKUlT_T0_E_clISt17integral_constantIbLb1EES1Q_EEDaS1L_S1M_EUlS1L_E_NS1_11comp_targetILNS1_3genE9ELNS1_11target_archE1100ELNS1_3gpuE3ELNS1_3repE0EEENS1_30default_config_static_selectorELNS0_4arch9wavefront6targetE0EEEvSZ_.num_named_barrier, 0
	.set _ZN7rocprim17ROCPRIM_400000_NS6detail17trampoline_kernelINS0_13select_configILj256ELj13ELNS0_17block_load_methodE3ELS4_3ELS4_3ELNS0_20block_scan_algorithmE0ELj4294967295EEENS1_25partition_config_selectorILNS1_17partition_subalgoE3EjNS0_10empty_typeEbEEZZNS1_14partition_implILS8_3ELb0ES6_jNS0_17counting_iteratorIjlEEPS9_SE_NS0_5tupleIJPjSE_EEENSF_IJSE_SE_EEES9_SG_JZNS1_25segmented_radix_sort_implINS0_14default_configELb0EPK12hip_bfloat16PSL_PKlPlN2at6native12_GLOBAL__N_18offset_tEEE10hipError_tPvRmT1_PNSt15iterator_traitsISZ_E10value_typeET2_T3_PNS10_IS15_E10value_typeET4_jRbjT5_S1B_jjP12ihipStream_tbEUljE_EEESW_SX_SY_S15_S19_S1B_T6_T7_T9_mT8_S1D_bDpT10_ENKUlT_T0_E_clISt17integral_constantIbLb1EES1Q_EEDaS1L_S1M_EUlS1L_E_NS1_11comp_targetILNS1_3genE9ELNS1_11target_archE1100ELNS1_3gpuE3ELNS1_3repE0EEENS1_30default_config_static_selectorELNS0_4arch9wavefront6targetE0EEEvSZ_.private_seg_size, 0
	.set _ZN7rocprim17ROCPRIM_400000_NS6detail17trampoline_kernelINS0_13select_configILj256ELj13ELNS0_17block_load_methodE3ELS4_3ELS4_3ELNS0_20block_scan_algorithmE0ELj4294967295EEENS1_25partition_config_selectorILNS1_17partition_subalgoE3EjNS0_10empty_typeEbEEZZNS1_14partition_implILS8_3ELb0ES6_jNS0_17counting_iteratorIjlEEPS9_SE_NS0_5tupleIJPjSE_EEENSF_IJSE_SE_EEES9_SG_JZNS1_25segmented_radix_sort_implINS0_14default_configELb0EPK12hip_bfloat16PSL_PKlPlN2at6native12_GLOBAL__N_18offset_tEEE10hipError_tPvRmT1_PNSt15iterator_traitsISZ_E10value_typeET2_T3_PNS10_IS15_E10value_typeET4_jRbjT5_S1B_jjP12ihipStream_tbEUljE_EEESW_SX_SY_S15_S19_S1B_T6_T7_T9_mT8_S1D_bDpT10_ENKUlT_T0_E_clISt17integral_constantIbLb1EES1Q_EEDaS1L_S1M_EUlS1L_E_NS1_11comp_targetILNS1_3genE9ELNS1_11target_archE1100ELNS1_3gpuE3ELNS1_3repE0EEENS1_30default_config_static_selectorELNS0_4arch9wavefront6targetE0EEEvSZ_.uses_vcc, 0
	.set _ZN7rocprim17ROCPRIM_400000_NS6detail17trampoline_kernelINS0_13select_configILj256ELj13ELNS0_17block_load_methodE3ELS4_3ELS4_3ELNS0_20block_scan_algorithmE0ELj4294967295EEENS1_25partition_config_selectorILNS1_17partition_subalgoE3EjNS0_10empty_typeEbEEZZNS1_14partition_implILS8_3ELb0ES6_jNS0_17counting_iteratorIjlEEPS9_SE_NS0_5tupleIJPjSE_EEENSF_IJSE_SE_EEES9_SG_JZNS1_25segmented_radix_sort_implINS0_14default_configELb0EPK12hip_bfloat16PSL_PKlPlN2at6native12_GLOBAL__N_18offset_tEEE10hipError_tPvRmT1_PNSt15iterator_traitsISZ_E10value_typeET2_T3_PNS10_IS15_E10value_typeET4_jRbjT5_S1B_jjP12ihipStream_tbEUljE_EEESW_SX_SY_S15_S19_S1B_T6_T7_T9_mT8_S1D_bDpT10_ENKUlT_T0_E_clISt17integral_constantIbLb1EES1Q_EEDaS1L_S1M_EUlS1L_E_NS1_11comp_targetILNS1_3genE9ELNS1_11target_archE1100ELNS1_3gpuE3ELNS1_3repE0EEENS1_30default_config_static_selectorELNS0_4arch9wavefront6targetE0EEEvSZ_.uses_flat_scratch, 0
	.set _ZN7rocprim17ROCPRIM_400000_NS6detail17trampoline_kernelINS0_13select_configILj256ELj13ELNS0_17block_load_methodE3ELS4_3ELS4_3ELNS0_20block_scan_algorithmE0ELj4294967295EEENS1_25partition_config_selectorILNS1_17partition_subalgoE3EjNS0_10empty_typeEbEEZZNS1_14partition_implILS8_3ELb0ES6_jNS0_17counting_iteratorIjlEEPS9_SE_NS0_5tupleIJPjSE_EEENSF_IJSE_SE_EEES9_SG_JZNS1_25segmented_radix_sort_implINS0_14default_configELb0EPK12hip_bfloat16PSL_PKlPlN2at6native12_GLOBAL__N_18offset_tEEE10hipError_tPvRmT1_PNSt15iterator_traitsISZ_E10value_typeET2_T3_PNS10_IS15_E10value_typeET4_jRbjT5_S1B_jjP12ihipStream_tbEUljE_EEESW_SX_SY_S15_S19_S1B_T6_T7_T9_mT8_S1D_bDpT10_ENKUlT_T0_E_clISt17integral_constantIbLb1EES1Q_EEDaS1L_S1M_EUlS1L_E_NS1_11comp_targetILNS1_3genE9ELNS1_11target_archE1100ELNS1_3gpuE3ELNS1_3repE0EEENS1_30default_config_static_selectorELNS0_4arch9wavefront6targetE0EEEvSZ_.has_dyn_sized_stack, 0
	.set _ZN7rocprim17ROCPRIM_400000_NS6detail17trampoline_kernelINS0_13select_configILj256ELj13ELNS0_17block_load_methodE3ELS4_3ELS4_3ELNS0_20block_scan_algorithmE0ELj4294967295EEENS1_25partition_config_selectorILNS1_17partition_subalgoE3EjNS0_10empty_typeEbEEZZNS1_14partition_implILS8_3ELb0ES6_jNS0_17counting_iteratorIjlEEPS9_SE_NS0_5tupleIJPjSE_EEENSF_IJSE_SE_EEES9_SG_JZNS1_25segmented_radix_sort_implINS0_14default_configELb0EPK12hip_bfloat16PSL_PKlPlN2at6native12_GLOBAL__N_18offset_tEEE10hipError_tPvRmT1_PNSt15iterator_traitsISZ_E10value_typeET2_T3_PNS10_IS15_E10value_typeET4_jRbjT5_S1B_jjP12ihipStream_tbEUljE_EEESW_SX_SY_S15_S19_S1B_T6_T7_T9_mT8_S1D_bDpT10_ENKUlT_T0_E_clISt17integral_constantIbLb1EES1Q_EEDaS1L_S1M_EUlS1L_E_NS1_11comp_targetILNS1_3genE9ELNS1_11target_archE1100ELNS1_3gpuE3ELNS1_3repE0EEENS1_30default_config_static_selectorELNS0_4arch9wavefront6targetE0EEEvSZ_.has_recursion, 0
	.set _ZN7rocprim17ROCPRIM_400000_NS6detail17trampoline_kernelINS0_13select_configILj256ELj13ELNS0_17block_load_methodE3ELS4_3ELS4_3ELNS0_20block_scan_algorithmE0ELj4294967295EEENS1_25partition_config_selectorILNS1_17partition_subalgoE3EjNS0_10empty_typeEbEEZZNS1_14partition_implILS8_3ELb0ES6_jNS0_17counting_iteratorIjlEEPS9_SE_NS0_5tupleIJPjSE_EEENSF_IJSE_SE_EEES9_SG_JZNS1_25segmented_radix_sort_implINS0_14default_configELb0EPK12hip_bfloat16PSL_PKlPlN2at6native12_GLOBAL__N_18offset_tEEE10hipError_tPvRmT1_PNSt15iterator_traitsISZ_E10value_typeET2_T3_PNS10_IS15_E10value_typeET4_jRbjT5_S1B_jjP12ihipStream_tbEUljE_EEESW_SX_SY_S15_S19_S1B_T6_T7_T9_mT8_S1D_bDpT10_ENKUlT_T0_E_clISt17integral_constantIbLb1EES1Q_EEDaS1L_S1M_EUlS1L_E_NS1_11comp_targetILNS1_3genE9ELNS1_11target_archE1100ELNS1_3gpuE3ELNS1_3repE0EEENS1_30default_config_static_selectorELNS0_4arch9wavefront6targetE0EEEvSZ_.has_indirect_call, 0
	.section	.AMDGPU.csdata,"",@progbits
; Kernel info:
; codeLenInByte = 0
; TotalNumSgprs: 0
; NumVgprs: 0
; ScratchSize: 0
; MemoryBound: 0
; FloatMode: 240
; IeeeMode: 1
; LDSByteSize: 0 bytes/workgroup (compile time only)
; SGPRBlocks: 0
; VGPRBlocks: 0
; NumSGPRsForWavesPerEU: 1
; NumVGPRsForWavesPerEU: 1
; NamedBarCnt: 0
; Occupancy: 16
; WaveLimiterHint : 0
; COMPUTE_PGM_RSRC2:SCRATCH_EN: 0
; COMPUTE_PGM_RSRC2:USER_SGPR: 2
; COMPUTE_PGM_RSRC2:TRAP_HANDLER: 0
; COMPUTE_PGM_RSRC2:TGID_X_EN: 1
; COMPUTE_PGM_RSRC2:TGID_Y_EN: 0
; COMPUTE_PGM_RSRC2:TGID_Z_EN: 0
; COMPUTE_PGM_RSRC2:TIDIG_COMP_CNT: 0
	.section	.text._ZN7rocprim17ROCPRIM_400000_NS6detail17trampoline_kernelINS0_13select_configILj256ELj13ELNS0_17block_load_methodE3ELS4_3ELS4_3ELNS0_20block_scan_algorithmE0ELj4294967295EEENS1_25partition_config_selectorILNS1_17partition_subalgoE3EjNS0_10empty_typeEbEEZZNS1_14partition_implILS8_3ELb0ES6_jNS0_17counting_iteratorIjlEEPS9_SE_NS0_5tupleIJPjSE_EEENSF_IJSE_SE_EEES9_SG_JZNS1_25segmented_radix_sort_implINS0_14default_configELb0EPK12hip_bfloat16PSL_PKlPlN2at6native12_GLOBAL__N_18offset_tEEE10hipError_tPvRmT1_PNSt15iterator_traitsISZ_E10value_typeET2_T3_PNS10_IS15_E10value_typeET4_jRbjT5_S1B_jjP12ihipStream_tbEUljE_EEESW_SX_SY_S15_S19_S1B_T6_T7_T9_mT8_S1D_bDpT10_ENKUlT_T0_E_clISt17integral_constantIbLb1EES1Q_EEDaS1L_S1M_EUlS1L_E_NS1_11comp_targetILNS1_3genE8ELNS1_11target_archE1030ELNS1_3gpuE2ELNS1_3repE0EEENS1_30default_config_static_selectorELNS0_4arch9wavefront6targetE0EEEvSZ_,"axG",@progbits,_ZN7rocprim17ROCPRIM_400000_NS6detail17trampoline_kernelINS0_13select_configILj256ELj13ELNS0_17block_load_methodE3ELS4_3ELS4_3ELNS0_20block_scan_algorithmE0ELj4294967295EEENS1_25partition_config_selectorILNS1_17partition_subalgoE3EjNS0_10empty_typeEbEEZZNS1_14partition_implILS8_3ELb0ES6_jNS0_17counting_iteratorIjlEEPS9_SE_NS0_5tupleIJPjSE_EEENSF_IJSE_SE_EEES9_SG_JZNS1_25segmented_radix_sort_implINS0_14default_configELb0EPK12hip_bfloat16PSL_PKlPlN2at6native12_GLOBAL__N_18offset_tEEE10hipError_tPvRmT1_PNSt15iterator_traitsISZ_E10value_typeET2_T3_PNS10_IS15_E10value_typeET4_jRbjT5_S1B_jjP12ihipStream_tbEUljE_EEESW_SX_SY_S15_S19_S1B_T6_T7_T9_mT8_S1D_bDpT10_ENKUlT_T0_E_clISt17integral_constantIbLb1EES1Q_EEDaS1L_S1M_EUlS1L_E_NS1_11comp_targetILNS1_3genE8ELNS1_11target_archE1030ELNS1_3gpuE2ELNS1_3repE0EEENS1_30default_config_static_selectorELNS0_4arch9wavefront6targetE0EEEvSZ_,comdat
	.globl	_ZN7rocprim17ROCPRIM_400000_NS6detail17trampoline_kernelINS0_13select_configILj256ELj13ELNS0_17block_load_methodE3ELS4_3ELS4_3ELNS0_20block_scan_algorithmE0ELj4294967295EEENS1_25partition_config_selectorILNS1_17partition_subalgoE3EjNS0_10empty_typeEbEEZZNS1_14partition_implILS8_3ELb0ES6_jNS0_17counting_iteratorIjlEEPS9_SE_NS0_5tupleIJPjSE_EEENSF_IJSE_SE_EEES9_SG_JZNS1_25segmented_radix_sort_implINS0_14default_configELb0EPK12hip_bfloat16PSL_PKlPlN2at6native12_GLOBAL__N_18offset_tEEE10hipError_tPvRmT1_PNSt15iterator_traitsISZ_E10value_typeET2_T3_PNS10_IS15_E10value_typeET4_jRbjT5_S1B_jjP12ihipStream_tbEUljE_EEESW_SX_SY_S15_S19_S1B_T6_T7_T9_mT8_S1D_bDpT10_ENKUlT_T0_E_clISt17integral_constantIbLb1EES1Q_EEDaS1L_S1M_EUlS1L_E_NS1_11comp_targetILNS1_3genE8ELNS1_11target_archE1030ELNS1_3gpuE2ELNS1_3repE0EEENS1_30default_config_static_selectorELNS0_4arch9wavefront6targetE0EEEvSZ_ ; -- Begin function _ZN7rocprim17ROCPRIM_400000_NS6detail17trampoline_kernelINS0_13select_configILj256ELj13ELNS0_17block_load_methodE3ELS4_3ELS4_3ELNS0_20block_scan_algorithmE0ELj4294967295EEENS1_25partition_config_selectorILNS1_17partition_subalgoE3EjNS0_10empty_typeEbEEZZNS1_14partition_implILS8_3ELb0ES6_jNS0_17counting_iteratorIjlEEPS9_SE_NS0_5tupleIJPjSE_EEENSF_IJSE_SE_EEES9_SG_JZNS1_25segmented_radix_sort_implINS0_14default_configELb0EPK12hip_bfloat16PSL_PKlPlN2at6native12_GLOBAL__N_18offset_tEEE10hipError_tPvRmT1_PNSt15iterator_traitsISZ_E10value_typeET2_T3_PNS10_IS15_E10value_typeET4_jRbjT5_S1B_jjP12ihipStream_tbEUljE_EEESW_SX_SY_S15_S19_S1B_T6_T7_T9_mT8_S1D_bDpT10_ENKUlT_T0_E_clISt17integral_constantIbLb1EES1Q_EEDaS1L_S1M_EUlS1L_E_NS1_11comp_targetILNS1_3genE8ELNS1_11target_archE1030ELNS1_3gpuE2ELNS1_3repE0EEENS1_30default_config_static_selectorELNS0_4arch9wavefront6targetE0EEEvSZ_
	.p2align	8
	.type	_ZN7rocprim17ROCPRIM_400000_NS6detail17trampoline_kernelINS0_13select_configILj256ELj13ELNS0_17block_load_methodE3ELS4_3ELS4_3ELNS0_20block_scan_algorithmE0ELj4294967295EEENS1_25partition_config_selectorILNS1_17partition_subalgoE3EjNS0_10empty_typeEbEEZZNS1_14partition_implILS8_3ELb0ES6_jNS0_17counting_iteratorIjlEEPS9_SE_NS0_5tupleIJPjSE_EEENSF_IJSE_SE_EEES9_SG_JZNS1_25segmented_radix_sort_implINS0_14default_configELb0EPK12hip_bfloat16PSL_PKlPlN2at6native12_GLOBAL__N_18offset_tEEE10hipError_tPvRmT1_PNSt15iterator_traitsISZ_E10value_typeET2_T3_PNS10_IS15_E10value_typeET4_jRbjT5_S1B_jjP12ihipStream_tbEUljE_EEESW_SX_SY_S15_S19_S1B_T6_T7_T9_mT8_S1D_bDpT10_ENKUlT_T0_E_clISt17integral_constantIbLb1EES1Q_EEDaS1L_S1M_EUlS1L_E_NS1_11comp_targetILNS1_3genE8ELNS1_11target_archE1030ELNS1_3gpuE2ELNS1_3repE0EEENS1_30default_config_static_selectorELNS0_4arch9wavefront6targetE0EEEvSZ_,@function
_ZN7rocprim17ROCPRIM_400000_NS6detail17trampoline_kernelINS0_13select_configILj256ELj13ELNS0_17block_load_methodE3ELS4_3ELS4_3ELNS0_20block_scan_algorithmE0ELj4294967295EEENS1_25partition_config_selectorILNS1_17partition_subalgoE3EjNS0_10empty_typeEbEEZZNS1_14partition_implILS8_3ELb0ES6_jNS0_17counting_iteratorIjlEEPS9_SE_NS0_5tupleIJPjSE_EEENSF_IJSE_SE_EEES9_SG_JZNS1_25segmented_radix_sort_implINS0_14default_configELb0EPK12hip_bfloat16PSL_PKlPlN2at6native12_GLOBAL__N_18offset_tEEE10hipError_tPvRmT1_PNSt15iterator_traitsISZ_E10value_typeET2_T3_PNS10_IS15_E10value_typeET4_jRbjT5_S1B_jjP12ihipStream_tbEUljE_EEESW_SX_SY_S15_S19_S1B_T6_T7_T9_mT8_S1D_bDpT10_ENKUlT_T0_E_clISt17integral_constantIbLb1EES1Q_EEDaS1L_S1M_EUlS1L_E_NS1_11comp_targetILNS1_3genE8ELNS1_11target_archE1030ELNS1_3gpuE2ELNS1_3repE0EEENS1_30default_config_static_selectorELNS0_4arch9wavefront6targetE0EEEvSZ_: ; @_ZN7rocprim17ROCPRIM_400000_NS6detail17trampoline_kernelINS0_13select_configILj256ELj13ELNS0_17block_load_methodE3ELS4_3ELS4_3ELNS0_20block_scan_algorithmE0ELj4294967295EEENS1_25partition_config_selectorILNS1_17partition_subalgoE3EjNS0_10empty_typeEbEEZZNS1_14partition_implILS8_3ELb0ES6_jNS0_17counting_iteratorIjlEEPS9_SE_NS0_5tupleIJPjSE_EEENSF_IJSE_SE_EEES9_SG_JZNS1_25segmented_radix_sort_implINS0_14default_configELb0EPK12hip_bfloat16PSL_PKlPlN2at6native12_GLOBAL__N_18offset_tEEE10hipError_tPvRmT1_PNSt15iterator_traitsISZ_E10value_typeET2_T3_PNS10_IS15_E10value_typeET4_jRbjT5_S1B_jjP12ihipStream_tbEUljE_EEESW_SX_SY_S15_S19_S1B_T6_T7_T9_mT8_S1D_bDpT10_ENKUlT_T0_E_clISt17integral_constantIbLb1EES1Q_EEDaS1L_S1M_EUlS1L_E_NS1_11comp_targetILNS1_3genE8ELNS1_11target_archE1030ELNS1_3gpuE2ELNS1_3repE0EEENS1_30default_config_static_selectorELNS0_4arch9wavefront6targetE0EEEvSZ_
; %bb.0:
	.section	.rodata,"a",@progbits
	.p2align	6, 0x0
	.amdhsa_kernel _ZN7rocprim17ROCPRIM_400000_NS6detail17trampoline_kernelINS0_13select_configILj256ELj13ELNS0_17block_load_methodE3ELS4_3ELS4_3ELNS0_20block_scan_algorithmE0ELj4294967295EEENS1_25partition_config_selectorILNS1_17partition_subalgoE3EjNS0_10empty_typeEbEEZZNS1_14partition_implILS8_3ELb0ES6_jNS0_17counting_iteratorIjlEEPS9_SE_NS0_5tupleIJPjSE_EEENSF_IJSE_SE_EEES9_SG_JZNS1_25segmented_radix_sort_implINS0_14default_configELb0EPK12hip_bfloat16PSL_PKlPlN2at6native12_GLOBAL__N_18offset_tEEE10hipError_tPvRmT1_PNSt15iterator_traitsISZ_E10value_typeET2_T3_PNS10_IS15_E10value_typeET4_jRbjT5_S1B_jjP12ihipStream_tbEUljE_EEESW_SX_SY_S15_S19_S1B_T6_T7_T9_mT8_S1D_bDpT10_ENKUlT_T0_E_clISt17integral_constantIbLb1EES1Q_EEDaS1L_S1M_EUlS1L_E_NS1_11comp_targetILNS1_3genE8ELNS1_11target_archE1030ELNS1_3gpuE2ELNS1_3repE0EEENS1_30default_config_static_selectorELNS0_4arch9wavefront6targetE0EEEvSZ_
		.amdhsa_group_segment_fixed_size 0
		.amdhsa_private_segment_fixed_size 0
		.amdhsa_kernarg_size 152
		.amdhsa_user_sgpr_count 2
		.amdhsa_user_sgpr_dispatch_ptr 0
		.amdhsa_user_sgpr_queue_ptr 0
		.amdhsa_user_sgpr_kernarg_segment_ptr 1
		.amdhsa_user_sgpr_dispatch_id 0
		.amdhsa_user_sgpr_kernarg_preload_length 0
		.amdhsa_user_sgpr_kernarg_preload_offset 0
		.amdhsa_user_sgpr_private_segment_size 0
		.amdhsa_wavefront_size32 1
		.amdhsa_uses_dynamic_stack 0
		.amdhsa_enable_private_segment 0
		.amdhsa_system_sgpr_workgroup_id_x 1
		.amdhsa_system_sgpr_workgroup_id_y 0
		.amdhsa_system_sgpr_workgroup_id_z 0
		.amdhsa_system_sgpr_workgroup_info 0
		.amdhsa_system_vgpr_workitem_id 0
		.amdhsa_next_free_vgpr 1
		.amdhsa_next_free_sgpr 1
		.amdhsa_named_barrier_count 0
		.amdhsa_reserve_vcc 0
		.amdhsa_float_round_mode_32 0
		.amdhsa_float_round_mode_16_64 0
		.amdhsa_float_denorm_mode_32 3
		.amdhsa_float_denorm_mode_16_64 3
		.amdhsa_fp16_overflow 0
		.amdhsa_memory_ordered 1
		.amdhsa_forward_progress 1
		.amdhsa_inst_pref_size 0
		.amdhsa_round_robin_scheduling 0
		.amdhsa_exception_fp_ieee_invalid_op 0
		.amdhsa_exception_fp_denorm_src 0
		.amdhsa_exception_fp_ieee_div_zero 0
		.amdhsa_exception_fp_ieee_overflow 0
		.amdhsa_exception_fp_ieee_underflow 0
		.amdhsa_exception_fp_ieee_inexact 0
		.amdhsa_exception_int_div_zero 0
	.end_amdhsa_kernel
	.section	.text._ZN7rocprim17ROCPRIM_400000_NS6detail17trampoline_kernelINS0_13select_configILj256ELj13ELNS0_17block_load_methodE3ELS4_3ELS4_3ELNS0_20block_scan_algorithmE0ELj4294967295EEENS1_25partition_config_selectorILNS1_17partition_subalgoE3EjNS0_10empty_typeEbEEZZNS1_14partition_implILS8_3ELb0ES6_jNS0_17counting_iteratorIjlEEPS9_SE_NS0_5tupleIJPjSE_EEENSF_IJSE_SE_EEES9_SG_JZNS1_25segmented_radix_sort_implINS0_14default_configELb0EPK12hip_bfloat16PSL_PKlPlN2at6native12_GLOBAL__N_18offset_tEEE10hipError_tPvRmT1_PNSt15iterator_traitsISZ_E10value_typeET2_T3_PNS10_IS15_E10value_typeET4_jRbjT5_S1B_jjP12ihipStream_tbEUljE_EEESW_SX_SY_S15_S19_S1B_T6_T7_T9_mT8_S1D_bDpT10_ENKUlT_T0_E_clISt17integral_constantIbLb1EES1Q_EEDaS1L_S1M_EUlS1L_E_NS1_11comp_targetILNS1_3genE8ELNS1_11target_archE1030ELNS1_3gpuE2ELNS1_3repE0EEENS1_30default_config_static_selectorELNS0_4arch9wavefront6targetE0EEEvSZ_,"axG",@progbits,_ZN7rocprim17ROCPRIM_400000_NS6detail17trampoline_kernelINS0_13select_configILj256ELj13ELNS0_17block_load_methodE3ELS4_3ELS4_3ELNS0_20block_scan_algorithmE0ELj4294967295EEENS1_25partition_config_selectorILNS1_17partition_subalgoE3EjNS0_10empty_typeEbEEZZNS1_14partition_implILS8_3ELb0ES6_jNS0_17counting_iteratorIjlEEPS9_SE_NS0_5tupleIJPjSE_EEENSF_IJSE_SE_EEES9_SG_JZNS1_25segmented_radix_sort_implINS0_14default_configELb0EPK12hip_bfloat16PSL_PKlPlN2at6native12_GLOBAL__N_18offset_tEEE10hipError_tPvRmT1_PNSt15iterator_traitsISZ_E10value_typeET2_T3_PNS10_IS15_E10value_typeET4_jRbjT5_S1B_jjP12ihipStream_tbEUljE_EEESW_SX_SY_S15_S19_S1B_T6_T7_T9_mT8_S1D_bDpT10_ENKUlT_T0_E_clISt17integral_constantIbLb1EES1Q_EEDaS1L_S1M_EUlS1L_E_NS1_11comp_targetILNS1_3genE8ELNS1_11target_archE1030ELNS1_3gpuE2ELNS1_3repE0EEENS1_30default_config_static_selectorELNS0_4arch9wavefront6targetE0EEEvSZ_,comdat
.Lfunc_end2022:
	.size	_ZN7rocprim17ROCPRIM_400000_NS6detail17trampoline_kernelINS0_13select_configILj256ELj13ELNS0_17block_load_methodE3ELS4_3ELS4_3ELNS0_20block_scan_algorithmE0ELj4294967295EEENS1_25partition_config_selectorILNS1_17partition_subalgoE3EjNS0_10empty_typeEbEEZZNS1_14partition_implILS8_3ELb0ES6_jNS0_17counting_iteratorIjlEEPS9_SE_NS0_5tupleIJPjSE_EEENSF_IJSE_SE_EEES9_SG_JZNS1_25segmented_radix_sort_implINS0_14default_configELb0EPK12hip_bfloat16PSL_PKlPlN2at6native12_GLOBAL__N_18offset_tEEE10hipError_tPvRmT1_PNSt15iterator_traitsISZ_E10value_typeET2_T3_PNS10_IS15_E10value_typeET4_jRbjT5_S1B_jjP12ihipStream_tbEUljE_EEESW_SX_SY_S15_S19_S1B_T6_T7_T9_mT8_S1D_bDpT10_ENKUlT_T0_E_clISt17integral_constantIbLb1EES1Q_EEDaS1L_S1M_EUlS1L_E_NS1_11comp_targetILNS1_3genE8ELNS1_11target_archE1030ELNS1_3gpuE2ELNS1_3repE0EEENS1_30default_config_static_selectorELNS0_4arch9wavefront6targetE0EEEvSZ_, .Lfunc_end2022-_ZN7rocprim17ROCPRIM_400000_NS6detail17trampoline_kernelINS0_13select_configILj256ELj13ELNS0_17block_load_methodE3ELS4_3ELS4_3ELNS0_20block_scan_algorithmE0ELj4294967295EEENS1_25partition_config_selectorILNS1_17partition_subalgoE3EjNS0_10empty_typeEbEEZZNS1_14partition_implILS8_3ELb0ES6_jNS0_17counting_iteratorIjlEEPS9_SE_NS0_5tupleIJPjSE_EEENSF_IJSE_SE_EEES9_SG_JZNS1_25segmented_radix_sort_implINS0_14default_configELb0EPK12hip_bfloat16PSL_PKlPlN2at6native12_GLOBAL__N_18offset_tEEE10hipError_tPvRmT1_PNSt15iterator_traitsISZ_E10value_typeET2_T3_PNS10_IS15_E10value_typeET4_jRbjT5_S1B_jjP12ihipStream_tbEUljE_EEESW_SX_SY_S15_S19_S1B_T6_T7_T9_mT8_S1D_bDpT10_ENKUlT_T0_E_clISt17integral_constantIbLb1EES1Q_EEDaS1L_S1M_EUlS1L_E_NS1_11comp_targetILNS1_3genE8ELNS1_11target_archE1030ELNS1_3gpuE2ELNS1_3repE0EEENS1_30default_config_static_selectorELNS0_4arch9wavefront6targetE0EEEvSZ_
                                        ; -- End function
	.set _ZN7rocprim17ROCPRIM_400000_NS6detail17trampoline_kernelINS0_13select_configILj256ELj13ELNS0_17block_load_methodE3ELS4_3ELS4_3ELNS0_20block_scan_algorithmE0ELj4294967295EEENS1_25partition_config_selectorILNS1_17partition_subalgoE3EjNS0_10empty_typeEbEEZZNS1_14partition_implILS8_3ELb0ES6_jNS0_17counting_iteratorIjlEEPS9_SE_NS0_5tupleIJPjSE_EEENSF_IJSE_SE_EEES9_SG_JZNS1_25segmented_radix_sort_implINS0_14default_configELb0EPK12hip_bfloat16PSL_PKlPlN2at6native12_GLOBAL__N_18offset_tEEE10hipError_tPvRmT1_PNSt15iterator_traitsISZ_E10value_typeET2_T3_PNS10_IS15_E10value_typeET4_jRbjT5_S1B_jjP12ihipStream_tbEUljE_EEESW_SX_SY_S15_S19_S1B_T6_T7_T9_mT8_S1D_bDpT10_ENKUlT_T0_E_clISt17integral_constantIbLb1EES1Q_EEDaS1L_S1M_EUlS1L_E_NS1_11comp_targetILNS1_3genE8ELNS1_11target_archE1030ELNS1_3gpuE2ELNS1_3repE0EEENS1_30default_config_static_selectorELNS0_4arch9wavefront6targetE0EEEvSZ_.num_vgpr, 0
	.set _ZN7rocprim17ROCPRIM_400000_NS6detail17trampoline_kernelINS0_13select_configILj256ELj13ELNS0_17block_load_methodE3ELS4_3ELS4_3ELNS0_20block_scan_algorithmE0ELj4294967295EEENS1_25partition_config_selectorILNS1_17partition_subalgoE3EjNS0_10empty_typeEbEEZZNS1_14partition_implILS8_3ELb0ES6_jNS0_17counting_iteratorIjlEEPS9_SE_NS0_5tupleIJPjSE_EEENSF_IJSE_SE_EEES9_SG_JZNS1_25segmented_radix_sort_implINS0_14default_configELb0EPK12hip_bfloat16PSL_PKlPlN2at6native12_GLOBAL__N_18offset_tEEE10hipError_tPvRmT1_PNSt15iterator_traitsISZ_E10value_typeET2_T3_PNS10_IS15_E10value_typeET4_jRbjT5_S1B_jjP12ihipStream_tbEUljE_EEESW_SX_SY_S15_S19_S1B_T6_T7_T9_mT8_S1D_bDpT10_ENKUlT_T0_E_clISt17integral_constantIbLb1EES1Q_EEDaS1L_S1M_EUlS1L_E_NS1_11comp_targetILNS1_3genE8ELNS1_11target_archE1030ELNS1_3gpuE2ELNS1_3repE0EEENS1_30default_config_static_selectorELNS0_4arch9wavefront6targetE0EEEvSZ_.num_agpr, 0
	.set _ZN7rocprim17ROCPRIM_400000_NS6detail17trampoline_kernelINS0_13select_configILj256ELj13ELNS0_17block_load_methodE3ELS4_3ELS4_3ELNS0_20block_scan_algorithmE0ELj4294967295EEENS1_25partition_config_selectorILNS1_17partition_subalgoE3EjNS0_10empty_typeEbEEZZNS1_14partition_implILS8_3ELb0ES6_jNS0_17counting_iteratorIjlEEPS9_SE_NS0_5tupleIJPjSE_EEENSF_IJSE_SE_EEES9_SG_JZNS1_25segmented_radix_sort_implINS0_14default_configELb0EPK12hip_bfloat16PSL_PKlPlN2at6native12_GLOBAL__N_18offset_tEEE10hipError_tPvRmT1_PNSt15iterator_traitsISZ_E10value_typeET2_T3_PNS10_IS15_E10value_typeET4_jRbjT5_S1B_jjP12ihipStream_tbEUljE_EEESW_SX_SY_S15_S19_S1B_T6_T7_T9_mT8_S1D_bDpT10_ENKUlT_T0_E_clISt17integral_constantIbLb1EES1Q_EEDaS1L_S1M_EUlS1L_E_NS1_11comp_targetILNS1_3genE8ELNS1_11target_archE1030ELNS1_3gpuE2ELNS1_3repE0EEENS1_30default_config_static_selectorELNS0_4arch9wavefront6targetE0EEEvSZ_.numbered_sgpr, 0
	.set _ZN7rocprim17ROCPRIM_400000_NS6detail17trampoline_kernelINS0_13select_configILj256ELj13ELNS0_17block_load_methodE3ELS4_3ELS4_3ELNS0_20block_scan_algorithmE0ELj4294967295EEENS1_25partition_config_selectorILNS1_17partition_subalgoE3EjNS0_10empty_typeEbEEZZNS1_14partition_implILS8_3ELb0ES6_jNS0_17counting_iteratorIjlEEPS9_SE_NS0_5tupleIJPjSE_EEENSF_IJSE_SE_EEES9_SG_JZNS1_25segmented_radix_sort_implINS0_14default_configELb0EPK12hip_bfloat16PSL_PKlPlN2at6native12_GLOBAL__N_18offset_tEEE10hipError_tPvRmT1_PNSt15iterator_traitsISZ_E10value_typeET2_T3_PNS10_IS15_E10value_typeET4_jRbjT5_S1B_jjP12ihipStream_tbEUljE_EEESW_SX_SY_S15_S19_S1B_T6_T7_T9_mT8_S1D_bDpT10_ENKUlT_T0_E_clISt17integral_constantIbLb1EES1Q_EEDaS1L_S1M_EUlS1L_E_NS1_11comp_targetILNS1_3genE8ELNS1_11target_archE1030ELNS1_3gpuE2ELNS1_3repE0EEENS1_30default_config_static_selectorELNS0_4arch9wavefront6targetE0EEEvSZ_.num_named_barrier, 0
	.set _ZN7rocprim17ROCPRIM_400000_NS6detail17trampoline_kernelINS0_13select_configILj256ELj13ELNS0_17block_load_methodE3ELS4_3ELS4_3ELNS0_20block_scan_algorithmE0ELj4294967295EEENS1_25partition_config_selectorILNS1_17partition_subalgoE3EjNS0_10empty_typeEbEEZZNS1_14partition_implILS8_3ELb0ES6_jNS0_17counting_iteratorIjlEEPS9_SE_NS0_5tupleIJPjSE_EEENSF_IJSE_SE_EEES9_SG_JZNS1_25segmented_radix_sort_implINS0_14default_configELb0EPK12hip_bfloat16PSL_PKlPlN2at6native12_GLOBAL__N_18offset_tEEE10hipError_tPvRmT1_PNSt15iterator_traitsISZ_E10value_typeET2_T3_PNS10_IS15_E10value_typeET4_jRbjT5_S1B_jjP12ihipStream_tbEUljE_EEESW_SX_SY_S15_S19_S1B_T6_T7_T9_mT8_S1D_bDpT10_ENKUlT_T0_E_clISt17integral_constantIbLb1EES1Q_EEDaS1L_S1M_EUlS1L_E_NS1_11comp_targetILNS1_3genE8ELNS1_11target_archE1030ELNS1_3gpuE2ELNS1_3repE0EEENS1_30default_config_static_selectorELNS0_4arch9wavefront6targetE0EEEvSZ_.private_seg_size, 0
	.set _ZN7rocprim17ROCPRIM_400000_NS6detail17trampoline_kernelINS0_13select_configILj256ELj13ELNS0_17block_load_methodE3ELS4_3ELS4_3ELNS0_20block_scan_algorithmE0ELj4294967295EEENS1_25partition_config_selectorILNS1_17partition_subalgoE3EjNS0_10empty_typeEbEEZZNS1_14partition_implILS8_3ELb0ES6_jNS0_17counting_iteratorIjlEEPS9_SE_NS0_5tupleIJPjSE_EEENSF_IJSE_SE_EEES9_SG_JZNS1_25segmented_radix_sort_implINS0_14default_configELb0EPK12hip_bfloat16PSL_PKlPlN2at6native12_GLOBAL__N_18offset_tEEE10hipError_tPvRmT1_PNSt15iterator_traitsISZ_E10value_typeET2_T3_PNS10_IS15_E10value_typeET4_jRbjT5_S1B_jjP12ihipStream_tbEUljE_EEESW_SX_SY_S15_S19_S1B_T6_T7_T9_mT8_S1D_bDpT10_ENKUlT_T0_E_clISt17integral_constantIbLb1EES1Q_EEDaS1L_S1M_EUlS1L_E_NS1_11comp_targetILNS1_3genE8ELNS1_11target_archE1030ELNS1_3gpuE2ELNS1_3repE0EEENS1_30default_config_static_selectorELNS0_4arch9wavefront6targetE0EEEvSZ_.uses_vcc, 0
	.set _ZN7rocprim17ROCPRIM_400000_NS6detail17trampoline_kernelINS0_13select_configILj256ELj13ELNS0_17block_load_methodE3ELS4_3ELS4_3ELNS0_20block_scan_algorithmE0ELj4294967295EEENS1_25partition_config_selectorILNS1_17partition_subalgoE3EjNS0_10empty_typeEbEEZZNS1_14partition_implILS8_3ELb0ES6_jNS0_17counting_iteratorIjlEEPS9_SE_NS0_5tupleIJPjSE_EEENSF_IJSE_SE_EEES9_SG_JZNS1_25segmented_radix_sort_implINS0_14default_configELb0EPK12hip_bfloat16PSL_PKlPlN2at6native12_GLOBAL__N_18offset_tEEE10hipError_tPvRmT1_PNSt15iterator_traitsISZ_E10value_typeET2_T3_PNS10_IS15_E10value_typeET4_jRbjT5_S1B_jjP12ihipStream_tbEUljE_EEESW_SX_SY_S15_S19_S1B_T6_T7_T9_mT8_S1D_bDpT10_ENKUlT_T0_E_clISt17integral_constantIbLb1EES1Q_EEDaS1L_S1M_EUlS1L_E_NS1_11comp_targetILNS1_3genE8ELNS1_11target_archE1030ELNS1_3gpuE2ELNS1_3repE0EEENS1_30default_config_static_selectorELNS0_4arch9wavefront6targetE0EEEvSZ_.uses_flat_scratch, 0
	.set _ZN7rocprim17ROCPRIM_400000_NS6detail17trampoline_kernelINS0_13select_configILj256ELj13ELNS0_17block_load_methodE3ELS4_3ELS4_3ELNS0_20block_scan_algorithmE0ELj4294967295EEENS1_25partition_config_selectorILNS1_17partition_subalgoE3EjNS0_10empty_typeEbEEZZNS1_14partition_implILS8_3ELb0ES6_jNS0_17counting_iteratorIjlEEPS9_SE_NS0_5tupleIJPjSE_EEENSF_IJSE_SE_EEES9_SG_JZNS1_25segmented_radix_sort_implINS0_14default_configELb0EPK12hip_bfloat16PSL_PKlPlN2at6native12_GLOBAL__N_18offset_tEEE10hipError_tPvRmT1_PNSt15iterator_traitsISZ_E10value_typeET2_T3_PNS10_IS15_E10value_typeET4_jRbjT5_S1B_jjP12ihipStream_tbEUljE_EEESW_SX_SY_S15_S19_S1B_T6_T7_T9_mT8_S1D_bDpT10_ENKUlT_T0_E_clISt17integral_constantIbLb1EES1Q_EEDaS1L_S1M_EUlS1L_E_NS1_11comp_targetILNS1_3genE8ELNS1_11target_archE1030ELNS1_3gpuE2ELNS1_3repE0EEENS1_30default_config_static_selectorELNS0_4arch9wavefront6targetE0EEEvSZ_.has_dyn_sized_stack, 0
	.set _ZN7rocprim17ROCPRIM_400000_NS6detail17trampoline_kernelINS0_13select_configILj256ELj13ELNS0_17block_load_methodE3ELS4_3ELS4_3ELNS0_20block_scan_algorithmE0ELj4294967295EEENS1_25partition_config_selectorILNS1_17partition_subalgoE3EjNS0_10empty_typeEbEEZZNS1_14partition_implILS8_3ELb0ES6_jNS0_17counting_iteratorIjlEEPS9_SE_NS0_5tupleIJPjSE_EEENSF_IJSE_SE_EEES9_SG_JZNS1_25segmented_radix_sort_implINS0_14default_configELb0EPK12hip_bfloat16PSL_PKlPlN2at6native12_GLOBAL__N_18offset_tEEE10hipError_tPvRmT1_PNSt15iterator_traitsISZ_E10value_typeET2_T3_PNS10_IS15_E10value_typeET4_jRbjT5_S1B_jjP12ihipStream_tbEUljE_EEESW_SX_SY_S15_S19_S1B_T6_T7_T9_mT8_S1D_bDpT10_ENKUlT_T0_E_clISt17integral_constantIbLb1EES1Q_EEDaS1L_S1M_EUlS1L_E_NS1_11comp_targetILNS1_3genE8ELNS1_11target_archE1030ELNS1_3gpuE2ELNS1_3repE0EEENS1_30default_config_static_selectorELNS0_4arch9wavefront6targetE0EEEvSZ_.has_recursion, 0
	.set _ZN7rocprim17ROCPRIM_400000_NS6detail17trampoline_kernelINS0_13select_configILj256ELj13ELNS0_17block_load_methodE3ELS4_3ELS4_3ELNS0_20block_scan_algorithmE0ELj4294967295EEENS1_25partition_config_selectorILNS1_17partition_subalgoE3EjNS0_10empty_typeEbEEZZNS1_14partition_implILS8_3ELb0ES6_jNS0_17counting_iteratorIjlEEPS9_SE_NS0_5tupleIJPjSE_EEENSF_IJSE_SE_EEES9_SG_JZNS1_25segmented_radix_sort_implINS0_14default_configELb0EPK12hip_bfloat16PSL_PKlPlN2at6native12_GLOBAL__N_18offset_tEEE10hipError_tPvRmT1_PNSt15iterator_traitsISZ_E10value_typeET2_T3_PNS10_IS15_E10value_typeET4_jRbjT5_S1B_jjP12ihipStream_tbEUljE_EEESW_SX_SY_S15_S19_S1B_T6_T7_T9_mT8_S1D_bDpT10_ENKUlT_T0_E_clISt17integral_constantIbLb1EES1Q_EEDaS1L_S1M_EUlS1L_E_NS1_11comp_targetILNS1_3genE8ELNS1_11target_archE1030ELNS1_3gpuE2ELNS1_3repE0EEENS1_30default_config_static_selectorELNS0_4arch9wavefront6targetE0EEEvSZ_.has_indirect_call, 0
	.section	.AMDGPU.csdata,"",@progbits
; Kernel info:
; codeLenInByte = 0
; TotalNumSgprs: 0
; NumVgprs: 0
; ScratchSize: 0
; MemoryBound: 0
; FloatMode: 240
; IeeeMode: 1
; LDSByteSize: 0 bytes/workgroup (compile time only)
; SGPRBlocks: 0
; VGPRBlocks: 0
; NumSGPRsForWavesPerEU: 1
; NumVGPRsForWavesPerEU: 1
; NamedBarCnt: 0
; Occupancy: 16
; WaveLimiterHint : 0
; COMPUTE_PGM_RSRC2:SCRATCH_EN: 0
; COMPUTE_PGM_RSRC2:USER_SGPR: 2
; COMPUTE_PGM_RSRC2:TRAP_HANDLER: 0
; COMPUTE_PGM_RSRC2:TGID_X_EN: 1
; COMPUTE_PGM_RSRC2:TGID_Y_EN: 0
; COMPUTE_PGM_RSRC2:TGID_Z_EN: 0
; COMPUTE_PGM_RSRC2:TIDIG_COMP_CNT: 0
	.section	.text._ZN7rocprim17ROCPRIM_400000_NS6detail17trampoline_kernelINS0_13select_configILj256ELj13ELNS0_17block_load_methodE3ELS4_3ELS4_3ELNS0_20block_scan_algorithmE0ELj4294967295EEENS1_25partition_config_selectorILNS1_17partition_subalgoE3EjNS0_10empty_typeEbEEZZNS1_14partition_implILS8_3ELb0ES6_jNS0_17counting_iteratorIjlEEPS9_SE_NS0_5tupleIJPjSE_EEENSF_IJSE_SE_EEES9_SG_JZNS1_25segmented_radix_sort_implINS0_14default_configELb0EPK12hip_bfloat16PSL_PKlPlN2at6native12_GLOBAL__N_18offset_tEEE10hipError_tPvRmT1_PNSt15iterator_traitsISZ_E10value_typeET2_T3_PNS10_IS15_E10value_typeET4_jRbjT5_S1B_jjP12ihipStream_tbEUljE_EEESW_SX_SY_S15_S19_S1B_T6_T7_T9_mT8_S1D_bDpT10_ENKUlT_T0_E_clISt17integral_constantIbLb1EES1P_IbLb0EEEEDaS1L_S1M_EUlS1L_E_NS1_11comp_targetILNS1_3genE0ELNS1_11target_archE4294967295ELNS1_3gpuE0ELNS1_3repE0EEENS1_30default_config_static_selectorELNS0_4arch9wavefront6targetE0EEEvSZ_,"axG",@progbits,_ZN7rocprim17ROCPRIM_400000_NS6detail17trampoline_kernelINS0_13select_configILj256ELj13ELNS0_17block_load_methodE3ELS4_3ELS4_3ELNS0_20block_scan_algorithmE0ELj4294967295EEENS1_25partition_config_selectorILNS1_17partition_subalgoE3EjNS0_10empty_typeEbEEZZNS1_14partition_implILS8_3ELb0ES6_jNS0_17counting_iteratorIjlEEPS9_SE_NS0_5tupleIJPjSE_EEENSF_IJSE_SE_EEES9_SG_JZNS1_25segmented_radix_sort_implINS0_14default_configELb0EPK12hip_bfloat16PSL_PKlPlN2at6native12_GLOBAL__N_18offset_tEEE10hipError_tPvRmT1_PNSt15iterator_traitsISZ_E10value_typeET2_T3_PNS10_IS15_E10value_typeET4_jRbjT5_S1B_jjP12ihipStream_tbEUljE_EEESW_SX_SY_S15_S19_S1B_T6_T7_T9_mT8_S1D_bDpT10_ENKUlT_T0_E_clISt17integral_constantIbLb1EES1P_IbLb0EEEEDaS1L_S1M_EUlS1L_E_NS1_11comp_targetILNS1_3genE0ELNS1_11target_archE4294967295ELNS1_3gpuE0ELNS1_3repE0EEENS1_30default_config_static_selectorELNS0_4arch9wavefront6targetE0EEEvSZ_,comdat
	.globl	_ZN7rocprim17ROCPRIM_400000_NS6detail17trampoline_kernelINS0_13select_configILj256ELj13ELNS0_17block_load_methodE3ELS4_3ELS4_3ELNS0_20block_scan_algorithmE0ELj4294967295EEENS1_25partition_config_selectorILNS1_17partition_subalgoE3EjNS0_10empty_typeEbEEZZNS1_14partition_implILS8_3ELb0ES6_jNS0_17counting_iteratorIjlEEPS9_SE_NS0_5tupleIJPjSE_EEENSF_IJSE_SE_EEES9_SG_JZNS1_25segmented_radix_sort_implINS0_14default_configELb0EPK12hip_bfloat16PSL_PKlPlN2at6native12_GLOBAL__N_18offset_tEEE10hipError_tPvRmT1_PNSt15iterator_traitsISZ_E10value_typeET2_T3_PNS10_IS15_E10value_typeET4_jRbjT5_S1B_jjP12ihipStream_tbEUljE_EEESW_SX_SY_S15_S19_S1B_T6_T7_T9_mT8_S1D_bDpT10_ENKUlT_T0_E_clISt17integral_constantIbLb1EES1P_IbLb0EEEEDaS1L_S1M_EUlS1L_E_NS1_11comp_targetILNS1_3genE0ELNS1_11target_archE4294967295ELNS1_3gpuE0ELNS1_3repE0EEENS1_30default_config_static_selectorELNS0_4arch9wavefront6targetE0EEEvSZ_ ; -- Begin function _ZN7rocprim17ROCPRIM_400000_NS6detail17trampoline_kernelINS0_13select_configILj256ELj13ELNS0_17block_load_methodE3ELS4_3ELS4_3ELNS0_20block_scan_algorithmE0ELj4294967295EEENS1_25partition_config_selectorILNS1_17partition_subalgoE3EjNS0_10empty_typeEbEEZZNS1_14partition_implILS8_3ELb0ES6_jNS0_17counting_iteratorIjlEEPS9_SE_NS0_5tupleIJPjSE_EEENSF_IJSE_SE_EEES9_SG_JZNS1_25segmented_radix_sort_implINS0_14default_configELb0EPK12hip_bfloat16PSL_PKlPlN2at6native12_GLOBAL__N_18offset_tEEE10hipError_tPvRmT1_PNSt15iterator_traitsISZ_E10value_typeET2_T3_PNS10_IS15_E10value_typeET4_jRbjT5_S1B_jjP12ihipStream_tbEUljE_EEESW_SX_SY_S15_S19_S1B_T6_T7_T9_mT8_S1D_bDpT10_ENKUlT_T0_E_clISt17integral_constantIbLb1EES1P_IbLb0EEEEDaS1L_S1M_EUlS1L_E_NS1_11comp_targetILNS1_3genE0ELNS1_11target_archE4294967295ELNS1_3gpuE0ELNS1_3repE0EEENS1_30default_config_static_selectorELNS0_4arch9wavefront6targetE0EEEvSZ_
	.p2align	8
	.type	_ZN7rocprim17ROCPRIM_400000_NS6detail17trampoline_kernelINS0_13select_configILj256ELj13ELNS0_17block_load_methodE3ELS4_3ELS4_3ELNS0_20block_scan_algorithmE0ELj4294967295EEENS1_25partition_config_selectorILNS1_17partition_subalgoE3EjNS0_10empty_typeEbEEZZNS1_14partition_implILS8_3ELb0ES6_jNS0_17counting_iteratorIjlEEPS9_SE_NS0_5tupleIJPjSE_EEENSF_IJSE_SE_EEES9_SG_JZNS1_25segmented_radix_sort_implINS0_14default_configELb0EPK12hip_bfloat16PSL_PKlPlN2at6native12_GLOBAL__N_18offset_tEEE10hipError_tPvRmT1_PNSt15iterator_traitsISZ_E10value_typeET2_T3_PNS10_IS15_E10value_typeET4_jRbjT5_S1B_jjP12ihipStream_tbEUljE_EEESW_SX_SY_S15_S19_S1B_T6_T7_T9_mT8_S1D_bDpT10_ENKUlT_T0_E_clISt17integral_constantIbLb1EES1P_IbLb0EEEEDaS1L_S1M_EUlS1L_E_NS1_11comp_targetILNS1_3genE0ELNS1_11target_archE4294967295ELNS1_3gpuE0ELNS1_3repE0EEENS1_30default_config_static_selectorELNS0_4arch9wavefront6targetE0EEEvSZ_,@function
_ZN7rocprim17ROCPRIM_400000_NS6detail17trampoline_kernelINS0_13select_configILj256ELj13ELNS0_17block_load_methodE3ELS4_3ELS4_3ELNS0_20block_scan_algorithmE0ELj4294967295EEENS1_25partition_config_selectorILNS1_17partition_subalgoE3EjNS0_10empty_typeEbEEZZNS1_14partition_implILS8_3ELb0ES6_jNS0_17counting_iteratorIjlEEPS9_SE_NS0_5tupleIJPjSE_EEENSF_IJSE_SE_EEES9_SG_JZNS1_25segmented_radix_sort_implINS0_14default_configELb0EPK12hip_bfloat16PSL_PKlPlN2at6native12_GLOBAL__N_18offset_tEEE10hipError_tPvRmT1_PNSt15iterator_traitsISZ_E10value_typeET2_T3_PNS10_IS15_E10value_typeET4_jRbjT5_S1B_jjP12ihipStream_tbEUljE_EEESW_SX_SY_S15_S19_S1B_T6_T7_T9_mT8_S1D_bDpT10_ENKUlT_T0_E_clISt17integral_constantIbLb1EES1P_IbLb0EEEEDaS1L_S1M_EUlS1L_E_NS1_11comp_targetILNS1_3genE0ELNS1_11target_archE4294967295ELNS1_3gpuE0ELNS1_3repE0EEENS1_30default_config_static_selectorELNS0_4arch9wavefront6targetE0EEEvSZ_: ; @_ZN7rocprim17ROCPRIM_400000_NS6detail17trampoline_kernelINS0_13select_configILj256ELj13ELNS0_17block_load_methodE3ELS4_3ELS4_3ELNS0_20block_scan_algorithmE0ELj4294967295EEENS1_25partition_config_selectorILNS1_17partition_subalgoE3EjNS0_10empty_typeEbEEZZNS1_14partition_implILS8_3ELb0ES6_jNS0_17counting_iteratorIjlEEPS9_SE_NS0_5tupleIJPjSE_EEENSF_IJSE_SE_EEES9_SG_JZNS1_25segmented_radix_sort_implINS0_14default_configELb0EPK12hip_bfloat16PSL_PKlPlN2at6native12_GLOBAL__N_18offset_tEEE10hipError_tPvRmT1_PNSt15iterator_traitsISZ_E10value_typeET2_T3_PNS10_IS15_E10value_typeET4_jRbjT5_S1B_jjP12ihipStream_tbEUljE_EEESW_SX_SY_S15_S19_S1B_T6_T7_T9_mT8_S1D_bDpT10_ENKUlT_T0_E_clISt17integral_constantIbLb1EES1P_IbLb0EEEEDaS1L_S1M_EUlS1L_E_NS1_11comp_targetILNS1_3genE0ELNS1_11target_archE4294967295ELNS1_3gpuE0ELNS1_3repE0EEENS1_30default_config_static_selectorELNS0_4arch9wavefront6targetE0EEEvSZ_
; %bb.0:
	s_endpgm
	.section	.rodata,"a",@progbits
	.p2align	6, 0x0
	.amdhsa_kernel _ZN7rocprim17ROCPRIM_400000_NS6detail17trampoline_kernelINS0_13select_configILj256ELj13ELNS0_17block_load_methodE3ELS4_3ELS4_3ELNS0_20block_scan_algorithmE0ELj4294967295EEENS1_25partition_config_selectorILNS1_17partition_subalgoE3EjNS0_10empty_typeEbEEZZNS1_14partition_implILS8_3ELb0ES6_jNS0_17counting_iteratorIjlEEPS9_SE_NS0_5tupleIJPjSE_EEENSF_IJSE_SE_EEES9_SG_JZNS1_25segmented_radix_sort_implINS0_14default_configELb0EPK12hip_bfloat16PSL_PKlPlN2at6native12_GLOBAL__N_18offset_tEEE10hipError_tPvRmT1_PNSt15iterator_traitsISZ_E10value_typeET2_T3_PNS10_IS15_E10value_typeET4_jRbjT5_S1B_jjP12ihipStream_tbEUljE_EEESW_SX_SY_S15_S19_S1B_T6_T7_T9_mT8_S1D_bDpT10_ENKUlT_T0_E_clISt17integral_constantIbLb1EES1P_IbLb0EEEEDaS1L_S1M_EUlS1L_E_NS1_11comp_targetILNS1_3genE0ELNS1_11target_archE4294967295ELNS1_3gpuE0ELNS1_3repE0EEENS1_30default_config_static_selectorELNS0_4arch9wavefront6targetE0EEEvSZ_
		.amdhsa_group_segment_fixed_size 0
		.amdhsa_private_segment_fixed_size 0
		.amdhsa_kernarg_size 144
		.amdhsa_user_sgpr_count 2
		.amdhsa_user_sgpr_dispatch_ptr 0
		.amdhsa_user_sgpr_queue_ptr 0
		.amdhsa_user_sgpr_kernarg_segment_ptr 1
		.amdhsa_user_sgpr_dispatch_id 0
		.amdhsa_user_sgpr_kernarg_preload_length 0
		.amdhsa_user_sgpr_kernarg_preload_offset 0
		.amdhsa_user_sgpr_private_segment_size 0
		.amdhsa_wavefront_size32 1
		.amdhsa_uses_dynamic_stack 0
		.amdhsa_enable_private_segment 0
		.amdhsa_system_sgpr_workgroup_id_x 1
		.amdhsa_system_sgpr_workgroup_id_y 0
		.amdhsa_system_sgpr_workgroup_id_z 0
		.amdhsa_system_sgpr_workgroup_info 0
		.amdhsa_system_vgpr_workitem_id 0
		.amdhsa_next_free_vgpr 1
		.amdhsa_next_free_sgpr 1
		.amdhsa_named_barrier_count 0
		.amdhsa_reserve_vcc 0
		.amdhsa_float_round_mode_32 0
		.amdhsa_float_round_mode_16_64 0
		.amdhsa_float_denorm_mode_32 3
		.amdhsa_float_denorm_mode_16_64 3
		.amdhsa_fp16_overflow 0
		.amdhsa_memory_ordered 1
		.amdhsa_forward_progress 1
		.amdhsa_inst_pref_size 1
		.amdhsa_round_robin_scheduling 0
		.amdhsa_exception_fp_ieee_invalid_op 0
		.amdhsa_exception_fp_denorm_src 0
		.amdhsa_exception_fp_ieee_div_zero 0
		.amdhsa_exception_fp_ieee_overflow 0
		.amdhsa_exception_fp_ieee_underflow 0
		.amdhsa_exception_fp_ieee_inexact 0
		.amdhsa_exception_int_div_zero 0
	.end_amdhsa_kernel
	.section	.text._ZN7rocprim17ROCPRIM_400000_NS6detail17trampoline_kernelINS0_13select_configILj256ELj13ELNS0_17block_load_methodE3ELS4_3ELS4_3ELNS0_20block_scan_algorithmE0ELj4294967295EEENS1_25partition_config_selectorILNS1_17partition_subalgoE3EjNS0_10empty_typeEbEEZZNS1_14partition_implILS8_3ELb0ES6_jNS0_17counting_iteratorIjlEEPS9_SE_NS0_5tupleIJPjSE_EEENSF_IJSE_SE_EEES9_SG_JZNS1_25segmented_radix_sort_implINS0_14default_configELb0EPK12hip_bfloat16PSL_PKlPlN2at6native12_GLOBAL__N_18offset_tEEE10hipError_tPvRmT1_PNSt15iterator_traitsISZ_E10value_typeET2_T3_PNS10_IS15_E10value_typeET4_jRbjT5_S1B_jjP12ihipStream_tbEUljE_EEESW_SX_SY_S15_S19_S1B_T6_T7_T9_mT8_S1D_bDpT10_ENKUlT_T0_E_clISt17integral_constantIbLb1EES1P_IbLb0EEEEDaS1L_S1M_EUlS1L_E_NS1_11comp_targetILNS1_3genE0ELNS1_11target_archE4294967295ELNS1_3gpuE0ELNS1_3repE0EEENS1_30default_config_static_selectorELNS0_4arch9wavefront6targetE0EEEvSZ_,"axG",@progbits,_ZN7rocprim17ROCPRIM_400000_NS6detail17trampoline_kernelINS0_13select_configILj256ELj13ELNS0_17block_load_methodE3ELS4_3ELS4_3ELNS0_20block_scan_algorithmE0ELj4294967295EEENS1_25partition_config_selectorILNS1_17partition_subalgoE3EjNS0_10empty_typeEbEEZZNS1_14partition_implILS8_3ELb0ES6_jNS0_17counting_iteratorIjlEEPS9_SE_NS0_5tupleIJPjSE_EEENSF_IJSE_SE_EEES9_SG_JZNS1_25segmented_radix_sort_implINS0_14default_configELb0EPK12hip_bfloat16PSL_PKlPlN2at6native12_GLOBAL__N_18offset_tEEE10hipError_tPvRmT1_PNSt15iterator_traitsISZ_E10value_typeET2_T3_PNS10_IS15_E10value_typeET4_jRbjT5_S1B_jjP12ihipStream_tbEUljE_EEESW_SX_SY_S15_S19_S1B_T6_T7_T9_mT8_S1D_bDpT10_ENKUlT_T0_E_clISt17integral_constantIbLb1EES1P_IbLb0EEEEDaS1L_S1M_EUlS1L_E_NS1_11comp_targetILNS1_3genE0ELNS1_11target_archE4294967295ELNS1_3gpuE0ELNS1_3repE0EEENS1_30default_config_static_selectorELNS0_4arch9wavefront6targetE0EEEvSZ_,comdat
.Lfunc_end2023:
	.size	_ZN7rocprim17ROCPRIM_400000_NS6detail17trampoline_kernelINS0_13select_configILj256ELj13ELNS0_17block_load_methodE3ELS4_3ELS4_3ELNS0_20block_scan_algorithmE0ELj4294967295EEENS1_25partition_config_selectorILNS1_17partition_subalgoE3EjNS0_10empty_typeEbEEZZNS1_14partition_implILS8_3ELb0ES6_jNS0_17counting_iteratorIjlEEPS9_SE_NS0_5tupleIJPjSE_EEENSF_IJSE_SE_EEES9_SG_JZNS1_25segmented_radix_sort_implINS0_14default_configELb0EPK12hip_bfloat16PSL_PKlPlN2at6native12_GLOBAL__N_18offset_tEEE10hipError_tPvRmT1_PNSt15iterator_traitsISZ_E10value_typeET2_T3_PNS10_IS15_E10value_typeET4_jRbjT5_S1B_jjP12ihipStream_tbEUljE_EEESW_SX_SY_S15_S19_S1B_T6_T7_T9_mT8_S1D_bDpT10_ENKUlT_T0_E_clISt17integral_constantIbLb1EES1P_IbLb0EEEEDaS1L_S1M_EUlS1L_E_NS1_11comp_targetILNS1_3genE0ELNS1_11target_archE4294967295ELNS1_3gpuE0ELNS1_3repE0EEENS1_30default_config_static_selectorELNS0_4arch9wavefront6targetE0EEEvSZ_, .Lfunc_end2023-_ZN7rocprim17ROCPRIM_400000_NS6detail17trampoline_kernelINS0_13select_configILj256ELj13ELNS0_17block_load_methodE3ELS4_3ELS4_3ELNS0_20block_scan_algorithmE0ELj4294967295EEENS1_25partition_config_selectorILNS1_17partition_subalgoE3EjNS0_10empty_typeEbEEZZNS1_14partition_implILS8_3ELb0ES6_jNS0_17counting_iteratorIjlEEPS9_SE_NS0_5tupleIJPjSE_EEENSF_IJSE_SE_EEES9_SG_JZNS1_25segmented_radix_sort_implINS0_14default_configELb0EPK12hip_bfloat16PSL_PKlPlN2at6native12_GLOBAL__N_18offset_tEEE10hipError_tPvRmT1_PNSt15iterator_traitsISZ_E10value_typeET2_T3_PNS10_IS15_E10value_typeET4_jRbjT5_S1B_jjP12ihipStream_tbEUljE_EEESW_SX_SY_S15_S19_S1B_T6_T7_T9_mT8_S1D_bDpT10_ENKUlT_T0_E_clISt17integral_constantIbLb1EES1P_IbLb0EEEEDaS1L_S1M_EUlS1L_E_NS1_11comp_targetILNS1_3genE0ELNS1_11target_archE4294967295ELNS1_3gpuE0ELNS1_3repE0EEENS1_30default_config_static_selectorELNS0_4arch9wavefront6targetE0EEEvSZ_
                                        ; -- End function
	.set _ZN7rocprim17ROCPRIM_400000_NS6detail17trampoline_kernelINS0_13select_configILj256ELj13ELNS0_17block_load_methodE3ELS4_3ELS4_3ELNS0_20block_scan_algorithmE0ELj4294967295EEENS1_25partition_config_selectorILNS1_17partition_subalgoE3EjNS0_10empty_typeEbEEZZNS1_14partition_implILS8_3ELb0ES6_jNS0_17counting_iteratorIjlEEPS9_SE_NS0_5tupleIJPjSE_EEENSF_IJSE_SE_EEES9_SG_JZNS1_25segmented_radix_sort_implINS0_14default_configELb0EPK12hip_bfloat16PSL_PKlPlN2at6native12_GLOBAL__N_18offset_tEEE10hipError_tPvRmT1_PNSt15iterator_traitsISZ_E10value_typeET2_T3_PNS10_IS15_E10value_typeET4_jRbjT5_S1B_jjP12ihipStream_tbEUljE_EEESW_SX_SY_S15_S19_S1B_T6_T7_T9_mT8_S1D_bDpT10_ENKUlT_T0_E_clISt17integral_constantIbLb1EES1P_IbLb0EEEEDaS1L_S1M_EUlS1L_E_NS1_11comp_targetILNS1_3genE0ELNS1_11target_archE4294967295ELNS1_3gpuE0ELNS1_3repE0EEENS1_30default_config_static_selectorELNS0_4arch9wavefront6targetE0EEEvSZ_.num_vgpr, 0
	.set _ZN7rocprim17ROCPRIM_400000_NS6detail17trampoline_kernelINS0_13select_configILj256ELj13ELNS0_17block_load_methodE3ELS4_3ELS4_3ELNS0_20block_scan_algorithmE0ELj4294967295EEENS1_25partition_config_selectorILNS1_17partition_subalgoE3EjNS0_10empty_typeEbEEZZNS1_14partition_implILS8_3ELb0ES6_jNS0_17counting_iteratorIjlEEPS9_SE_NS0_5tupleIJPjSE_EEENSF_IJSE_SE_EEES9_SG_JZNS1_25segmented_radix_sort_implINS0_14default_configELb0EPK12hip_bfloat16PSL_PKlPlN2at6native12_GLOBAL__N_18offset_tEEE10hipError_tPvRmT1_PNSt15iterator_traitsISZ_E10value_typeET2_T3_PNS10_IS15_E10value_typeET4_jRbjT5_S1B_jjP12ihipStream_tbEUljE_EEESW_SX_SY_S15_S19_S1B_T6_T7_T9_mT8_S1D_bDpT10_ENKUlT_T0_E_clISt17integral_constantIbLb1EES1P_IbLb0EEEEDaS1L_S1M_EUlS1L_E_NS1_11comp_targetILNS1_3genE0ELNS1_11target_archE4294967295ELNS1_3gpuE0ELNS1_3repE0EEENS1_30default_config_static_selectorELNS0_4arch9wavefront6targetE0EEEvSZ_.num_agpr, 0
	.set _ZN7rocprim17ROCPRIM_400000_NS6detail17trampoline_kernelINS0_13select_configILj256ELj13ELNS0_17block_load_methodE3ELS4_3ELS4_3ELNS0_20block_scan_algorithmE0ELj4294967295EEENS1_25partition_config_selectorILNS1_17partition_subalgoE3EjNS0_10empty_typeEbEEZZNS1_14partition_implILS8_3ELb0ES6_jNS0_17counting_iteratorIjlEEPS9_SE_NS0_5tupleIJPjSE_EEENSF_IJSE_SE_EEES9_SG_JZNS1_25segmented_radix_sort_implINS0_14default_configELb0EPK12hip_bfloat16PSL_PKlPlN2at6native12_GLOBAL__N_18offset_tEEE10hipError_tPvRmT1_PNSt15iterator_traitsISZ_E10value_typeET2_T3_PNS10_IS15_E10value_typeET4_jRbjT5_S1B_jjP12ihipStream_tbEUljE_EEESW_SX_SY_S15_S19_S1B_T6_T7_T9_mT8_S1D_bDpT10_ENKUlT_T0_E_clISt17integral_constantIbLb1EES1P_IbLb0EEEEDaS1L_S1M_EUlS1L_E_NS1_11comp_targetILNS1_3genE0ELNS1_11target_archE4294967295ELNS1_3gpuE0ELNS1_3repE0EEENS1_30default_config_static_selectorELNS0_4arch9wavefront6targetE0EEEvSZ_.numbered_sgpr, 0
	.set _ZN7rocprim17ROCPRIM_400000_NS6detail17trampoline_kernelINS0_13select_configILj256ELj13ELNS0_17block_load_methodE3ELS4_3ELS4_3ELNS0_20block_scan_algorithmE0ELj4294967295EEENS1_25partition_config_selectorILNS1_17partition_subalgoE3EjNS0_10empty_typeEbEEZZNS1_14partition_implILS8_3ELb0ES6_jNS0_17counting_iteratorIjlEEPS9_SE_NS0_5tupleIJPjSE_EEENSF_IJSE_SE_EEES9_SG_JZNS1_25segmented_radix_sort_implINS0_14default_configELb0EPK12hip_bfloat16PSL_PKlPlN2at6native12_GLOBAL__N_18offset_tEEE10hipError_tPvRmT1_PNSt15iterator_traitsISZ_E10value_typeET2_T3_PNS10_IS15_E10value_typeET4_jRbjT5_S1B_jjP12ihipStream_tbEUljE_EEESW_SX_SY_S15_S19_S1B_T6_T7_T9_mT8_S1D_bDpT10_ENKUlT_T0_E_clISt17integral_constantIbLb1EES1P_IbLb0EEEEDaS1L_S1M_EUlS1L_E_NS1_11comp_targetILNS1_3genE0ELNS1_11target_archE4294967295ELNS1_3gpuE0ELNS1_3repE0EEENS1_30default_config_static_selectorELNS0_4arch9wavefront6targetE0EEEvSZ_.num_named_barrier, 0
	.set _ZN7rocprim17ROCPRIM_400000_NS6detail17trampoline_kernelINS0_13select_configILj256ELj13ELNS0_17block_load_methodE3ELS4_3ELS4_3ELNS0_20block_scan_algorithmE0ELj4294967295EEENS1_25partition_config_selectorILNS1_17partition_subalgoE3EjNS0_10empty_typeEbEEZZNS1_14partition_implILS8_3ELb0ES6_jNS0_17counting_iteratorIjlEEPS9_SE_NS0_5tupleIJPjSE_EEENSF_IJSE_SE_EEES9_SG_JZNS1_25segmented_radix_sort_implINS0_14default_configELb0EPK12hip_bfloat16PSL_PKlPlN2at6native12_GLOBAL__N_18offset_tEEE10hipError_tPvRmT1_PNSt15iterator_traitsISZ_E10value_typeET2_T3_PNS10_IS15_E10value_typeET4_jRbjT5_S1B_jjP12ihipStream_tbEUljE_EEESW_SX_SY_S15_S19_S1B_T6_T7_T9_mT8_S1D_bDpT10_ENKUlT_T0_E_clISt17integral_constantIbLb1EES1P_IbLb0EEEEDaS1L_S1M_EUlS1L_E_NS1_11comp_targetILNS1_3genE0ELNS1_11target_archE4294967295ELNS1_3gpuE0ELNS1_3repE0EEENS1_30default_config_static_selectorELNS0_4arch9wavefront6targetE0EEEvSZ_.private_seg_size, 0
	.set _ZN7rocprim17ROCPRIM_400000_NS6detail17trampoline_kernelINS0_13select_configILj256ELj13ELNS0_17block_load_methodE3ELS4_3ELS4_3ELNS0_20block_scan_algorithmE0ELj4294967295EEENS1_25partition_config_selectorILNS1_17partition_subalgoE3EjNS0_10empty_typeEbEEZZNS1_14partition_implILS8_3ELb0ES6_jNS0_17counting_iteratorIjlEEPS9_SE_NS0_5tupleIJPjSE_EEENSF_IJSE_SE_EEES9_SG_JZNS1_25segmented_radix_sort_implINS0_14default_configELb0EPK12hip_bfloat16PSL_PKlPlN2at6native12_GLOBAL__N_18offset_tEEE10hipError_tPvRmT1_PNSt15iterator_traitsISZ_E10value_typeET2_T3_PNS10_IS15_E10value_typeET4_jRbjT5_S1B_jjP12ihipStream_tbEUljE_EEESW_SX_SY_S15_S19_S1B_T6_T7_T9_mT8_S1D_bDpT10_ENKUlT_T0_E_clISt17integral_constantIbLb1EES1P_IbLb0EEEEDaS1L_S1M_EUlS1L_E_NS1_11comp_targetILNS1_3genE0ELNS1_11target_archE4294967295ELNS1_3gpuE0ELNS1_3repE0EEENS1_30default_config_static_selectorELNS0_4arch9wavefront6targetE0EEEvSZ_.uses_vcc, 0
	.set _ZN7rocprim17ROCPRIM_400000_NS6detail17trampoline_kernelINS0_13select_configILj256ELj13ELNS0_17block_load_methodE3ELS4_3ELS4_3ELNS0_20block_scan_algorithmE0ELj4294967295EEENS1_25partition_config_selectorILNS1_17partition_subalgoE3EjNS0_10empty_typeEbEEZZNS1_14partition_implILS8_3ELb0ES6_jNS0_17counting_iteratorIjlEEPS9_SE_NS0_5tupleIJPjSE_EEENSF_IJSE_SE_EEES9_SG_JZNS1_25segmented_radix_sort_implINS0_14default_configELb0EPK12hip_bfloat16PSL_PKlPlN2at6native12_GLOBAL__N_18offset_tEEE10hipError_tPvRmT1_PNSt15iterator_traitsISZ_E10value_typeET2_T3_PNS10_IS15_E10value_typeET4_jRbjT5_S1B_jjP12ihipStream_tbEUljE_EEESW_SX_SY_S15_S19_S1B_T6_T7_T9_mT8_S1D_bDpT10_ENKUlT_T0_E_clISt17integral_constantIbLb1EES1P_IbLb0EEEEDaS1L_S1M_EUlS1L_E_NS1_11comp_targetILNS1_3genE0ELNS1_11target_archE4294967295ELNS1_3gpuE0ELNS1_3repE0EEENS1_30default_config_static_selectorELNS0_4arch9wavefront6targetE0EEEvSZ_.uses_flat_scratch, 0
	.set _ZN7rocprim17ROCPRIM_400000_NS6detail17trampoline_kernelINS0_13select_configILj256ELj13ELNS0_17block_load_methodE3ELS4_3ELS4_3ELNS0_20block_scan_algorithmE0ELj4294967295EEENS1_25partition_config_selectorILNS1_17partition_subalgoE3EjNS0_10empty_typeEbEEZZNS1_14partition_implILS8_3ELb0ES6_jNS0_17counting_iteratorIjlEEPS9_SE_NS0_5tupleIJPjSE_EEENSF_IJSE_SE_EEES9_SG_JZNS1_25segmented_radix_sort_implINS0_14default_configELb0EPK12hip_bfloat16PSL_PKlPlN2at6native12_GLOBAL__N_18offset_tEEE10hipError_tPvRmT1_PNSt15iterator_traitsISZ_E10value_typeET2_T3_PNS10_IS15_E10value_typeET4_jRbjT5_S1B_jjP12ihipStream_tbEUljE_EEESW_SX_SY_S15_S19_S1B_T6_T7_T9_mT8_S1D_bDpT10_ENKUlT_T0_E_clISt17integral_constantIbLb1EES1P_IbLb0EEEEDaS1L_S1M_EUlS1L_E_NS1_11comp_targetILNS1_3genE0ELNS1_11target_archE4294967295ELNS1_3gpuE0ELNS1_3repE0EEENS1_30default_config_static_selectorELNS0_4arch9wavefront6targetE0EEEvSZ_.has_dyn_sized_stack, 0
	.set _ZN7rocprim17ROCPRIM_400000_NS6detail17trampoline_kernelINS0_13select_configILj256ELj13ELNS0_17block_load_methodE3ELS4_3ELS4_3ELNS0_20block_scan_algorithmE0ELj4294967295EEENS1_25partition_config_selectorILNS1_17partition_subalgoE3EjNS0_10empty_typeEbEEZZNS1_14partition_implILS8_3ELb0ES6_jNS0_17counting_iteratorIjlEEPS9_SE_NS0_5tupleIJPjSE_EEENSF_IJSE_SE_EEES9_SG_JZNS1_25segmented_radix_sort_implINS0_14default_configELb0EPK12hip_bfloat16PSL_PKlPlN2at6native12_GLOBAL__N_18offset_tEEE10hipError_tPvRmT1_PNSt15iterator_traitsISZ_E10value_typeET2_T3_PNS10_IS15_E10value_typeET4_jRbjT5_S1B_jjP12ihipStream_tbEUljE_EEESW_SX_SY_S15_S19_S1B_T6_T7_T9_mT8_S1D_bDpT10_ENKUlT_T0_E_clISt17integral_constantIbLb1EES1P_IbLb0EEEEDaS1L_S1M_EUlS1L_E_NS1_11comp_targetILNS1_3genE0ELNS1_11target_archE4294967295ELNS1_3gpuE0ELNS1_3repE0EEENS1_30default_config_static_selectorELNS0_4arch9wavefront6targetE0EEEvSZ_.has_recursion, 0
	.set _ZN7rocprim17ROCPRIM_400000_NS6detail17trampoline_kernelINS0_13select_configILj256ELj13ELNS0_17block_load_methodE3ELS4_3ELS4_3ELNS0_20block_scan_algorithmE0ELj4294967295EEENS1_25partition_config_selectorILNS1_17partition_subalgoE3EjNS0_10empty_typeEbEEZZNS1_14partition_implILS8_3ELb0ES6_jNS0_17counting_iteratorIjlEEPS9_SE_NS0_5tupleIJPjSE_EEENSF_IJSE_SE_EEES9_SG_JZNS1_25segmented_radix_sort_implINS0_14default_configELb0EPK12hip_bfloat16PSL_PKlPlN2at6native12_GLOBAL__N_18offset_tEEE10hipError_tPvRmT1_PNSt15iterator_traitsISZ_E10value_typeET2_T3_PNS10_IS15_E10value_typeET4_jRbjT5_S1B_jjP12ihipStream_tbEUljE_EEESW_SX_SY_S15_S19_S1B_T6_T7_T9_mT8_S1D_bDpT10_ENKUlT_T0_E_clISt17integral_constantIbLb1EES1P_IbLb0EEEEDaS1L_S1M_EUlS1L_E_NS1_11comp_targetILNS1_3genE0ELNS1_11target_archE4294967295ELNS1_3gpuE0ELNS1_3repE0EEENS1_30default_config_static_selectorELNS0_4arch9wavefront6targetE0EEEvSZ_.has_indirect_call, 0
	.section	.AMDGPU.csdata,"",@progbits
; Kernel info:
; codeLenInByte = 4
; TotalNumSgprs: 0
; NumVgprs: 0
; ScratchSize: 0
; MemoryBound: 0
; FloatMode: 240
; IeeeMode: 1
; LDSByteSize: 0 bytes/workgroup (compile time only)
; SGPRBlocks: 0
; VGPRBlocks: 0
; NumSGPRsForWavesPerEU: 1
; NumVGPRsForWavesPerEU: 1
; NamedBarCnt: 0
; Occupancy: 16
; WaveLimiterHint : 0
; COMPUTE_PGM_RSRC2:SCRATCH_EN: 0
; COMPUTE_PGM_RSRC2:USER_SGPR: 2
; COMPUTE_PGM_RSRC2:TRAP_HANDLER: 0
; COMPUTE_PGM_RSRC2:TGID_X_EN: 1
; COMPUTE_PGM_RSRC2:TGID_Y_EN: 0
; COMPUTE_PGM_RSRC2:TGID_Z_EN: 0
; COMPUTE_PGM_RSRC2:TIDIG_COMP_CNT: 0
	.section	.text._ZN7rocprim17ROCPRIM_400000_NS6detail17trampoline_kernelINS0_13select_configILj256ELj13ELNS0_17block_load_methodE3ELS4_3ELS4_3ELNS0_20block_scan_algorithmE0ELj4294967295EEENS1_25partition_config_selectorILNS1_17partition_subalgoE3EjNS0_10empty_typeEbEEZZNS1_14partition_implILS8_3ELb0ES6_jNS0_17counting_iteratorIjlEEPS9_SE_NS0_5tupleIJPjSE_EEENSF_IJSE_SE_EEES9_SG_JZNS1_25segmented_radix_sort_implINS0_14default_configELb0EPK12hip_bfloat16PSL_PKlPlN2at6native12_GLOBAL__N_18offset_tEEE10hipError_tPvRmT1_PNSt15iterator_traitsISZ_E10value_typeET2_T3_PNS10_IS15_E10value_typeET4_jRbjT5_S1B_jjP12ihipStream_tbEUljE_EEESW_SX_SY_S15_S19_S1B_T6_T7_T9_mT8_S1D_bDpT10_ENKUlT_T0_E_clISt17integral_constantIbLb1EES1P_IbLb0EEEEDaS1L_S1M_EUlS1L_E_NS1_11comp_targetILNS1_3genE5ELNS1_11target_archE942ELNS1_3gpuE9ELNS1_3repE0EEENS1_30default_config_static_selectorELNS0_4arch9wavefront6targetE0EEEvSZ_,"axG",@progbits,_ZN7rocprim17ROCPRIM_400000_NS6detail17trampoline_kernelINS0_13select_configILj256ELj13ELNS0_17block_load_methodE3ELS4_3ELS4_3ELNS0_20block_scan_algorithmE0ELj4294967295EEENS1_25partition_config_selectorILNS1_17partition_subalgoE3EjNS0_10empty_typeEbEEZZNS1_14partition_implILS8_3ELb0ES6_jNS0_17counting_iteratorIjlEEPS9_SE_NS0_5tupleIJPjSE_EEENSF_IJSE_SE_EEES9_SG_JZNS1_25segmented_radix_sort_implINS0_14default_configELb0EPK12hip_bfloat16PSL_PKlPlN2at6native12_GLOBAL__N_18offset_tEEE10hipError_tPvRmT1_PNSt15iterator_traitsISZ_E10value_typeET2_T3_PNS10_IS15_E10value_typeET4_jRbjT5_S1B_jjP12ihipStream_tbEUljE_EEESW_SX_SY_S15_S19_S1B_T6_T7_T9_mT8_S1D_bDpT10_ENKUlT_T0_E_clISt17integral_constantIbLb1EES1P_IbLb0EEEEDaS1L_S1M_EUlS1L_E_NS1_11comp_targetILNS1_3genE5ELNS1_11target_archE942ELNS1_3gpuE9ELNS1_3repE0EEENS1_30default_config_static_selectorELNS0_4arch9wavefront6targetE0EEEvSZ_,comdat
	.globl	_ZN7rocprim17ROCPRIM_400000_NS6detail17trampoline_kernelINS0_13select_configILj256ELj13ELNS0_17block_load_methodE3ELS4_3ELS4_3ELNS0_20block_scan_algorithmE0ELj4294967295EEENS1_25partition_config_selectorILNS1_17partition_subalgoE3EjNS0_10empty_typeEbEEZZNS1_14partition_implILS8_3ELb0ES6_jNS0_17counting_iteratorIjlEEPS9_SE_NS0_5tupleIJPjSE_EEENSF_IJSE_SE_EEES9_SG_JZNS1_25segmented_radix_sort_implINS0_14default_configELb0EPK12hip_bfloat16PSL_PKlPlN2at6native12_GLOBAL__N_18offset_tEEE10hipError_tPvRmT1_PNSt15iterator_traitsISZ_E10value_typeET2_T3_PNS10_IS15_E10value_typeET4_jRbjT5_S1B_jjP12ihipStream_tbEUljE_EEESW_SX_SY_S15_S19_S1B_T6_T7_T9_mT8_S1D_bDpT10_ENKUlT_T0_E_clISt17integral_constantIbLb1EES1P_IbLb0EEEEDaS1L_S1M_EUlS1L_E_NS1_11comp_targetILNS1_3genE5ELNS1_11target_archE942ELNS1_3gpuE9ELNS1_3repE0EEENS1_30default_config_static_selectorELNS0_4arch9wavefront6targetE0EEEvSZ_ ; -- Begin function _ZN7rocprim17ROCPRIM_400000_NS6detail17trampoline_kernelINS0_13select_configILj256ELj13ELNS0_17block_load_methodE3ELS4_3ELS4_3ELNS0_20block_scan_algorithmE0ELj4294967295EEENS1_25partition_config_selectorILNS1_17partition_subalgoE3EjNS0_10empty_typeEbEEZZNS1_14partition_implILS8_3ELb0ES6_jNS0_17counting_iteratorIjlEEPS9_SE_NS0_5tupleIJPjSE_EEENSF_IJSE_SE_EEES9_SG_JZNS1_25segmented_radix_sort_implINS0_14default_configELb0EPK12hip_bfloat16PSL_PKlPlN2at6native12_GLOBAL__N_18offset_tEEE10hipError_tPvRmT1_PNSt15iterator_traitsISZ_E10value_typeET2_T3_PNS10_IS15_E10value_typeET4_jRbjT5_S1B_jjP12ihipStream_tbEUljE_EEESW_SX_SY_S15_S19_S1B_T6_T7_T9_mT8_S1D_bDpT10_ENKUlT_T0_E_clISt17integral_constantIbLb1EES1P_IbLb0EEEEDaS1L_S1M_EUlS1L_E_NS1_11comp_targetILNS1_3genE5ELNS1_11target_archE942ELNS1_3gpuE9ELNS1_3repE0EEENS1_30default_config_static_selectorELNS0_4arch9wavefront6targetE0EEEvSZ_
	.p2align	8
	.type	_ZN7rocprim17ROCPRIM_400000_NS6detail17trampoline_kernelINS0_13select_configILj256ELj13ELNS0_17block_load_methodE3ELS4_3ELS4_3ELNS0_20block_scan_algorithmE0ELj4294967295EEENS1_25partition_config_selectorILNS1_17partition_subalgoE3EjNS0_10empty_typeEbEEZZNS1_14partition_implILS8_3ELb0ES6_jNS0_17counting_iteratorIjlEEPS9_SE_NS0_5tupleIJPjSE_EEENSF_IJSE_SE_EEES9_SG_JZNS1_25segmented_radix_sort_implINS0_14default_configELb0EPK12hip_bfloat16PSL_PKlPlN2at6native12_GLOBAL__N_18offset_tEEE10hipError_tPvRmT1_PNSt15iterator_traitsISZ_E10value_typeET2_T3_PNS10_IS15_E10value_typeET4_jRbjT5_S1B_jjP12ihipStream_tbEUljE_EEESW_SX_SY_S15_S19_S1B_T6_T7_T9_mT8_S1D_bDpT10_ENKUlT_T0_E_clISt17integral_constantIbLb1EES1P_IbLb0EEEEDaS1L_S1M_EUlS1L_E_NS1_11comp_targetILNS1_3genE5ELNS1_11target_archE942ELNS1_3gpuE9ELNS1_3repE0EEENS1_30default_config_static_selectorELNS0_4arch9wavefront6targetE0EEEvSZ_,@function
_ZN7rocprim17ROCPRIM_400000_NS6detail17trampoline_kernelINS0_13select_configILj256ELj13ELNS0_17block_load_methodE3ELS4_3ELS4_3ELNS0_20block_scan_algorithmE0ELj4294967295EEENS1_25partition_config_selectorILNS1_17partition_subalgoE3EjNS0_10empty_typeEbEEZZNS1_14partition_implILS8_3ELb0ES6_jNS0_17counting_iteratorIjlEEPS9_SE_NS0_5tupleIJPjSE_EEENSF_IJSE_SE_EEES9_SG_JZNS1_25segmented_radix_sort_implINS0_14default_configELb0EPK12hip_bfloat16PSL_PKlPlN2at6native12_GLOBAL__N_18offset_tEEE10hipError_tPvRmT1_PNSt15iterator_traitsISZ_E10value_typeET2_T3_PNS10_IS15_E10value_typeET4_jRbjT5_S1B_jjP12ihipStream_tbEUljE_EEESW_SX_SY_S15_S19_S1B_T6_T7_T9_mT8_S1D_bDpT10_ENKUlT_T0_E_clISt17integral_constantIbLb1EES1P_IbLb0EEEEDaS1L_S1M_EUlS1L_E_NS1_11comp_targetILNS1_3genE5ELNS1_11target_archE942ELNS1_3gpuE9ELNS1_3repE0EEENS1_30default_config_static_selectorELNS0_4arch9wavefront6targetE0EEEvSZ_: ; @_ZN7rocprim17ROCPRIM_400000_NS6detail17trampoline_kernelINS0_13select_configILj256ELj13ELNS0_17block_load_methodE3ELS4_3ELS4_3ELNS0_20block_scan_algorithmE0ELj4294967295EEENS1_25partition_config_selectorILNS1_17partition_subalgoE3EjNS0_10empty_typeEbEEZZNS1_14partition_implILS8_3ELb0ES6_jNS0_17counting_iteratorIjlEEPS9_SE_NS0_5tupleIJPjSE_EEENSF_IJSE_SE_EEES9_SG_JZNS1_25segmented_radix_sort_implINS0_14default_configELb0EPK12hip_bfloat16PSL_PKlPlN2at6native12_GLOBAL__N_18offset_tEEE10hipError_tPvRmT1_PNSt15iterator_traitsISZ_E10value_typeET2_T3_PNS10_IS15_E10value_typeET4_jRbjT5_S1B_jjP12ihipStream_tbEUljE_EEESW_SX_SY_S15_S19_S1B_T6_T7_T9_mT8_S1D_bDpT10_ENKUlT_T0_E_clISt17integral_constantIbLb1EES1P_IbLb0EEEEDaS1L_S1M_EUlS1L_E_NS1_11comp_targetILNS1_3genE5ELNS1_11target_archE942ELNS1_3gpuE9ELNS1_3repE0EEENS1_30default_config_static_selectorELNS0_4arch9wavefront6targetE0EEEvSZ_
; %bb.0:
	.section	.rodata,"a",@progbits
	.p2align	6, 0x0
	.amdhsa_kernel _ZN7rocprim17ROCPRIM_400000_NS6detail17trampoline_kernelINS0_13select_configILj256ELj13ELNS0_17block_load_methodE3ELS4_3ELS4_3ELNS0_20block_scan_algorithmE0ELj4294967295EEENS1_25partition_config_selectorILNS1_17partition_subalgoE3EjNS0_10empty_typeEbEEZZNS1_14partition_implILS8_3ELb0ES6_jNS0_17counting_iteratorIjlEEPS9_SE_NS0_5tupleIJPjSE_EEENSF_IJSE_SE_EEES9_SG_JZNS1_25segmented_radix_sort_implINS0_14default_configELb0EPK12hip_bfloat16PSL_PKlPlN2at6native12_GLOBAL__N_18offset_tEEE10hipError_tPvRmT1_PNSt15iterator_traitsISZ_E10value_typeET2_T3_PNS10_IS15_E10value_typeET4_jRbjT5_S1B_jjP12ihipStream_tbEUljE_EEESW_SX_SY_S15_S19_S1B_T6_T7_T9_mT8_S1D_bDpT10_ENKUlT_T0_E_clISt17integral_constantIbLb1EES1P_IbLb0EEEEDaS1L_S1M_EUlS1L_E_NS1_11comp_targetILNS1_3genE5ELNS1_11target_archE942ELNS1_3gpuE9ELNS1_3repE0EEENS1_30default_config_static_selectorELNS0_4arch9wavefront6targetE0EEEvSZ_
		.amdhsa_group_segment_fixed_size 0
		.amdhsa_private_segment_fixed_size 0
		.amdhsa_kernarg_size 144
		.amdhsa_user_sgpr_count 2
		.amdhsa_user_sgpr_dispatch_ptr 0
		.amdhsa_user_sgpr_queue_ptr 0
		.amdhsa_user_sgpr_kernarg_segment_ptr 1
		.amdhsa_user_sgpr_dispatch_id 0
		.amdhsa_user_sgpr_kernarg_preload_length 0
		.amdhsa_user_sgpr_kernarg_preload_offset 0
		.amdhsa_user_sgpr_private_segment_size 0
		.amdhsa_wavefront_size32 1
		.amdhsa_uses_dynamic_stack 0
		.amdhsa_enable_private_segment 0
		.amdhsa_system_sgpr_workgroup_id_x 1
		.amdhsa_system_sgpr_workgroup_id_y 0
		.amdhsa_system_sgpr_workgroup_id_z 0
		.amdhsa_system_sgpr_workgroup_info 0
		.amdhsa_system_vgpr_workitem_id 0
		.amdhsa_next_free_vgpr 1
		.amdhsa_next_free_sgpr 1
		.amdhsa_named_barrier_count 0
		.amdhsa_reserve_vcc 0
		.amdhsa_float_round_mode_32 0
		.amdhsa_float_round_mode_16_64 0
		.amdhsa_float_denorm_mode_32 3
		.amdhsa_float_denorm_mode_16_64 3
		.amdhsa_fp16_overflow 0
		.amdhsa_memory_ordered 1
		.amdhsa_forward_progress 1
		.amdhsa_inst_pref_size 0
		.amdhsa_round_robin_scheduling 0
		.amdhsa_exception_fp_ieee_invalid_op 0
		.amdhsa_exception_fp_denorm_src 0
		.amdhsa_exception_fp_ieee_div_zero 0
		.amdhsa_exception_fp_ieee_overflow 0
		.amdhsa_exception_fp_ieee_underflow 0
		.amdhsa_exception_fp_ieee_inexact 0
		.amdhsa_exception_int_div_zero 0
	.end_amdhsa_kernel
	.section	.text._ZN7rocprim17ROCPRIM_400000_NS6detail17trampoline_kernelINS0_13select_configILj256ELj13ELNS0_17block_load_methodE3ELS4_3ELS4_3ELNS0_20block_scan_algorithmE0ELj4294967295EEENS1_25partition_config_selectorILNS1_17partition_subalgoE3EjNS0_10empty_typeEbEEZZNS1_14partition_implILS8_3ELb0ES6_jNS0_17counting_iteratorIjlEEPS9_SE_NS0_5tupleIJPjSE_EEENSF_IJSE_SE_EEES9_SG_JZNS1_25segmented_radix_sort_implINS0_14default_configELb0EPK12hip_bfloat16PSL_PKlPlN2at6native12_GLOBAL__N_18offset_tEEE10hipError_tPvRmT1_PNSt15iterator_traitsISZ_E10value_typeET2_T3_PNS10_IS15_E10value_typeET4_jRbjT5_S1B_jjP12ihipStream_tbEUljE_EEESW_SX_SY_S15_S19_S1B_T6_T7_T9_mT8_S1D_bDpT10_ENKUlT_T0_E_clISt17integral_constantIbLb1EES1P_IbLb0EEEEDaS1L_S1M_EUlS1L_E_NS1_11comp_targetILNS1_3genE5ELNS1_11target_archE942ELNS1_3gpuE9ELNS1_3repE0EEENS1_30default_config_static_selectorELNS0_4arch9wavefront6targetE0EEEvSZ_,"axG",@progbits,_ZN7rocprim17ROCPRIM_400000_NS6detail17trampoline_kernelINS0_13select_configILj256ELj13ELNS0_17block_load_methodE3ELS4_3ELS4_3ELNS0_20block_scan_algorithmE0ELj4294967295EEENS1_25partition_config_selectorILNS1_17partition_subalgoE3EjNS0_10empty_typeEbEEZZNS1_14partition_implILS8_3ELb0ES6_jNS0_17counting_iteratorIjlEEPS9_SE_NS0_5tupleIJPjSE_EEENSF_IJSE_SE_EEES9_SG_JZNS1_25segmented_radix_sort_implINS0_14default_configELb0EPK12hip_bfloat16PSL_PKlPlN2at6native12_GLOBAL__N_18offset_tEEE10hipError_tPvRmT1_PNSt15iterator_traitsISZ_E10value_typeET2_T3_PNS10_IS15_E10value_typeET4_jRbjT5_S1B_jjP12ihipStream_tbEUljE_EEESW_SX_SY_S15_S19_S1B_T6_T7_T9_mT8_S1D_bDpT10_ENKUlT_T0_E_clISt17integral_constantIbLb1EES1P_IbLb0EEEEDaS1L_S1M_EUlS1L_E_NS1_11comp_targetILNS1_3genE5ELNS1_11target_archE942ELNS1_3gpuE9ELNS1_3repE0EEENS1_30default_config_static_selectorELNS0_4arch9wavefront6targetE0EEEvSZ_,comdat
.Lfunc_end2024:
	.size	_ZN7rocprim17ROCPRIM_400000_NS6detail17trampoline_kernelINS0_13select_configILj256ELj13ELNS0_17block_load_methodE3ELS4_3ELS4_3ELNS0_20block_scan_algorithmE0ELj4294967295EEENS1_25partition_config_selectorILNS1_17partition_subalgoE3EjNS0_10empty_typeEbEEZZNS1_14partition_implILS8_3ELb0ES6_jNS0_17counting_iteratorIjlEEPS9_SE_NS0_5tupleIJPjSE_EEENSF_IJSE_SE_EEES9_SG_JZNS1_25segmented_radix_sort_implINS0_14default_configELb0EPK12hip_bfloat16PSL_PKlPlN2at6native12_GLOBAL__N_18offset_tEEE10hipError_tPvRmT1_PNSt15iterator_traitsISZ_E10value_typeET2_T3_PNS10_IS15_E10value_typeET4_jRbjT5_S1B_jjP12ihipStream_tbEUljE_EEESW_SX_SY_S15_S19_S1B_T6_T7_T9_mT8_S1D_bDpT10_ENKUlT_T0_E_clISt17integral_constantIbLb1EES1P_IbLb0EEEEDaS1L_S1M_EUlS1L_E_NS1_11comp_targetILNS1_3genE5ELNS1_11target_archE942ELNS1_3gpuE9ELNS1_3repE0EEENS1_30default_config_static_selectorELNS0_4arch9wavefront6targetE0EEEvSZ_, .Lfunc_end2024-_ZN7rocprim17ROCPRIM_400000_NS6detail17trampoline_kernelINS0_13select_configILj256ELj13ELNS0_17block_load_methodE3ELS4_3ELS4_3ELNS0_20block_scan_algorithmE0ELj4294967295EEENS1_25partition_config_selectorILNS1_17partition_subalgoE3EjNS0_10empty_typeEbEEZZNS1_14partition_implILS8_3ELb0ES6_jNS0_17counting_iteratorIjlEEPS9_SE_NS0_5tupleIJPjSE_EEENSF_IJSE_SE_EEES9_SG_JZNS1_25segmented_radix_sort_implINS0_14default_configELb0EPK12hip_bfloat16PSL_PKlPlN2at6native12_GLOBAL__N_18offset_tEEE10hipError_tPvRmT1_PNSt15iterator_traitsISZ_E10value_typeET2_T3_PNS10_IS15_E10value_typeET4_jRbjT5_S1B_jjP12ihipStream_tbEUljE_EEESW_SX_SY_S15_S19_S1B_T6_T7_T9_mT8_S1D_bDpT10_ENKUlT_T0_E_clISt17integral_constantIbLb1EES1P_IbLb0EEEEDaS1L_S1M_EUlS1L_E_NS1_11comp_targetILNS1_3genE5ELNS1_11target_archE942ELNS1_3gpuE9ELNS1_3repE0EEENS1_30default_config_static_selectorELNS0_4arch9wavefront6targetE0EEEvSZ_
                                        ; -- End function
	.set _ZN7rocprim17ROCPRIM_400000_NS6detail17trampoline_kernelINS0_13select_configILj256ELj13ELNS0_17block_load_methodE3ELS4_3ELS4_3ELNS0_20block_scan_algorithmE0ELj4294967295EEENS1_25partition_config_selectorILNS1_17partition_subalgoE3EjNS0_10empty_typeEbEEZZNS1_14partition_implILS8_3ELb0ES6_jNS0_17counting_iteratorIjlEEPS9_SE_NS0_5tupleIJPjSE_EEENSF_IJSE_SE_EEES9_SG_JZNS1_25segmented_radix_sort_implINS0_14default_configELb0EPK12hip_bfloat16PSL_PKlPlN2at6native12_GLOBAL__N_18offset_tEEE10hipError_tPvRmT1_PNSt15iterator_traitsISZ_E10value_typeET2_T3_PNS10_IS15_E10value_typeET4_jRbjT5_S1B_jjP12ihipStream_tbEUljE_EEESW_SX_SY_S15_S19_S1B_T6_T7_T9_mT8_S1D_bDpT10_ENKUlT_T0_E_clISt17integral_constantIbLb1EES1P_IbLb0EEEEDaS1L_S1M_EUlS1L_E_NS1_11comp_targetILNS1_3genE5ELNS1_11target_archE942ELNS1_3gpuE9ELNS1_3repE0EEENS1_30default_config_static_selectorELNS0_4arch9wavefront6targetE0EEEvSZ_.num_vgpr, 0
	.set _ZN7rocprim17ROCPRIM_400000_NS6detail17trampoline_kernelINS0_13select_configILj256ELj13ELNS0_17block_load_methodE3ELS4_3ELS4_3ELNS0_20block_scan_algorithmE0ELj4294967295EEENS1_25partition_config_selectorILNS1_17partition_subalgoE3EjNS0_10empty_typeEbEEZZNS1_14partition_implILS8_3ELb0ES6_jNS0_17counting_iteratorIjlEEPS9_SE_NS0_5tupleIJPjSE_EEENSF_IJSE_SE_EEES9_SG_JZNS1_25segmented_radix_sort_implINS0_14default_configELb0EPK12hip_bfloat16PSL_PKlPlN2at6native12_GLOBAL__N_18offset_tEEE10hipError_tPvRmT1_PNSt15iterator_traitsISZ_E10value_typeET2_T3_PNS10_IS15_E10value_typeET4_jRbjT5_S1B_jjP12ihipStream_tbEUljE_EEESW_SX_SY_S15_S19_S1B_T6_T7_T9_mT8_S1D_bDpT10_ENKUlT_T0_E_clISt17integral_constantIbLb1EES1P_IbLb0EEEEDaS1L_S1M_EUlS1L_E_NS1_11comp_targetILNS1_3genE5ELNS1_11target_archE942ELNS1_3gpuE9ELNS1_3repE0EEENS1_30default_config_static_selectorELNS0_4arch9wavefront6targetE0EEEvSZ_.num_agpr, 0
	.set _ZN7rocprim17ROCPRIM_400000_NS6detail17trampoline_kernelINS0_13select_configILj256ELj13ELNS0_17block_load_methodE3ELS4_3ELS4_3ELNS0_20block_scan_algorithmE0ELj4294967295EEENS1_25partition_config_selectorILNS1_17partition_subalgoE3EjNS0_10empty_typeEbEEZZNS1_14partition_implILS8_3ELb0ES6_jNS0_17counting_iteratorIjlEEPS9_SE_NS0_5tupleIJPjSE_EEENSF_IJSE_SE_EEES9_SG_JZNS1_25segmented_radix_sort_implINS0_14default_configELb0EPK12hip_bfloat16PSL_PKlPlN2at6native12_GLOBAL__N_18offset_tEEE10hipError_tPvRmT1_PNSt15iterator_traitsISZ_E10value_typeET2_T3_PNS10_IS15_E10value_typeET4_jRbjT5_S1B_jjP12ihipStream_tbEUljE_EEESW_SX_SY_S15_S19_S1B_T6_T7_T9_mT8_S1D_bDpT10_ENKUlT_T0_E_clISt17integral_constantIbLb1EES1P_IbLb0EEEEDaS1L_S1M_EUlS1L_E_NS1_11comp_targetILNS1_3genE5ELNS1_11target_archE942ELNS1_3gpuE9ELNS1_3repE0EEENS1_30default_config_static_selectorELNS0_4arch9wavefront6targetE0EEEvSZ_.numbered_sgpr, 0
	.set _ZN7rocprim17ROCPRIM_400000_NS6detail17trampoline_kernelINS0_13select_configILj256ELj13ELNS0_17block_load_methodE3ELS4_3ELS4_3ELNS0_20block_scan_algorithmE0ELj4294967295EEENS1_25partition_config_selectorILNS1_17partition_subalgoE3EjNS0_10empty_typeEbEEZZNS1_14partition_implILS8_3ELb0ES6_jNS0_17counting_iteratorIjlEEPS9_SE_NS0_5tupleIJPjSE_EEENSF_IJSE_SE_EEES9_SG_JZNS1_25segmented_radix_sort_implINS0_14default_configELb0EPK12hip_bfloat16PSL_PKlPlN2at6native12_GLOBAL__N_18offset_tEEE10hipError_tPvRmT1_PNSt15iterator_traitsISZ_E10value_typeET2_T3_PNS10_IS15_E10value_typeET4_jRbjT5_S1B_jjP12ihipStream_tbEUljE_EEESW_SX_SY_S15_S19_S1B_T6_T7_T9_mT8_S1D_bDpT10_ENKUlT_T0_E_clISt17integral_constantIbLb1EES1P_IbLb0EEEEDaS1L_S1M_EUlS1L_E_NS1_11comp_targetILNS1_3genE5ELNS1_11target_archE942ELNS1_3gpuE9ELNS1_3repE0EEENS1_30default_config_static_selectorELNS0_4arch9wavefront6targetE0EEEvSZ_.num_named_barrier, 0
	.set _ZN7rocprim17ROCPRIM_400000_NS6detail17trampoline_kernelINS0_13select_configILj256ELj13ELNS0_17block_load_methodE3ELS4_3ELS4_3ELNS0_20block_scan_algorithmE0ELj4294967295EEENS1_25partition_config_selectorILNS1_17partition_subalgoE3EjNS0_10empty_typeEbEEZZNS1_14partition_implILS8_3ELb0ES6_jNS0_17counting_iteratorIjlEEPS9_SE_NS0_5tupleIJPjSE_EEENSF_IJSE_SE_EEES9_SG_JZNS1_25segmented_radix_sort_implINS0_14default_configELb0EPK12hip_bfloat16PSL_PKlPlN2at6native12_GLOBAL__N_18offset_tEEE10hipError_tPvRmT1_PNSt15iterator_traitsISZ_E10value_typeET2_T3_PNS10_IS15_E10value_typeET4_jRbjT5_S1B_jjP12ihipStream_tbEUljE_EEESW_SX_SY_S15_S19_S1B_T6_T7_T9_mT8_S1D_bDpT10_ENKUlT_T0_E_clISt17integral_constantIbLb1EES1P_IbLb0EEEEDaS1L_S1M_EUlS1L_E_NS1_11comp_targetILNS1_3genE5ELNS1_11target_archE942ELNS1_3gpuE9ELNS1_3repE0EEENS1_30default_config_static_selectorELNS0_4arch9wavefront6targetE0EEEvSZ_.private_seg_size, 0
	.set _ZN7rocprim17ROCPRIM_400000_NS6detail17trampoline_kernelINS0_13select_configILj256ELj13ELNS0_17block_load_methodE3ELS4_3ELS4_3ELNS0_20block_scan_algorithmE0ELj4294967295EEENS1_25partition_config_selectorILNS1_17partition_subalgoE3EjNS0_10empty_typeEbEEZZNS1_14partition_implILS8_3ELb0ES6_jNS0_17counting_iteratorIjlEEPS9_SE_NS0_5tupleIJPjSE_EEENSF_IJSE_SE_EEES9_SG_JZNS1_25segmented_radix_sort_implINS0_14default_configELb0EPK12hip_bfloat16PSL_PKlPlN2at6native12_GLOBAL__N_18offset_tEEE10hipError_tPvRmT1_PNSt15iterator_traitsISZ_E10value_typeET2_T3_PNS10_IS15_E10value_typeET4_jRbjT5_S1B_jjP12ihipStream_tbEUljE_EEESW_SX_SY_S15_S19_S1B_T6_T7_T9_mT8_S1D_bDpT10_ENKUlT_T0_E_clISt17integral_constantIbLb1EES1P_IbLb0EEEEDaS1L_S1M_EUlS1L_E_NS1_11comp_targetILNS1_3genE5ELNS1_11target_archE942ELNS1_3gpuE9ELNS1_3repE0EEENS1_30default_config_static_selectorELNS0_4arch9wavefront6targetE0EEEvSZ_.uses_vcc, 0
	.set _ZN7rocprim17ROCPRIM_400000_NS6detail17trampoline_kernelINS0_13select_configILj256ELj13ELNS0_17block_load_methodE3ELS4_3ELS4_3ELNS0_20block_scan_algorithmE0ELj4294967295EEENS1_25partition_config_selectorILNS1_17partition_subalgoE3EjNS0_10empty_typeEbEEZZNS1_14partition_implILS8_3ELb0ES6_jNS0_17counting_iteratorIjlEEPS9_SE_NS0_5tupleIJPjSE_EEENSF_IJSE_SE_EEES9_SG_JZNS1_25segmented_radix_sort_implINS0_14default_configELb0EPK12hip_bfloat16PSL_PKlPlN2at6native12_GLOBAL__N_18offset_tEEE10hipError_tPvRmT1_PNSt15iterator_traitsISZ_E10value_typeET2_T3_PNS10_IS15_E10value_typeET4_jRbjT5_S1B_jjP12ihipStream_tbEUljE_EEESW_SX_SY_S15_S19_S1B_T6_T7_T9_mT8_S1D_bDpT10_ENKUlT_T0_E_clISt17integral_constantIbLb1EES1P_IbLb0EEEEDaS1L_S1M_EUlS1L_E_NS1_11comp_targetILNS1_3genE5ELNS1_11target_archE942ELNS1_3gpuE9ELNS1_3repE0EEENS1_30default_config_static_selectorELNS0_4arch9wavefront6targetE0EEEvSZ_.uses_flat_scratch, 0
	.set _ZN7rocprim17ROCPRIM_400000_NS6detail17trampoline_kernelINS0_13select_configILj256ELj13ELNS0_17block_load_methodE3ELS4_3ELS4_3ELNS0_20block_scan_algorithmE0ELj4294967295EEENS1_25partition_config_selectorILNS1_17partition_subalgoE3EjNS0_10empty_typeEbEEZZNS1_14partition_implILS8_3ELb0ES6_jNS0_17counting_iteratorIjlEEPS9_SE_NS0_5tupleIJPjSE_EEENSF_IJSE_SE_EEES9_SG_JZNS1_25segmented_radix_sort_implINS0_14default_configELb0EPK12hip_bfloat16PSL_PKlPlN2at6native12_GLOBAL__N_18offset_tEEE10hipError_tPvRmT1_PNSt15iterator_traitsISZ_E10value_typeET2_T3_PNS10_IS15_E10value_typeET4_jRbjT5_S1B_jjP12ihipStream_tbEUljE_EEESW_SX_SY_S15_S19_S1B_T6_T7_T9_mT8_S1D_bDpT10_ENKUlT_T0_E_clISt17integral_constantIbLb1EES1P_IbLb0EEEEDaS1L_S1M_EUlS1L_E_NS1_11comp_targetILNS1_3genE5ELNS1_11target_archE942ELNS1_3gpuE9ELNS1_3repE0EEENS1_30default_config_static_selectorELNS0_4arch9wavefront6targetE0EEEvSZ_.has_dyn_sized_stack, 0
	.set _ZN7rocprim17ROCPRIM_400000_NS6detail17trampoline_kernelINS0_13select_configILj256ELj13ELNS0_17block_load_methodE3ELS4_3ELS4_3ELNS0_20block_scan_algorithmE0ELj4294967295EEENS1_25partition_config_selectorILNS1_17partition_subalgoE3EjNS0_10empty_typeEbEEZZNS1_14partition_implILS8_3ELb0ES6_jNS0_17counting_iteratorIjlEEPS9_SE_NS0_5tupleIJPjSE_EEENSF_IJSE_SE_EEES9_SG_JZNS1_25segmented_radix_sort_implINS0_14default_configELb0EPK12hip_bfloat16PSL_PKlPlN2at6native12_GLOBAL__N_18offset_tEEE10hipError_tPvRmT1_PNSt15iterator_traitsISZ_E10value_typeET2_T3_PNS10_IS15_E10value_typeET4_jRbjT5_S1B_jjP12ihipStream_tbEUljE_EEESW_SX_SY_S15_S19_S1B_T6_T7_T9_mT8_S1D_bDpT10_ENKUlT_T0_E_clISt17integral_constantIbLb1EES1P_IbLb0EEEEDaS1L_S1M_EUlS1L_E_NS1_11comp_targetILNS1_3genE5ELNS1_11target_archE942ELNS1_3gpuE9ELNS1_3repE0EEENS1_30default_config_static_selectorELNS0_4arch9wavefront6targetE0EEEvSZ_.has_recursion, 0
	.set _ZN7rocprim17ROCPRIM_400000_NS6detail17trampoline_kernelINS0_13select_configILj256ELj13ELNS0_17block_load_methodE3ELS4_3ELS4_3ELNS0_20block_scan_algorithmE0ELj4294967295EEENS1_25partition_config_selectorILNS1_17partition_subalgoE3EjNS0_10empty_typeEbEEZZNS1_14partition_implILS8_3ELb0ES6_jNS0_17counting_iteratorIjlEEPS9_SE_NS0_5tupleIJPjSE_EEENSF_IJSE_SE_EEES9_SG_JZNS1_25segmented_radix_sort_implINS0_14default_configELb0EPK12hip_bfloat16PSL_PKlPlN2at6native12_GLOBAL__N_18offset_tEEE10hipError_tPvRmT1_PNSt15iterator_traitsISZ_E10value_typeET2_T3_PNS10_IS15_E10value_typeET4_jRbjT5_S1B_jjP12ihipStream_tbEUljE_EEESW_SX_SY_S15_S19_S1B_T6_T7_T9_mT8_S1D_bDpT10_ENKUlT_T0_E_clISt17integral_constantIbLb1EES1P_IbLb0EEEEDaS1L_S1M_EUlS1L_E_NS1_11comp_targetILNS1_3genE5ELNS1_11target_archE942ELNS1_3gpuE9ELNS1_3repE0EEENS1_30default_config_static_selectorELNS0_4arch9wavefront6targetE0EEEvSZ_.has_indirect_call, 0
	.section	.AMDGPU.csdata,"",@progbits
; Kernel info:
; codeLenInByte = 0
; TotalNumSgprs: 0
; NumVgprs: 0
; ScratchSize: 0
; MemoryBound: 0
; FloatMode: 240
; IeeeMode: 1
; LDSByteSize: 0 bytes/workgroup (compile time only)
; SGPRBlocks: 0
; VGPRBlocks: 0
; NumSGPRsForWavesPerEU: 1
; NumVGPRsForWavesPerEU: 1
; NamedBarCnt: 0
; Occupancy: 16
; WaveLimiterHint : 0
; COMPUTE_PGM_RSRC2:SCRATCH_EN: 0
; COMPUTE_PGM_RSRC2:USER_SGPR: 2
; COMPUTE_PGM_RSRC2:TRAP_HANDLER: 0
; COMPUTE_PGM_RSRC2:TGID_X_EN: 1
; COMPUTE_PGM_RSRC2:TGID_Y_EN: 0
; COMPUTE_PGM_RSRC2:TGID_Z_EN: 0
; COMPUTE_PGM_RSRC2:TIDIG_COMP_CNT: 0
	.section	.text._ZN7rocprim17ROCPRIM_400000_NS6detail17trampoline_kernelINS0_13select_configILj256ELj13ELNS0_17block_load_methodE3ELS4_3ELS4_3ELNS0_20block_scan_algorithmE0ELj4294967295EEENS1_25partition_config_selectorILNS1_17partition_subalgoE3EjNS0_10empty_typeEbEEZZNS1_14partition_implILS8_3ELb0ES6_jNS0_17counting_iteratorIjlEEPS9_SE_NS0_5tupleIJPjSE_EEENSF_IJSE_SE_EEES9_SG_JZNS1_25segmented_radix_sort_implINS0_14default_configELb0EPK12hip_bfloat16PSL_PKlPlN2at6native12_GLOBAL__N_18offset_tEEE10hipError_tPvRmT1_PNSt15iterator_traitsISZ_E10value_typeET2_T3_PNS10_IS15_E10value_typeET4_jRbjT5_S1B_jjP12ihipStream_tbEUljE_EEESW_SX_SY_S15_S19_S1B_T6_T7_T9_mT8_S1D_bDpT10_ENKUlT_T0_E_clISt17integral_constantIbLb1EES1P_IbLb0EEEEDaS1L_S1M_EUlS1L_E_NS1_11comp_targetILNS1_3genE4ELNS1_11target_archE910ELNS1_3gpuE8ELNS1_3repE0EEENS1_30default_config_static_selectorELNS0_4arch9wavefront6targetE0EEEvSZ_,"axG",@progbits,_ZN7rocprim17ROCPRIM_400000_NS6detail17trampoline_kernelINS0_13select_configILj256ELj13ELNS0_17block_load_methodE3ELS4_3ELS4_3ELNS0_20block_scan_algorithmE0ELj4294967295EEENS1_25partition_config_selectorILNS1_17partition_subalgoE3EjNS0_10empty_typeEbEEZZNS1_14partition_implILS8_3ELb0ES6_jNS0_17counting_iteratorIjlEEPS9_SE_NS0_5tupleIJPjSE_EEENSF_IJSE_SE_EEES9_SG_JZNS1_25segmented_radix_sort_implINS0_14default_configELb0EPK12hip_bfloat16PSL_PKlPlN2at6native12_GLOBAL__N_18offset_tEEE10hipError_tPvRmT1_PNSt15iterator_traitsISZ_E10value_typeET2_T3_PNS10_IS15_E10value_typeET4_jRbjT5_S1B_jjP12ihipStream_tbEUljE_EEESW_SX_SY_S15_S19_S1B_T6_T7_T9_mT8_S1D_bDpT10_ENKUlT_T0_E_clISt17integral_constantIbLb1EES1P_IbLb0EEEEDaS1L_S1M_EUlS1L_E_NS1_11comp_targetILNS1_3genE4ELNS1_11target_archE910ELNS1_3gpuE8ELNS1_3repE0EEENS1_30default_config_static_selectorELNS0_4arch9wavefront6targetE0EEEvSZ_,comdat
	.globl	_ZN7rocprim17ROCPRIM_400000_NS6detail17trampoline_kernelINS0_13select_configILj256ELj13ELNS0_17block_load_methodE3ELS4_3ELS4_3ELNS0_20block_scan_algorithmE0ELj4294967295EEENS1_25partition_config_selectorILNS1_17partition_subalgoE3EjNS0_10empty_typeEbEEZZNS1_14partition_implILS8_3ELb0ES6_jNS0_17counting_iteratorIjlEEPS9_SE_NS0_5tupleIJPjSE_EEENSF_IJSE_SE_EEES9_SG_JZNS1_25segmented_radix_sort_implINS0_14default_configELb0EPK12hip_bfloat16PSL_PKlPlN2at6native12_GLOBAL__N_18offset_tEEE10hipError_tPvRmT1_PNSt15iterator_traitsISZ_E10value_typeET2_T3_PNS10_IS15_E10value_typeET4_jRbjT5_S1B_jjP12ihipStream_tbEUljE_EEESW_SX_SY_S15_S19_S1B_T6_T7_T9_mT8_S1D_bDpT10_ENKUlT_T0_E_clISt17integral_constantIbLb1EES1P_IbLb0EEEEDaS1L_S1M_EUlS1L_E_NS1_11comp_targetILNS1_3genE4ELNS1_11target_archE910ELNS1_3gpuE8ELNS1_3repE0EEENS1_30default_config_static_selectorELNS0_4arch9wavefront6targetE0EEEvSZ_ ; -- Begin function _ZN7rocprim17ROCPRIM_400000_NS6detail17trampoline_kernelINS0_13select_configILj256ELj13ELNS0_17block_load_methodE3ELS4_3ELS4_3ELNS0_20block_scan_algorithmE0ELj4294967295EEENS1_25partition_config_selectorILNS1_17partition_subalgoE3EjNS0_10empty_typeEbEEZZNS1_14partition_implILS8_3ELb0ES6_jNS0_17counting_iteratorIjlEEPS9_SE_NS0_5tupleIJPjSE_EEENSF_IJSE_SE_EEES9_SG_JZNS1_25segmented_radix_sort_implINS0_14default_configELb0EPK12hip_bfloat16PSL_PKlPlN2at6native12_GLOBAL__N_18offset_tEEE10hipError_tPvRmT1_PNSt15iterator_traitsISZ_E10value_typeET2_T3_PNS10_IS15_E10value_typeET4_jRbjT5_S1B_jjP12ihipStream_tbEUljE_EEESW_SX_SY_S15_S19_S1B_T6_T7_T9_mT8_S1D_bDpT10_ENKUlT_T0_E_clISt17integral_constantIbLb1EES1P_IbLb0EEEEDaS1L_S1M_EUlS1L_E_NS1_11comp_targetILNS1_3genE4ELNS1_11target_archE910ELNS1_3gpuE8ELNS1_3repE0EEENS1_30default_config_static_selectorELNS0_4arch9wavefront6targetE0EEEvSZ_
	.p2align	8
	.type	_ZN7rocprim17ROCPRIM_400000_NS6detail17trampoline_kernelINS0_13select_configILj256ELj13ELNS0_17block_load_methodE3ELS4_3ELS4_3ELNS0_20block_scan_algorithmE0ELj4294967295EEENS1_25partition_config_selectorILNS1_17partition_subalgoE3EjNS0_10empty_typeEbEEZZNS1_14partition_implILS8_3ELb0ES6_jNS0_17counting_iteratorIjlEEPS9_SE_NS0_5tupleIJPjSE_EEENSF_IJSE_SE_EEES9_SG_JZNS1_25segmented_radix_sort_implINS0_14default_configELb0EPK12hip_bfloat16PSL_PKlPlN2at6native12_GLOBAL__N_18offset_tEEE10hipError_tPvRmT1_PNSt15iterator_traitsISZ_E10value_typeET2_T3_PNS10_IS15_E10value_typeET4_jRbjT5_S1B_jjP12ihipStream_tbEUljE_EEESW_SX_SY_S15_S19_S1B_T6_T7_T9_mT8_S1D_bDpT10_ENKUlT_T0_E_clISt17integral_constantIbLb1EES1P_IbLb0EEEEDaS1L_S1M_EUlS1L_E_NS1_11comp_targetILNS1_3genE4ELNS1_11target_archE910ELNS1_3gpuE8ELNS1_3repE0EEENS1_30default_config_static_selectorELNS0_4arch9wavefront6targetE0EEEvSZ_,@function
_ZN7rocprim17ROCPRIM_400000_NS6detail17trampoline_kernelINS0_13select_configILj256ELj13ELNS0_17block_load_methodE3ELS4_3ELS4_3ELNS0_20block_scan_algorithmE0ELj4294967295EEENS1_25partition_config_selectorILNS1_17partition_subalgoE3EjNS0_10empty_typeEbEEZZNS1_14partition_implILS8_3ELb0ES6_jNS0_17counting_iteratorIjlEEPS9_SE_NS0_5tupleIJPjSE_EEENSF_IJSE_SE_EEES9_SG_JZNS1_25segmented_radix_sort_implINS0_14default_configELb0EPK12hip_bfloat16PSL_PKlPlN2at6native12_GLOBAL__N_18offset_tEEE10hipError_tPvRmT1_PNSt15iterator_traitsISZ_E10value_typeET2_T3_PNS10_IS15_E10value_typeET4_jRbjT5_S1B_jjP12ihipStream_tbEUljE_EEESW_SX_SY_S15_S19_S1B_T6_T7_T9_mT8_S1D_bDpT10_ENKUlT_T0_E_clISt17integral_constantIbLb1EES1P_IbLb0EEEEDaS1L_S1M_EUlS1L_E_NS1_11comp_targetILNS1_3genE4ELNS1_11target_archE910ELNS1_3gpuE8ELNS1_3repE0EEENS1_30default_config_static_selectorELNS0_4arch9wavefront6targetE0EEEvSZ_: ; @_ZN7rocprim17ROCPRIM_400000_NS6detail17trampoline_kernelINS0_13select_configILj256ELj13ELNS0_17block_load_methodE3ELS4_3ELS4_3ELNS0_20block_scan_algorithmE0ELj4294967295EEENS1_25partition_config_selectorILNS1_17partition_subalgoE3EjNS0_10empty_typeEbEEZZNS1_14partition_implILS8_3ELb0ES6_jNS0_17counting_iteratorIjlEEPS9_SE_NS0_5tupleIJPjSE_EEENSF_IJSE_SE_EEES9_SG_JZNS1_25segmented_radix_sort_implINS0_14default_configELb0EPK12hip_bfloat16PSL_PKlPlN2at6native12_GLOBAL__N_18offset_tEEE10hipError_tPvRmT1_PNSt15iterator_traitsISZ_E10value_typeET2_T3_PNS10_IS15_E10value_typeET4_jRbjT5_S1B_jjP12ihipStream_tbEUljE_EEESW_SX_SY_S15_S19_S1B_T6_T7_T9_mT8_S1D_bDpT10_ENKUlT_T0_E_clISt17integral_constantIbLb1EES1P_IbLb0EEEEDaS1L_S1M_EUlS1L_E_NS1_11comp_targetILNS1_3genE4ELNS1_11target_archE910ELNS1_3gpuE8ELNS1_3repE0EEENS1_30default_config_static_selectorELNS0_4arch9wavefront6targetE0EEEvSZ_
; %bb.0:
	.section	.rodata,"a",@progbits
	.p2align	6, 0x0
	.amdhsa_kernel _ZN7rocprim17ROCPRIM_400000_NS6detail17trampoline_kernelINS0_13select_configILj256ELj13ELNS0_17block_load_methodE3ELS4_3ELS4_3ELNS0_20block_scan_algorithmE0ELj4294967295EEENS1_25partition_config_selectorILNS1_17partition_subalgoE3EjNS0_10empty_typeEbEEZZNS1_14partition_implILS8_3ELb0ES6_jNS0_17counting_iteratorIjlEEPS9_SE_NS0_5tupleIJPjSE_EEENSF_IJSE_SE_EEES9_SG_JZNS1_25segmented_radix_sort_implINS0_14default_configELb0EPK12hip_bfloat16PSL_PKlPlN2at6native12_GLOBAL__N_18offset_tEEE10hipError_tPvRmT1_PNSt15iterator_traitsISZ_E10value_typeET2_T3_PNS10_IS15_E10value_typeET4_jRbjT5_S1B_jjP12ihipStream_tbEUljE_EEESW_SX_SY_S15_S19_S1B_T6_T7_T9_mT8_S1D_bDpT10_ENKUlT_T0_E_clISt17integral_constantIbLb1EES1P_IbLb0EEEEDaS1L_S1M_EUlS1L_E_NS1_11comp_targetILNS1_3genE4ELNS1_11target_archE910ELNS1_3gpuE8ELNS1_3repE0EEENS1_30default_config_static_selectorELNS0_4arch9wavefront6targetE0EEEvSZ_
		.amdhsa_group_segment_fixed_size 0
		.amdhsa_private_segment_fixed_size 0
		.amdhsa_kernarg_size 144
		.amdhsa_user_sgpr_count 2
		.amdhsa_user_sgpr_dispatch_ptr 0
		.amdhsa_user_sgpr_queue_ptr 0
		.amdhsa_user_sgpr_kernarg_segment_ptr 1
		.amdhsa_user_sgpr_dispatch_id 0
		.amdhsa_user_sgpr_kernarg_preload_length 0
		.amdhsa_user_sgpr_kernarg_preload_offset 0
		.amdhsa_user_sgpr_private_segment_size 0
		.amdhsa_wavefront_size32 1
		.amdhsa_uses_dynamic_stack 0
		.amdhsa_enable_private_segment 0
		.amdhsa_system_sgpr_workgroup_id_x 1
		.amdhsa_system_sgpr_workgroup_id_y 0
		.amdhsa_system_sgpr_workgroup_id_z 0
		.amdhsa_system_sgpr_workgroup_info 0
		.amdhsa_system_vgpr_workitem_id 0
		.amdhsa_next_free_vgpr 1
		.amdhsa_next_free_sgpr 1
		.amdhsa_named_barrier_count 0
		.amdhsa_reserve_vcc 0
		.amdhsa_float_round_mode_32 0
		.amdhsa_float_round_mode_16_64 0
		.amdhsa_float_denorm_mode_32 3
		.amdhsa_float_denorm_mode_16_64 3
		.amdhsa_fp16_overflow 0
		.amdhsa_memory_ordered 1
		.amdhsa_forward_progress 1
		.amdhsa_inst_pref_size 0
		.amdhsa_round_robin_scheduling 0
		.amdhsa_exception_fp_ieee_invalid_op 0
		.amdhsa_exception_fp_denorm_src 0
		.amdhsa_exception_fp_ieee_div_zero 0
		.amdhsa_exception_fp_ieee_overflow 0
		.amdhsa_exception_fp_ieee_underflow 0
		.amdhsa_exception_fp_ieee_inexact 0
		.amdhsa_exception_int_div_zero 0
	.end_amdhsa_kernel
	.section	.text._ZN7rocprim17ROCPRIM_400000_NS6detail17trampoline_kernelINS0_13select_configILj256ELj13ELNS0_17block_load_methodE3ELS4_3ELS4_3ELNS0_20block_scan_algorithmE0ELj4294967295EEENS1_25partition_config_selectorILNS1_17partition_subalgoE3EjNS0_10empty_typeEbEEZZNS1_14partition_implILS8_3ELb0ES6_jNS0_17counting_iteratorIjlEEPS9_SE_NS0_5tupleIJPjSE_EEENSF_IJSE_SE_EEES9_SG_JZNS1_25segmented_radix_sort_implINS0_14default_configELb0EPK12hip_bfloat16PSL_PKlPlN2at6native12_GLOBAL__N_18offset_tEEE10hipError_tPvRmT1_PNSt15iterator_traitsISZ_E10value_typeET2_T3_PNS10_IS15_E10value_typeET4_jRbjT5_S1B_jjP12ihipStream_tbEUljE_EEESW_SX_SY_S15_S19_S1B_T6_T7_T9_mT8_S1D_bDpT10_ENKUlT_T0_E_clISt17integral_constantIbLb1EES1P_IbLb0EEEEDaS1L_S1M_EUlS1L_E_NS1_11comp_targetILNS1_3genE4ELNS1_11target_archE910ELNS1_3gpuE8ELNS1_3repE0EEENS1_30default_config_static_selectorELNS0_4arch9wavefront6targetE0EEEvSZ_,"axG",@progbits,_ZN7rocprim17ROCPRIM_400000_NS6detail17trampoline_kernelINS0_13select_configILj256ELj13ELNS0_17block_load_methodE3ELS4_3ELS4_3ELNS0_20block_scan_algorithmE0ELj4294967295EEENS1_25partition_config_selectorILNS1_17partition_subalgoE3EjNS0_10empty_typeEbEEZZNS1_14partition_implILS8_3ELb0ES6_jNS0_17counting_iteratorIjlEEPS9_SE_NS0_5tupleIJPjSE_EEENSF_IJSE_SE_EEES9_SG_JZNS1_25segmented_radix_sort_implINS0_14default_configELb0EPK12hip_bfloat16PSL_PKlPlN2at6native12_GLOBAL__N_18offset_tEEE10hipError_tPvRmT1_PNSt15iterator_traitsISZ_E10value_typeET2_T3_PNS10_IS15_E10value_typeET4_jRbjT5_S1B_jjP12ihipStream_tbEUljE_EEESW_SX_SY_S15_S19_S1B_T6_T7_T9_mT8_S1D_bDpT10_ENKUlT_T0_E_clISt17integral_constantIbLb1EES1P_IbLb0EEEEDaS1L_S1M_EUlS1L_E_NS1_11comp_targetILNS1_3genE4ELNS1_11target_archE910ELNS1_3gpuE8ELNS1_3repE0EEENS1_30default_config_static_selectorELNS0_4arch9wavefront6targetE0EEEvSZ_,comdat
.Lfunc_end2025:
	.size	_ZN7rocprim17ROCPRIM_400000_NS6detail17trampoline_kernelINS0_13select_configILj256ELj13ELNS0_17block_load_methodE3ELS4_3ELS4_3ELNS0_20block_scan_algorithmE0ELj4294967295EEENS1_25partition_config_selectorILNS1_17partition_subalgoE3EjNS0_10empty_typeEbEEZZNS1_14partition_implILS8_3ELb0ES6_jNS0_17counting_iteratorIjlEEPS9_SE_NS0_5tupleIJPjSE_EEENSF_IJSE_SE_EEES9_SG_JZNS1_25segmented_radix_sort_implINS0_14default_configELb0EPK12hip_bfloat16PSL_PKlPlN2at6native12_GLOBAL__N_18offset_tEEE10hipError_tPvRmT1_PNSt15iterator_traitsISZ_E10value_typeET2_T3_PNS10_IS15_E10value_typeET4_jRbjT5_S1B_jjP12ihipStream_tbEUljE_EEESW_SX_SY_S15_S19_S1B_T6_T7_T9_mT8_S1D_bDpT10_ENKUlT_T0_E_clISt17integral_constantIbLb1EES1P_IbLb0EEEEDaS1L_S1M_EUlS1L_E_NS1_11comp_targetILNS1_3genE4ELNS1_11target_archE910ELNS1_3gpuE8ELNS1_3repE0EEENS1_30default_config_static_selectorELNS0_4arch9wavefront6targetE0EEEvSZ_, .Lfunc_end2025-_ZN7rocprim17ROCPRIM_400000_NS6detail17trampoline_kernelINS0_13select_configILj256ELj13ELNS0_17block_load_methodE3ELS4_3ELS4_3ELNS0_20block_scan_algorithmE0ELj4294967295EEENS1_25partition_config_selectorILNS1_17partition_subalgoE3EjNS0_10empty_typeEbEEZZNS1_14partition_implILS8_3ELb0ES6_jNS0_17counting_iteratorIjlEEPS9_SE_NS0_5tupleIJPjSE_EEENSF_IJSE_SE_EEES9_SG_JZNS1_25segmented_radix_sort_implINS0_14default_configELb0EPK12hip_bfloat16PSL_PKlPlN2at6native12_GLOBAL__N_18offset_tEEE10hipError_tPvRmT1_PNSt15iterator_traitsISZ_E10value_typeET2_T3_PNS10_IS15_E10value_typeET4_jRbjT5_S1B_jjP12ihipStream_tbEUljE_EEESW_SX_SY_S15_S19_S1B_T6_T7_T9_mT8_S1D_bDpT10_ENKUlT_T0_E_clISt17integral_constantIbLb1EES1P_IbLb0EEEEDaS1L_S1M_EUlS1L_E_NS1_11comp_targetILNS1_3genE4ELNS1_11target_archE910ELNS1_3gpuE8ELNS1_3repE0EEENS1_30default_config_static_selectorELNS0_4arch9wavefront6targetE0EEEvSZ_
                                        ; -- End function
	.set _ZN7rocprim17ROCPRIM_400000_NS6detail17trampoline_kernelINS0_13select_configILj256ELj13ELNS0_17block_load_methodE3ELS4_3ELS4_3ELNS0_20block_scan_algorithmE0ELj4294967295EEENS1_25partition_config_selectorILNS1_17partition_subalgoE3EjNS0_10empty_typeEbEEZZNS1_14partition_implILS8_3ELb0ES6_jNS0_17counting_iteratorIjlEEPS9_SE_NS0_5tupleIJPjSE_EEENSF_IJSE_SE_EEES9_SG_JZNS1_25segmented_radix_sort_implINS0_14default_configELb0EPK12hip_bfloat16PSL_PKlPlN2at6native12_GLOBAL__N_18offset_tEEE10hipError_tPvRmT1_PNSt15iterator_traitsISZ_E10value_typeET2_T3_PNS10_IS15_E10value_typeET4_jRbjT5_S1B_jjP12ihipStream_tbEUljE_EEESW_SX_SY_S15_S19_S1B_T6_T7_T9_mT8_S1D_bDpT10_ENKUlT_T0_E_clISt17integral_constantIbLb1EES1P_IbLb0EEEEDaS1L_S1M_EUlS1L_E_NS1_11comp_targetILNS1_3genE4ELNS1_11target_archE910ELNS1_3gpuE8ELNS1_3repE0EEENS1_30default_config_static_selectorELNS0_4arch9wavefront6targetE0EEEvSZ_.num_vgpr, 0
	.set _ZN7rocprim17ROCPRIM_400000_NS6detail17trampoline_kernelINS0_13select_configILj256ELj13ELNS0_17block_load_methodE3ELS4_3ELS4_3ELNS0_20block_scan_algorithmE0ELj4294967295EEENS1_25partition_config_selectorILNS1_17partition_subalgoE3EjNS0_10empty_typeEbEEZZNS1_14partition_implILS8_3ELb0ES6_jNS0_17counting_iteratorIjlEEPS9_SE_NS0_5tupleIJPjSE_EEENSF_IJSE_SE_EEES9_SG_JZNS1_25segmented_radix_sort_implINS0_14default_configELb0EPK12hip_bfloat16PSL_PKlPlN2at6native12_GLOBAL__N_18offset_tEEE10hipError_tPvRmT1_PNSt15iterator_traitsISZ_E10value_typeET2_T3_PNS10_IS15_E10value_typeET4_jRbjT5_S1B_jjP12ihipStream_tbEUljE_EEESW_SX_SY_S15_S19_S1B_T6_T7_T9_mT8_S1D_bDpT10_ENKUlT_T0_E_clISt17integral_constantIbLb1EES1P_IbLb0EEEEDaS1L_S1M_EUlS1L_E_NS1_11comp_targetILNS1_3genE4ELNS1_11target_archE910ELNS1_3gpuE8ELNS1_3repE0EEENS1_30default_config_static_selectorELNS0_4arch9wavefront6targetE0EEEvSZ_.num_agpr, 0
	.set _ZN7rocprim17ROCPRIM_400000_NS6detail17trampoline_kernelINS0_13select_configILj256ELj13ELNS0_17block_load_methodE3ELS4_3ELS4_3ELNS0_20block_scan_algorithmE0ELj4294967295EEENS1_25partition_config_selectorILNS1_17partition_subalgoE3EjNS0_10empty_typeEbEEZZNS1_14partition_implILS8_3ELb0ES6_jNS0_17counting_iteratorIjlEEPS9_SE_NS0_5tupleIJPjSE_EEENSF_IJSE_SE_EEES9_SG_JZNS1_25segmented_radix_sort_implINS0_14default_configELb0EPK12hip_bfloat16PSL_PKlPlN2at6native12_GLOBAL__N_18offset_tEEE10hipError_tPvRmT1_PNSt15iterator_traitsISZ_E10value_typeET2_T3_PNS10_IS15_E10value_typeET4_jRbjT5_S1B_jjP12ihipStream_tbEUljE_EEESW_SX_SY_S15_S19_S1B_T6_T7_T9_mT8_S1D_bDpT10_ENKUlT_T0_E_clISt17integral_constantIbLb1EES1P_IbLb0EEEEDaS1L_S1M_EUlS1L_E_NS1_11comp_targetILNS1_3genE4ELNS1_11target_archE910ELNS1_3gpuE8ELNS1_3repE0EEENS1_30default_config_static_selectorELNS0_4arch9wavefront6targetE0EEEvSZ_.numbered_sgpr, 0
	.set _ZN7rocprim17ROCPRIM_400000_NS6detail17trampoline_kernelINS0_13select_configILj256ELj13ELNS0_17block_load_methodE3ELS4_3ELS4_3ELNS0_20block_scan_algorithmE0ELj4294967295EEENS1_25partition_config_selectorILNS1_17partition_subalgoE3EjNS0_10empty_typeEbEEZZNS1_14partition_implILS8_3ELb0ES6_jNS0_17counting_iteratorIjlEEPS9_SE_NS0_5tupleIJPjSE_EEENSF_IJSE_SE_EEES9_SG_JZNS1_25segmented_radix_sort_implINS0_14default_configELb0EPK12hip_bfloat16PSL_PKlPlN2at6native12_GLOBAL__N_18offset_tEEE10hipError_tPvRmT1_PNSt15iterator_traitsISZ_E10value_typeET2_T3_PNS10_IS15_E10value_typeET4_jRbjT5_S1B_jjP12ihipStream_tbEUljE_EEESW_SX_SY_S15_S19_S1B_T6_T7_T9_mT8_S1D_bDpT10_ENKUlT_T0_E_clISt17integral_constantIbLb1EES1P_IbLb0EEEEDaS1L_S1M_EUlS1L_E_NS1_11comp_targetILNS1_3genE4ELNS1_11target_archE910ELNS1_3gpuE8ELNS1_3repE0EEENS1_30default_config_static_selectorELNS0_4arch9wavefront6targetE0EEEvSZ_.num_named_barrier, 0
	.set _ZN7rocprim17ROCPRIM_400000_NS6detail17trampoline_kernelINS0_13select_configILj256ELj13ELNS0_17block_load_methodE3ELS4_3ELS4_3ELNS0_20block_scan_algorithmE0ELj4294967295EEENS1_25partition_config_selectorILNS1_17partition_subalgoE3EjNS0_10empty_typeEbEEZZNS1_14partition_implILS8_3ELb0ES6_jNS0_17counting_iteratorIjlEEPS9_SE_NS0_5tupleIJPjSE_EEENSF_IJSE_SE_EEES9_SG_JZNS1_25segmented_radix_sort_implINS0_14default_configELb0EPK12hip_bfloat16PSL_PKlPlN2at6native12_GLOBAL__N_18offset_tEEE10hipError_tPvRmT1_PNSt15iterator_traitsISZ_E10value_typeET2_T3_PNS10_IS15_E10value_typeET4_jRbjT5_S1B_jjP12ihipStream_tbEUljE_EEESW_SX_SY_S15_S19_S1B_T6_T7_T9_mT8_S1D_bDpT10_ENKUlT_T0_E_clISt17integral_constantIbLb1EES1P_IbLb0EEEEDaS1L_S1M_EUlS1L_E_NS1_11comp_targetILNS1_3genE4ELNS1_11target_archE910ELNS1_3gpuE8ELNS1_3repE0EEENS1_30default_config_static_selectorELNS0_4arch9wavefront6targetE0EEEvSZ_.private_seg_size, 0
	.set _ZN7rocprim17ROCPRIM_400000_NS6detail17trampoline_kernelINS0_13select_configILj256ELj13ELNS0_17block_load_methodE3ELS4_3ELS4_3ELNS0_20block_scan_algorithmE0ELj4294967295EEENS1_25partition_config_selectorILNS1_17partition_subalgoE3EjNS0_10empty_typeEbEEZZNS1_14partition_implILS8_3ELb0ES6_jNS0_17counting_iteratorIjlEEPS9_SE_NS0_5tupleIJPjSE_EEENSF_IJSE_SE_EEES9_SG_JZNS1_25segmented_radix_sort_implINS0_14default_configELb0EPK12hip_bfloat16PSL_PKlPlN2at6native12_GLOBAL__N_18offset_tEEE10hipError_tPvRmT1_PNSt15iterator_traitsISZ_E10value_typeET2_T3_PNS10_IS15_E10value_typeET4_jRbjT5_S1B_jjP12ihipStream_tbEUljE_EEESW_SX_SY_S15_S19_S1B_T6_T7_T9_mT8_S1D_bDpT10_ENKUlT_T0_E_clISt17integral_constantIbLb1EES1P_IbLb0EEEEDaS1L_S1M_EUlS1L_E_NS1_11comp_targetILNS1_3genE4ELNS1_11target_archE910ELNS1_3gpuE8ELNS1_3repE0EEENS1_30default_config_static_selectorELNS0_4arch9wavefront6targetE0EEEvSZ_.uses_vcc, 0
	.set _ZN7rocprim17ROCPRIM_400000_NS6detail17trampoline_kernelINS0_13select_configILj256ELj13ELNS0_17block_load_methodE3ELS4_3ELS4_3ELNS0_20block_scan_algorithmE0ELj4294967295EEENS1_25partition_config_selectorILNS1_17partition_subalgoE3EjNS0_10empty_typeEbEEZZNS1_14partition_implILS8_3ELb0ES6_jNS0_17counting_iteratorIjlEEPS9_SE_NS0_5tupleIJPjSE_EEENSF_IJSE_SE_EEES9_SG_JZNS1_25segmented_radix_sort_implINS0_14default_configELb0EPK12hip_bfloat16PSL_PKlPlN2at6native12_GLOBAL__N_18offset_tEEE10hipError_tPvRmT1_PNSt15iterator_traitsISZ_E10value_typeET2_T3_PNS10_IS15_E10value_typeET4_jRbjT5_S1B_jjP12ihipStream_tbEUljE_EEESW_SX_SY_S15_S19_S1B_T6_T7_T9_mT8_S1D_bDpT10_ENKUlT_T0_E_clISt17integral_constantIbLb1EES1P_IbLb0EEEEDaS1L_S1M_EUlS1L_E_NS1_11comp_targetILNS1_3genE4ELNS1_11target_archE910ELNS1_3gpuE8ELNS1_3repE0EEENS1_30default_config_static_selectorELNS0_4arch9wavefront6targetE0EEEvSZ_.uses_flat_scratch, 0
	.set _ZN7rocprim17ROCPRIM_400000_NS6detail17trampoline_kernelINS0_13select_configILj256ELj13ELNS0_17block_load_methodE3ELS4_3ELS4_3ELNS0_20block_scan_algorithmE0ELj4294967295EEENS1_25partition_config_selectorILNS1_17partition_subalgoE3EjNS0_10empty_typeEbEEZZNS1_14partition_implILS8_3ELb0ES6_jNS0_17counting_iteratorIjlEEPS9_SE_NS0_5tupleIJPjSE_EEENSF_IJSE_SE_EEES9_SG_JZNS1_25segmented_radix_sort_implINS0_14default_configELb0EPK12hip_bfloat16PSL_PKlPlN2at6native12_GLOBAL__N_18offset_tEEE10hipError_tPvRmT1_PNSt15iterator_traitsISZ_E10value_typeET2_T3_PNS10_IS15_E10value_typeET4_jRbjT5_S1B_jjP12ihipStream_tbEUljE_EEESW_SX_SY_S15_S19_S1B_T6_T7_T9_mT8_S1D_bDpT10_ENKUlT_T0_E_clISt17integral_constantIbLb1EES1P_IbLb0EEEEDaS1L_S1M_EUlS1L_E_NS1_11comp_targetILNS1_3genE4ELNS1_11target_archE910ELNS1_3gpuE8ELNS1_3repE0EEENS1_30default_config_static_selectorELNS0_4arch9wavefront6targetE0EEEvSZ_.has_dyn_sized_stack, 0
	.set _ZN7rocprim17ROCPRIM_400000_NS6detail17trampoline_kernelINS0_13select_configILj256ELj13ELNS0_17block_load_methodE3ELS4_3ELS4_3ELNS0_20block_scan_algorithmE0ELj4294967295EEENS1_25partition_config_selectorILNS1_17partition_subalgoE3EjNS0_10empty_typeEbEEZZNS1_14partition_implILS8_3ELb0ES6_jNS0_17counting_iteratorIjlEEPS9_SE_NS0_5tupleIJPjSE_EEENSF_IJSE_SE_EEES9_SG_JZNS1_25segmented_radix_sort_implINS0_14default_configELb0EPK12hip_bfloat16PSL_PKlPlN2at6native12_GLOBAL__N_18offset_tEEE10hipError_tPvRmT1_PNSt15iterator_traitsISZ_E10value_typeET2_T3_PNS10_IS15_E10value_typeET4_jRbjT5_S1B_jjP12ihipStream_tbEUljE_EEESW_SX_SY_S15_S19_S1B_T6_T7_T9_mT8_S1D_bDpT10_ENKUlT_T0_E_clISt17integral_constantIbLb1EES1P_IbLb0EEEEDaS1L_S1M_EUlS1L_E_NS1_11comp_targetILNS1_3genE4ELNS1_11target_archE910ELNS1_3gpuE8ELNS1_3repE0EEENS1_30default_config_static_selectorELNS0_4arch9wavefront6targetE0EEEvSZ_.has_recursion, 0
	.set _ZN7rocprim17ROCPRIM_400000_NS6detail17trampoline_kernelINS0_13select_configILj256ELj13ELNS0_17block_load_methodE3ELS4_3ELS4_3ELNS0_20block_scan_algorithmE0ELj4294967295EEENS1_25partition_config_selectorILNS1_17partition_subalgoE3EjNS0_10empty_typeEbEEZZNS1_14partition_implILS8_3ELb0ES6_jNS0_17counting_iteratorIjlEEPS9_SE_NS0_5tupleIJPjSE_EEENSF_IJSE_SE_EEES9_SG_JZNS1_25segmented_radix_sort_implINS0_14default_configELb0EPK12hip_bfloat16PSL_PKlPlN2at6native12_GLOBAL__N_18offset_tEEE10hipError_tPvRmT1_PNSt15iterator_traitsISZ_E10value_typeET2_T3_PNS10_IS15_E10value_typeET4_jRbjT5_S1B_jjP12ihipStream_tbEUljE_EEESW_SX_SY_S15_S19_S1B_T6_T7_T9_mT8_S1D_bDpT10_ENKUlT_T0_E_clISt17integral_constantIbLb1EES1P_IbLb0EEEEDaS1L_S1M_EUlS1L_E_NS1_11comp_targetILNS1_3genE4ELNS1_11target_archE910ELNS1_3gpuE8ELNS1_3repE0EEENS1_30default_config_static_selectorELNS0_4arch9wavefront6targetE0EEEvSZ_.has_indirect_call, 0
	.section	.AMDGPU.csdata,"",@progbits
; Kernel info:
; codeLenInByte = 0
; TotalNumSgprs: 0
; NumVgprs: 0
; ScratchSize: 0
; MemoryBound: 0
; FloatMode: 240
; IeeeMode: 1
; LDSByteSize: 0 bytes/workgroup (compile time only)
; SGPRBlocks: 0
; VGPRBlocks: 0
; NumSGPRsForWavesPerEU: 1
; NumVGPRsForWavesPerEU: 1
; NamedBarCnt: 0
; Occupancy: 16
; WaveLimiterHint : 0
; COMPUTE_PGM_RSRC2:SCRATCH_EN: 0
; COMPUTE_PGM_RSRC2:USER_SGPR: 2
; COMPUTE_PGM_RSRC2:TRAP_HANDLER: 0
; COMPUTE_PGM_RSRC2:TGID_X_EN: 1
; COMPUTE_PGM_RSRC2:TGID_Y_EN: 0
; COMPUTE_PGM_RSRC2:TGID_Z_EN: 0
; COMPUTE_PGM_RSRC2:TIDIG_COMP_CNT: 0
	.section	.text._ZN7rocprim17ROCPRIM_400000_NS6detail17trampoline_kernelINS0_13select_configILj256ELj13ELNS0_17block_load_methodE3ELS4_3ELS4_3ELNS0_20block_scan_algorithmE0ELj4294967295EEENS1_25partition_config_selectorILNS1_17partition_subalgoE3EjNS0_10empty_typeEbEEZZNS1_14partition_implILS8_3ELb0ES6_jNS0_17counting_iteratorIjlEEPS9_SE_NS0_5tupleIJPjSE_EEENSF_IJSE_SE_EEES9_SG_JZNS1_25segmented_radix_sort_implINS0_14default_configELb0EPK12hip_bfloat16PSL_PKlPlN2at6native12_GLOBAL__N_18offset_tEEE10hipError_tPvRmT1_PNSt15iterator_traitsISZ_E10value_typeET2_T3_PNS10_IS15_E10value_typeET4_jRbjT5_S1B_jjP12ihipStream_tbEUljE_EEESW_SX_SY_S15_S19_S1B_T6_T7_T9_mT8_S1D_bDpT10_ENKUlT_T0_E_clISt17integral_constantIbLb1EES1P_IbLb0EEEEDaS1L_S1M_EUlS1L_E_NS1_11comp_targetILNS1_3genE3ELNS1_11target_archE908ELNS1_3gpuE7ELNS1_3repE0EEENS1_30default_config_static_selectorELNS0_4arch9wavefront6targetE0EEEvSZ_,"axG",@progbits,_ZN7rocprim17ROCPRIM_400000_NS6detail17trampoline_kernelINS0_13select_configILj256ELj13ELNS0_17block_load_methodE3ELS4_3ELS4_3ELNS0_20block_scan_algorithmE0ELj4294967295EEENS1_25partition_config_selectorILNS1_17partition_subalgoE3EjNS0_10empty_typeEbEEZZNS1_14partition_implILS8_3ELb0ES6_jNS0_17counting_iteratorIjlEEPS9_SE_NS0_5tupleIJPjSE_EEENSF_IJSE_SE_EEES9_SG_JZNS1_25segmented_radix_sort_implINS0_14default_configELb0EPK12hip_bfloat16PSL_PKlPlN2at6native12_GLOBAL__N_18offset_tEEE10hipError_tPvRmT1_PNSt15iterator_traitsISZ_E10value_typeET2_T3_PNS10_IS15_E10value_typeET4_jRbjT5_S1B_jjP12ihipStream_tbEUljE_EEESW_SX_SY_S15_S19_S1B_T6_T7_T9_mT8_S1D_bDpT10_ENKUlT_T0_E_clISt17integral_constantIbLb1EES1P_IbLb0EEEEDaS1L_S1M_EUlS1L_E_NS1_11comp_targetILNS1_3genE3ELNS1_11target_archE908ELNS1_3gpuE7ELNS1_3repE0EEENS1_30default_config_static_selectorELNS0_4arch9wavefront6targetE0EEEvSZ_,comdat
	.globl	_ZN7rocprim17ROCPRIM_400000_NS6detail17trampoline_kernelINS0_13select_configILj256ELj13ELNS0_17block_load_methodE3ELS4_3ELS4_3ELNS0_20block_scan_algorithmE0ELj4294967295EEENS1_25partition_config_selectorILNS1_17partition_subalgoE3EjNS0_10empty_typeEbEEZZNS1_14partition_implILS8_3ELb0ES6_jNS0_17counting_iteratorIjlEEPS9_SE_NS0_5tupleIJPjSE_EEENSF_IJSE_SE_EEES9_SG_JZNS1_25segmented_radix_sort_implINS0_14default_configELb0EPK12hip_bfloat16PSL_PKlPlN2at6native12_GLOBAL__N_18offset_tEEE10hipError_tPvRmT1_PNSt15iterator_traitsISZ_E10value_typeET2_T3_PNS10_IS15_E10value_typeET4_jRbjT5_S1B_jjP12ihipStream_tbEUljE_EEESW_SX_SY_S15_S19_S1B_T6_T7_T9_mT8_S1D_bDpT10_ENKUlT_T0_E_clISt17integral_constantIbLb1EES1P_IbLb0EEEEDaS1L_S1M_EUlS1L_E_NS1_11comp_targetILNS1_3genE3ELNS1_11target_archE908ELNS1_3gpuE7ELNS1_3repE0EEENS1_30default_config_static_selectorELNS0_4arch9wavefront6targetE0EEEvSZ_ ; -- Begin function _ZN7rocprim17ROCPRIM_400000_NS6detail17trampoline_kernelINS0_13select_configILj256ELj13ELNS0_17block_load_methodE3ELS4_3ELS4_3ELNS0_20block_scan_algorithmE0ELj4294967295EEENS1_25partition_config_selectorILNS1_17partition_subalgoE3EjNS0_10empty_typeEbEEZZNS1_14partition_implILS8_3ELb0ES6_jNS0_17counting_iteratorIjlEEPS9_SE_NS0_5tupleIJPjSE_EEENSF_IJSE_SE_EEES9_SG_JZNS1_25segmented_radix_sort_implINS0_14default_configELb0EPK12hip_bfloat16PSL_PKlPlN2at6native12_GLOBAL__N_18offset_tEEE10hipError_tPvRmT1_PNSt15iterator_traitsISZ_E10value_typeET2_T3_PNS10_IS15_E10value_typeET4_jRbjT5_S1B_jjP12ihipStream_tbEUljE_EEESW_SX_SY_S15_S19_S1B_T6_T7_T9_mT8_S1D_bDpT10_ENKUlT_T0_E_clISt17integral_constantIbLb1EES1P_IbLb0EEEEDaS1L_S1M_EUlS1L_E_NS1_11comp_targetILNS1_3genE3ELNS1_11target_archE908ELNS1_3gpuE7ELNS1_3repE0EEENS1_30default_config_static_selectorELNS0_4arch9wavefront6targetE0EEEvSZ_
	.p2align	8
	.type	_ZN7rocprim17ROCPRIM_400000_NS6detail17trampoline_kernelINS0_13select_configILj256ELj13ELNS0_17block_load_methodE3ELS4_3ELS4_3ELNS0_20block_scan_algorithmE0ELj4294967295EEENS1_25partition_config_selectorILNS1_17partition_subalgoE3EjNS0_10empty_typeEbEEZZNS1_14partition_implILS8_3ELb0ES6_jNS0_17counting_iteratorIjlEEPS9_SE_NS0_5tupleIJPjSE_EEENSF_IJSE_SE_EEES9_SG_JZNS1_25segmented_radix_sort_implINS0_14default_configELb0EPK12hip_bfloat16PSL_PKlPlN2at6native12_GLOBAL__N_18offset_tEEE10hipError_tPvRmT1_PNSt15iterator_traitsISZ_E10value_typeET2_T3_PNS10_IS15_E10value_typeET4_jRbjT5_S1B_jjP12ihipStream_tbEUljE_EEESW_SX_SY_S15_S19_S1B_T6_T7_T9_mT8_S1D_bDpT10_ENKUlT_T0_E_clISt17integral_constantIbLb1EES1P_IbLb0EEEEDaS1L_S1M_EUlS1L_E_NS1_11comp_targetILNS1_3genE3ELNS1_11target_archE908ELNS1_3gpuE7ELNS1_3repE0EEENS1_30default_config_static_selectorELNS0_4arch9wavefront6targetE0EEEvSZ_,@function
_ZN7rocprim17ROCPRIM_400000_NS6detail17trampoline_kernelINS0_13select_configILj256ELj13ELNS0_17block_load_methodE3ELS4_3ELS4_3ELNS0_20block_scan_algorithmE0ELj4294967295EEENS1_25partition_config_selectorILNS1_17partition_subalgoE3EjNS0_10empty_typeEbEEZZNS1_14partition_implILS8_3ELb0ES6_jNS0_17counting_iteratorIjlEEPS9_SE_NS0_5tupleIJPjSE_EEENSF_IJSE_SE_EEES9_SG_JZNS1_25segmented_radix_sort_implINS0_14default_configELb0EPK12hip_bfloat16PSL_PKlPlN2at6native12_GLOBAL__N_18offset_tEEE10hipError_tPvRmT1_PNSt15iterator_traitsISZ_E10value_typeET2_T3_PNS10_IS15_E10value_typeET4_jRbjT5_S1B_jjP12ihipStream_tbEUljE_EEESW_SX_SY_S15_S19_S1B_T6_T7_T9_mT8_S1D_bDpT10_ENKUlT_T0_E_clISt17integral_constantIbLb1EES1P_IbLb0EEEEDaS1L_S1M_EUlS1L_E_NS1_11comp_targetILNS1_3genE3ELNS1_11target_archE908ELNS1_3gpuE7ELNS1_3repE0EEENS1_30default_config_static_selectorELNS0_4arch9wavefront6targetE0EEEvSZ_: ; @_ZN7rocprim17ROCPRIM_400000_NS6detail17trampoline_kernelINS0_13select_configILj256ELj13ELNS0_17block_load_methodE3ELS4_3ELS4_3ELNS0_20block_scan_algorithmE0ELj4294967295EEENS1_25partition_config_selectorILNS1_17partition_subalgoE3EjNS0_10empty_typeEbEEZZNS1_14partition_implILS8_3ELb0ES6_jNS0_17counting_iteratorIjlEEPS9_SE_NS0_5tupleIJPjSE_EEENSF_IJSE_SE_EEES9_SG_JZNS1_25segmented_radix_sort_implINS0_14default_configELb0EPK12hip_bfloat16PSL_PKlPlN2at6native12_GLOBAL__N_18offset_tEEE10hipError_tPvRmT1_PNSt15iterator_traitsISZ_E10value_typeET2_T3_PNS10_IS15_E10value_typeET4_jRbjT5_S1B_jjP12ihipStream_tbEUljE_EEESW_SX_SY_S15_S19_S1B_T6_T7_T9_mT8_S1D_bDpT10_ENKUlT_T0_E_clISt17integral_constantIbLb1EES1P_IbLb0EEEEDaS1L_S1M_EUlS1L_E_NS1_11comp_targetILNS1_3genE3ELNS1_11target_archE908ELNS1_3gpuE7ELNS1_3repE0EEENS1_30default_config_static_selectorELNS0_4arch9wavefront6targetE0EEEvSZ_
; %bb.0:
	.section	.rodata,"a",@progbits
	.p2align	6, 0x0
	.amdhsa_kernel _ZN7rocprim17ROCPRIM_400000_NS6detail17trampoline_kernelINS0_13select_configILj256ELj13ELNS0_17block_load_methodE3ELS4_3ELS4_3ELNS0_20block_scan_algorithmE0ELj4294967295EEENS1_25partition_config_selectorILNS1_17partition_subalgoE3EjNS0_10empty_typeEbEEZZNS1_14partition_implILS8_3ELb0ES6_jNS0_17counting_iteratorIjlEEPS9_SE_NS0_5tupleIJPjSE_EEENSF_IJSE_SE_EEES9_SG_JZNS1_25segmented_radix_sort_implINS0_14default_configELb0EPK12hip_bfloat16PSL_PKlPlN2at6native12_GLOBAL__N_18offset_tEEE10hipError_tPvRmT1_PNSt15iterator_traitsISZ_E10value_typeET2_T3_PNS10_IS15_E10value_typeET4_jRbjT5_S1B_jjP12ihipStream_tbEUljE_EEESW_SX_SY_S15_S19_S1B_T6_T7_T9_mT8_S1D_bDpT10_ENKUlT_T0_E_clISt17integral_constantIbLb1EES1P_IbLb0EEEEDaS1L_S1M_EUlS1L_E_NS1_11comp_targetILNS1_3genE3ELNS1_11target_archE908ELNS1_3gpuE7ELNS1_3repE0EEENS1_30default_config_static_selectorELNS0_4arch9wavefront6targetE0EEEvSZ_
		.amdhsa_group_segment_fixed_size 0
		.amdhsa_private_segment_fixed_size 0
		.amdhsa_kernarg_size 144
		.amdhsa_user_sgpr_count 2
		.amdhsa_user_sgpr_dispatch_ptr 0
		.amdhsa_user_sgpr_queue_ptr 0
		.amdhsa_user_sgpr_kernarg_segment_ptr 1
		.amdhsa_user_sgpr_dispatch_id 0
		.amdhsa_user_sgpr_kernarg_preload_length 0
		.amdhsa_user_sgpr_kernarg_preload_offset 0
		.amdhsa_user_sgpr_private_segment_size 0
		.amdhsa_wavefront_size32 1
		.amdhsa_uses_dynamic_stack 0
		.amdhsa_enable_private_segment 0
		.amdhsa_system_sgpr_workgroup_id_x 1
		.amdhsa_system_sgpr_workgroup_id_y 0
		.amdhsa_system_sgpr_workgroup_id_z 0
		.amdhsa_system_sgpr_workgroup_info 0
		.amdhsa_system_vgpr_workitem_id 0
		.amdhsa_next_free_vgpr 1
		.amdhsa_next_free_sgpr 1
		.amdhsa_named_barrier_count 0
		.amdhsa_reserve_vcc 0
		.amdhsa_float_round_mode_32 0
		.amdhsa_float_round_mode_16_64 0
		.amdhsa_float_denorm_mode_32 3
		.amdhsa_float_denorm_mode_16_64 3
		.amdhsa_fp16_overflow 0
		.amdhsa_memory_ordered 1
		.amdhsa_forward_progress 1
		.amdhsa_inst_pref_size 0
		.amdhsa_round_robin_scheduling 0
		.amdhsa_exception_fp_ieee_invalid_op 0
		.amdhsa_exception_fp_denorm_src 0
		.amdhsa_exception_fp_ieee_div_zero 0
		.amdhsa_exception_fp_ieee_overflow 0
		.amdhsa_exception_fp_ieee_underflow 0
		.amdhsa_exception_fp_ieee_inexact 0
		.amdhsa_exception_int_div_zero 0
	.end_amdhsa_kernel
	.section	.text._ZN7rocprim17ROCPRIM_400000_NS6detail17trampoline_kernelINS0_13select_configILj256ELj13ELNS0_17block_load_methodE3ELS4_3ELS4_3ELNS0_20block_scan_algorithmE0ELj4294967295EEENS1_25partition_config_selectorILNS1_17partition_subalgoE3EjNS0_10empty_typeEbEEZZNS1_14partition_implILS8_3ELb0ES6_jNS0_17counting_iteratorIjlEEPS9_SE_NS0_5tupleIJPjSE_EEENSF_IJSE_SE_EEES9_SG_JZNS1_25segmented_radix_sort_implINS0_14default_configELb0EPK12hip_bfloat16PSL_PKlPlN2at6native12_GLOBAL__N_18offset_tEEE10hipError_tPvRmT1_PNSt15iterator_traitsISZ_E10value_typeET2_T3_PNS10_IS15_E10value_typeET4_jRbjT5_S1B_jjP12ihipStream_tbEUljE_EEESW_SX_SY_S15_S19_S1B_T6_T7_T9_mT8_S1D_bDpT10_ENKUlT_T0_E_clISt17integral_constantIbLb1EES1P_IbLb0EEEEDaS1L_S1M_EUlS1L_E_NS1_11comp_targetILNS1_3genE3ELNS1_11target_archE908ELNS1_3gpuE7ELNS1_3repE0EEENS1_30default_config_static_selectorELNS0_4arch9wavefront6targetE0EEEvSZ_,"axG",@progbits,_ZN7rocprim17ROCPRIM_400000_NS6detail17trampoline_kernelINS0_13select_configILj256ELj13ELNS0_17block_load_methodE3ELS4_3ELS4_3ELNS0_20block_scan_algorithmE0ELj4294967295EEENS1_25partition_config_selectorILNS1_17partition_subalgoE3EjNS0_10empty_typeEbEEZZNS1_14partition_implILS8_3ELb0ES6_jNS0_17counting_iteratorIjlEEPS9_SE_NS0_5tupleIJPjSE_EEENSF_IJSE_SE_EEES9_SG_JZNS1_25segmented_radix_sort_implINS0_14default_configELb0EPK12hip_bfloat16PSL_PKlPlN2at6native12_GLOBAL__N_18offset_tEEE10hipError_tPvRmT1_PNSt15iterator_traitsISZ_E10value_typeET2_T3_PNS10_IS15_E10value_typeET4_jRbjT5_S1B_jjP12ihipStream_tbEUljE_EEESW_SX_SY_S15_S19_S1B_T6_T7_T9_mT8_S1D_bDpT10_ENKUlT_T0_E_clISt17integral_constantIbLb1EES1P_IbLb0EEEEDaS1L_S1M_EUlS1L_E_NS1_11comp_targetILNS1_3genE3ELNS1_11target_archE908ELNS1_3gpuE7ELNS1_3repE0EEENS1_30default_config_static_selectorELNS0_4arch9wavefront6targetE0EEEvSZ_,comdat
.Lfunc_end2026:
	.size	_ZN7rocprim17ROCPRIM_400000_NS6detail17trampoline_kernelINS0_13select_configILj256ELj13ELNS0_17block_load_methodE3ELS4_3ELS4_3ELNS0_20block_scan_algorithmE0ELj4294967295EEENS1_25partition_config_selectorILNS1_17partition_subalgoE3EjNS0_10empty_typeEbEEZZNS1_14partition_implILS8_3ELb0ES6_jNS0_17counting_iteratorIjlEEPS9_SE_NS0_5tupleIJPjSE_EEENSF_IJSE_SE_EEES9_SG_JZNS1_25segmented_radix_sort_implINS0_14default_configELb0EPK12hip_bfloat16PSL_PKlPlN2at6native12_GLOBAL__N_18offset_tEEE10hipError_tPvRmT1_PNSt15iterator_traitsISZ_E10value_typeET2_T3_PNS10_IS15_E10value_typeET4_jRbjT5_S1B_jjP12ihipStream_tbEUljE_EEESW_SX_SY_S15_S19_S1B_T6_T7_T9_mT8_S1D_bDpT10_ENKUlT_T0_E_clISt17integral_constantIbLb1EES1P_IbLb0EEEEDaS1L_S1M_EUlS1L_E_NS1_11comp_targetILNS1_3genE3ELNS1_11target_archE908ELNS1_3gpuE7ELNS1_3repE0EEENS1_30default_config_static_selectorELNS0_4arch9wavefront6targetE0EEEvSZ_, .Lfunc_end2026-_ZN7rocprim17ROCPRIM_400000_NS6detail17trampoline_kernelINS0_13select_configILj256ELj13ELNS0_17block_load_methodE3ELS4_3ELS4_3ELNS0_20block_scan_algorithmE0ELj4294967295EEENS1_25partition_config_selectorILNS1_17partition_subalgoE3EjNS0_10empty_typeEbEEZZNS1_14partition_implILS8_3ELb0ES6_jNS0_17counting_iteratorIjlEEPS9_SE_NS0_5tupleIJPjSE_EEENSF_IJSE_SE_EEES9_SG_JZNS1_25segmented_radix_sort_implINS0_14default_configELb0EPK12hip_bfloat16PSL_PKlPlN2at6native12_GLOBAL__N_18offset_tEEE10hipError_tPvRmT1_PNSt15iterator_traitsISZ_E10value_typeET2_T3_PNS10_IS15_E10value_typeET4_jRbjT5_S1B_jjP12ihipStream_tbEUljE_EEESW_SX_SY_S15_S19_S1B_T6_T7_T9_mT8_S1D_bDpT10_ENKUlT_T0_E_clISt17integral_constantIbLb1EES1P_IbLb0EEEEDaS1L_S1M_EUlS1L_E_NS1_11comp_targetILNS1_3genE3ELNS1_11target_archE908ELNS1_3gpuE7ELNS1_3repE0EEENS1_30default_config_static_selectorELNS0_4arch9wavefront6targetE0EEEvSZ_
                                        ; -- End function
	.set _ZN7rocprim17ROCPRIM_400000_NS6detail17trampoline_kernelINS0_13select_configILj256ELj13ELNS0_17block_load_methodE3ELS4_3ELS4_3ELNS0_20block_scan_algorithmE0ELj4294967295EEENS1_25partition_config_selectorILNS1_17partition_subalgoE3EjNS0_10empty_typeEbEEZZNS1_14partition_implILS8_3ELb0ES6_jNS0_17counting_iteratorIjlEEPS9_SE_NS0_5tupleIJPjSE_EEENSF_IJSE_SE_EEES9_SG_JZNS1_25segmented_radix_sort_implINS0_14default_configELb0EPK12hip_bfloat16PSL_PKlPlN2at6native12_GLOBAL__N_18offset_tEEE10hipError_tPvRmT1_PNSt15iterator_traitsISZ_E10value_typeET2_T3_PNS10_IS15_E10value_typeET4_jRbjT5_S1B_jjP12ihipStream_tbEUljE_EEESW_SX_SY_S15_S19_S1B_T6_T7_T9_mT8_S1D_bDpT10_ENKUlT_T0_E_clISt17integral_constantIbLb1EES1P_IbLb0EEEEDaS1L_S1M_EUlS1L_E_NS1_11comp_targetILNS1_3genE3ELNS1_11target_archE908ELNS1_3gpuE7ELNS1_3repE0EEENS1_30default_config_static_selectorELNS0_4arch9wavefront6targetE0EEEvSZ_.num_vgpr, 0
	.set _ZN7rocprim17ROCPRIM_400000_NS6detail17trampoline_kernelINS0_13select_configILj256ELj13ELNS0_17block_load_methodE3ELS4_3ELS4_3ELNS0_20block_scan_algorithmE0ELj4294967295EEENS1_25partition_config_selectorILNS1_17partition_subalgoE3EjNS0_10empty_typeEbEEZZNS1_14partition_implILS8_3ELb0ES6_jNS0_17counting_iteratorIjlEEPS9_SE_NS0_5tupleIJPjSE_EEENSF_IJSE_SE_EEES9_SG_JZNS1_25segmented_radix_sort_implINS0_14default_configELb0EPK12hip_bfloat16PSL_PKlPlN2at6native12_GLOBAL__N_18offset_tEEE10hipError_tPvRmT1_PNSt15iterator_traitsISZ_E10value_typeET2_T3_PNS10_IS15_E10value_typeET4_jRbjT5_S1B_jjP12ihipStream_tbEUljE_EEESW_SX_SY_S15_S19_S1B_T6_T7_T9_mT8_S1D_bDpT10_ENKUlT_T0_E_clISt17integral_constantIbLb1EES1P_IbLb0EEEEDaS1L_S1M_EUlS1L_E_NS1_11comp_targetILNS1_3genE3ELNS1_11target_archE908ELNS1_3gpuE7ELNS1_3repE0EEENS1_30default_config_static_selectorELNS0_4arch9wavefront6targetE0EEEvSZ_.num_agpr, 0
	.set _ZN7rocprim17ROCPRIM_400000_NS6detail17trampoline_kernelINS0_13select_configILj256ELj13ELNS0_17block_load_methodE3ELS4_3ELS4_3ELNS0_20block_scan_algorithmE0ELj4294967295EEENS1_25partition_config_selectorILNS1_17partition_subalgoE3EjNS0_10empty_typeEbEEZZNS1_14partition_implILS8_3ELb0ES6_jNS0_17counting_iteratorIjlEEPS9_SE_NS0_5tupleIJPjSE_EEENSF_IJSE_SE_EEES9_SG_JZNS1_25segmented_radix_sort_implINS0_14default_configELb0EPK12hip_bfloat16PSL_PKlPlN2at6native12_GLOBAL__N_18offset_tEEE10hipError_tPvRmT1_PNSt15iterator_traitsISZ_E10value_typeET2_T3_PNS10_IS15_E10value_typeET4_jRbjT5_S1B_jjP12ihipStream_tbEUljE_EEESW_SX_SY_S15_S19_S1B_T6_T7_T9_mT8_S1D_bDpT10_ENKUlT_T0_E_clISt17integral_constantIbLb1EES1P_IbLb0EEEEDaS1L_S1M_EUlS1L_E_NS1_11comp_targetILNS1_3genE3ELNS1_11target_archE908ELNS1_3gpuE7ELNS1_3repE0EEENS1_30default_config_static_selectorELNS0_4arch9wavefront6targetE0EEEvSZ_.numbered_sgpr, 0
	.set _ZN7rocprim17ROCPRIM_400000_NS6detail17trampoline_kernelINS0_13select_configILj256ELj13ELNS0_17block_load_methodE3ELS4_3ELS4_3ELNS0_20block_scan_algorithmE0ELj4294967295EEENS1_25partition_config_selectorILNS1_17partition_subalgoE3EjNS0_10empty_typeEbEEZZNS1_14partition_implILS8_3ELb0ES6_jNS0_17counting_iteratorIjlEEPS9_SE_NS0_5tupleIJPjSE_EEENSF_IJSE_SE_EEES9_SG_JZNS1_25segmented_radix_sort_implINS0_14default_configELb0EPK12hip_bfloat16PSL_PKlPlN2at6native12_GLOBAL__N_18offset_tEEE10hipError_tPvRmT1_PNSt15iterator_traitsISZ_E10value_typeET2_T3_PNS10_IS15_E10value_typeET4_jRbjT5_S1B_jjP12ihipStream_tbEUljE_EEESW_SX_SY_S15_S19_S1B_T6_T7_T9_mT8_S1D_bDpT10_ENKUlT_T0_E_clISt17integral_constantIbLb1EES1P_IbLb0EEEEDaS1L_S1M_EUlS1L_E_NS1_11comp_targetILNS1_3genE3ELNS1_11target_archE908ELNS1_3gpuE7ELNS1_3repE0EEENS1_30default_config_static_selectorELNS0_4arch9wavefront6targetE0EEEvSZ_.num_named_barrier, 0
	.set _ZN7rocprim17ROCPRIM_400000_NS6detail17trampoline_kernelINS0_13select_configILj256ELj13ELNS0_17block_load_methodE3ELS4_3ELS4_3ELNS0_20block_scan_algorithmE0ELj4294967295EEENS1_25partition_config_selectorILNS1_17partition_subalgoE3EjNS0_10empty_typeEbEEZZNS1_14partition_implILS8_3ELb0ES6_jNS0_17counting_iteratorIjlEEPS9_SE_NS0_5tupleIJPjSE_EEENSF_IJSE_SE_EEES9_SG_JZNS1_25segmented_radix_sort_implINS0_14default_configELb0EPK12hip_bfloat16PSL_PKlPlN2at6native12_GLOBAL__N_18offset_tEEE10hipError_tPvRmT1_PNSt15iterator_traitsISZ_E10value_typeET2_T3_PNS10_IS15_E10value_typeET4_jRbjT5_S1B_jjP12ihipStream_tbEUljE_EEESW_SX_SY_S15_S19_S1B_T6_T7_T9_mT8_S1D_bDpT10_ENKUlT_T0_E_clISt17integral_constantIbLb1EES1P_IbLb0EEEEDaS1L_S1M_EUlS1L_E_NS1_11comp_targetILNS1_3genE3ELNS1_11target_archE908ELNS1_3gpuE7ELNS1_3repE0EEENS1_30default_config_static_selectorELNS0_4arch9wavefront6targetE0EEEvSZ_.private_seg_size, 0
	.set _ZN7rocprim17ROCPRIM_400000_NS6detail17trampoline_kernelINS0_13select_configILj256ELj13ELNS0_17block_load_methodE3ELS4_3ELS4_3ELNS0_20block_scan_algorithmE0ELj4294967295EEENS1_25partition_config_selectorILNS1_17partition_subalgoE3EjNS0_10empty_typeEbEEZZNS1_14partition_implILS8_3ELb0ES6_jNS0_17counting_iteratorIjlEEPS9_SE_NS0_5tupleIJPjSE_EEENSF_IJSE_SE_EEES9_SG_JZNS1_25segmented_radix_sort_implINS0_14default_configELb0EPK12hip_bfloat16PSL_PKlPlN2at6native12_GLOBAL__N_18offset_tEEE10hipError_tPvRmT1_PNSt15iterator_traitsISZ_E10value_typeET2_T3_PNS10_IS15_E10value_typeET4_jRbjT5_S1B_jjP12ihipStream_tbEUljE_EEESW_SX_SY_S15_S19_S1B_T6_T7_T9_mT8_S1D_bDpT10_ENKUlT_T0_E_clISt17integral_constantIbLb1EES1P_IbLb0EEEEDaS1L_S1M_EUlS1L_E_NS1_11comp_targetILNS1_3genE3ELNS1_11target_archE908ELNS1_3gpuE7ELNS1_3repE0EEENS1_30default_config_static_selectorELNS0_4arch9wavefront6targetE0EEEvSZ_.uses_vcc, 0
	.set _ZN7rocprim17ROCPRIM_400000_NS6detail17trampoline_kernelINS0_13select_configILj256ELj13ELNS0_17block_load_methodE3ELS4_3ELS4_3ELNS0_20block_scan_algorithmE0ELj4294967295EEENS1_25partition_config_selectorILNS1_17partition_subalgoE3EjNS0_10empty_typeEbEEZZNS1_14partition_implILS8_3ELb0ES6_jNS0_17counting_iteratorIjlEEPS9_SE_NS0_5tupleIJPjSE_EEENSF_IJSE_SE_EEES9_SG_JZNS1_25segmented_radix_sort_implINS0_14default_configELb0EPK12hip_bfloat16PSL_PKlPlN2at6native12_GLOBAL__N_18offset_tEEE10hipError_tPvRmT1_PNSt15iterator_traitsISZ_E10value_typeET2_T3_PNS10_IS15_E10value_typeET4_jRbjT5_S1B_jjP12ihipStream_tbEUljE_EEESW_SX_SY_S15_S19_S1B_T6_T7_T9_mT8_S1D_bDpT10_ENKUlT_T0_E_clISt17integral_constantIbLb1EES1P_IbLb0EEEEDaS1L_S1M_EUlS1L_E_NS1_11comp_targetILNS1_3genE3ELNS1_11target_archE908ELNS1_3gpuE7ELNS1_3repE0EEENS1_30default_config_static_selectorELNS0_4arch9wavefront6targetE0EEEvSZ_.uses_flat_scratch, 0
	.set _ZN7rocprim17ROCPRIM_400000_NS6detail17trampoline_kernelINS0_13select_configILj256ELj13ELNS0_17block_load_methodE3ELS4_3ELS4_3ELNS0_20block_scan_algorithmE0ELj4294967295EEENS1_25partition_config_selectorILNS1_17partition_subalgoE3EjNS0_10empty_typeEbEEZZNS1_14partition_implILS8_3ELb0ES6_jNS0_17counting_iteratorIjlEEPS9_SE_NS0_5tupleIJPjSE_EEENSF_IJSE_SE_EEES9_SG_JZNS1_25segmented_radix_sort_implINS0_14default_configELb0EPK12hip_bfloat16PSL_PKlPlN2at6native12_GLOBAL__N_18offset_tEEE10hipError_tPvRmT1_PNSt15iterator_traitsISZ_E10value_typeET2_T3_PNS10_IS15_E10value_typeET4_jRbjT5_S1B_jjP12ihipStream_tbEUljE_EEESW_SX_SY_S15_S19_S1B_T6_T7_T9_mT8_S1D_bDpT10_ENKUlT_T0_E_clISt17integral_constantIbLb1EES1P_IbLb0EEEEDaS1L_S1M_EUlS1L_E_NS1_11comp_targetILNS1_3genE3ELNS1_11target_archE908ELNS1_3gpuE7ELNS1_3repE0EEENS1_30default_config_static_selectorELNS0_4arch9wavefront6targetE0EEEvSZ_.has_dyn_sized_stack, 0
	.set _ZN7rocprim17ROCPRIM_400000_NS6detail17trampoline_kernelINS0_13select_configILj256ELj13ELNS0_17block_load_methodE3ELS4_3ELS4_3ELNS0_20block_scan_algorithmE0ELj4294967295EEENS1_25partition_config_selectorILNS1_17partition_subalgoE3EjNS0_10empty_typeEbEEZZNS1_14partition_implILS8_3ELb0ES6_jNS0_17counting_iteratorIjlEEPS9_SE_NS0_5tupleIJPjSE_EEENSF_IJSE_SE_EEES9_SG_JZNS1_25segmented_radix_sort_implINS0_14default_configELb0EPK12hip_bfloat16PSL_PKlPlN2at6native12_GLOBAL__N_18offset_tEEE10hipError_tPvRmT1_PNSt15iterator_traitsISZ_E10value_typeET2_T3_PNS10_IS15_E10value_typeET4_jRbjT5_S1B_jjP12ihipStream_tbEUljE_EEESW_SX_SY_S15_S19_S1B_T6_T7_T9_mT8_S1D_bDpT10_ENKUlT_T0_E_clISt17integral_constantIbLb1EES1P_IbLb0EEEEDaS1L_S1M_EUlS1L_E_NS1_11comp_targetILNS1_3genE3ELNS1_11target_archE908ELNS1_3gpuE7ELNS1_3repE0EEENS1_30default_config_static_selectorELNS0_4arch9wavefront6targetE0EEEvSZ_.has_recursion, 0
	.set _ZN7rocprim17ROCPRIM_400000_NS6detail17trampoline_kernelINS0_13select_configILj256ELj13ELNS0_17block_load_methodE3ELS4_3ELS4_3ELNS0_20block_scan_algorithmE0ELj4294967295EEENS1_25partition_config_selectorILNS1_17partition_subalgoE3EjNS0_10empty_typeEbEEZZNS1_14partition_implILS8_3ELb0ES6_jNS0_17counting_iteratorIjlEEPS9_SE_NS0_5tupleIJPjSE_EEENSF_IJSE_SE_EEES9_SG_JZNS1_25segmented_radix_sort_implINS0_14default_configELb0EPK12hip_bfloat16PSL_PKlPlN2at6native12_GLOBAL__N_18offset_tEEE10hipError_tPvRmT1_PNSt15iterator_traitsISZ_E10value_typeET2_T3_PNS10_IS15_E10value_typeET4_jRbjT5_S1B_jjP12ihipStream_tbEUljE_EEESW_SX_SY_S15_S19_S1B_T6_T7_T9_mT8_S1D_bDpT10_ENKUlT_T0_E_clISt17integral_constantIbLb1EES1P_IbLb0EEEEDaS1L_S1M_EUlS1L_E_NS1_11comp_targetILNS1_3genE3ELNS1_11target_archE908ELNS1_3gpuE7ELNS1_3repE0EEENS1_30default_config_static_selectorELNS0_4arch9wavefront6targetE0EEEvSZ_.has_indirect_call, 0
	.section	.AMDGPU.csdata,"",@progbits
; Kernel info:
; codeLenInByte = 0
; TotalNumSgprs: 0
; NumVgprs: 0
; ScratchSize: 0
; MemoryBound: 0
; FloatMode: 240
; IeeeMode: 1
; LDSByteSize: 0 bytes/workgroup (compile time only)
; SGPRBlocks: 0
; VGPRBlocks: 0
; NumSGPRsForWavesPerEU: 1
; NumVGPRsForWavesPerEU: 1
; NamedBarCnt: 0
; Occupancy: 16
; WaveLimiterHint : 0
; COMPUTE_PGM_RSRC2:SCRATCH_EN: 0
; COMPUTE_PGM_RSRC2:USER_SGPR: 2
; COMPUTE_PGM_RSRC2:TRAP_HANDLER: 0
; COMPUTE_PGM_RSRC2:TGID_X_EN: 1
; COMPUTE_PGM_RSRC2:TGID_Y_EN: 0
; COMPUTE_PGM_RSRC2:TGID_Z_EN: 0
; COMPUTE_PGM_RSRC2:TIDIG_COMP_CNT: 0
	.section	.text._ZN7rocprim17ROCPRIM_400000_NS6detail17trampoline_kernelINS0_13select_configILj256ELj13ELNS0_17block_load_methodE3ELS4_3ELS4_3ELNS0_20block_scan_algorithmE0ELj4294967295EEENS1_25partition_config_selectorILNS1_17partition_subalgoE3EjNS0_10empty_typeEbEEZZNS1_14partition_implILS8_3ELb0ES6_jNS0_17counting_iteratorIjlEEPS9_SE_NS0_5tupleIJPjSE_EEENSF_IJSE_SE_EEES9_SG_JZNS1_25segmented_radix_sort_implINS0_14default_configELb0EPK12hip_bfloat16PSL_PKlPlN2at6native12_GLOBAL__N_18offset_tEEE10hipError_tPvRmT1_PNSt15iterator_traitsISZ_E10value_typeET2_T3_PNS10_IS15_E10value_typeET4_jRbjT5_S1B_jjP12ihipStream_tbEUljE_EEESW_SX_SY_S15_S19_S1B_T6_T7_T9_mT8_S1D_bDpT10_ENKUlT_T0_E_clISt17integral_constantIbLb1EES1P_IbLb0EEEEDaS1L_S1M_EUlS1L_E_NS1_11comp_targetILNS1_3genE2ELNS1_11target_archE906ELNS1_3gpuE6ELNS1_3repE0EEENS1_30default_config_static_selectorELNS0_4arch9wavefront6targetE0EEEvSZ_,"axG",@progbits,_ZN7rocprim17ROCPRIM_400000_NS6detail17trampoline_kernelINS0_13select_configILj256ELj13ELNS0_17block_load_methodE3ELS4_3ELS4_3ELNS0_20block_scan_algorithmE0ELj4294967295EEENS1_25partition_config_selectorILNS1_17partition_subalgoE3EjNS0_10empty_typeEbEEZZNS1_14partition_implILS8_3ELb0ES6_jNS0_17counting_iteratorIjlEEPS9_SE_NS0_5tupleIJPjSE_EEENSF_IJSE_SE_EEES9_SG_JZNS1_25segmented_radix_sort_implINS0_14default_configELb0EPK12hip_bfloat16PSL_PKlPlN2at6native12_GLOBAL__N_18offset_tEEE10hipError_tPvRmT1_PNSt15iterator_traitsISZ_E10value_typeET2_T3_PNS10_IS15_E10value_typeET4_jRbjT5_S1B_jjP12ihipStream_tbEUljE_EEESW_SX_SY_S15_S19_S1B_T6_T7_T9_mT8_S1D_bDpT10_ENKUlT_T0_E_clISt17integral_constantIbLb1EES1P_IbLb0EEEEDaS1L_S1M_EUlS1L_E_NS1_11comp_targetILNS1_3genE2ELNS1_11target_archE906ELNS1_3gpuE6ELNS1_3repE0EEENS1_30default_config_static_selectorELNS0_4arch9wavefront6targetE0EEEvSZ_,comdat
	.globl	_ZN7rocprim17ROCPRIM_400000_NS6detail17trampoline_kernelINS0_13select_configILj256ELj13ELNS0_17block_load_methodE3ELS4_3ELS4_3ELNS0_20block_scan_algorithmE0ELj4294967295EEENS1_25partition_config_selectorILNS1_17partition_subalgoE3EjNS0_10empty_typeEbEEZZNS1_14partition_implILS8_3ELb0ES6_jNS0_17counting_iteratorIjlEEPS9_SE_NS0_5tupleIJPjSE_EEENSF_IJSE_SE_EEES9_SG_JZNS1_25segmented_radix_sort_implINS0_14default_configELb0EPK12hip_bfloat16PSL_PKlPlN2at6native12_GLOBAL__N_18offset_tEEE10hipError_tPvRmT1_PNSt15iterator_traitsISZ_E10value_typeET2_T3_PNS10_IS15_E10value_typeET4_jRbjT5_S1B_jjP12ihipStream_tbEUljE_EEESW_SX_SY_S15_S19_S1B_T6_T7_T9_mT8_S1D_bDpT10_ENKUlT_T0_E_clISt17integral_constantIbLb1EES1P_IbLb0EEEEDaS1L_S1M_EUlS1L_E_NS1_11comp_targetILNS1_3genE2ELNS1_11target_archE906ELNS1_3gpuE6ELNS1_3repE0EEENS1_30default_config_static_selectorELNS0_4arch9wavefront6targetE0EEEvSZ_ ; -- Begin function _ZN7rocprim17ROCPRIM_400000_NS6detail17trampoline_kernelINS0_13select_configILj256ELj13ELNS0_17block_load_methodE3ELS4_3ELS4_3ELNS0_20block_scan_algorithmE0ELj4294967295EEENS1_25partition_config_selectorILNS1_17partition_subalgoE3EjNS0_10empty_typeEbEEZZNS1_14partition_implILS8_3ELb0ES6_jNS0_17counting_iteratorIjlEEPS9_SE_NS0_5tupleIJPjSE_EEENSF_IJSE_SE_EEES9_SG_JZNS1_25segmented_radix_sort_implINS0_14default_configELb0EPK12hip_bfloat16PSL_PKlPlN2at6native12_GLOBAL__N_18offset_tEEE10hipError_tPvRmT1_PNSt15iterator_traitsISZ_E10value_typeET2_T3_PNS10_IS15_E10value_typeET4_jRbjT5_S1B_jjP12ihipStream_tbEUljE_EEESW_SX_SY_S15_S19_S1B_T6_T7_T9_mT8_S1D_bDpT10_ENKUlT_T0_E_clISt17integral_constantIbLb1EES1P_IbLb0EEEEDaS1L_S1M_EUlS1L_E_NS1_11comp_targetILNS1_3genE2ELNS1_11target_archE906ELNS1_3gpuE6ELNS1_3repE0EEENS1_30default_config_static_selectorELNS0_4arch9wavefront6targetE0EEEvSZ_
	.p2align	8
	.type	_ZN7rocprim17ROCPRIM_400000_NS6detail17trampoline_kernelINS0_13select_configILj256ELj13ELNS0_17block_load_methodE3ELS4_3ELS4_3ELNS0_20block_scan_algorithmE0ELj4294967295EEENS1_25partition_config_selectorILNS1_17partition_subalgoE3EjNS0_10empty_typeEbEEZZNS1_14partition_implILS8_3ELb0ES6_jNS0_17counting_iteratorIjlEEPS9_SE_NS0_5tupleIJPjSE_EEENSF_IJSE_SE_EEES9_SG_JZNS1_25segmented_radix_sort_implINS0_14default_configELb0EPK12hip_bfloat16PSL_PKlPlN2at6native12_GLOBAL__N_18offset_tEEE10hipError_tPvRmT1_PNSt15iterator_traitsISZ_E10value_typeET2_T3_PNS10_IS15_E10value_typeET4_jRbjT5_S1B_jjP12ihipStream_tbEUljE_EEESW_SX_SY_S15_S19_S1B_T6_T7_T9_mT8_S1D_bDpT10_ENKUlT_T0_E_clISt17integral_constantIbLb1EES1P_IbLb0EEEEDaS1L_S1M_EUlS1L_E_NS1_11comp_targetILNS1_3genE2ELNS1_11target_archE906ELNS1_3gpuE6ELNS1_3repE0EEENS1_30default_config_static_selectorELNS0_4arch9wavefront6targetE0EEEvSZ_,@function
_ZN7rocprim17ROCPRIM_400000_NS6detail17trampoline_kernelINS0_13select_configILj256ELj13ELNS0_17block_load_methodE3ELS4_3ELS4_3ELNS0_20block_scan_algorithmE0ELj4294967295EEENS1_25partition_config_selectorILNS1_17partition_subalgoE3EjNS0_10empty_typeEbEEZZNS1_14partition_implILS8_3ELb0ES6_jNS0_17counting_iteratorIjlEEPS9_SE_NS0_5tupleIJPjSE_EEENSF_IJSE_SE_EEES9_SG_JZNS1_25segmented_radix_sort_implINS0_14default_configELb0EPK12hip_bfloat16PSL_PKlPlN2at6native12_GLOBAL__N_18offset_tEEE10hipError_tPvRmT1_PNSt15iterator_traitsISZ_E10value_typeET2_T3_PNS10_IS15_E10value_typeET4_jRbjT5_S1B_jjP12ihipStream_tbEUljE_EEESW_SX_SY_S15_S19_S1B_T6_T7_T9_mT8_S1D_bDpT10_ENKUlT_T0_E_clISt17integral_constantIbLb1EES1P_IbLb0EEEEDaS1L_S1M_EUlS1L_E_NS1_11comp_targetILNS1_3genE2ELNS1_11target_archE906ELNS1_3gpuE6ELNS1_3repE0EEENS1_30default_config_static_selectorELNS0_4arch9wavefront6targetE0EEEvSZ_: ; @_ZN7rocprim17ROCPRIM_400000_NS6detail17trampoline_kernelINS0_13select_configILj256ELj13ELNS0_17block_load_methodE3ELS4_3ELS4_3ELNS0_20block_scan_algorithmE0ELj4294967295EEENS1_25partition_config_selectorILNS1_17partition_subalgoE3EjNS0_10empty_typeEbEEZZNS1_14partition_implILS8_3ELb0ES6_jNS0_17counting_iteratorIjlEEPS9_SE_NS0_5tupleIJPjSE_EEENSF_IJSE_SE_EEES9_SG_JZNS1_25segmented_radix_sort_implINS0_14default_configELb0EPK12hip_bfloat16PSL_PKlPlN2at6native12_GLOBAL__N_18offset_tEEE10hipError_tPvRmT1_PNSt15iterator_traitsISZ_E10value_typeET2_T3_PNS10_IS15_E10value_typeET4_jRbjT5_S1B_jjP12ihipStream_tbEUljE_EEESW_SX_SY_S15_S19_S1B_T6_T7_T9_mT8_S1D_bDpT10_ENKUlT_T0_E_clISt17integral_constantIbLb1EES1P_IbLb0EEEEDaS1L_S1M_EUlS1L_E_NS1_11comp_targetILNS1_3genE2ELNS1_11target_archE906ELNS1_3gpuE6ELNS1_3repE0EEENS1_30default_config_static_selectorELNS0_4arch9wavefront6targetE0EEEvSZ_
; %bb.0:
	.section	.rodata,"a",@progbits
	.p2align	6, 0x0
	.amdhsa_kernel _ZN7rocprim17ROCPRIM_400000_NS6detail17trampoline_kernelINS0_13select_configILj256ELj13ELNS0_17block_load_methodE3ELS4_3ELS4_3ELNS0_20block_scan_algorithmE0ELj4294967295EEENS1_25partition_config_selectorILNS1_17partition_subalgoE3EjNS0_10empty_typeEbEEZZNS1_14partition_implILS8_3ELb0ES6_jNS0_17counting_iteratorIjlEEPS9_SE_NS0_5tupleIJPjSE_EEENSF_IJSE_SE_EEES9_SG_JZNS1_25segmented_radix_sort_implINS0_14default_configELb0EPK12hip_bfloat16PSL_PKlPlN2at6native12_GLOBAL__N_18offset_tEEE10hipError_tPvRmT1_PNSt15iterator_traitsISZ_E10value_typeET2_T3_PNS10_IS15_E10value_typeET4_jRbjT5_S1B_jjP12ihipStream_tbEUljE_EEESW_SX_SY_S15_S19_S1B_T6_T7_T9_mT8_S1D_bDpT10_ENKUlT_T0_E_clISt17integral_constantIbLb1EES1P_IbLb0EEEEDaS1L_S1M_EUlS1L_E_NS1_11comp_targetILNS1_3genE2ELNS1_11target_archE906ELNS1_3gpuE6ELNS1_3repE0EEENS1_30default_config_static_selectorELNS0_4arch9wavefront6targetE0EEEvSZ_
		.amdhsa_group_segment_fixed_size 0
		.amdhsa_private_segment_fixed_size 0
		.amdhsa_kernarg_size 144
		.amdhsa_user_sgpr_count 2
		.amdhsa_user_sgpr_dispatch_ptr 0
		.amdhsa_user_sgpr_queue_ptr 0
		.amdhsa_user_sgpr_kernarg_segment_ptr 1
		.amdhsa_user_sgpr_dispatch_id 0
		.amdhsa_user_sgpr_kernarg_preload_length 0
		.amdhsa_user_sgpr_kernarg_preload_offset 0
		.amdhsa_user_sgpr_private_segment_size 0
		.amdhsa_wavefront_size32 1
		.amdhsa_uses_dynamic_stack 0
		.amdhsa_enable_private_segment 0
		.amdhsa_system_sgpr_workgroup_id_x 1
		.amdhsa_system_sgpr_workgroup_id_y 0
		.amdhsa_system_sgpr_workgroup_id_z 0
		.amdhsa_system_sgpr_workgroup_info 0
		.amdhsa_system_vgpr_workitem_id 0
		.amdhsa_next_free_vgpr 1
		.amdhsa_next_free_sgpr 1
		.amdhsa_named_barrier_count 0
		.amdhsa_reserve_vcc 0
		.amdhsa_float_round_mode_32 0
		.amdhsa_float_round_mode_16_64 0
		.amdhsa_float_denorm_mode_32 3
		.amdhsa_float_denorm_mode_16_64 3
		.amdhsa_fp16_overflow 0
		.amdhsa_memory_ordered 1
		.amdhsa_forward_progress 1
		.amdhsa_inst_pref_size 0
		.amdhsa_round_robin_scheduling 0
		.amdhsa_exception_fp_ieee_invalid_op 0
		.amdhsa_exception_fp_denorm_src 0
		.amdhsa_exception_fp_ieee_div_zero 0
		.amdhsa_exception_fp_ieee_overflow 0
		.amdhsa_exception_fp_ieee_underflow 0
		.amdhsa_exception_fp_ieee_inexact 0
		.amdhsa_exception_int_div_zero 0
	.end_amdhsa_kernel
	.section	.text._ZN7rocprim17ROCPRIM_400000_NS6detail17trampoline_kernelINS0_13select_configILj256ELj13ELNS0_17block_load_methodE3ELS4_3ELS4_3ELNS0_20block_scan_algorithmE0ELj4294967295EEENS1_25partition_config_selectorILNS1_17partition_subalgoE3EjNS0_10empty_typeEbEEZZNS1_14partition_implILS8_3ELb0ES6_jNS0_17counting_iteratorIjlEEPS9_SE_NS0_5tupleIJPjSE_EEENSF_IJSE_SE_EEES9_SG_JZNS1_25segmented_radix_sort_implINS0_14default_configELb0EPK12hip_bfloat16PSL_PKlPlN2at6native12_GLOBAL__N_18offset_tEEE10hipError_tPvRmT1_PNSt15iterator_traitsISZ_E10value_typeET2_T3_PNS10_IS15_E10value_typeET4_jRbjT5_S1B_jjP12ihipStream_tbEUljE_EEESW_SX_SY_S15_S19_S1B_T6_T7_T9_mT8_S1D_bDpT10_ENKUlT_T0_E_clISt17integral_constantIbLb1EES1P_IbLb0EEEEDaS1L_S1M_EUlS1L_E_NS1_11comp_targetILNS1_3genE2ELNS1_11target_archE906ELNS1_3gpuE6ELNS1_3repE0EEENS1_30default_config_static_selectorELNS0_4arch9wavefront6targetE0EEEvSZ_,"axG",@progbits,_ZN7rocprim17ROCPRIM_400000_NS6detail17trampoline_kernelINS0_13select_configILj256ELj13ELNS0_17block_load_methodE3ELS4_3ELS4_3ELNS0_20block_scan_algorithmE0ELj4294967295EEENS1_25partition_config_selectorILNS1_17partition_subalgoE3EjNS0_10empty_typeEbEEZZNS1_14partition_implILS8_3ELb0ES6_jNS0_17counting_iteratorIjlEEPS9_SE_NS0_5tupleIJPjSE_EEENSF_IJSE_SE_EEES9_SG_JZNS1_25segmented_radix_sort_implINS0_14default_configELb0EPK12hip_bfloat16PSL_PKlPlN2at6native12_GLOBAL__N_18offset_tEEE10hipError_tPvRmT1_PNSt15iterator_traitsISZ_E10value_typeET2_T3_PNS10_IS15_E10value_typeET4_jRbjT5_S1B_jjP12ihipStream_tbEUljE_EEESW_SX_SY_S15_S19_S1B_T6_T7_T9_mT8_S1D_bDpT10_ENKUlT_T0_E_clISt17integral_constantIbLb1EES1P_IbLb0EEEEDaS1L_S1M_EUlS1L_E_NS1_11comp_targetILNS1_3genE2ELNS1_11target_archE906ELNS1_3gpuE6ELNS1_3repE0EEENS1_30default_config_static_selectorELNS0_4arch9wavefront6targetE0EEEvSZ_,comdat
.Lfunc_end2027:
	.size	_ZN7rocprim17ROCPRIM_400000_NS6detail17trampoline_kernelINS0_13select_configILj256ELj13ELNS0_17block_load_methodE3ELS4_3ELS4_3ELNS0_20block_scan_algorithmE0ELj4294967295EEENS1_25partition_config_selectorILNS1_17partition_subalgoE3EjNS0_10empty_typeEbEEZZNS1_14partition_implILS8_3ELb0ES6_jNS0_17counting_iteratorIjlEEPS9_SE_NS0_5tupleIJPjSE_EEENSF_IJSE_SE_EEES9_SG_JZNS1_25segmented_radix_sort_implINS0_14default_configELb0EPK12hip_bfloat16PSL_PKlPlN2at6native12_GLOBAL__N_18offset_tEEE10hipError_tPvRmT1_PNSt15iterator_traitsISZ_E10value_typeET2_T3_PNS10_IS15_E10value_typeET4_jRbjT5_S1B_jjP12ihipStream_tbEUljE_EEESW_SX_SY_S15_S19_S1B_T6_T7_T9_mT8_S1D_bDpT10_ENKUlT_T0_E_clISt17integral_constantIbLb1EES1P_IbLb0EEEEDaS1L_S1M_EUlS1L_E_NS1_11comp_targetILNS1_3genE2ELNS1_11target_archE906ELNS1_3gpuE6ELNS1_3repE0EEENS1_30default_config_static_selectorELNS0_4arch9wavefront6targetE0EEEvSZ_, .Lfunc_end2027-_ZN7rocprim17ROCPRIM_400000_NS6detail17trampoline_kernelINS0_13select_configILj256ELj13ELNS0_17block_load_methodE3ELS4_3ELS4_3ELNS0_20block_scan_algorithmE0ELj4294967295EEENS1_25partition_config_selectorILNS1_17partition_subalgoE3EjNS0_10empty_typeEbEEZZNS1_14partition_implILS8_3ELb0ES6_jNS0_17counting_iteratorIjlEEPS9_SE_NS0_5tupleIJPjSE_EEENSF_IJSE_SE_EEES9_SG_JZNS1_25segmented_radix_sort_implINS0_14default_configELb0EPK12hip_bfloat16PSL_PKlPlN2at6native12_GLOBAL__N_18offset_tEEE10hipError_tPvRmT1_PNSt15iterator_traitsISZ_E10value_typeET2_T3_PNS10_IS15_E10value_typeET4_jRbjT5_S1B_jjP12ihipStream_tbEUljE_EEESW_SX_SY_S15_S19_S1B_T6_T7_T9_mT8_S1D_bDpT10_ENKUlT_T0_E_clISt17integral_constantIbLb1EES1P_IbLb0EEEEDaS1L_S1M_EUlS1L_E_NS1_11comp_targetILNS1_3genE2ELNS1_11target_archE906ELNS1_3gpuE6ELNS1_3repE0EEENS1_30default_config_static_selectorELNS0_4arch9wavefront6targetE0EEEvSZ_
                                        ; -- End function
	.set _ZN7rocprim17ROCPRIM_400000_NS6detail17trampoline_kernelINS0_13select_configILj256ELj13ELNS0_17block_load_methodE3ELS4_3ELS4_3ELNS0_20block_scan_algorithmE0ELj4294967295EEENS1_25partition_config_selectorILNS1_17partition_subalgoE3EjNS0_10empty_typeEbEEZZNS1_14partition_implILS8_3ELb0ES6_jNS0_17counting_iteratorIjlEEPS9_SE_NS0_5tupleIJPjSE_EEENSF_IJSE_SE_EEES9_SG_JZNS1_25segmented_radix_sort_implINS0_14default_configELb0EPK12hip_bfloat16PSL_PKlPlN2at6native12_GLOBAL__N_18offset_tEEE10hipError_tPvRmT1_PNSt15iterator_traitsISZ_E10value_typeET2_T3_PNS10_IS15_E10value_typeET4_jRbjT5_S1B_jjP12ihipStream_tbEUljE_EEESW_SX_SY_S15_S19_S1B_T6_T7_T9_mT8_S1D_bDpT10_ENKUlT_T0_E_clISt17integral_constantIbLb1EES1P_IbLb0EEEEDaS1L_S1M_EUlS1L_E_NS1_11comp_targetILNS1_3genE2ELNS1_11target_archE906ELNS1_3gpuE6ELNS1_3repE0EEENS1_30default_config_static_selectorELNS0_4arch9wavefront6targetE0EEEvSZ_.num_vgpr, 0
	.set _ZN7rocprim17ROCPRIM_400000_NS6detail17trampoline_kernelINS0_13select_configILj256ELj13ELNS0_17block_load_methodE3ELS4_3ELS4_3ELNS0_20block_scan_algorithmE0ELj4294967295EEENS1_25partition_config_selectorILNS1_17partition_subalgoE3EjNS0_10empty_typeEbEEZZNS1_14partition_implILS8_3ELb0ES6_jNS0_17counting_iteratorIjlEEPS9_SE_NS0_5tupleIJPjSE_EEENSF_IJSE_SE_EEES9_SG_JZNS1_25segmented_radix_sort_implINS0_14default_configELb0EPK12hip_bfloat16PSL_PKlPlN2at6native12_GLOBAL__N_18offset_tEEE10hipError_tPvRmT1_PNSt15iterator_traitsISZ_E10value_typeET2_T3_PNS10_IS15_E10value_typeET4_jRbjT5_S1B_jjP12ihipStream_tbEUljE_EEESW_SX_SY_S15_S19_S1B_T6_T7_T9_mT8_S1D_bDpT10_ENKUlT_T0_E_clISt17integral_constantIbLb1EES1P_IbLb0EEEEDaS1L_S1M_EUlS1L_E_NS1_11comp_targetILNS1_3genE2ELNS1_11target_archE906ELNS1_3gpuE6ELNS1_3repE0EEENS1_30default_config_static_selectorELNS0_4arch9wavefront6targetE0EEEvSZ_.num_agpr, 0
	.set _ZN7rocprim17ROCPRIM_400000_NS6detail17trampoline_kernelINS0_13select_configILj256ELj13ELNS0_17block_load_methodE3ELS4_3ELS4_3ELNS0_20block_scan_algorithmE0ELj4294967295EEENS1_25partition_config_selectorILNS1_17partition_subalgoE3EjNS0_10empty_typeEbEEZZNS1_14partition_implILS8_3ELb0ES6_jNS0_17counting_iteratorIjlEEPS9_SE_NS0_5tupleIJPjSE_EEENSF_IJSE_SE_EEES9_SG_JZNS1_25segmented_radix_sort_implINS0_14default_configELb0EPK12hip_bfloat16PSL_PKlPlN2at6native12_GLOBAL__N_18offset_tEEE10hipError_tPvRmT1_PNSt15iterator_traitsISZ_E10value_typeET2_T3_PNS10_IS15_E10value_typeET4_jRbjT5_S1B_jjP12ihipStream_tbEUljE_EEESW_SX_SY_S15_S19_S1B_T6_T7_T9_mT8_S1D_bDpT10_ENKUlT_T0_E_clISt17integral_constantIbLb1EES1P_IbLb0EEEEDaS1L_S1M_EUlS1L_E_NS1_11comp_targetILNS1_3genE2ELNS1_11target_archE906ELNS1_3gpuE6ELNS1_3repE0EEENS1_30default_config_static_selectorELNS0_4arch9wavefront6targetE0EEEvSZ_.numbered_sgpr, 0
	.set _ZN7rocprim17ROCPRIM_400000_NS6detail17trampoline_kernelINS0_13select_configILj256ELj13ELNS0_17block_load_methodE3ELS4_3ELS4_3ELNS0_20block_scan_algorithmE0ELj4294967295EEENS1_25partition_config_selectorILNS1_17partition_subalgoE3EjNS0_10empty_typeEbEEZZNS1_14partition_implILS8_3ELb0ES6_jNS0_17counting_iteratorIjlEEPS9_SE_NS0_5tupleIJPjSE_EEENSF_IJSE_SE_EEES9_SG_JZNS1_25segmented_radix_sort_implINS0_14default_configELb0EPK12hip_bfloat16PSL_PKlPlN2at6native12_GLOBAL__N_18offset_tEEE10hipError_tPvRmT1_PNSt15iterator_traitsISZ_E10value_typeET2_T3_PNS10_IS15_E10value_typeET4_jRbjT5_S1B_jjP12ihipStream_tbEUljE_EEESW_SX_SY_S15_S19_S1B_T6_T7_T9_mT8_S1D_bDpT10_ENKUlT_T0_E_clISt17integral_constantIbLb1EES1P_IbLb0EEEEDaS1L_S1M_EUlS1L_E_NS1_11comp_targetILNS1_3genE2ELNS1_11target_archE906ELNS1_3gpuE6ELNS1_3repE0EEENS1_30default_config_static_selectorELNS0_4arch9wavefront6targetE0EEEvSZ_.num_named_barrier, 0
	.set _ZN7rocprim17ROCPRIM_400000_NS6detail17trampoline_kernelINS0_13select_configILj256ELj13ELNS0_17block_load_methodE3ELS4_3ELS4_3ELNS0_20block_scan_algorithmE0ELj4294967295EEENS1_25partition_config_selectorILNS1_17partition_subalgoE3EjNS0_10empty_typeEbEEZZNS1_14partition_implILS8_3ELb0ES6_jNS0_17counting_iteratorIjlEEPS9_SE_NS0_5tupleIJPjSE_EEENSF_IJSE_SE_EEES9_SG_JZNS1_25segmented_radix_sort_implINS0_14default_configELb0EPK12hip_bfloat16PSL_PKlPlN2at6native12_GLOBAL__N_18offset_tEEE10hipError_tPvRmT1_PNSt15iterator_traitsISZ_E10value_typeET2_T3_PNS10_IS15_E10value_typeET4_jRbjT5_S1B_jjP12ihipStream_tbEUljE_EEESW_SX_SY_S15_S19_S1B_T6_T7_T9_mT8_S1D_bDpT10_ENKUlT_T0_E_clISt17integral_constantIbLb1EES1P_IbLb0EEEEDaS1L_S1M_EUlS1L_E_NS1_11comp_targetILNS1_3genE2ELNS1_11target_archE906ELNS1_3gpuE6ELNS1_3repE0EEENS1_30default_config_static_selectorELNS0_4arch9wavefront6targetE0EEEvSZ_.private_seg_size, 0
	.set _ZN7rocprim17ROCPRIM_400000_NS6detail17trampoline_kernelINS0_13select_configILj256ELj13ELNS0_17block_load_methodE3ELS4_3ELS4_3ELNS0_20block_scan_algorithmE0ELj4294967295EEENS1_25partition_config_selectorILNS1_17partition_subalgoE3EjNS0_10empty_typeEbEEZZNS1_14partition_implILS8_3ELb0ES6_jNS0_17counting_iteratorIjlEEPS9_SE_NS0_5tupleIJPjSE_EEENSF_IJSE_SE_EEES9_SG_JZNS1_25segmented_radix_sort_implINS0_14default_configELb0EPK12hip_bfloat16PSL_PKlPlN2at6native12_GLOBAL__N_18offset_tEEE10hipError_tPvRmT1_PNSt15iterator_traitsISZ_E10value_typeET2_T3_PNS10_IS15_E10value_typeET4_jRbjT5_S1B_jjP12ihipStream_tbEUljE_EEESW_SX_SY_S15_S19_S1B_T6_T7_T9_mT8_S1D_bDpT10_ENKUlT_T0_E_clISt17integral_constantIbLb1EES1P_IbLb0EEEEDaS1L_S1M_EUlS1L_E_NS1_11comp_targetILNS1_3genE2ELNS1_11target_archE906ELNS1_3gpuE6ELNS1_3repE0EEENS1_30default_config_static_selectorELNS0_4arch9wavefront6targetE0EEEvSZ_.uses_vcc, 0
	.set _ZN7rocprim17ROCPRIM_400000_NS6detail17trampoline_kernelINS0_13select_configILj256ELj13ELNS0_17block_load_methodE3ELS4_3ELS4_3ELNS0_20block_scan_algorithmE0ELj4294967295EEENS1_25partition_config_selectorILNS1_17partition_subalgoE3EjNS0_10empty_typeEbEEZZNS1_14partition_implILS8_3ELb0ES6_jNS0_17counting_iteratorIjlEEPS9_SE_NS0_5tupleIJPjSE_EEENSF_IJSE_SE_EEES9_SG_JZNS1_25segmented_radix_sort_implINS0_14default_configELb0EPK12hip_bfloat16PSL_PKlPlN2at6native12_GLOBAL__N_18offset_tEEE10hipError_tPvRmT1_PNSt15iterator_traitsISZ_E10value_typeET2_T3_PNS10_IS15_E10value_typeET4_jRbjT5_S1B_jjP12ihipStream_tbEUljE_EEESW_SX_SY_S15_S19_S1B_T6_T7_T9_mT8_S1D_bDpT10_ENKUlT_T0_E_clISt17integral_constantIbLb1EES1P_IbLb0EEEEDaS1L_S1M_EUlS1L_E_NS1_11comp_targetILNS1_3genE2ELNS1_11target_archE906ELNS1_3gpuE6ELNS1_3repE0EEENS1_30default_config_static_selectorELNS0_4arch9wavefront6targetE0EEEvSZ_.uses_flat_scratch, 0
	.set _ZN7rocprim17ROCPRIM_400000_NS6detail17trampoline_kernelINS0_13select_configILj256ELj13ELNS0_17block_load_methodE3ELS4_3ELS4_3ELNS0_20block_scan_algorithmE0ELj4294967295EEENS1_25partition_config_selectorILNS1_17partition_subalgoE3EjNS0_10empty_typeEbEEZZNS1_14partition_implILS8_3ELb0ES6_jNS0_17counting_iteratorIjlEEPS9_SE_NS0_5tupleIJPjSE_EEENSF_IJSE_SE_EEES9_SG_JZNS1_25segmented_radix_sort_implINS0_14default_configELb0EPK12hip_bfloat16PSL_PKlPlN2at6native12_GLOBAL__N_18offset_tEEE10hipError_tPvRmT1_PNSt15iterator_traitsISZ_E10value_typeET2_T3_PNS10_IS15_E10value_typeET4_jRbjT5_S1B_jjP12ihipStream_tbEUljE_EEESW_SX_SY_S15_S19_S1B_T6_T7_T9_mT8_S1D_bDpT10_ENKUlT_T0_E_clISt17integral_constantIbLb1EES1P_IbLb0EEEEDaS1L_S1M_EUlS1L_E_NS1_11comp_targetILNS1_3genE2ELNS1_11target_archE906ELNS1_3gpuE6ELNS1_3repE0EEENS1_30default_config_static_selectorELNS0_4arch9wavefront6targetE0EEEvSZ_.has_dyn_sized_stack, 0
	.set _ZN7rocprim17ROCPRIM_400000_NS6detail17trampoline_kernelINS0_13select_configILj256ELj13ELNS0_17block_load_methodE3ELS4_3ELS4_3ELNS0_20block_scan_algorithmE0ELj4294967295EEENS1_25partition_config_selectorILNS1_17partition_subalgoE3EjNS0_10empty_typeEbEEZZNS1_14partition_implILS8_3ELb0ES6_jNS0_17counting_iteratorIjlEEPS9_SE_NS0_5tupleIJPjSE_EEENSF_IJSE_SE_EEES9_SG_JZNS1_25segmented_radix_sort_implINS0_14default_configELb0EPK12hip_bfloat16PSL_PKlPlN2at6native12_GLOBAL__N_18offset_tEEE10hipError_tPvRmT1_PNSt15iterator_traitsISZ_E10value_typeET2_T3_PNS10_IS15_E10value_typeET4_jRbjT5_S1B_jjP12ihipStream_tbEUljE_EEESW_SX_SY_S15_S19_S1B_T6_T7_T9_mT8_S1D_bDpT10_ENKUlT_T0_E_clISt17integral_constantIbLb1EES1P_IbLb0EEEEDaS1L_S1M_EUlS1L_E_NS1_11comp_targetILNS1_3genE2ELNS1_11target_archE906ELNS1_3gpuE6ELNS1_3repE0EEENS1_30default_config_static_selectorELNS0_4arch9wavefront6targetE0EEEvSZ_.has_recursion, 0
	.set _ZN7rocprim17ROCPRIM_400000_NS6detail17trampoline_kernelINS0_13select_configILj256ELj13ELNS0_17block_load_methodE3ELS4_3ELS4_3ELNS0_20block_scan_algorithmE0ELj4294967295EEENS1_25partition_config_selectorILNS1_17partition_subalgoE3EjNS0_10empty_typeEbEEZZNS1_14partition_implILS8_3ELb0ES6_jNS0_17counting_iteratorIjlEEPS9_SE_NS0_5tupleIJPjSE_EEENSF_IJSE_SE_EEES9_SG_JZNS1_25segmented_radix_sort_implINS0_14default_configELb0EPK12hip_bfloat16PSL_PKlPlN2at6native12_GLOBAL__N_18offset_tEEE10hipError_tPvRmT1_PNSt15iterator_traitsISZ_E10value_typeET2_T3_PNS10_IS15_E10value_typeET4_jRbjT5_S1B_jjP12ihipStream_tbEUljE_EEESW_SX_SY_S15_S19_S1B_T6_T7_T9_mT8_S1D_bDpT10_ENKUlT_T0_E_clISt17integral_constantIbLb1EES1P_IbLb0EEEEDaS1L_S1M_EUlS1L_E_NS1_11comp_targetILNS1_3genE2ELNS1_11target_archE906ELNS1_3gpuE6ELNS1_3repE0EEENS1_30default_config_static_selectorELNS0_4arch9wavefront6targetE0EEEvSZ_.has_indirect_call, 0
	.section	.AMDGPU.csdata,"",@progbits
; Kernel info:
; codeLenInByte = 0
; TotalNumSgprs: 0
; NumVgprs: 0
; ScratchSize: 0
; MemoryBound: 0
; FloatMode: 240
; IeeeMode: 1
; LDSByteSize: 0 bytes/workgroup (compile time only)
; SGPRBlocks: 0
; VGPRBlocks: 0
; NumSGPRsForWavesPerEU: 1
; NumVGPRsForWavesPerEU: 1
; NamedBarCnt: 0
; Occupancy: 16
; WaveLimiterHint : 0
; COMPUTE_PGM_RSRC2:SCRATCH_EN: 0
; COMPUTE_PGM_RSRC2:USER_SGPR: 2
; COMPUTE_PGM_RSRC2:TRAP_HANDLER: 0
; COMPUTE_PGM_RSRC2:TGID_X_EN: 1
; COMPUTE_PGM_RSRC2:TGID_Y_EN: 0
; COMPUTE_PGM_RSRC2:TGID_Z_EN: 0
; COMPUTE_PGM_RSRC2:TIDIG_COMP_CNT: 0
	.section	.text._ZN7rocprim17ROCPRIM_400000_NS6detail17trampoline_kernelINS0_13select_configILj256ELj13ELNS0_17block_load_methodE3ELS4_3ELS4_3ELNS0_20block_scan_algorithmE0ELj4294967295EEENS1_25partition_config_selectorILNS1_17partition_subalgoE3EjNS0_10empty_typeEbEEZZNS1_14partition_implILS8_3ELb0ES6_jNS0_17counting_iteratorIjlEEPS9_SE_NS0_5tupleIJPjSE_EEENSF_IJSE_SE_EEES9_SG_JZNS1_25segmented_radix_sort_implINS0_14default_configELb0EPK12hip_bfloat16PSL_PKlPlN2at6native12_GLOBAL__N_18offset_tEEE10hipError_tPvRmT1_PNSt15iterator_traitsISZ_E10value_typeET2_T3_PNS10_IS15_E10value_typeET4_jRbjT5_S1B_jjP12ihipStream_tbEUljE_EEESW_SX_SY_S15_S19_S1B_T6_T7_T9_mT8_S1D_bDpT10_ENKUlT_T0_E_clISt17integral_constantIbLb1EES1P_IbLb0EEEEDaS1L_S1M_EUlS1L_E_NS1_11comp_targetILNS1_3genE10ELNS1_11target_archE1200ELNS1_3gpuE4ELNS1_3repE0EEENS1_30default_config_static_selectorELNS0_4arch9wavefront6targetE0EEEvSZ_,"axG",@progbits,_ZN7rocprim17ROCPRIM_400000_NS6detail17trampoline_kernelINS0_13select_configILj256ELj13ELNS0_17block_load_methodE3ELS4_3ELS4_3ELNS0_20block_scan_algorithmE0ELj4294967295EEENS1_25partition_config_selectorILNS1_17partition_subalgoE3EjNS0_10empty_typeEbEEZZNS1_14partition_implILS8_3ELb0ES6_jNS0_17counting_iteratorIjlEEPS9_SE_NS0_5tupleIJPjSE_EEENSF_IJSE_SE_EEES9_SG_JZNS1_25segmented_radix_sort_implINS0_14default_configELb0EPK12hip_bfloat16PSL_PKlPlN2at6native12_GLOBAL__N_18offset_tEEE10hipError_tPvRmT1_PNSt15iterator_traitsISZ_E10value_typeET2_T3_PNS10_IS15_E10value_typeET4_jRbjT5_S1B_jjP12ihipStream_tbEUljE_EEESW_SX_SY_S15_S19_S1B_T6_T7_T9_mT8_S1D_bDpT10_ENKUlT_T0_E_clISt17integral_constantIbLb1EES1P_IbLb0EEEEDaS1L_S1M_EUlS1L_E_NS1_11comp_targetILNS1_3genE10ELNS1_11target_archE1200ELNS1_3gpuE4ELNS1_3repE0EEENS1_30default_config_static_selectorELNS0_4arch9wavefront6targetE0EEEvSZ_,comdat
	.globl	_ZN7rocprim17ROCPRIM_400000_NS6detail17trampoline_kernelINS0_13select_configILj256ELj13ELNS0_17block_load_methodE3ELS4_3ELS4_3ELNS0_20block_scan_algorithmE0ELj4294967295EEENS1_25partition_config_selectorILNS1_17partition_subalgoE3EjNS0_10empty_typeEbEEZZNS1_14partition_implILS8_3ELb0ES6_jNS0_17counting_iteratorIjlEEPS9_SE_NS0_5tupleIJPjSE_EEENSF_IJSE_SE_EEES9_SG_JZNS1_25segmented_radix_sort_implINS0_14default_configELb0EPK12hip_bfloat16PSL_PKlPlN2at6native12_GLOBAL__N_18offset_tEEE10hipError_tPvRmT1_PNSt15iterator_traitsISZ_E10value_typeET2_T3_PNS10_IS15_E10value_typeET4_jRbjT5_S1B_jjP12ihipStream_tbEUljE_EEESW_SX_SY_S15_S19_S1B_T6_T7_T9_mT8_S1D_bDpT10_ENKUlT_T0_E_clISt17integral_constantIbLb1EES1P_IbLb0EEEEDaS1L_S1M_EUlS1L_E_NS1_11comp_targetILNS1_3genE10ELNS1_11target_archE1200ELNS1_3gpuE4ELNS1_3repE0EEENS1_30default_config_static_selectorELNS0_4arch9wavefront6targetE0EEEvSZ_ ; -- Begin function _ZN7rocprim17ROCPRIM_400000_NS6detail17trampoline_kernelINS0_13select_configILj256ELj13ELNS0_17block_load_methodE3ELS4_3ELS4_3ELNS0_20block_scan_algorithmE0ELj4294967295EEENS1_25partition_config_selectorILNS1_17partition_subalgoE3EjNS0_10empty_typeEbEEZZNS1_14partition_implILS8_3ELb0ES6_jNS0_17counting_iteratorIjlEEPS9_SE_NS0_5tupleIJPjSE_EEENSF_IJSE_SE_EEES9_SG_JZNS1_25segmented_radix_sort_implINS0_14default_configELb0EPK12hip_bfloat16PSL_PKlPlN2at6native12_GLOBAL__N_18offset_tEEE10hipError_tPvRmT1_PNSt15iterator_traitsISZ_E10value_typeET2_T3_PNS10_IS15_E10value_typeET4_jRbjT5_S1B_jjP12ihipStream_tbEUljE_EEESW_SX_SY_S15_S19_S1B_T6_T7_T9_mT8_S1D_bDpT10_ENKUlT_T0_E_clISt17integral_constantIbLb1EES1P_IbLb0EEEEDaS1L_S1M_EUlS1L_E_NS1_11comp_targetILNS1_3genE10ELNS1_11target_archE1200ELNS1_3gpuE4ELNS1_3repE0EEENS1_30default_config_static_selectorELNS0_4arch9wavefront6targetE0EEEvSZ_
	.p2align	8
	.type	_ZN7rocprim17ROCPRIM_400000_NS6detail17trampoline_kernelINS0_13select_configILj256ELj13ELNS0_17block_load_methodE3ELS4_3ELS4_3ELNS0_20block_scan_algorithmE0ELj4294967295EEENS1_25partition_config_selectorILNS1_17partition_subalgoE3EjNS0_10empty_typeEbEEZZNS1_14partition_implILS8_3ELb0ES6_jNS0_17counting_iteratorIjlEEPS9_SE_NS0_5tupleIJPjSE_EEENSF_IJSE_SE_EEES9_SG_JZNS1_25segmented_radix_sort_implINS0_14default_configELb0EPK12hip_bfloat16PSL_PKlPlN2at6native12_GLOBAL__N_18offset_tEEE10hipError_tPvRmT1_PNSt15iterator_traitsISZ_E10value_typeET2_T3_PNS10_IS15_E10value_typeET4_jRbjT5_S1B_jjP12ihipStream_tbEUljE_EEESW_SX_SY_S15_S19_S1B_T6_T7_T9_mT8_S1D_bDpT10_ENKUlT_T0_E_clISt17integral_constantIbLb1EES1P_IbLb0EEEEDaS1L_S1M_EUlS1L_E_NS1_11comp_targetILNS1_3genE10ELNS1_11target_archE1200ELNS1_3gpuE4ELNS1_3repE0EEENS1_30default_config_static_selectorELNS0_4arch9wavefront6targetE0EEEvSZ_,@function
_ZN7rocprim17ROCPRIM_400000_NS6detail17trampoline_kernelINS0_13select_configILj256ELj13ELNS0_17block_load_methodE3ELS4_3ELS4_3ELNS0_20block_scan_algorithmE0ELj4294967295EEENS1_25partition_config_selectorILNS1_17partition_subalgoE3EjNS0_10empty_typeEbEEZZNS1_14partition_implILS8_3ELb0ES6_jNS0_17counting_iteratorIjlEEPS9_SE_NS0_5tupleIJPjSE_EEENSF_IJSE_SE_EEES9_SG_JZNS1_25segmented_radix_sort_implINS0_14default_configELb0EPK12hip_bfloat16PSL_PKlPlN2at6native12_GLOBAL__N_18offset_tEEE10hipError_tPvRmT1_PNSt15iterator_traitsISZ_E10value_typeET2_T3_PNS10_IS15_E10value_typeET4_jRbjT5_S1B_jjP12ihipStream_tbEUljE_EEESW_SX_SY_S15_S19_S1B_T6_T7_T9_mT8_S1D_bDpT10_ENKUlT_T0_E_clISt17integral_constantIbLb1EES1P_IbLb0EEEEDaS1L_S1M_EUlS1L_E_NS1_11comp_targetILNS1_3genE10ELNS1_11target_archE1200ELNS1_3gpuE4ELNS1_3repE0EEENS1_30default_config_static_selectorELNS0_4arch9wavefront6targetE0EEEvSZ_: ; @_ZN7rocprim17ROCPRIM_400000_NS6detail17trampoline_kernelINS0_13select_configILj256ELj13ELNS0_17block_load_methodE3ELS4_3ELS4_3ELNS0_20block_scan_algorithmE0ELj4294967295EEENS1_25partition_config_selectorILNS1_17partition_subalgoE3EjNS0_10empty_typeEbEEZZNS1_14partition_implILS8_3ELb0ES6_jNS0_17counting_iteratorIjlEEPS9_SE_NS0_5tupleIJPjSE_EEENSF_IJSE_SE_EEES9_SG_JZNS1_25segmented_radix_sort_implINS0_14default_configELb0EPK12hip_bfloat16PSL_PKlPlN2at6native12_GLOBAL__N_18offset_tEEE10hipError_tPvRmT1_PNSt15iterator_traitsISZ_E10value_typeET2_T3_PNS10_IS15_E10value_typeET4_jRbjT5_S1B_jjP12ihipStream_tbEUljE_EEESW_SX_SY_S15_S19_S1B_T6_T7_T9_mT8_S1D_bDpT10_ENKUlT_T0_E_clISt17integral_constantIbLb1EES1P_IbLb0EEEEDaS1L_S1M_EUlS1L_E_NS1_11comp_targetILNS1_3genE10ELNS1_11target_archE1200ELNS1_3gpuE4ELNS1_3repE0EEENS1_30default_config_static_selectorELNS0_4arch9wavefront6targetE0EEEvSZ_
; %bb.0:
	.section	.rodata,"a",@progbits
	.p2align	6, 0x0
	.amdhsa_kernel _ZN7rocprim17ROCPRIM_400000_NS6detail17trampoline_kernelINS0_13select_configILj256ELj13ELNS0_17block_load_methodE3ELS4_3ELS4_3ELNS0_20block_scan_algorithmE0ELj4294967295EEENS1_25partition_config_selectorILNS1_17partition_subalgoE3EjNS0_10empty_typeEbEEZZNS1_14partition_implILS8_3ELb0ES6_jNS0_17counting_iteratorIjlEEPS9_SE_NS0_5tupleIJPjSE_EEENSF_IJSE_SE_EEES9_SG_JZNS1_25segmented_radix_sort_implINS0_14default_configELb0EPK12hip_bfloat16PSL_PKlPlN2at6native12_GLOBAL__N_18offset_tEEE10hipError_tPvRmT1_PNSt15iterator_traitsISZ_E10value_typeET2_T3_PNS10_IS15_E10value_typeET4_jRbjT5_S1B_jjP12ihipStream_tbEUljE_EEESW_SX_SY_S15_S19_S1B_T6_T7_T9_mT8_S1D_bDpT10_ENKUlT_T0_E_clISt17integral_constantIbLb1EES1P_IbLb0EEEEDaS1L_S1M_EUlS1L_E_NS1_11comp_targetILNS1_3genE10ELNS1_11target_archE1200ELNS1_3gpuE4ELNS1_3repE0EEENS1_30default_config_static_selectorELNS0_4arch9wavefront6targetE0EEEvSZ_
		.amdhsa_group_segment_fixed_size 0
		.amdhsa_private_segment_fixed_size 0
		.amdhsa_kernarg_size 144
		.amdhsa_user_sgpr_count 2
		.amdhsa_user_sgpr_dispatch_ptr 0
		.amdhsa_user_sgpr_queue_ptr 0
		.amdhsa_user_sgpr_kernarg_segment_ptr 1
		.amdhsa_user_sgpr_dispatch_id 0
		.amdhsa_user_sgpr_kernarg_preload_length 0
		.amdhsa_user_sgpr_kernarg_preload_offset 0
		.amdhsa_user_sgpr_private_segment_size 0
		.amdhsa_wavefront_size32 1
		.amdhsa_uses_dynamic_stack 0
		.amdhsa_enable_private_segment 0
		.amdhsa_system_sgpr_workgroup_id_x 1
		.amdhsa_system_sgpr_workgroup_id_y 0
		.amdhsa_system_sgpr_workgroup_id_z 0
		.amdhsa_system_sgpr_workgroup_info 0
		.amdhsa_system_vgpr_workitem_id 0
		.amdhsa_next_free_vgpr 1
		.amdhsa_next_free_sgpr 1
		.amdhsa_named_barrier_count 0
		.amdhsa_reserve_vcc 0
		.amdhsa_float_round_mode_32 0
		.amdhsa_float_round_mode_16_64 0
		.amdhsa_float_denorm_mode_32 3
		.amdhsa_float_denorm_mode_16_64 3
		.amdhsa_fp16_overflow 0
		.amdhsa_memory_ordered 1
		.amdhsa_forward_progress 1
		.amdhsa_inst_pref_size 0
		.amdhsa_round_robin_scheduling 0
		.amdhsa_exception_fp_ieee_invalid_op 0
		.amdhsa_exception_fp_denorm_src 0
		.amdhsa_exception_fp_ieee_div_zero 0
		.amdhsa_exception_fp_ieee_overflow 0
		.amdhsa_exception_fp_ieee_underflow 0
		.amdhsa_exception_fp_ieee_inexact 0
		.amdhsa_exception_int_div_zero 0
	.end_amdhsa_kernel
	.section	.text._ZN7rocprim17ROCPRIM_400000_NS6detail17trampoline_kernelINS0_13select_configILj256ELj13ELNS0_17block_load_methodE3ELS4_3ELS4_3ELNS0_20block_scan_algorithmE0ELj4294967295EEENS1_25partition_config_selectorILNS1_17partition_subalgoE3EjNS0_10empty_typeEbEEZZNS1_14partition_implILS8_3ELb0ES6_jNS0_17counting_iteratorIjlEEPS9_SE_NS0_5tupleIJPjSE_EEENSF_IJSE_SE_EEES9_SG_JZNS1_25segmented_radix_sort_implINS0_14default_configELb0EPK12hip_bfloat16PSL_PKlPlN2at6native12_GLOBAL__N_18offset_tEEE10hipError_tPvRmT1_PNSt15iterator_traitsISZ_E10value_typeET2_T3_PNS10_IS15_E10value_typeET4_jRbjT5_S1B_jjP12ihipStream_tbEUljE_EEESW_SX_SY_S15_S19_S1B_T6_T7_T9_mT8_S1D_bDpT10_ENKUlT_T0_E_clISt17integral_constantIbLb1EES1P_IbLb0EEEEDaS1L_S1M_EUlS1L_E_NS1_11comp_targetILNS1_3genE10ELNS1_11target_archE1200ELNS1_3gpuE4ELNS1_3repE0EEENS1_30default_config_static_selectorELNS0_4arch9wavefront6targetE0EEEvSZ_,"axG",@progbits,_ZN7rocprim17ROCPRIM_400000_NS6detail17trampoline_kernelINS0_13select_configILj256ELj13ELNS0_17block_load_methodE3ELS4_3ELS4_3ELNS0_20block_scan_algorithmE0ELj4294967295EEENS1_25partition_config_selectorILNS1_17partition_subalgoE3EjNS0_10empty_typeEbEEZZNS1_14partition_implILS8_3ELb0ES6_jNS0_17counting_iteratorIjlEEPS9_SE_NS0_5tupleIJPjSE_EEENSF_IJSE_SE_EEES9_SG_JZNS1_25segmented_radix_sort_implINS0_14default_configELb0EPK12hip_bfloat16PSL_PKlPlN2at6native12_GLOBAL__N_18offset_tEEE10hipError_tPvRmT1_PNSt15iterator_traitsISZ_E10value_typeET2_T3_PNS10_IS15_E10value_typeET4_jRbjT5_S1B_jjP12ihipStream_tbEUljE_EEESW_SX_SY_S15_S19_S1B_T6_T7_T9_mT8_S1D_bDpT10_ENKUlT_T0_E_clISt17integral_constantIbLb1EES1P_IbLb0EEEEDaS1L_S1M_EUlS1L_E_NS1_11comp_targetILNS1_3genE10ELNS1_11target_archE1200ELNS1_3gpuE4ELNS1_3repE0EEENS1_30default_config_static_selectorELNS0_4arch9wavefront6targetE0EEEvSZ_,comdat
.Lfunc_end2028:
	.size	_ZN7rocprim17ROCPRIM_400000_NS6detail17trampoline_kernelINS0_13select_configILj256ELj13ELNS0_17block_load_methodE3ELS4_3ELS4_3ELNS0_20block_scan_algorithmE0ELj4294967295EEENS1_25partition_config_selectorILNS1_17partition_subalgoE3EjNS0_10empty_typeEbEEZZNS1_14partition_implILS8_3ELb0ES6_jNS0_17counting_iteratorIjlEEPS9_SE_NS0_5tupleIJPjSE_EEENSF_IJSE_SE_EEES9_SG_JZNS1_25segmented_radix_sort_implINS0_14default_configELb0EPK12hip_bfloat16PSL_PKlPlN2at6native12_GLOBAL__N_18offset_tEEE10hipError_tPvRmT1_PNSt15iterator_traitsISZ_E10value_typeET2_T3_PNS10_IS15_E10value_typeET4_jRbjT5_S1B_jjP12ihipStream_tbEUljE_EEESW_SX_SY_S15_S19_S1B_T6_T7_T9_mT8_S1D_bDpT10_ENKUlT_T0_E_clISt17integral_constantIbLb1EES1P_IbLb0EEEEDaS1L_S1M_EUlS1L_E_NS1_11comp_targetILNS1_3genE10ELNS1_11target_archE1200ELNS1_3gpuE4ELNS1_3repE0EEENS1_30default_config_static_selectorELNS0_4arch9wavefront6targetE0EEEvSZ_, .Lfunc_end2028-_ZN7rocprim17ROCPRIM_400000_NS6detail17trampoline_kernelINS0_13select_configILj256ELj13ELNS0_17block_load_methodE3ELS4_3ELS4_3ELNS0_20block_scan_algorithmE0ELj4294967295EEENS1_25partition_config_selectorILNS1_17partition_subalgoE3EjNS0_10empty_typeEbEEZZNS1_14partition_implILS8_3ELb0ES6_jNS0_17counting_iteratorIjlEEPS9_SE_NS0_5tupleIJPjSE_EEENSF_IJSE_SE_EEES9_SG_JZNS1_25segmented_radix_sort_implINS0_14default_configELb0EPK12hip_bfloat16PSL_PKlPlN2at6native12_GLOBAL__N_18offset_tEEE10hipError_tPvRmT1_PNSt15iterator_traitsISZ_E10value_typeET2_T3_PNS10_IS15_E10value_typeET4_jRbjT5_S1B_jjP12ihipStream_tbEUljE_EEESW_SX_SY_S15_S19_S1B_T6_T7_T9_mT8_S1D_bDpT10_ENKUlT_T0_E_clISt17integral_constantIbLb1EES1P_IbLb0EEEEDaS1L_S1M_EUlS1L_E_NS1_11comp_targetILNS1_3genE10ELNS1_11target_archE1200ELNS1_3gpuE4ELNS1_3repE0EEENS1_30default_config_static_selectorELNS0_4arch9wavefront6targetE0EEEvSZ_
                                        ; -- End function
	.set _ZN7rocprim17ROCPRIM_400000_NS6detail17trampoline_kernelINS0_13select_configILj256ELj13ELNS0_17block_load_methodE3ELS4_3ELS4_3ELNS0_20block_scan_algorithmE0ELj4294967295EEENS1_25partition_config_selectorILNS1_17partition_subalgoE3EjNS0_10empty_typeEbEEZZNS1_14partition_implILS8_3ELb0ES6_jNS0_17counting_iteratorIjlEEPS9_SE_NS0_5tupleIJPjSE_EEENSF_IJSE_SE_EEES9_SG_JZNS1_25segmented_radix_sort_implINS0_14default_configELb0EPK12hip_bfloat16PSL_PKlPlN2at6native12_GLOBAL__N_18offset_tEEE10hipError_tPvRmT1_PNSt15iterator_traitsISZ_E10value_typeET2_T3_PNS10_IS15_E10value_typeET4_jRbjT5_S1B_jjP12ihipStream_tbEUljE_EEESW_SX_SY_S15_S19_S1B_T6_T7_T9_mT8_S1D_bDpT10_ENKUlT_T0_E_clISt17integral_constantIbLb1EES1P_IbLb0EEEEDaS1L_S1M_EUlS1L_E_NS1_11comp_targetILNS1_3genE10ELNS1_11target_archE1200ELNS1_3gpuE4ELNS1_3repE0EEENS1_30default_config_static_selectorELNS0_4arch9wavefront6targetE0EEEvSZ_.num_vgpr, 0
	.set _ZN7rocprim17ROCPRIM_400000_NS6detail17trampoline_kernelINS0_13select_configILj256ELj13ELNS0_17block_load_methodE3ELS4_3ELS4_3ELNS0_20block_scan_algorithmE0ELj4294967295EEENS1_25partition_config_selectorILNS1_17partition_subalgoE3EjNS0_10empty_typeEbEEZZNS1_14partition_implILS8_3ELb0ES6_jNS0_17counting_iteratorIjlEEPS9_SE_NS0_5tupleIJPjSE_EEENSF_IJSE_SE_EEES9_SG_JZNS1_25segmented_radix_sort_implINS0_14default_configELb0EPK12hip_bfloat16PSL_PKlPlN2at6native12_GLOBAL__N_18offset_tEEE10hipError_tPvRmT1_PNSt15iterator_traitsISZ_E10value_typeET2_T3_PNS10_IS15_E10value_typeET4_jRbjT5_S1B_jjP12ihipStream_tbEUljE_EEESW_SX_SY_S15_S19_S1B_T6_T7_T9_mT8_S1D_bDpT10_ENKUlT_T0_E_clISt17integral_constantIbLb1EES1P_IbLb0EEEEDaS1L_S1M_EUlS1L_E_NS1_11comp_targetILNS1_3genE10ELNS1_11target_archE1200ELNS1_3gpuE4ELNS1_3repE0EEENS1_30default_config_static_selectorELNS0_4arch9wavefront6targetE0EEEvSZ_.num_agpr, 0
	.set _ZN7rocprim17ROCPRIM_400000_NS6detail17trampoline_kernelINS0_13select_configILj256ELj13ELNS0_17block_load_methodE3ELS4_3ELS4_3ELNS0_20block_scan_algorithmE0ELj4294967295EEENS1_25partition_config_selectorILNS1_17partition_subalgoE3EjNS0_10empty_typeEbEEZZNS1_14partition_implILS8_3ELb0ES6_jNS0_17counting_iteratorIjlEEPS9_SE_NS0_5tupleIJPjSE_EEENSF_IJSE_SE_EEES9_SG_JZNS1_25segmented_radix_sort_implINS0_14default_configELb0EPK12hip_bfloat16PSL_PKlPlN2at6native12_GLOBAL__N_18offset_tEEE10hipError_tPvRmT1_PNSt15iterator_traitsISZ_E10value_typeET2_T3_PNS10_IS15_E10value_typeET4_jRbjT5_S1B_jjP12ihipStream_tbEUljE_EEESW_SX_SY_S15_S19_S1B_T6_T7_T9_mT8_S1D_bDpT10_ENKUlT_T0_E_clISt17integral_constantIbLb1EES1P_IbLb0EEEEDaS1L_S1M_EUlS1L_E_NS1_11comp_targetILNS1_3genE10ELNS1_11target_archE1200ELNS1_3gpuE4ELNS1_3repE0EEENS1_30default_config_static_selectorELNS0_4arch9wavefront6targetE0EEEvSZ_.numbered_sgpr, 0
	.set _ZN7rocprim17ROCPRIM_400000_NS6detail17trampoline_kernelINS0_13select_configILj256ELj13ELNS0_17block_load_methodE3ELS4_3ELS4_3ELNS0_20block_scan_algorithmE0ELj4294967295EEENS1_25partition_config_selectorILNS1_17partition_subalgoE3EjNS0_10empty_typeEbEEZZNS1_14partition_implILS8_3ELb0ES6_jNS0_17counting_iteratorIjlEEPS9_SE_NS0_5tupleIJPjSE_EEENSF_IJSE_SE_EEES9_SG_JZNS1_25segmented_radix_sort_implINS0_14default_configELb0EPK12hip_bfloat16PSL_PKlPlN2at6native12_GLOBAL__N_18offset_tEEE10hipError_tPvRmT1_PNSt15iterator_traitsISZ_E10value_typeET2_T3_PNS10_IS15_E10value_typeET4_jRbjT5_S1B_jjP12ihipStream_tbEUljE_EEESW_SX_SY_S15_S19_S1B_T6_T7_T9_mT8_S1D_bDpT10_ENKUlT_T0_E_clISt17integral_constantIbLb1EES1P_IbLb0EEEEDaS1L_S1M_EUlS1L_E_NS1_11comp_targetILNS1_3genE10ELNS1_11target_archE1200ELNS1_3gpuE4ELNS1_3repE0EEENS1_30default_config_static_selectorELNS0_4arch9wavefront6targetE0EEEvSZ_.num_named_barrier, 0
	.set _ZN7rocprim17ROCPRIM_400000_NS6detail17trampoline_kernelINS0_13select_configILj256ELj13ELNS0_17block_load_methodE3ELS4_3ELS4_3ELNS0_20block_scan_algorithmE0ELj4294967295EEENS1_25partition_config_selectorILNS1_17partition_subalgoE3EjNS0_10empty_typeEbEEZZNS1_14partition_implILS8_3ELb0ES6_jNS0_17counting_iteratorIjlEEPS9_SE_NS0_5tupleIJPjSE_EEENSF_IJSE_SE_EEES9_SG_JZNS1_25segmented_radix_sort_implINS0_14default_configELb0EPK12hip_bfloat16PSL_PKlPlN2at6native12_GLOBAL__N_18offset_tEEE10hipError_tPvRmT1_PNSt15iterator_traitsISZ_E10value_typeET2_T3_PNS10_IS15_E10value_typeET4_jRbjT5_S1B_jjP12ihipStream_tbEUljE_EEESW_SX_SY_S15_S19_S1B_T6_T7_T9_mT8_S1D_bDpT10_ENKUlT_T0_E_clISt17integral_constantIbLb1EES1P_IbLb0EEEEDaS1L_S1M_EUlS1L_E_NS1_11comp_targetILNS1_3genE10ELNS1_11target_archE1200ELNS1_3gpuE4ELNS1_3repE0EEENS1_30default_config_static_selectorELNS0_4arch9wavefront6targetE0EEEvSZ_.private_seg_size, 0
	.set _ZN7rocprim17ROCPRIM_400000_NS6detail17trampoline_kernelINS0_13select_configILj256ELj13ELNS0_17block_load_methodE3ELS4_3ELS4_3ELNS0_20block_scan_algorithmE0ELj4294967295EEENS1_25partition_config_selectorILNS1_17partition_subalgoE3EjNS0_10empty_typeEbEEZZNS1_14partition_implILS8_3ELb0ES6_jNS0_17counting_iteratorIjlEEPS9_SE_NS0_5tupleIJPjSE_EEENSF_IJSE_SE_EEES9_SG_JZNS1_25segmented_radix_sort_implINS0_14default_configELb0EPK12hip_bfloat16PSL_PKlPlN2at6native12_GLOBAL__N_18offset_tEEE10hipError_tPvRmT1_PNSt15iterator_traitsISZ_E10value_typeET2_T3_PNS10_IS15_E10value_typeET4_jRbjT5_S1B_jjP12ihipStream_tbEUljE_EEESW_SX_SY_S15_S19_S1B_T6_T7_T9_mT8_S1D_bDpT10_ENKUlT_T0_E_clISt17integral_constantIbLb1EES1P_IbLb0EEEEDaS1L_S1M_EUlS1L_E_NS1_11comp_targetILNS1_3genE10ELNS1_11target_archE1200ELNS1_3gpuE4ELNS1_3repE0EEENS1_30default_config_static_selectorELNS0_4arch9wavefront6targetE0EEEvSZ_.uses_vcc, 0
	.set _ZN7rocprim17ROCPRIM_400000_NS6detail17trampoline_kernelINS0_13select_configILj256ELj13ELNS0_17block_load_methodE3ELS4_3ELS4_3ELNS0_20block_scan_algorithmE0ELj4294967295EEENS1_25partition_config_selectorILNS1_17partition_subalgoE3EjNS0_10empty_typeEbEEZZNS1_14partition_implILS8_3ELb0ES6_jNS0_17counting_iteratorIjlEEPS9_SE_NS0_5tupleIJPjSE_EEENSF_IJSE_SE_EEES9_SG_JZNS1_25segmented_radix_sort_implINS0_14default_configELb0EPK12hip_bfloat16PSL_PKlPlN2at6native12_GLOBAL__N_18offset_tEEE10hipError_tPvRmT1_PNSt15iterator_traitsISZ_E10value_typeET2_T3_PNS10_IS15_E10value_typeET4_jRbjT5_S1B_jjP12ihipStream_tbEUljE_EEESW_SX_SY_S15_S19_S1B_T6_T7_T9_mT8_S1D_bDpT10_ENKUlT_T0_E_clISt17integral_constantIbLb1EES1P_IbLb0EEEEDaS1L_S1M_EUlS1L_E_NS1_11comp_targetILNS1_3genE10ELNS1_11target_archE1200ELNS1_3gpuE4ELNS1_3repE0EEENS1_30default_config_static_selectorELNS0_4arch9wavefront6targetE0EEEvSZ_.uses_flat_scratch, 0
	.set _ZN7rocprim17ROCPRIM_400000_NS6detail17trampoline_kernelINS0_13select_configILj256ELj13ELNS0_17block_load_methodE3ELS4_3ELS4_3ELNS0_20block_scan_algorithmE0ELj4294967295EEENS1_25partition_config_selectorILNS1_17partition_subalgoE3EjNS0_10empty_typeEbEEZZNS1_14partition_implILS8_3ELb0ES6_jNS0_17counting_iteratorIjlEEPS9_SE_NS0_5tupleIJPjSE_EEENSF_IJSE_SE_EEES9_SG_JZNS1_25segmented_radix_sort_implINS0_14default_configELb0EPK12hip_bfloat16PSL_PKlPlN2at6native12_GLOBAL__N_18offset_tEEE10hipError_tPvRmT1_PNSt15iterator_traitsISZ_E10value_typeET2_T3_PNS10_IS15_E10value_typeET4_jRbjT5_S1B_jjP12ihipStream_tbEUljE_EEESW_SX_SY_S15_S19_S1B_T6_T7_T9_mT8_S1D_bDpT10_ENKUlT_T0_E_clISt17integral_constantIbLb1EES1P_IbLb0EEEEDaS1L_S1M_EUlS1L_E_NS1_11comp_targetILNS1_3genE10ELNS1_11target_archE1200ELNS1_3gpuE4ELNS1_3repE0EEENS1_30default_config_static_selectorELNS0_4arch9wavefront6targetE0EEEvSZ_.has_dyn_sized_stack, 0
	.set _ZN7rocprim17ROCPRIM_400000_NS6detail17trampoline_kernelINS0_13select_configILj256ELj13ELNS0_17block_load_methodE3ELS4_3ELS4_3ELNS0_20block_scan_algorithmE0ELj4294967295EEENS1_25partition_config_selectorILNS1_17partition_subalgoE3EjNS0_10empty_typeEbEEZZNS1_14partition_implILS8_3ELb0ES6_jNS0_17counting_iteratorIjlEEPS9_SE_NS0_5tupleIJPjSE_EEENSF_IJSE_SE_EEES9_SG_JZNS1_25segmented_radix_sort_implINS0_14default_configELb0EPK12hip_bfloat16PSL_PKlPlN2at6native12_GLOBAL__N_18offset_tEEE10hipError_tPvRmT1_PNSt15iterator_traitsISZ_E10value_typeET2_T3_PNS10_IS15_E10value_typeET4_jRbjT5_S1B_jjP12ihipStream_tbEUljE_EEESW_SX_SY_S15_S19_S1B_T6_T7_T9_mT8_S1D_bDpT10_ENKUlT_T0_E_clISt17integral_constantIbLb1EES1P_IbLb0EEEEDaS1L_S1M_EUlS1L_E_NS1_11comp_targetILNS1_3genE10ELNS1_11target_archE1200ELNS1_3gpuE4ELNS1_3repE0EEENS1_30default_config_static_selectorELNS0_4arch9wavefront6targetE0EEEvSZ_.has_recursion, 0
	.set _ZN7rocprim17ROCPRIM_400000_NS6detail17trampoline_kernelINS0_13select_configILj256ELj13ELNS0_17block_load_methodE3ELS4_3ELS4_3ELNS0_20block_scan_algorithmE0ELj4294967295EEENS1_25partition_config_selectorILNS1_17partition_subalgoE3EjNS0_10empty_typeEbEEZZNS1_14partition_implILS8_3ELb0ES6_jNS0_17counting_iteratorIjlEEPS9_SE_NS0_5tupleIJPjSE_EEENSF_IJSE_SE_EEES9_SG_JZNS1_25segmented_radix_sort_implINS0_14default_configELb0EPK12hip_bfloat16PSL_PKlPlN2at6native12_GLOBAL__N_18offset_tEEE10hipError_tPvRmT1_PNSt15iterator_traitsISZ_E10value_typeET2_T3_PNS10_IS15_E10value_typeET4_jRbjT5_S1B_jjP12ihipStream_tbEUljE_EEESW_SX_SY_S15_S19_S1B_T6_T7_T9_mT8_S1D_bDpT10_ENKUlT_T0_E_clISt17integral_constantIbLb1EES1P_IbLb0EEEEDaS1L_S1M_EUlS1L_E_NS1_11comp_targetILNS1_3genE10ELNS1_11target_archE1200ELNS1_3gpuE4ELNS1_3repE0EEENS1_30default_config_static_selectorELNS0_4arch9wavefront6targetE0EEEvSZ_.has_indirect_call, 0
	.section	.AMDGPU.csdata,"",@progbits
; Kernel info:
; codeLenInByte = 0
; TotalNumSgprs: 0
; NumVgprs: 0
; ScratchSize: 0
; MemoryBound: 0
; FloatMode: 240
; IeeeMode: 1
; LDSByteSize: 0 bytes/workgroup (compile time only)
; SGPRBlocks: 0
; VGPRBlocks: 0
; NumSGPRsForWavesPerEU: 1
; NumVGPRsForWavesPerEU: 1
; NamedBarCnt: 0
; Occupancy: 16
; WaveLimiterHint : 0
; COMPUTE_PGM_RSRC2:SCRATCH_EN: 0
; COMPUTE_PGM_RSRC2:USER_SGPR: 2
; COMPUTE_PGM_RSRC2:TRAP_HANDLER: 0
; COMPUTE_PGM_RSRC2:TGID_X_EN: 1
; COMPUTE_PGM_RSRC2:TGID_Y_EN: 0
; COMPUTE_PGM_RSRC2:TGID_Z_EN: 0
; COMPUTE_PGM_RSRC2:TIDIG_COMP_CNT: 0
	.section	.text._ZN7rocprim17ROCPRIM_400000_NS6detail17trampoline_kernelINS0_13select_configILj256ELj13ELNS0_17block_load_methodE3ELS4_3ELS4_3ELNS0_20block_scan_algorithmE0ELj4294967295EEENS1_25partition_config_selectorILNS1_17partition_subalgoE3EjNS0_10empty_typeEbEEZZNS1_14partition_implILS8_3ELb0ES6_jNS0_17counting_iteratorIjlEEPS9_SE_NS0_5tupleIJPjSE_EEENSF_IJSE_SE_EEES9_SG_JZNS1_25segmented_radix_sort_implINS0_14default_configELb0EPK12hip_bfloat16PSL_PKlPlN2at6native12_GLOBAL__N_18offset_tEEE10hipError_tPvRmT1_PNSt15iterator_traitsISZ_E10value_typeET2_T3_PNS10_IS15_E10value_typeET4_jRbjT5_S1B_jjP12ihipStream_tbEUljE_EEESW_SX_SY_S15_S19_S1B_T6_T7_T9_mT8_S1D_bDpT10_ENKUlT_T0_E_clISt17integral_constantIbLb1EES1P_IbLb0EEEEDaS1L_S1M_EUlS1L_E_NS1_11comp_targetILNS1_3genE9ELNS1_11target_archE1100ELNS1_3gpuE3ELNS1_3repE0EEENS1_30default_config_static_selectorELNS0_4arch9wavefront6targetE0EEEvSZ_,"axG",@progbits,_ZN7rocprim17ROCPRIM_400000_NS6detail17trampoline_kernelINS0_13select_configILj256ELj13ELNS0_17block_load_methodE3ELS4_3ELS4_3ELNS0_20block_scan_algorithmE0ELj4294967295EEENS1_25partition_config_selectorILNS1_17partition_subalgoE3EjNS0_10empty_typeEbEEZZNS1_14partition_implILS8_3ELb0ES6_jNS0_17counting_iteratorIjlEEPS9_SE_NS0_5tupleIJPjSE_EEENSF_IJSE_SE_EEES9_SG_JZNS1_25segmented_radix_sort_implINS0_14default_configELb0EPK12hip_bfloat16PSL_PKlPlN2at6native12_GLOBAL__N_18offset_tEEE10hipError_tPvRmT1_PNSt15iterator_traitsISZ_E10value_typeET2_T3_PNS10_IS15_E10value_typeET4_jRbjT5_S1B_jjP12ihipStream_tbEUljE_EEESW_SX_SY_S15_S19_S1B_T6_T7_T9_mT8_S1D_bDpT10_ENKUlT_T0_E_clISt17integral_constantIbLb1EES1P_IbLb0EEEEDaS1L_S1M_EUlS1L_E_NS1_11comp_targetILNS1_3genE9ELNS1_11target_archE1100ELNS1_3gpuE3ELNS1_3repE0EEENS1_30default_config_static_selectorELNS0_4arch9wavefront6targetE0EEEvSZ_,comdat
	.globl	_ZN7rocprim17ROCPRIM_400000_NS6detail17trampoline_kernelINS0_13select_configILj256ELj13ELNS0_17block_load_methodE3ELS4_3ELS4_3ELNS0_20block_scan_algorithmE0ELj4294967295EEENS1_25partition_config_selectorILNS1_17partition_subalgoE3EjNS0_10empty_typeEbEEZZNS1_14partition_implILS8_3ELb0ES6_jNS0_17counting_iteratorIjlEEPS9_SE_NS0_5tupleIJPjSE_EEENSF_IJSE_SE_EEES9_SG_JZNS1_25segmented_radix_sort_implINS0_14default_configELb0EPK12hip_bfloat16PSL_PKlPlN2at6native12_GLOBAL__N_18offset_tEEE10hipError_tPvRmT1_PNSt15iterator_traitsISZ_E10value_typeET2_T3_PNS10_IS15_E10value_typeET4_jRbjT5_S1B_jjP12ihipStream_tbEUljE_EEESW_SX_SY_S15_S19_S1B_T6_T7_T9_mT8_S1D_bDpT10_ENKUlT_T0_E_clISt17integral_constantIbLb1EES1P_IbLb0EEEEDaS1L_S1M_EUlS1L_E_NS1_11comp_targetILNS1_3genE9ELNS1_11target_archE1100ELNS1_3gpuE3ELNS1_3repE0EEENS1_30default_config_static_selectorELNS0_4arch9wavefront6targetE0EEEvSZ_ ; -- Begin function _ZN7rocprim17ROCPRIM_400000_NS6detail17trampoline_kernelINS0_13select_configILj256ELj13ELNS0_17block_load_methodE3ELS4_3ELS4_3ELNS0_20block_scan_algorithmE0ELj4294967295EEENS1_25partition_config_selectorILNS1_17partition_subalgoE3EjNS0_10empty_typeEbEEZZNS1_14partition_implILS8_3ELb0ES6_jNS0_17counting_iteratorIjlEEPS9_SE_NS0_5tupleIJPjSE_EEENSF_IJSE_SE_EEES9_SG_JZNS1_25segmented_radix_sort_implINS0_14default_configELb0EPK12hip_bfloat16PSL_PKlPlN2at6native12_GLOBAL__N_18offset_tEEE10hipError_tPvRmT1_PNSt15iterator_traitsISZ_E10value_typeET2_T3_PNS10_IS15_E10value_typeET4_jRbjT5_S1B_jjP12ihipStream_tbEUljE_EEESW_SX_SY_S15_S19_S1B_T6_T7_T9_mT8_S1D_bDpT10_ENKUlT_T0_E_clISt17integral_constantIbLb1EES1P_IbLb0EEEEDaS1L_S1M_EUlS1L_E_NS1_11comp_targetILNS1_3genE9ELNS1_11target_archE1100ELNS1_3gpuE3ELNS1_3repE0EEENS1_30default_config_static_selectorELNS0_4arch9wavefront6targetE0EEEvSZ_
	.p2align	8
	.type	_ZN7rocprim17ROCPRIM_400000_NS6detail17trampoline_kernelINS0_13select_configILj256ELj13ELNS0_17block_load_methodE3ELS4_3ELS4_3ELNS0_20block_scan_algorithmE0ELj4294967295EEENS1_25partition_config_selectorILNS1_17partition_subalgoE3EjNS0_10empty_typeEbEEZZNS1_14partition_implILS8_3ELb0ES6_jNS0_17counting_iteratorIjlEEPS9_SE_NS0_5tupleIJPjSE_EEENSF_IJSE_SE_EEES9_SG_JZNS1_25segmented_radix_sort_implINS0_14default_configELb0EPK12hip_bfloat16PSL_PKlPlN2at6native12_GLOBAL__N_18offset_tEEE10hipError_tPvRmT1_PNSt15iterator_traitsISZ_E10value_typeET2_T3_PNS10_IS15_E10value_typeET4_jRbjT5_S1B_jjP12ihipStream_tbEUljE_EEESW_SX_SY_S15_S19_S1B_T6_T7_T9_mT8_S1D_bDpT10_ENKUlT_T0_E_clISt17integral_constantIbLb1EES1P_IbLb0EEEEDaS1L_S1M_EUlS1L_E_NS1_11comp_targetILNS1_3genE9ELNS1_11target_archE1100ELNS1_3gpuE3ELNS1_3repE0EEENS1_30default_config_static_selectorELNS0_4arch9wavefront6targetE0EEEvSZ_,@function
_ZN7rocprim17ROCPRIM_400000_NS6detail17trampoline_kernelINS0_13select_configILj256ELj13ELNS0_17block_load_methodE3ELS4_3ELS4_3ELNS0_20block_scan_algorithmE0ELj4294967295EEENS1_25partition_config_selectorILNS1_17partition_subalgoE3EjNS0_10empty_typeEbEEZZNS1_14partition_implILS8_3ELb0ES6_jNS0_17counting_iteratorIjlEEPS9_SE_NS0_5tupleIJPjSE_EEENSF_IJSE_SE_EEES9_SG_JZNS1_25segmented_radix_sort_implINS0_14default_configELb0EPK12hip_bfloat16PSL_PKlPlN2at6native12_GLOBAL__N_18offset_tEEE10hipError_tPvRmT1_PNSt15iterator_traitsISZ_E10value_typeET2_T3_PNS10_IS15_E10value_typeET4_jRbjT5_S1B_jjP12ihipStream_tbEUljE_EEESW_SX_SY_S15_S19_S1B_T6_T7_T9_mT8_S1D_bDpT10_ENKUlT_T0_E_clISt17integral_constantIbLb1EES1P_IbLb0EEEEDaS1L_S1M_EUlS1L_E_NS1_11comp_targetILNS1_3genE9ELNS1_11target_archE1100ELNS1_3gpuE3ELNS1_3repE0EEENS1_30default_config_static_selectorELNS0_4arch9wavefront6targetE0EEEvSZ_: ; @_ZN7rocprim17ROCPRIM_400000_NS6detail17trampoline_kernelINS0_13select_configILj256ELj13ELNS0_17block_load_methodE3ELS4_3ELS4_3ELNS0_20block_scan_algorithmE0ELj4294967295EEENS1_25partition_config_selectorILNS1_17partition_subalgoE3EjNS0_10empty_typeEbEEZZNS1_14partition_implILS8_3ELb0ES6_jNS0_17counting_iteratorIjlEEPS9_SE_NS0_5tupleIJPjSE_EEENSF_IJSE_SE_EEES9_SG_JZNS1_25segmented_radix_sort_implINS0_14default_configELb0EPK12hip_bfloat16PSL_PKlPlN2at6native12_GLOBAL__N_18offset_tEEE10hipError_tPvRmT1_PNSt15iterator_traitsISZ_E10value_typeET2_T3_PNS10_IS15_E10value_typeET4_jRbjT5_S1B_jjP12ihipStream_tbEUljE_EEESW_SX_SY_S15_S19_S1B_T6_T7_T9_mT8_S1D_bDpT10_ENKUlT_T0_E_clISt17integral_constantIbLb1EES1P_IbLb0EEEEDaS1L_S1M_EUlS1L_E_NS1_11comp_targetILNS1_3genE9ELNS1_11target_archE1100ELNS1_3gpuE3ELNS1_3repE0EEENS1_30default_config_static_selectorELNS0_4arch9wavefront6targetE0EEEvSZ_
; %bb.0:
	.section	.rodata,"a",@progbits
	.p2align	6, 0x0
	.amdhsa_kernel _ZN7rocprim17ROCPRIM_400000_NS6detail17trampoline_kernelINS0_13select_configILj256ELj13ELNS0_17block_load_methodE3ELS4_3ELS4_3ELNS0_20block_scan_algorithmE0ELj4294967295EEENS1_25partition_config_selectorILNS1_17partition_subalgoE3EjNS0_10empty_typeEbEEZZNS1_14partition_implILS8_3ELb0ES6_jNS0_17counting_iteratorIjlEEPS9_SE_NS0_5tupleIJPjSE_EEENSF_IJSE_SE_EEES9_SG_JZNS1_25segmented_radix_sort_implINS0_14default_configELb0EPK12hip_bfloat16PSL_PKlPlN2at6native12_GLOBAL__N_18offset_tEEE10hipError_tPvRmT1_PNSt15iterator_traitsISZ_E10value_typeET2_T3_PNS10_IS15_E10value_typeET4_jRbjT5_S1B_jjP12ihipStream_tbEUljE_EEESW_SX_SY_S15_S19_S1B_T6_T7_T9_mT8_S1D_bDpT10_ENKUlT_T0_E_clISt17integral_constantIbLb1EES1P_IbLb0EEEEDaS1L_S1M_EUlS1L_E_NS1_11comp_targetILNS1_3genE9ELNS1_11target_archE1100ELNS1_3gpuE3ELNS1_3repE0EEENS1_30default_config_static_selectorELNS0_4arch9wavefront6targetE0EEEvSZ_
		.amdhsa_group_segment_fixed_size 0
		.amdhsa_private_segment_fixed_size 0
		.amdhsa_kernarg_size 144
		.amdhsa_user_sgpr_count 2
		.amdhsa_user_sgpr_dispatch_ptr 0
		.amdhsa_user_sgpr_queue_ptr 0
		.amdhsa_user_sgpr_kernarg_segment_ptr 1
		.amdhsa_user_sgpr_dispatch_id 0
		.amdhsa_user_sgpr_kernarg_preload_length 0
		.amdhsa_user_sgpr_kernarg_preload_offset 0
		.amdhsa_user_sgpr_private_segment_size 0
		.amdhsa_wavefront_size32 1
		.amdhsa_uses_dynamic_stack 0
		.amdhsa_enable_private_segment 0
		.amdhsa_system_sgpr_workgroup_id_x 1
		.amdhsa_system_sgpr_workgroup_id_y 0
		.amdhsa_system_sgpr_workgroup_id_z 0
		.amdhsa_system_sgpr_workgroup_info 0
		.amdhsa_system_vgpr_workitem_id 0
		.amdhsa_next_free_vgpr 1
		.amdhsa_next_free_sgpr 1
		.amdhsa_named_barrier_count 0
		.amdhsa_reserve_vcc 0
		.amdhsa_float_round_mode_32 0
		.amdhsa_float_round_mode_16_64 0
		.amdhsa_float_denorm_mode_32 3
		.amdhsa_float_denorm_mode_16_64 3
		.amdhsa_fp16_overflow 0
		.amdhsa_memory_ordered 1
		.amdhsa_forward_progress 1
		.amdhsa_inst_pref_size 0
		.amdhsa_round_robin_scheduling 0
		.amdhsa_exception_fp_ieee_invalid_op 0
		.amdhsa_exception_fp_denorm_src 0
		.amdhsa_exception_fp_ieee_div_zero 0
		.amdhsa_exception_fp_ieee_overflow 0
		.amdhsa_exception_fp_ieee_underflow 0
		.amdhsa_exception_fp_ieee_inexact 0
		.amdhsa_exception_int_div_zero 0
	.end_amdhsa_kernel
	.section	.text._ZN7rocprim17ROCPRIM_400000_NS6detail17trampoline_kernelINS0_13select_configILj256ELj13ELNS0_17block_load_methodE3ELS4_3ELS4_3ELNS0_20block_scan_algorithmE0ELj4294967295EEENS1_25partition_config_selectorILNS1_17partition_subalgoE3EjNS0_10empty_typeEbEEZZNS1_14partition_implILS8_3ELb0ES6_jNS0_17counting_iteratorIjlEEPS9_SE_NS0_5tupleIJPjSE_EEENSF_IJSE_SE_EEES9_SG_JZNS1_25segmented_radix_sort_implINS0_14default_configELb0EPK12hip_bfloat16PSL_PKlPlN2at6native12_GLOBAL__N_18offset_tEEE10hipError_tPvRmT1_PNSt15iterator_traitsISZ_E10value_typeET2_T3_PNS10_IS15_E10value_typeET4_jRbjT5_S1B_jjP12ihipStream_tbEUljE_EEESW_SX_SY_S15_S19_S1B_T6_T7_T9_mT8_S1D_bDpT10_ENKUlT_T0_E_clISt17integral_constantIbLb1EES1P_IbLb0EEEEDaS1L_S1M_EUlS1L_E_NS1_11comp_targetILNS1_3genE9ELNS1_11target_archE1100ELNS1_3gpuE3ELNS1_3repE0EEENS1_30default_config_static_selectorELNS0_4arch9wavefront6targetE0EEEvSZ_,"axG",@progbits,_ZN7rocprim17ROCPRIM_400000_NS6detail17trampoline_kernelINS0_13select_configILj256ELj13ELNS0_17block_load_methodE3ELS4_3ELS4_3ELNS0_20block_scan_algorithmE0ELj4294967295EEENS1_25partition_config_selectorILNS1_17partition_subalgoE3EjNS0_10empty_typeEbEEZZNS1_14partition_implILS8_3ELb0ES6_jNS0_17counting_iteratorIjlEEPS9_SE_NS0_5tupleIJPjSE_EEENSF_IJSE_SE_EEES9_SG_JZNS1_25segmented_radix_sort_implINS0_14default_configELb0EPK12hip_bfloat16PSL_PKlPlN2at6native12_GLOBAL__N_18offset_tEEE10hipError_tPvRmT1_PNSt15iterator_traitsISZ_E10value_typeET2_T3_PNS10_IS15_E10value_typeET4_jRbjT5_S1B_jjP12ihipStream_tbEUljE_EEESW_SX_SY_S15_S19_S1B_T6_T7_T9_mT8_S1D_bDpT10_ENKUlT_T0_E_clISt17integral_constantIbLb1EES1P_IbLb0EEEEDaS1L_S1M_EUlS1L_E_NS1_11comp_targetILNS1_3genE9ELNS1_11target_archE1100ELNS1_3gpuE3ELNS1_3repE0EEENS1_30default_config_static_selectorELNS0_4arch9wavefront6targetE0EEEvSZ_,comdat
.Lfunc_end2029:
	.size	_ZN7rocprim17ROCPRIM_400000_NS6detail17trampoline_kernelINS0_13select_configILj256ELj13ELNS0_17block_load_methodE3ELS4_3ELS4_3ELNS0_20block_scan_algorithmE0ELj4294967295EEENS1_25partition_config_selectorILNS1_17partition_subalgoE3EjNS0_10empty_typeEbEEZZNS1_14partition_implILS8_3ELb0ES6_jNS0_17counting_iteratorIjlEEPS9_SE_NS0_5tupleIJPjSE_EEENSF_IJSE_SE_EEES9_SG_JZNS1_25segmented_radix_sort_implINS0_14default_configELb0EPK12hip_bfloat16PSL_PKlPlN2at6native12_GLOBAL__N_18offset_tEEE10hipError_tPvRmT1_PNSt15iterator_traitsISZ_E10value_typeET2_T3_PNS10_IS15_E10value_typeET4_jRbjT5_S1B_jjP12ihipStream_tbEUljE_EEESW_SX_SY_S15_S19_S1B_T6_T7_T9_mT8_S1D_bDpT10_ENKUlT_T0_E_clISt17integral_constantIbLb1EES1P_IbLb0EEEEDaS1L_S1M_EUlS1L_E_NS1_11comp_targetILNS1_3genE9ELNS1_11target_archE1100ELNS1_3gpuE3ELNS1_3repE0EEENS1_30default_config_static_selectorELNS0_4arch9wavefront6targetE0EEEvSZ_, .Lfunc_end2029-_ZN7rocprim17ROCPRIM_400000_NS6detail17trampoline_kernelINS0_13select_configILj256ELj13ELNS0_17block_load_methodE3ELS4_3ELS4_3ELNS0_20block_scan_algorithmE0ELj4294967295EEENS1_25partition_config_selectorILNS1_17partition_subalgoE3EjNS0_10empty_typeEbEEZZNS1_14partition_implILS8_3ELb0ES6_jNS0_17counting_iteratorIjlEEPS9_SE_NS0_5tupleIJPjSE_EEENSF_IJSE_SE_EEES9_SG_JZNS1_25segmented_radix_sort_implINS0_14default_configELb0EPK12hip_bfloat16PSL_PKlPlN2at6native12_GLOBAL__N_18offset_tEEE10hipError_tPvRmT1_PNSt15iterator_traitsISZ_E10value_typeET2_T3_PNS10_IS15_E10value_typeET4_jRbjT5_S1B_jjP12ihipStream_tbEUljE_EEESW_SX_SY_S15_S19_S1B_T6_T7_T9_mT8_S1D_bDpT10_ENKUlT_T0_E_clISt17integral_constantIbLb1EES1P_IbLb0EEEEDaS1L_S1M_EUlS1L_E_NS1_11comp_targetILNS1_3genE9ELNS1_11target_archE1100ELNS1_3gpuE3ELNS1_3repE0EEENS1_30default_config_static_selectorELNS0_4arch9wavefront6targetE0EEEvSZ_
                                        ; -- End function
	.set _ZN7rocprim17ROCPRIM_400000_NS6detail17trampoline_kernelINS0_13select_configILj256ELj13ELNS0_17block_load_methodE3ELS4_3ELS4_3ELNS0_20block_scan_algorithmE0ELj4294967295EEENS1_25partition_config_selectorILNS1_17partition_subalgoE3EjNS0_10empty_typeEbEEZZNS1_14partition_implILS8_3ELb0ES6_jNS0_17counting_iteratorIjlEEPS9_SE_NS0_5tupleIJPjSE_EEENSF_IJSE_SE_EEES9_SG_JZNS1_25segmented_radix_sort_implINS0_14default_configELb0EPK12hip_bfloat16PSL_PKlPlN2at6native12_GLOBAL__N_18offset_tEEE10hipError_tPvRmT1_PNSt15iterator_traitsISZ_E10value_typeET2_T3_PNS10_IS15_E10value_typeET4_jRbjT5_S1B_jjP12ihipStream_tbEUljE_EEESW_SX_SY_S15_S19_S1B_T6_T7_T9_mT8_S1D_bDpT10_ENKUlT_T0_E_clISt17integral_constantIbLb1EES1P_IbLb0EEEEDaS1L_S1M_EUlS1L_E_NS1_11comp_targetILNS1_3genE9ELNS1_11target_archE1100ELNS1_3gpuE3ELNS1_3repE0EEENS1_30default_config_static_selectorELNS0_4arch9wavefront6targetE0EEEvSZ_.num_vgpr, 0
	.set _ZN7rocprim17ROCPRIM_400000_NS6detail17trampoline_kernelINS0_13select_configILj256ELj13ELNS0_17block_load_methodE3ELS4_3ELS4_3ELNS0_20block_scan_algorithmE0ELj4294967295EEENS1_25partition_config_selectorILNS1_17partition_subalgoE3EjNS0_10empty_typeEbEEZZNS1_14partition_implILS8_3ELb0ES6_jNS0_17counting_iteratorIjlEEPS9_SE_NS0_5tupleIJPjSE_EEENSF_IJSE_SE_EEES9_SG_JZNS1_25segmented_radix_sort_implINS0_14default_configELb0EPK12hip_bfloat16PSL_PKlPlN2at6native12_GLOBAL__N_18offset_tEEE10hipError_tPvRmT1_PNSt15iterator_traitsISZ_E10value_typeET2_T3_PNS10_IS15_E10value_typeET4_jRbjT5_S1B_jjP12ihipStream_tbEUljE_EEESW_SX_SY_S15_S19_S1B_T6_T7_T9_mT8_S1D_bDpT10_ENKUlT_T0_E_clISt17integral_constantIbLb1EES1P_IbLb0EEEEDaS1L_S1M_EUlS1L_E_NS1_11comp_targetILNS1_3genE9ELNS1_11target_archE1100ELNS1_3gpuE3ELNS1_3repE0EEENS1_30default_config_static_selectorELNS0_4arch9wavefront6targetE0EEEvSZ_.num_agpr, 0
	.set _ZN7rocprim17ROCPRIM_400000_NS6detail17trampoline_kernelINS0_13select_configILj256ELj13ELNS0_17block_load_methodE3ELS4_3ELS4_3ELNS0_20block_scan_algorithmE0ELj4294967295EEENS1_25partition_config_selectorILNS1_17partition_subalgoE3EjNS0_10empty_typeEbEEZZNS1_14partition_implILS8_3ELb0ES6_jNS0_17counting_iteratorIjlEEPS9_SE_NS0_5tupleIJPjSE_EEENSF_IJSE_SE_EEES9_SG_JZNS1_25segmented_radix_sort_implINS0_14default_configELb0EPK12hip_bfloat16PSL_PKlPlN2at6native12_GLOBAL__N_18offset_tEEE10hipError_tPvRmT1_PNSt15iterator_traitsISZ_E10value_typeET2_T3_PNS10_IS15_E10value_typeET4_jRbjT5_S1B_jjP12ihipStream_tbEUljE_EEESW_SX_SY_S15_S19_S1B_T6_T7_T9_mT8_S1D_bDpT10_ENKUlT_T0_E_clISt17integral_constantIbLb1EES1P_IbLb0EEEEDaS1L_S1M_EUlS1L_E_NS1_11comp_targetILNS1_3genE9ELNS1_11target_archE1100ELNS1_3gpuE3ELNS1_3repE0EEENS1_30default_config_static_selectorELNS0_4arch9wavefront6targetE0EEEvSZ_.numbered_sgpr, 0
	.set _ZN7rocprim17ROCPRIM_400000_NS6detail17trampoline_kernelINS0_13select_configILj256ELj13ELNS0_17block_load_methodE3ELS4_3ELS4_3ELNS0_20block_scan_algorithmE0ELj4294967295EEENS1_25partition_config_selectorILNS1_17partition_subalgoE3EjNS0_10empty_typeEbEEZZNS1_14partition_implILS8_3ELb0ES6_jNS0_17counting_iteratorIjlEEPS9_SE_NS0_5tupleIJPjSE_EEENSF_IJSE_SE_EEES9_SG_JZNS1_25segmented_radix_sort_implINS0_14default_configELb0EPK12hip_bfloat16PSL_PKlPlN2at6native12_GLOBAL__N_18offset_tEEE10hipError_tPvRmT1_PNSt15iterator_traitsISZ_E10value_typeET2_T3_PNS10_IS15_E10value_typeET4_jRbjT5_S1B_jjP12ihipStream_tbEUljE_EEESW_SX_SY_S15_S19_S1B_T6_T7_T9_mT8_S1D_bDpT10_ENKUlT_T0_E_clISt17integral_constantIbLb1EES1P_IbLb0EEEEDaS1L_S1M_EUlS1L_E_NS1_11comp_targetILNS1_3genE9ELNS1_11target_archE1100ELNS1_3gpuE3ELNS1_3repE0EEENS1_30default_config_static_selectorELNS0_4arch9wavefront6targetE0EEEvSZ_.num_named_barrier, 0
	.set _ZN7rocprim17ROCPRIM_400000_NS6detail17trampoline_kernelINS0_13select_configILj256ELj13ELNS0_17block_load_methodE3ELS4_3ELS4_3ELNS0_20block_scan_algorithmE0ELj4294967295EEENS1_25partition_config_selectorILNS1_17partition_subalgoE3EjNS0_10empty_typeEbEEZZNS1_14partition_implILS8_3ELb0ES6_jNS0_17counting_iteratorIjlEEPS9_SE_NS0_5tupleIJPjSE_EEENSF_IJSE_SE_EEES9_SG_JZNS1_25segmented_radix_sort_implINS0_14default_configELb0EPK12hip_bfloat16PSL_PKlPlN2at6native12_GLOBAL__N_18offset_tEEE10hipError_tPvRmT1_PNSt15iterator_traitsISZ_E10value_typeET2_T3_PNS10_IS15_E10value_typeET4_jRbjT5_S1B_jjP12ihipStream_tbEUljE_EEESW_SX_SY_S15_S19_S1B_T6_T7_T9_mT8_S1D_bDpT10_ENKUlT_T0_E_clISt17integral_constantIbLb1EES1P_IbLb0EEEEDaS1L_S1M_EUlS1L_E_NS1_11comp_targetILNS1_3genE9ELNS1_11target_archE1100ELNS1_3gpuE3ELNS1_3repE0EEENS1_30default_config_static_selectorELNS0_4arch9wavefront6targetE0EEEvSZ_.private_seg_size, 0
	.set _ZN7rocprim17ROCPRIM_400000_NS6detail17trampoline_kernelINS0_13select_configILj256ELj13ELNS0_17block_load_methodE3ELS4_3ELS4_3ELNS0_20block_scan_algorithmE0ELj4294967295EEENS1_25partition_config_selectorILNS1_17partition_subalgoE3EjNS0_10empty_typeEbEEZZNS1_14partition_implILS8_3ELb0ES6_jNS0_17counting_iteratorIjlEEPS9_SE_NS0_5tupleIJPjSE_EEENSF_IJSE_SE_EEES9_SG_JZNS1_25segmented_radix_sort_implINS0_14default_configELb0EPK12hip_bfloat16PSL_PKlPlN2at6native12_GLOBAL__N_18offset_tEEE10hipError_tPvRmT1_PNSt15iterator_traitsISZ_E10value_typeET2_T3_PNS10_IS15_E10value_typeET4_jRbjT5_S1B_jjP12ihipStream_tbEUljE_EEESW_SX_SY_S15_S19_S1B_T6_T7_T9_mT8_S1D_bDpT10_ENKUlT_T0_E_clISt17integral_constantIbLb1EES1P_IbLb0EEEEDaS1L_S1M_EUlS1L_E_NS1_11comp_targetILNS1_3genE9ELNS1_11target_archE1100ELNS1_3gpuE3ELNS1_3repE0EEENS1_30default_config_static_selectorELNS0_4arch9wavefront6targetE0EEEvSZ_.uses_vcc, 0
	.set _ZN7rocprim17ROCPRIM_400000_NS6detail17trampoline_kernelINS0_13select_configILj256ELj13ELNS0_17block_load_methodE3ELS4_3ELS4_3ELNS0_20block_scan_algorithmE0ELj4294967295EEENS1_25partition_config_selectorILNS1_17partition_subalgoE3EjNS0_10empty_typeEbEEZZNS1_14partition_implILS8_3ELb0ES6_jNS0_17counting_iteratorIjlEEPS9_SE_NS0_5tupleIJPjSE_EEENSF_IJSE_SE_EEES9_SG_JZNS1_25segmented_radix_sort_implINS0_14default_configELb0EPK12hip_bfloat16PSL_PKlPlN2at6native12_GLOBAL__N_18offset_tEEE10hipError_tPvRmT1_PNSt15iterator_traitsISZ_E10value_typeET2_T3_PNS10_IS15_E10value_typeET4_jRbjT5_S1B_jjP12ihipStream_tbEUljE_EEESW_SX_SY_S15_S19_S1B_T6_T7_T9_mT8_S1D_bDpT10_ENKUlT_T0_E_clISt17integral_constantIbLb1EES1P_IbLb0EEEEDaS1L_S1M_EUlS1L_E_NS1_11comp_targetILNS1_3genE9ELNS1_11target_archE1100ELNS1_3gpuE3ELNS1_3repE0EEENS1_30default_config_static_selectorELNS0_4arch9wavefront6targetE0EEEvSZ_.uses_flat_scratch, 0
	.set _ZN7rocprim17ROCPRIM_400000_NS6detail17trampoline_kernelINS0_13select_configILj256ELj13ELNS0_17block_load_methodE3ELS4_3ELS4_3ELNS0_20block_scan_algorithmE0ELj4294967295EEENS1_25partition_config_selectorILNS1_17partition_subalgoE3EjNS0_10empty_typeEbEEZZNS1_14partition_implILS8_3ELb0ES6_jNS0_17counting_iteratorIjlEEPS9_SE_NS0_5tupleIJPjSE_EEENSF_IJSE_SE_EEES9_SG_JZNS1_25segmented_radix_sort_implINS0_14default_configELb0EPK12hip_bfloat16PSL_PKlPlN2at6native12_GLOBAL__N_18offset_tEEE10hipError_tPvRmT1_PNSt15iterator_traitsISZ_E10value_typeET2_T3_PNS10_IS15_E10value_typeET4_jRbjT5_S1B_jjP12ihipStream_tbEUljE_EEESW_SX_SY_S15_S19_S1B_T6_T7_T9_mT8_S1D_bDpT10_ENKUlT_T0_E_clISt17integral_constantIbLb1EES1P_IbLb0EEEEDaS1L_S1M_EUlS1L_E_NS1_11comp_targetILNS1_3genE9ELNS1_11target_archE1100ELNS1_3gpuE3ELNS1_3repE0EEENS1_30default_config_static_selectorELNS0_4arch9wavefront6targetE0EEEvSZ_.has_dyn_sized_stack, 0
	.set _ZN7rocprim17ROCPRIM_400000_NS6detail17trampoline_kernelINS0_13select_configILj256ELj13ELNS0_17block_load_methodE3ELS4_3ELS4_3ELNS0_20block_scan_algorithmE0ELj4294967295EEENS1_25partition_config_selectorILNS1_17partition_subalgoE3EjNS0_10empty_typeEbEEZZNS1_14partition_implILS8_3ELb0ES6_jNS0_17counting_iteratorIjlEEPS9_SE_NS0_5tupleIJPjSE_EEENSF_IJSE_SE_EEES9_SG_JZNS1_25segmented_radix_sort_implINS0_14default_configELb0EPK12hip_bfloat16PSL_PKlPlN2at6native12_GLOBAL__N_18offset_tEEE10hipError_tPvRmT1_PNSt15iterator_traitsISZ_E10value_typeET2_T3_PNS10_IS15_E10value_typeET4_jRbjT5_S1B_jjP12ihipStream_tbEUljE_EEESW_SX_SY_S15_S19_S1B_T6_T7_T9_mT8_S1D_bDpT10_ENKUlT_T0_E_clISt17integral_constantIbLb1EES1P_IbLb0EEEEDaS1L_S1M_EUlS1L_E_NS1_11comp_targetILNS1_3genE9ELNS1_11target_archE1100ELNS1_3gpuE3ELNS1_3repE0EEENS1_30default_config_static_selectorELNS0_4arch9wavefront6targetE0EEEvSZ_.has_recursion, 0
	.set _ZN7rocprim17ROCPRIM_400000_NS6detail17trampoline_kernelINS0_13select_configILj256ELj13ELNS0_17block_load_methodE3ELS4_3ELS4_3ELNS0_20block_scan_algorithmE0ELj4294967295EEENS1_25partition_config_selectorILNS1_17partition_subalgoE3EjNS0_10empty_typeEbEEZZNS1_14partition_implILS8_3ELb0ES6_jNS0_17counting_iteratorIjlEEPS9_SE_NS0_5tupleIJPjSE_EEENSF_IJSE_SE_EEES9_SG_JZNS1_25segmented_radix_sort_implINS0_14default_configELb0EPK12hip_bfloat16PSL_PKlPlN2at6native12_GLOBAL__N_18offset_tEEE10hipError_tPvRmT1_PNSt15iterator_traitsISZ_E10value_typeET2_T3_PNS10_IS15_E10value_typeET4_jRbjT5_S1B_jjP12ihipStream_tbEUljE_EEESW_SX_SY_S15_S19_S1B_T6_T7_T9_mT8_S1D_bDpT10_ENKUlT_T0_E_clISt17integral_constantIbLb1EES1P_IbLb0EEEEDaS1L_S1M_EUlS1L_E_NS1_11comp_targetILNS1_3genE9ELNS1_11target_archE1100ELNS1_3gpuE3ELNS1_3repE0EEENS1_30default_config_static_selectorELNS0_4arch9wavefront6targetE0EEEvSZ_.has_indirect_call, 0
	.section	.AMDGPU.csdata,"",@progbits
; Kernel info:
; codeLenInByte = 0
; TotalNumSgprs: 0
; NumVgprs: 0
; ScratchSize: 0
; MemoryBound: 0
; FloatMode: 240
; IeeeMode: 1
; LDSByteSize: 0 bytes/workgroup (compile time only)
; SGPRBlocks: 0
; VGPRBlocks: 0
; NumSGPRsForWavesPerEU: 1
; NumVGPRsForWavesPerEU: 1
; NamedBarCnt: 0
; Occupancy: 16
; WaveLimiterHint : 0
; COMPUTE_PGM_RSRC2:SCRATCH_EN: 0
; COMPUTE_PGM_RSRC2:USER_SGPR: 2
; COMPUTE_PGM_RSRC2:TRAP_HANDLER: 0
; COMPUTE_PGM_RSRC2:TGID_X_EN: 1
; COMPUTE_PGM_RSRC2:TGID_Y_EN: 0
; COMPUTE_PGM_RSRC2:TGID_Z_EN: 0
; COMPUTE_PGM_RSRC2:TIDIG_COMP_CNT: 0
	.section	.text._ZN7rocprim17ROCPRIM_400000_NS6detail17trampoline_kernelINS0_13select_configILj256ELj13ELNS0_17block_load_methodE3ELS4_3ELS4_3ELNS0_20block_scan_algorithmE0ELj4294967295EEENS1_25partition_config_selectorILNS1_17partition_subalgoE3EjNS0_10empty_typeEbEEZZNS1_14partition_implILS8_3ELb0ES6_jNS0_17counting_iteratorIjlEEPS9_SE_NS0_5tupleIJPjSE_EEENSF_IJSE_SE_EEES9_SG_JZNS1_25segmented_radix_sort_implINS0_14default_configELb0EPK12hip_bfloat16PSL_PKlPlN2at6native12_GLOBAL__N_18offset_tEEE10hipError_tPvRmT1_PNSt15iterator_traitsISZ_E10value_typeET2_T3_PNS10_IS15_E10value_typeET4_jRbjT5_S1B_jjP12ihipStream_tbEUljE_EEESW_SX_SY_S15_S19_S1B_T6_T7_T9_mT8_S1D_bDpT10_ENKUlT_T0_E_clISt17integral_constantIbLb1EES1P_IbLb0EEEEDaS1L_S1M_EUlS1L_E_NS1_11comp_targetILNS1_3genE8ELNS1_11target_archE1030ELNS1_3gpuE2ELNS1_3repE0EEENS1_30default_config_static_selectorELNS0_4arch9wavefront6targetE0EEEvSZ_,"axG",@progbits,_ZN7rocprim17ROCPRIM_400000_NS6detail17trampoline_kernelINS0_13select_configILj256ELj13ELNS0_17block_load_methodE3ELS4_3ELS4_3ELNS0_20block_scan_algorithmE0ELj4294967295EEENS1_25partition_config_selectorILNS1_17partition_subalgoE3EjNS0_10empty_typeEbEEZZNS1_14partition_implILS8_3ELb0ES6_jNS0_17counting_iteratorIjlEEPS9_SE_NS0_5tupleIJPjSE_EEENSF_IJSE_SE_EEES9_SG_JZNS1_25segmented_radix_sort_implINS0_14default_configELb0EPK12hip_bfloat16PSL_PKlPlN2at6native12_GLOBAL__N_18offset_tEEE10hipError_tPvRmT1_PNSt15iterator_traitsISZ_E10value_typeET2_T3_PNS10_IS15_E10value_typeET4_jRbjT5_S1B_jjP12ihipStream_tbEUljE_EEESW_SX_SY_S15_S19_S1B_T6_T7_T9_mT8_S1D_bDpT10_ENKUlT_T0_E_clISt17integral_constantIbLb1EES1P_IbLb0EEEEDaS1L_S1M_EUlS1L_E_NS1_11comp_targetILNS1_3genE8ELNS1_11target_archE1030ELNS1_3gpuE2ELNS1_3repE0EEENS1_30default_config_static_selectorELNS0_4arch9wavefront6targetE0EEEvSZ_,comdat
	.globl	_ZN7rocprim17ROCPRIM_400000_NS6detail17trampoline_kernelINS0_13select_configILj256ELj13ELNS0_17block_load_methodE3ELS4_3ELS4_3ELNS0_20block_scan_algorithmE0ELj4294967295EEENS1_25partition_config_selectorILNS1_17partition_subalgoE3EjNS0_10empty_typeEbEEZZNS1_14partition_implILS8_3ELb0ES6_jNS0_17counting_iteratorIjlEEPS9_SE_NS0_5tupleIJPjSE_EEENSF_IJSE_SE_EEES9_SG_JZNS1_25segmented_radix_sort_implINS0_14default_configELb0EPK12hip_bfloat16PSL_PKlPlN2at6native12_GLOBAL__N_18offset_tEEE10hipError_tPvRmT1_PNSt15iterator_traitsISZ_E10value_typeET2_T3_PNS10_IS15_E10value_typeET4_jRbjT5_S1B_jjP12ihipStream_tbEUljE_EEESW_SX_SY_S15_S19_S1B_T6_T7_T9_mT8_S1D_bDpT10_ENKUlT_T0_E_clISt17integral_constantIbLb1EES1P_IbLb0EEEEDaS1L_S1M_EUlS1L_E_NS1_11comp_targetILNS1_3genE8ELNS1_11target_archE1030ELNS1_3gpuE2ELNS1_3repE0EEENS1_30default_config_static_selectorELNS0_4arch9wavefront6targetE0EEEvSZ_ ; -- Begin function _ZN7rocprim17ROCPRIM_400000_NS6detail17trampoline_kernelINS0_13select_configILj256ELj13ELNS0_17block_load_methodE3ELS4_3ELS4_3ELNS0_20block_scan_algorithmE0ELj4294967295EEENS1_25partition_config_selectorILNS1_17partition_subalgoE3EjNS0_10empty_typeEbEEZZNS1_14partition_implILS8_3ELb0ES6_jNS0_17counting_iteratorIjlEEPS9_SE_NS0_5tupleIJPjSE_EEENSF_IJSE_SE_EEES9_SG_JZNS1_25segmented_radix_sort_implINS0_14default_configELb0EPK12hip_bfloat16PSL_PKlPlN2at6native12_GLOBAL__N_18offset_tEEE10hipError_tPvRmT1_PNSt15iterator_traitsISZ_E10value_typeET2_T3_PNS10_IS15_E10value_typeET4_jRbjT5_S1B_jjP12ihipStream_tbEUljE_EEESW_SX_SY_S15_S19_S1B_T6_T7_T9_mT8_S1D_bDpT10_ENKUlT_T0_E_clISt17integral_constantIbLb1EES1P_IbLb0EEEEDaS1L_S1M_EUlS1L_E_NS1_11comp_targetILNS1_3genE8ELNS1_11target_archE1030ELNS1_3gpuE2ELNS1_3repE0EEENS1_30default_config_static_selectorELNS0_4arch9wavefront6targetE0EEEvSZ_
	.p2align	8
	.type	_ZN7rocprim17ROCPRIM_400000_NS6detail17trampoline_kernelINS0_13select_configILj256ELj13ELNS0_17block_load_methodE3ELS4_3ELS4_3ELNS0_20block_scan_algorithmE0ELj4294967295EEENS1_25partition_config_selectorILNS1_17partition_subalgoE3EjNS0_10empty_typeEbEEZZNS1_14partition_implILS8_3ELb0ES6_jNS0_17counting_iteratorIjlEEPS9_SE_NS0_5tupleIJPjSE_EEENSF_IJSE_SE_EEES9_SG_JZNS1_25segmented_radix_sort_implINS0_14default_configELb0EPK12hip_bfloat16PSL_PKlPlN2at6native12_GLOBAL__N_18offset_tEEE10hipError_tPvRmT1_PNSt15iterator_traitsISZ_E10value_typeET2_T3_PNS10_IS15_E10value_typeET4_jRbjT5_S1B_jjP12ihipStream_tbEUljE_EEESW_SX_SY_S15_S19_S1B_T6_T7_T9_mT8_S1D_bDpT10_ENKUlT_T0_E_clISt17integral_constantIbLb1EES1P_IbLb0EEEEDaS1L_S1M_EUlS1L_E_NS1_11comp_targetILNS1_3genE8ELNS1_11target_archE1030ELNS1_3gpuE2ELNS1_3repE0EEENS1_30default_config_static_selectorELNS0_4arch9wavefront6targetE0EEEvSZ_,@function
_ZN7rocprim17ROCPRIM_400000_NS6detail17trampoline_kernelINS0_13select_configILj256ELj13ELNS0_17block_load_methodE3ELS4_3ELS4_3ELNS0_20block_scan_algorithmE0ELj4294967295EEENS1_25partition_config_selectorILNS1_17partition_subalgoE3EjNS0_10empty_typeEbEEZZNS1_14partition_implILS8_3ELb0ES6_jNS0_17counting_iteratorIjlEEPS9_SE_NS0_5tupleIJPjSE_EEENSF_IJSE_SE_EEES9_SG_JZNS1_25segmented_radix_sort_implINS0_14default_configELb0EPK12hip_bfloat16PSL_PKlPlN2at6native12_GLOBAL__N_18offset_tEEE10hipError_tPvRmT1_PNSt15iterator_traitsISZ_E10value_typeET2_T3_PNS10_IS15_E10value_typeET4_jRbjT5_S1B_jjP12ihipStream_tbEUljE_EEESW_SX_SY_S15_S19_S1B_T6_T7_T9_mT8_S1D_bDpT10_ENKUlT_T0_E_clISt17integral_constantIbLb1EES1P_IbLb0EEEEDaS1L_S1M_EUlS1L_E_NS1_11comp_targetILNS1_3genE8ELNS1_11target_archE1030ELNS1_3gpuE2ELNS1_3repE0EEENS1_30default_config_static_selectorELNS0_4arch9wavefront6targetE0EEEvSZ_: ; @_ZN7rocprim17ROCPRIM_400000_NS6detail17trampoline_kernelINS0_13select_configILj256ELj13ELNS0_17block_load_methodE3ELS4_3ELS4_3ELNS0_20block_scan_algorithmE0ELj4294967295EEENS1_25partition_config_selectorILNS1_17partition_subalgoE3EjNS0_10empty_typeEbEEZZNS1_14partition_implILS8_3ELb0ES6_jNS0_17counting_iteratorIjlEEPS9_SE_NS0_5tupleIJPjSE_EEENSF_IJSE_SE_EEES9_SG_JZNS1_25segmented_radix_sort_implINS0_14default_configELb0EPK12hip_bfloat16PSL_PKlPlN2at6native12_GLOBAL__N_18offset_tEEE10hipError_tPvRmT1_PNSt15iterator_traitsISZ_E10value_typeET2_T3_PNS10_IS15_E10value_typeET4_jRbjT5_S1B_jjP12ihipStream_tbEUljE_EEESW_SX_SY_S15_S19_S1B_T6_T7_T9_mT8_S1D_bDpT10_ENKUlT_T0_E_clISt17integral_constantIbLb1EES1P_IbLb0EEEEDaS1L_S1M_EUlS1L_E_NS1_11comp_targetILNS1_3genE8ELNS1_11target_archE1030ELNS1_3gpuE2ELNS1_3repE0EEENS1_30default_config_static_selectorELNS0_4arch9wavefront6targetE0EEEvSZ_
; %bb.0:
	.section	.rodata,"a",@progbits
	.p2align	6, 0x0
	.amdhsa_kernel _ZN7rocprim17ROCPRIM_400000_NS6detail17trampoline_kernelINS0_13select_configILj256ELj13ELNS0_17block_load_methodE3ELS4_3ELS4_3ELNS0_20block_scan_algorithmE0ELj4294967295EEENS1_25partition_config_selectorILNS1_17partition_subalgoE3EjNS0_10empty_typeEbEEZZNS1_14partition_implILS8_3ELb0ES6_jNS0_17counting_iteratorIjlEEPS9_SE_NS0_5tupleIJPjSE_EEENSF_IJSE_SE_EEES9_SG_JZNS1_25segmented_radix_sort_implINS0_14default_configELb0EPK12hip_bfloat16PSL_PKlPlN2at6native12_GLOBAL__N_18offset_tEEE10hipError_tPvRmT1_PNSt15iterator_traitsISZ_E10value_typeET2_T3_PNS10_IS15_E10value_typeET4_jRbjT5_S1B_jjP12ihipStream_tbEUljE_EEESW_SX_SY_S15_S19_S1B_T6_T7_T9_mT8_S1D_bDpT10_ENKUlT_T0_E_clISt17integral_constantIbLb1EES1P_IbLb0EEEEDaS1L_S1M_EUlS1L_E_NS1_11comp_targetILNS1_3genE8ELNS1_11target_archE1030ELNS1_3gpuE2ELNS1_3repE0EEENS1_30default_config_static_selectorELNS0_4arch9wavefront6targetE0EEEvSZ_
		.amdhsa_group_segment_fixed_size 0
		.amdhsa_private_segment_fixed_size 0
		.amdhsa_kernarg_size 144
		.amdhsa_user_sgpr_count 2
		.amdhsa_user_sgpr_dispatch_ptr 0
		.amdhsa_user_sgpr_queue_ptr 0
		.amdhsa_user_sgpr_kernarg_segment_ptr 1
		.amdhsa_user_sgpr_dispatch_id 0
		.amdhsa_user_sgpr_kernarg_preload_length 0
		.amdhsa_user_sgpr_kernarg_preload_offset 0
		.amdhsa_user_sgpr_private_segment_size 0
		.amdhsa_wavefront_size32 1
		.amdhsa_uses_dynamic_stack 0
		.amdhsa_enable_private_segment 0
		.amdhsa_system_sgpr_workgroup_id_x 1
		.amdhsa_system_sgpr_workgroup_id_y 0
		.amdhsa_system_sgpr_workgroup_id_z 0
		.amdhsa_system_sgpr_workgroup_info 0
		.amdhsa_system_vgpr_workitem_id 0
		.amdhsa_next_free_vgpr 1
		.amdhsa_next_free_sgpr 1
		.amdhsa_named_barrier_count 0
		.amdhsa_reserve_vcc 0
		.amdhsa_float_round_mode_32 0
		.amdhsa_float_round_mode_16_64 0
		.amdhsa_float_denorm_mode_32 3
		.amdhsa_float_denorm_mode_16_64 3
		.amdhsa_fp16_overflow 0
		.amdhsa_memory_ordered 1
		.amdhsa_forward_progress 1
		.amdhsa_inst_pref_size 0
		.amdhsa_round_robin_scheduling 0
		.amdhsa_exception_fp_ieee_invalid_op 0
		.amdhsa_exception_fp_denorm_src 0
		.amdhsa_exception_fp_ieee_div_zero 0
		.amdhsa_exception_fp_ieee_overflow 0
		.amdhsa_exception_fp_ieee_underflow 0
		.amdhsa_exception_fp_ieee_inexact 0
		.amdhsa_exception_int_div_zero 0
	.end_amdhsa_kernel
	.section	.text._ZN7rocprim17ROCPRIM_400000_NS6detail17trampoline_kernelINS0_13select_configILj256ELj13ELNS0_17block_load_methodE3ELS4_3ELS4_3ELNS0_20block_scan_algorithmE0ELj4294967295EEENS1_25partition_config_selectorILNS1_17partition_subalgoE3EjNS0_10empty_typeEbEEZZNS1_14partition_implILS8_3ELb0ES6_jNS0_17counting_iteratorIjlEEPS9_SE_NS0_5tupleIJPjSE_EEENSF_IJSE_SE_EEES9_SG_JZNS1_25segmented_radix_sort_implINS0_14default_configELb0EPK12hip_bfloat16PSL_PKlPlN2at6native12_GLOBAL__N_18offset_tEEE10hipError_tPvRmT1_PNSt15iterator_traitsISZ_E10value_typeET2_T3_PNS10_IS15_E10value_typeET4_jRbjT5_S1B_jjP12ihipStream_tbEUljE_EEESW_SX_SY_S15_S19_S1B_T6_T7_T9_mT8_S1D_bDpT10_ENKUlT_T0_E_clISt17integral_constantIbLb1EES1P_IbLb0EEEEDaS1L_S1M_EUlS1L_E_NS1_11comp_targetILNS1_3genE8ELNS1_11target_archE1030ELNS1_3gpuE2ELNS1_3repE0EEENS1_30default_config_static_selectorELNS0_4arch9wavefront6targetE0EEEvSZ_,"axG",@progbits,_ZN7rocprim17ROCPRIM_400000_NS6detail17trampoline_kernelINS0_13select_configILj256ELj13ELNS0_17block_load_methodE3ELS4_3ELS4_3ELNS0_20block_scan_algorithmE0ELj4294967295EEENS1_25partition_config_selectorILNS1_17partition_subalgoE3EjNS0_10empty_typeEbEEZZNS1_14partition_implILS8_3ELb0ES6_jNS0_17counting_iteratorIjlEEPS9_SE_NS0_5tupleIJPjSE_EEENSF_IJSE_SE_EEES9_SG_JZNS1_25segmented_radix_sort_implINS0_14default_configELb0EPK12hip_bfloat16PSL_PKlPlN2at6native12_GLOBAL__N_18offset_tEEE10hipError_tPvRmT1_PNSt15iterator_traitsISZ_E10value_typeET2_T3_PNS10_IS15_E10value_typeET4_jRbjT5_S1B_jjP12ihipStream_tbEUljE_EEESW_SX_SY_S15_S19_S1B_T6_T7_T9_mT8_S1D_bDpT10_ENKUlT_T0_E_clISt17integral_constantIbLb1EES1P_IbLb0EEEEDaS1L_S1M_EUlS1L_E_NS1_11comp_targetILNS1_3genE8ELNS1_11target_archE1030ELNS1_3gpuE2ELNS1_3repE0EEENS1_30default_config_static_selectorELNS0_4arch9wavefront6targetE0EEEvSZ_,comdat
.Lfunc_end2030:
	.size	_ZN7rocprim17ROCPRIM_400000_NS6detail17trampoline_kernelINS0_13select_configILj256ELj13ELNS0_17block_load_methodE3ELS4_3ELS4_3ELNS0_20block_scan_algorithmE0ELj4294967295EEENS1_25partition_config_selectorILNS1_17partition_subalgoE3EjNS0_10empty_typeEbEEZZNS1_14partition_implILS8_3ELb0ES6_jNS0_17counting_iteratorIjlEEPS9_SE_NS0_5tupleIJPjSE_EEENSF_IJSE_SE_EEES9_SG_JZNS1_25segmented_radix_sort_implINS0_14default_configELb0EPK12hip_bfloat16PSL_PKlPlN2at6native12_GLOBAL__N_18offset_tEEE10hipError_tPvRmT1_PNSt15iterator_traitsISZ_E10value_typeET2_T3_PNS10_IS15_E10value_typeET4_jRbjT5_S1B_jjP12ihipStream_tbEUljE_EEESW_SX_SY_S15_S19_S1B_T6_T7_T9_mT8_S1D_bDpT10_ENKUlT_T0_E_clISt17integral_constantIbLb1EES1P_IbLb0EEEEDaS1L_S1M_EUlS1L_E_NS1_11comp_targetILNS1_3genE8ELNS1_11target_archE1030ELNS1_3gpuE2ELNS1_3repE0EEENS1_30default_config_static_selectorELNS0_4arch9wavefront6targetE0EEEvSZ_, .Lfunc_end2030-_ZN7rocprim17ROCPRIM_400000_NS6detail17trampoline_kernelINS0_13select_configILj256ELj13ELNS0_17block_load_methodE3ELS4_3ELS4_3ELNS0_20block_scan_algorithmE0ELj4294967295EEENS1_25partition_config_selectorILNS1_17partition_subalgoE3EjNS0_10empty_typeEbEEZZNS1_14partition_implILS8_3ELb0ES6_jNS0_17counting_iteratorIjlEEPS9_SE_NS0_5tupleIJPjSE_EEENSF_IJSE_SE_EEES9_SG_JZNS1_25segmented_radix_sort_implINS0_14default_configELb0EPK12hip_bfloat16PSL_PKlPlN2at6native12_GLOBAL__N_18offset_tEEE10hipError_tPvRmT1_PNSt15iterator_traitsISZ_E10value_typeET2_T3_PNS10_IS15_E10value_typeET4_jRbjT5_S1B_jjP12ihipStream_tbEUljE_EEESW_SX_SY_S15_S19_S1B_T6_T7_T9_mT8_S1D_bDpT10_ENKUlT_T0_E_clISt17integral_constantIbLb1EES1P_IbLb0EEEEDaS1L_S1M_EUlS1L_E_NS1_11comp_targetILNS1_3genE8ELNS1_11target_archE1030ELNS1_3gpuE2ELNS1_3repE0EEENS1_30default_config_static_selectorELNS0_4arch9wavefront6targetE0EEEvSZ_
                                        ; -- End function
	.set _ZN7rocprim17ROCPRIM_400000_NS6detail17trampoline_kernelINS0_13select_configILj256ELj13ELNS0_17block_load_methodE3ELS4_3ELS4_3ELNS0_20block_scan_algorithmE0ELj4294967295EEENS1_25partition_config_selectorILNS1_17partition_subalgoE3EjNS0_10empty_typeEbEEZZNS1_14partition_implILS8_3ELb0ES6_jNS0_17counting_iteratorIjlEEPS9_SE_NS0_5tupleIJPjSE_EEENSF_IJSE_SE_EEES9_SG_JZNS1_25segmented_radix_sort_implINS0_14default_configELb0EPK12hip_bfloat16PSL_PKlPlN2at6native12_GLOBAL__N_18offset_tEEE10hipError_tPvRmT1_PNSt15iterator_traitsISZ_E10value_typeET2_T3_PNS10_IS15_E10value_typeET4_jRbjT5_S1B_jjP12ihipStream_tbEUljE_EEESW_SX_SY_S15_S19_S1B_T6_T7_T9_mT8_S1D_bDpT10_ENKUlT_T0_E_clISt17integral_constantIbLb1EES1P_IbLb0EEEEDaS1L_S1M_EUlS1L_E_NS1_11comp_targetILNS1_3genE8ELNS1_11target_archE1030ELNS1_3gpuE2ELNS1_3repE0EEENS1_30default_config_static_selectorELNS0_4arch9wavefront6targetE0EEEvSZ_.num_vgpr, 0
	.set _ZN7rocprim17ROCPRIM_400000_NS6detail17trampoline_kernelINS0_13select_configILj256ELj13ELNS0_17block_load_methodE3ELS4_3ELS4_3ELNS0_20block_scan_algorithmE0ELj4294967295EEENS1_25partition_config_selectorILNS1_17partition_subalgoE3EjNS0_10empty_typeEbEEZZNS1_14partition_implILS8_3ELb0ES6_jNS0_17counting_iteratorIjlEEPS9_SE_NS0_5tupleIJPjSE_EEENSF_IJSE_SE_EEES9_SG_JZNS1_25segmented_radix_sort_implINS0_14default_configELb0EPK12hip_bfloat16PSL_PKlPlN2at6native12_GLOBAL__N_18offset_tEEE10hipError_tPvRmT1_PNSt15iterator_traitsISZ_E10value_typeET2_T3_PNS10_IS15_E10value_typeET4_jRbjT5_S1B_jjP12ihipStream_tbEUljE_EEESW_SX_SY_S15_S19_S1B_T6_T7_T9_mT8_S1D_bDpT10_ENKUlT_T0_E_clISt17integral_constantIbLb1EES1P_IbLb0EEEEDaS1L_S1M_EUlS1L_E_NS1_11comp_targetILNS1_3genE8ELNS1_11target_archE1030ELNS1_3gpuE2ELNS1_3repE0EEENS1_30default_config_static_selectorELNS0_4arch9wavefront6targetE0EEEvSZ_.num_agpr, 0
	.set _ZN7rocprim17ROCPRIM_400000_NS6detail17trampoline_kernelINS0_13select_configILj256ELj13ELNS0_17block_load_methodE3ELS4_3ELS4_3ELNS0_20block_scan_algorithmE0ELj4294967295EEENS1_25partition_config_selectorILNS1_17partition_subalgoE3EjNS0_10empty_typeEbEEZZNS1_14partition_implILS8_3ELb0ES6_jNS0_17counting_iteratorIjlEEPS9_SE_NS0_5tupleIJPjSE_EEENSF_IJSE_SE_EEES9_SG_JZNS1_25segmented_radix_sort_implINS0_14default_configELb0EPK12hip_bfloat16PSL_PKlPlN2at6native12_GLOBAL__N_18offset_tEEE10hipError_tPvRmT1_PNSt15iterator_traitsISZ_E10value_typeET2_T3_PNS10_IS15_E10value_typeET4_jRbjT5_S1B_jjP12ihipStream_tbEUljE_EEESW_SX_SY_S15_S19_S1B_T6_T7_T9_mT8_S1D_bDpT10_ENKUlT_T0_E_clISt17integral_constantIbLb1EES1P_IbLb0EEEEDaS1L_S1M_EUlS1L_E_NS1_11comp_targetILNS1_3genE8ELNS1_11target_archE1030ELNS1_3gpuE2ELNS1_3repE0EEENS1_30default_config_static_selectorELNS0_4arch9wavefront6targetE0EEEvSZ_.numbered_sgpr, 0
	.set _ZN7rocprim17ROCPRIM_400000_NS6detail17trampoline_kernelINS0_13select_configILj256ELj13ELNS0_17block_load_methodE3ELS4_3ELS4_3ELNS0_20block_scan_algorithmE0ELj4294967295EEENS1_25partition_config_selectorILNS1_17partition_subalgoE3EjNS0_10empty_typeEbEEZZNS1_14partition_implILS8_3ELb0ES6_jNS0_17counting_iteratorIjlEEPS9_SE_NS0_5tupleIJPjSE_EEENSF_IJSE_SE_EEES9_SG_JZNS1_25segmented_radix_sort_implINS0_14default_configELb0EPK12hip_bfloat16PSL_PKlPlN2at6native12_GLOBAL__N_18offset_tEEE10hipError_tPvRmT1_PNSt15iterator_traitsISZ_E10value_typeET2_T3_PNS10_IS15_E10value_typeET4_jRbjT5_S1B_jjP12ihipStream_tbEUljE_EEESW_SX_SY_S15_S19_S1B_T6_T7_T9_mT8_S1D_bDpT10_ENKUlT_T0_E_clISt17integral_constantIbLb1EES1P_IbLb0EEEEDaS1L_S1M_EUlS1L_E_NS1_11comp_targetILNS1_3genE8ELNS1_11target_archE1030ELNS1_3gpuE2ELNS1_3repE0EEENS1_30default_config_static_selectorELNS0_4arch9wavefront6targetE0EEEvSZ_.num_named_barrier, 0
	.set _ZN7rocprim17ROCPRIM_400000_NS6detail17trampoline_kernelINS0_13select_configILj256ELj13ELNS0_17block_load_methodE3ELS4_3ELS4_3ELNS0_20block_scan_algorithmE0ELj4294967295EEENS1_25partition_config_selectorILNS1_17partition_subalgoE3EjNS0_10empty_typeEbEEZZNS1_14partition_implILS8_3ELb0ES6_jNS0_17counting_iteratorIjlEEPS9_SE_NS0_5tupleIJPjSE_EEENSF_IJSE_SE_EEES9_SG_JZNS1_25segmented_radix_sort_implINS0_14default_configELb0EPK12hip_bfloat16PSL_PKlPlN2at6native12_GLOBAL__N_18offset_tEEE10hipError_tPvRmT1_PNSt15iterator_traitsISZ_E10value_typeET2_T3_PNS10_IS15_E10value_typeET4_jRbjT5_S1B_jjP12ihipStream_tbEUljE_EEESW_SX_SY_S15_S19_S1B_T6_T7_T9_mT8_S1D_bDpT10_ENKUlT_T0_E_clISt17integral_constantIbLb1EES1P_IbLb0EEEEDaS1L_S1M_EUlS1L_E_NS1_11comp_targetILNS1_3genE8ELNS1_11target_archE1030ELNS1_3gpuE2ELNS1_3repE0EEENS1_30default_config_static_selectorELNS0_4arch9wavefront6targetE0EEEvSZ_.private_seg_size, 0
	.set _ZN7rocprim17ROCPRIM_400000_NS6detail17trampoline_kernelINS0_13select_configILj256ELj13ELNS0_17block_load_methodE3ELS4_3ELS4_3ELNS0_20block_scan_algorithmE0ELj4294967295EEENS1_25partition_config_selectorILNS1_17partition_subalgoE3EjNS0_10empty_typeEbEEZZNS1_14partition_implILS8_3ELb0ES6_jNS0_17counting_iteratorIjlEEPS9_SE_NS0_5tupleIJPjSE_EEENSF_IJSE_SE_EEES9_SG_JZNS1_25segmented_radix_sort_implINS0_14default_configELb0EPK12hip_bfloat16PSL_PKlPlN2at6native12_GLOBAL__N_18offset_tEEE10hipError_tPvRmT1_PNSt15iterator_traitsISZ_E10value_typeET2_T3_PNS10_IS15_E10value_typeET4_jRbjT5_S1B_jjP12ihipStream_tbEUljE_EEESW_SX_SY_S15_S19_S1B_T6_T7_T9_mT8_S1D_bDpT10_ENKUlT_T0_E_clISt17integral_constantIbLb1EES1P_IbLb0EEEEDaS1L_S1M_EUlS1L_E_NS1_11comp_targetILNS1_3genE8ELNS1_11target_archE1030ELNS1_3gpuE2ELNS1_3repE0EEENS1_30default_config_static_selectorELNS0_4arch9wavefront6targetE0EEEvSZ_.uses_vcc, 0
	.set _ZN7rocprim17ROCPRIM_400000_NS6detail17trampoline_kernelINS0_13select_configILj256ELj13ELNS0_17block_load_methodE3ELS4_3ELS4_3ELNS0_20block_scan_algorithmE0ELj4294967295EEENS1_25partition_config_selectorILNS1_17partition_subalgoE3EjNS0_10empty_typeEbEEZZNS1_14partition_implILS8_3ELb0ES6_jNS0_17counting_iteratorIjlEEPS9_SE_NS0_5tupleIJPjSE_EEENSF_IJSE_SE_EEES9_SG_JZNS1_25segmented_radix_sort_implINS0_14default_configELb0EPK12hip_bfloat16PSL_PKlPlN2at6native12_GLOBAL__N_18offset_tEEE10hipError_tPvRmT1_PNSt15iterator_traitsISZ_E10value_typeET2_T3_PNS10_IS15_E10value_typeET4_jRbjT5_S1B_jjP12ihipStream_tbEUljE_EEESW_SX_SY_S15_S19_S1B_T6_T7_T9_mT8_S1D_bDpT10_ENKUlT_T0_E_clISt17integral_constantIbLb1EES1P_IbLb0EEEEDaS1L_S1M_EUlS1L_E_NS1_11comp_targetILNS1_3genE8ELNS1_11target_archE1030ELNS1_3gpuE2ELNS1_3repE0EEENS1_30default_config_static_selectorELNS0_4arch9wavefront6targetE0EEEvSZ_.uses_flat_scratch, 0
	.set _ZN7rocprim17ROCPRIM_400000_NS6detail17trampoline_kernelINS0_13select_configILj256ELj13ELNS0_17block_load_methodE3ELS4_3ELS4_3ELNS0_20block_scan_algorithmE0ELj4294967295EEENS1_25partition_config_selectorILNS1_17partition_subalgoE3EjNS0_10empty_typeEbEEZZNS1_14partition_implILS8_3ELb0ES6_jNS0_17counting_iteratorIjlEEPS9_SE_NS0_5tupleIJPjSE_EEENSF_IJSE_SE_EEES9_SG_JZNS1_25segmented_radix_sort_implINS0_14default_configELb0EPK12hip_bfloat16PSL_PKlPlN2at6native12_GLOBAL__N_18offset_tEEE10hipError_tPvRmT1_PNSt15iterator_traitsISZ_E10value_typeET2_T3_PNS10_IS15_E10value_typeET4_jRbjT5_S1B_jjP12ihipStream_tbEUljE_EEESW_SX_SY_S15_S19_S1B_T6_T7_T9_mT8_S1D_bDpT10_ENKUlT_T0_E_clISt17integral_constantIbLb1EES1P_IbLb0EEEEDaS1L_S1M_EUlS1L_E_NS1_11comp_targetILNS1_3genE8ELNS1_11target_archE1030ELNS1_3gpuE2ELNS1_3repE0EEENS1_30default_config_static_selectorELNS0_4arch9wavefront6targetE0EEEvSZ_.has_dyn_sized_stack, 0
	.set _ZN7rocprim17ROCPRIM_400000_NS6detail17trampoline_kernelINS0_13select_configILj256ELj13ELNS0_17block_load_methodE3ELS4_3ELS4_3ELNS0_20block_scan_algorithmE0ELj4294967295EEENS1_25partition_config_selectorILNS1_17partition_subalgoE3EjNS0_10empty_typeEbEEZZNS1_14partition_implILS8_3ELb0ES6_jNS0_17counting_iteratorIjlEEPS9_SE_NS0_5tupleIJPjSE_EEENSF_IJSE_SE_EEES9_SG_JZNS1_25segmented_radix_sort_implINS0_14default_configELb0EPK12hip_bfloat16PSL_PKlPlN2at6native12_GLOBAL__N_18offset_tEEE10hipError_tPvRmT1_PNSt15iterator_traitsISZ_E10value_typeET2_T3_PNS10_IS15_E10value_typeET4_jRbjT5_S1B_jjP12ihipStream_tbEUljE_EEESW_SX_SY_S15_S19_S1B_T6_T7_T9_mT8_S1D_bDpT10_ENKUlT_T0_E_clISt17integral_constantIbLb1EES1P_IbLb0EEEEDaS1L_S1M_EUlS1L_E_NS1_11comp_targetILNS1_3genE8ELNS1_11target_archE1030ELNS1_3gpuE2ELNS1_3repE0EEENS1_30default_config_static_selectorELNS0_4arch9wavefront6targetE0EEEvSZ_.has_recursion, 0
	.set _ZN7rocprim17ROCPRIM_400000_NS6detail17trampoline_kernelINS0_13select_configILj256ELj13ELNS0_17block_load_methodE3ELS4_3ELS4_3ELNS0_20block_scan_algorithmE0ELj4294967295EEENS1_25partition_config_selectorILNS1_17partition_subalgoE3EjNS0_10empty_typeEbEEZZNS1_14partition_implILS8_3ELb0ES6_jNS0_17counting_iteratorIjlEEPS9_SE_NS0_5tupleIJPjSE_EEENSF_IJSE_SE_EEES9_SG_JZNS1_25segmented_radix_sort_implINS0_14default_configELb0EPK12hip_bfloat16PSL_PKlPlN2at6native12_GLOBAL__N_18offset_tEEE10hipError_tPvRmT1_PNSt15iterator_traitsISZ_E10value_typeET2_T3_PNS10_IS15_E10value_typeET4_jRbjT5_S1B_jjP12ihipStream_tbEUljE_EEESW_SX_SY_S15_S19_S1B_T6_T7_T9_mT8_S1D_bDpT10_ENKUlT_T0_E_clISt17integral_constantIbLb1EES1P_IbLb0EEEEDaS1L_S1M_EUlS1L_E_NS1_11comp_targetILNS1_3genE8ELNS1_11target_archE1030ELNS1_3gpuE2ELNS1_3repE0EEENS1_30default_config_static_selectorELNS0_4arch9wavefront6targetE0EEEvSZ_.has_indirect_call, 0
	.section	.AMDGPU.csdata,"",@progbits
; Kernel info:
; codeLenInByte = 0
; TotalNumSgprs: 0
; NumVgprs: 0
; ScratchSize: 0
; MemoryBound: 0
; FloatMode: 240
; IeeeMode: 1
; LDSByteSize: 0 bytes/workgroup (compile time only)
; SGPRBlocks: 0
; VGPRBlocks: 0
; NumSGPRsForWavesPerEU: 1
; NumVGPRsForWavesPerEU: 1
; NamedBarCnt: 0
; Occupancy: 16
; WaveLimiterHint : 0
; COMPUTE_PGM_RSRC2:SCRATCH_EN: 0
; COMPUTE_PGM_RSRC2:USER_SGPR: 2
; COMPUTE_PGM_RSRC2:TRAP_HANDLER: 0
; COMPUTE_PGM_RSRC2:TGID_X_EN: 1
; COMPUTE_PGM_RSRC2:TGID_Y_EN: 0
; COMPUTE_PGM_RSRC2:TGID_Z_EN: 0
; COMPUTE_PGM_RSRC2:TIDIG_COMP_CNT: 0
	.section	.text._ZN7rocprim17ROCPRIM_400000_NS6detail17trampoline_kernelINS0_13select_configILj256ELj13ELNS0_17block_load_methodE3ELS4_3ELS4_3ELNS0_20block_scan_algorithmE0ELj4294967295EEENS1_25partition_config_selectorILNS1_17partition_subalgoE3EjNS0_10empty_typeEbEEZZNS1_14partition_implILS8_3ELb0ES6_jNS0_17counting_iteratorIjlEEPS9_SE_NS0_5tupleIJPjSE_EEENSF_IJSE_SE_EEES9_SG_JZNS1_25segmented_radix_sort_implINS0_14default_configELb0EPK12hip_bfloat16PSL_PKlPlN2at6native12_GLOBAL__N_18offset_tEEE10hipError_tPvRmT1_PNSt15iterator_traitsISZ_E10value_typeET2_T3_PNS10_IS15_E10value_typeET4_jRbjT5_S1B_jjP12ihipStream_tbEUljE_EEESW_SX_SY_S15_S19_S1B_T6_T7_T9_mT8_S1D_bDpT10_ENKUlT_T0_E_clISt17integral_constantIbLb0EES1P_IbLb1EEEEDaS1L_S1M_EUlS1L_E_NS1_11comp_targetILNS1_3genE0ELNS1_11target_archE4294967295ELNS1_3gpuE0ELNS1_3repE0EEENS1_30default_config_static_selectorELNS0_4arch9wavefront6targetE0EEEvSZ_,"axG",@progbits,_ZN7rocprim17ROCPRIM_400000_NS6detail17trampoline_kernelINS0_13select_configILj256ELj13ELNS0_17block_load_methodE3ELS4_3ELS4_3ELNS0_20block_scan_algorithmE0ELj4294967295EEENS1_25partition_config_selectorILNS1_17partition_subalgoE3EjNS0_10empty_typeEbEEZZNS1_14partition_implILS8_3ELb0ES6_jNS0_17counting_iteratorIjlEEPS9_SE_NS0_5tupleIJPjSE_EEENSF_IJSE_SE_EEES9_SG_JZNS1_25segmented_radix_sort_implINS0_14default_configELb0EPK12hip_bfloat16PSL_PKlPlN2at6native12_GLOBAL__N_18offset_tEEE10hipError_tPvRmT1_PNSt15iterator_traitsISZ_E10value_typeET2_T3_PNS10_IS15_E10value_typeET4_jRbjT5_S1B_jjP12ihipStream_tbEUljE_EEESW_SX_SY_S15_S19_S1B_T6_T7_T9_mT8_S1D_bDpT10_ENKUlT_T0_E_clISt17integral_constantIbLb0EES1P_IbLb1EEEEDaS1L_S1M_EUlS1L_E_NS1_11comp_targetILNS1_3genE0ELNS1_11target_archE4294967295ELNS1_3gpuE0ELNS1_3repE0EEENS1_30default_config_static_selectorELNS0_4arch9wavefront6targetE0EEEvSZ_,comdat
	.globl	_ZN7rocprim17ROCPRIM_400000_NS6detail17trampoline_kernelINS0_13select_configILj256ELj13ELNS0_17block_load_methodE3ELS4_3ELS4_3ELNS0_20block_scan_algorithmE0ELj4294967295EEENS1_25partition_config_selectorILNS1_17partition_subalgoE3EjNS0_10empty_typeEbEEZZNS1_14partition_implILS8_3ELb0ES6_jNS0_17counting_iteratorIjlEEPS9_SE_NS0_5tupleIJPjSE_EEENSF_IJSE_SE_EEES9_SG_JZNS1_25segmented_radix_sort_implINS0_14default_configELb0EPK12hip_bfloat16PSL_PKlPlN2at6native12_GLOBAL__N_18offset_tEEE10hipError_tPvRmT1_PNSt15iterator_traitsISZ_E10value_typeET2_T3_PNS10_IS15_E10value_typeET4_jRbjT5_S1B_jjP12ihipStream_tbEUljE_EEESW_SX_SY_S15_S19_S1B_T6_T7_T9_mT8_S1D_bDpT10_ENKUlT_T0_E_clISt17integral_constantIbLb0EES1P_IbLb1EEEEDaS1L_S1M_EUlS1L_E_NS1_11comp_targetILNS1_3genE0ELNS1_11target_archE4294967295ELNS1_3gpuE0ELNS1_3repE0EEENS1_30default_config_static_selectorELNS0_4arch9wavefront6targetE0EEEvSZ_ ; -- Begin function _ZN7rocprim17ROCPRIM_400000_NS6detail17trampoline_kernelINS0_13select_configILj256ELj13ELNS0_17block_load_methodE3ELS4_3ELS4_3ELNS0_20block_scan_algorithmE0ELj4294967295EEENS1_25partition_config_selectorILNS1_17partition_subalgoE3EjNS0_10empty_typeEbEEZZNS1_14partition_implILS8_3ELb0ES6_jNS0_17counting_iteratorIjlEEPS9_SE_NS0_5tupleIJPjSE_EEENSF_IJSE_SE_EEES9_SG_JZNS1_25segmented_radix_sort_implINS0_14default_configELb0EPK12hip_bfloat16PSL_PKlPlN2at6native12_GLOBAL__N_18offset_tEEE10hipError_tPvRmT1_PNSt15iterator_traitsISZ_E10value_typeET2_T3_PNS10_IS15_E10value_typeET4_jRbjT5_S1B_jjP12ihipStream_tbEUljE_EEESW_SX_SY_S15_S19_S1B_T6_T7_T9_mT8_S1D_bDpT10_ENKUlT_T0_E_clISt17integral_constantIbLb0EES1P_IbLb1EEEEDaS1L_S1M_EUlS1L_E_NS1_11comp_targetILNS1_3genE0ELNS1_11target_archE4294967295ELNS1_3gpuE0ELNS1_3repE0EEENS1_30default_config_static_selectorELNS0_4arch9wavefront6targetE0EEEvSZ_
	.p2align	8
	.type	_ZN7rocprim17ROCPRIM_400000_NS6detail17trampoline_kernelINS0_13select_configILj256ELj13ELNS0_17block_load_methodE3ELS4_3ELS4_3ELNS0_20block_scan_algorithmE0ELj4294967295EEENS1_25partition_config_selectorILNS1_17partition_subalgoE3EjNS0_10empty_typeEbEEZZNS1_14partition_implILS8_3ELb0ES6_jNS0_17counting_iteratorIjlEEPS9_SE_NS0_5tupleIJPjSE_EEENSF_IJSE_SE_EEES9_SG_JZNS1_25segmented_radix_sort_implINS0_14default_configELb0EPK12hip_bfloat16PSL_PKlPlN2at6native12_GLOBAL__N_18offset_tEEE10hipError_tPvRmT1_PNSt15iterator_traitsISZ_E10value_typeET2_T3_PNS10_IS15_E10value_typeET4_jRbjT5_S1B_jjP12ihipStream_tbEUljE_EEESW_SX_SY_S15_S19_S1B_T6_T7_T9_mT8_S1D_bDpT10_ENKUlT_T0_E_clISt17integral_constantIbLb0EES1P_IbLb1EEEEDaS1L_S1M_EUlS1L_E_NS1_11comp_targetILNS1_3genE0ELNS1_11target_archE4294967295ELNS1_3gpuE0ELNS1_3repE0EEENS1_30default_config_static_selectorELNS0_4arch9wavefront6targetE0EEEvSZ_,@function
_ZN7rocprim17ROCPRIM_400000_NS6detail17trampoline_kernelINS0_13select_configILj256ELj13ELNS0_17block_load_methodE3ELS4_3ELS4_3ELNS0_20block_scan_algorithmE0ELj4294967295EEENS1_25partition_config_selectorILNS1_17partition_subalgoE3EjNS0_10empty_typeEbEEZZNS1_14partition_implILS8_3ELb0ES6_jNS0_17counting_iteratorIjlEEPS9_SE_NS0_5tupleIJPjSE_EEENSF_IJSE_SE_EEES9_SG_JZNS1_25segmented_radix_sort_implINS0_14default_configELb0EPK12hip_bfloat16PSL_PKlPlN2at6native12_GLOBAL__N_18offset_tEEE10hipError_tPvRmT1_PNSt15iterator_traitsISZ_E10value_typeET2_T3_PNS10_IS15_E10value_typeET4_jRbjT5_S1B_jjP12ihipStream_tbEUljE_EEESW_SX_SY_S15_S19_S1B_T6_T7_T9_mT8_S1D_bDpT10_ENKUlT_T0_E_clISt17integral_constantIbLb0EES1P_IbLb1EEEEDaS1L_S1M_EUlS1L_E_NS1_11comp_targetILNS1_3genE0ELNS1_11target_archE4294967295ELNS1_3gpuE0ELNS1_3repE0EEENS1_30default_config_static_selectorELNS0_4arch9wavefront6targetE0EEEvSZ_: ; @_ZN7rocprim17ROCPRIM_400000_NS6detail17trampoline_kernelINS0_13select_configILj256ELj13ELNS0_17block_load_methodE3ELS4_3ELS4_3ELNS0_20block_scan_algorithmE0ELj4294967295EEENS1_25partition_config_selectorILNS1_17partition_subalgoE3EjNS0_10empty_typeEbEEZZNS1_14partition_implILS8_3ELb0ES6_jNS0_17counting_iteratorIjlEEPS9_SE_NS0_5tupleIJPjSE_EEENSF_IJSE_SE_EEES9_SG_JZNS1_25segmented_radix_sort_implINS0_14default_configELb0EPK12hip_bfloat16PSL_PKlPlN2at6native12_GLOBAL__N_18offset_tEEE10hipError_tPvRmT1_PNSt15iterator_traitsISZ_E10value_typeET2_T3_PNS10_IS15_E10value_typeET4_jRbjT5_S1B_jjP12ihipStream_tbEUljE_EEESW_SX_SY_S15_S19_S1B_T6_T7_T9_mT8_S1D_bDpT10_ENKUlT_T0_E_clISt17integral_constantIbLb0EES1P_IbLb1EEEEDaS1L_S1M_EUlS1L_E_NS1_11comp_targetILNS1_3genE0ELNS1_11target_archE4294967295ELNS1_3gpuE0ELNS1_3repE0EEENS1_30default_config_static_selectorELNS0_4arch9wavefront6targetE0EEEvSZ_
; %bb.0:
	s_clause 0x5
	s_load_b64 s[16:17], s[0:1], 0x10
	s_load_b128 s[12:15], s[0:1], 0x48
	s_load_b64 s[18:19], s[0:1], 0x58
	s_load_b64 s[20:21], s[0:1], 0x68
	s_load_b32 s3, s[0:1], 0x90
	s_load_b128 s[4:7], s[0:1], 0x80
	v_cmp_eq_u32_e64 s2, 0, v0
	s_and_saveexec_b32 s8, s2
	s_cbranch_execz .LBB2031_4
; %bb.1:
	s_mov_b32 s10, exec_lo
	s_mov_b32 s9, exec_lo
	v_mbcnt_lo_u32_b32 v1, s10, 0
                                        ; implicit-def: $vgpr2
	s_delay_alu instid0(VALU_DEP_1)
	v_cmpx_eq_u32_e32 0, v1
	s_cbranch_execz .LBB2031_3
; %bb.2:
	s_load_b64 s[22:23], s[0:1], 0x78
	s_bcnt1_i32_b32 s10, s10
	s_delay_alu instid0(SALU_CYCLE_1)
	v_dual_mov_b32 v2, 0 :: v_dual_mov_b32 v3, s10
	s_wait_xcnt 0x0
	s_wait_kmcnt 0x0
	global_atomic_add_u32 v2, v2, v3, s[22:23] th:TH_ATOMIC_RETURN scope:SCOPE_DEV
.LBB2031_3:
	s_wait_xcnt 0x0
	s_or_b32 exec_lo, exec_lo, s9
	s_wait_loadcnt 0x0
	v_readfirstlane_b32 s9, v2
	s_delay_alu instid0(VALU_DEP_1)
	v_dual_mov_b32 v2, 0 :: v_dual_add_nc_u32 v1, s9, v1
	ds_store_b32 v2, v1
.LBB2031_4:
	s_or_b32 exec_lo, exec_lo, s8
	v_dual_mov_b32 v1, 0 :: v_dual_lshlrev_b32 v19, 2, v0
	s_clause 0x2
	s_load_b32 s8, s[0:1], 0x8
	s_load_b64 s[10:11], s[0:1], 0x28
	s_load_b32 s9, s[0:1], 0x70
	s_wait_dscnt 0x0
	s_barrier_signal -1
	s_barrier_wait -1
	ds_load_b32 v4, v1
	s_wait_dscnt 0x0
	s_barrier_signal -1
	s_barrier_wait -1
	s_wait_kmcnt 0x0
	global_load_b64 v[42:43], v1, s[14:15]
	s_mov_b32 s1, 0
	s_add_co_i32 s8, s8, s16
	s_mul_i32 s0, s9, 0xd00
	s_add_co_i32 s9, s9, -1
	s_wait_xcnt 0x0
	s_add_nc_u64 s[14:15], s[16:17], s[0:1]
	s_add_co_i32 s0, s0, s16
	v_cmp_gt_u64_e64 s1, s[18:19], s[14:15]
	v_readfirstlane_b32 s23, v4
	s_sub_co_i32 s22, s18, s0
	v_cmp_ne_u32_e32 vcc_lo, s9, v4
	s_addk_co_i32 s22, 0xd00
	s_mov_b32 s15, -1
	s_cmp_eq_u32 s23, s9
	s_mul_i32 s14, s23, 0xd00
	s_cselect_b32 s9, -1, 0
	s_or_b32 s1, s1, vcc_lo
	s_delay_alu instid0(SALU_CYCLE_1)
	s_and_b32 vcc_lo, exec_lo, s1
	s_cbranch_vccz .LBB2031_6
; %bb.5:
	v_add3_u32 v1, s14, s8, v0
	s_mov_b32 s15, 0
	s_delay_alu instid0(VALU_DEP_1)
	v_add_nc_u32_e32 v2, 0x100, v1
	v_add_nc_u32_e32 v3, 0x200, v1
	;; [unrolled: 1-line block ×12, first 2 shown]
	ds_store_2addr_stride64_b32 v19, v1, v2 offset1:4
	ds_store_2addr_stride64_b32 v19, v3, v5 offset0:8 offset1:12
	ds_store_2addr_stride64_b32 v19, v6, v7 offset0:16 offset1:20
	;; [unrolled: 1-line block ×5, first 2 shown]
	ds_store_b32 v19, v14 offset:12288
	s_wait_loadcnt_dscnt 0x0
	s_barrier_signal -1
	s_barrier_wait -1
.LBB2031_6:
	v_cmp_gt_u32_e64 s0, s22, v0
	v_or_b32_e32 v40, 0x100, v0
	v_or_b32_e32 v38, 0x200, v0
	;; [unrolled: 1-line block ×12, first 2 shown]
	s_and_not1_b32 vcc_lo, exec_lo, s15
	s_cbranch_vccnz .LBB2031_8
; %bb.7:
	s_add_co_i32 s8, s14, s8
	v_cmp_gt_u32_e32 vcc_lo, s22, v40
	v_dual_add_nc_u32 v1, s8, v0 :: v_dual_add_nc_u32 v3, s8, v38
	v_dual_add_nc_u32 v2, s8, v40 :: v_dual_add_nc_u32 v8, s8, v30
	s_delay_alu instid0(VALU_DEP_2) | instskip(NEXT) | instid1(VALU_DEP_2)
	v_dual_add_nc_u32 v9, s8, v28 :: v_dual_cndmask_b32 v1, 0, v1, s0
	v_dual_cndmask_b32 v2, 0, v2 :: v_dual_add_nc_u32 v5, s8, v36
	v_cmp_gt_u32_e32 vcc_lo, s22, v38
	v_dual_add_nc_u32 v12, s8, v22 :: v_dual_add_nc_u32 v13, s8, v20
	v_dual_add_nc_u32 v6, s8, v34 :: v_dual_add_nc_u32 v7, s8, v32
	v_cndmask_b32_e32 v3, 0, v3, vcc_lo
	v_cmp_gt_u32_e32 vcc_lo, s22, v36
	v_dual_add_nc_u32 v10, s8, v26 :: v_dual_add_nc_u32 v11, s8, v24
	v_cndmask_b32_e32 v5, 0, v5, vcc_lo
	v_cmp_gt_u32_e32 vcc_lo, s22, v34
	v_cndmask_b32_e32 v6, 0, v6, vcc_lo
	v_cmp_gt_u32_e32 vcc_lo, s22, v32
	v_cndmask_b32_e32 v7, 0, v7, vcc_lo
	v_cmp_gt_u32_e32 vcc_lo, s22, v30
	v_cndmask_b32_e32 v8, 0, v8, vcc_lo
	v_cmp_gt_u32_e32 vcc_lo, s22, v28
	v_cndmask_b32_e32 v9, 0, v9, vcc_lo
	v_cmp_gt_u32_e32 vcc_lo, s22, v26
	v_cndmask_b32_e32 v10, 0, v10, vcc_lo
	v_cmp_gt_u32_e32 vcc_lo, s22, v24
	v_cndmask_b32_e32 v11, 0, v11, vcc_lo
	v_cmp_gt_u32_e32 vcc_lo, s22, v22
	v_dual_add_nc_u32 v14, s8, v18 :: v_dual_cndmask_b32 v12, 0, v12, vcc_lo
	v_cmp_gt_u32_e32 vcc_lo, s22, v20
	v_cndmask_b32_e32 v13, 0, v13, vcc_lo
	v_cmp_gt_u32_e32 vcc_lo, s22, v18
	s_delay_alu instid0(VALU_DEP_4)
	v_cndmask_b32_e32 v14, 0, v14, vcc_lo
	ds_store_2addr_stride64_b32 v19, v1, v2 offset1:4
	ds_store_2addr_stride64_b32 v19, v3, v5 offset0:8 offset1:12
	ds_store_2addr_stride64_b32 v19, v6, v7 offset0:16 offset1:20
	;; [unrolled: 1-line block ×5, first 2 shown]
	ds_store_b32 v19, v14 offset:12288
	s_wait_loadcnt_dscnt 0x0
	s_barrier_signal -1
	s_barrier_wait -1
.LBB2031_8:
	v_mul_u32_u24_e32 v23, 13, v0
	s_wait_loadcnt 0x0
	v_cndmask_b32_e64 v21, 0, 1, s1
	s_and_not1_b32 vcc_lo, exec_lo, s1
	s_delay_alu instid0(VALU_DEP_2)
	v_lshlrev_b32_e32 v2, 2, v23
	ds_load_2addr_b32 v[52:53], v2 offset0:2 offset1:3
	ds_load_2addr_b32 v[48:49], v2 offset0:6 offset1:7
	;; [unrolled: 1-line block ×3, first 2 shown]
	ds_load_2addr_b32 v[54:55], v2 offset1:1
	ds_load_2addr_b32 v[44:45], v2 offset0:10 offset1:11
	ds_load_b32 v1, v2 offset:48
	ds_load_2addr_b32 v[46:47], v2 offset0:8 offset1:9
	s_wait_dscnt 0x0
	s_barrier_signal -1
	s_barrier_wait -1
	s_cbranch_vccnz .LBB2031_10
; %bb.9:
	v_dual_add_nc_u32 v2, s5, v53 :: v_dual_add_nc_u32 v3, s5, v55
	v_dual_add_nc_u32 v5, s5, v54 :: v_dual_add_nc_u32 v6, s5, v52
	;; [unrolled: 1-line block ×4, first 2 shown]
	s_delay_alu instid0(VALU_DEP_3) | instskip(NEXT) | instid1(VALU_DEP_4)
	v_mul_lo_u32 v6, v6, s4
	v_mul_lo_u32 v5, v5, s4
	v_mul_lo_u32 v3, v3, s4
	v_mul_lo_u32 v2, v2, s4
	v_mul_lo_u32 v7, v7, s6
	v_mul_lo_u32 v8, v8, s6
	v_mul_lo_u32 v9, v9, s6
	v_mul_lo_u32 v10, v10, s6
	v_dual_add_nc_u32 v11, s5, v50 :: v_dual_add_nc_u32 v12, s7, v50
	v_dual_add_nc_u32 v13, s5, v48 :: v_dual_add_nc_u32 v15, s7, v45
	v_add_nc_u32_e32 v16, s5, v44
	s_delay_alu instid0(VALU_DEP_3) | instskip(NEXT) | instid1(VALU_DEP_4)
	v_mul_lo_u32 v11, v11, s4
	v_mul_lo_u32 v12, v12, s6
	v_dual_sub_nc_u32 v2, v2, v7 :: v_dual_sub_nc_u32 v3, v3, v8
	v_dual_sub_nc_u32 v5, v5, v9 :: v_dual_sub_nc_u32 v6, v6, v10
	v_dual_add_nc_u32 v7, s5, v51 :: v_dual_add_nc_u32 v8, s7, v51
	v_dual_add_nc_u32 v9, s5, v49 :: v_dual_add_nc_u32 v10, s7, v49
	s_delay_alu instid0(VALU_DEP_4) | instskip(NEXT) | instid1(VALU_DEP_3)
	v_cmp_lt_u32_e32 vcc_lo, s3, v2
	v_mul_lo_u32 v7, v7, s4
	s_delay_alu instid0(VALU_DEP_4) | instskip(NEXT) | instid1(VALU_DEP_4)
	v_mul_lo_u32 v8, v8, s6
	v_mul_lo_u32 v9, v9, s4
	;; [unrolled: 1-line block ×3, first 2 shown]
	v_cndmask_b32_e64 v2, 0, 1, vcc_lo
	v_cmp_lt_u32_e32 vcc_lo, s3, v3
	v_dual_add_nc_u32 v17, s7, v47 :: v_dual_add_nc_u32 v25, s7, v46
	v_mul_lo_u32 v15, v15, s6
	v_add_nc_u32_e32 v14, s5, v46
	v_cndmask_b32_e64 v3, 0, 1, vcc_lo
	s_delay_alu instid0(VALU_DEP_4) | instskip(SKIP_4) | instid1(VALU_DEP_3)
	v_mul_lo_u32 v17, v17, s6
	v_sub_nc_u32_e32 v7, v7, v8
	v_dual_add_nc_u32 v8, s7, v48 :: v_dual_sub_nc_u32 v9, v9, v10
	v_dual_sub_nc_u32 v10, v11, v12 :: v_dual_add_nc_u32 v11, s5, v45
	v_mul_lo_u32 v13, v13, s4
	v_mul_lo_u32 v8, v8, s6
	v_add_nc_u32_e32 v12, s5, v47
	v_cmp_lt_u32_e32 vcc_lo, s3, v7
	v_mul_lo_u32 v11, v11, s4
	v_lshlrev_b16 v3, 8, v3
	v_mul_lo_u32 v14, v14, s4
	v_mul_lo_u32 v12, v12, s4
	v_cndmask_b32_e64 v7, 0, 1, vcc_lo
	v_cmp_lt_u32_e32 vcc_lo, s3, v9
	v_lshrrev_b32_e32 v3, 8, v3
	v_mul_lo_u32 v25, v25, s6
	v_sub_nc_u32_e32 v8, v13, v8
	v_lshlrev_b16 v7, 8, v7
	v_cndmask_b32_e64 v9, 0, 1, vcc_lo
	v_sub_nc_u32_e32 v11, v11, v15
	v_cmp_lt_u32_e32 vcc_lo, s3, v5
	s_delay_alu instid0(VALU_DEP_4)
	v_dual_add_nc_u32 v27, s7, v44 :: v_dual_lshrrev_b32 v7, 8, v7
	v_sub_nc_u32_e32 v12, v12, v17
	v_mul_lo_u32 v13, v16, s4
	v_cndmask_b32_e64 v5, 0, 1, vcc_lo
	v_cmp_lt_u32_e32 vcc_lo, s3, v11
	v_mul_lo_u32 v16, v27, s6
	v_dual_add_nc_u32 v15, s5, v1 :: v_dual_add_nc_u32 v27, s7, v1
	v_lshlrev_b16 v2, 8, v2
	v_cndmask_b32_e64 v11, 0, 1, vcc_lo
	v_cmp_lt_u32_e32 vcc_lo, s3, v12
	s_delay_alu instid0(VALU_DEP_4)
	v_mul_lo_u32 v15, v15, s4
	v_mul_lo_u32 v17, v27, s6
	v_sub_nc_u32_e32 v14, v14, v25
	v_lshlrev_b16 v3, 8, v3
	v_cndmask_b32_e64 v12, 0, 1, vcc_lo
	v_cmp_lt_u32_e32 vcc_lo, s3, v6
	v_dual_sub_nc_u32 v13, v13, v16 :: v_dual_lshrrev_b32 v2, 8, v2
	s_delay_alu instid0(VALU_DEP_4)
	v_or_b32_e32 v3, v5, v3
	v_lshlrev_b16 v5, 8, v11
	v_cndmask_b32_e64 v6, 0, 1, vcc_lo
	v_cmp_lt_u32_e32 vcc_lo, s3, v10
	v_lshlrev_b16 v11, 8, v12
	v_lshlrev_b16 v9, 8, v9
	v_sub_nc_u32_e32 v12, v15, v17
	v_lshlrev_b16 v2, 8, v2
	v_cndmask_b32_e64 v10, 0, 1, vcc_lo
	v_cmp_lt_u32_e32 vcc_lo, s3, v8
	v_lshlrev_b16 v7, 8, v7
	v_dual_lshrrev_b32 v11, 8, v11 :: v_dual_lshrrev_b32 v5, 8, v5
	v_or_b32_e32 v2, v6, v2
	v_cndmask_b32_e64 v8, 0, 1, vcc_lo
	v_cmp_lt_u32_e32 vcc_lo, s3, v14
	s_delay_alu instid0(VALU_DEP_4)
	v_lshlrev_b16 v11, 8, v11
	v_lshlrev_b16 v5, 8, v5
	v_dual_lshlrev_b32 v2, 16, v2 :: v_dual_bitop2_b32 v6, v10, v7 bitop3:0x54
	v_cndmask_b32_e64 v14, 0, 1, vcc_lo
	v_cmp_lt_u32_e32 vcc_lo, s3, v13
	v_or_b32_e32 v7, v8, v9
	v_and_b32_e32 v3, 0xffff, v3
	v_and_b32_e32 v6, 0xffff, v6
	v_cndmask_b32_e64 v13, 0, 1, vcc_lo
	s_delay_alu instid0(VALU_DEP_4) | instskip(SKIP_2) | instid1(VALU_DEP_4)
	v_lshlrev_b32_e32 v7, 16, v7
	v_cmp_lt_u32_e32 vcc_lo, s3, v12
	v_or_b32_e32 v35, v3, v2
	v_or_b32_e32 v5, v13, v5
	;; [unrolled: 1-line block ×3, first 2 shown]
	v_cndmask_b32_e64 v25, 0, 1, vcc_lo
	s_delay_alu instid0(VALU_DEP_3) | instskip(NEXT) | instid1(VALU_DEP_3)
	v_dual_lshlrev_b32 v5, 16, v5 :: v_dual_bitop2_b32 v31, v6, v7 bitop3:0x54
	v_and_b32_e32 v8, 0xffff, v8
	s_delay_alu instid0(VALU_DEP_1)
	v_or_b32_e32 v27, v8, v5
	s_cbranch_execz .LBB2031_11
	s_branch .LBB2031_38
.LBB2031_10:
                                        ; implicit-def: $vgpr25
                                        ; implicit-def: $vgpr27
                                        ; implicit-def: $vgpr31
                                        ; implicit-def: $vgpr35
.LBB2031_11:
	v_dual_mov_b32 v3, 0 :: v_dual_mov_b32 v2, 0
	s_mov_b32 s0, exec_lo
	v_cmpx_gt_u32_e64 s22, v23
	s_cbranch_execz .LBB2031_13
; %bb.12:
	v_dual_add_nc_u32 v2, s5, v54 :: v_dual_add_nc_u32 v5, s7, v54
	s_delay_alu instid0(VALU_DEP_1) | instskip(NEXT) | instid1(VALU_DEP_2)
	v_mul_lo_u32 v2, v2, s4
	v_mul_lo_u32 v5, v5, s6
	s_delay_alu instid0(VALU_DEP_1) | instskip(NEXT) | instid1(VALU_DEP_1)
	v_sub_nc_u32_e32 v2, v2, v5
	v_cmp_lt_u32_e32 vcc_lo, s3, v2
	v_cndmask_b32_e64 v2, 0, 1, vcc_lo
.LBB2031_13:
	s_or_b32 exec_lo, exec_lo, s0
	v_add_nc_u32_e32 v5, 1, v23
	s_mov_b32 s0, exec_lo
	s_delay_alu instid0(VALU_DEP_1)
	v_cmpx_gt_u32_e64 s22, v5
	s_cbranch_execz .LBB2031_15
; %bb.14:
	v_dual_add_nc_u32 v3, s5, v55 :: v_dual_add_nc_u32 v5, s7, v55
	s_delay_alu instid0(VALU_DEP_1) | instskip(NEXT) | instid1(VALU_DEP_2)
	v_mul_lo_u32 v3, v3, s4
	v_mul_lo_u32 v5, v5, s6
	s_delay_alu instid0(VALU_DEP_1) | instskip(NEXT) | instid1(VALU_DEP_1)
	v_sub_nc_u32_e32 v3, v3, v5
	v_cmp_lt_u32_e32 vcc_lo, s3, v3
	v_cndmask_b32_e64 v3, 0, 1, vcc_lo
.LBB2031_15:
	s_or_b32 exec_lo, exec_lo, s0
	v_dual_mov_b32 v6, 0 :: v_dual_add_nc_u32 v5, 2, v23
	s_delay_alu instid0(VALU_DEP_1)
	v_cmp_gt_u32_e32 vcc_lo, s22, v5
	v_mov_b32_e32 v5, 0
	s_and_saveexec_b32 s0, vcc_lo
	s_cbranch_execz .LBB2031_17
; %bb.16:
	v_dual_add_nc_u32 v5, s5, v52 :: v_dual_add_nc_u32 v7, s7, v52
	s_delay_alu instid0(VALU_DEP_1) | instskip(NEXT) | instid1(VALU_DEP_2)
	v_mul_lo_u32 v5, v5, s4
	v_mul_lo_u32 v7, v7, s6
	s_delay_alu instid0(VALU_DEP_1) | instskip(NEXT) | instid1(VALU_DEP_1)
	v_sub_nc_u32_e32 v5, v5, v7
	v_cmp_lt_u32_e32 vcc_lo, s3, v5
	v_cndmask_b32_e64 v5, 0, 1, vcc_lo
.LBB2031_17:
	s_or_b32 exec_lo, exec_lo, s0
	v_add_nc_u32_e32 v7, 3, v23
	s_mov_b32 s0, exec_lo
	s_delay_alu instid0(VALU_DEP_1)
	v_cmpx_gt_u32_e64 s22, v7
	s_cbranch_execz .LBB2031_19
; %bb.18:
	v_dual_add_nc_u32 v6, s5, v53 :: v_dual_add_nc_u32 v7, s7, v53
	s_delay_alu instid0(VALU_DEP_1) | instskip(NEXT) | instid1(VALU_DEP_2)
	v_mul_lo_u32 v6, v6, s4
	v_mul_lo_u32 v7, v7, s6
	s_delay_alu instid0(VALU_DEP_1) | instskip(NEXT) | instid1(VALU_DEP_1)
	v_sub_nc_u32_e32 v6, v6, v7
	v_cmp_lt_u32_e32 vcc_lo, s3, v6
	v_cndmask_b32_e64 v6, 0, 1, vcc_lo
.LBB2031_19:
	s_or_b32 exec_lo, exec_lo, s0
	v_dual_mov_b32 v8, 0 :: v_dual_add_nc_u32 v7, 4, v23
	s_delay_alu instid0(VALU_DEP_1)
	v_cmp_gt_u32_e32 vcc_lo, s22, v7
	v_mov_b32_e32 v7, 0
	s_and_saveexec_b32 s0, vcc_lo
	;; [unrolled: 33-line block ×5, first 2 shown]
	s_cbranch_execz .LBB2031_33
; %bb.32:
	v_dual_add_nc_u32 v13, s5, v44 :: v_dual_add_nc_u32 v15, s7, v44
	s_delay_alu instid0(VALU_DEP_1) | instskip(NEXT) | instid1(VALU_DEP_2)
	v_mul_lo_u32 v13, v13, s4
	v_mul_lo_u32 v15, v15, s6
	s_delay_alu instid0(VALU_DEP_1) | instskip(NEXT) | instid1(VALU_DEP_1)
	v_sub_nc_u32_e32 v13, v13, v15
	v_cmp_lt_u32_e32 vcc_lo, s3, v13
	v_cndmask_b32_e64 v13, 0, 1, vcc_lo
.LBB2031_33:
	s_or_b32 exec_lo, exec_lo, s0
	v_add_nc_u32_e32 v15, 11, v23
	s_mov_b32 s0, exec_lo
	s_delay_alu instid0(VALU_DEP_1)
	v_cmpx_gt_u32_e64 s22, v15
	s_cbranch_execz .LBB2031_35
; %bb.34:
	v_dual_add_nc_u32 v14, s5, v45 :: v_dual_add_nc_u32 v15, s7, v45
	s_delay_alu instid0(VALU_DEP_1) | instskip(NEXT) | instid1(VALU_DEP_2)
	v_mul_lo_u32 v14, v14, s4
	v_mul_lo_u32 v15, v15, s6
	s_delay_alu instid0(VALU_DEP_1) | instskip(NEXT) | instid1(VALU_DEP_1)
	v_sub_nc_u32_e32 v14, v14, v15
	v_cmp_lt_u32_e32 vcc_lo, s3, v14
	v_cndmask_b32_e64 v14, 0, 1, vcc_lo
.LBB2031_35:
	s_or_b32 exec_lo, exec_lo, s0
	v_dual_add_nc_u32 v15, 12, v23 :: v_dual_mov_b32 v25, 0
	s_mov_b32 s0, exec_lo
	s_delay_alu instid0(VALU_DEP_1)
	v_cmpx_gt_u32_e64 s22, v15
	s_cbranch_execz .LBB2031_37
; %bb.36:
	v_dual_add_nc_u32 v15, s7, v1 :: v_dual_add_nc_u32 v16, s5, v1
	s_delay_alu instid0(VALU_DEP_1) | instskip(NEXT) | instid1(VALU_DEP_2)
	v_mul_lo_u32 v15, v15, s6
	v_mul_lo_u32 v16, v16, s4
	s_delay_alu instid0(VALU_DEP_1) | instskip(NEXT) | instid1(VALU_DEP_1)
	v_sub_nc_u32_e32 v15, v16, v15
	v_cmp_lt_u32_e32 vcc_lo, s3, v15
	v_cndmask_b32_e64 v25, 0, 1, vcc_lo
.LBB2031_37:
	s_or_b32 exec_lo, exec_lo, s0
	v_lshlrev_b16 v6, 8, v6
	v_lshlrev_b16 v8, 8, v8
	;; [unrolled: 1-line block ×5, first 2 shown]
	v_or_b32_e32 v5, v5, v6
	v_or_b32_e32 v6, v7, v8
	;; [unrolled: 1-line block ×3, first 2 shown]
	s_delay_alu instid0(VALU_DEP_1) | instskip(NEXT) | instid1(VALU_DEP_4)
	v_dual_lshlrev_b32 v7, 16, v7 :: v_dual_bitop2_b32 v8, v11, v12 bitop3:0x54
	v_dual_lshlrev_b32 v5, 16, v5 :: v_dual_bitop2_b32 v2, v2, v3 bitop3:0x54
	v_lshlrev_b16 v3, 8, v14
	s_delay_alu instid0(VALU_DEP_3) | instskip(NEXT) | instid1(VALU_DEP_3)
	v_and_b32_e32 v8, 0xffff, v8
	v_and_b32_e32 v2, 0xffff, v2
	s_delay_alu instid0(VALU_DEP_3) | instskip(NEXT) | instid1(VALU_DEP_1)
	v_or_b32_e32 v3, v13, v3
	v_dual_lshlrev_b32 v3, 16, v3 :: v_dual_bitop2_b32 v35, v2, v5 bitop3:0x54
	v_and_b32_e32 v6, 0xffff, v6
	s_delay_alu instid0(VALU_DEP_2) | instskip(NEXT) | instid1(VALU_DEP_2)
	v_or_b32_e32 v27, v8, v3
	v_or_b32_e32 v31, v6, v7
.LBB2031_38:
	s_delay_alu instid0(VALU_DEP_4) | instskip(SKIP_2) | instid1(VALU_DEP_4)
	v_bfe_u32 v39, v35, 16, 8
	v_bfe_u32 v41, v35, 8, 8
	v_and_b32_e32 v57, 0xff, v35
	v_and_b32_e32 v58, 0xff, v31
	v_mbcnt_lo_u32_b32 v64, -1, 0
	v_lshrrev_b32_e32 v37, 24, v35
	v_bfe_u32 v59, v31, 16, 8
	v_add3_u32 v2, v41, v57, v39
	v_bfe_u32 v60, v31, 8, 8
	v_dual_lshrrev_b32 v33, 24, v31 :: v_dual_bitop2_b32 v5, 15, v64 bitop3:0x40
	v_lshrrev_b32_e32 v65, 5, v0
	s_delay_alu instid0(VALU_DEP_4)
	v_add3_u32 v2, v2, v37, v58
	v_and_b32_e32 v61, 0xff, v27
	v_bfe_u32 v62, v27, 16, 8
	v_bfe_u32 v63, v27, 8, 8
	v_dual_lshrrev_b32 v29, 24, v27 :: v_dual_bitop2_b32 v6, 31, v0 bitop3:0x54
	v_add3_u32 v2, v2, v60, v59
	v_and_b32_e32 v3, 0xff, v25
	v_and_b32_e32 v7, 16, v64
	v_cmp_ne_u32_e32 vcc_lo, 0, v4
	v_cmp_eq_u32_e64 s6, 0, v5
	v_add3_u32 v2, v2, v33, v61
	v_cmp_lt_u32_e64 s5, 1, v5
	v_cmp_lt_u32_e64 s4, 3, v5
	;; [unrolled: 1-line block ×3, first 2 shown]
	v_cmp_eq_u32_e64 s1, 0, v7
	v_add3_u32 v2, v2, v63, v62
	v_cmp_eq_u32_e64 s0, v0, v6
	s_mov_b32 s7, -1
	v_add3_u32 v66, v2, v29, v3
	s_cbranch_vccz .LBB2031_60
; %bb.39:
	s_delay_alu instid0(VALU_DEP_1) | instskip(NEXT) | instid1(VALU_DEP_1)
	v_mov_b32_dpp v2, v66 row_shr:1 row_mask:0xf bank_mask:0xf
	v_cndmask_b32_e64 v2, v2, 0, s6
	s_delay_alu instid0(VALU_DEP_1) | instskip(NEXT) | instid1(VALU_DEP_1)
	v_add_nc_u32_e32 v2, v2, v66
	v_mov_b32_dpp v3, v2 row_shr:2 row_mask:0xf bank_mask:0xf
	s_delay_alu instid0(VALU_DEP_1) | instskip(NEXT) | instid1(VALU_DEP_1)
	v_cndmask_b32_e64 v3, 0, v3, s5
	v_add_nc_u32_e32 v2, v2, v3
	s_delay_alu instid0(VALU_DEP_1) | instskip(NEXT) | instid1(VALU_DEP_1)
	v_mov_b32_dpp v3, v2 row_shr:4 row_mask:0xf bank_mask:0xf
	v_cndmask_b32_e64 v3, 0, v3, s4
	s_delay_alu instid0(VALU_DEP_1) | instskip(NEXT) | instid1(VALU_DEP_1)
	v_add_nc_u32_e32 v2, v2, v3
	v_mov_b32_dpp v3, v2 row_shr:8 row_mask:0xf bank_mask:0xf
	s_delay_alu instid0(VALU_DEP_1) | instskip(NEXT) | instid1(VALU_DEP_1)
	v_cndmask_b32_e64 v3, 0, v3, s3
	v_add_nc_u32_e32 v2, v2, v3
	ds_swizzle_b32 v3, v2 offset:swizzle(BROADCAST,32,15)
	s_wait_dscnt 0x0
	v_cndmask_b32_e64 v3, v3, 0, s1
	s_delay_alu instid0(VALU_DEP_1)
	v_add_nc_u32_e32 v2, v2, v3
	s_and_saveexec_b32 s7, s0
; %bb.40:
	v_lshlrev_b32_e32 v3, 2, v65
	ds_store_b32 v3, v2
; %bb.41:
	s_or_b32 exec_lo, exec_lo, s7
	s_delay_alu instid0(SALU_CYCLE_1)
	s_mov_b32 s7, exec_lo
	s_wait_dscnt 0x0
	s_barrier_signal -1
	s_barrier_wait -1
	v_cmpx_gt_u32_e32 8, v0
	s_cbranch_execz .LBB2031_43
; %bb.42:
	ds_load_b32 v3, v19
	s_wait_dscnt 0x0
	v_mov_b32_dpp v6, v3 row_shr:1 row_mask:0xf bank_mask:0xf
	v_and_b32_e32 v5, 7, v64
	s_delay_alu instid0(VALU_DEP_1) | instskip(NEXT) | instid1(VALU_DEP_3)
	v_cmp_ne_u32_e32 vcc_lo, 0, v5
	v_cndmask_b32_e32 v6, 0, v6, vcc_lo
	v_cmp_lt_u32_e32 vcc_lo, 1, v5
	s_delay_alu instid0(VALU_DEP_2) | instskip(NEXT) | instid1(VALU_DEP_1)
	v_add_nc_u32_e32 v3, v6, v3
	v_mov_b32_dpp v6, v3 row_shr:2 row_mask:0xf bank_mask:0xf
	s_delay_alu instid0(VALU_DEP_1) | instskip(SKIP_1) | instid1(VALU_DEP_2)
	v_cndmask_b32_e32 v6, 0, v6, vcc_lo
	v_cmp_lt_u32_e32 vcc_lo, 3, v5
	v_add_nc_u32_e32 v3, v3, v6
	s_delay_alu instid0(VALU_DEP_1) | instskip(NEXT) | instid1(VALU_DEP_1)
	v_mov_b32_dpp v6, v3 row_shr:4 row_mask:0xf bank_mask:0xf
	v_cndmask_b32_e32 v5, 0, v6, vcc_lo
	s_delay_alu instid0(VALU_DEP_1)
	v_add_nc_u32_e32 v3, v3, v5
	ds_store_b32 v19, v3
.LBB2031_43:
	s_or_b32 exec_lo, exec_lo, s7
	s_delay_alu instid0(SALU_CYCLE_1)
	s_mov_b32 s8, exec_lo
	v_cmp_gt_u32_e32 vcc_lo, 32, v0
	s_wait_dscnt 0x0
	s_barrier_signal -1
	s_barrier_wait -1
                                        ; implicit-def: $vgpr10
	v_cmpx_lt_u32_e32 31, v0
	s_cbranch_execz .LBB2031_45
; %bb.44:
	v_lshl_add_u32 v3, v65, 2, -4
	ds_load_b32 v10, v3
	s_wait_dscnt 0x0
	v_add_nc_u32_e32 v2, v10, v2
.LBB2031_45:
	s_or_b32 exec_lo, exec_lo, s8
	v_sub_co_u32 v3, s7, v64, 1
	s_delay_alu instid0(VALU_DEP_1) | instskip(NEXT) | instid1(VALU_DEP_1)
	v_cmp_gt_i32_e64 s8, 0, v3
	v_cndmask_b32_e64 v3, v3, v64, s8
	s_delay_alu instid0(VALU_DEP_1)
	v_lshlrev_b32_e32 v3, 2, v3
	ds_bpermute_b32 v11, v3, v2
	s_and_saveexec_b32 s8, vcc_lo
	s_cbranch_execz .LBB2031_65
; %bb.46:
	v_dual_mov_b32 v9, 0 :: v_dual_add_nc_u32 v12, 32, v4
	ds_load_b32 v2, v9 offset:28
	s_and_saveexec_b32 s15, s7
	s_cbranch_execz .LBB2031_48
; %bb.47:
	v_mov_b32_e32 v3, 1
	s_wait_dscnt 0x0
	global_store_b64 v12, v[2:3], s[20:21] scale_offset scope:SCOPE_DEV
.LBB2031_48:
	s_wait_xcnt 0x0
	s_or_b32 exec_lo, exec_lo, s15
	v_xad_u32 v4, v64, -1, v4
	s_mov_b32 s23, 0
	s_mov_b32 s15, exec_lo
	s_delay_alu instid0(VALU_DEP_1) | instskip(SKIP_4) | instid1(VALU_DEP_1)
	v_add_nc_u32_e32 v8, 32, v4
	global_load_b64 v[6:7], v8, s[20:21] scale_offset scope:SCOPE_DEV
	s_wait_loadcnt 0x0
	v_and_b32_e32 v3, 0xff, v7
	s_wait_xcnt 0x0
	v_cmpx_eq_u16_e32 0, v3
	s_cbranch_execz .LBB2031_52
; %bb.49:
	v_lshl_add_u64 v[8:9], v[8:9], 3, s[20:21]
.LBB2031_50:                            ; =>This Inner Loop Header: Depth=1
	global_load_b64 v[6:7], v[8:9], off scope:SCOPE_DEV
	s_wait_loadcnt 0x0
	v_and_b32_e32 v3, 0xff, v7
	s_delay_alu instid0(VALU_DEP_1)
	v_cmp_ne_u16_e32 vcc_lo, 0, v3
	s_or_b32 s23, vcc_lo, s23
	s_wait_xcnt 0x0
	s_and_not1_b32 exec_lo, exec_lo, s23
	s_cbranch_execnz .LBB2031_50
; %bb.51:
	s_or_b32 exec_lo, exec_lo, s23
.LBB2031_52:
	s_delay_alu instid0(SALU_CYCLE_1)
	s_or_b32 exec_lo, exec_lo, s15
	v_cmp_ne_u32_e32 vcc_lo, 31, v64
	v_lshlrev_b32_e64 v14, v64, -1
	v_lshl_or_b32 v69, v64, 2, 64
	v_dual_add_nc_u32 v16, 2, v64 :: v_dual_add_nc_u32 v56, 4, v64
	v_add_co_ci_u32_e64 v3, null, 0, v64, vcc_lo
	v_dual_add_nc_u32 v68, 8, v64 :: v_dual_add_nc_u32 v70, 16, v64
	s_delay_alu instid0(VALU_DEP_2)
	v_lshlrev_b32_e32 v13, 2, v3
	v_and_b32_e32 v3, 0xff, v7
	ds_bpermute_b32 v5, v13, v6
	v_cmp_eq_u16_e32 vcc_lo, 2, v3
	v_and_or_b32 v3, vcc_lo, v14, 0x80000000
	v_cmp_gt_u32_e32 vcc_lo, 30, v64
	s_delay_alu instid0(VALU_DEP_2) | instskip(SKIP_1) | instid1(VALU_DEP_2)
	v_ctz_i32_b32_e32 v3, v3
	v_cndmask_b32_e64 v8, 0, 2, vcc_lo
	v_cmp_lt_u32_e32 vcc_lo, v64, v3
	s_delay_alu instid0(VALU_DEP_2) | instskip(SKIP_3) | instid1(VALU_DEP_2)
	v_add_lshl_u32 v15, v8, v64, 2
	s_wait_dscnt 0x0
	v_cndmask_b32_e32 v5, 0, v5, vcc_lo
	v_cmp_gt_u32_e32 vcc_lo, 28, v64
	v_add_nc_u32_e32 v5, v5, v6
	v_cndmask_b32_e64 v8, 0, 4, vcc_lo
	v_cmp_le_u32_e32 vcc_lo, v16, v3
	ds_bpermute_b32 v6, v15, v5
	v_add_lshl_u32 v17, v8, v64, 2
	s_wait_dscnt 0x0
	v_cndmask_b32_e32 v6, 0, v6, vcc_lo
	v_cmp_gt_u32_e32 vcc_lo, 24, v64
	v_cndmask_b32_e64 v8, 0, 8, vcc_lo
	v_cmp_le_u32_e32 vcc_lo, v56, v3
	s_delay_alu instid0(VALU_DEP_4) | instskip(NEXT) | instid1(VALU_DEP_3)
	v_add_nc_u32_e32 v5, v5, v6
	v_add_lshl_u32 v67, v8, v64, 2
	ds_bpermute_b32 v6, v17, v5
	s_wait_dscnt 0x0
	v_cndmask_b32_e32 v6, 0, v6, vcc_lo
	v_cmp_le_u32_e32 vcc_lo, v68, v3
	s_delay_alu instid0(VALU_DEP_2) | instskip(SKIP_4) | instid1(VALU_DEP_2)
	v_add_nc_u32_e32 v5, v5, v6
	ds_bpermute_b32 v6, v67, v5
	s_wait_dscnt 0x0
	v_cndmask_b32_e32 v6, 0, v6, vcc_lo
	v_cmp_le_u32_e32 vcc_lo, v70, v3
	v_add_nc_u32_e32 v5, v5, v6
	ds_bpermute_b32 v6, v69, v5
	s_wait_dscnt 0x0
	v_cndmask_b32_e32 v3, 0, v6, vcc_lo
	s_delay_alu instid0(VALU_DEP_1)
	v_dual_mov_b32 v5, 0 :: v_dual_add_nc_u32 v6, v5, v3
	s_branch .LBB2031_56
.LBB2031_53:                            ;   in Loop: Header=BB2031_56 Depth=1
	s_or_b32 exec_lo, exec_lo, s23
.LBB2031_54:                            ;   in Loop: Header=BB2031_56 Depth=1
	s_delay_alu instid0(SALU_CYCLE_1)
	s_or_b32 exec_lo, exec_lo, s15
	v_and_b32_e32 v8, 0xff, v7
	ds_bpermute_b32 v9, v13, v6
	v_subrev_nc_u32_e32 v4, 32, v4
	s_mov_b32 s15, 0
	v_cmp_eq_u16_e32 vcc_lo, 2, v8
	v_and_or_b32 v8, vcc_lo, v14, 0x80000000
	s_delay_alu instid0(VALU_DEP_1) | instskip(NEXT) | instid1(VALU_DEP_1)
	v_ctz_i32_b32_e32 v8, v8
	v_cmp_lt_u32_e32 vcc_lo, v64, v8
	s_wait_dscnt 0x0
	v_cndmask_b32_e32 v9, 0, v9, vcc_lo
	v_cmp_le_u32_e32 vcc_lo, v16, v8
	s_delay_alu instid0(VALU_DEP_2) | instskip(SKIP_4) | instid1(VALU_DEP_2)
	v_add_nc_u32_e32 v6, v9, v6
	ds_bpermute_b32 v9, v15, v6
	s_wait_dscnt 0x0
	v_cndmask_b32_e32 v9, 0, v9, vcc_lo
	v_cmp_le_u32_e32 vcc_lo, v56, v8
	v_add_nc_u32_e32 v6, v6, v9
	ds_bpermute_b32 v9, v17, v6
	s_wait_dscnt 0x0
	v_cndmask_b32_e32 v9, 0, v9, vcc_lo
	v_cmp_le_u32_e32 vcc_lo, v68, v8
	s_delay_alu instid0(VALU_DEP_2) | instskip(SKIP_4) | instid1(VALU_DEP_2)
	v_add_nc_u32_e32 v6, v6, v9
	ds_bpermute_b32 v9, v67, v6
	s_wait_dscnt 0x0
	v_cndmask_b32_e32 v9, 0, v9, vcc_lo
	v_cmp_le_u32_e32 vcc_lo, v70, v8
	v_add_nc_u32_e32 v6, v6, v9
	ds_bpermute_b32 v9, v69, v6
	s_wait_dscnt 0x0
	v_cndmask_b32_e32 v8, 0, v9, vcc_lo
	s_delay_alu instid0(VALU_DEP_1)
	v_add3_u32 v6, v8, v3, v6
.LBB2031_55:                            ;   in Loop: Header=BB2031_56 Depth=1
	s_and_b32 vcc_lo, exec_lo, s15
	s_cbranch_vccnz .LBB2031_61
.LBB2031_56:                            ; =>This Loop Header: Depth=1
                                        ;     Child Loop BB2031_59 Depth 2
	v_and_b32_e32 v3, 0xff, v7
	s_mov_b32 s15, -1
                                        ; implicit-def: $vgpr7
	s_delay_alu instid0(VALU_DEP_1)
	v_cmp_ne_u16_e32 vcc_lo, 2, v3
	v_mov_b32_e32 v3, v6
                                        ; implicit-def: $vgpr6
	s_cmp_lg_u32 vcc_lo, exec_lo
	s_cbranch_scc1 .LBB2031_55
; %bb.57:                               ;   in Loop: Header=BB2031_56 Depth=1
	global_load_b64 v[6:7], v4, s[20:21] scale_offset scope:SCOPE_DEV
	s_mov_b32 s15, exec_lo
	s_wait_loadcnt 0x0
	v_and_b32_e32 v8, 0xff, v7
	s_wait_xcnt 0x0
	s_delay_alu instid0(VALU_DEP_1)
	v_cmpx_eq_u16_e32 0, v8
	s_cbranch_execz .LBB2031_54
; %bb.58:                               ;   in Loop: Header=BB2031_56 Depth=1
	v_lshl_add_u64 v[8:9], v[4:5], 3, s[20:21]
	s_mov_b32 s23, 0
.LBB2031_59:                            ;   Parent Loop BB2031_56 Depth=1
                                        ; =>  This Inner Loop Header: Depth=2
	global_load_b64 v[6:7], v[8:9], off scope:SCOPE_DEV
	s_wait_loadcnt 0x0
	v_and_b32_e32 v71, 0xff, v7
	s_delay_alu instid0(VALU_DEP_1)
	v_cmp_ne_u16_e32 vcc_lo, 0, v71
	s_or_b32 s23, vcc_lo, s23
	s_wait_xcnt 0x0
	s_and_not1_b32 exec_lo, exec_lo, s23
	s_cbranch_execnz .LBB2031_59
	s_branch .LBB2031_53
.LBB2031_60:
                                        ; implicit-def: $vgpr2_vgpr3_vgpr4_vgpr5_vgpr6_vgpr7_vgpr8_vgpr9_vgpr10_vgpr11_vgpr12_vgpr13_vgpr14_vgpr15_vgpr16_vgpr17
                                        ; implicit-def: $vgpr56
                                        ; implicit-def: $vgpr16
	s_and_b32 vcc_lo, exec_lo, s7
	s_cbranch_vccnz .LBB2031_66
	s_branch .LBB2031_75
.LBB2031_61:
	s_and_saveexec_b32 s15, s7
	s_cbranch_execz .LBB2031_63
; %bb.62:
	v_dual_mov_b32 v5, 2 :: v_dual_add_nc_u32 v4, v3, v2
	v_mov_b32_e32 v6, 0
	global_store_b64 v12, v[4:5], s[20:21] scale_offset scope:SCOPE_DEV
	ds_store_b64 v6, v[2:3] offset:13312
.LBB2031_63:
	s_wait_xcnt 0x0
	s_or_b32 exec_lo, exec_lo, s15
	s_delay_alu instid0(SALU_CYCLE_1)
	s_and_b32 exec_lo, exec_lo, s2
; %bb.64:
	v_mov_b32_e32 v2, 0
	ds_store_b32 v2, v3 offset:28
.LBB2031_65:
	s_or_b32 exec_lo, exec_lo, s8
	s_wait_dscnt 0x0
	v_dual_mov_b32 v12, 0 :: v_dual_cndmask_b32 v3, v11, v10, s7
	s_wait_storecnt 0x0
	s_barrier_signal -1
	s_barrier_wait -1
	ds_load_b32 v2, v12 offset:28
	v_cndmask_b32_e64 v3, v3, 0, s2
	s_wait_dscnt 0x0
	s_barrier_signal -1
	s_barrier_wait -1
	ds_load_b64 v[16:17], v12 offset:13312
	v_add_nc_u32_e32 v2, v2, v3
	s_wait_dscnt 0x0
	s_delay_alu instid0(VALU_DEP_1) | instskip(NEXT) | instid1(VALU_DEP_1)
	v_dual_mov_b32 v56, v17 :: v_dual_add_nc_u32 v3, v2, v57
	v_add_nc_u32_e32 v4, v3, v41
	s_delay_alu instid0(VALU_DEP_1) | instskip(NEXT) | instid1(VALU_DEP_1)
	v_add_nc_u32_e32 v5, v4, v39
	v_add_nc_u32_e32 v6, v5, v37
	s_delay_alu instid0(VALU_DEP_1) | instskip(NEXT) | instid1(VALU_DEP_1)
	v_add_nc_u32_e32 v7, v6, v58
	;; [unrolled: 3-line block ×5, first 2 shown]
	v_add_nc_u32_e32 v14, v13, v29
	s_branch .LBB2031_75
.LBB2031_66:
	v_mov_b32_dpp v2, v66 row_shr:1 row_mask:0xf bank_mask:0xf
	s_delay_alu instid0(VALU_DEP_1) | instskip(NEXT) | instid1(VALU_DEP_1)
	v_cndmask_b32_e64 v2, v2, 0, s6
	v_add_nc_u32_e32 v2, v2, v66
	s_delay_alu instid0(VALU_DEP_1) | instskip(NEXT) | instid1(VALU_DEP_1)
	v_mov_b32_dpp v3, v2 row_shr:2 row_mask:0xf bank_mask:0xf
	v_cndmask_b32_e64 v3, 0, v3, s5
	s_delay_alu instid0(VALU_DEP_1) | instskip(NEXT) | instid1(VALU_DEP_1)
	v_add_nc_u32_e32 v2, v2, v3
	v_mov_b32_dpp v3, v2 row_shr:4 row_mask:0xf bank_mask:0xf
	s_delay_alu instid0(VALU_DEP_1) | instskip(NEXT) | instid1(VALU_DEP_1)
	v_cndmask_b32_e64 v3, 0, v3, s4
	v_add_nc_u32_e32 v2, v2, v3
	s_delay_alu instid0(VALU_DEP_1) | instskip(NEXT) | instid1(VALU_DEP_1)
	v_mov_b32_dpp v3, v2 row_shr:8 row_mask:0xf bank_mask:0xf
	v_cndmask_b32_e64 v3, 0, v3, s3
	s_delay_alu instid0(VALU_DEP_1) | instskip(SKIP_3) | instid1(VALU_DEP_1)
	v_add_nc_u32_e32 v2, v2, v3
	ds_swizzle_b32 v3, v2 offset:swizzle(BROADCAST,32,15)
	s_wait_dscnt 0x0
	v_cndmask_b32_e64 v3, v3, 0, s1
	v_add_nc_u32_e32 v2, v2, v3
	s_and_saveexec_b32 s1, s0
; %bb.67:
	v_lshlrev_b32_e32 v3, 2, v65
	ds_store_b32 v3, v2
; %bb.68:
	s_or_b32 exec_lo, exec_lo, s1
	s_delay_alu instid0(SALU_CYCLE_1)
	s_mov_b32 s0, exec_lo
	s_wait_dscnt 0x0
	s_barrier_signal -1
	s_barrier_wait -1
	v_cmpx_gt_u32_e32 8, v0
	s_cbranch_execz .LBB2031_70
; %bb.69:
	ds_load_b32 v3, v19
	s_wait_dscnt 0x0
	v_mov_b32_dpp v5, v3 row_shr:1 row_mask:0xf bank_mask:0xf
	v_and_b32_e32 v4, 7, v64
	s_delay_alu instid0(VALU_DEP_1) | instskip(NEXT) | instid1(VALU_DEP_3)
	v_cmp_ne_u32_e32 vcc_lo, 0, v4
	v_cndmask_b32_e32 v5, 0, v5, vcc_lo
	v_cmp_lt_u32_e32 vcc_lo, 1, v4
	s_delay_alu instid0(VALU_DEP_2) | instskip(NEXT) | instid1(VALU_DEP_1)
	v_add_nc_u32_e32 v3, v5, v3
	v_mov_b32_dpp v5, v3 row_shr:2 row_mask:0xf bank_mask:0xf
	s_delay_alu instid0(VALU_DEP_1) | instskip(SKIP_1) | instid1(VALU_DEP_2)
	v_cndmask_b32_e32 v5, 0, v5, vcc_lo
	v_cmp_lt_u32_e32 vcc_lo, 3, v4
	v_add_nc_u32_e32 v3, v3, v5
	s_delay_alu instid0(VALU_DEP_1) | instskip(NEXT) | instid1(VALU_DEP_1)
	v_mov_b32_dpp v5, v3 row_shr:4 row_mask:0xf bank_mask:0xf
	v_cndmask_b32_e32 v4, 0, v5, vcc_lo
	s_delay_alu instid0(VALU_DEP_1)
	v_add_nc_u32_e32 v3, v3, v4
	ds_store_b32 v19, v3
.LBB2031_70:
	s_or_b32 exec_lo, exec_lo, s0
	v_dual_mov_b32 v4, 0 :: v_dual_mov_b32 v3, 0
	s_mov_b32 s0, exec_lo
	s_wait_dscnt 0x0
	s_barrier_signal -1
	s_barrier_wait -1
	v_cmpx_lt_u32_e32 31, v0
; %bb.71:
	v_lshl_add_u32 v3, v65, 2, -4
	ds_load_b32 v3, v3
; %bb.72:
	s_or_b32 exec_lo, exec_lo, s0
	v_sub_co_u32 v5, vcc_lo, v64, 1
	ds_load_b32 v16, v4 offset:28
	s_wait_dscnt 0x1
	v_add_nc_u32_e32 v2, v3, v2
	v_cmp_gt_i32_e64 s0, 0, v5
	s_delay_alu instid0(VALU_DEP_1) | instskip(NEXT) | instid1(VALU_DEP_1)
	v_cndmask_b32_e64 v5, v5, v64, s0
	v_lshlrev_b32_e32 v5, 2, v5
	ds_bpermute_b32 v2, v5, v2
	s_and_saveexec_b32 s0, s2
	s_cbranch_execz .LBB2031_74
; %bb.73:
	v_dual_mov_b32 v4, 0 :: v_dual_mov_b32 v17, 2
	s_wait_dscnt 0x1
	global_store_b64 v4, v[16:17], s[20:21] offset:256 scope:SCOPE_DEV
.LBB2031_74:
	s_wait_xcnt 0x0
	s_or_b32 exec_lo, exec_lo, s0
	s_wait_dscnt 0x0
	v_cndmask_b32_e32 v2, v2, v3, vcc_lo
	s_wait_storecnt 0x0
	s_barrier_signal -1
	s_barrier_wait -1
	s_delay_alu instid0(VALU_DEP_1) | instskip(NEXT) | instid1(VALU_DEP_1)
	v_cndmask_b32_e64 v2, v2, 0, s2
	v_dual_mov_b32 v56, 0 :: v_dual_add_nc_u32 v3, v2, v57
	s_delay_alu instid0(VALU_DEP_1) | instskip(NEXT) | instid1(VALU_DEP_1)
	v_add_nc_u32_e32 v4, v3, v41
	v_add_nc_u32_e32 v5, v4, v39
	s_delay_alu instid0(VALU_DEP_1) | instskip(NEXT) | instid1(VALU_DEP_1)
	v_add_nc_u32_e32 v6, v5, v37
	v_add_nc_u32_e32 v7, v6, v58
	;; [unrolled: 3-line block ×5, first 2 shown]
	s_delay_alu instid0(VALU_DEP_1)
	v_add_nc_u32_e32 v14, v13, v29
.LBB2031_75:
	v_dual_lshrrev_b32 v57, 16, v35 :: v_dual_lshrrev_b32 v58, 8, v35
	v_dual_add_nc_u32 v23, v16, v23 :: v_dual_sub_nc_u32 v3, v3, v56
	v_dual_sub_nc_u32 v2, v2, v56 :: v_dual_bitop2_b32 v35, 1, v35 bitop3:0x40
	s_delay_alu instid0(VALU_DEP_3) | instskip(NEXT) | instid1(VALU_DEP_3)
	v_dual_sub_nc_u32 v4, v4, v56 :: v_dual_bitop2_b32 v58, 1, v58 bitop3:0x40
	v_dual_sub_nc_u32 v59, v23, v3 :: v_dual_bitop2_b32 v57, 1, v57 bitop3:0x40
	s_delay_alu instid0(VALU_DEP_3) | instskip(NEXT) | instid1(VALU_DEP_4)
	v_dual_sub_nc_u32 v60, v23, v2 :: v_dual_sub_nc_u32 v5, v5, v56
	v_cmp_eq_u32_e32 vcc_lo, 1, v35
	s_delay_alu instid0(VALU_DEP_3) | instskip(SKIP_1) | instid1(VALU_DEP_4)
	v_dual_sub_nc_u32 v61, v23, v4 :: v_dual_add_nc_u32 v59, 1, v59
	v_dual_lshrrev_b32 v41, 8, v31 :: v_dual_lshrrev_b32 v39, 16, v31
	v_cndmask_b32_e32 v2, v60, v2, vcc_lo
	v_cmp_eq_u32_e32 vcc_lo, 1, v58
	v_dual_lshrrev_b32 v15, 16, v27 :: v_dual_lshrrev_b32 v17, 8, v27
	v_cndmask_b32_e32 v3, v59, v3, vcc_lo
	s_delay_alu instid0(VALU_DEP_4)
	v_dual_sub_nc_u32 v35, v23, v5 :: v_dual_lshlrev_b32 v2, 2, v2
	v_and_b32_e32 v37, 1, v37
	v_add_nc_u32_e32 v58, 2, v61
	v_cmp_eq_u32_e32 vcc_lo, 1, v57
	v_lshlrev_b32_e32 v3, 2, v3
	v_add_nc_u32_e32 v35, 3, v35
	ds_store_b32 v2, v54
	ds_store_b32 v3, v55
	v_cndmask_b32_e32 v4, v58, v4, vcc_lo
	v_cmp_eq_u32_e32 vcc_lo, 1, v37
	v_dual_cndmask_b32 v5, v35, v5 :: v_dual_sub_nc_u32 v6, v6, v56
	s_delay_alu instid0(VALU_DEP_1) | instskip(NEXT) | instid1(VALU_DEP_2)
	v_dual_lshlrev_b32 v3, 2, v4 :: v_dual_lshlrev_b32 v4, 2, v5
	v_sub_nc_u32_e32 v2, v23, v6
	v_dual_sub_nc_u32 v5, v7, v56 :: v_dual_bitop2_b32 v7, 1, v31 bitop3:0x40
	s_delay_alu instid0(VALU_DEP_2)
	v_add_nc_u32_e32 v2, 4, v2
	ds_store_b32 v3, v52
	ds_store_b32 v4, v53
	v_cmp_eq_u32_e32 vcc_lo, 1, v7
	v_dual_sub_nc_u32 v4, v8, v56 :: v_dual_cndmask_b32 v2, v2, v6, vcc_lo
	v_sub_nc_u32_e32 v3, v23, v5
	v_dual_sub_nc_u32 v7, v9, v56 :: v_dual_bitop2_b32 v6, 1, v41 bitop3:0x40
	s_delay_alu instid0(VALU_DEP_2) | instskip(NEXT) | instid1(VALU_DEP_2)
	v_dual_lshlrev_b32 v2, 2, v2 :: v_dual_add_nc_u32 v3, 5, v3
	v_cmp_eq_u32_e32 vcc_lo, 1, v6
	v_dual_sub_nc_u32 v8, v23, v4 :: v_dual_bitop2_b32 v6, 1, v39 bitop3:0x40
	ds_store_b32 v2, v50
	v_and_b32_e32 v2, 1, v33
	v_cndmask_b32_e32 v3, v3, v5, vcc_lo
	v_dual_sub_nc_u32 v5, v23, v7 :: v_dual_add_nc_u32 v8, 6, v8
	v_cmp_eq_u32_e32 vcc_lo, 1, v6
	s_delay_alu instid0(VALU_DEP_3) | instskip(NEXT) | instid1(VALU_DEP_3)
	v_dual_sub_nc_u32 v6, v11, v56 :: v_dual_lshlrev_b32 v3, 2, v3
	v_dual_cndmask_b32 v4, v8, v4 :: v_dual_add_nc_u32 v5, 7, v5
	v_cmp_eq_u32_e32 vcc_lo, 1, v2
	ds_store_b32 v3, v51
	v_dual_sub_nc_u32 v3, v23, v6 :: v_dual_sub_nc_u32 v8, v14, v56
	v_dual_lshlrev_b32 v4, 2, v4 :: v_dual_cndmask_b32 v2, v5, v7, vcc_lo
	v_dual_sub_nc_u32 v5, v10, v56 :: v_dual_bitop2_b32 v7, 1, v17 bitop3:0x40
	s_delay_alu instid0(VALU_DEP_3)
	v_add_nc_u32_e32 v3, 9, v3
	ds_store_b32 v4, v48
	v_dual_lshlrev_b32 v2, 2, v2 :: v_dual_sub_nc_u32 v4, v23, v5
	v_cmp_eq_u32_e32 vcc_lo, 1, v7
	v_sub_nc_u32_e32 v7, v12, v56
	v_sub_nc_u32_e32 v9, v23, v8
	ds_store_b32 v2, v49
	v_dual_add_nc_u32 v4, 8, v4 :: v_dual_bitop2_b32 v2, 1, v27 bitop3:0x40
	v_dual_cndmask_b32 v3, v3, v6 :: v_dual_sub_nc_u32 v6, v13, v56
	s_delay_alu instid0(VALU_DEP_2) | instskip(NEXT) | instid1(VALU_DEP_2)
	v_cmp_eq_u32_e32 vcc_lo, 1, v2
	v_dual_cndmask_b32 v2, v4, v5, vcc_lo :: v_dual_sub_nc_u32 v4, v23, v6
	v_and_b32_e32 v10, 1, v15
	v_dual_sub_nc_u32 v5, v23, v7 :: v_dual_bitop2_b32 v12, 1, v25 bitop3:0x40
	s_delay_alu instid0(VALU_DEP_3) | instskip(SKIP_1) | instid1(VALU_DEP_1)
	v_dual_lshlrev_b32 v2, 2, v2 :: v_dual_add_nc_u32 v4, 11, v4
	v_and_b32_e32 v11, 1, v29
	v_cmp_eq_u32_e32 vcc_lo, 1, v11
	s_delay_alu instid0(VALU_DEP_3) | instskip(SKIP_3) | instid1(VALU_DEP_1)
	v_cndmask_b32_e32 v4, v4, v6, vcc_lo
	v_cmp_eq_u32_e32 vcc_lo, 1, v10
	v_add_nc_u32_e32 v9, 12, v9
	v_add_nc_u32_e32 v5, 10, v5
	v_cndmask_b32_e32 v5, v5, v7, vcc_lo
	v_cmp_eq_u32_e32 vcc_lo, 1, v12
	s_delay_alu instid0(VALU_DEP_2) | instskip(SKIP_3) | instid1(VALU_DEP_3)
	v_dual_lshlrev_b32 v3, 2, v3 :: v_dual_lshlrev_b32 v5, 2, v5
	v_cndmask_b32_e32 v6, v9, v8, vcc_lo
	v_lshlrev_b32_e32 v4, 2, v4
	v_cmp_ne_u32_e32 vcc_lo, 1, v21
	v_lshlrev_b32_e32 v6, 2, v6
	ds_store_b32 v2, v46
	ds_store_b32 v3, v47
	;; [unrolled: 1-line block ×5, first 2 shown]
	s_wait_dscnt 0x0
	s_barrier_signal -1
	s_barrier_wait -1
	ds_load_2addr_stride64_b32 v[14:15], v19 offset1:4
	ds_load_2addr_stride64_b32 v[12:13], v19 offset0:8 offset1:12
	ds_load_2addr_stride64_b32 v[10:11], v19 offset0:16 offset1:20
	ds_load_2addr_stride64_b32 v[8:9], v19 offset0:24 offset1:28
	ds_load_2addr_stride64_b32 v[6:7], v19 offset0:32 offset1:36
	ds_load_2addr_stride64_b32 v[4:5], v19 offset0:40 offset1:44
	ds_load_b32 v46, v19 offset:12288
	v_mov_b32_e32 v1, 0
	s_and_b32 vcc_lo, exec_lo, vcc_lo
	s_delay_alu instid0(VALU_DEP_1) | instskip(SKIP_2) | instid1(VALU_DEP_3)
	v_dual_mov_b32 v29, v1 :: v_dual_mov_b32 v57, v1
	v_dual_mov_b32 v41, v1 :: v_dual_mov_b32 v39, v1
	;; [unrolled: 1-line block ×3, first 2 shown]
	v_add_nc_u64_e32 v[2:3], v[42:43], v[56:57]
	v_dual_mov_b32 v33, v1 :: v_dual_mov_b32 v31, v1
	v_dual_mov_b32 v27, v1 :: v_dual_mov_b32 v25, v1
	;; [unrolled: 1-line block ×3, first 2 shown]
	v_mov_b32_e32 v19, v1
	s_cbranch_vccnz .LBB2031_132
; %bb.76:
	v_mov_b32_e32 v17, v1
	s_mov_b32 s15, 0
	v_sub_nc_u64_e64 v[42:43], v[2:3], s[16:17]
	s_sub_nc_u64 s[0:1], s[18:19], s[14:15]
	s_delay_alu instid0(VALU_DEP_2) | instid1(SALU_CYCLE_1)
	v_add_nc_u64_e32 v[44:45], s[0:1], v[16:17]
	s_mov_b32 s0, exec_lo
	s_delay_alu instid0(VALU_DEP_1)
	v_add_nc_u64_e32 v[42:43], v[44:45], v[42:43]
                                        ; implicit-def: $vgpr44_vgpr45
	v_cmpx_ge_u32_e64 v0, v16
	s_xor_b32 s0, exec_lo, s0
; %bb.77:
	v_not_b32_e32 v44, v0
	s_delay_alu instid0(VALU_DEP_1) | instskip(NEXT) | instid1(VALU_DEP_1)
	v_ashrrev_i32_e32 v45, 31, v44
	v_add_nc_u64_e32 v[44:45], v[42:43], v[44:45]
; %bb.78:
	s_and_not1_saveexec_b32 s0, s0
; %bb.79:
	v_add_nc_u64_e32 v[44:45], v[2:3], v[0:1]
; %bb.80:
	s_or_b32 exec_lo, exec_lo, s0
	s_delay_alu instid0(VALU_DEP_1)
	v_lshl_add_u64 v[44:45], v[44:45], 2, s[10:11]
	s_mov_b32 s0, exec_lo
	s_wait_dscnt 0x6
	global_store_b32 v[44:45], v14, off
                                        ; implicit-def: $vgpr44_vgpr45
	s_wait_xcnt 0x0
	v_cmpx_ge_u32_e64 v40, v16
	s_xor_b32 s0, exec_lo, s0
; %bb.81:
	v_xor_b32_e32 v44, 0xfffffeff, v0
	s_delay_alu instid0(VALU_DEP_1) | instskip(NEXT) | instid1(VALU_DEP_1)
	v_ashrrev_i32_e32 v45, 31, v44
	v_add_nc_u64_e32 v[44:45], v[42:43], v[44:45]
; %bb.82:
	s_and_not1_saveexec_b32 s0, s0
; %bb.83:
	v_add_nc_u64_e32 v[44:45], v[2:3], v[40:41]
; %bb.84:
	s_or_b32 exec_lo, exec_lo, s0
	s_delay_alu instid0(VALU_DEP_1)
	v_lshl_add_u64 v[44:45], v[44:45], 2, s[10:11]
	s_mov_b32 s0, exec_lo
	global_store_b32 v[44:45], v15, off
                                        ; implicit-def: $vgpr44_vgpr45
	s_wait_xcnt 0x0
	v_cmpx_ge_u32_e64 v38, v16
	s_xor_b32 s0, exec_lo, s0
; %bb.85:
	v_xor_b32_e32 v44, 0xfffffdff, v0
	s_delay_alu instid0(VALU_DEP_1) | instskip(NEXT) | instid1(VALU_DEP_1)
	v_ashrrev_i32_e32 v45, 31, v44
	v_add_nc_u64_e32 v[44:45], v[42:43], v[44:45]
; %bb.86:
	s_and_not1_saveexec_b32 s0, s0
; %bb.87:
	v_add_nc_u64_e32 v[44:45], v[2:3], v[38:39]
; %bb.88:
	s_or_b32 exec_lo, exec_lo, s0
	s_delay_alu instid0(VALU_DEP_1)
	v_lshl_add_u64 v[44:45], v[44:45], 2, s[10:11]
	s_mov_b32 s0, exec_lo
	s_wait_dscnt 0x5
	global_store_b32 v[44:45], v12, off
                                        ; implicit-def: $vgpr44_vgpr45
	s_wait_xcnt 0x0
	v_cmpx_ge_u32_e64 v36, v16
	s_xor_b32 s0, exec_lo, s0
; %bb.89:
	v_xor_b32_e32 v44, 0xfffffcff, v0
	s_delay_alu instid0(VALU_DEP_1) | instskip(NEXT) | instid1(VALU_DEP_1)
	v_ashrrev_i32_e32 v45, 31, v44
	v_add_nc_u64_e32 v[44:45], v[42:43], v[44:45]
; %bb.90:
	s_and_not1_saveexec_b32 s0, s0
; %bb.91:
	v_add_nc_u64_e32 v[44:45], v[2:3], v[36:37]
; %bb.92:
	s_or_b32 exec_lo, exec_lo, s0
	s_delay_alu instid0(VALU_DEP_1)
	v_lshl_add_u64 v[44:45], v[44:45], 2, s[10:11]
	s_mov_b32 s0, exec_lo
	global_store_b32 v[44:45], v13, off
                                        ; implicit-def: $vgpr44_vgpr45
	s_wait_xcnt 0x0
	v_cmpx_ge_u32_e64 v34, v16
	s_xor_b32 s0, exec_lo, s0
; %bb.93:
	v_xor_b32_e32 v44, 0xfffffbff, v0
	;; [unrolled: 39-line block ×6, first 2 shown]
	s_delay_alu instid0(VALU_DEP_1) | instskip(NEXT) | instid1(VALU_DEP_1)
	v_ashrrev_i32_e32 v45, 31, v44
	v_add_nc_u64_e32 v[44:45], v[42:43], v[44:45]
; %bb.126:
	s_and_not1_saveexec_b32 s0, s0
; %bb.127:
	v_add_nc_u64_e32 v[44:45], v[2:3], v[18:19]
; %bb.128:
	s_or_b32 exec_lo, exec_lo, s0
	s_mov_b32 s0, -1
.LBB2031_129:
	s_delay_alu instid0(SALU_CYCLE_1)
	s_and_saveexec_b32 s1, s0
	s_cbranch_execz .LBB2031_212
.LBB2031_130:
	s_delay_alu instid0(VALU_DEP_1)
	v_lshl_add_u64 v[0:1], v[44:45], 2, s[10:11]
	s_wait_dscnt 0x0
	global_store_b32 v[0:1], v46, off
	s_wait_xcnt 0x0
	s_or_b32 exec_lo, exec_lo, s1
	s_and_b32 s0, s2, s9
	s_delay_alu instid0(SALU_CYCLE_1)
	s_and_saveexec_b32 s1, s0
	s_cbranch_execnz .LBB2031_213
.LBB2031_131:
	s_sendmsg sendmsg(MSG_DEALLOC_VGPRS)
	s_endpgm
.LBB2031_132:
	s_mov_b32 s0, 0
                                        ; implicit-def: $vgpr44_vgpr45
	s_cbranch_execz .LBB2031_129
; %bb.133:
	s_mov_b32 s15, 0
	v_mov_b32_e32 v17, 0
	s_add_nc_u64 s[4:5], s[16:17], s[14:15]
	s_mov_b32 s1, exec_lo
	s_sub_nc_u64 s[4:5], s[18:19], s[4:5]
	s_delay_alu instid0(VALU_DEP_1) | instid1(SALU_CYCLE_1)
	v_add_nc_u64_e32 v[42:43], s[4:5], v[16:17]
	s_delay_alu instid0(VALU_DEP_1)
	v_add_nc_u64_e32 v[42:43], v[42:43], v[2:3]
	v_cmpx_gt_u32_e64 s22, v0
	s_cbranch_execz .LBB2031_169
; %bb.134:
	s_mov_b32 s3, exec_lo
                                        ; implicit-def: $vgpr44_vgpr45
	v_cmpx_ge_u32_e64 v0, v16
	s_xor_b32 s3, exec_lo, s3
; %bb.135:
	v_not_b32_e32 v44, v0
	s_delay_alu instid0(VALU_DEP_1) | instskip(NEXT) | instid1(VALU_DEP_1)
	v_ashrrev_i32_e32 v45, 31, v44
	v_add_nc_u64_e32 v[44:45], v[42:43], v[44:45]
; %bb.136:
	s_and_not1_saveexec_b32 s3, s3
; %bb.137:
	v_add_nc_u64_e32 v[44:45], v[2:3], v[0:1]
; %bb.138:
	s_or_b32 exec_lo, exec_lo, s3
	s_delay_alu instid0(VALU_DEP_1) | instskip(SKIP_4) | instid1(SALU_CYCLE_1)
	v_lshl_add_u64 v[44:45], v[44:45], 2, s[10:11]
	s_wait_dscnt 0x6
	global_store_b32 v[44:45], v14, off
	s_wait_xcnt 0x0
	s_or_b32 exec_lo, exec_lo, s1
	s_mov_b32 s1, exec_lo
	v_cmpx_gt_u32_e64 s22, v40
	s_cbranch_execnz .LBB2031_170
.LBB2031_139:
	s_or_b32 exec_lo, exec_lo, s1
	s_delay_alu instid0(SALU_CYCLE_1)
	s_mov_b32 s1, exec_lo
	v_cmpx_gt_u32_e64 s22, v38
	s_cbranch_execz .LBB2031_175
.LBB2031_140:
	s_mov_b32 s3, exec_lo
                                        ; implicit-def: $vgpr14_vgpr15
	v_cmpx_ge_u32_e64 v38, v16
	s_xor_b32 s3, exec_lo, s3
	s_cbranch_execz .LBB2031_142
; %bb.141:
	s_wait_dscnt 0x6
	v_xor_b32_e32 v14, 0xfffffdff, v0
                                        ; implicit-def: $vgpr38_vgpr39
	s_delay_alu instid0(VALU_DEP_1) | instskip(NEXT) | instid1(VALU_DEP_1)
	v_ashrrev_i32_e32 v15, 31, v14
	v_add_nc_u64_e32 v[14:15], v[42:43], v[14:15]
.LBB2031_142:
	s_and_not1_saveexec_b32 s3, s3
	s_cbranch_execz .LBB2031_144
; %bb.143:
	s_wait_dscnt 0x6
	v_add_nc_u64_e32 v[14:15], v[2:3], v[38:39]
.LBB2031_144:
	s_or_b32 exec_lo, exec_lo, s3
	s_wait_dscnt 0x6
	s_delay_alu instid0(VALU_DEP_1) | instskip(SKIP_4) | instid1(SALU_CYCLE_1)
	v_lshl_add_u64 v[14:15], v[14:15], 2, s[10:11]
	s_wait_dscnt 0x5
	global_store_b32 v[14:15], v12, off
	s_wait_xcnt 0x0
	s_or_b32 exec_lo, exec_lo, s1
	s_mov_b32 s1, exec_lo
	v_cmpx_gt_u32_e64 s22, v36
	s_cbranch_execnz .LBB2031_176
.LBB2031_145:
	s_or_b32 exec_lo, exec_lo, s1
	s_delay_alu instid0(SALU_CYCLE_1)
	s_mov_b32 s1, exec_lo
	v_cmpx_gt_u32_e64 s22, v34
	s_cbranch_execz .LBB2031_181
.LBB2031_146:
	s_mov_b32 s3, exec_lo
                                        ; implicit-def: $vgpr12_vgpr13
	v_cmpx_ge_u32_e64 v34, v16
	s_xor_b32 s3, exec_lo, s3
	s_cbranch_execz .LBB2031_148
; %bb.147:
	s_wait_dscnt 0x5
	v_xor_b32_e32 v12, 0xfffffbff, v0
                                        ; implicit-def: $vgpr34_vgpr35
	s_delay_alu instid0(VALU_DEP_1) | instskip(NEXT) | instid1(VALU_DEP_1)
	v_ashrrev_i32_e32 v13, 31, v12
	v_add_nc_u64_e32 v[12:13], v[42:43], v[12:13]
.LBB2031_148:
	s_and_not1_saveexec_b32 s3, s3
	s_cbranch_execz .LBB2031_150
; %bb.149:
	s_wait_dscnt 0x5
	v_add_nc_u64_e32 v[12:13], v[2:3], v[34:35]
.LBB2031_150:
	s_or_b32 exec_lo, exec_lo, s3
	s_wait_dscnt 0x5
	s_delay_alu instid0(VALU_DEP_1) | instskip(SKIP_4) | instid1(SALU_CYCLE_1)
	v_lshl_add_u64 v[12:13], v[12:13], 2, s[10:11]
	s_wait_dscnt 0x4
	global_store_b32 v[12:13], v10, off
	s_wait_xcnt 0x0
	s_or_b32 exec_lo, exec_lo, s1
	s_mov_b32 s1, exec_lo
	v_cmpx_gt_u32_e64 s22, v32
	s_cbranch_execnz .LBB2031_182
.LBB2031_151:
	s_or_b32 exec_lo, exec_lo, s1
	s_delay_alu instid0(SALU_CYCLE_1)
	s_mov_b32 s1, exec_lo
	v_cmpx_gt_u32_e64 s22, v30
	s_cbranch_execz .LBB2031_187
.LBB2031_152:
	s_mov_b32 s3, exec_lo
                                        ; implicit-def: $vgpr10_vgpr11
	v_cmpx_ge_u32_e64 v30, v16
	s_xor_b32 s3, exec_lo, s3
	s_cbranch_execz .LBB2031_154
; %bb.153:
	s_wait_dscnt 0x4
	v_xor_b32_e32 v10, 0xfffff9ff, v0
                                        ; implicit-def: $vgpr30_vgpr31
	s_delay_alu instid0(VALU_DEP_1) | instskip(NEXT) | instid1(VALU_DEP_1)
	v_ashrrev_i32_e32 v11, 31, v10
	v_add_nc_u64_e32 v[10:11], v[42:43], v[10:11]
.LBB2031_154:
	s_and_not1_saveexec_b32 s3, s3
	s_cbranch_execz .LBB2031_156
; %bb.155:
	s_wait_dscnt 0x4
	v_add_nc_u64_e32 v[10:11], v[2:3], v[30:31]
.LBB2031_156:
	s_or_b32 exec_lo, exec_lo, s3
	s_wait_dscnt 0x4
	s_delay_alu instid0(VALU_DEP_1) | instskip(SKIP_4) | instid1(SALU_CYCLE_1)
	v_lshl_add_u64 v[10:11], v[10:11], 2, s[10:11]
	s_wait_dscnt 0x3
	global_store_b32 v[10:11], v8, off
	s_wait_xcnt 0x0
	s_or_b32 exec_lo, exec_lo, s1
	s_mov_b32 s1, exec_lo
	v_cmpx_gt_u32_e64 s22, v28
	s_cbranch_execnz .LBB2031_188
.LBB2031_157:
	s_or_b32 exec_lo, exec_lo, s1
	s_delay_alu instid0(SALU_CYCLE_1)
	s_mov_b32 s1, exec_lo
	v_cmpx_gt_u32_e64 s22, v26
	s_cbranch_execz .LBB2031_193
.LBB2031_158:
	s_mov_b32 s3, exec_lo
                                        ; implicit-def: $vgpr8_vgpr9
	v_cmpx_ge_u32_e64 v26, v16
	s_xor_b32 s3, exec_lo, s3
	s_cbranch_execz .LBB2031_160
; %bb.159:
	s_wait_dscnt 0x3
	v_xor_b32_e32 v8, 0xfffff7ff, v0
                                        ; implicit-def: $vgpr26_vgpr27
	s_delay_alu instid0(VALU_DEP_1) | instskip(NEXT) | instid1(VALU_DEP_1)
	v_ashrrev_i32_e32 v9, 31, v8
	v_add_nc_u64_e32 v[8:9], v[42:43], v[8:9]
.LBB2031_160:
	s_and_not1_saveexec_b32 s3, s3
	s_cbranch_execz .LBB2031_162
; %bb.161:
	s_wait_dscnt 0x3
	v_add_nc_u64_e32 v[8:9], v[2:3], v[26:27]
.LBB2031_162:
	s_or_b32 exec_lo, exec_lo, s3
	s_wait_dscnt 0x3
	s_delay_alu instid0(VALU_DEP_1) | instskip(SKIP_4) | instid1(SALU_CYCLE_1)
	v_lshl_add_u64 v[8:9], v[8:9], 2, s[10:11]
	s_wait_dscnt 0x2
	global_store_b32 v[8:9], v6, off
	s_wait_xcnt 0x0
	s_or_b32 exec_lo, exec_lo, s1
	s_mov_b32 s1, exec_lo
	v_cmpx_gt_u32_e64 s22, v24
	s_cbranch_execnz .LBB2031_194
.LBB2031_163:
	s_or_b32 exec_lo, exec_lo, s1
	s_delay_alu instid0(SALU_CYCLE_1)
	s_mov_b32 s1, exec_lo
	v_cmpx_gt_u32_e64 s22, v22
	s_cbranch_execz .LBB2031_199
.LBB2031_164:
	s_mov_b32 s3, exec_lo
                                        ; implicit-def: $vgpr6_vgpr7
	v_cmpx_ge_u32_e64 v22, v16
	s_xor_b32 s3, exec_lo, s3
	s_cbranch_execz .LBB2031_166
; %bb.165:
	s_wait_dscnt 0x2
	v_xor_b32_e32 v6, 0xfffff5ff, v0
                                        ; implicit-def: $vgpr22_vgpr23
	s_delay_alu instid0(VALU_DEP_1) | instskip(NEXT) | instid1(VALU_DEP_1)
	v_ashrrev_i32_e32 v7, 31, v6
	v_add_nc_u64_e32 v[6:7], v[42:43], v[6:7]
.LBB2031_166:
	s_and_not1_saveexec_b32 s3, s3
	s_cbranch_execz .LBB2031_168
; %bb.167:
	s_wait_dscnt 0x2
	v_add_nc_u64_e32 v[6:7], v[2:3], v[22:23]
.LBB2031_168:
	s_or_b32 exec_lo, exec_lo, s3
	s_wait_dscnt 0x2
	s_delay_alu instid0(VALU_DEP_1) | instskip(SKIP_4) | instid1(SALU_CYCLE_1)
	v_lshl_add_u64 v[6:7], v[6:7], 2, s[10:11]
	s_wait_dscnt 0x1
	global_store_b32 v[6:7], v4, off
	s_wait_xcnt 0x0
	s_or_b32 exec_lo, exec_lo, s1
	s_mov_b32 s1, exec_lo
	v_cmpx_gt_u32_e64 s22, v20
	s_cbranch_execz .LBB2031_205
	s_branch .LBB2031_200
.LBB2031_169:
	s_or_b32 exec_lo, exec_lo, s1
	s_delay_alu instid0(SALU_CYCLE_1)
	s_mov_b32 s1, exec_lo
	v_cmpx_gt_u32_e64 s22, v40
	s_cbranch_execz .LBB2031_139
.LBB2031_170:
	s_mov_b32 s3, exec_lo
                                        ; implicit-def: $vgpr44_vgpr45
	v_cmpx_ge_u32_e64 v40, v16
	s_xor_b32 s3, exec_lo, s3
; %bb.171:
	v_xor_b32_e32 v40, 0xfffffeff, v0
	s_delay_alu instid0(VALU_DEP_1) | instskip(NEXT) | instid1(VALU_DEP_1)
	v_ashrrev_i32_e32 v41, 31, v40
	v_add_nc_u64_e32 v[44:45], v[42:43], v[40:41]
                                        ; implicit-def: $vgpr40_vgpr41
; %bb.172:
	s_and_not1_saveexec_b32 s3, s3
; %bb.173:
	v_add_nc_u64_e32 v[44:45], v[2:3], v[40:41]
; %bb.174:
	s_or_b32 exec_lo, exec_lo, s3
	s_delay_alu instid0(VALU_DEP_1) | instskip(SKIP_4) | instid1(SALU_CYCLE_1)
	v_lshl_add_u64 v[40:41], v[44:45], 2, s[10:11]
	s_wait_dscnt 0x6
	global_store_b32 v[40:41], v15, off
	s_wait_xcnt 0x0
	s_or_b32 exec_lo, exec_lo, s1
	s_mov_b32 s1, exec_lo
	v_cmpx_gt_u32_e64 s22, v38
	s_cbranch_execnz .LBB2031_140
.LBB2031_175:
	s_or_b32 exec_lo, exec_lo, s1
	s_delay_alu instid0(SALU_CYCLE_1)
	s_mov_b32 s1, exec_lo
	v_cmpx_gt_u32_e64 s22, v36
	s_cbranch_execz .LBB2031_145
.LBB2031_176:
	s_mov_b32 s3, exec_lo
                                        ; implicit-def: $vgpr14_vgpr15
	v_cmpx_ge_u32_e64 v36, v16
	s_xor_b32 s3, exec_lo, s3
	s_cbranch_execz .LBB2031_178
; %bb.177:
	s_wait_dscnt 0x6
	v_xor_b32_e32 v14, 0xfffffcff, v0
                                        ; implicit-def: $vgpr36_vgpr37
	s_delay_alu instid0(VALU_DEP_1) | instskip(NEXT) | instid1(VALU_DEP_1)
	v_ashrrev_i32_e32 v15, 31, v14
	v_add_nc_u64_e32 v[14:15], v[42:43], v[14:15]
.LBB2031_178:
	s_and_not1_saveexec_b32 s3, s3
	s_cbranch_execz .LBB2031_180
; %bb.179:
	s_wait_dscnt 0x6
	v_add_nc_u64_e32 v[14:15], v[2:3], v[36:37]
.LBB2031_180:
	s_or_b32 exec_lo, exec_lo, s3
	s_wait_dscnt 0x6
	s_delay_alu instid0(VALU_DEP_1) | instskip(SKIP_4) | instid1(SALU_CYCLE_1)
	v_lshl_add_u64 v[14:15], v[14:15], 2, s[10:11]
	s_wait_dscnt 0x5
	global_store_b32 v[14:15], v13, off
	s_wait_xcnt 0x0
	s_or_b32 exec_lo, exec_lo, s1
	s_mov_b32 s1, exec_lo
	v_cmpx_gt_u32_e64 s22, v34
	s_cbranch_execnz .LBB2031_146
.LBB2031_181:
	s_or_b32 exec_lo, exec_lo, s1
	s_delay_alu instid0(SALU_CYCLE_1)
	s_mov_b32 s1, exec_lo
	v_cmpx_gt_u32_e64 s22, v32
	s_cbranch_execz .LBB2031_151
.LBB2031_182:
	s_mov_b32 s3, exec_lo
                                        ; implicit-def: $vgpr12_vgpr13
	v_cmpx_ge_u32_e64 v32, v16
	s_xor_b32 s3, exec_lo, s3
	s_cbranch_execz .LBB2031_184
; %bb.183:
	s_wait_dscnt 0x5
	v_xor_b32_e32 v12, 0xfffffaff, v0
                                        ; implicit-def: $vgpr32_vgpr33
	s_delay_alu instid0(VALU_DEP_1) | instskip(NEXT) | instid1(VALU_DEP_1)
	v_ashrrev_i32_e32 v13, 31, v12
	v_add_nc_u64_e32 v[12:13], v[42:43], v[12:13]
.LBB2031_184:
	s_and_not1_saveexec_b32 s3, s3
	s_cbranch_execz .LBB2031_186
; %bb.185:
	s_wait_dscnt 0x5
	v_add_nc_u64_e32 v[12:13], v[2:3], v[32:33]
.LBB2031_186:
	s_or_b32 exec_lo, exec_lo, s3
	s_wait_dscnt 0x5
	s_delay_alu instid0(VALU_DEP_1) | instskip(SKIP_4) | instid1(SALU_CYCLE_1)
	v_lshl_add_u64 v[12:13], v[12:13], 2, s[10:11]
	s_wait_dscnt 0x4
	global_store_b32 v[12:13], v11, off
	s_wait_xcnt 0x0
	s_or_b32 exec_lo, exec_lo, s1
	s_mov_b32 s1, exec_lo
	v_cmpx_gt_u32_e64 s22, v30
	s_cbranch_execnz .LBB2031_152
.LBB2031_187:
	s_or_b32 exec_lo, exec_lo, s1
	s_delay_alu instid0(SALU_CYCLE_1)
	s_mov_b32 s1, exec_lo
	v_cmpx_gt_u32_e64 s22, v28
	s_cbranch_execz .LBB2031_157
.LBB2031_188:
	s_mov_b32 s3, exec_lo
                                        ; implicit-def: $vgpr10_vgpr11
	v_cmpx_ge_u32_e64 v28, v16
	s_xor_b32 s3, exec_lo, s3
	s_cbranch_execz .LBB2031_190
; %bb.189:
	s_wait_dscnt 0x4
	v_xor_b32_e32 v10, 0xfffff8ff, v0
                                        ; implicit-def: $vgpr28_vgpr29
	s_delay_alu instid0(VALU_DEP_1) | instskip(NEXT) | instid1(VALU_DEP_1)
	v_ashrrev_i32_e32 v11, 31, v10
	v_add_nc_u64_e32 v[10:11], v[42:43], v[10:11]
.LBB2031_190:
	s_and_not1_saveexec_b32 s3, s3
	s_cbranch_execz .LBB2031_192
; %bb.191:
	s_wait_dscnt 0x4
	v_add_nc_u64_e32 v[10:11], v[2:3], v[28:29]
.LBB2031_192:
	s_or_b32 exec_lo, exec_lo, s3
	s_wait_dscnt 0x4
	s_delay_alu instid0(VALU_DEP_1) | instskip(SKIP_4) | instid1(SALU_CYCLE_1)
	v_lshl_add_u64 v[10:11], v[10:11], 2, s[10:11]
	s_wait_dscnt 0x3
	global_store_b32 v[10:11], v9, off
	s_wait_xcnt 0x0
	s_or_b32 exec_lo, exec_lo, s1
	s_mov_b32 s1, exec_lo
	v_cmpx_gt_u32_e64 s22, v26
	s_cbranch_execnz .LBB2031_158
.LBB2031_193:
	s_or_b32 exec_lo, exec_lo, s1
	s_delay_alu instid0(SALU_CYCLE_1)
	s_mov_b32 s1, exec_lo
	v_cmpx_gt_u32_e64 s22, v24
	s_cbranch_execz .LBB2031_163
.LBB2031_194:
	s_mov_b32 s3, exec_lo
                                        ; implicit-def: $vgpr8_vgpr9
	v_cmpx_ge_u32_e64 v24, v16
	s_xor_b32 s3, exec_lo, s3
	s_cbranch_execz .LBB2031_196
; %bb.195:
	s_wait_dscnt 0x3
	v_xor_b32_e32 v8, 0xfffff6ff, v0
                                        ; implicit-def: $vgpr24_vgpr25
	s_delay_alu instid0(VALU_DEP_1) | instskip(NEXT) | instid1(VALU_DEP_1)
	v_ashrrev_i32_e32 v9, 31, v8
	v_add_nc_u64_e32 v[8:9], v[42:43], v[8:9]
.LBB2031_196:
	s_and_not1_saveexec_b32 s3, s3
	s_cbranch_execz .LBB2031_198
; %bb.197:
	s_wait_dscnt 0x3
	v_add_nc_u64_e32 v[8:9], v[2:3], v[24:25]
.LBB2031_198:
	s_or_b32 exec_lo, exec_lo, s3
	s_wait_dscnt 0x3
	s_delay_alu instid0(VALU_DEP_1) | instskip(SKIP_4) | instid1(SALU_CYCLE_1)
	v_lshl_add_u64 v[8:9], v[8:9], 2, s[10:11]
	s_wait_dscnt 0x2
	global_store_b32 v[8:9], v7, off
	s_wait_xcnt 0x0
	s_or_b32 exec_lo, exec_lo, s1
	s_mov_b32 s1, exec_lo
	v_cmpx_gt_u32_e64 s22, v22
	s_cbranch_execnz .LBB2031_164
.LBB2031_199:
	s_or_b32 exec_lo, exec_lo, s1
	s_delay_alu instid0(SALU_CYCLE_1)
	s_mov_b32 s1, exec_lo
	v_cmpx_gt_u32_e64 s22, v20
	s_cbranch_execz .LBB2031_205
.LBB2031_200:
	s_mov_b32 s3, exec_lo
                                        ; implicit-def: $vgpr6_vgpr7
	v_cmpx_ge_u32_e64 v20, v16
	s_xor_b32 s3, exec_lo, s3
	s_cbranch_execz .LBB2031_202
; %bb.201:
	s_wait_dscnt 0x2
	v_xor_b32_e32 v6, 0xfffff4ff, v0
                                        ; implicit-def: $vgpr20_vgpr21
	s_delay_alu instid0(VALU_DEP_1) | instskip(NEXT) | instid1(VALU_DEP_1)
	v_ashrrev_i32_e32 v7, 31, v6
	v_add_nc_u64_e32 v[6:7], v[42:43], v[6:7]
.LBB2031_202:
	s_and_not1_saveexec_b32 s3, s3
	s_cbranch_execz .LBB2031_204
; %bb.203:
	s_wait_dscnt 0x2
	v_add_nc_u64_e32 v[6:7], v[2:3], v[20:21]
.LBB2031_204:
	s_or_b32 exec_lo, exec_lo, s3
	s_wait_dscnt 0x2
	s_delay_alu instid0(VALU_DEP_1)
	v_lshl_add_u64 v[6:7], v[6:7], 2, s[10:11]
	s_wait_dscnt 0x1
	global_store_b32 v[6:7], v5, off
.LBB2031_205:
	s_wait_xcnt 0x0
	s_or_b32 exec_lo, exec_lo, s1
	s_delay_alu instid0(SALU_CYCLE_1)
	s_mov_b32 s1, exec_lo
                                        ; implicit-def: $vgpr44_vgpr45
	v_cmpx_gt_u32_e64 s22, v18
	s_cbranch_execz .LBB2031_211
; %bb.206:
	s_mov_b32 s3, exec_lo
                                        ; implicit-def: $vgpr44_vgpr45
	v_cmpx_ge_u32_e64 v18, v16
	s_xor_b32 s3, exec_lo, s3
; %bb.207:
	v_xor_b32_e32 v0, 0xfffff3ff, v0
                                        ; implicit-def: $vgpr18_vgpr19
	s_delay_alu instid0(VALU_DEP_1) | instskip(NEXT) | instid1(VALU_DEP_1)
	v_ashrrev_i32_e32 v1, 31, v0
	v_add_nc_u64_e32 v[44:45], v[42:43], v[0:1]
; %bb.208:
	s_and_not1_saveexec_b32 s3, s3
; %bb.209:
	v_add_nc_u64_e32 v[44:45], v[2:3], v[18:19]
; %bb.210:
	s_or_b32 exec_lo, exec_lo, s3
	s_delay_alu instid0(SALU_CYCLE_1)
	s_or_b32 s0, s0, exec_lo
.LBB2031_211:
	s_or_b32 exec_lo, exec_lo, s1
	s_and_saveexec_b32 s1, s0
	s_cbranch_execnz .LBB2031_130
.LBB2031_212:
	s_or_b32 exec_lo, exec_lo, s1
	s_and_b32 s0, s2, s9
	s_delay_alu instid0(SALU_CYCLE_1)
	s_and_saveexec_b32 s1, s0
	s_cbranch_execz .LBB2031_131
.LBB2031_213:
	v_mov_b32_e32 v17, 0
	s_delay_alu instid0(VALU_DEP_1)
	v_add_nc_u64_e32 v[0:1], v[2:3], v[16:17]
	global_store_b64 v17, v[0:1], s[12:13]
	s_sendmsg sendmsg(MSG_DEALLOC_VGPRS)
	s_endpgm
	.section	.rodata,"a",@progbits
	.p2align	6, 0x0
	.amdhsa_kernel _ZN7rocprim17ROCPRIM_400000_NS6detail17trampoline_kernelINS0_13select_configILj256ELj13ELNS0_17block_load_methodE3ELS4_3ELS4_3ELNS0_20block_scan_algorithmE0ELj4294967295EEENS1_25partition_config_selectorILNS1_17partition_subalgoE3EjNS0_10empty_typeEbEEZZNS1_14partition_implILS8_3ELb0ES6_jNS0_17counting_iteratorIjlEEPS9_SE_NS0_5tupleIJPjSE_EEENSF_IJSE_SE_EEES9_SG_JZNS1_25segmented_radix_sort_implINS0_14default_configELb0EPK12hip_bfloat16PSL_PKlPlN2at6native12_GLOBAL__N_18offset_tEEE10hipError_tPvRmT1_PNSt15iterator_traitsISZ_E10value_typeET2_T3_PNS10_IS15_E10value_typeET4_jRbjT5_S1B_jjP12ihipStream_tbEUljE_EEESW_SX_SY_S15_S19_S1B_T6_T7_T9_mT8_S1D_bDpT10_ENKUlT_T0_E_clISt17integral_constantIbLb0EES1P_IbLb1EEEEDaS1L_S1M_EUlS1L_E_NS1_11comp_targetILNS1_3genE0ELNS1_11target_archE4294967295ELNS1_3gpuE0ELNS1_3repE0EEENS1_30default_config_static_selectorELNS0_4arch9wavefront6targetE0EEEvSZ_
		.amdhsa_group_segment_fixed_size 13320
		.amdhsa_private_segment_fixed_size 0
		.amdhsa_kernarg_size 152
		.amdhsa_user_sgpr_count 2
		.amdhsa_user_sgpr_dispatch_ptr 0
		.amdhsa_user_sgpr_queue_ptr 0
		.amdhsa_user_sgpr_kernarg_segment_ptr 1
		.amdhsa_user_sgpr_dispatch_id 0
		.amdhsa_user_sgpr_kernarg_preload_length 0
		.amdhsa_user_sgpr_kernarg_preload_offset 0
		.amdhsa_user_sgpr_private_segment_size 0
		.amdhsa_wavefront_size32 1
		.amdhsa_uses_dynamic_stack 0
		.amdhsa_enable_private_segment 0
		.amdhsa_system_sgpr_workgroup_id_x 1
		.amdhsa_system_sgpr_workgroup_id_y 0
		.amdhsa_system_sgpr_workgroup_id_z 0
		.amdhsa_system_sgpr_workgroup_info 0
		.amdhsa_system_vgpr_workitem_id 0
		.amdhsa_next_free_vgpr 72
		.amdhsa_next_free_sgpr 24
		.amdhsa_named_barrier_count 0
		.amdhsa_reserve_vcc 1
		.amdhsa_float_round_mode_32 0
		.amdhsa_float_round_mode_16_64 0
		.amdhsa_float_denorm_mode_32 3
		.amdhsa_float_denorm_mode_16_64 3
		.amdhsa_fp16_overflow 0
		.amdhsa_memory_ordered 1
		.amdhsa_forward_progress 1
		.amdhsa_inst_pref_size 71
		.amdhsa_round_robin_scheduling 0
		.amdhsa_exception_fp_ieee_invalid_op 0
		.amdhsa_exception_fp_denorm_src 0
		.amdhsa_exception_fp_ieee_div_zero 0
		.amdhsa_exception_fp_ieee_overflow 0
		.amdhsa_exception_fp_ieee_underflow 0
		.amdhsa_exception_fp_ieee_inexact 0
		.amdhsa_exception_int_div_zero 0
	.end_amdhsa_kernel
	.section	.text._ZN7rocprim17ROCPRIM_400000_NS6detail17trampoline_kernelINS0_13select_configILj256ELj13ELNS0_17block_load_methodE3ELS4_3ELS4_3ELNS0_20block_scan_algorithmE0ELj4294967295EEENS1_25partition_config_selectorILNS1_17partition_subalgoE3EjNS0_10empty_typeEbEEZZNS1_14partition_implILS8_3ELb0ES6_jNS0_17counting_iteratorIjlEEPS9_SE_NS0_5tupleIJPjSE_EEENSF_IJSE_SE_EEES9_SG_JZNS1_25segmented_radix_sort_implINS0_14default_configELb0EPK12hip_bfloat16PSL_PKlPlN2at6native12_GLOBAL__N_18offset_tEEE10hipError_tPvRmT1_PNSt15iterator_traitsISZ_E10value_typeET2_T3_PNS10_IS15_E10value_typeET4_jRbjT5_S1B_jjP12ihipStream_tbEUljE_EEESW_SX_SY_S15_S19_S1B_T6_T7_T9_mT8_S1D_bDpT10_ENKUlT_T0_E_clISt17integral_constantIbLb0EES1P_IbLb1EEEEDaS1L_S1M_EUlS1L_E_NS1_11comp_targetILNS1_3genE0ELNS1_11target_archE4294967295ELNS1_3gpuE0ELNS1_3repE0EEENS1_30default_config_static_selectorELNS0_4arch9wavefront6targetE0EEEvSZ_,"axG",@progbits,_ZN7rocprim17ROCPRIM_400000_NS6detail17trampoline_kernelINS0_13select_configILj256ELj13ELNS0_17block_load_methodE3ELS4_3ELS4_3ELNS0_20block_scan_algorithmE0ELj4294967295EEENS1_25partition_config_selectorILNS1_17partition_subalgoE3EjNS0_10empty_typeEbEEZZNS1_14partition_implILS8_3ELb0ES6_jNS0_17counting_iteratorIjlEEPS9_SE_NS0_5tupleIJPjSE_EEENSF_IJSE_SE_EEES9_SG_JZNS1_25segmented_radix_sort_implINS0_14default_configELb0EPK12hip_bfloat16PSL_PKlPlN2at6native12_GLOBAL__N_18offset_tEEE10hipError_tPvRmT1_PNSt15iterator_traitsISZ_E10value_typeET2_T3_PNS10_IS15_E10value_typeET4_jRbjT5_S1B_jjP12ihipStream_tbEUljE_EEESW_SX_SY_S15_S19_S1B_T6_T7_T9_mT8_S1D_bDpT10_ENKUlT_T0_E_clISt17integral_constantIbLb0EES1P_IbLb1EEEEDaS1L_S1M_EUlS1L_E_NS1_11comp_targetILNS1_3genE0ELNS1_11target_archE4294967295ELNS1_3gpuE0ELNS1_3repE0EEENS1_30default_config_static_selectorELNS0_4arch9wavefront6targetE0EEEvSZ_,comdat
.Lfunc_end2031:
	.size	_ZN7rocprim17ROCPRIM_400000_NS6detail17trampoline_kernelINS0_13select_configILj256ELj13ELNS0_17block_load_methodE3ELS4_3ELS4_3ELNS0_20block_scan_algorithmE0ELj4294967295EEENS1_25partition_config_selectorILNS1_17partition_subalgoE3EjNS0_10empty_typeEbEEZZNS1_14partition_implILS8_3ELb0ES6_jNS0_17counting_iteratorIjlEEPS9_SE_NS0_5tupleIJPjSE_EEENSF_IJSE_SE_EEES9_SG_JZNS1_25segmented_radix_sort_implINS0_14default_configELb0EPK12hip_bfloat16PSL_PKlPlN2at6native12_GLOBAL__N_18offset_tEEE10hipError_tPvRmT1_PNSt15iterator_traitsISZ_E10value_typeET2_T3_PNS10_IS15_E10value_typeET4_jRbjT5_S1B_jjP12ihipStream_tbEUljE_EEESW_SX_SY_S15_S19_S1B_T6_T7_T9_mT8_S1D_bDpT10_ENKUlT_T0_E_clISt17integral_constantIbLb0EES1P_IbLb1EEEEDaS1L_S1M_EUlS1L_E_NS1_11comp_targetILNS1_3genE0ELNS1_11target_archE4294967295ELNS1_3gpuE0ELNS1_3repE0EEENS1_30default_config_static_selectorELNS0_4arch9wavefront6targetE0EEEvSZ_, .Lfunc_end2031-_ZN7rocprim17ROCPRIM_400000_NS6detail17trampoline_kernelINS0_13select_configILj256ELj13ELNS0_17block_load_methodE3ELS4_3ELS4_3ELNS0_20block_scan_algorithmE0ELj4294967295EEENS1_25partition_config_selectorILNS1_17partition_subalgoE3EjNS0_10empty_typeEbEEZZNS1_14partition_implILS8_3ELb0ES6_jNS0_17counting_iteratorIjlEEPS9_SE_NS0_5tupleIJPjSE_EEENSF_IJSE_SE_EEES9_SG_JZNS1_25segmented_radix_sort_implINS0_14default_configELb0EPK12hip_bfloat16PSL_PKlPlN2at6native12_GLOBAL__N_18offset_tEEE10hipError_tPvRmT1_PNSt15iterator_traitsISZ_E10value_typeET2_T3_PNS10_IS15_E10value_typeET4_jRbjT5_S1B_jjP12ihipStream_tbEUljE_EEESW_SX_SY_S15_S19_S1B_T6_T7_T9_mT8_S1D_bDpT10_ENKUlT_T0_E_clISt17integral_constantIbLb0EES1P_IbLb1EEEEDaS1L_S1M_EUlS1L_E_NS1_11comp_targetILNS1_3genE0ELNS1_11target_archE4294967295ELNS1_3gpuE0ELNS1_3repE0EEENS1_30default_config_static_selectorELNS0_4arch9wavefront6targetE0EEEvSZ_
                                        ; -- End function
	.set _ZN7rocprim17ROCPRIM_400000_NS6detail17trampoline_kernelINS0_13select_configILj256ELj13ELNS0_17block_load_methodE3ELS4_3ELS4_3ELNS0_20block_scan_algorithmE0ELj4294967295EEENS1_25partition_config_selectorILNS1_17partition_subalgoE3EjNS0_10empty_typeEbEEZZNS1_14partition_implILS8_3ELb0ES6_jNS0_17counting_iteratorIjlEEPS9_SE_NS0_5tupleIJPjSE_EEENSF_IJSE_SE_EEES9_SG_JZNS1_25segmented_radix_sort_implINS0_14default_configELb0EPK12hip_bfloat16PSL_PKlPlN2at6native12_GLOBAL__N_18offset_tEEE10hipError_tPvRmT1_PNSt15iterator_traitsISZ_E10value_typeET2_T3_PNS10_IS15_E10value_typeET4_jRbjT5_S1B_jjP12ihipStream_tbEUljE_EEESW_SX_SY_S15_S19_S1B_T6_T7_T9_mT8_S1D_bDpT10_ENKUlT_T0_E_clISt17integral_constantIbLb0EES1P_IbLb1EEEEDaS1L_S1M_EUlS1L_E_NS1_11comp_targetILNS1_3genE0ELNS1_11target_archE4294967295ELNS1_3gpuE0ELNS1_3repE0EEENS1_30default_config_static_selectorELNS0_4arch9wavefront6targetE0EEEvSZ_.num_vgpr, 72
	.set _ZN7rocprim17ROCPRIM_400000_NS6detail17trampoline_kernelINS0_13select_configILj256ELj13ELNS0_17block_load_methodE3ELS4_3ELS4_3ELNS0_20block_scan_algorithmE0ELj4294967295EEENS1_25partition_config_selectorILNS1_17partition_subalgoE3EjNS0_10empty_typeEbEEZZNS1_14partition_implILS8_3ELb0ES6_jNS0_17counting_iteratorIjlEEPS9_SE_NS0_5tupleIJPjSE_EEENSF_IJSE_SE_EEES9_SG_JZNS1_25segmented_radix_sort_implINS0_14default_configELb0EPK12hip_bfloat16PSL_PKlPlN2at6native12_GLOBAL__N_18offset_tEEE10hipError_tPvRmT1_PNSt15iterator_traitsISZ_E10value_typeET2_T3_PNS10_IS15_E10value_typeET4_jRbjT5_S1B_jjP12ihipStream_tbEUljE_EEESW_SX_SY_S15_S19_S1B_T6_T7_T9_mT8_S1D_bDpT10_ENKUlT_T0_E_clISt17integral_constantIbLb0EES1P_IbLb1EEEEDaS1L_S1M_EUlS1L_E_NS1_11comp_targetILNS1_3genE0ELNS1_11target_archE4294967295ELNS1_3gpuE0ELNS1_3repE0EEENS1_30default_config_static_selectorELNS0_4arch9wavefront6targetE0EEEvSZ_.num_agpr, 0
	.set _ZN7rocprim17ROCPRIM_400000_NS6detail17trampoline_kernelINS0_13select_configILj256ELj13ELNS0_17block_load_methodE3ELS4_3ELS4_3ELNS0_20block_scan_algorithmE0ELj4294967295EEENS1_25partition_config_selectorILNS1_17partition_subalgoE3EjNS0_10empty_typeEbEEZZNS1_14partition_implILS8_3ELb0ES6_jNS0_17counting_iteratorIjlEEPS9_SE_NS0_5tupleIJPjSE_EEENSF_IJSE_SE_EEES9_SG_JZNS1_25segmented_radix_sort_implINS0_14default_configELb0EPK12hip_bfloat16PSL_PKlPlN2at6native12_GLOBAL__N_18offset_tEEE10hipError_tPvRmT1_PNSt15iterator_traitsISZ_E10value_typeET2_T3_PNS10_IS15_E10value_typeET4_jRbjT5_S1B_jjP12ihipStream_tbEUljE_EEESW_SX_SY_S15_S19_S1B_T6_T7_T9_mT8_S1D_bDpT10_ENKUlT_T0_E_clISt17integral_constantIbLb0EES1P_IbLb1EEEEDaS1L_S1M_EUlS1L_E_NS1_11comp_targetILNS1_3genE0ELNS1_11target_archE4294967295ELNS1_3gpuE0ELNS1_3repE0EEENS1_30default_config_static_selectorELNS0_4arch9wavefront6targetE0EEEvSZ_.numbered_sgpr, 24
	.set _ZN7rocprim17ROCPRIM_400000_NS6detail17trampoline_kernelINS0_13select_configILj256ELj13ELNS0_17block_load_methodE3ELS4_3ELS4_3ELNS0_20block_scan_algorithmE0ELj4294967295EEENS1_25partition_config_selectorILNS1_17partition_subalgoE3EjNS0_10empty_typeEbEEZZNS1_14partition_implILS8_3ELb0ES6_jNS0_17counting_iteratorIjlEEPS9_SE_NS0_5tupleIJPjSE_EEENSF_IJSE_SE_EEES9_SG_JZNS1_25segmented_radix_sort_implINS0_14default_configELb0EPK12hip_bfloat16PSL_PKlPlN2at6native12_GLOBAL__N_18offset_tEEE10hipError_tPvRmT1_PNSt15iterator_traitsISZ_E10value_typeET2_T3_PNS10_IS15_E10value_typeET4_jRbjT5_S1B_jjP12ihipStream_tbEUljE_EEESW_SX_SY_S15_S19_S1B_T6_T7_T9_mT8_S1D_bDpT10_ENKUlT_T0_E_clISt17integral_constantIbLb0EES1P_IbLb1EEEEDaS1L_S1M_EUlS1L_E_NS1_11comp_targetILNS1_3genE0ELNS1_11target_archE4294967295ELNS1_3gpuE0ELNS1_3repE0EEENS1_30default_config_static_selectorELNS0_4arch9wavefront6targetE0EEEvSZ_.num_named_barrier, 0
	.set _ZN7rocprim17ROCPRIM_400000_NS6detail17trampoline_kernelINS0_13select_configILj256ELj13ELNS0_17block_load_methodE3ELS4_3ELS4_3ELNS0_20block_scan_algorithmE0ELj4294967295EEENS1_25partition_config_selectorILNS1_17partition_subalgoE3EjNS0_10empty_typeEbEEZZNS1_14partition_implILS8_3ELb0ES6_jNS0_17counting_iteratorIjlEEPS9_SE_NS0_5tupleIJPjSE_EEENSF_IJSE_SE_EEES9_SG_JZNS1_25segmented_radix_sort_implINS0_14default_configELb0EPK12hip_bfloat16PSL_PKlPlN2at6native12_GLOBAL__N_18offset_tEEE10hipError_tPvRmT1_PNSt15iterator_traitsISZ_E10value_typeET2_T3_PNS10_IS15_E10value_typeET4_jRbjT5_S1B_jjP12ihipStream_tbEUljE_EEESW_SX_SY_S15_S19_S1B_T6_T7_T9_mT8_S1D_bDpT10_ENKUlT_T0_E_clISt17integral_constantIbLb0EES1P_IbLb1EEEEDaS1L_S1M_EUlS1L_E_NS1_11comp_targetILNS1_3genE0ELNS1_11target_archE4294967295ELNS1_3gpuE0ELNS1_3repE0EEENS1_30default_config_static_selectorELNS0_4arch9wavefront6targetE0EEEvSZ_.private_seg_size, 0
	.set _ZN7rocprim17ROCPRIM_400000_NS6detail17trampoline_kernelINS0_13select_configILj256ELj13ELNS0_17block_load_methodE3ELS4_3ELS4_3ELNS0_20block_scan_algorithmE0ELj4294967295EEENS1_25partition_config_selectorILNS1_17partition_subalgoE3EjNS0_10empty_typeEbEEZZNS1_14partition_implILS8_3ELb0ES6_jNS0_17counting_iteratorIjlEEPS9_SE_NS0_5tupleIJPjSE_EEENSF_IJSE_SE_EEES9_SG_JZNS1_25segmented_radix_sort_implINS0_14default_configELb0EPK12hip_bfloat16PSL_PKlPlN2at6native12_GLOBAL__N_18offset_tEEE10hipError_tPvRmT1_PNSt15iterator_traitsISZ_E10value_typeET2_T3_PNS10_IS15_E10value_typeET4_jRbjT5_S1B_jjP12ihipStream_tbEUljE_EEESW_SX_SY_S15_S19_S1B_T6_T7_T9_mT8_S1D_bDpT10_ENKUlT_T0_E_clISt17integral_constantIbLb0EES1P_IbLb1EEEEDaS1L_S1M_EUlS1L_E_NS1_11comp_targetILNS1_3genE0ELNS1_11target_archE4294967295ELNS1_3gpuE0ELNS1_3repE0EEENS1_30default_config_static_selectorELNS0_4arch9wavefront6targetE0EEEvSZ_.uses_vcc, 1
	.set _ZN7rocprim17ROCPRIM_400000_NS6detail17trampoline_kernelINS0_13select_configILj256ELj13ELNS0_17block_load_methodE3ELS4_3ELS4_3ELNS0_20block_scan_algorithmE0ELj4294967295EEENS1_25partition_config_selectorILNS1_17partition_subalgoE3EjNS0_10empty_typeEbEEZZNS1_14partition_implILS8_3ELb0ES6_jNS0_17counting_iteratorIjlEEPS9_SE_NS0_5tupleIJPjSE_EEENSF_IJSE_SE_EEES9_SG_JZNS1_25segmented_radix_sort_implINS0_14default_configELb0EPK12hip_bfloat16PSL_PKlPlN2at6native12_GLOBAL__N_18offset_tEEE10hipError_tPvRmT1_PNSt15iterator_traitsISZ_E10value_typeET2_T3_PNS10_IS15_E10value_typeET4_jRbjT5_S1B_jjP12ihipStream_tbEUljE_EEESW_SX_SY_S15_S19_S1B_T6_T7_T9_mT8_S1D_bDpT10_ENKUlT_T0_E_clISt17integral_constantIbLb0EES1P_IbLb1EEEEDaS1L_S1M_EUlS1L_E_NS1_11comp_targetILNS1_3genE0ELNS1_11target_archE4294967295ELNS1_3gpuE0ELNS1_3repE0EEENS1_30default_config_static_selectorELNS0_4arch9wavefront6targetE0EEEvSZ_.uses_flat_scratch, 0
	.set _ZN7rocprim17ROCPRIM_400000_NS6detail17trampoline_kernelINS0_13select_configILj256ELj13ELNS0_17block_load_methodE3ELS4_3ELS4_3ELNS0_20block_scan_algorithmE0ELj4294967295EEENS1_25partition_config_selectorILNS1_17partition_subalgoE3EjNS0_10empty_typeEbEEZZNS1_14partition_implILS8_3ELb0ES6_jNS0_17counting_iteratorIjlEEPS9_SE_NS0_5tupleIJPjSE_EEENSF_IJSE_SE_EEES9_SG_JZNS1_25segmented_radix_sort_implINS0_14default_configELb0EPK12hip_bfloat16PSL_PKlPlN2at6native12_GLOBAL__N_18offset_tEEE10hipError_tPvRmT1_PNSt15iterator_traitsISZ_E10value_typeET2_T3_PNS10_IS15_E10value_typeET4_jRbjT5_S1B_jjP12ihipStream_tbEUljE_EEESW_SX_SY_S15_S19_S1B_T6_T7_T9_mT8_S1D_bDpT10_ENKUlT_T0_E_clISt17integral_constantIbLb0EES1P_IbLb1EEEEDaS1L_S1M_EUlS1L_E_NS1_11comp_targetILNS1_3genE0ELNS1_11target_archE4294967295ELNS1_3gpuE0ELNS1_3repE0EEENS1_30default_config_static_selectorELNS0_4arch9wavefront6targetE0EEEvSZ_.has_dyn_sized_stack, 0
	.set _ZN7rocprim17ROCPRIM_400000_NS6detail17trampoline_kernelINS0_13select_configILj256ELj13ELNS0_17block_load_methodE3ELS4_3ELS4_3ELNS0_20block_scan_algorithmE0ELj4294967295EEENS1_25partition_config_selectorILNS1_17partition_subalgoE3EjNS0_10empty_typeEbEEZZNS1_14partition_implILS8_3ELb0ES6_jNS0_17counting_iteratorIjlEEPS9_SE_NS0_5tupleIJPjSE_EEENSF_IJSE_SE_EEES9_SG_JZNS1_25segmented_radix_sort_implINS0_14default_configELb0EPK12hip_bfloat16PSL_PKlPlN2at6native12_GLOBAL__N_18offset_tEEE10hipError_tPvRmT1_PNSt15iterator_traitsISZ_E10value_typeET2_T3_PNS10_IS15_E10value_typeET4_jRbjT5_S1B_jjP12ihipStream_tbEUljE_EEESW_SX_SY_S15_S19_S1B_T6_T7_T9_mT8_S1D_bDpT10_ENKUlT_T0_E_clISt17integral_constantIbLb0EES1P_IbLb1EEEEDaS1L_S1M_EUlS1L_E_NS1_11comp_targetILNS1_3genE0ELNS1_11target_archE4294967295ELNS1_3gpuE0ELNS1_3repE0EEENS1_30default_config_static_selectorELNS0_4arch9wavefront6targetE0EEEvSZ_.has_recursion, 0
	.set _ZN7rocprim17ROCPRIM_400000_NS6detail17trampoline_kernelINS0_13select_configILj256ELj13ELNS0_17block_load_methodE3ELS4_3ELS4_3ELNS0_20block_scan_algorithmE0ELj4294967295EEENS1_25partition_config_selectorILNS1_17partition_subalgoE3EjNS0_10empty_typeEbEEZZNS1_14partition_implILS8_3ELb0ES6_jNS0_17counting_iteratorIjlEEPS9_SE_NS0_5tupleIJPjSE_EEENSF_IJSE_SE_EEES9_SG_JZNS1_25segmented_radix_sort_implINS0_14default_configELb0EPK12hip_bfloat16PSL_PKlPlN2at6native12_GLOBAL__N_18offset_tEEE10hipError_tPvRmT1_PNSt15iterator_traitsISZ_E10value_typeET2_T3_PNS10_IS15_E10value_typeET4_jRbjT5_S1B_jjP12ihipStream_tbEUljE_EEESW_SX_SY_S15_S19_S1B_T6_T7_T9_mT8_S1D_bDpT10_ENKUlT_T0_E_clISt17integral_constantIbLb0EES1P_IbLb1EEEEDaS1L_S1M_EUlS1L_E_NS1_11comp_targetILNS1_3genE0ELNS1_11target_archE4294967295ELNS1_3gpuE0ELNS1_3repE0EEENS1_30default_config_static_selectorELNS0_4arch9wavefront6targetE0EEEvSZ_.has_indirect_call, 0
	.section	.AMDGPU.csdata,"",@progbits
; Kernel info:
; codeLenInByte = 9040
; TotalNumSgprs: 26
; NumVgprs: 72
; ScratchSize: 0
; MemoryBound: 0
; FloatMode: 240
; IeeeMode: 1
; LDSByteSize: 13320 bytes/workgroup (compile time only)
; SGPRBlocks: 0
; VGPRBlocks: 4
; NumSGPRsForWavesPerEU: 26
; NumVGPRsForWavesPerEU: 72
; NamedBarCnt: 0
; Occupancy: 12
; WaveLimiterHint : 0
; COMPUTE_PGM_RSRC2:SCRATCH_EN: 0
; COMPUTE_PGM_RSRC2:USER_SGPR: 2
; COMPUTE_PGM_RSRC2:TRAP_HANDLER: 0
; COMPUTE_PGM_RSRC2:TGID_X_EN: 1
; COMPUTE_PGM_RSRC2:TGID_Y_EN: 0
; COMPUTE_PGM_RSRC2:TGID_Z_EN: 0
; COMPUTE_PGM_RSRC2:TIDIG_COMP_CNT: 0
	.section	.text._ZN7rocprim17ROCPRIM_400000_NS6detail17trampoline_kernelINS0_13select_configILj256ELj13ELNS0_17block_load_methodE3ELS4_3ELS4_3ELNS0_20block_scan_algorithmE0ELj4294967295EEENS1_25partition_config_selectorILNS1_17partition_subalgoE3EjNS0_10empty_typeEbEEZZNS1_14partition_implILS8_3ELb0ES6_jNS0_17counting_iteratorIjlEEPS9_SE_NS0_5tupleIJPjSE_EEENSF_IJSE_SE_EEES9_SG_JZNS1_25segmented_radix_sort_implINS0_14default_configELb0EPK12hip_bfloat16PSL_PKlPlN2at6native12_GLOBAL__N_18offset_tEEE10hipError_tPvRmT1_PNSt15iterator_traitsISZ_E10value_typeET2_T3_PNS10_IS15_E10value_typeET4_jRbjT5_S1B_jjP12ihipStream_tbEUljE_EEESW_SX_SY_S15_S19_S1B_T6_T7_T9_mT8_S1D_bDpT10_ENKUlT_T0_E_clISt17integral_constantIbLb0EES1P_IbLb1EEEEDaS1L_S1M_EUlS1L_E_NS1_11comp_targetILNS1_3genE5ELNS1_11target_archE942ELNS1_3gpuE9ELNS1_3repE0EEENS1_30default_config_static_selectorELNS0_4arch9wavefront6targetE0EEEvSZ_,"axG",@progbits,_ZN7rocprim17ROCPRIM_400000_NS6detail17trampoline_kernelINS0_13select_configILj256ELj13ELNS0_17block_load_methodE3ELS4_3ELS4_3ELNS0_20block_scan_algorithmE0ELj4294967295EEENS1_25partition_config_selectorILNS1_17partition_subalgoE3EjNS0_10empty_typeEbEEZZNS1_14partition_implILS8_3ELb0ES6_jNS0_17counting_iteratorIjlEEPS9_SE_NS0_5tupleIJPjSE_EEENSF_IJSE_SE_EEES9_SG_JZNS1_25segmented_radix_sort_implINS0_14default_configELb0EPK12hip_bfloat16PSL_PKlPlN2at6native12_GLOBAL__N_18offset_tEEE10hipError_tPvRmT1_PNSt15iterator_traitsISZ_E10value_typeET2_T3_PNS10_IS15_E10value_typeET4_jRbjT5_S1B_jjP12ihipStream_tbEUljE_EEESW_SX_SY_S15_S19_S1B_T6_T7_T9_mT8_S1D_bDpT10_ENKUlT_T0_E_clISt17integral_constantIbLb0EES1P_IbLb1EEEEDaS1L_S1M_EUlS1L_E_NS1_11comp_targetILNS1_3genE5ELNS1_11target_archE942ELNS1_3gpuE9ELNS1_3repE0EEENS1_30default_config_static_selectorELNS0_4arch9wavefront6targetE0EEEvSZ_,comdat
	.globl	_ZN7rocprim17ROCPRIM_400000_NS6detail17trampoline_kernelINS0_13select_configILj256ELj13ELNS0_17block_load_methodE3ELS4_3ELS4_3ELNS0_20block_scan_algorithmE0ELj4294967295EEENS1_25partition_config_selectorILNS1_17partition_subalgoE3EjNS0_10empty_typeEbEEZZNS1_14partition_implILS8_3ELb0ES6_jNS0_17counting_iteratorIjlEEPS9_SE_NS0_5tupleIJPjSE_EEENSF_IJSE_SE_EEES9_SG_JZNS1_25segmented_radix_sort_implINS0_14default_configELb0EPK12hip_bfloat16PSL_PKlPlN2at6native12_GLOBAL__N_18offset_tEEE10hipError_tPvRmT1_PNSt15iterator_traitsISZ_E10value_typeET2_T3_PNS10_IS15_E10value_typeET4_jRbjT5_S1B_jjP12ihipStream_tbEUljE_EEESW_SX_SY_S15_S19_S1B_T6_T7_T9_mT8_S1D_bDpT10_ENKUlT_T0_E_clISt17integral_constantIbLb0EES1P_IbLb1EEEEDaS1L_S1M_EUlS1L_E_NS1_11comp_targetILNS1_3genE5ELNS1_11target_archE942ELNS1_3gpuE9ELNS1_3repE0EEENS1_30default_config_static_selectorELNS0_4arch9wavefront6targetE0EEEvSZ_ ; -- Begin function _ZN7rocprim17ROCPRIM_400000_NS6detail17trampoline_kernelINS0_13select_configILj256ELj13ELNS0_17block_load_methodE3ELS4_3ELS4_3ELNS0_20block_scan_algorithmE0ELj4294967295EEENS1_25partition_config_selectorILNS1_17partition_subalgoE3EjNS0_10empty_typeEbEEZZNS1_14partition_implILS8_3ELb0ES6_jNS0_17counting_iteratorIjlEEPS9_SE_NS0_5tupleIJPjSE_EEENSF_IJSE_SE_EEES9_SG_JZNS1_25segmented_radix_sort_implINS0_14default_configELb0EPK12hip_bfloat16PSL_PKlPlN2at6native12_GLOBAL__N_18offset_tEEE10hipError_tPvRmT1_PNSt15iterator_traitsISZ_E10value_typeET2_T3_PNS10_IS15_E10value_typeET4_jRbjT5_S1B_jjP12ihipStream_tbEUljE_EEESW_SX_SY_S15_S19_S1B_T6_T7_T9_mT8_S1D_bDpT10_ENKUlT_T0_E_clISt17integral_constantIbLb0EES1P_IbLb1EEEEDaS1L_S1M_EUlS1L_E_NS1_11comp_targetILNS1_3genE5ELNS1_11target_archE942ELNS1_3gpuE9ELNS1_3repE0EEENS1_30default_config_static_selectorELNS0_4arch9wavefront6targetE0EEEvSZ_
	.p2align	8
	.type	_ZN7rocprim17ROCPRIM_400000_NS6detail17trampoline_kernelINS0_13select_configILj256ELj13ELNS0_17block_load_methodE3ELS4_3ELS4_3ELNS0_20block_scan_algorithmE0ELj4294967295EEENS1_25partition_config_selectorILNS1_17partition_subalgoE3EjNS0_10empty_typeEbEEZZNS1_14partition_implILS8_3ELb0ES6_jNS0_17counting_iteratorIjlEEPS9_SE_NS0_5tupleIJPjSE_EEENSF_IJSE_SE_EEES9_SG_JZNS1_25segmented_radix_sort_implINS0_14default_configELb0EPK12hip_bfloat16PSL_PKlPlN2at6native12_GLOBAL__N_18offset_tEEE10hipError_tPvRmT1_PNSt15iterator_traitsISZ_E10value_typeET2_T3_PNS10_IS15_E10value_typeET4_jRbjT5_S1B_jjP12ihipStream_tbEUljE_EEESW_SX_SY_S15_S19_S1B_T6_T7_T9_mT8_S1D_bDpT10_ENKUlT_T0_E_clISt17integral_constantIbLb0EES1P_IbLb1EEEEDaS1L_S1M_EUlS1L_E_NS1_11comp_targetILNS1_3genE5ELNS1_11target_archE942ELNS1_3gpuE9ELNS1_3repE0EEENS1_30default_config_static_selectorELNS0_4arch9wavefront6targetE0EEEvSZ_,@function
_ZN7rocprim17ROCPRIM_400000_NS6detail17trampoline_kernelINS0_13select_configILj256ELj13ELNS0_17block_load_methodE3ELS4_3ELS4_3ELNS0_20block_scan_algorithmE0ELj4294967295EEENS1_25partition_config_selectorILNS1_17partition_subalgoE3EjNS0_10empty_typeEbEEZZNS1_14partition_implILS8_3ELb0ES6_jNS0_17counting_iteratorIjlEEPS9_SE_NS0_5tupleIJPjSE_EEENSF_IJSE_SE_EEES9_SG_JZNS1_25segmented_radix_sort_implINS0_14default_configELb0EPK12hip_bfloat16PSL_PKlPlN2at6native12_GLOBAL__N_18offset_tEEE10hipError_tPvRmT1_PNSt15iterator_traitsISZ_E10value_typeET2_T3_PNS10_IS15_E10value_typeET4_jRbjT5_S1B_jjP12ihipStream_tbEUljE_EEESW_SX_SY_S15_S19_S1B_T6_T7_T9_mT8_S1D_bDpT10_ENKUlT_T0_E_clISt17integral_constantIbLb0EES1P_IbLb1EEEEDaS1L_S1M_EUlS1L_E_NS1_11comp_targetILNS1_3genE5ELNS1_11target_archE942ELNS1_3gpuE9ELNS1_3repE0EEENS1_30default_config_static_selectorELNS0_4arch9wavefront6targetE0EEEvSZ_: ; @_ZN7rocprim17ROCPRIM_400000_NS6detail17trampoline_kernelINS0_13select_configILj256ELj13ELNS0_17block_load_methodE3ELS4_3ELS4_3ELNS0_20block_scan_algorithmE0ELj4294967295EEENS1_25partition_config_selectorILNS1_17partition_subalgoE3EjNS0_10empty_typeEbEEZZNS1_14partition_implILS8_3ELb0ES6_jNS0_17counting_iteratorIjlEEPS9_SE_NS0_5tupleIJPjSE_EEENSF_IJSE_SE_EEES9_SG_JZNS1_25segmented_radix_sort_implINS0_14default_configELb0EPK12hip_bfloat16PSL_PKlPlN2at6native12_GLOBAL__N_18offset_tEEE10hipError_tPvRmT1_PNSt15iterator_traitsISZ_E10value_typeET2_T3_PNS10_IS15_E10value_typeET4_jRbjT5_S1B_jjP12ihipStream_tbEUljE_EEESW_SX_SY_S15_S19_S1B_T6_T7_T9_mT8_S1D_bDpT10_ENKUlT_T0_E_clISt17integral_constantIbLb0EES1P_IbLb1EEEEDaS1L_S1M_EUlS1L_E_NS1_11comp_targetILNS1_3genE5ELNS1_11target_archE942ELNS1_3gpuE9ELNS1_3repE0EEENS1_30default_config_static_selectorELNS0_4arch9wavefront6targetE0EEEvSZ_
; %bb.0:
	.section	.rodata,"a",@progbits
	.p2align	6, 0x0
	.amdhsa_kernel _ZN7rocprim17ROCPRIM_400000_NS6detail17trampoline_kernelINS0_13select_configILj256ELj13ELNS0_17block_load_methodE3ELS4_3ELS4_3ELNS0_20block_scan_algorithmE0ELj4294967295EEENS1_25partition_config_selectorILNS1_17partition_subalgoE3EjNS0_10empty_typeEbEEZZNS1_14partition_implILS8_3ELb0ES6_jNS0_17counting_iteratorIjlEEPS9_SE_NS0_5tupleIJPjSE_EEENSF_IJSE_SE_EEES9_SG_JZNS1_25segmented_radix_sort_implINS0_14default_configELb0EPK12hip_bfloat16PSL_PKlPlN2at6native12_GLOBAL__N_18offset_tEEE10hipError_tPvRmT1_PNSt15iterator_traitsISZ_E10value_typeET2_T3_PNS10_IS15_E10value_typeET4_jRbjT5_S1B_jjP12ihipStream_tbEUljE_EEESW_SX_SY_S15_S19_S1B_T6_T7_T9_mT8_S1D_bDpT10_ENKUlT_T0_E_clISt17integral_constantIbLb0EES1P_IbLb1EEEEDaS1L_S1M_EUlS1L_E_NS1_11comp_targetILNS1_3genE5ELNS1_11target_archE942ELNS1_3gpuE9ELNS1_3repE0EEENS1_30default_config_static_selectorELNS0_4arch9wavefront6targetE0EEEvSZ_
		.amdhsa_group_segment_fixed_size 0
		.amdhsa_private_segment_fixed_size 0
		.amdhsa_kernarg_size 152
		.amdhsa_user_sgpr_count 2
		.amdhsa_user_sgpr_dispatch_ptr 0
		.amdhsa_user_sgpr_queue_ptr 0
		.amdhsa_user_sgpr_kernarg_segment_ptr 1
		.amdhsa_user_sgpr_dispatch_id 0
		.amdhsa_user_sgpr_kernarg_preload_length 0
		.amdhsa_user_sgpr_kernarg_preload_offset 0
		.amdhsa_user_sgpr_private_segment_size 0
		.amdhsa_wavefront_size32 1
		.amdhsa_uses_dynamic_stack 0
		.amdhsa_enable_private_segment 0
		.amdhsa_system_sgpr_workgroup_id_x 1
		.amdhsa_system_sgpr_workgroup_id_y 0
		.amdhsa_system_sgpr_workgroup_id_z 0
		.amdhsa_system_sgpr_workgroup_info 0
		.amdhsa_system_vgpr_workitem_id 0
		.amdhsa_next_free_vgpr 1
		.amdhsa_next_free_sgpr 1
		.amdhsa_named_barrier_count 0
		.amdhsa_reserve_vcc 0
		.amdhsa_float_round_mode_32 0
		.amdhsa_float_round_mode_16_64 0
		.amdhsa_float_denorm_mode_32 3
		.amdhsa_float_denorm_mode_16_64 3
		.amdhsa_fp16_overflow 0
		.amdhsa_memory_ordered 1
		.amdhsa_forward_progress 1
		.amdhsa_inst_pref_size 0
		.amdhsa_round_robin_scheduling 0
		.amdhsa_exception_fp_ieee_invalid_op 0
		.amdhsa_exception_fp_denorm_src 0
		.amdhsa_exception_fp_ieee_div_zero 0
		.amdhsa_exception_fp_ieee_overflow 0
		.amdhsa_exception_fp_ieee_underflow 0
		.amdhsa_exception_fp_ieee_inexact 0
		.amdhsa_exception_int_div_zero 0
	.end_amdhsa_kernel
	.section	.text._ZN7rocprim17ROCPRIM_400000_NS6detail17trampoline_kernelINS0_13select_configILj256ELj13ELNS0_17block_load_methodE3ELS4_3ELS4_3ELNS0_20block_scan_algorithmE0ELj4294967295EEENS1_25partition_config_selectorILNS1_17partition_subalgoE3EjNS0_10empty_typeEbEEZZNS1_14partition_implILS8_3ELb0ES6_jNS0_17counting_iteratorIjlEEPS9_SE_NS0_5tupleIJPjSE_EEENSF_IJSE_SE_EEES9_SG_JZNS1_25segmented_radix_sort_implINS0_14default_configELb0EPK12hip_bfloat16PSL_PKlPlN2at6native12_GLOBAL__N_18offset_tEEE10hipError_tPvRmT1_PNSt15iterator_traitsISZ_E10value_typeET2_T3_PNS10_IS15_E10value_typeET4_jRbjT5_S1B_jjP12ihipStream_tbEUljE_EEESW_SX_SY_S15_S19_S1B_T6_T7_T9_mT8_S1D_bDpT10_ENKUlT_T0_E_clISt17integral_constantIbLb0EES1P_IbLb1EEEEDaS1L_S1M_EUlS1L_E_NS1_11comp_targetILNS1_3genE5ELNS1_11target_archE942ELNS1_3gpuE9ELNS1_3repE0EEENS1_30default_config_static_selectorELNS0_4arch9wavefront6targetE0EEEvSZ_,"axG",@progbits,_ZN7rocprim17ROCPRIM_400000_NS6detail17trampoline_kernelINS0_13select_configILj256ELj13ELNS0_17block_load_methodE3ELS4_3ELS4_3ELNS0_20block_scan_algorithmE0ELj4294967295EEENS1_25partition_config_selectorILNS1_17partition_subalgoE3EjNS0_10empty_typeEbEEZZNS1_14partition_implILS8_3ELb0ES6_jNS0_17counting_iteratorIjlEEPS9_SE_NS0_5tupleIJPjSE_EEENSF_IJSE_SE_EEES9_SG_JZNS1_25segmented_radix_sort_implINS0_14default_configELb0EPK12hip_bfloat16PSL_PKlPlN2at6native12_GLOBAL__N_18offset_tEEE10hipError_tPvRmT1_PNSt15iterator_traitsISZ_E10value_typeET2_T3_PNS10_IS15_E10value_typeET4_jRbjT5_S1B_jjP12ihipStream_tbEUljE_EEESW_SX_SY_S15_S19_S1B_T6_T7_T9_mT8_S1D_bDpT10_ENKUlT_T0_E_clISt17integral_constantIbLb0EES1P_IbLb1EEEEDaS1L_S1M_EUlS1L_E_NS1_11comp_targetILNS1_3genE5ELNS1_11target_archE942ELNS1_3gpuE9ELNS1_3repE0EEENS1_30default_config_static_selectorELNS0_4arch9wavefront6targetE0EEEvSZ_,comdat
.Lfunc_end2032:
	.size	_ZN7rocprim17ROCPRIM_400000_NS6detail17trampoline_kernelINS0_13select_configILj256ELj13ELNS0_17block_load_methodE3ELS4_3ELS4_3ELNS0_20block_scan_algorithmE0ELj4294967295EEENS1_25partition_config_selectorILNS1_17partition_subalgoE3EjNS0_10empty_typeEbEEZZNS1_14partition_implILS8_3ELb0ES6_jNS0_17counting_iteratorIjlEEPS9_SE_NS0_5tupleIJPjSE_EEENSF_IJSE_SE_EEES9_SG_JZNS1_25segmented_radix_sort_implINS0_14default_configELb0EPK12hip_bfloat16PSL_PKlPlN2at6native12_GLOBAL__N_18offset_tEEE10hipError_tPvRmT1_PNSt15iterator_traitsISZ_E10value_typeET2_T3_PNS10_IS15_E10value_typeET4_jRbjT5_S1B_jjP12ihipStream_tbEUljE_EEESW_SX_SY_S15_S19_S1B_T6_T7_T9_mT8_S1D_bDpT10_ENKUlT_T0_E_clISt17integral_constantIbLb0EES1P_IbLb1EEEEDaS1L_S1M_EUlS1L_E_NS1_11comp_targetILNS1_3genE5ELNS1_11target_archE942ELNS1_3gpuE9ELNS1_3repE0EEENS1_30default_config_static_selectorELNS0_4arch9wavefront6targetE0EEEvSZ_, .Lfunc_end2032-_ZN7rocprim17ROCPRIM_400000_NS6detail17trampoline_kernelINS0_13select_configILj256ELj13ELNS0_17block_load_methodE3ELS4_3ELS4_3ELNS0_20block_scan_algorithmE0ELj4294967295EEENS1_25partition_config_selectorILNS1_17partition_subalgoE3EjNS0_10empty_typeEbEEZZNS1_14partition_implILS8_3ELb0ES6_jNS0_17counting_iteratorIjlEEPS9_SE_NS0_5tupleIJPjSE_EEENSF_IJSE_SE_EEES9_SG_JZNS1_25segmented_radix_sort_implINS0_14default_configELb0EPK12hip_bfloat16PSL_PKlPlN2at6native12_GLOBAL__N_18offset_tEEE10hipError_tPvRmT1_PNSt15iterator_traitsISZ_E10value_typeET2_T3_PNS10_IS15_E10value_typeET4_jRbjT5_S1B_jjP12ihipStream_tbEUljE_EEESW_SX_SY_S15_S19_S1B_T6_T7_T9_mT8_S1D_bDpT10_ENKUlT_T0_E_clISt17integral_constantIbLb0EES1P_IbLb1EEEEDaS1L_S1M_EUlS1L_E_NS1_11comp_targetILNS1_3genE5ELNS1_11target_archE942ELNS1_3gpuE9ELNS1_3repE0EEENS1_30default_config_static_selectorELNS0_4arch9wavefront6targetE0EEEvSZ_
                                        ; -- End function
	.set _ZN7rocprim17ROCPRIM_400000_NS6detail17trampoline_kernelINS0_13select_configILj256ELj13ELNS0_17block_load_methodE3ELS4_3ELS4_3ELNS0_20block_scan_algorithmE0ELj4294967295EEENS1_25partition_config_selectorILNS1_17partition_subalgoE3EjNS0_10empty_typeEbEEZZNS1_14partition_implILS8_3ELb0ES6_jNS0_17counting_iteratorIjlEEPS9_SE_NS0_5tupleIJPjSE_EEENSF_IJSE_SE_EEES9_SG_JZNS1_25segmented_radix_sort_implINS0_14default_configELb0EPK12hip_bfloat16PSL_PKlPlN2at6native12_GLOBAL__N_18offset_tEEE10hipError_tPvRmT1_PNSt15iterator_traitsISZ_E10value_typeET2_T3_PNS10_IS15_E10value_typeET4_jRbjT5_S1B_jjP12ihipStream_tbEUljE_EEESW_SX_SY_S15_S19_S1B_T6_T7_T9_mT8_S1D_bDpT10_ENKUlT_T0_E_clISt17integral_constantIbLb0EES1P_IbLb1EEEEDaS1L_S1M_EUlS1L_E_NS1_11comp_targetILNS1_3genE5ELNS1_11target_archE942ELNS1_3gpuE9ELNS1_3repE0EEENS1_30default_config_static_selectorELNS0_4arch9wavefront6targetE0EEEvSZ_.num_vgpr, 0
	.set _ZN7rocprim17ROCPRIM_400000_NS6detail17trampoline_kernelINS0_13select_configILj256ELj13ELNS0_17block_load_methodE3ELS4_3ELS4_3ELNS0_20block_scan_algorithmE0ELj4294967295EEENS1_25partition_config_selectorILNS1_17partition_subalgoE3EjNS0_10empty_typeEbEEZZNS1_14partition_implILS8_3ELb0ES6_jNS0_17counting_iteratorIjlEEPS9_SE_NS0_5tupleIJPjSE_EEENSF_IJSE_SE_EEES9_SG_JZNS1_25segmented_radix_sort_implINS0_14default_configELb0EPK12hip_bfloat16PSL_PKlPlN2at6native12_GLOBAL__N_18offset_tEEE10hipError_tPvRmT1_PNSt15iterator_traitsISZ_E10value_typeET2_T3_PNS10_IS15_E10value_typeET4_jRbjT5_S1B_jjP12ihipStream_tbEUljE_EEESW_SX_SY_S15_S19_S1B_T6_T7_T9_mT8_S1D_bDpT10_ENKUlT_T0_E_clISt17integral_constantIbLb0EES1P_IbLb1EEEEDaS1L_S1M_EUlS1L_E_NS1_11comp_targetILNS1_3genE5ELNS1_11target_archE942ELNS1_3gpuE9ELNS1_3repE0EEENS1_30default_config_static_selectorELNS0_4arch9wavefront6targetE0EEEvSZ_.num_agpr, 0
	.set _ZN7rocprim17ROCPRIM_400000_NS6detail17trampoline_kernelINS0_13select_configILj256ELj13ELNS0_17block_load_methodE3ELS4_3ELS4_3ELNS0_20block_scan_algorithmE0ELj4294967295EEENS1_25partition_config_selectorILNS1_17partition_subalgoE3EjNS0_10empty_typeEbEEZZNS1_14partition_implILS8_3ELb0ES6_jNS0_17counting_iteratorIjlEEPS9_SE_NS0_5tupleIJPjSE_EEENSF_IJSE_SE_EEES9_SG_JZNS1_25segmented_radix_sort_implINS0_14default_configELb0EPK12hip_bfloat16PSL_PKlPlN2at6native12_GLOBAL__N_18offset_tEEE10hipError_tPvRmT1_PNSt15iterator_traitsISZ_E10value_typeET2_T3_PNS10_IS15_E10value_typeET4_jRbjT5_S1B_jjP12ihipStream_tbEUljE_EEESW_SX_SY_S15_S19_S1B_T6_T7_T9_mT8_S1D_bDpT10_ENKUlT_T0_E_clISt17integral_constantIbLb0EES1P_IbLb1EEEEDaS1L_S1M_EUlS1L_E_NS1_11comp_targetILNS1_3genE5ELNS1_11target_archE942ELNS1_3gpuE9ELNS1_3repE0EEENS1_30default_config_static_selectorELNS0_4arch9wavefront6targetE0EEEvSZ_.numbered_sgpr, 0
	.set _ZN7rocprim17ROCPRIM_400000_NS6detail17trampoline_kernelINS0_13select_configILj256ELj13ELNS0_17block_load_methodE3ELS4_3ELS4_3ELNS0_20block_scan_algorithmE0ELj4294967295EEENS1_25partition_config_selectorILNS1_17partition_subalgoE3EjNS0_10empty_typeEbEEZZNS1_14partition_implILS8_3ELb0ES6_jNS0_17counting_iteratorIjlEEPS9_SE_NS0_5tupleIJPjSE_EEENSF_IJSE_SE_EEES9_SG_JZNS1_25segmented_radix_sort_implINS0_14default_configELb0EPK12hip_bfloat16PSL_PKlPlN2at6native12_GLOBAL__N_18offset_tEEE10hipError_tPvRmT1_PNSt15iterator_traitsISZ_E10value_typeET2_T3_PNS10_IS15_E10value_typeET4_jRbjT5_S1B_jjP12ihipStream_tbEUljE_EEESW_SX_SY_S15_S19_S1B_T6_T7_T9_mT8_S1D_bDpT10_ENKUlT_T0_E_clISt17integral_constantIbLb0EES1P_IbLb1EEEEDaS1L_S1M_EUlS1L_E_NS1_11comp_targetILNS1_3genE5ELNS1_11target_archE942ELNS1_3gpuE9ELNS1_3repE0EEENS1_30default_config_static_selectorELNS0_4arch9wavefront6targetE0EEEvSZ_.num_named_barrier, 0
	.set _ZN7rocprim17ROCPRIM_400000_NS6detail17trampoline_kernelINS0_13select_configILj256ELj13ELNS0_17block_load_methodE3ELS4_3ELS4_3ELNS0_20block_scan_algorithmE0ELj4294967295EEENS1_25partition_config_selectorILNS1_17partition_subalgoE3EjNS0_10empty_typeEbEEZZNS1_14partition_implILS8_3ELb0ES6_jNS0_17counting_iteratorIjlEEPS9_SE_NS0_5tupleIJPjSE_EEENSF_IJSE_SE_EEES9_SG_JZNS1_25segmented_radix_sort_implINS0_14default_configELb0EPK12hip_bfloat16PSL_PKlPlN2at6native12_GLOBAL__N_18offset_tEEE10hipError_tPvRmT1_PNSt15iterator_traitsISZ_E10value_typeET2_T3_PNS10_IS15_E10value_typeET4_jRbjT5_S1B_jjP12ihipStream_tbEUljE_EEESW_SX_SY_S15_S19_S1B_T6_T7_T9_mT8_S1D_bDpT10_ENKUlT_T0_E_clISt17integral_constantIbLb0EES1P_IbLb1EEEEDaS1L_S1M_EUlS1L_E_NS1_11comp_targetILNS1_3genE5ELNS1_11target_archE942ELNS1_3gpuE9ELNS1_3repE0EEENS1_30default_config_static_selectorELNS0_4arch9wavefront6targetE0EEEvSZ_.private_seg_size, 0
	.set _ZN7rocprim17ROCPRIM_400000_NS6detail17trampoline_kernelINS0_13select_configILj256ELj13ELNS0_17block_load_methodE3ELS4_3ELS4_3ELNS0_20block_scan_algorithmE0ELj4294967295EEENS1_25partition_config_selectorILNS1_17partition_subalgoE3EjNS0_10empty_typeEbEEZZNS1_14partition_implILS8_3ELb0ES6_jNS0_17counting_iteratorIjlEEPS9_SE_NS0_5tupleIJPjSE_EEENSF_IJSE_SE_EEES9_SG_JZNS1_25segmented_radix_sort_implINS0_14default_configELb0EPK12hip_bfloat16PSL_PKlPlN2at6native12_GLOBAL__N_18offset_tEEE10hipError_tPvRmT1_PNSt15iterator_traitsISZ_E10value_typeET2_T3_PNS10_IS15_E10value_typeET4_jRbjT5_S1B_jjP12ihipStream_tbEUljE_EEESW_SX_SY_S15_S19_S1B_T6_T7_T9_mT8_S1D_bDpT10_ENKUlT_T0_E_clISt17integral_constantIbLb0EES1P_IbLb1EEEEDaS1L_S1M_EUlS1L_E_NS1_11comp_targetILNS1_3genE5ELNS1_11target_archE942ELNS1_3gpuE9ELNS1_3repE0EEENS1_30default_config_static_selectorELNS0_4arch9wavefront6targetE0EEEvSZ_.uses_vcc, 0
	.set _ZN7rocprim17ROCPRIM_400000_NS6detail17trampoline_kernelINS0_13select_configILj256ELj13ELNS0_17block_load_methodE3ELS4_3ELS4_3ELNS0_20block_scan_algorithmE0ELj4294967295EEENS1_25partition_config_selectorILNS1_17partition_subalgoE3EjNS0_10empty_typeEbEEZZNS1_14partition_implILS8_3ELb0ES6_jNS0_17counting_iteratorIjlEEPS9_SE_NS0_5tupleIJPjSE_EEENSF_IJSE_SE_EEES9_SG_JZNS1_25segmented_radix_sort_implINS0_14default_configELb0EPK12hip_bfloat16PSL_PKlPlN2at6native12_GLOBAL__N_18offset_tEEE10hipError_tPvRmT1_PNSt15iterator_traitsISZ_E10value_typeET2_T3_PNS10_IS15_E10value_typeET4_jRbjT5_S1B_jjP12ihipStream_tbEUljE_EEESW_SX_SY_S15_S19_S1B_T6_T7_T9_mT8_S1D_bDpT10_ENKUlT_T0_E_clISt17integral_constantIbLb0EES1P_IbLb1EEEEDaS1L_S1M_EUlS1L_E_NS1_11comp_targetILNS1_3genE5ELNS1_11target_archE942ELNS1_3gpuE9ELNS1_3repE0EEENS1_30default_config_static_selectorELNS0_4arch9wavefront6targetE0EEEvSZ_.uses_flat_scratch, 0
	.set _ZN7rocprim17ROCPRIM_400000_NS6detail17trampoline_kernelINS0_13select_configILj256ELj13ELNS0_17block_load_methodE3ELS4_3ELS4_3ELNS0_20block_scan_algorithmE0ELj4294967295EEENS1_25partition_config_selectorILNS1_17partition_subalgoE3EjNS0_10empty_typeEbEEZZNS1_14partition_implILS8_3ELb0ES6_jNS0_17counting_iteratorIjlEEPS9_SE_NS0_5tupleIJPjSE_EEENSF_IJSE_SE_EEES9_SG_JZNS1_25segmented_radix_sort_implINS0_14default_configELb0EPK12hip_bfloat16PSL_PKlPlN2at6native12_GLOBAL__N_18offset_tEEE10hipError_tPvRmT1_PNSt15iterator_traitsISZ_E10value_typeET2_T3_PNS10_IS15_E10value_typeET4_jRbjT5_S1B_jjP12ihipStream_tbEUljE_EEESW_SX_SY_S15_S19_S1B_T6_T7_T9_mT8_S1D_bDpT10_ENKUlT_T0_E_clISt17integral_constantIbLb0EES1P_IbLb1EEEEDaS1L_S1M_EUlS1L_E_NS1_11comp_targetILNS1_3genE5ELNS1_11target_archE942ELNS1_3gpuE9ELNS1_3repE0EEENS1_30default_config_static_selectorELNS0_4arch9wavefront6targetE0EEEvSZ_.has_dyn_sized_stack, 0
	.set _ZN7rocprim17ROCPRIM_400000_NS6detail17trampoline_kernelINS0_13select_configILj256ELj13ELNS0_17block_load_methodE3ELS4_3ELS4_3ELNS0_20block_scan_algorithmE0ELj4294967295EEENS1_25partition_config_selectorILNS1_17partition_subalgoE3EjNS0_10empty_typeEbEEZZNS1_14partition_implILS8_3ELb0ES6_jNS0_17counting_iteratorIjlEEPS9_SE_NS0_5tupleIJPjSE_EEENSF_IJSE_SE_EEES9_SG_JZNS1_25segmented_radix_sort_implINS0_14default_configELb0EPK12hip_bfloat16PSL_PKlPlN2at6native12_GLOBAL__N_18offset_tEEE10hipError_tPvRmT1_PNSt15iterator_traitsISZ_E10value_typeET2_T3_PNS10_IS15_E10value_typeET4_jRbjT5_S1B_jjP12ihipStream_tbEUljE_EEESW_SX_SY_S15_S19_S1B_T6_T7_T9_mT8_S1D_bDpT10_ENKUlT_T0_E_clISt17integral_constantIbLb0EES1P_IbLb1EEEEDaS1L_S1M_EUlS1L_E_NS1_11comp_targetILNS1_3genE5ELNS1_11target_archE942ELNS1_3gpuE9ELNS1_3repE0EEENS1_30default_config_static_selectorELNS0_4arch9wavefront6targetE0EEEvSZ_.has_recursion, 0
	.set _ZN7rocprim17ROCPRIM_400000_NS6detail17trampoline_kernelINS0_13select_configILj256ELj13ELNS0_17block_load_methodE3ELS4_3ELS4_3ELNS0_20block_scan_algorithmE0ELj4294967295EEENS1_25partition_config_selectorILNS1_17partition_subalgoE3EjNS0_10empty_typeEbEEZZNS1_14partition_implILS8_3ELb0ES6_jNS0_17counting_iteratorIjlEEPS9_SE_NS0_5tupleIJPjSE_EEENSF_IJSE_SE_EEES9_SG_JZNS1_25segmented_radix_sort_implINS0_14default_configELb0EPK12hip_bfloat16PSL_PKlPlN2at6native12_GLOBAL__N_18offset_tEEE10hipError_tPvRmT1_PNSt15iterator_traitsISZ_E10value_typeET2_T3_PNS10_IS15_E10value_typeET4_jRbjT5_S1B_jjP12ihipStream_tbEUljE_EEESW_SX_SY_S15_S19_S1B_T6_T7_T9_mT8_S1D_bDpT10_ENKUlT_T0_E_clISt17integral_constantIbLb0EES1P_IbLb1EEEEDaS1L_S1M_EUlS1L_E_NS1_11comp_targetILNS1_3genE5ELNS1_11target_archE942ELNS1_3gpuE9ELNS1_3repE0EEENS1_30default_config_static_selectorELNS0_4arch9wavefront6targetE0EEEvSZ_.has_indirect_call, 0
	.section	.AMDGPU.csdata,"",@progbits
; Kernel info:
; codeLenInByte = 0
; TotalNumSgprs: 0
; NumVgprs: 0
; ScratchSize: 0
; MemoryBound: 0
; FloatMode: 240
; IeeeMode: 1
; LDSByteSize: 0 bytes/workgroup (compile time only)
; SGPRBlocks: 0
; VGPRBlocks: 0
; NumSGPRsForWavesPerEU: 1
; NumVGPRsForWavesPerEU: 1
; NamedBarCnt: 0
; Occupancy: 16
; WaveLimiterHint : 0
; COMPUTE_PGM_RSRC2:SCRATCH_EN: 0
; COMPUTE_PGM_RSRC2:USER_SGPR: 2
; COMPUTE_PGM_RSRC2:TRAP_HANDLER: 0
; COMPUTE_PGM_RSRC2:TGID_X_EN: 1
; COMPUTE_PGM_RSRC2:TGID_Y_EN: 0
; COMPUTE_PGM_RSRC2:TGID_Z_EN: 0
; COMPUTE_PGM_RSRC2:TIDIG_COMP_CNT: 0
	.section	.text._ZN7rocprim17ROCPRIM_400000_NS6detail17trampoline_kernelINS0_13select_configILj256ELj13ELNS0_17block_load_methodE3ELS4_3ELS4_3ELNS0_20block_scan_algorithmE0ELj4294967295EEENS1_25partition_config_selectorILNS1_17partition_subalgoE3EjNS0_10empty_typeEbEEZZNS1_14partition_implILS8_3ELb0ES6_jNS0_17counting_iteratorIjlEEPS9_SE_NS0_5tupleIJPjSE_EEENSF_IJSE_SE_EEES9_SG_JZNS1_25segmented_radix_sort_implINS0_14default_configELb0EPK12hip_bfloat16PSL_PKlPlN2at6native12_GLOBAL__N_18offset_tEEE10hipError_tPvRmT1_PNSt15iterator_traitsISZ_E10value_typeET2_T3_PNS10_IS15_E10value_typeET4_jRbjT5_S1B_jjP12ihipStream_tbEUljE_EEESW_SX_SY_S15_S19_S1B_T6_T7_T9_mT8_S1D_bDpT10_ENKUlT_T0_E_clISt17integral_constantIbLb0EES1P_IbLb1EEEEDaS1L_S1M_EUlS1L_E_NS1_11comp_targetILNS1_3genE4ELNS1_11target_archE910ELNS1_3gpuE8ELNS1_3repE0EEENS1_30default_config_static_selectorELNS0_4arch9wavefront6targetE0EEEvSZ_,"axG",@progbits,_ZN7rocprim17ROCPRIM_400000_NS6detail17trampoline_kernelINS0_13select_configILj256ELj13ELNS0_17block_load_methodE3ELS4_3ELS4_3ELNS0_20block_scan_algorithmE0ELj4294967295EEENS1_25partition_config_selectorILNS1_17partition_subalgoE3EjNS0_10empty_typeEbEEZZNS1_14partition_implILS8_3ELb0ES6_jNS0_17counting_iteratorIjlEEPS9_SE_NS0_5tupleIJPjSE_EEENSF_IJSE_SE_EEES9_SG_JZNS1_25segmented_radix_sort_implINS0_14default_configELb0EPK12hip_bfloat16PSL_PKlPlN2at6native12_GLOBAL__N_18offset_tEEE10hipError_tPvRmT1_PNSt15iterator_traitsISZ_E10value_typeET2_T3_PNS10_IS15_E10value_typeET4_jRbjT5_S1B_jjP12ihipStream_tbEUljE_EEESW_SX_SY_S15_S19_S1B_T6_T7_T9_mT8_S1D_bDpT10_ENKUlT_T0_E_clISt17integral_constantIbLb0EES1P_IbLb1EEEEDaS1L_S1M_EUlS1L_E_NS1_11comp_targetILNS1_3genE4ELNS1_11target_archE910ELNS1_3gpuE8ELNS1_3repE0EEENS1_30default_config_static_selectorELNS0_4arch9wavefront6targetE0EEEvSZ_,comdat
	.globl	_ZN7rocprim17ROCPRIM_400000_NS6detail17trampoline_kernelINS0_13select_configILj256ELj13ELNS0_17block_load_methodE3ELS4_3ELS4_3ELNS0_20block_scan_algorithmE0ELj4294967295EEENS1_25partition_config_selectorILNS1_17partition_subalgoE3EjNS0_10empty_typeEbEEZZNS1_14partition_implILS8_3ELb0ES6_jNS0_17counting_iteratorIjlEEPS9_SE_NS0_5tupleIJPjSE_EEENSF_IJSE_SE_EEES9_SG_JZNS1_25segmented_radix_sort_implINS0_14default_configELb0EPK12hip_bfloat16PSL_PKlPlN2at6native12_GLOBAL__N_18offset_tEEE10hipError_tPvRmT1_PNSt15iterator_traitsISZ_E10value_typeET2_T3_PNS10_IS15_E10value_typeET4_jRbjT5_S1B_jjP12ihipStream_tbEUljE_EEESW_SX_SY_S15_S19_S1B_T6_T7_T9_mT8_S1D_bDpT10_ENKUlT_T0_E_clISt17integral_constantIbLb0EES1P_IbLb1EEEEDaS1L_S1M_EUlS1L_E_NS1_11comp_targetILNS1_3genE4ELNS1_11target_archE910ELNS1_3gpuE8ELNS1_3repE0EEENS1_30default_config_static_selectorELNS0_4arch9wavefront6targetE0EEEvSZ_ ; -- Begin function _ZN7rocprim17ROCPRIM_400000_NS6detail17trampoline_kernelINS0_13select_configILj256ELj13ELNS0_17block_load_methodE3ELS4_3ELS4_3ELNS0_20block_scan_algorithmE0ELj4294967295EEENS1_25partition_config_selectorILNS1_17partition_subalgoE3EjNS0_10empty_typeEbEEZZNS1_14partition_implILS8_3ELb0ES6_jNS0_17counting_iteratorIjlEEPS9_SE_NS0_5tupleIJPjSE_EEENSF_IJSE_SE_EEES9_SG_JZNS1_25segmented_radix_sort_implINS0_14default_configELb0EPK12hip_bfloat16PSL_PKlPlN2at6native12_GLOBAL__N_18offset_tEEE10hipError_tPvRmT1_PNSt15iterator_traitsISZ_E10value_typeET2_T3_PNS10_IS15_E10value_typeET4_jRbjT5_S1B_jjP12ihipStream_tbEUljE_EEESW_SX_SY_S15_S19_S1B_T6_T7_T9_mT8_S1D_bDpT10_ENKUlT_T0_E_clISt17integral_constantIbLb0EES1P_IbLb1EEEEDaS1L_S1M_EUlS1L_E_NS1_11comp_targetILNS1_3genE4ELNS1_11target_archE910ELNS1_3gpuE8ELNS1_3repE0EEENS1_30default_config_static_selectorELNS0_4arch9wavefront6targetE0EEEvSZ_
	.p2align	8
	.type	_ZN7rocprim17ROCPRIM_400000_NS6detail17trampoline_kernelINS0_13select_configILj256ELj13ELNS0_17block_load_methodE3ELS4_3ELS4_3ELNS0_20block_scan_algorithmE0ELj4294967295EEENS1_25partition_config_selectorILNS1_17partition_subalgoE3EjNS0_10empty_typeEbEEZZNS1_14partition_implILS8_3ELb0ES6_jNS0_17counting_iteratorIjlEEPS9_SE_NS0_5tupleIJPjSE_EEENSF_IJSE_SE_EEES9_SG_JZNS1_25segmented_radix_sort_implINS0_14default_configELb0EPK12hip_bfloat16PSL_PKlPlN2at6native12_GLOBAL__N_18offset_tEEE10hipError_tPvRmT1_PNSt15iterator_traitsISZ_E10value_typeET2_T3_PNS10_IS15_E10value_typeET4_jRbjT5_S1B_jjP12ihipStream_tbEUljE_EEESW_SX_SY_S15_S19_S1B_T6_T7_T9_mT8_S1D_bDpT10_ENKUlT_T0_E_clISt17integral_constantIbLb0EES1P_IbLb1EEEEDaS1L_S1M_EUlS1L_E_NS1_11comp_targetILNS1_3genE4ELNS1_11target_archE910ELNS1_3gpuE8ELNS1_3repE0EEENS1_30default_config_static_selectorELNS0_4arch9wavefront6targetE0EEEvSZ_,@function
_ZN7rocprim17ROCPRIM_400000_NS6detail17trampoline_kernelINS0_13select_configILj256ELj13ELNS0_17block_load_methodE3ELS4_3ELS4_3ELNS0_20block_scan_algorithmE0ELj4294967295EEENS1_25partition_config_selectorILNS1_17partition_subalgoE3EjNS0_10empty_typeEbEEZZNS1_14partition_implILS8_3ELb0ES6_jNS0_17counting_iteratorIjlEEPS9_SE_NS0_5tupleIJPjSE_EEENSF_IJSE_SE_EEES9_SG_JZNS1_25segmented_radix_sort_implINS0_14default_configELb0EPK12hip_bfloat16PSL_PKlPlN2at6native12_GLOBAL__N_18offset_tEEE10hipError_tPvRmT1_PNSt15iterator_traitsISZ_E10value_typeET2_T3_PNS10_IS15_E10value_typeET4_jRbjT5_S1B_jjP12ihipStream_tbEUljE_EEESW_SX_SY_S15_S19_S1B_T6_T7_T9_mT8_S1D_bDpT10_ENKUlT_T0_E_clISt17integral_constantIbLb0EES1P_IbLb1EEEEDaS1L_S1M_EUlS1L_E_NS1_11comp_targetILNS1_3genE4ELNS1_11target_archE910ELNS1_3gpuE8ELNS1_3repE0EEENS1_30default_config_static_selectorELNS0_4arch9wavefront6targetE0EEEvSZ_: ; @_ZN7rocprim17ROCPRIM_400000_NS6detail17trampoline_kernelINS0_13select_configILj256ELj13ELNS0_17block_load_methodE3ELS4_3ELS4_3ELNS0_20block_scan_algorithmE0ELj4294967295EEENS1_25partition_config_selectorILNS1_17partition_subalgoE3EjNS0_10empty_typeEbEEZZNS1_14partition_implILS8_3ELb0ES6_jNS0_17counting_iteratorIjlEEPS9_SE_NS0_5tupleIJPjSE_EEENSF_IJSE_SE_EEES9_SG_JZNS1_25segmented_radix_sort_implINS0_14default_configELb0EPK12hip_bfloat16PSL_PKlPlN2at6native12_GLOBAL__N_18offset_tEEE10hipError_tPvRmT1_PNSt15iterator_traitsISZ_E10value_typeET2_T3_PNS10_IS15_E10value_typeET4_jRbjT5_S1B_jjP12ihipStream_tbEUljE_EEESW_SX_SY_S15_S19_S1B_T6_T7_T9_mT8_S1D_bDpT10_ENKUlT_T0_E_clISt17integral_constantIbLb0EES1P_IbLb1EEEEDaS1L_S1M_EUlS1L_E_NS1_11comp_targetILNS1_3genE4ELNS1_11target_archE910ELNS1_3gpuE8ELNS1_3repE0EEENS1_30default_config_static_selectorELNS0_4arch9wavefront6targetE0EEEvSZ_
; %bb.0:
	.section	.rodata,"a",@progbits
	.p2align	6, 0x0
	.amdhsa_kernel _ZN7rocprim17ROCPRIM_400000_NS6detail17trampoline_kernelINS0_13select_configILj256ELj13ELNS0_17block_load_methodE3ELS4_3ELS4_3ELNS0_20block_scan_algorithmE0ELj4294967295EEENS1_25partition_config_selectorILNS1_17partition_subalgoE3EjNS0_10empty_typeEbEEZZNS1_14partition_implILS8_3ELb0ES6_jNS0_17counting_iteratorIjlEEPS9_SE_NS0_5tupleIJPjSE_EEENSF_IJSE_SE_EEES9_SG_JZNS1_25segmented_radix_sort_implINS0_14default_configELb0EPK12hip_bfloat16PSL_PKlPlN2at6native12_GLOBAL__N_18offset_tEEE10hipError_tPvRmT1_PNSt15iterator_traitsISZ_E10value_typeET2_T3_PNS10_IS15_E10value_typeET4_jRbjT5_S1B_jjP12ihipStream_tbEUljE_EEESW_SX_SY_S15_S19_S1B_T6_T7_T9_mT8_S1D_bDpT10_ENKUlT_T0_E_clISt17integral_constantIbLb0EES1P_IbLb1EEEEDaS1L_S1M_EUlS1L_E_NS1_11comp_targetILNS1_3genE4ELNS1_11target_archE910ELNS1_3gpuE8ELNS1_3repE0EEENS1_30default_config_static_selectorELNS0_4arch9wavefront6targetE0EEEvSZ_
		.amdhsa_group_segment_fixed_size 0
		.amdhsa_private_segment_fixed_size 0
		.amdhsa_kernarg_size 152
		.amdhsa_user_sgpr_count 2
		.amdhsa_user_sgpr_dispatch_ptr 0
		.amdhsa_user_sgpr_queue_ptr 0
		.amdhsa_user_sgpr_kernarg_segment_ptr 1
		.amdhsa_user_sgpr_dispatch_id 0
		.amdhsa_user_sgpr_kernarg_preload_length 0
		.amdhsa_user_sgpr_kernarg_preload_offset 0
		.amdhsa_user_sgpr_private_segment_size 0
		.amdhsa_wavefront_size32 1
		.amdhsa_uses_dynamic_stack 0
		.amdhsa_enable_private_segment 0
		.amdhsa_system_sgpr_workgroup_id_x 1
		.amdhsa_system_sgpr_workgroup_id_y 0
		.amdhsa_system_sgpr_workgroup_id_z 0
		.amdhsa_system_sgpr_workgroup_info 0
		.amdhsa_system_vgpr_workitem_id 0
		.amdhsa_next_free_vgpr 1
		.amdhsa_next_free_sgpr 1
		.amdhsa_named_barrier_count 0
		.amdhsa_reserve_vcc 0
		.amdhsa_float_round_mode_32 0
		.amdhsa_float_round_mode_16_64 0
		.amdhsa_float_denorm_mode_32 3
		.amdhsa_float_denorm_mode_16_64 3
		.amdhsa_fp16_overflow 0
		.amdhsa_memory_ordered 1
		.amdhsa_forward_progress 1
		.amdhsa_inst_pref_size 0
		.amdhsa_round_robin_scheduling 0
		.amdhsa_exception_fp_ieee_invalid_op 0
		.amdhsa_exception_fp_denorm_src 0
		.amdhsa_exception_fp_ieee_div_zero 0
		.amdhsa_exception_fp_ieee_overflow 0
		.amdhsa_exception_fp_ieee_underflow 0
		.amdhsa_exception_fp_ieee_inexact 0
		.amdhsa_exception_int_div_zero 0
	.end_amdhsa_kernel
	.section	.text._ZN7rocprim17ROCPRIM_400000_NS6detail17trampoline_kernelINS0_13select_configILj256ELj13ELNS0_17block_load_methodE3ELS4_3ELS4_3ELNS0_20block_scan_algorithmE0ELj4294967295EEENS1_25partition_config_selectorILNS1_17partition_subalgoE3EjNS0_10empty_typeEbEEZZNS1_14partition_implILS8_3ELb0ES6_jNS0_17counting_iteratorIjlEEPS9_SE_NS0_5tupleIJPjSE_EEENSF_IJSE_SE_EEES9_SG_JZNS1_25segmented_radix_sort_implINS0_14default_configELb0EPK12hip_bfloat16PSL_PKlPlN2at6native12_GLOBAL__N_18offset_tEEE10hipError_tPvRmT1_PNSt15iterator_traitsISZ_E10value_typeET2_T3_PNS10_IS15_E10value_typeET4_jRbjT5_S1B_jjP12ihipStream_tbEUljE_EEESW_SX_SY_S15_S19_S1B_T6_T7_T9_mT8_S1D_bDpT10_ENKUlT_T0_E_clISt17integral_constantIbLb0EES1P_IbLb1EEEEDaS1L_S1M_EUlS1L_E_NS1_11comp_targetILNS1_3genE4ELNS1_11target_archE910ELNS1_3gpuE8ELNS1_3repE0EEENS1_30default_config_static_selectorELNS0_4arch9wavefront6targetE0EEEvSZ_,"axG",@progbits,_ZN7rocprim17ROCPRIM_400000_NS6detail17trampoline_kernelINS0_13select_configILj256ELj13ELNS0_17block_load_methodE3ELS4_3ELS4_3ELNS0_20block_scan_algorithmE0ELj4294967295EEENS1_25partition_config_selectorILNS1_17partition_subalgoE3EjNS0_10empty_typeEbEEZZNS1_14partition_implILS8_3ELb0ES6_jNS0_17counting_iteratorIjlEEPS9_SE_NS0_5tupleIJPjSE_EEENSF_IJSE_SE_EEES9_SG_JZNS1_25segmented_radix_sort_implINS0_14default_configELb0EPK12hip_bfloat16PSL_PKlPlN2at6native12_GLOBAL__N_18offset_tEEE10hipError_tPvRmT1_PNSt15iterator_traitsISZ_E10value_typeET2_T3_PNS10_IS15_E10value_typeET4_jRbjT5_S1B_jjP12ihipStream_tbEUljE_EEESW_SX_SY_S15_S19_S1B_T6_T7_T9_mT8_S1D_bDpT10_ENKUlT_T0_E_clISt17integral_constantIbLb0EES1P_IbLb1EEEEDaS1L_S1M_EUlS1L_E_NS1_11comp_targetILNS1_3genE4ELNS1_11target_archE910ELNS1_3gpuE8ELNS1_3repE0EEENS1_30default_config_static_selectorELNS0_4arch9wavefront6targetE0EEEvSZ_,comdat
.Lfunc_end2033:
	.size	_ZN7rocprim17ROCPRIM_400000_NS6detail17trampoline_kernelINS0_13select_configILj256ELj13ELNS0_17block_load_methodE3ELS4_3ELS4_3ELNS0_20block_scan_algorithmE0ELj4294967295EEENS1_25partition_config_selectorILNS1_17partition_subalgoE3EjNS0_10empty_typeEbEEZZNS1_14partition_implILS8_3ELb0ES6_jNS0_17counting_iteratorIjlEEPS9_SE_NS0_5tupleIJPjSE_EEENSF_IJSE_SE_EEES9_SG_JZNS1_25segmented_radix_sort_implINS0_14default_configELb0EPK12hip_bfloat16PSL_PKlPlN2at6native12_GLOBAL__N_18offset_tEEE10hipError_tPvRmT1_PNSt15iterator_traitsISZ_E10value_typeET2_T3_PNS10_IS15_E10value_typeET4_jRbjT5_S1B_jjP12ihipStream_tbEUljE_EEESW_SX_SY_S15_S19_S1B_T6_T7_T9_mT8_S1D_bDpT10_ENKUlT_T0_E_clISt17integral_constantIbLb0EES1P_IbLb1EEEEDaS1L_S1M_EUlS1L_E_NS1_11comp_targetILNS1_3genE4ELNS1_11target_archE910ELNS1_3gpuE8ELNS1_3repE0EEENS1_30default_config_static_selectorELNS0_4arch9wavefront6targetE0EEEvSZ_, .Lfunc_end2033-_ZN7rocprim17ROCPRIM_400000_NS6detail17trampoline_kernelINS0_13select_configILj256ELj13ELNS0_17block_load_methodE3ELS4_3ELS4_3ELNS0_20block_scan_algorithmE0ELj4294967295EEENS1_25partition_config_selectorILNS1_17partition_subalgoE3EjNS0_10empty_typeEbEEZZNS1_14partition_implILS8_3ELb0ES6_jNS0_17counting_iteratorIjlEEPS9_SE_NS0_5tupleIJPjSE_EEENSF_IJSE_SE_EEES9_SG_JZNS1_25segmented_radix_sort_implINS0_14default_configELb0EPK12hip_bfloat16PSL_PKlPlN2at6native12_GLOBAL__N_18offset_tEEE10hipError_tPvRmT1_PNSt15iterator_traitsISZ_E10value_typeET2_T3_PNS10_IS15_E10value_typeET4_jRbjT5_S1B_jjP12ihipStream_tbEUljE_EEESW_SX_SY_S15_S19_S1B_T6_T7_T9_mT8_S1D_bDpT10_ENKUlT_T0_E_clISt17integral_constantIbLb0EES1P_IbLb1EEEEDaS1L_S1M_EUlS1L_E_NS1_11comp_targetILNS1_3genE4ELNS1_11target_archE910ELNS1_3gpuE8ELNS1_3repE0EEENS1_30default_config_static_selectorELNS0_4arch9wavefront6targetE0EEEvSZ_
                                        ; -- End function
	.set _ZN7rocprim17ROCPRIM_400000_NS6detail17trampoline_kernelINS0_13select_configILj256ELj13ELNS0_17block_load_methodE3ELS4_3ELS4_3ELNS0_20block_scan_algorithmE0ELj4294967295EEENS1_25partition_config_selectorILNS1_17partition_subalgoE3EjNS0_10empty_typeEbEEZZNS1_14partition_implILS8_3ELb0ES6_jNS0_17counting_iteratorIjlEEPS9_SE_NS0_5tupleIJPjSE_EEENSF_IJSE_SE_EEES9_SG_JZNS1_25segmented_radix_sort_implINS0_14default_configELb0EPK12hip_bfloat16PSL_PKlPlN2at6native12_GLOBAL__N_18offset_tEEE10hipError_tPvRmT1_PNSt15iterator_traitsISZ_E10value_typeET2_T3_PNS10_IS15_E10value_typeET4_jRbjT5_S1B_jjP12ihipStream_tbEUljE_EEESW_SX_SY_S15_S19_S1B_T6_T7_T9_mT8_S1D_bDpT10_ENKUlT_T0_E_clISt17integral_constantIbLb0EES1P_IbLb1EEEEDaS1L_S1M_EUlS1L_E_NS1_11comp_targetILNS1_3genE4ELNS1_11target_archE910ELNS1_3gpuE8ELNS1_3repE0EEENS1_30default_config_static_selectorELNS0_4arch9wavefront6targetE0EEEvSZ_.num_vgpr, 0
	.set _ZN7rocprim17ROCPRIM_400000_NS6detail17trampoline_kernelINS0_13select_configILj256ELj13ELNS0_17block_load_methodE3ELS4_3ELS4_3ELNS0_20block_scan_algorithmE0ELj4294967295EEENS1_25partition_config_selectorILNS1_17partition_subalgoE3EjNS0_10empty_typeEbEEZZNS1_14partition_implILS8_3ELb0ES6_jNS0_17counting_iteratorIjlEEPS9_SE_NS0_5tupleIJPjSE_EEENSF_IJSE_SE_EEES9_SG_JZNS1_25segmented_radix_sort_implINS0_14default_configELb0EPK12hip_bfloat16PSL_PKlPlN2at6native12_GLOBAL__N_18offset_tEEE10hipError_tPvRmT1_PNSt15iterator_traitsISZ_E10value_typeET2_T3_PNS10_IS15_E10value_typeET4_jRbjT5_S1B_jjP12ihipStream_tbEUljE_EEESW_SX_SY_S15_S19_S1B_T6_T7_T9_mT8_S1D_bDpT10_ENKUlT_T0_E_clISt17integral_constantIbLb0EES1P_IbLb1EEEEDaS1L_S1M_EUlS1L_E_NS1_11comp_targetILNS1_3genE4ELNS1_11target_archE910ELNS1_3gpuE8ELNS1_3repE0EEENS1_30default_config_static_selectorELNS0_4arch9wavefront6targetE0EEEvSZ_.num_agpr, 0
	.set _ZN7rocprim17ROCPRIM_400000_NS6detail17trampoline_kernelINS0_13select_configILj256ELj13ELNS0_17block_load_methodE3ELS4_3ELS4_3ELNS0_20block_scan_algorithmE0ELj4294967295EEENS1_25partition_config_selectorILNS1_17partition_subalgoE3EjNS0_10empty_typeEbEEZZNS1_14partition_implILS8_3ELb0ES6_jNS0_17counting_iteratorIjlEEPS9_SE_NS0_5tupleIJPjSE_EEENSF_IJSE_SE_EEES9_SG_JZNS1_25segmented_radix_sort_implINS0_14default_configELb0EPK12hip_bfloat16PSL_PKlPlN2at6native12_GLOBAL__N_18offset_tEEE10hipError_tPvRmT1_PNSt15iterator_traitsISZ_E10value_typeET2_T3_PNS10_IS15_E10value_typeET4_jRbjT5_S1B_jjP12ihipStream_tbEUljE_EEESW_SX_SY_S15_S19_S1B_T6_T7_T9_mT8_S1D_bDpT10_ENKUlT_T0_E_clISt17integral_constantIbLb0EES1P_IbLb1EEEEDaS1L_S1M_EUlS1L_E_NS1_11comp_targetILNS1_3genE4ELNS1_11target_archE910ELNS1_3gpuE8ELNS1_3repE0EEENS1_30default_config_static_selectorELNS0_4arch9wavefront6targetE0EEEvSZ_.numbered_sgpr, 0
	.set _ZN7rocprim17ROCPRIM_400000_NS6detail17trampoline_kernelINS0_13select_configILj256ELj13ELNS0_17block_load_methodE3ELS4_3ELS4_3ELNS0_20block_scan_algorithmE0ELj4294967295EEENS1_25partition_config_selectorILNS1_17partition_subalgoE3EjNS0_10empty_typeEbEEZZNS1_14partition_implILS8_3ELb0ES6_jNS0_17counting_iteratorIjlEEPS9_SE_NS0_5tupleIJPjSE_EEENSF_IJSE_SE_EEES9_SG_JZNS1_25segmented_radix_sort_implINS0_14default_configELb0EPK12hip_bfloat16PSL_PKlPlN2at6native12_GLOBAL__N_18offset_tEEE10hipError_tPvRmT1_PNSt15iterator_traitsISZ_E10value_typeET2_T3_PNS10_IS15_E10value_typeET4_jRbjT5_S1B_jjP12ihipStream_tbEUljE_EEESW_SX_SY_S15_S19_S1B_T6_T7_T9_mT8_S1D_bDpT10_ENKUlT_T0_E_clISt17integral_constantIbLb0EES1P_IbLb1EEEEDaS1L_S1M_EUlS1L_E_NS1_11comp_targetILNS1_3genE4ELNS1_11target_archE910ELNS1_3gpuE8ELNS1_3repE0EEENS1_30default_config_static_selectorELNS0_4arch9wavefront6targetE0EEEvSZ_.num_named_barrier, 0
	.set _ZN7rocprim17ROCPRIM_400000_NS6detail17trampoline_kernelINS0_13select_configILj256ELj13ELNS0_17block_load_methodE3ELS4_3ELS4_3ELNS0_20block_scan_algorithmE0ELj4294967295EEENS1_25partition_config_selectorILNS1_17partition_subalgoE3EjNS0_10empty_typeEbEEZZNS1_14partition_implILS8_3ELb0ES6_jNS0_17counting_iteratorIjlEEPS9_SE_NS0_5tupleIJPjSE_EEENSF_IJSE_SE_EEES9_SG_JZNS1_25segmented_radix_sort_implINS0_14default_configELb0EPK12hip_bfloat16PSL_PKlPlN2at6native12_GLOBAL__N_18offset_tEEE10hipError_tPvRmT1_PNSt15iterator_traitsISZ_E10value_typeET2_T3_PNS10_IS15_E10value_typeET4_jRbjT5_S1B_jjP12ihipStream_tbEUljE_EEESW_SX_SY_S15_S19_S1B_T6_T7_T9_mT8_S1D_bDpT10_ENKUlT_T0_E_clISt17integral_constantIbLb0EES1P_IbLb1EEEEDaS1L_S1M_EUlS1L_E_NS1_11comp_targetILNS1_3genE4ELNS1_11target_archE910ELNS1_3gpuE8ELNS1_3repE0EEENS1_30default_config_static_selectorELNS0_4arch9wavefront6targetE0EEEvSZ_.private_seg_size, 0
	.set _ZN7rocprim17ROCPRIM_400000_NS6detail17trampoline_kernelINS0_13select_configILj256ELj13ELNS0_17block_load_methodE3ELS4_3ELS4_3ELNS0_20block_scan_algorithmE0ELj4294967295EEENS1_25partition_config_selectorILNS1_17partition_subalgoE3EjNS0_10empty_typeEbEEZZNS1_14partition_implILS8_3ELb0ES6_jNS0_17counting_iteratorIjlEEPS9_SE_NS0_5tupleIJPjSE_EEENSF_IJSE_SE_EEES9_SG_JZNS1_25segmented_radix_sort_implINS0_14default_configELb0EPK12hip_bfloat16PSL_PKlPlN2at6native12_GLOBAL__N_18offset_tEEE10hipError_tPvRmT1_PNSt15iterator_traitsISZ_E10value_typeET2_T3_PNS10_IS15_E10value_typeET4_jRbjT5_S1B_jjP12ihipStream_tbEUljE_EEESW_SX_SY_S15_S19_S1B_T6_T7_T9_mT8_S1D_bDpT10_ENKUlT_T0_E_clISt17integral_constantIbLb0EES1P_IbLb1EEEEDaS1L_S1M_EUlS1L_E_NS1_11comp_targetILNS1_3genE4ELNS1_11target_archE910ELNS1_3gpuE8ELNS1_3repE0EEENS1_30default_config_static_selectorELNS0_4arch9wavefront6targetE0EEEvSZ_.uses_vcc, 0
	.set _ZN7rocprim17ROCPRIM_400000_NS6detail17trampoline_kernelINS0_13select_configILj256ELj13ELNS0_17block_load_methodE3ELS4_3ELS4_3ELNS0_20block_scan_algorithmE0ELj4294967295EEENS1_25partition_config_selectorILNS1_17partition_subalgoE3EjNS0_10empty_typeEbEEZZNS1_14partition_implILS8_3ELb0ES6_jNS0_17counting_iteratorIjlEEPS9_SE_NS0_5tupleIJPjSE_EEENSF_IJSE_SE_EEES9_SG_JZNS1_25segmented_radix_sort_implINS0_14default_configELb0EPK12hip_bfloat16PSL_PKlPlN2at6native12_GLOBAL__N_18offset_tEEE10hipError_tPvRmT1_PNSt15iterator_traitsISZ_E10value_typeET2_T3_PNS10_IS15_E10value_typeET4_jRbjT5_S1B_jjP12ihipStream_tbEUljE_EEESW_SX_SY_S15_S19_S1B_T6_T7_T9_mT8_S1D_bDpT10_ENKUlT_T0_E_clISt17integral_constantIbLb0EES1P_IbLb1EEEEDaS1L_S1M_EUlS1L_E_NS1_11comp_targetILNS1_3genE4ELNS1_11target_archE910ELNS1_3gpuE8ELNS1_3repE0EEENS1_30default_config_static_selectorELNS0_4arch9wavefront6targetE0EEEvSZ_.uses_flat_scratch, 0
	.set _ZN7rocprim17ROCPRIM_400000_NS6detail17trampoline_kernelINS0_13select_configILj256ELj13ELNS0_17block_load_methodE3ELS4_3ELS4_3ELNS0_20block_scan_algorithmE0ELj4294967295EEENS1_25partition_config_selectorILNS1_17partition_subalgoE3EjNS0_10empty_typeEbEEZZNS1_14partition_implILS8_3ELb0ES6_jNS0_17counting_iteratorIjlEEPS9_SE_NS0_5tupleIJPjSE_EEENSF_IJSE_SE_EEES9_SG_JZNS1_25segmented_radix_sort_implINS0_14default_configELb0EPK12hip_bfloat16PSL_PKlPlN2at6native12_GLOBAL__N_18offset_tEEE10hipError_tPvRmT1_PNSt15iterator_traitsISZ_E10value_typeET2_T3_PNS10_IS15_E10value_typeET4_jRbjT5_S1B_jjP12ihipStream_tbEUljE_EEESW_SX_SY_S15_S19_S1B_T6_T7_T9_mT8_S1D_bDpT10_ENKUlT_T0_E_clISt17integral_constantIbLb0EES1P_IbLb1EEEEDaS1L_S1M_EUlS1L_E_NS1_11comp_targetILNS1_3genE4ELNS1_11target_archE910ELNS1_3gpuE8ELNS1_3repE0EEENS1_30default_config_static_selectorELNS0_4arch9wavefront6targetE0EEEvSZ_.has_dyn_sized_stack, 0
	.set _ZN7rocprim17ROCPRIM_400000_NS6detail17trampoline_kernelINS0_13select_configILj256ELj13ELNS0_17block_load_methodE3ELS4_3ELS4_3ELNS0_20block_scan_algorithmE0ELj4294967295EEENS1_25partition_config_selectorILNS1_17partition_subalgoE3EjNS0_10empty_typeEbEEZZNS1_14partition_implILS8_3ELb0ES6_jNS0_17counting_iteratorIjlEEPS9_SE_NS0_5tupleIJPjSE_EEENSF_IJSE_SE_EEES9_SG_JZNS1_25segmented_radix_sort_implINS0_14default_configELb0EPK12hip_bfloat16PSL_PKlPlN2at6native12_GLOBAL__N_18offset_tEEE10hipError_tPvRmT1_PNSt15iterator_traitsISZ_E10value_typeET2_T3_PNS10_IS15_E10value_typeET4_jRbjT5_S1B_jjP12ihipStream_tbEUljE_EEESW_SX_SY_S15_S19_S1B_T6_T7_T9_mT8_S1D_bDpT10_ENKUlT_T0_E_clISt17integral_constantIbLb0EES1P_IbLb1EEEEDaS1L_S1M_EUlS1L_E_NS1_11comp_targetILNS1_3genE4ELNS1_11target_archE910ELNS1_3gpuE8ELNS1_3repE0EEENS1_30default_config_static_selectorELNS0_4arch9wavefront6targetE0EEEvSZ_.has_recursion, 0
	.set _ZN7rocprim17ROCPRIM_400000_NS6detail17trampoline_kernelINS0_13select_configILj256ELj13ELNS0_17block_load_methodE3ELS4_3ELS4_3ELNS0_20block_scan_algorithmE0ELj4294967295EEENS1_25partition_config_selectorILNS1_17partition_subalgoE3EjNS0_10empty_typeEbEEZZNS1_14partition_implILS8_3ELb0ES6_jNS0_17counting_iteratorIjlEEPS9_SE_NS0_5tupleIJPjSE_EEENSF_IJSE_SE_EEES9_SG_JZNS1_25segmented_radix_sort_implINS0_14default_configELb0EPK12hip_bfloat16PSL_PKlPlN2at6native12_GLOBAL__N_18offset_tEEE10hipError_tPvRmT1_PNSt15iterator_traitsISZ_E10value_typeET2_T3_PNS10_IS15_E10value_typeET4_jRbjT5_S1B_jjP12ihipStream_tbEUljE_EEESW_SX_SY_S15_S19_S1B_T6_T7_T9_mT8_S1D_bDpT10_ENKUlT_T0_E_clISt17integral_constantIbLb0EES1P_IbLb1EEEEDaS1L_S1M_EUlS1L_E_NS1_11comp_targetILNS1_3genE4ELNS1_11target_archE910ELNS1_3gpuE8ELNS1_3repE0EEENS1_30default_config_static_selectorELNS0_4arch9wavefront6targetE0EEEvSZ_.has_indirect_call, 0
	.section	.AMDGPU.csdata,"",@progbits
; Kernel info:
; codeLenInByte = 0
; TotalNumSgprs: 0
; NumVgprs: 0
; ScratchSize: 0
; MemoryBound: 0
; FloatMode: 240
; IeeeMode: 1
; LDSByteSize: 0 bytes/workgroup (compile time only)
; SGPRBlocks: 0
; VGPRBlocks: 0
; NumSGPRsForWavesPerEU: 1
; NumVGPRsForWavesPerEU: 1
; NamedBarCnt: 0
; Occupancy: 16
; WaveLimiterHint : 0
; COMPUTE_PGM_RSRC2:SCRATCH_EN: 0
; COMPUTE_PGM_RSRC2:USER_SGPR: 2
; COMPUTE_PGM_RSRC2:TRAP_HANDLER: 0
; COMPUTE_PGM_RSRC2:TGID_X_EN: 1
; COMPUTE_PGM_RSRC2:TGID_Y_EN: 0
; COMPUTE_PGM_RSRC2:TGID_Z_EN: 0
; COMPUTE_PGM_RSRC2:TIDIG_COMP_CNT: 0
	.section	.text._ZN7rocprim17ROCPRIM_400000_NS6detail17trampoline_kernelINS0_13select_configILj256ELj13ELNS0_17block_load_methodE3ELS4_3ELS4_3ELNS0_20block_scan_algorithmE0ELj4294967295EEENS1_25partition_config_selectorILNS1_17partition_subalgoE3EjNS0_10empty_typeEbEEZZNS1_14partition_implILS8_3ELb0ES6_jNS0_17counting_iteratorIjlEEPS9_SE_NS0_5tupleIJPjSE_EEENSF_IJSE_SE_EEES9_SG_JZNS1_25segmented_radix_sort_implINS0_14default_configELb0EPK12hip_bfloat16PSL_PKlPlN2at6native12_GLOBAL__N_18offset_tEEE10hipError_tPvRmT1_PNSt15iterator_traitsISZ_E10value_typeET2_T3_PNS10_IS15_E10value_typeET4_jRbjT5_S1B_jjP12ihipStream_tbEUljE_EEESW_SX_SY_S15_S19_S1B_T6_T7_T9_mT8_S1D_bDpT10_ENKUlT_T0_E_clISt17integral_constantIbLb0EES1P_IbLb1EEEEDaS1L_S1M_EUlS1L_E_NS1_11comp_targetILNS1_3genE3ELNS1_11target_archE908ELNS1_3gpuE7ELNS1_3repE0EEENS1_30default_config_static_selectorELNS0_4arch9wavefront6targetE0EEEvSZ_,"axG",@progbits,_ZN7rocprim17ROCPRIM_400000_NS6detail17trampoline_kernelINS0_13select_configILj256ELj13ELNS0_17block_load_methodE3ELS4_3ELS4_3ELNS0_20block_scan_algorithmE0ELj4294967295EEENS1_25partition_config_selectorILNS1_17partition_subalgoE3EjNS0_10empty_typeEbEEZZNS1_14partition_implILS8_3ELb0ES6_jNS0_17counting_iteratorIjlEEPS9_SE_NS0_5tupleIJPjSE_EEENSF_IJSE_SE_EEES9_SG_JZNS1_25segmented_radix_sort_implINS0_14default_configELb0EPK12hip_bfloat16PSL_PKlPlN2at6native12_GLOBAL__N_18offset_tEEE10hipError_tPvRmT1_PNSt15iterator_traitsISZ_E10value_typeET2_T3_PNS10_IS15_E10value_typeET4_jRbjT5_S1B_jjP12ihipStream_tbEUljE_EEESW_SX_SY_S15_S19_S1B_T6_T7_T9_mT8_S1D_bDpT10_ENKUlT_T0_E_clISt17integral_constantIbLb0EES1P_IbLb1EEEEDaS1L_S1M_EUlS1L_E_NS1_11comp_targetILNS1_3genE3ELNS1_11target_archE908ELNS1_3gpuE7ELNS1_3repE0EEENS1_30default_config_static_selectorELNS0_4arch9wavefront6targetE0EEEvSZ_,comdat
	.globl	_ZN7rocprim17ROCPRIM_400000_NS6detail17trampoline_kernelINS0_13select_configILj256ELj13ELNS0_17block_load_methodE3ELS4_3ELS4_3ELNS0_20block_scan_algorithmE0ELj4294967295EEENS1_25partition_config_selectorILNS1_17partition_subalgoE3EjNS0_10empty_typeEbEEZZNS1_14partition_implILS8_3ELb0ES6_jNS0_17counting_iteratorIjlEEPS9_SE_NS0_5tupleIJPjSE_EEENSF_IJSE_SE_EEES9_SG_JZNS1_25segmented_radix_sort_implINS0_14default_configELb0EPK12hip_bfloat16PSL_PKlPlN2at6native12_GLOBAL__N_18offset_tEEE10hipError_tPvRmT1_PNSt15iterator_traitsISZ_E10value_typeET2_T3_PNS10_IS15_E10value_typeET4_jRbjT5_S1B_jjP12ihipStream_tbEUljE_EEESW_SX_SY_S15_S19_S1B_T6_T7_T9_mT8_S1D_bDpT10_ENKUlT_T0_E_clISt17integral_constantIbLb0EES1P_IbLb1EEEEDaS1L_S1M_EUlS1L_E_NS1_11comp_targetILNS1_3genE3ELNS1_11target_archE908ELNS1_3gpuE7ELNS1_3repE0EEENS1_30default_config_static_selectorELNS0_4arch9wavefront6targetE0EEEvSZ_ ; -- Begin function _ZN7rocprim17ROCPRIM_400000_NS6detail17trampoline_kernelINS0_13select_configILj256ELj13ELNS0_17block_load_methodE3ELS4_3ELS4_3ELNS0_20block_scan_algorithmE0ELj4294967295EEENS1_25partition_config_selectorILNS1_17partition_subalgoE3EjNS0_10empty_typeEbEEZZNS1_14partition_implILS8_3ELb0ES6_jNS0_17counting_iteratorIjlEEPS9_SE_NS0_5tupleIJPjSE_EEENSF_IJSE_SE_EEES9_SG_JZNS1_25segmented_radix_sort_implINS0_14default_configELb0EPK12hip_bfloat16PSL_PKlPlN2at6native12_GLOBAL__N_18offset_tEEE10hipError_tPvRmT1_PNSt15iterator_traitsISZ_E10value_typeET2_T3_PNS10_IS15_E10value_typeET4_jRbjT5_S1B_jjP12ihipStream_tbEUljE_EEESW_SX_SY_S15_S19_S1B_T6_T7_T9_mT8_S1D_bDpT10_ENKUlT_T0_E_clISt17integral_constantIbLb0EES1P_IbLb1EEEEDaS1L_S1M_EUlS1L_E_NS1_11comp_targetILNS1_3genE3ELNS1_11target_archE908ELNS1_3gpuE7ELNS1_3repE0EEENS1_30default_config_static_selectorELNS0_4arch9wavefront6targetE0EEEvSZ_
	.p2align	8
	.type	_ZN7rocprim17ROCPRIM_400000_NS6detail17trampoline_kernelINS0_13select_configILj256ELj13ELNS0_17block_load_methodE3ELS4_3ELS4_3ELNS0_20block_scan_algorithmE0ELj4294967295EEENS1_25partition_config_selectorILNS1_17partition_subalgoE3EjNS0_10empty_typeEbEEZZNS1_14partition_implILS8_3ELb0ES6_jNS0_17counting_iteratorIjlEEPS9_SE_NS0_5tupleIJPjSE_EEENSF_IJSE_SE_EEES9_SG_JZNS1_25segmented_radix_sort_implINS0_14default_configELb0EPK12hip_bfloat16PSL_PKlPlN2at6native12_GLOBAL__N_18offset_tEEE10hipError_tPvRmT1_PNSt15iterator_traitsISZ_E10value_typeET2_T3_PNS10_IS15_E10value_typeET4_jRbjT5_S1B_jjP12ihipStream_tbEUljE_EEESW_SX_SY_S15_S19_S1B_T6_T7_T9_mT8_S1D_bDpT10_ENKUlT_T0_E_clISt17integral_constantIbLb0EES1P_IbLb1EEEEDaS1L_S1M_EUlS1L_E_NS1_11comp_targetILNS1_3genE3ELNS1_11target_archE908ELNS1_3gpuE7ELNS1_3repE0EEENS1_30default_config_static_selectorELNS0_4arch9wavefront6targetE0EEEvSZ_,@function
_ZN7rocprim17ROCPRIM_400000_NS6detail17trampoline_kernelINS0_13select_configILj256ELj13ELNS0_17block_load_methodE3ELS4_3ELS4_3ELNS0_20block_scan_algorithmE0ELj4294967295EEENS1_25partition_config_selectorILNS1_17partition_subalgoE3EjNS0_10empty_typeEbEEZZNS1_14partition_implILS8_3ELb0ES6_jNS0_17counting_iteratorIjlEEPS9_SE_NS0_5tupleIJPjSE_EEENSF_IJSE_SE_EEES9_SG_JZNS1_25segmented_radix_sort_implINS0_14default_configELb0EPK12hip_bfloat16PSL_PKlPlN2at6native12_GLOBAL__N_18offset_tEEE10hipError_tPvRmT1_PNSt15iterator_traitsISZ_E10value_typeET2_T3_PNS10_IS15_E10value_typeET4_jRbjT5_S1B_jjP12ihipStream_tbEUljE_EEESW_SX_SY_S15_S19_S1B_T6_T7_T9_mT8_S1D_bDpT10_ENKUlT_T0_E_clISt17integral_constantIbLb0EES1P_IbLb1EEEEDaS1L_S1M_EUlS1L_E_NS1_11comp_targetILNS1_3genE3ELNS1_11target_archE908ELNS1_3gpuE7ELNS1_3repE0EEENS1_30default_config_static_selectorELNS0_4arch9wavefront6targetE0EEEvSZ_: ; @_ZN7rocprim17ROCPRIM_400000_NS6detail17trampoline_kernelINS0_13select_configILj256ELj13ELNS0_17block_load_methodE3ELS4_3ELS4_3ELNS0_20block_scan_algorithmE0ELj4294967295EEENS1_25partition_config_selectorILNS1_17partition_subalgoE3EjNS0_10empty_typeEbEEZZNS1_14partition_implILS8_3ELb0ES6_jNS0_17counting_iteratorIjlEEPS9_SE_NS0_5tupleIJPjSE_EEENSF_IJSE_SE_EEES9_SG_JZNS1_25segmented_radix_sort_implINS0_14default_configELb0EPK12hip_bfloat16PSL_PKlPlN2at6native12_GLOBAL__N_18offset_tEEE10hipError_tPvRmT1_PNSt15iterator_traitsISZ_E10value_typeET2_T3_PNS10_IS15_E10value_typeET4_jRbjT5_S1B_jjP12ihipStream_tbEUljE_EEESW_SX_SY_S15_S19_S1B_T6_T7_T9_mT8_S1D_bDpT10_ENKUlT_T0_E_clISt17integral_constantIbLb0EES1P_IbLb1EEEEDaS1L_S1M_EUlS1L_E_NS1_11comp_targetILNS1_3genE3ELNS1_11target_archE908ELNS1_3gpuE7ELNS1_3repE0EEENS1_30default_config_static_selectorELNS0_4arch9wavefront6targetE0EEEvSZ_
; %bb.0:
	.section	.rodata,"a",@progbits
	.p2align	6, 0x0
	.amdhsa_kernel _ZN7rocprim17ROCPRIM_400000_NS6detail17trampoline_kernelINS0_13select_configILj256ELj13ELNS0_17block_load_methodE3ELS4_3ELS4_3ELNS0_20block_scan_algorithmE0ELj4294967295EEENS1_25partition_config_selectorILNS1_17partition_subalgoE3EjNS0_10empty_typeEbEEZZNS1_14partition_implILS8_3ELb0ES6_jNS0_17counting_iteratorIjlEEPS9_SE_NS0_5tupleIJPjSE_EEENSF_IJSE_SE_EEES9_SG_JZNS1_25segmented_radix_sort_implINS0_14default_configELb0EPK12hip_bfloat16PSL_PKlPlN2at6native12_GLOBAL__N_18offset_tEEE10hipError_tPvRmT1_PNSt15iterator_traitsISZ_E10value_typeET2_T3_PNS10_IS15_E10value_typeET4_jRbjT5_S1B_jjP12ihipStream_tbEUljE_EEESW_SX_SY_S15_S19_S1B_T6_T7_T9_mT8_S1D_bDpT10_ENKUlT_T0_E_clISt17integral_constantIbLb0EES1P_IbLb1EEEEDaS1L_S1M_EUlS1L_E_NS1_11comp_targetILNS1_3genE3ELNS1_11target_archE908ELNS1_3gpuE7ELNS1_3repE0EEENS1_30default_config_static_selectorELNS0_4arch9wavefront6targetE0EEEvSZ_
		.amdhsa_group_segment_fixed_size 0
		.amdhsa_private_segment_fixed_size 0
		.amdhsa_kernarg_size 152
		.amdhsa_user_sgpr_count 2
		.amdhsa_user_sgpr_dispatch_ptr 0
		.amdhsa_user_sgpr_queue_ptr 0
		.amdhsa_user_sgpr_kernarg_segment_ptr 1
		.amdhsa_user_sgpr_dispatch_id 0
		.amdhsa_user_sgpr_kernarg_preload_length 0
		.amdhsa_user_sgpr_kernarg_preload_offset 0
		.amdhsa_user_sgpr_private_segment_size 0
		.amdhsa_wavefront_size32 1
		.amdhsa_uses_dynamic_stack 0
		.amdhsa_enable_private_segment 0
		.amdhsa_system_sgpr_workgroup_id_x 1
		.amdhsa_system_sgpr_workgroup_id_y 0
		.amdhsa_system_sgpr_workgroup_id_z 0
		.amdhsa_system_sgpr_workgroup_info 0
		.amdhsa_system_vgpr_workitem_id 0
		.amdhsa_next_free_vgpr 1
		.amdhsa_next_free_sgpr 1
		.amdhsa_named_barrier_count 0
		.amdhsa_reserve_vcc 0
		.amdhsa_float_round_mode_32 0
		.amdhsa_float_round_mode_16_64 0
		.amdhsa_float_denorm_mode_32 3
		.amdhsa_float_denorm_mode_16_64 3
		.amdhsa_fp16_overflow 0
		.amdhsa_memory_ordered 1
		.amdhsa_forward_progress 1
		.amdhsa_inst_pref_size 0
		.amdhsa_round_robin_scheduling 0
		.amdhsa_exception_fp_ieee_invalid_op 0
		.amdhsa_exception_fp_denorm_src 0
		.amdhsa_exception_fp_ieee_div_zero 0
		.amdhsa_exception_fp_ieee_overflow 0
		.amdhsa_exception_fp_ieee_underflow 0
		.amdhsa_exception_fp_ieee_inexact 0
		.amdhsa_exception_int_div_zero 0
	.end_amdhsa_kernel
	.section	.text._ZN7rocprim17ROCPRIM_400000_NS6detail17trampoline_kernelINS0_13select_configILj256ELj13ELNS0_17block_load_methodE3ELS4_3ELS4_3ELNS0_20block_scan_algorithmE0ELj4294967295EEENS1_25partition_config_selectorILNS1_17partition_subalgoE3EjNS0_10empty_typeEbEEZZNS1_14partition_implILS8_3ELb0ES6_jNS0_17counting_iteratorIjlEEPS9_SE_NS0_5tupleIJPjSE_EEENSF_IJSE_SE_EEES9_SG_JZNS1_25segmented_radix_sort_implINS0_14default_configELb0EPK12hip_bfloat16PSL_PKlPlN2at6native12_GLOBAL__N_18offset_tEEE10hipError_tPvRmT1_PNSt15iterator_traitsISZ_E10value_typeET2_T3_PNS10_IS15_E10value_typeET4_jRbjT5_S1B_jjP12ihipStream_tbEUljE_EEESW_SX_SY_S15_S19_S1B_T6_T7_T9_mT8_S1D_bDpT10_ENKUlT_T0_E_clISt17integral_constantIbLb0EES1P_IbLb1EEEEDaS1L_S1M_EUlS1L_E_NS1_11comp_targetILNS1_3genE3ELNS1_11target_archE908ELNS1_3gpuE7ELNS1_3repE0EEENS1_30default_config_static_selectorELNS0_4arch9wavefront6targetE0EEEvSZ_,"axG",@progbits,_ZN7rocprim17ROCPRIM_400000_NS6detail17trampoline_kernelINS0_13select_configILj256ELj13ELNS0_17block_load_methodE3ELS4_3ELS4_3ELNS0_20block_scan_algorithmE0ELj4294967295EEENS1_25partition_config_selectorILNS1_17partition_subalgoE3EjNS0_10empty_typeEbEEZZNS1_14partition_implILS8_3ELb0ES6_jNS0_17counting_iteratorIjlEEPS9_SE_NS0_5tupleIJPjSE_EEENSF_IJSE_SE_EEES9_SG_JZNS1_25segmented_radix_sort_implINS0_14default_configELb0EPK12hip_bfloat16PSL_PKlPlN2at6native12_GLOBAL__N_18offset_tEEE10hipError_tPvRmT1_PNSt15iterator_traitsISZ_E10value_typeET2_T3_PNS10_IS15_E10value_typeET4_jRbjT5_S1B_jjP12ihipStream_tbEUljE_EEESW_SX_SY_S15_S19_S1B_T6_T7_T9_mT8_S1D_bDpT10_ENKUlT_T0_E_clISt17integral_constantIbLb0EES1P_IbLb1EEEEDaS1L_S1M_EUlS1L_E_NS1_11comp_targetILNS1_3genE3ELNS1_11target_archE908ELNS1_3gpuE7ELNS1_3repE0EEENS1_30default_config_static_selectorELNS0_4arch9wavefront6targetE0EEEvSZ_,comdat
.Lfunc_end2034:
	.size	_ZN7rocprim17ROCPRIM_400000_NS6detail17trampoline_kernelINS0_13select_configILj256ELj13ELNS0_17block_load_methodE3ELS4_3ELS4_3ELNS0_20block_scan_algorithmE0ELj4294967295EEENS1_25partition_config_selectorILNS1_17partition_subalgoE3EjNS0_10empty_typeEbEEZZNS1_14partition_implILS8_3ELb0ES6_jNS0_17counting_iteratorIjlEEPS9_SE_NS0_5tupleIJPjSE_EEENSF_IJSE_SE_EEES9_SG_JZNS1_25segmented_radix_sort_implINS0_14default_configELb0EPK12hip_bfloat16PSL_PKlPlN2at6native12_GLOBAL__N_18offset_tEEE10hipError_tPvRmT1_PNSt15iterator_traitsISZ_E10value_typeET2_T3_PNS10_IS15_E10value_typeET4_jRbjT5_S1B_jjP12ihipStream_tbEUljE_EEESW_SX_SY_S15_S19_S1B_T6_T7_T9_mT8_S1D_bDpT10_ENKUlT_T0_E_clISt17integral_constantIbLb0EES1P_IbLb1EEEEDaS1L_S1M_EUlS1L_E_NS1_11comp_targetILNS1_3genE3ELNS1_11target_archE908ELNS1_3gpuE7ELNS1_3repE0EEENS1_30default_config_static_selectorELNS0_4arch9wavefront6targetE0EEEvSZ_, .Lfunc_end2034-_ZN7rocprim17ROCPRIM_400000_NS6detail17trampoline_kernelINS0_13select_configILj256ELj13ELNS0_17block_load_methodE3ELS4_3ELS4_3ELNS0_20block_scan_algorithmE0ELj4294967295EEENS1_25partition_config_selectorILNS1_17partition_subalgoE3EjNS0_10empty_typeEbEEZZNS1_14partition_implILS8_3ELb0ES6_jNS0_17counting_iteratorIjlEEPS9_SE_NS0_5tupleIJPjSE_EEENSF_IJSE_SE_EEES9_SG_JZNS1_25segmented_radix_sort_implINS0_14default_configELb0EPK12hip_bfloat16PSL_PKlPlN2at6native12_GLOBAL__N_18offset_tEEE10hipError_tPvRmT1_PNSt15iterator_traitsISZ_E10value_typeET2_T3_PNS10_IS15_E10value_typeET4_jRbjT5_S1B_jjP12ihipStream_tbEUljE_EEESW_SX_SY_S15_S19_S1B_T6_T7_T9_mT8_S1D_bDpT10_ENKUlT_T0_E_clISt17integral_constantIbLb0EES1P_IbLb1EEEEDaS1L_S1M_EUlS1L_E_NS1_11comp_targetILNS1_3genE3ELNS1_11target_archE908ELNS1_3gpuE7ELNS1_3repE0EEENS1_30default_config_static_selectorELNS0_4arch9wavefront6targetE0EEEvSZ_
                                        ; -- End function
	.set _ZN7rocprim17ROCPRIM_400000_NS6detail17trampoline_kernelINS0_13select_configILj256ELj13ELNS0_17block_load_methodE3ELS4_3ELS4_3ELNS0_20block_scan_algorithmE0ELj4294967295EEENS1_25partition_config_selectorILNS1_17partition_subalgoE3EjNS0_10empty_typeEbEEZZNS1_14partition_implILS8_3ELb0ES6_jNS0_17counting_iteratorIjlEEPS9_SE_NS0_5tupleIJPjSE_EEENSF_IJSE_SE_EEES9_SG_JZNS1_25segmented_radix_sort_implINS0_14default_configELb0EPK12hip_bfloat16PSL_PKlPlN2at6native12_GLOBAL__N_18offset_tEEE10hipError_tPvRmT1_PNSt15iterator_traitsISZ_E10value_typeET2_T3_PNS10_IS15_E10value_typeET4_jRbjT5_S1B_jjP12ihipStream_tbEUljE_EEESW_SX_SY_S15_S19_S1B_T6_T7_T9_mT8_S1D_bDpT10_ENKUlT_T0_E_clISt17integral_constantIbLb0EES1P_IbLb1EEEEDaS1L_S1M_EUlS1L_E_NS1_11comp_targetILNS1_3genE3ELNS1_11target_archE908ELNS1_3gpuE7ELNS1_3repE0EEENS1_30default_config_static_selectorELNS0_4arch9wavefront6targetE0EEEvSZ_.num_vgpr, 0
	.set _ZN7rocprim17ROCPRIM_400000_NS6detail17trampoline_kernelINS0_13select_configILj256ELj13ELNS0_17block_load_methodE3ELS4_3ELS4_3ELNS0_20block_scan_algorithmE0ELj4294967295EEENS1_25partition_config_selectorILNS1_17partition_subalgoE3EjNS0_10empty_typeEbEEZZNS1_14partition_implILS8_3ELb0ES6_jNS0_17counting_iteratorIjlEEPS9_SE_NS0_5tupleIJPjSE_EEENSF_IJSE_SE_EEES9_SG_JZNS1_25segmented_radix_sort_implINS0_14default_configELb0EPK12hip_bfloat16PSL_PKlPlN2at6native12_GLOBAL__N_18offset_tEEE10hipError_tPvRmT1_PNSt15iterator_traitsISZ_E10value_typeET2_T3_PNS10_IS15_E10value_typeET4_jRbjT5_S1B_jjP12ihipStream_tbEUljE_EEESW_SX_SY_S15_S19_S1B_T6_T7_T9_mT8_S1D_bDpT10_ENKUlT_T0_E_clISt17integral_constantIbLb0EES1P_IbLb1EEEEDaS1L_S1M_EUlS1L_E_NS1_11comp_targetILNS1_3genE3ELNS1_11target_archE908ELNS1_3gpuE7ELNS1_3repE0EEENS1_30default_config_static_selectorELNS0_4arch9wavefront6targetE0EEEvSZ_.num_agpr, 0
	.set _ZN7rocprim17ROCPRIM_400000_NS6detail17trampoline_kernelINS0_13select_configILj256ELj13ELNS0_17block_load_methodE3ELS4_3ELS4_3ELNS0_20block_scan_algorithmE0ELj4294967295EEENS1_25partition_config_selectorILNS1_17partition_subalgoE3EjNS0_10empty_typeEbEEZZNS1_14partition_implILS8_3ELb0ES6_jNS0_17counting_iteratorIjlEEPS9_SE_NS0_5tupleIJPjSE_EEENSF_IJSE_SE_EEES9_SG_JZNS1_25segmented_radix_sort_implINS0_14default_configELb0EPK12hip_bfloat16PSL_PKlPlN2at6native12_GLOBAL__N_18offset_tEEE10hipError_tPvRmT1_PNSt15iterator_traitsISZ_E10value_typeET2_T3_PNS10_IS15_E10value_typeET4_jRbjT5_S1B_jjP12ihipStream_tbEUljE_EEESW_SX_SY_S15_S19_S1B_T6_T7_T9_mT8_S1D_bDpT10_ENKUlT_T0_E_clISt17integral_constantIbLb0EES1P_IbLb1EEEEDaS1L_S1M_EUlS1L_E_NS1_11comp_targetILNS1_3genE3ELNS1_11target_archE908ELNS1_3gpuE7ELNS1_3repE0EEENS1_30default_config_static_selectorELNS0_4arch9wavefront6targetE0EEEvSZ_.numbered_sgpr, 0
	.set _ZN7rocprim17ROCPRIM_400000_NS6detail17trampoline_kernelINS0_13select_configILj256ELj13ELNS0_17block_load_methodE3ELS4_3ELS4_3ELNS0_20block_scan_algorithmE0ELj4294967295EEENS1_25partition_config_selectorILNS1_17partition_subalgoE3EjNS0_10empty_typeEbEEZZNS1_14partition_implILS8_3ELb0ES6_jNS0_17counting_iteratorIjlEEPS9_SE_NS0_5tupleIJPjSE_EEENSF_IJSE_SE_EEES9_SG_JZNS1_25segmented_radix_sort_implINS0_14default_configELb0EPK12hip_bfloat16PSL_PKlPlN2at6native12_GLOBAL__N_18offset_tEEE10hipError_tPvRmT1_PNSt15iterator_traitsISZ_E10value_typeET2_T3_PNS10_IS15_E10value_typeET4_jRbjT5_S1B_jjP12ihipStream_tbEUljE_EEESW_SX_SY_S15_S19_S1B_T6_T7_T9_mT8_S1D_bDpT10_ENKUlT_T0_E_clISt17integral_constantIbLb0EES1P_IbLb1EEEEDaS1L_S1M_EUlS1L_E_NS1_11comp_targetILNS1_3genE3ELNS1_11target_archE908ELNS1_3gpuE7ELNS1_3repE0EEENS1_30default_config_static_selectorELNS0_4arch9wavefront6targetE0EEEvSZ_.num_named_barrier, 0
	.set _ZN7rocprim17ROCPRIM_400000_NS6detail17trampoline_kernelINS0_13select_configILj256ELj13ELNS0_17block_load_methodE3ELS4_3ELS4_3ELNS0_20block_scan_algorithmE0ELj4294967295EEENS1_25partition_config_selectorILNS1_17partition_subalgoE3EjNS0_10empty_typeEbEEZZNS1_14partition_implILS8_3ELb0ES6_jNS0_17counting_iteratorIjlEEPS9_SE_NS0_5tupleIJPjSE_EEENSF_IJSE_SE_EEES9_SG_JZNS1_25segmented_radix_sort_implINS0_14default_configELb0EPK12hip_bfloat16PSL_PKlPlN2at6native12_GLOBAL__N_18offset_tEEE10hipError_tPvRmT1_PNSt15iterator_traitsISZ_E10value_typeET2_T3_PNS10_IS15_E10value_typeET4_jRbjT5_S1B_jjP12ihipStream_tbEUljE_EEESW_SX_SY_S15_S19_S1B_T6_T7_T9_mT8_S1D_bDpT10_ENKUlT_T0_E_clISt17integral_constantIbLb0EES1P_IbLb1EEEEDaS1L_S1M_EUlS1L_E_NS1_11comp_targetILNS1_3genE3ELNS1_11target_archE908ELNS1_3gpuE7ELNS1_3repE0EEENS1_30default_config_static_selectorELNS0_4arch9wavefront6targetE0EEEvSZ_.private_seg_size, 0
	.set _ZN7rocprim17ROCPRIM_400000_NS6detail17trampoline_kernelINS0_13select_configILj256ELj13ELNS0_17block_load_methodE3ELS4_3ELS4_3ELNS0_20block_scan_algorithmE0ELj4294967295EEENS1_25partition_config_selectorILNS1_17partition_subalgoE3EjNS0_10empty_typeEbEEZZNS1_14partition_implILS8_3ELb0ES6_jNS0_17counting_iteratorIjlEEPS9_SE_NS0_5tupleIJPjSE_EEENSF_IJSE_SE_EEES9_SG_JZNS1_25segmented_radix_sort_implINS0_14default_configELb0EPK12hip_bfloat16PSL_PKlPlN2at6native12_GLOBAL__N_18offset_tEEE10hipError_tPvRmT1_PNSt15iterator_traitsISZ_E10value_typeET2_T3_PNS10_IS15_E10value_typeET4_jRbjT5_S1B_jjP12ihipStream_tbEUljE_EEESW_SX_SY_S15_S19_S1B_T6_T7_T9_mT8_S1D_bDpT10_ENKUlT_T0_E_clISt17integral_constantIbLb0EES1P_IbLb1EEEEDaS1L_S1M_EUlS1L_E_NS1_11comp_targetILNS1_3genE3ELNS1_11target_archE908ELNS1_3gpuE7ELNS1_3repE0EEENS1_30default_config_static_selectorELNS0_4arch9wavefront6targetE0EEEvSZ_.uses_vcc, 0
	.set _ZN7rocprim17ROCPRIM_400000_NS6detail17trampoline_kernelINS0_13select_configILj256ELj13ELNS0_17block_load_methodE3ELS4_3ELS4_3ELNS0_20block_scan_algorithmE0ELj4294967295EEENS1_25partition_config_selectorILNS1_17partition_subalgoE3EjNS0_10empty_typeEbEEZZNS1_14partition_implILS8_3ELb0ES6_jNS0_17counting_iteratorIjlEEPS9_SE_NS0_5tupleIJPjSE_EEENSF_IJSE_SE_EEES9_SG_JZNS1_25segmented_radix_sort_implINS0_14default_configELb0EPK12hip_bfloat16PSL_PKlPlN2at6native12_GLOBAL__N_18offset_tEEE10hipError_tPvRmT1_PNSt15iterator_traitsISZ_E10value_typeET2_T3_PNS10_IS15_E10value_typeET4_jRbjT5_S1B_jjP12ihipStream_tbEUljE_EEESW_SX_SY_S15_S19_S1B_T6_T7_T9_mT8_S1D_bDpT10_ENKUlT_T0_E_clISt17integral_constantIbLb0EES1P_IbLb1EEEEDaS1L_S1M_EUlS1L_E_NS1_11comp_targetILNS1_3genE3ELNS1_11target_archE908ELNS1_3gpuE7ELNS1_3repE0EEENS1_30default_config_static_selectorELNS0_4arch9wavefront6targetE0EEEvSZ_.uses_flat_scratch, 0
	.set _ZN7rocprim17ROCPRIM_400000_NS6detail17trampoline_kernelINS0_13select_configILj256ELj13ELNS0_17block_load_methodE3ELS4_3ELS4_3ELNS0_20block_scan_algorithmE0ELj4294967295EEENS1_25partition_config_selectorILNS1_17partition_subalgoE3EjNS0_10empty_typeEbEEZZNS1_14partition_implILS8_3ELb0ES6_jNS0_17counting_iteratorIjlEEPS9_SE_NS0_5tupleIJPjSE_EEENSF_IJSE_SE_EEES9_SG_JZNS1_25segmented_radix_sort_implINS0_14default_configELb0EPK12hip_bfloat16PSL_PKlPlN2at6native12_GLOBAL__N_18offset_tEEE10hipError_tPvRmT1_PNSt15iterator_traitsISZ_E10value_typeET2_T3_PNS10_IS15_E10value_typeET4_jRbjT5_S1B_jjP12ihipStream_tbEUljE_EEESW_SX_SY_S15_S19_S1B_T6_T7_T9_mT8_S1D_bDpT10_ENKUlT_T0_E_clISt17integral_constantIbLb0EES1P_IbLb1EEEEDaS1L_S1M_EUlS1L_E_NS1_11comp_targetILNS1_3genE3ELNS1_11target_archE908ELNS1_3gpuE7ELNS1_3repE0EEENS1_30default_config_static_selectorELNS0_4arch9wavefront6targetE0EEEvSZ_.has_dyn_sized_stack, 0
	.set _ZN7rocprim17ROCPRIM_400000_NS6detail17trampoline_kernelINS0_13select_configILj256ELj13ELNS0_17block_load_methodE3ELS4_3ELS4_3ELNS0_20block_scan_algorithmE0ELj4294967295EEENS1_25partition_config_selectorILNS1_17partition_subalgoE3EjNS0_10empty_typeEbEEZZNS1_14partition_implILS8_3ELb0ES6_jNS0_17counting_iteratorIjlEEPS9_SE_NS0_5tupleIJPjSE_EEENSF_IJSE_SE_EEES9_SG_JZNS1_25segmented_radix_sort_implINS0_14default_configELb0EPK12hip_bfloat16PSL_PKlPlN2at6native12_GLOBAL__N_18offset_tEEE10hipError_tPvRmT1_PNSt15iterator_traitsISZ_E10value_typeET2_T3_PNS10_IS15_E10value_typeET4_jRbjT5_S1B_jjP12ihipStream_tbEUljE_EEESW_SX_SY_S15_S19_S1B_T6_T7_T9_mT8_S1D_bDpT10_ENKUlT_T0_E_clISt17integral_constantIbLb0EES1P_IbLb1EEEEDaS1L_S1M_EUlS1L_E_NS1_11comp_targetILNS1_3genE3ELNS1_11target_archE908ELNS1_3gpuE7ELNS1_3repE0EEENS1_30default_config_static_selectorELNS0_4arch9wavefront6targetE0EEEvSZ_.has_recursion, 0
	.set _ZN7rocprim17ROCPRIM_400000_NS6detail17trampoline_kernelINS0_13select_configILj256ELj13ELNS0_17block_load_methodE3ELS4_3ELS4_3ELNS0_20block_scan_algorithmE0ELj4294967295EEENS1_25partition_config_selectorILNS1_17partition_subalgoE3EjNS0_10empty_typeEbEEZZNS1_14partition_implILS8_3ELb0ES6_jNS0_17counting_iteratorIjlEEPS9_SE_NS0_5tupleIJPjSE_EEENSF_IJSE_SE_EEES9_SG_JZNS1_25segmented_radix_sort_implINS0_14default_configELb0EPK12hip_bfloat16PSL_PKlPlN2at6native12_GLOBAL__N_18offset_tEEE10hipError_tPvRmT1_PNSt15iterator_traitsISZ_E10value_typeET2_T3_PNS10_IS15_E10value_typeET4_jRbjT5_S1B_jjP12ihipStream_tbEUljE_EEESW_SX_SY_S15_S19_S1B_T6_T7_T9_mT8_S1D_bDpT10_ENKUlT_T0_E_clISt17integral_constantIbLb0EES1P_IbLb1EEEEDaS1L_S1M_EUlS1L_E_NS1_11comp_targetILNS1_3genE3ELNS1_11target_archE908ELNS1_3gpuE7ELNS1_3repE0EEENS1_30default_config_static_selectorELNS0_4arch9wavefront6targetE0EEEvSZ_.has_indirect_call, 0
	.section	.AMDGPU.csdata,"",@progbits
; Kernel info:
; codeLenInByte = 0
; TotalNumSgprs: 0
; NumVgprs: 0
; ScratchSize: 0
; MemoryBound: 0
; FloatMode: 240
; IeeeMode: 1
; LDSByteSize: 0 bytes/workgroup (compile time only)
; SGPRBlocks: 0
; VGPRBlocks: 0
; NumSGPRsForWavesPerEU: 1
; NumVGPRsForWavesPerEU: 1
; NamedBarCnt: 0
; Occupancy: 16
; WaveLimiterHint : 0
; COMPUTE_PGM_RSRC2:SCRATCH_EN: 0
; COMPUTE_PGM_RSRC2:USER_SGPR: 2
; COMPUTE_PGM_RSRC2:TRAP_HANDLER: 0
; COMPUTE_PGM_RSRC2:TGID_X_EN: 1
; COMPUTE_PGM_RSRC2:TGID_Y_EN: 0
; COMPUTE_PGM_RSRC2:TGID_Z_EN: 0
; COMPUTE_PGM_RSRC2:TIDIG_COMP_CNT: 0
	.section	.text._ZN7rocprim17ROCPRIM_400000_NS6detail17trampoline_kernelINS0_13select_configILj256ELj13ELNS0_17block_load_methodE3ELS4_3ELS4_3ELNS0_20block_scan_algorithmE0ELj4294967295EEENS1_25partition_config_selectorILNS1_17partition_subalgoE3EjNS0_10empty_typeEbEEZZNS1_14partition_implILS8_3ELb0ES6_jNS0_17counting_iteratorIjlEEPS9_SE_NS0_5tupleIJPjSE_EEENSF_IJSE_SE_EEES9_SG_JZNS1_25segmented_radix_sort_implINS0_14default_configELb0EPK12hip_bfloat16PSL_PKlPlN2at6native12_GLOBAL__N_18offset_tEEE10hipError_tPvRmT1_PNSt15iterator_traitsISZ_E10value_typeET2_T3_PNS10_IS15_E10value_typeET4_jRbjT5_S1B_jjP12ihipStream_tbEUljE_EEESW_SX_SY_S15_S19_S1B_T6_T7_T9_mT8_S1D_bDpT10_ENKUlT_T0_E_clISt17integral_constantIbLb0EES1P_IbLb1EEEEDaS1L_S1M_EUlS1L_E_NS1_11comp_targetILNS1_3genE2ELNS1_11target_archE906ELNS1_3gpuE6ELNS1_3repE0EEENS1_30default_config_static_selectorELNS0_4arch9wavefront6targetE0EEEvSZ_,"axG",@progbits,_ZN7rocprim17ROCPRIM_400000_NS6detail17trampoline_kernelINS0_13select_configILj256ELj13ELNS0_17block_load_methodE3ELS4_3ELS4_3ELNS0_20block_scan_algorithmE0ELj4294967295EEENS1_25partition_config_selectorILNS1_17partition_subalgoE3EjNS0_10empty_typeEbEEZZNS1_14partition_implILS8_3ELb0ES6_jNS0_17counting_iteratorIjlEEPS9_SE_NS0_5tupleIJPjSE_EEENSF_IJSE_SE_EEES9_SG_JZNS1_25segmented_radix_sort_implINS0_14default_configELb0EPK12hip_bfloat16PSL_PKlPlN2at6native12_GLOBAL__N_18offset_tEEE10hipError_tPvRmT1_PNSt15iterator_traitsISZ_E10value_typeET2_T3_PNS10_IS15_E10value_typeET4_jRbjT5_S1B_jjP12ihipStream_tbEUljE_EEESW_SX_SY_S15_S19_S1B_T6_T7_T9_mT8_S1D_bDpT10_ENKUlT_T0_E_clISt17integral_constantIbLb0EES1P_IbLb1EEEEDaS1L_S1M_EUlS1L_E_NS1_11comp_targetILNS1_3genE2ELNS1_11target_archE906ELNS1_3gpuE6ELNS1_3repE0EEENS1_30default_config_static_selectorELNS0_4arch9wavefront6targetE0EEEvSZ_,comdat
	.globl	_ZN7rocprim17ROCPRIM_400000_NS6detail17trampoline_kernelINS0_13select_configILj256ELj13ELNS0_17block_load_methodE3ELS4_3ELS4_3ELNS0_20block_scan_algorithmE0ELj4294967295EEENS1_25partition_config_selectorILNS1_17partition_subalgoE3EjNS0_10empty_typeEbEEZZNS1_14partition_implILS8_3ELb0ES6_jNS0_17counting_iteratorIjlEEPS9_SE_NS0_5tupleIJPjSE_EEENSF_IJSE_SE_EEES9_SG_JZNS1_25segmented_radix_sort_implINS0_14default_configELb0EPK12hip_bfloat16PSL_PKlPlN2at6native12_GLOBAL__N_18offset_tEEE10hipError_tPvRmT1_PNSt15iterator_traitsISZ_E10value_typeET2_T3_PNS10_IS15_E10value_typeET4_jRbjT5_S1B_jjP12ihipStream_tbEUljE_EEESW_SX_SY_S15_S19_S1B_T6_T7_T9_mT8_S1D_bDpT10_ENKUlT_T0_E_clISt17integral_constantIbLb0EES1P_IbLb1EEEEDaS1L_S1M_EUlS1L_E_NS1_11comp_targetILNS1_3genE2ELNS1_11target_archE906ELNS1_3gpuE6ELNS1_3repE0EEENS1_30default_config_static_selectorELNS0_4arch9wavefront6targetE0EEEvSZ_ ; -- Begin function _ZN7rocprim17ROCPRIM_400000_NS6detail17trampoline_kernelINS0_13select_configILj256ELj13ELNS0_17block_load_methodE3ELS4_3ELS4_3ELNS0_20block_scan_algorithmE0ELj4294967295EEENS1_25partition_config_selectorILNS1_17partition_subalgoE3EjNS0_10empty_typeEbEEZZNS1_14partition_implILS8_3ELb0ES6_jNS0_17counting_iteratorIjlEEPS9_SE_NS0_5tupleIJPjSE_EEENSF_IJSE_SE_EEES9_SG_JZNS1_25segmented_radix_sort_implINS0_14default_configELb0EPK12hip_bfloat16PSL_PKlPlN2at6native12_GLOBAL__N_18offset_tEEE10hipError_tPvRmT1_PNSt15iterator_traitsISZ_E10value_typeET2_T3_PNS10_IS15_E10value_typeET4_jRbjT5_S1B_jjP12ihipStream_tbEUljE_EEESW_SX_SY_S15_S19_S1B_T6_T7_T9_mT8_S1D_bDpT10_ENKUlT_T0_E_clISt17integral_constantIbLb0EES1P_IbLb1EEEEDaS1L_S1M_EUlS1L_E_NS1_11comp_targetILNS1_3genE2ELNS1_11target_archE906ELNS1_3gpuE6ELNS1_3repE0EEENS1_30default_config_static_selectorELNS0_4arch9wavefront6targetE0EEEvSZ_
	.p2align	8
	.type	_ZN7rocprim17ROCPRIM_400000_NS6detail17trampoline_kernelINS0_13select_configILj256ELj13ELNS0_17block_load_methodE3ELS4_3ELS4_3ELNS0_20block_scan_algorithmE0ELj4294967295EEENS1_25partition_config_selectorILNS1_17partition_subalgoE3EjNS0_10empty_typeEbEEZZNS1_14partition_implILS8_3ELb0ES6_jNS0_17counting_iteratorIjlEEPS9_SE_NS0_5tupleIJPjSE_EEENSF_IJSE_SE_EEES9_SG_JZNS1_25segmented_radix_sort_implINS0_14default_configELb0EPK12hip_bfloat16PSL_PKlPlN2at6native12_GLOBAL__N_18offset_tEEE10hipError_tPvRmT1_PNSt15iterator_traitsISZ_E10value_typeET2_T3_PNS10_IS15_E10value_typeET4_jRbjT5_S1B_jjP12ihipStream_tbEUljE_EEESW_SX_SY_S15_S19_S1B_T6_T7_T9_mT8_S1D_bDpT10_ENKUlT_T0_E_clISt17integral_constantIbLb0EES1P_IbLb1EEEEDaS1L_S1M_EUlS1L_E_NS1_11comp_targetILNS1_3genE2ELNS1_11target_archE906ELNS1_3gpuE6ELNS1_3repE0EEENS1_30default_config_static_selectorELNS0_4arch9wavefront6targetE0EEEvSZ_,@function
_ZN7rocprim17ROCPRIM_400000_NS6detail17trampoline_kernelINS0_13select_configILj256ELj13ELNS0_17block_load_methodE3ELS4_3ELS4_3ELNS0_20block_scan_algorithmE0ELj4294967295EEENS1_25partition_config_selectorILNS1_17partition_subalgoE3EjNS0_10empty_typeEbEEZZNS1_14partition_implILS8_3ELb0ES6_jNS0_17counting_iteratorIjlEEPS9_SE_NS0_5tupleIJPjSE_EEENSF_IJSE_SE_EEES9_SG_JZNS1_25segmented_radix_sort_implINS0_14default_configELb0EPK12hip_bfloat16PSL_PKlPlN2at6native12_GLOBAL__N_18offset_tEEE10hipError_tPvRmT1_PNSt15iterator_traitsISZ_E10value_typeET2_T3_PNS10_IS15_E10value_typeET4_jRbjT5_S1B_jjP12ihipStream_tbEUljE_EEESW_SX_SY_S15_S19_S1B_T6_T7_T9_mT8_S1D_bDpT10_ENKUlT_T0_E_clISt17integral_constantIbLb0EES1P_IbLb1EEEEDaS1L_S1M_EUlS1L_E_NS1_11comp_targetILNS1_3genE2ELNS1_11target_archE906ELNS1_3gpuE6ELNS1_3repE0EEENS1_30default_config_static_selectorELNS0_4arch9wavefront6targetE0EEEvSZ_: ; @_ZN7rocprim17ROCPRIM_400000_NS6detail17trampoline_kernelINS0_13select_configILj256ELj13ELNS0_17block_load_methodE3ELS4_3ELS4_3ELNS0_20block_scan_algorithmE0ELj4294967295EEENS1_25partition_config_selectorILNS1_17partition_subalgoE3EjNS0_10empty_typeEbEEZZNS1_14partition_implILS8_3ELb0ES6_jNS0_17counting_iteratorIjlEEPS9_SE_NS0_5tupleIJPjSE_EEENSF_IJSE_SE_EEES9_SG_JZNS1_25segmented_radix_sort_implINS0_14default_configELb0EPK12hip_bfloat16PSL_PKlPlN2at6native12_GLOBAL__N_18offset_tEEE10hipError_tPvRmT1_PNSt15iterator_traitsISZ_E10value_typeET2_T3_PNS10_IS15_E10value_typeET4_jRbjT5_S1B_jjP12ihipStream_tbEUljE_EEESW_SX_SY_S15_S19_S1B_T6_T7_T9_mT8_S1D_bDpT10_ENKUlT_T0_E_clISt17integral_constantIbLb0EES1P_IbLb1EEEEDaS1L_S1M_EUlS1L_E_NS1_11comp_targetILNS1_3genE2ELNS1_11target_archE906ELNS1_3gpuE6ELNS1_3repE0EEENS1_30default_config_static_selectorELNS0_4arch9wavefront6targetE0EEEvSZ_
; %bb.0:
	.section	.rodata,"a",@progbits
	.p2align	6, 0x0
	.amdhsa_kernel _ZN7rocprim17ROCPRIM_400000_NS6detail17trampoline_kernelINS0_13select_configILj256ELj13ELNS0_17block_load_methodE3ELS4_3ELS4_3ELNS0_20block_scan_algorithmE0ELj4294967295EEENS1_25partition_config_selectorILNS1_17partition_subalgoE3EjNS0_10empty_typeEbEEZZNS1_14partition_implILS8_3ELb0ES6_jNS0_17counting_iteratorIjlEEPS9_SE_NS0_5tupleIJPjSE_EEENSF_IJSE_SE_EEES9_SG_JZNS1_25segmented_radix_sort_implINS0_14default_configELb0EPK12hip_bfloat16PSL_PKlPlN2at6native12_GLOBAL__N_18offset_tEEE10hipError_tPvRmT1_PNSt15iterator_traitsISZ_E10value_typeET2_T3_PNS10_IS15_E10value_typeET4_jRbjT5_S1B_jjP12ihipStream_tbEUljE_EEESW_SX_SY_S15_S19_S1B_T6_T7_T9_mT8_S1D_bDpT10_ENKUlT_T0_E_clISt17integral_constantIbLb0EES1P_IbLb1EEEEDaS1L_S1M_EUlS1L_E_NS1_11comp_targetILNS1_3genE2ELNS1_11target_archE906ELNS1_3gpuE6ELNS1_3repE0EEENS1_30default_config_static_selectorELNS0_4arch9wavefront6targetE0EEEvSZ_
		.amdhsa_group_segment_fixed_size 0
		.amdhsa_private_segment_fixed_size 0
		.amdhsa_kernarg_size 152
		.amdhsa_user_sgpr_count 2
		.amdhsa_user_sgpr_dispatch_ptr 0
		.amdhsa_user_sgpr_queue_ptr 0
		.amdhsa_user_sgpr_kernarg_segment_ptr 1
		.amdhsa_user_sgpr_dispatch_id 0
		.amdhsa_user_sgpr_kernarg_preload_length 0
		.amdhsa_user_sgpr_kernarg_preload_offset 0
		.amdhsa_user_sgpr_private_segment_size 0
		.amdhsa_wavefront_size32 1
		.amdhsa_uses_dynamic_stack 0
		.amdhsa_enable_private_segment 0
		.amdhsa_system_sgpr_workgroup_id_x 1
		.amdhsa_system_sgpr_workgroup_id_y 0
		.amdhsa_system_sgpr_workgroup_id_z 0
		.amdhsa_system_sgpr_workgroup_info 0
		.amdhsa_system_vgpr_workitem_id 0
		.amdhsa_next_free_vgpr 1
		.amdhsa_next_free_sgpr 1
		.amdhsa_named_barrier_count 0
		.amdhsa_reserve_vcc 0
		.amdhsa_float_round_mode_32 0
		.amdhsa_float_round_mode_16_64 0
		.amdhsa_float_denorm_mode_32 3
		.amdhsa_float_denorm_mode_16_64 3
		.amdhsa_fp16_overflow 0
		.amdhsa_memory_ordered 1
		.amdhsa_forward_progress 1
		.amdhsa_inst_pref_size 0
		.amdhsa_round_robin_scheduling 0
		.amdhsa_exception_fp_ieee_invalid_op 0
		.amdhsa_exception_fp_denorm_src 0
		.amdhsa_exception_fp_ieee_div_zero 0
		.amdhsa_exception_fp_ieee_overflow 0
		.amdhsa_exception_fp_ieee_underflow 0
		.amdhsa_exception_fp_ieee_inexact 0
		.amdhsa_exception_int_div_zero 0
	.end_amdhsa_kernel
	.section	.text._ZN7rocprim17ROCPRIM_400000_NS6detail17trampoline_kernelINS0_13select_configILj256ELj13ELNS0_17block_load_methodE3ELS4_3ELS4_3ELNS0_20block_scan_algorithmE0ELj4294967295EEENS1_25partition_config_selectorILNS1_17partition_subalgoE3EjNS0_10empty_typeEbEEZZNS1_14partition_implILS8_3ELb0ES6_jNS0_17counting_iteratorIjlEEPS9_SE_NS0_5tupleIJPjSE_EEENSF_IJSE_SE_EEES9_SG_JZNS1_25segmented_radix_sort_implINS0_14default_configELb0EPK12hip_bfloat16PSL_PKlPlN2at6native12_GLOBAL__N_18offset_tEEE10hipError_tPvRmT1_PNSt15iterator_traitsISZ_E10value_typeET2_T3_PNS10_IS15_E10value_typeET4_jRbjT5_S1B_jjP12ihipStream_tbEUljE_EEESW_SX_SY_S15_S19_S1B_T6_T7_T9_mT8_S1D_bDpT10_ENKUlT_T0_E_clISt17integral_constantIbLb0EES1P_IbLb1EEEEDaS1L_S1M_EUlS1L_E_NS1_11comp_targetILNS1_3genE2ELNS1_11target_archE906ELNS1_3gpuE6ELNS1_3repE0EEENS1_30default_config_static_selectorELNS0_4arch9wavefront6targetE0EEEvSZ_,"axG",@progbits,_ZN7rocprim17ROCPRIM_400000_NS6detail17trampoline_kernelINS0_13select_configILj256ELj13ELNS0_17block_load_methodE3ELS4_3ELS4_3ELNS0_20block_scan_algorithmE0ELj4294967295EEENS1_25partition_config_selectorILNS1_17partition_subalgoE3EjNS0_10empty_typeEbEEZZNS1_14partition_implILS8_3ELb0ES6_jNS0_17counting_iteratorIjlEEPS9_SE_NS0_5tupleIJPjSE_EEENSF_IJSE_SE_EEES9_SG_JZNS1_25segmented_radix_sort_implINS0_14default_configELb0EPK12hip_bfloat16PSL_PKlPlN2at6native12_GLOBAL__N_18offset_tEEE10hipError_tPvRmT1_PNSt15iterator_traitsISZ_E10value_typeET2_T3_PNS10_IS15_E10value_typeET4_jRbjT5_S1B_jjP12ihipStream_tbEUljE_EEESW_SX_SY_S15_S19_S1B_T6_T7_T9_mT8_S1D_bDpT10_ENKUlT_T0_E_clISt17integral_constantIbLb0EES1P_IbLb1EEEEDaS1L_S1M_EUlS1L_E_NS1_11comp_targetILNS1_3genE2ELNS1_11target_archE906ELNS1_3gpuE6ELNS1_3repE0EEENS1_30default_config_static_selectorELNS0_4arch9wavefront6targetE0EEEvSZ_,comdat
.Lfunc_end2035:
	.size	_ZN7rocprim17ROCPRIM_400000_NS6detail17trampoline_kernelINS0_13select_configILj256ELj13ELNS0_17block_load_methodE3ELS4_3ELS4_3ELNS0_20block_scan_algorithmE0ELj4294967295EEENS1_25partition_config_selectorILNS1_17partition_subalgoE3EjNS0_10empty_typeEbEEZZNS1_14partition_implILS8_3ELb0ES6_jNS0_17counting_iteratorIjlEEPS9_SE_NS0_5tupleIJPjSE_EEENSF_IJSE_SE_EEES9_SG_JZNS1_25segmented_radix_sort_implINS0_14default_configELb0EPK12hip_bfloat16PSL_PKlPlN2at6native12_GLOBAL__N_18offset_tEEE10hipError_tPvRmT1_PNSt15iterator_traitsISZ_E10value_typeET2_T3_PNS10_IS15_E10value_typeET4_jRbjT5_S1B_jjP12ihipStream_tbEUljE_EEESW_SX_SY_S15_S19_S1B_T6_T7_T9_mT8_S1D_bDpT10_ENKUlT_T0_E_clISt17integral_constantIbLb0EES1P_IbLb1EEEEDaS1L_S1M_EUlS1L_E_NS1_11comp_targetILNS1_3genE2ELNS1_11target_archE906ELNS1_3gpuE6ELNS1_3repE0EEENS1_30default_config_static_selectorELNS0_4arch9wavefront6targetE0EEEvSZ_, .Lfunc_end2035-_ZN7rocprim17ROCPRIM_400000_NS6detail17trampoline_kernelINS0_13select_configILj256ELj13ELNS0_17block_load_methodE3ELS4_3ELS4_3ELNS0_20block_scan_algorithmE0ELj4294967295EEENS1_25partition_config_selectorILNS1_17partition_subalgoE3EjNS0_10empty_typeEbEEZZNS1_14partition_implILS8_3ELb0ES6_jNS0_17counting_iteratorIjlEEPS9_SE_NS0_5tupleIJPjSE_EEENSF_IJSE_SE_EEES9_SG_JZNS1_25segmented_radix_sort_implINS0_14default_configELb0EPK12hip_bfloat16PSL_PKlPlN2at6native12_GLOBAL__N_18offset_tEEE10hipError_tPvRmT1_PNSt15iterator_traitsISZ_E10value_typeET2_T3_PNS10_IS15_E10value_typeET4_jRbjT5_S1B_jjP12ihipStream_tbEUljE_EEESW_SX_SY_S15_S19_S1B_T6_T7_T9_mT8_S1D_bDpT10_ENKUlT_T0_E_clISt17integral_constantIbLb0EES1P_IbLb1EEEEDaS1L_S1M_EUlS1L_E_NS1_11comp_targetILNS1_3genE2ELNS1_11target_archE906ELNS1_3gpuE6ELNS1_3repE0EEENS1_30default_config_static_selectorELNS0_4arch9wavefront6targetE0EEEvSZ_
                                        ; -- End function
	.set _ZN7rocprim17ROCPRIM_400000_NS6detail17trampoline_kernelINS0_13select_configILj256ELj13ELNS0_17block_load_methodE3ELS4_3ELS4_3ELNS0_20block_scan_algorithmE0ELj4294967295EEENS1_25partition_config_selectorILNS1_17partition_subalgoE3EjNS0_10empty_typeEbEEZZNS1_14partition_implILS8_3ELb0ES6_jNS0_17counting_iteratorIjlEEPS9_SE_NS0_5tupleIJPjSE_EEENSF_IJSE_SE_EEES9_SG_JZNS1_25segmented_radix_sort_implINS0_14default_configELb0EPK12hip_bfloat16PSL_PKlPlN2at6native12_GLOBAL__N_18offset_tEEE10hipError_tPvRmT1_PNSt15iterator_traitsISZ_E10value_typeET2_T3_PNS10_IS15_E10value_typeET4_jRbjT5_S1B_jjP12ihipStream_tbEUljE_EEESW_SX_SY_S15_S19_S1B_T6_T7_T9_mT8_S1D_bDpT10_ENKUlT_T0_E_clISt17integral_constantIbLb0EES1P_IbLb1EEEEDaS1L_S1M_EUlS1L_E_NS1_11comp_targetILNS1_3genE2ELNS1_11target_archE906ELNS1_3gpuE6ELNS1_3repE0EEENS1_30default_config_static_selectorELNS0_4arch9wavefront6targetE0EEEvSZ_.num_vgpr, 0
	.set _ZN7rocprim17ROCPRIM_400000_NS6detail17trampoline_kernelINS0_13select_configILj256ELj13ELNS0_17block_load_methodE3ELS4_3ELS4_3ELNS0_20block_scan_algorithmE0ELj4294967295EEENS1_25partition_config_selectorILNS1_17partition_subalgoE3EjNS0_10empty_typeEbEEZZNS1_14partition_implILS8_3ELb0ES6_jNS0_17counting_iteratorIjlEEPS9_SE_NS0_5tupleIJPjSE_EEENSF_IJSE_SE_EEES9_SG_JZNS1_25segmented_radix_sort_implINS0_14default_configELb0EPK12hip_bfloat16PSL_PKlPlN2at6native12_GLOBAL__N_18offset_tEEE10hipError_tPvRmT1_PNSt15iterator_traitsISZ_E10value_typeET2_T3_PNS10_IS15_E10value_typeET4_jRbjT5_S1B_jjP12ihipStream_tbEUljE_EEESW_SX_SY_S15_S19_S1B_T6_T7_T9_mT8_S1D_bDpT10_ENKUlT_T0_E_clISt17integral_constantIbLb0EES1P_IbLb1EEEEDaS1L_S1M_EUlS1L_E_NS1_11comp_targetILNS1_3genE2ELNS1_11target_archE906ELNS1_3gpuE6ELNS1_3repE0EEENS1_30default_config_static_selectorELNS0_4arch9wavefront6targetE0EEEvSZ_.num_agpr, 0
	.set _ZN7rocprim17ROCPRIM_400000_NS6detail17trampoline_kernelINS0_13select_configILj256ELj13ELNS0_17block_load_methodE3ELS4_3ELS4_3ELNS0_20block_scan_algorithmE0ELj4294967295EEENS1_25partition_config_selectorILNS1_17partition_subalgoE3EjNS0_10empty_typeEbEEZZNS1_14partition_implILS8_3ELb0ES6_jNS0_17counting_iteratorIjlEEPS9_SE_NS0_5tupleIJPjSE_EEENSF_IJSE_SE_EEES9_SG_JZNS1_25segmented_radix_sort_implINS0_14default_configELb0EPK12hip_bfloat16PSL_PKlPlN2at6native12_GLOBAL__N_18offset_tEEE10hipError_tPvRmT1_PNSt15iterator_traitsISZ_E10value_typeET2_T3_PNS10_IS15_E10value_typeET4_jRbjT5_S1B_jjP12ihipStream_tbEUljE_EEESW_SX_SY_S15_S19_S1B_T6_T7_T9_mT8_S1D_bDpT10_ENKUlT_T0_E_clISt17integral_constantIbLb0EES1P_IbLb1EEEEDaS1L_S1M_EUlS1L_E_NS1_11comp_targetILNS1_3genE2ELNS1_11target_archE906ELNS1_3gpuE6ELNS1_3repE0EEENS1_30default_config_static_selectorELNS0_4arch9wavefront6targetE0EEEvSZ_.numbered_sgpr, 0
	.set _ZN7rocprim17ROCPRIM_400000_NS6detail17trampoline_kernelINS0_13select_configILj256ELj13ELNS0_17block_load_methodE3ELS4_3ELS4_3ELNS0_20block_scan_algorithmE0ELj4294967295EEENS1_25partition_config_selectorILNS1_17partition_subalgoE3EjNS0_10empty_typeEbEEZZNS1_14partition_implILS8_3ELb0ES6_jNS0_17counting_iteratorIjlEEPS9_SE_NS0_5tupleIJPjSE_EEENSF_IJSE_SE_EEES9_SG_JZNS1_25segmented_radix_sort_implINS0_14default_configELb0EPK12hip_bfloat16PSL_PKlPlN2at6native12_GLOBAL__N_18offset_tEEE10hipError_tPvRmT1_PNSt15iterator_traitsISZ_E10value_typeET2_T3_PNS10_IS15_E10value_typeET4_jRbjT5_S1B_jjP12ihipStream_tbEUljE_EEESW_SX_SY_S15_S19_S1B_T6_T7_T9_mT8_S1D_bDpT10_ENKUlT_T0_E_clISt17integral_constantIbLb0EES1P_IbLb1EEEEDaS1L_S1M_EUlS1L_E_NS1_11comp_targetILNS1_3genE2ELNS1_11target_archE906ELNS1_3gpuE6ELNS1_3repE0EEENS1_30default_config_static_selectorELNS0_4arch9wavefront6targetE0EEEvSZ_.num_named_barrier, 0
	.set _ZN7rocprim17ROCPRIM_400000_NS6detail17trampoline_kernelINS0_13select_configILj256ELj13ELNS0_17block_load_methodE3ELS4_3ELS4_3ELNS0_20block_scan_algorithmE0ELj4294967295EEENS1_25partition_config_selectorILNS1_17partition_subalgoE3EjNS0_10empty_typeEbEEZZNS1_14partition_implILS8_3ELb0ES6_jNS0_17counting_iteratorIjlEEPS9_SE_NS0_5tupleIJPjSE_EEENSF_IJSE_SE_EEES9_SG_JZNS1_25segmented_radix_sort_implINS0_14default_configELb0EPK12hip_bfloat16PSL_PKlPlN2at6native12_GLOBAL__N_18offset_tEEE10hipError_tPvRmT1_PNSt15iterator_traitsISZ_E10value_typeET2_T3_PNS10_IS15_E10value_typeET4_jRbjT5_S1B_jjP12ihipStream_tbEUljE_EEESW_SX_SY_S15_S19_S1B_T6_T7_T9_mT8_S1D_bDpT10_ENKUlT_T0_E_clISt17integral_constantIbLb0EES1P_IbLb1EEEEDaS1L_S1M_EUlS1L_E_NS1_11comp_targetILNS1_3genE2ELNS1_11target_archE906ELNS1_3gpuE6ELNS1_3repE0EEENS1_30default_config_static_selectorELNS0_4arch9wavefront6targetE0EEEvSZ_.private_seg_size, 0
	.set _ZN7rocprim17ROCPRIM_400000_NS6detail17trampoline_kernelINS0_13select_configILj256ELj13ELNS0_17block_load_methodE3ELS4_3ELS4_3ELNS0_20block_scan_algorithmE0ELj4294967295EEENS1_25partition_config_selectorILNS1_17partition_subalgoE3EjNS0_10empty_typeEbEEZZNS1_14partition_implILS8_3ELb0ES6_jNS0_17counting_iteratorIjlEEPS9_SE_NS0_5tupleIJPjSE_EEENSF_IJSE_SE_EEES9_SG_JZNS1_25segmented_radix_sort_implINS0_14default_configELb0EPK12hip_bfloat16PSL_PKlPlN2at6native12_GLOBAL__N_18offset_tEEE10hipError_tPvRmT1_PNSt15iterator_traitsISZ_E10value_typeET2_T3_PNS10_IS15_E10value_typeET4_jRbjT5_S1B_jjP12ihipStream_tbEUljE_EEESW_SX_SY_S15_S19_S1B_T6_T7_T9_mT8_S1D_bDpT10_ENKUlT_T0_E_clISt17integral_constantIbLb0EES1P_IbLb1EEEEDaS1L_S1M_EUlS1L_E_NS1_11comp_targetILNS1_3genE2ELNS1_11target_archE906ELNS1_3gpuE6ELNS1_3repE0EEENS1_30default_config_static_selectorELNS0_4arch9wavefront6targetE0EEEvSZ_.uses_vcc, 0
	.set _ZN7rocprim17ROCPRIM_400000_NS6detail17trampoline_kernelINS0_13select_configILj256ELj13ELNS0_17block_load_methodE3ELS4_3ELS4_3ELNS0_20block_scan_algorithmE0ELj4294967295EEENS1_25partition_config_selectorILNS1_17partition_subalgoE3EjNS0_10empty_typeEbEEZZNS1_14partition_implILS8_3ELb0ES6_jNS0_17counting_iteratorIjlEEPS9_SE_NS0_5tupleIJPjSE_EEENSF_IJSE_SE_EEES9_SG_JZNS1_25segmented_radix_sort_implINS0_14default_configELb0EPK12hip_bfloat16PSL_PKlPlN2at6native12_GLOBAL__N_18offset_tEEE10hipError_tPvRmT1_PNSt15iterator_traitsISZ_E10value_typeET2_T3_PNS10_IS15_E10value_typeET4_jRbjT5_S1B_jjP12ihipStream_tbEUljE_EEESW_SX_SY_S15_S19_S1B_T6_T7_T9_mT8_S1D_bDpT10_ENKUlT_T0_E_clISt17integral_constantIbLb0EES1P_IbLb1EEEEDaS1L_S1M_EUlS1L_E_NS1_11comp_targetILNS1_3genE2ELNS1_11target_archE906ELNS1_3gpuE6ELNS1_3repE0EEENS1_30default_config_static_selectorELNS0_4arch9wavefront6targetE0EEEvSZ_.uses_flat_scratch, 0
	.set _ZN7rocprim17ROCPRIM_400000_NS6detail17trampoline_kernelINS0_13select_configILj256ELj13ELNS0_17block_load_methodE3ELS4_3ELS4_3ELNS0_20block_scan_algorithmE0ELj4294967295EEENS1_25partition_config_selectorILNS1_17partition_subalgoE3EjNS0_10empty_typeEbEEZZNS1_14partition_implILS8_3ELb0ES6_jNS0_17counting_iteratorIjlEEPS9_SE_NS0_5tupleIJPjSE_EEENSF_IJSE_SE_EEES9_SG_JZNS1_25segmented_radix_sort_implINS0_14default_configELb0EPK12hip_bfloat16PSL_PKlPlN2at6native12_GLOBAL__N_18offset_tEEE10hipError_tPvRmT1_PNSt15iterator_traitsISZ_E10value_typeET2_T3_PNS10_IS15_E10value_typeET4_jRbjT5_S1B_jjP12ihipStream_tbEUljE_EEESW_SX_SY_S15_S19_S1B_T6_T7_T9_mT8_S1D_bDpT10_ENKUlT_T0_E_clISt17integral_constantIbLb0EES1P_IbLb1EEEEDaS1L_S1M_EUlS1L_E_NS1_11comp_targetILNS1_3genE2ELNS1_11target_archE906ELNS1_3gpuE6ELNS1_3repE0EEENS1_30default_config_static_selectorELNS0_4arch9wavefront6targetE0EEEvSZ_.has_dyn_sized_stack, 0
	.set _ZN7rocprim17ROCPRIM_400000_NS6detail17trampoline_kernelINS0_13select_configILj256ELj13ELNS0_17block_load_methodE3ELS4_3ELS4_3ELNS0_20block_scan_algorithmE0ELj4294967295EEENS1_25partition_config_selectorILNS1_17partition_subalgoE3EjNS0_10empty_typeEbEEZZNS1_14partition_implILS8_3ELb0ES6_jNS0_17counting_iteratorIjlEEPS9_SE_NS0_5tupleIJPjSE_EEENSF_IJSE_SE_EEES9_SG_JZNS1_25segmented_radix_sort_implINS0_14default_configELb0EPK12hip_bfloat16PSL_PKlPlN2at6native12_GLOBAL__N_18offset_tEEE10hipError_tPvRmT1_PNSt15iterator_traitsISZ_E10value_typeET2_T3_PNS10_IS15_E10value_typeET4_jRbjT5_S1B_jjP12ihipStream_tbEUljE_EEESW_SX_SY_S15_S19_S1B_T6_T7_T9_mT8_S1D_bDpT10_ENKUlT_T0_E_clISt17integral_constantIbLb0EES1P_IbLb1EEEEDaS1L_S1M_EUlS1L_E_NS1_11comp_targetILNS1_3genE2ELNS1_11target_archE906ELNS1_3gpuE6ELNS1_3repE0EEENS1_30default_config_static_selectorELNS0_4arch9wavefront6targetE0EEEvSZ_.has_recursion, 0
	.set _ZN7rocprim17ROCPRIM_400000_NS6detail17trampoline_kernelINS0_13select_configILj256ELj13ELNS0_17block_load_methodE3ELS4_3ELS4_3ELNS0_20block_scan_algorithmE0ELj4294967295EEENS1_25partition_config_selectorILNS1_17partition_subalgoE3EjNS0_10empty_typeEbEEZZNS1_14partition_implILS8_3ELb0ES6_jNS0_17counting_iteratorIjlEEPS9_SE_NS0_5tupleIJPjSE_EEENSF_IJSE_SE_EEES9_SG_JZNS1_25segmented_radix_sort_implINS0_14default_configELb0EPK12hip_bfloat16PSL_PKlPlN2at6native12_GLOBAL__N_18offset_tEEE10hipError_tPvRmT1_PNSt15iterator_traitsISZ_E10value_typeET2_T3_PNS10_IS15_E10value_typeET4_jRbjT5_S1B_jjP12ihipStream_tbEUljE_EEESW_SX_SY_S15_S19_S1B_T6_T7_T9_mT8_S1D_bDpT10_ENKUlT_T0_E_clISt17integral_constantIbLb0EES1P_IbLb1EEEEDaS1L_S1M_EUlS1L_E_NS1_11comp_targetILNS1_3genE2ELNS1_11target_archE906ELNS1_3gpuE6ELNS1_3repE0EEENS1_30default_config_static_selectorELNS0_4arch9wavefront6targetE0EEEvSZ_.has_indirect_call, 0
	.section	.AMDGPU.csdata,"",@progbits
; Kernel info:
; codeLenInByte = 0
; TotalNumSgprs: 0
; NumVgprs: 0
; ScratchSize: 0
; MemoryBound: 0
; FloatMode: 240
; IeeeMode: 1
; LDSByteSize: 0 bytes/workgroup (compile time only)
; SGPRBlocks: 0
; VGPRBlocks: 0
; NumSGPRsForWavesPerEU: 1
; NumVGPRsForWavesPerEU: 1
; NamedBarCnt: 0
; Occupancy: 16
; WaveLimiterHint : 0
; COMPUTE_PGM_RSRC2:SCRATCH_EN: 0
; COMPUTE_PGM_RSRC2:USER_SGPR: 2
; COMPUTE_PGM_RSRC2:TRAP_HANDLER: 0
; COMPUTE_PGM_RSRC2:TGID_X_EN: 1
; COMPUTE_PGM_RSRC2:TGID_Y_EN: 0
; COMPUTE_PGM_RSRC2:TGID_Z_EN: 0
; COMPUTE_PGM_RSRC2:TIDIG_COMP_CNT: 0
	.section	.text._ZN7rocprim17ROCPRIM_400000_NS6detail17trampoline_kernelINS0_13select_configILj256ELj13ELNS0_17block_load_methodE3ELS4_3ELS4_3ELNS0_20block_scan_algorithmE0ELj4294967295EEENS1_25partition_config_selectorILNS1_17partition_subalgoE3EjNS0_10empty_typeEbEEZZNS1_14partition_implILS8_3ELb0ES6_jNS0_17counting_iteratorIjlEEPS9_SE_NS0_5tupleIJPjSE_EEENSF_IJSE_SE_EEES9_SG_JZNS1_25segmented_radix_sort_implINS0_14default_configELb0EPK12hip_bfloat16PSL_PKlPlN2at6native12_GLOBAL__N_18offset_tEEE10hipError_tPvRmT1_PNSt15iterator_traitsISZ_E10value_typeET2_T3_PNS10_IS15_E10value_typeET4_jRbjT5_S1B_jjP12ihipStream_tbEUljE_EEESW_SX_SY_S15_S19_S1B_T6_T7_T9_mT8_S1D_bDpT10_ENKUlT_T0_E_clISt17integral_constantIbLb0EES1P_IbLb1EEEEDaS1L_S1M_EUlS1L_E_NS1_11comp_targetILNS1_3genE10ELNS1_11target_archE1200ELNS1_3gpuE4ELNS1_3repE0EEENS1_30default_config_static_selectorELNS0_4arch9wavefront6targetE0EEEvSZ_,"axG",@progbits,_ZN7rocprim17ROCPRIM_400000_NS6detail17trampoline_kernelINS0_13select_configILj256ELj13ELNS0_17block_load_methodE3ELS4_3ELS4_3ELNS0_20block_scan_algorithmE0ELj4294967295EEENS1_25partition_config_selectorILNS1_17partition_subalgoE3EjNS0_10empty_typeEbEEZZNS1_14partition_implILS8_3ELb0ES6_jNS0_17counting_iteratorIjlEEPS9_SE_NS0_5tupleIJPjSE_EEENSF_IJSE_SE_EEES9_SG_JZNS1_25segmented_radix_sort_implINS0_14default_configELb0EPK12hip_bfloat16PSL_PKlPlN2at6native12_GLOBAL__N_18offset_tEEE10hipError_tPvRmT1_PNSt15iterator_traitsISZ_E10value_typeET2_T3_PNS10_IS15_E10value_typeET4_jRbjT5_S1B_jjP12ihipStream_tbEUljE_EEESW_SX_SY_S15_S19_S1B_T6_T7_T9_mT8_S1D_bDpT10_ENKUlT_T0_E_clISt17integral_constantIbLb0EES1P_IbLb1EEEEDaS1L_S1M_EUlS1L_E_NS1_11comp_targetILNS1_3genE10ELNS1_11target_archE1200ELNS1_3gpuE4ELNS1_3repE0EEENS1_30default_config_static_selectorELNS0_4arch9wavefront6targetE0EEEvSZ_,comdat
	.globl	_ZN7rocprim17ROCPRIM_400000_NS6detail17trampoline_kernelINS0_13select_configILj256ELj13ELNS0_17block_load_methodE3ELS4_3ELS4_3ELNS0_20block_scan_algorithmE0ELj4294967295EEENS1_25partition_config_selectorILNS1_17partition_subalgoE3EjNS0_10empty_typeEbEEZZNS1_14partition_implILS8_3ELb0ES6_jNS0_17counting_iteratorIjlEEPS9_SE_NS0_5tupleIJPjSE_EEENSF_IJSE_SE_EEES9_SG_JZNS1_25segmented_radix_sort_implINS0_14default_configELb0EPK12hip_bfloat16PSL_PKlPlN2at6native12_GLOBAL__N_18offset_tEEE10hipError_tPvRmT1_PNSt15iterator_traitsISZ_E10value_typeET2_T3_PNS10_IS15_E10value_typeET4_jRbjT5_S1B_jjP12ihipStream_tbEUljE_EEESW_SX_SY_S15_S19_S1B_T6_T7_T9_mT8_S1D_bDpT10_ENKUlT_T0_E_clISt17integral_constantIbLb0EES1P_IbLb1EEEEDaS1L_S1M_EUlS1L_E_NS1_11comp_targetILNS1_3genE10ELNS1_11target_archE1200ELNS1_3gpuE4ELNS1_3repE0EEENS1_30default_config_static_selectorELNS0_4arch9wavefront6targetE0EEEvSZ_ ; -- Begin function _ZN7rocprim17ROCPRIM_400000_NS6detail17trampoline_kernelINS0_13select_configILj256ELj13ELNS0_17block_load_methodE3ELS4_3ELS4_3ELNS0_20block_scan_algorithmE0ELj4294967295EEENS1_25partition_config_selectorILNS1_17partition_subalgoE3EjNS0_10empty_typeEbEEZZNS1_14partition_implILS8_3ELb0ES6_jNS0_17counting_iteratorIjlEEPS9_SE_NS0_5tupleIJPjSE_EEENSF_IJSE_SE_EEES9_SG_JZNS1_25segmented_radix_sort_implINS0_14default_configELb0EPK12hip_bfloat16PSL_PKlPlN2at6native12_GLOBAL__N_18offset_tEEE10hipError_tPvRmT1_PNSt15iterator_traitsISZ_E10value_typeET2_T3_PNS10_IS15_E10value_typeET4_jRbjT5_S1B_jjP12ihipStream_tbEUljE_EEESW_SX_SY_S15_S19_S1B_T6_T7_T9_mT8_S1D_bDpT10_ENKUlT_T0_E_clISt17integral_constantIbLb0EES1P_IbLb1EEEEDaS1L_S1M_EUlS1L_E_NS1_11comp_targetILNS1_3genE10ELNS1_11target_archE1200ELNS1_3gpuE4ELNS1_3repE0EEENS1_30default_config_static_selectorELNS0_4arch9wavefront6targetE0EEEvSZ_
	.p2align	8
	.type	_ZN7rocprim17ROCPRIM_400000_NS6detail17trampoline_kernelINS0_13select_configILj256ELj13ELNS0_17block_load_methodE3ELS4_3ELS4_3ELNS0_20block_scan_algorithmE0ELj4294967295EEENS1_25partition_config_selectorILNS1_17partition_subalgoE3EjNS0_10empty_typeEbEEZZNS1_14partition_implILS8_3ELb0ES6_jNS0_17counting_iteratorIjlEEPS9_SE_NS0_5tupleIJPjSE_EEENSF_IJSE_SE_EEES9_SG_JZNS1_25segmented_radix_sort_implINS0_14default_configELb0EPK12hip_bfloat16PSL_PKlPlN2at6native12_GLOBAL__N_18offset_tEEE10hipError_tPvRmT1_PNSt15iterator_traitsISZ_E10value_typeET2_T3_PNS10_IS15_E10value_typeET4_jRbjT5_S1B_jjP12ihipStream_tbEUljE_EEESW_SX_SY_S15_S19_S1B_T6_T7_T9_mT8_S1D_bDpT10_ENKUlT_T0_E_clISt17integral_constantIbLb0EES1P_IbLb1EEEEDaS1L_S1M_EUlS1L_E_NS1_11comp_targetILNS1_3genE10ELNS1_11target_archE1200ELNS1_3gpuE4ELNS1_3repE0EEENS1_30default_config_static_selectorELNS0_4arch9wavefront6targetE0EEEvSZ_,@function
_ZN7rocprim17ROCPRIM_400000_NS6detail17trampoline_kernelINS0_13select_configILj256ELj13ELNS0_17block_load_methodE3ELS4_3ELS4_3ELNS0_20block_scan_algorithmE0ELj4294967295EEENS1_25partition_config_selectorILNS1_17partition_subalgoE3EjNS0_10empty_typeEbEEZZNS1_14partition_implILS8_3ELb0ES6_jNS0_17counting_iteratorIjlEEPS9_SE_NS0_5tupleIJPjSE_EEENSF_IJSE_SE_EEES9_SG_JZNS1_25segmented_radix_sort_implINS0_14default_configELb0EPK12hip_bfloat16PSL_PKlPlN2at6native12_GLOBAL__N_18offset_tEEE10hipError_tPvRmT1_PNSt15iterator_traitsISZ_E10value_typeET2_T3_PNS10_IS15_E10value_typeET4_jRbjT5_S1B_jjP12ihipStream_tbEUljE_EEESW_SX_SY_S15_S19_S1B_T6_T7_T9_mT8_S1D_bDpT10_ENKUlT_T0_E_clISt17integral_constantIbLb0EES1P_IbLb1EEEEDaS1L_S1M_EUlS1L_E_NS1_11comp_targetILNS1_3genE10ELNS1_11target_archE1200ELNS1_3gpuE4ELNS1_3repE0EEENS1_30default_config_static_selectorELNS0_4arch9wavefront6targetE0EEEvSZ_: ; @_ZN7rocprim17ROCPRIM_400000_NS6detail17trampoline_kernelINS0_13select_configILj256ELj13ELNS0_17block_load_methodE3ELS4_3ELS4_3ELNS0_20block_scan_algorithmE0ELj4294967295EEENS1_25partition_config_selectorILNS1_17partition_subalgoE3EjNS0_10empty_typeEbEEZZNS1_14partition_implILS8_3ELb0ES6_jNS0_17counting_iteratorIjlEEPS9_SE_NS0_5tupleIJPjSE_EEENSF_IJSE_SE_EEES9_SG_JZNS1_25segmented_radix_sort_implINS0_14default_configELb0EPK12hip_bfloat16PSL_PKlPlN2at6native12_GLOBAL__N_18offset_tEEE10hipError_tPvRmT1_PNSt15iterator_traitsISZ_E10value_typeET2_T3_PNS10_IS15_E10value_typeET4_jRbjT5_S1B_jjP12ihipStream_tbEUljE_EEESW_SX_SY_S15_S19_S1B_T6_T7_T9_mT8_S1D_bDpT10_ENKUlT_T0_E_clISt17integral_constantIbLb0EES1P_IbLb1EEEEDaS1L_S1M_EUlS1L_E_NS1_11comp_targetILNS1_3genE10ELNS1_11target_archE1200ELNS1_3gpuE4ELNS1_3repE0EEENS1_30default_config_static_selectorELNS0_4arch9wavefront6targetE0EEEvSZ_
; %bb.0:
	.section	.rodata,"a",@progbits
	.p2align	6, 0x0
	.amdhsa_kernel _ZN7rocprim17ROCPRIM_400000_NS6detail17trampoline_kernelINS0_13select_configILj256ELj13ELNS0_17block_load_methodE3ELS4_3ELS4_3ELNS0_20block_scan_algorithmE0ELj4294967295EEENS1_25partition_config_selectorILNS1_17partition_subalgoE3EjNS0_10empty_typeEbEEZZNS1_14partition_implILS8_3ELb0ES6_jNS0_17counting_iteratorIjlEEPS9_SE_NS0_5tupleIJPjSE_EEENSF_IJSE_SE_EEES9_SG_JZNS1_25segmented_radix_sort_implINS0_14default_configELb0EPK12hip_bfloat16PSL_PKlPlN2at6native12_GLOBAL__N_18offset_tEEE10hipError_tPvRmT1_PNSt15iterator_traitsISZ_E10value_typeET2_T3_PNS10_IS15_E10value_typeET4_jRbjT5_S1B_jjP12ihipStream_tbEUljE_EEESW_SX_SY_S15_S19_S1B_T6_T7_T9_mT8_S1D_bDpT10_ENKUlT_T0_E_clISt17integral_constantIbLb0EES1P_IbLb1EEEEDaS1L_S1M_EUlS1L_E_NS1_11comp_targetILNS1_3genE10ELNS1_11target_archE1200ELNS1_3gpuE4ELNS1_3repE0EEENS1_30default_config_static_selectorELNS0_4arch9wavefront6targetE0EEEvSZ_
		.amdhsa_group_segment_fixed_size 0
		.amdhsa_private_segment_fixed_size 0
		.amdhsa_kernarg_size 152
		.amdhsa_user_sgpr_count 2
		.amdhsa_user_sgpr_dispatch_ptr 0
		.amdhsa_user_sgpr_queue_ptr 0
		.amdhsa_user_sgpr_kernarg_segment_ptr 1
		.amdhsa_user_sgpr_dispatch_id 0
		.amdhsa_user_sgpr_kernarg_preload_length 0
		.amdhsa_user_sgpr_kernarg_preload_offset 0
		.amdhsa_user_sgpr_private_segment_size 0
		.amdhsa_wavefront_size32 1
		.amdhsa_uses_dynamic_stack 0
		.amdhsa_enable_private_segment 0
		.amdhsa_system_sgpr_workgroup_id_x 1
		.amdhsa_system_sgpr_workgroup_id_y 0
		.amdhsa_system_sgpr_workgroup_id_z 0
		.amdhsa_system_sgpr_workgroup_info 0
		.amdhsa_system_vgpr_workitem_id 0
		.amdhsa_next_free_vgpr 1
		.amdhsa_next_free_sgpr 1
		.amdhsa_named_barrier_count 0
		.amdhsa_reserve_vcc 0
		.amdhsa_float_round_mode_32 0
		.amdhsa_float_round_mode_16_64 0
		.amdhsa_float_denorm_mode_32 3
		.amdhsa_float_denorm_mode_16_64 3
		.amdhsa_fp16_overflow 0
		.amdhsa_memory_ordered 1
		.amdhsa_forward_progress 1
		.amdhsa_inst_pref_size 0
		.amdhsa_round_robin_scheduling 0
		.amdhsa_exception_fp_ieee_invalid_op 0
		.amdhsa_exception_fp_denorm_src 0
		.amdhsa_exception_fp_ieee_div_zero 0
		.amdhsa_exception_fp_ieee_overflow 0
		.amdhsa_exception_fp_ieee_underflow 0
		.amdhsa_exception_fp_ieee_inexact 0
		.amdhsa_exception_int_div_zero 0
	.end_amdhsa_kernel
	.section	.text._ZN7rocprim17ROCPRIM_400000_NS6detail17trampoline_kernelINS0_13select_configILj256ELj13ELNS0_17block_load_methodE3ELS4_3ELS4_3ELNS0_20block_scan_algorithmE0ELj4294967295EEENS1_25partition_config_selectorILNS1_17partition_subalgoE3EjNS0_10empty_typeEbEEZZNS1_14partition_implILS8_3ELb0ES6_jNS0_17counting_iteratorIjlEEPS9_SE_NS0_5tupleIJPjSE_EEENSF_IJSE_SE_EEES9_SG_JZNS1_25segmented_radix_sort_implINS0_14default_configELb0EPK12hip_bfloat16PSL_PKlPlN2at6native12_GLOBAL__N_18offset_tEEE10hipError_tPvRmT1_PNSt15iterator_traitsISZ_E10value_typeET2_T3_PNS10_IS15_E10value_typeET4_jRbjT5_S1B_jjP12ihipStream_tbEUljE_EEESW_SX_SY_S15_S19_S1B_T6_T7_T9_mT8_S1D_bDpT10_ENKUlT_T0_E_clISt17integral_constantIbLb0EES1P_IbLb1EEEEDaS1L_S1M_EUlS1L_E_NS1_11comp_targetILNS1_3genE10ELNS1_11target_archE1200ELNS1_3gpuE4ELNS1_3repE0EEENS1_30default_config_static_selectorELNS0_4arch9wavefront6targetE0EEEvSZ_,"axG",@progbits,_ZN7rocprim17ROCPRIM_400000_NS6detail17trampoline_kernelINS0_13select_configILj256ELj13ELNS0_17block_load_methodE3ELS4_3ELS4_3ELNS0_20block_scan_algorithmE0ELj4294967295EEENS1_25partition_config_selectorILNS1_17partition_subalgoE3EjNS0_10empty_typeEbEEZZNS1_14partition_implILS8_3ELb0ES6_jNS0_17counting_iteratorIjlEEPS9_SE_NS0_5tupleIJPjSE_EEENSF_IJSE_SE_EEES9_SG_JZNS1_25segmented_radix_sort_implINS0_14default_configELb0EPK12hip_bfloat16PSL_PKlPlN2at6native12_GLOBAL__N_18offset_tEEE10hipError_tPvRmT1_PNSt15iterator_traitsISZ_E10value_typeET2_T3_PNS10_IS15_E10value_typeET4_jRbjT5_S1B_jjP12ihipStream_tbEUljE_EEESW_SX_SY_S15_S19_S1B_T6_T7_T9_mT8_S1D_bDpT10_ENKUlT_T0_E_clISt17integral_constantIbLb0EES1P_IbLb1EEEEDaS1L_S1M_EUlS1L_E_NS1_11comp_targetILNS1_3genE10ELNS1_11target_archE1200ELNS1_3gpuE4ELNS1_3repE0EEENS1_30default_config_static_selectorELNS0_4arch9wavefront6targetE0EEEvSZ_,comdat
.Lfunc_end2036:
	.size	_ZN7rocprim17ROCPRIM_400000_NS6detail17trampoline_kernelINS0_13select_configILj256ELj13ELNS0_17block_load_methodE3ELS4_3ELS4_3ELNS0_20block_scan_algorithmE0ELj4294967295EEENS1_25partition_config_selectorILNS1_17partition_subalgoE3EjNS0_10empty_typeEbEEZZNS1_14partition_implILS8_3ELb0ES6_jNS0_17counting_iteratorIjlEEPS9_SE_NS0_5tupleIJPjSE_EEENSF_IJSE_SE_EEES9_SG_JZNS1_25segmented_radix_sort_implINS0_14default_configELb0EPK12hip_bfloat16PSL_PKlPlN2at6native12_GLOBAL__N_18offset_tEEE10hipError_tPvRmT1_PNSt15iterator_traitsISZ_E10value_typeET2_T3_PNS10_IS15_E10value_typeET4_jRbjT5_S1B_jjP12ihipStream_tbEUljE_EEESW_SX_SY_S15_S19_S1B_T6_T7_T9_mT8_S1D_bDpT10_ENKUlT_T0_E_clISt17integral_constantIbLb0EES1P_IbLb1EEEEDaS1L_S1M_EUlS1L_E_NS1_11comp_targetILNS1_3genE10ELNS1_11target_archE1200ELNS1_3gpuE4ELNS1_3repE0EEENS1_30default_config_static_selectorELNS0_4arch9wavefront6targetE0EEEvSZ_, .Lfunc_end2036-_ZN7rocprim17ROCPRIM_400000_NS6detail17trampoline_kernelINS0_13select_configILj256ELj13ELNS0_17block_load_methodE3ELS4_3ELS4_3ELNS0_20block_scan_algorithmE0ELj4294967295EEENS1_25partition_config_selectorILNS1_17partition_subalgoE3EjNS0_10empty_typeEbEEZZNS1_14partition_implILS8_3ELb0ES6_jNS0_17counting_iteratorIjlEEPS9_SE_NS0_5tupleIJPjSE_EEENSF_IJSE_SE_EEES9_SG_JZNS1_25segmented_radix_sort_implINS0_14default_configELb0EPK12hip_bfloat16PSL_PKlPlN2at6native12_GLOBAL__N_18offset_tEEE10hipError_tPvRmT1_PNSt15iterator_traitsISZ_E10value_typeET2_T3_PNS10_IS15_E10value_typeET4_jRbjT5_S1B_jjP12ihipStream_tbEUljE_EEESW_SX_SY_S15_S19_S1B_T6_T7_T9_mT8_S1D_bDpT10_ENKUlT_T0_E_clISt17integral_constantIbLb0EES1P_IbLb1EEEEDaS1L_S1M_EUlS1L_E_NS1_11comp_targetILNS1_3genE10ELNS1_11target_archE1200ELNS1_3gpuE4ELNS1_3repE0EEENS1_30default_config_static_selectorELNS0_4arch9wavefront6targetE0EEEvSZ_
                                        ; -- End function
	.set _ZN7rocprim17ROCPRIM_400000_NS6detail17trampoline_kernelINS0_13select_configILj256ELj13ELNS0_17block_load_methodE3ELS4_3ELS4_3ELNS0_20block_scan_algorithmE0ELj4294967295EEENS1_25partition_config_selectorILNS1_17partition_subalgoE3EjNS0_10empty_typeEbEEZZNS1_14partition_implILS8_3ELb0ES6_jNS0_17counting_iteratorIjlEEPS9_SE_NS0_5tupleIJPjSE_EEENSF_IJSE_SE_EEES9_SG_JZNS1_25segmented_radix_sort_implINS0_14default_configELb0EPK12hip_bfloat16PSL_PKlPlN2at6native12_GLOBAL__N_18offset_tEEE10hipError_tPvRmT1_PNSt15iterator_traitsISZ_E10value_typeET2_T3_PNS10_IS15_E10value_typeET4_jRbjT5_S1B_jjP12ihipStream_tbEUljE_EEESW_SX_SY_S15_S19_S1B_T6_T7_T9_mT8_S1D_bDpT10_ENKUlT_T0_E_clISt17integral_constantIbLb0EES1P_IbLb1EEEEDaS1L_S1M_EUlS1L_E_NS1_11comp_targetILNS1_3genE10ELNS1_11target_archE1200ELNS1_3gpuE4ELNS1_3repE0EEENS1_30default_config_static_selectorELNS0_4arch9wavefront6targetE0EEEvSZ_.num_vgpr, 0
	.set _ZN7rocprim17ROCPRIM_400000_NS6detail17trampoline_kernelINS0_13select_configILj256ELj13ELNS0_17block_load_methodE3ELS4_3ELS4_3ELNS0_20block_scan_algorithmE0ELj4294967295EEENS1_25partition_config_selectorILNS1_17partition_subalgoE3EjNS0_10empty_typeEbEEZZNS1_14partition_implILS8_3ELb0ES6_jNS0_17counting_iteratorIjlEEPS9_SE_NS0_5tupleIJPjSE_EEENSF_IJSE_SE_EEES9_SG_JZNS1_25segmented_radix_sort_implINS0_14default_configELb0EPK12hip_bfloat16PSL_PKlPlN2at6native12_GLOBAL__N_18offset_tEEE10hipError_tPvRmT1_PNSt15iterator_traitsISZ_E10value_typeET2_T3_PNS10_IS15_E10value_typeET4_jRbjT5_S1B_jjP12ihipStream_tbEUljE_EEESW_SX_SY_S15_S19_S1B_T6_T7_T9_mT8_S1D_bDpT10_ENKUlT_T0_E_clISt17integral_constantIbLb0EES1P_IbLb1EEEEDaS1L_S1M_EUlS1L_E_NS1_11comp_targetILNS1_3genE10ELNS1_11target_archE1200ELNS1_3gpuE4ELNS1_3repE0EEENS1_30default_config_static_selectorELNS0_4arch9wavefront6targetE0EEEvSZ_.num_agpr, 0
	.set _ZN7rocprim17ROCPRIM_400000_NS6detail17trampoline_kernelINS0_13select_configILj256ELj13ELNS0_17block_load_methodE3ELS4_3ELS4_3ELNS0_20block_scan_algorithmE0ELj4294967295EEENS1_25partition_config_selectorILNS1_17partition_subalgoE3EjNS0_10empty_typeEbEEZZNS1_14partition_implILS8_3ELb0ES6_jNS0_17counting_iteratorIjlEEPS9_SE_NS0_5tupleIJPjSE_EEENSF_IJSE_SE_EEES9_SG_JZNS1_25segmented_radix_sort_implINS0_14default_configELb0EPK12hip_bfloat16PSL_PKlPlN2at6native12_GLOBAL__N_18offset_tEEE10hipError_tPvRmT1_PNSt15iterator_traitsISZ_E10value_typeET2_T3_PNS10_IS15_E10value_typeET4_jRbjT5_S1B_jjP12ihipStream_tbEUljE_EEESW_SX_SY_S15_S19_S1B_T6_T7_T9_mT8_S1D_bDpT10_ENKUlT_T0_E_clISt17integral_constantIbLb0EES1P_IbLb1EEEEDaS1L_S1M_EUlS1L_E_NS1_11comp_targetILNS1_3genE10ELNS1_11target_archE1200ELNS1_3gpuE4ELNS1_3repE0EEENS1_30default_config_static_selectorELNS0_4arch9wavefront6targetE0EEEvSZ_.numbered_sgpr, 0
	.set _ZN7rocprim17ROCPRIM_400000_NS6detail17trampoline_kernelINS0_13select_configILj256ELj13ELNS0_17block_load_methodE3ELS4_3ELS4_3ELNS0_20block_scan_algorithmE0ELj4294967295EEENS1_25partition_config_selectorILNS1_17partition_subalgoE3EjNS0_10empty_typeEbEEZZNS1_14partition_implILS8_3ELb0ES6_jNS0_17counting_iteratorIjlEEPS9_SE_NS0_5tupleIJPjSE_EEENSF_IJSE_SE_EEES9_SG_JZNS1_25segmented_radix_sort_implINS0_14default_configELb0EPK12hip_bfloat16PSL_PKlPlN2at6native12_GLOBAL__N_18offset_tEEE10hipError_tPvRmT1_PNSt15iterator_traitsISZ_E10value_typeET2_T3_PNS10_IS15_E10value_typeET4_jRbjT5_S1B_jjP12ihipStream_tbEUljE_EEESW_SX_SY_S15_S19_S1B_T6_T7_T9_mT8_S1D_bDpT10_ENKUlT_T0_E_clISt17integral_constantIbLb0EES1P_IbLb1EEEEDaS1L_S1M_EUlS1L_E_NS1_11comp_targetILNS1_3genE10ELNS1_11target_archE1200ELNS1_3gpuE4ELNS1_3repE0EEENS1_30default_config_static_selectorELNS0_4arch9wavefront6targetE0EEEvSZ_.num_named_barrier, 0
	.set _ZN7rocprim17ROCPRIM_400000_NS6detail17trampoline_kernelINS0_13select_configILj256ELj13ELNS0_17block_load_methodE3ELS4_3ELS4_3ELNS0_20block_scan_algorithmE0ELj4294967295EEENS1_25partition_config_selectorILNS1_17partition_subalgoE3EjNS0_10empty_typeEbEEZZNS1_14partition_implILS8_3ELb0ES6_jNS0_17counting_iteratorIjlEEPS9_SE_NS0_5tupleIJPjSE_EEENSF_IJSE_SE_EEES9_SG_JZNS1_25segmented_radix_sort_implINS0_14default_configELb0EPK12hip_bfloat16PSL_PKlPlN2at6native12_GLOBAL__N_18offset_tEEE10hipError_tPvRmT1_PNSt15iterator_traitsISZ_E10value_typeET2_T3_PNS10_IS15_E10value_typeET4_jRbjT5_S1B_jjP12ihipStream_tbEUljE_EEESW_SX_SY_S15_S19_S1B_T6_T7_T9_mT8_S1D_bDpT10_ENKUlT_T0_E_clISt17integral_constantIbLb0EES1P_IbLb1EEEEDaS1L_S1M_EUlS1L_E_NS1_11comp_targetILNS1_3genE10ELNS1_11target_archE1200ELNS1_3gpuE4ELNS1_3repE0EEENS1_30default_config_static_selectorELNS0_4arch9wavefront6targetE0EEEvSZ_.private_seg_size, 0
	.set _ZN7rocprim17ROCPRIM_400000_NS6detail17trampoline_kernelINS0_13select_configILj256ELj13ELNS0_17block_load_methodE3ELS4_3ELS4_3ELNS0_20block_scan_algorithmE0ELj4294967295EEENS1_25partition_config_selectorILNS1_17partition_subalgoE3EjNS0_10empty_typeEbEEZZNS1_14partition_implILS8_3ELb0ES6_jNS0_17counting_iteratorIjlEEPS9_SE_NS0_5tupleIJPjSE_EEENSF_IJSE_SE_EEES9_SG_JZNS1_25segmented_radix_sort_implINS0_14default_configELb0EPK12hip_bfloat16PSL_PKlPlN2at6native12_GLOBAL__N_18offset_tEEE10hipError_tPvRmT1_PNSt15iterator_traitsISZ_E10value_typeET2_T3_PNS10_IS15_E10value_typeET4_jRbjT5_S1B_jjP12ihipStream_tbEUljE_EEESW_SX_SY_S15_S19_S1B_T6_T7_T9_mT8_S1D_bDpT10_ENKUlT_T0_E_clISt17integral_constantIbLb0EES1P_IbLb1EEEEDaS1L_S1M_EUlS1L_E_NS1_11comp_targetILNS1_3genE10ELNS1_11target_archE1200ELNS1_3gpuE4ELNS1_3repE0EEENS1_30default_config_static_selectorELNS0_4arch9wavefront6targetE0EEEvSZ_.uses_vcc, 0
	.set _ZN7rocprim17ROCPRIM_400000_NS6detail17trampoline_kernelINS0_13select_configILj256ELj13ELNS0_17block_load_methodE3ELS4_3ELS4_3ELNS0_20block_scan_algorithmE0ELj4294967295EEENS1_25partition_config_selectorILNS1_17partition_subalgoE3EjNS0_10empty_typeEbEEZZNS1_14partition_implILS8_3ELb0ES6_jNS0_17counting_iteratorIjlEEPS9_SE_NS0_5tupleIJPjSE_EEENSF_IJSE_SE_EEES9_SG_JZNS1_25segmented_radix_sort_implINS0_14default_configELb0EPK12hip_bfloat16PSL_PKlPlN2at6native12_GLOBAL__N_18offset_tEEE10hipError_tPvRmT1_PNSt15iterator_traitsISZ_E10value_typeET2_T3_PNS10_IS15_E10value_typeET4_jRbjT5_S1B_jjP12ihipStream_tbEUljE_EEESW_SX_SY_S15_S19_S1B_T6_T7_T9_mT8_S1D_bDpT10_ENKUlT_T0_E_clISt17integral_constantIbLb0EES1P_IbLb1EEEEDaS1L_S1M_EUlS1L_E_NS1_11comp_targetILNS1_3genE10ELNS1_11target_archE1200ELNS1_3gpuE4ELNS1_3repE0EEENS1_30default_config_static_selectorELNS0_4arch9wavefront6targetE0EEEvSZ_.uses_flat_scratch, 0
	.set _ZN7rocprim17ROCPRIM_400000_NS6detail17trampoline_kernelINS0_13select_configILj256ELj13ELNS0_17block_load_methodE3ELS4_3ELS4_3ELNS0_20block_scan_algorithmE0ELj4294967295EEENS1_25partition_config_selectorILNS1_17partition_subalgoE3EjNS0_10empty_typeEbEEZZNS1_14partition_implILS8_3ELb0ES6_jNS0_17counting_iteratorIjlEEPS9_SE_NS0_5tupleIJPjSE_EEENSF_IJSE_SE_EEES9_SG_JZNS1_25segmented_radix_sort_implINS0_14default_configELb0EPK12hip_bfloat16PSL_PKlPlN2at6native12_GLOBAL__N_18offset_tEEE10hipError_tPvRmT1_PNSt15iterator_traitsISZ_E10value_typeET2_T3_PNS10_IS15_E10value_typeET4_jRbjT5_S1B_jjP12ihipStream_tbEUljE_EEESW_SX_SY_S15_S19_S1B_T6_T7_T9_mT8_S1D_bDpT10_ENKUlT_T0_E_clISt17integral_constantIbLb0EES1P_IbLb1EEEEDaS1L_S1M_EUlS1L_E_NS1_11comp_targetILNS1_3genE10ELNS1_11target_archE1200ELNS1_3gpuE4ELNS1_3repE0EEENS1_30default_config_static_selectorELNS0_4arch9wavefront6targetE0EEEvSZ_.has_dyn_sized_stack, 0
	.set _ZN7rocprim17ROCPRIM_400000_NS6detail17trampoline_kernelINS0_13select_configILj256ELj13ELNS0_17block_load_methodE3ELS4_3ELS4_3ELNS0_20block_scan_algorithmE0ELj4294967295EEENS1_25partition_config_selectorILNS1_17partition_subalgoE3EjNS0_10empty_typeEbEEZZNS1_14partition_implILS8_3ELb0ES6_jNS0_17counting_iteratorIjlEEPS9_SE_NS0_5tupleIJPjSE_EEENSF_IJSE_SE_EEES9_SG_JZNS1_25segmented_radix_sort_implINS0_14default_configELb0EPK12hip_bfloat16PSL_PKlPlN2at6native12_GLOBAL__N_18offset_tEEE10hipError_tPvRmT1_PNSt15iterator_traitsISZ_E10value_typeET2_T3_PNS10_IS15_E10value_typeET4_jRbjT5_S1B_jjP12ihipStream_tbEUljE_EEESW_SX_SY_S15_S19_S1B_T6_T7_T9_mT8_S1D_bDpT10_ENKUlT_T0_E_clISt17integral_constantIbLb0EES1P_IbLb1EEEEDaS1L_S1M_EUlS1L_E_NS1_11comp_targetILNS1_3genE10ELNS1_11target_archE1200ELNS1_3gpuE4ELNS1_3repE0EEENS1_30default_config_static_selectorELNS0_4arch9wavefront6targetE0EEEvSZ_.has_recursion, 0
	.set _ZN7rocprim17ROCPRIM_400000_NS6detail17trampoline_kernelINS0_13select_configILj256ELj13ELNS0_17block_load_methodE3ELS4_3ELS4_3ELNS0_20block_scan_algorithmE0ELj4294967295EEENS1_25partition_config_selectorILNS1_17partition_subalgoE3EjNS0_10empty_typeEbEEZZNS1_14partition_implILS8_3ELb0ES6_jNS0_17counting_iteratorIjlEEPS9_SE_NS0_5tupleIJPjSE_EEENSF_IJSE_SE_EEES9_SG_JZNS1_25segmented_radix_sort_implINS0_14default_configELb0EPK12hip_bfloat16PSL_PKlPlN2at6native12_GLOBAL__N_18offset_tEEE10hipError_tPvRmT1_PNSt15iterator_traitsISZ_E10value_typeET2_T3_PNS10_IS15_E10value_typeET4_jRbjT5_S1B_jjP12ihipStream_tbEUljE_EEESW_SX_SY_S15_S19_S1B_T6_T7_T9_mT8_S1D_bDpT10_ENKUlT_T0_E_clISt17integral_constantIbLb0EES1P_IbLb1EEEEDaS1L_S1M_EUlS1L_E_NS1_11comp_targetILNS1_3genE10ELNS1_11target_archE1200ELNS1_3gpuE4ELNS1_3repE0EEENS1_30default_config_static_selectorELNS0_4arch9wavefront6targetE0EEEvSZ_.has_indirect_call, 0
	.section	.AMDGPU.csdata,"",@progbits
; Kernel info:
; codeLenInByte = 0
; TotalNumSgprs: 0
; NumVgprs: 0
; ScratchSize: 0
; MemoryBound: 0
; FloatMode: 240
; IeeeMode: 1
; LDSByteSize: 0 bytes/workgroup (compile time only)
; SGPRBlocks: 0
; VGPRBlocks: 0
; NumSGPRsForWavesPerEU: 1
; NumVGPRsForWavesPerEU: 1
; NamedBarCnt: 0
; Occupancy: 16
; WaveLimiterHint : 0
; COMPUTE_PGM_RSRC2:SCRATCH_EN: 0
; COMPUTE_PGM_RSRC2:USER_SGPR: 2
; COMPUTE_PGM_RSRC2:TRAP_HANDLER: 0
; COMPUTE_PGM_RSRC2:TGID_X_EN: 1
; COMPUTE_PGM_RSRC2:TGID_Y_EN: 0
; COMPUTE_PGM_RSRC2:TGID_Z_EN: 0
; COMPUTE_PGM_RSRC2:TIDIG_COMP_CNT: 0
	.section	.text._ZN7rocprim17ROCPRIM_400000_NS6detail17trampoline_kernelINS0_13select_configILj256ELj13ELNS0_17block_load_methodE3ELS4_3ELS4_3ELNS0_20block_scan_algorithmE0ELj4294967295EEENS1_25partition_config_selectorILNS1_17partition_subalgoE3EjNS0_10empty_typeEbEEZZNS1_14partition_implILS8_3ELb0ES6_jNS0_17counting_iteratorIjlEEPS9_SE_NS0_5tupleIJPjSE_EEENSF_IJSE_SE_EEES9_SG_JZNS1_25segmented_radix_sort_implINS0_14default_configELb0EPK12hip_bfloat16PSL_PKlPlN2at6native12_GLOBAL__N_18offset_tEEE10hipError_tPvRmT1_PNSt15iterator_traitsISZ_E10value_typeET2_T3_PNS10_IS15_E10value_typeET4_jRbjT5_S1B_jjP12ihipStream_tbEUljE_EEESW_SX_SY_S15_S19_S1B_T6_T7_T9_mT8_S1D_bDpT10_ENKUlT_T0_E_clISt17integral_constantIbLb0EES1P_IbLb1EEEEDaS1L_S1M_EUlS1L_E_NS1_11comp_targetILNS1_3genE9ELNS1_11target_archE1100ELNS1_3gpuE3ELNS1_3repE0EEENS1_30default_config_static_selectorELNS0_4arch9wavefront6targetE0EEEvSZ_,"axG",@progbits,_ZN7rocprim17ROCPRIM_400000_NS6detail17trampoline_kernelINS0_13select_configILj256ELj13ELNS0_17block_load_methodE3ELS4_3ELS4_3ELNS0_20block_scan_algorithmE0ELj4294967295EEENS1_25partition_config_selectorILNS1_17partition_subalgoE3EjNS0_10empty_typeEbEEZZNS1_14partition_implILS8_3ELb0ES6_jNS0_17counting_iteratorIjlEEPS9_SE_NS0_5tupleIJPjSE_EEENSF_IJSE_SE_EEES9_SG_JZNS1_25segmented_radix_sort_implINS0_14default_configELb0EPK12hip_bfloat16PSL_PKlPlN2at6native12_GLOBAL__N_18offset_tEEE10hipError_tPvRmT1_PNSt15iterator_traitsISZ_E10value_typeET2_T3_PNS10_IS15_E10value_typeET4_jRbjT5_S1B_jjP12ihipStream_tbEUljE_EEESW_SX_SY_S15_S19_S1B_T6_T7_T9_mT8_S1D_bDpT10_ENKUlT_T0_E_clISt17integral_constantIbLb0EES1P_IbLb1EEEEDaS1L_S1M_EUlS1L_E_NS1_11comp_targetILNS1_3genE9ELNS1_11target_archE1100ELNS1_3gpuE3ELNS1_3repE0EEENS1_30default_config_static_selectorELNS0_4arch9wavefront6targetE0EEEvSZ_,comdat
	.globl	_ZN7rocprim17ROCPRIM_400000_NS6detail17trampoline_kernelINS0_13select_configILj256ELj13ELNS0_17block_load_methodE3ELS4_3ELS4_3ELNS0_20block_scan_algorithmE0ELj4294967295EEENS1_25partition_config_selectorILNS1_17partition_subalgoE3EjNS0_10empty_typeEbEEZZNS1_14partition_implILS8_3ELb0ES6_jNS0_17counting_iteratorIjlEEPS9_SE_NS0_5tupleIJPjSE_EEENSF_IJSE_SE_EEES9_SG_JZNS1_25segmented_radix_sort_implINS0_14default_configELb0EPK12hip_bfloat16PSL_PKlPlN2at6native12_GLOBAL__N_18offset_tEEE10hipError_tPvRmT1_PNSt15iterator_traitsISZ_E10value_typeET2_T3_PNS10_IS15_E10value_typeET4_jRbjT5_S1B_jjP12ihipStream_tbEUljE_EEESW_SX_SY_S15_S19_S1B_T6_T7_T9_mT8_S1D_bDpT10_ENKUlT_T0_E_clISt17integral_constantIbLb0EES1P_IbLb1EEEEDaS1L_S1M_EUlS1L_E_NS1_11comp_targetILNS1_3genE9ELNS1_11target_archE1100ELNS1_3gpuE3ELNS1_3repE0EEENS1_30default_config_static_selectorELNS0_4arch9wavefront6targetE0EEEvSZ_ ; -- Begin function _ZN7rocprim17ROCPRIM_400000_NS6detail17trampoline_kernelINS0_13select_configILj256ELj13ELNS0_17block_load_methodE3ELS4_3ELS4_3ELNS0_20block_scan_algorithmE0ELj4294967295EEENS1_25partition_config_selectorILNS1_17partition_subalgoE3EjNS0_10empty_typeEbEEZZNS1_14partition_implILS8_3ELb0ES6_jNS0_17counting_iteratorIjlEEPS9_SE_NS0_5tupleIJPjSE_EEENSF_IJSE_SE_EEES9_SG_JZNS1_25segmented_radix_sort_implINS0_14default_configELb0EPK12hip_bfloat16PSL_PKlPlN2at6native12_GLOBAL__N_18offset_tEEE10hipError_tPvRmT1_PNSt15iterator_traitsISZ_E10value_typeET2_T3_PNS10_IS15_E10value_typeET4_jRbjT5_S1B_jjP12ihipStream_tbEUljE_EEESW_SX_SY_S15_S19_S1B_T6_T7_T9_mT8_S1D_bDpT10_ENKUlT_T0_E_clISt17integral_constantIbLb0EES1P_IbLb1EEEEDaS1L_S1M_EUlS1L_E_NS1_11comp_targetILNS1_3genE9ELNS1_11target_archE1100ELNS1_3gpuE3ELNS1_3repE0EEENS1_30default_config_static_selectorELNS0_4arch9wavefront6targetE0EEEvSZ_
	.p2align	8
	.type	_ZN7rocprim17ROCPRIM_400000_NS6detail17trampoline_kernelINS0_13select_configILj256ELj13ELNS0_17block_load_methodE3ELS4_3ELS4_3ELNS0_20block_scan_algorithmE0ELj4294967295EEENS1_25partition_config_selectorILNS1_17partition_subalgoE3EjNS0_10empty_typeEbEEZZNS1_14partition_implILS8_3ELb0ES6_jNS0_17counting_iteratorIjlEEPS9_SE_NS0_5tupleIJPjSE_EEENSF_IJSE_SE_EEES9_SG_JZNS1_25segmented_radix_sort_implINS0_14default_configELb0EPK12hip_bfloat16PSL_PKlPlN2at6native12_GLOBAL__N_18offset_tEEE10hipError_tPvRmT1_PNSt15iterator_traitsISZ_E10value_typeET2_T3_PNS10_IS15_E10value_typeET4_jRbjT5_S1B_jjP12ihipStream_tbEUljE_EEESW_SX_SY_S15_S19_S1B_T6_T7_T9_mT8_S1D_bDpT10_ENKUlT_T0_E_clISt17integral_constantIbLb0EES1P_IbLb1EEEEDaS1L_S1M_EUlS1L_E_NS1_11comp_targetILNS1_3genE9ELNS1_11target_archE1100ELNS1_3gpuE3ELNS1_3repE0EEENS1_30default_config_static_selectorELNS0_4arch9wavefront6targetE0EEEvSZ_,@function
_ZN7rocprim17ROCPRIM_400000_NS6detail17trampoline_kernelINS0_13select_configILj256ELj13ELNS0_17block_load_methodE3ELS4_3ELS4_3ELNS0_20block_scan_algorithmE0ELj4294967295EEENS1_25partition_config_selectorILNS1_17partition_subalgoE3EjNS0_10empty_typeEbEEZZNS1_14partition_implILS8_3ELb0ES6_jNS0_17counting_iteratorIjlEEPS9_SE_NS0_5tupleIJPjSE_EEENSF_IJSE_SE_EEES9_SG_JZNS1_25segmented_radix_sort_implINS0_14default_configELb0EPK12hip_bfloat16PSL_PKlPlN2at6native12_GLOBAL__N_18offset_tEEE10hipError_tPvRmT1_PNSt15iterator_traitsISZ_E10value_typeET2_T3_PNS10_IS15_E10value_typeET4_jRbjT5_S1B_jjP12ihipStream_tbEUljE_EEESW_SX_SY_S15_S19_S1B_T6_T7_T9_mT8_S1D_bDpT10_ENKUlT_T0_E_clISt17integral_constantIbLb0EES1P_IbLb1EEEEDaS1L_S1M_EUlS1L_E_NS1_11comp_targetILNS1_3genE9ELNS1_11target_archE1100ELNS1_3gpuE3ELNS1_3repE0EEENS1_30default_config_static_selectorELNS0_4arch9wavefront6targetE0EEEvSZ_: ; @_ZN7rocprim17ROCPRIM_400000_NS6detail17trampoline_kernelINS0_13select_configILj256ELj13ELNS0_17block_load_methodE3ELS4_3ELS4_3ELNS0_20block_scan_algorithmE0ELj4294967295EEENS1_25partition_config_selectorILNS1_17partition_subalgoE3EjNS0_10empty_typeEbEEZZNS1_14partition_implILS8_3ELb0ES6_jNS0_17counting_iteratorIjlEEPS9_SE_NS0_5tupleIJPjSE_EEENSF_IJSE_SE_EEES9_SG_JZNS1_25segmented_radix_sort_implINS0_14default_configELb0EPK12hip_bfloat16PSL_PKlPlN2at6native12_GLOBAL__N_18offset_tEEE10hipError_tPvRmT1_PNSt15iterator_traitsISZ_E10value_typeET2_T3_PNS10_IS15_E10value_typeET4_jRbjT5_S1B_jjP12ihipStream_tbEUljE_EEESW_SX_SY_S15_S19_S1B_T6_T7_T9_mT8_S1D_bDpT10_ENKUlT_T0_E_clISt17integral_constantIbLb0EES1P_IbLb1EEEEDaS1L_S1M_EUlS1L_E_NS1_11comp_targetILNS1_3genE9ELNS1_11target_archE1100ELNS1_3gpuE3ELNS1_3repE0EEENS1_30default_config_static_selectorELNS0_4arch9wavefront6targetE0EEEvSZ_
; %bb.0:
	.section	.rodata,"a",@progbits
	.p2align	6, 0x0
	.amdhsa_kernel _ZN7rocprim17ROCPRIM_400000_NS6detail17trampoline_kernelINS0_13select_configILj256ELj13ELNS0_17block_load_methodE3ELS4_3ELS4_3ELNS0_20block_scan_algorithmE0ELj4294967295EEENS1_25partition_config_selectorILNS1_17partition_subalgoE3EjNS0_10empty_typeEbEEZZNS1_14partition_implILS8_3ELb0ES6_jNS0_17counting_iteratorIjlEEPS9_SE_NS0_5tupleIJPjSE_EEENSF_IJSE_SE_EEES9_SG_JZNS1_25segmented_radix_sort_implINS0_14default_configELb0EPK12hip_bfloat16PSL_PKlPlN2at6native12_GLOBAL__N_18offset_tEEE10hipError_tPvRmT1_PNSt15iterator_traitsISZ_E10value_typeET2_T3_PNS10_IS15_E10value_typeET4_jRbjT5_S1B_jjP12ihipStream_tbEUljE_EEESW_SX_SY_S15_S19_S1B_T6_T7_T9_mT8_S1D_bDpT10_ENKUlT_T0_E_clISt17integral_constantIbLb0EES1P_IbLb1EEEEDaS1L_S1M_EUlS1L_E_NS1_11comp_targetILNS1_3genE9ELNS1_11target_archE1100ELNS1_3gpuE3ELNS1_3repE0EEENS1_30default_config_static_selectorELNS0_4arch9wavefront6targetE0EEEvSZ_
		.amdhsa_group_segment_fixed_size 0
		.amdhsa_private_segment_fixed_size 0
		.amdhsa_kernarg_size 152
		.amdhsa_user_sgpr_count 2
		.amdhsa_user_sgpr_dispatch_ptr 0
		.amdhsa_user_sgpr_queue_ptr 0
		.amdhsa_user_sgpr_kernarg_segment_ptr 1
		.amdhsa_user_sgpr_dispatch_id 0
		.amdhsa_user_sgpr_kernarg_preload_length 0
		.amdhsa_user_sgpr_kernarg_preload_offset 0
		.amdhsa_user_sgpr_private_segment_size 0
		.amdhsa_wavefront_size32 1
		.amdhsa_uses_dynamic_stack 0
		.amdhsa_enable_private_segment 0
		.amdhsa_system_sgpr_workgroup_id_x 1
		.amdhsa_system_sgpr_workgroup_id_y 0
		.amdhsa_system_sgpr_workgroup_id_z 0
		.amdhsa_system_sgpr_workgroup_info 0
		.amdhsa_system_vgpr_workitem_id 0
		.amdhsa_next_free_vgpr 1
		.amdhsa_next_free_sgpr 1
		.amdhsa_named_barrier_count 0
		.amdhsa_reserve_vcc 0
		.amdhsa_float_round_mode_32 0
		.amdhsa_float_round_mode_16_64 0
		.amdhsa_float_denorm_mode_32 3
		.amdhsa_float_denorm_mode_16_64 3
		.amdhsa_fp16_overflow 0
		.amdhsa_memory_ordered 1
		.amdhsa_forward_progress 1
		.amdhsa_inst_pref_size 0
		.amdhsa_round_robin_scheduling 0
		.amdhsa_exception_fp_ieee_invalid_op 0
		.amdhsa_exception_fp_denorm_src 0
		.amdhsa_exception_fp_ieee_div_zero 0
		.amdhsa_exception_fp_ieee_overflow 0
		.amdhsa_exception_fp_ieee_underflow 0
		.amdhsa_exception_fp_ieee_inexact 0
		.amdhsa_exception_int_div_zero 0
	.end_amdhsa_kernel
	.section	.text._ZN7rocprim17ROCPRIM_400000_NS6detail17trampoline_kernelINS0_13select_configILj256ELj13ELNS0_17block_load_methodE3ELS4_3ELS4_3ELNS0_20block_scan_algorithmE0ELj4294967295EEENS1_25partition_config_selectorILNS1_17partition_subalgoE3EjNS0_10empty_typeEbEEZZNS1_14partition_implILS8_3ELb0ES6_jNS0_17counting_iteratorIjlEEPS9_SE_NS0_5tupleIJPjSE_EEENSF_IJSE_SE_EEES9_SG_JZNS1_25segmented_radix_sort_implINS0_14default_configELb0EPK12hip_bfloat16PSL_PKlPlN2at6native12_GLOBAL__N_18offset_tEEE10hipError_tPvRmT1_PNSt15iterator_traitsISZ_E10value_typeET2_T3_PNS10_IS15_E10value_typeET4_jRbjT5_S1B_jjP12ihipStream_tbEUljE_EEESW_SX_SY_S15_S19_S1B_T6_T7_T9_mT8_S1D_bDpT10_ENKUlT_T0_E_clISt17integral_constantIbLb0EES1P_IbLb1EEEEDaS1L_S1M_EUlS1L_E_NS1_11comp_targetILNS1_3genE9ELNS1_11target_archE1100ELNS1_3gpuE3ELNS1_3repE0EEENS1_30default_config_static_selectorELNS0_4arch9wavefront6targetE0EEEvSZ_,"axG",@progbits,_ZN7rocprim17ROCPRIM_400000_NS6detail17trampoline_kernelINS0_13select_configILj256ELj13ELNS0_17block_load_methodE3ELS4_3ELS4_3ELNS0_20block_scan_algorithmE0ELj4294967295EEENS1_25partition_config_selectorILNS1_17partition_subalgoE3EjNS0_10empty_typeEbEEZZNS1_14partition_implILS8_3ELb0ES6_jNS0_17counting_iteratorIjlEEPS9_SE_NS0_5tupleIJPjSE_EEENSF_IJSE_SE_EEES9_SG_JZNS1_25segmented_radix_sort_implINS0_14default_configELb0EPK12hip_bfloat16PSL_PKlPlN2at6native12_GLOBAL__N_18offset_tEEE10hipError_tPvRmT1_PNSt15iterator_traitsISZ_E10value_typeET2_T3_PNS10_IS15_E10value_typeET4_jRbjT5_S1B_jjP12ihipStream_tbEUljE_EEESW_SX_SY_S15_S19_S1B_T6_T7_T9_mT8_S1D_bDpT10_ENKUlT_T0_E_clISt17integral_constantIbLb0EES1P_IbLb1EEEEDaS1L_S1M_EUlS1L_E_NS1_11comp_targetILNS1_3genE9ELNS1_11target_archE1100ELNS1_3gpuE3ELNS1_3repE0EEENS1_30default_config_static_selectorELNS0_4arch9wavefront6targetE0EEEvSZ_,comdat
.Lfunc_end2037:
	.size	_ZN7rocprim17ROCPRIM_400000_NS6detail17trampoline_kernelINS0_13select_configILj256ELj13ELNS0_17block_load_methodE3ELS4_3ELS4_3ELNS0_20block_scan_algorithmE0ELj4294967295EEENS1_25partition_config_selectorILNS1_17partition_subalgoE3EjNS0_10empty_typeEbEEZZNS1_14partition_implILS8_3ELb0ES6_jNS0_17counting_iteratorIjlEEPS9_SE_NS0_5tupleIJPjSE_EEENSF_IJSE_SE_EEES9_SG_JZNS1_25segmented_radix_sort_implINS0_14default_configELb0EPK12hip_bfloat16PSL_PKlPlN2at6native12_GLOBAL__N_18offset_tEEE10hipError_tPvRmT1_PNSt15iterator_traitsISZ_E10value_typeET2_T3_PNS10_IS15_E10value_typeET4_jRbjT5_S1B_jjP12ihipStream_tbEUljE_EEESW_SX_SY_S15_S19_S1B_T6_T7_T9_mT8_S1D_bDpT10_ENKUlT_T0_E_clISt17integral_constantIbLb0EES1P_IbLb1EEEEDaS1L_S1M_EUlS1L_E_NS1_11comp_targetILNS1_3genE9ELNS1_11target_archE1100ELNS1_3gpuE3ELNS1_3repE0EEENS1_30default_config_static_selectorELNS0_4arch9wavefront6targetE0EEEvSZ_, .Lfunc_end2037-_ZN7rocprim17ROCPRIM_400000_NS6detail17trampoline_kernelINS0_13select_configILj256ELj13ELNS0_17block_load_methodE3ELS4_3ELS4_3ELNS0_20block_scan_algorithmE0ELj4294967295EEENS1_25partition_config_selectorILNS1_17partition_subalgoE3EjNS0_10empty_typeEbEEZZNS1_14partition_implILS8_3ELb0ES6_jNS0_17counting_iteratorIjlEEPS9_SE_NS0_5tupleIJPjSE_EEENSF_IJSE_SE_EEES9_SG_JZNS1_25segmented_radix_sort_implINS0_14default_configELb0EPK12hip_bfloat16PSL_PKlPlN2at6native12_GLOBAL__N_18offset_tEEE10hipError_tPvRmT1_PNSt15iterator_traitsISZ_E10value_typeET2_T3_PNS10_IS15_E10value_typeET4_jRbjT5_S1B_jjP12ihipStream_tbEUljE_EEESW_SX_SY_S15_S19_S1B_T6_T7_T9_mT8_S1D_bDpT10_ENKUlT_T0_E_clISt17integral_constantIbLb0EES1P_IbLb1EEEEDaS1L_S1M_EUlS1L_E_NS1_11comp_targetILNS1_3genE9ELNS1_11target_archE1100ELNS1_3gpuE3ELNS1_3repE0EEENS1_30default_config_static_selectorELNS0_4arch9wavefront6targetE0EEEvSZ_
                                        ; -- End function
	.set _ZN7rocprim17ROCPRIM_400000_NS6detail17trampoline_kernelINS0_13select_configILj256ELj13ELNS0_17block_load_methodE3ELS4_3ELS4_3ELNS0_20block_scan_algorithmE0ELj4294967295EEENS1_25partition_config_selectorILNS1_17partition_subalgoE3EjNS0_10empty_typeEbEEZZNS1_14partition_implILS8_3ELb0ES6_jNS0_17counting_iteratorIjlEEPS9_SE_NS0_5tupleIJPjSE_EEENSF_IJSE_SE_EEES9_SG_JZNS1_25segmented_radix_sort_implINS0_14default_configELb0EPK12hip_bfloat16PSL_PKlPlN2at6native12_GLOBAL__N_18offset_tEEE10hipError_tPvRmT1_PNSt15iterator_traitsISZ_E10value_typeET2_T3_PNS10_IS15_E10value_typeET4_jRbjT5_S1B_jjP12ihipStream_tbEUljE_EEESW_SX_SY_S15_S19_S1B_T6_T7_T9_mT8_S1D_bDpT10_ENKUlT_T0_E_clISt17integral_constantIbLb0EES1P_IbLb1EEEEDaS1L_S1M_EUlS1L_E_NS1_11comp_targetILNS1_3genE9ELNS1_11target_archE1100ELNS1_3gpuE3ELNS1_3repE0EEENS1_30default_config_static_selectorELNS0_4arch9wavefront6targetE0EEEvSZ_.num_vgpr, 0
	.set _ZN7rocprim17ROCPRIM_400000_NS6detail17trampoline_kernelINS0_13select_configILj256ELj13ELNS0_17block_load_methodE3ELS4_3ELS4_3ELNS0_20block_scan_algorithmE0ELj4294967295EEENS1_25partition_config_selectorILNS1_17partition_subalgoE3EjNS0_10empty_typeEbEEZZNS1_14partition_implILS8_3ELb0ES6_jNS0_17counting_iteratorIjlEEPS9_SE_NS0_5tupleIJPjSE_EEENSF_IJSE_SE_EEES9_SG_JZNS1_25segmented_radix_sort_implINS0_14default_configELb0EPK12hip_bfloat16PSL_PKlPlN2at6native12_GLOBAL__N_18offset_tEEE10hipError_tPvRmT1_PNSt15iterator_traitsISZ_E10value_typeET2_T3_PNS10_IS15_E10value_typeET4_jRbjT5_S1B_jjP12ihipStream_tbEUljE_EEESW_SX_SY_S15_S19_S1B_T6_T7_T9_mT8_S1D_bDpT10_ENKUlT_T0_E_clISt17integral_constantIbLb0EES1P_IbLb1EEEEDaS1L_S1M_EUlS1L_E_NS1_11comp_targetILNS1_3genE9ELNS1_11target_archE1100ELNS1_3gpuE3ELNS1_3repE0EEENS1_30default_config_static_selectorELNS0_4arch9wavefront6targetE0EEEvSZ_.num_agpr, 0
	.set _ZN7rocprim17ROCPRIM_400000_NS6detail17trampoline_kernelINS0_13select_configILj256ELj13ELNS0_17block_load_methodE3ELS4_3ELS4_3ELNS0_20block_scan_algorithmE0ELj4294967295EEENS1_25partition_config_selectorILNS1_17partition_subalgoE3EjNS0_10empty_typeEbEEZZNS1_14partition_implILS8_3ELb0ES6_jNS0_17counting_iteratorIjlEEPS9_SE_NS0_5tupleIJPjSE_EEENSF_IJSE_SE_EEES9_SG_JZNS1_25segmented_radix_sort_implINS0_14default_configELb0EPK12hip_bfloat16PSL_PKlPlN2at6native12_GLOBAL__N_18offset_tEEE10hipError_tPvRmT1_PNSt15iterator_traitsISZ_E10value_typeET2_T3_PNS10_IS15_E10value_typeET4_jRbjT5_S1B_jjP12ihipStream_tbEUljE_EEESW_SX_SY_S15_S19_S1B_T6_T7_T9_mT8_S1D_bDpT10_ENKUlT_T0_E_clISt17integral_constantIbLb0EES1P_IbLb1EEEEDaS1L_S1M_EUlS1L_E_NS1_11comp_targetILNS1_3genE9ELNS1_11target_archE1100ELNS1_3gpuE3ELNS1_3repE0EEENS1_30default_config_static_selectorELNS0_4arch9wavefront6targetE0EEEvSZ_.numbered_sgpr, 0
	.set _ZN7rocprim17ROCPRIM_400000_NS6detail17trampoline_kernelINS0_13select_configILj256ELj13ELNS0_17block_load_methodE3ELS4_3ELS4_3ELNS0_20block_scan_algorithmE0ELj4294967295EEENS1_25partition_config_selectorILNS1_17partition_subalgoE3EjNS0_10empty_typeEbEEZZNS1_14partition_implILS8_3ELb0ES6_jNS0_17counting_iteratorIjlEEPS9_SE_NS0_5tupleIJPjSE_EEENSF_IJSE_SE_EEES9_SG_JZNS1_25segmented_radix_sort_implINS0_14default_configELb0EPK12hip_bfloat16PSL_PKlPlN2at6native12_GLOBAL__N_18offset_tEEE10hipError_tPvRmT1_PNSt15iterator_traitsISZ_E10value_typeET2_T3_PNS10_IS15_E10value_typeET4_jRbjT5_S1B_jjP12ihipStream_tbEUljE_EEESW_SX_SY_S15_S19_S1B_T6_T7_T9_mT8_S1D_bDpT10_ENKUlT_T0_E_clISt17integral_constantIbLb0EES1P_IbLb1EEEEDaS1L_S1M_EUlS1L_E_NS1_11comp_targetILNS1_3genE9ELNS1_11target_archE1100ELNS1_3gpuE3ELNS1_3repE0EEENS1_30default_config_static_selectorELNS0_4arch9wavefront6targetE0EEEvSZ_.num_named_barrier, 0
	.set _ZN7rocprim17ROCPRIM_400000_NS6detail17trampoline_kernelINS0_13select_configILj256ELj13ELNS0_17block_load_methodE3ELS4_3ELS4_3ELNS0_20block_scan_algorithmE0ELj4294967295EEENS1_25partition_config_selectorILNS1_17partition_subalgoE3EjNS0_10empty_typeEbEEZZNS1_14partition_implILS8_3ELb0ES6_jNS0_17counting_iteratorIjlEEPS9_SE_NS0_5tupleIJPjSE_EEENSF_IJSE_SE_EEES9_SG_JZNS1_25segmented_radix_sort_implINS0_14default_configELb0EPK12hip_bfloat16PSL_PKlPlN2at6native12_GLOBAL__N_18offset_tEEE10hipError_tPvRmT1_PNSt15iterator_traitsISZ_E10value_typeET2_T3_PNS10_IS15_E10value_typeET4_jRbjT5_S1B_jjP12ihipStream_tbEUljE_EEESW_SX_SY_S15_S19_S1B_T6_T7_T9_mT8_S1D_bDpT10_ENKUlT_T0_E_clISt17integral_constantIbLb0EES1P_IbLb1EEEEDaS1L_S1M_EUlS1L_E_NS1_11comp_targetILNS1_3genE9ELNS1_11target_archE1100ELNS1_3gpuE3ELNS1_3repE0EEENS1_30default_config_static_selectorELNS0_4arch9wavefront6targetE0EEEvSZ_.private_seg_size, 0
	.set _ZN7rocprim17ROCPRIM_400000_NS6detail17trampoline_kernelINS0_13select_configILj256ELj13ELNS0_17block_load_methodE3ELS4_3ELS4_3ELNS0_20block_scan_algorithmE0ELj4294967295EEENS1_25partition_config_selectorILNS1_17partition_subalgoE3EjNS0_10empty_typeEbEEZZNS1_14partition_implILS8_3ELb0ES6_jNS0_17counting_iteratorIjlEEPS9_SE_NS0_5tupleIJPjSE_EEENSF_IJSE_SE_EEES9_SG_JZNS1_25segmented_radix_sort_implINS0_14default_configELb0EPK12hip_bfloat16PSL_PKlPlN2at6native12_GLOBAL__N_18offset_tEEE10hipError_tPvRmT1_PNSt15iterator_traitsISZ_E10value_typeET2_T3_PNS10_IS15_E10value_typeET4_jRbjT5_S1B_jjP12ihipStream_tbEUljE_EEESW_SX_SY_S15_S19_S1B_T6_T7_T9_mT8_S1D_bDpT10_ENKUlT_T0_E_clISt17integral_constantIbLb0EES1P_IbLb1EEEEDaS1L_S1M_EUlS1L_E_NS1_11comp_targetILNS1_3genE9ELNS1_11target_archE1100ELNS1_3gpuE3ELNS1_3repE0EEENS1_30default_config_static_selectorELNS0_4arch9wavefront6targetE0EEEvSZ_.uses_vcc, 0
	.set _ZN7rocprim17ROCPRIM_400000_NS6detail17trampoline_kernelINS0_13select_configILj256ELj13ELNS0_17block_load_methodE3ELS4_3ELS4_3ELNS0_20block_scan_algorithmE0ELj4294967295EEENS1_25partition_config_selectorILNS1_17partition_subalgoE3EjNS0_10empty_typeEbEEZZNS1_14partition_implILS8_3ELb0ES6_jNS0_17counting_iteratorIjlEEPS9_SE_NS0_5tupleIJPjSE_EEENSF_IJSE_SE_EEES9_SG_JZNS1_25segmented_radix_sort_implINS0_14default_configELb0EPK12hip_bfloat16PSL_PKlPlN2at6native12_GLOBAL__N_18offset_tEEE10hipError_tPvRmT1_PNSt15iterator_traitsISZ_E10value_typeET2_T3_PNS10_IS15_E10value_typeET4_jRbjT5_S1B_jjP12ihipStream_tbEUljE_EEESW_SX_SY_S15_S19_S1B_T6_T7_T9_mT8_S1D_bDpT10_ENKUlT_T0_E_clISt17integral_constantIbLb0EES1P_IbLb1EEEEDaS1L_S1M_EUlS1L_E_NS1_11comp_targetILNS1_3genE9ELNS1_11target_archE1100ELNS1_3gpuE3ELNS1_3repE0EEENS1_30default_config_static_selectorELNS0_4arch9wavefront6targetE0EEEvSZ_.uses_flat_scratch, 0
	.set _ZN7rocprim17ROCPRIM_400000_NS6detail17trampoline_kernelINS0_13select_configILj256ELj13ELNS0_17block_load_methodE3ELS4_3ELS4_3ELNS0_20block_scan_algorithmE0ELj4294967295EEENS1_25partition_config_selectorILNS1_17partition_subalgoE3EjNS0_10empty_typeEbEEZZNS1_14partition_implILS8_3ELb0ES6_jNS0_17counting_iteratorIjlEEPS9_SE_NS0_5tupleIJPjSE_EEENSF_IJSE_SE_EEES9_SG_JZNS1_25segmented_radix_sort_implINS0_14default_configELb0EPK12hip_bfloat16PSL_PKlPlN2at6native12_GLOBAL__N_18offset_tEEE10hipError_tPvRmT1_PNSt15iterator_traitsISZ_E10value_typeET2_T3_PNS10_IS15_E10value_typeET4_jRbjT5_S1B_jjP12ihipStream_tbEUljE_EEESW_SX_SY_S15_S19_S1B_T6_T7_T9_mT8_S1D_bDpT10_ENKUlT_T0_E_clISt17integral_constantIbLb0EES1P_IbLb1EEEEDaS1L_S1M_EUlS1L_E_NS1_11comp_targetILNS1_3genE9ELNS1_11target_archE1100ELNS1_3gpuE3ELNS1_3repE0EEENS1_30default_config_static_selectorELNS0_4arch9wavefront6targetE0EEEvSZ_.has_dyn_sized_stack, 0
	.set _ZN7rocprim17ROCPRIM_400000_NS6detail17trampoline_kernelINS0_13select_configILj256ELj13ELNS0_17block_load_methodE3ELS4_3ELS4_3ELNS0_20block_scan_algorithmE0ELj4294967295EEENS1_25partition_config_selectorILNS1_17partition_subalgoE3EjNS0_10empty_typeEbEEZZNS1_14partition_implILS8_3ELb0ES6_jNS0_17counting_iteratorIjlEEPS9_SE_NS0_5tupleIJPjSE_EEENSF_IJSE_SE_EEES9_SG_JZNS1_25segmented_radix_sort_implINS0_14default_configELb0EPK12hip_bfloat16PSL_PKlPlN2at6native12_GLOBAL__N_18offset_tEEE10hipError_tPvRmT1_PNSt15iterator_traitsISZ_E10value_typeET2_T3_PNS10_IS15_E10value_typeET4_jRbjT5_S1B_jjP12ihipStream_tbEUljE_EEESW_SX_SY_S15_S19_S1B_T6_T7_T9_mT8_S1D_bDpT10_ENKUlT_T0_E_clISt17integral_constantIbLb0EES1P_IbLb1EEEEDaS1L_S1M_EUlS1L_E_NS1_11comp_targetILNS1_3genE9ELNS1_11target_archE1100ELNS1_3gpuE3ELNS1_3repE0EEENS1_30default_config_static_selectorELNS0_4arch9wavefront6targetE0EEEvSZ_.has_recursion, 0
	.set _ZN7rocprim17ROCPRIM_400000_NS6detail17trampoline_kernelINS0_13select_configILj256ELj13ELNS0_17block_load_methodE3ELS4_3ELS4_3ELNS0_20block_scan_algorithmE0ELj4294967295EEENS1_25partition_config_selectorILNS1_17partition_subalgoE3EjNS0_10empty_typeEbEEZZNS1_14partition_implILS8_3ELb0ES6_jNS0_17counting_iteratorIjlEEPS9_SE_NS0_5tupleIJPjSE_EEENSF_IJSE_SE_EEES9_SG_JZNS1_25segmented_radix_sort_implINS0_14default_configELb0EPK12hip_bfloat16PSL_PKlPlN2at6native12_GLOBAL__N_18offset_tEEE10hipError_tPvRmT1_PNSt15iterator_traitsISZ_E10value_typeET2_T3_PNS10_IS15_E10value_typeET4_jRbjT5_S1B_jjP12ihipStream_tbEUljE_EEESW_SX_SY_S15_S19_S1B_T6_T7_T9_mT8_S1D_bDpT10_ENKUlT_T0_E_clISt17integral_constantIbLb0EES1P_IbLb1EEEEDaS1L_S1M_EUlS1L_E_NS1_11comp_targetILNS1_3genE9ELNS1_11target_archE1100ELNS1_3gpuE3ELNS1_3repE0EEENS1_30default_config_static_selectorELNS0_4arch9wavefront6targetE0EEEvSZ_.has_indirect_call, 0
	.section	.AMDGPU.csdata,"",@progbits
; Kernel info:
; codeLenInByte = 0
; TotalNumSgprs: 0
; NumVgprs: 0
; ScratchSize: 0
; MemoryBound: 0
; FloatMode: 240
; IeeeMode: 1
; LDSByteSize: 0 bytes/workgroup (compile time only)
; SGPRBlocks: 0
; VGPRBlocks: 0
; NumSGPRsForWavesPerEU: 1
; NumVGPRsForWavesPerEU: 1
; NamedBarCnt: 0
; Occupancy: 16
; WaveLimiterHint : 0
; COMPUTE_PGM_RSRC2:SCRATCH_EN: 0
; COMPUTE_PGM_RSRC2:USER_SGPR: 2
; COMPUTE_PGM_RSRC2:TRAP_HANDLER: 0
; COMPUTE_PGM_RSRC2:TGID_X_EN: 1
; COMPUTE_PGM_RSRC2:TGID_Y_EN: 0
; COMPUTE_PGM_RSRC2:TGID_Z_EN: 0
; COMPUTE_PGM_RSRC2:TIDIG_COMP_CNT: 0
	.section	.text._ZN7rocprim17ROCPRIM_400000_NS6detail17trampoline_kernelINS0_13select_configILj256ELj13ELNS0_17block_load_methodE3ELS4_3ELS4_3ELNS0_20block_scan_algorithmE0ELj4294967295EEENS1_25partition_config_selectorILNS1_17partition_subalgoE3EjNS0_10empty_typeEbEEZZNS1_14partition_implILS8_3ELb0ES6_jNS0_17counting_iteratorIjlEEPS9_SE_NS0_5tupleIJPjSE_EEENSF_IJSE_SE_EEES9_SG_JZNS1_25segmented_radix_sort_implINS0_14default_configELb0EPK12hip_bfloat16PSL_PKlPlN2at6native12_GLOBAL__N_18offset_tEEE10hipError_tPvRmT1_PNSt15iterator_traitsISZ_E10value_typeET2_T3_PNS10_IS15_E10value_typeET4_jRbjT5_S1B_jjP12ihipStream_tbEUljE_EEESW_SX_SY_S15_S19_S1B_T6_T7_T9_mT8_S1D_bDpT10_ENKUlT_T0_E_clISt17integral_constantIbLb0EES1P_IbLb1EEEEDaS1L_S1M_EUlS1L_E_NS1_11comp_targetILNS1_3genE8ELNS1_11target_archE1030ELNS1_3gpuE2ELNS1_3repE0EEENS1_30default_config_static_selectorELNS0_4arch9wavefront6targetE0EEEvSZ_,"axG",@progbits,_ZN7rocprim17ROCPRIM_400000_NS6detail17trampoline_kernelINS0_13select_configILj256ELj13ELNS0_17block_load_methodE3ELS4_3ELS4_3ELNS0_20block_scan_algorithmE0ELj4294967295EEENS1_25partition_config_selectorILNS1_17partition_subalgoE3EjNS0_10empty_typeEbEEZZNS1_14partition_implILS8_3ELb0ES6_jNS0_17counting_iteratorIjlEEPS9_SE_NS0_5tupleIJPjSE_EEENSF_IJSE_SE_EEES9_SG_JZNS1_25segmented_radix_sort_implINS0_14default_configELb0EPK12hip_bfloat16PSL_PKlPlN2at6native12_GLOBAL__N_18offset_tEEE10hipError_tPvRmT1_PNSt15iterator_traitsISZ_E10value_typeET2_T3_PNS10_IS15_E10value_typeET4_jRbjT5_S1B_jjP12ihipStream_tbEUljE_EEESW_SX_SY_S15_S19_S1B_T6_T7_T9_mT8_S1D_bDpT10_ENKUlT_T0_E_clISt17integral_constantIbLb0EES1P_IbLb1EEEEDaS1L_S1M_EUlS1L_E_NS1_11comp_targetILNS1_3genE8ELNS1_11target_archE1030ELNS1_3gpuE2ELNS1_3repE0EEENS1_30default_config_static_selectorELNS0_4arch9wavefront6targetE0EEEvSZ_,comdat
	.globl	_ZN7rocprim17ROCPRIM_400000_NS6detail17trampoline_kernelINS0_13select_configILj256ELj13ELNS0_17block_load_methodE3ELS4_3ELS4_3ELNS0_20block_scan_algorithmE0ELj4294967295EEENS1_25partition_config_selectorILNS1_17partition_subalgoE3EjNS0_10empty_typeEbEEZZNS1_14partition_implILS8_3ELb0ES6_jNS0_17counting_iteratorIjlEEPS9_SE_NS0_5tupleIJPjSE_EEENSF_IJSE_SE_EEES9_SG_JZNS1_25segmented_radix_sort_implINS0_14default_configELb0EPK12hip_bfloat16PSL_PKlPlN2at6native12_GLOBAL__N_18offset_tEEE10hipError_tPvRmT1_PNSt15iterator_traitsISZ_E10value_typeET2_T3_PNS10_IS15_E10value_typeET4_jRbjT5_S1B_jjP12ihipStream_tbEUljE_EEESW_SX_SY_S15_S19_S1B_T6_T7_T9_mT8_S1D_bDpT10_ENKUlT_T0_E_clISt17integral_constantIbLb0EES1P_IbLb1EEEEDaS1L_S1M_EUlS1L_E_NS1_11comp_targetILNS1_3genE8ELNS1_11target_archE1030ELNS1_3gpuE2ELNS1_3repE0EEENS1_30default_config_static_selectorELNS0_4arch9wavefront6targetE0EEEvSZ_ ; -- Begin function _ZN7rocprim17ROCPRIM_400000_NS6detail17trampoline_kernelINS0_13select_configILj256ELj13ELNS0_17block_load_methodE3ELS4_3ELS4_3ELNS0_20block_scan_algorithmE0ELj4294967295EEENS1_25partition_config_selectorILNS1_17partition_subalgoE3EjNS0_10empty_typeEbEEZZNS1_14partition_implILS8_3ELb0ES6_jNS0_17counting_iteratorIjlEEPS9_SE_NS0_5tupleIJPjSE_EEENSF_IJSE_SE_EEES9_SG_JZNS1_25segmented_radix_sort_implINS0_14default_configELb0EPK12hip_bfloat16PSL_PKlPlN2at6native12_GLOBAL__N_18offset_tEEE10hipError_tPvRmT1_PNSt15iterator_traitsISZ_E10value_typeET2_T3_PNS10_IS15_E10value_typeET4_jRbjT5_S1B_jjP12ihipStream_tbEUljE_EEESW_SX_SY_S15_S19_S1B_T6_T7_T9_mT8_S1D_bDpT10_ENKUlT_T0_E_clISt17integral_constantIbLb0EES1P_IbLb1EEEEDaS1L_S1M_EUlS1L_E_NS1_11comp_targetILNS1_3genE8ELNS1_11target_archE1030ELNS1_3gpuE2ELNS1_3repE0EEENS1_30default_config_static_selectorELNS0_4arch9wavefront6targetE0EEEvSZ_
	.p2align	8
	.type	_ZN7rocprim17ROCPRIM_400000_NS6detail17trampoline_kernelINS0_13select_configILj256ELj13ELNS0_17block_load_methodE3ELS4_3ELS4_3ELNS0_20block_scan_algorithmE0ELj4294967295EEENS1_25partition_config_selectorILNS1_17partition_subalgoE3EjNS0_10empty_typeEbEEZZNS1_14partition_implILS8_3ELb0ES6_jNS0_17counting_iteratorIjlEEPS9_SE_NS0_5tupleIJPjSE_EEENSF_IJSE_SE_EEES9_SG_JZNS1_25segmented_radix_sort_implINS0_14default_configELb0EPK12hip_bfloat16PSL_PKlPlN2at6native12_GLOBAL__N_18offset_tEEE10hipError_tPvRmT1_PNSt15iterator_traitsISZ_E10value_typeET2_T3_PNS10_IS15_E10value_typeET4_jRbjT5_S1B_jjP12ihipStream_tbEUljE_EEESW_SX_SY_S15_S19_S1B_T6_T7_T9_mT8_S1D_bDpT10_ENKUlT_T0_E_clISt17integral_constantIbLb0EES1P_IbLb1EEEEDaS1L_S1M_EUlS1L_E_NS1_11comp_targetILNS1_3genE8ELNS1_11target_archE1030ELNS1_3gpuE2ELNS1_3repE0EEENS1_30default_config_static_selectorELNS0_4arch9wavefront6targetE0EEEvSZ_,@function
_ZN7rocprim17ROCPRIM_400000_NS6detail17trampoline_kernelINS0_13select_configILj256ELj13ELNS0_17block_load_methodE3ELS4_3ELS4_3ELNS0_20block_scan_algorithmE0ELj4294967295EEENS1_25partition_config_selectorILNS1_17partition_subalgoE3EjNS0_10empty_typeEbEEZZNS1_14partition_implILS8_3ELb0ES6_jNS0_17counting_iteratorIjlEEPS9_SE_NS0_5tupleIJPjSE_EEENSF_IJSE_SE_EEES9_SG_JZNS1_25segmented_radix_sort_implINS0_14default_configELb0EPK12hip_bfloat16PSL_PKlPlN2at6native12_GLOBAL__N_18offset_tEEE10hipError_tPvRmT1_PNSt15iterator_traitsISZ_E10value_typeET2_T3_PNS10_IS15_E10value_typeET4_jRbjT5_S1B_jjP12ihipStream_tbEUljE_EEESW_SX_SY_S15_S19_S1B_T6_T7_T9_mT8_S1D_bDpT10_ENKUlT_T0_E_clISt17integral_constantIbLb0EES1P_IbLb1EEEEDaS1L_S1M_EUlS1L_E_NS1_11comp_targetILNS1_3genE8ELNS1_11target_archE1030ELNS1_3gpuE2ELNS1_3repE0EEENS1_30default_config_static_selectorELNS0_4arch9wavefront6targetE0EEEvSZ_: ; @_ZN7rocprim17ROCPRIM_400000_NS6detail17trampoline_kernelINS0_13select_configILj256ELj13ELNS0_17block_load_methodE3ELS4_3ELS4_3ELNS0_20block_scan_algorithmE0ELj4294967295EEENS1_25partition_config_selectorILNS1_17partition_subalgoE3EjNS0_10empty_typeEbEEZZNS1_14partition_implILS8_3ELb0ES6_jNS0_17counting_iteratorIjlEEPS9_SE_NS0_5tupleIJPjSE_EEENSF_IJSE_SE_EEES9_SG_JZNS1_25segmented_radix_sort_implINS0_14default_configELb0EPK12hip_bfloat16PSL_PKlPlN2at6native12_GLOBAL__N_18offset_tEEE10hipError_tPvRmT1_PNSt15iterator_traitsISZ_E10value_typeET2_T3_PNS10_IS15_E10value_typeET4_jRbjT5_S1B_jjP12ihipStream_tbEUljE_EEESW_SX_SY_S15_S19_S1B_T6_T7_T9_mT8_S1D_bDpT10_ENKUlT_T0_E_clISt17integral_constantIbLb0EES1P_IbLb1EEEEDaS1L_S1M_EUlS1L_E_NS1_11comp_targetILNS1_3genE8ELNS1_11target_archE1030ELNS1_3gpuE2ELNS1_3repE0EEENS1_30default_config_static_selectorELNS0_4arch9wavefront6targetE0EEEvSZ_
; %bb.0:
	.section	.rodata,"a",@progbits
	.p2align	6, 0x0
	.amdhsa_kernel _ZN7rocprim17ROCPRIM_400000_NS6detail17trampoline_kernelINS0_13select_configILj256ELj13ELNS0_17block_load_methodE3ELS4_3ELS4_3ELNS0_20block_scan_algorithmE0ELj4294967295EEENS1_25partition_config_selectorILNS1_17partition_subalgoE3EjNS0_10empty_typeEbEEZZNS1_14partition_implILS8_3ELb0ES6_jNS0_17counting_iteratorIjlEEPS9_SE_NS0_5tupleIJPjSE_EEENSF_IJSE_SE_EEES9_SG_JZNS1_25segmented_radix_sort_implINS0_14default_configELb0EPK12hip_bfloat16PSL_PKlPlN2at6native12_GLOBAL__N_18offset_tEEE10hipError_tPvRmT1_PNSt15iterator_traitsISZ_E10value_typeET2_T3_PNS10_IS15_E10value_typeET4_jRbjT5_S1B_jjP12ihipStream_tbEUljE_EEESW_SX_SY_S15_S19_S1B_T6_T7_T9_mT8_S1D_bDpT10_ENKUlT_T0_E_clISt17integral_constantIbLb0EES1P_IbLb1EEEEDaS1L_S1M_EUlS1L_E_NS1_11comp_targetILNS1_3genE8ELNS1_11target_archE1030ELNS1_3gpuE2ELNS1_3repE0EEENS1_30default_config_static_selectorELNS0_4arch9wavefront6targetE0EEEvSZ_
		.amdhsa_group_segment_fixed_size 0
		.amdhsa_private_segment_fixed_size 0
		.amdhsa_kernarg_size 152
		.amdhsa_user_sgpr_count 2
		.amdhsa_user_sgpr_dispatch_ptr 0
		.amdhsa_user_sgpr_queue_ptr 0
		.amdhsa_user_sgpr_kernarg_segment_ptr 1
		.amdhsa_user_sgpr_dispatch_id 0
		.amdhsa_user_sgpr_kernarg_preload_length 0
		.amdhsa_user_sgpr_kernarg_preload_offset 0
		.amdhsa_user_sgpr_private_segment_size 0
		.amdhsa_wavefront_size32 1
		.amdhsa_uses_dynamic_stack 0
		.amdhsa_enable_private_segment 0
		.amdhsa_system_sgpr_workgroup_id_x 1
		.amdhsa_system_sgpr_workgroup_id_y 0
		.amdhsa_system_sgpr_workgroup_id_z 0
		.amdhsa_system_sgpr_workgroup_info 0
		.amdhsa_system_vgpr_workitem_id 0
		.amdhsa_next_free_vgpr 1
		.amdhsa_next_free_sgpr 1
		.amdhsa_named_barrier_count 0
		.amdhsa_reserve_vcc 0
		.amdhsa_float_round_mode_32 0
		.amdhsa_float_round_mode_16_64 0
		.amdhsa_float_denorm_mode_32 3
		.amdhsa_float_denorm_mode_16_64 3
		.amdhsa_fp16_overflow 0
		.amdhsa_memory_ordered 1
		.amdhsa_forward_progress 1
		.amdhsa_inst_pref_size 0
		.amdhsa_round_robin_scheduling 0
		.amdhsa_exception_fp_ieee_invalid_op 0
		.amdhsa_exception_fp_denorm_src 0
		.amdhsa_exception_fp_ieee_div_zero 0
		.amdhsa_exception_fp_ieee_overflow 0
		.amdhsa_exception_fp_ieee_underflow 0
		.amdhsa_exception_fp_ieee_inexact 0
		.amdhsa_exception_int_div_zero 0
	.end_amdhsa_kernel
	.section	.text._ZN7rocprim17ROCPRIM_400000_NS6detail17trampoline_kernelINS0_13select_configILj256ELj13ELNS0_17block_load_methodE3ELS4_3ELS4_3ELNS0_20block_scan_algorithmE0ELj4294967295EEENS1_25partition_config_selectorILNS1_17partition_subalgoE3EjNS0_10empty_typeEbEEZZNS1_14partition_implILS8_3ELb0ES6_jNS0_17counting_iteratorIjlEEPS9_SE_NS0_5tupleIJPjSE_EEENSF_IJSE_SE_EEES9_SG_JZNS1_25segmented_radix_sort_implINS0_14default_configELb0EPK12hip_bfloat16PSL_PKlPlN2at6native12_GLOBAL__N_18offset_tEEE10hipError_tPvRmT1_PNSt15iterator_traitsISZ_E10value_typeET2_T3_PNS10_IS15_E10value_typeET4_jRbjT5_S1B_jjP12ihipStream_tbEUljE_EEESW_SX_SY_S15_S19_S1B_T6_T7_T9_mT8_S1D_bDpT10_ENKUlT_T0_E_clISt17integral_constantIbLb0EES1P_IbLb1EEEEDaS1L_S1M_EUlS1L_E_NS1_11comp_targetILNS1_3genE8ELNS1_11target_archE1030ELNS1_3gpuE2ELNS1_3repE0EEENS1_30default_config_static_selectorELNS0_4arch9wavefront6targetE0EEEvSZ_,"axG",@progbits,_ZN7rocprim17ROCPRIM_400000_NS6detail17trampoline_kernelINS0_13select_configILj256ELj13ELNS0_17block_load_methodE3ELS4_3ELS4_3ELNS0_20block_scan_algorithmE0ELj4294967295EEENS1_25partition_config_selectorILNS1_17partition_subalgoE3EjNS0_10empty_typeEbEEZZNS1_14partition_implILS8_3ELb0ES6_jNS0_17counting_iteratorIjlEEPS9_SE_NS0_5tupleIJPjSE_EEENSF_IJSE_SE_EEES9_SG_JZNS1_25segmented_radix_sort_implINS0_14default_configELb0EPK12hip_bfloat16PSL_PKlPlN2at6native12_GLOBAL__N_18offset_tEEE10hipError_tPvRmT1_PNSt15iterator_traitsISZ_E10value_typeET2_T3_PNS10_IS15_E10value_typeET4_jRbjT5_S1B_jjP12ihipStream_tbEUljE_EEESW_SX_SY_S15_S19_S1B_T6_T7_T9_mT8_S1D_bDpT10_ENKUlT_T0_E_clISt17integral_constantIbLb0EES1P_IbLb1EEEEDaS1L_S1M_EUlS1L_E_NS1_11comp_targetILNS1_3genE8ELNS1_11target_archE1030ELNS1_3gpuE2ELNS1_3repE0EEENS1_30default_config_static_selectorELNS0_4arch9wavefront6targetE0EEEvSZ_,comdat
.Lfunc_end2038:
	.size	_ZN7rocprim17ROCPRIM_400000_NS6detail17trampoline_kernelINS0_13select_configILj256ELj13ELNS0_17block_load_methodE3ELS4_3ELS4_3ELNS0_20block_scan_algorithmE0ELj4294967295EEENS1_25partition_config_selectorILNS1_17partition_subalgoE3EjNS0_10empty_typeEbEEZZNS1_14partition_implILS8_3ELb0ES6_jNS0_17counting_iteratorIjlEEPS9_SE_NS0_5tupleIJPjSE_EEENSF_IJSE_SE_EEES9_SG_JZNS1_25segmented_radix_sort_implINS0_14default_configELb0EPK12hip_bfloat16PSL_PKlPlN2at6native12_GLOBAL__N_18offset_tEEE10hipError_tPvRmT1_PNSt15iterator_traitsISZ_E10value_typeET2_T3_PNS10_IS15_E10value_typeET4_jRbjT5_S1B_jjP12ihipStream_tbEUljE_EEESW_SX_SY_S15_S19_S1B_T6_T7_T9_mT8_S1D_bDpT10_ENKUlT_T0_E_clISt17integral_constantIbLb0EES1P_IbLb1EEEEDaS1L_S1M_EUlS1L_E_NS1_11comp_targetILNS1_3genE8ELNS1_11target_archE1030ELNS1_3gpuE2ELNS1_3repE0EEENS1_30default_config_static_selectorELNS0_4arch9wavefront6targetE0EEEvSZ_, .Lfunc_end2038-_ZN7rocprim17ROCPRIM_400000_NS6detail17trampoline_kernelINS0_13select_configILj256ELj13ELNS0_17block_load_methodE3ELS4_3ELS4_3ELNS0_20block_scan_algorithmE0ELj4294967295EEENS1_25partition_config_selectorILNS1_17partition_subalgoE3EjNS0_10empty_typeEbEEZZNS1_14partition_implILS8_3ELb0ES6_jNS0_17counting_iteratorIjlEEPS9_SE_NS0_5tupleIJPjSE_EEENSF_IJSE_SE_EEES9_SG_JZNS1_25segmented_radix_sort_implINS0_14default_configELb0EPK12hip_bfloat16PSL_PKlPlN2at6native12_GLOBAL__N_18offset_tEEE10hipError_tPvRmT1_PNSt15iterator_traitsISZ_E10value_typeET2_T3_PNS10_IS15_E10value_typeET4_jRbjT5_S1B_jjP12ihipStream_tbEUljE_EEESW_SX_SY_S15_S19_S1B_T6_T7_T9_mT8_S1D_bDpT10_ENKUlT_T0_E_clISt17integral_constantIbLb0EES1P_IbLb1EEEEDaS1L_S1M_EUlS1L_E_NS1_11comp_targetILNS1_3genE8ELNS1_11target_archE1030ELNS1_3gpuE2ELNS1_3repE0EEENS1_30default_config_static_selectorELNS0_4arch9wavefront6targetE0EEEvSZ_
                                        ; -- End function
	.set _ZN7rocprim17ROCPRIM_400000_NS6detail17trampoline_kernelINS0_13select_configILj256ELj13ELNS0_17block_load_methodE3ELS4_3ELS4_3ELNS0_20block_scan_algorithmE0ELj4294967295EEENS1_25partition_config_selectorILNS1_17partition_subalgoE3EjNS0_10empty_typeEbEEZZNS1_14partition_implILS8_3ELb0ES6_jNS0_17counting_iteratorIjlEEPS9_SE_NS0_5tupleIJPjSE_EEENSF_IJSE_SE_EEES9_SG_JZNS1_25segmented_radix_sort_implINS0_14default_configELb0EPK12hip_bfloat16PSL_PKlPlN2at6native12_GLOBAL__N_18offset_tEEE10hipError_tPvRmT1_PNSt15iterator_traitsISZ_E10value_typeET2_T3_PNS10_IS15_E10value_typeET4_jRbjT5_S1B_jjP12ihipStream_tbEUljE_EEESW_SX_SY_S15_S19_S1B_T6_T7_T9_mT8_S1D_bDpT10_ENKUlT_T0_E_clISt17integral_constantIbLb0EES1P_IbLb1EEEEDaS1L_S1M_EUlS1L_E_NS1_11comp_targetILNS1_3genE8ELNS1_11target_archE1030ELNS1_3gpuE2ELNS1_3repE0EEENS1_30default_config_static_selectorELNS0_4arch9wavefront6targetE0EEEvSZ_.num_vgpr, 0
	.set _ZN7rocprim17ROCPRIM_400000_NS6detail17trampoline_kernelINS0_13select_configILj256ELj13ELNS0_17block_load_methodE3ELS4_3ELS4_3ELNS0_20block_scan_algorithmE0ELj4294967295EEENS1_25partition_config_selectorILNS1_17partition_subalgoE3EjNS0_10empty_typeEbEEZZNS1_14partition_implILS8_3ELb0ES6_jNS0_17counting_iteratorIjlEEPS9_SE_NS0_5tupleIJPjSE_EEENSF_IJSE_SE_EEES9_SG_JZNS1_25segmented_radix_sort_implINS0_14default_configELb0EPK12hip_bfloat16PSL_PKlPlN2at6native12_GLOBAL__N_18offset_tEEE10hipError_tPvRmT1_PNSt15iterator_traitsISZ_E10value_typeET2_T3_PNS10_IS15_E10value_typeET4_jRbjT5_S1B_jjP12ihipStream_tbEUljE_EEESW_SX_SY_S15_S19_S1B_T6_T7_T9_mT8_S1D_bDpT10_ENKUlT_T0_E_clISt17integral_constantIbLb0EES1P_IbLb1EEEEDaS1L_S1M_EUlS1L_E_NS1_11comp_targetILNS1_3genE8ELNS1_11target_archE1030ELNS1_3gpuE2ELNS1_3repE0EEENS1_30default_config_static_selectorELNS0_4arch9wavefront6targetE0EEEvSZ_.num_agpr, 0
	.set _ZN7rocprim17ROCPRIM_400000_NS6detail17trampoline_kernelINS0_13select_configILj256ELj13ELNS0_17block_load_methodE3ELS4_3ELS4_3ELNS0_20block_scan_algorithmE0ELj4294967295EEENS1_25partition_config_selectorILNS1_17partition_subalgoE3EjNS0_10empty_typeEbEEZZNS1_14partition_implILS8_3ELb0ES6_jNS0_17counting_iteratorIjlEEPS9_SE_NS0_5tupleIJPjSE_EEENSF_IJSE_SE_EEES9_SG_JZNS1_25segmented_radix_sort_implINS0_14default_configELb0EPK12hip_bfloat16PSL_PKlPlN2at6native12_GLOBAL__N_18offset_tEEE10hipError_tPvRmT1_PNSt15iterator_traitsISZ_E10value_typeET2_T3_PNS10_IS15_E10value_typeET4_jRbjT5_S1B_jjP12ihipStream_tbEUljE_EEESW_SX_SY_S15_S19_S1B_T6_T7_T9_mT8_S1D_bDpT10_ENKUlT_T0_E_clISt17integral_constantIbLb0EES1P_IbLb1EEEEDaS1L_S1M_EUlS1L_E_NS1_11comp_targetILNS1_3genE8ELNS1_11target_archE1030ELNS1_3gpuE2ELNS1_3repE0EEENS1_30default_config_static_selectorELNS0_4arch9wavefront6targetE0EEEvSZ_.numbered_sgpr, 0
	.set _ZN7rocprim17ROCPRIM_400000_NS6detail17trampoline_kernelINS0_13select_configILj256ELj13ELNS0_17block_load_methodE3ELS4_3ELS4_3ELNS0_20block_scan_algorithmE0ELj4294967295EEENS1_25partition_config_selectorILNS1_17partition_subalgoE3EjNS0_10empty_typeEbEEZZNS1_14partition_implILS8_3ELb0ES6_jNS0_17counting_iteratorIjlEEPS9_SE_NS0_5tupleIJPjSE_EEENSF_IJSE_SE_EEES9_SG_JZNS1_25segmented_radix_sort_implINS0_14default_configELb0EPK12hip_bfloat16PSL_PKlPlN2at6native12_GLOBAL__N_18offset_tEEE10hipError_tPvRmT1_PNSt15iterator_traitsISZ_E10value_typeET2_T3_PNS10_IS15_E10value_typeET4_jRbjT5_S1B_jjP12ihipStream_tbEUljE_EEESW_SX_SY_S15_S19_S1B_T6_T7_T9_mT8_S1D_bDpT10_ENKUlT_T0_E_clISt17integral_constantIbLb0EES1P_IbLb1EEEEDaS1L_S1M_EUlS1L_E_NS1_11comp_targetILNS1_3genE8ELNS1_11target_archE1030ELNS1_3gpuE2ELNS1_3repE0EEENS1_30default_config_static_selectorELNS0_4arch9wavefront6targetE0EEEvSZ_.num_named_barrier, 0
	.set _ZN7rocprim17ROCPRIM_400000_NS6detail17trampoline_kernelINS0_13select_configILj256ELj13ELNS0_17block_load_methodE3ELS4_3ELS4_3ELNS0_20block_scan_algorithmE0ELj4294967295EEENS1_25partition_config_selectorILNS1_17partition_subalgoE3EjNS0_10empty_typeEbEEZZNS1_14partition_implILS8_3ELb0ES6_jNS0_17counting_iteratorIjlEEPS9_SE_NS0_5tupleIJPjSE_EEENSF_IJSE_SE_EEES9_SG_JZNS1_25segmented_radix_sort_implINS0_14default_configELb0EPK12hip_bfloat16PSL_PKlPlN2at6native12_GLOBAL__N_18offset_tEEE10hipError_tPvRmT1_PNSt15iterator_traitsISZ_E10value_typeET2_T3_PNS10_IS15_E10value_typeET4_jRbjT5_S1B_jjP12ihipStream_tbEUljE_EEESW_SX_SY_S15_S19_S1B_T6_T7_T9_mT8_S1D_bDpT10_ENKUlT_T0_E_clISt17integral_constantIbLb0EES1P_IbLb1EEEEDaS1L_S1M_EUlS1L_E_NS1_11comp_targetILNS1_3genE8ELNS1_11target_archE1030ELNS1_3gpuE2ELNS1_3repE0EEENS1_30default_config_static_selectorELNS0_4arch9wavefront6targetE0EEEvSZ_.private_seg_size, 0
	.set _ZN7rocprim17ROCPRIM_400000_NS6detail17trampoline_kernelINS0_13select_configILj256ELj13ELNS0_17block_load_methodE3ELS4_3ELS4_3ELNS0_20block_scan_algorithmE0ELj4294967295EEENS1_25partition_config_selectorILNS1_17partition_subalgoE3EjNS0_10empty_typeEbEEZZNS1_14partition_implILS8_3ELb0ES6_jNS0_17counting_iteratorIjlEEPS9_SE_NS0_5tupleIJPjSE_EEENSF_IJSE_SE_EEES9_SG_JZNS1_25segmented_radix_sort_implINS0_14default_configELb0EPK12hip_bfloat16PSL_PKlPlN2at6native12_GLOBAL__N_18offset_tEEE10hipError_tPvRmT1_PNSt15iterator_traitsISZ_E10value_typeET2_T3_PNS10_IS15_E10value_typeET4_jRbjT5_S1B_jjP12ihipStream_tbEUljE_EEESW_SX_SY_S15_S19_S1B_T6_T7_T9_mT8_S1D_bDpT10_ENKUlT_T0_E_clISt17integral_constantIbLb0EES1P_IbLb1EEEEDaS1L_S1M_EUlS1L_E_NS1_11comp_targetILNS1_3genE8ELNS1_11target_archE1030ELNS1_3gpuE2ELNS1_3repE0EEENS1_30default_config_static_selectorELNS0_4arch9wavefront6targetE0EEEvSZ_.uses_vcc, 0
	.set _ZN7rocprim17ROCPRIM_400000_NS6detail17trampoline_kernelINS0_13select_configILj256ELj13ELNS0_17block_load_methodE3ELS4_3ELS4_3ELNS0_20block_scan_algorithmE0ELj4294967295EEENS1_25partition_config_selectorILNS1_17partition_subalgoE3EjNS0_10empty_typeEbEEZZNS1_14partition_implILS8_3ELb0ES6_jNS0_17counting_iteratorIjlEEPS9_SE_NS0_5tupleIJPjSE_EEENSF_IJSE_SE_EEES9_SG_JZNS1_25segmented_radix_sort_implINS0_14default_configELb0EPK12hip_bfloat16PSL_PKlPlN2at6native12_GLOBAL__N_18offset_tEEE10hipError_tPvRmT1_PNSt15iterator_traitsISZ_E10value_typeET2_T3_PNS10_IS15_E10value_typeET4_jRbjT5_S1B_jjP12ihipStream_tbEUljE_EEESW_SX_SY_S15_S19_S1B_T6_T7_T9_mT8_S1D_bDpT10_ENKUlT_T0_E_clISt17integral_constantIbLb0EES1P_IbLb1EEEEDaS1L_S1M_EUlS1L_E_NS1_11comp_targetILNS1_3genE8ELNS1_11target_archE1030ELNS1_3gpuE2ELNS1_3repE0EEENS1_30default_config_static_selectorELNS0_4arch9wavefront6targetE0EEEvSZ_.uses_flat_scratch, 0
	.set _ZN7rocprim17ROCPRIM_400000_NS6detail17trampoline_kernelINS0_13select_configILj256ELj13ELNS0_17block_load_methodE3ELS4_3ELS4_3ELNS0_20block_scan_algorithmE0ELj4294967295EEENS1_25partition_config_selectorILNS1_17partition_subalgoE3EjNS0_10empty_typeEbEEZZNS1_14partition_implILS8_3ELb0ES6_jNS0_17counting_iteratorIjlEEPS9_SE_NS0_5tupleIJPjSE_EEENSF_IJSE_SE_EEES9_SG_JZNS1_25segmented_radix_sort_implINS0_14default_configELb0EPK12hip_bfloat16PSL_PKlPlN2at6native12_GLOBAL__N_18offset_tEEE10hipError_tPvRmT1_PNSt15iterator_traitsISZ_E10value_typeET2_T3_PNS10_IS15_E10value_typeET4_jRbjT5_S1B_jjP12ihipStream_tbEUljE_EEESW_SX_SY_S15_S19_S1B_T6_T7_T9_mT8_S1D_bDpT10_ENKUlT_T0_E_clISt17integral_constantIbLb0EES1P_IbLb1EEEEDaS1L_S1M_EUlS1L_E_NS1_11comp_targetILNS1_3genE8ELNS1_11target_archE1030ELNS1_3gpuE2ELNS1_3repE0EEENS1_30default_config_static_selectorELNS0_4arch9wavefront6targetE0EEEvSZ_.has_dyn_sized_stack, 0
	.set _ZN7rocprim17ROCPRIM_400000_NS6detail17trampoline_kernelINS0_13select_configILj256ELj13ELNS0_17block_load_methodE3ELS4_3ELS4_3ELNS0_20block_scan_algorithmE0ELj4294967295EEENS1_25partition_config_selectorILNS1_17partition_subalgoE3EjNS0_10empty_typeEbEEZZNS1_14partition_implILS8_3ELb0ES6_jNS0_17counting_iteratorIjlEEPS9_SE_NS0_5tupleIJPjSE_EEENSF_IJSE_SE_EEES9_SG_JZNS1_25segmented_radix_sort_implINS0_14default_configELb0EPK12hip_bfloat16PSL_PKlPlN2at6native12_GLOBAL__N_18offset_tEEE10hipError_tPvRmT1_PNSt15iterator_traitsISZ_E10value_typeET2_T3_PNS10_IS15_E10value_typeET4_jRbjT5_S1B_jjP12ihipStream_tbEUljE_EEESW_SX_SY_S15_S19_S1B_T6_T7_T9_mT8_S1D_bDpT10_ENKUlT_T0_E_clISt17integral_constantIbLb0EES1P_IbLb1EEEEDaS1L_S1M_EUlS1L_E_NS1_11comp_targetILNS1_3genE8ELNS1_11target_archE1030ELNS1_3gpuE2ELNS1_3repE0EEENS1_30default_config_static_selectorELNS0_4arch9wavefront6targetE0EEEvSZ_.has_recursion, 0
	.set _ZN7rocprim17ROCPRIM_400000_NS6detail17trampoline_kernelINS0_13select_configILj256ELj13ELNS0_17block_load_methodE3ELS4_3ELS4_3ELNS0_20block_scan_algorithmE0ELj4294967295EEENS1_25partition_config_selectorILNS1_17partition_subalgoE3EjNS0_10empty_typeEbEEZZNS1_14partition_implILS8_3ELb0ES6_jNS0_17counting_iteratorIjlEEPS9_SE_NS0_5tupleIJPjSE_EEENSF_IJSE_SE_EEES9_SG_JZNS1_25segmented_radix_sort_implINS0_14default_configELb0EPK12hip_bfloat16PSL_PKlPlN2at6native12_GLOBAL__N_18offset_tEEE10hipError_tPvRmT1_PNSt15iterator_traitsISZ_E10value_typeET2_T3_PNS10_IS15_E10value_typeET4_jRbjT5_S1B_jjP12ihipStream_tbEUljE_EEESW_SX_SY_S15_S19_S1B_T6_T7_T9_mT8_S1D_bDpT10_ENKUlT_T0_E_clISt17integral_constantIbLb0EES1P_IbLb1EEEEDaS1L_S1M_EUlS1L_E_NS1_11comp_targetILNS1_3genE8ELNS1_11target_archE1030ELNS1_3gpuE2ELNS1_3repE0EEENS1_30default_config_static_selectorELNS0_4arch9wavefront6targetE0EEEvSZ_.has_indirect_call, 0
	.section	.AMDGPU.csdata,"",@progbits
; Kernel info:
; codeLenInByte = 0
; TotalNumSgprs: 0
; NumVgprs: 0
; ScratchSize: 0
; MemoryBound: 0
; FloatMode: 240
; IeeeMode: 1
; LDSByteSize: 0 bytes/workgroup (compile time only)
; SGPRBlocks: 0
; VGPRBlocks: 0
; NumSGPRsForWavesPerEU: 1
; NumVGPRsForWavesPerEU: 1
; NamedBarCnt: 0
; Occupancy: 16
; WaveLimiterHint : 0
; COMPUTE_PGM_RSRC2:SCRATCH_EN: 0
; COMPUTE_PGM_RSRC2:USER_SGPR: 2
; COMPUTE_PGM_RSRC2:TRAP_HANDLER: 0
; COMPUTE_PGM_RSRC2:TGID_X_EN: 1
; COMPUTE_PGM_RSRC2:TGID_Y_EN: 0
; COMPUTE_PGM_RSRC2:TGID_Z_EN: 0
; COMPUTE_PGM_RSRC2:TIDIG_COMP_CNT: 0
	.text
	.p2align	2                               ; -- Begin function _ZN7rocprim17ROCPRIM_400000_NS6detail40segmented_radix_sort_single_block_helperI12hip_bfloat16lLj256ELj16ELb0EE4sortIPKS3_PS3_PKlPlEEbT_T0_T1_T2_jjjjRNS4_12storage_typeE
	.type	_ZN7rocprim17ROCPRIM_400000_NS6detail40segmented_radix_sort_single_block_helperI12hip_bfloat16lLj256ELj16ELb0EE4sortIPKS3_PS3_PKlPlEEbT_T0_T1_T2_jjjjRNS4_12storage_typeE,@function
_ZN7rocprim17ROCPRIM_400000_NS6detail40segmented_radix_sort_single_block_helperI12hip_bfloat16lLj256ELj16ELb0EE4sortIPKS3_PS3_PKlPlEEbT_T0_T1_T2_jjjjRNS4_12storage_typeE: ; @_ZN7rocprim17ROCPRIM_400000_NS6detail40segmented_radix_sort_single_block_helperI12hip_bfloat16lLj256ELj16ELb0EE4sortIPKS3_PS3_PKlPlEEbT_T0_T1_T2_jjjjRNS4_12storage_typeE
; %bb.0:
	s_wait_loadcnt_dscnt 0x0
	s_wait_kmcnt 0x0
	s_set_vgpr_msb 64                       ;  msbs: dst=1 src0=0 src1=0 src2=0
	v_sub_nc_u32_e32 v0 /*v256*/, v9, v8
	s_mov_b32 s22, exec_lo
	s_set_vgpr_msb 4                        ;  msbs: dst=0 src0=0 src1=1 src2=0
	s_delay_alu instid0(VALU_DEP_1)
	v_cmpx_gt_u32_e32 0x1001, v0 /*v256*/
	s_set_vgpr_msb 0                        ;  msbs: dst=0 src0=0 src1=0 src2=0
	s_cbranch_execz .LBB2039_372
; %bb.1:
	v_bfe_u32 v9, v31, 10, 10
	v_bfe_u32 v14, v31, 20, 10
	v_and_b32_e32 v30, 0x3ff, v31
	v_mbcnt_lo_u32_b32 v33, -1, 0
	s_getreg_b32 s23, hwreg(HW_REG_IB_STS2, 6, 4)
	s_mov_b32 s0, exec_lo
	s_set_vgpr_msb 4                        ;  msbs: dst=0 src0=0 src1=1 src2=0
	v_cmpx_lt_u32_e32 0x800, v0 /*v256*/
	s_xor_b32 s21, exec_lo, s0
	s_set_vgpr_msb 0                        ;  msbs: dst=0 src0=0 src1=0 src2=0
	s_cbranch_execz .LBB2039_143
; %bb.2:
	s_load_b64 s[0:1], s[8:9], 0x0
	s_bfe_u32 s3, ttmp6, 0x4000c
	s_bfe_u32 s5, ttmp6, 0x40010
	s_and_b32 s4, ttmp7, 0xffff
	s_add_co_i32 s3, s3, 1
	s_add_co_i32 s5, s5, 1
	s_and_b32 s2, ttmp6, 15
	s_bfe_u32 s6, ttmp6, 0x40004
	s_mul_i32 s3, ttmp9, s3
	s_mul_i32 s5, s4, s5
	s_add_co_i32 s2, s2, s3
	s_add_co_i32 s6, s6, s5
	s_cmp_eq_u32 s23, 0
	s_mov_b32 s3, 0
	s_cselect_b32 s2, ttmp9, s2
	s_cselect_b32 s4, s4, s6
	s_wait_kmcnt 0x0
	s_cmp_lt_u32 s2, s0
	s_cselect_b32 s2, 12, 18
	s_cmp_lt_u32 s4, s1
	s_mov_b32 s1, s3
	s_cselect_b32 s0, 14, 20
	s_delay_alu instid0(SALU_CYCLE_1)
	s_add_nc_u64 s[0:1], s[8:9], s[0:1]
	s_load_u16 s4, s[0:1], 0x0
	s_wait_xcnt 0x0
	s_add_nc_u64 s[0:1], s[8:9], s[2:3]
	s_load_u16 s0, s[0:1], 0x0
	s_wait_kmcnt 0x0
	v_mad_u32_u24 v9, v14, s4, v9
	v_lshlrev_b32_e32 v14, 1, v33
	s_delay_alu instid0(VALU_DEP_2) | instskip(SKIP_1) | instid1(VALU_DEP_1)
	v_mad_u32 v38, v9, s0, v30
	v_mov_b32_e32 v9, 0
	v_lshl_add_u64 v[16:17], v[8:9], 1, v[0:1]
	s_delay_alu instid0(VALU_DEP_3) | instskip(NEXT) | instid1(VALU_DEP_1)
	v_dual_mov_b32 v15, v9 :: v_dual_lshlrev_b32 v18, 4, v38
	v_add_nc_u64_e32 v[14:15], v[16:17], v[14:15]
	v_dual_mov_b32 v16, 0x7fff :: v_dual_mov_b32 v17, 0x7fff
	s_delay_alu instid0(VALU_DEP_3) | instskip(NEXT) | instid1(VALU_DEP_1)
	v_and_b32_e32 v0, 0xfffffe00, v18
	v_dual_mov_b32 v1, v9 :: v_dual_bitop2_b32 v34, v0, v33 bitop3:0x54
	s_delay_alu instid0(VALU_DEP_1) | instskip(SKIP_1) | instid1(VALU_DEP_2)
	v_lshl_add_u64 v[14:15], v[0:1], 1, v[14:15]
	s_set_vgpr_msb 4                        ;  msbs: dst=0 src0=0 src1=1 src2=0
	v_cmp_lt_u32_e32 vcc_lo, v34, v0 /*v256*/
	s_and_saveexec_b32 s0, vcc_lo
	s_set_vgpr_msb 0                        ;  msbs: dst=0 src0=0 src1=0 src2=0
	s_cbranch_execz .LBB2039_4
; %bb.3:
	flat_load_u16 v17, v[14:15]
.LBB2039_4:
	s_wait_xcnt 0x0
	s_or_b32 exec_lo, exec_lo, s0
	v_or_b32_e32 v18, 32, v34
	s_set_vgpr_msb 4                        ;  msbs: dst=0 src0=0 src1=1 src2=0
	s_delay_alu instid0(VALU_DEP_1)
	v_cmp_lt_u32_e64 s0, v18, v0 /*v256*/
	s_and_saveexec_b32 s1, s0
	s_set_vgpr_msb 0                        ;  msbs: dst=0 src0=0 src1=0 src2=0
	s_cbranch_execz .LBB2039_6
; %bb.5:
	flat_load_u16 v16, v[14:15] offset:64
.LBB2039_6:
	s_wait_xcnt 0x0
	s_or_b32 exec_lo, exec_lo, s1
	v_or_b32_e32 v19, 64, v34
	v_mov_b32_e32 v18, 0x7fff
	s_set_vgpr_msb 4                        ;  msbs: dst=0 src0=0 src1=1 src2=0
	s_delay_alu instid0(VALU_DEP_2)
	v_cmp_lt_u32_e64 s1, v19, v0 /*v256*/
	v_mov_b32_e32 v19, 0x7fff
	s_and_saveexec_b32 s2, s1
	s_set_vgpr_msb 0                        ;  msbs: dst=0 src0=0 src1=0 src2=0
	s_cbranch_execz .LBB2039_8
; %bb.7:
	flat_load_u16 v19, v[14:15] offset:128
.LBB2039_8:
	s_wait_xcnt 0x0
	s_or_b32 exec_lo, exec_lo, s2
	v_or_b32_e32 v20, 0x60, v34
	s_set_vgpr_msb 4                        ;  msbs: dst=0 src0=0 src1=1 src2=0
	s_delay_alu instid0(VALU_DEP_1)
	v_cmp_lt_u32_e64 s2, v20, v0 /*v256*/
	s_and_saveexec_b32 s3, s2
	s_set_vgpr_msb 0                        ;  msbs: dst=0 src0=0 src1=0 src2=0
	s_cbranch_execz .LBB2039_10
; %bb.9:
	flat_load_u16 v18, v[14:15] offset:192
.LBB2039_10:
	s_wait_xcnt 0x0
	s_or_b32 exec_lo, exec_lo, s3
	v_or_b32_e32 v21, 0x80, v34
	v_mov_b32_e32 v20, 0x7fff
	s_set_vgpr_msb 4                        ;  msbs: dst=0 src0=0 src1=1 src2=0
	s_delay_alu instid0(VALU_DEP_2)
	v_cmp_lt_u32_e64 s3, v21, v0 /*v256*/
	v_mov_b32_e32 v21, 0x7fff
	s_and_saveexec_b32 s4, s3
	s_set_vgpr_msb 0                        ;  msbs: dst=0 src0=0 src1=0 src2=0
	s_cbranch_execz .LBB2039_12
; %bb.11:
	flat_load_u16 v21, v[14:15] offset:256
.LBB2039_12:
	;; [unrolled: 26-line block ×7, first 2 shown]
	s_wait_xcnt 0x0
	s_or_b32 exec_lo, exec_lo, s16
	v_or_b32_e32 v34, 0x1e0, v34
	s_set_vgpr_msb 4                        ;  msbs: dst=0 src0=0 src1=1 src2=0
	s_delay_alu instid0(VALU_DEP_1)
	v_cmp_lt_u32_e64 s16, v34, v0 /*v256*/
	s_and_saveexec_b32 s17, s16
	s_set_vgpr_msb 0                        ;  msbs: dst=0 src0=0 src1=0 src2=0
	s_cbranch_execz .LBB2039_34
; %bb.33:
	flat_load_u16 v31, v[14:15] offset:960
.LBB2039_34:
	s_wait_xcnt 0x0
	s_or_b32 exec_lo, exec_lo, s17
	v_lshl_add_u64 v[4:5], v[8:9], 3, v[4:5]
	v_dual_mov_b32 v15, 0 :: v_dual_lshlrev_b32 v14, 3, v33
                                        ; implicit-def: $vgpr66_vgpr67
	s_delay_alu instid0(VALU_DEP_1) | instskip(NEXT) | instid1(VALU_DEP_1)
	v_add_nc_u64_e32 v[4:5], v[4:5], v[14:15]
	v_lshl_add_u64 v[0:1], v[0:1], 3, v[4:5]
	s_and_saveexec_b32 s17, vcc_lo
	s_cbranch_execnz .LBB2039_196
; %bb.35:
	s_or_b32 exec_lo, exec_lo, s17
                                        ; implicit-def: $vgpr68_vgpr69
	s_and_saveexec_b32 s17, s0
	s_cbranch_execnz .LBB2039_197
.LBB2039_36:
	s_or_b32 exec_lo, exec_lo, s17
                                        ; implicit-def: $vgpr70_vgpr71
	s_and_saveexec_b32 s0, s1
	s_cbranch_execnz .LBB2039_198
.LBB2039_37:
	s_or_b32 exec_lo, exec_lo, s0
                                        ; implicit-def: $vgpr80_vgpr81
	s_and_saveexec_b32 s0, s2
	s_cbranch_execnz .LBB2039_199
.LBB2039_38:
	s_or_b32 exec_lo, exec_lo, s0
                                        ; implicit-def: $vgpr82_vgpr83
	s_and_saveexec_b32 s0, s3
	s_cbranch_execnz .LBB2039_200
.LBB2039_39:
	s_or_b32 exec_lo, exec_lo, s0
                                        ; implicit-def: $vgpr84_vgpr85
	s_and_saveexec_b32 s0, s4
	s_cbranch_execnz .LBB2039_201
.LBB2039_40:
	s_or_b32 exec_lo, exec_lo, s0
                                        ; implicit-def: $vgpr86_vgpr87
	s_and_saveexec_b32 s0, s5
	s_cbranch_execnz .LBB2039_202
.LBB2039_41:
	s_or_b32 exec_lo, exec_lo, s0
                                        ; implicit-def: $vgpr98_vgpr99
	s_and_saveexec_b32 s0, s6
	s_cbranch_execnz .LBB2039_203
.LBB2039_42:
	s_or_b32 exec_lo, exec_lo, s0
                                        ; implicit-def: $vgpr102_vgpr103
	s_and_saveexec_b32 s0, s7
	s_cbranch_execnz .LBB2039_204
.LBB2039_43:
	s_or_b32 exec_lo, exec_lo, s0
                                        ; implicit-def: $vgpr96_vgpr97
	s_and_saveexec_b32 s0, s10
	s_cbranch_execnz .LBB2039_205
.LBB2039_44:
	s_or_b32 exec_lo, exec_lo, s0
                                        ; implicit-def: $vgpr100_vgpr101
	s_and_saveexec_b32 s0, s11
	s_cbranch_execnz .LBB2039_206
.LBB2039_45:
	s_or_b32 exec_lo, exec_lo, s0
                                        ; implicit-def: $vgpr112_vgpr113
	s_and_saveexec_b32 s0, s12
	s_cbranch_execnz .LBB2039_207
.LBB2039_46:
	s_or_b32 exec_lo, exec_lo, s0
                                        ; implicit-def: $vgpr114_vgpr115
	s_and_saveexec_b32 s0, s13
	s_cbranch_execnz .LBB2039_208
.LBB2039_47:
	s_or_b32 exec_lo, exec_lo, s0
                                        ; implicit-def: $vgpr118_vgpr119
	s_and_saveexec_b32 s0, s14
	s_cbranch_execnz .LBB2039_209
.LBB2039_48:
	s_or_b32 exec_lo, exec_lo, s0
                                        ; implicit-def: $vgpr164_vgpr165
	s_and_saveexec_b32 s0, s15
	s_cbranch_execnz .LBB2039_210
.LBB2039_49:
	s_or_b32 exec_lo, exec_lo, s0
                                        ; implicit-def: $vgpr176_vgpr177
	s_and_saveexec_b32 s0, s16
	s_cbranch_execz .LBB2039_51
.LBB2039_50:
	flat_load_b64 v[176:177], v[0:1] offset:3840
.LBB2039_51:
	s_wait_xcnt 0x0
	s_or_b32 exec_lo, exec_lo, s0
	s_wait_loadcnt_dscnt 0x0
	v_cmp_lt_i16_e32 vcc_lo, -1, v17
	s_get_pc_i64 s[0:1]
	s_add_nc_u64 s[0:1], s[0:1], _ZN7rocprim17ROCPRIM_400000_NS16block_radix_sortI12hip_bfloat16Lj256ELj16ElLj1ELj1ELj8ELNS0_26block_radix_rank_algorithmE2ELNS0_18block_padding_hintE2ELNS0_4arch9wavefront6targetE0EE19radix_bits_per_passE@rel64+4
	v_mov_b64_e32 v[64:65], 0
	s_load_b32 s24, s[0:1], 0x0
	v_cmp_lt_u32_e64 s7, 31, v30
	v_cndmask_b32_e64 v0, -1, 0xffff8000, vcc_lo
	v_cmp_lt_i16_e32 vcc_lo, -1, v16
	v_cmp_eq_u32_e64 s10, 0, v30
	s_set_vgpr_msb 64                       ;  msbs: dst=1 src0=0 src1=0 src2=0
	v_lshl_add_u32 v11 /*v267*/, v30, 2, v12
	s_mov_b32 s25, 0
	s_set_vgpr_msb 0                        ;  msbs: dst=0 src0=0 src1=0 src2=0
	v_xor_b32_e32 v183, v0, v17
	v_cndmask_b32_e64 v1, -1, 0xffff8000, vcc_lo
	v_cmp_lt_i16_e32 vcc_lo, -1, v19
	s_wait_storecnt 0x0
	s_barrier_signal -1
	s_barrier_wait -1
	v_xor_b32_e32 v133, v1, v16
	v_cndmask_b32_e64 v4, -1, 0xffff8000, vcc_lo
	v_cmp_lt_i16_e32 vcc_lo, -1, v18
	s_set_vgpr_msb 64                       ;  msbs: dst=1 src0=0 src1=0 src2=0
	v_lshrrev_b32_e32 v7 /*v263*/, 5, v38
	v_sub_nc_u32_e32 v30 /*v286*/, v11, v10
	s_set_vgpr_msb 0                        ;  msbs: dst=0 src0=0 src1=0 src2=0
	v_xor_b32_e32 v135, v4, v19
	v_cndmask_b32_e64 v0, -1, 0xffff8000, vcc_lo
	v_cmp_lt_i16_e32 vcc_lo, -1, v21
	s_delay_alu instid0(VALU_DEP_2) | instskip(SKIP_2) | instid1(VALU_DEP_2)
	v_xor_b32_e32 v149, v0, v18
	v_cndmask_b32_e64 v1, -1, 0xffff8000, vcc_lo
	v_cmp_lt_i16_e32 vcc_lo, -1, v20
	v_xor_b32_e32 v167, v1, v21
	v_cndmask_b32_e64 v4, -1, 0xffff8000, vcc_lo
	v_cmp_lt_i16_e32 vcc_lo, -1, v23
	s_delay_alu instid0(VALU_DEP_2) | instskip(SKIP_2) | instid1(VALU_DEP_2)
	v_xor_b32_e32 v161, v4, v20
	v_cndmask_b32_e64 v5, -1, 0xffff8000, vcc_lo
	v_cmp_lt_i16_e32 vcc_lo, -1, v22
	;; [unrolled: 7-line block ×3, first 2 shown]
	v_xor_b32_e32 v181, v0, v25
	v_cndmask_b32_e64 v1, -1, 0xffff8000, vcc_lo
	v_cmp_lt_i16_e32 vcc_lo, -1, v27
	v_cndmask_b32_e64 v4, -1, 0xffff8000, vcc_lo
	v_cmp_lt_i16_e32 vcc_lo, -1, v26
	s_delay_alu instid0(VALU_DEP_2) | instskip(SKIP_2) | instid1(VALU_DEP_2)
	v_xor_b32_e32 v179, v4, v27
	v_cndmask_b32_e64 v5, -1, 0xffff8000, vcc_lo
	v_cmp_lt_i16_e32 vcc_lo, -1, v29
	v_xor_b32_e32 v129, v5, v26
	v_cndmask_b32_e64 v14, -1, 0xffff8000, vcc_lo
	v_cmp_lt_i16_e32 vcc_lo, -1, v28
	v_lshl_add_u32 v5, v30, 5, v12
	s_set_vgpr_msb 64                       ;  msbs: dst=1 src0=0 src1=0 src2=0
	v_xor_b32_e32 v47 /*v303*/, v1, v24
	s_set_vgpr_msb 0                        ;  msbs: dst=0 src0=0 src1=0 src2=0
	v_xor_b32_e32 v117, v14, v29
	v_cndmask_b32_e64 v0, -1, 0xffff8000, vcc_lo
	v_cmp_lt_i16_e32 vcc_lo, -1, v32
	v_add_nc_u32_e32 v39, 36, v5
	s_set_vgpr_msb 64                       ;  msbs: dst=1 src0=0 src1=0 src2=0
	v_dual_add_nc_u32 v1 /*v257*/, 40, v5 :: v_dual_add_nc_u32 v2 /*v258*/, 44, v5
	v_add_nc_u32_e32 v3 /*v259*/, 48, v5
	s_set_vgpr_msb 0                        ;  msbs: dst=0 src0=0 src1=0 src2=0
	v_cndmask_b32_e64 v1, -1, 0xffff8000, vcc_lo
	v_cmp_lt_i16_e32 vcc_lo, -1, v31
	v_xor_b32_e32 v131, v0, v28
	v_and_b32_e32 v0, 0x3e0, v30
	s_set_vgpr_msb 64                       ;  msbs: dst=1 src0=0 src1=0 src2=0
	v_dual_add_nc_u32 v4 /*v260*/, 52, v5 :: v_dual_add_nc_u32 v5 /*v261*/, 56, v5
	s_set_vgpr_msb 0                        ;  msbs: dst=0 src0=0 src1=0 src2=0
	v_cndmask_b32_e64 v4, -1, 0xffff8000, vcc_lo
	v_xor_b32_e32 v145, v1, v32
	v_and_b32_e32 v1, 15, v33
	s_set_vgpr_msb 64                       ;  msbs: dst=1 src0=0 src1=0 src2=0
	v_add_nc_u32_e32 v6 /*v262*/, 60, v5
	s_set_vgpr_msb 0                        ;  msbs: dst=0 src0=0 src1=0 src2=0
	v_min_u32_e32 v0, 0xe0, v0
	v_dual_add_nc_u32 v31, 32, v5 :: v_dual_bitop2_b32 v147, v4, v31 bitop3:0x14
	v_cmp_eq_u32_e32 vcc_lo, 0, v1
	s_wait_xcnt 0x0
	v_cmp_lt_u32_e64 s0, 1, v1
	v_cmp_lt_u32_e64 s1, 3, v1
	v_sub_co_u32 v5, s2, v33, 1
	v_cmp_lt_u32_e64 s3, 7, v1
	v_dual_lshlrev_b32 v1, 4, v30 :: v_dual_bitop2_b32 v4, 16, v33 bitop3:0x40
	v_or_b32_e32 v0, 31, v0
	s_delay_alu instid0(VALU_DEP_4) | instskip(NEXT) | instid1(VALU_DEP_3)
	v_cmp_gt_i32_e64 s6, 0, v5
	v_and_or_b32 v1, 0x3e00, v1, v33
	s_delay_alu instid0(VALU_DEP_4) | instskip(NEXT) | instid1(VALU_DEP_4)
	v_cmp_eq_u32_e64 s4, 0, v4
	v_cmp_eq_u32_e64 s5, v30, v0
	s_delay_alu instid0(VALU_DEP_4)
	v_dual_lshrrev_b32 v0, 3, v30 :: v_dual_cndmask_b32 v4, v5, v33, s6
	s_set_vgpr_msb 64                       ;  msbs: dst=1 src0=0 src1=0 src2=0
	v_lshl_add_u32 v9 /*v265*/, v1, 1, v12
	s_set_vgpr_msb 0                        ;  msbs: dst=0 src0=0 src1=0 src2=0
	v_mul_u32_u24_e32 v5, 6, v1
	v_cmp_gt_u32_e64 s6, 8, v30
	v_and_b32_e32 v0, 0x7c, v0
	s_set_vgpr_msb 64                       ;  msbs: dst=1 src0=0 src1=0 src2=0
	v_lshlrev_b32_e32 v8 /*v264*/, 2, v4
	s_set_vgpr_msb 0                        ;  msbs: dst=0 src0=0 src1=0 src2=0
	v_and_b32_e32 v4, 7, v33
	s_set_vgpr_msb 0x41                     ;  msbs: dst=1 src0=1 src1=0 src2=0
	v_add_nc_u32_e32 v12 /*v268*/, v9 /*v265*/, v5
	s_set_vgpr_msb 0                        ;  msbs: dst=0 src0=0 src1=0 src2=0
	v_mov_b32_e32 v1, 0
	s_set_vgpr_msb 64                       ;  msbs: dst=1 src0=0 src1=0 src2=0
	v_add_nc_u32_e32 v10 /*v266*/, v12, v0
	s_set_vgpr_msb 0x44                     ;  msbs: dst=1 src0=0 src1=1 src2=0
	v_add_nc_u32_e32 v13 /*v269*/, 0x380, v9 /*v265*/
	s_set_vgpr_msb 0                        ;  msbs: dst=0 src0=0 src1=0 src2=0
	v_cmp_eq_u32_e64 s11, 0, v4
	v_cmp_lt_u32_e64 s12, 1, v4
	v_cmp_lt_u32_e64 s13, 3, v4
	s_set_vgpr_msb 0x44                     ;  msbs: dst=1 src0=0 src1=1 src2=0
	v_add_nc_u32_e32 v14 /*v270*/, 0x3c0, v9 /*v265*/
	v_add_nc_u32_e32 v15 /*v271*/, 0x100, v12 /*v268*/
	;; [unrolled: 1-line block ×16, first 2 shown]
	s_set_vgpr_msb 0                        ;  msbs: dst=0 src0=0 src1=0 src2=0
	s_branch .LBB2039_53
.LBB2039_52:                            ;   in Loop: Header=BB2039_53 Depth=1
	s_or_b32 exec_lo, exec_lo, s15
	s_delay_alu instid0(SALU_CYCLE_1) | instskip(NEXT) | instid1(SALU_CYCLE_1)
	s_and_b32 s14, exec_lo, s16
	s_or_b32 s25, s14, s25
	s_delay_alu instid0(SALU_CYCLE_1)
	s_and_not1_b32 exec_lo, exec_lo, s25
	s_cbranch_execz .LBB2039_93
.LBB2039_53:                            ; =>This Inner Loop Header: Depth=1
	s_set_vgpr_msb 64                       ;  msbs: dst=1 src0=0 src1=0 src2=0
	v_dual_mov_b32 v31 /*v287*/, v183 :: v_dual_mov_b32 v34 /*v290*/, v133
	s_wait_kmcnt 0x0
	s_set_vgpr_msb 4                        ;  msbs: dst=0 src0=0 src1=1 src2=0
	v_min_u32_e32 v48, s24, v30 /*v286*/
	v_mov_b64_e32 v[26:27], v[68:69]
	v_mov_b64_e32 v[28:29], v[66:67]
	v_cmp_ne_u16_e64 s14, 0x7fff, v31 /*v287*/
	v_mov_b64_e32 v[24:25], v[70:71]
	v_lshlrev_b32_e64 v68, v48, -1
	v_mov_b64_e32 v[22:23], v[80:81]
	v_mov_b64_e32 v[20:21], v[82:83]
	v_cndmask_b32_e64 v0, 0xffff8000, v31 /*v287*/, s14
	v_mov_b64_e32 v[18:19], v[84:85]
	v_mov_b64_e32 v[16:17], v[86:87]
	v_mov_b64_e32 v[14:15], v[98:99]
	v_mov_b64_e32 v[4:5], v[102:103]
	s_set_vgpr_msb 0                        ;  msbs: dst=0 src0=0 src1=0 src2=0
	v_and_b32_e32 v0, 0xffff, v0
	v_mov_b64_e32 v[54:55], v[96:97]
	v_mov_b64_e32 v[52:53], v[100:101]
	;; [unrolled: 1-line block ×4, first 2 shown]
	v_lshrrev_b32_e32 v0, v10, v0
	v_mov_b64_e32 v[34:35], v[118:119]
	v_mov_b64_e32 v[32:33], v[164:165]
	;; [unrolled: 1-line block ×3, first 2 shown]
	s_set_vgpr_msb 64                       ;  msbs: dst=1 src0=0 src1=0 src2=0
	v_dual_mov_b32 v33 /*v289*/, v135 :: v_dual_mov_b32 v32 /*v288*/, v149
	s_set_vgpr_msb 0                        ;  msbs: dst=0 src0=0 src1=0 src2=0
	v_bitop3_b32 v66, v0, v68, v0 bitop3:0x30
	s_set_vgpr_msb 64                       ;  msbs: dst=1 src0=0 src1=0 src2=0
	v_dual_mov_b32 v35 /*v291*/, v167 :: v_dual_mov_b32 v37 /*v293*/, v161
	v_dual_mov_b32 v36 /*v292*/, v163 :: v_dual_mov_b32 v39 /*v295*/, v151
	s_set_vgpr_msb 0                        ;  msbs: dst=0 src0=0 src1=0 src2=0
	v_lshlrev_b32_e32 v67, 30, v66
	v_bitop3_b32 v0, v0, 1, v68 bitop3:0x40
	v_lshlrev_b32_e32 v81, 25, v66
	s_set_vgpr_msb 64                       ;  msbs: dst=1 src0=0 src1=0 src2=0
	v_dual_mov_b32 v38 /*v294*/, v181 :: v_dual_mov_b32 v41 /*v297*/, v179
	s_set_vgpr_msb 0                        ;  msbs: dst=0 src0=0 src1=0 src2=0
	v_not_b32_e32 v70, v67
	v_add_co_u32 v0, s14, v0, -1
	s_delay_alu instid0(VALU_DEP_1)
	v_cndmask_b32_e64 v69, 0, 1, s14
	v_cmp_gt_i32_e64 s15, 0, v67
	s_set_vgpr_msb 0x41                     ;  msbs: dst=1 src0=1 src1=0 src2=0
	v_mov_b32_e32 v40 /*v296*/, v47 /*v303*/
	s_set_vgpr_msb 64                       ;  msbs: dst=1 src0=0 src1=0 src2=0
	v_dual_mov_b32 v42 /*v298*/, v129 :: v_dual_mov_b32 v43 /*v299*/, v117
	v_cmp_ne_u32_e64 s14, 0, v69
	s_set_vgpr_msb 0                        ;  msbs: dst=0 src0=0 src1=0 src2=0
	v_lshlrev_b32_e32 v69, 29, v66
	v_ashrrev_i32_e32 v67, 31, v70
	v_lshlrev_b32_e32 v70, 28, v66
	s_set_vgpr_msb 64                       ;  msbs: dst=1 src0=0 src1=0 src2=0
	v_dual_mov_b32 v45 /*v301*/, v131 :: v_dual_mov_b32 v44 /*v300*/, v145
	s_set_vgpr_msb 0                        ;  msbs: dst=0 src0=0 src1=0 src2=0
	v_not_b32_e32 v71, v69
	v_xor_b32_e32 v0, s14, v0
	v_xor_b32_e32 v67, s15, v67
	v_not_b32_e32 v80, v70
	v_cmp_gt_i32_e64 s14, 0, v69
	v_dual_ashrrev_i32 v69, 31, v71 :: v_dual_lshlrev_b32 v71, 27, v66
	v_cmp_gt_i32_e64 s15, 0, v70
	s_delay_alu instid0(VALU_DEP_4) | instskip(SKIP_1) | instid1(VALU_DEP_4)
	v_ashrrev_i32_e32 v70, 31, v80
	v_bitop3_b32 v0, v0, v67, exec_lo bitop3:0x80
	v_dual_lshlrev_b32 v67, 26, v66 :: v_dual_bitop2_b32 v69, s14, v69 bitop3:0x14
	v_not_b32_e32 v80, v71
	s_delay_alu instid0(VALU_DEP_4) | instskip(SKIP_1) | instid1(VALU_DEP_4)
	v_xor_b32_e32 v70, s15, v70
	v_cmp_gt_i32_e64 s14, 0, v71
	v_not_b32_e32 v71, v67
	v_cmp_gt_i32_e64 s15, 0, v67
	v_dual_ashrrev_i32 v80, 31, v80 :: v_dual_lshlrev_b32 v67, 24, v66
	v_bitop3_b32 v0, v0, v70, v69 bitop3:0x80
	s_delay_alu instid0(VALU_DEP_4) | instskip(SKIP_1) | instid1(VALU_DEP_4)
	v_ashrrev_i32_e32 v71, 31, v71
	v_not_b32_e32 v69, v81
	v_xor_b32_e32 v70, s14, v80
	v_not_b32_e32 v80, v67
	v_cmp_gt_i32_e64 s14, 0, v81
	s_delay_alu instid0(VALU_DEP_4) | instskip(SKIP_1) | instid1(VALU_DEP_4)
	v_dual_ashrrev_i32 v69, 31, v69 :: v_dual_bitop2_b32 v71, s15, v71 bitop3:0x14
	v_cmp_gt_i32_e64 s15, 0, v67
	v_dual_ashrrev_i32 v67, 31, v80 :: v_dual_lshlrev_b32 v66, 3, v66
	s_delay_alu instid0(VALU_DEP_3) | instskip(NEXT) | instid1(VALU_DEP_4)
	v_bitop3_b32 v70, v0, v71, v70 bitop3:0x80
	v_xor_b32_e32 v69, s14, v69
	s_set_vgpr_msb 64                       ;  msbs: dst=1 src0=0 src1=0 src2=0
	v_mov_b32_e32 v46 /*v302*/, v147
	s_set_vgpr_msb 0                        ;  msbs: dst=0 src0=0 src1=0 src2=0
	v_xor_b32_e32 v67, s15, v67
	s_set_vgpr_msb 4                        ;  msbs: dst=0 src0=0 src1=1 src2=0
	v_add_lshl_u32 v0, v66, v7 /*v263*/, 2
	s_set_vgpr_msb 0                        ;  msbs: dst=0 src0=0 src1=0 src2=0
	ds_store_b64 v31, v[64:65]
	s_set_vgpr_msb 1                        ;  msbs: dst=0 src0=1 src1=0 src2=0
	ds_store_b64 v1 /*v257*/, v[64:65]
	ds_store_b64 v3 /*v259*/, v[64:65]
	ds_store_b64 v5 /*v261*/, v[64:65]
	s_wait_dscnt 0x0
	s_set_vgpr_msb 0                        ;  msbs: dst=0 src0=0 src1=0 src2=0
	v_bitop3_b32 v69, v70, v67, v69 bitop3:0x80
	v_add_nc_u64_e32 v[66:67], v[12:13], v[0:1]
	s_barrier_signal -1
	s_barrier_wait -1
	s_delay_alu instid0(VALU_DEP_2) | instskip(SKIP_1) | instid1(VALU_DEP_3)
	v_mbcnt_lo_u32_b32 v0, v69, 0
	v_cmp_ne_u32_e64 s15, 0, v69
	v_add_nc_u64_e32 v[66:67], 32, v[66:67]
	; wave barrier
	s_delay_alu instid0(VALU_DEP_3) | instskip(SKIP_1) | instid1(SALU_CYCLE_1)
	v_cmp_eq_u32_e64 s14, 0, v0
	s_and_b32 s15, s15, s14
	s_and_saveexec_b32 s14, s15
; %bb.54:                               ;   in Loop: Header=BB2039_53 Depth=1
	v_bcnt_u32_b32 v67, v69, 0
	ds_store_b32 v66, v67
; %bb.55:                               ;   in Loop: Header=BB2039_53 Depth=1
	s_or_b32 exec_lo, exec_lo, s14
	s_set_vgpr_msb 4                        ;  msbs: dst=0 src0=0 src1=1 src2=0
	v_cmp_ne_u16_e64 s14, 0x7fff, v34 /*v290*/
	v_not_b32_e32 v83, v68
	; wave barrier
	s_delay_alu instid0(VALU_DEP_2) | instskip(SKIP_1) | instid1(VALU_DEP_1)
	v_cndmask_b32_e64 v67, 0xffff8000, v34 /*v290*/, s14
	s_set_vgpr_msb 0                        ;  msbs: dst=0 src0=0 src1=0 src2=0
	v_and_b32_e32 v67, 0xffff, v67
	s_delay_alu instid0(VALU_DEP_1) | instskip(NEXT) | instid1(VALU_DEP_1)
	v_lshrrev_b32_e32 v67, v10, v67
	v_and_b32_e32 v68, v67, v83
	s_delay_alu instid0(VALU_DEP_1) | instskip(SKIP_1) | instid1(VALU_DEP_2)
	v_lshlrev_b32_e32 v71, 30, v68
	v_bitop3_b32 v67, v67, 1, v83 bitop3:0x80
	v_cmp_gt_i32_e64 s15, 0, v71
	s_delay_alu instid0(VALU_DEP_2) | instskip(NEXT) | instid1(VALU_DEP_1)
	v_add_co_u32 v67, s14, v67, -1
	v_cndmask_b32_e64 v70, 0, 1, s14
	s_delay_alu instid0(VALU_DEP_1) | instskip(SKIP_1) | instid1(VALU_DEP_1)
	v_cmp_ne_u32_e64 s14, 0, v70
	v_not_b32_e32 v70, v71
	v_dual_ashrrev_i32 v70, 31, v70 :: v_dual_lshlrev_b32 v80, 29, v68
	v_dual_lshlrev_b32 v81, 28, v68 :: v_dual_lshlrev_b32 v82, 27, v68
	v_lshlrev_b32_e32 v84, 26, v68
	s_set_vgpr_msb 16                       ;  msbs: dst=0 src0=0 src1=0 src2=1
	v_lshl_add_u32 v69, v68, 3, v7 /*v263*/
	v_cmp_gt_i32_e64 s16, 0, v80
	v_not_b32_e32 v71, v80
	v_not_b32_e32 v80, v81
	v_dual_lshlrev_b32 v85, 25, v68 :: v_dual_lshlrev_b32 v68, 24, v68
	v_cmp_gt_i32_e64 s17, 0, v81
	v_cmp_gt_i32_e64 s18, 0, v82
	v_not_b32_e32 v81, v82
	v_not_b32_e32 v82, v84
	v_dual_ashrrev_i32 v80, 31, v80 :: v_dual_bitop2_b32 v67, s14, v67 bitop3:0x14
	v_dual_ashrrev_i32 v71, 31, v71 :: v_dual_bitop2_b32 v70, s15, v70 bitop3:0x14
	v_cmp_gt_i32_e64 s19, 0, v84
	v_not_b32_e32 v84, v85
	v_dual_ashrrev_i32 v81, 31, v81 :: v_dual_ashrrev_i32 v82, 31, v82
	s_delay_alu instid0(VALU_DEP_4)
	v_xor_b32_e32 v71, s16, v71
	v_bitop3_b32 v67, v67, v70, exec_lo bitop3:0x80
	v_not_b32_e32 v70, v68
	v_xor_b32_e32 v80, s17, v80
	v_cmp_gt_i32_e64 s20, 0, v85
	v_dual_ashrrev_i32 v84, 31, v84 :: v_dual_bitop2_b32 v81, s18, v81 bitop3:0x14
	v_cmp_gt_i32_e64 s14, 0, v68
	v_ashrrev_i32_e32 v68, 31, v70
	s_set_vgpr_msb 0                        ;  msbs: dst=0 src0=0 src1=0 src2=0
	v_bitop3_b32 v67, v67, v80, v71 bitop3:0x80
	v_lshl_add_u32 v69, v69, 2, v12
	v_xor_b32_e32 v82, s19, v82
	v_xor_b32_e32 v70, s20, v84
	;; [unrolled: 1-line block ×3, first 2 shown]
	s_delay_alu instid0(VALU_DEP_3) | instskip(SKIP_3) | instid1(VALU_DEP_1)
	v_bitop3_b32 v71, v67, v82, v81 bitop3:0x80
	ds_load_b32 v67, v69 offset:32
	v_add_nc_u32_e32 v69, 32, v69
	; wave barrier
	v_bitop3_b32 v70, v71, v68, v70 bitop3:0x80
	v_mbcnt_lo_u32_b32 v68, v70, 0
	v_cmp_ne_u32_e64 s15, 0, v70
	s_delay_alu instid0(VALU_DEP_2) | instskip(SKIP_1) | instid1(SALU_CYCLE_1)
	v_cmp_eq_u32_e64 s14, 0, v68
	s_and_b32 s15, s15, s14
	s_and_saveexec_b32 s14, s15
	s_cbranch_execz .LBB2039_57
; %bb.56:                               ;   in Loop: Header=BB2039_53 Depth=1
	s_wait_dscnt 0x0
	v_bcnt_u32_b32 v70, v70, v67
	ds_store_b32 v69, v70
.LBB2039_57:                            ;   in Loop: Header=BB2039_53 Depth=1
	s_or_b32 exec_lo, exec_lo, s14
	s_set_vgpr_msb 4                        ;  msbs: dst=0 src0=0 src1=1 src2=0
	v_cmp_ne_u16_e64 s14, 0x7fff, v33 /*v289*/
	; wave barrier
	s_delay_alu instid0(VALU_DEP_1) | instskip(SKIP_1) | instid1(VALU_DEP_1)
	v_cndmask_b32_e64 v70, 0xffff8000, v33 /*v289*/, s14
	s_set_vgpr_msb 0                        ;  msbs: dst=0 src0=0 src1=0 src2=0
	v_and_b32_e32 v70, 0xffff, v70
	s_delay_alu instid0(VALU_DEP_1) | instskip(NEXT) | instid1(VALU_DEP_1)
	v_lshrrev_b32_e32 v70, v10, v70
	v_and_b32_e32 v71, v70, v83
	s_delay_alu instid0(VALU_DEP_1) | instskip(SKIP_1) | instid1(VALU_DEP_2)
	v_lshlrev_b32_e32 v82, 30, v71
	v_bitop3_b32 v70, v70, 1, v83 bitop3:0x80
	v_cmp_gt_i32_e64 s15, 0, v82
	s_delay_alu instid0(VALU_DEP_2) | instskip(NEXT) | instid1(VALU_DEP_1)
	v_add_co_u32 v70, s14, v70, -1
	v_cndmask_b32_e64 v81, 0, 1, s14
	s_delay_alu instid0(VALU_DEP_1) | instskip(SKIP_1) | instid1(VALU_DEP_1)
	v_cmp_ne_u32_e64 s14, 0, v81
	v_not_b32_e32 v81, v82
	v_dual_ashrrev_i32 v81, 31, v81 :: v_dual_lshlrev_b32 v84, 29, v71
	v_dual_lshlrev_b32 v85, 28, v71 :: v_dual_lshlrev_b32 v86, 27, v71
	v_lshlrev_b32_e32 v87, 26, v71
	s_set_vgpr_msb 16                       ;  msbs: dst=0 src0=0 src1=0 src2=1
	v_lshl_add_u32 v80, v71, 3, v7 /*v263*/
	v_cmp_gt_i32_e64 s16, 0, v84
	v_not_b32_e32 v82, v84
	v_not_b32_e32 v84, v85
	v_dual_lshlrev_b32 v96, 25, v71 :: v_dual_lshlrev_b32 v71, 24, v71
	v_cmp_gt_i32_e64 s17, 0, v85
	v_cmp_gt_i32_e64 s18, 0, v86
	v_not_b32_e32 v85, v86
	v_not_b32_e32 v86, v87
	v_dual_ashrrev_i32 v84, 31, v84 :: v_dual_bitop2_b32 v70, s14, v70 bitop3:0x14
	s_delay_alu instid0(VALU_DEP_3) | instskip(NEXT) | instid1(VALU_DEP_3)
	v_dual_ashrrev_i32 v82, 31, v82 :: v_dual_ashrrev_i32 v85, 31, v85
	v_dual_ashrrev_i32 v86, 31, v86 :: v_dual_bitop2_b32 v81, s15, v81 bitop3:0x14
	v_cmp_gt_i32_e64 s19, 0, v87
	v_not_b32_e32 v87, v96
	v_not_b32_e32 v97, v71
	v_xor_b32_e32 v82, s16, v82
	v_xor_b32_e32 v84, s17, v84
	v_bitop3_b32 v70, v70, v81, exec_lo bitop3:0x80
	v_xor_b32_e32 v81, s19, v86
	v_cmp_gt_i32_e64 s14, 0, v96
	v_ashrrev_i32_e32 v86, 31, v87
	v_cmp_gt_i32_e64 s15, 0, v71
	v_ashrrev_i32_e32 v71, 31, v97
	s_set_vgpr_msb 0                        ;  msbs: dst=0 src0=0 src1=0 src2=0
	v_bitop3_b32 v70, v70, v84, v82 bitop3:0x80
	v_lshl_add_u32 v80, v80, 2, v12
	v_xor_b32_e32 v85, s18, v85
	v_xor_b32_e32 v82, s14, v86
	;; [unrolled: 1-line block ×3, first 2 shown]
	s_delay_alu instid0(VALU_DEP_3) | instskip(SKIP_3) | instid1(VALU_DEP_1)
	v_bitop3_b32 v81, v70, v81, v85 bitop3:0x80
	ds_load_b32 v70, v80 offset:32
	v_add_nc_u32_e32 v80, 32, v80
	; wave barrier
	v_bitop3_b32 v81, v81, v71, v82 bitop3:0x80
	v_mbcnt_lo_u32_b32 v71, v81, 0
	v_cmp_ne_u32_e64 s15, 0, v81
	s_delay_alu instid0(VALU_DEP_2) | instskip(SKIP_1) | instid1(SALU_CYCLE_1)
	v_cmp_eq_u32_e64 s14, 0, v71
	s_and_b32 s15, s15, s14
	s_and_saveexec_b32 s14, s15
	s_cbranch_execz .LBB2039_59
; %bb.58:                               ;   in Loop: Header=BB2039_53 Depth=1
	s_wait_dscnt 0x0
	v_bcnt_u32_b32 v81, v81, v70
	ds_store_b32 v80, v81
.LBB2039_59:                            ;   in Loop: Header=BB2039_53 Depth=1
	s_or_b32 exec_lo, exec_lo, s14
	s_set_vgpr_msb 4                        ;  msbs: dst=0 src0=0 src1=1 src2=0
	v_cmp_ne_u16_e64 s14, 0x7fff, v32 /*v288*/
	; wave barrier
	s_delay_alu instid0(VALU_DEP_1) | instskip(SKIP_1) | instid1(VALU_DEP_1)
	v_cndmask_b32_e64 v81, 0xffff8000, v32 /*v288*/, s14
	s_set_vgpr_msb 0                        ;  msbs: dst=0 src0=0 src1=0 src2=0
	v_and_b32_e32 v81, 0xffff, v81
	s_delay_alu instid0(VALU_DEP_1) | instskip(NEXT) | instid1(VALU_DEP_1)
	v_lshrrev_b32_e32 v81, v10, v81
	v_and_b32_e32 v82, v81, v83
	s_delay_alu instid0(VALU_DEP_1) | instskip(SKIP_1) | instid1(VALU_DEP_2)
	v_lshlrev_b32_e32 v86, 30, v82
	v_bitop3_b32 v81, v81, 1, v83 bitop3:0x80
	v_cmp_gt_i32_e64 s15, 0, v86
	s_delay_alu instid0(VALU_DEP_2) | instskip(NEXT) | instid1(VALU_DEP_1)
	v_add_co_u32 v81, s14, v81, -1
	v_cndmask_b32_e64 v85, 0, 1, s14
	s_delay_alu instid0(VALU_DEP_1) | instskip(SKIP_1) | instid1(VALU_DEP_1)
	v_cmp_ne_u32_e64 s14, 0, v85
	v_not_b32_e32 v85, v86
	v_dual_ashrrev_i32 v85, 31, v85 :: v_dual_lshlrev_b32 v87, 29, v82
	v_dual_lshlrev_b32 v96, 28, v82 :: v_dual_lshlrev_b32 v97, 27, v82
	v_dual_lshlrev_b32 v98, 26, v82 :: v_dual_lshlrev_b32 v99, 25, v82
	s_delay_alu instid0(VALU_DEP_3) | instskip(SKIP_1) | instid1(VALU_DEP_4)
	v_cmp_gt_i32_e64 s16, 0, v87
	v_not_b32_e32 v86, v87
	v_not_b32_e32 v87, v96
	s_set_vgpr_msb 16                       ;  msbs: dst=0 src0=0 src1=0 src2=1
	v_lshl_add_u32 v84, v82, 3, v7 /*v263*/
	v_lshlrev_b32_e32 v82, 24, v82
	v_cmp_gt_i32_e64 s17, 0, v96
	v_cmp_gt_i32_e64 s18, 0, v97
	v_not_b32_e32 v96, v97
	v_cmp_gt_i32_e64 s19, 0, v98
	v_not_b32_e32 v97, v98
	v_not_b32_e32 v98, v99
	v_dual_ashrrev_i32 v86, 31, v86 :: v_dual_bitop2_b32 v81, s14, v81 bitop3:0x14
	v_dual_ashrrev_i32 v87, 31, v87 :: v_dual_ashrrev_i32 v96, 31, v96
	v_xor_b32_e32 v85, s15, v85
	v_not_b32_e32 v100, v82
	s_delay_alu instid0(VALU_DEP_4) | instskip(NEXT) | instid1(VALU_DEP_4)
	v_dual_ashrrev_i32 v97, 31, v97 :: v_dual_bitop2_b32 v86, s16, v86 bitop3:0x14
	v_xor_b32_e32 v87, s17, v87
	s_delay_alu instid0(VALU_DEP_4)
	v_bitop3_b32 v81, v81, v85, exec_lo bitop3:0x80
	v_xor_b32_e32 v96, s18, v96
	v_cmp_gt_i32_e64 s14, 0, v99
	v_cmp_gt_i32_e64 s15, 0, v82
	v_ashrrev_i32_e32 v82, 31, v100
	s_set_vgpr_msb 0                        ;  msbs: dst=0 src0=0 src1=0 src2=0
	v_bitop3_b32 v81, v81, v87, v86 bitop3:0x80
	v_lshl_add_u32 v84, v84, 2, v12
	v_dual_ashrrev_i32 v97, 31, v98 :: v_dual_bitop2_b32 v85, s19, v97 bitop3:0x14
	v_xor_b32_e32 v82, s15, v82
	s_delay_alu instid0(VALU_DEP_2) | instskip(NEXT) | instid1(VALU_DEP_3)
	v_bitop3_b32 v85, v81, v85, v96 bitop3:0x80
	v_xor_b32_e32 v86, s14, v97
	ds_load_b32 v81, v84 offset:32
	v_add_nc_u32_e32 v84, 32, v84
	; wave barrier
	v_bitop3_b32 v85, v85, v82, v86 bitop3:0x80
	s_delay_alu instid0(VALU_DEP_1) | instskip(SKIP_1) | instid1(VALU_DEP_2)
	v_mbcnt_lo_u32_b32 v82, v85, 0
	v_cmp_ne_u32_e64 s15, 0, v85
	v_cmp_eq_u32_e64 s14, 0, v82
	s_and_b32 s15, s15, s14
	s_delay_alu instid0(SALU_CYCLE_1)
	s_and_saveexec_b32 s14, s15
	s_cbranch_execz .LBB2039_61
; %bb.60:                               ;   in Loop: Header=BB2039_53 Depth=1
	s_wait_dscnt 0x0
	v_bcnt_u32_b32 v85, v85, v81
	ds_store_b32 v84, v85
.LBB2039_61:                            ;   in Loop: Header=BB2039_53 Depth=1
	s_or_b32 exec_lo, exec_lo, s14
	s_set_vgpr_msb 4                        ;  msbs: dst=0 src0=0 src1=1 src2=0
	v_cmp_ne_u16_e64 s14, 0x7fff, v35 /*v291*/
	; wave barrier
	s_delay_alu instid0(VALU_DEP_1) | instskip(SKIP_1) | instid1(VALU_DEP_1)
	v_cndmask_b32_e64 v85, 0xffff8000, v35 /*v291*/, s14
	s_set_vgpr_msb 0                        ;  msbs: dst=0 src0=0 src1=0 src2=0
	v_and_b32_e32 v85, 0xffff, v85
	s_delay_alu instid0(VALU_DEP_1) | instskip(NEXT) | instid1(VALU_DEP_1)
	v_lshrrev_b32_e32 v85, v10, v85
	v_and_b32_e32 v86, v85, v83
	s_delay_alu instid0(VALU_DEP_1) | instskip(SKIP_1) | instid1(VALU_DEP_2)
	v_lshlrev_b32_e32 v97, 30, v86
	v_bitop3_b32 v85, v85, 1, v83 bitop3:0x80
	v_cmp_gt_i32_e64 s15, 0, v97
	s_delay_alu instid0(VALU_DEP_2) | instskip(NEXT) | instid1(VALU_DEP_1)
	v_add_co_u32 v85, s14, v85, -1
	v_cndmask_b32_e64 v96, 0, 1, s14
	s_delay_alu instid0(VALU_DEP_1) | instskip(SKIP_1) | instid1(VALU_DEP_1)
	v_cmp_ne_u32_e64 s14, 0, v96
	v_not_b32_e32 v96, v97
	v_dual_ashrrev_i32 v96, 31, v96 :: v_dual_lshlrev_b32 v98, 29, v86
	v_dual_lshlrev_b32 v99, 28, v86 :: v_dual_lshlrev_b32 v100, 27, v86
	v_dual_lshlrev_b32 v101, 26, v86 :: v_dual_lshlrev_b32 v102, 25, v86
	s_delay_alu instid0(VALU_DEP_3) | instskip(SKIP_1) | instid1(VALU_DEP_4)
	v_cmp_gt_i32_e64 s16, 0, v98
	v_not_b32_e32 v97, v98
	v_not_b32_e32 v98, v99
	s_set_vgpr_msb 16                       ;  msbs: dst=0 src0=0 src1=0 src2=1
	v_lshl_add_u32 v87, v86, 3, v7 /*v263*/
	v_lshlrev_b32_e32 v86, 24, v86
	v_cmp_gt_i32_e64 s17, 0, v99
	v_cmp_gt_i32_e64 s18, 0, v100
	v_not_b32_e32 v99, v100
	v_cmp_gt_i32_e64 s19, 0, v101
	v_not_b32_e32 v100, v101
	v_not_b32_e32 v101, v102
	v_dual_ashrrev_i32 v98, 31, v98 :: v_dual_bitop2_b32 v85, s14, v85 bitop3:0x14
	v_dual_ashrrev_i32 v97, 31, v97 :: v_dual_ashrrev_i32 v99, 31, v99
	v_xor_b32_e32 v96, s15, v96
	v_not_b32_e32 v103, v86
	s_delay_alu instid0(VALU_DEP_3) | instskip(SKIP_1) | instid1(VALU_DEP_4)
	v_dual_ashrrev_i32 v100, 31, v100 :: v_dual_bitop2_b32 v97, s16, v97 bitop3:0x14
	v_xor_b32_e32 v98, s17, v98
	v_bitop3_b32 v85, v85, v96, exec_lo bitop3:0x80
	v_xor_b32_e32 v99, s18, v99
	v_cmp_gt_i32_e64 s14, 0, v102
	v_cmp_gt_i32_e64 s15, 0, v86
	v_ashrrev_i32_e32 v86, 31, v103
	s_set_vgpr_msb 0                        ;  msbs: dst=0 src0=0 src1=0 src2=0
	v_bitop3_b32 v85, v85, v98, v97 bitop3:0x80
	v_lshl_add_u32 v87, v87, 2, v12
	v_dual_ashrrev_i32 v100, 31, v101 :: v_dual_bitop2_b32 v96, s19, v100 bitop3:0x14
	v_xor_b32_e32 v86, s15, v86
	s_delay_alu instid0(VALU_DEP_2) | instskip(NEXT) | instid1(VALU_DEP_3)
	v_bitop3_b32 v96, v85, v96, v99 bitop3:0x80
	v_xor_b32_e32 v97, s14, v100
	ds_load_b32 v85, v87 offset:32
	v_add_nc_u32_e32 v87, 32, v87
	; wave barrier
	v_bitop3_b32 v96, v96, v86, v97 bitop3:0x80
	s_delay_alu instid0(VALU_DEP_1) | instskip(SKIP_1) | instid1(VALU_DEP_2)
	v_mbcnt_lo_u32_b32 v86, v96, 0
	v_cmp_ne_u32_e64 s15, 0, v96
	v_cmp_eq_u32_e64 s14, 0, v86
	s_and_b32 s15, s15, s14
	s_delay_alu instid0(SALU_CYCLE_1)
	s_and_saveexec_b32 s14, s15
	s_cbranch_execz .LBB2039_63
; %bb.62:                               ;   in Loop: Header=BB2039_53 Depth=1
	s_wait_dscnt 0x0
	v_bcnt_u32_b32 v96, v96, v85
	ds_store_b32 v87, v96
.LBB2039_63:                            ;   in Loop: Header=BB2039_53 Depth=1
	s_or_b32 exec_lo, exec_lo, s14
	s_set_vgpr_msb 4                        ;  msbs: dst=0 src0=0 src1=1 src2=0
	v_cmp_ne_u16_e64 s14, 0x7fff, v37 /*v293*/
	; wave barrier
	s_delay_alu instid0(VALU_DEP_1) | instskip(SKIP_1) | instid1(VALU_DEP_1)
	v_cndmask_b32_e64 v96, 0xffff8000, v37 /*v293*/, s14
	s_set_vgpr_msb 0                        ;  msbs: dst=0 src0=0 src1=0 src2=0
	v_and_b32_e32 v96, 0xffff, v96
	s_delay_alu instid0(VALU_DEP_1) | instskip(NEXT) | instid1(VALU_DEP_1)
	v_lshrrev_b32_e32 v96, v10, v96
	v_and_b32_e32 v97, v96, v83
	s_delay_alu instid0(VALU_DEP_1) | instskip(SKIP_2) | instid1(VALU_DEP_3)
	v_lshlrev_b32_e32 v100, 30, v97
	v_bitop3_b32 v96, v96, 1, v83 bitop3:0x80
	v_lshlrev_b32_e32 v101, 29, v97
	v_cmp_gt_i32_e64 s15, 0, v100
	s_delay_alu instid0(VALU_DEP_3) | instskip(NEXT) | instid1(VALU_DEP_1)
	v_add_co_u32 v96, s14, v96, -1
	v_cndmask_b32_e64 v99, 0, 1, s14
	s_delay_alu instid0(VALU_DEP_1) | instskip(SKIP_2) | instid1(VALU_DEP_2)
	v_cmp_ne_u32_e64 s14, 0, v99
	v_not_b32_e32 v99, v100
	v_not_b32_e32 v100, v101
	v_dual_ashrrev_i32 v99, 31, v99 :: v_dual_bitop2_b32 v96, s14, v96 bitop3:0x14
	s_delay_alu instid0(VALU_DEP_2) | instskip(SKIP_3) | instid1(VALU_DEP_4)
	v_dual_ashrrev_i32 v100, 31, v100 :: v_dual_lshlrev_b32 v102, 28, v97
	v_dual_lshlrev_b32 v103, 27, v97 :: v_dual_lshlrev_b32 v112, 26, v97
	v_lshlrev_b32_e32 v113, 25, v97
	v_cmp_gt_i32_e64 s16, 0, v101
	v_not_b32_e32 v101, v102
	s_set_vgpr_msb 16                       ;  msbs: dst=0 src0=0 src1=0 src2=1
	v_lshl_add_u32 v98, v97, 3, v7 /*v263*/
	v_lshlrev_b32_e32 v97, 24, v97
	v_cmp_gt_i32_e64 s17, 0, v102
	v_cmp_gt_i32_e64 s18, 0, v103
	v_not_b32_e32 v102, v103
	v_cmp_gt_i32_e64 s19, 0, v112
	v_not_b32_e32 v103, v112
	v_not_b32_e32 v112, v113
	s_delay_alu instid0(VALU_DEP_4) | instskip(SKIP_3) | instid1(VALU_DEP_4)
	v_dual_ashrrev_i32 v101, 31, v101 :: v_dual_ashrrev_i32 v102, 31, v102
	v_xor_b32_e32 v99, s15, v99
	v_not_b32_e32 v114, v97
	v_dual_ashrrev_i32 v103, 31, v103 :: v_dual_bitop2_b32 v100, s16, v100 bitop3:0x14
	v_xor_b32_e32 v101, s17, v101
	s_delay_alu instid0(VALU_DEP_4)
	v_bitop3_b32 v96, v96, v99, exec_lo bitop3:0x80
	v_xor_b32_e32 v102, s18, v102
	v_cmp_gt_i32_e64 s14, 0, v113
	v_cmp_gt_i32_e64 s15, 0, v97
	v_ashrrev_i32_e32 v97, 31, v114
	s_set_vgpr_msb 0                        ;  msbs: dst=0 src0=0 src1=0 src2=0
	v_bitop3_b32 v96, v96, v101, v100 bitop3:0x80
	v_lshl_add_u32 v98, v98, 2, v12
	v_dual_ashrrev_i32 v103, 31, v112 :: v_dual_bitop2_b32 v99, s19, v103 bitop3:0x14
	v_xor_b32_e32 v97, s15, v97
	s_delay_alu instid0(VALU_DEP_2) | instskip(NEXT) | instid1(VALU_DEP_3)
	v_bitop3_b32 v99, v96, v99, v102 bitop3:0x80
	v_xor_b32_e32 v100, s14, v103
	ds_load_b32 v96, v98 offset:32
	v_add_nc_u32_e32 v98, 32, v98
	; wave barrier
	v_bitop3_b32 v99, v99, v97, v100 bitop3:0x80
	s_delay_alu instid0(VALU_DEP_1) | instskip(SKIP_1) | instid1(VALU_DEP_2)
	v_mbcnt_lo_u32_b32 v97, v99, 0
	v_cmp_ne_u32_e64 s15, 0, v99
	v_cmp_eq_u32_e64 s14, 0, v97
	s_and_b32 s15, s15, s14
	s_delay_alu instid0(SALU_CYCLE_1)
	s_and_saveexec_b32 s14, s15
	s_cbranch_execz .LBB2039_65
; %bb.64:                               ;   in Loop: Header=BB2039_53 Depth=1
	s_wait_dscnt 0x0
	v_bcnt_u32_b32 v99, v99, v96
	ds_store_b32 v98, v99
.LBB2039_65:                            ;   in Loop: Header=BB2039_53 Depth=1
	s_or_b32 exec_lo, exec_lo, s14
	s_set_vgpr_msb 4                        ;  msbs: dst=0 src0=0 src1=1 src2=0
	v_cmp_ne_u16_e64 s14, 0x7fff, v36 /*v292*/
	; wave barrier
	s_delay_alu instid0(VALU_DEP_1) | instskip(SKIP_1) | instid1(VALU_DEP_1)
	v_cndmask_b32_e64 v99, 0xffff8000, v36 /*v292*/, s14
	s_set_vgpr_msb 0                        ;  msbs: dst=0 src0=0 src1=0 src2=0
	v_and_b32_e32 v99, 0xffff, v99
	s_delay_alu instid0(VALU_DEP_1) | instskip(NEXT) | instid1(VALU_DEP_1)
	v_lshrrev_b32_e32 v99, v10, v99
	v_and_b32_e32 v100, v99, v83
	s_delay_alu instid0(VALU_DEP_1) | instskip(SKIP_1) | instid1(VALU_DEP_2)
	v_lshlrev_b32_e32 v103, 30, v100
	v_bitop3_b32 v99, v99, 1, v83 bitop3:0x80
	v_cmp_gt_i32_e64 s15, 0, v103
	s_delay_alu instid0(VALU_DEP_2) | instskip(NEXT) | instid1(VALU_DEP_1)
	v_add_co_u32 v99, s14, v99, -1
	v_cndmask_b32_e64 v102, 0, 1, s14
	s_delay_alu instid0(VALU_DEP_1) | instskip(SKIP_1) | instid1(VALU_DEP_1)
	v_cmp_ne_u32_e64 s14, 0, v102
	v_not_b32_e32 v102, v103
	v_dual_ashrrev_i32 v102, 31, v102 :: v_dual_lshlrev_b32 v112, 29, v100
	v_dual_lshlrev_b32 v113, 28, v100 :: v_dual_lshlrev_b32 v114, 27, v100
	v_dual_lshlrev_b32 v115, 26, v100 :: v_dual_lshlrev_b32 v116, 25, v100
	s_delay_alu instid0(VALU_DEP_3) | instskip(SKIP_1) | instid1(VALU_DEP_4)
	v_cmp_gt_i32_e64 s16, 0, v112
	v_not_b32_e32 v103, v112
	v_not_b32_e32 v112, v113
	s_set_vgpr_msb 16                       ;  msbs: dst=0 src0=0 src1=0 src2=1
	v_lshl_add_u32 v101, v100, 3, v7 /*v263*/
	v_lshlrev_b32_e32 v100, 24, v100
	v_cmp_gt_i32_e64 s17, 0, v113
	v_cmp_gt_i32_e64 s18, 0, v114
	v_not_b32_e32 v113, v114
	v_cmp_gt_i32_e64 s19, 0, v115
	v_not_b32_e32 v114, v115
	v_not_b32_e32 v115, v116
	v_dual_ashrrev_i32 v112, 31, v112 :: v_dual_bitop2_b32 v99, s14, v99 bitop3:0x14
	v_dual_ashrrev_i32 v103, 31, v103 :: v_dual_ashrrev_i32 v113, 31, v113
	v_xor_b32_e32 v102, s15, v102
	v_not_b32_e32 v117, v100
	s_delay_alu instid0(VALU_DEP_3) | instskip(SKIP_1) | instid1(VALU_DEP_4)
	v_dual_ashrrev_i32 v114, 31, v114 :: v_dual_bitop2_b32 v103, s16, v103 bitop3:0x14
	v_xor_b32_e32 v112, s17, v112
	v_bitop3_b32 v99, v99, v102, exec_lo bitop3:0x80
	v_xor_b32_e32 v113, s18, v113
	v_cmp_gt_i32_e64 s14, 0, v116
	v_cmp_gt_i32_e64 s15, 0, v100
	v_ashrrev_i32_e32 v100, 31, v117
	s_set_vgpr_msb 0                        ;  msbs: dst=0 src0=0 src1=0 src2=0
	v_bitop3_b32 v99, v99, v112, v103 bitop3:0x80
	v_lshl_add_u32 v101, v101, 2, v12
	v_dual_ashrrev_i32 v114, 31, v115 :: v_dual_bitop2_b32 v102, s19, v114 bitop3:0x14
	v_xor_b32_e32 v100, s15, v100
	s_delay_alu instid0(VALU_DEP_2) | instskip(NEXT) | instid1(VALU_DEP_3)
	v_bitop3_b32 v102, v99, v102, v113 bitop3:0x80
	v_xor_b32_e32 v103, s14, v114
	ds_load_b32 v99, v101 offset:32
	v_add_nc_u32_e32 v101, 32, v101
	; wave barrier
	v_bitop3_b32 v102, v102, v100, v103 bitop3:0x80
	s_delay_alu instid0(VALU_DEP_1) | instskip(SKIP_1) | instid1(VALU_DEP_2)
	v_mbcnt_lo_u32_b32 v100, v102, 0
	v_cmp_ne_u32_e64 s15, 0, v102
	v_cmp_eq_u32_e64 s14, 0, v100
	s_and_b32 s15, s15, s14
	s_delay_alu instid0(SALU_CYCLE_1)
	s_and_saveexec_b32 s14, s15
	s_cbranch_execz .LBB2039_67
; %bb.66:                               ;   in Loop: Header=BB2039_53 Depth=1
	s_wait_dscnt 0x0
	v_bcnt_u32_b32 v102, v102, v99
	ds_store_b32 v101, v102
.LBB2039_67:                            ;   in Loop: Header=BB2039_53 Depth=1
	s_or_b32 exec_lo, exec_lo, s14
	s_set_vgpr_msb 4                        ;  msbs: dst=0 src0=0 src1=1 src2=0
	v_cmp_ne_u16_e64 s14, 0x7fff, v39 /*v295*/
	; wave barrier
	s_delay_alu instid0(VALU_DEP_1) | instskip(SKIP_1) | instid1(VALU_DEP_1)
	v_cndmask_b32_e64 v102, 0xffff8000, v39 /*v295*/, s14
	s_set_vgpr_msb 0                        ;  msbs: dst=0 src0=0 src1=0 src2=0
	v_and_b32_e32 v102, 0xffff, v102
	s_delay_alu instid0(VALU_DEP_1) | instskip(NEXT) | instid1(VALU_DEP_1)
	v_lshrrev_b32_e32 v102, v10, v102
	v_and_b32_e32 v103, v102, v83
	s_delay_alu instid0(VALU_DEP_1) | instskip(SKIP_1) | instid1(VALU_DEP_2)
	v_lshlrev_b32_e32 v114, 30, v103
	v_bitop3_b32 v102, v102, 1, v83 bitop3:0x80
	v_cmp_gt_i32_e64 s15, 0, v114
	s_delay_alu instid0(VALU_DEP_2) | instskip(NEXT) | instid1(VALU_DEP_1)
	v_add_co_u32 v102, s14, v102, -1
	v_cndmask_b32_e64 v113, 0, 1, s14
	s_delay_alu instid0(VALU_DEP_1) | instskip(SKIP_1) | instid1(VALU_DEP_1)
	v_cmp_ne_u32_e64 s14, 0, v113
	v_not_b32_e32 v113, v114
	v_dual_ashrrev_i32 v113, 31, v113 :: v_dual_lshlrev_b32 v115, 29, v103
	v_dual_lshlrev_b32 v116, 28, v103 :: v_dual_lshlrev_b32 v117, 27, v103
	v_dual_lshlrev_b32 v118, 26, v103 :: v_dual_lshlrev_b32 v119, 25, v103
	s_delay_alu instid0(VALU_DEP_3) | instskip(SKIP_1) | instid1(VALU_DEP_4)
	v_cmp_gt_i32_e64 s16, 0, v115
	v_not_b32_e32 v114, v115
	v_not_b32_e32 v115, v116
	s_set_vgpr_msb 16                       ;  msbs: dst=0 src0=0 src1=0 src2=1
	v_lshl_add_u32 v112, v103, 3, v7 /*v263*/
	v_lshlrev_b32_e32 v103, 24, v103
	v_cmp_gt_i32_e64 s17, 0, v116
	v_cmp_gt_i32_e64 s18, 0, v117
	v_not_b32_e32 v116, v117
	v_cmp_gt_i32_e64 s19, 0, v118
	v_not_b32_e32 v117, v118
	v_not_b32_e32 v118, v119
	v_dual_ashrrev_i32 v115, 31, v115 :: v_dual_bitop2_b32 v102, s14, v102 bitop3:0x14
	v_dual_ashrrev_i32 v114, 31, v114 :: v_dual_ashrrev_i32 v116, 31, v116
	v_xor_b32_e32 v113, s15, v113
	v_not_b32_e32 v128, v103
	s_delay_alu instid0(VALU_DEP_3) | instskip(SKIP_1) | instid1(VALU_DEP_4)
	v_dual_ashrrev_i32 v117, 31, v117 :: v_dual_bitop2_b32 v114, s16, v114 bitop3:0x14
	v_xor_b32_e32 v115, s17, v115
	v_bitop3_b32 v102, v102, v113, exec_lo bitop3:0x80
	v_xor_b32_e32 v116, s18, v116
	v_cmp_gt_i32_e64 s14, 0, v119
	v_cmp_gt_i32_e64 s15, 0, v103
	v_ashrrev_i32_e32 v103, 31, v128
	s_set_vgpr_msb 0                        ;  msbs: dst=0 src0=0 src1=0 src2=0
	v_bitop3_b32 v102, v102, v115, v114 bitop3:0x80
	v_lshl_add_u32 v112, v112, 2, v12
	v_dual_ashrrev_i32 v117, 31, v118 :: v_dual_bitop2_b32 v113, s19, v117 bitop3:0x14
	v_xor_b32_e32 v103, s15, v103
	s_delay_alu instid0(VALU_DEP_2) | instskip(NEXT) | instid1(VALU_DEP_3)
	v_bitop3_b32 v113, v102, v113, v116 bitop3:0x80
	v_xor_b32_e32 v114, s14, v117
	ds_load_b32 v102, v112 offset:32
	v_add_nc_u32_e32 v112, 32, v112
	; wave barrier
	v_bitop3_b32 v113, v113, v103, v114 bitop3:0x80
	s_delay_alu instid0(VALU_DEP_1) | instskip(SKIP_1) | instid1(VALU_DEP_2)
	v_mbcnt_lo_u32_b32 v103, v113, 0
	v_cmp_ne_u32_e64 s15, 0, v113
	v_cmp_eq_u32_e64 s14, 0, v103
	s_and_b32 s15, s15, s14
	s_delay_alu instid0(SALU_CYCLE_1)
	s_and_saveexec_b32 s14, s15
	s_cbranch_execz .LBB2039_69
; %bb.68:                               ;   in Loop: Header=BB2039_53 Depth=1
	s_wait_dscnt 0x0
	v_bcnt_u32_b32 v113, v113, v102
	ds_store_b32 v112, v113
.LBB2039_69:                            ;   in Loop: Header=BB2039_53 Depth=1
	s_or_b32 exec_lo, exec_lo, s14
	s_set_vgpr_msb 4                        ;  msbs: dst=0 src0=0 src1=1 src2=0
	v_cmp_ne_u16_e64 s14, 0x7fff, v38 /*v294*/
	; wave barrier
	s_delay_alu instid0(VALU_DEP_1) | instskip(SKIP_1) | instid1(VALU_DEP_1)
	v_cndmask_b32_e64 v113, 0xffff8000, v38 /*v294*/, s14
	s_set_vgpr_msb 0                        ;  msbs: dst=0 src0=0 src1=0 src2=0
	v_and_b32_e32 v113, 0xffff, v113
	s_delay_alu instid0(VALU_DEP_1) | instskip(NEXT) | instid1(VALU_DEP_1)
	v_lshrrev_b32_e32 v113, v10, v113
	v_and_b32_e32 v114, v113, v83
	s_delay_alu instid0(VALU_DEP_1) | instskip(SKIP_1) | instid1(VALU_DEP_2)
	v_lshlrev_b32_e32 v117, 30, v114
	v_bitop3_b32 v113, v113, 1, v83 bitop3:0x80
	v_cmp_gt_i32_e64 s15, 0, v117
	s_delay_alu instid0(VALU_DEP_2) | instskip(NEXT) | instid1(VALU_DEP_1)
	v_add_co_u32 v113, s14, v113, -1
	v_cndmask_b32_e64 v116, 0, 1, s14
	s_delay_alu instid0(VALU_DEP_1) | instskip(SKIP_1) | instid1(VALU_DEP_1)
	v_cmp_ne_u32_e64 s14, 0, v116
	v_not_b32_e32 v116, v117
	v_dual_ashrrev_i32 v116, 31, v116 :: v_dual_lshlrev_b32 v118, 29, v114
	v_dual_lshlrev_b32 v119, 28, v114 :: v_dual_lshlrev_b32 v128, 27, v114
	v_dual_lshlrev_b32 v129, 26, v114 :: v_dual_lshlrev_b32 v130, 25, v114
	s_delay_alu instid0(VALU_DEP_3) | instskip(SKIP_1) | instid1(VALU_DEP_4)
	v_cmp_gt_i32_e64 s16, 0, v118
	v_not_b32_e32 v117, v118
	v_not_b32_e32 v118, v119
	s_set_vgpr_msb 16                       ;  msbs: dst=0 src0=0 src1=0 src2=1
	v_lshl_add_u32 v115, v114, 3, v7 /*v263*/
	v_lshlrev_b32_e32 v114, 24, v114
	v_cmp_gt_i32_e64 s17, 0, v119
	v_cmp_gt_i32_e64 s18, 0, v128
	v_not_b32_e32 v119, v128
	v_cmp_gt_i32_e64 s19, 0, v129
	v_not_b32_e32 v128, v129
	v_not_b32_e32 v129, v130
	v_dual_ashrrev_i32 v118, 31, v118 :: v_dual_bitop2_b32 v113, s14, v113 bitop3:0x14
	v_dual_ashrrev_i32 v117, 31, v117 :: v_dual_ashrrev_i32 v119, 31, v119
	v_xor_b32_e32 v116, s15, v116
	v_not_b32_e32 v131, v114
	s_delay_alu instid0(VALU_DEP_3) | instskip(SKIP_1) | instid1(VALU_DEP_4)
	v_dual_ashrrev_i32 v128, 31, v128 :: v_dual_bitop2_b32 v117, s16, v117 bitop3:0x14
	v_xor_b32_e32 v118, s17, v118
	v_bitop3_b32 v113, v113, v116, exec_lo bitop3:0x80
	v_xor_b32_e32 v119, s18, v119
	v_cmp_gt_i32_e64 s14, 0, v130
	v_cmp_gt_i32_e64 s15, 0, v114
	v_ashrrev_i32_e32 v114, 31, v131
	s_set_vgpr_msb 0                        ;  msbs: dst=0 src0=0 src1=0 src2=0
	v_bitop3_b32 v113, v113, v118, v117 bitop3:0x80
	v_lshl_add_u32 v115, v115, 2, v12
	v_dual_ashrrev_i32 v128, 31, v129 :: v_dual_bitop2_b32 v116, s19, v128 bitop3:0x14
	v_xor_b32_e32 v114, s15, v114
	s_delay_alu instid0(VALU_DEP_2) | instskip(NEXT) | instid1(VALU_DEP_3)
	v_bitop3_b32 v116, v113, v116, v119 bitop3:0x80
	v_xor_b32_e32 v117, s14, v128
	ds_load_b32 v113, v115 offset:32
	v_add_nc_u32_e32 v115, 32, v115
	; wave barrier
	v_bitop3_b32 v116, v116, v114, v117 bitop3:0x80
	s_delay_alu instid0(VALU_DEP_1) | instskip(SKIP_1) | instid1(VALU_DEP_2)
	v_mbcnt_lo_u32_b32 v114, v116, 0
	v_cmp_ne_u32_e64 s15, 0, v116
	v_cmp_eq_u32_e64 s14, 0, v114
	s_and_b32 s15, s15, s14
	s_delay_alu instid0(SALU_CYCLE_1)
	s_and_saveexec_b32 s14, s15
	s_cbranch_execz .LBB2039_71
; %bb.70:                               ;   in Loop: Header=BB2039_53 Depth=1
	s_wait_dscnt 0x0
	v_bcnt_u32_b32 v116, v116, v113
	ds_store_b32 v115, v116
.LBB2039_71:                            ;   in Loop: Header=BB2039_53 Depth=1
	s_or_b32 exec_lo, exec_lo, s14
	s_set_vgpr_msb 4                        ;  msbs: dst=0 src0=0 src1=1 src2=0
	v_cmp_ne_u16_e64 s14, 0x7fff, v40 /*v296*/
	; wave barrier
	s_delay_alu instid0(VALU_DEP_1) | instskip(SKIP_1) | instid1(VALU_DEP_1)
	v_cndmask_b32_e64 v116, 0xffff8000, v40 /*v296*/, s14
	s_set_vgpr_msb 0                        ;  msbs: dst=0 src0=0 src1=0 src2=0
	v_and_b32_e32 v116, 0xffff, v116
	s_delay_alu instid0(VALU_DEP_1) | instskip(NEXT) | instid1(VALU_DEP_1)
	v_lshrrev_b32_e32 v116, v10, v116
	v_and_b32_e32 v117, v116, v83
	s_delay_alu instid0(VALU_DEP_1) | instskip(SKIP_2) | instid1(VALU_DEP_3)
	v_lshlrev_b32_e32 v128, 30, v117
	v_bitop3_b32 v116, v116, 1, v83 bitop3:0x80
	v_lshlrev_b32_e32 v129, 29, v117
	v_cmp_gt_i32_e64 s15, 0, v128
	s_delay_alu instid0(VALU_DEP_3) | instskip(NEXT) | instid1(VALU_DEP_1)
	v_add_co_u32 v116, s14, v116, -1
	v_cndmask_b32_e64 v119, 0, 1, s14
	s_delay_alu instid0(VALU_DEP_1) | instskip(SKIP_2) | instid1(VALU_DEP_2)
	v_cmp_ne_u32_e64 s14, 0, v119
	v_not_b32_e32 v119, v128
	v_not_b32_e32 v128, v129
	v_dual_ashrrev_i32 v119, 31, v119 :: v_dual_bitop2_b32 v116, s14, v116 bitop3:0x14
	s_delay_alu instid0(VALU_DEP_2) | instskip(SKIP_3) | instid1(VALU_DEP_4)
	v_dual_ashrrev_i32 v128, 31, v128 :: v_dual_lshlrev_b32 v130, 28, v117
	v_dual_lshlrev_b32 v131, 27, v117 :: v_dual_lshlrev_b32 v132, 26, v117
	v_lshlrev_b32_e32 v133, 25, v117
	v_cmp_gt_i32_e64 s16, 0, v129
	v_not_b32_e32 v129, v130
	s_set_vgpr_msb 16                       ;  msbs: dst=0 src0=0 src1=0 src2=1
	v_lshl_add_u32 v118, v117, 3, v7 /*v263*/
	v_lshlrev_b32_e32 v117, 24, v117
	v_cmp_gt_i32_e64 s17, 0, v130
	v_cmp_gt_i32_e64 s18, 0, v131
	v_not_b32_e32 v130, v131
	v_cmp_gt_i32_e64 s19, 0, v132
	v_not_b32_e32 v131, v132
	v_not_b32_e32 v132, v133
	s_delay_alu instid0(VALU_DEP_4) | instskip(SKIP_3) | instid1(VALU_DEP_4)
	v_dual_ashrrev_i32 v129, 31, v129 :: v_dual_ashrrev_i32 v130, 31, v130
	v_xor_b32_e32 v119, s15, v119
	v_not_b32_e32 v134, v117
	v_dual_ashrrev_i32 v131, 31, v131 :: v_dual_bitop2_b32 v128, s16, v128 bitop3:0x14
	v_xor_b32_e32 v129, s17, v129
	s_delay_alu instid0(VALU_DEP_4) | instskip(SKIP_1) | instid1(VALU_DEP_4)
	v_bitop3_b32 v116, v116, v119, exec_lo bitop3:0x80
	v_cmp_gt_i32_e64 s14, 0, v133
	v_dual_ashrrev_i32 v131, 31, v132 :: v_dual_bitop2_b32 v119, s19, v131 bitop3:0x14
	v_cmp_gt_i32_e64 s15, 0, v117
	v_ashrrev_i32_e32 v117, 31, v134
	s_set_vgpr_msb 0                        ;  msbs: dst=0 src0=0 src1=0 src2=0
	v_bitop3_b32 v116, v116, v129, v128 bitop3:0x80
	v_lshl_add_u32 v128, v118, 2, v12
	v_xor_b32_e32 v130, s18, v130
	v_xor_b32_e32 v129, s14, v131
	;; [unrolled: 1-line block ×3, first 2 shown]
	ds_load_b32 v118, v128 offset:32
	v_bitop3_b32 v116, v116, v119, v130 bitop3:0x80
	; wave barrier
	s_delay_alu instid0(VALU_DEP_1) | instskip(SKIP_1) | instid1(VALU_DEP_2)
	v_bitop3_b32 v117, v116, v117, v129 bitop3:0x80
	v_add_nc_u32_e32 v116, 32, v128
	v_mbcnt_lo_u32_b32 v119, v117, 0
	v_cmp_ne_u32_e64 s15, 0, v117
	s_delay_alu instid0(VALU_DEP_2) | instskip(SKIP_1) | instid1(SALU_CYCLE_1)
	v_cmp_eq_u32_e64 s14, 0, v119
	s_and_b32 s15, s15, s14
	s_and_saveexec_b32 s14, s15
	s_cbranch_execz .LBB2039_73
; %bb.72:                               ;   in Loop: Header=BB2039_53 Depth=1
	s_wait_dscnt 0x0
	v_bcnt_u32_b32 v117, v117, v118
	ds_store_b32 v116, v117
.LBB2039_73:                            ;   in Loop: Header=BB2039_53 Depth=1
	s_or_b32 exec_lo, exec_lo, s14
	s_set_vgpr_msb 4                        ;  msbs: dst=0 src0=0 src1=1 src2=0
	v_cmp_ne_u16_e64 s14, 0x7fff, v41 /*v297*/
	; wave barrier
	s_delay_alu instid0(VALU_DEP_1) | instskip(SKIP_1) | instid1(VALU_DEP_1)
	v_cndmask_b32_e64 v117, 0xffff8000, v41 /*v297*/, s14
	s_set_vgpr_msb 0                        ;  msbs: dst=0 src0=0 src1=0 src2=0
	v_and_b32_e32 v117, 0xffff, v117
	s_delay_alu instid0(VALU_DEP_1) | instskip(NEXT) | instid1(VALU_DEP_1)
	v_lshrrev_b32_e32 v117, v10, v117
	v_and_b32_e32 v128, v117, v83
	s_delay_alu instid0(VALU_DEP_1) | instskip(SKIP_1) | instid1(VALU_DEP_2)
	v_lshlrev_b32_e32 v131, 30, v128
	v_bitop3_b32 v117, v117, 1, v83 bitop3:0x80
	v_cmp_gt_i32_e64 s15, 0, v131
	s_delay_alu instid0(VALU_DEP_2) | instskip(NEXT) | instid1(VALU_DEP_1)
	v_add_co_u32 v117, s14, v117, -1
	v_cndmask_b32_e64 v130, 0, 1, s14
	s_delay_alu instid0(VALU_DEP_1) | instskip(SKIP_1) | instid1(VALU_DEP_1)
	v_cmp_ne_u32_e64 s14, 0, v130
	v_not_b32_e32 v130, v131
	v_dual_ashrrev_i32 v130, 31, v130 :: v_dual_lshlrev_b32 v132, 29, v128
	v_dual_lshlrev_b32 v133, 28, v128 :: v_dual_lshlrev_b32 v134, 27, v128
	v_dual_lshlrev_b32 v135, 26, v128 :: v_dual_lshlrev_b32 v144, 25, v128
	s_delay_alu instid0(VALU_DEP_3) | instskip(SKIP_1) | instid1(VALU_DEP_4)
	v_cmp_gt_i32_e64 s16, 0, v132
	v_not_b32_e32 v131, v132
	v_not_b32_e32 v132, v133
	s_set_vgpr_msb 16                       ;  msbs: dst=0 src0=0 src1=0 src2=1
	v_lshl_add_u32 v129, v128, 3, v7 /*v263*/
	v_lshlrev_b32_e32 v128, 24, v128
	v_cmp_gt_i32_e64 s17, 0, v133
	v_cmp_gt_i32_e64 s18, 0, v134
	v_not_b32_e32 v133, v134
	v_cmp_gt_i32_e64 s19, 0, v135
	v_not_b32_e32 v134, v135
	v_not_b32_e32 v135, v144
	v_dual_ashrrev_i32 v131, 31, v131 :: v_dual_bitop2_b32 v117, s14, v117 bitop3:0x14
	v_dual_ashrrev_i32 v132, 31, v132 :: v_dual_ashrrev_i32 v133, 31, v133
	v_xor_b32_e32 v130, s15, v130
	v_not_b32_e32 v145, v128
	s_delay_alu instid0(VALU_DEP_4) | instskip(NEXT) | instid1(VALU_DEP_4)
	v_dual_ashrrev_i32 v134, 31, v134 :: v_dual_bitop2_b32 v131, s16, v131 bitop3:0x14
	v_xor_b32_e32 v132, s17, v132
	s_delay_alu instid0(VALU_DEP_4)
	v_bitop3_b32 v117, v117, v130, exec_lo bitop3:0x80
	v_xor_b32_e32 v133, s18, v133
	v_cmp_gt_i32_e64 s14, 0, v144
	v_cmp_gt_i32_e64 s15, 0, v128
	v_ashrrev_i32_e32 v128, 31, v145
	s_set_vgpr_msb 0                        ;  msbs: dst=0 src0=0 src1=0 src2=0
	v_bitop3_b32 v117, v117, v132, v131 bitop3:0x80
	v_lshl_add_u32 v129, v129, 2, v12
	v_dual_ashrrev_i32 v134, 31, v135 :: v_dual_bitop2_b32 v130, s19, v134 bitop3:0x14
	v_xor_b32_e32 v128, s15, v128
	ds_load_b32 v144, v129 offset:32
	v_bitop3_b32 v117, v117, v130, v133 bitop3:0x80
	v_xor_b32_e32 v131, s14, v134
	; wave barrier
	s_delay_alu instid0(VALU_DEP_1) | instskip(SKIP_1) | instid1(VALU_DEP_2)
	v_bitop3_b32 v117, v117, v128, v131 bitop3:0x80
	v_add_nc_u32_e32 v128, 32, v129
	v_mbcnt_lo_u32_b32 v146, v117, 0
	v_cmp_ne_u32_e64 s15, 0, v117
	s_delay_alu instid0(VALU_DEP_2) | instskip(SKIP_1) | instid1(SALU_CYCLE_1)
	v_cmp_eq_u32_e64 s14, 0, v146
	s_and_b32 s15, s15, s14
	s_and_saveexec_b32 s14, s15
	s_cbranch_execz .LBB2039_75
; %bb.74:                               ;   in Loop: Header=BB2039_53 Depth=1
	s_wait_dscnt 0x0
	v_bcnt_u32_b32 v117, v117, v144
	ds_store_b32 v128, v117
.LBB2039_75:                            ;   in Loop: Header=BB2039_53 Depth=1
	s_or_b32 exec_lo, exec_lo, s14
	s_set_vgpr_msb 4                        ;  msbs: dst=0 src0=0 src1=1 src2=0
	v_cmp_ne_u16_e64 s14, 0x7fff, v42 /*v298*/
	; wave barrier
	s_delay_alu instid0(VALU_DEP_1) | instskip(SKIP_1) | instid1(VALU_DEP_1)
	v_cndmask_b32_e64 v117, 0xffff8000, v42 /*v298*/, s14
	s_set_vgpr_msb 0                        ;  msbs: dst=0 src0=0 src1=0 src2=0
	v_and_b32_e32 v117, 0xffff, v117
	s_delay_alu instid0(VALU_DEP_1) | instskip(NEXT) | instid1(VALU_DEP_1)
	v_lshrrev_b32_e32 v117, v10, v117
	v_and_b32_e32 v129, v117, v83
	v_bitop3_b32 v117, v117, 1, v83 bitop3:0x80
	s_delay_alu instid0(VALU_DEP_2) | instskip(NEXT) | instid1(VALU_DEP_2)
	v_dual_lshlrev_b32 v132, 30, v129 :: v_dual_lshlrev_b32 v133, 29, v129
	v_add_co_u32 v117, s14, v117, -1
	s_delay_alu instid0(VALU_DEP_1) | instskip(NEXT) | instid1(VALU_DEP_3)
	v_cndmask_b32_e64 v131, 0, 1, s14
	v_cmp_gt_i32_e64 s15, 0, v132
	s_delay_alu instid0(VALU_DEP_4) | instskip(NEXT) | instid1(VALU_DEP_3)
	v_cmp_gt_i32_e64 s16, 0, v133
	v_cmp_ne_u32_e64 s14, 0, v131
	v_not_b32_e32 v131, v132
	v_not_b32_e32 v132, v133
	s_delay_alu instid0(VALU_DEP_1) | instskip(SKIP_4) | instid1(VALU_DEP_3)
	v_dual_ashrrev_i32 v131, 31, v131 :: v_dual_ashrrev_i32 v132, 31, v132
	v_dual_lshlrev_b32 v134, 28, v129 :: v_dual_lshlrev_b32 v135, 27, v129
	v_dual_lshlrev_b32 v145, 26, v129 :: v_dual_lshlrev_b32 v147, 25, v129
	s_set_vgpr_msb 16                       ;  msbs: dst=0 src0=0 src1=0 src2=1
	v_lshl_add_u32 v130, v129, 3, v7 /*v263*/
	v_not_b32_e32 v133, v134
	v_cmp_gt_i32_e64 s17, 0, v134
	v_cmp_gt_i32_e64 s18, 0, v135
	v_not_b32_e32 v134, v135
	v_lshlrev_b32_e32 v129, 24, v129
	v_not_b32_e32 v135, v145
	v_xor_b32_e32 v117, s14, v117
	v_dual_ashrrev_i32 v133, 31, v133 :: v_dual_bitop2_b32 v131, s15, v131 bitop3:0x14
	v_cmp_gt_i32_e64 s19, 0, v145
	v_not_b32_e32 v145, v147
	v_ashrrev_i32_e32 v134, 31, v134
	v_not_b32_e32 v148, v129
	v_dual_ashrrev_i32 v135, 31, v135 :: v_dual_bitop2_b32 v132, s16, v132 bitop3:0x14
	v_xor_b32_e32 v133, s17, v133
	v_bitop3_b32 v117, v117, v131, exec_lo bitop3:0x80
	v_xor_b32_e32 v134, s18, v134
	v_cmp_gt_i32_e64 s14, 0, v147
	v_cmp_gt_i32_e64 s15, 0, v129
	v_ashrrev_i32_e32 v129, 31, v148
	s_set_vgpr_msb 0                        ;  msbs: dst=0 src0=0 src1=0 src2=0
	v_lshl_add_u32 v130, v130, 2, v12
	v_dual_ashrrev_i32 v135, 31, v145 :: v_dual_bitop2_b32 v131, s19, v135 bitop3:0x14
	v_bitop3_b32 v117, v117, v133, v132 bitop3:0x80
	v_xor_b32_e32 v129, s15, v129
	ds_load_b32 v148, v130 offset:32
	v_dual_add_nc_u32 v130, 32, v130 :: v_dual_bitop2_b32 v132, s14, v135 bitop3:0x14
	v_bitop3_b32 v117, v117, v131, v134 bitop3:0x80
	; wave barrier
	s_delay_alu instid0(VALU_DEP_1) | instskip(NEXT) | instid1(VALU_DEP_1)
	v_bitop3_b32 v117, v117, v129, v132 bitop3:0x80
	v_mbcnt_lo_u32_b32 v164, v117, 0
	v_cmp_ne_u32_e64 s15, 0, v117
	s_delay_alu instid0(VALU_DEP_2) | instskip(SKIP_1) | instid1(SALU_CYCLE_1)
	v_cmp_eq_u32_e64 s14, 0, v164
	s_and_b32 s15, s15, s14
	s_and_saveexec_b32 s14, s15
	s_cbranch_execz .LBB2039_77
; %bb.76:                               ;   in Loop: Header=BB2039_53 Depth=1
	s_wait_dscnt 0x0
	v_bcnt_u32_b32 v117, v117, v148
	ds_store_b32 v130, v117
.LBB2039_77:                            ;   in Loop: Header=BB2039_53 Depth=1
	s_or_b32 exec_lo, exec_lo, s14
	s_set_vgpr_msb 4                        ;  msbs: dst=0 src0=0 src1=1 src2=0
	v_cmp_ne_u16_e64 s14, 0x7fff, v43 /*v299*/
	; wave barrier
	s_delay_alu instid0(VALU_DEP_1) | instskip(SKIP_1) | instid1(VALU_DEP_1)
	v_cndmask_b32_e64 v117, 0xffff8000, v43 /*v299*/, s14
	s_set_vgpr_msb 0                        ;  msbs: dst=0 src0=0 src1=0 src2=0
	v_and_b32_e32 v117, 0xffff, v117
	s_delay_alu instid0(VALU_DEP_1) | instskip(NEXT) | instid1(VALU_DEP_1)
	v_lshrrev_b32_e32 v117, v10, v117
	v_and_b32_e32 v129, v117, v83
	v_bitop3_b32 v117, v117, 1, v83 bitop3:0x80
	s_delay_alu instid0(VALU_DEP_2) | instskip(NEXT) | instid1(VALU_DEP_2)
	v_dual_lshlrev_b32 v133, 30, v129 :: v_dual_lshlrev_b32 v134, 29, v129
	v_add_co_u32 v117, s14, v117, -1
	s_delay_alu instid0(VALU_DEP_1) | instskip(NEXT) | instid1(VALU_DEP_3)
	v_cndmask_b32_e64 v132, 0, 1, s14
	v_cmp_gt_i32_e64 s15, 0, v133
	s_delay_alu instid0(VALU_DEP_4) | instskip(NEXT) | instid1(VALU_DEP_3)
	v_cmp_gt_i32_e64 s16, 0, v134
	v_cmp_ne_u32_e64 s14, 0, v132
	v_not_b32_e32 v132, v133
	v_not_b32_e32 v133, v134
	s_delay_alu instid0(VALU_DEP_1) | instskip(SKIP_4) | instid1(VALU_DEP_3)
	v_dual_ashrrev_i32 v132, 31, v132 :: v_dual_ashrrev_i32 v133, 31, v133
	v_dual_lshlrev_b32 v135, 28, v129 :: v_dual_lshlrev_b32 v145, 27, v129
	v_dual_lshlrev_b32 v147, 26, v129 :: v_dual_lshlrev_b32 v149, 25, v129
	s_set_vgpr_msb 16                       ;  msbs: dst=0 src0=0 src1=0 src2=1
	v_lshl_add_u32 v131, v129, 3, v7 /*v263*/
	v_not_b32_e32 v134, v135
	v_lshlrev_b32_e32 v129, 24, v129
	v_cmp_gt_i32_e64 s17, 0, v135
	v_cmp_gt_i32_e64 s18, 0, v145
	v_not_b32_e32 v135, v145
	v_not_b32_e32 v145, v147
	v_dual_ashrrev_i32 v134, 31, v134 :: v_dual_bitop2_b32 v117, s14, v117 bitop3:0x14
	v_xor_b32_e32 v132, s15, v132
	v_cmp_gt_i32_e64 s19, 0, v147
	v_not_b32_e32 v147, v149
	v_not_b32_e32 v150, v129
	v_dual_ashrrev_i32 v135, 31, v135 :: v_dual_ashrrev_i32 v145, 31, v145
	v_xor_b32_e32 v133, s16, v133
	v_bitop3_b32 v117, v117, v132, exec_lo bitop3:0x80
	s_set_vgpr_msb 0                        ;  msbs: dst=0 src0=0 src1=0 src2=0
	v_lshl_add_u32 v131, v131, 2, v12
	v_xor_b32_e32 v134, s17, v134
	v_xor_b32_e32 v135, s18, v135
	v_xor_b32_e32 v132, s19, v145
	v_cmp_gt_i32_e64 s14, 0, v149
	v_ashrrev_i32_e32 v145, 31, v147
	v_cmp_gt_i32_e64 s15, 0, v129
	v_ashrrev_i32_e32 v129, 31, v150
	v_bitop3_b32 v117, v117, v134, v133 bitop3:0x80
	ds_load_b32 v165, v131 offset:32
	v_xor_b32_e32 v133, s14, v145
	v_xor_b32_e32 v129, s15, v129
	v_bitop3_b32 v117, v117, v132, v135 bitop3:0x80
	v_add_nc_u32_e32 v132, 32, v131
	; wave barrier
	s_delay_alu instid0(VALU_DEP_2) | instskip(NEXT) | instid1(VALU_DEP_1)
	v_bitop3_b32 v117, v117, v129, v133 bitop3:0x80
	v_mbcnt_lo_u32_b32 v176, v117, 0
	v_cmp_ne_u32_e64 s15, 0, v117
	s_delay_alu instid0(VALU_DEP_2) | instskip(SKIP_1) | instid1(SALU_CYCLE_1)
	v_cmp_eq_u32_e64 s14, 0, v176
	s_and_b32 s15, s15, s14
	s_and_saveexec_b32 s14, s15
	s_cbranch_execz .LBB2039_79
; %bb.78:                               ;   in Loop: Header=BB2039_53 Depth=1
	s_wait_dscnt 0x0
	v_bcnt_u32_b32 v117, v117, v165
	ds_store_b32 v132, v117
.LBB2039_79:                            ;   in Loop: Header=BB2039_53 Depth=1
	s_or_b32 exec_lo, exec_lo, s14
	s_set_vgpr_msb 4                        ;  msbs: dst=0 src0=0 src1=1 src2=0
	v_cmp_ne_u16_e64 s14, 0x7fff, v45 /*v301*/
	; wave barrier
	s_delay_alu instid0(VALU_DEP_1) | instskip(SKIP_1) | instid1(VALU_DEP_1)
	v_cndmask_b32_e64 v117, 0xffff8000, v45 /*v301*/, s14
	s_set_vgpr_msb 0                        ;  msbs: dst=0 src0=0 src1=0 src2=0
	v_and_b32_e32 v117, 0xffff, v117
	s_delay_alu instid0(VALU_DEP_1) | instskip(NEXT) | instid1(VALU_DEP_1)
	v_lshrrev_b32_e32 v117, v10, v117
	v_and_b32_e32 v129, v117, v83
	v_bitop3_b32 v117, v117, 1, v83 bitop3:0x80
	s_delay_alu instid0(VALU_DEP_2) | instskip(NEXT) | instid1(VALU_DEP_2)
	v_lshlrev_b32_e32 v134, 30, v129
	v_add_co_u32 v117, s14, v117, -1
	s_delay_alu instid0(VALU_DEP_1) | instskip(NEXT) | instid1(VALU_DEP_1)
	v_cndmask_b32_e64 v133, 0, 1, s14
	v_cmp_ne_u32_e64 s14, 0, v133
	s_delay_alu instid0(VALU_DEP_4) | instskip(NEXT) | instid1(VALU_DEP_1)
	v_not_b32_e32 v133, v134
	v_ashrrev_i32_e32 v133, 31, v133
	v_dual_lshlrev_b32 v135, 29, v129 :: v_dual_lshlrev_b32 v145, 28, v129
	v_lshlrev_b32_e32 v147, 27, v129
	s_set_vgpr_msb 16                       ;  msbs: dst=0 src0=0 src1=0 src2=1
	v_lshl_add_u32 v131, v129, 3, v7 /*v263*/
	v_dual_lshlrev_b32 v149, 26, v129 :: v_dual_lshlrev_b32 v150, 25, v129
	v_cmp_gt_i32_e64 s15, 0, v134
	v_cmp_gt_i32_e64 s16, 0, v135
	v_not_b32_e32 v134, v135
	v_not_b32_e32 v135, v145
	v_lshlrev_b32_e32 v129, 24, v129
	v_cmp_gt_i32_e64 s17, 0, v145
	v_cmp_gt_i32_e64 s18, 0, v147
	v_not_b32_e32 v145, v147
	v_not_b32_e32 v147, v149
	v_dual_ashrrev_i32 v134, 31, v134 :: v_dual_bitop2_b32 v117, s14, v117 bitop3:0x14
	v_ashrrev_i32_e32 v135, 31, v135
	v_not_b32_e32 v151, v129
	v_xor_b32_e32 v133, s15, v133
	v_cmp_gt_i32_e64 s19, 0, v149
	v_not_b32_e32 v149, v150
	v_dual_ashrrev_i32 v145, 31, v145 :: v_dual_bitop2_b32 v134, s16, v134 bitop3:0x14
	v_ashrrev_i32_e32 v147, 31, v147
	v_xor_b32_e32 v135, s17, v135
	v_cmp_gt_i32_e64 s15, 0, v129
	v_ashrrev_i32_e32 v129, 31, v151
	v_bitop3_b32 v117, v117, v133, exec_lo bitop3:0x80
	v_xor_b32_e32 v133, s19, v147
	v_cmp_gt_i32_e64 s14, 0, v150
	v_ashrrev_i32_e32 v147, 31, v149
	s_set_vgpr_msb 0                        ;  msbs: dst=0 src0=0 src1=0 src2=0
	v_lshl_add_u32 v131, v131, 2, v12
	v_xor_b32_e32 v145, s18, v145
	v_bitop3_b32 v117, v117, v135, v134 bitop3:0x80
	v_xor_b32_e32 v129, s15, v129
	v_xor_b32_e32 v134, s14, v147
	ds_load_b32 v177, v131 offset:32
	v_bitop3_b32 v117, v117, v133, v145 bitop3:0x80
	; wave barrier
	s_delay_alu instid0(VALU_DEP_1) | instskip(SKIP_1) | instid1(VALU_DEP_2)
	v_bitop3_b32 v117, v117, v129, v134 bitop3:0x80
	v_add_nc_u32_e32 v134, 32, v131
	v_mbcnt_lo_u32_b32 v178, v117, 0
	v_cmp_ne_u32_e64 s15, 0, v117
	s_delay_alu instid0(VALU_DEP_2) | instskip(SKIP_1) | instid1(SALU_CYCLE_1)
	v_cmp_eq_u32_e64 s14, 0, v178
	s_and_b32 s15, s15, s14
	s_and_saveexec_b32 s14, s15
	s_cbranch_execz .LBB2039_81
; %bb.80:                               ;   in Loop: Header=BB2039_53 Depth=1
	s_wait_dscnt 0x0
	v_bcnt_u32_b32 v117, v117, v177
	ds_store_b32 v134, v117
.LBB2039_81:                            ;   in Loop: Header=BB2039_53 Depth=1
	s_or_b32 exec_lo, exec_lo, s14
	s_set_vgpr_msb 4                        ;  msbs: dst=0 src0=0 src1=1 src2=0
	v_cmp_ne_u16_e64 s14, 0x7fff, v44 /*v300*/
	; wave barrier
	s_delay_alu instid0(VALU_DEP_1) | instskip(SKIP_1) | instid1(VALU_DEP_1)
	v_cndmask_b32_e64 v117, 0xffff8000, v44 /*v300*/, s14
	s_set_vgpr_msb 0                        ;  msbs: dst=0 src0=0 src1=0 src2=0
	v_and_b32_e32 v117, 0xffff, v117
	s_delay_alu instid0(VALU_DEP_1) | instskip(NEXT) | instid1(VALU_DEP_1)
	v_lshrrev_b32_e32 v117, v10, v117
	v_and_b32_e32 v129, v117, v83
	v_bitop3_b32 v117, v117, 1, v83 bitop3:0x80
	s_delay_alu instid0(VALU_DEP_2) | instskip(NEXT) | instid1(VALU_DEP_2)
	v_lshlrev_b32_e32 v135, 30, v129
	v_add_co_u32 v117, s14, v117, -1
	s_delay_alu instid0(VALU_DEP_1) | instskip(NEXT) | instid1(VALU_DEP_1)
	v_cndmask_b32_e64 v133, 0, 1, s14
	v_cmp_ne_u32_e64 s14, 0, v133
	s_delay_alu instid0(VALU_DEP_4) | instskip(NEXT) | instid1(VALU_DEP_1)
	v_not_b32_e32 v133, v135
	v_ashrrev_i32_e32 v133, 31, v133
	v_dual_lshlrev_b32 v145, 29, v129 :: v_dual_lshlrev_b32 v147, 28, v129
	v_lshlrev_b32_e32 v149, 27, v129
	s_set_vgpr_msb 16                       ;  msbs: dst=0 src0=0 src1=0 src2=1
	v_lshl_add_u32 v131, v129, 3, v7 /*v263*/
	v_dual_lshlrev_b32 v150, 26, v129 :: v_dual_lshlrev_b32 v151, 25, v129
	v_cmp_gt_i32_e64 s15, 0, v135
	v_cmp_gt_i32_e64 s16, 0, v145
	v_not_b32_e32 v135, v145
	v_cmp_gt_i32_e64 s17, 0, v147
	v_not_b32_e32 v145, v147
	v_not_b32_e32 v147, v149
	v_lshlrev_b32_e32 v129, 24, v129
	v_cmp_gt_i32_e64 s18, 0, v149
	v_cmp_gt_i32_e64 s19, 0, v150
	v_not_b32_e32 v149, v150
	v_not_b32_e32 v150, v151
	v_dual_ashrrev_i32 v135, 31, v135 :: v_dual_bitop2_b32 v117, s14, v117 bitop3:0x14
	v_dual_ashrrev_i32 v145, 31, v145 :: v_dual_ashrrev_i32 v147, 31, v147
	v_not_b32_e32 v160, v129
	v_xor_b32_e32 v133, s15, v133
	s_delay_alu instid0(VALU_DEP_4) | instskip(SKIP_1) | instid1(VALU_DEP_4)
	v_dual_ashrrev_i32 v149, 31, v149 :: v_dual_bitop2_b32 v135, s16, v135 bitop3:0x14
	v_cmp_gt_i32_e64 s15, 0, v129
	v_ashrrev_i32_e32 v129, 31, v160
	s_delay_alu instid0(VALU_DEP_4)
	v_bitop3_b32 v117, v117, v133, exec_lo bitop3:0x80
	s_set_vgpr_msb 0                        ;  msbs: dst=0 src0=0 src1=0 src2=0
	v_lshl_add_u32 v131, v131, 2, v12
	v_xor_b32_e32 v145, s17, v145
	v_xor_b32_e32 v147, s18, v147
	;; [unrolled: 1-line block ×3, first 2 shown]
	v_cmp_gt_i32_e64 s14, 0, v151
	v_dual_ashrrev_i32 v149, 31, v150 :: v_dual_add_nc_u32 v150, 32, v131
	v_bitop3_b32 v117, v117, v145, v135 bitop3:0x80
	v_xor_b32_e32 v129, s15, v129
	ds_load_b32 v180, v131 offset:32
	v_xor_b32_e32 v135, s14, v149
	v_bitop3_b32 v117, v117, v133, v147 bitop3:0x80
	; wave barrier
	s_delay_alu instid0(VALU_DEP_1) | instskip(NEXT) | instid1(VALU_DEP_1)
	v_bitop3_b32 v117, v117, v129, v135 bitop3:0x80
	v_mbcnt_lo_u32_b32 v182, v117, 0
	v_cmp_ne_u32_e64 s15, 0, v117
	s_delay_alu instid0(VALU_DEP_2) | instskip(SKIP_1) | instid1(SALU_CYCLE_1)
	v_cmp_eq_u32_e64 s14, 0, v182
	s_and_b32 s15, s15, s14
	s_and_saveexec_b32 s14, s15
	s_cbranch_execz .LBB2039_83
; %bb.82:                               ;   in Loop: Header=BB2039_53 Depth=1
	s_wait_dscnt 0x0
	v_bcnt_u32_b32 v117, v117, v180
	ds_store_b32 v150, v117
.LBB2039_83:                            ;   in Loop: Header=BB2039_53 Depth=1
	s_or_b32 exec_lo, exec_lo, s14
	s_set_vgpr_msb 4                        ;  msbs: dst=0 src0=0 src1=1 src2=0
	v_cmp_ne_u16_e64 s14, 0x7fff, v46 /*v302*/
	; wave barrier
	s_delay_alu instid0(VALU_DEP_1) | instskip(SKIP_1) | instid1(VALU_DEP_1)
	v_cndmask_b32_e64 v117, 0xffff8000, v46 /*v302*/, s14
	s_set_vgpr_msb 0                        ;  msbs: dst=0 src0=0 src1=0 src2=0
	v_and_b32_e32 v117, 0xffff, v117
	s_delay_alu instid0(VALU_DEP_1) | instskip(NEXT) | instid1(VALU_DEP_1)
	v_lshrrev_b32_e32 v117, v10, v117
	v_and_b32_e32 v129, v117, v83
	v_bitop3_b32 v83, v117, 1, v83 bitop3:0x80
	s_delay_alu instid0(VALU_DEP_2) | instskip(NEXT) | instid1(VALU_DEP_2)
	v_dual_lshlrev_b32 v133, 30, v129 :: v_dual_lshlrev_b32 v135, 29, v129
	v_add_co_u32 v83, s14, v83, -1
	s_delay_alu instid0(VALU_DEP_1) | instskip(NEXT) | instid1(VALU_DEP_3)
	v_cndmask_b32_e64 v131, 0, 1, s14
	v_cmp_gt_i32_e64 s15, 0, v133
	s_delay_alu instid0(VALU_DEP_4) | instskip(NEXT) | instid1(VALU_DEP_3)
	v_cmp_gt_i32_e64 s16, 0, v135
	v_cmp_ne_u32_e64 s14, 0, v131
	v_not_b32_e32 v131, v133
	v_not_b32_e32 v133, v135
	s_delay_alu instid0(VALU_DEP_3) | instskip(NEXT) | instid1(VALU_DEP_2)
	v_xor_b32_e32 v83, s14, v83
	v_dual_ashrrev_i32 v131, 31, v131 :: v_dual_ashrrev_i32 v133, 31, v133
	v_dual_lshlrev_b32 v145, 28, v129 :: v_dual_lshlrev_b32 v147, 27, v129
	v_dual_lshlrev_b32 v149, 26, v129 :: v_dual_lshlrev_b32 v151, 25, v129
	s_set_vgpr_msb 16                       ;  msbs: dst=0 src0=0 src1=0 src2=1
	v_lshl_add_u32 v117, v129, 3, v7 /*v263*/
	s_delay_alu instid0(VALU_DEP_3)
	v_not_b32_e32 v135, v145
	v_lshlrev_b32_e32 v129, 24, v129
	v_cmp_gt_i32_e64 s17, 0, v145
	v_cmp_gt_i32_e64 s18, 0, v147
	v_not_b32_e32 v145, v147
	v_cmp_gt_i32_e64 s19, 0, v149
	v_not_b32_e32 v147, v149
	v_not_b32_e32 v149, v151
	s_delay_alu instid0(VALU_DEP_4) | instskip(SKIP_3) | instid1(VALU_DEP_4)
	v_dual_ashrrev_i32 v135, 31, v135 :: v_dual_ashrrev_i32 v145, 31, v145
	v_xor_b32_e32 v131, s15, v131
	v_not_b32_e32 v160, v129
	v_dual_ashrrev_i32 v147, 31, v147 :: v_dual_bitop2_b32 v133, s16, v133 bitop3:0x14
	v_xor_b32_e32 v135, s17, v135
	s_delay_alu instid0(VALU_DEP_4)
	v_bitop3_b32 v83, v83, v131, exec_lo bitop3:0x80
	v_xor_b32_e32 v145, s18, v145
	v_cmp_gt_i32_e64 s14, 0, v151
	v_cmp_gt_i32_e64 s15, 0, v129
	v_ashrrev_i32_e32 v129, 31, v160
	s_set_vgpr_msb 0                        ;  msbs: dst=0 src0=0 src1=0 src2=0
	v_bitop3_b32 v83, v83, v135, v133 bitop3:0x80
	v_lshl_add_u32 v133, v117, 2, v12
	v_dual_ashrrev_i32 v147, 31, v149 :: v_dual_bitop2_b32 v131, s19, v147 bitop3:0x14
	v_xor_b32_e32 v129, s15, v129
	s_delay_alu instid0(VALU_DEP_3) | instskip(NEXT) | instid1(VALU_DEP_3)
	v_add_nc_u32_e32 v160, 32, v133
	v_bitop3_b32 v131, v83, v131, v145 bitop3:0x80
	s_delay_alu instid0(VALU_DEP_4) | instskip(SKIP_2) | instid1(VALU_DEP_1)
	v_xor_b32_e32 v117, s14, v147
	ds_load_b32 v83, v133 offset:32
	; wave barrier
	v_bitop3_b32 v117, v131, v129, v117 bitop3:0x80
	v_mbcnt_lo_u32_b32 v192, v117, 0
	v_cmp_ne_u32_e64 s15, 0, v117
	s_delay_alu instid0(VALU_DEP_2) | instskip(SKIP_1) | instid1(SALU_CYCLE_1)
	v_cmp_eq_u32_e64 s14, 0, v192
	s_and_b32 s15, s15, s14
	s_and_saveexec_b32 s14, s15
	s_cbranch_execz .LBB2039_85
; %bb.84:                               ;   in Loop: Header=BB2039_53 Depth=1
	s_wait_dscnt 0x0
	v_bcnt_u32_b32 v117, v117, v83
	ds_store_b32 v160, v117
.LBB2039_85:                            ;   in Loop: Header=BB2039_53 Depth=1
	s_or_b32 exec_lo, exec_lo, s14
	; wave barrier
	s_wait_dscnt 0x0
	s_barrier_signal -1
	s_barrier_wait -1
	ds_load_b32 v129, v31
	ds_load_b32 v133, v39
	s_set_vgpr_msb 1                        ;  msbs: dst=0 src0=1 src1=0 src2=0
	ds_load_b32 v135, v1 /*v257*/
	ds_load_b32 v117, v2 /*v258*/
	;; [unrolled: 1-line block ×6, first 2 shown]
	s_wait_dscnt 0x6
	s_set_vgpr_msb 0                        ;  msbs: dst=0 src0=0 src1=0 src2=0
	v_add_nc_u32_e32 v147, v133, v129
	s_wait_dscnt 0x4
	s_delay_alu instid0(VALU_DEP_1) | instskip(SKIP_1) | instid1(VALU_DEP_1)
	v_add3_u32 v147, v147, v135, v117
	s_wait_dscnt 0x2
	v_add3_u32 v147, v147, v131, v149
	s_wait_dscnt 0x0
	s_delay_alu instid0(VALU_DEP_1) | instskip(NEXT) | instid1(VALU_DEP_1)
	v_add3_u32 v145, v147, v162, v145
	v_mov_b32_dpp v147, v145 row_shr:1 row_mask:0xf bank_mask:0xf
	s_delay_alu instid0(VALU_DEP_1) | instskip(NEXT) | instid1(VALU_DEP_1)
	v_cndmask_b32_e64 v147, v147, 0, vcc_lo
	v_add_nc_u32_e32 v145, v147, v145
	s_delay_alu instid0(VALU_DEP_1) | instskip(NEXT) | instid1(VALU_DEP_1)
	v_mov_b32_dpp v147, v145 row_shr:2 row_mask:0xf bank_mask:0xf
	v_cndmask_b32_e64 v147, 0, v147, s0
	s_delay_alu instid0(VALU_DEP_1) | instskip(NEXT) | instid1(VALU_DEP_1)
	v_add_nc_u32_e32 v145, v145, v147
	v_mov_b32_dpp v147, v145 row_shr:4 row_mask:0xf bank_mask:0xf
	s_delay_alu instid0(VALU_DEP_1) | instskip(NEXT) | instid1(VALU_DEP_1)
	v_cndmask_b32_e64 v147, 0, v147, s1
	v_add_nc_u32_e32 v145, v145, v147
	s_delay_alu instid0(VALU_DEP_1) | instskip(NEXT) | instid1(VALU_DEP_1)
	v_mov_b32_dpp v147, v145 row_shr:8 row_mask:0xf bank_mask:0xf
	v_cndmask_b32_e64 v147, 0, v147, s3
	s_delay_alu instid0(VALU_DEP_1) | instskip(SKIP_3) | instid1(VALU_DEP_1)
	v_add_nc_u32_e32 v145, v145, v147
	ds_swizzle_b32 v147, v145 offset:swizzle(BROADCAST,32,15)
	s_wait_dscnt 0x0
	v_cndmask_b32_e64 v147, v147, 0, s4
	v_add_nc_u32_e32 v145, v145, v147
	s_and_saveexec_b32 s14, s5
; %bb.86:                               ;   in Loop: Header=BB2039_53 Depth=1
	s_set_vgpr_msb 1                        ;  msbs: dst=0 src0=1 src1=0 src2=0
	ds_store_b32 v10 /*v266*/, v145
; %bb.87:                               ;   in Loop: Header=BB2039_53 Depth=1
	s_or_b32 exec_lo, exec_lo, s14
	s_wait_dscnt 0x0
	s_barrier_signal -1
	s_barrier_wait -1
	s_and_saveexec_b32 s14, s6
	s_set_vgpr_msb 0                        ;  msbs: dst=0 src0=0 src1=0 src2=0
	s_cbranch_execz .LBB2039_89
; %bb.88:                               ;   in Loop: Header=BB2039_53 Depth=1
	s_set_vgpr_msb 1                        ;  msbs: dst=0 src0=1 src1=0 src2=0
	ds_load_b32 v147, v11 /*v267*/
	s_wait_dscnt 0x0
	s_set_vgpr_msb 0                        ;  msbs: dst=0 src0=0 src1=0 src2=0
	v_mov_b32_dpp v151, v147 row_shr:1 row_mask:0xf bank_mask:0xf
	s_delay_alu instid0(VALU_DEP_1) | instskip(NEXT) | instid1(VALU_DEP_1)
	v_cndmask_b32_e64 v151, v151, 0, s11
	v_add_nc_u32_e32 v147, v151, v147
	s_delay_alu instid0(VALU_DEP_1) | instskip(NEXT) | instid1(VALU_DEP_1)
	v_mov_b32_dpp v151, v147 row_shr:2 row_mask:0xf bank_mask:0xf
	v_cndmask_b32_e64 v151, 0, v151, s12
	s_delay_alu instid0(VALU_DEP_1) | instskip(NEXT) | instid1(VALU_DEP_1)
	v_add_nc_u32_e32 v147, v147, v151
	v_mov_b32_dpp v151, v147 row_shr:4 row_mask:0xf bank_mask:0xf
	s_delay_alu instid0(VALU_DEP_1) | instskip(NEXT) | instid1(VALU_DEP_1)
	v_cndmask_b32_e64 v151, 0, v151, s13
	v_add_nc_u32_e32 v147, v147, v151
	s_set_vgpr_msb 1                        ;  msbs: dst=0 src0=1 src1=0 src2=0
	ds_store_b32 v11 /*v267*/, v147
.LBB2039_89:                            ;   in Loop: Header=BB2039_53 Depth=1
	s_or_b32 exec_lo, exec_lo, s14
	s_set_vgpr_msb 0                        ;  msbs: dst=0 src0=0 src1=0 src2=0
	v_mov_b32_e32 v147, 0
	s_wait_dscnt 0x0
	s_barrier_signal -1
	s_barrier_wait -1
	s_and_saveexec_b32 s14, s7
; %bb.90:                               ;   in Loop: Header=BB2039_53 Depth=1
	s_set_vgpr_msb 4                        ;  msbs: dst=0 src0=0 src1=1 src2=0
	v_add_nc_u32_e32 v147, -4, v10 /*v266*/
	ds_load_b32 v147, v147
; %bb.91:                               ;   in Loop: Header=BB2039_53 Depth=1
	s_or_b32 exec_lo, exec_lo, s14
	s_wait_dscnt 0x0
	s_set_vgpr_msb 0                        ;  msbs: dst=0 src0=0 src1=0 src2=0
	v_dual_add_nc_u32 v145, v147, v145 :: v_dual_mov_b32 v151, v1
	v_dual_mov_b32 v161, v1 :: v_dual_mov_b32 v167, v1
	s_mov_b32 s16, -1
	s_set_vgpr_msb 1                        ;  msbs: dst=0 src0=1 src1=0 src2=0
	ds_bpermute_b32 v145, v8 /*v264*/, v145
                                        ; implicit-def: $vgpr303
	v_add_nc_u32_e32 v10, 8, v10
	s_set_vgpr_msb 0                        ;  msbs: dst=0 src0=0 src1=0 src2=0
	s_delay_alu instid0(VALU_DEP_1) | instskip(SKIP_3) | instid1(VALU_DEP_2)
	v_cmp_lt_u32_e64 s14, v10, v11
	s_wait_dscnt 0x0
	v_cndmask_b32_e64 v145, v145, v147, s2
	v_mov_b32_e32 v147, v1
	v_cndmask_b32_e64 v166, v145, 0, s10
	s_delay_alu instid0(VALU_DEP_1) | instskip(NEXT) | instid1(VALU_DEP_1)
	v_dual_mov_b32 v145, v1 :: v_dual_add_nc_u32 v179, v166, v129
	v_dual_mov_b32 v129, v1 :: v_dual_add_nc_u32 v181, v179, v133
	ds_store_b32 v31, v166
	ds_store_b32 v39, v179
	s_set_vgpr_msb 1                        ;  msbs: dst=0 src0=1 src1=0 src2=0
	ds_store_b32 v1 /*v257*/, v181
	s_set_vgpr_msb 0                        ;  msbs: dst=0 src0=0 src1=0 src2=0
	v_mov_b32_e32 v133, v1
	v_add_nc_u32_e32 v183, v181, v135
	v_dual_mov_b32 v163, v1 :: v_dual_mov_b32 v179, v1
	v_dual_mov_b32 v181, v1 :: v_dual_mov_b32 v135, v1
	s_delay_alu instid0(VALU_DEP_3) | instskip(NEXT) | instid1(VALU_DEP_1)
	v_dual_add_nc_u32 v193, v183, v117 :: v_dual_mov_b32 v117, v1
	v_add_nc_u32_e32 v194, v193, v131
	s_delay_alu instid0(VALU_DEP_1) | instskip(NEXT) | instid1(VALU_DEP_1)
	v_dual_mov_b32 v131, v1 :: v_dual_add_nc_u32 v195, v194, v149
	v_dual_mov_b32 v149, v1 :: v_dual_add_nc_u32 v162, v195, v162
	s_set_vgpr_msb 1                        ;  msbs: dst=0 src0=1 src1=0 src2=0
	ds_store_b32 v2 /*v258*/, v183
	ds_store_b32 v3 /*v259*/, v193
	;; [unrolled: 1-line block ×5, first 2 shown]
	s_wait_dscnt 0x0
	s_barrier_signal -1
	s_barrier_wait -1
	s_set_vgpr_msb 0                        ;  msbs: dst=0 src0=0 src1=0 src2=0
	ds_load_b32 v66, v66
	ds_load_b32 v69, v69
	;; [unrolled: 1-line block ×16, first 2 shown]
	v_mov_b32_e32 v183, v1
	s_wait_dscnt 0x0
	v_add_nc_u32_e32 v0, v66, v0
	v_add3_u32 v150, v68, v67, v69
	v_add3_u32 v160, v71, v70, v80
	;; [unrolled: 1-line block ×15, first 2 shown]
	v_lshl_add_u64 v[246:247], v[0:1], 1, v[12:13]
	v_lshl_add_u64 v[244:245], v[150:151], 1, v[12:13]
	;; [unrolled: 1-line block ×16, first 2 shown]
                                        ; implicit-def: $vgpr66_vgpr67
                                        ; implicit-def: $vgpr68_vgpr69
                                        ; implicit-def: $vgpr70_vgpr71
                                        ; implicit-def: $vgpr80_vgpr81
                                        ; implicit-def: $vgpr82_vgpr83
                                        ; implicit-def: $vgpr84_vgpr85
                                        ; implicit-def: $vgpr86_vgpr87
                                        ; implicit-def: $vgpr98_vgpr99
                                        ; implicit-def: $vgpr102_vgpr103
                                        ; implicit-def: $vgpr96_vgpr97
                                        ; implicit-def: $vgpr100_vgpr101
                                        ; implicit-def: $vgpr112_vgpr113
                                        ; implicit-def: $vgpr114_vgpr115
                                        ; implicit-def: $vgpr118_vgpr119
                                        ; implicit-def: $vgpr164_vgpr165
                                        ; implicit-def: $vgpr176_vgpr177
                                        ; implicit-def: $vgpr183
                                        ; implicit-def: $vgpr133
                                        ; implicit-def: $vgpr135
                                        ; implicit-def: $vgpr149
                                        ; implicit-def: $vgpr167
                                        ; implicit-def: $vgpr161
                                        ; implicit-def: $vgpr163
                                        ; implicit-def: $vgpr151
                                        ; implicit-def: $vgpr181
                                        ; implicit-def: $vgpr179
                                        ; implicit-def: $vgpr129
                                        ; implicit-def: $vgpr117
                                        ; implicit-def: $vgpr131
                                        ; implicit-def: $vgpr145
                                        ; implicit-def: $vgpr147
	s_and_saveexec_b32 s15, s14
	s_cbranch_execz .LBB2039_52
; %bb.92:                               ;   in Loop: Header=BB2039_53 Depth=1
	s_set_vgpr_msb 4                        ;  msbs: dst=0 src0=0 src1=1 src2=0
	v_add_nc_u32_e32 v66, 64, v9 /*v265*/
	v_add_nc_u32_e32 v67, 0x80, v9 /*v265*/
	;; [unrolled: 1-line block ×3, first 2 shown]
	s_barrier_signal -1
	s_barrier_wait -1
	ds_store_b16 v246, v31 /*v287*/
	ds_store_b16 v244, v34 /*v290*/
	;; [unrolled: 1-line block ×16, first 2 shown]
	s_wait_dscnt 0x0
	s_barrier_signal -1
	s_barrier_wait -1
	s_set_vgpr_msb 1                        ;  msbs: dst=0 src0=1 src1=0 src2=0
	ds_load_u16 v183, v9 /*v265*/
	s_set_vgpr_msb 4                        ;  msbs: dst=0 src0=0 src1=1 src2=0
	ds_load_u16 v133, v66
	ds_load_u16 v135, v67
	;; [unrolled: 1-line block ×3, first 2 shown]
	v_add_nc_u32_e32 v66, 0x100, v9 /*v265*/
	v_add_nc_u32_e32 v67, 0x140, v9 /*v265*/
	;; [unrolled: 1-line block ×5, first 2 shown]
	ds_load_u16 v167, v66
	ds_load_u16 v161, v67
	;; [unrolled: 1-line block ×5, first 2 shown]
	v_add_nc_u32_e32 v66, 0x240, v9 /*v265*/
	v_add_nc_u32_e32 v67, 0x280, v9 /*v265*/
	;; [unrolled: 1-line block ×5, first 2 shown]
	s_set_vgpr_msb 64                       ;  msbs: dst=1 src0=0 src1=0 src2=0
	ds_load_u16 v47 /*v303*/, v66
	s_set_vgpr_msb 0                        ;  msbs: dst=0 src0=0 src1=0 src2=0
	ds_load_u16 v179, v67
	ds_load_u16 v129, v68
	;; [unrolled: 1-line block ×4, first 2 shown]
	v_mad_nc_u64_u32 v[66:67], v0, 6, v[246:247]
	v_mad_nc_u64_u32 v[68:69], v150, 6, v[244:245]
	;; [unrolled: 1-line block ×5, first 2 shown]
	s_set_vgpr_msb 1                        ;  msbs: dst=0 src0=1 src1=0 src2=0
	ds_load_u16 v145, v13 /*v269*/
	ds_load_u16 v147, v14 /*v270*/
	s_wait_dscnt 0x0
	s_barrier_signal -1
	s_barrier_wait -1
	s_set_vgpr_msb 0                        ;  msbs: dst=0 src0=0 src1=0 src2=0
	ds_store_b64 v66, v[28:29]
	ds_store_b64 v68, v[26:27]
	;; [unrolled: 1-line block ×5, first 2 shown]
	v_mad_nc_u64_u32 v[66:67], v132, 6, v[228:229]
	v_mad_nc_u64_u32 v[68:69], v116, 6, v[226:227]
	;; [unrolled: 1-line block ×11, first 2 shown]
	ds_store_b64 v66, v[18:19]
	ds_store_b64 v68, v[16:17]
	ds_store_b64 v70, v[14:15]
	ds_store_b64 v80, v[4:5]
	ds_store_b64 v82, v[54:55]
	ds_store_b64 v84, v[52:53]
	ds_store_b64 v86, v[50:51]
	ds_store_b64 v96, v[36:37]
	ds_store_b64 v98, v[34:35]
	ds_store_b64 v100, v[32:33]
	ds_store_b64 v102, v[48:49]
	s_wait_dscnt 0x0
	s_barrier_signal -1
	s_barrier_wait -1
	s_set_vgpr_msb 1                        ;  msbs: dst=0 src0=1 src1=0 src2=0
	ds_load_b64 v[66:67], v12 /*v268*/
	ds_load_b64 v[68:69], v15 /*v271*/
	;; [unrolled: 1-line block ×16, first 2 shown]
	s_set_vgpr_msb 0x44                     ;  msbs: dst=1 src0=0 src1=1 src2=0
	v_add_nc_u32_e32 v30 /*v286*/, -8, v30 /*v286*/
	s_xor_b32 s16, exec_lo, -1
	s_wait_dscnt 0x0
	s_barrier_signal -1
	s_barrier_wait -1
	s_set_vgpr_msb 0                        ;  msbs: dst=0 src0=0 src1=0 src2=0
	s_branch .LBB2039_52
.LBB2039_93:
	s_or_b32 exec_lo, exec_lo, s25
	v_mad_nc_u64_u32 v[0:1], v0, 6, v[246:247]
	v_lshl_add_u32 v31, v30, 1, v12
	s_barrier_signal -1
	s_barrier_wait -1
	s_set_vgpr_msb 4                        ;  msbs: dst=0 src0=0 src1=1 src2=0
	ds_store_b16 v246, v31 /*v287*/
	ds_store_b16 v244, v34 /*v290*/
	;; [unrolled: 1-line block ×16, first 2 shown]
	s_wait_dscnt 0x0
	s_barrier_signal -1
	s_barrier_wait -1
	ds_load_u16 v87, v31
	ds_load_u16 v86, v31 offset:512
	ds_load_u16 v85, v31 offset:1024
	;; [unrolled: 1-line block ×7, first 2 shown]
	v_mad_nc_u64_u32 v[10:11], v150, 6, v[244:245]
	ds_load_u16 v80, v31 offset:4096
	ds_load_u16 v70, v31 offset:4608
	;; [unrolled: 1-line block ×8, first 2 shown]
	s_wait_dscnt 0x0
	s_barrier_signal -1
	s_barrier_wait -1
	s_set_vgpr_msb 0                        ;  msbs: dst=0 src0=0 src1=0 src2=0
	ds_store_b64 v0, v[28:29]
	v_mad_nc_u64_u32 v[0:1], v132, 6, v[228:229]
	v_mad_nc_u64_u32 v[12:13], v160, 6, v[242:243]
	;; [unrolled: 1-line block ×4, first 2 shown]
	ds_store_b64 v10, v[26:27]
	ds_store_b64 v12, v[24:25]
	;; [unrolled: 1-line block ×4, first 2 shown]
	v_mad_nc_u64_u32 v[10:11], v116, 6, v[226:227]
	ds_store_b64 v0, v[18:19]
	v_mad_nc_u64_u32 v[0:1], v148, 6, v[198:199]
	v_mad_nc_u64_u32 v[12:13], v128, 6, v[224:225]
	;; [unrolled: 1-line block ×9, first 2 shown]
	v_mul_u32_u24_e32 v1, 6, v30
	ds_store_b64 v10, v[16:17]
	ds_store_b64 v12, v[14:15]
	;; [unrolled: 1-line block ×10, first 2 shown]
	v_dual_mov_b32 v39, 0 :: v_dual_add_nc_u32 v0, v31, v1
	s_wait_dscnt 0x0
	s_barrier_signal -1
	s_barrier_wait -1
	ds_load_2addr_stride64_b64 v[48:51], v0 offset1:4
	ds_load_2addr_stride64_b64 v[34:37], v0 offset0:8 offset1:12
	ds_load_2addr_stride64_b64 v[30:33], v0 offset0:16 offset1:20
	;; [unrolled: 1-line block ×7, first 2 shown]
	v_lshl_add_u64 v[0:1], v[8:9], 1, v[2:3]
	s_set_vgpr_msb 4                        ;  msbs: dst=0 src0=0 src1=1 src2=0
	v_cmp_lt_u32_e32 vcc_lo, v38, v0 /*v256*/
	s_wait_dscnt 0x0
	s_barrier_signal -1
	s_barrier_wait -1
	v_lshl_add_u64 v[0:1], v[38:39], 1, v[0:1]
	s_and_saveexec_b32 s1, vcc_lo
	s_set_vgpr_msb 0                        ;  msbs: dst=0 src0=0 src1=0 src2=0
	s_cbranch_execz .LBB2039_95
; %bb.94:
	v_cmp_lt_i16_e64 s0, -1, v87
	s_delay_alu instid0(VALU_DEP_1) | instskip(NEXT) | instid1(VALU_DEP_1)
	v_cndmask_b32_e64 v2, 0xffff8000, -1, s0
	v_xor_b32_e32 v2, v2, v87
	flat_store_b16 v[0:1], v2
.LBB2039_95:
	s_wait_xcnt 0x0
	s_or_b32 exec_lo, exec_lo, s1
	v_add_nc_u32_e32 v2, 0x100, v38
	s_set_vgpr_msb 4                        ;  msbs: dst=0 src0=0 src1=1 src2=0
	s_delay_alu instid0(VALU_DEP_1)
	v_cmp_lt_u32_e64 s0, v2, v0 /*v256*/
	s_and_saveexec_b32 s2, s0
	s_set_vgpr_msb 0                        ;  msbs: dst=0 src0=0 src1=0 src2=0
	s_cbranch_execz .LBB2039_97
; %bb.96:
	v_cmp_lt_i16_e64 s1, -1, v86
	s_delay_alu instid0(VALU_DEP_1) | instskip(NEXT) | instid1(VALU_DEP_1)
	v_cndmask_b32_e64 v2, 0xffff8000, -1, s1
	v_xor_b32_e32 v2, v2, v86
	flat_store_b16 v[0:1], v2 offset:512
.LBB2039_97:
	s_wait_xcnt 0x0
	s_or_b32 exec_lo, exec_lo, s2
	v_add_nc_u32_e32 v2, 0x200, v38
	s_set_vgpr_msb 4                        ;  msbs: dst=0 src0=0 src1=1 src2=0
	s_delay_alu instid0(VALU_DEP_1)
	v_cmp_lt_u32_e64 s1, v2, v0 /*v256*/
	s_and_saveexec_b32 s3, s1
	s_set_vgpr_msb 0                        ;  msbs: dst=0 src0=0 src1=0 src2=0
	s_cbranch_execz .LBB2039_99
; %bb.98:
	v_cmp_lt_i16_e64 s2, -1, v85
	s_delay_alu instid0(VALU_DEP_1) | instskip(NEXT) | instid1(VALU_DEP_1)
	v_cndmask_b32_e64 v2, 0xffff8000, -1, s2
	v_xor_b32_e32 v2, v2, v85
	flat_store_b16 v[0:1], v2 offset:1024
.LBB2039_99:
	;; [unrolled: 16-line block ×15, first 2 shown]
	s_wait_xcnt 0x0
	s_or_b32 exec_lo, exec_lo, s18
	v_lshl_add_u64 v[0:1], v[8:9], 3, v[6:7]
	s_delay_alu instid0(VALU_DEP_1)
	v_lshl_add_u64 v[0:1], v[38:39], 3, v[0:1]
	s_and_saveexec_b32 s17, vcc_lo
	s_cbranch_execnz .LBB2039_211
; %bb.126:
	s_or_b32 exec_lo, exec_lo, s17
	s_and_saveexec_b32 s17, s0
	s_cbranch_execnz .LBB2039_212
.LBB2039_127:
	s_or_b32 exec_lo, exec_lo, s17
	s_and_saveexec_b32 s0, s1
	s_cbranch_execnz .LBB2039_213
.LBB2039_128:
	s_or_b32 exec_lo, exec_lo, s0
	s_and_saveexec_b32 s0, s2
	s_cbranch_execnz .LBB2039_214
.LBB2039_129:
	s_or_b32 exec_lo, exec_lo, s0
	s_and_saveexec_b32 s0, s3
	s_cbranch_execnz .LBB2039_215
.LBB2039_130:
	s_or_b32 exec_lo, exec_lo, s0
	s_and_saveexec_b32 s0, s4
	s_cbranch_execnz .LBB2039_216
.LBB2039_131:
	s_or_b32 exec_lo, exec_lo, s0
	s_and_saveexec_b32 s0, s5
	s_cbranch_execnz .LBB2039_217
.LBB2039_132:
	s_or_b32 exec_lo, exec_lo, s0
	s_and_saveexec_b32 s0, s6
	s_cbranch_execnz .LBB2039_218
.LBB2039_133:
	s_or_b32 exec_lo, exec_lo, s0
	s_and_saveexec_b32 s0, s7
	s_cbranch_execnz .LBB2039_219
.LBB2039_134:
	s_or_b32 exec_lo, exec_lo, s0
	s_and_saveexec_b32 s0, s10
	s_cbranch_execnz .LBB2039_220
.LBB2039_135:
	s_or_b32 exec_lo, exec_lo, s0
	s_and_saveexec_b32 s0, s11
	s_cbranch_execnz .LBB2039_221
.LBB2039_136:
	s_or_b32 exec_lo, exec_lo, s0
	s_and_saveexec_b32 s0, s12
	s_cbranch_execnz .LBB2039_222
.LBB2039_137:
	s_or_b32 exec_lo, exec_lo, s0
	s_and_saveexec_b32 s0, s13
	s_cbranch_execnz .LBB2039_223
.LBB2039_138:
	s_or_b32 exec_lo, exec_lo, s0
	s_and_saveexec_b32 s0, s14
	s_cbranch_execnz .LBB2039_224
.LBB2039_139:
	s_or_b32 exec_lo, exec_lo, s0
	s_and_saveexec_b32 s0, s15
	s_cbranch_execnz .LBB2039_225
.LBB2039_140:
	s_or_b32 exec_lo, exec_lo, s0
	s_and_saveexec_b32 s0, s16
	s_cbranch_execz .LBB2039_142
.LBB2039_141:
	flat_store_b64 v[0:1], v[12:13] offset:30720
.LBB2039_142:
	s_wait_xcnt 0x0
	s_or_b32 exec_lo, exec_lo, s0
                                        ; implicit-def: $vgpr256
                                        ; implicit-def: $vgpr8
                                        ; implicit-def: $vgpr10
                                        ; implicit-def: $vgpr11
                                        ; implicit-def: $vgpr0_vgpr1
                                        ; implicit-def: $vgpr2_vgpr3
                                        ; implicit-def: $vgpr4_vgpr5
                                        ; implicit-def: $vgpr6_vgpr7
                                        ; implicit-def: $vgpr12_vgpr13
                                        ; implicit-def: $vgpr9
                                        ; implicit-def: $vgpr14
                                        ; implicit-def: $vgpr30
                                        ; implicit-def: $vgpr33
.LBB2039_143:
	s_and_not1_saveexec_b32 s0, s21
	s_cbranch_execz .LBB2039_372
; %bb.144:
	s_mov_b32 s0, exec_lo
	s_set_vgpr_msb 4                        ;  msbs: dst=0 src0=0 src1=1 src2=0
	v_cmpx_lt_u32_e32 0x400, v0 /*v256*/
	s_xor_b32 s21, exec_lo, s0
	s_set_vgpr_msb 0                        ;  msbs: dst=0 src0=0 src1=0 src2=0
	s_cbranch_execz .LBB2039_252
; %bb.145:
	s_load_b64 s[0:1], s[8:9], 0x0
	s_bfe_u32 s3, ttmp6, 0x4000c
	s_bfe_u32 s5, ttmp6, 0x40010
	s_and_b32 s4, ttmp7, 0xffff
	s_add_co_i32 s3, s3, 1
	s_add_co_i32 s5, s5, 1
	s_and_b32 s2, ttmp6, 15
	s_bfe_u32 s6, ttmp6, 0x40004
	s_mul_i32 s3, ttmp9, s3
	s_mul_i32 s5, s4, s5
	s_add_co_i32 s2, s2, s3
	s_add_co_i32 s6, s6, s5
	s_cmp_eq_u32 s23, 0
	s_mov_b32 s3, 0
	s_cselect_b32 s2, ttmp9, s2
	s_cselect_b32 s4, s4, s6
	s_wait_kmcnt 0x0
	s_cmp_lt_u32 s2, s0
	s_cselect_b32 s2, 12, 18
	s_cmp_lt_u32 s4, s1
	s_mov_b32 s1, s3
	s_cselect_b32 s0, 14, 20
	s_delay_alu instid0(SALU_CYCLE_1)
	s_add_nc_u64 s[0:1], s[8:9], s[0:1]
	s_load_u16 s4, s[0:1], 0x0
	s_wait_xcnt 0x0
	s_add_nc_u64 s[0:1], s[8:9], s[2:3]
	s_load_u16 s0, s[0:1], 0x0
	s_wait_kmcnt 0x0
	v_mad_u32_u24 v9, v14, s4, v9
	v_lshlrev_b32_e32 v14, 1, v33
	s_delay_alu instid0(VALU_DEP_2) | instskip(SKIP_1) | instid1(VALU_DEP_1)
	v_mad_u32 v26, v9, s0, v30
	v_mov_b32_e32 v9, 0
	v_lshl_add_u64 v[16:17], v[8:9], 1, v[0:1]
	s_delay_alu instid0(VALU_DEP_3) | instskip(NEXT) | instid1(VALU_DEP_1)
	v_dual_mov_b32 v15, v9 :: v_dual_lshlrev_b32 v18, 3, v26
	v_add_nc_u64_e32 v[14:15], v[16:17], v[14:15]
	v_dual_mov_b32 v16, 0x7fff :: v_dual_mov_b32 v17, 0x7fff
	s_delay_alu instid0(VALU_DEP_3) | instskip(NEXT) | instid1(VALU_DEP_1)
	v_and_b32_e32 v0, 0xffffff00, v18
	v_dual_mov_b32 v1, v9 :: v_dual_bitop2_b32 v24, v0, v33 bitop3:0x54
	s_delay_alu instid0(VALU_DEP_1) | instskip(SKIP_1) | instid1(VALU_DEP_2)
	v_lshl_add_u64 v[14:15], v[0:1], 1, v[14:15]
	s_set_vgpr_msb 4                        ;  msbs: dst=0 src0=0 src1=1 src2=0
	v_cmp_lt_u32_e32 vcc_lo, v24, v0 /*v256*/
	s_and_saveexec_b32 s0, vcc_lo
	s_set_vgpr_msb 0                        ;  msbs: dst=0 src0=0 src1=0 src2=0
	s_cbranch_execz .LBB2039_147
; %bb.146:
	flat_load_u16 v17, v[14:15]
.LBB2039_147:
	s_wait_xcnt 0x0
	s_or_b32 exec_lo, exec_lo, s0
	v_or_b32_e32 v18, 32, v24
	s_set_vgpr_msb 4                        ;  msbs: dst=0 src0=0 src1=1 src2=0
	s_delay_alu instid0(VALU_DEP_1)
	v_cmp_lt_u32_e64 s0, v18, v0 /*v256*/
	s_and_saveexec_b32 s1, s0
	s_set_vgpr_msb 0                        ;  msbs: dst=0 src0=0 src1=0 src2=0
	s_cbranch_execz .LBB2039_149
; %bb.148:
	flat_load_u16 v16, v[14:15] offset:64
.LBB2039_149:
	s_wait_xcnt 0x0
	s_or_b32 exec_lo, exec_lo, s1
	v_or_b32_e32 v19, 64, v24
	v_mov_b32_e32 v18, 0x7fff
	s_set_vgpr_msb 4                        ;  msbs: dst=0 src0=0 src1=1 src2=0
	s_delay_alu instid0(VALU_DEP_2)
	v_cmp_lt_u32_e64 s1, v19, v0 /*v256*/
	v_mov_b32_e32 v19, 0x7fff
	s_and_saveexec_b32 s2, s1
	s_set_vgpr_msb 0                        ;  msbs: dst=0 src0=0 src1=0 src2=0
	s_cbranch_execz .LBB2039_151
; %bb.150:
	flat_load_u16 v19, v[14:15] offset:128
.LBB2039_151:
	s_wait_xcnt 0x0
	s_or_b32 exec_lo, exec_lo, s2
	v_or_b32_e32 v20, 0x60, v24
	s_set_vgpr_msb 4                        ;  msbs: dst=0 src0=0 src1=1 src2=0
	s_delay_alu instid0(VALU_DEP_1)
	v_cmp_lt_u32_e64 s2, v20, v0 /*v256*/
	s_and_saveexec_b32 s3, s2
	s_set_vgpr_msb 0                        ;  msbs: dst=0 src0=0 src1=0 src2=0
	s_cbranch_execz .LBB2039_153
; %bb.152:
	flat_load_u16 v18, v[14:15] offset:192
.LBB2039_153:
	s_wait_xcnt 0x0
	s_or_b32 exec_lo, exec_lo, s3
	v_or_b32_e32 v21, 0x80, v24
	v_mov_b32_e32 v20, 0x7fff
	s_set_vgpr_msb 4                        ;  msbs: dst=0 src0=0 src1=1 src2=0
	s_delay_alu instid0(VALU_DEP_2)
	v_cmp_lt_u32_e64 s3, v21, v0 /*v256*/
	v_mov_b32_e32 v21, 0x7fff
	s_and_saveexec_b32 s4, s3
	s_set_vgpr_msb 0                        ;  msbs: dst=0 src0=0 src1=0 src2=0
	s_cbranch_execz .LBB2039_155
; %bb.154:
	flat_load_u16 v21, v[14:15] offset:256
.LBB2039_155:
	s_wait_xcnt 0x0
	s_or_b32 exec_lo, exec_lo, s4
	v_or_b32_e32 v22, 0xa0, v24
	s_set_vgpr_msb 4                        ;  msbs: dst=0 src0=0 src1=1 src2=0
	s_delay_alu instid0(VALU_DEP_1)
	v_cmp_lt_u32_e64 s4, v22, v0 /*v256*/
	s_and_saveexec_b32 s5, s4
	s_set_vgpr_msb 0                        ;  msbs: dst=0 src0=0 src1=0 src2=0
	s_cbranch_execz .LBB2039_157
; %bb.156:
	flat_load_u16 v20, v[14:15] offset:320
.LBB2039_157:
	s_wait_xcnt 0x0
	s_or_b32 exec_lo, exec_lo, s5
	v_or_b32_e32 v23, 0xc0, v24
	v_mov_b32_e32 v22, 0x7fff
	s_set_vgpr_msb 4                        ;  msbs: dst=0 src0=0 src1=1 src2=0
	s_delay_alu instid0(VALU_DEP_2)
	v_cmp_lt_u32_e64 s5, v23, v0 /*v256*/
	v_mov_b32_e32 v23, 0x7fff
	s_and_saveexec_b32 s6, s5
	s_set_vgpr_msb 0                        ;  msbs: dst=0 src0=0 src1=0 src2=0
	s_cbranch_execz .LBB2039_159
; %bb.158:
	flat_load_u16 v23, v[14:15] offset:384
.LBB2039_159:
	s_wait_xcnt 0x0
	s_or_b32 exec_lo, exec_lo, s6
	v_or_b32_e32 v24, 0xe0, v24
	s_set_vgpr_msb 4                        ;  msbs: dst=0 src0=0 src1=1 src2=0
	s_delay_alu instid0(VALU_DEP_1)
	v_cmp_lt_u32_e64 s6, v24, v0 /*v256*/
	s_and_saveexec_b32 s7, s6
	s_set_vgpr_msb 0                        ;  msbs: dst=0 src0=0 src1=0 src2=0
	s_cbranch_execz .LBB2039_161
; %bb.160:
	flat_load_u16 v22, v[14:15] offset:448
.LBB2039_161:
	s_wait_xcnt 0x0
	s_or_b32 exec_lo, exec_lo, s7
	v_lshl_add_u64 v[4:5], v[8:9], 3, v[4:5]
	v_dual_mov_b32 v15, 0 :: v_dual_lshlrev_b32 v14, 3, v33
                                        ; implicit-def: $vgpr34_vgpr35
	s_delay_alu instid0(VALU_DEP_1) | instskip(NEXT) | instid1(VALU_DEP_1)
	v_add_nc_u64_e32 v[4:5], v[4:5], v[14:15]
	v_lshl_add_u64 v[0:1], v[0:1], 3, v[4:5]
	s_and_saveexec_b32 s7, vcc_lo
	s_cbranch_execnz .LBB2039_285
; %bb.162:
	s_or_b32 exec_lo, exec_lo, s7
                                        ; implicit-def: $vgpr36_vgpr37
	s_and_saveexec_b32 s7, s0
	s_cbranch_execnz .LBB2039_286
.LBB2039_163:
	s_or_b32 exec_lo, exec_lo, s7
                                        ; implicit-def: $vgpr38_vgpr39
	s_and_saveexec_b32 s0, s1
	s_cbranch_execnz .LBB2039_287
.LBB2039_164:
	s_or_b32 exec_lo, exec_lo, s0
                                        ; implicit-def: $vgpr48_vgpr49
	s_and_saveexec_b32 s0, s2
	s_cbranch_execnz .LBB2039_288
.LBB2039_165:
	s_or_b32 exec_lo, exec_lo, s0
                                        ; implicit-def: $vgpr50_vgpr51
	s_and_saveexec_b32 s0, s3
	s_cbranch_execnz .LBB2039_289
.LBB2039_166:
	s_or_b32 exec_lo, exec_lo, s0
                                        ; implicit-def: $vgpr52_vgpr53
	s_and_saveexec_b32 s0, s4
	s_cbranch_execnz .LBB2039_290
.LBB2039_167:
	s_or_b32 exec_lo, exec_lo, s0
                                        ; implicit-def: $vgpr54_vgpr55
	s_and_saveexec_b32 s0, s5
	s_cbranch_execnz .LBB2039_291
.LBB2039_168:
	s_or_b32 exec_lo, exec_lo, s0
                                        ; implicit-def: $vgpr64_vgpr65
	s_and_saveexec_b32 s0, s6
	s_cbranch_execz .LBB2039_170
.LBB2039_169:
	flat_load_b64 v[64:65], v[0:1] offset:1792
.LBB2039_170:
	s_wait_xcnt 0x0
	s_or_b32 exec_lo, exec_lo, s0
	s_wait_loadcnt_dscnt 0x0
	v_cmp_lt_i16_e32 vcc_lo, -1, v17
	s_get_pc_i64 s[0:1]
	s_add_nc_u64 s[0:1], s[0:1], _ZN7rocprim17ROCPRIM_400000_NS16block_radix_sortI12hip_bfloat16Lj256ELj8ElLj1ELj1ELj8ELNS0_26block_radix_rank_algorithmE2ELNS0_18block_padding_hintE2ELNS0_4arch9wavefront6targetE0EE19radix_bits_per_passE@rel64+4
	v_cmp_gt_u32_e64 s6, 8, v30
	s_load_b32 s24, s[0:1], 0x0
	v_cmp_lt_u32_e64 s7, 31, v30
	v_cndmask_b32_e64 v0, -1, 0xffff8000, vcc_lo
	v_cmp_lt_i16_e32 vcc_lo, -1, v16
	v_cmp_eq_u32_e64 s10, 0, v30
	v_lshl_add_u32 v145, v30, 2, v12
	s_delay_alu instid0(VALU_DEP_4) | instskip(SKIP_4) | instid1(VALU_DEP_2)
	v_dual_sub_nc_u32 v179, v11, v10 :: v_dual_bitop2_b32 v196, v0, v17 bitop3:0x14
	v_cndmask_b32_e64 v1, -1, 0xffff8000, vcc_lo
	v_cmp_lt_i16_e32 vcc_lo, -1, v19
	s_mov_b32 s25, 0
	s_wait_storecnt 0x0
	v_dual_lshrrev_b32 v134, 5, v26 :: v_dual_bitop2_b32 v85, v1, v16 bitop3:0x14
	v_cndmask_b32_e64 v4, -1, 0xffff8000, vcc_lo
	v_cmp_lt_i16_e32 vcc_lo, -1, v18
	s_barrier_signal -1
	s_barrier_wait -1
	v_cndmask_b32_e64 v5, -1, 0xffff8000, vcc_lo
	v_cmp_lt_i16_e32 vcc_lo, -1, v21
	v_cndmask_b32_e64 v14, -1, 0xffff8000, vcc_lo
	v_cmp_lt_i16_e32 vcc_lo, -1, v20
	;; [unrolled: 2-line block ×3, first 2 shown]
	s_delay_alu instid0(VALU_DEP_2)
	v_xor_b32_e32 v71, v0, v20
	v_cndmask_b32_e64 v1, -1, 0xffff8000, vcc_lo
	v_cmp_lt_i16_e32 vcc_lo, -1, v22
	v_lshl_add_u32 v0, v30, 5, v12
	v_xor_b32_e32 v87, v4, v19
	v_xor_b32_e32 v69, v5, v18
	;; [unrolled: 1-line block ×3, first 2 shown]
	v_cndmask_b32_e64 v4, -1, 0xffff8000, vcc_lo
	v_dual_add_nc_u32 v129, 44, v0 :: v_dual_bitop2_b32 v81, v1, v23 bitop3:0x14
	v_dual_add_nc_u32 v27, 32, v0 :: v_dual_add_nc_u32 v31, 36, v0
	s_delay_alu instid0(VALU_DEP_3)
	v_dual_add_nc_u32 v130, 48, v0 :: v_dual_bitop2_b32 v83, v4, v22 bitop3:0x14
	v_dual_add_nc_u32 v128, 40, v0 :: v_dual_add_nc_u32 v131, 52, v0
	v_dual_add_nc_u32 v132, 56, v0 :: v_dual_bitop2_b32 v4, 15, v33 bitop3:0x40
	v_add_nc_u32_e32 v133, 60, v0
	v_and_b32_e32 v0, 0x3e0, v30
	v_sub_co_u32 v14, s2, v33, 1
	v_dual_lshlrev_b32 v1, 3, v30 :: v_dual_bitop2_b32 v5, 16, v33 bitop3:0x40
	s_delay_alu instid0(VALU_DEP_3) | instskip(NEXT) | instid1(VALU_DEP_3)
	v_min_u32_e32 v0, 0xe0, v0
	v_cmp_gt_i32_e64 s5, 0, v14
	v_cmp_eq_u32_e32 vcc_lo, 0, v4
	s_wait_xcnt 0x0
	v_cmp_lt_u32_e64 s0, 1, v4
	v_cmp_lt_u32_e64 s1, 3, v4
	;; [unrolled: 1-line block ×3, first 2 shown]
	v_or_b32_e32 v0, 31, v0
	v_cmp_eq_u32_e64 s4, 0, v5
	v_dual_lshrrev_b32 v4, 3, v30 :: v_dual_cndmask_b32 v5, v14, v33, s5
	s_delay_alu instid0(VALU_DEP_3) | instskip(NEXT) | instid1(VALU_DEP_2)
	v_cmp_eq_u32_e64 s5, v30, v0
	v_and_b32_e32 v0, 0x7c, v4
	s_delay_alu instid0(VALU_DEP_3) | instskip(SKIP_1) | instid1(VALU_DEP_3)
	v_lshlrev_b32_e32 v135, 2, v5
	v_and_or_b32 v5, 0x1f00, v1, v33
	v_dual_mov_b32 v1, 0 :: v_dual_add_nc_u32 v144, v12, v0
	v_and_b32_e32 v4, 7, v33
	s_delay_alu instid0(VALU_DEP_3) | instskip(SKIP_1) | instid1(VALU_DEP_4)
	v_lshl_add_u32 v146, v5, 1, v12
	v_mul_u32_u24_e32 v0, 6, v5
	v_add_nc_u32_e32 v147, -4, v144
	s_delay_alu instid0(VALU_DEP_4) | instskip(NEXT) | instid1(VALU_DEP_3)
	v_cmp_eq_u32_e64 s11, 0, v4
	v_dual_add_nc_u32 v148, 64, v146 :: v_dual_add_nc_u32 v151, v146, v0
	v_cmp_lt_u32_e64 s12, 1, v4
	v_cmp_lt_u32_e64 s13, 3, v4
	v_mov_b64_e32 v[4:5], 0
	v_add_nc_u32_e32 v149, 0x80, v146
	v_add_nc_u32_e32 v150, 0xc0, v146
	;; [unrolled: 1-line block ×13, first 2 shown]
	s_branch .LBB2039_172
.LBB2039_171:                           ;   in Loop: Header=BB2039_172 Depth=1
	s_or_b32 exec_lo, exec_lo, s15
	s_delay_alu instid0(SALU_CYCLE_1) | instskip(NEXT) | instid1(SALU_CYCLE_1)
	s_and_b32 s14, exec_lo, s16
	s_or_b32 s25, s14, s25
	s_delay_alu instid0(SALU_CYCLE_1)
	s_and_not1_b32 exec_lo, exec_lo, s25
	s_cbranch_execz .LBB2039_226
.LBB2039_172:                           ; =>This Inner Loop Header: Depth=1
	v_mov_b32_e32 v180, v196
	s_wait_kmcnt 0x0
	v_min_u32_e32 v14, s24, v179
	v_mov_b64_e32 v[32:33], v[36:37]
	v_mov_b64_e32 v[22:23], v[34:35]
	;; [unrolled: 1-line block ×3, first 2 shown]
	v_cmp_ne_u16_e64 s14, 0x7fff, v180
	v_lshlrev_b32_e64 v36, v14, -1
	v_mov_b64_e32 v[24:25], v[48:49]
	v_mov_b64_e32 v[20:21], v[50:51]
	;; [unrolled: 1-line block ×3, first 2 shown]
	v_cndmask_b32_e64 v0, 0xffff8000, v180, s14
	v_mov_b64_e32 v[16:17], v[54:55]
	v_mov_b64_e32 v[14:15], v[64:65]
	v_dual_mov_b32 v181, v85 :: v_dual_mov_b32 v182, v87
	s_delay_alu instid0(VALU_DEP_4)
	v_and_b32_e32 v0, 0xffff, v0
	v_dual_mov_b32 v193, v81 :: v_dual_mov_b32 v195, v83
	ds_store_b64 v27, v[4:5]
	ds_store_b64 v128, v[4:5]
	ds_store_b64 v130, v[4:5]
	ds_store_b64 v132, v[4:5]
	v_lshrrev_b32_e32 v0, v10, v0
	s_wait_dscnt 0x0
	s_barrier_signal -1
	s_barrier_wait -1
	s_delay_alu instid0(VALU_DEP_1) | instskip(SKIP_2) | instid1(VALU_DEP_3)
	v_bitop3_b32 v34, v0, 1, v36 bitop3:0x40
	v_bitop3_b32 v0, v0, v36, v0 bitop3:0x30
	v_mov_b32_e32 v183, v69
	; wave barrier
	v_add_co_u32 v34, s14, v34, -1
	s_delay_alu instid0(VALU_DEP_1) | instskip(NEXT) | instid1(VALU_DEP_4)
	v_cndmask_b32_e64 v35, 0, 1, s14
	v_dual_lshlrev_b32 v37, 30, v0 :: v_dual_lshlrev_b32 v38, 29, v0
	v_dual_lshlrev_b32 v39, 28, v0 :: v_dual_lshlrev_b32 v48, 27, v0
	s_delay_alu instid0(VALU_DEP_3) | instskip(NEXT) | instid1(VALU_DEP_3)
	v_cmp_ne_u32_e64 s14, 0, v35
	v_not_b32_e32 v35, v37
	v_lshlrev_b32_e32 v51, 24, v0
	v_cmp_gt_i32_e64 s15, 0, v37
	v_cmp_gt_i32_e64 s16, 0, v38
	v_not_b32_e32 v37, v38
	v_not_b32_e32 v38, v39
	v_dual_ashrrev_i32 v35, 31, v35 :: v_dual_lshlrev_b32 v49, 26, v0
	v_lshlrev_b32_e32 v50, 25, v0
	v_cmp_gt_i32_e64 s17, 0, v39
	v_dual_ashrrev_i32 v37, 31, v37 :: v_dual_bitop2_b32 v34, s14, v34 bitop3:0x14
	s_delay_alu instid0(VALU_DEP_4) | instskip(SKIP_2) | instid1(VALU_DEP_4)
	v_dual_ashrrev_i32 v38, 31, v38 :: v_dual_bitop2_b32 v35, s15, v35 bitop3:0x14
	v_not_b32_e32 v39, v48
	v_not_b32_e32 v52, v49
	v_xor_b32_e32 v37, s16, v37
	s_delay_alu instid0(VALU_DEP_4)
	v_xor_b32_e32 v38, s17, v38
	v_bitop3_b32 v34, v34, v35, exec_lo bitop3:0x80
	v_cmp_gt_i32_e64 s14, 0, v48
	v_ashrrev_i32_e32 v35, 31, v39
	v_cmp_gt_i32_e64 s15, 0, v49
	v_ashrrev_i32_e32 v39, 31, v52
	v_bitop3_b32 v34, v34, v38, v37 bitop3:0x80
	v_not_b32_e32 v37, v50
	v_not_b32_e32 v38, v51
	v_xor_b32_e32 v35, s14, v35
	v_xor_b32_e32 v39, s15, v39
	v_cmp_gt_i32_e64 s14, 0, v50
	v_ashrrev_i32_e32 v37, 31, v37
	v_cmp_gt_i32_e64 s15, 0, v51
	v_dual_ashrrev_i32 v38, 31, v38 :: v_dual_lshlrev_b32 v0, 3, v0
	v_bitop3_b32 v34, v34, v39, v35 bitop3:0x80
	s_delay_alu instid0(VALU_DEP_4) | instskip(NEXT) | instid1(VALU_DEP_3)
	v_dual_mov_b32 v192, v67 :: v_dual_bitop2_b32 v35, s14, v37 bitop3:0x14
	v_dual_mov_b32 v194, v71 :: v_dual_bitop2_b32 v37, s15, v38 bitop3:0x14
	s_delay_alu instid0(VALU_DEP_4) | instskip(NEXT) | instid1(VALU_DEP_2)
	v_add_lshl_u32 v0, v0, v134, 2
	v_bitop3_b32 v37, v34, v37, v35 bitop3:0x80
	s_delay_alu instid0(VALU_DEP_2) | instskip(NEXT) | instid1(VALU_DEP_2)
	v_add_nc_u64_e32 v[34:35], v[12:13], v[0:1]
	v_mbcnt_lo_u32_b32 v0, v37, 0
	v_cmp_ne_u32_e64 s15, 0, v37
	s_delay_alu instid0(VALU_DEP_3) | instskip(NEXT) | instid1(VALU_DEP_3)
	v_add_nc_u64_e32 v[34:35], 32, v[34:35]
	v_cmp_eq_u32_e64 s14, 0, v0
	s_and_b32 s15, s15, s14
	s_delay_alu instid0(SALU_CYCLE_1)
	s_and_saveexec_b32 s14, s15
; %bb.173:                              ;   in Loop: Header=BB2039_172 Depth=1
	v_bcnt_u32_b32 v35, v37, 0
	ds_store_b32 v34, v35
; %bb.174:                              ;   in Loop: Header=BB2039_172 Depth=1
	s_or_b32 exec_lo, exec_lo, s14
	v_cmp_ne_u16_e64 s14, 0x7fff, v181
	v_not_b32_e32 v49, v36
	; wave barrier
	s_delay_alu instid0(VALU_DEP_2) | instskip(NEXT) | instid1(VALU_DEP_1)
	v_cndmask_b32_e64 v35, 0xffff8000, v181, s14
	v_and_b32_e32 v35, 0xffff, v35
	s_delay_alu instid0(VALU_DEP_1) | instskip(NEXT) | instid1(VALU_DEP_1)
	v_lshrrev_b32_e32 v35, v10, v35
	v_and_b32_e32 v36, v35, v49
	s_delay_alu instid0(VALU_DEP_1) | instskip(SKIP_1) | instid1(VALU_DEP_2)
	v_lshlrev_b32_e32 v39, 30, v36
	v_bitop3_b32 v35, v35, 1, v49 bitop3:0x80
	v_cmp_gt_i32_e64 s15, 0, v39
	s_delay_alu instid0(VALU_DEP_2) | instskip(NEXT) | instid1(VALU_DEP_1)
	v_add_co_u32 v35, s14, v35, -1
	v_cndmask_b32_e64 v38, 0, 1, s14
	s_delay_alu instid0(VALU_DEP_1) | instskip(SKIP_1) | instid1(VALU_DEP_1)
	v_cmp_ne_u32_e64 s14, 0, v38
	v_not_b32_e32 v38, v39
	v_dual_ashrrev_i32 v38, 31, v38 :: v_dual_lshlrev_b32 v48, 29, v36
	v_dual_lshlrev_b32 v50, 28, v36 :: v_dual_lshlrev_b32 v51, 27, v36
	v_lshlrev_b32_e32 v52, 26, v36
	v_lshl_add_u32 v37, v36, 3, v134
	s_delay_alu instid0(VALU_DEP_4)
	v_cmp_gt_i32_e64 s16, 0, v48
	v_not_b32_e32 v39, v48
	v_not_b32_e32 v48, v50
	v_dual_lshlrev_b32 v53, 25, v36 :: v_dual_lshlrev_b32 v36, 24, v36
	v_cmp_gt_i32_e64 s17, 0, v50
	v_cmp_gt_i32_e64 s18, 0, v51
	v_not_b32_e32 v50, v51
	v_not_b32_e32 v51, v52
	v_dual_ashrrev_i32 v48, 31, v48 :: v_dual_bitop2_b32 v35, s14, v35 bitop3:0x14
	v_dual_ashrrev_i32 v39, 31, v39 :: v_dual_bitop2_b32 v38, s15, v38 bitop3:0x14
	v_cmp_gt_i32_e64 s19, 0, v52
	v_not_b32_e32 v52, v53
	v_dual_ashrrev_i32 v50, 31, v50 :: v_dual_ashrrev_i32 v51, 31, v51
	s_delay_alu instid0(VALU_DEP_4)
	v_xor_b32_e32 v39, s16, v39
	v_bitop3_b32 v35, v35, v38, exec_lo bitop3:0x80
	v_not_b32_e32 v38, v36
	v_xor_b32_e32 v48, s17, v48
	v_cmp_gt_i32_e64 s20, 0, v53
	v_dual_ashrrev_i32 v52, 31, v52 :: v_dual_bitop2_b32 v51, s19, v51 bitop3:0x14
	v_cmp_gt_i32_e64 s14, 0, v36
	v_ashrrev_i32_e32 v36, 31, v38
	v_bitop3_b32 v35, v35, v48, v39 bitop3:0x80
	v_lshl_add_u32 v37, v37, 2, v12
	v_xor_b32_e32 v50, s18, v50
	v_xor_b32_e32 v38, s20, v52
	;; [unrolled: 1-line block ×3, first 2 shown]
	s_delay_alu instid0(VALU_DEP_3) | instskip(SKIP_3) | instid1(VALU_DEP_1)
	v_bitop3_b32 v39, v35, v51, v50 bitop3:0x80
	ds_load_b32 v35, v37 offset:32
	v_add_nc_u32_e32 v37, 32, v37
	; wave barrier
	v_bitop3_b32 v38, v39, v36, v38 bitop3:0x80
	v_mbcnt_lo_u32_b32 v36, v38, 0
	v_cmp_ne_u32_e64 s15, 0, v38
	s_delay_alu instid0(VALU_DEP_2) | instskip(SKIP_1) | instid1(SALU_CYCLE_1)
	v_cmp_eq_u32_e64 s14, 0, v36
	s_and_b32 s15, s15, s14
	s_and_saveexec_b32 s14, s15
	s_cbranch_execz .LBB2039_176
; %bb.175:                              ;   in Loop: Header=BB2039_172 Depth=1
	s_wait_dscnt 0x0
	v_bcnt_u32_b32 v38, v38, v35
	ds_store_b32 v37, v38
.LBB2039_176:                           ;   in Loop: Header=BB2039_172 Depth=1
	s_or_b32 exec_lo, exec_lo, s14
	v_cmp_ne_u16_e64 s14, 0x7fff, v182
	; wave barrier
	s_delay_alu instid0(VALU_DEP_1) | instskip(NEXT) | instid1(VALU_DEP_1)
	v_cndmask_b32_e64 v38, 0xffff8000, v182, s14
	v_and_b32_e32 v38, 0xffff, v38
	s_delay_alu instid0(VALU_DEP_1) | instskip(NEXT) | instid1(VALU_DEP_1)
	v_lshrrev_b32_e32 v38, v10, v38
	v_and_b32_e32 v39, v38, v49
	s_delay_alu instid0(VALU_DEP_1) | instskip(SKIP_1) | instid1(VALU_DEP_2)
	v_lshlrev_b32_e32 v51, 30, v39
	v_bitop3_b32 v38, v38, 1, v49 bitop3:0x80
	v_cmp_gt_i32_e64 s15, 0, v51
	s_delay_alu instid0(VALU_DEP_2) | instskip(NEXT) | instid1(VALU_DEP_1)
	v_add_co_u32 v38, s14, v38, -1
	v_cndmask_b32_e64 v50, 0, 1, s14
	s_delay_alu instid0(VALU_DEP_1) | instskip(SKIP_1) | instid1(VALU_DEP_1)
	v_cmp_ne_u32_e64 s14, 0, v50
	v_not_b32_e32 v50, v51
	v_dual_ashrrev_i32 v50, 31, v50 :: v_dual_lshlrev_b32 v52, 29, v39
	v_dual_lshlrev_b32 v53, 28, v39 :: v_dual_lshlrev_b32 v54, 27, v39
	v_dual_lshlrev_b32 v55, 26, v39 :: v_dual_lshlrev_b32 v64, 25, v39
	s_delay_alu instid0(VALU_DEP_3) | instskip(SKIP_1) | instid1(VALU_DEP_4)
	v_cmp_gt_i32_e64 s16, 0, v52
	v_not_b32_e32 v51, v52
	v_not_b32_e32 v52, v53
	v_lshl_add_u32 v48, v39, 3, v134
	v_lshlrev_b32_e32 v39, 24, v39
	v_cmp_gt_i32_e64 s17, 0, v53
	v_cmp_gt_i32_e64 s18, 0, v54
	v_not_b32_e32 v53, v54
	v_cmp_gt_i32_e64 s19, 0, v55
	v_not_b32_e32 v54, v55
	v_not_b32_e32 v55, v64
	v_dual_ashrrev_i32 v51, 31, v51 :: v_dual_bitop2_b32 v38, s14, v38 bitop3:0x14
	v_dual_ashrrev_i32 v52, 31, v52 :: v_dual_ashrrev_i32 v53, 31, v53
	v_xor_b32_e32 v50, s15, v50
	v_not_b32_e32 v65, v39
	s_delay_alu instid0(VALU_DEP_4) | instskip(NEXT) | instid1(VALU_DEP_4)
	v_dual_ashrrev_i32 v54, 31, v54 :: v_dual_bitop2_b32 v51, s16, v51 bitop3:0x14
	v_xor_b32_e32 v52, s17, v52
	s_delay_alu instid0(VALU_DEP_4) | instskip(SKIP_1) | instid1(VALU_DEP_4)
	v_bitop3_b32 v38, v38, v50, exec_lo bitop3:0x80
	v_cmp_gt_i32_e64 s14, 0, v64
	v_dual_ashrrev_i32 v54, 31, v55 :: v_dual_bitop2_b32 v50, s19, v54 bitop3:0x14
	v_cmp_gt_i32_e64 s15, 0, v39
	v_ashrrev_i32_e32 v39, 31, v65
	v_bitop3_b32 v38, v38, v52, v51 bitop3:0x80
	v_lshl_add_u32 v48, v48, 2, v12
	v_xor_b32_e32 v53, s18, v53
	v_xor_b32_e32 v51, s14, v54
	;; [unrolled: 1-line block ×3, first 2 shown]
	s_delay_alu instid0(VALU_DEP_3) | instskip(SKIP_3) | instid1(VALU_DEP_1)
	v_bitop3_b32 v50, v38, v50, v53 bitop3:0x80
	ds_load_b32 v38, v48 offset:32
	v_add_nc_u32_e32 v48, 32, v48
	; wave barrier
	v_bitop3_b32 v50, v50, v39, v51 bitop3:0x80
	v_mbcnt_lo_u32_b32 v39, v50, 0
	v_cmp_ne_u32_e64 s15, 0, v50
	s_delay_alu instid0(VALU_DEP_2) | instskip(SKIP_1) | instid1(SALU_CYCLE_1)
	v_cmp_eq_u32_e64 s14, 0, v39
	s_and_b32 s15, s15, s14
	s_and_saveexec_b32 s14, s15
	s_cbranch_execz .LBB2039_178
; %bb.177:                              ;   in Loop: Header=BB2039_172 Depth=1
	s_wait_dscnt 0x0
	v_bcnt_u32_b32 v50, v50, v38
	ds_store_b32 v48, v50
.LBB2039_178:                           ;   in Loop: Header=BB2039_172 Depth=1
	s_or_b32 exec_lo, exec_lo, s14
	v_cmp_ne_u16_e64 s14, 0x7fff, v183
	; wave barrier
	s_delay_alu instid0(VALU_DEP_1) | instskip(NEXT) | instid1(VALU_DEP_1)
	v_cndmask_b32_e64 v50, 0xffff8000, v183, s14
	v_and_b32_e32 v50, 0xffff, v50
	s_delay_alu instid0(VALU_DEP_1) | instskip(NEXT) | instid1(VALU_DEP_1)
	v_lshrrev_b32_e32 v50, v10, v50
	v_and_b32_e32 v51, v50, v49
	s_delay_alu instid0(VALU_DEP_1) | instskip(SKIP_2) | instid1(VALU_DEP_3)
	v_lshlrev_b32_e32 v54, 30, v51
	v_bitop3_b32 v50, v50, 1, v49 bitop3:0x80
	v_lshlrev_b32_e32 v55, 29, v51
	v_cmp_gt_i32_e64 s15, 0, v54
	s_delay_alu instid0(VALU_DEP_3) | instskip(NEXT) | instid1(VALU_DEP_1)
	v_add_co_u32 v50, s14, v50, -1
	v_cndmask_b32_e64 v53, 0, 1, s14
	s_delay_alu instid0(VALU_DEP_1) | instskip(SKIP_2) | instid1(VALU_DEP_2)
	v_cmp_ne_u32_e64 s14, 0, v53
	v_not_b32_e32 v53, v54
	v_not_b32_e32 v54, v55
	v_dual_ashrrev_i32 v53, 31, v53 :: v_dual_bitop2_b32 v50, s14, v50 bitop3:0x14
	s_delay_alu instid0(VALU_DEP_2) | instskip(SKIP_3) | instid1(VALU_DEP_4)
	v_dual_ashrrev_i32 v54, 31, v54 :: v_dual_lshlrev_b32 v64, 28, v51
	v_dual_lshlrev_b32 v65, 27, v51 :: v_dual_lshlrev_b32 v66, 26, v51
	v_lshlrev_b32_e32 v67, 25, v51
	v_cmp_gt_i32_e64 s16, 0, v55
	v_not_b32_e32 v55, v64
	v_lshl_add_u32 v52, v51, 3, v134
	v_lshlrev_b32_e32 v51, 24, v51
	v_cmp_gt_i32_e64 s17, 0, v64
	v_cmp_gt_i32_e64 s18, 0, v65
	v_not_b32_e32 v64, v65
	v_cmp_gt_i32_e64 s19, 0, v66
	v_not_b32_e32 v65, v66
	v_not_b32_e32 v66, v67
	s_delay_alu instid0(VALU_DEP_4) | instskip(SKIP_3) | instid1(VALU_DEP_4)
	v_dual_ashrrev_i32 v55, 31, v55 :: v_dual_ashrrev_i32 v64, 31, v64
	v_xor_b32_e32 v53, s15, v53
	v_not_b32_e32 v68, v51
	v_dual_ashrrev_i32 v65, 31, v65 :: v_dual_bitop2_b32 v54, s16, v54 bitop3:0x14
	v_xor_b32_e32 v55, s17, v55
	s_delay_alu instid0(VALU_DEP_4)
	v_bitop3_b32 v50, v50, v53, exec_lo bitop3:0x80
	v_xor_b32_e32 v64, s18, v64
	v_cmp_gt_i32_e64 s14, 0, v67
	v_cmp_gt_i32_e64 s15, 0, v51
	v_ashrrev_i32_e32 v51, 31, v68
	v_bitop3_b32 v50, v50, v55, v54 bitop3:0x80
	v_lshl_add_u32 v52, v52, 2, v12
	v_dual_ashrrev_i32 v65, 31, v66 :: v_dual_bitop2_b32 v53, s19, v65 bitop3:0x14
	s_delay_alu instid0(VALU_DEP_4) | instskip(NEXT) | instid1(VALU_DEP_2)
	v_xor_b32_e32 v51, s15, v51
	v_bitop3_b32 v53, v50, v53, v64 bitop3:0x80
	s_delay_alu instid0(VALU_DEP_3) | instskip(SKIP_3) | instid1(VALU_DEP_1)
	v_xor_b32_e32 v54, s14, v65
	ds_load_b32 v50, v52 offset:32
	v_add_nc_u32_e32 v52, 32, v52
	; wave barrier
	v_bitop3_b32 v53, v53, v51, v54 bitop3:0x80
	v_mbcnt_lo_u32_b32 v51, v53, 0
	v_cmp_ne_u32_e64 s15, 0, v53
	s_delay_alu instid0(VALU_DEP_2) | instskip(SKIP_1) | instid1(SALU_CYCLE_1)
	v_cmp_eq_u32_e64 s14, 0, v51
	s_and_b32 s15, s15, s14
	s_and_saveexec_b32 s14, s15
	s_cbranch_execz .LBB2039_180
; %bb.179:                              ;   in Loop: Header=BB2039_172 Depth=1
	s_wait_dscnt 0x0
	v_bcnt_u32_b32 v53, v53, v50
	ds_store_b32 v52, v53
.LBB2039_180:                           ;   in Loop: Header=BB2039_172 Depth=1
	s_or_b32 exec_lo, exec_lo, s14
	v_cmp_ne_u16_e64 s14, 0x7fff, v192
	; wave barrier
	s_delay_alu instid0(VALU_DEP_1) | instskip(NEXT) | instid1(VALU_DEP_1)
	v_cndmask_b32_e64 v53, 0xffff8000, v192, s14
	v_and_b32_e32 v53, 0xffff, v53
	s_delay_alu instid0(VALU_DEP_1) | instskip(NEXT) | instid1(VALU_DEP_1)
	v_lshrrev_b32_e32 v53, v10, v53
	v_and_b32_e32 v54, v53, v49
	s_delay_alu instid0(VALU_DEP_1) | instskip(SKIP_1) | instid1(VALU_DEP_2)
	v_lshlrev_b32_e32 v65, 30, v54
	v_bitop3_b32 v53, v53, 1, v49 bitop3:0x80
	v_cmp_gt_i32_e64 s15, 0, v65
	s_delay_alu instid0(VALU_DEP_2) | instskip(NEXT) | instid1(VALU_DEP_1)
	v_add_co_u32 v53, s14, v53, -1
	v_cndmask_b32_e64 v64, 0, 1, s14
	s_delay_alu instid0(VALU_DEP_1) | instskip(SKIP_1) | instid1(VALU_DEP_1)
	v_cmp_ne_u32_e64 s14, 0, v64
	v_not_b32_e32 v64, v65
	v_dual_ashrrev_i32 v64, 31, v64 :: v_dual_lshlrev_b32 v66, 29, v54
	v_dual_lshlrev_b32 v67, 28, v54 :: v_dual_lshlrev_b32 v68, 27, v54
	v_dual_lshlrev_b32 v69, 26, v54 :: v_dual_lshlrev_b32 v70, 25, v54
	s_delay_alu instid0(VALU_DEP_3) | instskip(SKIP_1) | instid1(VALU_DEP_4)
	v_cmp_gt_i32_e64 s16, 0, v66
	v_not_b32_e32 v65, v66
	v_not_b32_e32 v66, v67
	v_lshl_add_u32 v55, v54, 3, v134
	v_lshlrev_b32_e32 v54, 24, v54
	v_cmp_gt_i32_e64 s17, 0, v67
	v_cmp_gt_i32_e64 s18, 0, v68
	v_not_b32_e32 v67, v68
	v_cmp_gt_i32_e64 s19, 0, v69
	v_not_b32_e32 v68, v69
	v_not_b32_e32 v69, v70
	v_dual_ashrrev_i32 v66, 31, v66 :: v_dual_bitop2_b32 v53, s14, v53 bitop3:0x14
	v_dual_ashrrev_i32 v65, 31, v65 :: v_dual_ashrrev_i32 v67, 31, v67
	v_xor_b32_e32 v64, s15, v64
	v_not_b32_e32 v71, v54
	s_delay_alu instid0(VALU_DEP_3) | instskip(SKIP_1) | instid1(VALU_DEP_4)
	v_dual_ashrrev_i32 v68, 31, v68 :: v_dual_bitop2_b32 v65, s16, v65 bitop3:0x14
	v_xor_b32_e32 v66, s17, v66
	v_bitop3_b32 v53, v53, v64, exec_lo bitop3:0x80
	v_xor_b32_e32 v67, s18, v67
	v_cmp_gt_i32_e64 s14, 0, v70
	v_cmp_gt_i32_e64 s15, 0, v54
	v_ashrrev_i32_e32 v54, 31, v71
	v_bitop3_b32 v53, v53, v66, v65 bitop3:0x80
	v_lshl_add_u32 v55, v55, 2, v12
	v_dual_ashrrev_i32 v68, 31, v69 :: v_dual_bitop2_b32 v64, s19, v68 bitop3:0x14
	s_delay_alu instid0(VALU_DEP_4) | instskip(NEXT) | instid1(VALU_DEP_2)
	v_xor_b32_e32 v54, s15, v54
	v_bitop3_b32 v64, v53, v64, v67 bitop3:0x80
	s_delay_alu instid0(VALU_DEP_3) | instskip(SKIP_3) | instid1(VALU_DEP_1)
	v_xor_b32_e32 v65, s14, v68
	ds_load_b32 v53, v55 offset:32
	v_add_nc_u32_e32 v55, 32, v55
	; wave barrier
	v_bitop3_b32 v64, v64, v54, v65 bitop3:0x80
	v_mbcnt_lo_u32_b32 v54, v64, 0
	v_cmp_ne_u32_e64 s15, 0, v64
	s_delay_alu instid0(VALU_DEP_2) | instskip(SKIP_1) | instid1(SALU_CYCLE_1)
	v_cmp_eq_u32_e64 s14, 0, v54
	s_and_b32 s15, s15, s14
	s_and_saveexec_b32 s14, s15
	s_cbranch_execz .LBB2039_182
; %bb.181:                              ;   in Loop: Header=BB2039_172 Depth=1
	s_wait_dscnt 0x0
	v_bcnt_u32_b32 v64, v64, v53
	ds_store_b32 v55, v64
.LBB2039_182:                           ;   in Loop: Header=BB2039_172 Depth=1
	s_or_b32 exec_lo, exec_lo, s14
	v_cmp_ne_u16_e64 s14, 0x7fff, v194
	; wave barrier
	s_delay_alu instid0(VALU_DEP_1) | instskip(NEXT) | instid1(VALU_DEP_1)
	v_cndmask_b32_e64 v64, 0xffff8000, v194, s14
	v_and_b32_e32 v64, 0xffff, v64
	s_delay_alu instid0(VALU_DEP_1) | instskip(NEXT) | instid1(VALU_DEP_1)
	v_lshrrev_b32_e32 v64, v10, v64
	v_and_b32_e32 v65, v64, v49
	s_delay_alu instid0(VALU_DEP_1) | instskip(SKIP_1) | instid1(VALU_DEP_2)
	v_lshlrev_b32_e32 v68, 30, v65
	v_bitop3_b32 v64, v64, 1, v49 bitop3:0x80
	v_cmp_gt_i32_e64 s15, 0, v68
	s_delay_alu instid0(VALU_DEP_2) | instskip(NEXT) | instid1(VALU_DEP_1)
	v_add_co_u32 v64, s14, v64, -1
	v_cndmask_b32_e64 v67, 0, 1, s14
	s_delay_alu instid0(VALU_DEP_1) | instskip(SKIP_1) | instid1(VALU_DEP_1)
	v_cmp_ne_u32_e64 s14, 0, v67
	v_not_b32_e32 v67, v68
	v_dual_ashrrev_i32 v67, 31, v67 :: v_dual_lshlrev_b32 v69, 29, v65
	v_dual_lshlrev_b32 v70, 28, v65 :: v_dual_lshlrev_b32 v71, 27, v65
	v_dual_lshlrev_b32 v80, 26, v65 :: v_dual_lshlrev_b32 v81, 25, v65
	s_delay_alu instid0(VALU_DEP_3) | instskip(SKIP_1) | instid1(VALU_DEP_4)
	v_cmp_gt_i32_e64 s16, 0, v69
	v_not_b32_e32 v68, v69
	v_not_b32_e32 v69, v70
	v_lshl_add_u32 v66, v65, 3, v134
	v_lshlrev_b32_e32 v65, 24, v65
	v_cmp_gt_i32_e64 s17, 0, v70
	v_cmp_gt_i32_e64 s18, 0, v71
	v_not_b32_e32 v70, v71
	v_cmp_gt_i32_e64 s19, 0, v80
	v_not_b32_e32 v71, v80
	v_not_b32_e32 v80, v81
	v_dual_ashrrev_i32 v69, 31, v69 :: v_dual_bitop2_b32 v64, s14, v64 bitop3:0x14
	v_dual_ashrrev_i32 v68, 31, v68 :: v_dual_ashrrev_i32 v70, 31, v70
	v_xor_b32_e32 v67, s15, v67
	v_not_b32_e32 v82, v65
	s_delay_alu instid0(VALU_DEP_3) | instskip(SKIP_1) | instid1(VALU_DEP_4)
	v_dual_ashrrev_i32 v71, 31, v71 :: v_dual_bitop2_b32 v68, s16, v68 bitop3:0x14
	v_xor_b32_e32 v69, s17, v69
	v_bitop3_b32 v64, v64, v67, exec_lo bitop3:0x80
	v_xor_b32_e32 v70, s18, v70
	v_cmp_gt_i32_e64 s14, 0, v81
	v_cmp_gt_i32_e64 s15, 0, v65
	v_ashrrev_i32_e32 v65, 31, v82
	v_bitop3_b32 v64, v64, v69, v68 bitop3:0x80
	v_lshl_add_u32 v66, v66, 2, v12
	v_dual_ashrrev_i32 v71, 31, v80 :: v_dual_bitop2_b32 v67, s19, v71 bitop3:0x14
	s_delay_alu instid0(VALU_DEP_4) | instskip(NEXT) | instid1(VALU_DEP_2)
	v_xor_b32_e32 v65, s15, v65
	v_bitop3_b32 v67, v64, v67, v70 bitop3:0x80
	s_delay_alu instid0(VALU_DEP_3) | instskip(SKIP_3) | instid1(VALU_DEP_1)
	v_xor_b32_e32 v68, s14, v71
	ds_load_b32 v64, v66 offset:32
	v_add_nc_u32_e32 v66, 32, v66
	; wave barrier
	v_bitop3_b32 v67, v67, v65, v68 bitop3:0x80
	v_mbcnt_lo_u32_b32 v65, v67, 0
	v_cmp_ne_u32_e64 s15, 0, v67
	s_delay_alu instid0(VALU_DEP_2) | instskip(SKIP_1) | instid1(SALU_CYCLE_1)
	v_cmp_eq_u32_e64 s14, 0, v65
	s_and_b32 s15, s15, s14
	s_and_saveexec_b32 s14, s15
	s_cbranch_execz .LBB2039_184
; %bb.183:                              ;   in Loop: Header=BB2039_172 Depth=1
	s_wait_dscnt 0x0
	v_bcnt_u32_b32 v67, v67, v64
	ds_store_b32 v66, v67
.LBB2039_184:                           ;   in Loop: Header=BB2039_172 Depth=1
	s_or_b32 exec_lo, exec_lo, s14
	v_cmp_ne_u16_e64 s14, 0x7fff, v193
	; wave barrier
	s_delay_alu instid0(VALU_DEP_1) | instskip(NEXT) | instid1(VALU_DEP_1)
	v_cndmask_b32_e64 v67, 0xffff8000, v193, s14
	v_and_b32_e32 v67, 0xffff, v67
	s_delay_alu instid0(VALU_DEP_1) | instskip(NEXT) | instid1(VALU_DEP_1)
	v_lshrrev_b32_e32 v67, v10, v67
	v_and_b32_e32 v68, v67, v49
	s_delay_alu instid0(VALU_DEP_1) | instskip(SKIP_1) | instid1(VALU_DEP_2)
	v_lshlrev_b32_e32 v71, 30, v68
	v_bitop3_b32 v67, v67, 1, v49 bitop3:0x80
	v_cmp_gt_i32_e64 s15, 0, v71
	s_delay_alu instid0(VALU_DEP_2) | instskip(NEXT) | instid1(VALU_DEP_1)
	v_add_co_u32 v67, s14, v67, -1
	v_cndmask_b32_e64 v70, 0, 1, s14
	s_delay_alu instid0(VALU_DEP_1) | instskip(SKIP_1) | instid1(VALU_DEP_1)
	v_cmp_ne_u32_e64 s14, 0, v70
	v_not_b32_e32 v70, v71
	v_dual_ashrrev_i32 v70, 31, v70 :: v_dual_lshlrev_b32 v80, 29, v68
	v_dual_lshlrev_b32 v81, 28, v68 :: v_dual_lshlrev_b32 v82, 27, v68
	v_dual_lshlrev_b32 v83, 26, v68 :: v_dual_lshlrev_b32 v84, 25, v68
	s_delay_alu instid0(VALU_DEP_3) | instskip(SKIP_1) | instid1(VALU_DEP_4)
	v_cmp_gt_i32_e64 s16, 0, v80
	v_not_b32_e32 v71, v80
	v_not_b32_e32 v80, v81
	v_lshl_add_u32 v69, v68, 3, v134
	v_lshlrev_b32_e32 v68, 24, v68
	v_cmp_gt_i32_e64 s17, 0, v81
	v_cmp_gt_i32_e64 s18, 0, v82
	v_not_b32_e32 v81, v82
	v_cmp_gt_i32_e64 s19, 0, v83
	v_not_b32_e32 v82, v83
	v_not_b32_e32 v83, v84
	v_dual_ashrrev_i32 v80, 31, v80 :: v_dual_bitop2_b32 v67, s14, v67 bitop3:0x14
	v_dual_ashrrev_i32 v71, 31, v71 :: v_dual_ashrrev_i32 v81, 31, v81
	v_xor_b32_e32 v70, s15, v70
	v_not_b32_e32 v85, v68
	s_delay_alu instid0(VALU_DEP_3) | instskip(SKIP_1) | instid1(VALU_DEP_4)
	v_dual_ashrrev_i32 v82, 31, v82 :: v_dual_bitop2_b32 v71, s16, v71 bitop3:0x14
	v_xor_b32_e32 v80, s17, v80
	v_bitop3_b32 v67, v67, v70, exec_lo bitop3:0x80
	v_xor_b32_e32 v81, s18, v81
	v_cmp_gt_i32_e64 s14, 0, v84
	v_cmp_gt_i32_e64 s15, 0, v68
	v_ashrrev_i32_e32 v68, 31, v85
	v_bitop3_b32 v67, v67, v80, v71 bitop3:0x80
	v_lshl_add_u32 v69, v69, 2, v12
	v_dual_ashrrev_i32 v82, 31, v83 :: v_dual_bitop2_b32 v70, s19, v82 bitop3:0x14
	s_delay_alu instid0(VALU_DEP_4) | instskip(SKIP_3) | instid1(VALU_DEP_1)
	v_xor_b32_e32 v68, s15, v68
	ds_load_b32 v84, v69 offset:32
	v_bitop3_b32 v67, v67, v70, v81 bitop3:0x80
	v_xor_b32_e32 v71, s14, v82
	; wave barrier
	v_bitop3_b32 v68, v67, v68, v71 bitop3:0x80
	v_add_nc_u32_e32 v67, 32, v69
	s_delay_alu instid0(VALU_DEP_2) | instskip(SKIP_1) | instid1(VALU_DEP_2)
	v_mbcnt_lo_u32_b32 v86, v68, 0
	v_cmp_ne_u32_e64 s15, 0, v68
	v_cmp_eq_u32_e64 s14, 0, v86
	s_and_b32 s15, s15, s14
	s_delay_alu instid0(SALU_CYCLE_1)
	s_and_saveexec_b32 s14, s15
	s_cbranch_execz .LBB2039_186
; %bb.185:                              ;   in Loop: Header=BB2039_172 Depth=1
	s_wait_dscnt 0x0
	v_bcnt_u32_b32 v68, v68, v84
	ds_store_b32 v67, v68
.LBB2039_186:                           ;   in Loop: Header=BB2039_172 Depth=1
	s_or_b32 exec_lo, exec_lo, s14
	v_cmp_ne_u16_e64 s14, 0x7fff, v195
	; wave barrier
	s_delay_alu instid0(VALU_DEP_1) | instskip(NEXT) | instid1(VALU_DEP_1)
	v_cndmask_b32_e64 v68, 0xffff8000, v195, s14
	v_and_b32_e32 v68, 0xffff, v68
	s_delay_alu instid0(VALU_DEP_1) | instskip(NEXT) | instid1(VALU_DEP_1)
	v_lshrrev_b32_e32 v68, v10, v68
	v_and_b32_e32 v69, v68, v49
	s_delay_alu instid0(VALU_DEP_1) | instskip(SKIP_1) | instid1(VALU_DEP_2)
	v_lshlrev_b32_e32 v71, 30, v69
	v_bitop3_b32 v49, v68, 1, v49 bitop3:0x80
	v_cmp_gt_i32_e64 s15, 0, v71
	s_delay_alu instid0(VALU_DEP_2) | instskip(NEXT) | instid1(VALU_DEP_1)
	v_add_co_u32 v49, s14, v49, -1
	v_cndmask_b32_e64 v70, 0, 1, s14
	s_delay_alu instid0(VALU_DEP_1) | instskip(SKIP_1) | instid1(VALU_DEP_1)
	v_cmp_ne_u32_e64 s14, 0, v70
	v_not_b32_e32 v70, v71
	v_dual_ashrrev_i32 v70, 31, v70 :: v_dual_lshlrev_b32 v80, 29, v69
	v_dual_lshlrev_b32 v81, 28, v69 :: v_dual_lshlrev_b32 v82, 27, v69
	v_dual_lshlrev_b32 v83, 26, v69 :: v_dual_lshlrev_b32 v85, 25, v69
	s_delay_alu instid0(VALU_DEP_3) | instskip(SKIP_1) | instid1(VALU_DEP_4)
	v_cmp_gt_i32_e64 s16, 0, v80
	v_not_b32_e32 v71, v80
	v_not_b32_e32 v80, v81
	v_lshl_add_u32 v68, v69, 3, v134
	v_lshlrev_b32_e32 v69, 24, v69
	v_cmp_gt_i32_e64 s17, 0, v81
	v_cmp_gt_i32_e64 s18, 0, v82
	v_not_b32_e32 v81, v82
	v_cmp_gt_i32_e64 s19, 0, v83
	v_not_b32_e32 v82, v83
	v_not_b32_e32 v83, v85
	v_dual_ashrrev_i32 v71, 31, v71 :: v_dual_bitop2_b32 v49, s14, v49 bitop3:0x14
	v_dual_ashrrev_i32 v80, 31, v80 :: v_dual_ashrrev_i32 v81, 31, v81
	v_xor_b32_e32 v70, s15, v70
	v_not_b32_e32 v87, v69
	s_delay_alu instid0(VALU_DEP_4) | instskip(NEXT) | instid1(VALU_DEP_4)
	v_dual_ashrrev_i32 v82, 31, v82 :: v_dual_bitop2_b32 v71, s16, v71 bitop3:0x14
	v_xor_b32_e32 v80, s17, v80
	s_delay_alu instid0(VALU_DEP_4) | instskip(SKIP_1) | instid1(VALU_DEP_4)
	v_bitop3_b32 v49, v49, v70, exec_lo bitop3:0x80
	v_cmp_gt_i32_e64 s14, 0, v85
	v_dual_ashrrev_i32 v82, 31, v83 :: v_dual_bitop2_b32 v70, s19, v82 bitop3:0x14
	v_cmp_gt_i32_e64 s15, 0, v69
	v_ashrrev_i32_e32 v69, 31, v87
	v_bitop3_b32 v49, v49, v80, v71 bitop3:0x80
	v_lshl_add_u32 v68, v68, 2, v12
	v_xor_b32_e32 v81, s18, v81
	v_xor_b32_e32 v71, s14, v82
	v_xor_b32_e32 v69, s15, v69
	s_delay_alu instid0(VALU_DEP_3) | instskip(SKIP_3) | instid1(VALU_DEP_1)
	v_bitop3_b32 v70, v49, v70, v81 bitop3:0x80
	ds_load_b32 v49, v68 offset:32
	v_add_nc_u32_e32 v68, 32, v68
	; wave barrier
	v_bitop3_b32 v69, v70, v69, v71 bitop3:0x80
	v_mbcnt_lo_u32_b32 v96, v69, 0
	v_cmp_ne_u32_e64 s15, 0, v69
	s_delay_alu instid0(VALU_DEP_2) | instskip(SKIP_1) | instid1(SALU_CYCLE_1)
	v_cmp_eq_u32_e64 s14, 0, v96
	s_and_b32 s15, s15, s14
	s_and_saveexec_b32 s14, s15
	s_cbranch_execz .LBB2039_188
; %bb.187:                              ;   in Loop: Header=BB2039_172 Depth=1
	s_wait_dscnt 0x0
	v_bcnt_u32_b32 v69, v69, v49
	ds_store_b32 v68, v69
.LBB2039_188:                           ;   in Loop: Header=BB2039_172 Depth=1
	s_or_b32 exec_lo, exec_lo, s14
	; wave barrier
	s_wait_dscnt 0x0
	s_barrier_signal -1
	s_barrier_wait -1
	ds_load_b32 v70, v27
	ds_load_b32 v71, v31
	;; [unrolled: 1-line block ×8, first 2 shown]
	s_wait_dscnt 0x6
	v_add_nc_u32_e32 v87, v71, v70
	s_wait_dscnt 0x4
	s_delay_alu instid0(VALU_DEP_1) | instskip(SKIP_1) | instid1(VALU_DEP_1)
	v_add3_u32 v87, v87, v80, v81
	s_wait_dscnt 0x2
	v_add3_u32 v87, v87, v82, v83
	s_wait_dscnt 0x0
	s_delay_alu instid0(VALU_DEP_1) | instskip(NEXT) | instid1(VALU_DEP_1)
	v_add3_u32 v85, v87, v69, v85
	v_mov_b32_dpp v87, v85 row_shr:1 row_mask:0xf bank_mask:0xf
	s_delay_alu instid0(VALU_DEP_1) | instskip(NEXT) | instid1(VALU_DEP_1)
	v_cndmask_b32_e64 v87, v87, 0, vcc_lo
	v_add_nc_u32_e32 v85, v87, v85
	s_delay_alu instid0(VALU_DEP_1) | instskip(NEXT) | instid1(VALU_DEP_1)
	v_mov_b32_dpp v87, v85 row_shr:2 row_mask:0xf bank_mask:0xf
	v_cndmask_b32_e64 v87, 0, v87, s0
	s_delay_alu instid0(VALU_DEP_1) | instskip(NEXT) | instid1(VALU_DEP_1)
	v_add_nc_u32_e32 v85, v85, v87
	v_mov_b32_dpp v87, v85 row_shr:4 row_mask:0xf bank_mask:0xf
	s_delay_alu instid0(VALU_DEP_1) | instskip(NEXT) | instid1(VALU_DEP_1)
	v_cndmask_b32_e64 v87, 0, v87, s1
	v_add_nc_u32_e32 v85, v85, v87
	s_delay_alu instid0(VALU_DEP_1) | instskip(NEXT) | instid1(VALU_DEP_1)
	v_mov_b32_dpp v87, v85 row_shr:8 row_mask:0xf bank_mask:0xf
	v_cndmask_b32_e64 v87, 0, v87, s3
	s_delay_alu instid0(VALU_DEP_1) | instskip(SKIP_3) | instid1(VALU_DEP_1)
	v_add_nc_u32_e32 v85, v85, v87
	ds_swizzle_b32 v87, v85 offset:swizzle(BROADCAST,32,15)
	s_wait_dscnt 0x0
	v_cndmask_b32_e64 v87, v87, 0, s4
	v_add_nc_u32_e32 v85, v85, v87
	s_and_saveexec_b32 s14, s5
; %bb.189:                              ;   in Loop: Header=BB2039_172 Depth=1
	ds_store_b32 v144, v85
; %bb.190:                              ;   in Loop: Header=BB2039_172 Depth=1
	s_or_b32 exec_lo, exec_lo, s14
	s_wait_dscnt 0x0
	s_barrier_signal -1
	s_barrier_wait -1
	s_and_saveexec_b32 s14, s6
	s_cbranch_execz .LBB2039_192
; %bb.191:                              ;   in Loop: Header=BB2039_172 Depth=1
	ds_load_b32 v87, v145
	s_wait_dscnt 0x0
	v_mov_b32_dpp v97, v87 row_shr:1 row_mask:0xf bank_mask:0xf
	s_delay_alu instid0(VALU_DEP_1) | instskip(NEXT) | instid1(VALU_DEP_1)
	v_cndmask_b32_e64 v97, v97, 0, s11
	v_add_nc_u32_e32 v87, v97, v87
	s_delay_alu instid0(VALU_DEP_1) | instskip(NEXT) | instid1(VALU_DEP_1)
	v_mov_b32_dpp v97, v87 row_shr:2 row_mask:0xf bank_mask:0xf
	v_cndmask_b32_e64 v97, 0, v97, s12
	s_delay_alu instid0(VALU_DEP_1) | instskip(NEXT) | instid1(VALU_DEP_1)
	v_add_nc_u32_e32 v87, v87, v97
	v_mov_b32_dpp v97, v87 row_shr:4 row_mask:0xf bank_mask:0xf
	s_delay_alu instid0(VALU_DEP_1) | instskip(NEXT) | instid1(VALU_DEP_1)
	v_cndmask_b32_e64 v97, 0, v97, s13
	v_add_nc_u32_e32 v87, v87, v97
	ds_store_b32 v145, v87
.LBB2039_192:                           ;   in Loop: Header=BB2039_172 Depth=1
	s_or_b32 exec_lo, exec_lo, s14
	v_mov_b32_e32 v87, 0
	s_wait_dscnt 0x0
	s_barrier_signal -1
	s_barrier_wait -1
	s_and_saveexec_b32 s14, s7
; %bb.193:                              ;   in Loop: Header=BB2039_172 Depth=1
	ds_load_b32 v87, v147
; %bb.194:                              ;   in Loop: Header=BB2039_172 Depth=1
	s_or_b32 exec_lo, exec_lo, s14
	s_wait_dscnt 0x0
	v_add_nc_u32_e32 v85, v87, v85
	s_mov_b32 s16, -1
                                        ; implicit-def: $vgpr196
	v_add_nc_u32_e32 v10, 8, v10
	ds_bpermute_b32 v85, v135, v85
	v_cmp_lt_u32_e64 s14, v10, v11
	s_wait_dscnt 0x0
	v_cndmask_b32_e64 v85, v85, v87, s2
	s_delay_alu instid0(VALU_DEP_1) | instskip(NEXT) | instid1(VALU_DEP_1)
	v_cndmask_b32_e64 v85, v85, 0, s10
	v_add_nc_u32_e32 v70, v85, v70
	s_delay_alu instid0(VALU_DEP_1) | instskip(NEXT) | instid1(VALU_DEP_1)
	v_add_nc_u32_e32 v71, v70, v71
	v_add_nc_u32_e32 v80, v71, v80
	s_delay_alu instid0(VALU_DEP_1)
	v_add_nc_u32_e32 v81, v80, v81
	ds_store_b32 v27, v85
	ds_store_b32 v31, v70
	;; [unrolled: 1-line block ×3, first 2 shown]
	v_dual_mov_b32 v71, v1 :: v_dual_mov_b32 v85, v1
	v_add_nc_u32_e32 v82, v81, v82
	s_delay_alu instid0(VALU_DEP_1) | instskip(NEXT) | instid1(VALU_DEP_1)
	v_add_nc_u32_e32 v83, v82, v83
	v_add_nc_u32_e32 v69, v83, v69
	ds_store_b32 v129, v80
	ds_store_b32 v130, v81
	;; [unrolled: 1-line block ×5, first 2 shown]
	s_wait_dscnt 0x0
	s_barrier_signal -1
	s_barrier_wait -1
	ds_load_b32 v34, v34
	ds_load_b32 v37, v37
	;; [unrolled: 1-line block ×8, first 2 shown]
	v_dual_mov_b32 v67, v1 :: v_dual_mov_b32 v69, v1
	v_dual_mov_b32 v81, v1 :: v_dual_mov_b32 v83, v1
	v_mov_b32_e32 v87, v1
	s_wait_dscnt 0x0
	v_add_nc_u32_e32 v0, v34, v0
	v_add3_u32 v66, v36, v35, v37
	v_add3_u32 v68, v39, v38, v48
	v_add3_u32 v80, v51, v50, v52
	v_add3_u32 v70, v54, v53, v55
	v_add3_u32 v82, v65, v64, v82
	v_add3_u32 v84, v86, v84, v97
	v_add3_u32 v86, v96, v49, v98
	v_lshl_add_u64 v[118:119], v[0:1], 1, v[12:13]
	v_lshl_add_u64 v[116:117], v[66:67], 1, v[12:13]
	v_lshl_add_u64 v[114:115], v[68:69], 1, v[12:13]
	v_lshl_add_u64 v[112:113], v[80:81], 1, v[12:13]
	v_lshl_add_u64 v[102:103], v[70:71], 1, v[12:13]
	v_lshl_add_u64 v[100:101], v[82:83], 1, v[12:13]
	v_lshl_add_u64 v[98:99], v[84:85], 1, v[12:13]
	v_lshl_add_u64 v[96:97], v[86:87], 1, v[12:13]
                                        ; implicit-def: $vgpr34_vgpr35
                                        ; implicit-def: $vgpr36_vgpr37
                                        ; implicit-def: $vgpr38_vgpr39
                                        ; implicit-def: $vgpr48_vgpr49
                                        ; implicit-def: $vgpr50_vgpr51
                                        ; implicit-def: $vgpr52_vgpr53
                                        ; implicit-def: $vgpr54_vgpr55
                                        ; implicit-def: $vgpr64_vgpr65
                                        ; implicit-def: $vgpr85
                                        ; implicit-def: $vgpr87
                                        ; implicit-def: $vgpr69
                                        ; implicit-def: $vgpr67
                                        ; implicit-def: $vgpr71
                                        ; implicit-def: $vgpr81
                                        ; implicit-def: $vgpr83
	s_and_saveexec_b32 s15, s14
	s_cbranch_execz .LBB2039_171
; %bb.195:                              ;   in Loop: Header=BB2039_172 Depth=1
	v_mad_nc_u64_u32 v[34:35], v0, 6, v[118:119]
	v_mad_nc_u64_u32 v[36:37], v66, 6, v[116:117]
	;; [unrolled: 1-line block ×8, first 2 shown]
	s_barrier_signal -1
	s_barrier_wait -1
	ds_store_b16 v118, v180
	ds_store_b16 v116, v181
	;; [unrolled: 1-line block ×8, first 2 shown]
	s_wait_dscnt 0x0
	s_barrier_signal -1
	s_barrier_wait -1
	ds_load_u16 v196, v146
	ds_load_u16 v85, v148
	ds_load_u16 v87, v149
	ds_load_u16 v69, v150
	ds_load_u16 v67, v160
	ds_load_u16 v71, v161
	ds_load_u16 v81, v162
	ds_load_u16 v83, v163
	s_wait_dscnt 0x0
	s_barrier_signal -1
	s_barrier_wait -1
	ds_store_b64 v34, v[22:23]
	ds_store_b64 v36, v[32:33]
	;; [unrolled: 1-line block ×8, first 2 shown]
	s_wait_dscnt 0x0
	s_barrier_signal -1
	s_barrier_wait -1
	ds_load_b64 v[34:35], v151
	ds_load_b64 v[36:37], v164
	;; [unrolled: 1-line block ×8, first 2 shown]
	v_add_nc_u32_e32 v179, -8, v179
	s_xor_b32 s16, exec_lo, -1
	s_wait_dscnt 0x0
	s_barrier_signal -1
	s_barrier_wait -1
	s_branch .LBB2039_171
.LBB2039_196:
	flat_load_b64 v[66:67], v[0:1]
	s_wait_xcnt 0x0
	s_or_b32 exec_lo, exec_lo, s17
                                        ; implicit-def: $vgpr68_vgpr69
	s_and_saveexec_b32 s17, s0
	s_cbranch_execz .LBB2039_36
.LBB2039_197:
	flat_load_b64 v[68:69], v[0:1] offset:256
	s_wait_xcnt 0x0
	s_or_b32 exec_lo, exec_lo, s17
                                        ; implicit-def: $vgpr70_vgpr71
	s_and_saveexec_b32 s0, s1
	s_cbranch_execz .LBB2039_37
.LBB2039_198:
	flat_load_b64 v[70:71], v[0:1] offset:512
	s_wait_xcnt 0x0
	s_or_b32 exec_lo, exec_lo, s0
                                        ; implicit-def: $vgpr80_vgpr81
	s_and_saveexec_b32 s0, s2
	s_cbranch_execz .LBB2039_38
.LBB2039_199:
	flat_load_b64 v[80:81], v[0:1] offset:768
	s_wait_xcnt 0x0
	s_or_b32 exec_lo, exec_lo, s0
                                        ; implicit-def: $vgpr82_vgpr83
	s_and_saveexec_b32 s0, s3
	s_cbranch_execz .LBB2039_39
.LBB2039_200:
	flat_load_b64 v[82:83], v[0:1] offset:1024
	s_wait_xcnt 0x0
	s_or_b32 exec_lo, exec_lo, s0
                                        ; implicit-def: $vgpr84_vgpr85
	s_and_saveexec_b32 s0, s4
	s_cbranch_execz .LBB2039_40
.LBB2039_201:
	flat_load_b64 v[84:85], v[0:1] offset:1280
	s_wait_xcnt 0x0
	s_or_b32 exec_lo, exec_lo, s0
                                        ; implicit-def: $vgpr86_vgpr87
	s_and_saveexec_b32 s0, s5
	s_cbranch_execz .LBB2039_41
.LBB2039_202:
	flat_load_b64 v[86:87], v[0:1] offset:1536
	s_wait_xcnt 0x0
	s_or_b32 exec_lo, exec_lo, s0
                                        ; implicit-def: $vgpr98_vgpr99
	s_and_saveexec_b32 s0, s6
	s_cbranch_execz .LBB2039_42
.LBB2039_203:
	flat_load_b64 v[98:99], v[0:1] offset:1792
	s_wait_xcnt 0x0
	s_or_b32 exec_lo, exec_lo, s0
                                        ; implicit-def: $vgpr102_vgpr103
	s_and_saveexec_b32 s0, s7
	s_cbranch_execz .LBB2039_43
.LBB2039_204:
	flat_load_b64 v[102:103], v[0:1] offset:2048
	s_wait_xcnt 0x0
	s_or_b32 exec_lo, exec_lo, s0
                                        ; implicit-def: $vgpr96_vgpr97
	s_and_saveexec_b32 s0, s10
	s_cbranch_execz .LBB2039_44
.LBB2039_205:
	flat_load_b64 v[96:97], v[0:1] offset:2304
	s_wait_xcnt 0x0
	s_or_b32 exec_lo, exec_lo, s0
                                        ; implicit-def: $vgpr100_vgpr101
	s_and_saveexec_b32 s0, s11
	s_cbranch_execz .LBB2039_45
.LBB2039_206:
	flat_load_b64 v[100:101], v[0:1] offset:2560
	s_wait_xcnt 0x0
	s_or_b32 exec_lo, exec_lo, s0
                                        ; implicit-def: $vgpr112_vgpr113
	s_and_saveexec_b32 s0, s12
	s_cbranch_execz .LBB2039_46
.LBB2039_207:
	flat_load_b64 v[112:113], v[0:1] offset:2816
	s_wait_xcnt 0x0
	s_or_b32 exec_lo, exec_lo, s0
                                        ; implicit-def: $vgpr114_vgpr115
	s_and_saveexec_b32 s0, s13
	s_cbranch_execz .LBB2039_47
.LBB2039_208:
	flat_load_b64 v[114:115], v[0:1] offset:3072
	s_wait_xcnt 0x0
	s_or_b32 exec_lo, exec_lo, s0
                                        ; implicit-def: $vgpr118_vgpr119
	s_and_saveexec_b32 s0, s14
	s_cbranch_execz .LBB2039_48
.LBB2039_209:
	flat_load_b64 v[118:119], v[0:1] offset:3328
	s_wait_xcnt 0x0
	s_or_b32 exec_lo, exec_lo, s0
                                        ; implicit-def: $vgpr164_vgpr165
	s_and_saveexec_b32 s0, s15
	s_cbranch_execz .LBB2039_49
.LBB2039_210:
	flat_load_b64 v[164:165], v[0:1] offset:3584
	s_wait_xcnt 0x0
	s_or_b32 exec_lo, exec_lo, s0
                                        ; implicit-def: $vgpr176_vgpr177
	s_and_saveexec_b32 s0, s16
	s_cbranch_execnz .LBB2039_50
	s_branch .LBB2039_51
.LBB2039_211:
	flat_store_b64 v[0:1], v[48:49]
	s_wait_xcnt 0x0
	s_or_b32 exec_lo, exec_lo, s17
	s_and_saveexec_b32 s17, s0
	s_cbranch_execz .LBB2039_127
.LBB2039_212:
	flat_store_b64 v[0:1], v[50:51] offset:2048
	s_wait_xcnt 0x0
	s_or_b32 exec_lo, exec_lo, s17
	s_and_saveexec_b32 s0, s1
	s_cbranch_execz .LBB2039_128
.LBB2039_213:
	flat_store_b64 v[0:1], v[34:35] offset:4096
	s_wait_xcnt 0x0
	s_or_b32 exec_lo, exec_lo, s0
	s_and_saveexec_b32 s0, s2
	s_cbranch_execz .LBB2039_129
.LBB2039_214:
	flat_store_b64 v[0:1], v[36:37] offset:6144
	s_wait_xcnt 0x0
	s_or_b32 exec_lo, exec_lo, s0
	s_and_saveexec_b32 s0, s3
	s_cbranch_execz .LBB2039_130
.LBB2039_215:
	flat_store_b64 v[0:1], v[30:31] offset:8192
	s_wait_xcnt 0x0
	s_or_b32 exec_lo, exec_lo, s0
	s_and_saveexec_b32 s0, s4
	s_cbranch_execz .LBB2039_131
.LBB2039_216:
	flat_store_b64 v[0:1], v[32:33] offset:10240
	s_wait_xcnt 0x0
	s_or_b32 exec_lo, exec_lo, s0
	s_and_saveexec_b32 s0, s5
	s_cbranch_execz .LBB2039_132
.LBB2039_217:
	flat_store_b64 v[0:1], v[26:27] offset:12288
	s_wait_xcnt 0x0
	s_or_b32 exec_lo, exec_lo, s0
	s_and_saveexec_b32 s0, s6
	s_cbranch_execz .LBB2039_133
.LBB2039_218:
	flat_store_b64 v[0:1], v[28:29] offset:14336
	s_wait_xcnt 0x0
	s_or_b32 exec_lo, exec_lo, s0
	s_and_saveexec_b32 s0, s7
	s_cbranch_execz .LBB2039_134
.LBB2039_219:
	flat_store_b64 v[0:1], v[22:23] offset:16384
	s_wait_xcnt 0x0
	s_or_b32 exec_lo, exec_lo, s0
	s_and_saveexec_b32 s0, s10
	s_cbranch_execz .LBB2039_135
.LBB2039_220:
	flat_store_b64 v[0:1], v[24:25] offset:18432
	s_wait_xcnt 0x0
	s_or_b32 exec_lo, exec_lo, s0
	s_and_saveexec_b32 s0, s11
	s_cbranch_execz .LBB2039_136
.LBB2039_221:
	flat_store_b64 v[0:1], v[18:19] offset:20480
	s_wait_xcnt 0x0
	s_or_b32 exec_lo, exec_lo, s0
	s_and_saveexec_b32 s0, s12
	s_cbranch_execz .LBB2039_137
.LBB2039_222:
	flat_store_b64 v[0:1], v[20:21] offset:22528
	s_wait_xcnt 0x0
	s_or_b32 exec_lo, exec_lo, s0
	s_and_saveexec_b32 s0, s13
	s_cbranch_execz .LBB2039_138
.LBB2039_223:
	flat_store_b64 v[0:1], v[14:15] offset:24576
	s_wait_xcnt 0x0
	s_or_b32 exec_lo, exec_lo, s0
	s_and_saveexec_b32 s0, s14
	s_cbranch_execz .LBB2039_139
.LBB2039_224:
	flat_store_b64 v[0:1], v[16:17] offset:26624
	s_wait_xcnt 0x0
	s_or_b32 exec_lo, exec_lo, s0
	s_and_saveexec_b32 s0, s15
	s_cbranch_execz .LBB2039_140
.LBB2039_225:
	flat_store_b64 v[0:1], v[10:11] offset:28672
	s_wait_xcnt 0x0
	s_or_b32 exec_lo, exec_lo, s0
	s_and_saveexec_b32 s0, s16
	s_cbranch_execnz .LBB2039_141
	s_branch .LBB2039_142
.LBB2039_226:
	s_or_b32 exec_lo, exec_lo, s25
	v_mad_nc_u64_u32 v[0:1], v0, 6, v[118:119]
	v_mad_nc_u64_u32 v[10:11], v66, 6, v[116:117]
	v_lshl_add_u32 v27, v30, 1, v12
	v_mad_nc_u64_u32 v[12:13], v68, 6, v[114:115]
	v_mad_nc_u64_u32 v[48:49], v80, 6, v[112:113]
	;; [unrolled: 1-line block ×3, first 2 shown]
	s_barrier_signal -1
	s_barrier_wait -1
	ds_store_b16 v118, v180
	ds_store_b16 v116, v181
	;; [unrolled: 1-line block ×8, first 2 shown]
	s_wait_dscnt 0x0
	s_barrier_signal -1
	s_barrier_wait -1
	ds_load_u16 v38, v27
	ds_load_u16 v37, v27 offset:512
	ds_load_u16 v36, v27 offset:1024
	;; [unrolled: 1-line block ×7, first 2 shown]
	s_wait_dscnt 0x0
	s_barrier_signal -1
	v_mad_nc_u64_u32 v[52:53], v82, 6, v[100:101]
	s_barrier_wait -1
	ds_store_b64 v0, v[22:23]
	ds_store_b64 v10, v[32:33]
	ds_store_b64 v12, v[28:29]
	ds_store_b64 v48, v[24:25]
	v_mul_u32_u24_e32 v0, 6, v30
	v_mad_nc_u64_u32 v[54:55], v84, 6, v[98:99]
	v_mad_nc_u64_u32 v[64:65], v86, 6, v[96:97]
	ds_store_b64 v50, v[20:21]
	ds_store_b64 v52, v[18:19]
	;; [unrolled: 1-line block ×4, first 2 shown]
	v_dual_mov_b32 v27, 0 :: v_dual_add_nc_u32 v0, v27, v0
	s_wait_dscnt 0x0
	s_barrier_signal -1
	s_barrier_wait -1
	ds_load_2addr_stride64_b64 v[22:25], v0 offset1:4
	ds_load_2addr_stride64_b64 v[18:21], v0 offset0:8 offset1:12
	ds_load_2addr_stride64_b64 v[14:17], v0 offset0:16 offset1:20
	;; [unrolled: 1-line block ×3, first 2 shown]
	v_lshl_add_u64 v[0:1], v[8:9], 1, v[2:3]
	s_set_vgpr_msb 4                        ;  msbs: dst=0 src0=0 src1=1 src2=0
	v_cmp_lt_u32_e32 vcc_lo, v26, v0 /*v256*/
	s_wait_dscnt 0x0
	s_barrier_signal -1
	s_barrier_wait -1
	v_lshl_add_u64 v[0:1], v[26:27], 1, v[0:1]
	s_and_saveexec_b32 s1, vcc_lo
	s_set_vgpr_msb 0                        ;  msbs: dst=0 src0=0 src1=0 src2=0
	s_cbranch_execz .LBB2039_228
; %bb.227:
	v_cmp_lt_i16_e64 s0, -1, v38
	s_delay_alu instid0(VALU_DEP_1) | instskip(NEXT) | instid1(VALU_DEP_1)
	v_cndmask_b32_e64 v2, 0xffff8000, -1, s0
	v_xor_b32_e32 v2, v2, v38
	flat_store_b16 v[0:1], v2
.LBB2039_228:
	s_wait_xcnt 0x0
	s_or_b32 exec_lo, exec_lo, s1
	v_add_nc_u32_e32 v2, 0x100, v26
	s_set_vgpr_msb 4                        ;  msbs: dst=0 src0=0 src1=1 src2=0
	s_delay_alu instid0(VALU_DEP_1)
	v_cmp_lt_u32_e64 s0, v2, v0 /*v256*/
	s_and_saveexec_b32 s2, s0
	s_set_vgpr_msb 0                        ;  msbs: dst=0 src0=0 src1=0 src2=0
	s_cbranch_execz .LBB2039_230
; %bb.229:
	v_cmp_lt_i16_e64 s1, -1, v37
	s_delay_alu instid0(VALU_DEP_1) | instskip(NEXT) | instid1(VALU_DEP_1)
	v_cndmask_b32_e64 v2, 0xffff8000, -1, s1
	v_xor_b32_e32 v2, v2, v37
	flat_store_b16 v[0:1], v2 offset:512
.LBB2039_230:
	s_wait_xcnt 0x0
	s_or_b32 exec_lo, exec_lo, s2
	v_add_nc_u32_e32 v2, 0x200, v26
	s_set_vgpr_msb 4                        ;  msbs: dst=0 src0=0 src1=1 src2=0
	s_delay_alu instid0(VALU_DEP_1)
	v_cmp_lt_u32_e64 s1, v2, v0 /*v256*/
	s_and_saveexec_b32 s3, s1
	s_set_vgpr_msb 0                        ;  msbs: dst=0 src0=0 src1=0 src2=0
	s_cbranch_execz .LBB2039_232
; %bb.231:
	v_cmp_lt_i16_e64 s2, -1, v36
	s_delay_alu instid0(VALU_DEP_1) | instskip(NEXT) | instid1(VALU_DEP_1)
	v_cndmask_b32_e64 v2, 0xffff8000, -1, s2
	v_xor_b32_e32 v2, v2, v36
	flat_store_b16 v[0:1], v2 offset:1024
.LBB2039_232:
	;; [unrolled: 16-line block ×7, first 2 shown]
	s_wait_xcnt 0x0
	s_or_b32 exec_lo, exec_lo, s10
	v_lshl_add_u64 v[0:1], v[8:9], 3, v[6:7]
	s_delay_alu instid0(VALU_DEP_1)
	v_lshl_add_u64 v[0:1], v[26:27], 3, v[0:1]
	s_and_saveexec_b32 s7, vcc_lo
	s_cbranch_execnz .LBB2039_292
; %bb.243:
	s_or_b32 exec_lo, exec_lo, s7
	s_and_saveexec_b32 s7, s0
	s_cbranch_execnz .LBB2039_293
.LBB2039_244:
	s_or_b32 exec_lo, exec_lo, s7
	s_and_saveexec_b32 s0, s1
	s_cbranch_execnz .LBB2039_294
.LBB2039_245:
	s_or_b32 exec_lo, exec_lo, s0
	s_and_saveexec_b32 s0, s2
	s_cbranch_execnz .LBB2039_295
.LBB2039_246:
	s_or_b32 exec_lo, exec_lo, s0
	s_and_saveexec_b32 s0, s3
	s_cbranch_execnz .LBB2039_296
.LBB2039_247:
	s_or_b32 exec_lo, exec_lo, s0
	s_and_saveexec_b32 s0, s4
	s_cbranch_execnz .LBB2039_297
.LBB2039_248:
	s_or_b32 exec_lo, exec_lo, s0
	s_and_saveexec_b32 s0, s5
	s_cbranch_execnz .LBB2039_298
.LBB2039_249:
	s_or_b32 exec_lo, exec_lo, s0
	s_and_saveexec_b32 s0, s6
	s_cbranch_execz .LBB2039_251
.LBB2039_250:
	flat_store_b64 v[0:1], v[12:13] offset:14336
.LBB2039_251:
	s_wait_xcnt 0x0
	s_or_b32 exec_lo, exec_lo, s0
                                        ; implicit-def: $vgpr256
                                        ; implicit-def: $vgpr8
                                        ; implicit-def: $vgpr10
                                        ; implicit-def: $vgpr11
                                        ; implicit-def: $vgpr0_vgpr1
                                        ; implicit-def: $vgpr2_vgpr3
                                        ; implicit-def: $vgpr4_vgpr5
                                        ; implicit-def: $vgpr6_vgpr7
                                        ; implicit-def: $vgpr12_vgpr13
                                        ; implicit-def: $vgpr9
                                        ; implicit-def: $vgpr14
                                        ; implicit-def: $vgpr30
                                        ; implicit-def: $vgpr33
.LBB2039_252:
	s_and_not1_saveexec_b32 s0, s21
	s_cbranch_execz .LBB2039_372
; %bb.253:
	s_mov_b32 s0, exec_lo
	s_set_vgpr_msb 4                        ;  msbs: dst=0 src0=0 src1=1 src2=0
	v_cmpx_lt_u32_e32 0x200, v0 /*v256*/
	s_xor_b32 s24, exec_lo, s0
	s_set_vgpr_msb 0                        ;  msbs: dst=0 src0=0 src1=0 src2=0
	s_cbranch_execz .LBB2039_313
; %bb.254:
	s_load_b64 s[0:1], s[8:9], 0x0
	s_bfe_u32 s3, ttmp6, 0x4000c
	s_bfe_u32 s5, ttmp6, 0x40010
	s_and_b32 s4, ttmp7, 0xffff
	s_add_co_i32 s3, s3, 1
	s_add_co_i32 s5, s5, 1
	s_and_b32 s2, ttmp6, 15
	s_bfe_u32 s6, ttmp6, 0x40004
	s_mul_i32 s3, ttmp9, s3
	s_mul_i32 s5, s4, s5
	s_add_co_i32 s2, s2, s3
	s_add_co_i32 s6, s6, s5
	s_cmp_eq_u32 s23, 0
	s_mov_b32 s3, 0
	s_cselect_b32 s2, ttmp9, s2
	s_cselect_b32 s4, s4, s6
	s_wait_kmcnt 0x0
	s_cmp_lt_u32 s2, s0
	s_cselect_b32 s2, 12, 18
	s_cmp_lt_u32 s4, s1
	s_mov_b32 s1, s3
	s_cselect_b32 s0, 14, 20
	s_delay_alu instid0(SALU_CYCLE_1)
	s_add_nc_u64 s[0:1], s[8:9], s[0:1]
	s_load_u16 s4, s[0:1], 0x0
	s_wait_xcnt 0x0
	s_add_nc_u64 s[0:1], s[8:9], s[2:3]
	s_load_u16 s0, s[0:1], 0x0
	s_wait_kmcnt 0x0
	v_mad_u32_u24 v9, v14, s4, v9
	v_lshlrev_b32_e32 v14, 1, v33
	s_delay_alu instid0(VALU_DEP_2) | instskip(SKIP_1) | instid1(VALU_DEP_1)
	v_mad_u32 v32, v9, s0, v30
	v_mov_b32_e32 v9, 0
	v_lshl_add_u64 v[16:17], v[8:9], 1, v[0:1]
	s_delay_alu instid0(VALU_DEP_3) | instskip(NEXT) | instid1(VALU_DEP_1)
	v_dual_mov_b32 v15, v9 :: v_dual_lshlrev_b32 v18, 2, v32
	v_add_nc_u64_e32 v[14:15], v[16:17], v[14:15]
	v_dual_mov_b32 v16, 0x7fff :: v_dual_mov_b32 v17, 0x7fff
	s_delay_alu instid0(VALU_DEP_3) | instskip(NEXT) | instid1(VALU_DEP_1)
	v_and_b32_e32 v0, 0xffffff80, v18
	v_dual_mov_b32 v1, v9 :: v_dual_bitop2_b32 v20, v0, v33 bitop3:0x54
	s_delay_alu instid0(VALU_DEP_1) | instskip(SKIP_1) | instid1(VALU_DEP_2)
	v_lshl_add_u64 v[14:15], v[0:1], 1, v[14:15]
	s_set_vgpr_msb 4                        ;  msbs: dst=0 src0=0 src1=1 src2=0
	v_cmp_lt_u32_e64 s2, v20, v0 /*v256*/
	s_and_saveexec_b32 s0, s2
	s_set_vgpr_msb 0                        ;  msbs: dst=0 src0=0 src1=0 src2=0
	s_cbranch_execz .LBB2039_256
; %bb.255:
	flat_load_u16 v17, v[14:15]
.LBB2039_256:
	s_wait_xcnt 0x0
	s_or_b32 exec_lo, exec_lo, s0
	v_or_b32_e32 v18, 32, v20
	s_set_vgpr_msb 4                        ;  msbs: dst=0 src0=0 src1=1 src2=0
	s_delay_alu instid0(VALU_DEP_1)
	v_cmp_lt_u32_e64 s0, v18, v0 /*v256*/
	s_and_saveexec_b32 s1, s0
	s_set_vgpr_msb 0                        ;  msbs: dst=0 src0=0 src1=0 src2=0
	s_cbranch_execz .LBB2039_258
; %bb.257:
	flat_load_u16 v16, v[14:15] offset:64
.LBB2039_258:
	s_wait_xcnt 0x0
	s_or_b32 exec_lo, exec_lo, s1
	v_or_b32_e32 v19, 64, v20
	v_mov_b32_e32 v18, 0x7fff
	s_set_vgpr_msb 4                        ;  msbs: dst=0 src0=0 src1=1 src2=0
	s_delay_alu instid0(VALU_DEP_2)
	v_cmp_lt_u32_e64 s1, v19, v0 /*v256*/
	v_mov_b32_e32 v19, 0x7fff
	s_and_saveexec_b32 s3, s1
	s_set_vgpr_msb 0                        ;  msbs: dst=0 src0=0 src1=0 src2=0
	s_cbranch_execz .LBB2039_260
; %bb.259:
	flat_load_u16 v19, v[14:15] offset:128
.LBB2039_260:
	s_wait_xcnt 0x0
	s_or_b32 exec_lo, exec_lo, s3
	v_or_b32_e32 v20, 0x60, v20
	s_set_vgpr_msb 4                        ;  msbs: dst=0 src0=0 src1=1 src2=0
	s_delay_alu instid0(VALU_DEP_1)
	v_cmp_lt_u32_e32 vcc_lo, v20, v0 /*v256*/
	s_and_saveexec_b32 s3, vcc_lo
	s_set_vgpr_msb 0                        ;  msbs: dst=0 src0=0 src1=0 src2=0
	s_cbranch_execz .LBB2039_262
; %bb.261:
	flat_load_u16 v18, v[14:15] offset:192
.LBB2039_262:
	s_wait_xcnt 0x0
	s_or_b32 exec_lo, exec_lo, s3
	v_lshl_add_u64 v[4:5], v[8:9], 3, v[4:5]
	v_dual_mov_b32 v23, 0 :: v_dual_lshlrev_b32 v22, 3, v33
	s_delay_alu instid0(VALU_DEP_1) | instskip(SKIP_3) | instid1(VALU_DEP_4)
	v_add_nc_u64_e32 v[4:5], v[4:5], v[22:23]
	v_dual_mov_b32 v22, v23 :: v_dual_mov_b32 v24, v23
	v_dual_mov_b32 v25, v23 :: v_dual_mov_b32 v26, v23
	;; [unrolled: 1-line block ×3, first 2 shown]
	v_lshl_add_u64 v[0:1], v[0:1], 3, v[4:5]
	v_mov_b32_e32 v29, v23
	s_and_saveexec_b32 s3, s2
	s_cbranch_execnz .LBB2039_337
; %bb.263:
	s_or_b32 exec_lo, exec_lo, s3
	s_and_saveexec_b32 s2, s0
	s_cbranch_execnz .LBB2039_338
.LBB2039_264:
	s_or_b32 exec_lo, exec_lo, s2
	s_and_saveexec_b32 s0, s1
	s_cbranch_execnz .LBB2039_339
.LBB2039_265:
	s_or_b32 exec_lo, exec_lo, s0
	s_and_saveexec_b32 s0, vcc_lo
	s_cbranch_execz .LBB2039_267
.LBB2039_266:
	flat_load_b64 v[28:29], v[0:1] offset:768
.LBB2039_267:
	s_wait_xcnt 0x0
	s_or_b32 exec_lo, exec_lo, s0
	s_wait_loadcnt_dscnt 0x0
	v_cmp_lt_i16_e32 vcc_lo, -1, v17
	v_lshl_add_u32 v5, v30, 5, v12
	s_get_pc_i64 s[0:1]
	s_add_nc_u64 s[0:1], s[0:1], _ZN7rocprim17ROCPRIM_400000_NS16block_radix_sortI12hip_bfloat16Lj256ELj4ElLj1ELj1ELj8ELNS0_26block_radix_rank_algorithmE2ELNS0_18block_padding_hintE2ELNS0_4arch9wavefront6targetE0EE19radix_bits_per_passE@rel64+4
	v_cmp_lt_u32_e64 s7, 31, v30
	s_load_b32 s25, s[0:1], 0x0
	v_cndmask_b32_e64 v0, -1, 0xffff8000, vcc_lo
	v_cmp_lt_i16_e32 vcc_lo, -1, v16
	v_dual_add_nc_u32 v66, 44, v5 :: v_dual_add_nc_u32 v67, 48, v5
	v_dual_add_nc_u32 v68, 52, v5 :: v_dual_add_nc_u32 v69, 56, v5
	v_cndmask_b32_e64 v1, -1, 0xffff8000, vcc_lo
	v_cmp_lt_i16_e32 vcc_lo, -1, v19
	v_dual_lshrrev_b32 v71, 5, v32 :: v_dual_bitop2_b32 v112, v0, v17 bitop3:0x14
	s_delay_alu instid0(VALU_DEP_3)
	v_dual_add_nc_u32 v31, 32, v5 :: v_dual_bitop2_b32 v35, v1, v16 bitop3:0x14
	v_cndmask_b32_e64 v0, -1, 0xffff8000, vcc_lo
	v_cmp_lt_i16_e32 vcc_lo, -1, v18
	v_and_b32_e32 v1, 15, v33
	v_add_nc_u32_e32 v64, 36, v5
	v_cmp_eq_u32_e64 s10, 0, v30
	v_xor_b32_e32 v37, v0, v19
	v_cndmask_b32_e64 v4, -1, 0xffff8000, vcc_lo
	v_and_b32_e32 v0, 0x3e0, v30
	v_add_nc_u32_e32 v65, 40, v5
	s_mov_b32 s26, 0
	s_wait_storecnt 0x0
	v_xor_b32_e32 v39, v4, v18
	v_min_u32_e32 v0, 0xe0, v0
	v_add_nc_u32_e32 v70, 60, v5
	v_sub_co_u32 v5, s2, v33, 1
	s_barrier_signal -1
	s_delay_alu instid0(VALU_DEP_3) | instskip(SKIP_1) | instid1(VALU_DEP_2)
	v_or_b32_e32 v0, 31, v0
	s_barrier_wait -1
	v_cmp_gt_i32_e64 s6, 0, v5
	v_and_b32_e32 v4, 16, v33
	s_delay_alu instid0(VALU_DEP_3)
	v_cmp_eq_u32_e64 s5, v30, v0
	v_lshrrev_b32_e32 v0, 3, v30
	v_cmp_eq_u32_e32 vcc_lo, 0, v1
	s_wait_xcnt 0x0
	v_cmp_lt_u32_e64 s0, 1, v1
	v_cmp_lt_u32_e64 s1, 3, v1
	v_cmp_lt_u32_e64 s3, 7, v1
	v_cndmask_b32_e64 v1, v5, v33, s6
	v_cmp_eq_u32_e64 s4, 0, v4
	v_lshlrev_b32_e32 v4, 2, v30
	v_and_b32_e32 v0, 0x7c, v0
	v_cmp_gt_u32_e64 s6, 8, v30
	v_dual_mov_b32 v1, 0 :: v_dual_lshlrev_b32 v80, 2, v1
	s_delay_alu instid0(VALU_DEP_4) | instskip(SKIP_3) | instid1(VALU_DEP_3)
	v_add_nc_u32_e32 v82, v12, v4
	v_and_or_b32 v5, 0xf80, v4, v33
	v_dual_add_nc_u32 v81, v12, v0 :: v_dual_bitop2_b32 v0, 7, v33 bitop3:0x40
	v_sub_nc_u32_e32 v99, v11, v10
	v_lshl_add_u32 v33, v5, 1, v12
	v_mul_u32_u24_e32 v5, 6, v5
	s_delay_alu instid0(VALU_DEP_4)
	v_cmp_eq_u32_e64 s11, 0, v0
	v_cmp_lt_u32_e64 s12, 1, v0
	v_cmp_lt_u32_e64 s13, 3, v0
	v_add_nc_u32_e32 v84, -4, v81
	v_add_nc_u32_e32 v83, v33, v5
	v_mov_b64_e32 v[4:5], 0
	v_add_nc_u32_e32 v85, 64, v33
	v_add_nc_u32_e32 v86, 0x80, v33
	v_add_nc_u32_e32 v87, 0xc0, v33
	v_add_nc_u32_e32 v96, 0x100, v83
	v_add_nc_u32_e32 v97, 0x200, v83
	v_add_nc_u32_e32 v98, 0x300, v83
	s_branch .LBB2039_269
.LBB2039_268:                           ;   in Loop: Header=BB2039_269 Depth=1
	s_or_b32 exec_lo, exec_lo, s15
	s_delay_alu instid0(SALU_CYCLE_1) | instskip(NEXT) | instid1(SALU_CYCLE_1)
	s_and_b32 s14, exec_lo, s16
	s_or_b32 s26, s14, s26
	s_delay_alu instid0(SALU_CYCLE_1)
	s_and_not1_b32 exec_lo, exec_lo, s26
	s_cbranch_execz .LBB2039_299
.LBB2039_269:                           ; =>This Inner Loop Header: Depth=1
	v_mov_b32_e32 v100, v112
	s_wait_kmcnt 0x0
	v_min_u32_e32 v14, s25, v99
	ds_store_b64 v31, v[4:5]
	ds_store_b64 v65, v[4:5]
	;; [unrolled: 1-line block ×4, first 2 shown]
	s_wait_dscnt 0x0
	v_cmp_ne_u16_e64 s14, 0x7fff, v100
	v_lshlrev_b32_e64 v34, v14, -1
	s_barrier_signal -1
	s_barrier_wait -1
	s_delay_alu instid0(VALU_DEP_2) | instskip(SKIP_1) | instid1(VALU_DEP_2)
	v_cndmask_b32_e64 v0, 0xffff8000, v100, s14
	; wave barrier
	v_dual_mov_b32 v102, v35 :: v_dual_mov_b32 v101, v37
	v_and_b32_e32 v0, 0xffff, v0
	s_delay_alu instid0(VALU_DEP_1) | instskip(NEXT) | instid1(VALU_DEP_1)
	v_dual_mov_b32 v103, v39 :: v_dual_lshrrev_b32 v0, v10, v0
	v_bitop3_b32 v14, v0, 1, v34 bitop3:0x40
	v_bitop3_b32 v0, v0, v34, v0 bitop3:0x30
	s_delay_alu instid0(VALU_DEP_2) | instskip(NEXT) | instid1(VALU_DEP_1)
	v_add_co_u32 v14, s14, v14, -1
	v_cndmask_b32_e64 v15, 0, 1, s14
	s_delay_alu instid0(VALU_DEP_3) | instskip(SKIP_1) | instid1(VALU_DEP_3)
	v_dual_lshlrev_b32 v16, 30, v0 :: v_dual_lshlrev_b32 v17, 29, v0
	v_dual_lshlrev_b32 v18, 28, v0 :: v_dual_lshlrev_b32 v19, 27, v0
	v_cmp_ne_u32_e64 s14, 0, v15
	s_delay_alu instid0(VALU_DEP_3)
	v_not_b32_e32 v15, v16
	v_dual_lshlrev_b32 v20, 26, v0 :: v_dual_lshlrev_b32 v21, 25, v0
	v_lshlrev_b32_e32 v36, 24, v0
	v_cmp_gt_i32_e64 s15, 0, v16
	v_cmp_gt_i32_e64 s16, 0, v17
	v_not_b32_e32 v16, v17
	v_not_b32_e32 v17, v18
	v_ashrrev_i32_e32 v15, 31, v15
	v_cmp_gt_i32_e64 s17, 0, v18
	v_cmp_gt_i32_e64 s18, 0, v19
	v_not_b32_e32 v18, v19
	v_not_b32_e32 v19, v20
	v_dual_ashrrev_i32 v16, 31, v16 :: v_dual_bitop2_b32 v14, s14, v14 bitop3:0x14
	v_dual_ashrrev_i32 v17, 31, v17 :: v_dual_bitop2_b32 v15, s15, v15 bitop3:0x14
	v_cmp_gt_i32_e64 s19, 0, v20
	v_cmp_gt_i32_e64 s20, 0, v21
	v_not_b32_e32 v20, v21
	v_not_b32_e32 v21, v36
	v_dual_ashrrev_i32 v18, 31, v18 :: v_dual_ashrrev_i32 v19, 31, v19
	v_xor_b32_e32 v16, s16, v16
	v_xor_b32_e32 v17, s17, v17
	v_bitop3_b32 v14, v14, v15, exec_lo bitop3:0x80
	v_cmp_gt_i32_e64 s21, 0, v36
	v_dual_ashrrev_i32 v15, 31, v20 :: v_dual_ashrrev_i32 v20, 31, v21
	v_dual_lshlrev_b32 v0, 3, v0 :: v_dual_bitop2_b32 v18, s18, v18 bitop3:0x14
	v_xor_b32_e32 v19, s19, v19
	v_bitop3_b32 v14, v14, v17, v16 bitop3:0x80
	s_delay_alu instid0(VALU_DEP_4) | instskip(SKIP_2) | instid1(VALU_DEP_4)
	v_xor_b32_e32 v36, s20, v15
	v_xor_b32_e32 v38, s21, v20
	v_add_lshl_u32 v0, v0, v71, 2
	v_bitop3_b32 v48, v14, v19, v18 bitop3:0x80
	v_mov_b64_e32 v[14:15], v[22:23]
	v_mov_b64_e32 v[16:17], v[24:25]
	;; [unrolled: 1-line block ×4, first 2 shown]
	v_bitop3_b32 v24, v48, v38, v36 bitop3:0x80
	v_add_nc_u64_e32 v[22:23], v[12:13], v[0:1]
	s_delay_alu instid0(VALU_DEP_2) | instskip(SKIP_1) | instid1(VALU_DEP_3)
	v_mbcnt_lo_u32_b32 v0, v24, 0
	v_cmp_ne_u32_e64 s15, 0, v24
	v_add_nc_u64_e32 v[22:23], 32, v[22:23]
	s_delay_alu instid0(VALU_DEP_3) | instskip(SKIP_1) | instid1(SALU_CYCLE_1)
	v_cmp_eq_u32_e64 s14, 0, v0
	s_and_b32 s15, s15, s14
	s_and_saveexec_b32 s14, s15
; %bb.270:                              ;   in Loop: Header=BB2039_269 Depth=1
	v_bcnt_u32_b32 v23, v24, 0
	ds_store_b32 v22, v23
; %bb.271:                              ;   in Loop: Header=BB2039_269 Depth=1
	s_or_b32 exec_lo, exec_lo, s14
	v_cmp_ne_u16_e64 s14, 0x7fff, v102
	v_not_b32_e32 v29, v34
	; wave barrier
	s_delay_alu instid0(VALU_DEP_2) | instskip(NEXT) | instid1(VALU_DEP_1)
	v_cndmask_b32_e64 v23, 0xffff8000, v102, s14
	v_and_b32_e32 v23, 0xffff, v23
	s_delay_alu instid0(VALU_DEP_1) | instskip(NEXT) | instid1(VALU_DEP_1)
	v_lshrrev_b32_e32 v23, v10, v23
	v_and_b32_e32 v24, v23, v29
	s_delay_alu instid0(VALU_DEP_1) | instskip(SKIP_1) | instid1(VALU_DEP_2)
	v_lshlrev_b32_e32 v27, 30, v24
	v_bitop3_b32 v23, v23, 1, v29 bitop3:0x80
	v_cmp_gt_i32_e64 s15, 0, v27
	s_delay_alu instid0(VALU_DEP_2) | instskip(NEXT) | instid1(VALU_DEP_1)
	v_add_co_u32 v23, s14, v23, -1
	v_cndmask_b32_e64 v26, 0, 1, s14
	s_delay_alu instid0(VALU_DEP_1) | instskip(SKIP_1) | instid1(VALU_DEP_1)
	v_cmp_ne_u32_e64 s14, 0, v26
	v_not_b32_e32 v26, v27
	v_dual_ashrrev_i32 v26, 31, v26 :: v_dual_lshlrev_b32 v28, 29, v24
	v_dual_lshlrev_b32 v34, 28, v24 :: v_dual_lshlrev_b32 v35, 27, v24
	v_lshlrev_b32_e32 v36, 26, v24
	v_lshl_add_u32 v25, v24, 3, v71
	s_delay_alu instid0(VALU_DEP_4)
	v_cmp_gt_i32_e64 s16, 0, v28
	v_not_b32_e32 v27, v28
	v_not_b32_e32 v28, v34
	v_dual_lshlrev_b32 v37, 25, v24 :: v_dual_lshlrev_b32 v24, 24, v24
	v_cmp_gt_i32_e64 s17, 0, v34
	v_cmp_gt_i32_e64 s18, 0, v35
	v_not_b32_e32 v34, v35
	v_not_b32_e32 v35, v36
	v_dual_ashrrev_i32 v28, 31, v28 :: v_dual_bitop2_b32 v23, s14, v23 bitop3:0x14
	v_dual_ashrrev_i32 v27, 31, v27 :: v_dual_bitop2_b32 v26, s15, v26 bitop3:0x14
	v_cmp_gt_i32_e64 s19, 0, v36
	v_not_b32_e32 v36, v37
	v_dual_ashrrev_i32 v34, 31, v34 :: v_dual_ashrrev_i32 v35, 31, v35
	s_delay_alu instid0(VALU_DEP_4)
	v_xor_b32_e32 v27, s16, v27
	v_bitop3_b32 v23, v23, v26, exec_lo bitop3:0x80
	v_not_b32_e32 v26, v24
	v_xor_b32_e32 v28, s17, v28
	v_cmp_gt_i32_e64 s20, 0, v37
	v_dual_ashrrev_i32 v36, 31, v36 :: v_dual_bitop2_b32 v35, s19, v35 bitop3:0x14
	v_cmp_gt_i32_e64 s14, 0, v24
	v_ashrrev_i32_e32 v24, 31, v26
	v_bitop3_b32 v23, v23, v28, v27 bitop3:0x80
	v_lshl_add_u32 v25, v25, 2, v12
	v_xor_b32_e32 v34, s18, v34
	v_xor_b32_e32 v26, s20, v36
	;; [unrolled: 1-line block ×3, first 2 shown]
	s_delay_alu instid0(VALU_DEP_3) | instskip(SKIP_3) | instid1(VALU_DEP_1)
	v_bitop3_b32 v27, v23, v35, v34 bitop3:0x80
	ds_load_b32 v23, v25 offset:32
	v_add_nc_u32_e32 v25, 32, v25
	; wave barrier
	v_bitop3_b32 v26, v27, v24, v26 bitop3:0x80
	v_mbcnt_lo_u32_b32 v24, v26, 0
	v_cmp_ne_u32_e64 s15, 0, v26
	s_delay_alu instid0(VALU_DEP_2) | instskip(SKIP_1) | instid1(SALU_CYCLE_1)
	v_cmp_eq_u32_e64 s14, 0, v24
	s_and_b32 s15, s15, s14
	s_and_saveexec_b32 s14, s15
	s_cbranch_execz .LBB2039_273
; %bb.272:                              ;   in Loop: Header=BB2039_269 Depth=1
	s_wait_dscnt 0x0
	v_bcnt_u32_b32 v26, v26, v23
	ds_store_b32 v25, v26
.LBB2039_273:                           ;   in Loop: Header=BB2039_269 Depth=1
	s_or_b32 exec_lo, exec_lo, s14
	v_cmp_ne_u16_e64 s14, 0x7fff, v101
	; wave barrier
	s_delay_alu instid0(VALU_DEP_1) | instskip(NEXT) | instid1(VALU_DEP_1)
	v_cndmask_b32_e64 v26, 0xffff8000, v101, s14
	v_and_b32_e32 v26, 0xffff, v26
	s_delay_alu instid0(VALU_DEP_1) | instskip(NEXT) | instid1(VALU_DEP_1)
	v_lshrrev_b32_e32 v26, v10, v26
	v_and_b32_e32 v27, v26, v29
	s_delay_alu instid0(VALU_DEP_1) | instskip(SKIP_1) | instid1(VALU_DEP_2)
	v_lshlrev_b32_e32 v35, 30, v27
	v_bitop3_b32 v26, v26, 1, v29 bitop3:0x80
	v_cmp_gt_i32_e64 s15, 0, v35
	s_delay_alu instid0(VALU_DEP_2) | instskip(NEXT) | instid1(VALU_DEP_1)
	v_add_co_u32 v26, s14, v26, -1
	v_cndmask_b32_e64 v34, 0, 1, s14
	s_delay_alu instid0(VALU_DEP_1) | instskip(SKIP_1) | instid1(VALU_DEP_1)
	v_cmp_ne_u32_e64 s14, 0, v34
	v_not_b32_e32 v34, v35
	v_dual_ashrrev_i32 v34, 31, v34 :: v_dual_lshlrev_b32 v36, 29, v27
	v_dual_lshlrev_b32 v37, 28, v27 :: v_dual_lshlrev_b32 v38, 27, v27
	v_dual_lshlrev_b32 v39, 26, v27 :: v_dual_lshlrev_b32 v48, 25, v27
	s_delay_alu instid0(VALU_DEP_3) | instskip(SKIP_1) | instid1(VALU_DEP_4)
	v_cmp_gt_i32_e64 s16, 0, v36
	v_not_b32_e32 v35, v36
	v_not_b32_e32 v36, v37
	v_lshl_add_u32 v28, v27, 3, v71
	v_lshlrev_b32_e32 v27, 24, v27
	v_cmp_gt_i32_e64 s17, 0, v37
	v_cmp_gt_i32_e64 s18, 0, v38
	v_not_b32_e32 v37, v38
	v_cmp_gt_i32_e64 s19, 0, v39
	v_not_b32_e32 v38, v39
	v_not_b32_e32 v39, v48
	v_dual_ashrrev_i32 v35, 31, v35 :: v_dual_bitop2_b32 v26, s14, v26 bitop3:0x14
	v_dual_ashrrev_i32 v36, 31, v36 :: v_dual_ashrrev_i32 v37, 31, v37
	v_xor_b32_e32 v34, s15, v34
	v_not_b32_e32 v49, v27
	s_delay_alu instid0(VALU_DEP_4) | instskip(NEXT) | instid1(VALU_DEP_4)
	v_dual_ashrrev_i32 v38, 31, v38 :: v_dual_bitop2_b32 v35, s16, v35 bitop3:0x14
	v_xor_b32_e32 v36, s17, v36
	s_delay_alu instid0(VALU_DEP_4) | instskip(SKIP_1) | instid1(VALU_DEP_4)
	v_bitop3_b32 v26, v26, v34, exec_lo bitop3:0x80
	v_cmp_gt_i32_e64 s14, 0, v48
	v_dual_ashrrev_i32 v38, 31, v39 :: v_dual_bitop2_b32 v34, s19, v38 bitop3:0x14
	v_cmp_gt_i32_e64 s15, 0, v27
	v_ashrrev_i32_e32 v27, 31, v49
	v_bitop3_b32 v26, v26, v36, v35 bitop3:0x80
	v_lshl_add_u32 v28, v28, 2, v12
	v_xor_b32_e32 v37, s18, v37
	v_xor_b32_e32 v35, s14, v38
	;; [unrolled: 1-line block ×3, first 2 shown]
	s_delay_alu instid0(VALU_DEP_3) | instskip(SKIP_3) | instid1(VALU_DEP_1)
	v_bitop3_b32 v34, v26, v34, v37 bitop3:0x80
	ds_load_b32 v26, v28 offset:32
	v_add_nc_u32_e32 v28, 32, v28
	; wave barrier
	v_bitop3_b32 v34, v34, v27, v35 bitop3:0x80
	v_mbcnt_lo_u32_b32 v27, v34, 0
	v_cmp_ne_u32_e64 s15, 0, v34
	s_delay_alu instid0(VALU_DEP_2) | instskip(SKIP_1) | instid1(SALU_CYCLE_1)
	v_cmp_eq_u32_e64 s14, 0, v27
	s_and_b32 s15, s15, s14
	s_and_saveexec_b32 s14, s15
	s_cbranch_execz .LBB2039_275
; %bb.274:                              ;   in Loop: Header=BB2039_269 Depth=1
	s_wait_dscnt 0x0
	v_bcnt_u32_b32 v34, v34, v26
	ds_store_b32 v28, v34
.LBB2039_275:                           ;   in Loop: Header=BB2039_269 Depth=1
	s_or_b32 exec_lo, exec_lo, s14
	v_cmp_ne_u16_e64 s14, 0x7fff, v103
	; wave barrier
	s_delay_alu instid0(VALU_DEP_1) | instskip(NEXT) | instid1(VALU_DEP_1)
	v_cndmask_b32_e64 v34, 0xffff8000, v103, s14
	v_and_b32_e32 v34, 0xffff, v34
	s_delay_alu instid0(VALU_DEP_1) | instskip(NEXT) | instid1(VALU_DEP_1)
	v_lshrrev_b32_e32 v34, v10, v34
	v_and_b32_e32 v35, v34, v29
	s_delay_alu instid0(VALU_DEP_1) | instskip(SKIP_1) | instid1(VALU_DEP_2)
	v_lshlrev_b32_e32 v37, 30, v35
	v_bitop3_b32 v29, v34, 1, v29 bitop3:0x80
	v_cmp_gt_i32_e64 s15, 0, v37
	s_delay_alu instid0(VALU_DEP_2) | instskip(NEXT) | instid1(VALU_DEP_1)
	v_add_co_u32 v29, s14, v29, -1
	v_cndmask_b32_e64 v36, 0, 1, s14
	s_delay_alu instid0(VALU_DEP_1) | instskip(SKIP_1) | instid1(VALU_DEP_1)
	v_cmp_ne_u32_e64 s14, 0, v36
	v_not_b32_e32 v36, v37
	v_dual_ashrrev_i32 v36, 31, v36 :: v_dual_lshlrev_b32 v38, 29, v35
	v_dual_lshlrev_b32 v39, 28, v35 :: v_dual_lshlrev_b32 v48, 27, v35
	v_dual_lshlrev_b32 v49, 26, v35 :: v_dual_lshlrev_b32 v50, 25, v35
	s_delay_alu instid0(VALU_DEP_3) | instskip(SKIP_1) | instid1(VALU_DEP_4)
	v_cmp_gt_i32_e64 s16, 0, v38
	v_not_b32_e32 v37, v38
	v_not_b32_e32 v38, v39
	v_lshl_add_u32 v34, v35, 3, v71
	v_lshlrev_b32_e32 v35, 24, v35
	v_cmp_gt_i32_e64 s17, 0, v39
	v_cmp_gt_i32_e64 s18, 0, v48
	v_not_b32_e32 v39, v48
	v_cmp_gt_i32_e64 s19, 0, v49
	v_not_b32_e32 v48, v49
	v_not_b32_e32 v49, v50
	v_dual_ashrrev_i32 v38, 31, v38 :: v_dual_bitop2_b32 v29, s14, v29 bitop3:0x14
	v_dual_ashrrev_i32 v37, 31, v37 :: v_dual_ashrrev_i32 v39, 31, v39
	v_xor_b32_e32 v36, s15, v36
	v_not_b32_e32 v51, v35
	s_delay_alu instid0(VALU_DEP_3) | instskip(SKIP_1) | instid1(VALU_DEP_4)
	v_dual_ashrrev_i32 v48, 31, v48 :: v_dual_bitop2_b32 v37, s16, v37 bitop3:0x14
	v_xor_b32_e32 v38, s17, v38
	v_bitop3_b32 v29, v29, v36, exec_lo bitop3:0x80
	v_cmp_gt_i32_e64 s14, 0, v50
	s_delay_alu instid0(VALU_DEP_4)
	v_dual_ashrrev_i32 v48, 31, v49 :: v_dual_bitop2_b32 v36, s19, v48 bitop3:0x14
	v_cmp_gt_i32_e64 s15, 0, v35
	v_ashrrev_i32_e32 v35, 31, v51
	v_bitop3_b32 v29, v29, v38, v37 bitop3:0x80
	v_lshl_add_u32 v37, v34, 2, v12
	v_xor_b32_e32 v39, s18, v39
	v_xor_b32_e32 v34, s14, v48
	;; [unrolled: 1-line block ×3, first 2 shown]
	s_delay_alu instid0(VALU_DEP_3) | instskip(SKIP_3) | instid1(VALU_DEP_2)
	v_bitop3_b32 v36, v29, v36, v39 bitop3:0x80
	ds_load_b32 v29, v37 offset:32
	; wave barrier
	v_bitop3_b32 v36, v36, v35, v34 bitop3:0x80
	v_add_nc_u32_e32 v35, 32, v37
	v_mbcnt_lo_u32_b32 v34, v36, 0
	v_cmp_ne_u32_e64 s15, 0, v36
	s_delay_alu instid0(VALU_DEP_2) | instskip(SKIP_1) | instid1(SALU_CYCLE_1)
	v_cmp_eq_u32_e64 s14, 0, v34
	s_and_b32 s15, s15, s14
	s_and_saveexec_b32 s14, s15
	s_cbranch_execz .LBB2039_277
; %bb.276:                              ;   in Loop: Header=BB2039_269 Depth=1
	s_wait_dscnt 0x0
	v_bcnt_u32_b32 v36, v36, v29
	ds_store_b32 v35, v36
.LBB2039_277:                           ;   in Loop: Header=BB2039_269 Depth=1
	s_or_b32 exec_lo, exec_lo, s14
	; wave barrier
	s_wait_dscnt 0x0
	s_barrier_signal -1
	s_barrier_wait -1
	ds_load_b32 v37, v31
	ds_load_b32 v38, v64
	;; [unrolled: 1-line block ×8, first 2 shown]
	s_wait_dscnt 0x6
	v_add_nc_u32_e32 v52, v38, v37
	s_wait_dscnt 0x4
	s_delay_alu instid0(VALU_DEP_1) | instskip(SKIP_1) | instid1(VALU_DEP_1)
	v_add3_u32 v52, v52, v39, v48
	s_wait_dscnt 0x2
	v_add3_u32 v52, v52, v49, v50
	s_wait_dscnt 0x0
	s_delay_alu instid0(VALU_DEP_1) | instskip(NEXT) | instid1(VALU_DEP_1)
	v_add3_u32 v51, v52, v36, v51
	v_mov_b32_dpp v52, v51 row_shr:1 row_mask:0xf bank_mask:0xf
	s_delay_alu instid0(VALU_DEP_1) | instskip(NEXT) | instid1(VALU_DEP_1)
	v_cndmask_b32_e64 v52, v52, 0, vcc_lo
	v_add_nc_u32_e32 v51, v52, v51
	s_delay_alu instid0(VALU_DEP_1) | instskip(NEXT) | instid1(VALU_DEP_1)
	v_mov_b32_dpp v52, v51 row_shr:2 row_mask:0xf bank_mask:0xf
	v_cndmask_b32_e64 v52, 0, v52, s0
	s_delay_alu instid0(VALU_DEP_1) | instskip(NEXT) | instid1(VALU_DEP_1)
	v_add_nc_u32_e32 v51, v51, v52
	v_mov_b32_dpp v52, v51 row_shr:4 row_mask:0xf bank_mask:0xf
	s_delay_alu instid0(VALU_DEP_1) | instskip(NEXT) | instid1(VALU_DEP_1)
	v_cndmask_b32_e64 v52, 0, v52, s1
	v_add_nc_u32_e32 v51, v51, v52
	s_delay_alu instid0(VALU_DEP_1) | instskip(NEXT) | instid1(VALU_DEP_1)
	v_mov_b32_dpp v52, v51 row_shr:8 row_mask:0xf bank_mask:0xf
	v_cndmask_b32_e64 v52, 0, v52, s3
	s_delay_alu instid0(VALU_DEP_1) | instskip(SKIP_3) | instid1(VALU_DEP_1)
	v_add_nc_u32_e32 v51, v51, v52
	ds_swizzle_b32 v52, v51 offset:swizzle(BROADCAST,32,15)
	s_wait_dscnt 0x0
	v_cndmask_b32_e64 v52, v52, 0, s4
	v_add_nc_u32_e32 v51, v51, v52
	s_and_saveexec_b32 s14, s5
; %bb.278:                              ;   in Loop: Header=BB2039_269 Depth=1
	ds_store_b32 v81, v51
; %bb.279:                              ;   in Loop: Header=BB2039_269 Depth=1
	s_or_b32 exec_lo, exec_lo, s14
	s_wait_dscnt 0x0
	s_barrier_signal -1
	s_barrier_wait -1
	s_and_saveexec_b32 s14, s6
	s_cbranch_execz .LBB2039_281
; %bb.280:                              ;   in Loop: Header=BB2039_269 Depth=1
	ds_load_b32 v52, v82
	s_wait_dscnt 0x0
	v_mov_b32_dpp v53, v52 row_shr:1 row_mask:0xf bank_mask:0xf
	s_delay_alu instid0(VALU_DEP_1) | instskip(NEXT) | instid1(VALU_DEP_1)
	v_cndmask_b32_e64 v53, v53, 0, s11
	v_add_nc_u32_e32 v52, v53, v52
	s_delay_alu instid0(VALU_DEP_1) | instskip(NEXT) | instid1(VALU_DEP_1)
	v_mov_b32_dpp v53, v52 row_shr:2 row_mask:0xf bank_mask:0xf
	v_cndmask_b32_e64 v53, 0, v53, s12
	s_delay_alu instid0(VALU_DEP_1) | instskip(NEXT) | instid1(VALU_DEP_1)
	v_add_nc_u32_e32 v52, v52, v53
	v_mov_b32_dpp v53, v52 row_shr:4 row_mask:0xf bank_mask:0xf
	s_delay_alu instid0(VALU_DEP_1) | instskip(NEXT) | instid1(VALU_DEP_1)
	v_cndmask_b32_e64 v53, 0, v53, s13
	v_add_nc_u32_e32 v52, v52, v53
	ds_store_b32 v82, v52
.LBB2039_281:                           ;   in Loop: Header=BB2039_269 Depth=1
	s_or_b32 exec_lo, exec_lo, s14
	v_mov_b32_e32 v52, 0
	s_wait_dscnt 0x0
	s_barrier_signal -1
	s_barrier_wait -1
	s_and_saveexec_b32 s14, s7
; %bb.282:                              ;   in Loop: Header=BB2039_269 Depth=1
	ds_load_b32 v52, v84
; %bb.283:                              ;   in Loop: Header=BB2039_269 Depth=1
	s_or_b32 exec_lo, exec_lo, s14
	s_wait_dscnt 0x0
	v_add_nc_u32_e32 v51, v52, v51
	s_mov_b32 s16, -1
	s_mov_b32 s15, exec_lo
                                        ; implicit-def: $vgpr112
	v_add_nc_u32_e32 v10, 8, v10
	ds_bpermute_b32 v51, v80, v51
	s_wait_dscnt 0x0
	v_cndmask_b32_e64 v51, v51, v52, s2
	s_delay_alu instid0(VALU_DEP_1) | instskip(NEXT) | instid1(VALU_DEP_1)
	v_cndmask_b32_e64 v51, v51, 0, s10
	v_add_nc_u32_e32 v37, v51, v37
	s_delay_alu instid0(VALU_DEP_1) | instskip(NEXT) | instid1(VALU_DEP_1)
	v_add_nc_u32_e32 v38, v37, v38
	v_add_nc_u32_e32 v39, v38, v39
	s_delay_alu instid0(VALU_DEP_1) | instskip(NEXT) | instid1(VALU_DEP_1)
	v_add_nc_u32_e32 v48, v39, v48
	v_add_nc_u32_e32 v49, v48, v49
	s_delay_alu instid0(VALU_DEP_1)
	v_add_nc_u32_e32 v50, v49, v50
	ds_store_b32 v31, v51
	ds_store_b32 v64, v37
	;; [unrolled: 1-line block ×3, first 2 shown]
	v_dual_mov_b32 v37, v1 :: v_dual_add_nc_u32 v36, v50, v36
	ds_store_b32 v66, v39
	ds_store_b32 v67, v48
	;; [unrolled: 1-line block ×5, first 2 shown]
	s_wait_dscnt 0x0
	s_barrier_signal -1
	s_barrier_wait -1
	ds_load_b32 v22, v22
	ds_load_b32 v25, v25
	ds_load_b32 v28, v28
	ds_load_b32 v48, v35
	v_dual_mov_b32 v39, v1 :: v_dual_mov_b32 v35, v1
	s_wait_dscnt 0x0
	v_add_nc_u32_e32 v0, v22, v0
	v_add3_u32 v38, v24, v23, v25
	v_add3_u32 v36, v27, v26, v28
	;; [unrolled: 1-line block ×3, first 2 shown]
                                        ; implicit-def: $vgpr22_vgpr23_vgpr24_vgpr25_vgpr26_vgpr27_vgpr28_vgpr29
	s_delay_alu instid0(VALU_DEP_4) | instskip(NEXT) | instid1(VALU_DEP_4)
	v_lshl_add_u64 v[54:55], v[0:1], 1, v[12:13]
	v_lshl_add_u64 v[52:53], v[38:39], 1, v[12:13]
	s_delay_alu instid0(VALU_DEP_4) | instskip(NEXT) | instid1(VALU_DEP_4)
	v_lshl_add_u64 v[50:51], v[36:37], 1, v[12:13]
	v_lshl_add_u64 v[48:49], v[34:35], 1, v[12:13]
                                        ; implicit-def: $vgpr35
                                        ; implicit-def: $vgpr37
                                        ; implicit-def: $vgpr39
	v_cmpx_lt_u32_e64 v10, v11
	s_cbranch_execz .LBB2039_268
; %bb.284:                              ;   in Loop: Header=BB2039_269 Depth=1
	v_mad_nc_u64_u32 v[22:23], v0, 6, v[54:55]
	v_mad_nc_u64_u32 v[24:25], v38, 6, v[52:53]
	;; [unrolled: 1-line block ×4, first 2 shown]
	s_barrier_signal -1
	s_barrier_wait -1
	ds_store_b16 v54, v100
	ds_store_b16 v52, v102
	;; [unrolled: 1-line block ×4, first 2 shown]
	s_wait_dscnt 0x0
	s_barrier_signal -1
	s_barrier_wait -1
	ds_load_u16 v112, v33
	ds_load_u16 v35, v85
	;; [unrolled: 1-line block ×4, first 2 shown]
	s_wait_dscnt 0x0
	s_barrier_signal -1
	s_barrier_wait -1
	ds_store_b64 v22, v[14:15]
	ds_store_b64 v24, v[16:17]
	;; [unrolled: 1-line block ×4, first 2 shown]
	s_wait_dscnt 0x0
	s_barrier_signal -1
	s_barrier_wait -1
	ds_load_b64 v[22:23], v83
	ds_load_b64 v[24:25], v96
	;; [unrolled: 1-line block ×4, first 2 shown]
	v_add_nc_u32_e32 v99, -8, v99
	s_xor_b32 s16, exec_lo, -1
	s_wait_dscnt 0x0
	s_barrier_signal -1
	s_barrier_wait -1
	s_branch .LBB2039_268
.LBB2039_285:
	flat_load_b64 v[34:35], v[0:1]
	s_wait_xcnt 0x0
	s_or_b32 exec_lo, exec_lo, s7
                                        ; implicit-def: $vgpr36_vgpr37
	s_and_saveexec_b32 s7, s0
	s_cbranch_execz .LBB2039_163
.LBB2039_286:
	flat_load_b64 v[36:37], v[0:1] offset:256
	s_wait_xcnt 0x0
	s_or_b32 exec_lo, exec_lo, s7
                                        ; implicit-def: $vgpr38_vgpr39
	s_and_saveexec_b32 s0, s1
	s_cbranch_execz .LBB2039_164
.LBB2039_287:
	flat_load_b64 v[38:39], v[0:1] offset:512
	s_wait_xcnt 0x0
	s_or_b32 exec_lo, exec_lo, s0
                                        ; implicit-def: $vgpr48_vgpr49
	s_and_saveexec_b32 s0, s2
	s_cbranch_execz .LBB2039_165
.LBB2039_288:
	flat_load_b64 v[48:49], v[0:1] offset:768
	s_wait_xcnt 0x0
	s_or_b32 exec_lo, exec_lo, s0
                                        ; implicit-def: $vgpr50_vgpr51
	s_and_saveexec_b32 s0, s3
	s_cbranch_execz .LBB2039_166
.LBB2039_289:
	flat_load_b64 v[50:51], v[0:1] offset:1024
	s_wait_xcnt 0x0
	s_or_b32 exec_lo, exec_lo, s0
                                        ; implicit-def: $vgpr52_vgpr53
	s_and_saveexec_b32 s0, s4
	s_cbranch_execz .LBB2039_167
.LBB2039_290:
	flat_load_b64 v[52:53], v[0:1] offset:1280
	s_wait_xcnt 0x0
	s_or_b32 exec_lo, exec_lo, s0
                                        ; implicit-def: $vgpr54_vgpr55
	s_and_saveexec_b32 s0, s5
	s_cbranch_execz .LBB2039_168
.LBB2039_291:
	flat_load_b64 v[54:55], v[0:1] offset:1536
	s_wait_xcnt 0x0
	s_or_b32 exec_lo, exec_lo, s0
                                        ; implicit-def: $vgpr64_vgpr65
	s_and_saveexec_b32 s0, s6
	s_cbranch_execnz .LBB2039_169
	s_branch .LBB2039_170
.LBB2039_292:
	flat_store_b64 v[0:1], v[22:23]
	s_wait_xcnt 0x0
	s_or_b32 exec_lo, exec_lo, s7
	s_and_saveexec_b32 s7, s0
	s_cbranch_execz .LBB2039_244
.LBB2039_293:
	flat_store_b64 v[0:1], v[24:25] offset:2048
	s_wait_xcnt 0x0
	s_or_b32 exec_lo, exec_lo, s7
	s_and_saveexec_b32 s0, s1
	s_cbranch_execz .LBB2039_245
.LBB2039_294:
	flat_store_b64 v[0:1], v[18:19] offset:4096
	s_wait_xcnt 0x0
	s_or_b32 exec_lo, exec_lo, s0
	s_and_saveexec_b32 s0, s2
	s_cbranch_execz .LBB2039_246
.LBB2039_295:
	flat_store_b64 v[0:1], v[20:21] offset:6144
	s_wait_xcnt 0x0
	s_or_b32 exec_lo, exec_lo, s0
	s_and_saveexec_b32 s0, s3
	s_cbranch_execz .LBB2039_247
.LBB2039_296:
	flat_store_b64 v[0:1], v[14:15] offset:8192
	s_wait_xcnt 0x0
	s_or_b32 exec_lo, exec_lo, s0
	s_and_saveexec_b32 s0, s4
	s_cbranch_execz .LBB2039_248
.LBB2039_297:
	flat_store_b64 v[0:1], v[16:17] offset:10240
	s_wait_xcnt 0x0
	s_or_b32 exec_lo, exec_lo, s0
	s_and_saveexec_b32 s0, s5
	s_cbranch_execz .LBB2039_249
.LBB2039_298:
	flat_store_b64 v[0:1], v[10:11] offset:12288
	s_wait_xcnt 0x0
	s_or_b32 exec_lo, exec_lo, s0
	s_and_saveexec_b32 s0, s6
	s_cbranch_execnz .LBB2039_250
	s_branch .LBB2039_251
.LBB2039_299:
	s_or_b32 exec_lo, exec_lo, s26
	v_mad_nc_u64_u32 v[0:1], v0, 6, v[54:55]
	v_mad_nc_u64_u32 v[10:11], v38, 6, v[52:53]
	v_lshl_add_u32 v26, v30, 1, v12
	v_mad_nc_u64_u32 v[12:13], v36, 6, v[50:51]
	v_mad_nc_u64_u32 v[24:25], v34, 6, v[48:49]
	v_mul_u32_u24_e32 v1, 6, v30
	s_barrier_signal -1
	s_barrier_wait -1
	ds_store_b16 v54, v100
	ds_store_b16 v52, v102
	;; [unrolled: 1-line block ×4, first 2 shown]
	s_wait_dscnt 0x0
	s_barrier_signal -1
	s_barrier_wait -1
	ds_load_u16 v23, v26
	ds_load_u16 v22, v26 offset:512
	ds_load_u16 v5, v26 offset:1024
	;; [unrolled: 1-line block ×3, first 2 shown]
	s_wait_dscnt 0x0
	s_barrier_signal -1
	s_barrier_wait -1
	ds_store_b64 v0, v[14:15]
	ds_store_b64 v10, v[16:17]
	;; [unrolled: 1-line block ×4, first 2 shown]
	v_dual_mov_b32 v33, 0 :: v_dual_add_nc_u32 v0, v26, v1
	s_wait_dscnt 0x0
	s_barrier_signal -1
	s_barrier_wait -1
	ds_load_2addr_stride64_b64 v[14:17], v0 offset1:4
	ds_load_2addr_stride64_b64 v[10:13], v0 offset0:8 offset1:12
	v_lshl_add_u64 v[0:1], v[8:9], 1, v[2:3]
	s_set_vgpr_msb 4                        ;  msbs: dst=0 src0=0 src1=1 src2=0
	v_cmp_lt_u32_e32 vcc_lo, v32, v0 /*v256*/
	s_wait_dscnt 0x0
	s_barrier_signal -1
	s_barrier_wait -1
	v_lshl_add_u64 v[0:1], v[32:33], 1, v[0:1]
	s_and_saveexec_b32 s1, vcc_lo
	s_set_vgpr_msb 0                        ;  msbs: dst=0 src0=0 src1=0 src2=0
	s_cbranch_execz .LBB2039_301
; %bb.300:
	v_cmp_lt_i16_e64 s0, -1, v23
	s_delay_alu instid0(VALU_DEP_1) | instskip(NEXT) | instid1(VALU_DEP_1)
	v_cndmask_b32_e64 v2, 0xffff8000, -1, s0
	v_xor_b32_e32 v2, v2, v23
	flat_store_b16 v[0:1], v2
.LBB2039_301:
	s_wait_xcnt 0x0
	s_or_b32 exec_lo, exec_lo, s1
	v_add_nc_u32_e32 v2, 0x100, v32
	s_set_vgpr_msb 4                        ;  msbs: dst=0 src0=0 src1=1 src2=0
	s_delay_alu instid0(VALU_DEP_1)
	v_cmp_lt_u32_e64 s0, v2, v0 /*v256*/
	s_and_saveexec_b32 s2, s0
	s_set_vgpr_msb 0                        ;  msbs: dst=0 src0=0 src1=0 src2=0
	s_cbranch_execz .LBB2039_303
; %bb.302:
	v_cmp_lt_i16_e64 s1, -1, v22
	s_delay_alu instid0(VALU_DEP_1) | instskip(NEXT) | instid1(VALU_DEP_1)
	v_cndmask_b32_e64 v2, 0xffff8000, -1, s1
	v_xor_b32_e32 v2, v2, v22
	flat_store_b16 v[0:1], v2 offset:512
.LBB2039_303:
	s_wait_xcnt 0x0
	s_or_b32 exec_lo, exec_lo, s2
	v_add_nc_u32_e32 v2, 0x200, v32
	s_set_vgpr_msb 4                        ;  msbs: dst=0 src0=0 src1=1 src2=0
	s_delay_alu instid0(VALU_DEP_1)
	v_cmp_lt_u32_e64 s1, v2, v0 /*v256*/
	s_and_saveexec_b32 s3, s1
	s_set_vgpr_msb 0                        ;  msbs: dst=0 src0=0 src1=0 src2=0
	s_cbranch_execz .LBB2039_305
; %bb.304:
	v_cmp_lt_i16_e64 s2, -1, v5
	s_delay_alu instid0(VALU_DEP_1) | instskip(NEXT) | instid1(VALU_DEP_1)
	v_cndmask_b32_e64 v2, 0xffff8000, -1, s2
	v_xor_b32_e32 v2, v2, v5
	flat_store_b16 v[0:1], v2 offset:1024
.LBB2039_305:
	;; [unrolled: 16-line block ×3, first 2 shown]
	s_wait_xcnt 0x0
	s_or_b32 exec_lo, exec_lo, s4
	v_lshl_add_u64 v[0:1], v[8:9], 3, v[6:7]
	s_delay_alu instid0(VALU_DEP_1)
	v_lshl_add_u64 v[0:1], v[32:33], 3, v[0:1]
	s_and_saveexec_b32 s3, vcc_lo
	s_cbranch_execnz .LBB2039_340
; %bb.308:
	s_or_b32 exec_lo, exec_lo, s3
	s_and_saveexec_b32 s3, s0
	s_cbranch_execnz .LBB2039_341
.LBB2039_309:
	s_or_b32 exec_lo, exec_lo, s3
	s_and_saveexec_b32 s0, s1
	s_cbranch_execnz .LBB2039_342
.LBB2039_310:
	s_or_b32 exec_lo, exec_lo, s0
	s_and_saveexec_b32 s0, s2
	s_cbranch_execz .LBB2039_312
.LBB2039_311:
	flat_store_b64 v[0:1], v[12:13] offset:6144
.LBB2039_312:
	s_wait_xcnt 0x0
	s_or_b32 exec_lo, exec_lo, s0
                                        ; implicit-def: $vgpr256
                                        ; implicit-def: $vgpr8
                                        ; implicit-def: $vgpr10
                                        ; implicit-def: $vgpr11
                                        ; implicit-def: $vgpr0_vgpr1
                                        ; implicit-def: $vgpr2_vgpr3
                                        ; implicit-def: $vgpr4_vgpr5
                                        ; implicit-def: $vgpr6_vgpr7
                                        ; implicit-def: $vgpr12_vgpr13
                                        ; implicit-def: $vgpr9
                                        ; implicit-def: $vgpr14
                                        ; implicit-def: $vgpr30
                                        ; implicit-def: $vgpr33
.LBB2039_313:
	s_and_not1_saveexec_b32 s0, s24
	s_cbranch_execz .LBB2039_372
; %bb.314:
	s_load_b64 s[0:1], s[8:9], 0x0
	s_bfe_u32 s3, ttmp6, 0x4000c
	s_bfe_u32 s5, ttmp6, 0x40010
	s_and_b32 s4, ttmp7, 0xffff
	s_add_co_i32 s3, s3, 1
	s_add_co_i32 s5, s5, 1
	s_and_b32 s2, ttmp6, 15
	s_bfe_u32 s6, ttmp6, 0x40004
	s_mul_i32 s3, ttmp9, s3
	s_mul_i32 s5, s4, s5
	s_add_co_i32 s2, s2, s3
	s_add_co_i32 s6, s6, s5
	s_cmp_eq_u32 s23, 0
	s_cselect_b32 s2, ttmp9, s2
	s_cselect_b32 s3, s4, s6
	s_wait_kmcnt 0x0
	s_cmp_lt_u32 s2, s0
	s_cselect_b32 s0, 12, 18
	s_cmp_lt_u32 s3, s1
	s_mov_b32 s1, 0
	s_cselect_b32 s2, 14, 20
	s_mov_b32 s3, s1
	s_add_nc_u64 s[0:1], s[8:9], s[0:1]
	s_add_nc_u64 s[2:3], s[8:9], s[2:3]
	s_clause 0x1
	s_load_u16 s0, s[0:1], 0x0
	s_nop 0
	s_load_u16 s2, s[2:3], 0x0
	s_wait_kmcnt 0x0
	v_mad_u32_u24 v9, v14, s2, v9
	s_delay_alu instid0(VALU_DEP_1)
	v_mad_u32 v14, v9, s0, v30
	v_mov_b32_e32 v9, 0
	s_mov_b32 s0, exec_lo
	s_set_vgpr_msb 4                        ;  msbs: dst=0 src0=0 src1=1 src2=0
	v_cmpx_lt_u32_e32 0x100, v0 /*v256*/
	s_xor_b32 s20, exec_lo, s0
	s_set_vgpr_msb 0                        ;  msbs: dst=0 src0=0 src1=0 src2=0
	s_cbranch_execz .LBB2039_352
; %bb.315:
	v_lshl_add_u64 v[16:17], v[8:9], 1, v[0:1]
	s_delay_alu instid0(VALU_DEP_4) | instskip(SKIP_2) | instid1(VALU_DEP_3)
	v_dual_lshlrev_b32 v0, 1, v14 :: v_dual_lshlrev_b32 v18, 1, v33
	v_dual_mov_b32 v19, v9 :: v_dual_mov_b32 v1, v9
	v_mov_b32_e32 v15, 0x7fff
	v_and_b32_e32 v0, 0xffffffc0, v0
	s_delay_alu instid0(VALU_DEP_3) | instskip(SKIP_1) | instid1(VALU_DEP_3)
	v_add_nc_u64_e32 v[16:17], v[16:17], v[18:19]
	v_mov_b32_e32 v18, 0x7fff
	v_or_b32_e32 v19, v33, v0
	s_delay_alu instid0(VALU_DEP_3) | instskip(SKIP_1) | instid1(VALU_DEP_2)
	v_lshl_add_u64 v[16:17], v[0:1], 1, v[16:17]
	s_set_vgpr_msb 4                        ;  msbs: dst=0 src0=0 src1=1 src2=0
	v_cmp_lt_u32_e32 vcc_lo, v19, v0 /*v256*/
	s_and_saveexec_b32 s0, vcc_lo
	s_set_vgpr_msb 0                        ;  msbs: dst=0 src0=0 src1=0 src2=0
	s_cbranch_execz .LBB2039_317
; %bb.316:
	flat_load_u16 v18, v[16:17]
.LBB2039_317:
	s_wait_xcnt 0x0
	s_or_b32 exec_lo, exec_lo, s0
	v_or_b32_e32 v19, 32, v19
	s_set_vgpr_msb 4                        ;  msbs: dst=0 src0=0 src1=1 src2=0
	s_delay_alu instid0(VALU_DEP_1)
	v_cmp_lt_u32_e64 s0, v19, v0 /*v256*/
	s_and_saveexec_b32 s1, s0
	s_set_vgpr_msb 0                        ;  msbs: dst=0 src0=0 src1=0 src2=0
	s_cbranch_execz .LBB2039_319
; %bb.318:
	flat_load_u16 v15, v[16:17] offset:64
.LBB2039_319:
	s_wait_xcnt 0x0
	s_or_b32 exec_lo, exec_lo, s1
	v_lshl_add_u64 v[4:5], v[8:9], 3, v[4:5]
	v_dual_mov_b32 v17, 0 :: v_dual_lshlrev_b32 v16, 3, v33
	v_mov_b64_e32 v[22:23], 0
	v_mov_b64_e32 v[20:21], 0
	s_delay_alu instid0(VALU_DEP_3) | instskip(NEXT) | instid1(VALU_DEP_1)
	v_add_nc_u64_e32 v[4:5], v[4:5], v[16:17]
	v_lshl_add_u64 v[0:1], v[0:1], 3, v[4:5]
	s_and_saveexec_b32 s1, vcc_lo
	s_cbranch_execz .LBB2039_321
; %bb.320:
	flat_load_b64 v[20:21], v[0:1]
.LBB2039_321:
	s_wait_xcnt 0x0
	s_or_b32 exec_lo, exec_lo, s1
	s_and_saveexec_b32 s1, s0
	s_cbranch_execz .LBB2039_323
; %bb.322:
	flat_load_b64 v[22:23], v[0:1] offset:256
.LBB2039_323:
	s_wait_xcnt 0x0
	s_or_b32 exec_lo, exec_lo, s1
	s_wait_loadcnt_dscnt 0x0
	v_cmp_lt_i16_e32 vcc_lo, -1, v18
	v_lshl_add_u32 v4, v30, 5, v12
	s_get_pc_i64 s[0:1]
	s_add_nc_u64 s[0:1], s[0:1], _ZN7rocprim17ROCPRIM_400000_NS16block_radix_sortI12hip_bfloat16Lj256ELj2ElLj1ELj1ELj8ELNS0_26block_radix_rank_algorithmE2ELNS0_18block_padding_hintE2ELNS0_4arch9wavefront6targetE0EE19radix_bits_per_passE@rel64+4
	v_cmp_lt_u32_e64 s7, 31, v30
	s_load_b32 s21, s[0:1], 0x0
	v_cndmask_b32_e64 v0, -1, 0xffff8000, vcc_lo
	v_cmp_lt_i16_e32 vcc_lo, -1, v15
	v_dual_add_nc_u32 v32, 40, v4 :: v_dual_add_nc_u32 v34, 44, v4
	v_dual_add_nc_u32 v35, 48, v4 :: v_dual_add_nc_u32 v36, 52, v4
	s_delay_alu instid0(VALU_DEP_4) | instskip(SKIP_4) | instid1(VALU_DEP_4)
	v_xor_b32_e32 v66, v0, v18
	v_and_b32_e32 v0, 0x3e0, v30
	v_cndmask_b32_e64 v1, -1, 0xffff8000, vcc_lo
	v_dual_add_nc_u32 v38, 60, v4 :: v_dual_lshrrev_b32 v39, 5, v14
	v_add_nc_u32_e32 v31, 36, v4
	v_min_u32_e32 v0, 0xe0, v0
	s_delay_alu instid0(VALU_DEP_4) | instskip(SKIP_2) | instid1(VALU_DEP_4)
	v_dual_add_nc_u32 v15, 32, v4 :: v_dual_bitop2_b32 v25, v1, v15 bitop3:0x14
	v_dual_add_nc_u32 v37, 56, v4 :: v_dual_bitop2_b32 v1, 15, v33 bitop3:0x40
	v_and_b32_e32 v4, 16, v33
	v_or_b32_e32 v0, 31, v0
	v_cmp_eq_u32_e64 s8, 0, v30
	s_delay_alu instid0(VALU_DEP_4)
	v_cmp_eq_u32_e32 vcc_lo, 0, v1
	s_wait_xcnt 0x0
	v_cmp_lt_u32_e64 s0, 1, v1
	v_cmp_lt_u32_e64 s1, 3, v1
	;; [unrolled: 1-line block ×3, first 2 shown]
	v_sub_co_u32 v1, s3, v33, 1
	v_cmp_eq_u32_e64 s5, v30, v0
	v_lshrrev_b32_e32 v0, 3, v30
	v_cmp_eq_u32_e64 s4, 0, v4
	v_lshlrev_b32_e32 v4, 1, v30
	v_cmp_gt_i32_e64 s6, 0, v1
	v_lshl_add_u32 v50, v30, 2, v12
	v_and_b32_e32 v0, 0x7c, v0
	s_mov_b32 s23, 0
	v_and_or_b32 v4, 0x7c0, v4, v33
	v_cndmask_b32_e64 v1, v1, v33, s6
	v_cmp_gt_u32_e64 s6, 8, v30
	v_dual_add_nc_u32 v49, v12, v0 :: v_dual_bitop2_b32 v0, 7, v33 bitop3:0x40
	s_delay_alu instid0(VALU_DEP_4) | instskip(SKIP_2) | instid1(VALU_DEP_4)
	v_lshl_add_u32 v33, v4, 1, v12
	v_mul_u32_u24_e32 v4, 6, v4
	v_dual_mov_b32 v1, 0 :: v_dual_lshlrev_b32 v48, 2, v1
	v_dual_add_nc_u32 v52, -4, v49 :: v_dual_sub_nc_u32 v55, v11, v10
	s_delay_alu instid0(VALU_DEP_3)
	v_add_nc_u32_e32 v51, v33, v4
	v_mov_b64_e32 v[4:5], 0
	v_cmp_eq_u32_e64 s9, 0, v0
	v_cmp_lt_u32_e64 s10, 1, v0
	v_cmp_lt_u32_e64 s11, 3, v0
	v_add_nc_u32_e32 v53, 64, v33
	v_add_nc_u32_e32 v54, 0x100, v51
	s_wait_storecnt 0x0
	s_barrier_signal -1
	s_barrier_wait -1
	s_branch .LBB2039_325
.LBB2039_324:                           ;   in Loop: Header=BB2039_325 Depth=1
	s_or_b32 exec_lo, exec_lo, s13
	s_delay_alu instid0(SALU_CYCLE_1) | instskip(NEXT) | instid1(SALU_CYCLE_1)
	s_and_b32 s12, exec_lo, s14
	s_or_b32 s23, s12, s23
	s_delay_alu instid0(SALU_CYCLE_1)
	s_and_not1_b32 exec_lo, exec_lo, s23
	s_cbranch_execz .LBB2039_343
.LBB2039_325:                           ; =>This Inner Loop Header: Depth=1
	v_mov_b32_e32 v64, v66
	s_wait_kmcnt 0x0
	v_min_u32_e32 v16, s21, v55
	ds_store_b64 v15, v[4:5]
	ds_store_b64 v32, v[4:5]
	;; [unrolled: 1-line block ×4, first 2 shown]
	s_wait_dscnt 0x0
	v_cmp_ne_u16_e64 s12, 0x7fff, v64
	v_lshlrev_b32_e64 v24, v16, -1
	s_barrier_signal -1
	s_barrier_wait -1
	s_delay_alu instid0(VALU_DEP_2) | instskip(NEXT) | instid1(VALU_DEP_1)
	v_cndmask_b32_e64 v0, 0xffff8000, v64, s12
	; wave barrier
	v_and_b32_e32 v0, 0xffff, v0
	s_delay_alu instid0(VALU_DEP_1) | instskip(NEXT) | instid1(VALU_DEP_1)
	v_lshrrev_b32_e32 v0, v10, v0
	v_bitop3_b32 v16, v0, 1, v24 bitop3:0x40
	v_bitop3_b32 v0, v0, v24, v0 bitop3:0x30
	s_delay_alu instid0(VALU_DEP_2) | instskip(NEXT) | instid1(VALU_DEP_1)
	v_add_co_u32 v16, s12, v16, -1
	v_cndmask_b32_e64 v17, 0, 1, s12
	s_delay_alu instid0(VALU_DEP_3) | instskip(SKIP_2) | instid1(VALU_DEP_4)
	v_dual_lshlrev_b32 v18, 30, v0 :: v_dual_lshlrev_b32 v19, 29, v0
	v_dual_lshlrev_b32 v26, 28, v0 :: v_dual_lshlrev_b32 v27, 27, v0
	v_lshlrev_b32_e32 v28, 26, v0
	v_cmp_ne_u32_e64 s12, 0, v17
	s_delay_alu instid0(VALU_DEP_4)
	v_not_b32_e32 v17, v18
	v_cmp_gt_i32_e64 s13, 0, v18
	v_cmp_gt_i32_e64 s14, 0, v19
	v_not_b32_e32 v18, v19
	v_not_b32_e32 v19, v26
	v_dual_ashrrev_i32 v17, 31, v17 :: v_dual_lshlrev_b32 v29, 25, v0
	v_lshlrev_b32_e32 v65, 24, v0
	v_cmp_gt_i32_e64 s15, 0, v26
	v_cmp_gt_i32_e64 s16, 0, v27
	v_not_b32_e32 v26, v27
	v_not_b32_e32 v27, v28
	v_dual_ashrrev_i32 v18, 31, v18 :: v_dual_bitop2_b32 v16, s12, v16 bitop3:0x14
	v_dual_ashrrev_i32 v19, 31, v19 :: v_dual_bitop2_b32 v17, s13, v17 bitop3:0x14
	v_cmp_gt_i32_e64 s17, 0, v28
	v_cmp_gt_i32_e64 s18, 0, v29
	v_not_b32_e32 v28, v29
	v_not_b32_e32 v29, v65
	v_dual_ashrrev_i32 v26, 31, v26 :: v_dual_ashrrev_i32 v27, 31, v27
	v_xor_b32_e32 v18, s14, v18
	v_xor_b32_e32 v19, s15, v19
	v_bitop3_b32 v16, v16, v17, exec_lo bitop3:0x80
	v_cmp_gt_i32_e64 s19, 0, v65
	v_dual_ashrrev_i32 v17, 31, v28 :: v_dual_ashrrev_i32 v28, 31, v29
	v_dual_lshlrev_b32 v0, 3, v0 :: v_dual_bitop2_b32 v26, s16, v26 bitop3:0x14
	v_dual_mov_b32 v65, v25 :: v_dual_bitop2_b32 v27, s17, v27 bitop3:0x14
	v_bitop3_b32 v16, v16, v19, v18 bitop3:0x80
	s_delay_alu instid0(VALU_DEP_4)
	v_xor_b32_e32 v29, s18, v17
	v_xor_b32_e32 v28, s19, v28
	v_add_lshl_u32 v0, v0, v39, 2
	v_mov_b64_e32 v[18:19], v[20:21]
	v_bitop3_b32 v26, v16, v27, v26 bitop3:0x80
	v_mov_b64_e32 v[16:17], v[22:23]
	s_delay_alu instid0(VALU_DEP_4) | instskip(NEXT) | instid1(VALU_DEP_3)
	v_add_nc_u64_e32 v[20:21], v[12:13], v[0:1]
	v_bitop3_b32 v22, v26, v28, v29 bitop3:0x80
	s_delay_alu instid0(VALU_DEP_1) | instskip(NEXT) | instid1(VALU_DEP_3)
	v_mbcnt_lo_u32_b32 v0, v22, 0
	v_add_nc_u64_e32 v[20:21], 32, v[20:21]
	v_cmp_ne_u32_e64 s13, 0, v22
	s_delay_alu instid0(VALU_DEP_3) | instskip(SKIP_1) | instid1(SALU_CYCLE_1)
	v_cmp_eq_u32_e64 s12, 0, v0
	s_and_b32 s13, s13, s12
	s_and_saveexec_b32 s12, s13
; %bb.326:                              ;   in Loop: Header=BB2039_325 Depth=1
	v_bcnt_u32_b32 v21, v22, 0
	ds_store_b32 v20, v21
; %bb.327:                              ;   in Loop: Header=BB2039_325 Depth=1
	s_or_b32 exec_lo, exec_lo, s12
	v_cmp_ne_u16_e64 s12, 0x7fff, v65
	v_not_b32_e32 v22, v24
	; wave barrier
	s_delay_alu instid0(VALU_DEP_2) | instskip(NEXT) | instid1(VALU_DEP_1)
	v_cndmask_b32_e64 v21, 0xffff8000, v65, s12
	v_and_b32_e32 v21, 0xffff, v21
	s_delay_alu instid0(VALU_DEP_1) | instskip(NEXT) | instid1(VALU_DEP_1)
	v_lshrrev_b32_e32 v21, v10, v21
	v_and_b32_e32 v23, v21, v22
	s_delay_alu instid0(VALU_DEP_1) | instskip(SKIP_1) | instid1(VALU_DEP_2)
	v_lshlrev_b32_e32 v25, 30, v23
	v_bitop3_b32 v21, v21, 1, v22 bitop3:0x80
	v_cmp_gt_i32_e64 s13, 0, v25
	s_delay_alu instid0(VALU_DEP_2) | instskip(NEXT) | instid1(VALU_DEP_1)
	v_add_co_u32 v21, s12, v21, -1
	v_cndmask_b32_e64 v24, 0, 1, s12
	s_delay_alu instid0(VALU_DEP_1) | instskip(SKIP_1) | instid1(VALU_DEP_1)
	v_cmp_ne_u32_e64 s12, 0, v24
	v_not_b32_e32 v24, v25
	v_dual_ashrrev_i32 v24, 31, v24 :: v_dual_lshlrev_b32 v26, 29, v23
	v_dual_lshlrev_b32 v27, 28, v23 :: v_dual_lshlrev_b32 v28, 27, v23
	v_lshlrev_b32_e32 v29, 26, v23
	v_lshl_add_u32 v22, v23, 3, v39
	s_delay_alu instid0(VALU_DEP_4)
	v_cmp_gt_i32_e64 s14, 0, v26
	v_not_b32_e32 v25, v26
	v_not_b32_e32 v26, v27
	v_dual_lshlrev_b32 v66, 25, v23 :: v_dual_lshlrev_b32 v23, 24, v23
	v_cmp_gt_i32_e64 s15, 0, v27
	v_cmp_gt_i32_e64 s16, 0, v28
	v_not_b32_e32 v27, v28
	v_not_b32_e32 v28, v29
	v_dual_ashrrev_i32 v26, 31, v26 :: v_dual_bitop2_b32 v21, s12, v21 bitop3:0x14
	v_dual_ashrrev_i32 v25, 31, v25 :: v_dual_bitop2_b32 v24, s13, v24 bitop3:0x14
	v_cmp_gt_i32_e64 s17, 0, v29
	v_not_b32_e32 v29, v66
	v_dual_ashrrev_i32 v27, 31, v27 :: v_dual_ashrrev_i32 v28, 31, v28
	v_xor_b32_e32 v26, s15, v26
	v_bitop3_b32 v21, v21, v24, exec_lo bitop3:0x80
	v_not_b32_e32 v24, v23
	v_xor_b32_e32 v25, s14, v25
	v_cmp_gt_i32_e64 s18, 0, v66
	v_dual_ashrrev_i32 v29, 31, v29 :: v_dual_bitop2_b32 v28, s17, v28 bitop3:0x14
	v_cmp_gt_i32_e64 s12, 0, v23
	v_ashrrev_i32_e32 v23, 31, v24
	v_bitop3_b32 v21, v21, v26, v25 bitop3:0x80
	v_lshl_add_u32 v25, v22, 2, v12
	v_xor_b32_e32 v27, s16, v27
	v_xor_b32_e32 v22, s18, v29
	;; [unrolled: 1-line block ×3, first 2 shown]
	s_delay_alu instid0(VALU_DEP_3) | instskip(SKIP_3) | instid1(VALU_DEP_2)
	v_bitop3_b32 v24, v21, v28, v27 bitop3:0x80
	ds_load_b32 v21, v25 offset:32
	; wave barrier
	v_bitop3_b32 v24, v24, v23, v22 bitop3:0x80
	v_add_nc_u32_e32 v23, 32, v25
	v_mbcnt_lo_u32_b32 v22, v24, 0
	v_cmp_ne_u32_e64 s13, 0, v24
	s_delay_alu instid0(VALU_DEP_2) | instskip(SKIP_1) | instid1(SALU_CYCLE_1)
	v_cmp_eq_u32_e64 s12, 0, v22
	s_and_b32 s13, s13, s12
	s_and_saveexec_b32 s12, s13
	s_cbranch_execz .LBB2039_329
; %bb.328:                              ;   in Loop: Header=BB2039_325 Depth=1
	s_wait_dscnt 0x0
	v_bcnt_u32_b32 v24, v24, v21
	ds_store_b32 v23, v24
.LBB2039_329:                           ;   in Loop: Header=BB2039_325 Depth=1
	s_or_b32 exec_lo, exec_lo, s12
	; wave barrier
	s_wait_dscnt 0x0
	s_barrier_signal -1
	s_barrier_wait -1
	ds_load_b32 v25, v15
	ds_load_b32 v26, v31
	ds_load_b32 v27, v32
	ds_load_b32 v28, v34
	ds_load_b32 v29, v35
	ds_load_b32 v66, v36
	ds_load_b32 v24, v37
	ds_load_b32 v67, v38
	s_wait_dscnt 0x6
	v_add_nc_u32_e32 v68, v26, v25
	s_wait_dscnt 0x4
	s_delay_alu instid0(VALU_DEP_1) | instskip(SKIP_1) | instid1(VALU_DEP_1)
	v_add3_u32 v68, v68, v27, v28
	s_wait_dscnt 0x2
	v_add3_u32 v68, v68, v29, v66
	s_wait_dscnt 0x0
	s_delay_alu instid0(VALU_DEP_1) | instskip(NEXT) | instid1(VALU_DEP_1)
	v_add3_u32 v67, v68, v24, v67
	v_mov_b32_dpp v68, v67 row_shr:1 row_mask:0xf bank_mask:0xf
	s_delay_alu instid0(VALU_DEP_1) | instskip(NEXT) | instid1(VALU_DEP_1)
	v_cndmask_b32_e64 v68, v68, 0, vcc_lo
	v_add_nc_u32_e32 v67, v68, v67
	s_delay_alu instid0(VALU_DEP_1) | instskip(NEXT) | instid1(VALU_DEP_1)
	v_mov_b32_dpp v68, v67 row_shr:2 row_mask:0xf bank_mask:0xf
	v_cndmask_b32_e64 v68, 0, v68, s0
	s_delay_alu instid0(VALU_DEP_1) | instskip(NEXT) | instid1(VALU_DEP_1)
	v_add_nc_u32_e32 v67, v67, v68
	v_mov_b32_dpp v68, v67 row_shr:4 row_mask:0xf bank_mask:0xf
	s_delay_alu instid0(VALU_DEP_1) | instskip(NEXT) | instid1(VALU_DEP_1)
	v_cndmask_b32_e64 v68, 0, v68, s1
	v_add_nc_u32_e32 v67, v67, v68
	s_delay_alu instid0(VALU_DEP_1) | instskip(NEXT) | instid1(VALU_DEP_1)
	v_mov_b32_dpp v68, v67 row_shr:8 row_mask:0xf bank_mask:0xf
	v_cndmask_b32_e64 v68, 0, v68, s2
	s_delay_alu instid0(VALU_DEP_1) | instskip(SKIP_3) | instid1(VALU_DEP_1)
	v_add_nc_u32_e32 v67, v67, v68
	ds_swizzle_b32 v68, v67 offset:swizzle(BROADCAST,32,15)
	s_wait_dscnt 0x0
	v_cndmask_b32_e64 v68, v68, 0, s4
	v_add_nc_u32_e32 v67, v67, v68
	s_and_saveexec_b32 s12, s5
; %bb.330:                              ;   in Loop: Header=BB2039_325 Depth=1
	ds_store_b32 v49, v67
; %bb.331:                              ;   in Loop: Header=BB2039_325 Depth=1
	s_or_b32 exec_lo, exec_lo, s12
	s_wait_dscnt 0x0
	s_barrier_signal -1
	s_barrier_wait -1
	s_and_saveexec_b32 s12, s6
	s_cbranch_execz .LBB2039_333
; %bb.332:                              ;   in Loop: Header=BB2039_325 Depth=1
	ds_load_b32 v68, v50
	s_wait_dscnt 0x0
	v_mov_b32_dpp v69, v68 row_shr:1 row_mask:0xf bank_mask:0xf
	s_delay_alu instid0(VALU_DEP_1) | instskip(NEXT) | instid1(VALU_DEP_1)
	v_cndmask_b32_e64 v69, v69, 0, s9
	v_add_nc_u32_e32 v68, v69, v68
	s_delay_alu instid0(VALU_DEP_1) | instskip(NEXT) | instid1(VALU_DEP_1)
	v_mov_b32_dpp v69, v68 row_shr:2 row_mask:0xf bank_mask:0xf
	v_cndmask_b32_e64 v69, 0, v69, s10
	s_delay_alu instid0(VALU_DEP_1) | instskip(NEXT) | instid1(VALU_DEP_1)
	v_add_nc_u32_e32 v68, v68, v69
	v_mov_b32_dpp v69, v68 row_shr:4 row_mask:0xf bank_mask:0xf
	s_delay_alu instid0(VALU_DEP_1) | instskip(NEXT) | instid1(VALU_DEP_1)
	v_cndmask_b32_e64 v69, 0, v69, s11
	v_add_nc_u32_e32 v68, v68, v69
	ds_store_b32 v50, v68
.LBB2039_333:                           ;   in Loop: Header=BB2039_325 Depth=1
	s_or_b32 exec_lo, exec_lo, s12
	v_mov_b32_e32 v68, 0
	s_wait_dscnt 0x0
	s_barrier_signal -1
	s_barrier_wait -1
	s_and_saveexec_b32 s12, s7
; %bb.334:                              ;   in Loop: Header=BB2039_325 Depth=1
	ds_load_b32 v68, v52
; %bb.335:                              ;   in Loop: Header=BB2039_325 Depth=1
	s_or_b32 exec_lo, exec_lo, s12
	s_wait_dscnt 0x0
	v_add_nc_u32_e32 v67, v68, v67
	s_mov_b32 s14, -1
	s_mov_b32 s13, exec_lo
	v_add_nc_u32_e32 v10, 8, v10
	ds_bpermute_b32 v67, v48, v67
	s_wait_dscnt 0x0
	v_cndmask_b32_e64 v67, v67, v68, s3
	s_delay_alu instid0(VALU_DEP_1) | instskip(NEXT) | instid1(VALU_DEP_1)
	v_cndmask_b32_e64 v67, v67, 0, s8
	v_add_nc_u32_e32 v25, v67, v25
	s_delay_alu instid0(VALU_DEP_1) | instskip(NEXT) | instid1(VALU_DEP_1)
	v_add_nc_u32_e32 v26, v25, v26
	v_add_nc_u32_e32 v27, v26, v27
	s_delay_alu instid0(VALU_DEP_1) | instskip(NEXT) | instid1(VALU_DEP_1)
	v_add_nc_u32_e32 v28, v27, v28
	v_add_nc_u32_e32 v29, v28, v29
	s_delay_alu instid0(VALU_DEP_1)
	v_add_nc_u32_e32 v66, v29, v66
	ds_store_b32 v15, v67
	ds_store_b32 v31, v25
	;; [unrolled: 1-line block ×3, first 2 shown]
	v_add_nc_u32_e32 v24, v66, v24
	ds_store_b32 v34, v27
	ds_store_b32 v35, v28
	;; [unrolled: 1-line block ×5, first 2 shown]
	s_wait_dscnt 0x0
	s_barrier_signal -1
	s_barrier_wait -1
	ds_load_b32 v20, v20
	ds_load_b32 v23, v23
	v_mov_b32_e32 v25, v1
	s_wait_dscnt 0x0
                                        ; implicit-def: $vgpr66
	v_add_nc_u32_e32 v0, v20, v0
	v_add3_u32 v24, v22, v21, v23
                                        ; implicit-def: $vgpr22_vgpr23
                                        ; implicit-def: $vgpr20_vgpr21
	s_delay_alu instid0(VALU_DEP_2) | instskip(NEXT) | instid1(VALU_DEP_2)
	v_lshl_add_u64 v[28:29], v[0:1], 1, v[12:13]
	v_lshl_add_u64 v[26:27], v[24:25], 1, v[12:13]
                                        ; implicit-def: $vgpr25
	v_cmpx_lt_u32_e64 v10, v11
	s_cbranch_execz .LBB2039_324
; %bb.336:                              ;   in Loop: Header=BB2039_325 Depth=1
	s_delay_alu instid0(VALU_DEP_3) | instskip(NEXT) | instid1(VALU_DEP_3)
	v_mad_nc_u64_u32 v[20:21], v0, 6, v[28:29]
	v_mad_nc_u64_u32 v[22:23], v24, 6, v[26:27]
	s_barrier_signal -1
	s_barrier_wait -1
	ds_store_b16 v28, v64
	ds_store_b16 v26, v65
	s_wait_dscnt 0x0
	s_barrier_signal -1
	s_barrier_wait -1
	ds_load_u16 v66, v33
	ds_load_u16 v25, v53
	s_wait_dscnt 0x0
	s_barrier_signal -1
	s_barrier_wait -1
	ds_store_b64 v20, v[18:19]
	ds_store_b64 v22, v[16:17]
	s_wait_dscnt 0x0
	s_barrier_signal -1
	s_barrier_wait -1
	ds_load_b64 v[20:21], v51
	ds_load_b64 v[22:23], v54
	v_add_nc_u32_e32 v55, -8, v55
	s_xor_b32 s14, exec_lo, -1
	s_wait_dscnt 0x0
	s_barrier_signal -1
	s_barrier_wait -1
	s_branch .LBB2039_324
.LBB2039_337:
	flat_load_b64 v[48:49], v[0:1]
	v_dual_mov_b32 v50, v23 :: v_dual_mov_b32 v51, v23
	v_dual_mov_b32 v52, v23 :: v_dual_mov_b32 v53, v23
	v_dual_mov_b32 v54, v23 :: v_dual_mov_b32 v55, v23
	s_wait_loadcnt_dscnt 0x0
	v_mov_b64_e32 v[22:23], v[48:49]
	v_mov_b64_e32 v[24:25], v[50:51]
	;; [unrolled: 1-line block ×4, first 2 shown]
	s_wait_xcnt 0x0
	s_or_b32 exec_lo, exec_lo, s3
	s_and_saveexec_b32 s2, s0
	s_cbranch_execz .LBB2039_264
.LBB2039_338:
	flat_load_b64 v[24:25], v[0:1] offset:256
	s_wait_xcnt 0x0
	s_or_b32 exec_lo, exec_lo, s2
	s_and_saveexec_b32 s0, s1
	s_cbranch_execz .LBB2039_265
.LBB2039_339:
	flat_load_b64 v[26:27], v[0:1] offset:512
	s_wait_xcnt 0x0
	s_or_b32 exec_lo, exec_lo, s0
	s_and_saveexec_b32 s0, vcc_lo
	s_cbranch_execnz .LBB2039_266
	s_branch .LBB2039_267
.LBB2039_340:
	flat_store_b64 v[0:1], v[14:15]
	s_wait_xcnt 0x0
	s_or_b32 exec_lo, exec_lo, s3
	s_and_saveexec_b32 s3, s0
	s_cbranch_execz .LBB2039_309
.LBB2039_341:
	flat_store_b64 v[0:1], v[16:17] offset:2048
	s_wait_xcnt 0x0
	s_or_b32 exec_lo, exec_lo, s3
	s_and_saveexec_b32 s0, s1
	s_cbranch_execz .LBB2039_310
.LBB2039_342:
	flat_store_b64 v[0:1], v[10:11] offset:4096
	s_wait_xcnt 0x0
	s_or_b32 exec_lo, exec_lo, s0
	s_and_saveexec_b32 s0, s2
	s_cbranch_execnz .LBB2039_311
	s_branch .LBB2039_312
.LBB2039_343:
	s_or_b32 exec_lo, exec_lo, s23
	v_mad_nc_u64_u32 v[0:1], v0, 6, v[28:29]
	v_mad_nc_u64_u32 v[10:11], v24, 6, v[26:27]
	v_lshl_add_u32 v12, v30, 1, v12
	v_mul_u32_u24_e32 v1, 6, v30
	s_barrier_signal -1
	s_barrier_wait -1
	ds_store_b16 v28, v64
	ds_store_b16 v26, v65
	s_wait_dscnt 0x0
	s_barrier_signal -1
	s_barrier_wait -1
	ds_load_u16 v5, v12
	ds_load_u16 v4, v12 offset:512
	s_wait_dscnt 0x0
	s_barrier_signal -1
	s_barrier_wait -1
	ds_store_b64 v0, v[18:19]
	ds_store_b64 v10, v[16:17]
	v_dual_mov_b32 v15, 0 :: v_dual_add_nc_u32 v0, v12, v1
	s_wait_dscnt 0x0
	s_barrier_signal -1
	s_barrier_wait -1
	ds_load_2addr_stride64_b64 v[10:13], v0 offset1:4
	v_lshl_add_u64 v[0:1], v[8:9], 1, v[2:3]
	s_set_vgpr_msb 4                        ;  msbs: dst=0 src0=0 src1=1 src2=0
	v_cmp_lt_u32_e32 vcc_lo, v14, v0 /*v256*/
	s_wait_dscnt 0x0
	s_barrier_signal -1
	s_barrier_wait -1
	v_lshl_add_u64 v[0:1], v[14:15], 1, v[0:1]
	s_and_saveexec_b32 s1, vcc_lo
	s_set_vgpr_msb 0                        ;  msbs: dst=0 src0=0 src1=0 src2=0
	s_cbranch_execz .LBB2039_345
; %bb.344:
	v_cmp_lt_i16_e64 s0, -1, v5
	s_delay_alu instid0(VALU_DEP_1) | instskip(NEXT) | instid1(VALU_DEP_1)
	v_cndmask_b32_e64 v2, 0xffff8000, -1, s0
	v_xor_b32_e32 v2, v2, v5
	flat_store_b16 v[0:1], v2
.LBB2039_345:
	s_wait_xcnt 0x0
	s_or_b32 exec_lo, exec_lo, s1
	v_add_nc_u32_e32 v2, 0x100, v14
	s_set_vgpr_msb 4                        ;  msbs: dst=0 src0=0 src1=1 src2=0
	s_delay_alu instid0(VALU_DEP_1)
	v_cmp_lt_u32_e64 s0, v2, v0 /*v256*/
	s_and_saveexec_b32 s2, s0
	s_set_vgpr_msb 0                        ;  msbs: dst=0 src0=0 src1=0 src2=0
	s_cbranch_execz .LBB2039_347
; %bb.346:
	v_cmp_lt_i16_e64 s1, -1, v4
	s_delay_alu instid0(VALU_DEP_1) | instskip(NEXT) | instid1(VALU_DEP_1)
	v_cndmask_b32_e64 v2, 0xffff8000, -1, s1
	v_xor_b32_e32 v2, v2, v4
	flat_store_b16 v[0:1], v2 offset:512
.LBB2039_347:
	s_wait_xcnt 0x0
	s_or_b32 exec_lo, exec_lo, s2
	v_lshl_add_u64 v[0:1], v[8:9], 3, v[6:7]
	s_delay_alu instid0(VALU_DEP_1)
	v_lshl_add_u64 v[0:1], v[14:15], 3, v[0:1]
	s_and_saveexec_b32 s1, vcc_lo
	s_cbranch_execz .LBB2039_349
; %bb.348:
	flat_store_b64 v[0:1], v[10:11]
.LBB2039_349:
	s_wait_xcnt 0x0
	s_or_b32 exec_lo, exec_lo, s1
	s_and_saveexec_b32 s1, s0
	s_cbranch_execz .LBB2039_351
; %bb.350:
	flat_store_b64 v[0:1], v[12:13] offset:2048
.LBB2039_351:
	s_wait_xcnt 0x0
	s_or_b32 exec_lo, exec_lo, s1
                                        ; implicit-def: $vgpr14
                                        ; implicit-def: $vgpr8_vgpr9
                                        ; implicit-def: $vgpr256
                                        ; implicit-def: $vgpr10
                                        ; implicit-def: $vgpr11
                                        ; implicit-def: $vgpr0_vgpr1
                                        ; implicit-def: $vgpr2_vgpr3
                                        ; implicit-def: $vgpr4_vgpr5
                                        ; implicit-def: $vgpr6_vgpr7
                                        ; implicit-def: $vgpr12_vgpr13
                                        ; implicit-def: $vgpr30
                                        ; implicit-def: $vgpr33
.LBB2039_352:
	s_and_not1_saveexec_b32 s0, s20
	s_cbranch_execz .LBB2039_372
; %bb.353:
	s_delay_alu instid0(VALU_DEP_3) | instskip(NEXT) | instid1(VALU_DEP_1)
	v_and_b32_e32 v16, 0xffffffe0, v14
	v_or_b32_e32 v15, v33, v16
	s_set_vgpr_msb 4                        ;  msbs: dst=0 src0=0 src1=1 src2=0
	s_delay_alu instid0(VALU_DEP_1)
	v_cmp_lt_u32_e32 vcc_lo, v15, v0 /*v256*/
	v_mov_b32_e32 v15, 0x7fff
	s_and_saveexec_b32 s0, vcc_lo
	s_set_vgpr_msb 0                        ;  msbs: dst=0 src0=0 src1=0 src2=0
	s_cbranch_execz .LBB2039_355
; %bb.354:
	v_lshl_add_u64 v[0:1], v[8:9], 1, v[0:1]
	v_dual_mov_b32 v19, 0 :: v_dual_lshlrev_b32 v18, 1, v33
	s_delay_alu instid0(VALU_DEP_1) | instskip(SKIP_1) | instid1(VALU_DEP_1)
	v_add_nc_u64_e32 v[0:1], v[0:1], v[18:19]
	v_mov_b32_e32 v17, v19
	v_lshl_add_u64 v[0:1], v[16:17], 1, v[0:1]
	flat_load_u16 v15, v[0:1]
.LBB2039_355:
	s_wait_xcnt 0x0
	s_or_b32 exec_lo, exec_lo, s0
                                        ; implicit-def: $vgpr18_vgpr19
	s_and_saveexec_b32 s0, vcc_lo
	s_cbranch_execz .LBB2039_357
; %bb.356:
	v_lshl_add_u64 v[0:1], v[8:9], 3, v[4:5]
	v_dual_mov_b32 v5, 0 :: v_dual_lshlrev_b32 v4, 3, v33
	s_delay_alu instid0(VALU_DEP_1) | instskip(SKIP_1) | instid1(VALU_DEP_1)
	v_add_nc_u64_e32 v[0:1], v[0:1], v[4:5]
	v_mov_b32_e32 v17, v5
	v_lshl_add_u64 v[0:1], v[16:17], 3, v[0:1]
	flat_load_b64 v[18:19], v[0:1]
.LBB2039_357:
	s_wait_xcnt 0x0
	s_or_b32 exec_lo, exec_lo, s0
	s_wait_loadcnt_dscnt 0x0
	v_cmp_lt_i16_e32 vcc_lo, -1, v15
	v_lshl_add_u32 v1, v30, 5, v12
	v_sub_co_u32 v16, s2, v33, 1
	v_and_b32_e32 v5, 16, v33
	v_cndmask_b32_e64 v0, -1, 0xffff8000, vcc_lo
	s_delay_alu instid0(VALU_DEP_4) | instskip(SKIP_1) | instid1(VALU_DEP_3)
	v_dual_add_nc_u32 v22, 36, v1 :: v_dual_add_nc_u32 v23, 40, v1
	v_dual_add_nc_u32 v24, 44, v1 :: v_dual_add_nc_u32 v25, 48, v1
	v_dual_add_nc_u32 v15, 32, v1 :: v_dual_bitop2_b32 v39, v0, v15 bitop3:0x14
	v_dual_add_nc_u32 v26, 52, v1 :: v_dual_add_nc_u32 v27, 56, v1
	v_add_nc_u32_e32 v28, 60, v1
	v_and_b32_e32 v1, 0x3e0, v30
	v_dual_lshrrev_b32 v29, 5, v14 :: v_dual_bitop2_b32 v0, 15, v33 bitop3:0x40
	v_cmp_gt_i32_e64 s5, 0, v16
	s_get_pc_i64 s[0:1]
	s_add_nc_u64 s[0:1], s[0:1], _ZN7rocprim17ROCPRIM_400000_NS16block_radix_sortI12hip_bfloat16Lj256ELj1ElLj1ELj1ELj8ELNS0_26block_radix_rank_algorithmE2ELNS0_18block_padding_hintE2ELNS0_4arch9wavefront6targetE0EE19radix_bits_per_passE@rel64+4
	v_min_u32_e32 v4, 0xe0, v1
	s_load_b32 s20, s[0:1], 0x0
	v_cmp_eq_u32_e32 vcc_lo, 0, v0
	s_wait_xcnt 0x0
	v_cmp_lt_u32_e64 s0, 1, v0
	v_cmp_lt_u32_e64 s1, 3, v0
	;; [unrolled: 1-line block ×3, first 2 shown]
	v_dual_lshrrev_b32 v4, 3, v30 :: v_dual_bitop2_b32 v0, 31, v4 bitop3:0x54
	v_cmp_eq_u32_e64 s4, 0, v5
	v_cndmask_b32_e64 v5, v16, v33, s5
	v_cmp_gt_u32_e64 s6, 8, v30
	s_delay_alu instid0(VALU_DEP_4) | instskip(SKIP_4) | instid1(VALU_DEP_4)
	v_cmp_eq_u32_e64 s5, v30, v0
	v_and_b32_e32 v0, 0x7c, v4
	v_and_b32_e32 v4, 7, v33
	v_lshlrev_b32_e32 v31, 2, v5
	v_dual_mov_b32 v1, 0 :: v_dual_bitop2_b32 v5, v33, v1 bitop3:0x54
	v_add_nc_u32_e32 v32, v12, v0
	s_delay_alu instid0(VALU_DEP_4) | instskip(SKIP_1) | instid1(VALU_DEP_4)
	v_cmp_eq_u32_e64 s9, 0, v4
	v_cmp_lt_u32_e64 s10, 1, v4
	v_lshl_add_u32 v34, v5, 1, v12
	v_mul_u32_u24_e32 v0, 6, v5
	v_cmp_lt_u32_e64 s11, 3, v4
	v_mov_b64_e32 v[4:5], 0
	v_cmp_lt_u32_e64 s7, 31, v30
	v_cmp_eq_u32_e64 s8, 0, v30
	v_lshl_add_u32 v33, v30, 2, v12
	v_dual_add_nc_u32 v35, -4, v32 :: v_dual_sub_nc_u32 v37, v11, v10
	v_add_nc_u32_e32 v36, v34, v0
	s_mov_b32 s21, 0
	s_wait_storecnt 0x0
	s_barrier_signal -1
	s_barrier_wait -1
	s_branch .LBB2039_359
.LBB2039_358:                           ;   in Loop: Header=BB2039_359 Depth=1
	s_or_b32 exec_lo, exec_lo, s13
	s_delay_alu instid0(SALU_CYCLE_1) | instskip(NEXT) | instid1(SALU_CYCLE_1)
	s_and_b32 s12, exec_lo, s14
	s_or_b32 s21, s12, s21
	s_delay_alu instid0(SALU_CYCLE_1)
	s_and_not1_b32 exec_lo, exec_lo, s21
	s_cbranch_execz .LBB2039_369
.LBB2039_359:                           ; =>This Inner Loop Header: Depth=1
	v_mov_b32_e32 v38, v39
	s_wait_kmcnt 0x0
	v_min_u32_e32 v16, s20, v37
	ds_store_b64 v15, v[4:5]
	ds_store_b64 v23, v[4:5]
	;; [unrolled: 1-line block ×4, first 2 shown]
	s_wait_dscnt 0x0
	v_cmp_ne_u16_e64 s12, 0x7fff, v38
	v_lshlrev_b32_e64 v16, v16, -1
	s_barrier_signal -1
	s_barrier_wait -1
	s_delay_alu instid0(VALU_DEP_2) | instskip(NEXT) | instid1(VALU_DEP_1)
	v_cndmask_b32_e64 v0, 0xffff8000, v38, s12
	; wave barrier
	v_and_b32_e32 v0, 0xffff, v0
	s_delay_alu instid0(VALU_DEP_1) | instskip(NEXT) | instid1(VALU_DEP_1)
	v_lshrrev_b32_e32 v0, v10, v0
	v_bitop3_b32 v17, v0, 1, v16 bitop3:0x40
	v_bitop3_b32 v0, v0, v16, v0 bitop3:0x30
	s_delay_alu instid0(VALU_DEP_2) | instskip(NEXT) | instid1(VALU_DEP_1)
	v_add_co_u32 v16, s12, v17, -1
	v_cndmask_b32_e64 v17, 0, 1, s12
	s_delay_alu instid0(VALU_DEP_3) | instskip(SKIP_1) | instid1(VALU_DEP_3)
	v_dual_lshlrev_b32 v20, 30, v0 :: v_dual_lshlrev_b32 v21, 29, v0
	v_dual_lshlrev_b32 v39, 28, v0 :: v_dual_lshlrev_b32 v48, 27, v0
	v_cmp_ne_u32_e64 s12, 0, v17
	s_delay_alu instid0(VALU_DEP_3)
	v_not_b32_e32 v17, v20
	v_dual_lshlrev_b32 v49, 26, v0 :: v_dual_lshlrev_b32 v50, 25, v0
	v_lshlrev_b32_e32 v51, 24, v0
	v_cmp_gt_i32_e64 s13, 0, v20
	v_cmp_gt_i32_e64 s14, 0, v21
	v_not_b32_e32 v20, v21
	v_not_b32_e32 v21, v39
	v_ashrrev_i32_e32 v17, 31, v17
	v_cmp_gt_i32_e64 s15, 0, v39
	v_cmp_gt_i32_e64 s16, 0, v48
	v_not_b32_e32 v39, v48
	v_not_b32_e32 v48, v49
	v_dual_ashrrev_i32 v21, 31, v21 :: v_dual_bitop2_b32 v16, s12, v16 bitop3:0x14
	v_dual_ashrrev_i32 v20, 31, v20 :: v_dual_bitop2_b32 v17, s13, v17 bitop3:0x14
	v_cmp_gt_i32_e64 s17, 0, v49
	v_cmp_gt_i32_e64 s18, 0, v50
	v_not_b32_e32 v49, v50
	v_not_b32_e32 v50, v51
	v_dual_ashrrev_i32 v39, 31, v39 :: v_dual_ashrrev_i32 v48, 31, v48
	v_xor_b32_e32 v20, s14, v20
	v_xor_b32_e32 v21, s15, v21
	v_bitop3_b32 v16, v16, v17, exec_lo bitop3:0x80
	v_cmp_gt_i32_e64 s19, 0, v51
	v_dual_ashrrev_i32 v17, 31, v49 :: v_dual_ashrrev_i32 v49, 31, v50
	v_dual_lshlrev_b32 v0, 3, v0 :: v_dual_bitop2_b32 v39, s16, v39 bitop3:0x14
	v_xor_b32_e32 v48, s17, v48
	v_bitop3_b32 v16, v16, v21, v20 bitop3:0x80
	s_delay_alu instid0(VALU_DEP_4) | instskip(SKIP_2) | instid1(VALU_DEP_4)
	v_xor_b32_e32 v17, s18, v17
	v_xor_b32_e32 v20, s19, v49
	v_add_lshl_u32 v0, v0, v29, 2
	v_bitop3_b32 v16, v16, v48, v39 bitop3:0x80
	s_delay_alu instid0(VALU_DEP_1) | instskip(SKIP_1) | instid1(VALU_DEP_4)
	v_bitop3_b32 v20, v16, v20, v17 bitop3:0x80
	v_mov_b64_e32 v[16:17], v[18:19]
	v_add_nc_u64_e32 v[18:19], v[12:13], v[0:1]
	s_delay_alu instid0(VALU_DEP_3) | instskip(SKIP_1) | instid1(VALU_DEP_3)
	v_mbcnt_lo_u32_b32 v0, v20, 0
	v_cmp_ne_u32_e64 s13, 0, v20
	v_add_nc_u64_e32 v[18:19], 32, v[18:19]
	s_delay_alu instid0(VALU_DEP_3) | instskip(SKIP_1) | instid1(SALU_CYCLE_1)
	v_cmp_eq_u32_e64 s12, 0, v0
	s_and_b32 s13, s13, s12
	s_and_saveexec_b32 s12, s13
; %bb.360:                              ;   in Loop: Header=BB2039_359 Depth=1
	v_bcnt_u32_b32 v19, v20, 0
	ds_store_b32 v18, v19
; %bb.361:                              ;   in Loop: Header=BB2039_359 Depth=1
	s_or_b32 exec_lo, exec_lo, s12
	; wave barrier
	s_wait_dscnt 0x0
	s_barrier_signal -1
	s_barrier_wait -1
	ds_load_b32 v20, v15
	ds_load_b32 v21, v22
	;; [unrolled: 1-line block ×8, first 2 shown]
	s_wait_dscnt 0x6
	v_add_nc_u32_e32 v52, v21, v20
	s_wait_dscnt 0x4
	s_delay_alu instid0(VALU_DEP_1) | instskip(SKIP_1) | instid1(VALU_DEP_1)
	v_add3_u32 v52, v52, v39, v48
	s_wait_dscnt 0x2
	v_add3_u32 v52, v52, v49, v50
	s_wait_dscnt 0x0
	s_delay_alu instid0(VALU_DEP_1) | instskip(NEXT) | instid1(VALU_DEP_1)
	v_add3_u32 v51, v52, v19, v51
	v_mov_b32_dpp v52, v51 row_shr:1 row_mask:0xf bank_mask:0xf
	s_delay_alu instid0(VALU_DEP_1) | instskip(NEXT) | instid1(VALU_DEP_1)
	v_cndmask_b32_e64 v52, v52, 0, vcc_lo
	v_add_nc_u32_e32 v51, v52, v51
	s_delay_alu instid0(VALU_DEP_1) | instskip(NEXT) | instid1(VALU_DEP_1)
	v_mov_b32_dpp v52, v51 row_shr:2 row_mask:0xf bank_mask:0xf
	v_cndmask_b32_e64 v52, 0, v52, s0
	s_delay_alu instid0(VALU_DEP_1) | instskip(NEXT) | instid1(VALU_DEP_1)
	v_add_nc_u32_e32 v51, v51, v52
	v_mov_b32_dpp v52, v51 row_shr:4 row_mask:0xf bank_mask:0xf
	s_delay_alu instid0(VALU_DEP_1) | instskip(NEXT) | instid1(VALU_DEP_1)
	v_cndmask_b32_e64 v52, 0, v52, s1
	v_add_nc_u32_e32 v51, v51, v52
	s_delay_alu instid0(VALU_DEP_1) | instskip(NEXT) | instid1(VALU_DEP_1)
	v_mov_b32_dpp v52, v51 row_shr:8 row_mask:0xf bank_mask:0xf
	v_cndmask_b32_e64 v52, 0, v52, s3
	s_delay_alu instid0(VALU_DEP_1) | instskip(SKIP_3) | instid1(VALU_DEP_1)
	v_add_nc_u32_e32 v51, v51, v52
	ds_swizzle_b32 v52, v51 offset:swizzle(BROADCAST,32,15)
	s_wait_dscnt 0x0
	v_cndmask_b32_e64 v52, v52, 0, s4
	v_add_nc_u32_e32 v51, v51, v52
	s_and_saveexec_b32 s12, s5
; %bb.362:                              ;   in Loop: Header=BB2039_359 Depth=1
	ds_store_b32 v32, v51
; %bb.363:                              ;   in Loop: Header=BB2039_359 Depth=1
	s_or_b32 exec_lo, exec_lo, s12
	s_wait_dscnt 0x0
	s_barrier_signal -1
	s_barrier_wait -1
	s_and_saveexec_b32 s12, s6
	s_cbranch_execz .LBB2039_365
; %bb.364:                              ;   in Loop: Header=BB2039_359 Depth=1
	ds_load_b32 v52, v33
	s_wait_dscnt 0x0
	v_mov_b32_dpp v53, v52 row_shr:1 row_mask:0xf bank_mask:0xf
	s_delay_alu instid0(VALU_DEP_1) | instskip(NEXT) | instid1(VALU_DEP_1)
	v_cndmask_b32_e64 v53, v53, 0, s9
	v_add_nc_u32_e32 v52, v53, v52
	s_delay_alu instid0(VALU_DEP_1) | instskip(NEXT) | instid1(VALU_DEP_1)
	v_mov_b32_dpp v53, v52 row_shr:2 row_mask:0xf bank_mask:0xf
	v_cndmask_b32_e64 v53, 0, v53, s10
	s_delay_alu instid0(VALU_DEP_1) | instskip(NEXT) | instid1(VALU_DEP_1)
	v_add_nc_u32_e32 v52, v52, v53
	v_mov_b32_dpp v53, v52 row_shr:4 row_mask:0xf bank_mask:0xf
	s_delay_alu instid0(VALU_DEP_1) | instskip(NEXT) | instid1(VALU_DEP_1)
	v_cndmask_b32_e64 v53, 0, v53, s11
	v_add_nc_u32_e32 v52, v52, v53
	ds_store_b32 v33, v52
.LBB2039_365:                           ;   in Loop: Header=BB2039_359 Depth=1
	s_or_b32 exec_lo, exec_lo, s12
	v_mov_b32_e32 v52, 0
	s_wait_dscnt 0x0
	s_barrier_signal -1
	s_barrier_wait -1
	s_and_saveexec_b32 s12, s7
; %bb.366:                              ;   in Loop: Header=BB2039_359 Depth=1
	ds_load_b32 v52, v35
; %bb.367:                              ;   in Loop: Header=BB2039_359 Depth=1
	s_or_b32 exec_lo, exec_lo, s12
	s_wait_dscnt 0x0
	v_dual_add_nc_u32 v51, v52, v51 :: v_dual_add_nc_u32 v10, 8, v10
	s_mov_b32 s14, -1
	s_mov_b32 s13, exec_lo
	ds_bpermute_b32 v51, v31, v51
	s_wait_dscnt 0x0
	v_cndmask_b32_e64 v51, v51, v52, s2
	s_delay_alu instid0(VALU_DEP_1) | instskip(NEXT) | instid1(VALU_DEP_1)
	v_cndmask_b32_e64 v51, v51, 0, s8
	v_add_nc_u32_e32 v20, v51, v20
	s_delay_alu instid0(VALU_DEP_1) | instskip(NEXT) | instid1(VALU_DEP_1)
	v_add_nc_u32_e32 v21, v20, v21
	v_add_nc_u32_e32 v39, v21, v39
	ds_store_b32 v15, v51
	ds_store_b32 v22, v20
	;; [unrolled: 1-line block ×3, first 2 shown]
	v_add_nc_u32_e32 v48, v39, v48
	s_delay_alu instid0(VALU_DEP_1) | instskip(NEXT) | instid1(VALU_DEP_1)
	v_add_nc_u32_e32 v49, v48, v49
	v_add_nc_u32_e32 v50, v49, v50
	s_delay_alu instid0(VALU_DEP_1)
	v_add_nc_u32_e32 v19, v50, v19
	ds_store_b32 v24, v39
	ds_store_b32 v25, v48
	;; [unrolled: 1-line block ×5, first 2 shown]
	s_wait_dscnt 0x0
	s_barrier_signal -1
	s_barrier_wait -1
	ds_load_b32 v18, v18
	s_wait_dscnt 0x0
                                        ; implicit-def: $vgpr39
	v_add_nc_u32_e32 v0, v18, v0
                                        ; implicit-def: $vgpr18_vgpr19
	s_delay_alu instid0(VALU_DEP_1)
	v_lshl_add_u64 v[20:21], v[0:1], 1, v[12:13]
	v_cmpx_lt_u32_e64 v10, v11
	s_cbranch_execz .LBB2039_358
; %bb.368:                              ;   in Loop: Header=BB2039_359 Depth=1
	s_delay_alu instid0(VALU_DEP_2)
	v_mad_nc_u64_u32 v[18:19], v0, 6, v[20:21]
	s_barrier_signal -1
	s_barrier_wait -1
	ds_store_b16 v20, v38
	s_wait_dscnt 0x0
	s_barrier_signal -1
	s_barrier_wait -1
	ds_load_u16 v39, v34
	s_wait_dscnt 0x0
	s_barrier_signal -1
	s_barrier_wait -1
	ds_store_b64 v18, v[16:17]
	s_wait_dscnt 0x0
	s_barrier_signal -1
	s_barrier_wait -1
	ds_load_b64 v[18:19], v36
	v_add_nc_u32_e32 v37, -8, v37
	s_xor_b32 s14, exec_lo, -1
	s_wait_dscnt 0x0
	s_barrier_signal -1
	s_barrier_wait -1
	s_branch .LBB2039_358
.LBB2039_369:
	s_or_b32 exec_lo, exec_lo, s21
	v_mad_nc_u64_u32 v[0:1], v0, 6, v[20:21]
	v_lshl_add_u32 v5, v30, 1, v12
	v_mul_u32_u24_e32 v1, 6, v30
	s_barrier_signal -1
	s_barrier_wait -1
	ds_store_b16 v20, v38
	s_wait_dscnt 0x0
	s_barrier_signal -1
	s_barrier_wait -1
	ds_load_u16 v4, v5
	s_wait_dscnt 0x0
	s_barrier_signal -1
	s_barrier_wait -1
	ds_store_b64 v0, v[16:17]
	v_add_nc_u32_e32 v0, v5, v1
	s_wait_dscnt 0x0
	s_barrier_signal -1
	s_barrier_wait -1
	ds_load_b64 v[0:1], v0
	s_mov_b32 s0, exec_lo
	s_wait_dscnt 0x0
	s_barrier_signal -1
	s_barrier_wait -1
	s_set_vgpr_msb 4                        ;  msbs: dst=0 src0=0 src1=1 src2=0
	v_cmpx_lt_u32_e64 v14, v0 /*v256*/
	s_set_vgpr_msb 0                        ;  msbs: dst=0 src0=0 src1=0 src2=0
	s_cbranch_execz .LBB2039_371
; %bb.370:
	v_cmp_lt_i16_e32 vcc_lo, -1, v4
	v_lshl_add_u64 v[2:3], v[8:9], 1, v[2:3]
	v_lshl_add_u64 v[6:7], v[8:9], 3, v[6:7]
	v_cndmask_b32_e64 v5, 0xffff8000, -1, vcc_lo
	s_delay_alu instid0(VALU_DEP_1) | instskip(NEXT) | instid1(VALU_DEP_1)
	v_dual_mov_b32 v15, 0 :: v_dual_bitop2_b32 v8, v5, v4 bitop3:0x14
	v_lshl_add_u64 v[2:3], v[14:15], 1, v[2:3]
	s_delay_alu instid0(VALU_DEP_4)
	v_lshl_add_u64 v[4:5], v[14:15], 3, v[6:7]
	flat_store_b16 v[2:3], v8
	flat_store_b64 v[4:5], v[0:1]
.LBB2039_371:
	s_wait_xcnt 0x0
	s_or_b32 exec_lo, exec_lo, s0
.LBB2039_372:
	s_delay_alu instid0(SALU_CYCLE_1)
	s_or_b32 exec_lo, exec_lo, s22
	s_wait_dscnt 0x0
	s_set_pc_i64 s[30:31]
.Lfunc_end2039:
	.size	_ZN7rocprim17ROCPRIM_400000_NS6detail40segmented_radix_sort_single_block_helperI12hip_bfloat16lLj256ELj16ELb0EE4sortIPKS3_PS3_PKlPlEEbT_T0_T1_T2_jjjjRNS4_12storage_typeE, .Lfunc_end2039-_ZN7rocprim17ROCPRIM_400000_NS6detail40segmented_radix_sort_single_block_helperI12hip_bfloat16lLj256ELj16ELb0EE4sortIPKS3_PS3_PKlPlEEbT_T0_T1_T2_jjjjRNS4_12storage_typeE
                                        ; -- End function
	.set .L_ZN7rocprim17ROCPRIM_400000_NS6detail40segmented_radix_sort_single_block_helperI12hip_bfloat16lLj256ELj16ELb0EE4sortIPKS3_PS3_PKlPlEEbT_T0_T1_T2_jjjjRNS4_12storage_typeE.num_vgpr, 304
	.set .L_ZN7rocprim17ROCPRIM_400000_NS6detail40segmented_radix_sort_single_block_helperI12hip_bfloat16lLj256ELj16ELb0EE4sortIPKS3_PS3_PKlPlEEbT_T0_T1_T2_jjjjRNS4_12storage_typeE.num_agpr, 0
	.set .L_ZN7rocprim17ROCPRIM_400000_NS6detail40segmented_radix_sort_single_block_helperI12hip_bfloat16lLj256ELj16ELb0EE4sortIPKS3_PS3_PKlPlEEbT_T0_T1_T2_jjjjRNS4_12storage_typeE.numbered_sgpr, 32
	.set .L_ZN7rocprim17ROCPRIM_400000_NS6detail40segmented_radix_sort_single_block_helperI12hip_bfloat16lLj256ELj16ELb0EE4sortIPKS3_PS3_PKlPlEEbT_T0_T1_T2_jjjjRNS4_12storage_typeE.num_named_barrier, 0
	.set .L_ZN7rocprim17ROCPRIM_400000_NS6detail40segmented_radix_sort_single_block_helperI12hip_bfloat16lLj256ELj16ELb0EE4sortIPKS3_PS3_PKlPlEEbT_T0_T1_T2_jjjjRNS4_12storage_typeE.private_seg_size, 0
	.set .L_ZN7rocprim17ROCPRIM_400000_NS6detail40segmented_radix_sort_single_block_helperI12hip_bfloat16lLj256ELj16ELb0EE4sortIPKS3_PS3_PKlPlEEbT_T0_T1_T2_jjjjRNS4_12storage_typeE.uses_vcc, 1
	.set .L_ZN7rocprim17ROCPRIM_400000_NS6detail40segmented_radix_sort_single_block_helperI12hip_bfloat16lLj256ELj16ELb0EE4sortIPKS3_PS3_PKlPlEEbT_T0_T1_T2_jjjjRNS4_12storage_typeE.uses_flat_scratch, 0
	.set .L_ZN7rocprim17ROCPRIM_400000_NS6detail40segmented_radix_sort_single_block_helperI12hip_bfloat16lLj256ELj16ELb0EE4sortIPKS3_PS3_PKlPlEEbT_T0_T1_T2_jjjjRNS4_12storage_typeE.has_dyn_sized_stack, 0
	.set .L_ZN7rocprim17ROCPRIM_400000_NS6detail40segmented_radix_sort_single_block_helperI12hip_bfloat16lLj256ELj16ELb0EE4sortIPKS3_PS3_PKlPlEEbT_T0_T1_T2_jjjjRNS4_12storage_typeE.has_recursion, 0
	.set .L_ZN7rocprim17ROCPRIM_400000_NS6detail40segmented_radix_sort_single_block_helperI12hip_bfloat16lLj256ELj16ELb0EE4sortIPKS3_PS3_PKlPlEEbT_T0_T1_T2_jjjjRNS4_12storage_typeE.has_indirect_call, 0
	.section	.AMDGPU.csdata,"",@progbits
; Function info:
; codeLenInByte = 32768
; TotalNumSgprs: 34
; NumVgprs: 304
; ScratchSize: 0
; MemoryBound: 1
	.section	.text._ZN7rocprim17ROCPRIM_400000_NS6detail17trampoline_kernelINS0_14default_configENS1_36segmented_radix_sort_config_selectorI12hip_bfloat16lEEZNS1_25segmented_radix_sort_implIS3_Lb0EPKS5_PS5_PKlPlN2at6native12_GLOBAL__N_18offset_tEEE10hipError_tPvRmT1_PNSt15iterator_traitsISL_E10value_typeET2_T3_PNSM_ISR_E10value_typeET4_jRbjT5_SX_jjP12ihipStream_tbEUlT_E_NS1_11comp_targetILNS1_3genE0ELNS1_11target_archE4294967295ELNS1_3gpuE0ELNS1_3repE0EEENS1_30default_config_static_selectorELNS0_4arch9wavefront6targetE0EEEvSL_,"axG",@progbits,_ZN7rocprim17ROCPRIM_400000_NS6detail17trampoline_kernelINS0_14default_configENS1_36segmented_radix_sort_config_selectorI12hip_bfloat16lEEZNS1_25segmented_radix_sort_implIS3_Lb0EPKS5_PS5_PKlPlN2at6native12_GLOBAL__N_18offset_tEEE10hipError_tPvRmT1_PNSt15iterator_traitsISL_E10value_typeET2_T3_PNSM_ISR_E10value_typeET4_jRbjT5_SX_jjP12ihipStream_tbEUlT_E_NS1_11comp_targetILNS1_3genE0ELNS1_11target_archE4294967295ELNS1_3gpuE0ELNS1_3repE0EEENS1_30default_config_static_selectorELNS0_4arch9wavefront6targetE0EEEvSL_,comdat
	.globl	_ZN7rocprim17ROCPRIM_400000_NS6detail17trampoline_kernelINS0_14default_configENS1_36segmented_radix_sort_config_selectorI12hip_bfloat16lEEZNS1_25segmented_radix_sort_implIS3_Lb0EPKS5_PS5_PKlPlN2at6native12_GLOBAL__N_18offset_tEEE10hipError_tPvRmT1_PNSt15iterator_traitsISL_E10value_typeET2_T3_PNSM_ISR_E10value_typeET4_jRbjT5_SX_jjP12ihipStream_tbEUlT_E_NS1_11comp_targetILNS1_3genE0ELNS1_11target_archE4294967295ELNS1_3gpuE0ELNS1_3repE0EEENS1_30default_config_static_selectorELNS0_4arch9wavefront6targetE0EEEvSL_ ; -- Begin function _ZN7rocprim17ROCPRIM_400000_NS6detail17trampoline_kernelINS0_14default_configENS1_36segmented_radix_sort_config_selectorI12hip_bfloat16lEEZNS1_25segmented_radix_sort_implIS3_Lb0EPKS5_PS5_PKlPlN2at6native12_GLOBAL__N_18offset_tEEE10hipError_tPvRmT1_PNSt15iterator_traitsISL_E10value_typeET2_T3_PNSM_ISR_E10value_typeET4_jRbjT5_SX_jjP12ihipStream_tbEUlT_E_NS1_11comp_targetILNS1_3genE0ELNS1_11target_archE4294967295ELNS1_3gpuE0ELNS1_3repE0EEENS1_30default_config_static_selectorELNS0_4arch9wavefront6targetE0EEEvSL_
	.p2align	8
	.type	_ZN7rocprim17ROCPRIM_400000_NS6detail17trampoline_kernelINS0_14default_configENS1_36segmented_radix_sort_config_selectorI12hip_bfloat16lEEZNS1_25segmented_radix_sort_implIS3_Lb0EPKS5_PS5_PKlPlN2at6native12_GLOBAL__N_18offset_tEEE10hipError_tPvRmT1_PNSt15iterator_traitsISL_E10value_typeET2_T3_PNSM_ISR_E10value_typeET4_jRbjT5_SX_jjP12ihipStream_tbEUlT_E_NS1_11comp_targetILNS1_3genE0ELNS1_11target_archE4294967295ELNS1_3gpuE0ELNS1_3repE0EEENS1_30default_config_static_selectorELNS0_4arch9wavefront6targetE0EEEvSL_,@function
_ZN7rocprim17ROCPRIM_400000_NS6detail17trampoline_kernelINS0_14default_configENS1_36segmented_radix_sort_config_selectorI12hip_bfloat16lEEZNS1_25segmented_radix_sort_implIS3_Lb0EPKS5_PS5_PKlPlN2at6native12_GLOBAL__N_18offset_tEEE10hipError_tPvRmT1_PNSt15iterator_traitsISL_E10value_typeET2_T3_PNSM_ISR_E10value_typeET4_jRbjT5_SX_jjP12ihipStream_tbEUlT_E_NS1_11comp_targetILNS1_3genE0ELNS1_11target_archE4294967295ELNS1_3gpuE0ELNS1_3repE0EEENS1_30default_config_static_selectorELNS0_4arch9wavefront6targetE0EEEvSL_: ; @_ZN7rocprim17ROCPRIM_400000_NS6detail17trampoline_kernelINS0_14default_configENS1_36segmented_radix_sort_config_selectorI12hip_bfloat16lEEZNS1_25segmented_radix_sort_implIS3_Lb0EPKS5_PS5_PKlPlN2at6native12_GLOBAL__N_18offset_tEEE10hipError_tPvRmT1_PNSt15iterator_traitsISL_E10value_typeET2_T3_PNSM_ISR_E10value_typeET4_jRbjT5_SX_jjP12ihipStream_tbEUlT_E_NS1_11comp_targetILNS1_3genE0ELNS1_11target_archE4294967295ELNS1_3gpuE0ELNS1_3repE0EEENS1_30default_config_static_selectorELNS0_4arch9wavefront6targetE0EEEvSL_
; %bb.0:
	s_load_b64 s[8:9], s[2:3], 0x38
	s_bfe_u32 s4, ttmp6, 0x4000c
	s_and_b32 s5, ttmp6, 15
	s_add_co_i32 s4, s4, 1
	s_getreg_b32 s27, hwreg(HW_REG_IB_STS2, 6, 4)
	s_mul_i32 s4, ttmp9, s4
	s_mov_b32 s32, 0
	s_add_co_i32 s5, s5, s4
	s_cmp_eq_u32 s27, 0
	s_cselect_b32 s33, ttmp9, s5
	s_load_b128 s[4:7], s[2:3], 0x40
	s_wait_kmcnt 0x0
	s_load_b32 s10, s[8:9], s33 offset:0x0 scale_offset
	s_wait_kmcnt 0x0
	s_add_co_i32 s51, s10, s7
	s_add_co_i32 s54, s10, s5
	s_mul_i32 s51, s51, s6
	s_mul_i32 s54, s54, s4
	s_delay_alu instid0(SALU_CYCLE_1)
	s_cmp_le_u32 s51, s54
	s_cbranch_scc1 .LBB2040_1182
; %bb.1:
	s_clause 0x3
	s_load_b32 s4, s[2:3], 0x30
	s_load_b128 s[44:47], s[2:3], 0x20
	s_load_b96 s[48:50], s[2:3], 0x50
	s_load_b256 s[36:43], s[2:3], 0x0
	s_wait_kmcnt 0x0
	s_bitcmp1_b32 s4, 0
	s_mov_b32 s4, -1
	s_cselect_b32 s55, -1, 0
	s_sub_co_i32 s56, s51, s54
	s_delay_alu instid0(SALU_CYCLE_1)
	s_cmp_lt_u32 s56, 0x1001
	s_cbranch_scc0 .LBB2040_7
; %bb.2:
	v_cndmask_b32_e64 v1, 0, 1, s55
	s_and_b32 s4, s48, 1
	s_get_pc_i64 s[28:29]
	s_add_nc_u64 s[28:29], s[28:29], _ZN7rocprim17ROCPRIM_400000_NS6detail40segmented_radix_sort_single_block_helperI12hip_bfloat16lLj256ELj16ELb0EE4sortIPKS3_PS3_PKlPlEEbT_T0_T1_T2_jjjjRNS4_12storage_typeE@rel64+4
	s_delay_alu instid0(VALU_DEP_1)
	v_cmp_ne_u32_e32 vcc_lo, s4, v1
	s_mov_b32 s4, -1
	s_cbranch_vccnz .LBB2040_4
; %bb.3:
	s_mov_b64 s[4:5], src_shared_base
	v_dual_mov_b32 v31, v0 :: v_dual_mov_b32 v40, v0
	v_dual_mov_b32 v0, s36 :: v_dual_mov_b32 v1, s37
	;; [unrolled: 1-line block ×8, first 2 shown]
	s_add_nc_u64 s[8:9], s[2:3], 0x60
	s_mov_b64 s[6:7], s[0:1]
	s_mov_b64 s[34:35], s[2:3]
	;; [unrolled: 1-line block ×3, first 2 shown]
	s_swap_pc_i64 s[30:31], s[28:29]
	v_mov_b32_e32 v0, v40
	s_mov_b64 s[0:1], s[52:53]
	s_mov_b64 s[2:3], s[34:35]
	s_mov_b32 s4, 0
.LBB2040_4:
	s_delay_alu instid0(SALU_CYCLE_1)
	s_and_not1_b32 vcc_lo, exec_lo, s4
	s_cbranch_vccnz .LBB2040_6
; %bb.5:
	s_mov_b64 s[4:5], src_shared_base
	v_dual_mov_b32 v31, v0 :: v_dual_mov_b32 v40, v0
	v_dual_mov_b32 v0, s36 :: v_dual_mov_b32 v1, s37
	;; [unrolled: 1-line block ×8, first 2 shown]
	s_add_nc_u64 s[8:9], s[2:3], 0x60
	s_mov_b64 s[6:7], s[0:1]
	s_mov_b64 s[34:35], s[2:3]
	s_swap_pc_i64 s[30:31], s[28:29]
	v_mov_b32_e32 v0, v40
	s_mov_b64 s[2:3], s[34:35]
.LBB2040_6:
	s_mov_b32 s4, 0
.LBB2040_7:
	s_delay_alu instid0(SALU_CYCLE_1)
	s_and_not1_b32 vcc_lo, exec_lo, s4
	s_cbranch_vccnz .LBB2040_1182
; %bb.8:
	s_cmp_ge_u32 s49, s50
	s_cbranch_scc1 .LBB2040_1182
; %bb.9:
	v_and_b32_e32 v2, 0x3ff, v0
	v_dual_mov_b32 v5, 0 :: v_dual_bitop2_b32 v1, 3, v0 bitop3:0x40
	v_lshrrev_b32_e32 v8, 3, v0
	v_bfe_u32 v89, v0, 20, 10
	s_delay_alu instid0(VALU_DEP_4) | instskip(NEXT) | instid1(VALU_DEP_4)
	v_dual_lshlrev_b32 v3, 2, v2 :: v_dual_lshlrev_b32 v4, 1, v2
	v_dual_lshlrev_b32 v83, 2, v1 :: v_dual_bitop2_b32 v1, 31, v2 bitop3:0x54
	s_delay_alu instid0(VALU_DEP_4) | instskip(NEXT) | instid1(VALU_DEP_3)
	v_dual_lshlrev_b32 v8, 4, v2 :: v_dual_bitop2_b32 v84, 28, v8 bitop3:0x40
	v_mad_u32_u24 v85, v2, 12, v3
	v_bfe_u32 v90, v0, 10, 10
	v_lshlrev_b32_e32 v0, 5, v2
	v_mbcnt_lo_u32_b32 v95, -1, 0
	v_and_b32_e32 v22, 0xe00, v8
	v_mad_u32_u24 v91, v2, 20, v85
	v_dual_mov_b32 v19, v5 :: v_dual_add_nc_u32 v88, 0x83fc, v84
	s_delay_alu instid0(VALU_DEP_3)
	v_dual_mov_b32 v21, v5 :: v_dual_lshlrev_b32 v18, 3, v22
	v_lshlrev_b32_e32 v20, 1, v22
	s_bfe_u32 s6, ttmp6, 0x40010
	v_sub_nc_u32_e32 v92, v91, v0
	v_dual_lshlrev_b32 v22, 1, v95 :: v_dual_bitop2_b32 v100, v95, v22 bitop3:0x54
	s_add_co_i32 s6, s6, 1
	v_add_nc_u64_e32 v[6:7], s[40:41], v[4:5]
	v_cmp_eq_u32_e64 s1, v2, v1
	s_mul_i32 s6, ttmp7, s6
	s_bfe_u32 s7, ttmp6, 0x40004
	v_add_nc_u64_e32 v[0:1], s[46:47], v[18:19]
	v_add_nc_u64_e32 v[8:9], s[40:41], v[20:21]
	;; [unrolled: 1-line block ×8, first 2 shown]
	v_or_b32_e32 v68, 0x100, v2
	v_or_b32_e32 v69, 0x200, v2
	;; [unrolled: 1-line block ×15, first 2 shown]
	v_cmp_gt_u32_e64 s0, 0x100, v2
	v_or_b32_e32 v86, 0x8400, v84
	v_cmp_gt_u32_e64 s4, 8, v2
	v_dual_mov_b32 v96, 1 :: v_dual_add_nc_u32 v87, 0x8400, v3
	v_cmp_lt_u32_e64 s5, 31, v2
	s_add_nc_u64 s[34:35], s[2:3], 0x60
	s_add_co_i32 s7, s7, s6
	v_cmp_eq_u32_e64 s2, 0, v2
	v_cmp_ne_u32_e64 s3, 0xff, v2
	v_dual_sub_nc_u32 v93, v92, v4 :: v_dual_bitop2_b32 v97, 15, v95 bitop3:0x40
	v_mul_u32_u24_e32 v94, 6, v2
	v_bfe_i32 v98, v95, 4, 1
	v_dual_lshlrev_b32 v4, 3, v95 :: v_dual_bitop2_b32 v99, 16, v95 bitop3:0x40
	v_and_b32_e32 v101, 7, v95
	v_sub_co_u32 v102, s6, v95, 1
	v_or_b32_e32 v103, 32, v100
	v_or_b32_e32 v104, 64, v100
	;; [unrolled: 1-line block ×15, first 2 shown]
	v_add_nc_u32_e32 v118, 0x420, v91
	v_add_nc_u32_e32 v119, 0x428, v91
	;; [unrolled: 1-line block ×4, first 2 shown]
	s_cmp_eq_u32 s27, 0
	s_mov_b32 s43, 0
	s_cselect_b32 s31, ttmp7, s7
	s_mov_b32 s48, s49
	s_branch .LBB2040_12
.LBB2040_10:                            ;   in Loop: Header=BB2040_12 Depth=1
	s_wait_dscnt 0x0
	s_barrier_signal -1
	s_barrier_wait -1
.LBB2040_11:                            ;   in Loop: Header=BB2040_12 Depth=1
	s_add_co_i32 s48, s48, 8
	s_delay_alu instid0(SALU_CYCLE_1)
	s_cmp_ge_u32 s48, s50
	s_cbranch_scc1 .LBB2040_1182
.LBB2040_12:                            ; =>This Loop Header: Depth=1
                                        ;     Child Loop BB2040_16 Depth 2
                                        ;     Child Loop BB2040_96 Depth 2
	;; [unrolled: 1-line block ×8, first 2 shown]
	s_sub_co_i32 s7, s50, s48
	s_xor_b32 s55, s55, -1
	s_min_u32 s7, s7, 8
	ds_store_2addr_stride64_b32 v3, v5, v5 offset1:4
	s_lshl_b32 s7, -1, s7
	ds_store_2addr_stride64_b32 v3, v5, v5 offset0:8 offset1:12
	s_not_b32 s52, s7
	s_cmp_lg_u32 s48, s49
	s_mov_b32 s7, -1
	s_wait_storecnt_dscnt 0x0
	s_cbranch_scc0 .LBB2040_598
; %bb.13:                               ;   in Loop: Header=BB2040_12 Depth=1
	s_and_b32 vcc_lo, exec_lo, s55
	s_cbranch_vccz .LBB2040_305
; %bb.14:                               ;   in Loop: Header=BB2040_12 Depth=1
	s_mov_b32 s7, s56
	s_mov_b32 s42, s54
	s_barrier_signal -1
	s_barrier_wait -1
                                        ; implicit-def: $vgpr23
                                        ; implicit-def: $vgpr24
                                        ; implicit-def: $vgpr25
                                        ; implicit-def: $vgpr26
                                        ; implicit-def: $vgpr27
                                        ; implicit-def: $vgpr28
                                        ; implicit-def: $vgpr29
                                        ; implicit-def: $vgpr30
                                        ; implicit-def: $vgpr31
                                        ; implicit-def: $vgpr32
                                        ; implicit-def: $vgpr33
                                        ; implicit-def: $vgpr34
                                        ; implicit-def: $vgpr35
                                        ; implicit-def: $vgpr36
                                        ; implicit-def: $vgpr37
                                        ; implicit-def: $vgpr38
	s_branch .LBB2040_16
.LBB2040_15:                            ;   in Loop: Header=BB2040_16 Depth=2
	s_or_b32 exec_lo, exec_lo, s8
	s_addk_co_i32 s7, 0xf000
	s_cmp_ge_u32 s10, s51
	s_mov_b32 s42, s10
	s_cbranch_scc1 .LBB2040_84
.LBB2040_16:                            ;   Parent Loop BB2040_12 Depth=1
                                        ; =>  This Inner Loop Header: Depth=2
	s_add_co_i32 s10, s42, 0x1000
	s_mov_b32 s8, -1
	s_cmp_gt_u32 s10, s51
                                        ; implicit-def: $vgpr39
                                        ; implicit-def: $vgpr40
                                        ; implicit-def: $vgpr41
                                        ; implicit-def: $vgpr42
                                        ; implicit-def: $vgpr43
                                        ; implicit-def: $vgpr44
                                        ; implicit-def: $vgpr45
                                        ; implicit-def: $vgpr46
                                        ; implicit-def: $vgpr47
                                        ; implicit-def: $vgpr48
                                        ; implicit-def: $vgpr49
                                        ; implicit-def: $vgpr50
                                        ; implicit-def: $vgpr51
                                        ; implicit-def: $vgpr52
                                        ; implicit-def: $vgpr53
                                        ; implicit-def: $vgpr54
	s_cbranch_scc1 .LBB2040_18
; %bb.17:                               ;   in Loop: Header=BB2040_16 Depth=2
	v_lshl_add_u64 v[54:55], s[42:43], 1, v[6:7]
	s_mov_b32 s8, 0
	s_clause 0xf
	global_load_u16 v39, v[54:55], off
	global_load_u16 v40, v[54:55], off offset:512
	global_load_u16 v41, v[54:55], off offset:1024
	global_load_u16 v42, v[54:55], off offset:1536
	global_load_u16 v43, v[54:55], off offset:2048
	global_load_u16 v44, v[54:55], off offset:2560
	global_load_u16 v45, v[54:55], off offset:3072
	global_load_u16 v46, v[54:55], off offset:3584
	global_load_u16 v47, v[54:55], off offset:4096
	global_load_u16 v48, v[54:55], off offset:4608
	global_load_u16 v49, v[54:55], off offset:5120
	global_load_u16 v50, v[54:55], off offset:5632
	global_load_u16 v51, v[54:55], off offset:6144
	global_load_u16 v52, v[54:55], off offset:6656
	global_load_u16 v53, v[54:55], off offset:7168
	global_load_u16 v54, v[54:55], off offset:7680
.LBB2040_18:                            ;   in Loop: Header=BB2040_16 Depth=2
	s_and_not1_b32 vcc_lo, exec_lo, s8
	s_movk_i32 s8, 0x1000
	s_cbranch_vccnz .LBB2040_37
; %bb.19:                               ;   in Loop: Header=BB2040_16 Depth=2
	s_lshl_b64 s[8:9], s[42:43], 1
	s_mov_b32 s11, exec_lo
	s_add_nc_u64 s[8:9], s[40:41], s[8:9]
	s_wait_xcnt 0x0
	v_cmpx_gt_u32_e64 s7, v2
	s_cbranch_execnz .LBB2040_69
; %bb.20:                               ;   in Loop: Header=BB2040_16 Depth=2
	s_or_b32 exec_lo, exec_lo, s11
	s_delay_alu instid0(SALU_CYCLE_1)
	s_mov_b32 s11, exec_lo
	v_cmpx_gt_u32_e64 s7, v68
	s_cbranch_execnz .LBB2040_70
.LBB2040_21:                            ;   in Loop: Header=BB2040_16 Depth=2
	s_or_b32 exec_lo, exec_lo, s11
	s_delay_alu instid0(SALU_CYCLE_1)
	s_mov_b32 s11, exec_lo
	v_cmpx_gt_u32_e64 s7, v69
	s_cbranch_execnz .LBB2040_71
.LBB2040_22:                            ;   in Loop: Header=BB2040_16 Depth=2
	s_or_b32 exec_lo, exec_lo, s11
	s_delay_alu instid0(SALU_CYCLE_1)
	s_mov_b32 s11, exec_lo
	v_cmpx_gt_u32_e64 s7, v70
	s_cbranch_execnz .LBB2040_72
.LBB2040_23:                            ;   in Loop: Header=BB2040_16 Depth=2
	s_or_b32 exec_lo, exec_lo, s11
	s_delay_alu instid0(SALU_CYCLE_1)
	s_mov_b32 s11, exec_lo
	v_cmpx_gt_u32_e64 s7, v71
	s_cbranch_execnz .LBB2040_73
.LBB2040_24:                            ;   in Loop: Header=BB2040_16 Depth=2
	s_or_b32 exec_lo, exec_lo, s11
	s_delay_alu instid0(SALU_CYCLE_1)
	s_mov_b32 s11, exec_lo
	v_cmpx_gt_u32_e64 s7, v72
	s_cbranch_execnz .LBB2040_74
.LBB2040_25:                            ;   in Loop: Header=BB2040_16 Depth=2
	s_or_b32 exec_lo, exec_lo, s11
	s_delay_alu instid0(SALU_CYCLE_1)
	s_mov_b32 s11, exec_lo
	v_cmpx_gt_u32_e64 s7, v73
	s_cbranch_execnz .LBB2040_75
.LBB2040_26:                            ;   in Loop: Header=BB2040_16 Depth=2
	s_or_b32 exec_lo, exec_lo, s11
	s_delay_alu instid0(SALU_CYCLE_1)
	s_mov_b32 s11, exec_lo
	v_cmpx_gt_u32_e64 s7, v74
	s_cbranch_execnz .LBB2040_76
.LBB2040_27:                            ;   in Loop: Header=BB2040_16 Depth=2
	s_or_b32 exec_lo, exec_lo, s11
	s_delay_alu instid0(SALU_CYCLE_1)
	s_mov_b32 s11, exec_lo
	v_cmpx_gt_u32_e64 s7, v75
	s_cbranch_execnz .LBB2040_77
.LBB2040_28:                            ;   in Loop: Header=BB2040_16 Depth=2
	s_or_b32 exec_lo, exec_lo, s11
	s_delay_alu instid0(SALU_CYCLE_1)
	s_mov_b32 s11, exec_lo
	v_cmpx_gt_u32_e64 s7, v76
	s_cbranch_execnz .LBB2040_78
.LBB2040_29:                            ;   in Loop: Header=BB2040_16 Depth=2
	s_or_b32 exec_lo, exec_lo, s11
	s_delay_alu instid0(SALU_CYCLE_1)
	s_mov_b32 s11, exec_lo
	v_cmpx_gt_u32_e64 s7, v77
	s_cbranch_execnz .LBB2040_79
.LBB2040_30:                            ;   in Loop: Header=BB2040_16 Depth=2
	s_or_b32 exec_lo, exec_lo, s11
	s_delay_alu instid0(SALU_CYCLE_1)
	s_mov_b32 s11, exec_lo
	v_cmpx_gt_u32_e64 s7, v78
	s_cbranch_execnz .LBB2040_80
.LBB2040_31:                            ;   in Loop: Header=BB2040_16 Depth=2
	s_or_b32 exec_lo, exec_lo, s11
	s_delay_alu instid0(SALU_CYCLE_1)
	s_mov_b32 s11, exec_lo
	v_cmpx_gt_u32_e64 s7, v79
	s_cbranch_execnz .LBB2040_81
.LBB2040_32:                            ;   in Loop: Header=BB2040_16 Depth=2
	s_or_b32 exec_lo, exec_lo, s11
	s_delay_alu instid0(SALU_CYCLE_1)
	s_mov_b32 s11, exec_lo
	v_cmpx_gt_u32_e64 s7, v80
	s_cbranch_execnz .LBB2040_82
.LBB2040_33:                            ;   in Loop: Header=BB2040_16 Depth=2
	s_or_b32 exec_lo, exec_lo, s11
	s_delay_alu instid0(SALU_CYCLE_1)
	s_mov_b32 s11, exec_lo
	v_cmpx_gt_u32_e64 s7, v81
	s_cbranch_execnz .LBB2040_83
.LBB2040_34:                            ;   in Loop: Header=BB2040_16 Depth=2
	s_or_b32 exec_lo, exec_lo, s11
	s_delay_alu instid0(SALU_CYCLE_1)
	s_mov_b32 s11, exec_lo
	v_cmpx_gt_u32_e64 s7, v82
	s_cbranch_execz .LBB2040_36
.LBB2040_35:                            ;   in Loop: Header=BB2040_16 Depth=2
	global_load_u16 v23, v2, s[8:9] offset:7680 scale_offset
.LBB2040_36:                            ;   in Loop: Header=BB2040_16 Depth=2
	s_wait_xcnt 0x0
	s_or_b32 exec_lo, exec_lo, s11
	s_wait_loadcnt 0x0
	v_dual_mov_b32 v39, v38 :: v_dual_mov_b32 v40, v37
	v_dual_mov_b32 v41, v36 :: v_dual_mov_b32 v42, v35
	;; [unrolled: 1-line block ×8, first 2 shown]
	s_mov_b32 s8, s7
.LBB2040_37:                            ;   in Loop: Header=BB2040_16 Depth=2
	s_wait_loadcnt 0x0
	s_delay_alu instid0(VALU_DEP_1)
	v_dual_mov_b32 v23, v54 :: v_dual_mov_b32 v24, v53
	v_dual_mov_b32 v25, v52 :: v_dual_mov_b32 v26, v51
	;; [unrolled: 1-line block ×8, first 2 shown]
	s_mov_b32 s9, exec_lo
	s_wait_xcnt 0x0
	v_cmpx_gt_u32_e64 s8, v2
	s_cbranch_execnz .LBB2040_53
; %bb.38:                               ;   in Loop: Header=BB2040_16 Depth=2
	s_or_b32 exec_lo, exec_lo, s9
	s_delay_alu instid0(SALU_CYCLE_1)
	s_mov_b32 s9, exec_lo
	v_cmpx_gt_u32_e64 s8, v68
	s_cbranch_execnz .LBB2040_54
.LBB2040_39:                            ;   in Loop: Header=BB2040_16 Depth=2
	s_or_b32 exec_lo, exec_lo, s9
	s_delay_alu instid0(SALU_CYCLE_1)
	s_mov_b32 s9, exec_lo
	v_cmpx_gt_u32_e64 s8, v69
	s_cbranch_execnz .LBB2040_55
.LBB2040_40:                            ;   in Loop: Header=BB2040_16 Depth=2
	s_or_b32 exec_lo, exec_lo, s9
	s_delay_alu instid0(SALU_CYCLE_1)
	s_mov_b32 s9, exec_lo
	v_cmpx_gt_u32_e64 s8, v70
	s_cbranch_execnz .LBB2040_56
.LBB2040_41:                            ;   in Loop: Header=BB2040_16 Depth=2
	s_or_b32 exec_lo, exec_lo, s9
	s_delay_alu instid0(SALU_CYCLE_1)
	s_mov_b32 s9, exec_lo
	v_cmpx_gt_u32_e64 s8, v71
	s_cbranch_execnz .LBB2040_57
.LBB2040_42:                            ;   in Loop: Header=BB2040_16 Depth=2
	s_or_b32 exec_lo, exec_lo, s9
	s_delay_alu instid0(SALU_CYCLE_1)
	s_mov_b32 s9, exec_lo
	v_cmpx_gt_u32_e64 s8, v72
	s_cbranch_execnz .LBB2040_58
.LBB2040_43:                            ;   in Loop: Header=BB2040_16 Depth=2
	s_or_b32 exec_lo, exec_lo, s9
	s_delay_alu instid0(SALU_CYCLE_1)
	s_mov_b32 s9, exec_lo
	v_cmpx_gt_u32_e64 s8, v73
	s_cbranch_execnz .LBB2040_59
.LBB2040_44:                            ;   in Loop: Header=BB2040_16 Depth=2
	s_or_b32 exec_lo, exec_lo, s9
	s_delay_alu instid0(SALU_CYCLE_1)
	s_mov_b32 s9, exec_lo
	v_cmpx_gt_u32_e64 s8, v74
	s_cbranch_execnz .LBB2040_60
.LBB2040_45:                            ;   in Loop: Header=BB2040_16 Depth=2
	s_or_b32 exec_lo, exec_lo, s9
	s_delay_alu instid0(SALU_CYCLE_1)
	s_mov_b32 s9, exec_lo
	v_cmpx_gt_u32_e64 s8, v75
	s_cbranch_execnz .LBB2040_61
.LBB2040_46:                            ;   in Loop: Header=BB2040_16 Depth=2
	s_or_b32 exec_lo, exec_lo, s9
	s_delay_alu instid0(SALU_CYCLE_1)
	s_mov_b32 s9, exec_lo
	v_cmpx_gt_u32_e64 s8, v76
	s_cbranch_execnz .LBB2040_62
.LBB2040_47:                            ;   in Loop: Header=BB2040_16 Depth=2
	s_or_b32 exec_lo, exec_lo, s9
	s_delay_alu instid0(SALU_CYCLE_1)
	s_mov_b32 s9, exec_lo
	v_cmpx_gt_u32_e64 s8, v77
	s_cbranch_execnz .LBB2040_63
.LBB2040_48:                            ;   in Loop: Header=BB2040_16 Depth=2
	s_or_b32 exec_lo, exec_lo, s9
	s_delay_alu instid0(SALU_CYCLE_1)
	s_mov_b32 s9, exec_lo
	v_cmpx_gt_u32_e64 s8, v78
	s_cbranch_execnz .LBB2040_64
.LBB2040_49:                            ;   in Loop: Header=BB2040_16 Depth=2
	s_or_b32 exec_lo, exec_lo, s9
	s_delay_alu instid0(SALU_CYCLE_1)
	s_mov_b32 s9, exec_lo
	v_cmpx_gt_u32_e64 s8, v79
	s_cbranch_execnz .LBB2040_65
.LBB2040_50:                            ;   in Loop: Header=BB2040_16 Depth=2
	s_or_b32 exec_lo, exec_lo, s9
	s_delay_alu instid0(SALU_CYCLE_1)
	s_mov_b32 s9, exec_lo
	v_cmpx_gt_u32_e64 s8, v80
	s_cbranch_execnz .LBB2040_66
.LBB2040_51:                            ;   in Loop: Header=BB2040_16 Depth=2
	s_or_b32 exec_lo, exec_lo, s9
	s_delay_alu instid0(SALU_CYCLE_1)
	s_mov_b32 s9, exec_lo
	v_cmpx_gt_u32_e64 s8, v81
	s_cbranch_execnz .LBB2040_67
.LBB2040_52:                            ;   in Loop: Header=BB2040_16 Depth=2
	s_or_b32 exec_lo, exec_lo, s9
	v_cmp_gt_u32_e32 vcc_lo, s8, v82
	s_and_saveexec_b32 s8, vcc_lo
	s_cbranch_execz .LBB2040_15
	s_branch .LBB2040_68
.LBB2040_53:                            ;   in Loop: Header=BB2040_16 Depth=2
	v_cmp_lt_i16_e32 vcc_lo, -1, v38
	v_cndmask_b32_e64 v39, -1, 0xffff8000, vcc_lo
	s_delay_alu instid0(VALU_DEP_1) | instskip(NEXT) | instid1(VALU_DEP_1)
	v_xor_b32_e32 v39, v39, v38
	v_cmp_ne_u16_e32 vcc_lo, 0x7fff, v39
	v_cndmask_b32_e32 v39, 0xffff8000, v39, vcc_lo
	s_delay_alu instid0(VALU_DEP_1) | instskip(NEXT) | instid1(VALU_DEP_1)
	v_and_b32_e32 v39, 0xffff, v39
	v_lshrrev_b32_e32 v39, s48, v39
	s_delay_alu instid0(VALU_DEP_1) | instskip(NEXT) | instid1(VALU_DEP_1)
	v_and_b32_e32 v39, s52, v39
	v_lshl_or_b32 v39, v39, 4, v83
	ds_add_u32 v39, v96
	s_or_b32 exec_lo, exec_lo, s9
	s_delay_alu instid0(SALU_CYCLE_1)
	s_mov_b32 s9, exec_lo
	v_cmpx_gt_u32_e64 s8, v68
	s_cbranch_execz .LBB2040_39
.LBB2040_54:                            ;   in Loop: Header=BB2040_16 Depth=2
	v_cmp_lt_i16_e32 vcc_lo, -1, v37
	v_cndmask_b32_e64 v39, -1, 0xffff8000, vcc_lo
	s_delay_alu instid0(VALU_DEP_1) | instskip(NEXT) | instid1(VALU_DEP_1)
	v_xor_b32_e32 v39, v39, v37
	v_cmp_ne_u16_e32 vcc_lo, 0x7fff, v39
	v_cndmask_b32_e32 v39, 0xffff8000, v39, vcc_lo
	s_delay_alu instid0(VALU_DEP_1) | instskip(NEXT) | instid1(VALU_DEP_1)
	v_and_b32_e32 v39, 0xffff, v39
	v_lshrrev_b32_e32 v39, s48, v39
	s_delay_alu instid0(VALU_DEP_1) | instskip(NEXT) | instid1(VALU_DEP_1)
	v_and_b32_e32 v39, s52, v39
	v_lshl_or_b32 v39, v39, 4, v83
	ds_add_u32 v39, v96
	s_or_b32 exec_lo, exec_lo, s9
	s_delay_alu instid0(SALU_CYCLE_1)
	s_mov_b32 s9, exec_lo
	v_cmpx_gt_u32_e64 s8, v69
	s_cbranch_execz .LBB2040_40
.LBB2040_55:                            ;   in Loop: Header=BB2040_16 Depth=2
	v_cmp_lt_i16_e32 vcc_lo, -1, v36
	v_cndmask_b32_e64 v39, -1, 0xffff8000, vcc_lo
	s_delay_alu instid0(VALU_DEP_1) | instskip(NEXT) | instid1(VALU_DEP_1)
	v_xor_b32_e32 v39, v39, v36
	v_cmp_ne_u16_e32 vcc_lo, 0x7fff, v39
	v_cndmask_b32_e32 v39, 0xffff8000, v39, vcc_lo
	s_delay_alu instid0(VALU_DEP_1) | instskip(NEXT) | instid1(VALU_DEP_1)
	v_and_b32_e32 v39, 0xffff, v39
	v_lshrrev_b32_e32 v39, s48, v39
	s_delay_alu instid0(VALU_DEP_1) | instskip(NEXT) | instid1(VALU_DEP_1)
	v_and_b32_e32 v39, s52, v39
	v_lshl_or_b32 v39, v39, 4, v83
	ds_add_u32 v39, v96
	s_or_b32 exec_lo, exec_lo, s9
	s_delay_alu instid0(SALU_CYCLE_1)
	s_mov_b32 s9, exec_lo
	v_cmpx_gt_u32_e64 s8, v70
	s_cbranch_execz .LBB2040_41
.LBB2040_56:                            ;   in Loop: Header=BB2040_16 Depth=2
	v_cmp_lt_i16_e32 vcc_lo, -1, v35
	v_cndmask_b32_e64 v39, -1, 0xffff8000, vcc_lo
	s_delay_alu instid0(VALU_DEP_1) | instskip(NEXT) | instid1(VALU_DEP_1)
	v_xor_b32_e32 v39, v39, v35
	v_cmp_ne_u16_e32 vcc_lo, 0x7fff, v39
	v_cndmask_b32_e32 v39, 0xffff8000, v39, vcc_lo
	s_delay_alu instid0(VALU_DEP_1) | instskip(NEXT) | instid1(VALU_DEP_1)
	v_and_b32_e32 v39, 0xffff, v39
	v_lshrrev_b32_e32 v39, s48, v39
	s_delay_alu instid0(VALU_DEP_1) | instskip(NEXT) | instid1(VALU_DEP_1)
	v_and_b32_e32 v39, s52, v39
	v_lshl_or_b32 v39, v39, 4, v83
	ds_add_u32 v39, v96
	s_or_b32 exec_lo, exec_lo, s9
	s_delay_alu instid0(SALU_CYCLE_1)
	s_mov_b32 s9, exec_lo
	v_cmpx_gt_u32_e64 s8, v71
	s_cbranch_execz .LBB2040_42
.LBB2040_57:                            ;   in Loop: Header=BB2040_16 Depth=2
	v_cmp_lt_i16_e32 vcc_lo, -1, v34
	v_cndmask_b32_e64 v39, -1, 0xffff8000, vcc_lo
	s_delay_alu instid0(VALU_DEP_1) | instskip(NEXT) | instid1(VALU_DEP_1)
	v_xor_b32_e32 v39, v39, v34
	v_cmp_ne_u16_e32 vcc_lo, 0x7fff, v39
	v_cndmask_b32_e32 v39, 0xffff8000, v39, vcc_lo
	s_delay_alu instid0(VALU_DEP_1) | instskip(NEXT) | instid1(VALU_DEP_1)
	v_and_b32_e32 v39, 0xffff, v39
	v_lshrrev_b32_e32 v39, s48, v39
	s_delay_alu instid0(VALU_DEP_1) | instskip(NEXT) | instid1(VALU_DEP_1)
	v_and_b32_e32 v39, s52, v39
	v_lshl_or_b32 v39, v39, 4, v83
	ds_add_u32 v39, v96
	s_or_b32 exec_lo, exec_lo, s9
	s_delay_alu instid0(SALU_CYCLE_1)
	s_mov_b32 s9, exec_lo
	v_cmpx_gt_u32_e64 s8, v72
	s_cbranch_execz .LBB2040_43
.LBB2040_58:                            ;   in Loop: Header=BB2040_16 Depth=2
	v_cmp_lt_i16_e32 vcc_lo, -1, v33
	v_cndmask_b32_e64 v39, -1, 0xffff8000, vcc_lo
	s_delay_alu instid0(VALU_DEP_1) | instskip(NEXT) | instid1(VALU_DEP_1)
	v_xor_b32_e32 v39, v39, v33
	v_cmp_ne_u16_e32 vcc_lo, 0x7fff, v39
	v_cndmask_b32_e32 v39, 0xffff8000, v39, vcc_lo
	s_delay_alu instid0(VALU_DEP_1) | instskip(NEXT) | instid1(VALU_DEP_1)
	v_and_b32_e32 v39, 0xffff, v39
	v_lshrrev_b32_e32 v39, s48, v39
	s_delay_alu instid0(VALU_DEP_1) | instskip(NEXT) | instid1(VALU_DEP_1)
	v_and_b32_e32 v39, s52, v39
	v_lshl_or_b32 v39, v39, 4, v83
	ds_add_u32 v39, v96
	s_or_b32 exec_lo, exec_lo, s9
	s_delay_alu instid0(SALU_CYCLE_1)
	s_mov_b32 s9, exec_lo
	v_cmpx_gt_u32_e64 s8, v73
	s_cbranch_execz .LBB2040_44
.LBB2040_59:                            ;   in Loop: Header=BB2040_16 Depth=2
	v_cmp_lt_i16_e32 vcc_lo, -1, v32
	v_cndmask_b32_e64 v39, -1, 0xffff8000, vcc_lo
	s_delay_alu instid0(VALU_DEP_1) | instskip(NEXT) | instid1(VALU_DEP_1)
	v_xor_b32_e32 v39, v39, v32
	v_cmp_ne_u16_e32 vcc_lo, 0x7fff, v39
	v_cndmask_b32_e32 v39, 0xffff8000, v39, vcc_lo
	s_delay_alu instid0(VALU_DEP_1) | instskip(NEXT) | instid1(VALU_DEP_1)
	v_and_b32_e32 v39, 0xffff, v39
	v_lshrrev_b32_e32 v39, s48, v39
	s_delay_alu instid0(VALU_DEP_1) | instskip(NEXT) | instid1(VALU_DEP_1)
	v_and_b32_e32 v39, s52, v39
	v_lshl_or_b32 v39, v39, 4, v83
	ds_add_u32 v39, v96
	s_or_b32 exec_lo, exec_lo, s9
	s_delay_alu instid0(SALU_CYCLE_1)
	s_mov_b32 s9, exec_lo
	v_cmpx_gt_u32_e64 s8, v74
	s_cbranch_execz .LBB2040_45
.LBB2040_60:                            ;   in Loop: Header=BB2040_16 Depth=2
	v_cmp_lt_i16_e32 vcc_lo, -1, v31
	v_cndmask_b32_e64 v39, -1, 0xffff8000, vcc_lo
	s_delay_alu instid0(VALU_DEP_1) | instskip(NEXT) | instid1(VALU_DEP_1)
	v_xor_b32_e32 v39, v39, v31
	v_cmp_ne_u16_e32 vcc_lo, 0x7fff, v39
	v_cndmask_b32_e32 v39, 0xffff8000, v39, vcc_lo
	s_delay_alu instid0(VALU_DEP_1) | instskip(NEXT) | instid1(VALU_DEP_1)
	v_and_b32_e32 v39, 0xffff, v39
	v_lshrrev_b32_e32 v39, s48, v39
	s_delay_alu instid0(VALU_DEP_1) | instskip(NEXT) | instid1(VALU_DEP_1)
	v_and_b32_e32 v39, s52, v39
	v_lshl_or_b32 v39, v39, 4, v83
	ds_add_u32 v39, v96
	s_or_b32 exec_lo, exec_lo, s9
	s_delay_alu instid0(SALU_CYCLE_1)
	s_mov_b32 s9, exec_lo
	v_cmpx_gt_u32_e64 s8, v75
	s_cbranch_execz .LBB2040_46
.LBB2040_61:                            ;   in Loop: Header=BB2040_16 Depth=2
	v_cmp_lt_i16_e32 vcc_lo, -1, v30
	v_cndmask_b32_e64 v39, -1, 0xffff8000, vcc_lo
	s_delay_alu instid0(VALU_DEP_1) | instskip(NEXT) | instid1(VALU_DEP_1)
	v_xor_b32_e32 v39, v39, v30
	v_cmp_ne_u16_e32 vcc_lo, 0x7fff, v39
	v_cndmask_b32_e32 v39, 0xffff8000, v39, vcc_lo
	s_delay_alu instid0(VALU_DEP_1) | instskip(NEXT) | instid1(VALU_DEP_1)
	v_and_b32_e32 v39, 0xffff, v39
	v_lshrrev_b32_e32 v39, s48, v39
	s_delay_alu instid0(VALU_DEP_1) | instskip(NEXT) | instid1(VALU_DEP_1)
	v_and_b32_e32 v39, s52, v39
	v_lshl_or_b32 v39, v39, 4, v83
	ds_add_u32 v39, v96
	s_or_b32 exec_lo, exec_lo, s9
	s_delay_alu instid0(SALU_CYCLE_1)
	s_mov_b32 s9, exec_lo
	v_cmpx_gt_u32_e64 s8, v76
	s_cbranch_execz .LBB2040_47
.LBB2040_62:                            ;   in Loop: Header=BB2040_16 Depth=2
	v_cmp_lt_i16_e32 vcc_lo, -1, v29
	v_cndmask_b32_e64 v39, -1, 0xffff8000, vcc_lo
	s_delay_alu instid0(VALU_DEP_1) | instskip(NEXT) | instid1(VALU_DEP_1)
	v_xor_b32_e32 v39, v39, v29
	v_cmp_ne_u16_e32 vcc_lo, 0x7fff, v39
	v_cndmask_b32_e32 v39, 0xffff8000, v39, vcc_lo
	s_delay_alu instid0(VALU_DEP_1) | instskip(NEXT) | instid1(VALU_DEP_1)
	v_and_b32_e32 v39, 0xffff, v39
	v_lshrrev_b32_e32 v39, s48, v39
	s_delay_alu instid0(VALU_DEP_1) | instskip(NEXT) | instid1(VALU_DEP_1)
	v_and_b32_e32 v39, s52, v39
	v_lshl_or_b32 v39, v39, 4, v83
	ds_add_u32 v39, v96
	s_or_b32 exec_lo, exec_lo, s9
	s_delay_alu instid0(SALU_CYCLE_1)
	s_mov_b32 s9, exec_lo
	v_cmpx_gt_u32_e64 s8, v77
	s_cbranch_execz .LBB2040_48
.LBB2040_63:                            ;   in Loop: Header=BB2040_16 Depth=2
	v_cmp_lt_i16_e32 vcc_lo, -1, v28
	v_cndmask_b32_e64 v39, -1, 0xffff8000, vcc_lo
	s_delay_alu instid0(VALU_DEP_1) | instskip(NEXT) | instid1(VALU_DEP_1)
	v_xor_b32_e32 v39, v39, v28
	v_cmp_ne_u16_e32 vcc_lo, 0x7fff, v39
	v_cndmask_b32_e32 v39, 0xffff8000, v39, vcc_lo
	s_delay_alu instid0(VALU_DEP_1) | instskip(NEXT) | instid1(VALU_DEP_1)
	v_and_b32_e32 v39, 0xffff, v39
	v_lshrrev_b32_e32 v39, s48, v39
	s_delay_alu instid0(VALU_DEP_1) | instskip(NEXT) | instid1(VALU_DEP_1)
	v_and_b32_e32 v39, s52, v39
	v_lshl_or_b32 v39, v39, 4, v83
	ds_add_u32 v39, v96
	s_or_b32 exec_lo, exec_lo, s9
	s_delay_alu instid0(SALU_CYCLE_1)
	s_mov_b32 s9, exec_lo
	v_cmpx_gt_u32_e64 s8, v78
	s_cbranch_execz .LBB2040_49
.LBB2040_64:                            ;   in Loop: Header=BB2040_16 Depth=2
	v_cmp_lt_i16_e32 vcc_lo, -1, v27
	v_cndmask_b32_e64 v39, -1, 0xffff8000, vcc_lo
	s_delay_alu instid0(VALU_DEP_1) | instskip(NEXT) | instid1(VALU_DEP_1)
	v_xor_b32_e32 v39, v39, v27
	v_cmp_ne_u16_e32 vcc_lo, 0x7fff, v39
	v_cndmask_b32_e32 v39, 0xffff8000, v39, vcc_lo
	s_delay_alu instid0(VALU_DEP_1) | instskip(NEXT) | instid1(VALU_DEP_1)
	v_and_b32_e32 v39, 0xffff, v39
	v_lshrrev_b32_e32 v39, s48, v39
	s_delay_alu instid0(VALU_DEP_1) | instskip(NEXT) | instid1(VALU_DEP_1)
	v_and_b32_e32 v39, s52, v39
	v_lshl_or_b32 v39, v39, 4, v83
	ds_add_u32 v39, v96
	s_or_b32 exec_lo, exec_lo, s9
	s_delay_alu instid0(SALU_CYCLE_1)
	s_mov_b32 s9, exec_lo
	v_cmpx_gt_u32_e64 s8, v79
	s_cbranch_execz .LBB2040_50
.LBB2040_65:                            ;   in Loop: Header=BB2040_16 Depth=2
	v_cmp_lt_i16_e32 vcc_lo, -1, v26
	v_cndmask_b32_e64 v39, -1, 0xffff8000, vcc_lo
	s_delay_alu instid0(VALU_DEP_1) | instskip(NEXT) | instid1(VALU_DEP_1)
	v_xor_b32_e32 v39, v39, v26
	v_cmp_ne_u16_e32 vcc_lo, 0x7fff, v39
	v_cndmask_b32_e32 v39, 0xffff8000, v39, vcc_lo
	s_delay_alu instid0(VALU_DEP_1) | instskip(NEXT) | instid1(VALU_DEP_1)
	v_and_b32_e32 v39, 0xffff, v39
	v_lshrrev_b32_e32 v39, s48, v39
	s_delay_alu instid0(VALU_DEP_1) | instskip(NEXT) | instid1(VALU_DEP_1)
	v_and_b32_e32 v39, s52, v39
	v_lshl_or_b32 v39, v39, 4, v83
	ds_add_u32 v39, v96
	s_or_b32 exec_lo, exec_lo, s9
	s_delay_alu instid0(SALU_CYCLE_1)
	s_mov_b32 s9, exec_lo
	v_cmpx_gt_u32_e64 s8, v80
	s_cbranch_execz .LBB2040_51
.LBB2040_66:                            ;   in Loop: Header=BB2040_16 Depth=2
	v_cmp_lt_i16_e32 vcc_lo, -1, v25
	v_cndmask_b32_e64 v39, -1, 0xffff8000, vcc_lo
	s_delay_alu instid0(VALU_DEP_1) | instskip(NEXT) | instid1(VALU_DEP_1)
	v_xor_b32_e32 v39, v39, v25
	v_cmp_ne_u16_e32 vcc_lo, 0x7fff, v39
	v_cndmask_b32_e32 v39, 0xffff8000, v39, vcc_lo
	s_delay_alu instid0(VALU_DEP_1) | instskip(NEXT) | instid1(VALU_DEP_1)
	v_and_b32_e32 v39, 0xffff, v39
	v_lshrrev_b32_e32 v39, s48, v39
	s_delay_alu instid0(VALU_DEP_1) | instskip(NEXT) | instid1(VALU_DEP_1)
	v_and_b32_e32 v39, s52, v39
	v_lshl_or_b32 v39, v39, 4, v83
	ds_add_u32 v39, v96
	s_or_b32 exec_lo, exec_lo, s9
	s_delay_alu instid0(SALU_CYCLE_1)
	s_mov_b32 s9, exec_lo
	v_cmpx_gt_u32_e64 s8, v81
	s_cbranch_execz .LBB2040_52
.LBB2040_67:                            ;   in Loop: Header=BB2040_16 Depth=2
	v_cmp_lt_i16_e32 vcc_lo, -1, v24
	v_cndmask_b32_e64 v39, -1, 0xffff8000, vcc_lo
	s_delay_alu instid0(VALU_DEP_1) | instskip(NEXT) | instid1(VALU_DEP_1)
	v_xor_b32_e32 v39, v39, v24
	v_cmp_ne_u16_e32 vcc_lo, 0x7fff, v39
	v_cndmask_b32_e32 v39, 0xffff8000, v39, vcc_lo
	s_delay_alu instid0(VALU_DEP_1) | instskip(NEXT) | instid1(VALU_DEP_1)
	v_and_b32_e32 v39, 0xffff, v39
	v_lshrrev_b32_e32 v39, s48, v39
	s_delay_alu instid0(VALU_DEP_1) | instskip(NEXT) | instid1(VALU_DEP_1)
	v_and_b32_e32 v39, s52, v39
	v_lshl_or_b32 v39, v39, 4, v83
	ds_add_u32 v39, v96
	s_or_b32 exec_lo, exec_lo, s9
	v_cmp_gt_u32_e32 vcc_lo, s8, v82
	s_and_saveexec_b32 s8, vcc_lo
	s_cbranch_execz .LBB2040_15
.LBB2040_68:                            ;   in Loop: Header=BB2040_16 Depth=2
	v_cmp_lt_i16_e32 vcc_lo, -1, v23
	v_cndmask_b32_e64 v39, -1, 0xffff8000, vcc_lo
	s_delay_alu instid0(VALU_DEP_1) | instskip(NEXT) | instid1(VALU_DEP_1)
	v_xor_b32_e32 v39, v39, v23
	v_cmp_ne_u16_e32 vcc_lo, 0x7fff, v39
	v_cndmask_b32_e32 v39, 0xffff8000, v39, vcc_lo
	s_delay_alu instid0(VALU_DEP_1) | instskip(NEXT) | instid1(VALU_DEP_1)
	v_and_b32_e32 v39, 0xffff, v39
	v_lshrrev_b32_e32 v39, s48, v39
	s_delay_alu instid0(VALU_DEP_1) | instskip(NEXT) | instid1(VALU_DEP_1)
	v_and_b32_e32 v39, s52, v39
	v_lshl_or_b32 v39, v39, 4, v83
	ds_add_u32 v39, v96
	s_branch .LBB2040_15
.LBB2040_69:                            ;   in Loop: Header=BB2040_16 Depth=2
	global_load_u16 v38, v2, s[8:9] scale_offset
	s_wait_xcnt 0x0
	s_or_b32 exec_lo, exec_lo, s11
	s_delay_alu instid0(SALU_CYCLE_1)
	s_mov_b32 s11, exec_lo
	v_cmpx_gt_u32_e64 s7, v68
	s_cbranch_execz .LBB2040_21
.LBB2040_70:                            ;   in Loop: Header=BB2040_16 Depth=2
	global_load_u16 v37, v2, s[8:9] offset:512 scale_offset
	s_wait_xcnt 0x0
	s_or_b32 exec_lo, exec_lo, s11
	s_delay_alu instid0(SALU_CYCLE_1)
	s_mov_b32 s11, exec_lo
	v_cmpx_gt_u32_e64 s7, v69
	s_cbranch_execz .LBB2040_22
.LBB2040_71:                            ;   in Loop: Header=BB2040_16 Depth=2
	global_load_u16 v36, v2, s[8:9] offset:1024 scale_offset
	s_wait_xcnt 0x0
	s_or_b32 exec_lo, exec_lo, s11
	s_delay_alu instid0(SALU_CYCLE_1)
	s_mov_b32 s11, exec_lo
	v_cmpx_gt_u32_e64 s7, v70
	s_cbranch_execz .LBB2040_23
.LBB2040_72:                            ;   in Loop: Header=BB2040_16 Depth=2
	global_load_u16 v35, v2, s[8:9] offset:1536 scale_offset
	s_wait_xcnt 0x0
	s_or_b32 exec_lo, exec_lo, s11
	s_delay_alu instid0(SALU_CYCLE_1)
	s_mov_b32 s11, exec_lo
	v_cmpx_gt_u32_e64 s7, v71
	s_cbranch_execz .LBB2040_24
.LBB2040_73:                            ;   in Loop: Header=BB2040_16 Depth=2
	global_load_u16 v34, v2, s[8:9] offset:2048 scale_offset
	s_wait_xcnt 0x0
	s_or_b32 exec_lo, exec_lo, s11
	s_delay_alu instid0(SALU_CYCLE_1)
	s_mov_b32 s11, exec_lo
	v_cmpx_gt_u32_e64 s7, v72
	s_cbranch_execz .LBB2040_25
.LBB2040_74:                            ;   in Loop: Header=BB2040_16 Depth=2
	global_load_u16 v33, v2, s[8:9] offset:2560 scale_offset
	s_wait_xcnt 0x0
	s_or_b32 exec_lo, exec_lo, s11
	s_delay_alu instid0(SALU_CYCLE_1)
	s_mov_b32 s11, exec_lo
	v_cmpx_gt_u32_e64 s7, v73
	s_cbranch_execz .LBB2040_26
.LBB2040_75:                            ;   in Loop: Header=BB2040_16 Depth=2
	global_load_u16 v32, v2, s[8:9] offset:3072 scale_offset
	s_wait_xcnt 0x0
	s_or_b32 exec_lo, exec_lo, s11
	s_delay_alu instid0(SALU_CYCLE_1)
	s_mov_b32 s11, exec_lo
	v_cmpx_gt_u32_e64 s7, v74
	s_cbranch_execz .LBB2040_27
.LBB2040_76:                            ;   in Loop: Header=BB2040_16 Depth=2
	global_load_u16 v31, v2, s[8:9] offset:3584 scale_offset
	s_wait_xcnt 0x0
	s_or_b32 exec_lo, exec_lo, s11
	s_delay_alu instid0(SALU_CYCLE_1)
	s_mov_b32 s11, exec_lo
	v_cmpx_gt_u32_e64 s7, v75
	s_cbranch_execz .LBB2040_28
.LBB2040_77:                            ;   in Loop: Header=BB2040_16 Depth=2
	global_load_u16 v30, v2, s[8:9] offset:4096 scale_offset
	s_wait_xcnt 0x0
	s_or_b32 exec_lo, exec_lo, s11
	s_delay_alu instid0(SALU_CYCLE_1)
	s_mov_b32 s11, exec_lo
	v_cmpx_gt_u32_e64 s7, v76
	s_cbranch_execz .LBB2040_29
.LBB2040_78:                            ;   in Loop: Header=BB2040_16 Depth=2
	global_load_u16 v29, v2, s[8:9] offset:4608 scale_offset
	s_wait_xcnt 0x0
	s_or_b32 exec_lo, exec_lo, s11
	s_delay_alu instid0(SALU_CYCLE_1)
	s_mov_b32 s11, exec_lo
	v_cmpx_gt_u32_e64 s7, v77
	s_cbranch_execz .LBB2040_30
.LBB2040_79:                            ;   in Loop: Header=BB2040_16 Depth=2
	global_load_u16 v28, v2, s[8:9] offset:5120 scale_offset
	s_wait_xcnt 0x0
	s_or_b32 exec_lo, exec_lo, s11
	s_delay_alu instid0(SALU_CYCLE_1)
	s_mov_b32 s11, exec_lo
	v_cmpx_gt_u32_e64 s7, v78
	s_cbranch_execz .LBB2040_31
.LBB2040_80:                            ;   in Loop: Header=BB2040_16 Depth=2
	global_load_u16 v27, v2, s[8:9] offset:5632 scale_offset
	s_wait_xcnt 0x0
	s_or_b32 exec_lo, exec_lo, s11
	s_delay_alu instid0(SALU_CYCLE_1)
	s_mov_b32 s11, exec_lo
	v_cmpx_gt_u32_e64 s7, v79
	s_cbranch_execz .LBB2040_32
.LBB2040_81:                            ;   in Loop: Header=BB2040_16 Depth=2
	global_load_u16 v26, v2, s[8:9] offset:6144 scale_offset
	s_wait_xcnt 0x0
	s_or_b32 exec_lo, exec_lo, s11
	s_delay_alu instid0(SALU_CYCLE_1)
	s_mov_b32 s11, exec_lo
	v_cmpx_gt_u32_e64 s7, v80
	s_cbranch_execz .LBB2040_33
.LBB2040_82:                            ;   in Loop: Header=BB2040_16 Depth=2
	global_load_u16 v25, v2, s[8:9] offset:6656 scale_offset
	s_wait_xcnt 0x0
	s_or_b32 exec_lo, exec_lo, s11
	s_delay_alu instid0(SALU_CYCLE_1)
	s_mov_b32 s11, exec_lo
	v_cmpx_gt_u32_e64 s7, v81
	s_cbranch_execz .LBB2040_34
.LBB2040_83:                            ;   in Loop: Header=BB2040_16 Depth=2
	global_load_u16 v24, v2, s[8:9] offset:7168 scale_offset
	s_wait_xcnt 0x0
	s_or_b32 exec_lo, exec_lo, s11
	s_delay_alu instid0(SALU_CYCLE_1)
	s_mov_b32 s11, exec_lo
	v_cmpx_gt_u32_e64 s7, v82
	s_cbranch_execnz .LBB2040_35
	s_branch .LBB2040_36
.LBB2040_84:                            ;   in Loop: Header=BB2040_12 Depth=1
	v_mov_b32_e32 v23, 0
	s_wait_dscnt 0x0
	s_barrier_signal -1
	s_barrier_wait -1
	s_and_saveexec_b32 s7, s0
	s_cbranch_execz .LBB2040_86
; %bb.85:                               ;   in Loop: Header=BB2040_12 Depth=1
	ds_load_2addr_b64 v[24:27], v85 offset1:1
	s_wait_dscnt 0x0
	v_add_nc_u32_e32 v23, v25, v24
	s_delay_alu instid0(VALU_DEP_1)
	v_add3_u32 v23, v23, v26, v27
.LBB2040_86:                            ;   in Loop: Header=BB2040_12 Depth=1
	s_or_b32 exec_lo, exec_lo, s7
	s_delay_alu instid0(VALU_DEP_1)
	v_mov_b32_dpp v24, v23 row_shr:1 row_mask:0xf bank_mask:0xf
	v_cmp_eq_u32_e64 s7, 0, v97
	v_cmp_lt_u32_e64 s8, 1, v97
	v_cmp_lt_u32_e64 s9, 3, v97
	;; [unrolled: 1-line block ×3, first 2 shown]
	v_cmp_eq_u32_e64 s11, 0, v99
	v_cndmask_b32_e64 v24, v24, 0, s7
	s_delay_alu instid0(VALU_DEP_1) | instskip(NEXT) | instid1(VALU_DEP_1)
	v_add_nc_u32_e32 v23, v24, v23
	v_mov_b32_dpp v24, v23 row_shr:2 row_mask:0xf bank_mask:0xf
	s_delay_alu instid0(VALU_DEP_1) | instskip(NEXT) | instid1(VALU_DEP_1)
	v_cndmask_b32_e64 v24, 0, v24, s8
	v_add_nc_u32_e32 v23, v23, v24
	s_delay_alu instid0(VALU_DEP_1) | instskip(NEXT) | instid1(VALU_DEP_1)
	v_mov_b32_dpp v24, v23 row_shr:4 row_mask:0xf bank_mask:0xf
	v_cndmask_b32_e64 v24, 0, v24, s9
	s_delay_alu instid0(VALU_DEP_1) | instskip(NEXT) | instid1(VALU_DEP_1)
	v_add_nc_u32_e32 v23, v23, v24
	v_mov_b32_dpp v24, v23 row_shr:8 row_mask:0xf bank_mask:0xf
	s_delay_alu instid0(VALU_DEP_1) | instskip(NEXT) | instid1(VALU_DEP_1)
	v_cndmask_b32_e64 v24, 0, v24, s10
	v_add_nc_u32_e32 v23, v23, v24
	ds_swizzle_b32 v24, v23 offset:swizzle(BROADCAST,32,15)
	s_wait_dscnt 0x0
	v_and_b32_e32 v24, v98, v24
	s_delay_alu instid0(VALU_DEP_1)
	v_add_nc_u32_e32 v23, v23, v24
	s_and_saveexec_b32 s12, s1
; %bb.87:                               ;   in Loop: Header=BB2040_12 Depth=1
	ds_store_b32 v86, v23
; %bb.88:                               ;   in Loop: Header=BB2040_12 Depth=1
	s_or_b32 exec_lo, exec_lo, s12
	s_wait_dscnt 0x0
	s_barrier_signal -1
	s_barrier_wait -1
	s_and_saveexec_b32 s12, s4
	s_cbranch_execz .LBB2040_90
; %bb.89:                               ;   in Loop: Header=BB2040_12 Depth=1
	ds_load_b32 v24, v87
	v_cmp_ne_u32_e32 vcc_lo, 0, v101
	s_wait_dscnt 0x0
	v_mov_b32_dpp v25, v24 row_shr:1 row_mask:0xf bank_mask:0xf
	s_delay_alu instid0(VALU_DEP_1) | instskip(SKIP_1) | instid1(VALU_DEP_2)
	v_cndmask_b32_e32 v25, 0, v25, vcc_lo
	v_cmp_lt_u32_e32 vcc_lo, 1, v101
	v_add_nc_u32_e32 v24, v25, v24
	s_delay_alu instid0(VALU_DEP_1) | instskip(NEXT) | instid1(VALU_DEP_1)
	v_mov_b32_dpp v25, v24 row_shr:2 row_mask:0xf bank_mask:0xf
	v_cndmask_b32_e32 v25, 0, v25, vcc_lo
	v_cmp_lt_u32_e32 vcc_lo, 3, v101
	s_delay_alu instid0(VALU_DEP_2) | instskip(NEXT) | instid1(VALU_DEP_1)
	v_add_nc_u32_e32 v24, v24, v25
	v_mov_b32_dpp v25, v24 row_shr:4 row_mask:0xf bank_mask:0xf
	s_delay_alu instid0(VALU_DEP_1) | instskip(NEXT) | instid1(VALU_DEP_1)
	v_cndmask_b32_e32 v25, 0, v25, vcc_lo
	v_add_nc_u32_e32 v24, v24, v25
	ds_store_b32 v87, v24
.LBB2040_90:                            ;   in Loop: Header=BB2040_12 Depth=1
	s_or_b32 exec_lo, exec_lo, s12
	v_mov_b32_e32 v24, 0
	s_wait_dscnt 0x0
	s_barrier_signal -1
	s_barrier_wait -1
	s_and_saveexec_b32 s12, s5
; %bb.91:                               ;   in Loop: Header=BB2040_12 Depth=1
	ds_load_b32 v24, v88
; %bb.92:                               ;   in Loop: Header=BB2040_12 Depth=1
	s_or_b32 exec_lo, exec_lo, s12
	v_cmp_gt_i32_e32 vcc_lo, 0, v102
	s_wait_dscnt 0x0
	s_barrier_signal -1
	s_barrier_wait -1
	v_cndmask_b32_e32 v25, v102, v95, vcc_lo
	s_delay_alu instid0(VALU_DEP_1)
	v_dual_add_nc_u32 v23, v24, v23 :: v_dual_lshlrev_b32 v122, 2, v25
	ds_bpermute_b32 v23, v122, v23
	s_and_saveexec_b32 s12, s0
	s_cbranch_execz .LBB2040_94
; %bb.93:                               ;   in Loop: Header=BB2040_12 Depth=1
	s_wait_dscnt 0x0
	v_cndmask_b32_e64 v23, v23, v24, s6
	s_delay_alu instid0(VALU_DEP_1)
	v_add_nc_u32_e32 v23, s54, v23
	ds_store_b32 v3, v23
.LBB2040_94:                            ;   in Loop: Header=BB2040_12 Depth=1
	s_or_b32 exec_lo, exec_lo, s12
	s_clause 0x1
	s_load_b32 s12, s[34:35], 0x4
	s_load_b32 s14, s[34:35], 0xc
	s_mov_b32 s53, s56
                                        ; implicit-def: $vgpr30_vgpr31
                                        ; implicit-def: $vgpr32_vgpr33
                                        ; implicit-def: $vgpr34_vgpr35
                                        ; implicit-def: $vgpr36_vgpr37
                                        ; implicit-def: $vgpr38_vgpr39
                                        ; implicit-def: $vgpr40_vgpr41
                                        ; implicit-def: $vgpr42_vgpr43
                                        ; implicit-def: $vgpr44_vgpr45
                                        ; implicit-def: $vgpr46_vgpr47
                                        ; implicit-def: $vgpr48_vgpr49
                                        ; implicit-def: $vgpr50_vgpr51
                                        ; implicit-def: $vgpr52_vgpr53
                                        ; implicit-def: $vgpr54_vgpr55
                                        ; implicit-def: $vgpr56_vgpr57
                                        ; implicit-def: $vgpr58_vgpr59
                                        ; implicit-def: $vgpr123
                                        ; implicit-def: $vgpr124
                                        ; implicit-def: $vgpr125
                                        ; implicit-def: $vgpr126
                                        ; implicit-def: $vgpr127
                                        ; implicit-def: $vgpr128
                                        ; implicit-def: $vgpr129
                                        ; implicit-def: $vgpr130
                                        ; implicit-def: $vgpr131
                                        ; implicit-def: $vgpr132
                                        ; implicit-def: $vgpr133
                                        ; implicit-def: $vgpr134
                                        ; implicit-def: $vgpr135
                                        ; implicit-def: $vgpr136
                                        ; implicit-def: $vgpr137
                                        ; implicit-def: $vgpr138
	s_wait_kmcnt 0x0
	s_cmp_lt_u32 s31, s12
	s_cselect_b32 s42, 14, 20
	s_delay_alu instid0(SALU_CYCLE_1)
	s_add_nc_u64 s[12:13], s[34:35], s[42:43]
	s_mov_b32 s42, s54
	s_load_u16 s12, s[12:13], 0x0
	s_wait_xcnt 0x0
	v_cmp_lt_u32_e64 s13, 1, v101
	s_wait_dscnt 0x0
	s_wait_kmcnt 0x0
	v_mad_u32_u24 v23, v89, s12, v90
	s_and_b32 s12, s14, 0xffff
	v_cmp_lt_u32_e64 s14, 3, v101
	s_delay_alu instid0(VALU_DEP_2) | instskip(SKIP_2) | instid1(VALU_DEP_3)
	v_mad_u32 v24, v23, s12, v2
	v_mov_b32_e32 v23, v5
	v_cmp_eq_u32_e64 s12, 0, v101
	v_lshrrev_b32_e32 v28, 3, v24
	v_add_nc_u64_e32 v[24:25], v[0:1], v[4:5]
	s_delay_alu instid0(VALU_DEP_4) | instskip(NEXT) | instid1(VALU_DEP_3)
	v_add_nc_u64_e32 v[26:27], v[8:9], v[22:23]
	v_and_b32_e32 v23, 0x1ffffffc, v28
                                        ; implicit-def: $vgpr28_vgpr29
	s_branch .LBB2040_96
.LBB2040_95:                            ;   in Loop: Header=BB2040_96 Depth=2
	s_or_b32 exec_lo, exec_lo, s15
	s_addk_co_i32 s53, 0xf000
	s_cmp_lt_u32 s57, s51
	s_mov_b32 s42, s57
	s_cbranch_scc0 .LBB2040_304
.LBB2040_96:                            ;   Parent Loop BB2040_12 Depth=1
                                        ; =>  This Inner Loop Header: Depth=2
	s_add_co_i32 s57, s42, 0x1000
	s_delay_alu instid0(SALU_CYCLE_1)
	s_cmp_gt_u32 s57, s51
	s_cbranch_scc1 .LBB2040_98
; %bb.97:                               ;   in Loop: Header=BB2040_96 Depth=2
	s_delay_alu instid0(VALU_DEP_2)
	v_lshl_add_u64 v[60:61], s[42:43], 1, v[26:27]
	s_mov_b32 s15, -1
	s_clause 0xe
	global_load_u16 v140, v[60:61], off
	global_load_u16 v141, v[60:61], off offset:64
	global_load_u16 v144, v[60:61], off offset:128
	;; [unrolled: 1-line block ×14, first 2 shown]
	s_movk_i32 s16, 0x1000
	s_cbranch_execz .LBB2040_99
	s_branch .LBB2040_130
.LBB2040_98:                            ;   in Loop: Header=BB2040_96 Depth=2
	s_mov_b32 s15, 0
                                        ; implicit-def: $vgpr140
                                        ; implicit-def: $vgpr141
                                        ; implicit-def: $vgpr144
                                        ; implicit-def: $vgpr148
                                        ; implicit-def: $vgpr152
                                        ; implicit-def: $vgpr156
                                        ; implicit-def: $vgpr160
                                        ; implicit-def: $vgpr164
                                        ; implicit-def: $vgpr168
                                        ; implicit-def: $vgpr67
                                        ; implicit-def: $vgpr66
                                        ; implicit-def: $vgpr65
                                        ; implicit-def: $vgpr64
                                        ; implicit-def: $vgpr63
                                        ; implicit-def: $vgpr62
	s_movk_i32 s16, 0x1000
.LBB2040_99:                            ;   in Loop: Header=BB2040_96 Depth=2
	s_wait_xcnt 0x0
	v_lshl_add_u64 v[60:61], s[42:43], 1, v[26:27]
	s_wait_loadcnt 0xd
	v_dual_mov_b32 v141, 0x7fff :: v_dual_mov_b32 v140, 0x7fff
	s_mov_b32 s15, exec_lo
	v_cmpx_gt_u32_e64 s53, v100
	s_cbranch_execz .LBB2040_101
; %bb.100:                              ;   in Loop: Header=BB2040_96 Depth=2
	global_load_u16 v140, v[60:61], off
.LBB2040_101:                           ;   in Loop: Header=BB2040_96 Depth=2
	s_wait_xcnt 0x0
	s_or_b32 exec_lo, exec_lo, s15
	s_delay_alu instid0(SALU_CYCLE_1)
	s_mov_b32 s15, exec_lo
	v_cmpx_gt_u32_e64 s53, v103
	s_cbranch_execz .LBB2040_103
; %bb.102:                              ;   in Loop: Header=BB2040_96 Depth=2
	global_load_u16 v141, v[60:61], off offset:64
.LBB2040_103:                           ;   in Loop: Header=BB2040_96 Depth=2
	s_wait_xcnt 0x0
	s_or_b32 exec_lo, exec_lo, s15
	s_wait_loadcnt 0xb
	v_mov_b32_e32 v148, 0x7fff
	v_mov_b32_e32 v144, 0x7fff
	s_mov_b32 s15, exec_lo
	v_cmpx_gt_u32_e64 s53, v104
	s_cbranch_execz .LBB2040_105
; %bb.104:                              ;   in Loop: Header=BB2040_96 Depth=2
	global_load_u16 v144, v[60:61], off offset:128
.LBB2040_105:                           ;   in Loop: Header=BB2040_96 Depth=2
	s_wait_xcnt 0x0
	s_or_b32 exec_lo, exec_lo, s15
	s_delay_alu instid0(SALU_CYCLE_1)
	s_mov_b32 s15, exec_lo
	v_cmpx_gt_u32_e64 s53, v105
	s_cbranch_execz .LBB2040_107
; %bb.106:                              ;   in Loop: Header=BB2040_96 Depth=2
	global_load_u16 v148, v[60:61], off offset:192
.LBB2040_107:                           ;   in Loop: Header=BB2040_96 Depth=2
	s_wait_xcnt 0x0
	s_or_b32 exec_lo, exec_lo, s15
	s_wait_loadcnt 0x9
	v_mov_b32_e32 v156, 0x7fff
	v_mov_b32_e32 v152, 0x7fff
	s_mov_b32 s15, exec_lo
	v_cmpx_gt_u32_e64 s53, v106
	s_cbranch_execz .LBB2040_109
; %bb.108:                              ;   in Loop: Header=BB2040_96 Depth=2
	global_load_u16 v152, v[60:61], off offset:256
.LBB2040_109:                           ;   in Loop: Header=BB2040_96 Depth=2
	s_wait_xcnt 0x0
	s_or_b32 exec_lo, exec_lo, s15
	s_delay_alu instid0(SALU_CYCLE_1)
	s_mov_b32 s15, exec_lo
	v_cmpx_gt_u32_e64 s53, v107
	s_cbranch_execz .LBB2040_111
; %bb.110:                              ;   in Loop: Header=BB2040_96 Depth=2
	global_load_u16 v156, v[60:61], off offset:320
.LBB2040_111:                           ;   in Loop: Header=BB2040_96 Depth=2
	s_wait_xcnt 0x0
	s_or_b32 exec_lo, exec_lo, s15
	s_wait_loadcnt 0x7
	v_mov_b32_e32 v164, 0x7fff
	v_mov_b32_e32 v160, 0x7fff
	s_mov_b32 s15, exec_lo
	v_cmpx_gt_u32_e64 s53, v108
	s_cbranch_execz .LBB2040_113
; %bb.112:                              ;   in Loop: Header=BB2040_96 Depth=2
	global_load_u16 v160, v[60:61], off offset:384
.LBB2040_113:                           ;   in Loop: Header=BB2040_96 Depth=2
	s_wait_xcnt 0x0
	s_or_b32 exec_lo, exec_lo, s15
	s_delay_alu instid0(SALU_CYCLE_1)
	s_mov_b32 s15, exec_lo
	v_cmpx_gt_u32_e64 s53, v109
	s_cbranch_execz .LBB2040_115
; %bb.114:                              ;   in Loop: Header=BB2040_96 Depth=2
	global_load_u16 v164, v[60:61], off offset:448
.LBB2040_115:                           ;   in Loop: Header=BB2040_96 Depth=2
	s_wait_xcnt 0x0
	s_or_b32 exec_lo, exec_lo, s15
	s_wait_loadcnt 0x5
	v_dual_mov_b32 v67, 0x7fff :: v_dual_mov_b32 v168, 0x7fff
	s_mov_b32 s15, exec_lo
	v_cmpx_gt_u32_e64 s53, v110
	s_cbranch_execz .LBB2040_117
; %bb.116:                              ;   in Loop: Header=BB2040_96 Depth=2
	global_load_u16 v168, v[60:61], off offset:512
.LBB2040_117:                           ;   in Loop: Header=BB2040_96 Depth=2
	s_wait_xcnt 0x0
	s_or_b32 exec_lo, exec_lo, s15
	s_delay_alu instid0(SALU_CYCLE_1)
	s_mov_b32 s15, exec_lo
	v_cmpx_gt_u32_e64 s53, v111
	s_cbranch_execz .LBB2040_119
; %bb.118:                              ;   in Loop: Header=BB2040_96 Depth=2
	global_load_u16 v67, v[60:61], off offset:576
.LBB2040_119:                           ;   in Loop: Header=BB2040_96 Depth=2
	s_wait_xcnt 0x0
	s_or_b32 exec_lo, exec_lo, s15
	s_wait_loadcnt 0x3
	v_dual_mov_b32 v65, 0x7fff :: v_dual_mov_b32 v66, 0x7fff
	s_mov_b32 s15, exec_lo
	v_cmpx_gt_u32_e64 s53, v112
	s_cbranch_execz .LBB2040_121
; %bb.120:                              ;   in Loop: Header=BB2040_96 Depth=2
	global_load_u16 v66, v[60:61], off offset:640
.LBB2040_121:                           ;   in Loop: Header=BB2040_96 Depth=2
	;; [unrolled: 19-line block ×3, first 2 shown]
	s_wait_xcnt 0x0
	s_or_b32 exec_lo, exec_lo, s15
	s_delay_alu instid0(SALU_CYCLE_1)
	s_mov_b32 s15, exec_lo
	v_cmpx_gt_u32_e64 s53, v115
	s_cbranch_execz .LBB2040_127
; %bb.126:                              ;   in Loop: Header=BB2040_96 Depth=2
	global_load_u16 v63, v[60:61], off offset:832
.LBB2040_127:                           ;   in Loop: Header=BB2040_96 Depth=2
	s_wait_xcnt 0x0
	s_or_b32 exec_lo, exec_lo, s15
	s_wait_loadcnt 0x0
	v_mov_b32_e32 v62, 0x7fff
	s_mov_b32 s15, exec_lo
	v_cmpx_gt_u32_e64 s53, v116
	s_cbranch_execz .LBB2040_129
; %bb.128:                              ;   in Loop: Header=BB2040_96 Depth=2
	global_load_u16 v62, v[60:61], off offset:896
.LBB2040_129:                           ;   in Loop: Header=BB2040_96 Depth=2
	s_wait_xcnt 0x0
	s_or_b32 exec_lo, exec_lo, s15
	v_cmp_gt_u32_e64 s15, s53, v117
	s_sub_co_i32 s16, s51, s42
.LBB2040_130:                           ;   in Loop: Header=BB2040_96 Depth=2
	s_wait_xcnt 0x0
	v_dual_mov_b32 v60, 0x7fff :: v_dual_mov_b32 v139, s53
	s_and_saveexec_b32 s17, s15
	s_cbranch_execz .LBB2040_132
; %bb.131:                              ;   in Loop: Header=BB2040_96 Depth=2
	v_lshl_add_u64 v[60:61], s[42:43], 1, v[26:27]
	v_mov_b32_e32 v139, s16
	global_load_u16 v60, v[60:61], off offset:960
.LBB2040_132:                           ;   in Loop: Header=BB2040_96 Depth=2
	s_wait_xcnt 0x0
	s_or_b32 exec_lo, exec_lo, s17
	s_wait_loadcnt 0xe
	v_cmp_lt_i16_e64 vcc_lo, -1, v140
	ds_store_2addr_b32 v121, v5, v5 offset1:1
	ds_store_2addr_b32 v118, v5, v5 offset1:1
	;; [unrolled: 1-line block ×4, first 2 shown]
	ds_store_b32 v91, v5 offset:1088
	s_wait_loadcnt_dscnt 0x0
	s_barrier_signal -1
	v_cndmask_b32_e64 v61, -1, 0xffff8000, vcc_lo
	s_barrier_wait -1
	; wave barrier
	s_delay_alu instid0(VALU_DEP_1) | instskip(NEXT) | instid1(VALU_DEP_1)
	v_xor_b32_e32 v140, v61, v140
	v_cmp_ne_u16_e64 vcc_lo, 0x7fff, v140
	v_cndmask_b32_e32 v61, 0xffff8000, v140, vcc_lo
	s_delay_alu instid0(VALU_DEP_1) | instskip(NEXT) | instid1(VALU_DEP_1)
	v_and_b32_e32 v61, 0xffff, v61
	v_lshrrev_b32_e32 v61, s48, v61
	s_delay_alu instid0(VALU_DEP_1) | instskip(SKIP_1) | instid1(VALU_DEP_2)
	v_bitop3_b32 v142, v61, 1, s52 bitop3:0x80
	v_and_b32_e32 v143, s52, v61
	v_add_co_u32 v61, s15, v142, -1
	s_delay_alu instid0(VALU_DEP_1) | instskip(NEXT) | instid1(VALU_DEP_3)
	v_cndmask_b32_e64 v142, 0, 1, s15
	v_lshlrev_b32_e32 v145, 30, v143
	s_delay_alu instid0(VALU_DEP_2) | instskip(NEXT) | instid1(VALU_DEP_2)
	v_cmp_ne_u32_e32 vcc_lo, 0, v142
	v_not_b32_e32 v142, v145
	s_delay_alu instid0(VALU_DEP_1) | instskip(SKIP_3) | instid1(VALU_DEP_4)
	v_dual_ashrrev_i32 v142, 31, v142 :: v_dual_lshlrev_b32 v146, 29, v143
	v_dual_lshlrev_b32 v147, 28, v143 :: v_dual_lshlrev_b32 v149, 27, v143
	v_lshlrev_b32_e32 v150, 26, v143
	v_cmp_gt_i32_e64 s15, 0, v145
	v_cmp_gt_i32_e64 s16, 0, v146
	v_not_b32_e32 v145, v146
	v_not_b32_e32 v146, v147
	v_dual_lshlrev_b32 v151, 25, v143 :: v_dual_lshlrev_b32 v153, 24, v143
	v_cmp_gt_i32_e64 s17, 0, v147
	v_cmp_gt_i32_e64 s18, 0, v149
	v_not_b32_e32 v147, v149
	v_not_b32_e32 v149, v150
	v_dual_ashrrev_i32 v146, 31, v146 :: v_dual_bitop2_b32 v61, vcc_lo, v61 bitop3:0x14
	v_dual_ashrrev_i32 v145, 31, v145 :: v_dual_bitop2_b32 v142, s15, v142 bitop3:0x14
	v_cmp_gt_i32_e64 s19, 0, v150
	v_cmp_gt_i32_e64 s20, 0, v151
	v_not_b32_e32 v150, v151
	v_not_b32_e32 v151, v153
	v_dual_ashrrev_i32 v147, 31, v147 :: v_dual_ashrrev_i32 v149, 31, v149
	v_xor_b32_e32 v145, s16, v145
	v_xor_b32_e32 v146, s17, v146
	v_bitop3_b32 v61, v61, v142, exec_lo bitop3:0x80
	v_cmp_gt_i32_e64 s21, 0, v153
	v_dual_ashrrev_i32 v142, 31, v150 :: v_dual_ashrrev_i32 v150, 31, v151
	v_xor_b32_e32 v147, s18, v147
	s_delay_alu instid0(VALU_DEP_4) | instskip(SKIP_3) | instid1(VALU_DEP_3)
	v_bitop3_b32 v61, v61, v146, v145 bitop3:0x80
	v_mul_u32_u24_e32 v143, 36, v143
	v_xor_b32_e32 v149, s19, v149
	v_xor_b32_e32 v142, s20, v142
	v_dual_add_nc_u32 v143, v23, v143 :: v_dual_bitop2_b32 v145, s21, v150 bitop3:0x14
	s_delay_alu instid0(VALU_DEP_3) | instskip(NEXT) | instid1(VALU_DEP_1)
	v_bitop3_b32 v61, v61, v149, v147 bitop3:0x80
	v_bitop3_b32 v61, v61, v145, v142 bitop3:0x80
	s_delay_alu instid0(VALU_DEP_1) | instskip(SKIP_1) | instid1(VALU_DEP_2)
	v_mbcnt_lo_u32_b32 v142, v61, 0
	v_cmp_ne_u32_e64 s15, 0, v61
	v_cmp_eq_u32_e32 vcc_lo, 0, v142
	s_and_b32 s16, s15, vcc_lo
	s_delay_alu instid0(SALU_CYCLE_1)
	s_and_saveexec_b32 s15, s16
; %bb.133:                              ;   in Loop: Header=BB2040_96 Depth=2
	v_bcnt_u32_b32 v61, v61, 0
	ds_store_b32 v143, v61 offset:1056
; %bb.134:                              ;   in Loop: Header=BB2040_96 Depth=2
	s_or_b32 exec_lo, exec_lo, s15
	v_cmp_lt_i16_e64 vcc_lo, -1, v141
	; wave barrier
	s_delay_alu instid0(VALU_DEP_1) | instskip(NEXT) | instid1(VALU_DEP_1)
	v_cndmask_b32_e64 v61, -1, 0xffff8000, vcc_lo
	v_xor_b32_e32 v141, v61, v141
	s_delay_alu instid0(VALU_DEP_1) | instskip(SKIP_1) | instid1(VALU_DEP_1)
	v_cmp_ne_u16_e64 vcc_lo, 0x7fff, v141
	v_cndmask_b32_e32 v61, 0xffff8000, v141, vcc_lo
	v_and_b32_e32 v61, 0xffff, v61
	s_delay_alu instid0(VALU_DEP_1) | instskip(NEXT) | instid1(VALU_DEP_1)
	v_lshrrev_b32_e32 v61, s48, v61
	v_and_b32_e32 v147, s52, v61
	s_delay_alu instid0(VALU_DEP_1) | instskip(SKIP_2) | instid1(VALU_DEP_3)
	v_lshlrev_b32_e32 v149, 29, v147
	v_bitop3_b32 v145, v61, 1, s52 bitop3:0x80
	v_lshlrev_b32_e32 v146, 30, v147
	v_cmp_gt_i32_e64 s16, 0, v149
	s_delay_alu instid0(VALU_DEP_3) | instskip(NEXT) | instid1(VALU_DEP_1)
	v_add_co_u32 v61, s15, v145, -1
	v_cndmask_b32_e64 v145, 0, 1, s15
	s_delay_alu instid0(VALU_DEP_4) | instskip(NEXT) | instid1(VALU_DEP_2)
	v_cmp_gt_i32_e64 s15, 0, v146
	v_cmp_ne_u32_e32 vcc_lo, 0, v145
	v_not_b32_e32 v145, v146
	v_not_b32_e32 v146, v149
	s_delay_alu instid0(VALU_DEP_1) | instskip(SKIP_2) | instid1(VALU_DEP_3)
	v_dual_ashrrev_i32 v146, 31, v146 :: v_dual_lshlrev_b32 v150, 28, v147
	v_dual_lshlrev_b32 v151, 27, v147 :: v_dual_lshlrev_b32 v153, 26, v147
	v_dual_lshlrev_b32 v154, 25, v147 :: v_dual_lshlrev_b32 v155, 24, v147
	v_cmp_gt_i32_e64 s17, 0, v150
	v_not_b32_e32 v149, v150
	s_delay_alu instid0(VALU_DEP_4)
	v_not_b32_e32 v150, v151
	v_ashrrev_i32_e32 v145, 31, v145
	v_cmp_gt_i32_e64 s18, 0, v151
	v_cmp_gt_i32_e64 s19, 0, v153
	v_not_b32_e32 v151, v153
	v_cmp_gt_i32_e64 s20, 0, v154
	v_not_b32_e32 v153, v154
	v_not_b32_e32 v154, v155
	s_delay_alu instid0(VALU_DEP_4) | instskip(SKIP_3) | instid1(VALU_DEP_3)
	v_dual_ashrrev_i32 v151, 31, v151 :: v_dual_bitop2_b32 v61, vcc_lo, v61 bitop3:0x14
	v_dual_ashrrev_i32 v149, 31, v149 :: v_dual_bitop2_b32 v146, s16, v146 bitop3:0x14
	v_dual_ashrrev_i32 v150, 31, v150 :: v_dual_bitop2_b32 v145, s15, v145 bitop3:0x14
	v_cmp_gt_i32_e64 s21, 0, v155
	v_xor_b32_e32 v149, s17, v149
	v_xor_b32_e32 v151, s19, v151
	s_delay_alu instid0(VALU_DEP_4) | instskip(SKIP_2) | instid1(VALU_DEP_2)
	v_xor_b32_e32 v150, s18, v150
	v_bitop3_b32 v61, v61, v145, exec_lo bitop3:0x80
	v_dual_ashrrev_i32 v145, 31, v153 :: v_dual_ashrrev_i32 v153, 31, v154
	v_bitop3_b32 v61, v61, v149, v146 bitop3:0x80
	v_mad_u32_u24 v146, v147, 36, v23
	s_delay_alu instid0(VALU_DEP_3) | instskip(NEXT) | instid1(VALU_DEP_4)
	v_xor_b32_e32 v149, s20, v145
	v_xor_b32_e32 v153, s21, v153
	v_mul_u32_u24_e32 v147, 36, v147
	v_bitop3_b32 v61, v61, v151, v150 bitop3:0x80
	ds_load_b32 v145, v146 offset:1056
	; wave barrier
	v_add_nc_u32_e32 v147, v23, v147
	v_bitop3_b32 v61, v61, v153, v149 bitop3:0x80
	s_delay_alu instid0(VALU_DEP_1) | instskip(SKIP_1) | instid1(VALU_DEP_2)
	v_mbcnt_lo_u32_b32 v146, v61, 0
	v_cmp_ne_u32_e64 s15, 0, v61
	v_cmp_eq_u32_e32 vcc_lo, 0, v146
	s_and_b32 s16, s15, vcc_lo
	s_delay_alu instid0(SALU_CYCLE_1)
	s_and_saveexec_b32 s15, s16
	s_cbranch_execz .LBB2040_136
; %bb.135:                              ;   in Loop: Header=BB2040_96 Depth=2
	s_wait_dscnt 0x0
	v_bcnt_u32_b32 v61, v61, v145
	ds_store_b32 v147, v61 offset:1056
.LBB2040_136:                           ;   in Loop: Header=BB2040_96 Depth=2
	s_or_b32 exec_lo, exec_lo, s15
	v_cmp_lt_i16_e64 vcc_lo, -1, v144
	; wave barrier
	s_delay_alu instid0(VALU_DEP_1) | instskip(NEXT) | instid1(VALU_DEP_1)
	v_cndmask_b32_e64 v61, -1, 0xffff8000, vcc_lo
	v_xor_b32_e32 v144, v61, v144
	s_delay_alu instid0(VALU_DEP_1) | instskip(SKIP_1) | instid1(VALU_DEP_1)
	v_cmp_ne_u16_e64 vcc_lo, 0x7fff, v144
	v_cndmask_b32_e32 v61, 0xffff8000, v144, vcc_lo
	v_and_b32_e32 v61, 0xffff, v61
	s_delay_alu instid0(VALU_DEP_1) | instskip(NEXT) | instid1(VALU_DEP_1)
	v_lshrrev_b32_e32 v61, s48, v61
	v_bitop3_b32 v149, v61, 1, s52 bitop3:0x80
	v_and_b32_e32 v151, s52, v61
	s_delay_alu instid0(VALU_DEP_2) | instskip(NEXT) | instid1(VALU_DEP_1)
	v_add_co_u32 v61, s15, v149, -1
	v_cndmask_b32_e64 v149, 0, 1, s15
	s_delay_alu instid0(VALU_DEP_3) | instskip(NEXT) | instid1(VALU_DEP_2)
	v_dual_lshlrev_b32 v150, 30, v151 :: v_dual_lshlrev_b32 v153, 29, v151
	v_cmp_ne_u32_e32 vcc_lo, 0, v149
	s_delay_alu instid0(VALU_DEP_2) | instskip(SKIP_1) | instid1(VALU_DEP_4)
	v_cmp_gt_i32_e64 s15, 0, v150
	v_not_b32_e32 v149, v150
	v_not_b32_e32 v150, v153
	s_delay_alu instid0(VALU_DEP_1) | instskip(SKIP_3) | instid1(VALU_DEP_4)
	v_dual_ashrrev_i32 v150, 31, v150 :: v_dual_lshlrev_b32 v154, 28, v151
	v_dual_lshlrev_b32 v155, 27, v151 :: v_dual_lshlrev_b32 v157, 26, v151
	v_dual_lshlrev_b32 v158, 25, v151 :: v_dual_lshlrev_b32 v159, 24, v151
	v_cmp_gt_i32_e64 s16, 0, v153
	v_cmp_gt_i32_e64 s17, 0, v154
	v_not_b32_e32 v153, v154
	v_not_b32_e32 v154, v155
	v_ashrrev_i32_e32 v149, 31, v149
	v_cmp_gt_i32_e64 s18, 0, v155
	v_cmp_gt_i32_e64 s19, 0, v157
	v_not_b32_e32 v155, v157
	v_cmp_gt_i32_e64 s20, 0, v158
	v_not_b32_e32 v157, v158
	v_not_b32_e32 v158, v159
	s_delay_alu instid0(VALU_DEP_4) | instskip(SKIP_3) | instid1(VALU_DEP_3)
	v_dual_ashrrev_i32 v155, 31, v155 :: v_dual_bitop2_b32 v61, vcc_lo, v61 bitop3:0x14
	v_dual_ashrrev_i32 v153, 31, v153 :: v_dual_bitop2_b32 v150, s16, v150 bitop3:0x14
	v_dual_ashrrev_i32 v154, 31, v154 :: v_dual_bitop2_b32 v149, s15, v149 bitop3:0x14
	v_cmp_gt_i32_e64 s21, 0, v159
	v_xor_b32_e32 v153, s17, v153
	v_xor_b32_e32 v155, s19, v155
	s_delay_alu instid0(VALU_DEP_4) | instskip(SKIP_2) | instid1(VALU_DEP_2)
	v_xor_b32_e32 v154, s18, v154
	v_bitop3_b32 v61, v61, v149, exec_lo bitop3:0x80
	v_dual_ashrrev_i32 v149, 31, v157 :: v_dual_ashrrev_i32 v157, 31, v158
	v_bitop3_b32 v61, v61, v153, v150 bitop3:0x80
	v_mad_u32_u24 v150, v151, 36, v23
	s_delay_alu instid0(VALU_DEP_3) | instskip(NEXT) | instid1(VALU_DEP_4)
	v_xor_b32_e32 v153, s20, v149
	v_xor_b32_e32 v157, s21, v157
	v_mul_u32_u24_e32 v151, 36, v151
	v_bitop3_b32 v61, v61, v155, v154 bitop3:0x80
	ds_load_b32 v149, v150 offset:1056
	; wave barrier
	v_add_nc_u32_e32 v151, v23, v151
	v_bitop3_b32 v61, v61, v157, v153 bitop3:0x80
	s_delay_alu instid0(VALU_DEP_1) | instskip(SKIP_1) | instid1(VALU_DEP_2)
	v_mbcnt_lo_u32_b32 v150, v61, 0
	v_cmp_ne_u32_e64 s15, 0, v61
	v_cmp_eq_u32_e32 vcc_lo, 0, v150
	s_and_b32 s16, s15, vcc_lo
	s_delay_alu instid0(SALU_CYCLE_1)
	s_and_saveexec_b32 s15, s16
	s_cbranch_execz .LBB2040_138
; %bb.137:                              ;   in Loop: Header=BB2040_96 Depth=2
	s_wait_dscnt 0x0
	v_bcnt_u32_b32 v61, v61, v149
	ds_store_b32 v151, v61 offset:1056
.LBB2040_138:                           ;   in Loop: Header=BB2040_96 Depth=2
	s_or_b32 exec_lo, exec_lo, s15
	v_cmp_lt_i16_e64 vcc_lo, -1, v148
	; wave barrier
	s_delay_alu instid0(VALU_DEP_1) | instskip(NEXT) | instid1(VALU_DEP_1)
	v_cndmask_b32_e64 v61, -1, 0xffff8000, vcc_lo
	v_xor_b32_e32 v148, v61, v148
	s_delay_alu instid0(VALU_DEP_1) | instskip(SKIP_1) | instid1(VALU_DEP_1)
	v_cmp_ne_u16_e64 vcc_lo, 0x7fff, v148
	v_cndmask_b32_e32 v61, 0xffff8000, v148, vcc_lo
	v_and_b32_e32 v61, 0xffff, v61
	s_delay_alu instid0(VALU_DEP_1) | instskip(NEXT) | instid1(VALU_DEP_1)
	v_lshrrev_b32_e32 v61, s48, v61
	v_bitop3_b32 v153, v61, 1, s52 bitop3:0x80
	v_and_b32_e32 v155, s52, v61
	s_delay_alu instid0(VALU_DEP_2) | instskip(NEXT) | instid1(VALU_DEP_1)
	v_add_co_u32 v61, s15, v153, -1
	v_cndmask_b32_e64 v153, 0, 1, s15
	s_delay_alu instid0(VALU_DEP_3) | instskip(NEXT) | instid1(VALU_DEP_2)
	v_dual_lshlrev_b32 v154, 30, v155 :: v_dual_lshlrev_b32 v157, 29, v155
	v_cmp_ne_u32_e32 vcc_lo, 0, v153
	s_delay_alu instid0(VALU_DEP_2) | instskip(SKIP_1) | instid1(VALU_DEP_4)
	v_cmp_gt_i32_e64 s15, 0, v154
	v_not_b32_e32 v153, v154
	v_not_b32_e32 v154, v157
	s_delay_alu instid0(VALU_DEP_1) | instskip(SKIP_3) | instid1(VALU_DEP_4)
	v_dual_ashrrev_i32 v154, 31, v154 :: v_dual_lshlrev_b32 v158, 28, v155
	v_dual_lshlrev_b32 v159, 27, v155 :: v_dual_lshlrev_b32 v161, 26, v155
	v_dual_lshlrev_b32 v162, 25, v155 :: v_dual_lshlrev_b32 v163, 24, v155
	v_cmp_gt_i32_e64 s16, 0, v157
	v_cmp_gt_i32_e64 s17, 0, v158
	v_not_b32_e32 v157, v158
	v_not_b32_e32 v158, v159
	v_ashrrev_i32_e32 v153, 31, v153
	v_cmp_gt_i32_e64 s18, 0, v159
	v_cmp_gt_i32_e64 s19, 0, v161
	v_not_b32_e32 v159, v161
	v_cmp_gt_i32_e64 s20, 0, v162
	v_not_b32_e32 v161, v162
	v_not_b32_e32 v162, v163
	s_delay_alu instid0(VALU_DEP_4) | instskip(SKIP_3) | instid1(VALU_DEP_3)
	v_dual_ashrrev_i32 v159, 31, v159 :: v_dual_bitop2_b32 v61, vcc_lo, v61 bitop3:0x14
	v_dual_ashrrev_i32 v157, 31, v157 :: v_dual_bitop2_b32 v154, s16, v154 bitop3:0x14
	v_dual_ashrrev_i32 v158, 31, v158 :: v_dual_bitop2_b32 v153, s15, v153 bitop3:0x14
	v_cmp_gt_i32_e64 s21, 0, v163
	v_xor_b32_e32 v157, s17, v157
	v_xor_b32_e32 v159, s19, v159
	s_delay_alu instid0(VALU_DEP_4) | instskip(SKIP_2) | instid1(VALU_DEP_2)
	v_xor_b32_e32 v158, s18, v158
	v_bitop3_b32 v61, v61, v153, exec_lo bitop3:0x80
	v_dual_ashrrev_i32 v153, 31, v161 :: v_dual_ashrrev_i32 v161, 31, v162
	v_bitop3_b32 v61, v61, v157, v154 bitop3:0x80
	v_mad_u32_u24 v154, v155, 36, v23
	s_delay_alu instid0(VALU_DEP_3) | instskip(NEXT) | instid1(VALU_DEP_4)
	v_xor_b32_e32 v157, s20, v153
	v_xor_b32_e32 v161, s21, v161
	v_mul_u32_u24_e32 v155, 36, v155
	v_bitop3_b32 v61, v61, v159, v158 bitop3:0x80
	ds_load_b32 v153, v154 offset:1056
	; wave barrier
	v_add_nc_u32_e32 v155, v23, v155
	v_bitop3_b32 v61, v61, v161, v157 bitop3:0x80
	s_delay_alu instid0(VALU_DEP_1) | instskip(SKIP_1) | instid1(VALU_DEP_2)
	v_mbcnt_lo_u32_b32 v154, v61, 0
	v_cmp_ne_u32_e64 s15, 0, v61
	v_cmp_eq_u32_e32 vcc_lo, 0, v154
	s_and_b32 s16, s15, vcc_lo
	s_delay_alu instid0(SALU_CYCLE_1)
	s_and_saveexec_b32 s15, s16
	s_cbranch_execz .LBB2040_140
; %bb.139:                              ;   in Loop: Header=BB2040_96 Depth=2
	s_wait_dscnt 0x0
	v_bcnt_u32_b32 v61, v61, v153
	ds_store_b32 v155, v61 offset:1056
.LBB2040_140:                           ;   in Loop: Header=BB2040_96 Depth=2
	s_or_b32 exec_lo, exec_lo, s15
	v_cmp_lt_i16_e64 vcc_lo, -1, v152
	; wave barrier
	s_delay_alu instid0(VALU_DEP_1) | instskip(NEXT) | instid1(VALU_DEP_1)
	v_cndmask_b32_e64 v61, -1, 0xffff8000, vcc_lo
	v_xor_b32_e32 v152, v61, v152
	s_delay_alu instid0(VALU_DEP_1) | instskip(SKIP_1) | instid1(VALU_DEP_1)
	v_cmp_ne_u16_e64 vcc_lo, 0x7fff, v152
	v_cndmask_b32_e32 v61, 0xffff8000, v152, vcc_lo
	v_and_b32_e32 v61, 0xffff, v61
	s_delay_alu instid0(VALU_DEP_1) | instskip(NEXT) | instid1(VALU_DEP_1)
	v_lshrrev_b32_e32 v61, s48, v61
	v_bitop3_b32 v157, v61, 1, s52 bitop3:0x80
	v_and_b32_e32 v159, s52, v61
	s_delay_alu instid0(VALU_DEP_2) | instskip(NEXT) | instid1(VALU_DEP_1)
	v_add_co_u32 v61, s15, v157, -1
	v_cndmask_b32_e64 v157, 0, 1, s15
	s_delay_alu instid0(VALU_DEP_3) | instskip(NEXT) | instid1(VALU_DEP_2)
	v_dual_lshlrev_b32 v158, 30, v159 :: v_dual_lshlrev_b32 v161, 29, v159
	v_cmp_ne_u32_e32 vcc_lo, 0, v157
	s_delay_alu instid0(VALU_DEP_2) | instskip(SKIP_1) | instid1(VALU_DEP_4)
	v_cmp_gt_i32_e64 s15, 0, v158
	v_not_b32_e32 v157, v158
	v_not_b32_e32 v158, v161
	s_delay_alu instid0(VALU_DEP_1) | instskip(SKIP_3) | instid1(VALU_DEP_4)
	v_dual_ashrrev_i32 v158, 31, v158 :: v_dual_lshlrev_b32 v162, 28, v159
	v_dual_lshlrev_b32 v163, 27, v159 :: v_dual_lshlrev_b32 v165, 26, v159
	v_dual_lshlrev_b32 v166, 25, v159 :: v_dual_lshlrev_b32 v167, 24, v159
	v_cmp_gt_i32_e64 s16, 0, v161
	v_cmp_gt_i32_e64 s17, 0, v162
	v_not_b32_e32 v161, v162
	v_not_b32_e32 v162, v163
	v_ashrrev_i32_e32 v157, 31, v157
	v_cmp_gt_i32_e64 s18, 0, v163
	v_cmp_gt_i32_e64 s19, 0, v165
	v_not_b32_e32 v163, v165
	v_cmp_gt_i32_e64 s20, 0, v166
	v_not_b32_e32 v165, v166
	v_not_b32_e32 v166, v167
	s_delay_alu instid0(VALU_DEP_4) | instskip(SKIP_3) | instid1(VALU_DEP_3)
	v_dual_ashrrev_i32 v163, 31, v163 :: v_dual_bitop2_b32 v61, vcc_lo, v61 bitop3:0x14
	v_dual_ashrrev_i32 v161, 31, v161 :: v_dual_bitop2_b32 v158, s16, v158 bitop3:0x14
	v_dual_ashrrev_i32 v162, 31, v162 :: v_dual_bitop2_b32 v157, s15, v157 bitop3:0x14
	v_cmp_gt_i32_e64 s21, 0, v167
	v_xor_b32_e32 v161, s17, v161
	v_xor_b32_e32 v163, s19, v163
	s_delay_alu instid0(VALU_DEP_4) | instskip(SKIP_2) | instid1(VALU_DEP_2)
	v_xor_b32_e32 v162, s18, v162
	v_bitop3_b32 v61, v61, v157, exec_lo bitop3:0x80
	v_dual_ashrrev_i32 v157, 31, v165 :: v_dual_ashrrev_i32 v165, 31, v166
	v_bitop3_b32 v61, v61, v161, v158 bitop3:0x80
	v_mad_u32_u24 v158, v159, 36, v23
	s_delay_alu instid0(VALU_DEP_3) | instskip(NEXT) | instid1(VALU_DEP_4)
	v_xor_b32_e32 v161, s20, v157
	v_xor_b32_e32 v165, s21, v165
	v_mul_u32_u24_e32 v159, 36, v159
	v_bitop3_b32 v61, v61, v163, v162 bitop3:0x80
	ds_load_b32 v157, v158 offset:1056
	; wave barrier
	v_add_nc_u32_e32 v159, v23, v159
	v_bitop3_b32 v61, v61, v165, v161 bitop3:0x80
	s_delay_alu instid0(VALU_DEP_1) | instskip(SKIP_1) | instid1(VALU_DEP_2)
	v_mbcnt_lo_u32_b32 v158, v61, 0
	v_cmp_ne_u32_e64 s15, 0, v61
	v_cmp_eq_u32_e32 vcc_lo, 0, v158
	s_and_b32 s16, s15, vcc_lo
	s_delay_alu instid0(SALU_CYCLE_1)
	s_and_saveexec_b32 s15, s16
	s_cbranch_execz .LBB2040_142
; %bb.141:                              ;   in Loop: Header=BB2040_96 Depth=2
	s_wait_dscnt 0x0
	v_bcnt_u32_b32 v61, v61, v157
	ds_store_b32 v159, v61 offset:1056
.LBB2040_142:                           ;   in Loop: Header=BB2040_96 Depth=2
	s_or_b32 exec_lo, exec_lo, s15
	v_cmp_lt_i16_e64 vcc_lo, -1, v156
	; wave barrier
	s_delay_alu instid0(VALU_DEP_1) | instskip(NEXT) | instid1(VALU_DEP_1)
	v_cndmask_b32_e64 v61, -1, 0xffff8000, vcc_lo
	v_xor_b32_e32 v156, v61, v156
	s_delay_alu instid0(VALU_DEP_1) | instskip(SKIP_1) | instid1(VALU_DEP_1)
	v_cmp_ne_u16_e64 vcc_lo, 0x7fff, v156
	v_cndmask_b32_e32 v61, 0xffff8000, v156, vcc_lo
	v_and_b32_e32 v61, 0xffff, v61
	s_delay_alu instid0(VALU_DEP_1) | instskip(NEXT) | instid1(VALU_DEP_1)
	v_lshrrev_b32_e32 v61, s48, v61
	v_bitop3_b32 v161, v61, 1, s52 bitop3:0x80
	v_and_b32_e32 v163, s52, v61
	s_delay_alu instid0(VALU_DEP_2) | instskip(NEXT) | instid1(VALU_DEP_1)
	v_add_co_u32 v61, s15, v161, -1
	v_cndmask_b32_e64 v161, 0, 1, s15
	s_delay_alu instid0(VALU_DEP_3) | instskip(NEXT) | instid1(VALU_DEP_2)
	v_dual_lshlrev_b32 v162, 30, v163 :: v_dual_lshlrev_b32 v165, 29, v163
	v_cmp_ne_u32_e32 vcc_lo, 0, v161
	s_delay_alu instid0(VALU_DEP_2) | instskip(SKIP_1) | instid1(VALU_DEP_4)
	v_cmp_gt_i32_e64 s15, 0, v162
	v_not_b32_e32 v161, v162
	v_not_b32_e32 v162, v165
	s_delay_alu instid0(VALU_DEP_1) | instskip(SKIP_3) | instid1(VALU_DEP_4)
	v_dual_ashrrev_i32 v162, 31, v162 :: v_dual_lshlrev_b32 v166, 28, v163
	v_dual_lshlrev_b32 v167, 27, v163 :: v_dual_lshlrev_b32 v169, 26, v163
	v_dual_lshlrev_b32 v170, 25, v163 :: v_dual_lshlrev_b32 v171, 24, v163
	v_cmp_gt_i32_e64 s16, 0, v165
	v_cmp_gt_i32_e64 s17, 0, v166
	v_not_b32_e32 v165, v166
	v_not_b32_e32 v166, v167
	v_ashrrev_i32_e32 v161, 31, v161
	v_cmp_gt_i32_e64 s18, 0, v167
	v_cmp_gt_i32_e64 s19, 0, v169
	v_not_b32_e32 v167, v169
	v_cmp_gt_i32_e64 s20, 0, v170
	v_not_b32_e32 v169, v170
	v_not_b32_e32 v170, v171
	s_delay_alu instid0(VALU_DEP_4) | instskip(SKIP_3) | instid1(VALU_DEP_3)
	v_dual_ashrrev_i32 v167, 31, v167 :: v_dual_bitop2_b32 v61, vcc_lo, v61 bitop3:0x14
	v_dual_ashrrev_i32 v165, 31, v165 :: v_dual_bitop2_b32 v162, s16, v162 bitop3:0x14
	v_dual_ashrrev_i32 v166, 31, v166 :: v_dual_bitop2_b32 v161, s15, v161 bitop3:0x14
	v_cmp_gt_i32_e64 s21, 0, v171
	v_xor_b32_e32 v165, s17, v165
	v_xor_b32_e32 v167, s19, v167
	s_delay_alu instid0(VALU_DEP_4) | instskip(SKIP_2) | instid1(VALU_DEP_2)
	v_xor_b32_e32 v166, s18, v166
	v_bitop3_b32 v61, v61, v161, exec_lo bitop3:0x80
	v_dual_ashrrev_i32 v161, 31, v169 :: v_dual_ashrrev_i32 v169, 31, v170
	v_bitop3_b32 v61, v61, v165, v162 bitop3:0x80
	v_mad_u32_u24 v162, v163, 36, v23
	s_delay_alu instid0(VALU_DEP_3) | instskip(NEXT) | instid1(VALU_DEP_4)
	v_xor_b32_e32 v165, s20, v161
	v_xor_b32_e32 v169, s21, v169
	v_mul_u32_u24_e32 v163, 36, v163
	v_bitop3_b32 v61, v61, v167, v166 bitop3:0x80
	ds_load_b32 v161, v162 offset:1056
	; wave barrier
	v_add_nc_u32_e32 v163, v23, v163
	v_bitop3_b32 v61, v61, v169, v165 bitop3:0x80
	s_delay_alu instid0(VALU_DEP_1) | instskip(SKIP_1) | instid1(VALU_DEP_2)
	v_mbcnt_lo_u32_b32 v162, v61, 0
	v_cmp_ne_u32_e64 s15, 0, v61
	v_cmp_eq_u32_e32 vcc_lo, 0, v162
	s_and_b32 s16, s15, vcc_lo
	s_delay_alu instid0(SALU_CYCLE_1)
	s_and_saveexec_b32 s15, s16
	s_cbranch_execz .LBB2040_144
; %bb.143:                              ;   in Loop: Header=BB2040_96 Depth=2
	s_wait_dscnt 0x0
	v_bcnt_u32_b32 v61, v61, v161
	ds_store_b32 v163, v61 offset:1056
.LBB2040_144:                           ;   in Loop: Header=BB2040_96 Depth=2
	s_or_b32 exec_lo, exec_lo, s15
	v_cmp_lt_i16_e64 vcc_lo, -1, v160
	; wave barrier
	s_delay_alu instid0(VALU_DEP_1) | instskip(NEXT) | instid1(VALU_DEP_1)
	v_cndmask_b32_e64 v61, -1, 0xffff8000, vcc_lo
	v_xor_b32_e32 v160, v61, v160
	s_delay_alu instid0(VALU_DEP_1) | instskip(SKIP_1) | instid1(VALU_DEP_1)
	v_cmp_ne_u16_e64 vcc_lo, 0x7fff, v160
	v_cndmask_b32_e32 v61, 0xffff8000, v160, vcc_lo
	v_and_b32_e32 v61, 0xffff, v61
	s_delay_alu instid0(VALU_DEP_1) | instskip(NEXT) | instid1(VALU_DEP_1)
	v_lshrrev_b32_e32 v61, s48, v61
	v_bitop3_b32 v165, v61, 1, s52 bitop3:0x80
	v_and_b32_e32 v167, s52, v61
	s_delay_alu instid0(VALU_DEP_2) | instskip(NEXT) | instid1(VALU_DEP_1)
	v_add_co_u32 v61, s15, v165, -1
	v_cndmask_b32_e64 v165, 0, 1, s15
	s_delay_alu instid0(VALU_DEP_3) | instskip(NEXT) | instid1(VALU_DEP_2)
	v_dual_lshlrev_b32 v166, 30, v167 :: v_dual_lshlrev_b32 v169, 29, v167
	v_cmp_ne_u32_e32 vcc_lo, 0, v165
	s_delay_alu instid0(VALU_DEP_2) | instskip(SKIP_1) | instid1(VALU_DEP_4)
	v_cmp_gt_i32_e64 s15, 0, v166
	v_not_b32_e32 v165, v166
	v_not_b32_e32 v166, v169
	s_delay_alu instid0(VALU_DEP_1) | instskip(SKIP_3) | instid1(VALU_DEP_4)
	v_dual_ashrrev_i32 v166, 31, v166 :: v_dual_lshlrev_b32 v170, 28, v167
	v_dual_lshlrev_b32 v171, 27, v167 :: v_dual_lshlrev_b32 v172, 26, v167
	v_cmp_gt_i32_e64 s16, 0, v169
	v_dual_lshlrev_b32 v173, 25, v167 :: v_dual_lshlrev_b32 v174, 24, v167
	v_cmp_gt_i32_e64 s17, 0, v170
	v_not_b32_e32 v169, v170
	v_not_b32_e32 v170, v171
	v_ashrrev_i32_e32 v165, 31, v165
	v_cmp_gt_i32_e64 s18, 0, v171
	v_not_b32_e32 v171, v172
	v_xor_b32_e32 v61, vcc_lo, v61
	v_dual_ashrrev_i32 v169, 31, v169 :: v_dual_bitop2_b32 v166, s16, v166 bitop3:0x14
	v_dual_ashrrev_i32 v170, 31, v170 :: v_dual_bitop2_b32 v165, s15, v165 bitop3:0x14
	v_cmp_gt_i32_e64 s19, 0, v172
	v_cmp_gt_i32_e64 s20, 0, v173
	v_not_b32_e32 v172, v173
	v_not_b32_e32 v173, v174
	v_dual_ashrrev_i32 v171, 31, v171 :: v_dual_bitop2_b32 v169, s17, v169 bitop3:0x14
	v_bitop3_b32 v61, v61, v165, exec_lo bitop3:0x80
	v_cmp_gt_i32_e64 s21, 0, v174
	s_delay_alu instid0(VALU_DEP_4)
	v_dual_ashrrev_i32 v165, 31, v172 :: v_dual_ashrrev_i32 v172, 31, v173
	v_xor_b32_e32 v170, s18, v170
	v_xor_b32_e32 v171, s19, v171
	v_bitop3_b32 v61, v61, v169, v166 bitop3:0x80
	v_mad_u32_u24 v166, v167, 36, v23
	v_xor_b32_e32 v169, s20, v165
	v_xor_b32_e32 v172, s21, v172
	v_mul_u32_u24_e32 v167, 36, v167
	v_bitop3_b32 v61, v61, v171, v170 bitop3:0x80
	ds_load_b32 v165, v166 offset:1056
	; wave barrier
	v_add_nc_u32_e32 v167, v23, v167
	v_bitop3_b32 v61, v61, v172, v169 bitop3:0x80
	s_delay_alu instid0(VALU_DEP_1) | instskip(SKIP_1) | instid1(VALU_DEP_2)
	v_mbcnt_lo_u32_b32 v166, v61, 0
	v_cmp_ne_u32_e64 s15, 0, v61
	v_cmp_eq_u32_e32 vcc_lo, 0, v166
	s_and_b32 s16, s15, vcc_lo
	s_delay_alu instid0(SALU_CYCLE_1)
	s_and_saveexec_b32 s15, s16
	s_cbranch_execz .LBB2040_146
; %bb.145:                              ;   in Loop: Header=BB2040_96 Depth=2
	s_wait_dscnt 0x0
	v_bcnt_u32_b32 v61, v61, v165
	ds_store_b32 v167, v61 offset:1056
.LBB2040_146:                           ;   in Loop: Header=BB2040_96 Depth=2
	s_or_b32 exec_lo, exec_lo, s15
	v_cmp_lt_i16_e64 vcc_lo, -1, v164
	; wave barrier
	s_delay_alu instid0(VALU_DEP_1) | instskip(NEXT) | instid1(VALU_DEP_1)
	v_cndmask_b32_e64 v61, -1, 0xffff8000, vcc_lo
	v_xor_b32_e32 v164, v61, v164
	s_delay_alu instid0(VALU_DEP_1) | instskip(SKIP_1) | instid1(VALU_DEP_1)
	v_cmp_ne_u16_e64 vcc_lo, 0x7fff, v164
	v_cndmask_b32_e32 v61, 0xffff8000, v164, vcc_lo
	v_and_b32_e32 v61, 0xffff, v61
	s_delay_alu instid0(VALU_DEP_1) | instskip(NEXT) | instid1(VALU_DEP_1)
	v_lshrrev_b32_e32 v61, s48, v61
	v_bitop3_b32 v169, v61, 1, s52 bitop3:0x80
	v_and_b32_e32 v171, s52, v61
	s_delay_alu instid0(VALU_DEP_2) | instskip(NEXT) | instid1(VALU_DEP_1)
	v_add_co_u32 v61, s15, v169, -1
	v_cndmask_b32_e64 v169, 0, 1, s15
	s_delay_alu instid0(VALU_DEP_3) | instskip(NEXT) | instid1(VALU_DEP_2)
	v_dual_lshlrev_b32 v170, 30, v171 :: v_dual_lshlrev_b32 v172, 29, v171
	v_cmp_ne_u32_e32 vcc_lo, 0, v169
	s_delay_alu instid0(VALU_DEP_2) | instskip(SKIP_1) | instid1(VALU_DEP_4)
	v_cmp_gt_i32_e64 s15, 0, v170
	v_not_b32_e32 v169, v170
	v_not_b32_e32 v170, v172
	s_delay_alu instid0(VALU_DEP_1) | instskip(SKIP_3) | instid1(VALU_DEP_4)
	v_dual_ashrrev_i32 v170, 31, v170 :: v_dual_lshlrev_b32 v173, 28, v171
	v_dual_lshlrev_b32 v174, 27, v171 :: v_dual_lshlrev_b32 v175, 26, v171
	v_dual_lshlrev_b32 v176, 25, v171 :: v_dual_lshlrev_b32 v177, 24, v171
	v_cmp_gt_i32_e64 s16, 0, v172
	v_not_b32_e32 v172, v173
	v_ashrrev_i32_e32 v169, 31, v169
	v_cmp_gt_i32_e64 s17, 0, v173
	v_cmp_gt_i32_e64 s18, 0, v174
	v_not_b32_e32 v173, v174
	v_cmp_gt_i32_e64 s19, 0, v175
	v_not_b32_e32 v174, v175
	;; [unrolled: 2-line block ×3, first 2 shown]
	v_not_b32_e32 v176, v177
	s_delay_alu instid0(VALU_DEP_4) | instskip(SKIP_3) | instid1(VALU_DEP_3)
	v_dual_ashrrev_i32 v174, 31, v174 :: v_dual_bitop2_b32 v61, vcc_lo, v61 bitop3:0x14
	v_dual_ashrrev_i32 v172, 31, v172 :: v_dual_bitop2_b32 v169, s15, v169 bitop3:0x14
	v_dual_ashrrev_i32 v173, 31, v173 :: v_dual_bitop2_b32 v170, s16, v170 bitop3:0x14
	v_cmp_gt_i32_e64 s21, 0, v177
	v_xor_b32_e32 v172, s17, v172
	s_delay_alu instid0(VALU_DEP_4) | instskip(SKIP_2) | instid1(VALU_DEP_3)
	v_bitop3_b32 v61, v61, v169, exec_lo bitop3:0x80
	v_dual_ashrrev_i32 v169, 31, v175 :: v_dual_ashrrev_i32 v175, 31, v176
	v_xor_b32_e32 v174, s19, v174
	v_bitop3_b32 v61, v61, v172, v170 bitop3:0x80
	v_mad_u32_u24 v170, v171, 36, v23
	v_mul_u32_u24_e32 v171, 36, v171
	v_xor_b32_e32 v173, s18, v173
	v_xor_b32_e32 v172, s20, v169
	v_xor_b32_e32 v175, s21, v175
	ds_load_b32 v169, v170 offset:1056
	v_add_nc_u32_e32 v171, v23, v171
	v_bitop3_b32 v61, v61, v174, v173 bitop3:0x80
	; wave barrier
	s_delay_alu instid0(VALU_DEP_1) | instskip(NEXT) | instid1(VALU_DEP_1)
	v_bitop3_b32 v61, v61, v175, v172 bitop3:0x80
	v_mbcnt_lo_u32_b32 v170, v61, 0
	v_cmp_ne_u32_e64 s15, 0, v61
	s_delay_alu instid0(VALU_DEP_2) | instskip(SKIP_1) | instid1(SALU_CYCLE_1)
	v_cmp_eq_u32_e32 vcc_lo, 0, v170
	s_and_b32 s16, s15, vcc_lo
	s_and_saveexec_b32 s15, s16
	s_cbranch_execz .LBB2040_148
; %bb.147:                              ;   in Loop: Header=BB2040_96 Depth=2
	s_wait_dscnt 0x0
	v_bcnt_u32_b32 v61, v61, v169
	ds_store_b32 v171, v61 offset:1056
.LBB2040_148:                           ;   in Loop: Header=BB2040_96 Depth=2
	s_or_b32 exec_lo, exec_lo, s15
	v_cmp_lt_i16_e64 vcc_lo, -1, v168
	; wave barrier
	s_delay_alu instid0(VALU_DEP_1) | instskip(NEXT) | instid1(VALU_DEP_1)
	v_cndmask_b32_e64 v61, -1, 0xffff8000, vcc_lo
	v_xor_b32_e32 v168, v61, v168
	s_delay_alu instid0(VALU_DEP_1) | instskip(SKIP_1) | instid1(VALU_DEP_1)
	v_cmp_ne_u16_e64 vcc_lo, 0x7fff, v168
	v_cndmask_b32_e32 v61, 0xffff8000, v168, vcc_lo
	v_and_b32_e32 v61, 0xffff, v61
	s_delay_alu instid0(VALU_DEP_1) | instskip(NEXT) | instid1(VALU_DEP_1)
	v_lshrrev_b32_e32 v61, s48, v61
	v_bitop3_b32 v172, v61, 1, s52 bitop3:0x80
	v_and_b32_e32 v175, s52, v61
	s_delay_alu instid0(VALU_DEP_2) | instskip(NEXT) | instid1(VALU_DEP_1)
	v_add_co_u32 v61, s15, v172, -1
	v_cndmask_b32_e64 v172, 0, 1, s15
	s_delay_alu instid0(VALU_DEP_3) | instskip(NEXT) | instid1(VALU_DEP_2)
	v_lshlrev_b32_e32 v173, 30, v175
	v_cmp_ne_u32_e32 vcc_lo, 0, v172
	s_delay_alu instid0(VALU_DEP_2) | instskip(NEXT) | instid1(VALU_DEP_1)
	v_not_b32_e32 v172, v173
	v_dual_ashrrev_i32 v172, 31, v172 :: v_dual_lshlrev_b32 v174, 29, v175
	v_dual_lshlrev_b32 v176, 28, v175 :: v_dual_lshlrev_b32 v177, 27, v175
	v_lshlrev_b32_e32 v178, 26, v175
	v_cmp_gt_i32_e64 s15, 0, v173
	s_delay_alu instid0(VALU_DEP_4)
	v_cmp_gt_i32_e64 s16, 0, v174
	v_not_b32_e32 v173, v174
	v_not_b32_e32 v174, v176
	v_dual_lshlrev_b32 v179, 25, v175 :: v_dual_lshlrev_b32 v180, 24, v175
	v_cmp_gt_i32_e64 s17, 0, v176
	v_cmp_gt_i32_e64 s18, 0, v177
	v_not_b32_e32 v176, v177
	v_not_b32_e32 v177, v178
	v_dual_ashrrev_i32 v174, 31, v174 :: v_dual_bitop2_b32 v61, vcc_lo, v61 bitop3:0x14
	v_dual_ashrrev_i32 v173, 31, v173 :: v_dual_bitop2_b32 v172, s15, v172 bitop3:0x14
	v_cmp_gt_i32_e64 s19, 0, v178
	v_cmp_gt_i32_e64 s20, 0, v179
	v_not_b32_e32 v178, v179
	v_not_b32_e32 v179, v180
	v_dual_ashrrev_i32 v176, 31, v176 :: v_dual_ashrrev_i32 v177, 31, v177
	v_xor_b32_e32 v173, s16, v173
	v_xor_b32_e32 v174, s17, v174
	v_bitop3_b32 v61, v61, v172, exec_lo bitop3:0x80
	v_cmp_gt_i32_e64 s21, 0, v180
	v_dual_ashrrev_i32 v172, 31, v178 :: v_dual_ashrrev_i32 v178, 31, v179
	v_xor_b32_e32 v176, s18, v176
	v_xor_b32_e32 v177, s19, v177
	v_bitop3_b32 v61, v61, v174, v173 bitop3:0x80
	v_mad_u32_u24 v173, v175, 36, v23
	v_xor_b32_e32 v172, s20, v172
	v_xor_b32_e32 v174, s21, v178
	s_delay_alu instid0(VALU_DEP_4) | instskip(SKIP_3) | instid1(VALU_DEP_2)
	v_bitop3_b32 v61, v61, v177, v176 bitop3:0x80
	ds_load_b32 v173, v173 offset:1056
	; wave barrier
	v_bitop3_b32 v61, v61, v174, v172 bitop3:0x80
	v_mul_u32_u24_e32 v172, 36, v175
	v_mbcnt_lo_u32_b32 v174, v61, 0
	v_cmp_ne_u32_e64 s15, 0, v61
	s_delay_alu instid0(VALU_DEP_3) | instskip(NEXT) | instid1(VALU_DEP_3)
	v_add_nc_u32_e32 v175, v23, v172
	v_cmp_eq_u32_e32 vcc_lo, 0, v174
	s_and_b32 s16, s15, vcc_lo
	s_delay_alu instid0(SALU_CYCLE_1)
	s_and_saveexec_b32 s15, s16
	s_cbranch_execz .LBB2040_150
; %bb.149:                              ;   in Loop: Header=BB2040_96 Depth=2
	s_wait_dscnt 0x0
	v_bcnt_u32_b32 v61, v61, v173
	ds_store_b32 v175, v61 offset:1056
.LBB2040_150:                           ;   in Loop: Header=BB2040_96 Depth=2
	s_or_b32 exec_lo, exec_lo, s15
	v_cmp_lt_i16_e32 vcc_lo, -1, v67
	; wave barrier
	v_cndmask_b32_e64 v61, -1, 0xffff8000, vcc_lo
	s_delay_alu instid0(VALU_DEP_1) | instskip(NEXT) | instid1(VALU_DEP_1)
	v_xor_b32_e32 v172, v61, v67
	v_cmp_ne_u16_e64 vcc_lo, 0x7fff, v172
	v_cndmask_b32_e32 v61, 0xffff8000, v172, vcc_lo
	s_delay_alu instid0(VALU_DEP_1) | instskip(NEXT) | instid1(VALU_DEP_1)
	v_and_b32_e32 v61, 0xffff, v61
	v_lshrrev_b32_e32 v61, s48, v61
	s_delay_alu instid0(VALU_DEP_1) | instskip(SKIP_1) | instid1(VALU_DEP_2)
	v_bitop3_b32 v67, v61, 1, s52 bitop3:0x80
	v_and_b32_e32 v176, s52, v61
	v_add_co_u32 v61, s15, v67, -1
	s_delay_alu instid0(VALU_DEP_1) | instskip(NEXT) | instid1(VALU_DEP_3)
	v_cndmask_b32_e64 v67, 0, 1, s15
	v_lshlrev_b32_e32 v177, 30, v176
	s_delay_alu instid0(VALU_DEP_2) | instskip(NEXT) | instid1(VALU_DEP_2)
	v_cmp_ne_u32_e32 vcc_lo, 0, v67
	v_not_b32_e32 v67, v177
	s_delay_alu instid0(VALU_DEP_1) | instskip(SKIP_4) | instid1(VALU_DEP_4)
	v_dual_ashrrev_i32 v67, 31, v67 :: v_dual_bitop2_b32 v61, vcc_lo, v61 bitop3:0x14
	v_dual_lshlrev_b32 v178, 29, v176 :: v_dual_lshlrev_b32 v179, 28, v176
	v_dual_lshlrev_b32 v180, 27, v176 :: v_dual_lshlrev_b32 v181, 26, v176
	v_lshlrev_b32_e32 v182, 25, v176
	v_cmp_gt_i32_e64 s15, 0, v177
	v_cmp_gt_i32_e64 s16, 0, v178
	v_not_b32_e32 v177, v178
	v_not_b32_e32 v178, v179
	v_lshlrev_b32_e32 v183, 24, v176
	v_cmp_gt_i32_e64 s17, 0, v179
	v_cmp_gt_i32_e64 s18, 0, v180
	v_not_b32_e32 v179, v180
	v_not_b32_e32 v180, v181
	v_dual_ashrrev_i32 v177, 31, v177 :: v_dual_bitop2_b32 v67, s15, v67 bitop3:0x14
	v_ashrrev_i32_e32 v178, 31, v178
	v_cmp_gt_i32_e64 s19, 0, v181
	v_cmp_gt_i32_e64 s20, 0, v182
	v_not_b32_e32 v181, v182
	v_not_b32_e32 v182, v183
	v_dual_ashrrev_i32 v179, 31, v179 :: v_dual_ashrrev_i32 v180, 31, v180
	v_xor_b32_e32 v177, s16, v177
	v_xor_b32_e32 v178, s17, v178
	v_bitop3_b32 v61, v61, v67, exec_lo bitop3:0x80
	v_cmp_gt_i32_e64 s21, 0, v183
	v_dual_ashrrev_i32 v67, 31, v181 :: v_dual_ashrrev_i32 v181, 31, v182
	v_xor_b32_e32 v179, s18, v179
	v_xor_b32_e32 v180, s19, v180
	v_bitop3_b32 v61, v61, v178, v177 bitop3:0x80
	v_mad_u32_u24 v177, v176, 36, v23
	v_xor_b32_e32 v67, s20, v67
	v_xor_b32_e32 v178, s21, v181
	s_delay_alu instid0(VALU_DEP_4) | instskip(SKIP_3) | instid1(VALU_DEP_2)
	v_bitop3_b32 v61, v61, v180, v179 bitop3:0x80
	ds_load_b32 v177, v177 offset:1056
	; wave barrier
	v_bitop3_b32 v61, v61, v178, v67 bitop3:0x80
	v_mul_u32_u24_e32 v67, 36, v176
	v_mbcnt_lo_u32_b32 v178, v61, 0
	v_cmp_ne_u32_e64 s15, 0, v61
	s_delay_alu instid0(VALU_DEP_3) | instskip(NEXT) | instid1(VALU_DEP_3)
	v_add_nc_u32_e32 v179, v23, v67
	v_cmp_eq_u32_e32 vcc_lo, 0, v178
	s_and_b32 s16, s15, vcc_lo
	s_delay_alu instid0(SALU_CYCLE_1)
	s_and_saveexec_b32 s15, s16
	s_cbranch_execz .LBB2040_152
; %bb.151:                              ;   in Loop: Header=BB2040_96 Depth=2
	s_wait_dscnt 0x0
	v_bcnt_u32_b32 v61, v61, v177
	ds_store_b32 v179, v61 offset:1056
.LBB2040_152:                           ;   in Loop: Header=BB2040_96 Depth=2
	s_or_b32 exec_lo, exec_lo, s15
	v_cmp_lt_i16_e32 vcc_lo, -1, v66
	; wave barrier
	v_cndmask_b32_e64 v61, -1, 0xffff8000, vcc_lo
	s_delay_alu instid0(VALU_DEP_1) | instskip(NEXT) | instid1(VALU_DEP_1)
	v_xor_b32_e32 v176, v61, v66
	v_cmp_ne_u16_e64 vcc_lo, 0x7fff, v176
	v_cndmask_b32_e32 v61, 0xffff8000, v176, vcc_lo
	s_delay_alu instid0(VALU_DEP_1) | instskip(NEXT) | instid1(VALU_DEP_1)
	v_and_b32_e32 v61, 0xffff, v61
	v_lshrrev_b32_e32 v61, s48, v61
	s_delay_alu instid0(VALU_DEP_1) | instskip(SKIP_1) | instid1(VALU_DEP_2)
	v_bitop3_b32 v66, v61, 1, s52 bitop3:0x80
	v_and_b32_e32 v67, s52, v61
	v_add_co_u32 v61, s15, v66, -1
	s_delay_alu instid0(VALU_DEP_1) | instskip(NEXT) | instid1(VALU_DEP_3)
	v_cndmask_b32_e64 v66, 0, 1, s15
	v_lshlrev_b32_e32 v180, 30, v67
	s_delay_alu instid0(VALU_DEP_2) | instskip(NEXT) | instid1(VALU_DEP_2)
	v_cmp_ne_u32_e32 vcc_lo, 0, v66
	v_not_b32_e32 v66, v180
	v_cmp_gt_i32_e64 s15, 0, v180
	s_delay_alu instid0(VALU_DEP_2) | instskip(SKIP_3) | instid1(VALU_DEP_4)
	v_dual_ashrrev_i32 v66, 31, v66 :: v_dual_lshlrev_b32 v181, 29, v67
	v_dual_lshlrev_b32 v182, 28, v67 :: v_dual_lshlrev_b32 v183, 27, v67
	v_dual_lshlrev_b32 v184, 26, v67 :: v_dual_lshlrev_b32 v185, 25, v67
	v_lshlrev_b32_e32 v186, 24, v67
	v_cmp_gt_i32_e64 s16, 0, v181
	v_not_b32_e32 v180, v181
	v_not_b32_e32 v181, v182
	v_cmp_gt_i32_e64 s17, 0, v182
	v_cmp_gt_i32_e64 s18, 0, v183
	v_not_b32_e32 v182, v183
	v_not_b32_e32 v183, v184
	v_dual_ashrrev_i32 v180, 31, v180 :: v_dual_bitop2_b32 v61, vcc_lo, v61 bitop3:0x14
	v_dual_ashrrev_i32 v181, 31, v181 :: v_dual_bitop2_b32 v66, s15, v66 bitop3:0x14
	v_cmp_gt_i32_e64 s19, 0, v184
	v_cmp_gt_i32_e64 s20, 0, v185
	v_not_b32_e32 v184, v185
	v_not_b32_e32 v185, v186
	v_dual_ashrrev_i32 v182, 31, v182 :: v_dual_ashrrev_i32 v183, 31, v183
	v_xor_b32_e32 v180, s16, v180
	v_xor_b32_e32 v181, s17, v181
	v_bitop3_b32 v61, v61, v66, exec_lo bitop3:0x80
	v_cmp_gt_i32_e64 s21, 0, v186
	v_dual_ashrrev_i32 v66, 31, v184 :: v_dual_ashrrev_i32 v184, 31, v185
	v_xor_b32_e32 v182, s18, v182
	v_xor_b32_e32 v183, s19, v183
	v_bitop3_b32 v61, v61, v181, v180 bitop3:0x80
	v_mad_u32_u24 v180, v67, 36, v23
	v_xor_b32_e32 v66, s20, v66
	v_xor_b32_e32 v184, s21, v184
	s_delay_alu instid0(VALU_DEP_4) | instskip(SKIP_3) | instid1(VALU_DEP_2)
	v_bitop3_b32 v61, v61, v183, v182 bitop3:0x80
	ds_load_b32 v181, v180 offset:1056
	; wave barrier
	v_bitop3_b32 v61, v61, v184, v66 bitop3:0x80
	v_mul_u32_u24_e32 v66, 36, v67
	v_mbcnt_lo_u32_b32 v182, v61, 0
	v_cmp_ne_u32_e64 s15, 0, v61
	s_delay_alu instid0(VALU_DEP_3) | instskip(NEXT) | instid1(VALU_DEP_3)
	v_add_nc_u32_e32 v183, v23, v66
	v_cmp_eq_u32_e32 vcc_lo, 0, v182
	s_and_b32 s16, s15, vcc_lo
	s_delay_alu instid0(SALU_CYCLE_1)
	s_and_saveexec_b32 s15, s16
	s_cbranch_execz .LBB2040_154
; %bb.153:                              ;   in Loop: Header=BB2040_96 Depth=2
	s_wait_dscnt 0x0
	v_bcnt_u32_b32 v61, v61, v181
	ds_store_b32 v183, v61 offset:1056
.LBB2040_154:                           ;   in Loop: Header=BB2040_96 Depth=2
	s_or_b32 exec_lo, exec_lo, s15
	v_cmp_lt_i16_e32 vcc_lo, -1, v65
	; wave barrier
	v_cndmask_b32_e64 v61, -1, 0xffff8000, vcc_lo
	s_delay_alu instid0(VALU_DEP_1) | instskip(NEXT) | instid1(VALU_DEP_1)
	v_xor_b32_e32 v180, v61, v65
	v_cmp_ne_u16_e64 vcc_lo, 0x7fff, v180
	v_cndmask_b32_e32 v61, 0xffff8000, v180, vcc_lo
	s_delay_alu instid0(VALU_DEP_1) | instskip(NEXT) | instid1(VALU_DEP_1)
	v_and_b32_e32 v61, 0xffff, v61
	v_lshrrev_b32_e32 v61, s48, v61
	s_delay_alu instid0(VALU_DEP_1) | instskip(NEXT) | instid1(VALU_DEP_1)
	v_and_b32_e32 v66, s52, v61
	v_lshlrev_b32_e32 v185, 28, v66
	v_bitop3_b32 v65, v61, 1, s52 bitop3:0x80
	v_dual_lshlrev_b32 v67, 30, v66 :: v_dual_lshlrev_b32 v184, 29, v66
	s_delay_alu instid0(VALU_DEP_3) | instskip(NEXT) | instid1(VALU_DEP_3)
	v_cmp_gt_i32_e64 s17, 0, v185
	v_add_co_u32 v61, s15, v65, -1
	s_delay_alu instid0(VALU_DEP_1) | instskip(NEXT) | instid1(VALU_DEP_4)
	v_cndmask_b32_e64 v65, 0, 1, s15
	v_cmp_gt_i32_e64 s15, 0, v67
	v_cmp_gt_i32_e64 s16, 0, v184
	s_delay_alu instid0(VALU_DEP_3) | instskip(SKIP_3) | instid1(VALU_DEP_2)
	v_cmp_ne_u32_e32 vcc_lo, 0, v65
	v_not_b32_e32 v65, v67
	v_not_b32_e32 v67, v184
	;; [unrolled: 1-line block ×3, first 2 shown]
	v_dual_ashrrev_i32 v65, 31, v65 :: v_dual_ashrrev_i32 v67, 31, v67
	v_dual_lshlrev_b32 v186, 27, v66 :: v_dual_lshlrev_b32 v187, 26, v66
	v_dual_lshlrev_b32 v188, 25, v66 :: v_dual_lshlrev_b32 v189, 24, v66
	s_delay_alu instid0(VALU_DEP_4) | instskip(NEXT) | instid1(VALU_DEP_3)
	v_ashrrev_i32_e32 v184, 31, v184
	v_cmp_gt_i32_e64 s18, 0, v186
	v_not_b32_e32 v185, v186
	v_cmp_gt_i32_e64 s19, 0, v187
	v_not_b32_e32 v186, v187
	;; [unrolled: 2-line block ×3, first 2 shown]
	v_not_b32_e32 v188, v189
	s_delay_alu instid0(VALU_DEP_4) | instskip(SKIP_4) | instid1(VALU_DEP_4)
	v_dual_ashrrev_i32 v186, 31, v186 :: v_dual_bitop2_b32 v61, vcc_lo, v61 bitop3:0x14
	v_xor_b32_e32 v65, s15, v65
	v_dual_ashrrev_i32 v185, 31, v185 :: v_dual_bitop2_b32 v67, s16, v67 bitop3:0x14
	v_xor_b32_e32 v184, s17, v184
	v_cmp_gt_i32_e64 s21, 0, v189
	v_bitop3_b32 v61, v61, v65, exec_lo bitop3:0x80
	v_dual_ashrrev_i32 v65, 31, v187 :: v_dual_ashrrev_i32 v187, 31, v188
	v_xor_b32_e32 v185, s18, v185
	v_xor_b32_e32 v186, s19, v186
	s_delay_alu instid0(VALU_DEP_4) | instskip(SKIP_3) | instid1(VALU_DEP_4)
	v_bitop3_b32 v61, v61, v184, v67 bitop3:0x80
	v_mad_u32_u24 v67, v66, 36, v23
	v_xor_b32_e32 v65, s20, v65
	v_xor_b32_e32 v184, s21, v187
	v_bitop3_b32 v61, v61, v186, v185 bitop3:0x80
	ds_load_b32 v185, v67 offset:1056
	; wave barrier
	v_bitop3_b32 v61, v61, v184, v65 bitop3:0x80
	v_mul_u32_u24_e32 v65, 36, v66
	s_delay_alu instid0(VALU_DEP_2) | instskip(SKIP_1) | instid1(VALU_DEP_3)
	v_mbcnt_lo_u32_b32 v186, v61, 0
	v_cmp_ne_u32_e64 s15, 0, v61
	v_add_nc_u32_e32 v187, v23, v65
	s_delay_alu instid0(VALU_DEP_3) | instskip(SKIP_1) | instid1(SALU_CYCLE_1)
	v_cmp_eq_u32_e32 vcc_lo, 0, v186
	s_and_b32 s16, s15, vcc_lo
	s_and_saveexec_b32 s15, s16
	s_cbranch_execz .LBB2040_156
; %bb.155:                              ;   in Loop: Header=BB2040_96 Depth=2
	s_wait_dscnt 0x0
	v_bcnt_u32_b32 v61, v61, v185
	ds_store_b32 v187, v61 offset:1056
.LBB2040_156:                           ;   in Loop: Header=BB2040_96 Depth=2
	s_or_b32 exec_lo, exec_lo, s15
	v_cmp_lt_i16_e32 vcc_lo, -1, v64
	; wave barrier
	v_cndmask_b32_e64 v61, -1, 0xffff8000, vcc_lo
	s_delay_alu instid0(VALU_DEP_1) | instskip(NEXT) | instid1(VALU_DEP_1)
	v_xor_b32_e32 v184, v61, v64
	v_cmp_ne_u16_e64 vcc_lo, 0x7fff, v184
	v_cndmask_b32_e32 v61, 0xffff8000, v184, vcc_lo
	s_delay_alu instid0(VALU_DEP_1) | instskip(NEXT) | instid1(VALU_DEP_1)
	v_and_b32_e32 v61, 0xffff, v61
	v_lshrrev_b32_e32 v61, s48, v61
	s_delay_alu instid0(VALU_DEP_1) | instskip(SKIP_1) | instid1(VALU_DEP_2)
	v_bitop3_b32 v64, v61, 1, s52 bitop3:0x80
	v_and_b32_e32 v65, s52, v61
	v_add_co_u32 v61, s15, v64, -1
	s_delay_alu instid0(VALU_DEP_1) | instskip(NEXT) | instid1(VALU_DEP_3)
	v_cndmask_b32_e64 v64, 0, 1, s15
	v_lshlrev_b32_e32 v66, 30, v65
	s_delay_alu instid0(VALU_DEP_2) | instskip(NEXT) | instid1(VALU_DEP_2)
	v_cmp_ne_u32_e32 vcc_lo, 0, v64
	v_not_b32_e32 v64, v66
	v_cmp_gt_i32_e64 s15, 0, v66
	s_delay_alu instid0(VALU_DEP_2) | instskip(SKIP_3) | instid1(VALU_DEP_4)
	v_dual_ashrrev_i32 v64, 31, v64 :: v_dual_lshlrev_b32 v67, 29, v65
	v_dual_lshlrev_b32 v188, 28, v65 :: v_dual_lshlrev_b32 v189, 27, v65
	v_dual_lshlrev_b32 v190, 26, v65 :: v_dual_lshlrev_b32 v191, 25, v65
	v_lshlrev_b32_e32 v192, 24, v65
	v_cmp_gt_i32_e64 s16, 0, v67
	v_not_b32_e32 v66, v67
	v_not_b32_e32 v67, v188
	v_cmp_gt_i32_e64 s17, 0, v188
	v_cmp_gt_i32_e64 s18, 0, v189
	v_not_b32_e32 v188, v189
	v_not_b32_e32 v189, v190
	v_dual_ashrrev_i32 v66, 31, v66 :: v_dual_bitop2_b32 v61, vcc_lo, v61 bitop3:0x14
	v_dual_ashrrev_i32 v67, 31, v67 :: v_dual_bitop2_b32 v64, s15, v64 bitop3:0x14
	v_cmp_gt_i32_e64 s19, 0, v190
	v_cmp_gt_i32_e64 s20, 0, v191
	v_not_b32_e32 v190, v191
	v_not_b32_e32 v191, v192
	v_dual_ashrrev_i32 v188, 31, v188 :: v_dual_ashrrev_i32 v189, 31, v189
	v_xor_b32_e32 v66, s16, v66
	v_xor_b32_e32 v67, s17, v67
	v_bitop3_b32 v61, v61, v64, exec_lo bitop3:0x80
	v_cmp_gt_i32_e64 s21, 0, v192
	v_dual_ashrrev_i32 v64, 31, v190 :: v_dual_ashrrev_i32 v190, 31, v191
	v_xor_b32_e32 v188, s18, v188
	v_xor_b32_e32 v189, s19, v189
	v_bitop3_b32 v61, v61, v67, v66 bitop3:0x80
	v_mad_u32_u24 v66, v65, 36, v23
	v_xor_b32_e32 v64, s20, v64
	v_xor_b32_e32 v67, s21, v190
	s_delay_alu instid0(VALU_DEP_4) | instskip(SKIP_3) | instid1(VALU_DEP_2)
	v_bitop3_b32 v61, v61, v189, v188 bitop3:0x80
	ds_load_b32 v189, v66 offset:1056
	; wave barrier
	v_bitop3_b32 v61, v61, v67, v64 bitop3:0x80
	v_mul_u32_u24_e32 v64, 36, v65
	v_mbcnt_lo_u32_b32 v190, v61, 0
	v_cmp_ne_u32_e64 s15, 0, v61
	s_delay_alu instid0(VALU_DEP_3) | instskip(NEXT) | instid1(VALU_DEP_3)
	v_add_nc_u32_e32 v191, v23, v64
	v_cmp_eq_u32_e32 vcc_lo, 0, v190
	s_and_b32 s16, s15, vcc_lo
	s_delay_alu instid0(SALU_CYCLE_1)
	s_and_saveexec_b32 s15, s16
	s_cbranch_execz .LBB2040_158
; %bb.157:                              ;   in Loop: Header=BB2040_96 Depth=2
	s_wait_dscnt 0x0
	v_bcnt_u32_b32 v61, v61, v189
	ds_store_b32 v191, v61 offset:1056
.LBB2040_158:                           ;   in Loop: Header=BB2040_96 Depth=2
	s_or_b32 exec_lo, exec_lo, s15
	v_cmp_lt_i16_e32 vcc_lo, -1, v63
	; wave barrier
	v_cndmask_b32_e64 v61, -1, 0xffff8000, vcc_lo
	s_delay_alu instid0(VALU_DEP_1) | instskip(NEXT) | instid1(VALU_DEP_1)
	v_xor_b32_e32 v188, v61, v63
	v_cmp_ne_u16_e64 vcc_lo, 0x7fff, v188
	v_cndmask_b32_e32 v61, 0xffff8000, v188, vcc_lo
	s_delay_alu instid0(VALU_DEP_1) | instskip(NEXT) | instid1(VALU_DEP_1)
	v_and_b32_e32 v61, 0xffff, v61
	v_lshrrev_b32_e32 v61, s48, v61
	s_delay_alu instid0(VALU_DEP_1) | instskip(SKIP_1) | instid1(VALU_DEP_2)
	v_bitop3_b32 v63, v61, 1, s52 bitop3:0x80
	v_and_b32_e32 v64, s52, v61
	v_add_co_u32 v61, s15, v63, -1
	s_delay_alu instid0(VALU_DEP_1) | instskip(NEXT) | instid1(VALU_DEP_3)
	v_cndmask_b32_e64 v63, 0, 1, s15
	v_lshlrev_b32_e32 v65, 30, v64
	s_delay_alu instid0(VALU_DEP_2) | instskip(NEXT) | instid1(VALU_DEP_2)
	v_cmp_ne_u32_e32 vcc_lo, 0, v63
	v_not_b32_e32 v63, v65
	s_delay_alu instid0(VALU_DEP_1) | instskip(SKIP_4) | instid1(VALU_DEP_4)
	v_dual_ashrrev_i32 v63, 31, v63 :: v_dual_bitop2_b32 v61, vcc_lo, v61 bitop3:0x14
	v_dual_lshlrev_b32 v66, 29, v64 :: v_dual_lshlrev_b32 v67, 28, v64
	v_dual_lshlrev_b32 v192, 27, v64 :: v_dual_lshlrev_b32 v193, 26, v64
	v_lshlrev_b32_e32 v194, 25, v64
	v_cmp_gt_i32_e64 s15, 0, v65
	v_cmp_gt_i32_e64 s16, 0, v66
	v_not_b32_e32 v65, v66
	v_not_b32_e32 v66, v67
	v_lshlrev_b32_e32 v195, 24, v64
	v_cmp_gt_i32_e64 s17, 0, v67
	v_cmp_gt_i32_e64 s18, 0, v192
	v_not_b32_e32 v67, v192
	v_not_b32_e32 v192, v193
	v_dual_ashrrev_i32 v65, 31, v65 :: v_dual_bitop2_b32 v63, s15, v63 bitop3:0x14
	v_ashrrev_i32_e32 v66, 31, v66
	v_cmp_gt_i32_e64 s19, 0, v193
	v_cmp_gt_i32_e64 s20, 0, v194
	v_not_b32_e32 v193, v194
	v_not_b32_e32 v194, v195
	v_dual_ashrrev_i32 v67, 31, v67 :: v_dual_ashrrev_i32 v192, 31, v192
	v_xor_b32_e32 v65, s16, v65
	v_xor_b32_e32 v66, s17, v66
	v_bitop3_b32 v61, v61, v63, exec_lo bitop3:0x80
	v_cmp_gt_i32_e64 s21, 0, v195
	v_dual_ashrrev_i32 v63, 31, v193 :: v_dual_ashrrev_i32 v193, 31, v194
	v_xor_b32_e32 v67, s18, v67
	v_xor_b32_e32 v192, s19, v192
	v_bitop3_b32 v61, v61, v66, v65 bitop3:0x80
	v_mad_u32_u24 v65, v64, 36, v23
	v_xor_b32_e32 v63, s20, v63
	v_xor_b32_e32 v66, s21, v193
	s_delay_alu instid0(VALU_DEP_4) | instskip(SKIP_3) | instid1(VALU_DEP_2)
	v_bitop3_b32 v61, v61, v192, v67 bitop3:0x80
	ds_load_b32 v193, v65 offset:1056
	; wave barrier
	v_bitop3_b32 v61, v61, v66, v63 bitop3:0x80
	v_mul_u32_u24_e32 v63, 36, v64
	v_mbcnt_lo_u32_b32 v194, v61, 0
	v_cmp_ne_u32_e64 s15, 0, v61
	s_delay_alu instid0(VALU_DEP_3) | instskip(NEXT) | instid1(VALU_DEP_3)
	v_add_nc_u32_e32 v195, v23, v63
	v_cmp_eq_u32_e32 vcc_lo, 0, v194
	s_and_b32 s16, s15, vcc_lo
	s_delay_alu instid0(SALU_CYCLE_1)
	s_and_saveexec_b32 s15, s16
	s_cbranch_execz .LBB2040_160
; %bb.159:                              ;   in Loop: Header=BB2040_96 Depth=2
	s_wait_dscnt 0x0
	v_bcnt_u32_b32 v61, v61, v193
	ds_store_b32 v195, v61 offset:1056
.LBB2040_160:                           ;   in Loop: Header=BB2040_96 Depth=2
	s_or_b32 exec_lo, exec_lo, s15
	v_cmp_lt_i16_e32 vcc_lo, -1, v62
	; wave barrier
	v_cndmask_b32_e64 v61, -1, 0xffff8000, vcc_lo
	s_delay_alu instid0(VALU_DEP_1) | instskip(NEXT) | instid1(VALU_DEP_1)
	v_xor_b32_e32 v192, v61, v62
	v_cmp_ne_u16_e64 vcc_lo, 0x7fff, v192
	v_cndmask_b32_e32 v61, 0xffff8000, v192, vcc_lo
	s_delay_alu instid0(VALU_DEP_1) | instskip(NEXT) | instid1(VALU_DEP_1)
	v_and_b32_e32 v61, 0xffff, v61
	v_lshrrev_b32_e32 v61, s48, v61
	s_delay_alu instid0(VALU_DEP_1) | instskip(SKIP_1) | instid1(VALU_DEP_2)
	v_bitop3_b32 v62, v61, 1, s52 bitop3:0x80
	v_and_b32_e32 v63, s52, v61
	v_add_co_u32 v61, s15, v62, -1
	s_delay_alu instid0(VALU_DEP_1) | instskip(NEXT) | instid1(VALU_DEP_3)
	v_cndmask_b32_e64 v62, 0, 1, s15
	v_lshlrev_b32_e32 v64, 30, v63
	s_delay_alu instid0(VALU_DEP_2) | instskip(NEXT) | instid1(VALU_DEP_2)
	v_cmp_ne_u32_e32 vcc_lo, 0, v62
	v_not_b32_e32 v62, v64
	v_cmp_gt_i32_e64 s15, 0, v64
	s_delay_alu instid0(VALU_DEP_2) | instskip(SKIP_3) | instid1(VALU_DEP_4)
	v_dual_ashrrev_i32 v62, 31, v62 :: v_dual_lshlrev_b32 v65, 29, v63
	v_dual_lshlrev_b32 v66, 28, v63 :: v_dual_lshlrev_b32 v67, 27, v63
	v_dual_lshlrev_b32 v196, 26, v63 :: v_dual_lshlrev_b32 v197, 25, v63
	v_lshlrev_b32_e32 v198, 24, v63
	v_cmp_gt_i32_e64 s16, 0, v65
	v_not_b32_e32 v64, v65
	v_not_b32_e32 v65, v66
	v_cmp_gt_i32_e64 s17, 0, v66
	v_cmp_gt_i32_e64 s18, 0, v67
	v_not_b32_e32 v66, v67
	v_not_b32_e32 v67, v196
	v_dual_ashrrev_i32 v64, 31, v64 :: v_dual_bitop2_b32 v61, vcc_lo, v61 bitop3:0x14
	v_dual_ashrrev_i32 v65, 31, v65 :: v_dual_bitop2_b32 v62, s15, v62 bitop3:0x14
	v_cmp_gt_i32_e64 s19, 0, v196
	v_cmp_gt_i32_e64 s20, 0, v197
	v_not_b32_e32 v196, v197
	v_not_b32_e32 v197, v198
	v_dual_ashrrev_i32 v66, 31, v66 :: v_dual_ashrrev_i32 v67, 31, v67
	v_xor_b32_e32 v64, s16, v64
	v_xor_b32_e32 v65, s17, v65
	v_bitop3_b32 v61, v61, v62, exec_lo bitop3:0x80
	v_cmp_gt_i32_e64 s21, 0, v198
	v_dual_ashrrev_i32 v62, 31, v196 :: v_dual_ashrrev_i32 v196, 31, v197
	v_xor_b32_e32 v66, s18, v66
	v_xor_b32_e32 v67, s19, v67
	v_bitop3_b32 v61, v61, v65, v64 bitop3:0x80
	v_mad_u32_u24 v64, v63, 36, v23
	v_xor_b32_e32 v62, s20, v62
	v_xor_b32_e32 v65, s21, v196
	s_delay_alu instid0(VALU_DEP_4) | instskip(SKIP_3) | instid1(VALU_DEP_2)
	v_bitop3_b32 v61, v61, v67, v66 bitop3:0x80
	ds_load_b32 v197, v64 offset:1056
	; wave barrier
	v_bitop3_b32 v61, v61, v65, v62 bitop3:0x80
	v_mul_u32_u24_e32 v62, 36, v63
	v_mbcnt_lo_u32_b32 v198, v61, 0
	v_cmp_ne_u32_e64 s15, 0, v61
	s_delay_alu instid0(VALU_DEP_3) | instskip(NEXT) | instid1(VALU_DEP_3)
	v_add_nc_u32_e32 v199, v23, v62
	v_cmp_eq_u32_e32 vcc_lo, 0, v198
	s_and_b32 s16, s15, vcc_lo
	s_delay_alu instid0(SALU_CYCLE_1)
	s_and_saveexec_b32 s15, s16
	s_cbranch_execz .LBB2040_162
; %bb.161:                              ;   in Loop: Header=BB2040_96 Depth=2
	s_wait_dscnt 0x0
	v_bcnt_u32_b32 v61, v61, v197
	ds_store_b32 v199, v61 offset:1056
.LBB2040_162:                           ;   in Loop: Header=BB2040_96 Depth=2
	s_or_b32 exec_lo, exec_lo, s15
	v_cmp_lt_i16_e32 vcc_lo, -1, v60
	; wave barrier
	v_cndmask_b32_e64 v61, -1, 0xffff8000, vcc_lo
	s_delay_alu instid0(VALU_DEP_1) | instskip(NEXT) | instid1(VALU_DEP_1)
	v_xor_b32_e32 v196, v61, v60
	v_cmp_ne_u16_e64 vcc_lo, 0x7fff, v196
	v_cndmask_b32_e32 v60, 0xffff8000, v196, vcc_lo
	s_delay_alu instid0(VALU_DEP_1) | instskip(NEXT) | instid1(VALU_DEP_1)
	v_and_b32_e32 v60, 0xffff, v60
	v_lshrrev_b32_e32 v60, s48, v60
	s_delay_alu instid0(VALU_DEP_1) | instskip(SKIP_1) | instid1(VALU_DEP_2)
	v_bitop3_b32 v61, v60, 1, s52 bitop3:0x80
	v_and_b32_e32 v62, s52, v60
	v_add_co_u32 v60, s15, v61, -1
	s_delay_alu instid0(VALU_DEP_1) | instskip(NEXT) | instid1(VALU_DEP_3)
	v_cndmask_b32_e64 v61, 0, 1, s15
	v_lshlrev_b32_e32 v63, 30, v62
	s_delay_alu instid0(VALU_DEP_2) | instskip(NEXT) | instid1(VALU_DEP_2)
	v_cmp_ne_u32_e32 vcc_lo, 0, v61
	v_not_b32_e32 v61, v63
	v_cmp_gt_i32_e64 s15, 0, v63
	s_delay_alu instid0(VALU_DEP_2) | instskip(SKIP_3) | instid1(VALU_DEP_4)
	v_dual_ashrrev_i32 v61, 31, v61 :: v_dual_lshlrev_b32 v64, 29, v62
	v_dual_lshlrev_b32 v65, 28, v62 :: v_dual_lshlrev_b32 v66, 27, v62
	v_dual_lshlrev_b32 v67, 26, v62 :: v_dual_lshlrev_b32 v200, 25, v62
	v_lshlrev_b32_e32 v201, 24, v62
	v_cmp_gt_i32_e64 s16, 0, v64
	v_not_b32_e32 v63, v64
	v_not_b32_e32 v64, v65
	v_cmp_gt_i32_e64 s17, 0, v65
	v_cmp_gt_i32_e64 s18, 0, v66
	v_not_b32_e32 v65, v66
	v_not_b32_e32 v66, v67
	v_dual_ashrrev_i32 v63, 31, v63 :: v_dual_bitop2_b32 v60, vcc_lo, v60 bitop3:0x14
	v_dual_ashrrev_i32 v64, 31, v64 :: v_dual_bitop2_b32 v61, s15, v61 bitop3:0x14
	v_cmp_gt_i32_e64 s19, 0, v67
	v_cmp_gt_i32_e64 s20, 0, v200
	v_not_b32_e32 v67, v200
	v_not_b32_e32 v200, v201
	v_dual_ashrrev_i32 v65, 31, v65 :: v_dual_ashrrev_i32 v66, 31, v66
	v_xor_b32_e32 v63, s16, v63
	v_xor_b32_e32 v64, s17, v64
	v_bitop3_b32 v60, v60, v61, exec_lo bitop3:0x80
	v_cmp_gt_i32_e64 s21, 0, v201
	v_dual_ashrrev_i32 v61, 31, v67 :: v_dual_ashrrev_i32 v67, 31, v200
	v_xor_b32_e32 v65, s18, v65
	v_xor_b32_e32 v66, s19, v66
	v_bitop3_b32 v60, v60, v64, v63 bitop3:0x80
	v_mad_u32_u24 v63, v62, 36, v23
	v_xor_b32_e32 v61, s20, v61
	v_xor_b32_e32 v64, s21, v67
	s_delay_alu instid0(VALU_DEP_4) | instskip(SKIP_3) | instid1(VALU_DEP_2)
	v_bitop3_b32 v60, v60, v66, v65 bitop3:0x80
	ds_load_b32 v200, v63 offset:1056
	; wave barrier
	v_bitop3_b32 v60, v60, v64, v61 bitop3:0x80
	v_mul_u32_u24_e32 v61, 36, v62
	v_mbcnt_lo_u32_b32 v201, v60, 0
	v_cmp_ne_u32_e64 s15, 0, v60
	s_delay_alu instid0(VALU_DEP_3) | instskip(NEXT) | instid1(VALU_DEP_3)
	v_add_nc_u32_e32 v202, v23, v61
	v_cmp_eq_u32_e32 vcc_lo, 0, v201
	s_and_b32 s16, s15, vcc_lo
	s_delay_alu instid0(SALU_CYCLE_1)
	s_and_saveexec_b32 s15, s16
	s_cbranch_execz .LBB2040_164
; %bb.163:                              ;   in Loop: Header=BB2040_96 Depth=2
	s_wait_dscnt 0x0
	v_bcnt_u32_b32 v60, v60, v200
	ds_store_b32 v202, v60 offset:1056
.LBB2040_164:                           ;   in Loop: Header=BB2040_96 Depth=2
	s_or_b32 exec_lo, exec_lo, s15
	; wave barrier
	s_wait_dscnt 0x0
	s_barrier_signal -1
	s_barrier_wait -1
	ds_load_2addr_b32 v[66:67], v118 offset1:1
	ds_load_2addr_b32 v[64:65], v119 offset1:1
	;; [unrolled: 1-line block ×4, first 2 shown]
	ds_load_b32 v203, v91 offset:1088
	s_wait_dscnt 0x3
	v_add3_u32 v204, v67, v66, v64
	s_wait_dscnt 0x2
	s_delay_alu instid0(VALU_DEP_1) | instskip(SKIP_1) | instid1(VALU_DEP_1)
	v_add3_u32 v204, v204, v65, v62
	s_wait_dscnt 0x1
	v_add3_u32 v204, v204, v63, v60
	s_wait_dscnt 0x0
	s_delay_alu instid0(VALU_DEP_1) | instskip(NEXT) | instid1(VALU_DEP_1)
	v_add3_u32 v203, v204, v61, v203
	v_mov_b32_dpp v204, v203 row_shr:1 row_mask:0xf bank_mask:0xf
	s_delay_alu instid0(VALU_DEP_1) | instskip(NEXT) | instid1(VALU_DEP_1)
	v_cndmask_b32_e64 v204, v204, 0, s7
	v_add_nc_u32_e32 v203, v204, v203
	s_delay_alu instid0(VALU_DEP_1) | instskip(NEXT) | instid1(VALU_DEP_1)
	v_mov_b32_dpp v204, v203 row_shr:2 row_mask:0xf bank_mask:0xf
	v_cndmask_b32_e64 v204, 0, v204, s8
	s_delay_alu instid0(VALU_DEP_1) | instskip(NEXT) | instid1(VALU_DEP_1)
	v_add_nc_u32_e32 v203, v203, v204
	v_mov_b32_dpp v204, v203 row_shr:4 row_mask:0xf bank_mask:0xf
	s_delay_alu instid0(VALU_DEP_1) | instskip(NEXT) | instid1(VALU_DEP_1)
	v_cndmask_b32_e64 v204, 0, v204, s9
	v_add_nc_u32_e32 v203, v203, v204
	s_delay_alu instid0(VALU_DEP_1) | instskip(NEXT) | instid1(VALU_DEP_1)
	v_mov_b32_dpp v204, v203 row_shr:8 row_mask:0xf bank_mask:0xf
	v_cndmask_b32_e64 v204, 0, v204, s10
	s_delay_alu instid0(VALU_DEP_1) | instskip(SKIP_3) | instid1(VALU_DEP_1)
	v_add_nc_u32_e32 v203, v203, v204
	ds_swizzle_b32 v204, v203 offset:swizzle(BROADCAST,32,15)
	s_wait_dscnt 0x0
	v_cndmask_b32_e64 v204, v204, 0, s11
	v_add_nc_u32_e32 v203, v203, v204
	s_and_saveexec_b32 s15, s1
; %bb.165:                              ;   in Loop: Header=BB2040_96 Depth=2
	ds_store_b32 v84, v203 offset:1024
; %bb.166:                              ;   in Loop: Header=BB2040_96 Depth=2
	s_or_b32 exec_lo, exec_lo, s15
	s_wait_dscnt 0x0
	s_barrier_signal -1
	s_barrier_wait -1
	s_and_saveexec_b32 s15, s4
	s_cbranch_execz .LBB2040_168
; %bb.167:                              ;   in Loop: Header=BB2040_96 Depth=2
	ds_load_b32 v204, v92 offset:1024
	s_wait_dscnt 0x0
	v_mov_b32_dpp v205, v204 row_shr:1 row_mask:0xf bank_mask:0xf
	s_delay_alu instid0(VALU_DEP_1) | instskip(NEXT) | instid1(VALU_DEP_1)
	v_cndmask_b32_e64 v205, v205, 0, s12
	v_add_nc_u32_e32 v204, v205, v204
	s_delay_alu instid0(VALU_DEP_1) | instskip(NEXT) | instid1(VALU_DEP_1)
	v_mov_b32_dpp v205, v204 row_shr:2 row_mask:0xf bank_mask:0xf
	v_cndmask_b32_e64 v205, 0, v205, s13
	s_delay_alu instid0(VALU_DEP_1) | instskip(NEXT) | instid1(VALU_DEP_1)
	v_add_nc_u32_e32 v204, v204, v205
	v_mov_b32_dpp v205, v204 row_shr:4 row_mask:0xf bank_mask:0xf
	s_delay_alu instid0(VALU_DEP_1) | instskip(NEXT) | instid1(VALU_DEP_1)
	v_cndmask_b32_e64 v205, 0, v205, s14
	v_add_nc_u32_e32 v204, v204, v205
	ds_store_b32 v92, v204 offset:1024
.LBB2040_168:                           ;   in Loop: Header=BB2040_96 Depth=2
	s_or_b32 exec_lo, exec_lo, s15
	v_mov_b32_e32 v204, 0
	s_wait_dscnt 0x0
	s_barrier_signal -1
	s_barrier_wait -1
	s_and_saveexec_b32 s15, s5
; %bb.169:                              ;   in Loop: Header=BB2040_96 Depth=2
	ds_load_b32 v204, v84 offset:1020
; %bb.170:                              ;   in Loop: Header=BB2040_96 Depth=2
	s_or_b32 exec_lo, exec_lo, s15
	s_wait_dscnt 0x0
	v_add_nc_u32_e32 v203, v204, v203
	ds_bpermute_b32 v203, v122, v203
	s_wait_dscnt 0x0
	v_cndmask_b32_e64 v203, v203, v204, s6
	s_delay_alu instid0(VALU_DEP_1) | instskip(NEXT) | instid1(VALU_DEP_1)
	v_cndmask_b32_e64 v203, v203, 0, s2
	v_add_nc_u32_e32 v66, v203, v66
	s_delay_alu instid0(VALU_DEP_1) | instskip(NEXT) | instid1(VALU_DEP_1)
	v_add_nc_u32_e32 v67, v66, v67
	v_add_nc_u32_e32 v64, v67, v64
	s_delay_alu instid0(VALU_DEP_1) | instskip(NEXT) | instid1(VALU_DEP_1)
	v_add_nc_u32_e32 v65, v64, v65
	;; [unrolled: 3-line block ×3, first 2 shown]
	v_add_nc_u32_e32 v60, v63, v60
	s_delay_alu instid0(VALU_DEP_1)
	v_add_nc_u32_e32 v61, v60, v61
	ds_store_2addr_b32 v121, v63, v60 offset1:1
	ds_store_2addr_b32 v118, v203, v66 offset1:1
	;; [unrolled: 1-line block ×4, first 2 shown]
	ds_store_b32 v91, v61 offset:1088
	s_wait_dscnt 0x0
	s_barrier_signal -1
	s_barrier_wait -1
	ds_load_b32 v63, v143 offset:1056
	ds_load_b32 v65, v147 offset:1056
	;; [unrolled: 1-line block ×17, first 2 shown]
	v_mov_b32_e32 v62, 0x1000
	s_and_saveexec_b32 s15, s3
; %bb.171:                              ;   in Loop: Header=BB2040_96 Depth=2
	ds_load_b32 v62, v91 offset:1092
; %bb.172:                              ;   in Loop: Header=BB2040_96 Depth=2
	s_or_b32 exec_lo, exec_lo, s15
	s_wait_dscnt 0x0
	s_barrier_signal -1
	s_barrier_wait -1
	s_and_saveexec_b32 s15, s0
	s_cbranch_execz .LBB2040_174
; %bb.173:                              ;   in Loop: Header=BB2040_96 Depth=2
	ds_load_b32 v155, v3
	s_wait_dscnt 0x0
	v_sub_nc_u32_e32 v151, v155, v151
	ds_store_b32 v3, v151
.LBB2040_174:                           ;   in Loop: Header=BB2040_96 Depth=2
	s_or_b32 exec_lo, exec_lo, s15
	v_add3_u32 v159, v146, v145, v65
	v_add_nc_u32_e32 v163, v63, v142
	v_add3_u32 v155, v150, v149, v66
	v_add3_u32 v151, v154, v153, v67
	;; [unrolled: 1-line block ×4, first 2 shown]
	v_lshlrev_b32_e32 v60, 1, v159
	v_lshlrev_b32_e32 v153, 1, v163
	v_add3_u32 v150, v158, v157, v143
	v_add3_u32 v147, v166, v165, v203
	;; [unrolled: 1-line block ×4, first 2 shown]
	v_lshlrev_b32_e32 v61, 1, v155
	v_add3_u32 v145, v174, v173, v175
	v_lshlrev_b32_e32 v154, 1, v149
	ds_store_b16 v153, v140 offset:1024
	v_lshlrev_b32_e32 v140, 1, v151
	v_add3_u32 v143, v178, v177, v179
	v_lshlrev_b32_e32 v153, 1, v150
	v_add3_u32 v142, v182, v181, v183
	v_add3_u32 v63, v186, v185, v187
	ds_store_b16 v60, v141 offset:1024
	ds_store_b16 v61, v144 offset:1024
	;; [unrolled: 1-line block ×5, first 2 shown]
	v_dual_lshlrev_b32 v60, 1, v147 :: v_dual_lshlrev_b32 v140, 1, v145
	v_lshlrev_b32_e32 v61, 1, v146
	v_add3_u32 v65, v198, v197, v64
	v_dual_lshlrev_b32 v141, 1, v143 :: v_dual_lshlrev_b32 v144, 1, v142
	v_add3_u32 v64, v201, v200, v167
	ds_store_b16 v60, v160 offset:1024
	ds_store_b16 v61, v164 offset:1024
	;; [unrolled: 1-line block ×5, first 2 shown]
	v_dual_lshlrev_b32 v60, 1, v63 :: v_dual_lshlrev_b32 v140, 1, v66
	v_cmp_lt_u32_e32 vcc_lo, v2, v139
	v_dual_lshlrev_b32 v61, 1, v67 :: v_dual_lshlrev_b32 v141, 1, v65
	v_lshlrev_b32_e32 v144, 1, v64
	ds_store_b16 v60, v180 offset:1024
	ds_store_b16 v61, v184 offset:1024
	;; [unrolled: 1-line block ×5, first 2 shown]
	s_wait_dscnt 0x0
	s_barrier_signal -1
	s_barrier_wait -1
	s_and_saveexec_b32 s16, vcc_lo
	s_cbranch_execnz .LBB2040_243
; %bb.175:                              ;   in Loop: Header=BB2040_96 Depth=2
	s_or_b32 exec_lo, exec_lo, s16
	v_cmp_lt_u32_e64 s15, v68, v139
	s_and_saveexec_b32 s17, s15
	s_cbranch_execnz .LBB2040_244
.LBB2040_176:                           ;   in Loop: Header=BB2040_96 Depth=2
	s_or_b32 exec_lo, exec_lo, s17
	v_cmp_lt_u32_e64 s16, v69, v139
	s_and_saveexec_b32 s18, s16
	s_cbranch_execnz .LBB2040_245
.LBB2040_177:                           ;   in Loop: Header=BB2040_96 Depth=2
	s_or_b32 exec_lo, exec_lo, s18
	v_cmp_lt_u32_e64 s17, v70, v139
	s_and_saveexec_b32 s19, s17
	s_cbranch_execnz .LBB2040_246
.LBB2040_178:                           ;   in Loop: Header=BB2040_96 Depth=2
	s_or_b32 exec_lo, exec_lo, s19
	v_cmp_lt_u32_e64 s18, v71, v139
	s_and_saveexec_b32 s20, s18
	s_cbranch_execnz .LBB2040_247
.LBB2040_179:                           ;   in Loop: Header=BB2040_96 Depth=2
	s_or_b32 exec_lo, exec_lo, s20
	v_cmp_lt_u32_e64 s19, v72, v139
	s_and_saveexec_b32 s21, s19
	s_cbranch_execnz .LBB2040_248
.LBB2040_180:                           ;   in Loop: Header=BB2040_96 Depth=2
	s_or_b32 exec_lo, exec_lo, s21
	v_cmp_lt_u32_e64 s20, v73, v139
	s_and_saveexec_b32 s22, s20
	s_cbranch_execnz .LBB2040_249
.LBB2040_181:                           ;   in Loop: Header=BB2040_96 Depth=2
	s_or_b32 exec_lo, exec_lo, s22
	v_cmp_lt_u32_e64 s21, v74, v139
	s_and_saveexec_b32 s23, s21
	s_cbranch_execnz .LBB2040_250
.LBB2040_182:                           ;   in Loop: Header=BB2040_96 Depth=2
	s_or_b32 exec_lo, exec_lo, s23
	v_cmp_lt_u32_e64 s22, v75, v139
	s_and_saveexec_b32 s24, s22
	s_cbranch_execnz .LBB2040_251
.LBB2040_183:                           ;   in Loop: Header=BB2040_96 Depth=2
	s_or_b32 exec_lo, exec_lo, s24
	v_cmp_lt_u32_e64 s23, v76, v139
	s_and_saveexec_b32 s25, s23
	s_cbranch_execnz .LBB2040_252
.LBB2040_184:                           ;   in Loop: Header=BB2040_96 Depth=2
	s_or_b32 exec_lo, exec_lo, s25
	v_cmp_lt_u32_e64 s24, v77, v139
	s_and_saveexec_b32 s26, s24
	s_cbranch_execnz .LBB2040_253
.LBB2040_185:                           ;   in Loop: Header=BB2040_96 Depth=2
	s_or_b32 exec_lo, exec_lo, s26
	v_cmp_lt_u32_e64 s25, v78, v139
	s_and_saveexec_b32 s27, s25
	s_cbranch_execnz .LBB2040_254
.LBB2040_186:                           ;   in Loop: Header=BB2040_96 Depth=2
	s_or_b32 exec_lo, exec_lo, s27
	v_cmp_lt_u32_e64 s26, v79, v139
	s_and_saveexec_b32 s28, s26
	s_cbranch_execnz .LBB2040_255
.LBB2040_187:                           ;   in Loop: Header=BB2040_96 Depth=2
	s_or_b32 exec_lo, exec_lo, s28
	v_cmp_lt_u32_e64 s27, v80, v139
	s_and_saveexec_b32 s29, s27
	s_cbranch_execnz .LBB2040_256
.LBB2040_188:                           ;   in Loop: Header=BB2040_96 Depth=2
	s_or_b32 exec_lo, exec_lo, s29
	v_cmp_lt_u32_e64 s28, v81, v139
	s_and_saveexec_b32 s30, s28
	s_cbranch_execnz .LBB2040_257
.LBB2040_189:                           ;   in Loop: Header=BB2040_96 Depth=2
	s_or_b32 exec_lo, exec_lo, s30
	v_cmp_lt_u32_e64 s29, v82, v139
	s_and_saveexec_b32 s58, s29
	s_cbranch_execz .LBB2040_191
.LBB2040_190:                           ;   in Loop: Header=BB2040_96 Depth=2
	ds_load_u16 v60, v93 offset:8704
	s_wait_dscnt 0x0
	v_cmp_ne_u16_e64 s30, 0x7fff, v60
	s_delay_alu instid0(VALU_DEP_1) | instskip(SKIP_1) | instid1(VALU_DEP_2)
	v_cndmask_b32_e64 v61, 0xffff8000, v60, s30
	v_cmp_lt_i16_e64 s30, -1, v60
	v_and_b32_e32 v61, 0xffff, v61
	s_delay_alu instid0(VALU_DEP_2) | instskip(NEXT) | instid1(VALU_DEP_1)
	v_cndmask_b32_e64 v140, 0xffff8000, -1, s30
	v_dual_lshrrev_b32 v61, s48, v61 :: v_dual_bitop2_b32 v60, v140, v60 bitop3:0x14
	s_delay_alu instid0(VALU_DEP_1) | instskip(NEXT) | instid1(VALU_DEP_1)
	v_and_b32_e32 v61, s52, v61
	v_lshlrev_b32_e32 v61, 2, v61
	ds_load_b32 v61, v61
	s_wait_dscnt 0x0
	v_add_nc_u32_e32 v61, v61, v82
	global_store_b16 v61, v60, s[38:39] scale_offset
.LBB2040_191:                           ;   in Loop: Header=BB2040_96 Depth=2
	s_wait_xcnt 0x0
	s_or_b32 exec_lo, exec_lo, s58
	v_lshl_add_u64 v[60:61], s[42:43], 3, v[24:25]
	v_cmp_lt_u32_e64 s30, v100, v139
	s_and_saveexec_b32 s42, s30
	s_delay_alu instid0(SALU_CYCLE_1)
	s_xor_b32 s30, exec_lo, s42
	s_cbranch_execnz .LBB2040_258
; %bb.192:                              ;   in Loop: Header=BB2040_96 Depth=2
	s_or_b32 exec_lo, exec_lo, s30
	s_delay_alu instid0(SALU_CYCLE_1)
	s_mov_b32 s42, exec_lo
	v_cmpx_lt_u32_e64 v103, v139
	s_cbranch_execnz .LBB2040_259
.LBB2040_193:                           ;   in Loop: Header=BB2040_96 Depth=2
	s_or_b32 exec_lo, exec_lo, s42
	s_delay_alu instid0(SALU_CYCLE_1)
	s_mov_b32 s42, exec_lo
	v_cmpx_lt_u32_e64 v104, v139
	s_cbranch_execnz .LBB2040_260
.LBB2040_194:                           ;   in Loop: Header=BB2040_96 Depth=2
	s_or_b32 exec_lo, exec_lo, s42
	s_delay_alu instid0(SALU_CYCLE_1)
	s_mov_b32 s42, exec_lo
	v_cmpx_lt_u32_e64 v105, v139
	s_cbranch_execnz .LBB2040_261
.LBB2040_195:                           ;   in Loop: Header=BB2040_96 Depth=2
	s_or_b32 exec_lo, exec_lo, s42
	s_delay_alu instid0(SALU_CYCLE_1)
	s_mov_b32 s42, exec_lo
	v_cmpx_lt_u32_e64 v106, v139
	s_cbranch_execnz .LBB2040_262
.LBB2040_196:                           ;   in Loop: Header=BB2040_96 Depth=2
	s_or_b32 exec_lo, exec_lo, s42
	s_delay_alu instid0(SALU_CYCLE_1)
	s_mov_b32 s42, exec_lo
	v_cmpx_lt_u32_e64 v107, v139
	s_cbranch_execnz .LBB2040_263
.LBB2040_197:                           ;   in Loop: Header=BB2040_96 Depth=2
	s_or_b32 exec_lo, exec_lo, s42
	s_delay_alu instid0(SALU_CYCLE_1)
	s_mov_b32 s42, exec_lo
	v_cmpx_lt_u32_e64 v108, v139
	s_cbranch_execnz .LBB2040_264
.LBB2040_198:                           ;   in Loop: Header=BB2040_96 Depth=2
	s_or_b32 exec_lo, exec_lo, s42
	s_delay_alu instid0(SALU_CYCLE_1)
	s_mov_b32 s42, exec_lo
	v_cmpx_lt_u32_e64 v109, v139
	s_cbranch_execnz .LBB2040_265
.LBB2040_199:                           ;   in Loop: Header=BB2040_96 Depth=2
	s_or_b32 exec_lo, exec_lo, s42
	s_delay_alu instid0(SALU_CYCLE_1)
	s_mov_b32 s42, exec_lo
	v_cmpx_lt_u32_e64 v110, v139
	s_cbranch_execnz .LBB2040_266
.LBB2040_200:                           ;   in Loop: Header=BB2040_96 Depth=2
	s_or_b32 exec_lo, exec_lo, s42
	s_delay_alu instid0(SALU_CYCLE_1)
	s_mov_b32 s42, exec_lo
	v_cmpx_lt_u32_e64 v111, v139
	s_cbranch_execnz .LBB2040_267
.LBB2040_201:                           ;   in Loop: Header=BB2040_96 Depth=2
	s_or_b32 exec_lo, exec_lo, s42
	s_delay_alu instid0(SALU_CYCLE_1)
	s_mov_b32 s42, exec_lo
	v_cmpx_lt_u32_e64 v112, v139
	s_cbranch_execnz .LBB2040_268
.LBB2040_202:                           ;   in Loop: Header=BB2040_96 Depth=2
	s_or_b32 exec_lo, exec_lo, s42
	s_delay_alu instid0(SALU_CYCLE_1)
	s_mov_b32 s42, exec_lo
	v_cmpx_lt_u32_e64 v113, v139
	s_cbranch_execnz .LBB2040_269
.LBB2040_203:                           ;   in Loop: Header=BB2040_96 Depth=2
	s_or_b32 exec_lo, exec_lo, s42
	s_delay_alu instid0(SALU_CYCLE_1)
	s_mov_b32 s42, exec_lo
	v_cmpx_lt_u32_e64 v114, v139
	s_cbranch_execnz .LBB2040_270
.LBB2040_204:                           ;   in Loop: Header=BB2040_96 Depth=2
	s_or_b32 exec_lo, exec_lo, s42
	s_delay_alu instid0(SALU_CYCLE_1)
	s_mov_b32 s42, exec_lo
	v_cmpx_lt_u32_e64 v115, v139
	s_cbranch_execnz .LBB2040_271
.LBB2040_205:                           ;   in Loop: Header=BB2040_96 Depth=2
	s_or_b32 exec_lo, exec_lo, s42
	s_delay_alu instid0(SALU_CYCLE_1)
	s_mov_b32 s42, exec_lo
	v_cmpx_lt_u32_e64 v116, v139
	s_cbranch_execnz .LBB2040_272
.LBB2040_206:                           ;   in Loop: Header=BB2040_96 Depth=2
	s_or_b32 exec_lo, exec_lo, s42
	s_delay_alu instid0(SALU_CYCLE_1)
	s_mov_b32 s42, exec_lo
	v_cmpx_lt_u32_e64 v117, v139
	s_cbranch_execnz .LBB2040_273
.LBB2040_207:                           ;   in Loop: Header=BB2040_96 Depth=2
	s_or_b32 exec_lo, exec_lo, s42
	s_and_saveexec_b32 s42, vcc_lo
	s_cbranch_execnz .LBB2040_274
.LBB2040_208:                           ;   in Loop: Header=BB2040_96 Depth=2
	s_or_b32 exec_lo, exec_lo, s42
	s_and_saveexec_b32 s42, s15
	s_cbranch_execnz .LBB2040_275
.LBB2040_209:                           ;   in Loop: Header=BB2040_96 Depth=2
	s_or_b32 exec_lo, exec_lo, s42
	s_and_saveexec_b32 s42, s16
	s_cbranch_execnz .LBB2040_276
.LBB2040_210:                           ;   in Loop: Header=BB2040_96 Depth=2
	s_or_b32 exec_lo, exec_lo, s42
	s_and_saveexec_b32 s42, s17
	s_cbranch_execnz .LBB2040_277
.LBB2040_211:                           ;   in Loop: Header=BB2040_96 Depth=2
	s_or_b32 exec_lo, exec_lo, s42
	s_and_saveexec_b32 s42, s18
	s_cbranch_execnz .LBB2040_278
.LBB2040_212:                           ;   in Loop: Header=BB2040_96 Depth=2
	s_or_b32 exec_lo, exec_lo, s42
	s_and_saveexec_b32 s42, s19
	s_cbranch_execnz .LBB2040_279
.LBB2040_213:                           ;   in Loop: Header=BB2040_96 Depth=2
	s_or_b32 exec_lo, exec_lo, s42
	s_and_saveexec_b32 s42, s20
	s_cbranch_execnz .LBB2040_280
.LBB2040_214:                           ;   in Loop: Header=BB2040_96 Depth=2
	s_or_b32 exec_lo, exec_lo, s42
	s_and_saveexec_b32 s42, s21
	s_cbranch_execnz .LBB2040_281
.LBB2040_215:                           ;   in Loop: Header=BB2040_96 Depth=2
	s_or_b32 exec_lo, exec_lo, s42
	s_and_saveexec_b32 s42, s22
	s_cbranch_execnz .LBB2040_282
.LBB2040_216:                           ;   in Loop: Header=BB2040_96 Depth=2
	s_or_b32 exec_lo, exec_lo, s42
	s_and_saveexec_b32 s42, s23
	s_cbranch_execnz .LBB2040_283
.LBB2040_217:                           ;   in Loop: Header=BB2040_96 Depth=2
	s_or_b32 exec_lo, exec_lo, s42
	s_and_saveexec_b32 s42, s24
	s_cbranch_execnz .LBB2040_284
.LBB2040_218:                           ;   in Loop: Header=BB2040_96 Depth=2
	s_or_b32 exec_lo, exec_lo, s42
	s_and_saveexec_b32 s42, s25
	s_cbranch_execnz .LBB2040_285
.LBB2040_219:                           ;   in Loop: Header=BB2040_96 Depth=2
	s_or_b32 exec_lo, exec_lo, s42
	s_and_saveexec_b32 s42, s26
	s_cbranch_execnz .LBB2040_286
.LBB2040_220:                           ;   in Loop: Header=BB2040_96 Depth=2
	s_or_b32 exec_lo, exec_lo, s42
	s_and_saveexec_b32 s42, s27
	s_cbranch_execnz .LBB2040_287
.LBB2040_221:                           ;   in Loop: Header=BB2040_96 Depth=2
	s_or_b32 exec_lo, exec_lo, s42
	s_and_saveexec_b32 s42, s28
	s_cbranch_execnz .LBB2040_288
.LBB2040_222:                           ;   in Loop: Header=BB2040_96 Depth=2
	s_or_b32 exec_lo, exec_lo, s42
	s_and_saveexec_b32 s42, s29
	s_cbranch_execz .LBB2040_224
.LBB2040_223:                           ;   in Loop: Header=BB2040_96 Depth=2
	ds_load_u16 v60, v93 offset:8704
	s_wait_dscnt 0x0
	v_cmp_ne_u16_e64 s30, 0x7fff, v60
	s_delay_alu instid0(VALU_DEP_1) | instskip(NEXT) | instid1(VALU_DEP_1)
	v_cndmask_b32_e64 v60, 0xffff8000, v60, s30
	v_and_b32_e32 v60, 0xffff, v60
	s_delay_alu instid0(VALU_DEP_1) | instskip(NEXT) | instid1(VALU_DEP_1)
	v_lshrrev_b32_e32 v60, s48, v60
	v_and_b32_e32 v123, s52, v60
.LBB2040_224:                           ;   in Loop: Header=BB2040_96 Depth=2
	s_or_b32 exec_lo, exec_lo, s42
	v_dual_lshlrev_b32 v60, 3, v163 :: v_dual_lshlrev_b32 v140, 3, v150
	s_wait_loadcnt 0x0
	s_wait_storecnt 0x0
	s_barrier_signal -1
	s_barrier_wait -1
	ds_store_b64 v60, v[58:59] offset:1024
	v_dual_lshlrev_b32 v60, 3, v159 :: v_dual_lshlrev_b32 v141, 3, v149
	v_lshlrev_b32_e32 v61, 3, v155
	v_lshlrev_b32_e32 v139, 3, v151
	ds_store_b64 v60, v[56:57] offset:1024
	ds_store_b64 v61, v[54:55] offset:1024
	;; [unrolled: 1-line block ×5, first 2 shown]
	v_dual_lshlrev_b32 v60, 3, v147 :: v_dual_lshlrev_b32 v141, 3, v142
	v_dual_lshlrev_b32 v61, 3, v146 :: v_dual_lshlrev_b32 v139, 3, v145
	v_lshlrev_b32_e32 v140, 3, v143
	ds_store_b64 v60, v[46:47] offset:1024
	ds_store_b64 v61, v[44:45] offset:1024
	;; [unrolled: 1-line block ×5, first 2 shown]
	v_dual_lshlrev_b32 v60, 3, v63 :: v_dual_lshlrev_b32 v65, 3, v65
	v_dual_lshlrev_b32 v61, 3, v67 :: v_dual_lshlrev_b32 v64, 3, v64
	v_lshlrev_b32_e32 v63, 3, v66
	ds_store_b64 v60, v[36:37] offset:1024
	ds_store_b64 v61, v[34:35] offset:1024
	;; [unrolled: 1-line block ×5, first 2 shown]
	s_wait_dscnt 0x0
	s_barrier_signal -1
	s_barrier_wait -1
	s_and_saveexec_b32 s30, vcc_lo
	s_cbranch_execnz .LBB2040_289
; %bb.225:                              ;   in Loop: Header=BB2040_96 Depth=2
	s_or_b32 exec_lo, exec_lo, s30
	s_and_saveexec_b32 s30, s15
	s_cbranch_execnz .LBB2040_290
.LBB2040_226:                           ;   in Loop: Header=BB2040_96 Depth=2
	s_or_b32 exec_lo, exec_lo, s30
	s_and_saveexec_b32 s15, s16
	s_cbranch_execnz .LBB2040_291
.LBB2040_227:                           ;   in Loop: Header=BB2040_96 Depth=2
	s_or_b32 exec_lo, exec_lo, s15
	s_and_saveexec_b32 s15, s17
	s_cbranch_execnz .LBB2040_292
.LBB2040_228:                           ;   in Loop: Header=BB2040_96 Depth=2
	s_or_b32 exec_lo, exec_lo, s15
	s_and_saveexec_b32 s15, s18
	s_cbranch_execnz .LBB2040_293
.LBB2040_229:                           ;   in Loop: Header=BB2040_96 Depth=2
	s_or_b32 exec_lo, exec_lo, s15
	s_and_saveexec_b32 s15, s19
	s_cbranch_execnz .LBB2040_294
.LBB2040_230:                           ;   in Loop: Header=BB2040_96 Depth=2
	s_or_b32 exec_lo, exec_lo, s15
	s_and_saveexec_b32 s15, s20
	s_cbranch_execnz .LBB2040_295
.LBB2040_231:                           ;   in Loop: Header=BB2040_96 Depth=2
	s_or_b32 exec_lo, exec_lo, s15
	s_and_saveexec_b32 s15, s21
	s_cbranch_execnz .LBB2040_296
.LBB2040_232:                           ;   in Loop: Header=BB2040_96 Depth=2
	s_or_b32 exec_lo, exec_lo, s15
	s_and_saveexec_b32 s15, s22
	s_cbranch_execnz .LBB2040_297
.LBB2040_233:                           ;   in Loop: Header=BB2040_96 Depth=2
	s_or_b32 exec_lo, exec_lo, s15
	s_and_saveexec_b32 s15, s23
	s_cbranch_execnz .LBB2040_298
.LBB2040_234:                           ;   in Loop: Header=BB2040_96 Depth=2
	s_or_b32 exec_lo, exec_lo, s15
	s_and_saveexec_b32 s15, s24
	s_cbranch_execnz .LBB2040_299
.LBB2040_235:                           ;   in Loop: Header=BB2040_96 Depth=2
	s_or_b32 exec_lo, exec_lo, s15
	s_and_saveexec_b32 s15, s25
	s_cbranch_execnz .LBB2040_300
.LBB2040_236:                           ;   in Loop: Header=BB2040_96 Depth=2
	s_or_b32 exec_lo, exec_lo, s15
	s_and_saveexec_b32 s15, s26
	s_cbranch_execnz .LBB2040_301
.LBB2040_237:                           ;   in Loop: Header=BB2040_96 Depth=2
	s_or_b32 exec_lo, exec_lo, s15
	s_and_saveexec_b32 s15, s27
	s_cbranch_execnz .LBB2040_302
.LBB2040_238:                           ;   in Loop: Header=BB2040_96 Depth=2
	s_or_b32 exec_lo, exec_lo, s15
	s_and_saveexec_b32 s15, s28
	s_cbranch_execnz .LBB2040_303
.LBB2040_239:                           ;   in Loop: Header=BB2040_96 Depth=2
	s_or_b32 exec_lo, exec_lo, s15
	s_and_saveexec_b32 s15, s29
	s_cbranch_execz .LBB2040_241
.LBB2040_240:                           ;   in Loop: Header=BB2040_96 Depth=2
	v_dual_lshlrev_b32 v60, 2, v123 :: v_dual_add_nc_u32 v61, v93, v94
	ds_load_b32 v63, v60
	ds_load_b64 v[60:61], v61 offset:31744
	s_wait_dscnt 0x1
	v_add_nc_u32_e32 v63, v63, v82
	s_wait_dscnt 0x0
	global_store_b64 v63, v[60:61], s[44:45] scale_offset
.LBB2040_241:                           ;   in Loop: Header=BB2040_96 Depth=2
	s_wait_xcnt 0x0
	s_or_b32 exec_lo, exec_lo, s15
	s_wait_storecnt 0x0
	s_barrier_signal -1
	s_barrier_wait -1
	s_and_saveexec_b32 s15, s0
	s_cbranch_execz .LBB2040_95
; %bb.242:                              ;   in Loop: Header=BB2040_96 Depth=2
	ds_load_b32 v60, v3
	s_wait_dscnt 0x0
	v_add_nc_u32_e32 v60, v60, v62
	ds_store_b32 v3, v60
	s_branch .LBB2040_95
.LBB2040_243:                           ;   in Loop: Header=BB2040_96 Depth=2
	ds_load_u16 v60, v93 offset:1024
	s_wait_dscnt 0x0
	v_cmp_ne_u16_e64 s15, 0x7fff, v60
	s_delay_alu instid0(VALU_DEP_1) | instskip(SKIP_1) | instid1(VALU_DEP_2)
	v_cndmask_b32_e64 v61, 0xffff8000, v60, s15
	v_cmp_lt_i16_e64 s15, -1, v60
	v_and_b32_e32 v61, 0xffff, v61
	s_delay_alu instid0(VALU_DEP_2) | instskip(NEXT) | instid1(VALU_DEP_1)
	v_cndmask_b32_e64 v140, 0xffff8000, -1, s15
	v_dual_lshrrev_b32 v61, s48, v61 :: v_dual_bitop2_b32 v60, v140, v60 bitop3:0x14
	s_delay_alu instid0(VALU_DEP_1) | instskip(NEXT) | instid1(VALU_DEP_1)
	v_and_b32_e32 v61, s52, v61
	v_lshlrev_b32_e32 v61, 2, v61
	ds_load_b32 v61, v61
	s_wait_dscnt 0x0
	v_add_nc_u32_e32 v61, v61, v2
	global_store_b16 v61, v60, s[38:39] scale_offset
	s_wait_xcnt 0x0
	s_or_b32 exec_lo, exec_lo, s16
	v_cmp_lt_u32_e64 s15, v68, v139
	s_and_saveexec_b32 s17, s15
	s_cbranch_execz .LBB2040_176
.LBB2040_244:                           ;   in Loop: Header=BB2040_96 Depth=2
	ds_load_u16 v60, v93 offset:1536
	s_wait_dscnt 0x0
	v_cmp_ne_u16_e64 s16, 0x7fff, v60
	s_delay_alu instid0(VALU_DEP_1) | instskip(SKIP_1) | instid1(VALU_DEP_2)
	v_cndmask_b32_e64 v61, 0xffff8000, v60, s16
	v_cmp_lt_i16_e64 s16, -1, v60
	v_and_b32_e32 v61, 0xffff, v61
	s_delay_alu instid0(VALU_DEP_2) | instskip(NEXT) | instid1(VALU_DEP_1)
	v_cndmask_b32_e64 v140, 0xffff8000, -1, s16
	v_dual_lshrrev_b32 v61, s48, v61 :: v_dual_bitop2_b32 v60, v140, v60 bitop3:0x14
	s_delay_alu instid0(VALU_DEP_1) | instskip(NEXT) | instid1(VALU_DEP_1)
	v_and_b32_e32 v61, s52, v61
	v_lshlrev_b32_e32 v61, 2, v61
	ds_load_b32 v61, v61
	s_wait_dscnt 0x0
	v_add_nc_u32_e32 v61, v61, v68
	global_store_b16 v61, v60, s[38:39] scale_offset
	s_wait_xcnt 0x0
	s_or_b32 exec_lo, exec_lo, s17
	v_cmp_lt_u32_e64 s16, v69, v139
	s_and_saveexec_b32 s18, s16
	s_cbranch_execz .LBB2040_177
.LBB2040_245:                           ;   in Loop: Header=BB2040_96 Depth=2
	ds_load_u16 v60, v93 offset:2048
	s_wait_dscnt 0x0
	v_cmp_ne_u16_e64 s17, 0x7fff, v60
	s_delay_alu instid0(VALU_DEP_1) | instskip(SKIP_1) | instid1(VALU_DEP_2)
	v_cndmask_b32_e64 v61, 0xffff8000, v60, s17
	v_cmp_lt_i16_e64 s17, -1, v60
	v_and_b32_e32 v61, 0xffff, v61
	s_delay_alu instid0(VALU_DEP_2) | instskip(NEXT) | instid1(VALU_DEP_1)
	v_cndmask_b32_e64 v140, 0xffff8000, -1, s17
	v_dual_lshrrev_b32 v61, s48, v61 :: v_dual_bitop2_b32 v60, v140, v60 bitop3:0x14
	s_delay_alu instid0(VALU_DEP_1) | instskip(NEXT) | instid1(VALU_DEP_1)
	v_and_b32_e32 v61, s52, v61
	v_lshlrev_b32_e32 v61, 2, v61
	ds_load_b32 v61, v61
	s_wait_dscnt 0x0
	v_add_nc_u32_e32 v61, v61, v69
	global_store_b16 v61, v60, s[38:39] scale_offset
	s_wait_xcnt 0x0
	s_or_b32 exec_lo, exec_lo, s18
	v_cmp_lt_u32_e64 s17, v70, v139
	s_and_saveexec_b32 s19, s17
	s_cbranch_execz .LBB2040_178
.LBB2040_246:                           ;   in Loop: Header=BB2040_96 Depth=2
	ds_load_u16 v60, v93 offset:2560
	s_wait_dscnt 0x0
	v_cmp_ne_u16_e64 s18, 0x7fff, v60
	s_delay_alu instid0(VALU_DEP_1) | instskip(SKIP_1) | instid1(VALU_DEP_2)
	v_cndmask_b32_e64 v61, 0xffff8000, v60, s18
	v_cmp_lt_i16_e64 s18, -1, v60
	v_and_b32_e32 v61, 0xffff, v61
	s_delay_alu instid0(VALU_DEP_2) | instskip(NEXT) | instid1(VALU_DEP_1)
	v_cndmask_b32_e64 v140, 0xffff8000, -1, s18
	v_dual_lshrrev_b32 v61, s48, v61 :: v_dual_bitop2_b32 v60, v140, v60 bitop3:0x14
	s_delay_alu instid0(VALU_DEP_1) | instskip(NEXT) | instid1(VALU_DEP_1)
	v_and_b32_e32 v61, s52, v61
	v_lshlrev_b32_e32 v61, 2, v61
	ds_load_b32 v61, v61
	s_wait_dscnt 0x0
	v_add_nc_u32_e32 v61, v61, v70
	global_store_b16 v61, v60, s[38:39] scale_offset
	s_wait_xcnt 0x0
	s_or_b32 exec_lo, exec_lo, s19
	v_cmp_lt_u32_e64 s18, v71, v139
	s_and_saveexec_b32 s20, s18
	s_cbranch_execz .LBB2040_179
.LBB2040_247:                           ;   in Loop: Header=BB2040_96 Depth=2
	ds_load_u16 v60, v93 offset:3072
	s_wait_dscnt 0x0
	v_cmp_ne_u16_e64 s19, 0x7fff, v60
	s_delay_alu instid0(VALU_DEP_1) | instskip(SKIP_1) | instid1(VALU_DEP_2)
	v_cndmask_b32_e64 v61, 0xffff8000, v60, s19
	v_cmp_lt_i16_e64 s19, -1, v60
	v_and_b32_e32 v61, 0xffff, v61
	s_delay_alu instid0(VALU_DEP_2) | instskip(NEXT) | instid1(VALU_DEP_1)
	v_cndmask_b32_e64 v140, 0xffff8000, -1, s19
	v_dual_lshrrev_b32 v61, s48, v61 :: v_dual_bitop2_b32 v60, v140, v60 bitop3:0x14
	s_delay_alu instid0(VALU_DEP_1) | instskip(NEXT) | instid1(VALU_DEP_1)
	v_and_b32_e32 v61, s52, v61
	v_lshlrev_b32_e32 v61, 2, v61
	ds_load_b32 v61, v61
	s_wait_dscnt 0x0
	v_add_nc_u32_e32 v61, v61, v71
	global_store_b16 v61, v60, s[38:39] scale_offset
	s_wait_xcnt 0x0
	s_or_b32 exec_lo, exec_lo, s20
	v_cmp_lt_u32_e64 s19, v72, v139
	s_and_saveexec_b32 s21, s19
	s_cbranch_execz .LBB2040_180
.LBB2040_248:                           ;   in Loop: Header=BB2040_96 Depth=2
	ds_load_u16 v60, v93 offset:3584
	s_wait_dscnt 0x0
	v_cmp_ne_u16_e64 s20, 0x7fff, v60
	s_delay_alu instid0(VALU_DEP_1) | instskip(SKIP_1) | instid1(VALU_DEP_2)
	v_cndmask_b32_e64 v61, 0xffff8000, v60, s20
	v_cmp_lt_i16_e64 s20, -1, v60
	v_and_b32_e32 v61, 0xffff, v61
	s_delay_alu instid0(VALU_DEP_2) | instskip(NEXT) | instid1(VALU_DEP_1)
	v_cndmask_b32_e64 v140, 0xffff8000, -1, s20
	v_dual_lshrrev_b32 v61, s48, v61 :: v_dual_bitop2_b32 v60, v140, v60 bitop3:0x14
	s_delay_alu instid0(VALU_DEP_1) | instskip(NEXT) | instid1(VALU_DEP_1)
	v_and_b32_e32 v61, s52, v61
	v_lshlrev_b32_e32 v61, 2, v61
	ds_load_b32 v61, v61
	s_wait_dscnt 0x0
	v_add_nc_u32_e32 v61, v61, v72
	global_store_b16 v61, v60, s[38:39] scale_offset
	s_wait_xcnt 0x0
	s_or_b32 exec_lo, exec_lo, s21
	v_cmp_lt_u32_e64 s20, v73, v139
	s_and_saveexec_b32 s22, s20
	s_cbranch_execz .LBB2040_181
.LBB2040_249:                           ;   in Loop: Header=BB2040_96 Depth=2
	ds_load_u16 v60, v93 offset:4096
	s_wait_dscnt 0x0
	v_cmp_ne_u16_e64 s21, 0x7fff, v60
	s_delay_alu instid0(VALU_DEP_1) | instskip(SKIP_1) | instid1(VALU_DEP_2)
	v_cndmask_b32_e64 v61, 0xffff8000, v60, s21
	v_cmp_lt_i16_e64 s21, -1, v60
	v_and_b32_e32 v61, 0xffff, v61
	s_delay_alu instid0(VALU_DEP_2) | instskip(NEXT) | instid1(VALU_DEP_1)
	v_cndmask_b32_e64 v140, 0xffff8000, -1, s21
	v_dual_lshrrev_b32 v61, s48, v61 :: v_dual_bitop2_b32 v60, v140, v60 bitop3:0x14
	s_delay_alu instid0(VALU_DEP_1) | instskip(NEXT) | instid1(VALU_DEP_1)
	v_and_b32_e32 v61, s52, v61
	v_lshlrev_b32_e32 v61, 2, v61
	ds_load_b32 v61, v61
	s_wait_dscnt 0x0
	v_add_nc_u32_e32 v61, v61, v73
	global_store_b16 v61, v60, s[38:39] scale_offset
	s_wait_xcnt 0x0
	s_or_b32 exec_lo, exec_lo, s22
	v_cmp_lt_u32_e64 s21, v74, v139
	s_and_saveexec_b32 s23, s21
	s_cbranch_execz .LBB2040_182
.LBB2040_250:                           ;   in Loop: Header=BB2040_96 Depth=2
	ds_load_u16 v60, v93 offset:4608
	s_wait_dscnt 0x0
	v_cmp_ne_u16_e64 s22, 0x7fff, v60
	s_delay_alu instid0(VALU_DEP_1) | instskip(SKIP_1) | instid1(VALU_DEP_2)
	v_cndmask_b32_e64 v61, 0xffff8000, v60, s22
	v_cmp_lt_i16_e64 s22, -1, v60
	v_and_b32_e32 v61, 0xffff, v61
	s_delay_alu instid0(VALU_DEP_2) | instskip(NEXT) | instid1(VALU_DEP_1)
	v_cndmask_b32_e64 v140, 0xffff8000, -1, s22
	v_dual_lshrrev_b32 v61, s48, v61 :: v_dual_bitop2_b32 v60, v140, v60 bitop3:0x14
	s_delay_alu instid0(VALU_DEP_1) | instskip(NEXT) | instid1(VALU_DEP_1)
	v_and_b32_e32 v61, s52, v61
	v_lshlrev_b32_e32 v61, 2, v61
	ds_load_b32 v61, v61
	s_wait_dscnt 0x0
	v_add_nc_u32_e32 v61, v61, v74
	global_store_b16 v61, v60, s[38:39] scale_offset
	s_wait_xcnt 0x0
	s_or_b32 exec_lo, exec_lo, s23
	v_cmp_lt_u32_e64 s22, v75, v139
	s_and_saveexec_b32 s24, s22
	s_cbranch_execz .LBB2040_183
.LBB2040_251:                           ;   in Loop: Header=BB2040_96 Depth=2
	ds_load_u16 v60, v93 offset:5120
	s_wait_dscnt 0x0
	v_cmp_ne_u16_e64 s23, 0x7fff, v60
	s_delay_alu instid0(VALU_DEP_1) | instskip(SKIP_1) | instid1(VALU_DEP_2)
	v_cndmask_b32_e64 v61, 0xffff8000, v60, s23
	v_cmp_lt_i16_e64 s23, -1, v60
	v_and_b32_e32 v61, 0xffff, v61
	s_delay_alu instid0(VALU_DEP_2) | instskip(NEXT) | instid1(VALU_DEP_1)
	v_cndmask_b32_e64 v140, 0xffff8000, -1, s23
	v_dual_lshrrev_b32 v61, s48, v61 :: v_dual_bitop2_b32 v60, v140, v60 bitop3:0x14
	s_delay_alu instid0(VALU_DEP_1) | instskip(NEXT) | instid1(VALU_DEP_1)
	v_and_b32_e32 v61, s52, v61
	v_lshlrev_b32_e32 v61, 2, v61
	ds_load_b32 v61, v61
	s_wait_dscnt 0x0
	v_add_nc_u32_e32 v61, v61, v75
	global_store_b16 v61, v60, s[38:39] scale_offset
	s_wait_xcnt 0x0
	s_or_b32 exec_lo, exec_lo, s24
	v_cmp_lt_u32_e64 s23, v76, v139
	s_and_saveexec_b32 s25, s23
	s_cbranch_execz .LBB2040_184
.LBB2040_252:                           ;   in Loop: Header=BB2040_96 Depth=2
	ds_load_u16 v60, v93 offset:5632
	s_wait_dscnt 0x0
	v_cmp_ne_u16_e64 s24, 0x7fff, v60
	s_delay_alu instid0(VALU_DEP_1) | instskip(SKIP_1) | instid1(VALU_DEP_2)
	v_cndmask_b32_e64 v61, 0xffff8000, v60, s24
	v_cmp_lt_i16_e64 s24, -1, v60
	v_and_b32_e32 v61, 0xffff, v61
	s_delay_alu instid0(VALU_DEP_2) | instskip(NEXT) | instid1(VALU_DEP_1)
	v_cndmask_b32_e64 v140, 0xffff8000, -1, s24
	v_dual_lshrrev_b32 v61, s48, v61 :: v_dual_bitop2_b32 v60, v140, v60 bitop3:0x14
	s_delay_alu instid0(VALU_DEP_1) | instskip(NEXT) | instid1(VALU_DEP_1)
	v_and_b32_e32 v61, s52, v61
	v_lshlrev_b32_e32 v61, 2, v61
	ds_load_b32 v61, v61
	s_wait_dscnt 0x0
	v_add_nc_u32_e32 v61, v61, v76
	global_store_b16 v61, v60, s[38:39] scale_offset
	s_wait_xcnt 0x0
	s_or_b32 exec_lo, exec_lo, s25
	v_cmp_lt_u32_e64 s24, v77, v139
	s_and_saveexec_b32 s26, s24
	s_cbranch_execz .LBB2040_185
.LBB2040_253:                           ;   in Loop: Header=BB2040_96 Depth=2
	ds_load_u16 v60, v93 offset:6144
	s_wait_dscnt 0x0
	v_cmp_ne_u16_e64 s25, 0x7fff, v60
	s_delay_alu instid0(VALU_DEP_1) | instskip(SKIP_1) | instid1(VALU_DEP_2)
	v_cndmask_b32_e64 v61, 0xffff8000, v60, s25
	v_cmp_lt_i16_e64 s25, -1, v60
	v_and_b32_e32 v61, 0xffff, v61
	s_delay_alu instid0(VALU_DEP_2) | instskip(NEXT) | instid1(VALU_DEP_1)
	v_cndmask_b32_e64 v140, 0xffff8000, -1, s25
	v_dual_lshrrev_b32 v61, s48, v61 :: v_dual_bitop2_b32 v60, v140, v60 bitop3:0x14
	s_delay_alu instid0(VALU_DEP_1) | instskip(NEXT) | instid1(VALU_DEP_1)
	v_and_b32_e32 v61, s52, v61
	v_lshlrev_b32_e32 v61, 2, v61
	ds_load_b32 v61, v61
	s_wait_dscnt 0x0
	v_add_nc_u32_e32 v61, v61, v77
	global_store_b16 v61, v60, s[38:39] scale_offset
	s_wait_xcnt 0x0
	s_or_b32 exec_lo, exec_lo, s26
	v_cmp_lt_u32_e64 s25, v78, v139
	s_and_saveexec_b32 s27, s25
	s_cbranch_execz .LBB2040_186
.LBB2040_254:                           ;   in Loop: Header=BB2040_96 Depth=2
	ds_load_u16 v60, v93 offset:6656
	s_wait_dscnt 0x0
	v_cmp_ne_u16_e64 s26, 0x7fff, v60
	s_delay_alu instid0(VALU_DEP_1) | instskip(SKIP_1) | instid1(VALU_DEP_2)
	v_cndmask_b32_e64 v61, 0xffff8000, v60, s26
	v_cmp_lt_i16_e64 s26, -1, v60
	v_and_b32_e32 v61, 0xffff, v61
	s_delay_alu instid0(VALU_DEP_2) | instskip(NEXT) | instid1(VALU_DEP_1)
	v_cndmask_b32_e64 v140, 0xffff8000, -1, s26
	v_dual_lshrrev_b32 v61, s48, v61 :: v_dual_bitop2_b32 v60, v140, v60 bitop3:0x14
	s_delay_alu instid0(VALU_DEP_1) | instskip(NEXT) | instid1(VALU_DEP_1)
	v_and_b32_e32 v61, s52, v61
	v_lshlrev_b32_e32 v61, 2, v61
	ds_load_b32 v61, v61
	s_wait_dscnt 0x0
	v_add_nc_u32_e32 v61, v61, v78
	global_store_b16 v61, v60, s[38:39] scale_offset
	s_wait_xcnt 0x0
	s_or_b32 exec_lo, exec_lo, s27
	v_cmp_lt_u32_e64 s26, v79, v139
	s_and_saveexec_b32 s28, s26
	s_cbranch_execz .LBB2040_187
.LBB2040_255:                           ;   in Loop: Header=BB2040_96 Depth=2
	ds_load_u16 v60, v93 offset:7168
	s_wait_dscnt 0x0
	v_cmp_ne_u16_e64 s27, 0x7fff, v60
	s_delay_alu instid0(VALU_DEP_1) | instskip(SKIP_1) | instid1(VALU_DEP_2)
	v_cndmask_b32_e64 v61, 0xffff8000, v60, s27
	v_cmp_lt_i16_e64 s27, -1, v60
	v_and_b32_e32 v61, 0xffff, v61
	s_delay_alu instid0(VALU_DEP_2) | instskip(NEXT) | instid1(VALU_DEP_1)
	v_cndmask_b32_e64 v140, 0xffff8000, -1, s27
	v_dual_lshrrev_b32 v61, s48, v61 :: v_dual_bitop2_b32 v60, v140, v60 bitop3:0x14
	s_delay_alu instid0(VALU_DEP_1) | instskip(NEXT) | instid1(VALU_DEP_1)
	v_and_b32_e32 v61, s52, v61
	v_lshlrev_b32_e32 v61, 2, v61
	ds_load_b32 v61, v61
	s_wait_dscnt 0x0
	v_add_nc_u32_e32 v61, v61, v79
	global_store_b16 v61, v60, s[38:39] scale_offset
	s_wait_xcnt 0x0
	s_or_b32 exec_lo, exec_lo, s28
	v_cmp_lt_u32_e64 s27, v80, v139
	s_and_saveexec_b32 s29, s27
	s_cbranch_execz .LBB2040_188
.LBB2040_256:                           ;   in Loop: Header=BB2040_96 Depth=2
	ds_load_u16 v60, v93 offset:7680
	s_wait_dscnt 0x0
	v_cmp_ne_u16_e64 s28, 0x7fff, v60
	s_delay_alu instid0(VALU_DEP_1) | instskip(SKIP_1) | instid1(VALU_DEP_2)
	v_cndmask_b32_e64 v61, 0xffff8000, v60, s28
	v_cmp_lt_i16_e64 s28, -1, v60
	v_and_b32_e32 v61, 0xffff, v61
	s_delay_alu instid0(VALU_DEP_2) | instskip(NEXT) | instid1(VALU_DEP_1)
	v_cndmask_b32_e64 v140, 0xffff8000, -1, s28
	v_dual_lshrrev_b32 v61, s48, v61 :: v_dual_bitop2_b32 v60, v140, v60 bitop3:0x14
	s_delay_alu instid0(VALU_DEP_1) | instskip(NEXT) | instid1(VALU_DEP_1)
	v_and_b32_e32 v61, s52, v61
	v_lshlrev_b32_e32 v61, 2, v61
	ds_load_b32 v61, v61
	s_wait_dscnt 0x0
	v_add_nc_u32_e32 v61, v61, v80
	global_store_b16 v61, v60, s[38:39] scale_offset
	s_wait_xcnt 0x0
	s_or_b32 exec_lo, exec_lo, s29
	v_cmp_lt_u32_e64 s28, v81, v139
	s_and_saveexec_b32 s30, s28
	s_cbranch_execz .LBB2040_189
.LBB2040_257:                           ;   in Loop: Header=BB2040_96 Depth=2
	ds_load_u16 v60, v93 offset:8192
	s_wait_dscnt 0x0
	v_cmp_ne_u16_e64 s29, 0x7fff, v60
	s_delay_alu instid0(VALU_DEP_1) | instskip(SKIP_1) | instid1(VALU_DEP_2)
	v_cndmask_b32_e64 v61, 0xffff8000, v60, s29
	v_cmp_lt_i16_e64 s29, -1, v60
	v_and_b32_e32 v61, 0xffff, v61
	s_delay_alu instid0(VALU_DEP_2) | instskip(NEXT) | instid1(VALU_DEP_1)
	v_cndmask_b32_e64 v140, 0xffff8000, -1, s29
	v_dual_lshrrev_b32 v61, s48, v61 :: v_dual_bitop2_b32 v60, v140, v60 bitop3:0x14
	s_delay_alu instid0(VALU_DEP_1) | instskip(NEXT) | instid1(VALU_DEP_1)
	v_and_b32_e32 v61, s52, v61
	v_lshlrev_b32_e32 v61, 2, v61
	ds_load_b32 v61, v61
	s_wait_dscnt 0x0
	v_add_nc_u32_e32 v61, v61, v81
	global_store_b16 v61, v60, s[38:39] scale_offset
	s_wait_xcnt 0x0
	s_or_b32 exec_lo, exec_lo, s30
	v_cmp_lt_u32_e64 s29, v82, v139
	s_and_saveexec_b32 s58, s29
	s_cbranch_execnz .LBB2040_190
	s_branch .LBB2040_191
.LBB2040_258:                           ;   in Loop: Header=BB2040_96 Depth=2
	global_load_b64 v[58:59], v[60:61], off
	s_wait_xcnt 0x0
	s_or_b32 exec_lo, exec_lo, s30
	s_delay_alu instid0(SALU_CYCLE_1)
	s_mov_b32 s42, exec_lo
	v_cmpx_lt_u32_e64 v103, v139
	s_cbranch_execz .LBB2040_193
.LBB2040_259:                           ;   in Loop: Header=BB2040_96 Depth=2
	global_load_b64 v[56:57], v[60:61], off offset:256
	s_wait_xcnt 0x0
	s_or_b32 exec_lo, exec_lo, s42
	s_delay_alu instid0(SALU_CYCLE_1)
	s_mov_b32 s42, exec_lo
	v_cmpx_lt_u32_e64 v104, v139
	s_cbranch_execz .LBB2040_194
.LBB2040_260:                           ;   in Loop: Header=BB2040_96 Depth=2
	global_load_b64 v[54:55], v[60:61], off offset:512
	s_wait_xcnt 0x0
	s_or_b32 exec_lo, exec_lo, s42
	s_delay_alu instid0(SALU_CYCLE_1)
	s_mov_b32 s42, exec_lo
	v_cmpx_lt_u32_e64 v105, v139
	s_cbranch_execz .LBB2040_195
.LBB2040_261:                           ;   in Loop: Header=BB2040_96 Depth=2
	global_load_b64 v[52:53], v[60:61], off offset:768
	s_wait_xcnt 0x0
	s_or_b32 exec_lo, exec_lo, s42
	s_delay_alu instid0(SALU_CYCLE_1)
	s_mov_b32 s42, exec_lo
	v_cmpx_lt_u32_e64 v106, v139
	s_cbranch_execz .LBB2040_196
.LBB2040_262:                           ;   in Loop: Header=BB2040_96 Depth=2
	global_load_b64 v[50:51], v[60:61], off offset:1024
	s_wait_xcnt 0x0
	s_or_b32 exec_lo, exec_lo, s42
	s_delay_alu instid0(SALU_CYCLE_1)
	s_mov_b32 s42, exec_lo
	v_cmpx_lt_u32_e64 v107, v139
	s_cbranch_execz .LBB2040_197
.LBB2040_263:                           ;   in Loop: Header=BB2040_96 Depth=2
	global_load_b64 v[48:49], v[60:61], off offset:1280
	s_wait_xcnt 0x0
	s_or_b32 exec_lo, exec_lo, s42
	s_delay_alu instid0(SALU_CYCLE_1)
	s_mov_b32 s42, exec_lo
	v_cmpx_lt_u32_e64 v108, v139
	s_cbranch_execz .LBB2040_198
.LBB2040_264:                           ;   in Loop: Header=BB2040_96 Depth=2
	global_load_b64 v[46:47], v[60:61], off offset:1536
	s_wait_xcnt 0x0
	s_or_b32 exec_lo, exec_lo, s42
	s_delay_alu instid0(SALU_CYCLE_1)
	s_mov_b32 s42, exec_lo
	v_cmpx_lt_u32_e64 v109, v139
	s_cbranch_execz .LBB2040_199
.LBB2040_265:                           ;   in Loop: Header=BB2040_96 Depth=2
	global_load_b64 v[44:45], v[60:61], off offset:1792
	s_wait_xcnt 0x0
	s_or_b32 exec_lo, exec_lo, s42
	s_delay_alu instid0(SALU_CYCLE_1)
	s_mov_b32 s42, exec_lo
	v_cmpx_lt_u32_e64 v110, v139
	s_cbranch_execz .LBB2040_200
.LBB2040_266:                           ;   in Loop: Header=BB2040_96 Depth=2
	global_load_b64 v[42:43], v[60:61], off offset:2048
	s_wait_xcnt 0x0
	s_or_b32 exec_lo, exec_lo, s42
	s_delay_alu instid0(SALU_CYCLE_1)
	s_mov_b32 s42, exec_lo
	v_cmpx_lt_u32_e64 v111, v139
	s_cbranch_execz .LBB2040_201
.LBB2040_267:                           ;   in Loop: Header=BB2040_96 Depth=2
	global_load_b64 v[40:41], v[60:61], off offset:2304
	s_wait_xcnt 0x0
	s_or_b32 exec_lo, exec_lo, s42
	s_delay_alu instid0(SALU_CYCLE_1)
	s_mov_b32 s42, exec_lo
	v_cmpx_lt_u32_e64 v112, v139
	s_cbranch_execz .LBB2040_202
.LBB2040_268:                           ;   in Loop: Header=BB2040_96 Depth=2
	global_load_b64 v[38:39], v[60:61], off offset:2560
	s_wait_xcnt 0x0
	s_or_b32 exec_lo, exec_lo, s42
	s_delay_alu instid0(SALU_CYCLE_1)
	s_mov_b32 s42, exec_lo
	v_cmpx_lt_u32_e64 v113, v139
	s_cbranch_execz .LBB2040_203
.LBB2040_269:                           ;   in Loop: Header=BB2040_96 Depth=2
	global_load_b64 v[36:37], v[60:61], off offset:2816
	s_wait_xcnt 0x0
	s_or_b32 exec_lo, exec_lo, s42
	s_delay_alu instid0(SALU_CYCLE_1)
	s_mov_b32 s42, exec_lo
	v_cmpx_lt_u32_e64 v114, v139
	s_cbranch_execz .LBB2040_204
.LBB2040_270:                           ;   in Loop: Header=BB2040_96 Depth=2
	global_load_b64 v[34:35], v[60:61], off offset:3072
	s_wait_xcnt 0x0
	s_or_b32 exec_lo, exec_lo, s42
	s_delay_alu instid0(SALU_CYCLE_1)
	s_mov_b32 s42, exec_lo
	v_cmpx_lt_u32_e64 v115, v139
	s_cbranch_execz .LBB2040_205
.LBB2040_271:                           ;   in Loop: Header=BB2040_96 Depth=2
	global_load_b64 v[32:33], v[60:61], off offset:3328
	s_wait_xcnt 0x0
	s_or_b32 exec_lo, exec_lo, s42
	s_delay_alu instid0(SALU_CYCLE_1)
	s_mov_b32 s42, exec_lo
	v_cmpx_lt_u32_e64 v116, v139
	s_cbranch_execz .LBB2040_206
.LBB2040_272:                           ;   in Loop: Header=BB2040_96 Depth=2
	global_load_b64 v[30:31], v[60:61], off offset:3584
	s_wait_xcnt 0x0
	s_or_b32 exec_lo, exec_lo, s42
	s_delay_alu instid0(SALU_CYCLE_1)
	s_mov_b32 s42, exec_lo
	v_cmpx_lt_u32_e64 v117, v139
	s_cbranch_execz .LBB2040_207
.LBB2040_273:                           ;   in Loop: Header=BB2040_96 Depth=2
	global_load_b64 v[28:29], v[60:61], off offset:3840
	s_wait_xcnt 0x0
	s_or_b32 exec_lo, exec_lo, s42
	s_and_saveexec_b32 s42, vcc_lo
	s_cbranch_execz .LBB2040_208
.LBB2040_274:                           ;   in Loop: Header=BB2040_96 Depth=2
	ds_load_u16 v60, v93 offset:1024
	s_wait_dscnt 0x0
	v_cmp_ne_u16_e64 s30, 0x7fff, v60
	s_delay_alu instid0(VALU_DEP_1) | instskip(NEXT) | instid1(VALU_DEP_1)
	v_cndmask_b32_e64 v60, 0xffff8000, v60, s30
	v_and_b32_e32 v60, 0xffff, v60
	s_delay_alu instid0(VALU_DEP_1) | instskip(NEXT) | instid1(VALU_DEP_1)
	v_lshrrev_b32_e32 v60, s48, v60
	v_and_b32_e32 v138, s52, v60
	s_or_b32 exec_lo, exec_lo, s42
	s_and_saveexec_b32 s42, s15
	s_cbranch_execz .LBB2040_209
.LBB2040_275:                           ;   in Loop: Header=BB2040_96 Depth=2
	ds_load_u16 v60, v93 offset:1536
	s_wait_dscnt 0x0
	v_cmp_ne_u16_e64 s30, 0x7fff, v60
	s_delay_alu instid0(VALU_DEP_1) | instskip(NEXT) | instid1(VALU_DEP_1)
	v_cndmask_b32_e64 v60, 0xffff8000, v60, s30
	v_and_b32_e32 v60, 0xffff, v60
	s_delay_alu instid0(VALU_DEP_1) | instskip(NEXT) | instid1(VALU_DEP_1)
	v_lshrrev_b32_e32 v60, s48, v60
	v_and_b32_e32 v137, s52, v60
	s_or_b32 exec_lo, exec_lo, s42
	s_and_saveexec_b32 s42, s16
	s_cbranch_execz .LBB2040_210
.LBB2040_276:                           ;   in Loop: Header=BB2040_96 Depth=2
	ds_load_u16 v60, v93 offset:2048
	s_wait_dscnt 0x0
	v_cmp_ne_u16_e64 s30, 0x7fff, v60
	s_delay_alu instid0(VALU_DEP_1) | instskip(NEXT) | instid1(VALU_DEP_1)
	v_cndmask_b32_e64 v60, 0xffff8000, v60, s30
	v_and_b32_e32 v60, 0xffff, v60
	s_delay_alu instid0(VALU_DEP_1) | instskip(NEXT) | instid1(VALU_DEP_1)
	v_lshrrev_b32_e32 v60, s48, v60
	v_and_b32_e32 v136, s52, v60
	s_or_b32 exec_lo, exec_lo, s42
	s_and_saveexec_b32 s42, s17
	s_cbranch_execz .LBB2040_211
.LBB2040_277:                           ;   in Loop: Header=BB2040_96 Depth=2
	ds_load_u16 v60, v93 offset:2560
	s_wait_dscnt 0x0
	v_cmp_ne_u16_e64 s30, 0x7fff, v60
	s_delay_alu instid0(VALU_DEP_1) | instskip(NEXT) | instid1(VALU_DEP_1)
	v_cndmask_b32_e64 v60, 0xffff8000, v60, s30
	v_and_b32_e32 v60, 0xffff, v60
	s_delay_alu instid0(VALU_DEP_1) | instskip(NEXT) | instid1(VALU_DEP_1)
	v_lshrrev_b32_e32 v60, s48, v60
	v_and_b32_e32 v135, s52, v60
	s_or_b32 exec_lo, exec_lo, s42
	s_and_saveexec_b32 s42, s18
	s_cbranch_execz .LBB2040_212
.LBB2040_278:                           ;   in Loop: Header=BB2040_96 Depth=2
	ds_load_u16 v60, v93 offset:3072
	s_wait_dscnt 0x0
	v_cmp_ne_u16_e64 s30, 0x7fff, v60
	s_delay_alu instid0(VALU_DEP_1) | instskip(NEXT) | instid1(VALU_DEP_1)
	v_cndmask_b32_e64 v60, 0xffff8000, v60, s30
	v_and_b32_e32 v60, 0xffff, v60
	s_delay_alu instid0(VALU_DEP_1) | instskip(NEXT) | instid1(VALU_DEP_1)
	v_lshrrev_b32_e32 v60, s48, v60
	v_and_b32_e32 v134, s52, v60
	s_or_b32 exec_lo, exec_lo, s42
	s_and_saveexec_b32 s42, s19
	s_cbranch_execz .LBB2040_213
.LBB2040_279:                           ;   in Loop: Header=BB2040_96 Depth=2
	ds_load_u16 v60, v93 offset:3584
	s_wait_dscnt 0x0
	v_cmp_ne_u16_e64 s30, 0x7fff, v60
	s_delay_alu instid0(VALU_DEP_1) | instskip(NEXT) | instid1(VALU_DEP_1)
	v_cndmask_b32_e64 v60, 0xffff8000, v60, s30
	v_and_b32_e32 v60, 0xffff, v60
	s_delay_alu instid0(VALU_DEP_1) | instskip(NEXT) | instid1(VALU_DEP_1)
	v_lshrrev_b32_e32 v60, s48, v60
	v_and_b32_e32 v133, s52, v60
	s_or_b32 exec_lo, exec_lo, s42
	s_and_saveexec_b32 s42, s20
	s_cbranch_execz .LBB2040_214
.LBB2040_280:                           ;   in Loop: Header=BB2040_96 Depth=2
	ds_load_u16 v60, v93 offset:4096
	s_wait_dscnt 0x0
	v_cmp_ne_u16_e64 s30, 0x7fff, v60
	s_delay_alu instid0(VALU_DEP_1) | instskip(NEXT) | instid1(VALU_DEP_1)
	v_cndmask_b32_e64 v60, 0xffff8000, v60, s30
	v_and_b32_e32 v60, 0xffff, v60
	s_delay_alu instid0(VALU_DEP_1) | instskip(NEXT) | instid1(VALU_DEP_1)
	v_lshrrev_b32_e32 v60, s48, v60
	v_and_b32_e32 v132, s52, v60
	s_or_b32 exec_lo, exec_lo, s42
	s_and_saveexec_b32 s42, s21
	s_cbranch_execz .LBB2040_215
.LBB2040_281:                           ;   in Loop: Header=BB2040_96 Depth=2
	ds_load_u16 v60, v93 offset:4608
	s_wait_dscnt 0x0
	v_cmp_ne_u16_e64 s30, 0x7fff, v60
	s_delay_alu instid0(VALU_DEP_1) | instskip(NEXT) | instid1(VALU_DEP_1)
	v_cndmask_b32_e64 v60, 0xffff8000, v60, s30
	v_and_b32_e32 v60, 0xffff, v60
	s_delay_alu instid0(VALU_DEP_1) | instskip(NEXT) | instid1(VALU_DEP_1)
	v_lshrrev_b32_e32 v60, s48, v60
	v_and_b32_e32 v131, s52, v60
	s_or_b32 exec_lo, exec_lo, s42
	s_and_saveexec_b32 s42, s22
	s_cbranch_execz .LBB2040_216
.LBB2040_282:                           ;   in Loop: Header=BB2040_96 Depth=2
	ds_load_u16 v60, v93 offset:5120
	s_wait_dscnt 0x0
	v_cmp_ne_u16_e64 s30, 0x7fff, v60
	s_delay_alu instid0(VALU_DEP_1) | instskip(NEXT) | instid1(VALU_DEP_1)
	v_cndmask_b32_e64 v60, 0xffff8000, v60, s30
	v_and_b32_e32 v60, 0xffff, v60
	s_delay_alu instid0(VALU_DEP_1) | instskip(NEXT) | instid1(VALU_DEP_1)
	v_lshrrev_b32_e32 v60, s48, v60
	v_and_b32_e32 v130, s52, v60
	s_or_b32 exec_lo, exec_lo, s42
	s_and_saveexec_b32 s42, s23
	s_cbranch_execz .LBB2040_217
.LBB2040_283:                           ;   in Loop: Header=BB2040_96 Depth=2
	ds_load_u16 v60, v93 offset:5632
	s_wait_dscnt 0x0
	v_cmp_ne_u16_e64 s30, 0x7fff, v60
	s_delay_alu instid0(VALU_DEP_1) | instskip(NEXT) | instid1(VALU_DEP_1)
	v_cndmask_b32_e64 v60, 0xffff8000, v60, s30
	v_and_b32_e32 v60, 0xffff, v60
	s_delay_alu instid0(VALU_DEP_1) | instskip(NEXT) | instid1(VALU_DEP_1)
	v_lshrrev_b32_e32 v60, s48, v60
	v_and_b32_e32 v129, s52, v60
	s_or_b32 exec_lo, exec_lo, s42
	s_and_saveexec_b32 s42, s24
	s_cbranch_execz .LBB2040_218
.LBB2040_284:                           ;   in Loop: Header=BB2040_96 Depth=2
	ds_load_u16 v60, v93 offset:6144
	s_wait_dscnt 0x0
	v_cmp_ne_u16_e64 s30, 0x7fff, v60
	s_delay_alu instid0(VALU_DEP_1) | instskip(NEXT) | instid1(VALU_DEP_1)
	v_cndmask_b32_e64 v60, 0xffff8000, v60, s30
	v_and_b32_e32 v60, 0xffff, v60
	s_delay_alu instid0(VALU_DEP_1) | instskip(NEXT) | instid1(VALU_DEP_1)
	v_lshrrev_b32_e32 v60, s48, v60
	v_and_b32_e32 v128, s52, v60
	s_or_b32 exec_lo, exec_lo, s42
	s_and_saveexec_b32 s42, s25
	s_cbranch_execz .LBB2040_219
.LBB2040_285:                           ;   in Loop: Header=BB2040_96 Depth=2
	ds_load_u16 v60, v93 offset:6656
	s_wait_dscnt 0x0
	v_cmp_ne_u16_e64 s30, 0x7fff, v60
	s_delay_alu instid0(VALU_DEP_1) | instskip(NEXT) | instid1(VALU_DEP_1)
	v_cndmask_b32_e64 v60, 0xffff8000, v60, s30
	v_and_b32_e32 v60, 0xffff, v60
	s_delay_alu instid0(VALU_DEP_1) | instskip(NEXT) | instid1(VALU_DEP_1)
	v_lshrrev_b32_e32 v60, s48, v60
	v_and_b32_e32 v127, s52, v60
	s_or_b32 exec_lo, exec_lo, s42
	s_and_saveexec_b32 s42, s26
	s_cbranch_execz .LBB2040_220
.LBB2040_286:                           ;   in Loop: Header=BB2040_96 Depth=2
	ds_load_u16 v60, v93 offset:7168
	s_wait_dscnt 0x0
	v_cmp_ne_u16_e64 s30, 0x7fff, v60
	s_delay_alu instid0(VALU_DEP_1) | instskip(NEXT) | instid1(VALU_DEP_1)
	v_cndmask_b32_e64 v60, 0xffff8000, v60, s30
	v_and_b32_e32 v60, 0xffff, v60
	s_delay_alu instid0(VALU_DEP_1) | instskip(NEXT) | instid1(VALU_DEP_1)
	v_lshrrev_b32_e32 v60, s48, v60
	v_and_b32_e32 v126, s52, v60
	s_or_b32 exec_lo, exec_lo, s42
	s_and_saveexec_b32 s42, s27
	s_cbranch_execz .LBB2040_221
.LBB2040_287:                           ;   in Loop: Header=BB2040_96 Depth=2
	ds_load_u16 v60, v93 offset:7680
	s_wait_dscnt 0x0
	v_cmp_ne_u16_e64 s30, 0x7fff, v60
	s_delay_alu instid0(VALU_DEP_1) | instskip(NEXT) | instid1(VALU_DEP_1)
	v_cndmask_b32_e64 v60, 0xffff8000, v60, s30
	v_and_b32_e32 v60, 0xffff, v60
	s_delay_alu instid0(VALU_DEP_1) | instskip(NEXT) | instid1(VALU_DEP_1)
	v_lshrrev_b32_e32 v60, s48, v60
	v_and_b32_e32 v125, s52, v60
	s_or_b32 exec_lo, exec_lo, s42
	s_and_saveexec_b32 s42, s28
	s_cbranch_execz .LBB2040_222
.LBB2040_288:                           ;   in Loop: Header=BB2040_96 Depth=2
	ds_load_u16 v60, v93 offset:8192
	s_wait_dscnt 0x0
	v_cmp_ne_u16_e64 s30, 0x7fff, v60
	s_delay_alu instid0(VALU_DEP_1) | instskip(NEXT) | instid1(VALU_DEP_1)
	v_cndmask_b32_e64 v60, 0xffff8000, v60, s30
	v_and_b32_e32 v60, 0xffff, v60
	s_delay_alu instid0(VALU_DEP_1) | instskip(NEXT) | instid1(VALU_DEP_1)
	v_lshrrev_b32_e32 v60, s48, v60
	v_and_b32_e32 v124, s52, v60
	s_or_b32 exec_lo, exec_lo, s42
	s_and_saveexec_b32 s42, s29
	s_cbranch_execnz .LBB2040_223
	s_branch .LBB2040_224
.LBB2040_289:                           ;   in Loop: Header=BB2040_96 Depth=2
	v_lshlrev_b32_e32 v60, 2, v138
	v_add_nc_u32_e32 v61, v93, v94
	ds_load_b32 v63, v60
	ds_load_b64 v[60:61], v61 offset:1024
	s_wait_dscnt 0x1
	v_add_nc_u32_e32 v63, v63, v2
	s_wait_dscnt 0x0
	global_store_b64 v63, v[60:61], s[44:45] scale_offset
	s_wait_xcnt 0x0
	s_or_b32 exec_lo, exec_lo, s30
	s_and_saveexec_b32 s30, s15
	s_cbranch_execz .LBB2040_226
.LBB2040_290:                           ;   in Loop: Header=BB2040_96 Depth=2
	v_dual_lshlrev_b32 v60, 2, v137 :: v_dual_add_nc_u32 v61, v93, v94
	ds_load_b32 v63, v60
	ds_load_b64 v[60:61], v61 offset:3072
	s_wait_dscnt 0x1
	v_add_nc_u32_e32 v63, v63, v68
	s_wait_dscnt 0x0
	global_store_b64 v63, v[60:61], s[44:45] scale_offset
	s_wait_xcnt 0x0
	s_or_b32 exec_lo, exec_lo, s30
	s_and_saveexec_b32 s15, s16
	s_cbranch_execz .LBB2040_227
.LBB2040_291:                           ;   in Loop: Header=BB2040_96 Depth=2
	v_dual_lshlrev_b32 v60, 2, v136 :: v_dual_add_nc_u32 v61, v93, v94
	ds_load_b32 v63, v60
	ds_load_b64 v[60:61], v61 offset:5120
	s_wait_dscnt 0x1
	v_add_nc_u32_e32 v63, v63, v69
	s_wait_dscnt 0x0
	global_store_b64 v63, v[60:61], s[44:45] scale_offset
	s_wait_xcnt 0x0
	s_or_b32 exec_lo, exec_lo, s15
	s_and_saveexec_b32 s15, s17
	s_cbranch_execz .LBB2040_228
.LBB2040_292:                           ;   in Loop: Header=BB2040_96 Depth=2
	v_dual_lshlrev_b32 v60, 2, v135 :: v_dual_add_nc_u32 v61, v93, v94
	ds_load_b32 v63, v60
	ds_load_b64 v[60:61], v61 offset:7168
	s_wait_dscnt 0x1
	v_add_nc_u32_e32 v63, v63, v70
	s_wait_dscnt 0x0
	global_store_b64 v63, v[60:61], s[44:45] scale_offset
	s_wait_xcnt 0x0
	s_or_b32 exec_lo, exec_lo, s15
	s_and_saveexec_b32 s15, s18
	s_cbranch_execz .LBB2040_229
.LBB2040_293:                           ;   in Loop: Header=BB2040_96 Depth=2
	v_lshlrev_b32_e32 v60, 2, v134
	v_add_nc_u32_e32 v61, v93, v94
	ds_load_b32 v63, v60
	ds_load_b64 v[60:61], v61 offset:9216
	s_wait_dscnt 0x1
	v_add_nc_u32_e32 v63, v63, v71
	s_wait_dscnt 0x0
	global_store_b64 v63, v[60:61], s[44:45] scale_offset
	s_wait_xcnt 0x0
	s_or_b32 exec_lo, exec_lo, s15
	s_and_saveexec_b32 s15, s19
	s_cbranch_execz .LBB2040_230
.LBB2040_294:                           ;   in Loop: Header=BB2040_96 Depth=2
	v_dual_lshlrev_b32 v60, 2, v133 :: v_dual_add_nc_u32 v61, v93, v94
	ds_load_b32 v63, v60
	ds_load_b64 v[60:61], v61 offset:11264
	s_wait_dscnt 0x1
	v_add_nc_u32_e32 v63, v63, v72
	s_wait_dscnt 0x0
	global_store_b64 v63, v[60:61], s[44:45] scale_offset
	s_wait_xcnt 0x0
	s_or_b32 exec_lo, exec_lo, s15
	s_and_saveexec_b32 s15, s20
	s_cbranch_execz .LBB2040_231
.LBB2040_295:                           ;   in Loop: Header=BB2040_96 Depth=2
	v_dual_lshlrev_b32 v60, 2, v132 :: v_dual_add_nc_u32 v61, v93, v94
	ds_load_b32 v63, v60
	ds_load_b64 v[60:61], v61 offset:13312
	s_wait_dscnt 0x1
	v_add_nc_u32_e32 v63, v63, v73
	s_wait_dscnt 0x0
	global_store_b64 v63, v[60:61], s[44:45] scale_offset
	s_wait_xcnt 0x0
	s_or_b32 exec_lo, exec_lo, s15
	s_and_saveexec_b32 s15, s21
	s_cbranch_execz .LBB2040_232
.LBB2040_296:                           ;   in Loop: Header=BB2040_96 Depth=2
	v_dual_lshlrev_b32 v60, 2, v131 :: v_dual_add_nc_u32 v61, v93, v94
	ds_load_b32 v63, v60
	ds_load_b64 v[60:61], v61 offset:15360
	s_wait_dscnt 0x1
	v_add_nc_u32_e32 v63, v63, v74
	s_wait_dscnt 0x0
	global_store_b64 v63, v[60:61], s[44:45] scale_offset
	s_wait_xcnt 0x0
	s_or_b32 exec_lo, exec_lo, s15
	s_and_saveexec_b32 s15, s22
	s_cbranch_execz .LBB2040_233
.LBB2040_297:                           ;   in Loop: Header=BB2040_96 Depth=2
	v_lshlrev_b32_e32 v60, 2, v130
	v_add_nc_u32_e32 v61, v93, v94
	ds_load_b32 v63, v60
	ds_load_b64 v[60:61], v61 offset:17408
	s_wait_dscnt 0x1
	v_add_nc_u32_e32 v63, v63, v75
	s_wait_dscnt 0x0
	global_store_b64 v63, v[60:61], s[44:45] scale_offset
	s_wait_xcnt 0x0
	s_or_b32 exec_lo, exec_lo, s15
	s_and_saveexec_b32 s15, s23
	s_cbranch_execz .LBB2040_234
.LBB2040_298:                           ;   in Loop: Header=BB2040_96 Depth=2
	v_dual_lshlrev_b32 v60, 2, v129 :: v_dual_add_nc_u32 v61, v93, v94
	ds_load_b32 v63, v60
	ds_load_b64 v[60:61], v61 offset:19456
	s_wait_dscnt 0x1
	v_add_nc_u32_e32 v63, v63, v76
	s_wait_dscnt 0x0
	global_store_b64 v63, v[60:61], s[44:45] scale_offset
	s_wait_xcnt 0x0
	s_or_b32 exec_lo, exec_lo, s15
	s_and_saveexec_b32 s15, s24
	s_cbranch_execz .LBB2040_235
.LBB2040_299:                           ;   in Loop: Header=BB2040_96 Depth=2
	v_dual_lshlrev_b32 v60, 2, v128 :: v_dual_add_nc_u32 v61, v93, v94
	ds_load_b32 v63, v60
	ds_load_b64 v[60:61], v61 offset:21504
	s_wait_dscnt 0x1
	v_add_nc_u32_e32 v63, v63, v77
	s_wait_dscnt 0x0
	global_store_b64 v63, v[60:61], s[44:45] scale_offset
	s_wait_xcnt 0x0
	s_or_b32 exec_lo, exec_lo, s15
	s_and_saveexec_b32 s15, s25
	s_cbranch_execz .LBB2040_236
.LBB2040_300:                           ;   in Loop: Header=BB2040_96 Depth=2
	v_dual_lshlrev_b32 v60, 2, v127 :: v_dual_add_nc_u32 v61, v93, v94
	ds_load_b32 v63, v60
	ds_load_b64 v[60:61], v61 offset:23552
	s_wait_dscnt 0x1
	v_add_nc_u32_e32 v63, v63, v78
	s_wait_dscnt 0x0
	global_store_b64 v63, v[60:61], s[44:45] scale_offset
	s_wait_xcnt 0x0
	s_or_b32 exec_lo, exec_lo, s15
	s_and_saveexec_b32 s15, s26
	s_cbranch_execz .LBB2040_237
.LBB2040_301:                           ;   in Loop: Header=BB2040_96 Depth=2
	v_lshlrev_b32_e32 v60, 2, v126
	v_add_nc_u32_e32 v61, v93, v94
	ds_load_b32 v63, v60
	ds_load_b64 v[60:61], v61 offset:25600
	s_wait_dscnt 0x1
	v_add_nc_u32_e32 v63, v63, v79
	s_wait_dscnt 0x0
	global_store_b64 v63, v[60:61], s[44:45] scale_offset
	s_wait_xcnt 0x0
	s_or_b32 exec_lo, exec_lo, s15
	s_and_saveexec_b32 s15, s27
	s_cbranch_execz .LBB2040_238
.LBB2040_302:                           ;   in Loop: Header=BB2040_96 Depth=2
	v_dual_lshlrev_b32 v60, 2, v125 :: v_dual_add_nc_u32 v61, v93, v94
	ds_load_b32 v63, v60
	ds_load_b64 v[60:61], v61 offset:27648
	s_wait_dscnt 0x1
	v_add_nc_u32_e32 v63, v63, v80
	s_wait_dscnt 0x0
	global_store_b64 v63, v[60:61], s[44:45] scale_offset
	s_wait_xcnt 0x0
	s_or_b32 exec_lo, exec_lo, s15
	s_and_saveexec_b32 s15, s28
	s_cbranch_execz .LBB2040_239
.LBB2040_303:                           ;   in Loop: Header=BB2040_96 Depth=2
	v_dual_lshlrev_b32 v60, 2, v124 :: v_dual_add_nc_u32 v61, v93, v94
	ds_load_b32 v63, v60
	ds_load_b64 v[60:61], v61 offset:29696
	s_wait_dscnt 0x1
	v_add_nc_u32_e32 v63, v63, v81
	s_wait_dscnt 0x0
	global_store_b64 v63, v[60:61], s[44:45] scale_offset
	s_wait_xcnt 0x0
	s_or_b32 exec_lo, exec_lo, s15
	s_and_saveexec_b32 s15, s29
	s_cbranch_execnz .LBB2040_240
	s_branch .LBB2040_241
.LBB2040_304:                           ;   in Loop: Header=BB2040_12 Depth=1
	s_wait_dscnt 0x0
	s_barrier_signal -1
	s_mov_b32 s7, 0
	s_barrier_wait -1
.LBB2040_305:                           ;   in Loop: Header=BB2040_12 Depth=1
	s_and_b32 vcc_lo, exec_lo, s7
	s_cbranch_vccz .LBB2040_597
; %bb.306:                              ;   in Loop: Header=BB2040_12 Depth=1
	s_mov_b32 s7, s56
	s_mov_b32 s42, s54
	s_barrier_signal -1
	s_barrier_wait -1
                                        ; implicit-def: $vgpr23
                                        ; implicit-def: $vgpr24
                                        ; implicit-def: $vgpr25
                                        ; implicit-def: $vgpr26
                                        ; implicit-def: $vgpr27
                                        ; implicit-def: $vgpr28
                                        ; implicit-def: $vgpr29
                                        ; implicit-def: $vgpr30
                                        ; implicit-def: $vgpr31
                                        ; implicit-def: $vgpr32
                                        ; implicit-def: $vgpr33
                                        ; implicit-def: $vgpr34
                                        ; implicit-def: $vgpr35
                                        ; implicit-def: $vgpr36
                                        ; implicit-def: $vgpr37
                                        ; implicit-def: $vgpr38
	s_branch .LBB2040_308
.LBB2040_307:                           ;   in Loop: Header=BB2040_308 Depth=2
	s_or_b32 exec_lo, exec_lo, s8
	s_addk_co_i32 s7, 0xf000
	s_cmp_ge_u32 s10, s51
	s_mov_b32 s42, s10
	s_cbranch_scc1 .LBB2040_376
.LBB2040_308:                           ;   Parent Loop BB2040_12 Depth=1
                                        ; =>  This Inner Loop Header: Depth=2
	s_add_co_i32 s10, s42, 0x1000
	s_mov_b32 s8, -1
	s_cmp_gt_u32 s10, s51
                                        ; implicit-def: $vgpr39
                                        ; implicit-def: $vgpr40
                                        ; implicit-def: $vgpr41
                                        ; implicit-def: $vgpr42
                                        ; implicit-def: $vgpr43
                                        ; implicit-def: $vgpr44
                                        ; implicit-def: $vgpr45
                                        ; implicit-def: $vgpr46
                                        ; implicit-def: $vgpr47
                                        ; implicit-def: $vgpr48
                                        ; implicit-def: $vgpr49
                                        ; implicit-def: $vgpr50
                                        ; implicit-def: $vgpr51
                                        ; implicit-def: $vgpr52
                                        ; implicit-def: $vgpr53
                                        ; implicit-def: $vgpr54
	s_cbranch_scc1 .LBB2040_310
; %bb.309:                              ;   in Loop: Header=BB2040_308 Depth=2
	v_lshl_add_u64 v[54:55], s[42:43], 1, v[10:11]
	s_mov_b32 s8, 0
	s_clause 0xf
	global_load_u16 v39, v[54:55], off
	global_load_u16 v40, v[54:55], off offset:512
	global_load_u16 v41, v[54:55], off offset:1024
	;; [unrolled: 1-line block ×15, first 2 shown]
.LBB2040_310:                           ;   in Loop: Header=BB2040_308 Depth=2
	s_and_not1_b32 vcc_lo, exec_lo, s8
	s_movk_i32 s8, 0x1000
	s_cbranch_vccnz .LBB2040_329
; %bb.311:                              ;   in Loop: Header=BB2040_308 Depth=2
	s_lshl_b64 s[8:9], s[42:43], 1
	s_mov_b32 s11, exec_lo
	s_add_nc_u64 s[8:9], s[38:39], s[8:9]
	s_wait_xcnt 0x0
	v_cmpx_gt_u32_e64 s7, v2
	s_cbranch_execnz .LBB2040_361
; %bb.312:                              ;   in Loop: Header=BB2040_308 Depth=2
	s_or_b32 exec_lo, exec_lo, s11
	s_delay_alu instid0(SALU_CYCLE_1)
	s_mov_b32 s11, exec_lo
	v_cmpx_gt_u32_e64 s7, v68
	s_cbranch_execnz .LBB2040_362
.LBB2040_313:                           ;   in Loop: Header=BB2040_308 Depth=2
	s_or_b32 exec_lo, exec_lo, s11
	s_delay_alu instid0(SALU_CYCLE_1)
	s_mov_b32 s11, exec_lo
	v_cmpx_gt_u32_e64 s7, v69
	s_cbranch_execnz .LBB2040_363
.LBB2040_314:                           ;   in Loop: Header=BB2040_308 Depth=2
	s_or_b32 exec_lo, exec_lo, s11
	s_delay_alu instid0(SALU_CYCLE_1)
	s_mov_b32 s11, exec_lo
	v_cmpx_gt_u32_e64 s7, v70
	s_cbranch_execnz .LBB2040_364
.LBB2040_315:                           ;   in Loop: Header=BB2040_308 Depth=2
	s_or_b32 exec_lo, exec_lo, s11
	s_delay_alu instid0(SALU_CYCLE_1)
	s_mov_b32 s11, exec_lo
	v_cmpx_gt_u32_e64 s7, v71
	s_cbranch_execnz .LBB2040_365
.LBB2040_316:                           ;   in Loop: Header=BB2040_308 Depth=2
	s_or_b32 exec_lo, exec_lo, s11
	s_delay_alu instid0(SALU_CYCLE_1)
	s_mov_b32 s11, exec_lo
	v_cmpx_gt_u32_e64 s7, v72
	s_cbranch_execnz .LBB2040_366
.LBB2040_317:                           ;   in Loop: Header=BB2040_308 Depth=2
	s_or_b32 exec_lo, exec_lo, s11
	s_delay_alu instid0(SALU_CYCLE_1)
	s_mov_b32 s11, exec_lo
	v_cmpx_gt_u32_e64 s7, v73
	s_cbranch_execnz .LBB2040_367
.LBB2040_318:                           ;   in Loop: Header=BB2040_308 Depth=2
	s_or_b32 exec_lo, exec_lo, s11
	s_delay_alu instid0(SALU_CYCLE_1)
	s_mov_b32 s11, exec_lo
	v_cmpx_gt_u32_e64 s7, v74
	s_cbranch_execnz .LBB2040_368
.LBB2040_319:                           ;   in Loop: Header=BB2040_308 Depth=2
	s_or_b32 exec_lo, exec_lo, s11
	s_delay_alu instid0(SALU_CYCLE_1)
	s_mov_b32 s11, exec_lo
	v_cmpx_gt_u32_e64 s7, v75
	s_cbranch_execnz .LBB2040_369
.LBB2040_320:                           ;   in Loop: Header=BB2040_308 Depth=2
	s_or_b32 exec_lo, exec_lo, s11
	s_delay_alu instid0(SALU_CYCLE_1)
	s_mov_b32 s11, exec_lo
	v_cmpx_gt_u32_e64 s7, v76
	s_cbranch_execnz .LBB2040_370
.LBB2040_321:                           ;   in Loop: Header=BB2040_308 Depth=2
	s_or_b32 exec_lo, exec_lo, s11
	s_delay_alu instid0(SALU_CYCLE_1)
	s_mov_b32 s11, exec_lo
	v_cmpx_gt_u32_e64 s7, v77
	s_cbranch_execnz .LBB2040_371
.LBB2040_322:                           ;   in Loop: Header=BB2040_308 Depth=2
	s_or_b32 exec_lo, exec_lo, s11
	s_delay_alu instid0(SALU_CYCLE_1)
	s_mov_b32 s11, exec_lo
	v_cmpx_gt_u32_e64 s7, v78
	s_cbranch_execnz .LBB2040_372
.LBB2040_323:                           ;   in Loop: Header=BB2040_308 Depth=2
	s_or_b32 exec_lo, exec_lo, s11
	s_delay_alu instid0(SALU_CYCLE_1)
	s_mov_b32 s11, exec_lo
	v_cmpx_gt_u32_e64 s7, v79
	s_cbranch_execnz .LBB2040_373
.LBB2040_324:                           ;   in Loop: Header=BB2040_308 Depth=2
	s_or_b32 exec_lo, exec_lo, s11
	s_delay_alu instid0(SALU_CYCLE_1)
	s_mov_b32 s11, exec_lo
	v_cmpx_gt_u32_e64 s7, v80
	s_cbranch_execnz .LBB2040_374
.LBB2040_325:                           ;   in Loop: Header=BB2040_308 Depth=2
	s_or_b32 exec_lo, exec_lo, s11
	s_delay_alu instid0(SALU_CYCLE_1)
	s_mov_b32 s11, exec_lo
	v_cmpx_gt_u32_e64 s7, v81
	s_cbranch_execnz .LBB2040_375
.LBB2040_326:                           ;   in Loop: Header=BB2040_308 Depth=2
	s_or_b32 exec_lo, exec_lo, s11
	s_delay_alu instid0(SALU_CYCLE_1)
	s_mov_b32 s11, exec_lo
	v_cmpx_gt_u32_e64 s7, v82
	s_cbranch_execz .LBB2040_328
.LBB2040_327:                           ;   in Loop: Header=BB2040_308 Depth=2
	global_load_u16 v23, v2, s[8:9] offset:7680 scale_offset
.LBB2040_328:                           ;   in Loop: Header=BB2040_308 Depth=2
	s_wait_xcnt 0x0
	s_or_b32 exec_lo, exec_lo, s11
	s_wait_loadcnt 0x0
	v_dual_mov_b32 v39, v38 :: v_dual_mov_b32 v40, v37
	v_dual_mov_b32 v41, v36 :: v_dual_mov_b32 v42, v35
	;; [unrolled: 1-line block ×8, first 2 shown]
	s_mov_b32 s8, s7
.LBB2040_329:                           ;   in Loop: Header=BB2040_308 Depth=2
	s_wait_loadcnt 0x0
	s_delay_alu instid0(VALU_DEP_1)
	v_dual_mov_b32 v23, v54 :: v_dual_mov_b32 v24, v53
	v_dual_mov_b32 v25, v52 :: v_dual_mov_b32 v26, v51
	;; [unrolled: 1-line block ×8, first 2 shown]
	s_mov_b32 s9, exec_lo
	s_wait_xcnt 0x0
	v_cmpx_gt_u32_e64 s8, v2
	s_cbranch_execnz .LBB2040_345
; %bb.330:                              ;   in Loop: Header=BB2040_308 Depth=2
	s_or_b32 exec_lo, exec_lo, s9
	s_delay_alu instid0(SALU_CYCLE_1)
	s_mov_b32 s9, exec_lo
	v_cmpx_gt_u32_e64 s8, v68
	s_cbranch_execnz .LBB2040_346
.LBB2040_331:                           ;   in Loop: Header=BB2040_308 Depth=2
	s_or_b32 exec_lo, exec_lo, s9
	s_delay_alu instid0(SALU_CYCLE_1)
	s_mov_b32 s9, exec_lo
	v_cmpx_gt_u32_e64 s8, v69
	s_cbranch_execnz .LBB2040_347
.LBB2040_332:                           ;   in Loop: Header=BB2040_308 Depth=2
	s_or_b32 exec_lo, exec_lo, s9
	s_delay_alu instid0(SALU_CYCLE_1)
	s_mov_b32 s9, exec_lo
	v_cmpx_gt_u32_e64 s8, v70
	s_cbranch_execnz .LBB2040_348
.LBB2040_333:                           ;   in Loop: Header=BB2040_308 Depth=2
	s_or_b32 exec_lo, exec_lo, s9
	s_delay_alu instid0(SALU_CYCLE_1)
	s_mov_b32 s9, exec_lo
	v_cmpx_gt_u32_e64 s8, v71
	s_cbranch_execnz .LBB2040_349
.LBB2040_334:                           ;   in Loop: Header=BB2040_308 Depth=2
	s_or_b32 exec_lo, exec_lo, s9
	s_delay_alu instid0(SALU_CYCLE_1)
	s_mov_b32 s9, exec_lo
	v_cmpx_gt_u32_e64 s8, v72
	s_cbranch_execnz .LBB2040_350
.LBB2040_335:                           ;   in Loop: Header=BB2040_308 Depth=2
	s_or_b32 exec_lo, exec_lo, s9
	s_delay_alu instid0(SALU_CYCLE_1)
	s_mov_b32 s9, exec_lo
	v_cmpx_gt_u32_e64 s8, v73
	s_cbranch_execnz .LBB2040_351
.LBB2040_336:                           ;   in Loop: Header=BB2040_308 Depth=2
	s_or_b32 exec_lo, exec_lo, s9
	s_delay_alu instid0(SALU_CYCLE_1)
	s_mov_b32 s9, exec_lo
	v_cmpx_gt_u32_e64 s8, v74
	s_cbranch_execnz .LBB2040_352
.LBB2040_337:                           ;   in Loop: Header=BB2040_308 Depth=2
	s_or_b32 exec_lo, exec_lo, s9
	s_delay_alu instid0(SALU_CYCLE_1)
	s_mov_b32 s9, exec_lo
	v_cmpx_gt_u32_e64 s8, v75
	s_cbranch_execnz .LBB2040_353
.LBB2040_338:                           ;   in Loop: Header=BB2040_308 Depth=2
	s_or_b32 exec_lo, exec_lo, s9
	s_delay_alu instid0(SALU_CYCLE_1)
	s_mov_b32 s9, exec_lo
	v_cmpx_gt_u32_e64 s8, v76
	s_cbranch_execnz .LBB2040_354
.LBB2040_339:                           ;   in Loop: Header=BB2040_308 Depth=2
	s_or_b32 exec_lo, exec_lo, s9
	s_delay_alu instid0(SALU_CYCLE_1)
	s_mov_b32 s9, exec_lo
	v_cmpx_gt_u32_e64 s8, v77
	s_cbranch_execnz .LBB2040_355
.LBB2040_340:                           ;   in Loop: Header=BB2040_308 Depth=2
	s_or_b32 exec_lo, exec_lo, s9
	s_delay_alu instid0(SALU_CYCLE_1)
	s_mov_b32 s9, exec_lo
	v_cmpx_gt_u32_e64 s8, v78
	s_cbranch_execnz .LBB2040_356
.LBB2040_341:                           ;   in Loop: Header=BB2040_308 Depth=2
	s_or_b32 exec_lo, exec_lo, s9
	s_delay_alu instid0(SALU_CYCLE_1)
	s_mov_b32 s9, exec_lo
	v_cmpx_gt_u32_e64 s8, v79
	s_cbranch_execnz .LBB2040_357
.LBB2040_342:                           ;   in Loop: Header=BB2040_308 Depth=2
	s_or_b32 exec_lo, exec_lo, s9
	s_delay_alu instid0(SALU_CYCLE_1)
	s_mov_b32 s9, exec_lo
	v_cmpx_gt_u32_e64 s8, v80
	s_cbranch_execnz .LBB2040_358
.LBB2040_343:                           ;   in Loop: Header=BB2040_308 Depth=2
	s_or_b32 exec_lo, exec_lo, s9
	s_delay_alu instid0(SALU_CYCLE_1)
	s_mov_b32 s9, exec_lo
	v_cmpx_gt_u32_e64 s8, v81
	s_cbranch_execnz .LBB2040_359
.LBB2040_344:                           ;   in Loop: Header=BB2040_308 Depth=2
	s_or_b32 exec_lo, exec_lo, s9
	v_cmp_gt_u32_e32 vcc_lo, s8, v82
	s_and_saveexec_b32 s8, vcc_lo
	s_cbranch_execz .LBB2040_307
	s_branch .LBB2040_360
.LBB2040_345:                           ;   in Loop: Header=BB2040_308 Depth=2
	v_cmp_lt_i16_e32 vcc_lo, -1, v38
	v_cndmask_b32_e64 v39, -1, 0xffff8000, vcc_lo
	s_delay_alu instid0(VALU_DEP_1) | instskip(NEXT) | instid1(VALU_DEP_1)
	v_xor_b32_e32 v39, v39, v38
	v_cmp_ne_u16_e32 vcc_lo, 0x7fff, v39
	v_cndmask_b32_e32 v39, 0xffff8000, v39, vcc_lo
	s_delay_alu instid0(VALU_DEP_1) | instskip(NEXT) | instid1(VALU_DEP_1)
	v_and_b32_e32 v39, 0xffff, v39
	v_lshrrev_b32_e32 v39, s48, v39
	s_delay_alu instid0(VALU_DEP_1) | instskip(NEXT) | instid1(VALU_DEP_1)
	v_and_b32_e32 v39, s52, v39
	v_lshl_or_b32 v39, v39, 4, v83
	ds_add_u32 v39, v96
	s_or_b32 exec_lo, exec_lo, s9
	s_delay_alu instid0(SALU_CYCLE_1)
	s_mov_b32 s9, exec_lo
	v_cmpx_gt_u32_e64 s8, v68
	s_cbranch_execz .LBB2040_331
.LBB2040_346:                           ;   in Loop: Header=BB2040_308 Depth=2
	v_cmp_lt_i16_e32 vcc_lo, -1, v37
	v_cndmask_b32_e64 v39, -1, 0xffff8000, vcc_lo
	s_delay_alu instid0(VALU_DEP_1) | instskip(NEXT) | instid1(VALU_DEP_1)
	v_xor_b32_e32 v39, v39, v37
	v_cmp_ne_u16_e32 vcc_lo, 0x7fff, v39
	v_cndmask_b32_e32 v39, 0xffff8000, v39, vcc_lo
	s_delay_alu instid0(VALU_DEP_1) | instskip(NEXT) | instid1(VALU_DEP_1)
	v_and_b32_e32 v39, 0xffff, v39
	v_lshrrev_b32_e32 v39, s48, v39
	s_delay_alu instid0(VALU_DEP_1) | instskip(NEXT) | instid1(VALU_DEP_1)
	v_and_b32_e32 v39, s52, v39
	v_lshl_or_b32 v39, v39, 4, v83
	ds_add_u32 v39, v96
	s_or_b32 exec_lo, exec_lo, s9
	s_delay_alu instid0(SALU_CYCLE_1)
	s_mov_b32 s9, exec_lo
	v_cmpx_gt_u32_e64 s8, v69
	s_cbranch_execz .LBB2040_332
.LBB2040_347:                           ;   in Loop: Header=BB2040_308 Depth=2
	v_cmp_lt_i16_e32 vcc_lo, -1, v36
	v_cndmask_b32_e64 v39, -1, 0xffff8000, vcc_lo
	s_delay_alu instid0(VALU_DEP_1) | instskip(NEXT) | instid1(VALU_DEP_1)
	v_xor_b32_e32 v39, v39, v36
	v_cmp_ne_u16_e32 vcc_lo, 0x7fff, v39
	v_cndmask_b32_e32 v39, 0xffff8000, v39, vcc_lo
	s_delay_alu instid0(VALU_DEP_1) | instskip(NEXT) | instid1(VALU_DEP_1)
	v_and_b32_e32 v39, 0xffff, v39
	v_lshrrev_b32_e32 v39, s48, v39
	s_delay_alu instid0(VALU_DEP_1) | instskip(NEXT) | instid1(VALU_DEP_1)
	v_and_b32_e32 v39, s52, v39
	v_lshl_or_b32 v39, v39, 4, v83
	ds_add_u32 v39, v96
	s_or_b32 exec_lo, exec_lo, s9
	s_delay_alu instid0(SALU_CYCLE_1)
	s_mov_b32 s9, exec_lo
	v_cmpx_gt_u32_e64 s8, v70
	s_cbranch_execz .LBB2040_333
.LBB2040_348:                           ;   in Loop: Header=BB2040_308 Depth=2
	v_cmp_lt_i16_e32 vcc_lo, -1, v35
	v_cndmask_b32_e64 v39, -1, 0xffff8000, vcc_lo
	s_delay_alu instid0(VALU_DEP_1) | instskip(NEXT) | instid1(VALU_DEP_1)
	v_xor_b32_e32 v39, v39, v35
	v_cmp_ne_u16_e32 vcc_lo, 0x7fff, v39
	v_cndmask_b32_e32 v39, 0xffff8000, v39, vcc_lo
	s_delay_alu instid0(VALU_DEP_1) | instskip(NEXT) | instid1(VALU_DEP_1)
	v_and_b32_e32 v39, 0xffff, v39
	v_lshrrev_b32_e32 v39, s48, v39
	s_delay_alu instid0(VALU_DEP_1) | instskip(NEXT) | instid1(VALU_DEP_1)
	v_and_b32_e32 v39, s52, v39
	v_lshl_or_b32 v39, v39, 4, v83
	ds_add_u32 v39, v96
	s_or_b32 exec_lo, exec_lo, s9
	s_delay_alu instid0(SALU_CYCLE_1)
	s_mov_b32 s9, exec_lo
	v_cmpx_gt_u32_e64 s8, v71
	s_cbranch_execz .LBB2040_334
.LBB2040_349:                           ;   in Loop: Header=BB2040_308 Depth=2
	v_cmp_lt_i16_e32 vcc_lo, -1, v34
	v_cndmask_b32_e64 v39, -1, 0xffff8000, vcc_lo
	s_delay_alu instid0(VALU_DEP_1) | instskip(NEXT) | instid1(VALU_DEP_1)
	v_xor_b32_e32 v39, v39, v34
	v_cmp_ne_u16_e32 vcc_lo, 0x7fff, v39
	v_cndmask_b32_e32 v39, 0xffff8000, v39, vcc_lo
	s_delay_alu instid0(VALU_DEP_1) | instskip(NEXT) | instid1(VALU_DEP_1)
	v_and_b32_e32 v39, 0xffff, v39
	v_lshrrev_b32_e32 v39, s48, v39
	s_delay_alu instid0(VALU_DEP_1) | instskip(NEXT) | instid1(VALU_DEP_1)
	v_and_b32_e32 v39, s52, v39
	v_lshl_or_b32 v39, v39, 4, v83
	ds_add_u32 v39, v96
	s_or_b32 exec_lo, exec_lo, s9
	s_delay_alu instid0(SALU_CYCLE_1)
	s_mov_b32 s9, exec_lo
	v_cmpx_gt_u32_e64 s8, v72
	s_cbranch_execz .LBB2040_335
.LBB2040_350:                           ;   in Loop: Header=BB2040_308 Depth=2
	v_cmp_lt_i16_e32 vcc_lo, -1, v33
	v_cndmask_b32_e64 v39, -1, 0xffff8000, vcc_lo
	s_delay_alu instid0(VALU_DEP_1) | instskip(NEXT) | instid1(VALU_DEP_1)
	v_xor_b32_e32 v39, v39, v33
	v_cmp_ne_u16_e32 vcc_lo, 0x7fff, v39
	v_cndmask_b32_e32 v39, 0xffff8000, v39, vcc_lo
	s_delay_alu instid0(VALU_DEP_1) | instskip(NEXT) | instid1(VALU_DEP_1)
	v_and_b32_e32 v39, 0xffff, v39
	v_lshrrev_b32_e32 v39, s48, v39
	s_delay_alu instid0(VALU_DEP_1) | instskip(NEXT) | instid1(VALU_DEP_1)
	v_and_b32_e32 v39, s52, v39
	v_lshl_or_b32 v39, v39, 4, v83
	ds_add_u32 v39, v96
	s_or_b32 exec_lo, exec_lo, s9
	s_delay_alu instid0(SALU_CYCLE_1)
	s_mov_b32 s9, exec_lo
	v_cmpx_gt_u32_e64 s8, v73
	s_cbranch_execz .LBB2040_336
.LBB2040_351:                           ;   in Loop: Header=BB2040_308 Depth=2
	v_cmp_lt_i16_e32 vcc_lo, -1, v32
	v_cndmask_b32_e64 v39, -1, 0xffff8000, vcc_lo
	s_delay_alu instid0(VALU_DEP_1) | instskip(NEXT) | instid1(VALU_DEP_1)
	v_xor_b32_e32 v39, v39, v32
	v_cmp_ne_u16_e32 vcc_lo, 0x7fff, v39
	v_cndmask_b32_e32 v39, 0xffff8000, v39, vcc_lo
	s_delay_alu instid0(VALU_DEP_1) | instskip(NEXT) | instid1(VALU_DEP_1)
	v_and_b32_e32 v39, 0xffff, v39
	v_lshrrev_b32_e32 v39, s48, v39
	s_delay_alu instid0(VALU_DEP_1) | instskip(NEXT) | instid1(VALU_DEP_1)
	v_and_b32_e32 v39, s52, v39
	v_lshl_or_b32 v39, v39, 4, v83
	ds_add_u32 v39, v96
	s_or_b32 exec_lo, exec_lo, s9
	s_delay_alu instid0(SALU_CYCLE_1)
	s_mov_b32 s9, exec_lo
	v_cmpx_gt_u32_e64 s8, v74
	s_cbranch_execz .LBB2040_337
.LBB2040_352:                           ;   in Loop: Header=BB2040_308 Depth=2
	v_cmp_lt_i16_e32 vcc_lo, -1, v31
	v_cndmask_b32_e64 v39, -1, 0xffff8000, vcc_lo
	s_delay_alu instid0(VALU_DEP_1) | instskip(NEXT) | instid1(VALU_DEP_1)
	v_xor_b32_e32 v39, v39, v31
	v_cmp_ne_u16_e32 vcc_lo, 0x7fff, v39
	v_cndmask_b32_e32 v39, 0xffff8000, v39, vcc_lo
	s_delay_alu instid0(VALU_DEP_1) | instskip(NEXT) | instid1(VALU_DEP_1)
	v_and_b32_e32 v39, 0xffff, v39
	v_lshrrev_b32_e32 v39, s48, v39
	s_delay_alu instid0(VALU_DEP_1) | instskip(NEXT) | instid1(VALU_DEP_1)
	v_and_b32_e32 v39, s52, v39
	v_lshl_or_b32 v39, v39, 4, v83
	ds_add_u32 v39, v96
	s_or_b32 exec_lo, exec_lo, s9
	s_delay_alu instid0(SALU_CYCLE_1)
	s_mov_b32 s9, exec_lo
	v_cmpx_gt_u32_e64 s8, v75
	s_cbranch_execz .LBB2040_338
.LBB2040_353:                           ;   in Loop: Header=BB2040_308 Depth=2
	v_cmp_lt_i16_e32 vcc_lo, -1, v30
	v_cndmask_b32_e64 v39, -1, 0xffff8000, vcc_lo
	s_delay_alu instid0(VALU_DEP_1) | instskip(NEXT) | instid1(VALU_DEP_1)
	v_xor_b32_e32 v39, v39, v30
	v_cmp_ne_u16_e32 vcc_lo, 0x7fff, v39
	v_cndmask_b32_e32 v39, 0xffff8000, v39, vcc_lo
	s_delay_alu instid0(VALU_DEP_1) | instskip(NEXT) | instid1(VALU_DEP_1)
	v_and_b32_e32 v39, 0xffff, v39
	v_lshrrev_b32_e32 v39, s48, v39
	s_delay_alu instid0(VALU_DEP_1) | instskip(NEXT) | instid1(VALU_DEP_1)
	v_and_b32_e32 v39, s52, v39
	v_lshl_or_b32 v39, v39, 4, v83
	ds_add_u32 v39, v96
	s_or_b32 exec_lo, exec_lo, s9
	s_delay_alu instid0(SALU_CYCLE_1)
	s_mov_b32 s9, exec_lo
	v_cmpx_gt_u32_e64 s8, v76
	s_cbranch_execz .LBB2040_339
.LBB2040_354:                           ;   in Loop: Header=BB2040_308 Depth=2
	v_cmp_lt_i16_e32 vcc_lo, -1, v29
	v_cndmask_b32_e64 v39, -1, 0xffff8000, vcc_lo
	s_delay_alu instid0(VALU_DEP_1) | instskip(NEXT) | instid1(VALU_DEP_1)
	v_xor_b32_e32 v39, v39, v29
	v_cmp_ne_u16_e32 vcc_lo, 0x7fff, v39
	v_cndmask_b32_e32 v39, 0xffff8000, v39, vcc_lo
	s_delay_alu instid0(VALU_DEP_1) | instskip(NEXT) | instid1(VALU_DEP_1)
	v_and_b32_e32 v39, 0xffff, v39
	v_lshrrev_b32_e32 v39, s48, v39
	s_delay_alu instid0(VALU_DEP_1) | instskip(NEXT) | instid1(VALU_DEP_1)
	v_and_b32_e32 v39, s52, v39
	v_lshl_or_b32 v39, v39, 4, v83
	ds_add_u32 v39, v96
	s_or_b32 exec_lo, exec_lo, s9
	s_delay_alu instid0(SALU_CYCLE_1)
	s_mov_b32 s9, exec_lo
	v_cmpx_gt_u32_e64 s8, v77
	s_cbranch_execz .LBB2040_340
.LBB2040_355:                           ;   in Loop: Header=BB2040_308 Depth=2
	v_cmp_lt_i16_e32 vcc_lo, -1, v28
	v_cndmask_b32_e64 v39, -1, 0xffff8000, vcc_lo
	s_delay_alu instid0(VALU_DEP_1) | instskip(NEXT) | instid1(VALU_DEP_1)
	v_xor_b32_e32 v39, v39, v28
	v_cmp_ne_u16_e32 vcc_lo, 0x7fff, v39
	v_cndmask_b32_e32 v39, 0xffff8000, v39, vcc_lo
	s_delay_alu instid0(VALU_DEP_1) | instskip(NEXT) | instid1(VALU_DEP_1)
	v_and_b32_e32 v39, 0xffff, v39
	v_lshrrev_b32_e32 v39, s48, v39
	s_delay_alu instid0(VALU_DEP_1) | instskip(NEXT) | instid1(VALU_DEP_1)
	v_and_b32_e32 v39, s52, v39
	v_lshl_or_b32 v39, v39, 4, v83
	ds_add_u32 v39, v96
	s_or_b32 exec_lo, exec_lo, s9
	s_delay_alu instid0(SALU_CYCLE_1)
	s_mov_b32 s9, exec_lo
	v_cmpx_gt_u32_e64 s8, v78
	s_cbranch_execz .LBB2040_341
.LBB2040_356:                           ;   in Loop: Header=BB2040_308 Depth=2
	v_cmp_lt_i16_e32 vcc_lo, -1, v27
	v_cndmask_b32_e64 v39, -1, 0xffff8000, vcc_lo
	s_delay_alu instid0(VALU_DEP_1) | instskip(NEXT) | instid1(VALU_DEP_1)
	v_xor_b32_e32 v39, v39, v27
	v_cmp_ne_u16_e32 vcc_lo, 0x7fff, v39
	v_cndmask_b32_e32 v39, 0xffff8000, v39, vcc_lo
	s_delay_alu instid0(VALU_DEP_1) | instskip(NEXT) | instid1(VALU_DEP_1)
	v_and_b32_e32 v39, 0xffff, v39
	v_lshrrev_b32_e32 v39, s48, v39
	s_delay_alu instid0(VALU_DEP_1) | instskip(NEXT) | instid1(VALU_DEP_1)
	v_and_b32_e32 v39, s52, v39
	v_lshl_or_b32 v39, v39, 4, v83
	ds_add_u32 v39, v96
	s_or_b32 exec_lo, exec_lo, s9
	s_delay_alu instid0(SALU_CYCLE_1)
	s_mov_b32 s9, exec_lo
	v_cmpx_gt_u32_e64 s8, v79
	s_cbranch_execz .LBB2040_342
.LBB2040_357:                           ;   in Loop: Header=BB2040_308 Depth=2
	v_cmp_lt_i16_e32 vcc_lo, -1, v26
	v_cndmask_b32_e64 v39, -1, 0xffff8000, vcc_lo
	s_delay_alu instid0(VALU_DEP_1) | instskip(NEXT) | instid1(VALU_DEP_1)
	v_xor_b32_e32 v39, v39, v26
	v_cmp_ne_u16_e32 vcc_lo, 0x7fff, v39
	v_cndmask_b32_e32 v39, 0xffff8000, v39, vcc_lo
	s_delay_alu instid0(VALU_DEP_1) | instskip(NEXT) | instid1(VALU_DEP_1)
	v_and_b32_e32 v39, 0xffff, v39
	v_lshrrev_b32_e32 v39, s48, v39
	s_delay_alu instid0(VALU_DEP_1) | instskip(NEXT) | instid1(VALU_DEP_1)
	v_and_b32_e32 v39, s52, v39
	v_lshl_or_b32 v39, v39, 4, v83
	ds_add_u32 v39, v96
	s_or_b32 exec_lo, exec_lo, s9
	s_delay_alu instid0(SALU_CYCLE_1)
	s_mov_b32 s9, exec_lo
	v_cmpx_gt_u32_e64 s8, v80
	s_cbranch_execz .LBB2040_343
.LBB2040_358:                           ;   in Loop: Header=BB2040_308 Depth=2
	v_cmp_lt_i16_e32 vcc_lo, -1, v25
	v_cndmask_b32_e64 v39, -1, 0xffff8000, vcc_lo
	s_delay_alu instid0(VALU_DEP_1) | instskip(NEXT) | instid1(VALU_DEP_1)
	v_xor_b32_e32 v39, v39, v25
	v_cmp_ne_u16_e32 vcc_lo, 0x7fff, v39
	v_cndmask_b32_e32 v39, 0xffff8000, v39, vcc_lo
	s_delay_alu instid0(VALU_DEP_1) | instskip(NEXT) | instid1(VALU_DEP_1)
	v_and_b32_e32 v39, 0xffff, v39
	v_lshrrev_b32_e32 v39, s48, v39
	s_delay_alu instid0(VALU_DEP_1) | instskip(NEXT) | instid1(VALU_DEP_1)
	v_and_b32_e32 v39, s52, v39
	v_lshl_or_b32 v39, v39, 4, v83
	ds_add_u32 v39, v96
	s_or_b32 exec_lo, exec_lo, s9
	s_delay_alu instid0(SALU_CYCLE_1)
	s_mov_b32 s9, exec_lo
	v_cmpx_gt_u32_e64 s8, v81
	s_cbranch_execz .LBB2040_344
.LBB2040_359:                           ;   in Loop: Header=BB2040_308 Depth=2
	v_cmp_lt_i16_e32 vcc_lo, -1, v24
	v_cndmask_b32_e64 v39, -1, 0xffff8000, vcc_lo
	s_delay_alu instid0(VALU_DEP_1) | instskip(NEXT) | instid1(VALU_DEP_1)
	v_xor_b32_e32 v39, v39, v24
	v_cmp_ne_u16_e32 vcc_lo, 0x7fff, v39
	v_cndmask_b32_e32 v39, 0xffff8000, v39, vcc_lo
	s_delay_alu instid0(VALU_DEP_1) | instskip(NEXT) | instid1(VALU_DEP_1)
	v_and_b32_e32 v39, 0xffff, v39
	v_lshrrev_b32_e32 v39, s48, v39
	s_delay_alu instid0(VALU_DEP_1) | instskip(NEXT) | instid1(VALU_DEP_1)
	v_and_b32_e32 v39, s52, v39
	v_lshl_or_b32 v39, v39, 4, v83
	ds_add_u32 v39, v96
	s_or_b32 exec_lo, exec_lo, s9
	v_cmp_gt_u32_e32 vcc_lo, s8, v82
	s_and_saveexec_b32 s8, vcc_lo
	s_cbranch_execz .LBB2040_307
.LBB2040_360:                           ;   in Loop: Header=BB2040_308 Depth=2
	v_cmp_lt_i16_e32 vcc_lo, -1, v23
	v_cndmask_b32_e64 v39, -1, 0xffff8000, vcc_lo
	s_delay_alu instid0(VALU_DEP_1) | instskip(NEXT) | instid1(VALU_DEP_1)
	v_xor_b32_e32 v39, v39, v23
	v_cmp_ne_u16_e32 vcc_lo, 0x7fff, v39
	v_cndmask_b32_e32 v39, 0xffff8000, v39, vcc_lo
	s_delay_alu instid0(VALU_DEP_1) | instskip(NEXT) | instid1(VALU_DEP_1)
	v_and_b32_e32 v39, 0xffff, v39
	v_lshrrev_b32_e32 v39, s48, v39
	s_delay_alu instid0(VALU_DEP_1) | instskip(NEXT) | instid1(VALU_DEP_1)
	v_and_b32_e32 v39, s52, v39
	v_lshl_or_b32 v39, v39, 4, v83
	ds_add_u32 v39, v96
	s_branch .LBB2040_307
.LBB2040_361:                           ;   in Loop: Header=BB2040_308 Depth=2
	global_load_u16 v38, v2, s[8:9] scale_offset
	s_wait_xcnt 0x0
	s_or_b32 exec_lo, exec_lo, s11
	s_delay_alu instid0(SALU_CYCLE_1)
	s_mov_b32 s11, exec_lo
	v_cmpx_gt_u32_e64 s7, v68
	s_cbranch_execz .LBB2040_313
.LBB2040_362:                           ;   in Loop: Header=BB2040_308 Depth=2
	global_load_u16 v37, v2, s[8:9] offset:512 scale_offset
	s_wait_xcnt 0x0
	s_or_b32 exec_lo, exec_lo, s11
	s_delay_alu instid0(SALU_CYCLE_1)
	s_mov_b32 s11, exec_lo
	v_cmpx_gt_u32_e64 s7, v69
	s_cbranch_execz .LBB2040_314
.LBB2040_363:                           ;   in Loop: Header=BB2040_308 Depth=2
	global_load_u16 v36, v2, s[8:9] offset:1024 scale_offset
	s_wait_xcnt 0x0
	s_or_b32 exec_lo, exec_lo, s11
	s_delay_alu instid0(SALU_CYCLE_1)
	s_mov_b32 s11, exec_lo
	v_cmpx_gt_u32_e64 s7, v70
	s_cbranch_execz .LBB2040_315
.LBB2040_364:                           ;   in Loop: Header=BB2040_308 Depth=2
	global_load_u16 v35, v2, s[8:9] offset:1536 scale_offset
	s_wait_xcnt 0x0
	s_or_b32 exec_lo, exec_lo, s11
	s_delay_alu instid0(SALU_CYCLE_1)
	s_mov_b32 s11, exec_lo
	v_cmpx_gt_u32_e64 s7, v71
	s_cbranch_execz .LBB2040_316
.LBB2040_365:                           ;   in Loop: Header=BB2040_308 Depth=2
	global_load_u16 v34, v2, s[8:9] offset:2048 scale_offset
	s_wait_xcnt 0x0
	s_or_b32 exec_lo, exec_lo, s11
	s_delay_alu instid0(SALU_CYCLE_1)
	s_mov_b32 s11, exec_lo
	v_cmpx_gt_u32_e64 s7, v72
	s_cbranch_execz .LBB2040_317
.LBB2040_366:                           ;   in Loop: Header=BB2040_308 Depth=2
	global_load_u16 v33, v2, s[8:9] offset:2560 scale_offset
	s_wait_xcnt 0x0
	s_or_b32 exec_lo, exec_lo, s11
	s_delay_alu instid0(SALU_CYCLE_1)
	s_mov_b32 s11, exec_lo
	v_cmpx_gt_u32_e64 s7, v73
	s_cbranch_execz .LBB2040_318
.LBB2040_367:                           ;   in Loop: Header=BB2040_308 Depth=2
	global_load_u16 v32, v2, s[8:9] offset:3072 scale_offset
	s_wait_xcnt 0x0
	s_or_b32 exec_lo, exec_lo, s11
	s_delay_alu instid0(SALU_CYCLE_1)
	s_mov_b32 s11, exec_lo
	v_cmpx_gt_u32_e64 s7, v74
	s_cbranch_execz .LBB2040_319
.LBB2040_368:                           ;   in Loop: Header=BB2040_308 Depth=2
	global_load_u16 v31, v2, s[8:9] offset:3584 scale_offset
	s_wait_xcnt 0x0
	s_or_b32 exec_lo, exec_lo, s11
	s_delay_alu instid0(SALU_CYCLE_1)
	s_mov_b32 s11, exec_lo
	v_cmpx_gt_u32_e64 s7, v75
	s_cbranch_execz .LBB2040_320
.LBB2040_369:                           ;   in Loop: Header=BB2040_308 Depth=2
	global_load_u16 v30, v2, s[8:9] offset:4096 scale_offset
	s_wait_xcnt 0x0
	s_or_b32 exec_lo, exec_lo, s11
	s_delay_alu instid0(SALU_CYCLE_1)
	s_mov_b32 s11, exec_lo
	v_cmpx_gt_u32_e64 s7, v76
	s_cbranch_execz .LBB2040_321
.LBB2040_370:                           ;   in Loop: Header=BB2040_308 Depth=2
	global_load_u16 v29, v2, s[8:9] offset:4608 scale_offset
	s_wait_xcnt 0x0
	s_or_b32 exec_lo, exec_lo, s11
	s_delay_alu instid0(SALU_CYCLE_1)
	s_mov_b32 s11, exec_lo
	v_cmpx_gt_u32_e64 s7, v77
	s_cbranch_execz .LBB2040_322
.LBB2040_371:                           ;   in Loop: Header=BB2040_308 Depth=2
	global_load_u16 v28, v2, s[8:9] offset:5120 scale_offset
	s_wait_xcnt 0x0
	s_or_b32 exec_lo, exec_lo, s11
	s_delay_alu instid0(SALU_CYCLE_1)
	s_mov_b32 s11, exec_lo
	v_cmpx_gt_u32_e64 s7, v78
	s_cbranch_execz .LBB2040_323
.LBB2040_372:                           ;   in Loop: Header=BB2040_308 Depth=2
	global_load_u16 v27, v2, s[8:9] offset:5632 scale_offset
	s_wait_xcnt 0x0
	s_or_b32 exec_lo, exec_lo, s11
	s_delay_alu instid0(SALU_CYCLE_1)
	s_mov_b32 s11, exec_lo
	v_cmpx_gt_u32_e64 s7, v79
	s_cbranch_execz .LBB2040_324
.LBB2040_373:                           ;   in Loop: Header=BB2040_308 Depth=2
	global_load_u16 v26, v2, s[8:9] offset:6144 scale_offset
	s_wait_xcnt 0x0
	s_or_b32 exec_lo, exec_lo, s11
	s_delay_alu instid0(SALU_CYCLE_1)
	s_mov_b32 s11, exec_lo
	v_cmpx_gt_u32_e64 s7, v80
	s_cbranch_execz .LBB2040_325
.LBB2040_374:                           ;   in Loop: Header=BB2040_308 Depth=2
	global_load_u16 v25, v2, s[8:9] offset:6656 scale_offset
	s_wait_xcnt 0x0
	s_or_b32 exec_lo, exec_lo, s11
	s_delay_alu instid0(SALU_CYCLE_1)
	s_mov_b32 s11, exec_lo
	v_cmpx_gt_u32_e64 s7, v81
	s_cbranch_execz .LBB2040_326
.LBB2040_375:                           ;   in Loop: Header=BB2040_308 Depth=2
	global_load_u16 v24, v2, s[8:9] offset:7168 scale_offset
	s_wait_xcnt 0x0
	s_or_b32 exec_lo, exec_lo, s11
	s_delay_alu instid0(SALU_CYCLE_1)
	s_mov_b32 s11, exec_lo
	v_cmpx_gt_u32_e64 s7, v82
	s_cbranch_execnz .LBB2040_327
	s_branch .LBB2040_328
.LBB2040_376:                           ;   in Loop: Header=BB2040_12 Depth=1
	v_mov_b32_e32 v23, 0
	s_wait_dscnt 0x0
	s_barrier_signal -1
	s_barrier_wait -1
	s_and_saveexec_b32 s7, s0
	s_cbranch_execz .LBB2040_378
; %bb.377:                              ;   in Loop: Header=BB2040_12 Depth=1
	ds_load_2addr_b64 v[24:27], v85 offset1:1
	s_wait_dscnt 0x0
	v_add_nc_u32_e32 v23, v25, v24
	s_delay_alu instid0(VALU_DEP_1)
	v_add3_u32 v23, v23, v26, v27
.LBB2040_378:                           ;   in Loop: Header=BB2040_12 Depth=1
	s_or_b32 exec_lo, exec_lo, s7
	s_delay_alu instid0(VALU_DEP_1)
	v_mov_b32_dpp v24, v23 row_shr:1 row_mask:0xf bank_mask:0xf
	v_cmp_eq_u32_e64 s7, 0, v97
	v_cmp_lt_u32_e64 s8, 1, v97
	v_cmp_lt_u32_e64 s9, 3, v97
	v_cmp_lt_u32_e64 s10, 7, v97
	v_cmp_eq_u32_e64 s11, 0, v99
	v_cndmask_b32_e64 v24, v24, 0, s7
	s_delay_alu instid0(VALU_DEP_1) | instskip(NEXT) | instid1(VALU_DEP_1)
	v_add_nc_u32_e32 v23, v24, v23
	v_mov_b32_dpp v24, v23 row_shr:2 row_mask:0xf bank_mask:0xf
	s_delay_alu instid0(VALU_DEP_1) | instskip(NEXT) | instid1(VALU_DEP_1)
	v_cndmask_b32_e64 v24, 0, v24, s8
	v_add_nc_u32_e32 v23, v23, v24
	s_delay_alu instid0(VALU_DEP_1) | instskip(NEXT) | instid1(VALU_DEP_1)
	v_mov_b32_dpp v24, v23 row_shr:4 row_mask:0xf bank_mask:0xf
	v_cndmask_b32_e64 v24, 0, v24, s9
	s_delay_alu instid0(VALU_DEP_1) | instskip(NEXT) | instid1(VALU_DEP_1)
	v_add_nc_u32_e32 v23, v23, v24
	v_mov_b32_dpp v24, v23 row_shr:8 row_mask:0xf bank_mask:0xf
	s_delay_alu instid0(VALU_DEP_1) | instskip(NEXT) | instid1(VALU_DEP_1)
	v_cndmask_b32_e64 v24, 0, v24, s10
	v_add_nc_u32_e32 v23, v23, v24
	ds_swizzle_b32 v24, v23 offset:swizzle(BROADCAST,32,15)
	s_wait_dscnt 0x0
	v_and_b32_e32 v24, v98, v24
	s_delay_alu instid0(VALU_DEP_1)
	v_add_nc_u32_e32 v23, v23, v24
	s_and_saveexec_b32 s12, s1
; %bb.379:                              ;   in Loop: Header=BB2040_12 Depth=1
	ds_store_b32 v86, v23
; %bb.380:                              ;   in Loop: Header=BB2040_12 Depth=1
	s_or_b32 exec_lo, exec_lo, s12
	s_wait_dscnt 0x0
	s_barrier_signal -1
	s_barrier_wait -1
	s_and_saveexec_b32 s12, s4
	s_cbranch_execz .LBB2040_382
; %bb.381:                              ;   in Loop: Header=BB2040_12 Depth=1
	ds_load_b32 v24, v87
	v_cmp_ne_u32_e32 vcc_lo, 0, v101
	s_wait_dscnt 0x0
	v_mov_b32_dpp v25, v24 row_shr:1 row_mask:0xf bank_mask:0xf
	s_delay_alu instid0(VALU_DEP_1) | instskip(SKIP_1) | instid1(VALU_DEP_2)
	v_cndmask_b32_e32 v25, 0, v25, vcc_lo
	v_cmp_lt_u32_e32 vcc_lo, 1, v101
	v_add_nc_u32_e32 v24, v25, v24
	s_delay_alu instid0(VALU_DEP_1) | instskip(NEXT) | instid1(VALU_DEP_1)
	v_mov_b32_dpp v25, v24 row_shr:2 row_mask:0xf bank_mask:0xf
	v_cndmask_b32_e32 v25, 0, v25, vcc_lo
	v_cmp_lt_u32_e32 vcc_lo, 3, v101
	s_delay_alu instid0(VALU_DEP_2) | instskip(NEXT) | instid1(VALU_DEP_1)
	v_add_nc_u32_e32 v24, v24, v25
	v_mov_b32_dpp v25, v24 row_shr:4 row_mask:0xf bank_mask:0xf
	s_delay_alu instid0(VALU_DEP_1) | instskip(NEXT) | instid1(VALU_DEP_1)
	v_cndmask_b32_e32 v25, 0, v25, vcc_lo
	v_add_nc_u32_e32 v24, v24, v25
	ds_store_b32 v87, v24
.LBB2040_382:                           ;   in Loop: Header=BB2040_12 Depth=1
	s_or_b32 exec_lo, exec_lo, s12
	v_mov_b32_e32 v24, 0
	s_wait_dscnt 0x0
	s_barrier_signal -1
	s_barrier_wait -1
	s_and_saveexec_b32 s12, s5
; %bb.383:                              ;   in Loop: Header=BB2040_12 Depth=1
	ds_load_b32 v24, v88
; %bb.384:                              ;   in Loop: Header=BB2040_12 Depth=1
	s_or_b32 exec_lo, exec_lo, s12
	v_cmp_gt_i32_e32 vcc_lo, 0, v102
	s_wait_dscnt 0x0
	s_barrier_signal -1
	s_barrier_wait -1
	v_cndmask_b32_e32 v25, v102, v95, vcc_lo
	s_delay_alu instid0(VALU_DEP_1)
	v_dual_add_nc_u32 v23, v24, v23 :: v_dual_lshlrev_b32 v122, 2, v25
	ds_bpermute_b32 v23, v122, v23
	s_and_saveexec_b32 s12, s0
	s_cbranch_execz .LBB2040_386
; %bb.385:                              ;   in Loop: Header=BB2040_12 Depth=1
	s_wait_dscnt 0x0
	v_cndmask_b32_e64 v23, v23, v24, s6
	s_delay_alu instid0(VALU_DEP_1)
	v_add_nc_u32_e32 v23, s54, v23
	ds_store_b32 v3, v23
.LBB2040_386:                           ;   in Loop: Header=BB2040_12 Depth=1
	s_or_b32 exec_lo, exec_lo, s12
	s_load_b64 s[12:13], s[34:35], 0x0
	s_mov_b32 s53, s56
                                        ; implicit-def: $vgpr30_vgpr31
                                        ; implicit-def: $vgpr32_vgpr33
                                        ; implicit-def: $vgpr34_vgpr35
                                        ; implicit-def: $vgpr36_vgpr37
                                        ; implicit-def: $vgpr38_vgpr39
                                        ; implicit-def: $vgpr40_vgpr41
                                        ; implicit-def: $vgpr42_vgpr43
                                        ; implicit-def: $vgpr44_vgpr45
                                        ; implicit-def: $vgpr46_vgpr47
                                        ; implicit-def: $vgpr48_vgpr49
                                        ; implicit-def: $vgpr50_vgpr51
                                        ; implicit-def: $vgpr52_vgpr53
                                        ; implicit-def: $vgpr54_vgpr55
                                        ; implicit-def: $vgpr56_vgpr57
                                        ; implicit-def: $vgpr58_vgpr59
                                        ; implicit-def: $vgpr123
                                        ; implicit-def: $vgpr124
                                        ; implicit-def: $vgpr125
                                        ; implicit-def: $vgpr126
                                        ; implicit-def: $vgpr127
                                        ; implicit-def: $vgpr128
                                        ; implicit-def: $vgpr129
                                        ; implicit-def: $vgpr130
                                        ; implicit-def: $vgpr131
                                        ; implicit-def: $vgpr132
                                        ; implicit-def: $vgpr133
                                        ; implicit-def: $vgpr134
                                        ; implicit-def: $vgpr135
                                        ; implicit-def: $vgpr136
                                        ; implicit-def: $vgpr137
                                        ; implicit-def: $vgpr138
	s_wait_kmcnt 0x0
	s_cmp_lt_u32 s33, s12
	s_cselect_b32 s42, 12, 18
	s_cmp_lt_u32 s31, s13
	s_mov_b32 s13, s43
	s_cselect_b32 s12, 14, 20
	s_delay_alu instid0(SALU_CYCLE_1)
	s_add_nc_u64 s[12:13], s[34:35], s[12:13]
	s_load_u16 s14, s[12:13], 0x0
	s_wait_xcnt 0x0
	s_add_nc_u64 s[12:13], s[34:35], s[42:43]
	s_mov_b32 s42, s54
	s_load_u16 s12, s[12:13], 0x0
	s_wait_xcnt 0x0
	v_cmp_lt_u32_e64 s13, 1, v101
	s_wait_dscnt 0x0
	s_wait_kmcnt 0x0
	v_mad_u32_u24 v23, v89, s14, v90
	v_cmp_lt_u32_e64 s14, 3, v101
	s_delay_alu instid0(VALU_DEP_2) | instskip(SKIP_2) | instid1(VALU_DEP_3)
	v_mad_u32 v24, v23, s12, v2
	v_mov_b32_e32 v23, v5
	v_cmp_eq_u32_e64 s12, 0, v101
	v_lshrrev_b32_e32 v28, 3, v24
	v_add_nc_u64_e32 v[24:25], v[12:13], v[4:5]
	s_delay_alu instid0(VALU_DEP_4) | instskip(NEXT) | instid1(VALU_DEP_3)
	v_add_nc_u64_e32 v[26:27], v[14:15], v[22:23]
	v_and_b32_e32 v23, 0x1ffffffc, v28
                                        ; implicit-def: $vgpr28_vgpr29
	s_branch .LBB2040_388
.LBB2040_387:                           ;   in Loop: Header=BB2040_388 Depth=2
	s_or_b32 exec_lo, exec_lo, s15
	s_addk_co_i32 s53, 0xf000
	s_cmp_lt_u32 s57, s51
	s_mov_b32 s42, s57
	s_cbranch_scc0 .LBB2040_596
.LBB2040_388:                           ;   Parent Loop BB2040_12 Depth=1
                                        ; =>  This Inner Loop Header: Depth=2
	s_add_co_i32 s57, s42, 0x1000
	s_delay_alu instid0(SALU_CYCLE_1)
	s_cmp_gt_u32 s57, s51
	s_cbranch_scc1 .LBB2040_390
; %bb.389:                              ;   in Loop: Header=BB2040_388 Depth=2
	s_delay_alu instid0(VALU_DEP_2)
	v_lshl_add_u64 v[60:61], s[42:43], 1, v[26:27]
	s_mov_b32 s15, -1
	s_clause 0xe
	global_load_u16 v140, v[60:61], off
	global_load_u16 v141, v[60:61], off offset:64
	global_load_u16 v144, v[60:61], off offset:128
	;; [unrolled: 1-line block ×14, first 2 shown]
	s_movk_i32 s16, 0x1000
	s_cbranch_execz .LBB2040_391
	s_branch .LBB2040_422
.LBB2040_390:                           ;   in Loop: Header=BB2040_388 Depth=2
	s_mov_b32 s15, 0
                                        ; implicit-def: $vgpr140
                                        ; implicit-def: $vgpr141
                                        ; implicit-def: $vgpr144
                                        ; implicit-def: $vgpr148
                                        ; implicit-def: $vgpr152
                                        ; implicit-def: $vgpr156
                                        ; implicit-def: $vgpr160
                                        ; implicit-def: $vgpr164
                                        ; implicit-def: $vgpr168
                                        ; implicit-def: $vgpr67
                                        ; implicit-def: $vgpr66
                                        ; implicit-def: $vgpr65
                                        ; implicit-def: $vgpr64
                                        ; implicit-def: $vgpr63
                                        ; implicit-def: $vgpr62
	s_movk_i32 s16, 0x1000
.LBB2040_391:                           ;   in Loop: Header=BB2040_388 Depth=2
	s_wait_xcnt 0x0
	v_lshl_add_u64 v[60:61], s[42:43], 1, v[26:27]
	s_wait_loadcnt 0xd
	v_dual_mov_b32 v141, 0x7fff :: v_dual_mov_b32 v140, 0x7fff
	s_mov_b32 s15, exec_lo
	v_cmpx_gt_u32_e64 s53, v100
	s_cbranch_execz .LBB2040_393
; %bb.392:                              ;   in Loop: Header=BB2040_388 Depth=2
	global_load_u16 v140, v[60:61], off
.LBB2040_393:                           ;   in Loop: Header=BB2040_388 Depth=2
	s_wait_xcnt 0x0
	s_or_b32 exec_lo, exec_lo, s15
	s_delay_alu instid0(SALU_CYCLE_1)
	s_mov_b32 s15, exec_lo
	v_cmpx_gt_u32_e64 s53, v103
	s_cbranch_execz .LBB2040_395
; %bb.394:                              ;   in Loop: Header=BB2040_388 Depth=2
	global_load_u16 v141, v[60:61], off offset:64
.LBB2040_395:                           ;   in Loop: Header=BB2040_388 Depth=2
	s_wait_xcnt 0x0
	s_or_b32 exec_lo, exec_lo, s15
	s_wait_loadcnt 0xb
	v_mov_b32_e32 v148, 0x7fff
	v_mov_b32_e32 v144, 0x7fff
	s_mov_b32 s15, exec_lo
	v_cmpx_gt_u32_e64 s53, v104
	s_cbranch_execz .LBB2040_397
; %bb.396:                              ;   in Loop: Header=BB2040_388 Depth=2
	global_load_u16 v144, v[60:61], off offset:128
.LBB2040_397:                           ;   in Loop: Header=BB2040_388 Depth=2
	s_wait_xcnt 0x0
	s_or_b32 exec_lo, exec_lo, s15
	s_delay_alu instid0(SALU_CYCLE_1)
	s_mov_b32 s15, exec_lo
	v_cmpx_gt_u32_e64 s53, v105
	s_cbranch_execz .LBB2040_399
; %bb.398:                              ;   in Loop: Header=BB2040_388 Depth=2
	global_load_u16 v148, v[60:61], off offset:192
.LBB2040_399:                           ;   in Loop: Header=BB2040_388 Depth=2
	s_wait_xcnt 0x0
	s_or_b32 exec_lo, exec_lo, s15
	s_wait_loadcnt 0x9
	v_mov_b32_e32 v156, 0x7fff
	v_mov_b32_e32 v152, 0x7fff
	s_mov_b32 s15, exec_lo
	v_cmpx_gt_u32_e64 s53, v106
	s_cbranch_execz .LBB2040_401
; %bb.400:                              ;   in Loop: Header=BB2040_388 Depth=2
	global_load_u16 v152, v[60:61], off offset:256
.LBB2040_401:                           ;   in Loop: Header=BB2040_388 Depth=2
	;; [unrolled: 20-line block ×3, first 2 shown]
	s_wait_xcnt 0x0
	s_or_b32 exec_lo, exec_lo, s15
	s_delay_alu instid0(SALU_CYCLE_1)
	s_mov_b32 s15, exec_lo
	v_cmpx_gt_u32_e64 s53, v109
	s_cbranch_execz .LBB2040_407
; %bb.406:                              ;   in Loop: Header=BB2040_388 Depth=2
	global_load_u16 v164, v[60:61], off offset:448
.LBB2040_407:                           ;   in Loop: Header=BB2040_388 Depth=2
	s_wait_xcnt 0x0
	s_or_b32 exec_lo, exec_lo, s15
	s_wait_loadcnt 0x5
	v_dual_mov_b32 v67, 0x7fff :: v_dual_mov_b32 v168, 0x7fff
	s_mov_b32 s15, exec_lo
	v_cmpx_gt_u32_e64 s53, v110
	s_cbranch_execz .LBB2040_409
; %bb.408:                              ;   in Loop: Header=BB2040_388 Depth=2
	global_load_u16 v168, v[60:61], off offset:512
.LBB2040_409:                           ;   in Loop: Header=BB2040_388 Depth=2
	s_wait_xcnt 0x0
	s_or_b32 exec_lo, exec_lo, s15
	s_delay_alu instid0(SALU_CYCLE_1)
	s_mov_b32 s15, exec_lo
	v_cmpx_gt_u32_e64 s53, v111
	s_cbranch_execz .LBB2040_411
; %bb.410:                              ;   in Loop: Header=BB2040_388 Depth=2
	global_load_u16 v67, v[60:61], off offset:576
.LBB2040_411:                           ;   in Loop: Header=BB2040_388 Depth=2
	s_wait_xcnt 0x0
	s_or_b32 exec_lo, exec_lo, s15
	s_wait_loadcnt 0x3
	v_dual_mov_b32 v65, 0x7fff :: v_dual_mov_b32 v66, 0x7fff
	s_mov_b32 s15, exec_lo
	v_cmpx_gt_u32_e64 s53, v112
	s_cbranch_execz .LBB2040_413
; %bb.412:                              ;   in Loop: Header=BB2040_388 Depth=2
	global_load_u16 v66, v[60:61], off offset:640
.LBB2040_413:                           ;   in Loop: Header=BB2040_388 Depth=2
	;; [unrolled: 19-line block ×3, first 2 shown]
	s_wait_xcnt 0x0
	s_or_b32 exec_lo, exec_lo, s15
	s_delay_alu instid0(SALU_CYCLE_1)
	s_mov_b32 s15, exec_lo
	v_cmpx_gt_u32_e64 s53, v115
	s_cbranch_execz .LBB2040_419
; %bb.418:                              ;   in Loop: Header=BB2040_388 Depth=2
	global_load_u16 v63, v[60:61], off offset:832
.LBB2040_419:                           ;   in Loop: Header=BB2040_388 Depth=2
	s_wait_xcnt 0x0
	s_or_b32 exec_lo, exec_lo, s15
	s_wait_loadcnt 0x0
	v_mov_b32_e32 v62, 0x7fff
	s_mov_b32 s15, exec_lo
	v_cmpx_gt_u32_e64 s53, v116
	s_cbranch_execz .LBB2040_421
; %bb.420:                              ;   in Loop: Header=BB2040_388 Depth=2
	global_load_u16 v62, v[60:61], off offset:896
.LBB2040_421:                           ;   in Loop: Header=BB2040_388 Depth=2
	s_wait_xcnt 0x0
	s_or_b32 exec_lo, exec_lo, s15
	v_cmp_gt_u32_e64 s15, s53, v117
	s_sub_co_i32 s16, s51, s42
.LBB2040_422:                           ;   in Loop: Header=BB2040_388 Depth=2
	s_wait_xcnt 0x0
	v_dual_mov_b32 v60, 0x7fff :: v_dual_mov_b32 v139, s53
	s_and_saveexec_b32 s17, s15
	s_cbranch_execz .LBB2040_424
; %bb.423:                              ;   in Loop: Header=BB2040_388 Depth=2
	v_lshl_add_u64 v[60:61], s[42:43], 1, v[26:27]
	v_mov_b32_e32 v139, s16
	global_load_u16 v60, v[60:61], off offset:960
.LBB2040_424:                           ;   in Loop: Header=BB2040_388 Depth=2
	s_wait_xcnt 0x0
	s_or_b32 exec_lo, exec_lo, s17
	s_wait_loadcnt 0xe
	v_cmp_lt_i16_e64 vcc_lo, -1, v140
	ds_store_2addr_b32 v121, v5, v5 offset1:1
	ds_store_2addr_b32 v118, v5, v5 offset1:1
	;; [unrolled: 1-line block ×4, first 2 shown]
	ds_store_b32 v91, v5 offset:1088
	s_wait_loadcnt_dscnt 0x0
	s_barrier_signal -1
	v_cndmask_b32_e64 v61, -1, 0xffff8000, vcc_lo
	s_barrier_wait -1
	; wave barrier
	s_delay_alu instid0(VALU_DEP_1) | instskip(NEXT) | instid1(VALU_DEP_1)
	v_xor_b32_e32 v140, v61, v140
	v_cmp_ne_u16_e64 vcc_lo, 0x7fff, v140
	v_cndmask_b32_e32 v61, 0xffff8000, v140, vcc_lo
	s_delay_alu instid0(VALU_DEP_1) | instskip(NEXT) | instid1(VALU_DEP_1)
	v_and_b32_e32 v61, 0xffff, v61
	v_lshrrev_b32_e32 v61, s48, v61
	s_delay_alu instid0(VALU_DEP_1) | instskip(SKIP_1) | instid1(VALU_DEP_2)
	v_bitop3_b32 v142, v61, 1, s52 bitop3:0x80
	v_and_b32_e32 v143, s52, v61
	v_add_co_u32 v61, s15, v142, -1
	s_delay_alu instid0(VALU_DEP_1) | instskip(NEXT) | instid1(VALU_DEP_3)
	v_cndmask_b32_e64 v142, 0, 1, s15
	v_lshlrev_b32_e32 v145, 30, v143
	s_delay_alu instid0(VALU_DEP_2) | instskip(NEXT) | instid1(VALU_DEP_2)
	v_cmp_ne_u32_e32 vcc_lo, 0, v142
	v_not_b32_e32 v142, v145
	s_delay_alu instid0(VALU_DEP_1) | instskip(SKIP_3) | instid1(VALU_DEP_4)
	v_dual_ashrrev_i32 v142, 31, v142 :: v_dual_lshlrev_b32 v146, 29, v143
	v_dual_lshlrev_b32 v147, 28, v143 :: v_dual_lshlrev_b32 v149, 27, v143
	v_lshlrev_b32_e32 v150, 26, v143
	v_cmp_gt_i32_e64 s15, 0, v145
	v_cmp_gt_i32_e64 s16, 0, v146
	v_not_b32_e32 v145, v146
	v_not_b32_e32 v146, v147
	v_dual_lshlrev_b32 v151, 25, v143 :: v_dual_lshlrev_b32 v153, 24, v143
	v_cmp_gt_i32_e64 s17, 0, v147
	v_cmp_gt_i32_e64 s18, 0, v149
	v_not_b32_e32 v147, v149
	v_not_b32_e32 v149, v150
	v_dual_ashrrev_i32 v146, 31, v146 :: v_dual_bitop2_b32 v61, vcc_lo, v61 bitop3:0x14
	v_dual_ashrrev_i32 v145, 31, v145 :: v_dual_bitop2_b32 v142, s15, v142 bitop3:0x14
	v_cmp_gt_i32_e64 s19, 0, v150
	v_cmp_gt_i32_e64 s20, 0, v151
	v_not_b32_e32 v150, v151
	v_not_b32_e32 v151, v153
	v_dual_ashrrev_i32 v147, 31, v147 :: v_dual_ashrrev_i32 v149, 31, v149
	v_xor_b32_e32 v145, s16, v145
	v_xor_b32_e32 v146, s17, v146
	v_bitop3_b32 v61, v61, v142, exec_lo bitop3:0x80
	v_cmp_gt_i32_e64 s21, 0, v153
	v_dual_ashrrev_i32 v142, 31, v150 :: v_dual_ashrrev_i32 v150, 31, v151
	v_xor_b32_e32 v147, s18, v147
	s_delay_alu instid0(VALU_DEP_4) | instskip(SKIP_3) | instid1(VALU_DEP_3)
	v_bitop3_b32 v61, v61, v146, v145 bitop3:0x80
	v_mul_u32_u24_e32 v143, 36, v143
	v_xor_b32_e32 v149, s19, v149
	v_xor_b32_e32 v142, s20, v142
	v_dual_add_nc_u32 v143, v23, v143 :: v_dual_bitop2_b32 v145, s21, v150 bitop3:0x14
	s_delay_alu instid0(VALU_DEP_3) | instskip(NEXT) | instid1(VALU_DEP_1)
	v_bitop3_b32 v61, v61, v149, v147 bitop3:0x80
	v_bitop3_b32 v61, v61, v145, v142 bitop3:0x80
	s_delay_alu instid0(VALU_DEP_1) | instskip(SKIP_1) | instid1(VALU_DEP_2)
	v_mbcnt_lo_u32_b32 v142, v61, 0
	v_cmp_ne_u32_e64 s15, 0, v61
	v_cmp_eq_u32_e32 vcc_lo, 0, v142
	s_and_b32 s16, s15, vcc_lo
	s_delay_alu instid0(SALU_CYCLE_1)
	s_and_saveexec_b32 s15, s16
; %bb.425:                              ;   in Loop: Header=BB2040_388 Depth=2
	v_bcnt_u32_b32 v61, v61, 0
	ds_store_b32 v143, v61 offset:1056
; %bb.426:                              ;   in Loop: Header=BB2040_388 Depth=2
	s_or_b32 exec_lo, exec_lo, s15
	v_cmp_lt_i16_e64 vcc_lo, -1, v141
	; wave barrier
	s_delay_alu instid0(VALU_DEP_1) | instskip(NEXT) | instid1(VALU_DEP_1)
	v_cndmask_b32_e64 v61, -1, 0xffff8000, vcc_lo
	v_xor_b32_e32 v141, v61, v141
	s_delay_alu instid0(VALU_DEP_1) | instskip(SKIP_1) | instid1(VALU_DEP_1)
	v_cmp_ne_u16_e64 vcc_lo, 0x7fff, v141
	v_cndmask_b32_e32 v61, 0xffff8000, v141, vcc_lo
	v_and_b32_e32 v61, 0xffff, v61
	s_delay_alu instid0(VALU_DEP_1) | instskip(NEXT) | instid1(VALU_DEP_1)
	v_lshrrev_b32_e32 v61, s48, v61
	v_and_b32_e32 v147, s52, v61
	s_delay_alu instid0(VALU_DEP_1) | instskip(SKIP_2) | instid1(VALU_DEP_3)
	v_lshlrev_b32_e32 v149, 29, v147
	v_bitop3_b32 v145, v61, 1, s52 bitop3:0x80
	v_lshlrev_b32_e32 v146, 30, v147
	v_cmp_gt_i32_e64 s16, 0, v149
	s_delay_alu instid0(VALU_DEP_3) | instskip(NEXT) | instid1(VALU_DEP_1)
	v_add_co_u32 v61, s15, v145, -1
	v_cndmask_b32_e64 v145, 0, 1, s15
	s_delay_alu instid0(VALU_DEP_4) | instskip(NEXT) | instid1(VALU_DEP_2)
	v_cmp_gt_i32_e64 s15, 0, v146
	v_cmp_ne_u32_e32 vcc_lo, 0, v145
	v_not_b32_e32 v145, v146
	v_not_b32_e32 v146, v149
	s_delay_alu instid0(VALU_DEP_1) | instskip(SKIP_2) | instid1(VALU_DEP_3)
	v_dual_ashrrev_i32 v146, 31, v146 :: v_dual_lshlrev_b32 v150, 28, v147
	v_dual_lshlrev_b32 v151, 27, v147 :: v_dual_lshlrev_b32 v153, 26, v147
	v_dual_lshlrev_b32 v154, 25, v147 :: v_dual_lshlrev_b32 v155, 24, v147
	v_cmp_gt_i32_e64 s17, 0, v150
	v_not_b32_e32 v149, v150
	s_delay_alu instid0(VALU_DEP_4)
	v_not_b32_e32 v150, v151
	v_ashrrev_i32_e32 v145, 31, v145
	v_cmp_gt_i32_e64 s18, 0, v151
	v_cmp_gt_i32_e64 s19, 0, v153
	v_not_b32_e32 v151, v153
	v_cmp_gt_i32_e64 s20, 0, v154
	v_not_b32_e32 v153, v154
	v_not_b32_e32 v154, v155
	s_delay_alu instid0(VALU_DEP_4) | instskip(SKIP_3) | instid1(VALU_DEP_3)
	v_dual_ashrrev_i32 v151, 31, v151 :: v_dual_bitop2_b32 v61, vcc_lo, v61 bitop3:0x14
	v_dual_ashrrev_i32 v149, 31, v149 :: v_dual_bitop2_b32 v146, s16, v146 bitop3:0x14
	v_dual_ashrrev_i32 v150, 31, v150 :: v_dual_bitop2_b32 v145, s15, v145 bitop3:0x14
	v_cmp_gt_i32_e64 s21, 0, v155
	v_xor_b32_e32 v149, s17, v149
	v_xor_b32_e32 v151, s19, v151
	s_delay_alu instid0(VALU_DEP_4) | instskip(SKIP_2) | instid1(VALU_DEP_2)
	v_xor_b32_e32 v150, s18, v150
	v_bitop3_b32 v61, v61, v145, exec_lo bitop3:0x80
	v_dual_ashrrev_i32 v145, 31, v153 :: v_dual_ashrrev_i32 v153, 31, v154
	v_bitop3_b32 v61, v61, v149, v146 bitop3:0x80
	v_mad_u32_u24 v146, v147, 36, v23
	s_delay_alu instid0(VALU_DEP_3) | instskip(NEXT) | instid1(VALU_DEP_4)
	v_xor_b32_e32 v149, s20, v145
	v_xor_b32_e32 v153, s21, v153
	v_mul_u32_u24_e32 v147, 36, v147
	v_bitop3_b32 v61, v61, v151, v150 bitop3:0x80
	ds_load_b32 v145, v146 offset:1056
	; wave barrier
	v_add_nc_u32_e32 v147, v23, v147
	v_bitop3_b32 v61, v61, v153, v149 bitop3:0x80
	s_delay_alu instid0(VALU_DEP_1) | instskip(SKIP_1) | instid1(VALU_DEP_2)
	v_mbcnt_lo_u32_b32 v146, v61, 0
	v_cmp_ne_u32_e64 s15, 0, v61
	v_cmp_eq_u32_e32 vcc_lo, 0, v146
	s_and_b32 s16, s15, vcc_lo
	s_delay_alu instid0(SALU_CYCLE_1)
	s_and_saveexec_b32 s15, s16
	s_cbranch_execz .LBB2040_428
; %bb.427:                              ;   in Loop: Header=BB2040_388 Depth=2
	s_wait_dscnt 0x0
	v_bcnt_u32_b32 v61, v61, v145
	ds_store_b32 v147, v61 offset:1056
.LBB2040_428:                           ;   in Loop: Header=BB2040_388 Depth=2
	s_or_b32 exec_lo, exec_lo, s15
	v_cmp_lt_i16_e64 vcc_lo, -1, v144
	; wave barrier
	s_delay_alu instid0(VALU_DEP_1) | instskip(NEXT) | instid1(VALU_DEP_1)
	v_cndmask_b32_e64 v61, -1, 0xffff8000, vcc_lo
	v_xor_b32_e32 v144, v61, v144
	s_delay_alu instid0(VALU_DEP_1) | instskip(SKIP_1) | instid1(VALU_DEP_1)
	v_cmp_ne_u16_e64 vcc_lo, 0x7fff, v144
	v_cndmask_b32_e32 v61, 0xffff8000, v144, vcc_lo
	v_and_b32_e32 v61, 0xffff, v61
	s_delay_alu instid0(VALU_DEP_1) | instskip(NEXT) | instid1(VALU_DEP_1)
	v_lshrrev_b32_e32 v61, s48, v61
	v_bitop3_b32 v149, v61, 1, s52 bitop3:0x80
	v_and_b32_e32 v151, s52, v61
	s_delay_alu instid0(VALU_DEP_2) | instskip(NEXT) | instid1(VALU_DEP_1)
	v_add_co_u32 v61, s15, v149, -1
	v_cndmask_b32_e64 v149, 0, 1, s15
	s_delay_alu instid0(VALU_DEP_3) | instskip(NEXT) | instid1(VALU_DEP_2)
	v_dual_lshlrev_b32 v150, 30, v151 :: v_dual_lshlrev_b32 v153, 29, v151
	v_cmp_ne_u32_e32 vcc_lo, 0, v149
	s_delay_alu instid0(VALU_DEP_2) | instskip(SKIP_1) | instid1(VALU_DEP_4)
	v_cmp_gt_i32_e64 s15, 0, v150
	v_not_b32_e32 v149, v150
	v_not_b32_e32 v150, v153
	s_delay_alu instid0(VALU_DEP_1) | instskip(SKIP_3) | instid1(VALU_DEP_4)
	v_dual_ashrrev_i32 v150, 31, v150 :: v_dual_lshlrev_b32 v154, 28, v151
	v_dual_lshlrev_b32 v155, 27, v151 :: v_dual_lshlrev_b32 v157, 26, v151
	v_dual_lshlrev_b32 v158, 25, v151 :: v_dual_lshlrev_b32 v159, 24, v151
	v_cmp_gt_i32_e64 s16, 0, v153
	v_cmp_gt_i32_e64 s17, 0, v154
	v_not_b32_e32 v153, v154
	v_not_b32_e32 v154, v155
	v_ashrrev_i32_e32 v149, 31, v149
	v_cmp_gt_i32_e64 s18, 0, v155
	v_cmp_gt_i32_e64 s19, 0, v157
	v_not_b32_e32 v155, v157
	v_cmp_gt_i32_e64 s20, 0, v158
	v_not_b32_e32 v157, v158
	v_not_b32_e32 v158, v159
	s_delay_alu instid0(VALU_DEP_4) | instskip(SKIP_3) | instid1(VALU_DEP_3)
	v_dual_ashrrev_i32 v155, 31, v155 :: v_dual_bitop2_b32 v61, vcc_lo, v61 bitop3:0x14
	v_dual_ashrrev_i32 v153, 31, v153 :: v_dual_bitop2_b32 v150, s16, v150 bitop3:0x14
	v_dual_ashrrev_i32 v154, 31, v154 :: v_dual_bitop2_b32 v149, s15, v149 bitop3:0x14
	v_cmp_gt_i32_e64 s21, 0, v159
	v_xor_b32_e32 v153, s17, v153
	v_xor_b32_e32 v155, s19, v155
	s_delay_alu instid0(VALU_DEP_4) | instskip(SKIP_2) | instid1(VALU_DEP_2)
	v_xor_b32_e32 v154, s18, v154
	v_bitop3_b32 v61, v61, v149, exec_lo bitop3:0x80
	v_dual_ashrrev_i32 v149, 31, v157 :: v_dual_ashrrev_i32 v157, 31, v158
	v_bitop3_b32 v61, v61, v153, v150 bitop3:0x80
	v_mad_u32_u24 v150, v151, 36, v23
	s_delay_alu instid0(VALU_DEP_3) | instskip(NEXT) | instid1(VALU_DEP_4)
	v_xor_b32_e32 v153, s20, v149
	v_xor_b32_e32 v157, s21, v157
	v_mul_u32_u24_e32 v151, 36, v151
	v_bitop3_b32 v61, v61, v155, v154 bitop3:0x80
	ds_load_b32 v149, v150 offset:1056
	; wave barrier
	v_add_nc_u32_e32 v151, v23, v151
	v_bitop3_b32 v61, v61, v157, v153 bitop3:0x80
	s_delay_alu instid0(VALU_DEP_1) | instskip(SKIP_1) | instid1(VALU_DEP_2)
	v_mbcnt_lo_u32_b32 v150, v61, 0
	v_cmp_ne_u32_e64 s15, 0, v61
	v_cmp_eq_u32_e32 vcc_lo, 0, v150
	s_and_b32 s16, s15, vcc_lo
	s_delay_alu instid0(SALU_CYCLE_1)
	s_and_saveexec_b32 s15, s16
	s_cbranch_execz .LBB2040_430
; %bb.429:                              ;   in Loop: Header=BB2040_388 Depth=2
	s_wait_dscnt 0x0
	v_bcnt_u32_b32 v61, v61, v149
	ds_store_b32 v151, v61 offset:1056
.LBB2040_430:                           ;   in Loop: Header=BB2040_388 Depth=2
	s_or_b32 exec_lo, exec_lo, s15
	v_cmp_lt_i16_e64 vcc_lo, -1, v148
	; wave barrier
	s_delay_alu instid0(VALU_DEP_1) | instskip(NEXT) | instid1(VALU_DEP_1)
	v_cndmask_b32_e64 v61, -1, 0xffff8000, vcc_lo
	v_xor_b32_e32 v148, v61, v148
	s_delay_alu instid0(VALU_DEP_1) | instskip(SKIP_1) | instid1(VALU_DEP_1)
	v_cmp_ne_u16_e64 vcc_lo, 0x7fff, v148
	v_cndmask_b32_e32 v61, 0xffff8000, v148, vcc_lo
	v_and_b32_e32 v61, 0xffff, v61
	s_delay_alu instid0(VALU_DEP_1) | instskip(NEXT) | instid1(VALU_DEP_1)
	v_lshrrev_b32_e32 v61, s48, v61
	v_bitop3_b32 v153, v61, 1, s52 bitop3:0x80
	v_and_b32_e32 v155, s52, v61
	s_delay_alu instid0(VALU_DEP_2) | instskip(NEXT) | instid1(VALU_DEP_1)
	v_add_co_u32 v61, s15, v153, -1
	v_cndmask_b32_e64 v153, 0, 1, s15
	s_delay_alu instid0(VALU_DEP_3) | instskip(NEXT) | instid1(VALU_DEP_2)
	v_dual_lshlrev_b32 v154, 30, v155 :: v_dual_lshlrev_b32 v157, 29, v155
	v_cmp_ne_u32_e32 vcc_lo, 0, v153
	s_delay_alu instid0(VALU_DEP_2) | instskip(SKIP_1) | instid1(VALU_DEP_4)
	v_cmp_gt_i32_e64 s15, 0, v154
	v_not_b32_e32 v153, v154
	v_not_b32_e32 v154, v157
	s_delay_alu instid0(VALU_DEP_1) | instskip(SKIP_3) | instid1(VALU_DEP_4)
	v_dual_ashrrev_i32 v154, 31, v154 :: v_dual_lshlrev_b32 v158, 28, v155
	v_dual_lshlrev_b32 v159, 27, v155 :: v_dual_lshlrev_b32 v161, 26, v155
	v_dual_lshlrev_b32 v162, 25, v155 :: v_dual_lshlrev_b32 v163, 24, v155
	v_cmp_gt_i32_e64 s16, 0, v157
	v_cmp_gt_i32_e64 s17, 0, v158
	v_not_b32_e32 v157, v158
	v_not_b32_e32 v158, v159
	v_ashrrev_i32_e32 v153, 31, v153
	v_cmp_gt_i32_e64 s18, 0, v159
	v_cmp_gt_i32_e64 s19, 0, v161
	v_not_b32_e32 v159, v161
	v_cmp_gt_i32_e64 s20, 0, v162
	v_not_b32_e32 v161, v162
	v_not_b32_e32 v162, v163
	s_delay_alu instid0(VALU_DEP_4) | instskip(SKIP_3) | instid1(VALU_DEP_3)
	v_dual_ashrrev_i32 v159, 31, v159 :: v_dual_bitop2_b32 v61, vcc_lo, v61 bitop3:0x14
	v_dual_ashrrev_i32 v157, 31, v157 :: v_dual_bitop2_b32 v154, s16, v154 bitop3:0x14
	v_dual_ashrrev_i32 v158, 31, v158 :: v_dual_bitop2_b32 v153, s15, v153 bitop3:0x14
	v_cmp_gt_i32_e64 s21, 0, v163
	v_xor_b32_e32 v157, s17, v157
	v_xor_b32_e32 v159, s19, v159
	s_delay_alu instid0(VALU_DEP_4) | instskip(SKIP_2) | instid1(VALU_DEP_2)
	v_xor_b32_e32 v158, s18, v158
	v_bitop3_b32 v61, v61, v153, exec_lo bitop3:0x80
	v_dual_ashrrev_i32 v153, 31, v161 :: v_dual_ashrrev_i32 v161, 31, v162
	v_bitop3_b32 v61, v61, v157, v154 bitop3:0x80
	v_mad_u32_u24 v154, v155, 36, v23
	s_delay_alu instid0(VALU_DEP_3) | instskip(NEXT) | instid1(VALU_DEP_4)
	v_xor_b32_e32 v157, s20, v153
	v_xor_b32_e32 v161, s21, v161
	v_mul_u32_u24_e32 v155, 36, v155
	v_bitop3_b32 v61, v61, v159, v158 bitop3:0x80
	ds_load_b32 v153, v154 offset:1056
	; wave barrier
	v_add_nc_u32_e32 v155, v23, v155
	v_bitop3_b32 v61, v61, v161, v157 bitop3:0x80
	s_delay_alu instid0(VALU_DEP_1) | instskip(SKIP_1) | instid1(VALU_DEP_2)
	v_mbcnt_lo_u32_b32 v154, v61, 0
	v_cmp_ne_u32_e64 s15, 0, v61
	v_cmp_eq_u32_e32 vcc_lo, 0, v154
	s_and_b32 s16, s15, vcc_lo
	s_delay_alu instid0(SALU_CYCLE_1)
	s_and_saveexec_b32 s15, s16
	s_cbranch_execz .LBB2040_432
; %bb.431:                              ;   in Loop: Header=BB2040_388 Depth=2
	s_wait_dscnt 0x0
	v_bcnt_u32_b32 v61, v61, v153
	ds_store_b32 v155, v61 offset:1056
.LBB2040_432:                           ;   in Loop: Header=BB2040_388 Depth=2
	s_or_b32 exec_lo, exec_lo, s15
	v_cmp_lt_i16_e64 vcc_lo, -1, v152
	; wave barrier
	s_delay_alu instid0(VALU_DEP_1) | instskip(NEXT) | instid1(VALU_DEP_1)
	v_cndmask_b32_e64 v61, -1, 0xffff8000, vcc_lo
	v_xor_b32_e32 v152, v61, v152
	s_delay_alu instid0(VALU_DEP_1) | instskip(SKIP_1) | instid1(VALU_DEP_1)
	v_cmp_ne_u16_e64 vcc_lo, 0x7fff, v152
	v_cndmask_b32_e32 v61, 0xffff8000, v152, vcc_lo
	v_and_b32_e32 v61, 0xffff, v61
	s_delay_alu instid0(VALU_DEP_1) | instskip(NEXT) | instid1(VALU_DEP_1)
	v_lshrrev_b32_e32 v61, s48, v61
	v_bitop3_b32 v157, v61, 1, s52 bitop3:0x80
	v_and_b32_e32 v159, s52, v61
	s_delay_alu instid0(VALU_DEP_2) | instskip(NEXT) | instid1(VALU_DEP_1)
	v_add_co_u32 v61, s15, v157, -1
	v_cndmask_b32_e64 v157, 0, 1, s15
	s_delay_alu instid0(VALU_DEP_3) | instskip(NEXT) | instid1(VALU_DEP_2)
	v_dual_lshlrev_b32 v158, 30, v159 :: v_dual_lshlrev_b32 v161, 29, v159
	v_cmp_ne_u32_e32 vcc_lo, 0, v157
	s_delay_alu instid0(VALU_DEP_2) | instskip(SKIP_1) | instid1(VALU_DEP_4)
	v_cmp_gt_i32_e64 s15, 0, v158
	v_not_b32_e32 v157, v158
	v_not_b32_e32 v158, v161
	s_delay_alu instid0(VALU_DEP_1) | instskip(SKIP_3) | instid1(VALU_DEP_4)
	v_dual_ashrrev_i32 v158, 31, v158 :: v_dual_lshlrev_b32 v162, 28, v159
	v_dual_lshlrev_b32 v163, 27, v159 :: v_dual_lshlrev_b32 v165, 26, v159
	v_dual_lshlrev_b32 v166, 25, v159 :: v_dual_lshlrev_b32 v167, 24, v159
	v_cmp_gt_i32_e64 s16, 0, v161
	v_cmp_gt_i32_e64 s17, 0, v162
	v_not_b32_e32 v161, v162
	v_not_b32_e32 v162, v163
	v_ashrrev_i32_e32 v157, 31, v157
	v_cmp_gt_i32_e64 s18, 0, v163
	v_cmp_gt_i32_e64 s19, 0, v165
	v_not_b32_e32 v163, v165
	v_cmp_gt_i32_e64 s20, 0, v166
	v_not_b32_e32 v165, v166
	v_not_b32_e32 v166, v167
	s_delay_alu instid0(VALU_DEP_4) | instskip(SKIP_3) | instid1(VALU_DEP_3)
	v_dual_ashrrev_i32 v163, 31, v163 :: v_dual_bitop2_b32 v61, vcc_lo, v61 bitop3:0x14
	v_dual_ashrrev_i32 v161, 31, v161 :: v_dual_bitop2_b32 v158, s16, v158 bitop3:0x14
	v_dual_ashrrev_i32 v162, 31, v162 :: v_dual_bitop2_b32 v157, s15, v157 bitop3:0x14
	v_cmp_gt_i32_e64 s21, 0, v167
	v_xor_b32_e32 v161, s17, v161
	v_xor_b32_e32 v163, s19, v163
	s_delay_alu instid0(VALU_DEP_4) | instskip(SKIP_2) | instid1(VALU_DEP_2)
	v_xor_b32_e32 v162, s18, v162
	v_bitop3_b32 v61, v61, v157, exec_lo bitop3:0x80
	v_dual_ashrrev_i32 v157, 31, v165 :: v_dual_ashrrev_i32 v165, 31, v166
	v_bitop3_b32 v61, v61, v161, v158 bitop3:0x80
	v_mad_u32_u24 v158, v159, 36, v23
	s_delay_alu instid0(VALU_DEP_3) | instskip(NEXT) | instid1(VALU_DEP_4)
	v_xor_b32_e32 v161, s20, v157
	v_xor_b32_e32 v165, s21, v165
	v_mul_u32_u24_e32 v159, 36, v159
	v_bitop3_b32 v61, v61, v163, v162 bitop3:0x80
	ds_load_b32 v157, v158 offset:1056
	; wave barrier
	v_add_nc_u32_e32 v159, v23, v159
	v_bitop3_b32 v61, v61, v165, v161 bitop3:0x80
	s_delay_alu instid0(VALU_DEP_1) | instskip(SKIP_1) | instid1(VALU_DEP_2)
	v_mbcnt_lo_u32_b32 v158, v61, 0
	v_cmp_ne_u32_e64 s15, 0, v61
	v_cmp_eq_u32_e32 vcc_lo, 0, v158
	s_and_b32 s16, s15, vcc_lo
	s_delay_alu instid0(SALU_CYCLE_1)
	s_and_saveexec_b32 s15, s16
	s_cbranch_execz .LBB2040_434
; %bb.433:                              ;   in Loop: Header=BB2040_388 Depth=2
	s_wait_dscnt 0x0
	v_bcnt_u32_b32 v61, v61, v157
	ds_store_b32 v159, v61 offset:1056
.LBB2040_434:                           ;   in Loop: Header=BB2040_388 Depth=2
	s_or_b32 exec_lo, exec_lo, s15
	v_cmp_lt_i16_e64 vcc_lo, -1, v156
	; wave barrier
	s_delay_alu instid0(VALU_DEP_1) | instskip(NEXT) | instid1(VALU_DEP_1)
	v_cndmask_b32_e64 v61, -1, 0xffff8000, vcc_lo
	v_xor_b32_e32 v156, v61, v156
	s_delay_alu instid0(VALU_DEP_1) | instskip(SKIP_1) | instid1(VALU_DEP_1)
	v_cmp_ne_u16_e64 vcc_lo, 0x7fff, v156
	v_cndmask_b32_e32 v61, 0xffff8000, v156, vcc_lo
	v_and_b32_e32 v61, 0xffff, v61
	s_delay_alu instid0(VALU_DEP_1) | instskip(NEXT) | instid1(VALU_DEP_1)
	v_lshrrev_b32_e32 v61, s48, v61
	v_bitop3_b32 v161, v61, 1, s52 bitop3:0x80
	v_and_b32_e32 v163, s52, v61
	s_delay_alu instid0(VALU_DEP_2) | instskip(NEXT) | instid1(VALU_DEP_1)
	v_add_co_u32 v61, s15, v161, -1
	v_cndmask_b32_e64 v161, 0, 1, s15
	s_delay_alu instid0(VALU_DEP_3) | instskip(NEXT) | instid1(VALU_DEP_2)
	v_dual_lshlrev_b32 v162, 30, v163 :: v_dual_lshlrev_b32 v165, 29, v163
	v_cmp_ne_u32_e32 vcc_lo, 0, v161
	s_delay_alu instid0(VALU_DEP_2) | instskip(SKIP_1) | instid1(VALU_DEP_4)
	v_cmp_gt_i32_e64 s15, 0, v162
	v_not_b32_e32 v161, v162
	v_not_b32_e32 v162, v165
	s_delay_alu instid0(VALU_DEP_1) | instskip(SKIP_3) | instid1(VALU_DEP_4)
	v_dual_ashrrev_i32 v162, 31, v162 :: v_dual_lshlrev_b32 v166, 28, v163
	v_dual_lshlrev_b32 v167, 27, v163 :: v_dual_lshlrev_b32 v169, 26, v163
	v_dual_lshlrev_b32 v170, 25, v163 :: v_dual_lshlrev_b32 v171, 24, v163
	v_cmp_gt_i32_e64 s16, 0, v165
	v_cmp_gt_i32_e64 s17, 0, v166
	v_not_b32_e32 v165, v166
	v_not_b32_e32 v166, v167
	v_ashrrev_i32_e32 v161, 31, v161
	v_cmp_gt_i32_e64 s18, 0, v167
	v_cmp_gt_i32_e64 s19, 0, v169
	v_not_b32_e32 v167, v169
	v_cmp_gt_i32_e64 s20, 0, v170
	v_not_b32_e32 v169, v170
	v_not_b32_e32 v170, v171
	s_delay_alu instid0(VALU_DEP_4) | instskip(SKIP_3) | instid1(VALU_DEP_3)
	v_dual_ashrrev_i32 v167, 31, v167 :: v_dual_bitop2_b32 v61, vcc_lo, v61 bitop3:0x14
	v_dual_ashrrev_i32 v165, 31, v165 :: v_dual_bitop2_b32 v162, s16, v162 bitop3:0x14
	v_dual_ashrrev_i32 v166, 31, v166 :: v_dual_bitop2_b32 v161, s15, v161 bitop3:0x14
	v_cmp_gt_i32_e64 s21, 0, v171
	v_xor_b32_e32 v165, s17, v165
	v_xor_b32_e32 v167, s19, v167
	s_delay_alu instid0(VALU_DEP_4) | instskip(SKIP_2) | instid1(VALU_DEP_2)
	v_xor_b32_e32 v166, s18, v166
	v_bitop3_b32 v61, v61, v161, exec_lo bitop3:0x80
	v_dual_ashrrev_i32 v161, 31, v169 :: v_dual_ashrrev_i32 v169, 31, v170
	v_bitop3_b32 v61, v61, v165, v162 bitop3:0x80
	v_mad_u32_u24 v162, v163, 36, v23
	s_delay_alu instid0(VALU_DEP_3) | instskip(NEXT) | instid1(VALU_DEP_4)
	v_xor_b32_e32 v165, s20, v161
	v_xor_b32_e32 v169, s21, v169
	v_mul_u32_u24_e32 v163, 36, v163
	v_bitop3_b32 v61, v61, v167, v166 bitop3:0x80
	ds_load_b32 v161, v162 offset:1056
	; wave barrier
	v_add_nc_u32_e32 v163, v23, v163
	v_bitop3_b32 v61, v61, v169, v165 bitop3:0x80
	s_delay_alu instid0(VALU_DEP_1) | instskip(SKIP_1) | instid1(VALU_DEP_2)
	v_mbcnt_lo_u32_b32 v162, v61, 0
	v_cmp_ne_u32_e64 s15, 0, v61
	v_cmp_eq_u32_e32 vcc_lo, 0, v162
	s_and_b32 s16, s15, vcc_lo
	s_delay_alu instid0(SALU_CYCLE_1)
	s_and_saveexec_b32 s15, s16
	s_cbranch_execz .LBB2040_436
; %bb.435:                              ;   in Loop: Header=BB2040_388 Depth=2
	s_wait_dscnt 0x0
	v_bcnt_u32_b32 v61, v61, v161
	ds_store_b32 v163, v61 offset:1056
.LBB2040_436:                           ;   in Loop: Header=BB2040_388 Depth=2
	s_or_b32 exec_lo, exec_lo, s15
	v_cmp_lt_i16_e64 vcc_lo, -1, v160
	; wave barrier
	s_delay_alu instid0(VALU_DEP_1) | instskip(NEXT) | instid1(VALU_DEP_1)
	v_cndmask_b32_e64 v61, -1, 0xffff8000, vcc_lo
	v_xor_b32_e32 v160, v61, v160
	s_delay_alu instid0(VALU_DEP_1) | instskip(SKIP_1) | instid1(VALU_DEP_1)
	v_cmp_ne_u16_e64 vcc_lo, 0x7fff, v160
	v_cndmask_b32_e32 v61, 0xffff8000, v160, vcc_lo
	v_and_b32_e32 v61, 0xffff, v61
	s_delay_alu instid0(VALU_DEP_1) | instskip(NEXT) | instid1(VALU_DEP_1)
	v_lshrrev_b32_e32 v61, s48, v61
	v_bitop3_b32 v165, v61, 1, s52 bitop3:0x80
	v_and_b32_e32 v167, s52, v61
	s_delay_alu instid0(VALU_DEP_2) | instskip(NEXT) | instid1(VALU_DEP_1)
	v_add_co_u32 v61, s15, v165, -1
	v_cndmask_b32_e64 v165, 0, 1, s15
	s_delay_alu instid0(VALU_DEP_3) | instskip(NEXT) | instid1(VALU_DEP_2)
	v_dual_lshlrev_b32 v166, 30, v167 :: v_dual_lshlrev_b32 v169, 29, v167
	v_cmp_ne_u32_e32 vcc_lo, 0, v165
	s_delay_alu instid0(VALU_DEP_2) | instskip(SKIP_1) | instid1(VALU_DEP_4)
	v_cmp_gt_i32_e64 s15, 0, v166
	v_not_b32_e32 v165, v166
	v_not_b32_e32 v166, v169
	s_delay_alu instid0(VALU_DEP_1) | instskip(SKIP_3) | instid1(VALU_DEP_4)
	v_dual_ashrrev_i32 v166, 31, v166 :: v_dual_lshlrev_b32 v170, 28, v167
	v_dual_lshlrev_b32 v171, 27, v167 :: v_dual_lshlrev_b32 v172, 26, v167
	v_cmp_gt_i32_e64 s16, 0, v169
	v_dual_lshlrev_b32 v173, 25, v167 :: v_dual_lshlrev_b32 v174, 24, v167
	v_cmp_gt_i32_e64 s17, 0, v170
	v_not_b32_e32 v169, v170
	v_not_b32_e32 v170, v171
	v_ashrrev_i32_e32 v165, 31, v165
	v_cmp_gt_i32_e64 s18, 0, v171
	v_not_b32_e32 v171, v172
	v_xor_b32_e32 v61, vcc_lo, v61
	v_dual_ashrrev_i32 v169, 31, v169 :: v_dual_bitop2_b32 v166, s16, v166 bitop3:0x14
	v_dual_ashrrev_i32 v170, 31, v170 :: v_dual_bitop2_b32 v165, s15, v165 bitop3:0x14
	v_cmp_gt_i32_e64 s19, 0, v172
	v_cmp_gt_i32_e64 s20, 0, v173
	v_not_b32_e32 v172, v173
	v_not_b32_e32 v173, v174
	v_dual_ashrrev_i32 v171, 31, v171 :: v_dual_bitop2_b32 v169, s17, v169 bitop3:0x14
	v_bitop3_b32 v61, v61, v165, exec_lo bitop3:0x80
	v_cmp_gt_i32_e64 s21, 0, v174
	s_delay_alu instid0(VALU_DEP_4)
	v_dual_ashrrev_i32 v165, 31, v172 :: v_dual_ashrrev_i32 v172, 31, v173
	v_xor_b32_e32 v170, s18, v170
	v_xor_b32_e32 v171, s19, v171
	v_bitop3_b32 v61, v61, v169, v166 bitop3:0x80
	v_mad_u32_u24 v166, v167, 36, v23
	v_xor_b32_e32 v169, s20, v165
	v_xor_b32_e32 v172, s21, v172
	v_mul_u32_u24_e32 v167, 36, v167
	v_bitop3_b32 v61, v61, v171, v170 bitop3:0x80
	ds_load_b32 v165, v166 offset:1056
	; wave barrier
	v_add_nc_u32_e32 v167, v23, v167
	v_bitop3_b32 v61, v61, v172, v169 bitop3:0x80
	s_delay_alu instid0(VALU_DEP_1) | instskip(SKIP_1) | instid1(VALU_DEP_2)
	v_mbcnt_lo_u32_b32 v166, v61, 0
	v_cmp_ne_u32_e64 s15, 0, v61
	v_cmp_eq_u32_e32 vcc_lo, 0, v166
	s_and_b32 s16, s15, vcc_lo
	s_delay_alu instid0(SALU_CYCLE_1)
	s_and_saveexec_b32 s15, s16
	s_cbranch_execz .LBB2040_438
; %bb.437:                              ;   in Loop: Header=BB2040_388 Depth=2
	s_wait_dscnt 0x0
	v_bcnt_u32_b32 v61, v61, v165
	ds_store_b32 v167, v61 offset:1056
.LBB2040_438:                           ;   in Loop: Header=BB2040_388 Depth=2
	s_or_b32 exec_lo, exec_lo, s15
	v_cmp_lt_i16_e64 vcc_lo, -1, v164
	; wave barrier
	s_delay_alu instid0(VALU_DEP_1) | instskip(NEXT) | instid1(VALU_DEP_1)
	v_cndmask_b32_e64 v61, -1, 0xffff8000, vcc_lo
	v_xor_b32_e32 v164, v61, v164
	s_delay_alu instid0(VALU_DEP_1) | instskip(SKIP_1) | instid1(VALU_DEP_1)
	v_cmp_ne_u16_e64 vcc_lo, 0x7fff, v164
	v_cndmask_b32_e32 v61, 0xffff8000, v164, vcc_lo
	v_and_b32_e32 v61, 0xffff, v61
	s_delay_alu instid0(VALU_DEP_1) | instskip(NEXT) | instid1(VALU_DEP_1)
	v_lshrrev_b32_e32 v61, s48, v61
	v_bitop3_b32 v169, v61, 1, s52 bitop3:0x80
	v_and_b32_e32 v171, s52, v61
	s_delay_alu instid0(VALU_DEP_2) | instskip(NEXT) | instid1(VALU_DEP_1)
	v_add_co_u32 v61, s15, v169, -1
	v_cndmask_b32_e64 v169, 0, 1, s15
	s_delay_alu instid0(VALU_DEP_3) | instskip(NEXT) | instid1(VALU_DEP_2)
	v_dual_lshlrev_b32 v170, 30, v171 :: v_dual_lshlrev_b32 v172, 29, v171
	v_cmp_ne_u32_e32 vcc_lo, 0, v169
	s_delay_alu instid0(VALU_DEP_2) | instskip(SKIP_1) | instid1(VALU_DEP_4)
	v_cmp_gt_i32_e64 s15, 0, v170
	v_not_b32_e32 v169, v170
	v_not_b32_e32 v170, v172
	s_delay_alu instid0(VALU_DEP_1) | instskip(SKIP_3) | instid1(VALU_DEP_4)
	v_dual_ashrrev_i32 v170, 31, v170 :: v_dual_lshlrev_b32 v173, 28, v171
	v_dual_lshlrev_b32 v174, 27, v171 :: v_dual_lshlrev_b32 v175, 26, v171
	v_dual_lshlrev_b32 v176, 25, v171 :: v_dual_lshlrev_b32 v177, 24, v171
	v_cmp_gt_i32_e64 s16, 0, v172
	v_not_b32_e32 v172, v173
	v_ashrrev_i32_e32 v169, 31, v169
	v_cmp_gt_i32_e64 s17, 0, v173
	v_cmp_gt_i32_e64 s18, 0, v174
	v_not_b32_e32 v173, v174
	v_cmp_gt_i32_e64 s19, 0, v175
	v_not_b32_e32 v174, v175
	;; [unrolled: 2-line block ×3, first 2 shown]
	v_not_b32_e32 v176, v177
	s_delay_alu instid0(VALU_DEP_4) | instskip(SKIP_3) | instid1(VALU_DEP_3)
	v_dual_ashrrev_i32 v174, 31, v174 :: v_dual_bitop2_b32 v61, vcc_lo, v61 bitop3:0x14
	v_dual_ashrrev_i32 v172, 31, v172 :: v_dual_bitop2_b32 v169, s15, v169 bitop3:0x14
	v_dual_ashrrev_i32 v173, 31, v173 :: v_dual_bitop2_b32 v170, s16, v170 bitop3:0x14
	v_cmp_gt_i32_e64 s21, 0, v177
	v_xor_b32_e32 v172, s17, v172
	s_delay_alu instid0(VALU_DEP_4) | instskip(SKIP_2) | instid1(VALU_DEP_3)
	v_bitop3_b32 v61, v61, v169, exec_lo bitop3:0x80
	v_dual_ashrrev_i32 v169, 31, v175 :: v_dual_ashrrev_i32 v175, 31, v176
	v_xor_b32_e32 v174, s19, v174
	v_bitop3_b32 v61, v61, v172, v170 bitop3:0x80
	v_mad_u32_u24 v170, v171, 36, v23
	v_mul_u32_u24_e32 v171, 36, v171
	v_xor_b32_e32 v173, s18, v173
	v_xor_b32_e32 v172, s20, v169
	;; [unrolled: 1-line block ×3, first 2 shown]
	ds_load_b32 v169, v170 offset:1056
	v_add_nc_u32_e32 v171, v23, v171
	v_bitop3_b32 v61, v61, v174, v173 bitop3:0x80
	; wave barrier
	s_delay_alu instid0(VALU_DEP_1) | instskip(NEXT) | instid1(VALU_DEP_1)
	v_bitop3_b32 v61, v61, v175, v172 bitop3:0x80
	v_mbcnt_lo_u32_b32 v170, v61, 0
	v_cmp_ne_u32_e64 s15, 0, v61
	s_delay_alu instid0(VALU_DEP_2) | instskip(SKIP_1) | instid1(SALU_CYCLE_1)
	v_cmp_eq_u32_e32 vcc_lo, 0, v170
	s_and_b32 s16, s15, vcc_lo
	s_and_saveexec_b32 s15, s16
	s_cbranch_execz .LBB2040_440
; %bb.439:                              ;   in Loop: Header=BB2040_388 Depth=2
	s_wait_dscnt 0x0
	v_bcnt_u32_b32 v61, v61, v169
	ds_store_b32 v171, v61 offset:1056
.LBB2040_440:                           ;   in Loop: Header=BB2040_388 Depth=2
	s_or_b32 exec_lo, exec_lo, s15
	v_cmp_lt_i16_e64 vcc_lo, -1, v168
	; wave barrier
	s_delay_alu instid0(VALU_DEP_1) | instskip(NEXT) | instid1(VALU_DEP_1)
	v_cndmask_b32_e64 v61, -1, 0xffff8000, vcc_lo
	v_xor_b32_e32 v168, v61, v168
	s_delay_alu instid0(VALU_DEP_1) | instskip(SKIP_1) | instid1(VALU_DEP_1)
	v_cmp_ne_u16_e64 vcc_lo, 0x7fff, v168
	v_cndmask_b32_e32 v61, 0xffff8000, v168, vcc_lo
	v_and_b32_e32 v61, 0xffff, v61
	s_delay_alu instid0(VALU_DEP_1) | instskip(NEXT) | instid1(VALU_DEP_1)
	v_lshrrev_b32_e32 v61, s48, v61
	v_bitop3_b32 v172, v61, 1, s52 bitop3:0x80
	v_and_b32_e32 v175, s52, v61
	s_delay_alu instid0(VALU_DEP_2) | instskip(NEXT) | instid1(VALU_DEP_1)
	v_add_co_u32 v61, s15, v172, -1
	v_cndmask_b32_e64 v172, 0, 1, s15
	s_delay_alu instid0(VALU_DEP_3) | instskip(NEXT) | instid1(VALU_DEP_2)
	v_lshlrev_b32_e32 v173, 30, v175
	v_cmp_ne_u32_e32 vcc_lo, 0, v172
	s_delay_alu instid0(VALU_DEP_2) | instskip(NEXT) | instid1(VALU_DEP_1)
	v_not_b32_e32 v172, v173
	v_dual_ashrrev_i32 v172, 31, v172 :: v_dual_lshlrev_b32 v174, 29, v175
	v_dual_lshlrev_b32 v176, 28, v175 :: v_dual_lshlrev_b32 v177, 27, v175
	v_lshlrev_b32_e32 v178, 26, v175
	v_cmp_gt_i32_e64 s15, 0, v173
	s_delay_alu instid0(VALU_DEP_4)
	v_cmp_gt_i32_e64 s16, 0, v174
	v_not_b32_e32 v173, v174
	v_not_b32_e32 v174, v176
	v_dual_lshlrev_b32 v179, 25, v175 :: v_dual_lshlrev_b32 v180, 24, v175
	v_cmp_gt_i32_e64 s17, 0, v176
	v_cmp_gt_i32_e64 s18, 0, v177
	v_not_b32_e32 v176, v177
	v_not_b32_e32 v177, v178
	v_dual_ashrrev_i32 v174, 31, v174 :: v_dual_bitop2_b32 v61, vcc_lo, v61 bitop3:0x14
	v_dual_ashrrev_i32 v173, 31, v173 :: v_dual_bitop2_b32 v172, s15, v172 bitop3:0x14
	v_cmp_gt_i32_e64 s19, 0, v178
	v_cmp_gt_i32_e64 s20, 0, v179
	v_not_b32_e32 v178, v179
	v_not_b32_e32 v179, v180
	v_dual_ashrrev_i32 v176, 31, v176 :: v_dual_ashrrev_i32 v177, 31, v177
	v_xor_b32_e32 v173, s16, v173
	v_xor_b32_e32 v174, s17, v174
	v_bitop3_b32 v61, v61, v172, exec_lo bitop3:0x80
	v_cmp_gt_i32_e64 s21, 0, v180
	v_dual_ashrrev_i32 v172, 31, v178 :: v_dual_ashrrev_i32 v178, 31, v179
	v_xor_b32_e32 v176, s18, v176
	v_xor_b32_e32 v177, s19, v177
	v_bitop3_b32 v61, v61, v174, v173 bitop3:0x80
	v_mad_u32_u24 v173, v175, 36, v23
	v_xor_b32_e32 v172, s20, v172
	v_xor_b32_e32 v174, s21, v178
	s_delay_alu instid0(VALU_DEP_4) | instskip(SKIP_3) | instid1(VALU_DEP_2)
	v_bitop3_b32 v61, v61, v177, v176 bitop3:0x80
	ds_load_b32 v173, v173 offset:1056
	; wave barrier
	v_bitop3_b32 v61, v61, v174, v172 bitop3:0x80
	v_mul_u32_u24_e32 v172, 36, v175
	v_mbcnt_lo_u32_b32 v174, v61, 0
	v_cmp_ne_u32_e64 s15, 0, v61
	s_delay_alu instid0(VALU_DEP_3) | instskip(NEXT) | instid1(VALU_DEP_3)
	v_add_nc_u32_e32 v175, v23, v172
	v_cmp_eq_u32_e32 vcc_lo, 0, v174
	s_and_b32 s16, s15, vcc_lo
	s_delay_alu instid0(SALU_CYCLE_1)
	s_and_saveexec_b32 s15, s16
	s_cbranch_execz .LBB2040_442
; %bb.441:                              ;   in Loop: Header=BB2040_388 Depth=2
	s_wait_dscnt 0x0
	v_bcnt_u32_b32 v61, v61, v173
	ds_store_b32 v175, v61 offset:1056
.LBB2040_442:                           ;   in Loop: Header=BB2040_388 Depth=2
	s_or_b32 exec_lo, exec_lo, s15
	v_cmp_lt_i16_e32 vcc_lo, -1, v67
	; wave barrier
	v_cndmask_b32_e64 v61, -1, 0xffff8000, vcc_lo
	s_delay_alu instid0(VALU_DEP_1) | instskip(NEXT) | instid1(VALU_DEP_1)
	v_xor_b32_e32 v172, v61, v67
	v_cmp_ne_u16_e64 vcc_lo, 0x7fff, v172
	v_cndmask_b32_e32 v61, 0xffff8000, v172, vcc_lo
	s_delay_alu instid0(VALU_DEP_1) | instskip(NEXT) | instid1(VALU_DEP_1)
	v_and_b32_e32 v61, 0xffff, v61
	v_lshrrev_b32_e32 v61, s48, v61
	s_delay_alu instid0(VALU_DEP_1) | instskip(SKIP_1) | instid1(VALU_DEP_2)
	v_bitop3_b32 v67, v61, 1, s52 bitop3:0x80
	v_and_b32_e32 v176, s52, v61
	v_add_co_u32 v61, s15, v67, -1
	s_delay_alu instid0(VALU_DEP_1) | instskip(NEXT) | instid1(VALU_DEP_3)
	v_cndmask_b32_e64 v67, 0, 1, s15
	v_lshlrev_b32_e32 v177, 30, v176
	s_delay_alu instid0(VALU_DEP_2) | instskip(NEXT) | instid1(VALU_DEP_2)
	v_cmp_ne_u32_e32 vcc_lo, 0, v67
	v_not_b32_e32 v67, v177
	s_delay_alu instid0(VALU_DEP_1) | instskip(SKIP_4) | instid1(VALU_DEP_4)
	v_dual_ashrrev_i32 v67, 31, v67 :: v_dual_bitop2_b32 v61, vcc_lo, v61 bitop3:0x14
	v_dual_lshlrev_b32 v178, 29, v176 :: v_dual_lshlrev_b32 v179, 28, v176
	v_dual_lshlrev_b32 v180, 27, v176 :: v_dual_lshlrev_b32 v181, 26, v176
	v_lshlrev_b32_e32 v182, 25, v176
	v_cmp_gt_i32_e64 s15, 0, v177
	v_cmp_gt_i32_e64 s16, 0, v178
	v_not_b32_e32 v177, v178
	v_not_b32_e32 v178, v179
	v_lshlrev_b32_e32 v183, 24, v176
	v_cmp_gt_i32_e64 s17, 0, v179
	v_cmp_gt_i32_e64 s18, 0, v180
	v_not_b32_e32 v179, v180
	v_not_b32_e32 v180, v181
	v_dual_ashrrev_i32 v177, 31, v177 :: v_dual_bitop2_b32 v67, s15, v67 bitop3:0x14
	v_ashrrev_i32_e32 v178, 31, v178
	v_cmp_gt_i32_e64 s19, 0, v181
	v_cmp_gt_i32_e64 s20, 0, v182
	v_not_b32_e32 v181, v182
	v_not_b32_e32 v182, v183
	v_dual_ashrrev_i32 v179, 31, v179 :: v_dual_ashrrev_i32 v180, 31, v180
	v_xor_b32_e32 v177, s16, v177
	v_xor_b32_e32 v178, s17, v178
	v_bitop3_b32 v61, v61, v67, exec_lo bitop3:0x80
	v_cmp_gt_i32_e64 s21, 0, v183
	v_dual_ashrrev_i32 v67, 31, v181 :: v_dual_ashrrev_i32 v181, 31, v182
	v_xor_b32_e32 v179, s18, v179
	v_xor_b32_e32 v180, s19, v180
	v_bitop3_b32 v61, v61, v178, v177 bitop3:0x80
	v_mad_u32_u24 v177, v176, 36, v23
	v_xor_b32_e32 v67, s20, v67
	v_xor_b32_e32 v178, s21, v181
	s_delay_alu instid0(VALU_DEP_4) | instskip(SKIP_3) | instid1(VALU_DEP_2)
	v_bitop3_b32 v61, v61, v180, v179 bitop3:0x80
	ds_load_b32 v177, v177 offset:1056
	; wave barrier
	v_bitop3_b32 v61, v61, v178, v67 bitop3:0x80
	v_mul_u32_u24_e32 v67, 36, v176
	v_mbcnt_lo_u32_b32 v178, v61, 0
	v_cmp_ne_u32_e64 s15, 0, v61
	s_delay_alu instid0(VALU_DEP_3) | instskip(NEXT) | instid1(VALU_DEP_3)
	v_add_nc_u32_e32 v179, v23, v67
	v_cmp_eq_u32_e32 vcc_lo, 0, v178
	s_and_b32 s16, s15, vcc_lo
	s_delay_alu instid0(SALU_CYCLE_1)
	s_and_saveexec_b32 s15, s16
	s_cbranch_execz .LBB2040_444
; %bb.443:                              ;   in Loop: Header=BB2040_388 Depth=2
	s_wait_dscnt 0x0
	v_bcnt_u32_b32 v61, v61, v177
	ds_store_b32 v179, v61 offset:1056
.LBB2040_444:                           ;   in Loop: Header=BB2040_388 Depth=2
	s_or_b32 exec_lo, exec_lo, s15
	v_cmp_lt_i16_e32 vcc_lo, -1, v66
	; wave barrier
	v_cndmask_b32_e64 v61, -1, 0xffff8000, vcc_lo
	s_delay_alu instid0(VALU_DEP_1) | instskip(NEXT) | instid1(VALU_DEP_1)
	v_xor_b32_e32 v176, v61, v66
	v_cmp_ne_u16_e64 vcc_lo, 0x7fff, v176
	v_cndmask_b32_e32 v61, 0xffff8000, v176, vcc_lo
	s_delay_alu instid0(VALU_DEP_1) | instskip(NEXT) | instid1(VALU_DEP_1)
	v_and_b32_e32 v61, 0xffff, v61
	v_lshrrev_b32_e32 v61, s48, v61
	s_delay_alu instid0(VALU_DEP_1) | instskip(SKIP_1) | instid1(VALU_DEP_2)
	v_bitop3_b32 v66, v61, 1, s52 bitop3:0x80
	v_and_b32_e32 v67, s52, v61
	v_add_co_u32 v61, s15, v66, -1
	s_delay_alu instid0(VALU_DEP_1) | instskip(NEXT) | instid1(VALU_DEP_3)
	v_cndmask_b32_e64 v66, 0, 1, s15
	v_lshlrev_b32_e32 v180, 30, v67
	s_delay_alu instid0(VALU_DEP_2) | instskip(NEXT) | instid1(VALU_DEP_2)
	v_cmp_ne_u32_e32 vcc_lo, 0, v66
	v_not_b32_e32 v66, v180
	v_cmp_gt_i32_e64 s15, 0, v180
	s_delay_alu instid0(VALU_DEP_2) | instskip(SKIP_3) | instid1(VALU_DEP_4)
	v_dual_ashrrev_i32 v66, 31, v66 :: v_dual_lshlrev_b32 v181, 29, v67
	v_dual_lshlrev_b32 v182, 28, v67 :: v_dual_lshlrev_b32 v183, 27, v67
	v_dual_lshlrev_b32 v184, 26, v67 :: v_dual_lshlrev_b32 v185, 25, v67
	v_lshlrev_b32_e32 v186, 24, v67
	v_cmp_gt_i32_e64 s16, 0, v181
	v_not_b32_e32 v180, v181
	v_not_b32_e32 v181, v182
	v_cmp_gt_i32_e64 s17, 0, v182
	v_cmp_gt_i32_e64 s18, 0, v183
	v_not_b32_e32 v182, v183
	v_not_b32_e32 v183, v184
	v_dual_ashrrev_i32 v180, 31, v180 :: v_dual_bitop2_b32 v61, vcc_lo, v61 bitop3:0x14
	v_dual_ashrrev_i32 v181, 31, v181 :: v_dual_bitop2_b32 v66, s15, v66 bitop3:0x14
	v_cmp_gt_i32_e64 s19, 0, v184
	v_cmp_gt_i32_e64 s20, 0, v185
	v_not_b32_e32 v184, v185
	v_not_b32_e32 v185, v186
	v_dual_ashrrev_i32 v182, 31, v182 :: v_dual_ashrrev_i32 v183, 31, v183
	v_xor_b32_e32 v180, s16, v180
	v_xor_b32_e32 v181, s17, v181
	v_bitop3_b32 v61, v61, v66, exec_lo bitop3:0x80
	v_cmp_gt_i32_e64 s21, 0, v186
	v_dual_ashrrev_i32 v66, 31, v184 :: v_dual_ashrrev_i32 v184, 31, v185
	v_xor_b32_e32 v182, s18, v182
	v_xor_b32_e32 v183, s19, v183
	v_bitop3_b32 v61, v61, v181, v180 bitop3:0x80
	v_mad_u32_u24 v180, v67, 36, v23
	v_xor_b32_e32 v66, s20, v66
	v_xor_b32_e32 v184, s21, v184
	s_delay_alu instid0(VALU_DEP_4) | instskip(SKIP_3) | instid1(VALU_DEP_2)
	v_bitop3_b32 v61, v61, v183, v182 bitop3:0x80
	ds_load_b32 v181, v180 offset:1056
	; wave barrier
	v_bitop3_b32 v61, v61, v184, v66 bitop3:0x80
	v_mul_u32_u24_e32 v66, 36, v67
	v_mbcnt_lo_u32_b32 v182, v61, 0
	v_cmp_ne_u32_e64 s15, 0, v61
	s_delay_alu instid0(VALU_DEP_3) | instskip(NEXT) | instid1(VALU_DEP_3)
	v_add_nc_u32_e32 v183, v23, v66
	v_cmp_eq_u32_e32 vcc_lo, 0, v182
	s_and_b32 s16, s15, vcc_lo
	s_delay_alu instid0(SALU_CYCLE_1)
	s_and_saveexec_b32 s15, s16
	s_cbranch_execz .LBB2040_446
; %bb.445:                              ;   in Loop: Header=BB2040_388 Depth=2
	s_wait_dscnt 0x0
	v_bcnt_u32_b32 v61, v61, v181
	ds_store_b32 v183, v61 offset:1056
.LBB2040_446:                           ;   in Loop: Header=BB2040_388 Depth=2
	s_or_b32 exec_lo, exec_lo, s15
	v_cmp_lt_i16_e32 vcc_lo, -1, v65
	; wave barrier
	v_cndmask_b32_e64 v61, -1, 0xffff8000, vcc_lo
	s_delay_alu instid0(VALU_DEP_1) | instskip(NEXT) | instid1(VALU_DEP_1)
	v_xor_b32_e32 v180, v61, v65
	v_cmp_ne_u16_e64 vcc_lo, 0x7fff, v180
	v_cndmask_b32_e32 v61, 0xffff8000, v180, vcc_lo
	s_delay_alu instid0(VALU_DEP_1) | instskip(NEXT) | instid1(VALU_DEP_1)
	v_and_b32_e32 v61, 0xffff, v61
	v_lshrrev_b32_e32 v61, s48, v61
	s_delay_alu instid0(VALU_DEP_1) | instskip(NEXT) | instid1(VALU_DEP_1)
	v_and_b32_e32 v66, s52, v61
	v_lshlrev_b32_e32 v185, 28, v66
	v_bitop3_b32 v65, v61, 1, s52 bitop3:0x80
	v_dual_lshlrev_b32 v67, 30, v66 :: v_dual_lshlrev_b32 v184, 29, v66
	s_delay_alu instid0(VALU_DEP_3) | instskip(NEXT) | instid1(VALU_DEP_3)
	v_cmp_gt_i32_e64 s17, 0, v185
	v_add_co_u32 v61, s15, v65, -1
	s_delay_alu instid0(VALU_DEP_1) | instskip(NEXT) | instid1(VALU_DEP_4)
	v_cndmask_b32_e64 v65, 0, 1, s15
	v_cmp_gt_i32_e64 s15, 0, v67
	v_cmp_gt_i32_e64 s16, 0, v184
	s_delay_alu instid0(VALU_DEP_3) | instskip(SKIP_3) | instid1(VALU_DEP_2)
	v_cmp_ne_u32_e32 vcc_lo, 0, v65
	v_not_b32_e32 v65, v67
	v_not_b32_e32 v67, v184
	;; [unrolled: 1-line block ×3, first 2 shown]
	v_dual_ashrrev_i32 v65, 31, v65 :: v_dual_ashrrev_i32 v67, 31, v67
	v_dual_lshlrev_b32 v186, 27, v66 :: v_dual_lshlrev_b32 v187, 26, v66
	v_dual_lshlrev_b32 v188, 25, v66 :: v_dual_lshlrev_b32 v189, 24, v66
	s_delay_alu instid0(VALU_DEP_4) | instskip(NEXT) | instid1(VALU_DEP_3)
	v_ashrrev_i32_e32 v184, 31, v184
	v_cmp_gt_i32_e64 s18, 0, v186
	v_not_b32_e32 v185, v186
	v_cmp_gt_i32_e64 s19, 0, v187
	v_not_b32_e32 v186, v187
	;; [unrolled: 2-line block ×3, first 2 shown]
	v_not_b32_e32 v188, v189
	s_delay_alu instid0(VALU_DEP_4) | instskip(SKIP_4) | instid1(VALU_DEP_4)
	v_dual_ashrrev_i32 v186, 31, v186 :: v_dual_bitop2_b32 v61, vcc_lo, v61 bitop3:0x14
	v_xor_b32_e32 v65, s15, v65
	v_dual_ashrrev_i32 v185, 31, v185 :: v_dual_bitop2_b32 v67, s16, v67 bitop3:0x14
	v_xor_b32_e32 v184, s17, v184
	v_cmp_gt_i32_e64 s21, 0, v189
	v_bitop3_b32 v61, v61, v65, exec_lo bitop3:0x80
	v_dual_ashrrev_i32 v65, 31, v187 :: v_dual_ashrrev_i32 v187, 31, v188
	v_xor_b32_e32 v185, s18, v185
	v_xor_b32_e32 v186, s19, v186
	s_delay_alu instid0(VALU_DEP_4) | instskip(SKIP_3) | instid1(VALU_DEP_4)
	v_bitop3_b32 v61, v61, v184, v67 bitop3:0x80
	v_mad_u32_u24 v67, v66, 36, v23
	v_xor_b32_e32 v65, s20, v65
	v_xor_b32_e32 v184, s21, v187
	v_bitop3_b32 v61, v61, v186, v185 bitop3:0x80
	ds_load_b32 v185, v67 offset:1056
	; wave barrier
	v_bitop3_b32 v61, v61, v184, v65 bitop3:0x80
	v_mul_u32_u24_e32 v65, 36, v66
	s_delay_alu instid0(VALU_DEP_2) | instskip(SKIP_1) | instid1(VALU_DEP_3)
	v_mbcnt_lo_u32_b32 v186, v61, 0
	v_cmp_ne_u32_e64 s15, 0, v61
	v_add_nc_u32_e32 v187, v23, v65
	s_delay_alu instid0(VALU_DEP_3) | instskip(SKIP_1) | instid1(SALU_CYCLE_1)
	v_cmp_eq_u32_e32 vcc_lo, 0, v186
	s_and_b32 s16, s15, vcc_lo
	s_and_saveexec_b32 s15, s16
	s_cbranch_execz .LBB2040_448
; %bb.447:                              ;   in Loop: Header=BB2040_388 Depth=2
	s_wait_dscnt 0x0
	v_bcnt_u32_b32 v61, v61, v185
	ds_store_b32 v187, v61 offset:1056
.LBB2040_448:                           ;   in Loop: Header=BB2040_388 Depth=2
	s_or_b32 exec_lo, exec_lo, s15
	v_cmp_lt_i16_e32 vcc_lo, -1, v64
	; wave barrier
	v_cndmask_b32_e64 v61, -1, 0xffff8000, vcc_lo
	s_delay_alu instid0(VALU_DEP_1) | instskip(NEXT) | instid1(VALU_DEP_1)
	v_xor_b32_e32 v184, v61, v64
	v_cmp_ne_u16_e64 vcc_lo, 0x7fff, v184
	v_cndmask_b32_e32 v61, 0xffff8000, v184, vcc_lo
	s_delay_alu instid0(VALU_DEP_1) | instskip(NEXT) | instid1(VALU_DEP_1)
	v_and_b32_e32 v61, 0xffff, v61
	v_lshrrev_b32_e32 v61, s48, v61
	s_delay_alu instid0(VALU_DEP_1) | instskip(SKIP_1) | instid1(VALU_DEP_2)
	v_bitop3_b32 v64, v61, 1, s52 bitop3:0x80
	v_and_b32_e32 v65, s52, v61
	v_add_co_u32 v61, s15, v64, -1
	s_delay_alu instid0(VALU_DEP_1) | instskip(NEXT) | instid1(VALU_DEP_3)
	v_cndmask_b32_e64 v64, 0, 1, s15
	v_lshlrev_b32_e32 v66, 30, v65
	s_delay_alu instid0(VALU_DEP_2) | instskip(NEXT) | instid1(VALU_DEP_2)
	v_cmp_ne_u32_e32 vcc_lo, 0, v64
	v_not_b32_e32 v64, v66
	v_cmp_gt_i32_e64 s15, 0, v66
	s_delay_alu instid0(VALU_DEP_2) | instskip(SKIP_3) | instid1(VALU_DEP_4)
	v_dual_ashrrev_i32 v64, 31, v64 :: v_dual_lshlrev_b32 v67, 29, v65
	v_dual_lshlrev_b32 v188, 28, v65 :: v_dual_lshlrev_b32 v189, 27, v65
	v_dual_lshlrev_b32 v190, 26, v65 :: v_dual_lshlrev_b32 v191, 25, v65
	v_lshlrev_b32_e32 v192, 24, v65
	v_cmp_gt_i32_e64 s16, 0, v67
	v_not_b32_e32 v66, v67
	v_not_b32_e32 v67, v188
	v_cmp_gt_i32_e64 s17, 0, v188
	v_cmp_gt_i32_e64 s18, 0, v189
	v_not_b32_e32 v188, v189
	v_not_b32_e32 v189, v190
	v_dual_ashrrev_i32 v66, 31, v66 :: v_dual_bitop2_b32 v61, vcc_lo, v61 bitop3:0x14
	v_dual_ashrrev_i32 v67, 31, v67 :: v_dual_bitop2_b32 v64, s15, v64 bitop3:0x14
	v_cmp_gt_i32_e64 s19, 0, v190
	v_cmp_gt_i32_e64 s20, 0, v191
	v_not_b32_e32 v190, v191
	v_not_b32_e32 v191, v192
	v_dual_ashrrev_i32 v188, 31, v188 :: v_dual_ashrrev_i32 v189, 31, v189
	v_xor_b32_e32 v66, s16, v66
	v_xor_b32_e32 v67, s17, v67
	v_bitop3_b32 v61, v61, v64, exec_lo bitop3:0x80
	v_cmp_gt_i32_e64 s21, 0, v192
	v_dual_ashrrev_i32 v64, 31, v190 :: v_dual_ashrrev_i32 v190, 31, v191
	v_xor_b32_e32 v188, s18, v188
	v_xor_b32_e32 v189, s19, v189
	v_bitop3_b32 v61, v61, v67, v66 bitop3:0x80
	v_mad_u32_u24 v66, v65, 36, v23
	v_xor_b32_e32 v64, s20, v64
	v_xor_b32_e32 v67, s21, v190
	s_delay_alu instid0(VALU_DEP_4) | instskip(SKIP_3) | instid1(VALU_DEP_2)
	v_bitop3_b32 v61, v61, v189, v188 bitop3:0x80
	ds_load_b32 v189, v66 offset:1056
	; wave barrier
	v_bitop3_b32 v61, v61, v67, v64 bitop3:0x80
	v_mul_u32_u24_e32 v64, 36, v65
	v_mbcnt_lo_u32_b32 v190, v61, 0
	v_cmp_ne_u32_e64 s15, 0, v61
	s_delay_alu instid0(VALU_DEP_3) | instskip(NEXT) | instid1(VALU_DEP_3)
	v_add_nc_u32_e32 v191, v23, v64
	v_cmp_eq_u32_e32 vcc_lo, 0, v190
	s_and_b32 s16, s15, vcc_lo
	s_delay_alu instid0(SALU_CYCLE_1)
	s_and_saveexec_b32 s15, s16
	s_cbranch_execz .LBB2040_450
; %bb.449:                              ;   in Loop: Header=BB2040_388 Depth=2
	s_wait_dscnt 0x0
	v_bcnt_u32_b32 v61, v61, v189
	ds_store_b32 v191, v61 offset:1056
.LBB2040_450:                           ;   in Loop: Header=BB2040_388 Depth=2
	s_or_b32 exec_lo, exec_lo, s15
	v_cmp_lt_i16_e32 vcc_lo, -1, v63
	; wave barrier
	v_cndmask_b32_e64 v61, -1, 0xffff8000, vcc_lo
	s_delay_alu instid0(VALU_DEP_1) | instskip(NEXT) | instid1(VALU_DEP_1)
	v_xor_b32_e32 v188, v61, v63
	v_cmp_ne_u16_e64 vcc_lo, 0x7fff, v188
	v_cndmask_b32_e32 v61, 0xffff8000, v188, vcc_lo
	s_delay_alu instid0(VALU_DEP_1) | instskip(NEXT) | instid1(VALU_DEP_1)
	v_and_b32_e32 v61, 0xffff, v61
	v_lshrrev_b32_e32 v61, s48, v61
	s_delay_alu instid0(VALU_DEP_1) | instskip(SKIP_1) | instid1(VALU_DEP_2)
	v_bitop3_b32 v63, v61, 1, s52 bitop3:0x80
	v_and_b32_e32 v64, s52, v61
	v_add_co_u32 v61, s15, v63, -1
	s_delay_alu instid0(VALU_DEP_1) | instskip(NEXT) | instid1(VALU_DEP_3)
	v_cndmask_b32_e64 v63, 0, 1, s15
	v_lshlrev_b32_e32 v65, 30, v64
	s_delay_alu instid0(VALU_DEP_2) | instskip(NEXT) | instid1(VALU_DEP_2)
	v_cmp_ne_u32_e32 vcc_lo, 0, v63
	v_not_b32_e32 v63, v65
	s_delay_alu instid0(VALU_DEP_1) | instskip(SKIP_4) | instid1(VALU_DEP_4)
	v_dual_ashrrev_i32 v63, 31, v63 :: v_dual_bitop2_b32 v61, vcc_lo, v61 bitop3:0x14
	v_dual_lshlrev_b32 v66, 29, v64 :: v_dual_lshlrev_b32 v67, 28, v64
	v_dual_lshlrev_b32 v192, 27, v64 :: v_dual_lshlrev_b32 v193, 26, v64
	v_lshlrev_b32_e32 v194, 25, v64
	v_cmp_gt_i32_e64 s15, 0, v65
	v_cmp_gt_i32_e64 s16, 0, v66
	v_not_b32_e32 v65, v66
	v_not_b32_e32 v66, v67
	v_lshlrev_b32_e32 v195, 24, v64
	v_cmp_gt_i32_e64 s17, 0, v67
	v_cmp_gt_i32_e64 s18, 0, v192
	v_not_b32_e32 v67, v192
	v_not_b32_e32 v192, v193
	v_dual_ashrrev_i32 v65, 31, v65 :: v_dual_bitop2_b32 v63, s15, v63 bitop3:0x14
	v_ashrrev_i32_e32 v66, 31, v66
	v_cmp_gt_i32_e64 s19, 0, v193
	v_cmp_gt_i32_e64 s20, 0, v194
	v_not_b32_e32 v193, v194
	v_not_b32_e32 v194, v195
	v_dual_ashrrev_i32 v67, 31, v67 :: v_dual_ashrrev_i32 v192, 31, v192
	v_xor_b32_e32 v65, s16, v65
	v_xor_b32_e32 v66, s17, v66
	v_bitop3_b32 v61, v61, v63, exec_lo bitop3:0x80
	v_cmp_gt_i32_e64 s21, 0, v195
	v_dual_ashrrev_i32 v63, 31, v193 :: v_dual_ashrrev_i32 v193, 31, v194
	v_xor_b32_e32 v67, s18, v67
	v_xor_b32_e32 v192, s19, v192
	v_bitop3_b32 v61, v61, v66, v65 bitop3:0x80
	v_mad_u32_u24 v65, v64, 36, v23
	v_xor_b32_e32 v63, s20, v63
	v_xor_b32_e32 v66, s21, v193
	s_delay_alu instid0(VALU_DEP_4) | instskip(SKIP_3) | instid1(VALU_DEP_2)
	v_bitop3_b32 v61, v61, v192, v67 bitop3:0x80
	ds_load_b32 v193, v65 offset:1056
	; wave barrier
	v_bitop3_b32 v61, v61, v66, v63 bitop3:0x80
	v_mul_u32_u24_e32 v63, 36, v64
	v_mbcnt_lo_u32_b32 v194, v61, 0
	v_cmp_ne_u32_e64 s15, 0, v61
	s_delay_alu instid0(VALU_DEP_3) | instskip(NEXT) | instid1(VALU_DEP_3)
	v_add_nc_u32_e32 v195, v23, v63
	v_cmp_eq_u32_e32 vcc_lo, 0, v194
	s_and_b32 s16, s15, vcc_lo
	s_delay_alu instid0(SALU_CYCLE_1)
	s_and_saveexec_b32 s15, s16
	s_cbranch_execz .LBB2040_452
; %bb.451:                              ;   in Loop: Header=BB2040_388 Depth=2
	s_wait_dscnt 0x0
	v_bcnt_u32_b32 v61, v61, v193
	ds_store_b32 v195, v61 offset:1056
.LBB2040_452:                           ;   in Loop: Header=BB2040_388 Depth=2
	s_or_b32 exec_lo, exec_lo, s15
	v_cmp_lt_i16_e32 vcc_lo, -1, v62
	; wave barrier
	v_cndmask_b32_e64 v61, -1, 0xffff8000, vcc_lo
	s_delay_alu instid0(VALU_DEP_1) | instskip(NEXT) | instid1(VALU_DEP_1)
	v_xor_b32_e32 v192, v61, v62
	v_cmp_ne_u16_e64 vcc_lo, 0x7fff, v192
	v_cndmask_b32_e32 v61, 0xffff8000, v192, vcc_lo
	s_delay_alu instid0(VALU_DEP_1) | instskip(NEXT) | instid1(VALU_DEP_1)
	v_and_b32_e32 v61, 0xffff, v61
	v_lshrrev_b32_e32 v61, s48, v61
	s_delay_alu instid0(VALU_DEP_1) | instskip(SKIP_1) | instid1(VALU_DEP_2)
	v_bitop3_b32 v62, v61, 1, s52 bitop3:0x80
	v_and_b32_e32 v63, s52, v61
	v_add_co_u32 v61, s15, v62, -1
	s_delay_alu instid0(VALU_DEP_1) | instskip(NEXT) | instid1(VALU_DEP_3)
	v_cndmask_b32_e64 v62, 0, 1, s15
	v_lshlrev_b32_e32 v64, 30, v63
	s_delay_alu instid0(VALU_DEP_2) | instskip(NEXT) | instid1(VALU_DEP_2)
	v_cmp_ne_u32_e32 vcc_lo, 0, v62
	v_not_b32_e32 v62, v64
	v_cmp_gt_i32_e64 s15, 0, v64
	s_delay_alu instid0(VALU_DEP_2) | instskip(SKIP_3) | instid1(VALU_DEP_4)
	v_dual_ashrrev_i32 v62, 31, v62 :: v_dual_lshlrev_b32 v65, 29, v63
	v_dual_lshlrev_b32 v66, 28, v63 :: v_dual_lshlrev_b32 v67, 27, v63
	v_dual_lshlrev_b32 v196, 26, v63 :: v_dual_lshlrev_b32 v197, 25, v63
	v_lshlrev_b32_e32 v198, 24, v63
	v_cmp_gt_i32_e64 s16, 0, v65
	v_not_b32_e32 v64, v65
	v_not_b32_e32 v65, v66
	v_cmp_gt_i32_e64 s17, 0, v66
	v_cmp_gt_i32_e64 s18, 0, v67
	v_not_b32_e32 v66, v67
	v_not_b32_e32 v67, v196
	v_dual_ashrrev_i32 v64, 31, v64 :: v_dual_bitop2_b32 v61, vcc_lo, v61 bitop3:0x14
	v_dual_ashrrev_i32 v65, 31, v65 :: v_dual_bitop2_b32 v62, s15, v62 bitop3:0x14
	v_cmp_gt_i32_e64 s19, 0, v196
	v_cmp_gt_i32_e64 s20, 0, v197
	v_not_b32_e32 v196, v197
	v_not_b32_e32 v197, v198
	v_dual_ashrrev_i32 v66, 31, v66 :: v_dual_ashrrev_i32 v67, 31, v67
	v_xor_b32_e32 v64, s16, v64
	v_xor_b32_e32 v65, s17, v65
	v_bitop3_b32 v61, v61, v62, exec_lo bitop3:0x80
	v_cmp_gt_i32_e64 s21, 0, v198
	v_dual_ashrrev_i32 v62, 31, v196 :: v_dual_ashrrev_i32 v196, 31, v197
	v_xor_b32_e32 v66, s18, v66
	v_xor_b32_e32 v67, s19, v67
	v_bitop3_b32 v61, v61, v65, v64 bitop3:0x80
	v_mad_u32_u24 v64, v63, 36, v23
	v_xor_b32_e32 v62, s20, v62
	v_xor_b32_e32 v65, s21, v196
	s_delay_alu instid0(VALU_DEP_4) | instskip(SKIP_3) | instid1(VALU_DEP_2)
	v_bitop3_b32 v61, v61, v67, v66 bitop3:0x80
	ds_load_b32 v197, v64 offset:1056
	; wave barrier
	v_bitop3_b32 v61, v61, v65, v62 bitop3:0x80
	v_mul_u32_u24_e32 v62, 36, v63
	v_mbcnt_lo_u32_b32 v198, v61, 0
	v_cmp_ne_u32_e64 s15, 0, v61
	s_delay_alu instid0(VALU_DEP_3) | instskip(NEXT) | instid1(VALU_DEP_3)
	v_add_nc_u32_e32 v199, v23, v62
	v_cmp_eq_u32_e32 vcc_lo, 0, v198
	s_and_b32 s16, s15, vcc_lo
	s_delay_alu instid0(SALU_CYCLE_1)
	s_and_saveexec_b32 s15, s16
	s_cbranch_execz .LBB2040_454
; %bb.453:                              ;   in Loop: Header=BB2040_388 Depth=2
	s_wait_dscnt 0x0
	v_bcnt_u32_b32 v61, v61, v197
	ds_store_b32 v199, v61 offset:1056
.LBB2040_454:                           ;   in Loop: Header=BB2040_388 Depth=2
	s_or_b32 exec_lo, exec_lo, s15
	v_cmp_lt_i16_e32 vcc_lo, -1, v60
	; wave barrier
	v_cndmask_b32_e64 v61, -1, 0xffff8000, vcc_lo
	s_delay_alu instid0(VALU_DEP_1) | instskip(NEXT) | instid1(VALU_DEP_1)
	v_xor_b32_e32 v196, v61, v60
	v_cmp_ne_u16_e64 vcc_lo, 0x7fff, v196
	v_cndmask_b32_e32 v60, 0xffff8000, v196, vcc_lo
	s_delay_alu instid0(VALU_DEP_1) | instskip(NEXT) | instid1(VALU_DEP_1)
	v_and_b32_e32 v60, 0xffff, v60
	v_lshrrev_b32_e32 v60, s48, v60
	s_delay_alu instid0(VALU_DEP_1) | instskip(SKIP_1) | instid1(VALU_DEP_2)
	v_bitop3_b32 v61, v60, 1, s52 bitop3:0x80
	v_and_b32_e32 v62, s52, v60
	v_add_co_u32 v60, s15, v61, -1
	s_delay_alu instid0(VALU_DEP_1) | instskip(NEXT) | instid1(VALU_DEP_3)
	v_cndmask_b32_e64 v61, 0, 1, s15
	v_lshlrev_b32_e32 v63, 30, v62
	s_delay_alu instid0(VALU_DEP_2) | instskip(NEXT) | instid1(VALU_DEP_2)
	v_cmp_ne_u32_e32 vcc_lo, 0, v61
	v_not_b32_e32 v61, v63
	v_cmp_gt_i32_e64 s15, 0, v63
	s_delay_alu instid0(VALU_DEP_2) | instskip(SKIP_3) | instid1(VALU_DEP_4)
	v_dual_ashrrev_i32 v61, 31, v61 :: v_dual_lshlrev_b32 v64, 29, v62
	v_dual_lshlrev_b32 v65, 28, v62 :: v_dual_lshlrev_b32 v66, 27, v62
	v_dual_lshlrev_b32 v67, 26, v62 :: v_dual_lshlrev_b32 v200, 25, v62
	v_lshlrev_b32_e32 v201, 24, v62
	v_cmp_gt_i32_e64 s16, 0, v64
	v_not_b32_e32 v63, v64
	v_not_b32_e32 v64, v65
	v_cmp_gt_i32_e64 s17, 0, v65
	v_cmp_gt_i32_e64 s18, 0, v66
	v_not_b32_e32 v65, v66
	v_not_b32_e32 v66, v67
	v_dual_ashrrev_i32 v63, 31, v63 :: v_dual_bitop2_b32 v60, vcc_lo, v60 bitop3:0x14
	v_dual_ashrrev_i32 v64, 31, v64 :: v_dual_bitop2_b32 v61, s15, v61 bitop3:0x14
	v_cmp_gt_i32_e64 s19, 0, v67
	v_cmp_gt_i32_e64 s20, 0, v200
	v_not_b32_e32 v67, v200
	v_not_b32_e32 v200, v201
	v_dual_ashrrev_i32 v65, 31, v65 :: v_dual_ashrrev_i32 v66, 31, v66
	v_xor_b32_e32 v63, s16, v63
	v_xor_b32_e32 v64, s17, v64
	v_bitop3_b32 v60, v60, v61, exec_lo bitop3:0x80
	v_cmp_gt_i32_e64 s21, 0, v201
	v_dual_ashrrev_i32 v61, 31, v67 :: v_dual_ashrrev_i32 v67, 31, v200
	v_xor_b32_e32 v65, s18, v65
	v_xor_b32_e32 v66, s19, v66
	v_bitop3_b32 v60, v60, v64, v63 bitop3:0x80
	v_mad_u32_u24 v63, v62, 36, v23
	v_xor_b32_e32 v61, s20, v61
	v_xor_b32_e32 v64, s21, v67
	s_delay_alu instid0(VALU_DEP_4) | instskip(SKIP_3) | instid1(VALU_DEP_2)
	v_bitop3_b32 v60, v60, v66, v65 bitop3:0x80
	ds_load_b32 v200, v63 offset:1056
	; wave barrier
	v_bitop3_b32 v60, v60, v64, v61 bitop3:0x80
	v_mul_u32_u24_e32 v61, 36, v62
	v_mbcnt_lo_u32_b32 v201, v60, 0
	v_cmp_ne_u32_e64 s15, 0, v60
	s_delay_alu instid0(VALU_DEP_3) | instskip(NEXT) | instid1(VALU_DEP_3)
	v_add_nc_u32_e32 v202, v23, v61
	v_cmp_eq_u32_e32 vcc_lo, 0, v201
	s_and_b32 s16, s15, vcc_lo
	s_delay_alu instid0(SALU_CYCLE_1)
	s_and_saveexec_b32 s15, s16
	s_cbranch_execz .LBB2040_456
; %bb.455:                              ;   in Loop: Header=BB2040_388 Depth=2
	s_wait_dscnt 0x0
	v_bcnt_u32_b32 v60, v60, v200
	ds_store_b32 v202, v60 offset:1056
.LBB2040_456:                           ;   in Loop: Header=BB2040_388 Depth=2
	s_or_b32 exec_lo, exec_lo, s15
	; wave barrier
	s_wait_dscnt 0x0
	s_barrier_signal -1
	s_barrier_wait -1
	ds_load_2addr_b32 v[66:67], v118 offset1:1
	ds_load_2addr_b32 v[64:65], v119 offset1:1
	;; [unrolled: 1-line block ×4, first 2 shown]
	ds_load_b32 v203, v91 offset:1088
	s_wait_dscnt 0x3
	v_add3_u32 v204, v67, v66, v64
	s_wait_dscnt 0x2
	s_delay_alu instid0(VALU_DEP_1) | instskip(SKIP_1) | instid1(VALU_DEP_1)
	v_add3_u32 v204, v204, v65, v62
	s_wait_dscnt 0x1
	v_add3_u32 v204, v204, v63, v60
	s_wait_dscnt 0x0
	s_delay_alu instid0(VALU_DEP_1) | instskip(NEXT) | instid1(VALU_DEP_1)
	v_add3_u32 v203, v204, v61, v203
	v_mov_b32_dpp v204, v203 row_shr:1 row_mask:0xf bank_mask:0xf
	s_delay_alu instid0(VALU_DEP_1) | instskip(NEXT) | instid1(VALU_DEP_1)
	v_cndmask_b32_e64 v204, v204, 0, s7
	v_add_nc_u32_e32 v203, v204, v203
	s_delay_alu instid0(VALU_DEP_1) | instskip(NEXT) | instid1(VALU_DEP_1)
	v_mov_b32_dpp v204, v203 row_shr:2 row_mask:0xf bank_mask:0xf
	v_cndmask_b32_e64 v204, 0, v204, s8
	s_delay_alu instid0(VALU_DEP_1) | instskip(NEXT) | instid1(VALU_DEP_1)
	v_add_nc_u32_e32 v203, v203, v204
	v_mov_b32_dpp v204, v203 row_shr:4 row_mask:0xf bank_mask:0xf
	s_delay_alu instid0(VALU_DEP_1) | instskip(NEXT) | instid1(VALU_DEP_1)
	v_cndmask_b32_e64 v204, 0, v204, s9
	v_add_nc_u32_e32 v203, v203, v204
	s_delay_alu instid0(VALU_DEP_1) | instskip(NEXT) | instid1(VALU_DEP_1)
	v_mov_b32_dpp v204, v203 row_shr:8 row_mask:0xf bank_mask:0xf
	v_cndmask_b32_e64 v204, 0, v204, s10
	s_delay_alu instid0(VALU_DEP_1) | instskip(SKIP_3) | instid1(VALU_DEP_1)
	v_add_nc_u32_e32 v203, v203, v204
	ds_swizzle_b32 v204, v203 offset:swizzle(BROADCAST,32,15)
	s_wait_dscnt 0x0
	v_cndmask_b32_e64 v204, v204, 0, s11
	v_add_nc_u32_e32 v203, v203, v204
	s_and_saveexec_b32 s15, s1
; %bb.457:                              ;   in Loop: Header=BB2040_388 Depth=2
	ds_store_b32 v84, v203 offset:1024
; %bb.458:                              ;   in Loop: Header=BB2040_388 Depth=2
	s_or_b32 exec_lo, exec_lo, s15
	s_wait_dscnt 0x0
	s_barrier_signal -1
	s_barrier_wait -1
	s_and_saveexec_b32 s15, s4
	s_cbranch_execz .LBB2040_460
; %bb.459:                              ;   in Loop: Header=BB2040_388 Depth=2
	ds_load_b32 v204, v92 offset:1024
	s_wait_dscnt 0x0
	v_mov_b32_dpp v205, v204 row_shr:1 row_mask:0xf bank_mask:0xf
	s_delay_alu instid0(VALU_DEP_1) | instskip(NEXT) | instid1(VALU_DEP_1)
	v_cndmask_b32_e64 v205, v205, 0, s12
	v_add_nc_u32_e32 v204, v205, v204
	s_delay_alu instid0(VALU_DEP_1) | instskip(NEXT) | instid1(VALU_DEP_1)
	v_mov_b32_dpp v205, v204 row_shr:2 row_mask:0xf bank_mask:0xf
	v_cndmask_b32_e64 v205, 0, v205, s13
	s_delay_alu instid0(VALU_DEP_1) | instskip(NEXT) | instid1(VALU_DEP_1)
	v_add_nc_u32_e32 v204, v204, v205
	v_mov_b32_dpp v205, v204 row_shr:4 row_mask:0xf bank_mask:0xf
	s_delay_alu instid0(VALU_DEP_1) | instskip(NEXT) | instid1(VALU_DEP_1)
	v_cndmask_b32_e64 v205, 0, v205, s14
	v_add_nc_u32_e32 v204, v204, v205
	ds_store_b32 v92, v204 offset:1024
.LBB2040_460:                           ;   in Loop: Header=BB2040_388 Depth=2
	s_or_b32 exec_lo, exec_lo, s15
	v_mov_b32_e32 v204, 0
	s_wait_dscnt 0x0
	s_barrier_signal -1
	s_barrier_wait -1
	s_and_saveexec_b32 s15, s5
; %bb.461:                              ;   in Loop: Header=BB2040_388 Depth=2
	ds_load_b32 v204, v84 offset:1020
; %bb.462:                              ;   in Loop: Header=BB2040_388 Depth=2
	s_or_b32 exec_lo, exec_lo, s15
	s_wait_dscnt 0x0
	v_add_nc_u32_e32 v203, v204, v203
	ds_bpermute_b32 v203, v122, v203
	s_wait_dscnt 0x0
	v_cndmask_b32_e64 v203, v203, v204, s6
	s_delay_alu instid0(VALU_DEP_1) | instskip(NEXT) | instid1(VALU_DEP_1)
	v_cndmask_b32_e64 v203, v203, 0, s2
	v_add_nc_u32_e32 v66, v203, v66
	s_delay_alu instid0(VALU_DEP_1) | instskip(NEXT) | instid1(VALU_DEP_1)
	v_add_nc_u32_e32 v67, v66, v67
	v_add_nc_u32_e32 v64, v67, v64
	s_delay_alu instid0(VALU_DEP_1) | instskip(NEXT) | instid1(VALU_DEP_1)
	v_add_nc_u32_e32 v65, v64, v65
	;; [unrolled: 3-line block ×3, first 2 shown]
	v_add_nc_u32_e32 v60, v63, v60
	s_delay_alu instid0(VALU_DEP_1)
	v_add_nc_u32_e32 v61, v60, v61
	ds_store_2addr_b32 v121, v63, v60 offset1:1
	ds_store_2addr_b32 v118, v203, v66 offset1:1
	;; [unrolled: 1-line block ×4, first 2 shown]
	ds_store_b32 v91, v61 offset:1088
	s_wait_dscnt 0x0
	s_barrier_signal -1
	s_barrier_wait -1
	ds_load_b32 v63, v143 offset:1056
	ds_load_b32 v65, v147 offset:1056
	;; [unrolled: 1-line block ×17, first 2 shown]
	v_mov_b32_e32 v62, 0x1000
	s_and_saveexec_b32 s15, s3
; %bb.463:                              ;   in Loop: Header=BB2040_388 Depth=2
	ds_load_b32 v62, v91 offset:1092
; %bb.464:                              ;   in Loop: Header=BB2040_388 Depth=2
	s_or_b32 exec_lo, exec_lo, s15
	s_wait_dscnt 0x0
	s_barrier_signal -1
	s_barrier_wait -1
	s_and_saveexec_b32 s15, s0
	s_cbranch_execz .LBB2040_466
; %bb.465:                              ;   in Loop: Header=BB2040_388 Depth=2
	ds_load_b32 v155, v3
	s_wait_dscnt 0x0
	v_sub_nc_u32_e32 v151, v155, v151
	ds_store_b32 v3, v151
.LBB2040_466:                           ;   in Loop: Header=BB2040_388 Depth=2
	s_or_b32 exec_lo, exec_lo, s15
	v_add3_u32 v159, v146, v145, v65
	v_add_nc_u32_e32 v163, v63, v142
	v_add3_u32 v155, v150, v149, v66
	v_add3_u32 v151, v154, v153, v67
	;; [unrolled: 1-line block ×4, first 2 shown]
	v_lshlrev_b32_e32 v60, 1, v159
	v_lshlrev_b32_e32 v153, 1, v163
	v_add3_u32 v150, v158, v157, v143
	v_add3_u32 v147, v166, v165, v203
	;; [unrolled: 1-line block ×4, first 2 shown]
	v_lshlrev_b32_e32 v61, 1, v155
	v_add3_u32 v145, v174, v173, v175
	v_lshlrev_b32_e32 v154, 1, v149
	ds_store_b16 v153, v140 offset:1024
	v_lshlrev_b32_e32 v140, 1, v151
	v_add3_u32 v143, v178, v177, v179
	v_lshlrev_b32_e32 v153, 1, v150
	v_add3_u32 v142, v182, v181, v183
	v_add3_u32 v63, v186, v185, v187
	ds_store_b16 v60, v141 offset:1024
	ds_store_b16 v61, v144 offset:1024
	;; [unrolled: 1-line block ×5, first 2 shown]
	v_dual_lshlrev_b32 v60, 1, v147 :: v_dual_lshlrev_b32 v140, 1, v145
	v_lshlrev_b32_e32 v61, 1, v146
	v_add3_u32 v65, v198, v197, v64
	v_dual_lshlrev_b32 v141, 1, v143 :: v_dual_lshlrev_b32 v144, 1, v142
	v_add3_u32 v64, v201, v200, v167
	ds_store_b16 v60, v160 offset:1024
	ds_store_b16 v61, v164 offset:1024
	;; [unrolled: 1-line block ×5, first 2 shown]
	v_dual_lshlrev_b32 v60, 1, v63 :: v_dual_lshlrev_b32 v140, 1, v66
	v_cmp_lt_u32_e32 vcc_lo, v2, v139
	v_dual_lshlrev_b32 v61, 1, v67 :: v_dual_lshlrev_b32 v141, 1, v65
	v_lshlrev_b32_e32 v144, 1, v64
	ds_store_b16 v60, v180 offset:1024
	ds_store_b16 v61, v184 offset:1024
	;; [unrolled: 1-line block ×5, first 2 shown]
	s_wait_dscnt 0x0
	s_barrier_signal -1
	s_barrier_wait -1
	s_and_saveexec_b32 s16, vcc_lo
	s_cbranch_execnz .LBB2040_535
; %bb.467:                              ;   in Loop: Header=BB2040_388 Depth=2
	s_or_b32 exec_lo, exec_lo, s16
	v_cmp_lt_u32_e64 s15, v68, v139
	s_and_saveexec_b32 s17, s15
	s_cbranch_execnz .LBB2040_536
.LBB2040_468:                           ;   in Loop: Header=BB2040_388 Depth=2
	s_or_b32 exec_lo, exec_lo, s17
	v_cmp_lt_u32_e64 s16, v69, v139
	s_and_saveexec_b32 s18, s16
	s_cbranch_execnz .LBB2040_537
.LBB2040_469:                           ;   in Loop: Header=BB2040_388 Depth=2
	s_or_b32 exec_lo, exec_lo, s18
	v_cmp_lt_u32_e64 s17, v70, v139
	s_and_saveexec_b32 s19, s17
	s_cbranch_execnz .LBB2040_538
.LBB2040_470:                           ;   in Loop: Header=BB2040_388 Depth=2
	s_or_b32 exec_lo, exec_lo, s19
	v_cmp_lt_u32_e64 s18, v71, v139
	s_and_saveexec_b32 s20, s18
	s_cbranch_execnz .LBB2040_539
.LBB2040_471:                           ;   in Loop: Header=BB2040_388 Depth=2
	s_or_b32 exec_lo, exec_lo, s20
	v_cmp_lt_u32_e64 s19, v72, v139
	s_and_saveexec_b32 s21, s19
	s_cbranch_execnz .LBB2040_540
.LBB2040_472:                           ;   in Loop: Header=BB2040_388 Depth=2
	s_or_b32 exec_lo, exec_lo, s21
	v_cmp_lt_u32_e64 s20, v73, v139
	s_and_saveexec_b32 s22, s20
	s_cbranch_execnz .LBB2040_541
.LBB2040_473:                           ;   in Loop: Header=BB2040_388 Depth=2
	s_or_b32 exec_lo, exec_lo, s22
	v_cmp_lt_u32_e64 s21, v74, v139
	s_and_saveexec_b32 s23, s21
	s_cbranch_execnz .LBB2040_542
.LBB2040_474:                           ;   in Loop: Header=BB2040_388 Depth=2
	s_or_b32 exec_lo, exec_lo, s23
	v_cmp_lt_u32_e64 s22, v75, v139
	s_and_saveexec_b32 s24, s22
	s_cbranch_execnz .LBB2040_543
.LBB2040_475:                           ;   in Loop: Header=BB2040_388 Depth=2
	s_or_b32 exec_lo, exec_lo, s24
	v_cmp_lt_u32_e64 s23, v76, v139
	s_and_saveexec_b32 s25, s23
	s_cbranch_execnz .LBB2040_544
.LBB2040_476:                           ;   in Loop: Header=BB2040_388 Depth=2
	s_or_b32 exec_lo, exec_lo, s25
	v_cmp_lt_u32_e64 s24, v77, v139
	s_and_saveexec_b32 s26, s24
	s_cbranch_execnz .LBB2040_545
.LBB2040_477:                           ;   in Loop: Header=BB2040_388 Depth=2
	s_or_b32 exec_lo, exec_lo, s26
	v_cmp_lt_u32_e64 s25, v78, v139
	s_and_saveexec_b32 s27, s25
	s_cbranch_execnz .LBB2040_546
.LBB2040_478:                           ;   in Loop: Header=BB2040_388 Depth=2
	s_or_b32 exec_lo, exec_lo, s27
	v_cmp_lt_u32_e64 s26, v79, v139
	s_and_saveexec_b32 s28, s26
	s_cbranch_execnz .LBB2040_547
.LBB2040_479:                           ;   in Loop: Header=BB2040_388 Depth=2
	s_or_b32 exec_lo, exec_lo, s28
	v_cmp_lt_u32_e64 s27, v80, v139
	s_and_saveexec_b32 s29, s27
	s_cbranch_execnz .LBB2040_548
.LBB2040_480:                           ;   in Loop: Header=BB2040_388 Depth=2
	s_or_b32 exec_lo, exec_lo, s29
	v_cmp_lt_u32_e64 s28, v81, v139
	s_and_saveexec_b32 s30, s28
	s_cbranch_execnz .LBB2040_549
.LBB2040_481:                           ;   in Loop: Header=BB2040_388 Depth=2
	s_or_b32 exec_lo, exec_lo, s30
	v_cmp_lt_u32_e64 s29, v82, v139
	s_and_saveexec_b32 s58, s29
	s_cbranch_execz .LBB2040_483
.LBB2040_482:                           ;   in Loop: Header=BB2040_388 Depth=2
	ds_load_u16 v60, v93 offset:8704
	s_wait_dscnt 0x0
	v_cmp_ne_u16_e64 s30, 0x7fff, v60
	s_delay_alu instid0(VALU_DEP_1) | instskip(SKIP_1) | instid1(VALU_DEP_2)
	v_cndmask_b32_e64 v61, 0xffff8000, v60, s30
	v_cmp_lt_i16_e64 s30, -1, v60
	v_and_b32_e32 v61, 0xffff, v61
	s_delay_alu instid0(VALU_DEP_2) | instskip(NEXT) | instid1(VALU_DEP_1)
	v_cndmask_b32_e64 v140, 0xffff8000, -1, s30
	v_dual_lshrrev_b32 v61, s48, v61 :: v_dual_bitop2_b32 v60, v140, v60 bitop3:0x14
	s_delay_alu instid0(VALU_DEP_1) | instskip(NEXT) | instid1(VALU_DEP_1)
	v_and_b32_e32 v61, s52, v61
	v_lshlrev_b32_e32 v61, 2, v61
	ds_load_b32 v61, v61
	s_wait_dscnt 0x0
	v_add_nc_u32_e32 v61, v61, v82
	global_store_b16 v61, v60, s[40:41] scale_offset
.LBB2040_483:                           ;   in Loop: Header=BB2040_388 Depth=2
	s_wait_xcnt 0x0
	s_or_b32 exec_lo, exec_lo, s58
	v_lshl_add_u64 v[60:61], s[42:43], 3, v[24:25]
	v_cmp_lt_u32_e64 s30, v100, v139
	s_and_saveexec_b32 s42, s30
	s_delay_alu instid0(SALU_CYCLE_1)
	s_xor_b32 s30, exec_lo, s42
	s_cbranch_execnz .LBB2040_550
; %bb.484:                              ;   in Loop: Header=BB2040_388 Depth=2
	s_or_b32 exec_lo, exec_lo, s30
	s_delay_alu instid0(SALU_CYCLE_1)
	s_mov_b32 s42, exec_lo
	v_cmpx_lt_u32_e64 v103, v139
	s_cbranch_execnz .LBB2040_551
.LBB2040_485:                           ;   in Loop: Header=BB2040_388 Depth=2
	s_or_b32 exec_lo, exec_lo, s42
	s_delay_alu instid0(SALU_CYCLE_1)
	s_mov_b32 s42, exec_lo
	v_cmpx_lt_u32_e64 v104, v139
	s_cbranch_execnz .LBB2040_552
.LBB2040_486:                           ;   in Loop: Header=BB2040_388 Depth=2
	s_or_b32 exec_lo, exec_lo, s42
	s_delay_alu instid0(SALU_CYCLE_1)
	s_mov_b32 s42, exec_lo
	v_cmpx_lt_u32_e64 v105, v139
	s_cbranch_execnz .LBB2040_553
.LBB2040_487:                           ;   in Loop: Header=BB2040_388 Depth=2
	s_or_b32 exec_lo, exec_lo, s42
	s_delay_alu instid0(SALU_CYCLE_1)
	s_mov_b32 s42, exec_lo
	v_cmpx_lt_u32_e64 v106, v139
	s_cbranch_execnz .LBB2040_554
.LBB2040_488:                           ;   in Loop: Header=BB2040_388 Depth=2
	s_or_b32 exec_lo, exec_lo, s42
	s_delay_alu instid0(SALU_CYCLE_1)
	s_mov_b32 s42, exec_lo
	v_cmpx_lt_u32_e64 v107, v139
	s_cbranch_execnz .LBB2040_555
.LBB2040_489:                           ;   in Loop: Header=BB2040_388 Depth=2
	s_or_b32 exec_lo, exec_lo, s42
	s_delay_alu instid0(SALU_CYCLE_1)
	s_mov_b32 s42, exec_lo
	v_cmpx_lt_u32_e64 v108, v139
	s_cbranch_execnz .LBB2040_556
.LBB2040_490:                           ;   in Loop: Header=BB2040_388 Depth=2
	s_or_b32 exec_lo, exec_lo, s42
	s_delay_alu instid0(SALU_CYCLE_1)
	s_mov_b32 s42, exec_lo
	v_cmpx_lt_u32_e64 v109, v139
	s_cbranch_execnz .LBB2040_557
.LBB2040_491:                           ;   in Loop: Header=BB2040_388 Depth=2
	s_or_b32 exec_lo, exec_lo, s42
	s_delay_alu instid0(SALU_CYCLE_1)
	s_mov_b32 s42, exec_lo
	v_cmpx_lt_u32_e64 v110, v139
	s_cbranch_execnz .LBB2040_558
.LBB2040_492:                           ;   in Loop: Header=BB2040_388 Depth=2
	s_or_b32 exec_lo, exec_lo, s42
	s_delay_alu instid0(SALU_CYCLE_1)
	s_mov_b32 s42, exec_lo
	v_cmpx_lt_u32_e64 v111, v139
	s_cbranch_execnz .LBB2040_559
.LBB2040_493:                           ;   in Loop: Header=BB2040_388 Depth=2
	s_or_b32 exec_lo, exec_lo, s42
	s_delay_alu instid0(SALU_CYCLE_1)
	s_mov_b32 s42, exec_lo
	v_cmpx_lt_u32_e64 v112, v139
	s_cbranch_execnz .LBB2040_560
.LBB2040_494:                           ;   in Loop: Header=BB2040_388 Depth=2
	s_or_b32 exec_lo, exec_lo, s42
	s_delay_alu instid0(SALU_CYCLE_1)
	s_mov_b32 s42, exec_lo
	v_cmpx_lt_u32_e64 v113, v139
	s_cbranch_execnz .LBB2040_561
.LBB2040_495:                           ;   in Loop: Header=BB2040_388 Depth=2
	s_or_b32 exec_lo, exec_lo, s42
	s_delay_alu instid0(SALU_CYCLE_1)
	s_mov_b32 s42, exec_lo
	v_cmpx_lt_u32_e64 v114, v139
	s_cbranch_execnz .LBB2040_562
.LBB2040_496:                           ;   in Loop: Header=BB2040_388 Depth=2
	s_or_b32 exec_lo, exec_lo, s42
	s_delay_alu instid0(SALU_CYCLE_1)
	s_mov_b32 s42, exec_lo
	v_cmpx_lt_u32_e64 v115, v139
	s_cbranch_execnz .LBB2040_563
.LBB2040_497:                           ;   in Loop: Header=BB2040_388 Depth=2
	s_or_b32 exec_lo, exec_lo, s42
	s_delay_alu instid0(SALU_CYCLE_1)
	s_mov_b32 s42, exec_lo
	v_cmpx_lt_u32_e64 v116, v139
	s_cbranch_execnz .LBB2040_564
.LBB2040_498:                           ;   in Loop: Header=BB2040_388 Depth=2
	s_or_b32 exec_lo, exec_lo, s42
	s_delay_alu instid0(SALU_CYCLE_1)
	s_mov_b32 s42, exec_lo
	v_cmpx_lt_u32_e64 v117, v139
	s_cbranch_execnz .LBB2040_565
.LBB2040_499:                           ;   in Loop: Header=BB2040_388 Depth=2
	s_or_b32 exec_lo, exec_lo, s42
	s_and_saveexec_b32 s42, vcc_lo
	s_cbranch_execnz .LBB2040_566
.LBB2040_500:                           ;   in Loop: Header=BB2040_388 Depth=2
	s_or_b32 exec_lo, exec_lo, s42
	s_and_saveexec_b32 s42, s15
	s_cbranch_execnz .LBB2040_567
.LBB2040_501:                           ;   in Loop: Header=BB2040_388 Depth=2
	s_or_b32 exec_lo, exec_lo, s42
	s_and_saveexec_b32 s42, s16
	s_cbranch_execnz .LBB2040_568
.LBB2040_502:                           ;   in Loop: Header=BB2040_388 Depth=2
	s_or_b32 exec_lo, exec_lo, s42
	s_and_saveexec_b32 s42, s17
	s_cbranch_execnz .LBB2040_569
.LBB2040_503:                           ;   in Loop: Header=BB2040_388 Depth=2
	s_or_b32 exec_lo, exec_lo, s42
	s_and_saveexec_b32 s42, s18
	s_cbranch_execnz .LBB2040_570
.LBB2040_504:                           ;   in Loop: Header=BB2040_388 Depth=2
	s_or_b32 exec_lo, exec_lo, s42
	s_and_saveexec_b32 s42, s19
	s_cbranch_execnz .LBB2040_571
.LBB2040_505:                           ;   in Loop: Header=BB2040_388 Depth=2
	s_or_b32 exec_lo, exec_lo, s42
	s_and_saveexec_b32 s42, s20
	s_cbranch_execnz .LBB2040_572
.LBB2040_506:                           ;   in Loop: Header=BB2040_388 Depth=2
	s_or_b32 exec_lo, exec_lo, s42
	s_and_saveexec_b32 s42, s21
	s_cbranch_execnz .LBB2040_573
.LBB2040_507:                           ;   in Loop: Header=BB2040_388 Depth=2
	s_or_b32 exec_lo, exec_lo, s42
	s_and_saveexec_b32 s42, s22
	s_cbranch_execnz .LBB2040_574
.LBB2040_508:                           ;   in Loop: Header=BB2040_388 Depth=2
	s_or_b32 exec_lo, exec_lo, s42
	s_and_saveexec_b32 s42, s23
	s_cbranch_execnz .LBB2040_575
.LBB2040_509:                           ;   in Loop: Header=BB2040_388 Depth=2
	s_or_b32 exec_lo, exec_lo, s42
	s_and_saveexec_b32 s42, s24
	s_cbranch_execnz .LBB2040_576
.LBB2040_510:                           ;   in Loop: Header=BB2040_388 Depth=2
	s_or_b32 exec_lo, exec_lo, s42
	s_and_saveexec_b32 s42, s25
	s_cbranch_execnz .LBB2040_577
.LBB2040_511:                           ;   in Loop: Header=BB2040_388 Depth=2
	s_or_b32 exec_lo, exec_lo, s42
	s_and_saveexec_b32 s42, s26
	s_cbranch_execnz .LBB2040_578
.LBB2040_512:                           ;   in Loop: Header=BB2040_388 Depth=2
	s_or_b32 exec_lo, exec_lo, s42
	s_and_saveexec_b32 s42, s27
	s_cbranch_execnz .LBB2040_579
.LBB2040_513:                           ;   in Loop: Header=BB2040_388 Depth=2
	s_or_b32 exec_lo, exec_lo, s42
	s_and_saveexec_b32 s42, s28
	s_cbranch_execnz .LBB2040_580
.LBB2040_514:                           ;   in Loop: Header=BB2040_388 Depth=2
	s_or_b32 exec_lo, exec_lo, s42
	s_and_saveexec_b32 s42, s29
	s_cbranch_execz .LBB2040_516
.LBB2040_515:                           ;   in Loop: Header=BB2040_388 Depth=2
	ds_load_u16 v60, v93 offset:8704
	s_wait_dscnt 0x0
	v_cmp_ne_u16_e64 s30, 0x7fff, v60
	s_delay_alu instid0(VALU_DEP_1) | instskip(NEXT) | instid1(VALU_DEP_1)
	v_cndmask_b32_e64 v60, 0xffff8000, v60, s30
	v_and_b32_e32 v60, 0xffff, v60
	s_delay_alu instid0(VALU_DEP_1) | instskip(NEXT) | instid1(VALU_DEP_1)
	v_lshrrev_b32_e32 v60, s48, v60
	v_and_b32_e32 v123, s52, v60
.LBB2040_516:                           ;   in Loop: Header=BB2040_388 Depth=2
	s_or_b32 exec_lo, exec_lo, s42
	v_dual_lshlrev_b32 v60, 3, v163 :: v_dual_lshlrev_b32 v140, 3, v150
	s_wait_loadcnt 0x0
	s_wait_storecnt 0x0
	s_barrier_signal -1
	s_barrier_wait -1
	ds_store_b64 v60, v[58:59] offset:1024
	v_dual_lshlrev_b32 v60, 3, v159 :: v_dual_lshlrev_b32 v141, 3, v149
	v_lshlrev_b32_e32 v61, 3, v155
	v_lshlrev_b32_e32 v139, 3, v151
	ds_store_b64 v60, v[56:57] offset:1024
	ds_store_b64 v61, v[54:55] offset:1024
	;; [unrolled: 1-line block ×5, first 2 shown]
	v_dual_lshlrev_b32 v60, 3, v147 :: v_dual_lshlrev_b32 v141, 3, v142
	v_dual_lshlrev_b32 v61, 3, v146 :: v_dual_lshlrev_b32 v139, 3, v145
	v_lshlrev_b32_e32 v140, 3, v143
	ds_store_b64 v60, v[46:47] offset:1024
	ds_store_b64 v61, v[44:45] offset:1024
	;; [unrolled: 1-line block ×5, first 2 shown]
	v_dual_lshlrev_b32 v60, 3, v63 :: v_dual_lshlrev_b32 v65, 3, v65
	v_dual_lshlrev_b32 v61, 3, v67 :: v_dual_lshlrev_b32 v64, 3, v64
	v_lshlrev_b32_e32 v63, 3, v66
	ds_store_b64 v60, v[36:37] offset:1024
	ds_store_b64 v61, v[34:35] offset:1024
	;; [unrolled: 1-line block ×5, first 2 shown]
	s_wait_dscnt 0x0
	s_barrier_signal -1
	s_barrier_wait -1
	s_and_saveexec_b32 s30, vcc_lo
	s_cbranch_execnz .LBB2040_581
; %bb.517:                              ;   in Loop: Header=BB2040_388 Depth=2
	s_or_b32 exec_lo, exec_lo, s30
	s_and_saveexec_b32 s30, s15
	s_cbranch_execnz .LBB2040_582
.LBB2040_518:                           ;   in Loop: Header=BB2040_388 Depth=2
	s_or_b32 exec_lo, exec_lo, s30
	s_and_saveexec_b32 s15, s16
	s_cbranch_execnz .LBB2040_583
.LBB2040_519:                           ;   in Loop: Header=BB2040_388 Depth=2
	s_or_b32 exec_lo, exec_lo, s15
	s_and_saveexec_b32 s15, s17
	s_cbranch_execnz .LBB2040_584
.LBB2040_520:                           ;   in Loop: Header=BB2040_388 Depth=2
	s_or_b32 exec_lo, exec_lo, s15
	s_and_saveexec_b32 s15, s18
	s_cbranch_execnz .LBB2040_585
.LBB2040_521:                           ;   in Loop: Header=BB2040_388 Depth=2
	s_or_b32 exec_lo, exec_lo, s15
	s_and_saveexec_b32 s15, s19
	s_cbranch_execnz .LBB2040_586
.LBB2040_522:                           ;   in Loop: Header=BB2040_388 Depth=2
	s_or_b32 exec_lo, exec_lo, s15
	s_and_saveexec_b32 s15, s20
	s_cbranch_execnz .LBB2040_587
.LBB2040_523:                           ;   in Loop: Header=BB2040_388 Depth=2
	s_or_b32 exec_lo, exec_lo, s15
	s_and_saveexec_b32 s15, s21
	s_cbranch_execnz .LBB2040_588
.LBB2040_524:                           ;   in Loop: Header=BB2040_388 Depth=2
	s_or_b32 exec_lo, exec_lo, s15
	s_and_saveexec_b32 s15, s22
	s_cbranch_execnz .LBB2040_589
.LBB2040_525:                           ;   in Loop: Header=BB2040_388 Depth=2
	s_or_b32 exec_lo, exec_lo, s15
	s_and_saveexec_b32 s15, s23
	s_cbranch_execnz .LBB2040_590
.LBB2040_526:                           ;   in Loop: Header=BB2040_388 Depth=2
	s_or_b32 exec_lo, exec_lo, s15
	s_and_saveexec_b32 s15, s24
	s_cbranch_execnz .LBB2040_591
.LBB2040_527:                           ;   in Loop: Header=BB2040_388 Depth=2
	s_or_b32 exec_lo, exec_lo, s15
	s_and_saveexec_b32 s15, s25
	s_cbranch_execnz .LBB2040_592
.LBB2040_528:                           ;   in Loop: Header=BB2040_388 Depth=2
	s_or_b32 exec_lo, exec_lo, s15
	s_and_saveexec_b32 s15, s26
	s_cbranch_execnz .LBB2040_593
.LBB2040_529:                           ;   in Loop: Header=BB2040_388 Depth=2
	s_or_b32 exec_lo, exec_lo, s15
	s_and_saveexec_b32 s15, s27
	s_cbranch_execnz .LBB2040_594
.LBB2040_530:                           ;   in Loop: Header=BB2040_388 Depth=2
	s_or_b32 exec_lo, exec_lo, s15
	s_and_saveexec_b32 s15, s28
	s_cbranch_execnz .LBB2040_595
.LBB2040_531:                           ;   in Loop: Header=BB2040_388 Depth=2
	s_or_b32 exec_lo, exec_lo, s15
	s_and_saveexec_b32 s15, s29
	s_cbranch_execz .LBB2040_533
.LBB2040_532:                           ;   in Loop: Header=BB2040_388 Depth=2
	v_dual_lshlrev_b32 v60, 2, v123 :: v_dual_add_nc_u32 v61, v93, v94
	ds_load_b32 v63, v60
	ds_load_b64 v[60:61], v61 offset:31744
	s_wait_dscnt 0x1
	v_add_nc_u32_e32 v63, v63, v82
	s_wait_dscnt 0x0
	global_store_b64 v63, v[60:61], s[46:47] scale_offset
.LBB2040_533:                           ;   in Loop: Header=BB2040_388 Depth=2
	s_wait_xcnt 0x0
	s_or_b32 exec_lo, exec_lo, s15
	s_wait_storecnt 0x0
	s_barrier_signal -1
	s_barrier_wait -1
	s_and_saveexec_b32 s15, s0
	s_cbranch_execz .LBB2040_387
; %bb.534:                              ;   in Loop: Header=BB2040_388 Depth=2
	ds_load_b32 v60, v3
	s_wait_dscnt 0x0
	v_add_nc_u32_e32 v60, v60, v62
	ds_store_b32 v3, v60
	s_branch .LBB2040_387
.LBB2040_535:                           ;   in Loop: Header=BB2040_388 Depth=2
	ds_load_u16 v60, v93 offset:1024
	s_wait_dscnt 0x0
	v_cmp_ne_u16_e64 s15, 0x7fff, v60
	s_delay_alu instid0(VALU_DEP_1) | instskip(SKIP_1) | instid1(VALU_DEP_2)
	v_cndmask_b32_e64 v61, 0xffff8000, v60, s15
	v_cmp_lt_i16_e64 s15, -1, v60
	v_and_b32_e32 v61, 0xffff, v61
	s_delay_alu instid0(VALU_DEP_2) | instskip(NEXT) | instid1(VALU_DEP_1)
	v_cndmask_b32_e64 v140, 0xffff8000, -1, s15
	v_dual_lshrrev_b32 v61, s48, v61 :: v_dual_bitop2_b32 v60, v140, v60 bitop3:0x14
	s_delay_alu instid0(VALU_DEP_1) | instskip(NEXT) | instid1(VALU_DEP_1)
	v_and_b32_e32 v61, s52, v61
	v_lshlrev_b32_e32 v61, 2, v61
	ds_load_b32 v61, v61
	s_wait_dscnt 0x0
	v_add_nc_u32_e32 v61, v61, v2
	global_store_b16 v61, v60, s[40:41] scale_offset
	s_wait_xcnt 0x0
	s_or_b32 exec_lo, exec_lo, s16
	v_cmp_lt_u32_e64 s15, v68, v139
	s_and_saveexec_b32 s17, s15
	s_cbranch_execz .LBB2040_468
.LBB2040_536:                           ;   in Loop: Header=BB2040_388 Depth=2
	ds_load_u16 v60, v93 offset:1536
	s_wait_dscnt 0x0
	v_cmp_ne_u16_e64 s16, 0x7fff, v60
	s_delay_alu instid0(VALU_DEP_1) | instskip(SKIP_1) | instid1(VALU_DEP_2)
	v_cndmask_b32_e64 v61, 0xffff8000, v60, s16
	v_cmp_lt_i16_e64 s16, -1, v60
	v_and_b32_e32 v61, 0xffff, v61
	s_delay_alu instid0(VALU_DEP_2) | instskip(NEXT) | instid1(VALU_DEP_1)
	v_cndmask_b32_e64 v140, 0xffff8000, -1, s16
	v_dual_lshrrev_b32 v61, s48, v61 :: v_dual_bitop2_b32 v60, v140, v60 bitop3:0x14
	s_delay_alu instid0(VALU_DEP_1) | instskip(NEXT) | instid1(VALU_DEP_1)
	v_and_b32_e32 v61, s52, v61
	v_lshlrev_b32_e32 v61, 2, v61
	ds_load_b32 v61, v61
	s_wait_dscnt 0x0
	v_add_nc_u32_e32 v61, v61, v68
	global_store_b16 v61, v60, s[40:41] scale_offset
	s_wait_xcnt 0x0
	s_or_b32 exec_lo, exec_lo, s17
	v_cmp_lt_u32_e64 s16, v69, v139
	s_and_saveexec_b32 s18, s16
	s_cbranch_execz .LBB2040_469
.LBB2040_537:                           ;   in Loop: Header=BB2040_388 Depth=2
	ds_load_u16 v60, v93 offset:2048
	s_wait_dscnt 0x0
	v_cmp_ne_u16_e64 s17, 0x7fff, v60
	s_delay_alu instid0(VALU_DEP_1) | instskip(SKIP_1) | instid1(VALU_DEP_2)
	v_cndmask_b32_e64 v61, 0xffff8000, v60, s17
	v_cmp_lt_i16_e64 s17, -1, v60
	v_and_b32_e32 v61, 0xffff, v61
	s_delay_alu instid0(VALU_DEP_2) | instskip(NEXT) | instid1(VALU_DEP_1)
	v_cndmask_b32_e64 v140, 0xffff8000, -1, s17
	v_dual_lshrrev_b32 v61, s48, v61 :: v_dual_bitop2_b32 v60, v140, v60 bitop3:0x14
	s_delay_alu instid0(VALU_DEP_1) | instskip(NEXT) | instid1(VALU_DEP_1)
	v_and_b32_e32 v61, s52, v61
	v_lshlrev_b32_e32 v61, 2, v61
	ds_load_b32 v61, v61
	s_wait_dscnt 0x0
	v_add_nc_u32_e32 v61, v61, v69
	global_store_b16 v61, v60, s[40:41] scale_offset
	s_wait_xcnt 0x0
	s_or_b32 exec_lo, exec_lo, s18
	v_cmp_lt_u32_e64 s17, v70, v139
	s_and_saveexec_b32 s19, s17
	s_cbranch_execz .LBB2040_470
.LBB2040_538:                           ;   in Loop: Header=BB2040_388 Depth=2
	ds_load_u16 v60, v93 offset:2560
	s_wait_dscnt 0x0
	v_cmp_ne_u16_e64 s18, 0x7fff, v60
	s_delay_alu instid0(VALU_DEP_1) | instskip(SKIP_1) | instid1(VALU_DEP_2)
	v_cndmask_b32_e64 v61, 0xffff8000, v60, s18
	v_cmp_lt_i16_e64 s18, -1, v60
	v_and_b32_e32 v61, 0xffff, v61
	s_delay_alu instid0(VALU_DEP_2) | instskip(NEXT) | instid1(VALU_DEP_1)
	v_cndmask_b32_e64 v140, 0xffff8000, -1, s18
	v_dual_lshrrev_b32 v61, s48, v61 :: v_dual_bitop2_b32 v60, v140, v60 bitop3:0x14
	s_delay_alu instid0(VALU_DEP_1) | instskip(NEXT) | instid1(VALU_DEP_1)
	v_and_b32_e32 v61, s52, v61
	v_lshlrev_b32_e32 v61, 2, v61
	ds_load_b32 v61, v61
	s_wait_dscnt 0x0
	v_add_nc_u32_e32 v61, v61, v70
	global_store_b16 v61, v60, s[40:41] scale_offset
	s_wait_xcnt 0x0
	s_or_b32 exec_lo, exec_lo, s19
	v_cmp_lt_u32_e64 s18, v71, v139
	s_and_saveexec_b32 s20, s18
	s_cbranch_execz .LBB2040_471
.LBB2040_539:                           ;   in Loop: Header=BB2040_388 Depth=2
	ds_load_u16 v60, v93 offset:3072
	s_wait_dscnt 0x0
	v_cmp_ne_u16_e64 s19, 0x7fff, v60
	s_delay_alu instid0(VALU_DEP_1) | instskip(SKIP_1) | instid1(VALU_DEP_2)
	v_cndmask_b32_e64 v61, 0xffff8000, v60, s19
	v_cmp_lt_i16_e64 s19, -1, v60
	v_and_b32_e32 v61, 0xffff, v61
	s_delay_alu instid0(VALU_DEP_2) | instskip(NEXT) | instid1(VALU_DEP_1)
	v_cndmask_b32_e64 v140, 0xffff8000, -1, s19
	v_dual_lshrrev_b32 v61, s48, v61 :: v_dual_bitop2_b32 v60, v140, v60 bitop3:0x14
	s_delay_alu instid0(VALU_DEP_1) | instskip(NEXT) | instid1(VALU_DEP_1)
	v_and_b32_e32 v61, s52, v61
	v_lshlrev_b32_e32 v61, 2, v61
	ds_load_b32 v61, v61
	s_wait_dscnt 0x0
	v_add_nc_u32_e32 v61, v61, v71
	global_store_b16 v61, v60, s[40:41] scale_offset
	s_wait_xcnt 0x0
	s_or_b32 exec_lo, exec_lo, s20
	v_cmp_lt_u32_e64 s19, v72, v139
	s_and_saveexec_b32 s21, s19
	s_cbranch_execz .LBB2040_472
.LBB2040_540:                           ;   in Loop: Header=BB2040_388 Depth=2
	ds_load_u16 v60, v93 offset:3584
	s_wait_dscnt 0x0
	v_cmp_ne_u16_e64 s20, 0x7fff, v60
	s_delay_alu instid0(VALU_DEP_1) | instskip(SKIP_1) | instid1(VALU_DEP_2)
	v_cndmask_b32_e64 v61, 0xffff8000, v60, s20
	v_cmp_lt_i16_e64 s20, -1, v60
	v_and_b32_e32 v61, 0xffff, v61
	s_delay_alu instid0(VALU_DEP_2) | instskip(NEXT) | instid1(VALU_DEP_1)
	v_cndmask_b32_e64 v140, 0xffff8000, -1, s20
	v_dual_lshrrev_b32 v61, s48, v61 :: v_dual_bitop2_b32 v60, v140, v60 bitop3:0x14
	s_delay_alu instid0(VALU_DEP_1) | instskip(NEXT) | instid1(VALU_DEP_1)
	v_and_b32_e32 v61, s52, v61
	v_lshlrev_b32_e32 v61, 2, v61
	ds_load_b32 v61, v61
	s_wait_dscnt 0x0
	v_add_nc_u32_e32 v61, v61, v72
	global_store_b16 v61, v60, s[40:41] scale_offset
	s_wait_xcnt 0x0
	s_or_b32 exec_lo, exec_lo, s21
	v_cmp_lt_u32_e64 s20, v73, v139
	s_and_saveexec_b32 s22, s20
	s_cbranch_execz .LBB2040_473
.LBB2040_541:                           ;   in Loop: Header=BB2040_388 Depth=2
	ds_load_u16 v60, v93 offset:4096
	s_wait_dscnt 0x0
	v_cmp_ne_u16_e64 s21, 0x7fff, v60
	s_delay_alu instid0(VALU_DEP_1) | instskip(SKIP_1) | instid1(VALU_DEP_2)
	v_cndmask_b32_e64 v61, 0xffff8000, v60, s21
	v_cmp_lt_i16_e64 s21, -1, v60
	v_and_b32_e32 v61, 0xffff, v61
	s_delay_alu instid0(VALU_DEP_2) | instskip(NEXT) | instid1(VALU_DEP_1)
	v_cndmask_b32_e64 v140, 0xffff8000, -1, s21
	v_dual_lshrrev_b32 v61, s48, v61 :: v_dual_bitop2_b32 v60, v140, v60 bitop3:0x14
	s_delay_alu instid0(VALU_DEP_1) | instskip(NEXT) | instid1(VALU_DEP_1)
	v_and_b32_e32 v61, s52, v61
	v_lshlrev_b32_e32 v61, 2, v61
	ds_load_b32 v61, v61
	s_wait_dscnt 0x0
	v_add_nc_u32_e32 v61, v61, v73
	global_store_b16 v61, v60, s[40:41] scale_offset
	s_wait_xcnt 0x0
	s_or_b32 exec_lo, exec_lo, s22
	v_cmp_lt_u32_e64 s21, v74, v139
	s_and_saveexec_b32 s23, s21
	s_cbranch_execz .LBB2040_474
.LBB2040_542:                           ;   in Loop: Header=BB2040_388 Depth=2
	ds_load_u16 v60, v93 offset:4608
	s_wait_dscnt 0x0
	v_cmp_ne_u16_e64 s22, 0x7fff, v60
	s_delay_alu instid0(VALU_DEP_1) | instskip(SKIP_1) | instid1(VALU_DEP_2)
	v_cndmask_b32_e64 v61, 0xffff8000, v60, s22
	v_cmp_lt_i16_e64 s22, -1, v60
	v_and_b32_e32 v61, 0xffff, v61
	s_delay_alu instid0(VALU_DEP_2) | instskip(NEXT) | instid1(VALU_DEP_1)
	v_cndmask_b32_e64 v140, 0xffff8000, -1, s22
	v_dual_lshrrev_b32 v61, s48, v61 :: v_dual_bitop2_b32 v60, v140, v60 bitop3:0x14
	s_delay_alu instid0(VALU_DEP_1) | instskip(NEXT) | instid1(VALU_DEP_1)
	v_and_b32_e32 v61, s52, v61
	v_lshlrev_b32_e32 v61, 2, v61
	ds_load_b32 v61, v61
	s_wait_dscnt 0x0
	v_add_nc_u32_e32 v61, v61, v74
	global_store_b16 v61, v60, s[40:41] scale_offset
	s_wait_xcnt 0x0
	s_or_b32 exec_lo, exec_lo, s23
	v_cmp_lt_u32_e64 s22, v75, v139
	s_and_saveexec_b32 s24, s22
	s_cbranch_execz .LBB2040_475
.LBB2040_543:                           ;   in Loop: Header=BB2040_388 Depth=2
	ds_load_u16 v60, v93 offset:5120
	s_wait_dscnt 0x0
	v_cmp_ne_u16_e64 s23, 0x7fff, v60
	s_delay_alu instid0(VALU_DEP_1) | instskip(SKIP_1) | instid1(VALU_DEP_2)
	v_cndmask_b32_e64 v61, 0xffff8000, v60, s23
	v_cmp_lt_i16_e64 s23, -1, v60
	v_and_b32_e32 v61, 0xffff, v61
	s_delay_alu instid0(VALU_DEP_2) | instskip(NEXT) | instid1(VALU_DEP_1)
	v_cndmask_b32_e64 v140, 0xffff8000, -1, s23
	v_dual_lshrrev_b32 v61, s48, v61 :: v_dual_bitop2_b32 v60, v140, v60 bitop3:0x14
	s_delay_alu instid0(VALU_DEP_1) | instskip(NEXT) | instid1(VALU_DEP_1)
	v_and_b32_e32 v61, s52, v61
	v_lshlrev_b32_e32 v61, 2, v61
	ds_load_b32 v61, v61
	s_wait_dscnt 0x0
	v_add_nc_u32_e32 v61, v61, v75
	global_store_b16 v61, v60, s[40:41] scale_offset
	s_wait_xcnt 0x0
	s_or_b32 exec_lo, exec_lo, s24
	v_cmp_lt_u32_e64 s23, v76, v139
	s_and_saveexec_b32 s25, s23
	s_cbranch_execz .LBB2040_476
.LBB2040_544:                           ;   in Loop: Header=BB2040_388 Depth=2
	ds_load_u16 v60, v93 offset:5632
	s_wait_dscnt 0x0
	v_cmp_ne_u16_e64 s24, 0x7fff, v60
	s_delay_alu instid0(VALU_DEP_1) | instskip(SKIP_1) | instid1(VALU_DEP_2)
	v_cndmask_b32_e64 v61, 0xffff8000, v60, s24
	v_cmp_lt_i16_e64 s24, -1, v60
	v_and_b32_e32 v61, 0xffff, v61
	s_delay_alu instid0(VALU_DEP_2) | instskip(NEXT) | instid1(VALU_DEP_1)
	v_cndmask_b32_e64 v140, 0xffff8000, -1, s24
	v_dual_lshrrev_b32 v61, s48, v61 :: v_dual_bitop2_b32 v60, v140, v60 bitop3:0x14
	s_delay_alu instid0(VALU_DEP_1) | instskip(NEXT) | instid1(VALU_DEP_1)
	v_and_b32_e32 v61, s52, v61
	v_lshlrev_b32_e32 v61, 2, v61
	ds_load_b32 v61, v61
	s_wait_dscnt 0x0
	v_add_nc_u32_e32 v61, v61, v76
	global_store_b16 v61, v60, s[40:41] scale_offset
	s_wait_xcnt 0x0
	s_or_b32 exec_lo, exec_lo, s25
	v_cmp_lt_u32_e64 s24, v77, v139
	s_and_saveexec_b32 s26, s24
	s_cbranch_execz .LBB2040_477
.LBB2040_545:                           ;   in Loop: Header=BB2040_388 Depth=2
	ds_load_u16 v60, v93 offset:6144
	s_wait_dscnt 0x0
	v_cmp_ne_u16_e64 s25, 0x7fff, v60
	s_delay_alu instid0(VALU_DEP_1) | instskip(SKIP_1) | instid1(VALU_DEP_2)
	v_cndmask_b32_e64 v61, 0xffff8000, v60, s25
	v_cmp_lt_i16_e64 s25, -1, v60
	v_and_b32_e32 v61, 0xffff, v61
	s_delay_alu instid0(VALU_DEP_2) | instskip(NEXT) | instid1(VALU_DEP_1)
	v_cndmask_b32_e64 v140, 0xffff8000, -1, s25
	v_dual_lshrrev_b32 v61, s48, v61 :: v_dual_bitop2_b32 v60, v140, v60 bitop3:0x14
	s_delay_alu instid0(VALU_DEP_1) | instskip(NEXT) | instid1(VALU_DEP_1)
	v_and_b32_e32 v61, s52, v61
	v_lshlrev_b32_e32 v61, 2, v61
	ds_load_b32 v61, v61
	s_wait_dscnt 0x0
	v_add_nc_u32_e32 v61, v61, v77
	global_store_b16 v61, v60, s[40:41] scale_offset
	s_wait_xcnt 0x0
	s_or_b32 exec_lo, exec_lo, s26
	v_cmp_lt_u32_e64 s25, v78, v139
	s_and_saveexec_b32 s27, s25
	s_cbranch_execz .LBB2040_478
.LBB2040_546:                           ;   in Loop: Header=BB2040_388 Depth=2
	ds_load_u16 v60, v93 offset:6656
	s_wait_dscnt 0x0
	v_cmp_ne_u16_e64 s26, 0x7fff, v60
	s_delay_alu instid0(VALU_DEP_1) | instskip(SKIP_1) | instid1(VALU_DEP_2)
	v_cndmask_b32_e64 v61, 0xffff8000, v60, s26
	v_cmp_lt_i16_e64 s26, -1, v60
	v_and_b32_e32 v61, 0xffff, v61
	s_delay_alu instid0(VALU_DEP_2) | instskip(NEXT) | instid1(VALU_DEP_1)
	v_cndmask_b32_e64 v140, 0xffff8000, -1, s26
	v_dual_lshrrev_b32 v61, s48, v61 :: v_dual_bitop2_b32 v60, v140, v60 bitop3:0x14
	s_delay_alu instid0(VALU_DEP_1) | instskip(NEXT) | instid1(VALU_DEP_1)
	v_and_b32_e32 v61, s52, v61
	v_lshlrev_b32_e32 v61, 2, v61
	ds_load_b32 v61, v61
	s_wait_dscnt 0x0
	v_add_nc_u32_e32 v61, v61, v78
	global_store_b16 v61, v60, s[40:41] scale_offset
	s_wait_xcnt 0x0
	s_or_b32 exec_lo, exec_lo, s27
	v_cmp_lt_u32_e64 s26, v79, v139
	s_and_saveexec_b32 s28, s26
	s_cbranch_execz .LBB2040_479
.LBB2040_547:                           ;   in Loop: Header=BB2040_388 Depth=2
	ds_load_u16 v60, v93 offset:7168
	s_wait_dscnt 0x0
	v_cmp_ne_u16_e64 s27, 0x7fff, v60
	s_delay_alu instid0(VALU_DEP_1) | instskip(SKIP_1) | instid1(VALU_DEP_2)
	v_cndmask_b32_e64 v61, 0xffff8000, v60, s27
	v_cmp_lt_i16_e64 s27, -1, v60
	v_and_b32_e32 v61, 0xffff, v61
	s_delay_alu instid0(VALU_DEP_2) | instskip(NEXT) | instid1(VALU_DEP_1)
	v_cndmask_b32_e64 v140, 0xffff8000, -1, s27
	v_dual_lshrrev_b32 v61, s48, v61 :: v_dual_bitop2_b32 v60, v140, v60 bitop3:0x14
	s_delay_alu instid0(VALU_DEP_1) | instskip(NEXT) | instid1(VALU_DEP_1)
	v_and_b32_e32 v61, s52, v61
	v_lshlrev_b32_e32 v61, 2, v61
	ds_load_b32 v61, v61
	s_wait_dscnt 0x0
	v_add_nc_u32_e32 v61, v61, v79
	global_store_b16 v61, v60, s[40:41] scale_offset
	s_wait_xcnt 0x0
	s_or_b32 exec_lo, exec_lo, s28
	v_cmp_lt_u32_e64 s27, v80, v139
	s_and_saveexec_b32 s29, s27
	s_cbranch_execz .LBB2040_480
.LBB2040_548:                           ;   in Loop: Header=BB2040_388 Depth=2
	ds_load_u16 v60, v93 offset:7680
	s_wait_dscnt 0x0
	v_cmp_ne_u16_e64 s28, 0x7fff, v60
	s_delay_alu instid0(VALU_DEP_1) | instskip(SKIP_1) | instid1(VALU_DEP_2)
	v_cndmask_b32_e64 v61, 0xffff8000, v60, s28
	v_cmp_lt_i16_e64 s28, -1, v60
	v_and_b32_e32 v61, 0xffff, v61
	s_delay_alu instid0(VALU_DEP_2) | instskip(NEXT) | instid1(VALU_DEP_1)
	v_cndmask_b32_e64 v140, 0xffff8000, -1, s28
	v_dual_lshrrev_b32 v61, s48, v61 :: v_dual_bitop2_b32 v60, v140, v60 bitop3:0x14
	s_delay_alu instid0(VALU_DEP_1) | instskip(NEXT) | instid1(VALU_DEP_1)
	v_and_b32_e32 v61, s52, v61
	v_lshlrev_b32_e32 v61, 2, v61
	ds_load_b32 v61, v61
	s_wait_dscnt 0x0
	v_add_nc_u32_e32 v61, v61, v80
	global_store_b16 v61, v60, s[40:41] scale_offset
	s_wait_xcnt 0x0
	s_or_b32 exec_lo, exec_lo, s29
	v_cmp_lt_u32_e64 s28, v81, v139
	s_and_saveexec_b32 s30, s28
	s_cbranch_execz .LBB2040_481
.LBB2040_549:                           ;   in Loop: Header=BB2040_388 Depth=2
	ds_load_u16 v60, v93 offset:8192
	s_wait_dscnt 0x0
	v_cmp_ne_u16_e64 s29, 0x7fff, v60
	s_delay_alu instid0(VALU_DEP_1) | instskip(SKIP_1) | instid1(VALU_DEP_2)
	v_cndmask_b32_e64 v61, 0xffff8000, v60, s29
	v_cmp_lt_i16_e64 s29, -1, v60
	v_and_b32_e32 v61, 0xffff, v61
	s_delay_alu instid0(VALU_DEP_2) | instskip(NEXT) | instid1(VALU_DEP_1)
	v_cndmask_b32_e64 v140, 0xffff8000, -1, s29
	v_dual_lshrrev_b32 v61, s48, v61 :: v_dual_bitop2_b32 v60, v140, v60 bitop3:0x14
	s_delay_alu instid0(VALU_DEP_1) | instskip(NEXT) | instid1(VALU_DEP_1)
	v_and_b32_e32 v61, s52, v61
	v_lshlrev_b32_e32 v61, 2, v61
	ds_load_b32 v61, v61
	s_wait_dscnt 0x0
	v_add_nc_u32_e32 v61, v61, v81
	global_store_b16 v61, v60, s[40:41] scale_offset
	s_wait_xcnt 0x0
	s_or_b32 exec_lo, exec_lo, s30
	v_cmp_lt_u32_e64 s29, v82, v139
	s_and_saveexec_b32 s58, s29
	s_cbranch_execnz .LBB2040_482
	s_branch .LBB2040_483
.LBB2040_550:                           ;   in Loop: Header=BB2040_388 Depth=2
	global_load_b64 v[58:59], v[60:61], off
	s_wait_xcnt 0x0
	s_or_b32 exec_lo, exec_lo, s30
	s_delay_alu instid0(SALU_CYCLE_1)
	s_mov_b32 s42, exec_lo
	v_cmpx_lt_u32_e64 v103, v139
	s_cbranch_execz .LBB2040_485
.LBB2040_551:                           ;   in Loop: Header=BB2040_388 Depth=2
	global_load_b64 v[56:57], v[60:61], off offset:256
	s_wait_xcnt 0x0
	s_or_b32 exec_lo, exec_lo, s42
	s_delay_alu instid0(SALU_CYCLE_1)
	s_mov_b32 s42, exec_lo
	v_cmpx_lt_u32_e64 v104, v139
	s_cbranch_execz .LBB2040_486
.LBB2040_552:                           ;   in Loop: Header=BB2040_388 Depth=2
	global_load_b64 v[54:55], v[60:61], off offset:512
	s_wait_xcnt 0x0
	s_or_b32 exec_lo, exec_lo, s42
	s_delay_alu instid0(SALU_CYCLE_1)
	s_mov_b32 s42, exec_lo
	v_cmpx_lt_u32_e64 v105, v139
	s_cbranch_execz .LBB2040_487
.LBB2040_553:                           ;   in Loop: Header=BB2040_388 Depth=2
	global_load_b64 v[52:53], v[60:61], off offset:768
	s_wait_xcnt 0x0
	s_or_b32 exec_lo, exec_lo, s42
	s_delay_alu instid0(SALU_CYCLE_1)
	s_mov_b32 s42, exec_lo
	v_cmpx_lt_u32_e64 v106, v139
	s_cbranch_execz .LBB2040_488
.LBB2040_554:                           ;   in Loop: Header=BB2040_388 Depth=2
	global_load_b64 v[50:51], v[60:61], off offset:1024
	s_wait_xcnt 0x0
	s_or_b32 exec_lo, exec_lo, s42
	s_delay_alu instid0(SALU_CYCLE_1)
	s_mov_b32 s42, exec_lo
	v_cmpx_lt_u32_e64 v107, v139
	s_cbranch_execz .LBB2040_489
.LBB2040_555:                           ;   in Loop: Header=BB2040_388 Depth=2
	global_load_b64 v[48:49], v[60:61], off offset:1280
	s_wait_xcnt 0x0
	s_or_b32 exec_lo, exec_lo, s42
	s_delay_alu instid0(SALU_CYCLE_1)
	s_mov_b32 s42, exec_lo
	v_cmpx_lt_u32_e64 v108, v139
	s_cbranch_execz .LBB2040_490
.LBB2040_556:                           ;   in Loop: Header=BB2040_388 Depth=2
	global_load_b64 v[46:47], v[60:61], off offset:1536
	s_wait_xcnt 0x0
	s_or_b32 exec_lo, exec_lo, s42
	s_delay_alu instid0(SALU_CYCLE_1)
	s_mov_b32 s42, exec_lo
	v_cmpx_lt_u32_e64 v109, v139
	s_cbranch_execz .LBB2040_491
.LBB2040_557:                           ;   in Loop: Header=BB2040_388 Depth=2
	global_load_b64 v[44:45], v[60:61], off offset:1792
	s_wait_xcnt 0x0
	s_or_b32 exec_lo, exec_lo, s42
	s_delay_alu instid0(SALU_CYCLE_1)
	s_mov_b32 s42, exec_lo
	v_cmpx_lt_u32_e64 v110, v139
	s_cbranch_execz .LBB2040_492
.LBB2040_558:                           ;   in Loop: Header=BB2040_388 Depth=2
	global_load_b64 v[42:43], v[60:61], off offset:2048
	s_wait_xcnt 0x0
	s_or_b32 exec_lo, exec_lo, s42
	s_delay_alu instid0(SALU_CYCLE_1)
	s_mov_b32 s42, exec_lo
	v_cmpx_lt_u32_e64 v111, v139
	s_cbranch_execz .LBB2040_493
.LBB2040_559:                           ;   in Loop: Header=BB2040_388 Depth=2
	global_load_b64 v[40:41], v[60:61], off offset:2304
	s_wait_xcnt 0x0
	s_or_b32 exec_lo, exec_lo, s42
	s_delay_alu instid0(SALU_CYCLE_1)
	s_mov_b32 s42, exec_lo
	v_cmpx_lt_u32_e64 v112, v139
	s_cbranch_execz .LBB2040_494
.LBB2040_560:                           ;   in Loop: Header=BB2040_388 Depth=2
	global_load_b64 v[38:39], v[60:61], off offset:2560
	s_wait_xcnt 0x0
	s_or_b32 exec_lo, exec_lo, s42
	s_delay_alu instid0(SALU_CYCLE_1)
	s_mov_b32 s42, exec_lo
	v_cmpx_lt_u32_e64 v113, v139
	s_cbranch_execz .LBB2040_495
.LBB2040_561:                           ;   in Loop: Header=BB2040_388 Depth=2
	global_load_b64 v[36:37], v[60:61], off offset:2816
	s_wait_xcnt 0x0
	s_or_b32 exec_lo, exec_lo, s42
	s_delay_alu instid0(SALU_CYCLE_1)
	s_mov_b32 s42, exec_lo
	v_cmpx_lt_u32_e64 v114, v139
	s_cbranch_execz .LBB2040_496
.LBB2040_562:                           ;   in Loop: Header=BB2040_388 Depth=2
	global_load_b64 v[34:35], v[60:61], off offset:3072
	s_wait_xcnt 0x0
	s_or_b32 exec_lo, exec_lo, s42
	s_delay_alu instid0(SALU_CYCLE_1)
	s_mov_b32 s42, exec_lo
	v_cmpx_lt_u32_e64 v115, v139
	s_cbranch_execz .LBB2040_497
.LBB2040_563:                           ;   in Loop: Header=BB2040_388 Depth=2
	global_load_b64 v[32:33], v[60:61], off offset:3328
	s_wait_xcnt 0x0
	s_or_b32 exec_lo, exec_lo, s42
	s_delay_alu instid0(SALU_CYCLE_1)
	s_mov_b32 s42, exec_lo
	v_cmpx_lt_u32_e64 v116, v139
	s_cbranch_execz .LBB2040_498
.LBB2040_564:                           ;   in Loop: Header=BB2040_388 Depth=2
	global_load_b64 v[30:31], v[60:61], off offset:3584
	s_wait_xcnt 0x0
	s_or_b32 exec_lo, exec_lo, s42
	s_delay_alu instid0(SALU_CYCLE_1)
	s_mov_b32 s42, exec_lo
	v_cmpx_lt_u32_e64 v117, v139
	s_cbranch_execz .LBB2040_499
.LBB2040_565:                           ;   in Loop: Header=BB2040_388 Depth=2
	global_load_b64 v[28:29], v[60:61], off offset:3840
	s_wait_xcnt 0x0
	s_or_b32 exec_lo, exec_lo, s42
	s_and_saveexec_b32 s42, vcc_lo
	s_cbranch_execz .LBB2040_500
.LBB2040_566:                           ;   in Loop: Header=BB2040_388 Depth=2
	ds_load_u16 v60, v93 offset:1024
	s_wait_dscnt 0x0
	v_cmp_ne_u16_e64 s30, 0x7fff, v60
	s_delay_alu instid0(VALU_DEP_1) | instskip(NEXT) | instid1(VALU_DEP_1)
	v_cndmask_b32_e64 v60, 0xffff8000, v60, s30
	v_and_b32_e32 v60, 0xffff, v60
	s_delay_alu instid0(VALU_DEP_1) | instskip(NEXT) | instid1(VALU_DEP_1)
	v_lshrrev_b32_e32 v60, s48, v60
	v_and_b32_e32 v138, s52, v60
	s_or_b32 exec_lo, exec_lo, s42
	s_and_saveexec_b32 s42, s15
	s_cbranch_execz .LBB2040_501
.LBB2040_567:                           ;   in Loop: Header=BB2040_388 Depth=2
	ds_load_u16 v60, v93 offset:1536
	s_wait_dscnt 0x0
	v_cmp_ne_u16_e64 s30, 0x7fff, v60
	s_delay_alu instid0(VALU_DEP_1) | instskip(NEXT) | instid1(VALU_DEP_1)
	v_cndmask_b32_e64 v60, 0xffff8000, v60, s30
	v_and_b32_e32 v60, 0xffff, v60
	s_delay_alu instid0(VALU_DEP_1) | instskip(NEXT) | instid1(VALU_DEP_1)
	v_lshrrev_b32_e32 v60, s48, v60
	v_and_b32_e32 v137, s52, v60
	s_or_b32 exec_lo, exec_lo, s42
	s_and_saveexec_b32 s42, s16
	s_cbranch_execz .LBB2040_502
.LBB2040_568:                           ;   in Loop: Header=BB2040_388 Depth=2
	ds_load_u16 v60, v93 offset:2048
	s_wait_dscnt 0x0
	v_cmp_ne_u16_e64 s30, 0x7fff, v60
	s_delay_alu instid0(VALU_DEP_1) | instskip(NEXT) | instid1(VALU_DEP_1)
	v_cndmask_b32_e64 v60, 0xffff8000, v60, s30
	v_and_b32_e32 v60, 0xffff, v60
	s_delay_alu instid0(VALU_DEP_1) | instskip(NEXT) | instid1(VALU_DEP_1)
	v_lshrrev_b32_e32 v60, s48, v60
	v_and_b32_e32 v136, s52, v60
	s_or_b32 exec_lo, exec_lo, s42
	s_and_saveexec_b32 s42, s17
	s_cbranch_execz .LBB2040_503
.LBB2040_569:                           ;   in Loop: Header=BB2040_388 Depth=2
	ds_load_u16 v60, v93 offset:2560
	s_wait_dscnt 0x0
	v_cmp_ne_u16_e64 s30, 0x7fff, v60
	s_delay_alu instid0(VALU_DEP_1) | instskip(NEXT) | instid1(VALU_DEP_1)
	v_cndmask_b32_e64 v60, 0xffff8000, v60, s30
	v_and_b32_e32 v60, 0xffff, v60
	s_delay_alu instid0(VALU_DEP_1) | instskip(NEXT) | instid1(VALU_DEP_1)
	v_lshrrev_b32_e32 v60, s48, v60
	v_and_b32_e32 v135, s52, v60
	s_or_b32 exec_lo, exec_lo, s42
	s_and_saveexec_b32 s42, s18
	s_cbranch_execz .LBB2040_504
.LBB2040_570:                           ;   in Loop: Header=BB2040_388 Depth=2
	ds_load_u16 v60, v93 offset:3072
	s_wait_dscnt 0x0
	v_cmp_ne_u16_e64 s30, 0x7fff, v60
	s_delay_alu instid0(VALU_DEP_1) | instskip(NEXT) | instid1(VALU_DEP_1)
	v_cndmask_b32_e64 v60, 0xffff8000, v60, s30
	v_and_b32_e32 v60, 0xffff, v60
	s_delay_alu instid0(VALU_DEP_1) | instskip(NEXT) | instid1(VALU_DEP_1)
	v_lshrrev_b32_e32 v60, s48, v60
	v_and_b32_e32 v134, s52, v60
	s_or_b32 exec_lo, exec_lo, s42
	s_and_saveexec_b32 s42, s19
	s_cbranch_execz .LBB2040_505
.LBB2040_571:                           ;   in Loop: Header=BB2040_388 Depth=2
	ds_load_u16 v60, v93 offset:3584
	s_wait_dscnt 0x0
	v_cmp_ne_u16_e64 s30, 0x7fff, v60
	s_delay_alu instid0(VALU_DEP_1) | instskip(NEXT) | instid1(VALU_DEP_1)
	v_cndmask_b32_e64 v60, 0xffff8000, v60, s30
	v_and_b32_e32 v60, 0xffff, v60
	s_delay_alu instid0(VALU_DEP_1) | instskip(NEXT) | instid1(VALU_DEP_1)
	v_lshrrev_b32_e32 v60, s48, v60
	v_and_b32_e32 v133, s52, v60
	s_or_b32 exec_lo, exec_lo, s42
	s_and_saveexec_b32 s42, s20
	s_cbranch_execz .LBB2040_506
.LBB2040_572:                           ;   in Loop: Header=BB2040_388 Depth=2
	ds_load_u16 v60, v93 offset:4096
	s_wait_dscnt 0x0
	v_cmp_ne_u16_e64 s30, 0x7fff, v60
	s_delay_alu instid0(VALU_DEP_1) | instskip(NEXT) | instid1(VALU_DEP_1)
	v_cndmask_b32_e64 v60, 0xffff8000, v60, s30
	v_and_b32_e32 v60, 0xffff, v60
	s_delay_alu instid0(VALU_DEP_1) | instskip(NEXT) | instid1(VALU_DEP_1)
	v_lshrrev_b32_e32 v60, s48, v60
	v_and_b32_e32 v132, s52, v60
	s_or_b32 exec_lo, exec_lo, s42
	s_and_saveexec_b32 s42, s21
	s_cbranch_execz .LBB2040_507
.LBB2040_573:                           ;   in Loop: Header=BB2040_388 Depth=2
	ds_load_u16 v60, v93 offset:4608
	s_wait_dscnt 0x0
	v_cmp_ne_u16_e64 s30, 0x7fff, v60
	s_delay_alu instid0(VALU_DEP_1) | instskip(NEXT) | instid1(VALU_DEP_1)
	v_cndmask_b32_e64 v60, 0xffff8000, v60, s30
	v_and_b32_e32 v60, 0xffff, v60
	s_delay_alu instid0(VALU_DEP_1) | instskip(NEXT) | instid1(VALU_DEP_1)
	v_lshrrev_b32_e32 v60, s48, v60
	v_and_b32_e32 v131, s52, v60
	s_or_b32 exec_lo, exec_lo, s42
	s_and_saveexec_b32 s42, s22
	s_cbranch_execz .LBB2040_508
.LBB2040_574:                           ;   in Loop: Header=BB2040_388 Depth=2
	ds_load_u16 v60, v93 offset:5120
	s_wait_dscnt 0x0
	v_cmp_ne_u16_e64 s30, 0x7fff, v60
	s_delay_alu instid0(VALU_DEP_1) | instskip(NEXT) | instid1(VALU_DEP_1)
	v_cndmask_b32_e64 v60, 0xffff8000, v60, s30
	v_and_b32_e32 v60, 0xffff, v60
	s_delay_alu instid0(VALU_DEP_1) | instskip(NEXT) | instid1(VALU_DEP_1)
	v_lshrrev_b32_e32 v60, s48, v60
	v_and_b32_e32 v130, s52, v60
	s_or_b32 exec_lo, exec_lo, s42
	s_and_saveexec_b32 s42, s23
	s_cbranch_execz .LBB2040_509
.LBB2040_575:                           ;   in Loop: Header=BB2040_388 Depth=2
	ds_load_u16 v60, v93 offset:5632
	s_wait_dscnt 0x0
	v_cmp_ne_u16_e64 s30, 0x7fff, v60
	s_delay_alu instid0(VALU_DEP_1) | instskip(NEXT) | instid1(VALU_DEP_1)
	v_cndmask_b32_e64 v60, 0xffff8000, v60, s30
	v_and_b32_e32 v60, 0xffff, v60
	s_delay_alu instid0(VALU_DEP_1) | instskip(NEXT) | instid1(VALU_DEP_1)
	v_lshrrev_b32_e32 v60, s48, v60
	v_and_b32_e32 v129, s52, v60
	s_or_b32 exec_lo, exec_lo, s42
	s_and_saveexec_b32 s42, s24
	s_cbranch_execz .LBB2040_510
.LBB2040_576:                           ;   in Loop: Header=BB2040_388 Depth=2
	ds_load_u16 v60, v93 offset:6144
	s_wait_dscnt 0x0
	v_cmp_ne_u16_e64 s30, 0x7fff, v60
	s_delay_alu instid0(VALU_DEP_1) | instskip(NEXT) | instid1(VALU_DEP_1)
	v_cndmask_b32_e64 v60, 0xffff8000, v60, s30
	v_and_b32_e32 v60, 0xffff, v60
	s_delay_alu instid0(VALU_DEP_1) | instskip(NEXT) | instid1(VALU_DEP_1)
	v_lshrrev_b32_e32 v60, s48, v60
	v_and_b32_e32 v128, s52, v60
	s_or_b32 exec_lo, exec_lo, s42
	s_and_saveexec_b32 s42, s25
	s_cbranch_execz .LBB2040_511
.LBB2040_577:                           ;   in Loop: Header=BB2040_388 Depth=2
	ds_load_u16 v60, v93 offset:6656
	s_wait_dscnt 0x0
	v_cmp_ne_u16_e64 s30, 0x7fff, v60
	s_delay_alu instid0(VALU_DEP_1) | instskip(NEXT) | instid1(VALU_DEP_1)
	v_cndmask_b32_e64 v60, 0xffff8000, v60, s30
	v_and_b32_e32 v60, 0xffff, v60
	s_delay_alu instid0(VALU_DEP_1) | instskip(NEXT) | instid1(VALU_DEP_1)
	v_lshrrev_b32_e32 v60, s48, v60
	v_and_b32_e32 v127, s52, v60
	s_or_b32 exec_lo, exec_lo, s42
	s_and_saveexec_b32 s42, s26
	s_cbranch_execz .LBB2040_512
.LBB2040_578:                           ;   in Loop: Header=BB2040_388 Depth=2
	ds_load_u16 v60, v93 offset:7168
	s_wait_dscnt 0x0
	v_cmp_ne_u16_e64 s30, 0x7fff, v60
	s_delay_alu instid0(VALU_DEP_1) | instskip(NEXT) | instid1(VALU_DEP_1)
	v_cndmask_b32_e64 v60, 0xffff8000, v60, s30
	v_and_b32_e32 v60, 0xffff, v60
	s_delay_alu instid0(VALU_DEP_1) | instskip(NEXT) | instid1(VALU_DEP_1)
	v_lshrrev_b32_e32 v60, s48, v60
	v_and_b32_e32 v126, s52, v60
	s_or_b32 exec_lo, exec_lo, s42
	s_and_saveexec_b32 s42, s27
	s_cbranch_execz .LBB2040_513
.LBB2040_579:                           ;   in Loop: Header=BB2040_388 Depth=2
	ds_load_u16 v60, v93 offset:7680
	s_wait_dscnt 0x0
	v_cmp_ne_u16_e64 s30, 0x7fff, v60
	s_delay_alu instid0(VALU_DEP_1) | instskip(NEXT) | instid1(VALU_DEP_1)
	v_cndmask_b32_e64 v60, 0xffff8000, v60, s30
	v_and_b32_e32 v60, 0xffff, v60
	s_delay_alu instid0(VALU_DEP_1) | instskip(NEXT) | instid1(VALU_DEP_1)
	v_lshrrev_b32_e32 v60, s48, v60
	v_and_b32_e32 v125, s52, v60
	s_or_b32 exec_lo, exec_lo, s42
	s_and_saveexec_b32 s42, s28
	s_cbranch_execz .LBB2040_514
.LBB2040_580:                           ;   in Loop: Header=BB2040_388 Depth=2
	ds_load_u16 v60, v93 offset:8192
	s_wait_dscnt 0x0
	v_cmp_ne_u16_e64 s30, 0x7fff, v60
	s_delay_alu instid0(VALU_DEP_1) | instskip(NEXT) | instid1(VALU_DEP_1)
	v_cndmask_b32_e64 v60, 0xffff8000, v60, s30
	v_and_b32_e32 v60, 0xffff, v60
	s_delay_alu instid0(VALU_DEP_1) | instskip(NEXT) | instid1(VALU_DEP_1)
	v_lshrrev_b32_e32 v60, s48, v60
	v_and_b32_e32 v124, s52, v60
	s_or_b32 exec_lo, exec_lo, s42
	s_and_saveexec_b32 s42, s29
	s_cbranch_execnz .LBB2040_515
	s_branch .LBB2040_516
.LBB2040_581:                           ;   in Loop: Header=BB2040_388 Depth=2
	v_lshlrev_b32_e32 v60, 2, v138
	v_add_nc_u32_e32 v61, v93, v94
	ds_load_b32 v63, v60
	ds_load_b64 v[60:61], v61 offset:1024
	s_wait_dscnt 0x1
	v_add_nc_u32_e32 v63, v63, v2
	s_wait_dscnt 0x0
	global_store_b64 v63, v[60:61], s[46:47] scale_offset
	s_wait_xcnt 0x0
	s_or_b32 exec_lo, exec_lo, s30
	s_and_saveexec_b32 s30, s15
	s_cbranch_execz .LBB2040_518
.LBB2040_582:                           ;   in Loop: Header=BB2040_388 Depth=2
	v_dual_lshlrev_b32 v60, 2, v137 :: v_dual_add_nc_u32 v61, v93, v94
	ds_load_b32 v63, v60
	ds_load_b64 v[60:61], v61 offset:3072
	s_wait_dscnt 0x1
	v_add_nc_u32_e32 v63, v63, v68
	s_wait_dscnt 0x0
	global_store_b64 v63, v[60:61], s[46:47] scale_offset
	s_wait_xcnt 0x0
	s_or_b32 exec_lo, exec_lo, s30
	s_and_saveexec_b32 s15, s16
	s_cbranch_execz .LBB2040_519
.LBB2040_583:                           ;   in Loop: Header=BB2040_388 Depth=2
	v_dual_lshlrev_b32 v60, 2, v136 :: v_dual_add_nc_u32 v61, v93, v94
	ds_load_b32 v63, v60
	ds_load_b64 v[60:61], v61 offset:5120
	s_wait_dscnt 0x1
	v_add_nc_u32_e32 v63, v63, v69
	s_wait_dscnt 0x0
	global_store_b64 v63, v[60:61], s[46:47] scale_offset
	s_wait_xcnt 0x0
	s_or_b32 exec_lo, exec_lo, s15
	s_and_saveexec_b32 s15, s17
	s_cbranch_execz .LBB2040_520
.LBB2040_584:                           ;   in Loop: Header=BB2040_388 Depth=2
	v_dual_lshlrev_b32 v60, 2, v135 :: v_dual_add_nc_u32 v61, v93, v94
	ds_load_b32 v63, v60
	ds_load_b64 v[60:61], v61 offset:7168
	s_wait_dscnt 0x1
	v_add_nc_u32_e32 v63, v63, v70
	s_wait_dscnt 0x0
	global_store_b64 v63, v[60:61], s[46:47] scale_offset
	s_wait_xcnt 0x0
	s_or_b32 exec_lo, exec_lo, s15
	s_and_saveexec_b32 s15, s18
	s_cbranch_execz .LBB2040_521
.LBB2040_585:                           ;   in Loop: Header=BB2040_388 Depth=2
	v_lshlrev_b32_e32 v60, 2, v134
	v_add_nc_u32_e32 v61, v93, v94
	ds_load_b32 v63, v60
	ds_load_b64 v[60:61], v61 offset:9216
	s_wait_dscnt 0x1
	v_add_nc_u32_e32 v63, v63, v71
	s_wait_dscnt 0x0
	global_store_b64 v63, v[60:61], s[46:47] scale_offset
	s_wait_xcnt 0x0
	s_or_b32 exec_lo, exec_lo, s15
	s_and_saveexec_b32 s15, s19
	s_cbranch_execz .LBB2040_522
.LBB2040_586:                           ;   in Loop: Header=BB2040_388 Depth=2
	v_dual_lshlrev_b32 v60, 2, v133 :: v_dual_add_nc_u32 v61, v93, v94
	ds_load_b32 v63, v60
	ds_load_b64 v[60:61], v61 offset:11264
	s_wait_dscnt 0x1
	v_add_nc_u32_e32 v63, v63, v72
	s_wait_dscnt 0x0
	global_store_b64 v63, v[60:61], s[46:47] scale_offset
	s_wait_xcnt 0x0
	s_or_b32 exec_lo, exec_lo, s15
	s_and_saveexec_b32 s15, s20
	s_cbranch_execz .LBB2040_523
.LBB2040_587:                           ;   in Loop: Header=BB2040_388 Depth=2
	v_dual_lshlrev_b32 v60, 2, v132 :: v_dual_add_nc_u32 v61, v93, v94
	ds_load_b32 v63, v60
	ds_load_b64 v[60:61], v61 offset:13312
	s_wait_dscnt 0x1
	v_add_nc_u32_e32 v63, v63, v73
	s_wait_dscnt 0x0
	global_store_b64 v63, v[60:61], s[46:47] scale_offset
	s_wait_xcnt 0x0
	s_or_b32 exec_lo, exec_lo, s15
	s_and_saveexec_b32 s15, s21
	s_cbranch_execz .LBB2040_524
.LBB2040_588:                           ;   in Loop: Header=BB2040_388 Depth=2
	v_dual_lshlrev_b32 v60, 2, v131 :: v_dual_add_nc_u32 v61, v93, v94
	ds_load_b32 v63, v60
	ds_load_b64 v[60:61], v61 offset:15360
	s_wait_dscnt 0x1
	v_add_nc_u32_e32 v63, v63, v74
	s_wait_dscnt 0x0
	global_store_b64 v63, v[60:61], s[46:47] scale_offset
	s_wait_xcnt 0x0
	s_or_b32 exec_lo, exec_lo, s15
	s_and_saveexec_b32 s15, s22
	s_cbranch_execz .LBB2040_525
.LBB2040_589:                           ;   in Loop: Header=BB2040_388 Depth=2
	v_lshlrev_b32_e32 v60, 2, v130
	v_add_nc_u32_e32 v61, v93, v94
	ds_load_b32 v63, v60
	ds_load_b64 v[60:61], v61 offset:17408
	s_wait_dscnt 0x1
	v_add_nc_u32_e32 v63, v63, v75
	s_wait_dscnt 0x0
	global_store_b64 v63, v[60:61], s[46:47] scale_offset
	s_wait_xcnt 0x0
	s_or_b32 exec_lo, exec_lo, s15
	s_and_saveexec_b32 s15, s23
	s_cbranch_execz .LBB2040_526
.LBB2040_590:                           ;   in Loop: Header=BB2040_388 Depth=2
	v_dual_lshlrev_b32 v60, 2, v129 :: v_dual_add_nc_u32 v61, v93, v94
	ds_load_b32 v63, v60
	ds_load_b64 v[60:61], v61 offset:19456
	s_wait_dscnt 0x1
	v_add_nc_u32_e32 v63, v63, v76
	s_wait_dscnt 0x0
	global_store_b64 v63, v[60:61], s[46:47] scale_offset
	s_wait_xcnt 0x0
	s_or_b32 exec_lo, exec_lo, s15
	s_and_saveexec_b32 s15, s24
	s_cbranch_execz .LBB2040_527
.LBB2040_591:                           ;   in Loop: Header=BB2040_388 Depth=2
	v_dual_lshlrev_b32 v60, 2, v128 :: v_dual_add_nc_u32 v61, v93, v94
	ds_load_b32 v63, v60
	ds_load_b64 v[60:61], v61 offset:21504
	s_wait_dscnt 0x1
	v_add_nc_u32_e32 v63, v63, v77
	s_wait_dscnt 0x0
	global_store_b64 v63, v[60:61], s[46:47] scale_offset
	s_wait_xcnt 0x0
	s_or_b32 exec_lo, exec_lo, s15
	s_and_saveexec_b32 s15, s25
	s_cbranch_execz .LBB2040_528
.LBB2040_592:                           ;   in Loop: Header=BB2040_388 Depth=2
	v_dual_lshlrev_b32 v60, 2, v127 :: v_dual_add_nc_u32 v61, v93, v94
	ds_load_b32 v63, v60
	ds_load_b64 v[60:61], v61 offset:23552
	s_wait_dscnt 0x1
	v_add_nc_u32_e32 v63, v63, v78
	s_wait_dscnt 0x0
	global_store_b64 v63, v[60:61], s[46:47] scale_offset
	s_wait_xcnt 0x0
	s_or_b32 exec_lo, exec_lo, s15
	s_and_saveexec_b32 s15, s26
	s_cbranch_execz .LBB2040_529
.LBB2040_593:                           ;   in Loop: Header=BB2040_388 Depth=2
	v_lshlrev_b32_e32 v60, 2, v126
	v_add_nc_u32_e32 v61, v93, v94
	ds_load_b32 v63, v60
	ds_load_b64 v[60:61], v61 offset:25600
	s_wait_dscnt 0x1
	v_add_nc_u32_e32 v63, v63, v79
	s_wait_dscnt 0x0
	global_store_b64 v63, v[60:61], s[46:47] scale_offset
	s_wait_xcnt 0x0
	s_or_b32 exec_lo, exec_lo, s15
	s_and_saveexec_b32 s15, s27
	s_cbranch_execz .LBB2040_530
.LBB2040_594:                           ;   in Loop: Header=BB2040_388 Depth=2
	v_dual_lshlrev_b32 v60, 2, v125 :: v_dual_add_nc_u32 v61, v93, v94
	ds_load_b32 v63, v60
	ds_load_b64 v[60:61], v61 offset:27648
	s_wait_dscnt 0x1
	v_add_nc_u32_e32 v63, v63, v80
	s_wait_dscnt 0x0
	global_store_b64 v63, v[60:61], s[46:47] scale_offset
	s_wait_xcnt 0x0
	s_or_b32 exec_lo, exec_lo, s15
	s_and_saveexec_b32 s15, s28
	s_cbranch_execz .LBB2040_531
.LBB2040_595:                           ;   in Loop: Header=BB2040_388 Depth=2
	v_dual_lshlrev_b32 v60, 2, v124 :: v_dual_add_nc_u32 v61, v93, v94
	ds_load_b32 v63, v60
	ds_load_b64 v[60:61], v61 offset:29696
	s_wait_dscnt 0x1
	v_add_nc_u32_e32 v63, v63, v81
	s_wait_dscnt 0x0
	global_store_b64 v63, v[60:61], s[46:47] scale_offset
	s_wait_xcnt 0x0
	s_or_b32 exec_lo, exec_lo, s15
	s_and_saveexec_b32 s15, s29
	s_cbranch_execnz .LBB2040_532
	s_branch .LBB2040_533
.LBB2040_596:                           ;   in Loop: Header=BB2040_12 Depth=1
	s_wait_dscnt 0x0
	s_barrier_signal -1
	s_barrier_wait -1
.LBB2040_597:                           ;   in Loop: Header=BB2040_12 Depth=1
	s_mov_b32 s7, 0
.LBB2040_598:                           ;   in Loop: Header=BB2040_12 Depth=1
	s_delay_alu instid0(SALU_CYCLE_1)
	s_and_not1_b32 vcc_lo, exec_lo, s7
	s_cbranch_vccnz .LBB2040_11
; %bb.599:                              ;   in Loop: Header=BB2040_12 Depth=1
	s_and_b32 vcc_lo, exec_lo, s55
	s_mov_b32 s7, -1
	s_cbranch_vccz .LBB2040_891
; %bb.600:                              ;   in Loop: Header=BB2040_12 Depth=1
	s_mov_b32 s7, s56
	s_mov_b32 s42, s54
	s_barrier_signal -1
	s_barrier_wait -1
                                        ; implicit-def: $vgpr23
                                        ; implicit-def: $vgpr24
                                        ; implicit-def: $vgpr25
                                        ; implicit-def: $vgpr26
                                        ; implicit-def: $vgpr27
                                        ; implicit-def: $vgpr28
                                        ; implicit-def: $vgpr29
                                        ; implicit-def: $vgpr30
                                        ; implicit-def: $vgpr31
                                        ; implicit-def: $vgpr32
                                        ; implicit-def: $vgpr33
                                        ; implicit-def: $vgpr34
                                        ; implicit-def: $vgpr35
                                        ; implicit-def: $vgpr36
                                        ; implicit-def: $vgpr37
                                        ; implicit-def: $vgpr38
	s_branch .LBB2040_602
.LBB2040_601:                           ;   in Loop: Header=BB2040_602 Depth=2
	s_or_b32 exec_lo, exec_lo, s8
	s_addk_co_i32 s7, 0xf000
	s_cmp_ge_u32 s10, s51
	s_mov_b32 s42, s10
	s_cbranch_scc1 .LBB2040_670
.LBB2040_602:                           ;   Parent Loop BB2040_12 Depth=1
                                        ; =>  This Inner Loop Header: Depth=2
	s_add_co_i32 s10, s42, 0x1000
	s_mov_b32 s8, -1
	s_cmp_gt_u32 s10, s51
                                        ; implicit-def: $vgpr39
                                        ; implicit-def: $vgpr40
                                        ; implicit-def: $vgpr41
                                        ; implicit-def: $vgpr42
                                        ; implicit-def: $vgpr43
                                        ; implicit-def: $vgpr44
                                        ; implicit-def: $vgpr45
                                        ; implicit-def: $vgpr46
                                        ; implicit-def: $vgpr47
                                        ; implicit-def: $vgpr48
                                        ; implicit-def: $vgpr49
                                        ; implicit-def: $vgpr50
                                        ; implicit-def: $vgpr51
                                        ; implicit-def: $vgpr52
                                        ; implicit-def: $vgpr53
                                        ; implicit-def: $vgpr54
	s_cbranch_scc1 .LBB2040_604
; %bb.603:                              ;   in Loop: Header=BB2040_602 Depth=2
	v_lshl_add_u64 v[54:55], s[42:43], 1, v[16:17]
	s_mov_b32 s8, 0
	s_clause 0xf
	global_load_u16 v39, v[54:55], off
	global_load_u16 v40, v[54:55], off offset:512
	global_load_u16 v41, v[54:55], off offset:1024
	;; [unrolled: 1-line block ×15, first 2 shown]
.LBB2040_604:                           ;   in Loop: Header=BB2040_602 Depth=2
	s_and_not1_b32 vcc_lo, exec_lo, s8
	s_movk_i32 s8, 0x1000
	s_cbranch_vccnz .LBB2040_623
; %bb.605:                              ;   in Loop: Header=BB2040_602 Depth=2
	s_lshl_b64 s[8:9], s[42:43], 1
	s_mov_b32 s11, exec_lo
	s_add_nc_u64 s[8:9], s[36:37], s[8:9]
	s_wait_xcnt 0x0
	v_cmpx_gt_u32_e64 s7, v2
	s_cbranch_execnz .LBB2040_655
; %bb.606:                              ;   in Loop: Header=BB2040_602 Depth=2
	s_or_b32 exec_lo, exec_lo, s11
	s_delay_alu instid0(SALU_CYCLE_1)
	s_mov_b32 s11, exec_lo
	v_cmpx_gt_u32_e64 s7, v68
	s_cbranch_execnz .LBB2040_656
.LBB2040_607:                           ;   in Loop: Header=BB2040_602 Depth=2
	s_or_b32 exec_lo, exec_lo, s11
	s_delay_alu instid0(SALU_CYCLE_1)
	s_mov_b32 s11, exec_lo
	v_cmpx_gt_u32_e64 s7, v69
	s_cbranch_execnz .LBB2040_657
.LBB2040_608:                           ;   in Loop: Header=BB2040_602 Depth=2
	s_or_b32 exec_lo, exec_lo, s11
	s_delay_alu instid0(SALU_CYCLE_1)
	s_mov_b32 s11, exec_lo
	v_cmpx_gt_u32_e64 s7, v70
	s_cbranch_execnz .LBB2040_658
.LBB2040_609:                           ;   in Loop: Header=BB2040_602 Depth=2
	s_or_b32 exec_lo, exec_lo, s11
	s_delay_alu instid0(SALU_CYCLE_1)
	s_mov_b32 s11, exec_lo
	v_cmpx_gt_u32_e64 s7, v71
	s_cbranch_execnz .LBB2040_659
.LBB2040_610:                           ;   in Loop: Header=BB2040_602 Depth=2
	s_or_b32 exec_lo, exec_lo, s11
	s_delay_alu instid0(SALU_CYCLE_1)
	s_mov_b32 s11, exec_lo
	v_cmpx_gt_u32_e64 s7, v72
	s_cbranch_execnz .LBB2040_660
.LBB2040_611:                           ;   in Loop: Header=BB2040_602 Depth=2
	s_or_b32 exec_lo, exec_lo, s11
	s_delay_alu instid0(SALU_CYCLE_1)
	s_mov_b32 s11, exec_lo
	v_cmpx_gt_u32_e64 s7, v73
	s_cbranch_execnz .LBB2040_661
.LBB2040_612:                           ;   in Loop: Header=BB2040_602 Depth=2
	s_or_b32 exec_lo, exec_lo, s11
	s_delay_alu instid0(SALU_CYCLE_1)
	s_mov_b32 s11, exec_lo
	v_cmpx_gt_u32_e64 s7, v74
	s_cbranch_execnz .LBB2040_662
.LBB2040_613:                           ;   in Loop: Header=BB2040_602 Depth=2
	s_or_b32 exec_lo, exec_lo, s11
	s_delay_alu instid0(SALU_CYCLE_1)
	s_mov_b32 s11, exec_lo
	v_cmpx_gt_u32_e64 s7, v75
	s_cbranch_execnz .LBB2040_663
.LBB2040_614:                           ;   in Loop: Header=BB2040_602 Depth=2
	s_or_b32 exec_lo, exec_lo, s11
	s_delay_alu instid0(SALU_CYCLE_1)
	s_mov_b32 s11, exec_lo
	v_cmpx_gt_u32_e64 s7, v76
	s_cbranch_execnz .LBB2040_664
.LBB2040_615:                           ;   in Loop: Header=BB2040_602 Depth=2
	s_or_b32 exec_lo, exec_lo, s11
	s_delay_alu instid0(SALU_CYCLE_1)
	s_mov_b32 s11, exec_lo
	v_cmpx_gt_u32_e64 s7, v77
	s_cbranch_execnz .LBB2040_665
.LBB2040_616:                           ;   in Loop: Header=BB2040_602 Depth=2
	s_or_b32 exec_lo, exec_lo, s11
	s_delay_alu instid0(SALU_CYCLE_1)
	s_mov_b32 s11, exec_lo
	v_cmpx_gt_u32_e64 s7, v78
	s_cbranch_execnz .LBB2040_666
.LBB2040_617:                           ;   in Loop: Header=BB2040_602 Depth=2
	s_or_b32 exec_lo, exec_lo, s11
	s_delay_alu instid0(SALU_CYCLE_1)
	s_mov_b32 s11, exec_lo
	v_cmpx_gt_u32_e64 s7, v79
	s_cbranch_execnz .LBB2040_667
.LBB2040_618:                           ;   in Loop: Header=BB2040_602 Depth=2
	s_or_b32 exec_lo, exec_lo, s11
	s_delay_alu instid0(SALU_CYCLE_1)
	s_mov_b32 s11, exec_lo
	v_cmpx_gt_u32_e64 s7, v80
	s_cbranch_execnz .LBB2040_668
.LBB2040_619:                           ;   in Loop: Header=BB2040_602 Depth=2
	s_or_b32 exec_lo, exec_lo, s11
	s_delay_alu instid0(SALU_CYCLE_1)
	s_mov_b32 s11, exec_lo
	v_cmpx_gt_u32_e64 s7, v81
	s_cbranch_execnz .LBB2040_669
.LBB2040_620:                           ;   in Loop: Header=BB2040_602 Depth=2
	s_or_b32 exec_lo, exec_lo, s11
	s_delay_alu instid0(SALU_CYCLE_1)
	s_mov_b32 s11, exec_lo
	v_cmpx_gt_u32_e64 s7, v82
	s_cbranch_execz .LBB2040_622
.LBB2040_621:                           ;   in Loop: Header=BB2040_602 Depth=2
	global_load_u16 v23, v2, s[8:9] offset:7680 scale_offset
.LBB2040_622:                           ;   in Loop: Header=BB2040_602 Depth=2
	s_wait_xcnt 0x0
	s_or_b32 exec_lo, exec_lo, s11
	s_wait_loadcnt 0x0
	v_dual_mov_b32 v39, v38 :: v_dual_mov_b32 v40, v37
	v_dual_mov_b32 v41, v36 :: v_dual_mov_b32 v42, v35
	;; [unrolled: 1-line block ×8, first 2 shown]
	s_mov_b32 s8, s7
.LBB2040_623:                           ;   in Loop: Header=BB2040_602 Depth=2
	s_wait_loadcnt 0x0
	s_delay_alu instid0(VALU_DEP_1)
	v_dual_mov_b32 v23, v54 :: v_dual_mov_b32 v24, v53
	v_dual_mov_b32 v25, v52 :: v_dual_mov_b32 v26, v51
	;; [unrolled: 1-line block ×8, first 2 shown]
	s_mov_b32 s9, exec_lo
	s_wait_xcnt 0x0
	v_cmpx_gt_u32_e64 s8, v2
	s_cbranch_execnz .LBB2040_639
; %bb.624:                              ;   in Loop: Header=BB2040_602 Depth=2
	s_or_b32 exec_lo, exec_lo, s9
	s_delay_alu instid0(SALU_CYCLE_1)
	s_mov_b32 s9, exec_lo
	v_cmpx_gt_u32_e64 s8, v68
	s_cbranch_execnz .LBB2040_640
.LBB2040_625:                           ;   in Loop: Header=BB2040_602 Depth=2
	s_or_b32 exec_lo, exec_lo, s9
	s_delay_alu instid0(SALU_CYCLE_1)
	s_mov_b32 s9, exec_lo
	v_cmpx_gt_u32_e64 s8, v69
	s_cbranch_execnz .LBB2040_641
.LBB2040_626:                           ;   in Loop: Header=BB2040_602 Depth=2
	s_or_b32 exec_lo, exec_lo, s9
	s_delay_alu instid0(SALU_CYCLE_1)
	s_mov_b32 s9, exec_lo
	v_cmpx_gt_u32_e64 s8, v70
	s_cbranch_execnz .LBB2040_642
.LBB2040_627:                           ;   in Loop: Header=BB2040_602 Depth=2
	s_or_b32 exec_lo, exec_lo, s9
	s_delay_alu instid0(SALU_CYCLE_1)
	s_mov_b32 s9, exec_lo
	v_cmpx_gt_u32_e64 s8, v71
	s_cbranch_execnz .LBB2040_643
.LBB2040_628:                           ;   in Loop: Header=BB2040_602 Depth=2
	s_or_b32 exec_lo, exec_lo, s9
	s_delay_alu instid0(SALU_CYCLE_1)
	s_mov_b32 s9, exec_lo
	v_cmpx_gt_u32_e64 s8, v72
	s_cbranch_execnz .LBB2040_644
.LBB2040_629:                           ;   in Loop: Header=BB2040_602 Depth=2
	s_or_b32 exec_lo, exec_lo, s9
	s_delay_alu instid0(SALU_CYCLE_1)
	s_mov_b32 s9, exec_lo
	v_cmpx_gt_u32_e64 s8, v73
	s_cbranch_execnz .LBB2040_645
.LBB2040_630:                           ;   in Loop: Header=BB2040_602 Depth=2
	s_or_b32 exec_lo, exec_lo, s9
	s_delay_alu instid0(SALU_CYCLE_1)
	s_mov_b32 s9, exec_lo
	v_cmpx_gt_u32_e64 s8, v74
	s_cbranch_execnz .LBB2040_646
.LBB2040_631:                           ;   in Loop: Header=BB2040_602 Depth=2
	s_or_b32 exec_lo, exec_lo, s9
	s_delay_alu instid0(SALU_CYCLE_1)
	s_mov_b32 s9, exec_lo
	v_cmpx_gt_u32_e64 s8, v75
	s_cbranch_execnz .LBB2040_647
.LBB2040_632:                           ;   in Loop: Header=BB2040_602 Depth=2
	s_or_b32 exec_lo, exec_lo, s9
	s_delay_alu instid0(SALU_CYCLE_1)
	s_mov_b32 s9, exec_lo
	v_cmpx_gt_u32_e64 s8, v76
	s_cbranch_execnz .LBB2040_648
.LBB2040_633:                           ;   in Loop: Header=BB2040_602 Depth=2
	s_or_b32 exec_lo, exec_lo, s9
	s_delay_alu instid0(SALU_CYCLE_1)
	s_mov_b32 s9, exec_lo
	v_cmpx_gt_u32_e64 s8, v77
	s_cbranch_execnz .LBB2040_649
.LBB2040_634:                           ;   in Loop: Header=BB2040_602 Depth=2
	s_or_b32 exec_lo, exec_lo, s9
	s_delay_alu instid0(SALU_CYCLE_1)
	s_mov_b32 s9, exec_lo
	v_cmpx_gt_u32_e64 s8, v78
	s_cbranch_execnz .LBB2040_650
.LBB2040_635:                           ;   in Loop: Header=BB2040_602 Depth=2
	s_or_b32 exec_lo, exec_lo, s9
	s_delay_alu instid0(SALU_CYCLE_1)
	s_mov_b32 s9, exec_lo
	v_cmpx_gt_u32_e64 s8, v79
	s_cbranch_execnz .LBB2040_651
.LBB2040_636:                           ;   in Loop: Header=BB2040_602 Depth=2
	s_or_b32 exec_lo, exec_lo, s9
	s_delay_alu instid0(SALU_CYCLE_1)
	s_mov_b32 s9, exec_lo
	v_cmpx_gt_u32_e64 s8, v80
	s_cbranch_execnz .LBB2040_652
.LBB2040_637:                           ;   in Loop: Header=BB2040_602 Depth=2
	s_or_b32 exec_lo, exec_lo, s9
	s_delay_alu instid0(SALU_CYCLE_1)
	s_mov_b32 s9, exec_lo
	v_cmpx_gt_u32_e64 s8, v81
	s_cbranch_execnz .LBB2040_653
.LBB2040_638:                           ;   in Loop: Header=BB2040_602 Depth=2
	s_or_b32 exec_lo, exec_lo, s9
	v_cmp_gt_u32_e32 vcc_lo, s8, v82
	s_and_saveexec_b32 s8, vcc_lo
	s_cbranch_execz .LBB2040_601
	s_branch .LBB2040_654
.LBB2040_639:                           ;   in Loop: Header=BB2040_602 Depth=2
	v_cmp_lt_i16_e32 vcc_lo, -1, v38
	v_cndmask_b32_e64 v39, -1, 0xffff8000, vcc_lo
	s_delay_alu instid0(VALU_DEP_1) | instskip(NEXT) | instid1(VALU_DEP_1)
	v_xor_b32_e32 v39, v39, v38
	v_cmp_ne_u16_e32 vcc_lo, 0x7fff, v39
	v_cndmask_b32_e32 v39, 0xffff8000, v39, vcc_lo
	s_delay_alu instid0(VALU_DEP_1) | instskip(NEXT) | instid1(VALU_DEP_1)
	v_and_b32_e32 v39, 0xffff, v39
	v_lshrrev_b32_e32 v39, s49, v39
	s_delay_alu instid0(VALU_DEP_1) | instskip(NEXT) | instid1(VALU_DEP_1)
	v_and_b32_e32 v39, s52, v39
	v_lshl_or_b32 v39, v39, 4, v83
	ds_add_u32 v39, v96
	s_or_b32 exec_lo, exec_lo, s9
	s_delay_alu instid0(SALU_CYCLE_1)
	s_mov_b32 s9, exec_lo
	v_cmpx_gt_u32_e64 s8, v68
	s_cbranch_execz .LBB2040_625
.LBB2040_640:                           ;   in Loop: Header=BB2040_602 Depth=2
	v_cmp_lt_i16_e32 vcc_lo, -1, v37
	v_cndmask_b32_e64 v39, -1, 0xffff8000, vcc_lo
	s_delay_alu instid0(VALU_DEP_1) | instskip(NEXT) | instid1(VALU_DEP_1)
	v_xor_b32_e32 v39, v39, v37
	v_cmp_ne_u16_e32 vcc_lo, 0x7fff, v39
	v_cndmask_b32_e32 v39, 0xffff8000, v39, vcc_lo
	s_delay_alu instid0(VALU_DEP_1) | instskip(NEXT) | instid1(VALU_DEP_1)
	v_and_b32_e32 v39, 0xffff, v39
	v_lshrrev_b32_e32 v39, s49, v39
	s_delay_alu instid0(VALU_DEP_1) | instskip(NEXT) | instid1(VALU_DEP_1)
	v_and_b32_e32 v39, s52, v39
	v_lshl_or_b32 v39, v39, 4, v83
	ds_add_u32 v39, v96
	s_or_b32 exec_lo, exec_lo, s9
	s_delay_alu instid0(SALU_CYCLE_1)
	s_mov_b32 s9, exec_lo
	v_cmpx_gt_u32_e64 s8, v69
	s_cbranch_execz .LBB2040_626
.LBB2040_641:                           ;   in Loop: Header=BB2040_602 Depth=2
	v_cmp_lt_i16_e32 vcc_lo, -1, v36
	v_cndmask_b32_e64 v39, -1, 0xffff8000, vcc_lo
	s_delay_alu instid0(VALU_DEP_1) | instskip(NEXT) | instid1(VALU_DEP_1)
	v_xor_b32_e32 v39, v39, v36
	v_cmp_ne_u16_e32 vcc_lo, 0x7fff, v39
	v_cndmask_b32_e32 v39, 0xffff8000, v39, vcc_lo
	s_delay_alu instid0(VALU_DEP_1) | instskip(NEXT) | instid1(VALU_DEP_1)
	v_and_b32_e32 v39, 0xffff, v39
	v_lshrrev_b32_e32 v39, s49, v39
	s_delay_alu instid0(VALU_DEP_1) | instskip(NEXT) | instid1(VALU_DEP_1)
	v_and_b32_e32 v39, s52, v39
	v_lshl_or_b32 v39, v39, 4, v83
	ds_add_u32 v39, v96
	s_or_b32 exec_lo, exec_lo, s9
	s_delay_alu instid0(SALU_CYCLE_1)
	s_mov_b32 s9, exec_lo
	v_cmpx_gt_u32_e64 s8, v70
	s_cbranch_execz .LBB2040_627
.LBB2040_642:                           ;   in Loop: Header=BB2040_602 Depth=2
	v_cmp_lt_i16_e32 vcc_lo, -1, v35
	v_cndmask_b32_e64 v39, -1, 0xffff8000, vcc_lo
	s_delay_alu instid0(VALU_DEP_1) | instskip(NEXT) | instid1(VALU_DEP_1)
	v_xor_b32_e32 v39, v39, v35
	v_cmp_ne_u16_e32 vcc_lo, 0x7fff, v39
	v_cndmask_b32_e32 v39, 0xffff8000, v39, vcc_lo
	s_delay_alu instid0(VALU_DEP_1) | instskip(NEXT) | instid1(VALU_DEP_1)
	v_and_b32_e32 v39, 0xffff, v39
	v_lshrrev_b32_e32 v39, s49, v39
	s_delay_alu instid0(VALU_DEP_1) | instskip(NEXT) | instid1(VALU_DEP_1)
	v_and_b32_e32 v39, s52, v39
	v_lshl_or_b32 v39, v39, 4, v83
	ds_add_u32 v39, v96
	s_or_b32 exec_lo, exec_lo, s9
	s_delay_alu instid0(SALU_CYCLE_1)
	s_mov_b32 s9, exec_lo
	v_cmpx_gt_u32_e64 s8, v71
	s_cbranch_execz .LBB2040_628
.LBB2040_643:                           ;   in Loop: Header=BB2040_602 Depth=2
	v_cmp_lt_i16_e32 vcc_lo, -1, v34
	v_cndmask_b32_e64 v39, -1, 0xffff8000, vcc_lo
	s_delay_alu instid0(VALU_DEP_1) | instskip(NEXT) | instid1(VALU_DEP_1)
	v_xor_b32_e32 v39, v39, v34
	v_cmp_ne_u16_e32 vcc_lo, 0x7fff, v39
	v_cndmask_b32_e32 v39, 0xffff8000, v39, vcc_lo
	s_delay_alu instid0(VALU_DEP_1) | instskip(NEXT) | instid1(VALU_DEP_1)
	v_and_b32_e32 v39, 0xffff, v39
	v_lshrrev_b32_e32 v39, s49, v39
	s_delay_alu instid0(VALU_DEP_1) | instskip(NEXT) | instid1(VALU_DEP_1)
	v_and_b32_e32 v39, s52, v39
	v_lshl_or_b32 v39, v39, 4, v83
	ds_add_u32 v39, v96
	s_or_b32 exec_lo, exec_lo, s9
	s_delay_alu instid0(SALU_CYCLE_1)
	s_mov_b32 s9, exec_lo
	v_cmpx_gt_u32_e64 s8, v72
	s_cbranch_execz .LBB2040_629
.LBB2040_644:                           ;   in Loop: Header=BB2040_602 Depth=2
	v_cmp_lt_i16_e32 vcc_lo, -1, v33
	v_cndmask_b32_e64 v39, -1, 0xffff8000, vcc_lo
	s_delay_alu instid0(VALU_DEP_1) | instskip(NEXT) | instid1(VALU_DEP_1)
	v_xor_b32_e32 v39, v39, v33
	v_cmp_ne_u16_e32 vcc_lo, 0x7fff, v39
	v_cndmask_b32_e32 v39, 0xffff8000, v39, vcc_lo
	s_delay_alu instid0(VALU_DEP_1) | instskip(NEXT) | instid1(VALU_DEP_1)
	v_and_b32_e32 v39, 0xffff, v39
	v_lshrrev_b32_e32 v39, s49, v39
	s_delay_alu instid0(VALU_DEP_1) | instskip(NEXT) | instid1(VALU_DEP_1)
	v_and_b32_e32 v39, s52, v39
	v_lshl_or_b32 v39, v39, 4, v83
	ds_add_u32 v39, v96
	s_or_b32 exec_lo, exec_lo, s9
	s_delay_alu instid0(SALU_CYCLE_1)
	s_mov_b32 s9, exec_lo
	v_cmpx_gt_u32_e64 s8, v73
	s_cbranch_execz .LBB2040_630
.LBB2040_645:                           ;   in Loop: Header=BB2040_602 Depth=2
	v_cmp_lt_i16_e32 vcc_lo, -1, v32
	v_cndmask_b32_e64 v39, -1, 0xffff8000, vcc_lo
	s_delay_alu instid0(VALU_DEP_1) | instskip(NEXT) | instid1(VALU_DEP_1)
	v_xor_b32_e32 v39, v39, v32
	v_cmp_ne_u16_e32 vcc_lo, 0x7fff, v39
	v_cndmask_b32_e32 v39, 0xffff8000, v39, vcc_lo
	s_delay_alu instid0(VALU_DEP_1) | instskip(NEXT) | instid1(VALU_DEP_1)
	v_and_b32_e32 v39, 0xffff, v39
	v_lshrrev_b32_e32 v39, s49, v39
	s_delay_alu instid0(VALU_DEP_1) | instskip(NEXT) | instid1(VALU_DEP_1)
	v_and_b32_e32 v39, s52, v39
	v_lshl_or_b32 v39, v39, 4, v83
	ds_add_u32 v39, v96
	s_or_b32 exec_lo, exec_lo, s9
	s_delay_alu instid0(SALU_CYCLE_1)
	s_mov_b32 s9, exec_lo
	v_cmpx_gt_u32_e64 s8, v74
	s_cbranch_execz .LBB2040_631
.LBB2040_646:                           ;   in Loop: Header=BB2040_602 Depth=2
	v_cmp_lt_i16_e32 vcc_lo, -1, v31
	v_cndmask_b32_e64 v39, -1, 0xffff8000, vcc_lo
	s_delay_alu instid0(VALU_DEP_1) | instskip(NEXT) | instid1(VALU_DEP_1)
	v_xor_b32_e32 v39, v39, v31
	v_cmp_ne_u16_e32 vcc_lo, 0x7fff, v39
	v_cndmask_b32_e32 v39, 0xffff8000, v39, vcc_lo
	s_delay_alu instid0(VALU_DEP_1) | instskip(NEXT) | instid1(VALU_DEP_1)
	v_and_b32_e32 v39, 0xffff, v39
	v_lshrrev_b32_e32 v39, s49, v39
	s_delay_alu instid0(VALU_DEP_1) | instskip(NEXT) | instid1(VALU_DEP_1)
	v_and_b32_e32 v39, s52, v39
	v_lshl_or_b32 v39, v39, 4, v83
	ds_add_u32 v39, v96
	s_or_b32 exec_lo, exec_lo, s9
	s_delay_alu instid0(SALU_CYCLE_1)
	s_mov_b32 s9, exec_lo
	v_cmpx_gt_u32_e64 s8, v75
	s_cbranch_execz .LBB2040_632
.LBB2040_647:                           ;   in Loop: Header=BB2040_602 Depth=2
	v_cmp_lt_i16_e32 vcc_lo, -1, v30
	v_cndmask_b32_e64 v39, -1, 0xffff8000, vcc_lo
	s_delay_alu instid0(VALU_DEP_1) | instskip(NEXT) | instid1(VALU_DEP_1)
	v_xor_b32_e32 v39, v39, v30
	v_cmp_ne_u16_e32 vcc_lo, 0x7fff, v39
	v_cndmask_b32_e32 v39, 0xffff8000, v39, vcc_lo
	s_delay_alu instid0(VALU_DEP_1) | instskip(NEXT) | instid1(VALU_DEP_1)
	v_and_b32_e32 v39, 0xffff, v39
	v_lshrrev_b32_e32 v39, s49, v39
	s_delay_alu instid0(VALU_DEP_1) | instskip(NEXT) | instid1(VALU_DEP_1)
	v_and_b32_e32 v39, s52, v39
	v_lshl_or_b32 v39, v39, 4, v83
	ds_add_u32 v39, v96
	s_or_b32 exec_lo, exec_lo, s9
	s_delay_alu instid0(SALU_CYCLE_1)
	s_mov_b32 s9, exec_lo
	v_cmpx_gt_u32_e64 s8, v76
	s_cbranch_execz .LBB2040_633
.LBB2040_648:                           ;   in Loop: Header=BB2040_602 Depth=2
	v_cmp_lt_i16_e32 vcc_lo, -1, v29
	v_cndmask_b32_e64 v39, -1, 0xffff8000, vcc_lo
	s_delay_alu instid0(VALU_DEP_1) | instskip(NEXT) | instid1(VALU_DEP_1)
	v_xor_b32_e32 v39, v39, v29
	v_cmp_ne_u16_e32 vcc_lo, 0x7fff, v39
	v_cndmask_b32_e32 v39, 0xffff8000, v39, vcc_lo
	s_delay_alu instid0(VALU_DEP_1) | instskip(NEXT) | instid1(VALU_DEP_1)
	v_and_b32_e32 v39, 0xffff, v39
	v_lshrrev_b32_e32 v39, s49, v39
	s_delay_alu instid0(VALU_DEP_1) | instskip(NEXT) | instid1(VALU_DEP_1)
	v_and_b32_e32 v39, s52, v39
	v_lshl_or_b32 v39, v39, 4, v83
	ds_add_u32 v39, v96
	s_or_b32 exec_lo, exec_lo, s9
	s_delay_alu instid0(SALU_CYCLE_1)
	s_mov_b32 s9, exec_lo
	v_cmpx_gt_u32_e64 s8, v77
	s_cbranch_execz .LBB2040_634
.LBB2040_649:                           ;   in Loop: Header=BB2040_602 Depth=2
	v_cmp_lt_i16_e32 vcc_lo, -1, v28
	v_cndmask_b32_e64 v39, -1, 0xffff8000, vcc_lo
	s_delay_alu instid0(VALU_DEP_1) | instskip(NEXT) | instid1(VALU_DEP_1)
	v_xor_b32_e32 v39, v39, v28
	v_cmp_ne_u16_e32 vcc_lo, 0x7fff, v39
	v_cndmask_b32_e32 v39, 0xffff8000, v39, vcc_lo
	s_delay_alu instid0(VALU_DEP_1) | instskip(NEXT) | instid1(VALU_DEP_1)
	v_and_b32_e32 v39, 0xffff, v39
	v_lshrrev_b32_e32 v39, s49, v39
	s_delay_alu instid0(VALU_DEP_1) | instskip(NEXT) | instid1(VALU_DEP_1)
	v_and_b32_e32 v39, s52, v39
	v_lshl_or_b32 v39, v39, 4, v83
	ds_add_u32 v39, v96
	s_or_b32 exec_lo, exec_lo, s9
	s_delay_alu instid0(SALU_CYCLE_1)
	s_mov_b32 s9, exec_lo
	v_cmpx_gt_u32_e64 s8, v78
	s_cbranch_execz .LBB2040_635
.LBB2040_650:                           ;   in Loop: Header=BB2040_602 Depth=2
	v_cmp_lt_i16_e32 vcc_lo, -1, v27
	v_cndmask_b32_e64 v39, -1, 0xffff8000, vcc_lo
	s_delay_alu instid0(VALU_DEP_1) | instskip(NEXT) | instid1(VALU_DEP_1)
	v_xor_b32_e32 v39, v39, v27
	v_cmp_ne_u16_e32 vcc_lo, 0x7fff, v39
	v_cndmask_b32_e32 v39, 0xffff8000, v39, vcc_lo
	s_delay_alu instid0(VALU_DEP_1) | instskip(NEXT) | instid1(VALU_DEP_1)
	v_and_b32_e32 v39, 0xffff, v39
	v_lshrrev_b32_e32 v39, s49, v39
	s_delay_alu instid0(VALU_DEP_1) | instskip(NEXT) | instid1(VALU_DEP_1)
	v_and_b32_e32 v39, s52, v39
	v_lshl_or_b32 v39, v39, 4, v83
	ds_add_u32 v39, v96
	s_or_b32 exec_lo, exec_lo, s9
	s_delay_alu instid0(SALU_CYCLE_1)
	s_mov_b32 s9, exec_lo
	v_cmpx_gt_u32_e64 s8, v79
	s_cbranch_execz .LBB2040_636
.LBB2040_651:                           ;   in Loop: Header=BB2040_602 Depth=2
	v_cmp_lt_i16_e32 vcc_lo, -1, v26
	v_cndmask_b32_e64 v39, -1, 0xffff8000, vcc_lo
	s_delay_alu instid0(VALU_DEP_1) | instskip(NEXT) | instid1(VALU_DEP_1)
	v_xor_b32_e32 v39, v39, v26
	v_cmp_ne_u16_e32 vcc_lo, 0x7fff, v39
	v_cndmask_b32_e32 v39, 0xffff8000, v39, vcc_lo
	s_delay_alu instid0(VALU_DEP_1) | instskip(NEXT) | instid1(VALU_DEP_1)
	v_and_b32_e32 v39, 0xffff, v39
	v_lshrrev_b32_e32 v39, s49, v39
	s_delay_alu instid0(VALU_DEP_1) | instskip(NEXT) | instid1(VALU_DEP_1)
	v_and_b32_e32 v39, s52, v39
	v_lshl_or_b32 v39, v39, 4, v83
	ds_add_u32 v39, v96
	s_or_b32 exec_lo, exec_lo, s9
	s_delay_alu instid0(SALU_CYCLE_1)
	s_mov_b32 s9, exec_lo
	v_cmpx_gt_u32_e64 s8, v80
	s_cbranch_execz .LBB2040_637
.LBB2040_652:                           ;   in Loop: Header=BB2040_602 Depth=2
	v_cmp_lt_i16_e32 vcc_lo, -1, v25
	v_cndmask_b32_e64 v39, -1, 0xffff8000, vcc_lo
	s_delay_alu instid0(VALU_DEP_1) | instskip(NEXT) | instid1(VALU_DEP_1)
	v_xor_b32_e32 v39, v39, v25
	v_cmp_ne_u16_e32 vcc_lo, 0x7fff, v39
	v_cndmask_b32_e32 v39, 0xffff8000, v39, vcc_lo
	s_delay_alu instid0(VALU_DEP_1) | instskip(NEXT) | instid1(VALU_DEP_1)
	v_and_b32_e32 v39, 0xffff, v39
	v_lshrrev_b32_e32 v39, s49, v39
	s_delay_alu instid0(VALU_DEP_1) | instskip(NEXT) | instid1(VALU_DEP_1)
	v_and_b32_e32 v39, s52, v39
	v_lshl_or_b32 v39, v39, 4, v83
	ds_add_u32 v39, v96
	s_or_b32 exec_lo, exec_lo, s9
	s_delay_alu instid0(SALU_CYCLE_1)
	s_mov_b32 s9, exec_lo
	v_cmpx_gt_u32_e64 s8, v81
	s_cbranch_execz .LBB2040_638
.LBB2040_653:                           ;   in Loop: Header=BB2040_602 Depth=2
	v_cmp_lt_i16_e32 vcc_lo, -1, v24
	v_cndmask_b32_e64 v39, -1, 0xffff8000, vcc_lo
	s_delay_alu instid0(VALU_DEP_1) | instskip(NEXT) | instid1(VALU_DEP_1)
	v_xor_b32_e32 v39, v39, v24
	v_cmp_ne_u16_e32 vcc_lo, 0x7fff, v39
	v_cndmask_b32_e32 v39, 0xffff8000, v39, vcc_lo
	s_delay_alu instid0(VALU_DEP_1) | instskip(NEXT) | instid1(VALU_DEP_1)
	v_and_b32_e32 v39, 0xffff, v39
	v_lshrrev_b32_e32 v39, s49, v39
	s_delay_alu instid0(VALU_DEP_1) | instskip(NEXT) | instid1(VALU_DEP_1)
	v_and_b32_e32 v39, s52, v39
	v_lshl_or_b32 v39, v39, 4, v83
	ds_add_u32 v39, v96
	s_or_b32 exec_lo, exec_lo, s9
	v_cmp_gt_u32_e32 vcc_lo, s8, v82
	s_and_saveexec_b32 s8, vcc_lo
	s_cbranch_execz .LBB2040_601
.LBB2040_654:                           ;   in Loop: Header=BB2040_602 Depth=2
	v_cmp_lt_i16_e32 vcc_lo, -1, v23
	v_cndmask_b32_e64 v39, -1, 0xffff8000, vcc_lo
	s_delay_alu instid0(VALU_DEP_1) | instskip(NEXT) | instid1(VALU_DEP_1)
	v_xor_b32_e32 v39, v39, v23
	v_cmp_ne_u16_e32 vcc_lo, 0x7fff, v39
	v_cndmask_b32_e32 v39, 0xffff8000, v39, vcc_lo
	s_delay_alu instid0(VALU_DEP_1) | instskip(NEXT) | instid1(VALU_DEP_1)
	v_and_b32_e32 v39, 0xffff, v39
	v_lshrrev_b32_e32 v39, s49, v39
	s_delay_alu instid0(VALU_DEP_1) | instskip(NEXT) | instid1(VALU_DEP_1)
	v_and_b32_e32 v39, s52, v39
	v_lshl_or_b32 v39, v39, 4, v83
	ds_add_u32 v39, v96
	s_branch .LBB2040_601
.LBB2040_655:                           ;   in Loop: Header=BB2040_602 Depth=2
	global_load_u16 v38, v2, s[8:9] scale_offset
	s_wait_xcnt 0x0
	s_or_b32 exec_lo, exec_lo, s11
	s_delay_alu instid0(SALU_CYCLE_1)
	s_mov_b32 s11, exec_lo
	v_cmpx_gt_u32_e64 s7, v68
	s_cbranch_execz .LBB2040_607
.LBB2040_656:                           ;   in Loop: Header=BB2040_602 Depth=2
	global_load_u16 v37, v2, s[8:9] offset:512 scale_offset
	s_wait_xcnt 0x0
	s_or_b32 exec_lo, exec_lo, s11
	s_delay_alu instid0(SALU_CYCLE_1)
	s_mov_b32 s11, exec_lo
	v_cmpx_gt_u32_e64 s7, v69
	s_cbranch_execz .LBB2040_608
.LBB2040_657:                           ;   in Loop: Header=BB2040_602 Depth=2
	global_load_u16 v36, v2, s[8:9] offset:1024 scale_offset
	s_wait_xcnt 0x0
	s_or_b32 exec_lo, exec_lo, s11
	s_delay_alu instid0(SALU_CYCLE_1)
	s_mov_b32 s11, exec_lo
	v_cmpx_gt_u32_e64 s7, v70
	s_cbranch_execz .LBB2040_609
.LBB2040_658:                           ;   in Loop: Header=BB2040_602 Depth=2
	global_load_u16 v35, v2, s[8:9] offset:1536 scale_offset
	s_wait_xcnt 0x0
	s_or_b32 exec_lo, exec_lo, s11
	s_delay_alu instid0(SALU_CYCLE_1)
	s_mov_b32 s11, exec_lo
	v_cmpx_gt_u32_e64 s7, v71
	s_cbranch_execz .LBB2040_610
.LBB2040_659:                           ;   in Loop: Header=BB2040_602 Depth=2
	global_load_u16 v34, v2, s[8:9] offset:2048 scale_offset
	s_wait_xcnt 0x0
	s_or_b32 exec_lo, exec_lo, s11
	s_delay_alu instid0(SALU_CYCLE_1)
	s_mov_b32 s11, exec_lo
	v_cmpx_gt_u32_e64 s7, v72
	s_cbranch_execz .LBB2040_611
.LBB2040_660:                           ;   in Loop: Header=BB2040_602 Depth=2
	global_load_u16 v33, v2, s[8:9] offset:2560 scale_offset
	s_wait_xcnt 0x0
	s_or_b32 exec_lo, exec_lo, s11
	s_delay_alu instid0(SALU_CYCLE_1)
	s_mov_b32 s11, exec_lo
	v_cmpx_gt_u32_e64 s7, v73
	s_cbranch_execz .LBB2040_612
.LBB2040_661:                           ;   in Loop: Header=BB2040_602 Depth=2
	global_load_u16 v32, v2, s[8:9] offset:3072 scale_offset
	s_wait_xcnt 0x0
	s_or_b32 exec_lo, exec_lo, s11
	s_delay_alu instid0(SALU_CYCLE_1)
	s_mov_b32 s11, exec_lo
	v_cmpx_gt_u32_e64 s7, v74
	s_cbranch_execz .LBB2040_613
.LBB2040_662:                           ;   in Loop: Header=BB2040_602 Depth=2
	global_load_u16 v31, v2, s[8:9] offset:3584 scale_offset
	s_wait_xcnt 0x0
	s_or_b32 exec_lo, exec_lo, s11
	s_delay_alu instid0(SALU_CYCLE_1)
	s_mov_b32 s11, exec_lo
	v_cmpx_gt_u32_e64 s7, v75
	s_cbranch_execz .LBB2040_614
.LBB2040_663:                           ;   in Loop: Header=BB2040_602 Depth=2
	global_load_u16 v30, v2, s[8:9] offset:4096 scale_offset
	s_wait_xcnt 0x0
	s_or_b32 exec_lo, exec_lo, s11
	s_delay_alu instid0(SALU_CYCLE_1)
	s_mov_b32 s11, exec_lo
	v_cmpx_gt_u32_e64 s7, v76
	s_cbranch_execz .LBB2040_615
.LBB2040_664:                           ;   in Loop: Header=BB2040_602 Depth=2
	global_load_u16 v29, v2, s[8:9] offset:4608 scale_offset
	s_wait_xcnt 0x0
	s_or_b32 exec_lo, exec_lo, s11
	s_delay_alu instid0(SALU_CYCLE_1)
	s_mov_b32 s11, exec_lo
	v_cmpx_gt_u32_e64 s7, v77
	s_cbranch_execz .LBB2040_616
.LBB2040_665:                           ;   in Loop: Header=BB2040_602 Depth=2
	global_load_u16 v28, v2, s[8:9] offset:5120 scale_offset
	s_wait_xcnt 0x0
	s_or_b32 exec_lo, exec_lo, s11
	s_delay_alu instid0(SALU_CYCLE_1)
	s_mov_b32 s11, exec_lo
	v_cmpx_gt_u32_e64 s7, v78
	s_cbranch_execz .LBB2040_617
.LBB2040_666:                           ;   in Loop: Header=BB2040_602 Depth=2
	global_load_u16 v27, v2, s[8:9] offset:5632 scale_offset
	s_wait_xcnt 0x0
	s_or_b32 exec_lo, exec_lo, s11
	s_delay_alu instid0(SALU_CYCLE_1)
	s_mov_b32 s11, exec_lo
	v_cmpx_gt_u32_e64 s7, v79
	s_cbranch_execz .LBB2040_618
.LBB2040_667:                           ;   in Loop: Header=BB2040_602 Depth=2
	global_load_u16 v26, v2, s[8:9] offset:6144 scale_offset
	s_wait_xcnt 0x0
	s_or_b32 exec_lo, exec_lo, s11
	s_delay_alu instid0(SALU_CYCLE_1)
	s_mov_b32 s11, exec_lo
	v_cmpx_gt_u32_e64 s7, v80
	s_cbranch_execz .LBB2040_619
.LBB2040_668:                           ;   in Loop: Header=BB2040_602 Depth=2
	global_load_u16 v25, v2, s[8:9] offset:6656 scale_offset
	s_wait_xcnt 0x0
	s_or_b32 exec_lo, exec_lo, s11
	s_delay_alu instid0(SALU_CYCLE_1)
	s_mov_b32 s11, exec_lo
	v_cmpx_gt_u32_e64 s7, v81
	s_cbranch_execz .LBB2040_620
.LBB2040_669:                           ;   in Loop: Header=BB2040_602 Depth=2
	global_load_u16 v24, v2, s[8:9] offset:7168 scale_offset
	s_wait_xcnt 0x0
	s_or_b32 exec_lo, exec_lo, s11
	s_delay_alu instid0(SALU_CYCLE_1)
	s_mov_b32 s11, exec_lo
	v_cmpx_gt_u32_e64 s7, v82
	s_cbranch_execnz .LBB2040_621
	s_branch .LBB2040_622
.LBB2040_670:                           ;   in Loop: Header=BB2040_12 Depth=1
	v_mov_b32_e32 v23, 0
	s_wait_dscnt 0x0
	s_barrier_signal -1
	s_barrier_wait -1
	s_and_saveexec_b32 s7, s0
	s_cbranch_execz .LBB2040_672
; %bb.671:                              ;   in Loop: Header=BB2040_12 Depth=1
	ds_load_2addr_b64 v[24:27], v85 offset1:1
	s_wait_dscnt 0x0
	v_add_nc_u32_e32 v23, v25, v24
	s_delay_alu instid0(VALU_DEP_1)
	v_add3_u32 v23, v23, v26, v27
.LBB2040_672:                           ;   in Loop: Header=BB2040_12 Depth=1
	s_or_b32 exec_lo, exec_lo, s7
	s_delay_alu instid0(VALU_DEP_1)
	v_mov_b32_dpp v24, v23 row_shr:1 row_mask:0xf bank_mask:0xf
	v_cmp_eq_u32_e64 s7, 0, v97
	v_cmp_lt_u32_e64 s8, 1, v97
	v_cmp_lt_u32_e64 s9, 3, v97
	;; [unrolled: 1-line block ×3, first 2 shown]
	v_cmp_eq_u32_e64 s11, 0, v99
	v_cndmask_b32_e64 v24, v24, 0, s7
	s_delay_alu instid0(VALU_DEP_1) | instskip(NEXT) | instid1(VALU_DEP_1)
	v_add_nc_u32_e32 v23, v24, v23
	v_mov_b32_dpp v24, v23 row_shr:2 row_mask:0xf bank_mask:0xf
	s_delay_alu instid0(VALU_DEP_1) | instskip(NEXT) | instid1(VALU_DEP_1)
	v_cndmask_b32_e64 v24, 0, v24, s8
	v_add_nc_u32_e32 v23, v23, v24
	s_delay_alu instid0(VALU_DEP_1) | instskip(NEXT) | instid1(VALU_DEP_1)
	v_mov_b32_dpp v24, v23 row_shr:4 row_mask:0xf bank_mask:0xf
	v_cndmask_b32_e64 v24, 0, v24, s9
	s_delay_alu instid0(VALU_DEP_1) | instskip(NEXT) | instid1(VALU_DEP_1)
	v_add_nc_u32_e32 v23, v23, v24
	v_mov_b32_dpp v24, v23 row_shr:8 row_mask:0xf bank_mask:0xf
	s_delay_alu instid0(VALU_DEP_1) | instskip(NEXT) | instid1(VALU_DEP_1)
	v_cndmask_b32_e64 v24, 0, v24, s10
	v_add_nc_u32_e32 v23, v23, v24
	ds_swizzle_b32 v24, v23 offset:swizzle(BROADCAST,32,15)
	s_wait_dscnt 0x0
	v_and_b32_e32 v24, v98, v24
	s_delay_alu instid0(VALU_DEP_1)
	v_add_nc_u32_e32 v23, v23, v24
	s_and_saveexec_b32 s12, s1
; %bb.673:                              ;   in Loop: Header=BB2040_12 Depth=1
	ds_store_b32 v86, v23
; %bb.674:                              ;   in Loop: Header=BB2040_12 Depth=1
	s_or_b32 exec_lo, exec_lo, s12
	s_wait_dscnt 0x0
	s_barrier_signal -1
	s_barrier_wait -1
	s_and_saveexec_b32 s12, s4
	s_cbranch_execz .LBB2040_676
; %bb.675:                              ;   in Loop: Header=BB2040_12 Depth=1
	ds_load_b32 v24, v87
	v_cmp_ne_u32_e32 vcc_lo, 0, v101
	s_wait_dscnt 0x0
	v_mov_b32_dpp v25, v24 row_shr:1 row_mask:0xf bank_mask:0xf
	s_delay_alu instid0(VALU_DEP_1) | instskip(SKIP_1) | instid1(VALU_DEP_2)
	v_cndmask_b32_e32 v25, 0, v25, vcc_lo
	v_cmp_lt_u32_e32 vcc_lo, 1, v101
	v_add_nc_u32_e32 v24, v25, v24
	s_delay_alu instid0(VALU_DEP_1) | instskip(NEXT) | instid1(VALU_DEP_1)
	v_mov_b32_dpp v25, v24 row_shr:2 row_mask:0xf bank_mask:0xf
	v_cndmask_b32_e32 v25, 0, v25, vcc_lo
	v_cmp_lt_u32_e32 vcc_lo, 3, v101
	s_delay_alu instid0(VALU_DEP_2) | instskip(NEXT) | instid1(VALU_DEP_1)
	v_add_nc_u32_e32 v24, v24, v25
	v_mov_b32_dpp v25, v24 row_shr:4 row_mask:0xf bank_mask:0xf
	s_delay_alu instid0(VALU_DEP_1) | instskip(NEXT) | instid1(VALU_DEP_1)
	v_cndmask_b32_e32 v25, 0, v25, vcc_lo
	v_add_nc_u32_e32 v24, v24, v25
	ds_store_b32 v87, v24
.LBB2040_676:                           ;   in Loop: Header=BB2040_12 Depth=1
	s_or_b32 exec_lo, exec_lo, s12
	v_mov_b32_e32 v24, 0
	s_wait_dscnt 0x0
	s_barrier_signal -1
	s_barrier_wait -1
	s_and_saveexec_b32 s12, s5
; %bb.677:                              ;   in Loop: Header=BB2040_12 Depth=1
	ds_load_b32 v24, v88
; %bb.678:                              ;   in Loop: Header=BB2040_12 Depth=1
	s_or_b32 exec_lo, exec_lo, s12
	v_cmp_gt_i32_e32 vcc_lo, 0, v102
	s_wait_dscnt 0x0
	s_barrier_signal -1
	s_barrier_wait -1
	v_cndmask_b32_e32 v25, v102, v95, vcc_lo
	s_delay_alu instid0(VALU_DEP_1)
	v_dual_add_nc_u32 v23, v24, v23 :: v_dual_lshlrev_b32 v122, 2, v25
	ds_bpermute_b32 v23, v122, v23
	s_and_saveexec_b32 s12, s0
	s_cbranch_execz .LBB2040_680
; %bb.679:                              ;   in Loop: Header=BB2040_12 Depth=1
	s_wait_dscnt 0x0
	v_cndmask_b32_e64 v23, v23, v24, s6
	s_delay_alu instid0(VALU_DEP_1)
	v_add_nc_u32_e32 v23, s54, v23
	ds_store_b32 v3, v23
.LBB2040_680:                           ;   in Loop: Header=BB2040_12 Depth=1
	s_or_b32 exec_lo, exec_lo, s12
	s_load_b64 s[12:13], s[34:35], 0x0
	s_mov_b32 s53, s56
                                        ; implicit-def: $vgpr30_vgpr31
                                        ; implicit-def: $vgpr32_vgpr33
                                        ; implicit-def: $vgpr34_vgpr35
                                        ; implicit-def: $vgpr36_vgpr37
                                        ; implicit-def: $vgpr38_vgpr39
                                        ; implicit-def: $vgpr40_vgpr41
                                        ; implicit-def: $vgpr42_vgpr43
                                        ; implicit-def: $vgpr44_vgpr45
                                        ; implicit-def: $vgpr46_vgpr47
                                        ; implicit-def: $vgpr48_vgpr49
                                        ; implicit-def: $vgpr50_vgpr51
                                        ; implicit-def: $vgpr52_vgpr53
                                        ; implicit-def: $vgpr54_vgpr55
                                        ; implicit-def: $vgpr56_vgpr57
                                        ; implicit-def: $vgpr58_vgpr59
                                        ; implicit-def: $vgpr123
                                        ; implicit-def: $vgpr124
                                        ; implicit-def: $vgpr125
                                        ; implicit-def: $vgpr126
                                        ; implicit-def: $vgpr127
                                        ; implicit-def: $vgpr128
                                        ; implicit-def: $vgpr129
                                        ; implicit-def: $vgpr130
                                        ; implicit-def: $vgpr131
                                        ; implicit-def: $vgpr132
                                        ; implicit-def: $vgpr133
                                        ; implicit-def: $vgpr134
                                        ; implicit-def: $vgpr135
                                        ; implicit-def: $vgpr136
                                        ; implicit-def: $vgpr137
                                        ; implicit-def: $vgpr138
	s_wait_kmcnt 0x0
	s_cmp_lt_u32 s33, s12
	s_cselect_b32 s42, 12, 18
	s_cmp_lt_u32 s31, s13
	s_mov_b32 s13, s43
	s_cselect_b32 s12, 14, 20
	s_delay_alu instid0(SALU_CYCLE_1)
	s_add_nc_u64 s[12:13], s[34:35], s[12:13]
	s_load_u16 s14, s[12:13], 0x0
	s_wait_xcnt 0x0
	s_add_nc_u64 s[12:13], s[34:35], s[42:43]
	s_mov_b32 s42, s54
	s_load_u16 s12, s[12:13], 0x0
	s_wait_xcnt 0x0
	v_cmp_lt_u32_e64 s13, 1, v101
	s_wait_dscnt 0x0
	s_wait_kmcnt 0x0
	v_mad_u32_u24 v23, v89, s14, v90
	v_cmp_lt_u32_e64 s14, 3, v101
	s_delay_alu instid0(VALU_DEP_2) | instskip(SKIP_2) | instid1(VALU_DEP_3)
	v_mad_u32 v24, v23, s12, v2
	v_mov_b32_e32 v23, v5
	v_cmp_eq_u32_e64 s12, 0, v101
	v_lshrrev_b32_e32 v28, 3, v24
	v_add_nc_u64_e32 v[24:25], v[18:19], v[4:5]
	s_delay_alu instid0(VALU_DEP_4) | instskip(NEXT) | instid1(VALU_DEP_3)
	v_add_nc_u64_e32 v[26:27], v[20:21], v[22:23]
	v_and_b32_e32 v23, 0x1ffffffc, v28
                                        ; implicit-def: $vgpr28_vgpr29
	s_branch .LBB2040_682
.LBB2040_681:                           ;   in Loop: Header=BB2040_682 Depth=2
	s_or_b32 exec_lo, exec_lo, s15
	s_addk_co_i32 s53, 0xf000
	s_cmp_lt_u32 s57, s51
	s_mov_b32 s42, s57
	s_cbranch_scc0 .LBB2040_890
.LBB2040_682:                           ;   Parent Loop BB2040_12 Depth=1
                                        ; =>  This Inner Loop Header: Depth=2
	s_add_co_i32 s57, s42, 0x1000
	s_delay_alu instid0(SALU_CYCLE_1)
	s_cmp_gt_u32 s57, s51
	s_cbranch_scc1 .LBB2040_684
; %bb.683:                              ;   in Loop: Header=BB2040_682 Depth=2
	s_delay_alu instid0(VALU_DEP_2)
	v_lshl_add_u64 v[60:61], s[42:43], 1, v[26:27]
	s_mov_b32 s15, -1
	s_clause 0xe
	global_load_u16 v140, v[60:61], off
	global_load_u16 v141, v[60:61], off offset:64
	global_load_u16 v144, v[60:61], off offset:128
	;; [unrolled: 1-line block ×14, first 2 shown]
	s_movk_i32 s16, 0x1000
	s_cbranch_execz .LBB2040_685
	s_branch .LBB2040_716
.LBB2040_684:                           ;   in Loop: Header=BB2040_682 Depth=2
	s_mov_b32 s15, 0
                                        ; implicit-def: $vgpr140
                                        ; implicit-def: $vgpr141
                                        ; implicit-def: $vgpr144
                                        ; implicit-def: $vgpr148
                                        ; implicit-def: $vgpr152
                                        ; implicit-def: $vgpr156
                                        ; implicit-def: $vgpr160
                                        ; implicit-def: $vgpr164
                                        ; implicit-def: $vgpr168
                                        ; implicit-def: $vgpr67
                                        ; implicit-def: $vgpr66
                                        ; implicit-def: $vgpr65
                                        ; implicit-def: $vgpr64
                                        ; implicit-def: $vgpr63
                                        ; implicit-def: $vgpr62
	s_movk_i32 s16, 0x1000
.LBB2040_685:                           ;   in Loop: Header=BB2040_682 Depth=2
	s_wait_xcnt 0x0
	v_lshl_add_u64 v[60:61], s[42:43], 1, v[26:27]
	s_wait_loadcnt 0xd
	v_dual_mov_b32 v141, 0x7fff :: v_dual_mov_b32 v140, 0x7fff
	s_mov_b32 s15, exec_lo
	v_cmpx_gt_u32_e64 s53, v100
	s_cbranch_execz .LBB2040_687
; %bb.686:                              ;   in Loop: Header=BB2040_682 Depth=2
	global_load_u16 v140, v[60:61], off
.LBB2040_687:                           ;   in Loop: Header=BB2040_682 Depth=2
	s_wait_xcnt 0x0
	s_or_b32 exec_lo, exec_lo, s15
	s_delay_alu instid0(SALU_CYCLE_1)
	s_mov_b32 s15, exec_lo
	v_cmpx_gt_u32_e64 s53, v103
	s_cbranch_execz .LBB2040_689
; %bb.688:                              ;   in Loop: Header=BB2040_682 Depth=2
	global_load_u16 v141, v[60:61], off offset:64
.LBB2040_689:                           ;   in Loop: Header=BB2040_682 Depth=2
	s_wait_xcnt 0x0
	s_or_b32 exec_lo, exec_lo, s15
	s_wait_loadcnt 0xb
	v_mov_b32_e32 v148, 0x7fff
	v_mov_b32_e32 v144, 0x7fff
	s_mov_b32 s15, exec_lo
	v_cmpx_gt_u32_e64 s53, v104
	s_cbranch_execz .LBB2040_691
; %bb.690:                              ;   in Loop: Header=BB2040_682 Depth=2
	global_load_u16 v144, v[60:61], off offset:128
.LBB2040_691:                           ;   in Loop: Header=BB2040_682 Depth=2
	s_wait_xcnt 0x0
	s_or_b32 exec_lo, exec_lo, s15
	s_delay_alu instid0(SALU_CYCLE_1)
	s_mov_b32 s15, exec_lo
	v_cmpx_gt_u32_e64 s53, v105
	s_cbranch_execz .LBB2040_693
; %bb.692:                              ;   in Loop: Header=BB2040_682 Depth=2
	global_load_u16 v148, v[60:61], off offset:192
.LBB2040_693:                           ;   in Loop: Header=BB2040_682 Depth=2
	s_wait_xcnt 0x0
	s_or_b32 exec_lo, exec_lo, s15
	s_wait_loadcnt 0x9
	v_mov_b32_e32 v156, 0x7fff
	v_mov_b32_e32 v152, 0x7fff
	s_mov_b32 s15, exec_lo
	v_cmpx_gt_u32_e64 s53, v106
	s_cbranch_execz .LBB2040_695
; %bb.694:                              ;   in Loop: Header=BB2040_682 Depth=2
	global_load_u16 v152, v[60:61], off offset:256
.LBB2040_695:                           ;   in Loop: Header=BB2040_682 Depth=2
	;; [unrolled: 20-line block ×3, first 2 shown]
	s_wait_xcnt 0x0
	s_or_b32 exec_lo, exec_lo, s15
	s_delay_alu instid0(SALU_CYCLE_1)
	s_mov_b32 s15, exec_lo
	v_cmpx_gt_u32_e64 s53, v109
	s_cbranch_execz .LBB2040_701
; %bb.700:                              ;   in Loop: Header=BB2040_682 Depth=2
	global_load_u16 v164, v[60:61], off offset:448
.LBB2040_701:                           ;   in Loop: Header=BB2040_682 Depth=2
	s_wait_xcnt 0x0
	s_or_b32 exec_lo, exec_lo, s15
	s_wait_loadcnt 0x5
	v_dual_mov_b32 v67, 0x7fff :: v_dual_mov_b32 v168, 0x7fff
	s_mov_b32 s15, exec_lo
	v_cmpx_gt_u32_e64 s53, v110
	s_cbranch_execz .LBB2040_703
; %bb.702:                              ;   in Loop: Header=BB2040_682 Depth=2
	global_load_u16 v168, v[60:61], off offset:512
.LBB2040_703:                           ;   in Loop: Header=BB2040_682 Depth=2
	s_wait_xcnt 0x0
	s_or_b32 exec_lo, exec_lo, s15
	s_delay_alu instid0(SALU_CYCLE_1)
	s_mov_b32 s15, exec_lo
	v_cmpx_gt_u32_e64 s53, v111
	s_cbranch_execz .LBB2040_705
; %bb.704:                              ;   in Loop: Header=BB2040_682 Depth=2
	global_load_u16 v67, v[60:61], off offset:576
.LBB2040_705:                           ;   in Loop: Header=BB2040_682 Depth=2
	s_wait_xcnt 0x0
	s_or_b32 exec_lo, exec_lo, s15
	s_wait_loadcnt 0x3
	v_dual_mov_b32 v65, 0x7fff :: v_dual_mov_b32 v66, 0x7fff
	s_mov_b32 s15, exec_lo
	v_cmpx_gt_u32_e64 s53, v112
	s_cbranch_execz .LBB2040_707
; %bb.706:                              ;   in Loop: Header=BB2040_682 Depth=2
	global_load_u16 v66, v[60:61], off offset:640
.LBB2040_707:                           ;   in Loop: Header=BB2040_682 Depth=2
	;; [unrolled: 19-line block ×3, first 2 shown]
	s_wait_xcnt 0x0
	s_or_b32 exec_lo, exec_lo, s15
	s_delay_alu instid0(SALU_CYCLE_1)
	s_mov_b32 s15, exec_lo
	v_cmpx_gt_u32_e64 s53, v115
	s_cbranch_execz .LBB2040_713
; %bb.712:                              ;   in Loop: Header=BB2040_682 Depth=2
	global_load_u16 v63, v[60:61], off offset:832
.LBB2040_713:                           ;   in Loop: Header=BB2040_682 Depth=2
	s_wait_xcnt 0x0
	s_or_b32 exec_lo, exec_lo, s15
	s_wait_loadcnt 0x0
	v_mov_b32_e32 v62, 0x7fff
	s_mov_b32 s15, exec_lo
	v_cmpx_gt_u32_e64 s53, v116
	s_cbranch_execz .LBB2040_715
; %bb.714:                              ;   in Loop: Header=BB2040_682 Depth=2
	global_load_u16 v62, v[60:61], off offset:896
.LBB2040_715:                           ;   in Loop: Header=BB2040_682 Depth=2
	s_wait_xcnt 0x0
	s_or_b32 exec_lo, exec_lo, s15
	v_cmp_gt_u32_e64 s15, s53, v117
	s_sub_co_i32 s16, s51, s42
.LBB2040_716:                           ;   in Loop: Header=BB2040_682 Depth=2
	s_wait_xcnt 0x0
	v_dual_mov_b32 v60, 0x7fff :: v_dual_mov_b32 v139, s53
	s_and_saveexec_b32 s17, s15
	s_cbranch_execz .LBB2040_718
; %bb.717:                              ;   in Loop: Header=BB2040_682 Depth=2
	v_lshl_add_u64 v[60:61], s[42:43], 1, v[26:27]
	v_mov_b32_e32 v139, s16
	global_load_u16 v60, v[60:61], off offset:960
.LBB2040_718:                           ;   in Loop: Header=BB2040_682 Depth=2
	s_wait_xcnt 0x0
	s_or_b32 exec_lo, exec_lo, s17
	s_wait_loadcnt 0xe
	v_cmp_lt_i16_e64 vcc_lo, -1, v140
	ds_store_2addr_b32 v121, v5, v5 offset1:1
	ds_store_2addr_b32 v118, v5, v5 offset1:1
	;; [unrolled: 1-line block ×4, first 2 shown]
	ds_store_b32 v91, v5 offset:1088
	s_wait_loadcnt_dscnt 0x0
	s_barrier_signal -1
	v_cndmask_b32_e64 v61, -1, 0xffff8000, vcc_lo
	s_barrier_wait -1
	; wave barrier
	s_delay_alu instid0(VALU_DEP_1) | instskip(NEXT) | instid1(VALU_DEP_1)
	v_xor_b32_e32 v140, v61, v140
	v_cmp_ne_u16_e64 vcc_lo, 0x7fff, v140
	v_cndmask_b32_e32 v61, 0xffff8000, v140, vcc_lo
	s_delay_alu instid0(VALU_DEP_1) | instskip(NEXT) | instid1(VALU_DEP_1)
	v_and_b32_e32 v61, 0xffff, v61
	v_lshrrev_b32_e32 v61, s49, v61
	s_delay_alu instid0(VALU_DEP_1) | instskip(SKIP_1) | instid1(VALU_DEP_2)
	v_bitop3_b32 v142, v61, 1, s52 bitop3:0x80
	v_and_b32_e32 v143, s52, v61
	v_add_co_u32 v61, s15, v142, -1
	s_delay_alu instid0(VALU_DEP_1) | instskip(NEXT) | instid1(VALU_DEP_3)
	v_cndmask_b32_e64 v142, 0, 1, s15
	v_lshlrev_b32_e32 v145, 30, v143
	s_delay_alu instid0(VALU_DEP_2) | instskip(NEXT) | instid1(VALU_DEP_2)
	v_cmp_ne_u32_e32 vcc_lo, 0, v142
	v_not_b32_e32 v142, v145
	s_delay_alu instid0(VALU_DEP_1) | instskip(SKIP_3) | instid1(VALU_DEP_4)
	v_dual_ashrrev_i32 v142, 31, v142 :: v_dual_lshlrev_b32 v146, 29, v143
	v_dual_lshlrev_b32 v147, 28, v143 :: v_dual_lshlrev_b32 v149, 27, v143
	v_lshlrev_b32_e32 v150, 26, v143
	v_cmp_gt_i32_e64 s15, 0, v145
	v_cmp_gt_i32_e64 s16, 0, v146
	v_not_b32_e32 v145, v146
	v_not_b32_e32 v146, v147
	v_dual_lshlrev_b32 v151, 25, v143 :: v_dual_lshlrev_b32 v153, 24, v143
	v_cmp_gt_i32_e64 s17, 0, v147
	v_cmp_gt_i32_e64 s18, 0, v149
	v_not_b32_e32 v147, v149
	v_not_b32_e32 v149, v150
	v_dual_ashrrev_i32 v146, 31, v146 :: v_dual_bitop2_b32 v61, vcc_lo, v61 bitop3:0x14
	v_dual_ashrrev_i32 v145, 31, v145 :: v_dual_bitop2_b32 v142, s15, v142 bitop3:0x14
	v_cmp_gt_i32_e64 s19, 0, v150
	v_cmp_gt_i32_e64 s20, 0, v151
	v_not_b32_e32 v150, v151
	v_not_b32_e32 v151, v153
	v_dual_ashrrev_i32 v147, 31, v147 :: v_dual_ashrrev_i32 v149, 31, v149
	v_xor_b32_e32 v145, s16, v145
	v_xor_b32_e32 v146, s17, v146
	v_bitop3_b32 v61, v61, v142, exec_lo bitop3:0x80
	v_cmp_gt_i32_e64 s21, 0, v153
	v_dual_ashrrev_i32 v142, 31, v150 :: v_dual_ashrrev_i32 v150, 31, v151
	v_xor_b32_e32 v147, s18, v147
	s_delay_alu instid0(VALU_DEP_4) | instskip(SKIP_3) | instid1(VALU_DEP_3)
	v_bitop3_b32 v61, v61, v146, v145 bitop3:0x80
	v_mul_u32_u24_e32 v143, 36, v143
	v_xor_b32_e32 v149, s19, v149
	v_xor_b32_e32 v142, s20, v142
	v_dual_add_nc_u32 v143, v23, v143 :: v_dual_bitop2_b32 v145, s21, v150 bitop3:0x14
	s_delay_alu instid0(VALU_DEP_3) | instskip(NEXT) | instid1(VALU_DEP_1)
	v_bitop3_b32 v61, v61, v149, v147 bitop3:0x80
	v_bitop3_b32 v61, v61, v145, v142 bitop3:0x80
	s_delay_alu instid0(VALU_DEP_1) | instskip(SKIP_1) | instid1(VALU_DEP_2)
	v_mbcnt_lo_u32_b32 v142, v61, 0
	v_cmp_ne_u32_e64 s15, 0, v61
	v_cmp_eq_u32_e32 vcc_lo, 0, v142
	s_and_b32 s16, s15, vcc_lo
	s_delay_alu instid0(SALU_CYCLE_1)
	s_and_saveexec_b32 s15, s16
; %bb.719:                              ;   in Loop: Header=BB2040_682 Depth=2
	v_bcnt_u32_b32 v61, v61, 0
	ds_store_b32 v143, v61 offset:1056
; %bb.720:                              ;   in Loop: Header=BB2040_682 Depth=2
	s_or_b32 exec_lo, exec_lo, s15
	v_cmp_lt_i16_e64 vcc_lo, -1, v141
	; wave barrier
	s_delay_alu instid0(VALU_DEP_1) | instskip(NEXT) | instid1(VALU_DEP_1)
	v_cndmask_b32_e64 v61, -1, 0xffff8000, vcc_lo
	v_xor_b32_e32 v141, v61, v141
	s_delay_alu instid0(VALU_DEP_1) | instskip(SKIP_1) | instid1(VALU_DEP_1)
	v_cmp_ne_u16_e64 vcc_lo, 0x7fff, v141
	v_cndmask_b32_e32 v61, 0xffff8000, v141, vcc_lo
	v_and_b32_e32 v61, 0xffff, v61
	s_delay_alu instid0(VALU_DEP_1) | instskip(NEXT) | instid1(VALU_DEP_1)
	v_lshrrev_b32_e32 v61, s49, v61
	v_and_b32_e32 v147, s52, v61
	s_delay_alu instid0(VALU_DEP_1) | instskip(SKIP_2) | instid1(VALU_DEP_3)
	v_lshlrev_b32_e32 v149, 29, v147
	v_bitop3_b32 v145, v61, 1, s52 bitop3:0x80
	v_lshlrev_b32_e32 v146, 30, v147
	v_cmp_gt_i32_e64 s16, 0, v149
	s_delay_alu instid0(VALU_DEP_3) | instskip(NEXT) | instid1(VALU_DEP_1)
	v_add_co_u32 v61, s15, v145, -1
	v_cndmask_b32_e64 v145, 0, 1, s15
	s_delay_alu instid0(VALU_DEP_4) | instskip(NEXT) | instid1(VALU_DEP_2)
	v_cmp_gt_i32_e64 s15, 0, v146
	v_cmp_ne_u32_e32 vcc_lo, 0, v145
	v_not_b32_e32 v145, v146
	v_not_b32_e32 v146, v149
	s_delay_alu instid0(VALU_DEP_1) | instskip(SKIP_2) | instid1(VALU_DEP_3)
	v_dual_ashrrev_i32 v146, 31, v146 :: v_dual_lshlrev_b32 v150, 28, v147
	v_dual_lshlrev_b32 v151, 27, v147 :: v_dual_lshlrev_b32 v153, 26, v147
	v_dual_lshlrev_b32 v154, 25, v147 :: v_dual_lshlrev_b32 v155, 24, v147
	v_cmp_gt_i32_e64 s17, 0, v150
	v_not_b32_e32 v149, v150
	s_delay_alu instid0(VALU_DEP_4)
	v_not_b32_e32 v150, v151
	v_ashrrev_i32_e32 v145, 31, v145
	v_cmp_gt_i32_e64 s18, 0, v151
	v_cmp_gt_i32_e64 s19, 0, v153
	v_not_b32_e32 v151, v153
	v_cmp_gt_i32_e64 s20, 0, v154
	v_not_b32_e32 v153, v154
	v_not_b32_e32 v154, v155
	s_delay_alu instid0(VALU_DEP_4) | instskip(SKIP_3) | instid1(VALU_DEP_3)
	v_dual_ashrrev_i32 v151, 31, v151 :: v_dual_bitop2_b32 v61, vcc_lo, v61 bitop3:0x14
	v_dual_ashrrev_i32 v149, 31, v149 :: v_dual_bitop2_b32 v146, s16, v146 bitop3:0x14
	v_dual_ashrrev_i32 v150, 31, v150 :: v_dual_bitop2_b32 v145, s15, v145 bitop3:0x14
	v_cmp_gt_i32_e64 s21, 0, v155
	v_xor_b32_e32 v149, s17, v149
	v_xor_b32_e32 v151, s19, v151
	s_delay_alu instid0(VALU_DEP_4) | instskip(SKIP_2) | instid1(VALU_DEP_2)
	v_xor_b32_e32 v150, s18, v150
	v_bitop3_b32 v61, v61, v145, exec_lo bitop3:0x80
	v_dual_ashrrev_i32 v145, 31, v153 :: v_dual_ashrrev_i32 v153, 31, v154
	v_bitop3_b32 v61, v61, v149, v146 bitop3:0x80
	v_mad_u32_u24 v146, v147, 36, v23
	s_delay_alu instid0(VALU_DEP_3) | instskip(NEXT) | instid1(VALU_DEP_4)
	v_xor_b32_e32 v149, s20, v145
	v_xor_b32_e32 v153, s21, v153
	v_mul_u32_u24_e32 v147, 36, v147
	v_bitop3_b32 v61, v61, v151, v150 bitop3:0x80
	ds_load_b32 v145, v146 offset:1056
	; wave barrier
	v_add_nc_u32_e32 v147, v23, v147
	v_bitop3_b32 v61, v61, v153, v149 bitop3:0x80
	s_delay_alu instid0(VALU_DEP_1) | instskip(SKIP_1) | instid1(VALU_DEP_2)
	v_mbcnt_lo_u32_b32 v146, v61, 0
	v_cmp_ne_u32_e64 s15, 0, v61
	v_cmp_eq_u32_e32 vcc_lo, 0, v146
	s_and_b32 s16, s15, vcc_lo
	s_delay_alu instid0(SALU_CYCLE_1)
	s_and_saveexec_b32 s15, s16
	s_cbranch_execz .LBB2040_722
; %bb.721:                              ;   in Loop: Header=BB2040_682 Depth=2
	s_wait_dscnt 0x0
	v_bcnt_u32_b32 v61, v61, v145
	ds_store_b32 v147, v61 offset:1056
.LBB2040_722:                           ;   in Loop: Header=BB2040_682 Depth=2
	s_or_b32 exec_lo, exec_lo, s15
	v_cmp_lt_i16_e64 vcc_lo, -1, v144
	; wave barrier
	s_delay_alu instid0(VALU_DEP_1) | instskip(NEXT) | instid1(VALU_DEP_1)
	v_cndmask_b32_e64 v61, -1, 0xffff8000, vcc_lo
	v_xor_b32_e32 v144, v61, v144
	s_delay_alu instid0(VALU_DEP_1) | instskip(SKIP_1) | instid1(VALU_DEP_1)
	v_cmp_ne_u16_e64 vcc_lo, 0x7fff, v144
	v_cndmask_b32_e32 v61, 0xffff8000, v144, vcc_lo
	v_and_b32_e32 v61, 0xffff, v61
	s_delay_alu instid0(VALU_DEP_1) | instskip(NEXT) | instid1(VALU_DEP_1)
	v_lshrrev_b32_e32 v61, s49, v61
	v_bitop3_b32 v149, v61, 1, s52 bitop3:0x80
	v_and_b32_e32 v151, s52, v61
	s_delay_alu instid0(VALU_DEP_2) | instskip(NEXT) | instid1(VALU_DEP_1)
	v_add_co_u32 v61, s15, v149, -1
	v_cndmask_b32_e64 v149, 0, 1, s15
	s_delay_alu instid0(VALU_DEP_3) | instskip(NEXT) | instid1(VALU_DEP_2)
	v_dual_lshlrev_b32 v150, 30, v151 :: v_dual_lshlrev_b32 v153, 29, v151
	v_cmp_ne_u32_e32 vcc_lo, 0, v149
	s_delay_alu instid0(VALU_DEP_2) | instskip(SKIP_1) | instid1(VALU_DEP_4)
	v_cmp_gt_i32_e64 s15, 0, v150
	v_not_b32_e32 v149, v150
	v_not_b32_e32 v150, v153
	s_delay_alu instid0(VALU_DEP_1) | instskip(SKIP_3) | instid1(VALU_DEP_4)
	v_dual_ashrrev_i32 v150, 31, v150 :: v_dual_lshlrev_b32 v154, 28, v151
	v_dual_lshlrev_b32 v155, 27, v151 :: v_dual_lshlrev_b32 v157, 26, v151
	v_dual_lshlrev_b32 v158, 25, v151 :: v_dual_lshlrev_b32 v159, 24, v151
	v_cmp_gt_i32_e64 s16, 0, v153
	v_cmp_gt_i32_e64 s17, 0, v154
	v_not_b32_e32 v153, v154
	v_not_b32_e32 v154, v155
	v_ashrrev_i32_e32 v149, 31, v149
	v_cmp_gt_i32_e64 s18, 0, v155
	v_cmp_gt_i32_e64 s19, 0, v157
	v_not_b32_e32 v155, v157
	v_cmp_gt_i32_e64 s20, 0, v158
	v_not_b32_e32 v157, v158
	v_not_b32_e32 v158, v159
	s_delay_alu instid0(VALU_DEP_4) | instskip(SKIP_3) | instid1(VALU_DEP_3)
	v_dual_ashrrev_i32 v155, 31, v155 :: v_dual_bitop2_b32 v61, vcc_lo, v61 bitop3:0x14
	v_dual_ashrrev_i32 v153, 31, v153 :: v_dual_bitop2_b32 v150, s16, v150 bitop3:0x14
	v_dual_ashrrev_i32 v154, 31, v154 :: v_dual_bitop2_b32 v149, s15, v149 bitop3:0x14
	v_cmp_gt_i32_e64 s21, 0, v159
	v_xor_b32_e32 v153, s17, v153
	v_xor_b32_e32 v155, s19, v155
	s_delay_alu instid0(VALU_DEP_4) | instskip(SKIP_2) | instid1(VALU_DEP_2)
	v_xor_b32_e32 v154, s18, v154
	v_bitop3_b32 v61, v61, v149, exec_lo bitop3:0x80
	v_dual_ashrrev_i32 v149, 31, v157 :: v_dual_ashrrev_i32 v157, 31, v158
	v_bitop3_b32 v61, v61, v153, v150 bitop3:0x80
	v_mad_u32_u24 v150, v151, 36, v23
	s_delay_alu instid0(VALU_DEP_3) | instskip(NEXT) | instid1(VALU_DEP_4)
	v_xor_b32_e32 v153, s20, v149
	v_xor_b32_e32 v157, s21, v157
	v_mul_u32_u24_e32 v151, 36, v151
	v_bitop3_b32 v61, v61, v155, v154 bitop3:0x80
	ds_load_b32 v149, v150 offset:1056
	; wave barrier
	v_add_nc_u32_e32 v151, v23, v151
	v_bitop3_b32 v61, v61, v157, v153 bitop3:0x80
	s_delay_alu instid0(VALU_DEP_1) | instskip(SKIP_1) | instid1(VALU_DEP_2)
	v_mbcnt_lo_u32_b32 v150, v61, 0
	v_cmp_ne_u32_e64 s15, 0, v61
	v_cmp_eq_u32_e32 vcc_lo, 0, v150
	s_and_b32 s16, s15, vcc_lo
	s_delay_alu instid0(SALU_CYCLE_1)
	s_and_saveexec_b32 s15, s16
	s_cbranch_execz .LBB2040_724
; %bb.723:                              ;   in Loop: Header=BB2040_682 Depth=2
	s_wait_dscnt 0x0
	v_bcnt_u32_b32 v61, v61, v149
	ds_store_b32 v151, v61 offset:1056
.LBB2040_724:                           ;   in Loop: Header=BB2040_682 Depth=2
	s_or_b32 exec_lo, exec_lo, s15
	v_cmp_lt_i16_e64 vcc_lo, -1, v148
	; wave barrier
	s_delay_alu instid0(VALU_DEP_1) | instskip(NEXT) | instid1(VALU_DEP_1)
	v_cndmask_b32_e64 v61, -1, 0xffff8000, vcc_lo
	v_xor_b32_e32 v148, v61, v148
	s_delay_alu instid0(VALU_DEP_1) | instskip(SKIP_1) | instid1(VALU_DEP_1)
	v_cmp_ne_u16_e64 vcc_lo, 0x7fff, v148
	v_cndmask_b32_e32 v61, 0xffff8000, v148, vcc_lo
	v_and_b32_e32 v61, 0xffff, v61
	s_delay_alu instid0(VALU_DEP_1) | instskip(NEXT) | instid1(VALU_DEP_1)
	v_lshrrev_b32_e32 v61, s49, v61
	v_bitop3_b32 v153, v61, 1, s52 bitop3:0x80
	v_and_b32_e32 v155, s52, v61
	s_delay_alu instid0(VALU_DEP_2) | instskip(NEXT) | instid1(VALU_DEP_1)
	v_add_co_u32 v61, s15, v153, -1
	v_cndmask_b32_e64 v153, 0, 1, s15
	s_delay_alu instid0(VALU_DEP_3) | instskip(NEXT) | instid1(VALU_DEP_2)
	v_dual_lshlrev_b32 v154, 30, v155 :: v_dual_lshlrev_b32 v157, 29, v155
	v_cmp_ne_u32_e32 vcc_lo, 0, v153
	s_delay_alu instid0(VALU_DEP_2) | instskip(SKIP_1) | instid1(VALU_DEP_4)
	v_cmp_gt_i32_e64 s15, 0, v154
	v_not_b32_e32 v153, v154
	v_not_b32_e32 v154, v157
	s_delay_alu instid0(VALU_DEP_1) | instskip(SKIP_3) | instid1(VALU_DEP_4)
	v_dual_ashrrev_i32 v154, 31, v154 :: v_dual_lshlrev_b32 v158, 28, v155
	v_dual_lshlrev_b32 v159, 27, v155 :: v_dual_lshlrev_b32 v161, 26, v155
	v_dual_lshlrev_b32 v162, 25, v155 :: v_dual_lshlrev_b32 v163, 24, v155
	v_cmp_gt_i32_e64 s16, 0, v157
	v_cmp_gt_i32_e64 s17, 0, v158
	v_not_b32_e32 v157, v158
	v_not_b32_e32 v158, v159
	v_ashrrev_i32_e32 v153, 31, v153
	v_cmp_gt_i32_e64 s18, 0, v159
	v_cmp_gt_i32_e64 s19, 0, v161
	v_not_b32_e32 v159, v161
	v_cmp_gt_i32_e64 s20, 0, v162
	v_not_b32_e32 v161, v162
	v_not_b32_e32 v162, v163
	s_delay_alu instid0(VALU_DEP_4) | instskip(SKIP_3) | instid1(VALU_DEP_3)
	v_dual_ashrrev_i32 v159, 31, v159 :: v_dual_bitop2_b32 v61, vcc_lo, v61 bitop3:0x14
	v_dual_ashrrev_i32 v157, 31, v157 :: v_dual_bitop2_b32 v154, s16, v154 bitop3:0x14
	v_dual_ashrrev_i32 v158, 31, v158 :: v_dual_bitop2_b32 v153, s15, v153 bitop3:0x14
	v_cmp_gt_i32_e64 s21, 0, v163
	v_xor_b32_e32 v157, s17, v157
	v_xor_b32_e32 v159, s19, v159
	s_delay_alu instid0(VALU_DEP_4) | instskip(SKIP_2) | instid1(VALU_DEP_2)
	v_xor_b32_e32 v158, s18, v158
	v_bitop3_b32 v61, v61, v153, exec_lo bitop3:0x80
	v_dual_ashrrev_i32 v153, 31, v161 :: v_dual_ashrrev_i32 v161, 31, v162
	v_bitop3_b32 v61, v61, v157, v154 bitop3:0x80
	v_mad_u32_u24 v154, v155, 36, v23
	s_delay_alu instid0(VALU_DEP_3) | instskip(NEXT) | instid1(VALU_DEP_4)
	v_xor_b32_e32 v157, s20, v153
	v_xor_b32_e32 v161, s21, v161
	v_mul_u32_u24_e32 v155, 36, v155
	v_bitop3_b32 v61, v61, v159, v158 bitop3:0x80
	ds_load_b32 v153, v154 offset:1056
	; wave barrier
	v_add_nc_u32_e32 v155, v23, v155
	v_bitop3_b32 v61, v61, v161, v157 bitop3:0x80
	s_delay_alu instid0(VALU_DEP_1) | instskip(SKIP_1) | instid1(VALU_DEP_2)
	v_mbcnt_lo_u32_b32 v154, v61, 0
	v_cmp_ne_u32_e64 s15, 0, v61
	v_cmp_eq_u32_e32 vcc_lo, 0, v154
	s_and_b32 s16, s15, vcc_lo
	s_delay_alu instid0(SALU_CYCLE_1)
	s_and_saveexec_b32 s15, s16
	s_cbranch_execz .LBB2040_726
; %bb.725:                              ;   in Loop: Header=BB2040_682 Depth=2
	s_wait_dscnt 0x0
	v_bcnt_u32_b32 v61, v61, v153
	ds_store_b32 v155, v61 offset:1056
.LBB2040_726:                           ;   in Loop: Header=BB2040_682 Depth=2
	s_or_b32 exec_lo, exec_lo, s15
	v_cmp_lt_i16_e64 vcc_lo, -1, v152
	; wave barrier
	s_delay_alu instid0(VALU_DEP_1) | instskip(NEXT) | instid1(VALU_DEP_1)
	v_cndmask_b32_e64 v61, -1, 0xffff8000, vcc_lo
	v_xor_b32_e32 v152, v61, v152
	s_delay_alu instid0(VALU_DEP_1) | instskip(SKIP_1) | instid1(VALU_DEP_1)
	v_cmp_ne_u16_e64 vcc_lo, 0x7fff, v152
	v_cndmask_b32_e32 v61, 0xffff8000, v152, vcc_lo
	v_and_b32_e32 v61, 0xffff, v61
	s_delay_alu instid0(VALU_DEP_1) | instskip(NEXT) | instid1(VALU_DEP_1)
	v_lshrrev_b32_e32 v61, s49, v61
	v_bitop3_b32 v157, v61, 1, s52 bitop3:0x80
	v_and_b32_e32 v159, s52, v61
	s_delay_alu instid0(VALU_DEP_2) | instskip(NEXT) | instid1(VALU_DEP_1)
	v_add_co_u32 v61, s15, v157, -1
	v_cndmask_b32_e64 v157, 0, 1, s15
	s_delay_alu instid0(VALU_DEP_3) | instskip(NEXT) | instid1(VALU_DEP_2)
	v_dual_lshlrev_b32 v158, 30, v159 :: v_dual_lshlrev_b32 v161, 29, v159
	v_cmp_ne_u32_e32 vcc_lo, 0, v157
	s_delay_alu instid0(VALU_DEP_2) | instskip(SKIP_1) | instid1(VALU_DEP_4)
	v_cmp_gt_i32_e64 s15, 0, v158
	v_not_b32_e32 v157, v158
	v_not_b32_e32 v158, v161
	s_delay_alu instid0(VALU_DEP_1) | instskip(SKIP_3) | instid1(VALU_DEP_4)
	v_dual_ashrrev_i32 v158, 31, v158 :: v_dual_lshlrev_b32 v162, 28, v159
	v_dual_lshlrev_b32 v163, 27, v159 :: v_dual_lshlrev_b32 v165, 26, v159
	v_dual_lshlrev_b32 v166, 25, v159 :: v_dual_lshlrev_b32 v167, 24, v159
	v_cmp_gt_i32_e64 s16, 0, v161
	v_cmp_gt_i32_e64 s17, 0, v162
	v_not_b32_e32 v161, v162
	v_not_b32_e32 v162, v163
	v_ashrrev_i32_e32 v157, 31, v157
	v_cmp_gt_i32_e64 s18, 0, v163
	v_cmp_gt_i32_e64 s19, 0, v165
	v_not_b32_e32 v163, v165
	v_cmp_gt_i32_e64 s20, 0, v166
	v_not_b32_e32 v165, v166
	v_not_b32_e32 v166, v167
	s_delay_alu instid0(VALU_DEP_4) | instskip(SKIP_3) | instid1(VALU_DEP_3)
	v_dual_ashrrev_i32 v163, 31, v163 :: v_dual_bitop2_b32 v61, vcc_lo, v61 bitop3:0x14
	v_dual_ashrrev_i32 v161, 31, v161 :: v_dual_bitop2_b32 v158, s16, v158 bitop3:0x14
	v_dual_ashrrev_i32 v162, 31, v162 :: v_dual_bitop2_b32 v157, s15, v157 bitop3:0x14
	v_cmp_gt_i32_e64 s21, 0, v167
	v_xor_b32_e32 v161, s17, v161
	v_xor_b32_e32 v163, s19, v163
	s_delay_alu instid0(VALU_DEP_4) | instskip(SKIP_2) | instid1(VALU_DEP_2)
	v_xor_b32_e32 v162, s18, v162
	v_bitop3_b32 v61, v61, v157, exec_lo bitop3:0x80
	v_dual_ashrrev_i32 v157, 31, v165 :: v_dual_ashrrev_i32 v165, 31, v166
	v_bitop3_b32 v61, v61, v161, v158 bitop3:0x80
	v_mad_u32_u24 v158, v159, 36, v23
	s_delay_alu instid0(VALU_DEP_3) | instskip(NEXT) | instid1(VALU_DEP_4)
	v_xor_b32_e32 v161, s20, v157
	v_xor_b32_e32 v165, s21, v165
	v_mul_u32_u24_e32 v159, 36, v159
	v_bitop3_b32 v61, v61, v163, v162 bitop3:0x80
	ds_load_b32 v157, v158 offset:1056
	; wave barrier
	v_add_nc_u32_e32 v159, v23, v159
	v_bitop3_b32 v61, v61, v165, v161 bitop3:0x80
	s_delay_alu instid0(VALU_DEP_1) | instskip(SKIP_1) | instid1(VALU_DEP_2)
	v_mbcnt_lo_u32_b32 v158, v61, 0
	v_cmp_ne_u32_e64 s15, 0, v61
	v_cmp_eq_u32_e32 vcc_lo, 0, v158
	s_and_b32 s16, s15, vcc_lo
	s_delay_alu instid0(SALU_CYCLE_1)
	s_and_saveexec_b32 s15, s16
	s_cbranch_execz .LBB2040_728
; %bb.727:                              ;   in Loop: Header=BB2040_682 Depth=2
	s_wait_dscnt 0x0
	v_bcnt_u32_b32 v61, v61, v157
	ds_store_b32 v159, v61 offset:1056
.LBB2040_728:                           ;   in Loop: Header=BB2040_682 Depth=2
	s_or_b32 exec_lo, exec_lo, s15
	v_cmp_lt_i16_e64 vcc_lo, -1, v156
	; wave barrier
	s_delay_alu instid0(VALU_DEP_1) | instskip(NEXT) | instid1(VALU_DEP_1)
	v_cndmask_b32_e64 v61, -1, 0xffff8000, vcc_lo
	v_xor_b32_e32 v156, v61, v156
	s_delay_alu instid0(VALU_DEP_1) | instskip(SKIP_1) | instid1(VALU_DEP_1)
	v_cmp_ne_u16_e64 vcc_lo, 0x7fff, v156
	v_cndmask_b32_e32 v61, 0xffff8000, v156, vcc_lo
	v_and_b32_e32 v61, 0xffff, v61
	s_delay_alu instid0(VALU_DEP_1) | instskip(NEXT) | instid1(VALU_DEP_1)
	v_lshrrev_b32_e32 v61, s49, v61
	v_bitop3_b32 v161, v61, 1, s52 bitop3:0x80
	v_and_b32_e32 v163, s52, v61
	s_delay_alu instid0(VALU_DEP_2) | instskip(NEXT) | instid1(VALU_DEP_1)
	v_add_co_u32 v61, s15, v161, -1
	v_cndmask_b32_e64 v161, 0, 1, s15
	s_delay_alu instid0(VALU_DEP_3) | instskip(NEXT) | instid1(VALU_DEP_2)
	v_dual_lshlrev_b32 v162, 30, v163 :: v_dual_lshlrev_b32 v165, 29, v163
	v_cmp_ne_u32_e32 vcc_lo, 0, v161
	s_delay_alu instid0(VALU_DEP_2) | instskip(SKIP_1) | instid1(VALU_DEP_4)
	v_cmp_gt_i32_e64 s15, 0, v162
	v_not_b32_e32 v161, v162
	v_not_b32_e32 v162, v165
	s_delay_alu instid0(VALU_DEP_1) | instskip(SKIP_3) | instid1(VALU_DEP_4)
	v_dual_ashrrev_i32 v162, 31, v162 :: v_dual_lshlrev_b32 v166, 28, v163
	v_dual_lshlrev_b32 v167, 27, v163 :: v_dual_lshlrev_b32 v169, 26, v163
	v_dual_lshlrev_b32 v170, 25, v163 :: v_dual_lshlrev_b32 v171, 24, v163
	v_cmp_gt_i32_e64 s16, 0, v165
	v_cmp_gt_i32_e64 s17, 0, v166
	v_not_b32_e32 v165, v166
	v_not_b32_e32 v166, v167
	v_ashrrev_i32_e32 v161, 31, v161
	v_cmp_gt_i32_e64 s18, 0, v167
	v_cmp_gt_i32_e64 s19, 0, v169
	v_not_b32_e32 v167, v169
	v_cmp_gt_i32_e64 s20, 0, v170
	v_not_b32_e32 v169, v170
	v_not_b32_e32 v170, v171
	s_delay_alu instid0(VALU_DEP_4) | instskip(SKIP_3) | instid1(VALU_DEP_3)
	v_dual_ashrrev_i32 v167, 31, v167 :: v_dual_bitop2_b32 v61, vcc_lo, v61 bitop3:0x14
	v_dual_ashrrev_i32 v165, 31, v165 :: v_dual_bitop2_b32 v162, s16, v162 bitop3:0x14
	v_dual_ashrrev_i32 v166, 31, v166 :: v_dual_bitop2_b32 v161, s15, v161 bitop3:0x14
	v_cmp_gt_i32_e64 s21, 0, v171
	v_xor_b32_e32 v165, s17, v165
	v_xor_b32_e32 v167, s19, v167
	s_delay_alu instid0(VALU_DEP_4) | instskip(SKIP_2) | instid1(VALU_DEP_2)
	v_xor_b32_e32 v166, s18, v166
	v_bitop3_b32 v61, v61, v161, exec_lo bitop3:0x80
	v_dual_ashrrev_i32 v161, 31, v169 :: v_dual_ashrrev_i32 v169, 31, v170
	v_bitop3_b32 v61, v61, v165, v162 bitop3:0x80
	v_mad_u32_u24 v162, v163, 36, v23
	s_delay_alu instid0(VALU_DEP_3) | instskip(NEXT) | instid1(VALU_DEP_4)
	v_xor_b32_e32 v165, s20, v161
	v_xor_b32_e32 v169, s21, v169
	v_mul_u32_u24_e32 v163, 36, v163
	v_bitop3_b32 v61, v61, v167, v166 bitop3:0x80
	ds_load_b32 v161, v162 offset:1056
	; wave barrier
	v_add_nc_u32_e32 v163, v23, v163
	v_bitop3_b32 v61, v61, v169, v165 bitop3:0x80
	s_delay_alu instid0(VALU_DEP_1) | instskip(SKIP_1) | instid1(VALU_DEP_2)
	v_mbcnt_lo_u32_b32 v162, v61, 0
	v_cmp_ne_u32_e64 s15, 0, v61
	v_cmp_eq_u32_e32 vcc_lo, 0, v162
	s_and_b32 s16, s15, vcc_lo
	s_delay_alu instid0(SALU_CYCLE_1)
	s_and_saveexec_b32 s15, s16
	s_cbranch_execz .LBB2040_730
; %bb.729:                              ;   in Loop: Header=BB2040_682 Depth=2
	s_wait_dscnt 0x0
	v_bcnt_u32_b32 v61, v61, v161
	ds_store_b32 v163, v61 offset:1056
.LBB2040_730:                           ;   in Loop: Header=BB2040_682 Depth=2
	s_or_b32 exec_lo, exec_lo, s15
	v_cmp_lt_i16_e64 vcc_lo, -1, v160
	; wave barrier
	s_delay_alu instid0(VALU_DEP_1) | instskip(NEXT) | instid1(VALU_DEP_1)
	v_cndmask_b32_e64 v61, -1, 0xffff8000, vcc_lo
	v_xor_b32_e32 v160, v61, v160
	s_delay_alu instid0(VALU_DEP_1) | instskip(SKIP_1) | instid1(VALU_DEP_1)
	v_cmp_ne_u16_e64 vcc_lo, 0x7fff, v160
	v_cndmask_b32_e32 v61, 0xffff8000, v160, vcc_lo
	v_and_b32_e32 v61, 0xffff, v61
	s_delay_alu instid0(VALU_DEP_1) | instskip(NEXT) | instid1(VALU_DEP_1)
	v_lshrrev_b32_e32 v61, s49, v61
	v_bitop3_b32 v165, v61, 1, s52 bitop3:0x80
	v_and_b32_e32 v167, s52, v61
	s_delay_alu instid0(VALU_DEP_2) | instskip(NEXT) | instid1(VALU_DEP_1)
	v_add_co_u32 v61, s15, v165, -1
	v_cndmask_b32_e64 v165, 0, 1, s15
	s_delay_alu instid0(VALU_DEP_3) | instskip(NEXT) | instid1(VALU_DEP_2)
	v_dual_lshlrev_b32 v166, 30, v167 :: v_dual_lshlrev_b32 v169, 29, v167
	v_cmp_ne_u32_e32 vcc_lo, 0, v165
	s_delay_alu instid0(VALU_DEP_2) | instskip(SKIP_1) | instid1(VALU_DEP_4)
	v_cmp_gt_i32_e64 s15, 0, v166
	v_not_b32_e32 v165, v166
	v_not_b32_e32 v166, v169
	s_delay_alu instid0(VALU_DEP_1) | instskip(SKIP_3) | instid1(VALU_DEP_4)
	v_dual_ashrrev_i32 v166, 31, v166 :: v_dual_lshlrev_b32 v170, 28, v167
	v_dual_lshlrev_b32 v171, 27, v167 :: v_dual_lshlrev_b32 v172, 26, v167
	v_cmp_gt_i32_e64 s16, 0, v169
	v_dual_lshlrev_b32 v173, 25, v167 :: v_dual_lshlrev_b32 v174, 24, v167
	v_cmp_gt_i32_e64 s17, 0, v170
	v_not_b32_e32 v169, v170
	v_not_b32_e32 v170, v171
	v_ashrrev_i32_e32 v165, 31, v165
	v_cmp_gt_i32_e64 s18, 0, v171
	v_not_b32_e32 v171, v172
	v_xor_b32_e32 v61, vcc_lo, v61
	v_dual_ashrrev_i32 v169, 31, v169 :: v_dual_bitop2_b32 v166, s16, v166 bitop3:0x14
	v_dual_ashrrev_i32 v170, 31, v170 :: v_dual_bitop2_b32 v165, s15, v165 bitop3:0x14
	v_cmp_gt_i32_e64 s19, 0, v172
	v_cmp_gt_i32_e64 s20, 0, v173
	v_not_b32_e32 v172, v173
	v_not_b32_e32 v173, v174
	v_dual_ashrrev_i32 v171, 31, v171 :: v_dual_bitop2_b32 v169, s17, v169 bitop3:0x14
	v_bitop3_b32 v61, v61, v165, exec_lo bitop3:0x80
	v_cmp_gt_i32_e64 s21, 0, v174
	s_delay_alu instid0(VALU_DEP_4)
	v_dual_ashrrev_i32 v165, 31, v172 :: v_dual_ashrrev_i32 v172, 31, v173
	v_xor_b32_e32 v170, s18, v170
	v_xor_b32_e32 v171, s19, v171
	v_bitop3_b32 v61, v61, v169, v166 bitop3:0x80
	v_mad_u32_u24 v166, v167, 36, v23
	v_xor_b32_e32 v169, s20, v165
	v_xor_b32_e32 v172, s21, v172
	v_mul_u32_u24_e32 v167, 36, v167
	v_bitop3_b32 v61, v61, v171, v170 bitop3:0x80
	ds_load_b32 v165, v166 offset:1056
	; wave barrier
	v_add_nc_u32_e32 v167, v23, v167
	v_bitop3_b32 v61, v61, v172, v169 bitop3:0x80
	s_delay_alu instid0(VALU_DEP_1) | instskip(SKIP_1) | instid1(VALU_DEP_2)
	v_mbcnt_lo_u32_b32 v166, v61, 0
	v_cmp_ne_u32_e64 s15, 0, v61
	v_cmp_eq_u32_e32 vcc_lo, 0, v166
	s_and_b32 s16, s15, vcc_lo
	s_delay_alu instid0(SALU_CYCLE_1)
	s_and_saveexec_b32 s15, s16
	s_cbranch_execz .LBB2040_732
; %bb.731:                              ;   in Loop: Header=BB2040_682 Depth=2
	s_wait_dscnt 0x0
	v_bcnt_u32_b32 v61, v61, v165
	ds_store_b32 v167, v61 offset:1056
.LBB2040_732:                           ;   in Loop: Header=BB2040_682 Depth=2
	s_or_b32 exec_lo, exec_lo, s15
	v_cmp_lt_i16_e64 vcc_lo, -1, v164
	; wave barrier
	s_delay_alu instid0(VALU_DEP_1) | instskip(NEXT) | instid1(VALU_DEP_1)
	v_cndmask_b32_e64 v61, -1, 0xffff8000, vcc_lo
	v_xor_b32_e32 v164, v61, v164
	s_delay_alu instid0(VALU_DEP_1) | instskip(SKIP_1) | instid1(VALU_DEP_1)
	v_cmp_ne_u16_e64 vcc_lo, 0x7fff, v164
	v_cndmask_b32_e32 v61, 0xffff8000, v164, vcc_lo
	v_and_b32_e32 v61, 0xffff, v61
	s_delay_alu instid0(VALU_DEP_1) | instskip(NEXT) | instid1(VALU_DEP_1)
	v_lshrrev_b32_e32 v61, s49, v61
	v_bitop3_b32 v169, v61, 1, s52 bitop3:0x80
	v_and_b32_e32 v171, s52, v61
	s_delay_alu instid0(VALU_DEP_2) | instskip(NEXT) | instid1(VALU_DEP_1)
	v_add_co_u32 v61, s15, v169, -1
	v_cndmask_b32_e64 v169, 0, 1, s15
	s_delay_alu instid0(VALU_DEP_3) | instskip(NEXT) | instid1(VALU_DEP_2)
	v_dual_lshlrev_b32 v170, 30, v171 :: v_dual_lshlrev_b32 v172, 29, v171
	v_cmp_ne_u32_e32 vcc_lo, 0, v169
	s_delay_alu instid0(VALU_DEP_2) | instskip(SKIP_1) | instid1(VALU_DEP_4)
	v_cmp_gt_i32_e64 s15, 0, v170
	v_not_b32_e32 v169, v170
	v_not_b32_e32 v170, v172
	s_delay_alu instid0(VALU_DEP_1) | instskip(SKIP_3) | instid1(VALU_DEP_4)
	v_dual_ashrrev_i32 v170, 31, v170 :: v_dual_lshlrev_b32 v173, 28, v171
	v_dual_lshlrev_b32 v174, 27, v171 :: v_dual_lshlrev_b32 v175, 26, v171
	v_dual_lshlrev_b32 v176, 25, v171 :: v_dual_lshlrev_b32 v177, 24, v171
	v_cmp_gt_i32_e64 s16, 0, v172
	v_not_b32_e32 v172, v173
	v_ashrrev_i32_e32 v169, 31, v169
	v_cmp_gt_i32_e64 s17, 0, v173
	v_cmp_gt_i32_e64 s18, 0, v174
	v_not_b32_e32 v173, v174
	v_cmp_gt_i32_e64 s19, 0, v175
	v_not_b32_e32 v174, v175
	;; [unrolled: 2-line block ×3, first 2 shown]
	v_not_b32_e32 v176, v177
	s_delay_alu instid0(VALU_DEP_4) | instskip(SKIP_3) | instid1(VALU_DEP_3)
	v_dual_ashrrev_i32 v174, 31, v174 :: v_dual_bitop2_b32 v61, vcc_lo, v61 bitop3:0x14
	v_dual_ashrrev_i32 v172, 31, v172 :: v_dual_bitop2_b32 v169, s15, v169 bitop3:0x14
	v_dual_ashrrev_i32 v173, 31, v173 :: v_dual_bitop2_b32 v170, s16, v170 bitop3:0x14
	v_cmp_gt_i32_e64 s21, 0, v177
	v_xor_b32_e32 v172, s17, v172
	s_delay_alu instid0(VALU_DEP_4) | instskip(SKIP_2) | instid1(VALU_DEP_3)
	v_bitop3_b32 v61, v61, v169, exec_lo bitop3:0x80
	v_dual_ashrrev_i32 v169, 31, v175 :: v_dual_ashrrev_i32 v175, 31, v176
	v_xor_b32_e32 v174, s19, v174
	v_bitop3_b32 v61, v61, v172, v170 bitop3:0x80
	v_mad_u32_u24 v170, v171, 36, v23
	v_mul_u32_u24_e32 v171, 36, v171
	v_xor_b32_e32 v173, s18, v173
	v_xor_b32_e32 v172, s20, v169
	;; [unrolled: 1-line block ×3, first 2 shown]
	ds_load_b32 v169, v170 offset:1056
	v_add_nc_u32_e32 v171, v23, v171
	v_bitop3_b32 v61, v61, v174, v173 bitop3:0x80
	; wave barrier
	s_delay_alu instid0(VALU_DEP_1) | instskip(NEXT) | instid1(VALU_DEP_1)
	v_bitop3_b32 v61, v61, v175, v172 bitop3:0x80
	v_mbcnt_lo_u32_b32 v170, v61, 0
	v_cmp_ne_u32_e64 s15, 0, v61
	s_delay_alu instid0(VALU_DEP_2) | instskip(SKIP_1) | instid1(SALU_CYCLE_1)
	v_cmp_eq_u32_e32 vcc_lo, 0, v170
	s_and_b32 s16, s15, vcc_lo
	s_and_saveexec_b32 s15, s16
	s_cbranch_execz .LBB2040_734
; %bb.733:                              ;   in Loop: Header=BB2040_682 Depth=2
	s_wait_dscnt 0x0
	v_bcnt_u32_b32 v61, v61, v169
	ds_store_b32 v171, v61 offset:1056
.LBB2040_734:                           ;   in Loop: Header=BB2040_682 Depth=2
	s_or_b32 exec_lo, exec_lo, s15
	v_cmp_lt_i16_e64 vcc_lo, -1, v168
	; wave barrier
	s_delay_alu instid0(VALU_DEP_1) | instskip(NEXT) | instid1(VALU_DEP_1)
	v_cndmask_b32_e64 v61, -1, 0xffff8000, vcc_lo
	v_xor_b32_e32 v168, v61, v168
	s_delay_alu instid0(VALU_DEP_1) | instskip(SKIP_1) | instid1(VALU_DEP_1)
	v_cmp_ne_u16_e64 vcc_lo, 0x7fff, v168
	v_cndmask_b32_e32 v61, 0xffff8000, v168, vcc_lo
	v_and_b32_e32 v61, 0xffff, v61
	s_delay_alu instid0(VALU_DEP_1) | instskip(NEXT) | instid1(VALU_DEP_1)
	v_lshrrev_b32_e32 v61, s49, v61
	v_bitop3_b32 v172, v61, 1, s52 bitop3:0x80
	v_and_b32_e32 v175, s52, v61
	s_delay_alu instid0(VALU_DEP_2) | instskip(NEXT) | instid1(VALU_DEP_1)
	v_add_co_u32 v61, s15, v172, -1
	v_cndmask_b32_e64 v172, 0, 1, s15
	s_delay_alu instid0(VALU_DEP_3) | instskip(NEXT) | instid1(VALU_DEP_2)
	v_lshlrev_b32_e32 v173, 30, v175
	v_cmp_ne_u32_e32 vcc_lo, 0, v172
	s_delay_alu instid0(VALU_DEP_2) | instskip(NEXT) | instid1(VALU_DEP_1)
	v_not_b32_e32 v172, v173
	v_dual_ashrrev_i32 v172, 31, v172 :: v_dual_lshlrev_b32 v174, 29, v175
	v_dual_lshlrev_b32 v176, 28, v175 :: v_dual_lshlrev_b32 v177, 27, v175
	v_lshlrev_b32_e32 v178, 26, v175
	v_cmp_gt_i32_e64 s15, 0, v173
	s_delay_alu instid0(VALU_DEP_4)
	v_cmp_gt_i32_e64 s16, 0, v174
	v_not_b32_e32 v173, v174
	v_not_b32_e32 v174, v176
	v_dual_lshlrev_b32 v179, 25, v175 :: v_dual_lshlrev_b32 v180, 24, v175
	v_cmp_gt_i32_e64 s17, 0, v176
	v_cmp_gt_i32_e64 s18, 0, v177
	v_not_b32_e32 v176, v177
	v_not_b32_e32 v177, v178
	v_dual_ashrrev_i32 v174, 31, v174 :: v_dual_bitop2_b32 v61, vcc_lo, v61 bitop3:0x14
	v_dual_ashrrev_i32 v173, 31, v173 :: v_dual_bitop2_b32 v172, s15, v172 bitop3:0x14
	v_cmp_gt_i32_e64 s19, 0, v178
	v_cmp_gt_i32_e64 s20, 0, v179
	v_not_b32_e32 v178, v179
	v_not_b32_e32 v179, v180
	v_dual_ashrrev_i32 v176, 31, v176 :: v_dual_ashrrev_i32 v177, 31, v177
	v_xor_b32_e32 v173, s16, v173
	v_xor_b32_e32 v174, s17, v174
	v_bitop3_b32 v61, v61, v172, exec_lo bitop3:0x80
	v_cmp_gt_i32_e64 s21, 0, v180
	v_dual_ashrrev_i32 v172, 31, v178 :: v_dual_ashrrev_i32 v178, 31, v179
	v_xor_b32_e32 v176, s18, v176
	v_xor_b32_e32 v177, s19, v177
	v_bitop3_b32 v61, v61, v174, v173 bitop3:0x80
	v_mad_u32_u24 v173, v175, 36, v23
	v_xor_b32_e32 v172, s20, v172
	v_xor_b32_e32 v174, s21, v178
	s_delay_alu instid0(VALU_DEP_4) | instskip(SKIP_3) | instid1(VALU_DEP_2)
	v_bitop3_b32 v61, v61, v177, v176 bitop3:0x80
	ds_load_b32 v173, v173 offset:1056
	; wave barrier
	v_bitop3_b32 v61, v61, v174, v172 bitop3:0x80
	v_mul_u32_u24_e32 v172, 36, v175
	v_mbcnt_lo_u32_b32 v174, v61, 0
	v_cmp_ne_u32_e64 s15, 0, v61
	s_delay_alu instid0(VALU_DEP_3) | instskip(NEXT) | instid1(VALU_DEP_3)
	v_add_nc_u32_e32 v175, v23, v172
	v_cmp_eq_u32_e32 vcc_lo, 0, v174
	s_and_b32 s16, s15, vcc_lo
	s_delay_alu instid0(SALU_CYCLE_1)
	s_and_saveexec_b32 s15, s16
	s_cbranch_execz .LBB2040_736
; %bb.735:                              ;   in Loop: Header=BB2040_682 Depth=2
	s_wait_dscnt 0x0
	v_bcnt_u32_b32 v61, v61, v173
	ds_store_b32 v175, v61 offset:1056
.LBB2040_736:                           ;   in Loop: Header=BB2040_682 Depth=2
	s_or_b32 exec_lo, exec_lo, s15
	v_cmp_lt_i16_e32 vcc_lo, -1, v67
	; wave barrier
	v_cndmask_b32_e64 v61, -1, 0xffff8000, vcc_lo
	s_delay_alu instid0(VALU_DEP_1) | instskip(NEXT) | instid1(VALU_DEP_1)
	v_xor_b32_e32 v172, v61, v67
	v_cmp_ne_u16_e64 vcc_lo, 0x7fff, v172
	v_cndmask_b32_e32 v61, 0xffff8000, v172, vcc_lo
	s_delay_alu instid0(VALU_DEP_1) | instskip(NEXT) | instid1(VALU_DEP_1)
	v_and_b32_e32 v61, 0xffff, v61
	v_lshrrev_b32_e32 v61, s49, v61
	s_delay_alu instid0(VALU_DEP_1) | instskip(SKIP_1) | instid1(VALU_DEP_2)
	v_bitop3_b32 v67, v61, 1, s52 bitop3:0x80
	v_and_b32_e32 v176, s52, v61
	v_add_co_u32 v61, s15, v67, -1
	s_delay_alu instid0(VALU_DEP_1) | instskip(NEXT) | instid1(VALU_DEP_3)
	v_cndmask_b32_e64 v67, 0, 1, s15
	v_lshlrev_b32_e32 v177, 30, v176
	s_delay_alu instid0(VALU_DEP_2) | instskip(NEXT) | instid1(VALU_DEP_2)
	v_cmp_ne_u32_e32 vcc_lo, 0, v67
	v_not_b32_e32 v67, v177
	s_delay_alu instid0(VALU_DEP_1) | instskip(SKIP_4) | instid1(VALU_DEP_4)
	v_dual_ashrrev_i32 v67, 31, v67 :: v_dual_bitop2_b32 v61, vcc_lo, v61 bitop3:0x14
	v_dual_lshlrev_b32 v178, 29, v176 :: v_dual_lshlrev_b32 v179, 28, v176
	v_dual_lshlrev_b32 v180, 27, v176 :: v_dual_lshlrev_b32 v181, 26, v176
	v_lshlrev_b32_e32 v182, 25, v176
	v_cmp_gt_i32_e64 s15, 0, v177
	v_cmp_gt_i32_e64 s16, 0, v178
	v_not_b32_e32 v177, v178
	v_not_b32_e32 v178, v179
	v_lshlrev_b32_e32 v183, 24, v176
	v_cmp_gt_i32_e64 s17, 0, v179
	v_cmp_gt_i32_e64 s18, 0, v180
	v_not_b32_e32 v179, v180
	v_not_b32_e32 v180, v181
	v_dual_ashrrev_i32 v177, 31, v177 :: v_dual_bitop2_b32 v67, s15, v67 bitop3:0x14
	v_ashrrev_i32_e32 v178, 31, v178
	v_cmp_gt_i32_e64 s19, 0, v181
	v_cmp_gt_i32_e64 s20, 0, v182
	v_not_b32_e32 v181, v182
	v_not_b32_e32 v182, v183
	v_dual_ashrrev_i32 v179, 31, v179 :: v_dual_ashrrev_i32 v180, 31, v180
	v_xor_b32_e32 v177, s16, v177
	v_xor_b32_e32 v178, s17, v178
	v_bitop3_b32 v61, v61, v67, exec_lo bitop3:0x80
	v_cmp_gt_i32_e64 s21, 0, v183
	v_dual_ashrrev_i32 v67, 31, v181 :: v_dual_ashrrev_i32 v181, 31, v182
	v_xor_b32_e32 v179, s18, v179
	v_xor_b32_e32 v180, s19, v180
	v_bitop3_b32 v61, v61, v178, v177 bitop3:0x80
	v_mad_u32_u24 v177, v176, 36, v23
	v_xor_b32_e32 v67, s20, v67
	v_xor_b32_e32 v178, s21, v181
	s_delay_alu instid0(VALU_DEP_4) | instskip(SKIP_3) | instid1(VALU_DEP_2)
	v_bitop3_b32 v61, v61, v180, v179 bitop3:0x80
	ds_load_b32 v177, v177 offset:1056
	; wave barrier
	v_bitop3_b32 v61, v61, v178, v67 bitop3:0x80
	v_mul_u32_u24_e32 v67, 36, v176
	v_mbcnt_lo_u32_b32 v178, v61, 0
	v_cmp_ne_u32_e64 s15, 0, v61
	s_delay_alu instid0(VALU_DEP_3) | instskip(NEXT) | instid1(VALU_DEP_3)
	v_add_nc_u32_e32 v179, v23, v67
	v_cmp_eq_u32_e32 vcc_lo, 0, v178
	s_and_b32 s16, s15, vcc_lo
	s_delay_alu instid0(SALU_CYCLE_1)
	s_and_saveexec_b32 s15, s16
	s_cbranch_execz .LBB2040_738
; %bb.737:                              ;   in Loop: Header=BB2040_682 Depth=2
	s_wait_dscnt 0x0
	v_bcnt_u32_b32 v61, v61, v177
	ds_store_b32 v179, v61 offset:1056
.LBB2040_738:                           ;   in Loop: Header=BB2040_682 Depth=2
	s_or_b32 exec_lo, exec_lo, s15
	v_cmp_lt_i16_e32 vcc_lo, -1, v66
	; wave barrier
	v_cndmask_b32_e64 v61, -1, 0xffff8000, vcc_lo
	s_delay_alu instid0(VALU_DEP_1) | instskip(NEXT) | instid1(VALU_DEP_1)
	v_xor_b32_e32 v176, v61, v66
	v_cmp_ne_u16_e64 vcc_lo, 0x7fff, v176
	v_cndmask_b32_e32 v61, 0xffff8000, v176, vcc_lo
	s_delay_alu instid0(VALU_DEP_1) | instskip(NEXT) | instid1(VALU_DEP_1)
	v_and_b32_e32 v61, 0xffff, v61
	v_lshrrev_b32_e32 v61, s49, v61
	s_delay_alu instid0(VALU_DEP_1) | instskip(SKIP_1) | instid1(VALU_DEP_2)
	v_bitop3_b32 v66, v61, 1, s52 bitop3:0x80
	v_and_b32_e32 v67, s52, v61
	v_add_co_u32 v61, s15, v66, -1
	s_delay_alu instid0(VALU_DEP_1) | instskip(NEXT) | instid1(VALU_DEP_3)
	v_cndmask_b32_e64 v66, 0, 1, s15
	v_lshlrev_b32_e32 v180, 30, v67
	s_delay_alu instid0(VALU_DEP_2) | instskip(NEXT) | instid1(VALU_DEP_2)
	v_cmp_ne_u32_e32 vcc_lo, 0, v66
	v_not_b32_e32 v66, v180
	v_cmp_gt_i32_e64 s15, 0, v180
	s_delay_alu instid0(VALU_DEP_2) | instskip(SKIP_3) | instid1(VALU_DEP_4)
	v_dual_ashrrev_i32 v66, 31, v66 :: v_dual_lshlrev_b32 v181, 29, v67
	v_dual_lshlrev_b32 v182, 28, v67 :: v_dual_lshlrev_b32 v183, 27, v67
	v_dual_lshlrev_b32 v184, 26, v67 :: v_dual_lshlrev_b32 v185, 25, v67
	v_lshlrev_b32_e32 v186, 24, v67
	v_cmp_gt_i32_e64 s16, 0, v181
	v_not_b32_e32 v180, v181
	v_not_b32_e32 v181, v182
	v_cmp_gt_i32_e64 s17, 0, v182
	v_cmp_gt_i32_e64 s18, 0, v183
	v_not_b32_e32 v182, v183
	v_not_b32_e32 v183, v184
	v_dual_ashrrev_i32 v180, 31, v180 :: v_dual_bitop2_b32 v61, vcc_lo, v61 bitop3:0x14
	v_dual_ashrrev_i32 v181, 31, v181 :: v_dual_bitop2_b32 v66, s15, v66 bitop3:0x14
	v_cmp_gt_i32_e64 s19, 0, v184
	v_cmp_gt_i32_e64 s20, 0, v185
	v_not_b32_e32 v184, v185
	v_not_b32_e32 v185, v186
	v_dual_ashrrev_i32 v182, 31, v182 :: v_dual_ashrrev_i32 v183, 31, v183
	v_xor_b32_e32 v180, s16, v180
	v_xor_b32_e32 v181, s17, v181
	v_bitop3_b32 v61, v61, v66, exec_lo bitop3:0x80
	v_cmp_gt_i32_e64 s21, 0, v186
	v_dual_ashrrev_i32 v66, 31, v184 :: v_dual_ashrrev_i32 v184, 31, v185
	v_xor_b32_e32 v182, s18, v182
	v_xor_b32_e32 v183, s19, v183
	v_bitop3_b32 v61, v61, v181, v180 bitop3:0x80
	v_mad_u32_u24 v180, v67, 36, v23
	v_xor_b32_e32 v66, s20, v66
	v_xor_b32_e32 v184, s21, v184
	s_delay_alu instid0(VALU_DEP_4) | instskip(SKIP_3) | instid1(VALU_DEP_2)
	v_bitop3_b32 v61, v61, v183, v182 bitop3:0x80
	ds_load_b32 v181, v180 offset:1056
	; wave barrier
	v_bitop3_b32 v61, v61, v184, v66 bitop3:0x80
	v_mul_u32_u24_e32 v66, 36, v67
	v_mbcnt_lo_u32_b32 v182, v61, 0
	v_cmp_ne_u32_e64 s15, 0, v61
	s_delay_alu instid0(VALU_DEP_3) | instskip(NEXT) | instid1(VALU_DEP_3)
	v_add_nc_u32_e32 v183, v23, v66
	v_cmp_eq_u32_e32 vcc_lo, 0, v182
	s_and_b32 s16, s15, vcc_lo
	s_delay_alu instid0(SALU_CYCLE_1)
	s_and_saveexec_b32 s15, s16
	s_cbranch_execz .LBB2040_740
; %bb.739:                              ;   in Loop: Header=BB2040_682 Depth=2
	s_wait_dscnt 0x0
	v_bcnt_u32_b32 v61, v61, v181
	ds_store_b32 v183, v61 offset:1056
.LBB2040_740:                           ;   in Loop: Header=BB2040_682 Depth=2
	s_or_b32 exec_lo, exec_lo, s15
	v_cmp_lt_i16_e32 vcc_lo, -1, v65
	; wave barrier
	v_cndmask_b32_e64 v61, -1, 0xffff8000, vcc_lo
	s_delay_alu instid0(VALU_DEP_1) | instskip(NEXT) | instid1(VALU_DEP_1)
	v_xor_b32_e32 v180, v61, v65
	v_cmp_ne_u16_e64 vcc_lo, 0x7fff, v180
	v_cndmask_b32_e32 v61, 0xffff8000, v180, vcc_lo
	s_delay_alu instid0(VALU_DEP_1) | instskip(NEXT) | instid1(VALU_DEP_1)
	v_and_b32_e32 v61, 0xffff, v61
	v_lshrrev_b32_e32 v61, s49, v61
	s_delay_alu instid0(VALU_DEP_1) | instskip(NEXT) | instid1(VALU_DEP_1)
	v_and_b32_e32 v66, s52, v61
	v_lshlrev_b32_e32 v185, 28, v66
	v_bitop3_b32 v65, v61, 1, s52 bitop3:0x80
	v_dual_lshlrev_b32 v67, 30, v66 :: v_dual_lshlrev_b32 v184, 29, v66
	s_delay_alu instid0(VALU_DEP_3) | instskip(NEXT) | instid1(VALU_DEP_3)
	v_cmp_gt_i32_e64 s17, 0, v185
	v_add_co_u32 v61, s15, v65, -1
	s_delay_alu instid0(VALU_DEP_1) | instskip(NEXT) | instid1(VALU_DEP_4)
	v_cndmask_b32_e64 v65, 0, 1, s15
	v_cmp_gt_i32_e64 s15, 0, v67
	v_cmp_gt_i32_e64 s16, 0, v184
	s_delay_alu instid0(VALU_DEP_3) | instskip(SKIP_3) | instid1(VALU_DEP_2)
	v_cmp_ne_u32_e32 vcc_lo, 0, v65
	v_not_b32_e32 v65, v67
	v_not_b32_e32 v67, v184
	;; [unrolled: 1-line block ×3, first 2 shown]
	v_dual_ashrrev_i32 v65, 31, v65 :: v_dual_ashrrev_i32 v67, 31, v67
	v_dual_lshlrev_b32 v186, 27, v66 :: v_dual_lshlrev_b32 v187, 26, v66
	v_dual_lshlrev_b32 v188, 25, v66 :: v_dual_lshlrev_b32 v189, 24, v66
	s_delay_alu instid0(VALU_DEP_4) | instskip(NEXT) | instid1(VALU_DEP_3)
	v_ashrrev_i32_e32 v184, 31, v184
	v_cmp_gt_i32_e64 s18, 0, v186
	v_not_b32_e32 v185, v186
	v_cmp_gt_i32_e64 s19, 0, v187
	v_not_b32_e32 v186, v187
	v_cmp_gt_i32_e64 s20, 0, v188
	v_not_b32_e32 v187, v188
	v_not_b32_e32 v188, v189
	s_delay_alu instid0(VALU_DEP_4) | instskip(SKIP_4) | instid1(VALU_DEP_4)
	v_dual_ashrrev_i32 v186, 31, v186 :: v_dual_bitop2_b32 v61, vcc_lo, v61 bitop3:0x14
	v_xor_b32_e32 v65, s15, v65
	v_dual_ashrrev_i32 v185, 31, v185 :: v_dual_bitop2_b32 v67, s16, v67 bitop3:0x14
	v_xor_b32_e32 v184, s17, v184
	v_cmp_gt_i32_e64 s21, 0, v189
	v_bitop3_b32 v61, v61, v65, exec_lo bitop3:0x80
	v_dual_ashrrev_i32 v65, 31, v187 :: v_dual_ashrrev_i32 v187, 31, v188
	v_xor_b32_e32 v185, s18, v185
	v_xor_b32_e32 v186, s19, v186
	s_delay_alu instid0(VALU_DEP_4) | instskip(SKIP_3) | instid1(VALU_DEP_4)
	v_bitop3_b32 v61, v61, v184, v67 bitop3:0x80
	v_mad_u32_u24 v67, v66, 36, v23
	v_xor_b32_e32 v65, s20, v65
	v_xor_b32_e32 v184, s21, v187
	v_bitop3_b32 v61, v61, v186, v185 bitop3:0x80
	ds_load_b32 v185, v67 offset:1056
	; wave barrier
	v_bitop3_b32 v61, v61, v184, v65 bitop3:0x80
	v_mul_u32_u24_e32 v65, 36, v66
	s_delay_alu instid0(VALU_DEP_2) | instskip(SKIP_1) | instid1(VALU_DEP_3)
	v_mbcnt_lo_u32_b32 v186, v61, 0
	v_cmp_ne_u32_e64 s15, 0, v61
	v_add_nc_u32_e32 v187, v23, v65
	s_delay_alu instid0(VALU_DEP_3) | instskip(SKIP_1) | instid1(SALU_CYCLE_1)
	v_cmp_eq_u32_e32 vcc_lo, 0, v186
	s_and_b32 s16, s15, vcc_lo
	s_and_saveexec_b32 s15, s16
	s_cbranch_execz .LBB2040_742
; %bb.741:                              ;   in Loop: Header=BB2040_682 Depth=2
	s_wait_dscnt 0x0
	v_bcnt_u32_b32 v61, v61, v185
	ds_store_b32 v187, v61 offset:1056
.LBB2040_742:                           ;   in Loop: Header=BB2040_682 Depth=2
	s_or_b32 exec_lo, exec_lo, s15
	v_cmp_lt_i16_e32 vcc_lo, -1, v64
	; wave barrier
	v_cndmask_b32_e64 v61, -1, 0xffff8000, vcc_lo
	s_delay_alu instid0(VALU_DEP_1) | instskip(NEXT) | instid1(VALU_DEP_1)
	v_xor_b32_e32 v184, v61, v64
	v_cmp_ne_u16_e64 vcc_lo, 0x7fff, v184
	v_cndmask_b32_e32 v61, 0xffff8000, v184, vcc_lo
	s_delay_alu instid0(VALU_DEP_1) | instskip(NEXT) | instid1(VALU_DEP_1)
	v_and_b32_e32 v61, 0xffff, v61
	v_lshrrev_b32_e32 v61, s49, v61
	s_delay_alu instid0(VALU_DEP_1) | instskip(SKIP_1) | instid1(VALU_DEP_2)
	v_bitop3_b32 v64, v61, 1, s52 bitop3:0x80
	v_and_b32_e32 v65, s52, v61
	v_add_co_u32 v61, s15, v64, -1
	s_delay_alu instid0(VALU_DEP_1) | instskip(NEXT) | instid1(VALU_DEP_3)
	v_cndmask_b32_e64 v64, 0, 1, s15
	v_lshlrev_b32_e32 v66, 30, v65
	s_delay_alu instid0(VALU_DEP_2) | instskip(NEXT) | instid1(VALU_DEP_2)
	v_cmp_ne_u32_e32 vcc_lo, 0, v64
	v_not_b32_e32 v64, v66
	v_cmp_gt_i32_e64 s15, 0, v66
	s_delay_alu instid0(VALU_DEP_2) | instskip(SKIP_3) | instid1(VALU_DEP_4)
	v_dual_ashrrev_i32 v64, 31, v64 :: v_dual_lshlrev_b32 v67, 29, v65
	v_dual_lshlrev_b32 v188, 28, v65 :: v_dual_lshlrev_b32 v189, 27, v65
	v_dual_lshlrev_b32 v190, 26, v65 :: v_dual_lshlrev_b32 v191, 25, v65
	v_lshlrev_b32_e32 v192, 24, v65
	v_cmp_gt_i32_e64 s16, 0, v67
	v_not_b32_e32 v66, v67
	v_not_b32_e32 v67, v188
	v_cmp_gt_i32_e64 s17, 0, v188
	v_cmp_gt_i32_e64 s18, 0, v189
	v_not_b32_e32 v188, v189
	v_not_b32_e32 v189, v190
	v_dual_ashrrev_i32 v66, 31, v66 :: v_dual_bitop2_b32 v61, vcc_lo, v61 bitop3:0x14
	v_dual_ashrrev_i32 v67, 31, v67 :: v_dual_bitop2_b32 v64, s15, v64 bitop3:0x14
	v_cmp_gt_i32_e64 s19, 0, v190
	v_cmp_gt_i32_e64 s20, 0, v191
	v_not_b32_e32 v190, v191
	v_not_b32_e32 v191, v192
	v_dual_ashrrev_i32 v188, 31, v188 :: v_dual_ashrrev_i32 v189, 31, v189
	v_xor_b32_e32 v66, s16, v66
	v_xor_b32_e32 v67, s17, v67
	v_bitop3_b32 v61, v61, v64, exec_lo bitop3:0x80
	v_cmp_gt_i32_e64 s21, 0, v192
	v_dual_ashrrev_i32 v64, 31, v190 :: v_dual_ashrrev_i32 v190, 31, v191
	v_xor_b32_e32 v188, s18, v188
	v_xor_b32_e32 v189, s19, v189
	v_bitop3_b32 v61, v61, v67, v66 bitop3:0x80
	v_mad_u32_u24 v66, v65, 36, v23
	v_xor_b32_e32 v64, s20, v64
	v_xor_b32_e32 v67, s21, v190
	s_delay_alu instid0(VALU_DEP_4) | instskip(SKIP_3) | instid1(VALU_DEP_2)
	v_bitop3_b32 v61, v61, v189, v188 bitop3:0x80
	ds_load_b32 v189, v66 offset:1056
	; wave barrier
	v_bitop3_b32 v61, v61, v67, v64 bitop3:0x80
	v_mul_u32_u24_e32 v64, 36, v65
	v_mbcnt_lo_u32_b32 v190, v61, 0
	v_cmp_ne_u32_e64 s15, 0, v61
	s_delay_alu instid0(VALU_DEP_3) | instskip(NEXT) | instid1(VALU_DEP_3)
	v_add_nc_u32_e32 v191, v23, v64
	v_cmp_eq_u32_e32 vcc_lo, 0, v190
	s_and_b32 s16, s15, vcc_lo
	s_delay_alu instid0(SALU_CYCLE_1)
	s_and_saveexec_b32 s15, s16
	s_cbranch_execz .LBB2040_744
; %bb.743:                              ;   in Loop: Header=BB2040_682 Depth=2
	s_wait_dscnt 0x0
	v_bcnt_u32_b32 v61, v61, v189
	ds_store_b32 v191, v61 offset:1056
.LBB2040_744:                           ;   in Loop: Header=BB2040_682 Depth=2
	s_or_b32 exec_lo, exec_lo, s15
	v_cmp_lt_i16_e32 vcc_lo, -1, v63
	; wave barrier
	v_cndmask_b32_e64 v61, -1, 0xffff8000, vcc_lo
	s_delay_alu instid0(VALU_DEP_1) | instskip(NEXT) | instid1(VALU_DEP_1)
	v_xor_b32_e32 v188, v61, v63
	v_cmp_ne_u16_e64 vcc_lo, 0x7fff, v188
	v_cndmask_b32_e32 v61, 0xffff8000, v188, vcc_lo
	s_delay_alu instid0(VALU_DEP_1) | instskip(NEXT) | instid1(VALU_DEP_1)
	v_and_b32_e32 v61, 0xffff, v61
	v_lshrrev_b32_e32 v61, s49, v61
	s_delay_alu instid0(VALU_DEP_1) | instskip(SKIP_1) | instid1(VALU_DEP_2)
	v_bitop3_b32 v63, v61, 1, s52 bitop3:0x80
	v_and_b32_e32 v64, s52, v61
	v_add_co_u32 v61, s15, v63, -1
	s_delay_alu instid0(VALU_DEP_1) | instskip(NEXT) | instid1(VALU_DEP_3)
	v_cndmask_b32_e64 v63, 0, 1, s15
	v_lshlrev_b32_e32 v65, 30, v64
	s_delay_alu instid0(VALU_DEP_2) | instskip(NEXT) | instid1(VALU_DEP_2)
	v_cmp_ne_u32_e32 vcc_lo, 0, v63
	v_not_b32_e32 v63, v65
	s_delay_alu instid0(VALU_DEP_1) | instskip(SKIP_4) | instid1(VALU_DEP_4)
	v_dual_ashrrev_i32 v63, 31, v63 :: v_dual_bitop2_b32 v61, vcc_lo, v61 bitop3:0x14
	v_dual_lshlrev_b32 v66, 29, v64 :: v_dual_lshlrev_b32 v67, 28, v64
	v_dual_lshlrev_b32 v192, 27, v64 :: v_dual_lshlrev_b32 v193, 26, v64
	v_lshlrev_b32_e32 v194, 25, v64
	v_cmp_gt_i32_e64 s15, 0, v65
	v_cmp_gt_i32_e64 s16, 0, v66
	v_not_b32_e32 v65, v66
	v_not_b32_e32 v66, v67
	v_lshlrev_b32_e32 v195, 24, v64
	v_cmp_gt_i32_e64 s17, 0, v67
	v_cmp_gt_i32_e64 s18, 0, v192
	v_not_b32_e32 v67, v192
	v_not_b32_e32 v192, v193
	v_dual_ashrrev_i32 v65, 31, v65 :: v_dual_bitop2_b32 v63, s15, v63 bitop3:0x14
	v_ashrrev_i32_e32 v66, 31, v66
	v_cmp_gt_i32_e64 s19, 0, v193
	v_cmp_gt_i32_e64 s20, 0, v194
	v_not_b32_e32 v193, v194
	v_not_b32_e32 v194, v195
	v_dual_ashrrev_i32 v67, 31, v67 :: v_dual_ashrrev_i32 v192, 31, v192
	v_xor_b32_e32 v65, s16, v65
	v_xor_b32_e32 v66, s17, v66
	v_bitop3_b32 v61, v61, v63, exec_lo bitop3:0x80
	v_cmp_gt_i32_e64 s21, 0, v195
	v_dual_ashrrev_i32 v63, 31, v193 :: v_dual_ashrrev_i32 v193, 31, v194
	v_xor_b32_e32 v67, s18, v67
	v_xor_b32_e32 v192, s19, v192
	v_bitop3_b32 v61, v61, v66, v65 bitop3:0x80
	v_mad_u32_u24 v65, v64, 36, v23
	v_xor_b32_e32 v63, s20, v63
	v_xor_b32_e32 v66, s21, v193
	s_delay_alu instid0(VALU_DEP_4) | instskip(SKIP_3) | instid1(VALU_DEP_2)
	v_bitop3_b32 v61, v61, v192, v67 bitop3:0x80
	ds_load_b32 v193, v65 offset:1056
	; wave barrier
	v_bitop3_b32 v61, v61, v66, v63 bitop3:0x80
	v_mul_u32_u24_e32 v63, 36, v64
	v_mbcnt_lo_u32_b32 v194, v61, 0
	v_cmp_ne_u32_e64 s15, 0, v61
	s_delay_alu instid0(VALU_DEP_3) | instskip(NEXT) | instid1(VALU_DEP_3)
	v_add_nc_u32_e32 v195, v23, v63
	v_cmp_eq_u32_e32 vcc_lo, 0, v194
	s_and_b32 s16, s15, vcc_lo
	s_delay_alu instid0(SALU_CYCLE_1)
	s_and_saveexec_b32 s15, s16
	s_cbranch_execz .LBB2040_746
; %bb.745:                              ;   in Loop: Header=BB2040_682 Depth=2
	s_wait_dscnt 0x0
	v_bcnt_u32_b32 v61, v61, v193
	ds_store_b32 v195, v61 offset:1056
.LBB2040_746:                           ;   in Loop: Header=BB2040_682 Depth=2
	s_or_b32 exec_lo, exec_lo, s15
	v_cmp_lt_i16_e32 vcc_lo, -1, v62
	; wave barrier
	v_cndmask_b32_e64 v61, -1, 0xffff8000, vcc_lo
	s_delay_alu instid0(VALU_DEP_1) | instskip(NEXT) | instid1(VALU_DEP_1)
	v_xor_b32_e32 v192, v61, v62
	v_cmp_ne_u16_e64 vcc_lo, 0x7fff, v192
	v_cndmask_b32_e32 v61, 0xffff8000, v192, vcc_lo
	s_delay_alu instid0(VALU_DEP_1) | instskip(NEXT) | instid1(VALU_DEP_1)
	v_and_b32_e32 v61, 0xffff, v61
	v_lshrrev_b32_e32 v61, s49, v61
	s_delay_alu instid0(VALU_DEP_1) | instskip(SKIP_1) | instid1(VALU_DEP_2)
	v_bitop3_b32 v62, v61, 1, s52 bitop3:0x80
	v_and_b32_e32 v63, s52, v61
	v_add_co_u32 v61, s15, v62, -1
	s_delay_alu instid0(VALU_DEP_1) | instskip(NEXT) | instid1(VALU_DEP_3)
	v_cndmask_b32_e64 v62, 0, 1, s15
	v_lshlrev_b32_e32 v64, 30, v63
	s_delay_alu instid0(VALU_DEP_2) | instskip(NEXT) | instid1(VALU_DEP_2)
	v_cmp_ne_u32_e32 vcc_lo, 0, v62
	v_not_b32_e32 v62, v64
	v_cmp_gt_i32_e64 s15, 0, v64
	s_delay_alu instid0(VALU_DEP_2) | instskip(SKIP_3) | instid1(VALU_DEP_4)
	v_dual_ashrrev_i32 v62, 31, v62 :: v_dual_lshlrev_b32 v65, 29, v63
	v_dual_lshlrev_b32 v66, 28, v63 :: v_dual_lshlrev_b32 v67, 27, v63
	v_dual_lshlrev_b32 v196, 26, v63 :: v_dual_lshlrev_b32 v197, 25, v63
	v_lshlrev_b32_e32 v198, 24, v63
	v_cmp_gt_i32_e64 s16, 0, v65
	v_not_b32_e32 v64, v65
	v_not_b32_e32 v65, v66
	v_cmp_gt_i32_e64 s17, 0, v66
	v_cmp_gt_i32_e64 s18, 0, v67
	v_not_b32_e32 v66, v67
	v_not_b32_e32 v67, v196
	v_dual_ashrrev_i32 v64, 31, v64 :: v_dual_bitop2_b32 v61, vcc_lo, v61 bitop3:0x14
	v_dual_ashrrev_i32 v65, 31, v65 :: v_dual_bitop2_b32 v62, s15, v62 bitop3:0x14
	v_cmp_gt_i32_e64 s19, 0, v196
	v_cmp_gt_i32_e64 s20, 0, v197
	v_not_b32_e32 v196, v197
	v_not_b32_e32 v197, v198
	v_dual_ashrrev_i32 v66, 31, v66 :: v_dual_ashrrev_i32 v67, 31, v67
	v_xor_b32_e32 v64, s16, v64
	v_xor_b32_e32 v65, s17, v65
	v_bitop3_b32 v61, v61, v62, exec_lo bitop3:0x80
	v_cmp_gt_i32_e64 s21, 0, v198
	v_dual_ashrrev_i32 v62, 31, v196 :: v_dual_ashrrev_i32 v196, 31, v197
	v_xor_b32_e32 v66, s18, v66
	v_xor_b32_e32 v67, s19, v67
	v_bitop3_b32 v61, v61, v65, v64 bitop3:0x80
	v_mad_u32_u24 v64, v63, 36, v23
	v_xor_b32_e32 v62, s20, v62
	v_xor_b32_e32 v65, s21, v196
	s_delay_alu instid0(VALU_DEP_4) | instskip(SKIP_3) | instid1(VALU_DEP_2)
	v_bitop3_b32 v61, v61, v67, v66 bitop3:0x80
	ds_load_b32 v197, v64 offset:1056
	; wave barrier
	v_bitop3_b32 v61, v61, v65, v62 bitop3:0x80
	v_mul_u32_u24_e32 v62, 36, v63
	v_mbcnt_lo_u32_b32 v198, v61, 0
	v_cmp_ne_u32_e64 s15, 0, v61
	s_delay_alu instid0(VALU_DEP_3) | instskip(NEXT) | instid1(VALU_DEP_3)
	v_add_nc_u32_e32 v199, v23, v62
	v_cmp_eq_u32_e32 vcc_lo, 0, v198
	s_and_b32 s16, s15, vcc_lo
	s_delay_alu instid0(SALU_CYCLE_1)
	s_and_saveexec_b32 s15, s16
	s_cbranch_execz .LBB2040_748
; %bb.747:                              ;   in Loop: Header=BB2040_682 Depth=2
	s_wait_dscnt 0x0
	v_bcnt_u32_b32 v61, v61, v197
	ds_store_b32 v199, v61 offset:1056
.LBB2040_748:                           ;   in Loop: Header=BB2040_682 Depth=2
	s_or_b32 exec_lo, exec_lo, s15
	v_cmp_lt_i16_e32 vcc_lo, -1, v60
	; wave barrier
	v_cndmask_b32_e64 v61, -1, 0xffff8000, vcc_lo
	s_delay_alu instid0(VALU_DEP_1) | instskip(NEXT) | instid1(VALU_DEP_1)
	v_xor_b32_e32 v196, v61, v60
	v_cmp_ne_u16_e64 vcc_lo, 0x7fff, v196
	v_cndmask_b32_e32 v60, 0xffff8000, v196, vcc_lo
	s_delay_alu instid0(VALU_DEP_1) | instskip(NEXT) | instid1(VALU_DEP_1)
	v_and_b32_e32 v60, 0xffff, v60
	v_lshrrev_b32_e32 v60, s49, v60
	s_delay_alu instid0(VALU_DEP_1) | instskip(SKIP_1) | instid1(VALU_DEP_2)
	v_bitop3_b32 v61, v60, 1, s52 bitop3:0x80
	v_and_b32_e32 v62, s52, v60
	v_add_co_u32 v60, s15, v61, -1
	s_delay_alu instid0(VALU_DEP_1) | instskip(NEXT) | instid1(VALU_DEP_3)
	v_cndmask_b32_e64 v61, 0, 1, s15
	v_lshlrev_b32_e32 v63, 30, v62
	s_delay_alu instid0(VALU_DEP_2) | instskip(NEXT) | instid1(VALU_DEP_2)
	v_cmp_ne_u32_e32 vcc_lo, 0, v61
	v_not_b32_e32 v61, v63
	v_cmp_gt_i32_e64 s15, 0, v63
	s_delay_alu instid0(VALU_DEP_2) | instskip(SKIP_3) | instid1(VALU_DEP_4)
	v_dual_ashrrev_i32 v61, 31, v61 :: v_dual_lshlrev_b32 v64, 29, v62
	v_dual_lshlrev_b32 v65, 28, v62 :: v_dual_lshlrev_b32 v66, 27, v62
	v_dual_lshlrev_b32 v67, 26, v62 :: v_dual_lshlrev_b32 v200, 25, v62
	v_lshlrev_b32_e32 v201, 24, v62
	v_cmp_gt_i32_e64 s16, 0, v64
	v_not_b32_e32 v63, v64
	v_not_b32_e32 v64, v65
	v_cmp_gt_i32_e64 s17, 0, v65
	v_cmp_gt_i32_e64 s18, 0, v66
	v_not_b32_e32 v65, v66
	v_not_b32_e32 v66, v67
	v_dual_ashrrev_i32 v63, 31, v63 :: v_dual_bitop2_b32 v60, vcc_lo, v60 bitop3:0x14
	v_dual_ashrrev_i32 v64, 31, v64 :: v_dual_bitop2_b32 v61, s15, v61 bitop3:0x14
	v_cmp_gt_i32_e64 s19, 0, v67
	v_cmp_gt_i32_e64 s20, 0, v200
	v_not_b32_e32 v67, v200
	v_not_b32_e32 v200, v201
	v_dual_ashrrev_i32 v65, 31, v65 :: v_dual_ashrrev_i32 v66, 31, v66
	v_xor_b32_e32 v63, s16, v63
	v_xor_b32_e32 v64, s17, v64
	v_bitop3_b32 v60, v60, v61, exec_lo bitop3:0x80
	v_cmp_gt_i32_e64 s21, 0, v201
	v_dual_ashrrev_i32 v61, 31, v67 :: v_dual_ashrrev_i32 v67, 31, v200
	v_xor_b32_e32 v65, s18, v65
	v_xor_b32_e32 v66, s19, v66
	v_bitop3_b32 v60, v60, v64, v63 bitop3:0x80
	v_mad_u32_u24 v63, v62, 36, v23
	v_xor_b32_e32 v61, s20, v61
	v_xor_b32_e32 v64, s21, v67
	s_delay_alu instid0(VALU_DEP_4) | instskip(SKIP_3) | instid1(VALU_DEP_2)
	v_bitop3_b32 v60, v60, v66, v65 bitop3:0x80
	ds_load_b32 v200, v63 offset:1056
	; wave barrier
	v_bitop3_b32 v60, v60, v64, v61 bitop3:0x80
	v_mul_u32_u24_e32 v61, 36, v62
	v_mbcnt_lo_u32_b32 v201, v60, 0
	v_cmp_ne_u32_e64 s15, 0, v60
	s_delay_alu instid0(VALU_DEP_3) | instskip(NEXT) | instid1(VALU_DEP_3)
	v_add_nc_u32_e32 v202, v23, v61
	v_cmp_eq_u32_e32 vcc_lo, 0, v201
	s_and_b32 s16, s15, vcc_lo
	s_delay_alu instid0(SALU_CYCLE_1)
	s_and_saveexec_b32 s15, s16
	s_cbranch_execz .LBB2040_750
; %bb.749:                              ;   in Loop: Header=BB2040_682 Depth=2
	s_wait_dscnt 0x0
	v_bcnt_u32_b32 v60, v60, v200
	ds_store_b32 v202, v60 offset:1056
.LBB2040_750:                           ;   in Loop: Header=BB2040_682 Depth=2
	s_or_b32 exec_lo, exec_lo, s15
	; wave barrier
	s_wait_dscnt 0x0
	s_barrier_signal -1
	s_barrier_wait -1
	ds_load_2addr_b32 v[66:67], v118 offset1:1
	ds_load_2addr_b32 v[64:65], v119 offset1:1
	;; [unrolled: 1-line block ×4, first 2 shown]
	ds_load_b32 v203, v91 offset:1088
	s_wait_dscnt 0x3
	v_add3_u32 v204, v67, v66, v64
	s_wait_dscnt 0x2
	s_delay_alu instid0(VALU_DEP_1) | instskip(SKIP_1) | instid1(VALU_DEP_1)
	v_add3_u32 v204, v204, v65, v62
	s_wait_dscnt 0x1
	v_add3_u32 v204, v204, v63, v60
	s_wait_dscnt 0x0
	s_delay_alu instid0(VALU_DEP_1) | instskip(NEXT) | instid1(VALU_DEP_1)
	v_add3_u32 v203, v204, v61, v203
	v_mov_b32_dpp v204, v203 row_shr:1 row_mask:0xf bank_mask:0xf
	s_delay_alu instid0(VALU_DEP_1) | instskip(NEXT) | instid1(VALU_DEP_1)
	v_cndmask_b32_e64 v204, v204, 0, s7
	v_add_nc_u32_e32 v203, v204, v203
	s_delay_alu instid0(VALU_DEP_1) | instskip(NEXT) | instid1(VALU_DEP_1)
	v_mov_b32_dpp v204, v203 row_shr:2 row_mask:0xf bank_mask:0xf
	v_cndmask_b32_e64 v204, 0, v204, s8
	s_delay_alu instid0(VALU_DEP_1) | instskip(NEXT) | instid1(VALU_DEP_1)
	v_add_nc_u32_e32 v203, v203, v204
	v_mov_b32_dpp v204, v203 row_shr:4 row_mask:0xf bank_mask:0xf
	s_delay_alu instid0(VALU_DEP_1) | instskip(NEXT) | instid1(VALU_DEP_1)
	v_cndmask_b32_e64 v204, 0, v204, s9
	v_add_nc_u32_e32 v203, v203, v204
	s_delay_alu instid0(VALU_DEP_1) | instskip(NEXT) | instid1(VALU_DEP_1)
	v_mov_b32_dpp v204, v203 row_shr:8 row_mask:0xf bank_mask:0xf
	v_cndmask_b32_e64 v204, 0, v204, s10
	s_delay_alu instid0(VALU_DEP_1) | instskip(SKIP_3) | instid1(VALU_DEP_1)
	v_add_nc_u32_e32 v203, v203, v204
	ds_swizzle_b32 v204, v203 offset:swizzle(BROADCAST,32,15)
	s_wait_dscnt 0x0
	v_cndmask_b32_e64 v204, v204, 0, s11
	v_add_nc_u32_e32 v203, v203, v204
	s_and_saveexec_b32 s15, s1
; %bb.751:                              ;   in Loop: Header=BB2040_682 Depth=2
	ds_store_b32 v84, v203 offset:1024
; %bb.752:                              ;   in Loop: Header=BB2040_682 Depth=2
	s_or_b32 exec_lo, exec_lo, s15
	s_wait_dscnt 0x0
	s_barrier_signal -1
	s_barrier_wait -1
	s_and_saveexec_b32 s15, s4
	s_cbranch_execz .LBB2040_754
; %bb.753:                              ;   in Loop: Header=BB2040_682 Depth=2
	ds_load_b32 v204, v92 offset:1024
	s_wait_dscnt 0x0
	v_mov_b32_dpp v205, v204 row_shr:1 row_mask:0xf bank_mask:0xf
	s_delay_alu instid0(VALU_DEP_1) | instskip(NEXT) | instid1(VALU_DEP_1)
	v_cndmask_b32_e64 v205, v205, 0, s12
	v_add_nc_u32_e32 v204, v205, v204
	s_delay_alu instid0(VALU_DEP_1) | instskip(NEXT) | instid1(VALU_DEP_1)
	v_mov_b32_dpp v205, v204 row_shr:2 row_mask:0xf bank_mask:0xf
	v_cndmask_b32_e64 v205, 0, v205, s13
	s_delay_alu instid0(VALU_DEP_1) | instskip(NEXT) | instid1(VALU_DEP_1)
	v_add_nc_u32_e32 v204, v204, v205
	v_mov_b32_dpp v205, v204 row_shr:4 row_mask:0xf bank_mask:0xf
	s_delay_alu instid0(VALU_DEP_1) | instskip(NEXT) | instid1(VALU_DEP_1)
	v_cndmask_b32_e64 v205, 0, v205, s14
	v_add_nc_u32_e32 v204, v204, v205
	ds_store_b32 v92, v204 offset:1024
.LBB2040_754:                           ;   in Loop: Header=BB2040_682 Depth=2
	s_or_b32 exec_lo, exec_lo, s15
	v_mov_b32_e32 v204, 0
	s_wait_dscnt 0x0
	s_barrier_signal -1
	s_barrier_wait -1
	s_and_saveexec_b32 s15, s5
; %bb.755:                              ;   in Loop: Header=BB2040_682 Depth=2
	ds_load_b32 v204, v84 offset:1020
; %bb.756:                              ;   in Loop: Header=BB2040_682 Depth=2
	s_or_b32 exec_lo, exec_lo, s15
	s_wait_dscnt 0x0
	v_add_nc_u32_e32 v203, v204, v203
	ds_bpermute_b32 v203, v122, v203
	s_wait_dscnt 0x0
	v_cndmask_b32_e64 v203, v203, v204, s6
	s_delay_alu instid0(VALU_DEP_1) | instskip(NEXT) | instid1(VALU_DEP_1)
	v_cndmask_b32_e64 v203, v203, 0, s2
	v_add_nc_u32_e32 v66, v203, v66
	s_delay_alu instid0(VALU_DEP_1) | instskip(NEXT) | instid1(VALU_DEP_1)
	v_add_nc_u32_e32 v67, v66, v67
	v_add_nc_u32_e32 v64, v67, v64
	s_delay_alu instid0(VALU_DEP_1) | instskip(NEXT) | instid1(VALU_DEP_1)
	v_add_nc_u32_e32 v65, v64, v65
	;; [unrolled: 3-line block ×3, first 2 shown]
	v_add_nc_u32_e32 v60, v63, v60
	s_delay_alu instid0(VALU_DEP_1)
	v_add_nc_u32_e32 v61, v60, v61
	ds_store_2addr_b32 v121, v63, v60 offset1:1
	ds_store_2addr_b32 v118, v203, v66 offset1:1
	;; [unrolled: 1-line block ×4, first 2 shown]
	ds_store_b32 v91, v61 offset:1088
	s_wait_dscnt 0x0
	s_barrier_signal -1
	s_barrier_wait -1
	ds_load_b32 v63, v143 offset:1056
	ds_load_b32 v65, v147 offset:1056
	;; [unrolled: 1-line block ×17, first 2 shown]
	v_mov_b32_e32 v62, 0x1000
	s_and_saveexec_b32 s15, s3
; %bb.757:                              ;   in Loop: Header=BB2040_682 Depth=2
	ds_load_b32 v62, v91 offset:1092
; %bb.758:                              ;   in Loop: Header=BB2040_682 Depth=2
	s_or_b32 exec_lo, exec_lo, s15
	s_wait_dscnt 0x0
	s_barrier_signal -1
	s_barrier_wait -1
	s_and_saveexec_b32 s15, s0
	s_cbranch_execz .LBB2040_760
; %bb.759:                              ;   in Loop: Header=BB2040_682 Depth=2
	ds_load_b32 v155, v3
	s_wait_dscnt 0x0
	v_sub_nc_u32_e32 v151, v155, v151
	ds_store_b32 v3, v151
.LBB2040_760:                           ;   in Loop: Header=BB2040_682 Depth=2
	s_or_b32 exec_lo, exec_lo, s15
	v_add3_u32 v159, v146, v145, v65
	v_add_nc_u32_e32 v163, v63, v142
	v_add3_u32 v155, v150, v149, v66
	v_add3_u32 v151, v154, v153, v67
	;; [unrolled: 1-line block ×4, first 2 shown]
	v_lshlrev_b32_e32 v60, 1, v159
	v_lshlrev_b32_e32 v153, 1, v163
	v_add3_u32 v150, v158, v157, v143
	v_add3_u32 v147, v166, v165, v203
	;; [unrolled: 1-line block ×4, first 2 shown]
	v_lshlrev_b32_e32 v61, 1, v155
	v_add3_u32 v145, v174, v173, v175
	v_lshlrev_b32_e32 v154, 1, v149
	ds_store_b16 v153, v140 offset:1024
	v_lshlrev_b32_e32 v140, 1, v151
	v_add3_u32 v143, v178, v177, v179
	v_lshlrev_b32_e32 v153, 1, v150
	v_add3_u32 v142, v182, v181, v183
	v_add3_u32 v63, v186, v185, v187
	ds_store_b16 v60, v141 offset:1024
	ds_store_b16 v61, v144 offset:1024
	;; [unrolled: 1-line block ×5, first 2 shown]
	v_dual_lshlrev_b32 v60, 1, v147 :: v_dual_lshlrev_b32 v140, 1, v145
	v_lshlrev_b32_e32 v61, 1, v146
	v_add3_u32 v65, v198, v197, v64
	v_dual_lshlrev_b32 v141, 1, v143 :: v_dual_lshlrev_b32 v144, 1, v142
	v_add3_u32 v64, v201, v200, v167
	ds_store_b16 v60, v160 offset:1024
	ds_store_b16 v61, v164 offset:1024
	;; [unrolled: 1-line block ×5, first 2 shown]
	v_dual_lshlrev_b32 v60, 1, v63 :: v_dual_lshlrev_b32 v140, 1, v66
	v_cmp_lt_u32_e32 vcc_lo, v2, v139
	v_dual_lshlrev_b32 v61, 1, v67 :: v_dual_lshlrev_b32 v141, 1, v65
	v_lshlrev_b32_e32 v144, 1, v64
	ds_store_b16 v60, v180 offset:1024
	ds_store_b16 v61, v184 offset:1024
	;; [unrolled: 1-line block ×5, first 2 shown]
	s_wait_dscnt 0x0
	s_barrier_signal -1
	s_barrier_wait -1
	s_and_saveexec_b32 s16, vcc_lo
	s_cbranch_execnz .LBB2040_829
; %bb.761:                              ;   in Loop: Header=BB2040_682 Depth=2
	s_or_b32 exec_lo, exec_lo, s16
	v_cmp_lt_u32_e64 s15, v68, v139
	s_and_saveexec_b32 s17, s15
	s_cbranch_execnz .LBB2040_830
.LBB2040_762:                           ;   in Loop: Header=BB2040_682 Depth=2
	s_or_b32 exec_lo, exec_lo, s17
	v_cmp_lt_u32_e64 s16, v69, v139
	s_and_saveexec_b32 s18, s16
	s_cbranch_execnz .LBB2040_831
.LBB2040_763:                           ;   in Loop: Header=BB2040_682 Depth=2
	s_or_b32 exec_lo, exec_lo, s18
	v_cmp_lt_u32_e64 s17, v70, v139
	s_and_saveexec_b32 s19, s17
	s_cbranch_execnz .LBB2040_832
.LBB2040_764:                           ;   in Loop: Header=BB2040_682 Depth=2
	s_or_b32 exec_lo, exec_lo, s19
	v_cmp_lt_u32_e64 s18, v71, v139
	s_and_saveexec_b32 s20, s18
	s_cbranch_execnz .LBB2040_833
.LBB2040_765:                           ;   in Loop: Header=BB2040_682 Depth=2
	s_or_b32 exec_lo, exec_lo, s20
	v_cmp_lt_u32_e64 s19, v72, v139
	s_and_saveexec_b32 s21, s19
	s_cbranch_execnz .LBB2040_834
.LBB2040_766:                           ;   in Loop: Header=BB2040_682 Depth=2
	s_or_b32 exec_lo, exec_lo, s21
	v_cmp_lt_u32_e64 s20, v73, v139
	s_and_saveexec_b32 s22, s20
	s_cbranch_execnz .LBB2040_835
.LBB2040_767:                           ;   in Loop: Header=BB2040_682 Depth=2
	s_or_b32 exec_lo, exec_lo, s22
	v_cmp_lt_u32_e64 s21, v74, v139
	s_and_saveexec_b32 s23, s21
	s_cbranch_execnz .LBB2040_836
.LBB2040_768:                           ;   in Loop: Header=BB2040_682 Depth=2
	s_or_b32 exec_lo, exec_lo, s23
	v_cmp_lt_u32_e64 s22, v75, v139
	s_and_saveexec_b32 s24, s22
	s_cbranch_execnz .LBB2040_837
.LBB2040_769:                           ;   in Loop: Header=BB2040_682 Depth=2
	s_or_b32 exec_lo, exec_lo, s24
	v_cmp_lt_u32_e64 s23, v76, v139
	s_and_saveexec_b32 s25, s23
	s_cbranch_execnz .LBB2040_838
.LBB2040_770:                           ;   in Loop: Header=BB2040_682 Depth=2
	s_or_b32 exec_lo, exec_lo, s25
	v_cmp_lt_u32_e64 s24, v77, v139
	s_and_saveexec_b32 s26, s24
	s_cbranch_execnz .LBB2040_839
.LBB2040_771:                           ;   in Loop: Header=BB2040_682 Depth=2
	s_or_b32 exec_lo, exec_lo, s26
	v_cmp_lt_u32_e64 s25, v78, v139
	s_and_saveexec_b32 s27, s25
	s_cbranch_execnz .LBB2040_840
.LBB2040_772:                           ;   in Loop: Header=BB2040_682 Depth=2
	s_or_b32 exec_lo, exec_lo, s27
	v_cmp_lt_u32_e64 s26, v79, v139
	s_and_saveexec_b32 s28, s26
	s_cbranch_execnz .LBB2040_841
.LBB2040_773:                           ;   in Loop: Header=BB2040_682 Depth=2
	s_or_b32 exec_lo, exec_lo, s28
	v_cmp_lt_u32_e64 s27, v80, v139
	s_and_saveexec_b32 s29, s27
	s_cbranch_execnz .LBB2040_842
.LBB2040_774:                           ;   in Loop: Header=BB2040_682 Depth=2
	s_or_b32 exec_lo, exec_lo, s29
	v_cmp_lt_u32_e64 s28, v81, v139
	s_and_saveexec_b32 s30, s28
	s_cbranch_execnz .LBB2040_843
.LBB2040_775:                           ;   in Loop: Header=BB2040_682 Depth=2
	s_or_b32 exec_lo, exec_lo, s30
	v_cmp_lt_u32_e64 s29, v82, v139
	s_and_saveexec_b32 s58, s29
	s_cbranch_execz .LBB2040_777
.LBB2040_776:                           ;   in Loop: Header=BB2040_682 Depth=2
	ds_load_u16 v60, v93 offset:8704
	s_wait_dscnt 0x0
	v_cmp_ne_u16_e64 s30, 0x7fff, v60
	s_delay_alu instid0(VALU_DEP_1) | instskip(SKIP_1) | instid1(VALU_DEP_2)
	v_cndmask_b32_e64 v61, 0xffff8000, v60, s30
	v_cmp_lt_i16_e64 s30, -1, v60
	v_and_b32_e32 v61, 0xffff, v61
	s_delay_alu instid0(VALU_DEP_2) | instskip(NEXT) | instid1(VALU_DEP_1)
	v_cndmask_b32_e64 v140, 0xffff8000, -1, s30
	v_dual_lshrrev_b32 v61, s49, v61 :: v_dual_bitop2_b32 v60, v140, v60 bitop3:0x14
	s_delay_alu instid0(VALU_DEP_1) | instskip(NEXT) | instid1(VALU_DEP_1)
	v_and_b32_e32 v61, s52, v61
	v_lshlrev_b32_e32 v61, 2, v61
	ds_load_b32 v61, v61
	s_wait_dscnt 0x0
	v_add_nc_u32_e32 v61, v61, v82
	global_store_b16 v61, v60, s[38:39] scale_offset
.LBB2040_777:                           ;   in Loop: Header=BB2040_682 Depth=2
	s_wait_xcnt 0x0
	s_or_b32 exec_lo, exec_lo, s58
	v_lshl_add_u64 v[60:61], s[42:43], 3, v[24:25]
	v_cmp_lt_u32_e64 s30, v100, v139
	s_and_saveexec_b32 s42, s30
	s_delay_alu instid0(SALU_CYCLE_1)
	s_xor_b32 s30, exec_lo, s42
	s_cbranch_execnz .LBB2040_844
; %bb.778:                              ;   in Loop: Header=BB2040_682 Depth=2
	s_or_b32 exec_lo, exec_lo, s30
	s_delay_alu instid0(SALU_CYCLE_1)
	s_mov_b32 s42, exec_lo
	v_cmpx_lt_u32_e64 v103, v139
	s_cbranch_execnz .LBB2040_845
.LBB2040_779:                           ;   in Loop: Header=BB2040_682 Depth=2
	s_or_b32 exec_lo, exec_lo, s42
	s_delay_alu instid0(SALU_CYCLE_1)
	s_mov_b32 s42, exec_lo
	v_cmpx_lt_u32_e64 v104, v139
	s_cbranch_execnz .LBB2040_846
.LBB2040_780:                           ;   in Loop: Header=BB2040_682 Depth=2
	s_or_b32 exec_lo, exec_lo, s42
	s_delay_alu instid0(SALU_CYCLE_1)
	s_mov_b32 s42, exec_lo
	v_cmpx_lt_u32_e64 v105, v139
	s_cbranch_execnz .LBB2040_847
.LBB2040_781:                           ;   in Loop: Header=BB2040_682 Depth=2
	s_or_b32 exec_lo, exec_lo, s42
	s_delay_alu instid0(SALU_CYCLE_1)
	s_mov_b32 s42, exec_lo
	v_cmpx_lt_u32_e64 v106, v139
	s_cbranch_execnz .LBB2040_848
.LBB2040_782:                           ;   in Loop: Header=BB2040_682 Depth=2
	s_or_b32 exec_lo, exec_lo, s42
	s_delay_alu instid0(SALU_CYCLE_1)
	s_mov_b32 s42, exec_lo
	v_cmpx_lt_u32_e64 v107, v139
	s_cbranch_execnz .LBB2040_849
.LBB2040_783:                           ;   in Loop: Header=BB2040_682 Depth=2
	s_or_b32 exec_lo, exec_lo, s42
	s_delay_alu instid0(SALU_CYCLE_1)
	s_mov_b32 s42, exec_lo
	v_cmpx_lt_u32_e64 v108, v139
	s_cbranch_execnz .LBB2040_850
.LBB2040_784:                           ;   in Loop: Header=BB2040_682 Depth=2
	s_or_b32 exec_lo, exec_lo, s42
	s_delay_alu instid0(SALU_CYCLE_1)
	s_mov_b32 s42, exec_lo
	v_cmpx_lt_u32_e64 v109, v139
	s_cbranch_execnz .LBB2040_851
.LBB2040_785:                           ;   in Loop: Header=BB2040_682 Depth=2
	s_or_b32 exec_lo, exec_lo, s42
	s_delay_alu instid0(SALU_CYCLE_1)
	s_mov_b32 s42, exec_lo
	v_cmpx_lt_u32_e64 v110, v139
	s_cbranch_execnz .LBB2040_852
.LBB2040_786:                           ;   in Loop: Header=BB2040_682 Depth=2
	s_or_b32 exec_lo, exec_lo, s42
	s_delay_alu instid0(SALU_CYCLE_1)
	s_mov_b32 s42, exec_lo
	v_cmpx_lt_u32_e64 v111, v139
	s_cbranch_execnz .LBB2040_853
.LBB2040_787:                           ;   in Loop: Header=BB2040_682 Depth=2
	s_or_b32 exec_lo, exec_lo, s42
	s_delay_alu instid0(SALU_CYCLE_1)
	s_mov_b32 s42, exec_lo
	v_cmpx_lt_u32_e64 v112, v139
	s_cbranch_execnz .LBB2040_854
.LBB2040_788:                           ;   in Loop: Header=BB2040_682 Depth=2
	s_or_b32 exec_lo, exec_lo, s42
	s_delay_alu instid0(SALU_CYCLE_1)
	s_mov_b32 s42, exec_lo
	v_cmpx_lt_u32_e64 v113, v139
	s_cbranch_execnz .LBB2040_855
.LBB2040_789:                           ;   in Loop: Header=BB2040_682 Depth=2
	s_or_b32 exec_lo, exec_lo, s42
	s_delay_alu instid0(SALU_CYCLE_1)
	s_mov_b32 s42, exec_lo
	v_cmpx_lt_u32_e64 v114, v139
	s_cbranch_execnz .LBB2040_856
.LBB2040_790:                           ;   in Loop: Header=BB2040_682 Depth=2
	s_or_b32 exec_lo, exec_lo, s42
	s_delay_alu instid0(SALU_CYCLE_1)
	s_mov_b32 s42, exec_lo
	v_cmpx_lt_u32_e64 v115, v139
	s_cbranch_execnz .LBB2040_857
.LBB2040_791:                           ;   in Loop: Header=BB2040_682 Depth=2
	s_or_b32 exec_lo, exec_lo, s42
	s_delay_alu instid0(SALU_CYCLE_1)
	s_mov_b32 s42, exec_lo
	v_cmpx_lt_u32_e64 v116, v139
	s_cbranch_execnz .LBB2040_858
.LBB2040_792:                           ;   in Loop: Header=BB2040_682 Depth=2
	s_or_b32 exec_lo, exec_lo, s42
	s_delay_alu instid0(SALU_CYCLE_1)
	s_mov_b32 s42, exec_lo
	v_cmpx_lt_u32_e64 v117, v139
	s_cbranch_execnz .LBB2040_859
.LBB2040_793:                           ;   in Loop: Header=BB2040_682 Depth=2
	s_or_b32 exec_lo, exec_lo, s42
	s_and_saveexec_b32 s42, vcc_lo
	s_cbranch_execnz .LBB2040_860
.LBB2040_794:                           ;   in Loop: Header=BB2040_682 Depth=2
	s_or_b32 exec_lo, exec_lo, s42
	s_and_saveexec_b32 s42, s15
	s_cbranch_execnz .LBB2040_861
.LBB2040_795:                           ;   in Loop: Header=BB2040_682 Depth=2
	s_or_b32 exec_lo, exec_lo, s42
	s_and_saveexec_b32 s42, s16
	s_cbranch_execnz .LBB2040_862
.LBB2040_796:                           ;   in Loop: Header=BB2040_682 Depth=2
	s_or_b32 exec_lo, exec_lo, s42
	s_and_saveexec_b32 s42, s17
	s_cbranch_execnz .LBB2040_863
.LBB2040_797:                           ;   in Loop: Header=BB2040_682 Depth=2
	s_or_b32 exec_lo, exec_lo, s42
	s_and_saveexec_b32 s42, s18
	s_cbranch_execnz .LBB2040_864
.LBB2040_798:                           ;   in Loop: Header=BB2040_682 Depth=2
	s_or_b32 exec_lo, exec_lo, s42
	s_and_saveexec_b32 s42, s19
	s_cbranch_execnz .LBB2040_865
.LBB2040_799:                           ;   in Loop: Header=BB2040_682 Depth=2
	s_or_b32 exec_lo, exec_lo, s42
	s_and_saveexec_b32 s42, s20
	s_cbranch_execnz .LBB2040_866
.LBB2040_800:                           ;   in Loop: Header=BB2040_682 Depth=2
	s_or_b32 exec_lo, exec_lo, s42
	s_and_saveexec_b32 s42, s21
	s_cbranch_execnz .LBB2040_867
.LBB2040_801:                           ;   in Loop: Header=BB2040_682 Depth=2
	s_or_b32 exec_lo, exec_lo, s42
	s_and_saveexec_b32 s42, s22
	s_cbranch_execnz .LBB2040_868
.LBB2040_802:                           ;   in Loop: Header=BB2040_682 Depth=2
	s_or_b32 exec_lo, exec_lo, s42
	s_and_saveexec_b32 s42, s23
	s_cbranch_execnz .LBB2040_869
.LBB2040_803:                           ;   in Loop: Header=BB2040_682 Depth=2
	s_or_b32 exec_lo, exec_lo, s42
	s_and_saveexec_b32 s42, s24
	s_cbranch_execnz .LBB2040_870
.LBB2040_804:                           ;   in Loop: Header=BB2040_682 Depth=2
	s_or_b32 exec_lo, exec_lo, s42
	s_and_saveexec_b32 s42, s25
	s_cbranch_execnz .LBB2040_871
.LBB2040_805:                           ;   in Loop: Header=BB2040_682 Depth=2
	s_or_b32 exec_lo, exec_lo, s42
	s_and_saveexec_b32 s42, s26
	s_cbranch_execnz .LBB2040_872
.LBB2040_806:                           ;   in Loop: Header=BB2040_682 Depth=2
	s_or_b32 exec_lo, exec_lo, s42
	s_and_saveexec_b32 s42, s27
	s_cbranch_execnz .LBB2040_873
.LBB2040_807:                           ;   in Loop: Header=BB2040_682 Depth=2
	s_or_b32 exec_lo, exec_lo, s42
	s_and_saveexec_b32 s42, s28
	s_cbranch_execnz .LBB2040_874
.LBB2040_808:                           ;   in Loop: Header=BB2040_682 Depth=2
	s_or_b32 exec_lo, exec_lo, s42
	s_and_saveexec_b32 s42, s29
	s_cbranch_execz .LBB2040_810
.LBB2040_809:                           ;   in Loop: Header=BB2040_682 Depth=2
	ds_load_u16 v60, v93 offset:8704
	s_wait_dscnt 0x0
	v_cmp_ne_u16_e64 s30, 0x7fff, v60
	s_delay_alu instid0(VALU_DEP_1) | instskip(NEXT) | instid1(VALU_DEP_1)
	v_cndmask_b32_e64 v60, 0xffff8000, v60, s30
	v_and_b32_e32 v60, 0xffff, v60
	s_delay_alu instid0(VALU_DEP_1) | instskip(NEXT) | instid1(VALU_DEP_1)
	v_lshrrev_b32_e32 v60, s49, v60
	v_and_b32_e32 v123, s52, v60
.LBB2040_810:                           ;   in Loop: Header=BB2040_682 Depth=2
	s_or_b32 exec_lo, exec_lo, s42
	v_dual_lshlrev_b32 v60, 3, v163 :: v_dual_lshlrev_b32 v140, 3, v150
	s_wait_loadcnt 0x0
	s_wait_storecnt 0x0
	s_barrier_signal -1
	s_barrier_wait -1
	ds_store_b64 v60, v[58:59] offset:1024
	v_dual_lshlrev_b32 v60, 3, v159 :: v_dual_lshlrev_b32 v141, 3, v149
	v_lshlrev_b32_e32 v61, 3, v155
	v_lshlrev_b32_e32 v139, 3, v151
	ds_store_b64 v60, v[56:57] offset:1024
	ds_store_b64 v61, v[54:55] offset:1024
	;; [unrolled: 1-line block ×5, first 2 shown]
	v_dual_lshlrev_b32 v60, 3, v147 :: v_dual_lshlrev_b32 v141, 3, v142
	v_dual_lshlrev_b32 v61, 3, v146 :: v_dual_lshlrev_b32 v139, 3, v145
	v_lshlrev_b32_e32 v140, 3, v143
	ds_store_b64 v60, v[46:47] offset:1024
	ds_store_b64 v61, v[44:45] offset:1024
	;; [unrolled: 1-line block ×5, first 2 shown]
	v_dual_lshlrev_b32 v60, 3, v63 :: v_dual_lshlrev_b32 v65, 3, v65
	v_dual_lshlrev_b32 v61, 3, v67 :: v_dual_lshlrev_b32 v64, 3, v64
	v_lshlrev_b32_e32 v63, 3, v66
	ds_store_b64 v60, v[36:37] offset:1024
	ds_store_b64 v61, v[34:35] offset:1024
	;; [unrolled: 1-line block ×5, first 2 shown]
	s_wait_dscnt 0x0
	s_barrier_signal -1
	s_barrier_wait -1
	s_and_saveexec_b32 s30, vcc_lo
	s_cbranch_execnz .LBB2040_875
; %bb.811:                              ;   in Loop: Header=BB2040_682 Depth=2
	s_or_b32 exec_lo, exec_lo, s30
	s_and_saveexec_b32 s30, s15
	s_cbranch_execnz .LBB2040_876
.LBB2040_812:                           ;   in Loop: Header=BB2040_682 Depth=2
	s_or_b32 exec_lo, exec_lo, s30
	s_and_saveexec_b32 s15, s16
	s_cbranch_execnz .LBB2040_877
.LBB2040_813:                           ;   in Loop: Header=BB2040_682 Depth=2
	s_or_b32 exec_lo, exec_lo, s15
	s_and_saveexec_b32 s15, s17
	s_cbranch_execnz .LBB2040_878
.LBB2040_814:                           ;   in Loop: Header=BB2040_682 Depth=2
	s_or_b32 exec_lo, exec_lo, s15
	s_and_saveexec_b32 s15, s18
	s_cbranch_execnz .LBB2040_879
.LBB2040_815:                           ;   in Loop: Header=BB2040_682 Depth=2
	s_or_b32 exec_lo, exec_lo, s15
	s_and_saveexec_b32 s15, s19
	s_cbranch_execnz .LBB2040_880
.LBB2040_816:                           ;   in Loop: Header=BB2040_682 Depth=2
	s_or_b32 exec_lo, exec_lo, s15
	s_and_saveexec_b32 s15, s20
	s_cbranch_execnz .LBB2040_881
.LBB2040_817:                           ;   in Loop: Header=BB2040_682 Depth=2
	s_or_b32 exec_lo, exec_lo, s15
	s_and_saveexec_b32 s15, s21
	s_cbranch_execnz .LBB2040_882
.LBB2040_818:                           ;   in Loop: Header=BB2040_682 Depth=2
	s_or_b32 exec_lo, exec_lo, s15
	s_and_saveexec_b32 s15, s22
	s_cbranch_execnz .LBB2040_883
.LBB2040_819:                           ;   in Loop: Header=BB2040_682 Depth=2
	s_or_b32 exec_lo, exec_lo, s15
	s_and_saveexec_b32 s15, s23
	s_cbranch_execnz .LBB2040_884
.LBB2040_820:                           ;   in Loop: Header=BB2040_682 Depth=2
	s_or_b32 exec_lo, exec_lo, s15
	s_and_saveexec_b32 s15, s24
	s_cbranch_execnz .LBB2040_885
.LBB2040_821:                           ;   in Loop: Header=BB2040_682 Depth=2
	s_or_b32 exec_lo, exec_lo, s15
	s_and_saveexec_b32 s15, s25
	s_cbranch_execnz .LBB2040_886
.LBB2040_822:                           ;   in Loop: Header=BB2040_682 Depth=2
	s_or_b32 exec_lo, exec_lo, s15
	s_and_saveexec_b32 s15, s26
	s_cbranch_execnz .LBB2040_887
.LBB2040_823:                           ;   in Loop: Header=BB2040_682 Depth=2
	s_or_b32 exec_lo, exec_lo, s15
	s_and_saveexec_b32 s15, s27
	s_cbranch_execnz .LBB2040_888
.LBB2040_824:                           ;   in Loop: Header=BB2040_682 Depth=2
	s_or_b32 exec_lo, exec_lo, s15
	s_and_saveexec_b32 s15, s28
	s_cbranch_execnz .LBB2040_889
.LBB2040_825:                           ;   in Loop: Header=BB2040_682 Depth=2
	s_or_b32 exec_lo, exec_lo, s15
	s_and_saveexec_b32 s15, s29
	s_cbranch_execz .LBB2040_827
.LBB2040_826:                           ;   in Loop: Header=BB2040_682 Depth=2
	v_dual_lshlrev_b32 v60, 2, v123 :: v_dual_add_nc_u32 v61, v93, v94
	ds_load_b32 v63, v60
	ds_load_b64 v[60:61], v61 offset:31744
	s_wait_dscnt 0x1
	v_add_nc_u32_e32 v63, v63, v82
	s_wait_dscnt 0x0
	global_store_b64 v63, v[60:61], s[44:45] scale_offset
.LBB2040_827:                           ;   in Loop: Header=BB2040_682 Depth=2
	s_wait_xcnt 0x0
	s_or_b32 exec_lo, exec_lo, s15
	s_wait_storecnt 0x0
	s_barrier_signal -1
	s_barrier_wait -1
	s_and_saveexec_b32 s15, s0
	s_cbranch_execz .LBB2040_681
; %bb.828:                              ;   in Loop: Header=BB2040_682 Depth=2
	ds_load_b32 v60, v3
	s_wait_dscnt 0x0
	v_add_nc_u32_e32 v60, v60, v62
	ds_store_b32 v3, v60
	s_branch .LBB2040_681
.LBB2040_829:                           ;   in Loop: Header=BB2040_682 Depth=2
	ds_load_u16 v60, v93 offset:1024
	s_wait_dscnt 0x0
	v_cmp_ne_u16_e64 s15, 0x7fff, v60
	s_delay_alu instid0(VALU_DEP_1) | instskip(SKIP_1) | instid1(VALU_DEP_2)
	v_cndmask_b32_e64 v61, 0xffff8000, v60, s15
	v_cmp_lt_i16_e64 s15, -1, v60
	v_and_b32_e32 v61, 0xffff, v61
	s_delay_alu instid0(VALU_DEP_2) | instskip(NEXT) | instid1(VALU_DEP_1)
	v_cndmask_b32_e64 v140, 0xffff8000, -1, s15
	v_dual_lshrrev_b32 v61, s49, v61 :: v_dual_bitop2_b32 v60, v140, v60 bitop3:0x14
	s_delay_alu instid0(VALU_DEP_1) | instskip(NEXT) | instid1(VALU_DEP_1)
	v_and_b32_e32 v61, s52, v61
	v_lshlrev_b32_e32 v61, 2, v61
	ds_load_b32 v61, v61
	s_wait_dscnt 0x0
	v_add_nc_u32_e32 v61, v61, v2
	global_store_b16 v61, v60, s[38:39] scale_offset
	s_wait_xcnt 0x0
	s_or_b32 exec_lo, exec_lo, s16
	v_cmp_lt_u32_e64 s15, v68, v139
	s_and_saveexec_b32 s17, s15
	s_cbranch_execz .LBB2040_762
.LBB2040_830:                           ;   in Loop: Header=BB2040_682 Depth=2
	ds_load_u16 v60, v93 offset:1536
	s_wait_dscnt 0x0
	v_cmp_ne_u16_e64 s16, 0x7fff, v60
	s_delay_alu instid0(VALU_DEP_1) | instskip(SKIP_1) | instid1(VALU_DEP_2)
	v_cndmask_b32_e64 v61, 0xffff8000, v60, s16
	v_cmp_lt_i16_e64 s16, -1, v60
	v_and_b32_e32 v61, 0xffff, v61
	s_delay_alu instid0(VALU_DEP_2) | instskip(NEXT) | instid1(VALU_DEP_1)
	v_cndmask_b32_e64 v140, 0xffff8000, -1, s16
	v_dual_lshrrev_b32 v61, s49, v61 :: v_dual_bitop2_b32 v60, v140, v60 bitop3:0x14
	s_delay_alu instid0(VALU_DEP_1) | instskip(NEXT) | instid1(VALU_DEP_1)
	v_and_b32_e32 v61, s52, v61
	v_lshlrev_b32_e32 v61, 2, v61
	ds_load_b32 v61, v61
	s_wait_dscnt 0x0
	v_add_nc_u32_e32 v61, v61, v68
	global_store_b16 v61, v60, s[38:39] scale_offset
	s_wait_xcnt 0x0
	s_or_b32 exec_lo, exec_lo, s17
	v_cmp_lt_u32_e64 s16, v69, v139
	s_and_saveexec_b32 s18, s16
	s_cbranch_execz .LBB2040_763
.LBB2040_831:                           ;   in Loop: Header=BB2040_682 Depth=2
	ds_load_u16 v60, v93 offset:2048
	s_wait_dscnt 0x0
	v_cmp_ne_u16_e64 s17, 0x7fff, v60
	s_delay_alu instid0(VALU_DEP_1) | instskip(SKIP_1) | instid1(VALU_DEP_2)
	v_cndmask_b32_e64 v61, 0xffff8000, v60, s17
	v_cmp_lt_i16_e64 s17, -1, v60
	v_and_b32_e32 v61, 0xffff, v61
	s_delay_alu instid0(VALU_DEP_2) | instskip(NEXT) | instid1(VALU_DEP_1)
	v_cndmask_b32_e64 v140, 0xffff8000, -1, s17
	v_dual_lshrrev_b32 v61, s49, v61 :: v_dual_bitop2_b32 v60, v140, v60 bitop3:0x14
	s_delay_alu instid0(VALU_DEP_1) | instskip(NEXT) | instid1(VALU_DEP_1)
	v_and_b32_e32 v61, s52, v61
	v_lshlrev_b32_e32 v61, 2, v61
	ds_load_b32 v61, v61
	s_wait_dscnt 0x0
	v_add_nc_u32_e32 v61, v61, v69
	global_store_b16 v61, v60, s[38:39] scale_offset
	s_wait_xcnt 0x0
	s_or_b32 exec_lo, exec_lo, s18
	v_cmp_lt_u32_e64 s17, v70, v139
	s_and_saveexec_b32 s19, s17
	s_cbranch_execz .LBB2040_764
.LBB2040_832:                           ;   in Loop: Header=BB2040_682 Depth=2
	ds_load_u16 v60, v93 offset:2560
	s_wait_dscnt 0x0
	v_cmp_ne_u16_e64 s18, 0x7fff, v60
	s_delay_alu instid0(VALU_DEP_1) | instskip(SKIP_1) | instid1(VALU_DEP_2)
	v_cndmask_b32_e64 v61, 0xffff8000, v60, s18
	v_cmp_lt_i16_e64 s18, -1, v60
	v_and_b32_e32 v61, 0xffff, v61
	s_delay_alu instid0(VALU_DEP_2) | instskip(NEXT) | instid1(VALU_DEP_1)
	v_cndmask_b32_e64 v140, 0xffff8000, -1, s18
	v_dual_lshrrev_b32 v61, s49, v61 :: v_dual_bitop2_b32 v60, v140, v60 bitop3:0x14
	s_delay_alu instid0(VALU_DEP_1) | instskip(NEXT) | instid1(VALU_DEP_1)
	v_and_b32_e32 v61, s52, v61
	v_lshlrev_b32_e32 v61, 2, v61
	ds_load_b32 v61, v61
	s_wait_dscnt 0x0
	v_add_nc_u32_e32 v61, v61, v70
	global_store_b16 v61, v60, s[38:39] scale_offset
	s_wait_xcnt 0x0
	s_or_b32 exec_lo, exec_lo, s19
	v_cmp_lt_u32_e64 s18, v71, v139
	s_and_saveexec_b32 s20, s18
	s_cbranch_execz .LBB2040_765
.LBB2040_833:                           ;   in Loop: Header=BB2040_682 Depth=2
	ds_load_u16 v60, v93 offset:3072
	s_wait_dscnt 0x0
	v_cmp_ne_u16_e64 s19, 0x7fff, v60
	s_delay_alu instid0(VALU_DEP_1) | instskip(SKIP_1) | instid1(VALU_DEP_2)
	v_cndmask_b32_e64 v61, 0xffff8000, v60, s19
	v_cmp_lt_i16_e64 s19, -1, v60
	v_and_b32_e32 v61, 0xffff, v61
	s_delay_alu instid0(VALU_DEP_2) | instskip(NEXT) | instid1(VALU_DEP_1)
	v_cndmask_b32_e64 v140, 0xffff8000, -1, s19
	v_dual_lshrrev_b32 v61, s49, v61 :: v_dual_bitop2_b32 v60, v140, v60 bitop3:0x14
	s_delay_alu instid0(VALU_DEP_1) | instskip(NEXT) | instid1(VALU_DEP_1)
	v_and_b32_e32 v61, s52, v61
	v_lshlrev_b32_e32 v61, 2, v61
	ds_load_b32 v61, v61
	s_wait_dscnt 0x0
	v_add_nc_u32_e32 v61, v61, v71
	global_store_b16 v61, v60, s[38:39] scale_offset
	s_wait_xcnt 0x0
	s_or_b32 exec_lo, exec_lo, s20
	v_cmp_lt_u32_e64 s19, v72, v139
	s_and_saveexec_b32 s21, s19
	s_cbranch_execz .LBB2040_766
.LBB2040_834:                           ;   in Loop: Header=BB2040_682 Depth=2
	ds_load_u16 v60, v93 offset:3584
	s_wait_dscnt 0x0
	v_cmp_ne_u16_e64 s20, 0x7fff, v60
	s_delay_alu instid0(VALU_DEP_1) | instskip(SKIP_1) | instid1(VALU_DEP_2)
	v_cndmask_b32_e64 v61, 0xffff8000, v60, s20
	v_cmp_lt_i16_e64 s20, -1, v60
	v_and_b32_e32 v61, 0xffff, v61
	s_delay_alu instid0(VALU_DEP_2) | instskip(NEXT) | instid1(VALU_DEP_1)
	v_cndmask_b32_e64 v140, 0xffff8000, -1, s20
	v_dual_lshrrev_b32 v61, s49, v61 :: v_dual_bitop2_b32 v60, v140, v60 bitop3:0x14
	s_delay_alu instid0(VALU_DEP_1) | instskip(NEXT) | instid1(VALU_DEP_1)
	v_and_b32_e32 v61, s52, v61
	v_lshlrev_b32_e32 v61, 2, v61
	ds_load_b32 v61, v61
	s_wait_dscnt 0x0
	v_add_nc_u32_e32 v61, v61, v72
	global_store_b16 v61, v60, s[38:39] scale_offset
	s_wait_xcnt 0x0
	s_or_b32 exec_lo, exec_lo, s21
	v_cmp_lt_u32_e64 s20, v73, v139
	s_and_saveexec_b32 s22, s20
	s_cbranch_execz .LBB2040_767
.LBB2040_835:                           ;   in Loop: Header=BB2040_682 Depth=2
	ds_load_u16 v60, v93 offset:4096
	s_wait_dscnt 0x0
	v_cmp_ne_u16_e64 s21, 0x7fff, v60
	s_delay_alu instid0(VALU_DEP_1) | instskip(SKIP_1) | instid1(VALU_DEP_2)
	v_cndmask_b32_e64 v61, 0xffff8000, v60, s21
	v_cmp_lt_i16_e64 s21, -1, v60
	v_and_b32_e32 v61, 0xffff, v61
	s_delay_alu instid0(VALU_DEP_2) | instskip(NEXT) | instid1(VALU_DEP_1)
	v_cndmask_b32_e64 v140, 0xffff8000, -1, s21
	v_dual_lshrrev_b32 v61, s49, v61 :: v_dual_bitop2_b32 v60, v140, v60 bitop3:0x14
	s_delay_alu instid0(VALU_DEP_1) | instskip(NEXT) | instid1(VALU_DEP_1)
	v_and_b32_e32 v61, s52, v61
	v_lshlrev_b32_e32 v61, 2, v61
	ds_load_b32 v61, v61
	s_wait_dscnt 0x0
	v_add_nc_u32_e32 v61, v61, v73
	global_store_b16 v61, v60, s[38:39] scale_offset
	s_wait_xcnt 0x0
	s_or_b32 exec_lo, exec_lo, s22
	v_cmp_lt_u32_e64 s21, v74, v139
	s_and_saveexec_b32 s23, s21
	s_cbranch_execz .LBB2040_768
.LBB2040_836:                           ;   in Loop: Header=BB2040_682 Depth=2
	ds_load_u16 v60, v93 offset:4608
	s_wait_dscnt 0x0
	v_cmp_ne_u16_e64 s22, 0x7fff, v60
	s_delay_alu instid0(VALU_DEP_1) | instskip(SKIP_1) | instid1(VALU_DEP_2)
	v_cndmask_b32_e64 v61, 0xffff8000, v60, s22
	v_cmp_lt_i16_e64 s22, -1, v60
	v_and_b32_e32 v61, 0xffff, v61
	s_delay_alu instid0(VALU_DEP_2) | instskip(NEXT) | instid1(VALU_DEP_1)
	v_cndmask_b32_e64 v140, 0xffff8000, -1, s22
	v_dual_lshrrev_b32 v61, s49, v61 :: v_dual_bitop2_b32 v60, v140, v60 bitop3:0x14
	s_delay_alu instid0(VALU_DEP_1) | instskip(NEXT) | instid1(VALU_DEP_1)
	v_and_b32_e32 v61, s52, v61
	v_lshlrev_b32_e32 v61, 2, v61
	ds_load_b32 v61, v61
	s_wait_dscnt 0x0
	v_add_nc_u32_e32 v61, v61, v74
	global_store_b16 v61, v60, s[38:39] scale_offset
	s_wait_xcnt 0x0
	s_or_b32 exec_lo, exec_lo, s23
	v_cmp_lt_u32_e64 s22, v75, v139
	s_and_saveexec_b32 s24, s22
	s_cbranch_execz .LBB2040_769
.LBB2040_837:                           ;   in Loop: Header=BB2040_682 Depth=2
	ds_load_u16 v60, v93 offset:5120
	s_wait_dscnt 0x0
	v_cmp_ne_u16_e64 s23, 0x7fff, v60
	s_delay_alu instid0(VALU_DEP_1) | instskip(SKIP_1) | instid1(VALU_DEP_2)
	v_cndmask_b32_e64 v61, 0xffff8000, v60, s23
	v_cmp_lt_i16_e64 s23, -1, v60
	v_and_b32_e32 v61, 0xffff, v61
	s_delay_alu instid0(VALU_DEP_2) | instskip(NEXT) | instid1(VALU_DEP_1)
	v_cndmask_b32_e64 v140, 0xffff8000, -1, s23
	v_dual_lshrrev_b32 v61, s49, v61 :: v_dual_bitop2_b32 v60, v140, v60 bitop3:0x14
	s_delay_alu instid0(VALU_DEP_1) | instskip(NEXT) | instid1(VALU_DEP_1)
	v_and_b32_e32 v61, s52, v61
	v_lshlrev_b32_e32 v61, 2, v61
	ds_load_b32 v61, v61
	s_wait_dscnt 0x0
	v_add_nc_u32_e32 v61, v61, v75
	global_store_b16 v61, v60, s[38:39] scale_offset
	s_wait_xcnt 0x0
	s_or_b32 exec_lo, exec_lo, s24
	v_cmp_lt_u32_e64 s23, v76, v139
	s_and_saveexec_b32 s25, s23
	s_cbranch_execz .LBB2040_770
.LBB2040_838:                           ;   in Loop: Header=BB2040_682 Depth=2
	ds_load_u16 v60, v93 offset:5632
	s_wait_dscnt 0x0
	v_cmp_ne_u16_e64 s24, 0x7fff, v60
	s_delay_alu instid0(VALU_DEP_1) | instskip(SKIP_1) | instid1(VALU_DEP_2)
	v_cndmask_b32_e64 v61, 0xffff8000, v60, s24
	v_cmp_lt_i16_e64 s24, -1, v60
	v_and_b32_e32 v61, 0xffff, v61
	s_delay_alu instid0(VALU_DEP_2) | instskip(NEXT) | instid1(VALU_DEP_1)
	v_cndmask_b32_e64 v140, 0xffff8000, -1, s24
	v_dual_lshrrev_b32 v61, s49, v61 :: v_dual_bitop2_b32 v60, v140, v60 bitop3:0x14
	s_delay_alu instid0(VALU_DEP_1) | instskip(NEXT) | instid1(VALU_DEP_1)
	v_and_b32_e32 v61, s52, v61
	v_lshlrev_b32_e32 v61, 2, v61
	ds_load_b32 v61, v61
	s_wait_dscnt 0x0
	v_add_nc_u32_e32 v61, v61, v76
	global_store_b16 v61, v60, s[38:39] scale_offset
	s_wait_xcnt 0x0
	s_or_b32 exec_lo, exec_lo, s25
	v_cmp_lt_u32_e64 s24, v77, v139
	s_and_saveexec_b32 s26, s24
	s_cbranch_execz .LBB2040_771
.LBB2040_839:                           ;   in Loop: Header=BB2040_682 Depth=2
	ds_load_u16 v60, v93 offset:6144
	s_wait_dscnt 0x0
	v_cmp_ne_u16_e64 s25, 0x7fff, v60
	s_delay_alu instid0(VALU_DEP_1) | instskip(SKIP_1) | instid1(VALU_DEP_2)
	v_cndmask_b32_e64 v61, 0xffff8000, v60, s25
	v_cmp_lt_i16_e64 s25, -1, v60
	v_and_b32_e32 v61, 0xffff, v61
	s_delay_alu instid0(VALU_DEP_2) | instskip(NEXT) | instid1(VALU_DEP_1)
	v_cndmask_b32_e64 v140, 0xffff8000, -1, s25
	v_dual_lshrrev_b32 v61, s49, v61 :: v_dual_bitop2_b32 v60, v140, v60 bitop3:0x14
	s_delay_alu instid0(VALU_DEP_1) | instskip(NEXT) | instid1(VALU_DEP_1)
	v_and_b32_e32 v61, s52, v61
	v_lshlrev_b32_e32 v61, 2, v61
	ds_load_b32 v61, v61
	s_wait_dscnt 0x0
	v_add_nc_u32_e32 v61, v61, v77
	global_store_b16 v61, v60, s[38:39] scale_offset
	s_wait_xcnt 0x0
	s_or_b32 exec_lo, exec_lo, s26
	v_cmp_lt_u32_e64 s25, v78, v139
	s_and_saveexec_b32 s27, s25
	s_cbranch_execz .LBB2040_772
.LBB2040_840:                           ;   in Loop: Header=BB2040_682 Depth=2
	ds_load_u16 v60, v93 offset:6656
	s_wait_dscnt 0x0
	v_cmp_ne_u16_e64 s26, 0x7fff, v60
	s_delay_alu instid0(VALU_DEP_1) | instskip(SKIP_1) | instid1(VALU_DEP_2)
	v_cndmask_b32_e64 v61, 0xffff8000, v60, s26
	v_cmp_lt_i16_e64 s26, -1, v60
	v_and_b32_e32 v61, 0xffff, v61
	s_delay_alu instid0(VALU_DEP_2) | instskip(NEXT) | instid1(VALU_DEP_1)
	v_cndmask_b32_e64 v140, 0xffff8000, -1, s26
	v_dual_lshrrev_b32 v61, s49, v61 :: v_dual_bitop2_b32 v60, v140, v60 bitop3:0x14
	s_delay_alu instid0(VALU_DEP_1) | instskip(NEXT) | instid1(VALU_DEP_1)
	v_and_b32_e32 v61, s52, v61
	v_lshlrev_b32_e32 v61, 2, v61
	ds_load_b32 v61, v61
	s_wait_dscnt 0x0
	v_add_nc_u32_e32 v61, v61, v78
	global_store_b16 v61, v60, s[38:39] scale_offset
	s_wait_xcnt 0x0
	s_or_b32 exec_lo, exec_lo, s27
	v_cmp_lt_u32_e64 s26, v79, v139
	s_and_saveexec_b32 s28, s26
	s_cbranch_execz .LBB2040_773
.LBB2040_841:                           ;   in Loop: Header=BB2040_682 Depth=2
	ds_load_u16 v60, v93 offset:7168
	s_wait_dscnt 0x0
	v_cmp_ne_u16_e64 s27, 0x7fff, v60
	s_delay_alu instid0(VALU_DEP_1) | instskip(SKIP_1) | instid1(VALU_DEP_2)
	v_cndmask_b32_e64 v61, 0xffff8000, v60, s27
	v_cmp_lt_i16_e64 s27, -1, v60
	v_and_b32_e32 v61, 0xffff, v61
	s_delay_alu instid0(VALU_DEP_2) | instskip(NEXT) | instid1(VALU_DEP_1)
	v_cndmask_b32_e64 v140, 0xffff8000, -1, s27
	v_dual_lshrrev_b32 v61, s49, v61 :: v_dual_bitop2_b32 v60, v140, v60 bitop3:0x14
	s_delay_alu instid0(VALU_DEP_1) | instskip(NEXT) | instid1(VALU_DEP_1)
	v_and_b32_e32 v61, s52, v61
	v_lshlrev_b32_e32 v61, 2, v61
	ds_load_b32 v61, v61
	s_wait_dscnt 0x0
	v_add_nc_u32_e32 v61, v61, v79
	global_store_b16 v61, v60, s[38:39] scale_offset
	s_wait_xcnt 0x0
	s_or_b32 exec_lo, exec_lo, s28
	v_cmp_lt_u32_e64 s27, v80, v139
	s_and_saveexec_b32 s29, s27
	s_cbranch_execz .LBB2040_774
.LBB2040_842:                           ;   in Loop: Header=BB2040_682 Depth=2
	ds_load_u16 v60, v93 offset:7680
	s_wait_dscnt 0x0
	v_cmp_ne_u16_e64 s28, 0x7fff, v60
	s_delay_alu instid0(VALU_DEP_1) | instskip(SKIP_1) | instid1(VALU_DEP_2)
	v_cndmask_b32_e64 v61, 0xffff8000, v60, s28
	v_cmp_lt_i16_e64 s28, -1, v60
	v_and_b32_e32 v61, 0xffff, v61
	s_delay_alu instid0(VALU_DEP_2) | instskip(NEXT) | instid1(VALU_DEP_1)
	v_cndmask_b32_e64 v140, 0xffff8000, -1, s28
	v_dual_lshrrev_b32 v61, s49, v61 :: v_dual_bitop2_b32 v60, v140, v60 bitop3:0x14
	s_delay_alu instid0(VALU_DEP_1) | instskip(NEXT) | instid1(VALU_DEP_1)
	v_and_b32_e32 v61, s52, v61
	v_lshlrev_b32_e32 v61, 2, v61
	ds_load_b32 v61, v61
	s_wait_dscnt 0x0
	v_add_nc_u32_e32 v61, v61, v80
	global_store_b16 v61, v60, s[38:39] scale_offset
	s_wait_xcnt 0x0
	s_or_b32 exec_lo, exec_lo, s29
	v_cmp_lt_u32_e64 s28, v81, v139
	s_and_saveexec_b32 s30, s28
	s_cbranch_execz .LBB2040_775
.LBB2040_843:                           ;   in Loop: Header=BB2040_682 Depth=2
	ds_load_u16 v60, v93 offset:8192
	s_wait_dscnt 0x0
	v_cmp_ne_u16_e64 s29, 0x7fff, v60
	s_delay_alu instid0(VALU_DEP_1) | instskip(SKIP_1) | instid1(VALU_DEP_2)
	v_cndmask_b32_e64 v61, 0xffff8000, v60, s29
	v_cmp_lt_i16_e64 s29, -1, v60
	v_and_b32_e32 v61, 0xffff, v61
	s_delay_alu instid0(VALU_DEP_2) | instskip(NEXT) | instid1(VALU_DEP_1)
	v_cndmask_b32_e64 v140, 0xffff8000, -1, s29
	v_dual_lshrrev_b32 v61, s49, v61 :: v_dual_bitop2_b32 v60, v140, v60 bitop3:0x14
	s_delay_alu instid0(VALU_DEP_1) | instskip(NEXT) | instid1(VALU_DEP_1)
	v_and_b32_e32 v61, s52, v61
	v_lshlrev_b32_e32 v61, 2, v61
	ds_load_b32 v61, v61
	s_wait_dscnt 0x0
	v_add_nc_u32_e32 v61, v61, v81
	global_store_b16 v61, v60, s[38:39] scale_offset
	s_wait_xcnt 0x0
	s_or_b32 exec_lo, exec_lo, s30
	v_cmp_lt_u32_e64 s29, v82, v139
	s_and_saveexec_b32 s58, s29
	s_cbranch_execnz .LBB2040_776
	s_branch .LBB2040_777
.LBB2040_844:                           ;   in Loop: Header=BB2040_682 Depth=2
	global_load_b64 v[58:59], v[60:61], off
	s_wait_xcnt 0x0
	s_or_b32 exec_lo, exec_lo, s30
	s_delay_alu instid0(SALU_CYCLE_1)
	s_mov_b32 s42, exec_lo
	v_cmpx_lt_u32_e64 v103, v139
	s_cbranch_execz .LBB2040_779
.LBB2040_845:                           ;   in Loop: Header=BB2040_682 Depth=2
	global_load_b64 v[56:57], v[60:61], off offset:256
	s_wait_xcnt 0x0
	s_or_b32 exec_lo, exec_lo, s42
	s_delay_alu instid0(SALU_CYCLE_1)
	s_mov_b32 s42, exec_lo
	v_cmpx_lt_u32_e64 v104, v139
	s_cbranch_execz .LBB2040_780
.LBB2040_846:                           ;   in Loop: Header=BB2040_682 Depth=2
	global_load_b64 v[54:55], v[60:61], off offset:512
	s_wait_xcnt 0x0
	s_or_b32 exec_lo, exec_lo, s42
	s_delay_alu instid0(SALU_CYCLE_1)
	s_mov_b32 s42, exec_lo
	v_cmpx_lt_u32_e64 v105, v139
	s_cbranch_execz .LBB2040_781
.LBB2040_847:                           ;   in Loop: Header=BB2040_682 Depth=2
	global_load_b64 v[52:53], v[60:61], off offset:768
	s_wait_xcnt 0x0
	s_or_b32 exec_lo, exec_lo, s42
	s_delay_alu instid0(SALU_CYCLE_1)
	s_mov_b32 s42, exec_lo
	v_cmpx_lt_u32_e64 v106, v139
	s_cbranch_execz .LBB2040_782
.LBB2040_848:                           ;   in Loop: Header=BB2040_682 Depth=2
	global_load_b64 v[50:51], v[60:61], off offset:1024
	s_wait_xcnt 0x0
	s_or_b32 exec_lo, exec_lo, s42
	s_delay_alu instid0(SALU_CYCLE_1)
	s_mov_b32 s42, exec_lo
	v_cmpx_lt_u32_e64 v107, v139
	s_cbranch_execz .LBB2040_783
.LBB2040_849:                           ;   in Loop: Header=BB2040_682 Depth=2
	global_load_b64 v[48:49], v[60:61], off offset:1280
	s_wait_xcnt 0x0
	s_or_b32 exec_lo, exec_lo, s42
	s_delay_alu instid0(SALU_CYCLE_1)
	s_mov_b32 s42, exec_lo
	v_cmpx_lt_u32_e64 v108, v139
	s_cbranch_execz .LBB2040_784
.LBB2040_850:                           ;   in Loop: Header=BB2040_682 Depth=2
	global_load_b64 v[46:47], v[60:61], off offset:1536
	s_wait_xcnt 0x0
	s_or_b32 exec_lo, exec_lo, s42
	s_delay_alu instid0(SALU_CYCLE_1)
	s_mov_b32 s42, exec_lo
	v_cmpx_lt_u32_e64 v109, v139
	s_cbranch_execz .LBB2040_785
.LBB2040_851:                           ;   in Loop: Header=BB2040_682 Depth=2
	global_load_b64 v[44:45], v[60:61], off offset:1792
	s_wait_xcnt 0x0
	s_or_b32 exec_lo, exec_lo, s42
	s_delay_alu instid0(SALU_CYCLE_1)
	s_mov_b32 s42, exec_lo
	v_cmpx_lt_u32_e64 v110, v139
	s_cbranch_execz .LBB2040_786
.LBB2040_852:                           ;   in Loop: Header=BB2040_682 Depth=2
	global_load_b64 v[42:43], v[60:61], off offset:2048
	s_wait_xcnt 0x0
	s_or_b32 exec_lo, exec_lo, s42
	s_delay_alu instid0(SALU_CYCLE_1)
	s_mov_b32 s42, exec_lo
	v_cmpx_lt_u32_e64 v111, v139
	s_cbranch_execz .LBB2040_787
.LBB2040_853:                           ;   in Loop: Header=BB2040_682 Depth=2
	global_load_b64 v[40:41], v[60:61], off offset:2304
	s_wait_xcnt 0x0
	s_or_b32 exec_lo, exec_lo, s42
	s_delay_alu instid0(SALU_CYCLE_1)
	s_mov_b32 s42, exec_lo
	v_cmpx_lt_u32_e64 v112, v139
	s_cbranch_execz .LBB2040_788
.LBB2040_854:                           ;   in Loop: Header=BB2040_682 Depth=2
	global_load_b64 v[38:39], v[60:61], off offset:2560
	s_wait_xcnt 0x0
	s_or_b32 exec_lo, exec_lo, s42
	s_delay_alu instid0(SALU_CYCLE_1)
	s_mov_b32 s42, exec_lo
	v_cmpx_lt_u32_e64 v113, v139
	s_cbranch_execz .LBB2040_789
.LBB2040_855:                           ;   in Loop: Header=BB2040_682 Depth=2
	global_load_b64 v[36:37], v[60:61], off offset:2816
	s_wait_xcnt 0x0
	s_or_b32 exec_lo, exec_lo, s42
	s_delay_alu instid0(SALU_CYCLE_1)
	s_mov_b32 s42, exec_lo
	v_cmpx_lt_u32_e64 v114, v139
	s_cbranch_execz .LBB2040_790
.LBB2040_856:                           ;   in Loop: Header=BB2040_682 Depth=2
	global_load_b64 v[34:35], v[60:61], off offset:3072
	s_wait_xcnt 0x0
	s_or_b32 exec_lo, exec_lo, s42
	s_delay_alu instid0(SALU_CYCLE_1)
	s_mov_b32 s42, exec_lo
	v_cmpx_lt_u32_e64 v115, v139
	s_cbranch_execz .LBB2040_791
.LBB2040_857:                           ;   in Loop: Header=BB2040_682 Depth=2
	global_load_b64 v[32:33], v[60:61], off offset:3328
	s_wait_xcnt 0x0
	s_or_b32 exec_lo, exec_lo, s42
	s_delay_alu instid0(SALU_CYCLE_1)
	s_mov_b32 s42, exec_lo
	v_cmpx_lt_u32_e64 v116, v139
	s_cbranch_execz .LBB2040_792
.LBB2040_858:                           ;   in Loop: Header=BB2040_682 Depth=2
	global_load_b64 v[30:31], v[60:61], off offset:3584
	s_wait_xcnt 0x0
	s_or_b32 exec_lo, exec_lo, s42
	s_delay_alu instid0(SALU_CYCLE_1)
	s_mov_b32 s42, exec_lo
	v_cmpx_lt_u32_e64 v117, v139
	s_cbranch_execz .LBB2040_793
.LBB2040_859:                           ;   in Loop: Header=BB2040_682 Depth=2
	global_load_b64 v[28:29], v[60:61], off offset:3840
	s_wait_xcnt 0x0
	s_or_b32 exec_lo, exec_lo, s42
	s_and_saveexec_b32 s42, vcc_lo
	s_cbranch_execz .LBB2040_794
.LBB2040_860:                           ;   in Loop: Header=BB2040_682 Depth=2
	ds_load_u16 v60, v93 offset:1024
	s_wait_dscnt 0x0
	v_cmp_ne_u16_e64 s30, 0x7fff, v60
	s_delay_alu instid0(VALU_DEP_1) | instskip(NEXT) | instid1(VALU_DEP_1)
	v_cndmask_b32_e64 v60, 0xffff8000, v60, s30
	v_and_b32_e32 v60, 0xffff, v60
	s_delay_alu instid0(VALU_DEP_1) | instskip(NEXT) | instid1(VALU_DEP_1)
	v_lshrrev_b32_e32 v60, s49, v60
	v_and_b32_e32 v138, s52, v60
	s_or_b32 exec_lo, exec_lo, s42
	s_and_saveexec_b32 s42, s15
	s_cbranch_execz .LBB2040_795
.LBB2040_861:                           ;   in Loop: Header=BB2040_682 Depth=2
	ds_load_u16 v60, v93 offset:1536
	s_wait_dscnt 0x0
	v_cmp_ne_u16_e64 s30, 0x7fff, v60
	s_delay_alu instid0(VALU_DEP_1) | instskip(NEXT) | instid1(VALU_DEP_1)
	v_cndmask_b32_e64 v60, 0xffff8000, v60, s30
	v_and_b32_e32 v60, 0xffff, v60
	s_delay_alu instid0(VALU_DEP_1) | instskip(NEXT) | instid1(VALU_DEP_1)
	v_lshrrev_b32_e32 v60, s49, v60
	v_and_b32_e32 v137, s52, v60
	s_or_b32 exec_lo, exec_lo, s42
	s_and_saveexec_b32 s42, s16
	s_cbranch_execz .LBB2040_796
.LBB2040_862:                           ;   in Loop: Header=BB2040_682 Depth=2
	ds_load_u16 v60, v93 offset:2048
	s_wait_dscnt 0x0
	v_cmp_ne_u16_e64 s30, 0x7fff, v60
	s_delay_alu instid0(VALU_DEP_1) | instskip(NEXT) | instid1(VALU_DEP_1)
	v_cndmask_b32_e64 v60, 0xffff8000, v60, s30
	v_and_b32_e32 v60, 0xffff, v60
	s_delay_alu instid0(VALU_DEP_1) | instskip(NEXT) | instid1(VALU_DEP_1)
	v_lshrrev_b32_e32 v60, s49, v60
	v_and_b32_e32 v136, s52, v60
	s_or_b32 exec_lo, exec_lo, s42
	s_and_saveexec_b32 s42, s17
	s_cbranch_execz .LBB2040_797
.LBB2040_863:                           ;   in Loop: Header=BB2040_682 Depth=2
	ds_load_u16 v60, v93 offset:2560
	s_wait_dscnt 0x0
	v_cmp_ne_u16_e64 s30, 0x7fff, v60
	s_delay_alu instid0(VALU_DEP_1) | instskip(NEXT) | instid1(VALU_DEP_1)
	v_cndmask_b32_e64 v60, 0xffff8000, v60, s30
	v_and_b32_e32 v60, 0xffff, v60
	s_delay_alu instid0(VALU_DEP_1) | instskip(NEXT) | instid1(VALU_DEP_1)
	v_lshrrev_b32_e32 v60, s49, v60
	v_and_b32_e32 v135, s52, v60
	s_or_b32 exec_lo, exec_lo, s42
	s_and_saveexec_b32 s42, s18
	s_cbranch_execz .LBB2040_798
.LBB2040_864:                           ;   in Loop: Header=BB2040_682 Depth=2
	ds_load_u16 v60, v93 offset:3072
	s_wait_dscnt 0x0
	v_cmp_ne_u16_e64 s30, 0x7fff, v60
	s_delay_alu instid0(VALU_DEP_1) | instskip(NEXT) | instid1(VALU_DEP_1)
	v_cndmask_b32_e64 v60, 0xffff8000, v60, s30
	v_and_b32_e32 v60, 0xffff, v60
	s_delay_alu instid0(VALU_DEP_1) | instskip(NEXT) | instid1(VALU_DEP_1)
	v_lshrrev_b32_e32 v60, s49, v60
	v_and_b32_e32 v134, s52, v60
	s_or_b32 exec_lo, exec_lo, s42
	s_and_saveexec_b32 s42, s19
	s_cbranch_execz .LBB2040_799
.LBB2040_865:                           ;   in Loop: Header=BB2040_682 Depth=2
	ds_load_u16 v60, v93 offset:3584
	s_wait_dscnt 0x0
	v_cmp_ne_u16_e64 s30, 0x7fff, v60
	s_delay_alu instid0(VALU_DEP_1) | instskip(NEXT) | instid1(VALU_DEP_1)
	v_cndmask_b32_e64 v60, 0xffff8000, v60, s30
	v_and_b32_e32 v60, 0xffff, v60
	s_delay_alu instid0(VALU_DEP_1) | instskip(NEXT) | instid1(VALU_DEP_1)
	v_lshrrev_b32_e32 v60, s49, v60
	v_and_b32_e32 v133, s52, v60
	s_or_b32 exec_lo, exec_lo, s42
	s_and_saveexec_b32 s42, s20
	s_cbranch_execz .LBB2040_800
.LBB2040_866:                           ;   in Loop: Header=BB2040_682 Depth=2
	ds_load_u16 v60, v93 offset:4096
	s_wait_dscnt 0x0
	v_cmp_ne_u16_e64 s30, 0x7fff, v60
	s_delay_alu instid0(VALU_DEP_1) | instskip(NEXT) | instid1(VALU_DEP_1)
	v_cndmask_b32_e64 v60, 0xffff8000, v60, s30
	v_and_b32_e32 v60, 0xffff, v60
	s_delay_alu instid0(VALU_DEP_1) | instskip(NEXT) | instid1(VALU_DEP_1)
	v_lshrrev_b32_e32 v60, s49, v60
	v_and_b32_e32 v132, s52, v60
	s_or_b32 exec_lo, exec_lo, s42
	s_and_saveexec_b32 s42, s21
	s_cbranch_execz .LBB2040_801
.LBB2040_867:                           ;   in Loop: Header=BB2040_682 Depth=2
	ds_load_u16 v60, v93 offset:4608
	s_wait_dscnt 0x0
	v_cmp_ne_u16_e64 s30, 0x7fff, v60
	s_delay_alu instid0(VALU_DEP_1) | instskip(NEXT) | instid1(VALU_DEP_1)
	v_cndmask_b32_e64 v60, 0xffff8000, v60, s30
	v_and_b32_e32 v60, 0xffff, v60
	s_delay_alu instid0(VALU_DEP_1) | instskip(NEXT) | instid1(VALU_DEP_1)
	v_lshrrev_b32_e32 v60, s49, v60
	v_and_b32_e32 v131, s52, v60
	s_or_b32 exec_lo, exec_lo, s42
	s_and_saveexec_b32 s42, s22
	s_cbranch_execz .LBB2040_802
.LBB2040_868:                           ;   in Loop: Header=BB2040_682 Depth=2
	ds_load_u16 v60, v93 offset:5120
	s_wait_dscnt 0x0
	v_cmp_ne_u16_e64 s30, 0x7fff, v60
	s_delay_alu instid0(VALU_DEP_1) | instskip(NEXT) | instid1(VALU_DEP_1)
	v_cndmask_b32_e64 v60, 0xffff8000, v60, s30
	v_and_b32_e32 v60, 0xffff, v60
	s_delay_alu instid0(VALU_DEP_1) | instskip(NEXT) | instid1(VALU_DEP_1)
	v_lshrrev_b32_e32 v60, s49, v60
	v_and_b32_e32 v130, s52, v60
	s_or_b32 exec_lo, exec_lo, s42
	s_and_saveexec_b32 s42, s23
	s_cbranch_execz .LBB2040_803
.LBB2040_869:                           ;   in Loop: Header=BB2040_682 Depth=2
	ds_load_u16 v60, v93 offset:5632
	s_wait_dscnt 0x0
	v_cmp_ne_u16_e64 s30, 0x7fff, v60
	s_delay_alu instid0(VALU_DEP_1) | instskip(NEXT) | instid1(VALU_DEP_1)
	v_cndmask_b32_e64 v60, 0xffff8000, v60, s30
	v_and_b32_e32 v60, 0xffff, v60
	s_delay_alu instid0(VALU_DEP_1) | instskip(NEXT) | instid1(VALU_DEP_1)
	v_lshrrev_b32_e32 v60, s49, v60
	v_and_b32_e32 v129, s52, v60
	s_or_b32 exec_lo, exec_lo, s42
	s_and_saveexec_b32 s42, s24
	s_cbranch_execz .LBB2040_804
.LBB2040_870:                           ;   in Loop: Header=BB2040_682 Depth=2
	ds_load_u16 v60, v93 offset:6144
	s_wait_dscnt 0x0
	v_cmp_ne_u16_e64 s30, 0x7fff, v60
	s_delay_alu instid0(VALU_DEP_1) | instskip(NEXT) | instid1(VALU_DEP_1)
	v_cndmask_b32_e64 v60, 0xffff8000, v60, s30
	v_and_b32_e32 v60, 0xffff, v60
	s_delay_alu instid0(VALU_DEP_1) | instskip(NEXT) | instid1(VALU_DEP_1)
	v_lshrrev_b32_e32 v60, s49, v60
	v_and_b32_e32 v128, s52, v60
	s_or_b32 exec_lo, exec_lo, s42
	s_and_saveexec_b32 s42, s25
	s_cbranch_execz .LBB2040_805
.LBB2040_871:                           ;   in Loop: Header=BB2040_682 Depth=2
	ds_load_u16 v60, v93 offset:6656
	s_wait_dscnt 0x0
	v_cmp_ne_u16_e64 s30, 0x7fff, v60
	s_delay_alu instid0(VALU_DEP_1) | instskip(NEXT) | instid1(VALU_DEP_1)
	v_cndmask_b32_e64 v60, 0xffff8000, v60, s30
	v_and_b32_e32 v60, 0xffff, v60
	s_delay_alu instid0(VALU_DEP_1) | instskip(NEXT) | instid1(VALU_DEP_1)
	v_lshrrev_b32_e32 v60, s49, v60
	v_and_b32_e32 v127, s52, v60
	s_or_b32 exec_lo, exec_lo, s42
	s_and_saveexec_b32 s42, s26
	s_cbranch_execz .LBB2040_806
.LBB2040_872:                           ;   in Loop: Header=BB2040_682 Depth=2
	ds_load_u16 v60, v93 offset:7168
	s_wait_dscnt 0x0
	v_cmp_ne_u16_e64 s30, 0x7fff, v60
	s_delay_alu instid0(VALU_DEP_1) | instskip(NEXT) | instid1(VALU_DEP_1)
	v_cndmask_b32_e64 v60, 0xffff8000, v60, s30
	v_and_b32_e32 v60, 0xffff, v60
	s_delay_alu instid0(VALU_DEP_1) | instskip(NEXT) | instid1(VALU_DEP_1)
	v_lshrrev_b32_e32 v60, s49, v60
	v_and_b32_e32 v126, s52, v60
	s_or_b32 exec_lo, exec_lo, s42
	s_and_saveexec_b32 s42, s27
	s_cbranch_execz .LBB2040_807
.LBB2040_873:                           ;   in Loop: Header=BB2040_682 Depth=2
	ds_load_u16 v60, v93 offset:7680
	s_wait_dscnt 0x0
	v_cmp_ne_u16_e64 s30, 0x7fff, v60
	s_delay_alu instid0(VALU_DEP_1) | instskip(NEXT) | instid1(VALU_DEP_1)
	v_cndmask_b32_e64 v60, 0xffff8000, v60, s30
	v_and_b32_e32 v60, 0xffff, v60
	s_delay_alu instid0(VALU_DEP_1) | instskip(NEXT) | instid1(VALU_DEP_1)
	v_lshrrev_b32_e32 v60, s49, v60
	v_and_b32_e32 v125, s52, v60
	s_or_b32 exec_lo, exec_lo, s42
	s_and_saveexec_b32 s42, s28
	s_cbranch_execz .LBB2040_808
.LBB2040_874:                           ;   in Loop: Header=BB2040_682 Depth=2
	ds_load_u16 v60, v93 offset:8192
	s_wait_dscnt 0x0
	v_cmp_ne_u16_e64 s30, 0x7fff, v60
	s_delay_alu instid0(VALU_DEP_1) | instskip(NEXT) | instid1(VALU_DEP_1)
	v_cndmask_b32_e64 v60, 0xffff8000, v60, s30
	v_and_b32_e32 v60, 0xffff, v60
	s_delay_alu instid0(VALU_DEP_1) | instskip(NEXT) | instid1(VALU_DEP_1)
	v_lshrrev_b32_e32 v60, s49, v60
	v_and_b32_e32 v124, s52, v60
	s_or_b32 exec_lo, exec_lo, s42
	s_and_saveexec_b32 s42, s29
	s_cbranch_execnz .LBB2040_809
	s_branch .LBB2040_810
.LBB2040_875:                           ;   in Loop: Header=BB2040_682 Depth=2
	v_lshlrev_b32_e32 v60, 2, v138
	v_add_nc_u32_e32 v61, v93, v94
	ds_load_b32 v63, v60
	ds_load_b64 v[60:61], v61 offset:1024
	s_wait_dscnt 0x1
	v_add_nc_u32_e32 v63, v63, v2
	s_wait_dscnt 0x0
	global_store_b64 v63, v[60:61], s[44:45] scale_offset
	s_wait_xcnt 0x0
	s_or_b32 exec_lo, exec_lo, s30
	s_and_saveexec_b32 s30, s15
	s_cbranch_execz .LBB2040_812
.LBB2040_876:                           ;   in Loop: Header=BB2040_682 Depth=2
	v_dual_lshlrev_b32 v60, 2, v137 :: v_dual_add_nc_u32 v61, v93, v94
	ds_load_b32 v63, v60
	ds_load_b64 v[60:61], v61 offset:3072
	s_wait_dscnt 0x1
	v_add_nc_u32_e32 v63, v63, v68
	s_wait_dscnt 0x0
	global_store_b64 v63, v[60:61], s[44:45] scale_offset
	s_wait_xcnt 0x0
	s_or_b32 exec_lo, exec_lo, s30
	s_and_saveexec_b32 s15, s16
	s_cbranch_execz .LBB2040_813
.LBB2040_877:                           ;   in Loop: Header=BB2040_682 Depth=2
	v_dual_lshlrev_b32 v60, 2, v136 :: v_dual_add_nc_u32 v61, v93, v94
	ds_load_b32 v63, v60
	ds_load_b64 v[60:61], v61 offset:5120
	s_wait_dscnt 0x1
	v_add_nc_u32_e32 v63, v63, v69
	s_wait_dscnt 0x0
	global_store_b64 v63, v[60:61], s[44:45] scale_offset
	s_wait_xcnt 0x0
	s_or_b32 exec_lo, exec_lo, s15
	s_and_saveexec_b32 s15, s17
	s_cbranch_execz .LBB2040_814
.LBB2040_878:                           ;   in Loop: Header=BB2040_682 Depth=2
	v_dual_lshlrev_b32 v60, 2, v135 :: v_dual_add_nc_u32 v61, v93, v94
	ds_load_b32 v63, v60
	ds_load_b64 v[60:61], v61 offset:7168
	s_wait_dscnt 0x1
	v_add_nc_u32_e32 v63, v63, v70
	s_wait_dscnt 0x0
	global_store_b64 v63, v[60:61], s[44:45] scale_offset
	s_wait_xcnt 0x0
	s_or_b32 exec_lo, exec_lo, s15
	s_and_saveexec_b32 s15, s18
	s_cbranch_execz .LBB2040_815
.LBB2040_879:                           ;   in Loop: Header=BB2040_682 Depth=2
	v_lshlrev_b32_e32 v60, 2, v134
	v_add_nc_u32_e32 v61, v93, v94
	ds_load_b32 v63, v60
	ds_load_b64 v[60:61], v61 offset:9216
	s_wait_dscnt 0x1
	v_add_nc_u32_e32 v63, v63, v71
	s_wait_dscnt 0x0
	global_store_b64 v63, v[60:61], s[44:45] scale_offset
	s_wait_xcnt 0x0
	s_or_b32 exec_lo, exec_lo, s15
	s_and_saveexec_b32 s15, s19
	s_cbranch_execz .LBB2040_816
.LBB2040_880:                           ;   in Loop: Header=BB2040_682 Depth=2
	v_dual_lshlrev_b32 v60, 2, v133 :: v_dual_add_nc_u32 v61, v93, v94
	ds_load_b32 v63, v60
	ds_load_b64 v[60:61], v61 offset:11264
	s_wait_dscnt 0x1
	v_add_nc_u32_e32 v63, v63, v72
	s_wait_dscnt 0x0
	global_store_b64 v63, v[60:61], s[44:45] scale_offset
	s_wait_xcnt 0x0
	s_or_b32 exec_lo, exec_lo, s15
	s_and_saveexec_b32 s15, s20
	s_cbranch_execz .LBB2040_817
.LBB2040_881:                           ;   in Loop: Header=BB2040_682 Depth=2
	v_dual_lshlrev_b32 v60, 2, v132 :: v_dual_add_nc_u32 v61, v93, v94
	ds_load_b32 v63, v60
	ds_load_b64 v[60:61], v61 offset:13312
	s_wait_dscnt 0x1
	v_add_nc_u32_e32 v63, v63, v73
	s_wait_dscnt 0x0
	global_store_b64 v63, v[60:61], s[44:45] scale_offset
	s_wait_xcnt 0x0
	s_or_b32 exec_lo, exec_lo, s15
	s_and_saveexec_b32 s15, s21
	s_cbranch_execz .LBB2040_818
.LBB2040_882:                           ;   in Loop: Header=BB2040_682 Depth=2
	v_dual_lshlrev_b32 v60, 2, v131 :: v_dual_add_nc_u32 v61, v93, v94
	ds_load_b32 v63, v60
	ds_load_b64 v[60:61], v61 offset:15360
	s_wait_dscnt 0x1
	v_add_nc_u32_e32 v63, v63, v74
	s_wait_dscnt 0x0
	global_store_b64 v63, v[60:61], s[44:45] scale_offset
	s_wait_xcnt 0x0
	s_or_b32 exec_lo, exec_lo, s15
	s_and_saveexec_b32 s15, s22
	s_cbranch_execz .LBB2040_819
.LBB2040_883:                           ;   in Loop: Header=BB2040_682 Depth=2
	v_lshlrev_b32_e32 v60, 2, v130
	v_add_nc_u32_e32 v61, v93, v94
	ds_load_b32 v63, v60
	ds_load_b64 v[60:61], v61 offset:17408
	s_wait_dscnt 0x1
	v_add_nc_u32_e32 v63, v63, v75
	s_wait_dscnt 0x0
	global_store_b64 v63, v[60:61], s[44:45] scale_offset
	s_wait_xcnt 0x0
	s_or_b32 exec_lo, exec_lo, s15
	s_and_saveexec_b32 s15, s23
	s_cbranch_execz .LBB2040_820
.LBB2040_884:                           ;   in Loop: Header=BB2040_682 Depth=2
	v_dual_lshlrev_b32 v60, 2, v129 :: v_dual_add_nc_u32 v61, v93, v94
	ds_load_b32 v63, v60
	ds_load_b64 v[60:61], v61 offset:19456
	s_wait_dscnt 0x1
	v_add_nc_u32_e32 v63, v63, v76
	s_wait_dscnt 0x0
	global_store_b64 v63, v[60:61], s[44:45] scale_offset
	s_wait_xcnt 0x0
	s_or_b32 exec_lo, exec_lo, s15
	s_and_saveexec_b32 s15, s24
	s_cbranch_execz .LBB2040_821
.LBB2040_885:                           ;   in Loop: Header=BB2040_682 Depth=2
	v_dual_lshlrev_b32 v60, 2, v128 :: v_dual_add_nc_u32 v61, v93, v94
	ds_load_b32 v63, v60
	ds_load_b64 v[60:61], v61 offset:21504
	s_wait_dscnt 0x1
	v_add_nc_u32_e32 v63, v63, v77
	s_wait_dscnt 0x0
	global_store_b64 v63, v[60:61], s[44:45] scale_offset
	s_wait_xcnt 0x0
	s_or_b32 exec_lo, exec_lo, s15
	s_and_saveexec_b32 s15, s25
	s_cbranch_execz .LBB2040_822
.LBB2040_886:                           ;   in Loop: Header=BB2040_682 Depth=2
	v_dual_lshlrev_b32 v60, 2, v127 :: v_dual_add_nc_u32 v61, v93, v94
	ds_load_b32 v63, v60
	ds_load_b64 v[60:61], v61 offset:23552
	s_wait_dscnt 0x1
	v_add_nc_u32_e32 v63, v63, v78
	s_wait_dscnt 0x0
	global_store_b64 v63, v[60:61], s[44:45] scale_offset
	s_wait_xcnt 0x0
	s_or_b32 exec_lo, exec_lo, s15
	s_and_saveexec_b32 s15, s26
	s_cbranch_execz .LBB2040_823
.LBB2040_887:                           ;   in Loop: Header=BB2040_682 Depth=2
	v_lshlrev_b32_e32 v60, 2, v126
	v_add_nc_u32_e32 v61, v93, v94
	ds_load_b32 v63, v60
	ds_load_b64 v[60:61], v61 offset:25600
	s_wait_dscnt 0x1
	v_add_nc_u32_e32 v63, v63, v79
	s_wait_dscnt 0x0
	global_store_b64 v63, v[60:61], s[44:45] scale_offset
	s_wait_xcnt 0x0
	s_or_b32 exec_lo, exec_lo, s15
	s_and_saveexec_b32 s15, s27
	s_cbranch_execz .LBB2040_824
.LBB2040_888:                           ;   in Loop: Header=BB2040_682 Depth=2
	v_dual_lshlrev_b32 v60, 2, v125 :: v_dual_add_nc_u32 v61, v93, v94
	ds_load_b32 v63, v60
	ds_load_b64 v[60:61], v61 offset:27648
	s_wait_dscnt 0x1
	v_add_nc_u32_e32 v63, v63, v80
	s_wait_dscnt 0x0
	global_store_b64 v63, v[60:61], s[44:45] scale_offset
	s_wait_xcnt 0x0
	s_or_b32 exec_lo, exec_lo, s15
	s_and_saveexec_b32 s15, s28
	s_cbranch_execz .LBB2040_825
.LBB2040_889:                           ;   in Loop: Header=BB2040_682 Depth=2
	v_dual_lshlrev_b32 v60, 2, v124 :: v_dual_add_nc_u32 v61, v93, v94
	ds_load_b32 v63, v60
	ds_load_b64 v[60:61], v61 offset:29696
	s_wait_dscnt 0x1
	v_add_nc_u32_e32 v63, v63, v81
	s_wait_dscnt 0x0
	global_store_b64 v63, v[60:61], s[44:45] scale_offset
	s_wait_xcnt 0x0
	s_or_b32 exec_lo, exec_lo, s15
	s_and_saveexec_b32 s15, s29
	s_cbranch_execnz .LBB2040_826
	s_branch .LBB2040_827
.LBB2040_890:                           ;   in Loop: Header=BB2040_12 Depth=1
	s_wait_dscnt 0x0
	s_barrier_signal -1
	s_mov_b32 s7, 0
	s_barrier_wait -1
.LBB2040_891:                           ;   in Loop: Header=BB2040_12 Depth=1
	s_and_b32 vcc_lo, exec_lo, s7
	s_cbranch_vccz .LBB2040_11
; %bb.892:                              ;   in Loop: Header=BB2040_12 Depth=1
	s_mov_b32 s7, s56
	s_mov_b32 s42, s54
	s_barrier_signal -1
	s_barrier_wait -1
                                        ; implicit-def: $vgpr23
                                        ; implicit-def: $vgpr24
                                        ; implicit-def: $vgpr25
                                        ; implicit-def: $vgpr26
                                        ; implicit-def: $vgpr27
                                        ; implicit-def: $vgpr28
                                        ; implicit-def: $vgpr29
                                        ; implicit-def: $vgpr30
                                        ; implicit-def: $vgpr31
                                        ; implicit-def: $vgpr32
                                        ; implicit-def: $vgpr33
                                        ; implicit-def: $vgpr34
                                        ; implicit-def: $vgpr35
                                        ; implicit-def: $vgpr36
                                        ; implicit-def: $vgpr37
                                        ; implicit-def: $vgpr38
	s_branch .LBB2040_894
.LBB2040_893:                           ;   in Loop: Header=BB2040_894 Depth=2
	s_or_b32 exec_lo, exec_lo, s8
	s_addk_co_i32 s7, 0xf000
	s_cmp_ge_u32 s10, s51
	s_mov_b32 s42, s10
	s_cbranch_scc1 .LBB2040_962
.LBB2040_894:                           ;   Parent Loop BB2040_12 Depth=1
                                        ; =>  This Inner Loop Header: Depth=2
	s_add_co_i32 s10, s42, 0x1000
	s_mov_b32 s8, -1
	s_cmp_gt_u32 s10, s51
                                        ; implicit-def: $vgpr39
                                        ; implicit-def: $vgpr40
                                        ; implicit-def: $vgpr41
                                        ; implicit-def: $vgpr42
                                        ; implicit-def: $vgpr43
                                        ; implicit-def: $vgpr44
                                        ; implicit-def: $vgpr45
                                        ; implicit-def: $vgpr46
                                        ; implicit-def: $vgpr47
                                        ; implicit-def: $vgpr48
                                        ; implicit-def: $vgpr49
                                        ; implicit-def: $vgpr50
                                        ; implicit-def: $vgpr51
                                        ; implicit-def: $vgpr52
                                        ; implicit-def: $vgpr53
                                        ; implicit-def: $vgpr54
	s_cbranch_scc1 .LBB2040_896
; %bb.895:                              ;   in Loop: Header=BB2040_894 Depth=2
	v_lshl_add_u64 v[54:55], s[42:43], 1, v[16:17]
	s_mov_b32 s8, 0
	s_clause 0xf
	global_load_u16 v39, v[54:55], off
	global_load_u16 v40, v[54:55], off offset:512
	global_load_u16 v41, v[54:55], off offset:1024
	;; [unrolled: 1-line block ×15, first 2 shown]
.LBB2040_896:                           ;   in Loop: Header=BB2040_894 Depth=2
	s_and_not1_b32 vcc_lo, exec_lo, s8
	s_movk_i32 s8, 0x1000
	s_cbranch_vccnz .LBB2040_915
; %bb.897:                              ;   in Loop: Header=BB2040_894 Depth=2
	s_lshl_b64 s[8:9], s[42:43], 1
	s_mov_b32 s11, exec_lo
	s_add_nc_u64 s[8:9], s[36:37], s[8:9]
	s_wait_xcnt 0x0
	v_cmpx_gt_u32_e64 s7, v2
	s_cbranch_execnz .LBB2040_947
; %bb.898:                              ;   in Loop: Header=BB2040_894 Depth=2
	s_or_b32 exec_lo, exec_lo, s11
	s_delay_alu instid0(SALU_CYCLE_1)
	s_mov_b32 s11, exec_lo
	v_cmpx_gt_u32_e64 s7, v68
	s_cbranch_execnz .LBB2040_948
.LBB2040_899:                           ;   in Loop: Header=BB2040_894 Depth=2
	s_or_b32 exec_lo, exec_lo, s11
	s_delay_alu instid0(SALU_CYCLE_1)
	s_mov_b32 s11, exec_lo
	v_cmpx_gt_u32_e64 s7, v69
	s_cbranch_execnz .LBB2040_949
.LBB2040_900:                           ;   in Loop: Header=BB2040_894 Depth=2
	s_or_b32 exec_lo, exec_lo, s11
	s_delay_alu instid0(SALU_CYCLE_1)
	s_mov_b32 s11, exec_lo
	v_cmpx_gt_u32_e64 s7, v70
	s_cbranch_execnz .LBB2040_950
.LBB2040_901:                           ;   in Loop: Header=BB2040_894 Depth=2
	s_or_b32 exec_lo, exec_lo, s11
	s_delay_alu instid0(SALU_CYCLE_1)
	s_mov_b32 s11, exec_lo
	v_cmpx_gt_u32_e64 s7, v71
	s_cbranch_execnz .LBB2040_951
.LBB2040_902:                           ;   in Loop: Header=BB2040_894 Depth=2
	s_or_b32 exec_lo, exec_lo, s11
	s_delay_alu instid0(SALU_CYCLE_1)
	s_mov_b32 s11, exec_lo
	v_cmpx_gt_u32_e64 s7, v72
	s_cbranch_execnz .LBB2040_952
.LBB2040_903:                           ;   in Loop: Header=BB2040_894 Depth=2
	s_or_b32 exec_lo, exec_lo, s11
	s_delay_alu instid0(SALU_CYCLE_1)
	s_mov_b32 s11, exec_lo
	v_cmpx_gt_u32_e64 s7, v73
	s_cbranch_execnz .LBB2040_953
.LBB2040_904:                           ;   in Loop: Header=BB2040_894 Depth=2
	s_or_b32 exec_lo, exec_lo, s11
	s_delay_alu instid0(SALU_CYCLE_1)
	s_mov_b32 s11, exec_lo
	v_cmpx_gt_u32_e64 s7, v74
	s_cbranch_execnz .LBB2040_954
.LBB2040_905:                           ;   in Loop: Header=BB2040_894 Depth=2
	s_or_b32 exec_lo, exec_lo, s11
	s_delay_alu instid0(SALU_CYCLE_1)
	s_mov_b32 s11, exec_lo
	v_cmpx_gt_u32_e64 s7, v75
	s_cbranch_execnz .LBB2040_955
.LBB2040_906:                           ;   in Loop: Header=BB2040_894 Depth=2
	s_or_b32 exec_lo, exec_lo, s11
	s_delay_alu instid0(SALU_CYCLE_1)
	s_mov_b32 s11, exec_lo
	v_cmpx_gt_u32_e64 s7, v76
	s_cbranch_execnz .LBB2040_956
.LBB2040_907:                           ;   in Loop: Header=BB2040_894 Depth=2
	s_or_b32 exec_lo, exec_lo, s11
	s_delay_alu instid0(SALU_CYCLE_1)
	s_mov_b32 s11, exec_lo
	v_cmpx_gt_u32_e64 s7, v77
	s_cbranch_execnz .LBB2040_957
.LBB2040_908:                           ;   in Loop: Header=BB2040_894 Depth=2
	s_or_b32 exec_lo, exec_lo, s11
	s_delay_alu instid0(SALU_CYCLE_1)
	s_mov_b32 s11, exec_lo
	v_cmpx_gt_u32_e64 s7, v78
	s_cbranch_execnz .LBB2040_958
.LBB2040_909:                           ;   in Loop: Header=BB2040_894 Depth=2
	s_or_b32 exec_lo, exec_lo, s11
	s_delay_alu instid0(SALU_CYCLE_1)
	s_mov_b32 s11, exec_lo
	v_cmpx_gt_u32_e64 s7, v79
	s_cbranch_execnz .LBB2040_959
.LBB2040_910:                           ;   in Loop: Header=BB2040_894 Depth=2
	s_or_b32 exec_lo, exec_lo, s11
	s_delay_alu instid0(SALU_CYCLE_1)
	s_mov_b32 s11, exec_lo
	v_cmpx_gt_u32_e64 s7, v80
	s_cbranch_execnz .LBB2040_960
.LBB2040_911:                           ;   in Loop: Header=BB2040_894 Depth=2
	s_or_b32 exec_lo, exec_lo, s11
	s_delay_alu instid0(SALU_CYCLE_1)
	s_mov_b32 s11, exec_lo
	v_cmpx_gt_u32_e64 s7, v81
	s_cbranch_execnz .LBB2040_961
.LBB2040_912:                           ;   in Loop: Header=BB2040_894 Depth=2
	s_or_b32 exec_lo, exec_lo, s11
	s_delay_alu instid0(SALU_CYCLE_1)
	s_mov_b32 s11, exec_lo
	v_cmpx_gt_u32_e64 s7, v82
	s_cbranch_execz .LBB2040_914
.LBB2040_913:                           ;   in Loop: Header=BB2040_894 Depth=2
	global_load_u16 v23, v2, s[8:9] offset:7680 scale_offset
.LBB2040_914:                           ;   in Loop: Header=BB2040_894 Depth=2
	s_wait_xcnt 0x0
	s_or_b32 exec_lo, exec_lo, s11
	s_wait_loadcnt 0x0
	v_dual_mov_b32 v39, v38 :: v_dual_mov_b32 v40, v37
	v_dual_mov_b32 v41, v36 :: v_dual_mov_b32 v42, v35
	;; [unrolled: 1-line block ×8, first 2 shown]
	s_mov_b32 s8, s7
.LBB2040_915:                           ;   in Loop: Header=BB2040_894 Depth=2
	s_wait_loadcnt 0x0
	s_delay_alu instid0(VALU_DEP_1)
	v_dual_mov_b32 v23, v54 :: v_dual_mov_b32 v24, v53
	v_dual_mov_b32 v25, v52 :: v_dual_mov_b32 v26, v51
	;; [unrolled: 1-line block ×8, first 2 shown]
	s_mov_b32 s9, exec_lo
	s_wait_xcnt 0x0
	v_cmpx_gt_u32_e64 s8, v2
	s_cbranch_execnz .LBB2040_931
; %bb.916:                              ;   in Loop: Header=BB2040_894 Depth=2
	s_or_b32 exec_lo, exec_lo, s9
	s_delay_alu instid0(SALU_CYCLE_1)
	s_mov_b32 s9, exec_lo
	v_cmpx_gt_u32_e64 s8, v68
	s_cbranch_execnz .LBB2040_932
.LBB2040_917:                           ;   in Loop: Header=BB2040_894 Depth=2
	s_or_b32 exec_lo, exec_lo, s9
	s_delay_alu instid0(SALU_CYCLE_1)
	s_mov_b32 s9, exec_lo
	v_cmpx_gt_u32_e64 s8, v69
	s_cbranch_execnz .LBB2040_933
.LBB2040_918:                           ;   in Loop: Header=BB2040_894 Depth=2
	s_or_b32 exec_lo, exec_lo, s9
	s_delay_alu instid0(SALU_CYCLE_1)
	s_mov_b32 s9, exec_lo
	v_cmpx_gt_u32_e64 s8, v70
	s_cbranch_execnz .LBB2040_934
.LBB2040_919:                           ;   in Loop: Header=BB2040_894 Depth=2
	s_or_b32 exec_lo, exec_lo, s9
	s_delay_alu instid0(SALU_CYCLE_1)
	s_mov_b32 s9, exec_lo
	v_cmpx_gt_u32_e64 s8, v71
	s_cbranch_execnz .LBB2040_935
.LBB2040_920:                           ;   in Loop: Header=BB2040_894 Depth=2
	s_or_b32 exec_lo, exec_lo, s9
	s_delay_alu instid0(SALU_CYCLE_1)
	s_mov_b32 s9, exec_lo
	v_cmpx_gt_u32_e64 s8, v72
	s_cbranch_execnz .LBB2040_936
.LBB2040_921:                           ;   in Loop: Header=BB2040_894 Depth=2
	s_or_b32 exec_lo, exec_lo, s9
	s_delay_alu instid0(SALU_CYCLE_1)
	s_mov_b32 s9, exec_lo
	v_cmpx_gt_u32_e64 s8, v73
	s_cbranch_execnz .LBB2040_937
.LBB2040_922:                           ;   in Loop: Header=BB2040_894 Depth=2
	s_or_b32 exec_lo, exec_lo, s9
	s_delay_alu instid0(SALU_CYCLE_1)
	s_mov_b32 s9, exec_lo
	v_cmpx_gt_u32_e64 s8, v74
	s_cbranch_execnz .LBB2040_938
.LBB2040_923:                           ;   in Loop: Header=BB2040_894 Depth=2
	s_or_b32 exec_lo, exec_lo, s9
	s_delay_alu instid0(SALU_CYCLE_1)
	s_mov_b32 s9, exec_lo
	v_cmpx_gt_u32_e64 s8, v75
	s_cbranch_execnz .LBB2040_939
.LBB2040_924:                           ;   in Loop: Header=BB2040_894 Depth=2
	s_or_b32 exec_lo, exec_lo, s9
	s_delay_alu instid0(SALU_CYCLE_1)
	s_mov_b32 s9, exec_lo
	v_cmpx_gt_u32_e64 s8, v76
	s_cbranch_execnz .LBB2040_940
.LBB2040_925:                           ;   in Loop: Header=BB2040_894 Depth=2
	s_or_b32 exec_lo, exec_lo, s9
	s_delay_alu instid0(SALU_CYCLE_1)
	s_mov_b32 s9, exec_lo
	v_cmpx_gt_u32_e64 s8, v77
	s_cbranch_execnz .LBB2040_941
.LBB2040_926:                           ;   in Loop: Header=BB2040_894 Depth=2
	s_or_b32 exec_lo, exec_lo, s9
	s_delay_alu instid0(SALU_CYCLE_1)
	s_mov_b32 s9, exec_lo
	v_cmpx_gt_u32_e64 s8, v78
	s_cbranch_execnz .LBB2040_942
.LBB2040_927:                           ;   in Loop: Header=BB2040_894 Depth=2
	s_or_b32 exec_lo, exec_lo, s9
	s_delay_alu instid0(SALU_CYCLE_1)
	s_mov_b32 s9, exec_lo
	v_cmpx_gt_u32_e64 s8, v79
	s_cbranch_execnz .LBB2040_943
.LBB2040_928:                           ;   in Loop: Header=BB2040_894 Depth=2
	s_or_b32 exec_lo, exec_lo, s9
	s_delay_alu instid0(SALU_CYCLE_1)
	s_mov_b32 s9, exec_lo
	v_cmpx_gt_u32_e64 s8, v80
	s_cbranch_execnz .LBB2040_944
.LBB2040_929:                           ;   in Loop: Header=BB2040_894 Depth=2
	s_or_b32 exec_lo, exec_lo, s9
	s_delay_alu instid0(SALU_CYCLE_1)
	s_mov_b32 s9, exec_lo
	v_cmpx_gt_u32_e64 s8, v81
	s_cbranch_execnz .LBB2040_945
.LBB2040_930:                           ;   in Loop: Header=BB2040_894 Depth=2
	s_or_b32 exec_lo, exec_lo, s9
	v_cmp_gt_u32_e32 vcc_lo, s8, v82
	s_and_saveexec_b32 s8, vcc_lo
	s_cbranch_execz .LBB2040_893
	s_branch .LBB2040_946
.LBB2040_931:                           ;   in Loop: Header=BB2040_894 Depth=2
	v_cmp_lt_i16_e32 vcc_lo, -1, v38
	v_cndmask_b32_e64 v39, -1, 0xffff8000, vcc_lo
	s_delay_alu instid0(VALU_DEP_1) | instskip(NEXT) | instid1(VALU_DEP_1)
	v_xor_b32_e32 v39, v39, v38
	v_cmp_ne_u16_e32 vcc_lo, 0x7fff, v39
	v_cndmask_b32_e32 v39, 0xffff8000, v39, vcc_lo
	s_delay_alu instid0(VALU_DEP_1) | instskip(NEXT) | instid1(VALU_DEP_1)
	v_and_b32_e32 v39, 0xffff, v39
	v_lshrrev_b32_e32 v39, s49, v39
	s_delay_alu instid0(VALU_DEP_1) | instskip(NEXT) | instid1(VALU_DEP_1)
	v_and_b32_e32 v39, s52, v39
	v_lshl_or_b32 v39, v39, 4, v83
	ds_add_u32 v39, v96
	s_or_b32 exec_lo, exec_lo, s9
	s_delay_alu instid0(SALU_CYCLE_1)
	s_mov_b32 s9, exec_lo
	v_cmpx_gt_u32_e64 s8, v68
	s_cbranch_execz .LBB2040_917
.LBB2040_932:                           ;   in Loop: Header=BB2040_894 Depth=2
	v_cmp_lt_i16_e32 vcc_lo, -1, v37
	v_cndmask_b32_e64 v39, -1, 0xffff8000, vcc_lo
	s_delay_alu instid0(VALU_DEP_1) | instskip(NEXT) | instid1(VALU_DEP_1)
	v_xor_b32_e32 v39, v39, v37
	v_cmp_ne_u16_e32 vcc_lo, 0x7fff, v39
	v_cndmask_b32_e32 v39, 0xffff8000, v39, vcc_lo
	s_delay_alu instid0(VALU_DEP_1) | instskip(NEXT) | instid1(VALU_DEP_1)
	v_and_b32_e32 v39, 0xffff, v39
	v_lshrrev_b32_e32 v39, s49, v39
	s_delay_alu instid0(VALU_DEP_1) | instskip(NEXT) | instid1(VALU_DEP_1)
	v_and_b32_e32 v39, s52, v39
	v_lshl_or_b32 v39, v39, 4, v83
	ds_add_u32 v39, v96
	s_or_b32 exec_lo, exec_lo, s9
	s_delay_alu instid0(SALU_CYCLE_1)
	s_mov_b32 s9, exec_lo
	v_cmpx_gt_u32_e64 s8, v69
	s_cbranch_execz .LBB2040_918
.LBB2040_933:                           ;   in Loop: Header=BB2040_894 Depth=2
	v_cmp_lt_i16_e32 vcc_lo, -1, v36
	v_cndmask_b32_e64 v39, -1, 0xffff8000, vcc_lo
	s_delay_alu instid0(VALU_DEP_1) | instskip(NEXT) | instid1(VALU_DEP_1)
	v_xor_b32_e32 v39, v39, v36
	v_cmp_ne_u16_e32 vcc_lo, 0x7fff, v39
	v_cndmask_b32_e32 v39, 0xffff8000, v39, vcc_lo
	s_delay_alu instid0(VALU_DEP_1) | instskip(NEXT) | instid1(VALU_DEP_1)
	v_and_b32_e32 v39, 0xffff, v39
	v_lshrrev_b32_e32 v39, s49, v39
	s_delay_alu instid0(VALU_DEP_1) | instskip(NEXT) | instid1(VALU_DEP_1)
	v_and_b32_e32 v39, s52, v39
	v_lshl_or_b32 v39, v39, 4, v83
	ds_add_u32 v39, v96
	s_or_b32 exec_lo, exec_lo, s9
	s_delay_alu instid0(SALU_CYCLE_1)
	s_mov_b32 s9, exec_lo
	v_cmpx_gt_u32_e64 s8, v70
	s_cbranch_execz .LBB2040_919
.LBB2040_934:                           ;   in Loop: Header=BB2040_894 Depth=2
	v_cmp_lt_i16_e32 vcc_lo, -1, v35
	v_cndmask_b32_e64 v39, -1, 0xffff8000, vcc_lo
	s_delay_alu instid0(VALU_DEP_1) | instskip(NEXT) | instid1(VALU_DEP_1)
	v_xor_b32_e32 v39, v39, v35
	v_cmp_ne_u16_e32 vcc_lo, 0x7fff, v39
	v_cndmask_b32_e32 v39, 0xffff8000, v39, vcc_lo
	s_delay_alu instid0(VALU_DEP_1) | instskip(NEXT) | instid1(VALU_DEP_1)
	v_and_b32_e32 v39, 0xffff, v39
	v_lshrrev_b32_e32 v39, s49, v39
	s_delay_alu instid0(VALU_DEP_1) | instskip(NEXT) | instid1(VALU_DEP_1)
	v_and_b32_e32 v39, s52, v39
	v_lshl_or_b32 v39, v39, 4, v83
	ds_add_u32 v39, v96
	s_or_b32 exec_lo, exec_lo, s9
	s_delay_alu instid0(SALU_CYCLE_1)
	s_mov_b32 s9, exec_lo
	v_cmpx_gt_u32_e64 s8, v71
	s_cbranch_execz .LBB2040_920
.LBB2040_935:                           ;   in Loop: Header=BB2040_894 Depth=2
	v_cmp_lt_i16_e32 vcc_lo, -1, v34
	v_cndmask_b32_e64 v39, -1, 0xffff8000, vcc_lo
	s_delay_alu instid0(VALU_DEP_1) | instskip(NEXT) | instid1(VALU_DEP_1)
	v_xor_b32_e32 v39, v39, v34
	v_cmp_ne_u16_e32 vcc_lo, 0x7fff, v39
	v_cndmask_b32_e32 v39, 0xffff8000, v39, vcc_lo
	s_delay_alu instid0(VALU_DEP_1) | instskip(NEXT) | instid1(VALU_DEP_1)
	v_and_b32_e32 v39, 0xffff, v39
	v_lshrrev_b32_e32 v39, s49, v39
	s_delay_alu instid0(VALU_DEP_1) | instskip(NEXT) | instid1(VALU_DEP_1)
	v_and_b32_e32 v39, s52, v39
	v_lshl_or_b32 v39, v39, 4, v83
	ds_add_u32 v39, v96
	s_or_b32 exec_lo, exec_lo, s9
	s_delay_alu instid0(SALU_CYCLE_1)
	s_mov_b32 s9, exec_lo
	v_cmpx_gt_u32_e64 s8, v72
	s_cbranch_execz .LBB2040_921
.LBB2040_936:                           ;   in Loop: Header=BB2040_894 Depth=2
	v_cmp_lt_i16_e32 vcc_lo, -1, v33
	v_cndmask_b32_e64 v39, -1, 0xffff8000, vcc_lo
	s_delay_alu instid0(VALU_DEP_1) | instskip(NEXT) | instid1(VALU_DEP_1)
	v_xor_b32_e32 v39, v39, v33
	v_cmp_ne_u16_e32 vcc_lo, 0x7fff, v39
	v_cndmask_b32_e32 v39, 0xffff8000, v39, vcc_lo
	s_delay_alu instid0(VALU_DEP_1) | instskip(NEXT) | instid1(VALU_DEP_1)
	v_and_b32_e32 v39, 0xffff, v39
	v_lshrrev_b32_e32 v39, s49, v39
	s_delay_alu instid0(VALU_DEP_1) | instskip(NEXT) | instid1(VALU_DEP_1)
	v_and_b32_e32 v39, s52, v39
	v_lshl_or_b32 v39, v39, 4, v83
	ds_add_u32 v39, v96
	s_or_b32 exec_lo, exec_lo, s9
	s_delay_alu instid0(SALU_CYCLE_1)
	s_mov_b32 s9, exec_lo
	v_cmpx_gt_u32_e64 s8, v73
	s_cbranch_execz .LBB2040_922
.LBB2040_937:                           ;   in Loop: Header=BB2040_894 Depth=2
	v_cmp_lt_i16_e32 vcc_lo, -1, v32
	v_cndmask_b32_e64 v39, -1, 0xffff8000, vcc_lo
	s_delay_alu instid0(VALU_DEP_1) | instskip(NEXT) | instid1(VALU_DEP_1)
	v_xor_b32_e32 v39, v39, v32
	v_cmp_ne_u16_e32 vcc_lo, 0x7fff, v39
	v_cndmask_b32_e32 v39, 0xffff8000, v39, vcc_lo
	s_delay_alu instid0(VALU_DEP_1) | instskip(NEXT) | instid1(VALU_DEP_1)
	v_and_b32_e32 v39, 0xffff, v39
	v_lshrrev_b32_e32 v39, s49, v39
	s_delay_alu instid0(VALU_DEP_1) | instskip(NEXT) | instid1(VALU_DEP_1)
	v_and_b32_e32 v39, s52, v39
	v_lshl_or_b32 v39, v39, 4, v83
	ds_add_u32 v39, v96
	s_or_b32 exec_lo, exec_lo, s9
	s_delay_alu instid0(SALU_CYCLE_1)
	s_mov_b32 s9, exec_lo
	v_cmpx_gt_u32_e64 s8, v74
	s_cbranch_execz .LBB2040_923
.LBB2040_938:                           ;   in Loop: Header=BB2040_894 Depth=2
	v_cmp_lt_i16_e32 vcc_lo, -1, v31
	v_cndmask_b32_e64 v39, -1, 0xffff8000, vcc_lo
	s_delay_alu instid0(VALU_DEP_1) | instskip(NEXT) | instid1(VALU_DEP_1)
	v_xor_b32_e32 v39, v39, v31
	v_cmp_ne_u16_e32 vcc_lo, 0x7fff, v39
	v_cndmask_b32_e32 v39, 0xffff8000, v39, vcc_lo
	s_delay_alu instid0(VALU_DEP_1) | instskip(NEXT) | instid1(VALU_DEP_1)
	v_and_b32_e32 v39, 0xffff, v39
	v_lshrrev_b32_e32 v39, s49, v39
	s_delay_alu instid0(VALU_DEP_1) | instskip(NEXT) | instid1(VALU_DEP_1)
	v_and_b32_e32 v39, s52, v39
	v_lshl_or_b32 v39, v39, 4, v83
	ds_add_u32 v39, v96
	s_or_b32 exec_lo, exec_lo, s9
	s_delay_alu instid0(SALU_CYCLE_1)
	s_mov_b32 s9, exec_lo
	v_cmpx_gt_u32_e64 s8, v75
	s_cbranch_execz .LBB2040_924
.LBB2040_939:                           ;   in Loop: Header=BB2040_894 Depth=2
	v_cmp_lt_i16_e32 vcc_lo, -1, v30
	v_cndmask_b32_e64 v39, -1, 0xffff8000, vcc_lo
	s_delay_alu instid0(VALU_DEP_1) | instskip(NEXT) | instid1(VALU_DEP_1)
	v_xor_b32_e32 v39, v39, v30
	v_cmp_ne_u16_e32 vcc_lo, 0x7fff, v39
	v_cndmask_b32_e32 v39, 0xffff8000, v39, vcc_lo
	s_delay_alu instid0(VALU_DEP_1) | instskip(NEXT) | instid1(VALU_DEP_1)
	v_and_b32_e32 v39, 0xffff, v39
	v_lshrrev_b32_e32 v39, s49, v39
	s_delay_alu instid0(VALU_DEP_1) | instskip(NEXT) | instid1(VALU_DEP_1)
	v_and_b32_e32 v39, s52, v39
	v_lshl_or_b32 v39, v39, 4, v83
	ds_add_u32 v39, v96
	s_or_b32 exec_lo, exec_lo, s9
	s_delay_alu instid0(SALU_CYCLE_1)
	s_mov_b32 s9, exec_lo
	v_cmpx_gt_u32_e64 s8, v76
	s_cbranch_execz .LBB2040_925
.LBB2040_940:                           ;   in Loop: Header=BB2040_894 Depth=2
	v_cmp_lt_i16_e32 vcc_lo, -1, v29
	v_cndmask_b32_e64 v39, -1, 0xffff8000, vcc_lo
	s_delay_alu instid0(VALU_DEP_1) | instskip(NEXT) | instid1(VALU_DEP_1)
	v_xor_b32_e32 v39, v39, v29
	v_cmp_ne_u16_e32 vcc_lo, 0x7fff, v39
	v_cndmask_b32_e32 v39, 0xffff8000, v39, vcc_lo
	s_delay_alu instid0(VALU_DEP_1) | instskip(NEXT) | instid1(VALU_DEP_1)
	v_and_b32_e32 v39, 0xffff, v39
	v_lshrrev_b32_e32 v39, s49, v39
	s_delay_alu instid0(VALU_DEP_1) | instskip(NEXT) | instid1(VALU_DEP_1)
	v_and_b32_e32 v39, s52, v39
	v_lshl_or_b32 v39, v39, 4, v83
	ds_add_u32 v39, v96
	s_or_b32 exec_lo, exec_lo, s9
	s_delay_alu instid0(SALU_CYCLE_1)
	s_mov_b32 s9, exec_lo
	v_cmpx_gt_u32_e64 s8, v77
	s_cbranch_execz .LBB2040_926
.LBB2040_941:                           ;   in Loop: Header=BB2040_894 Depth=2
	v_cmp_lt_i16_e32 vcc_lo, -1, v28
	v_cndmask_b32_e64 v39, -1, 0xffff8000, vcc_lo
	s_delay_alu instid0(VALU_DEP_1) | instskip(NEXT) | instid1(VALU_DEP_1)
	v_xor_b32_e32 v39, v39, v28
	v_cmp_ne_u16_e32 vcc_lo, 0x7fff, v39
	v_cndmask_b32_e32 v39, 0xffff8000, v39, vcc_lo
	s_delay_alu instid0(VALU_DEP_1) | instskip(NEXT) | instid1(VALU_DEP_1)
	v_and_b32_e32 v39, 0xffff, v39
	v_lshrrev_b32_e32 v39, s49, v39
	s_delay_alu instid0(VALU_DEP_1) | instskip(NEXT) | instid1(VALU_DEP_1)
	v_and_b32_e32 v39, s52, v39
	v_lshl_or_b32 v39, v39, 4, v83
	ds_add_u32 v39, v96
	s_or_b32 exec_lo, exec_lo, s9
	s_delay_alu instid0(SALU_CYCLE_1)
	s_mov_b32 s9, exec_lo
	v_cmpx_gt_u32_e64 s8, v78
	s_cbranch_execz .LBB2040_927
.LBB2040_942:                           ;   in Loop: Header=BB2040_894 Depth=2
	v_cmp_lt_i16_e32 vcc_lo, -1, v27
	v_cndmask_b32_e64 v39, -1, 0xffff8000, vcc_lo
	s_delay_alu instid0(VALU_DEP_1) | instskip(NEXT) | instid1(VALU_DEP_1)
	v_xor_b32_e32 v39, v39, v27
	v_cmp_ne_u16_e32 vcc_lo, 0x7fff, v39
	v_cndmask_b32_e32 v39, 0xffff8000, v39, vcc_lo
	s_delay_alu instid0(VALU_DEP_1) | instskip(NEXT) | instid1(VALU_DEP_1)
	v_and_b32_e32 v39, 0xffff, v39
	v_lshrrev_b32_e32 v39, s49, v39
	s_delay_alu instid0(VALU_DEP_1) | instskip(NEXT) | instid1(VALU_DEP_1)
	v_and_b32_e32 v39, s52, v39
	v_lshl_or_b32 v39, v39, 4, v83
	ds_add_u32 v39, v96
	s_or_b32 exec_lo, exec_lo, s9
	s_delay_alu instid0(SALU_CYCLE_1)
	s_mov_b32 s9, exec_lo
	v_cmpx_gt_u32_e64 s8, v79
	s_cbranch_execz .LBB2040_928
.LBB2040_943:                           ;   in Loop: Header=BB2040_894 Depth=2
	v_cmp_lt_i16_e32 vcc_lo, -1, v26
	v_cndmask_b32_e64 v39, -1, 0xffff8000, vcc_lo
	s_delay_alu instid0(VALU_DEP_1) | instskip(NEXT) | instid1(VALU_DEP_1)
	v_xor_b32_e32 v39, v39, v26
	v_cmp_ne_u16_e32 vcc_lo, 0x7fff, v39
	v_cndmask_b32_e32 v39, 0xffff8000, v39, vcc_lo
	s_delay_alu instid0(VALU_DEP_1) | instskip(NEXT) | instid1(VALU_DEP_1)
	v_and_b32_e32 v39, 0xffff, v39
	v_lshrrev_b32_e32 v39, s49, v39
	s_delay_alu instid0(VALU_DEP_1) | instskip(NEXT) | instid1(VALU_DEP_1)
	v_and_b32_e32 v39, s52, v39
	v_lshl_or_b32 v39, v39, 4, v83
	ds_add_u32 v39, v96
	s_or_b32 exec_lo, exec_lo, s9
	s_delay_alu instid0(SALU_CYCLE_1)
	s_mov_b32 s9, exec_lo
	v_cmpx_gt_u32_e64 s8, v80
	s_cbranch_execz .LBB2040_929
.LBB2040_944:                           ;   in Loop: Header=BB2040_894 Depth=2
	v_cmp_lt_i16_e32 vcc_lo, -1, v25
	v_cndmask_b32_e64 v39, -1, 0xffff8000, vcc_lo
	s_delay_alu instid0(VALU_DEP_1) | instskip(NEXT) | instid1(VALU_DEP_1)
	v_xor_b32_e32 v39, v39, v25
	v_cmp_ne_u16_e32 vcc_lo, 0x7fff, v39
	v_cndmask_b32_e32 v39, 0xffff8000, v39, vcc_lo
	s_delay_alu instid0(VALU_DEP_1) | instskip(NEXT) | instid1(VALU_DEP_1)
	v_and_b32_e32 v39, 0xffff, v39
	v_lshrrev_b32_e32 v39, s49, v39
	s_delay_alu instid0(VALU_DEP_1) | instskip(NEXT) | instid1(VALU_DEP_1)
	v_and_b32_e32 v39, s52, v39
	v_lshl_or_b32 v39, v39, 4, v83
	ds_add_u32 v39, v96
	s_or_b32 exec_lo, exec_lo, s9
	s_delay_alu instid0(SALU_CYCLE_1)
	s_mov_b32 s9, exec_lo
	v_cmpx_gt_u32_e64 s8, v81
	s_cbranch_execz .LBB2040_930
.LBB2040_945:                           ;   in Loop: Header=BB2040_894 Depth=2
	v_cmp_lt_i16_e32 vcc_lo, -1, v24
	v_cndmask_b32_e64 v39, -1, 0xffff8000, vcc_lo
	s_delay_alu instid0(VALU_DEP_1) | instskip(NEXT) | instid1(VALU_DEP_1)
	v_xor_b32_e32 v39, v39, v24
	v_cmp_ne_u16_e32 vcc_lo, 0x7fff, v39
	v_cndmask_b32_e32 v39, 0xffff8000, v39, vcc_lo
	s_delay_alu instid0(VALU_DEP_1) | instskip(NEXT) | instid1(VALU_DEP_1)
	v_and_b32_e32 v39, 0xffff, v39
	v_lshrrev_b32_e32 v39, s49, v39
	s_delay_alu instid0(VALU_DEP_1) | instskip(NEXT) | instid1(VALU_DEP_1)
	v_and_b32_e32 v39, s52, v39
	v_lshl_or_b32 v39, v39, 4, v83
	ds_add_u32 v39, v96
	s_or_b32 exec_lo, exec_lo, s9
	v_cmp_gt_u32_e32 vcc_lo, s8, v82
	s_and_saveexec_b32 s8, vcc_lo
	s_cbranch_execz .LBB2040_893
.LBB2040_946:                           ;   in Loop: Header=BB2040_894 Depth=2
	v_cmp_lt_i16_e32 vcc_lo, -1, v23
	v_cndmask_b32_e64 v39, -1, 0xffff8000, vcc_lo
	s_delay_alu instid0(VALU_DEP_1) | instskip(NEXT) | instid1(VALU_DEP_1)
	v_xor_b32_e32 v39, v39, v23
	v_cmp_ne_u16_e32 vcc_lo, 0x7fff, v39
	v_cndmask_b32_e32 v39, 0xffff8000, v39, vcc_lo
	s_delay_alu instid0(VALU_DEP_1) | instskip(NEXT) | instid1(VALU_DEP_1)
	v_and_b32_e32 v39, 0xffff, v39
	v_lshrrev_b32_e32 v39, s49, v39
	s_delay_alu instid0(VALU_DEP_1) | instskip(NEXT) | instid1(VALU_DEP_1)
	v_and_b32_e32 v39, s52, v39
	v_lshl_or_b32 v39, v39, 4, v83
	ds_add_u32 v39, v96
	s_branch .LBB2040_893
.LBB2040_947:                           ;   in Loop: Header=BB2040_894 Depth=2
	global_load_u16 v38, v2, s[8:9] scale_offset
	s_wait_xcnt 0x0
	s_or_b32 exec_lo, exec_lo, s11
	s_delay_alu instid0(SALU_CYCLE_1)
	s_mov_b32 s11, exec_lo
	v_cmpx_gt_u32_e64 s7, v68
	s_cbranch_execz .LBB2040_899
.LBB2040_948:                           ;   in Loop: Header=BB2040_894 Depth=2
	global_load_u16 v37, v2, s[8:9] offset:512 scale_offset
	s_wait_xcnt 0x0
	s_or_b32 exec_lo, exec_lo, s11
	s_delay_alu instid0(SALU_CYCLE_1)
	s_mov_b32 s11, exec_lo
	v_cmpx_gt_u32_e64 s7, v69
	s_cbranch_execz .LBB2040_900
.LBB2040_949:                           ;   in Loop: Header=BB2040_894 Depth=2
	global_load_u16 v36, v2, s[8:9] offset:1024 scale_offset
	s_wait_xcnt 0x0
	s_or_b32 exec_lo, exec_lo, s11
	s_delay_alu instid0(SALU_CYCLE_1)
	s_mov_b32 s11, exec_lo
	v_cmpx_gt_u32_e64 s7, v70
	s_cbranch_execz .LBB2040_901
.LBB2040_950:                           ;   in Loop: Header=BB2040_894 Depth=2
	global_load_u16 v35, v2, s[8:9] offset:1536 scale_offset
	s_wait_xcnt 0x0
	s_or_b32 exec_lo, exec_lo, s11
	s_delay_alu instid0(SALU_CYCLE_1)
	s_mov_b32 s11, exec_lo
	v_cmpx_gt_u32_e64 s7, v71
	s_cbranch_execz .LBB2040_902
.LBB2040_951:                           ;   in Loop: Header=BB2040_894 Depth=2
	global_load_u16 v34, v2, s[8:9] offset:2048 scale_offset
	s_wait_xcnt 0x0
	s_or_b32 exec_lo, exec_lo, s11
	s_delay_alu instid0(SALU_CYCLE_1)
	s_mov_b32 s11, exec_lo
	v_cmpx_gt_u32_e64 s7, v72
	s_cbranch_execz .LBB2040_903
.LBB2040_952:                           ;   in Loop: Header=BB2040_894 Depth=2
	global_load_u16 v33, v2, s[8:9] offset:2560 scale_offset
	s_wait_xcnt 0x0
	s_or_b32 exec_lo, exec_lo, s11
	s_delay_alu instid0(SALU_CYCLE_1)
	s_mov_b32 s11, exec_lo
	v_cmpx_gt_u32_e64 s7, v73
	s_cbranch_execz .LBB2040_904
.LBB2040_953:                           ;   in Loop: Header=BB2040_894 Depth=2
	global_load_u16 v32, v2, s[8:9] offset:3072 scale_offset
	s_wait_xcnt 0x0
	s_or_b32 exec_lo, exec_lo, s11
	s_delay_alu instid0(SALU_CYCLE_1)
	s_mov_b32 s11, exec_lo
	v_cmpx_gt_u32_e64 s7, v74
	s_cbranch_execz .LBB2040_905
.LBB2040_954:                           ;   in Loop: Header=BB2040_894 Depth=2
	global_load_u16 v31, v2, s[8:9] offset:3584 scale_offset
	s_wait_xcnt 0x0
	s_or_b32 exec_lo, exec_lo, s11
	s_delay_alu instid0(SALU_CYCLE_1)
	s_mov_b32 s11, exec_lo
	v_cmpx_gt_u32_e64 s7, v75
	s_cbranch_execz .LBB2040_906
.LBB2040_955:                           ;   in Loop: Header=BB2040_894 Depth=2
	global_load_u16 v30, v2, s[8:9] offset:4096 scale_offset
	s_wait_xcnt 0x0
	s_or_b32 exec_lo, exec_lo, s11
	s_delay_alu instid0(SALU_CYCLE_1)
	s_mov_b32 s11, exec_lo
	v_cmpx_gt_u32_e64 s7, v76
	s_cbranch_execz .LBB2040_907
.LBB2040_956:                           ;   in Loop: Header=BB2040_894 Depth=2
	global_load_u16 v29, v2, s[8:9] offset:4608 scale_offset
	s_wait_xcnt 0x0
	s_or_b32 exec_lo, exec_lo, s11
	s_delay_alu instid0(SALU_CYCLE_1)
	s_mov_b32 s11, exec_lo
	v_cmpx_gt_u32_e64 s7, v77
	s_cbranch_execz .LBB2040_908
.LBB2040_957:                           ;   in Loop: Header=BB2040_894 Depth=2
	global_load_u16 v28, v2, s[8:9] offset:5120 scale_offset
	s_wait_xcnt 0x0
	s_or_b32 exec_lo, exec_lo, s11
	s_delay_alu instid0(SALU_CYCLE_1)
	s_mov_b32 s11, exec_lo
	v_cmpx_gt_u32_e64 s7, v78
	s_cbranch_execz .LBB2040_909
.LBB2040_958:                           ;   in Loop: Header=BB2040_894 Depth=2
	global_load_u16 v27, v2, s[8:9] offset:5632 scale_offset
	s_wait_xcnt 0x0
	s_or_b32 exec_lo, exec_lo, s11
	s_delay_alu instid0(SALU_CYCLE_1)
	s_mov_b32 s11, exec_lo
	v_cmpx_gt_u32_e64 s7, v79
	s_cbranch_execz .LBB2040_910
.LBB2040_959:                           ;   in Loop: Header=BB2040_894 Depth=2
	global_load_u16 v26, v2, s[8:9] offset:6144 scale_offset
	s_wait_xcnt 0x0
	s_or_b32 exec_lo, exec_lo, s11
	s_delay_alu instid0(SALU_CYCLE_1)
	s_mov_b32 s11, exec_lo
	v_cmpx_gt_u32_e64 s7, v80
	s_cbranch_execz .LBB2040_911
.LBB2040_960:                           ;   in Loop: Header=BB2040_894 Depth=2
	global_load_u16 v25, v2, s[8:9] offset:6656 scale_offset
	s_wait_xcnt 0x0
	s_or_b32 exec_lo, exec_lo, s11
	s_delay_alu instid0(SALU_CYCLE_1)
	s_mov_b32 s11, exec_lo
	v_cmpx_gt_u32_e64 s7, v81
	s_cbranch_execz .LBB2040_912
.LBB2040_961:                           ;   in Loop: Header=BB2040_894 Depth=2
	global_load_u16 v24, v2, s[8:9] offset:7168 scale_offset
	s_wait_xcnt 0x0
	s_or_b32 exec_lo, exec_lo, s11
	s_delay_alu instid0(SALU_CYCLE_1)
	s_mov_b32 s11, exec_lo
	v_cmpx_gt_u32_e64 s7, v82
	s_cbranch_execnz .LBB2040_913
	s_branch .LBB2040_914
.LBB2040_962:                           ;   in Loop: Header=BB2040_12 Depth=1
	v_mov_b32_e32 v23, 0
	s_wait_dscnt 0x0
	s_barrier_signal -1
	s_barrier_wait -1
	s_and_saveexec_b32 s7, s0
	s_cbranch_execz .LBB2040_964
; %bb.963:                              ;   in Loop: Header=BB2040_12 Depth=1
	ds_load_2addr_b64 v[24:27], v85 offset1:1
	s_wait_dscnt 0x0
	v_add_nc_u32_e32 v23, v25, v24
	s_delay_alu instid0(VALU_DEP_1)
	v_add3_u32 v23, v23, v26, v27
.LBB2040_964:                           ;   in Loop: Header=BB2040_12 Depth=1
	s_or_b32 exec_lo, exec_lo, s7
	s_delay_alu instid0(VALU_DEP_1)
	v_mov_b32_dpp v24, v23 row_shr:1 row_mask:0xf bank_mask:0xf
	v_cmp_eq_u32_e64 s7, 0, v97
	v_cmp_lt_u32_e64 s8, 1, v97
	v_cmp_lt_u32_e64 s9, 3, v97
	;; [unrolled: 1-line block ×3, first 2 shown]
	v_cmp_eq_u32_e64 s11, 0, v99
	v_cndmask_b32_e64 v24, v24, 0, s7
	s_delay_alu instid0(VALU_DEP_1) | instskip(NEXT) | instid1(VALU_DEP_1)
	v_add_nc_u32_e32 v23, v24, v23
	v_mov_b32_dpp v24, v23 row_shr:2 row_mask:0xf bank_mask:0xf
	s_delay_alu instid0(VALU_DEP_1) | instskip(NEXT) | instid1(VALU_DEP_1)
	v_cndmask_b32_e64 v24, 0, v24, s8
	v_add_nc_u32_e32 v23, v23, v24
	s_delay_alu instid0(VALU_DEP_1) | instskip(NEXT) | instid1(VALU_DEP_1)
	v_mov_b32_dpp v24, v23 row_shr:4 row_mask:0xf bank_mask:0xf
	v_cndmask_b32_e64 v24, 0, v24, s9
	s_delay_alu instid0(VALU_DEP_1) | instskip(NEXT) | instid1(VALU_DEP_1)
	v_add_nc_u32_e32 v23, v23, v24
	v_mov_b32_dpp v24, v23 row_shr:8 row_mask:0xf bank_mask:0xf
	s_delay_alu instid0(VALU_DEP_1) | instskip(NEXT) | instid1(VALU_DEP_1)
	v_cndmask_b32_e64 v24, 0, v24, s10
	v_add_nc_u32_e32 v23, v23, v24
	ds_swizzle_b32 v24, v23 offset:swizzle(BROADCAST,32,15)
	s_wait_dscnt 0x0
	v_and_b32_e32 v24, v98, v24
	s_delay_alu instid0(VALU_DEP_1)
	v_add_nc_u32_e32 v23, v23, v24
	s_and_saveexec_b32 s12, s1
; %bb.965:                              ;   in Loop: Header=BB2040_12 Depth=1
	ds_store_b32 v86, v23
; %bb.966:                              ;   in Loop: Header=BB2040_12 Depth=1
	s_or_b32 exec_lo, exec_lo, s12
	s_wait_dscnt 0x0
	s_barrier_signal -1
	s_barrier_wait -1
	s_and_saveexec_b32 s12, s4
	s_cbranch_execz .LBB2040_968
; %bb.967:                              ;   in Loop: Header=BB2040_12 Depth=1
	ds_load_b32 v24, v87
	v_cmp_ne_u32_e32 vcc_lo, 0, v101
	s_wait_dscnt 0x0
	v_mov_b32_dpp v25, v24 row_shr:1 row_mask:0xf bank_mask:0xf
	s_delay_alu instid0(VALU_DEP_1) | instskip(SKIP_1) | instid1(VALU_DEP_2)
	v_cndmask_b32_e32 v25, 0, v25, vcc_lo
	v_cmp_lt_u32_e32 vcc_lo, 1, v101
	v_add_nc_u32_e32 v24, v25, v24
	s_delay_alu instid0(VALU_DEP_1) | instskip(NEXT) | instid1(VALU_DEP_1)
	v_mov_b32_dpp v25, v24 row_shr:2 row_mask:0xf bank_mask:0xf
	v_cndmask_b32_e32 v25, 0, v25, vcc_lo
	v_cmp_lt_u32_e32 vcc_lo, 3, v101
	s_delay_alu instid0(VALU_DEP_2) | instskip(NEXT) | instid1(VALU_DEP_1)
	v_add_nc_u32_e32 v24, v24, v25
	v_mov_b32_dpp v25, v24 row_shr:4 row_mask:0xf bank_mask:0xf
	s_delay_alu instid0(VALU_DEP_1) | instskip(NEXT) | instid1(VALU_DEP_1)
	v_cndmask_b32_e32 v25, 0, v25, vcc_lo
	v_add_nc_u32_e32 v24, v24, v25
	ds_store_b32 v87, v24
.LBB2040_968:                           ;   in Loop: Header=BB2040_12 Depth=1
	s_or_b32 exec_lo, exec_lo, s12
	v_mov_b32_e32 v24, 0
	s_wait_dscnt 0x0
	s_barrier_signal -1
	s_barrier_wait -1
	s_and_saveexec_b32 s12, s5
; %bb.969:                              ;   in Loop: Header=BB2040_12 Depth=1
	ds_load_b32 v24, v88
; %bb.970:                              ;   in Loop: Header=BB2040_12 Depth=1
	s_or_b32 exec_lo, exec_lo, s12
	v_cmp_gt_i32_e32 vcc_lo, 0, v102
	s_wait_dscnt 0x0
	s_barrier_signal -1
	s_barrier_wait -1
	v_cndmask_b32_e32 v25, v102, v95, vcc_lo
	s_delay_alu instid0(VALU_DEP_1)
	v_dual_add_nc_u32 v23, v24, v23 :: v_dual_lshlrev_b32 v122, 2, v25
	ds_bpermute_b32 v23, v122, v23
	s_and_saveexec_b32 s12, s0
	s_cbranch_execz .LBB2040_972
; %bb.971:                              ;   in Loop: Header=BB2040_12 Depth=1
	s_wait_dscnt 0x0
	v_cndmask_b32_e64 v23, v23, v24, s6
	s_delay_alu instid0(VALU_DEP_1)
	v_add_nc_u32_e32 v23, s54, v23
	ds_store_b32 v3, v23
.LBB2040_972:                           ;   in Loop: Header=BB2040_12 Depth=1
	s_or_b32 exec_lo, exec_lo, s12
	s_load_b64 s[12:13], s[34:35], 0x0
	s_mov_b32 s53, s56
                                        ; implicit-def: $vgpr30_vgpr31
                                        ; implicit-def: $vgpr32_vgpr33
                                        ; implicit-def: $vgpr34_vgpr35
                                        ; implicit-def: $vgpr36_vgpr37
                                        ; implicit-def: $vgpr38_vgpr39
                                        ; implicit-def: $vgpr40_vgpr41
                                        ; implicit-def: $vgpr42_vgpr43
                                        ; implicit-def: $vgpr44_vgpr45
                                        ; implicit-def: $vgpr46_vgpr47
                                        ; implicit-def: $vgpr48_vgpr49
                                        ; implicit-def: $vgpr50_vgpr51
                                        ; implicit-def: $vgpr52_vgpr53
                                        ; implicit-def: $vgpr54_vgpr55
                                        ; implicit-def: $vgpr56_vgpr57
                                        ; implicit-def: $vgpr58_vgpr59
                                        ; implicit-def: $vgpr123
                                        ; implicit-def: $vgpr124
                                        ; implicit-def: $vgpr125
                                        ; implicit-def: $vgpr126
                                        ; implicit-def: $vgpr127
                                        ; implicit-def: $vgpr128
                                        ; implicit-def: $vgpr129
                                        ; implicit-def: $vgpr130
                                        ; implicit-def: $vgpr131
                                        ; implicit-def: $vgpr132
                                        ; implicit-def: $vgpr133
                                        ; implicit-def: $vgpr134
                                        ; implicit-def: $vgpr135
                                        ; implicit-def: $vgpr136
                                        ; implicit-def: $vgpr137
                                        ; implicit-def: $vgpr138
	s_wait_kmcnt 0x0
	s_cmp_lt_u32 s33, s12
	s_cselect_b32 s42, 12, 18
	s_cmp_lt_u32 s31, s13
	s_mov_b32 s13, s43
	s_cselect_b32 s12, 14, 20
	s_delay_alu instid0(SALU_CYCLE_1)
	s_add_nc_u64 s[12:13], s[34:35], s[12:13]
	s_load_u16 s14, s[12:13], 0x0
	s_wait_xcnt 0x0
	s_add_nc_u64 s[12:13], s[34:35], s[42:43]
	s_mov_b32 s42, s54
	s_load_u16 s12, s[12:13], 0x0
	s_wait_xcnt 0x0
	v_cmp_lt_u32_e64 s13, 1, v101
	s_wait_dscnt 0x0
	s_wait_kmcnt 0x0
	v_mad_u32_u24 v23, v89, s14, v90
	v_cmp_lt_u32_e64 s14, 3, v101
	s_delay_alu instid0(VALU_DEP_2) | instskip(SKIP_2) | instid1(VALU_DEP_3)
	v_mad_u32 v24, v23, s12, v2
	v_mov_b32_e32 v23, v5
	v_cmp_eq_u32_e64 s12, 0, v101
	v_lshrrev_b32_e32 v28, 3, v24
	v_add_nc_u64_e32 v[24:25], v[18:19], v[4:5]
	s_delay_alu instid0(VALU_DEP_4) | instskip(NEXT) | instid1(VALU_DEP_3)
	v_add_nc_u64_e32 v[26:27], v[20:21], v[22:23]
	v_and_b32_e32 v23, 0x1ffffffc, v28
                                        ; implicit-def: $vgpr28_vgpr29
	s_branch .LBB2040_974
.LBB2040_973:                           ;   in Loop: Header=BB2040_974 Depth=2
	s_or_b32 exec_lo, exec_lo, s15
	s_addk_co_i32 s53, 0xf000
	s_cmp_lt_u32 s57, s51
	s_mov_b32 s42, s57
	s_cbranch_scc0 .LBB2040_10
.LBB2040_974:                           ;   Parent Loop BB2040_12 Depth=1
                                        ; =>  This Inner Loop Header: Depth=2
	s_add_co_i32 s57, s42, 0x1000
	s_delay_alu instid0(SALU_CYCLE_1)
	s_cmp_gt_u32 s57, s51
	s_cbranch_scc1 .LBB2040_976
; %bb.975:                              ;   in Loop: Header=BB2040_974 Depth=2
	s_delay_alu instid0(VALU_DEP_2)
	v_lshl_add_u64 v[60:61], s[42:43], 1, v[26:27]
	s_mov_b32 s15, -1
	s_clause 0xe
	global_load_u16 v140, v[60:61], off
	global_load_u16 v141, v[60:61], off offset:64
	global_load_u16 v144, v[60:61], off offset:128
	;; [unrolled: 1-line block ×14, first 2 shown]
	s_movk_i32 s16, 0x1000
	s_cbranch_execz .LBB2040_977
	s_branch .LBB2040_1008
.LBB2040_976:                           ;   in Loop: Header=BB2040_974 Depth=2
	s_mov_b32 s15, 0
                                        ; implicit-def: $vgpr140
                                        ; implicit-def: $vgpr141
                                        ; implicit-def: $vgpr144
                                        ; implicit-def: $vgpr148
                                        ; implicit-def: $vgpr152
                                        ; implicit-def: $vgpr156
                                        ; implicit-def: $vgpr160
                                        ; implicit-def: $vgpr164
                                        ; implicit-def: $vgpr168
                                        ; implicit-def: $vgpr67
                                        ; implicit-def: $vgpr66
                                        ; implicit-def: $vgpr65
                                        ; implicit-def: $vgpr64
                                        ; implicit-def: $vgpr63
                                        ; implicit-def: $vgpr62
	s_movk_i32 s16, 0x1000
.LBB2040_977:                           ;   in Loop: Header=BB2040_974 Depth=2
	s_wait_xcnt 0x0
	v_lshl_add_u64 v[60:61], s[42:43], 1, v[26:27]
	s_wait_loadcnt 0xd
	v_dual_mov_b32 v141, 0x7fff :: v_dual_mov_b32 v140, 0x7fff
	s_mov_b32 s15, exec_lo
	v_cmpx_gt_u32_e64 s53, v100
	s_cbranch_execz .LBB2040_979
; %bb.978:                              ;   in Loop: Header=BB2040_974 Depth=2
	global_load_u16 v140, v[60:61], off
.LBB2040_979:                           ;   in Loop: Header=BB2040_974 Depth=2
	s_wait_xcnt 0x0
	s_or_b32 exec_lo, exec_lo, s15
	s_delay_alu instid0(SALU_CYCLE_1)
	s_mov_b32 s15, exec_lo
	v_cmpx_gt_u32_e64 s53, v103
	s_cbranch_execz .LBB2040_981
; %bb.980:                              ;   in Loop: Header=BB2040_974 Depth=2
	global_load_u16 v141, v[60:61], off offset:64
.LBB2040_981:                           ;   in Loop: Header=BB2040_974 Depth=2
	s_wait_xcnt 0x0
	s_or_b32 exec_lo, exec_lo, s15
	s_wait_loadcnt 0xb
	v_mov_b32_e32 v148, 0x7fff
	v_mov_b32_e32 v144, 0x7fff
	s_mov_b32 s15, exec_lo
	v_cmpx_gt_u32_e64 s53, v104
	s_cbranch_execz .LBB2040_983
; %bb.982:                              ;   in Loop: Header=BB2040_974 Depth=2
	global_load_u16 v144, v[60:61], off offset:128
.LBB2040_983:                           ;   in Loop: Header=BB2040_974 Depth=2
	s_wait_xcnt 0x0
	s_or_b32 exec_lo, exec_lo, s15
	s_delay_alu instid0(SALU_CYCLE_1)
	s_mov_b32 s15, exec_lo
	v_cmpx_gt_u32_e64 s53, v105
	s_cbranch_execz .LBB2040_985
; %bb.984:                              ;   in Loop: Header=BB2040_974 Depth=2
	global_load_u16 v148, v[60:61], off offset:192
.LBB2040_985:                           ;   in Loop: Header=BB2040_974 Depth=2
	s_wait_xcnt 0x0
	s_or_b32 exec_lo, exec_lo, s15
	s_wait_loadcnt 0x9
	v_mov_b32_e32 v156, 0x7fff
	v_mov_b32_e32 v152, 0x7fff
	s_mov_b32 s15, exec_lo
	v_cmpx_gt_u32_e64 s53, v106
	s_cbranch_execz .LBB2040_987
; %bb.986:                              ;   in Loop: Header=BB2040_974 Depth=2
	global_load_u16 v152, v[60:61], off offset:256
.LBB2040_987:                           ;   in Loop: Header=BB2040_974 Depth=2
	;; [unrolled: 20-line block ×3, first 2 shown]
	s_wait_xcnt 0x0
	s_or_b32 exec_lo, exec_lo, s15
	s_delay_alu instid0(SALU_CYCLE_1)
	s_mov_b32 s15, exec_lo
	v_cmpx_gt_u32_e64 s53, v109
	s_cbranch_execz .LBB2040_993
; %bb.992:                              ;   in Loop: Header=BB2040_974 Depth=2
	global_load_u16 v164, v[60:61], off offset:448
.LBB2040_993:                           ;   in Loop: Header=BB2040_974 Depth=2
	s_wait_xcnt 0x0
	s_or_b32 exec_lo, exec_lo, s15
	s_wait_loadcnt 0x5
	v_dual_mov_b32 v67, 0x7fff :: v_dual_mov_b32 v168, 0x7fff
	s_mov_b32 s15, exec_lo
	v_cmpx_gt_u32_e64 s53, v110
	s_cbranch_execz .LBB2040_995
; %bb.994:                              ;   in Loop: Header=BB2040_974 Depth=2
	global_load_u16 v168, v[60:61], off offset:512
.LBB2040_995:                           ;   in Loop: Header=BB2040_974 Depth=2
	s_wait_xcnt 0x0
	s_or_b32 exec_lo, exec_lo, s15
	s_delay_alu instid0(SALU_CYCLE_1)
	s_mov_b32 s15, exec_lo
	v_cmpx_gt_u32_e64 s53, v111
	s_cbranch_execz .LBB2040_997
; %bb.996:                              ;   in Loop: Header=BB2040_974 Depth=2
	global_load_u16 v67, v[60:61], off offset:576
.LBB2040_997:                           ;   in Loop: Header=BB2040_974 Depth=2
	s_wait_xcnt 0x0
	s_or_b32 exec_lo, exec_lo, s15
	s_wait_loadcnt 0x3
	v_dual_mov_b32 v65, 0x7fff :: v_dual_mov_b32 v66, 0x7fff
	s_mov_b32 s15, exec_lo
	v_cmpx_gt_u32_e64 s53, v112
	s_cbranch_execz .LBB2040_999
; %bb.998:                              ;   in Loop: Header=BB2040_974 Depth=2
	global_load_u16 v66, v[60:61], off offset:640
.LBB2040_999:                           ;   in Loop: Header=BB2040_974 Depth=2
	s_wait_xcnt 0x0
	s_or_b32 exec_lo, exec_lo, s15
	s_delay_alu instid0(SALU_CYCLE_1)
	s_mov_b32 s15, exec_lo
	v_cmpx_gt_u32_e64 s53, v113
	s_cbranch_execz .LBB2040_1001
; %bb.1000:                             ;   in Loop: Header=BB2040_974 Depth=2
	global_load_u16 v65, v[60:61], off offset:704
.LBB2040_1001:                          ;   in Loop: Header=BB2040_974 Depth=2
	s_wait_xcnt 0x0
	s_or_b32 exec_lo, exec_lo, s15
	s_wait_loadcnt 0x1
	v_dual_mov_b32 v63, 0x7fff :: v_dual_mov_b32 v64, 0x7fff
	s_mov_b32 s15, exec_lo
	v_cmpx_gt_u32_e64 s53, v114
	s_cbranch_execz .LBB2040_1003
; %bb.1002:                             ;   in Loop: Header=BB2040_974 Depth=2
	global_load_u16 v64, v[60:61], off offset:768
.LBB2040_1003:                          ;   in Loop: Header=BB2040_974 Depth=2
	s_wait_xcnt 0x0
	s_or_b32 exec_lo, exec_lo, s15
	s_delay_alu instid0(SALU_CYCLE_1)
	s_mov_b32 s15, exec_lo
	v_cmpx_gt_u32_e64 s53, v115
	s_cbranch_execz .LBB2040_1005
; %bb.1004:                             ;   in Loop: Header=BB2040_974 Depth=2
	global_load_u16 v63, v[60:61], off offset:832
.LBB2040_1005:                          ;   in Loop: Header=BB2040_974 Depth=2
	s_wait_xcnt 0x0
	s_or_b32 exec_lo, exec_lo, s15
	s_wait_loadcnt 0x0
	v_mov_b32_e32 v62, 0x7fff
	s_mov_b32 s15, exec_lo
	v_cmpx_gt_u32_e64 s53, v116
	s_cbranch_execz .LBB2040_1007
; %bb.1006:                             ;   in Loop: Header=BB2040_974 Depth=2
	global_load_u16 v62, v[60:61], off offset:896
.LBB2040_1007:                          ;   in Loop: Header=BB2040_974 Depth=2
	s_wait_xcnt 0x0
	s_or_b32 exec_lo, exec_lo, s15
	v_cmp_gt_u32_e64 s15, s53, v117
	s_sub_co_i32 s16, s51, s42
.LBB2040_1008:                          ;   in Loop: Header=BB2040_974 Depth=2
	s_wait_xcnt 0x0
	v_dual_mov_b32 v60, 0x7fff :: v_dual_mov_b32 v139, s53
	s_and_saveexec_b32 s17, s15
	s_cbranch_execz .LBB2040_1010
; %bb.1009:                             ;   in Loop: Header=BB2040_974 Depth=2
	v_lshl_add_u64 v[60:61], s[42:43], 1, v[26:27]
	v_mov_b32_e32 v139, s16
	global_load_u16 v60, v[60:61], off offset:960
.LBB2040_1010:                          ;   in Loop: Header=BB2040_974 Depth=2
	s_wait_xcnt 0x0
	s_or_b32 exec_lo, exec_lo, s17
	s_wait_loadcnt 0xe
	v_cmp_lt_i16_e64 vcc_lo, -1, v140
	ds_store_2addr_b32 v121, v5, v5 offset1:1
	ds_store_2addr_b32 v118, v5, v5 offset1:1
	;; [unrolled: 1-line block ×4, first 2 shown]
	ds_store_b32 v91, v5 offset:1088
	s_wait_loadcnt_dscnt 0x0
	s_barrier_signal -1
	v_cndmask_b32_e64 v61, -1, 0xffff8000, vcc_lo
	s_barrier_wait -1
	; wave barrier
	s_delay_alu instid0(VALU_DEP_1) | instskip(NEXT) | instid1(VALU_DEP_1)
	v_xor_b32_e32 v140, v61, v140
	v_cmp_ne_u16_e64 vcc_lo, 0x7fff, v140
	v_cndmask_b32_e32 v61, 0xffff8000, v140, vcc_lo
	s_delay_alu instid0(VALU_DEP_1) | instskip(NEXT) | instid1(VALU_DEP_1)
	v_and_b32_e32 v61, 0xffff, v61
	v_lshrrev_b32_e32 v61, s49, v61
	s_delay_alu instid0(VALU_DEP_1) | instskip(SKIP_1) | instid1(VALU_DEP_2)
	v_bitop3_b32 v142, v61, 1, s52 bitop3:0x80
	v_and_b32_e32 v143, s52, v61
	v_add_co_u32 v61, s15, v142, -1
	s_delay_alu instid0(VALU_DEP_1) | instskip(NEXT) | instid1(VALU_DEP_3)
	v_cndmask_b32_e64 v142, 0, 1, s15
	v_lshlrev_b32_e32 v145, 30, v143
	s_delay_alu instid0(VALU_DEP_2) | instskip(NEXT) | instid1(VALU_DEP_2)
	v_cmp_ne_u32_e32 vcc_lo, 0, v142
	v_not_b32_e32 v142, v145
	s_delay_alu instid0(VALU_DEP_1) | instskip(SKIP_3) | instid1(VALU_DEP_4)
	v_dual_ashrrev_i32 v142, 31, v142 :: v_dual_lshlrev_b32 v146, 29, v143
	v_dual_lshlrev_b32 v147, 28, v143 :: v_dual_lshlrev_b32 v149, 27, v143
	v_lshlrev_b32_e32 v150, 26, v143
	v_cmp_gt_i32_e64 s15, 0, v145
	v_cmp_gt_i32_e64 s16, 0, v146
	v_not_b32_e32 v145, v146
	v_not_b32_e32 v146, v147
	v_dual_lshlrev_b32 v151, 25, v143 :: v_dual_lshlrev_b32 v153, 24, v143
	v_cmp_gt_i32_e64 s17, 0, v147
	v_cmp_gt_i32_e64 s18, 0, v149
	v_not_b32_e32 v147, v149
	v_not_b32_e32 v149, v150
	v_dual_ashrrev_i32 v146, 31, v146 :: v_dual_bitop2_b32 v61, vcc_lo, v61 bitop3:0x14
	v_dual_ashrrev_i32 v145, 31, v145 :: v_dual_bitop2_b32 v142, s15, v142 bitop3:0x14
	v_cmp_gt_i32_e64 s19, 0, v150
	v_cmp_gt_i32_e64 s20, 0, v151
	v_not_b32_e32 v150, v151
	v_not_b32_e32 v151, v153
	v_dual_ashrrev_i32 v147, 31, v147 :: v_dual_ashrrev_i32 v149, 31, v149
	v_xor_b32_e32 v145, s16, v145
	v_xor_b32_e32 v146, s17, v146
	v_bitop3_b32 v61, v61, v142, exec_lo bitop3:0x80
	v_cmp_gt_i32_e64 s21, 0, v153
	v_dual_ashrrev_i32 v142, 31, v150 :: v_dual_ashrrev_i32 v150, 31, v151
	v_xor_b32_e32 v147, s18, v147
	s_delay_alu instid0(VALU_DEP_4) | instskip(SKIP_3) | instid1(VALU_DEP_3)
	v_bitop3_b32 v61, v61, v146, v145 bitop3:0x80
	v_mul_u32_u24_e32 v143, 36, v143
	v_xor_b32_e32 v149, s19, v149
	v_xor_b32_e32 v142, s20, v142
	v_dual_add_nc_u32 v143, v23, v143 :: v_dual_bitop2_b32 v145, s21, v150 bitop3:0x14
	s_delay_alu instid0(VALU_DEP_3) | instskip(NEXT) | instid1(VALU_DEP_1)
	v_bitop3_b32 v61, v61, v149, v147 bitop3:0x80
	v_bitop3_b32 v61, v61, v145, v142 bitop3:0x80
	s_delay_alu instid0(VALU_DEP_1) | instskip(SKIP_1) | instid1(VALU_DEP_2)
	v_mbcnt_lo_u32_b32 v142, v61, 0
	v_cmp_ne_u32_e64 s15, 0, v61
	v_cmp_eq_u32_e32 vcc_lo, 0, v142
	s_and_b32 s16, s15, vcc_lo
	s_delay_alu instid0(SALU_CYCLE_1)
	s_and_saveexec_b32 s15, s16
; %bb.1011:                             ;   in Loop: Header=BB2040_974 Depth=2
	v_bcnt_u32_b32 v61, v61, 0
	ds_store_b32 v143, v61 offset:1056
; %bb.1012:                             ;   in Loop: Header=BB2040_974 Depth=2
	s_or_b32 exec_lo, exec_lo, s15
	v_cmp_lt_i16_e64 vcc_lo, -1, v141
	; wave barrier
	s_delay_alu instid0(VALU_DEP_1) | instskip(NEXT) | instid1(VALU_DEP_1)
	v_cndmask_b32_e64 v61, -1, 0xffff8000, vcc_lo
	v_xor_b32_e32 v141, v61, v141
	s_delay_alu instid0(VALU_DEP_1) | instskip(SKIP_1) | instid1(VALU_DEP_1)
	v_cmp_ne_u16_e64 vcc_lo, 0x7fff, v141
	v_cndmask_b32_e32 v61, 0xffff8000, v141, vcc_lo
	v_and_b32_e32 v61, 0xffff, v61
	s_delay_alu instid0(VALU_DEP_1) | instskip(NEXT) | instid1(VALU_DEP_1)
	v_lshrrev_b32_e32 v61, s49, v61
	v_and_b32_e32 v147, s52, v61
	s_delay_alu instid0(VALU_DEP_1) | instskip(SKIP_2) | instid1(VALU_DEP_3)
	v_lshlrev_b32_e32 v149, 29, v147
	v_bitop3_b32 v145, v61, 1, s52 bitop3:0x80
	v_lshlrev_b32_e32 v146, 30, v147
	v_cmp_gt_i32_e64 s16, 0, v149
	s_delay_alu instid0(VALU_DEP_3) | instskip(NEXT) | instid1(VALU_DEP_1)
	v_add_co_u32 v61, s15, v145, -1
	v_cndmask_b32_e64 v145, 0, 1, s15
	s_delay_alu instid0(VALU_DEP_4) | instskip(NEXT) | instid1(VALU_DEP_2)
	v_cmp_gt_i32_e64 s15, 0, v146
	v_cmp_ne_u32_e32 vcc_lo, 0, v145
	v_not_b32_e32 v145, v146
	v_not_b32_e32 v146, v149
	s_delay_alu instid0(VALU_DEP_1) | instskip(SKIP_2) | instid1(VALU_DEP_3)
	v_dual_ashrrev_i32 v146, 31, v146 :: v_dual_lshlrev_b32 v150, 28, v147
	v_dual_lshlrev_b32 v151, 27, v147 :: v_dual_lshlrev_b32 v153, 26, v147
	v_dual_lshlrev_b32 v154, 25, v147 :: v_dual_lshlrev_b32 v155, 24, v147
	v_cmp_gt_i32_e64 s17, 0, v150
	v_not_b32_e32 v149, v150
	s_delay_alu instid0(VALU_DEP_4)
	v_not_b32_e32 v150, v151
	v_ashrrev_i32_e32 v145, 31, v145
	v_cmp_gt_i32_e64 s18, 0, v151
	v_cmp_gt_i32_e64 s19, 0, v153
	v_not_b32_e32 v151, v153
	v_cmp_gt_i32_e64 s20, 0, v154
	v_not_b32_e32 v153, v154
	v_not_b32_e32 v154, v155
	s_delay_alu instid0(VALU_DEP_4) | instskip(SKIP_3) | instid1(VALU_DEP_3)
	v_dual_ashrrev_i32 v151, 31, v151 :: v_dual_bitop2_b32 v61, vcc_lo, v61 bitop3:0x14
	v_dual_ashrrev_i32 v149, 31, v149 :: v_dual_bitop2_b32 v146, s16, v146 bitop3:0x14
	v_dual_ashrrev_i32 v150, 31, v150 :: v_dual_bitop2_b32 v145, s15, v145 bitop3:0x14
	v_cmp_gt_i32_e64 s21, 0, v155
	v_xor_b32_e32 v149, s17, v149
	v_xor_b32_e32 v151, s19, v151
	s_delay_alu instid0(VALU_DEP_4) | instskip(SKIP_2) | instid1(VALU_DEP_2)
	v_xor_b32_e32 v150, s18, v150
	v_bitop3_b32 v61, v61, v145, exec_lo bitop3:0x80
	v_dual_ashrrev_i32 v145, 31, v153 :: v_dual_ashrrev_i32 v153, 31, v154
	v_bitop3_b32 v61, v61, v149, v146 bitop3:0x80
	v_mad_u32_u24 v146, v147, 36, v23
	s_delay_alu instid0(VALU_DEP_3) | instskip(NEXT) | instid1(VALU_DEP_4)
	v_xor_b32_e32 v149, s20, v145
	v_xor_b32_e32 v153, s21, v153
	v_mul_u32_u24_e32 v147, 36, v147
	v_bitop3_b32 v61, v61, v151, v150 bitop3:0x80
	ds_load_b32 v145, v146 offset:1056
	; wave barrier
	v_add_nc_u32_e32 v147, v23, v147
	v_bitop3_b32 v61, v61, v153, v149 bitop3:0x80
	s_delay_alu instid0(VALU_DEP_1) | instskip(SKIP_1) | instid1(VALU_DEP_2)
	v_mbcnt_lo_u32_b32 v146, v61, 0
	v_cmp_ne_u32_e64 s15, 0, v61
	v_cmp_eq_u32_e32 vcc_lo, 0, v146
	s_and_b32 s16, s15, vcc_lo
	s_delay_alu instid0(SALU_CYCLE_1)
	s_and_saveexec_b32 s15, s16
	s_cbranch_execz .LBB2040_1014
; %bb.1013:                             ;   in Loop: Header=BB2040_974 Depth=2
	s_wait_dscnt 0x0
	v_bcnt_u32_b32 v61, v61, v145
	ds_store_b32 v147, v61 offset:1056
.LBB2040_1014:                          ;   in Loop: Header=BB2040_974 Depth=2
	s_or_b32 exec_lo, exec_lo, s15
	v_cmp_lt_i16_e64 vcc_lo, -1, v144
	; wave barrier
	s_delay_alu instid0(VALU_DEP_1) | instskip(NEXT) | instid1(VALU_DEP_1)
	v_cndmask_b32_e64 v61, -1, 0xffff8000, vcc_lo
	v_xor_b32_e32 v144, v61, v144
	s_delay_alu instid0(VALU_DEP_1) | instskip(SKIP_1) | instid1(VALU_DEP_1)
	v_cmp_ne_u16_e64 vcc_lo, 0x7fff, v144
	v_cndmask_b32_e32 v61, 0xffff8000, v144, vcc_lo
	v_and_b32_e32 v61, 0xffff, v61
	s_delay_alu instid0(VALU_DEP_1) | instskip(NEXT) | instid1(VALU_DEP_1)
	v_lshrrev_b32_e32 v61, s49, v61
	v_bitop3_b32 v149, v61, 1, s52 bitop3:0x80
	v_and_b32_e32 v151, s52, v61
	s_delay_alu instid0(VALU_DEP_2) | instskip(NEXT) | instid1(VALU_DEP_1)
	v_add_co_u32 v61, s15, v149, -1
	v_cndmask_b32_e64 v149, 0, 1, s15
	s_delay_alu instid0(VALU_DEP_3) | instskip(NEXT) | instid1(VALU_DEP_2)
	v_dual_lshlrev_b32 v150, 30, v151 :: v_dual_lshlrev_b32 v153, 29, v151
	v_cmp_ne_u32_e32 vcc_lo, 0, v149
	s_delay_alu instid0(VALU_DEP_2) | instskip(SKIP_1) | instid1(VALU_DEP_4)
	v_cmp_gt_i32_e64 s15, 0, v150
	v_not_b32_e32 v149, v150
	v_not_b32_e32 v150, v153
	s_delay_alu instid0(VALU_DEP_1) | instskip(SKIP_3) | instid1(VALU_DEP_4)
	v_dual_ashrrev_i32 v150, 31, v150 :: v_dual_lshlrev_b32 v154, 28, v151
	v_dual_lshlrev_b32 v155, 27, v151 :: v_dual_lshlrev_b32 v157, 26, v151
	v_dual_lshlrev_b32 v158, 25, v151 :: v_dual_lshlrev_b32 v159, 24, v151
	v_cmp_gt_i32_e64 s16, 0, v153
	v_cmp_gt_i32_e64 s17, 0, v154
	v_not_b32_e32 v153, v154
	v_not_b32_e32 v154, v155
	v_ashrrev_i32_e32 v149, 31, v149
	v_cmp_gt_i32_e64 s18, 0, v155
	v_cmp_gt_i32_e64 s19, 0, v157
	v_not_b32_e32 v155, v157
	v_cmp_gt_i32_e64 s20, 0, v158
	v_not_b32_e32 v157, v158
	v_not_b32_e32 v158, v159
	s_delay_alu instid0(VALU_DEP_4) | instskip(SKIP_3) | instid1(VALU_DEP_3)
	v_dual_ashrrev_i32 v155, 31, v155 :: v_dual_bitop2_b32 v61, vcc_lo, v61 bitop3:0x14
	v_dual_ashrrev_i32 v153, 31, v153 :: v_dual_bitop2_b32 v150, s16, v150 bitop3:0x14
	v_dual_ashrrev_i32 v154, 31, v154 :: v_dual_bitop2_b32 v149, s15, v149 bitop3:0x14
	v_cmp_gt_i32_e64 s21, 0, v159
	v_xor_b32_e32 v153, s17, v153
	v_xor_b32_e32 v155, s19, v155
	s_delay_alu instid0(VALU_DEP_4) | instskip(SKIP_2) | instid1(VALU_DEP_2)
	v_xor_b32_e32 v154, s18, v154
	v_bitop3_b32 v61, v61, v149, exec_lo bitop3:0x80
	v_dual_ashrrev_i32 v149, 31, v157 :: v_dual_ashrrev_i32 v157, 31, v158
	v_bitop3_b32 v61, v61, v153, v150 bitop3:0x80
	v_mad_u32_u24 v150, v151, 36, v23
	s_delay_alu instid0(VALU_DEP_3) | instskip(NEXT) | instid1(VALU_DEP_4)
	v_xor_b32_e32 v153, s20, v149
	v_xor_b32_e32 v157, s21, v157
	v_mul_u32_u24_e32 v151, 36, v151
	v_bitop3_b32 v61, v61, v155, v154 bitop3:0x80
	ds_load_b32 v149, v150 offset:1056
	; wave barrier
	v_add_nc_u32_e32 v151, v23, v151
	v_bitop3_b32 v61, v61, v157, v153 bitop3:0x80
	s_delay_alu instid0(VALU_DEP_1) | instskip(SKIP_1) | instid1(VALU_DEP_2)
	v_mbcnt_lo_u32_b32 v150, v61, 0
	v_cmp_ne_u32_e64 s15, 0, v61
	v_cmp_eq_u32_e32 vcc_lo, 0, v150
	s_and_b32 s16, s15, vcc_lo
	s_delay_alu instid0(SALU_CYCLE_1)
	s_and_saveexec_b32 s15, s16
	s_cbranch_execz .LBB2040_1016
; %bb.1015:                             ;   in Loop: Header=BB2040_974 Depth=2
	s_wait_dscnt 0x0
	v_bcnt_u32_b32 v61, v61, v149
	ds_store_b32 v151, v61 offset:1056
.LBB2040_1016:                          ;   in Loop: Header=BB2040_974 Depth=2
	s_or_b32 exec_lo, exec_lo, s15
	v_cmp_lt_i16_e64 vcc_lo, -1, v148
	; wave barrier
	s_delay_alu instid0(VALU_DEP_1) | instskip(NEXT) | instid1(VALU_DEP_1)
	v_cndmask_b32_e64 v61, -1, 0xffff8000, vcc_lo
	v_xor_b32_e32 v148, v61, v148
	s_delay_alu instid0(VALU_DEP_1) | instskip(SKIP_1) | instid1(VALU_DEP_1)
	v_cmp_ne_u16_e64 vcc_lo, 0x7fff, v148
	v_cndmask_b32_e32 v61, 0xffff8000, v148, vcc_lo
	v_and_b32_e32 v61, 0xffff, v61
	s_delay_alu instid0(VALU_DEP_1) | instskip(NEXT) | instid1(VALU_DEP_1)
	v_lshrrev_b32_e32 v61, s49, v61
	v_bitop3_b32 v153, v61, 1, s52 bitop3:0x80
	v_and_b32_e32 v155, s52, v61
	s_delay_alu instid0(VALU_DEP_2) | instskip(NEXT) | instid1(VALU_DEP_1)
	v_add_co_u32 v61, s15, v153, -1
	v_cndmask_b32_e64 v153, 0, 1, s15
	s_delay_alu instid0(VALU_DEP_3) | instskip(NEXT) | instid1(VALU_DEP_2)
	v_dual_lshlrev_b32 v154, 30, v155 :: v_dual_lshlrev_b32 v157, 29, v155
	v_cmp_ne_u32_e32 vcc_lo, 0, v153
	s_delay_alu instid0(VALU_DEP_2) | instskip(SKIP_1) | instid1(VALU_DEP_4)
	v_cmp_gt_i32_e64 s15, 0, v154
	v_not_b32_e32 v153, v154
	v_not_b32_e32 v154, v157
	s_delay_alu instid0(VALU_DEP_1) | instskip(SKIP_3) | instid1(VALU_DEP_4)
	v_dual_ashrrev_i32 v154, 31, v154 :: v_dual_lshlrev_b32 v158, 28, v155
	v_dual_lshlrev_b32 v159, 27, v155 :: v_dual_lshlrev_b32 v161, 26, v155
	v_dual_lshlrev_b32 v162, 25, v155 :: v_dual_lshlrev_b32 v163, 24, v155
	v_cmp_gt_i32_e64 s16, 0, v157
	v_cmp_gt_i32_e64 s17, 0, v158
	v_not_b32_e32 v157, v158
	v_not_b32_e32 v158, v159
	v_ashrrev_i32_e32 v153, 31, v153
	v_cmp_gt_i32_e64 s18, 0, v159
	v_cmp_gt_i32_e64 s19, 0, v161
	v_not_b32_e32 v159, v161
	v_cmp_gt_i32_e64 s20, 0, v162
	v_not_b32_e32 v161, v162
	v_not_b32_e32 v162, v163
	s_delay_alu instid0(VALU_DEP_4) | instskip(SKIP_3) | instid1(VALU_DEP_3)
	v_dual_ashrrev_i32 v159, 31, v159 :: v_dual_bitop2_b32 v61, vcc_lo, v61 bitop3:0x14
	v_dual_ashrrev_i32 v157, 31, v157 :: v_dual_bitop2_b32 v154, s16, v154 bitop3:0x14
	v_dual_ashrrev_i32 v158, 31, v158 :: v_dual_bitop2_b32 v153, s15, v153 bitop3:0x14
	v_cmp_gt_i32_e64 s21, 0, v163
	v_xor_b32_e32 v157, s17, v157
	v_xor_b32_e32 v159, s19, v159
	s_delay_alu instid0(VALU_DEP_4) | instskip(SKIP_2) | instid1(VALU_DEP_2)
	v_xor_b32_e32 v158, s18, v158
	v_bitop3_b32 v61, v61, v153, exec_lo bitop3:0x80
	v_dual_ashrrev_i32 v153, 31, v161 :: v_dual_ashrrev_i32 v161, 31, v162
	v_bitop3_b32 v61, v61, v157, v154 bitop3:0x80
	v_mad_u32_u24 v154, v155, 36, v23
	s_delay_alu instid0(VALU_DEP_3) | instskip(NEXT) | instid1(VALU_DEP_4)
	v_xor_b32_e32 v157, s20, v153
	v_xor_b32_e32 v161, s21, v161
	v_mul_u32_u24_e32 v155, 36, v155
	v_bitop3_b32 v61, v61, v159, v158 bitop3:0x80
	ds_load_b32 v153, v154 offset:1056
	; wave barrier
	v_add_nc_u32_e32 v155, v23, v155
	v_bitop3_b32 v61, v61, v161, v157 bitop3:0x80
	s_delay_alu instid0(VALU_DEP_1) | instskip(SKIP_1) | instid1(VALU_DEP_2)
	v_mbcnt_lo_u32_b32 v154, v61, 0
	v_cmp_ne_u32_e64 s15, 0, v61
	v_cmp_eq_u32_e32 vcc_lo, 0, v154
	s_and_b32 s16, s15, vcc_lo
	s_delay_alu instid0(SALU_CYCLE_1)
	s_and_saveexec_b32 s15, s16
	s_cbranch_execz .LBB2040_1018
; %bb.1017:                             ;   in Loop: Header=BB2040_974 Depth=2
	s_wait_dscnt 0x0
	v_bcnt_u32_b32 v61, v61, v153
	ds_store_b32 v155, v61 offset:1056
.LBB2040_1018:                          ;   in Loop: Header=BB2040_974 Depth=2
	s_or_b32 exec_lo, exec_lo, s15
	v_cmp_lt_i16_e64 vcc_lo, -1, v152
	; wave barrier
	s_delay_alu instid0(VALU_DEP_1) | instskip(NEXT) | instid1(VALU_DEP_1)
	v_cndmask_b32_e64 v61, -1, 0xffff8000, vcc_lo
	v_xor_b32_e32 v152, v61, v152
	s_delay_alu instid0(VALU_DEP_1) | instskip(SKIP_1) | instid1(VALU_DEP_1)
	v_cmp_ne_u16_e64 vcc_lo, 0x7fff, v152
	v_cndmask_b32_e32 v61, 0xffff8000, v152, vcc_lo
	v_and_b32_e32 v61, 0xffff, v61
	s_delay_alu instid0(VALU_DEP_1) | instskip(NEXT) | instid1(VALU_DEP_1)
	v_lshrrev_b32_e32 v61, s49, v61
	v_bitop3_b32 v157, v61, 1, s52 bitop3:0x80
	v_and_b32_e32 v159, s52, v61
	s_delay_alu instid0(VALU_DEP_2) | instskip(NEXT) | instid1(VALU_DEP_1)
	v_add_co_u32 v61, s15, v157, -1
	v_cndmask_b32_e64 v157, 0, 1, s15
	s_delay_alu instid0(VALU_DEP_3) | instskip(NEXT) | instid1(VALU_DEP_2)
	v_dual_lshlrev_b32 v158, 30, v159 :: v_dual_lshlrev_b32 v161, 29, v159
	v_cmp_ne_u32_e32 vcc_lo, 0, v157
	s_delay_alu instid0(VALU_DEP_2) | instskip(SKIP_1) | instid1(VALU_DEP_4)
	v_cmp_gt_i32_e64 s15, 0, v158
	v_not_b32_e32 v157, v158
	v_not_b32_e32 v158, v161
	s_delay_alu instid0(VALU_DEP_1) | instskip(SKIP_3) | instid1(VALU_DEP_4)
	v_dual_ashrrev_i32 v158, 31, v158 :: v_dual_lshlrev_b32 v162, 28, v159
	v_dual_lshlrev_b32 v163, 27, v159 :: v_dual_lshlrev_b32 v165, 26, v159
	v_dual_lshlrev_b32 v166, 25, v159 :: v_dual_lshlrev_b32 v167, 24, v159
	v_cmp_gt_i32_e64 s16, 0, v161
	v_cmp_gt_i32_e64 s17, 0, v162
	v_not_b32_e32 v161, v162
	v_not_b32_e32 v162, v163
	v_ashrrev_i32_e32 v157, 31, v157
	v_cmp_gt_i32_e64 s18, 0, v163
	v_cmp_gt_i32_e64 s19, 0, v165
	v_not_b32_e32 v163, v165
	v_cmp_gt_i32_e64 s20, 0, v166
	v_not_b32_e32 v165, v166
	v_not_b32_e32 v166, v167
	s_delay_alu instid0(VALU_DEP_4) | instskip(SKIP_3) | instid1(VALU_DEP_3)
	v_dual_ashrrev_i32 v163, 31, v163 :: v_dual_bitop2_b32 v61, vcc_lo, v61 bitop3:0x14
	v_dual_ashrrev_i32 v161, 31, v161 :: v_dual_bitop2_b32 v158, s16, v158 bitop3:0x14
	v_dual_ashrrev_i32 v162, 31, v162 :: v_dual_bitop2_b32 v157, s15, v157 bitop3:0x14
	v_cmp_gt_i32_e64 s21, 0, v167
	v_xor_b32_e32 v161, s17, v161
	v_xor_b32_e32 v163, s19, v163
	s_delay_alu instid0(VALU_DEP_4) | instskip(SKIP_2) | instid1(VALU_DEP_2)
	v_xor_b32_e32 v162, s18, v162
	v_bitop3_b32 v61, v61, v157, exec_lo bitop3:0x80
	v_dual_ashrrev_i32 v157, 31, v165 :: v_dual_ashrrev_i32 v165, 31, v166
	v_bitop3_b32 v61, v61, v161, v158 bitop3:0x80
	v_mad_u32_u24 v158, v159, 36, v23
	s_delay_alu instid0(VALU_DEP_3) | instskip(NEXT) | instid1(VALU_DEP_4)
	v_xor_b32_e32 v161, s20, v157
	v_xor_b32_e32 v165, s21, v165
	v_mul_u32_u24_e32 v159, 36, v159
	v_bitop3_b32 v61, v61, v163, v162 bitop3:0x80
	ds_load_b32 v157, v158 offset:1056
	; wave barrier
	v_add_nc_u32_e32 v159, v23, v159
	v_bitop3_b32 v61, v61, v165, v161 bitop3:0x80
	s_delay_alu instid0(VALU_DEP_1) | instskip(SKIP_1) | instid1(VALU_DEP_2)
	v_mbcnt_lo_u32_b32 v158, v61, 0
	v_cmp_ne_u32_e64 s15, 0, v61
	v_cmp_eq_u32_e32 vcc_lo, 0, v158
	s_and_b32 s16, s15, vcc_lo
	s_delay_alu instid0(SALU_CYCLE_1)
	s_and_saveexec_b32 s15, s16
	s_cbranch_execz .LBB2040_1020
; %bb.1019:                             ;   in Loop: Header=BB2040_974 Depth=2
	s_wait_dscnt 0x0
	v_bcnt_u32_b32 v61, v61, v157
	ds_store_b32 v159, v61 offset:1056
.LBB2040_1020:                          ;   in Loop: Header=BB2040_974 Depth=2
	s_or_b32 exec_lo, exec_lo, s15
	v_cmp_lt_i16_e64 vcc_lo, -1, v156
	; wave barrier
	s_delay_alu instid0(VALU_DEP_1) | instskip(NEXT) | instid1(VALU_DEP_1)
	v_cndmask_b32_e64 v61, -1, 0xffff8000, vcc_lo
	v_xor_b32_e32 v156, v61, v156
	s_delay_alu instid0(VALU_DEP_1) | instskip(SKIP_1) | instid1(VALU_DEP_1)
	v_cmp_ne_u16_e64 vcc_lo, 0x7fff, v156
	v_cndmask_b32_e32 v61, 0xffff8000, v156, vcc_lo
	v_and_b32_e32 v61, 0xffff, v61
	s_delay_alu instid0(VALU_DEP_1) | instskip(NEXT) | instid1(VALU_DEP_1)
	v_lshrrev_b32_e32 v61, s49, v61
	v_bitop3_b32 v161, v61, 1, s52 bitop3:0x80
	v_and_b32_e32 v163, s52, v61
	s_delay_alu instid0(VALU_DEP_2) | instskip(NEXT) | instid1(VALU_DEP_1)
	v_add_co_u32 v61, s15, v161, -1
	v_cndmask_b32_e64 v161, 0, 1, s15
	s_delay_alu instid0(VALU_DEP_3) | instskip(NEXT) | instid1(VALU_DEP_2)
	v_dual_lshlrev_b32 v162, 30, v163 :: v_dual_lshlrev_b32 v165, 29, v163
	v_cmp_ne_u32_e32 vcc_lo, 0, v161
	s_delay_alu instid0(VALU_DEP_2) | instskip(SKIP_1) | instid1(VALU_DEP_4)
	v_cmp_gt_i32_e64 s15, 0, v162
	v_not_b32_e32 v161, v162
	v_not_b32_e32 v162, v165
	s_delay_alu instid0(VALU_DEP_1) | instskip(SKIP_3) | instid1(VALU_DEP_4)
	v_dual_ashrrev_i32 v162, 31, v162 :: v_dual_lshlrev_b32 v166, 28, v163
	v_dual_lshlrev_b32 v167, 27, v163 :: v_dual_lshlrev_b32 v169, 26, v163
	v_dual_lshlrev_b32 v170, 25, v163 :: v_dual_lshlrev_b32 v171, 24, v163
	v_cmp_gt_i32_e64 s16, 0, v165
	v_cmp_gt_i32_e64 s17, 0, v166
	v_not_b32_e32 v165, v166
	v_not_b32_e32 v166, v167
	v_ashrrev_i32_e32 v161, 31, v161
	v_cmp_gt_i32_e64 s18, 0, v167
	v_cmp_gt_i32_e64 s19, 0, v169
	v_not_b32_e32 v167, v169
	v_cmp_gt_i32_e64 s20, 0, v170
	v_not_b32_e32 v169, v170
	v_not_b32_e32 v170, v171
	s_delay_alu instid0(VALU_DEP_4) | instskip(SKIP_3) | instid1(VALU_DEP_3)
	v_dual_ashrrev_i32 v167, 31, v167 :: v_dual_bitop2_b32 v61, vcc_lo, v61 bitop3:0x14
	v_dual_ashrrev_i32 v165, 31, v165 :: v_dual_bitop2_b32 v162, s16, v162 bitop3:0x14
	v_dual_ashrrev_i32 v166, 31, v166 :: v_dual_bitop2_b32 v161, s15, v161 bitop3:0x14
	v_cmp_gt_i32_e64 s21, 0, v171
	v_xor_b32_e32 v165, s17, v165
	v_xor_b32_e32 v167, s19, v167
	s_delay_alu instid0(VALU_DEP_4) | instskip(SKIP_2) | instid1(VALU_DEP_2)
	v_xor_b32_e32 v166, s18, v166
	v_bitop3_b32 v61, v61, v161, exec_lo bitop3:0x80
	v_dual_ashrrev_i32 v161, 31, v169 :: v_dual_ashrrev_i32 v169, 31, v170
	v_bitop3_b32 v61, v61, v165, v162 bitop3:0x80
	v_mad_u32_u24 v162, v163, 36, v23
	s_delay_alu instid0(VALU_DEP_3) | instskip(NEXT) | instid1(VALU_DEP_4)
	v_xor_b32_e32 v165, s20, v161
	v_xor_b32_e32 v169, s21, v169
	v_mul_u32_u24_e32 v163, 36, v163
	v_bitop3_b32 v61, v61, v167, v166 bitop3:0x80
	ds_load_b32 v161, v162 offset:1056
	; wave barrier
	v_add_nc_u32_e32 v163, v23, v163
	v_bitop3_b32 v61, v61, v169, v165 bitop3:0x80
	s_delay_alu instid0(VALU_DEP_1) | instskip(SKIP_1) | instid1(VALU_DEP_2)
	v_mbcnt_lo_u32_b32 v162, v61, 0
	v_cmp_ne_u32_e64 s15, 0, v61
	v_cmp_eq_u32_e32 vcc_lo, 0, v162
	s_and_b32 s16, s15, vcc_lo
	s_delay_alu instid0(SALU_CYCLE_1)
	s_and_saveexec_b32 s15, s16
	s_cbranch_execz .LBB2040_1022
; %bb.1021:                             ;   in Loop: Header=BB2040_974 Depth=2
	s_wait_dscnt 0x0
	v_bcnt_u32_b32 v61, v61, v161
	ds_store_b32 v163, v61 offset:1056
.LBB2040_1022:                          ;   in Loop: Header=BB2040_974 Depth=2
	s_or_b32 exec_lo, exec_lo, s15
	v_cmp_lt_i16_e64 vcc_lo, -1, v160
	; wave barrier
	s_delay_alu instid0(VALU_DEP_1) | instskip(NEXT) | instid1(VALU_DEP_1)
	v_cndmask_b32_e64 v61, -1, 0xffff8000, vcc_lo
	v_xor_b32_e32 v160, v61, v160
	s_delay_alu instid0(VALU_DEP_1) | instskip(SKIP_1) | instid1(VALU_DEP_1)
	v_cmp_ne_u16_e64 vcc_lo, 0x7fff, v160
	v_cndmask_b32_e32 v61, 0xffff8000, v160, vcc_lo
	v_and_b32_e32 v61, 0xffff, v61
	s_delay_alu instid0(VALU_DEP_1) | instskip(NEXT) | instid1(VALU_DEP_1)
	v_lshrrev_b32_e32 v61, s49, v61
	v_bitop3_b32 v165, v61, 1, s52 bitop3:0x80
	v_and_b32_e32 v167, s52, v61
	s_delay_alu instid0(VALU_DEP_2) | instskip(NEXT) | instid1(VALU_DEP_1)
	v_add_co_u32 v61, s15, v165, -1
	v_cndmask_b32_e64 v165, 0, 1, s15
	s_delay_alu instid0(VALU_DEP_3) | instskip(NEXT) | instid1(VALU_DEP_2)
	v_dual_lshlrev_b32 v166, 30, v167 :: v_dual_lshlrev_b32 v169, 29, v167
	v_cmp_ne_u32_e32 vcc_lo, 0, v165
	s_delay_alu instid0(VALU_DEP_2) | instskip(SKIP_1) | instid1(VALU_DEP_4)
	v_cmp_gt_i32_e64 s15, 0, v166
	v_not_b32_e32 v165, v166
	v_not_b32_e32 v166, v169
	s_delay_alu instid0(VALU_DEP_1) | instskip(SKIP_3) | instid1(VALU_DEP_4)
	v_dual_ashrrev_i32 v166, 31, v166 :: v_dual_lshlrev_b32 v170, 28, v167
	v_dual_lshlrev_b32 v171, 27, v167 :: v_dual_lshlrev_b32 v172, 26, v167
	v_cmp_gt_i32_e64 s16, 0, v169
	v_dual_lshlrev_b32 v173, 25, v167 :: v_dual_lshlrev_b32 v174, 24, v167
	v_cmp_gt_i32_e64 s17, 0, v170
	v_not_b32_e32 v169, v170
	v_not_b32_e32 v170, v171
	v_ashrrev_i32_e32 v165, 31, v165
	v_cmp_gt_i32_e64 s18, 0, v171
	v_not_b32_e32 v171, v172
	v_xor_b32_e32 v61, vcc_lo, v61
	v_dual_ashrrev_i32 v169, 31, v169 :: v_dual_bitop2_b32 v166, s16, v166 bitop3:0x14
	v_dual_ashrrev_i32 v170, 31, v170 :: v_dual_bitop2_b32 v165, s15, v165 bitop3:0x14
	v_cmp_gt_i32_e64 s19, 0, v172
	v_cmp_gt_i32_e64 s20, 0, v173
	v_not_b32_e32 v172, v173
	v_not_b32_e32 v173, v174
	v_dual_ashrrev_i32 v171, 31, v171 :: v_dual_bitop2_b32 v169, s17, v169 bitop3:0x14
	v_bitop3_b32 v61, v61, v165, exec_lo bitop3:0x80
	v_cmp_gt_i32_e64 s21, 0, v174
	s_delay_alu instid0(VALU_DEP_4)
	v_dual_ashrrev_i32 v165, 31, v172 :: v_dual_ashrrev_i32 v172, 31, v173
	v_xor_b32_e32 v170, s18, v170
	v_xor_b32_e32 v171, s19, v171
	v_bitop3_b32 v61, v61, v169, v166 bitop3:0x80
	v_mad_u32_u24 v166, v167, 36, v23
	v_xor_b32_e32 v169, s20, v165
	v_xor_b32_e32 v172, s21, v172
	v_mul_u32_u24_e32 v167, 36, v167
	v_bitop3_b32 v61, v61, v171, v170 bitop3:0x80
	ds_load_b32 v165, v166 offset:1056
	; wave barrier
	v_add_nc_u32_e32 v167, v23, v167
	v_bitop3_b32 v61, v61, v172, v169 bitop3:0x80
	s_delay_alu instid0(VALU_DEP_1) | instskip(SKIP_1) | instid1(VALU_DEP_2)
	v_mbcnt_lo_u32_b32 v166, v61, 0
	v_cmp_ne_u32_e64 s15, 0, v61
	v_cmp_eq_u32_e32 vcc_lo, 0, v166
	s_and_b32 s16, s15, vcc_lo
	s_delay_alu instid0(SALU_CYCLE_1)
	s_and_saveexec_b32 s15, s16
	s_cbranch_execz .LBB2040_1024
; %bb.1023:                             ;   in Loop: Header=BB2040_974 Depth=2
	s_wait_dscnt 0x0
	v_bcnt_u32_b32 v61, v61, v165
	ds_store_b32 v167, v61 offset:1056
.LBB2040_1024:                          ;   in Loop: Header=BB2040_974 Depth=2
	s_or_b32 exec_lo, exec_lo, s15
	v_cmp_lt_i16_e64 vcc_lo, -1, v164
	; wave barrier
	s_delay_alu instid0(VALU_DEP_1) | instskip(NEXT) | instid1(VALU_DEP_1)
	v_cndmask_b32_e64 v61, -1, 0xffff8000, vcc_lo
	v_xor_b32_e32 v164, v61, v164
	s_delay_alu instid0(VALU_DEP_1) | instskip(SKIP_1) | instid1(VALU_DEP_1)
	v_cmp_ne_u16_e64 vcc_lo, 0x7fff, v164
	v_cndmask_b32_e32 v61, 0xffff8000, v164, vcc_lo
	v_and_b32_e32 v61, 0xffff, v61
	s_delay_alu instid0(VALU_DEP_1) | instskip(NEXT) | instid1(VALU_DEP_1)
	v_lshrrev_b32_e32 v61, s49, v61
	v_bitop3_b32 v169, v61, 1, s52 bitop3:0x80
	v_and_b32_e32 v171, s52, v61
	s_delay_alu instid0(VALU_DEP_2) | instskip(NEXT) | instid1(VALU_DEP_1)
	v_add_co_u32 v61, s15, v169, -1
	v_cndmask_b32_e64 v169, 0, 1, s15
	s_delay_alu instid0(VALU_DEP_3) | instskip(NEXT) | instid1(VALU_DEP_2)
	v_dual_lshlrev_b32 v170, 30, v171 :: v_dual_lshlrev_b32 v172, 29, v171
	v_cmp_ne_u32_e32 vcc_lo, 0, v169
	s_delay_alu instid0(VALU_DEP_2) | instskip(SKIP_1) | instid1(VALU_DEP_4)
	v_cmp_gt_i32_e64 s15, 0, v170
	v_not_b32_e32 v169, v170
	v_not_b32_e32 v170, v172
	s_delay_alu instid0(VALU_DEP_1) | instskip(SKIP_3) | instid1(VALU_DEP_4)
	v_dual_ashrrev_i32 v170, 31, v170 :: v_dual_lshlrev_b32 v173, 28, v171
	v_dual_lshlrev_b32 v174, 27, v171 :: v_dual_lshlrev_b32 v175, 26, v171
	v_dual_lshlrev_b32 v176, 25, v171 :: v_dual_lshlrev_b32 v177, 24, v171
	v_cmp_gt_i32_e64 s16, 0, v172
	v_not_b32_e32 v172, v173
	v_ashrrev_i32_e32 v169, 31, v169
	v_cmp_gt_i32_e64 s17, 0, v173
	v_cmp_gt_i32_e64 s18, 0, v174
	v_not_b32_e32 v173, v174
	v_cmp_gt_i32_e64 s19, 0, v175
	v_not_b32_e32 v174, v175
	;; [unrolled: 2-line block ×3, first 2 shown]
	v_not_b32_e32 v176, v177
	s_delay_alu instid0(VALU_DEP_4) | instskip(SKIP_3) | instid1(VALU_DEP_3)
	v_dual_ashrrev_i32 v174, 31, v174 :: v_dual_bitop2_b32 v61, vcc_lo, v61 bitop3:0x14
	v_dual_ashrrev_i32 v172, 31, v172 :: v_dual_bitop2_b32 v169, s15, v169 bitop3:0x14
	v_dual_ashrrev_i32 v173, 31, v173 :: v_dual_bitop2_b32 v170, s16, v170 bitop3:0x14
	v_cmp_gt_i32_e64 s21, 0, v177
	v_xor_b32_e32 v172, s17, v172
	s_delay_alu instid0(VALU_DEP_4) | instskip(SKIP_2) | instid1(VALU_DEP_3)
	v_bitop3_b32 v61, v61, v169, exec_lo bitop3:0x80
	v_dual_ashrrev_i32 v169, 31, v175 :: v_dual_ashrrev_i32 v175, 31, v176
	v_xor_b32_e32 v174, s19, v174
	v_bitop3_b32 v61, v61, v172, v170 bitop3:0x80
	v_mad_u32_u24 v170, v171, 36, v23
	v_mul_u32_u24_e32 v171, 36, v171
	v_xor_b32_e32 v173, s18, v173
	v_xor_b32_e32 v172, s20, v169
	;; [unrolled: 1-line block ×3, first 2 shown]
	ds_load_b32 v169, v170 offset:1056
	v_add_nc_u32_e32 v171, v23, v171
	v_bitop3_b32 v61, v61, v174, v173 bitop3:0x80
	; wave barrier
	s_delay_alu instid0(VALU_DEP_1) | instskip(NEXT) | instid1(VALU_DEP_1)
	v_bitop3_b32 v61, v61, v175, v172 bitop3:0x80
	v_mbcnt_lo_u32_b32 v170, v61, 0
	v_cmp_ne_u32_e64 s15, 0, v61
	s_delay_alu instid0(VALU_DEP_2) | instskip(SKIP_1) | instid1(SALU_CYCLE_1)
	v_cmp_eq_u32_e32 vcc_lo, 0, v170
	s_and_b32 s16, s15, vcc_lo
	s_and_saveexec_b32 s15, s16
	s_cbranch_execz .LBB2040_1026
; %bb.1025:                             ;   in Loop: Header=BB2040_974 Depth=2
	s_wait_dscnt 0x0
	v_bcnt_u32_b32 v61, v61, v169
	ds_store_b32 v171, v61 offset:1056
.LBB2040_1026:                          ;   in Loop: Header=BB2040_974 Depth=2
	s_or_b32 exec_lo, exec_lo, s15
	v_cmp_lt_i16_e64 vcc_lo, -1, v168
	; wave barrier
	s_delay_alu instid0(VALU_DEP_1) | instskip(NEXT) | instid1(VALU_DEP_1)
	v_cndmask_b32_e64 v61, -1, 0xffff8000, vcc_lo
	v_xor_b32_e32 v168, v61, v168
	s_delay_alu instid0(VALU_DEP_1) | instskip(SKIP_1) | instid1(VALU_DEP_1)
	v_cmp_ne_u16_e64 vcc_lo, 0x7fff, v168
	v_cndmask_b32_e32 v61, 0xffff8000, v168, vcc_lo
	v_and_b32_e32 v61, 0xffff, v61
	s_delay_alu instid0(VALU_DEP_1) | instskip(NEXT) | instid1(VALU_DEP_1)
	v_lshrrev_b32_e32 v61, s49, v61
	v_bitop3_b32 v172, v61, 1, s52 bitop3:0x80
	v_and_b32_e32 v175, s52, v61
	s_delay_alu instid0(VALU_DEP_2) | instskip(NEXT) | instid1(VALU_DEP_1)
	v_add_co_u32 v61, s15, v172, -1
	v_cndmask_b32_e64 v172, 0, 1, s15
	s_delay_alu instid0(VALU_DEP_3) | instskip(NEXT) | instid1(VALU_DEP_2)
	v_lshlrev_b32_e32 v173, 30, v175
	v_cmp_ne_u32_e32 vcc_lo, 0, v172
	s_delay_alu instid0(VALU_DEP_2) | instskip(NEXT) | instid1(VALU_DEP_1)
	v_not_b32_e32 v172, v173
	v_dual_ashrrev_i32 v172, 31, v172 :: v_dual_lshlrev_b32 v174, 29, v175
	v_dual_lshlrev_b32 v176, 28, v175 :: v_dual_lshlrev_b32 v177, 27, v175
	v_lshlrev_b32_e32 v178, 26, v175
	v_cmp_gt_i32_e64 s15, 0, v173
	s_delay_alu instid0(VALU_DEP_4)
	v_cmp_gt_i32_e64 s16, 0, v174
	v_not_b32_e32 v173, v174
	v_not_b32_e32 v174, v176
	v_dual_lshlrev_b32 v179, 25, v175 :: v_dual_lshlrev_b32 v180, 24, v175
	v_cmp_gt_i32_e64 s17, 0, v176
	v_cmp_gt_i32_e64 s18, 0, v177
	v_not_b32_e32 v176, v177
	v_not_b32_e32 v177, v178
	v_dual_ashrrev_i32 v174, 31, v174 :: v_dual_bitop2_b32 v61, vcc_lo, v61 bitop3:0x14
	v_dual_ashrrev_i32 v173, 31, v173 :: v_dual_bitop2_b32 v172, s15, v172 bitop3:0x14
	v_cmp_gt_i32_e64 s19, 0, v178
	v_cmp_gt_i32_e64 s20, 0, v179
	v_not_b32_e32 v178, v179
	v_not_b32_e32 v179, v180
	v_dual_ashrrev_i32 v176, 31, v176 :: v_dual_ashrrev_i32 v177, 31, v177
	v_xor_b32_e32 v173, s16, v173
	v_xor_b32_e32 v174, s17, v174
	v_bitop3_b32 v61, v61, v172, exec_lo bitop3:0x80
	v_cmp_gt_i32_e64 s21, 0, v180
	v_dual_ashrrev_i32 v172, 31, v178 :: v_dual_ashrrev_i32 v178, 31, v179
	v_xor_b32_e32 v176, s18, v176
	v_xor_b32_e32 v177, s19, v177
	v_bitop3_b32 v61, v61, v174, v173 bitop3:0x80
	v_mad_u32_u24 v173, v175, 36, v23
	v_xor_b32_e32 v172, s20, v172
	v_xor_b32_e32 v174, s21, v178
	s_delay_alu instid0(VALU_DEP_4) | instskip(SKIP_3) | instid1(VALU_DEP_2)
	v_bitop3_b32 v61, v61, v177, v176 bitop3:0x80
	ds_load_b32 v173, v173 offset:1056
	; wave barrier
	v_bitop3_b32 v61, v61, v174, v172 bitop3:0x80
	v_mul_u32_u24_e32 v172, 36, v175
	v_mbcnt_lo_u32_b32 v174, v61, 0
	v_cmp_ne_u32_e64 s15, 0, v61
	s_delay_alu instid0(VALU_DEP_3) | instskip(NEXT) | instid1(VALU_DEP_3)
	v_add_nc_u32_e32 v175, v23, v172
	v_cmp_eq_u32_e32 vcc_lo, 0, v174
	s_and_b32 s16, s15, vcc_lo
	s_delay_alu instid0(SALU_CYCLE_1)
	s_and_saveexec_b32 s15, s16
	s_cbranch_execz .LBB2040_1028
; %bb.1027:                             ;   in Loop: Header=BB2040_974 Depth=2
	s_wait_dscnt 0x0
	v_bcnt_u32_b32 v61, v61, v173
	ds_store_b32 v175, v61 offset:1056
.LBB2040_1028:                          ;   in Loop: Header=BB2040_974 Depth=2
	s_or_b32 exec_lo, exec_lo, s15
	v_cmp_lt_i16_e32 vcc_lo, -1, v67
	; wave barrier
	v_cndmask_b32_e64 v61, -1, 0xffff8000, vcc_lo
	s_delay_alu instid0(VALU_DEP_1) | instskip(NEXT) | instid1(VALU_DEP_1)
	v_xor_b32_e32 v172, v61, v67
	v_cmp_ne_u16_e64 vcc_lo, 0x7fff, v172
	v_cndmask_b32_e32 v61, 0xffff8000, v172, vcc_lo
	s_delay_alu instid0(VALU_DEP_1) | instskip(NEXT) | instid1(VALU_DEP_1)
	v_and_b32_e32 v61, 0xffff, v61
	v_lshrrev_b32_e32 v61, s49, v61
	s_delay_alu instid0(VALU_DEP_1) | instskip(SKIP_1) | instid1(VALU_DEP_2)
	v_bitop3_b32 v67, v61, 1, s52 bitop3:0x80
	v_and_b32_e32 v176, s52, v61
	v_add_co_u32 v61, s15, v67, -1
	s_delay_alu instid0(VALU_DEP_1) | instskip(NEXT) | instid1(VALU_DEP_3)
	v_cndmask_b32_e64 v67, 0, 1, s15
	v_lshlrev_b32_e32 v177, 30, v176
	s_delay_alu instid0(VALU_DEP_2) | instskip(NEXT) | instid1(VALU_DEP_2)
	v_cmp_ne_u32_e32 vcc_lo, 0, v67
	v_not_b32_e32 v67, v177
	s_delay_alu instid0(VALU_DEP_1) | instskip(SKIP_4) | instid1(VALU_DEP_4)
	v_dual_ashrrev_i32 v67, 31, v67 :: v_dual_bitop2_b32 v61, vcc_lo, v61 bitop3:0x14
	v_dual_lshlrev_b32 v178, 29, v176 :: v_dual_lshlrev_b32 v179, 28, v176
	v_dual_lshlrev_b32 v180, 27, v176 :: v_dual_lshlrev_b32 v181, 26, v176
	v_lshlrev_b32_e32 v182, 25, v176
	v_cmp_gt_i32_e64 s15, 0, v177
	v_cmp_gt_i32_e64 s16, 0, v178
	v_not_b32_e32 v177, v178
	v_not_b32_e32 v178, v179
	v_lshlrev_b32_e32 v183, 24, v176
	v_cmp_gt_i32_e64 s17, 0, v179
	v_cmp_gt_i32_e64 s18, 0, v180
	v_not_b32_e32 v179, v180
	v_not_b32_e32 v180, v181
	v_dual_ashrrev_i32 v177, 31, v177 :: v_dual_bitop2_b32 v67, s15, v67 bitop3:0x14
	v_ashrrev_i32_e32 v178, 31, v178
	v_cmp_gt_i32_e64 s19, 0, v181
	v_cmp_gt_i32_e64 s20, 0, v182
	v_not_b32_e32 v181, v182
	v_not_b32_e32 v182, v183
	v_dual_ashrrev_i32 v179, 31, v179 :: v_dual_ashrrev_i32 v180, 31, v180
	v_xor_b32_e32 v177, s16, v177
	v_xor_b32_e32 v178, s17, v178
	v_bitop3_b32 v61, v61, v67, exec_lo bitop3:0x80
	v_cmp_gt_i32_e64 s21, 0, v183
	v_dual_ashrrev_i32 v67, 31, v181 :: v_dual_ashrrev_i32 v181, 31, v182
	v_xor_b32_e32 v179, s18, v179
	v_xor_b32_e32 v180, s19, v180
	v_bitop3_b32 v61, v61, v178, v177 bitop3:0x80
	v_mad_u32_u24 v177, v176, 36, v23
	v_xor_b32_e32 v67, s20, v67
	v_xor_b32_e32 v178, s21, v181
	s_delay_alu instid0(VALU_DEP_4) | instskip(SKIP_3) | instid1(VALU_DEP_2)
	v_bitop3_b32 v61, v61, v180, v179 bitop3:0x80
	ds_load_b32 v177, v177 offset:1056
	; wave barrier
	v_bitop3_b32 v61, v61, v178, v67 bitop3:0x80
	v_mul_u32_u24_e32 v67, 36, v176
	v_mbcnt_lo_u32_b32 v178, v61, 0
	v_cmp_ne_u32_e64 s15, 0, v61
	s_delay_alu instid0(VALU_DEP_3) | instskip(NEXT) | instid1(VALU_DEP_3)
	v_add_nc_u32_e32 v179, v23, v67
	v_cmp_eq_u32_e32 vcc_lo, 0, v178
	s_and_b32 s16, s15, vcc_lo
	s_delay_alu instid0(SALU_CYCLE_1)
	s_and_saveexec_b32 s15, s16
	s_cbranch_execz .LBB2040_1030
; %bb.1029:                             ;   in Loop: Header=BB2040_974 Depth=2
	s_wait_dscnt 0x0
	v_bcnt_u32_b32 v61, v61, v177
	ds_store_b32 v179, v61 offset:1056
.LBB2040_1030:                          ;   in Loop: Header=BB2040_974 Depth=2
	s_or_b32 exec_lo, exec_lo, s15
	v_cmp_lt_i16_e32 vcc_lo, -1, v66
	; wave barrier
	v_cndmask_b32_e64 v61, -1, 0xffff8000, vcc_lo
	s_delay_alu instid0(VALU_DEP_1) | instskip(NEXT) | instid1(VALU_DEP_1)
	v_xor_b32_e32 v176, v61, v66
	v_cmp_ne_u16_e64 vcc_lo, 0x7fff, v176
	v_cndmask_b32_e32 v61, 0xffff8000, v176, vcc_lo
	s_delay_alu instid0(VALU_DEP_1) | instskip(NEXT) | instid1(VALU_DEP_1)
	v_and_b32_e32 v61, 0xffff, v61
	v_lshrrev_b32_e32 v61, s49, v61
	s_delay_alu instid0(VALU_DEP_1) | instskip(SKIP_1) | instid1(VALU_DEP_2)
	v_bitop3_b32 v66, v61, 1, s52 bitop3:0x80
	v_and_b32_e32 v67, s52, v61
	v_add_co_u32 v61, s15, v66, -1
	s_delay_alu instid0(VALU_DEP_1) | instskip(NEXT) | instid1(VALU_DEP_3)
	v_cndmask_b32_e64 v66, 0, 1, s15
	v_lshlrev_b32_e32 v180, 30, v67
	s_delay_alu instid0(VALU_DEP_2) | instskip(NEXT) | instid1(VALU_DEP_2)
	v_cmp_ne_u32_e32 vcc_lo, 0, v66
	v_not_b32_e32 v66, v180
	v_cmp_gt_i32_e64 s15, 0, v180
	s_delay_alu instid0(VALU_DEP_2) | instskip(SKIP_3) | instid1(VALU_DEP_4)
	v_dual_ashrrev_i32 v66, 31, v66 :: v_dual_lshlrev_b32 v181, 29, v67
	v_dual_lshlrev_b32 v182, 28, v67 :: v_dual_lshlrev_b32 v183, 27, v67
	v_dual_lshlrev_b32 v184, 26, v67 :: v_dual_lshlrev_b32 v185, 25, v67
	v_lshlrev_b32_e32 v186, 24, v67
	v_cmp_gt_i32_e64 s16, 0, v181
	v_not_b32_e32 v180, v181
	v_not_b32_e32 v181, v182
	v_cmp_gt_i32_e64 s17, 0, v182
	v_cmp_gt_i32_e64 s18, 0, v183
	v_not_b32_e32 v182, v183
	v_not_b32_e32 v183, v184
	v_dual_ashrrev_i32 v180, 31, v180 :: v_dual_bitop2_b32 v61, vcc_lo, v61 bitop3:0x14
	v_dual_ashrrev_i32 v181, 31, v181 :: v_dual_bitop2_b32 v66, s15, v66 bitop3:0x14
	v_cmp_gt_i32_e64 s19, 0, v184
	v_cmp_gt_i32_e64 s20, 0, v185
	v_not_b32_e32 v184, v185
	v_not_b32_e32 v185, v186
	v_dual_ashrrev_i32 v182, 31, v182 :: v_dual_ashrrev_i32 v183, 31, v183
	v_xor_b32_e32 v180, s16, v180
	v_xor_b32_e32 v181, s17, v181
	v_bitop3_b32 v61, v61, v66, exec_lo bitop3:0x80
	v_cmp_gt_i32_e64 s21, 0, v186
	v_dual_ashrrev_i32 v66, 31, v184 :: v_dual_ashrrev_i32 v184, 31, v185
	v_xor_b32_e32 v182, s18, v182
	v_xor_b32_e32 v183, s19, v183
	v_bitop3_b32 v61, v61, v181, v180 bitop3:0x80
	v_mad_u32_u24 v180, v67, 36, v23
	v_xor_b32_e32 v66, s20, v66
	v_xor_b32_e32 v184, s21, v184
	s_delay_alu instid0(VALU_DEP_4) | instskip(SKIP_3) | instid1(VALU_DEP_2)
	v_bitop3_b32 v61, v61, v183, v182 bitop3:0x80
	ds_load_b32 v181, v180 offset:1056
	; wave barrier
	v_bitop3_b32 v61, v61, v184, v66 bitop3:0x80
	v_mul_u32_u24_e32 v66, 36, v67
	v_mbcnt_lo_u32_b32 v182, v61, 0
	v_cmp_ne_u32_e64 s15, 0, v61
	s_delay_alu instid0(VALU_DEP_3) | instskip(NEXT) | instid1(VALU_DEP_3)
	v_add_nc_u32_e32 v183, v23, v66
	v_cmp_eq_u32_e32 vcc_lo, 0, v182
	s_and_b32 s16, s15, vcc_lo
	s_delay_alu instid0(SALU_CYCLE_1)
	s_and_saveexec_b32 s15, s16
	s_cbranch_execz .LBB2040_1032
; %bb.1031:                             ;   in Loop: Header=BB2040_974 Depth=2
	s_wait_dscnt 0x0
	v_bcnt_u32_b32 v61, v61, v181
	ds_store_b32 v183, v61 offset:1056
.LBB2040_1032:                          ;   in Loop: Header=BB2040_974 Depth=2
	s_or_b32 exec_lo, exec_lo, s15
	v_cmp_lt_i16_e32 vcc_lo, -1, v65
	; wave barrier
	v_cndmask_b32_e64 v61, -1, 0xffff8000, vcc_lo
	s_delay_alu instid0(VALU_DEP_1) | instskip(NEXT) | instid1(VALU_DEP_1)
	v_xor_b32_e32 v180, v61, v65
	v_cmp_ne_u16_e64 vcc_lo, 0x7fff, v180
	v_cndmask_b32_e32 v61, 0xffff8000, v180, vcc_lo
	s_delay_alu instid0(VALU_DEP_1) | instskip(NEXT) | instid1(VALU_DEP_1)
	v_and_b32_e32 v61, 0xffff, v61
	v_lshrrev_b32_e32 v61, s49, v61
	s_delay_alu instid0(VALU_DEP_1) | instskip(NEXT) | instid1(VALU_DEP_1)
	v_and_b32_e32 v66, s52, v61
	v_lshlrev_b32_e32 v185, 28, v66
	v_bitop3_b32 v65, v61, 1, s52 bitop3:0x80
	v_dual_lshlrev_b32 v67, 30, v66 :: v_dual_lshlrev_b32 v184, 29, v66
	s_delay_alu instid0(VALU_DEP_3) | instskip(NEXT) | instid1(VALU_DEP_3)
	v_cmp_gt_i32_e64 s17, 0, v185
	v_add_co_u32 v61, s15, v65, -1
	s_delay_alu instid0(VALU_DEP_1) | instskip(NEXT) | instid1(VALU_DEP_4)
	v_cndmask_b32_e64 v65, 0, 1, s15
	v_cmp_gt_i32_e64 s15, 0, v67
	v_cmp_gt_i32_e64 s16, 0, v184
	s_delay_alu instid0(VALU_DEP_3) | instskip(SKIP_3) | instid1(VALU_DEP_2)
	v_cmp_ne_u32_e32 vcc_lo, 0, v65
	v_not_b32_e32 v65, v67
	v_not_b32_e32 v67, v184
	;; [unrolled: 1-line block ×3, first 2 shown]
	v_dual_ashrrev_i32 v65, 31, v65 :: v_dual_ashrrev_i32 v67, 31, v67
	v_dual_lshlrev_b32 v186, 27, v66 :: v_dual_lshlrev_b32 v187, 26, v66
	v_dual_lshlrev_b32 v188, 25, v66 :: v_dual_lshlrev_b32 v189, 24, v66
	s_delay_alu instid0(VALU_DEP_4) | instskip(NEXT) | instid1(VALU_DEP_3)
	v_ashrrev_i32_e32 v184, 31, v184
	v_cmp_gt_i32_e64 s18, 0, v186
	v_not_b32_e32 v185, v186
	v_cmp_gt_i32_e64 s19, 0, v187
	v_not_b32_e32 v186, v187
	;; [unrolled: 2-line block ×3, first 2 shown]
	v_not_b32_e32 v188, v189
	s_delay_alu instid0(VALU_DEP_4) | instskip(SKIP_4) | instid1(VALU_DEP_4)
	v_dual_ashrrev_i32 v186, 31, v186 :: v_dual_bitop2_b32 v61, vcc_lo, v61 bitop3:0x14
	v_xor_b32_e32 v65, s15, v65
	v_dual_ashrrev_i32 v185, 31, v185 :: v_dual_bitop2_b32 v67, s16, v67 bitop3:0x14
	v_xor_b32_e32 v184, s17, v184
	v_cmp_gt_i32_e64 s21, 0, v189
	v_bitop3_b32 v61, v61, v65, exec_lo bitop3:0x80
	v_dual_ashrrev_i32 v65, 31, v187 :: v_dual_ashrrev_i32 v187, 31, v188
	v_xor_b32_e32 v185, s18, v185
	v_xor_b32_e32 v186, s19, v186
	s_delay_alu instid0(VALU_DEP_4) | instskip(SKIP_3) | instid1(VALU_DEP_4)
	v_bitop3_b32 v61, v61, v184, v67 bitop3:0x80
	v_mad_u32_u24 v67, v66, 36, v23
	v_xor_b32_e32 v65, s20, v65
	v_xor_b32_e32 v184, s21, v187
	v_bitop3_b32 v61, v61, v186, v185 bitop3:0x80
	ds_load_b32 v185, v67 offset:1056
	; wave barrier
	v_bitop3_b32 v61, v61, v184, v65 bitop3:0x80
	v_mul_u32_u24_e32 v65, 36, v66
	s_delay_alu instid0(VALU_DEP_2) | instskip(SKIP_1) | instid1(VALU_DEP_3)
	v_mbcnt_lo_u32_b32 v186, v61, 0
	v_cmp_ne_u32_e64 s15, 0, v61
	v_add_nc_u32_e32 v187, v23, v65
	s_delay_alu instid0(VALU_DEP_3) | instskip(SKIP_1) | instid1(SALU_CYCLE_1)
	v_cmp_eq_u32_e32 vcc_lo, 0, v186
	s_and_b32 s16, s15, vcc_lo
	s_and_saveexec_b32 s15, s16
	s_cbranch_execz .LBB2040_1034
; %bb.1033:                             ;   in Loop: Header=BB2040_974 Depth=2
	s_wait_dscnt 0x0
	v_bcnt_u32_b32 v61, v61, v185
	ds_store_b32 v187, v61 offset:1056
.LBB2040_1034:                          ;   in Loop: Header=BB2040_974 Depth=2
	s_or_b32 exec_lo, exec_lo, s15
	v_cmp_lt_i16_e32 vcc_lo, -1, v64
	; wave barrier
	v_cndmask_b32_e64 v61, -1, 0xffff8000, vcc_lo
	s_delay_alu instid0(VALU_DEP_1) | instskip(NEXT) | instid1(VALU_DEP_1)
	v_xor_b32_e32 v184, v61, v64
	v_cmp_ne_u16_e64 vcc_lo, 0x7fff, v184
	v_cndmask_b32_e32 v61, 0xffff8000, v184, vcc_lo
	s_delay_alu instid0(VALU_DEP_1) | instskip(NEXT) | instid1(VALU_DEP_1)
	v_and_b32_e32 v61, 0xffff, v61
	v_lshrrev_b32_e32 v61, s49, v61
	s_delay_alu instid0(VALU_DEP_1) | instskip(SKIP_1) | instid1(VALU_DEP_2)
	v_bitop3_b32 v64, v61, 1, s52 bitop3:0x80
	v_and_b32_e32 v65, s52, v61
	v_add_co_u32 v61, s15, v64, -1
	s_delay_alu instid0(VALU_DEP_2) | instskip(SKIP_1) | instid1(VALU_DEP_2)
	v_lshlrev_b32_e32 v64, 30, v65
	v_cndmask_b32_e64 v192, 0, 1, s15
	v_cmp_gt_i32_e32 vcc_lo, 0, v64
	v_not_b32_e32 v64, v64
	s_delay_alu instid0(VALU_DEP_3) | instskip(NEXT) | instid1(VALU_DEP_2)
	v_cmp_ne_u32_e64 s21, 0, v192
	v_dual_ashrrev_i32 v64, 31, v64 :: v_dual_lshlrev_b32 v66, 29, v65
	v_dual_lshlrev_b32 v67, 28, v65 :: v_dual_lshlrev_b32 v188, 27, v65
	v_dual_lshlrev_b32 v189, 26, v65 :: v_dual_lshlrev_b32 v190, 25, v65
	v_lshlrev_b32_e32 v191, 24, v65
	s_delay_alu instid0(VALU_DEP_4)
	v_cmp_gt_i32_e64 s15, 0, v66
	v_not_b32_e32 v66, v66
	v_cmp_gt_i32_e64 s16, 0, v67
	v_not_b32_e32 v67, v67
	;; [unrolled: 2-line block ×4, first 2 shown]
	v_dual_ashrrev_i32 v66, 31, v66 :: v_dual_ashrrev_i32 v67, 31, v67
	s_delay_alu instid0(VALU_DEP_4) | instskip(NEXT) | instid1(VALU_DEP_3)
	v_dual_ashrrev_i32 v188, 31, v188 :: v_dual_bitop2_b32 v61, s21, v61 bitop3:0x14
	v_dual_ashrrev_i32 v189, 31, v189 :: v_dual_bitop2_b32 v64, vcc_lo, v64 bitop3:0x14
	v_cmp_gt_i32_e64 s19, 0, v190
	v_not_b32_e32 v190, v190
	v_cmp_gt_i32_e64 s20, 0, v191
	v_not_b32_e32 v191, v191
	v_xor_b32_e32 v66, s15, v66
	v_xor_b32_e32 v67, s16, v67
	v_bitop3_b32 v61, v61, v64, exec_lo bitop3:0x80
	s_delay_alu instid0(VALU_DEP_4) | instskip(SKIP_2) | instid1(VALU_DEP_4)
	v_dual_ashrrev_i32 v64, 31, v190 :: v_dual_ashrrev_i32 v190, 31, v191
	v_xor_b32_e32 v188, s17, v188
	v_xor_b32_e32 v189, s18, v189
	v_bitop3_b32 v61, v61, v67, v66 bitop3:0x80
	v_mad_u32_u24 v66, v65, 36, v23
	v_xor_b32_e32 v64, s19, v64
	v_xor_b32_e32 v67, s20, v190
	s_delay_alu instid0(VALU_DEP_4) | instskip(SKIP_3) | instid1(VALU_DEP_2)
	v_bitop3_b32 v61, v61, v189, v188 bitop3:0x80
	ds_load_b32 v189, v66 offset:1056
	; wave barrier
	v_bitop3_b32 v61, v61, v67, v64 bitop3:0x80
	v_mul_u32_u24_e32 v64, 36, v65
	v_mbcnt_lo_u32_b32 v190, v61, 0
	v_cmp_ne_u32_e64 s15, 0, v61
	s_delay_alu instid0(VALU_DEP_3) | instskip(NEXT) | instid1(VALU_DEP_3)
	v_add_nc_u32_e32 v191, v23, v64
	v_cmp_eq_u32_e32 vcc_lo, 0, v190
	s_and_b32 s16, s15, vcc_lo
	s_delay_alu instid0(SALU_CYCLE_1)
	s_and_saveexec_b32 s15, s16
	s_cbranch_execz .LBB2040_1036
; %bb.1035:                             ;   in Loop: Header=BB2040_974 Depth=2
	s_wait_dscnt 0x0
	v_bcnt_u32_b32 v61, v61, v189
	ds_store_b32 v191, v61 offset:1056
.LBB2040_1036:                          ;   in Loop: Header=BB2040_974 Depth=2
	s_or_b32 exec_lo, exec_lo, s15
	v_cmp_lt_i16_e32 vcc_lo, -1, v63
	; wave barrier
	v_cndmask_b32_e64 v61, -1, 0xffff8000, vcc_lo
	s_delay_alu instid0(VALU_DEP_1) | instskip(NEXT) | instid1(VALU_DEP_1)
	v_xor_b32_e32 v188, v61, v63
	v_cmp_ne_u16_e64 vcc_lo, 0x7fff, v188
	v_cndmask_b32_e32 v61, 0xffff8000, v188, vcc_lo
	s_delay_alu instid0(VALU_DEP_1) | instskip(NEXT) | instid1(VALU_DEP_1)
	v_and_b32_e32 v61, 0xffff, v61
	v_lshrrev_b32_e32 v61, s49, v61
	s_delay_alu instid0(VALU_DEP_1) | instskip(SKIP_1) | instid1(VALU_DEP_2)
	v_bitop3_b32 v63, v61, 1, s52 bitop3:0x80
	v_and_b32_e32 v64, s52, v61
	v_add_co_u32 v61, s15, v63, -1
	s_delay_alu instid0(VALU_DEP_1) | instskip(NEXT) | instid1(VALU_DEP_3)
	v_cndmask_b32_e64 v63, 0, 1, s15
	v_lshlrev_b32_e32 v65, 30, v64
	s_delay_alu instid0(VALU_DEP_2) | instskip(NEXT) | instid1(VALU_DEP_2)
	v_cmp_ne_u32_e32 vcc_lo, 0, v63
	v_not_b32_e32 v63, v65
	s_delay_alu instid0(VALU_DEP_1) | instskip(SKIP_4) | instid1(VALU_DEP_4)
	v_dual_ashrrev_i32 v63, 31, v63 :: v_dual_bitop2_b32 v61, vcc_lo, v61 bitop3:0x14
	v_dual_lshlrev_b32 v66, 29, v64 :: v_dual_lshlrev_b32 v67, 28, v64
	v_dual_lshlrev_b32 v192, 27, v64 :: v_dual_lshlrev_b32 v193, 26, v64
	v_lshlrev_b32_e32 v194, 25, v64
	v_cmp_gt_i32_e64 s15, 0, v65
	v_cmp_gt_i32_e64 s16, 0, v66
	v_not_b32_e32 v65, v66
	v_not_b32_e32 v66, v67
	v_lshlrev_b32_e32 v195, 24, v64
	v_cmp_gt_i32_e64 s17, 0, v67
	v_cmp_gt_i32_e64 s18, 0, v192
	v_not_b32_e32 v67, v192
	v_not_b32_e32 v192, v193
	v_dual_ashrrev_i32 v65, 31, v65 :: v_dual_bitop2_b32 v63, s15, v63 bitop3:0x14
	v_ashrrev_i32_e32 v66, 31, v66
	v_cmp_gt_i32_e64 s19, 0, v193
	v_cmp_gt_i32_e64 s20, 0, v194
	v_not_b32_e32 v193, v194
	v_not_b32_e32 v194, v195
	v_dual_ashrrev_i32 v67, 31, v67 :: v_dual_ashrrev_i32 v192, 31, v192
	v_xor_b32_e32 v65, s16, v65
	v_xor_b32_e32 v66, s17, v66
	v_bitop3_b32 v61, v61, v63, exec_lo bitop3:0x80
	v_cmp_gt_i32_e64 s21, 0, v195
	v_dual_ashrrev_i32 v63, 31, v193 :: v_dual_ashrrev_i32 v193, 31, v194
	v_xor_b32_e32 v67, s18, v67
	v_xor_b32_e32 v192, s19, v192
	v_bitop3_b32 v61, v61, v66, v65 bitop3:0x80
	v_mad_u32_u24 v65, v64, 36, v23
	v_xor_b32_e32 v63, s20, v63
	v_xor_b32_e32 v66, s21, v193
	s_delay_alu instid0(VALU_DEP_4) | instskip(SKIP_3) | instid1(VALU_DEP_2)
	v_bitop3_b32 v61, v61, v192, v67 bitop3:0x80
	ds_load_b32 v193, v65 offset:1056
	; wave barrier
	v_bitop3_b32 v61, v61, v66, v63 bitop3:0x80
	v_mul_u32_u24_e32 v63, 36, v64
	v_mbcnt_lo_u32_b32 v194, v61, 0
	v_cmp_ne_u32_e64 s15, 0, v61
	s_delay_alu instid0(VALU_DEP_3) | instskip(NEXT) | instid1(VALU_DEP_3)
	v_add_nc_u32_e32 v195, v23, v63
	v_cmp_eq_u32_e32 vcc_lo, 0, v194
	s_and_b32 s16, s15, vcc_lo
	s_delay_alu instid0(SALU_CYCLE_1)
	s_and_saveexec_b32 s15, s16
	s_cbranch_execz .LBB2040_1038
; %bb.1037:                             ;   in Loop: Header=BB2040_974 Depth=2
	s_wait_dscnt 0x0
	v_bcnt_u32_b32 v61, v61, v193
	ds_store_b32 v195, v61 offset:1056
.LBB2040_1038:                          ;   in Loop: Header=BB2040_974 Depth=2
	s_or_b32 exec_lo, exec_lo, s15
	v_cmp_lt_i16_e32 vcc_lo, -1, v62
	; wave barrier
	v_cndmask_b32_e64 v61, -1, 0xffff8000, vcc_lo
	s_delay_alu instid0(VALU_DEP_1) | instskip(NEXT) | instid1(VALU_DEP_1)
	v_xor_b32_e32 v192, v61, v62
	v_cmp_ne_u16_e64 vcc_lo, 0x7fff, v192
	v_cndmask_b32_e32 v61, 0xffff8000, v192, vcc_lo
	s_delay_alu instid0(VALU_DEP_1) | instskip(NEXT) | instid1(VALU_DEP_1)
	v_and_b32_e32 v61, 0xffff, v61
	v_lshrrev_b32_e32 v61, s49, v61
	s_delay_alu instid0(VALU_DEP_1) | instskip(SKIP_1) | instid1(VALU_DEP_2)
	v_bitop3_b32 v62, v61, 1, s52 bitop3:0x80
	v_and_b32_e32 v63, s52, v61
	v_add_co_u32 v61, s15, v62, -1
	s_delay_alu instid0(VALU_DEP_1) | instskip(NEXT) | instid1(VALU_DEP_3)
	v_cndmask_b32_e64 v62, 0, 1, s15
	v_lshlrev_b32_e32 v64, 30, v63
	s_delay_alu instid0(VALU_DEP_2) | instskip(NEXT) | instid1(VALU_DEP_2)
	v_cmp_ne_u32_e32 vcc_lo, 0, v62
	v_not_b32_e32 v62, v64
	v_cmp_gt_i32_e64 s15, 0, v64
	s_delay_alu instid0(VALU_DEP_2) | instskip(SKIP_3) | instid1(VALU_DEP_4)
	v_dual_ashrrev_i32 v62, 31, v62 :: v_dual_lshlrev_b32 v65, 29, v63
	v_dual_lshlrev_b32 v66, 28, v63 :: v_dual_lshlrev_b32 v67, 27, v63
	v_dual_lshlrev_b32 v196, 26, v63 :: v_dual_lshlrev_b32 v197, 25, v63
	v_lshlrev_b32_e32 v198, 24, v63
	v_cmp_gt_i32_e64 s16, 0, v65
	v_not_b32_e32 v64, v65
	v_not_b32_e32 v65, v66
	v_cmp_gt_i32_e64 s17, 0, v66
	v_cmp_gt_i32_e64 s18, 0, v67
	v_not_b32_e32 v66, v67
	v_not_b32_e32 v67, v196
	v_dual_ashrrev_i32 v64, 31, v64 :: v_dual_bitop2_b32 v61, vcc_lo, v61 bitop3:0x14
	v_dual_ashrrev_i32 v65, 31, v65 :: v_dual_bitop2_b32 v62, s15, v62 bitop3:0x14
	v_cmp_gt_i32_e64 s19, 0, v196
	v_cmp_gt_i32_e64 s20, 0, v197
	v_not_b32_e32 v196, v197
	v_not_b32_e32 v197, v198
	v_dual_ashrrev_i32 v66, 31, v66 :: v_dual_ashrrev_i32 v67, 31, v67
	v_xor_b32_e32 v64, s16, v64
	v_xor_b32_e32 v65, s17, v65
	v_bitop3_b32 v61, v61, v62, exec_lo bitop3:0x80
	v_cmp_gt_i32_e64 s21, 0, v198
	v_dual_ashrrev_i32 v62, 31, v196 :: v_dual_ashrrev_i32 v196, 31, v197
	v_xor_b32_e32 v66, s18, v66
	v_xor_b32_e32 v67, s19, v67
	v_bitop3_b32 v61, v61, v65, v64 bitop3:0x80
	v_mad_u32_u24 v64, v63, 36, v23
	v_xor_b32_e32 v62, s20, v62
	v_xor_b32_e32 v65, s21, v196
	s_delay_alu instid0(VALU_DEP_4) | instskip(SKIP_3) | instid1(VALU_DEP_2)
	v_bitop3_b32 v61, v61, v67, v66 bitop3:0x80
	ds_load_b32 v197, v64 offset:1056
	; wave barrier
	v_bitop3_b32 v61, v61, v65, v62 bitop3:0x80
	v_mul_u32_u24_e32 v62, 36, v63
	v_mbcnt_lo_u32_b32 v198, v61, 0
	v_cmp_ne_u32_e64 s15, 0, v61
	s_delay_alu instid0(VALU_DEP_3) | instskip(NEXT) | instid1(VALU_DEP_3)
	v_add_nc_u32_e32 v199, v23, v62
	v_cmp_eq_u32_e32 vcc_lo, 0, v198
	s_and_b32 s16, s15, vcc_lo
	s_delay_alu instid0(SALU_CYCLE_1)
	s_and_saveexec_b32 s15, s16
	s_cbranch_execz .LBB2040_1040
; %bb.1039:                             ;   in Loop: Header=BB2040_974 Depth=2
	s_wait_dscnt 0x0
	v_bcnt_u32_b32 v61, v61, v197
	ds_store_b32 v199, v61 offset:1056
.LBB2040_1040:                          ;   in Loop: Header=BB2040_974 Depth=2
	s_or_b32 exec_lo, exec_lo, s15
	v_cmp_lt_i16_e32 vcc_lo, -1, v60
	; wave barrier
	v_cndmask_b32_e64 v61, -1, 0xffff8000, vcc_lo
	s_delay_alu instid0(VALU_DEP_1) | instskip(NEXT) | instid1(VALU_DEP_1)
	v_xor_b32_e32 v196, v61, v60
	v_cmp_ne_u16_e64 vcc_lo, 0x7fff, v196
	v_cndmask_b32_e32 v60, 0xffff8000, v196, vcc_lo
	s_delay_alu instid0(VALU_DEP_1) | instskip(NEXT) | instid1(VALU_DEP_1)
	v_and_b32_e32 v60, 0xffff, v60
	v_lshrrev_b32_e32 v60, s49, v60
	s_delay_alu instid0(VALU_DEP_1) | instskip(SKIP_1) | instid1(VALU_DEP_2)
	v_bitop3_b32 v61, v60, 1, s52 bitop3:0x80
	v_and_b32_e32 v62, s52, v60
	v_add_co_u32 v60, s15, v61, -1
	s_delay_alu instid0(VALU_DEP_1) | instskip(NEXT) | instid1(VALU_DEP_3)
	v_cndmask_b32_e64 v61, 0, 1, s15
	v_lshlrev_b32_e32 v63, 30, v62
	s_delay_alu instid0(VALU_DEP_2) | instskip(NEXT) | instid1(VALU_DEP_2)
	v_cmp_ne_u32_e32 vcc_lo, 0, v61
	v_not_b32_e32 v61, v63
	v_cmp_gt_i32_e64 s15, 0, v63
	s_delay_alu instid0(VALU_DEP_2) | instskip(SKIP_3) | instid1(VALU_DEP_4)
	v_dual_ashrrev_i32 v61, 31, v61 :: v_dual_lshlrev_b32 v64, 29, v62
	v_dual_lshlrev_b32 v65, 28, v62 :: v_dual_lshlrev_b32 v66, 27, v62
	v_dual_lshlrev_b32 v67, 26, v62 :: v_dual_lshlrev_b32 v200, 25, v62
	v_lshlrev_b32_e32 v201, 24, v62
	v_cmp_gt_i32_e64 s16, 0, v64
	v_not_b32_e32 v63, v64
	v_not_b32_e32 v64, v65
	v_cmp_gt_i32_e64 s17, 0, v65
	v_cmp_gt_i32_e64 s18, 0, v66
	v_not_b32_e32 v65, v66
	v_not_b32_e32 v66, v67
	v_dual_ashrrev_i32 v63, 31, v63 :: v_dual_bitop2_b32 v60, vcc_lo, v60 bitop3:0x14
	v_dual_ashrrev_i32 v64, 31, v64 :: v_dual_bitop2_b32 v61, s15, v61 bitop3:0x14
	v_cmp_gt_i32_e64 s19, 0, v67
	v_cmp_gt_i32_e64 s20, 0, v200
	v_not_b32_e32 v67, v200
	v_not_b32_e32 v200, v201
	v_dual_ashrrev_i32 v65, 31, v65 :: v_dual_ashrrev_i32 v66, 31, v66
	v_xor_b32_e32 v63, s16, v63
	v_xor_b32_e32 v64, s17, v64
	v_bitop3_b32 v60, v60, v61, exec_lo bitop3:0x80
	v_cmp_gt_i32_e64 s21, 0, v201
	v_dual_ashrrev_i32 v61, 31, v67 :: v_dual_ashrrev_i32 v67, 31, v200
	v_xor_b32_e32 v65, s18, v65
	v_xor_b32_e32 v66, s19, v66
	v_bitop3_b32 v60, v60, v64, v63 bitop3:0x80
	v_mad_u32_u24 v63, v62, 36, v23
	v_xor_b32_e32 v61, s20, v61
	v_xor_b32_e32 v64, s21, v67
	s_delay_alu instid0(VALU_DEP_4) | instskip(SKIP_3) | instid1(VALU_DEP_2)
	v_bitop3_b32 v60, v60, v66, v65 bitop3:0x80
	ds_load_b32 v200, v63 offset:1056
	; wave barrier
	v_bitop3_b32 v60, v60, v64, v61 bitop3:0x80
	v_mul_u32_u24_e32 v61, 36, v62
	v_mbcnt_lo_u32_b32 v201, v60, 0
	v_cmp_ne_u32_e64 s15, 0, v60
	s_delay_alu instid0(VALU_DEP_3) | instskip(NEXT) | instid1(VALU_DEP_3)
	v_add_nc_u32_e32 v202, v23, v61
	v_cmp_eq_u32_e32 vcc_lo, 0, v201
	s_and_b32 s16, s15, vcc_lo
	s_delay_alu instid0(SALU_CYCLE_1)
	s_and_saveexec_b32 s15, s16
	s_cbranch_execz .LBB2040_1042
; %bb.1041:                             ;   in Loop: Header=BB2040_974 Depth=2
	s_wait_dscnt 0x0
	v_bcnt_u32_b32 v60, v60, v200
	ds_store_b32 v202, v60 offset:1056
.LBB2040_1042:                          ;   in Loop: Header=BB2040_974 Depth=2
	s_or_b32 exec_lo, exec_lo, s15
	; wave barrier
	s_wait_dscnt 0x0
	s_barrier_signal -1
	s_barrier_wait -1
	ds_load_2addr_b32 v[66:67], v118 offset1:1
	ds_load_2addr_b32 v[64:65], v119 offset1:1
	;; [unrolled: 1-line block ×4, first 2 shown]
	ds_load_b32 v203, v91 offset:1088
	s_wait_dscnt 0x3
	v_add3_u32 v204, v67, v66, v64
	s_wait_dscnt 0x2
	s_delay_alu instid0(VALU_DEP_1) | instskip(SKIP_1) | instid1(VALU_DEP_1)
	v_add3_u32 v204, v204, v65, v62
	s_wait_dscnt 0x1
	v_add3_u32 v204, v204, v63, v60
	s_wait_dscnt 0x0
	s_delay_alu instid0(VALU_DEP_1) | instskip(NEXT) | instid1(VALU_DEP_1)
	v_add3_u32 v203, v204, v61, v203
	v_mov_b32_dpp v204, v203 row_shr:1 row_mask:0xf bank_mask:0xf
	s_delay_alu instid0(VALU_DEP_1) | instskip(NEXT) | instid1(VALU_DEP_1)
	v_cndmask_b32_e64 v204, v204, 0, s7
	v_add_nc_u32_e32 v203, v204, v203
	s_delay_alu instid0(VALU_DEP_1) | instskip(NEXT) | instid1(VALU_DEP_1)
	v_mov_b32_dpp v204, v203 row_shr:2 row_mask:0xf bank_mask:0xf
	v_cndmask_b32_e64 v204, 0, v204, s8
	s_delay_alu instid0(VALU_DEP_1) | instskip(NEXT) | instid1(VALU_DEP_1)
	v_add_nc_u32_e32 v203, v203, v204
	v_mov_b32_dpp v204, v203 row_shr:4 row_mask:0xf bank_mask:0xf
	s_delay_alu instid0(VALU_DEP_1) | instskip(NEXT) | instid1(VALU_DEP_1)
	v_cndmask_b32_e64 v204, 0, v204, s9
	v_add_nc_u32_e32 v203, v203, v204
	s_delay_alu instid0(VALU_DEP_1) | instskip(NEXT) | instid1(VALU_DEP_1)
	v_mov_b32_dpp v204, v203 row_shr:8 row_mask:0xf bank_mask:0xf
	v_cndmask_b32_e64 v204, 0, v204, s10
	s_delay_alu instid0(VALU_DEP_1) | instskip(SKIP_3) | instid1(VALU_DEP_1)
	v_add_nc_u32_e32 v203, v203, v204
	ds_swizzle_b32 v204, v203 offset:swizzle(BROADCAST,32,15)
	s_wait_dscnt 0x0
	v_cndmask_b32_e64 v204, v204, 0, s11
	v_add_nc_u32_e32 v203, v203, v204
	s_and_saveexec_b32 s15, s1
; %bb.1043:                             ;   in Loop: Header=BB2040_974 Depth=2
	ds_store_b32 v84, v203 offset:1024
; %bb.1044:                             ;   in Loop: Header=BB2040_974 Depth=2
	s_or_b32 exec_lo, exec_lo, s15
	s_wait_dscnt 0x0
	s_barrier_signal -1
	s_barrier_wait -1
	s_and_saveexec_b32 s15, s4
	s_cbranch_execz .LBB2040_1046
; %bb.1045:                             ;   in Loop: Header=BB2040_974 Depth=2
	ds_load_b32 v204, v92 offset:1024
	s_wait_dscnt 0x0
	v_mov_b32_dpp v205, v204 row_shr:1 row_mask:0xf bank_mask:0xf
	s_delay_alu instid0(VALU_DEP_1) | instskip(NEXT) | instid1(VALU_DEP_1)
	v_cndmask_b32_e64 v205, v205, 0, s12
	v_add_nc_u32_e32 v204, v205, v204
	s_delay_alu instid0(VALU_DEP_1) | instskip(NEXT) | instid1(VALU_DEP_1)
	v_mov_b32_dpp v205, v204 row_shr:2 row_mask:0xf bank_mask:0xf
	v_cndmask_b32_e64 v205, 0, v205, s13
	s_delay_alu instid0(VALU_DEP_1) | instskip(NEXT) | instid1(VALU_DEP_1)
	v_add_nc_u32_e32 v204, v204, v205
	v_mov_b32_dpp v205, v204 row_shr:4 row_mask:0xf bank_mask:0xf
	s_delay_alu instid0(VALU_DEP_1) | instskip(NEXT) | instid1(VALU_DEP_1)
	v_cndmask_b32_e64 v205, 0, v205, s14
	v_add_nc_u32_e32 v204, v204, v205
	ds_store_b32 v92, v204 offset:1024
.LBB2040_1046:                          ;   in Loop: Header=BB2040_974 Depth=2
	s_or_b32 exec_lo, exec_lo, s15
	v_mov_b32_e32 v204, 0
	s_wait_dscnt 0x0
	s_barrier_signal -1
	s_barrier_wait -1
	s_and_saveexec_b32 s15, s5
; %bb.1047:                             ;   in Loop: Header=BB2040_974 Depth=2
	ds_load_b32 v204, v84 offset:1020
; %bb.1048:                             ;   in Loop: Header=BB2040_974 Depth=2
	s_or_b32 exec_lo, exec_lo, s15
	s_wait_dscnt 0x0
	v_add_nc_u32_e32 v203, v204, v203
	ds_bpermute_b32 v203, v122, v203
	s_wait_dscnt 0x0
	v_cndmask_b32_e64 v203, v203, v204, s6
	s_delay_alu instid0(VALU_DEP_1) | instskip(NEXT) | instid1(VALU_DEP_1)
	v_cndmask_b32_e64 v203, v203, 0, s2
	v_add_nc_u32_e32 v66, v203, v66
	s_delay_alu instid0(VALU_DEP_1) | instskip(NEXT) | instid1(VALU_DEP_1)
	v_add_nc_u32_e32 v67, v66, v67
	v_add_nc_u32_e32 v64, v67, v64
	s_delay_alu instid0(VALU_DEP_1) | instskip(NEXT) | instid1(VALU_DEP_1)
	v_add_nc_u32_e32 v65, v64, v65
	;; [unrolled: 3-line block ×3, first 2 shown]
	v_add_nc_u32_e32 v60, v63, v60
	s_delay_alu instid0(VALU_DEP_1)
	v_add_nc_u32_e32 v61, v60, v61
	ds_store_2addr_b32 v121, v63, v60 offset1:1
	ds_store_2addr_b32 v118, v203, v66 offset1:1
	;; [unrolled: 1-line block ×4, first 2 shown]
	ds_store_b32 v91, v61 offset:1088
	s_wait_dscnt 0x0
	s_barrier_signal -1
	s_barrier_wait -1
	ds_load_b32 v63, v143 offset:1056
	ds_load_b32 v65, v147 offset:1056
	;; [unrolled: 1-line block ×17, first 2 shown]
	v_mov_b32_e32 v62, 0x1000
	s_and_saveexec_b32 s15, s3
; %bb.1049:                             ;   in Loop: Header=BB2040_974 Depth=2
	ds_load_b32 v62, v91 offset:1092
; %bb.1050:                             ;   in Loop: Header=BB2040_974 Depth=2
	s_or_b32 exec_lo, exec_lo, s15
	s_wait_dscnt 0x0
	s_barrier_signal -1
	s_barrier_wait -1
	s_and_saveexec_b32 s15, s0
	s_cbranch_execz .LBB2040_1052
; %bb.1051:                             ;   in Loop: Header=BB2040_974 Depth=2
	ds_load_b32 v155, v3
	s_wait_dscnt 0x0
	v_sub_nc_u32_e32 v151, v155, v151
	ds_store_b32 v3, v151
.LBB2040_1052:                          ;   in Loop: Header=BB2040_974 Depth=2
	s_or_b32 exec_lo, exec_lo, s15
	v_add3_u32 v159, v146, v145, v65
	v_add_nc_u32_e32 v163, v63, v142
	v_add3_u32 v155, v150, v149, v66
	v_add3_u32 v151, v154, v153, v67
	;; [unrolled: 1-line block ×4, first 2 shown]
	v_lshlrev_b32_e32 v60, 1, v159
	v_lshlrev_b32_e32 v153, 1, v163
	v_add3_u32 v150, v158, v157, v143
	v_add3_u32 v147, v166, v165, v203
	;; [unrolled: 1-line block ×4, first 2 shown]
	v_lshlrev_b32_e32 v61, 1, v155
	v_add3_u32 v145, v174, v173, v175
	v_lshlrev_b32_e32 v154, 1, v149
	ds_store_b16 v153, v140 offset:1024
	v_lshlrev_b32_e32 v140, 1, v151
	v_add3_u32 v143, v178, v177, v179
	v_lshlrev_b32_e32 v153, 1, v150
	v_add3_u32 v142, v182, v181, v183
	v_add3_u32 v63, v186, v185, v187
	ds_store_b16 v60, v141 offset:1024
	ds_store_b16 v61, v144 offset:1024
	;; [unrolled: 1-line block ×5, first 2 shown]
	v_dual_lshlrev_b32 v60, 1, v147 :: v_dual_lshlrev_b32 v140, 1, v145
	v_lshlrev_b32_e32 v61, 1, v146
	v_add3_u32 v65, v198, v197, v64
	v_dual_lshlrev_b32 v141, 1, v143 :: v_dual_lshlrev_b32 v144, 1, v142
	v_add3_u32 v64, v201, v200, v167
	ds_store_b16 v60, v160 offset:1024
	ds_store_b16 v61, v164 offset:1024
	;; [unrolled: 1-line block ×5, first 2 shown]
	v_dual_lshlrev_b32 v60, 1, v63 :: v_dual_lshlrev_b32 v140, 1, v66
	v_cmp_lt_u32_e32 vcc_lo, v2, v139
	v_dual_lshlrev_b32 v61, 1, v67 :: v_dual_lshlrev_b32 v141, 1, v65
	v_lshlrev_b32_e32 v144, 1, v64
	ds_store_b16 v60, v180 offset:1024
	ds_store_b16 v61, v184 offset:1024
	;; [unrolled: 1-line block ×5, first 2 shown]
	s_wait_dscnt 0x0
	s_barrier_signal -1
	s_barrier_wait -1
	s_and_saveexec_b32 s16, vcc_lo
	s_cbranch_execnz .LBB2040_1121
; %bb.1053:                             ;   in Loop: Header=BB2040_974 Depth=2
	s_or_b32 exec_lo, exec_lo, s16
	v_cmp_lt_u32_e64 s15, v68, v139
	s_and_saveexec_b32 s17, s15
	s_cbranch_execnz .LBB2040_1122
.LBB2040_1054:                          ;   in Loop: Header=BB2040_974 Depth=2
	s_or_b32 exec_lo, exec_lo, s17
	v_cmp_lt_u32_e64 s16, v69, v139
	s_and_saveexec_b32 s18, s16
	s_cbranch_execnz .LBB2040_1123
.LBB2040_1055:                          ;   in Loop: Header=BB2040_974 Depth=2
	s_or_b32 exec_lo, exec_lo, s18
	v_cmp_lt_u32_e64 s17, v70, v139
	s_and_saveexec_b32 s19, s17
	s_cbranch_execnz .LBB2040_1124
.LBB2040_1056:                          ;   in Loop: Header=BB2040_974 Depth=2
	s_or_b32 exec_lo, exec_lo, s19
	v_cmp_lt_u32_e64 s18, v71, v139
	s_and_saveexec_b32 s20, s18
	s_cbranch_execnz .LBB2040_1125
.LBB2040_1057:                          ;   in Loop: Header=BB2040_974 Depth=2
	s_or_b32 exec_lo, exec_lo, s20
	v_cmp_lt_u32_e64 s19, v72, v139
	s_and_saveexec_b32 s21, s19
	s_cbranch_execnz .LBB2040_1126
.LBB2040_1058:                          ;   in Loop: Header=BB2040_974 Depth=2
	s_or_b32 exec_lo, exec_lo, s21
	v_cmp_lt_u32_e64 s20, v73, v139
	s_and_saveexec_b32 s22, s20
	s_cbranch_execnz .LBB2040_1127
.LBB2040_1059:                          ;   in Loop: Header=BB2040_974 Depth=2
	s_or_b32 exec_lo, exec_lo, s22
	v_cmp_lt_u32_e64 s21, v74, v139
	s_and_saveexec_b32 s23, s21
	s_cbranch_execnz .LBB2040_1128
.LBB2040_1060:                          ;   in Loop: Header=BB2040_974 Depth=2
	s_or_b32 exec_lo, exec_lo, s23
	v_cmp_lt_u32_e64 s22, v75, v139
	s_and_saveexec_b32 s24, s22
	s_cbranch_execnz .LBB2040_1129
.LBB2040_1061:                          ;   in Loop: Header=BB2040_974 Depth=2
	s_or_b32 exec_lo, exec_lo, s24
	v_cmp_lt_u32_e64 s23, v76, v139
	s_and_saveexec_b32 s25, s23
	s_cbranch_execnz .LBB2040_1130
.LBB2040_1062:                          ;   in Loop: Header=BB2040_974 Depth=2
	s_or_b32 exec_lo, exec_lo, s25
	v_cmp_lt_u32_e64 s24, v77, v139
	s_and_saveexec_b32 s26, s24
	s_cbranch_execnz .LBB2040_1131
.LBB2040_1063:                          ;   in Loop: Header=BB2040_974 Depth=2
	s_or_b32 exec_lo, exec_lo, s26
	v_cmp_lt_u32_e64 s25, v78, v139
	s_and_saveexec_b32 s27, s25
	s_cbranch_execnz .LBB2040_1132
.LBB2040_1064:                          ;   in Loop: Header=BB2040_974 Depth=2
	s_or_b32 exec_lo, exec_lo, s27
	v_cmp_lt_u32_e64 s26, v79, v139
	s_and_saveexec_b32 s28, s26
	s_cbranch_execnz .LBB2040_1133
.LBB2040_1065:                          ;   in Loop: Header=BB2040_974 Depth=2
	s_or_b32 exec_lo, exec_lo, s28
	v_cmp_lt_u32_e64 s27, v80, v139
	s_and_saveexec_b32 s29, s27
	s_cbranch_execnz .LBB2040_1134
.LBB2040_1066:                          ;   in Loop: Header=BB2040_974 Depth=2
	s_or_b32 exec_lo, exec_lo, s29
	v_cmp_lt_u32_e64 s28, v81, v139
	s_and_saveexec_b32 s30, s28
	s_cbranch_execnz .LBB2040_1135
.LBB2040_1067:                          ;   in Loop: Header=BB2040_974 Depth=2
	s_or_b32 exec_lo, exec_lo, s30
	v_cmp_lt_u32_e64 s29, v82, v139
	s_and_saveexec_b32 s58, s29
	s_cbranch_execz .LBB2040_1069
.LBB2040_1068:                          ;   in Loop: Header=BB2040_974 Depth=2
	ds_load_u16 v60, v93 offset:8704
	s_wait_dscnt 0x0
	v_cmp_ne_u16_e64 s30, 0x7fff, v60
	s_delay_alu instid0(VALU_DEP_1) | instskip(SKIP_1) | instid1(VALU_DEP_2)
	v_cndmask_b32_e64 v61, 0xffff8000, v60, s30
	v_cmp_lt_i16_e64 s30, -1, v60
	v_and_b32_e32 v61, 0xffff, v61
	s_delay_alu instid0(VALU_DEP_2) | instskip(NEXT) | instid1(VALU_DEP_1)
	v_cndmask_b32_e64 v140, 0xffff8000, -1, s30
	v_dual_lshrrev_b32 v61, s49, v61 :: v_dual_bitop2_b32 v60, v140, v60 bitop3:0x14
	s_delay_alu instid0(VALU_DEP_1) | instskip(NEXT) | instid1(VALU_DEP_1)
	v_and_b32_e32 v61, s52, v61
	v_lshlrev_b32_e32 v61, 2, v61
	ds_load_b32 v61, v61
	s_wait_dscnt 0x0
	v_add_nc_u32_e32 v61, v61, v82
	global_store_b16 v61, v60, s[40:41] scale_offset
.LBB2040_1069:                          ;   in Loop: Header=BB2040_974 Depth=2
	s_wait_xcnt 0x0
	s_or_b32 exec_lo, exec_lo, s58
	v_lshl_add_u64 v[60:61], s[42:43], 3, v[24:25]
	v_cmp_lt_u32_e64 s30, v100, v139
	s_and_saveexec_b32 s42, s30
	s_delay_alu instid0(SALU_CYCLE_1)
	s_xor_b32 s30, exec_lo, s42
	s_cbranch_execnz .LBB2040_1136
; %bb.1070:                             ;   in Loop: Header=BB2040_974 Depth=2
	s_or_b32 exec_lo, exec_lo, s30
	s_delay_alu instid0(SALU_CYCLE_1)
	s_mov_b32 s42, exec_lo
	v_cmpx_lt_u32_e64 v103, v139
	s_cbranch_execnz .LBB2040_1137
.LBB2040_1071:                          ;   in Loop: Header=BB2040_974 Depth=2
	s_or_b32 exec_lo, exec_lo, s42
	s_delay_alu instid0(SALU_CYCLE_1)
	s_mov_b32 s42, exec_lo
	v_cmpx_lt_u32_e64 v104, v139
	s_cbranch_execnz .LBB2040_1138
.LBB2040_1072:                          ;   in Loop: Header=BB2040_974 Depth=2
	s_or_b32 exec_lo, exec_lo, s42
	s_delay_alu instid0(SALU_CYCLE_1)
	s_mov_b32 s42, exec_lo
	v_cmpx_lt_u32_e64 v105, v139
	s_cbranch_execnz .LBB2040_1139
.LBB2040_1073:                          ;   in Loop: Header=BB2040_974 Depth=2
	s_or_b32 exec_lo, exec_lo, s42
	s_delay_alu instid0(SALU_CYCLE_1)
	s_mov_b32 s42, exec_lo
	v_cmpx_lt_u32_e64 v106, v139
	s_cbranch_execnz .LBB2040_1140
.LBB2040_1074:                          ;   in Loop: Header=BB2040_974 Depth=2
	s_or_b32 exec_lo, exec_lo, s42
	s_delay_alu instid0(SALU_CYCLE_1)
	s_mov_b32 s42, exec_lo
	v_cmpx_lt_u32_e64 v107, v139
	s_cbranch_execnz .LBB2040_1141
.LBB2040_1075:                          ;   in Loop: Header=BB2040_974 Depth=2
	s_or_b32 exec_lo, exec_lo, s42
	s_delay_alu instid0(SALU_CYCLE_1)
	s_mov_b32 s42, exec_lo
	v_cmpx_lt_u32_e64 v108, v139
	s_cbranch_execnz .LBB2040_1142
.LBB2040_1076:                          ;   in Loop: Header=BB2040_974 Depth=2
	s_or_b32 exec_lo, exec_lo, s42
	s_delay_alu instid0(SALU_CYCLE_1)
	s_mov_b32 s42, exec_lo
	v_cmpx_lt_u32_e64 v109, v139
	s_cbranch_execnz .LBB2040_1143
.LBB2040_1077:                          ;   in Loop: Header=BB2040_974 Depth=2
	s_or_b32 exec_lo, exec_lo, s42
	s_delay_alu instid0(SALU_CYCLE_1)
	s_mov_b32 s42, exec_lo
	v_cmpx_lt_u32_e64 v110, v139
	s_cbranch_execnz .LBB2040_1144
.LBB2040_1078:                          ;   in Loop: Header=BB2040_974 Depth=2
	s_or_b32 exec_lo, exec_lo, s42
	s_delay_alu instid0(SALU_CYCLE_1)
	s_mov_b32 s42, exec_lo
	v_cmpx_lt_u32_e64 v111, v139
	s_cbranch_execnz .LBB2040_1145
.LBB2040_1079:                          ;   in Loop: Header=BB2040_974 Depth=2
	s_or_b32 exec_lo, exec_lo, s42
	s_delay_alu instid0(SALU_CYCLE_1)
	s_mov_b32 s42, exec_lo
	v_cmpx_lt_u32_e64 v112, v139
	s_cbranch_execnz .LBB2040_1146
.LBB2040_1080:                          ;   in Loop: Header=BB2040_974 Depth=2
	s_or_b32 exec_lo, exec_lo, s42
	s_delay_alu instid0(SALU_CYCLE_1)
	s_mov_b32 s42, exec_lo
	v_cmpx_lt_u32_e64 v113, v139
	s_cbranch_execnz .LBB2040_1147
.LBB2040_1081:                          ;   in Loop: Header=BB2040_974 Depth=2
	s_or_b32 exec_lo, exec_lo, s42
	s_delay_alu instid0(SALU_CYCLE_1)
	s_mov_b32 s42, exec_lo
	v_cmpx_lt_u32_e64 v114, v139
	s_cbranch_execnz .LBB2040_1148
.LBB2040_1082:                          ;   in Loop: Header=BB2040_974 Depth=2
	s_or_b32 exec_lo, exec_lo, s42
	s_delay_alu instid0(SALU_CYCLE_1)
	s_mov_b32 s42, exec_lo
	v_cmpx_lt_u32_e64 v115, v139
	s_cbranch_execnz .LBB2040_1149
.LBB2040_1083:                          ;   in Loop: Header=BB2040_974 Depth=2
	s_or_b32 exec_lo, exec_lo, s42
	s_delay_alu instid0(SALU_CYCLE_1)
	s_mov_b32 s42, exec_lo
	v_cmpx_lt_u32_e64 v116, v139
	s_cbranch_execnz .LBB2040_1150
.LBB2040_1084:                          ;   in Loop: Header=BB2040_974 Depth=2
	s_or_b32 exec_lo, exec_lo, s42
	s_delay_alu instid0(SALU_CYCLE_1)
	s_mov_b32 s42, exec_lo
	v_cmpx_lt_u32_e64 v117, v139
	s_cbranch_execnz .LBB2040_1151
.LBB2040_1085:                          ;   in Loop: Header=BB2040_974 Depth=2
	s_or_b32 exec_lo, exec_lo, s42
	s_and_saveexec_b32 s42, vcc_lo
	s_cbranch_execnz .LBB2040_1152
.LBB2040_1086:                          ;   in Loop: Header=BB2040_974 Depth=2
	s_or_b32 exec_lo, exec_lo, s42
	s_and_saveexec_b32 s42, s15
	s_cbranch_execnz .LBB2040_1153
.LBB2040_1087:                          ;   in Loop: Header=BB2040_974 Depth=2
	s_or_b32 exec_lo, exec_lo, s42
	s_and_saveexec_b32 s42, s16
	s_cbranch_execnz .LBB2040_1154
.LBB2040_1088:                          ;   in Loop: Header=BB2040_974 Depth=2
	s_or_b32 exec_lo, exec_lo, s42
	s_and_saveexec_b32 s42, s17
	s_cbranch_execnz .LBB2040_1155
.LBB2040_1089:                          ;   in Loop: Header=BB2040_974 Depth=2
	s_or_b32 exec_lo, exec_lo, s42
	s_and_saveexec_b32 s42, s18
	s_cbranch_execnz .LBB2040_1156
.LBB2040_1090:                          ;   in Loop: Header=BB2040_974 Depth=2
	s_or_b32 exec_lo, exec_lo, s42
	s_and_saveexec_b32 s42, s19
	s_cbranch_execnz .LBB2040_1157
.LBB2040_1091:                          ;   in Loop: Header=BB2040_974 Depth=2
	s_or_b32 exec_lo, exec_lo, s42
	s_and_saveexec_b32 s42, s20
	s_cbranch_execnz .LBB2040_1158
.LBB2040_1092:                          ;   in Loop: Header=BB2040_974 Depth=2
	s_or_b32 exec_lo, exec_lo, s42
	s_and_saveexec_b32 s42, s21
	s_cbranch_execnz .LBB2040_1159
.LBB2040_1093:                          ;   in Loop: Header=BB2040_974 Depth=2
	s_or_b32 exec_lo, exec_lo, s42
	s_and_saveexec_b32 s42, s22
	s_cbranch_execnz .LBB2040_1160
.LBB2040_1094:                          ;   in Loop: Header=BB2040_974 Depth=2
	s_or_b32 exec_lo, exec_lo, s42
	s_and_saveexec_b32 s42, s23
	s_cbranch_execnz .LBB2040_1161
.LBB2040_1095:                          ;   in Loop: Header=BB2040_974 Depth=2
	s_or_b32 exec_lo, exec_lo, s42
	s_and_saveexec_b32 s42, s24
	s_cbranch_execnz .LBB2040_1162
.LBB2040_1096:                          ;   in Loop: Header=BB2040_974 Depth=2
	s_or_b32 exec_lo, exec_lo, s42
	s_and_saveexec_b32 s42, s25
	s_cbranch_execnz .LBB2040_1163
.LBB2040_1097:                          ;   in Loop: Header=BB2040_974 Depth=2
	s_or_b32 exec_lo, exec_lo, s42
	s_and_saveexec_b32 s42, s26
	s_cbranch_execnz .LBB2040_1164
.LBB2040_1098:                          ;   in Loop: Header=BB2040_974 Depth=2
	s_or_b32 exec_lo, exec_lo, s42
	s_and_saveexec_b32 s42, s27
	s_cbranch_execnz .LBB2040_1165
.LBB2040_1099:                          ;   in Loop: Header=BB2040_974 Depth=2
	s_or_b32 exec_lo, exec_lo, s42
	s_and_saveexec_b32 s42, s28
	s_cbranch_execnz .LBB2040_1166
.LBB2040_1100:                          ;   in Loop: Header=BB2040_974 Depth=2
	s_or_b32 exec_lo, exec_lo, s42
	s_and_saveexec_b32 s42, s29
	s_cbranch_execz .LBB2040_1102
.LBB2040_1101:                          ;   in Loop: Header=BB2040_974 Depth=2
	ds_load_u16 v60, v93 offset:8704
	s_wait_dscnt 0x0
	v_cmp_ne_u16_e64 s30, 0x7fff, v60
	s_delay_alu instid0(VALU_DEP_1) | instskip(NEXT) | instid1(VALU_DEP_1)
	v_cndmask_b32_e64 v60, 0xffff8000, v60, s30
	v_and_b32_e32 v60, 0xffff, v60
	s_delay_alu instid0(VALU_DEP_1) | instskip(NEXT) | instid1(VALU_DEP_1)
	v_lshrrev_b32_e32 v60, s49, v60
	v_and_b32_e32 v123, s52, v60
.LBB2040_1102:                          ;   in Loop: Header=BB2040_974 Depth=2
	s_or_b32 exec_lo, exec_lo, s42
	v_dual_lshlrev_b32 v60, 3, v163 :: v_dual_lshlrev_b32 v140, 3, v150
	s_wait_loadcnt 0x0
	s_wait_storecnt 0x0
	s_barrier_signal -1
	s_barrier_wait -1
	ds_store_b64 v60, v[58:59] offset:1024
	v_dual_lshlrev_b32 v60, 3, v159 :: v_dual_lshlrev_b32 v141, 3, v149
	v_lshlrev_b32_e32 v61, 3, v155
	v_lshlrev_b32_e32 v139, 3, v151
	ds_store_b64 v60, v[56:57] offset:1024
	ds_store_b64 v61, v[54:55] offset:1024
	;; [unrolled: 1-line block ×5, first 2 shown]
	v_dual_lshlrev_b32 v60, 3, v147 :: v_dual_lshlrev_b32 v141, 3, v142
	v_dual_lshlrev_b32 v61, 3, v146 :: v_dual_lshlrev_b32 v139, 3, v145
	v_lshlrev_b32_e32 v140, 3, v143
	ds_store_b64 v60, v[46:47] offset:1024
	ds_store_b64 v61, v[44:45] offset:1024
	;; [unrolled: 1-line block ×5, first 2 shown]
	v_dual_lshlrev_b32 v60, 3, v63 :: v_dual_lshlrev_b32 v65, 3, v65
	v_dual_lshlrev_b32 v61, 3, v67 :: v_dual_lshlrev_b32 v64, 3, v64
	v_lshlrev_b32_e32 v63, 3, v66
	ds_store_b64 v60, v[36:37] offset:1024
	ds_store_b64 v61, v[34:35] offset:1024
	;; [unrolled: 1-line block ×5, first 2 shown]
	v_add_nc_u32_e32 v60, v93, v94
	s_wait_dscnt 0x0
	s_barrier_signal -1
	s_barrier_wait -1
	s_and_saveexec_b32 s30, vcc_lo
	s_cbranch_execnz .LBB2040_1167
; %bb.1103:                             ;   in Loop: Header=BB2040_974 Depth=2
	s_or_b32 exec_lo, exec_lo, s30
	s_and_saveexec_b32 s30, s15
	s_cbranch_execnz .LBB2040_1168
.LBB2040_1104:                          ;   in Loop: Header=BB2040_974 Depth=2
	s_or_b32 exec_lo, exec_lo, s30
	s_and_saveexec_b32 s15, s16
	s_cbranch_execnz .LBB2040_1169
.LBB2040_1105:                          ;   in Loop: Header=BB2040_974 Depth=2
	s_or_b32 exec_lo, exec_lo, s15
	s_and_saveexec_b32 s15, s17
	s_cbranch_execnz .LBB2040_1170
.LBB2040_1106:                          ;   in Loop: Header=BB2040_974 Depth=2
	s_or_b32 exec_lo, exec_lo, s15
	s_and_saveexec_b32 s15, s18
	s_cbranch_execnz .LBB2040_1171
.LBB2040_1107:                          ;   in Loop: Header=BB2040_974 Depth=2
	s_or_b32 exec_lo, exec_lo, s15
	s_and_saveexec_b32 s15, s19
	s_cbranch_execnz .LBB2040_1172
.LBB2040_1108:                          ;   in Loop: Header=BB2040_974 Depth=2
	s_or_b32 exec_lo, exec_lo, s15
	s_and_saveexec_b32 s15, s20
	s_cbranch_execnz .LBB2040_1173
.LBB2040_1109:                          ;   in Loop: Header=BB2040_974 Depth=2
	s_or_b32 exec_lo, exec_lo, s15
	s_and_saveexec_b32 s15, s21
	s_cbranch_execnz .LBB2040_1174
.LBB2040_1110:                          ;   in Loop: Header=BB2040_974 Depth=2
	s_or_b32 exec_lo, exec_lo, s15
	s_and_saveexec_b32 s15, s22
	s_cbranch_execnz .LBB2040_1175
.LBB2040_1111:                          ;   in Loop: Header=BB2040_974 Depth=2
	s_or_b32 exec_lo, exec_lo, s15
	s_and_saveexec_b32 s15, s23
	s_cbranch_execnz .LBB2040_1176
.LBB2040_1112:                          ;   in Loop: Header=BB2040_974 Depth=2
	s_or_b32 exec_lo, exec_lo, s15
	s_and_saveexec_b32 s15, s24
	s_cbranch_execnz .LBB2040_1177
.LBB2040_1113:                          ;   in Loop: Header=BB2040_974 Depth=2
	s_or_b32 exec_lo, exec_lo, s15
	s_and_saveexec_b32 s15, s25
	s_cbranch_execnz .LBB2040_1178
.LBB2040_1114:                          ;   in Loop: Header=BB2040_974 Depth=2
	s_or_b32 exec_lo, exec_lo, s15
	s_and_saveexec_b32 s15, s26
	s_cbranch_execnz .LBB2040_1179
.LBB2040_1115:                          ;   in Loop: Header=BB2040_974 Depth=2
	s_or_b32 exec_lo, exec_lo, s15
	s_and_saveexec_b32 s15, s27
	s_cbranch_execnz .LBB2040_1180
.LBB2040_1116:                          ;   in Loop: Header=BB2040_974 Depth=2
	s_or_b32 exec_lo, exec_lo, s15
	s_and_saveexec_b32 s15, s28
	s_cbranch_execnz .LBB2040_1181
.LBB2040_1117:                          ;   in Loop: Header=BB2040_974 Depth=2
	s_or_b32 exec_lo, exec_lo, s15
	s_and_saveexec_b32 s15, s29
	s_cbranch_execz .LBB2040_1119
.LBB2040_1118:                          ;   in Loop: Header=BB2040_974 Depth=2
	v_lshlrev_b32_e32 v61, 2, v123
	ds_load_b32 v63, v61
	ds_load_b64 v[60:61], v60 offset:31744
	s_wait_dscnt 0x1
	v_add_nc_u32_e32 v63, v63, v82
	s_wait_dscnt 0x0
	global_store_b64 v63, v[60:61], s[46:47] scale_offset
.LBB2040_1119:                          ;   in Loop: Header=BB2040_974 Depth=2
	s_wait_xcnt 0x0
	s_or_b32 exec_lo, exec_lo, s15
	s_wait_storecnt 0x0
	s_barrier_signal -1
	s_barrier_wait -1
	s_and_saveexec_b32 s15, s0
	s_cbranch_execz .LBB2040_973
; %bb.1120:                             ;   in Loop: Header=BB2040_974 Depth=2
	ds_load_b32 v60, v3
	s_wait_dscnt 0x0
	v_add_nc_u32_e32 v60, v60, v62
	ds_store_b32 v3, v60
	s_branch .LBB2040_973
.LBB2040_1121:                          ;   in Loop: Header=BB2040_974 Depth=2
	ds_load_u16 v60, v93 offset:1024
	s_wait_dscnt 0x0
	v_cmp_ne_u16_e64 s15, 0x7fff, v60
	s_delay_alu instid0(VALU_DEP_1) | instskip(SKIP_1) | instid1(VALU_DEP_2)
	v_cndmask_b32_e64 v61, 0xffff8000, v60, s15
	v_cmp_lt_i16_e64 s15, -1, v60
	v_and_b32_e32 v61, 0xffff, v61
	s_delay_alu instid0(VALU_DEP_2) | instskip(NEXT) | instid1(VALU_DEP_1)
	v_cndmask_b32_e64 v140, 0xffff8000, -1, s15
	v_dual_lshrrev_b32 v61, s49, v61 :: v_dual_bitop2_b32 v60, v140, v60 bitop3:0x14
	s_delay_alu instid0(VALU_DEP_1) | instskip(NEXT) | instid1(VALU_DEP_1)
	v_and_b32_e32 v61, s52, v61
	v_lshlrev_b32_e32 v61, 2, v61
	ds_load_b32 v61, v61
	s_wait_dscnt 0x0
	v_add_nc_u32_e32 v61, v61, v2
	global_store_b16 v61, v60, s[40:41] scale_offset
	s_wait_xcnt 0x0
	s_or_b32 exec_lo, exec_lo, s16
	v_cmp_lt_u32_e64 s15, v68, v139
	s_and_saveexec_b32 s17, s15
	s_cbranch_execz .LBB2040_1054
.LBB2040_1122:                          ;   in Loop: Header=BB2040_974 Depth=2
	ds_load_u16 v60, v93 offset:1536
	s_wait_dscnt 0x0
	v_cmp_ne_u16_e64 s16, 0x7fff, v60
	s_delay_alu instid0(VALU_DEP_1) | instskip(SKIP_1) | instid1(VALU_DEP_2)
	v_cndmask_b32_e64 v61, 0xffff8000, v60, s16
	v_cmp_lt_i16_e64 s16, -1, v60
	v_and_b32_e32 v61, 0xffff, v61
	s_delay_alu instid0(VALU_DEP_2) | instskip(NEXT) | instid1(VALU_DEP_1)
	v_cndmask_b32_e64 v140, 0xffff8000, -1, s16
	v_dual_lshrrev_b32 v61, s49, v61 :: v_dual_bitop2_b32 v60, v140, v60 bitop3:0x14
	s_delay_alu instid0(VALU_DEP_1) | instskip(NEXT) | instid1(VALU_DEP_1)
	v_and_b32_e32 v61, s52, v61
	v_lshlrev_b32_e32 v61, 2, v61
	ds_load_b32 v61, v61
	s_wait_dscnt 0x0
	v_add_nc_u32_e32 v61, v61, v68
	global_store_b16 v61, v60, s[40:41] scale_offset
	s_wait_xcnt 0x0
	s_or_b32 exec_lo, exec_lo, s17
	v_cmp_lt_u32_e64 s16, v69, v139
	s_and_saveexec_b32 s18, s16
	s_cbranch_execz .LBB2040_1055
.LBB2040_1123:                          ;   in Loop: Header=BB2040_974 Depth=2
	ds_load_u16 v60, v93 offset:2048
	s_wait_dscnt 0x0
	v_cmp_ne_u16_e64 s17, 0x7fff, v60
	s_delay_alu instid0(VALU_DEP_1) | instskip(SKIP_1) | instid1(VALU_DEP_2)
	v_cndmask_b32_e64 v61, 0xffff8000, v60, s17
	v_cmp_lt_i16_e64 s17, -1, v60
	v_and_b32_e32 v61, 0xffff, v61
	s_delay_alu instid0(VALU_DEP_2) | instskip(NEXT) | instid1(VALU_DEP_1)
	v_cndmask_b32_e64 v140, 0xffff8000, -1, s17
	v_dual_lshrrev_b32 v61, s49, v61 :: v_dual_bitop2_b32 v60, v140, v60 bitop3:0x14
	s_delay_alu instid0(VALU_DEP_1) | instskip(NEXT) | instid1(VALU_DEP_1)
	v_and_b32_e32 v61, s52, v61
	v_lshlrev_b32_e32 v61, 2, v61
	ds_load_b32 v61, v61
	s_wait_dscnt 0x0
	v_add_nc_u32_e32 v61, v61, v69
	global_store_b16 v61, v60, s[40:41] scale_offset
	s_wait_xcnt 0x0
	s_or_b32 exec_lo, exec_lo, s18
	v_cmp_lt_u32_e64 s17, v70, v139
	s_and_saveexec_b32 s19, s17
	s_cbranch_execz .LBB2040_1056
.LBB2040_1124:                          ;   in Loop: Header=BB2040_974 Depth=2
	ds_load_u16 v60, v93 offset:2560
	s_wait_dscnt 0x0
	v_cmp_ne_u16_e64 s18, 0x7fff, v60
	s_delay_alu instid0(VALU_DEP_1) | instskip(SKIP_1) | instid1(VALU_DEP_2)
	v_cndmask_b32_e64 v61, 0xffff8000, v60, s18
	v_cmp_lt_i16_e64 s18, -1, v60
	v_and_b32_e32 v61, 0xffff, v61
	s_delay_alu instid0(VALU_DEP_2) | instskip(NEXT) | instid1(VALU_DEP_1)
	v_cndmask_b32_e64 v140, 0xffff8000, -1, s18
	v_dual_lshrrev_b32 v61, s49, v61 :: v_dual_bitop2_b32 v60, v140, v60 bitop3:0x14
	s_delay_alu instid0(VALU_DEP_1) | instskip(NEXT) | instid1(VALU_DEP_1)
	v_and_b32_e32 v61, s52, v61
	v_lshlrev_b32_e32 v61, 2, v61
	ds_load_b32 v61, v61
	s_wait_dscnt 0x0
	v_add_nc_u32_e32 v61, v61, v70
	global_store_b16 v61, v60, s[40:41] scale_offset
	s_wait_xcnt 0x0
	s_or_b32 exec_lo, exec_lo, s19
	v_cmp_lt_u32_e64 s18, v71, v139
	s_and_saveexec_b32 s20, s18
	s_cbranch_execz .LBB2040_1057
.LBB2040_1125:                          ;   in Loop: Header=BB2040_974 Depth=2
	ds_load_u16 v60, v93 offset:3072
	s_wait_dscnt 0x0
	v_cmp_ne_u16_e64 s19, 0x7fff, v60
	s_delay_alu instid0(VALU_DEP_1) | instskip(SKIP_1) | instid1(VALU_DEP_2)
	v_cndmask_b32_e64 v61, 0xffff8000, v60, s19
	v_cmp_lt_i16_e64 s19, -1, v60
	v_and_b32_e32 v61, 0xffff, v61
	s_delay_alu instid0(VALU_DEP_2) | instskip(NEXT) | instid1(VALU_DEP_1)
	v_cndmask_b32_e64 v140, 0xffff8000, -1, s19
	v_dual_lshrrev_b32 v61, s49, v61 :: v_dual_bitop2_b32 v60, v140, v60 bitop3:0x14
	s_delay_alu instid0(VALU_DEP_1) | instskip(NEXT) | instid1(VALU_DEP_1)
	v_and_b32_e32 v61, s52, v61
	v_lshlrev_b32_e32 v61, 2, v61
	ds_load_b32 v61, v61
	s_wait_dscnt 0x0
	v_add_nc_u32_e32 v61, v61, v71
	global_store_b16 v61, v60, s[40:41] scale_offset
	s_wait_xcnt 0x0
	s_or_b32 exec_lo, exec_lo, s20
	v_cmp_lt_u32_e64 s19, v72, v139
	s_and_saveexec_b32 s21, s19
	s_cbranch_execz .LBB2040_1058
.LBB2040_1126:                          ;   in Loop: Header=BB2040_974 Depth=2
	ds_load_u16 v60, v93 offset:3584
	s_wait_dscnt 0x0
	v_cmp_ne_u16_e64 s20, 0x7fff, v60
	s_delay_alu instid0(VALU_DEP_1) | instskip(SKIP_1) | instid1(VALU_DEP_2)
	v_cndmask_b32_e64 v61, 0xffff8000, v60, s20
	v_cmp_lt_i16_e64 s20, -1, v60
	v_and_b32_e32 v61, 0xffff, v61
	s_delay_alu instid0(VALU_DEP_2) | instskip(NEXT) | instid1(VALU_DEP_1)
	v_cndmask_b32_e64 v140, 0xffff8000, -1, s20
	v_dual_lshrrev_b32 v61, s49, v61 :: v_dual_bitop2_b32 v60, v140, v60 bitop3:0x14
	s_delay_alu instid0(VALU_DEP_1) | instskip(NEXT) | instid1(VALU_DEP_1)
	v_and_b32_e32 v61, s52, v61
	v_lshlrev_b32_e32 v61, 2, v61
	ds_load_b32 v61, v61
	s_wait_dscnt 0x0
	v_add_nc_u32_e32 v61, v61, v72
	global_store_b16 v61, v60, s[40:41] scale_offset
	s_wait_xcnt 0x0
	s_or_b32 exec_lo, exec_lo, s21
	v_cmp_lt_u32_e64 s20, v73, v139
	s_and_saveexec_b32 s22, s20
	s_cbranch_execz .LBB2040_1059
.LBB2040_1127:                          ;   in Loop: Header=BB2040_974 Depth=2
	ds_load_u16 v60, v93 offset:4096
	s_wait_dscnt 0x0
	v_cmp_ne_u16_e64 s21, 0x7fff, v60
	s_delay_alu instid0(VALU_DEP_1) | instskip(SKIP_1) | instid1(VALU_DEP_2)
	v_cndmask_b32_e64 v61, 0xffff8000, v60, s21
	v_cmp_lt_i16_e64 s21, -1, v60
	v_and_b32_e32 v61, 0xffff, v61
	s_delay_alu instid0(VALU_DEP_2) | instskip(NEXT) | instid1(VALU_DEP_1)
	v_cndmask_b32_e64 v140, 0xffff8000, -1, s21
	v_dual_lshrrev_b32 v61, s49, v61 :: v_dual_bitop2_b32 v60, v140, v60 bitop3:0x14
	s_delay_alu instid0(VALU_DEP_1) | instskip(NEXT) | instid1(VALU_DEP_1)
	v_and_b32_e32 v61, s52, v61
	v_lshlrev_b32_e32 v61, 2, v61
	ds_load_b32 v61, v61
	s_wait_dscnt 0x0
	v_add_nc_u32_e32 v61, v61, v73
	global_store_b16 v61, v60, s[40:41] scale_offset
	s_wait_xcnt 0x0
	s_or_b32 exec_lo, exec_lo, s22
	v_cmp_lt_u32_e64 s21, v74, v139
	s_and_saveexec_b32 s23, s21
	s_cbranch_execz .LBB2040_1060
.LBB2040_1128:                          ;   in Loop: Header=BB2040_974 Depth=2
	ds_load_u16 v60, v93 offset:4608
	s_wait_dscnt 0x0
	v_cmp_ne_u16_e64 s22, 0x7fff, v60
	s_delay_alu instid0(VALU_DEP_1) | instskip(SKIP_1) | instid1(VALU_DEP_2)
	v_cndmask_b32_e64 v61, 0xffff8000, v60, s22
	v_cmp_lt_i16_e64 s22, -1, v60
	v_and_b32_e32 v61, 0xffff, v61
	s_delay_alu instid0(VALU_DEP_2) | instskip(NEXT) | instid1(VALU_DEP_1)
	v_cndmask_b32_e64 v140, 0xffff8000, -1, s22
	v_dual_lshrrev_b32 v61, s49, v61 :: v_dual_bitop2_b32 v60, v140, v60 bitop3:0x14
	s_delay_alu instid0(VALU_DEP_1) | instskip(NEXT) | instid1(VALU_DEP_1)
	v_and_b32_e32 v61, s52, v61
	v_lshlrev_b32_e32 v61, 2, v61
	ds_load_b32 v61, v61
	s_wait_dscnt 0x0
	v_add_nc_u32_e32 v61, v61, v74
	global_store_b16 v61, v60, s[40:41] scale_offset
	s_wait_xcnt 0x0
	s_or_b32 exec_lo, exec_lo, s23
	v_cmp_lt_u32_e64 s22, v75, v139
	s_and_saveexec_b32 s24, s22
	s_cbranch_execz .LBB2040_1061
.LBB2040_1129:                          ;   in Loop: Header=BB2040_974 Depth=2
	ds_load_u16 v60, v93 offset:5120
	s_wait_dscnt 0x0
	v_cmp_ne_u16_e64 s23, 0x7fff, v60
	s_delay_alu instid0(VALU_DEP_1) | instskip(SKIP_1) | instid1(VALU_DEP_2)
	v_cndmask_b32_e64 v61, 0xffff8000, v60, s23
	v_cmp_lt_i16_e64 s23, -1, v60
	v_and_b32_e32 v61, 0xffff, v61
	s_delay_alu instid0(VALU_DEP_2) | instskip(NEXT) | instid1(VALU_DEP_1)
	v_cndmask_b32_e64 v140, 0xffff8000, -1, s23
	v_dual_lshrrev_b32 v61, s49, v61 :: v_dual_bitop2_b32 v60, v140, v60 bitop3:0x14
	s_delay_alu instid0(VALU_DEP_1) | instskip(NEXT) | instid1(VALU_DEP_1)
	v_and_b32_e32 v61, s52, v61
	v_lshlrev_b32_e32 v61, 2, v61
	ds_load_b32 v61, v61
	s_wait_dscnt 0x0
	v_add_nc_u32_e32 v61, v61, v75
	global_store_b16 v61, v60, s[40:41] scale_offset
	s_wait_xcnt 0x0
	s_or_b32 exec_lo, exec_lo, s24
	v_cmp_lt_u32_e64 s23, v76, v139
	s_and_saveexec_b32 s25, s23
	s_cbranch_execz .LBB2040_1062
.LBB2040_1130:                          ;   in Loop: Header=BB2040_974 Depth=2
	ds_load_u16 v60, v93 offset:5632
	s_wait_dscnt 0x0
	v_cmp_ne_u16_e64 s24, 0x7fff, v60
	s_delay_alu instid0(VALU_DEP_1) | instskip(SKIP_1) | instid1(VALU_DEP_2)
	v_cndmask_b32_e64 v61, 0xffff8000, v60, s24
	v_cmp_lt_i16_e64 s24, -1, v60
	v_and_b32_e32 v61, 0xffff, v61
	s_delay_alu instid0(VALU_DEP_2) | instskip(NEXT) | instid1(VALU_DEP_1)
	v_cndmask_b32_e64 v140, 0xffff8000, -1, s24
	v_dual_lshrrev_b32 v61, s49, v61 :: v_dual_bitop2_b32 v60, v140, v60 bitop3:0x14
	s_delay_alu instid0(VALU_DEP_1) | instskip(NEXT) | instid1(VALU_DEP_1)
	v_and_b32_e32 v61, s52, v61
	v_lshlrev_b32_e32 v61, 2, v61
	ds_load_b32 v61, v61
	s_wait_dscnt 0x0
	v_add_nc_u32_e32 v61, v61, v76
	global_store_b16 v61, v60, s[40:41] scale_offset
	s_wait_xcnt 0x0
	s_or_b32 exec_lo, exec_lo, s25
	v_cmp_lt_u32_e64 s24, v77, v139
	s_and_saveexec_b32 s26, s24
	s_cbranch_execz .LBB2040_1063
.LBB2040_1131:                          ;   in Loop: Header=BB2040_974 Depth=2
	ds_load_u16 v60, v93 offset:6144
	s_wait_dscnt 0x0
	v_cmp_ne_u16_e64 s25, 0x7fff, v60
	s_delay_alu instid0(VALU_DEP_1) | instskip(SKIP_1) | instid1(VALU_DEP_2)
	v_cndmask_b32_e64 v61, 0xffff8000, v60, s25
	v_cmp_lt_i16_e64 s25, -1, v60
	v_and_b32_e32 v61, 0xffff, v61
	s_delay_alu instid0(VALU_DEP_2) | instskip(NEXT) | instid1(VALU_DEP_1)
	v_cndmask_b32_e64 v140, 0xffff8000, -1, s25
	v_dual_lshrrev_b32 v61, s49, v61 :: v_dual_bitop2_b32 v60, v140, v60 bitop3:0x14
	s_delay_alu instid0(VALU_DEP_1) | instskip(NEXT) | instid1(VALU_DEP_1)
	v_and_b32_e32 v61, s52, v61
	v_lshlrev_b32_e32 v61, 2, v61
	ds_load_b32 v61, v61
	s_wait_dscnt 0x0
	v_add_nc_u32_e32 v61, v61, v77
	global_store_b16 v61, v60, s[40:41] scale_offset
	s_wait_xcnt 0x0
	s_or_b32 exec_lo, exec_lo, s26
	v_cmp_lt_u32_e64 s25, v78, v139
	s_and_saveexec_b32 s27, s25
	s_cbranch_execz .LBB2040_1064
.LBB2040_1132:                          ;   in Loop: Header=BB2040_974 Depth=2
	ds_load_u16 v60, v93 offset:6656
	s_wait_dscnt 0x0
	v_cmp_ne_u16_e64 s26, 0x7fff, v60
	s_delay_alu instid0(VALU_DEP_1) | instskip(SKIP_1) | instid1(VALU_DEP_2)
	v_cndmask_b32_e64 v61, 0xffff8000, v60, s26
	v_cmp_lt_i16_e64 s26, -1, v60
	v_and_b32_e32 v61, 0xffff, v61
	s_delay_alu instid0(VALU_DEP_2) | instskip(NEXT) | instid1(VALU_DEP_1)
	v_cndmask_b32_e64 v140, 0xffff8000, -1, s26
	v_dual_lshrrev_b32 v61, s49, v61 :: v_dual_bitop2_b32 v60, v140, v60 bitop3:0x14
	s_delay_alu instid0(VALU_DEP_1) | instskip(NEXT) | instid1(VALU_DEP_1)
	v_and_b32_e32 v61, s52, v61
	v_lshlrev_b32_e32 v61, 2, v61
	ds_load_b32 v61, v61
	s_wait_dscnt 0x0
	v_add_nc_u32_e32 v61, v61, v78
	global_store_b16 v61, v60, s[40:41] scale_offset
	s_wait_xcnt 0x0
	s_or_b32 exec_lo, exec_lo, s27
	v_cmp_lt_u32_e64 s26, v79, v139
	s_and_saveexec_b32 s28, s26
	s_cbranch_execz .LBB2040_1065
.LBB2040_1133:                          ;   in Loop: Header=BB2040_974 Depth=2
	ds_load_u16 v60, v93 offset:7168
	s_wait_dscnt 0x0
	v_cmp_ne_u16_e64 s27, 0x7fff, v60
	s_delay_alu instid0(VALU_DEP_1) | instskip(SKIP_1) | instid1(VALU_DEP_2)
	v_cndmask_b32_e64 v61, 0xffff8000, v60, s27
	v_cmp_lt_i16_e64 s27, -1, v60
	v_and_b32_e32 v61, 0xffff, v61
	s_delay_alu instid0(VALU_DEP_2) | instskip(NEXT) | instid1(VALU_DEP_1)
	v_cndmask_b32_e64 v140, 0xffff8000, -1, s27
	v_dual_lshrrev_b32 v61, s49, v61 :: v_dual_bitop2_b32 v60, v140, v60 bitop3:0x14
	s_delay_alu instid0(VALU_DEP_1) | instskip(NEXT) | instid1(VALU_DEP_1)
	v_and_b32_e32 v61, s52, v61
	v_lshlrev_b32_e32 v61, 2, v61
	ds_load_b32 v61, v61
	s_wait_dscnt 0x0
	v_add_nc_u32_e32 v61, v61, v79
	global_store_b16 v61, v60, s[40:41] scale_offset
	s_wait_xcnt 0x0
	s_or_b32 exec_lo, exec_lo, s28
	v_cmp_lt_u32_e64 s27, v80, v139
	s_and_saveexec_b32 s29, s27
	s_cbranch_execz .LBB2040_1066
.LBB2040_1134:                          ;   in Loop: Header=BB2040_974 Depth=2
	ds_load_u16 v60, v93 offset:7680
	s_wait_dscnt 0x0
	v_cmp_ne_u16_e64 s28, 0x7fff, v60
	s_delay_alu instid0(VALU_DEP_1) | instskip(SKIP_1) | instid1(VALU_DEP_2)
	v_cndmask_b32_e64 v61, 0xffff8000, v60, s28
	v_cmp_lt_i16_e64 s28, -1, v60
	v_and_b32_e32 v61, 0xffff, v61
	s_delay_alu instid0(VALU_DEP_2) | instskip(NEXT) | instid1(VALU_DEP_1)
	v_cndmask_b32_e64 v140, 0xffff8000, -1, s28
	v_dual_lshrrev_b32 v61, s49, v61 :: v_dual_bitop2_b32 v60, v140, v60 bitop3:0x14
	s_delay_alu instid0(VALU_DEP_1) | instskip(NEXT) | instid1(VALU_DEP_1)
	v_and_b32_e32 v61, s52, v61
	v_lshlrev_b32_e32 v61, 2, v61
	ds_load_b32 v61, v61
	s_wait_dscnt 0x0
	v_add_nc_u32_e32 v61, v61, v80
	global_store_b16 v61, v60, s[40:41] scale_offset
	s_wait_xcnt 0x0
	s_or_b32 exec_lo, exec_lo, s29
	v_cmp_lt_u32_e64 s28, v81, v139
	s_and_saveexec_b32 s30, s28
	s_cbranch_execz .LBB2040_1067
.LBB2040_1135:                          ;   in Loop: Header=BB2040_974 Depth=2
	ds_load_u16 v60, v93 offset:8192
	s_wait_dscnt 0x0
	v_cmp_ne_u16_e64 s29, 0x7fff, v60
	s_delay_alu instid0(VALU_DEP_1) | instskip(SKIP_1) | instid1(VALU_DEP_2)
	v_cndmask_b32_e64 v61, 0xffff8000, v60, s29
	v_cmp_lt_i16_e64 s29, -1, v60
	v_and_b32_e32 v61, 0xffff, v61
	s_delay_alu instid0(VALU_DEP_2) | instskip(NEXT) | instid1(VALU_DEP_1)
	v_cndmask_b32_e64 v140, 0xffff8000, -1, s29
	v_dual_lshrrev_b32 v61, s49, v61 :: v_dual_bitop2_b32 v60, v140, v60 bitop3:0x14
	s_delay_alu instid0(VALU_DEP_1) | instskip(NEXT) | instid1(VALU_DEP_1)
	v_and_b32_e32 v61, s52, v61
	v_lshlrev_b32_e32 v61, 2, v61
	ds_load_b32 v61, v61
	s_wait_dscnt 0x0
	v_add_nc_u32_e32 v61, v61, v81
	global_store_b16 v61, v60, s[40:41] scale_offset
	s_wait_xcnt 0x0
	s_or_b32 exec_lo, exec_lo, s30
	v_cmp_lt_u32_e64 s29, v82, v139
	s_and_saveexec_b32 s58, s29
	s_cbranch_execnz .LBB2040_1068
	s_branch .LBB2040_1069
.LBB2040_1136:                          ;   in Loop: Header=BB2040_974 Depth=2
	global_load_b64 v[58:59], v[60:61], off
	s_wait_xcnt 0x0
	s_or_b32 exec_lo, exec_lo, s30
	s_delay_alu instid0(SALU_CYCLE_1)
	s_mov_b32 s42, exec_lo
	v_cmpx_lt_u32_e64 v103, v139
	s_cbranch_execz .LBB2040_1071
.LBB2040_1137:                          ;   in Loop: Header=BB2040_974 Depth=2
	global_load_b64 v[56:57], v[60:61], off offset:256
	s_wait_xcnt 0x0
	s_or_b32 exec_lo, exec_lo, s42
	s_delay_alu instid0(SALU_CYCLE_1)
	s_mov_b32 s42, exec_lo
	v_cmpx_lt_u32_e64 v104, v139
	s_cbranch_execz .LBB2040_1072
.LBB2040_1138:                          ;   in Loop: Header=BB2040_974 Depth=2
	global_load_b64 v[54:55], v[60:61], off offset:512
	s_wait_xcnt 0x0
	s_or_b32 exec_lo, exec_lo, s42
	s_delay_alu instid0(SALU_CYCLE_1)
	s_mov_b32 s42, exec_lo
	v_cmpx_lt_u32_e64 v105, v139
	s_cbranch_execz .LBB2040_1073
.LBB2040_1139:                          ;   in Loop: Header=BB2040_974 Depth=2
	global_load_b64 v[52:53], v[60:61], off offset:768
	s_wait_xcnt 0x0
	s_or_b32 exec_lo, exec_lo, s42
	s_delay_alu instid0(SALU_CYCLE_1)
	s_mov_b32 s42, exec_lo
	v_cmpx_lt_u32_e64 v106, v139
	s_cbranch_execz .LBB2040_1074
.LBB2040_1140:                          ;   in Loop: Header=BB2040_974 Depth=2
	global_load_b64 v[50:51], v[60:61], off offset:1024
	s_wait_xcnt 0x0
	s_or_b32 exec_lo, exec_lo, s42
	s_delay_alu instid0(SALU_CYCLE_1)
	s_mov_b32 s42, exec_lo
	v_cmpx_lt_u32_e64 v107, v139
	s_cbranch_execz .LBB2040_1075
.LBB2040_1141:                          ;   in Loop: Header=BB2040_974 Depth=2
	global_load_b64 v[48:49], v[60:61], off offset:1280
	s_wait_xcnt 0x0
	s_or_b32 exec_lo, exec_lo, s42
	s_delay_alu instid0(SALU_CYCLE_1)
	s_mov_b32 s42, exec_lo
	v_cmpx_lt_u32_e64 v108, v139
	s_cbranch_execz .LBB2040_1076
.LBB2040_1142:                          ;   in Loop: Header=BB2040_974 Depth=2
	global_load_b64 v[46:47], v[60:61], off offset:1536
	s_wait_xcnt 0x0
	s_or_b32 exec_lo, exec_lo, s42
	s_delay_alu instid0(SALU_CYCLE_1)
	s_mov_b32 s42, exec_lo
	v_cmpx_lt_u32_e64 v109, v139
	s_cbranch_execz .LBB2040_1077
.LBB2040_1143:                          ;   in Loop: Header=BB2040_974 Depth=2
	global_load_b64 v[44:45], v[60:61], off offset:1792
	s_wait_xcnt 0x0
	s_or_b32 exec_lo, exec_lo, s42
	s_delay_alu instid0(SALU_CYCLE_1)
	s_mov_b32 s42, exec_lo
	v_cmpx_lt_u32_e64 v110, v139
	s_cbranch_execz .LBB2040_1078
.LBB2040_1144:                          ;   in Loop: Header=BB2040_974 Depth=2
	global_load_b64 v[42:43], v[60:61], off offset:2048
	s_wait_xcnt 0x0
	s_or_b32 exec_lo, exec_lo, s42
	s_delay_alu instid0(SALU_CYCLE_1)
	s_mov_b32 s42, exec_lo
	v_cmpx_lt_u32_e64 v111, v139
	s_cbranch_execz .LBB2040_1079
.LBB2040_1145:                          ;   in Loop: Header=BB2040_974 Depth=2
	global_load_b64 v[40:41], v[60:61], off offset:2304
	s_wait_xcnt 0x0
	s_or_b32 exec_lo, exec_lo, s42
	s_delay_alu instid0(SALU_CYCLE_1)
	s_mov_b32 s42, exec_lo
	v_cmpx_lt_u32_e64 v112, v139
	s_cbranch_execz .LBB2040_1080
.LBB2040_1146:                          ;   in Loop: Header=BB2040_974 Depth=2
	global_load_b64 v[38:39], v[60:61], off offset:2560
	s_wait_xcnt 0x0
	s_or_b32 exec_lo, exec_lo, s42
	s_delay_alu instid0(SALU_CYCLE_1)
	s_mov_b32 s42, exec_lo
	v_cmpx_lt_u32_e64 v113, v139
	s_cbranch_execz .LBB2040_1081
.LBB2040_1147:                          ;   in Loop: Header=BB2040_974 Depth=2
	global_load_b64 v[36:37], v[60:61], off offset:2816
	s_wait_xcnt 0x0
	s_or_b32 exec_lo, exec_lo, s42
	s_delay_alu instid0(SALU_CYCLE_1)
	s_mov_b32 s42, exec_lo
	v_cmpx_lt_u32_e64 v114, v139
	s_cbranch_execz .LBB2040_1082
.LBB2040_1148:                          ;   in Loop: Header=BB2040_974 Depth=2
	global_load_b64 v[34:35], v[60:61], off offset:3072
	s_wait_xcnt 0x0
	s_or_b32 exec_lo, exec_lo, s42
	s_delay_alu instid0(SALU_CYCLE_1)
	s_mov_b32 s42, exec_lo
	v_cmpx_lt_u32_e64 v115, v139
	s_cbranch_execz .LBB2040_1083
.LBB2040_1149:                          ;   in Loop: Header=BB2040_974 Depth=2
	global_load_b64 v[32:33], v[60:61], off offset:3328
	s_wait_xcnt 0x0
	s_or_b32 exec_lo, exec_lo, s42
	s_delay_alu instid0(SALU_CYCLE_1)
	s_mov_b32 s42, exec_lo
	v_cmpx_lt_u32_e64 v116, v139
	s_cbranch_execz .LBB2040_1084
.LBB2040_1150:                          ;   in Loop: Header=BB2040_974 Depth=2
	global_load_b64 v[30:31], v[60:61], off offset:3584
	s_wait_xcnt 0x0
	s_or_b32 exec_lo, exec_lo, s42
	s_delay_alu instid0(SALU_CYCLE_1)
	s_mov_b32 s42, exec_lo
	v_cmpx_lt_u32_e64 v117, v139
	s_cbranch_execz .LBB2040_1085
.LBB2040_1151:                          ;   in Loop: Header=BB2040_974 Depth=2
	global_load_b64 v[28:29], v[60:61], off offset:3840
	s_wait_xcnt 0x0
	s_or_b32 exec_lo, exec_lo, s42
	s_and_saveexec_b32 s42, vcc_lo
	s_cbranch_execz .LBB2040_1086
.LBB2040_1152:                          ;   in Loop: Header=BB2040_974 Depth=2
	ds_load_u16 v60, v93 offset:1024
	s_wait_dscnt 0x0
	v_cmp_ne_u16_e64 s30, 0x7fff, v60
	s_delay_alu instid0(VALU_DEP_1) | instskip(NEXT) | instid1(VALU_DEP_1)
	v_cndmask_b32_e64 v60, 0xffff8000, v60, s30
	v_and_b32_e32 v60, 0xffff, v60
	s_delay_alu instid0(VALU_DEP_1) | instskip(NEXT) | instid1(VALU_DEP_1)
	v_lshrrev_b32_e32 v60, s49, v60
	v_and_b32_e32 v138, s52, v60
	s_or_b32 exec_lo, exec_lo, s42
	s_and_saveexec_b32 s42, s15
	s_cbranch_execz .LBB2040_1087
.LBB2040_1153:                          ;   in Loop: Header=BB2040_974 Depth=2
	ds_load_u16 v60, v93 offset:1536
	s_wait_dscnt 0x0
	v_cmp_ne_u16_e64 s30, 0x7fff, v60
	s_delay_alu instid0(VALU_DEP_1) | instskip(NEXT) | instid1(VALU_DEP_1)
	v_cndmask_b32_e64 v60, 0xffff8000, v60, s30
	v_and_b32_e32 v60, 0xffff, v60
	s_delay_alu instid0(VALU_DEP_1) | instskip(NEXT) | instid1(VALU_DEP_1)
	v_lshrrev_b32_e32 v60, s49, v60
	v_and_b32_e32 v137, s52, v60
	s_or_b32 exec_lo, exec_lo, s42
	s_and_saveexec_b32 s42, s16
	s_cbranch_execz .LBB2040_1088
.LBB2040_1154:                          ;   in Loop: Header=BB2040_974 Depth=2
	ds_load_u16 v60, v93 offset:2048
	s_wait_dscnt 0x0
	v_cmp_ne_u16_e64 s30, 0x7fff, v60
	s_delay_alu instid0(VALU_DEP_1) | instskip(NEXT) | instid1(VALU_DEP_1)
	v_cndmask_b32_e64 v60, 0xffff8000, v60, s30
	v_and_b32_e32 v60, 0xffff, v60
	s_delay_alu instid0(VALU_DEP_1) | instskip(NEXT) | instid1(VALU_DEP_1)
	v_lshrrev_b32_e32 v60, s49, v60
	v_and_b32_e32 v136, s52, v60
	s_or_b32 exec_lo, exec_lo, s42
	s_and_saveexec_b32 s42, s17
	s_cbranch_execz .LBB2040_1089
.LBB2040_1155:                          ;   in Loop: Header=BB2040_974 Depth=2
	ds_load_u16 v60, v93 offset:2560
	s_wait_dscnt 0x0
	v_cmp_ne_u16_e64 s30, 0x7fff, v60
	s_delay_alu instid0(VALU_DEP_1) | instskip(NEXT) | instid1(VALU_DEP_1)
	v_cndmask_b32_e64 v60, 0xffff8000, v60, s30
	v_and_b32_e32 v60, 0xffff, v60
	s_delay_alu instid0(VALU_DEP_1) | instskip(NEXT) | instid1(VALU_DEP_1)
	v_lshrrev_b32_e32 v60, s49, v60
	v_and_b32_e32 v135, s52, v60
	s_or_b32 exec_lo, exec_lo, s42
	s_and_saveexec_b32 s42, s18
	s_cbranch_execz .LBB2040_1090
.LBB2040_1156:                          ;   in Loop: Header=BB2040_974 Depth=2
	ds_load_u16 v60, v93 offset:3072
	s_wait_dscnt 0x0
	v_cmp_ne_u16_e64 s30, 0x7fff, v60
	s_delay_alu instid0(VALU_DEP_1) | instskip(NEXT) | instid1(VALU_DEP_1)
	v_cndmask_b32_e64 v60, 0xffff8000, v60, s30
	v_and_b32_e32 v60, 0xffff, v60
	s_delay_alu instid0(VALU_DEP_1) | instskip(NEXT) | instid1(VALU_DEP_1)
	v_lshrrev_b32_e32 v60, s49, v60
	v_and_b32_e32 v134, s52, v60
	s_or_b32 exec_lo, exec_lo, s42
	s_and_saveexec_b32 s42, s19
	s_cbranch_execz .LBB2040_1091
.LBB2040_1157:                          ;   in Loop: Header=BB2040_974 Depth=2
	ds_load_u16 v60, v93 offset:3584
	s_wait_dscnt 0x0
	v_cmp_ne_u16_e64 s30, 0x7fff, v60
	s_delay_alu instid0(VALU_DEP_1) | instskip(NEXT) | instid1(VALU_DEP_1)
	v_cndmask_b32_e64 v60, 0xffff8000, v60, s30
	v_and_b32_e32 v60, 0xffff, v60
	s_delay_alu instid0(VALU_DEP_1) | instskip(NEXT) | instid1(VALU_DEP_1)
	v_lshrrev_b32_e32 v60, s49, v60
	v_and_b32_e32 v133, s52, v60
	s_or_b32 exec_lo, exec_lo, s42
	s_and_saveexec_b32 s42, s20
	s_cbranch_execz .LBB2040_1092
.LBB2040_1158:                          ;   in Loop: Header=BB2040_974 Depth=2
	ds_load_u16 v60, v93 offset:4096
	s_wait_dscnt 0x0
	v_cmp_ne_u16_e64 s30, 0x7fff, v60
	s_delay_alu instid0(VALU_DEP_1) | instskip(NEXT) | instid1(VALU_DEP_1)
	v_cndmask_b32_e64 v60, 0xffff8000, v60, s30
	v_and_b32_e32 v60, 0xffff, v60
	s_delay_alu instid0(VALU_DEP_1) | instskip(NEXT) | instid1(VALU_DEP_1)
	v_lshrrev_b32_e32 v60, s49, v60
	v_and_b32_e32 v132, s52, v60
	s_or_b32 exec_lo, exec_lo, s42
	s_and_saveexec_b32 s42, s21
	s_cbranch_execz .LBB2040_1093
.LBB2040_1159:                          ;   in Loop: Header=BB2040_974 Depth=2
	ds_load_u16 v60, v93 offset:4608
	s_wait_dscnt 0x0
	v_cmp_ne_u16_e64 s30, 0x7fff, v60
	s_delay_alu instid0(VALU_DEP_1) | instskip(NEXT) | instid1(VALU_DEP_1)
	v_cndmask_b32_e64 v60, 0xffff8000, v60, s30
	v_and_b32_e32 v60, 0xffff, v60
	s_delay_alu instid0(VALU_DEP_1) | instskip(NEXT) | instid1(VALU_DEP_1)
	v_lshrrev_b32_e32 v60, s49, v60
	v_and_b32_e32 v131, s52, v60
	s_or_b32 exec_lo, exec_lo, s42
	s_and_saveexec_b32 s42, s22
	s_cbranch_execz .LBB2040_1094
.LBB2040_1160:                          ;   in Loop: Header=BB2040_974 Depth=2
	ds_load_u16 v60, v93 offset:5120
	s_wait_dscnt 0x0
	v_cmp_ne_u16_e64 s30, 0x7fff, v60
	s_delay_alu instid0(VALU_DEP_1) | instskip(NEXT) | instid1(VALU_DEP_1)
	v_cndmask_b32_e64 v60, 0xffff8000, v60, s30
	v_and_b32_e32 v60, 0xffff, v60
	s_delay_alu instid0(VALU_DEP_1) | instskip(NEXT) | instid1(VALU_DEP_1)
	v_lshrrev_b32_e32 v60, s49, v60
	v_and_b32_e32 v130, s52, v60
	s_or_b32 exec_lo, exec_lo, s42
	s_and_saveexec_b32 s42, s23
	s_cbranch_execz .LBB2040_1095
.LBB2040_1161:                          ;   in Loop: Header=BB2040_974 Depth=2
	ds_load_u16 v60, v93 offset:5632
	s_wait_dscnt 0x0
	v_cmp_ne_u16_e64 s30, 0x7fff, v60
	s_delay_alu instid0(VALU_DEP_1) | instskip(NEXT) | instid1(VALU_DEP_1)
	v_cndmask_b32_e64 v60, 0xffff8000, v60, s30
	v_and_b32_e32 v60, 0xffff, v60
	s_delay_alu instid0(VALU_DEP_1) | instskip(NEXT) | instid1(VALU_DEP_1)
	v_lshrrev_b32_e32 v60, s49, v60
	v_and_b32_e32 v129, s52, v60
	s_or_b32 exec_lo, exec_lo, s42
	s_and_saveexec_b32 s42, s24
	s_cbranch_execz .LBB2040_1096
.LBB2040_1162:                          ;   in Loop: Header=BB2040_974 Depth=2
	ds_load_u16 v60, v93 offset:6144
	s_wait_dscnt 0x0
	v_cmp_ne_u16_e64 s30, 0x7fff, v60
	s_delay_alu instid0(VALU_DEP_1) | instskip(NEXT) | instid1(VALU_DEP_1)
	v_cndmask_b32_e64 v60, 0xffff8000, v60, s30
	v_and_b32_e32 v60, 0xffff, v60
	s_delay_alu instid0(VALU_DEP_1) | instskip(NEXT) | instid1(VALU_DEP_1)
	v_lshrrev_b32_e32 v60, s49, v60
	v_and_b32_e32 v128, s52, v60
	s_or_b32 exec_lo, exec_lo, s42
	s_and_saveexec_b32 s42, s25
	s_cbranch_execz .LBB2040_1097
.LBB2040_1163:                          ;   in Loop: Header=BB2040_974 Depth=2
	ds_load_u16 v60, v93 offset:6656
	s_wait_dscnt 0x0
	v_cmp_ne_u16_e64 s30, 0x7fff, v60
	s_delay_alu instid0(VALU_DEP_1) | instskip(NEXT) | instid1(VALU_DEP_1)
	v_cndmask_b32_e64 v60, 0xffff8000, v60, s30
	v_and_b32_e32 v60, 0xffff, v60
	s_delay_alu instid0(VALU_DEP_1) | instskip(NEXT) | instid1(VALU_DEP_1)
	v_lshrrev_b32_e32 v60, s49, v60
	v_and_b32_e32 v127, s52, v60
	s_or_b32 exec_lo, exec_lo, s42
	s_and_saveexec_b32 s42, s26
	s_cbranch_execz .LBB2040_1098
.LBB2040_1164:                          ;   in Loop: Header=BB2040_974 Depth=2
	ds_load_u16 v60, v93 offset:7168
	s_wait_dscnt 0x0
	v_cmp_ne_u16_e64 s30, 0x7fff, v60
	s_delay_alu instid0(VALU_DEP_1) | instskip(NEXT) | instid1(VALU_DEP_1)
	v_cndmask_b32_e64 v60, 0xffff8000, v60, s30
	v_and_b32_e32 v60, 0xffff, v60
	s_delay_alu instid0(VALU_DEP_1) | instskip(NEXT) | instid1(VALU_DEP_1)
	v_lshrrev_b32_e32 v60, s49, v60
	v_and_b32_e32 v126, s52, v60
	s_or_b32 exec_lo, exec_lo, s42
	s_and_saveexec_b32 s42, s27
	s_cbranch_execz .LBB2040_1099
.LBB2040_1165:                          ;   in Loop: Header=BB2040_974 Depth=2
	ds_load_u16 v60, v93 offset:7680
	s_wait_dscnt 0x0
	v_cmp_ne_u16_e64 s30, 0x7fff, v60
	s_delay_alu instid0(VALU_DEP_1) | instskip(NEXT) | instid1(VALU_DEP_1)
	v_cndmask_b32_e64 v60, 0xffff8000, v60, s30
	v_and_b32_e32 v60, 0xffff, v60
	s_delay_alu instid0(VALU_DEP_1) | instskip(NEXT) | instid1(VALU_DEP_1)
	v_lshrrev_b32_e32 v60, s49, v60
	v_and_b32_e32 v125, s52, v60
	s_or_b32 exec_lo, exec_lo, s42
	s_and_saveexec_b32 s42, s28
	s_cbranch_execz .LBB2040_1100
.LBB2040_1166:                          ;   in Loop: Header=BB2040_974 Depth=2
	ds_load_u16 v60, v93 offset:8192
	s_wait_dscnt 0x0
	v_cmp_ne_u16_e64 s30, 0x7fff, v60
	s_delay_alu instid0(VALU_DEP_1) | instskip(NEXT) | instid1(VALU_DEP_1)
	v_cndmask_b32_e64 v60, 0xffff8000, v60, s30
	v_and_b32_e32 v60, 0xffff, v60
	s_delay_alu instid0(VALU_DEP_1) | instskip(NEXT) | instid1(VALU_DEP_1)
	v_lshrrev_b32_e32 v60, s49, v60
	v_and_b32_e32 v124, s52, v60
	s_or_b32 exec_lo, exec_lo, s42
	s_and_saveexec_b32 s42, s29
	s_cbranch_execnz .LBB2040_1101
	s_branch .LBB2040_1102
.LBB2040_1167:                          ;   in Loop: Header=BB2040_974 Depth=2
	v_lshlrev_b32_e32 v61, 2, v138
	ds_load_b32 v61, v61
	ds_load_b64 v[64:65], v60 offset:1024
	s_wait_dscnt 0x1
	v_add_nc_u32_e32 v61, v61, v2
	s_wait_dscnt 0x0
	global_store_b64 v61, v[64:65], s[46:47] scale_offset
	s_wait_xcnt 0x0
	s_or_b32 exec_lo, exec_lo, s30
	s_and_saveexec_b32 s30, s15
	s_cbranch_execz .LBB2040_1104
.LBB2040_1168:                          ;   in Loop: Header=BB2040_974 Depth=2
	v_lshlrev_b32_e32 v61, 2, v137
	ds_load_b32 v61, v61
	ds_load_b64 v[64:65], v60 offset:3072
	s_wait_dscnt 0x1
	v_add_nc_u32_e32 v61, v61, v68
	s_wait_dscnt 0x0
	global_store_b64 v61, v[64:65], s[46:47] scale_offset
	s_wait_xcnt 0x0
	s_or_b32 exec_lo, exec_lo, s30
	s_and_saveexec_b32 s15, s16
	s_cbranch_execz .LBB2040_1105
.LBB2040_1169:                          ;   in Loop: Header=BB2040_974 Depth=2
	v_lshlrev_b32_e32 v61, 2, v136
	ds_load_b32 v61, v61
	ds_load_b64 v[64:65], v60 offset:5120
	s_wait_dscnt 0x1
	v_add_nc_u32_e32 v61, v61, v69
	s_wait_dscnt 0x0
	global_store_b64 v61, v[64:65], s[46:47] scale_offset
	s_wait_xcnt 0x0
	s_or_b32 exec_lo, exec_lo, s15
	s_and_saveexec_b32 s15, s17
	s_cbranch_execz .LBB2040_1106
.LBB2040_1170:                          ;   in Loop: Header=BB2040_974 Depth=2
	v_lshlrev_b32_e32 v61, 2, v135
	ds_load_b32 v61, v61
	ds_load_b64 v[64:65], v60 offset:7168
	s_wait_dscnt 0x1
	v_add_nc_u32_e32 v61, v61, v70
	s_wait_dscnt 0x0
	global_store_b64 v61, v[64:65], s[46:47] scale_offset
	s_wait_xcnt 0x0
	s_or_b32 exec_lo, exec_lo, s15
	s_and_saveexec_b32 s15, s18
	s_cbranch_execz .LBB2040_1107
.LBB2040_1171:                          ;   in Loop: Header=BB2040_974 Depth=2
	v_lshlrev_b32_e32 v61, 2, v134
	ds_load_b32 v61, v61
	ds_load_b64 v[64:65], v60 offset:9216
	s_wait_dscnt 0x1
	v_add_nc_u32_e32 v61, v61, v71
	s_wait_dscnt 0x0
	global_store_b64 v61, v[64:65], s[46:47] scale_offset
	s_wait_xcnt 0x0
	s_or_b32 exec_lo, exec_lo, s15
	s_and_saveexec_b32 s15, s19
	s_cbranch_execz .LBB2040_1108
.LBB2040_1172:                          ;   in Loop: Header=BB2040_974 Depth=2
	v_lshlrev_b32_e32 v61, 2, v133
	ds_load_b32 v61, v61
	ds_load_b64 v[64:65], v60 offset:11264
	s_wait_dscnt 0x1
	v_add_nc_u32_e32 v61, v61, v72
	s_wait_dscnt 0x0
	global_store_b64 v61, v[64:65], s[46:47] scale_offset
	s_wait_xcnt 0x0
	s_or_b32 exec_lo, exec_lo, s15
	s_and_saveexec_b32 s15, s20
	s_cbranch_execz .LBB2040_1109
.LBB2040_1173:                          ;   in Loop: Header=BB2040_974 Depth=2
	v_lshlrev_b32_e32 v61, 2, v132
	ds_load_b32 v61, v61
	ds_load_b64 v[64:65], v60 offset:13312
	s_wait_dscnt 0x1
	v_add_nc_u32_e32 v61, v61, v73
	s_wait_dscnt 0x0
	global_store_b64 v61, v[64:65], s[46:47] scale_offset
	s_wait_xcnt 0x0
	s_or_b32 exec_lo, exec_lo, s15
	s_and_saveexec_b32 s15, s21
	s_cbranch_execz .LBB2040_1110
.LBB2040_1174:                          ;   in Loop: Header=BB2040_974 Depth=2
	v_lshlrev_b32_e32 v61, 2, v131
	ds_load_b32 v61, v61
	ds_load_b64 v[64:65], v60 offset:15360
	s_wait_dscnt 0x1
	v_add_nc_u32_e32 v61, v61, v74
	s_wait_dscnt 0x0
	global_store_b64 v61, v[64:65], s[46:47] scale_offset
	s_wait_xcnt 0x0
	s_or_b32 exec_lo, exec_lo, s15
	s_and_saveexec_b32 s15, s22
	s_cbranch_execz .LBB2040_1111
.LBB2040_1175:                          ;   in Loop: Header=BB2040_974 Depth=2
	v_lshlrev_b32_e32 v61, 2, v130
	ds_load_b32 v61, v61
	ds_load_b64 v[64:65], v60 offset:17408
	s_wait_dscnt 0x1
	v_add_nc_u32_e32 v61, v61, v75
	s_wait_dscnt 0x0
	global_store_b64 v61, v[64:65], s[46:47] scale_offset
	s_wait_xcnt 0x0
	s_or_b32 exec_lo, exec_lo, s15
	s_and_saveexec_b32 s15, s23
	s_cbranch_execz .LBB2040_1112
.LBB2040_1176:                          ;   in Loop: Header=BB2040_974 Depth=2
	v_lshlrev_b32_e32 v61, 2, v129
	ds_load_b32 v61, v61
	ds_load_b64 v[64:65], v60 offset:19456
	s_wait_dscnt 0x1
	v_add_nc_u32_e32 v61, v61, v76
	s_wait_dscnt 0x0
	global_store_b64 v61, v[64:65], s[46:47] scale_offset
	s_wait_xcnt 0x0
	s_or_b32 exec_lo, exec_lo, s15
	s_and_saveexec_b32 s15, s24
	s_cbranch_execz .LBB2040_1113
.LBB2040_1177:                          ;   in Loop: Header=BB2040_974 Depth=2
	v_lshlrev_b32_e32 v61, 2, v128
	ds_load_b32 v61, v61
	ds_load_b64 v[64:65], v60 offset:21504
	s_wait_dscnt 0x1
	v_add_nc_u32_e32 v61, v61, v77
	s_wait_dscnt 0x0
	global_store_b64 v61, v[64:65], s[46:47] scale_offset
	s_wait_xcnt 0x0
	s_or_b32 exec_lo, exec_lo, s15
	s_and_saveexec_b32 s15, s25
	s_cbranch_execz .LBB2040_1114
.LBB2040_1178:                          ;   in Loop: Header=BB2040_974 Depth=2
	v_lshlrev_b32_e32 v61, 2, v127
	ds_load_b32 v61, v61
	ds_load_b64 v[64:65], v60 offset:23552
	s_wait_dscnt 0x1
	v_add_nc_u32_e32 v61, v61, v78
	s_wait_dscnt 0x0
	global_store_b64 v61, v[64:65], s[46:47] scale_offset
	s_wait_xcnt 0x0
	s_or_b32 exec_lo, exec_lo, s15
	s_and_saveexec_b32 s15, s26
	s_cbranch_execz .LBB2040_1115
.LBB2040_1179:                          ;   in Loop: Header=BB2040_974 Depth=2
	v_lshlrev_b32_e32 v61, 2, v126
	ds_load_b32 v61, v61
	ds_load_b64 v[64:65], v60 offset:25600
	s_wait_dscnt 0x1
	v_add_nc_u32_e32 v61, v61, v79
	s_wait_dscnt 0x0
	global_store_b64 v61, v[64:65], s[46:47] scale_offset
	s_wait_xcnt 0x0
	s_or_b32 exec_lo, exec_lo, s15
	s_and_saveexec_b32 s15, s27
	s_cbranch_execz .LBB2040_1116
.LBB2040_1180:                          ;   in Loop: Header=BB2040_974 Depth=2
	v_lshlrev_b32_e32 v61, 2, v125
	ds_load_b32 v61, v61
	ds_load_b64 v[64:65], v60 offset:27648
	s_wait_dscnt 0x1
	v_add_nc_u32_e32 v61, v61, v80
	s_wait_dscnt 0x0
	global_store_b64 v61, v[64:65], s[46:47] scale_offset
	s_wait_xcnt 0x0
	s_or_b32 exec_lo, exec_lo, s15
	s_and_saveexec_b32 s15, s28
	s_cbranch_execz .LBB2040_1117
.LBB2040_1181:                          ;   in Loop: Header=BB2040_974 Depth=2
	v_lshlrev_b32_e32 v61, 2, v124
	ds_load_b32 v61, v61
	ds_load_b64 v[64:65], v60 offset:29696
	s_wait_dscnt 0x1
	v_add_nc_u32_e32 v61, v61, v81
	s_wait_dscnt 0x0
	global_store_b64 v61, v[64:65], s[46:47] scale_offset
	s_wait_xcnt 0x0
	s_or_b32 exec_lo, exec_lo, s15
	s_and_saveexec_b32 s15, s29
	s_cbranch_execnz .LBB2040_1118
	s_branch .LBB2040_1119
.LBB2040_1182:
	s_endpgm
	.section	.rodata,"a",@progbits
	.p2align	6, 0x0
	.amdhsa_kernel _ZN7rocprim17ROCPRIM_400000_NS6detail17trampoline_kernelINS0_14default_configENS1_36segmented_radix_sort_config_selectorI12hip_bfloat16lEEZNS1_25segmented_radix_sort_implIS3_Lb0EPKS5_PS5_PKlPlN2at6native12_GLOBAL__N_18offset_tEEE10hipError_tPvRmT1_PNSt15iterator_traitsISL_E10value_typeET2_T3_PNSM_ISR_E10value_typeET4_jRbjT5_SX_jjP12ihipStream_tbEUlT_E_NS1_11comp_targetILNS1_3genE0ELNS1_11target_archE4294967295ELNS1_3gpuE0ELNS1_3repE0EEENS1_30default_config_static_selectorELNS0_4arch9wavefront6targetE0EEEvSL_
		.amdhsa_group_segment_fixed_size 33824
		.amdhsa_private_segment_fixed_size 0
		.amdhsa_kernarg_size 352
		.amdhsa_user_sgpr_count 4
		.amdhsa_user_sgpr_dispatch_ptr 0
		.amdhsa_user_sgpr_queue_ptr 1
		.amdhsa_user_sgpr_kernarg_segment_ptr 1
		.amdhsa_user_sgpr_dispatch_id 0
		.amdhsa_user_sgpr_kernarg_preload_length 0
		.amdhsa_user_sgpr_kernarg_preload_offset 0
		.amdhsa_user_sgpr_private_segment_size 0
		.amdhsa_wavefront_size32 1
		.amdhsa_uses_dynamic_stack 0
		.amdhsa_enable_private_segment 0
		.amdhsa_system_sgpr_workgroup_id_x 1
		.amdhsa_system_sgpr_workgroup_id_y 1
		.amdhsa_system_sgpr_workgroup_id_z 0
		.amdhsa_system_sgpr_workgroup_info 0
		.amdhsa_system_vgpr_workitem_id 2
		.amdhsa_next_free_vgpr 304
		.amdhsa_next_free_sgpr 59
		.amdhsa_named_barrier_count 0
		.amdhsa_reserve_vcc 1
		.amdhsa_float_round_mode_32 0
		.amdhsa_float_round_mode_16_64 0
		.amdhsa_float_denorm_mode_32 3
		.amdhsa_float_denorm_mode_16_64 3
		.amdhsa_fp16_overflow 0
		.amdhsa_memory_ordered 1
		.amdhsa_forward_progress 1
		.amdhsa_inst_pref_size 255
		.amdhsa_round_robin_scheduling 0
		.amdhsa_exception_fp_ieee_invalid_op 0
		.amdhsa_exception_fp_denorm_src 0
		.amdhsa_exception_fp_ieee_div_zero 0
		.amdhsa_exception_fp_ieee_overflow 0
		.amdhsa_exception_fp_ieee_underflow 0
		.amdhsa_exception_fp_ieee_inexact 0
		.amdhsa_exception_int_div_zero 0
	.end_amdhsa_kernel
	.section	.text._ZN7rocprim17ROCPRIM_400000_NS6detail17trampoline_kernelINS0_14default_configENS1_36segmented_radix_sort_config_selectorI12hip_bfloat16lEEZNS1_25segmented_radix_sort_implIS3_Lb0EPKS5_PS5_PKlPlN2at6native12_GLOBAL__N_18offset_tEEE10hipError_tPvRmT1_PNSt15iterator_traitsISL_E10value_typeET2_T3_PNSM_ISR_E10value_typeET4_jRbjT5_SX_jjP12ihipStream_tbEUlT_E_NS1_11comp_targetILNS1_3genE0ELNS1_11target_archE4294967295ELNS1_3gpuE0ELNS1_3repE0EEENS1_30default_config_static_selectorELNS0_4arch9wavefront6targetE0EEEvSL_,"axG",@progbits,_ZN7rocprim17ROCPRIM_400000_NS6detail17trampoline_kernelINS0_14default_configENS1_36segmented_radix_sort_config_selectorI12hip_bfloat16lEEZNS1_25segmented_radix_sort_implIS3_Lb0EPKS5_PS5_PKlPlN2at6native12_GLOBAL__N_18offset_tEEE10hipError_tPvRmT1_PNSt15iterator_traitsISL_E10value_typeET2_T3_PNSM_ISR_E10value_typeET4_jRbjT5_SX_jjP12ihipStream_tbEUlT_E_NS1_11comp_targetILNS1_3genE0ELNS1_11target_archE4294967295ELNS1_3gpuE0ELNS1_3repE0EEENS1_30default_config_static_selectorELNS0_4arch9wavefront6targetE0EEEvSL_,comdat
.Lfunc_end2040:
	.size	_ZN7rocprim17ROCPRIM_400000_NS6detail17trampoline_kernelINS0_14default_configENS1_36segmented_radix_sort_config_selectorI12hip_bfloat16lEEZNS1_25segmented_radix_sort_implIS3_Lb0EPKS5_PS5_PKlPlN2at6native12_GLOBAL__N_18offset_tEEE10hipError_tPvRmT1_PNSt15iterator_traitsISL_E10value_typeET2_T3_PNSM_ISR_E10value_typeET4_jRbjT5_SX_jjP12ihipStream_tbEUlT_E_NS1_11comp_targetILNS1_3genE0ELNS1_11target_archE4294967295ELNS1_3gpuE0ELNS1_3repE0EEENS1_30default_config_static_selectorELNS0_4arch9wavefront6targetE0EEEvSL_, .Lfunc_end2040-_ZN7rocprim17ROCPRIM_400000_NS6detail17trampoline_kernelINS0_14default_configENS1_36segmented_radix_sort_config_selectorI12hip_bfloat16lEEZNS1_25segmented_radix_sort_implIS3_Lb0EPKS5_PS5_PKlPlN2at6native12_GLOBAL__N_18offset_tEEE10hipError_tPvRmT1_PNSt15iterator_traitsISL_E10value_typeET2_T3_PNSM_ISR_E10value_typeET4_jRbjT5_SX_jjP12ihipStream_tbEUlT_E_NS1_11comp_targetILNS1_3genE0ELNS1_11target_archE4294967295ELNS1_3gpuE0ELNS1_3repE0EEENS1_30default_config_static_selectorELNS0_4arch9wavefront6targetE0EEEvSL_
                                        ; -- End function
	.set _ZN7rocprim17ROCPRIM_400000_NS6detail17trampoline_kernelINS0_14default_configENS1_36segmented_radix_sort_config_selectorI12hip_bfloat16lEEZNS1_25segmented_radix_sort_implIS3_Lb0EPKS5_PS5_PKlPlN2at6native12_GLOBAL__N_18offset_tEEE10hipError_tPvRmT1_PNSt15iterator_traitsISL_E10value_typeET2_T3_PNSM_ISR_E10value_typeET4_jRbjT5_SX_jjP12ihipStream_tbEUlT_E_NS1_11comp_targetILNS1_3genE0ELNS1_11target_archE4294967295ELNS1_3gpuE0ELNS1_3repE0EEENS1_30default_config_static_selectorELNS0_4arch9wavefront6targetE0EEEvSL_.num_vgpr, max(206, .L_ZN7rocprim17ROCPRIM_400000_NS6detail40segmented_radix_sort_single_block_helperI12hip_bfloat16lLj256ELj16ELb0EE4sortIPKS3_PS3_PKlPlEEbT_T0_T1_T2_jjjjRNS4_12storage_typeE.num_vgpr)
	.set _ZN7rocprim17ROCPRIM_400000_NS6detail17trampoline_kernelINS0_14default_configENS1_36segmented_radix_sort_config_selectorI12hip_bfloat16lEEZNS1_25segmented_radix_sort_implIS3_Lb0EPKS5_PS5_PKlPlN2at6native12_GLOBAL__N_18offset_tEEE10hipError_tPvRmT1_PNSt15iterator_traitsISL_E10value_typeET2_T3_PNSM_ISR_E10value_typeET4_jRbjT5_SX_jjP12ihipStream_tbEUlT_E_NS1_11comp_targetILNS1_3genE0ELNS1_11target_archE4294967295ELNS1_3gpuE0ELNS1_3repE0EEENS1_30default_config_static_selectorELNS0_4arch9wavefront6targetE0EEEvSL_.num_agpr, max(0, .L_ZN7rocprim17ROCPRIM_400000_NS6detail40segmented_radix_sort_single_block_helperI12hip_bfloat16lLj256ELj16ELb0EE4sortIPKS3_PS3_PKlPlEEbT_T0_T1_T2_jjjjRNS4_12storage_typeE.num_agpr)
	.set _ZN7rocprim17ROCPRIM_400000_NS6detail17trampoline_kernelINS0_14default_configENS1_36segmented_radix_sort_config_selectorI12hip_bfloat16lEEZNS1_25segmented_radix_sort_implIS3_Lb0EPKS5_PS5_PKlPlN2at6native12_GLOBAL__N_18offset_tEEE10hipError_tPvRmT1_PNSt15iterator_traitsISL_E10value_typeET2_T3_PNSM_ISR_E10value_typeET4_jRbjT5_SX_jjP12ihipStream_tbEUlT_E_NS1_11comp_targetILNS1_3genE0ELNS1_11target_archE4294967295ELNS1_3gpuE0ELNS1_3repE0EEENS1_30default_config_static_selectorELNS0_4arch9wavefront6targetE0EEEvSL_.numbered_sgpr, max(59, .L_ZN7rocprim17ROCPRIM_400000_NS6detail40segmented_radix_sort_single_block_helperI12hip_bfloat16lLj256ELj16ELb0EE4sortIPKS3_PS3_PKlPlEEbT_T0_T1_T2_jjjjRNS4_12storage_typeE.numbered_sgpr)
	.set _ZN7rocprim17ROCPRIM_400000_NS6detail17trampoline_kernelINS0_14default_configENS1_36segmented_radix_sort_config_selectorI12hip_bfloat16lEEZNS1_25segmented_radix_sort_implIS3_Lb0EPKS5_PS5_PKlPlN2at6native12_GLOBAL__N_18offset_tEEE10hipError_tPvRmT1_PNSt15iterator_traitsISL_E10value_typeET2_T3_PNSM_ISR_E10value_typeET4_jRbjT5_SX_jjP12ihipStream_tbEUlT_E_NS1_11comp_targetILNS1_3genE0ELNS1_11target_archE4294967295ELNS1_3gpuE0ELNS1_3repE0EEENS1_30default_config_static_selectorELNS0_4arch9wavefront6targetE0EEEvSL_.num_named_barrier, max(0, .L_ZN7rocprim17ROCPRIM_400000_NS6detail40segmented_radix_sort_single_block_helperI12hip_bfloat16lLj256ELj16ELb0EE4sortIPKS3_PS3_PKlPlEEbT_T0_T1_T2_jjjjRNS4_12storage_typeE.num_named_barrier)
	.set _ZN7rocprim17ROCPRIM_400000_NS6detail17trampoline_kernelINS0_14default_configENS1_36segmented_radix_sort_config_selectorI12hip_bfloat16lEEZNS1_25segmented_radix_sort_implIS3_Lb0EPKS5_PS5_PKlPlN2at6native12_GLOBAL__N_18offset_tEEE10hipError_tPvRmT1_PNSt15iterator_traitsISL_E10value_typeET2_T3_PNSM_ISR_E10value_typeET4_jRbjT5_SX_jjP12ihipStream_tbEUlT_E_NS1_11comp_targetILNS1_3genE0ELNS1_11target_archE4294967295ELNS1_3gpuE0ELNS1_3repE0EEENS1_30default_config_static_selectorELNS0_4arch9wavefront6targetE0EEEvSL_.private_seg_size, 0+max(.L_ZN7rocprim17ROCPRIM_400000_NS6detail40segmented_radix_sort_single_block_helperI12hip_bfloat16lLj256ELj16ELb0EE4sortIPKS3_PS3_PKlPlEEbT_T0_T1_T2_jjjjRNS4_12storage_typeE.private_seg_size)
	.set _ZN7rocprim17ROCPRIM_400000_NS6detail17trampoline_kernelINS0_14default_configENS1_36segmented_radix_sort_config_selectorI12hip_bfloat16lEEZNS1_25segmented_radix_sort_implIS3_Lb0EPKS5_PS5_PKlPlN2at6native12_GLOBAL__N_18offset_tEEE10hipError_tPvRmT1_PNSt15iterator_traitsISL_E10value_typeET2_T3_PNSM_ISR_E10value_typeET4_jRbjT5_SX_jjP12ihipStream_tbEUlT_E_NS1_11comp_targetILNS1_3genE0ELNS1_11target_archE4294967295ELNS1_3gpuE0ELNS1_3repE0EEENS1_30default_config_static_selectorELNS0_4arch9wavefront6targetE0EEEvSL_.uses_vcc, or(1, .L_ZN7rocprim17ROCPRIM_400000_NS6detail40segmented_radix_sort_single_block_helperI12hip_bfloat16lLj256ELj16ELb0EE4sortIPKS3_PS3_PKlPlEEbT_T0_T1_T2_jjjjRNS4_12storage_typeE.uses_vcc)
	.set _ZN7rocprim17ROCPRIM_400000_NS6detail17trampoline_kernelINS0_14default_configENS1_36segmented_radix_sort_config_selectorI12hip_bfloat16lEEZNS1_25segmented_radix_sort_implIS3_Lb0EPKS5_PS5_PKlPlN2at6native12_GLOBAL__N_18offset_tEEE10hipError_tPvRmT1_PNSt15iterator_traitsISL_E10value_typeET2_T3_PNSM_ISR_E10value_typeET4_jRbjT5_SX_jjP12ihipStream_tbEUlT_E_NS1_11comp_targetILNS1_3genE0ELNS1_11target_archE4294967295ELNS1_3gpuE0ELNS1_3repE0EEENS1_30default_config_static_selectorELNS0_4arch9wavefront6targetE0EEEvSL_.uses_flat_scratch, or(0, .L_ZN7rocprim17ROCPRIM_400000_NS6detail40segmented_radix_sort_single_block_helperI12hip_bfloat16lLj256ELj16ELb0EE4sortIPKS3_PS3_PKlPlEEbT_T0_T1_T2_jjjjRNS4_12storage_typeE.uses_flat_scratch)
	.set _ZN7rocprim17ROCPRIM_400000_NS6detail17trampoline_kernelINS0_14default_configENS1_36segmented_radix_sort_config_selectorI12hip_bfloat16lEEZNS1_25segmented_radix_sort_implIS3_Lb0EPKS5_PS5_PKlPlN2at6native12_GLOBAL__N_18offset_tEEE10hipError_tPvRmT1_PNSt15iterator_traitsISL_E10value_typeET2_T3_PNSM_ISR_E10value_typeET4_jRbjT5_SX_jjP12ihipStream_tbEUlT_E_NS1_11comp_targetILNS1_3genE0ELNS1_11target_archE4294967295ELNS1_3gpuE0ELNS1_3repE0EEENS1_30default_config_static_selectorELNS0_4arch9wavefront6targetE0EEEvSL_.has_dyn_sized_stack, or(0, .L_ZN7rocprim17ROCPRIM_400000_NS6detail40segmented_radix_sort_single_block_helperI12hip_bfloat16lLj256ELj16ELb0EE4sortIPKS3_PS3_PKlPlEEbT_T0_T1_T2_jjjjRNS4_12storage_typeE.has_dyn_sized_stack)
	.set _ZN7rocprim17ROCPRIM_400000_NS6detail17trampoline_kernelINS0_14default_configENS1_36segmented_radix_sort_config_selectorI12hip_bfloat16lEEZNS1_25segmented_radix_sort_implIS3_Lb0EPKS5_PS5_PKlPlN2at6native12_GLOBAL__N_18offset_tEEE10hipError_tPvRmT1_PNSt15iterator_traitsISL_E10value_typeET2_T3_PNSM_ISR_E10value_typeET4_jRbjT5_SX_jjP12ihipStream_tbEUlT_E_NS1_11comp_targetILNS1_3genE0ELNS1_11target_archE4294967295ELNS1_3gpuE0ELNS1_3repE0EEENS1_30default_config_static_selectorELNS0_4arch9wavefront6targetE0EEEvSL_.has_recursion, or(0, .L_ZN7rocprim17ROCPRIM_400000_NS6detail40segmented_radix_sort_single_block_helperI12hip_bfloat16lLj256ELj16ELb0EE4sortIPKS3_PS3_PKlPlEEbT_T0_T1_T2_jjjjRNS4_12storage_typeE.has_recursion)
	.set _ZN7rocprim17ROCPRIM_400000_NS6detail17trampoline_kernelINS0_14default_configENS1_36segmented_radix_sort_config_selectorI12hip_bfloat16lEEZNS1_25segmented_radix_sort_implIS3_Lb0EPKS5_PS5_PKlPlN2at6native12_GLOBAL__N_18offset_tEEE10hipError_tPvRmT1_PNSt15iterator_traitsISL_E10value_typeET2_T3_PNSM_ISR_E10value_typeET4_jRbjT5_SX_jjP12ihipStream_tbEUlT_E_NS1_11comp_targetILNS1_3genE0ELNS1_11target_archE4294967295ELNS1_3gpuE0ELNS1_3repE0EEENS1_30default_config_static_selectorELNS0_4arch9wavefront6targetE0EEEvSL_.has_indirect_call, or(0, .L_ZN7rocprim17ROCPRIM_400000_NS6detail40segmented_radix_sort_single_block_helperI12hip_bfloat16lLj256ELj16ELb0EE4sortIPKS3_PS3_PKlPlEEbT_T0_T1_T2_jjjjRNS4_12storage_typeE.has_indirect_call)
	.section	.AMDGPU.csdata,"",@progbits
; Kernel info:
; codeLenInByte = 80740
; TotalNumSgprs: 61
; NumVgprs: 304
; ScratchSize: 0
; MemoryBound: 0
; FloatMode: 240
; IeeeMode: 1
; LDSByteSize: 33824 bytes/workgroup (compile time only)
; SGPRBlocks: 0
; VGPRBlocks: 18
; NumSGPRsForWavesPerEU: 61
; NumVGPRsForWavesPerEU: 304
; NamedBarCnt: 0
; Occupancy: 3
; WaveLimiterHint : 1
; COMPUTE_PGM_RSRC2:SCRATCH_EN: 0
; COMPUTE_PGM_RSRC2:USER_SGPR: 4
; COMPUTE_PGM_RSRC2:TRAP_HANDLER: 0
; COMPUTE_PGM_RSRC2:TGID_X_EN: 1
; COMPUTE_PGM_RSRC2:TGID_Y_EN: 1
; COMPUTE_PGM_RSRC2:TGID_Z_EN: 0
; COMPUTE_PGM_RSRC2:TIDIG_COMP_CNT: 2
	.section	.text._ZN7rocprim17ROCPRIM_400000_NS6detail17trampoline_kernelINS0_14default_configENS1_36segmented_radix_sort_config_selectorI12hip_bfloat16lEEZNS1_25segmented_radix_sort_implIS3_Lb0EPKS5_PS5_PKlPlN2at6native12_GLOBAL__N_18offset_tEEE10hipError_tPvRmT1_PNSt15iterator_traitsISL_E10value_typeET2_T3_PNSM_ISR_E10value_typeET4_jRbjT5_SX_jjP12ihipStream_tbEUlT_E_NS1_11comp_targetILNS1_3genE5ELNS1_11target_archE942ELNS1_3gpuE9ELNS1_3repE0EEENS1_30default_config_static_selectorELNS0_4arch9wavefront6targetE0EEEvSL_,"axG",@progbits,_ZN7rocprim17ROCPRIM_400000_NS6detail17trampoline_kernelINS0_14default_configENS1_36segmented_radix_sort_config_selectorI12hip_bfloat16lEEZNS1_25segmented_radix_sort_implIS3_Lb0EPKS5_PS5_PKlPlN2at6native12_GLOBAL__N_18offset_tEEE10hipError_tPvRmT1_PNSt15iterator_traitsISL_E10value_typeET2_T3_PNSM_ISR_E10value_typeET4_jRbjT5_SX_jjP12ihipStream_tbEUlT_E_NS1_11comp_targetILNS1_3genE5ELNS1_11target_archE942ELNS1_3gpuE9ELNS1_3repE0EEENS1_30default_config_static_selectorELNS0_4arch9wavefront6targetE0EEEvSL_,comdat
	.globl	_ZN7rocprim17ROCPRIM_400000_NS6detail17trampoline_kernelINS0_14default_configENS1_36segmented_radix_sort_config_selectorI12hip_bfloat16lEEZNS1_25segmented_radix_sort_implIS3_Lb0EPKS5_PS5_PKlPlN2at6native12_GLOBAL__N_18offset_tEEE10hipError_tPvRmT1_PNSt15iterator_traitsISL_E10value_typeET2_T3_PNSM_ISR_E10value_typeET4_jRbjT5_SX_jjP12ihipStream_tbEUlT_E_NS1_11comp_targetILNS1_3genE5ELNS1_11target_archE942ELNS1_3gpuE9ELNS1_3repE0EEENS1_30default_config_static_selectorELNS0_4arch9wavefront6targetE0EEEvSL_ ; -- Begin function _ZN7rocprim17ROCPRIM_400000_NS6detail17trampoline_kernelINS0_14default_configENS1_36segmented_radix_sort_config_selectorI12hip_bfloat16lEEZNS1_25segmented_radix_sort_implIS3_Lb0EPKS5_PS5_PKlPlN2at6native12_GLOBAL__N_18offset_tEEE10hipError_tPvRmT1_PNSt15iterator_traitsISL_E10value_typeET2_T3_PNSM_ISR_E10value_typeET4_jRbjT5_SX_jjP12ihipStream_tbEUlT_E_NS1_11comp_targetILNS1_3genE5ELNS1_11target_archE942ELNS1_3gpuE9ELNS1_3repE0EEENS1_30default_config_static_selectorELNS0_4arch9wavefront6targetE0EEEvSL_
	.p2align	8
	.type	_ZN7rocprim17ROCPRIM_400000_NS6detail17trampoline_kernelINS0_14default_configENS1_36segmented_radix_sort_config_selectorI12hip_bfloat16lEEZNS1_25segmented_radix_sort_implIS3_Lb0EPKS5_PS5_PKlPlN2at6native12_GLOBAL__N_18offset_tEEE10hipError_tPvRmT1_PNSt15iterator_traitsISL_E10value_typeET2_T3_PNSM_ISR_E10value_typeET4_jRbjT5_SX_jjP12ihipStream_tbEUlT_E_NS1_11comp_targetILNS1_3genE5ELNS1_11target_archE942ELNS1_3gpuE9ELNS1_3repE0EEENS1_30default_config_static_selectorELNS0_4arch9wavefront6targetE0EEEvSL_,@function
_ZN7rocprim17ROCPRIM_400000_NS6detail17trampoline_kernelINS0_14default_configENS1_36segmented_radix_sort_config_selectorI12hip_bfloat16lEEZNS1_25segmented_radix_sort_implIS3_Lb0EPKS5_PS5_PKlPlN2at6native12_GLOBAL__N_18offset_tEEE10hipError_tPvRmT1_PNSt15iterator_traitsISL_E10value_typeET2_T3_PNSM_ISR_E10value_typeET4_jRbjT5_SX_jjP12ihipStream_tbEUlT_E_NS1_11comp_targetILNS1_3genE5ELNS1_11target_archE942ELNS1_3gpuE9ELNS1_3repE0EEENS1_30default_config_static_selectorELNS0_4arch9wavefront6targetE0EEEvSL_: ; @_ZN7rocprim17ROCPRIM_400000_NS6detail17trampoline_kernelINS0_14default_configENS1_36segmented_radix_sort_config_selectorI12hip_bfloat16lEEZNS1_25segmented_radix_sort_implIS3_Lb0EPKS5_PS5_PKlPlN2at6native12_GLOBAL__N_18offset_tEEE10hipError_tPvRmT1_PNSt15iterator_traitsISL_E10value_typeET2_T3_PNSM_ISR_E10value_typeET4_jRbjT5_SX_jjP12ihipStream_tbEUlT_E_NS1_11comp_targetILNS1_3genE5ELNS1_11target_archE942ELNS1_3gpuE9ELNS1_3repE0EEENS1_30default_config_static_selectorELNS0_4arch9wavefront6targetE0EEEvSL_
; %bb.0:
	.section	.rodata,"a",@progbits
	.p2align	6, 0x0
	.amdhsa_kernel _ZN7rocprim17ROCPRIM_400000_NS6detail17trampoline_kernelINS0_14default_configENS1_36segmented_radix_sort_config_selectorI12hip_bfloat16lEEZNS1_25segmented_radix_sort_implIS3_Lb0EPKS5_PS5_PKlPlN2at6native12_GLOBAL__N_18offset_tEEE10hipError_tPvRmT1_PNSt15iterator_traitsISL_E10value_typeET2_T3_PNSM_ISR_E10value_typeET4_jRbjT5_SX_jjP12ihipStream_tbEUlT_E_NS1_11comp_targetILNS1_3genE5ELNS1_11target_archE942ELNS1_3gpuE9ELNS1_3repE0EEENS1_30default_config_static_selectorELNS0_4arch9wavefront6targetE0EEEvSL_
		.amdhsa_group_segment_fixed_size 0
		.amdhsa_private_segment_fixed_size 0
		.amdhsa_kernarg_size 96
		.amdhsa_user_sgpr_count 2
		.amdhsa_user_sgpr_dispatch_ptr 0
		.amdhsa_user_sgpr_queue_ptr 0
		.amdhsa_user_sgpr_kernarg_segment_ptr 1
		.amdhsa_user_sgpr_dispatch_id 0
		.amdhsa_user_sgpr_kernarg_preload_length 0
		.amdhsa_user_sgpr_kernarg_preload_offset 0
		.amdhsa_user_sgpr_private_segment_size 0
		.amdhsa_wavefront_size32 1
		.amdhsa_uses_dynamic_stack 0
		.amdhsa_enable_private_segment 0
		.amdhsa_system_sgpr_workgroup_id_x 1
		.amdhsa_system_sgpr_workgroup_id_y 0
		.amdhsa_system_sgpr_workgroup_id_z 0
		.amdhsa_system_sgpr_workgroup_info 0
		.amdhsa_system_vgpr_workitem_id 0
		.amdhsa_next_free_vgpr 1
		.amdhsa_next_free_sgpr 1
		.amdhsa_named_barrier_count 0
		.amdhsa_reserve_vcc 0
		.amdhsa_float_round_mode_32 0
		.amdhsa_float_round_mode_16_64 0
		.amdhsa_float_denorm_mode_32 3
		.amdhsa_float_denorm_mode_16_64 3
		.amdhsa_fp16_overflow 0
		.amdhsa_memory_ordered 1
		.amdhsa_forward_progress 1
		.amdhsa_inst_pref_size 0
		.amdhsa_round_robin_scheduling 0
		.amdhsa_exception_fp_ieee_invalid_op 0
		.amdhsa_exception_fp_denorm_src 0
		.amdhsa_exception_fp_ieee_div_zero 0
		.amdhsa_exception_fp_ieee_overflow 0
		.amdhsa_exception_fp_ieee_underflow 0
		.amdhsa_exception_fp_ieee_inexact 0
		.amdhsa_exception_int_div_zero 0
	.end_amdhsa_kernel
	.section	.text._ZN7rocprim17ROCPRIM_400000_NS6detail17trampoline_kernelINS0_14default_configENS1_36segmented_radix_sort_config_selectorI12hip_bfloat16lEEZNS1_25segmented_radix_sort_implIS3_Lb0EPKS5_PS5_PKlPlN2at6native12_GLOBAL__N_18offset_tEEE10hipError_tPvRmT1_PNSt15iterator_traitsISL_E10value_typeET2_T3_PNSM_ISR_E10value_typeET4_jRbjT5_SX_jjP12ihipStream_tbEUlT_E_NS1_11comp_targetILNS1_3genE5ELNS1_11target_archE942ELNS1_3gpuE9ELNS1_3repE0EEENS1_30default_config_static_selectorELNS0_4arch9wavefront6targetE0EEEvSL_,"axG",@progbits,_ZN7rocprim17ROCPRIM_400000_NS6detail17trampoline_kernelINS0_14default_configENS1_36segmented_radix_sort_config_selectorI12hip_bfloat16lEEZNS1_25segmented_radix_sort_implIS3_Lb0EPKS5_PS5_PKlPlN2at6native12_GLOBAL__N_18offset_tEEE10hipError_tPvRmT1_PNSt15iterator_traitsISL_E10value_typeET2_T3_PNSM_ISR_E10value_typeET4_jRbjT5_SX_jjP12ihipStream_tbEUlT_E_NS1_11comp_targetILNS1_3genE5ELNS1_11target_archE942ELNS1_3gpuE9ELNS1_3repE0EEENS1_30default_config_static_selectorELNS0_4arch9wavefront6targetE0EEEvSL_,comdat
.Lfunc_end2041:
	.size	_ZN7rocprim17ROCPRIM_400000_NS6detail17trampoline_kernelINS0_14default_configENS1_36segmented_radix_sort_config_selectorI12hip_bfloat16lEEZNS1_25segmented_radix_sort_implIS3_Lb0EPKS5_PS5_PKlPlN2at6native12_GLOBAL__N_18offset_tEEE10hipError_tPvRmT1_PNSt15iterator_traitsISL_E10value_typeET2_T3_PNSM_ISR_E10value_typeET4_jRbjT5_SX_jjP12ihipStream_tbEUlT_E_NS1_11comp_targetILNS1_3genE5ELNS1_11target_archE942ELNS1_3gpuE9ELNS1_3repE0EEENS1_30default_config_static_selectorELNS0_4arch9wavefront6targetE0EEEvSL_, .Lfunc_end2041-_ZN7rocprim17ROCPRIM_400000_NS6detail17trampoline_kernelINS0_14default_configENS1_36segmented_radix_sort_config_selectorI12hip_bfloat16lEEZNS1_25segmented_radix_sort_implIS3_Lb0EPKS5_PS5_PKlPlN2at6native12_GLOBAL__N_18offset_tEEE10hipError_tPvRmT1_PNSt15iterator_traitsISL_E10value_typeET2_T3_PNSM_ISR_E10value_typeET4_jRbjT5_SX_jjP12ihipStream_tbEUlT_E_NS1_11comp_targetILNS1_3genE5ELNS1_11target_archE942ELNS1_3gpuE9ELNS1_3repE0EEENS1_30default_config_static_selectorELNS0_4arch9wavefront6targetE0EEEvSL_
                                        ; -- End function
	.set _ZN7rocprim17ROCPRIM_400000_NS6detail17trampoline_kernelINS0_14default_configENS1_36segmented_radix_sort_config_selectorI12hip_bfloat16lEEZNS1_25segmented_radix_sort_implIS3_Lb0EPKS5_PS5_PKlPlN2at6native12_GLOBAL__N_18offset_tEEE10hipError_tPvRmT1_PNSt15iterator_traitsISL_E10value_typeET2_T3_PNSM_ISR_E10value_typeET4_jRbjT5_SX_jjP12ihipStream_tbEUlT_E_NS1_11comp_targetILNS1_3genE5ELNS1_11target_archE942ELNS1_3gpuE9ELNS1_3repE0EEENS1_30default_config_static_selectorELNS0_4arch9wavefront6targetE0EEEvSL_.num_vgpr, 0
	.set _ZN7rocprim17ROCPRIM_400000_NS6detail17trampoline_kernelINS0_14default_configENS1_36segmented_radix_sort_config_selectorI12hip_bfloat16lEEZNS1_25segmented_radix_sort_implIS3_Lb0EPKS5_PS5_PKlPlN2at6native12_GLOBAL__N_18offset_tEEE10hipError_tPvRmT1_PNSt15iterator_traitsISL_E10value_typeET2_T3_PNSM_ISR_E10value_typeET4_jRbjT5_SX_jjP12ihipStream_tbEUlT_E_NS1_11comp_targetILNS1_3genE5ELNS1_11target_archE942ELNS1_3gpuE9ELNS1_3repE0EEENS1_30default_config_static_selectorELNS0_4arch9wavefront6targetE0EEEvSL_.num_agpr, 0
	.set _ZN7rocprim17ROCPRIM_400000_NS6detail17trampoline_kernelINS0_14default_configENS1_36segmented_radix_sort_config_selectorI12hip_bfloat16lEEZNS1_25segmented_radix_sort_implIS3_Lb0EPKS5_PS5_PKlPlN2at6native12_GLOBAL__N_18offset_tEEE10hipError_tPvRmT1_PNSt15iterator_traitsISL_E10value_typeET2_T3_PNSM_ISR_E10value_typeET4_jRbjT5_SX_jjP12ihipStream_tbEUlT_E_NS1_11comp_targetILNS1_3genE5ELNS1_11target_archE942ELNS1_3gpuE9ELNS1_3repE0EEENS1_30default_config_static_selectorELNS0_4arch9wavefront6targetE0EEEvSL_.numbered_sgpr, 0
	.set _ZN7rocprim17ROCPRIM_400000_NS6detail17trampoline_kernelINS0_14default_configENS1_36segmented_radix_sort_config_selectorI12hip_bfloat16lEEZNS1_25segmented_radix_sort_implIS3_Lb0EPKS5_PS5_PKlPlN2at6native12_GLOBAL__N_18offset_tEEE10hipError_tPvRmT1_PNSt15iterator_traitsISL_E10value_typeET2_T3_PNSM_ISR_E10value_typeET4_jRbjT5_SX_jjP12ihipStream_tbEUlT_E_NS1_11comp_targetILNS1_3genE5ELNS1_11target_archE942ELNS1_3gpuE9ELNS1_3repE0EEENS1_30default_config_static_selectorELNS0_4arch9wavefront6targetE0EEEvSL_.num_named_barrier, 0
	.set _ZN7rocprim17ROCPRIM_400000_NS6detail17trampoline_kernelINS0_14default_configENS1_36segmented_radix_sort_config_selectorI12hip_bfloat16lEEZNS1_25segmented_radix_sort_implIS3_Lb0EPKS5_PS5_PKlPlN2at6native12_GLOBAL__N_18offset_tEEE10hipError_tPvRmT1_PNSt15iterator_traitsISL_E10value_typeET2_T3_PNSM_ISR_E10value_typeET4_jRbjT5_SX_jjP12ihipStream_tbEUlT_E_NS1_11comp_targetILNS1_3genE5ELNS1_11target_archE942ELNS1_3gpuE9ELNS1_3repE0EEENS1_30default_config_static_selectorELNS0_4arch9wavefront6targetE0EEEvSL_.private_seg_size, 0
	.set _ZN7rocprim17ROCPRIM_400000_NS6detail17trampoline_kernelINS0_14default_configENS1_36segmented_radix_sort_config_selectorI12hip_bfloat16lEEZNS1_25segmented_radix_sort_implIS3_Lb0EPKS5_PS5_PKlPlN2at6native12_GLOBAL__N_18offset_tEEE10hipError_tPvRmT1_PNSt15iterator_traitsISL_E10value_typeET2_T3_PNSM_ISR_E10value_typeET4_jRbjT5_SX_jjP12ihipStream_tbEUlT_E_NS1_11comp_targetILNS1_3genE5ELNS1_11target_archE942ELNS1_3gpuE9ELNS1_3repE0EEENS1_30default_config_static_selectorELNS0_4arch9wavefront6targetE0EEEvSL_.uses_vcc, 0
	.set _ZN7rocprim17ROCPRIM_400000_NS6detail17trampoline_kernelINS0_14default_configENS1_36segmented_radix_sort_config_selectorI12hip_bfloat16lEEZNS1_25segmented_radix_sort_implIS3_Lb0EPKS5_PS5_PKlPlN2at6native12_GLOBAL__N_18offset_tEEE10hipError_tPvRmT1_PNSt15iterator_traitsISL_E10value_typeET2_T3_PNSM_ISR_E10value_typeET4_jRbjT5_SX_jjP12ihipStream_tbEUlT_E_NS1_11comp_targetILNS1_3genE5ELNS1_11target_archE942ELNS1_3gpuE9ELNS1_3repE0EEENS1_30default_config_static_selectorELNS0_4arch9wavefront6targetE0EEEvSL_.uses_flat_scratch, 0
	.set _ZN7rocprim17ROCPRIM_400000_NS6detail17trampoline_kernelINS0_14default_configENS1_36segmented_radix_sort_config_selectorI12hip_bfloat16lEEZNS1_25segmented_radix_sort_implIS3_Lb0EPKS5_PS5_PKlPlN2at6native12_GLOBAL__N_18offset_tEEE10hipError_tPvRmT1_PNSt15iterator_traitsISL_E10value_typeET2_T3_PNSM_ISR_E10value_typeET4_jRbjT5_SX_jjP12ihipStream_tbEUlT_E_NS1_11comp_targetILNS1_3genE5ELNS1_11target_archE942ELNS1_3gpuE9ELNS1_3repE0EEENS1_30default_config_static_selectorELNS0_4arch9wavefront6targetE0EEEvSL_.has_dyn_sized_stack, 0
	.set _ZN7rocprim17ROCPRIM_400000_NS6detail17trampoline_kernelINS0_14default_configENS1_36segmented_radix_sort_config_selectorI12hip_bfloat16lEEZNS1_25segmented_radix_sort_implIS3_Lb0EPKS5_PS5_PKlPlN2at6native12_GLOBAL__N_18offset_tEEE10hipError_tPvRmT1_PNSt15iterator_traitsISL_E10value_typeET2_T3_PNSM_ISR_E10value_typeET4_jRbjT5_SX_jjP12ihipStream_tbEUlT_E_NS1_11comp_targetILNS1_3genE5ELNS1_11target_archE942ELNS1_3gpuE9ELNS1_3repE0EEENS1_30default_config_static_selectorELNS0_4arch9wavefront6targetE0EEEvSL_.has_recursion, 0
	.set _ZN7rocprim17ROCPRIM_400000_NS6detail17trampoline_kernelINS0_14default_configENS1_36segmented_radix_sort_config_selectorI12hip_bfloat16lEEZNS1_25segmented_radix_sort_implIS3_Lb0EPKS5_PS5_PKlPlN2at6native12_GLOBAL__N_18offset_tEEE10hipError_tPvRmT1_PNSt15iterator_traitsISL_E10value_typeET2_T3_PNSM_ISR_E10value_typeET4_jRbjT5_SX_jjP12ihipStream_tbEUlT_E_NS1_11comp_targetILNS1_3genE5ELNS1_11target_archE942ELNS1_3gpuE9ELNS1_3repE0EEENS1_30default_config_static_selectorELNS0_4arch9wavefront6targetE0EEEvSL_.has_indirect_call, 0
	.section	.AMDGPU.csdata,"",@progbits
; Kernel info:
; codeLenInByte = 0
; TotalNumSgprs: 0
; NumVgprs: 0
; ScratchSize: 0
; MemoryBound: 0
; FloatMode: 240
; IeeeMode: 1
; LDSByteSize: 0 bytes/workgroup (compile time only)
; SGPRBlocks: 0
; VGPRBlocks: 0
; NumSGPRsForWavesPerEU: 1
; NumVGPRsForWavesPerEU: 1
; NamedBarCnt: 0
; Occupancy: 16
; WaveLimiterHint : 0
; COMPUTE_PGM_RSRC2:SCRATCH_EN: 0
; COMPUTE_PGM_RSRC2:USER_SGPR: 2
; COMPUTE_PGM_RSRC2:TRAP_HANDLER: 0
; COMPUTE_PGM_RSRC2:TGID_X_EN: 1
; COMPUTE_PGM_RSRC2:TGID_Y_EN: 0
; COMPUTE_PGM_RSRC2:TGID_Z_EN: 0
; COMPUTE_PGM_RSRC2:TIDIG_COMP_CNT: 0
	.section	.text._ZN7rocprim17ROCPRIM_400000_NS6detail17trampoline_kernelINS0_14default_configENS1_36segmented_radix_sort_config_selectorI12hip_bfloat16lEEZNS1_25segmented_radix_sort_implIS3_Lb0EPKS5_PS5_PKlPlN2at6native12_GLOBAL__N_18offset_tEEE10hipError_tPvRmT1_PNSt15iterator_traitsISL_E10value_typeET2_T3_PNSM_ISR_E10value_typeET4_jRbjT5_SX_jjP12ihipStream_tbEUlT_E_NS1_11comp_targetILNS1_3genE4ELNS1_11target_archE910ELNS1_3gpuE8ELNS1_3repE0EEENS1_30default_config_static_selectorELNS0_4arch9wavefront6targetE0EEEvSL_,"axG",@progbits,_ZN7rocprim17ROCPRIM_400000_NS6detail17trampoline_kernelINS0_14default_configENS1_36segmented_radix_sort_config_selectorI12hip_bfloat16lEEZNS1_25segmented_radix_sort_implIS3_Lb0EPKS5_PS5_PKlPlN2at6native12_GLOBAL__N_18offset_tEEE10hipError_tPvRmT1_PNSt15iterator_traitsISL_E10value_typeET2_T3_PNSM_ISR_E10value_typeET4_jRbjT5_SX_jjP12ihipStream_tbEUlT_E_NS1_11comp_targetILNS1_3genE4ELNS1_11target_archE910ELNS1_3gpuE8ELNS1_3repE0EEENS1_30default_config_static_selectorELNS0_4arch9wavefront6targetE0EEEvSL_,comdat
	.globl	_ZN7rocprim17ROCPRIM_400000_NS6detail17trampoline_kernelINS0_14default_configENS1_36segmented_radix_sort_config_selectorI12hip_bfloat16lEEZNS1_25segmented_radix_sort_implIS3_Lb0EPKS5_PS5_PKlPlN2at6native12_GLOBAL__N_18offset_tEEE10hipError_tPvRmT1_PNSt15iterator_traitsISL_E10value_typeET2_T3_PNSM_ISR_E10value_typeET4_jRbjT5_SX_jjP12ihipStream_tbEUlT_E_NS1_11comp_targetILNS1_3genE4ELNS1_11target_archE910ELNS1_3gpuE8ELNS1_3repE0EEENS1_30default_config_static_selectorELNS0_4arch9wavefront6targetE0EEEvSL_ ; -- Begin function _ZN7rocprim17ROCPRIM_400000_NS6detail17trampoline_kernelINS0_14default_configENS1_36segmented_radix_sort_config_selectorI12hip_bfloat16lEEZNS1_25segmented_radix_sort_implIS3_Lb0EPKS5_PS5_PKlPlN2at6native12_GLOBAL__N_18offset_tEEE10hipError_tPvRmT1_PNSt15iterator_traitsISL_E10value_typeET2_T3_PNSM_ISR_E10value_typeET4_jRbjT5_SX_jjP12ihipStream_tbEUlT_E_NS1_11comp_targetILNS1_3genE4ELNS1_11target_archE910ELNS1_3gpuE8ELNS1_3repE0EEENS1_30default_config_static_selectorELNS0_4arch9wavefront6targetE0EEEvSL_
	.p2align	8
	.type	_ZN7rocprim17ROCPRIM_400000_NS6detail17trampoline_kernelINS0_14default_configENS1_36segmented_radix_sort_config_selectorI12hip_bfloat16lEEZNS1_25segmented_radix_sort_implIS3_Lb0EPKS5_PS5_PKlPlN2at6native12_GLOBAL__N_18offset_tEEE10hipError_tPvRmT1_PNSt15iterator_traitsISL_E10value_typeET2_T3_PNSM_ISR_E10value_typeET4_jRbjT5_SX_jjP12ihipStream_tbEUlT_E_NS1_11comp_targetILNS1_3genE4ELNS1_11target_archE910ELNS1_3gpuE8ELNS1_3repE0EEENS1_30default_config_static_selectorELNS0_4arch9wavefront6targetE0EEEvSL_,@function
_ZN7rocprim17ROCPRIM_400000_NS6detail17trampoline_kernelINS0_14default_configENS1_36segmented_radix_sort_config_selectorI12hip_bfloat16lEEZNS1_25segmented_radix_sort_implIS3_Lb0EPKS5_PS5_PKlPlN2at6native12_GLOBAL__N_18offset_tEEE10hipError_tPvRmT1_PNSt15iterator_traitsISL_E10value_typeET2_T3_PNSM_ISR_E10value_typeET4_jRbjT5_SX_jjP12ihipStream_tbEUlT_E_NS1_11comp_targetILNS1_3genE4ELNS1_11target_archE910ELNS1_3gpuE8ELNS1_3repE0EEENS1_30default_config_static_selectorELNS0_4arch9wavefront6targetE0EEEvSL_: ; @_ZN7rocprim17ROCPRIM_400000_NS6detail17trampoline_kernelINS0_14default_configENS1_36segmented_radix_sort_config_selectorI12hip_bfloat16lEEZNS1_25segmented_radix_sort_implIS3_Lb0EPKS5_PS5_PKlPlN2at6native12_GLOBAL__N_18offset_tEEE10hipError_tPvRmT1_PNSt15iterator_traitsISL_E10value_typeET2_T3_PNSM_ISR_E10value_typeET4_jRbjT5_SX_jjP12ihipStream_tbEUlT_E_NS1_11comp_targetILNS1_3genE4ELNS1_11target_archE910ELNS1_3gpuE8ELNS1_3repE0EEENS1_30default_config_static_selectorELNS0_4arch9wavefront6targetE0EEEvSL_
; %bb.0:
	.section	.rodata,"a",@progbits
	.p2align	6, 0x0
	.amdhsa_kernel _ZN7rocprim17ROCPRIM_400000_NS6detail17trampoline_kernelINS0_14default_configENS1_36segmented_radix_sort_config_selectorI12hip_bfloat16lEEZNS1_25segmented_radix_sort_implIS3_Lb0EPKS5_PS5_PKlPlN2at6native12_GLOBAL__N_18offset_tEEE10hipError_tPvRmT1_PNSt15iterator_traitsISL_E10value_typeET2_T3_PNSM_ISR_E10value_typeET4_jRbjT5_SX_jjP12ihipStream_tbEUlT_E_NS1_11comp_targetILNS1_3genE4ELNS1_11target_archE910ELNS1_3gpuE8ELNS1_3repE0EEENS1_30default_config_static_selectorELNS0_4arch9wavefront6targetE0EEEvSL_
		.amdhsa_group_segment_fixed_size 0
		.amdhsa_private_segment_fixed_size 0
		.amdhsa_kernarg_size 96
		.amdhsa_user_sgpr_count 2
		.amdhsa_user_sgpr_dispatch_ptr 0
		.amdhsa_user_sgpr_queue_ptr 0
		.amdhsa_user_sgpr_kernarg_segment_ptr 1
		.amdhsa_user_sgpr_dispatch_id 0
		.amdhsa_user_sgpr_kernarg_preload_length 0
		.amdhsa_user_sgpr_kernarg_preload_offset 0
		.amdhsa_user_sgpr_private_segment_size 0
		.amdhsa_wavefront_size32 1
		.amdhsa_uses_dynamic_stack 0
		.amdhsa_enable_private_segment 0
		.amdhsa_system_sgpr_workgroup_id_x 1
		.amdhsa_system_sgpr_workgroup_id_y 0
		.amdhsa_system_sgpr_workgroup_id_z 0
		.amdhsa_system_sgpr_workgroup_info 0
		.amdhsa_system_vgpr_workitem_id 0
		.amdhsa_next_free_vgpr 1
		.amdhsa_next_free_sgpr 1
		.amdhsa_named_barrier_count 0
		.amdhsa_reserve_vcc 0
		.amdhsa_float_round_mode_32 0
		.amdhsa_float_round_mode_16_64 0
		.amdhsa_float_denorm_mode_32 3
		.amdhsa_float_denorm_mode_16_64 3
		.amdhsa_fp16_overflow 0
		.amdhsa_memory_ordered 1
		.amdhsa_forward_progress 1
		.amdhsa_inst_pref_size 0
		.amdhsa_round_robin_scheduling 0
		.amdhsa_exception_fp_ieee_invalid_op 0
		.amdhsa_exception_fp_denorm_src 0
		.amdhsa_exception_fp_ieee_div_zero 0
		.amdhsa_exception_fp_ieee_overflow 0
		.amdhsa_exception_fp_ieee_underflow 0
		.amdhsa_exception_fp_ieee_inexact 0
		.amdhsa_exception_int_div_zero 0
	.end_amdhsa_kernel
	.section	.text._ZN7rocprim17ROCPRIM_400000_NS6detail17trampoline_kernelINS0_14default_configENS1_36segmented_radix_sort_config_selectorI12hip_bfloat16lEEZNS1_25segmented_radix_sort_implIS3_Lb0EPKS5_PS5_PKlPlN2at6native12_GLOBAL__N_18offset_tEEE10hipError_tPvRmT1_PNSt15iterator_traitsISL_E10value_typeET2_T3_PNSM_ISR_E10value_typeET4_jRbjT5_SX_jjP12ihipStream_tbEUlT_E_NS1_11comp_targetILNS1_3genE4ELNS1_11target_archE910ELNS1_3gpuE8ELNS1_3repE0EEENS1_30default_config_static_selectorELNS0_4arch9wavefront6targetE0EEEvSL_,"axG",@progbits,_ZN7rocprim17ROCPRIM_400000_NS6detail17trampoline_kernelINS0_14default_configENS1_36segmented_radix_sort_config_selectorI12hip_bfloat16lEEZNS1_25segmented_radix_sort_implIS3_Lb0EPKS5_PS5_PKlPlN2at6native12_GLOBAL__N_18offset_tEEE10hipError_tPvRmT1_PNSt15iterator_traitsISL_E10value_typeET2_T3_PNSM_ISR_E10value_typeET4_jRbjT5_SX_jjP12ihipStream_tbEUlT_E_NS1_11comp_targetILNS1_3genE4ELNS1_11target_archE910ELNS1_3gpuE8ELNS1_3repE0EEENS1_30default_config_static_selectorELNS0_4arch9wavefront6targetE0EEEvSL_,comdat
.Lfunc_end2042:
	.size	_ZN7rocprim17ROCPRIM_400000_NS6detail17trampoline_kernelINS0_14default_configENS1_36segmented_radix_sort_config_selectorI12hip_bfloat16lEEZNS1_25segmented_radix_sort_implIS3_Lb0EPKS5_PS5_PKlPlN2at6native12_GLOBAL__N_18offset_tEEE10hipError_tPvRmT1_PNSt15iterator_traitsISL_E10value_typeET2_T3_PNSM_ISR_E10value_typeET4_jRbjT5_SX_jjP12ihipStream_tbEUlT_E_NS1_11comp_targetILNS1_3genE4ELNS1_11target_archE910ELNS1_3gpuE8ELNS1_3repE0EEENS1_30default_config_static_selectorELNS0_4arch9wavefront6targetE0EEEvSL_, .Lfunc_end2042-_ZN7rocprim17ROCPRIM_400000_NS6detail17trampoline_kernelINS0_14default_configENS1_36segmented_radix_sort_config_selectorI12hip_bfloat16lEEZNS1_25segmented_radix_sort_implIS3_Lb0EPKS5_PS5_PKlPlN2at6native12_GLOBAL__N_18offset_tEEE10hipError_tPvRmT1_PNSt15iterator_traitsISL_E10value_typeET2_T3_PNSM_ISR_E10value_typeET4_jRbjT5_SX_jjP12ihipStream_tbEUlT_E_NS1_11comp_targetILNS1_3genE4ELNS1_11target_archE910ELNS1_3gpuE8ELNS1_3repE0EEENS1_30default_config_static_selectorELNS0_4arch9wavefront6targetE0EEEvSL_
                                        ; -- End function
	.set _ZN7rocprim17ROCPRIM_400000_NS6detail17trampoline_kernelINS0_14default_configENS1_36segmented_radix_sort_config_selectorI12hip_bfloat16lEEZNS1_25segmented_radix_sort_implIS3_Lb0EPKS5_PS5_PKlPlN2at6native12_GLOBAL__N_18offset_tEEE10hipError_tPvRmT1_PNSt15iterator_traitsISL_E10value_typeET2_T3_PNSM_ISR_E10value_typeET4_jRbjT5_SX_jjP12ihipStream_tbEUlT_E_NS1_11comp_targetILNS1_3genE4ELNS1_11target_archE910ELNS1_3gpuE8ELNS1_3repE0EEENS1_30default_config_static_selectorELNS0_4arch9wavefront6targetE0EEEvSL_.num_vgpr, 0
	.set _ZN7rocprim17ROCPRIM_400000_NS6detail17trampoline_kernelINS0_14default_configENS1_36segmented_radix_sort_config_selectorI12hip_bfloat16lEEZNS1_25segmented_radix_sort_implIS3_Lb0EPKS5_PS5_PKlPlN2at6native12_GLOBAL__N_18offset_tEEE10hipError_tPvRmT1_PNSt15iterator_traitsISL_E10value_typeET2_T3_PNSM_ISR_E10value_typeET4_jRbjT5_SX_jjP12ihipStream_tbEUlT_E_NS1_11comp_targetILNS1_3genE4ELNS1_11target_archE910ELNS1_3gpuE8ELNS1_3repE0EEENS1_30default_config_static_selectorELNS0_4arch9wavefront6targetE0EEEvSL_.num_agpr, 0
	.set _ZN7rocprim17ROCPRIM_400000_NS6detail17trampoline_kernelINS0_14default_configENS1_36segmented_radix_sort_config_selectorI12hip_bfloat16lEEZNS1_25segmented_radix_sort_implIS3_Lb0EPKS5_PS5_PKlPlN2at6native12_GLOBAL__N_18offset_tEEE10hipError_tPvRmT1_PNSt15iterator_traitsISL_E10value_typeET2_T3_PNSM_ISR_E10value_typeET4_jRbjT5_SX_jjP12ihipStream_tbEUlT_E_NS1_11comp_targetILNS1_3genE4ELNS1_11target_archE910ELNS1_3gpuE8ELNS1_3repE0EEENS1_30default_config_static_selectorELNS0_4arch9wavefront6targetE0EEEvSL_.numbered_sgpr, 0
	.set _ZN7rocprim17ROCPRIM_400000_NS6detail17trampoline_kernelINS0_14default_configENS1_36segmented_radix_sort_config_selectorI12hip_bfloat16lEEZNS1_25segmented_radix_sort_implIS3_Lb0EPKS5_PS5_PKlPlN2at6native12_GLOBAL__N_18offset_tEEE10hipError_tPvRmT1_PNSt15iterator_traitsISL_E10value_typeET2_T3_PNSM_ISR_E10value_typeET4_jRbjT5_SX_jjP12ihipStream_tbEUlT_E_NS1_11comp_targetILNS1_3genE4ELNS1_11target_archE910ELNS1_3gpuE8ELNS1_3repE0EEENS1_30default_config_static_selectorELNS0_4arch9wavefront6targetE0EEEvSL_.num_named_barrier, 0
	.set _ZN7rocprim17ROCPRIM_400000_NS6detail17trampoline_kernelINS0_14default_configENS1_36segmented_radix_sort_config_selectorI12hip_bfloat16lEEZNS1_25segmented_radix_sort_implIS3_Lb0EPKS5_PS5_PKlPlN2at6native12_GLOBAL__N_18offset_tEEE10hipError_tPvRmT1_PNSt15iterator_traitsISL_E10value_typeET2_T3_PNSM_ISR_E10value_typeET4_jRbjT5_SX_jjP12ihipStream_tbEUlT_E_NS1_11comp_targetILNS1_3genE4ELNS1_11target_archE910ELNS1_3gpuE8ELNS1_3repE0EEENS1_30default_config_static_selectorELNS0_4arch9wavefront6targetE0EEEvSL_.private_seg_size, 0
	.set _ZN7rocprim17ROCPRIM_400000_NS6detail17trampoline_kernelINS0_14default_configENS1_36segmented_radix_sort_config_selectorI12hip_bfloat16lEEZNS1_25segmented_radix_sort_implIS3_Lb0EPKS5_PS5_PKlPlN2at6native12_GLOBAL__N_18offset_tEEE10hipError_tPvRmT1_PNSt15iterator_traitsISL_E10value_typeET2_T3_PNSM_ISR_E10value_typeET4_jRbjT5_SX_jjP12ihipStream_tbEUlT_E_NS1_11comp_targetILNS1_3genE4ELNS1_11target_archE910ELNS1_3gpuE8ELNS1_3repE0EEENS1_30default_config_static_selectorELNS0_4arch9wavefront6targetE0EEEvSL_.uses_vcc, 0
	.set _ZN7rocprim17ROCPRIM_400000_NS6detail17trampoline_kernelINS0_14default_configENS1_36segmented_radix_sort_config_selectorI12hip_bfloat16lEEZNS1_25segmented_radix_sort_implIS3_Lb0EPKS5_PS5_PKlPlN2at6native12_GLOBAL__N_18offset_tEEE10hipError_tPvRmT1_PNSt15iterator_traitsISL_E10value_typeET2_T3_PNSM_ISR_E10value_typeET4_jRbjT5_SX_jjP12ihipStream_tbEUlT_E_NS1_11comp_targetILNS1_3genE4ELNS1_11target_archE910ELNS1_3gpuE8ELNS1_3repE0EEENS1_30default_config_static_selectorELNS0_4arch9wavefront6targetE0EEEvSL_.uses_flat_scratch, 0
	.set _ZN7rocprim17ROCPRIM_400000_NS6detail17trampoline_kernelINS0_14default_configENS1_36segmented_radix_sort_config_selectorI12hip_bfloat16lEEZNS1_25segmented_radix_sort_implIS3_Lb0EPKS5_PS5_PKlPlN2at6native12_GLOBAL__N_18offset_tEEE10hipError_tPvRmT1_PNSt15iterator_traitsISL_E10value_typeET2_T3_PNSM_ISR_E10value_typeET4_jRbjT5_SX_jjP12ihipStream_tbEUlT_E_NS1_11comp_targetILNS1_3genE4ELNS1_11target_archE910ELNS1_3gpuE8ELNS1_3repE0EEENS1_30default_config_static_selectorELNS0_4arch9wavefront6targetE0EEEvSL_.has_dyn_sized_stack, 0
	.set _ZN7rocprim17ROCPRIM_400000_NS6detail17trampoline_kernelINS0_14default_configENS1_36segmented_radix_sort_config_selectorI12hip_bfloat16lEEZNS1_25segmented_radix_sort_implIS3_Lb0EPKS5_PS5_PKlPlN2at6native12_GLOBAL__N_18offset_tEEE10hipError_tPvRmT1_PNSt15iterator_traitsISL_E10value_typeET2_T3_PNSM_ISR_E10value_typeET4_jRbjT5_SX_jjP12ihipStream_tbEUlT_E_NS1_11comp_targetILNS1_3genE4ELNS1_11target_archE910ELNS1_3gpuE8ELNS1_3repE0EEENS1_30default_config_static_selectorELNS0_4arch9wavefront6targetE0EEEvSL_.has_recursion, 0
	.set _ZN7rocprim17ROCPRIM_400000_NS6detail17trampoline_kernelINS0_14default_configENS1_36segmented_radix_sort_config_selectorI12hip_bfloat16lEEZNS1_25segmented_radix_sort_implIS3_Lb0EPKS5_PS5_PKlPlN2at6native12_GLOBAL__N_18offset_tEEE10hipError_tPvRmT1_PNSt15iterator_traitsISL_E10value_typeET2_T3_PNSM_ISR_E10value_typeET4_jRbjT5_SX_jjP12ihipStream_tbEUlT_E_NS1_11comp_targetILNS1_3genE4ELNS1_11target_archE910ELNS1_3gpuE8ELNS1_3repE0EEENS1_30default_config_static_selectorELNS0_4arch9wavefront6targetE0EEEvSL_.has_indirect_call, 0
	.section	.AMDGPU.csdata,"",@progbits
; Kernel info:
; codeLenInByte = 0
; TotalNumSgprs: 0
; NumVgprs: 0
; ScratchSize: 0
; MemoryBound: 0
; FloatMode: 240
; IeeeMode: 1
; LDSByteSize: 0 bytes/workgroup (compile time only)
; SGPRBlocks: 0
; VGPRBlocks: 0
; NumSGPRsForWavesPerEU: 1
; NumVGPRsForWavesPerEU: 1
; NamedBarCnt: 0
; Occupancy: 16
; WaveLimiterHint : 0
; COMPUTE_PGM_RSRC2:SCRATCH_EN: 0
; COMPUTE_PGM_RSRC2:USER_SGPR: 2
; COMPUTE_PGM_RSRC2:TRAP_HANDLER: 0
; COMPUTE_PGM_RSRC2:TGID_X_EN: 1
; COMPUTE_PGM_RSRC2:TGID_Y_EN: 0
; COMPUTE_PGM_RSRC2:TGID_Z_EN: 0
; COMPUTE_PGM_RSRC2:TIDIG_COMP_CNT: 0
	.section	.text._ZN7rocprim17ROCPRIM_400000_NS6detail17trampoline_kernelINS0_14default_configENS1_36segmented_radix_sort_config_selectorI12hip_bfloat16lEEZNS1_25segmented_radix_sort_implIS3_Lb0EPKS5_PS5_PKlPlN2at6native12_GLOBAL__N_18offset_tEEE10hipError_tPvRmT1_PNSt15iterator_traitsISL_E10value_typeET2_T3_PNSM_ISR_E10value_typeET4_jRbjT5_SX_jjP12ihipStream_tbEUlT_E_NS1_11comp_targetILNS1_3genE3ELNS1_11target_archE908ELNS1_3gpuE7ELNS1_3repE0EEENS1_30default_config_static_selectorELNS0_4arch9wavefront6targetE0EEEvSL_,"axG",@progbits,_ZN7rocprim17ROCPRIM_400000_NS6detail17trampoline_kernelINS0_14default_configENS1_36segmented_radix_sort_config_selectorI12hip_bfloat16lEEZNS1_25segmented_radix_sort_implIS3_Lb0EPKS5_PS5_PKlPlN2at6native12_GLOBAL__N_18offset_tEEE10hipError_tPvRmT1_PNSt15iterator_traitsISL_E10value_typeET2_T3_PNSM_ISR_E10value_typeET4_jRbjT5_SX_jjP12ihipStream_tbEUlT_E_NS1_11comp_targetILNS1_3genE3ELNS1_11target_archE908ELNS1_3gpuE7ELNS1_3repE0EEENS1_30default_config_static_selectorELNS0_4arch9wavefront6targetE0EEEvSL_,comdat
	.globl	_ZN7rocprim17ROCPRIM_400000_NS6detail17trampoline_kernelINS0_14default_configENS1_36segmented_radix_sort_config_selectorI12hip_bfloat16lEEZNS1_25segmented_radix_sort_implIS3_Lb0EPKS5_PS5_PKlPlN2at6native12_GLOBAL__N_18offset_tEEE10hipError_tPvRmT1_PNSt15iterator_traitsISL_E10value_typeET2_T3_PNSM_ISR_E10value_typeET4_jRbjT5_SX_jjP12ihipStream_tbEUlT_E_NS1_11comp_targetILNS1_3genE3ELNS1_11target_archE908ELNS1_3gpuE7ELNS1_3repE0EEENS1_30default_config_static_selectorELNS0_4arch9wavefront6targetE0EEEvSL_ ; -- Begin function _ZN7rocprim17ROCPRIM_400000_NS6detail17trampoline_kernelINS0_14default_configENS1_36segmented_radix_sort_config_selectorI12hip_bfloat16lEEZNS1_25segmented_radix_sort_implIS3_Lb0EPKS5_PS5_PKlPlN2at6native12_GLOBAL__N_18offset_tEEE10hipError_tPvRmT1_PNSt15iterator_traitsISL_E10value_typeET2_T3_PNSM_ISR_E10value_typeET4_jRbjT5_SX_jjP12ihipStream_tbEUlT_E_NS1_11comp_targetILNS1_3genE3ELNS1_11target_archE908ELNS1_3gpuE7ELNS1_3repE0EEENS1_30default_config_static_selectorELNS0_4arch9wavefront6targetE0EEEvSL_
	.p2align	8
	.type	_ZN7rocprim17ROCPRIM_400000_NS6detail17trampoline_kernelINS0_14default_configENS1_36segmented_radix_sort_config_selectorI12hip_bfloat16lEEZNS1_25segmented_radix_sort_implIS3_Lb0EPKS5_PS5_PKlPlN2at6native12_GLOBAL__N_18offset_tEEE10hipError_tPvRmT1_PNSt15iterator_traitsISL_E10value_typeET2_T3_PNSM_ISR_E10value_typeET4_jRbjT5_SX_jjP12ihipStream_tbEUlT_E_NS1_11comp_targetILNS1_3genE3ELNS1_11target_archE908ELNS1_3gpuE7ELNS1_3repE0EEENS1_30default_config_static_selectorELNS0_4arch9wavefront6targetE0EEEvSL_,@function
_ZN7rocprim17ROCPRIM_400000_NS6detail17trampoline_kernelINS0_14default_configENS1_36segmented_radix_sort_config_selectorI12hip_bfloat16lEEZNS1_25segmented_radix_sort_implIS3_Lb0EPKS5_PS5_PKlPlN2at6native12_GLOBAL__N_18offset_tEEE10hipError_tPvRmT1_PNSt15iterator_traitsISL_E10value_typeET2_T3_PNSM_ISR_E10value_typeET4_jRbjT5_SX_jjP12ihipStream_tbEUlT_E_NS1_11comp_targetILNS1_3genE3ELNS1_11target_archE908ELNS1_3gpuE7ELNS1_3repE0EEENS1_30default_config_static_selectorELNS0_4arch9wavefront6targetE0EEEvSL_: ; @_ZN7rocprim17ROCPRIM_400000_NS6detail17trampoline_kernelINS0_14default_configENS1_36segmented_radix_sort_config_selectorI12hip_bfloat16lEEZNS1_25segmented_radix_sort_implIS3_Lb0EPKS5_PS5_PKlPlN2at6native12_GLOBAL__N_18offset_tEEE10hipError_tPvRmT1_PNSt15iterator_traitsISL_E10value_typeET2_T3_PNSM_ISR_E10value_typeET4_jRbjT5_SX_jjP12ihipStream_tbEUlT_E_NS1_11comp_targetILNS1_3genE3ELNS1_11target_archE908ELNS1_3gpuE7ELNS1_3repE0EEENS1_30default_config_static_selectorELNS0_4arch9wavefront6targetE0EEEvSL_
; %bb.0:
	.section	.rodata,"a",@progbits
	.p2align	6, 0x0
	.amdhsa_kernel _ZN7rocprim17ROCPRIM_400000_NS6detail17trampoline_kernelINS0_14default_configENS1_36segmented_radix_sort_config_selectorI12hip_bfloat16lEEZNS1_25segmented_radix_sort_implIS3_Lb0EPKS5_PS5_PKlPlN2at6native12_GLOBAL__N_18offset_tEEE10hipError_tPvRmT1_PNSt15iterator_traitsISL_E10value_typeET2_T3_PNSM_ISR_E10value_typeET4_jRbjT5_SX_jjP12ihipStream_tbEUlT_E_NS1_11comp_targetILNS1_3genE3ELNS1_11target_archE908ELNS1_3gpuE7ELNS1_3repE0EEENS1_30default_config_static_selectorELNS0_4arch9wavefront6targetE0EEEvSL_
		.amdhsa_group_segment_fixed_size 0
		.amdhsa_private_segment_fixed_size 0
		.amdhsa_kernarg_size 96
		.amdhsa_user_sgpr_count 2
		.amdhsa_user_sgpr_dispatch_ptr 0
		.amdhsa_user_sgpr_queue_ptr 0
		.amdhsa_user_sgpr_kernarg_segment_ptr 1
		.amdhsa_user_sgpr_dispatch_id 0
		.amdhsa_user_sgpr_kernarg_preload_length 0
		.amdhsa_user_sgpr_kernarg_preload_offset 0
		.amdhsa_user_sgpr_private_segment_size 0
		.amdhsa_wavefront_size32 1
		.amdhsa_uses_dynamic_stack 0
		.amdhsa_enable_private_segment 0
		.amdhsa_system_sgpr_workgroup_id_x 1
		.amdhsa_system_sgpr_workgroup_id_y 0
		.amdhsa_system_sgpr_workgroup_id_z 0
		.amdhsa_system_sgpr_workgroup_info 0
		.amdhsa_system_vgpr_workitem_id 0
		.amdhsa_next_free_vgpr 1
		.amdhsa_next_free_sgpr 1
		.amdhsa_named_barrier_count 0
		.amdhsa_reserve_vcc 0
		.amdhsa_float_round_mode_32 0
		.amdhsa_float_round_mode_16_64 0
		.amdhsa_float_denorm_mode_32 3
		.amdhsa_float_denorm_mode_16_64 3
		.amdhsa_fp16_overflow 0
		.amdhsa_memory_ordered 1
		.amdhsa_forward_progress 1
		.amdhsa_inst_pref_size 0
		.amdhsa_round_robin_scheduling 0
		.amdhsa_exception_fp_ieee_invalid_op 0
		.amdhsa_exception_fp_denorm_src 0
		.amdhsa_exception_fp_ieee_div_zero 0
		.amdhsa_exception_fp_ieee_overflow 0
		.amdhsa_exception_fp_ieee_underflow 0
		.amdhsa_exception_fp_ieee_inexact 0
		.amdhsa_exception_int_div_zero 0
	.end_amdhsa_kernel
	.section	.text._ZN7rocprim17ROCPRIM_400000_NS6detail17trampoline_kernelINS0_14default_configENS1_36segmented_radix_sort_config_selectorI12hip_bfloat16lEEZNS1_25segmented_radix_sort_implIS3_Lb0EPKS5_PS5_PKlPlN2at6native12_GLOBAL__N_18offset_tEEE10hipError_tPvRmT1_PNSt15iterator_traitsISL_E10value_typeET2_T3_PNSM_ISR_E10value_typeET4_jRbjT5_SX_jjP12ihipStream_tbEUlT_E_NS1_11comp_targetILNS1_3genE3ELNS1_11target_archE908ELNS1_3gpuE7ELNS1_3repE0EEENS1_30default_config_static_selectorELNS0_4arch9wavefront6targetE0EEEvSL_,"axG",@progbits,_ZN7rocprim17ROCPRIM_400000_NS6detail17trampoline_kernelINS0_14default_configENS1_36segmented_radix_sort_config_selectorI12hip_bfloat16lEEZNS1_25segmented_radix_sort_implIS3_Lb0EPKS5_PS5_PKlPlN2at6native12_GLOBAL__N_18offset_tEEE10hipError_tPvRmT1_PNSt15iterator_traitsISL_E10value_typeET2_T3_PNSM_ISR_E10value_typeET4_jRbjT5_SX_jjP12ihipStream_tbEUlT_E_NS1_11comp_targetILNS1_3genE3ELNS1_11target_archE908ELNS1_3gpuE7ELNS1_3repE0EEENS1_30default_config_static_selectorELNS0_4arch9wavefront6targetE0EEEvSL_,comdat
.Lfunc_end2043:
	.size	_ZN7rocprim17ROCPRIM_400000_NS6detail17trampoline_kernelINS0_14default_configENS1_36segmented_radix_sort_config_selectorI12hip_bfloat16lEEZNS1_25segmented_radix_sort_implIS3_Lb0EPKS5_PS5_PKlPlN2at6native12_GLOBAL__N_18offset_tEEE10hipError_tPvRmT1_PNSt15iterator_traitsISL_E10value_typeET2_T3_PNSM_ISR_E10value_typeET4_jRbjT5_SX_jjP12ihipStream_tbEUlT_E_NS1_11comp_targetILNS1_3genE3ELNS1_11target_archE908ELNS1_3gpuE7ELNS1_3repE0EEENS1_30default_config_static_selectorELNS0_4arch9wavefront6targetE0EEEvSL_, .Lfunc_end2043-_ZN7rocprim17ROCPRIM_400000_NS6detail17trampoline_kernelINS0_14default_configENS1_36segmented_radix_sort_config_selectorI12hip_bfloat16lEEZNS1_25segmented_radix_sort_implIS3_Lb0EPKS5_PS5_PKlPlN2at6native12_GLOBAL__N_18offset_tEEE10hipError_tPvRmT1_PNSt15iterator_traitsISL_E10value_typeET2_T3_PNSM_ISR_E10value_typeET4_jRbjT5_SX_jjP12ihipStream_tbEUlT_E_NS1_11comp_targetILNS1_3genE3ELNS1_11target_archE908ELNS1_3gpuE7ELNS1_3repE0EEENS1_30default_config_static_selectorELNS0_4arch9wavefront6targetE0EEEvSL_
                                        ; -- End function
	.set _ZN7rocprim17ROCPRIM_400000_NS6detail17trampoline_kernelINS0_14default_configENS1_36segmented_radix_sort_config_selectorI12hip_bfloat16lEEZNS1_25segmented_radix_sort_implIS3_Lb0EPKS5_PS5_PKlPlN2at6native12_GLOBAL__N_18offset_tEEE10hipError_tPvRmT1_PNSt15iterator_traitsISL_E10value_typeET2_T3_PNSM_ISR_E10value_typeET4_jRbjT5_SX_jjP12ihipStream_tbEUlT_E_NS1_11comp_targetILNS1_3genE3ELNS1_11target_archE908ELNS1_3gpuE7ELNS1_3repE0EEENS1_30default_config_static_selectorELNS0_4arch9wavefront6targetE0EEEvSL_.num_vgpr, 0
	.set _ZN7rocprim17ROCPRIM_400000_NS6detail17trampoline_kernelINS0_14default_configENS1_36segmented_radix_sort_config_selectorI12hip_bfloat16lEEZNS1_25segmented_radix_sort_implIS3_Lb0EPKS5_PS5_PKlPlN2at6native12_GLOBAL__N_18offset_tEEE10hipError_tPvRmT1_PNSt15iterator_traitsISL_E10value_typeET2_T3_PNSM_ISR_E10value_typeET4_jRbjT5_SX_jjP12ihipStream_tbEUlT_E_NS1_11comp_targetILNS1_3genE3ELNS1_11target_archE908ELNS1_3gpuE7ELNS1_3repE0EEENS1_30default_config_static_selectorELNS0_4arch9wavefront6targetE0EEEvSL_.num_agpr, 0
	.set _ZN7rocprim17ROCPRIM_400000_NS6detail17trampoline_kernelINS0_14default_configENS1_36segmented_radix_sort_config_selectorI12hip_bfloat16lEEZNS1_25segmented_radix_sort_implIS3_Lb0EPKS5_PS5_PKlPlN2at6native12_GLOBAL__N_18offset_tEEE10hipError_tPvRmT1_PNSt15iterator_traitsISL_E10value_typeET2_T3_PNSM_ISR_E10value_typeET4_jRbjT5_SX_jjP12ihipStream_tbEUlT_E_NS1_11comp_targetILNS1_3genE3ELNS1_11target_archE908ELNS1_3gpuE7ELNS1_3repE0EEENS1_30default_config_static_selectorELNS0_4arch9wavefront6targetE0EEEvSL_.numbered_sgpr, 0
	.set _ZN7rocprim17ROCPRIM_400000_NS6detail17trampoline_kernelINS0_14default_configENS1_36segmented_radix_sort_config_selectorI12hip_bfloat16lEEZNS1_25segmented_radix_sort_implIS3_Lb0EPKS5_PS5_PKlPlN2at6native12_GLOBAL__N_18offset_tEEE10hipError_tPvRmT1_PNSt15iterator_traitsISL_E10value_typeET2_T3_PNSM_ISR_E10value_typeET4_jRbjT5_SX_jjP12ihipStream_tbEUlT_E_NS1_11comp_targetILNS1_3genE3ELNS1_11target_archE908ELNS1_3gpuE7ELNS1_3repE0EEENS1_30default_config_static_selectorELNS0_4arch9wavefront6targetE0EEEvSL_.num_named_barrier, 0
	.set _ZN7rocprim17ROCPRIM_400000_NS6detail17trampoline_kernelINS0_14default_configENS1_36segmented_radix_sort_config_selectorI12hip_bfloat16lEEZNS1_25segmented_radix_sort_implIS3_Lb0EPKS5_PS5_PKlPlN2at6native12_GLOBAL__N_18offset_tEEE10hipError_tPvRmT1_PNSt15iterator_traitsISL_E10value_typeET2_T3_PNSM_ISR_E10value_typeET4_jRbjT5_SX_jjP12ihipStream_tbEUlT_E_NS1_11comp_targetILNS1_3genE3ELNS1_11target_archE908ELNS1_3gpuE7ELNS1_3repE0EEENS1_30default_config_static_selectorELNS0_4arch9wavefront6targetE0EEEvSL_.private_seg_size, 0
	.set _ZN7rocprim17ROCPRIM_400000_NS6detail17trampoline_kernelINS0_14default_configENS1_36segmented_radix_sort_config_selectorI12hip_bfloat16lEEZNS1_25segmented_radix_sort_implIS3_Lb0EPKS5_PS5_PKlPlN2at6native12_GLOBAL__N_18offset_tEEE10hipError_tPvRmT1_PNSt15iterator_traitsISL_E10value_typeET2_T3_PNSM_ISR_E10value_typeET4_jRbjT5_SX_jjP12ihipStream_tbEUlT_E_NS1_11comp_targetILNS1_3genE3ELNS1_11target_archE908ELNS1_3gpuE7ELNS1_3repE0EEENS1_30default_config_static_selectorELNS0_4arch9wavefront6targetE0EEEvSL_.uses_vcc, 0
	.set _ZN7rocprim17ROCPRIM_400000_NS6detail17trampoline_kernelINS0_14default_configENS1_36segmented_radix_sort_config_selectorI12hip_bfloat16lEEZNS1_25segmented_radix_sort_implIS3_Lb0EPKS5_PS5_PKlPlN2at6native12_GLOBAL__N_18offset_tEEE10hipError_tPvRmT1_PNSt15iterator_traitsISL_E10value_typeET2_T3_PNSM_ISR_E10value_typeET4_jRbjT5_SX_jjP12ihipStream_tbEUlT_E_NS1_11comp_targetILNS1_3genE3ELNS1_11target_archE908ELNS1_3gpuE7ELNS1_3repE0EEENS1_30default_config_static_selectorELNS0_4arch9wavefront6targetE0EEEvSL_.uses_flat_scratch, 0
	.set _ZN7rocprim17ROCPRIM_400000_NS6detail17trampoline_kernelINS0_14default_configENS1_36segmented_radix_sort_config_selectorI12hip_bfloat16lEEZNS1_25segmented_radix_sort_implIS3_Lb0EPKS5_PS5_PKlPlN2at6native12_GLOBAL__N_18offset_tEEE10hipError_tPvRmT1_PNSt15iterator_traitsISL_E10value_typeET2_T3_PNSM_ISR_E10value_typeET4_jRbjT5_SX_jjP12ihipStream_tbEUlT_E_NS1_11comp_targetILNS1_3genE3ELNS1_11target_archE908ELNS1_3gpuE7ELNS1_3repE0EEENS1_30default_config_static_selectorELNS0_4arch9wavefront6targetE0EEEvSL_.has_dyn_sized_stack, 0
	.set _ZN7rocprim17ROCPRIM_400000_NS6detail17trampoline_kernelINS0_14default_configENS1_36segmented_radix_sort_config_selectorI12hip_bfloat16lEEZNS1_25segmented_radix_sort_implIS3_Lb0EPKS5_PS5_PKlPlN2at6native12_GLOBAL__N_18offset_tEEE10hipError_tPvRmT1_PNSt15iterator_traitsISL_E10value_typeET2_T3_PNSM_ISR_E10value_typeET4_jRbjT5_SX_jjP12ihipStream_tbEUlT_E_NS1_11comp_targetILNS1_3genE3ELNS1_11target_archE908ELNS1_3gpuE7ELNS1_3repE0EEENS1_30default_config_static_selectorELNS0_4arch9wavefront6targetE0EEEvSL_.has_recursion, 0
	.set _ZN7rocprim17ROCPRIM_400000_NS6detail17trampoline_kernelINS0_14default_configENS1_36segmented_radix_sort_config_selectorI12hip_bfloat16lEEZNS1_25segmented_radix_sort_implIS3_Lb0EPKS5_PS5_PKlPlN2at6native12_GLOBAL__N_18offset_tEEE10hipError_tPvRmT1_PNSt15iterator_traitsISL_E10value_typeET2_T3_PNSM_ISR_E10value_typeET4_jRbjT5_SX_jjP12ihipStream_tbEUlT_E_NS1_11comp_targetILNS1_3genE3ELNS1_11target_archE908ELNS1_3gpuE7ELNS1_3repE0EEENS1_30default_config_static_selectorELNS0_4arch9wavefront6targetE0EEEvSL_.has_indirect_call, 0
	.section	.AMDGPU.csdata,"",@progbits
; Kernel info:
; codeLenInByte = 0
; TotalNumSgprs: 0
; NumVgprs: 0
; ScratchSize: 0
; MemoryBound: 0
; FloatMode: 240
; IeeeMode: 1
; LDSByteSize: 0 bytes/workgroup (compile time only)
; SGPRBlocks: 0
; VGPRBlocks: 0
; NumSGPRsForWavesPerEU: 1
; NumVGPRsForWavesPerEU: 1
; NamedBarCnt: 0
; Occupancy: 16
; WaveLimiterHint : 0
; COMPUTE_PGM_RSRC2:SCRATCH_EN: 0
; COMPUTE_PGM_RSRC2:USER_SGPR: 2
; COMPUTE_PGM_RSRC2:TRAP_HANDLER: 0
; COMPUTE_PGM_RSRC2:TGID_X_EN: 1
; COMPUTE_PGM_RSRC2:TGID_Y_EN: 0
; COMPUTE_PGM_RSRC2:TGID_Z_EN: 0
; COMPUTE_PGM_RSRC2:TIDIG_COMP_CNT: 0
	.section	.text._ZN7rocprim17ROCPRIM_400000_NS6detail17trampoline_kernelINS0_14default_configENS1_36segmented_radix_sort_config_selectorI12hip_bfloat16lEEZNS1_25segmented_radix_sort_implIS3_Lb0EPKS5_PS5_PKlPlN2at6native12_GLOBAL__N_18offset_tEEE10hipError_tPvRmT1_PNSt15iterator_traitsISL_E10value_typeET2_T3_PNSM_ISR_E10value_typeET4_jRbjT5_SX_jjP12ihipStream_tbEUlT_E_NS1_11comp_targetILNS1_3genE2ELNS1_11target_archE906ELNS1_3gpuE6ELNS1_3repE0EEENS1_30default_config_static_selectorELNS0_4arch9wavefront6targetE0EEEvSL_,"axG",@progbits,_ZN7rocprim17ROCPRIM_400000_NS6detail17trampoline_kernelINS0_14default_configENS1_36segmented_radix_sort_config_selectorI12hip_bfloat16lEEZNS1_25segmented_radix_sort_implIS3_Lb0EPKS5_PS5_PKlPlN2at6native12_GLOBAL__N_18offset_tEEE10hipError_tPvRmT1_PNSt15iterator_traitsISL_E10value_typeET2_T3_PNSM_ISR_E10value_typeET4_jRbjT5_SX_jjP12ihipStream_tbEUlT_E_NS1_11comp_targetILNS1_3genE2ELNS1_11target_archE906ELNS1_3gpuE6ELNS1_3repE0EEENS1_30default_config_static_selectorELNS0_4arch9wavefront6targetE0EEEvSL_,comdat
	.globl	_ZN7rocprim17ROCPRIM_400000_NS6detail17trampoline_kernelINS0_14default_configENS1_36segmented_radix_sort_config_selectorI12hip_bfloat16lEEZNS1_25segmented_radix_sort_implIS3_Lb0EPKS5_PS5_PKlPlN2at6native12_GLOBAL__N_18offset_tEEE10hipError_tPvRmT1_PNSt15iterator_traitsISL_E10value_typeET2_T3_PNSM_ISR_E10value_typeET4_jRbjT5_SX_jjP12ihipStream_tbEUlT_E_NS1_11comp_targetILNS1_3genE2ELNS1_11target_archE906ELNS1_3gpuE6ELNS1_3repE0EEENS1_30default_config_static_selectorELNS0_4arch9wavefront6targetE0EEEvSL_ ; -- Begin function _ZN7rocprim17ROCPRIM_400000_NS6detail17trampoline_kernelINS0_14default_configENS1_36segmented_radix_sort_config_selectorI12hip_bfloat16lEEZNS1_25segmented_radix_sort_implIS3_Lb0EPKS5_PS5_PKlPlN2at6native12_GLOBAL__N_18offset_tEEE10hipError_tPvRmT1_PNSt15iterator_traitsISL_E10value_typeET2_T3_PNSM_ISR_E10value_typeET4_jRbjT5_SX_jjP12ihipStream_tbEUlT_E_NS1_11comp_targetILNS1_3genE2ELNS1_11target_archE906ELNS1_3gpuE6ELNS1_3repE0EEENS1_30default_config_static_selectorELNS0_4arch9wavefront6targetE0EEEvSL_
	.p2align	8
	.type	_ZN7rocprim17ROCPRIM_400000_NS6detail17trampoline_kernelINS0_14default_configENS1_36segmented_radix_sort_config_selectorI12hip_bfloat16lEEZNS1_25segmented_radix_sort_implIS3_Lb0EPKS5_PS5_PKlPlN2at6native12_GLOBAL__N_18offset_tEEE10hipError_tPvRmT1_PNSt15iterator_traitsISL_E10value_typeET2_T3_PNSM_ISR_E10value_typeET4_jRbjT5_SX_jjP12ihipStream_tbEUlT_E_NS1_11comp_targetILNS1_3genE2ELNS1_11target_archE906ELNS1_3gpuE6ELNS1_3repE0EEENS1_30default_config_static_selectorELNS0_4arch9wavefront6targetE0EEEvSL_,@function
_ZN7rocprim17ROCPRIM_400000_NS6detail17trampoline_kernelINS0_14default_configENS1_36segmented_radix_sort_config_selectorI12hip_bfloat16lEEZNS1_25segmented_radix_sort_implIS3_Lb0EPKS5_PS5_PKlPlN2at6native12_GLOBAL__N_18offset_tEEE10hipError_tPvRmT1_PNSt15iterator_traitsISL_E10value_typeET2_T3_PNSM_ISR_E10value_typeET4_jRbjT5_SX_jjP12ihipStream_tbEUlT_E_NS1_11comp_targetILNS1_3genE2ELNS1_11target_archE906ELNS1_3gpuE6ELNS1_3repE0EEENS1_30default_config_static_selectorELNS0_4arch9wavefront6targetE0EEEvSL_: ; @_ZN7rocprim17ROCPRIM_400000_NS6detail17trampoline_kernelINS0_14default_configENS1_36segmented_radix_sort_config_selectorI12hip_bfloat16lEEZNS1_25segmented_radix_sort_implIS3_Lb0EPKS5_PS5_PKlPlN2at6native12_GLOBAL__N_18offset_tEEE10hipError_tPvRmT1_PNSt15iterator_traitsISL_E10value_typeET2_T3_PNSM_ISR_E10value_typeET4_jRbjT5_SX_jjP12ihipStream_tbEUlT_E_NS1_11comp_targetILNS1_3genE2ELNS1_11target_archE906ELNS1_3gpuE6ELNS1_3repE0EEENS1_30default_config_static_selectorELNS0_4arch9wavefront6targetE0EEEvSL_
; %bb.0:
	.section	.rodata,"a",@progbits
	.p2align	6, 0x0
	.amdhsa_kernel _ZN7rocprim17ROCPRIM_400000_NS6detail17trampoline_kernelINS0_14default_configENS1_36segmented_radix_sort_config_selectorI12hip_bfloat16lEEZNS1_25segmented_radix_sort_implIS3_Lb0EPKS5_PS5_PKlPlN2at6native12_GLOBAL__N_18offset_tEEE10hipError_tPvRmT1_PNSt15iterator_traitsISL_E10value_typeET2_T3_PNSM_ISR_E10value_typeET4_jRbjT5_SX_jjP12ihipStream_tbEUlT_E_NS1_11comp_targetILNS1_3genE2ELNS1_11target_archE906ELNS1_3gpuE6ELNS1_3repE0EEENS1_30default_config_static_selectorELNS0_4arch9wavefront6targetE0EEEvSL_
		.amdhsa_group_segment_fixed_size 0
		.amdhsa_private_segment_fixed_size 0
		.amdhsa_kernarg_size 96
		.amdhsa_user_sgpr_count 2
		.amdhsa_user_sgpr_dispatch_ptr 0
		.amdhsa_user_sgpr_queue_ptr 0
		.amdhsa_user_sgpr_kernarg_segment_ptr 1
		.amdhsa_user_sgpr_dispatch_id 0
		.amdhsa_user_sgpr_kernarg_preload_length 0
		.amdhsa_user_sgpr_kernarg_preload_offset 0
		.amdhsa_user_sgpr_private_segment_size 0
		.amdhsa_wavefront_size32 1
		.amdhsa_uses_dynamic_stack 0
		.amdhsa_enable_private_segment 0
		.amdhsa_system_sgpr_workgroup_id_x 1
		.amdhsa_system_sgpr_workgroup_id_y 0
		.amdhsa_system_sgpr_workgroup_id_z 0
		.amdhsa_system_sgpr_workgroup_info 0
		.amdhsa_system_vgpr_workitem_id 0
		.amdhsa_next_free_vgpr 1
		.amdhsa_next_free_sgpr 1
		.amdhsa_named_barrier_count 0
		.amdhsa_reserve_vcc 0
		.amdhsa_float_round_mode_32 0
		.amdhsa_float_round_mode_16_64 0
		.amdhsa_float_denorm_mode_32 3
		.amdhsa_float_denorm_mode_16_64 3
		.amdhsa_fp16_overflow 0
		.amdhsa_memory_ordered 1
		.amdhsa_forward_progress 1
		.amdhsa_inst_pref_size 0
		.amdhsa_round_robin_scheduling 0
		.amdhsa_exception_fp_ieee_invalid_op 0
		.amdhsa_exception_fp_denorm_src 0
		.amdhsa_exception_fp_ieee_div_zero 0
		.amdhsa_exception_fp_ieee_overflow 0
		.amdhsa_exception_fp_ieee_underflow 0
		.amdhsa_exception_fp_ieee_inexact 0
		.amdhsa_exception_int_div_zero 0
	.end_amdhsa_kernel
	.section	.text._ZN7rocprim17ROCPRIM_400000_NS6detail17trampoline_kernelINS0_14default_configENS1_36segmented_radix_sort_config_selectorI12hip_bfloat16lEEZNS1_25segmented_radix_sort_implIS3_Lb0EPKS5_PS5_PKlPlN2at6native12_GLOBAL__N_18offset_tEEE10hipError_tPvRmT1_PNSt15iterator_traitsISL_E10value_typeET2_T3_PNSM_ISR_E10value_typeET4_jRbjT5_SX_jjP12ihipStream_tbEUlT_E_NS1_11comp_targetILNS1_3genE2ELNS1_11target_archE906ELNS1_3gpuE6ELNS1_3repE0EEENS1_30default_config_static_selectorELNS0_4arch9wavefront6targetE0EEEvSL_,"axG",@progbits,_ZN7rocprim17ROCPRIM_400000_NS6detail17trampoline_kernelINS0_14default_configENS1_36segmented_radix_sort_config_selectorI12hip_bfloat16lEEZNS1_25segmented_radix_sort_implIS3_Lb0EPKS5_PS5_PKlPlN2at6native12_GLOBAL__N_18offset_tEEE10hipError_tPvRmT1_PNSt15iterator_traitsISL_E10value_typeET2_T3_PNSM_ISR_E10value_typeET4_jRbjT5_SX_jjP12ihipStream_tbEUlT_E_NS1_11comp_targetILNS1_3genE2ELNS1_11target_archE906ELNS1_3gpuE6ELNS1_3repE0EEENS1_30default_config_static_selectorELNS0_4arch9wavefront6targetE0EEEvSL_,comdat
.Lfunc_end2044:
	.size	_ZN7rocprim17ROCPRIM_400000_NS6detail17trampoline_kernelINS0_14default_configENS1_36segmented_radix_sort_config_selectorI12hip_bfloat16lEEZNS1_25segmented_radix_sort_implIS3_Lb0EPKS5_PS5_PKlPlN2at6native12_GLOBAL__N_18offset_tEEE10hipError_tPvRmT1_PNSt15iterator_traitsISL_E10value_typeET2_T3_PNSM_ISR_E10value_typeET4_jRbjT5_SX_jjP12ihipStream_tbEUlT_E_NS1_11comp_targetILNS1_3genE2ELNS1_11target_archE906ELNS1_3gpuE6ELNS1_3repE0EEENS1_30default_config_static_selectorELNS0_4arch9wavefront6targetE0EEEvSL_, .Lfunc_end2044-_ZN7rocprim17ROCPRIM_400000_NS6detail17trampoline_kernelINS0_14default_configENS1_36segmented_radix_sort_config_selectorI12hip_bfloat16lEEZNS1_25segmented_radix_sort_implIS3_Lb0EPKS5_PS5_PKlPlN2at6native12_GLOBAL__N_18offset_tEEE10hipError_tPvRmT1_PNSt15iterator_traitsISL_E10value_typeET2_T3_PNSM_ISR_E10value_typeET4_jRbjT5_SX_jjP12ihipStream_tbEUlT_E_NS1_11comp_targetILNS1_3genE2ELNS1_11target_archE906ELNS1_3gpuE6ELNS1_3repE0EEENS1_30default_config_static_selectorELNS0_4arch9wavefront6targetE0EEEvSL_
                                        ; -- End function
	.set _ZN7rocprim17ROCPRIM_400000_NS6detail17trampoline_kernelINS0_14default_configENS1_36segmented_radix_sort_config_selectorI12hip_bfloat16lEEZNS1_25segmented_radix_sort_implIS3_Lb0EPKS5_PS5_PKlPlN2at6native12_GLOBAL__N_18offset_tEEE10hipError_tPvRmT1_PNSt15iterator_traitsISL_E10value_typeET2_T3_PNSM_ISR_E10value_typeET4_jRbjT5_SX_jjP12ihipStream_tbEUlT_E_NS1_11comp_targetILNS1_3genE2ELNS1_11target_archE906ELNS1_3gpuE6ELNS1_3repE0EEENS1_30default_config_static_selectorELNS0_4arch9wavefront6targetE0EEEvSL_.num_vgpr, 0
	.set _ZN7rocprim17ROCPRIM_400000_NS6detail17trampoline_kernelINS0_14default_configENS1_36segmented_radix_sort_config_selectorI12hip_bfloat16lEEZNS1_25segmented_radix_sort_implIS3_Lb0EPKS5_PS5_PKlPlN2at6native12_GLOBAL__N_18offset_tEEE10hipError_tPvRmT1_PNSt15iterator_traitsISL_E10value_typeET2_T3_PNSM_ISR_E10value_typeET4_jRbjT5_SX_jjP12ihipStream_tbEUlT_E_NS1_11comp_targetILNS1_3genE2ELNS1_11target_archE906ELNS1_3gpuE6ELNS1_3repE0EEENS1_30default_config_static_selectorELNS0_4arch9wavefront6targetE0EEEvSL_.num_agpr, 0
	.set _ZN7rocprim17ROCPRIM_400000_NS6detail17trampoline_kernelINS0_14default_configENS1_36segmented_radix_sort_config_selectorI12hip_bfloat16lEEZNS1_25segmented_radix_sort_implIS3_Lb0EPKS5_PS5_PKlPlN2at6native12_GLOBAL__N_18offset_tEEE10hipError_tPvRmT1_PNSt15iterator_traitsISL_E10value_typeET2_T3_PNSM_ISR_E10value_typeET4_jRbjT5_SX_jjP12ihipStream_tbEUlT_E_NS1_11comp_targetILNS1_3genE2ELNS1_11target_archE906ELNS1_3gpuE6ELNS1_3repE0EEENS1_30default_config_static_selectorELNS0_4arch9wavefront6targetE0EEEvSL_.numbered_sgpr, 0
	.set _ZN7rocprim17ROCPRIM_400000_NS6detail17trampoline_kernelINS0_14default_configENS1_36segmented_radix_sort_config_selectorI12hip_bfloat16lEEZNS1_25segmented_radix_sort_implIS3_Lb0EPKS5_PS5_PKlPlN2at6native12_GLOBAL__N_18offset_tEEE10hipError_tPvRmT1_PNSt15iterator_traitsISL_E10value_typeET2_T3_PNSM_ISR_E10value_typeET4_jRbjT5_SX_jjP12ihipStream_tbEUlT_E_NS1_11comp_targetILNS1_3genE2ELNS1_11target_archE906ELNS1_3gpuE6ELNS1_3repE0EEENS1_30default_config_static_selectorELNS0_4arch9wavefront6targetE0EEEvSL_.num_named_barrier, 0
	.set _ZN7rocprim17ROCPRIM_400000_NS6detail17trampoline_kernelINS0_14default_configENS1_36segmented_radix_sort_config_selectorI12hip_bfloat16lEEZNS1_25segmented_radix_sort_implIS3_Lb0EPKS5_PS5_PKlPlN2at6native12_GLOBAL__N_18offset_tEEE10hipError_tPvRmT1_PNSt15iterator_traitsISL_E10value_typeET2_T3_PNSM_ISR_E10value_typeET4_jRbjT5_SX_jjP12ihipStream_tbEUlT_E_NS1_11comp_targetILNS1_3genE2ELNS1_11target_archE906ELNS1_3gpuE6ELNS1_3repE0EEENS1_30default_config_static_selectorELNS0_4arch9wavefront6targetE0EEEvSL_.private_seg_size, 0
	.set _ZN7rocprim17ROCPRIM_400000_NS6detail17trampoline_kernelINS0_14default_configENS1_36segmented_radix_sort_config_selectorI12hip_bfloat16lEEZNS1_25segmented_radix_sort_implIS3_Lb0EPKS5_PS5_PKlPlN2at6native12_GLOBAL__N_18offset_tEEE10hipError_tPvRmT1_PNSt15iterator_traitsISL_E10value_typeET2_T3_PNSM_ISR_E10value_typeET4_jRbjT5_SX_jjP12ihipStream_tbEUlT_E_NS1_11comp_targetILNS1_3genE2ELNS1_11target_archE906ELNS1_3gpuE6ELNS1_3repE0EEENS1_30default_config_static_selectorELNS0_4arch9wavefront6targetE0EEEvSL_.uses_vcc, 0
	.set _ZN7rocprim17ROCPRIM_400000_NS6detail17trampoline_kernelINS0_14default_configENS1_36segmented_radix_sort_config_selectorI12hip_bfloat16lEEZNS1_25segmented_radix_sort_implIS3_Lb0EPKS5_PS5_PKlPlN2at6native12_GLOBAL__N_18offset_tEEE10hipError_tPvRmT1_PNSt15iterator_traitsISL_E10value_typeET2_T3_PNSM_ISR_E10value_typeET4_jRbjT5_SX_jjP12ihipStream_tbEUlT_E_NS1_11comp_targetILNS1_3genE2ELNS1_11target_archE906ELNS1_3gpuE6ELNS1_3repE0EEENS1_30default_config_static_selectorELNS0_4arch9wavefront6targetE0EEEvSL_.uses_flat_scratch, 0
	.set _ZN7rocprim17ROCPRIM_400000_NS6detail17trampoline_kernelINS0_14default_configENS1_36segmented_radix_sort_config_selectorI12hip_bfloat16lEEZNS1_25segmented_radix_sort_implIS3_Lb0EPKS5_PS5_PKlPlN2at6native12_GLOBAL__N_18offset_tEEE10hipError_tPvRmT1_PNSt15iterator_traitsISL_E10value_typeET2_T3_PNSM_ISR_E10value_typeET4_jRbjT5_SX_jjP12ihipStream_tbEUlT_E_NS1_11comp_targetILNS1_3genE2ELNS1_11target_archE906ELNS1_3gpuE6ELNS1_3repE0EEENS1_30default_config_static_selectorELNS0_4arch9wavefront6targetE0EEEvSL_.has_dyn_sized_stack, 0
	.set _ZN7rocprim17ROCPRIM_400000_NS6detail17trampoline_kernelINS0_14default_configENS1_36segmented_radix_sort_config_selectorI12hip_bfloat16lEEZNS1_25segmented_radix_sort_implIS3_Lb0EPKS5_PS5_PKlPlN2at6native12_GLOBAL__N_18offset_tEEE10hipError_tPvRmT1_PNSt15iterator_traitsISL_E10value_typeET2_T3_PNSM_ISR_E10value_typeET4_jRbjT5_SX_jjP12ihipStream_tbEUlT_E_NS1_11comp_targetILNS1_3genE2ELNS1_11target_archE906ELNS1_3gpuE6ELNS1_3repE0EEENS1_30default_config_static_selectorELNS0_4arch9wavefront6targetE0EEEvSL_.has_recursion, 0
	.set _ZN7rocprim17ROCPRIM_400000_NS6detail17trampoline_kernelINS0_14default_configENS1_36segmented_radix_sort_config_selectorI12hip_bfloat16lEEZNS1_25segmented_radix_sort_implIS3_Lb0EPKS5_PS5_PKlPlN2at6native12_GLOBAL__N_18offset_tEEE10hipError_tPvRmT1_PNSt15iterator_traitsISL_E10value_typeET2_T3_PNSM_ISR_E10value_typeET4_jRbjT5_SX_jjP12ihipStream_tbEUlT_E_NS1_11comp_targetILNS1_3genE2ELNS1_11target_archE906ELNS1_3gpuE6ELNS1_3repE0EEENS1_30default_config_static_selectorELNS0_4arch9wavefront6targetE0EEEvSL_.has_indirect_call, 0
	.section	.AMDGPU.csdata,"",@progbits
; Kernel info:
; codeLenInByte = 0
; TotalNumSgprs: 0
; NumVgprs: 0
; ScratchSize: 0
; MemoryBound: 0
; FloatMode: 240
; IeeeMode: 1
; LDSByteSize: 0 bytes/workgroup (compile time only)
; SGPRBlocks: 0
; VGPRBlocks: 0
; NumSGPRsForWavesPerEU: 1
; NumVGPRsForWavesPerEU: 1
; NamedBarCnt: 0
; Occupancy: 16
; WaveLimiterHint : 0
; COMPUTE_PGM_RSRC2:SCRATCH_EN: 0
; COMPUTE_PGM_RSRC2:USER_SGPR: 2
; COMPUTE_PGM_RSRC2:TRAP_HANDLER: 0
; COMPUTE_PGM_RSRC2:TGID_X_EN: 1
; COMPUTE_PGM_RSRC2:TGID_Y_EN: 0
; COMPUTE_PGM_RSRC2:TGID_Z_EN: 0
; COMPUTE_PGM_RSRC2:TIDIG_COMP_CNT: 0
	.section	.text._ZN7rocprim17ROCPRIM_400000_NS6detail17trampoline_kernelINS0_14default_configENS1_36segmented_radix_sort_config_selectorI12hip_bfloat16lEEZNS1_25segmented_radix_sort_implIS3_Lb0EPKS5_PS5_PKlPlN2at6native12_GLOBAL__N_18offset_tEEE10hipError_tPvRmT1_PNSt15iterator_traitsISL_E10value_typeET2_T3_PNSM_ISR_E10value_typeET4_jRbjT5_SX_jjP12ihipStream_tbEUlT_E_NS1_11comp_targetILNS1_3genE10ELNS1_11target_archE1201ELNS1_3gpuE5ELNS1_3repE0EEENS1_30default_config_static_selectorELNS0_4arch9wavefront6targetE0EEEvSL_,"axG",@progbits,_ZN7rocprim17ROCPRIM_400000_NS6detail17trampoline_kernelINS0_14default_configENS1_36segmented_radix_sort_config_selectorI12hip_bfloat16lEEZNS1_25segmented_radix_sort_implIS3_Lb0EPKS5_PS5_PKlPlN2at6native12_GLOBAL__N_18offset_tEEE10hipError_tPvRmT1_PNSt15iterator_traitsISL_E10value_typeET2_T3_PNSM_ISR_E10value_typeET4_jRbjT5_SX_jjP12ihipStream_tbEUlT_E_NS1_11comp_targetILNS1_3genE10ELNS1_11target_archE1201ELNS1_3gpuE5ELNS1_3repE0EEENS1_30default_config_static_selectorELNS0_4arch9wavefront6targetE0EEEvSL_,comdat
	.globl	_ZN7rocprim17ROCPRIM_400000_NS6detail17trampoline_kernelINS0_14default_configENS1_36segmented_radix_sort_config_selectorI12hip_bfloat16lEEZNS1_25segmented_radix_sort_implIS3_Lb0EPKS5_PS5_PKlPlN2at6native12_GLOBAL__N_18offset_tEEE10hipError_tPvRmT1_PNSt15iterator_traitsISL_E10value_typeET2_T3_PNSM_ISR_E10value_typeET4_jRbjT5_SX_jjP12ihipStream_tbEUlT_E_NS1_11comp_targetILNS1_3genE10ELNS1_11target_archE1201ELNS1_3gpuE5ELNS1_3repE0EEENS1_30default_config_static_selectorELNS0_4arch9wavefront6targetE0EEEvSL_ ; -- Begin function _ZN7rocprim17ROCPRIM_400000_NS6detail17trampoline_kernelINS0_14default_configENS1_36segmented_radix_sort_config_selectorI12hip_bfloat16lEEZNS1_25segmented_radix_sort_implIS3_Lb0EPKS5_PS5_PKlPlN2at6native12_GLOBAL__N_18offset_tEEE10hipError_tPvRmT1_PNSt15iterator_traitsISL_E10value_typeET2_T3_PNSM_ISR_E10value_typeET4_jRbjT5_SX_jjP12ihipStream_tbEUlT_E_NS1_11comp_targetILNS1_3genE10ELNS1_11target_archE1201ELNS1_3gpuE5ELNS1_3repE0EEENS1_30default_config_static_selectorELNS0_4arch9wavefront6targetE0EEEvSL_
	.p2align	8
	.type	_ZN7rocprim17ROCPRIM_400000_NS6detail17trampoline_kernelINS0_14default_configENS1_36segmented_radix_sort_config_selectorI12hip_bfloat16lEEZNS1_25segmented_radix_sort_implIS3_Lb0EPKS5_PS5_PKlPlN2at6native12_GLOBAL__N_18offset_tEEE10hipError_tPvRmT1_PNSt15iterator_traitsISL_E10value_typeET2_T3_PNSM_ISR_E10value_typeET4_jRbjT5_SX_jjP12ihipStream_tbEUlT_E_NS1_11comp_targetILNS1_3genE10ELNS1_11target_archE1201ELNS1_3gpuE5ELNS1_3repE0EEENS1_30default_config_static_selectorELNS0_4arch9wavefront6targetE0EEEvSL_,@function
_ZN7rocprim17ROCPRIM_400000_NS6detail17trampoline_kernelINS0_14default_configENS1_36segmented_radix_sort_config_selectorI12hip_bfloat16lEEZNS1_25segmented_radix_sort_implIS3_Lb0EPKS5_PS5_PKlPlN2at6native12_GLOBAL__N_18offset_tEEE10hipError_tPvRmT1_PNSt15iterator_traitsISL_E10value_typeET2_T3_PNSM_ISR_E10value_typeET4_jRbjT5_SX_jjP12ihipStream_tbEUlT_E_NS1_11comp_targetILNS1_3genE10ELNS1_11target_archE1201ELNS1_3gpuE5ELNS1_3repE0EEENS1_30default_config_static_selectorELNS0_4arch9wavefront6targetE0EEEvSL_: ; @_ZN7rocprim17ROCPRIM_400000_NS6detail17trampoline_kernelINS0_14default_configENS1_36segmented_radix_sort_config_selectorI12hip_bfloat16lEEZNS1_25segmented_radix_sort_implIS3_Lb0EPKS5_PS5_PKlPlN2at6native12_GLOBAL__N_18offset_tEEE10hipError_tPvRmT1_PNSt15iterator_traitsISL_E10value_typeET2_T3_PNSM_ISR_E10value_typeET4_jRbjT5_SX_jjP12ihipStream_tbEUlT_E_NS1_11comp_targetILNS1_3genE10ELNS1_11target_archE1201ELNS1_3gpuE5ELNS1_3repE0EEENS1_30default_config_static_selectorELNS0_4arch9wavefront6targetE0EEEvSL_
; %bb.0:
	.section	.rodata,"a",@progbits
	.p2align	6, 0x0
	.amdhsa_kernel _ZN7rocprim17ROCPRIM_400000_NS6detail17trampoline_kernelINS0_14default_configENS1_36segmented_radix_sort_config_selectorI12hip_bfloat16lEEZNS1_25segmented_radix_sort_implIS3_Lb0EPKS5_PS5_PKlPlN2at6native12_GLOBAL__N_18offset_tEEE10hipError_tPvRmT1_PNSt15iterator_traitsISL_E10value_typeET2_T3_PNSM_ISR_E10value_typeET4_jRbjT5_SX_jjP12ihipStream_tbEUlT_E_NS1_11comp_targetILNS1_3genE10ELNS1_11target_archE1201ELNS1_3gpuE5ELNS1_3repE0EEENS1_30default_config_static_selectorELNS0_4arch9wavefront6targetE0EEEvSL_
		.amdhsa_group_segment_fixed_size 0
		.amdhsa_private_segment_fixed_size 0
		.amdhsa_kernarg_size 96
		.amdhsa_user_sgpr_count 2
		.amdhsa_user_sgpr_dispatch_ptr 0
		.amdhsa_user_sgpr_queue_ptr 0
		.amdhsa_user_sgpr_kernarg_segment_ptr 1
		.amdhsa_user_sgpr_dispatch_id 0
		.amdhsa_user_sgpr_kernarg_preload_length 0
		.amdhsa_user_sgpr_kernarg_preload_offset 0
		.amdhsa_user_sgpr_private_segment_size 0
		.amdhsa_wavefront_size32 1
		.amdhsa_uses_dynamic_stack 0
		.amdhsa_enable_private_segment 0
		.amdhsa_system_sgpr_workgroup_id_x 1
		.amdhsa_system_sgpr_workgroup_id_y 0
		.amdhsa_system_sgpr_workgroup_id_z 0
		.amdhsa_system_sgpr_workgroup_info 0
		.amdhsa_system_vgpr_workitem_id 0
		.amdhsa_next_free_vgpr 1
		.amdhsa_next_free_sgpr 1
		.amdhsa_named_barrier_count 0
		.amdhsa_reserve_vcc 0
		.amdhsa_float_round_mode_32 0
		.amdhsa_float_round_mode_16_64 0
		.amdhsa_float_denorm_mode_32 3
		.amdhsa_float_denorm_mode_16_64 3
		.amdhsa_fp16_overflow 0
		.amdhsa_memory_ordered 1
		.amdhsa_forward_progress 1
		.amdhsa_inst_pref_size 0
		.amdhsa_round_robin_scheduling 0
		.amdhsa_exception_fp_ieee_invalid_op 0
		.amdhsa_exception_fp_denorm_src 0
		.amdhsa_exception_fp_ieee_div_zero 0
		.amdhsa_exception_fp_ieee_overflow 0
		.amdhsa_exception_fp_ieee_underflow 0
		.amdhsa_exception_fp_ieee_inexact 0
		.amdhsa_exception_int_div_zero 0
	.end_amdhsa_kernel
	.section	.text._ZN7rocprim17ROCPRIM_400000_NS6detail17trampoline_kernelINS0_14default_configENS1_36segmented_radix_sort_config_selectorI12hip_bfloat16lEEZNS1_25segmented_radix_sort_implIS3_Lb0EPKS5_PS5_PKlPlN2at6native12_GLOBAL__N_18offset_tEEE10hipError_tPvRmT1_PNSt15iterator_traitsISL_E10value_typeET2_T3_PNSM_ISR_E10value_typeET4_jRbjT5_SX_jjP12ihipStream_tbEUlT_E_NS1_11comp_targetILNS1_3genE10ELNS1_11target_archE1201ELNS1_3gpuE5ELNS1_3repE0EEENS1_30default_config_static_selectorELNS0_4arch9wavefront6targetE0EEEvSL_,"axG",@progbits,_ZN7rocprim17ROCPRIM_400000_NS6detail17trampoline_kernelINS0_14default_configENS1_36segmented_radix_sort_config_selectorI12hip_bfloat16lEEZNS1_25segmented_radix_sort_implIS3_Lb0EPKS5_PS5_PKlPlN2at6native12_GLOBAL__N_18offset_tEEE10hipError_tPvRmT1_PNSt15iterator_traitsISL_E10value_typeET2_T3_PNSM_ISR_E10value_typeET4_jRbjT5_SX_jjP12ihipStream_tbEUlT_E_NS1_11comp_targetILNS1_3genE10ELNS1_11target_archE1201ELNS1_3gpuE5ELNS1_3repE0EEENS1_30default_config_static_selectorELNS0_4arch9wavefront6targetE0EEEvSL_,comdat
.Lfunc_end2045:
	.size	_ZN7rocprim17ROCPRIM_400000_NS6detail17trampoline_kernelINS0_14default_configENS1_36segmented_radix_sort_config_selectorI12hip_bfloat16lEEZNS1_25segmented_radix_sort_implIS3_Lb0EPKS5_PS5_PKlPlN2at6native12_GLOBAL__N_18offset_tEEE10hipError_tPvRmT1_PNSt15iterator_traitsISL_E10value_typeET2_T3_PNSM_ISR_E10value_typeET4_jRbjT5_SX_jjP12ihipStream_tbEUlT_E_NS1_11comp_targetILNS1_3genE10ELNS1_11target_archE1201ELNS1_3gpuE5ELNS1_3repE0EEENS1_30default_config_static_selectorELNS0_4arch9wavefront6targetE0EEEvSL_, .Lfunc_end2045-_ZN7rocprim17ROCPRIM_400000_NS6detail17trampoline_kernelINS0_14default_configENS1_36segmented_radix_sort_config_selectorI12hip_bfloat16lEEZNS1_25segmented_radix_sort_implIS3_Lb0EPKS5_PS5_PKlPlN2at6native12_GLOBAL__N_18offset_tEEE10hipError_tPvRmT1_PNSt15iterator_traitsISL_E10value_typeET2_T3_PNSM_ISR_E10value_typeET4_jRbjT5_SX_jjP12ihipStream_tbEUlT_E_NS1_11comp_targetILNS1_3genE10ELNS1_11target_archE1201ELNS1_3gpuE5ELNS1_3repE0EEENS1_30default_config_static_selectorELNS0_4arch9wavefront6targetE0EEEvSL_
                                        ; -- End function
	.set _ZN7rocprim17ROCPRIM_400000_NS6detail17trampoline_kernelINS0_14default_configENS1_36segmented_radix_sort_config_selectorI12hip_bfloat16lEEZNS1_25segmented_radix_sort_implIS3_Lb0EPKS5_PS5_PKlPlN2at6native12_GLOBAL__N_18offset_tEEE10hipError_tPvRmT1_PNSt15iterator_traitsISL_E10value_typeET2_T3_PNSM_ISR_E10value_typeET4_jRbjT5_SX_jjP12ihipStream_tbEUlT_E_NS1_11comp_targetILNS1_3genE10ELNS1_11target_archE1201ELNS1_3gpuE5ELNS1_3repE0EEENS1_30default_config_static_selectorELNS0_4arch9wavefront6targetE0EEEvSL_.num_vgpr, 0
	.set _ZN7rocprim17ROCPRIM_400000_NS6detail17trampoline_kernelINS0_14default_configENS1_36segmented_radix_sort_config_selectorI12hip_bfloat16lEEZNS1_25segmented_radix_sort_implIS3_Lb0EPKS5_PS5_PKlPlN2at6native12_GLOBAL__N_18offset_tEEE10hipError_tPvRmT1_PNSt15iterator_traitsISL_E10value_typeET2_T3_PNSM_ISR_E10value_typeET4_jRbjT5_SX_jjP12ihipStream_tbEUlT_E_NS1_11comp_targetILNS1_3genE10ELNS1_11target_archE1201ELNS1_3gpuE5ELNS1_3repE0EEENS1_30default_config_static_selectorELNS0_4arch9wavefront6targetE0EEEvSL_.num_agpr, 0
	.set _ZN7rocprim17ROCPRIM_400000_NS6detail17trampoline_kernelINS0_14default_configENS1_36segmented_radix_sort_config_selectorI12hip_bfloat16lEEZNS1_25segmented_radix_sort_implIS3_Lb0EPKS5_PS5_PKlPlN2at6native12_GLOBAL__N_18offset_tEEE10hipError_tPvRmT1_PNSt15iterator_traitsISL_E10value_typeET2_T3_PNSM_ISR_E10value_typeET4_jRbjT5_SX_jjP12ihipStream_tbEUlT_E_NS1_11comp_targetILNS1_3genE10ELNS1_11target_archE1201ELNS1_3gpuE5ELNS1_3repE0EEENS1_30default_config_static_selectorELNS0_4arch9wavefront6targetE0EEEvSL_.numbered_sgpr, 0
	.set _ZN7rocprim17ROCPRIM_400000_NS6detail17trampoline_kernelINS0_14default_configENS1_36segmented_radix_sort_config_selectorI12hip_bfloat16lEEZNS1_25segmented_radix_sort_implIS3_Lb0EPKS5_PS5_PKlPlN2at6native12_GLOBAL__N_18offset_tEEE10hipError_tPvRmT1_PNSt15iterator_traitsISL_E10value_typeET2_T3_PNSM_ISR_E10value_typeET4_jRbjT5_SX_jjP12ihipStream_tbEUlT_E_NS1_11comp_targetILNS1_3genE10ELNS1_11target_archE1201ELNS1_3gpuE5ELNS1_3repE0EEENS1_30default_config_static_selectorELNS0_4arch9wavefront6targetE0EEEvSL_.num_named_barrier, 0
	.set _ZN7rocprim17ROCPRIM_400000_NS6detail17trampoline_kernelINS0_14default_configENS1_36segmented_radix_sort_config_selectorI12hip_bfloat16lEEZNS1_25segmented_radix_sort_implIS3_Lb0EPKS5_PS5_PKlPlN2at6native12_GLOBAL__N_18offset_tEEE10hipError_tPvRmT1_PNSt15iterator_traitsISL_E10value_typeET2_T3_PNSM_ISR_E10value_typeET4_jRbjT5_SX_jjP12ihipStream_tbEUlT_E_NS1_11comp_targetILNS1_3genE10ELNS1_11target_archE1201ELNS1_3gpuE5ELNS1_3repE0EEENS1_30default_config_static_selectorELNS0_4arch9wavefront6targetE0EEEvSL_.private_seg_size, 0
	.set _ZN7rocprim17ROCPRIM_400000_NS6detail17trampoline_kernelINS0_14default_configENS1_36segmented_radix_sort_config_selectorI12hip_bfloat16lEEZNS1_25segmented_radix_sort_implIS3_Lb0EPKS5_PS5_PKlPlN2at6native12_GLOBAL__N_18offset_tEEE10hipError_tPvRmT1_PNSt15iterator_traitsISL_E10value_typeET2_T3_PNSM_ISR_E10value_typeET4_jRbjT5_SX_jjP12ihipStream_tbEUlT_E_NS1_11comp_targetILNS1_3genE10ELNS1_11target_archE1201ELNS1_3gpuE5ELNS1_3repE0EEENS1_30default_config_static_selectorELNS0_4arch9wavefront6targetE0EEEvSL_.uses_vcc, 0
	.set _ZN7rocprim17ROCPRIM_400000_NS6detail17trampoline_kernelINS0_14default_configENS1_36segmented_radix_sort_config_selectorI12hip_bfloat16lEEZNS1_25segmented_radix_sort_implIS3_Lb0EPKS5_PS5_PKlPlN2at6native12_GLOBAL__N_18offset_tEEE10hipError_tPvRmT1_PNSt15iterator_traitsISL_E10value_typeET2_T3_PNSM_ISR_E10value_typeET4_jRbjT5_SX_jjP12ihipStream_tbEUlT_E_NS1_11comp_targetILNS1_3genE10ELNS1_11target_archE1201ELNS1_3gpuE5ELNS1_3repE0EEENS1_30default_config_static_selectorELNS0_4arch9wavefront6targetE0EEEvSL_.uses_flat_scratch, 0
	.set _ZN7rocprim17ROCPRIM_400000_NS6detail17trampoline_kernelINS0_14default_configENS1_36segmented_radix_sort_config_selectorI12hip_bfloat16lEEZNS1_25segmented_radix_sort_implIS3_Lb0EPKS5_PS5_PKlPlN2at6native12_GLOBAL__N_18offset_tEEE10hipError_tPvRmT1_PNSt15iterator_traitsISL_E10value_typeET2_T3_PNSM_ISR_E10value_typeET4_jRbjT5_SX_jjP12ihipStream_tbEUlT_E_NS1_11comp_targetILNS1_3genE10ELNS1_11target_archE1201ELNS1_3gpuE5ELNS1_3repE0EEENS1_30default_config_static_selectorELNS0_4arch9wavefront6targetE0EEEvSL_.has_dyn_sized_stack, 0
	.set _ZN7rocprim17ROCPRIM_400000_NS6detail17trampoline_kernelINS0_14default_configENS1_36segmented_radix_sort_config_selectorI12hip_bfloat16lEEZNS1_25segmented_radix_sort_implIS3_Lb0EPKS5_PS5_PKlPlN2at6native12_GLOBAL__N_18offset_tEEE10hipError_tPvRmT1_PNSt15iterator_traitsISL_E10value_typeET2_T3_PNSM_ISR_E10value_typeET4_jRbjT5_SX_jjP12ihipStream_tbEUlT_E_NS1_11comp_targetILNS1_3genE10ELNS1_11target_archE1201ELNS1_3gpuE5ELNS1_3repE0EEENS1_30default_config_static_selectorELNS0_4arch9wavefront6targetE0EEEvSL_.has_recursion, 0
	.set _ZN7rocprim17ROCPRIM_400000_NS6detail17trampoline_kernelINS0_14default_configENS1_36segmented_radix_sort_config_selectorI12hip_bfloat16lEEZNS1_25segmented_radix_sort_implIS3_Lb0EPKS5_PS5_PKlPlN2at6native12_GLOBAL__N_18offset_tEEE10hipError_tPvRmT1_PNSt15iterator_traitsISL_E10value_typeET2_T3_PNSM_ISR_E10value_typeET4_jRbjT5_SX_jjP12ihipStream_tbEUlT_E_NS1_11comp_targetILNS1_3genE10ELNS1_11target_archE1201ELNS1_3gpuE5ELNS1_3repE0EEENS1_30default_config_static_selectorELNS0_4arch9wavefront6targetE0EEEvSL_.has_indirect_call, 0
	.section	.AMDGPU.csdata,"",@progbits
; Kernel info:
; codeLenInByte = 0
; TotalNumSgprs: 0
; NumVgprs: 0
; ScratchSize: 0
; MemoryBound: 0
; FloatMode: 240
; IeeeMode: 1
; LDSByteSize: 0 bytes/workgroup (compile time only)
; SGPRBlocks: 0
; VGPRBlocks: 0
; NumSGPRsForWavesPerEU: 1
; NumVGPRsForWavesPerEU: 1
; NamedBarCnt: 0
; Occupancy: 16
; WaveLimiterHint : 0
; COMPUTE_PGM_RSRC2:SCRATCH_EN: 0
; COMPUTE_PGM_RSRC2:USER_SGPR: 2
; COMPUTE_PGM_RSRC2:TRAP_HANDLER: 0
; COMPUTE_PGM_RSRC2:TGID_X_EN: 1
; COMPUTE_PGM_RSRC2:TGID_Y_EN: 0
; COMPUTE_PGM_RSRC2:TGID_Z_EN: 0
; COMPUTE_PGM_RSRC2:TIDIG_COMP_CNT: 0
	.section	.text._ZN7rocprim17ROCPRIM_400000_NS6detail17trampoline_kernelINS0_14default_configENS1_36segmented_radix_sort_config_selectorI12hip_bfloat16lEEZNS1_25segmented_radix_sort_implIS3_Lb0EPKS5_PS5_PKlPlN2at6native12_GLOBAL__N_18offset_tEEE10hipError_tPvRmT1_PNSt15iterator_traitsISL_E10value_typeET2_T3_PNSM_ISR_E10value_typeET4_jRbjT5_SX_jjP12ihipStream_tbEUlT_E_NS1_11comp_targetILNS1_3genE10ELNS1_11target_archE1200ELNS1_3gpuE4ELNS1_3repE0EEENS1_30default_config_static_selectorELNS0_4arch9wavefront6targetE0EEEvSL_,"axG",@progbits,_ZN7rocprim17ROCPRIM_400000_NS6detail17trampoline_kernelINS0_14default_configENS1_36segmented_radix_sort_config_selectorI12hip_bfloat16lEEZNS1_25segmented_radix_sort_implIS3_Lb0EPKS5_PS5_PKlPlN2at6native12_GLOBAL__N_18offset_tEEE10hipError_tPvRmT1_PNSt15iterator_traitsISL_E10value_typeET2_T3_PNSM_ISR_E10value_typeET4_jRbjT5_SX_jjP12ihipStream_tbEUlT_E_NS1_11comp_targetILNS1_3genE10ELNS1_11target_archE1200ELNS1_3gpuE4ELNS1_3repE0EEENS1_30default_config_static_selectorELNS0_4arch9wavefront6targetE0EEEvSL_,comdat
	.globl	_ZN7rocprim17ROCPRIM_400000_NS6detail17trampoline_kernelINS0_14default_configENS1_36segmented_radix_sort_config_selectorI12hip_bfloat16lEEZNS1_25segmented_radix_sort_implIS3_Lb0EPKS5_PS5_PKlPlN2at6native12_GLOBAL__N_18offset_tEEE10hipError_tPvRmT1_PNSt15iterator_traitsISL_E10value_typeET2_T3_PNSM_ISR_E10value_typeET4_jRbjT5_SX_jjP12ihipStream_tbEUlT_E_NS1_11comp_targetILNS1_3genE10ELNS1_11target_archE1200ELNS1_3gpuE4ELNS1_3repE0EEENS1_30default_config_static_selectorELNS0_4arch9wavefront6targetE0EEEvSL_ ; -- Begin function _ZN7rocprim17ROCPRIM_400000_NS6detail17trampoline_kernelINS0_14default_configENS1_36segmented_radix_sort_config_selectorI12hip_bfloat16lEEZNS1_25segmented_radix_sort_implIS3_Lb0EPKS5_PS5_PKlPlN2at6native12_GLOBAL__N_18offset_tEEE10hipError_tPvRmT1_PNSt15iterator_traitsISL_E10value_typeET2_T3_PNSM_ISR_E10value_typeET4_jRbjT5_SX_jjP12ihipStream_tbEUlT_E_NS1_11comp_targetILNS1_3genE10ELNS1_11target_archE1200ELNS1_3gpuE4ELNS1_3repE0EEENS1_30default_config_static_selectorELNS0_4arch9wavefront6targetE0EEEvSL_
	.p2align	8
	.type	_ZN7rocprim17ROCPRIM_400000_NS6detail17trampoline_kernelINS0_14default_configENS1_36segmented_radix_sort_config_selectorI12hip_bfloat16lEEZNS1_25segmented_radix_sort_implIS3_Lb0EPKS5_PS5_PKlPlN2at6native12_GLOBAL__N_18offset_tEEE10hipError_tPvRmT1_PNSt15iterator_traitsISL_E10value_typeET2_T3_PNSM_ISR_E10value_typeET4_jRbjT5_SX_jjP12ihipStream_tbEUlT_E_NS1_11comp_targetILNS1_3genE10ELNS1_11target_archE1200ELNS1_3gpuE4ELNS1_3repE0EEENS1_30default_config_static_selectorELNS0_4arch9wavefront6targetE0EEEvSL_,@function
_ZN7rocprim17ROCPRIM_400000_NS6detail17trampoline_kernelINS0_14default_configENS1_36segmented_radix_sort_config_selectorI12hip_bfloat16lEEZNS1_25segmented_radix_sort_implIS3_Lb0EPKS5_PS5_PKlPlN2at6native12_GLOBAL__N_18offset_tEEE10hipError_tPvRmT1_PNSt15iterator_traitsISL_E10value_typeET2_T3_PNSM_ISR_E10value_typeET4_jRbjT5_SX_jjP12ihipStream_tbEUlT_E_NS1_11comp_targetILNS1_3genE10ELNS1_11target_archE1200ELNS1_3gpuE4ELNS1_3repE0EEENS1_30default_config_static_selectorELNS0_4arch9wavefront6targetE0EEEvSL_: ; @_ZN7rocprim17ROCPRIM_400000_NS6detail17trampoline_kernelINS0_14default_configENS1_36segmented_radix_sort_config_selectorI12hip_bfloat16lEEZNS1_25segmented_radix_sort_implIS3_Lb0EPKS5_PS5_PKlPlN2at6native12_GLOBAL__N_18offset_tEEE10hipError_tPvRmT1_PNSt15iterator_traitsISL_E10value_typeET2_T3_PNSM_ISR_E10value_typeET4_jRbjT5_SX_jjP12ihipStream_tbEUlT_E_NS1_11comp_targetILNS1_3genE10ELNS1_11target_archE1200ELNS1_3gpuE4ELNS1_3repE0EEENS1_30default_config_static_selectorELNS0_4arch9wavefront6targetE0EEEvSL_
; %bb.0:
	.section	.rodata,"a",@progbits
	.p2align	6, 0x0
	.amdhsa_kernel _ZN7rocprim17ROCPRIM_400000_NS6detail17trampoline_kernelINS0_14default_configENS1_36segmented_radix_sort_config_selectorI12hip_bfloat16lEEZNS1_25segmented_radix_sort_implIS3_Lb0EPKS5_PS5_PKlPlN2at6native12_GLOBAL__N_18offset_tEEE10hipError_tPvRmT1_PNSt15iterator_traitsISL_E10value_typeET2_T3_PNSM_ISR_E10value_typeET4_jRbjT5_SX_jjP12ihipStream_tbEUlT_E_NS1_11comp_targetILNS1_3genE10ELNS1_11target_archE1200ELNS1_3gpuE4ELNS1_3repE0EEENS1_30default_config_static_selectorELNS0_4arch9wavefront6targetE0EEEvSL_
		.amdhsa_group_segment_fixed_size 0
		.amdhsa_private_segment_fixed_size 0
		.amdhsa_kernarg_size 96
		.amdhsa_user_sgpr_count 2
		.amdhsa_user_sgpr_dispatch_ptr 0
		.amdhsa_user_sgpr_queue_ptr 0
		.amdhsa_user_sgpr_kernarg_segment_ptr 1
		.amdhsa_user_sgpr_dispatch_id 0
		.amdhsa_user_sgpr_kernarg_preload_length 0
		.amdhsa_user_sgpr_kernarg_preload_offset 0
		.amdhsa_user_sgpr_private_segment_size 0
		.amdhsa_wavefront_size32 1
		.amdhsa_uses_dynamic_stack 0
		.amdhsa_enable_private_segment 0
		.amdhsa_system_sgpr_workgroup_id_x 1
		.amdhsa_system_sgpr_workgroup_id_y 0
		.amdhsa_system_sgpr_workgroup_id_z 0
		.amdhsa_system_sgpr_workgroup_info 0
		.amdhsa_system_vgpr_workitem_id 0
		.amdhsa_next_free_vgpr 1
		.amdhsa_next_free_sgpr 1
		.amdhsa_named_barrier_count 0
		.amdhsa_reserve_vcc 0
		.amdhsa_float_round_mode_32 0
		.amdhsa_float_round_mode_16_64 0
		.amdhsa_float_denorm_mode_32 3
		.amdhsa_float_denorm_mode_16_64 3
		.amdhsa_fp16_overflow 0
		.amdhsa_memory_ordered 1
		.amdhsa_forward_progress 1
		.amdhsa_inst_pref_size 0
		.amdhsa_round_robin_scheduling 0
		.amdhsa_exception_fp_ieee_invalid_op 0
		.amdhsa_exception_fp_denorm_src 0
		.amdhsa_exception_fp_ieee_div_zero 0
		.amdhsa_exception_fp_ieee_overflow 0
		.amdhsa_exception_fp_ieee_underflow 0
		.amdhsa_exception_fp_ieee_inexact 0
		.amdhsa_exception_int_div_zero 0
	.end_amdhsa_kernel
	.section	.text._ZN7rocprim17ROCPRIM_400000_NS6detail17trampoline_kernelINS0_14default_configENS1_36segmented_radix_sort_config_selectorI12hip_bfloat16lEEZNS1_25segmented_radix_sort_implIS3_Lb0EPKS5_PS5_PKlPlN2at6native12_GLOBAL__N_18offset_tEEE10hipError_tPvRmT1_PNSt15iterator_traitsISL_E10value_typeET2_T3_PNSM_ISR_E10value_typeET4_jRbjT5_SX_jjP12ihipStream_tbEUlT_E_NS1_11comp_targetILNS1_3genE10ELNS1_11target_archE1200ELNS1_3gpuE4ELNS1_3repE0EEENS1_30default_config_static_selectorELNS0_4arch9wavefront6targetE0EEEvSL_,"axG",@progbits,_ZN7rocprim17ROCPRIM_400000_NS6detail17trampoline_kernelINS0_14default_configENS1_36segmented_radix_sort_config_selectorI12hip_bfloat16lEEZNS1_25segmented_radix_sort_implIS3_Lb0EPKS5_PS5_PKlPlN2at6native12_GLOBAL__N_18offset_tEEE10hipError_tPvRmT1_PNSt15iterator_traitsISL_E10value_typeET2_T3_PNSM_ISR_E10value_typeET4_jRbjT5_SX_jjP12ihipStream_tbEUlT_E_NS1_11comp_targetILNS1_3genE10ELNS1_11target_archE1200ELNS1_3gpuE4ELNS1_3repE0EEENS1_30default_config_static_selectorELNS0_4arch9wavefront6targetE0EEEvSL_,comdat
.Lfunc_end2046:
	.size	_ZN7rocprim17ROCPRIM_400000_NS6detail17trampoline_kernelINS0_14default_configENS1_36segmented_radix_sort_config_selectorI12hip_bfloat16lEEZNS1_25segmented_radix_sort_implIS3_Lb0EPKS5_PS5_PKlPlN2at6native12_GLOBAL__N_18offset_tEEE10hipError_tPvRmT1_PNSt15iterator_traitsISL_E10value_typeET2_T3_PNSM_ISR_E10value_typeET4_jRbjT5_SX_jjP12ihipStream_tbEUlT_E_NS1_11comp_targetILNS1_3genE10ELNS1_11target_archE1200ELNS1_3gpuE4ELNS1_3repE0EEENS1_30default_config_static_selectorELNS0_4arch9wavefront6targetE0EEEvSL_, .Lfunc_end2046-_ZN7rocprim17ROCPRIM_400000_NS6detail17trampoline_kernelINS0_14default_configENS1_36segmented_radix_sort_config_selectorI12hip_bfloat16lEEZNS1_25segmented_radix_sort_implIS3_Lb0EPKS5_PS5_PKlPlN2at6native12_GLOBAL__N_18offset_tEEE10hipError_tPvRmT1_PNSt15iterator_traitsISL_E10value_typeET2_T3_PNSM_ISR_E10value_typeET4_jRbjT5_SX_jjP12ihipStream_tbEUlT_E_NS1_11comp_targetILNS1_3genE10ELNS1_11target_archE1200ELNS1_3gpuE4ELNS1_3repE0EEENS1_30default_config_static_selectorELNS0_4arch9wavefront6targetE0EEEvSL_
                                        ; -- End function
	.set _ZN7rocprim17ROCPRIM_400000_NS6detail17trampoline_kernelINS0_14default_configENS1_36segmented_radix_sort_config_selectorI12hip_bfloat16lEEZNS1_25segmented_radix_sort_implIS3_Lb0EPKS5_PS5_PKlPlN2at6native12_GLOBAL__N_18offset_tEEE10hipError_tPvRmT1_PNSt15iterator_traitsISL_E10value_typeET2_T3_PNSM_ISR_E10value_typeET4_jRbjT5_SX_jjP12ihipStream_tbEUlT_E_NS1_11comp_targetILNS1_3genE10ELNS1_11target_archE1200ELNS1_3gpuE4ELNS1_3repE0EEENS1_30default_config_static_selectorELNS0_4arch9wavefront6targetE0EEEvSL_.num_vgpr, 0
	.set _ZN7rocprim17ROCPRIM_400000_NS6detail17trampoline_kernelINS0_14default_configENS1_36segmented_radix_sort_config_selectorI12hip_bfloat16lEEZNS1_25segmented_radix_sort_implIS3_Lb0EPKS5_PS5_PKlPlN2at6native12_GLOBAL__N_18offset_tEEE10hipError_tPvRmT1_PNSt15iterator_traitsISL_E10value_typeET2_T3_PNSM_ISR_E10value_typeET4_jRbjT5_SX_jjP12ihipStream_tbEUlT_E_NS1_11comp_targetILNS1_3genE10ELNS1_11target_archE1200ELNS1_3gpuE4ELNS1_3repE0EEENS1_30default_config_static_selectorELNS0_4arch9wavefront6targetE0EEEvSL_.num_agpr, 0
	.set _ZN7rocprim17ROCPRIM_400000_NS6detail17trampoline_kernelINS0_14default_configENS1_36segmented_radix_sort_config_selectorI12hip_bfloat16lEEZNS1_25segmented_radix_sort_implIS3_Lb0EPKS5_PS5_PKlPlN2at6native12_GLOBAL__N_18offset_tEEE10hipError_tPvRmT1_PNSt15iterator_traitsISL_E10value_typeET2_T3_PNSM_ISR_E10value_typeET4_jRbjT5_SX_jjP12ihipStream_tbEUlT_E_NS1_11comp_targetILNS1_3genE10ELNS1_11target_archE1200ELNS1_3gpuE4ELNS1_3repE0EEENS1_30default_config_static_selectorELNS0_4arch9wavefront6targetE0EEEvSL_.numbered_sgpr, 0
	.set _ZN7rocprim17ROCPRIM_400000_NS6detail17trampoline_kernelINS0_14default_configENS1_36segmented_radix_sort_config_selectorI12hip_bfloat16lEEZNS1_25segmented_radix_sort_implIS3_Lb0EPKS5_PS5_PKlPlN2at6native12_GLOBAL__N_18offset_tEEE10hipError_tPvRmT1_PNSt15iterator_traitsISL_E10value_typeET2_T3_PNSM_ISR_E10value_typeET4_jRbjT5_SX_jjP12ihipStream_tbEUlT_E_NS1_11comp_targetILNS1_3genE10ELNS1_11target_archE1200ELNS1_3gpuE4ELNS1_3repE0EEENS1_30default_config_static_selectorELNS0_4arch9wavefront6targetE0EEEvSL_.num_named_barrier, 0
	.set _ZN7rocprim17ROCPRIM_400000_NS6detail17trampoline_kernelINS0_14default_configENS1_36segmented_radix_sort_config_selectorI12hip_bfloat16lEEZNS1_25segmented_radix_sort_implIS3_Lb0EPKS5_PS5_PKlPlN2at6native12_GLOBAL__N_18offset_tEEE10hipError_tPvRmT1_PNSt15iterator_traitsISL_E10value_typeET2_T3_PNSM_ISR_E10value_typeET4_jRbjT5_SX_jjP12ihipStream_tbEUlT_E_NS1_11comp_targetILNS1_3genE10ELNS1_11target_archE1200ELNS1_3gpuE4ELNS1_3repE0EEENS1_30default_config_static_selectorELNS0_4arch9wavefront6targetE0EEEvSL_.private_seg_size, 0
	.set _ZN7rocprim17ROCPRIM_400000_NS6detail17trampoline_kernelINS0_14default_configENS1_36segmented_radix_sort_config_selectorI12hip_bfloat16lEEZNS1_25segmented_radix_sort_implIS3_Lb0EPKS5_PS5_PKlPlN2at6native12_GLOBAL__N_18offset_tEEE10hipError_tPvRmT1_PNSt15iterator_traitsISL_E10value_typeET2_T3_PNSM_ISR_E10value_typeET4_jRbjT5_SX_jjP12ihipStream_tbEUlT_E_NS1_11comp_targetILNS1_3genE10ELNS1_11target_archE1200ELNS1_3gpuE4ELNS1_3repE0EEENS1_30default_config_static_selectorELNS0_4arch9wavefront6targetE0EEEvSL_.uses_vcc, 0
	.set _ZN7rocprim17ROCPRIM_400000_NS6detail17trampoline_kernelINS0_14default_configENS1_36segmented_radix_sort_config_selectorI12hip_bfloat16lEEZNS1_25segmented_radix_sort_implIS3_Lb0EPKS5_PS5_PKlPlN2at6native12_GLOBAL__N_18offset_tEEE10hipError_tPvRmT1_PNSt15iterator_traitsISL_E10value_typeET2_T3_PNSM_ISR_E10value_typeET4_jRbjT5_SX_jjP12ihipStream_tbEUlT_E_NS1_11comp_targetILNS1_3genE10ELNS1_11target_archE1200ELNS1_3gpuE4ELNS1_3repE0EEENS1_30default_config_static_selectorELNS0_4arch9wavefront6targetE0EEEvSL_.uses_flat_scratch, 0
	.set _ZN7rocprim17ROCPRIM_400000_NS6detail17trampoline_kernelINS0_14default_configENS1_36segmented_radix_sort_config_selectorI12hip_bfloat16lEEZNS1_25segmented_radix_sort_implIS3_Lb0EPKS5_PS5_PKlPlN2at6native12_GLOBAL__N_18offset_tEEE10hipError_tPvRmT1_PNSt15iterator_traitsISL_E10value_typeET2_T3_PNSM_ISR_E10value_typeET4_jRbjT5_SX_jjP12ihipStream_tbEUlT_E_NS1_11comp_targetILNS1_3genE10ELNS1_11target_archE1200ELNS1_3gpuE4ELNS1_3repE0EEENS1_30default_config_static_selectorELNS0_4arch9wavefront6targetE0EEEvSL_.has_dyn_sized_stack, 0
	.set _ZN7rocprim17ROCPRIM_400000_NS6detail17trampoline_kernelINS0_14default_configENS1_36segmented_radix_sort_config_selectorI12hip_bfloat16lEEZNS1_25segmented_radix_sort_implIS3_Lb0EPKS5_PS5_PKlPlN2at6native12_GLOBAL__N_18offset_tEEE10hipError_tPvRmT1_PNSt15iterator_traitsISL_E10value_typeET2_T3_PNSM_ISR_E10value_typeET4_jRbjT5_SX_jjP12ihipStream_tbEUlT_E_NS1_11comp_targetILNS1_3genE10ELNS1_11target_archE1200ELNS1_3gpuE4ELNS1_3repE0EEENS1_30default_config_static_selectorELNS0_4arch9wavefront6targetE0EEEvSL_.has_recursion, 0
	.set _ZN7rocprim17ROCPRIM_400000_NS6detail17trampoline_kernelINS0_14default_configENS1_36segmented_radix_sort_config_selectorI12hip_bfloat16lEEZNS1_25segmented_radix_sort_implIS3_Lb0EPKS5_PS5_PKlPlN2at6native12_GLOBAL__N_18offset_tEEE10hipError_tPvRmT1_PNSt15iterator_traitsISL_E10value_typeET2_T3_PNSM_ISR_E10value_typeET4_jRbjT5_SX_jjP12ihipStream_tbEUlT_E_NS1_11comp_targetILNS1_3genE10ELNS1_11target_archE1200ELNS1_3gpuE4ELNS1_3repE0EEENS1_30default_config_static_selectorELNS0_4arch9wavefront6targetE0EEEvSL_.has_indirect_call, 0
	.section	.AMDGPU.csdata,"",@progbits
; Kernel info:
; codeLenInByte = 0
; TotalNumSgprs: 0
; NumVgprs: 0
; ScratchSize: 0
; MemoryBound: 0
; FloatMode: 240
; IeeeMode: 1
; LDSByteSize: 0 bytes/workgroup (compile time only)
; SGPRBlocks: 0
; VGPRBlocks: 0
; NumSGPRsForWavesPerEU: 1
; NumVGPRsForWavesPerEU: 1
; NamedBarCnt: 0
; Occupancy: 16
; WaveLimiterHint : 0
; COMPUTE_PGM_RSRC2:SCRATCH_EN: 0
; COMPUTE_PGM_RSRC2:USER_SGPR: 2
; COMPUTE_PGM_RSRC2:TRAP_HANDLER: 0
; COMPUTE_PGM_RSRC2:TGID_X_EN: 1
; COMPUTE_PGM_RSRC2:TGID_Y_EN: 0
; COMPUTE_PGM_RSRC2:TGID_Z_EN: 0
; COMPUTE_PGM_RSRC2:TIDIG_COMP_CNT: 0
	.section	.text._ZN7rocprim17ROCPRIM_400000_NS6detail17trampoline_kernelINS0_14default_configENS1_36segmented_radix_sort_config_selectorI12hip_bfloat16lEEZNS1_25segmented_radix_sort_implIS3_Lb0EPKS5_PS5_PKlPlN2at6native12_GLOBAL__N_18offset_tEEE10hipError_tPvRmT1_PNSt15iterator_traitsISL_E10value_typeET2_T3_PNSM_ISR_E10value_typeET4_jRbjT5_SX_jjP12ihipStream_tbEUlT_E_NS1_11comp_targetILNS1_3genE9ELNS1_11target_archE1100ELNS1_3gpuE3ELNS1_3repE0EEENS1_30default_config_static_selectorELNS0_4arch9wavefront6targetE0EEEvSL_,"axG",@progbits,_ZN7rocprim17ROCPRIM_400000_NS6detail17trampoline_kernelINS0_14default_configENS1_36segmented_radix_sort_config_selectorI12hip_bfloat16lEEZNS1_25segmented_radix_sort_implIS3_Lb0EPKS5_PS5_PKlPlN2at6native12_GLOBAL__N_18offset_tEEE10hipError_tPvRmT1_PNSt15iterator_traitsISL_E10value_typeET2_T3_PNSM_ISR_E10value_typeET4_jRbjT5_SX_jjP12ihipStream_tbEUlT_E_NS1_11comp_targetILNS1_3genE9ELNS1_11target_archE1100ELNS1_3gpuE3ELNS1_3repE0EEENS1_30default_config_static_selectorELNS0_4arch9wavefront6targetE0EEEvSL_,comdat
	.globl	_ZN7rocprim17ROCPRIM_400000_NS6detail17trampoline_kernelINS0_14default_configENS1_36segmented_radix_sort_config_selectorI12hip_bfloat16lEEZNS1_25segmented_radix_sort_implIS3_Lb0EPKS5_PS5_PKlPlN2at6native12_GLOBAL__N_18offset_tEEE10hipError_tPvRmT1_PNSt15iterator_traitsISL_E10value_typeET2_T3_PNSM_ISR_E10value_typeET4_jRbjT5_SX_jjP12ihipStream_tbEUlT_E_NS1_11comp_targetILNS1_3genE9ELNS1_11target_archE1100ELNS1_3gpuE3ELNS1_3repE0EEENS1_30default_config_static_selectorELNS0_4arch9wavefront6targetE0EEEvSL_ ; -- Begin function _ZN7rocprim17ROCPRIM_400000_NS6detail17trampoline_kernelINS0_14default_configENS1_36segmented_radix_sort_config_selectorI12hip_bfloat16lEEZNS1_25segmented_radix_sort_implIS3_Lb0EPKS5_PS5_PKlPlN2at6native12_GLOBAL__N_18offset_tEEE10hipError_tPvRmT1_PNSt15iterator_traitsISL_E10value_typeET2_T3_PNSM_ISR_E10value_typeET4_jRbjT5_SX_jjP12ihipStream_tbEUlT_E_NS1_11comp_targetILNS1_3genE9ELNS1_11target_archE1100ELNS1_3gpuE3ELNS1_3repE0EEENS1_30default_config_static_selectorELNS0_4arch9wavefront6targetE0EEEvSL_
	.p2align	8
	.type	_ZN7rocprim17ROCPRIM_400000_NS6detail17trampoline_kernelINS0_14default_configENS1_36segmented_radix_sort_config_selectorI12hip_bfloat16lEEZNS1_25segmented_radix_sort_implIS3_Lb0EPKS5_PS5_PKlPlN2at6native12_GLOBAL__N_18offset_tEEE10hipError_tPvRmT1_PNSt15iterator_traitsISL_E10value_typeET2_T3_PNSM_ISR_E10value_typeET4_jRbjT5_SX_jjP12ihipStream_tbEUlT_E_NS1_11comp_targetILNS1_3genE9ELNS1_11target_archE1100ELNS1_3gpuE3ELNS1_3repE0EEENS1_30default_config_static_selectorELNS0_4arch9wavefront6targetE0EEEvSL_,@function
_ZN7rocprim17ROCPRIM_400000_NS6detail17trampoline_kernelINS0_14default_configENS1_36segmented_radix_sort_config_selectorI12hip_bfloat16lEEZNS1_25segmented_radix_sort_implIS3_Lb0EPKS5_PS5_PKlPlN2at6native12_GLOBAL__N_18offset_tEEE10hipError_tPvRmT1_PNSt15iterator_traitsISL_E10value_typeET2_T3_PNSM_ISR_E10value_typeET4_jRbjT5_SX_jjP12ihipStream_tbEUlT_E_NS1_11comp_targetILNS1_3genE9ELNS1_11target_archE1100ELNS1_3gpuE3ELNS1_3repE0EEENS1_30default_config_static_selectorELNS0_4arch9wavefront6targetE0EEEvSL_: ; @_ZN7rocprim17ROCPRIM_400000_NS6detail17trampoline_kernelINS0_14default_configENS1_36segmented_radix_sort_config_selectorI12hip_bfloat16lEEZNS1_25segmented_radix_sort_implIS3_Lb0EPKS5_PS5_PKlPlN2at6native12_GLOBAL__N_18offset_tEEE10hipError_tPvRmT1_PNSt15iterator_traitsISL_E10value_typeET2_T3_PNSM_ISR_E10value_typeET4_jRbjT5_SX_jjP12ihipStream_tbEUlT_E_NS1_11comp_targetILNS1_3genE9ELNS1_11target_archE1100ELNS1_3gpuE3ELNS1_3repE0EEENS1_30default_config_static_selectorELNS0_4arch9wavefront6targetE0EEEvSL_
; %bb.0:
	.section	.rodata,"a",@progbits
	.p2align	6, 0x0
	.amdhsa_kernel _ZN7rocprim17ROCPRIM_400000_NS6detail17trampoline_kernelINS0_14default_configENS1_36segmented_radix_sort_config_selectorI12hip_bfloat16lEEZNS1_25segmented_radix_sort_implIS3_Lb0EPKS5_PS5_PKlPlN2at6native12_GLOBAL__N_18offset_tEEE10hipError_tPvRmT1_PNSt15iterator_traitsISL_E10value_typeET2_T3_PNSM_ISR_E10value_typeET4_jRbjT5_SX_jjP12ihipStream_tbEUlT_E_NS1_11comp_targetILNS1_3genE9ELNS1_11target_archE1100ELNS1_3gpuE3ELNS1_3repE0EEENS1_30default_config_static_selectorELNS0_4arch9wavefront6targetE0EEEvSL_
		.amdhsa_group_segment_fixed_size 0
		.amdhsa_private_segment_fixed_size 0
		.amdhsa_kernarg_size 96
		.amdhsa_user_sgpr_count 2
		.amdhsa_user_sgpr_dispatch_ptr 0
		.amdhsa_user_sgpr_queue_ptr 0
		.amdhsa_user_sgpr_kernarg_segment_ptr 1
		.amdhsa_user_sgpr_dispatch_id 0
		.amdhsa_user_sgpr_kernarg_preload_length 0
		.amdhsa_user_sgpr_kernarg_preload_offset 0
		.amdhsa_user_sgpr_private_segment_size 0
		.amdhsa_wavefront_size32 1
		.amdhsa_uses_dynamic_stack 0
		.amdhsa_enable_private_segment 0
		.amdhsa_system_sgpr_workgroup_id_x 1
		.amdhsa_system_sgpr_workgroup_id_y 0
		.amdhsa_system_sgpr_workgroup_id_z 0
		.amdhsa_system_sgpr_workgroup_info 0
		.amdhsa_system_vgpr_workitem_id 0
		.amdhsa_next_free_vgpr 1
		.amdhsa_next_free_sgpr 1
		.amdhsa_named_barrier_count 0
		.amdhsa_reserve_vcc 0
		.amdhsa_float_round_mode_32 0
		.amdhsa_float_round_mode_16_64 0
		.amdhsa_float_denorm_mode_32 3
		.amdhsa_float_denorm_mode_16_64 3
		.amdhsa_fp16_overflow 0
		.amdhsa_memory_ordered 1
		.amdhsa_forward_progress 1
		.amdhsa_inst_pref_size 0
		.amdhsa_round_robin_scheduling 0
		.amdhsa_exception_fp_ieee_invalid_op 0
		.amdhsa_exception_fp_denorm_src 0
		.amdhsa_exception_fp_ieee_div_zero 0
		.amdhsa_exception_fp_ieee_overflow 0
		.amdhsa_exception_fp_ieee_underflow 0
		.amdhsa_exception_fp_ieee_inexact 0
		.amdhsa_exception_int_div_zero 0
	.end_amdhsa_kernel
	.section	.text._ZN7rocprim17ROCPRIM_400000_NS6detail17trampoline_kernelINS0_14default_configENS1_36segmented_radix_sort_config_selectorI12hip_bfloat16lEEZNS1_25segmented_radix_sort_implIS3_Lb0EPKS5_PS5_PKlPlN2at6native12_GLOBAL__N_18offset_tEEE10hipError_tPvRmT1_PNSt15iterator_traitsISL_E10value_typeET2_T3_PNSM_ISR_E10value_typeET4_jRbjT5_SX_jjP12ihipStream_tbEUlT_E_NS1_11comp_targetILNS1_3genE9ELNS1_11target_archE1100ELNS1_3gpuE3ELNS1_3repE0EEENS1_30default_config_static_selectorELNS0_4arch9wavefront6targetE0EEEvSL_,"axG",@progbits,_ZN7rocprim17ROCPRIM_400000_NS6detail17trampoline_kernelINS0_14default_configENS1_36segmented_radix_sort_config_selectorI12hip_bfloat16lEEZNS1_25segmented_radix_sort_implIS3_Lb0EPKS5_PS5_PKlPlN2at6native12_GLOBAL__N_18offset_tEEE10hipError_tPvRmT1_PNSt15iterator_traitsISL_E10value_typeET2_T3_PNSM_ISR_E10value_typeET4_jRbjT5_SX_jjP12ihipStream_tbEUlT_E_NS1_11comp_targetILNS1_3genE9ELNS1_11target_archE1100ELNS1_3gpuE3ELNS1_3repE0EEENS1_30default_config_static_selectorELNS0_4arch9wavefront6targetE0EEEvSL_,comdat
.Lfunc_end2047:
	.size	_ZN7rocprim17ROCPRIM_400000_NS6detail17trampoline_kernelINS0_14default_configENS1_36segmented_radix_sort_config_selectorI12hip_bfloat16lEEZNS1_25segmented_radix_sort_implIS3_Lb0EPKS5_PS5_PKlPlN2at6native12_GLOBAL__N_18offset_tEEE10hipError_tPvRmT1_PNSt15iterator_traitsISL_E10value_typeET2_T3_PNSM_ISR_E10value_typeET4_jRbjT5_SX_jjP12ihipStream_tbEUlT_E_NS1_11comp_targetILNS1_3genE9ELNS1_11target_archE1100ELNS1_3gpuE3ELNS1_3repE0EEENS1_30default_config_static_selectorELNS0_4arch9wavefront6targetE0EEEvSL_, .Lfunc_end2047-_ZN7rocprim17ROCPRIM_400000_NS6detail17trampoline_kernelINS0_14default_configENS1_36segmented_radix_sort_config_selectorI12hip_bfloat16lEEZNS1_25segmented_radix_sort_implIS3_Lb0EPKS5_PS5_PKlPlN2at6native12_GLOBAL__N_18offset_tEEE10hipError_tPvRmT1_PNSt15iterator_traitsISL_E10value_typeET2_T3_PNSM_ISR_E10value_typeET4_jRbjT5_SX_jjP12ihipStream_tbEUlT_E_NS1_11comp_targetILNS1_3genE9ELNS1_11target_archE1100ELNS1_3gpuE3ELNS1_3repE0EEENS1_30default_config_static_selectorELNS0_4arch9wavefront6targetE0EEEvSL_
                                        ; -- End function
	.set _ZN7rocprim17ROCPRIM_400000_NS6detail17trampoline_kernelINS0_14default_configENS1_36segmented_radix_sort_config_selectorI12hip_bfloat16lEEZNS1_25segmented_radix_sort_implIS3_Lb0EPKS5_PS5_PKlPlN2at6native12_GLOBAL__N_18offset_tEEE10hipError_tPvRmT1_PNSt15iterator_traitsISL_E10value_typeET2_T3_PNSM_ISR_E10value_typeET4_jRbjT5_SX_jjP12ihipStream_tbEUlT_E_NS1_11comp_targetILNS1_3genE9ELNS1_11target_archE1100ELNS1_3gpuE3ELNS1_3repE0EEENS1_30default_config_static_selectorELNS0_4arch9wavefront6targetE0EEEvSL_.num_vgpr, 0
	.set _ZN7rocprim17ROCPRIM_400000_NS6detail17trampoline_kernelINS0_14default_configENS1_36segmented_radix_sort_config_selectorI12hip_bfloat16lEEZNS1_25segmented_radix_sort_implIS3_Lb0EPKS5_PS5_PKlPlN2at6native12_GLOBAL__N_18offset_tEEE10hipError_tPvRmT1_PNSt15iterator_traitsISL_E10value_typeET2_T3_PNSM_ISR_E10value_typeET4_jRbjT5_SX_jjP12ihipStream_tbEUlT_E_NS1_11comp_targetILNS1_3genE9ELNS1_11target_archE1100ELNS1_3gpuE3ELNS1_3repE0EEENS1_30default_config_static_selectorELNS0_4arch9wavefront6targetE0EEEvSL_.num_agpr, 0
	.set _ZN7rocprim17ROCPRIM_400000_NS6detail17trampoline_kernelINS0_14default_configENS1_36segmented_radix_sort_config_selectorI12hip_bfloat16lEEZNS1_25segmented_radix_sort_implIS3_Lb0EPKS5_PS5_PKlPlN2at6native12_GLOBAL__N_18offset_tEEE10hipError_tPvRmT1_PNSt15iterator_traitsISL_E10value_typeET2_T3_PNSM_ISR_E10value_typeET4_jRbjT5_SX_jjP12ihipStream_tbEUlT_E_NS1_11comp_targetILNS1_3genE9ELNS1_11target_archE1100ELNS1_3gpuE3ELNS1_3repE0EEENS1_30default_config_static_selectorELNS0_4arch9wavefront6targetE0EEEvSL_.numbered_sgpr, 0
	.set _ZN7rocprim17ROCPRIM_400000_NS6detail17trampoline_kernelINS0_14default_configENS1_36segmented_radix_sort_config_selectorI12hip_bfloat16lEEZNS1_25segmented_radix_sort_implIS3_Lb0EPKS5_PS5_PKlPlN2at6native12_GLOBAL__N_18offset_tEEE10hipError_tPvRmT1_PNSt15iterator_traitsISL_E10value_typeET2_T3_PNSM_ISR_E10value_typeET4_jRbjT5_SX_jjP12ihipStream_tbEUlT_E_NS1_11comp_targetILNS1_3genE9ELNS1_11target_archE1100ELNS1_3gpuE3ELNS1_3repE0EEENS1_30default_config_static_selectorELNS0_4arch9wavefront6targetE0EEEvSL_.num_named_barrier, 0
	.set _ZN7rocprim17ROCPRIM_400000_NS6detail17trampoline_kernelINS0_14default_configENS1_36segmented_radix_sort_config_selectorI12hip_bfloat16lEEZNS1_25segmented_radix_sort_implIS3_Lb0EPKS5_PS5_PKlPlN2at6native12_GLOBAL__N_18offset_tEEE10hipError_tPvRmT1_PNSt15iterator_traitsISL_E10value_typeET2_T3_PNSM_ISR_E10value_typeET4_jRbjT5_SX_jjP12ihipStream_tbEUlT_E_NS1_11comp_targetILNS1_3genE9ELNS1_11target_archE1100ELNS1_3gpuE3ELNS1_3repE0EEENS1_30default_config_static_selectorELNS0_4arch9wavefront6targetE0EEEvSL_.private_seg_size, 0
	.set _ZN7rocprim17ROCPRIM_400000_NS6detail17trampoline_kernelINS0_14default_configENS1_36segmented_radix_sort_config_selectorI12hip_bfloat16lEEZNS1_25segmented_radix_sort_implIS3_Lb0EPKS5_PS5_PKlPlN2at6native12_GLOBAL__N_18offset_tEEE10hipError_tPvRmT1_PNSt15iterator_traitsISL_E10value_typeET2_T3_PNSM_ISR_E10value_typeET4_jRbjT5_SX_jjP12ihipStream_tbEUlT_E_NS1_11comp_targetILNS1_3genE9ELNS1_11target_archE1100ELNS1_3gpuE3ELNS1_3repE0EEENS1_30default_config_static_selectorELNS0_4arch9wavefront6targetE0EEEvSL_.uses_vcc, 0
	.set _ZN7rocprim17ROCPRIM_400000_NS6detail17trampoline_kernelINS0_14default_configENS1_36segmented_radix_sort_config_selectorI12hip_bfloat16lEEZNS1_25segmented_radix_sort_implIS3_Lb0EPKS5_PS5_PKlPlN2at6native12_GLOBAL__N_18offset_tEEE10hipError_tPvRmT1_PNSt15iterator_traitsISL_E10value_typeET2_T3_PNSM_ISR_E10value_typeET4_jRbjT5_SX_jjP12ihipStream_tbEUlT_E_NS1_11comp_targetILNS1_3genE9ELNS1_11target_archE1100ELNS1_3gpuE3ELNS1_3repE0EEENS1_30default_config_static_selectorELNS0_4arch9wavefront6targetE0EEEvSL_.uses_flat_scratch, 0
	.set _ZN7rocprim17ROCPRIM_400000_NS6detail17trampoline_kernelINS0_14default_configENS1_36segmented_radix_sort_config_selectorI12hip_bfloat16lEEZNS1_25segmented_radix_sort_implIS3_Lb0EPKS5_PS5_PKlPlN2at6native12_GLOBAL__N_18offset_tEEE10hipError_tPvRmT1_PNSt15iterator_traitsISL_E10value_typeET2_T3_PNSM_ISR_E10value_typeET4_jRbjT5_SX_jjP12ihipStream_tbEUlT_E_NS1_11comp_targetILNS1_3genE9ELNS1_11target_archE1100ELNS1_3gpuE3ELNS1_3repE0EEENS1_30default_config_static_selectorELNS0_4arch9wavefront6targetE0EEEvSL_.has_dyn_sized_stack, 0
	.set _ZN7rocprim17ROCPRIM_400000_NS6detail17trampoline_kernelINS0_14default_configENS1_36segmented_radix_sort_config_selectorI12hip_bfloat16lEEZNS1_25segmented_radix_sort_implIS3_Lb0EPKS5_PS5_PKlPlN2at6native12_GLOBAL__N_18offset_tEEE10hipError_tPvRmT1_PNSt15iterator_traitsISL_E10value_typeET2_T3_PNSM_ISR_E10value_typeET4_jRbjT5_SX_jjP12ihipStream_tbEUlT_E_NS1_11comp_targetILNS1_3genE9ELNS1_11target_archE1100ELNS1_3gpuE3ELNS1_3repE0EEENS1_30default_config_static_selectorELNS0_4arch9wavefront6targetE0EEEvSL_.has_recursion, 0
	.set _ZN7rocprim17ROCPRIM_400000_NS6detail17trampoline_kernelINS0_14default_configENS1_36segmented_radix_sort_config_selectorI12hip_bfloat16lEEZNS1_25segmented_radix_sort_implIS3_Lb0EPKS5_PS5_PKlPlN2at6native12_GLOBAL__N_18offset_tEEE10hipError_tPvRmT1_PNSt15iterator_traitsISL_E10value_typeET2_T3_PNSM_ISR_E10value_typeET4_jRbjT5_SX_jjP12ihipStream_tbEUlT_E_NS1_11comp_targetILNS1_3genE9ELNS1_11target_archE1100ELNS1_3gpuE3ELNS1_3repE0EEENS1_30default_config_static_selectorELNS0_4arch9wavefront6targetE0EEEvSL_.has_indirect_call, 0
	.section	.AMDGPU.csdata,"",@progbits
; Kernel info:
; codeLenInByte = 0
; TotalNumSgprs: 0
; NumVgprs: 0
; ScratchSize: 0
; MemoryBound: 0
; FloatMode: 240
; IeeeMode: 1
; LDSByteSize: 0 bytes/workgroup (compile time only)
; SGPRBlocks: 0
; VGPRBlocks: 0
; NumSGPRsForWavesPerEU: 1
; NumVGPRsForWavesPerEU: 1
; NamedBarCnt: 0
; Occupancy: 16
; WaveLimiterHint : 0
; COMPUTE_PGM_RSRC2:SCRATCH_EN: 0
; COMPUTE_PGM_RSRC2:USER_SGPR: 2
; COMPUTE_PGM_RSRC2:TRAP_HANDLER: 0
; COMPUTE_PGM_RSRC2:TGID_X_EN: 1
; COMPUTE_PGM_RSRC2:TGID_Y_EN: 0
; COMPUTE_PGM_RSRC2:TGID_Z_EN: 0
; COMPUTE_PGM_RSRC2:TIDIG_COMP_CNT: 0
	.section	.text._ZN7rocprim17ROCPRIM_400000_NS6detail17trampoline_kernelINS0_14default_configENS1_36segmented_radix_sort_config_selectorI12hip_bfloat16lEEZNS1_25segmented_radix_sort_implIS3_Lb0EPKS5_PS5_PKlPlN2at6native12_GLOBAL__N_18offset_tEEE10hipError_tPvRmT1_PNSt15iterator_traitsISL_E10value_typeET2_T3_PNSM_ISR_E10value_typeET4_jRbjT5_SX_jjP12ihipStream_tbEUlT_E_NS1_11comp_targetILNS1_3genE8ELNS1_11target_archE1030ELNS1_3gpuE2ELNS1_3repE0EEENS1_30default_config_static_selectorELNS0_4arch9wavefront6targetE0EEEvSL_,"axG",@progbits,_ZN7rocprim17ROCPRIM_400000_NS6detail17trampoline_kernelINS0_14default_configENS1_36segmented_radix_sort_config_selectorI12hip_bfloat16lEEZNS1_25segmented_radix_sort_implIS3_Lb0EPKS5_PS5_PKlPlN2at6native12_GLOBAL__N_18offset_tEEE10hipError_tPvRmT1_PNSt15iterator_traitsISL_E10value_typeET2_T3_PNSM_ISR_E10value_typeET4_jRbjT5_SX_jjP12ihipStream_tbEUlT_E_NS1_11comp_targetILNS1_3genE8ELNS1_11target_archE1030ELNS1_3gpuE2ELNS1_3repE0EEENS1_30default_config_static_selectorELNS0_4arch9wavefront6targetE0EEEvSL_,comdat
	.globl	_ZN7rocprim17ROCPRIM_400000_NS6detail17trampoline_kernelINS0_14default_configENS1_36segmented_radix_sort_config_selectorI12hip_bfloat16lEEZNS1_25segmented_radix_sort_implIS3_Lb0EPKS5_PS5_PKlPlN2at6native12_GLOBAL__N_18offset_tEEE10hipError_tPvRmT1_PNSt15iterator_traitsISL_E10value_typeET2_T3_PNSM_ISR_E10value_typeET4_jRbjT5_SX_jjP12ihipStream_tbEUlT_E_NS1_11comp_targetILNS1_3genE8ELNS1_11target_archE1030ELNS1_3gpuE2ELNS1_3repE0EEENS1_30default_config_static_selectorELNS0_4arch9wavefront6targetE0EEEvSL_ ; -- Begin function _ZN7rocprim17ROCPRIM_400000_NS6detail17trampoline_kernelINS0_14default_configENS1_36segmented_radix_sort_config_selectorI12hip_bfloat16lEEZNS1_25segmented_radix_sort_implIS3_Lb0EPKS5_PS5_PKlPlN2at6native12_GLOBAL__N_18offset_tEEE10hipError_tPvRmT1_PNSt15iterator_traitsISL_E10value_typeET2_T3_PNSM_ISR_E10value_typeET4_jRbjT5_SX_jjP12ihipStream_tbEUlT_E_NS1_11comp_targetILNS1_3genE8ELNS1_11target_archE1030ELNS1_3gpuE2ELNS1_3repE0EEENS1_30default_config_static_selectorELNS0_4arch9wavefront6targetE0EEEvSL_
	.p2align	8
	.type	_ZN7rocprim17ROCPRIM_400000_NS6detail17trampoline_kernelINS0_14default_configENS1_36segmented_radix_sort_config_selectorI12hip_bfloat16lEEZNS1_25segmented_radix_sort_implIS3_Lb0EPKS5_PS5_PKlPlN2at6native12_GLOBAL__N_18offset_tEEE10hipError_tPvRmT1_PNSt15iterator_traitsISL_E10value_typeET2_T3_PNSM_ISR_E10value_typeET4_jRbjT5_SX_jjP12ihipStream_tbEUlT_E_NS1_11comp_targetILNS1_3genE8ELNS1_11target_archE1030ELNS1_3gpuE2ELNS1_3repE0EEENS1_30default_config_static_selectorELNS0_4arch9wavefront6targetE0EEEvSL_,@function
_ZN7rocprim17ROCPRIM_400000_NS6detail17trampoline_kernelINS0_14default_configENS1_36segmented_radix_sort_config_selectorI12hip_bfloat16lEEZNS1_25segmented_radix_sort_implIS3_Lb0EPKS5_PS5_PKlPlN2at6native12_GLOBAL__N_18offset_tEEE10hipError_tPvRmT1_PNSt15iterator_traitsISL_E10value_typeET2_T3_PNSM_ISR_E10value_typeET4_jRbjT5_SX_jjP12ihipStream_tbEUlT_E_NS1_11comp_targetILNS1_3genE8ELNS1_11target_archE1030ELNS1_3gpuE2ELNS1_3repE0EEENS1_30default_config_static_selectorELNS0_4arch9wavefront6targetE0EEEvSL_: ; @_ZN7rocprim17ROCPRIM_400000_NS6detail17trampoline_kernelINS0_14default_configENS1_36segmented_radix_sort_config_selectorI12hip_bfloat16lEEZNS1_25segmented_radix_sort_implIS3_Lb0EPKS5_PS5_PKlPlN2at6native12_GLOBAL__N_18offset_tEEE10hipError_tPvRmT1_PNSt15iterator_traitsISL_E10value_typeET2_T3_PNSM_ISR_E10value_typeET4_jRbjT5_SX_jjP12ihipStream_tbEUlT_E_NS1_11comp_targetILNS1_3genE8ELNS1_11target_archE1030ELNS1_3gpuE2ELNS1_3repE0EEENS1_30default_config_static_selectorELNS0_4arch9wavefront6targetE0EEEvSL_
; %bb.0:
	.section	.rodata,"a",@progbits
	.p2align	6, 0x0
	.amdhsa_kernel _ZN7rocprim17ROCPRIM_400000_NS6detail17trampoline_kernelINS0_14default_configENS1_36segmented_radix_sort_config_selectorI12hip_bfloat16lEEZNS1_25segmented_radix_sort_implIS3_Lb0EPKS5_PS5_PKlPlN2at6native12_GLOBAL__N_18offset_tEEE10hipError_tPvRmT1_PNSt15iterator_traitsISL_E10value_typeET2_T3_PNSM_ISR_E10value_typeET4_jRbjT5_SX_jjP12ihipStream_tbEUlT_E_NS1_11comp_targetILNS1_3genE8ELNS1_11target_archE1030ELNS1_3gpuE2ELNS1_3repE0EEENS1_30default_config_static_selectorELNS0_4arch9wavefront6targetE0EEEvSL_
		.amdhsa_group_segment_fixed_size 0
		.amdhsa_private_segment_fixed_size 0
		.amdhsa_kernarg_size 96
		.amdhsa_user_sgpr_count 2
		.amdhsa_user_sgpr_dispatch_ptr 0
		.amdhsa_user_sgpr_queue_ptr 0
		.amdhsa_user_sgpr_kernarg_segment_ptr 1
		.amdhsa_user_sgpr_dispatch_id 0
		.amdhsa_user_sgpr_kernarg_preload_length 0
		.amdhsa_user_sgpr_kernarg_preload_offset 0
		.amdhsa_user_sgpr_private_segment_size 0
		.amdhsa_wavefront_size32 1
		.amdhsa_uses_dynamic_stack 0
		.amdhsa_enable_private_segment 0
		.amdhsa_system_sgpr_workgroup_id_x 1
		.amdhsa_system_sgpr_workgroup_id_y 0
		.amdhsa_system_sgpr_workgroup_id_z 0
		.amdhsa_system_sgpr_workgroup_info 0
		.amdhsa_system_vgpr_workitem_id 0
		.amdhsa_next_free_vgpr 1
		.amdhsa_next_free_sgpr 1
		.amdhsa_named_barrier_count 0
		.amdhsa_reserve_vcc 0
		.amdhsa_float_round_mode_32 0
		.amdhsa_float_round_mode_16_64 0
		.amdhsa_float_denorm_mode_32 3
		.amdhsa_float_denorm_mode_16_64 3
		.amdhsa_fp16_overflow 0
		.amdhsa_memory_ordered 1
		.amdhsa_forward_progress 1
		.amdhsa_inst_pref_size 0
		.amdhsa_round_robin_scheduling 0
		.amdhsa_exception_fp_ieee_invalid_op 0
		.amdhsa_exception_fp_denorm_src 0
		.amdhsa_exception_fp_ieee_div_zero 0
		.amdhsa_exception_fp_ieee_overflow 0
		.amdhsa_exception_fp_ieee_underflow 0
		.amdhsa_exception_fp_ieee_inexact 0
		.amdhsa_exception_int_div_zero 0
	.end_amdhsa_kernel
	.section	.text._ZN7rocprim17ROCPRIM_400000_NS6detail17trampoline_kernelINS0_14default_configENS1_36segmented_radix_sort_config_selectorI12hip_bfloat16lEEZNS1_25segmented_radix_sort_implIS3_Lb0EPKS5_PS5_PKlPlN2at6native12_GLOBAL__N_18offset_tEEE10hipError_tPvRmT1_PNSt15iterator_traitsISL_E10value_typeET2_T3_PNSM_ISR_E10value_typeET4_jRbjT5_SX_jjP12ihipStream_tbEUlT_E_NS1_11comp_targetILNS1_3genE8ELNS1_11target_archE1030ELNS1_3gpuE2ELNS1_3repE0EEENS1_30default_config_static_selectorELNS0_4arch9wavefront6targetE0EEEvSL_,"axG",@progbits,_ZN7rocprim17ROCPRIM_400000_NS6detail17trampoline_kernelINS0_14default_configENS1_36segmented_radix_sort_config_selectorI12hip_bfloat16lEEZNS1_25segmented_radix_sort_implIS3_Lb0EPKS5_PS5_PKlPlN2at6native12_GLOBAL__N_18offset_tEEE10hipError_tPvRmT1_PNSt15iterator_traitsISL_E10value_typeET2_T3_PNSM_ISR_E10value_typeET4_jRbjT5_SX_jjP12ihipStream_tbEUlT_E_NS1_11comp_targetILNS1_3genE8ELNS1_11target_archE1030ELNS1_3gpuE2ELNS1_3repE0EEENS1_30default_config_static_selectorELNS0_4arch9wavefront6targetE0EEEvSL_,comdat
.Lfunc_end2048:
	.size	_ZN7rocprim17ROCPRIM_400000_NS6detail17trampoline_kernelINS0_14default_configENS1_36segmented_radix_sort_config_selectorI12hip_bfloat16lEEZNS1_25segmented_radix_sort_implIS3_Lb0EPKS5_PS5_PKlPlN2at6native12_GLOBAL__N_18offset_tEEE10hipError_tPvRmT1_PNSt15iterator_traitsISL_E10value_typeET2_T3_PNSM_ISR_E10value_typeET4_jRbjT5_SX_jjP12ihipStream_tbEUlT_E_NS1_11comp_targetILNS1_3genE8ELNS1_11target_archE1030ELNS1_3gpuE2ELNS1_3repE0EEENS1_30default_config_static_selectorELNS0_4arch9wavefront6targetE0EEEvSL_, .Lfunc_end2048-_ZN7rocprim17ROCPRIM_400000_NS6detail17trampoline_kernelINS0_14default_configENS1_36segmented_radix_sort_config_selectorI12hip_bfloat16lEEZNS1_25segmented_radix_sort_implIS3_Lb0EPKS5_PS5_PKlPlN2at6native12_GLOBAL__N_18offset_tEEE10hipError_tPvRmT1_PNSt15iterator_traitsISL_E10value_typeET2_T3_PNSM_ISR_E10value_typeET4_jRbjT5_SX_jjP12ihipStream_tbEUlT_E_NS1_11comp_targetILNS1_3genE8ELNS1_11target_archE1030ELNS1_3gpuE2ELNS1_3repE0EEENS1_30default_config_static_selectorELNS0_4arch9wavefront6targetE0EEEvSL_
                                        ; -- End function
	.set _ZN7rocprim17ROCPRIM_400000_NS6detail17trampoline_kernelINS0_14default_configENS1_36segmented_radix_sort_config_selectorI12hip_bfloat16lEEZNS1_25segmented_radix_sort_implIS3_Lb0EPKS5_PS5_PKlPlN2at6native12_GLOBAL__N_18offset_tEEE10hipError_tPvRmT1_PNSt15iterator_traitsISL_E10value_typeET2_T3_PNSM_ISR_E10value_typeET4_jRbjT5_SX_jjP12ihipStream_tbEUlT_E_NS1_11comp_targetILNS1_3genE8ELNS1_11target_archE1030ELNS1_3gpuE2ELNS1_3repE0EEENS1_30default_config_static_selectorELNS0_4arch9wavefront6targetE0EEEvSL_.num_vgpr, 0
	.set _ZN7rocprim17ROCPRIM_400000_NS6detail17trampoline_kernelINS0_14default_configENS1_36segmented_radix_sort_config_selectorI12hip_bfloat16lEEZNS1_25segmented_radix_sort_implIS3_Lb0EPKS5_PS5_PKlPlN2at6native12_GLOBAL__N_18offset_tEEE10hipError_tPvRmT1_PNSt15iterator_traitsISL_E10value_typeET2_T3_PNSM_ISR_E10value_typeET4_jRbjT5_SX_jjP12ihipStream_tbEUlT_E_NS1_11comp_targetILNS1_3genE8ELNS1_11target_archE1030ELNS1_3gpuE2ELNS1_3repE0EEENS1_30default_config_static_selectorELNS0_4arch9wavefront6targetE0EEEvSL_.num_agpr, 0
	.set _ZN7rocprim17ROCPRIM_400000_NS6detail17trampoline_kernelINS0_14default_configENS1_36segmented_radix_sort_config_selectorI12hip_bfloat16lEEZNS1_25segmented_radix_sort_implIS3_Lb0EPKS5_PS5_PKlPlN2at6native12_GLOBAL__N_18offset_tEEE10hipError_tPvRmT1_PNSt15iterator_traitsISL_E10value_typeET2_T3_PNSM_ISR_E10value_typeET4_jRbjT5_SX_jjP12ihipStream_tbEUlT_E_NS1_11comp_targetILNS1_3genE8ELNS1_11target_archE1030ELNS1_3gpuE2ELNS1_3repE0EEENS1_30default_config_static_selectorELNS0_4arch9wavefront6targetE0EEEvSL_.numbered_sgpr, 0
	.set _ZN7rocprim17ROCPRIM_400000_NS6detail17trampoline_kernelINS0_14default_configENS1_36segmented_radix_sort_config_selectorI12hip_bfloat16lEEZNS1_25segmented_radix_sort_implIS3_Lb0EPKS5_PS5_PKlPlN2at6native12_GLOBAL__N_18offset_tEEE10hipError_tPvRmT1_PNSt15iterator_traitsISL_E10value_typeET2_T3_PNSM_ISR_E10value_typeET4_jRbjT5_SX_jjP12ihipStream_tbEUlT_E_NS1_11comp_targetILNS1_3genE8ELNS1_11target_archE1030ELNS1_3gpuE2ELNS1_3repE0EEENS1_30default_config_static_selectorELNS0_4arch9wavefront6targetE0EEEvSL_.num_named_barrier, 0
	.set _ZN7rocprim17ROCPRIM_400000_NS6detail17trampoline_kernelINS0_14default_configENS1_36segmented_radix_sort_config_selectorI12hip_bfloat16lEEZNS1_25segmented_radix_sort_implIS3_Lb0EPKS5_PS5_PKlPlN2at6native12_GLOBAL__N_18offset_tEEE10hipError_tPvRmT1_PNSt15iterator_traitsISL_E10value_typeET2_T3_PNSM_ISR_E10value_typeET4_jRbjT5_SX_jjP12ihipStream_tbEUlT_E_NS1_11comp_targetILNS1_3genE8ELNS1_11target_archE1030ELNS1_3gpuE2ELNS1_3repE0EEENS1_30default_config_static_selectorELNS0_4arch9wavefront6targetE0EEEvSL_.private_seg_size, 0
	.set _ZN7rocprim17ROCPRIM_400000_NS6detail17trampoline_kernelINS0_14default_configENS1_36segmented_radix_sort_config_selectorI12hip_bfloat16lEEZNS1_25segmented_radix_sort_implIS3_Lb0EPKS5_PS5_PKlPlN2at6native12_GLOBAL__N_18offset_tEEE10hipError_tPvRmT1_PNSt15iterator_traitsISL_E10value_typeET2_T3_PNSM_ISR_E10value_typeET4_jRbjT5_SX_jjP12ihipStream_tbEUlT_E_NS1_11comp_targetILNS1_3genE8ELNS1_11target_archE1030ELNS1_3gpuE2ELNS1_3repE0EEENS1_30default_config_static_selectorELNS0_4arch9wavefront6targetE0EEEvSL_.uses_vcc, 0
	.set _ZN7rocprim17ROCPRIM_400000_NS6detail17trampoline_kernelINS0_14default_configENS1_36segmented_radix_sort_config_selectorI12hip_bfloat16lEEZNS1_25segmented_radix_sort_implIS3_Lb0EPKS5_PS5_PKlPlN2at6native12_GLOBAL__N_18offset_tEEE10hipError_tPvRmT1_PNSt15iterator_traitsISL_E10value_typeET2_T3_PNSM_ISR_E10value_typeET4_jRbjT5_SX_jjP12ihipStream_tbEUlT_E_NS1_11comp_targetILNS1_3genE8ELNS1_11target_archE1030ELNS1_3gpuE2ELNS1_3repE0EEENS1_30default_config_static_selectorELNS0_4arch9wavefront6targetE0EEEvSL_.uses_flat_scratch, 0
	.set _ZN7rocprim17ROCPRIM_400000_NS6detail17trampoline_kernelINS0_14default_configENS1_36segmented_radix_sort_config_selectorI12hip_bfloat16lEEZNS1_25segmented_radix_sort_implIS3_Lb0EPKS5_PS5_PKlPlN2at6native12_GLOBAL__N_18offset_tEEE10hipError_tPvRmT1_PNSt15iterator_traitsISL_E10value_typeET2_T3_PNSM_ISR_E10value_typeET4_jRbjT5_SX_jjP12ihipStream_tbEUlT_E_NS1_11comp_targetILNS1_3genE8ELNS1_11target_archE1030ELNS1_3gpuE2ELNS1_3repE0EEENS1_30default_config_static_selectorELNS0_4arch9wavefront6targetE0EEEvSL_.has_dyn_sized_stack, 0
	.set _ZN7rocprim17ROCPRIM_400000_NS6detail17trampoline_kernelINS0_14default_configENS1_36segmented_radix_sort_config_selectorI12hip_bfloat16lEEZNS1_25segmented_radix_sort_implIS3_Lb0EPKS5_PS5_PKlPlN2at6native12_GLOBAL__N_18offset_tEEE10hipError_tPvRmT1_PNSt15iterator_traitsISL_E10value_typeET2_T3_PNSM_ISR_E10value_typeET4_jRbjT5_SX_jjP12ihipStream_tbEUlT_E_NS1_11comp_targetILNS1_3genE8ELNS1_11target_archE1030ELNS1_3gpuE2ELNS1_3repE0EEENS1_30default_config_static_selectorELNS0_4arch9wavefront6targetE0EEEvSL_.has_recursion, 0
	.set _ZN7rocprim17ROCPRIM_400000_NS6detail17trampoline_kernelINS0_14default_configENS1_36segmented_radix_sort_config_selectorI12hip_bfloat16lEEZNS1_25segmented_radix_sort_implIS3_Lb0EPKS5_PS5_PKlPlN2at6native12_GLOBAL__N_18offset_tEEE10hipError_tPvRmT1_PNSt15iterator_traitsISL_E10value_typeET2_T3_PNSM_ISR_E10value_typeET4_jRbjT5_SX_jjP12ihipStream_tbEUlT_E_NS1_11comp_targetILNS1_3genE8ELNS1_11target_archE1030ELNS1_3gpuE2ELNS1_3repE0EEENS1_30default_config_static_selectorELNS0_4arch9wavefront6targetE0EEEvSL_.has_indirect_call, 0
	.section	.AMDGPU.csdata,"",@progbits
; Kernel info:
; codeLenInByte = 0
; TotalNumSgprs: 0
; NumVgprs: 0
; ScratchSize: 0
; MemoryBound: 0
; FloatMode: 240
; IeeeMode: 1
; LDSByteSize: 0 bytes/workgroup (compile time only)
; SGPRBlocks: 0
; VGPRBlocks: 0
; NumSGPRsForWavesPerEU: 1
; NumVGPRsForWavesPerEU: 1
; NamedBarCnt: 0
; Occupancy: 16
; WaveLimiterHint : 0
; COMPUTE_PGM_RSRC2:SCRATCH_EN: 0
; COMPUTE_PGM_RSRC2:USER_SGPR: 2
; COMPUTE_PGM_RSRC2:TRAP_HANDLER: 0
; COMPUTE_PGM_RSRC2:TGID_X_EN: 1
; COMPUTE_PGM_RSRC2:TGID_Y_EN: 0
; COMPUTE_PGM_RSRC2:TGID_Z_EN: 0
; COMPUTE_PGM_RSRC2:TIDIG_COMP_CNT: 0
	.text
	.p2align	2                               ; -- Begin function _ZN7rocprim17ROCPRIM_400000_NS6detail26segmented_warp_sort_helperINS1_20WarpSortHelperConfigILj16ELj8ELj256EEE12hip_bfloat16lLi256ELb0EvE4sortIPKS5_PS5_PKlPlEEvT_T0_T1_T2_jjjjRNS6_12storage_typeE
	.type	_ZN7rocprim17ROCPRIM_400000_NS6detail26segmented_warp_sort_helperINS1_20WarpSortHelperConfigILj16ELj8ELj256EEE12hip_bfloat16lLi256ELb0EvE4sortIPKS5_PS5_PKlPlEEvT_T0_T1_T2_jjjjRNS6_12storage_typeE,@function
_ZN7rocprim17ROCPRIM_400000_NS6detail26segmented_warp_sort_helperINS1_20WarpSortHelperConfigILj16ELj8ELj256EEE12hip_bfloat16lLi256ELb0EvE4sortIPKS5_PS5_PKlPlEEvT_T0_T1_T2_jjjjRNS6_12storage_typeE: ; @_ZN7rocprim17ROCPRIM_400000_NS6detail26segmented_warp_sort_helperINS1_20WarpSortHelperConfigILj16ELj8ELj256EEE12hip_bfloat16lLi256ELb0EvE4sortIPKS5_PS5_PKlPlEEvT_T0_T1_T2_jjjjRNS6_12storage_typeE
; %bb.0:
	s_wait_loadcnt_dscnt 0x0
	s_wait_kmcnt 0x0
	v_mov_b32_e32 v10, v9
	v_mbcnt_lo_u32_b32 v9, -1, 0
	v_dual_mov_b32 v37, 0x7fff :: v_dual_mov_b32 v34, 0x7fff
	s_delay_alu instid0(VALU_DEP_2) | instskip(NEXT) | instid1(VALU_DEP_1)
	v_dual_lshlrev_b32 v33, 3, v9 :: v_dual_sub_nc_u32 v12, v10, v8
	v_and_b32_e32 v32, 0x78, v33
	v_mov_b32_e32 v9, 0
	s_delay_alu instid0(VALU_DEP_2) | instskip(NEXT) | instid1(VALU_DEP_2)
	v_cmp_lt_u32_e32 vcc_lo, v32, v12
	v_lshl_add_u64 v[14:15], v[8:9], 1, v[0:1]
	v_dual_mov_b32 v1, v9 :: v_dual_lshlrev_b32 v0, 1, v32
	s_delay_alu instid0(VALU_DEP_1)
	v_add_nc_u64_e32 v[10:11], v[14:15], v[0:1]
	s_and_saveexec_b32 s0, vcc_lo
	s_cbranch_execz .LBB2049_2
; %bb.1:
	flat_load_u16 v34, v[10:11]
.LBB2049_2:
	s_wait_xcnt 0x0
	s_or_b32 exec_lo, exec_lo, s0
	v_or_b32_e32 v1, 1, v32
	s_delay_alu instid0(VALU_DEP_1)
	v_cmp_lt_u32_e64 s0, v1, v12
	s_and_saveexec_b32 s1, s0
	s_cbranch_execz .LBB2049_4
; %bb.3:
	flat_load_u16 v37, v[10:11] offset:2
.LBB2049_4:
	s_wait_xcnt 0x0
	s_or_b32 exec_lo, exec_lo, s1
	v_or_b32_e32 v1, 2, v32
	v_dual_mov_b32 v49, 0x7fff :: v_dual_mov_b32 v38, 0x7fff
	s_delay_alu instid0(VALU_DEP_2)
	v_cmp_lt_u32_e64 s1, v1, v12
	s_and_saveexec_b32 s2, s1
	s_cbranch_execz .LBB2049_6
; %bb.5:
	flat_load_u16 v38, v[10:11] offset:4
.LBB2049_6:
	s_wait_xcnt 0x0
	s_or_b32 exec_lo, exec_lo, s2
	v_or_b32_e32 v1, 3, v32
	s_delay_alu instid0(VALU_DEP_1)
	v_cmp_lt_u32_e64 s2, v1, v12
	s_and_saveexec_b32 s3, s2
	s_cbranch_execz .LBB2049_8
; %bb.7:
	flat_load_u16 v49, v[10:11] offset:6
.LBB2049_8:
	s_wait_xcnt 0x0
	s_or_b32 exec_lo, exec_lo, s3
	v_or_b32_e32 v1, 4, v32
	v_dual_mov_b32 v36, 0x7fff :: v_dual_mov_b32 v39, 0x7fff
	s_delay_alu instid0(VALU_DEP_2)
	v_cmp_lt_u32_e64 s3, v1, v12
	s_and_saveexec_b32 s4, s3
	s_cbranch_execz .LBB2049_10
; %bb.9:
	flat_load_u16 v39, v[10:11] offset:8
.LBB2049_10:
	;; [unrolled: 21-line block ×3, first 2 shown]
	s_wait_xcnt 0x0
	s_or_b32 exec_lo, exec_lo, s6
	v_or_b32_e32 v1, 7, v32
	s_delay_alu instid0(VALU_DEP_1)
	v_cmp_lt_u32_e64 s6, v1, v12
	s_and_saveexec_b32 s7, s6
	s_cbranch_execz .LBB2049_16
; %bb.15:
	flat_load_u16 v35, v[10:11] offset:14
.LBB2049_16:
	s_wait_xcnt 0x0
	s_or_b32 exec_lo, exec_lo, s7
	v_lshl_add_u64 v[10:11], v[8:9], 3, v[4:5]
	v_dual_mov_b32 v5, 0 :: v_dual_lshlrev_b32 v4, 3, v32
	; wave barrier
	s_delay_alu instid0(VALU_DEP_1)
	v_add_nc_u64_e32 v[26:27], v[10:11], v[4:5]
                                        ; implicit-def: $vgpr10_vgpr11
	s_and_saveexec_b32 s7, vcc_lo
	s_cbranch_execnz .LBB2049_318
; %bb.17:
	s_or_b32 exec_lo, exec_lo, s7
	s_and_saveexec_b32 s7, s0
                                        ; implicit-def: $vgpr12_vgpr13
	s_cbranch_execnz .LBB2049_319
.LBB2049_18:
	s_or_b32 exec_lo, exec_lo, s7
                                        ; implicit-def: $vgpr14_vgpr15
	s_and_saveexec_b32 s7, s1
	s_cbranch_execnz .LBB2049_320
.LBB2049_19:
	s_or_b32 exec_lo, exec_lo, s7
	s_and_saveexec_b32 s7, s2
                                        ; implicit-def: $vgpr16_vgpr17
	s_cbranch_execnz .LBB2049_321
.LBB2049_20:
	s_or_b32 exec_lo, exec_lo, s7
                                        ; implicit-def: $vgpr18_vgpr19
	s_and_saveexec_b32 s7, s3
	s_cbranch_execnz .LBB2049_322
.LBB2049_21:
	s_or_b32 exec_lo, exec_lo, s7
	s_and_saveexec_b32 s7, s4
                                        ; implicit-def: $vgpr22_vgpr23
	s_cbranch_execnz .LBB2049_323
.LBB2049_22:
	s_or_b32 exec_lo, exec_lo, s7
                                        ; implicit-def: $vgpr20_vgpr21
	s_and_saveexec_b32 s7, s5
	s_cbranch_execnz .LBB2049_324
.LBB2049_23:
	s_or_b32 exec_lo, exec_lo, s7
	s_and_saveexec_b32 s7, s6
                                        ; implicit-def: $vgpr24_vgpr25
	s_cbranch_execz .LBB2049_25
.LBB2049_24:
	flat_load_b64 v[24:25], v[26:27] offset:56
.LBB2049_25:
	s_wait_xcnt 0x0
	s_or_b32 exec_lo, exec_lo, s7
	; wave barrier
	s_load_b64 s[10:11], s[8:9], 0x0
	s_bfe_u32 s12, ttmp6, 0x4000c
	s_bfe_u32 s14, ttmp6, 0x40010
	s_and_b32 s13, ttmp7, 0xffff
	s_add_co_i32 s12, s12, 1
	s_add_co_i32 s14, s14, 1
	s_and_b32 s7, ttmp6, 15
	s_bfe_u32 s15, ttmp6, 0x40004
	s_mul_i32 s12, ttmp9, s12
	s_mul_i32 s14, s13, s14
	s_getreg_b32 s16, hwreg(HW_REG_IB_STS2, 6, 4)
	s_add_co_i32 s7, s7, s12
	s_add_co_i32 s15, s15, s14
	s_cmp_eq_u32 s16, 0
	v_bfe_u32 v1, v31, 10, 10
	s_cselect_b32 s7, ttmp9, s7
	s_cselect_b32 s12, s13, s15
	v_bfe_u32 v5, v31, 20, 10
	s_wait_kmcnt 0x0
	s_cmp_lt_u32 s7, s10
	s_cselect_b32 s10, 12, 18
	s_cmp_lt_u32 s12, s11
	s_mov_b32 s11, 0
	s_cselect_b32 s12, 14, 20
	s_mov_b32 s13, s11
	s_delay_alu instid0(SALU_CYCLE_1)
	s_add_nc_u64 s[12:13], s[8:9], s[12:13]
	s_add_nc_u64 s[8:9], s[8:9], s[10:11]
	s_clause 0x1
	s_load_u16 s7, s[12:13], 0x0
	s_nop 0
	s_load_u16 s8, s[8:9], 0x0
	s_wait_kmcnt 0x0
	v_mad_u32_u24 v1, v5, s7, v1
	v_and_b32_e32 v5, 0x3ff, v31
	s_delay_alu instid0(VALU_DEP_2) | instskip(SKIP_1) | instid1(VALU_DEP_1)
	v_mul_lo_u32 v1, v1, s8
	s_mov_b32 s8, exec_lo
	v_add_lshl_u32 v1, v1, v5, 3
	s_delay_alu instid0(VALU_DEP_1)
	v_cmpx_gt_u32_e32 0x800, v1
	s_cbranch_execz .LBB2049_307
; %bb.26:
	s_wait_loadcnt_dscnt 0x0
	v_lshlrev_b32_e32 v5, 16, v34
	s_delay_alu instid0(VALU_DEP_1) | instskip(NEXT) | instid1(VALU_DEP_1)
	v_add_f32_e32 v26, 0, v5
	v_and_b32_e32 v5, 0x7f800000, v26
	s_delay_alu instid0(VALU_DEP_1) | instskip(SKIP_1) | instid1(SALU_CYCLE_1)
	v_cmp_ne_u32_e64 s7, 0x7f800000, v5
                                        ; implicit-def: $vgpr5
	s_and_saveexec_b32 s9, s7
	s_xor_b32 s7, exec_lo, s9
; %bb.27:
	v_bfe_u32 v5, v26, 16, 1
	s_delay_alu instid0(VALU_DEP_1)
	v_add3_u32 v5, v26, v5, 0x7fff
                                        ; implicit-def: $vgpr26
; %bb.28:
	s_and_not1_saveexec_b32 s9, s7
; %bb.29:
	v_and_b32_e32 v5, 0xffff, v26
	v_or_b32_e32 v27, 0x10000, v26
	s_delay_alu instid0(VALU_DEP_2) | instskip(NEXT) | instid1(VALU_DEP_1)
	v_cmp_eq_u32_e64 s7, 0, v5
	v_cndmask_b32_e64 v5, v27, v26, s7
; %bb.30:
	s_or_b32 exec_lo, exec_lo, s9
	v_lshlrev_b32_e32 v26, 16, v37
	s_delay_alu instid0(VALU_DEP_1) | instskip(NEXT) | instid1(VALU_DEP_1)
	v_add_f32_e32 v27, 0, v26
	v_and_b32_e32 v26, 0x7f800000, v27
	s_delay_alu instid0(VALU_DEP_1) | instskip(SKIP_1) | instid1(SALU_CYCLE_1)
	v_cmp_ne_u32_e64 s7, 0x7f800000, v26
                                        ; implicit-def: $vgpr26
	s_and_saveexec_b32 s9, s7
	s_xor_b32 s7, exec_lo, s9
; %bb.31:
	v_bfe_u32 v26, v27, 16, 1
	s_delay_alu instid0(VALU_DEP_1)
	v_add3_u32 v26, v27, v26, 0x7fff
                                        ; implicit-def: $vgpr27
; %bb.32:
	s_and_not1_saveexec_b32 s9, s7
; %bb.33:
	v_and_b32_e32 v26, 0xffff, v27
	v_or_b32_e32 v28, 0x10000, v27
	s_delay_alu instid0(VALU_DEP_2) | instskip(NEXT) | instid1(VALU_DEP_1)
	v_cmp_eq_u32_e64 s7, 0, v26
	v_cndmask_b32_e64 v26, v28, v27, s7
; %bb.34:
	s_or_b32 exec_lo, exec_lo, s9
	v_cmp_lt_i32_e64 s7, -1, v5
	s_delay_alu instid0(VALU_DEP_2) | instskip(NEXT) | instid1(VALU_DEP_2)
	v_perm_b32 v5, v26, v5, 0x7060302
	v_cndmask_b32_e64 v27, -1, 0xffff8000, s7
	v_cmp_lt_i32_e64 s7, -1, v26
	s_delay_alu instid0(VALU_DEP_1) | instskip(NEXT) | instid1(VALU_DEP_1)
	v_cndmask_b32_e64 v28, -1, 0xffff8000, s7
	v_perm_b32 v26, v28, v27, 0x5040100
	s_delay_alu instid0(VALU_DEP_1) | instskip(NEXT) | instid1(VALU_DEP_1)
	v_dual_mov_b32 v5, v37 :: v_dual_bitop2_b32 v26, v26, v5 bitop3:0x14
	v_lshrrev_b32_e32 v27, 16, v26
	s_delay_alu instid0(VALU_DEP_1)
	v_cmp_gt_u16_e64 s7, v26, v27
	v_mov_b64_e32 v[26:27], v[12:13]
	s_and_saveexec_b32 s9, s7
; %bb.35:
	v_mov_b64_e32 v[26:27], v[10:11]
	v_mov_b64_e32 v[10:11], v[12:13]
	v_dual_mov_b32 v5, v34 :: v_dual_mov_b32 v34, v37
; %bb.36:
	s_or_b32 exec_lo, exec_lo, s9
	v_lshlrev_b32_e32 v12, 16, v38
	s_delay_alu instid0(VALU_DEP_1) | instskip(NEXT) | instid1(VALU_DEP_1)
	v_add_f32_e32 v13, 0, v12
	v_and_b32_e32 v12, 0x7f800000, v13
	s_delay_alu instid0(VALU_DEP_1) | instskip(SKIP_1) | instid1(SALU_CYCLE_1)
	v_cmp_ne_u32_e64 s7, 0x7f800000, v12
                                        ; implicit-def: $vgpr12
	s_and_saveexec_b32 s9, s7
	s_xor_b32 s7, exec_lo, s9
; %bb.37:
	v_bfe_u32 v12, v13, 16, 1
	s_delay_alu instid0(VALU_DEP_1)
	v_add3_u32 v12, v13, v12, 0x7fff
                                        ; implicit-def: $vgpr13
; %bb.38:
	s_and_not1_saveexec_b32 s9, s7
; %bb.39:
	v_and_b32_e32 v12, 0xffff, v13
	v_or_b32_e32 v28, 0x10000, v13
	s_delay_alu instid0(VALU_DEP_2) | instskip(NEXT) | instid1(VALU_DEP_1)
	v_cmp_eq_u32_e64 s7, 0, v12
	v_cndmask_b32_e64 v12, v28, v13, s7
; %bb.40:
	s_or_b32 exec_lo, exec_lo, s9
	v_lshlrev_b32_e32 v13, 16, v49
	s_delay_alu instid0(VALU_DEP_1) | instskip(NEXT) | instid1(VALU_DEP_1)
	v_add_f32_e32 v28, 0, v13
	v_and_b32_e32 v13, 0x7f800000, v28
	s_delay_alu instid0(VALU_DEP_1) | instskip(SKIP_1) | instid1(SALU_CYCLE_1)
	v_cmp_ne_u32_e64 s7, 0x7f800000, v13
                                        ; implicit-def: $vgpr13
	s_and_saveexec_b32 s9, s7
	s_xor_b32 s7, exec_lo, s9
; %bb.41:
	v_bfe_u32 v13, v28, 16, 1
	s_delay_alu instid0(VALU_DEP_1)
	v_add3_u32 v13, v28, v13, 0x7fff
                                        ; implicit-def: $vgpr28
; %bb.42:
	s_and_not1_saveexec_b32 s9, s7
; %bb.43:
	v_and_b32_e32 v13, 0xffff, v28
	v_or_b32_e32 v29, 0x10000, v28
	s_delay_alu instid0(VALU_DEP_2) | instskip(NEXT) | instid1(VALU_DEP_1)
	v_cmp_eq_u32_e64 s7, 0, v13
	v_cndmask_b32_e64 v13, v29, v28, s7
; %bb.44:
	s_or_b32 exec_lo, exec_lo, s9
	v_cmp_lt_i32_e64 s7, -1, v12
	s_delay_alu instid0(VALU_DEP_2) | instskip(SKIP_4) | instid1(VALU_DEP_1)
	v_perm_b32 v12, v13, v12, 0x7060302
	s_mov_b32 s9, exec_lo
	v_mov_b32_e32 v30, v49
	v_cndmask_b32_e64 v28, -1, 0xffff8000, s7
	v_cmp_lt_i32_e64 s7, -1, v13
	v_cndmask_b32_e64 v29, -1, 0xffff8000, s7
	s_delay_alu instid0(VALU_DEP_1) | instskip(SKIP_1) | instid1(VALU_DEP_2)
	v_perm_b32 v13, v29, v28, 0x5040100
	v_mov_b64_e32 v[28:29], v[16:17]
	v_xor_b32_e32 v12, v13, v12
	s_delay_alu instid0(VALU_DEP_1) | instskip(NEXT) | instid1(VALU_DEP_1)
	v_lshrrev_b32_e32 v13, 16, v12
	v_cmpx_gt_u16_e64 v12, v13
; %bb.45:
	v_mov_b64_e32 v[28:29], v[14:15]
	v_mov_b64_e32 v[14:15], v[16:17]
	v_dual_mov_b32 v30, v38 :: v_dual_mov_b32 v38, v49
; %bb.46:
	s_or_b32 exec_lo, exec_lo, s9
	v_lshlrev_b32_e32 v12, 16, v39
	s_delay_alu instid0(VALU_DEP_1) | instskip(NEXT) | instid1(VALU_DEP_1)
	v_add_f32_e32 v13, 0, v12
	v_and_b32_e32 v12, 0x7f800000, v13
	s_delay_alu instid0(VALU_DEP_1) | instskip(SKIP_1) | instid1(SALU_CYCLE_1)
	v_cmp_ne_u32_e64 s7, 0x7f800000, v12
                                        ; implicit-def: $vgpr12
	s_and_saveexec_b32 s9, s7
	s_xor_b32 s7, exec_lo, s9
; %bb.47:
	v_bfe_u32 v12, v13, 16, 1
	s_delay_alu instid0(VALU_DEP_1)
	v_add3_u32 v12, v13, v12, 0x7fff
                                        ; implicit-def: $vgpr13
; %bb.48:
	s_and_not1_saveexec_b32 s9, s7
; %bb.49:
	v_and_b32_e32 v12, 0xffff, v13
	v_or_b32_e32 v16, 0x10000, v13
	s_delay_alu instid0(VALU_DEP_2) | instskip(NEXT) | instid1(VALU_DEP_1)
	v_cmp_eq_u32_e64 s7, 0, v12
	v_cndmask_b32_e64 v12, v16, v13, s7
; %bb.50:
	s_or_b32 exec_lo, exec_lo, s9
	v_lshlrev_b32_e32 v13, 16, v36
	s_delay_alu instid0(VALU_DEP_1) | instskip(NEXT) | instid1(VALU_DEP_1)
	v_add_f32_e32 v16, 0, v13
	v_and_b32_e32 v13, 0x7f800000, v16
	s_delay_alu instid0(VALU_DEP_1) | instskip(SKIP_1) | instid1(SALU_CYCLE_1)
	v_cmp_ne_u32_e64 s7, 0x7f800000, v13
                                        ; implicit-def: $vgpr13
	s_and_saveexec_b32 s9, s7
	s_xor_b32 s7, exec_lo, s9
; %bb.51:
	v_bfe_u32 v13, v16, 16, 1
	s_delay_alu instid0(VALU_DEP_1)
	v_add3_u32 v13, v16, v13, 0x7fff
                                        ; implicit-def: $vgpr16
; %bb.52:
	s_and_not1_saveexec_b32 s9, s7
; %bb.53:
	v_and_b32_e32 v13, 0xffff, v16
	v_or_b32_e32 v17, 0x10000, v16
	s_delay_alu instid0(VALU_DEP_2) | instskip(NEXT) | instid1(VALU_DEP_1)
	v_cmp_eq_u32_e64 s7, 0, v13
	v_cndmask_b32_e64 v13, v17, v16, s7
; %bb.54:
	s_or_b32 exec_lo, exec_lo, s9
	v_cmp_lt_i32_e64 s7, -1, v12
	s_delay_alu instid0(VALU_DEP_2) | instskip(SKIP_4) | instid1(VALU_DEP_1)
	v_perm_b32 v12, v13, v12, 0x7060302
	s_mov_b32 s9, exec_lo
	v_mov_b32_e32 v49, v39
	v_cndmask_b32_e64 v16, -1, 0xffff8000, s7
	v_cmp_lt_i32_e64 s7, -1, v13
	v_cndmask_b32_e64 v17, -1, 0xffff8000, s7
	s_delay_alu instid0(VALU_DEP_1) | instskip(NEXT) | instid1(VALU_DEP_1)
	v_perm_b32 v13, v17, v16, 0x5040100
	v_xor_b32_e32 v16, v13, v12
	v_mov_b64_e32 v[12:13], v[22:23]
	s_delay_alu instid0(VALU_DEP_2) | instskip(NEXT) | instid1(VALU_DEP_1)
	v_lshrrev_b32_e32 v17, 16, v16
	v_cmpx_gt_u16_e64 v16, v17
; %bb.55:
	v_mov_b64_e32 v[12:13], v[18:19]
	v_mov_b64_e32 v[18:19], v[22:23]
	v_dual_mov_b32 v49, v36 :: v_dual_mov_b32 v36, v39
; %bb.56:
	s_or_b32 exec_lo, exec_lo, s9
	v_lshlrev_b32_e32 v16, 16, v48
	s_delay_alu instid0(VALU_DEP_1) | instskip(NEXT) | instid1(VALU_DEP_1)
	v_add_f32_e32 v17, 0, v16
	v_and_b32_e32 v16, 0x7f800000, v17
	s_delay_alu instid0(VALU_DEP_1) | instskip(SKIP_1) | instid1(SALU_CYCLE_1)
	v_cmp_ne_u32_e64 s7, 0x7f800000, v16
                                        ; implicit-def: $vgpr16
	s_and_saveexec_b32 s9, s7
	s_xor_b32 s7, exec_lo, s9
; %bb.57:
	v_bfe_u32 v16, v17, 16, 1
	s_delay_alu instid0(VALU_DEP_1)
	v_add3_u32 v16, v17, v16, 0x7fff
                                        ; implicit-def: $vgpr17
; %bb.58:
	s_and_not1_saveexec_b32 s9, s7
; %bb.59:
	v_and_b32_e32 v16, 0xffff, v17
	v_or_b32_e32 v22, 0x10000, v17
	s_delay_alu instid0(VALU_DEP_2) | instskip(NEXT) | instid1(VALU_DEP_1)
	v_cmp_eq_u32_e64 s7, 0, v16
	v_cndmask_b32_e64 v16, v22, v17, s7
; %bb.60:
	s_or_b32 exec_lo, exec_lo, s9
	v_lshlrev_b32_e32 v17, 16, v35
	s_delay_alu instid0(VALU_DEP_1) | instskip(NEXT) | instid1(VALU_DEP_1)
	v_add_f32_e32 v22, 0, v17
	v_and_b32_e32 v17, 0x7f800000, v22
	s_delay_alu instid0(VALU_DEP_1) | instskip(SKIP_1) | instid1(SALU_CYCLE_1)
	v_cmp_ne_u32_e64 s7, 0x7f800000, v17
                                        ; implicit-def: $vgpr17
	s_and_saveexec_b32 s9, s7
	s_xor_b32 s7, exec_lo, s9
; %bb.61:
	v_bfe_u32 v17, v22, 16, 1
	s_delay_alu instid0(VALU_DEP_1)
	v_add3_u32 v17, v22, v17, 0x7fff
                                        ; implicit-def: $vgpr22
; %bb.62:
	s_and_not1_saveexec_b32 s9, s7
; %bb.63:
	v_and_b32_e32 v17, 0xffff, v22
	v_or_b32_e32 v23, 0x10000, v22
	s_delay_alu instid0(VALU_DEP_2) | instskip(NEXT) | instid1(VALU_DEP_1)
	v_cmp_eq_u32_e64 s7, 0, v17
	v_cndmask_b32_e64 v17, v23, v22, s7
; %bb.64:
	s_or_b32 exec_lo, exec_lo, s9
	v_cmp_lt_i32_e64 s7, -1, v16
	s_delay_alu instid0(VALU_DEP_2) | instskip(SKIP_4) | instid1(VALU_DEP_1)
	v_perm_b32 v16, v17, v16, 0x7060302
	s_mov_b32 s9, exec_lo
	v_mov_b32_e32 v39, v48
	v_cndmask_b32_e64 v22, -1, 0xffff8000, s7
	v_cmp_lt_i32_e64 s7, -1, v17
	v_cndmask_b32_e64 v23, -1, 0xffff8000, s7
	s_delay_alu instid0(VALU_DEP_1) | instskip(NEXT) | instid1(VALU_DEP_1)
	v_perm_b32 v17, v23, v22, 0x5040100
	v_xor_b32_e32 v22, v17, v16
	v_mov_b64_e32 v[16:17], v[24:25]
	s_delay_alu instid0(VALU_DEP_2) | instskip(NEXT) | instid1(VALU_DEP_1)
	v_lshrrev_b32_e32 v23, 16, v22
	v_cmpx_gt_u16_e64 v22, v23
; %bb.65:
	v_mov_b64_e32 v[16:17], v[20:21]
	v_mov_b64_e32 v[20:21], v[24:25]
	v_dual_mov_b32 v39, v35 :: v_dual_mov_b32 v35, v48
; %bb.66:
	s_or_b32 exec_lo, exec_lo, s9
	v_lshlrev_b32_e32 v22, 16, v5
	s_delay_alu instid0(VALU_DEP_1) | instskip(NEXT) | instid1(VALU_DEP_1)
	v_add_f32_e32 v23, 0, v22
	v_and_b32_e32 v22, 0x7f800000, v23
	s_delay_alu instid0(VALU_DEP_1) | instskip(SKIP_1) | instid1(SALU_CYCLE_1)
	v_cmp_ne_u32_e64 s7, 0x7f800000, v22
                                        ; implicit-def: $vgpr22
	s_and_saveexec_b32 s9, s7
	s_xor_b32 s7, exec_lo, s9
; %bb.67:
	v_bfe_u32 v22, v23, 16, 1
	s_delay_alu instid0(VALU_DEP_1)
	v_add3_u32 v22, v23, v22, 0x7fff
                                        ; implicit-def: $vgpr23
; %bb.68:
	s_and_not1_saveexec_b32 s9, s7
; %bb.69:
	v_and_b32_e32 v22, 0xffff, v23
	v_or_b32_e32 v24, 0x10000, v23
	s_delay_alu instid0(VALU_DEP_2) | instskip(NEXT) | instid1(VALU_DEP_1)
	v_cmp_eq_u32_e64 s7, 0, v22
	v_cndmask_b32_e64 v22, v24, v23, s7
; %bb.70:
	s_or_b32 exec_lo, exec_lo, s9
	v_lshlrev_b32_e32 v23, 16, v38
	s_delay_alu instid0(VALU_DEP_1) | instskip(NEXT) | instid1(VALU_DEP_1)
	v_add_f32_e32 v24, 0, v23
	v_and_b32_e32 v23, 0x7f800000, v24
	s_delay_alu instid0(VALU_DEP_1) | instskip(SKIP_1) | instid1(SALU_CYCLE_1)
	v_cmp_ne_u32_e64 s7, 0x7f800000, v23
                                        ; implicit-def: $vgpr23
	s_and_saveexec_b32 s9, s7
	s_xor_b32 s7, exec_lo, s9
; %bb.71:
	v_bfe_u32 v23, v24, 16, 1
	s_delay_alu instid0(VALU_DEP_1)
	v_add3_u32 v23, v24, v23, 0x7fff
                                        ; implicit-def: $vgpr24
; %bb.72:
	s_and_not1_saveexec_b32 s9, s7
; %bb.73:
	v_and_b32_e32 v23, 0xffff, v24
	v_or_b32_e32 v25, 0x10000, v24
	s_delay_alu instid0(VALU_DEP_2) | instskip(NEXT) | instid1(VALU_DEP_1)
	v_cmp_eq_u32_e64 s7, 0, v23
	v_cndmask_b32_e64 v23, v25, v24, s7
; %bb.74:
	s_or_b32 exec_lo, exec_lo, s9
	v_cmp_lt_i32_e64 s7, -1, v22
	s_delay_alu instid0(VALU_DEP_2) | instskip(SKIP_4) | instid1(VALU_DEP_1)
	v_perm_b32 v22, v23, v22, 0x7060302
	s_mov_b32 s9, exec_lo
	v_mov_b32_e32 v37, v38
	v_cndmask_b32_e64 v24, -1, 0xffff8000, s7
	v_cmp_lt_i32_e64 s7, -1, v23
	v_cndmask_b32_e64 v25, -1, 0xffff8000, s7
	s_delay_alu instid0(VALU_DEP_1) | instskip(SKIP_1) | instid1(VALU_DEP_2)
	v_perm_b32 v23, v25, v24, 0x5040100
	v_mov_b64_e32 v[24:25], v[14:15]
	v_xor_b32_e32 v22, v23, v22
	s_delay_alu instid0(VALU_DEP_1) | instskip(NEXT) | instid1(VALU_DEP_1)
	v_lshrrev_b32_e32 v23, 16, v22
	v_cmpx_gt_u16_e64 v22, v23
; %bb.75:
	v_mov_b64_e32 v[24:25], v[26:27]
	v_mov_b64_e32 v[26:27], v[14:15]
	v_dual_mov_b32 v37, v5 :: v_dual_mov_b32 v5, v38
; %bb.76:
	s_or_b32 exec_lo, exec_lo, s9
	v_lshlrev_b32_e32 v14, 16, v30
	s_delay_alu instid0(VALU_DEP_1) | instskip(NEXT) | instid1(VALU_DEP_1)
	v_add_f32_e32 v15, 0, v14
	v_and_b32_e32 v14, 0x7f800000, v15
	s_delay_alu instid0(VALU_DEP_1) | instskip(SKIP_1) | instid1(SALU_CYCLE_1)
	v_cmp_ne_u32_e64 s7, 0x7f800000, v14
                                        ; implicit-def: $vgpr14
	s_and_saveexec_b32 s9, s7
	s_xor_b32 s7, exec_lo, s9
; %bb.77:
	v_bfe_u32 v14, v15, 16, 1
	s_delay_alu instid0(VALU_DEP_1)
	v_add3_u32 v14, v15, v14, 0x7fff
                                        ; implicit-def: $vgpr15
; %bb.78:
	s_and_not1_saveexec_b32 s9, s7
; %bb.79:
	v_and_b32_e32 v14, 0xffff, v15
	v_or_b32_e32 v22, 0x10000, v15
	s_delay_alu instid0(VALU_DEP_2) | instskip(NEXT) | instid1(VALU_DEP_1)
	v_cmp_eq_u32_e64 s7, 0, v14
	v_cndmask_b32_e64 v14, v22, v15, s7
; %bb.80:
	s_or_b32 exec_lo, exec_lo, s9
	v_lshlrev_b32_e32 v15, 16, v49
	s_delay_alu instid0(VALU_DEP_1) | instskip(NEXT) | instid1(VALU_DEP_1)
	v_add_f32_e32 v22, 0, v15
	v_and_b32_e32 v15, 0x7f800000, v22
	s_delay_alu instid0(VALU_DEP_1) | instskip(SKIP_1) | instid1(SALU_CYCLE_1)
	v_cmp_ne_u32_e64 s7, 0x7f800000, v15
                                        ; implicit-def: $vgpr15
	s_and_saveexec_b32 s9, s7
	s_xor_b32 s7, exec_lo, s9
; %bb.81:
	v_bfe_u32 v15, v22, 16, 1
	s_delay_alu instid0(VALU_DEP_1)
	v_add3_u32 v15, v22, v15, 0x7fff
                                        ; implicit-def: $vgpr22
; %bb.82:
	s_and_not1_saveexec_b32 s9, s7
; %bb.83:
	v_and_b32_e32 v15, 0xffff, v22
	v_or_b32_e32 v23, 0x10000, v22
	s_delay_alu instid0(VALU_DEP_2) | instskip(NEXT) | instid1(VALU_DEP_1)
	v_cmp_eq_u32_e64 s7, 0, v15
	v_cndmask_b32_e64 v15, v23, v22, s7
; %bb.84:
	s_or_b32 exec_lo, exec_lo, s9
	v_cmp_lt_i32_e64 s7, -1, v14
	s_delay_alu instid0(VALU_DEP_2) | instskip(SKIP_4) | instid1(VALU_DEP_1)
	v_perm_b32 v14, v15, v14, 0x7060302
	s_mov_b32 s9, exec_lo
	v_mov_b32_e32 v48, v30
	v_cndmask_b32_e64 v22, -1, 0xffff8000, s7
	v_cmp_lt_i32_e64 s7, -1, v15
	v_cndmask_b32_e64 v23, -1, 0xffff8000, s7
	s_delay_alu instid0(VALU_DEP_1) | instskip(SKIP_1) | instid1(VALU_DEP_2)
	v_perm_b32 v15, v23, v22, 0x5040100
	v_mov_b64_e32 v[22:23], v[18:19]
	v_xor_b32_e32 v14, v15, v14
	s_delay_alu instid0(VALU_DEP_1) | instskip(NEXT) | instid1(VALU_DEP_1)
	v_lshrrev_b32_e32 v15, 16, v14
	v_cmpx_gt_u16_e64 v14, v15
; %bb.85:
	v_mov_b64_e32 v[22:23], v[28:29]
	v_mov_b64_e32 v[28:29], v[18:19]
	v_dual_mov_b32 v48, v49 :: v_dual_mov_b32 v49, v30
; %bb.86:
	s_or_b32 exec_lo, exec_lo, s9
	v_lshlrev_b32_e32 v14, 16, v36
	s_delay_alu instid0(VALU_DEP_1) | instskip(NEXT) | instid1(VALU_DEP_1)
	v_add_f32_e32 v15, 0, v14
	v_and_b32_e32 v14, 0x7f800000, v15
	s_delay_alu instid0(VALU_DEP_1) | instskip(SKIP_1) | instid1(SALU_CYCLE_1)
	v_cmp_ne_u32_e64 s7, 0x7f800000, v14
                                        ; implicit-def: $vgpr14
	s_and_saveexec_b32 s9, s7
	s_xor_b32 s7, exec_lo, s9
; %bb.87:
	v_bfe_u32 v14, v15, 16, 1
	s_delay_alu instid0(VALU_DEP_1)
	v_add3_u32 v14, v15, v14, 0x7fff
                                        ; implicit-def: $vgpr15
; %bb.88:
	s_and_not1_saveexec_b32 s9, s7
; %bb.89:
	v_and_b32_e32 v14, 0xffff, v15
	v_or_b32_e32 v18, 0x10000, v15
	s_delay_alu instid0(VALU_DEP_2) | instskip(NEXT) | instid1(VALU_DEP_1)
	v_cmp_eq_u32_e64 s7, 0, v14
	v_cndmask_b32_e64 v14, v18, v15, s7
; %bb.90:
	s_or_b32 exec_lo, exec_lo, s9
	v_lshlrev_b32_e32 v15, 16, v39
	s_delay_alu instid0(VALU_DEP_1) | instskip(NEXT) | instid1(VALU_DEP_1)
	v_add_f32_e32 v18, 0, v15
	v_and_b32_e32 v15, 0x7f800000, v18
	s_delay_alu instid0(VALU_DEP_1) | instskip(SKIP_1) | instid1(SALU_CYCLE_1)
	v_cmp_ne_u32_e64 s7, 0x7f800000, v15
                                        ; implicit-def: $vgpr15
	s_and_saveexec_b32 s9, s7
	s_xor_b32 s7, exec_lo, s9
; %bb.91:
	v_bfe_u32 v15, v18, 16, 1
	s_delay_alu instid0(VALU_DEP_1)
	v_add3_u32 v15, v18, v15, 0x7fff
                                        ; implicit-def: $vgpr18
; %bb.92:
	s_and_not1_saveexec_b32 s9, s7
; %bb.93:
	v_and_b32_e32 v15, 0xffff, v18
	v_or_b32_e32 v19, 0x10000, v18
	s_delay_alu instid0(VALU_DEP_2) | instskip(NEXT) | instid1(VALU_DEP_1)
	v_cmp_eq_u32_e64 s7, 0, v15
	v_cndmask_b32_e64 v15, v19, v18, s7
; %bb.94:
	s_or_b32 exec_lo, exec_lo, s9
	v_cmp_lt_i32_e64 s7, -1, v14
	s_delay_alu instid0(VALU_DEP_2) | instskip(SKIP_4) | instid1(VALU_DEP_1)
	v_perm_b32 v14, v15, v14, 0x7060302
	s_mov_b32 s9, exec_lo
	v_mov_b32_e32 v38, v36
	v_cndmask_b32_e64 v18, -1, 0xffff8000, s7
	v_cmp_lt_i32_e64 s7, -1, v15
	v_cndmask_b32_e64 v19, -1, 0xffff8000, s7
	s_delay_alu instid0(VALU_DEP_1) | instskip(NEXT) | instid1(VALU_DEP_1)
	v_perm_b32 v15, v19, v18, 0x5040100
	v_xor_b32_e32 v18, v15, v14
	v_mov_b64_e32 v[14:15], v[20:21]
	s_delay_alu instid0(VALU_DEP_2) | instskip(NEXT) | instid1(VALU_DEP_1)
	v_lshrrev_b32_e32 v19, 16, v18
	v_cmpx_gt_u16_e64 v18, v19
; %bb.95:
	v_mov_b64_e32 v[14:15], v[12:13]
	v_mov_b64_e32 v[12:13], v[20:21]
	v_dual_mov_b32 v38, v39 :: v_dual_mov_b32 v39, v36
; %bb.96:
	s_or_b32 exec_lo, exec_lo, s9
	v_lshlrev_b32_e32 v18, 16, v34
	s_delay_alu instid0(VALU_DEP_1) | instskip(NEXT) | instid1(VALU_DEP_1)
	v_add_f32_e32 v19, 0, v18
	v_and_b32_e32 v18, 0x7f800000, v19
	s_delay_alu instid0(VALU_DEP_1) | instskip(SKIP_1) | instid1(SALU_CYCLE_1)
	v_cmp_ne_u32_e64 s7, 0x7f800000, v18
                                        ; implicit-def: $vgpr18
	s_and_saveexec_b32 s9, s7
	s_xor_b32 s7, exec_lo, s9
; %bb.97:
	v_bfe_u32 v18, v19, 16, 1
	s_delay_alu instid0(VALU_DEP_1)
	v_add3_u32 v18, v19, v18, 0x7fff
                                        ; implicit-def: $vgpr19
; %bb.98:
	s_and_not1_saveexec_b32 s9, s7
; %bb.99:
	v_and_b32_e32 v18, 0xffff, v19
	v_or_b32_e32 v20, 0x10000, v19
	s_delay_alu instid0(VALU_DEP_2) | instskip(NEXT) | instid1(VALU_DEP_1)
	v_cmp_eq_u32_e64 s7, 0, v18
	v_cndmask_b32_e64 v18, v20, v19, s7
; %bb.100:
	s_or_b32 exec_lo, exec_lo, s9
	v_lshlrev_b32_e32 v19, 16, v5
	s_delay_alu instid0(VALU_DEP_1) | instskip(NEXT) | instid1(VALU_DEP_1)
	v_add_f32_e32 v20, 0, v19
	v_and_b32_e32 v19, 0x7f800000, v20
	s_delay_alu instid0(VALU_DEP_1) | instskip(SKIP_1) | instid1(SALU_CYCLE_1)
	v_cmp_ne_u32_e64 s7, 0x7f800000, v19
                                        ; implicit-def: $vgpr19
	s_and_saveexec_b32 s9, s7
	s_xor_b32 s7, exec_lo, s9
; %bb.101:
	v_bfe_u32 v19, v20, 16, 1
	s_delay_alu instid0(VALU_DEP_1)
	v_add3_u32 v19, v20, v19, 0x7fff
                                        ; implicit-def: $vgpr20
; %bb.102:
	s_and_not1_saveexec_b32 s9, s7
; %bb.103:
	v_and_b32_e32 v19, 0xffff, v20
	v_or_b32_e32 v21, 0x10000, v20
	s_delay_alu instid0(VALU_DEP_2) | instskip(NEXT) | instid1(VALU_DEP_1)
	v_cmp_eq_u32_e64 s7, 0, v19
	v_cndmask_b32_e64 v19, v21, v20, s7
; %bb.104:
	s_or_b32 exec_lo, exec_lo, s9
	v_cmp_lt_i32_e64 s7, -1, v18
	s_delay_alu instid0(VALU_DEP_2)
	v_perm_b32 v18, v19, v18, 0x7060302
	v_mov_b64_e32 v[30:31], v[26:27]
	s_mov_b32 s9, exec_lo
	v_mov_b32_e32 v36, v5
	v_cndmask_b32_e64 v20, -1, 0xffff8000, s7
	v_cmp_lt_i32_e64 s7, -1, v19
	s_delay_alu instid0(VALU_DEP_1) | instskip(NEXT) | instid1(VALU_DEP_1)
	v_cndmask_b32_e64 v21, -1, 0xffff8000, s7
	v_perm_b32 v19, v21, v20, 0x5040100
	s_delay_alu instid0(VALU_DEP_1) | instskip(NEXT) | instid1(VALU_DEP_1)
	v_xor_b32_e32 v18, v19, v18
	v_lshrrev_b32_e32 v19, 16, v18
	s_delay_alu instid0(VALU_DEP_1)
	v_cmpx_gt_u16_e64 v18, v19
; %bb.105:
	v_mov_b64_e32 v[30:31], v[10:11]
	v_mov_b64_e32 v[10:11], v[26:27]
	v_dual_mov_b32 v36, v34 :: v_dual_mov_b32 v34, v5
; %bb.106:
	s_or_b32 exec_lo, exec_lo, s9
	v_lshlrev_b32_e32 v5, 16, v37
	s_delay_alu instid0(VALU_DEP_1) | instskip(NEXT) | instid1(VALU_DEP_1)
	v_add_f32_e32 v18, 0, v5
	v_and_b32_e32 v5, 0x7f800000, v18
	s_delay_alu instid0(VALU_DEP_1) | instskip(SKIP_1) | instid1(SALU_CYCLE_1)
	v_cmp_ne_u32_e64 s7, 0x7f800000, v5
                                        ; implicit-def: $vgpr5
	s_and_saveexec_b32 s9, s7
	s_xor_b32 s7, exec_lo, s9
; %bb.107:
	v_bfe_u32 v5, v18, 16, 1
	s_delay_alu instid0(VALU_DEP_1)
	v_add3_u32 v5, v18, v5, 0x7fff
                                        ; implicit-def: $vgpr18
; %bb.108:
	s_and_not1_saveexec_b32 s9, s7
; %bb.109:
	v_and_b32_e32 v5, 0xffff, v18
	v_or_b32_e32 v19, 0x10000, v18
	s_delay_alu instid0(VALU_DEP_2) | instskip(NEXT) | instid1(VALU_DEP_1)
	v_cmp_eq_u32_e64 s7, 0, v5
	v_cndmask_b32_e64 v5, v19, v18, s7
; %bb.110:
	s_or_b32 exec_lo, exec_lo, s9
	v_lshlrev_b32_e32 v18, 16, v48
	s_delay_alu instid0(VALU_DEP_1) | instskip(NEXT) | instid1(VALU_DEP_1)
	v_add_f32_e32 v19, 0, v18
	v_and_b32_e32 v18, 0x7f800000, v19
	s_delay_alu instid0(VALU_DEP_1) | instskip(SKIP_1) | instid1(SALU_CYCLE_1)
	v_cmp_ne_u32_e64 s7, 0x7f800000, v18
                                        ; implicit-def: $vgpr18
	s_and_saveexec_b32 s9, s7
	s_xor_b32 s7, exec_lo, s9
; %bb.111:
	v_bfe_u32 v18, v19, 16, 1
	s_delay_alu instid0(VALU_DEP_1)
	v_add3_u32 v18, v19, v18, 0x7fff
                                        ; implicit-def: $vgpr19
; %bb.112:
	s_and_not1_saveexec_b32 s9, s7
; %bb.113:
	v_and_b32_e32 v18, 0xffff, v19
	v_or_b32_e32 v20, 0x10000, v19
	s_delay_alu instid0(VALU_DEP_2) | instskip(NEXT) | instid1(VALU_DEP_1)
	v_cmp_eq_u32_e64 s7, 0, v18
	v_cndmask_b32_e64 v18, v20, v19, s7
; %bb.114:
	s_or_b32 exec_lo, exec_lo, s9
	v_cmp_lt_i32_e64 s7, -1, v5
	s_delay_alu instid0(VALU_DEP_2)
	v_perm_b32 v5, v18, v5, 0x7060302
	v_mov_b64_e32 v[26:27], v[28:29]
	s_mov_b32 s9, exec_lo
	v_mov_b32_e32 v51, v48
	v_cndmask_b32_e64 v19, -1, 0xffff8000, s7
	v_cmp_lt_i32_e64 s7, -1, v18
	s_delay_alu instid0(VALU_DEP_1) | instskip(NEXT) | instid1(VALU_DEP_1)
	v_cndmask_b32_e64 v20, -1, 0xffff8000, s7
	v_perm_b32 v18, v20, v19, 0x5040100
	s_delay_alu instid0(VALU_DEP_1) | instskip(NEXT) | instid1(VALU_DEP_1)
	v_xor_b32_e32 v5, v18, v5
	v_lshrrev_b32_e32 v18, 16, v5
	s_delay_alu instid0(VALU_DEP_1)
	v_cmpx_gt_u16_e64 v5, v18
; %bb.115:
	v_mov_b64_e32 v[26:27], v[24:25]
	v_mov_b64_e32 v[24:25], v[28:29]
	v_dual_mov_b32 v51, v37 :: v_dual_mov_b32 v37, v48
; %bb.116:
	s_or_b32 exec_lo, exec_lo, s9
	v_lshlrev_b32_e32 v5, 16, v49
	s_delay_alu instid0(VALU_DEP_1) | instskip(NEXT) | instid1(VALU_DEP_1)
	v_add_f32_e32 v18, 0, v5
	v_and_b32_e32 v5, 0x7f800000, v18
	s_delay_alu instid0(VALU_DEP_1) | instskip(SKIP_1) | instid1(SALU_CYCLE_1)
	v_cmp_ne_u32_e64 s7, 0x7f800000, v5
                                        ; implicit-def: $vgpr5
	s_and_saveexec_b32 s9, s7
	s_xor_b32 s7, exec_lo, s9
; %bb.117:
	v_bfe_u32 v5, v18, 16, 1
	s_delay_alu instid0(VALU_DEP_1)
	v_add3_u32 v5, v18, v5, 0x7fff
                                        ; implicit-def: $vgpr18
; %bb.118:
	s_and_not1_saveexec_b32 s9, s7
; %bb.119:
	v_and_b32_e32 v5, 0xffff, v18
	v_or_b32_e32 v19, 0x10000, v18
	s_delay_alu instid0(VALU_DEP_2) | instskip(NEXT) | instid1(VALU_DEP_1)
	v_cmp_eq_u32_e64 s7, 0, v5
	v_cndmask_b32_e64 v5, v19, v18, s7
; %bb.120:
	s_or_b32 exec_lo, exec_lo, s9
	v_lshlrev_b32_e32 v18, 16, v38
	s_delay_alu instid0(VALU_DEP_1) | instskip(NEXT) | instid1(VALU_DEP_1)
	v_add_f32_e32 v19, 0, v18
	v_and_b32_e32 v18, 0x7f800000, v19
	s_delay_alu instid0(VALU_DEP_1) | instskip(SKIP_1) | instid1(SALU_CYCLE_1)
	v_cmp_ne_u32_e64 s7, 0x7f800000, v18
                                        ; implicit-def: $vgpr18
	s_and_saveexec_b32 s9, s7
	s_xor_b32 s7, exec_lo, s9
; %bb.121:
	v_bfe_u32 v18, v19, 16, 1
	s_delay_alu instid0(VALU_DEP_1)
	v_add3_u32 v18, v19, v18, 0x7fff
                                        ; implicit-def: $vgpr19
; %bb.122:
	s_and_not1_saveexec_b32 s9, s7
; %bb.123:
	v_and_b32_e32 v18, 0xffff, v19
	v_or_b32_e32 v20, 0x10000, v19
	s_delay_alu instid0(VALU_DEP_2) | instskip(NEXT) | instid1(VALU_DEP_1)
	v_cmp_eq_u32_e64 s7, 0, v18
	v_cndmask_b32_e64 v18, v20, v19, s7
; %bb.124:
	s_or_b32 exec_lo, exec_lo, s9
	v_cmp_lt_i32_e64 s7, -1, v5
	s_delay_alu instid0(VALU_DEP_2) | instskip(SKIP_4) | instid1(VALU_DEP_1)
	v_perm_b32 v5, v18, v5, 0x7060302
	s_mov_b32 s9, exec_lo
	v_mov_b32_e32 v50, v49
	v_cndmask_b32_e64 v19, -1, 0xffff8000, s7
	v_cmp_lt_i32_e64 s7, -1, v18
	v_cndmask_b32_e64 v20, -1, 0xffff8000, s7
	s_delay_alu instid0(VALU_DEP_1) | instskip(NEXT) | instid1(VALU_DEP_1)
	v_perm_b32 v18, v20, v19, 0x5040100
	v_xor_b32_e32 v5, v18, v5
	v_mov_b64_e32 v[18:19], v[12:13]
	s_delay_alu instid0(VALU_DEP_2) | instskip(NEXT) | instid1(VALU_DEP_1)
	v_lshrrev_b32_e32 v20, 16, v5
	v_cmpx_gt_u16_e64 v5, v20
; %bb.125:
	v_mov_b64_e32 v[18:19], v[22:23]
	v_mov_b64_e32 v[22:23], v[12:13]
	v_dual_mov_b32 v50, v38 :: v_dual_mov_b32 v38, v49
; %bb.126:
	s_or_b32 exec_lo, exec_lo, s9
	v_lshlrev_b32_e32 v5, 16, v39
	s_delay_alu instid0(VALU_DEP_1) | instskip(NEXT) | instid1(VALU_DEP_1)
	v_add_f32_e32 v12, 0, v5
	v_and_b32_e32 v5, 0x7f800000, v12
	s_delay_alu instid0(VALU_DEP_1) | instskip(SKIP_1) | instid1(SALU_CYCLE_1)
	v_cmp_ne_u32_e64 s7, 0x7f800000, v5
                                        ; implicit-def: $vgpr5
	s_and_saveexec_b32 s9, s7
	s_xor_b32 s7, exec_lo, s9
; %bb.127:
	v_bfe_u32 v5, v12, 16, 1
	s_delay_alu instid0(VALU_DEP_1)
	v_add3_u32 v5, v12, v5, 0x7fff
                                        ; implicit-def: $vgpr12
; %bb.128:
	s_and_not1_saveexec_b32 s9, s7
; %bb.129:
	v_and_b32_e32 v5, 0xffff, v12
	v_or_b32_e32 v13, 0x10000, v12
	s_delay_alu instid0(VALU_DEP_2) | instskip(NEXT) | instid1(VALU_DEP_1)
	v_cmp_eq_u32_e64 s7, 0, v5
	v_cndmask_b32_e64 v5, v13, v12, s7
; %bb.130:
	s_or_b32 exec_lo, exec_lo, s9
	v_lshlrev_b32_e32 v12, 16, v35
	s_delay_alu instid0(VALU_DEP_1) | instskip(NEXT) | instid1(VALU_DEP_1)
	v_add_f32_e32 v13, 0, v12
	v_and_b32_e32 v12, 0x7f800000, v13
	s_delay_alu instid0(VALU_DEP_1) | instskip(SKIP_1) | instid1(SALU_CYCLE_1)
	v_cmp_ne_u32_e64 s7, 0x7f800000, v12
                                        ; implicit-def: $vgpr12
	s_and_saveexec_b32 s9, s7
	s_xor_b32 s7, exec_lo, s9
; %bb.131:
	v_bfe_u32 v12, v13, 16, 1
	s_delay_alu instid0(VALU_DEP_1)
	v_add3_u32 v12, v13, v12, 0x7fff
                                        ; implicit-def: $vgpr13
; %bb.132:
	s_and_not1_saveexec_b32 s9, s7
; %bb.133:
	v_and_b32_e32 v12, 0xffff, v13
	v_or_b32_e32 v20, 0x10000, v13
	s_delay_alu instid0(VALU_DEP_2) | instskip(NEXT) | instid1(VALU_DEP_1)
	v_cmp_eq_u32_e64 s7, 0, v12
	v_cndmask_b32_e64 v12, v20, v13, s7
; %bb.134:
	s_or_b32 exec_lo, exec_lo, s9
	v_cmp_lt_i32_e64 s7, -1, v5
	s_delay_alu instid0(VALU_DEP_2) | instskip(SKIP_4) | instid1(VALU_DEP_1)
	v_perm_b32 v5, v12, v5, 0x7060302
	s_mov_b32 s9, exec_lo
	v_mov_b32_e32 v48, v39
	v_cndmask_b32_e64 v13, -1, 0xffff8000, s7
	v_cmp_lt_i32_e64 s7, -1, v12
	v_cndmask_b32_e64 v20, -1, 0xffff8000, s7
	s_delay_alu instid0(VALU_DEP_1) | instskip(NEXT) | instid1(VALU_DEP_1)
	v_perm_b32 v12, v20, v13, 0x5040100
	v_xor_b32_e32 v5, v12, v5
	v_mov_b64_e32 v[12:13], v[16:17]
	s_delay_alu instid0(VALU_DEP_2) | instskip(NEXT) | instid1(VALU_DEP_1)
	v_lshrrev_b32_e32 v20, 16, v5
	v_cmpx_gt_u16_e64 v5, v20
; %bb.135:
	v_mov_b64_e32 v[12:13], v[14:15]
	v_mov_b64_e32 v[14:15], v[16:17]
	v_dual_mov_b32 v48, v35 :: v_dual_mov_b32 v35, v39
; %bb.136:
	s_or_b32 exec_lo, exec_lo, s9
	v_lshlrev_b32_e32 v5, 16, v36
	s_delay_alu instid0(VALU_DEP_1) | instskip(NEXT) | instid1(VALU_DEP_1)
	v_add_f32_e32 v16, 0, v5
	v_and_b32_e32 v5, 0x7f800000, v16
	s_delay_alu instid0(VALU_DEP_1) | instskip(SKIP_1) | instid1(SALU_CYCLE_1)
	v_cmp_ne_u32_e64 s7, 0x7f800000, v5
                                        ; implicit-def: $vgpr5
	s_and_saveexec_b32 s9, s7
	s_xor_b32 s7, exec_lo, s9
; %bb.137:
	v_bfe_u32 v5, v16, 16, 1
	s_delay_alu instid0(VALU_DEP_1)
	v_add3_u32 v5, v16, v5, 0x7fff
                                        ; implicit-def: $vgpr16
; %bb.138:
	s_and_not1_saveexec_b32 s9, s7
; %bb.139:
	v_and_b32_e32 v5, 0xffff, v16
	v_or_b32_e32 v17, 0x10000, v16
	s_delay_alu instid0(VALU_DEP_2) | instskip(NEXT) | instid1(VALU_DEP_1)
	v_cmp_eq_u32_e64 s7, 0, v5
	v_cndmask_b32_e64 v5, v17, v16, s7
; %bb.140:
	s_or_b32 exec_lo, exec_lo, s9
	v_lshlrev_b32_e32 v16, 16, v37
	s_delay_alu instid0(VALU_DEP_1) | instskip(NEXT) | instid1(VALU_DEP_1)
	v_add_f32_e32 v17, 0, v16
	v_and_b32_e32 v16, 0x7f800000, v17
	s_delay_alu instid0(VALU_DEP_1) | instskip(SKIP_1) | instid1(SALU_CYCLE_1)
	v_cmp_ne_u32_e64 s7, 0x7f800000, v16
                                        ; implicit-def: $vgpr16
	s_and_saveexec_b32 s9, s7
	s_xor_b32 s7, exec_lo, s9
; %bb.141:
	v_bfe_u32 v16, v17, 16, 1
	s_delay_alu instid0(VALU_DEP_1)
	v_add3_u32 v16, v17, v16, 0x7fff
                                        ; implicit-def: $vgpr17
; %bb.142:
	s_and_not1_saveexec_b32 s9, s7
; %bb.143:
	v_and_b32_e32 v16, 0xffff, v17
	v_or_b32_e32 v20, 0x10000, v17
	s_delay_alu instid0(VALU_DEP_2) | instskip(NEXT) | instid1(VALU_DEP_1)
	v_cmp_eq_u32_e64 s7, 0, v16
	v_cndmask_b32_e64 v16, v20, v17, s7
; %bb.144:
	s_or_b32 exec_lo, exec_lo, s9
	v_cmp_lt_i32_e64 s7, -1, v5
	s_delay_alu instid0(VALU_DEP_2) | instskip(SKIP_4) | instid1(VALU_DEP_1)
	v_perm_b32 v5, v16, v5, 0x7060302
	v_mov_b64_e32 v[28:29], v[24:25]
	s_mov_b32 s9, exec_lo
	v_cndmask_b32_e64 v17, -1, 0xffff8000, s7
	v_cmp_lt_i32_e64 s7, -1, v16
	v_cndmask_b32_e64 v20, -1, 0xffff8000, s7
	s_delay_alu instid0(VALU_DEP_1) | instskip(NEXT) | instid1(VALU_DEP_1)
	v_perm_b32 v16, v20, v17, 0x5040100
	v_dual_mov_b32 v5, v37 :: v_dual_bitop2_b32 v16, v16, v5 bitop3:0x14
	s_delay_alu instid0(VALU_DEP_1) | instskip(NEXT) | instid1(VALU_DEP_1)
	v_lshrrev_b32_e32 v17, 16, v16
	v_cmpx_gt_u16_e64 v16, v17
; %bb.145:
	v_mov_b64_e32 v[28:29], v[30:31]
	v_mov_b64_e32 v[30:31], v[24:25]
	v_dual_mov_b32 v5, v36 :: v_dual_mov_b32 v36, v37
; %bb.146:
	s_or_b32 exec_lo, exec_lo, s9
	v_lshlrev_b32_e32 v16, 16, v51
	s_delay_alu instid0(VALU_DEP_1) | instskip(NEXT) | instid1(VALU_DEP_1)
	v_add_f32_e32 v17, 0, v16
	v_and_b32_e32 v16, 0x7f800000, v17
	s_delay_alu instid0(VALU_DEP_1) | instskip(SKIP_1) | instid1(SALU_CYCLE_1)
	v_cmp_ne_u32_e64 s7, 0x7f800000, v16
                                        ; implicit-def: $vgpr16
	s_and_saveexec_b32 s9, s7
	s_xor_b32 s7, exec_lo, s9
; %bb.147:
	v_bfe_u32 v16, v17, 16, 1
	s_delay_alu instid0(VALU_DEP_1)
	v_add3_u32 v16, v17, v16, 0x7fff
                                        ; implicit-def: $vgpr17
; %bb.148:
	s_and_not1_saveexec_b32 s9, s7
; %bb.149:
	v_and_b32_e32 v16, 0xffff, v17
	v_or_b32_e32 v20, 0x10000, v17
	s_delay_alu instid0(VALU_DEP_2) | instskip(NEXT) | instid1(VALU_DEP_1)
	v_cmp_eq_u32_e64 s7, 0, v16
	v_cndmask_b32_e64 v16, v20, v17, s7
; %bb.150:
	s_or_b32 exec_lo, exec_lo, s9
	v_lshlrev_b32_e32 v17, 16, v50
	s_delay_alu instid0(VALU_DEP_1) | instskip(NEXT) | instid1(VALU_DEP_1)
	v_add_f32_e32 v20, 0, v17
	v_and_b32_e32 v17, 0x7f800000, v20
	s_delay_alu instid0(VALU_DEP_1) | instskip(SKIP_1) | instid1(SALU_CYCLE_1)
	v_cmp_ne_u32_e64 s7, 0x7f800000, v17
                                        ; implicit-def: $vgpr17
	s_and_saveexec_b32 s9, s7
	s_xor_b32 s7, exec_lo, s9
; %bb.151:
	v_bfe_u32 v17, v20, 16, 1
	s_delay_alu instid0(VALU_DEP_1)
	v_add3_u32 v17, v20, v17, 0x7fff
                                        ; implicit-def: $vgpr20
; %bb.152:
	s_and_not1_saveexec_b32 s9, s7
; %bb.153:
	v_and_b32_e32 v17, 0xffff, v20
	v_or_b32_e32 v21, 0x10000, v20
	s_delay_alu instid0(VALU_DEP_2) | instskip(NEXT) | instid1(VALU_DEP_1)
	v_cmp_eq_u32_e64 s7, 0, v17
	v_cndmask_b32_e64 v17, v21, v20, s7
; %bb.154:
	s_or_b32 exec_lo, exec_lo, s9
	v_cmp_lt_i32_e64 s7, -1, v16
	s_delay_alu instid0(VALU_DEP_2) | instskip(SKIP_4) | instid1(VALU_DEP_1)
	v_perm_b32 v16, v17, v16, 0x7060302
	s_mov_b32 s9, exec_lo
	v_mov_b32_e32 v39, v51
	v_cndmask_b32_e64 v20, -1, 0xffff8000, s7
	v_cmp_lt_i32_e64 s7, -1, v17
	v_cndmask_b32_e64 v21, -1, 0xffff8000, s7
	s_delay_alu instid0(VALU_DEP_1) | instskip(SKIP_1) | instid1(VALU_DEP_2)
	v_perm_b32 v17, v21, v20, 0x5040100
	v_mov_b64_e32 v[20:21], v[22:23]
	v_xor_b32_e32 v16, v17, v16
	s_delay_alu instid0(VALU_DEP_1) | instskip(NEXT) | instid1(VALU_DEP_1)
	v_lshrrev_b32_e32 v17, 16, v16
	v_cmpx_gt_u16_e64 v16, v17
; %bb.155:
	v_mov_b64_e32 v[20:21], v[26:27]
	v_mov_b64_e32 v[26:27], v[22:23]
	v_dual_mov_b32 v39, v50 :: v_dual_mov_b32 v50, v51
; %bb.156:
	s_or_b32 exec_lo, exec_lo, s9
	v_lshlrev_b32_e32 v16, 16, v38
	s_delay_alu instid0(VALU_DEP_1) | instskip(NEXT) | instid1(VALU_DEP_1)
	v_add_f32_e32 v17, 0, v16
	v_and_b32_e32 v16, 0x7f800000, v17
	s_delay_alu instid0(VALU_DEP_1) | instskip(SKIP_1) | instid1(SALU_CYCLE_1)
	v_cmp_ne_u32_e64 s7, 0x7f800000, v16
                                        ; implicit-def: $vgpr16
	s_and_saveexec_b32 s9, s7
	s_xor_b32 s7, exec_lo, s9
; %bb.157:
	v_bfe_u32 v16, v17, 16, 1
	s_delay_alu instid0(VALU_DEP_1)
	v_add3_u32 v16, v17, v16, 0x7fff
                                        ; implicit-def: $vgpr17
; %bb.158:
	s_and_not1_saveexec_b32 s9, s7
; %bb.159:
	v_and_b32_e32 v16, 0xffff, v17
	v_or_b32_e32 v22, 0x10000, v17
	s_delay_alu instid0(VALU_DEP_2) | instskip(NEXT) | instid1(VALU_DEP_1)
	v_cmp_eq_u32_e64 s7, 0, v16
	v_cndmask_b32_e64 v16, v22, v17, s7
; %bb.160:
	s_or_b32 exec_lo, exec_lo, s9
	v_lshlrev_b32_e32 v17, 16, v48
	s_delay_alu instid0(VALU_DEP_1) | instskip(NEXT) | instid1(VALU_DEP_1)
	v_add_f32_e32 v22, 0, v17
	v_and_b32_e32 v17, 0x7f800000, v22
	s_delay_alu instid0(VALU_DEP_1) | instskip(SKIP_1) | instid1(SALU_CYCLE_1)
	v_cmp_ne_u32_e64 s7, 0x7f800000, v17
                                        ; implicit-def: $vgpr17
	s_and_saveexec_b32 s9, s7
	s_xor_b32 s7, exec_lo, s9
; %bb.161:
	v_bfe_u32 v17, v22, 16, 1
	s_delay_alu instid0(VALU_DEP_1)
	v_add3_u32 v17, v22, v17, 0x7fff
                                        ; implicit-def: $vgpr22
; %bb.162:
	s_and_not1_saveexec_b32 s9, s7
; %bb.163:
	v_and_b32_e32 v17, 0xffff, v22
	v_or_b32_e32 v23, 0x10000, v22
	s_delay_alu instid0(VALU_DEP_2) | instskip(NEXT) | instid1(VALU_DEP_1)
	v_cmp_eq_u32_e64 s7, 0, v17
	v_cndmask_b32_e64 v17, v23, v22, s7
; %bb.164:
	s_or_b32 exec_lo, exec_lo, s9
	v_cmp_lt_i32_e64 s7, -1, v16
	s_delay_alu instid0(VALU_DEP_2) | instskip(SKIP_4) | instid1(VALU_DEP_1)
	v_perm_b32 v16, v17, v16, 0x7060302
	s_mov_b32 s9, exec_lo
	v_mov_b32_e32 v37, v38
	v_cndmask_b32_e64 v22, -1, 0xffff8000, s7
	v_cmp_lt_i32_e64 s7, -1, v17
	v_cndmask_b32_e64 v23, -1, 0xffff8000, s7
	s_delay_alu instid0(VALU_DEP_1) | instskip(NEXT) | instid1(VALU_DEP_1)
	v_perm_b32 v17, v23, v22, 0x5040100
	v_xor_b32_e32 v22, v17, v16
	v_mov_b64_e32 v[16:17], v[14:15]
	s_delay_alu instid0(VALU_DEP_2) | instskip(NEXT) | instid1(VALU_DEP_1)
	v_lshrrev_b32_e32 v23, 16, v22
	v_cmpx_gt_u16_e64 v22, v23
; %bb.165:
	v_mov_b64_e32 v[16:17], v[18:19]
	v_mov_b64_e32 v[18:19], v[14:15]
	v_dual_mov_b32 v37, v48 :: v_dual_mov_b32 v48, v38
; %bb.166:
	s_or_b32 exec_lo, exec_lo, s9
	v_lshlrev_b32_e32 v14, 16, v34
	s_delay_alu instid0(VALU_DEP_1) | instskip(NEXT) | instid1(VALU_DEP_1)
	v_add_f32_e32 v15, 0, v14
	v_and_b32_e32 v14, 0x7f800000, v15
	s_delay_alu instid0(VALU_DEP_1) | instskip(SKIP_1) | instid1(SALU_CYCLE_1)
	v_cmp_ne_u32_e64 s7, 0x7f800000, v14
                                        ; implicit-def: $vgpr14
	s_and_saveexec_b32 s9, s7
	s_xor_b32 s7, exec_lo, s9
; %bb.167:
	v_bfe_u32 v14, v15, 16, 1
	s_delay_alu instid0(VALU_DEP_1)
	v_add3_u32 v14, v15, v14, 0x7fff
                                        ; implicit-def: $vgpr15
; %bb.168:
	s_and_not1_saveexec_b32 s9, s7
; %bb.169:
	v_and_b32_e32 v14, 0xffff, v15
	v_or_b32_e32 v22, 0x10000, v15
	s_delay_alu instid0(VALU_DEP_2) | instskip(NEXT) | instid1(VALU_DEP_1)
	v_cmp_eq_u32_e64 s7, 0, v14
	v_cndmask_b32_e64 v14, v22, v15, s7
; %bb.170:
	s_or_b32 exec_lo, exec_lo, s9
	v_lshlrev_b32_e32 v15, 16, v36
	s_delay_alu instid0(VALU_DEP_1) | instskip(NEXT) | instid1(VALU_DEP_1)
	v_add_f32_e32 v22, 0, v15
	v_and_b32_e32 v15, 0x7f800000, v22
	s_delay_alu instid0(VALU_DEP_1) | instskip(SKIP_1) | instid1(SALU_CYCLE_1)
	v_cmp_ne_u32_e64 s7, 0x7f800000, v15
                                        ; implicit-def: $vgpr15
	s_and_saveexec_b32 s9, s7
	s_xor_b32 s7, exec_lo, s9
; %bb.171:
	v_bfe_u32 v15, v22, 16, 1
	s_delay_alu instid0(VALU_DEP_1)
	v_add3_u32 v15, v22, v15, 0x7fff
                                        ; implicit-def: $vgpr22
; %bb.172:
	s_and_not1_saveexec_b32 s9, s7
; %bb.173:
	v_and_b32_e32 v15, 0xffff, v22
	v_or_b32_e32 v23, 0x10000, v22
	s_delay_alu instid0(VALU_DEP_2) | instskip(NEXT) | instid1(VALU_DEP_1)
	v_cmp_eq_u32_e64 s7, 0, v15
	v_cndmask_b32_e64 v15, v23, v22, s7
; %bb.174:
	s_or_b32 exec_lo, exec_lo, s9
	v_cmp_lt_i32_e64 s7, -1, v14
	s_delay_alu instid0(VALU_DEP_2)
	v_perm_b32 v14, v15, v14, 0x7060302
	v_mov_b64_e32 v[24:25], v[30:31]
	s_mov_b32 s9, exec_lo
	v_mov_b32_e32 v38, v36
	v_cndmask_b32_e64 v22, -1, 0xffff8000, s7
	v_cmp_lt_i32_e64 s7, -1, v15
	s_delay_alu instid0(VALU_DEP_1) | instskip(NEXT) | instid1(VALU_DEP_1)
	v_cndmask_b32_e64 v23, -1, 0xffff8000, s7
	v_perm_b32 v15, v23, v22, 0x5040100
	s_delay_alu instid0(VALU_DEP_1) | instskip(NEXT) | instid1(VALU_DEP_1)
	v_xor_b32_e32 v14, v15, v14
	v_lshrrev_b32_e32 v15, 16, v14
	s_delay_alu instid0(VALU_DEP_1)
	v_cmpx_gt_u16_e64 v14, v15
; %bb.175:
	v_mov_b64_e32 v[24:25], v[10:11]
	v_mov_b64_e32 v[10:11], v[30:31]
	v_dual_mov_b32 v38, v34 :: v_dual_mov_b32 v34, v36
; %bb.176:
	s_or_b32 exec_lo, exec_lo, s9
	v_lshlrev_b32_e32 v14, 16, v5
	s_delay_alu instid0(VALU_DEP_1) | instskip(NEXT) | instid1(VALU_DEP_1)
	v_add_f32_e32 v15, 0, v14
	v_and_b32_e32 v14, 0x7f800000, v15
	s_delay_alu instid0(VALU_DEP_1) | instskip(SKIP_1) | instid1(SALU_CYCLE_1)
	v_cmp_ne_u32_e64 s7, 0x7f800000, v14
                                        ; implicit-def: $vgpr14
	s_and_saveexec_b32 s9, s7
	s_xor_b32 s7, exec_lo, s9
; %bb.177:
	v_bfe_u32 v14, v15, 16, 1
	s_delay_alu instid0(VALU_DEP_1)
	v_add3_u32 v14, v15, v14, 0x7fff
                                        ; implicit-def: $vgpr15
; %bb.178:
	s_and_not1_saveexec_b32 s9, s7
; %bb.179:
	v_and_b32_e32 v14, 0xffff, v15
	v_or_b32_e32 v22, 0x10000, v15
	s_delay_alu instid0(VALU_DEP_2) | instskip(NEXT) | instid1(VALU_DEP_1)
	v_cmp_eq_u32_e64 s7, 0, v14
	v_cndmask_b32_e64 v14, v22, v15, s7
; %bb.180:
	s_or_b32 exec_lo, exec_lo, s9
	v_lshlrev_b32_e32 v15, 16, v39
	s_delay_alu instid0(VALU_DEP_1) | instskip(NEXT) | instid1(VALU_DEP_1)
	v_add_f32_e32 v22, 0, v15
	v_and_b32_e32 v15, 0x7f800000, v22
	s_delay_alu instid0(VALU_DEP_1) | instskip(SKIP_1) | instid1(SALU_CYCLE_1)
	v_cmp_ne_u32_e64 s7, 0x7f800000, v15
                                        ; implicit-def: $vgpr15
	s_and_saveexec_b32 s9, s7
	s_xor_b32 s7, exec_lo, s9
; %bb.181:
	v_bfe_u32 v15, v22, 16, 1
	s_delay_alu instid0(VALU_DEP_1)
	v_add3_u32 v15, v22, v15, 0x7fff
                                        ; implicit-def: $vgpr22
; %bb.182:
	s_and_not1_saveexec_b32 s9, s7
; %bb.183:
	v_and_b32_e32 v15, 0xffff, v22
	v_or_b32_e32 v23, 0x10000, v22
	s_delay_alu instid0(VALU_DEP_2) | instskip(NEXT) | instid1(VALU_DEP_1)
	v_cmp_eq_u32_e64 s7, 0, v15
	v_cndmask_b32_e64 v15, v23, v22, s7
; %bb.184:
	s_or_b32 exec_lo, exec_lo, s9
	v_cmp_lt_i32_e64 s7, -1, v14
	s_delay_alu instid0(VALU_DEP_2)
	v_perm_b32 v14, v15, v14, 0x7060302
	v_mov_b64_e32 v[30:31], v[26:27]
	s_mov_b32 s9, exec_lo
	v_mov_b32_e32 v36, v39
	v_cndmask_b32_e64 v22, -1, 0xffff8000, s7
	v_cmp_lt_i32_e64 s7, -1, v15
	s_delay_alu instid0(VALU_DEP_1) | instskip(NEXT) | instid1(VALU_DEP_1)
	v_cndmask_b32_e64 v23, -1, 0xffff8000, s7
	v_perm_b32 v15, v23, v22, 0x5040100
	s_delay_alu instid0(VALU_DEP_1) | instskip(NEXT) | instid1(VALU_DEP_1)
	v_xor_b32_e32 v14, v15, v14
	v_lshrrev_b32_e32 v15, 16, v14
	s_delay_alu instid0(VALU_DEP_1)
	v_cmpx_gt_u16_e64 v14, v15
; %bb.185:
	v_mov_b64_e32 v[30:31], v[28:29]
	v_mov_b64_e32 v[28:29], v[26:27]
	v_dual_mov_b32 v36, v5 :: v_dual_mov_b32 v5, v39
; %bb.186:
	s_or_b32 exec_lo, exec_lo, s9
	v_lshlrev_b32_e32 v14, 16, v50
	s_delay_alu instid0(VALU_DEP_1) | instskip(NEXT) | instid1(VALU_DEP_1)
	v_add_f32_e32 v15, 0, v14
	v_and_b32_e32 v14, 0x7f800000, v15
	s_delay_alu instid0(VALU_DEP_1) | instskip(SKIP_1) | instid1(SALU_CYCLE_1)
	v_cmp_ne_u32_e64 s7, 0x7f800000, v14
                                        ; implicit-def: $vgpr14
	s_and_saveexec_b32 s9, s7
	s_xor_b32 s7, exec_lo, s9
; %bb.187:
	v_bfe_u32 v14, v15, 16, 1
	s_delay_alu instid0(VALU_DEP_1)
	v_add3_u32 v14, v15, v14, 0x7fff
                                        ; implicit-def: $vgpr15
; %bb.188:
	s_and_not1_saveexec_b32 s9, s7
; %bb.189:
	v_and_b32_e32 v14, 0xffff, v15
	v_or_b32_e32 v22, 0x10000, v15
	s_delay_alu instid0(VALU_DEP_2) | instskip(NEXT) | instid1(VALU_DEP_1)
	v_cmp_eq_u32_e64 s7, 0, v14
	v_cndmask_b32_e64 v14, v22, v15, s7
; %bb.190:
	s_or_b32 exec_lo, exec_lo, s9
	v_lshlrev_b32_e32 v15, 16, v37
	s_delay_alu instid0(VALU_DEP_1) | instskip(NEXT) | instid1(VALU_DEP_1)
	v_add_f32_e32 v22, 0, v15
	v_and_b32_e32 v15, 0x7f800000, v22
	s_delay_alu instid0(VALU_DEP_1) | instskip(SKIP_1) | instid1(SALU_CYCLE_1)
	v_cmp_ne_u32_e64 s7, 0x7f800000, v15
                                        ; implicit-def: $vgpr15
	s_and_saveexec_b32 s9, s7
	s_xor_b32 s7, exec_lo, s9
; %bb.191:
	v_bfe_u32 v15, v22, 16, 1
	s_delay_alu instid0(VALU_DEP_1)
	v_add3_u32 v15, v22, v15, 0x7fff
                                        ; implicit-def: $vgpr22
; %bb.192:
	s_and_not1_saveexec_b32 s9, s7
; %bb.193:
	v_and_b32_e32 v15, 0xffff, v22
	v_or_b32_e32 v23, 0x10000, v22
	s_delay_alu instid0(VALU_DEP_2) | instskip(NEXT) | instid1(VALU_DEP_1)
	v_cmp_eq_u32_e64 s7, 0, v15
	v_cndmask_b32_e64 v15, v23, v22, s7
; %bb.194:
	s_or_b32 exec_lo, exec_lo, s9
	v_cmp_lt_i32_e64 s7, -1, v14
	s_delay_alu instid0(VALU_DEP_2) | instskip(SKIP_4) | instid1(VALU_DEP_1)
	v_perm_b32 v14, v15, v14, 0x7060302
	s_mov_b32 s9, exec_lo
	v_mov_b32_e32 v51, v50
	v_cndmask_b32_e64 v22, -1, 0xffff8000, s7
	v_cmp_lt_i32_e64 s7, -1, v15
	v_cndmask_b32_e64 v23, -1, 0xffff8000, s7
	s_delay_alu instid0(VALU_DEP_1) | instskip(SKIP_1) | instid1(VALU_DEP_2)
	v_perm_b32 v15, v23, v22, 0x5040100
	v_mov_b64_e32 v[22:23], v[18:19]
	v_xor_b32_e32 v14, v15, v14
	s_delay_alu instid0(VALU_DEP_1) | instskip(NEXT) | instid1(VALU_DEP_1)
	v_lshrrev_b32_e32 v15, 16, v14
	v_cmpx_gt_u16_e64 v14, v15
; %bb.195:
	v_mov_b64_e32 v[22:23], v[20:21]
	v_mov_b64_e32 v[20:21], v[18:19]
	v_dual_mov_b32 v51, v37 :: v_dual_mov_b32 v37, v50
; %bb.196:
	s_or_b32 exec_lo, exec_lo, s9
	v_lshlrev_b32_e32 v14, 16, v48
	s_delay_alu instid0(VALU_DEP_1) | instskip(NEXT) | instid1(VALU_DEP_1)
	v_add_f32_e32 v15, 0, v14
	v_and_b32_e32 v14, 0x7f800000, v15
	s_delay_alu instid0(VALU_DEP_1) | instskip(SKIP_1) | instid1(SALU_CYCLE_1)
	v_cmp_ne_u32_e64 s7, 0x7f800000, v14
                                        ; implicit-def: $vgpr14
	s_and_saveexec_b32 s9, s7
	s_xor_b32 s7, exec_lo, s9
; %bb.197:
	v_bfe_u32 v14, v15, 16, 1
	s_delay_alu instid0(VALU_DEP_1)
	v_add3_u32 v14, v15, v14, 0x7fff
                                        ; implicit-def: $vgpr15
; %bb.198:
	s_and_not1_saveexec_b32 s9, s7
; %bb.199:
	v_and_b32_e32 v14, 0xffff, v15
	v_or_b32_e32 v18, 0x10000, v15
	s_delay_alu instid0(VALU_DEP_2) | instskip(NEXT) | instid1(VALU_DEP_1)
	v_cmp_eq_u32_e64 s7, 0, v14
	v_cndmask_b32_e64 v14, v18, v15, s7
; %bb.200:
	s_or_b32 exec_lo, exec_lo, s9
	v_lshlrev_b32_e32 v15, 16, v35
	s_delay_alu instid0(VALU_DEP_1) | instskip(NEXT) | instid1(VALU_DEP_1)
	v_add_f32_e32 v18, 0, v15
	v_and_b32_e32 v15, 0x7f800000, v18
	s_delay_alu instid0(VALU_DEP_1) | instskip(SKIP_1) | instid1(SALU_CYCLE_1)
	v_cmp_ne_u32_e64 s7, 0x7f800000, v15
                                        ; implicit-def: $vgpr15
	s_and_saveexec_b32 s9, s7
	s_xor_b32 s7, exec_lo, s9
; %bb.201:
	v_bfe_u32 v15, v18, 16, 1
	s_delay_alu instid0(VALU_DEP_1)
	v_add3_u32 v15, v18, v15, 0x7fff
                                        ; implicit-def: $vgpr18
; %bb.202:
	s_and_not1_saveexec_b32 s9, s7
; %bb.203:
	v_and_b32_e32 v15, 0xffff, v18
	v_or_b32_e32 v19, 0x10000, v18
	s_delay_alu instid0(VALU_DEP_2) | instskip(NEXT) | instid1(VALU_DEP_1)
	v_cmp_eq_u32_e64 s7, 0, v15
	v_cndmask_b32_e64 v15, v19, v18, s7
; %bb.204:
	s_or_b32 exec_lo, exec_lo, s9
	v_cmp_lt_i32_e64 s7, -1, v14
	s_delay_alu instid0(VALU_DEP_2) | instskip(SKIP_4) | instid1(VALU_DEP_1)
	v_perm_b32 v14, v15, v14, 0x7060302
	s_mov_b32 s9, exec_lo
	v_mov_b32_e32 v49, v48
	v_cndmask_b32_e64 v18, -1, 0xffff8000, s7
	v_cmp_lt_i32_e64 s7, -1, v15
	v_cndmask_b32_e64 v19, -1, 0xffff8000, s7
	s_delay_alu instid0(VALU_DEP_1) | instskip(NEXT) | instid1(VALU_DEP_1)
	v_perm_b32 v15, v19, v18, 0x5040100
	v_xor_b32_e32 v18, v15, v14
	v_mov_b64_e32 v[14:15], v[12:13]
	s_delay_alu instid0(VALU_DEP_2) | instskip(NEXT) | instid1(VALU_DEP_1)
	v_lshrrev_b32_e32 v19, 16, v18
	v_cmpx_gt_u16_e64 v18, v19
; %bb.205:
	v_mov_b64_e32 v[14:15], v[16:17]
	v_mov_b64_e32 v[16:17], v[12:13]
	v_dual_mov_b32 v49, v35 :: v_dual_mov_b32 v35, v48
; %bb.206:
	s_or_b32 exec_lo, exec_lo, s9
	v_lshlrev_b32_e32 v12, 16, v38
	s_delay_alu instid0(VALU_DEP_1) | instskip(NEXT) | instid1(VALU_DEP_1)
	v_add_f32_e32 v13, 0, v12
	v_and_b32_e32 v12, 0x7f800000, v13
	s_delay_alu instid0(VALU_DEP_1) | instskip(SKIP_1) | instid1(SALU_CYCLE_1)
	v_cmp_ne_u32_e64 s7, 0x7f800000, v12
                                        ; implicit-def: $vgpr12
	s_and_saveexec_b32 s9, s7
	s_xor_b32 s7, exec_lo, s9
; %bb.207:
	v_bfe_u32 v12, v13, 16, 1
	s_delay_alu instid0(VALU_DEP_1)
	v_add3_u32 v12, v13, v12, 0x7fff
                                        ; implicit-def: $vgpr13
; %bb.208:
	s_and_not1_saveexec_b32 s9, s7
; %bb.209:
	v_and_b32_e32 v12, 0xffff, v13
	v_or_b32_e32 v18, 0x10000, v13
	s_delay_alu instid0(VALU_DEP_2) | instskip(NEXT) | instid1(VALU_DEP_1)
	v_cmp_eq_u32_e64 s7, 0, v12
	v_cndmask_b32_e64 v12, v18, v13, s7
; %bb.210:
	s_or_b32 exec_lo, exec_lo, s9
	v_lshlrev_b32_e32 v13, 16, v5
	s_delay_alu instid0(VALU_DEP_1) | instskip(NEXT) | instid1(VALU_DEP_1)
	v_add_f32_e32 v18, 0, v13
	v_and_b32_e32 v13, 0x7f800000, v18
	s_delay_alu instid0(VALU_DEP_1) | instskip(SKIP_1) | instid1(SALU_CYCLE_1)
	v_cmp_ne_u32_e64 s7, 0x7f800000, v13
                                        ; implicit-def: $vgpr13
	s_and_saveexec_b32 s9, s7
	s_xor_b32 s7, exec_lo, s9
; %bb.211:
	v_bfe_u32 v13, v18, 16, 1
	s_delay_alu instid0(VALU_DEP_1)
	v_add3_u32 v13, v18, v13, 0x7fff
                                        ; implicit-def: $vgpr18
; %bb.212:
	s_and_not1_saveexec_b32 s9, s7
; %bb.213:
	v_and_b32_e32 v13, 0xffff, v18
	v_or_b32_e32 v19, 0x10000, v18
	s_delay_alu instid0(VALU_DEP_2) | instskip(NEXT) | instid1(VALU_DEP_1)
	v_cmp_eq_u32_e64 s7, 0, v13
	v_cndmask_b32_e64 v13, v19, v18, s7
; %bb.214:
	s_or_b32 exec_lo, exec_lo, s9
	v_cmp_lt_i32_e64 s7, -1, v12
	s_delay_alu instid0(VALU_DEP_2) | instskip(SKIP_4) | instid1(VALU_DEP_1)
	v_perm_b32 v12, v13, v12, 0x7060302
	s_mov_b32 s9, exec_lo
	v_mov_b32_e32 v48, v5
	v_cndmask_b32_e64 v18, -1, 0xffff8000, s7
	v_cmp_lt_i32_e64 s7, -1, v13
	v_cndmask_b32_e64 v19, -1, 0xffff8000, s7
	s_delay_alu instid0(VALU_DEP_1) | instskip(SKIP_1) | instid1(VALU_DEP_2)
	v_perm_b32 v13, v19, v18, 0x5040100
	v_mov_b64_e32 v[18:19], v[28:29]
	v_xor_b32_e32 v12, v13, v12
	s_delay_alu instid0(VALU_DEP_1) | instskip(NEXT) | instid1(VALU_DEP_1)
	v_lshrrev_b32_e32 v13, 16, v12
	v_cmpx_gt_u16_e64 v12, v13
; %bb.215:
	v_mov_b64_e32 v[18:19], v[24:25]
	v_mov_b64_e32 v[24:25], v[28:29]
	v_dual_mov_b32 v48, v38 :: v_dual_mov_b32 v38, v5
; %bb.216:
	s_or_b32 exec_lo, exec_lo, s9
	v_lshlrev_b32_e32 v5, 16, v36
	s_delay_alu instid0(VALU_DEP_1) | instskip(NEXT) | instid1(VALU_DEP_1)
	v_add_f32_e32 v12, 0, v5
	v_and_b32_e32 v5, 0x7f800000, v12
	s_delay_alu instid0(VALU_DEP_1) | instskip(SKIP_1) | instid1(SALU_CYCLE_1)
	v_cmp_ne_u32_e64 s7, 0x7f800000, v5
                                        ; implicit-def: $vgpr5
	s_and_saveexec_b32 s9, s7
	s_xor_b32 s7, exec_lo, s9
; %bb.217:
	v_bfe_u32 v5, v12, 16, 1
	s_delay_alu instid0(VALU_DEP_1)
	v_add3_u32 v5, v12, v5, 0x7fff
                                        ; implicit-def: $vgpr12
; %bb.218:
	s_and_not1_saveexec_b32 s9, s7
; %bb.219:
	v_and_b32_e32 v5, 0xffff, v12
	v_or_b32_e32 v13, 0x10000, v12
	s_delay_alu instid0(VALU_DEP_2) | instskip(NEXT) | instid1(VALU_DEP_1)
	v_cmp_eq_u32_e64 s7, 0, v5
	v_cndmask_b32_e64 v5, v13, v12, s7
; %bb.220:
	s_or_b32 exec_lo, exec_lo, s9
	v_lshlrev_b32_e32 v12, 16, v51
	s_delay_alu instid0(VALU_DEP_1) | instskip(NEXT) | instid1(VALU_DEP_1)
	v_add_f32_e32 v13, 0, v12
	v_and_b32_e32 v12, 0x7f800000, v13
	s_delay_alu instid0(VALU_DEP_1) | instskip(SKIP_1) | instid1(SALU_CYCLE_1)
	v_cmp_ne_u32_e64 s7, 0x7f800000, v12
                                        ; implicit-def: $vgpr12
	s_and_saveexec_b32 s9, s7
	s_xor_b32 s7, exec_lo, s9
; %bb.221:
	v_bfe_u32 v12, v13, 16, 1
	s_delay_alu instid0(VALU_DEP_1)
	v_add3_u32 v12, v13, v12, 0x7fff
                                        ; implicit-def: $vgpr13
; %bb.222:
	s_and_not1_saveexec_b32 s9, s7
; %bb.223:
	v_and_b32_e32 v12, 0xffff, v13
	v_or_b32_e32 v26, 0x10000, v13
	s_delay_alu instid0(VALU_DEP_2) | instskip(NEXT) | instid1(VALU_DEP_1)
	v_cmp_eq_u32_e64 s7, 0, v12
	v_cndmask_b32_e64 v12, v26, v13, s7
; %bb.224:
	s_or_b32 exec_lo, exec_lo, s9
	v_cmp_lt_i32_e64 s7, -1, v5
	s_delay_alu instid0(VALU_DEP_2) | instskip(SKIP_4) | instid1(VALU_DEP_1)
	v_perm_b32 v5, v12, v5, 0x7060302
	s_mov_b32 s9, exec_lo
	v_mov_b32_e32 v28, v36
	v_cndmask_b32_e64 v13, -1, 0xffff8000, s7
	v_cmp_lt_i32_e64 s7, -1, v12
	v_cndmask_b32_e64 v26, -1, 0xffff8000, s7
	s_delay_alu instid0(VALU_DEP_1) | instskip(SKIP_1) | instid1(VALU_DEP_2)
	v_perm_b32 v12, v26, v13, 0x5040100
	v_mov_b64_e32 v[26:27], v[20:21]
	v_xor_b32_e32 v5, v12, v5
	s_delay_alu instid0(VALU_DEP_1) | instskip(NEXT) | instid1(VALU_DEP_1)
	v_lshrrev_b32_e32 v12, 16, v5
	v_cmpx_gt_u16_e64 v5, v12
; %bb.225:
	v_mov_b64_e32 v[26:27], v[30:31]
	v_mov_b64_e32 v[30:31], v[20:21]
	v_dual_mov_b32 v28, v51 :: v_dual_mov_b32 v51, v36
; %bb.226:
	s_or_b32 exec_lo, exec_lo, s9
	v_lshlrev_b32_e32 v5, 16, v37
	s_delay_alu instid0(VALU_DEP_1) | instskip(NEXT) | instid1(VALU_DEP_1)
	v_add_f32_e32 v12, 0, v5
	v_and_b32_e32 v5, 0x7f800000, v12
	s_delay_alu instid0(VALU_DEP_1) | instskip(SKIP_1) | instid1(SALU_CYCLE_1)
	v_cmp_ne_u32_e64 s7, 0x7f800000, v5
                                        ; implicit-def: $vgpr5
	s_and_saveexec_b32 s9, s7
	s_xor_b32 s7, exec_lo, s9
; %bb.227:
	v_bfe_u32 v5, v12, 16, 1
	s_delay_alu instid0(VALU_DEP_1)
	v_add3_u32 v5, v12, v5, 0x7fff
                                        ; implicit-def: $vgpr12
; %bb.228:
	s_and_not1_saveexec_b32 s9, s7
; %bb.229:
	v_and_b32_e32 v5, 0xffff, v12
	v_or_b32_e32 v13, 0x10000, v12
	s_delay_alu instid0(VALU_DEP_2) | instskip(NEXT) | instid1(VALU_DEP_1)
	v_cmp_eq_u32_e64 s7, 0, v5
	v_cndmask_b32_e64 v5, v13, v12, s7
; %bb.230:
	s_or_b32 exec_lo, exec_lo, s9
	v_lshlrev_b32_e32 v12, 16, v49
	s_delay_alu instid0(VALU_DEP_1) | instskip(NEXT) | instid1(VALU_DEP_1)
	v_add_f32_e32 v13, 0, v12
	v_and_b32_e32 v12, 0x7f800000, v13
	s_delay_alu instid0(VALU_DEP_1) | instskip(SKIP_1) | instid1(SALU_CYCLE_1)
	v_cmp_ne_u32_e64 s7, 0x7f800000, v12
                                        ; implicit-def: $vgpr12
	s_and_saveexec_b32 s9, s7
	s_xor_b32 s7, exec_lo, s9
; %bb.231:
	v_bfe_u32 v12, v13, 16, 1
	s_delay_alu instid0(VALU_DEP_1)
	v_add3_u32 v12, v13, v12, 0x7fff
                                        ; implicit-def: $vgpr13
; %bb.232:
	s_and_not1_saveexec_b32 s9, s7
; %bb.233:
	v_and_b32_e32 v12, 0xffff, v13
	v_or_b32_e32 v20, 0x10000, v13
	s_delay_alu instid0(VALU_DEP_2) | instskip(NEXT) | instid1(VALU_DEP_1)
	v_cmp_eq_u32_e64 s7, 0, v12
	v_cndmask_b32_e64 v12, v20, v13, s7
; %bb.234:
	s_or_b32 exec_lo, exec_lo, s9
	v_cmp_lt_i32_e64 s7, -1, v5
	s_delay_alu instid0(VALU_DEP_2) | instskip(SKIP_4) | instid1(VALU_DEP_1)
	v_perm_b32 v5, v12, v5, 0x7060302
	s_mov_b32 s9, exec_lo
	v_mov_b32_e32 v36, v37
	v_cndmask_b32_e64 v13, -1, 0xffff8000, s7
	v_cmp_lt_i32_e64 s7, -1, v12
	v_cndmask_b32_e64 v20, -1, 0xffff8000, s7
	s_delay_alu instid0(VALU_DEP_1) | instskip(SKIP_1) | instid1(VALU_DEP_2)
	v_perm_b32 v12, v20, v13, 0x5040100
	v_mov_b64_e32 v[20:21], v[16:17]
	v_xor_b32_e32 v5, v12, v5
	s_delay_alu instid0(VALU_DEP_1) | instskip(NEXT) | instid1(VALU_DEP_1)
	v_lshrrev_b32_e32 v12, 16, v5
	v_cmpx_gt_u16_e64 v5, v12
; %bb.235:
	v_mov_b64_e32 v[20:21], v[22:23]
	v_mov_b64_e32 v[22:23], v[16:17]
	v_dual_mov_b32 v36, v49 :: v_dual_mov_b32 v49, v37
; %bb.236:
	s_or_b32 exec_lo, exec_lo, s9
	v_lshlrev_b32_e32 v5, 16, v34
	s_delay_alu instid0(VALU_DEP_1) | instskip(NEXT) | instid1(VALU_DEP_1)
	v_add_f32_e32 v12, 0, v5
	v_and_b32_e32 v5, 0x7f800000, v12
	s_delay_alu instid0(VALU_DEP_1) | instskip(SKIP_1) | instid1(SALU_CYCLE_1)
	v_cmp_ne_u32_e64 s7, 0x7f800000, v5
                                        ; implicit-def: $vgpr5
	s_and_saveexec_b32 s9, s7
	s_xor_b32 s7, exec_lo, s9
; %bb.237:
	v_bfe_u32 v5, v12, 16, 1
	s_delay_alu instid0(VALU_DEP_1)
	v_add3_u32 v5, v12, v5, 0x7fff
                                        ; implicit-def: $vgpr12
; %bb.238:
	s_and_not1_saveexec_b32 s9, s7
; %bb.239:
	v_and_b32_e32 v5, 0xffff, v12
	v_or_b32_e32 v13, 0x10000, v12
	s_delay_alu instid0(VALU_DEP_2) | instskip(NEXT) | instid1(VALU_DEP_1)
	v_cmp_eq_u32_e64 s7, 0, v5
	v_cndmask_b32_e64 v5, v13, v12, s7
; %bb.240:
	s_or_b32 exec_lo, exec_lo, s9
	v_lshlrev_b32_e32 v12, 16, v38
	s_delay_alu instid0(VALU_DEP_1) | instskip(NEXT) | instid1(VALU_DEP_1)
	v_add_f32_e32 v13, 0, v12
	v_and_b32_e32 v12, 0x7f800000, v13
	s_delay_alu instid0(VALU_DEP_1) | instskip(SKIP_1) | instid1(SALU_CYCLE_1)
	v_cmp_ne_u32_e64 s7, 0x7f800000, v12
                                        ; implicit-def: $vgpr12
	s_and_saveexec_b32 s9, s7
	s_xor_b32 s7, exec_lo, s9
; %bb.241:
	v_bfe_u32 v12, v13, 16, 1
	s_delay_alu instid0(VALU_DEP_1)
	v_add3_u32 v12, v13, v12, 0x7fff
                                        ; implicit-def: $vgpr13
; %bb.242:
	s_and_not1_saveexec_b32 s9, s7
; %bb.243:
	v_and_b32_e32 v12, 0xffff, v13
	v_or_b32_e32 v16, 0x10000, v13
	s_delay_alu instid0(VALU_DEP_2) | instskip(NEXT) | instid1(VALU_DEP_1)
	v_cmp_eq_u32_e64 s7, 0, v12
	v_cndmask_b32_e64 v12, v16, v13, s7
; %bb.244:
	s_or_b32 exec_lo, exec_lo, s9
	v_cmp_lt_i32_e64 s7, -1, v5
	s_delay_alu instid0(VALU_DEP_2) | instskip(SKIP_1) | instid1(VALU_DEP_3)
	v_perm_b32 v5, v12, v5, 0x7060302
	v_mov_b32_e32 v37, v38
	v_cndmask_b32_e64 v13, -1, 0xffff8000, s7
	v_cmp_lt_i32_e64 s7, -1, v12
	s_delay_alu instid0(VALU_DEP_1) | instskip(NEXT) | instid1(VALU_DEP_1)
	v_cndmask_b32_e64 v16, -1, 0xffff8000, s7
	v_perm_b32 v12, v16, v13, 0x5040100
	s_delay_alu instid0(VALU_DEP_1) | instskip(NEXT) | instid1(VALU_DEP_1)
	v_xor_b32_e32 v5, v12, v5
	v_lshrrev_b32_e32 v12, 16, v5
	s_delay_alu instid0(VALU_DEP_1)
	v_cmp_gt_u16_e64 s7, v5, v12
	v_mov_b64_e32 v[12:13], v[24:25]
	s_and_saveexec_b32 s9, s7
; %bb.245:
	v_mov_b64_e32 v[12:13], v[10:11]
	v_mov_b64_e32 v[10:11], v[24:25]
	v_dual_mov_b32 v37, v34 :: v_dual_mov_b32 v34, v38
; %bb.246:
	s_or_b32 exec_lo, exec_lo, s9
	v_lshlrev_b32_e32 v5, 16, v48
	s_delay_alu instid0(VALU_DEP_1) | instskip(NEXT) | instid1(VALU_DEP_1)
	v_add_f32_e32 v16, 0, v5
	v_and_b32_e32 v5, 0x7f800000, v16
	s_delay_alu instid0(VALU_DEP_1) | instskip(SKIP_1) | instid1(SALU_CYCLE_1)
	v_cmp_ne_u32_e64 s7, 0x7f800000, v5
                                        ; implicit-def: $vgpr5
	s_and_saveexec_b32 s9, s7
	s_xor_b32 s7, exec_lo, s9
; %bb.247:
	v_bfe_u32 v5, v16, 16, 1
	s_delay_alu instid0(VALU_DEP_1)
	v_add3_u32 v5, v16, v5, 0x7fff
                                        ; implicit-def: $vgpr16
; %bb.248:
	s_and_not1_saveexec_b32 s9, s7
; %bb.249:
	v_and_b32_e32 v5, 0xffff, v16
	v_or_b32_e32 v17, 0x10000, v16
	s_delay_alu instid0(VALU_DEP_2) | instskip(NEXT) | instid1(VALU_DEP_1)
	v_cmp_eq_u32_e64 s7, 0, v5
	v_cndmask_b32_e64 v5, v17, v16, s7
; %bb.250:
	s_or_b32 exec_lo, exec_lo, s9
	v_lshlrev_b32_e32 v16, 16, v28
	s_delay_alu instid0(VALU_DEP_1) | instskip(NEXT) | instid1(VALU_DEP_1)
	v_add_f32_e32 v17, 0, v16
	v_and_b32_e32 v16, 0x7f800000, v17
	s_delay_alu instid0(VALU_DEP_1) | instskip(SKIP_1) | instid1(SALU_CYCLE_1)
	v_cmp_ne_u32_e64 s7, 0x7f800000, v16
                                        ; implicit-def: $vgpr16
	s_and_saveexec_b32 s9, s7
	s_xor_b32 s7, exec_lo, s9
; %bb.251:
	v_bfe_u32 v16, v17, 16, 1
	s_delay_alu instid0(VALU_DEP_1)
	v_add3_u32 v16, v17, v16, 0x7fff
                                        ; implicit-def: $vgpr17
; %bb.252:
	s_and_not1_saveexec_b32 s9, s7
; %bb.253:
	v_and_b32_e32 v16, 0xffff, v17
	v_or_b32_e32 v24, 0x10000, v17
	s_delay_alu instid0(VALU_DEP_2) | instskip(NEXT) | instid1(VALU_DEP_1)
	v_cmp_eq_u32_e64 s7, 0, v16
	v_cndmask_b32_e64 v16, v24, v17, s7
; %bb.254:
	s_or_b32 exec_lo, exec_lo, s9
	v_cmp_lt_i32_e64 s7, -1, v5
	s_delay_alu instid0(VALU_DEP_2) | instskip(NEXT) | instid1(VALU_DEP_2)
	v_perm_b32 v5, v16, v5, 0x7060302
	v_cndmask_b32_e64 v17, -1, 0xffff8000, s7
	v_cmp_lt_i32_e64 s7, -1, v16
	s_delay_alu instid0(VALU_DEP_1) | instskip(NEXT) | instid1(VALU_DEP_1)
	v_cndmask_b32_e64 v24, -1, 0xffff8000, s7
	v_perm_b32 v16, v24, v17, 0x5040100
	s_delay_alu instid0(VALU_DEP_1) | instskip(NEXT) | instid1(VALU_DEP_1)
	v_xor_b32_e32 v16, v16, v5
	v_dual_mov_b32 v5, v28 :: v_dual_lshrrev_b32 v17, 16, v16
	s_delay_alu instid0(VALU_DEP_1)
	v_cmp_gt_u16_e64 s7, v16, v17
	v_mov_b64_e32 v[16:17], v[30:31]
	s_and_saveexec_b32 s9, s7
; %bb.255:
	v_mov_b64_e32 v[16:17], v[18:19]
	v_mov_b64_e32 v[18:19], v[30:31]
	v_dual_mov_b32 v5, v48 :: v_dual_mov_b32 v48, v28
; %bb.256:
	s_or_b32 exec_lo, exec_lo, s9
	v_lshlrev_b32_e32 v24, 16, v51
	s_delay_alu instid0(VALU_DEP_1) | instskip(NEXT) | instid1(VALU_DEP_1)
	v_add_f32_e32 v25, 0, v24
	v_and_b32_e32 v24, 0x7f800000, v25
	s_delay_alu instid0(VALU_DEP_1) | instskip(SKIP_1) | instid1(SALU_CYCLE_1)
	v_cmp_ne_u32_e64 s7, 0x7f800000, v24
                                        ; implicit-def: $vgpr24
	s_and_saveexec_b32 s9, s7
	s_xor_b32 s7, exec_lo, s9
; %bb.257:
	v_bfe_u32 v24, v25, 16, 1
	s_delay_alu instid0(VALU_DEP_1)
	v_add3_u32 v24, v25, v24, 0x7fff
                                        ; implicit-def: $vgpr25
; %bb.258:
	s_and_not1_saveexec_b32 s9, s7
; %bb.259:
	v_and_b32_e32 v24, 0xffff, v25
	v_or_b32_e32 v28, 0x10000, v25
	s_delay_alu instid0(VALU_DEP_2) | instskip(NEXT) | instid1(VALU_DEP_1)
	v_cmp_eq_u32_e64 s7, 0, v24
	v_cndmask_b32_e64 v24, v28, v25, s7
; %bb.260:
	s_or_b32 exec_lo, exec_lo, s9
	v_lshlrev_b32_e32 v25, 16, v36
	s_delay_alu instid0(VALU_DEP_1) | instskip(NEXT) | instid1(VALU_DEP_1)
	v_add_f32_e32 v28, 0, v25
	v_and_b32_e32 v25, 0x7f800000, v28
	s_delay_alu instid0(VALU_DEP_1) | instskip(SKIP_1) | instid1(SALU_CYCLE_1)
	v_cmp_ne_u32_e64 s7, 0x7f800000, v25
                                        ; implicit-def: $vgpr25
	s_and_saveexec_b32 s9, s7
	s_xor_b32 s7, exec_lo, s9
; %bb.261:
	v_bfe_u32 v25, v28, 16, 1
	s_delay_alu instid0(VALU_DEP_1)
	v_add3_u32 v25, v28, v25, 0x7fff
                                        ; implicit-def: $vgpr28
; %bb.262:
	s_and_not1_saveexec_b32 s9, s7
; %bb.263:
	v_and_b32_e32 v25, 0xffff, v28
	v_or_b32_e32 v29, 0x10000, v28
	s_delay_alu instid0(VALU_DEP_2) | instskip(NEXT) | instid1(VALU_DEP_1)
	v_cmp_eq_u32_e64 s7, 0, v25
	v_cndmask_b32_e64 v25, v29, v28, s7
; %bb.264:
	s_or_b32 exec_lo, exec_lo, s9
	v_cmp_lt_i32_e64 s7, -1, v24
	s_delay_alu instid0(VALU_DEP_2) | instskip(SKIP_4) | instid1(VALU_DEP_1)
	v_perm_b32 v24, v25, v24, 0x7060302
	s_mov_b32 s9, exec_lo
	v_mov_b32_e32 v39, v51
	v_cndmask_b32_e64 v28, -1, 0xffff8000, s7
	v_cmp_lt_i32_e64 s7, -1, v25
	v_cndmask_b32_e64 v29, -1, 0xffff8000, s7
	s_delay_alu instid0(VALU_DEP_1) | instskip(SKIP_1) | instid1(VALU_DEP_2)
	v_perm_b32 v25, v29, v28, 0x5040100
	v_mov_b64_e32 v[28:29], v[22:23]
	v_xor_b32_e32 v24, v25, v24
	s_delay_alu instid0(VALU_DEP_1) | instskip(NEXT) | instid1(VALU_DEP_1)
	v_lshrrev_b32_e32 v25, 16, v24
	v_cmpx_gt_u16_e64 v24, v25
; %bb.265:
	v_mov_b64_e32 v[28:29], v[26:27]
	v_mov_b64_e32 v[26:27], v[22:23]
	v_dual_mov_b32 v39, v36 :: v_dual_mov_b32 v36, v51
; %bb.266:
	s_or_b32 exec_lo, exec_lo, s9
	v_lshlrev_b32_e32 v22, 16, v49
	s_delay_alu instid0(VALU_DEP_1) | instskip(NEXT) | instid1(VALU_DEP_1)
	v_add_f32_e32 v23, 0, v22
	v_and_b32_e32 v22, 0x7f800000, v23
	s_delay_alu instid0(VALU_DEP_1) | instskip(SKIP_1) | instid1(SALU_CYCLE_1)
	v_cmp_ne_u32_e64 s7, 0x7f800000, v22
                                        ; implicit-def: $vgpr22
	s_and_saveexec_b32 s9, s7
	s_xor_b32 s7, exec_lo, s9
; %bb.267:
	v_bfe_u32 v22, v23, 16, 1
	s_delay_alu instid0(VALU_DEP_1)
	v_add3_u32 v22, v23, v22, 0x7fff
                                        ; implicit-def: $vgpr23
; %bb.268:
	s_and_not1_saveexec_b32 s9, s7
; %bb.269:
	v_and_b32_e32 v22, 0xffff, v23
	v_or_b32_e32 v24, 0x10000, v23
	s_delay_alu instid0(VALU_DEP_2) | instskip(NEXT) | instid1(VALU_DEP_1)
	v_cmp_eq_u32_e64 s7, 0, v22
	v_cndmask_b32_e64 v22, v24, v23, s7
; %bb.270:
	s_or_b32 exec_lo, exec_lo, s9
	v_lshlrev_b32_e32 v23, 16, v35
	s_delay_alu instid0(VALU_DEP_1) | instskip(NEXT) | instid1(VALU_DEP_1)
	v_add_f32_e32 v24, 0, v23
	v_and_b32_e32 v23, 0x7f800000, v24
	s_delay_alu instid0(VALU_DEP_1) | instskip(SKIP_1) | instid1(SALU_CYCLE_1)
	v_cmp_ne_u32_e64 s7, 0x7f800000, v23
                                        ; implicit-def: $vgpr23
	s_and_saveexec_b32 s9, s7
	s_xor_b32 s7, exec_lo, s9
; %bb.271:
	v_bfe_u32 v23, v24, 16, 1
	s_delay_alu instid0(VALU_DEP_1)
	v_add3_u32 v23, v24, v23, 0x7fff
                                        ; implicit-def: $vgpr24
; %bb.272:
	s_and_not1_saveexec_b32 s9, s7
; %bb.273:
	v_and_b32_e32 v23, 0xffff, v24
	v_or_b32_e32 v25, 0x10000, v24
	s_delay_alu instid0(VALU_DEP_2) | instskip(NEXT) | instid1(VALU_DEP_1)
	v_cmp_eq_u32_e64 s7, 0, v23
	v_cndmask_b32_e64 v23, v25, v24, s7
; %bb.274:
	s_or_b32 exec_lo, exec_lo, s9
	v_cmp_lt_i32_e64 s7, -1, v22
	s_delay_alu instid0(VALU_DEP_2) | instskip(SKIP_4) | instid1(VALU_DEP_1)
	v_perm_b32 v22, v23, v22, 0x7060302
	s_mov_b32 s9, exec_lo
	v_mov_b32_e32 v30, v49
	v_cndmask_b32_e64 v24, -1, 0xffff8000, s7
	v_cmp_lt_i32_e64 s7, -1, v23
	v_cndmask_b32_e64 v25, -1, 0xffff8000, s7
	s_delay_alu instid0(VALU_DEP_1) | instskip(SKIP_1) | instid1(VALU_DEP_2)
	v_perm_b32 v23, v25, v24, 0x5040100
	v_mov_b64_e32 v[24:25], v[14:15]
	v_xor_b32_e32 v22, v23, v22
	s_delay_alu instid0(VALU_DEP_1) | instskip(NEXT) | instid1(VALU_DEP_1)
	v_lshrrev_b32_e32 v23, 16, v22
	v_cmpx_gt_u16_e64 v22, v23
; %bb.275:
	v_mov_b64_e32 v[24:25], v[20:21]
	v_mov_b64_e32 v[20:21], v[14:15]
	v_dual_mov_b32 v30, v35 :: v_dual_mov_b32 v35, v49
; %bb.276:
	s_or_b32 exec_lo, exec_lo, s9
	v_lshlrev_b32_e32 v14, 16, v37
	s_delay_alu instid0(VALU_DEP_1) | instskip(NEXT) | instid1(VALU_DEP_1)
	v_add_f32_e32 v15, 0, v14
	v_and_b32_e32 v14, 0x7f800000, v15
	s_delay_alu instid0(VALU_DEP_1) | instskip(SKIP_1) | instid1(SALU_CYCLE_1)
	v_cmp_ne_u32_e64 s7, 0x7f800000, v14
                                        ; implicit-def: $vgpr14
	s_and_saveexec_b32 s9, s7
	s_xor_b32 s7, exec_lo, s9
; %bb.277:
	v_bfe_u32 v14, v15, 16, 1
	s_delay_alu instid0(VALU_DEP_1)
	v_add3_u32 v14, v15, v14, 0x7fff
                                        ; implicit-def: $vgpr15
; %bb.278:
	s_and_not1_saveexec_b32 s9, s7
; %bb.279:
	v_and_b32_e32 v14, 0xffff, v15
	v_or_b32_e32 v22, 0x10000, v15
	s_delay_alu instid0(VALU_DEP_2) | instskip(NEXT) | instid1(VALU_DEP_1)
	v_cmp_eq_u32_e64 s7, 0, v14
	v_cndmask_b32_e64 v14, v22, v15, s7
; %bb.280:
	s_or_b32 exec_lo, exec_lo, s9
	v_lshlrev_b32_e32 v15, 16, v48
	s_delay_alu instid0(VALU_DEP_1) | instskip(NEXT) | instid1(VALU_DEP_1)
	v_add_f32_e32 v22, 0, v15
	v_and_b32_e32 v15, 0x7f800000, v22
	s_delay_alu instid0(VALU_DEP_1) | instskip(SKIP_1) | instid1(SALU_CYCLE_1)
	v_cmp_ne_u32_e64 s7, 0x7f800000, v15
                                        ; implicit-def: $vgpr15
	s_and_saveexec_b32 s9, s7
	s_xor_b32 s7, exec_lo, s9
; %bb.281:
	v_bfe_u32 v15, v22, 16, 1
	s_delay_alu instid0(VALU_DEP_1)
	v_add3_u32 v15, v22, v15, 0x7fff
                                        ; implicit-def: $vgpr22
; %bb.282:
	s_and_not1_saveexec_b32 s9, s7
; %bb.283:
	v_and_b32_e32 v15, 0xffff, v22
	v_or_b32_e32 v23, 0x10000, v22
	s_delay_alu instid0(VALU_DEP_2) | instskip(NEXT) | instid1(VALU_DEP_1)
	v_cmp_eq_u32_e64 s7, 0, v15
	v_cndmask_b32_e64 v15, v23, v22, s7
; %bb.284:
	s_or_b32 exec_lo, exec_lo, s9
	v_cmp_lt_i32_e64 s7, -1, v14
	s_delay_alu instid0(VALU_DEP_2) | instskip(SKIP_1) | instid1(VALU_DEP_3)
	v_perm_b32 v14, v15, v14, 0x7060302
	v_mov_b32_e32 v38, v48
	v_cndmask_b32_e64 v22, -1, 0xffff8000, s7
	v_cmp_lt_i32_e64 s7, -1, v15
	s_delay_alu instid0(VALU_DEP_1) | instskip(NEXT) | instid1(VALU_DEP_1)
	v_cndmask_b32_e64 v23, -1, 0xffff8000, s7
	v_perm_b32 v15, v23, v22, 0x5040100
	s_delay_alu instid0(VALU_DEP_1) | instskip(NEXT) | instid1(VALU_DEP_1)
	v_xor_b32_e32 v14, v15, v14
	v_lshrrev_b32_e32 v15, 16, v14
	s_delay_alu instid0(VALU_DEP_1)
	v_cmp_gt_u16_e64 s7, v14, v15
	v_mov_b64_e32 v[14:15], v[18:19]
	s_and_saveexec_b32 s9, s7
; %bb.285:
	v_mov_b64_e32 v[14:15], v[12:13]
	v_mov_b64_e32 v[12:13], v[18:19]
	v_dual_mov_b32 v38, v37 :: v_dual_mov_b32 v37, v48
; %bb.286:
	s_or_b32 exec_lo, exec_lo, s9
	v_lshlrev_b32_e32 v18, 16, v5
	s_delay_alu instid0(VALU_DEP_1) | instskip(NEXT) | instid1(VALU_DEP_1)
	v_add_f32_e32 v19, 0, v18
	v_and_b32_e32 v18, 0x7f800000, v19
	s_delay_alu instid0(VALU_DEP_1) | instskip(SKIP_1) | instid1(SALU_CYCLE_1)
	v_cmp_ne_u32_e64 s7, 0x7f800000, v18
                                        ; implicit-def: $vgpr18
	s_and_saveexec_b32 s9, s7
	s_xor_b32 s7, exec_lo, s9
; %bb.287:
	v_bfe_u32 v18, v19, 16, 1
	s_delay_alu instid0(VALU_DEP_1)
	v_add3_u32 v18, v19, v18, 0x7fff
                                        ; implicit-def: $vgpr19
; %bb.288:
	s_and_not1_saveexec_b32 s9, s7
; %bb.289:
	v_and_b32_e32 v18, 0xffff, v19
	v_or_b32_e32 v22, 0x10000, v19
	s_delay_alu instid0(VALU_DEP_2) | instskip(NEXT) | instid1(VALU_DEP_1)
	v_cmp_eq_u32_e64 s7, 0, v18
	v_cndmask_b32_e64 v18, v22, v19, s7
; %bb.290:
	s_or_b32 exec_lo, exec_lo, s9
	v_lshlrev_b32_e32 v19, 16, v39
	s_delay_alu instid0(VALU_DEP_1) | instskip(NEXT) | instid1(VALU_DEP_1)
	v_add_f32_e32 v22, 0, v19
	v_and_b32_e32 v19, 0x7f800000, v22
	s_delay_alu instid0(VALU_DEP_1) | instskip(SKIP_1) | instid1(SALU_CYCLE_1)
	v_cmp_ne_u32_e64 s7, 0x7f800000, v19
                                        ; implicit-def: $vgpr19
	s_and_saveexec_b32 s9, s7
	s_xor_b32 s7, exec_lo, s9
; %bb.291:
	v_bfe_u32 v19, v22, 16, 1
	s_delay_alu instid0(VALU_DEP_1)
	v_add3_u32 v19, v22, v19, 0x7fff
                                        ; implicit-def: $vgpr22
; %bb.292:
	s_and_not1_saveexec_b32 s9, s7
; %bb.293:
	v_and_b32_e32 v19, 0xffff, v22
	v_or_b32_e32 v23, 0x10000, v22
	s_delay_alu instid0(VALU_DEP_2) | instskip(NEXT) | instid1(VALU_DEP_1)
	v_cmp_eq_u32_e64 s7, 0, v19
	v_cndmask_b32_e64 v19, v23, v22, s7
; %bb.294:
	s_or_b32 exec_lo, exec_lo, s9
	v_cmp_lt_i32_e64 s7, -1, v18
	s_delay_alu instid0(VALU_DEP_2) | instskip(SKIP_1) | instid1(VALU_DEP_3)
	v_perm_b32 v18, v19, v18, 0x7060302
	v_mov_b32_e32 v49, v5
	v_cndmask_b32_e64 v22, -1, 0xffff8000, s7
	v_cmp_lt_i32_e64 s7, -1, v19
	s_delay_alu instid0(VALU_DEP_1) | instskip(NEXT) | instid1(VALU_DEP_1)
	v_cndmask_b32_e64 v23, -1, 0xffff8000, s7
	v_perm_b32 v19, v23, v22, 0x5040100
	s_delay_alu instid0(VALU_DEP_1) | instskip(NEXT) | instid1(VALU_DEP_1)
	v_xor_b32_e32 v18, v19, v18
	v_lshrrev_b32_e32 v19, 16, v18
	s_delay_alu instid0(VALU_DEP_1)
	v_cmp_gt_u16_e64 s7, v18, v19
	v_mov_b64_e32 v[18:19], v[26:27]
	s_and_saveexec_b32 s9, s7
; %bb.295:
	v_mov_b64_e32 v[18:19], v[16:17]
	v_mov_b64_e32 v[16:17], v[26:27]
	v_dual_mov_b32 v49, v39 :: v_dual_mov_b32 v39, v5
; %bb.296:
	s_or_b32 exec_lo, exec_lo, s9
	v_lshlrev_b32_e32 v5, 16, v36
	s_delay_alu instid0(VALU_DEP_1) | instskip(NEXT) | instid1(VALU_DEP_1)
	v_add_f32_e32 v22, 0, v5
	v_and_b32_e32 v5, 0x7f800000, v22
	s_delay_alu instid0(VALU_DEP_1) | instskip(SKIP_1) | instid1(SALU_CYCLE_1)
	v_cmp_ne_u32_e64 s7, 0x7f800000, v5
                                        ; implicit-def: $vgpr5
	s_and_saveexec_b32 s9, s7
	s_xor_b32 s7, exec_lo, s9
; %bb.297:
	v_bfe_u32 v5, v22, 16, 1
	s_delay_alu instid0(VALU_DEP_1)
	v_add3_u32 v5, v22, v5, 0x7fff
                                        ; implicit-def: $vgpr22
; %bb.298:
	s_and_not1_saveexec_b32 s9, s7
; %bb.299:
	v_and_b32_e32 v5, 0xffff, v22
	v_or_b32_e32 v23, 0x10000, v22
	s_delay_alu instid0(VALU_DEP_2) | instskip(NEXT) | instid1(VALU_DEP_1)
	v_cmp_eq_u32_e64 s7, 0, v5
	v_cndmask_b32_e64 v5, v23, v22, s7
; %bb.300:
	s_or_b32 exec_lo, exec_lo, s9
	v_lshlrev_b32_e32 v22, 16, v30
	s_delay_alu instid0(VALU_DEP_1) | instskip(NEXT) | instid1(VALU_DEP_1)
	v_add_f32_e32 v23, 0, v22
	v_and_b32_e32 v22, 0x7f800000, v23
	s_delay_alu instid0(VALU_DEP_1) | instskip(SKIP_1) | instid1(SALU_CYCLE_1)
	v_cmp_ne_u32_e64 s7, 0x7f800000, v22
                                        ; implicit-def: $vgpr22
	s_and_saveexec_b32 s9, s7
	s_xor_b32 s7, exec_lo, s9
; %bb.301:
	v_bfe_u32 v22, v23, 16, 1
	s_delay_alu instid0(VALU_DEP_1)
	v_add3_u32 v22, v23, v22, 0x7fff
                                        ; implicit-def: $vgpr23
; %bb.302:
	s_and_not1_saveexec_b32 s9, s7
; %bb.303:
	v_and_b32_e32 v22, 0xffff, v23
	v_or_b32_e32 v26, 0x10000, v23
	s_delay_alu instid0(VALU_DEP_2) | instskip(NEXT) | instid1(VALU_DEP_1)
	v_cmp_eq_u32_e64 s7, 0, v22
	v_cndmask_b32_e64 v22, v26, v23, s7
; %bb.304:
	s_or_b32 exec_lo, exec_lo, s9
	v_cmp_lt_i32_e64 s7, -1, v5
	s_delay_alu instid0(VALU_DEP_2) | instskip(SKIP_1) | instid1(VALU_DEP_3)
	v_perm_b32 v5, v22, v5, 0x7060302
	v_mov_b32_e32 v48, v30
	v_cndmask_b32_e64 v23, -1, 0xffff8000, s7
	v_cmp_lt_i32_e64 s7, -1, v22
	s_delay_alu instid0(VALU_DEP_1) | instskip(NEXT) | instid1(VALU_DEP_1)
	v_cndmask_b32_e64 v26, -1, 0xffff8000, s7
	v_perm_b32 v22, v26, v23, 0x5040100
	s_delay_alu instid0(VALU_DEP_1) | instskip(NEXT) | instid1(VALU_DEP_1)
	v_xor_b32_e32 v5, v22, v5
	v_lshrrev_b32_e32 v22, 16, v5
	s_delay_alu instid0(VALU_DEP_1)
	v_cmp_gt_u16_e64 s7, v5, v22
	v_mov_b64_e32 v[22:23], v[28:29]
	s_and_saveexec_b32 s9, s7
; %bb.305:
	v_mov_b64_e32 v[22:23], v[20:21]
	v_mov_b64_e32 v[20:21], v[28:29]
	v_dual_mov_b32 v48, v36 :: v_dual_mov_b32 v36, v30
; %bb.306:
	s_or_b32 exec_lo, exec_lo, s9
.LBB2049_307:
	s_delay_alu instid0(SALU_CYCLE_1)
	s_or_b32 exec_lo, exec_lo, s8
	v_and_b32_e32 v1, 0xffffff00, v1
	v_and_b32_e32 v54, 0xf0, v33
	v_or_b32_e32 v27, 8, v33
	s_wait_loadcnt_dscnt 0x0
	v_perm_b32 v67, v35, v48, 0x5040100
	v_perm_b32 v66, v36, v39, 0x5040100
	v_sub_nc_u32_e64 v26, 0x800, v1 clamp
	v_perm_b32 v69, v49, v38, 0x5040100
	v_perm_b32 v68, v37, v34, 0x5040100
	s_mov_b32 s8, exec_lo
	s_delay_alu instid0(VALU_DEP_3) | instskip(SKIP_1) | instid1(VALU_DEP_2)
	v_min_u32_e32 v50, v26, v27
	v_and_b32_e32 v27, 8, v33
	v_add_min_u32_e64 v51, v50, 8, v26
	v_lshlrev_b32_e32 v5, 1, v1
	s_delay_alu instid0(VALU_DEP_3) | instskip(SKIP_1) | instid1(VALU_DEP_4)
	v_min_u32_e32 v55, v26, v27
	v_sub_nc_u32_e32 v28, v50, v54
	v_sub_nc_u32_e32 v29, v51, v50
	s_delay_alu instid0(VALU_DEP_4)
	v_mad_u32 v1, v1, 6, v5
	v_lshl_or_b32 v27, v33, 1, v5
	v_lshl_or_b32 v52, v54, 1, v5
	v_min_u32_e32 v64, v55, v28
	v_sub_nc_u32_e64 v53, v55, v29 clamp
	v_lshl_add_u32 v65, v33, 3, v1
	s_delay_alu instid0(VALU_DEP_1)
	v_add_nc_u32_e32 v30, 0x1010, v65
	v_add_nc_u32_e32 v31, 0x1020, v65
	;; [unrolled: 1-line block ×4, first 2 shown]
	ds_store_2addr_b64 v30, v[14:15], v[16:17] offset1:1
	ds_store_2addr_b64 v31, v[18:19], v[22:23] offset1:1
	;; [unrolled: 1-line block ×5, first 2 shown]
	; wave barrier
	v_cmpx_lt_u32_e64 v53, v64
	s_cbranch_execz .LBB2049_326
; %bb.308:
	v_dual_lshlrev_b32 v65, 1, v50 :: v_dual_lshlrev_b32 v66, 1, v55
	s_mov_b32 s9, 0
	s_delay_alu instid0(VALU_DEP_1)
	v_add3_u32 v65, v5, v65, v66
	s_branch .LBB2049_310
.LBB2049_309:                           ;   in Loop: Header=BB2049_310 Depth=1
	s_or_b32 exec_lo, exec_lo, s10
	v_cmp_lt_i32_e64 s7, -1, v67
	s_delay_alu instid0(VALU_DEP_2) | instskip(NEXT) | instid1(VALU_DEP_2)
	v_perm_b32 v67, v68, v67, 0x7060302
	v_cndmask_b32_e64 v69, -1, 0xffff8000, s7
	v_cmp_lt_i32_e64 s7, -1, v68
	s_delay_alu instid0(VALU_DEP_1) | instskip(NEXT) | instid1(VALU_DEP_1)
	v_cndmask_b32_e64 v70, -1, 0xffff8000, s7
	v_perm_b32 v68, v70, v69, 0x5040100
	s_delay_alu instid0(VALU_DEP_1) | instskip(NEXT) | instid1(VALU_DEP_1)
	v_dual_add_nc_u32 v69, 1, v66 :: v_dual_bitop2_b32 v67, v68, v67 bitop3:0x14
	v_lshrrev_b32_e32 v68, 16, v67
	s_delay_alu instid0(VALU_DEP_1) | instskip(NEXT) | instid1(VALU_DEP_1)
	v_cmp_gt_u16_e64 s7, v67, v68
	v_dual_cndmask_b32 v64, v64, v66, s7 :: v_dual_cndmask_b32 v53, v69, v53, s7
	s_delay_alu instid0(VALU_DEP_1) | instskip(SKIP_1) | instid1(SALU_CYCLE_1)
	v_cmp_ge_u32_e64 s7, v53, v64
	s_or_b32 s9, s7, s9
	s_and_not1_b32 exec_lo, exec_lo, s9
	s_cbranch_execz .LBB2049_325
.LBB2049_310:                           ; =>This Inner Loop Header: Depth=1
	v_add_nc_u32_e32 v66, v64, v53
	s_delay_alu instid0(VALU_DEP_1) | instskip(NEXT) | instid1(VALU_DEP_1)
	v_dual_lshrrev_b32 v66, 1, v66 :: v_dual_bitop2_b32 v67, -2, v66 bitop3:0x40
	v_add_nc_u32_e32 v67, v52, v67
	s_delay_alu instid0(VALU_DEP_2)
	v_not_b32_e32 v68, v66
	ds_load_u16 v67, v67
	v_lshl_add_u32 v68, v68, 1, v65
	ds_load_u16 v68, v68
	s_wait_dscnt 0x1
	v_lshlrev_b32_e32 v67, 16, v67
	s_delay_alu instid0(VALU_DEP_1) | instskip(NEXT) | instid1(VALU_DEP_1)
	v_add_f32_e32 v69, 0, v67
	v_and_b32_e32 v67, 0x7f800000, v69
	s_delay_alu instid0(VALU_DEP_1) | instskip(SKIP_1) | instid1(SALU_CYCLE_1)
	v_cmp_ne_u32_e64 s7, 0x7f800000, v67
                                        ; implicit-def: $vgpr67
	s_and_saveexec_b32 s10, s7
	s_xor_b32 s7, exec_lo, s10
; %bb.311:                              ;   in Loop: Header=BB2049_310 Depth=1
	v_bfe_u32 v67, v69, 16, 1
	s_delay_alu instid0(VALU_DEP_1)
	v_add3_u32 v67, v69, v67, 0x7fff
                                        ; implicit-def: $vgpr69
; %bb.312:                              ;   in Loop: Header=BB2049_310 Depth=1
	s_and_not1_saveexec_b32 s10, s7
; %bb.313:                              ;   in Loop: Header=BB2049_310 Depth=1
	v_and_b32_e32 v67, 0xffff, v69
	v_or_b32_e32 v70, 0x10000, v69
	s_delay_alu instid0(VALU_DEP_2) | instskip(NEXT) | instid1(VALU_DEP_1)
	v_cmp_eq_u32_e64 s7, 0, v67
	v_cndmask_b32_e64 v67, v70, v69, s7
; %bb.314:                              ;   in Loop: Header=BB2049_310 Depth=1
	s_or_b32 exec_lo, exec_lo, s10
	s_wait_dscnt 0x0
	v_lshlrev_b32_e32 v68, 16, v68
	s_delay_alu instid0(VALU_DEP_1) | instskip(NEXT) | instid1(VALU_DEP_1)
	v_add_f32_e32 v69, 0, v68
	v_and_b32_e32 v68, 0x7f800000, v69
	s_delay_alu instid0(VALU_DEP_1) | instskip(SKIP_1) | instid1(SALU_CYCLE_1)
	v_cmp_ne_u32_e64 s7, 0x7f800000, v68
                                        ; implicit-def: $vgpr68
	s_and_saveexec_b32 s10, s7
	s_xor_b32 s7, exec_lo, s10
; %bb.315:                              ;   in Loop: Header=BB2049_310 Depth=1
	v_bfe_u32 v68, v69, 16, 1
	s_delay_alu instid0(VALU_DEP_1)
	v_add3_u32 v68, v69, v68, 0x7fff
                                        ; implicit-def: $vgpr69
; %bb.316:                              ;   in Loop: Header=BB2049_310 Depth=1
	s_and_not1_saveexec_b32 s10, s7
	s_cbranch_execz .LBB2049_309
; %bb.317:                              ;   in Loop: Header=BB2049_310 Depth=1
	v_and_b32_e32 v68, 0xffff, v69
	v_or_b32_e32 v70, 0x10000, v69
	s_delay_alu instid0(VALU_DEP_2) | instskip(NEXT) | instid1(VALU_DEP_1)
	v_cmp_eq_u32_e64 s7, 0, v68
	v_cndmask_b32_e64 v68, v70, v69, s7
	s_branch .LBB2049_309
.LBB2049_318:
	flat_load_b64 v[10:11], v[26:27]
	s_wait_xcnt 0x0
	s_or_b32 exec_lo, exec_lo, s7
	s_and_saveexec_b32 s7, s0
                                        ; implicit-def: $vgpr12_vgpr13
	s_cbranch_execz .LBB2049_18
.LBB2049_319:
	flat_load_b64 v[12:13], v[26:27] offset:8
	s_wait_xcnt 0x0
	s_or_b32 exec_lo, exec_lo, s7
                                        ; implicit-def: $vgpr14_vgpr15
	s_and_saveexec_b32 s7, s1
	s_cbranch_execz .LBB2049_19
.LBB2049_320:
	flat_load_b64 v[14:15], v[26:27] offset:16
	s_wait_xcnt 0x0
	s_or_b32 exec_lo, exec_lo, s7
	s_and_saveexec_b32 s7, s2
                                        ; implicit-def: $vgpr16_vgpr17
	s_cbranch_execz .LBB2049_20
.LBB2049_321:
	flat_load_b64 v[16:17], v[26:27] offset:24
	s_wait_xcnt 0x0
	s_or_b32 exec_lo, exec_lo, s7
                                        ; implicit-def: $vgpr18_vgpr19
	s_and_saveexec_b32 s7, s3
	s_cbranch_execz .LBB2049_21
.LBB2049_322:
	flat_load_b64 v[18:19], v[26:27] offset:32
	s_wait_xcnt 0x0
	s_or_b32 exec_lo, exec_lo, s7
	s_and_saveexec_b32 s7, s4
                                        ; implicit-def: $vgpr22_vgpr23
	s_cbranch_execz .LBB2049_22
.LBB2049_323:
	flat_load_b64 v[22:23], v[26:27] offset:40
	s_wait_xcnt 0x0
	s_or_b32 exec_lo, exec_lo, s7
                                        ; implicit-def: $vgpr20_vgpr21
	s_and_saveexec_b32 s7, s5
	s_cbranch_execz .LBB2049_23
.LBB2049_324:
	flat_load_b64 v[20:21], v[26:27] offset:48
	s_wait_xcnt 0x0
	s_or_b32 exec_lo, exec_lo, s7
	s_and_saveexec_b32 s7, s6
                                        ; implicit-def: $vgpr24_vgpr25
	s_cbranch_execnz .LBB2049_24
	s_branch .LBB2049_25
.LBB2049_325:
	s_or_b32 exec_lo, exec_lo, s9
.LBB2049_326:
	s_delay_alu instid0(SALU_CYCLE_1) | instskip(SKIP_1) | instid1(VALU_DEP_1)
	s_or_b32 exec_lo, exec_lo, s8
	v_dual_add_nc_u32 v55, v50, v55 :: v_dual_add_nc_u32 v54, v53, v54
	v_sub_nc_u32_e32 v55, v55, v53
	s_delay_alu instid0(VALU_DEP_2) | instskip(NEXT) | instid1(VALU_DEP_2)
	v_cmp_le_u32_e64 s7, v54, v50
	v_cmp_le_u32_e64 s8, v55, v51
	s_or_b32 s7, s7, s8
	s_delay_alu instid0(SALU_CYCLE_1)
	s_and_saveexec_b32 s9, s7
	s_cbranch_execz .LBB2049_426
; %bb.327:
	v_cmp_ge_u32_e64 s7, v54, v50
	s_mov_b32 s10, exec_lo
                                        ; implicit-def: $vgpr34
	v_cmpx_lt_u32_e64 v54, v50
; %bb.328:
	v_lshl_add_u32 v10, v53, 1, v52
	ds_load_u16 v34, v10
; %bb.329:
	s_or_b32 exec_lo, exec_lo, s10
	v_cmp_ge_u32_e64 s10, v55, v51
	s_mov_b32 s11, exec_lo
                                        ; implicit-def: $vgpr35
	v_cmpx_lt_u32_e64 v55, v51
; %bb.330:
	v_lshl_add_u32 v10, v55, 1, v5
	ds_load_u16 v35, v10
; %bb.331:
	s_or_b32 exec_lo, exec_lo, s11
	s_nor_b32 s7, s7, s10
	s_delay_alu instid0(SALU_CYCLE_1)
	s_and_saveexec_b32 s8, s7
	s_cbranch_execz .LBB2049_341
; %bb.332:
	s_wait_dscnt 0x0
	v_lshlrev_b32_e32 v10, 16, v34
	s_delay_alu instid0(VALU_DEP_1) | instskip(NEXT) | instid1(VALU_DEP_1)
	v_add_f32_e32 v11, 0, v10
	v_and_b32_e32 v10, 0x7f800000, v11
	s_delay_alu instid0(VALU_DEP_1) | instskip(SKIP_1) | instid1(SALU_CYCLE_1)
	v_cmp_ne_u32_e64 s7, 0x7f800000, v10
                                        ; implicit-def: $vgpr10
	s_and_saveexec_b32 s11, s7
	s_xor_b32 s7, exec_lo, s11
; %bb.333:
	v_bfe_u32 v10, v11, 16, 1
	s_delay_alu instid0(VALU_DEP_1)
	v_add3_u32 v10, v11, v10, 0x7fff
                                        ; implicit-def: $vgpr11
; %bb.334:
	s_and_not1_saveexec_b32 s11, s7
; %bb.335:
	v_and_b32_e32 v10, 0xffff, v11
	v_or_b32_e32 v12, 0x10000, v11
	s_delay_alu instid0(VALU_DEP_2) | instskip(NEXT) | instid1(VALU_DEP_1)
	v_cmp_eq_u32_e64 s7, 0, v10
	v_cndmask_b32_e64 v10, v12, v11, s7
; %bb.336:
	s_or_b32 exec_lo, exec_lo, s11
	v_lshlrev_b32_e32 v11, 16, v35
	s_delay_alu instid0(VALU_DEP_1) | instskip(NEXT) | instid1(VALU_DEP_1)
	v_add_f32_e32 v12, 0, v11
	v_and_b32_e32 v11, 0x7f800000, v12
	s_delay_alu instid0(VALU_DEP_1) | instskip(SKIP_1) | instid1(SALU_CYCLE_1)
	v_cmp_ne_u32_e64 s7, 0x7f800000, v11
                                        ; implicit-def: $vgpr11
	s_and_saveexec_b32 s11, s7
	s_xor_b32 s7, exec_lo, s11
; %bb.337:
	v_bfe_u32 v11, v12, 16, 1
	s_delay_alu instid0(VALU_DEP_1)
	v_add3_u32 v11, v12, v11, 0x7fff
                                        ; implicit-def: $vgpr12
; %bb.338:
	s_and_not1_saveexec_b32 s11, s7
; %bb.339:
	v_and_b32_e32 v11, 0xffff, v12
	v_or_b32_e32 v13, 0x10000, v12
	s_delay_alu instid0(VALU_DEP_2) | instskip(NEXT) | instid1(VALU_DEP_1)
	v_cmp_eq_u32_e64 s7, 0, v11
	v_cndmask_b32_e64 v11, v13, v12, s7
; %bb.340:
	s_or_b32 exec_lo, exec_lo, s11
	v_cmp_lt_i32_e64 s7, -1, v10
	s_delay_alu instid0(VALU_DEP_2) | instskip(SKIP_3) | instid1(VALU_DEP_1)
	v_perm_b32 v10, v11, v10, 0x7060302
	s_and_not1_b32 s10, s10, exec_lo
	v_cndmask_b32_e64 v12, -1, 0xffff8000, s7
	v_cmp_lt_i32_e64 s7, -1, v11
	v_cndmask_b32_e64 v13, -1, 0xffff8000, s7
	s_delay_alu instid0(VALU_DEP_1) | instskip(NEXT) | instid1(VALU_DEP_1)
	v_perm_b32 v11, v13, v12, 0x5040100
	v_xor_b32_e32 v10, v11, v10
	s_delay_alu instid0(VALU_DEP_1) | instskip(NEXT) | instid1(VALU_DEP_1)
	v_lshrrev_b32_e32 v11, 16, v10
	v_cmp_le_u16_e64 s7, v10, v11
	s_and_b32 s7, s7, exec_lo
	s_delay_alu instid0(SALU_CYCLE_1)
	s_or_b32 s10, s10, s7
.LBB2049_341:
	s_or_b32 exec_lo, exec_lo, s8
	v_cndmask_b32_e64 v10, v55, v54, s10
	s_mov_b32 s11, -1
	s_mov_b32 s8, -1
	s_mov_b32 s12, exec_lo
	s_delay_alu instid0(VALU_DEP_1) | instskip(NEXT) | instid1(VALU_DEP_1)
	v_add_nc_u32_e32 v12, 1, v10
	v_dual_cndmask_b32 v11, v51, v50, s10 :: v_dual_cndmask_b32 v15, v54, v12, s10
	s_delay_alu instid0(VALU_DEP_1) | instskip(NEXT) | instid1(VALU_DEP_1)
	v_add_min_u32_e64 v11, v11, -1, v12
	v_lshl_add_u32 v11, v11, 1, v5
	ds_load_u16 v13, v11
	s_wait_dscnt 0x0
	v_cndmask_b32_e64 v37, v13, v35, s10
	v_cndmask_b32_e64 v14, v12, v55, s10
	v_lshl_add_u32 v10, v10, 3, v1
	v_cndmask_b32_e64 v52, v34, v13, s10
	ds_load_b64 v[10:11], v10 offset:4096
	v_cmpx_lt_u32_e64 v14, v51
	s_cbranch_execz .LBB2049_353
; %bb.342:
	s_mov_b32 s13, 0
	s_mov_b32 s8, exec_lo
	v_cmpx_lt_u32_e64 v15, v50
	s_cbranch_execz .LBB2049_352
; %bb.343:
	v_lshlrev_b32_e32 v12, 16, v52
	s_delay_alu instid0(VALU_DEP_1) | instskip(NEXT) | instid1(VALU_DEP_1)
	v_add_f32_e32 v13, 0, v12
	v_and_b32_e32 v12, 0x7f800000, v13
	s_delay_alu instid0(VALU_DEP_1) | instskip(SKIP_1) | instid1(SALU_CYCLE_1)
	v_cmp_ne_u32_e64 s7, 0x7f800000, v12
                                        ; implicit-def: $vgpr12
	s_and_saveexec_b32 s13, s7
	s_xor_b32 s7, exec_lo, s13
; %bb.344:
	v_bfe_u32 v12, v13, 16, 1
	s_delay_alu instid0(VALU_DEP_1)
	v_add3_u32 v12, v13, v12, 0x7fff
                                        ; implicit-def: $vgpr13
; %bb.345:
	s_and_not1_saveexec_b32 s13, s7
; %bb.346:
	v_and_b32_e32 v12, 0xffff, v13
	v_or_b32_e32 v16, 0x10000, v13
	s_delay_alu instid0(VALU_DEP_2) | instskip(NEXT) | instid1(VALU_DEP_1)
	v_cmp_eq_u32_e64 s7, 0, v12
	v_cndmask_b32_e64 v12, v16, v13, s7
; %bb.347:
	s_or_b32 exec_lo, exec_lo, s13
	v_lshlrev_b32_e32 v13, 16, v37
	s_delay_alu instid0(VALU_DEP_1) | instskip(NEXT) | instid1(VALU_DEP_1)
	v_add_f32_e32 v16, 0, v13
	v_and_b32_e32 v13, 0x7f800000, v16
	s_delay_alu instid0(VALU_DEP_1) | instskip(SKIP_1) | instid1(SALU_CYCLE_1)
	v_cmp_ne_u32_e64 s7, 0x7f800000, v13
                                        ; implicit-def: $vgpr13
	s_and_saveexec_b32 s13, s7
	s_xor_b32 s7, exec_lo, s13
; %bb.348:
	v_bfe_u32 v13, v16, 16, 1
	s_delay_alu instid0(VALU_DEP_1)
	v_add3_u32 v13, v16, v13, 0x7fff
                                        ; implicit-def: $vgpr16
; %bb.349:
	s_and_not1_saveexec_b32 s13, s7
; %bb.350:
	v_and_b32_e32 v13, 0xffff, v16
	v_or_b32_e32 v17, 0x10000, v16
	s_delay_alu instid0(VALU_DEP_2) | instskip(NEXT) | instid1(VALU_DEP_1)
	v_cmp_eq_u32_e64 s7, 0, v13
	v_cndmask_b32_e64 v13, v17, v16, s7
; %bb.351:
	s_or_b32 exec_lo, exec_lo, s13
	v_cmp_lt_i32_e64 s7, -1, v12
	s_delay_alu instid0(VALU_DEP_2) | instskip(NEXT) | instid1(VALU_DEP_2)
	v_perm_b32 v12, v13, v12, 0x7060302
	v_cndmask_b32_e64 v16, -1, 0xffff8000, s7
	v_cmp_lt_i32_e64 s7, -1, v13
	s_delay_alu instid0(VALU_DEP_1) | instskip(NEXT) | instid1(VALU_DEP_1)
	v_cndmask_b32_e64 v17, -1, 0xffff8000, s7
	v_perm_b32 v13, v17, v16, 0x5040100
	s_delay_alu instid0(VALU_DEP_1) | instskip(NEXT) | instid1(VALU_DEP_1)
	v_xor_b32_e32 v12, v13, v12
	v_lshrrev_b32_e32 v13, 16, v12
	s_delay_alu instid0(VALU_DEP_1)
	v_cmp_le_u16_e64 s7, v12, v13
	s_and_b32 s13, s7, exec_lo
.LBB2049_352:
	s_or_b32 exec_lo, exec_lo, s8
	s_delay_alu instid0(SALU_CYCLE_1)
	s_or_not1_b32 s8, s13, exec_lo
.LBB2049_353:
	s_or_b32 exec_lo, exec_lo, s12
	v_dual_cndmask_b32 v12, v14, v15, s8 :: v_dual_cndmask_b32 v13, v51, v50, s8
	s_mov_b32 s12, exec_lo
	s_delay_alu instid0(VALU_DEP_1) | instskip(SKIP_1) | instid1(VALU_DEP_2)
	v_add_nc_u32_e32 v17, 1, v12
	v_lshl_add_u32 v12, v12, 3, v1
	v_add_min_u32_e64 v13, v13, -1, v17
	s_delay_alu instid0(VALU_DEP_1)
	v_lshl_add_u32 v13, v13, 1, v5
	ds_load_u16 v18, v13
	ds_load_b64 v[12:13], v12 offset:4096
	s_wait_dscnt 0x1
	v_dual_cndmask_b32 v38, v18, v37, s8 :: v_dual_cndmask_b32 v16, v17, v14, s8
	v_dual_cndmask_b32 v17, v15, v17, s8 :: v_dual_cndmask_b32 v53, v52, v18, s8
	s_delay_alu instid0(VALU_DEP_2)
	v_cmpx_lt_u32_e64 v16, v51
	s_cbranch_execz .LBB2049_365
; %bb.354:
	s_mov_b32 s13, 0
	s_mov_b32 s11, exec_lo
	v_cmpx_lt_u32_e64 v17, v50
	s_cbranch_execz .LBB2049_364
; %bb.355:
	v_lshlrev_b32_e32 v14, 16, v53
	s_delay_alu instid0(VALU_DEP_1) | instskip(NEXT) | instid1(VALU_DEP_1)
	v_add_f32_e32 v15, 0, v14
	v_and_b32_e32 v14, 0x7f800000, v15
	s_delay_alu instid0(VALU_DEP_1) | instskip(SKIP_1) | instid1(SALU_CYCLE_1)
	v_cmp_ne_u32_e64 s7, 0x7f800000, v14
                                        ; implicit-def: $vgpr14
	s_and_saveexec_b32 s13, s7
	s_xor_b32 s7, exec_lo, s13
; %bb.356:
	v_bfe_u32 v14, v15, 16, 1
	s_delay_alu instid0(VALU_DEP_1)
	v_add3_u32 v14, v15, v14, 0x7fff
                                        ; implicit-def: $vgpr15
; %bb.357:
	s_and_not1_saveexec_b32 s13, s7
; %bb.358:
	v_and_b32_e32 v14, 0xffff, v15
	v_or_b32_e32 v18, 0x10000, v15
	s_delay_alu instid0(VALU_DEP_2) | instskip(NEXT) | instid1(VALU_DEP_1)
	v_cmp_eq_u32_e64 s7, 0, v14
	v_cndmask_b32_e64 v14, v18, v15, s7
; %bb.359:
	s_or_b32 exec_lo, exec_lo, s13
	v_lshlrev_b32_e32 v15, 16, v38
	s_delay_alu instid0(VALU_DEP_1) | instskip(NEXT) | instid1(VALU_DEP_1)
	v_add_f32_e32 v18, 0, v15
	v_and_b32_e32 v15, 0x7f800000, v18
	s_delay_alu instid0(VALU_DEP_1) | instskip(SKIP_1) | instid1(SALU_CYCLE_1)
	v_cmp_ne_u32_e64 s7, 0x7f800000, v15
                                        ; implicit-def: $vgpr15
	s_and_saveexec_b32 s13, s7
	s_xor_b32 s7, exec_lo, s13
; %bb.360:
	v_bfe_u32 v15, v18, 16, 1
	s_delay_alu instid0(VALU_DEP_1)
	v_add3_u32 v15, v18, v15, 0x7fff
                                        ; implicit-def: $vgpr18
; %bb.361:
	s_and_not1_saveexec_b32 s13, s7
; %bb.362:
	v_and_b32_e32 v15, 0xffff, v18
	v_or_b32_e32 v19, 0x10000, v18
	s_delay_alu instid0(VALU_DEP_2) | instskip(NEXT) | instid1(VALU_DEP_1)
	v_cmp_eq_u32_e64 s7, 0, v15
	v_cndmask_b32_e64 v15, v19, v18, s7
; %bb.363:
	s_or_b32 exec_lo, exec_lo, s13
	v_cmp_lt_i32_e64 s7, -1, v14
	s_delay_alu instid0(VALU_DEP_2) | instskip(NEXT) | instid1(VALU_DEP_2)
	v_perm_b32 v14, v15, v14, 0x7060302
	v_cndmask_b32_e64 v18, -1, 0xffff8000, s7
	v_cmp_lt_i32_e64 s7, -1, v15
	s_delay_alu instid0(VALU_DEP_1) | instskip(NEXT) | instid1(VALU_DEP_1)
	v_cndmask_b32_e64 v19, -1, 0xffff8000, s7
	v_perm_b32 v15, v19, v18, 0x5040100
	s_delay_alu instid0(VALU_DEP_1) | instskip(NEXT) | instid1(VALU_DEP_1)
	v_xor_b32_e32 v14, v15, v14
	v_lshrrev_b32_e32 v15, 16, v14
	s_delay_alu instid0(VALU_DEP_1)
	v_cmp_le_u16_e64 s7, v14, v15
	s_and_b32 s13, s7, exec_lo
.LBB2049_364:
	s_or_b32 exec_lo, exec_lo, s11
	s_delay_alu instid0(SALU_CYCLE_1)
	s_or_not1_b32 s11, s13, exec_lo
.LBB2049_365:
	s_or_b32 exec_lo, exec_lo, s12
	s_delay_alu instid0(VALU_DEP_2) | instskip(SKIP_3) | instid1(VALU_DEP_1)
	v_dual_cndmask_b32 v14, v16, v17, s11 :: v_dual_cndmask_b32 v15, v51, v50, s11
	s_mov_b32 s13, -1
	s_mov_b32 s12, -1
	s_mov_b32 s14, exec_lo
	v_add_nc_u32_e32 v19, 1, v14
	v_lshl_add_u32 v14, v14, 3, v1
	s_delay_alu instid0(VALU_DEP_2) | instskip(NEXT) | instid1(VALU_DEP_1)
	v_add_min_u32_e64 v15, v15, -1, v19
	v_lshl_add_u32 v15, v15, 1, v5
	ds_load_u16 v20, v15
	ds_load_b64 v[14:15], v14 offset:4096
	s_wait_dscnt 0x1
	v_dual_cndmask_b32 v49, v20, v38, s11 :: v_dual_cndmask_b32 v54, v53, v20, s11
	v_dual_cndmask_b32 v18, v19, v16, s11 :: v_dual_cndmask_b32 v19, v17, v19, s11
	s_delay_alu instid0(VALU_DEP_1)
	v_cmpx_lt_u32_e64 v18, v51
	s_cbranch_execz .LBB2049_377
; %bb.366:
	s_mov_b32 s15, 0
	s_mov_b32 s12, exec_lo
	v_cmpx_lt_u32_e64 v19, v50
	s_cbranch_execz .LBB2049_376
; %bb.367:
	v_lshlrev_b32_e32 v16, 16, v54
	s_delay_alu instid0(VALU_DEP_1) | instskip(NEXT) | instid1(VALU_DEP_1)
	v_add_f32_e32 v17, 0, v16
	v_and_b32_e32 v16, 0x7f800000, v17
	s_delay_alu instid0(VALU_DEP_1) | instskip(SKIP_1) | instid1(SALU_CYCLE_1)
	v_cmp_ne_u32_e64 s7, 0x7f800000, v16
                                        ; implicit-def: $vgpr16
	s_and_saveexec_b32 s15, s7
	s_xor_b32 s7, exec_lo, s15
; %bb.368:
	v_bfe_u32 v16, v17, 16, 1
	s_delay_alu instid0(VALU_DEP_1)
	v_add3_u32 v16, v17, v16, 0x7fff
                                        ; implicit-def: $vgpr17
; %bb.369:
	s_and_not1_saveexec_b32 s15, s7
; %bb.370:
	v_and_b32_e32 v16, 0xffff, v17
	v_or_b32_e32 v20, 0x10000, v17
	s_delay_alu instid0(VALU_DEP_2) | instskip(NEXT) | instid1(VALU_DEP_1)
	v_cmp_eq_u32_e64 s7, 0, v16
	v_cndmask_b32_e64 v16, v20, v17, s7
; %bb.371:
	s_or_b32 exec_lo, exec_lo, s15
	v_lshlrev_b32_e32 v17, 16, v49
	s_delay_alu instid0(VALU_DEP_1) | instskip(NEXT) | instid1(VALU_DEP_1)
	v_add_f32_e32 v20, 0, v17
	v_and_b32_e32 v17, 0x7f800000, v20
	s_delay_alu instid0(VALU_DEP_1) | instskip(SKIP_1) | instid1(SALU_CYCLE_1)
	v_cmp_ne_u32_e64 s7, 0x7f800000, v17
                                        ; implicit-def: $vgpr17
	s_and_saveexec_b32 s15, s7
	s_xor_b32 s7, exec_lo, s15
; %bb.372:
	v_bfe_u32 v17, v20, 16, 1
	s_delay_alu instid0(VALU_DEP_1)
	v_add3_u32 v17, v20, v17, 0x7fff
                                        ; implicit-def: $vgpr20
; %bb.373:
	s_and_not1_saveexec_b32 s15, s7
; %bb.374:
	v_and_b32_e32 v17, 0xffff, v20
	v_or_b32_e32 v21, 0x10000, v20
	s_delay_alu instid0(VALU_DEP_2) | instskip(NEXT) | instid1(VALU_DEP_1)
	v_cmp_eq_u32_e64 s7, 0, v17
	v_cndmask_b32_e64 v17, v21, v20, s7
; %bb.375:
	s_or_b32 exec_lo, exec_lo, s15
	v_cmp_lt_i32_e64 s7, -1, v16
	s_delay_alu instid0(VALU_DEP_2) | instskip(NEXT) | instid1(VALU_DEP_2)
	v_perm_b32 v16, v17, v16, 0x7060302
	v_cndmask_b32_e64 v20, -1, 0xffff8000, s7
	v_cmp_lt_i32_e64 s7, -1, v17
	s_delay_alu instid0(VALU_DEP_1) | instskip(NEXT) | instid1(VALU_DEP_1)
	v_cndmask_b32_e64 v21, -1, 0xffff8000, s7
	v_perm_b32 v17, v21, v20, 0x5040100
	s_delay_alu instid0(VALU_DEP_1) | instskip(NEXT) | instid1(VALU_DEP_1)
	v_xor_b32_e32 v16, v17, v16
	v_lshrrev_b32_e32 v17, 16, v16
	s_delay_alu instid0(VALU_DEP_1)
	v_cmp_le_u16_e64 s7, v16, v17
	s_and_b32 s15, s7, exec_lo
.LBB2049_376:
	s_or_b32 exec_lo, exec_lo, s12
	s_delay_alu instid0(SALU_CYCLE_1)
	s_or_not1_b32 s12, s15, exec_lo
.LBB2049_377:
	s_or_b32 exec_lo, exec_lo, s14
	s_delay_alu instid0(VALU_DEP_2) | instskip(SKIP_1) | instid1(VALU_DEP_1)
	v_dual_cndmask_b32 v16, v18, v19, s12 :: v_dual_cndmask_b32 v17, v51, v50, s12
	s_mov_b32 s14, exec_lo
	v_add_nc_u32_e32 v21, 1, v16
	v_lshl_add_u32 v16, v16, 3, v1
	s_delay_alu instid0(VALU_DEP_2) | instskip(NEXT) | instid1(VALU_DEP_1)
	v_add_min_u32_e64 v17, v17, -1, v21
	v_lshl_add_u32 v17, v17, 1, v5
	ds_load_u16 v22, v17
	ds_load_b64 v[16:17], v16 offset:4096
	s_wait_dscnt 0x1
	v_dual_cndmask_b32 v39, v22, v49, s12 :: v_dual_cndmask_b32 v20, v21, v18, s12
	v_dual_cndmask_b32 v21, v19, v21, s12 :: v_dual_cndmask_b32 v55, v54, v22, s12
	s_delay_alu instid0(VALU_DEP_2)
	v_cmpx_lt_u32_e64 v20, v51
	s_cbranch_execz .LBB2049_389
; %bb.378:
	s_mov_b32 s15, 0
	s_mov_b32 s13, exec_lo
	v_cmpx_lt_u32_e64 v21, v50
	s_cbranch_execz .LBB2049_388
; %bb.379:
	v_lshlrev_b32_e32 v18, 16, v55
	s_delay_alu instid0(VALU_DEP_1) | instskip(NEXT) | instid1(VALU_DEP_1)
	v_add_f32_e32 v19, 0, v18
	v_and_b32_e32 v18, 0x7f800000, v19
	s_delay_alu instid0(VALU_DEP_1) | instskip(SKIP_1) | instid1(SALU_CYCLE_1)
	v_cmp_ne_u32_e64 s7, 0x7f800000, v18
                                        ; implicit-def: $vgpr18
	s_and_saveexec_b32 s15, s7
	s_xor_b32 s7, exec_lo, s15
; %bb.380:
	v_bfe_u32 v18, v19, 16, 1
	s_delay_alu instid0(VALU_DEP_1)
	v_add3_u32 v18, v19, v18, 0x7fff
                                        ; implicit-def: $vgpr19
; %bb.381:
	s_and_not1_saveexec_b32 s15, s7
; %bb.382:
	v_and_b32_e32 v18, 0xffff, v19
	v_or_b32_e32 v22, 0x10000, v19
	s_delay_alu instid0(VALU_DEP_2) | instskip(NEXT) | instid1(VALU_DEP_1)
	v_cmp_eq_u32_e64 s7, 0, v18
	v_cndmask_b32_e64 v18, v22, v19, s7
; %bb.383:
	s_or_b32 exec_lo, exec_lo, s15
	v_lshlrev_b32_e32 v19, 16, v39
	s_delay_alu instid0(VALU_DEP_1) | instskip(NEXT) | instid1(VALU_DEP_1)
	v_add_f32_e32 v22, 0, v19
	v_and_b32_e32 v19, 0x7f800000, v22
	s_delay_alu instid0(VALU_DEP_1) | instskip(SKIP_1) | instid1(SALU_CYCLE_1)
	v_cmp_ne_u32_e64 s7, 0x7f800000, v19
                                        ; implicit-def: $vgpr19
	s_and_saveexec_b32 s15, s7
	s_xor_b32 s7, exec_lo, s15
; %bb.384:
	v_bfe_u32 v19, v22, 16, 1
	s_delay_alu instid0(VALU_DEP_1)
	v_add3_u32 v19, v22, v19, 0x7fff
                                        ; implicit-def: $vgpr22
; %bb.385:
	s_and_not1_saveexec_b32 s15, s7
; %bb.386:
	v_and_b32_e32 v19, 0xffff, v22
	v_or_b32_e32 v23, 0x10000, v22
	s_delay_alu instid0(VALU_DEP_2) | instskip(NEXT) | instid1(VALU_DEP_1)
	v_cmp_eq_u32_e64 s7, 0, v19
	v_cndmask_b32_e64 v19, v23, v22, s7
; %bb.387:
	s_or_b32 exec_lo, exec_lo, s15
	v_cmp_lt_i32_e64 s7, -1, v18
	s_delay_alu instid0(VALU_DEP_2) | instskip(NEXT) | instid1(VALU_DEP_2)
	v_perm_b32 v18, v19, v18, 0x7060302
	v_cndmask_b32_e64 v22, -1, 0xffff8000, s7
	v_cmp_lt_i32_e64 s7, -1, v19
	s_delay_alu instid0(VALU_DEP_1) | instskip(NEXT) | instid1(VALU_DEP_1)
	v_cndmask_b32_e64 v23, -1, 0xffff8000, s7
	v_perm_b32 v19, v23, v22, 0x5040100
	s_delay_alu instid0(VALU_DEP_1) | instskip(NEXT) | instid1(VALU_DEP_1)
	v_xor_b32_e32 v18, v19, v18
	v_lshrrev_b32_e32 v19, 16, v18
	s_delay_alu instid0(VALU_DEP_1)
	v_cmp_le_u16_e64 s7, v18, v19
	s_and_b32 s15, s7, exec_lo
.LBB2049_388:
	s_or_b32 exec_lo, exec_lo, s13
	s_delay_alu instid0(SALU_CYCLE_1)
	s_or_not1_b32 s13, s15, exec_lo
.LBB2049_389:
	s_or_b32 exec_lo, exec_lo, s14
	s_delay_alu instid0(VALU_DEP_2) | instskip(SKIP_3) | instid1(VALU_DEP_1)
	v_dual_cndmask_b32 v18, v20, v21, s13 :: v_dual_cndmask_b32 v19, v51, v50, s13
	s_mov_b32 s15, -1
	s_mov_b32 s14, -1
	s_mov_b32 s16, exec_lo
	v_add_nc_u32_e32 v22, 1, v18
	v_lshl_add_u32 v18, v18, 3, v1
	s_delay_alu instid0(VALU_DEP_2) | instskip(NEXT) | instid1(VALU_DEP_1)
	v_add_min_u32_e64 v19, v19, -1, v22
	v_lshl_add_u32 v19, v19, 1, v5
	ds_load_u16 v23, v19
	ds_load_b64 v[18:19], v18 offset:4096
	s_wait_dscnt 0x1
	v_dual_cndmask_b32 v36, v23, v39, s13 :: v_dual_cndmask_b32 v20, v22, v20, s13
	v_dual_cndmask_b32 v21, v21, v22, s13 :: v_dual_cndmask_b32 v64, v55, v23, s13
	s_delay_alu instid0(VALU_DEP_2)
	v_cmpx_lt_u32_e64 v20, v51
	s_cbranch_execz .LBB2049_401
; %bb.390:
	s_mov_b32 s17, 0
	s_mov_b32 s14, exec_lo
	v_cmpx_lt_u32_e64 v21, v50
	s_cbranch_execz .LBB2049_400
; %bb.391:
	v_lshlrev_b32_e32 v22, 16, v64
	s_delay_alu instid0(VALU_DEP_1) | instskip(NEXT) | instid1(VALU_DEP_1)
	v_add_f32_e32 v23, 0, v22
	v_and_b32_e32 v22, 0x7f800000, v23
	s_delay_alu instid0(VALU_DEP_1) | instskip(SKIP_1) | instid1(SALU_CYCLE_1)
	v_cmp_ne_u32_e64 s7, 0x7f800000, v22
                                        ; implicit-def: $vgpr22
	s_and_saveexec_b32 s17, s7
	s_xor_b32 s7, exec_lo, s17
; %bb.392:
	v_bfe_u32 v22, v23, 16, 1
	s_delay_alu instid0(VALU_DEP_1)
	v_add3_u32 v22, v23, v22, 0x7fff
                                        ; implicit-def: $vgpr23
; %bb.393:
	s_and_not1_saveexec_b32 s17, s7
; %bb.394:
	v_and_b32_e32 v22, 0xffff, v23
	v_or_b32_e32 v24, 0x10000, v23
	s_delay_alu instid0(VALU_DEP_2) | instskip(NEXT) | instid1(VALU_DEP_1)
	v_cmp_eq_u32_e64 s7, 0, v22
	v_cndmask_b32_e64 v22, v24, v23, s7
; %bb.395:
	s_or_b32 exec_lo, exec_lo, s17
	v_lshlrev_b32_e32 v23, 16, v36
	s_delay_alu instid0(VALU_DEP_1) | instskip(NEXT) | instid1(VALU_DEP_1)
	v_add_f32_e32 v24, 0, v23
	v_and_b32_e32 v23, 0x7f800000, v24
	s_delay_alu instid0(VALU_DEP_1) | instskip(SKIP_1) | instid1(SALU_CYCLE_1)
	v_cmp_ne_u32_e64 s7, 0x7f800000, v23
                                        ; implicit-def: $vgpr23
	s_and_saveexec_b32 s17, s7
	s_xor_b32 s7, exec_lo, s17
; %bb.396:
	v_bfe_u32 v23, v24, 16, 1
	s_delay_alu instid0(VALU_DEP_1)
	v_add3_u32 v23, v24, v23, 0x7fff
                                        ; implicit-def: $vgpr24
; %bb.397:
	s_and_not1_saveexec_b32 s17, s7
; %bb.398:
	v_and_b32_e32 v23, 0xffff, v24
	v_or_b32_e32 v25, 0x10000, v24
	s_delay_alu instid0(VALU_DEP_2) | instskip(NEXT) | instid1(VALU_DEP_1)
	v_cmp_eq_u32_e64 s7, 0, v23
	v_cndmask_b32_e64 v23, v25, v24, s7
; %bb.399:
	s_or_b32 exec_lo, exec_lo, s17
	v_cmp_lt_i32_e64 s7, -1, v22
	s_delay_alu instid0(VALU_DEP_2) | instskip(NEXT) | instid1(VALU_DEP_2)
	v_perm_b32 v22, v23, v22, 0x7060302
	v_cndmask_b32_e64 v24, -1, 0xffff8000, s7
	v_cmp_lt_i32_e64 s7, -1, v23
	s_delay_alu instid0(VALU_DEP_1) | instskip(NEXT) | instid1(VALU_DEP_1)
	v_cndmask_b32_e64 v25, -1, 0xffff8000, s7
	v_perm_b32 v23, v25, v24, 0x5040100
	s_delay_alu instid0(VALU_DEP_1) | instskip(NEXT) | instid1(VALU_DEP_1)
	v_xor_b32_e32 v22, v23, v22
	v_lshrrev_b32_e32 v23, 16, v22
	s_delay_alu instid0(VALU_DEP_1)
	v_cmp_le_u16_e64 s7, v22, v23
	s_and_b32 s17, s7, exec_lo
.LBB2049_400:
	s_or_b32 exec_lo, exec_lo, s14
	s_delay_alu instid0(SALU_CYCLE_1)
	s_or_not1_b32 s14, s17, exec_lo
.LBB2049_401:
	s_or_b32 exec_lo, exec_lo, s16
	s_delay_alu instid0(VALU_DEP_2) | instskip(SKIP_1) | instid1(VALU_DEP_1)
	v_dual_cndmask_b32 v22, v20, v21, s14 :: v_dual_cndmask_b32 v23, v51, v50, s14
	s_mov_b32 s16, exec_lo
	v_add_nc_u32_e32 v25, 1, v22
	v_lshl_add_u32 v22, v22, 3, v1
	s_delay_alu instid0(VALU_DEP_2) | instskip(NEXT) | instid1(VALU_DEP_1)
	v_add_min_u32_e64 v23, v23, -1, v25
	v_lshl_add_u32 v23, v23, 1, v5
	ds_load_u16 v65, v23
	ds_load_b64 v[22:23], v22 offset:4096
	s_wait_dscnt 0x1
	v_cndmask_b32_e64 v48, v65, v36, s14
	v_dual_cndmask_b32 v24, v25, v20, s14 :: v_dual_cndmask_b32 v65, v64, v65, s14
	v_cndmask_b32_e64 v25, v21, v25, s14
	s_delay_alu instid0(VALU_DEP_2)
	v_cmpx_lt_u32_e64 v24, v51
	s_cbranch_execz .LBB2049_413
; %bb.402:
	s_mov_b32 s17, 0
	s_mov_b32 s15, exec_lo
	v_cmpx_lt_u32_e64 v25, v50
	s_cbranch_execz .LBB2049_412
; %bb.403:
	v_lshlrev_b32_e32 v20, 16, v65
	s_delay_alu instid0(VALU_DEP_1) | instskip(NEXT) | instid1(VALU_DEP_1)
	v_add_f32_e32 v21, 0, v20
	v_and_b32_e32 v20, 0x7f800000, v21
	s_delay_alu instid0(VALU_DEP_1) | instskip(SKIP_1) | instid1(SALU_CYCLE_1)
	v_cmp_ne_u32_e64 s7, 0x7f800000, v20
                                        ; implicit-def: $vgpr20
	s_and_saveexec_b32 s17, s7
	s_xor_b32 s7, exec_lo, s17
; %bb.404:
	v_bfe_u32 v20, v21, 16, 1
	s_delay_alu instid0(VALU_DEP_1)
	v_add3_u32 v20, v21, v20, 0x7fff
                                        ; implicit-def: $vgpr21
; %bb.405:
	s_and_not1_saveexec_b32 s17, s7
; %bb.406:
	v_and_b32_e32 v20, 0xffff, v21
	v_or_b32_e32 v66, 0x10000, v21
	s_delay_alu instid0(VALU_DEP_2) | instskip(NEXT) | instid1(VALU_DEP_1)
	v_cmp_eq_u32_e64 s7, 0, v20
	v_cndmask_b32_e64 v20, v66, v21, s7
; %bb.407:
	s_or_b32 exec_lo, exec_lo, s17
	v_lshlrev_b32_e32 v21, 16, v48
	s_delay_alu instid0(VALU_DEP_1) | instskip(NEXT) | instid1(VALU_DEP_1)
	v_add_f32_e32 v66, 0, v21
	v_and_b32_e32 v21, 0x7f800000, v66
	s_delay_alu instid0(VALU_DEP_1) | instskip(SKIP_1) | instid1(SALU_CYCLE_1)
	v_cmp_ne_u32_e64 s7, 0x7f800000, v21
                                        ; implicit-def: $vgpr21
	s_and_saveexec_b32 s17, s7
	s_xor_b32 s7, exec_lo, s17
; %bb.408:
	v_bfe_u32 v21, v66, 16, 1
	s_delay_alu instid0(VALU_DEP_1)
	v_add3_u32 v21, v66, v21, 0x7fff
                                        ; implicit-def: $vgpr66
; %bb.409:
	s_and_not1_saveexec_b32 s17, s7
; %bb.410:
	v_and_b32_e32 v21, 0xffff, v66
	v_or_b32_e32 v67, 0x10000, v66
	s_delay_alu instid0(VALU_DEP_2) | instskip(NEXT) | instid1(VALU_DEP_1)
	v_cmp_eq_u32_e64 s7, 0, v21
	v_cndmask_b32_e64 v21, v67, v66, s7
; %bb.411:
	s_or_b32 exec_lo, exec_lo, s17
	v_cmp_lt_i32_e64 s7, -1, v20
	s_delay_alu instid0(VALU_DEP_2) | instskip(NEXT) | instid1(VALU_DEP_2)
	v_perm_b32 v20, v21, v20, 0x7060302
	v_cndmask_b32_e64 v66, -1, 0xffff8000, s7
	v_cmp_lt_i32_e64 s7, -1, v21
	s_delay_alu instid0(VALU_DEP_1) | instskip(NEXT) | instid1(VALU_DEP_1)
	v_cndmask_b32_e64 v67, -1, 0xffff8000, s7
	v_perm_b32 v21, v67, v66, 0x5040100
	s_delay_alu instid0(VALU_DEP_1) | instskip(NEXT) | instid1(VALU_DEP_1)
	v_xor_b32_e32 v20, v21, v20
	v_lshrrev_b32_e32 v21, 16, v20
	s_delay_alu instid0(VALU_DEP_1)
	v_cmp_le_u16_e64 s7, v20, v21
	s_and_b32 s17, s7, exec_lo
.LBB2049_412:
	s_or_b32 exec_lo, exec_lo, s15
	s_delay_alu instid0(SALU_CYCLE_1)
	s_or_not1_b32 s15, s17, exec_lo
.LBB2049_413:
	s_or_b32 exec_lo, exec_lo, s16
	s_delay_alu instid0(VALU_DEP_2) | instskip(SKIP_2) | instid1(VALU_DEP_1)
	v_dual_cndmask_b32 v20, v24, v25, s15 :: v_dual_cndmask_b32 v21, v51, v50, s15
	s_mov_b32 s17, -1
	s_mov_b32 s16, exec_lo
	v_add_nc_u32_e32 v66, 1, v20
	v_lshl_add_u32 v20, v20, 3, v1
	s_delay_alu instid0(VALU_DEP_2) | instskip(SKIP_1) | instid1(VALU_DEP_2)
	v_add_min_u32_e64 v21, v21, -1, v66
	v_dual_cndmask_b32 v24, v66, v24, s15 :: v_dual_cndmask_b32 v25, v25, v66, s15
	v_lshl_add_u32 v21, v21, 1, v5
	ds_load_u16 v67, v21
	ds_load_b64 v[20:21], v20 offset:4096
	s_wait_dscnt 0x1
	v_dual_cndmask_b32 v66, v67, v48, s15 :: v_dual_cndmask_b32 v67, v65, v67, s15
	v_cmpx_lt_u32_e64 v24, v51
	s_cbranch_execz .LBB2049_425
; %bb.414:
	s_mov_b32 s18, 0
	s_mov_b32 s17, exec_lo
	v_cmpx_lt_u32_e64 v25, v50
	s_cbranch_execz .LBB2049_424
; %bb.415:
	v_lshlrev_b32_e32 v50, 16, v67
	s_delay_alu instid0(VALU_DEP_1) | instskip(NEXT) | instid1(VALU_DEP_1)
	v_add_f32_e32 v51, 0, v50
	v_and_b32_e32 v50, 0x7f800000, v51
	s_delay_alu instid0(VALU_DEP_1) | instskip(SKIP_1) | instid1(SALU_CYCLE_1)
	v_cmp_ne_u32_e64 s7, 0x7f800000, v50
                                        ; implicit-def: $vgpr50
	s_and_saveexec_b32 s18, s7
	s_xor_b32 s7, exec_lo, s18
; %bb.416:
	v_bfe_u32 v50, v51, 16, 1
	s_delay_alu instid0(VALU_DEP_1)
	v_add3_u32 v50, v51, v50, 0x7fff
                                        ; implicit-def: $vgpr51
; %bb.417:
	s_and_not1_saveexec_b32 s18, s7
; %bb.418:
	v_and_b32_e32 v50, 0xffff, v51
	v_or_b32_e32 v68, 0x10000, v51
	s_delay_alu instid0(VALU_DEP_2) | instskip(NEXT) | instid1(VALU_DEP_1)
	v_cmp_eq_u32_e64 s7, 0, v50
	v_cndmask_b32_e64 v50, v68, v51, s7
; %bb.419:
	s_or_b32 exec_lo, exec_lo, s18
	v_lshlrev_b32_e32 v51, 16, v66
	s_delay_alu instid0(VALU_DEP_1) | instskip(NEXT) | instid1(VALU_DEP_1)
	v_add_f32_e32 v68, 0, v51
	v_and_b32_e32 v51, 0x7f800000, v68
	s_delay_alu instid0(VALU_DEP_1) | instskip(SKIP_1) | instid1(SALU_CYCLE_1)
	v_cmp_ne_u32_e64 s7, 0x7f800000, v51
                                        ; implicit-def: $vgpr51
	s_and_saveexec_b32 s18, s7
	s_xor_b32 s7, exec_lo, s18
; %bb.420:
	v_bfe_u32 v51, v68, 16, 1
	s_delay_alu instid0(VALU_DEP_1)
	v_add3_u32 v51, v68, v51, 0x7fff
                                        ; implicit-def: $vgpr68
; %bb.421:
	s_and_not1_saveexec_b32 s18, s7
; %bb.422:
	v_and_b32_e32 v51, 0xffff, v68
	v_or_b32_e32 v69, 0x10000, v68
	s_delay_alu instid0(VALU_DEP_2) | instskip(NEXT) | instid1(VALU_DEP_1)
	v_cmp_eq_u32_e64 s7, 0, v51
	v_cndmask_b32_e64 v51, v69, v68, s7
; %bb.423:
	s_or_b32 exec_lo, exec_lo, s18
	v_cmp_lt_i32_e64 s7, -1, v50
	s_delay_alu instid0(VALU_DEP_2) | instskip(NEXT) | instid1(VALU_DEP_2)
	v_perm_b32 v50, v51, v50, 0x7060302
	v_cndmask_b32_e64 v68, -1, 0xffff8000, s7
	v_cmp_lt_i32_e64 s7, -1, v51
	s_delay_alu instid0(VALU_DEP_1) | instskip(NEXT) | instid1(VALU_DEP_1)
	v_cndmask_b32_e64 v69, -1, 0xffff8000, s7
	v_perm_b32 v51, v69, v68, 0x5040100
	s_delay_alu instid0(VALU_DEP_1) | instskip(NEXT) | instid1(VALU_DEP_1)
	v_xor_b32_e32 v50, v51, v50
	v_lshrrev_b32_e32 v51, 16, v50
	s_delay_alu instid0(VALU_DEP_1)
	v_cmp_le_u16_e64 s7, v50, v51
	s_and_b32 s18, s7, exec_lo
.LBB2049_424:
	s_or_b32 exec_lo, exec_lo, s17
	s_delay_alu instid0(SALU_CYCLE_1)
	s_or_not1_b32 s17, s18, exec_lo
.LBB2049_425:
	s_or_b32 exec_lo, exec_lo, s16
	v_dual_cndmask_b32 v24, v24, v25, s17 :: v_dual_cndmask_b32 v39, v39, v55, s13
	v_dual_cndmask_b32 v48, v48, v65, s15 :: v_dual_cndmask_b32 v49, v49, v54, s12
	;; [unrolled: 1-line block ×3, first 2 shown]
	s_delay_alu instid0(VALU_DEP_3)
	v_lshl_add_u32 v24, v24, 3, v1
	v_dual_cndmask_b32 v37, v37, v52, s8 :: v_dual_cndmask_b32 v34, v35, v34, s10
	v_cndmask_b32_e64 v35, v66, v67, s17
	ds_load_b64 v[24:25], v24 offset:4096
.LBB2049_426:
	s_or_b32 exec_lo, exec_lo, s9
	v_and_b32_e32 v54, 0xe0, v33
	v_perm_b32 v67, v35, v48, 0x5040100
	v_perm_b32 v66, v36, v39, 0x5040100
	;; [unrolled: 1-line block ×4, first 2 shown]
	v_or_b32_e32 v50, 16, v54
	s_mov_b32 s8, exec_lo
	; wave barrier
	ds_store_2addr_b64 v30, v[14:15], v[16:17] offset1:1
	ds_store_2addr_b64 v31, v[18:19], v[22:23] offset1:1
	v_min_u32_e32 v50, v26, v50
	ds_store_2addr_b64 v29, v[10:11], v[12:13] offset1:1
	ds_store_2addr_b64 v27, v[68:69], v[66:67] offset1:1
	s_wait_dscnt 0x4
	ds_store_2addr_b64 v28, v[20:21], v[24:25] offset1:1
	; wave barrier
	v_add_min_u32_e64 v51, v50, 16, v26
	s_delay_alu instid0(VALU_DEP_1) | instskip(NEXT) | instid1(VALU_DEP_1)
	v_dual_sub_nc_u32 v53, v51, v50 :: v_dual_bitop2_b32 v52, 24, v33 bitop3:0x40
	v_min_u32_e32 v55, v26, v52
	v_sub_nc_u32_e32 v52, v50, v54
	s_delay_alu instid0(VALU_DEP_1) | instskip(NEXT) | instid1(VALU_DEP_4)
	v_min_u32_e32 v64, v55, v52
	v_sub_nc_u32_e64 v52, v55, v53 clamp
	v_lshl_add_u32 v53, v54, 1, v5
	s_delay_alu instid0(VALU_DEP_2)
	v_cmpx_lt_u32_e64 v52, v64
	s_cbranch_execz .LBB2049_438
; %bb.427:
	v_dual_lshlrev_b32 v65, 1, v50 :: v_dual_lshlrev_b32 v66, 1, v55
	s_mov_b32 s9, 0
	s_delay_alu instid0(VALU_DEP_1)
	v_add3_u32 v65, v5, v65, v66
	s_branch .LBB2049_429
.LBB2049_428:                           ;   in Loop: Header=BB2049_429 Depth=1
	s_or_b32 exec_lo, exec_lo, s10
	v_cmp_lt_i32_e64 s7, -1, v67
	s_delay_alu instid0(VALU_DEP_2) | instskip(NEXT) | instid1(VALU_DEP_2)
	v_perm_b32 v67, v68, v67, 0x7060302
	v_cndmask_b32_e64 v69, -1, 0xffff8000, s7
	v_cmp_lt_i32_e64 s7, -1, v68
	s_delay_alu instid0(VALU_DEP_1) | instskip(NEXT) | instid1(VALU_DEP_1)
	v_cndmask_b32_e64 v70, -1, 0xffff8000, s7
	v_perm_b32 v68, v70, v69, 0x5040100
	s_delay_alu instid0(VALU_DEP_1) | instskip(NEXT) | instid1(VALU_DEP_1)
	v_dual_add_nc_u32 v69, 1, v66 :: v_dual_bitop2_b32 v67, v68, v67 bitop3:0x14
	v_lshrrev_b32_e32 v68, 16, v67
	s_delay_alu instid0(VALU_DEP_1) | instskip(NEXT) | instid1(VALU_DEP_1)
	v_cmp_gt_u16_e64 s7, v67, v68
	v_dual_cndmask_b32 v64, v64, v66, s7 :: v_dual_cndmask_b32 v52, v69, v52, s7
	s_delay_alu instid0(VALU_DEP_1) | instskip(SKIP_1) | instid1(SALU_CYCLE_1)
	v_cmp_ge_u32_e64 s7, v52, v64
	s_or_b32 s9, s7, s9
	s_and_not1_b32 exec_lo, exec_lo, s9
	s_cbranch_execz .LBB2049_437
.LBB2049_429:                           ; =>This Inner Loop Header: Depth=1
	v_add_nc_u32_e32 v66, v64, v52
	s_delay_alu instid0(VALU_DEP_1) | instskip(NEXT) | instid1(VALU_DEP_1)
	v_and_b32_e32 v67, -2, v66
	v_dual_add_nc_u32 v67, v53, v67 :: v_dual_lshrrev_b32 v66, 1, v66
	ds_load_u16 v67, v67
	v_not_b32_e32 v68, v66
	s_delay_alu instid0(VALU_DEP_1) | instskip(SKIP_3) | instid1(VALU_DEP_1)
	v_lshl_add_u32 v68, v68, 1, v65
	ds_load_u16 v68, v68
	s_wait_dscnt 0x1
	v_lshlrev_b32_e32 v67, 16, v67
	v_add_f32_e32 v69, 0, v67
	s_delay_alu instid0(VALU_DEP_1) | instskip(NEXT) | instid1(VALU_DEP_1)
	v_and_b32_e32 v67, 0x7f800000, v69
	v_cmp_ne_u32_e64 s7, 0x7f800000, v67
                                        ; implicit-def: $vgpr67
	s_and_saveexec_b32 s10, s7
	s_delay_alu instid0(SALU_CYCLE_1)
	s_xor_b32 s7, exec_lo, s10
; %bb.430:                              ;   in Loop: Header=BB2049_429 Depth=1
	v_bfe_u32 v67, v69, 16, 1
	s_delay_alu instid0(VALU_DEP_1)
	v_add3_u32 v67, v69, v67, 0x7fff
                                        ; implicit-def: $vgpr69
; %bb.431:                              ;   in Loop: Header=BB2049_429 Depth=1
	s_and_not1_saveexec_b32 s10, s7
; %bb.432:                              ;   in Loop: Header=BB2049_429 Depth=1
	v_and_b32_e32 v67, 0xffff, v69
	v_or_b32_e32 v70, 0x10000, v69
	s_delay_alu instid0(VALU_DEP_2) | instskip(NEXT) | instid1(VALU_DEP_1)
	v_cmp_eq_u32_e64 s7, 0, v67
	v_cndmask_b32_e64 v67, v70, v69, s7
; %bb.433:                              ;   in Loop: Header=BB2049_429 Depth=1
	s_or_b32 exec_lo, exec_lo, s10
	s_wait_dscnt 0x0
	v_lshlrev_b32_e32 v68, 16, v68
	s_delay_alu instid0(VALU_DEP_1) | instskip(NEXT) | instid1(VALU_DEP_1)
	v_add_f32_e32 v69, 0, v68
	v_and_b32_e32 v68, 0x7f800000, v69
	s_delay_alu instid0(VALU_DEP_1) | instskip(SKIP_1) | instid1(SALU_CYCLE_1)
	v_cmp_ne_u32_e64 s7, 0x7f800000, v68
                                        ; implicit-def: $vgpr68
	s_and_saveexec_b32 s10, s7
	s_xor_b32 s7, exec_lo, s10
; %bb.434:                              ;   in Loop: Header=BB2049_429 Depth=1
	v_bfe_u32 v68, v69, 16, 1
	s_delay_alu instid0(VALU_DEP_1)
	v_add3_u32 v68, v69, v68, 0x7fff
                                        ; implicit-def: $vgpr69
; %bb.435:                              ;   in Loop: Header=BB2049_429 Depth=1
	s_and_not1_saveexec_b32 s10, s7
	s_cbranch_execz .LBB2049_428
; %bb.436:                              ;   in Loop: Header=BB2049_429 Depth=1
	v_and_b32_e32 v68, 0xffff, v69
	v_or_b32_e32 v70, 0x10000, v69
	s_delay_alu instid0(VALU_DEP_2) | instskip(NEXT) | instid1(VALU_DEP_1)
	v_cmp_eq_u32_e64 s7, 0, v68
	v_cndmask_b32_e64 v68, v70, v69, s7
	s_branch .LBB2049_428
.LBB2049_437:
	s_or_b32 exec_lo, exec_lo, s9
.LBB2049_438:
	s_delay_alu instid0(SALU_CYCLE_1) | instskip(SKIP_1) | instid1(VALU_DEP_1)
	s_or_b32 exec_lo, exec_lo, s8
	v_dual_add_nc_u32 v55, v50, v55 :: v_dual_add_nc_u32 v54, v52, v54
	v_sub_nc_u32_e32 v55, v55, v52
	s_delay_alu instid0(VALU_DEP_2) | instskip(NEXT) | instid1(VALU_DEP_2)
	v_cmp_le_u32_e64 s7, v54, v50
	v_cmp_le_u32_e64 s8, v55, v51
	s_or_b32 s7, s7, s8
	s_delay_alu instid0(SALU_CYCLE_1)
	s_and_saveexec_b32 s9, s7
	s_cbranch_execz .LBB2049_538
; %bb.439:
	v_cmp_ge_u32_e64 s7, v54, v50
	s_mov_b32 s10, exec_lo
                                        ; implicit-def: $vgpr34
	v_cmpx_lt_u32_e64 v54, v50
; %bb.440:
	v_lshl_add_u32 v10, v52, 1, v53
	ds_load_u16 v34, v10
; %bb.441:
	s_or_b32 exec_lo, exec_lo, s10
	v_cmp_ge_u32_e64 s10, v55, v51
	s_mov_b32 s11, exec_lo
                                        ; implicit-def: $vgpr35
	v_cmpx_lt_u32_e64 v55, v51
; %bb.442:
	v_lshl_add_u32 v10, v55, 1, v5
	ds_load_u16 v35, v10
; %bb.443:
	s_or_b32 exec_lo, exec_lo, s11
	s_nor_b32 s7, s7, s10
	s_delay_alu instid0(SALU_CYCLE_1)
	s_and_saveexec_b32 s8, s7
	s_cbranch_execz .LBB2049_453
; %bb.444:
	s_wait_dscnt 0x0
	v_lshlrev_b32_e32 v10, 16, v34
	s_delay_alu instid0(VALU_DEP_1) | instskip(NEXT) | instid1(VALU_DEP_1)
	v_add_f32_e32 v11, 0, v10
	v_and_b32_e32 v10, 0x7f800000, v11
	s_delay_alu instid0(VALU_DEP_1) | instskip(SKIP_1) | instid1(SALU_CYCLE_1)
	v_cmp_ne_u32_e64 s7, 0x7f800000, v10
                                        ; implicit-def: $vgpr10
	s_and_saveexec_b32 s11, s7
	s_xor_b32 s7, exec_lo, s11
; %bb.445:
	v_bfe_u32 v10, v11, 16, 1
	s_delay_alu instid0(VALU_DEP_1)
	v_add3_u32 v10, v11, v10, 0x7fff
                                        ; implicit-def: $vgpr11
; %bb.446:
	s_and_not1_saveexec_b32 s11, s7
; %bb.447:
	v_and_b32_e32 v10, 0xffff, v11
	v_or_b32_e32 v12, 0x10000, v11
	s_delay_alu instid0(VALU_DEP_2) | instskip(NEXT) | instid1(VALU_DEP_1)
	v_cmp_eq_u32_e64 s7, 0, v10
	v_cndmask_b32_e64 v10, v12, v11, s7
; %bb.448:
	s_or_b32 exec_lo, exec_lo, s11
	v_lshlrev_b32_e32 v11, 16, v35
	s_delay_alu instid0(VALU_DEP_1) | instskip(NEXT) | instid1(VALU_DEP_1)
	v_add_f32_e32 v12, 0, v11
	v_and_b32_e32 v11, 0x7f800000, v12
	s_delay_alu instid0(VALU_DEP_1) | instskip(SKIP_1) | instid1(SALU_CYCLE_1)
	v_cmp_ne_u32_e64 s7, 0x7f800000, v11
                                        ; implicit-def: $vgpr11
	s_and_saveexec_b32 s11, s7
	s_xor_b32 s7, exec_lo, s11
; %bb.449:
	v_bfe_u32 v11, v12, 16, 1
	s_delay_alu instid0(VALU_DEP_1)
	v_add3_u32 v11, v12, v11, 0x7fff
                                        ; implicit-def: $vgpr12
; %bb.450:
	s_and_not1_saveexec_b32 s11, s7
; %bb.451:
	v_and_b32_e32 v11, 0xffff, v12
	v_or_b32_e32 v13, 0x10000, v12
	s_delay_alu instid0(VALU_DEP_2) | instskip(NEXT) | instid1(VALU_DEP_1)
	v_cmp_eq_u32_e64 s7, 0, v11
	v_cndmask_b32_e64 v11, v13, v12, s7
; %bb.452:
	s_or_b32 exec_lo, exec_lo, s11
	v_cmp_lt_i32_e64 s7, -1, v10
	s_delay_alu instid0(VALU_DEP_2) | instskip(SKIP_3) | instid1(VALU_DEP_1)
	v_perm_b32 v10, v11, v10, 0x7060302
	s_and_not1_b32 s10, s10, exec_lo
	v_cndmask_b32_e64 v12, -1, 0xffff8000, s7
	v_cmp_lt_i32_e64 s7, -1, v11
	v_cndmask_b32_e64 v13, -1, 0xffff8000, s7
	s_delay_alu instid0(VALU_DEP_1) | instskip(NEXT) | instid1(VALU_DEP_1)
	v_perm_b32 v11, v13, v12, 0x5040100
	v_xor_b32_e32 v10, v11, v10
	s_delay_alu instid0(VALU_DEP_1) | instskip(NEXT) | instid1(VALU_DEP_1)
	v_lshrrev_b32_e32 v11, 16, v10
	v_cmp_le_u16_e64 s7, v10, v11
	s_and_b32 s7, s7, exec_lo
	s_delay_alu instid0(SALU_CYCLE_1)
	s_or_b32 s10, s10, s7
.LBB2049_453:
	s_or_b32 exec_lo, exec_lo, s8
	v_cndmask_b32_e64 v10, v55, v54, s10
	s_mov_b32 s11, -1
	s_mov_b32 s8, -1
	s_mov_b32 s12, exec_lo
	s_delay_alu instid0(VALU_DEP_1) | instskip(NEXT) | instid1(VALU_DEP_1)
	v_add_nc_u32_e32 v12, 1, v10
	v_dual_cndmask_b32 v11, v51, v50, s10 :: v_dual_cndmask_b32 v15, v54, v12, s10
	s_delay_alu instid0(VALU_DEP_1) | instskip(NEXT) | instid1(VALU_DEP_1)
	v_add_min_u32_e64 v11, v11, -1, v12
	v_lshl_add_u32 v11, v11, 1, v5
	ds_load_u16 v13, v11
	s_wait_dscnt 0x0
	v_cndmask_b32_e64 v37, v13, v35, s10
	v_cndmask_b32_e64 v14, v12, v55, s10
	v_lshl_add_u32 v10, v10, 3, v1
	v_cndmask_b32_e64 v52, v34, v13, s10
	ds_load_b64 v[10:11], v10 offset:4096
	v_cmpx_lt_u32_e64 v14, v51
	s_cbranch_execz .LBB2049_465
; %bb.454:
	s_mov_b32 s13, 0
	s_mov_b32 s8, exec_lo
	v_cmpx_lt_u32_e64 v15, v50
	s_cbranch_execz .LBB2049_464
; %bb.455:
	v_lshlrev_b32_e32 v12, 16, v52
	s_delay_alu instid0(VALU_DEP_1) | instskip(NEXT) | instid1(VALU_DEP_1)
	v_add_f32_e32 v13, 0, v12
	v_and_b32_e32 v12, 0x7f800000, v13
	s_delay_alu instid0(VALU_DEP_1) | instskip(SKIP_1) | instid1(SALU_CYCLE_1)
	v_cmp_ne_u32_e64 s7, 0x7f800000, v12
                                        ; implicit-def: $vgpr12
	s_and_saveexec_b32 s13, s7
	s_xor_b32 s7, exec_lo, s13
; %bb.456:
	v_bfe_u32 v12, v13, 16, 1
	s_delay_alu instid0(VALU_DEP_1)
	v_add3_u32 v12, v13, v12, 0x7fff
                                        ; implicit-def: $vgpr13
; %bb.457:
	s_and_not1_saveexec_b32 s13, s7
; %bb.458:
	v_and_b32_e32 v12, 0xffff, v13
	v_or_b32_e32 v16, 0x10000, v13
	s_delay_alu instid0(VALU_DEP_2) | instskip(NEXT) | instid1(VALU_DEP_1)
	v_cmp_eq_u32_e64 s7, 0, v12
	v_cndmask_b32_e64 v12, v16, v13, s7
; %bb.459:
	s_or_b32 exec_lo, exec_lo, s13
	v_lshlrev_b32_e32 v13, 16, v37
	s_delay_alu instid0(VALU_DEP_1) | instskip(NEXT) | instid1(VALU_DEP_1)
	v_add_f32_e32 v16, 0, v13
	v_and_b32_e32 v13, 0x7f800000, v16
	s_delay_alu instid0(VALU_DEP_1) | instskip(SKIP_1) | instid1(SALU_CYCLE_1)
	v_cmp_ne_u32_e64 s7, 0x7f800000, v13
                                        ; implicit-def: $vgpr13
	s_and_saveexec_b32 s13, s7
	s_xor_b32 s7, exec_lo, s13
; %bb.460:
	v_bfe_u32 v13, v16, 16, 1
	s_delay_alu instid0(VALU_DEP_1)
	v_add3_u32 v13, v16, v13, 0x7fff
                                        ; implicit-def: $vgpr16
; %bb.461:
	s_and_not1_saveexec_b32 s13, s7
; %bb.462:
	v_and_b32_e32 v13, 0xffff, v16
	v_or_b32_e32 v17, 0x10000, v16
	s_delay_alu instid0(VALU_DEP_2) | instskip(NEXT) | instid1(VALU_DEP_1)
	v_cmp_eq_u32_e64 s7, 0, v13
	v_cndmask_b32_e64 v13, v17, v16, s7
; %bb.463:
	s_or_b32 exec_lo, exec_lo, s13
	v_cmp_lt_i32_e64 s7, -1, v12
	s_delay_alu instid0(VALU_DEP_2) | instskip(NEXT) | instid1(VALU_DEP_2)
	v_perm_b32 v12, v13, v12, 0x7060302
	v_cndmask_b32_e64 v16, -1, 0xffff8000, s7
	v_cmp_lt_i32_e64 s7, -1, v13
	s_delay_alu instid0(VALU_DEP_1) | instskip(NEXT) | instid1(VALU_DEP_1)
	v_cndmask_b32_e64 v17, -1, 0xffff8000, s7
	v_perm_b32 v13, v17, v16, 0x5040100
	s_delay_alu instid0(VALU_DEP_1) | instskip(NEXT) | instid1(VALU_DEP_1)
	v_xor_b32_e32 v12, v13, v12
	v_lshrrev_b32_e32 v13, 16, v12
	s_delay_alu instid0(VALU_DEP_1)
	v_cmp_le_u16_e64 s7, v12, v13
	s_and_b32 s13, s7, exec_lo
.LBB2049_464:
	s_or_b32 exec_lo, exec_lo, s8
	s_delay_alu instid0(SALU_CYCLE_1)
	s_or_not1_b32 s8, s13, exec_lo
.LBB2049_465:
	s_or_b32 exec_lo, exec_lo, s12
	v_dual_cndmask_b32 v12, v14, v15, s8 :: v_dual_cndmask_b32 v13, v51, v50, s8
	s_mov_b32 s12, exec_lo
	s_delay_alu instid0(VALU_DEP_1) | instskip(SKIP_1) | instid1(VALU_DEP_2)
	v_add_nc_u32_e32 v17, 1, v12
	v_lshl_add_u32 v12, v12, 3, v1
	v_add_min_u32_e64 v13, v13, -1, v17
	s_delay_alu instid0(VALU_DEP_1)
	v_lshl_add_u32 v13, v13, 1, v5
	ds_load_u16 v18, v13
	ds_load_b64 v[12:13], v12 offset:4096
	s_wait_dscnt 0x1
	v_dual_cndmask_b32 v38, v18, v37, s8 :: v_dual_cndmask_b32 v16, v17, v14, s8
	v_dual_cndmask_b32 v17, v15, v17, s8 :: v_dual_cndmask_b32 v53, v52, v18, s8
	s_delay_alu instid0(VALU_DEP_2)
	v_cmpx_lt_u32_e64 v16, v51
	s_cbranch_execz .LBB2049_477
; %bb.466:
	s_mov_b32 s13, 0
	s_mov_b32 s11, exec_lo
	v_cmpx_lt_u32_e64 v17, v50
	s_cbranch_execz .LBB2049_476
; %bb.467:
	v_lshlrev_b32_e32 v14, 16, v53
	s_delay_alu instid0(VALU_DEP_1) | instskip(NEXT) | instid1(VALU_DEP_1)
	v_add_f32_e32 v15, 0, v14
	v_and_b32_e32 v14, 0x7f800000, v15
	s_delay_alu instid0(VALU_DEP_1) | instskip(SKIP_1) | instid1(SALU_CYCLE_1)
	v_cmp_ne_u32_e64 s7, 0x7f800000, v14
                                        ; implicit-def: $vgpr14
	s_and_saveexec_b32 s13, s7
	s_xor_b32 s7, exec_lo, s13
; %bb.468:
	v_bfe_u32 v14, v15, 16, 1
	s_delay_alu instid0(VALU_DEP_1)
	v_add3_u32 v14, v15, v14, 0x7fff
                                        ; implicit-def: $vgpr15
; %bb.469:
	s_and_not1_saveexec_b32 s13, s7
; %bb.470:
	v_and_b32_e32 v14, 0xffff, v15
	v_or_b32_e32 v18, 0x10000, v15
	s_delay_alu instid0(VALU_DEP_2) | instskip(NEXT) | instid1(VALU_DEP_1)
	v_cmp_eq_u32_e64 s7, 0, v14
	v_cndmask_b32_e64 v14, v18, v15, s7
; %bb.471:
	s_or_b32 exec_lo, exec_lo, s13
	v_lshlrev_b32_e32 v15, 16, v38
	s_delay_alu instid0(VALU_DEP_1) | instskip(NEXT) | instid1(VALU_DEP_1)
	v_add_f32_e32 v18, 0, v15
	v_and_b32_e32 v15, 0x7f800000, v18
	s_delay_alu instid0(VALU_DEP_1) | instskip(SKIP_1) | instid1(SALU_CYCLE_1)
	v_cmp_ne_u32_e64 s7, 0x7f800000, v15
                                        ; implicit-def: $vgpr15
	s_and_saveexec_b32 s13, s7
	s_xor_b32 s7, exec_lo, s13
; %bb.472:
	v_bfe_u32 v15, v18, 16, 1
	s_delay_alu instid0(VALU_DEP_1)
	v_add3_u32 v15, v18, v15, 0x7fff
                                        ; implicit-def: $vgpr18
; %bb.473:
	s_and_not1_saveexec_b32 s13, s7
; %bb.474:
	v_and_b32_e32 v15, 0xffff, v18
	v_or_b32_e32 v19, 0x10000, v18
	s_delay_alu instid0(VALU_DEP_2) | instskip(NEXT) | instid1(VALU_DEP_1)
	v_cmp_eq_u32_e64 s7, 0, v15
	v_cndmask_b32_e64 v15, v19, v18, s7
; %bb.475:
	s_or_b32 exec_lo, exec_lo, s13
	v_cmp_lt_i32_e64 s7, -1, v14
	s_delay_alu instid0(VALU_DEP_2) | instskip(NEXT) | instid1(VALU_DEP_2)
	v_perm_b32 v14, v15, v14, 0x7060302
	v_cndmask_b32_e64 v18, -1, 0xffff8000, s7
	v_cmp_lt_i32_e64 s7, -1, v15
	s_delay_alu instid0(VALU_DEP_1) | instskip(NEXT) | instid1(VALU_DEP_1)
	v_cndmask_b32_e64 v19, -1, 0xffff8000, s7
	v_perm_b32 v15, v19, v18, 0x5040100
	s_delay_alu instid0(VALU_DEP_1) | instskip(NEXT) | instid1(VALU_DEP_1)
	v_xor_b32_e32 v14, v15, v14
	v_lshrrev_b32_e32 v15, 16, v14
	s_delay_alu instid0(VALU_DEP_1)
	v_cmp_le_u16_e64 s7, v14, v15
	s_and_b32 s13, s7, exec_lo
.LBB2049_476:
	s_or_b32 exec_lo, exec_lo, s11
	s_delay_alu instid0(SALU_CYCLE_1)
	s_or_not1_b32 s11, s13, exec_lo
.LBB2049_477:
	s_or_b32 exec_lo, exec_lo, s12
	s_delay_alu instid0(VALU_DEP_2) | instskip(SKIP_3) | instid1(VALU_DEP_1)
	v_dual_cndmask_b32 v14, v16, v17, s11 :: v_dual_cndmask_b32 v15, v51, v50, s11
	s_mov_b32 s13, -1
	s_mov_b32 s12, -1
	s_mov_b32 s14, exec_lo
	v_add_nc_u32_e32 v19, 1, v14
	v_lshl_add_u32 v14, v14, 3, v1
	s_delay_alu instid0(VALU_DEP_2) | instskip(NEXT) | instid1(VALU_DEP_1)
	v_add_min_u32_e64 v15, v15, -1, v19
	v_lshl_add_u32 v15, v15, 1, v5
	ds_load_u16 v20, v15
	ds_load_b64 v[14:15], v14 offset:4096
	s_wait_dscnt 0x1
	v_dual_cndmask_b32 v49, v20, v38, s11 :: v_dual_cndmask_b32 v54, v53, v20, s11
	v_dual_cndmask_b32 v18, v19, v16, s11 :: v_dual_cndmask_b32 v19, v17, v19, s11
	s_delay_alu instid0(VALU_DEP_1)
	v_cmpx_lt_u32_e64 v18, v51
	s_cbranch_execz .LBB2049_489
; %bb.478:
	s_mov_b32 s15, 0
	s_mov_b32 s12, exec_lo
	v_cmpx_lt_u32_e64 v19, v50
	s_cbranch_execz .LBB2049_488
; %bb.479:
	v_lshlrev_b32_e32 v16, 16, v54
	s_delay_alu instid0(VALU_DEP_1) | instskip(NEXT) | instid1(VALU_DEP_1)
	v_add_f32_e32 v17, 0, v16
	v_and_b32_e32 v16, 0x7f800000, v17
	s_delay_alu instid0(VALU_DEP_1) | instskip(SKIP_1) | instid1(SALU_CYCLE_1)
	v_cmp_ne_u32_e64 s7, 0x7f800000, v16
                                        ; implicit-def: $vgpr16
	s_and_saveexec_b32 s15, s7
	s_xor_b32 s7, exec_lo, s15
; %bb.480:
	v_bfe_u32 v16, v17, 16, 1
	s_delay_alu instid0(VALU_DEP_1)
	v_add3_u32 v16, v17, v16, 0x7fff
                                        ; implicit-def: $vgpr17
; %bb.481:
	s_and_not1_saveexec_b32 s15, s7
; %bb.482:
	v_and_b32_e32 v16, 0xffff, v17
	v_or_b32_e32 v20, 0x10000, v17
	s_delay_alu instid0(VALU_DEP_2) | instskip(NEXT) | instid1(VALU_DEP_1)
	v_cmp_eq_u32_e64 s7, 0, v16
	v_cndmask_b32_e64 v16, v20, v17, s7
; %bb.483:
	s_or_b32 exec_lo, exec_lo, s15
	v_lshlrev_b32_e32 v17, 16, v49
	s_delay_alu instid0(VALU_DEP_1) | instskip(NEXT) | instid1(VALU_DEP_1)
	v_add_f32_e32 v20, 0, v17
	v_and_b32_e32 v17, 0x7f800000, v20
	s_delay_alu instid0(VALU_DEP_1) | instskip(SKIP_1) | instid1(SALU_CYCLE_1)
	v_cmp_ne_u32_e64 s7, 0x7f800000, v17
                                        ; implicit-def: $vgpr17
	s_and_saveexec_b32 s15, s7
	s_xor_b32 s7, exec_lo, s15
; %bb.484:
	v_bfe_u32 v17, v20, 16, 1
	s_delay_alu instid0(VALU_DEP_1)
	v_add3_u32 v17, v20, v17, 0x7fff
                                        ; implicit-def: $vgpr20
; %bb.485:
	s_and_not1_saveexec_b32 s15, s7
; %bb.486:
	v_and_b32_e32 v17, 0xffff, v20
	v_or_b32_e32 v21, 0x10000, v20
	s_delay_alu instid0(VALU_DEP_2) | instskip(NEXT) | instid1(VALU_DEP_1)
	v_cmp_eq_u32_e64 s7, 0, v17
	v_cndmask_b32_e64 v17, v21, v20, s7
; %bb.487:
	s_or_b32 exec_lo, exec_lo, s15
	v_cmp_lt_i32_e64 s7, -1, v16
	s_delay_alu instid0(VALU_DEP_2) | instskip(NEXT) | instid1(VALU_DEP_2)
	v_perm_b32 v16, v17, v16, 0x7060302
	v_cndmask_b32_e64 v20, -1, 0xffff8000, s7
	v_cmp_lt_i32_e64 s7, -1, v17
	s_delay_alu instid0(VALU_DEP_1) | instskip(NEXT) | instid1(VALU_DEP_1)
	v_cndmask_b32_e64 v21, -1, 0xffff8000, s7
	v_perm_b32 v17, v21, v20, 0x5040100
	s_delay_alu instid0(VALU_DEP_1) | instskip(NEXT) | instid1(VALU_DEP_1)
	v_xor_b32_e32 v16, v17, v16
	v_lshrrev_b32_e32 v17, 16, v16
	s_delay_alu instid0(VALU_DEP_1)
	v_cmp_le_u16_e64 s7, v16, v17
	s_and_b32 s15, s7, exec_lo
.LBB2049_488:
	s_or_b32 exec_lo, exec_lo, s12
	s_delay_alu instid0(SALU_CYCLE_1)
	s_or_not1_b32 s12, s15, exec_lo
.LBB2049_489:
	s_or_b32 exec_lo, exec_lo, s14
	s_delay_alu instid0(VALU_DEP_2) | instskip(SKIP_1) | instid1(VALU_DEP_1)
	v_dual_cndmask_b32 v16, v18, v19, s12 :: v_dual_cndmask_b32 v17, v51, v50, s12
	s_mov_b32 s14, exec_lo
	v_add_nc_u32_e32 v21, 1, v16
	v_lshl_add_u32 v16, v16, 3, v1
	s_delay_alu instid0(VALU_DEP_2) | instskip(NEXT) | instid1(VALU_DEP_1)
	v_add_min_u32_e64 v17, v17, -1, v21
	v_lshl_add_u32 v17, v17, 1, v5
	ds_load_u16 v22, v17
	ds_load_b64 v[16:17], v16 offset:4096
	s_wait_dscnt 0x1
	v_dual_cndmask_b32 v39, v22, v49, s12 :: v_dual_cndmask_b32 v20, v21, v18, s12
	v_dual_cndmask_b32 v21, v19, v21, s12 :: v_dual_cndmask_b32 v55, v54, v22, s12
	s_delay_alu instid0(VALU_DEP_2)
	v_cmpx_lt_u32_e64 v20, v51
	s_cbranch_execz .LBB2049_501
; %bb.490:
	s_mov_b32 s15, 0
	s_mov_b32 s13, exec_lo
	v_cmpx_lt_u32_e64 v21, v50
	s_cbranch_execz .LBB2049_500
; %bb.491:
	v_lshlrev_b32_e32 v18, 16, v55
	s_delay_alu instid0(VALU_DEP_1) | instskip(NEXT) | instid1(VALU_DEP_1)
	v_add_f32_e32 v19, 0, v18
	v_and_b32_e32 v18, 0x7f800000, v19
	s_delay_alu instid0(VALU_DEP_1) | instskip(SKIP_1) | instid1(SALU_CYCLE_1)
	v_cmp_ne_u32_e64 s7, 0x7f800000, v18
                                        ; implicit-def: $vgpr18
	s_and_saveexec_b32 s15, s7
	s_xor_b32 s7, exec_lo, s15
; %bb.492:
	v_bfe_u32 v18, v19, 16, 1
	s_delay_alu instid0(VALU_DEP_1)
	v_add3_u32 v18, v19, v18, 0x7fff
                                        ; implicit-def: $vgpr19
; %bb.493:
	s_and_not1_saveexec_b32 s15, s7
; %bb.494:
	v_and_b32_e32 v18, 0xffff, v19
	v_or_b32_e32 v22, 0x10000, v19
	s_delay_alu instid0(VALU_DEP_2) | instskip(NEXT) | instid1(VALU_DEP_1)
	v_cmp_eq_u32_e64 s7, 0, v18
	v_cndmask_b32_e64 v18, v22, v19, s7
; %bb.495:
	s_or_b32 exec_lo, exec_lo, s15
	v_lshlrev_b32_e32 v19, 16, v39
	s_delay_alu instid0(VALU_DEP_1) | instskip(NEXT) | instid1(VALU_DEP_1)
	v_add_f32_e32 v22, 0, v19
	v_and_b32_e32 v19, 0x7f800000, v22
	s_delay_alu instid0(VALU_DEP_1) | instskip(SKIP_1) | instid1(SALU_CYCLE_1)
	v_cmp_ne_u32_e64 s7, 0x7f800000, v19
                                        ; implicit-def: $vgpr19
	s_and_saveexec_b32 s15, s7
	s_xor_b32 s7, exec_lo, s15
; %bb.496:
	v_bfe_u32 v19, v22, 16, 1
	s_delay_alu instid0(VALU_DEP_1)
	v_add3_u32 v19, v22, v19, 0x7fff
                                        ; implicit-def: $vgpr22
; %bb.497:
	s_and_not1_saveexec_b32 s15, s7
; %bb.498:
	v_and_b32_e32 v19, 0xffff, v22
	v_or_b32_e32 v23, 0x10000, v22
	s_delay_alu instid0(VALU_DEP_2) | instskip(NEXT) | instid1(VALU_DEP_1)
	v_cmp_eq_u32_e64 s7, 0, v19
	v_cndmask_b32_e64 v19, v23, v22, s7
; %bb.499:
	s_or_b32 exec_lo, exec_lo, s15
	v_cmp_lt_i32_e64 s7, -1, v18
	s_delay_alu instid0(VALU_DEP_2) | instskip(NEXT) | instid1(VALU_DEP_2)
	v_perm_b32 v18, v19, v18, 0x7060302
	v_cndmask_b32_e64 v22, -1, 0xffff8000, s7
	v_cmp_lt_i32_e64 s7, -1, v19
	s_delay_alu instid0(VALU_DEP_1) | instskip(NEXT) | instid1(VALU_DEP_1)
	v_cndmask_b32_e64 v23, -1, 0xffff8000, s7
	v_perm_b32 v19, v23, v22, 0x5040100
	s_delay_alu instid0(VALU_DEP_1) | instskip(NEXT) | instid1(VALU_DEP_1)
	v_xor_b32_e32 v18, v19, v18
	v_lshrrev_b32_e32 v19, 16, v18
	s_delay_alu instid0(VALU_DEP_1)
	v_cmp_le_u16_e64 s7, v18, v19
	s_and_b32 s15, s7, exec_lo
.LBB2049_500:
	s_or_b32 exec_lo, exec_lo, s13
	s_delay_alu instid0(SALU_CYCLE_1)
	s_or_not1_b32 s13, s15, exec_lo
.LBB2049_501:
	s_or_b32 exec_lo, exec_lo, s14
	s_delay_alu instid0(VALU_DEP_2) | instskip(SKIP_3) | instid1(VALU_DEP_1)
	v_dual_cndmask_b32 v18, v20, v21, s13 :: v_dual_cndmask_b32 v19, v51, v50, s13
	s_mov_b32 s15, -1
	s_mov_b32 s14, -1
	s_mov_b32 s16, exec_lo
	v_add_nc_u32_e32 v22, 1, v18
	v_lshl_add_u32 v18, v18, 3, v1
	s_delay_alu instid0(VALU_DEP_2) | instskip(NEXT) | instid1(VALU_DEP_1)
	v_add_min_u32_e64 v19, v19, -1, v22
	v_lshl_add_u32 v19, v19, 1, v5
	ds_load_u16 v23, v19
	ds_load_b64 v[18:19], v18 offset:4096
	s_wait_dscnt 0x1
	v_dual_cndmask_b32 v36, v23, v39, s13 :: v_dual_cndmask_b32 v20, v22, v20, s13
	v_dual_cndmask_b32 v21, v21, v22, s13 :: v_dual_cndmask_b32 v64, v55, v23, s13
	s_delay_alu instid0(VALU_DEP_2)
	v_cmpx_lt_u32_e64 v20, v51
	s_cbranch_execz .LBB2049_513
; %bb.502:
	s_mov_b32 s17, 0
	s_mov_b32 s14, exec_lo
	v_cmpx_lt_u32_e64 v21, v50
	s_cbranch_execz .LBB2049_512
; %bb.503:
	v_lshlrev_b32_e32 v22, 16, v64
	s_delay_alu instid0(VALU_DEP_1) | instskip(NEXT) | instid1(VALU_DEP_1)
	v_add_f32_e32 v23, 0, v22
	v_and_b32_e32 v22, 0x7f800000, v23
	s_delay_alu instid0(VALU_DEP_1) | instskip(SKIP_1) | instid1(SALU_CYCLE_1)
	v_cmp_ne_u32_e64 s7, 0x7f800000, v22
                                        ; implicit-def: $vgpr22
	s_and_saveexec_b32 s17, s7
	s_xor_b32 s7, exec_lo, s17
; %bb.504:
	v_bfe_u32 v22, v23, 16, 1
	s_delay_alu instid0(VALU_DEP_1)
	v_add3_u32 v22, v23, v22, 0x7fff
                                        ; implicit-def: $vgpr23
; %bb.505:
	s_and_not1_saveexec_b32 s17, s7
; %bb.506:
	v_and_b32_e32 v22, 0xffff, v23
	v_or_b32_e32 v24, 0x10000, v23
	s_delay_alu instid0(VALU_DEP_2) | instskip(NEXT) | instid1(VALU_DEP_1)
	v_cmp_eq_u32_e64 s7, 0, v22
	v_cndmask_b32_e64 v22, v24, v23, s7
; %bb.507:
	s_or_b32 exec_lo, exec_lo, s17
	v_lshlrev_b32_e32 v23, 16, v36
	s_delay_alu instid0(VALU_DEP_1) | instskip(NEXT) | instid1(VALU_DEP_1)
	v_add_f32_e32 v24, 0, v23
	v_and_b32_e32 v23, 0x7f800000, v24
	s_delay_alu instid0(VALU_DEP_1) | instskip(SKIP_1) | instid1(SALU_CYCLE_1)
	v_cmp_ne_u32_e64 s7, 0x7f800000, v23
                                        ; implicit-def: $vgpr23
	s_and_saveexec_b32 s17, s7
	s_xor_b32 s7, exec_lo, s17
; %bb.508:
	v_bfe_u32 v23, v24, 16, 1
	s_delay_alu instid0(VALU_DEP_1)
	v_add3_u32 v23, v24, v23, 0x7fff
                                        ; implicit-def: $vgpr24
; %bb.509:
	s_and_not1_saveexec_b32 s17, s7
; %bb.510:
	v_and_b32_e32 v23, 0xffff, v24
	v_or_b32_e32 v25, 0x10000, v24
	s_delay_alu instid0(VALU_DEP_2) | instskip(NEXT) | instid1(VALU_DEP_1)
	v_cmp_eq_u32_e64 s7, 0, v23
	v_cndmask_b32_e64 v23, v25, v24, s7
; %bb.511:
	s_or_b32 exec_lo, exec_lo, s17
	v_cmp_lt_i32_e64 s7, -1, v22
	s_delay_alu instid0(VALU_DEP_2) | instskip(NEXT) | instid1(VALU_DEP_2)
	v_perm_b32 v22, v23, v22, 0x7060302
	v_cndmask_b32_e64 v24, -1, 0xffff8000, s7
	v_cmp_lt_i32_e64 s7, -1, v23
	s_delay_alu instid0(VALU_DEP_1) | instskip(NEXT) | instid1(VALU_DEP_1)
	v_cndmask_b32_e64 v25, -1, 0xffff8000, s7
	v_perm_b32 v23, v25, v24, 0x5040100
	s_delay_alu instid0(VALU_DEP_1) | instskip(NEXT) | instid1(VALU_DEP_1)
	v_xor_b32_e32 v22, v23, v22
	v_lshrrev_b32_e32 v23, 16, v22
	s_delay_alu instid0(VALU_DEP_1)
	v_cmp_le_u16_e64 s7, v22, v23
	s_and_b32 s17, s7, exec_lo
.LBB2049_512:
	s_or_b32 exec_lo, exec_lo, s14
	s_delay_alu instid0(SALU_CYCLE_1)
	s_or_not1_b32 s14, s17, exec_lo
.LBB2049_513:
	s_or_b32 exec_lo, exec_lo, s16
	s_delay_alu instid0(VALU_DEP_2) | instskip(SKIP_1) | instid1(VALU_DEP_1)
	v_dual_cndmask_b32 v22, v20, v21, s14 :: v_dual_cndmask_b32 v23, v51, v50, s14
	s_mov_b32 s16, exec_lo
	v_add_nc_u32_e32 v25, 1, v22
	v_lshl_add_u32 v22, v22, 3, v1
	s_delay_alu instid0(VALU_DEP_2) | instskip(NEXT) | instid1(VALU_DEP_1)
	v_add_min_u32_e64 v23, v23, -1, v25
	v_lshl_add_u32 v23, v23, 1, v5
	ds_load_u16 v65, v23
	ds_load_b64 v[22:23], v22 offset:4096
	s_wait_dscnt 0x1
	v_cndmask_b32_e64 v48, v65, v36, s14
	v_dual_cndmask_b32 v24, v25, v20, s14 :: v_dual_cndmask_b32 v65, v64, v65, s14
	v_cndmask_b32_e64 v25, v21, v25, s14
	s_delay_alu instid0(VALU_DEP_2)
	v_cmpx_lt_u32_e64 v24, v51
	s_cbranch_execz .LBB2049_525
; %bb.514:
	s_mov_b32 s17, 0
	s_mov_b32 s15, exec_lo
	v_cmpx_lt_u32_e64 v25, v50
	s_cbranch_execz .LBB2049_524
; %bb.515:
	v_lshlrev_b32_e32 v20, 16, v65
	s_delay_alu instid0(VALU_DEP_1) | instskip(NEXT) | instid1(VALU_DEP_1)
	v_add_f32_e32 v21, 0, v20
	v_and_b32_e32 v20, 0x7f800000, v21
	s_delay_alu instid0(VALU_DEP_1) | instskip(SKIP_1) | instid1(SALU_CYCLE_1)
	v_cmp_ne_u32_e64 s7, 0x7f800000, v20
                                        ; implicit-def: $vgpr20
	s_and_saveexec_b32 s17, s7
	s_xor_b32 s7, exec_lo, s17
; %bb.516:
	v_bfe_u32 v20, v21, 16, 1
	s_delay_alu instid0(VALU_DEP_1)
	v_add3_u32 v20, v21, v20, 0x7fff
                                        ; implicit-def: $vgpr21
; %bb.517:
	s_and_not1_saveexec_b32 s17, s7
; %bb.518:
	v_and_b32_e32 v20, 0xffff, v21
	v_or_b32_e32 v66, 0x10000, v21
	s_delay_alu instid0(VALU_DEP_2) | instskip(NEXT) | instid1(VALU_DEP_1)
	v_cmp_eq_u32_e64 s7, 0, v20
	v_cndmask_b32_e64 v20, v66, v21, s7
; %bb.519:
	s_or_b32 exec_lo, exec_lo, s17
	v_lshlrev_b32_e32 v21, 16, v48
	s_delay_alu instid0(VALU_DEP_1) | instskip(NEXT) | instid1(VALU_DEP_1)
	v_add_f32_e32 v66, 0, v21
	v_and_b32_e32 v21, 0x7f800000, v66
	s_delay_alu instid0(VALU_DEP_1) | instskip(SKIP_1) | instid1(SALU_CYCLE_1)
	v_cmp_ne_u32_e64 s7, 0x7f800000, v21
                                        ; implicit-def: $vgpr21
	s_and_saveexec_b32 s17, s7
	s_xor_b32 s7, exec_lo, s17
; %bb.520:
	v_bfe_u32 v21, v66, 16, 1
	s_delay_alu instid0(VALU_DEP_1)
	v_add3_u32 v21, v66, v21, 0x7fff
                                        ; implicit-def: $vgpr66
; %bb.521:
	s_and_not1_saveexec_b32 s17, s7
; %bb.522:
	v_and_b32_e32 v21, 0xffff, v66
	v_or_b32_e32 v67, 0x10000, v66
	s_delay_alu instid0(VALU_DEP_2) | instskip(NEXT) | instid1(VALU_DEP_1)
	v_cmp_eq_u32_e64 s7, 0, v21
	v_cndmask_b32_e64 v21, v67, v66, s7
; %bb.523:
	s_or_b32 exec_lo, exec_lo, s17
	v_cmp_lt_i32_e64 s7, -1, v20
	s_delay_alu instid0(VALU_DEP_2) | instskip(NEXT) | instid1(VALU_DEP_2)
	v_perm_b32 v20, v21, v20, 0x7060302
	v_cndmask_b32_e64 v66, -1, 0xffff8000, s7
	v_cmp_lt_i32_e64 s7, -1, v21
	s_delay_alu instid0(VALU_DEP_1) | instskip(NEXT) | instid1(VALU_DEP_1)
	v_cndmask_b32_e64 v67, -1, 0xffff8000, s7
	v_perm_b32 v21, v67, v66, 0x5040100
	s_delay_alu instid0(VALU_DEP_1) | instskip(NEXT) | instid1(VALU_DEP_1)
	v_xor_b32_e32 v20, v21, v20
	v_lshrrev_b32_e32 v21, 16, v20
	s_delay_alu instid0(VALU_DEP_1)
	v_cmp_le_u16_e64 s7, v20, v21
	s_and_b32 s17, s7, exec_lo
.LBB2049_524:
	s_or_b32 exec_lo, exec_lo, s15
	s_delay_alu instid0(SALU_CYCLE_1)
	s_or_not1_b32 s15, s17, exec_lo
.LBB2049_525:
	s_or_b32 exec_lo, exec_lo, s16
	s_delay_alu instid0(VALU_DEP_2) | instskip(SKIP_2) | instid1(VALU_DEP_1)
	v_dual_cndmask_b32 v20, v24, v25, s15 :: v_dual_cndmask_b32 v21, v51, v50, s15
	s_mov_b32 s17, -1
	s_mov_b32 s16, exec_lo
	v_add_nc_u32_e32 v66, 1, v20
	v_lshl_add_u32 v20, v20, 3, v1
	s_delay_alu instid0(VALU_DEP_2) | instskip(SKIP_1) | instid1(VALU_DEP_2)
	v_add_min_u32_e64 v21, v21, -1, v66
	v_dual_cndmask_b32 v24, v66, v24, s15 :: v_dual_cndmask_b32 v25, v25, v66, s15
	v_lshl_add_u32 v21, v21, 1, v5
	ds_load_u16 v67, v21
	ds_load_b64 v[20:21], v20 offset:4096
	s_wait_dscnt 0x1
	v_dual_cndmask_b32 v66, v67, v48, s15 :: v_dual_cndmask_b32 v67, v65, v67, s15
	v_cmpx_lt_u32_e64 v24, v51
	s_cbranch_execz .LBB2049_537
; %bb.526:
	s_mov_b32 s18, 0
	s_mov_b32 s17, exec_lo
	v_cmpx_lt_u32_e64 v25, v50
	s_cbranch_execz .LBB2049_536
; %bb.527:
	v_lshlrev_b32_e32 v50, 16, v67
	s_delay_alu instid0(VALU_DEP_1) | instskip(NEXT) | instid1(VALU_DEP_1)
	v_add_f32_e32 v51, 0, v50
	v_and_b32_e32 v50, 0x7f800000, v51
	s_delay_alu instid0(VALU_DEP_1) | instskip(SKIP_1) | instid1(SALU_CYCLE_1)
	v_cmp_ne_u32_e64 s7, 0x7f800000, v50
                                        ; implicit-def: $vgpr50
	s_and_saveexec_b32 s18, s7
	s_xor_b32 s7, exec_lo, s18
; %bb.528:
	v_bfe_u32 v50, v51, 16, 1
	s_delay_alu instid0(VALU_DEP_1)
	v_add3_u32 v50, v51, v50, 0x7fff
                                        ; implicit-def: $vgpr51
; %bb.529:
	s_and_not1_saveexec_b32 s18, s7
; %bb.530:
	v_and_b32_e32 v50, 0xffff, v51
	v_or_b32_e32 v68, 0x10000, v51
	s_delay_alu instid0(VALU_DEP_2) | instskip(NEXT) | instid1(VALU_DEP_1)
	v_cmp_eq_u32_e64 s7, 0, v50
	v_cndmask_b32_e64 v50, v68, v51, s7
; %bb.531:
	s_or_b32 exec_lo, exec_lo, s18
	v_lshlrev_b32_e32 v51, 16, v66
	s_delay_alu instid0(VALU_DEP_1) | instskip(NEXT) | instid1(VALU_DEP_1)
	v_add_f32_e32 v68, 0, v51
	v_and_b32_e32 v51, 0x7f800000, v68
	s_delay_alu instid0(VALU_DEP_1) | instskip(SKIP_1) | instid1(SALU_CYCLE_1)
	v_cmp_ne_u32_e64 s7, 0x7f800000, v51
                                        ; implicit-def: $vgpr51
	s_and_saveexec_b32 s18, s7
	s_xor_b32 s7, exec_lo, s18
; %bb.532:
	v_bfe_u32 v51, v68, 16, 1
	s_delay_alu instid0(VALU_DEP_1)
	v_add3_u32 v51, v68, v51, 0x7fff
                                        ; implicit-def: $vgpr68
; %bb.533:
	s_and_not1_saveexec_b32 s18, s7
; %bb.534:
	v_and_b32_e32 v51, 0xffff, v68
	v_or_b32_e32 v69, 0x10000, v68
	s_delay_alu instid0(VALU_DEP_2) | instskip(NEXT) | instid1(VALU_DEP_1)
	v_cmp_eq_u32_e64 s7, 0, v51
	v_cndmask_b32_e64 v51, v69, v68, s7
; %bb.535:
	s_or_b32 exec_lo, exec_lo, s18
	v_cmp_lt_i32_e64 s7, -1, v50
	s_delay_alu instid0(VALU_DEP_2) | instskip(NEXT) | instid1(VALU_DEP_2)
	v_perm_b32 v50, v51, v50, 0x7060302
	v_cndmask_b32_e64 v68, -1, 0xffff8000, s7
	v_cmp_lt_i32_e64 s7, -1, v51
	s_delay_alu instid0(VALU_DEP_1) | instskip(NEXT) | instid1(VALU_DEP_1)
	v_cndmask_b32_e64 v69, -1, 0xffff8000, s7
	v_perm_b32 v51, v69, v68, 0x5040100
	s_delay_alu instid0(VALU_DEP_1) | instskip(NEXT) | instid1(VALU_DEP_1)
	v_xor_b32_e32 v50, v51, v50
	v_lshrrev_b32_e32 v51, 16, v50
	s_delay_alu instid0(VALU_DEP_1)
	v_cmp_le_u16_e64 s7, v50, v51
	s_and_b32 s18, s7, exec_lo
.LBB2049_536:
	s_or_b32 exec_lo, exec_lo, s17
	s_delay_alu instid0(SALU_CYCLE_1)
	s_or_not1_b32 s17, s18, exec_lo
.LBB2049_537:
	s_or_b32 exec_lo, exec_lo, s16
	v_dual_cndmask_b32 v24, v24, v25, s17 :: v_dual_cndmask_b32 v39, v39, v55, s13
	v_dual_cndmask_b32 v48, v48, v65, s15 :: v_dual_cndmask_b32 v49, v49, v54, s12
	;; [unrolled: 1-line block ×3, first 2 shown]
	s_delay_alu instid0(VALU_DEP_3)
	v_lshl_add_u32 v24, v24, 3, v1
	v_dual_cndmask_b32 v37, v37, v52, s8 :: v_dual_cndmask_b32 v34, v35, v34, s10
	v_cndmask_b32_e64 v35, v66, v67, s17
	ds_load_b64 v[24:25], v24 offset:4096
.LBB2049_538:
	s_or_b32 exec_lo, exec_lo, s9
	v_and_b32_e32 v54, 0xc0, v33
	v_perm_b32 v67, v35, v48, 0x5040100
	v_perm_b32 v66, v36, v39, 0x5040100
	;; [unrolled: 1-line block ×4, first 2 shown]
	v_or_b32_e32 v50, 32, v54
	s_mov_b32 s8, exec_lo
	; wave barrier
	ds_store_2addr_b64 v30, v[14:15], v[16:17] offset1:1
	ds_store_2addr_b64 v31, v[18:19], v[22:23] offset1:1
	v_min_u32_e32 v50, v26, v50
	ds_store_2addr_b64 v29, v[10:11], v[12:13] offset1:1
	ds_store_2addr_b64 v27, v[68:69], v[66:67] offset1:1
	s_wait_dscnt 0x4
	ds_store_2addr_b64 v28, v[20:21], v[24:25] offset1:1
	; wave barrier
	v_add_min_u32_e64 v51, v50, 32, v26
	s_delay_alu instid0(VALU_DEP_1) | instskip(NEXT) | instid1(VALU_DEP_1)
	v_dual_sub_nc_u32 v53, v51, v50 :: v_dual_bitop2_b32 v52, 56, v33 bitop3:0x40
	v_min_u32_e32 v55, v26, v52
	v_sub_nc_u32_e32 v52, v50, v54
	s_delay_alu instid0(VALU_DEP_1) | instskip(NEXT) | instid1(VALU_DEP_4)
	v_min_u32_e32 v64, v55, v52
	v_sub_nc_u32_e64 v52, v55, v53 clamp
	v_lshl_add_u32 v53, v54, 1, v5
	s_delay_alu instid0(VALU_DEP_2)
	v_cmpx_lt_u32_e64 v52, v64
	s_cbranch_execz .LBB2049_550
; %bb.539:
	v_dual_lshlrev_b32 v65, 1, v50 :: v_dual_lshlrev_b32 v66, 1, v55
	s_mov_b32 s9, 0
	s_delay_alu instid0(VALU_DEP_1)
	v_add3_u32 v65, v5, v65, v66
	s_branch .LBB2049_541
.LBB2049_540:                           ;   in Loop: Header=BB2049_541 Depth=1
	s_or_b32 exec_lo, exec_lo, s10
	v_cmp_lt_i32_e64 s7, -1, v67
	s_delay_alu instid0(VALU_DEP_2) | instskip(NEXT) | instid1(VALU_DEP_2)
	v_perm_b32 v67, v68, v67, 0x7060302
	v_cndmask_b32_e64 v69, -1, 0xffff8000, s7
	v_cmp_lt_i32_e64 s7, -1, v68
	s_delay_alu instid0(VALU_DEP_1) | instskip(NEXT) | instid1(VALU_DEP_1)
	v_cndmask_b32_e64 v70, -1, 0xffff8000, s7
	v_perm_b32 v68, v70, v69, 0x5040100
	s_delay_alu instid0(VALU_DEP_1) | instskip(NEXT) | instid1(VALU_DEP_1)
	v_dual_add_nc_u32 v69, 1, v66 :: v_dual_bitop2_b32 v67, v68, v67 bitop3:0x14
	v_lshrrev_b32_e32 v68, 16, v67
	s_delay_alu instid0(VALU_DEP_1) | instskip(NEXT) | instid1(VALU_DEP_1)
	v_cmp_gt_u16_e64 s7, v67, v68
	v_dual_cndmask_b32 v64, v64, v66, s7 :: v_dual_cndmask_b32 v52, v69, v52, s7
	s_delay_alu instid0(VALU_DEP_1) | instskip(SKIP_1) | instid1(SALU_CYCLE_1)
	v_cmp_ge_u32_e64 s7, v52, v64
	s_or_b32 s9, s7, s9
	s_and_not1_b32 exec_lo, exec_lo, s9
	s_cbranch_execz .LBB2049_549
.LBB2049_541:                           ; =>This Inner Loop Header: Depth=1
	v_add_nc_u32_e32 v66, v64, v52
	s_delay_alu instid0(VALU_DEP_1) | instskip(NEXT) | instid1(VALU_DEP_1)
	v_and_b32_e32 v67, -2, v66
	v_dual_add_nc_u32 v67, v53, v67 :: v_dual_lshrrev_b32 v66, 1, v66
	ds_load_u16 v67, v67
	v_not_b32_e32 v68, v66
	s_delay_alu instid0(VALU_DEP_1) | instskip(SKIP_3) | instid1(VALU_DEP_1)
	v_lshl_add_u32 v68, v68, 1, v65
	ds_load_u16 v68, v68
	s_wait_dscnt 0x1
	v_lshlrev_b32_e32 v67, 16, v67
	v_add_f32_e32 v69, 0, v67
	s_delay_alu instid0(VALU_DEP_1) | instskip(NEXT) | instid1(VALU_DEP_1)
	v_and_b32_e32 v67, 0x7f800000, v69
	v_cmp_ne_u32_e64 s7, 0x7f800000, v67
                                        ; implicit-def: $vgpr67
	s_and_saveexec_b32 s10, s7
	s_delay_alu instid0(SALU_CYCLE_1)
	s_xor_b32 s7, exec_lo, s10
; %bb.542:                              ;   in Loop: Header=BB2049_541 Depth=1
	v_bfe_u32 v67, v69, 16, 1
	s_delay_alu instid0(VALU_DEP_1)
	v_add3_u32 v67, v69, v67, 0x7fff
                                        ; implicit-def: $vgpr69
; %bb.543:                              ;   in Loop: Header=BB2049_541 Depth=1
	s_and_not1_saveexec_b32 s10, s7
; %bb.544:                              ;   in Loop: Header=BB2049_541 Depth=1
	v_and_b32_e32 v67, 0xffff, v69
	v_or_b32_e32 v70, 0x10000, v69
	s_delay_alu instid0(VALU_DEP_2) | instskip(NEXT) | instid1(VALU_DEP_1)
	v_cmp_eq_u32_e64 s7, 0, v67
	v_cndmask_b32_e64 v67, v70, v69, s7
; %bb.545:                              ;   in Loop: Header=BB2049_541 Depth=1
	s_or_b32 exec_lo, exec_lo, s10
	s_wait_dscnt 0x0
	v_lshlrev_b32_e32 v68, 16, v68
	s_delay_alu instid0(VALU_DEP_1) | instskip(NEXT) | instid1(VALU_DEP_1)
	v_add_f32_e32 v69, 0, v68
	v_and_b32_e32 v68, 0x7f800000, v69
	s_delay_alu instid0(VALU_DEP_1) | instskip(SKIP_1) | instid1(SALU_CYCLE_1)
	v_cmp_ne_u32_e64 s7, 0x7f800000, v68
                                        ; implicit-def: $vgpr68
	s_and_saveexec_b32 s10, s7
	s_xor_b32 s7, exec_lo, s10
; %bb.546:                              ;   in Loop: Header=BB2049_541 Depth=1
	v_bfe_u32 v68, v69, 16, 1
	s_delay_alu instid0(VALU_DEP_1)
	v_add3_u32 v68, v69, v68, 0x7fff
                                        ; implicit-def: $vgpr69
; %bb.547:                              ;   in Loop: Header=BB2049_541 Depth=1
	s_and_not1_saveexec_b32 s10, s7
	s_cbranch_execz .LBB2049_540
; %bb.548:                              ;   in Loop: Header=BB2049_541 Depth=1
	v_and_b32_e32 v68, 0xffff, v69
	v_or_b32_e32 v70, 0x10000, v69
	s_delay_alu instid0(VALU_DEP_2) | instskip(NEXT) | instid1(VALU_DEP_1)
	v_cmp_eq_u32_e64 s7, 0, v68
	v_cndmask_b32_e64 v68, v70, v69, s7
	s_branch .LBB2049_540
.LBB2049_549:
	s_or_b32 exec_lo, exec_lo, s9
.LBB2049_550:
	s_delay_alu instid0(SALU_CYCLE_1) | instskip(SKIP_1) | instid1(VALU_DEP_1)
	s_or_b32 exec_lo, exec_lo, s8
	v_dual_add_nc_u32 v55, v50, v55 :: v_dual_add_nc_u32 v54, v52, v54
	v_sub_nc_u32_e32 v55, v55, v52
	s_delay_alu instid0(VALU_DEP_2) | instskip(NEXT) | instid1(VALU_DEP_2)
	v_cmp_le_u32_e64 s7, v54, v50
	v_cmp_le_u32_e64 s8, v55, v51
	s_or_b32 s7, s7, s8
	s_delay_alu instid0(SALU_CYCLE_1)
	s_and_saveexec_b32 s9, s7
	s_cbranch_execz .LBB2049_650
; %bb.551:
	v_cmp_ge_u32_e64 s7, v54, v50
	s_mov_b32 s10, exec_lo
                                        ; implicit-def: $vgpr34
	v_cmpx_lt_u32_e64 v54, v50
; %bb.552:
	v_lshl_add_u32 v10, v52, 1, v53
	ds_load_u16 v34, v10
; %bb.553:
	s_or_b32 exec_lo, exec_lo, s10
	v_cmp_ge_u32_e64 s10, v55, v51
	s_mov_b32 s11, exec_lo
                                        ; implicit-def: $vgpr35
	v_cmpx_lt_u32_e64 v55, v51
; %bb.554:
	v_lshl_add_u32 v10, v55, 1, v5
	ds_load_u16 v35, v10
; %bb.555:
	s_or_b32 exec_lo, exec_lo, s11
	s_nor_b32 s7, s7, s10
	s_delay_alu instid0(SALU_CYCLE_1)
	s_and_saveexec_b32 s8, s7
	s_cbranch_execz .LBB2049_565
; %bb.556:
	s_wait_dscnt 0x0
	v_lshlrev_b32_e32 v10, 16, v34
	s_delay_alu instid0(VALU_DEP_1) | instskip(NEXT) | instid1(VALU_DEP_1)
	v_add_f32_e32 v11, 0, v10
	v_and_b32_e32 v10, 0x7f800000, v11
	s_delay_alu instid0(VALU_DEP_1) | instskip(SKIP_1) | instid1(SALU_CYCLE_1)
	v_cmp_ne_u32_e64 s7, 0x7f800000, v10
                                        ; implicit-def: $vgpr10
	s_and_saveexec_b32 s11, s7
	s_xor_b32 s7, exec_lo, s11
; %bb.557:
	v_bfe_u32 v10, v11, 16, 1
	s_delay_alu instid0(VALU_DEP_1)
	v_add3_u32 v10, v11, v10, 0x7fff
                                        ; implicit-def: $vgpr11
; %bb.558:
	s_and_not1_saveexec_b32 s11, s7
; %bb.559:
	v_and_b32_e32 v10, 0xffff, v11
	v_or_b32_e32 v12, 0x10000, v11
	s_delay_alu instid0(VALU_DEP_2) | instskip(NEXT) | instid1(VALU_DEP_1)
	v_cmp_eq_u32_e64 s7, 0, v10
	v_cndmask_b32_e64 v10, v12, v11, s7
; %bb.560:
	s_or_b32 exec_lo, exec_lo, s11
	v_lshlrev_b32_e32 v11, 16, v35
	s_delay_alu instid0(VALU_DEP_1) | instskip(NEXT) | instid1(VALU_DEP_1)
	v_add_f32_e32 v12, 0, v11
	v_and_b32_e32 v11, 0x7f800000, v12
	s_delay_alu instid0(VALU_DEP_1) | instskip(SKIP_1) | instid1(SALU_CYCLE_1)
	v_cmp_ne_u32_e64 s7, 0x7f800000, v11
                                        ; implicit-def: $vgpr11
	s_and_saveexec_b32 s11, s7
	s_xor_b32 s7, exec_lo, s11
; %bb.561:
	v_bfe_u32 v11, v12, 16, 1
	s_delay_alu instid0(VALU_DEP_1)
	v_add3_u32 v11, v12, v11, 0x7fff
                                        ; implicit-def: $vgpr12
; %bb.562:
	s_and_not1_saveexec_b32 s11, s7
; %bb.563:
	v_and_b32_e32 v11, 0xffff, v12
	v_or_b32_e32 v13, 0x10000, v12
	s_delay_alu instid0(VALU_DEP_2) | instskip(NEXT) | instid1(VALU_DEP_1)
	v_cmp_eq_u32_e64 s7, 0, v11
	v_cndmask_b32_e64 v11, v13, v12, s7
; %bb.564:
	s_or_b32 exec_lo, exec_lo, s11
	v_cmp_lt_i32_e64 s7, -1, v10
	s_delay_alu instid0(VALU_DEP_2) | instskip(SKIP_3) | instid1(VALU_DEP_1)
	v_perm_b32 v10, v11, v10, 0x7060302
	s_and_not1_b32 s10, s10, exec_lo
	v_cndmask_b32_e64 v12, -1, 0xffff8000, s7
	v_cmp_lt_i32_e64 s7, -1, v11
	v_cndmask_b32_e64 v13, -1, 0xffff8000, s7
	s_delay_alu instid0(VALU_DEP_1) | instskip(NEXT) | instid1(VALU_DEP_1)
	v_perm_b32 v11, v13, v12, 0x5040100
	v_xor_b32_e32 v10, v11, v10
	s_delay_alu instid0(VALU_DEP_1) | instskip(NEXT) | instid1(VALU_DEP_1)
	v_lshrrev_b32_e32 v11, 16, v10
	v_cmp_le_u16_e64 s7, v10, v11
	s_and_b32 s7, s7, exec_lo
	s_delay_alu instid0(SALU_CYCLE_1)
	s_or_b32 s10, s10, s7
.LBB2049_565:
	s_or_b32 exec_lo, exec_lo, s8
	v_cndmask_b32_e64 v10, v55, v54, s10
	s_mov_b32 s11, -1
	s_mov_b32 s8, -1
	s_mov_b32 s12, exec_lo
	s_delay_alu instid0(VALU_DEP_1) | instskip(NEXT) | instid1(VALU_DEP_1)
	v_add_nc_u32_e32 v12, 1, v10
	v_dual_cndmask_b32 v11, v51, v50, s10 :: v_dual_cndmask_b32 v15, v54, v12, s10
	s_delay_alu instid0(VALU_DEP_1) | instskip(NEXT) | instid1(VALU_DEP_1)
	v_add_min_u32_e64 v11, v11, -1, v12
	v_lshl_add_u32 v11, v11, 1, v5
	ds_load_u16 v13, v11
	s_wait_dscnt 0x0
	v_cndmask_b32_e64 v37, v13, v35, s10
	v_cndmask_b32_e64 v14, v12, v55, s10
	v_lshl_add_u32 v10, v10, 3, v1
	v_cndmask_b32_e64 v52, v34, v13, s10
	ds_load_b64 v[10:11], v10 offset:4096
	v_cmpx_lt_u32_e64 v14, v51
	s_cbranch_execz .LBB2049_577
; %bb.566:
	s_mov_b32 s13, 0
	s_mov_b32 s8, exec_lo
	v_cmpx_lt_u32_e64 v15, v50
	s_cbranch_execz .LBB2049_576
; %bb.567:
	v_lshlrev_b32_e32 v12, 16, v52
	s_delay_alu instid0(VALU_DEP_1) | instskip(NEXT) | instid1(VALU_DEP_1)
	v_add_f32_e32 v13, 0, v12
	v_and_b32_e32 v12, 0x7f800000, v13
	s_delay_alu instid0(VALU_DEP_1) | instskip(SKIP_1) | instid1(SALU_CYCLE_1)
	v_cmp_ne_u32_e64 s7, 0x7f800000, v12
                                        ; implicit-def: $vgpr12
	s_and_saveexec_b32 s13, s7
	s_xor_b32 s7, exec_lo, s13
; %bb.568:
	v_bfe_u32 v12, v13, 16, 1
	s_delay_alu instid0(VALU_DEP_1)
	v_add3_u32 v12, v13, v12, 0x7fff
                                        ; implicit-def: $vgpr13
; %bb.569:
	s_and_not1_saveexec_b32 s13, s7
; %bb.570:
	v_and_b32_e32 v12, 0xffff, v13
	v_or_b32_e32 v16, 0x10000, v13
	s_delay_alu instid0(VALU_DEP_2) | instskip(NEXT) | instid1(VALU_DEP_1)
	v_cmp_eq_u32_e64 s7, 0, v12
	v_cndmask_b32_e64 v12, v16, v13, s7
; %bb.571:
	s_or_b32 exec_lo, exec_lo, s13
	v_lshlrev_b32_e32 v13, 16, v37
	s_delay_alu instid0(VALU_DEP_1) | instskip(NEXT) | instid1(VALU_DEP_1)
	v_add_f32_e32 v16, 0, v13
	v_and_b32_e32 v13, 0x7f800000, v16
	s_delay_alu instid0(VALU_DEP_1) | instskip(SKIP_1) | instid1(SALU_CYCLE_1)
	v_cmp_ne_u32_e64 s7, 0x7f800000, v13
                                        ; implicit-def: $vgpr13
	s_and_saveexec_b32 s13, s7
	s_xor_b32 s7, exec_lo, s13
; %bb.572:
	v_bfe_u32 v13, v16, 16, 1
	s_delay_alu instid0(VALU_DEP_1)
	v_add3_u32 v13, v16, v13, 0x7fff
                                        ; implicit-def: $vgpr16
; %bb.573:
	s_and_not1_saveexec_b32 s13, s7
; %bb.574:
	v_and_b32_e32 v13, 0xffff, v16
	v_or_b32_e32 v17, 0x10000, v16
	s_delay_alu instid0(VALU_DEP_2) | instskip(NEXT) | instid1(VALU_DEP_1)
	v_cmp_eq_u32_e64 s7, 0, v13
	v_cndmask_b32_e64 v13, v17, v16, s7
; %bb.575:
	s_or_b32 exec_lo, exec_lo, s13
	v_cmp_lt_i32_e64 s7, -1, v12
	s_delay_alu instid0(VALU_DEP_2) | instskip(NEXT) | instid1(VALU_DEP_2)
	v_perm_b32 v12, v13, v12, 0x7060302
	v_cndmask_b32_e64 v16, -1, 0xffff8000, s7
	v_cmp_lt_i32_e64 s7, -1, v13
	s_delay_alu instid0(VALU_DEP_1) | instskip(NEXT) | instid1(VALU_DEP_1)
	v_cndmask_b32_e64 v17, -1, 0xffff8000, s7
	v_perm_b32 v13, v17, v16, 0x5040100
	s_delay_alu instid0(VALU_DEP_1) | instskip(NEXT) | instid1(VALU_DEP_1)
	v_xor_b32_e32 v12, v13, v12
	v_lshrrev_b32_e32 v13, 16, v12
	s_delay_alu instid0(VALU_DEP_1)
	v_cmp_le_u16_e64 s7, v12, v13
	s_and_b32 s13, s7, exec_lo
.LBB2049_576:
	s_or_b32 exec_lo, exec_lo, s8
	s_delay_alu instid0(SALU_CYCLE_1)
	s_or_not1_b32 s8, s13, exec_lo
.LBB2049_577:
	s_or_b32 exec_lo, exec_lo, s12
	v_dual_cndmask_b32 v12, v14, v15, s8 :: v_dual_cndmask_b32 v13, v51, v50, s8
	s_mov_b32 s12, exec_lo
	s_delay_alu instid0(VALU_DEP_1) | instskip(SKIP_1) | instid1(VALU_DEP_2)
	v_add_nc_u32_e32 v17, 1, v12
	v_lshl_add_u32 v12, v12, 3, v1
	v_add_min_u32_e64 v13, v13, -1, v17
	s_delay_alu instid0(VALU_DEP_1)
	v_lshl_add_u32 v13, v13, 1, v5
	ds_load_u16 v18, v13
	ds_load_b64 v[12:13], v12 offset:4096
	s_wait_dscnt 0x1
	v_dual_cndmask_b32 v38, v18, v37, s8 :: v_dual_cndmask_b32 v16, v17, v14, s8
	v_dual_cndmask_b32 v17, v15, v17, s8 :: v_dual_cndmask_b32 v53, v52, v18, s8
	s_delay_alu instid0(VALU_DEP_2)
	v_cmpx_lt_u32_e64 v16, v51
	s_cbranch_execz .LBB2049_589
; %bb.578:
	s_mov_b32 s13, 0
	s_mov_b32 s11, exec_lo
	v_cmpx_lt_u32_e64 v17, v50
	s_cbranch_execz .LBB2049_588
; %bb.579:
	v_lshlrev_b32_e32 v14, 16, v53
	s_delay_alu instid0(VALU_DEP_1) | instskip(NEXT) | instid1(VALU_DEP_1)
	v_add_f32_e32 v15, 0, v14
	v_and_b32_e32 v14, 0x7f800000, v15
	s_delay_alu instid0(VALU_DEP_1) | instskip(SKIP_1) | instid1(SALU_CYCLE_1)
	v_cmp_ne_u32_e64 s7, 0x7f800000, v14
                                        ; implicit-def: $vgpr14
	s_and_saveexec_b32 s13, s7
	s_xor_b32 s7, exec_lo, s13
; %bb.580:
	v_bfe_u32 v14, v15, 16, 1
	s_delay_alu instid0(VALU_DEP_1)
	v_add3_u32 v14, v15, v14, 0x7fff
                                        ; implicit-def: $vgpr15
; %bb.581:
	s_and_not1_saveexec_b32 s13, s7
; %bb.582:
	v_and_b32_e32 v14, 0xffff, v15
	v_or_b32_e32 v18, 0x10000, v15
	s_delay_alu instid0(VALU_DEP_2) | instskip(NEXT) | instid1(VALU_DEP_1)
	v_cmp_eq_u32_e64 s7, 0, v14
	v_cndmask_b32_e64 v14, v18, v15, s7
; %bb.583:
	s_or_b32 exec_lo, exec_lo, s13
	v_lshlrev_b32_e32 v15, 16, v38
	s_delay_alu instid0(VALU_DEP_1) | instskip(NEXT) | instid1(VALU_DEP_1)
	v_add_f32_e32 v18, 0, v15
	v_and_b32_e32 v15, 0x7f800000, v18
	s_delay_alu instid0(VALU_DEP_1) | instskip(SKIP_1) | instid1(SALU_CYCLE_1)
	v_cmp_ne_u32_e64 s7, 0x7f800000, v15
                                        ; implicit-def: $vgpr15
	s_and_saveexec_b32 s13, s7
	s_xor_b32 s7, exec_lo, s13
; %bb.584:
	v_bfe_u32 v15, v18, 16, 1
	s_delay_alu instid0(VALU_DEP_1)
	v_add3_u32 v15, v18, v15, 0x7fff
                                        ; implicit-def: $vgpr18
; %bb.585:
	s_and_not1_saveexec_b32 s13, s7
; %bb.586:
	v_and_b32_e32 v15, 0xffff, v18
	v_or_b32_e32 v19, 0x10000, v18
	s_delay_alu instid0(VALU_DEP_2) | instskip(NEXT) | instid1(VALU_DEP_1)
	v_cmp_eq_u32_e64 s7, 0, v15
	v_cndmask_b32_e64 v15, v19, v18, s7
; %bb.587:
	s_or_b32 exec_lo, exec_lo, s13
	v_cmp_lt_i32_e64 s7, -1, v14
	s_delay_alu instid0(VALU_DEP_2) | instskip(NEXT) | instid1(VALU_DEP_2)
	v_perm_b32 v14, v15, v14, 0x7060302
	v_cndmask_b32_e64 v18, -1, 0xffff8000, s7
	v_cmp_lt_i32_e64 s7, -1, v15
	s_delay_alu instid0(VALU_DEP_1) | instskip(NEXT) | instid1(VALU_DEP_1)
	v_cndmask_b32_e64 v19, -1, 0xffff8000, s7
	v_perm_b32 v15, v19, v18, 0x5040100
	s_delay_alu instid0(VALU_DEP_1) | instskip(NEXT) | instid1(VALU_DEP_1)
	v_xor_b32_e32 v14, v15, v14
	v_lshrrev_b32_e32 v15, 16, v14
	s_delay_alu instid0(VALU_DEP_1)
	v_cmp_le_u16_e64 s7, v14, v15
	s_and_b32 s13, s7, exec_lo
.LBB2049_588:
	s_or_b32 exec_lo, exec_lo, s11
	s_delay_alu instid0(SALU_CYCLE_1)
	s_or_not1_b32 s11, s13, exec_lo
.LBB2049_589:
	s_or_b32 exec_lo, exec_lo, s12
	s_delay_alu instid0(VALU_DEP_2) | instskip(SKIP_3) | instid1(VALU_DEP_1)
	v_dual_cndmask_b32 v14, v16, v17, s11 :: v_dual_cndmask_b32 v15, v51, v50, s11
	s_mov_b32 s13, -1
	s_mov_b32 s12, -1
	s_mov_b32 s14, exec_lo
	v_add_nc_u32_e32 v19, 1, v14
	v_lshl_add_u32 v14, v14, 3, v1
	s_delay_alu instid0(VALU_DEP_2) | instskip(NEXT) | instid1(VALU_DEP_1)
	v_add_min_u32_e64 v15, v15, -1, v19
	v_lshl_add_u32 v15, v15, 1, v5
	ds_load_u16 v20, v15
	ds_load_b64 v[14:15], v14 offset:4096
	s_wait_dscnt 0x1
	v_dual_cndmask_b32 v49, v20, v38, s11 :: v_dual_cndmask_b32 v54, v53, v20, s11
	v_dual_cndmask_b32 v18, v19, v16, s11 :: v_dual_cndmask_b32 v19, v17, v19, s11
	s_delay_alu instid0(VALU_DEP_1)
	v_cmpx_lt_u32_e64 v18, v51
	s_cbranch_execz .LBB2049_601
; %bb.590:
	s_mov_b32 s15, 0
	s_mov_b32 s12, exec_lo
	v_cmpx_lt_u32_e64 v19, v50
	s_cbranch_execz .LBB2049_600
; %bb.591:
	v_lshlrev_b32_e32 v16, 16, v54
	s_delay_alu instid0(VALU_DEP_1) | instskip(NEXT) | instid1(VALU_DEP_1)
	v_add_f32_e32 v17, 0, v16
	v_and_b32_e32 v16, 0x7f800000, v17
	s_delay_alu instid0(VALU_DEP_1) | instskip(SKIP_1) | instid1(SALU_CYCLE_1)
	v_cmp_ne_u32_e64 s7, 0x7f800000, v16
                                        ; implicit-def: $vgpr16
	s_and_saveexec_b32 s15, s7
	s_xor_b32 s7, exec_lo, s15
; %bb.592:
	v_bfe_u32 v16, v17, 16, 1
	s_delay_alu instid0(VALU_DEP_1)
	v_add3_u32 v16, v17, v16, 0x7fff
                                        ; implicit-def: $vgpr17
; %bb.593:
	s_and_not1_saveexec_b32 s15, s7
; %bb.594:
	v_and_b32_e32 v16, 0xffff, v17
	v_or_b32_e32 v20, 0x10000, v17
	s_delay_alu instid0(VALU_DEP_2) | instskip(NEXT) | instid1(VALU_DEP_1)
	v_cmp_eq_u32_e64 s7, 0, v16
	v_cndmask_b32_e64 v16, v20, v17, s7
; %bb.595:
	s_or_b32 exec_lo, exec_lo, s15
	v_lshlrev_b32_e32 v17, 16, v49
	s_delay_alu instid0(VALU_DEP_1) | instskip(NEXT) | instid1(VALU_DEP_1)
	v_add_f32_e32 v20, 0, v17
	v_and_b32_e32 v17, 0x7f800000, v20
	s_delay_alu instid0(VALU_DEP_1) | instskip(SKIP_1) | instid1(SALU_CYCLE_1)
	v_cmp_ne_u32_e64 s7, 0x7f800000, v17
                                        ; implicit-def: $vgpr17
	s_and_saveexec_b32 s15, s7
	s_xor_b32 s7, exec_lo, s15
; %bb.596:
	v_bfe_u32 v17, v20, 16, 1
	s_delay_alu instid0(VALU_DEP_1)
	v_add3_u32 v17, v20, v17, 0x7fff
                                        ; implicit-def: $vgpr20
; %bb.597:
	s_and_not1_saveexec_b32 s15, s7
; %bb.598:
	v_and_b32_e32 v17, 0xffff, v20
	v_or_b32_e32 v21, 0x10000, v20
	s_delay_alu instid0(VALU_DEP_2) | instskip(NEXT) | instid1(VALU_DEP_1)
	v_cmp_eq_u32_e64 s7, 0, v17
	v_cndmask_b32_e64 v17, v21, v20, s7
; %bb.599:
	s_or_b32 exec_lo, exec_lo, s15
	v_cmp_lt_i32_e64 s7, -1, v16
	s_delay_alu instid0(VALU_DEP_2) | instskip(NEXT) | instid1(VALU_DEP_2)
	v_perm_b32 v16, v17, v16, 0x7060302
	v_cndmask_b32_e64 v20, -1, 0xffff8000, s7
	v_cmp_lt_i32_e64 s7, -1, v17
	s_delay_alu instid0(VALU_DEP_1) | instskip(NEXT) | instid1(VALU_DEP_1)
	v_cndmask_b32_e64 v21, -1, 0xffff8000, s7
	v_perm_b32 v17, v21, v20, 0x5040100
	s_delay_alu instid0(VALU_DEP_1) | instskip(NEXT) | instid1(VALU_DEP_1)
	v_xor_b32_e32 v16, v17, v16
	v_lshrrev_b32_e32 v17, 16, v16
	s_delay_alu instid0(VALU_DEP_1)
	v_cmp_le_u16_e64 s7, v16, v17
	s_and_b32 s15, s7, exec_lo
.LBB2049_600:
	s_or_b32 exec_lo, exec_lo, s12
	s_delay_alu instid0(SALU_CYCLE_1)
	s_or_not1_b32 s12, s15, exec_lo
.LBB2049_601:
	s_or_b32 exec_lo, exec_lo, s14
	s_delay_alu instid0(VALU_DEP_2) | instskip(SKIP_1) | instid1(VALU_DEP_1)
	v_dual_cndmask_b32 v16, v18, v19, s12 :: v_dual_cndmask_b32 v17, v51, v50, s12
	s_mov_b32 s14, exec_lo
	v_add_nc_u32_e32 v21, 1, v16
	v_lshl_add_u32 v16, v16, 3, v1
	s_delay_alu instid0(VALU_DEP_2) | instskip(NEXT) | instid1(VALU_DEP_1)
	v_add_min_u32_e64 v17, v17, -1, v21
	v_lshl_add_u32 v17, v17, 1, v5
	ds_load_u16 v22, v17
	ds_load_b64 v[16:17], v16 offset:4096
	s_wait_dscnt 0x1
	v_dual_cndmask_b32 v39, v22, v49, s12 :: v_dual_cndmask_b32 v20, v21, v18, s12
	v_dual_cndmask_b32 v21, v19, v21, s12 :: v_dual_cndmask_b32 v55, v54, v22, s12
	s_delay_alu instid0(VALU_DEP_2)
	v_cmpx_lt_u32_e64 v20, v51
	s_cbranch_execz .LBB2049_613
; %bb.602:
	s_mov_b32 s15, 0
	s_mov_b32 s13, exec_lo
	v_cmpx_lt_u32_e64 v21, v50
	s_cbranch_execz .LBB2049_612
; %bb.603:
	v_lshlrev_b32_e32 v18, 16, v55
	s_delay_alu instid0(VALU_DEP_1) | instskip(NEXT) | instid1(VALU_DEP_1)
	v_add_f32_e32 v19, 0, v18
	v_and_b32_e32 v18, 0x7f800000, v19
	s_delay_alu instid0(VALU_DEP_1) | instskip(SKIP_1) | instid1(SALU_CYCLE_1)
	v_cmp_ne_u32_e64 s7, 0x7f800000, v18
                                        ; implicit-def: $vgpr18
	s_and_saveexec_b32 s15, s7
	s_xor_b32 s7, exec_lo, s15
; %bb.604:
	v_bfe_u32 v18, v19, 16, 1
	s_delay_alu instid0(VALU_DEP_1)
	v_add3_u32 v18, v19, v18, 0x7fff
                                        ; implicit-def: $vgpr19
; %bb.605:
	s_and_not1_saveexec_b32 s15, s7
; %bb.606:
	v_and_b32_e32 v18, 0xffff, v19
	v_or_b32_e32 v22, 0x10000, v19
	s_delay_alu instid0(VALU_DEP_2) | instskip(NEXT) | instid1(VALU_DEP_1)
	v_cmp_eq_u32_e64 s7, 0, v18
	v_cndmask_b32_e64 v18, v22, v19, s7
; %bb.607:
	s_or_b32 exec_lo, exec_lo, s15
	v_lshlrev_b32_e32 v19, 16, v39
	s_delay_alu instid0(VALU_DEP_1) | instskip(NEXT) | instid1(VALU_DEP_1)
	v_add_f32_e32 v22, 0, v19
	v_and_b32_e32 v19, 0x7f800000, v22
	s_delay_alu instid0(VALU_DEP_1) | instskip(SKIP_1) | instid1(SALU_CYCLE_1)
	v_cmp_ne_u32_e64 s7, 0x7f800000, v19
                                        ; implicit-def: $vgpr19
	s_and_saveexec_b32 s15, s7
	s_xor_b32 s7, exec_lo, s15
; %bb.608:
	v_bfe_u32 v19, v22, 16, 1
	s_delay_alu instid0(VALU_DEP_1)
	v_add3_u32 v19, v22, v19, 0x7fff
                                        ; implicit-def: $vgpr22
; %bb.609:
	s_and_not1_saveexec_b32 s15, s7
; %bb.610:
	v_and_b32_e32 v19, 0xffff, v22
	v_or_b32_e32 v23, 0x10000, v22
	s_delay_alu instid0(VALU_DEP_2) | instskip(NEXT) | instid1(VALU_DEP_1)
	v_cmp_eq_u32_e64 s7, 0, v19
	v_cndmask_b32_e64 v19, v23, v22, s7
; %bb.611:
	s_or_b32 exec_lo, exec_lo, s15
	v_cmp_lt_i32_e64 s7, -1, v18
	s_delay_alu instid0(VALU_DEP_2) | instskip(NEXT) | instid1(VALU_DEP_2)
	v_perm_b32 v18, v19, v18, 0x7060302
	v_cndmask_b32_e64 v22, -1, 0xffff8000, s7
	v_cmp_lt_i32_e64 s7, -1, v19
	s_delay_alu instid0(VALU_DEP_1) | instskip(NEXT) | instid1(VALU_DEP_1)
	v_cndmask_b32_e64 v23, -1, 0xffff8000, s7
	v_perm_b32 v19, v23, v22, 0x5040100
	s_delay_alu instid0(VALU_DEP_1) | instskip(NEXT) | instid1(VALU_DEP_1)
	v_xor_b32_e32 v18, v19, v18
	v_lshrrev_b32_e32 v19, 16, v18
	s_delay_alu instid0(VALU_DEP_1)
	v_cmp_le_u16_e64 s7, v18, v19
	s_and_b32 s15, s7, exec_lo
.LBB2049_612:
	s_or_b32 exec_lo, exec_lo, s13
	s_delay_alu instid0(SALU_CYCLE_1)
	s_or_not1_b32 s13, s15, exec_lo
.LBB2049_613:
	s_or_b32 exec_lo, exec_lo, s14
	s_delay_alu instid0(VALU_DEP_2) | instskip(SKIP_3) | instid1(VALU_DEP_1)
	v_dual_cndmask_b32 v18, v20, v21, s13 :: v_dual_cndmask_b32 v19, v51, v50, s13
	s_mov_b32 s15, -1
	s_mov_b32 s14, -1
	s_mov_b32 s16, exec_lo
	v_add_nc_u32_e32 v22, 1, v18
	v_lshl_add_u32 v18, v18, 3, v1
	s_delay_alu instid0(VALU_DEP_2) | instskip(NEXT) | instid1(VALU_DEP_1)
	v_add_min_u32_e64 v19, v19, -1, v22
	v_lshl_add_u32 v19, v19, 1, v5
	ds_load_u16 v23, v19
	ds_load_b64 v[18:19], v18 offset:4096
	s_wait_dscnt 0x1
	v_dual_cndmask_b32 v36, v23, v39, s13 :: v_dual_cndmask_b32 v20, v22, v20, s13
	v_dual_cndmask_b32 v21, v21, v22, s13 :: v_dual_cndmask_b32 v64, v55, v23, s13
	s_delay_alu instid0(VALU_DEP_2)
	v_cmpx_lt_u32_e64 v20, v51
	s_cbranch_execz .LBB2049_625
; %bb.614:
	s_mov_b32 s17, 0
	s_mov_b32 s14, exec_lo
	v_cmpx_lt_u32_e64 v21, v50
	s_cbranch_execz .LBB2049_624
; %bb.615:
	v_lshlrev_b32_e32 v22, 16, v64
	s_delay_alu instid0(VALU_DEP_1) | instskip(NEXT) | instid1(VALU_DEP_1)
	v_add_f32_e32 v23, 0, v22
	v_and_b32_e32 v22, 0x7f800000, v23
	s_delay_alu instid0(VALU_DEP_1) | instskip(SKIP_1) | instid1(SALU_CYCLE_1)
	v_cmp_ne_u32_e64 s7, 0x7f800000, v22
                                        ; implicit-def: $vgpr22
	s_and_saveexec_b32 s17, s7
	s_xor_b32 s7, exec_lo, s17
; %bb.616:
	v_bfe_u32 v22, v23, 16, 1
	s_delay_alu instid0(VALU_DEP_1)
	v_add3_u32 v22, v23, v22, 0x7fff
                                        ; implicit-def: $vgpr23
; %bb.617:
	s_and_not1_saveexec_b32 s17, s7
; %bb.618:
	v_and_b32_e32 v22, 0xffff, v23
	v_or_b32_e32 v24, 0x10000, v23
	s_delay_alu instid0(VALU_DEP_2) | instskip(NEXT) | instid1(VALU_DEP_1)
	v_cmp_eq_u32_e64 s7, 0, v22
	v_cndmask_b32_e64 v22, v24, v23, s7
; %bb.619:
	s_or_b32 exec_lo, exec_lo, s17
	v_lshlrev_b32_e32 v23, 16, v36
	s_delay_alu instid0(VALU_DEP_1) | instskip(NEXT) | instid1(VALU_DEP_1)
	v_add_f32_e32 v24, 0, v23
	v_and_b32_e32 v23, 0x7f800000, v24
	s_delay_alu instid0(VALU_DEP_1) | instskip(SKIP_1) | instid1(SALU_CYCLE_1)
	v_cmp_ne_u32_e64 s7, 0x7f800000, v23
                                        ; implicit-def: $vgpr23
	s_and_saveexec_b32 s17, s7
	s_xor_b32 s7, exec_lo, s17
; %bb.620:
	v_bfe_u32 v23, v24, 16, 1
	s_delay_alu instid0(VALU_DEP_1)
	v_add3_u32 v23, v24, v23, 0x7fff
                                        ; implicit-def: $vgpr24
; %bb.621:
	s_and_not1_saveexec_b32 s17, s7
; %bb.622:
	v_and_b32_e32 v23, 0xffff, v24
	v_or_b32_e32 v25, 0x10000, v24
	s_delay_alu instid0(VALU_DEP_2) | instskip(NEXT) | instid1(VALU_DEP_1)
	v_cmp_eq_u32_e64 s7, 0, v23
	v_cndmask_b32_e64 v23, v25, v24, s7
; %bb.623:
	s_or_b32 exec_lo, exec_lo, s17
	v_cmp_lt_i32_e64 s7, -1, v22
	s_delay_alu instid0(VALU_DEP_2) | instskip(NEXT) | instid1(VALU_DEP_2)
	v_perm_b32 v22, v23, v22, 0x7060302
	v_cndmask_b32_e64 v24, -1, 0xffff8000, s7
	v_cmp_lt_i32_e64 s7, -1, v23
	s_delay_alu instid0(VALU_DEP_1) | instskip(NEXT) | instid1(VALU_DEP_1)
	v_cndmask_b32_e64 v25, -1, 0xffff8000, s7
	v_perm_b32 v23, v25, v24, 0x5040100
	s_delay_alu instid0(VALU_DEP_1) | instskip(NEXT) | instid1(VALU_DEP_1)
	v_xor_b32_e32 v22, v23, v22
	v_lshrrev_b32_e32 v23, 16, v22
	s_delay_alu instid0(VALU_DEP_1)
	v_cmp_le_u16_e64 s7, v22, v23
	s_and_b32 s17, s7, exec_lo
.LBB2049_624:
	s_or_b32 exec_lo, exec_lo, s14
	s_delay_alu instid0(SALU_CYCLE_1)
	s_or_not1_b32 s14, s17, exec_lo
.LBB2049_625:
	s_or_b32 exec_lo, exec_lo, s16
	s_delay_alu instid0(VALU_DEP_2) | instskip(SKIP_1) | instid1(VALU_DEP_1)
	v_dual_cndmask_b32 v22, v20, v21, s14 :: v_dual_cndmask_b32 v23, v51, v50, s14
	s_mov_b32 s16, exec_lo
	v_add_nc_u32_e32 v25, 1, v22
	v_lshl_add_u32 v22, v22, 3, v1
	s_delay_alu instid0(VALU_DEP_2) | instskip(NEXT) | instid1(VALU_DEP_1)
	v_add_min_u32_e64 v23, v23, -1, v25
	v_lshl_add_u32 v23, v23, 1, v5
	ds_load_u16 v65, v23
	ds_load_b64 v[22:23], v22 offset:4096
	s_wait_dscnt 0x1
	v_cndmask_b32_e64 v48, v65, v36, s14
	v_dual_cndmask_b32 v24, v25, v20, s14 :: v_dual_cndmask_b32 v65, v64, v65, s14
	v_cndmask_b32_e64 v25, v21, v25, s14
	s_delay_alu instid0(VALU_DEP_2)
	v_cmpx_lt_u32_e64 v24, v51
	s_cbranch_execz .LBB2049_637
; %bb.626:
	s_mov_b32 s17, 0
	s_mov_b32 s15, exec_lo
	v_cmpx_lt_u32_e64 v25, v50
	s_cbranch_execz .LBB2049_636
; %bb.627:
	v_lshlrev_b32_e32 v20, 16, v65
	s_delay_alu instid0(VALU_DEP_1) | instskip(NEXT) | instid1(VALU_DEP_1)
	v_add_f32_e32 v21, 0, v20
	v_and_b32_e32 v20, 0x7f800000, v21
	s_delay_alu instid0(VALU_DEP_1) | instskip(SKIP_1) | instid1(SALU_CYCLE_1)
	v_cmp_ne_u32_e64 s7, 0x7f800000, v20
                                        ; implicit-def: $vgpr20
	s_and_saveexec_b32 s17, s7
	s_xor_b32 s7, exec_lo, s17
; %bb.628:
	v_bfe_u32 v20, v21, 16, 1
	s_delay_alu instid0(VALU_DEP_1)
	v_add3_u32 v20, v21, v20, 0x7fff
                                        ; implicit-def: $vgpr21
; %bb.629:
	s_and_not1_saveexec_b32 s17, s7
; %bb.630:
	v_and_b32_e32 v20, 0xffff, v21
	v_or_b32_e32 v66, 0x10000, v21
	s_delay_alu instid0(VALU_DEP_2) | instskip(NEXT) | instid1(VALU_DEP_1)
	v_cmp_eq_u32_e64 s7, 0, v20
	v_cndmask_b32_e64 v20, v66, v21, s7
; %bb.631:
	s_or_b32 exec_lo, exec_lo, s17
	v_lshlrev_b32_e32 v21, 16, v48
	s_delay_alu instid0(VALU_DEP_1) | instskip(NEXT) | instid1(VALU_DEP_1)
	v_add_f32_e32 v66, 0, v21
	v_and_b32_e32 v21, 0x7f800000, v66
	s_delay_alu instid0(VALU_DEP_1) | instskip(SKIP_1) | instid1(SALU_CYCLE_1)
	v_cmp_ne_u32_e64 s7, 0x7f800000, v21
                                        ; implicit-def: $vgpr21
	s_and_saveexec_b32 s17, s7
	s_xor_b32 s7, exec_lo, s17
; %bb.632:
	v_bfe_u32 v21, v66, 16, 1
	s_delay_alu instid0(VALU_DEP_1)
	v_add3_u32 v21, v66, v21, 0x7fff
                                        ; implicit-def: $vgpr66
; %bb.633:
	s_and_not1_saveexec_b32 s17, s7
; %bb.634:
	v_and_b32_e32 v21, 0xffff, v66
	v_or_b32_e32 v67, 0x10000, v66
	s_delay_alu instid0(VALU_DEP_2) | instskip(NEXT) | instid1(VALU_DEP_1)
	v_cmp_eq_u32_e64 s7, 0, v21
	v_cndmask_b32_e64 v21, v67, v66, s7
; %bb.635:
	s_or_b32 exec_lo, exec_lo, s17
	v_cmp_lt_i32_e64 s7, -1, v20
	s_delay_alu instid0(VALU_DEP_2) | instskip(NEXT) | instid1(VALU_DEP_2)
	v_perm_b32 v20, v21, v20, 0x7060302
	v_cndmask_b32_e64 v66, -1, 0xffff8000, s7
	v_cmp_lt_i32_e64 s7, -1, v21
	s_delay_alu instid0(VALU_DEP_1) | instskip(NEXT) | instid1(VALU_DEP_1)
	v_cndmask_b32_e64 v67, -1, 0xffff8000, s7
	v_perm_b32 v21, v67, v66, 0x5040100
	s_delay_alu instid0(VALU_DEP_1) | instskip(NEXT) | instid1(VALU_DEP_1)
	v_xor_b32_e32 v20, v21, v20
	v_lshrrev_b32_e32 v21, 16, v20
	s_delay_alu instid0(VALU_DEP_1)
	v_cmp_le_u16_e64 s7, v20, v21
	s_and_b32 s17, s7, exec_lo
.LBB2049_636:
	s_or_b32 exec_lo, exec_lo, s15
	s_delay_alu instid0(SALU_CYCLE_1)
	s_or_not1_b32 s15, s17, exec_lo
.LBB2049_637:
	s_or_b32 exec_lo, exec_lo, s16
	s_delay_alu instid0(VALU_DEP_2) | instskip(SKIP_2) | instid1(VALU_DEP_1)
	v_dual_cndmask_b32 v20, v24, v25, s15 :: v_dual_cndmask_b32 v21, v51, v50, s15
	s_mov_b32 s17, -1
	s_mov_b32 s16, exec_lo
	v_add_nc_u32_e32 v66, 1, v20
	v_lshl_add_u32 v20, v20, 3, v1
	s_delay_alu instid0(VALU_DEP_2) | instskip(SKIP_1) | instid1(VALU_DEP_2)
	v_add_min_u32_e64 v21, v21, -1, v66
	v_dual_cndmask_b32 v24, v66, v24, s15 :: v_dual_cndmask_b32 v25, v25, v66, s15
	v_lshl_add_u32 v21, v21, 1, v5
	ds_load_u16 v67, v21
	ds_load_b64 v[20:21], v20 offset:4096
	s_wait_dscnt 0x1
	v_dual_cndmask_b32 v66, v67, v48, s15 :: v_dual_cndmask_b32 v67, v65, v67, s15
	v_cmpx_lt_u32_e64 v24, v51
	s_cbranch_execz .LBB2049_649
; %bb.638:
	s_mov_b32 s18, 0
	s_mov_b32 s17, exec_lo
	v_cmpx_lt_u32_e64 v25, v50
	s_cbranch_execz .LBB2049_648
; %bb.639:
	v_lshlrev_b32_e32 v50, 16, v67
	s_delay_alu instid0(VALU_DEP_1) | instskip(NEXT) | instid1(VALU_DEP_1)
	v_add_f32_e32 v51, 0, v50
	v_and_b32_e32 v50, 0x7f800000, v51
	s_delay_alu instid0(VALU_DEP_1) | instskip(SKIP_1) | instid1(SALU_CYCLE_1)
	v_cmp_ne_u32_e64 s7, 0x7f800000, v50
                                        ; implicit-def: $vgpr50
	s_and_saveexec_b32 s18, s7
	s_xor_b32 s7, exec_lo, s18
; %bb.640:
	v_bfe_u32 v50, v51, 16, 1
	s_delay_alu instid0(VALU_DEP_1)
	v_add3_u32 v50, v51, v50, 0x7fff
                                        ; implicit-def: $vgpr51
; %bb.641:
	s_and_not1_saveexec_b32 s18, s7
; %bb.642:
	v_and_b32_e32 v50, 0xffff, v51
	v_or_b32_e32 v68, 0x10000, v51
	s_delay_alu instid0(VALU_DEP_2) | instskip(NEXT) | instid1(VALU_DEP_1)
	v_cmp_eq_u32_e64 s7, 0, v50
	v_cndmask_b32_e64 v50, v68, v51, s7
; %bb.643:
	s_or_b32 exec_lo, exec_lo, s18
	v_lshlrev_b32_e32 v51, 16, v66
	s_delay_alu instid0(VALU_DEP_1) | instskip(NEXT) | instid1(VALU_DEP_1)
	v_add_f32_e32 v68, 0, v51
	v_and_b32_e32 v51, 0x7f800000, v68
	s_delay_alu instid0(VALU_DEP_1) | instskip(SKIP_1) | instid1(SALU_CYCLE_1)
	v_cmp_ne_u32_e64 s7, 0x7f800000, v51
                                        ; implicit-def: $vgpr51
	s_and_saveexec_b32 s18, s7
	s_xor_b32 s7, exec_lo, s18
; %bb.644:
	v_bfe_u32 v51, v68, 16, 1
	s_delay_alu instid0(VALU_DEP_1)
	v_add3_u32 v51, v68, v51, 0x7fff
                                        ; implicit-def: $vgpr68
; %bb.645:
	s_and_not1_saveexec_b32 s18, s7
; %bb.646:
	v_and_b32_e32 v51, 0xffff, v68
	v_or_b32_e32 v69, 0x10000, v68
	s_delay_alu instid0(VALU_DEP_2) | instskip(NEXT) | instid1(VALU_DEP_1)
	v_cmp_eq_u32_e64 s7, 0, v51
	v_cndmask_b32_e64 v51, v69, v68, s7
; %bb.647:
	s_or_b32 exec_lo, exec_lo, s18
	v_cmp_lt_i32_e64 s7, -1, v50
	s_delay_alu instid0(VALU_DEP_2) | instskip(NEXT) | instid1(VALU_DEP_2)
	v_perm_b32 v50, v51, v50, 0x7060302
	v_cndmask_b32_e64 v68, -1, 0xffff8000, s7
	v_cmp_lt_i32_e64 s7, -1, v51
	s_delay_alu instid0(VALU_DEP_1) | instskip(NEXT) | instid1(VALU_DEP_1)
	v_cndmask_b32_e64 v69, -1, 0xffff8000, s7
	v_perm_b32 v51, v69, v68, 0x5040100
	s_delay_alu instid0(VALU_DEP_1) | instskip(NEXT) | instid1(VALU_DEP_1)
	v_xor_b32_e32 v50, v51, v50
	v_lshrrev_b32_e32 v51, 16, v50
	s_delay_alu instid0(VALU_DEP_1)
	v_cmp_le_u16_e64 s7, v50, v51
	s_and_b32 s18, s7, exec_lo
.LBB2049_648:
	s_or_b32 exec_lo, exec_lo, s17
	s_delay_alu instid0(SALU_CYCLE_1)
	s_or_not1_b32 s17, s18, exec_lo
.LBB2049_649:
	s_or_b32 exec_lo, exec_lo, s16
	v_dual_cndmask_b32 v24, v24, v25, s17 :: v_dual_cndmask_b32 v39, v39, v55, s13
	v_dual_cndmask_b32 v48, v48, v65, s15 :: v_dual_cndmask_b32 v49, v49, v54, s12
	v_dual_cndmask_b32 v36, v36, v64, s14 :: v_dual_cndmask_b32 v38, v38, v53, s11
	s_delay_alu instid0(VALU_DEP_3)
	v_lshl_add_u32 v24, v24, 3, v1
	v_dual_cndmask_b32 v37, v37, v52, s8 :: v_dual_cndmask_b32 v34, v35, v34, s10
	v_cndmask_b32_e64 v35, v66, v67, s17
	ds_load_b64 v[24:25], v24 offset:4096
.LBB2049_650:
	s_or_b32 exec_lo, exec_lo, s9
	v_and_b32_e32 v51, 0x80, v33
	; wave barrier
	ds_store_2addr_b64 v30, v[14:15], v[16:17] offset1:1
	ds_store_2addr_b64 v31, v[18:19], v[22:23] offset1:1
	v_perm_b32 v55, v35, v48, 0x5040100
	v_or_b32_e32 v33, 64, v51
	v_lshl_add_u32 v30, v51, 1, v5
	v_perm_b32 v54, v36, v39, 0x5040100
	v_perm_b32 v65, v49, v38, 0x5040100
	;; [unrolled: 1-line block ×3, first 2 shown]
	v_min_u32_e32 v33, v26, v33
	s_mov_b32 s8, exec_lo
	ds_store_2addr_b64 v29, v[10:11], v[12:13] offset1:1
	ds_store_2addr_b64 v27, v[64:65], v[54:55] offset1:1
	s_wait_dscnt 0x4
	ds_store_2addr_b64 v28, v[20:21], v[24:25] offset1:1
	v_add_min_u32_e64 v50, v33, 64, v26
	v_min_u32_e32 v26, v26, v32
	v_sub_nc_u32_e32 v32, v33, v51
	; wave barrier
	s_delay_alu instid0(VALU_DEP_3) | instskip(NEXT) | instid1(VALU_DEP_2)
	v_sub_nc_u32_e32 v53, v50, v33
	v_min_u32_e32 v52, v26, v32
	s_delay_alu instid0(VALU_DEP_2) | instskip(NEXT) | instid1(VALU_DEP_1)
	v_sub_nc_u32_e64 v32, v26, v53 clamp
	v_cmpx_lt_u32_e64 v32, v52
	s_cbranch_execz .LBB2049_662
; %bb.651:
	v_dual_lshlrev_b32 v27, 1, v33 :: v_dual_lshlrev_b32 v28, 1, v26
	s_mov_b32 s9, 0
	s_delay_alu instid0(VALU_DEP_1)
	v_add3_u32 v27, v5, v27, v28
	s_branch .LBB2049_653
.LBB2049_652:                           ;   in Loop: Header=BB2049_653 Depth=1
	s_or_b32 exec_lo, exec_lo, s10
	v_cmp_lt_i32_e64 s7, -1, v29
	s_delay_alu instid0(VALU_DEP_2) | instskip(NEXT) | instid1(VALU_DEP_2)
	v_perm_b32 v29, v31, v29, 0x7060302
	v_cndmask_b32_e64 v53, -1, 0xffff8000, s7
	v_cmp_lt_i32_e64 s7, -1, v31
	s_delay_alu instid0(VALU_DEP_1) | instskip(NEXT) | instid1(VALU_DEP_1)
	v_cndmask_b32_e64 v54, -1, 0xffff8000, s7
	v_perm_b32 v31, v54, v53, 0x5040100
	s_delay_alu instid0(VALU_DEP_1) | instskip(NEXT) | instid1(VALU_DEP_1)
	v_dual_add_nc_u32 v53, 1, v28 :: v_dual_bitop2_b32 v29, v31, v29 bitop3:0x14
	v_lshrrev_b32_e32 v31, 16, v29
	s_delay_alu instid0(VALU_DEP_1) | instskip(NEXT) | instid1(VALU_DEP_1)
	v_cmp_gt_u16_e64 s7, v29, v31
	v_cndmask_b32_e64 v52, v52, v28, s7
	s_delay_alu instid0(VALU_DEP_4) | instskip(NEXT) | instid1(VALU_DEP_1)
	v_cndmask_b32_e64 v32, v53, v32, s7
	v_cmp_ge_u32_e64 s7, v32, v52
	s_or_b32 s9, s7, s9
	s_delay_alu instid0(SALU_CYCLE_1)
	s_and_not1_b32 exec_lo, exec_lo, s9
	s_cbranch_execz .LBB2049_661
.LBB2049_653:                           ; =>This Inner Loop Header: Depth=1
	v_add_nc_u32_e32 v28, v52, v32
	s_delay_alu instid0(VALU_DEP_1) | instskip(NEXT) | instid1(VALU_DEP_1)
	v_and_b32_e32 v29, -2, v28
	v_dual_add_nc_u32 v29, v30, v29 :: v_dual_lshrrev_b32 v28, 1, v28
	ds_load_u16 v29, v29
	v_not_b32_e32 v31, v28
	s_delay_alu instid0(VALU_DEP_1) | instskip(SKIP_3) | instid1(VALU_DEP_1)
	v_lshl_add_u32 v31, v31, 1, v27
	ds_load_u16 v31, v31
	s_wait_dscnt 0x1
	v_lshlrev_b32_e32 v29, 16, v29
	v_add_f32_e32 v53, 0, v29
	s_delay_alu instid0(VALU_DEP_1) | instskip(NEXT) | instid1(VALU_DEP_1)
	v_and_b32_e32 v29, 0x7f800000, v53
	v_cmp_ne_u32_e64 s7, 0x7f800000, v29
                                        ; implicit-def: $vgpr29
	s_and_saveexec_b32 s10, s7
	s_delay_alu instid0(SALU_CYCLE_1)
	s_xor_b32 s7, exec_lo, s10
; %bb.654:                              ;   in Loop: Header=BB2049_653 Depth=1
	v_bfe_u32 v29, v53, 16, 1
	s_delay_alu instid0(VALU_DEP_1)
	v_add3_u32 v29, v53, v29, 0x7fff
                                        ; implicit-def: $vgpr53
; %bb.655:                              ;   in Loop: Header=BB2049_653 Depth=1
	s_and_not1_saveexec_b32 s10, s7
; %bb.656:                              ;   in Loop: Header=BB2049_653 Depth=1
	v_and_b32_e32 v29, 0xffff, v53
	v_or_b32_e32 v54, 0x10000, v53
	s_delay_alu instid0(VALU_DEP_2) | instskip(NEXT) | instid1(VALU_DEP_1)
	v_cmp_eq_u32_e64 s7, 0, v29
	v_cndmask_b32_e64 v29, v54, v53, s7
; %bb.657:                              ;   in Loop: Header=BB2049_653 Depth=1
	s_or_b32 exec_lo, exec_lo, s10
	s_wait_dscnt 0x0
	v_lshlrev_b32_e32 v31, 16, v31
	s_delay_alu instid0(VALU_DEP_1) | instskip(NEXT) | instid1(VALU_DEP_1)
	v_add_f32_e32 v53, 0, v31
	v_and_b32_e32 v31, 0x7f800000, v53
	s_delay_alu instid0(VALU_DEP_1) | instskip(SKIP_1) | instid1(SALU_CYCLE_1)
	v_cmp_ne_u32_e64 s7, 0x7f800000, v31
                                        ; implicit-def: $vgpr31
	s_and_saveexec_b32 s10, s7
	s_xor_b32 s7, exec_lo, s10
; %bb.658:                              ;   in Loop: Header=BB2049_653 Depth=1
	v_bfe_u32 v31, v53, 16, 1
	s_delay_alu instid0(VALU_DEP_1)
	v_add3_u32 v31, v53, v31, 0x7fff
                                        ; implicit-def: $vgpr53
; %bb.659:                              ;   in Loop: Header=BB2049_653 Depth=1
	s_and_not1_saveexec_b32 s10, s7
	s_cbranch_execz .LBB2049_652
; %bb.660:                              ;   in Loop: Header=BB2049_653 Depth=1
	v_and_b32_e32 v31, 0xffff, v53
	v_or_b32_e32 v54, 0x10000, v53
	s_delay_alu instid0(VALU_DEP_2) | instskip(NEXT) | instid1(VALU_DEP_1)
	v_cmp_eq_u32_e64 s7, 0, v31
	v_cndmask_b32_e64 v31, v54, v53, s7
	s_branch .LBB2049_652
.LBB2049_661:
	s_or_b32 exec_lo, exec_lo, s9
.LBB2049_662:
	s_delay_alu instid0(SALU_CYCLE_1) | instskip(SKIP_1) | instid1(VALU_DEP_1)
	s_or_b32 exec_lo, exec_lo, s8
	v_dual_add_nc_u32 v26, v33, v26 :: v_dual_add_nc_u32 v28, v32, v51
	v_sub_nc_u32_e32 v29, v26, v32
	s_delay_alu instid0(VALU_DEP_2) | instskip(NEXT) | instid1(VALU_DEP_2)
	v_cmp_le_u32_e64 s7, v28, v33
	v_cmp_le_u32_e64 s8, v29, v50
	s_or_b32 s7, s7, s8
	s_delay_alu instid0(SALU_CYCLE_1)
	s_and_saveexec_b32 s9, s7
	s_cbranch_execz .LBB2049_762
; %bb.663:
	v_cmp_ge_u32_e64 s7, v28, v33
	s_mov_b32 s10, exec_lo
                                        ; implicit-def: $vgpr26
	v_cmpx_lt_u32_e64 v28, v33
; %bb.664:
	v_lshl_add_u32 v10, v32, 1, v30
	ds_load_u16 v26, v10
; %bb.665:
	s_or_b32 exec_lo, exec_lo, s10
	v_cmp_ge_u32_e64 s10, v29, v50
	s_mov_b32 s11, exec_lo
                                        ; implicit-def: $vgpr27
	v_cmpx_lt_u32_e64 v29, v50
; %bb.666:
	v_lshl_add_u32 v10, v29, 1, v5
	ds_load_u16 v27, v10
; %bb.667:
	s_or_b32 exec_lo, exec_lo, s11
	s_nor_b32 s7, s7, s10
	s_delay_alu instid0(SALU_CYCLE_1)
	s_and_saveexec_b32 s8, s7
	s_cbranch_execz .LBB2049_677
; %bb.668:
	s_wait_dscnt 0x0
	v_lshlrev_b32_e32 v10, 16, v26
	s_delay_alu instid0(VALU_DEP_1) | instskip(NEXT) | instid1(VALU_DEP_1)
	v_add_f32_e32 v11, 0, v10
	v_and_b32_e32 v10, 0x7f800000, v11
	s_delay_alu instid0(VALU_DEP_1) | instskip(SKIP_1) | instid1(SALU_CYCLE_1)
	v_cmp_ne_u32_e64 s7, 0x7f800000, v10
                                        ; implicit-def: $vgpr10
	s_and_saveexec_b32 s11, s7
	s_xor_b32 s7, exec_lo, s11
; %bb.669:
	v_bfe_u32 v10, v11, 16, 1
	s_delay_alu instid0(VALU_DEP_1)
	v_add3_u32 v10, v11, v10, 0x7fff
                                        ; implicit-def: $vgpr11
; %bb.670:
	s_and_not1_saveexec_b32 s11, s7
; %bb.671:
	v_and_b32_e32 v10, 0xffff, v11
	v_or_b32_e32 v12, 0x10000, v11
	s_delay_alu instid0(VALU_DEP_2) | instskip(NEXT) | instid1(VALU_DEP_1)
	v_cmp_eq_u32_e64 s7, 0, v10
	v_cndmask_b32_e64 v10, v12, v11, s7
; %bb.672:
	s_or_b32 exec_lo, exec_lo, s11
	v_lshlrev_b32_e32 v11, 16, v27
	s_delay_alu instid0(VALU_DEP_1) | instskip(NEXT) | instid1(VALU_DEP_1)
	v_add_f32_e32 v12, 0, v11
	v_and_b32_e32 v11, 0x7f800000, v12
	s_delay_alu instid0(VALU_DEP_1) | instskip(SKIP_1) | instid1(SALU_CYCLE_1)
	v_cmp_ne_u32_e64 s7, 0x7f800000, v11
                                        ; implicit-def: $vgpr11
	s_and_saveexec_b32 s11, s7
	s_xor_b32 s7, exec_lo, s11
; %bb.673:
	v_bfe_u32 v11, v12, 16, 1
	s_delay_alu instid0(VALU_DEP_1)
	v_add3_u32 v11, v12, v11, 0x7fff
                                        ; implicit-def: $vgpr12
; %bb.674:
	s_and_not1_saveexec_b32 s11, s7
; %bb.675:
	v_and_b32_e32 v11, 0xffff, v12
	v_or_b32_e32 v13, 0x10000, v12
	s_delay_alu instid0(VALU_DEP_2) | instskip(NEXT) | instid1(VALU_DEP_1)
	v_cmp_eq_u32_e64 s7, 0, v11
	v_cndmask_b32_e64 v11, v13, v12, s7
; %bb.676:
	s_or_b32 exec_lo, exec_lo, s11
	v_cmp_lt_i32_e64 s7, -1, v10
	s_delay_alu instid0(VALU_DEP_2) | instskip(SKIP_3) | instid1(VALU_DEP_1)
	v_perm_b32 v10, v11, v10, 0x7060302
	s_and_not1_b32 s10, s10, exec_lo
	v_cndmask_b32_e64 v12, -1, 0xffff8000, s7
	v_cmp_lt_i32_e64 s7, -1, v11
	v_cndmask_b32_e64 v13, -1, 0xffff8000, s7
	s_delay_alu instid0(VALU_DEP_1) | instskip(NEXT) | instid1(VALU_DEP_1)
	v_perm_b32 v11, v13, v12, 0x5040100
	v_xor_b32_e32 v10, v11, v10
	s_delay_alu instid0(VALU_DEP_1) | instskip(NEXT) | instid1(VALU_DEP_1)
	v_lshrrev_b32_e32 v11, 16, v10
	v_cmp_le_u16_e64 s7, v10, v11
	s_and_b32 s7, s7, exec_lo
	s_delay_alu instid0(SALU_CYCLE_1)
	s_or_b32 s10, s10, s7
.LBB2049_677:
	s_or_b32 exec_lo, exec_lo, s8
	v_dual_cndmask_b32 v10, v29, v28, s10 :: v_dual_cndmask_b32 v11, v50, v33, s10
	s_mov_b32 s11, -1
	s_mov_b32 s8, -1
	s_mov_b32 s12, exec_lo
	s_delay_alu instid0(VALU_DEP_1) | instskip(SKIP_1) | instid1(VALU_DEP_2)
	v_add_nc_u32_e32 v12, 1, v10
	v_lshl_add_u32 v10, v10, 3, v1
	v_add_min_u32_e64 v11, v11, -1, v12
	s_delay_alu instid0(VALU_DEP_1)
	v_lshl_add_u32 v11, v11, 1, v5
	ds_load_u16 v13, v11
	ds_load_b64 v[10:11], v10 offset:4096
	s_wait_dscnt 0x1
	v_dual_cndmask_b32 v15, v28, v12, s10 :: v_dual_cndmask_b32 v28, v13, v27, s10
	v_cndmask_b32_e64 v14, v12, v29, s10
	v_cndmask_b32_e64 v29, v26, v13, s10
	s_delay_alu instid0(VALU_DEP_2)
	v_cmpx_lt_u32_e64 v14, v50
	s_cbranch_execz .LBB2049_689
; %bb.678:
	s_mov_b32 s13, 0
	s_mov_b32 s8, exec_lo
	v_cmpx_lt_u32_e64 v15, v33
	s_cbranch_execz .LBB2049_688
; %bb.679:
	v_lshlrev_b32_e32 v12, 16, v29
	s_delay_alu instid0(VALU_DEP_1) | instskip(NEXT) | instid1(VALU_DEP_1)
	v_add_f32_e32 v13, 0, v12
	v_and_b32_e32 v12, 0x7f800000, v13
	s_delay_alu instid0(VALU_DEP_1) | instskip(SKIP_1) | instid1(SALU_CYCLE_1)
	v_cmp_ne_u32_e64 s7, 0x7f800000, v12
                                        ; implicit-def: $vgpr12
	s_and_saveexec_b32 s13, s7
	s_xor_b32 s7, exec_lo, s13
; %bb.680:
	v_bfe_u32 v12, v13, 16, 1
	s_delay_alu instid0(VALU_DEP_1)
	v_add3_u32 v12, v13, v12, 0x7fff
                                        ; implicit-def: $vgpr13
; %bb.681:
	s_and_not1_saveexec_b32 s13, s7
; %bb.682:
	v_and_b32_e32 v12, 0xffff, v13
	v_or_b32_e32 v16, 0x10000, v13
	s_delay_alu instid0(VALU_DEP_2) | instskip(NEXT) | instid1(VALU_DEP_1)
	v_cmp_eq_u32_e64 s7, 0, v12
	v_cndmask_b32_e64 v12, v16, v13, s7
; %bb.683:
	s_or_b32 exec_lo, exec_lo, s13
	v_lshlrev_b32_e32 v13, 16, v28
	s_delay_alu instid0(VALU_DEP_1) | instskip(NEXT) | instid1(VALU_DEP_1)
	v_add_f32_e32 v16, 0, v13
	v_and_b32_e32 v13, 0x7f800000, v16
	s_delay_alu instid0(VALU_DEP_1) | instskip(SKIP_1) | instid1(SALU_CYCLE_1)
	v_cmp_ne_u32_e64 s7, 0x7f800000, v13
                                        ; implicit-def: $vgpr13
	s_and_saveexec_b32 s13, s7
	s_xor_b32 s7, exec_lo, s13
; %bb.684:
	v_bfe_u32 v13, v16, 16, 1
	s_delay_alu instid0(VALU_DEP_1)
	v_add3_u32 v13, v16, v13, 0x7fff
                                        ; implicit-def: $vgpr16
; %bb.685:
	s_and_not1_saveexec_b32 s13, s7
; %bb.686:
	v_and_b32_e32 v13, 0xffff, v16
	v_or_b32_e32 v17, 0x10000, v16
	s_delay_alu instid0(VALU_DEP_2) | instskip(NEXT) | instid1(VALU_DEP_1)
	v_cmp_eq_u32_e64 s7, 0, v13
	v_cndmask_b32_e64 v13, v17, v16, s7
; %bb.687:
	s_or_b32 exec_lo, exec_lo, s13
	v_cmp_lt_i32_e64 s7, -1, v12
	s_delay_alu instid0(VALU_DEP_2) | instskip(NEXT) | instid1(VALU_DEP_2)
	v_perm_b32 v12, v13, v12, 0x7060302
	v_cndmask_b32_e64 v16, -1, 0xffff8000, s7
	v_cmp_lt_i32_e64 s7, -1, v13
	s_delay_alu instid0(VALU_DEP_1) | instskip(NEXT) | instid1(VALU_DEP_1)
	v_cndmask_b32_e64 v17, -1, 0xffff8000, s7
	v_perm_b32 v13, v17, v16, 0x5040100
	s_delay_alu instid0(VALU_DEP_1) | instskip(NEXT) | instid1(VALU_DEP_1)
	v_xor_b32_e32 v12, v13, v12
	v_lshrrev_b32_e32 v13, 16, v12
	s_delay_alu instid0(VALU_DEP_1)
	v_cmp_le_u16_e64 s7, v12, v13
	s_and_b32 s13, s7, exec_lo
.LBB2049_688:
	s_or_b32 exec_lo, exec_lo, s8
	s_delay_alu instid0(SALU_CYCLE_1)
	s_or_not1_b32 s8, s13, exec_lo
.LBB2049_689:
	s_or_b32 exec_lo, exec_lo, s12
	v_cndmask_b32_e64 v12, v14, v15, s8
	v_cndmask_b32_e64 v13, v50, v33, s8
	s_mov_b32 s12, exec_lo
	s_delay_alu instid0(VALU_DEP_2) | instskip(NEXT) | instid1(VALU_DEP_1)
	v_add_nc_u32_e32 v17, 1, v12
	v_add_min_u32_e64 v13, v13, -1, v17
	v_cndmask_b32_e64 v16, v17, v14, s8
	v_lshl_add_u32 v12, v12, 3, v1
	s_delay_alu instid0(VALU_DEP_3)
	v_lshl_add_u32 v13, v13, 1, v5
	ds_load_u16 v18, v13
	ds_load_b64 v[12:13], v12 offset:4096
	s_wait_dscnt 0x1
	v_dual_cndmask_b32 v17, v15, v17, s8 :: v_dual_cndmask_b32 v30, v18, v28, s8
	v_cndmask_b32_e64 v31, v29, v18, s8
	v_cmpx_lt_u32_e64 v16, v50
	s_cbranch_execz .LBB2049_701
; %bb.690:
	s_mov_b32 s13, 0
	s_mov_b32 s11, exec_lo
	v_cmpx_lt_u32_e64 v17, v33
	s_cbranch_execz .LBB2049_700
; %bb.691:
	v_lshlrev_b32_e32 v14, 16, v31
	s_delay_alu instid0(VALU_DEP_1) | instskip(NEXT) | instid1(VALU_DEP_1)
	v_add_f32_e32 v15, 0, v14
	v_and_b32_e32 v14, 0x7f800000, v15
	s_delay_alu instid0(VALU_DEP_1) | instskip(SKIP_1) | instid1(SALU_CYCLE_1)
	v_cmp_ne_u32_e64 s7, 0x7f800000, v14
                                        ; implicit-def: $vgpr14
	s_and_saveexec_b32 s13, s7
	s_xor_b32 s7, exec_lo, s13
; %bb.692:
	v_bfe_u32 v14, v15, 16, 1
	s_delay_alu instid0(VALU_DEP_1)
	v_add3_u32 v14, v15, v14, 0x7fff
                                        ; implicit-def: $vgpr15
; %bb.693:
	s_and_not1_saveexec_b32 s13, s7
; %bb.694:
	v_and_b32_e32 v14, 0xffff, v15
	v_or_b32_e32 v18, 0x10000, v15
	s_delay_alu instid0(VALU_DEP_2) | instskip(NEXT) | instid1(VALU_DEP_1)
	v_cmp_eq_u32_e64 s7, 0, v14
	v_cndmask_b32_e64 v14, v18, v15, s7
; %bb.695:
	s_or_b32 exec_lo, exec_lo, s13
	v_lshlrev_b32_e32 v15, 16, v30
	s_delay_alu instid0(VALU_DEP_1) | instskip(NEXT) | instid1(VALU_DEP_1)
	v_add_f32_e32 v18, 0, v15
	v_and_b32_e32 v15, 0x7f800000, v18
	s_delay_alu instid0(VALU_DEP_1) | instskip(SKIP_1) | instid1(SALU_CYCLE_1)
	v_cmp_ne_u32_e64 s7, 0x7f800000, v15
                                        ; implicit-def: $vgpr15
	s_and_saveexec_b32 s13, s7
	s_xor_b32 s7, exec_lo, s13
; %bb.696:
	v_bfe_u32 v15, v18, 16, 1
	s_delay_alu instid0(VALU_DEP_1)
	v_add3_u32 v15, v18, v15, 0x7fff
                                        ; implicit-def: $vgpr18
; %bb.697:
	s_and_not1_saveexec_b32 s13, s7
; %bb.698:
	v_and_b32_e32 v15, 0xffff, v18
	v_or_b32_e32 v19, 0x10000, v18
	s_delay_alu instid0(VALU_DEP_2) | instskip(NEXT) | instid1(VALU_DEP_1)
	v_cmp_eq_u32_e64 s7, 0, v15
	v_cndmask_b32_e64 v15, v19, v18, s7
; %bb.699:
	s_or_b32 exec_lo, exec_lo, s13
	v_cmp_lt_i32_e64 s7, -1, v14
	s_delay_alu instid0(VALU_DEP_2) | instskip(NEXT) | instid1(VALU_DEP_2)
	v_perm_b32 v14, v15, v14, 0x7060302
	v_cndmask_b32_e64 v18, -1, 0xffff8000, s7
	v_cmp_lt_i32_e64 s7, -1, v15
	s_delay_alu instid0(VALU_DEP_1) | instskip(NEXT) | instid1(VALU_DEP_1)
	v_cndmask_b32_e64 v19, -1, 0xffff8000, s7
	v_perm_b32 v15, v19, v18, 0x5040100
	s_delay_alu instid0(VALU_DEP_1) | instskip(NEXT) | instid1(VALU_DEP_1)
	v_xor_b32_e32 v14, v15, v14
	v_lshrrev_b32_e32 v15, 16, v14
	s_delay_alu instid0(VALU_DEP_1)
	v_cmp_le_u16_e64 s7, v14, v15
	s_and_b32 s13, s7, exec_lo
.LBB2049_700:
	s_or_b32 exec_lo, exec_lo, s11
	s_delay_alu instid0(SALU_CYCLE_1)
	s_or_not1_b32 s11, s13, exec_lo
.LBB2049_701:
	s_or_b32 exec_lo, exec_lo, s12
	v_cndmask_b32_e64 v14, v16, v17, s11
	v_cndmask_b32_e64 v15, v50, v33, s11
	s_mov_b32 s13, -1
	s_mov_b32 s12, -1
	s_mov_b32 s14, exec_lo
	v_add_nc_u32_e32 v19, 1, v14
	s_delay_alu instid0(VALU_DEP_1) | instskip(SKIP_2) | instid1(VALU_DEP_3)
	v_add_min_u32_e64 v15, v15, -1, v19
	v_cndmask_b32_e64 v18, v19, v16, s11
	v_lshl_add_u32 v14, v14, 3, v1
	v_lshl_add_u32 v15, v15, 1, v5
	ds_load_u16 v20, v15
	ds_load_b64 v[14:15], v14 offset:4096
	s_wait_dscnt 0x1
	v_dual_cndmask_b32 v19, v17, v19, s11 :: v_dual_cndmask_b32 v32, v20, v30, s11
	v_cndmask_b32_e64 v34, v31, v20, s11
	v_cmpx_lt_u32_e64 v18, v50
	s_cbranch_execz .LBB2049_713
; %bb.702:
	s_mov_b32 s15, 0
	s_mov_b32 s12, exec_lo
	v_cmpx_lt_u32_e64 v19, v33
	s_cbranch_execz .LBB2049_712
; %bb.703:
	v_lshlrev_b32_e32 v16, 16, v34
	s_delay_alu instid0(VALU_DEP_1) | instskip(NEXT) | instid1(VALU_DEP_1)
	v_add_f32_e32 v17, 0, v16
	v_and_b32_e32 v16, 0x7f800000, v17
	s_delay_alu instid0(VALU_DEP_1) | instskip(SKIP_1) | instid1(SALU_CYCLE_1)
	v_cmp_ne_u32_e64 s7, 0x7f800000, v16
                                        ; implicit-def: $vgpr16
	s_and_saveexec_b32 s15, s7
	s_xor_b32 s7, exec_lo, s15
; %bb.704:
	v_bfe_u32 v16, v17, 16, 1
	s_delay_alu instid0(VALU_DEP_1)
	v_add3_u32 v16, v17, v16, 0x7fff
                                        ; implicit-def: $vgpr17
; %bb.705:
	s_and_not1_saveexec_b32 s15, s7
; %bb.706:
	v_and_b32_e32 v16, 0xffff, v17
	v_or_b32_e32 v20, 0x10000, v17
	s_delay_alu instid0(VALU_DEP_2) | instskip(NEXT) | instid1(VALU_DEP_1)
	v_cmp_eq_u32_e64 s7, 0, v16
	v_cndmask_b32_e64 v16, v20, v17, s7
; %bb.707:
	s_or_b32 exec_lo, exec_lo, s15
	v_lshlrev_b32_e32 v17, 16, v32
	s_delay_alu instid0(VALU_DEP_1) | instskip(NEXT) | instid1(VALU_DEP_1)
	v_add_f32_e32 v20, 0, v17
	v_and_b32_e32 v17, 0x7f800000, v20
	s_delay_alu instid0(VALU_DEP_1) | instskip(SKIP_1) | instid1(SALU_CYCLE_1)
	v_cmp_ne_u32_e64 s7, 0x7f800000, v17
                                        ; implicit-def: $vgpr17
	s_and_saveexec_b32 s15, s7
	s_xor_b32 s7, exec_lo, s15
; %bb.708:
	v_bfe_u32 v17, v20, 16, 1
	s_delay_alu instid0(VALU_DEP_1)
	v_add3_u32 v17, v20, v17, 0x7fff
                                        ; implicit-def: $vgpr20
; %bb.709:
	s_and_not1_saveexec_b32 s15, s7
; %bb.710:
	v_and_b32_e32 v17, 0xffff, v20
	v_or_b32_e32 v21, 0x10000, v20
	s_delay_alu instid0(VALU_DEP_2) | instskip(NEXT) | instid1(VALU_DEP_1)
	v_cmp_eq_u32_e64 s7, 0, v17
	v_cndmask_b32_e64 v17, v21, v20, s7
; %bb.711:
	s_or_b32 exec_lo, exec_lo, s15
	v_cmp_lt_i32_e64 s7, -1, v16
	s_delay_alu instid0(VALU_DEP_2) | instskip(NEXT) | instid1(VALU_DEP_2)
	v_perm_b32 v16, v17, v16, 0x7060302
	v_cndmask_b32_e64 v20, -1, 0xffff8000, s7
	v_cmp_lt_i32_e64 s7, -1, v17
	s_delay_alu instid0(VALU_DEP_1) | instskip(NEXT) | instid1(VALU_DEP_1)
	v_cndmask_b32_e64 v21, -1, 0xffff8000, s7
	v_perm_b32 v17, v21, v20, 0x5040100
	s_delay_alu instid0(VALU_DEP_1) | instskip(NEXT) | instid1(VALU_DEP_1)
	v_xor_b32_e32 v16, v17, v16
	v_lshrrev_b32_e32 v17, 16, v16
	s_delay_alu instid0(VALU_DEP_1)
	v_cmp_le_u16_e64 s7, v16, v17
	s_and_b32 s15, s7, exec_lo
.LBB2049_712:
	s_or_b32 exec_lo, exec_lo, s12
	s_delay_alu instid0(SALU_CYCLE_1)
	s_or_not1_b32 s12, s15, exec_lo
.LBB2049_713:
	s_or_b32 exec_lo, exec_lo, s14
	v_cndmask_b32_e64 v16, v18, v19, s12
	v_cndmask_b32_e64 v17, v50, v33, s12
	s_mov_b32 s14, exec_lo
	s_delay_alu instid0(VALU_DEP_2) | instskip(NEXT) | instid1(VALU_DEP_1)
	v_add_nc_u32_e32 v21, 1, v16
	v_add_min_u32_e64 v17, v17, -1, v21
	v_cndmask_b32_e64 v20, v21, v18, s12
	v_lshl_add_u32 v16, v16, 3, v1
	s_delay_alu instid0(VALU_DEP_3)
	v_lshl_add_u32 v17, v17, 1, v5
	ds_load_u16 v22, v17
	ds_load_b64 v[16:17], v16 offset:4096
	s_wait_dscnt 0x1
	v_dual_cndmask_b32 v21, v19, v21, s12 :: v_dual_cndmask_b32 v35, v22, v32, s12
	v_cndmask_b32_e64 v37, v34, v22, s12
	v_cmpx_lt_u32_e64 v20, v50
	s_cbranch_execz .LBB2049_725
; %bb.714:
	s_mov_b32 s15, 0
	s_mov_b32 s13, exec_lo
	v_cmpx_lt_u32_e64 v21, v33
	s_cbranch_execz .LBB2049_724
; %bb.715:
	v_lshlrev_b32_e32 v18, 16, v37
	s_delay_alu instid0(VALU_DEP_1) | instskip(NEXT) | instid1(VALU_DEP_1)
	v_add_f32_e32 v19, 0, v18
	v_and_b32_e32 v18, 0x7f800000, v19
	s_delay_alu instid0(VALU_DEP_1) | instskip(SKIP_1) | instid1(SALU_CYCLE_1)
	v_cmp_ne_u32_e64 s7, 0x7f800000, v18
                                        ; implicit-def: $vgpr18
	s_and_saveexec_b32 s15, s7
	s_xor_b32 s7, exec_lo, s15
; %bb.716:
	v_bfe_u32 v18, v19, 16, 1
	s_delay_alu instid0(VALU_DEP_1)
	v_add3_u32 v18, v19, v18, 0x7fff
                                        ; implicit-def: $vgpr19
; %bb.717:
	s_and_not1_saveexec_b32 s15, s7
; %bb.718:
	v_and_b32_e32 v18, 0xffff, v19
	v_or_b32_e32 v22, 0x10000, v19
	s_delay_alu instid0(VALU_DEP_2) | instskip(NEXT) | instid1(VALU_DEP_1)
	v_cmp_eq_u32_e64 s7, 0, v18
	v_cndmask_b32_e64 v18, v22, v19, s7
; %bb.719:
	s_or_b32 exec_lo, exec_lo, s15
	v_lshlrev_b32_e32 v19, 16, v35
	s_delay_alu instid0(VALU_DEP_1) | instskip(NEXT) | instid1(VALU_DEP_1)
	v_add_f32_e32 v22, 0, v19
	v_and_b32_e32 v19, 0x7f800000, v22
	s_delay_alu instid0(VALU_DEP_1) | instskip(SKIP_1) | instid1(SALU_CYCLE_1)
	v_cmp_ne_u32_e64 s7, 0x7f800000, v19
                                        ; implicit-def: $vgpr19
	s_and_saveexec_b32 s15, s7
	s_xor_b32 s7, exec_lo, s15
; %bb.720:
	v_bfe_u32 v19, v22, 16, 1
	s_delay_alu instid0(VALU_DEP_1)
	v_add3_u32 v19, v22, v19, 0x7fff
                                        ; implicit-def: $vgpr22
; %bb.721:
	s_and_not1_saveexec_b32 s15, s7
; %bb.722:
	v_and_b32_e32 v19, 0xffff, v22
	v_or_b32_e32 v23, 0x10000, v22
	s_delay_alu instid0(VALU_DEP_2) | instskip(NEXT) | instid1(VALU_DEP_1)
	v_cmp_eq_u32_e64 s7, 0, v19
	v_cndmask_b32_e64 v19, v23, v22, s7
; %bb.723:
	s_or_b32 exec_lo, exec_lo, s15
	v_cmp_lt_i32_e64 s7, -1, v18
	s_delay_alu instid0(VALU_DEP_2) | instskip(NEXT) | instid1(VALU_DEP_2)
	v_perm_b32 v18, v19, v18, 0x7060302
	v_cndmask_b32_e64 v22, -1, 0xffff8000, s7
	v_cmp_lt_i32_e64 s7, -1, v19
	s_delay_alu instid0(VALU_DEP_1) | instskip(NEXT) | instid1(VALU_DEP_1)
	v_cndmask_b32_e64 v23, -1, 0xffff8000, s7
	v_perm_b32 v19, v23, v22, 0x5040100
	s_delay_alu instid0(VALU_DEP_1) | instskip(NEXT) | instid1(VALU_DEP_1)
	v_xor_b32_e32 v18, v19, v18
	v_lshrrev_b32_e32 v19, 16, v18
	s_delay_alu instid0(VALU_DEP_1)
	v_cmp_le_u16_e64 s7, v18, v19
	s_and_b32 s15, s7, exec_lo
.LBB2049_724:
	s_or_b32 exec_lo, exec_lo, s13
	s_delay_alu instid0(SALU_CYCLE_1)
	s_or_not1_b32 s13, s15, exec_lo
.LBB2049_725:
	s_or_b32 exec_lo, exec_lo, s14
	v_cndmask_b32_e64 v18, v20, v21, s13
	v_cndmask_b32_e64 v19, v50, v33, s13
	s_mov_b32 s15, -1
	s_mov_b32 s14, -1
	s_mov_b32 s16, exec_lo
	v_add_nc_u32_e32 v22, 1, v18
	s_delay_alu instid0(VALU_DEP_1) | instskip(SKIP_2) | instid1(VALU_DEP_3)
	v_add_min_u32_e64 v19, v19, -1, v22
	v_cndmask_b32_e64 v20, v22, v20, s13
	v_lshl_add_u32 v18, v18, 3, v1
	v_lshl_add_u32 v19, v19, 1, v5
	ds_load_u16 v23, v19
	ds_load_b64 v[18:19], v18 offset:4096
	s_wait_dscnt 0x1
	v_dual_cndmask_b32 v21, v21, v22, s13 :: v_dual_cndmask_b32 v36, v23, v35, s13
	v_cndmask_b32_e64 v38, v37, v23, s13
	v_cmpx_lt_u32_e64 v20, v50
	s_cbranch_execz .LBB2049_737
; %bb.726:
	s_mov_b32 s17, 0
	s_mov_b32 s14, exec_lo
	v_cmpx_lt_u32_e64 v21, v33
	s_cbranch_execz .LBB2049_736
; %bb.727:
	v_lshlrev_b32_e32 v22, 16, v38
	s_delay_alu instid0(VALU_DEP_1) | instskip(NEXT) | instid1(VALU_DEP_1)
	v_add_f32_e32 v23, 0, v22
	v_and_b32_e32 v22, 0x7f800000, v23
	s_delay_alu instid0(VALU_DEP_1) | instskip(SKIP_1) | instid1(SALU_CYCLE_1)
	v_cmp_ne_u32_e64 s7, 0x7f800000, v22
                                        ; implicit-def: $vgpr22
	s_and_saveexec_b32 s17, s7
	s_xor_b32 s7, exec_lo, s17
; %bb.728:
	v_bfe_u32 v22, v23, 16, 1
	s_delay_alu instid0(VALU_DEP_1)
	v_add3_u32 v22, v23, v22, 0x7fff
                                        ; implicit-def: $vgpr23
; %bb.729:
	s_and_not1_saveexec_b32 s17, s7
; %bb.730:
	v_and_b32_e32 v22, 0xffff, v23
	v_or_b32_e32 v24, 0x10000, v23
	s_delay_alu instid0(VALU_DEP_2) | instskip(NEXT) | instid1(VALU_DEP_1)
	v_cmp_eq_u32_e64 s7, 0, v22
	v_cndmask_b32_e64 v22, v24, v23, s7
; %bb.731:
	s_or_b32 exec_lo, exec_lo, s17
	v_lshlrev_b32_e32 v23, 16, v36
	s_delay_alu instid0(VALU_DEP_1) | instskip(NEXT) | instid1(VALU_DEP_1)
	v_add_f32_e32 v24, 0, v23
	v_and_b32_e32 v23, 0x7f800000, v24
	s_delay_alu instid0(VALU_DEP_1) | instskip(SKIP_1) | instid1(SALU_CYCLE_1)
	v_cmp_ne_u32_e64 s7, 0x7f800000, v23
                                        ; implicit-def: $vgpr23
	s_and_saveexec_b32 s17, s7
	s_xor_b32 s7, exec_lo, s17
; %bb.732:
	v_bfe_u32 v23, v24, 16, 1
	s_delay_alu instid0(VALU_DEP_1)
	v_add3_u32 v23, v24, v23, 0x7fff
                                        ; implicit-def: $vgpr24
; %bb.733:
	s_and_not1_saveexec_b32 s17, s7
; %bb.734:
	v_and_b32_e32 v23, 0xffff, v24
	v_or_b32_e32 v25, 0x10000, v24
	s_delay_alu instid0(VALU_DEP_2) | instskip(NEXT) | instid1(VALU_DEP_1)
	v_cmp_eq_u32_e64 s7, 0, v23
	v_cndmask_b32_e64 v23, v25, v24, s7
; %bb.735:
	s_or_b32 exec_lo, exec_lo, s17
	v_cmp_lt_i32_e64 s7, -1, v22
	s_delay_alu instid0(VALU_DEP_2) | instskip(NEXT) | instid1(VALU_DEP_2)
	v_perm_b32 v22, v23, v22, 0x7060302
	v_cndmask_b32_e64 v24, -1, 0xffff8000, s7
	v_cmp_lt_i32_e64 s7, -1, v23
	s_delay_alu instid0(VALU_DEP_1) | instskip(NEXT) | instid1(VALU_DEP_1)
	v_cndmask_b32_e64 v25, -1, 0xffff8000, s7
	v_perm_b32 v23, v25, v24, 0x5040100
	s_delay_alu instid0(VALU_DEP_1) | instskip(NEXT) | instid1(VALU_DEP_1)
	v_xor_b32_e32 v22, v23, v22
	v_lshrrev_b32_e32 v23, 16, v22
	s_delay_alu instid0(VALU_DEP_1)
	v_cmp_le_u16_e64 s7, v22, v23
	s_and_b32 s17, s7, exec_lo
.LBB2049_736:
	s_or_b32 exec_lo, exec_lo, s14
	s_delay_alu instid0(SALU_CYCLE_1)
	s_or_not1_b32 s14, s17, exec_lo
.LBB2049_737:
	s_or_b32 exec_lo, exec_lo, s16
	v_cndmask_b32_e64 v22, v20, v21, s14
	v_cndmask_b32_e64 v23, v50, v33, s14
	s_mov_b32 s16, exec_lo
	s_delay_alu instid0(VALU_DEP_2) | instskip(NEXT) | instid1(VALU_DEP_1)
	v_add_nc_u32_e32 v25, 1, v22
	v_add_min_u32_e64 v23, v23, -1, v25
	v_cndmask_b32_e64 v24, v25, v20, s14
	v_lshl_add_u32 v22, v22, 3, v1
	s_delay_alu instid0(VALU_DEP_3)
	v_lshl_add_u32 v23, v23, 1, v5
	ds_load_u16 v48, v23
	ds_load_b64 v[22:23], v22 offset:4096
	s_wait_dscnt 0x1
	v_dual_cndmask_b32 v25, v21, v25, s14 :: v_dual_cndmask_b32 v39, v48, v36, s14
	v_cndmask_b32_e64 v48, v38, v48, s14
	v_cmpx_lt_u32_e64 v24, v50
	s_cbranch_execz .LBB2049_749
; %bb.738:
	s_mov_b32 s17, 0
	s_mov_b32 s15, exec_lo
	v_cmpx_lt_u32_e64 v25, v33
	s_cbranch_execz .LBB2049_748
; %bb.739:
	v_lshlrev_b32_e32 v20, 16, v48
	s_delay_alu instid0(VALU_DEP_1) | instskip(NEXT) | instid1(VALU_DEP_1)
	v_add_f32_e32 v21, 0, v20
	v_and_b32_e32 v20, 0x7f800000, v21
	s_delay_alu instid0(VALU_DEP_1) | instskip(SKIP_1) | instid1(SALU_CYCLE_1)
	v_cmp_ne_u32_e64 s7, 0x7f800000, v20
                                        ; implicit-def: $vgpr20
	s_and_saveexec_b32 s17, s7
	s_xor_b32 s7, exec_lo, s17
; %bb.740:
	v_bfe_u32 v20, v21, 16, 1
	s_delay_alu instid0(VALU_DEP_1)
	v_add3_u32 v20, v21, v20, 0x7fff
                                        ; implicit-def: $vgpr21
; %bb.741:
	s_and_not1_saveexec_b32 s17, s7
; %bb.742:
	v_and_b32_e32 v20, 0xffff, v21
	v_or_b32_e32 v49, 0x10000, v21
	s_delay_alu instid0(VALU_DEP_2) | instskip(NEXT) | instid1(VALU_DEP_1)
	v_cmp_eq_u32_e64 s7, 0, v20
	v_cndmask_b32_e64 v20, v49, v21, s7
; %bb.743:
	s_or_b32 exec_lo, exec_lo, s17
	v_lshlrev_b32_e32 v21, 16, v39
	s_delay_alu instid0(VALU_DEP_1) | instskip(NEXT) | instid1(VALU_DEP_1)
	v_add_f32_e32 v49, 0, v21
	v_and_b32_e32 v21, 0x7f800000, v49
	s_delay_alu instid0(VALU_DEP_1) | instskip(SKIP_1) | instid1(SALU_CYCLE_1)
	v_cmp_ne_u32_e64 s7, 0x7f800000, v21
                                        ; implicit-def: $vgpr21
	s_and_saveexec_b32 s17, s7
	s_xor_b32 s7, exec_lo, s17
; %bb.744:
	v_bfe_u32 v21, v49, 16, 1
	s_delay_alu instid0(VALU_DEP_1)
	v_add3_u32 v21, v49, v21, 0x7fff
                                        ; implicit-def: $vgpr49
; %bb.745:
	s_and_not1_saveexec_b32 s17, s7
; %bb.746:
	v_and_b32_e32 v21, 0xffff, v49
	v_or_b32_e32 v51, 0x10000, v49
	s_delay_alu instid0(VALU_DEP_2) | instskip(NEXT) | instid1(VALU_DEP_1)
	v_cmp_eq_u32_e64 s7, 0, v21
	v_cndmask_b32_e64 v21, v51, v49, s7
; %bb.747:
	s_or_b32 exec_lo, exec_lo, s17
	v_cmp_lt_i32_e64 s7, -1, v20
	s_delay_alu instid0(VALU_DEP_2) | instskip(NEXT) | instid1(VALU_DEP_2)
	v_perm_b32 v20, v21, v20, 0x7060302
	v_cndmask_b32_e64 v49, -1, 0xffff8000, s7
	v_cmp_lt_i32_e64 s7, -1, v21
	s_delay_alu instid0(VALU_DEP_1) | instskip(NEXT) | instid1(VALU_DEP_1)
	v_cndmask_b32_e64 v51, -1, 0xffff8000, s7
	v_perm_b32 v21, v51, v49, 0x5040100
	s_delay_alu instid0(VALU_DEP_1) | instskip(NEXT) | instid1(VALU_DEP_1)
	v_xor_b32_e32 v20, v21, v20
	v_lshrrev_b32_e32 v21, 16, v20
	s_delay_alu instid0(VALU_DEP_1)
	v_cmp_le_u16_e64 s7, v20, v21
	s_and_b32 s17, s7, exec_lo
.LBB2049_748:
	s_or_b32 exec_lo, exec_lo, s15
	s_delay_alu instid0(SALU_CYCLE_1)
	s_or_not1_b32 s15, s17, exec_lo
.LBB2049_749:
	s_or_b32 exec_lo, exec_lo, s16
	v_cndmask_b32_e64 v20, v24, v25, s15
	v_cndmask_b32_e64 v21, v50, v33, s15
	s_mov_b32 s17, -1
	s_mov_b32 s16, exec_lo
	s_delay_alu instid0(VALU_DEP_2) | instskip(NEXT) | instid1(VALU_DEP_1)
	v_add_nc_u32_e32 v49, 1, v20
	v_add_min_u32_e64 v21, v21, -1, v49
	v_cndmask_b32_e64 v24, v49, v24, s15
	s_delay_alu instid0(VALU_DEP_2)
	v_lshl_add_u32 v5, v21, 1, v5
	ds_load_u16 v51, v5
	v_lshl_add_u32 v5, v20, 3, v1
	v_cndmask_b32_e64 v25, v25, v49, s15
	ds_load_b64 v[20:21], v5 offset:4096
	s_wait_dscnt 0x1
	v_cndmask_b32_e64 v5, v51, v39, s15
	v_cndmask_b32_e64 v51, v48, v51, s15
	v_cmpx_lt_u32_e64 v24, v50
	s_cbranch_execz .LBB2049_761
; %bb.750:
	s_mov_b32 s18, 0
	s_mov_b32 s17, exec_lo
	v_cmpx_lt_u32_e64 v25, v33
	s_cbranch_execz .LBB2049_760
; %bb.751:
	v_lshlrev_b32_e32 v33, 16, v51
	s_delay_alu instid0(VALU_DEP_1) | instskip(NEXT) | instid1(VALU_DEP_1)
	v_add_f32_e32 v49, 0, v33
	v_and_b32_e32 v33, 0x7f800000, v49
	s_delay_alu instid0(VALU_DEP_1) | instskip(SKIP_1) | instid1(SALU_CYCLE_1)
	v_cmp_ne_u32_e64 s7, 0x7f800000, v33
                                        ; implicit-def: $vgpr33
	s_and_saveexec_b32 s18, s7
	s_xor_b32 s7, exec_lo, s18
; %bb.752:
	v_bfe_u32 v33, v49, 16, 1
	s_delay_alu instid0(VALU_DEP_1)
	v_add3_u32 v33, v49, v33, 0x7fff
                                        ; implicit-def: $vgpr49
; %bb.753:
	s_and_not1_saveexec_b32 s18, s7
; %bb.754:
	v_and_b32_e32 v33, 0xffff, v49
	v_or_b32_e32 v50, 0x10000, v49
	s_delay_alu instid0(VALU_DEP_2) | instskip(NEXT) | instid1(VALU_DEP_1)
	v_cmp_eq_u32_e64 s7, 0, v33
	v_cndmask_b32_e64 v33, v50, v49, s7
; %bb.755:
	s_or_b32 exec_lo, exec_lo, s18
	v_lshlrev_b32_e32 v49, 16, v5
	s_delay_alu instid0(VALU_DEP_1) | instskip(NEXT) | instid1(VALU_DEP_1)
	v_add_f32_e32 v50, 0, v49
	v_and_b32_e32 v49, 0x7f800000, v50
	s_delay_alu instid0(VALU_DEP_1) | instskip(SKIP_1) | instid1(SALU_CYCLE_1)
	v_cmp_ne_u32_e64 s7, 0x7f800000, v49
                                        ; implicit-def: $vgpr49
	s_and_saveexec_b32 s18, s7
	s_xor_b32 s7, exec_lo, s18
; %bb.756:
	v_bfe_u32 v49, v50, 16, 1
	s_delay_alu instid0(VALU_DEP_1)
	v_add3_u32 v49, v50, v49, 0x7fff
                                        ; implicit-def: $vgpr50
; %bb.757:
	s_and_not1_saveexec_b32 s18, s7
; %bb.758:
	v_and_b32_e32 v49, 0xffff, v50
	v_or_b32_e32 v52, 0x10000, v50
	s_delay_alu instid0(VALU_DEP_2) | instskip(NEXT) | instid1(VALU_DEP_1)
	v_cmp_eq_u32_e64 s7, 0, v49
	v_cndmask_b32_e64 v49, v52, v50, s7
; %bb.759:
	s_or_b32 exec_lo, exec_lo, s18
	v_cmp_lt_i32_e64 s7, -1, v33
	s_delay_alu instid0(VALU_DEP_2) | instskip(NEXT) | instid1(VALU_DEP_2)
	v_perm_b32 v33, v49, v33, 0x7060302
	v_cndmask_b32_e64 v50, -1, 0xffff8000, s7
	v_cmp_lt_i32_e64 s7, -1, v49
	s_delay_alu instid0(VALU_DEP_1) | instskip(NEXT) | instid1(VALU_DEP_1)
	v_cndmask_b32_e64 v52, -1, 0xffff8000, s7
	v_perm_b32 v49, v52, v50, 0x5040100
	s_delay_alu instid0(VALU_DEP_1) | instskip(NEXT) | instid1(VALU_DEP_1)
	v_xor_b32_e32 v33, v49, v33
	v_lshrrev_b32_e32 v49, 16, v33
	s_delay_alu instid0(VALU_DEP_1)
	v_cmp_le_u16_e64 s7, v33, v49
	s_and_b32 s18, s7, exec_lo
.LBB2049_760:
	s_or_b32 exec_lo, exec_lo, s17
	s_delay_alu instid0(SALU_CYCLE_1)
	s_or_not1_b32 s17, s18, exec_lo
.LBB2049_761:
	s_or_b32 exec_lo, exec_lo, s16
	v_dual_cndmask_b32 v24, v24, v25, s17 :: v_dual_cndmask_b32 v48, v39, v48, s15
	v_dual_cndmask_b32 v36, v36, v38, s14 :: v_dual_cndmask_b32 v39, v35, v37, s13
	;; [unrolled: 1-line block ×3, first 2 shown]
	s_delay_alu instid0(VALU_DEP_3)
	v_lshl_add_u32 v1, v24, 3, v1
	v_dual_cndmask_b32 v37, v28, v29, s8 :: v_dual_cndmask_b32 v34, v27, v26, s10
	v_cndmask_b32_e64 v35, v5, v51, s17
	ds_load_b64 v[24:25], v1 offset:4096
.LBB2049_762:
	s_or_b32 exec_lo, exec_lo, s9
	v_lshl_add_u64 v[2:3], v[8:9], 1, v[2:3]
	v_mov_b32_e32 v1, 0
	; wave barrier
	s_wait_storecnt_dscnt 0x0
	s_barrier_signal -1
	s_delay_alu instid0(VALU_DEP_1)
	v_add_nc_u64_e32 v[0:1], v[2:3], v[0:1]
	s_barrier_wait -1
	; wave barrier
	s_and_saveexec_b32 s7, vcc_lo
	s_cbranch_execnz .LBB2049_780
; %bb.763:
	s_or_b32 exec_lo, exec_lo, s7
	s_and_saveexec_b32 s7, s0
	s_cbranch_execnz .LBB2049_781
.LBB2049_764:
	s_or_b32 exec_lo, exec_lo, s7
	s_and_saveexec_b32 s7, s1
	s_cbranch_execnz .LBB2049_782
.LBB2049_765:
	s_or_b32 exec_lo, exec_lo, s7
	s_and_saveexec_b32 s7, s2
	s_cbranch_execnz .LBB2049_783
.LBB2049_766:
	s_or_b32 exec_lo, exec_lo, s7
	s_and_saveexec_b32 s7, s3
	s_cbranch_execnz .LBB2049_784
.LBB2049_767:
	s_or_b32 exec_lo, exec_lo, s7
	s_and_saveexec_b32 s7, s4
	s_cbranch_execnz .LBB2049_785
.LBB2049_768:
	s_or_b32 exec_lo, exec_lo, s7
	s_and_saveexec_b32 s7, s5
	s_cbranch_execnz .LBB2049_786
.LBB2049_769:
	s_or_b32 exec_lo, exec_lo, s7
	s_and_saveexec_b32 s7, s6
	s_cbranch_execz .LBB2049_771
.LBB2049_770:
	flat_store_b16 v[0:1], v35 offset:14
.LBB2049_771:
	s_wait_xcnt 0x0
	s_or_b32 exec_lo, exec_lo, s7
	v_lshl_add_u64 v[0:1], v[8:9], 3, v[6:7]
	v_mov_b32_e32 v5, 0
	; wave barrier
	s_delay_alu instid0(VALU_DEP_1)
	v_add_nc_u64_e32 v[0:1], v[0:1], v[4:5]
	s_and_saveexec_b32 s7, vcc_lo
	s_cbranch_execnz .LBB2049_787
; %bb.772:
	s_or_b32 exec_lo, exec_lo, s7
	s_and_saveexec_b32 s7, s0
	s_cbranch_execnz .LBB2049_788
.LBB2049_773:
	s_or_b32 exec_lo, exec_lo, s7
	s_and_saveexec_b32 s0, s1
	s_cbranch_execnz .LBB2049_789
.LBB2049_774:
	s_or_b32 exec_lo, exec_lo, s0
	s_and_saveexec_b32 s0, s2
	s_cbranch_execnz .LBB2049_790
.LBB2049_775:
	s_or_b32 exec_lo, exec_lo, s0
	s_and_saveexec_b32 s0, s3
	s_cbranch_execnz .LBB2049_791
.LBB2049_776:
	s_or_b32 exec_lo, exec_lo, s0
	s_and_saveexec_b32 s0, s4
	s_cbranch_execnz .LBB2049_792
.LBB2049_777:
	s_or_b32 exec_lo, exec_lo, s0
	s_and_saveexec_b32 s0, s5
	s_cbranch_execnz .LBB2049_793
.LBB2049_778:
	s_or_b32 exec_lo, exec_lo, s0
	s_and_saveexec_b32 s0, s6
	s_cbranch_execnz .LBB2049_794
.LBB2049_779:
	s_or_b32 exec_lo, exec_lo, s0
	s_wait_dscnt 0x0
	s_set_pc_i64 s[30:31]
.LBB2049_780:
	flat_store_b16 v[0:1], v34
	s_wait_xcnt 0x0
	s_or_b32 exec_lo, exec_lo, s7
	s_and_saveexec_b32 s7, s0
	s_cbranch_execz .LBB2049_764
.LBB2049_781:
	flat_store_b16 v[0:1], v37 offset:2
	s_wait_xcnt 0x0
	s_or_b32 exec_lo, exec_lo, s7
	s_and_saveexec_b32 s7, s1
	s_cbranch_execz .LBB2049_765
.LBB2049_782:
	flat_store_b16 v[0:1], v38 offset:4
	s_wait_xcnt 0x0
	s_or_b32 exec_lo, exec_lo, s7
	s_and_saveexec_b32 s7, s2
	s_cbranch_execz .LBB2049_766
.LBB2049_783:
	flat_store_b16 v[0:1], v49 offset:6
	s_wait_xcnt 0x0
	s_or_b32 exec_lo, exec_lo, s7
	s_and_saveexec_b32 s7, s3
	s_cbranch_execz .LBB2049_767
.LBB2049_784:
	flat_store_b16 v[0:1], v39 offset:8
	s_wait_xcnt 0x0
	s_or_b32 exec_lo, exec_lo, s7
	s_and_saveexec_b32 s7, s4
	s_cbranch_execz .LBB2049_768
.LBB2049_785:
	flat_store_b16 v[0:1], v36 offset:10
	s_wait_xcnt 0x0
	s_or_b32 exec_lo, exec_lo, s7
	s_and_saveexec_b32 s7, s5
	s_cbranch_execz .LBB2049_769
.LBB2049_786:
	flat_store_b16 v[0:1], v48 offset:12
	s_wait_xcnt 0x0
	s_or_b32 exec_lo, exec_lo, s7
	s_and_saveexec_b32 s7, s6
	s_cbranch_execnz .LBB2049_770
	s_branch .LBB2049_771
.LBB2049_787:
	flat_store_b64 v[0:1], v[10:11]
	s_wait_xcnt 0x0
	s_or_b32 exec_lo, exec_lo, s7
	s_and_saveexec_b32 s7, s0
	s_cbranch_execz .LBB2049_773
.LBB2049_788:
	flat_store_b64 v[0:1], v[12:13] offset:8
	s_wait_xcnt 0x0
	s_or_b32 exec_lo, exec_lo, s7
	s_and_saveexec_b32 s0, s1
	s_cbranch_execz .LBB2049_774
.LBB2049_789:
	flat_store_b64 v[0:1], v[14:15] offset:16
	s_wait_xcnt 0x0
	s_or_b32 exec_lo, exec_lo, s0
	s_and_saveexec_b32 s0, s2
	s_cbranch_execz .LBB2049_775
.LBB2049_790:
	flat_store_b64 v[0:1], v[16:17] offset:24
	s_wait_xcnt 0x0
	s_or_b32 exec_lo, exec_lo, s0
	s_and_saveexec_b32 s0, s3
	s_cbranch_execz .LBB2049_776
.LBB2049_791:
	flat_store_b64 v[0:1], v[18:19] offset:32
	s_wait_xcnt 0x0
	s_or_b32 exec_lo, exec_lo, s0
	s_and_saveexec_b32 s0, s4
	s_cbranch_execz .LBB2049_777
.LBB2049_792:
	flat_store_b64 v[0:1], v[22:23] offset:40
	s_wait_xcnt 0x0
	s_or_b32 exec_lo, exec_lo, s0
	s_and_saveexec_b32 s0, s5
	s_cbranch_execz .LBB2049_778
.LBB2049_793:
	flat_store_b64 v[0:1], v[20:21] offset:48
	s_wait_xcnt 0x0
	s_or_b32 exec_lo, exec_lo, s0
	s_and_saveexec_b32 s0, s6
	s_cbranch_execz .LBB2049_779
.LBB2049_794:
	flat_store_b64 v[0:1], v[24:25] offset:56
	s_wait_xcnt 0x0
	s_or_b32 exec_lo, exec_lo, s0
	s_wait_dscnt 0x0
	s_set_pc_i64 s[30:31]
.Lfunc_end2049:
	.size	_ZN7rocprim17ROCPRIM_400000_NS6detail26segmented_warp_sort_helperINS1_20WarpSortHelperConfigILj16ELj8ELj256EEE12hip_bfloat16lLi256ELb0EvE4sortIPKS5_PS5_PKlPlEEvT_T0_T1_T2_jjjjRNS6_12storage_typeE, .Lfunc_end2049-_ZN7rocprim17ROCPRIM_400000_NS6detail26segmented_warp_sort_helperINS1_20WarpSortHelperConfigILj16ELj8ELj256EEE12hip_bfloat16lLi256ELb0EvE4sortIPKS5_PS5_PKlPlEEvT_T0_T1_T2_jjjjRNS6_12storage_typeE
                                        ; -- End function
	.set .L_ZN7rocprim17ROCPRIM_400000_NS6detail26segmented_warp_sort_helperINS1_20WarpSortHelperConfigILj16ELj8ELj256EEE12hip_bfloat16lLi256ELb0EvE4sortIPKS5_PS5_PKlPlEEvT_T0_T1_T2_jjjjRNS6_12storage_typeE.num_vgpr, 71
	.set .L_ZN7rocprim17ROCPRIM_400000_NS6detail26segmented_warp_sort_helperINS1_20WarpSortHelperConfigILj16ELj8ELj256EEE12hip_bfloat16lLi256ELb0EvE4sortIPKS5_PS5_PKlPlEEvT_T0_T1_T2_jjjjRNS6_12storage_typeE.num_agpr, 0
	.set .L_ZN7rocprim17ROCPRIM_400000_NS6detail26segmented_warp_sort_helperINS1_20WarpSortHelperConfigILj16ELj8ELj256EEE12hip_bfloat16lLi256ELb0EvE4sortIPKS5_PS5_PKlPlEEvT_T0_T1_T2_jjjjRNS6_12storage_typeE.numbered_sgpr, 32
	.set .L_ZN7rocprim17ROCPRIM_400000_NS6detail26segmented_warp_sort_helperINS1_20WarpSortHelperConfigILj16ELj8ELj256EEE12hip_bfloat16lLi256ELb0EvE4sortIPKS5_PS5_PKlPlEEvT_T0_T1_T2_jjjjRNS6_12storage_typeE.num_named_barrier, 0
	.set .L_ZN7rocprim17ROCPRIM_400000_NS6detail26segmented_warp_sort_helperINS1_20WarpSortHelperConfigILj16ELj8ELj256EEE12hip_bfloat16lLi256ELb0EvE4sortIPKS5_PS5_PKlPlEEvT_T0_T1_T2_jjjjRNS6_12storage_typeE.private_seg_size, 0
	.set .L_ZN7rocprim17ROCPRIM_400000_NS6detail26segmented_warp_sort_helperINS1_20WarpSortHelperConfigILj16ELj8ELj256EEE12hip_bfloat16lLi256ELb0EvE4sortIPKS5_PS5_PKlPlEEvT_T0_T1_T2_jjjjRNS6_12storage_typeE.uses_vcc, 1
	.set .L_ZN7rocprim17ROCPRIM_400000_NS6detail26segmented_warp_sort_helperINS1_20WarpSortHelperConfigILj16ELj8ELj256EEE12hip_bfloat16lLi256ELb0EvE4sortIPKS5_PS5_PKlPlEEvT_T0_T1_T2_jjjjRNS6_12storage_typeE.uses_flat_scratch, 0
	.set .L_ZN7rocprim17ROCPRIM_400000_NS6detail26segmented_warp_sort_helperINS1_20WarpSortHelperConfigILj16ELj8ELj256EEE12hip_bfloat16lLi256ELb0EvE4sortIPKS5_PS5_PKlPlEEvT_T0_T1_T2_jjjjRNS6_12storage_typeE.has_dyn_sized_stack, 0
	.set .L_ZN7rocprim17ROCPRIM_400000_NS6detail26segmented_warp_sort_helperINS1_20WarpSortHelperConfigILj16ELj8ELj256EEE12hip_bfloat16lLi256ELb0EvE4sortIPKS5_PS5_PKlPlEEvT_T0_T1_T2_jjjjRNS6_12storage_typeE.has_recursion, 0
	.set .L_ZN7rocprim17ROCPRIM_400000_NS6detail26segmented_warp_sort_helperINS1_20WarpSortHelperConfigILj16ELj8ELj256EEE12hip_bfloat16lLi256ELb0EvE4sortIPKS5_PS5_PKlPlEEvT_T0_T1_T2_jjjjRNS6_12storage_typeE.has_indirect_call, 0
	.section	.AMDGPU.csdata,"",@progbits
; Function info:
; codeLenInByte = 29940
; TotalNumSgprs: 34
; NumVgprs: 71
; ScratchSize: 0
; MemoryBound: 0
	.section	.text._ZN7rocprim17ROCPRIM_400000_NS6detail17trampoline_kernelINS0_14default_configENS1_36segmented_radix_sort_config_selectorI12hip_bfloat16lEEZNS1_25segmented_radix_sort_implIS3_Lb0EPKS5_PS5_PKlPlN2at6native12_GLOBAL__N_18offset_tEEE10hipError_tPvRmT1_PNSt15iterator_traitsISL_E10value_typeET2_T3_PNSM_ISR_E10value_typeET4_jRbjT5_SX_jjP12ihipStream_tbEUlT_E0_NS1_11comp_targetILNS1_3genE0ELNS1_11target_archE4294967295ELNS1_3gpuE0ELNS1_3repE0EEENS1_60segmented_radix_sort_warp_sort_medium_config_static_selectorELNS0_4arch9wavefront6targetE0EEEvSL_,"axG",@progbits,_ZN7rocprim17ROCPRIM_400000_NS6detail17trampoline_kernelINS0_14default_configENS1_36segmented_radix_sort_config_selectorI12hip_bfloat16lEEZNS1_25segmented_radix_sort_implIS3_Lb0EPKS5_PS5_PKlPlN2at6native12_GLOBAL__N_18offset_tEEE10hipError_tPvRmT1_PNSt15iterator_traitsISL_E10value_typeET2_T3_PNSM_ISR_E10value_typeET4_jRbjT5_SX_jjP12ihipStream_tbEUlT_E0_NS1_11comp_targetILNS1_3genE0ELNS1_11target_archE4294967295ELNS1_3gpuE0ELNS1_3repE0EEENS1_60segmented_radix_sort_warp_sort_medium_config_static_selectorELNS0_4arch9wavefront6targetE0EEEvSL_,comdat
	.globl	_ZN7rocprim17ROCPRIM_400000_NS6detail17trampoline_kernelINS0_14default_configENS1_36segmented_radix_sort_config_selectorI12hip_bfloat16lEEZNS1_25segmented_radix_sort_implIS3_Lb0EPKS5_PS5_PKlPlN2at6native12_GLOBAL__N_18offset_tEEE10hipError_tPvRmT1_PNSt15iterator_traitsISL_E10value_typeET2_T3_PNSM_ISR_E10value_typeET4_jRbjT5_SX_jjP12ihipStream_tbEUlT_E0_NS1_11comp_targetILNS1_3genE0ELNS1_11target_archE4294967295ELNS1_3gpuE0ELNS1_3repE0EEENS1_60segmented_radix_sort_warp_sort_medium_config_static_selectorELNS0_4arch9wavefront6targetE0EEEvSL_ ; -- Begin function _ZN7rocprim17ROCPRIM_400000_NS6detail17trampoline_kernelINS0_14default_configENS1_36segmented_radix_sort_config_selectorI12hip_bfloat16lEEZNS1_25segmented_radix_sort_implIS3_Lb0EPKS5_PS5_PKlPlN2at6native12_GLOBAL__N_18offset_tEEE10hipError_tPvRmT1_PNSt15iterator_traitsISL_E10value_typeET2_T3_PNSM_ISR_E10value_typeET4_jRbjT5_SX_jjP12ihipStream_tbEUlT_E0_NS1_11comp_targetILNS1_3genE0ELNS1_11target_archE4294967295ELNS1_3gpuE0ELNS1_3repE0EEENS1_60segmented_radix_sort_warp_sort_medium_config_static_selectorELNS0_4arch9wavefront6targetE0EEEvSL_
	.p2align	8
	.type	_ZN7rocprim17ROCPRIM_400000_NS6detail17trampoline_kernelINS0_14default_configENS1_36segmented_radix_sort_config_selectorI12hip_bfloat16lEEZNS1_25segmented_radix_sort_implIS3_Lb0EPKS5_PS5_PKlPlN2at6native12_GLOBAL__N_18offset_tEEE10hipError_tPvRmT1_PNSt15iterator_traitsISL_E10value_typeET2_T3_PNSM_ISR_E10value_typeET4_jRbjT5_SX_jjP12ihipStream_tbEUlT_E0_NS1_11comp_targetILNS1_3genE0ELNS1_11target_archE4294967295ELNS1_3gpuE0ELNS1_3repE0EEENS1_60segmented_radix_sort_warp_sort_medium_config_static_selectorELNS0_4arch9wavefront6targetE0EEEvSL_,@function
_ZN7rocprim17ROCPRIM_400000_NS6detail17trampoline_kernelINS0_14default_configENS1_36segmented_radix_sort_config_selectorI12hip_bfloat16lEEZNS1_25segmented_radix_sort_implIS3_Lb0EPKS5_PS5_PKlPlN2at6native12_GLOBAL__N_18offset_tEEE10hipError_tPvRmT1_PNSt15iterator_traitsISL_E10value_typeET2_T3_PNSM_ISR_E10value_typeET4_jRbjT5_SX_jjP12ihipStream_tbEUlT_E0_NS1_11comp_targetILNS1_3genE0ELNS1_11target_archE4294967295ELNS1_3gpuE0ELNS1_3repE0EEENS1_60segmented_radix_sort_warp_sort_medium_config_static_selectorELNS0_4arch9wavefront6targetE0EEEvSL_: ; @_ZN7rocprim17ROCPRIM_400000_NS6detail17trampoline_kernelINS0_14default_configENS1_36segmented_radix_sort_config_selectorI12hip_bfloat16lEEZNS1_25segmented_radix_sort_implIS3_Lb0EPKS5_PS5_PKlPlN2at6native12_GLOBAL__N_18offset_tEEE10hipError_tPvRmT1_PNSt15iterator_traitsISL_E10value_typeET2_T3_PNSM_ISR_E10value_typeET4_jRbjT5_SX_jjP12ihipStream_tbEUlT_E0_NS1_11comp_targetILNS1_3genE0ELNS1_11target_archE4294967295ELNS1_3gpuE0ELNS1_3repE0EEENS1_60segmented_radix_sort_warp_sort_medium_config_static_selectorELNS0_4arch9wavefront6targetE0EEEvSL_
; %bb.0:
	s_load_b32 s4, s[2:3], 0x64
	v_bfe_u32 v1, v0, 10, 10
	v_bfe_u32 v2, v0, 20, 10
	v_and_b32_e32 v3, 0x3ff, v0
	s_and_b32 s6, ttmp6, 15
	s_getreg_b32 s7, hwreg(HW_REG_IB_STS2, 6, 4)
	s_mov_b32 s32, 0
	s_wait_kmcnt 0x0
	s_lshr_b32 s5, s4, 16
	s_and_b32 s4, s4, 0xffff
	v_mad_u32_u24 v1, v2, s5, v1
	s_bfe_u32 s5, ttmp6, 0x4000c
	s_delay_alu instid0(SALU_CYCLE_1) | instskip(NEXT) | instid1(SALU_CYCLE_1)
	s_add_co_i32 s5, s5, 1
	s_mul_i32 s5, ttmp9, s5
	s_delay_alu instid0(VALU_DEP_1) | instskip(SKIP_4) | instid1(VALU_DEP_1)
	v_mad_u32 v1, v1, s4, v3
	s_load_b32 s4, s[2:3], 0x34
	s_add_co_i32 s6, s6, s5
	s_cmp_eq_u32 s7, 0
	s_cselect_b32 s5, ttmp9, s6
	v_lshrrev_b32_e32 v1, 4, v1
	s_delay_alu instid0(VALU_DEP_1) | instskip(SKIP_1) | instid1(VALU_DEP_1)
	v_lshl_add_u32 v1, s5, 4, v1
	s_wait_kmcnt 0x0
	v_cmp_gt_u32_e32 vcc_lo, s4, v1
	s_and_saveexec_b32 s4, vcc_lo
	s_cbranch_execz .LBB2050_6
; %bb.1:
	s_clause 0x1
	s_load_b64 s[8:9], s[2:3], 0x38
	s_load_b128 s[4:7], s[2:3], 0x40
	s_wait_kmcnt 0x0
	global_load_b32 v1, v1, s[8:9] scale_offset
	s_wait_loadcnt 0x0
	v_dual_add_nc_u32 v2, s5, v1 :: v_dual_add_nc_u32 v1, s7, v1
	s_delay_alu instid0(VALU_DEP_1) | instskip(NEXT) | instid1(VALU_DEP_2)
	v_mul_lo_u32 v8, v2, s4
	v_mul_lo_u32 v40, v1, s6
	s_delay_alu instid0(VALU_DEP_1)
	v_cmp_gt_u32_e32 vcc_lo, v40, v8
	s_and_b32 exec_lo, exec_lo, vcc_lo
	s_cbranch_execz .LBB2050_6
; %bb.2:
	s_clause 0x2
	s_load_b32 s4, s[2:3], 0x30
	s_load_b128 s[24:27], s[2:3], 0x20
	s_load_b256 s[36:43], s[2:3], 0x0
	s_add_nc_u64 s[20:21], s[2:3], 0x58
	s_get_pc_i64 s[22:23]
	s_add_nc_u64 s[22:23], s[22:23], _ZN7rocprim17ROCPRIM_400000_NS6detail26segmented_warp_sort_helperINS1_20WarpSortHelperConfigILj16ELj8ELj256EEE12hip_bfloat16lLi256ELb0EvE4sortIPKS5_PS5_PKlPlEEvT_T0_T1_T2_jjjjRNS6_12storage_typeE@rel64+4
	s_wait_kmcnt 0x0
	s_bitcmp0_b32 s4, 0
	s_mov_b32 s4, -1
	s_cbranch_scc0 .LBB2050_4
; %bb.3:
	v_dual_mov_b32 v31, v0 :: v_dual_mov_b32 v41, v0
	v_dual_mov_b32 v0, s36 :: v_dual_mov_b32 v1, s37
	;; [unrolled: 1-line block ×5, first 2 shown]
	v_mov_b32_e32 v9, v40
	s_mov_b64 s[6:7], s[0:1]
	s_mov_b64 s[8:9], s[20:21]
	;; [unrolled: 1-line block ×3, first 2 shown]
	s_swap_pc_i64 s[30:31], s[22:23]
	v_mov_b32_e32 v0, v41
	s_mov_b64 s[0:1], s[24:25]
	s_mov_b32 s4, 0
.LBB2050_4:
	s_delay_alu instid0(SALU_CYCLE_1)
	s_and_not1_b32 vcc_lo, exec_lo, s4
	s_cbranch_vccnz .LBB2050_6
; %bb.5:
	v_dual_mov_b32 v31, v0 :: v_dual_mov_b32 v0, s36
	v_dual_mov_b32 v1, s37 :: v_dual_mov_b32 v2, s40
	;; [unrolled: 1-line block ×5, first 2 shown]
	s_mov_b64 s[6:7], s[0:1]
	s_mov_b64 s[8:9], s[20:21]
	s_swap_pc_i64 s[30:31], s[22:23]
.LBB2050_6:
	s_endpgm
	.section	.rodata,"a",@progbits
	.p2align	6, 0x0
	.amdhsa_kernel _ZN7rocprim17ROCPRIM_400000_NS6detail17trampoline_kernelINS0_14default_configENS1_36segmented_radix_sort_config_selectorI12hip_bfloat16lEEZNS1_25segmented_radix_sort_implIS3_Lb0EPKS5_PS5_PKlPlN2at6native12_GLOBAL__N_18offset_tEEE10hipError_tPvRmT1_PNSt15iterator_traitsISL_E10value_typeET2_T3_PNSM_ISR_E10value_typeET4_jRbjT5_SX_jjP12ihipStream_tbEUlT_E0_NS1_11comp_targetILNS1_3genE0ELNS1_11target_archE4294967295ELNS1_3gpuE0ELNS1_3repE0EEENS1_60segmented_radix_sort_warp_sort_medium_config_static_selectorELNS0_4arch9wavefront6targetE0EEEvSL_
		.amdhsa_group_segment_fixed_size 20480
		.amdhsa_private_segment_fixed_size 0
		.amdhsa_kernarg_size 344
		.amdhsa_user_sgpr_count 4
		.amdhsa_user_sgpr_dispatch_ptr 0
		.amdhsa_user_sgpr_queue_ptr 1
		.amdhsa_user_sgpr_kernarg_segment_ptr 1
		.amdhsa_user_sgpr_dispatch_id 0
		.amdhsa_user_sgpr_kernarg_preload_length 0
		.amdhsa_user_sgpr_kernarg_preload_offset 0
		.amdhsa_user_sgpr_private_segment_size 0
		.amdhsa_wavefront_size32 1
		.amdhsa_uses_dynamic_stack 0
		.amdhsa_enable_private_segment 0
		.amdhsa_system_sgpr_workgroup_id_x 1
		.amdhsa_system_sgpr_workgroup_id_y 1
		.amdhsa_system_sgpr_workgroup_id_z 0
		.amdhsa_system_sgpr_workgroup_info 0
		.amdhsa_system_vgpr_workitem_id 2
		.amdhsa_next_free_vgpr 71
		.amdhsa_next_free_sgpr 44
		.amdhsa_named_barrier_count 0
		.amdhsa_reserve_vcc 1
		.amdhsa_float_round_mode_32 0
		.amdhsa_float_round_mode_16_64 0
		.amdhsa_float_denorm_mode_32 3
		.amdhsa_float_denorm_mode_16_64 3
		.amdhsa_fp16_overflow 0
		.amdhsa_memory_ordered 1
		.amdhsa_forward_progress 1
		.amdhsa_inst_pref_size 4
		.amdhsa_round_robin_scheduling 0
		.amdhsa_exception_fp_ieee_invalid_op 0
		.amdhsa_exception_fp_denorm_src 0
		.amdhsa_exception_fp_ieee_div_zero 0
		.amdhsa_exception_fp_ieee_overflow 0
		.amdhsa_exception_fp_ieee_underflow 0
		.amdhsa_exception_fp_ieee_inexact 0
		.amdhsa_exception_int_div_zero 0
	.end_amdhsa_kernel
	.section	.text._ZN7rocprim17ROCPRIM_400000_NS6detail17trampoline_kernelINS0_14default_configENS1_36segmented_radix_sort_config_selectorI12hip_bfloat16lEEZNS1_25segmented_radix_sort_implIS3_Lb0EPKS5_PS5_PKlPlN2at6native12_GLOBAL__N_18offset_tEEE10hipError_tPvRmT1_PNSt15iterator_traitsISL_E10value_typeET2_T3_PNSM_ISR_E10value_typeET4_jRbjT5_SX_jjP12ihipStream_tbEUlT_E0_NS1_11comp_targetILNS1_3genE0ELNS1_11target_archE4294967295ELNS1_3gpuE0ELNS1_3repE0EEENS1_60segmented_radix_sort_warp_sort_medium_config_static_selectorELNS0_4arch9wavefront6targetE0EEEvSL_,"axG",@progbits,_ZN7rocprim17ROCPRIM_400000_NS6detail17trampoline_kernelINS0_14default_configENS1_36segmented_radix_sort_config_selectorI12hip_bfloat16lEEZNS1_25segmented_radix_sort_implIS3_Lb0EPKS5_PS5_PKlPlN2at6native12_GLOBAL__N_18offset_tEEE10hipError_tPvRmT1_PNSt15iterator_traitsISL_E10value_typeET2_T3_PNSM_ISR_E10value_typeET4_jRbjT5_SX_jjP12ihipStream_tbEUlT_E0_NS1_11comp_targetILNS1_3genE0ELNS1_11target_archE4294967295ELNS1_3gpuE0ELNS1_3repE0EEENS1_60segmented_radix_sort_warp_sort_medium_config_static_selectorELNS0_4arch9wavefront6targetE0EEEvSL_,comdat
.Lfunc_end2050:
	.size	_ZN7rocprim17ROCPRIM_400000_NS6detail17trampoline_kernelINS0_14default_configENS1_36segmented_radix_sort_config_selectorI12hip_bfloat16lEEZNS1_25segmented_radix_sort_implIS3_Lb0EPKS5_PS5_PKlPlN2at6native12_GLOBAL__N_18offset_tEEE10hipError_tPvRmT1_PNSt15iterator_traitsISL_E10value_typeET2_T3_PNSM_ISR_E10value_typeET4_jRbjT5_SX_jjP12ihipStream_tbEUlT_E0_NS1_11comp_targetILNS1_3genE0ELNS1_11target_archE4294967295ELNS1_3gpuE0ELNS1_3repE0EEENS1_60segmented_radix_sort_warp_sort_medium_config_static_selectorELNS0_4arch9wavefront6targetE0EEEvSL_, .Lfunc_end2050-_ZN7rocprim17ROCPRIM_400000_NS6detail17trampoline_kernelINS0_14default_configENS1_36segmented_radix_sort_config_selectorI12hip_bfloat16lEEZNS1_25segmented_radix_sort_implIS3_Lb0EPKS5_PS5_PKlPlN2at6native12_GLOBAL__N_18offset_tEEE10hipError_tPvRmT1_PNSt15iterator_traitsISL_E10value_typeET2_T3_PNSM_ISR_E10value_typeET4_jRbjT5_SX_jjP12ihipStream_tbEUlT_E0_NS1_11comp_targetILNS1_3genE0ELNS1_11target_archE4294967295ELNS1_3gpuE0ELNS1_3repE0EEENS1_60segmented_radix_sort_warp_sort_medium_config_static_selectorELNS0_4arch9wavefront6targetE0EEEvSL_
                                        ; -- End function
	.set _ZN7rocprim17ROCPRIM_400000_NS6detail17trampoline_kernelINS0_14default_configENS1_36segmented_radix_sort_config_selectorI12hip_bfloat16lEEZNS1_25segmented_radix_sort_implIS3_Lb0EPKS5_PS5_PKlPlN2at6native12_GLOBAL__N_18offset_tEEE10hipError_tPvRmT1_PNSt15iterator_traitsISL_E10value_typeET2_T3_PNSM_ISR_E10value_typeET4_jRbjT5_SX_jjP12ihipStream_tbEUlT_E0_NS1_11comp_targetILNS1_3genE0ELNS1_11target_archE4294967295ELNS1_3gpuE0ELNS1_3repE0EEENS1_60segmented_radix_sort_warp_sort_medium_config_static_selectorELNS0_4arch9wavefront6targetE0EEEvSL_.num_vgpr, max(42, .L_ZN7rocprim17ROCPRIM_400000_NS6detail26segmented_warp_sort_helperINS1_20WarpSortHelperConfigILj16ELj8ELj256EEE12hip_bfloat16lLi256ELb0EvE4sortIPKS5_PS5_PKlPlEEvT_T0_T1_T2_jjjjRNS6_12storage_typeE.num_vgpr)
	.set _ZN7rocprim17ROCPRIM_400000_NS6detail17trampoline_kernelINS0_14default_configENS1_36segmented_radix_sort_config_selectorI12hip_bfloat16lEEZNS1_25segmented_radix_sort_implIS3_Lb0EPKS5_PS5_PKlPlN2at6native12_GLOBAL__N_18offset_tEEE10hipError_tPvRmT1_PNSt15iterator_traitsISL_E10value_typeET2_T3_PNSM_ISR_E10value_typeET4_jRbjT5_SX_jjP12ihipStream_tbEUlT_E0_NS1_11comp_targetILNS1_3genE0ELNS1_11target_archE4294967295ELNS1_3gpuE0ELNS1_3repE0EEENS1_60segmented_radix_sort_warp_sort_medium_config_static_selectorELNS0_4arch9wavefront6targetE0EEEvSL_.num_agpr, max(0, .L_ZN7rocprim17ROCPRIM_400000_NS6detail26segmented_warp_sort_helperINS1_20WarpSortHelperConfigILj16ELj8ELj256EEE12hip_bfloat16lLi256ELb0EvE4sortIPKS5_PS5_PKlPlEEvT_T0_T1_T2_jjjjRNS6_12storage_typeE.num_agpr)
	.set _ZN7rocprim17ROCPRIM_400000_NS6detail17trampoline_kernelINS0_14default_configENS1_36segmented_radix_sort_config_selectorI12hip_bfloat16lEEZNS1_25segmented_radix_sort_implIS3_Lb0EPKS5_PS5_PKlPlN2at6native12_GLOBAL__N_18offset_tEEE10hipError_tPvRmT1_PNSt15iterator_traitsISL_E10value_typeET2_T3_PNSM_ISR_E10value_typeET4_jRbjT5_SX_jjP12ihipStream_tbEUlT_E0_NS1_11comp_targetILNS1_3genE0ELNS1_11target_archE4294967295ELNS1_3gpuE0ELNS1_3repE0EEENS1_60segmented_radix_sort_warp_sort_medium_config_static_selectorELNS0_4arch9wavefront6targetE0EEEvSL_.numbered_sgpr, max(44, .L_ZN7rocprim17ROCPRIM_400000_NS6detail26segmented_warp_sort_helperINS1_20WarpSortHelperConfigILj16ELj8ELj256EEE12hip_bfloat16lLi256ELb0EvE4sortIPKS5_PS5_PKlPlEEvT_T0_T1_T2_jjjjRNS6_12storage_typeE.numbered_sgpr)
	.set _ZN7rocprim17ROCPRIM_400000_NS6detail17trampoline_kernelINS0_14default_configENS1_36segmented_radix_sort_config_selectorI12hip_bfloat16lEEZNS1_25segmented_radix_sort_implIS3_Lb0EPKS5_PS5_PKlPlN2at6native12_GLOBAL__N_18offset_tEEE10hipError_tPvRmT1_PNSt15iterator_traitsISL_E10value_typeET2_T3_PNSM_ISR_E10value_typeET4_jRbjT5_SX_jjP12ihipStream_tbEUlT_E0_NS1_11comp_targetILNS1_3genE0ELNS1_11target_archE4294967295ELNS1_3gpuE0ELNS1_3repE0EEENS1_60segmented_radix_sort_warp_sort_medium_config_static_selectorELNS0_4arch9wavefront6targetE0EEEvSL_.num_named_barrier, max(0, .L_ZN7rocprim17ROCPRIM_400000_NS6detail26segmented_warp_sort_helperINS1_20WarpSortHelperConfigILj16ELj8ELj256EEE12hip_bfloat16lLi256ELb0EvE4sortIPKS5_PS5_PKlPlEEvT_T0_T1_T2_jjjjRNS6_12storage_typeE.num_named_barrier)
	.set _ZN7rocprim17ROCPRIM_400000_NS6detail17trampoline_kernelINS0_14default_configENS1_36segmented_radix_sort_config_selectorI12hip_bfloat16lEEZNS1_25segmented_radix_sort_implIS3_Lb0EPKS5_PS5_PKlPlN2at6native12_GLOBAL__N_18offset_tEEE10hipError_tPvRmT1_PNSt15iterator_traitsISL_E10value_typeET2_T3_PNSM_ISR_E10value_typeET4_jRbjT5_SX_jjP12ihipStream_tbEUlT_E0_NS1_11comp_targetILNS1_3genE0ELNS1_11target_archE4294967295ELNS1_3gpuE0ELNS1_3repE0EEENS1_60segmented_radix_sort_warp_sort_medium_config_static_selectorELNS0_4arch9wavefront6targetE0EEEvSL_.private_seg_size, 0+max(.L_ZN7rocprim17ROCPRIM_400000_NS6detail26segmented_warp_sort_helperINS1_20WarpSortHelperConfigILj16ELj8ELj256EEE12hip_bfloat16lLi256ELb0EvE4sortIPKS5_PS5_PKlPlEEvT_T0_T1_T2_jjjjRNS6_12storage_typeE.private_seg_size)
	.set _ZN7rocprim17ROCPRIM_400000_NS6detail17trampoline_kernelINS0_14default_configENS1_36segmented_radix_sort_config_selectorI12hip_bfloat16lEEZNS1_25segmented_radix_sort_implIS3_Lb0EPKS5_PS5_PKlPlN2at6native12_GLOBAL__N_18offset_tEEE10hipError_tPvRmT1_PNSt15iterator_traitsISL_E10value_typeET2_T3_PNSM_ISR_E10value_typeET4_jRbjT5_SX_jjP12ihipStream_tbEUlT_E0_NS1_11comp_targetILNS1_3genE0ELNS1_11target_archE4294967295ELNS1_3gpuE0ELNS1_3repE0EEENS1_60segmented_radix_sort_warp_sort_medium_config_static_selectorELNS0_4arch9wavefront6targetE0EEEvSL_.uses_vcc, or(1, .L_ZN7rocprim17ROCPRIM_400000_NS6detail26segmented_warp_sort_helperINS1_20WarpSortHelperConfigILj16ELj8ELj256EEE12hip_bfloat16lLi256ELb0EvE4sortIPKS5_PS5_PKlPlEEvT_T0_T1_T2_jjjjRNS6_12storage_typeE.uses_vcc)
	.set _ZN7rocprim17ROCPRIM_400000_NS6detail17trampoline_kernelINS0_14default_configENS1_36segmented_radix_sort_config_selectorI12hip_bfloat16lEEZNS1_25segmented_radix_sort_implIS3_Lb0EPKS5_PS5_PKlPlN2at6native12_GLOBAL__N_18offset_tEEE10hipError_tPvRmT1_PNSt15iterator_traitsISL_E10value_typeET2_T3_PNSM_ISR_E10value_typeET4_jRbjT5_SX_jjP12ihipStream_tbEUlT_E0_NS1_11comp_targetILNS1_3genE0ELNS1_11target_archE4294967295ELNS1_3gpuE0ELNS1_3repE0EEENS1_60segmented_radix_sort_warp_sort_medium_config_static_selectorELNS0_4arch9wavefront6targetE0EEEvSL_.uses_flat_scratch, or(0, .L_ZN7rocprim17ROCPRIM_400000_NS6detail26segmented_warp_sort_helperINS1_20WarpSortHelperConfigILj16ELj8ELj256EEE12hip_bfloat16lLi256ELb0EvE4sortIPKS5_PS5_PKlPlEEvT_T0_T1_T2_jjjjRNS6_12storage_typeE.uses_flat_scratch)
	.set _ZN7rocprim17ROCPRIM_400000_NS6detail17trampoline_kernelINS0_14default_configENS1_36segmented_radix_sort_config_selectorI12hip_bfloat16lEEZNS1_25segmented_radix_sort_implIS3_Lb0EPKS5_PS5_PKlPlN2at6native12_GLOBAL__N_18offset_tEEE10hipError_tPvRmT1_PNSt15iterator_traitsISL_E10value_typeET2_T3_PNSM_ISR_E10value_typeET4_jRbjT5_SX_jjP12ihipStream_tbEUlT_E0_NS1_11comp_targetILNS1_3genE0ELNS1_11target_archE4294967295ELNS1_3gpuE0ELNS1_3repE0EEENS1_60segmented_radix_sort_warp_sort_medium_config_static_selectorELNS0_4arch9wavefront6targetE0EEEvSL_.has_dyn_sized_stack, or(0, .L_ZN7rocprim17ROCPRIM_400000_NS6detail26segmented_warp_sort_helperINS1_20WarpSortHelperConfigILj16ELj8ELj256EEE12hip_bfloat16lLi256ELb0EvE4sortIPKS5_PS5_PKlPlEEvT_T0_T1_T2_jjjjRNS6_12storage_typeE.has_dyn_sized_stack)
	.set _ZN7rocprim17ROCPRIM_400000_NS6detail17trampoline_kernelINS0_14default_configENS1_36segmented_radix_sort_config_selectorI12hip_bfloat16lEEZNS1_25segmented_radix_sort_implIS3_Lb0EPKS5_PS5_PKlPlN2at6native12_GLOBAL__N_18offset_tEEE10hipError_tPvRmT1_PNSt15iterator_traitsISL_E10value_typeET2_T3_PNSM_ISR_E10value_typeET4_jRbjT5_SX_jjP12ihipStream_tbEUlT_E0_NS1_11comp_targetILNS1_3genE0ELNS1_11target_archE4294967295ELNS1_3gpuE0ELNS1_3repE0EEENS1_60segmented_radix_sort_warp_sort_medium_config_static_selectorELNS0_4arch9wavefront6targetE0EEEvSL_.has_recursion, or(0, .L_ZN7rocprim17ROCPRIM_400000_NS6detail26segmented_warp_sort_helperINS1_20WarpSortHelperConfigILj16ELj8ELj256EEE12hip_bfloat16lLi256ELb0EvE4sortIPKS5_PS5_PKlPlEEvT_T0_T1_T2_jjjjRNS6_12storage_typeE.has_recursion)
	.set _ZN7rocprim17ROCPRIM_400000_NS6detail17trampoline_kernelINS0_14default_configENS1_36segmented_radix_sort_config_selectorI12hip_bfloat16lEEZNS1_25segmented_radix_sort_implIS3_Lb0EPKS5_PS5_PKlPlN2at6native12_GLOBAL__N_18offset_tEEE10hipError_tPvRmT1_PNSt15iterator_traitsISL_E10value_typeET2_T3_PNSM_ISR_E10value_typeET4_jRbjT5_SX_jjP12ihipStream_tbEUlT_E0_NS1_11comp_targetILNS1_3genE0ELNS1_11target_archE4294967295ELNS1_3gpuE0ELNS1_3repE0EEENS1_60segmented_radix_sort_warp_sort_medium_config_static_selectorELNS0_4arch9wavefront6targetE0EEEvSL_.has_indirect_call, or(0, .L_ZN7rocprim17ROCPRIM_400000_NS6detail26segmented_warp_sort_helperINS1_20WarpSortHelperConfigILj16ELj8ELj256EEE12hip_bfloat16lLi256ELb0EvE4sortIPKS5_PS5_PKlPlEEvT_T0_T1_T2_jjjjRNS6_12storage_typeE.has_indirect_call)
	.section	.AMDGPU.csdata,"",@progbits
; Kernel info:
; codeLenInByte = 456
; TotalNumSgprs: 46
; NumVgprs: 71
; ScratchSize: 0
; MemoryBound: 0
; FloatMode: 240
; IeeeMode: 1
; LDSByteSize: 20480 bytes/workgroup (compile time only)
; SGPRBlocks: 0
; VGPRBlocks: 4
; NumSGPRsForWavesPerEU: 46
; NumVGPRsForWavesPerEU: 71
; NamedBarCnt: 0
; Occupancy: 12
; WaveLimiterHint : 0
; COMPUTE_PGM_RSRC2:SCRATCH_EN: 0
; COMPUTE_PGM_RSRC2:USER_SGPR: 4
; COMPUTE_PGM_RSRC2:TRAP_HANDLER: 0
; COMPUTE_PGM_RSRC2:TGID_X_EN: 1
; COMPUTE_PGM_RSRC2:TGID_Y_EN: 1
; COMPUTE_PGM_RSRC2:TGID_Z_EN: 0
; COMPUTE_PGM_RSRC2:TIDIG_COMP_CNT: 2
	.section	.text._ZN7rocprim17ROCPRIM_400000_NS6detail17trampoline_kernelINS0_14default_configENS1_36segmented_radix_sort_config_selectorI12hip_bfloat16lEEZNS1_25segmented_radix_sort_implIS3_Lb0EPKS5_PS5_PKlPlN2at6native12_GLOBAL__N_18offset_tEEE10hipError_tPvRmT1_PNSt15iterator_traitsISL_E10value_typeET2_T3_PNSM_ISR_E10value_typeET4_jRbjT5_SX_jjP12ihipStream_tbEUlT_E0_NS1_11comp_targetILNS1_3genE5ELNS1_11target_archE942ELNS1_3gpuE9ELNS1_3repE0EEENS1_60segmented_radix_sort_warp_sort_medium_config_static_selectorELNS0_4arch9wavefront6targetE0EEEvSL_,"axG",@progbits,_ZN7rocprim17ROCPRIM_400000_NS6detail17trampoline_kernelINS0_14default_configENS1_36segmented_radix_sort_config_selectorI12hip_bfloat16lEEZNS1_25segmented_radix_sort_implIS3_Lb0EPKS5_PS5_PKlPlN2at6native12_GLOBAL__N_18offset_tEEE10hipError_tPvRmT1_PNSt15iterator_traitsISL_E10value_typeET2_T3_PNSM_ISR_E10value_typeET4_jRbjT5_SX_jjP12ihipStream_tbEUlT_E0_NS1_11comp_targetILNS1_3genE5ELNS1_11target_archE942ELNS1_3gpuE9ELNS1_3repE0EEENS1_60segmented_radix_sort_warp_sort_medium_config_static_selectorELNS0_4arch9wavefront6targetE0EEEvSL_,comdat
	.globl	_ZN7rocprim17ROCPRIM_400000_NS6detail17trampoline_kernelINS0_14default_configENS1_36segmented_radix_sort_config_selectorI12hip_bfloat16lEEZNS1_25segmented_radix_sort_implIS3_Lb0EPKS5_PS5_PKlPlN2at6native12_GLOBAL__N_18offset_tEEE10hipError_tPvRmT1_PNSt15iterator_traitsISL_E10value_typeET2_T3_PNSM_ISR_E10value_typeET4_jRbjT5_SX_jjP12ihipStream_tbEUlT_E0_NS1_11comp_targetILNS1_3genE5ELNS1_11target_archE942ELNS1_3gpuE9ELNS1_3repE0EEENS1_60segmented_radix_sort_warp_sort_medium_config_static_selectorELNS0_4arch9wavefront6targetE0EEEvSL_ ; -- Begin function _ZN7rocprim17ROCPRIM_400000_NS6detail17trampoline_kernelINS0_14default_configENS1_36segmented_radix_sort_config_selectorI12hip_bfloat16lEEZNS1_25segmented_radix_sort_implIS3_Lb0EPKS5_PS5_PKlPlN2at6native12_GLOBAL__N_18offset_tEEE10hipError_tPvRmT1_PNSt15iterator_traitsISL_E10value_typeET2_T3_PNSM_ISR_E10value_typeET4_jRbjT5_SX_jjP12ihipStream_tbEUlT_E0_NS1_11comp_targetILNS1_3genE5ELNS1_11target_archE942ELNS1_3gpuE9ELNS1_3repE0EEENS1_60segmented_radix_sort_warp_sort_medium_config_static_selectorELNS0_4arch9wavefront6targetE0EEEvSL_
	.p2align	8
	.type	_ZN7rocprim17ROCPRIM_400000_NS6detail17trampoline_kernelINS0_14default_configENS1_36segmented_radix_sort_config_selectorI12hip_bfloat16lEEZNS1_25segmented_radix_sort_implIS3_Lb0EPKS5_PS5_PKlPlN2at6native12_GLOBAL__N_18offset_tEEE10hipError_tPvRmT1_PNSt15iterator_traitsISL_E10value_typeET2_T3_PNSM_ISR_E10value_typeET4_jRbjT5_SX_jjP12ihipStream_tbEUlT_E0_NS1_11comp_targetILNS1_3genE5ELNS1_11target_archE942ELNS1_3gpuE9ELNS1_3repE0EEENS1_60segmented_radix_sort_warp_sort_medium_config_static_selectorELNS0_4arch9wavefront6targetE0EEEvSL_,@function
_ZN7rocprim17ROCPRIM_400000_NS6detail17trampoline_kernelINS0_14default_configENS1_36segmented_radix_sort_config_selectorI12hip_bfloat16lEEZNS1_25segmented_radix_sort_implIS3_Lb0EPKS5_PS5_PKlPlN2at6native12_GLOBAL__N_18offset_tEEE10hipError_tPvRmT1_PNSt15iterator_traitsISL_E10value_typeET2_T3_PNSM_ISR_E10value_typeET4_jRbjT5_SX_jjP12ihipStream_tbEUlT_E0_NS1_11comp_targetILNS1_3genE5ELNS1_11target_archE942ELNS1_3gpuE9ELNS1_3repE0EEENS1_60segmented_radix_sort_warp_sort_medium_config_static_selectorELNS0_4arch9wavefront6targetE0EEEvSL_: ; @_ZN7rocprim17ROCPRIM_400000_NS6detail17trampoline_kernelINS0_14default_configENS1_36segmented_radix_sort_config_selectorI12hip_bfloat16lEEZNS1_25segmented_radix_sort_implIS3_Lb0EPKS5_PS5_PKlPlN2at6native12_GLOBAL__N_18offset_tEEE10hipError_tPvRmT1_PNSt15iterator_traitsISL_E10value_typeET2_T3_PNSM_ISR_E10value_typeET4_jRbjT5_SX_jjP12ihipStream_tbEUlT_E0_NS1_11comp_targetILNS1_3genE5ELNS1_11target_archE942ELNS1_3gpuE9ELNS1_3repE0EEENS1_60segmented_radix_sort_warp_sort_medium_config_static_selectorELNS0_4arch9wavefront6targetE0EEEvSL_
; %bb.0:
	.section	.rodata,"a",@progbits
	.p2align	6, 0x0
	.amdhsa_kernel _ZN7rocprim17ROCPRIM_400000_NS6detail17trampoline_kernelINS0_14default_configENS1_36segmented_radix_sort_config_selectorI12hip_bfloat16lEEZNS1_25segmented_radix_sort_implIS3_Lb0EPKS5_PS5_PKlPlN2at6native12_GLOBAL__N_18offset_tEEE10hipError_tPvRmT1_PNSt15iterator_traitsISL_E10value_typeET2_T3_PNSM_ISR_E10value_typeET4_jRbjT5_SX_jjP12ihipStream_tbEUlT_E0_NS1_11comp_targetILNS1_3genE5ELNS1_11target_archE942ELNS1_3gpuE9ELNS1_3repE0EEENS1_60segmented_radix_sort_warp_sort_medium_config_static_selectorELNS0_4arch9wavefront6targetE0EEEvSL_
		.amdhsa_group_segment_fixed_size 0
		.amdhsa_private_segment_fixed_size 0
		.amdhsa_kernarg_size 88
		.amdhsa_user_sgpr_count 2
		.amdhsa_user_sgpr_dispatch_ptr 0
		.amdhsa_user_sgpr_queue_ptr 0
		.amdhsa_user_sgpr_kernarg_segment_ptr 1
		.amdhsa_user_sgpr_dispatch_id 0
		.amdhsa_user_sgpr_kernarg_preload_length 0
		.amdhsa_user_sgpr_kernarg_preload_offset 0
		.amdhsa_user_sgpr_private_segment_size 0
		.amdhsa_wavefront_size32 1
		.amdhsa_uses_dynamic_stack 0
		.amdhsa_enable_private_segment 0
		.amdhsa_system_sgpr_workgroup_id_x 1
		.amdhsa_system_sgpr_workgroup_id_y 0
		.amdhsa_system_sgpr_workgroup_id_z 0
		.amdhsa_system_sgpr_workgroup_info 0
		.amdhsa_system_vgpr_workitem_id 0
		.amdhsa_next_free_vgpr 1
		.amdhsa_next_free_sgpr 1
		.amdhsa_named_barrier_count 0
		.amdhsa_reserve_vcc 0
		.amdhsa_float_round_mode_32 0
		.amdhsa_float_round_mode_16_64 0
		.amdhsa_float_denorm_mode_32 3
		.amdhsa_float_denorm_mode_16_64 3
		.amdhsa_fp16_overflow 0
		.amdhsa_memory_ordered 1
		.amdhsa_forward_progress 1
		.amdhsa_inst_pref_size 0
		.amdhsa_round_robin_scheduling 0
		.amdhsa_exception_fp_ieee_invalid_op 0
		.amdhsa_exception_fp_denorm_src 0
		.amdhsa_exception_fp_ieee_div_zero 0
		.amdhsa_exception_fp_ieee_overflow 0
		.amdhsa_exception_fp_ieee_underflow 0
		.amdhsa_exception_fp_ieee_inexact 0
		.amdhsa_exception_int_div_zero 0
	.end_amdhsa_kernel
	.section	.text._ZN7rocprim17ROCPRIM_400000_NS6detail17trampoline_kernelINS0_14default_configENS1_36segmented_radix_sort_config_selectorI12hip_bfloat16lEEZNS1_25segmented_radix_sort_implIS3_Lb0EPKS5_PS5_PKlPlN2at6native12_GLOBAL__N_18offset_tEEE10hipError_tPvRmT1_PNSt15iterator_traitsISL_E10value_typeET2_T3_PNSM_ISR_E10value_typeET4_jRbjT5_SX_jjP12ihipStream_tbEUlT_E0_NS1_11comp_targetILNS1_3genE5ELNS1_11target_archE942ELNS1_3gpuE9ELNS1_3repE0EEENS1_60segmented_radix_sort_warp_sort_medium_config_static_selectorELNS0_4arch9wavefront6targetE0EEEvSL_,"axG",@progbits,_ZN7rocprim17ROCPRIM_400000_NS6detail17trampoline_kernelINS0_14default_configENS1_36segmented_radix_sort_config_selectorI12hip_bfloat16lEEZNS1_25segmented_radix_sort_implIS3_Lb0EPKS5_PS5_PKlPlN2at6native12_GLOBAL__N_18offset_tEEE10hipError_tPvRmT1_PNSt15iterator_traitsISL_E10value_typeET2_T3_PNSM_ISR_E10value_typeET4_jRbjT5_SX_jjP12ihipStream_tbEUlT_E0_NS1_11comp_targetILNS1_3genE5ELNS1_11target_archE942ELNS1_3gpuE9ELNS1_3repE0EEENS1_60segmented_radix_sort_warp_sort_medium_config_static_selectorELNS0_4arch9wavefront6targetE0EEEvSL_,comdat
.Lfunc_end2051:
	.size	_ZN7rocprim17ROCPRIM_400000_NS6detail17trampoline_kernelINS0_14default_configENS1_36segmented_radix_sort_config_selectorI12hip_bfloat16lEEZNS1_25segmented_radix_sort_implIS3_Lb0EPKS5_PS5_PKlPlN2at6native12_GLOBAL__N_18offset_tEEE10hipError_tPvRmT1_PNSt15iterator_traitsISL_E10value_typeET2_T3_PNSM_ISR_E10value_typeET4_jRbjT5_SX_jjP12ihipStream_tbEUlT_E0_NS1_11comp_targetILNS1_3genE5ELNS1_11target_archE942ELNS1_3gpuE9ELNS1_3repE0EEENS1_60segmented_radix_sort_warp_sort_medium_config_static_selectorELNS0_4arch9wavefront6targetE0EEEvSL_, .Lfunc_end2051-_ZN7rocprim17ROCPRIM_400000_NS6detail17trampoline_kernelINS0_14default_configENS1_36segmented_radix_sort_config_selectorI12hip_bfloat16lEEZNS1_25segmented_radix_sort_implIS3_Lb0EPKS5_PS5_PKlPlN2at6native12_GLOBAL__N_18offset_tEEE10hipError_tPvRmT1_PNSt15iterator_traitsISL_E10value_typeET2_T3_PNSM_ISR_E10value_typeET4_jRbjT5_SX_jjP12ihipStream_tbEUlT_E0_NS1_11comp_targetILNS1_3genE5ELNS1_11target_archE942ELNS1_3gpuE9ELNS1_3repE0EEENS1_60segmented_radix_sort_warp_sort_medium_config_static_selectorELNS0_4arch9wavefront6targetE0EEEvSL_
                                        ; -- End function
	.set _ZN7rocprim17ROCPRIM_400000_NS6detail17trampoline_kernelINS0_14default_configENS1_36segmented_radix_sort_config_selectorI12hip_bfloat16lEEZNS1_25segmented_radix_sort_implIS3_Lb0EPKS5_PS5_PKlPlN2at6native12_GLOBAL__N_18offset_tEEE10hipError_tPvRmT1_PNSt15iterator_traitsISL_E10value_typeET2_T3_PNSM_ISR_E10value_typeET4_jRbjT5_SX_jjP12ihipStream_tbEUlT_E0_NS1_11comp_targetILNS1_3genE5ELNS1_11target_archE942ELNS1_3gpuE9ELNS1_3repE0EEENS1_60segmented_radix_sort_warp_sort_medium_config_static_selectorELNS0_4arch9wavefront6targetE0EEEvSL_.num_vgpr, 0
	.set _ZN7rocprim17ROCPRIM_400000_NS6detail17trampoline_kernelINS0_14default_configENS1_36segmented_radix_sort_config_selectorI12hip_bfloat16lEEZNS1_25segmented_radix_sort_implIS3_Lb0EPKS5_PS5_PKlPlN2at6native12_GLOBAL__N_18offset_tEEE10hipError_tPvRmT1_PNSt15iterator_traitsISL_E10value_typeET2_T3_PNSM_ISR_E10value_typeET4_jRbjT5_SX_jjP12ihipStream_tbEUlT_E0_NS1_11comp_targetILNS1_3genE5ELNS1_11target_archE942ELNS1_3gpuE9ELNS1_3repE0EEENS1_60segmented_radix_sort_warp_sort_medium_config_static_selectorELNS0_4arch9wavefront6targetE0EEEvSL_.num_agpr, 0
	.set _ZN7rocprim17ROCPRIM_400000_NS6detail17trampoline_kernelINS0_14default_configENS1_36segmented_radix_sort_config_selectorI12hip_bfloat16lEEZNS1_25segmented_radix_sort_implIS3_Lb0EPKS5_PS5_PKlPlN2at6native12_GLOBAL__N_18offset_tEEE10hipError_tPvRmT1_PNSt15iterator_traitsISL_E10value_typeET2_T3_PNSM_ISR_E10value_typeET4_jRbjT5_SX_jjP12ihipStream_tbEUlT_E0_NS1_11comp_targetILNS1_3genE5ELNS1_11target_archE942ELNS1_3gpuE9ELNS1_3repE0EEENS1_60segmented_radix_sort_warp_sort_medium_config_static_selectorELNS0_4arch9wavefront6targetE0EEEvSL_.numbered_sgpr, 0
	.set _ZN7rocprim17ROCPRIM_400000_NS6detail17trampoline_kernelINS0_14default_configENS1_36segmented_radix_sort_config_selectorI12hip_bfloat16lEEZNS1_25segmented_radix_sort_implIS3_Lb0EPKS5_PS5_PKlPlN2at6native12_GLOBAL__N_18offset_tEEE10hipError_tPvRmT1_PNSt15iterator_traitsISL_E10value_typeET2_T3_PNSM_ISR_E10value_typeET4_jRbjT5_SX_jjP12ihipStream_tbEUlT_E0_NS1_11comp_targetILNS1_3genE5ELNS1_11target_archE942ELNS1_3gpuE9ELNS1_3repE0EEENS1_60segmented_radix_sort_warp_sort_medium_config_static_selectorELNS0_4arch9wavefront6targetE0EEEvSL_.num_named_barrier, 0
	.set _ZN7rocprim17ROCPRIM_400000_NS6detail17trampoline_kernelINS0_14default_configENS1_36segmented_radix_sort_config_selectorI12hip_bfloat16lEEZNS1_25segmented_radix_sort_implIS3_Lb0EPKS5_PS5_PKlPlN2at6native12_GLOBAL__N_18offset_tEEE10hipError_tPvRmT1_PNSt15iterator_traitsISL_E10value_typeET2_T3_PNSM_ISR_E10value_typeET4_jRbjT5_SX_jjP12ihipStream_tbEUlT_E0_NS1_11comp_targetILNS1_3genE5ELNS1_11target_archE942ELNS1_3gpuE9ELNS1_3repE0EEENS1_60segmented_radix_sort_warp_sort_medium_config_static_selectorELNS0_4arch9wavefront6targetE0EEEvSL_.private_seg_size, 0
	.set _ZN7rocprim17ROCPRIM_400000_NS6detail17trampoline_kernelINS0_14default_configENS1_36segmented_radix_sort_config_selectorI12hip_bfloat16lEEZNS1_25segmented_radix_sort_implIS3_Lb0EPKS5_PS5_PKlPlN2at6native12_GLOBAL__N_18offset_tEEE10hipError_tPvRmT1_PNSt15iterator_traitsISL_E10value_typeET2_T3_PNSM_ISR_E10value_typeET4_jRbjT5_SX_jjP12ihipStream_tbEUlT_E0_NS1_11comp_targetILNS1_3genE5ELNS1_11target_archE942ELNS1_3gpuE9ELNS1_3repE0EEENS1_60segmented_radix_sort_warp_sort_medium_config_static_selectorELNS0_4arch9wavefront6targetE0EEEvSL_.uses_vcc, 0
	.set _ZN7rocprim17ROCPRIM_400000_NS6detail17trampoline_kernelINS0_14default_configENS1_36segmented_radix_sort_config_selectorI12hip_bfloat16lEEZNS1_25segmented_radix_sort_implIS3_Lb0EPKS5_PS5_PKlPlN2at6native12_GLOBAL__N_18offset_tEEE10hipError_tPvRmT1_PNSt15iterator_traitsISL_E10value_typeET2_T3_PNSM_ISR_E10value_typeET4_jRbjT5_SX_jjP12ihipStream_tbEUlT_E0_NS1_11comp_targetILNS1_3genE5ELNS1_11target_archE942ELNS1_3gpuE9ELNS1_3repE0EEENS1_60segmented_radix_sort_warp_sort_medium_config_static_selectorELNS0_4arch9wavefront6targetE0EEEvSL_.uses_flat_scratch, 0
	.set _ZN7rocprim17ROCPRIM_400000_NS6detail17trampoline_kernelINS0_14default_configENS1_36segmented_radix_sort_config_selectorI12hip_bfloat16lEEZNS1_25segmented_radix_sort_implIS3_Lb0EPKS5_PS5_PKlPlN2at6native12_GLOBAL__N_18offset_tEEE10hipError_tPvRmT1_PNSt15iterator_traitsISL_E10value_typeET2_T3_PNSM_ISR_E10value_typeET4_jRbjT5_SX_jjP12ihipStream_tbEUlT_E0_NS1_11comp_targetILNS1_3genE5ELNS1_11target_archE942ELNS1_3gpuE9ELNS1_3repE0EEENS1_60segmented_radix_sort_warp_sort_medium_config_static_selectorELNS0_4arch9wavefront6targetE0EEEvSL_.has_dyn_sized_stack, 0
	.set _ZN7rocprim17ROCPRIM_400000_NS6detail17trampoline_kernelINS0_14default_configENS1_36segmented_radix_sort_config_selectorI12hip_bfloat16lEEZNS1_25segmented_radix_sort_implIS3_Lb0EPKS5_PS5_PKlPlN2at6native12_GLOBAL__N_18offset_tEEE10hipError_tPvRmT1_PNSt15iterator_traitsISL_E10value_typeET2_T3_PNSM_ISR_E10value_typeET4_jRbjT5_SX_jjP12ihipStream_tbEUlT_E0_NS1_11comp_targetILNS1_3genE5ELNS1_11target_archE942ELNS1_3gpuE9ELNS1_3repE0EEENS1_60segmented_radix_sort_warp_sort_medium_config_static_selectorELNS0_4arch9wavefront6targetE0EEEvSL_.has_recursion, 0
	.set _ZN7rocprim17ROCPRIM_400000_NS6detail17trampoline_kernelINS0_14default_configENS1_36segmented_radix_sort_config_selectorI12hip_bfloat16lEEZNS1_25segmented_radix_sort_implIS3_Lb0EPKS5_PS5_PKlPlN2at6native12_GLOBAL__N_18offset_tEEE10hipError_tPvRmT1_PNSt15iterator_traitsISL_E10value_typeET2_T3_PNSM_ISR_E10value_typeET4_jRbjT5_SX_jjP12ihipStream_tbEUlT_E0_NS1_11comp_targetILNS1_3genE5ELNS1_11target_archE942ELNS1_3gpuE9ELNS1_3repE0EEENS1_60segmented_radix_sort_warp_sort_medium_config_static_selectorELNS0_4arch9wavefront6targetE0EEEvSL_.has_indirect_call, 0
	.section	.AMDGPU.csdata,"",@progbits
; Kernel info:
; codeLenInByte = 0
; TotalNumSgprs: 0
; NumVgprs: 0
; ScratchSize: 0
; MemoryBound: 0
; FloatMode: 240
; IeeeMode: 1
; LDSByteSize: 0 bytes/workgroup (compile time only)
; SGPRBlocks: 0
; VGPRBlocks: 0
; NumSGPRsForWavesPerEU: 1
; NumVGPRsForWavesPerEU: 1
; NamedBarCnt: 0
; Occupancy: 16
; WaveLimiterHint : 0
; COMPUTE_PGM_RSRC2:SCRATCH_EN: 0
; COMPUTE_PGM_RSRC2:USER_SGPR: 2
; COMPUTE_PGM_RSRC2:TRAP_HANDLER: 0
; COMPUTE_PGM_RSRC2:TGID_X_EN: 1
; COMPUTE_PGM_RSRC2:TGID_Y_EN: 0
; COMPUTE_PGM_RSRC2:TGID_Z_EN: 0
; COMPUTE_PGM_RSRC2:TIDIG_COMP_CNT: 0
	.section	.text._ZN7rocprim17ROCPRIM_400000_NS6detail17trampoline_kernelINS0_14default_configENS1_36segmented_radix_sort_config_selectorI12hip_bfloat16lEEZNS1_25segmented_radix_sort_implIS3_Lb0EPKS5_PS5_PKlPlN2at6native12_GLOBAL__N_18offset_tEEE10hipError_tPvRmT1_PNSt15iterator_traitsISL_E10value_typeET2_T3_PNSM_ISR_E10value_typeET4_jRbjT5_SX_jjP12ihipStream_tbEUlT_E0_NS1_11comp_targetILNS1_3genE4ELNS1_11target_archE910ELNS1_3gpuE8ELNS1_3repE0EEENS1_60segmented_radix_sort_warp_sort_medium_config_static_selectorELNS0_4arch9wavefront6targetE0EEEvSL_,"axG",@progbits,_ZN7rocprim17ROCPRIM_400000_NS6detail17trampoline_kernelINS0_14default_configENS1_36segmented_radix_sort_config_selectorI12hip_bfloat16lEEZNS1_25segmented_radix_sort_implIS3_Lb0EPKS5_PS5_PKlPlN2at6native12_GLOBAL__N_18offset_tEEE10hipError_tPvRmT1_PNSt15iterator_traitsISL_E10value_typeET2_T3_PNSM_ISR_E10value_typeET4_jRbjT5_SX_jjP12ihipStream_tbEUlT_E0_NS1_11comp_targetILNS1_3genE4ELNS1_11target_archE910ELNS1_3gpuE8ELNS1_3repE0EEENS1_60segmented_radix_sort_warp_sort_medium_config_static_selectorELNS0_4arch9wavefront6targetE0EEEvSL_,comdat
	.globl	_ZN7rocprim17ROCPRIM_400000_NS6detail17trampoline_kernelINS0_14default_configENS1_36segmented_radix_sort_config_selectorI12hip_bfloat16lEEZNS1_25segmented_radix_sort_implIS3_Lb0EPKS5_PS5_PKlPlN2at6native12_GLOBAL__N_18offset_tEEE10hipError_tPvRmT1_PNSt15iterator_traitsISL_E10value_typeET2_T3_PNSM_ISR_E10value_typeET4_jRbjT5_SX_jjP12ihipStream_tbEUlT_E0_NS1_11comp_targetILNS1_3genE4ELNS1_11target_archE910ELNS1_3gpuE8ELNS1_3repE0EEENS1_60segmented_radix_sort_warp_sort_medium_config_static_selectorELNS0_4arch9wavefront6targetE0EEEvSL_ ; -- Begin function _ZN7rocprim17ROCPRIM_400000_NS6detail17trampoline_kernelINS0_14default_configENS1_36segmented_radix_sort_config_selectorI12hip_bfloat16lEEZNS1_25segmented_radix_sort_implIS3_Lb0EPKS5_PS5_PKlPlN2at6native12_GLOBAL__N_18offset_tEEE10hipError_tPvRmT1_PNSt15iterator_traitsISL_E10value_typeET2_T3_PNSM_ISR_E10value_typeET4_jRbjT5_SX_jjP12ihipStream_tbEUlT_E0_NS1_11comp_targetILNS1_3genE4ELNS1_11target_archE910ELNS1_3gpuE8ELNS1_3repE0EEENS1_60segmented_radix_sort_warp_sort_medium_config_static_selectorELNS0_4arch9wavefront6targetE0EEEvSL_
	.p2align	8
	.type	_ZN7rocprim17ROCPRIM_400000_NS6detail17trampoline_kernelINS0_14default_configENS1_36segmented_radix_sort_config_selectorI12hip_bfloat16lEEZNS1_25segmented_radix_sort_implIS3_Lb0EPKS5_PS5_PKlPlN2at6native12_GLOBAL__N_18offset_tEEE10hipError_tPvRmT1_PNSt15iterator_traitsISL_E10value_typeET2_T3_PNSM_ISR_E10value_typeET4_jRbjT5_SX_jjP12ihipStream_tbEUlT_E0_NS1_11comp_targetILNS1_3genE4ELNS1_11target_archE910ELNS1_3gpuE8ELNS1_3repE0EEENS1_60segmented_radix_sort_warp_sort_medium_config_static_selectorELNS0_4arch9wavefront6targetE0EEEvSL_,@function
_ZN7rocprim17ROCPRIM_400000_NS6detail17trampoline_kernelINS0_14default_configENS1_36segmented_radix_sort_config_selectorI12hip_bfloat16lEEZNS1_25segmented_radix_sort_implIS3_Lb0EPKS5_PS5_PKlPlN2at6native12_GLOBAL__N_18offset_tEEE10hipError_tPvRmT1_PNSt15iterator_traitsISL_E10value_typeET2_T3_PNSM_ISR_E10value_typeET4_jRbjT5_SX_jjP12ihipStream_tbEUlT_E0_NS1_11comp_targetILNS1_3genE4ELNS1_11target_archE910ELNS1_3gpuE8ELNS1_3repE0EEENS1_60segmented_radix_sort_warp_sort_medium_config_static_selectorELNS0_4arch9wavefront6targetE0EEEvSL_: ; @_ZN7rocprim17ROCPRIM_400000_NS6detail17trampoline_kernelINS0_14default_configENS1_36segmented_radix_sort_config_selectorI12hip_bfloat16lEEZNS1_25segmented_radix_sort_implIS3_Lb0EPKS5_PS5_PKlPlN2at6native12_GLOBAL__N_18offset_tEEE10hipError_tPvRmT1_PNSt15iterator_traitsISL_E10value_typeET2_T3_PNSM_ISR_E10value_typeET4_jRbjT5_SX_jjP12ihipStream_tbEUlT_E0_NS1_11comp_targetILNS1_3genE4ELNS1_11target_archE910ELNS1_3gpuE8ELNS1_3repE0EEENS1_60segmented_radix_sort_warp_sort_medium_config_static_selectorELNS0_4arch9wavefront6targetE0EEEvSL_
; %bb.0:
	.section	.rodata,"a",@progbits
	.p2align	6, 0x0
	.amdhsa_kernel _ZN7rocprim17ROCPRIM_400000_NS6detail17trampoline_kernelINS0_14default_configENS1_36segmented_radix_sort_config_selectorI12hip_bfloat16lEEZNS1_25segmented_radix_sort_implIS3_Lb0EPKS5_PS5_PKlPlN2at6native12_GLOBAL__N_18offset_tEEE10hipError_tPvRmT1_PNSt15iterator_traitsISL_E10value_typeET2_T3_PNSM_ISR_E10value_typeET4_jRbjT5_SX_jjP12ihipStream_tbEUlT_E0_NS1_11comp_targetILNS1_3genE4ELNS1_11target_archE910ELNS1_3gpuE8ELNS1_3repE0EEENS1_60segmented_radix_sort_warp_sort_medium_config_static_selectorELNS0_4arch9wavefront6targetE0EEEvSL_
		.amdhsa_group_segment_fixed_size 0
		.amdhsa_private_segment_fixed_size 0
		.amdhsa_kernarg_size 88
		.amdhsa_user_sgpr_count 2
		.amdhsa_user_sgpr_dispatch_ptr 0
		.amdhsa_user_sgpr_queue_ptr 0
		.amdhsa_user_sgpr_kernarg_segment_ptr 1
		.amdhsa_user_sgpr_dispatch_id 0
		.amdhsa_user_sgpr_kernarg_preload_length 0
		.amdhsa_user_sgpr_kernarg_preload_offset 0
		.amdhsa_user_sgpr_private_segment_size 0
		.amdhsa_wavefront_size32 1
		.amdhsa_uses_dynamic_stack 0
		.amdhsa_enable_private_segment 0
		.amdhsa_system_sgpr_workgroup_id_x 1
		.amdhsa_system_sgpr_workgroup_id_y 0
		.amdhsa_system_sgpr_workgroup_id_z 0
		.amdhsa_system_sgpr_workgroup_info 0
		.amdhsa_system_vgpr_workitem_id 0
		.amdhsa_next_free_vgpr 1
		.amdhsa_next_free_sgpr 1
		.amdhsa_named_barrier_count 0
		.amdhsa_reserve_vcc 0
		.amdhsa_float_round_mode_32 0
		.amdhsa_float_round_mode_16_64 0
		.amdhsa_float_denorm_mode_32 3
		.amdhsa_float_denorm_mode_16_64 3
		.amdhsa_fp16_overflow 0
		.amdhsa_memory_ordered 1
		.amdhsa_forward_progress 1
		.amdhsa_inst_pref_size 0
		.amdhsa_round_robin_scheduling 0
		.amdhsa_exception_fp_ieee_invalid_op 0
		.amdhsa_exception_fp_denorm_src 0
		.amdhsa_exception_fp_ieee_div_zero 0
		.amdhsa_exception_fp_ieee_overflow 0
		.amdhsa_exception_fp_ieee_underflow 0
		.amdhsa_exception_fp_ieee_inexact 0
		.amdhsa_exception_int_div_zero 0
	.end_amdhsa_kernel
	.section	.text._ZN7rocprim17ROCPRIM_400000_NS6detail17trampoline_kernelINS0_14default_configENS1_36segmented_radix_sort_config_selectorI12hip_bfloat16lEEZNS1_25segmented_radix_sort_implIS3_Lb0EPKS5_PS5_PKlPlN2at6native12_GLOBAL__N_18offset_tEEE10hipError_tPvRmT1_PNSt15iterator_traitsISL_E10value_typeET2_T3_PNSM_ISR_E10value_typeET4_jRbjT5_SX_jjP12ihipStream_tbEUlT_E0_NS1_11comp_targetILNS1_3genE4ELNS1_11target_archE910ELNS1_3gpuE8ELNS1_3repE0EEENS1_60segmented_radix_sort_warp_sort_medium_config_static_selectorELNS0_4arch9wavefront6targetE0EEEvSL_,"axG",@progbits,_ZN7rocprim17ROCPRIM_400000_NS6detail17trampoline_kernelINS0_14default_configENS1_36segmented_radix_sort_config_selectorI12hip_bfloat16lEEZNS1_25segmented_radix_sort_implIS3_Lb0EPKS5_PS5_PKlPlN2at6native12_GLOBAL__N_18offset_tEEE10hipError_tPvRmT1_PNSt15iterator_traitsISL_E10value_typeET2_T3_PNSM_ISR_E10value_typeET4_jRbjT5_SX_jjP12ihipStream_tbEUlT_E0_NS1_11comp_targetILNS1_3genE4ELNS1_11target_archE910ELNS1_3gpuE8ELNS1_3repE0EEENS1_60segmented_radix_sort_warp_sort_medium_config_static_selectorELNS0_4arch9wavefront6targetE0EEEvSL_,comdat
.Lfunc_end2052:
	.size	_ZN7rocprim17ROCPRIM_400000_NS6detail17trampoline_kernelINS0_14default_configENS1_36segmented_radix_sort_config_selectorI12hip_bfloat16lEEZNS1_25segmented_radix_sort_implIS3_Lb0EPKS5_PS5_PKlPlN2at6native12_GLOBAL__N_18offset_tEEE10hipError_tPvRmT1_PNSt15iterator_traitsISL_E10value_typeET2_T3_PNSM_ISR_E10value_typeET4_jRbjT5_SX_jjP12ihipStream_tbEUlT_E0_NS1_11comp_targetILNS1_3genE4ELNS1_11target_archE910ELNS1_3gpuE8ELNS1_3repE0EEENS1_60segmented_radix_sort_warp_sort_medium_config_static_selectorELNS0_4arch9wavefront6targetE0EEEvSL_, .Lfunc_end2052-_ZN7rocprim17ROCPRIM_400000_NS6detail17trampoline_kernelINS0_14default_configENS1_36segmented_radix_sort_config_selectorI12hip_bfloat16lEEZNS1_25segmented_radix_sort_implIS3_Lb0EPKS5_PS5_PKlPlN2at6native12_GLOBAL__N_18offset_tEEE10hipError_tPvRmT1_PNSt15iterator_traitsISL_E10value_typeET2_T3_PNSM_ISR_E10value_typeET4_jRbjT5_SX_jjP12ihipStream_tbEUlT_E0_NS1_11comp_targetILNS1_3genE4ELNS1_11target_archE910ELNS1_3gpuE8ELNS1_3repE0EEENS1_60segmented_radix_sort_warp_sort_medium_config_static_selectorELNS0_4arch9wavefront6targetE0EEEvSL_
                                        ; -- End function
	.set _ZN7rocprim17ROCPRIM_400000_NS6detail17trampoline_kernelINS0_14default_configENS1_36segmented_radix_sort_config_selectorI12hip_bfloat16lEEZNS1_25segmented_radix_sort_implIS3_Lb0EPKS5_PS5_PKlPlN2at6native12_GLOBAL__N_18offset_tEEE10hipError_tPvRmT1_PNSt15iterator_traitsISL_E10value_typeET2_T3_PNSM_ISR_E10value_typeET4_jRbjT5_SX_jjP12ihipStream_tbEUlT_E0_NS1_11comp_targetILNS1_3genE4ELNS1_11target_archE910ELNS1_3gpuE8ELNS1_3repE0EEENS1_60segmented_radix_sort_warp_sort_medium_config_static_selectorELNS0_4arch9wavefront6targetE0EEEvSL_.num_vgpr, 0
	.set _ZN7rocprim17ROCPRIM_400000_NS6detail17trampoline_kernelINS0_14default_configENS1_36segmented_radix_sort_config_selectorI12hip_bfloat16lEEZNS1_25segmented_radix_sort_implIS3_Lb0EPKS5_PS5_PKlPlN2at6native12_GLOBAL__N_18offset_tEEE10hipError_tPvRmT1_PNSt15iterator_traitsISL_E10value_typeET2_T3_PNSM_ISR_E10value_typeET4_jRbjT5_SX_jjP12ihipStream_tbEUlT_E0_NS1_11comp_targetILNS1_3genE4ELNS1_11target_archE910ELNS1_3gpuE8ELNS1_3repE0EEENS1_60segmented_radix_sort_warp_sort_medium_config_static_selectorELNS0_4arch9wavefront6targetE0EEEvSL_.num_agpr, 0
	.set _ZN7rocprim17ROCPRIM_400000_NS6detail17trampoline_kernelINS0_14default_configENS1_36segmented_radix_sort_config_selectorI12hip_bfloat16lEEZNS1_25segmented_radix_sort_implIS3_Lb0EPKS5_PS5_PKlPlN2at6native12_GLOBAL__N_18offset_tEEE10hipError_tPvRmT1_PNSt15iterator_traitsISL_E10value_typeET2_T3_PNSM_ISR_E10value_typeET4_jRbjT5_SX_jjP12ihipStream_tbEUlT_E0_NS1_11comp_targetILNS1_3genE4ELNS1_11target_archE910ELNS1_3gpuE8ELNS1_3repE0EEENS1_60segmented_radix_sort_warp_sort_medium_config_static_selectorELNS0_4arch9wavefront6targetE0EEEvSL_.numbered_sgpr, 0
	.set _ZN7rocprim17ROCPRIM_400000_NS6detail17trampoline_kernelINS0_14default_configENS1_36segmented_radix_sort_config_selectorI12hip_bfloat16lEEZNS1_25segmented_radix_sort_implIS3_Lb0EPKS5_PS5_PKlPlN2at6native12_GLOBAL__N_18offset_tEEE10hipError_tPvRmT1_PNSt15iterator_traitsISL_E10value_typeET2_T3_PNSM_ISR_E10value_typeET4_jRbjT5_SX_jjP12ihipStream_tbEUlT_E0_NS1_11comp_targetILNS1_3genE4ELNS1_11target_archE910ELNS1_3gpuE8ELNS1_3repE0EEENS1_60segmented_radix_sort_warp_sort_medium_config_static_selectorELNS0_4arch9wavefront6targetE0EEEvSL_.num_named_barrier, 0
	.set _ZN7rocprim17ROCPRIM_400000_NS6detail17trampoline_kernelINS0_14default_configENS1_36segmented_radix_sort_config_selectorI12hip_bfloat16lEEZNS1_25segmented_radix_sort_implIS3_Lb0EPKS5_PS5_PKlPlN2at6native12_GLOBAL__N_18offset_tEEE10hipError_tPvRmT1_PNSt15iterator_traitsISL_E10value_typeET2_T3_PNSM_ISR_E10value_typeET4_jRbjT5_SX_jjP12ihipStream_tbEUlT_E0_NS1_11comp_targetILNS1_3genE4ELNS1_11target_archE910ELNS1_3gpuE8ELNS1_3repE0EEENS1_60segmented_radix_sort_warp_sort_medium_config_static_selectorELNS0_4arch9wavefront6targetE0EEEvSL_.private_seg_size, 0
	.set _ZN7rocprim17ROCPRIM_400000_NS6detail17trampoline_kernelINS0_14default_configENS1_36segmented_radix_sort_config_selectorI12hip_bfloat16lEEZNS1_25segmented_radix_sort_implIS3_Lb0EPKS5_PS5_PKlPlN2at6native12_GLOBAL__N_18offset_tEEE10hipError_tPvRmT1_PNSt15iterator_traitsISL_E10value_typeET2_T3_PNSM_ISR_E10value_typeET4_jRbjT5_SX_jjP12ihipStream_tbEUlT_E0_NS1_11comp_targetILNS1_3genE4ELNS1_11target_archE910ELNS1_3gpuE8ELNS1_3repE0EEENS1_60segmented_radix_sort_warp_sort_medium_config_static_selectorELNS0_4arch9wavefront6targetE0EEEvSL_.uses_vcc, 0
	.set _ZN7rocprim17ROCPRIM_400000_NS6detail17trampoline_kernelINS0_14default_configENS1_36segmented_radix_sort_config_selectorI12hip_bfloat16lEEZNS1_25segmented_radix_sort_implIS3_Lb0EPKS5_PS5_PKlPlN2at6native12_GLOBAL__N_18offset_tEEE10hipError_tPvRmT1_PNSt15iterator_traitsISL_E10value_typeET2_T3_PNSM_ISR_E10value_typeET4_jRbjT5_SX_jjP12ihipStream_tbEUlT_E0_NS1_11comp_targetILNS1_3genE4ELNS1_11target_archE910ELNS1_3gpuE8ELNS1_3repE0EEENS1_60segmented_radix_sort_warp_sort_medium_config_static_selectorELNS0_4arch9wavefront6targetE0EEEvSL_.uses_flat_scratch, 0
	.set _ZN7rocprim17ROCPRIM_400000_NS6detail17trampoline_kernelINS0_14default_configENS1_36segmented_radix_sort_config_selectorI12hip_bfloat16lEEZNS1_25segmented_radix_sort_implIS3_Lb0EPKS5_PS5_PKlPlN2at6native12_GLOBAL__N_18offset_tEEE10hipError_tPvRmT1_PNSt15iterator_traitsISL_E10value_typeET2_T3_PNSM_ISR_E10value_typeET4_jRbjT5_SX_jjP12ihipStream_tbEUlT_E0_NS1_11comp_targetILNS1_3genE4ELNS1_11target_archE910ELNS1_3gpuE8ELNS1_3repE0EEENS1_60segmented_radix_sort_warp_sort_medium_config_static_selectorELNS0_4arch9wavefront6targetE0EEEvSL_.has_dyn_sized_stack, 0
	.set _ZN7rocprim17ROCPRIM_400000_NS6detail17trampoline_kernelINS0_14default_configENS1_36segmented_radix_sort_config_selectorI12hip_bfloat16lEEZNS1_25segmented_radix_sort_implIS3_Lb0EPKS5_PS5_PKlPlN2at6native12_GLOBAL__N_18offset_tEEE10hipError_tPvRmT1_PNSt15iterator_traitsISL_E10value_typeET2_T3_PNSM_ISR_E10value_typeET4_jRbjT5_SX_jjP12ihipStream_tbEUlT_E0_NS1_11comp_targetILNS1_3genE4ELNS1_11target_archE910ELNS1_3gpuE8ELNS1_3repE0EEENS1_60segmented_radix_sort_warp_sort_medium_config_static_selectorELNS0_4arch9wavefront6targetE0EEEvSL_.has_recursion, 0
	.set _ZN7rocprim17ROCPRIM_400000_NS6detail17trampoline_kernelINS0_14default_configENS1_36segmented_radix_sort_config_selectorI12hip_bfloat16lEEZNS1_25segmented_radix_sort_implIS3_Lb0EPKS5_PS5_PKlPlN2at6native12_GLOBAL__N_18offset_tEEE10hipError_tPvRmT1_PNSt15iterator_traitsISL_E10value_typeET2_T3_PNSM_ISR_E10value_typeET4_jRbjT5_SX_jjP12ihipStream_tbEUlT_E0_NS1_11comp_targetILNS1_3genE4ELNS1_11target_archE910ELNS1_3gpuE8ELNS1_3repE0EEENS1_60segmented_radix_sort_warp_sort_medium_config_static_selectorELNS0_4arch9wavefront6targetE0EEEvSL_.has_indirect_call, 0
	.section	.AMDGPU.csdata,"",@progbits
; Kernel info:
; codeLenInByte = 0
; TotalNumSgprs: 0
; NumVgprs: 0
; ScratchSize: 0
; MemoryBound: 0
; FloatMode: 240
; IeeeMode: 1
; LDSByteSize: 0 bytes/workgroup (compile time only)
; SGPRBlocks: 0
; VGPRBlocks: 0
; NumSGPRsForWavesPerEU: 1
; NumVGPRsForWavesPerEU: 1
; NamedBarCnt: 0
; Occupancy: 16
; WaveLimiterHint : 0
; COMPUTE_PGM_RSRC2:SCRATCH_EN: 0
; COMPUTE_PGM_RSRC2:USER_SGPR: 2
; COMPUTE_PGM_RSRC2:TRAP_HANDLER: 0
; COMPUTE_PGM_RSRC2:TGID_X_EN: 1
; COMPUTE_PGM_RSRC2:TGID_Y_EN: 0
; COMPUTE_PGM_RSRC2:TGID_Z_EN: 0
; COMPUTE_PGM_RSRC2:TIDIG_COMP_CNT: 0
	.section	.text._ZN7rocprim17ROCPRIM_400000_NS6detail17trampoline_kernelINS0_14default_configENS1_36segmented_radix_sort_config_selectorI12hip_bfloat16lEEZNS1_25segmented_radix_sort_implIS3_Lb0EPKS5_PS5_PKlPlN2at6native12_GLOBAL__N_18offset_tEEE10hipError_tPvRmT1_PNSt15iterator_traitsISL_E10value_typeET2_T3_PNSM_ISR_E10value_typeET4_jRbjT5_SX_jjP12ihipStream_tbEUlT_E0_NS1_11comp_targetILNS1_3genE3ELNS1_11target_archE908ELNS1_3gpuE7ELNS1_3repE0EEENS1_60segmented_radix_sort_warp_sort_medium_config_static_selectorELNS0_4arch9wavefront6targetE0EEEvSL_,"axG",@progbits,_ZN7rocprim17ROCPRIM_400000_NS6detail17trampoline_kernelINS0_14default_configENS1_36segmented_radix_sort_config_selectorI12hip_bfloat16lEEZNS1_25segmented_radix_sort_implIS3_Lb0EPKS5_PS5_PKlPlN2at6native12_GLOBAL__N_18offset_tEEE10hipError_tPvRmT1_PNSt15iterator_traitsISL_E10value_typeET2_T3_PNSM_ISR_E10value_typeET4_jRbjT5_SX_jjP12ihipStream_tbEUlT_E0_NS1_11comp_targetILNS1_3genE3ELNS1_11target_archE908ELNS1_3gpuE7ELNS1_3repE0EEENS1_60segmented_radix_sort_warp_sort_medium_config_static_selectorELNS0_4arch9wavefront6targetE0EEEvSL_,comdat
	.globl	_ZN7rocprim17ROCPRIM_400000_NS6detail17trampoline_kernelINS0_14default_configENS1_36segmented_radix_sort_config_selectorI12hip_bfloat16lEEZNS1_25segmented_radix_sort_implIS3_Lb0EPKS5_PS5_PKlPlN2at6native12_GLOBAL__N_18offset_tEEE10hipError_tPvRmT1_PNSt15iterator_traitsISL_E10value_typeET2_T3_PNSM_ISR_E10value_typeET4_jRbjT5_SX_jjP12ihipStream_tbEUlT_E0_NS1_11comp_targetILNS1_3genE3ELNS1_11target_archE908ELNS1_3gpuE7ELNS1_3repE0EEENS1_60segmented_radix_sort_warp_sort_medium_config_static_selectorELNS0_4arch9wavefront6targetE0EEEvSL_ ; -- Begin function _ZN7rocprim17ROCPRIM_400000_NS6detail17trampoline_kernelINS0_14default_configENS1_36segmented_radix_sort_config_selectorI12hip_bfloat16lEEZNS1_25segmented_radix_sort_implIS3_Lb0EPKS5_PS5_PKlPlN2at6native12_GLOBAL__N_18offset_tEEE10hipError_tPvRmT1_PNSt15iterator_traitsISL_E10value_typeET2_T3_PNSM_ISR_E10value_typeET4_jRbjT5_SX_jjP12ihipStream_tbEUlT_E0_NS1_11comp_targetILNS1_3genE3ELNS1_11target_archE908ELNS1_3gpuE7ELNS1_3repE0EEENS1_60segmented_radix_sort_warp_sort_medium_config_static_selectorELNS0_4arch9wavefront6targetE0EEEvSL_
	.p2align	8
	.type	_ZN7rocprim17ROCPRIM_400000_NS6detail17trampoline_kernelINS0_14default_configENS1_36segmented_radix_sort_config_selectorI12hip_bfloat16lEEZNS1_25segmented_radix_sort_implIS3_Lb0EPKS5_PS5_PKlPlN2at6native12_GLOBAL__N_18offset_tEEE10hipError_tPvRmT1_PNSt15iterator_traitsISL_E10value_typeET2_T3_PNSM_ISR_E10value_typeET4_jRbjT5_SX_jjP12ihipStream_tbEUlT_E0_NS1_11comp_targetILNS1_3genE3ELNS1_11target_archE908ELNS1_3gpuE7ELNS1_3repE0EEENS1_60segmented_radix_sort_warp_sort_medium_config_static_selectorELNS0_4arch9wavefront6targetE0EEEvSL_,@function
_ZN7rocprim17ROCPRIM_400000_NS6detail17trampoline_kernelINS0_14default_configENS1_36segmented_radix_sort_config_selectorI12hip_bfloat16lEEZNS1_25segmented_radix_sort_implIS3_Lb0EPKS5_PS5_PKlPlN2at6native12_GLOBAL__N_18offset_tEEE10hipError_tPvRmT1_PNSt15iterator_traitsISL_E10value_typeET2_T3_PNSM_ISR_E10value_typeET4_jRbjT5_SX_jjP12ihipStream_tbEUlT_E0_NS1_11comp_targetILNS1_3genE3ELNS1_11target_archE908ELNS1_3gpuE7ELNS1_3repE0EEENS1_60segmented_radix_sort_warp_sort_medium_config_static_selectorELNS0_4arch9wavefront6targetE0EEEvSL_: ; @_ZN7rocprim17ROCPRIM_400000_NS6detail17trampoline_kernelINS0_14default_configENS1_36segmented_radix_sort_config_selectorI12hip_bfloat16lEEZNS1_25segmented_radix_sort_implIS3_Lb0EPKS5_PS5_PKlPlN2at6native12_GLOBAL__N_18offset_tEEE10hipError_tPvRmT1_PNSt15iterator_traitsISL_E10value_typeET2_T3_PNSM_ISR_E10value_typeET4_jRbjT5_SX_jjP12ihipStream_tbEUlT_E0_NS1_11comp_targetILNS1_3genE3ELNS1_11target_archE908ELNS1_3gpuE7ELNS1_3repE0EEENS1_60segmented_radix_sort_warp_sort_medium_config_static_selectorELNS0_4arch9wavefront6targetE0EEEvSL_
; %bb.0:
	.section	.rodata,"a",@progbits
	.p2align	6, 0x0
	.amdhsa_kernel _ZN7rocprim17ROCPRIM_400000_NS6detail17trampoline_kernelINS0_14default_configENS1_36segmented_radix_sort_config_selectorI12hip_bfloat16lEEZNS1_25segmented_radix_sort_implIS3_Lb0EPKS5_PS5_PKlPlN2at6native12_GLOBAL__N_18offset_tEEE10hipError_tPvRmT1_PNSt15iterator_traitsISL_E10value_typeET2_T3_PNSM_ISR_E10value_typeET4_jRbjT5_SX_jjP12ihipStream_tbEUlT_E0_NS1_11comp_targetILNS1_3genE3ELNS1_11target_archE908ELNS1_3gpuE7ELNS1_3repE0EEENS1_60segmented_radix_sort_warp_sort_medium_config_static_selectorELNS0_4arch9wavefront6targetE0EEEvSL_
		.amdhsa_group_segment_fixed_size 0
		.amdhsa_private_segment_fixed_size 0
		.amdhsa_kernarg_size 88
		.amdhsa_user_sgpr_count 2
		.amdhsa_user_sgpr_dispatch_ptr 0
		.amdhsa_user_sgpr_queue_ptr 0
		.amdhsa_user_sgpr_kernarg_segment_ptr 1
		.amdhsa_user_sgpr_dispatch_id 0
		.amdhsa_user_sgpr_kernarg_preload_length 0
		.amdhsa_user_sgpr_kernarg_preload_offset 0
		.amdhsa_user_sgpr_private_segment_size 0
		.amdhsa_wavefront_size32 1
		.amdhsa_uses_dynamic_stack 0
		.amdhsa_enable_private_segment 0
		.amdhsa_system_sgpr_workgroup_id_x 1
		.amdhsa_system_sgpr_workgroup_id_y 0
		.amdhsa_system_sgpr_workgroup_id_z 0
		.amdhsa_system_sgpr_workgroup_info 0
		.amdhsa_system_vgpr_workitem_id 0
		.amdhsa_next_free_vgpr 1
		.amdhsa_next_free_sgpr 1
		.amdhsa_named_barrier_count 0
		.amdhsa_reserve_vcc 0
		.amdhsa_float_round_mode_32 0
		.amdhsa_float_round_mode_16_64 0
		.amdhsa_float_denorm_mode_32 3
		.amdhsa_float_denorm_mode_16_64 3
		.amdhsa_fp16_overflow 0
		.amdhsa_memory_ordered 1
		.amdhsa_forward_progress 1
		.amdhsa_inst_pref_size 0
		.amdhsa_round_robin_scheduling 0
		.amdhsa_exception_fp_ieee_invalid_op 0
		.amdhsa_exception_fp_denorm_src 0
		.amdhsa_exception_fp_ieee_div_zero 0
		.amdhsa_exception_fp_ieee_overflow 0
		.amdhsa_exception_fp_ieee_underflow 0
		.amdhsa_exception_fp_ieee_inexact 0
		.amdhsa_exception_int_div_zero 0
	.end_amdhsa_kernel
	.section	.text._ZN7rocprim17ROCPRIM_400000_NS6detail17trampoline_kernelINS0_14default_configENS1_36segmented_radix_sort_config_selectorI12hip_bfloat16lEEZNS1_25segmented_radix_sort_implIS3_Lb0EPKS5_PS5_PKlPlN2at6native12_GLOBAL__N_18offset_tEEE10hipError_tPvRmT1_PNSt15iterator_traitsISL_E10value_typeET2_T3_PNSM_ISR_E10value_typeET4_jRbjT5_SX_jjP12ihipStream_tbEUlT_E0_NS1_11comp_targetILNS1_3genE3ELNS1_11target_archE908ELNS1_3gpuE7ELNS1_3repE0EEENS1_60segmented_radix_sort_warp_sort_medium_config_static_selectorELNS0_4arch9wavefront6targetE0EEEvSL_,"axG",@progbits,_ZN7rocprim17ROCPRIM_400000_NS6detail17trampoline_kernelINS0_14default_configENS1_36segmented_radix_sort_config_selectorI12hip_bfloat16lEEZNS1_25segmented_radix_sort_implIS3_Lb0EPKS5_PS5_PKlPlN2at6native12_GLOBAL__N_18offset_tEEE10hipError_tPvRmT1_PNSt15iterator_traitsISL_E10value_typeET2_T3_PNSM_ISR_E10value_typeET4_jRbjT5_SX_jjP12ihipStream_tbEUlT_E0_NS1_11comp_targetILNS1_3genE3ELNS1_11target_archE908ELNS1_3gpuE7ELNS1_3repE0EEENS1_60segmented_radix_sort_warp_sort_medium_config_static_selectorELNS0_4arch9wavefront6targetE0EEEvSL_,comdat
.Lfunc_end2053:
	.size	_ZN7rocprim17ROCPRIM_400000_NS6detail17trampoline_kernelINS0_14default_configENS1_36segmented_radix_sort_config_selectorI12hip_bfloat16lEEZNS1_25segmented_radix_sort_implIS3_Lb0EPKS5_PS5_PKlPlN2at6native12_GLOBAL__N_18offset_tEEE10hipError_tPvRmT1_PNSt15iterator_traitsISL_E10value_typeET2_T3_PNSM_ISR_E10value_typeET4_jRbjT5_SX_jjP12ihipStream_tbEUlT_E0_NS1_11comp_targetILNS1_3genE3ELNS1_11target_archE908ELNS1_3gpuE7ELNS1_3repE0EEENS1_60segmented_radix_sort_warp_sort_medium_config_static_selectorELNS0_4arch9wavefront6targetE0EEEvSL_, .Lfunc_end2053-_ZN7rocprim17ROCPRIM_400000_NS6detail17trampoline_kernelINS0_14default_configENS1_36segmented_radix_sort_config_selectorI12hip_bfloat16lEEZNS1_25segmented_radix_sort_implIS3_Lb0EPKS5_PS5_PKlPlN2at6native12_GLOBAL__N_18offset_tEEE10hipError_tPvRmT1_PNSt15iterator_traitsISL_E10value_typeET2_T3_PNSM_ISR_E10value_typeET4_jRbjT5_SX_jjP12ihipStream_tbEUlT_E0_NS1_11comp_targetILNS1_3genE3ELNS1_11target_archE908ELNS1_3gpuE7ELNS1_3repE0EEENS1_60segmented_radix_sort_warp_sort_medium_config_static_selectorELNS0_4arch9wavefront6targetE0EEEvSL_
                                        ; -- End function
	.set _ZN7rocprim17ROCPRIM_400000_NS6detail17trampoline_kernelINS0_14default_configENS1_36segmented_radix_sort_config_selectorI12hip_bfloat16lEEZNS1_25segmented_radix_sort_implIS3_Lb0EPKS5_PS5_PKlPlN2at6native12_GLOBAL__N_18offset_tEEE10hipError_tPvRmT1_PNSt15iterator_traitsISL_E10value_typeET2_T3_PNSM_ISR_E10value_typeET4_jRbjT5_SX_jjP12ihipStream_tbEUlT_E0_NS1_11comp_targetILNS1_3genE3ELNS1_11target_archE908ELNS1_3gpuE7ELNS1_3repE0EEENS1_60segmented_radix_sort_warp_sort_medium_config_static_selectorELNS0_4arch9wavefront6targetE0EEEvSL_.num_vgpr, 0
	.set _ZN7rocprim17ROCPRIM_400000_NS6detail17trampoline_kernelINS0_14default_configENS1_36segmented_radix_sort_config_selectorI12hip_bfloat16lEEZNS1_25segmented_radix_sort_implIS3_Lb0EPKS5_PS5_PKlPlN2at6native12_GLOBAL__N_18offset_tEEE10hipError_tPvRmT1_PNSt15iterator_traitsISL_E10value_typeET2_T3_PNSM_ISR_E10value_typeET4_jRbjT5_SX_jjP12ihipStream_tbEUlT_E0_NS1_11comp_targetILNS1_3genE3ELNS1_11target_archE908ELNS1_3gpuE7ELNS1_3repE0EEENS1_60segmented_radix_sort_warp_sort_medium_config_static_selectorELNS0_4arch9wavefront6targetE0EEEvSL_.num_agpr, 0
	.set _ZN7rocprim17ROCPRIM_400000_NS6detail17trampoline_kernelINS0_14default_configENS1_36segmented_radix_sort_config_selectorI12hip_bfloat16lEEZNS1_25segmented_radix_sort_implIS3_Lb0EPKS5_PS5_PKlPlN2at6native12_GLOBAL__N_18offset_tEEE10hipError_tPvRmT1_PNSt15iterator_traitsISL_E10value_typeET2_T3_PNSM_ISR_E10value_typeET4_jRbjT5_SX_jjP12ihipStream_tbEUlT_E0_NS1_11comp_targetILNS1_3genE3ELNS1_11target_archE908ELNS1_3gpuE7ELNS1_3repE0EEENS1_60segmented_radix_sort_warp_sort_medium_config_static_selectorELNS0_4arch9wavefront6targetE0EEEvSL_.numbered_sgpr, 0
	.set _ZN7rocprim17ROCPRIM_400000_NS6detail17trampoline_kernelINS0_14default_configENS1_36segmented_radix_sort_config_selectorI12hip_bfloat16lEEZNS1_25segmented_radix_sort_implIS3_Lb0EPKS5_PS5_PKlPlN2at6native12_GLOBAL__N_18offset_tEEE10hipError_tPvRmT1_PNSt15iterator_traitsISL_E10value_typeET2_T3_PNSM_ISR_E10value_typeET4_jRbjT5_SX_jjP12ihipStream_tbEUlT_E0_NS1_11comp_targetILNS1_3genE3ELNS1_11target_archE908ELNS1_3gpuE7ELNS1_3repE0EEENS1_60segmented_radix_sort_warp_sort_medium_config_static_selectorELNS0_4arch9wavefront6targetE0EEEvSL_.num_named_barrier, 0
	.set _ZN7rocprim17ROCPRIM_400000_NS6detail17trampoline_kernelINS0_14default_configENS1_36segmented_radix_sort_config_selectorI12hip_bfloat16lEEZNS1_25segmented_radix_sort_implIS3_Lb0EPKS5_PS5_PKlPlN2at6native12_GLOBAL__N_18offset_tEEE10hipError_tPvRmT1_PNSt15iterator_traitsISL_E10value_typeET2_T3_PNSM_ISR_E10value_typeET4_jRbjT5_SX_jjP12ihipStream_tbEUlT_E0_NS1_11comp_targetILNS1_3genE3ELNS1_11target_archE908ELNS1_3gpuE7ELNS1_3repE0EEENS1_60segmented_radix_sort_warp_sort_medium_config_static_selectorELNS0_4arch9wavefront6targetE0EEEvSL_.private_seg_size, 0
	.set _ZN7rocprim17ROCPRIM_400000_NS6detail17trampoline_kernelINS0_14default_configENS1_36segmented_radix_sort_config_selectorI12hip_bfloat16lEEZNS1_25segmented_radix_sort_implIS3_Lb0EPKS5_PS5_PKlPlN2at6native12_GLOBAL__N_18offset_tEEE10hipError_tPvRmT1_PNSt15iterator_traitsISL_E10value_typeET2_T3_PNSM_ISR_E10value_typeET4_jRbjT5_SX_jjP12ihipStream_tbEUlT_E0_NS1_11comp_targetILNS1_3genE3ELNS1_11target_archE908ELNS1_3gpuE7ELNS1_3repE0EEENS1_60segmented_radix_sort_warp_sort_medium_config_static_selectorELNS0_4arch9wavefront6targetE0EEEvSL_.uses_vcc, 0
	.set _ZN7rocprim17ROCPRIM_400000_NS6detail17trampoline_kernelINS0_14default_configENS1_36segmented_radix_sort_config_selectorI12hip_bfloat16lEEZNS1_25segmented_radix_sort_implIS3_Lb0EPKS5_PS5_PKlPlN2at6native12_GLOBAL__N_18offset_tEEE10hipError_tPvRmT1_PNSt15iterator_traitsISL_E10value_typeET2_T3_PNSM_ISR_E10value_typeET4_jRbjT5_SX_jjP12ihipStream_tbEUlT_E0_NS1_11comp_targetILNS1_3genE3ELNS1_11target_archE908ELNS1_3gpuE7ELNS1_3repE0EEENS1_60segmented_radix_sort_warp_sort_medium_config_static_selectorELNS0_4arch9wavefront6targetE0EEEvSL_.uses_flat_scratch, 0
	.set _ZN7rocprim17ROCPRIM_400000_NS6detail17trampoline_kernelINS0_14default_configENS1_36segmented_radix_sort_config_selectorI12hip_bfloat16lEEZNS1_25segmented_radix_sort_implIS3_Lb0EPKS5_PS5_PKlPlN2at6native12_GLOBAL__N_18offset_tEEE10hipError_tPvRmT1_PNSt15iterator_traitsISL_E10value_typeET2_T3_PNSM_ISR_E10value_typeET4_jRbjT5_SX_jjP12ihipStream_tbEUlT_E0_NS1_11comp_targetILNS1_3genE3ELNS1_11target_archE908ELNS1_3gpuE7ELNS1_3repE0EEENS1_60segmented_radix_sort_warp_sort_medium_config_static_selectorELNS0_4arch9wavefront6targetE0EEEvSL_.has_dyn_sized_stack, 0
	.set _ZN7rocprim17ROCPRIM_400000_NS6detail17trampoline_kernelINS0_14default_configENS1_36segmented_radix_sort_config_selectorI12hip_bfloat16lEEZNS1_25segmented_radix_sort_implIS3_Lb0EPKS5_PS5_PKlPlN2at6native12_GLOBAL__N_18offset_tEEE10hipError_tPvRmT1_PNSt15iterator_traitsISL_E10value_typeET2_T3_PNSM_ISR_E10value_typeET4_jRbjT5_SX_jjP12ihipStream_tbEUlT_E0_NS1_11comp_targetILNS1_3genE3ELNS1_11target_archE908ELNS1_3gpuE7ELNS1_3repE0EEENS1_60segmented_radix_sort_warp_sort_medium_config_static_selectorELNS0_4arch9wavefront6targetE0EEEvSL_.has_recursion, 0
	.set _ZN7rocprim17ROCPRIM_400000_NS6detail17trampoline_kernelINS0_14default_configENS1_36segmented_radix_sort_config_selectorI12hip_bfloat16lEEZNS1_25segmented_radix_sort_implIS3_Lb0EPKS5_PS5_PKlPlN2at6native12_GLOBAL__N_18offset_tEEE10hipError_tPvRmT1_PNSt15iterator_traitsISL_E10value_typeET2_T3_PNSM_ISR_E10value_typeET4_jRbjT5_SX_jjP12ihipStream_tbEUlT_E0_NS1_11comp_targetILNS1_3genE3ELNS1_11target_archE908ELNS1_3gpuE7ELNS1_3repE0EEENS1_60segmented_radix_sort_warp_sort_medium_config_static_selectorELNS0_4arch9wavefront6targetE0EEEvSL_.has_indirect_call, 0
	.section	.AMDGPU.csdata,"",@progbits
; Kernel info:
; codeLenInByte = 0
; TotalNumSgprs: 0
; NumVgprs: 0
; ScratchSize: 0
; MemoryBound: 0
; FloatMode: 240
; IeeeMode: 1
; LDSByteSize: 0 bytes/workgroup (compile time only)
; SGPRBlocks: 0
; VGPRBlocks: 0
; NumSGPRsForWavesPerEU: 1
; NumVGPRsForWavesPerEU: 1
; NamedBarCnt: 0
; Occupancy: 16
; WaveLimiterHint : 0
; COMPUTE_PGM_RSRC2:SCRATCH_EN: 0
; COMPUTE_PGM_RSRC2:USER_SGPR: 2
; COMPUTE_PGM_RSRC2:TRAP_HANDLER: 0
; COMPUTE_PGM_RSRC2:TGID_X_EN: 1
; COMPUTE_PGM_RSRC2:TGID_Y_EN: 0
; COMPUTE_PGM_RSRC2:TGID_Z_EN: 0
; COMPUTE_PGM_RSRC2:TIDIG_COMP_CNT: 0
	.section	.text._ZN7rocprim17ROCPRIM_400000_NS6detail17trampoline_kernelINS0_14default_configENS1_36segmented_radix_sort_config_selectorI12hip_bfloat16lEEZNS1_25segmented_radix_sort_implIS3_Lb0EPKS5_PS5_PKlPlN2at6native12_GLOBAL__N_18offset_tEEE10hipError_tPvRmT1_PNSt15iterator_traitsISL_E10value_typeET2_T3_PNSM_ISR_E10value_typeET4_jRbjT5_SX_jjP12ihipStream_tbEUlT_E0_NS1_11comp_targetILNS1_3genE2ELNS1_11target_archE906ELNS1_3gpuE6ELNS1_3repE0EEENS1_60segmented_radix_sort_warp_sort_medium_config_static_selectorELNS0_4arch9wavefront6targetE0EEEvSL_,"axG",@progbits,_ZN7rocprim17ROCPRIM_400000_NS6detail17trampoline_kernelINS0_14default_configENS1_36segmented_radix_sort_config_selectorI12hip_bfloat16lEEZNS1_25segmented_radix_sort_implIS3_Lb0EPKS5_PS5_PKlPlN2at6native12_GLOBAL__N_18offset_tEEE10hipError_tPvRmT1_PNSt15iterator_traitsISL_E10value_typeET2_T3_PNSM_ISR_E10value_typeET4_jRbjT5_SX_jjP12ihipStream_tbEUlT_E0_NS1_11comp_targetILNS1_3genE2ELNS1_11target_archE906ELNS1_3gpuE6ELNS1_3repE0EEENS1_60segmented_radix_sort_warp_sort_medium_config_static_selectorELNS0_4arch9wavefront6targetE0EEEvSL_,comdat
	.globl	_ZN7rocprim17ROCPRIM_400000_NS6detail17trampoline_kernelINS0_14default_configENS1_36segmented_radix_sort_config_selectorI12hip_bfloat16lEEZNS1_25segmented_radix_sort_implIS3_Lb0EPKS5_PS5_PKlPlN2at6native12_GLOBAL__N_18offset_tEEE10hipError_tPvRmT1_PNSt15iterator_traitsISL_E10value_typeET2_T3_PNSM_ISR_E10value_typeET4_jRbjT5_SX_jjP12ihipStream_tbEUlT_E0_NS1_11comp_targetILNS1_3genE2ELNS1_11target_archE906ELNS1_3gpuE6ELNS1_3repE0EEENS1_60segmented_radix_sort_warp_sort_medium_config_static_selectorELNS0_4arch9wavefront6targetE0EEEvSL_ ; -- Begin function _ZN7rocprim17ROCPRIM_400000_NS6detail17trampoline_kernelINS0_14default_configENS1_36segmented_radix_sort_config_selectorI12hip_bfloat16lEEZNS1_25segmented_radix_sort_implIS3_Lb0EPKS5_PS5_PKlPlN2at6native12_GLOBAL__N_18offset_tEEE10hipError_tPvRmT1_PNSt15iterator_traitsISL_E10value_typeET2_T3_PNSM_ISR_E10value_typeET4_jRbjT5_SX_jjP12ihipStream_tbEUlT_E0_NS1_11comp_targetILNS1_3genE2ELNS1_11target_archE906ELNS1_3gpuE6ELNS1_3repE0EEENS1_60segmented_radix_sort_warp_sort_medium_config_static_selectorELNS0_4arch9wavefront6targetE0EEEvSL_
	.p2align	8
	.type	_ZN7rocprim17ROCPRIM_400000_NS6detail17trampoline_kernelINS0_14default_configENS1_36segmented_radix_sort_config_selectorI12hip_bfloat16lEEZNS1_25segmented_radix_sort_implIS3_Lb0EPKS5_PS5_PKlPlN2at6native12_GLOBAL__N_18offset_tEEE10hipError_tPvRmT1_PNSt15iterator_traitsISL_E10value_typeET2_T3_PNSM_ISR_E10value_typeET4_jRbjT5_SX_jjP12ihipStream_tbEUlT_E0_NS1_11comp_targetILNS1_3genE2ELNS1_11target_archE906ELNS1_3gpuE6ELNS1_3repE0EEENS1_60segmented_radix_sort_warp_sort_medium_config_static_selectorELNS0_4arch9wavefront6targetE0EEEvSL_,@function
_ZN7rocprim17ROCPRIM_400000_NS6detail17trampoline_kernelINS0_14default_configENS1_36segmented_radix_sort_config_selectorI12hip_bfloat16lEEZNS1_25segmented_radix_sort_implIS3_Lb0EPKS5_PS5_PKlPlN2at6native12_GLOBAL__N_18offset_tEEE10hipError_tPvRmT1_PNSt15iterator_traitsISL_E10value_typeET2_T3_PNSM_ISR_E10value_typeET4_jRbjT5_SX_jjP12ihipStream_tbEUlT_E0_NS1_11comp_targetILNS1_3genE2ELNS1_11target_archE906ELNS1_3gpuE6ELNS1_3repE0EEENS1_60segmented_radix_sort_warp_sort_medium_config_static_selectorELNS0_4arch9wavefront6targetE0EEEvSL_: ; @_ZN7rocprim17ROCPRIM_400000_NS6detail17trampoline_kernelINS0_14default_configENS1_36segmented_radix_sort_config_selectorI12hip_bfloat16lEEZNS1_25segmented_radix_sort_implIS3_Lb0EPKS5_PS5_PKlPlN2at6native12_GLOBAL__N_18offset_tEEE10hipError_tPvRmT1_PNSt15iterator_traitsISL_E10value_typeET2_T3_PNSM_ISR_E10value_typeET4_jRbjT5_SX_jjP12ihipStream_tbEUlT_E0_NS1_11comp_targetILNS1_3genE2ELNS1_11target_archE906ELNS1_3gpuE6ELNS1_3repE0EEENS1_60segmented_radix_sort_warp_sort_medium_config_static_selectorELNS0_4arch9wavefront6targetE0EEEvSL_
; %bb.0:
	.section	.rodata,"a",@progbits
	.p2align	6, 0x0
	.amdhsa_kernel _ZN7rocprim17ROCPRIM_400000_NS6detail17trampoline_kernelINS0_14default_configENS1_36segmented_radix_sort_config_selectorI12hip_bfloat16lEEZNS1_25segmented_radix_sort_implIS3_Lb0EPKS5_PS5_PKlPlN2at6native12_GLOBAL__N_18offset_tEEE10hipError_tPvRmT1_PNSt15iterator_traitsISL_E10value_typeET2_T3_PNSM_ISR_E10value_typeET4_jRbjT5_SX_jjP12ihipStream_tbEUlT_E0_NS1_11comp_targetILNS1_3genE2ELNS1_11target_archE906ELNS1_3gpuE6ELNS1_3repE0EEENS1_60segmented_radix_sort_warp_sort_medium_config_static_selectorELNS0_4arch9wavefront6targetE0EEEvSL_
		.amdhsa_group_segment_fixed_size 0
		.amdhsa_private_segment_fixed_size 0
		.amdhsa_kernarg_size 88
		.amdhsa_user_sgpr_count 2
		.amdhsa_user_sgpr_dispatch_ptr 0
		.amdhsa_user_sgpr_queue_ptr 0
		.amdhsa_user_sgpr_kernarg_segment_ptr 1
		.amdhsa_user_sgpr_dispatch_id 0
		.amdhsa_user_sgpr_kernarg_preload_length 0
		.amdhsa_user_sgpr_kernarg_preload_offset 0
		.amdhsa_user_sgpr_private_segment_size 0
		.amdhsa_wavefront_size32 1
		.amdhsa_uses_dynamic_stack 0
		.amdhsa_enable_private_segment 0
		.amdhsa_system_sgpr_workgroup_id_x 1
		.amdhsa_system_sgpr_workgroup_id_y 0
		.amdhsa_system_sgpr_workgroup_id_z 0
		.amdhsa_system_sgpr_workgroup_info 0
		.amdhsa_system_vgpr_workitem_id 0
		.amdhsa_next_free_vgpr 1
		.amdhsa_next_free_sgpr 1
		.amdhsa_named_barrier_count 0
		.amdhsa_reserve_vcc 0
		.amdhsa_float_round_mode_32 0
		.amdhsa_float_round_mode_16_64 0
		.amdhsa_float_denorm_mode_32 3
		.amdhsa_float_denorm_mode_16_64 3
		.amdhsa_fp16_overflow 0
		.amdhsa_memory_ordered 1
		.amdhsa_forward_progress 1
		.amdhsa_inst_pref_size 0
		.amdhsa_round_robin_scheduling 0
		.amdhsa_exception_fp_ieee_invalid_op 0
		.amdhsa_exception_fp_denorm_src 0
		.amdhsa_exception_fp_ieee_div_zero 0
		.amdhsa_exception_fp_ieee_overflow 0
		.amdhsa_exception_fp_ieee_underflow 0
		.amdhsa_exception_fp_ieee_inexact 0
		.amdhsa_exception_int_div_zero 0
	.end_amdhsa_kernel
	.section	.text._ZN7rocprim17ROCPRIM_400000_NS6detail17trampoline_kernelINS0_14default_configENS1_36segmented_radix_sort_config_selectorI12hip_bfloat16lEEZNS1_25segmented_radix_sort_implIS3_Lb0EPKS5_PS5_PKlPlN2at6native12_GLOBAL__N_18offset_tEEE10hipError_tPvRmT1_PNSt15iterator_traitsISL_E10value_typeET2_T3_PNSM_ISR_E10value_typeET4_jRbjT5_SX_jjP12ihipStream_tbEUlT_E0_NS1_11comp_targetILNS1_3genE2ELNS1_11target_archE906ELNS1_3gpuE6ELNS1_3repE0EEENS1_60segmented_radix_sort_warp_sort_medium_config_static_selectorELNS0_4arch9wavefront6targetE0EEEvSL_,"axG",@progbits,_ZN7rocprim17ROCPRIM_400000_NS6detail17trampoline_kernelINS0_14default_configENS1_36segmented_radix_sort_config_selectorI12hip_bfloat16lEEZNS1_25segmented_radix_sort_implIS3_Lb0EPKS5_PS5_PKlPlN2at6native12_GLOBAL__N_18offset_tEEE10hipError_tPvRmT1_PNSt15iterator_traitsISL_E10value_typeET2_T3_PNSM_ISR_E10value_typeET4_jRbjT5_SX_jjP12ihipStream_tbEUlT_E0_NS1_11comp_targetILNS1_3genE2ELNS1_11target_archE906ELNS1_3gpuE6ELNS1_3repE0EEENS1_60segmented_radix_sort_warp_sort_medium_config_static_selectorELNS0_4arch9wavefront6targetE0EEEvSL_,comdat
.Lfunc_end2054:
	.size	_ZN7rocprim17ROCPRIM_400000_NS6detail17trampoline_kernelINS0_14default_configENS1_36segmented_radix_sort_config_selectorI12hip_bfloat16lEEZNS1_25segmented_radix_sort_implIS3_Lb0EPKS5_PS5_PKlPlN2at6native12_GLOBAL__N_18offset_tEEE10hipError_tPvRmT1_PNSt15iterator_traitsISL_E10value_typeET2_T3_PNSM_ISR_E10value_typeET4_jRbjT5_SX_jjP12ihipStream_tbEUlT_E0_NS1_11comp_targetILNS1_3genE2ELNS1_11target_archE906ELNS1_3gpuE6ELNS1_3repE0EEENS1_60segmented_radix_sort_warp_sort_medium_config_static_selectorELNS0_4arch9wavefront6targetE0EEEvSL_, .Lfunc_end2054-_ZN7rocprim17ROCPRIM_400000_NS6detail17trampoline_kernelINS0_14default_configENS1_36segmented_radix_sort_config_selectorI12hip_bfloat16lEEZNS1_25segmented_radix_sort_implIS3_Lb0EPKS5_PS5_PKlPlN2at6native12_GLOBAL__N_18offset_tEEE10hipError_tPvRmT1_PNSt15iterator_traitsISL_E10value_typeET2_T3_PNSM_ISR_E10value_typeET4_jRbjT5_SX_jjP12ihipStream_tbEUlT_E0_NS1_11comp_targetILNS1_3genE2ELNS1_11target_archE906ELNS1_3gpuE6ELNS1_3repE0EEENS1_60segmented_radix_sort_warp_sort_medium_config_static_selectorELNS0_4arch9wavefront6targetE0EEEvSL_
                                        ; -- End function
	.set _ZN7rocprim17ROCPRIM_400000_NS6detail17trampoline_kernelINS0_14default_configENS1_36segmented_radix_sort_config_selectorI12hip_bfloat16lEEZNS1_25segmented_radix_sort_implIS3_Lb0EPKS5_PS5_PKlPlN2at6native12_GLOBAL__N_18offset_tEEE10hipError_tPvRmT1_PNSt15iterator_traitsISL_E10value_typeET2_T3_PNSM_ISR_E10value_typeET4_jRbjT5_SX_jjP12ihipStream_tbEUlT_E0_NS1_11comp_targetILNS1_3genE2ELNS1_11target_archE906ELNS1_3gpuE6ELNS1_3repE0EEENS1_60segmented_radix_sort_warp_sort_medium_config_static_selectorELNS0_4arch9wavefront6targetE0EEEvSL_.num_vgpr, 0
	.set _ZN7rocprim17ROCPRIM_400000_NS6detail17trampoline_kernelINS0_14default_configENS1_36segmented_radix_sort_config_selectorI12hip_bfloat16lEEZNS1_25segmented_radix_sort_implIS3_Lb0EPKS5_PS5_PKlPlN2at6native12_GLOBAL__N_18offset_tEEE10hipError_tPvRmT1_PNSt15iterator_traitsISL_E10value_typeET2_T3_PNSM_ISR_E10value_typeET4_jRbjT5_SX_jjP12ihipStream_tbEUlT_E0_NS1_11comp_targetILNS1_3genE2ELNS1_11target_archE906ELNS1_3gpuE6ELNS1_3repE0EEENS1_60segmented_radix_sort_warp_sort_medium_config_static_selectorELNS0_4arch9wavefront6targetE0EEEvSL_.num_agpr, 0
	.set _ZN7rocprim17ROCPRIM_400000_NS6detail17trampoline_kernelINS0_14default_configENS1_36segmented_radix_sort_config_selectorI12hip_bfloat16lEEZNS1_25segmented_radix_sort_implIS3_Lb0EPKS5_PS5_PKlPlN2at6native12_GLOBAL__N_18offset_tEEE10hipError_tPvRmT1_PNSt15iterator_traitsISL_E10value_typeET2_T3_PNSM_ISR_E10value_typeET4_jRbjT5_SX_jjP12ihipStream_tbEUlT_E0_NS1_11comp_targetILNS1_3genE2ELNS1_11target_archE906ELNS1_3gpuE6ELNS1_3repE0EEENS1_60segmented_radix_sort_warp_sort_medium_config_static_selectorELNS0_4arch9wavefront6targetE0EEEvSL_.numbered_sgpr, 0
	.set _ZN7rocprim17ROCPRIM_400000_NS6detail17trampoline_kernelINS0_14default_configENS1_36segmented_radix_sort_config_selectorI12hip_bfloat16lEEZNS1_25segmented_radix_sort_implIS3_Lb0EPKS5_PS5_PKlPlN2at6native12_GLOBAL__N_18offset_tEEE10hipError_tPvRmT1_PNSt15iterator_traitsISL_E10value_typeET2_T3_PNSM_ISR_E10value_typeET4_jRbjT5_SX_jjP12ihipStream_tbEUlT_E0_NS1_11comp_targetILNS1_3genE2ELNS1_11target_archE906ELNS1_3gpuE6ELNS1_3repE0EEENS1_60segmented_radix_sort_warp_sort_medium_config_static_selectorELNS0_4arch9wavefront6targetE0EEEvSL_.num_named_barrier, 0
	.set _ZN7rocprim17ROCPRIM_400000_NS6detail17trampoline_kernelINS0_14default_configENS1_36segmented_radix_sort_config_selectorI12hip_bfloat16lEEZNS1_25segmented_radix_sort_implIS3_Lb0EPKS5_PS5_PKlPlN2at6native12_GLOBAL__N_18offset_tEEE10hipError_tPvRmT1_PNSt15iterator_traitsISL_E10value_typeET2_T3_PNSM_ISR_E10value_typeET4_jRbjT5_SX_jjP12ihipStream_tbEUlT_E0_NS1_11comp_targetILNS1_3genE2ELNS1_11target_archE906ELNS1_3gpuE6ELNS1_3repE0EEENS1_60segmented_radix_sort_warp_sort_medium_config_static_selectorELNS0_4arch9wavefront6targetE0EEEvSL_.private_seg_size, 0
	.set _ZN7rocprim17ROCPRIM_400000_NS6detail17trampoline_kernelINS0_14default_configENS1_36segmented_radix_sort_config_selectorI12hip_bfloat16lEEZNS1_25segmented_radix_sort_implIS3_Lb0EPKS5_PS5_PKlPlN2at6native12_GLOBAL__N_18offset_tEEE10hipError_tPvRmT1_PNSt15iterator_traitsISL_E10value_typeET2_T3_PNSM_ISR_E10value_typeET4_jRbjT5_SX_jjP12ihipStream_tbEUlT_E0_NS1_11comp_targetILNS1_3genE2ELNS1_11target_archE906ELNS1_3gpuE6ELNS1_3repE0EEENS1_60segmented_radix_sort_warp_sort_medium_config_static_selectorELNS0_4arch9wavefront6targetE0EEEvSL_.uses_vcc, 0
	.set _ZN7rocprim17ROCPRIM_400000_NS6detail17trampoline_kernelINS0_14default_configENS1_36segmented_radix_sort_config_selectorI12hip_bfloat16lEEZNS1_25segmented_radix_sort_implIS3_Lb0EPKS5_PS5_PKlPlN2at6native12_GLOBAL__N_18offset_tEEE10hipError_tPvRmT1_PNSt15iterator_traitsISL_E10value_typeET2_T3_PNSM_ISR_E10value_typeET4_jRbjT5_SX_jjP12ihipStream_tbEUlT_E0_NS1_11comp_targetILNS1_3genE2ELNS1_11target_archE906ELNS1_3gpuE6ELNS1_3repE0EEENS1_60segmented_radix_sort_warp_sort_medium_config_static_selectorELNS0_4arch9wavefront6targetE0EEEvSL_.uses_flat_scratch, 0
	.set _ZN7rocprim17ROCPRIM_400000_NS6detail17trampoline_kernelINS0_14default_configENS1_36segmented_radix_sort_config_selectorI12hip_bfloat16lEEZNS1_25segmented_radix_sort_implIS3_Lb0EPKS5_PS5_PKlPlN2at6native12_GLOBAL__N_18offset_tEEE10hipError_tPvRmT1_PNSt15iterator_traitsISL_E10value_typeET2_T3_PNSM_ISR_E10value_typeET4_jRbjT5_SX_jjP12ihipStream_tbEUlT_E0_NS1_11comp_targetILNS1_3genE2ELNS1_11target_archE906ELNS1_3gpuE6ELNS1_3repE0EEENS1_60segmented_radix_sort_warp_sort_medium_config_static_selectorELNS0_4arch9wavefront6targetE0EEEvSL_.has_dyn_sized_stack, 0
	.set _ZN7rocprim17ROCPRIM_400000_NS6detail17trampoline_kernelINS0_14default_configENS1_36segmented_radix_sort_config_selectorI12hip_bfloat16lEEZNS1_25segmented_radix_sort_implIS3_Lb0EPKS5_PS5_PKlPlN2at6native12_GLOBAL__N_18offset_tEEE10hipError_tPvRmT1_PNSt15iterator_traitsISL_E10value_typeET2_T3_PNSM_ISR_E10value_typeET4_jRbjT5_SX_jjP12ihipStream_tbEUlT_E0_NS1_11comp_targetILNS1_3genE2ELNS1_11target_archE906ELNS1_3gpuE6ELNS1_3repE0EEENS1_60segmented_radix_sort_warp_sort_medium_config_static_selectorELNS0_4arch9wavefront6targetE0EEEvSL_.has_recursion, 0
	.set _ZN7rocprim17ROCPRIM_400000_NS6detail17trampoline_kernelINS0_14default_configENS1_36segmented_radix_sort_config_selectorI12hip_bfloat16lEEZNS1_25segmented_radix_sort_implIS3_Lb0EPKS5_PS5_PKlPlN2at6native12_GLOBAL__N_18offset_tEEE10hipError_tPvRmT1_PNSt15iterator_traitsISL_E10value_typeET2_T3_PNSM_ISR_E10value_typeET4_jRbjT5_SX_jjP12ihipStream_tbEUlT_E0_NS1_11comp_targetILNS1_3genE2ELNS1_11target_archE906ELNS1_3gpuE6ELNS1_3repE0EEENS1_60segmented_radix_sort_warp_sort_medium_config_static_selectorELNS0_4arch9wavefront6targetE0EEEvSL_.has_indirect_call, 0
	.section	.AMDGPU.csdata,"",@progbits
; Kernel info:
; codeLenInByte = 0
; TotalNumSgprs: 0
; NumVgprs: 0
; ScratchSize: 0
; MemoryBound: 0
; FloatMode: 240
; IeeeMode: 1
; LDSByteSize: 0 bytes/workgroup (compile time only)
; SGPRBlocks: 0
; VGPRBlocks: 0
; NumSGPRsForWavesPerEU: 1
; NumVGPRsForWavesPerEU: 1
; NamedBarCnt: 0
; Occupancy: 16
; WaveLimiterHint : 0
; COMPUTE_PGM_RSRC2:SCRATCH_EN: 0
; COMPUTE_PGM_RSRC2:USER_SGPR: 2
; COMPUTE_PGM_RSRC2:TRAP_HANDLER: 0
; COMPUTE_PGM_RSRC2:TGID_X_EN: 1
; COMPUTE_PGM_RSRC2:TGID_Y_EN: 0
; COMPUTE_PGM_RSRC2:TGID_Z_EN: 0
; COMPUTE_PGM_RSRC2:TIDIG_COMP_CNT: 0
	.section	.text._ZN7rocprim17ROCPRIM_400000_NS6detail17trampoline_kernelINS0_14default_configENS1_36segmented_radix_sort_config_selectorI12hip_bfloat16lEEZNS1_25segmented_radix_sort_implIS3_Lb0EPKS5_PS5_PKlPlN2at6native12_GLOBAL__N_18offset_tEEE10hipError_tPvRmT1_PNSt15iterator_traitsISL_E10value_typeET2_T3_PNSM_ISR_E10value_typeET4_jRbjT5_SX_jjP12ihipStream_tbEUlT_E0_NS1_11comp_targetILNS1_3genE10ELNS1_11target_archE1201ELNS1_3gpuE5ELNS1_3repE0EEENS1_60segmented_radix_sort_warp_sort_medium_config_static_selectorELNS0_4arch9wavefront6targetE0EEEvSL_,"axG",@progbits,_ZN7rocprim17ROCPRIM_400000_NS6detail17trampoline_kernelINS0_14default_configENS1_36segmented_radix_sort_config_selectorI12hip_bfloat16lEEZNS1_25segmented_radix_sort_implIS3_Lb0EPKS5_PS5_PKlPlN2at6native12_GLOBAL__N_18offset_tEEE10hipError_tPvRmT1_PNSt15iterator_traitsISL_E10value_typeET2_T3_PNSM_ISR_E10value_typeET4_jRbjT5_SX_jjP12ihipStream_tbEUlT_E0_NS1_11comp_targetILNS1_3genE10ELNS1_11target_archE1201ELNS1_3gpuE5ELNS1_3repE0EEENS1_60segmented_radix_sort_warp_sort_medium_config_static_selectorELNS0_4arch9wavefront6targetE0EEEvSL_,comdat
	.globl	_ZN7rocprim17ROCPRIM_400000_NS6detail17trampoline_kernelINS0_14default_configENS1_36segmented_radix_sort_config_selectorI12hip_bfloat16lEEZNS1_25segmented_radix_sort_implIS3_Lb0EPKS5_PS5_PKlPlN2at6native12_GLOBAL__N_18offset_tEEE10hipError_tPvRmT1_PNSt15iterator_traitsISL_E10value_typeET2_T3_PNSM_ISR_E10value_typeET4_jRbjT5_SX_jjP12ihipStream_tbEUlT_E0_NS1_11comp_targetILNS1_3genE10ELNS1_11target_archE1201ELNS1_3gpuE5ELNS1_3repE0EEENS1_60segmented_radix_sort_warp_sort_medium_config_static_selectorELNS0_4arch9wavefront6targetE0EEEvSL_ ; -- Begin function _ZN7rocprim17ROCPRIM_400000_NS6detail17trampoline_kernelINS0_14default_configENS1_36segmented_radix_sort_config_selectorI12hip_bfloat16lEEZNS1_25segmented_radix_sort_implIS3_Lb0EPKS5_PS5_PKlPlN2at6native12_GLOBAL__N_18offset_tEEE10hipError_tPvRmT1_PNSt15iterator_traitsISL_E10value_typeET2_T3_PNSM_ISR_E10value_typeET4_jRbjT5_SX_jjP12ihipStream_tbEUlT_E0_NS1_11comp_targetILNS1_3genE10ELNS1_11target_archE1201ELNS1_3gpuE5ELNS1_3repE0EEENS1_60segmented_radix_sort_warp_sort_medium_config_static_selectorELNS0_4arch9wavefront6targetE0EEEvSL_
	.p2align	8
	.type	_ZN7rocprim17ROCPRIM_400000_NS6detail17trampoline_kernelINS0_14default_configENS1_36segmented_radix_sort_config_selectorI12hip_bfloat16lEEZNS1_25segmented_radix_sort_implIS3_Lb0EPKS5_PS5_PKlPlN2at6native12_GLOBAL__N_18offset_tEEE10hipError_tPvRmT1_PNSt15iterator_traitsISL_E10value_typeET2_T3_PNSM_ISR_E10value_typeET4_jRbjT5_SX_jjP12ihipStream_tbEUlT_E0_NS1_11comp_targetILNS1_3genE10ELNS1_11target_archE1201ELNS1_3gpuE5ELNS1_3repE0EEENS1_60segmented_radix_sort_warp_sort_medium_config_static_selectorELNS0_4arch9wavefront6targetE0EEEvSL_,@function
_ZN7rocprim17ROCPRIM_400000_NS6detail17trampoline_kernelINS0_14default_configENS1_36segmented_radix_sort_config_selectorI12hip_bfloat16lEEZNS1_25segmented_radix_sort_implIS3_Lb0EPKS5_PS5_PKlPlN2at6native12_GLOBAL__N_18offset_tEEE10hipError_tPvRmT1_PNSt15iterator_traitsISL_E10value_typeET2_T3_PNSM_ISR_E10value_typeET4_jRbjT5_SX_jjP12ihipStream_tbEUlT_E0_NS1_11comp_targetILNS1_3genE10ELNS1_11target_archE1201ELNS1_3gpuE5ELNS1_3repE0EEENS1_60segmented_radix_sort_warp_sort_medium_config_static_selectorELNS0_4arch9wavefront6targetE0EEEvSL_: ; @_ZN7rocprim17ROCPRIM_400000_NS6detail17trampoline_kernelINS0_14default_configENS1_36segmented_radix_sort_config_selectorI12hip_bfloat16lEEZNS1_25segmented_radix_sort_implIS3_Lb0EPKS5_PS5_PKlPlN2at6native12_GLOBAL__N_18offset_tEEE10hipError_tPvRmT1_PNSt15iterator_traitsISL_E10value_typeET2_T3_PNSM_ISR_E10value_typeET4_jRbjT5_SX_jjP12ihipStream_tbEUlT_E0_NS1_11comp_targetILNS1_3genE10ELNS1_11target_archE1201ELNS1_3gpuE5ELNS1_3repE0EEENS1_60segmented_radix_sort_warp_sort_medium_config_static_selectorELNS0_4arch9wavefront6targetE0EEEvSL_
; %bb.0:
	.section	.rodata,"a",@progbits
	.p2align	6, 0x0
	.amdhsa_kernel _ZN7rocprim17ROCPRIM_400000_NS6detail17trampoline_kernelINS0_14default_configENS1_36segmented_radix_sort_config_selectorI12hip_bfloat16lEEZNS1_25segmented_radix_sort_implIS3_Lb0EPKS5_PS5_PKlPlN2at6native12_GLOBAL__N_18offset_tEEE10hipError_tPvRmT1_PNSt15iterator_traitsISL_E10value_typeET2_T3_PNSM_ISR_E10value_typeET4_jRbjT5_SX_jjP12ihipStream_tbEUlT_E0_NS1_11comp_targetILNS1_3genE10ELNS1_11target_archE1201ELNS1_3gpuE5ELNS1_3repE0EEENS1_60segmented_radix_sort_warp_sort_medium_config_static_selectorELNS0_4arch9wavefront6targetE0EEEvSL_
		.amdhsa_group_segment_fixed_size 0
		.amdhsa_private_segment_fixed_size 0
		.amdhsa_kernarg_size 88
		.amdhsa_user_sgpr_count 2
		.amdhsa_user_sgpr_dispatch_ptr 0
		.amdhsa_user_sgpr_queue_ptr 0
		.amdhsa_user_sgpr_kernarg_segment_ptr 1
		.amdhsa_user_sgpr_dispatch_id 0
		.amdhsa_user_sgpr_kernarg_preload_length 0
		.amdhsa_user_sgpr_kernarg_preload_offset 0
		.amdhsa_user_sgpr_private_segment_size 0
		.amdhsa_wavefront_size32 1
		.amdhsa_uses_dynamic_stack 0
		.amdhsa_enable_private_segment 0
		.amdhsa_system_sgpr_workgroup_id_x 1
		.amdhsa_system_sgpr_workgroup_id_y 0
		.amdhsa_system_sgpr_workgroup_id_z 0
		.amdhsa_system_sgpr_workgroup_info 0
		.amdhsa_system_vgpr_workitem_id 0
		.amdhsa_next_free_vgpr 1
		.amdhsa_next_free_sgpr 1
		.amdhsa_named_barrier_count 0
		.amdhsa_reserve_vcc 0
		.amdhsa_float_round_mode_32 0
		.amdhsa_float_round_mode_16_64 0
		.amdhsa_float_denorm_mode_32 3
		.amdhsa_float_denorm_mode_16_64 3
		.amdhsa_fp16_overflow 0
		.amdhsa_memory_ordered 1
		.amdhsa_forward_progress 1
		.amdhsa_inst_pref_size 0
		.amdhsa_round_robin_scheduling 0
		.amdhsa_exception_fp_ieee_invalid_op 0
		.amdhsa_exception_fp_denorm_src 0
		.amdhsa_exception_fp_ieee_div_zero 0
		.amdhsa_exception_fp_ieee_overflow 0
		.amdhsa_exception_fp_ieee_underflow 0
		.amdhsa_exception_fp_ieee_inexact 0
		.amdhsa_exception_int_div_zero 0
	.end_amdhsa_kernel
	.section	.text._ZN7rocprim17ROCPRIM_400000_NS6detail17trampoline_kernelINS0_14default_configENS1_36segmented_radix_sort_config_selectorI12hip_bfloat16lEEZNS1_25segmented_radix_sort_implIS3_Lb0EPKS5_PS5_PKlPlN2at6native12_GLOBAL__N_18offset_tEEE10hipError_tPvRmT1_PNSt15iterator_traitsISL_E10value_typeET2_T3_PNSM_ISR_E10value_typeET4_jRbjT5_SX_jjP12ihipStream_tbEUlT_E0_NS1_11comp_targetILNS1_3genE10ELNS1_11target_archE1201ELNS1_3gpuE5ELNS1_3repE0EEENS1_60segmented_radix_sort_warp_sort_medium_config_static_selectorELNS0_4arch9wavefront6targetE0EEEvSL_,"axG",@progbits,_ZN7rocprim17ROCPRIM_400000_NS6detail17trampoline_kernelINS0_14default_configENS1_36segmented_radix_sort_config_selectorI12hip_bfloat16lEEZNS1_25segmented_radix_sort_implIS3_Lb0EPKS5_PS5_PKlPlN2at6native12_GLOBAL__N_18offset_tEEE10hipError_tPvRmT1_PNSt15iterator_traitsISL_E10value_typeET2_T3_PNSM_ISR_E10value_typeET4_jRbjT5_SX_jjP12ihipStream_tbEUlT_E0_NS1_11comp_targetILNS1_3genE10ELNS1_11target_archE1201ELNS1_3gpuE5ELNS1_3repE0EEENS1_60segmented_radix_sort_warp_sort_medium_config_static_selectorELNS0_4arch9wavefront6targetE0EEEvSL_,comdat
.Lfunc_end2055:
	.size	_ZN7rocprim17ROCPRIM_400000_NS6detail17trampoline_kernelINS0_14default_configENS1_36segmented_radix_sort_config_selectorI12hip_bfloat16lEEZNS1_25segmented_radix_sort_implIS3_Lb0EPKS5_PS5_PKlPlN2at6native12_GLOBAL__N_18offset_tEEE10hipError_tPvRmT1_PNSt15iterator_traitsISL_E10value_typeET2_T3_PNSM_ISR_E10value_typeET4_jRbjT5_SX_jjP12ihipStream_tbEUlT_E0_NS1_11comp_targetILNS1_3genE10ELNS1_11target_archE1201ELNS1_3gpuE5ELNS1_3repE0EEENS1_60segmented_radix_sort_warp_sort_medium_config_static_selectorELNS0_4arch9wavefront6targetE0EEEvSL_, .Lfunc_end2055-_ZN7rocprim17ROCPRIM_400000_NS6detail17trampoline_kernelINS0_14default_configENS1_36segmented_radix_sort_config_selectorI12hip_bfloat16lEEZNS1_25segmented_radix_sort_implIS3_Lb0EPKS5_PS5_PKlPlN2at6native12_GLOBAL__N_18offset_tEEE10hipError_tPvRmT1_PNSt15iterator_traitsISL_E10value_typeET2_T3_PNSM_ISR_E10value_typeET4_jRbjT5_SX_jjP12ihipStream_tbEUlT_E0_NS1_11comp_targetILNS1_3genE10ELNS1_11target_archE1201ELNS1_3gpuE5ELNS1_3repE0EEENS1_60segmented_radix_sort_warp_sort_medium_config_static_selectorELNS0_4arch9wavefront6targetE0EEEvSL_
                                        ; -- End function
	.set _ZN7rocprim17ROCPRIM_400000_NS6detail17trampoline_kernelINS0_14default_configENS1_36segmented_radix_sort_config_selectorI12hip_bfloat16lEEZNS1_25segmented_radix_sort_implIS3_Lb0EPKS5_PS5_PKlPlN2at6native12_GLOBAL__N_18offset_tEEE10hipError_tPvRmT1_PNSt15iterator_traitsISL_E10value_typeET2_T3_PNSM_ISR_E10value_typeET4_jRbjT5_SX_jjP12ihipStream_tbEUlT_E0_NS1_11comp_targetILNS1_3genE10ELNS1_11target_archE1201ELNS1_3gpuE5ELNS1_3repE0EEENS1_60segmented_radix_sort_warp_sort_medium_config_static_selectorELNS0_4arch9wavefront6targetE0EEEvSL_.num_vgpr, 0
	.set _ZN7rocprim17ROCPRIM_400000_NS6detail17trampoline_kernelINS0_14default_configENS1_36segmented_radix_sort_config_selectorI12hip_bfloat16lEEZNS1_25segmented_radix_sort_implIS3_Lb0EPKS5_PS5_PKlPlN2at6native12_GLOBAL__N_18offset_tEEE10hipError_tPvRmT1_PNSt15iterator_traitsISL_E10value_typeET2_T3_PNSM_ISR_E10value_typeET4_jRbjT5_SX_jjP12ihipStream_tbEUlT_E0_NS1_11comp_targetILNS1_3genE10ELNS1_11target_archE1201ELNS1_3gpuE5ELNS1_3repE0EEENS1_60segmented_radix_sort_warp_sort_medium_config_static_selectorELNS0_4arch9wavefront6targetE0EEEvSL_.num_agpr, 0
	.set _ZN7rocprim17ROCPRIM_400000_NS6detail17trampoline_kernelINS0_14default_configENS1_36segmented_radix_sort_config_selectorI12hip_bfloat16lEEZNS1_25segmented_radix_sort_implIS3_Lb0EPKS5_PS5_PKlPlN2at6native12_GLOBAL__N_18offset_tEEE10hipError_tPvRmT1_PNSt15iterator_traitsISL_E10value_typeET2_T3_PNSM_ISR_E10value_typeET4_jRbjT5_SX_jjP12ihipStream_tbEUlT_E0_NS1_11comp_targetILNS1_3genE10ELNS1_11target_archE1201ELNS1_3gpuE5ELNS1_3repE0EEENS1_60segmented_radix_sort_warp_sort_medium_config_static_selectorELNS0_4arch9wavefront6targetE0EEEvSL_.numbered_sgpr, 0
	.set _ZN7rocprim17ROCPRIM_400000_NS6detail17trampoline_kernelINS0_14default_configENS1_36segmented_radix_sort_config_selectorI12hip_bfloat16lEEZNS1_25segmented_radix_sort_implIS3_Lb0EPKS5_PS5_PKlPlN2at6native12_GLOBAL__N_18offset_tEEE10hipError_tPvRmT1_PNSt15iterator_traitsISL_E10value_typeET2_T3_PNSM_ISR_E10value_typeET4_jRbjT5_SX_jjP12ihipStream_tbEUlT_E0_NS1_11comp_targetILNS1_3genE10ELNS1_11target_archE1201ELNS1_3gpuE5ELNS1_3repE0EEENS1_60segmented_radix_sort_warp_sort_medium_config_static_selectorELNS0_4arch9wavefront6targetE0EEEvSL_.num_named_barrier, 0
	.set _ZN7rocprim17ROCPRIM_400000_NS6detail17trampoline_kernelINS0_14default_configENS1_36segmented_radix_sort_config_selectorI12hip_bfloat16lEEZNS1_25segmented_radix_sort_implIS3_Lb0EPKS5_PS5_PKlPlN2at6native12_GLOBAL__N_18offset_tEEE10hipError_tPvRmT1_PNSt15iterator_traitsISL_E10value_typeET2_T3_PNSM_ISR_E10value_typeET4_jRbjT5_SX_jjP12ihipStream_tbEUlT_E0_NS1_11comp_targetILNS1_3genE10ELNS1_11target_archE1201ELNS1_3gpuE5ELNS1_3repE0EEENS1_60segmented_radix_sort_warp_sort_medium_config_static_selectorELNS0_4arch9wavefront6targetE0EEEvSL_.private_seg_size, 0
	.set _ZN7rocprim17ROCPRIM_400000_NS6detail17trampoline_kernelINS0_14default_configENS1_36segmented_radix_sort_config_selectorI12hip_bfloat16lEEZNS1_25segmented_radix_sort_implIS3_Lb0EPKS5_PS5_PKlPlN2at6native12_GLOBAL__N_18offset_tEEE10hipError_tPvRmT1_PNSt15iterator_traitsISL_E10value_typeET2_T3_PNSM_ISR_E10value_typeET4_jRbjT5_SX_jjP12ihipStream_tbEUlT_E0_NS1_11comp_targetILNS1_3genE10ELNS1_11target_archE1201ELNS1_3gpuE5ELNS1_3repE0EEENS1_60segmented_radix_sort_warp_sort_medium_config_static_selectorELNS0_4arch9wavefront6targetE0EEEvSL_.uses_vcc, 0
	.set _ZN7rocprim17ROCPRIM_400000_NS6detail17trampoline_kernelINS0_14default_configENS1_36segmented_radix_sort_config_selectorI12hip_bfloat16lEEZNS1_25segmented_radix_sort_implIS3_Lb0EPKS5_PS5_PKlPlN2at6native12_GLOBAL__N_18offset_tEEE10hipError_tPvRmT1_PNSt15iterator_traitsISL_E10value_typeET2_T3_PNSM_ISR_E10value_typeET4_jRbjT5_SX_jjP12ihipStream_tbEUlT_E0_NS1_11comp_targetILNS1_3genE10ELNS1_11target_archE1201ELNS1_3gpuE5ELNS1_3repE0EEENS1_60segmented_radix_sort_warp_sort_medium_config_static_selectorELNS0_4arch9wavefront6targetE0EEEvSL_.uses_flat_scratch, 0
	.set _ZN7rocprim17ROCPRIM_400000_NS6detail17trampoline_kernelINS0_14default_configENS1_36segmented_radix_sort_config_selectorI12hip_bfloat16lEEZNS1_25segmented_radix_sort_implIS3_Lb0EPKS5_PS5_PKlPlN2at6native12_GLOBAL__N_18offset_tEEE10hipError_tPvRmT1_PNSt15iterator_traitsISL_E10value_typeET2_T3_PNSM_ISR_E10value_typeET4_jRbjT5_SX_jjP12ihipStream_tbEUlT_E0_NS1_11comp_targetILNS1_3genE10ELNS1_11target_archE1201ELNS1_3gpuE5ELNS1_3repE0EEENS1_60segmented_radix_sort_warp_sort_medium_config_static_selectorELNS0_4arch9wavefront6targetE0EEEvSL_.has_dyn_sized_stack, 0
	.set _ZN7rocprim17ROCPRIM_400000_NS6detail17trampoline_kernelINS0_14default_configENS1_36segmented_radix_sort_config_selectorI12hip_bfloat16lEEZNS1_25segmented_radix_sort_implIS3_Lb0EPKS5_PS5_PKlPlN2at6native12_GLOBAL__N_18offset_tEEE10hipError_tPvRmT1_PNSt15iterator_traitsISL_E10value_typeET2_T3_PNSM_ISR_E10value_typeET4_jRbjT5_SX_jjP12ihipStream_tbEUlT_E0_NS1_11comp_targetILNS1_3genE10ELNS1_11target_archE1201ELNS1_3gpuE5ELNS1_3repE0EEENS1_60segmented_radix_sort_warp_sort_medium_config_static_selectorELNS0_4arch9wavefront6targetE0EEEvSL_.has_recursion, 0
	.set _ZN7rocprim17ROCPRIM_400000_NS6detail17trampoline_kernelINS0_14default_configENS1_36segmented_radix_sort_config_selectorI12hip_bfloat16lEEZNS1_25segmented_radix_sort_implIS3_Lb0EPKS5_PS5_PKlPlN2at6native12_GLOBAL__N_18offset_tEEE10hipError_tPvRmT1_PNSt15iterator_traitsISL_E10value_typeET2_T3_PNSM_ISR_E10value_typeET4_jRbjT5_SX_jjP12ihipStream_tbEUlT_E0_NS1_11comp_targetILNS1_3genE10ELNS1_11target_archE1201ELNS1_3gpuE5ELNS1_3repE0EEENS1_60segmented_radix_sort_warp_sort_medium_config_static_selectorELNS0_4arch9wavefront6targetE0EEEvSL_.has_indirect_call, 0
	.section	.AMDGPU.csdata,"",@progbits
; Kernel info:
; codeLenInByte = 0
; TotalNumSgprs: 0
; NumVgprs: 0
; ScratchSize: 0
; MemoryBound: 0
; FloatMode: 240
; IeeeMode: 1
; LDSByteSize: 0 bytes/workgroup (compile time only)
; SGPRBlocks: 0
; VGPRBlocks: 0
; NumSGPRsForWavesPerEU: 1
; NumVGPRsForWavesPerEU: 1
; NamedBarCnt: 0
; Occupancy: 16
; WaveLimiterHint : 0
; COMPUTE_PGM_RSRC2:SCRATCH_EN: 0
; COMPUTE_PGM_RSRC2:USER_SGPR: 2
; COMPUTE_PGM_RSRC2:TRAP_HANDLER: 0
; COMPUTE_PGM_RSRC2:TGID_X_EN: 1
; COMPUTE_PGM_RSRC2:TGID_Y_EN: 0
; COMPUTE_PGM_RSRC2:TGID_Z_EN: 0
; COMPUTE_PGM_RSRC2:TIDIG_COMP_CNT: 0
	.section	.text._ZN7rocprim17ROCPRIM_400000_NS6detail17trampoline_kernelINS0_14default_configENS1_36segmented_radix_sort_config_selectorI12hip_bfloat16lEEZNS1_25segmented_radix_sort_implIS3_Lb0EPKS5_PS5_PKlPlN2at6native12_GLOBAL__N_18offset_tEEE10hipError_tPvRmT1_PNSt15iterator_traitsISL_E10value_typeET2_T3_PNSM_ISR_E10value_typeET4_jRbjT5_SX_jjP12ihipStream_tbEUlT_E0_NS1_11comp_targetILNS1_3genE10ELNS1_11target_archE1200ELNS1_3gpuE4ELNS1_3repE0EEENS1_60segmented_radix_sort_warp_sort_medium_config_static_selectorELNS0_4arch9wavefront6targetE0EEEvSL_,"axG",@progbits,_ZN7rocprim17ROCPRIM_400000_NS6detail17trampoline_kernelINS0_14default_configENS1_36segmented_radix_sort_config_selectorI12hip_bfloat16lEEZNS1_25segmented_radix_sort_implIS3_Lb0EPKS5_PS5_PKlPlN2at6native12_GLOBAL__N_18offset_tEEE10hipError_tPvRmT1_PNSt15iterator_traitsISL_E10value_typeET2_T3_PNSM_ISR_E10value_typeET4_jRbjT5_SX_jjP12ihipStream_tbEUlT_E0_NS1_11comp_targetILNS1_3genE10ELNS1_11target_archE1200ELNS1_3gpuE4ELNS1_3repE0EEENS1_60segmented_radix_sort_warp_sort_medium_config_static_selectorELNS0_4arch9wavefront6targetE0EEEvSL_,comdat
	.globl	_ZN7rocprim17ROCPRIM_400000_NS6detail17trampoline_kernelINS0_14default_configENS1_36segmented_radix_sort_config_selectorI12hip_bfloat16lEEZNS1_25segmented_radix_sort_implIS3_Lb0EPKS5_PS5_PKlPlN2at6native12_GLOBAL__N_18offset_tEEE10hipError_tPvRmT1_PNSt15iterator_traitsISL_E10value_typeET2_T3_PNSM_ISR_E10value_typeET4_jRbjT5_SX_jjP12ihipStream_tbEUlT_E0_NS1_11comp_targetILNS1_3genE10ELNS1_11target_archE1200ELNS1_3gpuE4ELNS1_3repE0EEENS1_60segmented_radix_sort_warp_sort_medium_config_static_selectorELNS0_4arch9wavefront6targetE0EEEvSL_ ; -- Begin function _ZN7rocprim17ROCPRIM_400000_NS6detail17trampoline_kernelINS0_14default_configENS1_36segmented_radix_sort_config_selectorI12hip_bfloat16lEEZNS1_25segmented_radix_sort_implIS3_Lb0EPKS5_PS5_PKlPlN2at6native12_GLOBAL__N_18offset_tEEE10hipError_tPvRmT1_PNSt15iterator_traitsISL_E10value_typeET2_T3_PNSM_ISR_E10value_typeET4_jRbjT5_SX_jjP12ihipStream_tbEUlT_E0_NS1_11comp_targetILNS1_3genE10ELNS1_11target_archE1200ELNS1_3gpuE4ELNS1_3repE0EEENS1_60segmented_radix_sort_warp_sort_medium_config_static_selectorELNS0_4arch9wavefront6targetE0EEEvSL_
	.p2align	8
	.type	_ZN7rocprim17ROCPRIM_400000_NS6detail17trampoline_kernelINS0_14default_configENS1_36segmented_radix_sort_config_selectorI12hip_bfloat16lEEZNS1_25segmented_radix_sort_implIS3_Lb0EPKS5_PS5_PKlPlN2at6native12_GLOBAL__N_18offset_tEEE10hipError_tPvRmT1_PNSt15iterator_traitsISL_E10value_typeET2_T3_PNSM_ISR_E10value_typeET4_jRbjT5_SX_jjP12ihipStream_tbEUlT_E0_NS1_11comp_targetILNS1_3genE10ELNS1_11target_archE1200ELNS1_3gpuE4ELNS1_3repE0EEENS1_60segmented_radix_sort_warp_sort_medium_config_static_selectorELNS0_4arch9wavefront6targetE0EEEvSL_,@function
_ZN7rocprim17ROCPRIM_400000_NS6detail17trampoline_kernelINS0_14default_configENS1_36segmented_radix_sort_config_selectorI12hip_bfloat16lEEZNS1_25segmented_radix_sort_implIS3_Lb0EPKS5_PS5_PKlPlN2at6native12_GLOBAL__N_18offset_tEEE10hipError_tPvRmT1_PNSt15iterator_traitsISL_E10value_typeET2_T3_PNSM_ISR_E10value_typeET4_jRbjT5_SX_jjP12ihipStream_tbEUlT_E0_NS1_11comp_targetILNS1_3genE10ELNS1_11target_archE1200ELNS1_3gpuE4ELNS1_3repE0EEENS1_60segmented_radix_sort_warp_sort_medium_config_static_selectorELNS0_4arch9wavefront6targetE0EEEvSL_: ; @_ZN7rocprim17ROCPRIM_400000_NS6detail17trampoline_kernelINS0_14default_configENS1_36segmented_radix_sort_config_selectorI12hip_bfloat16lEEZNS1_25segmented_radix_sort_implIS3_Lb0EPKS5_PS5_PKlPlN2at6native12_GLOBAL__N_18offset_tEEE10hipError_tPvRmT1_PNSt15iterator_traitsISL_E10value_typeET2_T3_PNSM_ISR_E10value_typeET4_jRbjT5_SX_jjP12ihipStream_tbEUlT_E0_NS1_11comp_targetILNS1_3genE10ELNS1_11target_archE1200ELNS1_3gpuE4ELNS1_3repE0EEENS1_60segmented_radix_sort_warp_sort_medium_config_static_selectorELNS0_4arch9wavefront6targetE0EEEvSL_
; %bb.0:
	.section	.rodata,"a",@progbits
	.p2align	6, 0x0
	.amdhsa_kernel _ZN7rocprim17ROCPRIM_400000_NS6detail17trampoline_kernelINS0_14default_configENS1_36segmented_radix_sort_config_selectorI12hip_bfloat16lEEZNS1_25segmented_radix_sort_implIS3_Lb0EPKS5_PS5_PKlPlN2at6native12_GLOBAL__N_18offset_tEEE10hipError_tPvRmT1_PNSt15iterator_traitsISL_E10value_typeET2_T3_PNSM_ISR_E10value_typeET4_jRbjT5_SX_jjP12ihipStream_tbEUlT_E0_NS1_11comp_targetILNS1_3genE10ELNS1_11target_archE1200ELNS1_3gpuE4ELNS1_3repE0EEENS1_60segmented_radix_sort_warp_sort_medium_config_static_selectorELNS0_4arch9wavefront6targetE0EEEvSL_
		.amdhsa_group_segment_fixed_size 0
		.amdhsa_private_segment_fixed_size 0
		.amdhsa_kernarg_size 88
		.amdhsa_user_sgpr_count 2
		.amdhsa_user_sgpr_dispatch_ptr 0
		.amdhsa_user_sgpr_queue_ptr 0
		.amdhsa_user_sgpr_kernarg_segment_ptr 1
		.amdhsa_user_sgpr_dispatch_id 0
		.amdhsa_user_sgpr_kernarg_preload_length 0
		.amdhsa_user_sgpr_kernarg_preload_offset 0
		.amdhsa_user_sgpr_private_segment_size 0
		.amdhsa_wavefront_size32 1
		.amdhsa_uses_dynamic_stack 0
		.amdhsa_enable_private_segment 0
		.amdhsa_system_sgpr_workgroup_id_x 1
		.amdhsa_system_sgpr_workgroup_id_y 0
		.amdhsa_system_sgpr_workgroup_id_z 0
		.amdhsa_system_sgpr_workgroup_info 0
		.amdhsa_system_vgpr_workitem_id 0
		.amdhsa_next_free_vgpr 1
		.amdhsa_next_free_sgpr 1
		.amdhsa_named_barrier_count 0
		.amdhsa_reserve_vcc 0
		.amdhsa_float_round_mode_32 0
		.amdhsa_float_round_mode_16_64 0
		.amdhsa_float_denorm_mode_32 3
		.amdhsa_float_denorm_mode_16_64 3
		.amdhsa_fp16_overflow 0
		.amdhsa_memory_ordered 1
		.amdhsa_forward_progress 1
		.amdhsa_inst_pref_size 0
		.amdhsa_round_robin_scheduling 0
		.amdhsa_exception_fp_ieee_invalid_op 0
		.amdhsa_exception_fp_denorm_src 0
		.amdhsa_exception_fp_ieee_div_zero 0
		.amdhsa_exception_fp_ieee_overflow 0
		.amdhsa_exception_fp_ieee_underflow 0
		.amdhsa_exception_fp_ieee_inexact 0
		.amdhsa_exception_int_div_zero 0
	.end_amdhsa_kernel
	.section	.text._ZN7rocprim17ROCPRIM_400000_NS6detail17trampoline_kernelINS0_14default_configENS1_36segmented_radix_sort_config_selectorI12hip_bfloat16lEEZNS1_25segmented_radix_sort_implIS3_Lb0EPKS5_PS5_PKlPlN2at6native12_GLOBAL__N_18offset_tEEE10hipError_tPvRmT1_PNSt15iterator_traitsISL_E10value_typeET2_T3_PNSM_ISR_E10value_typeET4_jRbjT5_SX_jjP12ihipStream_tbEUlT_E0_NS1_11comp_targetILNS1_3genE10ELNS1_11target_archE1200ELNS1_3gpuE4ELNS1_3repE0EEENS1_60segmented_radix_sort_warp_sort_medium_config_static_selectorELNS0_4arch9wavefront6targetE0EEEvSL_,"axG",@progbits,_ZN7rocprim17ROCPRIM_400000_NS6detail17trampoline_kernelINS0_14default_configENS1_36segmented_radix_sort_config_selectorI12hip_bfloat16lEEZNS1_25segmented_radix_sort_implIS3_Lb0EPKS5_PS5_PKlPlN2at6native12_GLOBAL__N_18offset_tEEE10hipError_tPvRmT1_PNSt15iterator_traitsISL_E10value_typeET2_T3_PNSM_ISR_E10value_typeET4_jRbjT5_SX_jjP12ihipStream_tbEUlT_E0_NS1_11comp_targetILNS1_3genE10ELNS1_11target_archE1200ELNS1_3gpuE4ELNS1_3repE0EEENS1_60segmented_radix_sort_warp_sort_medium_config_static_selectorELNS0_4arch9wavefront6targetE0EEEvSL_,comdat
.Lfunc_end2056:
	.size	_ZN7rocprim17ROCPRIM_400000_NS6detail17trampoline_kernelINS0_14default_configENS1_36segmented_radix_sort_config_selectorI12hip_bfloat16lEEZNS1_25segmented_radix_sort_implIS3_Lb0EPKS5_PS5_PKlPlN2at6native12_GLOBAL__N_18offset_tEEE10hipError_tPvRmT1_PNSt15iterator_traitsISL_E10value_typeET2_T3_PNSM_ISR_E10value_typeET4_jRbjT5_SX_jjP12ihipStream_tbEUlT_E0_NS1_11comp_targetILNS1_3genE10ELNS1_11target_archE1200ELNS1_3gpuE4ELNS1_3repE0EEENS1_60segmented_radix_sort_warp_sort_medium_config_static_selectorELNS0_4arch9wavefront6targetE0EEEvSL_, .Lfunc_end2056-_ZN7rocprim17ROCPRIM_400000_NS6detail17trampoline_kernelINS0_14default_configENS1_36segmented_radix_sort_config_selectorI12hip_bfloat16lEEZNS1_25segmented_radix_sort_implIS3_Lb0EPKS5_PS5_PKlPlN2at6native12_GLOBAL__N_18offset_tEEE10hipError_tPvRmT1_PNSt15iterator_traitsISL_E10value_typeET2_T3_PNSM_ISR_E10value_typeET4_jRbjT5_SX_jjP12ihipStream_tbEUlT_E0_NS1_11comp_targetILNS1_3genE10ELNS1_11target_archE1200ELNS1_3gpuE4ELNS1_3repE0EEENS1_60segmented_radix_sort_warp_sort_medium_config_static_selectorELNS0_4arch9wavefront6targetE0EEEvSL_
                                        ; -- End function
	.set _ZN7rocprim17ROCPRIM_400000_NS6detail17trampoline_kernelINS0_14default_configENS1_36segmented_radix_sort_config_selectorI12hip_bfloat16lEEZNS1_25segmented_radix_sort_implIS3_Lb0EPKS5_PS5_PKlPlN2at6native12_GLOBAL__N_18offset_tEEE10hipError_tPvRmT1_PNSt15iterator_traitsISL_E10value_typeET2_T3_PNSM_ISR_E10value_typeET4_jRbjT5_SX_jjP12ihipStream_tbEUlT_E0_NS1_11comp_targetILNS1_3genE10ELNS1_11target_archE1200ELNS1_3gpuE4ELNS1_3repE0EEENS1_60segmented_radix_sort_warp_sort_medium_config_static_selectorELNS0_4arch9wavefront6targetE0EEEvSL_.num_vgpr, 0
	.set _ZN7rocprim17ROCPRIM_400000_NS6detail17trampoline_kernelINS0_14default_configENS1_36segmented_radix_sort_config_selectorI12hip_bfloat16lEEZNS1_25segmented_radix_sort_implIS3_Lb0EPKS5_PS5_PKlPlN2at6native12_GLOBAL__N_18offset_tEEE10hipError_tPvRmT1_PNSt15iterator_traitsISL_E10value_typeET2_T3_PNSM_ISR_E10value_typeET4_jRbjT5_SX_jjP12ihipStream_tbEUlT_E0_NS1_11comp_targetILNS1_3genE10ELNS1_11target_archE1200ELNS1_3gpuE4ELNS1_3repE0EEENS1_60segmented_radix_sort_warp_sort_medium_config_static_selectorELNS0_4arch9wavefront6targetE0EEEvSL_.num_agpr, 0
	.set _ZN7rocprim17ROCPRIM_400000_NS6detail17trampoline_kernelINS0_14default_configENS1_36segmented_radix_sort_config_selectorI12hip_bfloat16lEEZNS1_25segmented_radix_sort_implIS3_Lb0EPKS5_PS5_PKlPlN2at6native12_GLOBAL__N_18offset_tEEE10hipError_tPvRmT1_PNSt15iterator_traitsISL_E10value_typeET2_T3_PNSM_ISR_E10value_typeET4_jRbjT5_SX_jjP12ihipStream_tbEUlT_E0_NS1_11comp_targetILNS1_3genE10ELNS1_11target_archE1200ELNS1_3gpuE4ELNS1_3repE0EEENS1_60segmented_radix_sort_warp_sort_medium_config_static_selectorELNS0_4arch9wavefront6targetE0EEEvSL_.numbered_sgpr, 0
	.set _ZN7rocprim17ROCPRIM_400000_NS6detail17trampoline_kernelINS0_14default_configENS1_36segmented_radix_sort_config_selectorI12hip_bfloat16lEEZNS1_25segmented_radix_sort_implIS3_Lb0EPKS5_PS5_PKlPlN2at6native12_GLOBAL__N_18offset_tEEE10hipError_tPvRmT1_PNSt15iterator_traitsISL_E10value_typeET2_T3_PNSM_ISR_E10value_typeET4_jRbjT5_SX_jjP12ihipStream_tbEUlT_E0_NS1_11comp_targetILNS1_3genE10ELNS1_11target_archE1200ELNS1_3gpuE4ELNS1_3repE0EEENS1_60segmented_radix_sort_warp_sort_medium_config_static_selectorELNS0_4arch9wavefront6targetE0EEEvSL_.num_named_barrier, 0
	.set _ZN7rocprim17ROCPRIM_400000_NS6detail17trampoline_kernelINS0_14default_configENS1_36segmented_radix_sort_config_selectorI12hip_bfloat16lEEZNS1_25segmented_radix_sort_implIS3_Lb0EPKS5_PS5_PKlPlN2at6native12_GLOBAL__N_18offset_tEEE10hipError_tPvRmT1_PNSt15iterator_traitsISL_E10value_typeET2_T3_PNSM_ISR_E10value_typeET4_jRbjT5_SX_jjP12ihipStream_tbEUlT_E0_NS1_11comp_targetILNS1_3genE10ELNS1_11target_archE1200ELNS1_3gpuE4ELNS1_3repE0EEENS1_60segmented_radix_sort_warp_sort_medium_config_static_selectorELNS0_4arch9wavefront6targetE0EEEvSL_.private_seg_size, 0
	.set _ZN7rocprim17ROCPRIM_400000_NS6detail17trampoline_kernelINS0_14default_configENS1_36segmented_radix_sort_config_selectorI12hip_bfloat16lEEZNS1_25segmented_radix_sort_implIS3_Lb0EPKS5_PS5_PKlPlN2at6native12_GLOBAL__N_18offset_tEEE10hipError_tPvRmT1_PNSt15iterator_traitsISL_E10value_typeET2_T3_PNSM_ISR_E10value_typeET4_jRbjT5_SX_jjP12ihipStream_tbEUlT_E0_NS1_11comp_targetILNS1_3genE10ELNS1_11target_archE1200ELNS1_3gpuE4ELNS1_3repE0EEENS1_60segmented_radix_sort_warp_sort_medium_config_static_selectorELNS0_4arch9wavefront6targetE0EEEvSL_.uses_vcc, 0
	.set _ZN7rocprim17ROCPRIM_400000_NS6detail17trampoline_kernelINS0_14default_configENS1_36segmented_radix_sort_config_selectorI12hip_bfloat16lEEZNS1_25segmented_radix_sort_implIS3_Lb0EPKS5_PS5_PKlPlN2at6native12_GLOBAL__N_18offset_tEEE10hipError_tPvRmT1_PNSt15iterator_traitsISL_E10value_typeET2_T3_PNSM_ISR_E10value_typeET4_jRbjT5_SX_jjP12ihipStream_tbEUlT_E0_NS1_11comp_targetILNS1_3genE10ELNS1_11target_archE1200ELNS1_3gpuE4ELNS1_3repE0EEENS1_60segmented_radix_sort_warp_sort_medium_config_static_selectorELNS0_4arch9wavefront6targetE0EEEvSL_.uses_flat_scratch, 0
	.set _ZN7rocprim17ROCPRIM_400000_NS6detail17trampoline_kernelINS0_14default_configENS1_36segmented_radix_sort_config_selectorI12hip_bfloat16lEEZNS1_25segmented_radix_sort_implIS3_Lb0EPKS5_PS5_PKlPlN2at6native12_GLOBAL__N_18offset_tEEE10hipError_tPvRmT1_PNSt15iterator_traitsISL_E10value_typeET2_T3_PNSM_ISR_E10value_typeET4_jRbjT5_SX_jjP12ihipStream_tbEUlT_E0_NS1_11comp_targetILNS1_3genE10ELNS1_11target_archE1200ELNS1_3gpuE4ELNS1_3repE0EEENS1_60segmented_radix_sort_warp_sort_medium_config_static_selectorELNS0_4arch9wavefront6targetE0EEEvSL_.has_dyn_sized_stack, 0
	.set _ZN7rocprim17ROCPRIM_400000_NS6detail17trampoline_kernelINS0_14default_configENS1_36segmented_radix_sort_config_selectorI12hip_bfloat16lEEZNS1_25segmented_radix_sort_implIS3_Lb0EPKS5_PS5_PKlPlN2at6native12_GLOBAL__N_18offset_tEEE10hipError_tPvRmT1_PNSt15iterator_traitsISL_E10value_typeET2_T3_PNSM_ISR_E10value_typeET4_jRbjT5_SX_jjP12ihipStream_tbEUlT_E0_NS1_11comp_targetILNS1_3genE10ELNS1_11target_archE1200ELNS1_3gpuE4ELNS1_3repE0EEENS1_60segmented_radix_sort_warp_sort_medium_config_static_selectorELNS0_4arch9wavefront6targetE0EEEvSL_.has_recursion, 0
	.set _ZN7rocprim17ROCPRIM_400000_NS6detail17trampoline_kernelINS0_14default_configENS1_36segmented_radix_sort_config_selectorI12hip_bfloat16lEEZNS1_25segmented_radix_sort_implIS3_Lb0EPKS5_PS5_PKlPlN2at6native12_GLOBAL__N_18offset_tEEE10hipError_tPvRmT1_PNSt15iterator_traitsISL_E10value_typeET2_T3_PNSM_ISR_E10value_typeET4_jRbjT5_SX_jjP12ihipStream_tbEUlT_E0_NS1_11comp_targetILNS1_3genE10ELNS1_11target_archE1200ELNS1_3gpuE4ELNS1_3repE0EEENS1_60segmented_radix_sort_warp_sort_medium_config_static_selectorELNS0_4arch9wavefront6targetE0EEEvSL_.has_indirect_call, 0
	.section	.AMDGPU.csdata,"",@progbits
; Kernel info:
; codeLenInByte = 0
; TotalNumSgprs: 0
; NumVgprs: 0
; ScratchSize: 0
; MemoryBound: 0
; FloatMode: 240
; IeeeMode: 1
; LDSByteSize: 0 bytes/workgroup (compile time only)
; SGPRBlocks: 0
; VGPRBlocks: 0
; NumSGPRsForWavesPerEU: 1
; NumVGPRsForWavesPerEU: 1
; NamedBarCnt: 0
; Occupancy: 16
; WaveLimiterHint : 0
; COMPUTE_PGM_RSRC2:SCRATCH_EN: 0
; COMPUTE_PGM_RSRC2:USER_SGPR: 2
; COMPUTE_PGM_RSRC2:TRAP_HANDLER: 0
; COMPUTE_PGM_RSRC2:TGID_X_EN: 1
; COMPUTE_PGM_RSRC2:TGID_Y_EN: 0
; COMPUTE_PGM_RSRC2:TGID_Z_EN: 0
; COMPUTE_PGM_RSRC2:TIDIG_COMP_CNT: 0
	.section	.text._ZN7rocprim17ROCPRIM_400000_NS6detail17trampoline_kernelINS0_14default_configENS1_36segmented_radix_sort_config_selectorI12hip_bfloat16lEEZNS1_25segmented_radix_sort_implIS3_Lb0EPKS5_PS5_PKlPlN2at6native12_GLOBAL__N_18offset_tEEE10hipError_tPvRmT1_PNSt15iterator_traitsISL_E10value_typeET2_T3_PNSM_ISR_E10value_typeET4_jRbjT5_SX_jjP12ihipStream_tbEUlT_E0_NS1_11comp_targetILNS1_3genE9ELNS1_11target_archE1100ELNS1_3gpuE3ELNS1_3repE0EEENS1_60segmented_radix_sort_warp_sort_medium_config_static_selectorELNS0_4arch9wavefront6targetE0EEEvSL_,"axG",@progbits,_ZN7rocprim17ROCPRIM_400000_NS6detail17trampoline_kernelINS0_14default_configENS1_36segmented_radix_sort_config_selectorI12hip_bfloat16lEEZNS1_25segmented_radix_sort_implIS3_Lb0EPKS5_PS5_PKlPlN2at6native12_GLOBAL__N_18offset_tEEE10hipError_tPvRmT1_PNSt15iterator_traitsISL_E10value_typeET2_T3_PNSM_ISR_E10value_typeET4_jRbjT5_SX_jjP12ihipStream_tbEUlT_E0_NS1_11comp_targetILNS1_3genE9ELNS1_11target_archE1100ELNS1_3gpuE3ELNS1_3repE0EEENS1_60segmented_radix_sort_warp_sort_medium_config_static_selectorELNS0_4arch9wavefront6targetE0EEEvSL_,comdat
	.globl	_ZN7rocprim17ROCPRIM_400000_NS6detail17trampoline_kernelINS0_14default_configENS1_36segmented_radix_sort_config_selectorI12hip_bfloat16lEEZNS1_25segmented_radix_sort_implIS3_Lb0EPKS5_PS5_PKlPlN2at6native12_GLOBAL__N_18offset_tEEE10hipError_tPvRmT1_PNSt15iterator_traitsISL_E10value_typeET2_T3_PNSM_ISR_E10value_typeET4_jRbjT5_SX_jjP12ihipStream_tbEUlT_E0_NS1_11comp_targetILNS1_3genE9ELNS1_11target_archE1100ELNS1_3gpuE3ELNS1_3repE0EEENS1_60segmented_radix_sort_warp_sort_medium_config_static_selectorELNS0_4arch9wavefront6targetE0EEEvSL_ ; -- Begin function _ZN7rocprim17ROCPRIM_400000_NS6detail17trampoline_kernelINS0_14default_configENS1_36segmented_radix_sort_config_selectorI12hip_bfloat16lEEZNS1_25segmented_radix_sort_implIS3_Lb0EPKS5_PS5_PKlPlN2at6native12_GLOBAL__N_18offset_tEEE10hipError_tPvRmT1_PNSt15iterator_traitsISL_E10value_typeET2_T3_PNSM_ISR_E10value_typeET4_jRbjT5_SX_jjP12ihipStream_tbEUlT_E0_NS1_11comp_targetILNS1_3genE9ELNS1_11target_archE1100ELNS1_3gpuE3ELNS1_3repE0EEENS1_60segmented_radix_sort_warp_sort_medium_config_static_selectorELNS0_4arch9wavefront6targetE0EEEvSL_
	.p2align	8
	.type	_ZN7rocprim17ROCPRIM_400000_NS6detail17trampoline_kernelINS0_14default_configENS1_36segmented_radix_sort_config_selectorI12hip_bfloat16lEEZNS1_25segmented_radix_sort_implIS3_Lb0EPKS5_PS5_PKlPlN2at6native12_GLOBAL__N_18offset_tEEE10hipError_tPvRmT1_PNSt15iterator_traitsISL_E10value_typeET2_T3_PNSM_ISR_E10value_typeET4_jRbjT5_SX_jjP12ihipStream_tbEUlT_E0_NS1_11comp_targetILNS1_3genE9ELNS1_11target_archE1100ELNS1_3gpuE3ELNS1_3repE0EEENS1_60segmented_radix_sort_warp_sort_medium_config_static_selectorELNS0_4arch9wavefront6targetE0EEEvSL_,@function
_ZN7rocprim17ROCPRIM_400000_NS6detail17trampoline_kernelINS0_14default_configENS1_36segmented_radix_sort_config_selectorI12hip_bfloat16lEEZNS1_25segmented_radix_sort_implIS3_Lb0EPKS5_PS5_PKlPlN2at6native12_GLOBAL__N_18offset_tEEE10hipError_tPvRmT1_PNSt15iterator_traitsISL_E10value_typeET2_T3_PNSM_ISR_E10value_typeET4_jRbjT5_SX_jjP12ihipStream_tbEUlT_E0_NS1_11comp_targetILNS1_3genE9ELNS1_11target_archE1100ELNS1_3gpuE3ELNS1_3repE0EEENS1_60segmented_radix_sort_warp_sort_medium_config_static_selectorELNS0_4arch9wavefront6targetE0EEEvSL_: ; @_ZN7rocprim17ROCPRIM_400000_NS6detail17trampoline_kernelINS0_14default_configENS1_36segmented_radix_sort_config_selectorI12hip_bfloat16lEEZNS1_25segmented_radix_sort_implIS3_Lb0EPKS5_PS5_PKlPlN2at6native12_GLOBAL__N_18offset_tEEE10hipError_tPvRmT1_PNSt15iterator_traitsISL_E10value_typeET2_T3_PNSM_ISR_E10value_typeET4_jRbjT5_SX_jjP12ihipStream_tbEUlT_E0_NS1_11comp_targetILNS1_3genE9ELNS1_11target_archE1100ELNS1_3gpuE3ELNS1_3repE0EEENS1_60segmented_radix_sort_warp_sort_medium_config_static_selectorELNS0_4arch9wavefront6targetE0EEEvSL_
; %bb.0:
	.section	.rodata,"a",@progbits
	.p2align	6, 0x0
	.amdhsa_kernel _ZN7rocprim17ROCPRIM_400000_NS6detail17trampoline_kernelINS0_14default_configENS1_36segmented_radix_sort_config_selectorI12hip_bfloat16lEEZNS1_25segmented_radix_sort_implIS3_Lb0EPKS5_PS5_PKlPlN2at6native12_GLOBAL__N_18offset_tEEE10hipError_tPvRmT1_PNSt15iterator_traitsISL_E10value_typeET2_T3_PNSM_ISR_E10value_typeET4_jRbjT5_SX_jjP12ihipStream_tbEUlT_E0_NS1_11comp_targetILNS1_3genE9ELNS1_11target_archE1100ELNS1_3gpuE3ELNS1_3repE0EEENS1_60segmented_radix_sort_warp_sort_medium_config_static_selectorELNS0_4arch9wavefront6targetE0EEEvSL_
		.amdhsa_group_segment_fixed_size 0
		.amdhsa_private_segment_fixed_size 0
		.amdhsa_kernarg_size 88
		.amdhsa_user_sgpr_count 2
		.amdhsa_user_sgpr_dispatch_ptr 0
		.amdhsa_user_sgpr_queue_ptr 0
		.amdhsa_user_sgpr_kernarg_segment_ptr 1
		.amdhsa_user_sgpr_dispatch_id 0
		.amdhsa_user_sgpr_kernarg_preload_length 0
		.amdhsa_user_sgpr_kernarg_preload_offset 0
		.amdhsa_user_sgpr_private_segment_size 0
		.amdhsa_wavefront_size32 1
		.amdhsa_uses_dynamic_stack 0
		.amdhsa_enable_private_segment 0
		.amdhsa_system_sgpr_workgroup_id_x 1
		.amdhsa_system_sgpr_workgroup_id_y 0
		.amdhsa_system_sgpr_workgroup_id_z 0
		.amdhsa_system_sgpr_workgroup_info 0
		.amdhsa_system_vgpr_workitem_id 0
		.amdhsa_next_free_vgpr 1
		.amdhsa_next_free_sgpr 1
		.amdhsa_named_barrier_count 0
		.amdhsa_reserve_vcc 0
		.amdhsa_float_round_mode_32 0
		.amdhsa_float_round_mode_16_64 0
		.amdhsa_float_denorm_mode_32 3
		.amdhsa_float_denorm_mode_16_64 3
		.amdhsa_fp16_overflow 0
		.amdhsa_memory_ordered 1
		.amdhsa_forward_progress 1
		.amdhsa_inst_pref_size 0
		.amdhsa_round_robin_scheduling 0
		.amdhsa_exception_fp_ieee_invalid_op 0
		.amdhsa_exception_fp_denorm_src 0
		.amdhsa_exception_fp_ieee_div_zero 0
		.amdhsa_exception_fp_ieee_overflow 0
		.amdhsa_exception_fp_ieee_underflow 0
		.amdhsa_exception_fp_ieee_inexact 0
		.amdhsa_exception_int_div_zero 0
	.end_amdhsa_kernel
	.section	.text._ZN7rocprim17ROCPRIM_400000_NS6detail17trampoline_kernelINS0_14default_configENS1_36segmented_radix_sort_config_selectorI12hip_bfloat16lEEZNS1_25segmented_radix_sort_implIS3_Lb0EPKS5_PS5_PKlPlN2at6native12_GLOBAL__N_18offset_tEEE10hipError_tPvRmT1_PNSt15iterator_traitsISL_E10value_typeET2_T3_PNSM_ISR_E10value_typeET4_jRbjT5_SX_jjP12ihipStream_tbEUlT_E0_NS1_11comp_targetILNS1_3genE9ELNS1_11target_archE1100ELNS1_3gpuE3ELNS1_3repE0EEENS1_60segmented_radix_sort_warp_sort_medium_config_static_selectorELNS0_4arch9wavefront6targetE0EEEvSL_,"axG",@progbits,_ZN7rocprim17ROCPRIM_400000_NS6detail17trampoline_kernelINS0_14default_configENS1_36segmented_radix_sort_config_selectorI12hip_bfloat16lEEZNS1_25segmented_radix_sort_implIS3_Lb0EPKS5_PS5_PKlPlN2at6native12_GLOBAL__N_18offset_tEEE10hipError_tPvRmT1_PNSt15iterator_traitsISL_E10value_typeET2_T3_PNSM_ISR_E10value_typeET4_jRbjT5_SX_jjP12ihipStream_tbEUlT_E0_NS1_11comp_targetILNS1_3genE9ELNS1_11target_archE1100ELNS1_3gpuE3ELNS1_3repE0EEENS1_60segmented_radix_sort_warp_sort_medium_config_static_selectorELNS0_4arch9wavefront6targetE0EEEvSL_,comdat
.Lfunc_end2057:
	.size	_ZN7rocprim17ROCPRIM_400000_NS6detail17trampoline_kernelINS0_14default_configENS1_36segmented_radix_sort_config_selectorI12hip_bfloat16lEEZNS1_25segmented_radix_sort_implIS3_Lb0EPKS5_PS5_PKlPlN2at6native12_GLOBAL__N_18offset_tEEE10hipError_tPvRmT1_PNSt15iterator_traitsISL_E10value_typeET2_T3_PNSM_ISR_E10value_typeET4_jRbjT5_SX_jjP12ihipStream_tbEUlT_E0_NS1_11comp_targetILNS1_3genE9ELNS1_11target_archE1100ELNS1_3gpuE3ELNS1_3repE0EEENS1_60segmented_radix_sort_warp_sort_medium_config_static_selectorELNS0_4arch9wavefront6targetE0EEEvSL_, .Lfunc_end2057-_ZN7rocprim17ROCPRIM_400000_NS6detail17trampoline_kernelINS0_14default_configENS1_36segmented_radix_sort_config_selectorI12hip_bfloat16lEEZNS1_25segmented_radix_sort_implIS3_Lb0EPKS5_PS5_PKlPlN2at6native12_GLOBAL__N_18offset_tEEE10hipError_tPvRmT1_PNSt15iterator_traitsISL_E10value_typeET2_T3_PNSM_ISR_E10value_typeET4_jRbjT5_SX_jjP12ihipStream_tbEUlT_E0_NS1_11comp_targetILNS1_3genE9ELNS1_11target_archE1100ELNS1_3gpuE3ELNS1_3repE0EEENS1_60segmented_radix_sort_warp_sort_medium_config_static_selectorELNS0_4arch9wavefront6targetE0EEEvSL_
                                        ; -- End function
	.set _ZN7rocprim17ROCPRIM_400000_NS6detail17trampoline_kernelINS0_14default_configENS1_36segmented_radix_sort_config_selectorI12hip_bfloat16lEEZNS1_25segmented_radix_sort_implIS3_Lb0EPKS5_PS5_PKlPlN2at6native12_GLOBAL__N_18offset_tEEE10hipError_tPvRmT1_PNSt15iterator_traitsISL_E10value_typeET2_T3_PNSM_ISR_E10value_typeET4_jRbjT5_SX_jjP12ihipStream_tbEUlT_E0_NS1_11comp_targetILNS1_3genE9ELNS1_11target_archE1100ELNS1_3gpuE3ELNS1_3repE0EEENS1_60segmented_radix_sort_warp_sort_medium_config_static_selectorELNS0_4arch9wavefront6targetE0EEEvSL_.num_vgpr, 0
	.set _ZN7rocprim17ROCPRIM_400000_NS6detail17trampoline_kernelINS0_14default_configENS1_36segmented_radix_sort_config_selectorI12hip_bfloat16lEEZNS1_25segmented_radix_sort_implIS3_Lb0EPKS5_PS5_PKlPlN2at6native12_GLOBAL__N_18offset_tEEE10hipError_tPvRmT1_PNSt15iterator_traitsISL_E10value_typeET2_T3_PNSM_ISR_E10value_typeET4_jRbjT5_SX_jjP12ihipStream_tbEUlT_E0_NS1_11comp_targetILNS1_3genE9ELNS1_11target_archE1100ELNS1_3gpuE3ELNS1_3repE0EEENS1_60segmented_radix_sort_warp_sort_medium_config_static_selectorELNS0_4arch9wavefront6targetE0EEEvSL_.num_agpr, 0
	.set _ZN7rocprim17ROCPRIM_400000_NS6detail17trampoline_kernelINS0_14default_configENS1_36segmented_radix_sort_config_selectorI12hip_bfloat16lEEZNS1_25segmented_radix_sort_implIS3_Lb0EPKS5_PS5_PKlPlN2at6native12_GLOBAL__N_18offset_tEEE10hipError_tPvRmT1_PNSt15iterator_traitsISL_E10value_typeET2_T3_PNSM_ISR_E10value_typeET4_jRbjT5_SX_jjP12ihipStream_tbEUlT_E0_NS1_11comp_targetILNS1_3genE9ELNS1_11target_archE1100ELNS1_3gpuE3ELNS1_3repE0EEENS1_60segmented_radix_sort_warp_sort_medium_config_static_selectorELNS0_4arch9wavefront6targetE0EEEvSL_.numbered_sgpr, 0
	.set _ZN7rocprim17ROCPRIM_400000_NS6detail17trampoline_kernelINS0_14default_configENS1_36segmented_radix_sort_config_selectorI12hip_bfloat16lEEZNS1_25segmented_radix_sort_implIS3_Lb0EPKS5_PS5_PKlPlN2at6native12_GLOBAL__N_18offset_tEEE10hipError_tPvRmT1_PNSt15iterator_traitsISL_E10value_typeET2_T3_PNSM_ISR_E10value_typeET4_jRbjT5_SX_jjP12ihipStream_tbEUlT_E0_NS1_11comp_targetILNS1_3genE9ELNS1_11target_archE1100ELNS1_3gpuE3ELNS1_3repE0EEENS1_60segmented_radix_sort_warp_sort_medium_config_static_selectorELNS0_4arch9wavefront6targetE0EEEvSL_.num_named_barrier, 0
	.set _ZN7rocprim17ROCPRIM_400000_NS6detail17trampoline_kernelINS0_14default_configENS1_36segmented_radix_sort_config_selectorI12hip_bfloat16lEEZNS1_25segmented_radix_sort_implIS3_Lb0EPKS5_PS5_PKlPlN2at6native12_GLOBAL__N_18offset_tEEE10hipError_tPvRmT1_PNSt15iterator_traitsISL_E10value_typeET2_T3_PNSM_ISR_E10value_typeET4_jRbjT5_SX_jjP12ihipStream_tbEUlT_E0_NS1_11comp_targetILNS1_3genE9ELNS1_11target_archE1100ELNS1_3gpuE3ELNS1_3repE0EEENS1_60segmented_radix_sort_warp_sort_medium_config_static_selectorELNS0_4arch9wavefront6targetE0EEEvSL_.private_seg_size, 0
	.set _ZN7rocprim17ROCPRIM_400000_NS6detail17trampoline_kernelINS0_14default_configENS1_36segmented_radix_sort_config_selectorI12hip_bfloat16lEEZNS1_25segmented_radix_sort_implIS3_Lb0EPKS5_PS5_PKlPlN2at6native12_GLOBAL__N_18offset_tEEE10hipError_tPvRmT1_PNSt15iterator_traitsISL_E10value_typeET2_T3_PNSM_ISR_E10value_typeET4_jRbjT5_SX_jjP12ihipStream_tbEUlT_E0_NS1_11comp_targetILNS1_3genE9ELNS1_11target_archE1100ELNS1_3gpuE3ELNS1_3repE0EEENS1_60segmented_radix_sort_warp_sort_medium_config_static_selectorELNS0_4arch9wavefront6targetE0EEEvSL_.uses_vcc, 0
	.set _ZN7rocprim17ROCPRIM_400000_NS6detail17trampoline_kernelINS0_14default_configENS1_36segmented_radix_sort_config_selectorI12hip_bfloat16lEEZNS1_25segmented_radix_sort_implIS3_Lb0EPKS5_PS5_PKlPlN2at6native12_GLOBAL__N_18offset_tEEE10hipError_tPvRmT1_PNSt15iterator_traitsISL_E10value_typeET2_T3_PNSM_ISR_E10value_typeET4_jRbjT5_SX_jjP12ihipStream_tbEUlT_E0_NS1_11comp_targetILNS1_3genE9ELNS1_11target_archE1100ELNS1_3gpuE3ELNS1_3repE0EEENS1_60segmented_radix_sort_warp_sort_medium_config_static_selectorELNS0_4arch9wavefront6targetE0EEEvSL_.uses_flat_scratch, 0
	.set _ZN7rocprim17ROCPRIM_400000_NS6detail17trampoline_kernelINS0_14default_configENS1_36segmented_radix_sort_config_selectorI12hip_bfloat16lEEZNS1_25segmented_radix_sort_implIS3_Lb0EPKS5_PS5_PKlPlN2at6native12_GLOBAL__N_18offset_tEEE10hipError_tPvRmT1_PNSt15iterator_traitsISL_E10value_typeET2_T3_PNSM_ISR_E10value_typeET4_jRbjT5_SX_jjP12ihipStream_tbEUlT_E0_NS1_11comp_targetILNS1_3genE9ELNS1_11target_archE1100ELNS1_3gpuE3ELNS1_3repE0EEENS1_60segmented_radix_sort_warp_sort_medium_config_static_selectorELNS0_4arch9wavefront6targetE0EEEvSL_.has_dyn_sized_stack, 0
	.set _ZN7rocprim17ROCPRIM_400000_NS6detail17trampoline_kernelINS0_14default_configENS1_36segmented_radix_sort_config_selectorI12hip_bfloat16lEEZNS1_25segmented_radix_sort_implIS3_Lb0EPKS5_PS5_PKlPlN2at6native12_GLOBAL__N_18offset_tEEE10hipError_tPvRmT1_PNSt15iterator_traitsISL_E10value_typeET2_T3_PNSM_ISR_E10value_typeET4_jRbjT5_SX_jjP12ihipStream_tbEUlT_E0_NS1_11comp_targetILNS1_3genE9ELNS1_11target_archE1100ELNS1_3gpuE3ELNS1_3repE0EEENS1_60segmented_radix_sort_warp_sort_medium_config_static_selectorELNS0_4arch9wavefront6targetE0EEEvSL_.has_recursion, 0
	.set _ZN7rocprim17ROCPRIM_400000_NS6detail17trampoline_kernelINS0_14default_configENS1_36segmented_radix_sort_config_selectorI12hip_bfloat16lEEZNS1_25segmented_radix_sort_implIS3_Lb0EPKS5_PS5_PKlPlN2at6native12_GLOBAL__N_18offset_tEEE10hipError_tPvRmT1_PNSt15iterator_traitsISL_E10value_typeET2_T3_PNSM_ISR_E10value_typeET4_jRbjT5_SX_jjP12ihipStream_tbEUlT_E0_NS1_11comp_targetILNS1_3genE9ELNS1_11target_archE1100ELNS1_3gpuE3ELNS1_3repE0EEENS1_60segmented_radix_sort_warp_sort_medium_config_static_selectorELNS0_4arch9wavefront6targetE0EEEvSL_.has_indirect_call, 0
	.section	.AMDGPU.csdata,"",@progbits
; Kernel info:
; codeLenInByte = 0
; TotalNumSgprs: 0
; NumVgprs: 0
; ScratchSize: 0
; MemoryBound: 0
; FloatMode: 240
; IeeeMode: 1
; LDSByteSize: 0 bytes/workgroup (compile time only)
; SGPRBlocks: 0
; VGPRBlocks: 0
; NumSGPRsForWavesPerEU: 1
; NumVGPRsForWavesPerEU: 1
; NamedBarCnt: 0
; Occupancy: 16
; WaveLimiterHint : 0
; COMPUTE_PGM_RSRC2:SCRATCH_EN: 0
; COMPUTE_PGM_RSRC2:USER_SGPR: 2
; COMPUTE_PGM_RSRC2:TRAP_HANDLER: 0
; COMPUTE_PGM_RSRC2:TGID_X_EN: 1
; COMPUTE_PGM_RSRC2:TGID_Y_EN: 0
; COMPUTE_PGM_RSRC2:TGID_Z_EN: 0
; COMPUTE_PGM_RSRC2:TIDIG_COMP_CNT: 0
	.section	.text._ZN7rocprim17ROCPRIM_400000_NS6detail17trampoline_kernelINS0_14default_configENS1_36segmented_radix_sort_config_selectorI12hip_bfloat16lEEZNS1_25segmented_radix_sort_implIS3_Lb0EPKS5_PS5_PKlPlN2at6native12_GLOBAL__N_18offset_tEEE10hipError_tPvRmT1_PNSt15iterator_traitsISL_E10value_typeET2_T3_PNSM_ISR_E10value_typeET4_jRbjT5_SX_jjP12ihipStream_tbEUlT_E0_NS1_11comp_targetILNS1_3genE8ELNS1_11target_archE1030ELNS1_3gpuE2ELNS1_3repE0EEENS1_60segmented_radix_sort_warp_sort_medium_config_static_selectorELNS0_4arch9wavefront6targetE0EEEvSL_,"axG",@progbits,_ZN7rocprim17ROCPRIM_400000_NS6detail17trampoline_kernelINS0_14default_configENS1_36segmented_radix_sort_config_selectorI12hip_bfloat16lEEZNS1_25segmented_radix_sort_implIS3_Lb0EPKS5_PS5_PKlPlN2at6native12_GLOBAL__N_18offset_tEEE10hipError_tPvRmT1_PNSt15iterator_traitsISL_E10value_typeET2_T3_PNSM_ISR_E10value_typeET4_jRbjT5_SX_jjP12ihipStream_tbEUlT_E0_NS1_11comp_targetILNS1_3genE8ELNS1_11target_archE1030ELNS1_3gpuE2ELNS1_3repE0EEENS1_60segmented_radix_sort_warp_sort_medium_config_static_selectorELNS0_4arch9wavefront6targetE0EEEvSL_,comdat
	.globl	_ZN7rocprim17ROCPRIM_400000_NS6detail17trampoline_kernelINS0_14default_configENS1_36segmented_radix_sort_config_selectorI12hip_bfloat16lEEZNS1_25segmented_radix_sort_implIS3_Lb0EPKS5_PS5_PKlPlN2at6native12_GLOBAL__N_18offset_tEEE10hipError_tPvRmT1_PNSt15iterator_traitsISL_E10value_typeET2_T3_PNSM_ISR_E10value_typeET4_jRbjT5_SX_jjP12ihipStream_tbEUlT_E0_NS1_11comp_targetILNS1_3genE8ELNS1_11target_archE1030ELNS1_3gpuE2ELNS1_3repE0EEENS1_60segmented_radix_sort_warp_sort_medium_config_static_selectorELNS0_4arch9wavefront6targetE0EEEvSL_ ; -- Begin function _ZN7rocprim17ROCPRIM_400000_NS6detail17trampoline_kernelINS0_14default_configENS1_36segmented_radix_sort_config_selectorI12hip_bfloat16lEEZNS1_25segmented_radix_sort_implIS3_Lb0EPKS5_PS5_PKlPlN2at6native12_GLOBAL__N_18offset_tEEE10hipError_tPvRmT1_PNSt15iterator_traitsISL_E10value_typeET2_T3_PNSM_ISR_E10value_typeET4_jRbjT5_SX_jjP12ihipStream_tbEUlT_E0_NS1_11comp_targetILNS1_3genE8ELNS1_11target_archE1030ELNS1_3gpuE2ELNS1_3repE0EEENS1_60segmented_radix_sort_warp_sort_medium_config_static_selectorELNS0_4arch9wavefront6targetE0EEEvSL_
	.p2align	8
	.type	_ZN7rocprim17ROCPRIM_400000_NS6detail17trampoline_kernelINS0_14default_configENS1_36segmented_radix_sort_config_selectorI12hip_bfloat16lEEZNS1_25segmented_radix_sort_implIS3_Lb0EPKS5_PS5_PKlPlN2at6native12_GLOBAL__N_18offset_tEEE10hipError_tPvRmT1_PNSt15iterator_traitsISL_E10value_typeET2_T3_PNSM_ISR_E10value_typeET4_jRbjT5_SX_jjP12ihipStream_tbEUlT_E0_NS1_11comp_targetILNS1_3genE8ELNS1_11target_archE1030ELNS1_3gpuE2ELNS1_3repE0EEENS1_60segmented_radix_sort_warp_sort_medium_config_static_selectorELNS0_4arch9wavefront6targetE0EEEvSL_,@function
_ZN7rocprim17ROCPRIM_400000_NS6detail17trampoline_kernelINS0_14default_configENS1_36segmented_radix_sort_config_selectorI12hip_bfloat16lEEZNS1_25segmented_radix_sort_implIS3_Lb0EPKS5_PS5_PKlPlN2at6native12_GLOBAL__N_18offset_tEEE10hipError_tPvRmT1_PNSt15iterator_traitsISL_E10value_typeET2_T3_PNSM_ISR_E10value_typeET4_jRbjT5_SX_jjP12ihipStream_tbEUlT_E0_NS1_11comp_targetILNS1_3genE8ELNS1_11target_archE1030ELNS1_3gpuE2ELNS1_3repE0EEENS1_60segmented_radix_sort_warp_sort_medium_config_static_selectorELNS0_4arch9wavefront6targetE0EEEvSL_: ; @_ZN7rocprim17ROCPRIM_400000_NS6detail17trampoline_kernelINS0_14default_configENS1_36segmented_radix_sort_config_selectorI12hip_bfloat16lEEZNS1_25segmented_radix_sort_implIS3_Lb0EPKS5_PS5_PKlPlN2at6native12_GLOBAL__N_18offset_tEEE10hipError_tPvRmT1_PNSt15iterator_traitsISL_E10value_typeET2_T3_PNSM_ISR_E10value_typeET4_jRbjT5_SX_jjP12ihipStream_tbEUlT_E0_NS1_11comp_targetILNS1_3genE8ELNS1_11target_archE1030ELNS1_3gpuE2ELNS1_3repE0EEENS1_60segmented_radix_sort_warp_sort_medium_config_static_selectorELNS0_4arch9wavefront6targetE0EEEvSL_
; %bb.0:
	.section	.rodata,"a",@progbits
	.p2align	6, 0x0
	.amdhsa_kernel _ZN7rocprim17ROCPRIM_400000_NS6detail17trampoline_kernelINS0_14default_configENS1_36segmented_radix_sort_config_selectorI12hip_bfloat16lEEZNS1_25segmented_radix_sort_implIS3_Lb0EPKS5_PS5_PKlPlN2at6native12_GLOBAL__N_18offset_tEEE10hipError_tPvRmT1_PNSt15iterator_traitsISL_E10value_typeET2_T3_PNSM_ISR_E10value_typeET4_jRbjT5_SX_jjP12ihipStream_tbEUlT_E0_NS1_11comp_targetILNS1_3genE8ELNS1_11target_archE1030ELNS1_3gpuE2ELNS1_3repE0EEENS1_60segmented_radix_sort_warp_sort_medium_config_static_selectorELNS0_4arch9wavefront6targetE0EEEvSL_
		.amdhsa_group_segment_fixed_size 0
		.amdhsa_private_segment_fixed_size 0
		.amdhsa_kernarg_size 88
		.amdhsa_user_sgpr_count 2
		.amdhsa_user_sgpr_dispatch_ptr 0
		.amdhsa_user_sgpr_queue_ptr 0
		.amdhsa_user_sgpr_kernarg_segment_ptr 1
		.amdhsa_user_sgpr_dispatch_id 0
		.amdhsa_user_sgpr_kernarg_preload_length 0
		.amdhsa_user_sgpr_kernarg_preload_offset 0
		.amdhsa_user_sgpr_private_segment_size 0
		.amdhsa_wavefront_size32 1
		.amdhsa_uses_dynamic_stack 0
		.amdhsa_enable_private_segment 0
		.amdhsa_system_sgpr_workgroup_id_x 1
		.amdhsa_system_sgpr_workgroup_id_y 0
		.amdhsa_system_sgpr_workgroup_id_z 0
		.amdhsa_system_sgpr_workgroup_info 0
		.amdhsa_system_vgpr_workitem_id 0
		.amdhsa_next_free_vgpr 1
		.amdhsa_next_free_sgpr 1
		.amdhsa_named_barrier_count 0
		.amdhsa_reserve_vcc 0
		.amdhsa_float_round_mode_32 0
		.amdhsa_float_round_mode_16_64 0
		.amdhsa_float_denorm_mode_32 3
		.amdhsa_float_denorm_mode_16_64 3
		.amdhsa_fp16_overflow 0
		.amdhsa_memory_ordered 1
		.amdhsa_forward_progress 1
		.amdhsa_inst_pref_size 0
		.amdhsa_round_robin_scheduling 0
		.amdhsa_exception_fp_ieee_invalid_op 0
		.amdhsa_exception_fp_denorm_src 0
		.amdhsa_exception_fp_ieee_div_zero 0
		.amdhsa_exception_fp_ieee_overflow 0
		.amdhsa_exception_fp_ieee_underflow 0
		.amdhsa_exception_fp_ieee_inexact 0
		.amdhsa_exception_int_div_zero 0
	.end_amdhsa_kernel
	.section	.text._ZN7rocprim17ROCPRIM_400000_NS6detail17trampoline_kernelINS0_14default_configENS1_36segmented_radix_sort_config_selectorI12hip_bfloat16lEEZNS1_25segmented_radix_sort_implIS3_Lb0EPKS5_PS5_PKlPlN2at6native12_GLOBAL__N_18offset_tEEE10hipError_tPvRmT1_PNSt15iterator_traitsISL_E10value_typeET2_T3_PNSM_ISR_E10value_typeET4_jRbjT5_SX_jjP12ihipStream_tbEUlT_E0_NS1_11comp_targetILNS1_3genE8ELNS1_11target_archE1030ELNS1_3gpuE2ELNS1_3repE0EEENS1_60segmented_radix_sort_warp_sort_medium_config_static_selectorELNS0_4arch9wavefront6targetE0EEEvSL_,"axG",@progbits,_ZN7rocprim17ROCPRIM_400000_NS6detail17trampoline_kernelINS0_14default_configENS1_36segmented_radix_sort_config_selectorI12hip_bfloat16lEEZNS1_25segmented_radix_sort_implIS3_Lb0EPKS5_PS5_PKlPlN2at6native12_GLOBAL__N_18offset_tEEE10hipError_tPvRmT1_PNSt15iterator_traitsISL_E10value_typeET2_T3_PNSM_ISR_E10value_typeET4_jRbjT5_SX_jjP12ihipStream_tbEUlT_E0_NS1_11comp_targetILNS1_3genE8ELNS1_11target_archE1030ELNS1_3gpuE2ELNS1_3repE0EEENS1_60segmented_radix_sort_warp_sort_medium_config_static_selectorELNS0_4arch9wavefront6targetE0EEEvSL_,comdat
.Lfunc_end2058:
	.size	_ZN7rocprim17ROCPRIM_400000_NS6detail17trampoline_kernelINS0_14default_configENS1_36segmented_radix_sort_config_selectorI12hip_bfloat16lEEZNS1_25segmented_radix_sort_implIS3_Lb0EPKS5_PS5_PKlPlN2at6native12_GLOBAL__N_18offset_tEEE10hipError_tPvRmT1_PNSt15iterator_traitsISL_E10value_typeET2_T3_PNSM_ISR_E10value_typeET4_jRbjT5_SX_jjP12ihipStream_tbEUlT_E0_NS1_11comp_targetILNS1_3genE8ELNS1_11target_archE1030ELNS1_3gpuE2ELNS1_3repE0EEENS1_60segmented_radix_sort_warp_sort_medium_config_static_selectorELNS0_4arch9wavefront6targetE0EEEvSL_, .Lfunc_end2058-_ZN7rocprim17ROCPRIM_400000_NS6detail17trampoline_kernelINS0_14default_configENS1_36segmented_radix_sort_config_selectorI12hip_bfloat16lEEZNS1_25segmented_radix_sort_implIS3_Lb0EPKS5_PS5_PKlPlN2at6native12_GLOBAL__N_18offset_tEEE10hipError_tPvRmT1_PNSt15iterator_traitsISL_E10value_typeET2_T3_PNSM_ISR_E10value_typeET4_jRbjT5_SX_jjP12ihipStream_tbEUlT_E0_NS1_11comp_targetILNS1_3genE8ELNS1_11target_archE1030ELNS1_3gpuE2ELNS1_3repE0EEENS1_60segmented_radix_sort_warp_sort_medium_config_static_selectorELNS0_4arch9wavefront6targetE0EEEvSL_
                                        ; -- End function
	.set _ZN7rocprim17ROCPRIM_400000_NS6detail17trampoline_kernelINS0_14default_configENS1_36segmented_radix_sort_config_selectorI12hip_bfloat16lEEZNS1_25segmented_radix_sort_implIS3_Lb0EPKS5_PS5_PKlPlN2at6native12_GLOBAL__N_18offset_tEEE10hipError_tPvRmT1_PNSt15iterator_traitsISL_E10value_typeET2_T3_PNSM_ISR_E10value_typeET4_jRbjT5_SX_jjP12ihipStream_tbEUlT_E0_NS1_11comp_targetILNS1_3genE8ELNS1_11target_archE1030ELNS1_3gpuE2ELNS1_3repE0EEENS1_60segmented_radix_sort_warp_sort_medium_config_static_selectorELNS0_4arch9wavefront6targetE0EEEvSL_.num_vgpr, 0
	.set _ZN7rocprim17ROCPRIM_400000_NS6detail17trampoline_kernelINS0_14default_configENS1_36segmented_radix_sort_config_selectorI12hip_bfloat16lEEZNS1_25segmented_radix_sort_implIS3_Lb0EPKS5_PS5_PKlPlN2at6native12_GLOBAL__N_18offset_tEEE10hipError_tPvRmT1_PNSt15iterator_traitsISL_E10value_typeET2_T3_PNSM_ISR_E10value_typeET4_jRbjT5_SX_jjP12ihipStream_tbEUlT_E0_NS1_11comp_targetILNS1_3genE8ELNS1_11target_archE1030ELNS1_3gpuE2ELNS1_3repE0EEENS1_60segmented_radix_sort_warp_sort_medium_config_static_selectorELNS0_4arch9wavefront6targetE0EEEvSL_.num_agpr, 0
	.set _ZN7rocprim17ROCPRIM_400000_NS6detail17trampoline_kernelINS0_14default_configENS1_36segmented_radix_sort_config_selectorI12hip_bfloat16lEEZNS1_25segmented_radix_sort_implIS3_Lb0EPKS5_PS5_PKlPlN2at6native12_GLOBAL__N_18offset_tEEE10hipError_tPvRmT1_PNSt15iterator_traitsISL_E10value_typeET2_T3_PNSM_ISR_E10value_typeET4_jRbjT5_SX_jjP12ihipStream_tbEUlT_E0_NS1_11comp_targetILNS1_3genE8ELNS1_11target_archE1030ELNS1_3gpuE2ELNS1_3repE0EEENS1_60segmented_radix_sort_warp_sort_medium_config_static_selectorELNS0_4arch9wavefront6targetE0EEEvSL_.numbered_sgpr, 0
	.set _ZN7rocprim17ROCPRIM_400000_NS6detail17trampoline_kernelINS0_14default_configENS1_36segmented_radix_sort_config_selectorI12hip_bfloat16lEEZNS1_25segmented_radix_sort_implIS3_Lb0EPKS5_PS5_PKlPlN2at6native12_GLOBAL__N_18offset_tEEE10hipError_tPvRmT1_PNSt15iterator_traitsISL_E10value_typeET2_T3_PNSM_ISR_E10value_typeET4_jRbjT5_SX_jjP12ihipStream_tbEUlT_E0_NS1_11comp_targetILNS1_3genE8ELNS1_11target_archE1030ELNS1_3gpuE2ELNS1_3repE0EEENS1_60segmented_radix_sort_warp_sort_medium_config_static_selectorELNS0_4arch9wavefront6targetE0EEEvSL_.num_named_barrier, 0
	.set _ZN7rocprim17ROCPRIM_400000_NS6detail17trampoline_kernelINS0_14default_configENS1_36segmented_radix_sort_config_selectorI12hip_bfloat16lEEZNS1_25segmented_radix_sort_implIS3_Lb0EPKS5_PS5_PKlPlN2at6native12_GLOBAL__N_18offset_tEEE10hipError_tPvRmT1_PNSt15iterator_traitsISL_E10value_typeET2_T3_PNSM_ISR_E10value_typeET4_jRbjT5_SX_jjP12ihipStream_tbEUlT_E0_NS1_11comp_targetILNS1_3genE8ELNS1_11target_archE1030ELNS1_3gpuE2ELNS1_3repE0EEENS1_60segmented_radix_sort_warp_sort_medium_config_static_selectorELNS0_4arch9wavefront6targetE0EEEvSL_.private_seg_size, 0
	.set _ZN7rocprim17ROCPRIM_400000_NS6detail17trampoline_kernelINS0_14default_configENS1_36segmented_radix_sort_config_selectorI12hip_bfloat16lEEZNS1_25segmented_radix_sort_implIS3_Lb0EPKS5_PS5_PKlPlN2at6native12_GLOBAL__N_18offset_tEEE10hipError_tPvRmT1_PNSt15iterator_traitsISL_E10value_typeET2_T3_PNSM_ISR_E10value_typeET4_jRbjT5_SX_jjP12ihipStream_tbEUlT_E0_NS1_11comp_targetILNS1_3genE8ELNS1_11target_archE1030ELNS1_3gpuE2ELNS1_3repE0EEENS1_60segmented_radix_sort_warp_sort_medium_config_static_selectorELNS0_4arch9wavefront6targetE0EEEvSL_.uses_vcc, 0
	.set _ZN7rocprim17ROCPRIM_400000_NS6detail17trampoline_kernelINS0_14default_configENS1_36segmented_radix_sort_config_selectorI12hip_bfloat16lEEZNS1_25segmented_radix_sort_implIS3_Lb0EPKS5_PS5_PKlPlN2at6native12_GLOBAL__N_18offset_tEEE10hipError_tPvRmT1_PNSt15iterator_traitsISL_E10value_typeET2_T3_PNSM_ISR_E10value_typeET4_jRbjT5_SX_jjP12ihipStream_tbEUlT_E0_NS1_11comp_targetILNS1_3genE8ELNS1_11target_archE1030ELNS1_3gpuE2ELNS1_3repE0EEENS1_60segmented_radix_sort_warp_sort_medium_config_static_selectorELNS0_4arch9wavefront6targetE0EEEvSL_.uses_flat_scratch, 0
	.set _ZN7rocprim17ROCPRIM_400000_NS6detail17trampoline_kernelINS0_14default_configENS1_36segmented_radix_sort_config_selectorI12hip_bfloat16lEEZNS1_25segmented_radix_sort_implIS3_Lb0EPKS5_PS5_PKlPlN2at6native12_GLOBAL__N_18offset_tEEE10hipError_tPvRmT1_PNSt15iterator_traitsISL_E10value_typeET2_T3_PNSM_ISR_E10value_typeET4_jRbjT5_SX_jjP12ihipStream_tbEUlT_E0_NS1_11comp_targetILNS1_3genE8ELNS1_11target_archE1030ELNS1_3gpuE2ELNS1_3repE0EEENS1_60segmented_radix_sort_warp_sort_medium_config_static_selectorELNS0_4arch9wavefront6targetE0EEEvSL_.has_dyn_sized_stack, 0
	.set _ZN7rocprim17ROCPRIM_400000_NS6detail17trampoline_kernelINS0_14default_configENS1_36segmented_radix_sort_config_selectorI12hip_bfloat16lEEZNS1_25segmented_radix_sort_implIS3_Lb0EPKS5_PS5_PKlPlN2at6native12_GLOBAL__N_18offset_tEEE10hipError_tPvRmT1_PNSt15iterator_traitsISL_E10value_typeET2_T3_PNSM_ISR_E10value_typeET4_jRbjT5_SX_jjP12ihipStream_tbEUlT_E0_NS1_11comp_targetILNS1_3genE8ELNS1_11target_archE1030ELNS1_3gpuE2ELNS1_3repE0EEENS1_60segmented_radix_sort_warp_sort_medium_config_static_selectorELNS0_4arch9wavefront6targetE0EEEvSL_.has_recursion, 0
	.set _ZN7rocprim17ROCPRIM_400000_NS6detail17trampoline_kernelINS0_14default_configENS1_36segmented_radix_sort_config_selectorI12hip_bfloat16lEEZNS1_25segmented_radix_sort_implIS3_Lb0EPKS5_PS5_PKlPlN2at6native12_GLOBAL__N_18offset_tEEE10hipError_tPvRmT1_PNSt15iterator_traitsISL_E10value_typeET2_T3_PNSM_ISR_E10value_typeET4_jRbjT5_SX_jjP12ihipStream_tbEUlT_E0_NS1_11comp_targetILNS1_3genE8ELNS1_11target_archE1030ELNS1_3gpuE2ELNS1_3repE0EEENS1_60segmented_radix_sort_warp_sort_medium_config_static_selectorELNS0_4arch9wavefront6targetE0EEEvSL_.has_indirect_call, 0
	.section	.AMDGPU.csdata,"",@progbits
; Kernel info:
; codeLenInByte = 0
; TotalNumSgprs: 0
; NumVgprs: 0
; ScratchSize: 0
; MemoryBound: 0
; FloatMode: 240
; IeeeMode: 1
; LDSByteSize: 0 bytes/workgroup (compile time only)
; SGPRBlocks: 0
; VGPRBlocks: 0
; NumSGPRsForWavesPerEU: 1
; NumVGPRsForWavesPerEU: 1
; NamedBarCnt: 0
; Occupancy: 16
; WaveLimiterHint : 0
; COMPUTE_PGM_RSRC2:SCRATCH_EN: 0
; COMPUTE_PGM_RSRC2:USER_SGPR: 2
; COMPUTE_PGM_RSRC2:TRAP_HANDLER: 0
; COMPUTE_PGM_RSRC2:TGID_X_EN: 1
; COMPUTE_PGM_RSRC2:TGID_Y_EN: 0
; COMPUTE_PGM_RSRC2:TGID_Z_EN: 0
; COMPUTE_PGM_RSRC2:TIDIG_COMP_CNT: 0
	.text
	.p2align	2                               ; -- Begin function _ZN7rocprim17ROCPRIM_400000_NS6detail26segmented_warp_sort_helperINS1_20WarpSortHelperConfigILj8ELj4ELj256EEE12hip_bfloat16lLi256ELb0EvE4sortIPKS5_PS5_PKlPlEEvT_T0_T1_T2_jjjjRNS6_12storage_typeE
	.type	_ZN7rocprim17ROCPRIM_400000_NS6detail26segmented_warp_sort_helperINS1_20WarpSortHelperConfigILj8ELj4ELj256EEE12hip_bfloat16lLi256ELb0EvE4sortIPKS5_PS5_PKlPlEEvT_T0_T1_T2_jjjjRNS6_12storage_typeE,@function
_ZN7rocprim17ROCPRIM_400000_NS6detail26segmented_warp_sort_helperINS1_20WarpSortHelperConfigILj8ELj4ELj256EEE12hip_bfloat16lLi256ELb0EvE4sortIPKS5_PS5_PKlPlEEvT_T0_T1_T2_jjjjRNS6_12storage_typeE: ; @_ZN7rocprim17ROCPRIM_400000_NS6detail26segmented_warp_sort_helperINS1_20WarpSortHelperConfigILj8ELj4ELj256EEE12hip_bfloat16lLi256ELb0EvE4sortIPKS5_PS5_PKlPlEEvT_T0_T1_T2_jjjjRNS6_12storage_typeE
; %bb.0:
	s_wait_loadcnt_dscnt 0x0
	s_wait_kmcnt 0x0
	v_mov_b32_e32 v12, v9
	v_mbcnt_lo_u32_b32 v9, -1, 0
	v_dual_mov_b32 v34, 0x7fff :: v_dual_mov_b32 v37, 0x7fff
	s_delay_alu instid0(VALU_DEP_2) | instskip(NEXT) | instid1(VALU_DEP_1)
	v_dual_lshlrev_b32 v27, 2, v9 :: v_dual_mov_b32 v9, 0
	v_dual_sub_nc_u32 v14, v12, v8 :: v_dual_bitop2_b32 v26, 28, v27 bitop3:0x40
	s_delay_alu instid0(VALU_DEP_2) | instskip(NEXT) | instid1(VALU_DEP_2)
	v_lshl_add_u64 v[16:17], v[8:9], 1, v[0:1]
	v_dual_mov_b32 v1, v9 :: v_dual_lshlrev_b32 v0, 1, v26
	s_delay_alu instid0(VALU_DEP_3) | instskip(NEXT) | instid1(VALU_DEP_2)
	v_cmp_lt_u32_e32 vcc_lo, v26, v14
	v_add_nc_u64_e32 v[12:13], v[16:17], v[0:1]
	s_and_saveexec_b32 s0, vcc_lo
	s_cbranch_execz .LBB2059_2
; %bb.1:
	flat_load_u16 v37, v[12:13]
.LBB2059_2:
	s_wait_xcnt 0x0
	s_or_b32 exec_lo, exec_lo, s0
	v_or_b32_e32 v1, 1, v26
	s_delay_alu instid0(VALU_DEP_1)
	v_cmp_lt_u32_e64 s0, v1, v14
	s_and_saveexec_b32 s1, s0
	s_cbranch_execz .LBB2059_4
; %bb.3:
	flat_load_u16 v34, v[12:13] offset:2
.LBB2059_4:
	s_wait_xcnt 0x0
	s_or_b32 exec_lo, exec_lo, s1
	v_or_b32_e32 v1, 2, v26
	v_dual_mov_b32 v36, 0x7fff :: v_dual_mov_b32 v35, 0x7fff
	s_delay_alu instid0(VALU_DEP_2)
	v_cmp_lt_u32_e64 s1, v1, v14
	s_and_saveexec_b32 s2, s1
	s_cbranch_execz .LBB2059_6
; %bb.5:
	flat_load_u16 v35, v[12:13] offset:4
.LBB2059_6:
	s_wait_xcnt 0x0
	s_or_b32 exec_lo, exec_lo, s2
	v_or_b32_e32 v1, 3, v26
	s_delay_alu instid0(VALU_DEP_1)
	v_cmp_lt_u32_e64 s2, v1, v14
	s_and_saveexec_b32 s3, s2
	s_cbranch_execz .LBB2059_8
; %bb.7:
	flat_load_u16 v36, v[12:13] offset:6
.LBB2059_8:
	s_wait_xcnt 0x0
	s_or_b32 exec_lo, exec_lo, s3
	v_lshl_add_u64 v[12:13], v[8:9], 3, v[4:5]
	v_dual_mov_b32 v5, 0 :: v_dual_lshlrev_b32 v4, 3, v26
	; wave barrier
	s_delay_alu instid0(VALU_DEP_1)
	v_add_nc_u64_e32 v[20:21], v[12:13], v[4:5]
	v_dual_mov_b32 v12, v5 :: v_dual_mov_b32 v13, v5
	v_dual_mov_b32 v14, v5 :: v_dual_mov_b32 v15, v5
	;; [unrolled: 1-line block ×4, first 2 shown]
	s_and_saveexec_b32 s3, vcc_lo
	s_cbranch_execnz .LBB2059_76
; %bb.9:
	s_or_b32 exec_lo, exec_lo, s3
	s_and_saveexec_b32 s3, s0
	s_cbranch_execnz .LBB2059_77
.LBB2059_10:
	s_or_b32 exec_lo, exec_lo, s3
	s_and_saveexec_b32 s3, s1
	s_cbranch_execnz .LBB2059_78
.LBB2059_11:
	s_or_b32 exec_lo, exec_lo, s3
	s_and_saveexec_b32 s3, s2
	s_cbranch_execz .LBB2059_13
.LBB2059_12:
	flat_load_b64 v[18:19], v[20:21] offset:24
.LBB2059_13:
	s_wait_xcnt 0x0
	s_or_b32 exec_lo, exec_lo, s3
	; wave barrier
	s_load_b64 s[4:5], s[8:9], 0x0
	s_bfe_u32 s6, ttmp6, 0x4000c
	s_bfe_u32 s10, ttmp6, 0x40010
	s_and_b32 s7, ttmp7, 0xffff
	s_add_co_i32 s6, s6, 1
	s_add_co_i32 s10, s10, 1
	s_and_b32 s3, ttmp6, 15
	s_bfe_u32 s11, ttmp6, 0x40004
	s_mul_i32 s6, ttmp9, s6
	s_mul_i32 s10, s7, s10
	s_getreg_b32 s12, hwreg(HW_REG_IB_STS2, 6, 4)
	s_add_co_i32 s3, s3, s6
	s_add_co_i32 s11, s11, s10
	s_cmp_eq_u32 s12, 0
	v_bfe_u32 v1, v31, 10, 10
	s_cselect_b32 s3, ttmp9, s3
	s_cselect_b32 s6, s7, s11
	v_bfe_u32 v5, v31, 20, 10
	s_wait_kmcnt 0x0
	s_cmp_lt_u32 s3, s4
	s_cselect_b32 s4, 12, 18
	s_cmp_lt_u32 s6, s5
	s_mov_b32 s5, 0
	s_cselect_b32 s6, 14, 20
	s_mov_b32 s7, s5
	s_add_nc_u64 s[4:5], s[8:9], s[4:5]
	s_add_nc_u64 s[6:7], s[8:9], s[6:7]
	s_load_u16 s4, s[4:5], 0x0
	s_mov_b32 s9, exec_lo
	s_load_u16 s3, s[6:7], 0x0
	s_wait_kmcnt 0x0
	v_mad_u32_u24 v1, v5, s3, v1
	v_and_b32_e32 v5, 0x3ff, v31
	s_delay_alu instid0(VALU_DEP_2) | instskip(NEXT) | instid1(VALU_DEP_1)
	v_mul_lo_u32 v1, v1, s4
	v_add_lshl_u32 v1, v1, v5, 2
	s_delay_alu instid0(VALU_DEP_1)
	v_cmpx_gt_u32_e32 0x400, v1
	s_cbranch_execz .LBB2059_65
; %bb.14:
	s_wait_loadcnt_dscnt 0x0
	v_lshlrev_b32_e32 v5, 16, v37
	s_delay_alu instid0(VALU_DEP_1) | instskip(NEXT) | instid1(VALU_DEP_1)
	v_add_f32_e32 v20, 0, v5
	v_and_b32_e32 v5, 0x7f800000, v20
	s_delay_alu instid0(VALU_DEP_1) | instskip(SKIP_1) | instid1(SALU_CYCLE_1)
	v_cmp_ne_u32_e64 s3, 0x7f800000, v5
                                        ; implicit-def: $vgpr5
	s_and_saveexec_b32 s4, s3
	s_xor_b32 s3, exec_lo, s4
; %bb.15:
	v_bfe_u32 v5, v20, 16, 1
	s_delay_alu instid0(VALU_DEP_1)
	v_add3_u32 v5, v20, v5, 0x7fff
                                        ; implicit-def: $vgpr20
; %bb.16:
	s_and_not1_saveexec_b32 s4, s3
; %bb.17:
	v_and_b32_e32 v5, 0xffff, v20
	v_or_b32_e32 v21, 0x10000, v20
	s_delay_alu instid0(VALU_DEP_2) | instskip(NEXT) | instid1(VALU_DEP_1)
	v_cmp_eq_u32_e64 s3, 0, v5
	v_cndmask_b32_e64 v5, v21, v20, s3
; %bb.18:
	s_or_b32 exec_lo, exec_lo, s4
	v_lshlrev_b32_e32 v20, 16, v34
	s_delay_alu instid0(VALU_DEP_1) | instskip(NEXT) | instid1(VALU_DEP_1)
	v_add_f32_e32 v21, 0, v20
	v_and_b32_e32 v20, 0x7f800000, v21
	s_delay_alu instid0(VALU_DEP_1) | instskip(SKIP_1) | instid1(SALU_CYCLE_1)
	v_cmp_ne_u32_e64 s3, 0x7f800000, v20
                                        ; implicit-def: $vgpr20
	s_and_saveexec_b32 s4, s3
	s_xor_b32 s3, exec_lo, s4
; %bb.19:
	v_bfe_u32 v20, v21, 16, 1
	s_delay_alu instid0(VALU_DEP_1)
	v_add3_u32 v20, v21, v20, 0x7fff
                                        ; implicit-def: $vgpr21
; %bb.20:
	s_and_not1_saveexec_b32 s4, s3
; %bb.21:
	v_and_b32_e32 v20, 0xffff, v21
	v_or_b32_e32 v22, 0x10000, v21
	s_delay_alu instid0(VALU_DEP_2) | instskip(NEXT) | instid1(VALU_DEP_1)
	v_cmp_eq_u32_e64 s3, 0, v20
	v_cndmask_b32_e64 v20, v22, v21, s3
; %bb.22:
	s_or_b32 exec_lo, exec_lo, s4
	v_lshlrev_b32_e32 v21, 16, v35
	s_delay_alu instid0(VALU_DEP_1) | instskip(NEXT) | instid1(VALU_DEP_1)
	v_add_f32_e32 v21, 0, v21
	v_and_b32_e32 v22, 0x7f800000, v21
	s_delay_alu instid0(VALU_DEP_1) | instskip(SKIP_1) | instid1(SALU_CYCLE_1)
	v_cmp_ne_u32_e64 s3, 0x7f800000, v22
                                        ; implicit-def: $vgpr22
	s_and_saveexec_b32 s4, s3
	s_xor_b32 s3, exec_lo, s4
; %bb.23:
	v_bfe_u32 v22, v21, 16, 1
	s_delay_alu instid0(VALU_DEP_1)
	v_add3_u32 v22, v21, v22, 0x7fff
                                        ; implicit-def: $vgpr21
; %bb.24:
	s_and_not1_saveexec_b32 s4, s3
; %bb.25:
	v_and_b32_e32 v22, 0xffff, v21
	v_or_b32_e32 v23, 0x10000, v21
	s_delay_alu instid0(VALU_DEP_2) | instskip(NEXT) | instid1(VALU_DEP_1)
	v_cmp_eq_u32_e64 s3, 0, v22
	v_cndmask_b32_e64 v22, v23, v21, s3
; %bb.26:
	s_or_b32 exec_lo, exec_lo, s4
	v_lshlrev_b32_e32 v21, 16, v36
	s_delay_alu instid0(VALU_DEP_1) | instskip(NEXT) | instid1(VALU_DEP_1)
	v_add_f32_e32 v21, 0, v21
	v_and_b32_e32 v23, 0x7f800000, v21
	s_delay_alu instid0(VALU_DEP_1) | instskip(SKIP_1) | instid1(SALU_CYCLE_1)
	v_cmp_ne_u32_e64 s3, 0x7f800000, v23
                                        ; implicit-def: $vgpr23
	s_and_saveexec_b32 s4, s3
	s_xor_b32 s3, exec_lo, s4
; %bb.27:
	v_bfe_u32 v23, v21, 16, 1
	s_delay_alu instid0(VALU_DEP_1)
	v_add3_u32 v23, v21, v23, 0x7fff
                                        ; implicit-def: $vgpr21
; %bb.28:
	s_and_not1_saveexec_b32 s4, s3
; %bb.29:
	v_and_b32_e32 v23, 0xffff, v21
	v_or_b32_e32 v24, 0x10000, v21
	s_delay_alu instid0(VALU_DEP_2) | instskip(NEXT) | instid1(VALU_DEP_1)
	v_cmp_eq_u32_e64 s3, 0, v23
	v_cndmask_b32_e64 v23, v24, v21, s3
; %bb.30:
	s_or_b32 exec_lo, exec_lo, s4
	v_cmp_lt_i32_e64 s3, -1, v5
	v_perm_b32 v5, v20, v5, 0x7060302
	s_delay_alu instid0(VALU_DEP_2) | instskip(SKIP_1) | instid1(VALU_DEP_1)
	v_cndmask_b32_e64 v21, -1, 0xffff8000, s3
	v_cmp_lt_i32_e64 s3, -1, v20
	v_cndmask_b32_e64 v24, -1, 0xffff8000, s3
	s_delay_alu instid0(VALU_DEP_1) | instskip(NEXT) | instid1(VALU_DEP_1)
	v_perm_b32 v20, v24, v21, 0x5040100
	v_xor_b32_e32 v5, v20, v5
	s_delay_alu instid0(VALU_DEP_1) | instskip(NEXT) | instid1(VALU_DEP_1)
	v_lshrrev_b32_e32 v20, 16, v5
	v_cmp_gt_u16_e64 s3, v5, v20
	s_delay_alu instid0(VALU_DEP_1) | instskip(NEXT) | instid1(VALU_DEP_1)
	v_cndmask_b32_e64 v21, v34, v37, s3
	v_lshlrev_b32_e32 v5, 16, v21
	s_delay_alu instid0(VALU_DEP_1) | instskip(NEXT) | instid1(VALU_DEP_1)
	v_add_f32_e32 v5, 0, v5
	v_and_b32_e32 v20, 0x7f800000, v5
	s_delay_alu instid0(VALU_DEP_1) | instskip(SKIP_1) | instid1(SALU_CYCLE_1)
	v_cmp_ne_u32_e64 s4, 0x7f800000, v20
                                        ; implicit-def: $vgpr20
	s_and_saveexec_b32 s5, s4
	s_xor_b32 s4, exec_lo, s5
; %bb.31:
	v_bfe_u32 v20, v5, 16, 1
	s_delay_alu instid0(VALU_DEP_1)
	v_add3_u32 v20, v5, v20, 0x7fff
                                        ; implicit-def: $vgpr5
; %bb.32:
	s_and_not1_saveexec_b32 s5, s4
; %bb.33:
	v_and_b32_e32 v20, 0xffff, v5
	v_or_b32_e32 v24, 0x10000, v5
	s_delay_alu instid0(VALU_DEP_2) | instskip(NEXT) | instid1(VALU_DEP_1)
	v_cmp_eq_u32_e64 s4, 0, v20
	v_cndmask_b32_e64 v20, v24, v5, s4
; %bb.34:
	s_or_b32 exec_lo, exec_lo, s5
	v_cmp_lt_i32_e64 s4, -1, v22
	v_perm_b32 v22, v23, v22, 0x7060302
	s_delay_alu instid0(VALU_DEP_2) | instskip(SKIP_1) | instid1(VALU_DEP_1)
	v_cndmask_b32_e64 v5, -1, 0xffff8000, s4
	v_cmp_lt_i32_e64 s4, -1, v23
	v_cndmask_b32_e64 v24, -1, 0xffff8000, s4
	s_delay_alu instid0(VALU_DEP_1) | instskip(NEXT) | instid1(VALU_DEP_1)
	v_perm_b32 v5, v24, v5, 0x5040100
                                        ; implicit-def: $vgpr24
	v_xor_b32_e32 v5, v5, v22
	s_delay_alu instid0(VALU_DEP_1) | instskip(NEXT) | instid1(VALU_DEP_1)
	v_lshrrev_b32_e32 v22, 16, v5
	v_cmp_gt_u16_e64 s4, v5, v22
	s_delay_alu instid0(VALU_DEP_1) | instskip(NEXT) | instid1(VALU_DEP_1)
	v_cndmask_b32_e64 v22, v35, v36, s4
	v_lshlrev_b32_e32 v5, 16, v22
	s_delay_alu instid0(VALU_DEP_1) | instskip(NEXT) | instid1(VALU_DEP_1)
	v_add_f32_e32 v5, 0, v5
	v_and_b32_e32 v23, 0x7f800000, v5
	s_delay_alu instid0(VALU_DEP_1) | instskip(SKIP_1) | instid1(SALU_CYCLE_1)
	v_cmp_ne_u32_e64 s5, 0x7f800000, v23
	s_and_saveexec_b32 s6, s5
	s_xor_b32 s5, exec_lo, s6
; %bb.35:
	v_bfe_u32 v23, v5, 16, 1
	s_delay_alu instid0(VALU_DEP_1)
	v_add3_u32 v24, v5, v23, 0x7fff
                                        ; implicit-def: $vgpr5
; %bb.36:
	s_and_not1_saveexec_b32 s6, s5
; %bb.37:
	v_and_b32_e32 v23, 0xffff, v5
	v_or_b32_e32 v24, 0x10000, v5
	s_delay_alu instid0(VALU_DEP_2) | instskip(NEXT) | instid1(VALU_DEP_1)
	v_cmp_eq_u32_e64 s5, 0, v23
	v_cndmask_b32_e64 v24, v24, v5, s5
; %bb.38:
	s_or_b32 exec_lo, exec_lo, s6
	v_cndmask_b32_e64 v5, v37, v34, s3
	s_delay_alu instid0(VALU_DEP_1) | instskip(NEXT) | instid1(VALU_DEP_1)
	v_lshlrev_b32_e32 v23, 16, v5
	v_add_f32_e32 v25, 0, v23
	s_delay_alu instid0(VALU_DEP_1) | instskip(NEXT) | instid1(VALU_DEP_1)
	v_and_b32_e32 v23, 0x7f800000, v25
	v_cmp_ne_u32_e64 s5, 0x7f800000, v23
                                        ; implicit-def: $vgpr23
	s_and_saveexec_b32 s6, s5
	s_delay_alu instid0(SALU_CYCLE_1)
	s_xor_b32 s5, exec_lo, s6
; %bb.39:
	v_bfe_u32 v23, v25, 16, 1
	s_delay_alu instid0(VALU_DEP_1)
	v_add3_u32 v23, v25, v23, 0x7fff
                                        ; implicit-def: $vgpr25
; %bb.40:
	s_and_not1_saveexec_b32 s6, s5
; %bb.41:
	v_and_b32_e32 v23, 0xffff, v25
	v_or_b32_e32 v28, 0x10000, v25
	s_delay_alu instid0(VALU_DEP_2) | instskip(NEXT) | instid1(VALU_DEP_1)
	v_cmp_eq_u32_e64 s5, 0, v23
	v_cndmask_b32_e64 v23, v28, v25, s5
; %bb.42:
	s_or_b32 exec_lo, exec_lo, s6
	v_cmp_lt_i32_e64 s5, -1, v20
	v_perm_b32 v20, v24, v20, 0x7060302
	s_delay_alu instid0(VALU_DEP_2) | instskip(SKIP_1) | instid1(VALU_DEP_1)
	v_cndmask_b32_e64 v25, -1, 0xffff8000, s5
	v_cmp_lt_i32_e64 s5, -1, v24
	v_cndmask_b32_e64 v28, -1, 0xffff8000, s5
	s_delay_alu instid0(VALU_DEP_1) | instskip(NEXT) | instid1(VALU_DEP_1)
	v_perm_b32 v24, v28, v25, 0x5040100
	v_xor_b32_e32 v20, v24, v20
	s_delay_alu instid0(VALU_DEP_1) | instskip(NEXT) | instid1(VALU_DEP_1)
	v_lshrrev_b32_e32 v24, 16, v20
	v_cmp_gt_u16_e64 s5, v20, v24
	s_delay_alu instid0(VALU_DEP_1) | instskip(NEXT) | instid1(VALU_DEP_1)
	v_cndmask_b32_e64 v20, v21, v22, s5
	v_lshlrev_b32_e32 v24, 16, v20
	s_delay_alu instid0(VALU_DEP_1) | instskip(NEXT) | instid1(VALU_DEP_1)
	v_add_f32_e32 v24, 0, v24
	v_and_b32_e32 v25, 0x7f800000, v24
	s_delay_alu instid0(VALU_DEP_1) | instskip(SKIP_1) | instid1(SALU_CYCLE_1)
	v_cmp_ne_u32_e64 s6, 0x7f800000, v25
                                        ; implicit-def: $vgpr25
	s_and_saveexec_b32 s7, s6
	s_xor_b32 s6, exec_lo, s7
; %bb.43:
	v_bfe_u32 v25, v24, 16, 1
	s_delay_alu instid0(VALU_DEP_1)
	v_add3_u32 v25, v24, v25, 0x7fff
                                        ; implicit-def: $vgpr24
; %bb.44:
	s_and_not1_saveexec_b32 s7, s6
; %bb.45:
	v_and_b32_e32 v25, 0xffff, v24
	v_or_b32_e32 v28, 0x10000, v24
	s_delay_alu instid0(VALU_DEP_2) | instskip(NEXT) | instid1(VALU_DEP_1)
	v_cmp_eq_u32_e64 s6, 0, v25
	v_cndmask_b32_e64 v25, v28, v24, s6
; %bb.46:
	s_or_b32 exec_lo, exec_lo, s7
	v_cndmask_b32_e64 v21, v22, v21, s5
	s_delay_alu instid0(VALU_DEP_1) | instskip(NEXT) | instid1(VALU_DEP_1)
	v_lshlrev_b32_e32 v22, 16, v21
	v_add_f32_e32 v22, 0, v22
	s_delay_alu instid0(VALU_DEP_1) | instskip(NEXT) | instid1(VALU_DEP_1)
	v_and_b32_e32 v24, 0x7f800000, v22
	v_cmp_ne_u32_e64 s6, 0x7f800000, v24
                                        ; implicit-def: $vgpr24
	s_and_saveexec_b32 s7, s6
	s_delay_alu instid0(SALU_CYCLE_1)
	s_xor_b32 s6, exec_lo, s7
; %bb.47:
	v_bfe_u32 v24, v22, 16, 1
	s_delay_alu instid0(VALU_DEP_1)
	v_add3_u32 v24, v22, v24, 0x7fff
                                        ; implicit-def: $vgpr22
; %bb.48:
	s_and_not1_saveexec_b32 s7, s6
; %bb.49:
	v_and_b32_e32 v24, 0xffff, v22
	v_or_b32_e32 v28, 0x10000, v22
	s_delay_alu instid0(VALU_DEP_2) | instskip(NEXT) | instid1(VALU_DEP_1)
	v_cmp_eq_u32_e64 s6, 0, v24
	v_cndmask_b32_e64 v24, v28, v22, s6
; %bb.50:
	s_or_b32 exec_lo, exec_lo, s7
	v_cndmask_b32_e64 v22, v36, v35, s4
	s_delay_alu instid0(VALU_DEP_1) | instskip(NEXT) | instid1(VALU_DEP_1)
	v_lshlrev_b32_e32 v28, 16, v22
	v_add_f32_e32 v29, 0, v28
	s_delay_alu instid0(VALU_DEP_1) | instskip(NEXT) | instid1(VALU_DEP_1)
	v_and_b32_e32 v28, 0x7f800000, v29
	v_cmp_ne_u32_e64 s6, 0x7f800000, v28
                                        ; implicit-def: $vgpr28
	s_and_saveexec_b32 s7, s6
	s_delay_alu instid0(SALU_CYCLE_1)
	s_xor_b32 s6, exec_lo, s7
; %bb.51:
	v_bfe_u32 v28, v29, 16, 1
	s_delay_alu instid0(VALU_DEP_1)
	v_add3_u32 v28, v29, v28, 0x7fff
                                        ; implicit-def: $vgpr29
; %bb.52:
	s_and_not1_saveexec_b32 s7, s6
; %bb.53:
	v_and_b32_e32 v28, 0xffff, v29
	v_or_b32_e32 v30, 0x10000, v29
	s_delay_alu instid0(VALU_DEP_2) | instskip(NEXT) | instid1(VALU_DEP_1)
	v_cmp_eq_u32_e64 s6, 0, v28
	v_cndmask_b32_e64 v28, v30, v29, s6
; %bb.54:
	s_or_b32 exec_lo, exec_lo, s7
	v_cmp_lt_i32_e64 s6, -1, v23
	v_perm_b32 v23, v25, v23, 0x7060302
	s_delay_alu instid0(VALU_DEP_2) | instskip(SKIP_1) | instid1(VALU_DEP_1)
	v_cndmask_b32_e64 v29, -1, 0xffff8000, s6
	v_cmp_lt_i32_e64 s6, -1, v25
	v_cndmask_b32_e64 v30, -1, 0xffff8000, s6
	s_delay_alu instid0(VALU_DEP_1) | instskip(NEXT) | instid1(VALU_DEP_1)
	v_perm_b32 v25, v30, v29, 0x5040100
	v_xor_b32_e32 v23, v25, v23
	s_delay_alu instid0(VALU_DEP_1) | instskip(NEXT) | instid1(VALU_DEP_1)
	v_lshrrev_b32_e32 v25, 16, v23
	v_cmp_gt_u16_e64 s6, v23, v25
	s_delay_alu instid0(VALU_DEP_1) | instskip(NEXT) | instid1(VALU_DEP_1)
	v_cndmask_b32_e64 v34, v20, v5, s6
	v_lshlrev_b32_e32 v23, 16, v34
	s_delay_alu instid0(VALU_DEP_1) | instskip(NEXT) | instid1(VALU_DEP_1)
	v_add_f32_e32 v23, 0, v23
	v_and_b32_e32 v25, 0x7f800000, v23
	s_delay_alu instid0(VALU_DEP_1) | instskip(SKIP_1) | instid1(SALU_CYCLE_1)
	v_cmp_ne_u32_e64 s7, 0x7f800000, v25
                                        ; implicit-def: $vgpr25
	s_and_saveexec_b32 s8, s7
	s_xor_b32 s7, exec_lo, s8
; %bb.55:
	v_bfe_u32 v25, v23, 16, 1
	s_delay_alu instid0(VALU_DEP_1)
	v_add3_u32 v25, v23, v25, 0x7fff
                                        ; implicit-def: $vgpr23
; %bb.56:
	s_and_not1_saveexec_b32 s8, s7
; %bb.57:
	v_and_b32_e32 v25, 0xffff, v23
	v_or_b32_e32 v29, 0x10000, v23
	s_delay_alu instid0(VALU_DEP_2) | instskip(NEXT) | instid1(VALU_DEP_1)
	v_cmp_eq_u32_e64 s7, 0, v25
	v_cndmask_b32_e64 v25, v29, v23, s7
; %bb.58:
	s_or_b32 exec_lo, exec_lo, s8
	v_cmp_lt_i32_e64 s7, -1, v24
	v_perm_b32 v24, v28, v24, 0x7060302
	s_delay_alu instid0(VALU_DEP_2) | instskip(SKIP_1) | instid1(VALU_DEP_1)
	v_cndmask_b32_e64 v23, -1, 0xffff8000, s7
	v_cmp_lt_i32_e64 s7, -1, v28
	v_cndmask_b32_e64 v29, -1, 0xffff8000, s7
	s_delay_alu instid0(VALU_DEP_1) | instskip(NEXT) | instid1(VALU_DEP_1)
	v_perm_b32 v23, v29, v23, 0x5040100
	v_xor_b32_e32 v23, v23, v24
	s_delay_alu instid0(VALU_DEP_1) | instskip(NEXT) | instid1(VALU_DEP_1)
	v_lshrrev_b32_e32 v24, 16, v23
	v_cmp_gt_u16_e64 s7, v23, v24
	s_delay_alu instid0(VALU_DEP_1) | instskip(NEXT) | instid1(VALU_DEP_1)
	v_cndmask_b32_e64 v23, v21, v22, s7
	v_lshlrev_b32_e32 v24, 16, v23
	s_delay_alu instid0(VALU_DEP_1) | instskip(NEXT) | instid1(VALU_DEP_1)
	v_add_f32_e32 v28, 0, v24
	v_and_b32_e32 v24, 0x7f800000, v28
	s_delay_alu instid0(VALU_DEP_1) | instskip(SKIP_1) | instid1(SALU_CYCLE_1)
	v_cmp_ne_u32_e64 s8, 0x7f800000, v24
                                        ; implicit-def: $vgpr24
	s_and_saveexec_b32 s10, s8
	s_xor_b32 s8, exec_lo, s10
; %bb.59:
	v_bfe_u32 v24, v28, 16, 1
	s_delay_alu instid0(VALU_DEP_1)
	v_add3_u32 v24, v28, v24, 0x7fff
                                        ; implicit-def: $vgpr28
; %bb.60:
	s_and_not1_saveexec_b32 s10, s8
; %bb.61:
	v_and_b32_e32 v24, 0xffff, v28
	v_or_b32_e32 v29, 0x10000, v28
	s_delay_alu instid0(VALU_DEP_2) | instskip(NEXT) | instid1(VALU_DEP_1)
	v_cmp_eq_u32_e64 s8, 0, v24
	v_cndmask_b32_e64 v24, v29, v28, s8
; %bb.62:
	s_or_b32 exec_lo, exec_lo, s10
	v_dual_cndmask_b32 v28, v12, v14, s3 :: v_dual_cndmask_b32 v29, v13, v15, s3
	v_dual_cndmask_b32 v13, v15, v13, s3 :: v_dual_cndmask_b32 v12, v14, v12, s3
	v_cmp_lt_i32_e64 s3, -1, v25
	v_dual_cndmask_b32 v30, v18, v16, s4 :: v_dual_cndmask_b32 v31, v17, v19, s4
	v_dual_cndmask_b32 v16, v16, v18, s4 :: v_dual_cndmask_b32 v17, v19, v17, s4
	s_delay_alu instid0(VALU_DEP_3) | instskip(SKIP_2) | instid1(VALU_DEP_4)
	v_cndmask_b32_e64 v14, -1, 0xffff8000, s3
	v_cmp_lt_i32_e64 s3, -1, v24
	v_perm_b32 v18, v24, v25, 0x7060302
	v_dual_cndmask_b32 v19, v13, v31, s5 :: v_dual_cndmask_b32 v24, v12, v16, s5
	v_dual_cndmask_b32 v16, v16, v12, s5 :: v_dual_cndmask_b32 v25, v31, v13, s5
	s_delay_alu instid0(VALU_DEP_4) | instskip(SKIP_3) | instid1(VALU_DEP_3)
	v_cndmask_b32_e64 v15, -1, 0xffff8000, s3
	v_mov_b32_e32 v35, v23
	s_mov_b32 s4, exec_lo
	v_cndmask_b32_e64 v13, v29, v19, s6
	v_perm_b32 v14, v15, v14, 0x5040100
	v_cndmask_b32_e64 v15, v19, v29, s6
	v_cndmask_b32_e64 v19, v17, v25, s7
	s_delay_alu instid0(VALU_DEP_3) | instskip(SKIP_3) | instid1(VALU_DEP_4)
	v_dual_cndmask_b32 v17, v25, v17, s7 :: v_dual_bitop2_b32 v31, v14, v18 bitop3:0x14
	v_cndmask_b32_e64 v14, v24, v28, s6
	v_cndmask_b32_e64 v12, v28, v24, s6
	v_dual_cndmask_b32 v18, v30, v16, s7 :: v_dual_cndmask_b32 v16, v16, v30, s7
	v_lshrrev_b32_e32 v24, 16, v31
	s_delay_alu instid0(VALU_DEP_1)
	v_cmpx_gt_u16_e64 v31, v24
	s_cbranch_execz .LBB2059_64
; %bb.63:
	v_dual_mov_b32 v48, v12 :: v_dual_mov_b32 v49, v13
	v_dual_mov_b32 v50, v16 :: v_dual_mov_b32 v51, v17
	;; [unrolled: 1-line block ×4, first 2 shown]
	s_delay_alu instid0(VALU_DEP_4) | instskip(NEXT) | instid1(VALU_DEP_4)
	v_mov_b64_e32 v[12:13], v[48:49]
	v_mov_b64_e32 v[14:15], v[50:51]
	s_delay_alu instid0(VALU_DEP_4)
	v_mov_b64_e32 v[16:17], v[52:53]
	v_dual_mov_b32 v35, v34 :: v_dual_mov_b32 v34, v23
	v_mov_b64_e32 v[18:19], v[54:55]
.LBB2059_64:
	s_or_b32 exec_lo, exec_lo, s4
	v_dual_cndmask_b32 v36, v22, v21, s7 :: v_dual_cndmask_b32 v37, v5, v20, s6
.LBB2059_65:
	s_or_b32 exec_lo, exec_lo, s9
	v_and_b32_e32 v24, 0xffffff80, v1
	v_dual_mov_b32 v25, 0 :: v_dual_bitop2_b32 v5, 4, v27 bitop3:0x54
	v_and_b32_e32 v48, 0x78, v27
	s_mov_b32 s4, exec_lo
	s_delay_alu instid0(VALU_DEP_3) | instskip(NEXT) | instid1(VALU_DEP_3)
	v_sub_nc_u32_e64 v1, 0x400, v24 clamp
	v_lshl_add_u64 v[20:21], v[24:25], 1, v[10:11]
	s_delay_alu instid0(VALU_DEP_2) | instskip(NEXT) | instid1(VALU_DEP_2)
	v_min_u32_e32 v38, v1, v5
	v_mad_nc_u64_u32 v[10:11], v24, 6, v[20:21]
	s_delay_alu instid0(VALU_DEP_2) | instskip(NEXT) | instid1(VALU_DEP_1)
	v_add_min_u32_e64 v39, v38, 4, v1
	v_dual_sub_nc_u32 v22, v39, v38 :: v_dual_bitop2_b32 v5, 4, v27 bitop3:0x40
	s_delay_alu instid0(VALU_DEP_1) | instskip(SKIP_2) | instid1(VALU_DEP_3)
	v_min_u32_e32 v49, v1, v5
	v_sub_nc_u32_e32 v5, v38, v48
	v_lshl_add_u32 v33, v27, 3, v10
	v_sub_nc_u32_e64 v50, v49, v22 clamp
	s_delay_alu instid0(VALU_DEP_3) | instskip(NEXT) | instid1(VALU_DEP_3)
	v_min_u32_e32 v11, v49, v5
	v_add_nc_u32_e32 v22, 0x800, v33
	v_lshl_add_u32 v5, v27, 1, v20
	s_wait_loadcnt_dscnt 0x0
	ds_store_2addr_b64 v22, v[12:13], v[14:15] offset1:1
	ds_store_b16 v5, v37
	ds_store_b16 v5, v34 offset:2
	ds_store_b16 v5, v35 offset:4
	;; [unrolled: 1-line block ×3, first 2 shown]
	ds_store_2addr_b64 v22, v[16:17], v[18:19] offset0:2 offset1:3
	; wave barrier
	v_cmpx_lt_u32_e64 v50, v11
	s_cbranch_execz .LBB2059_80
; %bb.66:
	v_lshlrev_b32_e32 v24, 1, v48
	s_mov_b32 s5, 0
	s_delay_alu instid0(VALU_DEP_1) | instskip(SKIP_1) | instid1(VALU_DEP_1)
	v_add_nc_u64_e32 v[22:23], v[20:21], v[24:25]
	v_lshlrev_b32_e32 v24, 1, v38
	v_add_nc_u64_e32 v[24:25], v[20:21], v[24:25]
	s_branch .LBB2059_68
.LBB2059_67:                            ;   in Loop: Header=BB2059_68 Depth=1
	s_or_b32 exec_lo, exec_lo, s6
	v_cmp_lt_i32_e64 s3, -1, v25
	s_delay_alu instid0(VALU_DEP_2) | instskip(NEXT) | instid1(VALU_DEP_2)
	v_perm_b32 v25, v28, v25, 0x7060302
	v_cndmask_b32_e64 v29, -1, 0xffff8000, s3
	v_cmp_lt_i32_e64 s3, -1, v28
	s_delay_alu instid0(VALU_DEP_1) | instskip(NEXT) | instid1(VALU_DEP_1)
	v_cndmask_b32_e64 v30, -1, 0xffff8000, s3
	v_perm_b32 v28, v30, v29, 0x5040100
	s_delay_alu instid0(VALU_DEP_1) | instskip(NEXT) | instid1(VALU_DEP_1)
	v_dual_add_nc_u32 v29, 1, v23 :: v_dual_bitop2_b32 v25, v28, v25 bitop3:0x14
	v_lshrrev_b32_e32 v28, 16, v25
	s_delay_alu instid0(VALU_DEP_1) | instskip(NEXT) | instid1(VALU_DEP_1)
	v_cmp_gt_u16_e64 s3, v25, v28
	v_dual_cndmask_b32 v11, v11, v23, s3 :: v_dual_cndmask_b32 v50, v29, v50, s3
	s_delay_alu instid0(VALU_DEP_1) | instskip(SKIP_1) | instid1(SALU_CYCLE_1)
	v_cmp_ge_u32_e64 s3, v50, v11
	s_or_b32 s5, s3, s5
	s_and_not1_b32 exec_lo, exec_lo, s5
	s_cbranch_execz .LBB2059_79
.LBB2059_68:                            ; =>This Inner Loop Header: Depth=1
	v_add_nc_u32_e32 v23, v11, v50
	s_delay_alu instid0(VALU_DEP_1) | instskip(NEXT) | instid1(VALU_DEP_1)
	v_and_b32_e32 v25, -2, v23
	v_dual_add_nc_u32 v25, v22, v25 :: v_dual_lshrrev_b32 v23, 1, v23
	ds_load_u16 v25, v25
	v_xad_u32 v28, v23, -1, v49
	s_delay_alu instid0(VALU_DEP_1) | instskip(SKIP_3) | instid1(VALU_DEP_1)
	v_lshl_add_u32 v28, v28, 1, v24
	ds_load_u16 v28, v28
	s_wait_dscnt 0x1
	v_lshlrev_b32_e32 v25, 16, v25
	v_add_f32_e32 v29, 0, v25
	s_delay_alu instid0(VALU_DEP_1) | instskip(NEXT) | instid1(VALU_DEP_1)
	v_and_b32_e32 v25, 0x7f800000, v29
	v_cmp_ne_u32_e64 s3, 0x7f800000, v25
                                        ; implicit-def: $vgpr25
	s_and_saveexec_b32 s6, s3
	s_delay_alu instid0(SALU_CYCLE_1)
	s_xor_b32 s3, exec_lo, s6
; %bb.69:                               ;   in Loop: Header=BB2059_68 Depth=1
	v_bfe_u32 v25, v29, 16, 1
	s_delay_alu instid0(VALU_DEP_1)
	v_add3_u32 v25, v29, v25, 0x7fff
                                        ; implicit-def: $vgpr29
; %bb.70:                               ;   in Loop: Header=BB2059_68 Depth=1
	s_and_not1_saveexec_b32 s6, s3
; %bb.71:                               ;   in Loop: Header=BB2059_68 Depth=1
	v_and_b32_e32 v25, 0xffff, v29
	v_or_b32_e32 v30, 0x10000, v29
	s_delay_alu instid0(VALU_DEP_2) | instskip(NEXT) | instid1(VALU_DEP_1)
	v_cmp_eq_u32_e64 s3, 0, v25
	v_cndmask_b32_e64 v25, v30, v29, s3
; %bb.72:                               ;   in Loop: Header=BB2059_68 Depth=1
	s_or_b32 exec_lo, exec_lo, s6
	s_wait_dscnt 0x0
	v_lshlrev_b32_e32 v28, 16, v28
	s_delay_alu instid0(VALU_DEP_1) | instskip(NEXT) | instid1(VALU_DEP_1)
	v_add_f32_e32 v29, 0, v28
	v_and_b32_e32 v28, 0x7f800000, v29
	s_delay_alu instid0(VALU_DEP_1) | instskip(SKIP_1) | instid1(SALU_CYCLE_1)
	v_cmp_ne_u32_e64 s3, 0x7f800000, v28
                                        ; implicit-def: $vgpr28
	s_and_saveexec_b32 s6, s3
	s_xor_b32 s3, exec_lo, s6
; %bb.73:                               ;   in Loop: Header=BB2059_68 Depth=1
	v_bfe_u32 v28, v29, 16, 1
	s_delay_alu instid0(VALU_DEP_1)
	v_add3_u32 v28, v29, v28, 0x7fff
                                        ; implicit-def: $vgpr29
; %bb.74:                               ;   in Loop: Header=BB2059_68 Depth=1
	s_and_not1_saveexec_b32 s6, s3
	s_cbranch_execz .LBB2059_67
; %bb.75:                               ;   in Loop: Header=BB2059_68 Depth=1
	v_and_b32_e32 v28, 0xffff, v29
	v_or_b32_e32 v30, 0x10000, v29
	s_delay_alu instid0(VALU_DEP_2) | instskip(NEXT) | instid1(VALU_DEP_1)
	v_cmp_eq_u32_e64 s3, 0, v28
	v_cndmask_b32_e64 v28, v30, v29, s3
	s_branch .LBB2059_67
.LBB2059_76:
	flat_load_b64 v[12:13], v[20:21]
	v_dual_mov_b32 v14, v5 :: v_dual_mov_b32 v15, v5
	v_dual_mov_b32 v16, v5 :: v_dual_mov_b32 v17, v5
	;; [unrolled: 1-line block ×3, first 2 shown]
	s_wait_xcnt 0x0
	s_or_b32 exec_lo, exec_lo, s3
	s_and_saveexec_b32 s3, s0
	s_cbranch_execz .LBB2059_10
.LBB2059_77:
	flat_load_b64 v[14:15], v[20:21] offset:8
	s_wait_xcnt 0x0
	s_or_b32 exec_lo, exec_lo, s3
	s_and_saveexec_b32 s3, s1
	s_cbranch_execz .LBB2059_11
.LBB2059_78:
	flat_load_b64 v[16:17], v[20:21] offset:16
	s_wait_xcnt 0x0
	s_or_b32 exec_lo, exec_lo, s3
	s_and_saveexec_b32 s3, s2
	s_cbranch_execnz .LBB2059_12
	s_branch .LBB2059_13
.LBB2059_79:
	s_or_b32 exec_lo, exec_lo, s5
.LBB2059_80:
	s_delay_alu instid0(SALU_CYCLE_1) | instskip(SKIP_4) | instid1(VALU_DEP_4)
	s_or_b32 exec_lo, exec_lo, s4
	v_add_nc_u32_e32 v22, v38, v49
	v_dual_add_nc_u32 v30, 6, v5 :: v_dual_add_nc_u32 v24, v50, v48
	v_add_nc_u32_e32 v31, 0x800, v33
	v_dual_add_nc_u32 v11, 2, v5 :: v_dual_add_nc_u32 v29, 4, v5
	v_sub_nc_u32_e32 v25, v22, v50
	s_delay_alu instid0(VALU_DEP_4)
	v_cmp_le_u32_e64 s3, v24, v38
	v_add_nc_u32_e32 v28, 0x808, v33
	v_add_nc_u32_e32 v32, 0x810, v33
	;; [unrolled: 1-line block ×3, first 2 shown]
	v_cmp_le_u32_e64 s4, v25, v39
	s_or_b32 s3, s3, s4
	s_delay_alu instid0(SALU_CYCLE_1)
	s_and_saveexec_b32 s5, s3
	s_cbranch_execz .LBB2059_132
; %bb.81:
	v_cmp_ge_u32_e64 s3, v24, v38
	s_mov_b32 s6, exec_lo
                                        ; implicit-def: $vgpr22
	v_cmpx_lt_u32_e64 v24, v38
; %bb.82:
	v_lshl_add_u32 v12, v24, 1, v20
	ds_load_u16 v22, v12
; %bb.83:
	s_or_b32 exec_lo, exec_lo, s6
	v_cmp_ge_u32_e64 s6, v25, v39
	s_mov_b32 s7, exec_lo
                                        ; implicit-def: $vgpr23
	v_cmpx_lt_u32_e64 v25, v39
; %bb.84:
	v_lshl_add_u32 v12, v25, 1, v20
	ds_load_u16 v23, v12
; %bb.85:
	s_or_b32 exec_lo, exec_lo, s7
	s_nor_b32 s3, s3, s6
	s_delay_alu instid0(SALU_CYCLE_1)
	s_and_saveexec_b32 s4, s3
	s_cbranch_execz .LBB2059_95
; %bb.86:
	s_wait_dscnt 0x0
	v_lshlrev_b32_e32 v12, 16, v22
	s_delay_alu instid0(VALU_DEP_1) | instskip(NEXT) | instid1(VALU_DEP_1)
	v_add_f32_e32 v13, 0, v12
	v_and_b32_e32 v12, 0x7f800000, v13
	s_delay_alu instid0(VALU_DEP_1) | instskip(SKIP_1) | instid1(SALU_CYCLE_1)
	v_cmp_ne_u32_e64 s3, 0x7f800000, v12
                                        ; implicit-def: $vgpr12
	s_and_saveexec_b32 s7, s3
	s_xor_b32 s3, exec_lo, s7
; %bb.87:
	v_bfe_u32 v12, v13, 16, 1
	s_delay_alu instid0(VALU_DEP_1)
	v_add3_u32 v12, v13, v12, 0x7fff
                                        ; implicit-def: $vgpr13
; %bb.88:
	s_and_not1_saveexec_b32 s7, s3
; %bb.89:
	v_and_b32_e32 v12, 0xffff, v13
	v_or_b32_e32 v14, 0x10000, v13
	s_delay_alu instid0(VALU_DEP_2) | instskip(NEXT) | instid1(VALU_DEP_1)
	v_cmp_eq_u32_e64 s3, 0, v12
	v_cndmask_b32_e64 v12, v14, v13, s3
; %bb.90:
	s_or_b32 exec_lo, exec_lo, s7
	v_lshlrev_b32_e32 v13, 16, v23
	s_delay_alu instid0(VALU_DEP_1) | instskip(NEXT) | instid1(VALU_DEP_1)
	v_add_f32_e32 v14, 0, v13
	v_and_b32_e32 v13, 0x7f800000, v14
	s_delay_alu instid0(VALU_DEP_1) | instskip(SKIP_1) | instid1(SALU_CYCLE_1)
	v_cmp_ne_u32_e64 s3, 0x7f800000, v13
                                        ; implicit-def: $vgpr13
	s_and_saveexec_b32 s7, s3
	s_xor_b32 s3, exec_lo, s7
; %bb.91:
	v_bfe_u32 v13, v14, 16, 1
	s_delay_alu instid0(VALU_DEP_1)
	v_add3_u32 v13, v14, v13, 0x7fff
                                        ; implicit-def: $vgpr14
; %bb.92:
	s_and_not1_saveexec_b32 s7, s3
; %bb.93:
	v_and_b32_e32 v13, 0xffff, v14
	v_or_b32_e32 v15, 0x10000, v14
	s_delay_alu instid0(VALU_DEP_2) | instskip(NEXT) | instid1(VALU_DEP_1)
	v_cmp_eq_u32_e64 s3, 0, v13
	v_cndmask_b32_e64 v13, v15, v14, s3
; %bb.94:
	s_or_b32 exec_lo, exec_lo, s7
	v_cmp_lt_i32_e64 s3, -1, v12
	s_delay_alu instid0(VALU_DEP_2) | instskip(SKIP_3) | instid1(VALU_DEP_1)
	v_perm_b32 v12, v13, v12, 0x7060302
	s_and_not1_b32 s6, s6, exec_lo
	v_cndmask_b32_e64 v14, -1, 0xffff8000, s3
	v_cmp_lt_i32_e64 s3, -1, v13
	v_cndmask_b32_e64 v15, -1, 0xffff8000, s3
	s_delay_alu instid0(VALU_DEP_1) | instskip(NEXT) | instid1(VALU_DEP_1)
	v_perm_b32 v13, v15, v14, 0x5040100
	v_xor_b32_e32 v12, v13, v12
	s_delay_alu instid0(VALU_DEP_1) | instskip(NEXT) | instid1(VALU_DEP_1)
	v_lshrrev_b32_e32 v13, 16, v12
	v_cmp_le_u16_e64 s3, v12, v13
	s_and_b32 s3, s3, exec_lo
	s_delay_alu instid0(SALU_CYCLE_1)
	s_or_b32 s6, s6, s3
.LBB2059_95:
	s_or_b32 exec_lo, exec_lo, s4
	v_dual_cndmask_b32 v12, v25, v24, s6 :: v_dual_cndmask_b32 v13, v39, v38, s6
	s_mov_b32 s7, -1
	s_mov_b32 s4, -1
	s_mov_b32 s8, exec_lo
	s_delay_alu instid0(VALU_DEP_1) | instskip(SKIP_1) | instid1(VALU_DEP_2)
	v_add_nc_u32_e32 v14, 1, v12
	v_lshl_add_u32 v12, v12, 3, v10
	v_add_min_u32_e64 v13, v13, -1, v14
	s_delay_alu instid0(VALU_DEP_1)
	v_lshl_add_u32 v13, v13, 1, v20
	ds_load_u16 v15, v13
	ds_load_b64 v[12:13], v12 offset:2048
	s_wait_dscnt 0x1
	v_dual_cndmask_b32 v17, v24, v14, s6 :: v_dual_cndmask_b32 v24, v15, v23, s6
	v_cndmask_b32_e64 v16, v14, v25, s6
	v_cndmask_b32_e64 v25, v22, v15, s6
	s_delay_alu instid0(VALU_DEP_2)
	v_cmpx_lt_u32_e64 v16, v39
	s_cbranch_execz .LBB2059_107
; %bb.96:
	s_mov_b32 s9, 0
	s_mov_b32 s4, exec_lo
	v_cmpx_lt_u32_e64 v17, v38
	s_cbranch_execz .LBB2059_106
; %bb.97:
	v_lshlrev_b32_e32 v14, 16, v25
	s_delay_alu instid0(VALU_DEP_1) | instskip(NEXT) | instid1(VALU_DEP_1)
	v_add_f32_e32 v15, 0, v14
	v_and_b32_e32 v14, 0x7f800000, v15
	s_delay_alu instid0(VALU_DEP_1) | instskip(SKIP_1) | instid1(SALU_CYCLE_1)
	v_cmp_ne_u32_e64 s3, 0x7f800000, v14
                                        ; implicit-def: $vgpr14
	s_and_saveexec_b32 s9, s3
	s_xor_b32 s3, exec_lo, s9
; %bb.98:
	v_bfe_u32 v14, v15, 16, 1
	s_delay_alu instid0(VALU_DEP_1)
	v_add3_u32 v14, v15, v14, 0x7fff
                                        ; implicit-def: $vgpr15
; %bb.99:
	s_and_not1_saveexec_b32 s9, s3
; %bb.100:
	v_and_b32_e32 v14, 0xffff, v15
	v_or_b32_e32 v18, 0x10000, v15
	s_delay_alu instid0(VALU_DEP_2) | instskip(NEXT) | instid1(VALU_DEP_1)
	v_cmp_eq_u32_e64 s3, 0, v14
	v_cndmask_b32_e64 v14, v18, v15, s3
; %bb.101:
	s_or_b32 exec_lo, exec_lo, s9
	v_lshlrev_b32_e32 v15, 16, v24
	s_delay_alu instid0(VALU_DEP_1) | instskip(NEXT) | instid1(VALU_DEP_1)
	v_add_f32_e32 v18, 0, v15
	v_and_b32_e32 v15, 0x7f800000, v18
	s_delay_alu instid0(VALU_DEP_1) | instskip(SKIP_1) | instid1(SALU_CYCLE_1)
	v_cmp_ne_u32_e64 s3, 0x7f800000, v15
                                        ; implicit-def: $vgpr15
	s_and_saveexec_b32 s9, s3
	s_xor_b32 s3, exec_lo, s9
; %bb.102:
	v_bfe_u32 v15, v18, 16, 1
	s_delay_alu instid0(VALU_DEP_1)
	v_add3_u32 v15, v18, v15, 0x7fff
                                        ; implicit-def: $vgpr18
; %bb.103:
	s_and_not1_saveexec_b32 s9, s3
; %bb.104:
	v_and_b32_e32 v15, 0xffff, v18
	v_or_b32_e32 v19, 0x10000, v18
	s_delay_alu instid0(VALU_DEP_2) | instskip(NEXT) | instid1(VALU_DEP_1)
	v_cmp_eq_u32_e64 s3, 0, v15
	v_cndmask_b32_e64 v15, v19, v18, s3
; %bb.105:
	s_or_b32 exec_lo, exec_lo, s9
	v_cmp_lt_i32_e64 s3, -1, v14
	s_delay_alu instid0(VALU_DEP_2) | instskip(NEXT) | instid1(VALU_DEP_2)
	v_perm_b32 v14, v15, v14, 0x7060302
	v_cndmask_b32_e64 v18, -1, 0xffff8000, s3
	v_cmp_lt_i32_e64 s3, -1, v15
	s_delay_alu instid0(VALU_DEP_1) | instskip(NEXT) | instid1(VALU_DEP_1)
	v_cndmask_b32_e64 v19, -1, 0xffff8000, s3
	v_perm_b32 v15, v19, v18, 0x5040100
	s_delay_alu instid0(VALU_DEP_1) | instskip(NEXT) | instid1(VALU_DEP_1)
	v_xor_b32_e32 v14, v15, v14
	v_lshrrev_b32_e32 v15, 16, v14
	s_delay_alu instid0(VALU_DEP_1)
	v_cmp_le_u16_e64 s3, v14, v15
	s_and_b32 s9, s3, exec_lo
.LBB2059_106:
	s_or_b32 exec_lo, exec_lo, s4
	s_delay_alu instid0(SALU_CYCLE_1)
	s_or_not1_b32 s4, s9, exec_lo
.LBB2059_107:
	s_or_b32 exec_lo, exec_lo, s8
	v_dual_cndmask_b32 v14, v16, v17, s4 :: v_dual_cndmask_b32 v15, v39, v38, s4
	s_mov_b32 s8, exec_lo
	s_delay_alu instid0(VALU_DEP_1) | instskip(SKIP_1) | instid1(VALU_DEP_2)
	v_add_nc_u32_e32 v19, 1, v14
	v_lshl_add_u32 v14, v14, 3, v10
	v_add_min_u32_e64 v15, v15, -1, v19
	s_delay_alu instid0(VALU_DEP_1)
	v_lshl_add_u32 v15, v15, 1, v20
	ds_load_u16 v35, v15
	ds_load_b64 v[14:15], v14 offset:2048
	s_wait_dscnt 0x1
	v_cndmask_b32_e64 v34, v35, v24, s4
	v_dual_cndmask_b32 v18, v19, v16, s4 :: v_dual_cndmask_b32 v19, v17, v19, s4
	v_cndmask_b32_e64 v35, v25, v35, s4
	s_delay_alu instid0(VALU_DEP_2)
	v_cmpx_lt_u32_e64 v18, v39
	s_cbranch_execz .LBB2059_119
; %bb.108:
	s_mov_b32 s9, 0
	s_mov_b32 s7, exec_lo
	v_cmpx_lt_u32_e64 v19, v38
	s_cbranch_execz .LBB2059_118
; %bb.109:
	v_lshlrev_b32_e32 v16, 16, v35
	s_delay_alu instid0(VALU_DEP_1) | instskip(NEXT) | instid1(VALU_DEP_1)
	v_add_f32_e32 v17, 0, v16
	v_and_b32_e32 v16, 0x7f800000, v17
	s_delay_alu instid0(VALU_DEP_1) | instskip(SKIP_1) | instid1(SALU_CYCLE_1)
	v_cmp_ne_u32_e64 s3, 0x7f800000, v16
                                        ; implicit-def: $vgpr16
	s_and_saveexec_b32 s9, s3
	s_xor_b32 s3, exec_lo, s9
; %bb.110:
	v_bfe_u32 v16, v17, 16, 1
	s_delay_alu instid0(VALU_DEP_1)
	v_add3_u32 v16, v17, v16, 0x7fff
                                        ; implicit-def: $vgpr17
; %bb.111:
	s_and_not1_saveexec_b32 s9, s3
; %bb.112:
	v_and_b32_e32 v16, 0xffff, v17
	v_or_b32_e32 v36, 0x10000, v17
	s_delay_alu instid0(VALU_DEP_2) | instskip(NEXT) | instid1(VALU_DEP_1)
	v_cmp_eq_u32_e64 s3, 0, v16
	v_cndmask_b32_e64 v16, v36, v17, s3
; %bb.113:
	s_or_b32 exec_lo, exec_lo, s9
	v_lshlrev_b32_e32 v17, 16, v34
	s_delay_alu instid0(VALU_DEP_1) | instskip(NEXT) | instid1(VALU_DEP_1)
	v_add_f32_e32 v36, 0, v17
	v_and_b32_e32 v17, 0x7f800000, v36
	s_delay_alu instid0(VALU_DEP_1) | instskip(SKIP_1) | instid1(SALU_CYCLE_1)
	v_cmp_ne_u32_e64 s3, 0x7f800000, v17
                                        ; implicit-def: $vgpr17
	s_and_saveexec_b32 s9, s3
	s_xor_b32 s3, exec_lo, s9
; %bb.114:
	v_bfe_u32 v17, v36, 16, 1
	s_delay_alu instid0(VALU_DEP_1)
	v_add3_u32 v17, v36, v17, 0x7fff
                                        ; implicit-def: $vgpr36
; %bb.115:
	s_and_not1_saveexec_b32 s9, s3
; %bb.116:
	v_and_b32_e32 v17, 0xffff, v36
	v_or_b32_e32 v37, 0x10000, v36
	s_delay_alu instid0(VALU_DEP_2) | instskip(NEXT) | instid1(VALU_DEP_1)
	v_cmp_eq_u32_e64 s3, 0, v17
	v_cndmask_b32_e64 v17, v37, v36, s3
; %bb.117:
	s_or_b32 exec_lo, exec_lo, s9
	v_cmp_lt_i32_e64 s3, -1, v16
	s_delay_alu instid0(VALU_DEP_2) | instskip(NEXT) | instid1(VALU_DEP_2)
	v_perm_b32 v16, v17, v16, 0x7060302
	v_cndmask_b32_e64 v36, -1, 0xffff8000, s3
	v_cmp_lt_i32_e64 s3, -1, v17
	s_delay_alu instid0(VALU_DEP_1) | instskip(NEXT) | instid1(VALU_DEP_1)
	v_cndmask_b32_e64 v37, -1, 0xffff8000, s3
	v_perm_b32 v17, v37, v36, 0x5040100
	s_delay_alu instid0(VALU_DEP_1) | instskip(NEXT) | instid1(VALU_DEP_1)
	v_xor_b32_e32 v16, v17, v16
	v_lshrrev_b32_e32 v17, 16, v16
	s_delay_alu instid0(VALU_DEP_1)
	v_cmp_le_u16_e64 s3, v16, v17
	s_and_b32 s9, s3, exec_lo
.LBB2059_118:
	s_or_b32 exec_lo, exec_lo, s7
	s_delay_alu instid0(SALU_CYCLE_1)
	s_or_not1_b32 s7, s9, exec_lo
.LBB2059_119:
	s_or_b32 exec_lo, exec_lo, s8
	v_dual_cndmask_b32 v16, v18, v19, s7 :: v_dual_cndmask_b32 v17, v39, v38, s7
	s_mov_b32 s9, -1
	s_mov_b32 s8, exec_lo
	s_delay_alu instid0(VALU_DEP_1) | instskip(SKIP_1) | instid1(VALU_DEP_2)
	v_add_nc_u32_e32 v36, 1, v16
	v_lshl_add_u32 v16, v16, 3, v10
	v_add_min_u32_e64 v17, v17, -1, v36
	s_delay_alu instid0(VALU_DEP_1)
	v_lshl_add_u32 v17, v17, 1, v20
	ds_load_u16 v37, v17
	ds_load_b64 v[16:17], v16 offset:2048
	s_wait_dscnt 0x1
	v_dual_cndmask_b32 v48, v35, v37, s7 :: v_dual_cndmask_b32 v18, v36, v18, s7
	v_dual_cndmask_b32 v19, v19, v36, s7 :: v_dual_cndmask_b32 v36, v37, v34, s7
	s_delay_alu instid0(VALU_DEP_2)
	v_cmpx_lt_u32_e64 v18, v39
	s_cbranch_execz .LBB2059_131
; %bb.120:
	s_mov_b32 s10, 0
	s_mov_b32 s9, exec_lo
	v_cmpx_lt_u32_e64 v19, v38
	s_cbranch_execz .LBB2059_130
; %bb.121:
	v_lshlrev_b32_e32 v37, 16, v48
	s_delay_alu instid0(VALU_DEP_1) | instskip(NEXT) | instid1(VALU_DEP_1)
	v_add_f32_e32 v38, 0, v37
	v_and_b32_e32 v37, 0x7f800000, v38
	s_delay_alu instid0(VALU_DEP_1) | instskip(SKIP_1) | instid1(SALU_CYCLE_1)
	v_cmp_ne_u32_e64 s3, 0x7f800000, v37
                                        ; implicit-def: $vgpr37
	s_and_saveexec_b32 s10, s3
	s_xor_b32 s3, exec_lo, s10
; %bb.122:
	v_bfe_u32 v37, v38, 16, 1
	s_delay_alu instid0(VALU_DEP_1)
	v_add3_u32 v37, v38, v37, 0x7fff
                                        ; implicit-def: $vgpr38
; %bb.123:
	s_and_not1_saveexec_b32 s10, s3
; %bb.124:
	v_and_b32_e32 v37, 0xffff, v38
	v_or_b32_e32 v39, 0x10000, v38
	s_delay_alu instid0(VALU_DEP_2) | instskip(NEXT) | instid1(VALU_DEP_1)
	v_cmp_eq_u32_e64 s3, 0, v37
	v_cndmask_b32_e64 v37, v39, v38, s3
; %bb.125:
	s_or_b32 exec_lo, exec_lo, s10
	v_lshlrev_b32_e32 v38, 16, v36
	s_delay_alu instid0(VALU_DEP_1) | instskip(NEXT) | instid1(VALU_DEP_1)
	v_add_f32_e32 v39, 0, v38
	v_and_b32_e32 v38, 0x7f800000, v39
	s_delay_alu instid0(VALU_DEP_1) | instskip(SKIP_1) | instid1(SALU_CYCLE_1)
	v_cmp_ne_u32_e64 s3, 0x7f800000, v38
                                        ; implicit-def: $vgpr38
	s_and_saveexec_b32 s10, s3
	s_xor_b32 s3, exec_lo, s10
; %bb.126:
	v_bfe_u32 v38, v39, 16, 1
	s_delay_alu instid0(VALU_DEP_1)
	v_add3_u32 v38, v39, v38, 0x7fff
                                        ; implicit-def: $vgpr39
; %bb.127:
	s_and_not1_saveexec_b32 s10, s3
; %bb.128:
	v_and_b32_e32 v38, 0xffff, v39
	v_or_b32_e32 v49, 0x10000, v39
	s_delay_alu instid0(VALU_DEP_2) | instskip(NEXT) | instid1(VALU_DEP_1)
	v_cmp_eq_u32_e64 s3, 0, v38
	v_cndmask_b32_e64 v38, v49, v39, s3
; %bb.129:
	s_or_b32 exec_lo, exec_lo, s10
	v_cmp_lt_i32_e64 s3, -1, v37
	s_delay_alu instid0(VALU_DEP_2) | instskip(NEXT) | instid1(VALU_DEP_2)
	v_perm_b32 v37, v38, v37, 0x7060302
	v_cndmask_b32_e64 v39, -1, 0xffff8000, s3
	v_cmp_lt_i32_e64 s3, -1, v38
	s_delay_alu instid0(VALU_DEP_1) | instskip(NEXT) | instid1(VALU_DEP_1)
	v_cndmask_b32_e64 v49, -1, 0xffff8000, s3
	v_perm_b32 v38, v49, v39, 0x5040100
	s_delay_alu instid0(VALU_DEP_1) | instskip(NEXT) | instid1(VALU_DEP_1)
	v_xor_b32_e32 v37, v38, v37
	v_lshrrev_b32_e32 v38, 16, v37
	s_delay_alu instid0(VALU_DEP_1)
	v_cmp_le_u16_e64 s3, v37, v38
	s_and_b32 s10, s3, exec_lo
.LBB2059_130:
	s_or_b32 exec_lo, exec_lo, s9
	s_delay_alu instid0(SALU_CYCLE_1)
	s_or_not1_b32 s9, s10, exec_lo
.LBB2059_131:
	s_or_b32 exec_lo, exec_lo, s8
	s_delay_alu instid0(VALU_DEP_2) | instskip(SKIP_3) | instid1(VALU_DEP_4)
	v_cndmask_b32_e64 v18, v18, v19, s9
	v_dual_cndmask_b32 v35, v34, v35, s7 :: v_dual_cndmask_b32 v37, v23, v22, s6
	v_cndmask_b32_e64 v34, v24, v25, s4
	v_cndmask_b32_e64 v36, v36, v48, s9
	v_lshl_add_u32 v18, v18, 3, v10
	ds_load_b64 v[18:19], v18 offset:2048
.LBB2059_132:
	s_or_b32 exec_lo, exec_lo, s5
	v_and_b32_e32 v48, 0x70, v27
	s_mov_b32 s4, exec_lo
	; wave barrier
	ds_store_b16 v5, v37
	ds_store_b64 v31, v[12:13]
	v_or_b32_e32 v22, 8, v48
	ds_store_b16 v11, v34
	ds_store_b64 v28, v[14:15]
	ds_store_b16 v29, v35
	s_wait_dscnt 0x6
	ds_store_b64 v32, v[16:17]
	ds_store_b16 v30, v36
	s_wait_dscnt 0x7
	ds_store_b64 v33, v[18:19]
	; wave barrier
	v_min_u32_e32 v38, v1, v22
	v_and_b32_e32 v22, 12, v27
	s_delay_alu instid0(VALU_DEP_2) | instskip(NEXT) | instid1(VALU_DEP_2)
	v_add_min_u32_e64 v39, v38, 8, v1
	v_min_u32_e32 v49, v1, v22
	s_delay_alu instid0(VALU_DEP_2) | instskip(NEXT) | instid1(VALU_DEP_1)
	v_dual_sub_nc_u32 v23, v38, v48 :: v_dual_sub_nc_u32 v22, v39, v38
	v_min_u32_e32 v51, v49, v23
	s_delay_alu instid0(VALU_DEP_2) | instskip(NEXT) | instid1(VALU_DEP_1)
	v_sub_nc_u32_e64 v50, v49, v22 clamp
	v_cmpx_lt_u32_e64 v50, v51
	s_cbranch_execz .LBB2059_144
; %bb.133:
	v_dual_mov_b32 v25, 0 :: v_dual_lshlrev_b32 v24, 1, v48
	s_mov_b32 s5, 0
	s_delay_alu instid0(VALU_DEP_1) | instskip(SKIP_1) | instid1(VALU_DEP_1)
	v_add_nc_u64_e32 v[22:23], v[20:21], v[24:25]
	v_lshlrev_b32_e32 v24, 1, v38
	v_add_nc_u64_e32 v[24:25], v[20:21], v[24:25]
	s_branch .LBB2059_135
.LBB2059_134:                           ;   in Loop: Header=BB2059_135 Depth=1
	s_or_b32 exec_lo, exec_lo, s6
	v_cmp_lt_i32_e64 s3, -1, v25
	s_delay_alu instid0(VALU_DEP_2) | instskip(NEXT) | instid1(VALU_DEP_2)
	v_perm_b32 v25, v52, v25, 0x7060302
	v_cndmask_b32_e64 v53, -1, 0xffff8000, s3
	v_cmp_lt_i32_e64 s3, -1, v52
	s_delay_alu instid0(VALU_DEP_1) | instskip(NEXT) | instid1(VALU_DEP_1)
	v_cndmask_b32_e64 v54, -1, 0xffff8000, s3
	v_perm_b32 v52, v54, v53, 0x5040100
	s_delay_alu instid0(VALU_DEP_1) | instskip(NEXT) | instid1(VALU_DEP_1)
	v_dual_add_nc_u32 v53, 1, v23 :: v_dual_bitop2_b32 v25, v52, v25 bitop3:0x14
	v_lshrrev_b32_e32 v52, 16, v25
	s_delay_alu instid0(VALU_DEP_1) | instskip(NEXT) | instid1(VALU_DEP_1)
	v_cmp_gt_u16_e64 s3, v25, v52
	v_dual_cndmask_b32 v51, v51, v23, s3 :: v_dual_cndmask_b32 v50, v53, v50, s3
	s_delay_alu instid0(VALU_DEP_1) | instskip(SKIP_1) | instid1(SALU_CYCLE_1)
	v_cmp_ge_u32_e64 s3, v50, v51
	s_or_b32 s5, s3, s5
	s_and_not1_b32 exec_lo, exec_lo, s5
	s_cbranch_execz .LBB2059_143
.LBB2059_135:                           ; =>This Inner Loop Header: Depth=1
	v_add_nc_u32_e32 v23, v51, v50
	s_delay_alu instid0(VALU_DEP_1) | instskip(NEXT) | instid1(VALU_DEP_1)
	v_and_b32_e32 v25, -2, v23
	v_dual_add_nc_u32 v25, v22, v25 :: v_dual_lshrrev_b32 v23, 1, v23
	ds_load_u16 v25, v25
	v_xad_u32 v52, v23, -1, v49
	s_delay_alu instid0(VALU_DEP_1) | instskip(SKIP_3) | instid1(VALU_DEP_1)
	v_lshl_add_u32 v52, v52, 1, v24
	ds_load_u16 v52, v52
	s_wait_dscnt 0x1
	v_lshlrev_b32_e32 v25, 16, v25
	v_add_f32_e32 v53, 0, v25
	s_delay_alu instid0(VALU_DEP_1) | instskip(NEXT) | instid1(VALU_DEP_1)
	v_and_b32_e32 v25, 0x7f800000, v53
	v_cmp_ne_u32_e64 s3, 0x7f800000, v25
                                        ; implicit-def: $vgpr25
	s_and_saveexec_b32 s6, s3
	s_delay_alu instid0(SALU_CYCLE_1)
	s_xor_b32 s3, exec_lo, s6
; %bb.136:                              ;   in Loop: Header=BB2059_135 Depth=1
	v_bfe_u32 v25, v53, 16, 1
	s_delay_alu instid0(VALU_DEP_1)
	v_add3_u32 v25, v53, v25, 0x7fff
                                        ; implicit-def: $vgpr53
; %bb.137:                              ;   in Loop: Header=BB2059_135 Depth=1
	s_and_not1_saveexec_b32 s6, s3
; %bb.138:                              ;   in Loop: Header=BB2059_135 Depth=1
	v_and_b32_e32 v25, 0xffff, v53
	v_or_b32_e32 v54, 0x10000, v53
	s_delay_alu instid0(VALU_DEP_2) | instskip(NEXT) | instid1(VALU_DEP_1)
	v_cmp_eq_u32_e64 s3, 0, v25
	v_cndmask_b32_e64 v25, v54, v53, s3
; %bb.139:                              ;   in Loop: Header=BB2059_135 Depth=1
	s_or_b32 exec_lo, exec_lo, s6
	s_wait_dscnt 0x0
	v_lshlrev_b32_e32 v52, 16, v52
	s_delay_alu instid0(VALU_DEP_1) | instskip(NEXT) | instid1(VALU_DEP_1)
	v_add_f32_e32 v53, 0, v52
	v_and_b32_e32 v52, 0x7f800000, v53
	s_delay_alu instid0(VALU_DEP_1) | instskip(SKIP_1) | instid1(SALU_CYCLE_1)
	v_cmp_ne_u32_e64 s3, 0x7f800000, v52
                                        ; implicit-def: $vgpr52
	s_and_saveexec_b32 s6, s3
	s_xor_b32 s3, exec_lo, s6
; %bb.140:                              ;   in Loop: Header=BB2059_135 Depth=1
	v_bfe_u32 v52, v53, 16, 1
	s_delay_alu instid0(VALU_DEP_1)
	v_add3_u32 v52, v53, v52, 0x7fff
                                        ; implicit-def: $vgpr53
; %bb.141:                              ;   in Loop: Header=BB2059_135 Depth=1
	s_and_not1_saveexec_b32 s6, s3
	s_cbranch_execz .LBB2059_134
; %bb.142:                              ;   in Loop: Header=BB2059_135 Depth=1
	v_and_b32_e32 v52, 0xffff, v53
	v_or_b32_e32 v54, 0x10000, v53
	s_delay_alu instid0(VALU_DEP_2) | instskip(NEXT) | instid1(VALU_DEP_1)
	v_cmp_eq_u32_e64 s3, 0, v52
	v_cndmask_b32_e64 v52, v54, v53, s3
	s_branch .LBB2059_134
.LBB2059_143:
	s_or_b32 exec_lo, exec_lo, s5
.LBB2059_144:
	s_delay_alu instid0(SALU_CYCLE_1) | instskip(SKIP_2) | instid1(VALU_DEP_2)
	s_or_b32 exec_lo, exec_lo, s4
	v_add_nc_u32_e32 v22, v38, v49
	v_add_nc_u32_e32 v24, v50, v48
	v_sub_nc_u32_e32 v25, v22, v50
	s_delay_alu instid0(VALU_DEP_2) | instskip(NEXT) | instid1(VALU_DEP_2)
	v_cmp_le_u32_e64 s3, v24, v38
	v_cmp_le_u32_e64 s4, v25, v39
	s_or_b32 s3, s3, s4
	s_delay_alu instid0(SALU_CYCLE_1)
	s_and_saveexec_b32 s5, s3
	s_cbranch_execz .LBB2059_196
; %bb.145:
	v_cmp_ge_u32_e64 s3, v24, v38
	s_mov_b32 s6, exec_lo
                                        ; implicit-def: $vgpr22
	v_cmpx_lt_u32_e64 v24, v38
; %bb.146:
	v_lshl_add_u32 v12, v24, 1, v20
	ds_load_u16 v22, v12
; %bb.147:
	s_or_b32 exec_lo, exec_lo, s6
	v_cmp_ge_u32_e64 s6, v25, v39
	s_mov_b32 s7, exec_lo
                                        ; implicit-def: $vgpr23
	v_cmpx_lt_u32_e64 v25, v39
; %bb.148:
	v_lshl_add_u32 v12, v25, 1, v20
	ds_load_u16 v23, v12
; %bb.149:
	s_or_b32 exec_lo, exec_lo, s7
	s_nor_b32 s3, s3, s6
	s_delay_alu instid0(SALU_CYCLE_1)
	s_and_saveexec_b32 s4, s3
	s_cbranch_execz .LBB2059_159
; %bb.150:
	s_wait_dscnt 0x0
	v_lshlrev_b32_e32 v12, 16, v22
	s_delay_alu instid0(VALU_DEP_1) | instskip(NEXT) | instid1(VALU_DEP_1)
	v_add_f32_e32 v13, 0, v12
	v_and_b32_e32 v12, 0x7f800000, v13
	s_delay_alu instid0(VALU_DEP_1) | instskip(SKIP_1) | instid1(SALU_CYCLE_1)
	v_cmp_ne_u32_e64 s3, 0x7f800000, v12
                                        ; implicit-def: $vgpr12
	s_and_saveexec_b32 s7, s3
	s_xor_b32 s3, exec_lo, s7
; %bb.151:
	v_bfe_u32 v12, v13, 16, 1
	s_delay_alu instid0(VALU_DEP_1)
	v_add3_u32 v12, v13, v12, 0x7fff
                                        ; implicit-def: $vgpr13
; %bb.152:
	s_and_not1_saveexec_b32 s7, s3
; %bb.153:
	v_and_b32_e32 v12, 0xffff, v13
	v_or_b32_e32 v14, 0x10000, v13
	s_delay_alu instid0(VALU_DEP_2) | instskip(NEXT) | instid1(VALU_DEP_1)
	v_cmp_eq_u32_e64 s3, 0, v12
	v_cndmask_b32_e64 v12, v14, v13, s3
; %bb.154:
	s_or_b32 exec_lo, exec_lo, s7
	v_lshlrev_b32_e32 v13, 16, v23
	s_delay_alu instid0(VALU_DEP_1) | instskip(NEXT) | instid1(VALU_DEP_1)
	v_add_f32_e32 v14, 0, v13
	v_and_b32_e32 v13, 0x7f800000, v14
	s_delay_alu instid0(VALU_DEP_1) | instskip(SKIP_1) | instid1(SALU_CYCLE_1)
	v_cmp_ne_u32_e64 s3, 0x7f800000, v13
                                        ; implicit-def: $vgpr13
	s_and_saveexec_b32 s7, s3
	s_xor_b32 s3, exec_lo, s7
; %bb.155:
	v_bfe_u32 v13, v14, 16, 1
	s_delay_alu instid0(VALU_DEP_1)
	v_add3_u32 v13, v14, v13, 0x7fff
                                        ; implicit-def: $vgpr14
; %bb.156:
	s_and_not1_saveexec_b32 s7, s3
; %bb.157:
	v_and_b32_e32 v13, 0xffff, v14
	v_or_b32_e32 v15, 0x10000, v14
	s_delay_alu instid0(VALU_DEP_2) | instskip(NEXT) | instid1(VALU_DEP_1)
	v_cmp_eq_u32_e64 s3, 0, v13
	v_cndmask_b32_e64 v13, v15, v14, s3
; %bb.158:
	s_or_b32 exec_lo, exec_lo, s7
	v_cmp_lt_i32_e64 s3, -1, v12
	s_delay_alu instid0(VALU_DEP_2) | instskip(SKIP_3) | instid1(VALU_DEP_1)
	v_perm_b32 v12, v13, v12, 0x7060302
	s_and_not1_b32 s6, s6, exec_lo
	v_cndmask_b32_e64 v14, -1, 0xffff8000, s3
	v_cmp_lt_i32_e64 s3, -1, v13
	v_cndmask_b32_e64 v15, -1, 0xffff8000, s3
	s_delay_alu instid0(VALU_DEP_1) | instskip(NEXT) | instid1(VALU_DEP_1)
	v_perm_b32 v13, v15, v14, 0x5040100
	v_xor_b32_e32 v12, v13, v12
	s_delay_alu instid0(VALU_DEP_1) | instskip(NEXT) | instid1(VALU_DEP_1)
	v_lshrrev_b32_e32 v13, 16, v12
	v_cmp_le_u16_e64 s3, v12, v13
	s_and_b32 s3, s3, exec_lo
	s_delay_alu instid0(SALU_CYCLE_1)
	s_or_b32 s6, s6, s3
.LBB2059_159:
	s_or_b32 exec_lo, exec_lo, s4
	v_dual_cndmask_b32 v12, v25, v24, s6 :: v_dual_cndmask_b32 v13, v39, v38, s6
	s_mov_b32 s7, -1
	s_mov_b32 s4, -1
	s_mov_b32 s8, exec_lo
	s_delay_alu instid0(VALU_DEP_1) | instskip(SKIP_1) | instid1(VALU_DEP_2)
	v_add_nc_u32_e32 v14, 1, v12
	v_lshl_add_u32 v12, v12, 3, v10
	v_add_min_u32_e64 v13, v13, -1, v14
	s_delay_alu instid0(VALU_DEP_1)
	v_lshl_add_u32 v13, v13, 1, v20
	ds_load_u16 v15, v13
	ds_load_b64 v[12:13], v12 offset:2048
	s_wait_dscnt 0x1
	v_dual_cndmask_b32 v17, v24, v14, s6 :: v_dual_cndmask_b32 v24, v15, v23, s6
	v_cndmask_b32_e64 v16, v14, v25, s6
	v_cndmask_b32_e64 v25, v22, v15, s6
	s_delay_alu instid0(VALU_DEP_2)
	v_cmpx_lt_u32_e64 v16, v39
	s_cbranch_execz .LBB2059_171
; %bb.160:
	s_mov_b32 s9, 0
	s_mov_b32 s4, exec_lo
	v_cmpx_lt_u32_e64 v17, v38
	s_cbranch_execz .LBB2059_170
; %bb.161:
	v_lshlrev_b32_e32 v14, 16, v25
	s_delay_alu instid0(VALU_DEP_1) | instskip(NEXT) | instid1(VALU_DEP_1)
	v_add_f32_e32 v15, 0, v14
	v_and_b32_e32 v14, 0x7f800000, v15
	s_delay_alu instid0(VALU_DEP_1) | instskip(SKIP_1) | instid1(SALU_CYCLE_1)
	v_cmp_ne_u32_e64 s3, 0x7f800000, v14
                                        ; implicit-def: $vgpr14
	s_and_saveexec_b32 s9, s3
	s_xor_b32 s3, exec_lo, s9
; %bb.162:
	v_bfe_u32 v14, v15, 16, 1
	s_delay_alu instid0(VALU_DEP_1)
	v_add3_u32 v14, v15, v14, 0x7fff
                                        ; implicit-def: $vgpr15
; %bb.163:
	s_and_not1_saveexec_b32 s9, s3
; %bb.164:
	v_and_b32_e32 v14, 0xffff, v15
	v_or_b32_e32 v18, 0x10000, v15
	s_delay_alu instid0(VALU_DEP_2) | instskip(NEXT) | instid1(VALU_DEP_1)
	v_cmp_eq_u32_e64 s3, 0, v14
	v_cndmask_b32_e64 v14, v18, v15, s3
; %bb.165:
	s_or_b32 exec_lo, exec_lo, s9
	v_lshlrev_b32_e32 v15, 16, v24
	s_delay_alu instid0(VALU_DEP_1) | instskip(NEXT) | instid1(VALU_DEP_1)
	v_add_f32_e32 v18, 0, v15
	v_and_b32_e32 v15, 0x7f800000, v18
	s_delay_alu instid0(VALU_DEP_1) | instskip(SKIP_1) | instid1(SALU_CYCLE_1)
	v_cmp_ne_u32_e64 s3, 0x7f800000, v15
                                        ; implicit-def: $vgpr15
	s_and_saveexec_b32 s9, s3
	s_xor_b32 s3, exec_lo, s9
; %bb.166:
	v_bfe_u32 v15, v18, 16, 1
	s_delay_alu instid0(VALU_DEP_1)
	v_add3_u32 v15, v18, v15, 0x7fff
                                        ; implicit-def: $vgpr18
; %bb.167:
	s_and_not1_saveexec_b32 s9, s3
; %bb.168:
	v_and_b32_e32 v15, 0xffff, v18
	v_or_b32_e32 v19, 0x10000, v18
	s_delay_alu instid0(VALU_DEP_2) | instskip(NEXT) | instid1(VALU_DEP_1)
	v_cmp_eq_u32_e64 s3, 0, v15
	v_cndmask_b32_e64 v15, v19, v18, s3
; %bb.169:
	s_or_b32 exec_lo, exec_lo, s9
	v_cmp_lt_i32_e64 s3, -1, v14
	s_delay_alu instid0(VALU_DEP_2) | instskip(NEXT) | instid1(VALU_DEP_2)
	v_perm_b32 v14, v15, v14, 0x7060302
	v_cndmask_b32_e64 v18, -1, 0xffff8000, s3
	v_cmp_lt_i32_e64 s3, -1, v15
	s_delay_alu instid0(VALU_DEP_1) | instskip(NEXT) | instid1(VALU_DEP_1)
	v_cndmask_b32_e64 v19, -1, 0xffff8000, s3
	v_perm_b32 v15, v19, v18, 0x5040100
	s_delay_alu instid0(VALU_DEP_1) | instskip(NEXT) | instid1(VALU_DEP_1)
	v_xor_b32_e32 v14, v15, v14
	v_lshrrev_b32_e32 v15, 16, v14
	s_delay_alu instid0(VALU_DEP_1)
	v_cmp_le_u16_e64 s3, v14, v15
	s_and_b32 s9, s3, exec_lo
.LBB2059_170:
	s_or_b32 exec_lo, exec_lo, s4
	s_delay_alu instid0(SALU_CYCLE_1)
	s_or_not1_b32 s4, s9, exec_lo
.LBB2059_171:
	s_or_b32 exec_lo, exec_lo, s8
	v_dual_cndmask_b32 v14, v16, v17, s4 :: v_dual_cndmask_b32 v15, v39, v38, s4
	s_mov_b32 s8, exec_lo
	s_delay_alu instid0(VALU_DEP_1) | instskip(SKIP_1) | instid1(VALU_DEP_2)
	v_add_nc_u32_e32 v19, 1, v14
	v_lshl_add_u32 v14, v14, 3, v10
	v_add_min_u32_e64 v15, v15, -1, v19
	s_delay_alu instid0(VALU_DEP_1)
	v_lshl_add_u32 v15, v15, 1, v20
	ds_load_u16 v35, v15
	ds_load_b64 v[14:15], v14 offset:2048
	s_wait_dscnt 0x1
	v_cndmask_b32_e64 v34, v35, v24, s4
	v_dual_cndmask_b32 v18, v19, v16, s4 :: v_dual_cndmask_b32 v19, v17, v19, s4
	v_cndmask_b32_e64 v35, v25, v35, s4
	s_delay_alu instid0(VALU_DEP_2)
	v_cmpx_lt_u32_e64 v18, v39
	s_cbranch_execz .LBB2059_183
; %bb.172:
	s_mov_b32 s9, 0
	s_mov_b32 s7, exec_lo
	v_cmpx_lt_u32_e64 v19, v38
	s_cbranch_execz .LBB2059_182
; %bb.173:
	v_lshlrev_b32_e32 v16, 16, v35
	s_delay_alu instid0(VALU_DEP_1) | instskip(NEXT) | instid1(VALU_DEP_1)
	v_add_f32_e32 v17, 0, v16
	v_and_b32_e32 v16, 0x7f800000, v17
	s_delay_alu instid0(VALU_DEP_1) | instskip(SKIP_1) | instid1(SALU_CYCLE_1)
	v_cmp_ne_u32_e64 s3, 0x7f800000, v16
                                        ; implicit-def: $vgpr16
	s_and_saveexec_b32 s9, s3
	s_xor_b32 s3, exec_lo, s9
; %bb.174:
	v_bfe_u32 v16, v17, 16, 1
	s_delay_alu instid0(VALU_DEP_1)
	v_add3_u32 v16, v17, v16, 0x7fff
                                        ; implicit-def: $vgpr17
; %bb.175:
	s_and_not1_saveexec_b32 s9, s3
; %bb.176:
	v_and_b32_e32 v16, 0xffff, v17
	v_or_b32_e32 v36, 0x10000, v17
	s_delay_alu instid0(VALU_DEP_2) | instskip(NEXT) | instid1(VALU_DEP_1)
	v_cmp_eq_u32_e64 s3, 0, v16
	v_cndmask_b32_e64 v16, v36, v17, s3
; %bb.177:
	s_or_b32 exec_lo, exec_lo, s9
	v_lshlrev_b32_e32 v17, 16, v34
	s_delay_alu instid0(VALU_DEP_1) | instskip(NEXT) | instid1(VALU_DEP_1)
	v_add_f32_e32 v36, 0, v17
	v_and_b32_e32 v17, 0x7f800000, v36
	s_delay_alu instid0(VALU_DEP_1) | instskip(SKIP_1) | instid1(SALU_CYCLE_1)
	v_cmp_ne_u32_e64 s3, 0x7f800000, v17
                                        ; implicit-def: $vgpr17
	s_and_saveexec_b32 s9, s3
	s_xor_b32 s3, exec_lo, s9
; %bb.178:
	v_bfe_u32 v17, v36, 16, 1
	s_delay_alu instid0(VALU_DEP_1)
	v_add3_u32 v17, v36, v17, 0x7fff
                                        ; implicit-def: $vgpr36
; %bb.179:
	s_and_not1_saveexec_b32 s9, s3
; %bb.180:
	v_and_b32_e32 v17, 0xffff, v36
	v_or_b32_e32 v37, 0x10000, v36
	s_delay_alu instid0(VALU_DEP_2) | instskip(NEXT) | instid1(VALU_DEP_1)
	v_cmp_eq_u32_e64 s3, 0, v17
	v_cndmask_b32_e64 v17, v37, v36, s3
; %bb.181:
	s_or_b32 exec_lo, exec_lo, s9
	v_cmp_lt_i32_e64 s3, -1, v16
	s_delay_alu instid0(VALU_DEP_2) | instskip(NEXT) | instid1(VALU_DEP_2)
	v_perm_b32 v16, v17, v16, 0x7060302
	v_cndmask_b32_e64 v36, -1, 0xffff8000, s3
	v_cmp_lt_i32_e64 s3, -1, v17
	s_delay_alu instid0(VALU_DEP_1) | instskip(NEXT) | instid1(VALU_DEP_1)
	v_cndmask_b32_e64 v37, -1, 0xffff8000, s3
	v_perm_b32 v17, v37, v36, 0x5040100
	s_delay_alu instid0(VALU_DEP_1) | instskip(NEXT) | instid1(VALU_DEP_1)
	v_xor_b32_e32 v16, v17, v16
	v_lshrrev_b32_e32 v17, 16, v16
	s_delay_alu instid0(VALU_DEP_1)
	v_cmp_le_u16_e64 s3, v16, v17
	s_and_b32 s9, s3, exec_lo
.LBB2059_182:
	s_or_b32 exec_lo, exec_lo, s7
	s_delay_alu instid0(SALU_CYCLE_1)
	s_or_not1_b32 s7, s9, exec_lo
.LBB2059_183:
	s_or_b32 exec_lo, exec_lo, s8
	v_dual_cndmask_b32 v16, v18, v19, s7 :: v_dual_cndmask_b32 v17, v39, v38, s7
	s_mov_b32 s9, -1
	s_mov_b32 s8, exec_lo
	s_delay_alu instid0(VALU_DEP_1) | instskip(SKIP_1) | instid1(VALU_DEP_2)
	v_add_nc_u32_e32 v36, 1, v16
	v_lshl_add_u32 v16, v16, 3, v10
	v_add_min_u32_e64 v17, v17, -1, v36
	s_delay_alu instid0(VALU_DEP_1)
	v_lshl_add_u32 v17, v17, 1, v20
	ds_load_u16 v37, v17
	ds_load_b64 v[16:17], v16 offset:2048
	s_wait_dscnt 0x1
	v_dual_cndmask_b32 v48, v35, v37, s7 :: v_dual_cndmask_b32 v18, v36, v18, s7
	v_dual_cndmask_b32 v19, v19, v36, s7 :: v_dual_cndmask_b32 v36, v37, v34, s7
	s_delay_alu instid0(VALU_DEP_2)
	v_cmpx_lt_u32_e64 v18, v39
	s_cbranch_execz .LBB2059_195
; %bb.184:
	s_mov_b32 s10, 0
	s_mov_b32 s9, exec_lo
	v_cmpx_lt_u32_e64 v19, v38
	s_cbranch_execz .LBB2059_194
; %bb.185:
	v_lshlrev_b32_e32 v37, 16, v48
	s_delay_alu instid0(VALU_DEP_1) | instskip(NEXT) | instid1(VALU_DEP_1)
	v_add_f32_e32 v38, 0, v37
	v_and_b32_e32 v37, 0x7f800000, v38
	s_delay_alu instid0(VALU_DEP_1) | instskip(SKIP_1) | instid1(SALU_CYCLE_1)
	v_cmp_ne_u32_e64 s3, 0x7f800000, v37
                                        ; implicit-def: $vgpr37
	s_and_saveexec_b32 s10, s3
	s_xor_b32 s3, exec_lo, s10
; %bb.186:
	v_bfe_u32 v37, v38, 16, 1
	s_delay_alu instid0(VALU_DEP_1)
	v_add3_u32 v37, v38, v37, 0x7fff
                                        ; implicit-def: $vgpr38
; %bb.187:
	s_and_not1_saveexec_b32 s10, s3
; %bb.188:
	v_and_b32_e32 v37, 0xffff, v38
	v_or_b32_e32 v39, 0x10000, v38
	s_delay_alu instid0(VALU_DEP_2) | instskip(NEXT) | instid1(VALU_DEP_1)
	v_cmp_eq_u32_e64 s3, 0, v37
	v_cndmask_b32_e64 v37, v39, v38, s3
; %bb.189:
	s_or_b32 exec_lo, exec_lo, s10
	v_lshlrev_b32_e32 v38, 16, v36
	s_delay_alu instid0(VALU_DEP_1) | instskip(NEXT) | instid1(VALU_DEP_1)
	v_add_f32_e32 v39, 0, v38
	v_and_b32_e32 v38, 0x7f800000, v39
	s_delay_alu instid0(VALU_DEP_1) | instskip(SKIP_1) | instid1(SALU_CYCLE_1)
	v_cmp_ne_u32_e64 s3, 0x7f800000, v38
                                        ; implicit-def: $vgpr38
	s_and_saveexec_b32 s10, s3
	s_xor_b32 s3, exec_lo, s10
; %bb.190:
	v_bfe_u32 v38, v39, 16, 1
	s_delay_alu instid0(VALU_DEP_1)
	v_add3_u32 v38, v39, v38, 0x7fff
                                        ; implicit-def: $vgpr39
; %bb.191:
	s_and_not1_saveexec_b32 s10, s3
; %bb.192:
	v_and_b32_e32 v38, 0xffff, v39
	v_or_b32_e32 v49, 0x10000, v39
	s_delay_alu instid0(VALU_DEP_2) | instskip(NEXT) | instid1(VALU_DEP_1)
	v_cmp_eq_u32_e64 s3, 0, v38
	v_cndmask_b32_e64 v38, v49, v39, s3
; %bb.193:
	s_or_b32 exec_lo, exec_lo, s10
	v_cmp_lt_i32_e64 s3, -1, v37
	s_delay_alu instid0(VALU_DEP_2) | instskip(NEXT) | instid1(VALU_DEP_2)
	v_perm_b32 v37, v38, v37, 0x7060302
	v_cndmask_b32_e64 v39, -1, 0xffff8000, s3
	v_cmp_lt_i32_e64 s3, -1, v38
	s_delay_alu instid0(VALU_DEP_1) | instskip(NEXT) | instid1(VALU_DEP_1)
	v_cndmask_b32_e64 v49, -1, 0xffff8000, s3
	v_perm_b32 v38, v49, v39, 0x5040100
	s_delay_alu instid0(VALU_DEP_1) | instskip(NEXT) | instid1(VALU_DEP_1)
	v_xor_b32_e32 v37, v38, v37
	v_lshrrev_b32_e32 v38, 16, v37
	s_delay_alu instid0(VALU_DEP_1)
	v_cmp_le_u16_e64 s3, v37, v38
	s_and_b32 s10, s3, exec_lo
.LBB2059_194:
	s_or_b32 exec_lo, exec_lo, s9
	s_delay_alu instid0(SALU_CYCLE_1)
	s_or_not1_b32 s9, s10, exec_lo
.LBB2059_195:
	s_or_b32 exec_lo, exec_lo, s8
	s_delay_alu instid0(VALU_DEP_2) | instskip(SKIP_3) | instid1(VALU_DEP_4)
	v_cndmask_b32_e64 v18, v18, v19, s9
	v_dual_cndmask_b32 v35, v34, v35, s7 :: v_dual_cndmask_b32 v37, v23, v22, s6
	v_cndmask_b32_e64 v34, v24, v25, s4
	v_cndmask_b32_e64 v36, v36, v48, s9
	v_lshl_add_u32 v18, v18, 3, v10
	ds_load_b64 v[18:19], v18 offset:2048
.LBB2059_196:
	s_or_b32 exec_lo, exec_lo, s5
	v_and_b32_e32 v39, 0x60, v27
	; wave barrier
	ds_store_b16 v5, v37
	ds_store_b64 v31, v[12:13]
	s_mov_b32 s4, exec_lo
	v_or_b32_e32 v22, 16, v39
	ds_store_b16 v11, v34
	ds_store_b64 v28, v[14:15]
	ds_store_b16 v29, v35
	s_wait_dscnt 0x6
	ds_store_b64 v32, v[16:17]
	ds_store_b16 v30, v36
	s_wait_dscnt 0x7
	ds_store_b64 v33, v[18:19]
	; wave barrier
	v_min_u32_e32 v27, v1, v22
	s_delay_alu instid0(VALU_DEP_1) | instskip(SKIP_2) | instid1(VALU_DEP_3)
	v_add_min_u32_e64 v38, v27, 16, v1
	v_min_u32_e32 v1, v1, v26
	v_sub_nc_u32_e32 v23, v27, v39
	v_sub_nc_u32_e32 v22, v38, v27
	s_delay_alu instid0(VALU_DEP_2) | instskip(NEXT) | instid1(VALU_DEP_2)
	v_min_u32_e32 v26, v1, v23
	v_sub_nc_u32_e64 v5, v1, v22 clamp
	s_delay_alu instid0(VALU_DEP_1)
	v_cmpx_lt_u32_e64 v5, v26
	s_cbranch_execz .LBB2059_208
; %bb.197:
	v_dual_mov_b32 v25, 0 :: v_dual_lshlrev_b32 v24, 1, v39
	s_mov_b32 s5, 0
	s_delay_alu instid0(VALU_DEP_1) | instskip(SKIP_1) | instid1(VALU_DEP_1)
	v_add_nc_u64_e32 v[22:23], v[20:21], v[24:25]
	v_lshlrev_b32_e32 v24, 1, v27
	v_add_nc_u64_e32 v[24:25], v[20:21], v[24:25]
	s_branch .LBB2059_199
.LBB2059_198:                           ;   in Loop: Header=BB2059_199 Depth=1
	s_or_b32 exec_lo, exec_lo, s6
	v_cmp_lt_i32_e64 s3, -1, v21
	s_delay_alu instid0(VALU_DEP_2) | instskip(NEXT) | instid1(VALU_DEP_2)
	v_perm_b32 v21, v23, v21, 0x7060302
	v_cndmask_b32_e64 v25, -1, 0xffff8000, s3
	v_cmp_lt_i32_e64 s3, -1, v23
	s_delay_alu instid0(VALU_DEP_1) | instskip(NEXT) | instid1(VALU_DEP_1)
	v_cndmask_b32_e64 v28, -1, 0xffff8000, s3
	v_perm_b32 v23, v28, v25, 0x5040100
	s_delay_alu instid0(VALU_DEP_1) | instskip(NEXT) | instid1(VALU_DEP_1)
	v_dual_add_nc_u32 v25, 1, v11 :: v_dual_bitop2_b32 v21, v23, v21 bitop3:0x14
	v_lshrrev_b32_e32 v23, 16, v21
	s_delay_alu instid0(VALU_DEP_1) | instskip(NEXT) | instid1(VALU_DEP_1)
	v_cmp_gt_u16_e64 s3, v21, v23
	v_dual_cndmask_b32 v26, v26, v11, s3 :: v_dual_cndmask_b32 v5, v25, v5, s3
	s_delay_alu instid0(VALU_DEP_1) | instskip(SKIP_1) | instid1(SALU_CYCLE_1)
	v_cmp_ge_u32_e64 s3, v5, v26
	s_or_b32 s5, s3, s5
	s_and_not1_b32 exec_lo, exec_lo, s5
	s_cbranch_execz .LBB2059_207
.LBB2059_199:                           ; =>This Inner Loop Header: Depth=1
	v_add_nc_u32_e32 v11, v26, v5
	s_delay_alu instid0(VALU_DEP_1) | instskip(NEXT) | instid1(VALU_DEP_1)
	v_dual_lshrrev_b32 v11, 1, v11 :: v_dual_bitop2_b32 v21, -2, v11 bitop3:0x40
	v_add_nc_u32_e32 v21, v22, v21
	s_delay_alu instid0(VALU_DEP_2)
	v_xad_u32 v23, v11, -1, v1
	ds_load_u16 v21, v21
	v_lshl_add_u32 v23, v23, 1, v24
	ds_load_u16 v23, v23
	s_wait_dscnt 0x1
	v_lshlrev_b32_e32 v21, 16, v21
	s_delay_alu instid0(VALU_DEP_1) | instskip(NEXT) | instid1(VALU_DEP_1)
	v_add_f32_e32 v25, 0, v21
	v_and_b32_e32 v21, 0x7f800000, v25
	s_delay_alu instid0(VALU_DEP_1) | instskip(SKIP_1) | instid1(SALU_CYCLE_1)
	v_cmp_ne_u32_e64 s3, 0x7f800000, v21
                                        ; implicit-def: $vgpr21
	s_and_saveexec_b32 s6, s3
	s_xor_b32 s3, exec_lo, s6
; %bb.200:                              ;   in Loop: Header=BB2059_199 Depth=1
	v_bfe_u32 v21, v25, 16, 1
	s_delay_alu instid0(VALU_DEP_1)
	v_add3_u32 v21, v25, v21, 0x7fff
                                        ; implicit-def: $vgpr25
; %bb.201:                              ;   in Loop: Header=BB2059_199 Depth=1
	s_and_not1_saveexec_b32 s6, s3
; %bb.202:                              ;   in Loop: Header=BB2059_199 Depth=1
	v_and_b32_e32 v21, 0xffff, v25
	v_or_b32_e32 v28, 0x10000, v25
	s_delay_alu instid0(VALU_DEP_2) | instskip(NEXT) | instid1(VALU_DEP_1)
	v_cmp_eq_u32_e64 s3, 0, v21
	v_cndmask_b32_e64 v21, v28, v25, s3
; %bb.203:                              ;   in Loop: Header=BB2059_199 Depth=1
	s_or_b32 exec_lo, exec_lo, s6
	s_wait_dscnt 0x0
	v_lshlrev_b32_e32 v23, 16, v23
	s_delay_alu instid0(VALU_DEP_1) | instskip(NEXT) | instid1(VALU_DEP_1)
	v_add_f32_e32 v25, 0, v23
	v_and_b32_e32 v23, 0x7f800000, v25
	s_delay_alu instid0(VALU_DEP_1) | instskip(SKIP_1) | instid1(SALU_CYCLE_1)
	v_cmp_ne_u32_e64 s3, 0x7f800000, v23
                                        ; implicit-def: $vgpr23
	s_and_saveexec_b32 s6, s3
	s_xor_b32 s3, exec_lo, s6
; %bb.204:                              ;   in Loop: Header=BB2059_199 Depth=1
	v_bfe_u32 v23, v25, 16, 1
	s_delay_alu instid0(VALU_DEP_1)
	v_add3_u32 v23, v25, v23, 0x7fff
                                        ; implicit-def: $vgpr25
; %bb.205:                              ;   in Loop: Header=BB2059_199 Depth=1
	s_and_not1_saveexec_b32 s6, s3
	s_cbranch_execz .LBB2059_198
; %bb.206:                              ;   in Loop: Header=BB2059_199 Depth=1
	v_and_b32_e32 v23, 0xffff, v25
	v_or_b32_e32 v28, 0x10000, v25
	s_delay_alu instid0(VALU_DEP_2) | instskip(NEXT) | instid1(VALU_DEP_1)
	v_cmp_eq_u32_e64 s3, 0, v23
	v_cndmask_b32_e64 v23, v28, v25, s3
	s_branch .LBB2059_198
.LBB2059_207:
	s_or_b32 exec_lo, exec_lo, s5
.LBB2059_208:
	s_delay_alu instid0(SALU_CYCLE_1) | instskip(SKIP_1) | instid1(VALU_DEP_1)
	s_or_b32 exec_lo, exec_lo, s4
	v_dual_add_nc_u32 v1, v27, v1 :: v_dual_add_nc_u32 v11, v5, v39
	v_sub_nc_u32_e32 v21, v1, v5
	s_delay_alu instid0(VALU_DEP_2) | instskip(NEXT) | instid1(VALU_DEP_2)
	v_cmp_le_u32_e64 s3, v11, v27
	v_cmp_le_u32_e64 s4, v21, v38
	s_or_b32 s3, s3, s4
	s_delay_alu instid0(SALU_CYCLE_1)
	s_and_saveexec_b32 s5, s3
	s_cbranch_execz .LBB2059_260
; %bb.209:
	v_cmp_ge_u32_e64 s3, v11, v27
	s_mov_b32 s6, exec_lo
                                        ; implicit-def: $vgpr1
	v_cmpx_lt_u32_e64 v11, v27
; %bb.210:
	v_lshl_add_u32 v1, v11, 1, v20
	ds_load_u16 v1, v1
; %bb.211:
	s_or_b32 exec_lo, exec_lo, s6
	v_cmp_ge_u32_e64 s6, v21, v38
	s_mov_b32 s7, exec_lo
                                        ; implicit-def: $vgpr5
	v_cmpx_lt_u32_e64 v21, v38
; %bb.212:
	v_lshl_add_u32 v5, v21, 1, v20
	ds_load_u16 v5, v5
; %bb.213:
	s_or_b32 exec_lo, exec_lo, s7
	s_nor_b32 s3, s3, s6
	s_delay_alu instid0(SALU_CYCLE_1)
	s_and_saveexec_b32 s4, s3
	s_cbranch_execz .LBB2059_223
; %bb.214:
	s_wait_dscnt 0x0
	v_lshlrev_b32_e32 v12, 16, v1
	s_delay_alu instid0(VALU_DEP_1) | instskip(NEXT) | instid1(VALU_DEP_1)
	v_add_f32_e32 v13, 0, v12
	v_and_b32_e32 v12, 0x7f800000, v13
	s_delay_alu instid0(VALU_DEP_1) | instskip(SKIP_1) | instid1(SALU_CYCLE_1)
	v_cmp_ne_u32_e64 s3, 0x7f800000, v12
                                        ; implicit-def: $vgpr12
	s_and_saveexec_b32 s7, s3
	s_xor_b32 s3, exec_lo, s7
; %bb.215:
	v_bfe_u32 v12, v13, 16, 1
	s_delay_alu instid0(VALU_DEP_1)
	v_add3_u32 v12, v13, v12, 0x7fff
                                        ; implicit-def: $vgpr13
; %bb.216:
	s_and_not1_saveexec_b32 s7, s3
; %bb.217:
	v_and_b32_e32 v12, 0xffff, v13
	v_or_b32_e32 v14, 0x10000, v13
	s_delay_alu instid0(VALU_DEP_2) | instskip(NEXT) | instid1(VALU_DEP_1)
	v_cmp_eq_u32_e64 s3, 0, v12
	v_cndmask_b32_e64 v12, v14, v13, s3
; %bb.218:
	s_or_b32 exec_lo, exec_lo, s7
	v_lshlrev_b32_e32 v13, 16, v5
	s_delay_alu instid0(VALU_DEP_1) | instskip(NEXT) | instid1(VALU_DEP_1)
	v_add_f32_e32 v14, 0, v13
	v_and_b32_e32 v13, 0x7f800000, v14
	s_delay_alu instid0(VALU_DEP_1) | instskip(SKIP_1) | instid1(SALU_CYCLE_1)
	v_cmp_ne_u32_e64 s3, 0x7f800000, v13
                                        ; implicit-def: $vgpr13
	s_and_saveexec_b32 s7, s3
	s_xor_b32 s3, exec_lo, s7
; %bb.219:
	v_bfe_u32 v13, v14, 16, 1
	s_delay_alu instid0(VALU_DEP_1)
	v_add3_u32 v13, v14, v13, 0x7fff
                                        ; implicit-def: $vgpr14
; %bb.220:
	s_and_not1_saveexec_b32 s7, s3
; %bb.221:
	v_and_b32_e32 v13, 0xffff, v14
	v_or_b32_e32 v15, 0x10000, v14
	s_delay_alu instid0(VALU_DEP_2) | instskip(NEXT) | instid1(VALU_DEP_1)
	v_cmp_eq_u32_e64 s3, 0, v13
	v_cndmask_b32_e64 v13, v15, v14, s3
; %bb.222:
	s_or_b32 exec_lo, exec_lo, s7
	v_cmp_lt_i32_e64 s3, -1, v12
	s_delay_alu instid0(VALU_DEP_2) | instskip(SKIP_3) | instid1(VALU_DEP_1)
	v_perm_b32 v12, v13, v12, 0x7060302
	s_and_not1_b32 s6, s6, exec_lo
	v_cndmask_b32_e64 v14, -1, 0xffff8000, s3
	v_cmp_lt_i32_e64 s3, -1, v13
	v_cndmask_b32_e64 v15, -1, 0xffff8000, s3
	s_delay_alu instid0(VALU_DEP_1) | instskip(NEXT) | instid1(VALU_DEP_1)
	v_perm_b32 v13, v15, v14, 0x5040100
	v_xor_b32_e32 v12, v13, v12
	s_delay_alu instid0(VALU_DEP_1) | instskip(NEXT) | instid1(VALU_DEP_1)
	v_lshrrev_b32_e32 v13, 16, v12
	v_cmp_le_u16_e64 s3, v12, v13
	s_and_b32 s3, s3, exec_lo
	s_delay_alu instid0(SALU_CYCLE_1)
	s_or_b32 s6, s6, s3
.LBB2059_223:
	s_or_b32 exec_lo, exec_lo, s4
	v_cndmask_b32_e64 v12, v21, v11, s6
	v_cndmask_b32_e64 v13, v38, v27, s6
	s_mov_b32 s7, -1
	s_mov_b32 s4, -1
	s_mov_b32 s8, exec_lo
	v_add_nc_u32_e32 v14, 1, v12
	s_delay_alu instid0(VALU_DEP_1) | instskip(SKIP_2) | instid1(VALU_DEP_3)
	v_add_min_u32_e64 v13, v13, -1, v14
	v_cndmask_b32_e64 v16, v14, v21, s6
	v_lshl_add_u32 v12, v12, 3, v10
	v_lshl_add_u32 v13, v13, 1, v20
	ds_load_u16 v15, v13
	ds_load_b64 v[12:13], v12 offset:2048
	s_wait_dscnt 0x1
	v_dual_cndmask_b32 v17, v11, v14, s6 :: v_dual_cndmask_b32 v21, v1, v15, s6
	v_cndmask_b32_e64 v11, v15, v5, s6
	v_cmpx_lt_u32_e64 v16, v38
	s_cbranch_execz .LBB2059_235
; %bb.224:
	s_mov_b32 s9, 0
	s_mov_b32 s4, exec_lo
	v_cmpx_lt_u32_e64 v17, v27
	s_cbranch_execz .LBB2059_234
; %bb.225:
	v_lshlrev_b32_e32 v14, 16, v21
	s_delay_alu instid0(VALU_DEP_1) | instskip(NEXT) | instid1(VALU_DEP_1)
	v_add_f32_e32 v15, 0, v14
	v_and_b32_e32 v14, 0x7f800000, v15
	s_delay_alu instid0(VALU_DEP_1) | instskip(SKIP_1) | instid1(SALU_CYCLE_1)
	v_cmp_ne_u32_e64 s3, 0x7f800000, v14
                                        ; implicit-def: $vgpr14
	s_and_saveexec_b32 s9, s3
	s_xor_b32 s3, exec_lo, s9
; %bb.226:
	v_bfe_u32 v14, v15, 16, 1
	s_delay_alu instid0(VALU_DEP_1)
	v_add3_u32 v14, v15, v14, 0x7fff
                                        ; implicit-def: $vgpr15
; %bb.227:
	s_and_not1_saveexec_b32 s9, s3
; %bb.228:
	v_and_b32_e32 v14, 0xffff, v15
	v_or_b32_e32 v18, 0x10000, v15
	s_delay_alu instid0(VALU_DEP_2) | instskip(NEXT) | instid1(VALU_DEP_1)
	v_cmp_eq_u32_e64 s3, 0, v14
	v_cndmask_b32_e64 v14, v18, v15, s3
; %bb.229:
	s_or_b32 exec_lo, exec_lo, s9
	v_lshlrev_b32_e32 v15, 16, v11
	s_delay_alu instid0(VALU_DEP_1) | instskip(NEXT) | instid1(VALU_DEP_1)
	v_add_f32_e32 v18, 0, v15
	v_and_b32_e32 v15, 0x7f800000, v18
	s_delay_alu instid0(VALU_DEP_1) | instskip(SKIP_1) | instid1(SALU_CYCLE_1)
	v_cmp_ne_u32_e64 s3, 0x7f800000, v15
                                        ; implicit-def: $vgpr15
	s_and_saveexec_b32 s9, s3
	s_xor_b32 s3, exec_lo, s9
; %bb.230:
	v_bfe_u32 v15, v18, 16, 1
	s_delay_alu instid0(VALU_DEP_1)
	v_add3_u32 v15, v18, v15, 0x7fff
                                        ; implicit-def: $vgpr18
; %bb.231:
	s_and_not1_saveexec_b32 s9, s3
; %bb.232:
	v_and_b32_e32 v15, 0xffff, v18
	v_or_b32_e32 v19, 0x10000, v18
	s_delay_alu instid0(VALU_DEP_2) | instskip(NEXT) | instid1(VALU_DEP_1)
	v_cmp_eq_u32_e64 s3, 0, v15
	v_cndmask_b32_e64 v15, v19, v18, s3
; %bb.233:
	s_or_b32 exec_lo, exec_lo, s9
	v_cmp_lt_i32_e64 s3, -1, v14
	s_delay_alu instid0(VALU_DEP_2) | instskip(NEXT) | instid1(VALU_DEP_2)
	v_perm_b32 v14, v15, v14, 0x7060302
	v_cndmask_b32_e64 v18, -1, 0xffff8000, s3
	v_cmp_lt_i32_e64 s3, -1, v15
	s_delay_alu instid0(VALU_DEP_1) | instskip(NEXT) | instid1(VALU_DEP_1)
	v_cndmask_b32_e64 v19, -1, 0xffff8000, s3
	v_perm_b32 v15, v19, v18, 0x5040100
	s_delay_alu instid0(VALU_DEP_1) | instskip(NEXT) | instid1(VALU_DEP_1)
	v_xor_b32_e32 v14, v15, v14
	v_lshrrev_b32_e32 v15, 16, v14
	s_delay_alu instid0(VALU_DEP_1)
	v_cmp_le_u16_e64 s3, v14, v15
	s_and_b32 s9, s3, exec_lo
.LBB2059_234:
	s_or_b32 exec_lo, exec_lo, s4
	s_delay_alu instid0(SALU_CYCLE_1)
	s_or_not1_b32 s4, s9, exec_lo
.LBB2059_235:
	s_or_b32 exec_lo, exec_lo, s8
	v_dual_cndmask_b32 v14, v16, v17, s4 :: v_dual_cndmask_b32 v15, v38, v27, s4
	s_mov_b32 s8, exec_lo
	s_delay_alu instid0(VALU_DEP_1) | instskip(SKIP_1) | instid1(VALU_DEP_2)
	v_add_nc_u32_e32 v19, 1, v14
	v_lshl_add_u32 v14, v14, 3, v10
	v_add_min_u32_e64 v15, v15, -1, v19
	s_delay_alu instid0(VALU_DEP_1)
	v_lshl_add_u32 v15, v15, 1, v20
	ds_load_u16 v23, v15
	ds_load_b64 v[14:15], v14 offset:2048
	s_wait_dscnt 0x1
	v_cndmask_b32_e64 v22, v23, v11, s4
	v_dual_cndmask_b32 v18, v19, v16, s4 :: v_dual_cndmask_b32 v19, v17, v19, s4
	v_cndmask_b32_e64 v23, v21, v23, s4
	s_delay_alu instid0(VALU_DEP_2)
	v_cmpx_lt_u32_e64 v18, v38
	s_cbranch_execz .LBB2059_247
; %bb.236:
	s_mov_b32 s9, 0
	s_mov_b32 s7, exec_lo
	v_cmpx_lt_u32_e64 v19, v27
	s_cbranch_execz .LBB2059_246
; %bb.237:
	v_lshlrev_b32_e32 v16, 16, v23
	s_delay_alu instid0(VALU_DEP_1) | instskip(NEXT) | instid1(VALU_DEP_1)
	v_add_f32_e32 v17, 0, v16
	v_and_b32_e32 v16, 0x7f800000, v17
	s_delay_alu instid0(VALU_DEP_1) | instskip(SKIP_1) | instid1(SALU_CYCLE_1)
	v_cmp_ne_u32_e64 s3, 0x7f800000, v16
                                        ; implicit-def: $vgpr16
	s_and_saveexec_b32 s9, s3
	s_xor_b32 s3, exec_lo, s9
; %bb.238:
	v_bfe_u32 v16, v17, 16, 1
	s_delay_alu instid0(VALU_DEP_1)
	v_add3_u32 v16, v17, v16, 0x7fff
                                        ; implicit-def: $vgpr17
; %bb.239:
	s_and_not1_saveexec_b32 s9, s3
; %bb.240:
	v_and_b32_e32 v16, 0xffff, v17
	v_or_b32_e32 v24, 0x10000, v17
	s_delay_alu instid0(VALU_DEP_2) | instskip(NEXT) | instid1(VALU_DEP_1)
	v_cmp_eq_u32_e64 s3, 0, v16
	v_cndmask_b32_e64 v16, v24, v17, s3
; %bb.241:
	s_or_b32 exec_lo, exec_lo, s9
	v_lshlrev_b32_e32 v17, 16, v22
	s_delay_alu instid0(VALU_DEP_1) | instskip(NEXT) | instid1(VALU_DEP_1)
	v_add_f32_e32 v24, 0, v17
	v_and_b32_e32 v17, 0x7f800000, v24
	s_delay_alu instid0(VALU_DEP_1) | instskip(SKIP_1) | instid1(SALU_CYCLE_1)
	v_cmp_ne_u32_e64 s3, 0x7f800000, v17
                                        ; implicit-def: $vgpr17
	s_and_saveexec_b32 s9, s3
	s_xor_b32 s3, exec_lo, s9
; %bb.242:
	v_bfe_u32 v17, v24, 16, 1
	s_delay_alu instid0(VALU_DEP_1)
	v_add3_u32 v17, v24, v17, 0x7fff
                                        ; implicit-def: $vgpr24
; %bb.243:
	s_and_not1_saveexec_b32 s9, s3
; %bb.244:
	v_and_b32_e32 v17, 0xffff, v24
	v_or_b32_e32 v25, 0x10000, v24
	s_delay_alu instid0(VALU_DEP_2) | instskip(NEXT) | instid1(VALU_DEP_1)
	v_cmp_eq_u32_e64 s3, 0, v17
	v_cndmask_b32_e64 v17, v25, v24, s3
; %bb.245:
	s_or_b32 exec_lo, exec_lo, s9
	v_cmp_lt_i32_e64 s3, -1, v16
	s_delay_alu instid0(VALU_DEP_2) | instskip(NEXT) | instid1(VALU_DEP_2)
	v_perm_b32 v16, v17, v16, 0x7060302
	v_cndmask_b32_e64 v24, -1, 0xffff8000, s3
	v_cmp_lt_i32_e64 s3, -1, v17
	s_delay_alu instid0(VALU_DEP_1) | instskip(NEXT) | instid1(VALU_DEP_1)
	v_cndmask_b32_e64 v25, -1, 0xffff8000, s3
	v_perm_b32 v17, v25, v24, 0x5040100
	s_delay_alu instid0(VALU_DEP_1) | instskip(NEXT) | instid1(VALU_DEP_1)
	v_xor_b32_e32 v16, v17, v16
	v_lshrrev_b32_e32 v17, 16, v16
	s_delay_alu instid0(VALU_DEP_1)
	v_cmp_le_u16_e64 s3, v16, v17
	s_and_b32 s9, s3, exec_lo
.LBB2059_246:
	s_or_b32 exec_lo, exec_lo, s7
	s_delay_alu instid0(SALU_CYCLE_1)
	s_or_not1_b32 s7, s9, exec_lo
.LBB2059_247:
	s_or_b32 exec_lo, exec_lo, s8
	v_cndmask_b32_e64 v16, v18, v19, s7
	v_cndmask_b32_e64 v17, v38, v27, s7
	s_mov_b32 s9, -1
	s_mov_b32 s8, exec_lo
	s_delay_alu instid0(VALU_DEP_2) | instskip(NEXT) | instid1(VALU_DEP_1)
	v_add_nc_u32_e32 v24, 1, v16
	v_add_min_u32_e64 v17, v17, -1, v24
	v_cndmask_b32_e64 v18, v24, v18, s7
	v_lshl_add_u32 v16, v16, 3, v10
	s_delay_alu instid0(VALU_DEP_3)
	v_lshl_add_u32 v17, v17, 1, v20
	ds_load_u16 v25, v17
	ds_load_b64 v[16:17], v16 offset:2048
	s_wait_dscnt 0x1
	v_dual_cndmask_b32 v19, v19, v24, s7 :: v_dual_cndmask_b32 v20, v25, v22, s7
	v_cndmask_b32_e64 v24, v23, v25, s7
	v_cmpx_lt_u32_e64 v18, v38
	s_cbranch_execz .LBB2059_259
; %bb.248:
	s_mov_b32 s10, 0
	s_mov_b32 s9, exec_lo
	v_cmpx_lt_u32_e64 v19, v27
	s_cbranch_execz .LBB2059_258
; %bb.249:
	v_lshlrev_b32_e32 v25, 16, v24
	s_delay_alu instid0(VALU_DEP_1) | instskip(NEXT) | instid1(VALU_DEP_1)
	v_add_f32_e32 v26, 0, v25
	v_and_b32_e32 v25, 0x7f800000, v26
	s_delay_alu instid0(VALU_DEP_1) | instskip(SKIP_1) | instid1(SALU_CYCLE_1)
	v_cmp_ne_u32_e64 s3, 0x7f800000, v25
                                        ; implicit-def: $vgpr25
	s_and_saveexec_b32 s10, s3
	s_xor_b32 s3, exec_lo, s10
; %bb.250:
	v_bfe_u32 v25, v26, 16, 1
	s_delay_alu instid0(VALU_DEP_1)
	v_add3_u32 v25, v26, v25, 0x7fff
                                        ; implicit-def: $vgpr26
; %bb.251:
	s_and_not1_saveexec_b32 s10, s3
; %bb.252:
	v_and_b32_e32 v25, 0xffff, v26
	v_or_b32_e32 v27, 0x10000, v26
	s_delay_alu instid0(VALU_DEP_2) | instskip(NEXT) | instid1(VALU_DEP_1)
	v_cmp_eq_u32_e64 s3, 0, v25
	v_cndmask_b32_e64 v25, v27, v26, s3
; %bb.253:
	s_or_b32 exec_lo, exec_lo, s10
	v_lshlrev_b32_e32 v26, 16, v20
	s_delay_alu instid0(VALU_DEP_1) | instskip(NEXT) | instid1(VALU_DEP_1)
	v_add_f32_e32 v27, 0, v26
	v_and_b32_e32 v26, 0x7f800000, v27
	s_delay_alu instid0(VALU_DEP_1) | instskip(SKIP_1) | instid1(SALU_CYCLE_1)
	v_cmp_ne_u32_e64 s3, 0x7f800000, v26
                                        ; implicit-def: $vgpr26
	s_and_saveexec_b32 s10, s3
	s_xor_b32 s3, exec_lo, s10
; %bb.254:
	v_bfe_u32 v26, v27, 16, 1
	s_delay_alu instid0(VALU_DEP_1)
	v_add3_u32 v26, v27, v26, 0x7fff
                                        ; implicit-def: $vgpr27
; %bb.255:
	s_and_not1_saveexec_b32 s10, s3
; %bb.256:
	v_and_b32_e32 v26, 0xffff, v27
	v_or_b32_e32 v28, 0x10000, v27
	s_delay_alu instid0(VALU_DEP_2) | instskip(NEXT) | instid1(VALU_DEP_1)
	v_cmp_eq_u32_e64 s3, 0, v26
	v_cndmask_b32_e64 v26, v28, v27, s3
; %bb.257:
	s_or_b32 exec_lo, exec_lo, s10
	v_cmp_lt_i32_e64 s3, -1, v25
	s_delay_alu instid0(VALU_DEP_2) | instskip(NEXT) | instid1(VALU_DEP_2)
	v_perm_b32 v25, v26, v25, 0x7060302
	v_cndmask_b32_e64 v27, -1, 0xffff8000, s3
	v_cmp_lt_i32_e64 s3, -1, v26
	s_delay_alu instid0(VALU_DEP_1) | instskip(NEXT) | instid1(VALU_DEP_1)
	v_cndmask_b32_e64 v28, -1, 0xffff8000, s3
	v_perm_b32 v26, v28, v27, 0x5040100
	s_delay_alu instid0(VALU_DEP_1) | instskip(NEXT) | instid1(VALU_DEP_1)
	v_xor_b32_e32 v25, v26, v25
	v_lshrrev_b32_e32 v26, 16, v25
	s_delay_alu instid0(VALU_DEP_1)
	v_cmp_le_u16_e64 s3, v25, v26
	s_and_b32 s10, s3, exec_lo
.LBB2059_258:
	s_or_b32 exec_lo, exec_lo, s9
	s_delay_alu instid0(SALU_CYCLE_1)
	s_or_not1_b32 s9, s10, exec_lo
.LBB2059_259:
	s_or_b32 exec_lo, exec_lo, s8
	v_dual_cndmask_b32 v18, v18, v19, s9 :: v_dual_cndmask_b32 v34, v11, v21, s4
	v_dual_cndmask_b32 v35, v22, v23, s7 :: v_dual_cndmask_b32 v37, v5, v1, s6
	v_cndmask_b32_e64 v36, v20, v24, s9
	s_delay_alu instid0(VALU_DEP_3)
	v_lshl_add_u32 v10, v18, 3, v10
	ds_load_b64 v[18:19], v10 offset:2048
.LBB2059_260:
	s_or_b32 exec_lo, exec_lo, s5
	v_lshl_add_u64 v[2:3], v[8:9], 1, v[2:3]
	v_mov_b32_e32 v1, 0
	; wave barrier
	s_wait_storecnt_dscnt 0x0
	s_barrier_signal -1
	s_delay_alu instid0(VALU_DEP_1)
	v_add_nc_u64_e32 v[0:1], v[2:3], v[0:1]
	s_barrier_wait -1
	; wave barrier
	s_and_saveexec_b32 s3, vcc_lo
	s_cbranch_execnz .LBB2059_270
; %bb.261:
	s_or_b32 exec_lo, exec_lo, s3
	s_and_saveexec_b32 s3, s0
	s_cbranch_execnz .LBB2059_271
.LBB2059_262:
	s_or_b32 exec_lo, exec_lo, s3
	s_and_saveexec_b32 s3, s1
	s_cbranch_execnz .LBB2059_272
.LBB2059_263:
	s_or_b32 exec_lo, exec_lo, s3
	s_and_saveexec_b32 s3, s2
	s_cbranch_execz .LBB2059_265
.LBB2059_264:
	flat_store_b16 v[0:1], v36 offset:6
.LBB2059_265:
	s_wait_xcnt 0x0
	s_or_b32 exec_lo, exec_lo, s3
	v_lshl_add_u64 v[0:1], v[8:9], 3, v[6:7]
	v_mov_b32_e32 v5, 0
	; wave barrier
	s_delay_alu instid0(VALU_DEP_1)
	v_add_nc_u64_e32 v[0:1], v[0:1], v[4:5]
	s_and_saveexec_b32 s3, vcc_lo
	s_cbranch_execnz .LBB2059_273
; %bb.266:
	s_or_b32 exec_lo, exec_lo, s3
	s_and_saveexec_b32 s3, s0
	s_cbranch_execnz .LBB2059_274
.LBB2059_267:
	s_or_b32 exec_lo, exec_lo, s3
	s_and_saveexec_b32 s0, s1
	s_cbranch_execnz .LBB2059_275
.LBB2059_268:
	s_or_b32 exec_lo, exec_lo, s0
	s_and_saveexec_b32 s0, s2
	s_cbranch_execnz .LBB2059_276
.LBB2059_269:
	s_or_b32 exec_lo, exec_lo, s0
	s_wait_dscnt 0x0
	s_set_pc_i64 s[30:31]
.LBB2059_270:
	flat_store_b16 v[0:1], v37
	s_wait_xcnt 0x0
	s_or_b32 exec_lo, exec_lo, s3
	s_and_saveexec_b32 s3, s0
	s_cbranch_execz .LBB2059_262
.LBB2059_271:
	flat_store_b16 v[0:1], v34 offset:2
	s_wait_xcnt 0x0
	s_or_b32 exec_lo, exec_lo, s3
	s_and_saveexec_b32 s3, s1
	s_cbranch_execz .LBB2059_263
.LBB2059_272:
	flat_store_b16 v[0:1], v35 offset:4
	s_wait_xcnt 0x0
	s_or_b32 exec_lo, exec_lo, s3
	s_and_saveexec_b32 s3, s2
	s_cbranch_execnz .LBB2059_264
	s_branch .LBB2059_265
.LBB2059_273:
	flat_store_b64 v[0:1], v[12:13]
	s_wait_xcnt 0x0
	s_or_b32 exec_lo, exec_lo, s3
	s_and_saveexec_b32 s3, s0
	s_cbranch_execz .LBB2059_267
.LBB2059_274:
	flat_store_b64 v[0:1], v[14:15] offset:8
	s_wait_xcnt 0x0
	s_or_b32 exec_lo, exec_lo, s3
	s_and_saveexec_b32 s0, s1
	s_cbranch_execz .LBB2059_268
.LBB2059_275:
	flat_store_b64 v[0:1], v[16:17] offset:16
	s_wait_xcnt 0x0
	s_or_b32 exec_lo, exec_lo, s0
	s_and_saveexec_b32 s0, s2
	s_cbranch_execz .LBB2059_269
.LBB2059_276:
	flat_store_b64 v[0:1], v[18:19] offset:24
	s_wait_xcnt 0x0
	s_or_b32 exec_lo, exec_lo, s0
	s_wait_dscnt 0x0
	s_set_pc_i64 s[30:31]
.Lfunc_end2059:
	.size	_ZN7rocprim17ROCPRIM_400000_NS6detail26segmented_warp_sort_helperINS1_20WarpSortHelperConfigILj8ELj4ELj256EEE12hip_bfloat16lLi256ELb0EvE4sortIPKS5_PS5_PKlPlEEvT_T0_T1_T2_jjjjRNS6_12storage_typeE, .Lfunc_end2059-_ZN7rocprim17ROCPRIM_400000_NS6detail26segmented_warp_sort_helperINS1_20WarpSortHelperConfigILj8ELj4ELj256EEE12hip_bfloat16lLi256ELb0EvE4sortIPKS5_PS5_PKlPlEEvT_T0_T1_T2_jjjjRNS6_12storage_typeE
                                        ; -- End function
	.set .L_ZN7rocprim17ROCPRIM_400000_NS6detail26segmented_warp_sort_helperINS1_20WarpSortHelperConfigILj8ELj4ELj256EEE12hip_bfloat16lLi256ELb0EvE4sortIPKS5_PS5_PKlPlEEvT_T0_T1_T2_jjjjRNS6_12storage_typeE.num_vgpr, 56
	.set .L_ZN7rocprim17ROCPRIM_400000_NS6detail26segmented_warp_sort_helperINS1_20WarpSortHelperConfigILj8ELj4ELj256EEE12hip_bfloat16lLi256ELb0EvE4sortIPKS5_PS5_PKlPlEEvT_T0_T1_T2_jjjjRNS6_12storage_typeE.num_agpr, 0
	.set .L_ZN7rocprim17ROCPRIM_400000_NS6detail26segmented_warp_sort_helperINS1_20WarpSortHelperConfigILj8ELj4ELj256EEE12hip_bfloat16lLi256ELb0EvE4sortIPKS5_PS5_PKlPlEEvT_T0_T1_T2_jjjjRNS6_12storage_typeE.numbered_sgpr, 32
	.set .L_ZN7rocprim17ROCPRIM_400000_NS6detail26segmented_warp_sort_helperINS1_20WarpSortHelperConfigILj8ELj4ELj256EEE12hip_bfloat16lLi256ELb0EvE4sortIPKS5_PS5_PKlPlEEvT_T0_T1_T2_jjjjRNS6_12storage_typeE.num_named_barrier, 0
	.set .L_ZN7rocprim17ROCPRIM_400000_NS6detail26segmented_warp_sort_helperINS1_20WarpSortHelperConfigILj8ELj4ELj256EEE12hip_bfloat16lLi256ELb0EvE4sortIPKS5_PS5_PKlPlEEvT_T0_T1_T2_jjjjRNS6_12storage_typeE.private_seg_size, 0
	.set .L_ZN7rocprim17ROCPRIM_400000_NS6detail26segmented_warp_sort_helperINS1_20WarpSortHelperConfigILj8ELj4ELj256EEE12hip_bfloat16lLi256ELb0EvE4sortIPKS5_PS5_PKlPlEEvT_T0_T1_T2_jjjjRNS6_12storage_typeE.uses_vcc, 1
	.set .L_ZN7rocprim17ROCPRIM_400000_NS6detail26segmented_warp_sort_helperINS1_20WarpSortHelperConfigILj8ELj4ELj256EEE12hip_bfloat16lLi256ELb0EvE4sortIPKS5_PS5_PKlPlEEvT_T0_T1_T2_jjjjRNS6_12storage_typeE.uses_flat_scratch, 0
	.set .L_ZN7rocprim17ROCPRIM_400000_NS6detail26segmented_warp_sort_helperINS1_20WarpSortHelperConfigILj8ELj4ELj256EEE12hip_bfloat16lLi256ELb0EvE4sortIPKS5_PS5_PKlPlEEvT_T0_T1_T2_jjjjRNS6_12storage_typeE.has_dyn_sized_stack, 0
	.set .L_ZN7rocprim17ROCPRIM_400000_NS6detail26segmented_warp_sort_helperINS1_20WarpSortHelperConfigILj8ELj4ELj256EEE12hip_bfloat16lLi256ELb0EvE4sortIPKS5_PS5_PKlPlEEvT_T0_T1_T2_jjjjRNS6_12storage_typeE.has_recursion, 0
	.set .L_ZN7rocprim17ROCPRIM_400000_NS6detail26segmented_warp_sort_helperINS1_20WarpSortHelperConfigILj8ELj4ELj256EEE12hip_bfloat16lLi256ELb0EvE4sortIPKS5_PS5_PKlPlEEvT_T0_T1_T2_jjjjRNS6_12storage_typeE.has_indirect_call, 0
	.section	.AMDGPU.csdata,"",@progbits
; Function info:
; codeLenInByte = 11264
; TotalNumSgprs: 34
; NumVgprs: 56
; ScratchSize: 0
; MemoryBound: 1
	.section	.text._ZN7rocprim17ROCPRIM_400000_NS6detail17trampoline_kernelINS0_14default_configENS1_36segmented_radix_sort_config_selectorI12hip_bfloat16lEEZNS1_25segmented_radix_sort_implIS3_Lb0EPKS5_PS5_PKlPlN2at6native12_GLOBAL__N_18offset_tEEE10hipError_tPvRmT1_PNSt15iterator_traitsISL_E10value_typeET2_T3_PNSM_ISR_E10value_typeET4_jRbjT5_SX_jjP12ihipStream_tbEUlT_E1_NS1_11comp_targetILNS1_3genE0ELNS1_11target_archE4294967295ELNS1_3gpuE0ELNS1_3repE0EEENS1_59segmented_radix_sort_warp_sort_small_config_static_selectorELNS0_4arch9wavefront6targetE0EEEvSL_,"axG",@progbits,_ZN7rocprim17ROCPRIM_400000_NS6detail17trampoline_kernelINS0_14default_configENS1_36segmented_radix_sort_config_selectorI12hip_bfloat16lEEZNS1_25segmented_radix_sort_implIS3_Lb0EPKS5_PS5_PKlPlN2at6native12_GLOBAL__N_18offset_tEEE10hipError_tPvRmT1_PNSt15iterator_traitsISL_E10value_typeET2_T3_PNSM_ISR_E10value_typeET4_jRbjT5_SX_jjP12ihipStream_tbEUlT_E1_NS1_11comp_targetILNS1_3genE0ELNS1_11target_archE4294967295ELNS1_3gpuE0ELNS1_3repE0EEENS1_59segmented_radix_sort_warp_sort_small_config_static_selectorELNS0_4arch9wavefront6targetE0EEEvSL_,comdat
	.globl	_ZN7rocprim17ROCPRIM_400000_NS6detail17trampoline_kernelINS0_14default_configENS1_36segmented_radix_sort_config_selectorI12hip_bfloat16lEEZNS1_25segmented_radix_sort_implIS3_Lb0EPKS5_PS5_PKlPlN2at6native12_GLOBAL__N_18offset_tEEE10hipError_tPvRmT1_PNSt15iterator_traitsISL_E10value_typeET2_T3_PNSM_ISR_E10value_typeET4_jRbjT5_SX_jjP12ihipStream_tbEUlT_E1_NS1_11comp_targetILNS1_3genE0ELNS1_11target_archE4294967295ELNS1_3gpuE0ELNS1_3repE0EEENS1_59segmented_radix_sort_warp_sort_small_config_static_selectorELNS0_4arch9wavefront6targetE0EEEvSL_ ; -- Begin function _ZN7rocprim17ROCPRIM_400000_NS6detail17trampoline_kernelINS0_14default_configENS1_36segmented_radix_sort_config_selectorI12hip_bfloat16lEEZNS1_25segmented_radix_sort_implIS3_Lb0EPKS5_PS5_PKlPlN2at6native12_GLOBAL__N_18offset_tEEE10hipError_tPvRmT1_PNSt15iterator_traitsISL_E10value_typeET2_T3_PNSM_ISR_E10value_typeET4_jRbjT5_SX_jjP12ihipStream_tbEUlT_E1_NS1_11comp_targetILNS1_3genE0ELNS1_11target_archE4294967295ELNS1_3gpuE0ELNS1_3repE0EEENS1_59segmented_radix_sort_warp_sort_small_config_static_selectorELNS0_4arch9wavefront6targetE0EEEvSL_
	.p2align	8
	.type	_ZN7rocprim17ROCPRIM_400000_NS6detail17trampoline_kernelINS0_14default_configENS1_36segmented_radix_sort_config_selectorI12hip_bfloat16lEEZNS1_25segmented_radix_sort_implIS3_Lb0EPKS5_PS5_PKlPlN2at6native12_GLOBAL__N_18offset_tEEE10hipError_tPvRmT1_PNSt15iterator_traitsISL_E10value_typeET2_T3_PNSM_ISR_E10value_typeET4_jRbjT5_SX_jjP12ihipStream_tbEUlT_E1_NS1_11comp_targetILNS1_3genE0ELNS1_11target_archE4294967295ELNS1_3gpuE0ELNS1_3repE0EEENS1_59segmented_radix_sort_warp_sort_small_config_static_selectorELNS0_4arch9wavefront6targetE0EEEvSL_,@function
_ZN7rocprim17ROCPRIM_400000_NS6detail17trampoline_kernelINS0_14default_configENS1_36segmented_radix_sort_config_selectorI12hip_bfloat16lEEZNS1_25segmented_radix_sort_implIS3_Lb0EPKS5_PS5_PKlPlN2at6native12_GLOBAL__N_18offset_tEEE10hipError_tPvRmT1_PNSt15iterator_traitsISL_E10value_typeET2_T3_PNSM_ISR_E10value_typeET4_jRbjT5_SX_jjP12ihipStream_tbEUlT_E1_NS1_11comp_targetILNS1_3genE0ELNS1_11target_archE4294967295ELNS1_3gpuE0ELNS1_3repE0EEENS1_59segmented_radix_sort_warp_sort_small_config_static_selectorELNS0_4arch9wavefront6targetE0EEEvSL_: ; @_ZN7rocprim17ROCPRIM_400000_NS6detail17trampoline_kernelINS0_14default_configENS1_36segmented_radix_sort_config_selectorI12hip_bfloat16lEEZNS1_25segmented_radix_sort_implIS3_Lb0EPKS5_PS5_PKlPlN2at6native12_GLOBAL__N_18offset_tEEE10hipError_tPvRmT1_PNSt15iterator_traitsISL_E10value_typeET2_T3_PNSM_ISR_E10value_typeET4_jRbjT5_SX_jjP12ihipStream_tbEUlT_E1_NS1_11comp_targetILNS1_3genE0ELNS1_11target_archE4294967295ELNS1_3gpuE0ELNS1_3repE0EEENS1_59segmented_radix_sort_warp_sort_small_config_static_selectorELNS0_4arch9wavefront6targetE0EEEvSL_
; %bb.0:
	s_load_b32 s4, s[2:3], 0x64
	v_bfe_u32 v1, v0, 10, 10
	v_bfe_u32 v2, v0, 20, 10
	v_and_b32_e32 v3, 0x3ff, v0
	s_and_b32 s6, ttmp6, 15
	s_getreg_b32 s7, hwreg(HW_REG_IB_STS2, 6, 4)
	s_mov_b32 s32, 0
	s_wait_kmcnt 0x0
	s_lshr_b32 s5, s4, 16
	s_and_b32 s4, s4, 0xffff
	v_mad_u32_u24 v1, v2, s5, v1
	s_bfe_u32 s5, ttmp6, 0x4000c
	s_delay_alu instid0(SALU_CYCLE_1) | instskip(NEXT) | instid1(SALU_CYCLE_1)
	s_add_co_i32 s5, s5, 1
	s_mul_i32 s5, ttmp9, s5
	s_delay_alu instid0(VALU_DEP_1) | instskip(SKIP_4) | instid1(VALU_DEP_1)
	v_mad_u32 v1, v1, s4, v3
	s_load_b32 s4, s[2:3], 0x34
	s_add_co_i32 s6, s6, s5
	s_cmp_eq_u32 s7, 0
	s_cselect_b32 s5, ttmp9, s6
	v_lshrrev_b32_e32 v1, 3, v1
	s_delay_alu instid0(VALU_DEP_1) | instskip(SKIP_1) | instid1(VALU_DEP_1)
	v_lshl_add_u32 v2, s5, 5, v1
	s_wait_kmcnt 0x0
	v_cmp_gt_u32_e32 vcc_lo, s4, v2
	s_and_saveexec_b32 s4, vcc_lo
	s_cbranch_execz .LBB2060_6
; %bb.1:
	s_clause 0x1
	s_load_b64 s[8:9], s[2:3], 0x38
	s_load_b128 s[4:7], s[2:3], 0x40
	v_mov_b32_e32 v3, 0
	s_delay_alu instid0(VALU_DEP_1) | instskip(SKIP_1) | instid1(VALU_DEP_1)
	v_lshlrev_b64_e32 v[2:3], 2, v[2:3]
	s_wait_kmcnt 0x0
	v_sub_nc_u64_e32 v[2:3], s[8:9], v[2:3]
	global_load_b32 v1, v[2:3], off offset:-4
	s_wait_loadcnt 0x0
	v_dual_add_nc_u32 v2, s5, v1 :: v_dual_add_nc_u32 v1, s7, v1
	s_delay_alu instid0(VALU_DEP_1) | instskip(NEXT) | instid1(VALU_DEP_2)
	v_mul_lo_u32 v8, v2, s4
	v_mul_lo_u32 v40, v1, s6
	s_delay_alu instid0(VALU_DEP_1)
	v_cmp_gt_u32_e32 vcc_lo, v40, v8
	s_and_b32 exec_lo, exec_lo, vcc_lo
	s_cbranch_execz .LBB2060_6
; %bb.2:
	s_clause 0x2
	s_load_b32 s4, s[2:3], 0x30
	s_load_b128 s[24:27], s[2:3], 0x20
	s_load_b256 s[16:23], s[2:3], 0x0
	s_add_nc_u64 s[14:15], s[2:3], 0x58
	s_get_pc_i64 s[28:29]
	s_add_nc_u64 s[28:29], s[28:29], _ZN7rocprim17ROCPRIM_400000_NS6detail26segmented_warp_sort_helperINS1_20WarpSortHelperConfigILj8ELj4ELj256EEE12hip_bfloat16lLi256ELb0EvE4sortIPKS5_PS5_PKlPlEEvT_T0_T1_T2_jjjjRNS6_12storage_typeE@rel64+4
	s_wait_kmcnt 0x0
	s_bitcmp0_b32 s4, 0
	s_mov_b32 s4, -1
	s_cbranch_scc0 .LBB2060_4
; %bb.3:
	s_mov_b64 s[2:3], src_shared_base
	v_dual_mov_b32 v31, v0 :: v_dual_mov_b32 v41, v0
	v_dual_mov_b32 v0, s16 :: v_dual_mov_b32 v1, s17
	;; [unrolled: 1-line block ×6, first 2 shown]
	v_mov_b32_e32 v11, s3
	s_mov_b64 s[6:7], s[0:1]
	s_mov_b64 s[8:9], s[14:15]
	;; [unrolled: 1-line block ×3, first 2 shown]
	s_swap_pc_i64 s[30:31], s[28:29]
	v_mov_b32_e32 v0, v41
	s_mov_b64 s[0:1], s[18:19]
	s_mov_b32 s4, 0
.LBB2060_4:
	s_delay_alu instid0(SALU_CYCLE_1)
	s_and_not1_b32 vcc_lo, exec_lo, s4
	s_cbranch_vccnz .LBB2060_6
; %bb.5:
	s_mov_b64 s[2:3], src_shared_base
	v_dual_mov_b32 v31, v0 :: v_dual_mov_b32 v0, s16
	v_dual_mov_b32 v1, s17 :: v_dual_mov_b32 v2, s20
	v_dual_mov_b32 v3, s21 :: v_dual_mov_b32 v4, s22
	v_dual_mov_b32 v5, s23 :: v_dual_mov_b32 v6, s26
	v_dual_mov_b32 v7, s27 :: v_dual_mov_b32 v9, v40
	v_dual_mov_b32 v10, 0 :: v_dual_mov_b32 v11, s3
	s_mov_b64 s[6:7], s[0:1]
	s_mov_b64 s[8:9], s[14:15]
	s_swap_pc_i64 s[30:31], s[28:29]
.LBB2060_6:
	s_endpgm
	.section	.rodata,"a",@progbits
	.p2align	6, 0x0
	.amdhsa_kernel _ZN7rocprim17ROCPRIM_400000_NS6detail17trampoline_kernelINS0_14default_configENS1_36segmented_radix_sort_config_selectorI12hip_bfloat16lEEZNS1_25segmented_radix_sort_implIS3_Lb0EPKS5_PS5_PKlPlN2at6native12_GLOBAL__N_18offset_tEEE10hipError_tPvRmT1_PNSt15iterator_traitsISL_E10value_typeET2_T3_PNSM_ISR_E10value_typeET4_jRbjT5_SX_jjP12ihipStream_tbEUlT_E1_NS1_11comp_targetILNS1_3genE0ELNS1_11target_archE4294967295ELNS1_3gpuE0ELNS1_3repE0EEENS1_59segmented_radix_sort_warp_sort_small_config_static_selectorELNS0_4arch9wavefront6targetE0EEEvSL_
		.amdhsa_group_segment_fixed_size 10240
		.amdhsa_private_segment_fixed_size 0
		.amdhsa_kernarg_size 344
		.amdhsa_user_sgpr_count 4
		.amdhsa_user_sgpr_dispatch_ptr 0
		.amdhsa_user_sgpr_queue_ptr 1
		.amdhsa_user_sgpr_kernarg_segment_ptr 1
		.amdhsa_user_sgpr_dispatch_id 0
		.amdhsa_user_sgpr_kernarg_preload_length 0
		.amdhsa_user_sgpr_kernarg_preload_offset 0
		.amdhsa_user_sgpr_private_segment_size 0
		.amdhsa_wavefront_size32 1
		.amdhsa_uses_dynamic_stack 0
		.amdhsa_enable_private_segment 0
		.amdhsa_system_sgpr_workgroup_id_x 1
		.amdhsa_system_sgpr_workgroup_id_y 1
		.amdhsa_system_sgpr_workgroup_id_z 0
		.amdhsa_system_sgpr_workgroup_info 0
		.amdhsa_system_vgpr_workitem_id 2
		.amdhsa_next_free_vgpr 56
		.amdhsa_next_free_sgpr 33
		.amdhsa_named_barrier_count 0
		.amdhsa_reserve_vcc 1
		.amdhsa_float_round_mode_32 0
		.amdhsa_float_round_mode_16_64 0
		.amdhsa_float_denorm_mode_32 3
		.amdhsa_float_denorm_mode_16_64 3
		.amdhsa_fp16_overflow 0
		.amdhsa_memory_ordered 1
		.amdhsa_forward_progress 1
		.amdhsa_inst_pref_size 4
		.amdhsa_round_robin_scheduling 0
		.amdhsa_exception_fp_ieee_invalid_op 0
		.amdhsa_exception_fp_denorm_src 0
		.amdhsa_exception_fp_ieee_div_zero 0
		.amdhsa_exception_fp_ieee_overflow 0
		.amdhsa_exception_fp_ieee_underflow 0
		.amdhsa_exception_fp_ieee_inexact 0
		.amdhsa_exception_int_div_zero 0
	.end_amdhsa_kernel
	.section	.text._ZN7rocprim17ROCPRIM_400000_NS6detail17trampoline_kernelINS0_14default_configENS1_36segmented_radix_sort_config_selectorI12hip_bfloat16lEEZNS1_25segmented_radix_sort_implIS3_Lb0EPKS5_PS5_PKlPlN2at6native12_GLOBAL__N_18offset_tEEE10hipError_tPvRmT1_PNSt15iterator_traitsISL_E10value_typeET2_T3_PNSM_ISR_E10value_typeET4_jRbjT5_SX_jjP12ihipStream_tbEUlT_E1_NS1_11comp_targetILNS1_3genE0ELNS1_11target_archE4294967295ELNS1_3gpuE0ELNS1_3repE0EEENS1_59segmented_radix_sort_warp_sort_small_config_static_selectorELNS0_4arch9wavefront6targetE0EEEvSL_,"axG",@progbits,_ZN7rocprim17ROCPRIM_400000_NS6detail17trampoline_kernelINS0_14default_configENS1_36segmented_radix_sort_config_selectorI12hip_bfloat16lEEZNS1_25segmented_radix_sort_implIS3_Lb0EPKS5_PS5_PKlPlN2at6native12_GLOBAL__N_18offset_tEEE10hipError_tPvRmT1_PNSt15iterator_traitsISL_E10value_typeET2_T3_PNSM_ISR_E10value_typeET4_jRbjT5_SX_jjP12ihipStream_tbEUlT_E1_NS1_11comp_targetILNS1_3genE0ELNS1_11target_archE4294967295ELNS1_3gpuE0ELNS1_3repE0EEENS1_59segmented_radix_sort_warp_sort_small_config_static_selectorELNS0_4arch9wavefront6targetE0EEEvSL_,comdat
.Lfunc_end2060:
	.size	_ZN7rocprim17ROCPRIM_400000_NS6detail17trampoline_kernelINS0_14default_configENS1_36segmented_radix_sort_config_selectorI12hip_bfloat16lEEZNS1_25segmented_radix_sort_implIS3_Lb0EPKS5_PS5_PKlPlN2at6native12_GLOBAL__N_18offset_tEEE10hipError_tPvRmT1_PNSt15iterator_traitsISL_E10value_typeET2_T3_PNSM_ISR_E10value_typeET4_jRbjT5_SX_jjP12ihipStream_tbEUlT_E1_NS1_11comp_targetILNS1_3genE0ELNS1_11target_archE4294967295ELNS1_3gpuE0ELNS1_3repE0EEENS1_59segmented_radix_sort_warp_sort_small_config_static_selectorELNS0_4arch9wavefront6targetE0EEEvSL_, .Lfunc_end2060-_ZN7rocprim17ROCPRIM_400000_NS6detail17trampoline_kernelINS0_14default_configENS1_36segmented_radix_sort_config_selectorI12hip_bfloat16lEEZNS1_25segmented_radix_sort_implIS3_Lb0EPKS5_PS5_PKlPlN2at6native12_GLOBAL__N_18offset_tEEE10hipError_tPvRmT1_PNSt15iterator_traitsISL_E10value_typeET2_T3_PNSM_ISR_E10value_typeET4_jRbjT5_SX_jjP12ihipStream_tbEUlT_E1_NS1_11comp_targetILNS1_3genE0ELNS1_11target_archE4294967295ELNS1_3gpuE0ELNS1_3repE0EEENS1_59segmented_radix_sort_warp_sort_small_config_static_selectorELNS0_4arch9wavefront6targetE0EEEvSL_
                                        ; -- End function
	.set _ZN7rocprim17ROCPRIM_400000_NS6detail17trampoline_kernelINS0_14default_configENS1_36segmented_radix_sort_config_selectorI12hip_bfloat16lEEZNS1_25segmented_radix_sort_implIS3_Lb0EPKS5_PS5_PKlPlN2at6native12_GLOBAL__N_18offset_tEEE10hipError_tPvRmT1_PNSt15iterator_traitsISL_E10value_typeET2_T3_PNSM_ISR_E10value_typeET4_jRbjT5_SX_jjP12ihipStream_tbEUlT_E1_NS1_11comp_targetILNS1_3genE0ELNS1_11target_archE4294967295ELNS1_3gpuE0ELNS1_3repE0EEENS1_59segmented_radix_sort_warp_sort_small_config_static_selectorELNS0_4arch9wavefront6targetE0EEEvSL_.num_vgpr, max(42, .L_ZN7rocprim17ROCPRIM_400000_NS6detail26segmented_warp_sort_helperINS1_20WarpSortHelperConfigILj8ELj4ELj256EEE12hip_bfloat16lLi256ELb0EvE4sortIPKS5_PS5_PKlPlEEvT_T0_T1_T2_jjjjRNS6_12storage_typeE.num_vgpr)
	.set _ZN7rocprim17ROCPRIM_400000_NS6detail17trampoline_kernelINS0_14default_configENS1_36segmented_radix_sort_config_selectorI12hip_bfloat16lEEZNS1_25segmented_radix_sort_implIS3_Lb0EPKS5_PS5_PKlPlN2at6native12_GLOBAL__N_18offset_tEEE10hipError_tPvRmT1_PNSt15iterator_traitsISL_E10value_typeET2_T3_PNSM_ISR_E10value_typeET4_jRbjT5_SX_jjP12ihipStream_tbEUlT_E1_NS1_11comp_targetILNS1_3genE0ELNS1_11target_archE4294967295ELNS1_3gpuE0ELNS1_3repE0EEENS1_59segmented_radix_sort_warp_sort_small_config_static_selectorELNS0_4arch9wavefront6targetE0EEEvSL_.num_agpr, max(0, .L_ZN7rocprim17ROCPRIM_400000_NS6detail26segmented_warp_sort_helperINS1_20WarpSortHelperConfigILj8ELj4ELj256EEE12hip_bfloat16lLi256ELb0EvE4sortIPKS5_PS5_PKlPlEEvT_T0_T1_T2_jjjjRNS6_12storage_typeE.num_agpr)
	.set _ZN7rocprim17ROCPRIM_400000_NS6detail17trampoline_kernelINS0_14default_configENS1_36segmented_radix_sort_config_selectorI12hip_bfloat16lEEZNS1_25segmented_radix_sort_implIS3_Lb0EPKS5_PS5_PKlPlN2at6native12_GLOBAL__N_18offset_tEEE10hipError_tPvRmT1_PNSt15iterator_traitsISL_E10value_typeET2_T3_PNSM_ISR_E10value_typeET4_jRbjT5_SX_jjP12ihipStream_tbEUlT_E1_NS1_11comp_targetILNS1_3genE0ELNS1_11target_archE4294967295ELNS1_3gpuE0ELNS1_3repE0EEENS1_59segmented_radix_sort_warp_sort_small_config_static_selectorELNS0_4arch9wavefront6targetE0EEEvSL_.numbered_sgpr, max(33, .L_ZN7rocprim17ROCPRIM_400000_NS6detail26segmented_warp_sort_helperINS1_20WarpSortHelperConfigILj8ELj4ELj256EEE12hip_bfloat16lLi256ELb0EvE4sortIPKS5_PS5_PKlPlEEvT_T0_T1_T2_jjjjRNS6_12storage_typeE.numbered_sgpr)
	.set _ZN7rocprim17ROCPRIM_400000_NS6detail17trampoline_kernelINS0_14default_configENS1_36segmented_radix_sort_config_selectorI12hip_bfloat16lEEZNS1_25segmented_radix_sort_implIS3_Lb0EPKS5_PS5_PKlPlN2at6native12_GLOBAL__N_18offset_tEEE10hipError_tPvRmT1_PNSt15iterator_traitsISL_E10value_typeET2_T3_PNSM_ISR_E10value_typeET4_jRbjT5_SX_jjP12ihipStream_tbEUlT_E1_NS1_11comp_targetILNS1_3genE0ELNS1_11target_archE4294967295ELNS1_3gpuE0ELNS1_3repE0EEENS1_59segmented_radix_sort_warp_sort_small_config_static_selectorELNS0_4arch9wavefront6targetE0EEEvSL_.num_named_barrier, max(0, .L_ZN7rocprim17ROCPRIM_400000_NS6detail26segmented_warp_sort_helperINS1_20WarpSortHelperConfigILj8ELj4ELj256EEE12hip_bfloat16lLi256ELb0EvE4sortIPKS5_PS5_PKlPlEEvT_T0_T1_T2_jjjjRNS6_12storage_typeE.num_named_barrier)
	.set _ZN7rocprim17ROCPRIM_400000_NS6detail17trampoline_kernelINS0_14default_configENS1_36segmented_radix_sort_config_selectorI12hip_bfloat16lEEZNS1_25segmented_radix_sort_implIS3_Lb0EPKS5_PS5_PKlPlN2at6native12_GLOBAL__N_18offset_tEEE10hipError_tPvRmT1_PNSt15iterator_traitsISL_E10value_typeET2_T3_PNSM_ISR_E10value_typeET4_jRbjT5_SX_jjP12ihipStream_tbEUlT_E1_NS1_11comp_targetILNS1_3genE0ELNS1_11target_archE4294967295ELNS1_3gpuE0ELNS1_3repE0EEENS1_59segmented_radix_sort_warp_sort_small_config_static_selectorELNS0_4arch9wavefront6targetE0EEEvSL_.private_seg_size, 0+max(.L_ZN7rocprim17ROCPRIM_400000_NS6detail26segmented_warp_sort_helperINS1_20WarpSortHelperConfigILj8ELj4ELj256EEE12hip_bfloat16lLi256ELb0EvE4sortIPKS5_PS5_PKlPlEEvT_T0_T1_T2_jjjjRNS6_12storage_typeE.private_seg_size)
	.set _ZN7rocprim17ROCPRIM_400000_NS6detail17trampoline_kernelINS0_14default_configENS1_36segmented_radix_sort_config_selectorI12hip_bfloat16lEEZNS1_25segmented_radix_sort_implIS3_Lb0EPKS5_PS5_PKlPlN2at6native12_GLOBAL__N_18offset_tEEE10hipError_tPvRmT1_PNSt15iterator_traitsISL_E10value_typeET2_T3_PNSM_ISR_E10value_typeET4_jRbjT5_SX_jjP12ihipStream_tbEUlT_E1_NS1_11comp_targetILNS1_3genE0ELNS1_11target_archE4294967295ELNS1_3gpuE0ELNS1_3repE0EEENS1_59segmented_radix_sort_warp_sort_small_config_static_selectorELNS0_4arch9wavefront6targetE0EEEvSL_.uses_vcc, or(1, .L_ZN7rocprim17ROCPRIM_400000_NS6detail26segmented_warp_sort_helperINS1_20WarpSortHelperConfigILj8ELj4ELj256EEE12hip_bfloat16lLi256ELb0EvE4sortIPKS5_PS5_PKlPlEEvT_T0_T1_T2_jjjjRNS6_12storage_typeE.uses_vcc)
	.set _ZN7rocprim17ROCPRIM_400000_NS6detail17trampoline_kernelINS0_14default_configENS1_36segmented_radix_sort_config_selectorI12hip_bfloat16lEEZNS1_25segmented_radix_sort_implIS3_Lb0EPKS5_PS5_PKlPlN2at6native12_GLOBAL__N_18offset_tEEE10hipError_tPvRmT1_PNSt15iterator_traitsISL_E10value_typeET2_T3_PNSM_ISR_E10value_typeET4_jRbjT5_SX_jjP12ihipStream_tbEUlT_E1_NS1_11comp_targetILNS1_3genE0ELNS1_11target_archE4294967295ELNS1_3gpuE0ELNS1_3repE0EEENS1_59segmented_radix_sort_warp_sort_small_config_static_selectorELNS0_4arch9wavefront6targetE0EEEvSL_.uses_flat_scratch, or(0, .L_ZN7rocprim17ROCPRIM_400000_NS6detail26segmented_warp_sort_helperINS1_20WarpSortHelperConfigILj8ELj4ELj256EEE12hip_bfloat16lLi256ELb0EvE4sortIPKS5_PS5_PKlPlEEvT_T0_T1_T2_jjjjRNS6_12storage_typeE.uses_flat_scratch)
	.set _ZN7rocprim17ROCPRIM_400000_NS6detail17trampoline_kernelINS0_14default_configENS1_36segmented_radix_sort_config_selectorI12hip_bfloat16lEEZNS1_25segmented_radix_sort_implIS3_Lb0EPKS5_PS5_PKlPlN2at6native12_GLOBAL__N_18offset_tEEE10hipError_tPvRmT1_PNSt15iterator_traitsISL_E10value_typeET2_T3_PNSM_ISR_E10value_typeET4_jRbjT5_SX_jjP12ihipStream_tbEUlT_E1_NS1_11comp_targetILNS1_3genE0ELNS1_11target_archE4294967295ELNS1_3gpuE0ELNS1_3repE0EEENS1_59segmented_radix_sort_warp_sort_small_config_static_selectorELNS0_4arch9wavefront6targetE0EEEvSL_.has_dyn_sized_stack, or(0, .L_ZN7rocprim17ROCPRIM_400000_NS6detail26segmented_warp_sort_helperINS1_20WarpSortHelperConfigILj8ELj4ELj256EEE12hip_bfloat16lLi256ELb0EvE4sortIPKS5_PS5_PKlPlEEvT_T0_T1_T2_jjjjRNS6_12storage_typeE.has_dyn_sized_stack)
	.set _ZN7rocprim17ROCPRIM_400000_NS6detail17trampoline_kernelINS0_14default_configENS1_36segmented_radix_sort_config_selectorI12hip_bfloat16lEEZNS1_25segmented_radix_sort_implIS3_Lb0EPKS5_PS5_PKlPlN2at6native12_GLOBAL__N_18offset_tEEE10hipError_tPvRmT1_PNSt15iterator_traitsISL_E10value_typeET2_T3_PNSM_ISR_E10value_typeET4_jRbjT5_SX_jjP12ihipStream_tbEUlT_E1_NS1_11comp_targetILNS1_3genE0ELNS1_11target_archE4294967295ELNS1_3gpuE0ELNS1_3repE0EEENS1_59segmented_radix_sort_warp_sort_small_config_static_selectorELNS0_4arch9wavefront6targetE0EEEvSL_.has_recursion, or(0, .L_ZN7rocprim17ROCPRIM_400000_NS6detail26segmented_warp_sort_helperINS1_20WarpSortHelperConfigILj8ELj4ELj256EEE12hip_bfloat16lLi256ELb0EvE4sortIPKS5_PS5_PKlPlEEvT_T0_T1_T2_jjjjRNS6_12storage_typeE.has_recursion)
	.set _ZN7rocprim17ROCPRIM_400000_NS6detail17trampoline_kernelINS0_14default_configENS1_36segmented_radix_sort_config_selectorI12hip_bfloat16lEEZNS1_25segmented_radix_sort_implIS3_Lb0EPKS5_PS5_PKlPlN2at6native12_GLOBAL__N_18offset_tEEE10hipError_tPvRmT1_PNSt15iterator_traitsISL_E10value_typeET2_T3_PNSM_ISR_E10value_typeET4_jRbjT5_SX_jjP12ihipStream_tbEUlT_E1_NS1_11comp_targetILNS1_3genE0ELNS1_11target_archE4294967295ELNS1_3gpuE0ELNS1_3repE0EEENS1_59segmented_radix_sort_warp_sort_small_config_static_selectorELNS0_4arch9wavefront6targetE0EEEvSL_.has_indirect_call, or(0, .L_ZN7rocprim17ROCPRIM_400000_NS6detail26segmented_warp_sort_helperINS1_20WarpSortHelperConfigILj8ELj4ELj256EEE12hip_bfloat16lLi256ELb0EvE4sortIPKS5_PS5_PKlPlEEvT_T0_T1_T2_jjjjRNS6_12storage_typeE.has_indirect_call)
	.section	.AMDGPU.csdata,"",@progbits
; Kernel info:
; codeLenInByte = 496
; TotalNumSgprs: 35
; NumVgprs: 56
; ScratchSize: 0
; MemoryBound: 0
; FloatMode: 240
; IeeeMode: 1
; LDSByteSize: 10240 bytes/workgroup (compile time only)
; SGPRBlocks: 0
; VGPRBlocks: 3
; NumSGPRsForWavesPerEU: 35
; NumVGPRsForWavesPerEU: 56
; NamedBarCnt: 0
; Occupancy: 16
; WaveLimiterHint : 0
; COMPUTE_PGM_RSRC2:SCRATCH_EN: 0
; COMPUTE_PGM_RSRC2:USER_SGPR: 4
; COMPUTE_PGM_RSRC2:TRAP_HANDLER: 0
; COMPUTE_PGM_RSRC2:TGID_X_EN: 1
; COMPUTE_PGM_RSRC2:TGID_Y_EN: 1
; COMPUTE_PGM_RSRC2:TGID_Z_EN: 0
; COMPUTE_PGM_RSRC2:TIDIG_COMP_CNT: 2
	.section	.text._ZN7rocprim17ROCPRIM_400000_NS6detail17trampoline_kernelINS0_14default_configENS1_36segmented_radix_sort_config_selectorI12hip_bfloat16lEEZNS1_25segmented_radix_sort_implIS3_Lb0EPKS5_PS5_PKlPlN2at6native12_GLOBAL__N_18offset_tEEE10hipError_tPvRmT1_PNSt15iterator_traitsISL_E10value_typeET2_T3_PNSM_ISR_E10value_typeET4_jRbjT5_SX_jjP12ihipStream_tbEUlT_E1_NS1_11comp_targetILNS1_3genE5ELNS1_11target_archE942ELNS1_3gpuE9ELNS1_3repE0EEENS1_59segmented_radix_sort_warp_sort_small_config_static_selectorELNS0_4arch9wavefront6targetE0EEEvSL_,"axG",@progbits,_ZN7rocprim17ROCPRIM_400000_NS6detail17trampoline_kernelINS0_14default_configENS1_36segmented_radix_sort_config_selectorI12hip_bfloat16lEEZNS1_25segmented_radix_sort_implIS3_Lb0EPKS5_PS5_PKlPlN2at6native12_GLOBAL__N_18offset_tEEE10hipError_tPvRmT1_PNSt15iterator_traitsISL_E10value_typeET2_T3_PNSM_ISR_E10value_typeET4_jRbjT5_SX_jjP12ihipStream_tbEUlT_E1_NS1_11comp_targetILNS1_3genE5ELNS1_11target_archE942ELNS1_3gpuE9ELNS1_3repE0EEENS1_59segmented_radix_sort_warp_sort_small_config_static_selectorELNS0_4arch9wavefront6targetE0EEEvSL_,comdat
	.globl	_ZN7rocprim17ROCPRIM_400000_NS6detail17trampoline_kernelINS0_14default_configENS1_36segmented_radix_sort_config_selectorI12hip_bfloat16lEEZNS1_25segmented_radix_sort_implIS3_Lb0EPKS5_PS5_PKlPlN2at6native12_GLOBAL__N_18offset_tEEE10hipError_tPvRmT1_PNSt15iterator_traitsISL_E10value_typeET2_T3_PNSM_ISR_E10value_typeET4_jRbjT5_SX_jjP12ihipStream_tbEUlT_E1_NS1_11comp_targetILNS1_3genE5ELNS1_11target_archE942ELNS1_3gpuE9ELNS1_3repE0EEENS1_59segmented_radix_sort_warp_sort_small_config_static_selectorELNS0_4arch9wavefront6targetE0EEEvSL_ ; -- Begin function _ZN7rocprim17ROCPRIM_400000_NS6detail17trampoline_kernelINS0_14default_configENS1_36segmented_radix_sort_config_selectorI12hip_bfloat16lEEZNS1_25segmented_radix_sort_implIS3_Lb0EPKS5_PS5_PKlPlN2at6native12_GLOBAL__N_18offset_tEEE10hipError_tPvRmT1_PNSt15iterator_traitsISL_E10value_typeET2_T3_PNSM_ISR_E10value_typeET4_jRbjT5_SX_jjP12ihipStream_tbEUlT_E1_NS1_11comp_targetILNS1_3genE5ELNS1_11target_archE942ELNS1_3gpuE9ELNS1_3repE0EEENS1_59segmented_radix_sort_warp_sort_small_config_static_selectorELNS0_4arch9wavefront6targetE0EEEvSL_
	.p2align	8
	.type	_ZN7rocprim17ROCPRIM_400000_NS6detail17trampoline_kernelINS0_14default_configENS1_36segmented_radix_sort_config_selectorI12hip_bfloat16lEEZNS1_25segmented_radix_sort_implIS3_Lb0EPKS5_PS5_PKlPlN2at6native12_GLOBAL__N_18offset_tEEE10hipError_tPvRmT1_PNSt15iterator_traitsISL_E10value_typeET2_T3_PNSM_ISR_E10value_typeET4_jRbjT5_SX_jjP12ihipStream_tbEUlT_E1_NS1_11comp_targetILNS1_3genE5ELNS1_11target_archE942ELNS1_3gpuE9ELNS1_3repE0EEENS1_59segmented_radix_sort_warp_sort_small_config_static_selectorELNS0_4arch9wavefront6targetE0EEEvSL_,@function
_ZN7rocprim17ROCPRIM_400000_NS6detail17trampoline_kernelINS0_14default_configENS1_36segmented_radix_sort_config_selectorI12hip_bfloat16lEEZNS1_25segmented_radix_sort_implIS3_Lb0EPKS5_PS5_PKlPlN2at6native12_GLOBAL__N_18offset_tEEE10hipError_tPvRmT1_PNSt15iterator_traitsISL_E10value_typeET2_T3_PNSM_ISR_E10value_typeET4_jRbjT5_SX_jjP12ihipStream_tbEUlT_E1_NS1_11comp_targetILNS1_3genE5ELNS1_11target_archE942ELNS1_3gpuE9ELNS1_3repE0EEENS1_59segmented_radix_sort_warp_sort_small_config_static_selectorELNS0_4arch9wavefront6targetE0EEEvSL_: ; @_ZN7rocprim17ROCPRIM_400000_NS6detail17trampoline_kernelINS0_14default_configENS1_36segmented_radix_sort_config_selectorI12hip_bfloat16lEEZNS1_25segmented_radix_sort_implIS3_Lb0EPKS5_PS5_PKlPlN2at6native12_GLOBAL__N_18offset_tEEE10hipError_tPvRmT1_PNSt15iterator_traitsISL_E10value_typeET2_T3_PNSM_ISR_E10value_typeET4_jRbjT5_SX_jjP12ihipStream_tbEUlT_E1_NS1_11comp_targetILNS1_3genE5ELNS1_11target_archE942ELNS1_3gpuE9ELNS1_3repE0EEENS1_59segmented_radix_sort_warp_sort_small_config_static_selectorELNS0_4arch9wavefront6targetE0EEEvSL_
; %bb.0:
	.section	.rodata,"a",@progbits
	.p2align	6, 0x0
	.amdhsa_kernel _ZN7rocprim17ROCPRIM_400000_NS6detail17trampoline_kernelINS0_14default_configENS1_36segmented_radix_sort_config_selectorI12hip_bfloat16lEEZNS1_25segmented_radix_sort_implIS3_Lb0EPKS5_PS5_PKlPlN2at6native12_GLOBAL__N_18offset_tEEE10hipError_tPvRmT1_PNSt15iterator_traitsISL_E10value_typeET2_T3_PNSM_ISR_E10value_typeET4_jRbjT5_SX_jjP12ihipStream_tbEUlT_E1_NS1_11comp_targetILNS1_3genE5ELNS1_11target_archE942ELNS1_3gpuE9ELNS1_3repE0EEENS1_59segmented_radix_sort_warp_sort_small_config_static_selectorELNS0_4arch9wavefront6targetE0EEEvSL_
		.amdhsa_group_segment_fixed_size 0
		.amdhsa_private_segment_fixed_size 0
		.amdhsa_kernarg_size 88
		.amdhsa_user_sgpr_count 2
		.amdhsa_user_sgpr_dispatch_ptr 0
		.amdhsa_user_sgpr_queue_ptr 0
		.amdhsa_user_sgpr_kernarg_segment_ptr 1
		.amdhsa_user_sgpr_dispatch_id 0
		.amdhsa_user_sgpr_kernarg_preload_length 0
		.amdhsa_user_sgpr_kernarg_preload_offset 0
		.amdhsa_user_sgpr_private_segment_size 0
		.amdhsa_wavefront_size32 1
		.amdhsa_uses_dynamic_stack 0
		.amdhsa_enable_private_segment 0
		.amdhsa_system_sgpr_workgroup_id_x 1
		.amdhsa_system_sgpr_workgroup_id_y 0
		.amdhsa_system_sgpr_workgroup_id_z 0
		.amdhsa_system_sgpr_workgroup_info 0
		.amdhsa_system_vgpr_workitem_id 0
		.amdhsa_next_free_vgpr 1
		.amdhsa_next_free_sgpr 1
		.amdhsa_named_barrier_count 0
		.amdhsa_reserve_vcc 0
		.amdhsa_float_round_mode_32 0
		.amdhsa_float_round_mode_16_64 0
		.amdhsa_float_denorm_mode_32 3
		.amdhsa_float_denorm_mode_16_64 3
		.amdhsa_fp16_overflow 0
		.amdhsa_memory_ordered 1
		.amdhsa_forward_progress 1
		.amdhsa_inst_pref_size 0
		.amdhsa_round_robin_scheduling 0
		.amdhsa_exception_fp_ieee_invalid_op 0
		.amdhsa_exception_fp_denorm_src 0
		.amdhsa_exception_fp_ieee_div_zero 0
		.amdhsa_exception_fp_ieee_overflow 0
		.amdhsa_exception_fp_ieee_underflow 0
		.amdhsa_exception_fp_ieee_inexact 0
		.amdhsa_exception_int_div_zero 0
	.end_amdhsa_kernel
	.section	.text._ZN7rocprim17ROCPRIM_400000_NS6detail17trampoline_kernelINS0_14default_configENS1_36segmented_radix_sort_config_selectorI12hip_bfloat16lEEZNS1_25segmented_radix_sort_implIS3_Lb0EPKS5_PS5_PKlPlN2at6native12_GLOBAL__N_18offset_tEEE10hipError_tPvRmT1_PNSt15iterator_traitsISL_E10value_typeET2_T3_PNSM_ISR_E10value_typeET4_jRbjT5_SX_jjP12ihipStream_tbEUlT_E1_NS1_11comp_targetILNS1_3genE5ELNS1_11target_archE942ELNS1_3gpuE9ELNS1_3repE0EEENS1_59segmented_radix_sort_warp_sort_small_config_static_selectorELNS0_4arch9wavefront6targetE0EEEvSL_,"axG",@progbits,_ZN7rocprim17ROCPRIM_400000_NS6detail17trampoline_kernelINS0_14default_configENS1_36segmented_radix_sort_config_selectorI12hip_bfloat16lEEZNS1_25segmented_radix_sort_implIS3_Lb0EPKS5_PS5_PKlPlN2at6native12_GLOBAL__N_18offset_tEEE10hipError_tPvRmT1_PNSt15iterator_traitsISL_E10value_typeET2_T3_PNSM_ISR_E10value_typeET4_jRbjT5_SX_jjP12ihipStream_tbEUlT_E1_NS1_11comp_targetILNS1_3genE5ELNS1_11target_archE942ELNS1_3gpuE9ELNS1_3repE0EEENS1_59segmented_radix_sort_warp_sort_small_config_static_selectorELNS0_4arch9wavefront6targetE0EEEvSL_,comdat
.Lfunc_end2061:
	.size	_ZN7rocprim17ROCPRIM_400000_NS6detail17trampoline_kernelINS0_14default_configENS1_36segmented_radix_sort_config_selectorI12hip_bfloat16lEEZNS1_25segmented_radix_sort_implIS3_Lb0EPKS5_PS5_PKlPlN2at6native12_GLOBAL__N_18offset_tEEE10hipError_tPvRmT1_PNSt15iterator_traitsISL_E10value_typeET2_T3_PNSM_ISR_E10value_typeET4_jRbjT5_SX_jjP12ihipStream_tbEUlT_E1_NS1_11comp_targetILNS1_3genE5ELNS1_11target_archE942ELNS1_3gpuE9ELNS1_3repE0EEENS1_59segmented_radix_sort_warp_sort_small_config_static_selectorELNS0_4arch9wavefront6targetE0EEEvSL_, .Lfunc_end2061-_ZN7rocprim17ROCPRIM_400000_NS6detail17trampoline_kernelINS0_14default_configENS1_36segmented_radix_sort_config_selectorI12hip_bfloat16lEEZNS1_25segmented_radix_sort_implIS3_Lb0EPKS5_PS5_PKlPlN2at6native12_GLOBAL__N_18offset_tEEE10hipError_tPvRmT1_PNSt15iterator_traitsISL_E10value_typeET2_T3_PNSM_ISR_E10value_typeET4_jRbjT5_SX_jjP12ihipStream_tbEUlT_E1_NS1_11comp_targetILNS1_3genE5ELNS1_11target_archE942ELNS1_3gpuE9ELNS1_3repE0EEENS1_59segmented_radix_sort_warp_sort_small_config_static_selectorELNS0_4arch9wavefront6targetE0EEEvSL_
                                        ; -- End function
	.set _ZN7rocprim17ROCPRIM_400000_NS6detail17trampoline_kernelINS0_14default_configENS1_36segmented_radix_sort_config_selectorI12hip_bfloat16lEEZNS1_25segmented_radix_sort_implIS3_Lb0EPKS5_PS5_PKlPlN2at6native12_GLOBAL__N_18offset_tEEE10hipError_tPvRmT1_PNSt15iterator_traitsISL_E10value_typeET2_T3_PNSM_ISR_E10value_typeET4_jRbjT5_SX_jjP12ihipStream_tbEUlT_E1_NS1_11comp_targetILNS1_3genE5ELNS1_11target_archE942ELNS1_3gpuE9ELNS1_3repE0EEENS1_59segmented_radix_sort_warp_sort_small_config_static_selectorELNS0_4arch9wavefront6targetE0EEEvSL_.num_vgpr, 0
	.set _ZN7rocprim17ROCPRIM_400000_NS6detail17trampoline_kernelINS0_14default_configENS1_36segmented_radix_sort_config_selectorI12hip_bfloat16lEEZNS1_25segmented_radix_sort_implIS3_Lb0EPKS5_PS5_PKlPlN2at6native12_GLOBAL__N_18offset_tEEE10hipError_tPvRmT1_PNSt15iterator_traitsISL_E10value_typeET2_T3_PNSM_ISR_E10value_typeET4_jRbjT5_SX_jjP12ihipStream_tbEUlT_E1_NS1_11comp_targetILNS1_3genE5ELNS1_11target_archE942ELNS1_3gpuE9ELNS1_3repE0EEENS1_59segmented_radix_sort_warp_sort_small_config_static_selectorELNS0_4arch9wavefront6targetE0EEEvSL_.num_agpr, 0
	.set _ZN7rocprim17ROCPRIM_400000_NS6detail17trampoline_kernelINS0_14default_configENS1_36segmented_radix_sort_config_selectorI12hip_bfloat16lEEZNS1_25segmented_radix_sort_implIS3_Lb0EPKS5_PS5_PKlPlN2at6native12_GLOBAL__N_18offset_tEEE10hipError_tPvRmT1_PNSt15iterator_traitsISL_E10value_typeET2_T3_PNSM_ISR_E10value_typeET4_jRbjT5_SX_jjP12ihipStream_tbEUlT_E1_NS1_11comp_targetILNS1_3genE5ELNS1_11target_archE942ELNS1_3gpuE9ELNS1_3repE0EEENS1_59segmented_radix_sort_warp_sort_small_config_static_selectorELNS0_4arch9wavefront6targetE0EEEvSL_.numbered_sgpr, 0
	.set _ZN7rocprim17ROCPRIM_400000_NS6detail17trampoline_kernelINS0_14default_configENS1_36segmented_radix_sort_config_selectorI12hip_bfloat16lEEZNS1_25segmented_radix_sort_implIS3_Lb0EPKS5_PS5_PKlPlN2at6native12_GLOBAL__N_18offset_tEEE10hipError_tPvRmT1_PNSt15iterator_traitsISL_E10value_typeET2_T3_PNSM_ISR_E10value_typeET4_jRbjT5_SX_jjP12ihipStream_tbEUlT_E1_NS1_11comp_targetILNS1_3genE5ELNS1_11target_archE942ELNS1_3gpuE9ELNS1_3repE0EEENS1_59segmented_radix_sort_warp_sort_small_config_static_selectorELNS0_4arch9wavefront6targetE0EEEvSL_.num_named_barrier, 0
	.set _ZN7rocprim17ROCPRIM_400000_NS6detail17trampoline_kernelINS0_14default_configENS1_36segmented_radix_sort_config_selectorI12hip_bfloat16lEEZNS1_25segmented_radix_sort_implIS3_Lb0EPKS5_PS5_PKlPlN2at6native12_GLOBAL__N_18offset_tEEE10hipError_tPvRmT1_PNSt15iterator_traitsISL_E10value_typeET2_T3_PNSM_ISR_E10value_typeET4_jRbjT5_SX_jjP12ihipStream_tbEUlT_E1_NS1_11comp_targetILNS1_3genE5ELNS1_11target_archE942ELNS1_3gpuE9ELNS1_3repE0EEENS1_59segmented_radix_sort_warp_sort_small_config_static_selectorELNS0_4arch9wavefront6targetE0EEEvSL_.private_seg_size, 0
	.set _ZN7rocprim17ROCPRIM_400000_NS6detail17trampoline_kernelINS0_14default_configENS1_36segmented_radix_sort_config_selectorI12hip_bfloat16lEEZNS1_25segmented_radix_sort_implIS3_Lb0EPKS5_PS5_PKlPlN2at6native12_GLOBAL__N_18offset_tEEE10hipError_tPvRmT1_PNSt15iterator_traitsISL_E10value_typeET2_T3_PNSM_ISR_E10value_typeET4_jRbjT5_SX_jjP12ihipStream_tbEUlT_E1_NS1_11comp_targetILNS1_3genE5ELNS1_11target_archE942ELNS1_3gpuE9ELNS1_3repE0EEENS1_59segmented_radix_sort_warp_sort_small_config_static_selectorELNS0_4arch9wavefront6targetE0EEEvSL_.uses_vcc, 0
	.set _ZN7rocprim17ROCPRIM_400000_NS6detail17trampoline_kernelINS0_14default_configENS1_36segmented_radix_sort_config_selectorI12hip_bfloat16lEEZNS1_25segmented_radix_sort_implIS3_Lb0EPKS5_PS5_PKlPlN2at6native12_GLOBAL__N_18offset_tEEE10hipError_tPvRmT1_PNSt15iterator_traitsISL_E10value_typeET2_T3_PNSM_ISR_E10value_typeET4_jRbjT5_SX_jjP12ihipStream_tbEUlT_E1_NS1_11comp_targetILNS1_3genE5ELNS1_11target_archE942ELNS1_3gpuE9ELNS1_3repE0EEENS1_59segmented_radix_sort_warp_sort_small_config_static_selectorELNS0_4arch9wavefront6targetE0EEEvSL_.uses_flat_scratch, 0
	.set _ZN7rocprim17ROCPRIM_400000_NS6detail17trampoline_kernelINS0_14default_configENS1_36segmented_radix_sort_config_selectorI12hip_bfloat16lEEZNS1_25segmented_radix_sort_implIS3_Lb0EPKS5_PS5_PKlPlN2at6native12_GLOBAL__N_18offset_tEEE10hipError_tPvRmT1_PNSt15iterator_traitsISL_E10value_typeET2_T3_PNSM_ISR_E10value_typeET4_jRbjT5_SX_jjP12ihipStream_tbEUlT_E1_NS1_11comp_targetILNS1_3genE5ELNS1_11target_archE942ELNS1_3gpuE9ELNS1_3repE0EEENS1_59segmented_radix_sort_warp_sort_small_config_static_selectorELNS0_4arch9wavefront6targetE0EEEvSL_.has_dyn_sized_stack, 0
	.set _ZN7rocprim17ROCPRIM_400000_NS6detail17trampoline_kernelINS0_14default_configENS1_36segmented_radix_sort_config_selectorI12hip_bfloat16lEEZNS1_25segmented_radix_sort_implIS3_Lb0EPKS5_PS5_PKlPlN2at6native12_GLOBAL__N_18offset_tEEE10hipError_tPvRmT1_PNSt15iterator_traitsISL_E10value_typeET2_T3_PNSM_ISR_E10value_typeET4_jRbjT5_SX_jjP12ihipStream_tbEUlT_E1_NS1_11comp_targetILNS1_3genE5ELNS1_11target_archE942ELNS1_3gpuE9ELNS1_3repE0EEENS1_59segmented_radix_sort_warp_sort_small_config_static_selectorELNS0_4arch9wavefront6targetE0EEEvSL_.has_recursion, 0
	.set _ZN7rocprim17ROCPRIM_400000_NS6detail17trampoline_kernelINS0_14default_configENS1_36segmented_radix_sort_config_selectorI12hip_bfloat16lEEZNS1_25segmented_radix_sort_implIS3_Lb0EPKS5_PS5_PKlPlN2at6native12_GLOBAL__N_18offset_tEEE10hipError_tPvRmT1_PNSt15iterator_traitsISL_E10value_typeET2_T3_PNSM_ISR_E10value_typeET4_jRbjT5_SX_jjP12ihipStream_tbEUlT_E1_NS1_11comp_targetILNS1_3genE5ELNS1_11target_archE942ELNS1_3gpuE9ELNS1_3repE0EEENS1_59segmented_radix_sort_warp_sort_small_config_static_selectorELNS0_4arch9wavefront6targetE0EEEvSL_.has_indirect_call, 0
	.section	.AMDGPU.csdata,"",@progbits
; Kernel info:
; codeLenInByte = 0
; TotalNumSgprs: 0
; NumVgprs: 0
; ScratchSize: 0
; MemoryBound: 0
; FloatMode: 240
; IeeeMode: 1
; LDSByteSize: 0 bytes/workgroup (compile time only)
; SGPRBlocks: 0
; VGPRBlocks: 0
; NumSGPRsForWavesPerEU: 1
; NumVGPRsForWavesPerEU: 1
; NamedBarCnt: 0
; Occupancy: 16
; WaveLimiterHint : 0
; COMPUTE_PGM_RSRC2:SCRATCH_EN: 0
; COMPUTE_PGM_RSRC2:USER_SGPR: 2
; COMPUTE_PGM_RSRC2:TRAP_HANDLER: 0
; COMPUTE_PGM_RSRC2:TGID_X_EN: 1
; COMPUTE_PGM_RSRC2:TGID_Y_EN: 0
; COMPUTE_PGM_RSRC2:TGID_Z_EN: 0
; COMPUTE_PGM_RSRC2:TIDIG_COMP_CNT: 0
	.section	.text._ZN7rocprim17ROCPRIM_400000_NS6detail17trampoline_kernelINS0_14default_configENS1_36segmented_radix_sort_config_selectorI12hip_bfloat16lEEZNS1_25segmented_radix_sort_implIS3_Lb0EPKS5_PS5_PKlPlN2at6native12_GLOBAL__N_18offset_tEEE10hipError_tPvRmT1_PNSt15iterator_traitsISL_E10value_typeET2_T3_PNSM_ISR_E10value_typeET4_jRbjT5_SX_jjP12ihipStream_tbEUlT_E1_NS1_11comp_targetILNS1_3genE4ELNS1_11target_archE910ELNS1_3gpuE8ELNS1_3repE0EEENS1_59segmented_radix_sort_warp_sort_small_config_static_selectorELNS0_4arch9wavefront6targetE0EEEvSL_,"axG",@progbits,_ZN7rocprim17ROCPRIM_400000_NS6detail17trampoline_kernelINS0_14default_configENS1_36segmented_radix_sort_config_selectorI12hip_bfloat16lEEZNS1_25segmented_radix_sort_implIS3_Lb0EPKS5_PS5_PKlPlN2at6native12_GLOBAL__N_18offset_tEEE10hipError_tPvRmT1_PNSt15iterator_traitsISL_E10value_typeET2_T3_PNSM_ISR_E10value_typeET4_jRbjT5_SX_jjP12ihipStream_tbEUlT_E1_NS1_11comp_targetILNS1_3genE4ELNS1_11target_archE910ELNS1_3gpuE8ELNS1_3repE0EEENS1_59segmented_radix_sort_warp_sort_small_config_static_selectorELNS0_4arch9wavefront6targetE0EEEvSL_,comdat
	.globl	_ZN7rocprim17ROCPRIM_400000_NS6detail17trampoline_kernelINS0_14default_configENS1_36segmented_radix_sort_config_selectorI12hip_bfloat16lEEZNS1_25segmented_radix_sort_implIS3_Lb0EPKS5_PS5_PKlPlN2at6native12_GLOBAL__N_18offset_tEEE10hipError_tPvRmT1_PNSt15iterator_traitsISL_E10value_typeET2_T3_PNSM_ISR_E10value_typeET4_jRbjT5_SX_jjP12ihipStream_tbEUlT_E1_NS1_11comp_targetILNS1_3genE4ELNS1_11target_archE910ELNS1_3gpuE8ELNS1_3repE0EEENS1_59segmented_radix_sort_warp_sort_small_config_static_selectorELNS0_4arch9wavefront6targetE0EEEvSL_ ; -- Begin function _ZN7rocprim17ROCPRIM_400000_NS6detail17trampoline_kernelINS0_14default_configENS1_36segmented_radix_sort_config_selectorI12hip_bfloat16lEEZNS1_25segmented_radix_sort_implIS3_Lb0EPKS5_PS5_PKlPlN2at6native12_GLOBAL__N_18offset_tEEE10hipError_tPvRmT1_PNSt15iterator_traitsISL_E10value_typeET2_T3_PNSM_ISR_E10value_typeET4_jRbjT5_SX_jjP12ihipStream_tbEUlT_E1_NS1_11comp_targetILNS1_3genE4ELNS1_11target_archE910ELNS1_3gpuE8ELNS1_3repE0EEENS1_59segmented_radix_sort_warp_sort_small_config_static_selectorELNS0_4arch9wavefront6targetE0EEEvSL_
	.p2align	8
	.type	_ZN7rocprim17ROCPRIM_400000_NS6detail17trampoline_kernelINS0_14default_configENS1_36segmented_radix_sort_config_selectorI12hip_bfloat16lEEZNS1_25segmented_radix_sort_implIS3_Lb0EPKS5_PS5_PKlPlN2at6native12_GLOBAL__N_18offset_tEEE10hipError_tPvRmT1_PNSt15iterator_traitsISL_E10value_typeET2_T3_PNSM_ISR_E10value_typeET4_jRbjT5_SX_jjP12ihipStream_tbEUlT_E1_NS1_11comp_targetILNS1_3genE4ELNS1_11target_archE910ELNS1_3gpuE8ELNS1_3repE0EEENS1_59segmented_radix_sort_warp_sort_small_config_static_selectorELNS0_4arch9wavefront6targetE0EEEvSL_,@function
_ZN7rocprim17ROCPRIM_400000_NS6detail17trampoline_kernelINS0_14default_configENS1_36segmented_radix_sort_config_selectorI12hip_bfloat16lEEZNS1_25segmented_radix_sort_implIS3_Lb0EPKS5_PS5_PKlPlN2at6native12_GLOBAL__N_18offset_tEEE10hipError_tPvRmT1_PNSt15iterator_traitsISL_E10value_typeET2_T3_PNSM_ISR_E10value_typeET4_jRbjT5_SX_jjP12ihipStream_tbEUlT_E1_NS1_11comp_targetILNS1_3genE4ELNS1_11target_archE910ELNS1_3gpuE8ELNS1_3repE0EEENS1_59segmented_radix_sort_warp_sort_small_config_static_selectorELNS0_4arch9wavefront6targetE0EEEvSL_: ; @_ZN7rocprim17ROCPRIM_400000_NS6detail17trampoline_kernelINS0_14default_configENS1_36segmented_radix_sort_config_selectorI12hip_bfloat16lEEZNS1_25segmented_radix_sort_implIS3_Lb0EPKS5_PS5_PKlPlN2at6native12_GLOBAL__N_18offset_tEEE10hipError_tPvRmT1_PNSt15iterator_traitsISL_E10value_typeET2_T3_PNSM_ISR_E10value_typeET4_jRbjT5_SX_jjP12ihipStream_tbEUlT_E1_NS1_11comp_targetILNS1_3genE4ELNS1_11target_archE910ELNS1_3gpuE8ELNS1_3repE0EEENS1_59segmented_radix_sort_warp_sort_small_config_static_selectorELNS0_4arch9wavefront6targetE0EEEvSL_
; %bb.0:
	.section	.rodata,"a",@progbits
	.p2align	6, 0x0
	.amdhsa_kernel _ZN7rocprim17ROCPRIM_400000_NS6detail17trampoline_kernelINS0_14default_configENS1_36segmented_radix_sort_config_selectorI12hip_bfloat16lEEZNS1_25segmented_radix_sort_implIS3_Lb0EPKS5_PS5_PKlPlN2at6native12_GLOBAL__N_18offset_tEEE10hipError_tPvRmT1_PNSt15iterator_traitsISL_E10value_typeET2_T3_PNSM_ISR_E10value_typeET4_jRbjT5_SX_jjP12ihipStream_tbEUlT_E1_NS1_11comp_targetILNS1_3genE4ELNS1_11target_archE910ELNS1_3gpuE8ELNS1_3repE0EEENS1_59segmented_radix_sort_warp_sort_small_config_static_selectorELNS0_4arch9wavefront6targetE0EEEvSL_
		.amdhsa_group_segment_fixed_size 0
		.amdhsa_private_segment_fixed_size 0
		.amdhsa_kernarg_size 88
		.amdhsa_user_sgpr_count 2
		.amdhsa_user_sgpr_dispatch_ptr 0
		.amdhsa_user_sgpr_queue_ptr 0
		.amdhsa_user_sgpr_kernarg_segment_ptr 1
		.amdhsa_user_sgpr_dispatch_id 0
		.amdhsa_user_sgpr_kernarg_preload_length 0
		.amdhsa_user_sgpr_kernarg_preload_offset 0
		.amdhsa_user_sgpr_private_segment_size 0
		.amdhsa_wavefront_size32 1
		.amdhsa_uses_dynamic_stack 0
		.amdhsa_enable_private_segment 0
		.amdhsa_system_sgpr_workgroup_id_x 1
		.amdhsa_system_sgpr_workgroup_id_y 0
		.amdhsa_system_sgpr_workgroup_id_z 0
		.amdhsa_system_sgpr_workgroup_info 0
		.amdhsa_system_vgpr_workitem_id 0
		.amdhsa_next_free_vgpr 1
		.amdhsa_next_free_sgpr 1
		.amdhsa_named_barrier_count 0
		.amdhsa_reserve_vcc 0
		.amdhsa_float_round_mode_32 0
		.amdhsa_float_round_mode_16_64 0
		.amdhsa_float_denorm_mode_32 3
		.amdhsa_float_denorm_mode_16_64 3
		.amdhsa_fp16_overflow 0
		.amdhsa_memory_ordered 1
		.amdhsa_forward_progress 1
		.amdhsa_inst_pref_size 0
		.amdhsa_round_robin_scheduling 0
		.amdhsa_exception_fp_ieee_invalid_op 0
		.amdhsa_exception_fp_denorm_src 0
		.amdhsa_exception_fp_ieee_div_zero 0
		.amdhsa_exception_fp_ieee_overflow 0
		.amdhsa_exception_fp_ieee_underflow 0
		.amdhsa_exception_fp_ieee_inexact 0
		.amdhsa_exception_int_div_zero 0
	.end_amdhsa_kernel
	.section	.text._ZN7rocprim17ROCPRIM_400000_NS6detail17trampoline_kernelINS0_14default_configENS1_36segmented_radix_sort_config_selectorI12hip_bfloat16lEEZNS1_25segmented_radix_sort_implIS3_Lb0EPKS5_PS5_PKlPlN2at6native12_GLOBAL__N_18offset_tEEE10hipError_tPvRmT1_PNSt15iterator_traitsISL_E10value_typeET2_T3_PNSM_ISR_E10value_typeET4_jRbjT5_SX_jjP12ihipStream_tbEUlT_E1_NS1_11comp_targetILNS1_3genE4ELNS1_11target_archE910ELNS1_3gpuE8ELNS1_3repE0EEENS1_59segmented_radix_sort_warp_sort_small_config_static_selectorELNS0_4arch9wavefront6targetE0EEEvSL_,"axG",@progbits,_ZN7rocprim17ROCPRIM_400000_NS6detail17trampoline_kernelINS0_14default_configENS1_36segmented_radix_sort_config_selectorI12hip_bfloat16lEEZNS1_25segmented_radix_sort_implIS3_Lb0EPKS5_PS5_PKlPlN2at6native12_GLOBAL__N_18offset_tEEE10hipError_tPvRmT1_PNSt15iterator_traitsISL_E10value_typeET2_T3_PNSM_ISR_E10value_typeET4_jRbjT5_SX_jjP12ihipStream_tbEUlT_E1_NS1_11comp_targetILNS1_3genE4ELNS1_11target_archE910ELNS1_3gpuE8ELNS1_3repE0EEENS1_59segmented_radix_sort_warp_sort_small_config_static_selectorELNS0_4arch9wavefront6targetE0EEEvSL_,comdat
.Lfunc_end2062:
	.size	_ZN7rocprim17ROCPRIM_400000_NS6detail17trampoline_kernelINS0_14default_configENS1_36segmented_radix_sort_config_selectorI12hip_bfloat16lEEZNS1_25segmented_radix_sort_implIS3_Lb0EPKS5_PS5_PKlPlN2at6native12_GLOBAL__N_18offset_tEEE10hipError_tPvRmT1_PNSt15iterator_traitsISL_E10value_typeET2_T3_PNSM_ISR_E10value_typeET4_jRbjT5_SX_jjP12ihipStream_tbEUlT_E1_NS1_11comp_targetILNS1_3genE4ELNS1_11target_archE910ELNS1_3gpuE8ELNS1_3repE0EEENS1_59segmented_radix_sort_warp_sort_small_config_static_selectorELNS0_4arch9wavefront6targetE0EEEvSL_, .Lfunc_end2062-_ZN7rocprim17ROCPRIM_400000_NS6detail17trampoline_kernelINS0_14default_configENS1_36segmented_radix_sort_config_selectorI12hip_bfloat16lEEZNS1_25segmented_radix_sort_implIS3_Lb0EPKS5_PS5_PKlPlN2at6native12_GLOBAL__N_18offset_tEEE10hipError_tPvRmT1_PNSt15iterator_traitsISL_E10value_typeET2_T3_PNSM_ISR_E10value_typeET4_jRbjT5_SX_jjP12ihipStream_tbEUlT_E1_NS1_11comp_targetILNS1_3genE4ELNS1_11target_archE910ELNS1_3gpuE8ELNS1_3repE0EEENS1_59segmented_radix_sort_warp_sort_small_config_static_selectorELNS0_4arch9wavefront6targetE0EEEvSL_
                                        ; -- End function
	.set _ZN7rocprim17ROCPRIM_400000_NS6detail17trampoline_kernelINS0_14default_configENS1_36segmented_radix_sort_config_selectorI12hip_bfloat16lEEZNS1_25segmented_radix_sort_implIS3_Lb0EPKS5_PS5_PKlPlN2at6native12_GLOBAL__N_18offset_tEEE10hipError_tPvRmT1_PNSt15iterator_traitsISL_E10value_typeET2_T3_PNSM_ISR_E10value_typeET4_jRbjT5_SX_jjP12ihipStream_tbEUlT_E1_NS1_11comp_targetILNS1_3genE4ELNS1_11target_archE910ELNS1_3gpuE8ELNS1_3repE0EEENS1_59segmented_radix_sort_warp_sort_small_config_static_selectorELNS0_4arch9wavefront6targetE0EEEvSL_.num_vgpr, 0
	.set _ZN7rocprim17ROCPRIM_400000_NS6detail17trampoline_kernelINS0_14default_configENS1_36segmented_radix_sort_config_selectorI12hip_bfloat16lEEZNS1_25segmented_radix_sort_implIS3_Lb0EPKS5_PS5_PKlPlN2at6native12_GLOBAL__N_18offset_tEEE10hipError_tPvRmT1_PNSt15iterator_traitsISL_E10value_typeET2_T3_PNSM_ISR_E10value_typeET4_jRbjT5_SX_jjP12ihipStream_tbEUlT_E1_NS1_11comp_targetILNS1_3genE4ELNS1_11target_archE910ELNS1_3gpuE8ELNS1_3repE0EEENS1_59segmented_radix_sort_warp_sort_small_config_static_selectorELNS0_4arch9wavefront6targetE0EEEvSL_.num_agpr, 0
	.set _ZN7rocprim17ROCPRIM_400000_NS6detail17trampoline_kernelINS0_14default_configENS1_36segmented_radix_sort_config_selectorI12hip_bfloat16lEEZNS1_25segmented_radix_sort_implIS3_Lb0EPKS5_PS5_PKlPlN2at6native12_GLOBAL__N_18offset_tEEE10hipError_tPvRmT1_PNSt15iterator_traitsISL_E10value_typeET2_T3_PNSM_ISR_E10value_typeET4_jRbjT5_SX_jjP12ihipStream_tbEUlT_E1_NS1_11comp_targetILNS1_3genE4ELNS1_11target_archE910ELNS1_3gpuE8ELNS1_3repE0EEENS1_59segmented_radix_sort_warp_sort_small_config_static_selectorELNS0_4arch9wavefront6targetE0EEEvSL_.numbered_sgpr, 0
	.set _ZN7rocprim17ROCPRIM_400000_NS6detail17trampoline_kernelINS0_14default_configENS1_36segmented_radix_sort_config_selectorI12hip_bfloat16lEEZNS1_25segmented_radix_sort_implIS3_Lb0EPKS5_PS5_PKlPlN2at6native12_GLOBAL__N_18offset_tEEE10hipError_tPvRmT1_PNSt15iterator_traitsISL_E10value_typeET2_T3_PNSM_ISR_E10value_typeET4_jRbjT5_SX_jjP12ihipStream_tbEUlT_E1_NS1_11comp_targetILNS1_3genE4ELNS1_11target_archE910ELNS1_3gpuE8ELNS1_3repE0EEENS1_59segmented_radix_sort_warp_sort_small_config_static_selectorELNS0_4arch9wavefront6targetE0EEEvSL_.num_named_barrier, 0
	.set _ZN7rocprim17ROCPRIM_400000_NS6detail17trampoline_kernelINS0_14default_configENS1_36segmented_radix_sort_config_selectorI12hip_bfloat16lEEZNS1_25segmented_radix_sort_implIS3_Lb0EPKS5_PS5_PKlPlN2at6native12_GLOBAL__N_18offset_tEEE10hipError_tPvRmT1_PNSt15iterator_traitsISL_E10value_typeET2_T3_PNSM_ISR_E10value_typeET4_jRbjT5_SX_jjP12ihipStream_tbEUlT_E1_NS1_11comp_targetILNS1_3genE4ELNS1_11target_archE910ELNS1_3gpuE8ELNS1_3repE0EEENS1_59segmented_radix_sort_warp_sort_small_config_static_selectorELNS0_4arch9wavefront6targetE0EEEvSL_.private_seg_size, 0
	.set _ZN7rocprim17ROCPRIM_400000_NS6detail17trampoline_kernelINS0_14default_configENS1_36segmented_radix_sort_config_selectorI12hip_bfloat16lEEZNS1_25segmented_radix_sort_implIS3_Lb0EPKS5_PS5_PKlPlN2at6native12_GLOBAL__N_18offset_tEEE10hipError_tPvRmT1_PNSt15iterator_traitsISL_E10value_typeET2_T3_PNSM_ISR_E10value_typeET4_jRbjT5_SX_jjP12ihipStream_tbEUlT_E1_NS1_11comp_targetILNS1_3genE4ELNS1_11target_archE910ELNS1_3gpuE8ELNS1_3repE0EEENS1_59segmented_radix_sort_warp_sort_small_config_static_selectorELNS0_4arch9wavefront6targetE0EEEvSL_.uses_vcc, 0
	.set _ZN7rocprim17ROCPRIM_400000_NS6detail17trampoline_kernelINS0_14default_configENS1_36segmented_radix_sort_config_selectorI12hip_bfloat16lEEZNS1_25segmented_radix_sort_implIS3_Lb0EPKS5_PS5_PKlPlN2at6native12_GLOBAL__N_18offset_tEEE10hipError_tPvRmT1_PNSt15iterator_traitsISL_E10value_typeET2_T3_PNSM_ISR_E10value_typeET4_jRbjT5_SX_jjP12ihipStream_tbEUlT_E1_NS1_11comp_targetILNS1_3genE4ELNS1_11target_archE910ELNS1_3gpuE8ELNS1_3repE0EEENS1_59segmented_radix_sort_warp_sort_small_config_static_selectorELNS0_4arch9wavefront6targetE0EEEvSL_.uses_flat_scratch, 0
	.set _ZN7rocprim17ROCPRIM_400000_NS6detail17trampoline_kernelINS0_14default_configENS1_36segmented_radix_sort_config_selectorI12hip_bfloat16lEEZNS1_25segmented_radix_sort_implIS3_Lb0EPKS5_PS5_PKlPlN2at6native12_GLOBAL__N_18offset_tEEE10hipError_tPvRmT1_PNSt15iterator_traitsISL_E10value_typeET2_T3_PNSM_ISR_E10value_typeET4_jRbjT5_SX_jjP12ihipStream_tbEUlT_E1_NS1_11comp_targetILNS1_3genE4ELNS1_11target_archE910ELNS1_3gpuE8ELNS1_3repE0EEENS1_59segmented_radix_sort_warp_sort_small_config_static_selectorELNS0_4arch9wavefront6targetE0EEEvSL_.has_dyn_sized_stack, 0
	.set _ZN7rocprim17ROCPRIM_400000_NS6detail17trampoline_kernelINS0_14default_configENS1_36segmented_radix_sort_config_selectorI12hip_bfloat16lEEZNS1_25segmented_radix_sort_implIS3_Lb0EPKS5_PS5_PKlPlN2at6native12_GLOBAL__N_18offset_tEEE10hipError_tPvRmT1_PNSt15iterator_traitsISL_E10value_typeET2_T3_PNSM_ISR_E10value_typeET4_jRbjT5_SX_jjP12ihipStream_tbEUlT_E1_NS1_11comp_targetILNS1_3genE4ELNS1_11target_archE910ELNS1_3gpuE8ELNS1_3repE0EEENS1_59segmented_radix_sort_warp_sort_small_config_static_selectorELNS0_4arch9wavefront6targetE0EEEvSL_.has_recursion, 0
	.set _ZN7rocprim17ROCPRIM_400000_NS6detail17trampoline_kernelINS0_14default_configENS1_36segmented_radix_sort_config_selectorI12hip_bfloat16lEEZNS1_25segmented_radix_sort_implIS3_Lb0EPKS5_PS5_PKlPlN2at6native12_GLOBAL__N_18offset_tEEE10hipError_tPvRmT1_PNSt15iterator_traitsISL_E10value_typeET2_T3_PNSM_ISR_E10value_typeET4_jRbjT5_SX_jjP12ihipStream_tbEUlT_E1_NS1_11comp_targetILNS1_3genE4ELNS1_11target_archE910ELNS1_3gpuE8ELNS1_3repE0EEENS1_59segmented_radix_sort_warp_sort_small_config_static_selectorELNS0_4arch9wavefront6targetE0EEEvSL_.has_indirect_call, 0
	.section	.AMDGPU.csdata,"",@progbits
; Kernel info:
; codeLenInByte = 0
; TotalNumSgprs: 0
; NumVgprs: 0
; ScratchSize: 0
; MemoryBound: 0
; FloatMode: 240
; IeeeMode: 1
; LDSByteSize: 0 bytes/workgroup (compile time only)
; SGPRBlocks: 0
; VGPRBlocks: 0
; NumSGPRsForWavesPerEU: 1
; NumVGPRsForWavesPerEU: 1
; NamedBarCnt: 0
; Occupancy: 16
; WaveLimiterHint : 0
; COMPUTE_PGM_RSRC2:SCRATCH_EN: 0
; COMPUTE_PGM_RSRC2:USER_SGPR: 2
; COMPUTE_PGM_RSRC2:TRAP_HANDLER: 0
; COMPUTE_PGM_RSRC2:TGID_X_EN: 1
; COMPUTE_PGM_RSRC2:TGID_Y_EN: 0
; COMPUTE_PGM_RSRC2:TGID_Z_EN: 0
; COMPUTE_PGM_RSRC2:TIDIG_COMP_CNT: 0
	.section	.text._ZN7rocprim17ROCPRIM_400000_NS6detail17trampoline_kernelINS0_14default_configENS1_36segmented_radix_sort_config_selectorI12hip_bfloat16lEEZNS1_25segmented_radix_sort_implIS3_Lb0EPKS5_PS5_PKlPlN2at6native12_GLOBAL__N_18offset_tEEE10hipError_tPvRmT1_PNSt15iterator_traitsISL_E10value_typeET2_T3_PNSM_ISR_E10value_typeET4_jRbjT5_SX_jjP12ihipStream_tbEUlT_E1_NS1_11comp_targetILNS1_3genE3ELNS1_11target_archE908ELNS1_3gpuE7ELNS1_3repE0EEENS1_59segmented_radix_sort_warp_sort_small_config_static_selectorELNS0_4arch9wavefront6targetE0EEEvSL_,"axG",@progbits,_ZN7rocprim17ROCPRIM_400000_NS6detail17trampoline_kernelINS0_14default_configENS1_36segmented_radix_sort_config_selectorI12hip_bfloat16lEEZNS1_25segmented_radix_sort_implIS3_Lb0EPKS5_PS5_PKlPlN2at6native12_GLOBAL__N_18offset_tEEE10hipError_tPvRmT1_PNSt15iterator_traitsISL_E10value_typeET2_T3_PNSM_ISR_E10value_typeET4_jRbjT5_SX_jjP12ihipStream_tbEUlT_E1_NS1_11comp_targetILNS1_3genE3ELNS1_11target_archE908ELNS1_3gpuE7ELNS1_3repE0EEENS1_59segmented_radix_sort_warp_sort_small_config_static_selectorELNS0_4arch9wavefront6targetE0EEEvSL_,comdat
	.globl	_ZN7rocprim17ROCPRIM_400000_NS6detail17trampoline_kernelINS0_14default_configENS1_36segmented_radix_sort_config_selectorI12hip_bfloat16lEEZNS1_25segmented_radix_sort_implIS3_Lb0EPKS5_PS5_PKlPlN2at6native12_GLOBAL__N_18offset_tEEE10hipError_tPvRmT1_PNSt15iterator_traitsISL_E10value_typeET2_T3_PNSM_ISR_E10value_typeET4_jRbjT5_SX_jjP12ihipStream_tbEUlT_E1_NS1_11comp_targetILNS1_3genE3ELNS1_11target_archE908ELNS1_3gpuE7ELNS1_3repE0EEENS1_59segmented_radix_sort_warp_sort_small_config_static_selectorELNS0_4arch9wavefront6targetE0EEEvSL_ ; -- Begin function _ZN7rocprim17ROCPRIM_400000_NS6detail17trampoline_kernelINS0_14default_configENS1_36segmented_radix_sort_config_selectorI12hip_bfloat16lEEZNS1_25segmented_radix_sort_implIS3_Lb0EPKS5_PS5_PKlPlN2at6native12_GLOBAL__N_18offset_tEEE10hipError_tPvRmT1_PNSt15iterator_traitsISL_E10value_typeET2_T3_PNSM_ISR_E10value_typeET4_jRbjT5_SX_jjP12ihipStream_tbEUlT_E1_NS1_11comp_targetILNS1_3genE3ELNS1_11target_archE908ELNS1_3gpuE7ELNS1_3repE0EEENS1_59segmented_radix_sort_warp_sort_small_config_static_selectorELNS0_4arch9wavefront6targetE0EEEvSL_
	.p2align	8
	.type	_ZN7rocprim17ROCPRIM_400000_NS6detail17trampoline_kernelINS0_14default_configENS1_36segmented_radix_sort_config_selectorI12hip_bfloat16lEEZNS1_25segmented_radix_sort_implIS3_Lb0EPKS5_PS5_PKlPlN2at6native12_GLOBAL__N_18offset_tEEE10hipError_tPvRmT1_PNSt15iterator_traitsISL_E10value_typeET2_T3_PNSM_ISR_E10value_typeET4_jRbjT5_SX_jjP12ihipStream_tbEUlT_E1_NS1_11comp_targetILNS1_3genE3ELNS1_11target_archE908ELNS1_3gpuE7ELNS1_3repE0EEENS1_59segmented_radix_sort_warp_sort_small_config_static_selectorELNS0_4arch9wavefront6targetE0EEEvSL_,@function
_ZN7rocprim17ROCPRIM_400000_NS6detail17trampoline_kernelINS0_14default_configENS1_36segmented_radix_sort_config_selectorI12hip_bfloat16lEEZNS1_25segmented_radix_sort_implIS3_Lb0EPKS5_PS5_PKlPlN2at6native12_GLOBAL__N_18offset_tEEE10hipError_tPvRmT1_PNSt15iterator_traitsISL_E10value_typeET2_T3_PNSM_ISR_E10value_typeET4_jRbjT5_SX_jjP12ihipStream_tbEUlT_E1_NS1_11comp_targetILNS1_3genE3ELNS1_11target_archE908ELNS1_3gpuE7ELNS1_3repE0EEENS1_59segmented_radix_sort_warp_sort_small_config_static_selectorELNS0_4arch9wavefront6targetE0EEEvSL_: ; @_ZN7rocprim17ROCPRIM_400000_NS6detail17trampoline_kernelINS0_14default_configENS1_36segmented_radix_sort_config_selectorI12hip_bfloat16lEEZNS1_25segmented_radix_sort_implIS3_Lb0EPKS5_PS5_PKlPlN2at6native12_GLOBAL__N_18offset_tEEE10hipError_tPvRmT1_PNSt15iterator_traitsISL_E10value_typeET2_T3_PNSM_ISR_E10value_typeET4_jRbjT5_SX_jjP12ihipStream_tbEUlT_E1_NS1_11comp_targetILNS1_3genE3ELNS1_11target_archE908ELNS1_3gpuE7ELNS1_3repE0EEENS1_59segmented_radix_sort_warp_sort_small_config_static_selectorELNS0_4arch9wavefront6targetE0EEEvSL_
; %bb.0:
	.section	.rodata,"a",@progbits
	.p2align	6, 0x0
	.amdhsa_kernel _ZN7rocprim17ROCPRIM_400000_NS6detail17trampoline_kernelINS0_14default_configENS1_36segmented_radix_sort_config_selectorI12hip_bfloat16lEEZNS1_25segmented_radix_sort_implIS3_Lb0EPKS5_PS5_PKlPlN2at6native12_GLOBAL__N_18offset_tEEE10hipError_tPvRmT1_PNSt15iterator_traitsISL_E10value_typeET2_T3_PNSM_ISR_E10value_typeET4_jRbjT5_SX_jjP12ihipStream_tbEUlT_E1_NS1_11comp_targetILNS1_3genE3ELNS1_11target_archE908ELNS1_3gpuE7ELNS1_3repE0EEENS1_59segmented_radix_sort_warp_sort_small_config_static_selectorELNS0_4arch9wavefront6targetE0EEEvSL_
		.amdhsa_group_segment_fixed_size 0
		.amdhsa_private_segment_fixed_size 0
		.amdhsa_kernarg_size 88
		.amdhsa_user_sgpr_count 2
		.amdhsa_user_sgpr_dispatch_ptr 0
		.amdhsa_user_sgpr_queue_ptr 0
		.amdhsa_user_sgpr_kernarg_segment_ptr 1
		.amdhsa_user_sgpr_dispatch_id 0
		.amdhsa_user_sgpr_kernarg_preload_length 0
		.amdhsa_user_sgpr_kernarg_preload_offset 0
		.amdhsa_user_sgpr_private_segment_size 0
		.amdhsa_wavefront_size32 1
		.amdhsa_uses_dynamic_stack 0
		.amdhsa_enable_private_segment 0
		.amdhsa_system_sgpr_workgroup_id_x 1
		.amdhsa_system_sgpr_workgroup_id_y 0
		.amdhsa_system_sgpr_workgroup_id_z 0
		.amdhsa_system_sgpr_workgroup_info 0
		.amdhsa_system_vgpr_workitem_id 0
		.amdhsa_next_free_vgpr 1
		.amdhsa_next_free_sgpr 1
		.amdhsa_named_barrier_count 0
		.amdhsa_reserve_vcc 0
		.amdhsa_float_round_mode_32 0
		.amdhsa_float_round_mode_16_64 0
		.amdhsa_float_denorm_mode_32 3
		.amdhsa_float_denorm_mode_16_64 3
		.amdhsa_fp16_overflow 0
		.amdhsa_memory_ordered 1
		.amdhsa_forward_progress 1
		.amdhsa_inst_pref_size 0
		.amdhsa_round_robin_scheduling 0
		.amdhsa_exception_fp_ieee_invalid_op 0
		.amdhsa_exception_fp_denorm_src 0
		.amdhsa_exception_fp_ieee_div_zero 0
		.amdhsa_exception_fp_ieee_overflow 0
		.amdhsa_exception_fp_ieee_underflow 0
		.amdhsa_exception_fp_ieee_inexact 0
		.amdhsa_exception_int_div_zero 0
	.end_amdhsa_kernel
	.section	.text._ZN7rocprim17ROCPRIM_400000_NS6detail17trampoline_kernelINS0_14default_configENS1_36segmented_radix_sort_config_selectorI12hip_bfloat16lEEZNS1_25segmented_radix_sort_implIS3_Lb0EPKS5_PS5_PKlPlN2at6native12_GLOBAL__N_18offset_tEEE10hipError_tPvRmT1_PNSt15iterator_traitsISL_E10value_typeET2_T3_PNSM_ISR_E10value_typeET4_jRbjT5_SX_jjP12ihipStream_tbEUlT_E1_NS1_11comp_targetILNS1_3genE3ELNS1_11target_archE908ELNS1_3gpuE7ELNS1_3repE0EEENS1_59segmented_radix_sort_warp_sort_small_config_static_selectorELNS0_4arch9wavefront6targetE0EEEvSL_,"axG",@progbits,_ZN7rocprim17ROCPRIM_400000_NS6detail17trampoline_kernelINS0_14default_configENS1_36segmented_radix_sort_config_selectorI12hip_bfloat16lEEZNS1_25segmented_radix_sort_implIS3_Lb0EPKS5_PS5_PKlPlN2at6native12_GLOBAL__N_18offset_tEEE10hipError_tPvRmT1_PNSt15iterator_traitsISL_E10value_typeET2_T3_PNSM_ISR_E10value_typeET4_jRbjT5_SX_jjP12ihipStream_tbEUlT_E1_NS1_11comp_targetILNS1_3genE3ELNS1_11target_archE908ELNS1_3gpuE7ELNS1_3repE0EEENS1_59segmented_radix_sort_warp_sort_small_config_static_selectorELNS0_4arch9wavefront6targetE0EEEvSL_,comdat
.Lfunc_end2063:
	.size	_ZN7rocprim17ROCPRIM_400000_NS6detail17trampoline_kernelINS0_14default_configENS1_36segmented_radix_sort_config_selectorI12hip_bfloat16lEEZNS1_25segmented_radix_sort_implIS3_Lb0EPKS5_PS5_PKlPlN2at6native12_GLOBAL__N_18offset_tEEE10hipError_tPvRmT1_PNSt15iterator_traitsISL_E10value_typeET2_T3_PNSM_ISR_E10value_typeET4_jRbjT5_SX_jjP12ihipStream_tbEUlT_E1_NS1_11comp_targetILNS1_3genE3ELNS1_11target_archE908ELNS1_3gpuE7ELNS1_3repE0EEENS1_59segmented_radix_sort_warp_sort_small_config_static_selectorELNS0_4arch9wavefront6targetE0EEEvSL_, .Lfunc_end2063-_ZN7rocprim17ROCPRIM_400000_NS6detail17trampoline_kernelINS0_14default_configENS1_36segmented_radix_sort_config_selectorI12hip_bfloat16lEEZNS1_25segmented_radix_sort_implIS3_Lb0EPKS5_PS5_PKlPlN2at6native12_GLOBAL__N_18offset_tEEE10hipError_tPvRmT1_PNSt15iterator_traitsISL_E10value_typeET2_T3_PNSM_ISR_E10value_typeET4_jRbjT5_SX_jjP12ihipStream_tbEUlT_E1_NS1_11comp_targetILNS1_3genE3ELNS1_11target_archE908ELNS1_3gpuE7ELNS1_3repE0EEENS1_59segmented_radix_sort_warp_sort_small_config_static_selectorELNS0_4arch9wavefront6targetE0EEEvSL_
                                        ; -- End function
	.set _ZN7rocprim17ROCPRIM_400000_NS6detail17trampoline_kernelINS0_14default_configENS1_36segmented_radix_sort_config_selectorI12hip_bfloat16lEEZNS1_25segmented_radix_sort_implIS3_Lb0EPKS5_PS5_PKlPlN2at6native12_GLOBAL__N_18offset_tEEE10hipError_tPvRmT1_PNSt15iterator_traitsISL_E10value_typeET2_T3_PNSM_ISR_E10value_typeET4_jRbjT5_SX_jjP12ihipStream_tbEUlT_E1_NS1_11comp_targetILNS1_3genE3ELNS1_11target_archE908ELNS1_3gpuE7ELNS1_3repE0EEENS1_59segmented_radix_sort_warp_sort_small_config_static_selectorELNS0_4arch9wavefront6targetE0EEEvSL_.num_vgpr, 0
	.set _ZN7rocprim17ROCPRIM_400000_NS6detail17trampoline_kernelINS0_14default_configENS1_36segmented_radix_sort_config_selectorI12hip_bfloat16lEEZNS1_25segmented_radix_sort_implIS3_Lb0EPKS5_PS5_PKlPlN2at6native12_GLOBAL__N_18offset_tEEE10hipError_tPvRmT1_PNSt15iterator_traitsISL_E10value_typeET2_T3_PNSM_ISR_E10value_typeET4_jRbjT5_SX_jjP12ihipStream_tbEUlT_E1_NS1_11comp_targetILNS1_3genE3ELNS1_11target_archE908ELNS1_3gpuE7ELNS1_3repE0EEENS1_59segmented_radix_sort_warp_sort_small_config_static_selectorELNS0_4arch9wavefront6targetE0EEEvSL_.num_agpr, 0
	.set _ZN7rocprim17ROCPRIM_400000_NS6detail17trampoline_kernelINS0_14default_configENS1_36segmented_radix_sort_config_selectorI12hip_bfloat16lEEZNS1_25segmented_radix_sort_implIS3_Lb0EPKS5_PS5_PKlPlN2at6native12_GLOBAL__N_18offset_tEEE10hipError_tPvRmT1_PNSt15iterator_traitsISL_E10value_typeET2_T3_PNSM_ISR_E10value_typeET4_jRbjT5_SX_jjP12ihipStream_tbEUlT_E1_NS1_11comp_targetILNS1_3genE3ELNS1_11target_archE908ELNS1_3gpuE7ELNS1_3repE0EEENS1_59segmented_radix_sort_warp_sort_small_config_static_selectorELNS0_4arch9wavefront6targetE0EEEvSL_.numbered_sgpr, 0
	.set _ZN7rocprim17ROCPRIM_400000_NS6detail17trampoline_kernelINS0_14default_configENS1_36segmented_radix_sort_config_selectorI12hip_bfloat16lEEZNS1_25segmented_radix_sort_implIS3_Lb0EPKS5_PS5_PKlPlN2at6native12_GLOBAL__N_18offset_tEEE10hipError_tPvRmT1_PNSt15iterator_traitsISL_E10value_typeET2_T3_PNSM_ISR_E10value_typeET4_jRbjT5_SX_jjP12ihipStream_tbEUlT_E1_NS1_11comp_targetILNS1_3genE3ELNS1_11target_archE908ELNS1_3gpuE7ELNS1_3repE0EEENS1_59segmented_radix_sort_warp_sort_small_config_static_selectorELNS0_4arch9wavefront6targetE0EEEvSL_.num_named_barrier, 0
	.set _ZN7rocprim17ROCPRIM_400000_NS6detail17trampoline_kernelINS0_14default_configENS1_36segmented_radix_sort_config_selectorI12hip_bfloat16lEEZNS1_25segmented_radix_sort_implIS3_Lb0EPKS5_PS5_PKlPlN2at6native12_GLOBAL__N_18offset_tEEE10hipError_tPvRmT1_PNSt15iterator_traitsISL_E10value_typeET2_T3_PNSM_ISR_E10value_typeET4_jRbjT5_SX_jjP12ihipStream_tbEUlT_E1_NS1_11comp_targetILNS1_3genE3ELNS1_11target_archE908ELNS1_3gpuE7ELNS1_3repE0EEENS1_59segmented_radix_sort_warp_sort_small_config_static_selectorELNS0_4arch9wavefront6targetE0EEEvSL_.private_seg_size, 0
	.set _ZN7rocprim17ROCPRIM_400000_NS6detail17trampoline_kernelINS0_14default_configENS1_36segmented_radix_sort_config_selectorI12hip_bfloat16lEEZNS1_25segmented_radix_sort_implIS3_Lb0EPKS5_PS5_PKlPlN2at6native12_GLOBAL__N_18offset_tEEE10hipError_tPvRmT1_PNSt15iterator_traitsISL_E10value_typeET2_T3_PNSM_ISR_E10value_typeET4_jRbjT5_SX_jjP12ihipStream_tbEUlT_E1_NS1_11comp_targetILNS1_3genE3ELNS1_11target_archE908ELNS1_3gpuE7ELNS1_3repE0EEENS1_59segmented_radix_sort_warp_sort_small_config_static_selectorELNS0_4arch9wavefront6targetE0EEEvSL_.uses_vcc, 0
	.set _ZN7rocprim17ROCPRIM_400000_NS6detail17trampoline_kernelINS0_14default_configENS1_36segmented_radix_sort_config_selectorI12hip_bfloat16lEEZNS1_25segmented_radix_sort_implIS3_Lb0EPKS5_PS5_PKlPlN2at6native12_GLOBAL__N_18offset_tEEE10hipError_tPvRmT1_PNSt15iterator_traitsISL_E10value_typeET2_T3_PNSM_ISR_E10value_typeET4_jRbjT5_SX_jjP12ihipStream_tbEUlT_E1_NS1_11comp_targetILNS1_3genE3ELNS1_11target_archE908ELNS1_3gpuE7ELNS1_3repE0EEENS1_59segmented_radix_sort_warp_sort_small_config_static_selectorELNS0_4arch9wavefront6targetE0EEEvSL_.uses_flat_scratch, 0
	.set _ZN7rocprim17ROCPRIM_400000_NS6detail17trampoline_kernelINS0_14default_configENS1_36segmented_radix_sort_config_selectorI12hip_bfloat16lEEZNS1_25segmented_radix_sort_implIS3_Lb0EPKS5_PS5_PKlPlN2at6native12_GLOBAL__N_18offset_tEEE10hipError_tPvRmT1_PNSt15iterator_traitsISL_E10value_typeET2_T3_PNSM_ISR_E10value_typeET4_jRbjT5_SX_jjP12ihipStream_tbEUlT_E1_NS1_11comp_targetILNS1_3genE3ELNS1_11target_archE908ELNS1_3gpuE7ELNS1_3repE0EEENS1_59segmented_radix_sort_warp_sort_small_config_static_selectorELNS0_4arch9wavefront6targetE0EEEvSL_.has_dyn_sized_stack, 0
	.set _ZN7rocprim17ROCPRIM_400000_NS6detail17trampoline_kernelINS0_14default_configENS1_36segmented_radix_sort_config_selectorI12hip_bfloat16lEEZNS1_25segmented_radix_sort_implIS3_Lb0EPKS5_PS5_PKlPlN2at6native12_GLOBAL__N_18offset_tEEE10hipError_tPvRmT1_PNSt15iterator_traitsISL_E10value_typeET2_T3_PNSM_ISR_E10value_typeET4_jRbjT5_SX_jjP12ihipStream_tbEUlT_E1_NS1_11comp_targetILNS1_3genE3ELNS1_11target_archE908ELNS1_3gpuE7ELNS1_3repE0EEENS1_59segmented_radix_sort_warp_sort_small_config_static_selectorELNS0_4arch9wavefront6targetE0EEEvSL_.has_recursion, 0
	.set _ZN7rocprim17ROCPRIM_400000_NS6detail17trampoline_kernelINS0_14default_configENS1_36segmented_radix_sort_config_selectorI12hip_bfloat16lEEZNS1_25segmented_radix_sort_implIS3_Lb0EPKS5_PS5_PKlPlN2at6native12_GLOBAL__N_18offset_tEEE10hipError_tPvRmT1_PNSt15iterator_traitsISL_E10value_typeET2_T3_PNSM_ISR_E10value_typeET4_jRbjT5_SX_jjP12ihipStream_tbEUlT_E1_NS1_11comp_targetILNS1_3genE3ELNS1_11target_archE908ELNS1_3gpuE7ELNS1_3repE0EEENS1_59segmented_radix_sort_warp_sort_small_config_static_selectorELNS0_4arch9wavefront6targetE0EEEvSL_.has_indirect_call, 0
	.section	.AMDGPU.csdata,"",@progbits
; Kernel info:
; codeLenInByte = 0
; TotalNumSgprs: 0
; NumVgprs: 0
; ScratchSize: 0
; MemoryBound: 0
; FloatMode: 240
; IeeeMode: 1
; LDSByteSize: 0 bytes/workgroup (compile time only)
; SGPRBlocks: 0
; VGPRBlocks: 0
; NumSGPRsForWavesPerEU: 1
; NumVGPRsForWavesPerEU: 1
; NamedBarCnt: 0
; Occupancy: 16
; WaveLimiterHint : 0
; COMPUTE_PGM_RSRC2:SCRATCH_EN: 0
; COMPUTE_PGM_RSRC2:USER_SGPR: 2
; COMPUTE_PGM_RSRC2:TRAP_HANDLER: 0
; COMPUTE_PGM_RSRC2:TGID_X_EN: 1
; COMPUTE_PGM_RSRC2:TGID_Y_EN: 0
; COMPUTE_PGM_RSRC2:TGID_Z_EN: 0
; COMPUTE_PGM_RSRC2:TIDIG_COMP_CNT: 0
	.section	.text._ZN7rocprim17ROCPRIM_400000_NS6detail17trampoline_kernelINS0_14default_configENS1_36segmented_radix_sort_config_selectorI12hip_bfloat16lEEZNS1_25segmented_radix_sort_implIS3_Lb0EPKS5_PS5_PKlPlN2at6native12_GLOBAL__N_18offset_tEEE10hipError_tPvRmT1_PNSt15iterator_traitsISL_E10value_typeET2_T3_PNSM_ISR_E10value_typeET4_jRbjT5_SX_jjP12ihipStream_tbEUlT_E1_NS1_11comp_targetILNS1_3genE2ELNS1_11target_archE906ELNS1_3gpuE6ELNS1_3repE0EEENS1_59segmented_radix_sort_warp_sort_small_config_static_selectorELNS0_4arch9wavefront6targetE0EEEvSL_,"axG",@progbits,_ZN7rocprim17ROCPRIM_400000_NS6detail17trampoline_kernelINS0_14default_configENS1_36segmented_radix_sort_config_selectorI12hip_bfloat16lEEZNS1_25segmented_radix_sort_implIS3_Lb0EPKS5_PS5_PKlPlN2at6native12_GLOBAL__N_18offset_tEEE10hipError_tPvRmT1_PNSt15iterator_traitsISL_E10value_typeET2_T3_PNSM_ISR_E10value_typeET4_jRbjT5_SX_jjP12ihipStream_tbEUlT_E1_NS1_11comp_targetILNS1_3genE2ELNS1_11target_archE906ELNS1_3gpuE6ELNS1_3repE0EEENS1_59segmented_radix_sort_warp_sort_small_config_static_selectorELNS0_4arch9wavefront6targetE0EEEvSL_,comdat
	.globl	_ZN7rocprim17ROCPRIM_400000_NS6detail17trampoline_kernelINS0_14default_configENS1_36segmented_radix_sort_config_selectorI12hip_bfloat16lEEZNS1_25segmented_radix_sort_implIS3_Lb0EPKS5_PS5_PKlPlN2at6native12_GLOBAL__N_18offset_tEEE10hipError_tPvRmT1_PNSt15iterator_traitsISL_E10value_typeET2_T3_PNSM_ISR_E10value_typeET4_jRbjT5_SX_jjP12ihipStream_tbEUlT_E1_NS1_11comp_targetILNS1_3genE2ELNS1_11target_archE906ELNS1_3gpuE6ELNS1_3repE0EEENS1_59segmented_radix_sort_warp_sort_small_config_static_selectorELNS0_4arch9wavefront6targetE0EEEvSL_ ; -- Begin function _ZN7rocprim17ROCPRIM_400000_NS6detail17trampoline_kernelINS0_14default_configENS1_36segmented_radix_sort_config_selectorI12hip_bfloat16lEEZNS1_25segmented_radix_sort_implIS3_Lb0EPKS5_PS5_PKlPlN2at6native12_GLOBAL__N_18offset_tEEE10hipError_tPvRmT1_PNSt15iterator_traitsISL_E10value_typeET2_T3_PNSM_ISR_E10value_typeET4_jRbjT5_SX_jjP12ihipStream_tbEUlT_E1_NS1_11comp_targetILNS1_3genE2ELNS1_11target_archE906ELNS1_3gpuE6ELNS1_3repE0EEENS1_59segmented_radix_sort_warp_sort_small_config_static_selectorELNS0_4arch9wavefront6targetE0EEEvSL_
	.p2align	8
	.type	_ZN7rocprim17ROCPRIM_400000_NS6detail17trampoline_kernelINS0_14default_configENS1_36segmented_radix_sort_config_selectorI12hip_bfloat16lEEZNS1_25segmented_radix_sort_implIS3_Lb0EPKS5_PS5_PKlPlN2at6native12_GLOBAL__N_18offset_tEEE10hipError_tPvRmT1_PNSt15iterator_traitsISL_E10value_typeET2_T3_PNSM_ISR_E10value_typeET4_jRbjT5_SX_jjP12ihipStream_tbEUlT_E1_NS1_11comp_targetILNS1_3genE2ELNS1_11target_archE906ELNS1_3gpuE6ELNS1_3repE0EEENS1_59segmented_radix_sort_warp_sort_small_config_static_selectorELNS0_4arch9wavefront6targetE0EEEvSL_,@function
_ZN7rocprim17ROCPRIM_400000_NS6detail17trampoline_kernelINS0_14default_configENS1_36segmented_radix_sort_config_selectorI12hip_bfloat16lEEZNS1_25segmented_radix_sort_implIS3_Lb0EPKS5_PS5_PKlPlN2at6native12_GLOBAL__N_18offset_tEEE10hipError_tPvRmT1_PNSt15iterator_traitsISL_E10value_typeET2_T3_PNSM_ISR_E10value_typeET4_jRbjT5_SX_jjP12ihipStream_tbEUlT_E1_NS1_11comp_targetILNS1_3genE2ELNS1_11target_archE906ELNS1_3gpuE6ELNS1_3repE0EEENS1_59segmented_radix_sort_warp_sort_small_config_static_selectorELNS0_4arch9wavefront6targetE0EEEvSL_: ; @_ZN7rocprim17ROCPRIM_400000_NS6detail17trampoline_kernelINS0_14default_configENS1_36segmented_radix_sort_config_selectorI12hip_bfloat16lEEZNS1_25segmented_radix_sort_implIS3_Lb0EPKS5_PS5_PKlPlN2at6native12_GLOBAL__N_18offset_tEEE10hipError_tPvRmT1_PNSt15iterator_traitsISL_E10value_typeET2_T3_PNSM_ISR_E10value_typeET4_jRbjT5_SX_jjP12ihipStream_tbEUlT_E1_NS1_11comp_targetILNS1_3genE2ELNS1_11target_archE906ELNS1_3gpuE6ELNS1_3repE0EEENS1_59segmented_radix_sort_warp_sort_small_config_static_selectorELNS0_4arch9wavefront6targetE0EEEvSL_
; %bb.0:
	.section	.rodata,"a",@progbits
	.p2align	6, 0x0
	.amdhsa_kernel _ZN7rocprim17ROCPRIM_400000_NS6detail17trampoline_kernelINS0_14default_configENS1_36segmented_radix_sort_config_selectorI12hip_bfloat16lEEZNS1_25segmented_radix_sort_implIS3_Lb0EPKS5_PS5_PKlPlN2at6native12_GLOBAL__N_18offset_tEEE10hipError_tPvRmT1_PNSt15iterator_traitsISL_E10value_typeET2_T3_PNSM_ISR_E10value_typeET4_jRbjT5_SX_jjP12ihipStream_tbEUlT_E1_NS1_11comp_targetILNS1_3genE2ELNS1_11target_archE906ELNS1_3gpuE6ELNS1_3repE0EEENS1_59segmented_radix_sort_warp_sort_small_config_static_selectorELNS0_4arch9wavefront6targetE0EEEvSL_
		.amdhsa_group_segment_fixed_size 0
		.amdhsa_private_segment_fixed_size 0
		.amdhsa_kernarg_size 88
		.amdhsa_user_sgpr_count 2
		.amdhsa_user_sgpr_dispatch_ptr 0
		.amdhsa_user_sgpr_queue_ptr 0
		.amdhsa_user_sgpr_kernarg_segment_ptr 1
		.amdhsa_user_sgpr_dispatch_id 0
		.amdhsa_user_sgpr_kernarg_preload_length 0
		.amdhsa_user_sgpr_kernarg_preload_offset 0
		.amdhsa_user_sgpr_private_segment_size 0
		.amdhsa_wavefront_size32 1
		.amdhsa_uses_dynamic_stack 0
		.amdhsa_enable_private_segment 0
		.amdhsa_system_sgpr_workgroup_id_x 1
		.amdhsa_system_sgpr_workgroup_id_y 0
		.amdhsa_system_sgpr_workgroup_id_z 0
		.amdhsa_system_sgpr_workgroup_info 0
		.amdhsa_system_vgpr_workitem_id 0
		.amdhsa_next_free_vgpr 1
		.amdhsa_next_free_sgpr 1
		.amdhsa_named_barrier_count 0
		.amdhsa_reserve_vcc 0
		.amdhsa_float_round_mode_32 0
		.amdhsa_float_round_mode_16_64 0
		.amdhsa_float_denorm_mode_32 3
		.amdhsa_float_denorm_mode_16_64 3
		.amdhsa_fp16_overflow 0
		.amdhsa_memory_ordered 1
		.amdhsa_forward_progress 1
		.amdhsa_inst_pref_size 0
		.amdhsa_round_robin_scheduling 0
		.amdhsa_exception_fp_ieee_invalid_op 0
		.amdhsa_exception_fp_denorm_src 0
		.amdhsa_exception_fp_ieee_div_zero 0
		.amdhsa_exception_fp_ieee_overflow 0
		.amdhsa_exception_fp_ieee_underflow 0
		.amdhsa_exception_fp_ieee_inexact 0
		.amdhsa_exception_int_div_zero 0
	.end_amdhsa_kernel
	.section	.text._ZN7rocprim17ROCPRIM_400000_NS6detail17trampoline_kernelINS0_14default_configENS1_36segmented_radix_sort_config_selectorI12hip_bfloat16lEEZNS1_25segmented_radix_sort_implIS3_Lb0EPKS5_PS5_PKlPlN2at6native12_GLOBAL__N_18offset_tEEE10hipError_tPvRmT1_PNSt15iterator_traitsISL_E10value_typeET2_T3_PNSM_ISR_E10value_typeET4_jRbjT5_SX_jjP12ihipStream_tbEUlT_E1_NS1_11comp_targetILNS1_3genE2ELNS1_11target_archE906ELNS1_3gpuE6ELNS1_3repE0EEENS1_59segmented_radix_sort_warp_sort_small_config_static_selectorELNS0_4arch9wavefront6targetE0EEEvSL_,"axG",@progbits,_ZN7rocprim17ROCPRIM_400000_NS6detail17trampoline_kernelINS0_14default_configENS1_36segmented_radix_sort_config_selectorI12hip_bfloat16lEEZNS1_25segmented_radix_sort_implIS3_Lb0EPKS5_PS5_PKlPlN2at6native12_GLOBAL__N_18offset_tEEE10hipError_tPvRmT1_PNSt15iterator_traitsISL_E10value_typeET2_T3_PNSM_ISR_E10value_typeET4_jRbjT5_SX_jjP12ihipStream_tbEUlT_E1_NS1_11comp_targetILNS1_3genE2ELNS1_11target_archE906ELNS1_3gpuE6ELNS1_3repE0EEENS1_59segmented_radix_sort_warp_sort_small_config_static_selectorELNS0_4arch9wavefront6targetE0EEEvSL_,comdat
.Lfunc_end2064:
	.size	_ZN7rocprim17ROCPRIM_400000_NS6detail17trampoline_kernelINS0_14default_configENS1_36segmented_radix_sort_config_selectorI12hip_bfloat16lEEZNS1_25segmented_radix_sort_implIS3_Lb0EPKS5_PS5_PKlPlN2at6native12_GLOBAL__N_18offset_tEEE10hipError_tPvRmT1_PNSt15iterator_traitsISL_E10value_typeET2_T3_PNSM_ISR_E10value_typeET4_jRbjT5_SX_jjP12ihipStream_tbEUlT_E1_NS1_11comp_targetILNS1_3genE2ELNS1_11target_archE906ELNS1_3gpuE6ELNS1_3repE0EEENS1_59segmented_radix_sort_warp_sort_small_config_static_selectorELNS0_4arch9wavefront6targetE0EEEvSL_, .Lfunc_end2064-_ZN7rocprim17ROCPRIM_400000_NS6detail17trampoline_kernelINS0_14default_configENS1_36segmented_radix_sort_config_selectorI12hip_bfloat16lEEZNS1_25segmented_radix_sort_implIS3_Lb0EPKS5_PS5_PKlPlN2at6native12_GLOBAL__N_18offset_tEEE10hipError_tPvRmT1_PNSt15iterator_traitsISL_E10value_typeET2_T3_PNSM_ISR_E10value_typeET4_jRbjT5_SX_jjP12ihipStream_tbEUlT_E1_NS1_11comp_targetILNS1_3genE2ELNS1_11target_archE906ELNS1_3gpuE6ELNS1_3repE0EEENS1_59segmented_radix_sort_warp_sort_small_config_static_selectorELNS0_4arch9wavefront6targetE0EEEvSL_
                                        ; -- End function
	.set _ZN7rocprim17ROCPRIM_400000_NS6detail17trampoline_kernelINS0_14default_configENS1_36segmented_radix_sort_config_selectorI12hip_bfloat16lEEZNS1_25segmented_radix_sort_implIS3_Lb0EPKS5_PS5_PKlPlN2at6native12_GLOBAL__N_18offset_tEEE10hipError_tPvRmT1_PNSt15iterator_traitsISL_E10value_typeET2_T3_PNSM_ISR_E10value_typeET4_jRbjT5_SX_jjP12ihipStream_tbEUlT_E1_NS1_11comp_targetILNS1_3genE2ELNS1_11target_archE906ELNS1_3gpuE6ELNS1_3repE0EEENS1_59segmented_radix_sort_warp_sort_small_config_static_selectorELNS0_4arch9wavefront6targetE0EEEvSL_.num_vgpr, 0
	.set _ZN7rocprim17ROCPRIM_400000_NS6detail17trampoline_kernelINS0_14default_configENS1_36segmented_radix_sort_config_selectorI12hip_bfloat16lEEZNS1_25segmented_radix_sort_implIS3_Lb0EPKS5_PS5_PKlPlN2at6native12_GLOBAL__N_18offset_tEEE10hipError_tPvRmT1_PNSt15iterator_traitsISL_E10value_typeET2_T3_PNSM_ISR_E10value_typeET4_jRbjT5_SX_jjP12ihipStream_tbEUlT_E1_NS1_11comp_targetILNS1_3genE2ELNS1_11target_archE906ELNS1_3gpuE6ELNS1_3repE0EEENS1_59segmented_radix_sort_warp_sort_small_config_static_selectorELNS0_4arch9wavefront6targetE0EEEvSL_.num_agpr, 0
	.set _ZN7rocprim17ROCPRIM_400000_NS6detail17trampoline_kernelINS0_14default_configENS1_36segmented_radix_sort_config_selectorI12hip_bfloat16lEEZNS1_25segmented_radix_sort_implIS3_Lb0EPKS5_PS5_PKlPlN2at6native12_GLOBAL__N_18offset_tEEE10hipError_tPvRmT1_PNSt15iterator_traitsISL_E10value_typeET2_T3_PNSM_ISR_E10value_typeET4_jRbjT5_SX_jjP12ihipStream_tbEUlT_E1_NS1_11comp_targetILNS1_3genE2ELNS1_11target_archE906ELNS1_3gpuE6ELNS1_3repE0EEENS1_59segmented_radix_sort_warp_sort_small_config_static_selectorELNS0_4arch9wavefront6targetE0EEEvSL_.numbered_sgpr, 0
	.set _ZN7rocprim17ROCPRIM_400000_NS6detail17trampoline_kernelINS0_14default_configENS1_36segmented_radix_sort_config_selectorI12hip_bfloat16lEEZNS1_25segmented_radix_sort_implIS3_Lb0EPKS5_PS5_PKlPlN2at6native12_GLOBAL__N_18offset_tEEE10hipError_tPvRmT1_PNSt15iterator_traitsISL_E10value_typeET2_T3_PNSM_ISR_E10value_typeET4_jRbjT5_SX_jjP12ihipStream_tbEUlT_E1_NS1_11comp_targetILNS1_3genE2ELNS1_11target_archE906ELNS1_3gpuE6ELNS1_3repE0EEENS1_59segmented_radix_sort_warp_sort_small_config_static_selectorELNS0_4arch9wavefront6targetE0EEEvSL_.num_named_barrier, 0
	.set _ZN7rocprim17ROCPRIM_400000_NS6detail17trampoline_kernelINS0_14default_configENS1_36segmented_radix_sort_config_selectorI12hip_bfloat16lEEZNS1_25segmented_radix_sort_implIS3_Lb0EPKS5_PS5_PKlPlN2at6native12_GLOBAL__N_18offset_tEEE10hipError_tPvRmT1_PNSt15iterator_traitsISL_E10value_typeET2_T3_PNSM_ISR_E10value_typeET4_jRbjT5_SX_jjP12ihipStream_tbEUlT_E1_NS1_11comp_targetILNS1_3genE2ELNS1_11target_archE906ELNS1_3gpuE6ELNS1_3repE0EEENS1_59segmented_radix_sort_warp_sort_small_config_static_selectorELNS0_4arch9wavefront6targetE0EEEvSL_.private_seg_size, 0
	.set _ZN7rocprim17ROCPRIM_400000_NS6detail17trampoline_kernelINS0_14default_configENS1_36segmented_radix_sort_config_selectorI12hip_bfloat16lEEZNS1_25segmented_radix_sort_implIS3_Lb0EPKS5_PS5_PKlPlN2at6native12_GLOBAL__N_18offset_tEEE10hipError_tPvRmT1_PNSt15iterator_traitsISL_E10value_typeET2_T3_PNSM_ISR_E10value_typeET4_jRbjT5_SX_jjP12ihipStream_tbEUlT_E1_NS1_11comp_targetILNS1_3genE2ELNS1_11target_archE906ELNS1_3gpuE6ELNS1_3repE0EEENS1_59segmented_radix_sort_warp_sort_small_config_static_selectorELNS0_4arch9wavefront6targetE0EEEvSL_.uses_vcc, 0
	.set _ZN7rocprim17ROCPRIM_400000_NS6detail17trampoline_kernelINS0_14default_configENS1_36segmented_radix_sort_config_selectorI12hip_bfloat16lEEZNS1_25segmented_radix_sort_implIS3_Lb0EPKS5_PS5_PKlPlN2at6native12_GLOBAL__N_18offset_tEEE10hipError_tPvRmT1_PNSt15iterator_traitsISL_E10value_typeET2_T3_PNSM_ISR_E10value_typeET4_jRbjT5_SX_jjP12ihipStream_tbEUlT_E1_NS1_11comp_targetILNS1_3genE2ELNS1_11target_archE906ELNS1_3gpuE6ELNS1_3repE0EEENS1_59segmented_radix_sort_warp_sort_small_config_static_selectorELNS0_4arch9wavefront6targetE0EEEvSL_.uses_flat_scratch, 0
	.set _ZN7rocprim17ROCPRIM_400000_NS6detail17trampoline_kernelINS0_14default_configENS1_36segmented_radix_sort_config_selectorI12hip_bfloat16lEEZNS1_25segmented_radix_sort_implIS3_Lb0EPKS5_PS5_PKlPlN2at6native12_GLOBAL__N_18offset_tEEE10hipError_tPvRmT1_PNSt15iterator_traitsISL_E10value_typeET2_T3_PNSM_ISR_E10value_typeET4_jRbjT5_SX_jjP12ihipStream_tbEUlT_E1_NS1_11comp_targetILNS1_3genE2ELNS1_11target_archE906ELNS1_3gpuE6ELNS1_3repE0EEENS1_59segmented_radix_sort_warp_sort_small_config_static_selectorELNS0_4arch9wavefront6targetE0EEEvSL_.has_dyn_sized_stack, 0
	.set _ZN7rocprim17ROCPRIM_400000_NS6detail17trampoline_kernelINS0_14default_configENS1_36segmented_radix_sort_config_selectorI12hip_bfloat16lEEZNS1_25segmented_radix_sort_implIS3_Lb0EPKS5_PS5_PKlPlN2at6native12_GLOBAL__N_18offset_tEEE10hipError_tPvRmT1_PNSt15iterator_traitsISL_E10value_typeET2_T3_PNSM_ISR_E10value_typeET4_jRbjT5_SX_jjP12ihipStream_tbEUlT_E1_NS1_11comp_targetILNS1_3genE2ELNS1_11target_archE906ELNS1_3gpuE6ELNS1_3repE0EEENS1_59segmented_radix_sort_warp_sort_small_config_static_selectorELNS0_4arch9wavefront6targetE0EEEvSL_.has_recursion, 0
	.set _ZN7rocprim17ROCPRIM_400000_NS6detail17trampoline_kernelINS0_14default_configENS1_36segmented_radix_sort_config_selectorI12hip_bfloat16lEEZNS1_25segmented_radix_sort_implIS3_Lb0EPKS5_PS5_PKlPlN2at6native12_GLOBAL__N_18offset_tEEE10hipError_tPvRmT1_PNSt15iterator_traitsISL_E10value_typeET2_T3_PNSM_ISR_E10value_typeET4_jRbjT5_SX_jjP12ihipStream_tbEUlT_E1_NS1_11comp_targetILNS1_3genE2ELNS1_11target_archE906ELNS1_3gpuE6ELNS1_3repE0EEENS1_59segmented_radix_sort_warp_sort_small_config_static_selectorELNS0_4arch9wavefront6targetE0EEEvSL_.has_indirect_call, 0
	.section	.AMDGPU.csdata,"",@progbits
; Kernel info:
; codeLenInByte = 0
; TotalNumSgprs: 0
; NumVgprs: 0
; ScratchSize: 0
; MemoryBound: 0
; FloatMode: 240
; IeeeMode: 1
; LDSByteSize: 0 bytes/workgroup (compile time only)
; SGPRBlocks: 0
; VGPRBlocks: 0
; NumSGPRsForWavesPerEU: 1
; NumVGPRsForWavesPerEU: 1
; NamedBarCnt: 0
; Occupancy: 16
; WaveLimiterHint : 0
; COMPUTE_PGM_RSRC2:SCRATCH_EN: 0
; COMPUTE_PGM_RSRC2:USER_SGPR: 2
; COMPUTE_PGM_RSRC2:TRAP_HANDLER: 0
; COMPUTE_PGM_RSRC2:TGID_X_EN: 1
; COMPUTE_PGM_RSRC2:TGID_Y_EN: 0
; COMPUTE_PGM_RSRC2:TGID_Z_EN: 0
; COMPUTE_PGM_RSRC2:TIDIG_COMP_CNT: 0
	.section	.text._ZN7rocprim17ROCPRIM_400000_NS6detail17trampoline_kernelINS0_14default_configENS1_36segmented_radix_sort_config_selectorI12hip_bfloat16lEEZNS1_25segmented_radix_sort_implIS3_Lb0EPKS5_PS5_PKlPlN2at6native12_GLOBAL__N_18offset_tEEE10hipError_tPvRmT1_PNSt15iterator_traitsISL_E10value_typeET2_T3_PNSM_ISR_E10value_typeET4_jRbjT5_SX_jjP12ihipStream_tbEUlT_E1_NS1_11comp_targetILNS1_3genE10ELNS1_11target_archE1201ELNS1_3gpuE5ELNS1_3repE0EEENS1_59segmented_radix_sort_warp_sort_small_config_static_selectorELNS0_4arch9wavefront6targetE0EEEvSL_,"axG",@progbits,_ZN7rocprim17ROCPRIM_400000_NS6detail17trampoline_kernelINS0_14default_configENS1_36segmented_radix_sort_config_selectorI12hip_bfloat16lEEZNS1_25segmented_radix_sort_implIS3_Lb0EPKS5_PS5_PKlPlN2at6native12_GLOBAL__N_18offset_tEEE10hipError_tPvRmT1_PNSt15iterator_traitsISL_E10value_typeET2_T3_PNSM_ISR_E10value_typeET4_jRbjT5_SX_jjP12ihipStream_tbEUlT_E1_NS1_11comp_targetILNS1_3genE10ELNS1_11target_archE1201ELNS1_3gpuE5ELNS1_3repE0EEENS1_59segmented_radix_sort_warp_sort_small_config_static_selectorELNS0_4arch9wavefront6targetE0EEEvSL_,comdat
	.globl	_ZN7rocprim17ROCPRIM_400000_NS6detail17trampoline_kernelINS0_14default_configENS1_36segmented_radix_sort_config_selectorI12hip_bfloat16lEEZNS1_25segmented_radix_sort_implIS3_Lb0EPKS5_PS5_PKlPlN2at6native12_GLOBAL__N_18offset_tEEE10hipError_tPvRmT1_PNSt15iterator_traitsISL_E10value_typeET2_T3_PNSM_ISR_E10value_typeET4_jRbjT5_SX_jjP12ihipStream_tbEUlT_E1_NS1_11comp_targetILNS1_3genE10ELNS1_11target_archE1201ELNS1_3gpuE5ELNS1_3repE0EEENS1_59segmented_radix_sort_warp_sort_small_config_static_selectorELNS0_4arch9wavefront6targetE0EEEvSL_ ; -- Begin function _ZN7rocprim17ROCPRIM_400000_NS6detail17trampoline_kernelINS0_14default_configENS1_36segmented_radix_sort_config_selectorI12hip_bfloat16lEEZNS1_25segmented_radix_sort_implIS3_Lb0EPKS5_PS5_PKlPlN2at6native12_GLOBAL__N_18offset_tEEE10hipError_tPvRmT1_PNSt15iterator_traitsISL_E10value_typeET2_T3_PNSM_ISR_E10value_typeET4_jRbjT5_SX_jjP12ihipStream_tbEUlT_E1_NS1_11comp_targetILNS1_3genE10ELNS1_11target_archE1201ELNS1_3gpuE5ELNS1_3repE0EEENS1_59segmented_radix_sort_warp_sort_small_config_static_selectorELNS0_4arch9wavefront6targetE0EEEvSL_
	.p2align	8
	.type	_ZN7rocprim17ROCPRIM_400000_NS6detail17trampoline_kernelINS0_14default_configENS1_36segmented_radix_sort_config_selectorI12hip_bfloat16lEEZNS1_25segmented_radix_sort_implIS3_Lb0EPKS5_PS5_PKlPlN2at6native12_GLOBAL__N_18offset_tEEE10hipError_tPvRmT1_PNSt15iterator_traitsISL_E10value_typeET2_T3_PNSM_ISR_E10value_typeET4_jRbjT5_SX_jjP12ihipStream_tbEUlT_E1_NS1_11comp_targetILNS1_3genE10ELNS1_11target_archE1201ELNS1_3gpuE5ELNS1_3repE0EEENS1_59segmented_radix_sort_warp_sort_small_config_static_selectorELNS0_4arch9wavefront6targetE0EEEvSL_,@function
_ZN7rocprim17ROCPRIM_400000_NS6detail17trampoline_kernelINS0_14default_configENS1_36segmented_radix_sort_config_selectorI12hip_bfloat16lEEZNS1_25segmented_radix_sort_implIS3_Lb0EPKS5_PS5_PKlPlN2at6native12_GLOBAL__N_18offset_tEEE10hipError_tPvRmT1_PNSt15iterator_traitsISL_E10value_typeET2_T3_PNSM_ISR_E10value_typeET4_jRbjT5_SX_jjP12ihipStream_tbEUlT_E1_NS1_11comp_targetILNS1_3genE10ELNS1_11target_archE1201ELNS1_3gpuE5ELNS1_3repE0EEENS1_59segmented_radix_sort_warp_sort_small_config_static_selectorELNS0_4arch9wavefront6targetE0EEEvSL_: ; @_ZN7rocprim17ROCPRIM_400000_NS6detail17trampoline_kernelINS0_14default_configENS1_36segmented_radix_sort_config_selectorI12hip_bfloat16lEEZNS1_25segmented_radix_sort_implIS3_Lb0EPKS5_PS5_PKlPlN2at6native12_GLOBAL__N_18offset_tEEE10hipError_tPvRmT1_PNSt15iterator_traitsISL_E10value_typeET2_T3_PNSM_ISR_E10value_typeET4_jRbjT5_SX_jjP12ihipStream_tbEUlT_E1_NS1_11comp_targetILNS1_3genE10ELNS1_11target_archE1201ELNS1_3gpuE5ELNS1_3repE0EEENS1_59segmented_radix_sort_warp_sort_small_config_static_selectorELNS0_4arch9wavefront6targetE0EEEvSL_
; %bb.0:
	.section	.rodata,"a",@progbits
	.p2align	6, 0x0
	.amdhsa_kernel _ZN7rocprim17ROCPRIM_400000_NS6detail17trampoline_kernelINS0_14default_configENS1_36segmented_radix_sort_config_selectorI12hip_bfloat16lEEZNS1_25segmented_radix_sort_implIS3_Lb0EPKS5_PS5_PKlPlN2at6native12_GLOBAL__N_18offset_tEEE10hipError_tPvRmT1_PNSt15iterator_traitsISL_E10value_typeET2_T3_PNSM_ISR_E10value_typeET4_jRbjT5_SX_jjP12ihipStream_tbEUlT_E1_NS1_11comp_targetILNS1_3genE10ELNS1_11target_archE1201ELNS1_3gpuE5ELNS1_3repE0EEENS1_59segmented_radix_sort_warp_sort_small_config_static_selectorELNS0_4arch9wavefront6targetE0EEEvSL_
		.amdhsa_group_segment_fixed_size 0
		.amdhsa_private_segment_fixed_size 0
		.amdhsa_kernarg_size 88
		.amdhsa_user_sgpr_count 2
		.amdhsa_user_sgpr_dispatch_ptr 0
		.amdhsa_user_sgpr_queue_ptr 0
		.amdhsa_user_sgpr_kernarg_segment_ptr 1
		.amdhsa_user_sgpr_dispatch_id 0
		.amdhsa_user_sgpr_kernarg_preload_length 0
		.amdhsa_user_sgpr_kernarg_preload_offset 0
		.amdhsa_user_sgpr_private_segment_size 0
		.amdhsa_wavefront_size32 1
		.amdhsa_uses_dynamic_stack 0
		.amdhsa_enable_private_segment 0
		.amdhsa_system_sgpr_workgroup_id_x 1
		.amdhsa_system_sgpr_workgroup_id_y 0
		.amdhsa_system_sgpr_workgroup_id_z 0
		.amdhsa_system_sgpr_workgroup_info 0
		.amdhsa_system_vgpr_workitem_id 0
		.amdhsa_next_free_vgpr 1
		.amdhsa_next_free_sgpr 1
		.amdhsa_named_barrier_count 0
		.amdhsa_reserve_vcc 0
		.amdhsa_float_round_mode_32 0
		.amdhsa_float_round_mode_16_64 0
		.amdhsa_float_denorm_mode_32 3
		.amdhsa_float_denorm_mode_16_64 3
		.amdhsa_fp16_overflow 0
		.amdhsa_memory_ordered 1
		.amdhsa_forward_progress 1
		.amdhsa_inst_pref_size 0
		.amdhsa_round_robin_scheduling 0
		.amdhsa_exception_fp_ieee_invalid_op 0
		.amdhsa_exception_fp_denorm_src 0
		.amdhsa_exception_fp_ieee_div_zero 0
		.amdhsa_exception_fp_ieee_overflow 0
		.amdhsa_exception_fp_ieee_underflow 0
		.amdhsa_exception_fp_ieee_inexact 0
		.amdhsa_exception_int_div_zero 0
	.end_amdhsa_kernel
	.section	.text._ZN7rocprim17ROCPRIM_400000_NS6detail17trampoline_kernelINS0_14default_configENS1_36segmented_radix_sort_config_selectorI12hip_bfloat16lEEZNS1_25segmented_radix_sort_implIS3_Lb0EPKS5_PS5_PKlPlN2at6native12_GLOBAL__N_18offset_tEEE10hipError_tPvRmT1_PNSt15iterator_traitsISL_E10value_typeET2_T3_PNSM_ISR_E10value_typeET4_jRbjT5_SX_jjP12ihipStream_tbEUlT_E1_NS1_11comp_targetILNS1_3genE10ELNS1_11target_archE1201ELNS1_3gpuE5ELNS1_3repE0EEENS1_59segmented_radix_sort_warp_sort_small_config_static_selectorELNS0_4arch9wavefront6targetE0EEEvSL_,"axG",@progbits,_ZN7rocprim17ROCPRIM_400000_NS6detail17trampoline_kernelINS0_14default_configENS1_36segmented_radix_sort_config_selectorI12hip_bfloat16lEEZNS1_25segmented_radix_sort_implIS3_Lb0EPKS5_PS5_PKlPlN2at6native12_GLOBAL__N_18offset_tEEE10hipError_tPvRmT1_PNSt15iterator_traitsISL_E10value_typeET2_T3_PNSM_ISR_E10value_typeET4_jRbjT5_SX_jjP12ihipStream_tbEUlT_E1_NS1_11comp_targetILNS1_3genE10ELNS1_11target_archE1201ELNS1_3gpuE5ELNS1_3repE0EEENS1_59segmented_radix_sort_warp_sort_small_config_static_selectorELNS0_4arch9wavefront6targetE0EEEvSL_,comdat
.Lfunc_end2065:
	.size	_ZN7rocprim17ROCPRIM_400000_NS6detail17trampoline_kernelINS0_14default_configENS1_36segmented_radix_sort_config_selectorI12hip_bfloat16lEEZNS1_25segmented_radix_sort_implIS3_Lb0EPKS5_PS5_PKlPlN2at6native12_GLOBAL__N_18offset_tEEE10hipError_tPvRmT1_PNSt15iterator_traitsISL_E10value_typeET2_T3_PNSM_ISR_E10value_typeET4_jRbjT5_SX_jjP12ihipStream_tbEUlT_E1_NS1_11comp_targetILNS1_3genE10ELNS1_11target_archE1201ELNS1_3gpuE5ELNS1_3repE0EEENS1_59segmented_radix_sort_warp_sort_small_config_static_selectorELNS0_4arch9wavefront6targetE0EEEvSL_, .Lfunc_end2065-_ZN7rocprim17ROCPRIM_400000_NS6detail17trampoline_kernelINS0_14default_configENS1_36segmented_radix_sort_config_selectorI12hip_bfloat16lEEZNS1_25segmented_radix_sort_implIS3_Lb0EPKS5_PS5_PKlPlN2at6native12_GLOBAL__N_18offset_tEEE10hipError_tPvRmT1_PNSt15iterator_traitsISL_E10value_typeET2_T3_PNSM_ISR_E10value_typeET4_jRbjT5_SX_jjP12ihipStream_tbEUlT_E1_NS1_11comp_targetILNS1_3genE10ELNS1_11target_archE1201ELNS1_3gpuE5ELNS1_3repE0EEENS1_59segmented_radix_sort_warp_sort_small_config_static_selectorELNS0_4arch9wavefront6targetE0EEEvSL_
                                        ; -- End function
	.set _ZN7rocprim17ROCPRIM_400000_NS6detail17trampoline_kernelINS0_14default_configENS1_36segmented_radix_sort_config_selectorI12hip_bfloat16lEEZNS1_25segmented_radix_sort_implIS3_Lb0EPKS5_PS5_PKlPlN2at6native12_GLOBAL__N_18offset_tEEE10hipError_tPvRmT1_PNSt15iterator_traitsISL_E10value_typeET2_T3_PNSM_ISR_E10value_typeET4_jRbjT5_SX_jjP12ihipStream_tbEUlT_E1_NS1_11comp_targetILNS1_3genE10ELNS1_11target_archE1201ELNS1_3gpuE5ELNS1_3repE0EEENS1_59segmented_radix_sort_warp_sort_small_config_static_selectorELNS0_4arch9wavefront6targetE0EEEvSL_.num_vgpr, 0
	.set _ZN7rocprim17ROCPRIM_400000_NS6detail17trampoline_kernelINS0_14default_configENS1_36segmented_radix_sort_config_selectorI12hip_bfloat16lEEZNS1_25segmented_radix_sort_implIS3_Lb0EPKS5_PS5_PKlPlN2at6native12_GLOBAL__N_18offset_tEEE10hipError_tPvRmT1_PNSt15iterator_traitsISL_E10value_typeET2_T3_PNSM_ISR_E10value_typeET4_jRbjT5_SX_jjP12ihipStream_tbEUlT_E1_NS1_11comp_targetILNS1_3genE10ELNS1_11target_archE1201ELNS1_3gpuE5ELNS1_3repE0EEENS1_59segmented_radix_sort_warp_sort_small_config_static_selectorELNS0_4arch9wavefront6targetE0EEEvSL_.num_agpr, 0
	.set _ZN7rocprim17ROCPRIM_400000_NS6detail17trampoline_kernelINS0_14default_configENS1_36segmented_radix_sort_config_selectorI12hip_bfloat16lEEZNS1_25segmented_radix_sort_implIS3_Lb0EPKS5_PS5_PKlPlN2at6native12_GLOBAL__N_18offset_tEEE10hipError_tPvRmT1_PNSt15iterator_traitsISL_E10value_typeET2_T3_PNSM_ISR_E10value_typeET4_jRbjT5_SX_jjP12ihipStream_tbEUlT_E1_NS1_11comp_targetILNS1_3genE10ELNS1_11target_archE1201ELNS1_3gpuE5ELNS1_3repE0EEENS1_59segmented_radix_sort_warp_sort_small_config_static_selectorELNS0_4arch9wavefront6targetE0EEEvSL_.numbered_sgpr, 0
	.set _ZN7rocprim17ROCPRIM_400000_NS6detail17trampoline_kernelINS0_14default_configENS1_36segmented_radix_sort_config_selectorI12hip_bfloat16lEEZNS1_25segmented_radix_sort_implIS3_Lb0EPKS5_PS5_PKlPlN2at6native12_GLOBAL__N_18offset_tEEE10hipError_tPvRmT1_PNSt15iterator_traitsISL_E10value_typeET2_T3_PNSM_ISR_E10value_typeET4_jRbjT5_SX_jjP12ihipStream_tbEUlT_E1_NS1_11comp_targetILNS1_3genE10ELNS1_11target_archE1201ELNS1_3gpuE5ELNS1_3repE0EEENS1_59segmented_radix_sort_warp_sort_small_config_static_selectorELNS0_4arch9wavefront6targetE0EEEvSL_.num_named_barrier, 0
	.set _ZN7rocprim17ROCPRIM_400000_NS6detail17trampoline_kernelINS0_14default_configENS1_36segmented_radix_sort_config_selectorI12hip_bfloat16lEEZNS1_25segmented_radix_sort_implIS3_Lb0EPKS5_PS5_PKlPlN2at6native12_GLOBAL__N_18offset_tEEE10hipError_tPvRmT1_PNSt15iterator_traitsISL_E10value_typeET2_T3_PNSM_ISR_E10value_typeET4_jRbjT5_SX_jjP12ihipStream_tbEUlT_E1_NS1_11comp_targetILNS1_3genE10ELNS1_11target_archE1201ELNS1_3gpuE5ELNS1_3repE0EEENS1_59segmented_radix_sort_warp_sort_small_config_static_selectorELNS0_4arch9wavefront6targetE0EEEvSL_.private_seg_size, 0
	.set _ZN7rocprim17ROCPRIM_400000_NS6detail17trampoline_kernelINS0_14default_configENS1_36segmented_radix_sort_config_selectorI12hip_bfloat16lEEZNS1_25segmented_radix_sort_implIS3_Lb0EPKS5_PS5_PKlPlN2at6native12_GLOBAL__N_18offset_tEEE10hipError_tPvRmT1_PNSt15iterator_traitsISL_E10value_typeET2_T3_PNSM_ISR_E10value_typeET4_jRbjT5_SX_jjP12ihipStream_tbEUlT_E1_NS1_11comp_targetILNS1_3genE10ELNS1_11target_archE1201ELNS1_3gpuE5ELNS1_3repE0EEENS1_59segmented_radix_sort_warp_sort_small_config_static_selectorELNS0_4arch9wavefront6targetE0EEEvSL_.uses_vcc, 0
	.set _ZN7rocprim17ROCPRIM_400000_NS6detail17trampoline_kernelINS0_14default_configENS1_36segmented_radix_sort_config_selectorI12hip_bfloat16lEEZNS1_25segmented_radix_sort_implIS3_Lb0EPKS5_PS5_PKlPlN2at6native12_GLOBAL__N_18offset_tEEE10hipError_tPvRmT1_PNSt15iterator_traitsISL_E10value_typeET2_T3_PNSM_ISR_E10value_typeET4_jRbjT5_SX_jjP12ihipStream_tbEUlT_E1_NS1_11comp_targetILNS1_3genE10ELNS1_11target_archE1201ELNS1_3gpuE5ELNS1_3repE0EEENS1_59segmented_radix_sort_warp_sort_small_config_static_selectorELNS0_4arch9wavefront6targetE0EEEvSL_.uses_flat_scratch, 0
	.set _ZN7rocprim17ROCPRIM_400000_NS6detail17trampoline_kernelINS0_14default_configENS1_36segmented_radix_sort_config_selectorI12hip_bfloat16lEEZNS1_25segmented_radix_sort_implIS3_Lb0EPKS5_PS5_PKlPlN2at6native12_GLOBAL__N_18offset_tEEE10hipError_tPvRmT1_PNSt15iterator_traitsISL_E10value_typeET2_T3_PNSM_ISR_E10value_typeET4_jRbjT5_SX_jjP12ihipStream_tbEUlT_E1_NS1_11comp_targetILNS1_3genE10ELNS1_11target_archE1201ELNS1_3gpuE5ELNS1_3repE0EEENS1_59segmented_radix_sort_warp_sort_small_config_static_selectorELNS0_4arch9wavefront6targetE0EEEvSL_.has_dyn_sized_stack, 0
	.set _ZN7rocprim17ROCPRIM_400000_NS6detail17trampoline_kernelINS0_14default_configENS1_36segmented_radix_sort_config_selectorI12hip_bfloat16lEEZNS1_25segmented_radix_sort_implIS3_Lb0EPKS5_PS5_PKlPlN2at6native12_GLOBAL__N_18offset_tEEE10hipError_tPvRmT1_PNSt15iterator_traitsISL_E10value_typeET2_T3_PNSM_ISR_E10value_typeET4_jRbjT5_SX_jjP12ihipStream_tbEUlT_E1_NS1_11comp_targetILNS1_3genE10ELNS1_11target_archE1201ELNS1_3gpuE5ELNS1_3repE0EEENS1_59segmented_radix_sort_warp_sort_small_config_static_selectorELNS0_4arch9wavefront6targetE0EEEvSL_.has_recursion, 0
	.set _ZN7rocprim17ROCPRIM_400000_NS6detail17trampoline_kernelINS0_14default_configENS1_36segmented_radix_sort_config_selectorI12hip_bfloat16lEEZNS1_25segmented_radix_sort_implIS3_Lb0EPKS5_PS5_PKlPlN2at6native12_GLOBAL__N_18offset_tEEE10hipError_tPvRmT1_PNSt15iterator_traitsISL_E10value_typeET2_T3_PNSM_ISR_E10value_typeET4_jRbjT5_SX_jjP12ihipStream_tbEUlT_E1_NS1_11comp_targetILNS1_3genE10ELNS1_11target_archE1201ELNS1_3gpuE5ELNS1_3repE0EEENS1_59segmented_radix_sort_warp_sort_small_config_static_selectorELNS0_4arch9wavefront6targetE0EEEvSL_.has_indirect_call, 0
	.section	.AMDGPU.csdata,"",@progbits
; Kernel info:
; codeLenInByte = 0
; TotalNumSgprs: 0
; NumVgprs: 0
; ScratchSize: 0
; MemoryBound: 0
; FloatMode: 240
; IeeeMode: 1
; LDSByteSize: 0 bytes/workgroup (compile time only)
; SGPRBlocks: 0
; VGPRBlocks: 0
; NumSGPRsForWavesPerEU: 1
; NumVGPRsForWavesPerEU: 1
; NamedBarCnt: 0
; Occupancy: 16
; WaveLimiterHint : 0
; COMPUTE_PGM_RSRC2:SCRATCH_EN: 0
; COMPUTE_PGM_RSRC2:USER_SGPR: 2
; COMPUTE_PGM_RSRC2:TRAP_HANDLER: 0
; COMPUTE_PGM_RSRC2:TGID_X_EN: 1
; COMPUTE_PGM_RSRC2:TGID_Y_EN: 0
; COMPUTE_PGM_RSRC2:TGID_Z_EN: 0
; COMPUTE_PGM_RSRC2:TIDIG_COMP_CNT: 0
	.section	.text._ZN7rocprim17ROCPRIM_400000_NS6detail17trampoline_kernelINS0_14default_configENS1_36segmented_radix_sort_config_selectorI12hip_bfloat16lEEZNS1_25segmented_radix_sort_implIS3_Lb0EPKS5_PS5_PKlPlN2at6native12_GLOBAL__N_18offset_tEEE10hipError_tPvRmT1_PNSt15iterator_traitsISL_E10value_typeET2_T3_PNSM_ISR_E10value_typeET4_jRbjT5_SX_jjP12ihipStream_tbEUlT_E1_NS1_11comp_targetILNS1_3genE10ELNS1_11target_archE1200ELNS1_3gpuE4ELNS1_3repE0EEENS1_59segmented_radix_sort_warp_sort_small_config_static_selectorELNS0_4arch9wavefront6targetE0EEEvSL_,"axG",@progbits,_ZN7rocprim17ROCPRIM_400000_NS6detail17trampoline_kernelINS0_14default_configENS1_36segmented_radix_sort_config_selectorI12hip_bfloat16lEEZNS1_25segmented_radix_sort_implIS3_Lb0EPKS5_PS5_PKlPlN2at6native12_GLOBAL__N_18offset_tEEE10hipError_tPvRmT1_PNSt15iterator_traitsISL_E10value_typeET2_T3_PNSM_ISR_E10value_typeET4_jRbjT5_SX_jjP12ihipStream_tbEUlT_E1_NS1_11comp_targetILNS1_3genE10ELNS1_11target_archE1200ELNS1_3gpuE4ELNS1_3repE0EEENS1_59segmented_radix_sort_warp_sort_small_config_static_selectorELNS0_4arch9wavefront6targetE0EEEvSL_,comdat
	.globl	_ZN7rocprim17ROCPRIM_400000_NS6detail17trampoline_kernelINS0_14default_configENS1_36segmented_radix_sort_config_selectorI12hip_bfloat16lEEZNS1_25segmented_radix_sort_implIS3_Lb0EPKS5_PS5_PKlPlN2at6native12_GLOBAL__N_18offset_tEEE10hipError_tPvRmT1_PNSt15iterator_traitsISL_E10value_typeET2_T3_PNSM_ISR_E10value_typeET4_jRbjT5_SX_jjP12ihipStream_tbEUlT_E1_NS1_11comp_targetILNS1_3genE10ELNS1_11target_archE1200ELNS1_3gpuE4ELNS1_3repE0EEENS1_59segmented_radix_sort_warp_sort_small_config_static_selectorELNS0_4arch9wavefront6targetE0EEEvSL_ ; -- Begin function _ZN7rocprim17ROCPRIM_400000_NS6detail17trampoline_kernelINS0_14default_configENS1_36segmented_radix_sort_config_selectorI12hip_bfloat16lEEZNS1_25segmented_radix_sort_implIS3_Lb0EPKS5_PS5_PKlPlN2at6native12_GLOBAL__N_18offset_tEEE10hipError_tPvRmT1_PNSt15iterator_traitsISL_E10value_typeET2_T3_PNSM_ISR_E10value_typeET4_jRbjT5_SX_jjP12ihipStream_tbEUlT_E1_NS1_11comp_targetILNS1_3genE10ELNS1_11target_archE1200ELNS1_3gpuE4ELNS1_3repE0EEENS1_59segmented_radix_sort_warp_sort_small_config_static_selectorELNS0_4arch9wavefront6targetE0EEEvSL_
	.p2align	8
	.type	_ZN7rocprim17ROCPRIM_400000_NS6detail17trampoline_kernelINS0_14default_configENS1_36segmented_radix_sort_config_selectorI12hip_bfloat16lEEZNS1_25segmented_radix_sort_implIS3_Lb0EPKS5_PS5_PKlPlN2at6native12_GLOBAL__N_18offset_tEEE10hipError_tPvRmT1_PNSt15iterator_traitsISL_E10value_typeET2_T3_PNSM_ISR_E10value_typeET4_jRbjT5_SX_jjP12ihipStream_tbEUlT_E1_NS1_11comp_targetILNS1_3genE10ELNS1_11target_archE1200ELNS1_3gpuE4ELNS1_3repE0EEENS1_59segmented_radix_sort_warp_sort_small_config_static_selectorELNS0_4arch9wavefront6targetE0EEEvSL_,@function
_ZN7rocprim17ROCPRIM_400000_NS6detail17trampoline_kernelINS0_14default_configENS1_36segmented_radix_sort_config_selectorI12hip_bfloat16lEEZNS1_25segmented_radix_sort_implIS3_Lb0EPKS5_PS5_PKlPlN2at6native12_GLOBAL__N_18offset_tEEE10hipError_tPvRmT1_PNSt15iterator_traitsISL_E10value_typeET2_T3_PNSM_ISR_E10value_typeET4_jRbjT5_SX_jjP12ihipStream_tbEUlT_E1_NS1_11comp_targetILNS1_3genE10ELNS1_11target_archE1200ELNS1_3gpuE4ELNS1_3repE0EEENS1_59segmented_radix_sort_warp_sort_small_config_static_selectorELNS0_4arch9wavefront6targetE0EEEvSL_: ; @_ZN7rocprim17ROCPRIM_400000_NS6detail17trampoline_kernelINS0_14default_configENS1_36segmented_radix_sort_config_selectorI12hip_bfloat16lEEZNS1_25segmented_radix_sort_implIS3_Lb0EPKS5_PS5_PKlPlN2at6native12_GLOBAL__N_18offset_tEEE10hipError_tPvRmT1_PNSt15iterator_traitsISL_E10value_typeET2_T3_PNSM_ISR_E10value_typeET4_jRbjT5_SX_jjP12ihipStream_tbEUlT_E1_NS1_11comp_targetILNS1_3genE10ELNS1_11target_archE1200ELNS1_3gpuE4ELNS1_3repE0EEENS1_59segmented_radix_sort_warp_sort_small_config_static_selectorELNS0_4arch9wavefront6targetE0EEEvSL_
; %bb.0:
	.section	.rodata,"a",@progbits
	.p2align	6, 0x0
	.amdhsa_kernel _ZN7rocprim17ROCPRIM_400000_NS6detail17trampoline_kernelINS0_14default_configENS1_36segmented_radix_sort_config_selectorI12hip_bfloat16lEEZNS1_25segmented_radix_sort_implIS3_Lb0EPKS5_PS5_PKlPlN2at6native12_GLOBAL__N_18offset_tEEE10hipError_tPvRmT1_PNSt15iterator_traitsISL_E10value_typeET2_T3_PNSM_ISR_E10value_typeET4_jRbjT5_SX_jjP12ihipStream_tbEUlT_E1_NS1_11comp_targetILNS1_3genE10ELNS1_11target_archE1200ELNS1_3gpuE4ELNS1_3repE0EEENS1_59segmented_radix_sort_warp_sort_small_config_static_selectorELNS0_4arch9wavefront6targetE0EEEvSL_
		.amdhsa_group_segment_fixed_size 0
		.amdhsa_private_segment_fixed_size 0
		.amdhsa_kernarg_size 88
		.amdhsa_user_sgpr_count 2
		.amdhsa_user_sgpr_dispatch_ptr 0
		.amdhsa_user_sgpr_queue_ptr 0
		.amdhsa_user_sgpr_kernarg_segment_ptr 1
		.amdhsa_user_sgpr_dispatch_id 0
		.amdhsa_user_sgpr_kernarg_preload_length 0
		.amdhsa_user_sgpr_kernarg_preload_offset 0
		.amdhsa_user_sgpr_private_segment_size 0
		.amdhsa_wavefront_size32 1
		.amdhsa_uses_dynamic_stack 0
		.amdhsa_enable_private_segment 0
		.amdhsa_system_sgpr_workgroup_id_x 1
		.amdhsa_system_sgpr_workgroup_id_y 0
		.amdhsa_system_sgpr_workgroup_id_z 0
		.amdhsa_system_sgpr_workgroup_info 0
		.amdhsa_system_vgpr_workitem_id 0
		.amdhsa_next_free_vgpr 1
		.amdhsa_next_free_sgpr 1
		.amdhsa_named_barrier_count 0
		.amdhsa_reserve_vcc 0
		.amdhsa_float_round_mode_32 0
		.amdhsa_float_round_mode_16_64 0
		.amdhsa_float_denorm_mode_32 3
		.amdhsa_float_denorm_mode_16_64 3
		.amdhsa_fp16_overflow 0
		.amdhsa_memory_ordered 1
		.amdhsa_forward_progress 1
		.amdhsa_inst_pref_size 0
		.amdhsa_round_robin_scheduling 0
		.amdhsa_exception_fp_ieee_invalid_op 0
		.amdhsa_exception_fp_denorm_src 0
		.amdhsa_exception_fp_ieee_div_zero 0
		.amdhsa_exception_fp_ieee_overflow 0
		.amdhsa_exception_fp_ieee_underflow 0
		.amdhsa_exception_fp_ieee_inexact 0
		.amdhsa_exception_int_div_zero 0
	.end_amdhsa_kernel
	.section	.text._ZN7rocprim17ROCPRIM_400000_NS6detail17trampoline_kernelINS0_14default_configENS1_36segmented_radix_sort_config_selectorI12hip_bfloat16lEEZNS1_25segmented_radix_sort_implIS3_Lb0EPKS5_PS5_PKlPlN2at6native12_GLOBAL__N_18offset_tEEE10hipError_tPvRmT1_PNSt15iterator_traitsISL_E10value_typeET2_T3_PNSM_ISR_E10value_typeET4_jRbjT5_SX_jjP12ihipStream_tbEUlT_E1_NS1_11comp_targetILNS1_3genE10ELNS1_11target_archE1200ELNS1_3gpuE4ELNS1_3repE0EEENS1_59segmented_radix_sort_warp_sort_small_config_static_selectorELNS0_4arch9wavefront6targetE0EEEvSL_,"axG",@progbits,_ZN7rocprim17ROCPRIM_400000_NS6detail17trampoline_kernelINS0_14default_configENS1_36segmented_radix_sort_config_selectorI12hip_bfloat16lEEZNS1_25segmented_radix_sort_implIS3_Lb0EPKS5_PS5_PKlPlN2at6native12_GLOBAL__N_18offset_tEEE10hipError_tPvRmT1_PNSt15iterator_traitsISL_E10value_typeET2_T3_PNSM_ISR_E10value_typeET4_jRbjT5_SX_jjP12ihipStream_tbEUlT_E1_NS1_11comp_targetILNS1_3genE10ELNS1_11target_archE1200ELNS1_3gpuE4ELNS1_3repE0EEENS1_59segmented_radix_sort_warp_sort_small_config_static_selectorELNS0_4arch9wavefront6targetE0EEEvSL_,comdat
.Lfunc_end2066:
	.size	_ZN7rocprim17ROCPRIM_400000_NS6detail17trampoline_kernelINS0_14default_configENS1_36segmented_radix_sort_config_selectorI12hip_bfloat16lEEZNS1_25segmented_radix_sort_implIS3_Lb0EPKS5_PS5_PKlPlN2at6native12_GLOBAL__N_18offset_tEEE10hipError_tPvRmT1_PNSt15iterator_traitsISL_E10value_typeET2_T3_PNSM_ISR_E10value_typeET4_jRbjT5_SX_jjP12ihipStream_tbEUlT_E1_NS1_11comp_targetILNS1_3genE10ELNS1_11target_archE1200ELNS1_3gpuE4ELNS1_3repE0EEENS1_59segmented_radix_sort_warp_sort_small_config_static_selectorELNS0_4arch9wavefront6targetE0EEEvSL_, .Lfunc_end2066-_ZN7rocprim17ROCPRIM_400000_NS6detail17trampoline_kernelINS0_14default_configENS1_36segmented_radix_sort_config_selectorI12hip_bfloat16lEEZNS1_25segmented_radix_sort_implIS3_Lb0EPKS5_PS5_PKlPlN2at6native12_GLOBAL__N_18offset_tEEE10hipError_tPvRmT1_PNSt15iterator_traitsISL_E10value_typeET2_T3_PNSM_ISR_E10value_typeET4_jRbjT5_SX_jjP12ihipStream_tbEUlT_E1_NS1_11comp_targetILNS1_3genE10ELNS1_11target_archE1200ELNS1_3gpuE4ELNS1_3repE0EEENS1_59segmented_radix_sort_warp_sort_small_config_static_selectorELNS0_4arch9wavefront6targetE0EEEvSL_
                                        ; -- End function
	.set _ZN7rocprim17ROCPRIM_400000_NS6detail17trampoline_kernelINS0_14default_configENS1_36segmented_radix_sort_config_selectorI12hip_bfloat16lEEZNS1_25segmented_radix_sort_implIS3_Lb0EPKS5_PS5_PKlPlN2at6native12_GLOBAL__N_18offset_tEEE10hipError_tPvRmT1_PNSt15iterator_traitsISL_E10value_typeET2_T3_PNSM_ISR_E10value_typeET4_jRbjT5_SX_jjP12ihipStream_tbEUlT_E1_NS1_11comp_targetILNS1_3genE10ELNS1_11target_archE1200ELNS1_3gpuE4ELNS1_3repE0EEENS1_59segmented_radix_sort_warp_sort_small_config_static_selectorELNS0_4arch9wavefront6targetE0EEEvSL_.num_vgpr, 0
	.set _ZN7rocprim17ROCPRIM_400000_NS6detail17trampoline_kernelINS0_14default_configENS1_36segmented_radix_sort_config_selectorI12hip_bfloat16lEEZNS1_25segmented_radix_sort_implIS3_Lb0EPKS5_PS5_PKlPlN2at6native12_GLOBAL__N_18offset_tEEE10hipError_tPvRmT1_PNSt15iterator_traitsISL_E10value_typeET2_T3_PNSM_ISR_E10value_typeET4_jRbjT5_SX_jjP12ihipStream_tbEUlT_E1_NS1_11comp_targetILNS1_3genE10ELNS1_11target_archE1200ELNS1_3gpuE4ELNS1_3repE0EEENS1_59segmented_radix_sort_warp_sort_small_config_static_selectorELNS0_4arch9wavefront6targetE0EEEvSL_.num_agpr, 0
	.set _ZN7rocprim17ROCPRIM_400000_NS6detail17trampoline_kernelINS0_14default_configENS1_36segmented_radix_sort_config_selectorI12hip_bfloat16lEEZNS1_25segmented_radix_sort_implIS3_Lb0EPKS5_PS5_PKlPlN2at6native12_GLOBAL__N_18offset_tEEE10hipError_tPvRmT1_PNSt15iterator_traitsISL_E10value_typeET2_T3_PNSM_ISR_E10value_typeET4_jRbjT5_SX_jjP12ihipStream_tbEUlT_E1_NS1_11comp_targetILNS1_3genE10ELNS1_11target_archE1200ELNS1_3gpuE4ELNS1_3repE0EEENS1_59segmented_radix_sort_warp_sort_small_config_static_selectorELNS0_4arch9wavefront6targetE0EEEvSL_.numbered_sgpr, 0
	.set _ZN7rocprim17ROCPRIM_400000_NS6detail17trampoline_kernelINS0_14default_configENS1_36segmented_radix_sort_config_selectorI12hip_bfloat16lEEZNS1_25segmented_radix_sort_implIS3_Lb0EPKS5_PS5_PKlPlN2at6native12_GLOBAL__N_18offset_tEEE10hipError_tPvRmT1_PNSt15iterator_traitsISL_E10value_typeET2_T3_PNSM_ISR_E10value_typeET4_jRbjT5_SX_jjP12ihipStream_tbEUlT_E1_NS1_11comp_targetILNS1_3genE10ELNS1_11target_archE1200ELNS1_3gpuE4ELNS1_3repE0EEENS1_59segmented_radix_sort_warp_sort_small_config_static_selectorELNS0_4arch9wavefront6targetE0EEEvSL_.num_named_barrier, 0
	.set _ZN7rocprim17ROCPRIM_400000_NS6detail17trampoline_kernelINS0_14default_configENS1_36segmented_radix_sort_config_selectorI12hip_bfloat16lEEZNS1_25segmented_radix_sort_implIS3_Lb0EPKS5_PS5_PKlPlN2at6native12_GLOBAL__N_18offset_tEEE10hipError_tPvRmT1_PNSt15iterator_traitsISL_E10value_typeET2_T3_PNSM_ISR_E10value_typeET4_jRbjT5_SX_jjP12ihipStream_tbEUlT_E1_NS1_11comp_targetILNS1_3genE10ELNS1_11target_archE1200ELNS1_3gpuE4ELNS1_3repE0EEENS1_59segmented_radix_sort_warp_sort_small_config_static_selectorELNS0_4arch9wavefront6targetE0EEEvSL_.private_seg_size, 0
	.set _ZN7rocprim17ROCPRIM_400000_NS6detail17trampoline_kernelINS0_14default_configENS1_36segmented_radix_sort_config_selectorI12hip_bfloat16lEEZNS1_25segmented_radix_sort_implIS3_Lb0EPKS5_PS5_PKlPlN2at6native12_GLOBAL__N_18offset_tEEE10hipError_tPvRmT1_PNSt15iterator_traitsISL_E10value_typeET2_T3_PNSM_ISR_E10value_typeET4_jRbjT5_SX_jjP12ihipStream_tbEUlT_E1_NS1_11comp_targetILNS1_3genE10ELNS1_11target_archE1200ELNS1_3gpuE4ELNS1_3repE0EEENS1_59segmented_radix_sort_warp_sort_small_config_static_selectorELNS0_4arch9wavefront6targetE0EEEvSL_.uses_vcc, 0
	.set _ZN7rocprim17ROCPRIM_400000_NS6detail17trampoline_kernelINS0_14default_configENS1_36segmented_radix_sort_config_selectorI12hip_bfloat16lEEZNS1_25segmented_radix_sort_implIS3_Lb0EPKS5_PS5_PKlPlN2at6native12_GLOBAL__N_18offset_tEEE10hipError_tPvRmT1_PNSt15iterator_traitsISL_E10value_typeET2_T3_PNSM_ISR_E10value_typeET4_jRbjT5_SX_jjP12ihipStream_tbEUlT_E1_NS1_11comp_targetILNS1_3genE10ELNS1_11target_archE1200ELNS1_3gpuE4ELNS1_3repE0EEENS1_59segmented_radix_sort_warp_sort_small_config_static_selectorELNS0_4arch9wavefront6targetE0EEEvSL_.uses_flat_scratch, 0
	.set _ZN7rocprim17ROCPRIM_400000_NS6detail17trampoline_kernelINS0_14default_configENS1_36segmented_radix_sort_config_selectorI12hip_bfloat16lEEZNS1_25segmented_radix_sort_implIS3_Lb0EPKS5_PS5_PKlPlN2at6native12_GLOBAL__N_18offset_tEEE10hipError_tPvRmT1_PNSt15iterator_traitsISL_E10value_typeET2_T3_PNSM_ISR_E10value_typeET4_jRbjT5_SX_jjP12ihipStream_tbEUlT_E1_NS1_11comp_targetILNS1_3genE10ELNS1_11target_archE1200ELNS1_3gpuE4ELNS1_3repE0EEENS1_59segmented_radix_sort_warp_sort_small_config_static_selectorELNS0_4arch9wavefront6targetE0EEEvSL_.has_dyn_sized_stack, 0
	.set _ZN7rocprim17ROCPRIM_400000_NS6detail17trampoline_kernelINS0_14default_configENS1_36segmented_radix_sort_config_selectorI12hip_bfloat16lEEZNS1_25segmented_radix_sort_implIS3_Lb0EPKS5_PS5_PKlPlN2at6native12_GLOBAL__N_18offset_tEEE10hipError_tPvRmT1_PNSt15iterator_traitsISL_E10value_typeET2_T3_PNSM_ISR_E10value_typeET4_jRbjT5_SX_jjP12ihipStream_tbEUlT_E1_NS1_11comp_targetILNS1_3genE10ELNS1_11target_archE1200ELNS1_3gpuE4ELNS1_3repE0EEENS1_59segmented_radix_sort_warp_sort_small_config_static_selectorELNS0_4arch9wavefront6targetE0EEEvSL_.has_recursion, 0
	.set _ZN7rocprim17ROCPRIM_400000_NS6detail17trampoline_kernelINS0_14default_configENS1_36segmented_radix_sort_config_selectorI12hip_bfloat16lEEZNS1_25segmented_radix_sort_implIS3_Lb0EPKS5_PS5_PKlPlN2at6native12_GLOBAL__N_18offset_tEEE10hipError_tPvRmT1_PNSt15iterator_traitsISL_E10value_typeET2_T3_PNSM_ISR_E10value_typeET4_jRbjT5_SX_jjP12ihipStream_tbEUlT_E1_NS1_11comp_targetILNS1_3genE10ELNS1_11target_archE1200ELNS1_3gpuE4ELNS1_3repE0EEENS1_59segmented_radix_sort_warp_sort_small_config_static_selectorELNS0_4arch9wavefront6targetE0EEEvSL_.has_indirect_call, 0
	.section	.AMDGPU.csdata,"",@progbits
; Kernel info:
; codeLenInByte = 0
; TotalNumSgprs: 0
; NumVgprs: 0
; ScratchSize: 0
; MemoryBound: 0
; FloatMode: 240
; IeeeMode: 1
; LDSByteSize: 0 bytes/workgroup (compile time only)
; SGPRBlocks: 0
; VGPRBlocks: 0
; NumSGPRsForWavesPerEU: 1
; NumVGPRsForWavesPerEU: 1
; NamedBarCnt: 0
; Occupancy: 16
; WaveLimiterHint : 0
; COMPUTE_PGM_RSRC2:SCRATCH_EN: 0
; COMPUTE_PGM_RSRC2:USER_SGPR: 2
; COMPUTE_PGM_RSRC2:TRAP_HANDLER: 0
; COMPUTE_PGM_RSRC2:TGID_X_EN: 1
; COMPUTE_PGM_RSRC2:TGID_Y_EN: 0
; COMPUTE_PGM_RSRC2:TGID_Z_EN: 0
; COMPUTE_PGM_RSRC2:TIDIG_COMP_CNT: 0
	.section	.text._ZN7rocprim17ROCPRIM_400000_NS6detail17trampoline_kernelINS0_14default_configENS1_36segmented_radix_sort_config_selectorI12hip_bfloat16lEEZNS1_25segmented_radix_sort_implIS3_Lb0EPKS5_PS5_PKlPlN2at6native12_GLOBAL__N_18offset_tEEE10hipError_tPvRmT1_PNSt15iterator_traitsISL_E10value_typeET2_T3_PNSM_ISR_E10value_typeET4_jRbjT5_SX_jjP12ihipStream_tbEUlT_E1_NS1_11comp_targetILNS1_3genE9ELNS1_11target_archE1100ELNS1_3gpuE3ELNS1_3repE0EEENS1_59segmented_radix_sort_warp_sort_small_config_static_selectorELNS0_4arch9wavefront6targetE0EEEvSL_,"axG",@progbits,_ZN7rocprim17ROCPRIM_400000_NS6detail17trampoline_kernelINS0_14default_configENS1_36segmented_radix_sort_config_selectorI12hip_bfloat16lEEZNS1_25segmented_radix_sort_implIS3_Lb0EPKS5_PS5_PKlPlN2at6native12_GLOBAL__N_18offset_tEEE10hipError_tPvRmT1_PNSt15iterator_traitsISL_E10value_typeET2_T3_PNSM_ISR_E10value_typeET4_jRbjT5_SX_jjP12ihipStream_tbEUlT_E1_NS1_11comp_targetILNS1_3genE9ELNS1_11target_archE1100ELNS1_3gpuE3ELNS1_3repE0EEENS1_59segmented_radix_sort_warp_sort_small_config_static_selectorELNS0_4arch9wavefront6targetE0EEEvSL_,comdat
	.globl	_ZN7rocprim17ROCPRIM_400000_NS6detail17trampoline_kernelINS0_14default_configENS1_36segmented_radix_sort_config_selectorI12hip_bfloat16lEEZNS1_25segmented_radix_sort_implIS3_Lb0EPKS5_PS5_PKlPlN2at6native12_GLOBAL__N_18offset_tEEE10hipError_tPvRmT1_PNSt15iterator_traitsISL_E10value_typeET2_T3_PNSM_ISR_E10value_typeET4_jRbjT5_SX_jjP12ihipStream_tbEUlT_E1_NS1_11comp_targetILNS1_3genE9ELNS1_11target_archE1100ELNS1_3gpuE3ELNS1_3repE0EEENS1_59segmented_radix_sort_warp_sort_small_config_static_selectorELNS0_4arch9wavefront6targetE0EEEvSL_ ; -- Begin function _ZN7rocprim17ROCPRIM_400000_NS6detail17trampoline_kernelINS0_14default_configENS1_36segmented_radix_sort_config_selectorI12hip_bfloat16lEEZNS1_25segmented_radix_sort_implIS3_Lb0EPKS5_PS5_PKlPlN2at6native12_GLOBAL__N_18offset_tEEE10hipError_tPvRmT1_PNSt15iterator_traitsISL_E10value_typeET2_T3_PNSM_ISR_E10value_typeET4_jRbjT5_SX_jjP12ihipStream_tbEUlT_E1_NS1_11comp_targetILNS1_3genE9ELNS1_11target_archE1100ELNS1_3gpuE3ELNS1_3repE0EEENS1_59segmented_radix_sort_warp_sort_small_config_static_selectorELNS0_4arch9wavefront6targetE0EEEvSL_
	.p2align	8
	.type	_ZN7rocprim17ROCPRIM_400000_NS6detail17trampoline_kernelINS0_14default_configENS1_36segmented_radix_sort_config_selectorI12hip_bfloat16lEEZNS1_25segmented_radix_sort_implIS3_Lb0EPKS5_PS5_PKlPlN2at6native12_GLOBAL__N_18offset_tEEE10hipError_tPvRmT1_PNSt15iterator_traitsISL_E10value_typeET2_T3_PNSM_ISR_E10value_typeET4_jRbjT5_SX_jjP12ihipStream_tbEUlT_E1_NS1_11comp_targetILNS1_3genE9ELNS1_11target_archE1100ELNS1_3gpuE3ELNS1_3repE0EEENS1_59segmented_radix_sort_warp_sort_small_config_static_selectorELNS0_4arch9wavefront6targetE0EEEvSL_,@function
_ZN7rocprim17ROCPRIM_400000_NS6detail17trampoline_kernelINS0_14default_configENS1_36segmented_radix_sort_config_selectorI12hip_bfloat16lEEZNS1_25segmented_radix_sort_implIS3_Lb0EPKS5_PS5_PKlPlN2at6native12_GLOBAL__N_18offset_tEEE10hipError_tPvRmT1_PNSt15iterator_traitsISL_E10value_typeET2_T3_PNSM_ISR_E10value_typeET4_jRbjT5_SX_jjP12ihipStream_tbEUlT_E1_NS1_11comp_targetILNS1_3genE9ELNS1_11target_archE1100ELNS1_3gpuE3ELNS1_3repE0EEENS1_59segmented_radix_sort_warp_sort_small_config_static_selectorELNS0_4arch9wavefront6targetE0EEEvSL_: ; @_ZN7rocprim17ROCPRIM_400000_NS6detail17trampoline_kernelINS0_14default_configENS1_36segmented_radix_sort_config_selectorI12hip_bfloat16lEEZNS1_25segmented_radix_sort_implIS3_Lb0EPKS5_PS5_PKlPlN2at6native12_GLOBAL__N_18offset_tEEE10hipError_tPvRmT1_PNSt15iterator_traitsISL_E10value_typeET2_T3_PNSM_ISR_E10value_typeET4_jRbjT5_SX_jjP12ihipStream_tbEUlT_E1_NS1_11comp_targetILNS1_3genE9ELNS1_11target_archE1100ELNS1_3gpuE3ELNS1_3repE0EEENS1_59segmented_radix_sort_warp_sort_small_config_static_selectorELNS0_4arch9wavefront6targetE0EEEvSL_
; %bb.0:
	.section	.rodata,"a",@progbits
	.p2align	6, 0x0
	.amdhsa_kernel _ZN7rocprim17ROCPRIM_400000_NS6detail17trampoline_kernelINS0_14default_configENS1_36segmented_radix_sort_config_selectorI12hip_bfloat16lEEZNS1_25segmented_radix_sort_implIS3_Lb0EPKS5_PS5_PKlPlN2at6native12_GLOBAL__N_18offset_tEEE10hipError_tPvRmT1_PNSt15iterator_traitsISL_E10value_typeET2_T3_PNSM_ISR_E10value_typeET4_jRbjT5_SX_jjP12ihipStream_tbEUlT_E1_NS1_11comp_targetILNS1_3genE9ELNS1_11target_archE1100ELNS1_3gpuE3ELNS1_3repE0EEENS1_59segmented_radix_sort_warp_sort_small_config_static_selectorELNS0_4arch9wavefront6targetE0EEEvSL_
		.amdhsa_group_segment_fixed_size 0
		.amdhsa_private_segment_fixed_size 0
		.amdhsa_kernarg_size 88
		.amdhsa_user_sgpr_count 2
		.amdhsa_user_sgpr_dispatch_ptr 0
		.amdhsa_user_sgpr_queue_ptr 0
		.amdhsa_user_sgpr_kernarg_segment_ptr 1
		.amdhsa_user_sgpr_dispatch_id 0
		.amdhsa_user_sgpr_kernarg_preload_length 0
		.amdhsa_user_sgpr_kernarg_preload_offset 0
		.amdhsa_user_sgpr_private_segment_size 0
		.amdhsa_wavefront_size32 1
		.amdhsa_uses_dynamic_stack 0
		.amdhsa_enable_private_segment 0
		.amdhsa_system_sgpr_workgroup_id_x 1
		.amdhsa_system_sgpr_workgroup_id_y 0
		.amdhsa_system_sgpr_workgroup_id_z 0
		.amdhsa_system_sgpr_workgroup_info 0
		.amdhsa_system_vgpr_workitem_id 0
		.amdhsa_next_free_vgpr 1
		.amdhsa_next_free_sgpr 1
		.amdhsa_named_barrier_count 0
		.amdhsa_reserve_vcc 0
		.amdhsa_float_round_mode_32 0
		.amdhsa_float_round_mode_16_64 0
		.amdhsa_float_denorm_mode_32 3
		.amdhsa_float_denorm_mode_16_64 3
		.amdhsa_fp16_overflow 0
		.amdhsa_memory_ordered 1
		.amdhsa_forward_progress 1
		.amdhsa_inst_pref_size 0
		.amdhsa_round_robin_scheduling 0
		.amdhsa_exception_fp_ieee_invalid_op 0
		.amdhsa_exception_fp_denorm_src 0
		.amdhsa_exception_fp_ieee_div_zero 0
		.amdhsa_exception_fp_ieee_overflow 0
		.amdhsa_exception_fp_ieee_underflow 0
		.amdhsa_exception_fp_ieee_inexact 0
		.amdhsa_exception_int_div_zero 0
	.end_amdhsa_kernel
	.section	.text._ZN7rocprim17ROCPRIM_400000_NS6detail17trampoline_kernelINS0_14default_configENS1_36segmented_radix_sort_config_selectorI12hip_bfloat16lEEZNS1_25segmented_radix_sort_implIS3_Lb0EPKS5_PS5_PKlPlN2at6native12_GLOBAL__N_18offset_tEEE10hipError_tPvRmT1_PNSt15iterator_traitsISL_E10value_typeET2_T3_PNSM_ISR_E10value_typeET4_jRbjT5_SX_jjP12ihipStream_tbEUlT_E1_NS1_11comp_targetILNS1_3genE9ELNS1_11target_archE1100ELNS1_3gpuE3ELNS1_3repE0EEENS1_59segmented_radix_sort_warp_sort_small_config_static_selectorELNS0_4arch9wavefront6targetE0EEEvSL_,"axG",@progbits,_ZN7rocprim17ROCPRIM_400000_NS6detail17trampoline_kernelINS0_14default_configENS1_36segmented_radix_sort_config_selectorI12hip_bfloat16lEEZNS1_25segmented_radix_sort_implIS3_Lb0EPKS5_PS5_PKlPlN2at6native12_GLOBAL__N_18offset_tEEE10hipError_tPvRmT1_PNSt15iterator_traitsISL_E10value_typeET2_T3_PNSM_ISR_E10value_typeET4_jRbjT5_SX_jjP12ihipStream_tbEUlT_E1_NS1_11comp_targetILNS1_3genE9ELNS1_11target_archE1100ELNS1_3gpuE3ELNS1_3repE0EEENS1_59segmented_radix_sort_warp_sort_small_config_static_selectorELNS0_4arch9wavefront6targetE0EEEvSL_,comdat
.Lfunc_end2067:
	.size	_ZN7rocprim17ROCPRIM_400000_NS6detail17trampoline_kernelINS0_14default_configENS1_36segmented_radix_sort_config_selectorI12hip_bfloat16lEEZNS1_25segmented_radix_sort_implIS3_Lb0EPKS5_PS5_PKlPlN2at6native12_GLOBAL__N_18offset_tEEE10hipError_tPvRmT1_PNSt15iterator_traitsISL_E10value_typeET2_T3_PNSM_ISR_E10value_typeET4_jRbjT5_SX_jjP12ihipStream_tbEUlT_E1_NS1_11comp_targetILNS1_3genE9ELNS1_11target_archE1100ELNS1_3gpuE3ELNS1_3repE0EEENS1_59segmented_radix_sort_warp_sort_small_config_static_selectorELNS0_4arch9wavefront6targetE0EEEvSL_, .Lfunc_end2067-_ZN7rocprim17ROCPRIM_400000_NS6detail17trampoline_kernelINS0_14default_configENS1_36segmented_radix_sort_config_selectorI12hip_bfloat16lEEZNS1_25segmented_radix_sort_implIS3_Lb0EPKS5_PS5_PKlPlN2at6native12_GLOBAL__N_18offset_tEEE10hipError_tPvRmT1_PNSt15iterator_traitsISL_E10value_typeET2_T3_PNSM_ISR_E10value_typeET4_jRbjT5_SX_jjP12ihipStream_tbEUlT_E1_NS1_11comp_targetILNS1_3genE9ELNS1_11target_archE1100ELNS1_3gpuE3ELNS1_3repE0EEENS1_59segmented_radix_sort_warp_sort_small_config_static_selectorELNS0_4arch9wavefront6targetE0EEEvSL_
                                        ; -- End function
	.set _ZN7rocprim17ROCPRIM_400000_NS6detail17trampoline_kernelINS0_14default_configENS1_36segmented_radix_sort_config_selectorI12hip_bfloat16lEEZNS1_25segmented_radix_sort_implIS3_Lb0EPKS5_PS5_PKlPlN2at6native12_GLOBAL__N_18offset_tEEE10hipError_tPvRmT1_PNSt15iterator_traitsISL_E10value_typeET2_T3_PNSM_ISR_E10value_typeET4_jRbjT5_SX_jjP12ihipStream_tbEUlT_E1_NS1_11comp_targetILNS1_3genE9ELNS1_11target_archE1100ELNS1_3gpuE3ELNS1_3repE0EEENS1_59segmented_radix_sort_warp_sort_small_config_static_selectorELNS0_4arch9wavefront6targetE0EEEvSL_.num_vgpr, 0
	.set _ZN7rocprim17ROCPRIM_400000_NS6detail17trampoline_kernelINS0_14default_configENS1_36segmented_radix_sort_config_selectorI12hip_bfloat16lEEZNS1_25segmented_radix_sort_implIS3_Lb0EPKS5_PS5_PKlPlN2at6native12_GLOBAL__N_18offset_tEEE10hipError_tPvRmT1_PNSt15iterator_traitsISL_E10value_typeET2_T3_PNSM_ISR_E10value_typeET4_jRbjT5_SX_jjP12ihipStream_tbEUlT_E1_NS1_11comp_targetILNS1_3genE9ELNS1_11target_archE1100ELNS1_3gpuE3ELNS1_3repE0EEENS1_59segmented_radix_sort_warp_sort_small_config_static_selectorELNS0_4arch9wavefront6targetE0EEEvSL_.num_agpr, 0
	.set _ZN7rocprim17ROCPRIM_400000_NS6detail17trampoline_kernelINS0_14default_configENS1_36segmented_radix_sort_config_selectorI12hip_bfloat16lEEZNS1_25segmented_radix_sort_implIS3_Lb0EPKS5_PS5_PKlPlN2at6native12_GLOBAL__N_18offset_tEEE10hipError_tPvRmT1_PNSt15iterator_traitsISL_E10value_typeET2_T3_PNSM_ISR_E10value_typeET4_jRbjT5_SX_jjP12ihipStream_tbEUlT_E1_NS1_11comp_targetILNS1_3genE9ELNS1_11target_archE1100ELNS1_3gpuE3ELNS1_3repE0EEENS1_59segmented_radix_sort_warp_sort_small_config_static_selectorELNS0_4arch9wavefront6targetE0EEEvSL_.numbered_sgpr, 0
	.set _ZN7rocprim17ROCPRIM_400000_NS6detail17trampoline_kernelINS0_14default_configENS1_36segmented_radix_sort_config_selectorI12hip_bfloat16lEEZNS1_25segmented_radix_sort_implIS3_Lb0EPKS5_PS5_PKlPlN2at6native12_GLOBAL__N_18offset_tEEE10hipError_tPvRmT1_PNSt15iterator_traitsISL_E10value_typeET2_T3_PNSM_ISR_E10value_typeET4_jRbjT5_SX_jjP12ihipStream_tbEUlT_E1_NS1_11comp_targetILNS1_3genE9ELNS1_11target_archE1100ELNS1_3gpuE3ELNS1_3repE0EEENS1_59segmented_radix_sort_warp_sort_small_config_static_selectorELNS0_4arch9wavefront6targetE0EEEvSL_.num_named_barrier, 0
	.set _ZN7rocprim17ROCPRIM_400000_NS6detail17trampoline_kernelINS0_14default_configENS1_36segmented_radix_sort_config_selectorI12hip_bfloat16lEEZNS1_25segmented_radix_sort_implIS3_Lb0EPKS5_PS5_PKlPlN2at6native12_GLOBAL__N_18offset_tEEE10hipError_tPvRmT1_PNSt15iterator_traitsISL_E10value_typeET2_T3_PNSM_ISR_E10value_typeET4_jRbjT5_SX_jjP12ihipStream_tbEUlT_E1_NS1_11comp_targetILNS1_3genE9ELNS1_11target_archE1100ELNS1_3gpuE3ELNS1_3repE0EEENS1_59segmented_radix_sort_warp_sort_small_config_static_selectorELNS0_4arch9wavefront6targetE0EEEvSL_.private_seg_size, 0
	.set _ZN7rocprim17ROCPRIM_400000_NS6detail17trampoline_kernelINS0_14default_configENS1_36segmented_radix_sort_config_selectorI12hip_bfloat16lEEZNS1_25segmented_radix_sort_implIS3_Lb0EPKS5_PS5_PKlPlN2at6native12_GLOBAL__N_18offset_tEEE10hipError_tPvRmT1_PNSt15iterator_traitsISL_E10value_typeET2_T3_PNSM_ISR_E10value_typeET4_jRbjT5_SX_jjP12ihipStream_tbEUlT_E1_NS1_11comp_targetILNS1_3genE9ELNS1_11target_archE1100ELNS1_3gpuE3ELNS1_3repE0EEENS1_59segmented_radix_sort_warp_sort_small_config_static_selectorELNS0_4arch9wavefront6targetE0EEEvSL_.uses_vcc, 0
	.set _ZN7rocprim17ROCPRIM_400000_NS6detail17trampoline_kernelINS0_14default_configENS1_36segmented_radix_sort_config_selectorI12hip_bfloat16lEEZNS1_25segmented_radix_sort_implIS3_Lb0EPKS5_PS5_PKlPlN2at6native12_GLOBAL__N_18offset_tEEE10hipError_tPvRmT1_PNSt15iterator_traitsISL_E10value_typeET2_T3_PNSM_ISR_E10value_typeET4_jRbjT5_SX_jjP12ihipStream_tbEUlT_E1_NS1_11comp_targetILNS1_3genE9ELNS1_11target_archE1100ELNS1_3gpuE3ELNS1_3repE0EEENS1_59segmented_radix_sort_warp_sort_small_config_static_selectorELNS0_4arch9wavefront6targetE0EEEvSL_.uses_flat_scratch, 0
	.set _ZN7rocprim17ROCPRIM_400000_NS6detail17trampoline_kernelINS0_14default_configENS1_36segmented_radix_sort_config_selectorI12hip_bfloat16lEEZNS1_25segmented_radix_sort_implIS3_Lb0EPKS5_PS5_PKlPlN2at6native12_GLOBAL__N_18offset_tEEE10hipError_tPvRmT1_PNSt15iterator_traitsISL_E10value_typeET2_T3_PNSM_ISR_E10value_typeET4_jRbjT5_SX_jjP12ihipStream_tbEUlT_E1_NS1_11comp_targetILNS1_3genE9ELNS1_11target_archE1100ELNS1_3gpuE3ELNS1_3repE0EEENS1_59segmented_radix_sort_warp_sort_small_config_static_selectorELNS0_4arch9wavefront6targetE0EEEvSL_.has_dyn_sized_stack, 0
	.set _ZN7rocprim17ROCPRIM_400000_NS6detail17trampoline_kernelINS0_14default_configENS1_36segmented_radix_sort_config_selectorI12hip_bfloat16lEEZNS1_25segmented_radix_sort_implIS3_Lb0EPKS5_PS5_PKlPlN2at6native12_GLOBAL__N_18offset_tEEE10hipError_tPvRmT1_PNSt15iterator_traitsISL_E10value_typeET2_T3_PNSM_ISR_E10value_typeET4_jRbjT5_SX_jjP12ihipStream_tbEUlT_E1_NS1_11comp_targetILNS1_3genE9ELNS1_11target_archE1100ELNS1_3gpuE3ELNS1_3repE0EEENS1_59segmented_radix_sort_warp_sort_small_config_static_selectorELNS0_4arch9wavefront6targetE0EEEvSL_.has_recursion, 0
	.set _ZN7rocprim17ROCPRIM_400000_NS6detail17trampoline_kernelINS0_14default_configENS1_36segmented_radix_sort_config_selectorI12hip_bfloat16lEEZNS1_25segmented_radix_sort_implIS3_Lb0EPKS5_PS5_PKlPlN2at6native12_GLOBAL__N_18offset_tEEE10hipError_tPvRmT1_PNSt15iterator_traitsISL_E10value_typeET2_T3_PNSM_ISR_E10value_typeET4_jRbjT5_SX_jjP12ihipStream_tbEUlT_E1_NS1_11comp_targetILNS1_3genE9ELNS1_11target_archE1100ELNS1_3gpuE3ELNS1_3repE0EEENS1_59segmented_radix_sort_warp_sort_small_config_static_selectorELNS0_4arch9wavefront6targetE0EEEvSL_.has_indirect_call, 0
	.section	.AMDGPU.csdata,"",@progbits
; Kernel info:
; codeLenInByte = 0
; TotalNumSgprs: 0
; NumVgprs: 0
; ScratchSize: 0
; MemoryBound: 0
; FloatMode: 240
; IeeeMode: 1
; LDSByteSize: 0 bytes/workgroup (compile time only)
; SGPRBlocks: 0
; VGPRBlocks: 0
; NumSGPRsForWavesPerEU: 1
; NumVGPRsForWavesPerEU: 1
; NamedBarCnt: 0
; Occupancy: 16
; WaveLimiterHint : 0
; COMPUTE_PGM_RSRC2:SCRATCH_EN: 0
; COMPUTE_PGM_RSRC2:USER_SGPR: 2
; COMPUTE_PGM_RSRC2:TRAP_HANDLER: 0
; COMPUTE_PGM_RSRC2:TGID_X_EN: 1
; COMPUTE_PGM_RSRC2:TGID_Y_EN: 0
; COMPUTE_PGM_RSRC2:TGID_Z_EN: 0
; COMPUTE_PGM_RSRC2:TIDIG_COMP_CNT: 0
	.section	.text._ZN7rocprim17ROCPRIM_400000_NS6detail17trampoline_kernelINS0_14default_configENS1_36segmented_radix_sort_config_selectorI12hip_bfloat16lEEZNS1_25segmented_radix_sort_implIS3_Lb0EPKS5_PS5_PKlPlN2at6native12_GLOBAL__N_18offset_tEEE10hipError_tPvRmT1_PNSt15iterator_traitsISL_E10value_typeET2_T3_PNSM_ISR_E10value_typeET4_jRbjT5_SX_jjP12ihipStream_tbEUlT_E1_NS1_11comp_targetILNS1_3genE8ELNS1_11target_archE1030ELNS1_3gpuE2ELNS1_3repE0EEENS1_59segmented_radix_sort_warp_sort_small_config_static_selectorELNS0_4arch9wavefront6targetE0EEEvSL_,"axG",@progbits,_ZN7rocprim17ROCPRIM_400000_NS6detail17trampoline_kernelINS0_14default_configENS1_36segmented_radix_sort_config_selectorI12hip_bfloat16lEEZNS1_25segmented_radix_sort_implIS3_Lb0EPKS5_PS5_PKlPlN2at6native12_GLOBAL__N_18offset_tEEE10hipError_tPvRmT1_PNSt15iterator_traitsISL_E10value_typeET2_T3_PNSM_ISR_E10value_typeET4_jRbjT5_SX_jjP12ihipStream_tbEUlT_E1_NS1_11comp_targetILNS1_3genE8ELNS1_11target_archE1030ELNS1_3gpuE2ELNS1_3repE0EEENS1_59segmented_radix_sort_warp_sort_small_config_static_selectorELNS0_4arch9wavefront6targetE0EEEvSL_,comdat
	.globl	_ZN7rocprim17ROCPRIM_400000_NS6detail17trampoline_kernelINS0_14default_configENS1_36segmented_radix_sort_config_selectorI12hip_bfloat16lEEZNS1_25segmented_radix_sort_implIS3_Lb0EPKS5_PS5_PKlPlN2at6native12_GLOBAL__N_18offset_tEEE10hipError_tPvRmT1_PNSt15iterator_traitsISL_E10value_typeET2_T3_PNSM_ISR_E10value_typeET4_jRbjT5_SX_jjP12ihipStream_tbEUlT_E1_NS1_11comp_targetILNS1_3genE8ELNS1_11target_archE1030ELNS1_3gpuE2ELNS1_3repE0EEENS1_59segmented_radix_sort_warp_sort_small_config_static_selectorELNS0_4arch9wavefront6targetE0EEEvSL_ ; -- Begin function _ZN7rocprim17ROCPRIM_400000_NS6detail17trampoline_kernelINS0_14default_configENS1_36segmented_radix_sort_config_selectorI12hip_bfloat16lEEZNS1_25segmented_radix_sort_implIS3_Lb0EPKS5_PS5_PKlPlN2at6native12_GLOBAL__N_18offset_tEEE10hipError_tPvRmT1_PNSt15iterator_traitsISL_E10value_typeET2_T3_PNSM_ISR_E10value_typeET4_jRbjT5_SX_jjP12ihipStream_tbEUlT_E1_NS1_11comp_targetILNS1_3genE8ELNS1_11target_archE1030ELNS1_3gpuE2ELNS1_3repE0EEENS1_59segmented_radix_sort_warp_sort_small_config_static_selectorELNS0_4arch9wavefront6targetE0EEEvSL_
	.p2align	8
	.type	_ZN7rocprim17ROCPRIM_400000_NS6detail17trampoline_kernelINS0_14default_configENS1_36segmented_radix_sort_config_selectorI12hip_bfloat16lEEZNS1_25segmented_radix_sort_implIS3_Lb0EPKS5_PS5_PKlPlN2at6native12_GLOBAL__N_18offset_tEEE10hipError_tPvRmT1_PNSt15iterator_traitsISL_E10value_typeET2_T3_PNSM_ISR_E10value_typeET4_jRbjT5_SX_jjP12ihipStream_tbEUlT_E1_NS1_11comp_targetILNS1_3genE8ELNS1_11target_archE1030ELNS1_3gpuE2ELNS1_3repE0EEENS1_59segmented_radix_sort_warp_sort_small_config_static_selectorELNS0_4arch9wavefront6targetE0EEEvSL_,@function
_ZN7rocprim17ROCPRIM_400000_NS6detail17trampoline_kernelINS0_14default_configENS1_36segmented_radix_sort_config_selectorI12hip_bfloat16lEEZNS1_25segmented_radix_sort_implIS3_Lb0EPKS5_PS5_PKlPlN2at6native12_GLOBAL__N_18offset_tEEE10hipError_tPvRmT1_PNSt15iterator_traitsISL_E10value_typeET2_T3_PNSM_ISR_E10value_typeET4_jRbjT5_SX_jjP12ihipStream_tbEUlT_E1_NS1_11comp_targetILNS1_3genE8ELNS1_11target_archE1030ELNS1_3gpuE2ELNS1_3repE0EEENS1_59segmented_radix_sort_warp_sort_small_config_static_selectorELNS0_4arch9wavefront6targetE0EEEvSL_: ; @_ZN7rocprim17ROCPRIM_400000_NS6detail17trampoline_kernelINS0_14default_configENS1_36segmented_radix_sort_config_selectorI12hip_bfloat16lEEZNS1_25segmented_radix_sort_implIS3_Lb0EPKS5_PS5_PKlPlN2at6native12_GLOBAL__N_18offset_tEEE10hipError_tPvRmT1_PNSt15iterator_traitsISL_E10value_typeET2_T3_PNSM_ISR_E10value_typeET4_jRbjT5_SX_jjP12ihipStream_tbEUlT_E1_NS1_11comp_targetILNS1_3genE8ELNS1_11target_archE1030ELNS1_3gpuE2ELNS1_3repE0EEENS1_59segmented_radix_sort_warp_sort_small_config_static_selectorELNS0_4arch9wavefront6targetE0EEEvSL_
; %bb.0:
	.section	.rodata,"a",@progbits
	.p2align	6, 0x0
	.amdhsa_kernel _ZN7rocprim17ROCPRIM_400000_NS6detail17trampoline_kernelINS0_14default_configENS1_36segmented_radix_sort_config_selectorI12hip_bfloat16lEEZNS1_25segmented_radix_sort_implIS3_Lb0EPKS5_PS5_PKlPlN2at6native12_GLOBAL__N_18offset_tEEE10hipError_tPvRmT1_PNSt15iterator_traitsISL_E10value_typeET2_T3_PNSM_ISR_E10value_typeET4_jRbjT5_SX_jjP12ihipStream_tbEUlT_E1_NS1_11comp_targetILNS1_3genE8ELNS1_11target_archE1030ELNS1_3gpuE2ELNS1_3repE0EEENS1_59segmented_radix_sort_warp_sort_small_config_static_selectorELNS0_4arch9wavefront6targetE0EEEvSL_
		.amdhsa_group_segment_fixed_size 0
		.amdhsa_private_segment_fixed_size 0
		.amdhsa_kernarg_size 88
		.amdhsa_user_sgpr_count 2
		.amdhsa_user_sgpr_dispatch_ptr 0
		.amdhsa_user_sgpr_queue_ptr 0
		.amdhsa_user_sgpr_kernarg_segment_ptr 1
		.amdhsa_user_sgpr_dispatch_id 0
		.amdhsa_user_sgpr_kernarg_preload_length 0
		.amdhsa_user_sgpr_kernarg_preload_offset 0
		.amdhsa_user_sgpr_private_segment_size 0
		.amdhsa_wavefront_size32 1
		.amdhsa_uses_dynamic_stack 0
		.amdhsa_enable_private_segment 0
		.amdhsa_system_sgpr_workgroup_id_x 1
		.amdhsa_system_sgpr_workgroup_id_y 0
		.amdhsa_system_sgpr_workgroup_id_z 0
		.amdhsa_system_sgpr_workgroup_info 0
		.amdhsa_system_vgpr_workitem_id 0
		.amdhsa_next_free_vgpr 1
		.amdhsa_next_free_sgpr 1
		.amdhsa_named_barrier_count 0
		.amdhsa_reserve_vcc 0
		.amdhsa_float_round_mode_32 0
		.amdhsa_float_round_mode_16_64 0
		.amdhsa_float_denorm_mode_32 3
		.amdhsa_float_denorm_mode_16_64 3
		.amdhsa_fp16_overflow 0
		.amdhsa_memory_ordered 1
		.amdhsa_forward_progress 1
		.amdhsa_inst_pref_size 0
		.amdhsa_round_robin_scheduling 0
		.amdhsa_exception_fp_ieee_invalid_op 0
		.amdhsa_exception_fp_denorm_src 0
		.amdhsa_exception_fp_ieee_div_zero 0
		.amdhsa_exception_fp_ieee_overflow 0
		.amdhsa_exception_fp_ieee_underflow 0
		.amdhsa_exception_fp_ieee_inexact 0
		.amdhsa_exception_int_div_zero 0
	.end_amdhsa_kernel
	.section	.text._ZN7rocprim17ROCPRIM_400000_NS6detail17trampoline_kernelINS0_14default_configENS1_36segmented_radix_sort_config_selectorI12hip_bfloat16lEEZNS1_25segmented_radix_sort_implIS3_Lb0EPKS5_PS5_PKlPlN2at6native12_GLOBAL__N_18offset_tEEE10hipError_tPvRmT1_PNSt15iterator_traitsISL_E10value_typeET2_T3_PNSM_ISR_E10value_typeET4_jRbjT5_SX_jjP12ihipStream_tbEUlT_E1_NS1_11comp_targetILNS1_3genE8ELNS1_11target_archE1030ELNS1_3gpuE2ELNS1_3repE0EEENS1_59segmented_radix_sort_warp_sort_small_config_static_selectorELNS0_4arch9wavefront6targetE0EEEvSL_,"axG",@progbits,_ZN7rocprim17ROCPRIM_400000_NS6detail17trampoline_kernelINS0_14default_configENS1_36segmented_radix_sort_config_selectorI12hip_bfloat16lEEZNS1_25segmented_radix_sort_implIS3_Lb0EPKS5_PS5_PKlPlN2at6native12_GLOBAL__N_18offset_tEEE10hipError_tPvRmT1_PNSt15iterator_traitsISL_E10value_typeET2_T3_PNSM_ISR_E10value_typeET4_jRbjT5_SX_jjP12ihipStream_tbEUlT_E1_NS1_11comp_targetILNS1_3genE8ELNS1_11target_archE1030ELNS1_3gpuE2ELNS1_3repE0EEENS1_59segmented_radix_sort_warp_sort_small_config_static_selectorELNS0_4arch9wavefront6targetE0EEEvSL_,comdat
.Lfunc_end2068:
	.size	_ZN7rocprim17ROCPRIM_400000_NS6detail17trampoline_kernelINS0_14default_configENS1_36segmented_radix_sort_config_selectorI12hip_bfloat16lEEZNS1_25segmented_radix_sort_implIS3_Lb0EPKS5_PS5_PKlPlN2at6native12_GLOBAL__N_18offset_tEEE10hipError_tPvRmT1_PNSt15iterator_traitsISL_E10value_typeET2_T3_PNSM_ISR_E10value_typeET4_jRbjT5_SX_jjP12ihipStream_tbEUlT_E1_NS1_11comp_targetILNS1_3genE8ELNS1_11target_archE1030ELNS1_3gpuE2ELNS1_3repE0EEENS1_59segmented_radix_sort_warp_sort_small_config_static_selectorELNS0_4arch9wavefront6targetE0EEEvSL_, .Lfunc_end2068-_ZN7rocprim17ROCPRIM_400000_NS6detail17trampoline_kernelINS0_14default_configENS1_36segmented_radix_sort_config_selectorI12hip_bfloat16lEEZNS1_25segmented_radix_sort_implIS3_Lb0EPKS5_PS5_PKlPlN2at6native12_GLOBAL__N_18offset_tEEE10hipError_tPvRmT1_PNSt15iterator_traitsISL_E10value_typeET2_T3_PNSM_ISR_E10value_typeET4_jRbjT5_SX_jjP12ihipStream_tbEUlT_E1_NS1_11comp_targetILNS1_3genE8ELNS1_11target_archE1030ELNS1_3gpuE2ELNS1_3repE0EEENS1_59segmented_radix_sort_warp_sort_small_config_static_selectorELNS0_4arch9wavefront6targetE0EEEvSL_
                                        ; -- End function
	.set _ZN7rocprim17ROCPRIM_400000_NS6detail17trampoline_kernelINS0_14default_configENS1_36segmented_radix_sort_config_selectorI12hip_bfloat16lEEZNS1_25segmented_radix_sort_implIS3_Lb0EPKS5_PS5_PKlPlN2at6native12_GLOBAL__N_18offset_tEEE10hipError_tPvRmT1_PNSt15iterator_traitsISL_E10value_typeET2_T3_PNSM_ISR_E10value_typeET4_jRbjT5_SX_jjP12ihipStream_tbEUlT_E1_NS1_11comp_targetILNS1_3genE8ELNS1_11target_archE1030ELNS1_3gpuE2ELNS1_3repE0EEENS1_59segmented_radix_sort_warp_sort_small_config_static_selectorELNS0_4arch9wavefront6targetE0EEEvSL_.num_vgpr, 0
	.set _ZN7rocprim17ROCPRIM_400000_NS6detail17trampoline_kernelINS0_14default_configENS1_36segmented_radix_sort_config_selectorI12hip_bfloat16lEEZNS1_25segmented_radix_sort_implIS3_Lb0EPKS5_PS5_PKlPlN2at6native12_GLOBAL__N_18offset_tEEE10hipError_tPvRmT1_PNSt15iterator_traitsISL_E10value_typeET2_T3_PNSM_ISR_E10value_typeET4_jRbjT5_SX_jjP12ihipStream_tbEUlT_E1_NS1_11comp_targetILNS1_3genE8ELNS1_11target_archE1030ELNS1_3gpuE2ELNS1_3repE0EEENS1_59segmented_radix_sort_warp_sort_small_config_static_selectorELNS0_4arch9wavefront6targetE0EEEvSL_.num_agpr, 0
	.set _ZN7rocprim17ROCPRIM_400000_NS6detail17trampoline_kernelINS0_14default_configENS1_36segmented_radix_sort_config_selectorI12hip_bfloat16lEEZNS1_25segmented_radix_sort_implIS3_Lb0EPKS5_PS5_PKlPlN2at6native12_GLOBAL__N_18offset_tEEE10hipError_tPvRmT1_PNSt15iterator_traitsISL_E10value_typeET2_T3_PNSM_ISR_E10value_typeET4_jRbjT5_SX_jjP12ihipStream_tbEUlT_E1_NS1_11comp_targetILNS1_3genE8ELNS1_11target_archE1030ELNS1_3gpuE2ELNS1_3repE0EEENS1_59segmented_radix_sort_warp_sort_small_config_static_selectorELNS0_4arch9wavefront6targetE0EEEvSL_.numbered_sgpr, 0
	.set _ZN7rocprim17ROCPRIM_400000_NS6detail17trampoline_kernelINS0_14default_configENS1_36segmented_radix_sort_config_selectorI12hip_bfloat16lEEZNS1_25segmented_radix_sort_implIS3_Lb0EPKS5_PS5_PKlPlN2at6native12_GLOBAL__N_18offset_tEEE10hipError_tPvRmT1_PNSt15iterator_traitsISL_E10value_typeET2_T3_PNSM_ISR_E10value_typeET4_jRbjT5_SX_jjP12ihipStream_tbEUlT_E1_NS1_11comp_targetILNS1_3genE8ELNS1_11target_archE1030ELNS1_3gpuE2ELNS1_3repE0EEENS1_59segmented_radix_sort_warp_sort_small_config_static_selectorELNS0_4arch9wavefront6targetE0EEEvSL_.num_named_barrier, 0
	.set _ZN7rocprim17ROCPRIM_400000_NS6detail17trampoline_kernelINS0_14default_configENS1_36segmented_radix_sort_config_selectorI12hip_bfloat16lEEZNS1_25segmented_radix_sort_implIS3_Lb0EPKS5_PS5_PKlPlN2at6native12_GLOBAL__N_18offset_tEEE10hipError_tPvRmT1_PNSt15iterator_traitsISL_E10value_typeET2_T3_PNSM_ISR_E10value_typeET4_jRbjT5_SX_jjP12ihipStream_tbEUlT_E1_NS1_11comp_targetILNS1_3genE8ELNS1_11target_archE1030ELNS1_3gpuE2ELNS1_3repE0EEENS1_59segmented_radix_sort_warp_sort_small_config_static_selectorELNS0_4arch9wavefront6targetE0EEEvSL_.private_seg_size, 0
	.set _ZN7rocprim17ROCPRIM_400000_NS6detail17trampoline_kernelINS0_14default_configENS1_36segmented_radix_sort_config_selectorI12hip_bfloat16lEEZNS1_25segmented_radix_sort_implIS3_Lb0EPKS5_PS5_PKlPlN2at6native12_GLOBAL__N_18offset_tEEE10hipError_tPvRmT1_PNSt15iterator_traitsISL_E10value_typeET2_T3_PNSM_ISR_E10value_typeET4_jRbjT5_SX_jjP12ihipStream_tbEUlT_E1_NS1_11comp_targetILNS1_3genE8ELNS1_11target_archE1030ELNS1_3gpuE2ELNS1_3repE0EEENS1_59segmented_radix_sort_warp_sort_small_config_static_selectorELNS0_4arch9wavefront6targetE0EEEvSL_.uses_vcc, 0
	.set _ZN7rocprim17ROCPRIM_400000_NS6detail17trampoline_kernelINS0_14default_configENS1_36segmented_radix_sort_config_selectorI12hip_bfloat16lEEZNS1_25segmented_radix_sort_implIS3_Lb0EPKS5_PS5_PKlPlN2at6native12_GLOBAL__N_18offset_tEEE10hipError_tPvRmT1_PNSt15iterator_traitsISL_E10value_typeET2_T3_PNSM_ISR_E10value_typeET4_jRbjT5_SX_jjP12ihipStream_tbEUlT_E1_NS1_11comp_targetILNS1_3genE8ELNS1_11target_archE1030ELNS1_3gpuE2ELNS1_3repE0EEENS1_59segmented_radix_sort_warp_sort_small_config_static_selectorELNS0_4arch9wavefront6targetE0EEEvSL_.uses_flat_scratch, 0
	.set _ZN7rocprim17ROCPRIM_400000_NS6detail17trampoline_kernelINS0_14default_configENS1_36segmented_radix_sort_config_selectorI12hip_bfloat16lEEZNS1_25segmented_radix_sort_implIS3_Lb0EPKS5_PS5_PKlPlN2at6native12_GLOBAL__N_18offset_tEEE10hipError_tPvRmT1_PNSt15iterator_traitsISL_E10value_typeET2_T3_PNSM_ISR_E10value_typeET4_jRbjT5_SX_jjP12ihipStream_tbEUlT_E1_NS1_11comp_targetILNS1_3genE8ELNS1_11target_archE1030ELNS1_3gpuE2ELNS1_3repE0EEENS1_59segmented_radix_sort_warp_sort_small_config_static_selectorELNS0_4arch9wavefront6targetE0EEEvSL_.has_dyn_sized_stack, 0
	.set _ZN7rocprim17ROCPRIM_400000_NS6detail17trampoline_kernelINS0_14default_configENS1_36segmented_radix_sort_config_selectorI12hip_bfloat16lEEZNS1_25segmented_radix_sort_implIS3_Lb0EPKS5_PS5_PKlPlN2at6native12_GLOBAL__N_18offset_tEEE10hipError_tPvRmT1_PNSt15iterator_traitsISL_E10value_typeET2_T3_PNSM_ISR_E10value_typeET4_jRbjT5_SX_jjP12ihipStream_tbEUlT_E1_NS1_11comp_targetILNS1_3genE8ELNS1_11target_archE1030ELNS1_3gpuE2ELNS1_3repE0EEENS1_59segmented_radix_sort_warp_sort_small_config_static_selectorELNS0_4arch9wavefront6targetE0EEEvSL_.has_recursion, 0
	.set _ZN7rocprim17ROCPRIM_400000_NS6detail17trampoline_kernelINS0_14default_configENS1_36segmented_radix_sort_config_selectorI12hip_bfloat16lEEZNS1_25segmented_radix_sort_implIS3_Lb0EPKS5_PS5_PKlPlN2at6native12_GLOBAL__N_18offset_tEEE10hipError_tPvRmT1_PNSt15iterator_traitsISL_E10value_typeET2_T3_PNSM_ISR_E10value_typeET4_jRbjT5_SX_jjP12ihipStream_tbEUlT_E1_NS1_11comp_targetILNS1_3genE8ELNS1_11target_archE1030ELNS1_3gpuE2ELNS1_3repE0EEENS1_59segmented_radix_sort_warp_sort_small_config_static_selectorELNS0_4arch9wavefront6targetE0EEEvSL_.has_indirect_call, 0
	.section	.AMDGPU.csdata,"",@progbits
; Kernel info:
; codeLenInByte = 0
; TotalNumSgprs: 0
; NumVgprs: 0
; ScratchSize: 0
; MemoryBound: 0
; FloatMode: 240
; IeeeMode: 1
; LDSByteSize: 0 bytes/workgroup (compile time only)
; SGPRBlocks: 0
; VGPRBlocks: 0
; NumSGPRsForWavesPerEU: 1
; NumVGPRsForWavesPerEU: 1
; NamedBarCnt: 0
; Occupancy: 16
; WaveLimiterHint : 0
; COMPUTE_PGM_RSRC2:SCRATCH_EN: 0
; COMPUTE_PGM_RSRC2:USER_SGPR: 2
; COMPUTE_PGM_RSRC2:TRAP_HANDLER: 0
; COMPUTE_PGM_RSRC2:TGID_X_EN: 1
; COMPUTE_PGM_RSRC2:TGID_Y_EN: 0
; COMPUTE_PGM_RSRC2:TGID_Z_EN: 0
; COMPUTE_PGM_RSRC2:TIDIG_COMP_CNT: 0
	.section	.text._ZN7rocprim17ROCPRIM_400000_NS6detail17trampoline_kernelINS0_14default_configENS1_36segmented_radix_sort_config_selectorI12hip_bfloat16lEEZNS1_25segmented_radix_sort_implIS3_Lb0EPKS5_PS5_PKlPlN2at6native12_GLOBAL__N_18offset_tEEE10hipError_tPvRmT1_PNSt15iterator_traitsISL_E10value_typeET2_T3_PNSM_ISR_E10value_typeET4_jRbjT5_SX_jjP12ihipStream_tbEUlT_E2_NS1_11comp_targetILNS1_3genE0ELNS1_11target_archE4294967295ELNS1_3gpuE0ELNS1_3repE0EEENS1_30default_config_static_selectorELNS0_4arch9wavefront6targetE0EEEvSL_,"axG",@progbits,_ZN7rocprim17ROCPRIM_400000_NS6detail17trampoline_kernelINS0_14default_configENS1_36segmented_radix_sort_config_selectorI12hip_bfloat16lEEZNS1_25segmented_radix_sort_implIS3_Lb0EPKS5_PS5_PKlPlN2at6native12_GLOBAL__N_18offset_tEEE10hipError_tPvRmT1_PNSt15iterator_traitsISL_E10value_typeET2_T3_PNSM_ISR_E10value_typeET4_jRbjT5_SX_jjP12ihipStream_tbEUlT_E2_NS1_11comp_targetILNS1_3genE0ELNS1_11target_archE4294967295ELNS1_3gpuE0ELNS1_3repE0EEENS1_30default_config_static_selectorELNS0_4arch9wavefront6targetE0EEEvSL_,comdat
	.globl	_ZN7rocprim17ROCPRIM_400000_NS6detail17trampoline_kernelINS0_14default_configENS1_36segmented_radix_sort_config_selectorI12hip_bfloat16lEEZNS1_25segmented_radix_sort_implIS3_Lb0EPKS5_PS5_PKlPlN2at6native12_GLOBAL__N_18offset_tEEE10hipError_tPvRmT1_PNSt15iterator_traitsISL_E10value_typeET2_T3_PNSM_ISR_E10value_typeET4_jRbjT5_SX_jjP12ihipStream_tbEUlT_E2_NS1_11comp_targetILNS1_3genE0ELNS1_11target_archE4294967295ELNS1_3gpuE0ELNS1_3repE0EEENS1_30default_config_static_selectorELNS0_4arch9wavefront6targetE0EEEvSL_ ; -- Begin function _ZN7rocprim17ROCPRIM_400000_NS6detail17trampoline_kernelINS0_14default_configENS1_36segmented_radix_sort_config_selectorI12hip_bfloat16lEEZNS1_25segmented_radix_sort_implIS3_Lb0EPKS5_PS5_PKlPlN2at6native12_GLOBAL__N_18offset_tEEE10hipError_tPvRmT1_PNSt15iterator_traitsISL_E10value_typeET2_T3_PNSM_ISR_E10value_typeET4_jRbjT5_SX_jjP12ihipStream_tbEUlT_E2_NS1_11comp_targetILNS1_3genE0ELNS1_11target_archE4294967295ELNS1_3gpuE0ELNS1_3repE0EEENS1_30default_config_static_selectorELNS0_4arch9wavefront6targetE0EEEvSL_
	.p2align	8
	.type	_ZN7rocprim17ROCPRIM_400000_NS6detail17trampoline_kernelINS0_14default_configENS1_36segmented_radix_sort_config_selectorI12hip_bfloat16lEEZNS1_25segmented_radix_sort_implIS3_Lb0EPKS5_PS5_PKlPlN2at6native12_GLOBAL__N_18offset_tEEE10hipError_tPvRmT1_PNSt15iterator_traitsISL_E10value_typeET2_T3_PNSM_ISR_E10value_typeET4_jRbjT5_SX_jjP12ihipStream_tbEUlT_E2_NS1_11comp_targetILNS1_3genE0ELNS1_11target_archE4294967295ELNS1_3gpuE0ELNS1_3repE0EEENS1_30default_config_static_selectorELNS0_4arch9wavefront6targetE0EEEvSL_,@function
_ZN7rocprim17ROCPRIM_400000_NS6detail17trampoline_kernelINS0_14default_configENS1_36segmented_radix_sort_config_selectorI12hip_bfloat16lEEZNS1_25segmented_radix_sort_implIS3_Lb0EPKS5_PS5_PKlPlN2at6native12_GLOBAL__N_18offset_tEEE10hipError_tPvRmT1_PNSt15iterator_traitsISL_E10value_typeET2_T3_PNSM_ISR_E10value_typeET4_jRbjT5_SX_jjP12ihipStream_tbEUlT_E2_NS1_11comp_targetILNS1_3genE0ELNS1_11target_archE4294967295ELNS1_3gpuE0ELNS1_3repE0EEENS1_30default_config_static_selectorELNS0_4arch9wavefront6targetE0EEEvSL_: ; @_ZN7rocprim17ROCPRIM_400000_NS6detail17trampoline_kernelINS0_14default_configENS1_36segmented_radix_sort_config_selectorI12hip_bfloat16lEEZNS1_25segmented_radix_sort_implIS3_Lb0EPKS5_PS5_PKlPlN2at6native12_GLOBAL__N_18offset_tEEE10hipError_tPvRmT1_PNSt15iterator_traitsISL_E10value_typeET2_T3_PNSM_ISR_E10value_typeET4_jRbjT5_SX_jjP12ihipStream_tbEUlT_E2_NS1_11comp_targetILNS1_3genE0ELNS1_11target_archE4294967295ELNS1_3gpuE0ELNS1_3repE0EEENS1_30default_config_static_selectorELNS0_4arch9wavefront6targetE0EEEvSL_
; %bb.0:
	s_load_b128 s[4:7], s[2:3], 0x34
	s_bfe_u32 s8, ttmp6, 0x4000c
	s_and_b32 s9, ttmp6, 15
	s_add_co_i32 s8, s8, 1
	s_getreg_b32 s27, hwreg(HW_REG_IB_STS2, 6, 4)
	s_mul_i32 s8, ttmp9, s8
	s_mov_b32 s32, 0
	s_add_co_i32 s9, s9, s8
	s_cmp_eq_u32 s27, 0
	s_cselect_b32 s33, ttmp9, s9
	s_wait_kmcnt 0x0
	s_add_co_i32 s51, s7, s33
	s_add_co_i32 s54, s5, s33
	s_mul_i32 s51, s51, s6
	s_mul_i32 s54, s54, s4
	s_delay_alu instid0(SALU_CYCLE_1)
	s_cmp_le_u32 s51, s54
	s_cbranch_scc1 .LBB2069_1190
; %bb.1:
	s_clause 0x3
	s_load_b32 s4, s[2:3], 0x30
	s_load_b128 s[44:47], s[2:3], 0x20
	s_load_b96 s[48:50], s[2:3], 0x44
	s_load_b256 s[36:43], s[2:3], 0x0
	s_wait_kmcnt 0x0
	s_bitcmp1_b32 s4, 0
	s_mov_b32 s4, -1
	s_cselect_b32 s55, -1, 0
	s_sub_co_i32 s56, s51, s54
	s_delay_alu instid0(SALU_CYCLE_1)
	s_cmp_lt_u32 s56, 0x1001
	s_cbranch_scc0 .LBB2069_15
; %bb.2:
	s_cmp_lt_u32 s56, 33
	s_cbranch_scc0 .LBB2069_9
; %bb.3:
	s_load_b32 s4, s[2:3], 0x5c
	v_bfe_u32 v1, v0, 10, 10
	v_bfe_u32 v2, v0, 20, 10
	s_mov_b32 s13, exec_lo
	s_wait_kmcnt 0x0
	s_lshr_b32 s5, s4, 16
	s_and_b32 s4, s4, 0xffff
	v_mad_u32_u24 v1, v2, s5, v1
	v_and_b32_e32 v2, 0x3ff, v0
	s_delay_alu instid0(VALU_DEP_1) | instskip(NEXT) | instid1(VALU_DEP_1)
	v_mad_u32 v1, v1, s4, v2
	v_cmpx_gt_u32_e32 8, v1
	s_cbranch_execz .LBB2069_8
; %bb.4:
	v_cndmask_b32_e64 v1, 0, 1, s55
	s_and_b32 s4, s48, 1
	s_get_pc_i64 s[14:15]
	s_add_nc_u64 s[14:15], s[14:15], _ZN7rocprim17ROCPRIM_400000_NS6detail26segmented_warp_sort_helperINS1_20WarpSortHelperConfigILj8ELj4ELj256EEE12hip_bfloat16lLi256ELb0EvE4sortIPKS5_PS5_PKlPlEEvT_T0_T1_T2_jjjjRNS6_12storage_typeE@rel64+4
	s_delay_alu instid0(VALU_DEP_1)
	v_cmp_ne_u32_e32 vcc_lo, s4, v1
	s_mov_b32 s4, -1
	s_cbranch_vccnz .LBB2069_6
; %bb.5:
	s_mov_b64 s[4:5], src_shared_base
	v_dual_mov_b32 v31, v0 :: v_dual_mov_b32 v40, v0
	v_dual_mov_b32 v0, s36 :: v_dual_mov_b32 v1, s37
	;; [unrolled: 1-line block ×7, first 2 shown]
	s_add_nc_u64 s[8:9], s[2:3], 0x50
	s_mov_b64 s[6:7], s[0:1]
	s_mov_b64 s[16:17], s[2:3]
	;; [unrolled: 1-line block ×3, first 2 shown]
	s_swap_pc_i64 s[30:31], s[14:15]
	v_mov_b32_e32 v0, v40
	s_mov_b64 s[0:1], s[18:19]
	s_mov_b64 s[2:3], s[16:17]
	s_mov_b32 s4, 0
.LBB2069_6:
	s_delay_alu instid0(SALU_CYCLE_1)
	s_and_not1_b32 vcc_lo, exec_lo, s4
	s_cbranch_vccnz .LBB2069_8
; %bb.7:
	s_mov_b64 s[4:5], src_shared_base
	v_dual_mov_b32 v31, v0 :: v_dual_mov_b32 v40, v0
	v_dual_mov_b32 v0, s36 :: v_dual_mov_b32 v1, s37
	;; [unrolled: 1-line block ×7, first 2 shown]
	s_add_nc_u64 s[8:9], s[2:3], 0x50
	s_mov_b64 s[6:7], s[0:1]
	s_mov_b64 s[16:17], s[2:3]
	;; [unrolled: 1-line block ×3, first 2 shown]
	s_swap_pc_i64 s[30:31], s[14:15]
	v_mov_b32_e32 v0, v40
	s_mov_b64 s[0:1], s[18:19]
	s_mov_b64 s[2:3], s[16:17]
.LBB2069_8:
	s_or_b32 exec_lo, exec_lo, s13
	s_mov_b32 s4, 0
.LBB2069_9:
	s_delay_alu instid0(SALU_CYCLE_1)
	s_and_not1_b32 vcc_lo, exec_lo, s4
	s_cbranch_vccnz .LBB2069_14
; %bb.10:
	v_cndmask_b32_e64 v1, 0, 1, s55
	s_and_b32 s4, s48, 1
	s_get_pc_i64 s[28:29]
	s_add_nc_u64 s[28:29], s[28:29], _ZN7rocprim17ROCPRIM_400000_NS6detail40segmented_radix_sort_single_block_helperI12hip_bfloat16lLj256ELj16ELb0EE4sortIPKS3_PS3_PKlPlEEbT_T0_T1_T2_jjjjRNS4_12storage_typeE@rel64+4
	s_delay_alu instid0(VALU_DEP_1)
	v_cmp_ne_u32_e32 vcc_lo, s4, v1
	s_mov_b32 s4, -1
	s_cbranch_vccnz .LBB2069_12
; %bb.11:
	s_mov_b64 s[4:5], src_shared_base
	v_dual_mov_b32 v31, v0 :: v_dual_mov_b32 v40, v0
	v_dual_mov_b32 v0, s36 :: v_dual_mov_b32 v1, s37
	v_dual_mov_b32 v2, s40 :: v_dual_mov_b32 v3, s41
	v_dual_mov_b32 v4, s42 :: v_dual_mov_b32 v5, s43
	v_dual_mov_b32 v6, s46 :: v_dual_mov_b32 v7, s47
	v_dual_mov_b32 v8, s54 :: v_dual_mov_b32 v9, s51
	v_dual_mov_b32 v10, s49 :: v_dual_mov_b32 v11, s50
	v_dual_mov_b32 v12, 0 :: v_dual_mov_b32 v13, s5
	s_add_nc_u64 s[8:9], s[2:3], 0x50
	s_mov_b64 s[6:7], s[0:1]
	s_mov_b64 s[34:35], s[2:3]
	;; [unrolled: 1-line block ×3, first 2 shown]
	s_swap_pc_i64 s[30:31], s[28:29]
	v_mov_b32_e32 v0, v40
	s_mov_b64 s[0:1], s[52:53]
	s_mov_b64 s[2:3], s[34:35]
	s_mov_b32 s4, 0
.LBB2069_12:
	s_delay_alu instid0(SALU_CYCLE_1)
	s_and_not1_b32 vcc_lo, exec_lo, s4
	s_cbranch_vccnz .LBB2069_14
; %bb.13:
	s_mov_b64 s[4:5], src_shared_base
	v_dual_mov_b32 v31, v0 :: v_dual_mov_b32 v40, v0
	v_dual_mov_b32 v0, s36 :: v_dual_mov_b32 v1, s37
	;; [unrolled: 1-line block ×8, first 2 shown]
	s_add_nc_u64 s[8:9], s[2:3], 0x50
	s_mov_b64 s[6:7], s[0:1]
	s_mov_b64 s[34:35], s[2:3]
	s_swap_pc_i64 s[30:31], s[28:29]
	v_mov_b32_e32 v0, v40
	s_mov_b64 s[2:3], s[34:35]
.LBB2069_14:
	s_mov_b32 s4, 0
.LBB2069_15:
	s_delay_alu instid0(SALU_CYCLE_1)
	s_and_not1_b32 vcc_lo, exec_lo, s4
	s_cbranch_vccnz .LBB2069_1190
; %bb.16:
	s_cmp_ge_u32 s49, s50
	s_cbranch_scc1 .LBB2069_1190
; %bb.17:
	v_and_b32_e32 v2, 0x3ff, v0
	v_dual_mov_b32 v5, 0 :: v_dual_bitop2_b32 v1, 3, v0 bitop3:0x40
	v_lshrrev_b32_e32 v8, 3, v0
	v_bfe_u32 v89, v0, 20, 10
	s_delay_alu instid0(VALU_DEP_4) | instskip(NEXT) | instid1(VALU_DEP_4)
	v_dual_lshlrev_b32 v3, 2, v2 :: v_dual_lshlrev_b32 v4, 1, v2
	v_dual_lshlrev_b32 v83, 2, v1 :: v_dual_bitop2_b32 v1, 31, v2 bitop3:0x54
	s_delay_alu instid0(VALU_DEP_4) | instskip(NEXT) | instid1(VALU_DEP_3)
	v_dual_lshlrev_b32 v8, 4, v2 :: v_dual_bitop2_b32 v84, 28, v8 bitop3:0x40
	v_mad_u32_u24 v85, v2, 12, v3
	v_bfe_u32 v90, v0, 10, 10
	v_lshlrev_b32_e32 v0, 5, v2
	v_mbcnt_lo_u32_b32 v95, -1, 0
	v_and_b32_e32 v22, 0xe00, v8
	v_mad_u32_u24 v91, v2, 20, v85
	v_dual_mov_b32 v19, v5 :: v_dual_add_nc_u32 v88, 0x83fc, v84
	s_delay_alu instid0(VALU_DEP_3)
	v_dual_mov_b32 v21, v5 :: v_dual_lshlrev_b32 v18, 3, v22
	v_lshlrev_b32_e32 v20, 1, v22
	s_bfe_u32 s6, ttmp6, 0x40010
	v_sub_nc_u32_e32 v92, v91, v0
	v_dual_lshlrev_b32 v22, 1, v95 :: v_dual_bitop2_b32 v100, v95, v22 bitop3:0x54
	s_add_co_i32 s6, s6, 1
	v_add_nc_u64_e32 v[6:7], s[40:41], v[4:5]
	v_cmp_eq_u32_e64 s1, v2, v1
	s_mul_i32 s6, ttmp7, s6
	s_bfe_u32 s7, ttmp6, 0x40004
	v_add_nc_u64_e32 v[0:1], s[46:47], v[18:19]
	v_add_nc_u64_e32 v[8:9], s[40:41], v[20:21]
	;; [unrolled: 1-line block ×8, first 2 shown]
	v_or_b32_e32 v68, 0x100, v2
	v_or_b32_e32 v69, 0x200, v2
	;; [unrolled: 1-line block ×15, first 2 shown]
	v_cmp_gt_u32_e64 s0, 0x100, v2
	v_or_b32_e32 v86, 0x8400, v84
	v_cmp_gt_u32_e64 s4, 8, v2
	v_dual_mov_b32 v96, 1 :: v_dual_add_nc_u32 v87, 0x8400, v3
	v_cmp_lt_u32_e64 s5, 31, v2
	s_add_nc_u64 s[34:35], s[2:3], 0x50
	s_add_co_i32 s7, s7, s6
	v_cmp_eq_u32_e64 s2, 0, v2
	v_cmp_ne_u32_e64 s3, 0xff, v2
	v_dual_sub_nc_u32 v93, v92, v4 :: v_dual_bitop2_b32 v97, 15, v95 bitop3:0x40
	v_mul_u32_u24_e32 v94, 6, v2
	v_bfe_i32 v98, v95, 4, 1
	v_dual_lshlrev_b32 v4, 3, v95 :: v_dual_bitop2_b32 v99, 16, v95 bitop3:0x40
	v_and_b32_e32 v101, 7, v95
	v_sub_co_u32 v102, s6, v95, 1
	v_or_b32_e32 v103, 32, v100
	v_or_b32_e32 v104, 64, v100
	;; [unrolled: 1-line block ×15, first 2 shown]
	v_add_nc_u32_e32 v118, 0x420, v91
	v_add_nc_u32_e32 v119, 0x428, v91
	;; [unrolled: 1-line block ×4, first 2 shown]
	s_cmp_eq_u32 s27, 0
	s_mov_b32 s43, 0
	s_cselect_b32 s31, ttmp7, s7
	s_mov_b32 s48, s49
	s_branch .LBB2069_20
.LBB2069_18:                            ;   in Loop: Header=BB2069_20 Depth=1
	s_wait_dscnt 0x0
	s_barrier_signal -1
	s_barrier_wait -1
.LBB2069_19:                            ;   in Loop: Header=BB2069_20 Depth=1
	s_add_co_i32 s48, s48, 8
	s_delay_alu instid0(SALU_CYCLE_1)
	s_cmp_ge_u32 s48, s50
	s_cbranch_scc1 .LBB2069_1190
.LBB2069_20:                            ; =>This Loop Header: Depth=1
                                        ;     Child Loop BB2069_24 Depth 2
                                        ;     Child Loop BB2069_104 Depth 2
	;; [unrolled: 1-line block ×8, first 2 shown]
	s_sub_co_i32 s7, s50, s48
	s_xor_b32 s55, s55, -1
	s_min_u32 s7, s7, 8
	ds_store_2addr_stride64_b32 v3, v5, v5 offset1:4
	s_lshl_b32 s7, -1, s7
	ds_store_2addr_stride64_b32 v3, v5, v5 offset0:8 offset1:12
	s_not_b32 s52, s7
	s_cmp_lg_u32 s48, s49
	s_mov_b32 s7, -1
	s_wait_storecnt_dscnt 0x0
	s_cbranch_scc0 .LBB2069_606
; %bb.21:                               ;   in Loop: Header=BB2069_20 Depth=1
	s_and_b32 vcc_lo, exec_lo, s55
	s_cbranch_vccz .LBB2069_313
; %bb.22:                               ;   in Loop: Header=BB2069_20 Depth=1
	s_mov_b32 s7, s56
	s_mov_b32 s42, s54
	s_barrier_signal -1
	s_barrier_wait -1
                                        ; implicit-def: $vgpr23
                                        ; implicit-def: $vgpr24
                                        ; implicit-def: $vgpr25
                                        ; implicit-def: $vgpr26
                                        ; implicit-def: $vgpr27
                                        ; implicit-def: $vgpr28
                                        ; implicit-def: $vgpr29
                                        ; implicit-def: $vgpr30
                                        ; implicit-def: $vgpr31
                                        ; implicit-def: $vgpr32
                                        ; implicit-def: $vgpr33
                                        ; implicit-def: $vgpr34
                                        ; implicit-def: $vgpr35
                                        ; implicit-def: $vgpr36
                                        ; implicit-def: $vgpr37
                                        ; implicit-def: $vgpr38
	s_branch .LBB2069_24
.LBB2069_23:                            ;   in Loop: Header=BB2069_24 Depth=2
	s_or_b32 exec_lo, exec_lo, s8
	s_addk_co_i32 s7, 0xf000
	s_cmp_ge_u32 s10, s51
	s_mov_b32 s42, s10
	s_cbranch_scc1 .LBB2069_92
.LBB2069_24:                            ;   Parent Loop BB2069_20 Depth=1
                                        ; =>  This Inner Loop Header: Depth=2
	s_add_co_i32 s10, s42, 0x1000
	s_mov_b32 s8, -1
	s_cmp_gt_u32 s10, s51
                                        ; implicit-def: $vgpr39
                                        ; implicit-def: $vgpr40
                                        ; implicit-def: $vgpr41
                                        ; implicit-def: $vgpr42
                                        ; implicit-def: $vgpr43
                                        ; implicit-def: $vgpr44
                                        ; implicit-def: $vgpr45
                                        ; implicit-def: $vgpr46
                                        ; implicit-def: $vgpr47
                                        ; implicit-def: $vgpr48
                                        ; implicit-def: $vgpr49
                                        ; implicit-def: $vgpr50
                                        ; implicit-def: $vgpr51
                                        ; implicit-def: $vgpr52
                                        ; implicit-def: $vgpr53
                                        ; implicit-def: $vgpr54
	s_cbranch_scc1 .LBB2069_26
; %bb.25:                               ;   in Loop: Header=BB2069_24 Depth=2
	v_lshl_add_u64 v[54:55], s[42:43], 1, v[6:7]
	s_mov_b32 s8, 0
	s_clause 0xf
	global_load_u16 v39, v[54:55], off
	global_load_u16 v40, v[54:55], off offset:512
	global_load_u16 v41, v[54:55], off offset:1024
	global_load_u16 v42, v[54:55], off offset:1536
	global_load_u16 v43, v[54:55], off offset:2048
	global_load_u16 v44, v[54:55], off offset:2560
	global_load_u16 v45, v[54:55], off offset:3072
	global_load_u16 v46, v[54:55], off offset:3584
	global_load_u16 v47, v[54:55], off offset:4096
	global_load_u16 v48, v[54:55], off offset:4608
	global_load_u16 v49, v[54:55], off offset:5120
	global_load_u16 v50, v[54:55], off offset:5632
	global_load_u16 v51, v[54:55], off offset:6144
	global_load_u16 v52, v[54:55], off offset:6656
	global_load_u16 v53, v[54:55], off offset:7168
	global_load_u16 v54, v[54:55], off offset:7680
.LBB2069_26:                            ;   in Loop: Header=BB2069_24 Depth=2
	s_and_not1_b32 vcc_lo, exec_lo, s8
	s_movk_i32 s8, 0x1000
	s_cbranch_vccnz .LBB2069_45
; %bb.27:                               ;   in Loop: Header=BB2069_24 Depth=2
	s_lshl_b64 s[8:9], s[42:43], 1
	s_mov_b32 s11, exec_lo
	s_add_nc_u64 s[8:9], s[40:41], s[8:9]
	s_wait_xcnt 0x0
	v_cmpx_gt_u32_e64 s7, v2
	s_cbranch_execnz .LBB2069_77
; %bb.28:                               ;   in Loop: Header=BB2069_24 Depth=2
	s_or_b32 exec_lo, exec_lo, s11
	s_delay_alu instid0(SALU_CYCLE_1)
	s_mov_b32 s11, exec_lo
	v_cmpx_gt_u32_e64 s7, v68
	s_cbranch_execnz .LBB2069_78
.LBB2069_29:                            ;   in Loop: Header=BB2069_24 Depth=2
	s_or_b32 exec_lo, exec_lo, s11
	s_delay_alu instid0(SALU_CYCLE_1)
	s_mov_b32 s11, exec_lo
	v_cmpx_gt_u32_e64 s7, v69
	s_cbranch_execnz .LBB2069_79
.LBB2069_30:                            ;   in Loop: Header=BB2069_24 Depth=2
	s_or_b32 exec_lo, exec_lo, s11
	s_delay_alu instid0(SALU_CYCLE_1)
	s_mov_b32 s11, exec_lo
	v_cmpx_gt_u32_e64 s7, v70
	s_cbranch_execnz .LBB2069_80
.LBB2069_31:                            ;   in Loop: Header=BB2069_24 Depth=2
	s_or_b32 exec_lo, exec_lo, s11
	s_delay_alu instid0(SALU_CYCLE_1)
	s_mov_b32 s11, exec_lo
	v_cmpx_gt_u32_e64 s7, v71
	s_cbranch_execnz .LBB2069_81
.LBB2069_32:                            ;   in Loop: Header=BB2069_24 Depth=2
	s_or_b32 exec_lo, exec_lo, s11
	s_delay_alu instid0(SALU_CYCLE_1)
	s_mov_b32 s11, exec_lo
	v_cmpx_gt_u32_e64 s7, v72
	s_cbranch_execnz .LBB2069_82
.LBB2069_33:                            ;   in Loop: Header=BB2069_24 Depth=2
	s_or_b32 exec_lo, exec_lo, s11
	s_delay_alu instid0(SALU_CYCLE_1)
	s_mov_b32 s11, exec_lo
	v_cmpx_gt_u32_e64 s7, v73
	s_cbranch_execnz .LBB2069_83
.LBB2069_34:                            ;   in Loop: Header=BB2069_24 Depth=2
	s_or_b32 exec_lo, exec_lo, s11
	s_delay_alu instid0(SALU_CYCLE_1)
	s_mov_b32 s11, exec_lo
	v_cmpx_gt_u32_e64 s7, v74
	s_cbranch_execnz .LBB2069_84
.LBB2069_35:                            ;   in Loop: Header=BB2069_24 Depth=2
	s_or_b32 exec_lo, exec_lo, s11
	s_delay_alu instid0(SALU_CYCLE_1)
	s_mov_b32 s11, exec_lo
	v_cmpx_gt_u32_e64 s7, v75
	s_cbranch_execnz .LBB2069_85
.LBB2069_36:                            ;   in Loop: Header=BB2069_24 Depth=2
	s_or_b32 exec_lo, exec_lo, s11
	s_delay_alu instid0(SALU_CYCLE_1)
	s_mov_b32 s11, exec_lo
	v_cmpx_gt_u32_e64 s7, v76
	s_cbranch_execnz .LBB2069_86
.LBB2069_37:                            ;   in Loop: Header=BB2069_24 Depth=2
	s_or_b32 exec_lo, exec_lo, s11
	s_delay_alu instid0(SALU_CYCLE_1)
	s_mov_b32 s11, exec_lo
	v_cmpx_gt_u32_e64 s7, v77
	s_cbranch_execnz .LBB2069_87
.LBB2069_38:                            ;   in Loop: Header=BB2069_24 Depth=2
	s_or_b32 exec_lo, exec_lo, s11
	s_delay_alu instid0(SALU_CYCLE_1)
	s_mov_b32 s11, exec_lo
	v_cmpx_gt_u32_e64 s7, v78
	s_cbranch_execnz .LBB2069_88
.LBB2069_39:                            ;   in Loop: Header=BB2069_24 Depth=2
	s_or_b32 exec_lo, exec_lo, s11
	s_delay_alu instid0(SALU_CYCLE_1)
	s_mov_b32 s11, exec_lo
	v_cmpx_gt_u32_e64 s7, v79
	s_cbranch_execnz .LBB2069_89
.LBB2069_40:                            ;   in Loop: Header=BB2069_24 Depth=2
	s_or_b32 exec_lo, exec_lo, s11
	s_delay_alu instid0(SALU_CYCLE_1)
	s_mov_b32 s11, exec_lo
	v_cmpx_gt_u32_e64 s7, v80
	s_cbranch_execnz .LBB2069_90
.LBB2069_41:                            ;   in Loop: Header=BB2069_24 Depth=2
	s_or_b32 exec_lo, exec_lo, s11
	s_delay_alu instid0(SALU_CYCLE_1)
	s_mov_b32 s11, exec_lo
	v_cmpx_gt_u32_e64 s7, v81
	s_cbranch_execnz .LBB2069_91
.LBB2069_42:                            ;   in Loop: Header=BB2069_24 Depth=2
	s_or_b32 exec_lo, exec_lo, s11
	s_delay_alu instid0(SALU_CYCLE_1)
	s_mov_b32 s11, exec_lo
	v_cmpx_gt_u32_e64 s7, v82
	s_cbranch_execz .LBB2069_44
.LBB2069_43:                            ;   in Loop: Header=BB2069_24 Depth=2
	global_load_u16 v23, v2, s[8:9] offset:7680 scale_offset
.LBB2069_44:                            ;   in Loop: Header=BB2069_24 Depth=2
	s_wait_xcnt 0x0
	s_or_b32 exec_lo, exec_lo, s11
	s_wait_loadcnt 0x0
	v_dual_mov_b32 v39, v38 :: v_dual_mov_b32 v40, v37
	v_dual_mov_b32 v41, v36 :: v_dual_mov_b32 v42, v35
	;; [unrolled: 1-line block ×8, first 2 shown]
	s_mov_b32 s8, s7
.LBB2069_45:                            ;   in Loop: Header=BB2069_24 Depth=2
	s_wait_loadcnt 0x0
	s_delay_alu instid0(VALU_DEP_1)
	v_dual_mov_b32 v23, v54 :: v_dual_mov_b32 v24, v53
	v_dual_mov_b32 v25, v52 :: v_dual_mov_b32 v26, v51
	;; [unrolled: 1-line block ×8, first 2 shown]
	s_mov_b32 s9, exec_lo
	s_wait_xcnt 0x0
	v_cmpx_gt_u32_e64 s8, v2
	s_cbranch_execnz .LBB2069_61
; %bb.46:                               ;   in Loop: Header=BB2069_24 Depth=2
	s_or_b32 exec_lo, exec_lo, s9
	s_delay_alu instid0(SALU_CYCLE_1)
	s_mov_b32 s9, exec_lo
	v_cmpx_gt_u32_e64 s8, v68
	s_cbranch_execnz .LBB2069_62
.LBB2069_47:                            ;   in Loop: Header=BB2069_24 Depth=2
	s_or_b32 exec_lo, exec_lo, s9
	s_delay_alu instid0(SALU_CYCLE_1)
	s_mov_b32 s9, exec_lo
	v_cmpx_gt_u32_e64 s8, v69
	s_cbranch_execnz .LBB2069_63
.LBB2069_48:                            ;   in Loop: Header=BB2069_24 Depth=2
	s_or_b32 exec_lo, exec_lo, s9
	s_delay_alu instid0(SALU_CYCLE_1)
	s_mov_b32 s9, exec_lo
	v_cmpx_gt_u32_e64 s8, v70
	s_cbranch_execnz .LBB2069_64
.LBB2069_49:                            ;   in Loop: Header=BB2069_24 Depth=2
	s_or_b32 exec_lo, exec_lo, s9
	s_delay_alu instid0(SALU_CYCLE_1)
	s_mov_b32 s9, exec_lo
	v_cmpx_gt_u32_e64 s8, v71
	s_cbranch_execnz .LBB2069_65
.LBB2069_50:                            ;   in Loop: Header=BB2069_24 Depth=2
	s_or_b32 exec_lo, exec_lo, s9
	s_delay_alu instid0(SALU_CYCLE_1)
	s_mov_b32 s9, exec_lo
	v_cmpx_gt_u32_e64 s8, v72
	s_cbranch_execnz .LBB2069_66
.LBB2069_51:                            ;   in Loop: Header=BB2069_24 Depth=2
	s_or_b32 exec_lo, exec_lo, s9
	s_delay_alu instid0(SALU_CYCLE_1)
	s_mov_b32 s9, exec_lo
	v_cmpx_gt_u32_e64 s8, v73
	s_cbranch_execnz .LBB2069_67
.LBB2069_52:                            ;   in Loop: Header=BB2069_24 Depth=2
	s_or_b32 exec_lo, exec_lo, s9
	s_delay_alu instid0(SALU_CYCLE_1)
	s_mov_b32 s9, exec_lo
	v_cmpx_gt_u32_e64 s8, v74
	s_cbranch_execnz .LBB2069_68
.LBB2069_53:                            ;   in Loop: Header=BB2069_24 Depth=2
	s_or_b32 exec_lo, exec_lo, s9
	s_delay_alu instid0(SALU_CYCLE_1)
	s_mov_b32 s9, exec_lo
	v_cmpx_gt_u32_e64 s8, v75
	s_cbranch_execnz .LBB2069_69
.LBB2069_54:                            ;   in Loop: Header=BB2069_24 Depth=2
	s_or_b32 exec_lo, exec_lo, s9
	s_delay_alu instid0(SALU_CYCLE_1)
	s_mov_b32 s9, exec_lo
	v_cmpx_gt_u32_e64 s8, v76
	s_cbranch_execnz .LBB2069_70
.LBB2069_55:                            ;   in Loop: Header=BB2069_24 Depth=2
	s_or_b32 exec_lo, exec_lo, s9
	s_delay_alu instid0(SALU_CYCLE_1)
	s_mov_b32 s9, exec_lo
	v_cmpx_gt_u32_e64 s8, v77
	s_cbranch_execnz .LBB2069_71
.LBB2069_56:                            ;   in Loop: Header=BB2069_24 Depth=2
	s_or_b32 exec_lo, exec_lo, s9
	s_delay_alu instid0(SALU_CYCLE_1)
	s_mov_b32 s9, exec_lo
	v_cmpx_gt_u32_e64 s8, v78
	s_cbranch_execnz .LBB2069_72
.LBB2069_57:                            ;   in Loop: Header=BB2069_24 Depth=2
	s_or_b32 exec_lo, exec_lo, s9
	s_delay_alu instid0(SALU_CYCLE_1)
	s_mov_b32 s9, exec_lo
	v_cmpx_gt_u32_e64 s8, v79
	s_cbranch_execnz .LBB2069_73
.LBB2069_58:                            ;   in Loop: Header=BB2069_24 Depth=2
	s_or_b32 exec_lo, exec_lo, s9
	s_delay_alu instid0(SALU_CYCLE_1)
	s_mov_b32 s9, exec_lo
	v_cmpx_gt_u32_e64 s8, v80
	s_cbranch_execnz .LBB2069_74
.LBB2069_59:                            ;   in Loop: Header=BB2069_24 Depth=2
	s_or_b32 exec_lo, exec_lo, s9
	s_delay_alu instid0(SALU_CYCLE_1)
	s_mov_b32 s9, exec_lo
	v_cmpx_gt_u32_e64 s8, v81
	s_cbranch_execnz .LBB2069_75
.LBB2069_60:                            ;   in Loop: Header=BB2069_24 Depth=2
	s_or_b32 exec_lo, exec_lo, s9
	v_cmp_gt_u32_e32 vcc_lo, s8, v82
	s_and_saveexec_b32 s8, vcc_lo
	s_cbranch_execz .LBB2069_23
	s_branch .LBB2069_76
.LBB2069_61:                            ;   in Loop: Header=BB2069_24 Depth=2
	v_cmp_lt_i16_e32 vcc_lo, -1, v38
	v_cndmask_b32_e64 v39, -1, 0xffff8000, vcc_lo
	s_delay_alu instid0(VALU_DEP_1) | instskip(NEXT) | instid1(VALU_DEP_1)
	v_xor_b32_e32 v39, v39, v38
	v_cmp_ne_u16_e32 vcc_lo, 0x7fff, v39
	v_cndmask_b32_e32 v39, 0xffff8000, v39, vcc_lo
	s_delay_alu instid0(VALU_DEP_1) | instskip(NEXT) | instid1(VALU_DEP_1)
	v_and_b32_e32 v39, 0xffff, v39
	v_lshrrev_b32_e32 v39, s48, v39
	s_delay_alu instid0(VALU_DEP_1) | instskip(NEXT) | instid1(VALU_DEP_1)
	v_and_b32_e32 v39, s52, v39
	v_lshl_or_b32 v39, v39, 4, v83
	ds_add_u32 v39, v96
	s_or_b32 exec_lo, exec_lo, s9
	s_delay_alu instid0(SALU_CYCLE_1)
	s_mov_b32 s9, exec_lo
	v_cmpx_gt_u32_e64 s8, v68
	s_cbranch_execz .LBB2069_47
.LBB2069_62:                            ;   in Loop: Header=BB2069_24 Depth=2
	v_cmp_lt_i16_e32 vcc_lo, -1, v37
	v_cndmask_b32_e64 v39, -1, 0xffff8000, vcc_lo
	s_delay_alu instid0(VALU_DEP_1) | instskip(NEXT) | instid1(VALU_DEP_1)
	v_xor_b32_e32 v39, v39, v37
	v_cmp_ne_u16_e32 vcc_lo, 0x7fff, v39
	v_cndmask_b32_e32 v39, 0xffff8000, v39, vcc_lo
	s_delay_alu instid0(VALU_DEP_1) | instskip(NEXT) | instid1(VALU_DEP_1)
	v_and_b32_e32 v39, 0xffff, v39
	v_lshrrev_b32_e32 v39, s48, v39
	s_delay_alu instid0(VALU_DEP_1) | instskip(NEXT) | instid1(VALU_DEP_1)
	v_and_b32_e32 v39, s52, v39
	v_lshl_or_b32 v39, v39, 4, v83
	ds_add_u32 v39, v96
	s_or_b32 exec_lo, exec_lo, s9
	s_delay_alu instid0(SALU_CYCLE_1)
	s_mov_b32 s9, exec_lo
	v_cmpx_gt_u32_e64 s8, v69
	s_cbranch_execz .LBB2069_48
.LBB2069_63:                            ;   in Loop: Header=BB2069_24 Depth=2
	v_cmp_lt_i16_e32 vcc_lo, -1, v36
	v_cndmask_b32_e64 v39, -1, 0xffff8000, vcc_lo
	s_delay_alu instid0(VALU_DEP_1) | instskip(NEXT) | instid1(VALU_DEP_1)
	v_xor_b32_e32 v39, v39, v36
	v_cmp_ne_u16_e32 vcc_lo, 0x7fff, v39
	v_cndmask_b32_e32 v39, 0xffff8000, v39, vcc_lo
	s_delay_alu instid0(VALU_DEP_1) | instskip(NEXT) | instid1(VALU_DEP_1)
	v_and_b32_e32 v39, 0xffff, v39
	v_lshrrev_b32_e32 v39, s48, v39
	s_delay_alu instid0(VALU_DEP_1) | instskip(NEXT) | instid1(VALU_DEP_1)
	v_and_b32_e32 v39, s52, v39
	v_lshl_or_b32 v39, v39, 4, v83
	ds_add_u32 v39, v96
	s_or_b32 exec_lo, exec_lo, s9
	s_delay_alu instid0(SALU_CYCLE_1)
	s_mov_b32 s9, exec_lo
	v_cmpx_gt_u32_e64 s8, v70
	s_cbranch_execz .LBB2069_49
.LBB2069_64:                            ;   in Loop: Header=BB2069_24 Depth=2
	v_cmp_lt_i16_e32 vcc_lo, -1, v35
	v_cndmask_b32_e64 v39, -1, 0xffff8000, vcc_lo
	s_delay_alu instid0(VALU_DEP_1) | instskip(NEXT) | instid1(VALU_DEP_1)
	v_xor_b32_e32 v39, v39, v35
	v_cmp_ne_u16_e32 vcc_lo, 0x7fff, v39
	v_cndmask_b32_e32 v39, 0xffff8000, v39, vcc_lo
	s_delay_alu instid0(VALU_DEP_1) | instskip(NEXT) | instid1(VALU_DEP_1)
	v_and_b32_e32 v39, 0xffff, v39
	v_lshrrev_b32_e32 v39, s48, v39
	s_delay_alu instid0(VALU_DEP_1) | instskip(NEXT) | instid1(VALU_DEP_1)
	v_and_b32_e32 v39, s52, v39
	v_lshl_or_b32 v39, v39, 4, v83
	ds_add_u32 v39, v96
	s_or_b32 exec_lo, exec_lo, s9
	s_delay_alu instid0(SALU_CYCLE_1)
	s_mov_b32 s9, exec_lo
	v_cmpx_gt_u32_e64 s8, v71
	s_cbranch_execz .LBB2069_50
.LBB2069_65:                            ;   in Loop: Header=BB2069_24 Depth=2
	v_cmp_lt_i16_e32 vcc_lo, -1, v34
	v_cndmask_b32_e64 v39, -1, 0xffff8000, vcc_lo
	s_delay_alu instid0(VALU_DEP_1) | instskip(NEXT) | instid1(VALU_DEP_1)
	v_xor_b32_e32 v39, v39, v34
	v_cmp_ne_u16_e32 vcc_lo, 0x7fff, v39
	v_cndmask_b32_e32 v39, 0xffff8000, v39, vcc_lo
	s_delay_alu instid0(VALU_DEP_1) | instskip(NEXT) | instid1(VALU_DEP_1)
	v_and_b32_e32 v39, 0xffff, v39
	v_lshrrev_b32_e32 v39, s48, v39
	s_delay_alu instid0(VALU_DEP_1) | instskip(NEXT) | instid1(VALU_DEP_1)
	v_and_b32_e32 v39, s52, v39
	v_lshl_or_b32 v39, v39, 4, v83
	ds_add_u32 v39, v96
	s_or_b32 exec_lo, exec_lo, s9
	s_delay_alu instid0(SALU_CYCLE_1)
	s_mov_b32 s9, exec_lo
	v_cmpx_gt_u32_e64 s8, v72
	s_cbranch_execz .LBB2069_51
.LBB2069_66:                            ;   in Loop: Header=BB2069_24 Depth=2
	v_cmp_lt_i16_e32 vcc_lo, -1, v33
	v_cndmask_b32_e64 v39, -1, 0xffff8000, vcc_lo
	s_delay_alu instid0(VALU_DEP_1) | instskip(NEXT) | instid1(VALU_DEP_1)
	v_xor_b32_e32 v39, v39, v33
	v_cmp_ne_u16_e32 vcc_lo, 0x7fff, v39
	v_cndmask_b32_e32 v39, 0xffff8000, v39, vcc_lo
	s_delay_alu instid0(VALU_DEP_1) | instskip(NEXT) | instid1(VALU_DEP_1)
	v_and_b32_e32 v39, 0xffff, v39
	v_lshrrev_b32_e32 v39, s48, v39
	s_delay_alu instid0(VALU_DEP_1) | instskip(NEXT) | instid1(VALU_DEP_1)
	v_and_b32_e32 v39, s52, v39
	v_lshl_or_b32 v39, v39, 4, v83
	ds_add_u32 v39, v96
	s_or_b32 exec_lo, exec_lo, s9
	s_delay_alu instid0(SALU_CYCLE_1)
	s_mov_b32 s9, exec_lo
	v_cmpx_gt_u32_e64 s8, v73
	s_cbranch_execz .LBB2069_52
.LBB2069_67:                            ;   in Loop: Header=BB2069_24 Depth=2
	v_cmp_lt_i16_e32 vcc_lo, -1, v32
	v_cndmask_b32_e64 v39, -1, 0xffff8000, vcc_lo
	s_delay_alu instid0(VALU_DEP_1) | instskip(NEXT) | instid1(VALU_DEP_1)
	v_xor_b32_e32 v39, v39, v32
	v_cmp_ne_u16_e32 vcc_lo, 0x7fff, v39
	v_cndmask_b32_e32 v39, 0xffff8000, v39, vcc_lo
	s_delay_alu instid0(VALU_DEP_1) | instskip(NEXT) | instid1(VALU_DEP_1)
	v_and_b32_e32 v39, 0xffff, v39
	v_lshrrev_b32_e32 v39, s48, v39
	s_delay_alu instid0(VALU_DEP_1) | instskip(NEXT) | instid1(VALU_DEP_1)
	v_and_b32_e32 v39, s52, v39
	v_lshl_or_b32 v39, v39, 4, v83
	ds_add_u32 v39, v96
	s_or_b32 exec_lo, exec_lo, s9
	s_delay_alu instid0(SALU_CYCLE_1)
	s_mov_b32 s9, exec_lo
	v_cmpx_gt_u32_e64 s8, v74
	s_cbranch_execz .LBB2069_53
.LBB2069_68:                            ;   in Loop: Header=BB2069_24 Depth=2
	v_cmp_lt_i16_e32 vcc_lo, -1, v31
	v_cndmask_b32_e64 v39, -1, 0xffff8000, vcc_lo
	s_delay_alu instid0(VALU_DEP_1) | instskip(NEXT) | instid1(VALU_DEP_1)
	v_xor_b32_e32 v39, v39, v31
	v_cmp_ne_u16_e32 vcc_lo, 0x7fff, v39
	v_cndmask_b32_e32 v39, 0xffff8000, v39, vcc_lo
	s_delay_alu instid0(VALU_DEP_1) | instskip(NEXT) | instid1(VALU_DEP_1)
	v_and_b32_e32 v39, 0xffff, v39
	v_lshrrev_b32_e32 v39, s48, v39
	s_delay_alu instid0(VALU_DEP_1) | instskip(NEXT) | instid1(VALU_DEP_1)
	v_and_b32_e32 v39, s52, v39
	v_lshl_or_b32 v39, v39, 4, v83
	ds_add_u32 v39, v96
	s_or_b32 exec_lo, exec_lo, s9
	s_delay_alu instid0(SALU_CYCLE_1)
	s_mov_b32 s9, exec_lo
	v_cmpx_gt_u32_e64 s8, v75
	s_cbranch_execz .LBB2069_54
.LBB2069_69:                            ;   in Loop: Header=BB2069_24 Depth=2
	v_cmp_lt_i16_e32 vcc_lo, -1, v30
	v_cndmask_b32_e64 v39, -1, 0xffff8000, vcc_lo
	s_delay_alu instid0(VALU_DEP_1) | instskip(NEXT) | instid1(VALU_DEP_1)
	v_xor_b32_e32 v39, v39, v30
	v_cmp_ne_u16_e32 vcc_lo, 0x7fff, v39
	v_cndmask_b32_e32 v39, 0xffff8000, v39, vcc_lo
	s_delay_alu instid0(VALU_DEP_1) | instskip(NEXT) | instid1(VALU_DEP_1)
	v_and_b32_e32 v39, 0xffff, v39
	v_lshrrev_b32_e32 v39, s48, v39
	s_delay_alu instid0(VALU_DEP_1) | instskip(NEXT) | instid1(VALU_DEP_1)
	v_and_b32_e32 v39, s52, v39
	v_lshl_or_b32 v39, v39, 4, v83
	ds_add_u32 v39, v96
	s_or_b32 exec_lo, exec_lo, s9
	s_delay_alu instid0(SALU_CYCLE_1)
	s_mov_b32 s9, exec_lo
	v_cmpx_gt_u32_e64 s8, v76
	s_cbranch_execz .LBB2069_55
.LBB2069_70:                            ;   in Loop: Header=BB2069_24 Depth=2
	v_cmp_lt_i16_e32 vcc_lo, -1, v29
	v_cndmask_b32_e64 v39, -1, 0xffff8000, vcc_lo
	s_delay_alu instid0(VALU_DEP_1) | instskip(NEXT) | instid1(VALU_DEP_1)
	v_xor_b32_e32 v39, v39, v29
	v_cmp_ne_u16_e32 vcc_lo, 0x7fff, v39
	v_cndmask_b32_e32 v39, 0xffff8000, v39, vcc_lo
	s_delay_alu instid0(VALU_DEP_1) | instskip(NEXT) | instid1(VALU_DEP_1)
	v_and_b32_e32 v39, 0xffff, v39
	v_lshrrev_b32_e32 v39, s48, v39
	s_delay_alu instid0(VALU_DEP_1) | instskip(NEXT) | instid1(VALU_DEP_1)
	v_and_b32_e32 v39, s52, v39
	v_lshl_or_b32 v39, v39, 4, v83
	ds_add_u32 v39, v96
	s_or_b32 exec_lo, exec_lo, s9
	s_delay_alu instid0(SALU_CYCLE_1)
	s_mov_b32 s9, exec_lo
	v_cmpx_gt_u32_e64 s8, v77
	s_cbranch_execz .LBB2069_56
.LBB2069_71:                            ;   in Loop: Header=BB2069_24 Depth=2
	v_cmp_lt_i16_e32 vcc_lo, -1, v28
	v_cndmask_b32_e64 v39, -1, 0xffff8000, vcc_lo
	s_delay_alu instid0(VALU_DEP_1) | instskip(NEXT) | instid1(VALU_DEP_1)
	v_xor_b32_e32 v39, v39, v28
	v_cmp_ne_u16_e32 vcc_lo, 0x7fff, v39
	v_cndmask_b32_e32 v39, 0xffff8000, v39, vcc_lo
	s_delay_alu instid0(VALU_DEP_1) | instskip(NEXT) | instid1(VALU_DEP_1)
	v_and_b32_e32 v39, 0xffff, v39
	v_lshrrev_b32_e32 v39, s48, v39
	s_delay_alu instid0(VALU_DEP_1) | instskip(NEXT) | instid1(VALU_DEP_1)
	v_and_b32_e32 v39, s52, v39
	v_lshl_or_b32 v39, v39, 4, v83
	ds_add_u32 v39, v96
	s_or_b32 exec_lo, exec_lo, s9
	s_delay_alu instid0(SALU_CYCLE_1)
	s_mov_b32 s9, exec_lo
	v_cmpx_gt_u32_e64 s8, v78
	s_cbranch_execz .LBB2069_57
.LBB2069_72:                            ;   in Loop: Header=BB2069_24 Depth=2
	v_cmp_lt_i16_e32 vcc_lo, -1, v27
	v_cndmask_b32_e64 v39, -1, 0xffff8000, vcc_lo
	s_delay_alu instid0(VALU_DEP_1) | instskip(NEXT) | instid1(VALU_DEP_1)
	v_xor_b32_e32 v39, v39, v27
	v_cmp_ne_u16_e32 vcc_lo, 0x7fff, v39
	v_cndmask_b32_e32 v39, 0xffff8000, v39, vcc_lo
	s_delay_alu instid0(VALU_DEP_1) | instskip(NEXT) | instid1(VALU_DEP_1)
	v_and_b32_e32 v39, 0xffff, v39
	v_lshrrev_b32_e32 v39, s48, v39
	s_delay_alu instid0(VALU_DEP_1) | instskip(NEXT) | instid1(VALU_DEP_1)
	v_and_b32_e32 v39, s52, v39
	v_lshl_or_b32 v39, v39, 4, v83
	ds_add_u32 v39, v96
	s_or_b32 exec_lo, exec_lo, s9
	s_delay_alu instid0(SALU_CYCLE_1)
	s_mov_b32 s9, exec_lo
	v_cmpx_gt_u32_e64 s8, v79
	s_cbranch_execz .LBB2069_58
.LBB2069_73:                            ;   in Loop: Header=BB2069_24 Depth=2
	v_cmp_lt_i16_e32 vcc_lo, -1, v26
	v_cndmask_b32_e64 v39, -1, 0xffff8000, vcc_lo
	s_delay_alu instid0(VALU_DEP_1) | instskip(NEXT) | instid1(VALU_DEP_1)
	v_xor_b32_e32 v39, v39, v26
	v_cmp_ne_u16_e32 vcc_lo, 0x7fff, v39
	v_cndmask_b32_e32 v39, 0xffff8000, v39, vcc_lo
	s_delay_alu instid0(VALU_DEP_1) | instskip(NEXT) | instid1(VALU_DEP_1)
	v_and_b32_e32 v39, 0xffff, v39
	v_lshrrev_b32_e32 v39, s48, v39
	s_delay_alu instid0(VALU_DEP_1) | instskip(NEXT) | instid1(VALU_DEP_1)
	v_and_b32_e32 v39, s52, v39
	v_lshl_or_b32 v39, v39, 4, v83
	ds_add_u32 v39, v96
	s_or_b32 exec_lo, exec_lo, s9
	s_delay_alu instid0(SALU_CYCLE_1)
	s_mov_b32 s9, exec_lo
	v_cmpx_gt_u32_e64 s8, v80
	s_cbranch_execz .LBB2069_59
.LBB2069_74:                            ;   in Loop: Header=BB2069_24 Depth=2
	v_cmp_lt_i16_e32 vcc_lo, -1, v25
	v_cndmask_b32_e64 v39, -1, 0xffff8000, vcc_lo
	s_delay_alu instid0(VALU_DEP_1) | instskip(NEXT) | instid1(VALU_DEP_1)
	v_xor_b32_e32 v39, v39, v25
	v_cmp_ne_u16_e32 vcc_lo, 0x7fff, v39
	v_cndmask_b32_e32 v39, 0xffff8000, v39, vcc_lo
	s_delay_alu instid0(VALU_DEP_1) | instskip(NEXT) | instid1(VALU_DEP_1)
	v_and_b32_e32 v39, 0xffff, v39
	v_lshrrev_b32_e32 v39, s48, v39
	s_delay_alu instid0(VALU_DEP_1) | instskip(NEXT) | instid1(VALU_DEP_1)
	v_and_b32_e32 v39, s52, v39
	v_lshl_or_b32 v39, v39, 4, v83
	ds_add_u32 v39, v96
	s_or_b32 exec_lo, exec_lo, s9
	s_delay_alu instid0(SALU_CYCLE_1)
	s_mov_b32 s9, exec_lo
	v_cmpx_gt_u32_e64 s8, v81
	s_cbranch_execz .LBB2069_60
.LBB2069_75:                            ;   in Loop: Header=BB2069_24 Depth=2
	v_cmp_lt_i16_e32 vcc_lo, -1, v24
	v_cndmask_b32_e64 v39, -1, 0xffff8000, vcc_lo
	s_delay_alu instid0(VALU_DEP_1) | instskip(NEXT) | instid1(VALU_DEP_1)
	v_xor_b32_e32 v39, v39, v24
	v_cmp_ne_u16_e32 vcc_lo, 0x7fff, v39
	v_cndmask_b32_e32 v39, 0xffff8000, v39, vcc_lo
	s_delay_alu instid0(VALU_DEP_1) | instskip(NEXT) | instid1(VALU_DEP_1)
	v_and_b32_e32 v39, 0xffff, v39
	v_lshrrev_b32_e32 v39, s48, v39
	s_delay_alu instid0(VALU_DEP_1) | instskip(NEXT) | instid1(VALU_DEP_1)
	v_and_b32_e32 v39, s52, v39
	v_lshl_or_b32 v39, v39, 4, v83
	ds_add_u32 v39, v96
	s_or_b32 exec_lo, exec_lo, s9
	v_cmp_gt_u32_e32 vcc_lo, s8, v82
	s_and_saveexec_b32 s8, vcc_lo
	s_cbranch_execz .LBB2069_23
.LBB2069_76:                            ;   in Loop: Header=BB2069_24 Depth=2
	v_cmp_lt_i16_e32 vcc_lo, -1, v23
	v_cndmask_b32_e64 v39, -1, 0xffff8000, vcc_lo
	s_delay_alu instid0(VALU_DEP_1) | instskip(NEXT) | instid1(VALU_DEP_1)
	v_xor_b32_e32 v39, v39, v23
	v_cmp_ne_u16_e32 vcc_lo, 0x7fff, v39
	v_cndmask_b32_e32 v39, 0xffff8000, v39, vcc_lo
	s_delay_alu instid0(VALU_DEP_1) | instskip(NEXT) | instid1(VALU_DEP_1)
	v_and_b32_e32 v39, 0xffff, v39
	v_lshrrev_b32_e32 v39, s48, v39
	s_delay_alu instid0(VALU_DEP_1) | instskip(NEXT) | instid1(VALU_DEP_1)
	v_and_b32_e32 v39, s52, v39
	v_lshl_or_b32 v39, v39, 4, v83
	ds_add_u32 v39, v96
	s_branch .LBB2069_23
.LBB2069_77:                            ;   in Loop: Header=BB2069_24 Depth=2
	global_load_u16 v38, v2, s[8:9] scale_offset
	s_wait_xcnt 0x0
	s_or_b32 exec_lo, exec_lo, s11
	s_delay_alu instid0(SALU_CYCLE_1)
	s_mov_b32 s11, exec_lo
	v_cmpx_gt_u32_e64 s7, v68
	s_cbranch_execz .LBB2069_29
.LBB2069_78:                            ;   in Loop: Header=BB2069_24 Depth=2
	global_load_u16 v37, v2, s[8:9] offset:512 scale_offset
	s_wait_xcnt 0x0
	s_or_b32 exec_lo, exec_lo, s11
	s_delay_alu instid0(SALU_CYCLE_1)
	s_mov_b32 s11, exec_lo
	v_cmpx_gt_u32_e64 s7, v69
	s_cbranch_execz .LBB2069_30
.LBB2069_79:                            ;   in Loop: Header=BB2069_24 Depth=2
	global_load_u16 v36, v2, s[8:9] offset:1024 scale_offset
	s_wait_xcnt 0x0
	s_or_b32 exec_lo, exec_lo, s11
	s_delay_alu instid0(SALU_CYCLE_1)
	s_mov_b32 s11, exec_lo
	v_cmpx_gt_u32_e64 s7, v70
	s_cbranch_execz .LBB2069_31
.LBB2069_80:                            ;   in Loop: Header=BB2069_24 Depth=2
	global_load_u16 v35, v2, s[8:9] offset:1536 scale_offset
	s_wait_xcnt 0x0
	s_or_b32 exec_lo, exec_lo, s11
	s_delay_alu instid0(SALU_CYCLE_1)
	s_mov_b32 s11, exec_lo
	v_cmpx_gt_u32_e64 s7, v71
	s_cbranch_execz .LBB2069_32
.LBB2069_81:                            ;   in Loop: Header=BB2069_24 Depth=2
	global_load_u16 v34, v2, s[8:9] offset:2048 scale_offset
	s_wait_xcnt 0x0
	s_or_b32 exec_lo, exec_lo, s11
	s_delay_alu instid0(SALU_CYCLE_1)
	s_mov_b32 s11, exec_lo
	v_cmpx_gt_u32_e64 s7, v72
	s_cbranch_execz .LBB2069_33
.LBB2069_82:                            ;   in Loop: Header=BB2069_24 Depth=2
	global_load_u16 v33, v2, s[8:9] offset:2560 scale_offset
	s_wait_xcnt 0x0
	s_or_b32 exec_lo, exec_lo, s11
	s_delay_alu instid0(SALU_CYCLE_1)
	s_mov_b32 s11, exec_lo
	v_cmpx_gt_u32_e64 s7, v73
	s_cbranch_execz .LBB2069_34
.LBB2069_83:                            ;   in Loop: Header=BB2069_24 Depth=2
	global_load_u16 v32, v2, s[8:9] offset:3072 scale_offset
	s_wait_xcnt 0x0
	s_or_b32 exec_lo, exec_lo, s11
	s_delay_alu instid0(SALU_CYCLE_1)
	s_mov_b32 s11, exec_lo
	v_cmpx_gt_u32_e64 s7, v74
	s_cbranch_execz .LBB2069_35
.LBB2069_84:                            ;   in Loop: Header=BB2069_24 Depth=2
	global_load_u16 v31, v2, s[8:9] offset:3584 scale_offset
	s_wait_xcnt 0x0
	s_or_b32 exec_lo, exec_lo, s11
	s_delay_alu instid0(SALU_CYCLE_1)
	s_mov_b32 s11, exec_lo
	v_cmpx_gt_u32_e64 s7, v75
	s_cbranch_execz .LBB2069_36
.LBB2069_85:                            ;   in Loop: Header=BB2069_24 Depth=2
	global_load_u16 v30, v2, s[8:9] offset:4096 scale_offset
	s_wait_xcnt 0x0
	s_or_b32 exec_lo, exec_lo, s11
	s_delay_alu instid0(SALU_CYCLE_1)
	s_mov_b32 s11, exec_lo
	v_cmpx_gt_u32_e64 s7, v76
	s_cbranch_execz .LBB2069_37
.LBB2069_86:                            ;   in Loop: Header=BB2069_24 Depth=2
	global_load_u16 v29, v2, s[8:9] offset:4608 scale_offset
	s_wait_xcnt 0x0
	s_or_b32 exec_lo, exec_lo, s11
	s_delay_alu instid0(SALU_CYCLE_1)
	s_mov_b32 s11, exec_lo
	v_cmpx_gt_u32_e64 s7, v77
	s_cbranch_execz .LBB2069_38
.LBB2069_87:                            ;   in Loop: Header=BB2069_24 Depth=2
	global_load_u16 v28, v2, s[8:9] offset:5120 scale_offset
	s_wait_xcnt 0x0
	s_or_b32 exec_lo, exec_lo, s11
	s_delay_alu instid0(SALU_CYCLE_1)
	s_mov_b32 s11, exec_lo
	v_cmpx_gt_u32_e64 s7, v78
	s_cbranch_execz .LBB2069_39
.LBB2069_88:                            ;   in Loop: Header=BB2069_24 Depth=2
	global_load_u16 v27, v2, s[8:9] offset:5632 scale_offset
	s_wait_xcnt 0x0
	s_or_b32 exec_lo, exec_lo, s11
	s_delay_alu instid0(SALU_CYCLE_1)
	s_mov_b32 s11, exec_lo
	v_cmpx_gt_u32_e64 s7, v79
	s_cbranch_execz .LBB2069_40
.LBB2069_89:                            ;   in Loop: Header=BB2069_24 Depth=2
	global_load_u16 v26, v2, s[8:9] offset:6144 scale_offset
	s_wait_xcnt 0x0
	s_or_b32 exec_lo, exec_lo, s11
	s_delay_alu instid0(SALU_CYCLE_1)
	s_mov_b32 s11, exec_lo
	v_cmpx_gt_u32_e64 s7, v80
	s_cbranch_execz .LBB2069_41
.LBB2069_90:                            ;   in Loop: Header=BB2069_24 Depth=2
	global_load_u16 v25, v2, s[8:9] offset:6656 scale_offset
	s_wait_xcnt 0x0
	s_or_b32 exec_lo, exec_lo, s11
	s_delay_alu instid0(SALU_CYCLE_1)
	s_mov_b32 s11, exec_lo
	v_cmpx_gt_u32_e64 s7, v81
	s_cbranch_execz .LBB2069_42
.LBB2069_91:                            ;   in Loop: Header=BB2069_24 Depth=2
	global_load_u16 v24, v2, s[8:9] offset:7168 scale_offset
	s_wait_xcnt 0x0
	s_or_b32 exec_lo, exec_lo, s11
	s_delay_alu instid0(SALU_CYCLE_1)
	s_mov_b32 s11, exec_lo
	v_cmpx_gt_u32_e64 s7, v82
	s_cbranch_execnz .LBB2069_43
	s_branch .LBB2069_44
.LBB2069_92:                            ;   in Loop: Header=BB2069_20 Depth=1
	v_mov_b32_e32 v23, 0
	s_wait_dscnt 0x0
	s_barrier_signal -1
	s_barrier_wait -1
	s_and_saveexec_b32 s7, s0
	s_cbranch_execz .LBB2069_94
; %bb.93:                               ;   in Loop: Header=BB2069_20 Depth=1
	ds_load_2addr_b64 v[24:27], v85 offset1:1
	s_wait_dscnt 0x0
	v_add_nc_u32_e32 v23, v25, v24
	s_delay_alu instid0(VALU_DEP_1)
	v_add3_u32 v23, v23, v26, v27
.LBB2069_94:                            ;   in Loop: Header=BB2069_20 Depth=1
	s_or_b32 exec_lo, exec_lo, s7
	s_delay_alu instid0(VALU_DEP_1)
	v_mov_b32_dpp v24, v23 row_shr:1 row_mask:0xf bank_mask:0xf
	v_cmp_eq_u32_e64 s7, 0, v97
	v_cmp_lt_u32_e64 s8, 1, v97
	v_cmp_lt_u32_e64 s9, 3, v97
	;; [unrolled: 1-line block ×3, first 2 shown]
	v_cmp_eq_u32_e64 s11, 0, v99
	v_cndmask_b32_e64 v24, v24, 0, s7
	s_delay_alu instid0(VALU_DEP_1) | instskip(NEXT) | instid1(VALU_DEP_1)
	v_add_nc_u32_e32 v23, v24, v23
	v_mov_b32_dpp v24, v23 row_shr:2 row_mask:0xf bank_mask:0xf
	s_delay_alu instid0(VALU_DEP_1) | instskip(NEXT) | instid1(VALU_DEP_1)
	v_cndmask_b32_e64 v24, 0, v24, s8
	v_add_nc_u32_e32 v23, v23, v24
	s_delay_alu instid0(VALU_DEP_1) | instskip(NEXT) | instid1(VALU_DEP_1)
	v_mov_b32_dpp v24, v23 row_shr:4 row_mask:0xf bank_mask:0xf
	v_cndmask_b32_e64 v24, 0, v24, s9
	s_delay_alu instid0(VALU_DEP_1) | instskip(NEXT) | instid1(VALU_DEP_1)
	v_add_nc_u32_e32 v23, v23, v24
	v_mov_b32_dpp v24, v23 row_shr:8 row_mask:0xf bank_mask:0xf
	s_delay_alu instid0(VALU_DEP_1) | instskip(NEXT) | instid1(VALU_DEP_1)
	v_cndmask_b32_e64 v24, 0, v24, s10
	v_add_nc_u32_e32 v23, v23, v24
	ds_swizzle_b32 v24, v23 offset:swizzle(BROADCAST,32,15)
	s_wait_dscnt 0x0
	v_and_b32_e32 v24, v98, v24
	s_delay_alu instid0(VALU_DEP_1)
	v_add_nc_u32_e32 v23, v23, v24
	s_and_saveexec_b32 s12, s1
; %bb.95:                               ;   in Loop: Header=BB2069_20 Depth=1
	ds_store_b32 v86, v23
; %bb.96:                               ;   in Loop: Header=BB2069_20 Depth=1
	s_or_b32 exec_lo, exec_lo, s12
	s_wait_dscnt 0x0
	s_barrier_signal -1
	s_barrier_wait -1
	s_and_saveexec_b32 s12, s4
	s_cbranch_execz .LBB2069_98
; %bb.97:                               ;   in Loop: Header=BB2069_20 Depth=1
	ds_load_b32 v24, v87
	v_cmp_ne_u32_e32 vcc_lo, 0, v101
	s_wait_dscnt 0x0
	v_mov_b32_dpp v25, v24 row_shr:1 row_mask:0xf bank_mask:0xf
	s_delay_alu instid0(VALU_DEP_1) | instskip(SKIP_1) | instid1(VALU_DEP_2)
	v_cndmask_b32_e32 v25, 0, v25, vcc_lo
	v_cmp_lt_u32_e32 vcc_lo, 1, v101
	v_add_nc_u32_e32 v24, v25, v24
	s_delay_alu instid0(VALU_DEP_1) | instskip(NEXT) | instid1(VALU_DEP_1)
	v_mov_b32_dpp v25, v24 row_shr:2 row_mask:0xf bank_mask:0xf
	v_cndmask_b32_e32 v25, 0, v25, vcc_lo
	v_cmp_lt_u32_e32 vcc_lo, 3, v101
	s_delay_alu instid0(VALU_DEP_2) | instskip(NEXT) | instid1(VALU_DEP_1)
	v_add_nc_u32_e32 v24, v24, v25
	v_mov_b32_dpp v25, v24 row_shr:4 row_mask:0xf bank_mask:0xf
	s_delay_alu instid0(VALU_DEP_1) | instskip(NEXT) | instid1(VALU_DEP_1)
	v_cndmask_b32_e32 v25, 0, v25, vcc_lo
	v_add_nc_u32_e32 v24, v24, v25
	ds_store_b32 v87, v24
.LBB2069_98:                            ;   in Loop: Header=BB2069_20 Depth=1
	s_or_b32 exec_lo, exec_lo, s12
	v_mov_b32_e32 v24, 0
	s_wait_dscnt 0x0
	s_barrier_signal -1
	s_barrier_wait -1
	s_and_saveexec_b32 s12, s5
; %bb.99:                               ;   in Loop: Header=BB2069_20 Depth=1
	ds_load_b32 v24, v88
; %bb.100:                              ;   in Loop: Header=BB2069_20 Depth=1
	s_or_b32 exec_lo, exec_lo, s12
	v_cmp_gt_i32_e32 vcc_lo, 0, v102
	s_wait_dscnt 0x0
	s_barrier_signal -1
	s_barrier_wait -1
	v_cndmask_b32_e32 v25, v102, v95, vcc_lo
	s_delay_alu instid0(VALU_DEP_1)
	v_dual_add_nc_u32 v23, v24, v23 :: v_dual_lshlrev_b32 v122, 2, v25
	ds_bpermute_b32 v23, v122, v23
	s_and_saveexec_b32 s12, s0
	s_cbranch_execz .LBB2069_102
; %bb.101:                              ;   in Loop: Header=BB2069_20 Depth=1
	s_wait_dscnt 0x0
	v_cndmask_b32_e64 v23, v23, v24, s6
	s_delay_alu instid0(VALU_DEP_1)
	v_add_nc_u32_e32 v23, s54, v23
	ds_store_b32 v3, v23
.LBB2069_102:                           ;   in Loop: Header=BB2069_20 Depth=1
	s_or_b32 exec_lo, exec_lo, s12
	s_clause 0x1
	s_load_b32 s12, s[34:35], 0x4
	s_load_b32 s14, s[34:35], 0xc
	s_mov_b32 s53, s56
                                        ; implicit-def: $vgpr30_vgpr31
                                        ; implicit-def: $vgpr32_vgpr33
                                        ; implicit-def: $vgpr34_vgpr35
                                        ; implicit-def: $vgpr36_vgpr37
                                        ; implicit-def: $vgpr38_vgpr39
                                        ; implicit-def: $vgpr40_vgpr41
                                        ; implicit-def: $vgpr42_vgpr43
                                        ; implicit-def: $vgpr44_vgpr45
                                        ; implicit-def: $vgpr46_vgpr47
                                        ; implicit-def: $vgpr48_vgpr49
                                        ; implicit-def: $vgpr50_vgpr51
                                        ; implicit-def: $vgpr52_vgpr53
                                        ; implicit-def: $vgpr54_vgpr55
                                        ; implicit-def: $vgpr56_vgpr57
                                        ; implicit-def: $vgpr58_vgpr59
                                        ; implicit-def: $vgpr123
                                        ; implicit-def: $vgpr124
                                        ; implicit-def: $vgpr125
                                        ; implicit-def: $vgpr126
                                        ; implicit-def: $vgpr127
                                        ; implicit-def: $vgpr128
                                        ; implicit-def: $vgpr129
                                        ; implicit-def: $vgpr130
                                        ; implicit-def: $vgpr131
                                        ; implicit-def: $vgpr132
                                        ; implicit-def: $vgpr133
                                        ; implicit-def: $vgpr134
                                        ; implicit-def: $vgpr135
                                        ; implicit-def: $vgpr136
                                        ; implicit-def: $vgpr137
                                        ; implicit-def: $vgpr138
	s_wait_kmcnt 0x0
	s_cmp_lt_u32 s31, s12
	s_cselect_b32 s42, 14, 20
	s_delay_alu instid0(SALU_CYCLE_1)
	s_add_nc_u64 s[12:13], s[34:35], s[42:43]
	s_mov_b32 s42, s54
	s_load_u16 s12, s[12:13], 0x0
	s_wait_xcnt 0x0
	v_cmp_lt_u32_e64 s13, 1, v101
	s_wait_dscnt 0x0
	s_wait_kmcnt 0x0
	v_mad_u32_u24 v23, v89, s12, v90
	s_and_b32 s12, s14, 0xffff
	v_cmp_lt_u32_e64 s14, 3, v101
	s_delay_alu instid0(VALU_DEP_2) | instskip(SKIP_2) | instid1(VALU_DEP_3)
	v_mad_u32 v24, v23, s12, v2
	v_mov_b32_e32 v23, v5
	v_cmp_eq_u32_e64 s12, 0, v101
	v_lshrrev_b32_e32 v28, 3, v24
	v_add_nc_u64_e32 v[24:25], v[0:1], v[4:5]
	s_delay_alu instid0(VALU_DEP_4) | instskip(NEXT) | instid1(VALU_DEP_3)
	v_add_nc_u64_e32 v[26:27], v[8:9], v[22:23]
	v_and_b32_e32 v23, 0x1ffffffc, v28
                                        ; implicit-def: $vgpr28_vgpr29
	s_branch .LBB2069_104
.LBB2069_103:                           ;   in Loop: Header=BB2069_104 Depth=2
	s_or_b32 exec_lo, exec_lo, s15
	s_addk_co_i32 s53, 0xf000
	s_cmp_lt_u32 s57, s51
	s_mov_b32 s42, s57
	s_cbranch_scc0 .LBB2069_312
.LBB2069_104:                           ;   Parent Loop BB2069_20 Depth=1
                                        ; =>  This Inner Loop Header: Depth=2
	s_add_co_i32 s57, s42, 0x1000
	s_delay_alu instid0(SALU_CYCLE_1)
	s_cmp_gt_u32 s57, s51
	s_cbranch_scc1 .LBB2069_106
; %bb.105:                              ;   in Loop: Header=BB2069_104 Depth=2
	s_delay_alu instid0(VALU_DEP_2)
	v_lshl_add_u64 v[60:61], s[42:43], 1, v[26:27]
	s_mov_b32 s15, -1
	s_clause 0xe
	global_load_u16 v140, v[60:61], off
	global_load_u16 v141, v[60:61], off offset:64
	global_load_u16 v144, v[60:61], off offset:128
	;; [unrolled: 1-line block ×14, first 2 shown]
	s_movk_i32 s16, 0x1000
	s_cbranch_execz .LBB2069_107
	s_branch .LBB2069_138
.LBB2069_106:                           ;   in Loop: Header=BB2069_104 Depth=2
	s_mov_b32 s15, 0
                                        ; implicit-def: $vgpr140
                                        ; implicit-def: $vgpr141
                                        ; implicit-def: $vgpr144
                                        ; implicit-def: $vgpr148
                                        ; implicit-def: $vgpr152
                                        ; implicit-def: $vgpr156
                                        ; implicit-def: $vgpr160
                                        ; implicit-def: $vgpr164
                                        ; implicit-def: $vgpr168
                                        ; implicit-def: $vgpr67
                                        ; implicit-def: $vgpr66
                                        ; implicit-def: $vgpr65
                                        ; implicit-def: $vgpr64
                                        ; implicit-def: $vgpr63
                                        ; implicit-def: $vgpr62
	s_movk_i32 s16, 0x1000
.LBB2069_107:                           ;   in Loop: Header=BB2069_104 Depth=2
	s_wait_xcnt 0x0
	v_lshl_add_u64 v[60:61], s[42:43], 1, v[26:27]
	s_wait_loadcnt 0xd
	v_dual_mov_b32 v141, 0x7fff :: v_dual_mov_b32 v140, 0x7fff
	s_mov_b32 s15, exec_lo
	v_cmpx_gt_u32_e64 s53, v100
	s_cbranch_execz .LBB2069_109
; %bb.108:                              ;   in Loop: Header=BB2069_104 Depth=2
	global_load_u16 v140, v[60:61], off
.LBB2069_109:                           ;   in Loop: Header=BB2069_104 Depth=2
	s_wait_xcnt 0x0
	s_or_b32 exec_lo, exec_lo, s15
	s_delay_alu instid0(SALU_CYCLE_1)
	s_mov_b32 s15, exec_lo
	v_cmpx_gt_u32_e64 s53, v103
	s_cbranch_execz .LBB2069_111
; %bb.110:                              ;   in Loop: Header=BB2069_104 Depth=2
	global_load_u16 v141, v[60:61], off offset:64
.LBB2069_111:                           ;   in Loop: Header=BB2069_104 Depth=2
	s_wait_xcnt 0x0
	s_or_b32 exec_lo, exec_lo, s15
	s_wait_loadcnt 0xb
	v_mov_b32_e32 v148, 0x7fff
	v_mov_b32_e32 v144, 0x7fff
	s_mov_b32 s15, exec_lo
	v_cmpx_gt_u32_e64 s53, v104
	s_cbranch_execz .LBB2069_113
; %bb.112:                              ;   in Loop: Header=BB2069_104 Depth=2
	global_load_u16 v144, v[60:61], off offset:128
.LBB2069_113:                           ;   in Loop: Header=BB2069_104 Depth=2
	s_wait_xcnt 0x0
	s_or_b32 exec_lo, exec_lo, s15
	s_delay_alu instid0(SALU_CYCLE_1)
	s_mov_b32 s15, exec_lo
	v_cmpx_gt_u32_e64 s53, v105
	s_cbranch_execz .LBB2069_115
; %bb.114:                              ;   in Loop: Header=BB2069_104 Depth=2
	global_load_u16 v148, v[60:61], off offset:192
.LBB2069_115:                           ;   in Loop: Header=BB2069_104 Depth=2
	s_wait_xcnt 0x0
	s_or_b32 exec_lo, exec_lo, s15
	s_wait_loadcnt 0x9
	v_mov_b32_e32 v156, 0x7fff
	v_mov_b32_e32 v152, 0x7fff
	s_mov_b32 s15, exec_lo
	v_cmpx_gt_u32_e64 s53, v106
	s_cbranch_execz .LBB2069_117
; %bb.116:                              ;   in Loop: Header=BB2069_104 Depth=2
	global_load_u16 v152, v[60:61], off offset:256
.LBB2069_117:                           ;   in Loop: Header=BB2069_104 Depth=2
	;; [unrolled: 20-line block ×3, first 2 shown]
	s_wait_xcnt 0x0
	s_or_b32 exec_lo, exec_lo, s15
	s_delay_alu instid0(SALU_CYCLE_1)
	s_mov_b32 s15, exec_lo
	v_cmpx_gt_u32_e64 s53, v109
	s_cbranch_execz .LBB2069_123
; %bb.122:                              ;   in Loop: Header=BB2069_104 Depth=2
	global_load_u16 v164, v[60:61], off offset:448
.LBB2069_123:                           ;   in Loop: Header=BB2069_104 Depth=2
	s_wait_xcnt 0x0
	s_or_b32 exec_lo, exec_lo, s15
	s_wait_loadcnt 0x5
	v_dual_mov_b32 v67, 0x7fff :: v_dual_mov_b32 v168, 0x7fff
	s_mov_b32 s15, exec_lo
	v_cmpx_gt_u32_e64 s53, v110
	s_cbranch_execz .LBB2069_125
; %bb.124:                              ;   in Loop: Header=BB2069_104 Depth=2
	global_load_u16 v168, v[60:61], off offset:512
.LBB2069_125:                           ;   in Loop: Header=BB2069_104 Depth=2
	s_wait_xcnt 0x0
	s_or_b32 exec_lo, exec_lo, s15
	s_delay_alu instid0(SALU_CYCLE_1)
	s_mov_b32 s15, exec_lo
	v_cmpx_gt_u32_e64 s53, v111
	s_cbranch_execz .LBB2069_127
; %bb.126:                              ;   in Loop: Header=BB2069_104 Depth=2
	global_load_u16 v67, v[60:61], off offset:576
.LBB2069_127:                           ;   in Loop: Header=BB2069_104 Depth=2
	s_wait_xcnt 0x0
	s_or_b32 exec_lo, exec_lo, s15
	s_wait_loadcnt 0x3
	v_dual_mov_b32 v65, 0x7fff :: v_dual_mov_b32 v66, 0x7fff
	s_mov_b32 s15, exec_lo
	v_cmpx_gt_u32_e64 s53, v112
	s_cbranch_execz .LBB2069_129
; %bb.128:                              ;   in Loop: Header=BB2069_104 Depth=2
	global_load_u16 v66, v[60:61], off offset:640
.LBB2069_129:                           ;   in Loop: Header=BB2069_104 Depth=2
	;; [unrolled: 19-line block ×3, first 2 shown]
	s_wait_xcnt 0x0
	s_or_b32 exec_lo, exec_lo, s15
	s_delay_alu instid0(SALU_CYCLE_1)
	s_mov_b32 s15, exec_lo
	v_cmpx_gt_u32_e64 s53, v115
	s_cbranch_execz .LBB2069_135
; %bb.134:                              ;   in Loop: Header=BB2069_104 Depth=2
	global_load_u16 v63, v[60:61], off offset:832
.LBB2069_135:                           ;   in Loop: Header=BB2069_104 Depth=2
	s_wait_xcnt 0x0
	s_or_b32 exec_lo, exec_lo, s15
	s_wait_loadcnt 0x0
	v_mov_b32_e32 v62, 0x7fff
	s_mov_b32 s15, exec_lo
	v_cmpx_gt_u32_e64 s53, v116
	s_cbranch_execz .LBB2069_137
; %bb.136:                              ;   in Loop: Header=BB2069_104 Depth=2
	global_load_u16 v62, v[60:61], off offset:896
.LBB2069_137:                           ;   in Loop: Header=BB2069_104 Depth=2
	s_wait_xcnt 0x0
	s_or_b32 exec_lo, exec_lo, s15
	v_cmp_gt_u32_e64 s15, s53, v117
	s_sub_co_i32 s16, s51, s42
.LBB2069_138:                           ;   in Loop: Header=BB2069_104 Depth=2
	s_wait_xcnt 0x0
	v_dual_mov_b32 v60, 0x7fff :: v_dual_mov_b32 v139, s53
	s_and_saveexec_b32 s17, s15
	s_cbranch_execz .LBB2069_140
; %bb.139:                              ;   in Loop: Header=BB2069_104 Depth=2
	v_lshl_add_u64 v[60:61], s[42:43], 1, v[26:27]
	v_mov_b32_e32 v139, s16
	global_load_u16 v60, v[60:61], off offset:960
.LBB2069_140:                           ;   in Loop: Header=BB2069_104 Depth=2
	s_wait_xcnt 0x0
	s_or_b32 exec_lo, exec_lo, s17
	s_wait_loadcnt 0xe
	v_cmp_lt_i16_e64 vcc_lo, -1, v140
	ds_store_2addr_b32 v121, v5, v5 offset1:1
	ds_store_2addr_b32 v118, v5, v5 offset1:1
	ds_store_2addr_b32 v119, v5, v5 offset1:1
	ds_store_2addr_b32 v120, v5, v5 offset1:1
	ds_store_b32 v91, v5 offset:1088
	s_wait_loadcnt_dscnt 0x0
	s_barrier_signal -1
	v_cndmask_b32_e64 v61, -1, 0xffff8000, vcc_lo
	s_barrier_wait -1
	; wave barrier
	s_delay_alu instid0(VALU_DEP_1) | instskip(NEXT) | instid1(VALU_DEP_1)
	v_xor_b32_e32 v140, v61, v140
	v_cmp_ne_u16_e64 vcc_lo, 0x7fff, v140
	v_cndmask_b32_e32 v61, 0xffff8000, v140, vcc_lo
	s_delay_alu instid0(VALU_DEP_1) | instskip(NEXT) | instid1(VALU_DEP_1)
	v_and_b32_e32 v61, 0xffff, v61
	v_lshrrev_b32_e32 v61, s48, v61
	s_delay_alu instid0(VALU_DEP_1) | instskip(SKIP_1) | instid1(VALU_DEP_2)
	v_bitop3_b32 v142, v61, 1, s52 bitop3:0x80
	v_and_b32_e32 v143, s52, v61
	v_add_co_u32 v61, s15, v142, -1
	s_delay_alu instid0(VALU_DEP_1) | instskip(NEXT) | instid1(VALU_DEP_3)
	v_cndmask_b32_e64 v142, 0, 1, s15
	v_lshlrev_b32_e32 v145, 30, v143
	s_delay_alu instid0(VALU_DEP_2) | instskip(NEXT) | instid1(VALU_DEP_2)
	v_cmp_ne_u32_e32 vcc_lo, 0, v142
	v_not_b32_e32 v142, v145
	s_delay_alu instid0(VALU_DEP_1) | instskip(SKIP_3) | instid1(VALU_DEP_4)
	v_dual_ashrrev_i32 v142, 31, v142 :: v_dual_lshlrev_b32 v146, 29, v143
	v_dual_lshlrev_b32 v147, 28, v143 :: v_dual_lshlrev_b32 v149, 27, v143
	v_lshlrev_b32_e32 v150, 26, v143
	v_cmp_gt_i32_e64 s15, 0, v145
	v_cmp_gt_i32_e64 s16, 0, v146
	v_not_b32_e32 v145, v146
	v_not_b32_e32 v146, v147
	v_dual_lshlrev_b32 v151, 25, v143 :: v_dual_lshlrev_b32 v153, 24, v143
	v_cmp_gt_i32_e64 s17, 0, v147
	v_cmp_gt_i32_e64 s18, 0, v149
	v_not_b32_e32 v147, v149
	v_not_b32_e32 v149, v150
	v_dual_ashrrev_i32 v146, 31, v146 :: v_dual_bitop2_b32 v61, vcc_lo, v61 bitop3:0x14
	v_dual_ashrrev_i32 v145, 31, v145 :: v_dual_bitop2_b32 v142, s15, v142 bitop3:0x14
	v_cmp_gt_i32_e64 s19, 0, v150
	v_cmp_gt_i32_e64 s20, 0, v151
	v_not_b32_e32 v150, v151
	v_not_b32_e32 v151, v153
	v_dual_ashrrev_i32 v147, 31, v147 :: v_dual_ashrrev_i32 v149, 31, v149
	v_xor_b32_e32 v145, s16, v145
	v_xor_b32_e32 v146, s17, v146
	v_bitop3_b32 v61, v61, v142, exec_lo bitop3:0x80
	v_cmp_gt_i32_e64 s21, 0, v153
	v_dual_ashrrev_i32 v142, 31, v150 :: v_dual_ashrrev_i32 v150, 31, v151
	v_xor_b32_e32 v147, s18, v147
	s_delay_alu instid0(VALU_DEP_4) | instskip(SKIP_3) | instid1(VALU_DEP_3)
	v_bitop3_b32 v61, v61, v146, v145 bitop3:0x80
	v_mul_u32_u24_e32 v143, 36, v143
	v_xor_b32_e32 v149, s19, v149
	v_xor_b32_e32 v142, s20, v142
	v_dual_add_nc_u32 v143, v23, v143 :: v_dual_bitop2_b32 v145, s21, v150 bitop3:0x14
	s_delay_alu instid0(VALU_DEP_3) | instskip(NEXT) | instid1(VALU_DEP_1)
	v_bitop3_b32 v61, v61, v149, v147 bitop3:0x80
	v_bitop3_b32 v61, v61, v145, v142 bitop3:0x80
	s_delay_alu instid0(VALU_DEP_1) | instskip(SKIP_1) | instid1(VALU_DEP_2)
	v_mbcnt_lo_u32_b32 v142, v61, 0
	v_cmp_ne_u32_e64 s15, 0, v61
	v_cmp_eq_u32_e32 vcc_lo, 0, v142
	s_and_b32 s16, s15, vcc_lo
	s_delay_alu instid0(SALU_CYCLE_1)
	s_and_saveexec_b32 s15, s16
; %bb.141:                              ;   in Loop: Header=BB2069_104 Depth=2
	v_bcnt_u32_b32 v61, v61, 0
	ds_store_b32 v143, v61 offset:1056
; %bb.142:                              ;   in Loop: Header=BB2069_104 Depth=2
	s_or_b32 exec_lo, exec_lo, s15
	v_cmp_lt_i16_e64 vcc_lo, -1, v141
	; wave barrier
	s_delay_alu instid0(VALU_DEP_1) | instskip(NEXT) | instid1(VALU_DEP_1)
	v_cndmask_b32_e64 v61, -1, 0xffff8000, vcc_lo
	v_xor_b32_e32 v141, v61, v141
	s_delay_alu instid0(VALU_DEP_1) | instskip(SKIP_1) | instid1(VALU_DEP_1)
	v_cmp_ne_u16_e64 vcc_lo, 0x7fff, v141
	v_cndmask_b32_e32 v61, 0xffff8000, v141, vcc_lo
	v_and_b32_e32 v61, 0xffff, v61
	s_delay_alu instid0(VALU_DEP_1) | instskip(NEXT) | instid1(VALU_DEP_1)
	v_lshrrev_b32_e32 v61, s48, v61
	v_and_b32_e32 v147, s52, v61
	s_delay_alu instid0(VALU_DEP_1) | instskip(SKIP_2) | instid1(VALU_DEP_3)
	v_lshlrev_b32_e32 v149, 29, v147
	v_bitop3_b32 v145, v61, 1, s52 bitop3:0x80
	v_lshlrev_b32_e32 v146, 30, v147
	v_cmp_gt_i32_e64 s16, 0, v149
	s_delay_alu instid0(VALU_DEP_3) | instskip(NEXT) | instid1(VALU_DEP_1)
	v_add_co_u32 v61, s15, v145, -1
	v_cndmask_b32_e64 v145, 0, 1, s15
	s_delay_alu instid0(VALU_DEP_4) | instskip(NEXT) | instid1(VALU_DEP_2)
	v_cmp_gt_i32_e64 s15, 0, v146
	v_cmp_ne_u32_e32 vcc_lo, 0, v145
	v_not_b32_e32 v145, v146
	v_not_b32_e32 v146, v149
	s_delay_alu instid0(VALU_DEP_1) | instskip(SKIP_2) | instid1(VALU_DEP_3)
	v_dual_ashrrev_i32 v146, 31, v146 :: v_dual_lshlrev_b32 v150, 28, v147
	v_dual_lshlrev_b32 v151, 27, v147 :: v_dual_lshlrev_b32 v153, 26, v147
	v_dual_lshlrev_b32 v154, 25, v147 :: v_dual_lshlrev_b32 v155, 24, v147
	v_cmp_gt_i32_e64 s17, 0, v150
	v_not_b32_e32 v149, v150
	s_delay_alu instid0(VALU_DEP_4)
	v_not_b32_e32 v150, v151
	v_ashrrev_i32_e32 v145, 31, v145
	v_cmp_gt_i32_e64 s18, 0, v151
	v_cmp_gt_i32_e64 s19, 0, v153
	v_not_b32_e32 v151, v153
	v_cmp_gt_i32_e64 s20, 0, v154
	v_not_b32_e32 v153, v154
	v_not_b32_e32 v154, v155
	s_delay_alu instid0(VALU_DEP_4) | instskip(SKIP_3) | instid1(VALU_DEP_3)
	v_dual_ashrrev_i32 v151, 31, v151 :: v_dual_bitop2_b32 v61, vcc_lo, v61 bitop3:0x14
	v_dual_ashrrev_i32 v149, 31, v149 :: v_dual_bitop2_b32 v146, s16, v146 bitop3:0x14
	v_dual_ashrrev_i32 v150, 31, v150 :: v_dual_bitop2_b32 v145, s15, v145 bitop3:0x14
	v_cmp_gt_i32_e64 s21, 0, v155
	v_xor_b32_e32 v149, s17, v149
	v_xor_b32_e32 v151, s19, v151
	s_delay_alu instid0(VALU_DEP_4) | instskip(SKIP_2) | instid1(VALU_DEP_2)
	v_xor_b32_e32 v150, s18, v150
	v_bitop3_b32 v61, v61, v145, exec_lo bitop3:0x80
	v_dual_ashrrev_i32 v145, 31, v153 :: v_dual_ashrrev_i32 v153, 31, v154
	v_bitop3_b32 v61, v61, v149, v146 bitop3:0x80
	v_mad_u32_u24 v146, v147, 36, v23
	s_delay_alu instid0(VALU_DEP_3) | instskip(NEXT) | instid1(VALU_DEP_4)
	v_xor_b32_e32 v149, s20, v145
	v_xor_b32_e32 v153, s21, v153
	v_mul_u32_u24_e32 v147, 36, v147
	v_bitop3_b32 v61, v61, v151, v150 bitop3:0x80
	ds_load_b32 v145, v146 offset:1056
	; wave barrier
	v_add_nc_u32_e32 v147, v23, v147
	v_bitop3_b32 v61, v61, v153, v149 bitop3:0x80
	s_delay_alu instid0(VALU_DEP_1) | instskip(SKIP_1) | instid1(VALU_DEP_2)
	v_mbcnt_lo_u32_b32 v146, v61, 0
	v_cmp_ne_u32_e64 s15, 0, v61
	v_cmp_eq_u32_e32 vcc_lo, 0, v146
	s_and_b32 s16, s15, vcc_lo
	s_delay_alu instid0(SALU_CYCLE_1)
	s_and_saveexec_b32 s15, s16
	s_cbranch_execz .LBB2069_144
; %bb.143:                              ;   in Loop: Header=BB2069_104 Depth=2
	s_wait_dscnt 0x0
	v_bcnt_u32_b32 v61, v61, v145
	ds_store_b32 v147, v61 offset:1056
.LBB2069_144:                           ;   in Loop: Header=BB2069_104 Depth=2
	s_or_b32 exec_lo, exec_lo, s15
	v_cmp_lt_i16_e64 vcc_lo, -1, v144
	; wave barrier
	s_delay_alu instid0(VALU_DEP_1) | instskip(NEXT) | instid1(VALU_DEP_1)
	v_cndmask_b32_e64 v61, -1, 0xffff8000, vcc_lo
	v_xor_b32_e32 v144, v61, v144
	s_delay_alu instid0(VALU_DEP_1) | instskip(SKIP_1) | instid1(VALU_DEP_1)
	v_cmp_ne_u16_e64 vcc_lo, 0x7fff, v144
	v_cndmask_b32_e32 v61, 0xffff8000, v144, vcc_lo
	v_and_b32_e32 v61, 0xffff, v61
	s_delay_alu instid0(VALU_DEP_1) | instskip(NEXT) | instid1(VALU_DEP_1)
	v_lshrrev_b32_e32 v61, s48, v61
	v_bitop3_b32 v149, v61, 1, s52 bitop3:0x80
	v_and_b32_e32 v151, s52, v61
	s_delay_alu instid0(VALU_DEP_2) | instskip(NEXT) | instid1(VALU_DEP_1)
	v_add_co_u32 v61, s15, v149, -1
	v_cndmask_b32_e64 v149, 0, 1, s15
	s_delay_alu instid0(VALU_DEP_3) | instskip(NEXT) | instid1(VALU_DEP_2)
	v_dual_lshlrev_b32 v150, 30, v151 :: v_dual_lshlrev_b32 v153, 29, v151
	v_cmp_ne_u32_e32 vcc_lo, 0, v149
	s_delay_alu instid0(VALU_DEP_2) | instskip(SKIP_1) | instid1(VALU_DEP_4)
	v_cmp_gt_i32_e64 s15, 0, v150
	v_not_b32_e32 v149, v150
	v_not_b32_e32 v150, v153
	s_delay_alu instid0(VALU_DEP_1) | instskip(SKIP_3) | instid1(VALU_DEP_4)
	v_dual_ashrrev_i32 v150, 31, v150 :: v_dual_lshlrev_b32 v154, 28, v151
	v_dual_lshlrev_b32 v155, 27, v151 :: v_dual_lshlrev_b32 v157, 26, v151
	v_dual_lshlrev_b32 v158, 25, v151 :: v_dual_lshlrev_b32 v159, 24, v151
	v_cmp_gt_i32_e64 s16, 0, v153
	v_cmp_gt_i32_e64 s17, 0, v154
	v_not_b32_e32 v153, v154
	v_not_b32_e32 v154, v155
	v_ashrrev_i32_e32 v149, 31, v149
	v_cmp_gt_i32_e64 s18, 0, v155
	v_cmp_gt_i32_e64 s19, 0, v157
	v_not_b32_e32 v155, v157
	v_cmp_gt_i32_e64 s20, 0, v158
	v_not_b32_e32 v157, v158
	v_not_b32_e32 v158, v159
	s_delay_alu instid0(VALU_DEP_4) | instskip(SKIP_3) | instid1(VALU_DEP_3)
	v_dual_ashrrev_i32 v155, 31, v155 :: v_dual_bitop2_b32 v61, vcc_lo, v61 bitop3:0x14
	v_dual_ashrrev_i32 v153, 31, v153 :: v_dual_bitop2_b32 v150, s16, v150 bitop3:0x14
	v_dual_ashrrev_i32 v154, 31, v154 :: v_dual_bitop2_b32 v149, s15, v149 bitop3:0x14
	v_cmp_gt_i32_e64 s21, 0, v159
	v_xor_b32_e32 v153, s17, v153
	v_xor_b32_e32 v155, s19, v155
	s_delay_alu instid0(VALU_DEP_4) | instskip(SKIP_2) | instid1(VALU_DEP_2)
	v_xor_b32_e32 v154, s18, v154
	v_bitop3_b32 v61, v61, v149, exec_lo bitop3:0x80
	v_dual_ashrrev_i32 v149, 31, v157 :: v_dual_ashrrev_i32 v157, 31, v158
	v_bitop3_b32 v61, v61, v153, v150 bitop3:0x80
	v_mad_u32_u24 v150, v151, 36, v23
	s_delay_alu instid0(VALU_DEP_3) | instskip(NEXT) | instid1(VALU_DEP_4)
	v_xor_b32_e32 v153, s20, v149
	v_xor_b32_e32 v157, s21, v157
	v_mul_u32_u24_e32 v151, 36, v151
	v_bitop3_b32 v61, v61, v155, v154 bitop3:0x80
	ds_load_b32 v149, v150 offset:1056
	; wave barrier
	v_add_nc_u32_e32 v151, v23, v151
	v_bitop3_b32 v61, v61, v157, v153 bitop3:0x80
	s_delay_alu instid0(VALU_DEP_1) | instskip(SKIP_1) | instid1(VALU_DEP_2)
	v_mbcnt_lo_u32_b32 v150, v61, 0
	v_cmp_ne_u32_e64 s15, 0, v61
	v_cmp_eq_u32_e32 vcc_lo, 0, v150
	s_and_b32 s16, s15, vcc_lo
	s_delay_alu instid0(SALU_CYCLE_1)
	s_and_saveexec_b32 s15, s16
	s_cbranch_execz .LBB2069_146
; %bb.145:                              ;   in Loop: Header=BB2069_104 Depth=2
	s_wait_dscnt 0x0
	v_bcnt_u32_b32 v61, v61, v149
	ds_store_b32 v151, v61 offset:1056
.LBB2069_146:                           ;   in Loop: Header=BB2069_104 Depth=2
	s_or_b32 exec_lo, exec_lo, s15
	v_cmp_lt_i16_e64 vcc_lo, -1, v148
	; wave barrier
	s_delay_alu instid0(VALU_DEP_1) | instskip(NEXT) | instid1(VALU_DEP_1)
	v_cndmask_b32_e64 v61, -1, 0xffff8000, vcc_lo
	v_xor_b32_e32 v148, v61, v148
	s_delay_alu instid0(VALU_DEP_1) | instskip(SKIP_1) | instid1(VALU_DEP_1)
	v_cmp_ne_u16_e64 vcc_lo, 0x7fff, v148
	v_cndmask_b32_e32 v61, 0xffff8000, v148, vcc_lo
	v_and_b32_e32 v61, 0xffff, v61
	s_delay_alu instid0(VALU_DEP_1) | instskip(NEXT) | instid1(VALU_DEP_1)
	v_lshrrev_b32_e32 v61, s48, v61
	v_bitop3_b32 v153, v61, 1, s52 bitop3:0x80
	v_and_b32_e32 v155, s52, v61
	s_delay_alu instid0(VALU_DEP_2) | instskip(NEXT) | instid1(VALU_DEP_1)
	v_add_co_u32 v61, s15, v153, -1
	v_cndmask_b32_e64 v153, 0, 1, s15
	s_delay_alu instid0(VALU_DEP_3) | instskip(NEXT) | instid1(VALU_DEP_2)
	v_dual_lshlrev_b32 v154, 30, v155 :: v_dual_lshlrev_b32 v157, 29, v155
	v_cmp_ne_u32_e32 vcc_lo, 0, v153
	s_delay_alu instid0(VALU_DEP_2) | instskip(SKIP_1) | instid1(VALU_DEP_4)
	v_cmp_gt_i32_e64 s15, 0, v154
	v_not_b32_e32 v153, v154
	v_not_b32_e32 v154, v157
	s_delay_alu instid0(VALU_DEP_1) | instskip(SKIP_3) | instid1(VALU_DEP_4)
	v_dual_ashrrev_i32 v154, 31, v154 :: v_dual_lshlrev_b32 v158, 28, v155
	v_dual_lshlrev_b32 v159, 27, v155 :: v_dual_lshlrev_b32 v161, 26, v155
	v_dual_lshlrev_b32 v162, 25, v155 :: v_dual_lshlrev_b32 v163, 24, v155
	v_cmp_gt_i32_e64 s16, 0, v157
	v_cmp_gt_i32_e64 s17, 0, v158
	v_not_b32_e32 v157, v158
	v_not_b32_e32 v158, v159
	v_ashrrev_i32_e32 v153, 31, v153
	v_cmp_gt_i32_e64 s18, 0, v159
	v_cmp_gt_i32_e64 s19, 0, v161
	v_not_b32_e32 v159, v161
	v_cmp_gt_i32_e64 s20, 0, v162
	v_not_b32_e32 v161, v162
	v_not_b32_e32 v162, v163
	s_delay_alu instid0(VALU_DEP_4) | instskip(SKIP_3) | instid1(VALU_DEP_3)
	v_dual_ashrrev_i32 v159, 31, v159 :: v_dual_bitop2_b32 v61, vcc_lo, v61 bitop3:0x14
	v_dual_ashrrev_i32 v157, 31, v157 :: v_dual_bitop2_b32 v154, s16, v154 bitop3:0x14
	v_dual_ashrrev_i32 v158, 31, v158 :: v_dual_bitop2_b32 v153, s15, v153 bitop3:0x14
	v_cmp_gt_i32_e64 s21, 0, v163
	v_xor_b32_e32 v157, s17, v157
	v_xor_b32_e32 v159, s19, v159
	s_delay_alu instid0(VALU_DEP_4) | instskip(SKIP_2) | instid1(VALU_DEP_2)
	v_xor_b32_e32 v158, s18, v158
	v_bitop3_b32 v61, v61, v153, exec_lo bitop3:0x80
	v_dual_ashrrev_i32 v153, 31, v161 :: v_dual_ashrrev_i32 v161, 31, v162
	v_bitop3_b32 v61, v61, v157, v154 bitop3:0x80
	v_mad_u32_u24 v154, v155, 36, v23
	s_delay_alu instid0(VALU_DEP_3) | instskip(NEXT) | instid1(VALU_DEP_4)
	v_xor_b32_e32 v157, s20, v153
	v_xor_b32_e32 v161, s21, v161
	v_mul_u32_u24_e32 v155, 36, v155
	v_bitop3_b32 v61, v61, v159, v158 bitop3:0x80
	ds_load_b32 v153, v154 offset:1056
	; wave barrier
	v_add_nc_u32_e32 v155, v23, v155
	v_bitop3_b32 v61, v61, v161, v157 bitop3:0x80
	s_delay_alu instid0(VALU_DEP_1) | instskip(SKIP_1) | instid1(VALU_DEP_2)
	v_mbcnt_lo_u32_b32 v154, v61, 0
	v_cmp_ne_u32_e64 s15, 0, v61
	v_cmp_eq_u32_e32 vcc_lo, 0, v154
	s_and_b32 s16, s15, vcc_lo
	s_delay_alu instid0(SALU_CYCLE_1)
	s_and_saveexec_b32 s15, s16
	s_cbranch_execz .LBB2069_148
; %bb.147:                              ;   in Loop: Header=BB2069_104 Depth=2
	s_wait_dscnt 0x0
	v_bcnt_u32_b32 v61, v61, v153
	ds_store_b32 v155, v61 offset:1056
.LBB2069_148:                           ;   in Loop: Header=BB2069_104 Depth=2
	s_or_b32 exec_lo, exec_lo, s15
	v_cmp_lt_i16_e64 vcc_lo, -1, v152
	; wave barrier
	s_delay_alu instid0(VALU_DEP_1) | instskip(NEXT) | instid1(VALU_DEP_1)
	v_cndmask_b32_e64 v61, -1, 0xffff8000, vcc_lo
	v_xor_b32_e32 v152, v61, v152
	s_delay_alu instid0(VALU_DEP_1) | instskip(SKIP_1) | instid1(VALU_DEP_1)
	v_cmp_ne_u16_e64 vcc_lo, 0x7fff, v152
	v_cndmask_b32_e32 v61, 0xffff8000, v152, vcc_lo
	v_and_b32_e32 v61, 0xffff, v61
	s_delay_alu instid0(VALU_DEP_1) | instskip(NEXT) | instid1(VALU_DEP_1)
	v_lshrrev_b32_e32 v61, s48, v61
	v_bitop3_b32 v157, v61, 1, s52 bitop3:0x80
	v_and_b32_e32 v159, s52, v61
	s_delay_alu instid0(VALU_DEP_2) | instskip(NEXT) | instid1(VALU_DEP_1)
	v_add_co_u32 v61, s15, v157, -1
	v_cndmask_b32_e64 v157, 0, 1, s15
	s_delay_alu instid0(VALU_DEP_3) | instskip(NEXT) | instid1(VALU_DEP_2)
	v_dual_lshlrev_b32 v158, 30, v159 :: v_dual_lshlrev_b32 v161, 29, v159
	v_cmp_ne_u32_e32 vcc_lo, 0, v157
	s_delay_alu instid0(VALU_DEP_2) | instskip(SKIP_1) | instid1(VALU_DEP_4)
	v_cmp_gt_i32_e64 s15, 0, v158
	v_not_b32_e32 v157, v158
	v_not_b32_e32 v158, v161
	s_delay_alu instid0(VALU_DEP_1) | instskip(SKIP_3) | instid1(VALU_DEP_4)
	v_dual_ashrrev_i32 v158, 31, v158 :: v_dual_lshlrev_b32 v162, 28, v159
	v_dual_lshlrev_b32 v163, 27, v159 :: v_dual_lshlrev_b32 v165, 26, v159
	v_dual_lshlrev_b32 v166, 25, v159 :: v_dual_lshlrev_b32 v167, 24, v159
	v_cmp_gt_i32_e64 s16, 0, v161
	v_cmp_gt_i32_e64 s17, 0, v162
	v_not_b32_e32 v161, v162
	v_not_b32_e32 v162, v163
	v_ashrrev_i32_e32 v157, 31, v157
	v_cmp_gt_i32_e64 s18, 0, v163
	v_cmp_gt_i32_e64 s19, 0, v165
	v_not_b32_e32 v163, v165
	v_cmp_gt_i32_e64 s20, 0, v166
	v_not_b32_e32 v165, v166
	v_not_b32_e32 v166, v167
	s_delay_alu instid0(VALU_DEP_4) | instskip(SKIP_3) | instid1(VALU_DEP_3)
	v_dual_ashrrev_i32 v163, 31, v163 :: v_dual_bitop2_b32 v61, vcc_lo, v61 bitop3:0x14
	v_dual_ashrrev_i32 v161, 31, v161 :: v_dual_bitop2_b32 v158, s16, v158 bitop3:0x14
	v_dual_ashrrev_i32 v162, 31, v162 :: v_dual_bitop2_b32 v157, s15, v157 bitop3:0x14
	v_cmp_gt_i32_e64 s21, 0, v167
	v_xor_b32_e32 v161, s17, v161
	v_xor_b32_e32 v163, s19, v163
	s_delay_alu instid0(VALU_DEP_4) | instskip(SKIP_2) | instid1(VALU_DEP_2)
	v_xor_b32_e32 v162, s18, v162
	v_bitop3_b32 v61, v61, v157, exec_lo bitop3:0x80
	v_dual_ashrrev_i32 v157, 31, v165 :: v_dual_ashrrev_i32 v165, 31, v166
	v_bitop3_b32 v61, v61, v161, v158 bitop3:0x80
	v_mad_u32_u24 v158, v159, 36, v23
	s_delay_alu instid0(VALU_DEP_3) | instskip(NEXT) | instid1(VALU_DEP_4)
	v_xor_b32_e32 v161, s20, v157
	v_xor_b32_e32 v165, s21, v165
	v_mul_u32_u24_e32 v159, 36, v159
	v_bitop3_b32 v61, v61, v163, v162 bitop3:0x80
	ds_load_b32 v157, v158 offset:1056
	; wave barrier
	v_add_nc_u32_e32 v159, v23, v159
	v_bitop3_b32 v61, v61, v165, v161 bitop3:0x80
	s_delay_alu instid0(VALU_DEP_1) | instskip(SKIP_1) | instid1(VALU_DEP_2)
	v_mbcnt_lo_u32_b32 v158, v61, 0
	v_cmp_ne_u32_e64 s15, 0, v61
	v_cmp_eq_u32_e32 vcc_lo, 0, v158
	s_and_b32 s16, s15, vcc_lo
	s_delay_alu instid0(SALU_CYCLE_1)
	s_and_saveexec_b32 s15, s16
	s_cbranch_execz .LBB2069_150
; %bb.149:                              ;   in Loop: Header=BB2069_104 Depth=2
	s_wait_dscnt 0x0
	v_bcnt_u32_b32 v61, v61, v157
	ds_store_b32 v159, v61 offset:1056
.LBB2069_150:                           ;   in Loop: Header=BB2069_104 Depth=2
	s_or_b32 exec_lo, exec_lo, s15
	v_cmp_lt_i16_e64 vcc_lo, -1, v156
	; wave barrier
	s_delay_alu instid0(VALU_DEP_1) | instskip(NEXT) | instid1(VALU_DEP_1)
	v_cndmask_b32_e64 v61, -1, 0xffff8000, vcc_lo
	v_xor_b32_e32 v156, v61, v156
	s_delay_alu instid0(VALU_DEP_1) | instskip(SKIP_1) | instid1(VALU_DEP_1)
	v_cmp_ne_u16_e64 vcc_lo, 0x7fff, v156
	v_cndmask_b32_e32 v61, 0xffff8000, v156, vcc_lo
	v_and_b32_e32 v61, 0xffff, v61
	s_delay_alu instid0(VALU_DEP_1) | instskip(NEXT) | instid1(VALU_DEP_1)
	v_lshrrev_b32_e32 v61, s48, v61
	v_bitop3_b32 v161, v61, 1, s52 bitop3:0x80
	v_and_b32_e32 v163, s52, v61
	s_delay_alu instid0(VALU_DEP_2) | instskip(NEXT) | instid1(VALU_DEP_1)
	v_add_co_u32 v61, s15, v161, -1
	v_cndmask_b32_e64 v161, 0, 1, s15
	s_delay_alu instid0(VALU_DEP_3) | instskip(NEXT) | instid1(VALU_DEP_2)
	v_dual_lshlrev_b32 v162, 30, v163 :: v_dual_lshlrev_b32 v165, 29, v163
	v_cmp_ne_u32_e32 vcc_lo, 0, v161
	s_delay_alu instid0(VALU_DEP_2) | instskip(SKIP_1) | instid1(VALU_DEP_4)
	v_cmp_gt_i32_e64 s15, 0, v162
	v_not_b32_e32 v161, v162
	v_not_b32_e32 v162, v165
	s_delay_alu instid0(VALU_DEP_1) | instskip(SKIP_3) | instid1(VALU_DEP_4)
	v_dual_ashrrev_i32 v162, 31, v162 :: v_dual_lshlrev_b32 v166, 28, v163
	v_dual_lshlrev_b32 v167, 27, v163 :: v_dual_lshlrev_b32 v169, 26, v163
	v_dual_lshlrev_b32 v170, 25, v163 :: v_dual_lshlrev_b32 v171, 24, v163
	v_cmp_gt_i32_e64 s16, 0, v165
	v_cmp_gt_i32_e64 s17, 0, v166
	v_not_b32_e32 v165, v166
	v_not_b32_e32 v166, v167
	v_ashrrev_i32_e32 v161, 31, v161
	v_cmp_gt_i32_e64 s18, 0, v167
	v_cmp_gt_i32_e64 s19, 0, v169
	v_not_b32_e32 v167, v169
	v_cmp_gt_i32_e64 s20, 0, v170
	v_not_b32_e32 v169, v170
	v_not_b32_e32 v170, v171
	s_delay_alu instid0(VALU_DEP_4) | instskip(SKIP_3) | instid1(VALU_DEP_3)
	v_dual_ashrrev_i32 v167, 31, v167 :: v_dual_bitop2_b32 v61, vcc_lo, v61 bitop3:0x14
	v_dual_ashrrev_i32 v165, 31, v165 :: v_dual_bitop2_b32 v162, s16, v162 bitop3:0x14
	v_dual_ashrrev_i32 v166, 31, v166 :: v_dual_bitop2_b32 v161, s15, v161 bitop3:0x14
	v_cmp_gt_i32_e64 s21, 0, v171
	v_xor_b32_e32 v165, s17, v165
	v_xor_b32_e32 v167, s19, v167
	s_delay_alu instid0(VALU_DEP_4) | instskip(SKIP_2) | instid1(VALU_DEP_2)
	v_xor_b32_e32 v166, s18, v166
	v_bitop3_b32 v61, v61, v161, exec_lo bitop3:0x80
	v_dual_ashrrev_i32 v161, 31, v169 :: v_dual_ashrrev_i32 v169, 31, v170
	v_bitop3_b32 v61, v61, v165, v162 bitop3:0x80
	v_mad_u32_u24 v162, v163, 36, v23
	s_delay_alu instid0(VALU_DEP_3) | instskip(NEXT) | instid1(VALU_DEP_4)
	v_xor_b32_e32 v165, s20, v161
	v_xor_b32_e32 v169, s21, v169
	v_mul_u32_u24_e32 v163, 36, v163
	v_bitop3_b32 v61, v61, v167, v166 bitop3:0x80
	ds_load_b32 v161, v162 offset:1056
	; wave barrier
	v_add_nc_u32_e32 v163, v23, v163
	v_bitop3_b32 v61, v61, v169, v165 bitop3:0x80
	s_delay_alu instid0(VALU_DEP_1) | instskip(SKIP_1) | instid1(VALU_DEP_2)
	v_mbcnt_lo_u32_b32 v162, v61, 0
	v_cmp_ne_u32_e64 s15, 0, v61
	v_cmp_eq_u32_e32 vcc_lo, 0, v162
	s_and_b32 s16, s15, vcc_lo
	s_delay_alu instid0(SALU_CYCLE_1)
	s_and_saveexec_b32 s15, s16
	s_cbranch_execz .LBB2069_152
; %bb.151:                              ;   in Loop: Header=BB2069_104 Depth=2
	s_wait_dscnt 0x0
	v_bcnt_u32_b32 v61, v61, v161
	ds_store_b32 v163, v61 offset:1056
.LBB2069_152:                           ;   in Loop: Header=BB2069_104 Depth=2
	s_or_b32 exec_lo, exec_lo, s15
	v_cmp_lt_i16_e64 vcc_lo, -1, v160
	; wave barrier
	s_delay_alu instid0(VALU_DEP_1) | instskip(NEXT) | instid1(VALU_DEP_1)
	v_cndmask_b32_e64 v61, -1, 0xffff8000, vcc_lo
	v_xor_b32_e32 v160, v61, v160
	s_delay_alu instid0(VALU_DEP_1) | instskip(SKIP_1) | instid1(VALU_DEP_1)
	v_cmp_ne_u16_e64 vcc_lo, 0x7fff, v160
	v_cndmask_b32_e32 v61, 0xffff8000, v160, vcc_lo
	v_and_b32_e32 v61, 0xffff, v61
	s_delay_alu instid0(VALU_DEP_1) | instskip(NEXT) | instid1(VALU_DEP_1)
	v_lshrrev_b32_e32 v61, s48, v61
	v_bitop3_b32 v165, v61, 1, s52 bitop3:0x80
	v_and_b32_e32 v167, s52, v61
	s_delay_alu instid0(VALU_DEP_2) | instskip(NEXT) | instid1(VALU_DEP_1)
	v_add_co_u32 v61, s15, v165, -1
	v_cndmask_b32_e64 v165, 0, 1, s15
	s_delay_alu instid0(VALU_DEP_3) | instskip(NEXT) | instid1(VALU_DEP_2)
	v_dual_lshlrev_b32 v166, 30, v167 :: v_dual_lshlrev_b32 v169, 29, v167
	v_cmp_ne_u32_e32 vcc_lo, 0, v165
	s_delay_alu instid0(VALU_DEP_2) | instskip(SKIP_1) | instid1(VALU_DEP_4)
	v_cmp_gt_i32_e64 s15, 0, v166
	v_not_b32_e32 v165, v166
	v_not_b32_e32 v166, v169
	s_delay_alu instid0(VALU_DEP_1) | instskip(SKIP_3) | instid1(VALU_DEP_4)
	v_dual_ashrrev_i32 v166, 31, v166 :: v_dual_lshlrev_b32 v170, 28, v167
	v_dual_lshlrev_b32 v171, 27, v167 :: v_dual_lshlrev_b32 v172, 26, v167
	v_cmp_gt_i32_e64 s16, 0, v169
	v_dual_lshlrev_b32 v173, 25, v167 :: v_dual_lshlrev_b32 v174, 24, v167
	v_cmp_gt_i32_e64 s17, 0, v170
	v_not_b32_e32 v169, v170
	v_not_b32_e32 v170, v171
	v_ashrrev_i32_e32 v165, 31, v165
	v_cmp_gt_i32_e64 s18, 0, v171
	v_not_b32_e32 v171, v172
	v_xor_b32_e32 v61, vcc_lo, v61
	v_dual_ashrrev_i32 v169, 31, v169 :: v_dual_bitop2_b32 v166, s16, v166 bitop3:0x14
	v_dual_ashrrev_i32 v170, 31, v170 :: v_dual_bitop2_b32 v165, s15, v165 bitop3:0x14
	v_cmp_gt_i32_e64 s19, 0, v172
	v_cmp_gt_i32_e64 s20, 0, v173
	v_not_b32_e32 v172, v173
	v_not_b32_e32 v173, v174
	v_dual_ashrrev_i32 v171, 31, v171 :: v_dual_bitop2_b32 v169, s17, v169 bitop3:0x14
	v_bitop3_b32 v61, v61, v165, exec_lo bitop3:0x80
	v_cmp_gt_i32_e64 s21, 0, v174
	s_delay_alu instid0(VALU_DEP_4)
	v_dual_ashrrev_i32 v165, 31, v172 :: v_dual_ashrrev_i32 v172, 31, v173
	v_xor_b32_e32 v170, s18, v170
	v_xor_b32_e32 v171, s19, v171
	v_bitop3_b32 v61, v61, v169, v166 bitop3:0x80
	v_mad_u32_u24 v166, v167, 36, v23
	v_xor_b32_e32 v169, s20, v165
	v_xor_b32_e32 v172, s21, v172
	v_mul_u32_u24_e32 v167, 36, v167
	v_bitop3_b32 v61, v61, v171, v170 bitop3:0x80
	ds_load_b32 v165, v166 offset:1056
	; wave barrier
	v_add_nc_u32_e32 v167, v23, v167
	v_bitop3_b32 v61, v61, v172, v169 bitop3:0x80
	s_delay_alu instid0(VALU_DEP_1) | instskip(SKIP_1) | instid1(VALU_DEP_2)
	v_mbcnt_lo_u32_b32 v166, v61, 0
	v_cmp_ne_u32_e64 s15, 0, v61
	v_cmp_eq_u32_e32 vcc_lo, 0, v166
	s_and_b32 s16, s15, vcc_lo
	s_delay_alu instid0(SALU_CYCLE_1)
	s_and_saveexec_b32 s15, s16
	s_cbranch_execz .LBB2069_154
; %bb.153:                              ;   in Loop: Header=BB2069_104 Depth=2
	s_wait_dscnt 0x0
	v_bcnt_u32_b32 v61, v61, v165
	ds_store_b32 v167, v61 offset:1056
.LBB2069_154:                           ;   in Loop: Header=BB2069_104 Depth=2
	s_or_b32 exec_lo, exec_lo, s15
	v_cmp_lt_i16_e64 vcc_lo, -1, v164
	; wave barrier
	s_delay_alu instid0(VALU_DEP_1) | instskip(NEXT) | instid1(VALU_DEP_1)
	v_cndmask_b32_e64 v61, -1, 0xffff8000, vcc_lo
	v_xor_b32_e32 v164, v61, v164
	s_delay_alu instid0(VALU_DEP_1) | instskip(SKIP_1) | instid1(VALU_DEP_1)
	v_cmp_ne_u16_e64 vcc_lo, 0x7fff, v164
	v_cndmask_b32_e32 v61, 0xffff8000, v164, vcc_lo
	v_and_b32_e32 v61, 0xffff, v61
	s_delay_alu instid0(VALU_DEP_1) | instskip(NEXT) | instid1(VALU_DEP_1)
	v_lshrrev_b32_e32 v61, s48, v61
	v_bitop3_b32 v169, v61, 1, s52 bitop3:0x80
	v_and_b32_e32 v171, s52, v61
	s_delay_alu instid0(VALU_DEP_2) | instskip(NEXT) | instid1(VALU_DEP_1)
	v_add_co_u32 v61, s15, v169, -1
	v_cndmask_b32_e64 v169, 0, 1, s15
	s_delay_alu instid0(VALU_DEP_3) | instskip(NEXT) | instid1(VALU_DEP_2)
	v_dual_lshlrev_b32 v170, 30, v171 :: v_dual_lshlrev_b32 v172, 29, v171
	v_cmp_ne_u32_e32 vcc_lo, 0, v169
	s_delay_alu instid0(VALU_DEP_2) | instskip(SKIP_1) | instid1(VALU_DEP_4)
	v_cmp_gt_i32_e64 s15, 0, v170
	v_not_b32_e32 v169, v170
	v_not_b32_e32 v170, v172
	s_delay_alu instid0(VALU_DEP_1) | instskip(SKIP_3) | instid1(VALU_DEP_4)
	v_dual_ashrrev_i32 v170, 31, v170 :: v_dual_lshlrev_b32 v173, 28, v171
	v_dual_lshlrev_b32 v174, 27, v171 :: v_dual_lshlrev_b32 v175, 26, v171
	v_dual_lshlrev_b32 v176, 25, v171 :: v_dual_lshlrev_b32 v177, 24, v171
	v_cmp_gt_i32_e64 s16, 0, v172
	v_not_b32_e32 v172, v173
	v_ashrrev_i32_e32 v169, 31, v169
	v_cmp_gt_i32_e64 s17, 0, v173
	v_cmp_gt_i32_e64 s18, 0, v174
	v_not_b32_e32 v173, v174
	v_cmp_gt_i32_e64 s19, 0, v175
	v_not_b32_e32 v174, v175
	;; [unrolled: 2-line block ×3, first 2 shown]
	v_not_b32_e32 v176, v177
	s_delay_alu instid0(VALU_DEP_4) | instskip(SKIP_3) | instid1(VALU_DEP_3)
	v_dual_ashrrev_i32 v174, 31, v174 :: v_dual_bitop2_b32 v61, vcc_lo, v61 bitop3:0x14
	v_dual_ashrrev_i32 v172, 31, v172 :: v_dual_bitop2_b32 v169, s15, v169 bitop3:0x14
	v_dual_ashrrev_i32 v173, 31, v173 :: v_dual_bitop2_b32 v170, s16, v170 bitop3:0x14
	v_cmp_gt_i32_e64 s21, 0, v177
	v_xor_b32_e32 v172, s17, v172
	s_delay_alu instid0(VALU_DEP_4) | instskip(SKIP_2) | instid1(VALU_DEP_3)
	v_bitop3_b32 v61, v61, v169, exec_lo bitop3:0x80
	v_dual_ashrrev_i32 v169, 31, v175 :: v_dual_ashrrev_i32 v175, 31, v176
	v_xor_b32_e32 v174, s19, v174
	v_bitop3_b32 v61, v61, v172, v170 bitop3:0x80
	v_mad_u32_u24 v170, v171, 36, v23
	v_mul_u32_u24_e32 v171, 36, v171
	v_xor_b32_e32 v173, s18, v173
	v_xor_b32_e32 v172, s20, v169
	;; [unrolled: 1-line block ×3, first 2 shown]
	ds_load_b32 v169, v170 offset:1056
	v_add_nc_u32_e32 v171, v23, v171
	v_bitop3_b32 v61, v61, v174, v173 bitop3:0x80
	; wave barrier
	s_delay_alu instid0(VALU_DEP_1) | instskip(NEXT) | instid1(VALU_DEP_1)
	v_bitop3_b32 v61, v61, v175, v172 bitop3:0x80
	v_mbcnt_lo_u32_b32 v170, v61, 0
	v_cmp_ne_u32_e64 s15, 0, v61
	s_delay_alu instid0(VALU_DEP_2) | instskip(SKIP_1) | instid1(SALU_CYCLE_1)
	v_cmp_eq_u32_e32 vcc_lo, 0, v170
	s_and_b32 s16, s15, vcc_lo
	s_and_saveexec_b32 s15, s16
	s_cbranch_execz .LBB2069_156
; %bb.155:                              ;   in Loop: Header=BB2069_104 Depth=2
	s_wait_dscnt 0x0
	v_bcnt_u32_b32 v61, v61, v169
	ds_store_b32 v171, v61 offset:1056
.LBB2069_156:                           ;   in Loop: Header=BB2069_104 Depth=2
	s_or_b32 exec_lo, exec_lo, s15
	v_cmp_lt_i16_e64 vcc_lo, -1, v168
	; wave barrier
	s_delay_alu instid0(VALU_DEP_1) | instskip(NEXT) | instid1(VALU_DEP_1)
	v_cndmask_b32_e64 v61, -1, 0xffff8000, vcc_lo
	v_xor_b32_e32 v168, v61, v168
	s_delay_alu instid0(VALU_DEP_1) | instskip(SKIP_1) | instid1(VALU_DEP_1)
	v_cmp_ne_u16_e64 vcc_lo, 0x7fff, v168
	v_cndmask_b32_e32 v61, 0xffff8000, v168, vcc_lo
	v_and_b32_e32 v61, 0xffff, v61
	s_delay_alu instid0(VALU_DEP_1) | instskip(NEXT) | instid1(VALU_DEP_1)
	v_lshrrev_b32_e32 v61, s48, v61
	v_bitop3_b32 v172, v61, 1, s52 bitop3:0x80
	v_and_b32_e32 v175, s52, v61
	s_delay_alu instid0(VALU_DEP_2) | instskip(NEXT) | instid1(VALU_DEP_1)
	v_add_co_u32 v61, s15, v172, -1
	v_cndmask_b32_e64 v172, 0, 1, s15
	s_delay_alu instid0(VALU_DEP_3) | instskip(NEXT) | instid1(VALU_DEP_2)
	v_lshlrev_b32_e32 v173, 30, v175
	v_cmp_ne_u32_e32 vcc_lo, 0, v172
	s_delay_alu instid0(VALU_DEP_2) | instskip(NEXT) | instid1(VALU_DEP_1)
	v_not_b32_e32 v172, v173
	v_dual_ashrrev_i32 v172, 31, v172 :: v_dual_lshlrev_b32 v174, 29, v175
	v_dual_lshlrev_b32 v176, 28, v175 :: v_dual_lshlrev_b32 v177, 27, v175
	v_lshlrev_b32_e32 v178, 26, v175
	v_cmp_gt_i32_e64 s15, 0, v173
	s_delay_alu instid0(VALU_DEP_4)
	v_cmp_gt_i32_e64 s16, 0, v174
	v_not_b32_e32 v173, v174
	v_not_b32_e32 v174, v176
	v_dual_lshlrev_b32 v179, 25, v175 :: v_dual_lshlrev_b32 v180, 24, v175
	v_cmp_gt_i32_e64 s17, 0, v176
	v_cmp_gt_i32_e64 s18, 0, v177
	v_not_b32_e32 v176, v177
	v_not_b32_e32 v177, v178
	v_dual_ashrrev_i32 v174, 31, v174 :: v_dual_bitop2_b32 v61, vcc_lo, v61 bitop3:0x14
	v_dual_ashrrev_i32 v173, 31, v173 :: v_dual_bitop2_b32 v172, s15, v172 bitop3:0x14
	v_cmp_gt_i32_e64 s19, 0, v178
	v_cmp_gt_i32_e64 s20, 0, v179
	v_not_b32_e32 v178, v179
	v_not_b32_e32 v179, v180
	v_dual_ashrrev_i32 v176, 31, v176 :: v_dual_ashrrev_i32 v177, 31, v177
	v_xor_b32_e32 v173, s16, v173
	v_xor_b32_e32 v174, s17, v174
	v_bitop3_b32 v61, v61, v172, exec_lo bitop3:0x80
	v_cmp_gt_i32_e64 s21, 0, v180
	v_dual_ashrrev_i32 v172, 31, v178 :: v_dual_ashrrev_i32 v178, 31, v179
	v_xor_b32_e32 v176, s18, v176
	v_xor_b32_e32 v177, s19, v177
	v_bitop3_b32 v61, v61, v174, v173 bitop3:0x80
	v_mad_u32_u24 v173, v175, 36, v23
	v_xor_b32_e32 v172, s20, v172
	v_xor_b32_e32 v174, s21, v178
	s_delay_alu instid0(VALU_DEP_4) | instskip(SKIP_3) | instid1(VALU_DEP_2)
	v_bitop3_b32 v61, v61, v177, v176 bitop3:0x80
	ds_load_b32 v173, v173 offset:1056
	; wave barrier
	v_bitop3_b32 v61, v61, v174, v172 bitop3:0x80
	v_mul_u32_u24_e32 v172, 36, v175
	v_mbcnt_lo_u32_b32 v174, v61, 0
	v_cmp_ne_u32_e64 s15, 0, v61
	s_delay_alu instid0(VALU_DEP_3) | instskip(NEXT) | instid1(VALU_DEP_3)
	v_add_nc_u32_e32 v175, v23, v172
	v_cmp_eq_u32_e32 vcc_lo, 0, v174
	s_and_b32 s16, s15, vcc_lo
	s_delay_alu instid0(SALU_CYCLE_1)
	s_and_saveexec_b32 s15, s16
	s_cbranch_execz .LBB2069_158
; %bb.157:                              ;   in Loop: Header=BB2069_104 Depth=2
	s_wait_dscnt 0x0
	v_bcnt_u32_b32 v61, v61, v173
	ds_store_b32 v175, v61 offset:1056
.LBB2069_158:                           ;   in Loop: Header=BB2069_104 Depth=2
	s_or_b32 exec_lo, exec_lo, s15
	v_cmp_lt_i16_e32 vcc_lo, -1, v67
	; wave barrier
	v_cndmask_b32_e64 v61, -1, 0xffff8000, vcc_lo
	s_delay_alu instid0(VALU_DEP_1) | instskip(NEXT) | instid1(VALU_DEP_1)
	v_xor_b32_e32 v172, v61, v67
	v_cmp_ne_u16_e64 vcc_lo, 0x7fff, v172
	v_cndmask_b32_e32 v61, 0xffff8000, v172, vcc_lo
	s_delay_alu instid0(VALU_DEP_1) | instskip(NEXT) | instid1(VALU_DEP_1)
	v_and_b32_e32 v61, 0xffff, v61
	v_lshrrev_b32_e32 v61, s48, v61
	s_delay_alu instid0(VALU_DEP_1) | instskip(SKIP_1) | instid1(VALU_DEP_2)
	v_bitop3_b32 v67, v61, 1, s52 bitop3:0x80
	v_and_b32_e32 v176, s52, v61
	v_add_co_u32 v61, s15, v67, -1
	s_delay_alu instid0(VALU_DEP_1) | instskip(NEXT) | instid1(VALU_DEP_3)
	v_cndmask_b32_e64 v67, 0, 1, s15
	v_lshlrev_b32_e32 v177, 30, v176
	s_delay_alu instid0(VALU_DEP_2) | instskip(NEXT) | instid1(VALU_DEP_2)
	v_cmp_ne_u32_e32 vcc_lo, 0, v67
	v_not_b32_e32 v67, v177
	s_delay_alu instid0(VALU_DEP_1) | instskip(SKIP_4) | instid1(VALU_DEP_4)
	v_dual_ashrrev_i32 v67, 31, v67 :: v_dual_bitop2_b32 v61, vcc_lo, v61 bitop3:0x14
	v_dual_lshlrev_b32 v178, 29, v176 :: v_dual_lshlrev_b32 v179, 28, v176
	v_dual_lshlrev_b32 v180, 27, v176 :: v_dual_lshlrev_b32 v181, 26, v176
	v_lshlrev_b32_e32 v182, 25, v176
	v_cmp_gt_i32_e64 s15, 0, v177
	v_cmp_gt_i32_e64 s16, 0, v178
	v_not_b32_e32 v177, v178
	v_not_b32_e32 v178, v179
	v_lshlrev_b32_e32 v183, 24, v176
	v_cmp_gt_i32_e64 s17, 0, v179
	v_cmp_gt_i32_e64 s18, 0, v180
	v_not_b32_e32 v179, v180
	v_not_b32_e32 v180, v181
	v_dual_ashrrev_i32 v177, 31, v177 :: v_dual_bitop2_b32 v67, s15, v67 bitop3:0x14
	v_ashrrev_i32_e32 v178, 31, v178
	v_cmp_gt_i32_e64 s19, 0, v181
	v_cmp_gt_i32_e64 s20, 0, v182
	v_not_b32_e32 v181, v182
	v_not_b32_e32 v182, v183
	v_dual_ashrrev_i32 v179, 31, v179 :: v_dual_ashrrev_i32 v180, 31, v180
	v_xor_b32_e32 v177, s16, v177
	v_xor_b32_e32 v178, s17, v178
	v_bitop3_b32 v61, v61, v67, exec_lo bitop3:0x80
	v_cmp_gt_i32_e64 s21, 0, v183
	v_dual_ashrrev_i32 v67, 31, v181 :: v_dual_ashrrev_i32 v181, 31, v182
	v_xor_b32_e32 v179, s18, v179
	v_xor_b32_e32 v180, s19, v180
	v_bitop3_b32 v61, v61, v178, v177 bitop3:0x80
	v_mad_u32_u24 v177, v176, 36, v23
	v_xor_b32_e32 v67, s20, v67
	v_xor_b32_e32 v178, s21, v181
	s_delay_alu instid0(VALU_DEP_4) | instskip(SKIP_3) | instid1(VALU_DEP_2)
	v_bitop3_b32 v61, v61, v180, v179 bitop3:0x80
	ds_load_b32 v177, v177 offset:1056
	; wave barrier
	v_bitop3_b32 v61, v61, v178, v67 bitop3:0x80
	v_mul_u32_u24_e32 v67, 36, v176
	v_mbcnt_lo_u32_b32 v178, v61, 0
	v_cmp_ne_u32_e64 s15, 0, v61
	s_delay_alu instid0(VALU_DEP_3) | instskip(NEXT) | instid1(VALU_DEP_3)
	v_add_nc_u32_e32 v179, v23, v67
	v_cmp_eq_u32_e32 vcc_lo, 0, v178
	s_and_b32 s16, s15, vcc_lo
	s_delay_alu instid0(SALU_CYCLE_1)
	s_and_saveexec_b32 s15, s16
	s_cbranch_execz .LBB2069_160
; %bb.159:                              ;   in Loop: Header=BB2069_104 Depth=2
	s_wait_dscnt 0x0
	v_bcnt_u32_b32 v61, v61, v177
	ds_store_b32 v179, v61 offset:1056
.LBB2069_160:                           ;   in Loop: Header=BB2069_104 Depth=2
	s_or_b32 exec_lo, exec_lo, s15
	v_cmp_lt_i16_e32 vcc_lo, -1, v66
	; wave barrier
	v_cndmask_b32_e64 v61, -1, 0xffff8000, vcc_lo
	s_delay_alu instid0(VALU_DEP_1) | instskip(NEXT) | instid1(VALU_DEP_1)
	v_xor_b32_e32 v176, v61, v66
	v_cmp_ne_u16_e64 vcc_lo, 0x7fff, v176
	v_cndmask_b32_e32 v61, 0xffff8000, v176, vcc_lo
	s_delay_alu instid0(VALU_DEP_1) | instskip(NEXT) | instid1(VALU_DEP_1)
	v_and_b32_e32 v61, 0xffff, v61
	v_lshrrev_b32_e32 v61, s48, v61
	s_delay_alu instid0(VALU_DEP_1) | instskip(SKIP_1) | instid1(VALU_DEP_2)
	v_bitop3_b32 v66, v61, 1, s52 bitop3:0x80
	v_and_b32_e32 v67, s52, v61
	v_add_co_u32 v61, s15, v66, -1
	s_delay_alu instid0(VALU_DEP_1) | instskip(NEXT) | instid1(VALU_DEP_3)
	v_cndmask_b32_e64 v66, 0, 1, s15
	v_lshlrev_b32_e32 v180, 30, v67
	s_delay_alu instid0(VALU_DEP_2) | instskip(NEXT) | instid1(VALU_DEP_2)
	v_cmp_ne_u32_e32 vcc_lo, 0, v66
	v_not_b32_e32 v66, v180
	v_cmp_gt_i32_e64 s15, 0, v180
	s_delay_alu instid0(VALU_DEP_2) | instskip(SKIP_3) | instid1(VALU_DEP_4)
	v_dual_ashrrev_i32 v66, 31, v66 :: v_dual_lshlrev_b32 v181, 29, v67
	v_dual_lshlrev_b32 v182, 28, v67 :: v_dual_lshlrev_b32 v183, 27, v67
	v_dual_lshlrev_b32 v184, 26, v67 :: v_dual_lshlrev_b32 v185, 25, v67
	v_lshlrev_b32_e32 v186, 24, v67
	v_cmp_gt_i32_e64 s16, 0, v181
	v_not_b32_e32 v180, v181
	v_not_b32_e32 v181, v182
	v_cmp_gt_i32_e64 s17, 0, v182
	v_cmp_gt_i32_e64 s18, 0, v183
	v_not_b32_e32 v182, v183
	v_not_b32_e32 v183, v184
	v_dual_ashrrev_i32 v180, 31, v180 :: v_dual_bitop2_b32 v61, vcc_lo, v61 bitop3:0x14
	v_dual_ashrrev_i32 v181, 31, v181 :: v_dual_bitop2_b32 v66, s15, v66 bitop3:0x14
	v_cmp_gt_i32_e64 s19, 0, v184
	v_cmp_gt_i32_e64 s20, 0, v185
	v_not_b32_e32 v184, v185
	v_not_b32_e32 v185, v186
	v_dual_ashrrev_i32 v182, 31, v182 :: v_dual_ashrrev_i32 v183, 31, v183
	v_xor_b32_e32 v180, s16, v180
	v_xor_b32_e32 v181, s17, v181
	v_bitop3_b32 v61, v61, v66, exec_lo bitop3:0x80
	v_cmp_gt_i32_e64 s21, 0, v186
	v_dual_ashrrev_i32 v66, 31, v184 :: v_dual_ashrrev_i32 v184, 31, v185
	v_xor_b32_e32 v182, s18, v182
	v_xor_b32_e32 v183, s19, v183
	v_bitop3_b32 v61, v61, v181, v180 bitop3:0x80
	v_mad_u32_u24 v180, v67, 36, v23
	v_xor_b32_e32 v66, s20, v66
	v_xor_b32_e32 v184, s21, v184
	s_delay_alu instid0(VALU_DEP_4) | instskip(SKIP_3) | instid1(VALU_DEP_2)
	v_bitop3_b32 v61, v61, v183, v182 bitop3:0x80
	ds_load_b32 v181, v180 offset:1056
	; wave barrier
	v_bitop3_b32 v61, v61, v184, v66 bitop3:0x80
	v_mul_u32_u24_e32 v66, 36, v67
	v_mbcnt_lo_u32_b32 v182, v61, 0
	v_cmp_ne_u32_e64 s15, 0, v61
	s_delay_alu instid0(VALU_DEP_3) | instskip(NEXT) | instid1(VALU_DEP_3)
	v_add_nc_u32_e32 v183, v23, v66
	v_cmp_eq_u32_e32 vcc_lo, 0, v182
	s_and_b32 s16, s15, vcc_lo
	s_delay_alu instid0(SALU_CYCLE_1)
	s_and_saveexec_b32 s15, s16
	s_cbranch_execz .LBB2069_162
; %bb.161:                              ;   in Loop: Header=BB2069_104 Depth=2
	s_wait_dscnt 0x0
	v_bcnt_u32_b32 v61, v61, v181
	ds_store_b32 v183, v61 offset:1056
.LBB2069_162:                           ;   in Loop: Header=BB2069_104 Depth=2
	s_or_b32 exec_lo, exec_lo, s15
	v_cmp_lt_i16_e32 vcc_lo, -1, v65
	; wave barrier
	v_cndmask_b32_e64 v61, -1, 0xffff8000, vcc_lo
	s_delay_alu instid0(VALU_DEP_1) | instskip(NEXT) | instid1(VALU_DEP_1)
	v_xor_b32_e32 v180, v61, v65
	v_cmp_ne_u16_e64 vcc_lo, 0x7fff, v180
	v_cndmask_b32_e32 v61, 0xffff8000, v180, vcc_lo
	s_delay_alu instid0(VALU_DEP_1) | instskip(NEXT) | instid1(VALU_DEP_1)
	v_and_b32_e32 v61, 0xffff, v61
	v_lshrrev_b32_e32 v61, s48, v61
	s_delay_alu instid0(VALU_DEP_1) | instskip(NEXT) | instid1(VALU_DEP_1)
	v_and_b32_e32 v66, s52, v61
	v_lshlrev_b32_e32 v185, 28, v66
	v_bitop3_b32 v65, v61, 1, s52 bitop3:0x80
	v_dual_lshlrev_b32 v67, 30, v66 :: v_dual_lshlrev_b32 v184, 29, v66
	s_delay_alu instid0(VALU_DEP_3) | instskip(NEXT) | instid1(VALU_DEP_3)
	v_cmp_gt_i32_e64 s17, 0, v185
	v_add_co_u32 v61, s15, v65, -1
	s_delay_alu instid0(VALU_DEP_1) | instskip(NEXT) | instid1(VALU_DEP_4)
	v_cndmask_b32_e64 v65, 0, 1, s15
	v_cmp_gt_i32_e64 s15, 0, v67
	v_cmp_gt_i32_e64 s16, 0, v184
	s_delay_alu instid0(VALU_DEP_3) | instskip(SKIP_3) | instid1(VALU_DEP_2)
	v_cmp_ne_u32_e32 vcc_lo, 0, v65
	v_not_b32_e32 v65, v67
	v_not_b32_e32 v67, v184
	;; [unrolled: 1-line block ×3, first 2 shown]
	v_dual_ashrrev_i32 v65, 31, v65 :: v_dual_ashrrev_i32 v67, 31, v67
	v_dual_lshlrev_b32 v186, 27, v66 :: v_dual_lshlrev_b32 v187, 26, v66
	v_dual_lshlrev_b32 v188, 25, v66 :: v_dual_lshlrev_b32 v189, 24, v66
	s_delay_alu instid0(VALU_DEP_4) | instskip(NEXT) | instid1(VALU_DEP_3)
	v_ashrrev_i32_e32 v184, 31, v184
	v_cmp_gt_i32_e64 s18, 0, v186
	v_not_b32_e32 v185, v186
	v_cmp_gt_i32_e64 s19, 0, v187
	v_not_b32_e32 v186, v187
	v_cmp_gt_i32_e64 s20, 0, v188
	v_not_b32_e32 v187, v188
	v_not_b32_e32 v188, v189
	s_delay_alu instid0(VALU_DEP_4) | instskip(SKIP_4) | instid1(VALU_DEP_4)
	v_dual_ashrrev_i32 v186, 31, v186 :: v_dual_bitop2_b32 v61, vcc_lo, v61 bitop3:0x14
	v_xor_b32_e32 v65, s15, v65
	v_dual_ashrrev_i32 v185, 31, v185 :: v_dual_bitop2_b32 v67, s16, v67 bitop3:0x14
	v_xor_b32_e32 v184, s17, v184
	v_cmp_gt_i32_e64 s21, 0, v189
	v_bitop3_b32 v61, v61, v65, exec_lo bitop3:0x80
	v_dual_ashrrev_i32 v65, 31, v187 :: v_dual_ashrrev_i32 v187, 31, v188
	v_xor_b32_e32 v185, s18, v185
	v_xor_b32_e32 v186, s19, v186
	s_delay_alu instid0(VALU_DEP_4) | instskip(SKIP_3) | instid1(VALU_DEP_4)
	v_bitop3_b32 v61, v61, v184, v67 bitop3:0x80
	v_mad_u32_u24 v67, v66, 36, v23
	v_xor_b32_e32 v65, s20, v65
	v_xor_b32_e32 v184, s21, v187
	v_bitop3_b32 v61, v61, v186, v185 bitop3:0x80
	ds_load_b32 v185, v67 offset:1056
	; wave barrier
	v_bitop3_b32 v61, v61, v184, v65 bitop3:0x80
	v_mul_u32_u24_e32 v65, 36, v66
	s_delay_alu instid0(VALU_DEP_2) | instskip(SKIP_1) | instid1(VALU_DEP_3)
	v_mbcnt_lo_u32_b32 v186, v61, 0
	v_cmp_ne_u32_e64 s15, 0, v61
	v_add_nc_u32_e32 v187, v23, v65
	s_delay_alu instid0(VALU_DEP_3) | instskip(SKIP_1) | instid1(SALU_CYCLE_1)
	v_cmp_eq_u32_e32 vcc_lo, 0, v186
	s_and_b32 s16, s15, vcc_lo
	s_and_saveexec_b32 s15, s16
	s_cbranch_execz .LBB2069_164
; %bb.163:                              ;   in Loop: Header=BB2069_104 Depth=2
	s_wait_dscnt 0x0
	v_bcnt_u32_b32 v61, v61, v185
	ds_store_b32 v187, v61 offset:1056
.LBB2069_164:                           ;   in Loop: Header=BB2069_104 Depth=2
	s_or_b32 exec_lo, exec_lo, s15
	v_cmp_lt_i16_e32 vcc_lo, -1, v64
	; wave barrier
	v_cndmask_b32_e64 v61, -1, 0xffff8000, vcc_lo
	s_delay_alu instid0(VALU_DEP_1) | instskip(NEXT) | instid1(VALU_DEP_1)
	v_xor_b32_e32 v184, v61, v64
	v_cmp_ne_u16_e64 vcc_lo, 0x7fff, v184
	v_cndmask_b32_e32 v61, 0xffff8000, v184, vcc_lo
	s_delay_alu instid0(VALU_DEP_1) | instskip(NEXT) | instid1(VALU_DEP_1)
	v_and_b32_e32 v61, 0xffff, v61
	v_lshrrev_b32_e32 v61, s48, v61
	s_delay_alu instid0(VALU_DEP_1) | instskip(SKIP_1) | instid1(VALU_DEP_2)
	v_bitop3_b32 v64, v61, 1, s52 bitop3:0x80
	v_and_b32_e32 v65, s52, v61
	v_add_co_u32 v61, s15, v64, -1
	s_delay_alu instid0(VALU_DEP_1) | instskip(NEXT) | instid1(VALU_DEP_3)
	v_cndmask_b32_e64 v64, 0, 1, s15
	v_lshlrev_b32_e32 v66, 30, v65
	s_delay_alu instid0(VALU_DEP_2) | instskip(NEXT) | instid1(VALU_DEP_2)
	v_cmp_ne_u32_e32 vcc_lo, 0, v64
	v_not_b32_e32 v64, v66
	v_cmp_gt_i32_e64 s15, 0, v66
	s_delay_alu instid0(VALU_DEP_2) | instskip(SKIP_3) | instid1(VALU_DEP_4)
	v_dual_ashrrev_i32 v64, 31, v64 :: v_dual_lshlrev_b32 v67, 29, v65
	v_dual_lshlrev_b32 v188, 28, v65 :: v_dual_lshlrev_b32 v189, 27, v65
	v_dual_lshlrev_b32 v190, 26, v65 :: v_dual_lshlrev_b32 v191, 25, v65
	v_lshlrev_b32_e32 v192, 24, v65
	v_cmp_gt_i32_e64 s16, 0, v67
	v_not_b32_e32 v66, v67
	v_not_b32_e32 v67, v188
	v_cmp_gt_i32_e64 s17, 0, v188
	v_cmp_gt_i32_e64 s18, 0, v189
	v_not_b32_e32 v188, v189
	v_not_b32_e32 v189, v190
	v_dual_ashrrev_i32 v66, 31, v66 :: v_dual_bitop2_b32 v61, vcc_lo, v61 bitop3:0x14
	v_dual_ashrrev_i32 v67, 31, v67 :: v_dual_bitop2_b32 v64, s15, v64 bitop3:0x14
	v_cmp_gt_i32_e64 s19, 0, v190
	v_cmp_gt_i32_e64 s20, 0, v191
	v_not_b32_e32 v190, v191
	v_not_b32_e32 v191, v192
	v_dual_ashrrev_i32 v188, 31, v188 :: v_dual_ashrrev_i32 v189, 31, v189
	v_xor_b32_e32 v66, s16, v66
	v_xor_b32_e32 v67, s17, v67
	v_bitop3_b32 v61, v61, v64, exec_lo bitop3:0x80
	v_cmp_gt_i32_e64 s21, 0, v192
	v_dual_ashrrev_i32 v64, 31, v190 :: v_dual_ashrrev_i32 v190, 31, v191
	v_xor_b32_e32 v188, s18, v188
	v_xor_b32_e32 v189, s19, v189
	v_bitop3_b32 v61, v61, v67, v66 bitop3:0x80
	v_mad_u32_u24 v66, v65, 36, v23
	v_xor_b32_e32 v64, s20, v64
	v_xor_b32_e32 v67, s21, v190
	s_delay_alu instid0(VALU_DEP_4) | instskip(SKIP_3) | instid1(VALU_DEP_2)
	v_bitop3_b32 v61, v61, v189, v188 bitop3:0x80
	ds_load_b32 v189, v66 offset:1056
	; wave barrier
	v_bitop3_b32 v61, v61, v67, v64 bitop3:0x80
	v_mul_u32_u24_e32 v64, 36, v65
	v_mbcnt_lo_u32_b32 v190, v61, 0
	v_cmp_ne_u32_e64 s15, 0, v61
	s_delay_alu instid0(VALU_DEP_3) | instskip(NEXT) | instid1(VALU_DEP_3)
	v_add_nc_u32_e32 v191, v23, v64
	v_cmp_eq_u32_e32 vcc_lo, 0, v190
	s_and_b32 s16, s15, vcc_lo
	s_delay_alu instid0(SALU_CYCLE_1)
	s_and_saveexec_b32 s15, s16
	s_cbranch_execz .LBB2069_166
; %bb.165:                              ;   in Loop: Header=BB2069_104 Depth=2
	s_wait_dscnt 0x0
	v_bcnt_u32_b32 v61, v61, v189
	ds_store_b32 v191, v61 offset:1056
.LBB2069_166:                           ;   in Loop: Header=BB2069_104 Depth=2
	s_or_b32 exec_lo, exec_lo, s15
	v_cmp_lt_i16_e32 vcc_lo, -1, v63
	; wave barrier
	v_cndmask_b32_e64 v61, -1, 0xffff8000, vcc_lo
	s_delay_alu instid0(VALU_DEP_1) | instskip(NEXT) | instid1(VALU_DEP_1)
	v_xor_b32_e32 v188, v61, v63
	v_cmp_ne_u16_e64 vcc_lo, 0x7fff, v188
	v_cndmask_b32_e32 v61, 0xffff8000, v188, vcc_lo
	s_delay_alu instid0(VALU_DEP_1) | instskip(NEXT) | instid1(VALU_DEP_1)
	v_and_b32_e32 v61, 0xffff, v61
	v_lshrrev_b32_e32 v61, s48, v61
	s_delay_alu instid0(VALU_DEP_1) | instskip(SKIP_1) | instid1(VALU_DEP_2)
	v_bitop3_b32 v63, v61, 1, s52 bitop3:0x80
	v_and_b32_e32 v64, s52, v61
	v_add_co_u32 v61, s15, v63, -1
	s_delay_alu instid0(VALU_DEP_1) | instskip(NEXT) | instid1(VALU_DEP_3)
	v_cndmask_b32_e64 v63, 0, 1, s15
	v_lshlrev_b32_e32 v65, 30, v64
	s_delay_alu instid0(VALU_DEP_2) | instskip(NEXT) | instid1(VALU_DEP_2)
	v_cmp_ne_u32_e32 vcc_lo, 0, v63
	v_not_b32_e32 v63, v65
	s_delay_alu instid0(VALU_DEP_1) | instskip(SKIP_4) | instid1(VALU_DEP_4)
	v_dual_ashrrev_i32 v63, 31, v63 :: v_dual_bitop2_b32 v61, vcc_lo, v61 bitop3:0x14
	v_dual_lshlrev_b32 v66, 29, v64 :: v_dual_lshlrev_b32 v67, 28, v64
	v_dual_lshlrev_b32 v192, 27, v64 :: v_dual_lshlrev_b32 v193, 26, v64
	v_lshlrev_b32_e32 v194, 25, v64
	v_cmp_gt_i32_e64 s15, 0, v65
	v_cmp_gt_i32_e64 s16, 0, v66
	v_not_b32_e32 v65, v66
	v_not_b32_e32 v66, v67
	v_lshlrev_b32_e32 v195, 24, v64
	v_cmp_gt_i32_e64 s17, 0, v67
	v_cmp_gt_i32_e64 s18, 0, v192
	v_not_b32_e32 v67, v192
	v_not_b32_e32 v192, v193
	v_dual_ashrrev_i32 v65, 31, v65 :: v_dual_bitop2_b32 v63, s15, v63 bitop3:0x14
	v_ashrrev_i32_e32 v66, 31, v66
	v_cmp_gt_i32_e64 s19, 0, v193
	v_cmp_gt_i32_e64 s20, 0, v194
	v_not_b32_e32 v193, v194
	v_not_b32_e32 v194, v195
	v_dual_ashrrev_i32 v67, 31, v67 :: v_dual_ashrrev_i32 v192, 31, v192
	v_xor_b32_e32 v65, s16, v65
	v_xor_b32_e32 v66, s17, v66
	v_bitop3_b32 v61, v61, v63, exec_lo bitop3:0x80
	v_cmp_gt_i32_e64 s21, 0, v195
	v_dual_ashrrev_i32 v63, 31, v193 :: v_dual_ashrrev_i32 v193, 31, v194
	v_xor_b32_e32 v67, s18, v67
	v_xor_b32_e32 v192, s19, v192
	v_bitop3_b32 v61, v61, v66, v65 bitop3:0x80
	v_mad_u32_u24 v65, v64, 36, v23
	v_xor_b32_e32 v63, s20, v63
	v_xor_b32_e32 v66, s21, v193
	s_delay_alu instid0(VALU_DEP_4) | instskip(SKIP_3) | instid1(VALU_DEP_2)
	v_bitop3_b32 v61, v61, v192, v67 bitop3:0x80
	ds_load_b32 v193, v65 offset:1056
	; wave barrier
	v_bitop3_b32 v61, v61, v66, v63 bitop3:0x80
	v_mul_u32_u24_e32 v63, 36, v64
	v_mbcnt_lo_u32_b32 v194, v61, 0
	v_cmp_ne_u32_e64 s15, 0, v61
	s_delay_alu instid0(VALU_DEP_3) | instskip(NEXT) | instid1(VALU_DEP_3)
	v_add_nc_u32_e32 v195, v23, v63
	v_cmp_eq_u32_e32 vcc_lo, 0, v194
	s_and_b32 s16, s15, vcc_lo
	s_delay_alu instid0(SALU_CYCLE_1)
	s_and_saveexec_b32 s15, s16
	s_cbranch_execz .LBB2069_168
; %bb.167:                              ;   in Loop: Header=BB2069_104 Depth=2
	s_wait_dscnt 0x0
	v_bcnt_u32_b32 v61, v61, v193
	ds_store_b32 v195, v61 offset:1056
.LBB2069_168:                           ;   in Loop: Header=BB2069_104 Depth=2
	s_or_b32 exec_lo, exec_lo, s15
	v_cmp_lt_i16_e32 vcc_lo, -1, v62
	; wave barrier
	v_cndmask_b32_e64 v61, -1, 0xffff8000, vcc_lo
	s_delay_alu instid0(VALU_DEP_1) | instskip(NEXT) | instid1(VALU_DEP_1)
	v_xor_b32_e32 v192, v61, v62
	v_cmp_ne_u16_e64 vcc_lo, 0x7fff, v192
	v_cndmask_b32_e32 v61, 0xffff8000, v192, vcc_lo
	s_delay_alu instid0(VALU_DEP_1) | instskip(NEXT) | instid1(VALU_DEP_1)
	v_and_b32_e32 v61, 0xffff, v61
	v_lshrrev_b32_e32 v61, s48, v61
	s_delay_alu instid0(VALU_DEP_1) | instskip(SKIP_1) | instid1(VALU_DEP_2)
	v_bitop3_b32 v62, v61, 1, s52 bitop3:0x80
	v_and_b32_e32 v63, s52, v61
	v_add_co_u32 v61, s15, v62, -1
	s_delay_alu instid0(VALU_DEP_1) | instskip(NEXT) | instid1(VALU_DEP_3)
	v_cndmask_b32_e64 v62, 0, 1, s15
	v_lshlrev_b32_e32 v64, 30, v63
	s_delay_alu instid0(VALU_DEP_2) | instskip(NEXT) | instid1(VALU_DEP_2)
	v_cmp_ne_u32_e32 vcc_lo, 0, v62
	v_not_b32_e32 v62, v64
	v_cmp_gt_i32_e64 s15, 0, v64
	s_delay_alu instid0(VALU_DEP_2) | instskip(SKIP_3) | instid1(VALU_DEP_4)
	v_dual_ashrrev_i32 v62, 31, v62 :: v_dual_lshlrev_b32 v65, 29, v63
	v_dual_lshlrev_b32 v66, 28, v63 :: v_dual_lshlrev_b32 v67, 27, v63
	v_dual_lshlrev_b32 v196, 26, v63 :: v_dual_lshlrev_b32 v197, 25, v63
	v_lshlrev_b32_e32 v198, 24, v63
	v_cmp_gt_i32_e64 s16, 0, v65
	v_not_b32_e32 v64, v65
	v_not_b32_e32 v65, v66
	v_cmp_gt_i32_e64 s17, 0, v66
	v_cmp_gt_i32_e64 s18, 0, v67
	v_not_b32_e32 v66, v67
	v_not_b32_e32 v67, v196
	v_dual_ashrrev_i32 v64, 31, v64 :: v_dual_bitop2_b32 v61, vcc_lo, v61 bitop3:0x14
	v_dual_ashrrev_i32 v65, 31, v65 :: v_dual_bitop2_b32 v62, s15, v62 bitop3:0x14
	v_cmp_gt_i32_e64 s19, 0, v196
	v_cmp_gt_i32_e64 s20, 0, v197
	v_not_b32_e32 v196, v197
	v_not_b32_e32 v197, v198
	v_dual_ashrrev_i32 v66, 31, v66 :: v_dual_ashrrev_i32 v67, 31, v67
	v_xor_b32_e32 v64, s16, v64
	v_xor_b32_e32 v65, s17, v65
	v_bitop3_b32 v61, v61, v62, exec_lo bitop3:0x80
	v_cmp_gt_i32_e64 s21, 0, v198
	v_dual_ashrrev_i32 v62, 31, v196 :: v_dual_ashrrev_i32 v196, 31, v197
	v_xor_b32_e32 v66, s18, v66
	v_xor_b32_e32 v67, s19, v67
	v_bitop3_b32 v61, v61, v65, v64 bitop3:0x80
	v_mad_u32_u24 v64, v63, 36, v23
	v_xor_b32_e32 v62, s20, v62
	v_xor_b32_e32 v65, s21, v196
	s_delay_alu instid0(VALU_DEP_4) | instskip(SKIP_3) | instid1(VALU_DEP_2)
	v_bitop3_b32 v61, v61, v67, v66 bitop3:0x80
	ds_load_b32 v197, v64 offset:1056
	; wave barrier
	v_bitop3_b32 v61, v61, v65, v62 bitop3:0x80
	v_mul_u32_u24_e32 v62, 36, v63
	v_mbcnt_lo_u32_b32 v198, v61, 0
	v_cmp_ne_u32_e64 s15, 0, v61
	s_delay_alu instid0(VALU_DEP_3) | instskip(NEXT) | instid1(VALU_DEP_3)
	v_add_nc_u32_e32 v199, v23, v62
	v_cmp_eq_u32_e32 vcc_lo, 0, v198
	s_and_b32 s16, s15, vcc_lo
	s_delay_alu instid0(SALU_CYCLE_1)
	s_and_saveexec_b32 s15, s16
	s_cbranch_execz .LBB2069_170
; %bb.169:                              ;   in Loop: Header=BB2069_104 Depth=2
	s_wait_dscnt 0x0
	v_bcnt_u32_b32 v61, v61, v197
	ds_store_b32 v199, v61 offset:1056
.LBB2069_170:                           ;   in Loop: Header=BB2069_104 Depth=2
	s_or_b32 exec_lo, exec_lo, s15
	v_cmp_lt_i16_e32 vcc_lo, -1, v60
	; wave barrier
	v_cndmask_b32_e64 v61, -1, 0xffff8000, vcc_lo
	s_delay_alu instid0(VALU_DEP_1) | instskip(NEXT) | instid1(VALU_DEP_1)
	v_xor_b32_e32 v196, v61, v60
	v_cmp_ne_u16_e64 vcc_lo, 0x7fff, v196
	v_cndmask_b32_e32 v60, 0xffff8000, v196, vcc_lo
	s_delay_alu instid0(VALU_DEP_1) | instskip(NEXT) | instid1(VALU_DEP_1)
	v_and_b32_e32 v60, 0xffff, v60
	v_lshrrev_b32_e32 v60, s48, v60
	s_delay_alu instid0(VALU_DEP_1) | instskip(SKIP_1) | instid1(VALU_DEP_2)
	v_bitop3_b32 v61, v60, 1, s52 bitop3:0x80
	v_and_b32_e32 v62, s52, v60
	v_add_co_u32 v60, s15, v61, -1
	s_delay_alu instid0(VALU_DEP_1) | instskip(NEXT) | instid1(VALU_DEP_3)
	v_cndmask_b32_e64 v61, 0, 1, s15
	v_lshlrev_b32_e32 v63, 30, v62
	s_delay_alu instid0(VALU_DEP_2) | instskip(NEXT) | instid1(VALU_DEP_2)
	v_cmp_ne_u32_e32 vcc_lo, 0, v61
	v_not_b32_e32 v61, v63
	v_cmp_gt_i32_e64 s15, 0, v63
	s_delay_alu instid0(VALU_DEP_2) | instskip(SKIP_3) | instid1(VALU_DEP_4)
	v_dual_ashrrev_i32 v61, 31, v61 :: v_dual_lshlrev_b32 v64, 29, v62
	v_dual_lshlrev_b32 v65, 28, v62 :: v_dual_lshlrev_b32 v66, 27, v62
	v_dual_lshlrev_b32 v67, 26, v62 :: v_dual_lshlrev_b32 v200, 25, v62
	v_lshlrev_b32_e32 v201, 24, v62
	v_cmp_gt_i32_e64 s16, 0, v64
	v_not_b32_e32 v63, v64
	v_not_b32_e32 v64, v65
	v_cmp_gt_i32_e64 s17, 0, v65
	v_cmp_gt_i32_e64 s18, 0, v66
	v_not_b32_e32 v65, v66
	v_not_b32_e32 v66, v67
	v_dual_ashrrev_i32 v63, 31, v63 :: v_dual_bitop2_b32 v60, vcc_lo, v60 bitop3:0x14
	v_dual_ashrrev_i32 v64, 31, v64 :: v_dual_bitop2_b32 v61, s15, v61 bitop3:0x14
	v_cmp_gt_i32_e64 s19, 0, v67
	v_cmp_gt_i32_e64 s20, 0, v200
	v_not_b32_e32 v67, v200
	v_not_b32_e32 v200, v201
	v_dual_ashrrev_i32 v65, 31, v65 :: v_dual_ashrrev_i32 v66, 31, v66
	v_xor_b32_e32 v63, s16, v63
	v_xor_b32_e32 v64, s17, v64
	v_bitop3_b32 v60, v60, v61, exec_lo bitop3:0x80
	v_cmp_gt_i32_e64 s21, 0, v201
	v_dual_ashrrev_i32 v61, 31, v67 :: v_dual_ashrrev_i32 v67, 31, v200
	v_xor_b32_e32 v65, s18, v65
	v_xor_b32_e32 v66, s19, v66
	v_bitop3_b32 v60, v60, v64, v63 bitop3:0x80
	v_mad_u32_u24 v63, v62, 36, v23
	v_xor_b32_e32 v61, s20, v61
	v_xor_b32_e32 v64, s21, v67
	s_delay_alu instid0(VALU_DEP_4) | instskip(SKIP_3) | instid1(VALU_DEP_2)
	v_bitop3_b32 v60, v60, v66, v65 bitop3:0x80
	ds_load_b32 v200, v63 offset:1056
	; wave barrier
	v_bitop3_b32 v60, v60, v64, v61 bitop3:0x80
	v_mul_u32_u24_e32 v61, 36, v62
	v_mbcnt_lo_u32_b32 v201, v60, 0
	v_cmp_ne_u32_e64 s15, 0, v60
	s_delay_alu instid0(VALU_DEP_3) | instskip(NEXT) | instid1(VALU_DEP_3)
	v_add_nc_u32_e32 v202, v23, v61
	v_cmp_eq_u32_e32 vcc_lo, 0, v201
	s_and_b32 s16, s15, vcc_lo
	s_delay_alu instid0(SALU_CYCLE_1)
	s_and_saveexec_b32 s15, s16
	s_cbranch_execz .LBB2069_172
; %bb.171:                              ;   in Loop: Header=BB2069_104 Depth=2
	s_wait_dscnt 0x0
	v_bcnt_u32_b32 v60, v60, v200
	ds_store_b32 v202, v60 offset:1056
.LBB2069_172:                           ;   in Loop: Header=BB2069_104 Depth=2
	s_or_b32 exec_lo, exec_lo, s15
	; wave barrier
	s_wait_dscnt 0x0
	s_barrier_signal -1
	s_barrier_wait -1
	ds_load_2addr_b32 v[66:67], v118 offset1:1
	ds_load_2addr_b32 v[64:65], v119 offset1:1
	;; [unrolled: 1-line block ×4, first 2 shown]
	ds_load_b32 v203, v91 offset:1088
	s_wait_dscnt 0x3
	v_add3_u32 v204, v67, v66, v64
	s_wait_dscnt 0x2
	s_delay_alu instid0(VALU_DEP_1) | instskip(SKIP_1) | instid1(VALU_DEP_1)
	v_add3_u32 v204, v204, v65, v62
	s_wait_dscnt 0x1
	v_add3_u32 v204, v204, v63, v60
	s_wait_dscnt 0x0
	s_delay_alu instid0(VALU_DEP_1) | instskip(NEXT) | instid1(VALU_DEP_1)
	v_add3_u32 v203, v204, v61, v203
	v_mov_b32_dpp v204, v203 row_shr:1 row_mask:0xf bank_mask:0xf
	s_delay_alu instid0(VALU_DEP_1) | instskip(NEXT) | instid1(VALU_DEP_1)
	v_cndmask_b32_e64 v204, v204, 0, s7
	v_add_nc_u32_e32 v203, v204, v203
	s_delay_alu instid0(VALU_DEP_1) | instskip(NEXT) | instid1(VALU_DEP_1)
	v_mov_b32_dpp v204, v203 row_shr:2 row_mask:0xf bank_mask:0xf
	v_cndmask_b32_e64 v204, 0, v204, s8
	s_delay_alu instid0(VALU_DEP_1) | instskip(NEXT) | instid1(VALU_DEP_1)
	v_add_nc_u32_e32 v203, v203, v204
	v_mov_b32_dpp v204, v203 row_shr:4 row_mask:0xf bank_mask:0xf
	s_delay_alu instid0(VALU_DEP_1) | instskip(NEXT) | instid1(VALU_DEP_1)
	v_cndmask_b32_e64 v204, 0, v204, s9
	v_add_nc_u32_e32 v203, v203, v204
	s_delay_alu instid0(VALU_DEP_1) | instskip(NEXT) | instid1(VALU_DEP_1)
	v_mov_b32_dpp v204, v203 row_shr:8 row_mask:0xf bank_mask:0xf
	v_cndmask_b32_e64 v204, 0, v204, s10
	s_delay_alu instid0(VALU_DEP_1) | instskip(SKIP_3) | instid1(VALU_DEP_1)
	v_add_nc_u32_e32 v203, v203, v204
	ds_swizzle_b32 v204, v203 offset:swizzle(BROADCAST,32,15)
	s_wait_dscnt 0x0
	v_cndmask_b32_e64 v204, v204, 0, s11
	v_add_nc_u32_e32 v203, v203, v204
	s_and_saveexec_b32 s15, s1
; %bb.173:                              ;   in Loop: Header=BB2069_104 Depth=2
	ds_store_b32 v84, v203 offset:1024
; %bb.174:                              ;   in Loop: Header=BB2069_104 Depth=2
	s_or_b32 exec_lo, exec_lo, s15
	s_wait_dscnt 0x0
	s_barrier_signal -1
	s_barrier_wait -1
	s_and_saveexec_b32 s15, s4
	s_cbranch_execz .LBB2069_176
; %bb.175:                              ;   in Loop: Header=BB2069_104 Depth=2
	ds_load_b32 v204, v92 offset:1024
	s_wait_dscnt 0x0
	v_mov_b32_dpp v205, v204 row_shr:1 row_mask:0xf bank_mask:0xf
	s_delay_alu instid0(VALU_DEP_1) | instskip(NEXT) | instid1(VALU_DEP_1)
	v_cndmask_b32_e64 v205, v205, 0, s12
	v_add_nc_u32_e32 v204, v205, v204
	s_delay_alu instid0(VALU_DEP_1) | instskip(NEXT) | instid1(VALU_DEP_1)
	v_mov_b32_dpp v205, v204 row_shr:2 row_mask:0xf bank_mask:0xf
	v_cndmask_b32_e64 v205, 0, v205, s13
	s_delay_alu instid0(VALU_DEP_1) | instskip(NEXT) | instid1(VALU_DEP_1)
	v_add_nc_u32_e32 v204, v204, v205
	v_mov_b32_dpp v205, v204 row_shr:4 row_mask:0xf bank_mask:0xf
	s_delay_alu instid0(VALU_DEP_1) | instskip(NEXT) | instid1(VALU_DEP_1)
	v_cndmask_b32_e64 v205, 0, v205, s14
	v_add_nc_u32_e32 v204, v204, v205
	ds_store_b32 v92, v204 offset:1024
.LBB2069_176:                           ;   in Loop: Header=BB2069_104 Depth=2
	s_or_b32 exec_lo, exec_lo, s15
	v_mov_b32_e32 v204, 0
	s_wait_dscnt 0x0
	s_barrier_signal -1
	s_barrier_wait -1
	s_and_saveexec_b32 s15, s5
; %bb.177:                              ;   in Loop: Header=BB2069_104 Depth=2
	ds_load_b32 v204, v84 offset:1020
; %bb.178:                              ;   in Loop: Header=BB2069_104 Depth=2
	s_or_b32 exec_lo, exec_lo, s15
	s_wait_dscnt 0x0
	v_add_nc_u32_e32 v203, v204, v203
	ds_bpermute_b32 v203, v122, v203
	s_wait_dscnt 0x0
	v_cndmask_b32_e64 v203, v203, v204, s6
	s_delay_alu instid0(VALU_DEP_1) | instskip(NEXT) | instid1(VALU_DEP_1)
	v_cndmask_b32_e64 v203, v203, 0, s2
	v_add_nc_u32_e32 v66, v203, v66
	s_delay_alu instid0(VALU_DEP_1) | instskip(NEXT) | instid1(VALU_DEP_1)
	v_add_nc_u32_e32 v67, v66, v67
	v_add_nc_u32_e32 v64, v67, v64
	s_delay_alu instid0(VALU_DEP_1) | instskip(NEXT) | instid1(VALU_DEP_1)
	v_add_nc_u32_e32 v65, v64, v65
	;; [unrolled: 3-line block ×3, first 2 shown]
	v_add_nc_u32_e32 v60, v63, v60
	s_delay_alu instid0(VALU_DEP_1)
	v_add_nc_u32_e32 v61, v60, v61
	ds_store_2addr_b32 v121, v63, v60 offset1:1
	ds_store_2addr_b32 v118, v203, v66 offset1:1
	;; [unrolled: 1-line block ×4, first 2 shown]
	ds_store_b32 v91, v61 offset:1088
	s_wait_dscnt 0x0
	s_barrier_signal -1
	s_barrier_wait -1
	ds_load_b32 v63, v143 offset:1056
	ds_load_b32 v65, v147 offset:1056
	;; [unrolled: 1-line block ×17, first 2 shown]
	v_mov_b32_e32 v62, 0x1000
	s_and_saveexec_b32 s15, s3
; %bb.179:                              ;   in Loop: Header=BB2069_104 Depth=2
	ds_load_b32 v62, v91 offset:1092
; %bb.180:                              ;   in Loop: Header=BB2069_104 Depth=2
	s_or_b32 exec_lo, exec_lo, s15
	s_wait_dscnt 0x0
	s_barrier_signal -1
	s_barrier_wait -1
	s_and_saveexec_b32 s15, s0
	s_cbranch_execz .LBB2069_182
; %bb.181:                              ;   in Loop: Header=BB2069_104 Depth=2
	ds_load_b32 v155, v3
	s_wait_dscnt 0x0
	v_sub_nc_u32_e32 v151, v155, v151
	ds_store_b32 v3, v151
.LBB2069_182:                           ;   in Loop: Header=BB2069_104 Depth=2
	s_or_b32 exec_lo, exec_lo, s15
	v_add3_u32 v159, v146, v145, v65
	v_add_nc_u32_e32 v163, v63, v142
	v_add3_u32 v155, v150, v149, v66
	v_add3_u32 v151, v154, v153, v67
	;; [unrolled: 1-line block ×4, first 2 shown]
	v_lshlrev_b32_e32 v60, 1, v159
	v_lshlrev_b32_e32 v153, 1, v163
	v_add3_u32 v150, v158, v157, v143
	v_add3_u32 v147, v166, v165, v203
	;; [unrolled: 1-line block ×4, first 2 shown]
	v_lshlrev_b32_e32 v61, 1, v155
	v_add3_u32 v145, v174, v173, v175
	v_lshlrev_b32_e32 v154, 1, v149
	ds_store_b16 v153, v140 offset:1024
	v_lshlrev_b32_e32 v140, 1, v151
	v_add3_u32 v143, v178, v177, v179
	v_lshlrev_b32_e32 v153, 1, v150
	v_add3_u32 v142, v182, v181, v183
	v_add3_u32 v63, v186, v185, v187
	ds_store_b16 v60, v141 offset:1024
	ds_store_b16 v61, v144 offset:1024
	ds_store_b16 v140, v148 offset:1024
	ds_store_b16 v153, v152 offset:1024
	ds_store_b16 v154, v156 offset:1024
	v_dual_lshlrev_b32 v60, 1, v147 :: v_dual_lshlrev_b32 v140, 1, v145
	v_lshlrev_b32_e32 v61, 1, v146
	v_add3_u32 v65, v198, v197, v64
	v_dual_lshlrev_b32 v141, 1, v143 :: v_dual_lshlrev_b32 v144, 1, v142
	v_add3_u32 v64, v201, v200, v167
	ds_store_b16 v60, v160 offset:1024
	ds_store_b16 v61, v164 offset:1024
	;; [unrolled: 1-line block ×5, first 2 shown]
	v_dual_lshlrev_b32 v60, 1, v63 :: v_dual_lshlrev_b32 v140, 1, v66
	v_cmp_lt_u32_e32 vcc_lo, v2, v139
	v_dual_lshlrev_b32 v61, 1, v67 :: v_dual_lshlrev_b32 v141, 1, v65
	v_lshlrev_b32_e32 v144, 1, v64
	ds_store_b16 v60, v180 offset:1024
	ds_store_b16 v61, v184 offset:1024
	;; [unrolled: 1-line block ×5, first 2 shown]
	s_wait_dscnt 0x0
	s_barrier_signal -1
	s_barrier_wait -1
	s_and_saveexec_b32 s16, vcc_lo
	s_cbranch_execnz .LBB2069_251
; %bb.183:                              ;   in Loop: Header=BB2069_104 Depth=2
	s_or_b32 exec_lo, exec_lo, s16
	v_cmp_lt_u32_e64 s15, v68, v139
	s_and_saveexec_b32 s17, s15
	s_cbranch_execnz .LBB2069_252
.LBB2069_184:                           ;   in Loop: Header=BB2069_104 Depth=2
	s_or_b32 exec_lo, exec_lo, s17
	v_cmp_lt_u32_e64 s16, v69, v139
	s_and_saveexec_b32 s18, s16
	s_cbranch_execnz .LBB2069_253
.LBB2069_185:                           ;   in Loop: Header=BB2069_104 Depth=2
	s_or_b32 exec_lo, exec_lo, s18
	v_cmp_lt_u32_e64 s17, v70, v139
	s_and_saveexec_b32 s19, s17
	s_cbranch_execnz .LBB2069_254
.LBB2069_186:                           ;   in Loop: Header=BB2069_104 Depth=2
	s_or_b32 exec_lo, exec_lo, s19
	v_cmp_lt_u32_e64 s18, v71, v139
	s_and_saveexec_b32 s20, s18
	s_cbranch_execnz .LBB2069_255
.LBB2069_187:                           ;   in Loop: Header=BB2069_104 Depth=2
	s_or_b32 exec_lo, exec_lo, s20
	v_cmp_lt_u32_e64 s19, v72, v139
	s_and_saveexec_b32 s21, s19
	s_cbranch_execnz .LBB2069_256
.LBB2069_188:                           ;   in Loop: Header=BB2069_104 Depth=2
	s_or_b32 exec_lo, exec_lo, s21
	v_cmp_lt_u32_e64 s20, v73, v139
	s_and_saveexec_b32 s22, s20
	s_cbranch_execnz .LBB2069_257
.LBB2069_189:                           ;   in Loop: Header=BB2069_104 Depth=2
	s_or_b32 exec_lo, exec_lo, s22
	v_cmp_lt_u32_e64 s21, v74, v139
	s_and_saveexec_b32 s23, s21
	s_cbranch_execnz .LBB2069_258
.LBB2069_190:                           ;   in Loop: Header=BB2069_104 Depth=2
	s_or_b32 exec_lo, exec_lo, s23
	v_cmp_lt_u32_e64 s22, v75, v139
	s_and_saveexec_b32 s24, s22
	s_cbranch_execnz .LBB2069_259
.LBB2069_191:                           ;   in Loop: Header=BB2069_104 Depth=2
	s_or_b32 exec_lo, exec_lo, s24
	v_cmp_lt_u32_e64 s23, v76, v139
	s_and_saveexec_b32 s25, s23
	s_cbranch_execnz .LBB2069_260
.LBB2069_192:                           ;   in Loop: Header=BB2069_104 Depth=2
	s_or_b32 exec_lo, exec_lo, s25
	v_cmp_lt_u32_e64 s24, v77, v139
	s_and_saveexec_b32 s26, s24
	s_cbranch_execnz .LBB2069_261
.LBB2069_193:                           ;   in Loop: Header=BB2069_104 Depth=2
	s_or_b32 exec_lo, exec_lo, s26
	v_cmp_lt_u32_e64 s25, v78, v139
	s_and_saveexec_b32 s27, s25
	s_cbranch_execnz .LBB2069_262
.LBB2069_194:                           ;   in Loop: Header=BB2069_104 Depth=2
	s_or_b32 exec_lo, exec_lo, s27
	v_cmp_lt_u32_e64 s26, v79, v139
	s_and_saveexec_b32 s28, s26
	s_cbranch_execnz .LBB2069_263
.LBB2069_195:                           ;   in Loop: Header=BB2069_104 Depth=2
	s_or_b32 exec_lo, exec_lo, s28
	v_cmp_lt_u32_e64 s27, v80, v139
	s_and_saveexec_b32 s29, s27
	s_cbranch_execnz .LBB2069_264
.LBB2069_196:                           ;   in Loop: Header=BB2069_104 Depth=2
	s_or_b32 exec_lo, exec_lo, s29
	v_cmp_lt_u32_e64 s28, v81, v139
	s_and_saveexec_b32 s30, s28
	s_cbranch_execnz .LBB2069_265
.LBB2069_197:                           ;   in Loop: Header=BB2069_104 Depth=2
	s_or_b32 exec_lo, exec_lo, s30
	v_cmp_lt_u32_e64 s29, v82, v139
	s_and_saveexec_b32 s58, s29
	s_cbranch_execz .LBB2069_199
.LBB2069_198:                           ;   in Loop: Header=BB2069_104 Depth=2
	ds_load_u16 v60, v93 offset:8704
	s_wait_dscnt 0x0
	v_cmp_ne_u16_e64 s30, 0x7fff, v60
	s_delay_alu instid0(VALU_DEP_1) | instskip(SKIP_1) | instid1(VALU_DEP_2)
	v_cndmask_b32_e64 v61, 0xffff8000, v60, s30
	v_cmp_lt_i16_e64 s30, -1, v60
	v_and_b32_e32 v61, 0xffff, v61
	s_delay_alu instid0(VALU_DEP_2) | instskip(NEXT) | instid1(VALU_DEP_1)
	v_cndmask_b32_e64 v140, 0xffff8000, -1, s30
	v_dual_lshrrev_b32 v61, s48, v61 :: v_dual_bitop2_b32 v60, v140, v60 bitop3:0x14
	s_delay_alu instid0(VALU_DEP_1) | instskip(NEXT) | instid1(VALU_DEP_1)
	v_and_b32_e32 v61, s52, v61
	v_lshlrev_b32_e32 v61, 2, v61
	ds_load_b32 v61, v61
	s_wait_dscnt 0x0
	v_add_nc_u32_e32 v61, v61, v82
	global_store_b16 v61, v60, s[38:39] scale_offset
.LBB2069_199:                           ;   in Loop: Header=BB2069_104 Depth=2
	s_wait_xcnt 0x0
	s_or_b32 exec_lo, exec_lo, s58
	v_lshl_add_u64 v[60:61], s[42:43], 3, v[24:25]
	v_cmp_lt_u32_e64 s30, v100, v139
	s_and_saveexec_b32 s42, s30
	s_delay_alu instid0(SALU_CYCLE_1)
	s_xor_b32 s30, exec_lo, s42
	s_cbranch_execnz .LBB2069_266
; %bb.200:                              ;   in Loop: Header=BB2069_104 Depth=2
	s_or_b32 exec_lo, exec_lo, s30
	s_delay_alu instid0(SALU_CYCLE_1)
	s_mov_b32 s42, exec_lo
	v_cmpx_lt_u32_e64 v103, v139
	s_cbranch_execnz .LBB2069_267
.LBB2069_201:                           ;   in Loop: Header=BB2069_104 Depth=2
	s_or_b32 exec_lo, exec_lo, s42
	s_delay_alu instid0(SALU_CYCLE_1)
	s_mov_b32 s42, exec_lo
	v_cmpx_lt_u32_e64 v104, v139
	s_cbranch_execnz .LBB2069_268
.LBB2069_202:                           ;   in Loop: Header=BB2069_104 Depth=2
	s_or_b32 exec_lo, exec_lo, s42
	s_delay_alu instid0(SALU_CYCLE_1)
	s_mov_b32 s42, exec_lo
	v_cmpx_lt_u32_e64 v105, v139
	s_cbranch_execnz .LBB2069_269
.LBB2069_203:                           ;   in Loop: Header=BB2069_104 Depth=2
	s_or_b32 exec_lo, exec_lo, s42
	s_delay_alu instid0(SALU_CYCLE_1)
	s_mov_b32 s42, exec_lo
	v_cmpx_lt_u32_e64 v106, v139
	s_cbranch_execnz .LBB2069_270
.LBB2069_204:                           ;   in Loop: Header=BB2069_104 Depth=2
	s_or_b32 exec_lo, exec_lo, s42
	s_delay_alu instid0(SALU_CYCLE_1)
	s_mov_b32 s42, exec_lo
	v_cmpx_lt_u32_e64 v107, v139
	s_cbranch_execnz .LBB2069_271
.LBB2069_205:                           ;   in Loop: Header=BB2069_104 Depth=2
	s_or_b32 exec_lo, exec_lo, s42
	s_delay_alu instid0(SALU_CYCLE_1)
	s_mov_b32 s42, exec_lo
	v_cmpx_lt_u32_e64 v108, v139
	s_cbranch_execnz .LBB2069_272
.LBB2069_206:                           ;   in Loop: Header=BB2069_104 Depth=2
	s_or_b32 exec_lo, exec_lo, s42
	s_delay_alu instid0(SALU_CYCLE_1)
	s_mov_b32 s42, exec_lo
	v_cmpx_lt_u32_e64 v109, v139
	s_cbranch_execnz .LBB2069_273
.LBB2069_207:                           ;   in Loop: Header=BB2069_104 Depth=2
	s_or_b32 exec_lo, exec_lo, s42
	s_delay_alu instid0(SALU_CYCLE_1)
	s_mov_b32 s42, exec_lo
	v_cmpx_lt_u32_e64 v110, v139
	s_cbranch_execnz .LBB2069_274
.LBB2069_208:                           ;   in Loop: Header=BB2069_104 Depth=2
	s_or_b32 exec_lo, exec_lo, s42
	s_delay_alu instid0(SALU_CYCLE_1)
	s_mov_b32 s42, exec_lo
	v_cmpx_lt_u32_e64 v111, v139
	s_cbranch_execnz .LBB2069_275
.LBB2069_209:                           ;   in Loop: Header=BB2069_104 Depth=2
	s_or_b32 exec_lo, exec_lo, s42
	s_delay_alu instid0(SALU_CYCLE_1)
	s_mov_b32 s42, exec_lo
	v_cmpx_lt_u32_e64 v112, v139
	s_cbranch_execnz .LBB2069_276
.LBB2069_210:                           ;   in Loop: Header=BB2069_104 Depth=2
	s_or_b32 exec_lo, exec_lo, s42
	s_delay_alu instid0(SALU_CYCLE_1)
	s_mov_b32 s42, exec_lo
	v_cmpx_lt_u32_e64 v113, v139
	s_cbranch_execnz .LBB2069_277
.LBB2069_211:                           ;   in Loop: Header=BB2069_104 Depth=2
	s_or_b32 exec_lo, exec_lo, s42
	s_delay_alu instid0(SALU_CYCLE_1)
	s_mov_b32 s42, exec_lo
	v_cmpx_lt_u32_e64 v114, v139
	s_cbranch_execnz .LBB2069_278
.LBB2069_212:                           ;   in Loop: Header=BB2069_104 Depth=2
	s_or_b32 exec_lo, exec_lo, s42
	s_delay_alu instid0(SALU_CYCLE_1)
	s_mov_b32 s42, exec_lo
	v_cmpx_lt_u32_e64 v115, v139
	s_cbranch_execnz .LBB2069_279
.LBB2069_213:                           ;   in Loop: Header=BB2069_104 Depth=2
	s_or_b32 exec_lo, exec_lo, s42
	s_delay_alu instid0(SALU_CYCLE_1)
	s_mov_b32 s42, exec_lo
	v_cmpx_lt_u32_e64 v116, v139
	s_cbranch_execnz .LBB2069_280
.LBB2069_214:                           ;   in Loop: Header=BB2069_104 Depth=2
	s_or_b32 exec_lo, exec_lo, s42
	s_delay_alu instid0(SALU_CYCLE_1)
	s_mov_b32 s42, exec_lo
	v_cmpx_lt_u32_e64 v117, v139
	s_cbranch_execnz .LBB2069_281
.LBB2069_215:                           ;   in Loop: Header=BB2069_104 Depth=2
	s_or_b32 exec_lo, exec_lo, s42
	s_and_saveexec_b32 s42, vcc_lo
	s_cbranch_execnz .LBB2069_282
.LBB2069_216:                           ;   in Loop: Header=BB2069_104 Depth=2
	s_or_b32 exec_lo, exec_lo, s42
	s_and_saveexec_b32 s42, s15
	s_cbranch_execnz .LBB2069_283
.LBB2069_217:                           ;   in Loop: Header=BB2069_104 Depth=2
	s_or_b32 exec_lo, exec_lo, s42
	s_and_saveexec_b32 s42, s16
	s_cbranch_execnz .LBB2069_284
.LBB2069_218:                           ;   in Loop: Header=BB2069_104 Depth=2
	s_or_b32 exec_lo, exec_lo, s42
	s_and_saveexec_b32 s42, s17
	s_cbranch_execnz .LBB2069_285
.LBB2069_219:                           ;   in Loop: Header=BB2069_104 Depth=2
	s_or_b32 exec_lo, exec_lo, s42
	s_and_saveexec_b32 s42, s18
	s_cbranch_execnz .LBB2069_286
.LBB2069_220:                           ;   in Loop: Header=BB2069_104 Depth=2
	s_or_b32 exec_lo, exec_lo, s42
	s_and_saveexec_b32 s42, s19
	s_cbranch_execnz .LBB2069_287
.LBB2069_221:                           ;   in Loop: Header=BB2069_104 Depth=2
	s_or_b32 exec_lo, exec_lo, s42
	s_and_saveexec_b32 s42, s20
	s_cbranch_execnz .LBB2069_288
.LBB2069_222:                           ;   in Loop: Header=BB2069_104 Depth=2
	s_or_b32 exec_lo, exec_lo, s42
	s_and_saveexec_b32 s42, s21
	s_cbranch_execnz .LBB2069_289
.LBB2069_223:                           ;   in Loop: Header=BB2069_104 Depth=2
	s_or_b32 exec_lo, exec_lo, s42
	s_and_saveexec_b32 s42, s22
	s_cbranch_execnz .LBB2069_290
.LBB2069_224:                           ;   in Loop: Header=BB2069_104 Depth=2
	s_or_b32 exec_lo, exec_lo, s42
	s_and_saveexec_b32 s42, s23
	s_cbranch_execnz .LBB2069_291
.LBB2069_225:                           ;   in Loop: Header=BB2069_104 Depth=2
	s_or_b32 exec_lo, exec_lo, s42
	s_and_saveexec_b32 s42, s24
	s_cbranch_execnz .LBB2069_292
.LBB2069_226:                           ;   in Loop: Header=BB2069_104 Depth=2
	s_or_b32 exec_lo, exec_lo, s42
	s_and_saveexec_b32 s42, s25
	s_cbranch_execnz .LBB2069_293
.LBB2069_227:                           ;   in Loop: Header=BB2069_104 Depth=2
	s_or_b32 exec_lo, exec_lo, s42
	s_and_saveexec_b32 s42, s26
	s_cbranch_execnz .LBB2069_294
.LBB2069_228:                           ;   in Loop: Header=BB2069_104 Depth=2
	s_or_b32 exec_lo, exec_lo, s42
	s_and_saveexec_b32 s42, s27
	s_cbranch_execnz .LBB2069_295
.LBB2069_229:                           ;   in Loop: Header=BB2069_104 Depth=2
	s_or_b32 exec_lo, exec_lo, s42
	s_and_saveexec_b32 s42, s28
	s_cbranch_execnz .LBB2069_296
.LBB2069_230:                           ;   in Loop: Header=BB2069_104 Depth=2
	s_or_b32 exec_lo, exec_lo, s42
	s_and_saveexec_b32 s42, s29
	s_cbranch_execz .LBB2069_232
.LBB2069_231:                           ;   in Loop: Header=BB2069_104 Depth=2
	ds_load_u16 v60, v93 offset:8704
	s_wait_dscnt 0x0
	v_cmp_ne_u16_e64 s30, 0x7fff, v60
	s_delay_alu instid0(VALU_DEP_1) | instskip(NEXT) | instid1(VALU_DEP_1)
	v_cndmask_b32_e64 v60, 0xffff8000, v60, s30
	v_and_b32_e32 v60, 0xffff, v60
	s_delay_alu instid0(VALU_DEP_1) | instskip(NEXT) | instid1(VALU_DEP_1)
	v_lshrrev_b32_e32 v60, s48, v60
	v_and_b32_e32 v123, s52, v60
.LBB2069_232:                           ;   in Loop: Header=BB2069_104 Depth=2
	s_or_b32 exec_lo, exec_lo, s42
	v_dual_lshlrev_b32 v60, 3, v163 :: v_dual_lshlrev_b32 v140, 3, v150
	s_wait_loadcnt 0x0
	s_wait_storecnt 0x0
	s_barrier_signal -1
	s_barrier_wait -1
	ds_store_b64 v60, v[58:59] offset:1024
	v_dual_lshlrev_b32 v60, 3, v159 :: v_dual_lshlrev_b32 v141, 3, v149
	v_lshlrev_b32_e32 v61, 3, v155
	v_lshlrev_b32_e32 v139, 3, v151
	ds_store_b64 v60, v[56:57] offset:1024
	ds_store_b64 v61, v[54:55] offset:1024
	;; [unrolled: 1-line block ×5, first 2 shown]
	v_dual_lshlrev_b32 v60, 3, v147 :: v_dual_lshlrev_b32 v141, 3, v142
	v_dual_lshlrev_b32 v61, 3, v146 :: v_dual_lshlrev_b32 v139, 3, v145
	v_lshlrev_b32_e32 v140, 3, v143
	ds_store_b64 v60, v[46:47] offset:1024
	ds_store_b64 v61, v[44:45] offset:1024
	;; [unrolled: 1-line block ×5, first 2 shown]
	v_dual_lshlrev_b32 v60, 3, v63 :: v_dual_lshlrev_b32 v65, 3, v65
	v_dual_lshlrev_b32 v61, 3, v67 :: v_dual_lshlrev_b32 v64, 3, v64
	v_lshlrev_b32_e32 v63, 3, v66
	ds_store_b64 v60, v[36:37] offset:1024
	ds_store_b64 v61, v[34:35] offset:1024
	;; [unrolled: 1-line block ×5, first 2 shown]
	s_wait_dscnt 0x0
	s_barrier_signal -1
	s_barrier_wait -1
	s_and_saveexec_b32 s30, vcc_lo
	s_cbranch_execnz .LBB2069_297
; %bb.233:                              ;   in Loop: Header=BB2069_104 Depth=2
	s_or_b32 exec_lo, exec_lo, s30
	s_and_saveexec_b32 s30, s15
	s_cbranch_execnz .LBB2069_298
.LBB2069_234:                           ;   in Loop: Header=BB2069_104 Depth=2
	s_or_b32 exec_lo, exec_lo, s30
	s_and_saveexec_b32 s15, s16
	s_cbranch_execnz .LBB2069_299
.LBB2069_235:                           ;   in Loop: Header=BB2069_104 Depth=2
	s_or_b32 exec_lo, exec_lo, s15
	s_and_saveexec_b32 s15, s17
	s_cbranch_execnz .LBB2069_300
.LBB2069_236:                           ;   in Loop: Header=BB2069_104 Depth=2
	s_or_b32 exec_lo, exec_lo, s15
	s_and_saveexec_b32 s15, s18
	s_cbranch_execnz .LBB2069_301
.LBB2069_237:                           ;   in Loop: Header=BB2069_104 Depth=2
	s_or_b32 exec_lo, exec_lo, s15
	s_and_saveexec_b32 s15, s19
	s_cbranch_execnz .LBB2069_302
.LBB2069_238:                           ;   in Loop: Header=BB2069_104 Depth=2
	s_or_b32 exec_lo, exec_lo, s15
	s_and_saveexec_b32 s15, s20
	s_cbranch_execnz .LBB2069_303
.LBB2069_239:                           ;   in Loop: Header=BB2069_104 Depth=2
	s_or_b32 exec_lo, exec_lo, s15
	s_and_saveexec_b32 s15, s21
	s_cbranch_execnz .LBB2069_304
.LBB2069_240:                           ;   in Loop: Header=BB2069_104 Depth=2
	s_or_b32 exec_lo, exec_lo, s15
	s_and_saveexec_b32 s15, s22
	s_cbranch_execnz .LBB2069_305
.LBB2069_241:                           ;   in Loop: Header=BB2069_104 Depth=2
	s_or_b32 exec_lo, exec_lo, s15
	s_and_saveexec_b32 s15, s23
	s_cbranch_execnz .LBB2069_306
.LBB2069_242:                           ;   in Loop: Header=BB2069_104 Depth=2
	s_or_b32 exec_lo, exec_lo, s15
	s_and_saveexec_b32 s15, s24
	s_cbranch_execnz .LBB2069_307
.LBB2069_243:                           ;   in Loop: Header=BB2069_104 Depth=2
	s_or_b32 exec_lo, exec_lo, s15
	s_and_saveexec_b32 s15, s25
	s_cbranch_execnz .LBB2069_308
.LBB2069_244:                           ;   in Loop: Header=BB2069_104 Depth=2
	s_or_b32 exec_lo, exec_lo, s15
	s_and_saveexec_b32 s15, s26
	s_cbranch_execnz .LBB2069_309
.LBB2069_245:                           ;   in Loop: Header=BB2069_104 Depth=2
	s_or_b32 exec_lo, exec_lo, s15
	s_and_saveexec_b32 s15, s27
	s_cbranch_execnz .LBB2069_310
.LBB2069_246:                           ;   in Loop: Header=BB2069_104 Depth=2
	s_or_b32 exec_lo, exec_lo, s15
	s_and_saveexec_b32 s15, s28
	s_cbranch_execnz .LBB2069_311
.LBB2069_247:                           ;   in Loop: Header=BB2069_104 Depth=2
	s_or_b32 exec_lo, exec_lo, s15
	s_and_saveexec_b32 s15, s29
	s_cbranch_execz .LBB2069_249
.LBB2069_248:                           ;   in Loop: Header=BB2069_104 Depth=2
	v_dual_lshlrev_b32 v60, 2, v123 :: v_dual_add_nc_u32 v61, v93, v94
	ds_load_b32 v63, v60
	ds_load_b64 v[60:61], v61 offset:31744
	s_wait_dscnt 0x1
	v_add_nc_u32_e32 v63, v63, v82
	s_wait_dscnt 0x0
	global_store_b64 v63, v[60:61], s[44:45] scale_offset
.LBB2069_249:                           ;   in Loop: Header=BB2069_104 Depth=2
	s_wait_xcnt 0x0
	s_or_b32 exec_lo, exec_lo, s15
	s_wait_storecnt 0x0
	s_barrier_signal -1
	s_barrier_wait -1
	s_and_saveexec_b32 s15, s0
	s_cbranch_execz .LBB2069_103
; %bb.250:                              ;   in Loop: Header=BB2069_104 Depth=2
	ds_load_b32 v60, v3
	s_wait_dscnt 0x0
	v_add_nc_u32_e32 v60, v60, v62
	ds_store_b32 v3, v60
	s_branch .LBB2069_103
.LBB2069_251:                           ;   in Loop: Header=BB2069_104 Depth=2
	ds_load_u16 v60, v93 offset:1024
	s_wait_dscnt 0x0
	v_cmp_ne_u16_e64 s15, 0x7fff, v60
	s_delay_alu instid0(VALU_DEP_1) | instskip(SKIP_1) | instid1(VALU_DEP_2)
	v_cndmask_b32_e64 v61, 0xffff8000, v60, s15
	v_cmp_lt_i16_e64 s15, -1, v60
	v_and_b32_e32 v61, 0xffff, v61
	s_delay_alu instid0(VALU_DEP_2) | instskip(NEXT) | instid1(VALU_DEP_1)
	v_cndmask_b32_e64 v140, 0xffff8000, -1, s15
	v_dual_lshrrev_b32 v61, s48, v61 :: v_dual_bitop2_b32 v60, v140, v60 bitop3:0x14
	s_delay_alu instid0(VALU_DEP_1) | instskip(NEXT) | instid1(VALU_DEP_1)
	v_and_b32_e32 v61, s52, v61
	v_lshlrev_b32_e32 v61, 2, v61
	ds_load_b32 v61, v61
	s_wait_dscnt 0x0
	v_add_nc_u32_e32 v61, v61, v2
	global_store_b16 v61, v60, s[38:39] scale_offset
	s_wait_xcnt 0x0
	s_or_b32 exec_lo, exec_lo, s16
	v_cmp_lt_u32_e64 s15, v68, v139
	s_and_saveexec_b32 s17, s15
	s_cbranch_execz .LBB2069_184
.LBB2069_252:                           ;   in Loop: Header=BB2069_104 Depth=2
	ds_load_u16 v60, v93 offset:1536
	s_wait_dscnt 0x0
	v_cmp_ne_u16_e64 s16, 0x7fff, v60
	s_delay_alu instid0(VALU_DEP_1) | instskip(SKIP_1) | instid1(VALU_DEP_2)
	v_cndmask_b32_e64 v61, 0xffff8000, v60, s16
	v_cmp_lt_i16_e64 s16, -1, v60
	v_and_b32_e32 v61, 0xffff, v61
	s_delay_alu instid0(VALU_DEP_2) | instskip(NEXT) | instid1(VALU_DEP_1)
	v_cndmask_b32_e64 v140, 0xffff8000, -1, s16
	v_dual_lshrrev_b32 v61, s48, v61 :: v_dual_bitop2_b32 v60, v140, v60 bitop3:0x14
	s_delay_alu instid0(VALU_DEP_1) | instskip(NEXT) | instid1(VALU_DEP_1)
	v_and_b32_e32 v61, s52, v61
	v_lshlrev_b32_e32 v61, 2, v61
	ds_load_b32 v61, v61
	s_wait_dscnt 0x0
	v_add_nc_u32_e32 v61, v61, v68
	global_store_b16 v61, v60, s[38:39] scale_offset
	s_wait_xcnt 0x0
	s_or_b32 exec_lo, exec_lo, s17
	v_cmp_lt_u32_e64 s16, v69, v139
	s_and_saveexec_b32 s18, s16
	s_cbranch_execz .LBB2069_185
.LBB2069_253:                           ;   in Loop: Header=BB2069_104 Depth=2
	ds_load_u16 v60, v93 offset:2048
	s_wait_dscnt 0x0
	v_cmp_ne_u16_e64 s17, 0x7fff, v60
	s_delay_alu instid0(VALU_DEP_1) | instskip(SKIP_1) | instid1(VALU_DEP_2)
	v_cndmask_b32_e64 v61, 0xffff8000, v60, s17
	v_cmp_lt_i16_e64 s17, -1, v60
	v_and_b32_e32 v61, 0xffff, v61
	s_delay_alu instid0(VALU_DEP_2) | instskip(NEXT) | instid1(VALU_DEP_1)
	v_cndmask_b32_e64 v140, 0xffff8000, -1, s17
	v_dual_lshrrev_b32 v61, s48, v61 :: v_dual_bitop2_b32 v60, v140, v60 bitop3:0x14
	s_delay_alu instid0(VALU_DEP_1) | instskip(NEXT) | instid1(VALU_DEP_1)
	v_and_b32_e32 v61, s52, v61
	v_lshlrev_b32_e32 v61, 2, v61
	ds_load_b32 v61, v61
	s_wait_dscnt 0x0
	v_add_nc_u32_e32 v61, v61, v69
	global_store_b16 v61, v60, s[38:39] scale_offset
	s_wait_xcnt 0x0
	s_or_b32 exec_lo, exec_lo, s18
	v_cmp_lt_u32_e64 s17, v70, v139
	s_and_saveexec_b32 s19, s17
	s_cbranch_execz .LBB2069_186
.LBB2069_254:                           ;   in Loop: Header=BB2069_104 Depth=2
	ds_load_u16 v60, v93 offset:2560
	s_wait_dscnt 0x0
	v_cmp_ne_u16_e64 s18, 0x7fff, v60
	s_delay_alu instid0(VALU_DEP_1) | instskip(SKIP_1) | instid1(VALU_DEP_2)
	v_cndmask_b32_e64 v61, 0xffff8000, v60, s18
	v_cmp_lt_i16_e64 s18, -1, v60
	v_and_b32_e32 v61, 0xffff, v61
	s_delay_alu instid0(VALU_DEP_2) | instskip(NEXT) | instid1(VALU_DEP_1)
	v_cndmask_b32_e64 v140, 0xffff8000, -1, s18
	v_dual_lshrrev_b32 v61, s48, v61 :: v_dual_bitop2_b32 v60, v140, v60 bitop3:0x14
	s_delay_alu instid0(VALU_DEP_1) | instskip(NEXT) | instid1(VALU_DEP_1)
	v_and_b32_e32 v61, s52, v61
	v_lshlrev_b32_e32 v61, 2, v61
	ds_load_b32 v61, v61
	s_wait_dscnt 0x0
	v_add_nc_u32_e32 v61, v61, v70
	global_store_b16 v61, v60, s[38:39] scale_offset
	s_wait_xcnt 0x0
	s_or_b32 exec_lo, exec_lo, s19
	v_cmp_lt_u32_e64 s18, v71, v139
	s_and_saveexec_b32 s20, s18
	s_cbranch_execz .LBB2069_187
.LBB2069_255:                           ;   in Loop: Header=BB2069_104 Depth=2
	ds_load_u16 v60, v93 offset:3072
	s_wait_dscnt 0x0
	v_cmp_ne_u16_e64 s19, 0x7fff, v60
	s_delay_alu instid0(VALU_DEP_1) | instskip(SKIP_1) | instid1(VALU_DEP_2)
	v_cndmask_b32_e64 v61, 0xffff8000, v60, s19
	v_cmp_lt_i16_e64 s19, -1, v60
	v_and_b32_e32 v61, 0xffff, v61
	s_delay_alu instid0(VALU_DEP_2) | instskip(NEXT) | instid1(VALU_DEP_1)
	v_cndmask_b32_e64 v140, 0xffff8000, -1, s19
	v_dual_lshrrev_b32 v61, s48, v61 :: v_dual_bitop2_b32 v60, v140, v60 bitop3:0x14
	s_delay_alu instid0(VALU_DEP_1) | instskip(NEXT) | instid1(VALU_DEP_1)
	v_and_b32_e32 v61, s52, v61
	v_lshlrev_b32_e32 v61, 2, v61
	ds_load_b32 v61, v61
	s_wait_dscnt 0x0
	v_add_nc_u32_e32 v61, v61, v71
	global_store_b16 v61, v60, s[38:39] scale_offset
	s_wait_xcnt 0x0
	s_or_b32 exec_lo, exec_lo, s20
	v_cmp_lt_u32_e64 s19, v72, v139
	s_and_saveexec_b32 s21, s19
	s_cbranch_execz .LBB2069_188
.LBB2069_256:                           ;   in Loop: Header=BB2069_104 Depth=2
	ds_load_u16 v60, v93 offset:3584
	s_wait_dscnt 0x0
	v_cmp_ne_u16_e64 s20, 0x7fff, v60
	s_delay_alu instid0(VALU_DEP_1) | instskip(SKIP_1) | instid1(VALU_DEP_2)
	v_cndmask_b32_e64 v61, 0xffff8000, v60, s20
	v_cmp_lt_i16_e64 s20, -1, v60
	v_and_b32_e32 v61, 0xffff, v61
	s_delay_alu instid0(VALU_DEP_2) | instskip(NEXT) | instid1(VALU_DEP_1)
	v_cndmask_b32_e64 v140, 0xffff8000, -1, s20
	v_dual_lshrrev_b32 v61, s48, v61 :: v_dual_bitop2_b32 v60, v140, v60 bitop3:0x14
	s_delay_alu instid0(VALU_DEP_1) | instskip(NEXT) | instid1(VALU_DEP_1)
	v_and_b32_e32 v61, s52, v61
	v_lshlrev_b32_e32 v61, 2, v61
	ds_load_b32 v61, v61
	s_wait_dscnt 0x0
	v_add_nc_u32_e32 v61, v61, v72
	global_store_b16 v61, v60, s[38:39] scale_offset
	s_wait_xcnt 0x0
	s_or_b32 exec_lo, exec_lo, s21
	v_cmp_lt_u32_e64 s20, v73, v139
	s_and_saveexec_b32 s22, s20
	s_cbranch_execz .LBB2069_189
.LBB2069_257:                           ;   in Loop: Header=BB2069_104 Depth=2
	ds_load_u16 v60, v93 offset:4096
	s_wait_dscnt 0x0
	v_cmp_ne_u16_e64 s21, 0x7fff, v60
	s_delay_alu instid0(VALU_DEP_1) | instskip(SKIP_1) | instid1(VALU_DEP_2)
	v_cndmask_b32_e64 v61, 0xffff8000, v60, s21
	v_cmp_lt_i16_e64 s21, -1, v60
	v_and_b32_e32 v61, 0xffff, v61
	s_delay_alu instid0(VALU_DEP_2) | instskip(NEXT) | instid1(VALU_DEP_1)
	v_cndmask_b32_e64 v140, 0xffff8000, -1, s21
	v_dual_lshrrev_b32 v61, s48, v61 :: v_dual_bitop2_b32 v60, v140, v60 bitop3:0x14
	s_delay_alu instid0(VALU_DEP_1) | instskip(NEXT) | instid1(VALU_DEP_1)
	v_and_b32_e32 v61, s52, v61
	v_lshlrev_b32_e32 v61, 2, v61
	ds_load_b32 v61, v61
	s_wait_dscnt 0x0
	v_add_nc_u32_e32 v61, v61, v73
	global_store_b16 v61, v60, s[38:39] scale_offset
	s_wait_xcnt 0x0
	s_or_b32 exec_lo, exec_lo, s22
	v_cmp_lt_u32_e64 s21, v74, v139
	s_and_saveexec_b32 s23, s21
	s_cbranch_execz .LBB2069_190
.LBB2069_258:                           ;   in Loop: Header=BB2069_104 Depth=2
	ds_load_u16 v60, v93 offset:4608
	s_wait_dscnt 0x0
	v_cmp_ne_u16_e64 s22, 0x7fff, v60
	s_delay_alu instid0(VALU_DEP_1) | instskip(SKIP_1) | instid1(VALU_DEP_2)
	v_cndmask_b32_e64 v61, 0xffff8000, v60, s22
	v_cmp_lt_i16_e64 s22, -1, v60
	v_and_b32_e32 v61, 0xffff, v61
	s_delay_alu instid0(VALU_DEP_2) | instskip(NEXT) | instid1(VALU_DEP_1)
	v_cndmask_b32_e64 v140, 0xffff8000, -1, s22
	v_dual_lshrrev_b32 v61, s48, v61 :: v_dual_bitop2_b32 v60, v140, v60 bitop3:0x14
	s_delay_alu instid0(VALU_DEP_1) | instskip(NEXT) | instid1(VALU_DEP_1)
	v_and_b32_e32 v61, s52, v61
	v_lshlrev_b32_e32 v61, 2, v61
	ds_load_b32 v61, v61
	s_wait_dscnt 0x0
	v_add_nc_u32_e32 v61, v61, v74
	global_store_b16 v61, v60, s[38:39] scale_offset
	s_wait_xcnt 0x0
	s_or_b32 exec_lo, exec_lo, s23
	v_cmp_lt_u32_e64 s22, v75, v139
	s_and_saveexec_b32 s24, s22
	s_cbranch_execz .LBB2069_191
.LBB2069_259:                           ;   in Loop: Header=BB2069_104 Depth=2
	ds_load_u16 v60, v93 offset:5120
	s_wait_dscnt 0x0
	v_cmp_ne_u16_e64 s23, 0x7fff, v60
	s_delay_alu instid0(VALU_DEP_1) | instskip(SKIP_1) | instid1(VALU_DEP_2)
	v_cndmask_b32_e64 v61, 0xffff8000, v60, s23
	v_cmp_lt_i16_e64 s23, -1, v60
	v_and_b32_e32 v61, 0xffff, v61
	s_delay_alu instid0(VALU_DEP_2) | instskip(NEXT) | instid1(VALU_DEP_1)
	v_cndmask_b32_e64 v140, 0xffff8000, -1, s23
	v_dual_lshrrev_b32 v61, s48, v61 :: v_dual_bitop2_b32 v60, v140, v60 bitop3:0x14
	s_delay_alu instid0(VALU_DEP_1) | instskip(NEXT) | instid1(VALU_DEP_1)
	v_and_b32_e32 v61, s52, v61
	v_lshlrev_b32_e32 v61, 2, v61
	ds_load_b32 v61, v61
	s_wait_dscnt 0x0
	v_add_nc_u32_e32 v61, v61, v75
	global_store_b16 v61, v60, s[38:39] scale_offset
	s_wait_xcnt 0x0
	s_or_b32 exec_lo, exec_lo, s24
	v_cmp_lt_u32_e64 s23, v76, v139
	s_and_saveexec_b32 s25, s23
	s_cbranch_execz .LBB2069_192
.LBB2069_260:                           ;   in Loop: Header=BB2069_104 Depth=2
	ds_load_u16 v60, v93 offset:5632
	s_wait_dscnt 0x0
	v_cmp_ne_u16_e64 s24, 0x7fff, v60
	s_delay_alu instid0(VALU_DEP_1) | instskip(SKIP_1) | instid1(VALU_DEP_2)
	v_cndmask_b32_e64 v61, 0xffff8000, v60, s24
	v_cmp_lt_i16_e64 s24, -1, v60
	v_and_b32_e32 v61, 0xffff, v61
	s_delay_alu instid0(VALU_DEP_2) | instskip(NEXT) | instid1(VALU_DEP_1)
	v_cndmask_b32_e64 v140, 0xffff8000, -1, s24
	v_dual_lshrrev_b32 v61, s48, v61 :: v_dual_bitop2_b32 v60, v140, v60 bitop3:0x14
	s_delay_alu instid0(VALU_DEP_1) | instskip(NEXT) | instid1(VALU_DEP_1)
	v_and_b32_e32 v61, s52, v61
	v_lshlrev_b32_e32 v61, 2, v61
	ds_load_b32 v61, v61
	s_wait_dscnt 0x0
	v_add_nc_u32_e32 v61, v61, v76
	global_store_b16 v61, v60, s[38:39] scale_offset
	s_wait_xcnt 0x0
	s_or_b32 exec_lo, exec_lo, s25
	v_cmp_lt_u32_e64 s24, v77, v139
	s_and_saveexec_b32 s26, s24
	s_cbranch_execz .LBB2069_193
.LBB2069_261:                           ;   in Loop: Header=BB2069_104 Depth=2
	ds_load_u16 v60, v93 offset:6144
	s_wait_dscnt 0x0
	v_cmp_ne_u16_e64 s25, 0x7fff, v60
	s_delay_alu instid0(VALU_DEP_1) | instskip(SKIP_1) | instid1(VALU_DEP_2)
	v_cndmask_b32_e64 v61, 0xffff8000, v60, s25
	v_cmp_lt_i16_e64 s25, -1, v60
	v_and_b32_e32 v61, 0xffff, v61
	s_delay_alu instid0(VALU_DEP_2) | instskip(NEXT) | instid1(VALU_DEP_1)
	v_cndmask_b32_e64 v140, 0xffff8000, -1, s25
	v_dual_lshrrev_b32 v61, s48, v61 :: v_dual_bitop2_b32 v60, v140, v60 bitop3:0x14
	s_delay_alu instid0(VALU_DEP_1) | instskip(NEXT) | instid1(VALU_DEP_1)
	v_and_b32_e32 v61, s52, v61
	v_lshlrev_b32_e32 v61, 2, v61
	ds_load_b32 v61, v61
	s_wait_dscnt 0x0
	v_add_nc_u32_e32 v61, v61, v77
	global_store_b16 v61, v60, s[38:39] scale_offset
	s_wait_xcnt 0x0
	s_or_b32 exec_lo, exec_lo, s26
	v_cmp_lt_u32_e64 s25, v78, v139
	s_and_saveexec_b32 s27, s25
	s_cbranch_execz .LBB2069_194
.LBB2069_262:                           ;   in Loop: Header=BB2069_104 Depth=2
	ds_load_u16 v60, v93 offset:6656
	s_wait_dscnt 0x0
	v_cmp_ne_u16_e64 s26, 0x7fff, v60
	s_delay_alu instid0(VALU_DEP_1) | instskip(SKIP_1) | instid1(VALU_DEP_2)
	v_cndmask_b32_e64 v61, 0xffff8000, v60, s26
	v_cmp_lt_i16_e64 s26, -1, v60
	v_and_b32_e32 v61, 0xffff, v61
	s_delay_alu instid0(VALU_DEP_2) | instskip(NEXT) | instid1(VALU_DEP_1)
	v_cndmask_b32_e64 v140, 0xffff8000, -1, s26
	v_dual_lshrrev_b32 v61, s48, v61 :: v_dual_bitop2_b32 v60, v140, v60 bitop3:0x14
	s_delay_alu instid0(VALU_DEP_1) | instskip(NEXT) | instid1(VALU_DEP_1)
	v_and_b32_e32 v61, s52, v61
	v_lshlrev_b32_e32 v61, 2, v61
	ds_load_b32 v61, v61
	s_wait_dscnt 0x0
	v_add_nc_u32_e32 v61, v61, v78
	global_store_b16 v61, v60, s[38:39] scale_offset
	s_wait_xcnt 0x0
	s_or_b32 exec_lo, exec_lo, s27
	v_cmp_lt_u32_e64 s26, v79, v139
	s_and_saveexec_b32 s28, s26
	s_cbranch_execz .LBB2069_195
.LBB2069_263:                           ;   in Loop: Header=BB2069_104 Depth=2
	ds_load_u16 v60, v93 offset:7168
	s_wait_dscnt 0x0
	v_cmp_ne_u16_e64 s27, 0x7fff, v60
	s_delay_alu instid0(VALU_DEP_1) | instskip(SKIP_1) | instid1(VALU_DEP_2)
	v_cndmask_b32_e64 v61, 0xffff8000, v60, s27
	v_cmp_lt_i16_e64 s27, -1, v60
	v_and_b32_e32 v61, 0xffff, v61
	s_delay_alu instid0(VALU_DEP_2) | instskip(NEXT) | instid1(VALU_DEP_1)
	v_cndmask_b32_e64 v140, 0xffff8000, -1, s27
	v_dual_lshrrev_b32 v61, s48, v61 :: v_dual_bitop2_b32 v60, v140, v60 bitop3:0x14
	s_delay_alu instid0(VALU_DEP_1) | instskip(NEXT) | instid1(VALU_DEP_1)
	v_and_b32_e32 v61, s52, v61
	v_lshlrev_b32_e32 v61, 2, v61
	ds_load_b32 v61, v61
	s_wait_dscnt 0x0
	v_add_nc_u32_e32 v61, v61, v79
	global_store_b16 v61, v60, s[38:39] scale_offset
	s_wait_xcnt 0x0
	s_or_b32 exec_lo, exec_lo, s28
	v_cmp_lt_u32_e64 s27, v80, v139
	s_and_saveexec_b32 s29, s27
	s_cbranch_execz .LBB2069_196
.LBB2069_264:                           ;   in Loop: Header=BB2069_104 Depth=2
	ds_load_u16 v60, v93 offset:7680
	s_wait_dscnt 0x0
	v_cmp_ne_u16_e64 s28, 0x7fff, v60
	s_delay_alu instid0(VALU_DEP_1) | instskip(SKIP_1) | instid1(VALU_DEP_2)
	v_cndmask_b32_e64 v61, 0xffff8000, v60, s28
	v_cmp_lt_i16_e64 s28, -1, v60
	v_and_b32_e32 v61, 0xffff, v61
	s_delay_alu instid0(VALU_DEP_2) | instskip(NEXT) | instid1(VALU_DEP_1)
	v_cndmask_b32_e64 v140, 0xffff8000, -1, s28
	v_dual_lshrrev_b32 v61, s48, v61 :: v_dual_bitop2_b32 v60, v140, v60 bitop3:0x14
	s_delay_alu instid0(VALU_DEP_1) | instskip(NEXT) | instid1(VALU_DEP_1)
	v_and_b32_e32 v61, s52, v61
	v_lshlrev_b32_e32 v61, 2, v61
	ds_load_b32 v61, v61
	s_wait_dscnt 0x0
	v_add_nc_u32_e32 v61, v61, v80
	global_store_b16 v61, v60, s[38:39] scale_offset
	s_wait_xcnt 0x0
	s_or_b32 exec_lo, exec_lo, s29
	v_cmp_lt_u32_e64 s28, v81, v139
	s_and_saveexec_b32 s30, s28
	s_cbranch_execz .LBB2069_197
.LBB2069_265:                           ;   in Loop: Header=BB2069_104 Depth=2
	ds_load_u16 v60, v93 offset:8192
	s_wait_dscnt 0x0
	v_cmp_ne_u16_e64 s29, 0x7fff, v60
	s_delay_alu instid0(VALU_DEP_1) | instskip(SKIP_1) | instid1(VALU_DEP_2)
	v_cndmask_b32_e64 v61, 0xffff8000, v60, s29
	v_cmp_lt_i16_e64 s29, -1, v60
	v_and_b32_e32 v61, 0xffff, v61
	s_delay_alu instid0(VALU_DEP_2) | instskip(NEXT) | instid1(VALU_DEP_1)
	v_cndmask_b32_e64 v140, 0xffff8000, -1, s29
	v_dual_lshrrev_b32 v61, s48, v61 :: v_dual_bitop2_b32 v60, v140, v60 bitop3:0x14
	s_delay_alu instid0(VALU_DEP_1) | instskip(NEXT) | instid1(VALU_DEP_1)
	v_and_b32_e32 v61, s52, v61
	v_lshlrev_b32_e32 v61, 2, v61
	ds_load_b32 v61, v61
	s_wait_dscnt 0x0
	v_add_nc_u32_e32 v61, v61, v81
	global_store_b16 v61, v60, s[38:39] scale_offset
	s_wait_xcnt 0x0
	s_or_b32 exec_lo, exec_lo, s30
	v_cmp_lt_u32_e64 s29, v82, v139
	s_and_saveexec_b32 s58, s29
	s_cbranch_execnz .LBB2069_198
	s_branch .LBB2069_199
.LBB2069_266:                           ;   in Loop: Header=BB2069_104 Depth=2
	global_load_b64 v[58:59], v[60:61], off
	s_wait_xcnt 0x0
	s_or_b32 exec_lo, exec_lo, s30
	s_delay_alu instid0(SALU_CYCLE_1)
	s_mov_b32 s42, exec_lo
	v_cmpx_lt_u32_e64 v103, v139
	s_cbranch_execz .LBB2069_201
.LBB2069_267:                           ;   in Loop: Header=BB2069_104 Depth=2
	global_load_b64 v[56:57], v[60:61], off offset:256
	s_wait_xcnt 0x0
	s_or_b32 exec_lo, exec_lo, s42
	s_delay_alu instid0(SALU_CYCLE_1)
	s_mov_b32 s42, exec_lo
	v_cmpx_lt_u32_e64 v104, v139
	s_cbranch_execz .LBB2069_202
.LBB2069_268:                           ;   in Loop: Header=BB2069_104 Depth=2
	global_load_b64 v[54:55], v[60:61], off offset:512
	s_wait_xcnt 0x0
	s_or_b32 exec_lo, exec_lo, s42
	s_delay_alu instid0(SALU_CYCLE_1)
	s_mov_b32 s42, exec_lo
	v_cmpx_lt_u32_e64 v105, v139
	s_cbranch_execz .LBB2069_203
.LBB2069_269:                           ;   in Loop: Header=BB2069_104 Depth=2
	global_load_b64 v[52:53], v[60:61], off offset:768
	s_wait_xcnt 0x0
	s_or_b32 exec_lo, exec_lo, s42
	s_delay_alu instid0(SALU_CYCLE_1)
	s_mov_b32 s42, exec_lo
	v_cmpx_lt_u32_e64 v106, v139
	s_cbranch_execz .LBB2069_204
.LBB2069_270:                           ;   in Loop: Header=BB2069_104 Depth=2
	global_load_b64 v[50:51], v[60:61], off offset:1024
	s_wait_xcnt 0x0
	s_or_b32 exec_lo, exec_lo, s42
	s_delay_alu instid0(SALU_CYCLE_1)
	s_mov_b32 s42, exec_lo
	v_cmpx_lt_u32_e64 v107, v139
	s_cbranch_execz .LBB2069_205
.LBB2069_271:                           ;   in Loop: Header=BB2069_104 Depth=2
	global_load_b64 v[48:49], v[60:61], off offset:1280
	s_wait_xcnt 0x0
	s_or_b32 exec_lo, exec_lo, s42
	s_delay_alu instid0(SALU_CYCLE_1)
	s_mov_b32 s42, exec_lo
	v_cmpx_lt_u32_e64 v108, v139
	s_cbranch_execz .LBB2069_206
.LBB2069_272:                           ;   in Loop: Header=BB2069_104 Depth=2
	global_load_b64 v[46:47], v[60:61], off offset:1536
	s_wait_xcnt 0x0
	s_or_b32 exec_lo, exec_lo, s42
	s_delay_alu instid0(SALU_CYCLE_1)
	s_mov_b32 s42, exec_lo
	v_cmpx_lt_u32_e64 v109, v139
	s_cbranch_execz .LBB2069_207
.LBB2069_273:                           ;   in Loop: Header=BB2069_104 Depth=2
	global_load_b64 v[44:45], v[60:61], off offset:1792
	s_wait_xcnt 0x0
	s_or_b32 exec_lo, exec_lo, s42
	s_delay_alu instid0(SALU_CYCLE_1)
	s_mov_b32 s42, exec_lo
	v_cmpx_lt_u32_e64 v110, v139
	s_cbranch_execz .LBB2069_208
.LBB2069_274:                           ;   in Loop: Header=BB2069_104 Depth=2
	global_load_b64 v[42:43], v[60:61], off offset:2048
	s_wait_xcnt 0x0
	s_or_b32 exec_lo, exec_lo, s42
	s_delay_alu instid0(SALU_CYCLE_1)
	s_mov_b32 s42, exec_lo
	v_cmpx_lt_u32_e64 v111, v139
	s_cbranch_execz .LBB2069_209
.LBB2069_275:                           ;   in Loop: Header=BB2069_104 Depth=2
	global_load_b64 v[40:41], v[60:61], off offset:2304
	s_wait_xcnt 0x0
	s_or_b32 exec_lo, exec_lo, s42
	s_delay_alu instid0(SALU_CYCLE_1)
	s_mov_b32 s42, exec_lo
	v_cmpx_lt_u32_e64 v112, v139
	s_cbranch_execz .LBB2069_210
.LBB2069_276:                           ;   in Loop: Header=BB2069_104 Depth=2
	global_load_b64 v[38:39], v[60:61], off offset:2560
	s_wait_xcnt 0x0
	s_or_b32 exec_lo, exec_lo, s42
	s_delay_alu instid0(SALU_CYCLE_1)
	s_mov_b32 s42, exec_lo
	v_cmpx_lt_u32_e64 v113, v139
	s_cbranch_execz .LBB2069_211
.LBB2069_277:                           ;   in Loop: Header=BB2069_104 Depth=2
	global_load_b64 v[36:37], v[60:61], off offset:2816
	s_wait_xcnt 0x0
	s_or_b32 exec_lo, exec_lo, s42
	s_delay_alu instid0(SALU_CYCLE_1)
	s_mov_b32 s42, exec_lo
	v_cmpx_lt_u32_e64 v114, v139
	s_cbranch_execz .LBB2069_212
.LBB2069_278:                           ;   in Loop: Header=BB2069_104 Depth=2
	global_load_b64 v[34:35], v[60:61], off offset:3072
	s_wait_xcnt 0x0
	s_or_b32 exec_lo, exec_lo, s42
	s_delay_alu instid0(SALU_CYCLE_1)
	s_mov_b32 s42, exec_lo
	v_cmpx_lt_u32_e64 v115, v139
	s_cbranch_execz .LBB2069_213
.LBB2069_279:                           ;   in Loop: Header=BB2069_104 Depth=2
	global_load_b64 v[32:33], v[60:61], off offset:3328
	s_wait_xcnt 0x0
	s_or_b32 exec_lo, exec_lo, s42
	s_delay_alu instid0(SALU_CYCLE_1)
	s_mov_b32 s42, exec_lo
	v_cmpx_lt_u32_e64 v116, v139
	s_cbranch_execz .LBB2069_214
.LBB2069_280:                           ;   in Loop: Header=BB2069_104 Depth=2
	global_load_b64 v[30:31], v[60:61], off offset:3584
	s_wait_xcnt 0x0
	s_or_b32 exec_lo, exec_lo, s42
	s_delay_alu instid0(SALU_CYCLE_1)
	s_mov_b32 s42, exec_lo
	v_cmpx_lt_u32_e64 v117, v139
	s_cbranch_execz .LBB2069_215
.LBB2069_281:                           ;   in Loop: Header=BB2069_104 Depth=2
	global_load_b64 v[28:29], v[60:61], off offset:3840
	s_wait_xcnt 0x0
	s_or_b32 exec_lo, exec_lo, s42
	s_and_saveexec_b32 s42, vcc_lo
	s_cbranch_execz .LBB2069_216
.LBB2069_282:                           ;   in Loop: Header=BB2069_104 Depth=2
	ds_load_u16 v60, v93 offset:1024
	s_wait_dscnt 0x0
	v_cmp_ne_u16_e64 s30, 0x7fff, v60
	s_delay_alu instid0(VALU_DEP_1) | instskip(NEXT) | instid1(VALU_DEP_1)
	v_cndmask_b32_e64 v60, 0xffff8000, v60, s30
	v_and_b32_e32 v60, 0xffff, v60
	s_delay_alu instid0(VALU_DEP_1) | instskip(NEXT) | instid1(VALU_DEP_1)
	v_lshrrev_b32_e32 v60, s48, v60
	v_and_b32_e32 v138, s52, v60
	s_or_b32 exec_lo, exec_lo, s42
	s_and_saveexec_b32 s42, s15
	s_cbranch_execz .LBB2069_217
.LBB2069_283:                           ;   in Loop: Header=BB2069_104 Depth=2
	ds_load_u16 v60, v93 offset:1536
	s_wait_dscnt 0x0
	v_cmp_ne_u16_e64 s30, 0x7fff, v60
	s_delay_alu instid0(VALU_DEP_1) | instskip(NEXT) | instid1(VALU_DEP_1)
	v_cndmask_b32_e64 v60, 0xffff8000, v60, s30
	v_and_b32_e32 v60, 0xffff, v60
	s_delay_alu instid0(VALU_DEP_1) | instskip(NEXT) | instid1(VALU_DEP_1)
	v_lshrrev_b32_e32 v60, s48, v60
	v_and_b32_e32 v137, s52, v60
	s_or_b32 exec_lo, exec_lo, s42
	s_and_saveexec_b32 s42, s16
	s_cbranch_execz .LBB2069_218
.LBB2069_284:                           ;   in Loop: Header=BB2069_104 Depth=2
	ds_load_u16 v60, v93 offset:2048
	s_wait_dscnt 0x0
	v_cmp_ne_u16_e64 s30, 0x7fff, v60
	s_delay_alu instid0(VALU_DEP_1) | instskip(NEXT) | instid1(VALU_DEP_1)
	v_cndmask_b32_e64 v60, 0xffff8000, v60, s30
	v_and_b32_e32 v60, 0xffff, v60
	s_delay_alu instid0(VALU_DEP_1) | instskip(NEXT) | instid1(VALU_DEP_1)
	v_lshrrev_b32_e32 v60, s48, v60
	v_and_b32_e32 v136, s52, v60
	s_or_b32 exec_lo, exec_lo, s42
	s_and_saveexec_b32 s42, s17
	s_cbranch_execz .LBB2069_219
.LBB2069_285:                           ;   in Loop: Header=BB2069_104 Depth=2
	ds_load_u16 v60, v93 offset:2560
	s_wait_dscnt 0x0
	v_cmp_ne_u16_e64 s30, 0x7fff, v60
	s_delay_alu instid0(VALU_DEP_1) | instskip(NEXT) | instid1(VALU_DEP_1)
	v_cndmask_b32_e64 v60, 0xffff8000, v60, s30
	v_and_b32_e32 v60, 0xffff, v60
	s_delay_alu instid0(VALU_DEP_1) | instskip(NEXT) | instid1(VALU_DEP_1)
	v_lshrrev_b32_e32 v60, s48, v60
	v_and_b32_e32 v135, s52, v60
	s_or_b32 exec_lo, exec_lo, s42
	s_and_saveexec_b32 s42, s18
	s_cbranch_execz .LBB2069_220
.LBB2069_286:                           ;   in Loop: Header=BB2069_104 Depth=2
	ds_load_u16 v60, v93 offset:3072
	s_wait_dscnt 0x0
	v_cmp_ne_u16_e64 s30, 0x7fff, v60
	s_delay_alu instid0(VALU_DEP_1) | instskip(NEXT) | instid1(VALU_DEP_1)
	v_cndmask_b32_e64 v60, 0xffff8000, v60, s30
	v_and_b32_e32 v60, 0xffff, v60
	s_delay_alu instid0(VALU_DEP_1) | instskip(NEXT) | instid1(VALU_DEP_1)
	v_lshrrev_b32_e32 v60, s48, v60
	v_and_b32_e32 v134, s52, v60
	s_or_b32 exec_lo, exec_lo, s42
	s_and_saveexec_b32 s42, s19
	s_cbranch_execz .LBB2069_221
.LBB2069_287:                           ;   in Loop: Header=BB2069_104 Depth=2
	ds_load_u16 v60, v93 offset:3584
	s_wait_dscnt 0x0
	v_cmp_ne_u16_e64 s30, 0x7fff, v60
	s_delay_alu instid0(VALU_DEP_1) | instskip(NEXT) | instid1(VALU_DEP_1)
	v_cndmask_b32_e64 v60, 0xffff8000, v60, s30
	v_and_b32_e32 v60, 0xffff, v60
	s_delay_alu instid0(VALU_DEP_1) | instskip(NEXT) | instid1(VALU_DEP_1)
	v_lshrrev_b32_e32 v60, s48, v60
	v_and_b32_e32 v133, s52, v60
	s_or_b32 exec_lo, exec_lo, s42
	s_and_saveexec_b32 s42, s20
	s_cbranch_execz .LBB2069_222
.LBB2069_288:                           ;   in Loop: Header=BB2069_104 Depth=2
	ds_load_u16 v60, v93 offset:4096
	s_wait_dscnt 0x0
	v_cmp_ne_u16_e64 s30, 0x7fff, v60
	s_delay_alu instid0(VALU_DEP_1) | instskip(NEXT) | instid1(VALU_DEP_1)
	v_cndmask_b32_e64 v60, 0xffff8000, v60, s30
	v_and_b32_e32 v60, 0xffff, v60
	s_delay_alu instid0(VALU_DEP_1) | instskip(NEXT) | instid1(VALU_DEP_1)
	v_lshrrev_b32_e32 v60, s48, v60
	v_and_b32_e32 v132, s52, v60
	s_or_b32 exec_lo, exec_lo, s42
	s_and_saveexec_b32 s42, s21
	s_cbranch_execz .LBB2069_223
.LBB2069_289:                           ;   in Loop: Header=BB2069_104 Depth=2
	ds_load_u16 v60, v93 offset:4608
	s_wait_dscnt 0x0
	v_cmp_ne_u16_e64 s30, 0x7fff, v60
	s_delay_alu instid0(VALU_DEP_1) | instskip(NEXT) | instid1(VALU_DEP_1)
	v_cndmask_b32_e64 v60, 0xffff8000, v60, s30
	v_and_b32_e32 v60, 0xffff, v60
	s_delay_alu instid0(VALU_DEP_1) | instskip(NEXT) | instid1(VALU_DEP_1)
	v_lshrrev_b32_e32 v60, s48, v60
	v_and_b32_e32 v131, s52, v60
	s_or_b32 exec_lo, exec_lo, s42
	s_and_saveexec_b32 s42, s22
	s_cbranch_execz .LBB2069_224
.LBB2069_290:                           ;   in Loop: Header=BB2069_104 Depth=2
	ds_load_u16 v60, v93 offset:5120
	s_wait_dscnt 0x0
	v_cmp_ne_u16_e64 s30, 0x7fff, v60
	s_delay_alu instid0(VALU_DEP_1) | instskip(NEXT) | instid1(VALU_DEP_1)
	v_cndmask_b32_e64 v60, 0xffff8000, v60, s30
	v_and_b32_e32 v60, 0xffff, v60
	s_delay_alu instid0(VALU_DEP_1) | instskip(NEXT) | instid1(VALU_DEP_1)
	v_lshrrev_b32_e32 v60, s48, v60
	v_and_b32_e32 v130, s52, v60
	s_or_b32 exec_lo, exec_lo, s42
	s_and_saveexec_b32 s42, s23
	s_cbranch_execz .LBB2069_225
.LBB2069_291:                           ;   in Loop: Header=BB2069_104 Depth=2
	ds_load_u16 v60, v93 offset:5632
	s_wait_dscnt 0x0
	v_cmp_ne_u16_e64 s30, 0x7fff, v60
	s_delay_alu instid0(VALU_DEP_1) | instskip(NEXT) | instid1(VALU_DEP_1)
	v_cndmask_b32_e64 v60, 0xffff8000, v60, s30
	v_and_b32_e32 v60, 0xffff, v60
	s_delay_alu instid0(VALU_DEP_1) | instskip(NEXT) | instid1(VALU_DEP_1)
	v_lshrrev_b32_e32 v60, s48, v60
	v_and_b32_e32 v129, s52, v60
	s_or_b32 exec_lo, exec_lo, s42
	s_and_saveexec_b32 s42, s24
	s_cbranch_execz .LBB2069_226
.LBB2069_292:                           ;   in Loop: Header=BB2069_104 Depth=2
	ds_load_u16 v60, v93 offset:6144
	s_wait_dscnt 0x0
	v_cmp_ne_u16_e64 s30, 0x7fff, v60
	s_delay_alu instid0(VALU_DEP_1) | instskip(NEXT) | instid1(VALU_DEP_1)
	v_cndmask_b32_e64 v60, 0xffff8000, v60, s30
	v_and_b32_e32 v60, 0xffff, v60
	s_delay_alu instid0(VALU_DEP_1) | instskip(NEXT) | instid1(VALU_DEP_1)
	v_lshrrev_b32_e32 v60, s48, v60
	v_and_b32_e32 v128, s52, v60
	s_or_b32 exec_lo, exec_lo, s42
	s_and_saveexec_b32 s42, s25
	s_cbranch_execz .LBB2069_227
.LBB2069_293:                           ;   in Loop: Header=BB2069_104 Depth=2
	ds_load_u16 v60, v93 offset:6656
	s_wait_dscnt 0x0
	v_cmp_ne_u16_e64 s30, 0x7fff, v60
	s_delay_alu instid0(VALU_DEP_1) | instskip(NEXT) | instid1(VALU_DEP_1)
	v_cndmask_b32_e64 v60, 0xffff8000, v60, s30
	v_and_b32_e32 v60, 0xffff, v60
	s_delay_alu instid0(VALU_DEP_1) | instskip(NEXT) | instid1(VALU_DEP_1)
	v_lshrrev_b32_e32 v60, s48, v60
	v_and_b32_e32 v127, s52, v60
	s_or_b32 exec_lo, exec_lo, s42
	s_and_saveexec_b32 s42, s26
	s_cbranch_execz .LBB2069_228
.LBB2069_294:                           ;   in Loop: Header=BB2069_104 Depth=2
	ds_load_u16 v60, v93 offset:7168
	s_wait_dscnt 0x0
	v_cmp_ne_u16_e64 s30, 0x7fff, v60
	s_delay_alu instid0(VALU_DEP_1) | instskip(NEXT) | instid1(VALU_DEP_1)
	v_cndmask_b32_e64 v60, 0xffff8000, v60, s30
	v_and_b32_e32 v60, 0xffff, v60
	s_delay_alu instid0(VALU_DEP_1) | instskip(NEXT) | instid1(VALU_DEP_1)
	v_lshrrev_b32_e32 v60, s48, v60
	v_and_b32_e32 v126, s52, v60
	s_or_b32 exec_lo, exec_lo, s42
	s_and_saveexec_b32 s42, s27
	s_cbranch_execz .LBB2069_229
.LBB2069_295:                           ;   in Loop: Header=BB2069_104 Depth=2
	ds_load_u16 v60, v93 offset:7680
	s_wait_dscnt 0x0
	v_cmp_ne_u16_e64 s30, 0x7fff, v60
	s_delay_alu instid0(VALU_DEP_1) | instskip(NEXT) | instid1(VALU_DEP_1)
	v_cndmask_b32_e64 v60, 0xffff8000, v60, s30
	v_and_b32_e32 v60, 0xffff, v60
	s_delay_alu instid0(VALU_DEP_1) | instskip(NEXT) | instid1(VALU_DEP_1)
	v_lshrrev_b32_e32 v60, s48, v60
	v_and_b32_e32 v125, s52, v60
	s_or_b32 exec_lo, exec_lo, s42
	s_and_saveexec_b32 s42, s28
	s_cbranch_execz .LBB2069_230
.LBB2069_296:                           ;   in Loop: Header=BB2069_104 Depth=2
	ds_load_u16 v60, v93 offset:8192
	s_wait_dscnt 0x0
	v_cmp_ne_u16_e64 s30, 0x7fff, v60
	s_delay_alu instid0(VALU_DEP_1) | instskip(NEXT) | instid1(VALU_DEP_1)
	v_cndmask_b32_e64 v60, 0xffff8000, v60, s30
	v_and_b32_e32 v60, 0xffff, v60
	s_delay_alu instid0(VALU_DEP_1) | instskip(NEXT) | instid1(VALU_DEP_1)
	v_lshrrev_b32_e32 v60, s48, v60
	v_and_b32_e32 v124, s52, v60
	s_or_b32 exec_lo, exec_lo, s42
	s_and_saveexec_b32 s42, s29
	s_cbranch_execnz .LBB2069_231
	s_branch .LBB2069_232
.LBB2069_297:                           ;   in Loop: Header=BB2069_104 Depth=2
	v_lshlrev_b32_e32 v60, 2, v138
	v_add_nc_u32_e32 v61, v93, v94
	ds_load_b32 v63, v60
	ds_load_b64 v[60:61], v61 offset:1024
	s_wait_dscnt 0x1
	v_add_nc_u32_e32 v63, v63, v2
	s_wait_dscnt 0x0
	global_store_b64 v63, v[60:61], s[44:45] scale_offset
	s_wait_xcnt 0x0
	s_or_b32 exec_lo, exec_lo, s30
	s_and_saveexec_b32 s30, s15
	s_cbranch_execz .LBB2069_234
.LBB2069_298:                           ;   in Loop: Header=BB2069_104 Depth=2
	v_dual_lshlrev_b32 v60, 2, v137 :: v_dual_add_nc_u32 v61, v93, v94
	ds_load_b32 v63, v60
	ds_load_b64 v[60:61], v61 offset:3072
	s_wait_dscnt 0x1
	v_add_nc_u32_e32 v63, v63, v68
	s_wait_dscnt 0x0
	global_store_b64 v63, v[60:61], s[44:45] scale_offset
	s_wait_xcnt 0x0
	s_or_b32 exec_lo, exec_lo, s30
	s_and_saveexec_b32 s15, s16
	s_cbranch_execz .LBB2069_235
.LBB2069_299:                           ;   in Loop: Header=BB2069_104 Depth=2
	v_dual_lshlrev_b32 v60, 2, v136 :: v_dual_add_nc_u32 v61, v93, v94
	ds_load_b32 v63, v60
	ds_load_b64 v[60:61], v61 offset:5120
	s_wait_dscnt 0x1
	v_add_nc_u32_e32 v63, v63, v69
	s_wait_dscnt 0x0
	global_store_b64 v63, v[60:61], s[44:45] scale_offset
	s_wait_xcnt 0x0
	s_or_b32 exec_lo, exec_lo, s15
	s_and_saveexec_b32 s15, s17
	s_cbranch_execz .LBB2069_236
.LBB2069_300:                           ;   in Loop: Header=BB2069_104 Depth=2
	v_dual_lshlrev_b32 v60, 2, v135 :: v_dual_add_nc_u32 v61, v93, v94
	ds_load_b32 v63, v60
	ds_load_b64 v[60:61], v61 offset:7168
	s_wait_dscnt 0x1
	v_add_nc_u32_e32 v63, v63, v70
	s_wait_dscnt 0x0
	global_store_b64 v63, v[60:61], s[44:45] scale_offset
	s_wait_xcnt 0x0
	s_or_b32 exec_lo, exec_lo, s15
	s_and_saveexec_b32 s15, s18
	s_cbranch_execz .LBB2069_237
.LBB2069_301:                           ;   in Loop: Header=BB2069_104 Depth=2
	v_lshlrev_b32_e32 v60, 2, v134
	v_add_nc_u32_e32 v61, v93, v94
	ds_load_b32 v63, v60
	ds_load_b64 v[60:61], v61 offset:9216
	s_wait_dscnt 0x1
	v_add_nc_u32_e32 v63, v63, v71
	s_wait_dscnt 0x0
	global_store_b64 v63, v[60:61], s[44:45] scale_offset
	s_wait_xcnt 0x0
	s_or_b32 exec_lo, exec_lo, s15
	s_and_saveexec_b32 s15, s19
	s_cbranch_execz .LBB2069_238
.LBB2069_302:                           ;   in Loop: Header=BB2069_104 Depth=2
	v_dual_lshlrev_b32 v60, 2, v133 :: v_dual_add_nc_u32 v61, v93, v94
	ds_load_b32 v63, v60
	ds_load_b64 v[60:61], v61 offset:11264
	s_wait_dscnt 0x1
	v_add_nc_u32_e32 v63, v63, v72
	s_wait_dscnt 0x0
	global_store_b64 v63, v[60:61], s[44:45] scale_offset
	s_wait_xcnt 0x0
	s_or_b32 exec_lo, exec_lo, s15
	s_and_saveexec_b32 s15, s20
	s_cbranch_execz .LBB2069_239
.LBB2069_303:                           ;   in Loop: Header=BB2069_104 Depth=2
	v_dual_lshlrev_b32 v60, 2, v132 :: v_dual_add_nc_u32 v61, v93, v94
	ds_load_b32 v63, v60
	ds_load_b64 v[60:61], v61 offset:13312
	s_wait_dscnt 0x1
	v_add_nc_u32_e32 v63, v63, v73
	s_wait_dscnt 0x0
	global_store_b64 v63, v[60:61], s[44:45] scale_offset
	s_wait_xcnt 0x0
	s_or_b32 exec_lo, exec_lo, s15
	s_and_saveexec_b32 s15, s21
	s_cbranch_execz .LBB2069_240
.LBB2069_304:                           ;   in Loop: Header=BB2069_104 Depth=2
	v_dual_lshlrev_b32 v60, 2, v131 :: v_dual_add_nc_u32 v61, v93, v94
	ds_load_b32 v63, v60
	ds_load_b64 v[60:61], v61 offset:15360
	s_wait_dscnt 0x1
	v_add_nc_u32_e32 v63, v63, v74
	s_wait_dscnt 0x0
	global_store_b64 v63, v[60:61], s[44:45] scale_offset
	s_wait_xcnt 0x0
	s_or_b32 exec_lo, exec_lo, s15
	s_and_saveexec_b32 s15, s22
	s_cbranch_execz .LBB2069_241
.LBB2069_305:                           ;   in Loop: Header=BB2069_104 Depth=2
	v_lshlrev_b32_e32 v60, 2, v130
	v_add_nc_u32_e32 v61, v93, v94
	ds_load_b32 v63, v60
	ds_load_b64 v[60:61], v61 offset:17408
	s_wait_dscnt 0x1
	v_add_nc_u32_e32 v63, v63, v75
	s_wait_dscnt 0x0
	global_store_b64 v63, v[60:61], s[44:45] scale_offset
	s_wait_xcnt 0x0
	s_or_b32 exec_lo, exec_lo, s15
	s_and_saveexec_b32 s15, s23
	s_cbranch_execz .LBB2069_242
.LBB2069_306:                           ;   in Loop: Header=BB2069_104 Depth=2
	v_dual_lshlrev_b32 v60, 2, v129 :: v_dual_add_nc_u32 v61, v93, v94
	ds_load_b32 v63, v60
	ds_load_b64 v[60:61], v61 offset:19456
	s_wait_dscnt 0x1
	v_add_nc_u32_e32 v63, v63, v76
	s_wait_dscnt 0x0
	global_store_b64 v63, v[60:61], s[44:45] scale_offset
	s_wait_xcnt 0x0
	s_or_b32 exec_lo, exec_lo, s15
	s_and_saveexec_b32 s15, s24
	s_cbranch_execz .LBB2069_243
.LBB2069_307:                           ;   in Loop: Header=BB2069_104 Depth=2
	v_dual_lshlrev_b32 v60, 2, v128 :: v_dual_add_nc_u32 v61, v93, v94
	ds_load_b32 v63, v60
	ds_load_b64 v[60:61], v61 offset:21504
	s_wait_dscnt 0x1
	v_add_nc_u32_e32 v63, v63, v77
	s_wait_dscnt 0x0
	global_store_b64 v63, v[60:61], s[44:45] scale_offset
	s_wait_xcnt 0x0
	s_or_b32 exec_lo, exec_lo, s15
	s_and_saveexec_b32 s15, s25
	s_cbranch_execz .LBB2069_244
.LBB2069_308:                           ;   in Loop: Header=BB2069_104 Depth=2
	v_dual_lshlrev_b32 v60, 2, v127 :: v_dual_add_nc_u32 v61, v93, v94
	ds_load_b32 v63, v60
	ds_load_b64 v[60:61], v61 offset:23552
	s_wait_dscnt 0x1
	v_add_nc_u32_e32 v63, v63, v78
	s_wait_dscnt 0x0
	global_store_b64 v63, v[60:61], s[44:45] scale_offset
	s_wait_xcnt 0x0
	s_or_b32 exec_lo, exec_lo, s15
	s_and_saveexec_b32 s15, s26
	s_cbranch_execz .LBB2069_245
.LBB2069_309:                           ;   in Loop: Header=BB2069_104 Depth=2
	v_lshlrev_b32_e32 v60, 2, v126
	v_add_nc_u32_e32 v61, v93, v94
	ds_load_b32 v63, v60
	ds_load_b64 v[60:61], v61 offset:25600
	s_wait_dscnt 0x1
	v_add_nc_u32_e32 v63, v63, v79
	s_wait_dscnt 0x0
	global_store_b64 v63, v[60:61], s[44:45] scale_offset
	s_wait_xcnt 0x0
	s_or_b32 exec_lo, exec_lo, s15
	s_and_saveexec_b32 s15, s27
	s_cbranch_execz .LBB2069_246
.LBB2069_310:                           ;   in Loop: Header=BB2069_104 Depth=2
	v_dual_lshlrev_b32 v60, 2, v125 :: v_dual_add_nc_u32 v61, v93, v94
	ds_load_b32 v63, v60
	ds_load_b64 v[60:61], v61 offset:27648
	s_wait_dscnt 0x1
	v_add_nc_u32_e32 v63, v63, v80
	s_wait_dscnt 0x0
	global_store_b64 v63, v[60:61], s[44:45] scale_offset
	s_wait_xcnt 0x0
	s_or_b32 exec_lo, exec_lo, s15
	s_and_saveexec_b32 s15, s28
	s_cbranch_execz .LBB2069_247
.LBB2069_311:                           ;   in Loop: Header=BB2069_104 Depth=2
	v_dual_lshlrev_b32 v60, 2, v124 :: v_dual_add_nc_u32 v61, v93, v94
	ds_load_b32 v63, v60
	ds_load_b64 v[60:61], v61 offset:29696
	s_wait_dscnt 0x1
	v_add_nc_u32_e32 v63, v63, v81
	s_wait_dscnt 0x0
	global_store_b64 v63, v[60:61], s[44:45] scale_offset
	s_wait_xcnt 0x0
	s_or_b32 exec_lo, exec_lo, s15
	s_and_saveexec_b32 s15, s29
	s_cbranch_execnz .LBB2069_248
	s_branch .LBB2069_249
.LBB2069_312:                           ;   in Loop: Header=BB2069_20 Depth=1
	s_wait_dscnt 0x0
	s_barrier_signal -1
	s_mov_b32 s7, 0
	s_barrier_wait -1
.LBB2069_313:                           ;   in Loop: Header=BB2069_20 Depth=1
	s_and_b32 vcc_lo, exec_lo, s7
	s_cbranch_vccz .LBB2069_605
; %bb.314:                              ;   in Loop: Header=BB2069_20 Depth=1
	s_mov_b32 s7, s56
	s_mov_b32 s42, s54
	s_barrier_signal -1
	s_barrier_wait -1
                                        ; implicit-def: $vgpr23
                                        ; implicit-def: $vgpr24
                                        ; implicit-def: $vgpr25
                                        ; implicit-def: $vgpr26
                                        ; implicit-def: $vgpr27
                                        ; implicit-def: $vgpr28
                                        ; implicit-def: $vgpr29
                                        ; implicit-def: $vgpr30
                                        ; implicit-def: $vgpr31
                                        ; implicit-def: $vgpr32
                                        ; implicit-def: $vgpr33
                                        ; implicit-def: $vgpr34
                                        ; implicit-def: $vgpr35
                                        ; implicit-def: $vgpr36
                                        ; implicit-def: $vgpr37
                                        ; implicit-def: $vgpr38
	s_branch .LBB2069_316
.LBB2069_315:                           ;   in Loop: Header=BB2069_316 Depth=2
	s_or_b32 exec_lo, exec_lo, s8
	s_addk_co_i32 s7, 0xf000
	s_cmp_ge_u32 s10, s51
	s_mov_b32 s42, s10
	s_cbranch_scc1 .LBB2069_384
.LBB2069_316:                           ;   Parent Loop BB2069_20 Depth=1
                                        ; =>  This Inner Loop Header: Depth=2
	s_add_co_i32 s10, s42, 0x1000
	s_mov_b32 s8, -1
	s_cmp_gt_u32 s10, s51
                                        ; implicit-def: $vgpr39
                                        ; implicit-def: $vgpr40
                                        ; implicit-def: $vgpr41
                                        ; implicit-def: $vgpr42
                                        ; implicit-def: $vgpr43
                                        ; implicit-def: $vgpr44
                                        ; implicit-def: $vgpr45
                                        ; implicit-def: $vgpr46
                                        ; implicit-def: $vgpr47
                                        ; implicit-def: $vgpr48
                                        ; implicit-def: $vgpr49
                                        ; implicit-def: $vgpr50
                                        ; implicit-def: $vgpr51
                                        ; implicit-def: $vgpr52
                                        ; implicit-def: $vgpr53
                                        ; implicit-def: $vgpr54
	s_cbranch_scc1 .LBB2069_318
; %bb.317:                              ;   in Loop: Header=BB2069_316 Depth=2
	v_lshl_add_u64 v[54:55], s[42:43], 1, v[10:11]
	s_mov_b32 s8, 0
	s_clause 0xf
	global_load_u16 v39, v[54:55], off
	global_load_u16 v40, v[54:55], off offset:512
	global_load_u16 v41, v[54:55], off offset:1024
	global_load_u16 v42, v[54:55], off offset:1536
	global_load_u16 v43, v[54:55], off offset:2048
	global_load_u16 v44, v[54:55], off offset:2560
	global_load_u16 v45, v[54:55], off offset:3072
	global_load_u16 v46, v[54:55], off offset:3584
	global_load_u16 v47, v[54:55], off offset:4096
	global_load_u16 v48, v[54:55], off offset:4608
	global_load_u16 v49, v[54:55], off offset:5120
	global_load_u16 v50, v[54:55], off offset:5632
	global_load_u16 v51, v[54:55], off offset:6144
	global_load_u16 v52, v[54:55], off offset:6656
	global_load_u16 v53, v[54:55], off offset:7168
	global_load_u16 v54, v[54:55], off offset:7680
.LBB2069_318:                           ;   in Loop: Header=BB2069_316 Depth=2
	s_and_not1_b32 vcc_lo, exec_lo, s8
	s_movk_i32 s8, 0x1000
	s_cbranch_vccnz .LBB2069_337
; %bb.319:                              ;   in Loop: Header=BB2069_316 Depth=2
	s_lshl_b64 s[8:9], s[42:43], 1
	s_mov_b32 s11, exec_lo
	s_add_nc_u64 s[8:9], s[38:39], s[8:9]
	s_wait_xcnt 0x0
	v_cmpx_gt_u32_e64 s7, v2
	s_cbranch_execnz .LBB2069_369
; %bb.320:                              ;   in Loop: Header=BB2069_316 Depth=2
	s_or_b32 exec_lo, exec_lo, s11
	s_delay_alu instid0(SALU_CYCLE_1)
	s_mov_b32 s11, exec_lo
	v_cmpx_gt_u32_e64 s7, v68
	s_cbranch_execnz .LBB2069_370
.LBB2069_321:                           ;   in Loop: Header=BB2069_316 Depth=2
	s_or_b32 exec_lo, exec_lo, s11
	s_delay_alu instid0(SALU_CYCLE_1)
	s_mov_b32 s11, exec_lo
	v_cmpx_gt_u32_e64 s7, v69
	s_cbranch_execnz .LBB2069_371
.LBB2069_322:                           ;   in Loop: Header=BB2069_316 Depth=2
	s_or_b32 exec_lo, exec_lo, s11
	s_delay_alu instid0(SALU_CYCLE_1)
	s_mov_b32 s11, exec_lo
	v_cmpx_gt_u32_e64 s7, v70
	s_cbranch_execnz .LBB2069_372
.LBB2069_323:                           ;   in Loop: Header=BB2069_316 Depth=2
	s_or_b32 exec_lo, exec_lo, s11
	s_delay_alu instid0(SALU_CYCLE_1)
	s_mov_b32 s11, exec_lo
	v_cmpx_gt_u32_e64 s7, v71
	s_cbranch_execnz .LBB2069_373
.LBB2069_324:                           ;   in Loop: Header=BB2069_316 Depth=2
	s_or_b32 exec_lo, exec_lo, s11
	s_delay_alu instid0(SALU_CYCLE_1)
	s_mov_b32 s11, exec_lo
	v_cmpx_gt_u32_e64 s7, v72
	s_cbranch_execnz .LBB2069_374
.LBB2069_325:                           ;   in Loop: Header=BB2069_316 Depth=2
	s_or_b32 exec_lo, exec_lo, s11
	s_delay_alu instid0(SALU_CYCLE_1)
	s_mov_b32 s11, exec_lo
	v_cmpx_gt_u32_e64 s7, v73
	s_cbranch_execnz .LBB2069_375
.LBB2069_326:                           ;   in Loop: Header=BB2069_316 Depth=2
	s_or_b32 exec_lo, exec_lo, s11
	s_delay_alu instid0(SALU_CYCLE_1)
	s_mov_b32 s11, exec_lo
	v_cmpx_gt_u32_e64 s7, v74
	s_cbranch_execnz .LBB2069_376
.LBB2069_327:                           ;   in Loop: Header=BB2069_316 Depth=2
	s_or_b32 exec_lo, exec_lo, s11
	s_delay_alu instid0(SALU_CYCLE_1)
	s_mov_b32 s11, exec_lo
	v_cmpx_gt_u32_e64 s7, v75
	s_cbranch_execnz .LBB2069_377
.LBB2069_328:                           ;   in Loop: Header=BB2069_316 Depth=2
	s_or_b32 exec_lo, exec_lo, s11
	s_delay_alu instid0(SALU_CYCLE_1)
	s_mov_b32 s11, exec_lo
	v_cmpx_gt_u32_e64 s7, v76
	s_cbranch_execnz .LBB2069_378
.LBB2069_329:                           ;   in Loop: Header=BB2069_316 Depth=2
	s_or_b32 exec_lo, exec_lo, s11
	s_delay_alu instid0(SALU_CYCLE_1)
	s_mov_b32 s11, exec_lo
	v_cmpx_gt_u32_e64 s7, v77
	s_cbranch_execnz .LBB2069_379
.LBB2069_330:                           ;   in Loop: Header=BB2069_316 Depth=2
	s_or_b32 exec_lo, exec_lo, s11
	s_delay_alu instid0(SALU_CYCLE_1)
	s_mov_b32 s11, exec_lo
	v_cmpx_gt_u32_e64 s7, v78
	s_cbranch_execnz .LBB2069_380
.LBB2069_331:                           ;   in Loop: Header=BB2069_316 Depth=2
	s_or_b32 exec_lo, exec_lo, s11
	s_delay_alu instid0(SALU_CYCLE_1)
	s_mov_b32 s11, exec_lo
	v_cmpx_gt_u32_e64 s7, v79
	s_cbranch_execnz .LBB2069_381
.LBB2069_332:                           ;   in Loop: Header=BB2069_316 Depth=2
	s_or_b32 exec_lo, exec_lo, s11
	s_delay_alu instid0(SALU_CYCLE_1)
	s_mov_b32 s11, exec_lo
	v_cmpx_gt_u32_e64 s7, v80
	s_cbranch_execnz .LBB2069_382
.LBB2069_333:                           ;   in Loop: Header=BB2069_316 Depth=2
	s_or_b32 exec_lo, exec_lo, s11
	s_delay_alu instid0(SALU_CYCLE_1)
	s_mov_b32 s11, exec_lo
	v_cmpx_gt_u32_e64 s7, v81
	s_cbranch_execnz .LBB2069_383
.LBB2069_334:                           ;   in Loop: Header=BB2069_316 Depth=2
	s_or_b32 exec_lo, exec_lo, s11
	s_delay_alu instid0(SALU_CYCLE_1)
	s_mov_b32 s11, exec_lo
	v_cmpx_gt_u32_e64 s7, v82
	s_cbranch_execz .LBB2069_336
.LBB2069_335:                           ;   in Loop: Header=BB2069_316 Depth=2
	global_load_u16 v23, v2, s[8:9] offset:7680 scale_offset
.LBB2069_336:                           ;   in Loop: Header=BB2069_316 Depth=2
	s_wait_xcnt 0x0
	s_or_b32 exec_lo, exec_lo, s11
	s_wait_loadcnt 0x0
	v_dual_mov_b32 v39, v38 :: v_dual_mov_b32 v40, v37
	v_dual_mov_b32 v41, v36 :: v_dual_mov_b32 v42, v35
	;; [unrolled: 1-line block ×8, first 2 shown]
	s_mov_b32 s8, s7
.LBB2069_337:                           ;   in Loop: Header=BB2069_316 Depth=2
	s_wait_loadcnt 0x0
	s_delay_alu instid0(VALU_DEP_1)
	v_dual_mov_b32 v23, v54 :: v_dual_mov_b32 v24, v53
	v_dual_mov_b32 v25, v52 :: v_dual_mov_b32 v26, v51
	;; [unrolled: 1-line block ×8, first 2 shown]
	s_mov_b32 s9, exec_lo
	s_wait_xcnt 0x0
	v_cmpx_gt_u32_e64 s8, v2
	s_cbranch_execnz .LBB2069_353
; %bb.338:                              ;   in Loop: Header=BB2069_316 Depth=2
	s_or_b32 exec_lo, exec_lo, s9
	s_delay_alu instid0(SALU_CYCLE_1)
	s_mov_b32 s9, exec_lo
	v_cmpx_gt_u32_e64 s8, v68
	s_cbranch_execnz .LBB2069_354
.LBB2069_339:                           ;   in Loop: Header=BB2069_316 Depth=2
	s_or_b32 exec_lo, exec_lo, s9
	s_delay_alu instid0(SALU_CYCLE_1)
	s_mov_b32 s9, exec_lo
	v_cmpx_gt_u32_e64 s8, v69
	s_cbranch_execnz .LBB2069_355
.LBB2069_340:                           ;   in Loop: Header=BB2069_316 Depth=2
	s_or_b32 exec_lo, exec_lo, s9
	s_delay_alu instid0(SALU_CYCLE_1)
	s_mov_b32 s9, exec_lo
	v_cmpx_gt_u32_e64 s8, v70
	s_cbranch_execnz .LBB2069_356
.LBB2069_341:                           ;   in Loop: Header=BB2069_316 Depth=2
	s_or_b32 exec_lo, exec_lo, s9
	s_delay_alu instid0(SALU_CYCLE_1)
	s_mov_b32 s9, exec_lo
	v_cmpx_gt_u32_e64 s8, v71
	s_cbranch_execnz .LBB2069_357
.LBB2069_342:                           ;   in Loop: Header=BB2069_316 Depth=2
	s_or_b32 exec_lo, exec_lo, s9
	s_delay_alu instid0(SALU_CYCLE_1)
	s_mov_b32 s9, exec_lo
	v_cmpx_gt_u32_e64 s8, v72
	s_cbranch_execnz .LBB2069_358
.LBB2069_343:                           ;   in Loop: Header=BB2069_316 Depth=2
	s_or_b32 exec_lo, exec_lo, s9
	s_delay_alu instid0(SALU_CYCLE_1)
	s_mov_b32 s9, exec_lo
	v_cmpx_gt_u32_e64 s8, v73
	s_cbranch_execnz .LBB2069_359
.LBB2069_344:                           ;   in Loop: Header=BB2069_316 Depth=2
	s_or_b32 exec_lo, exec_lo, s9
	s_delay_alu instid0(SALU_CYCLE_1)
	s_mov_b32 s9, exec_lo
	v_cmpx_gt_u32_e64 s8, v74
	s_cbranch_execnz .LBB2069_360
.LBB2069_345:                           ;   in Loop: Header=BB2069_316 Depth=2
	s_or_b32 exec_lo, exec_lo, s9
	s_delay_alu instid0(SALU_CYCLE_1)
	s_mov_b32 s9, exec_lo
	v_cmpx_gt_u32_e64 s8, v75
	s_cbranch_execnz .LBB2069_361
.LBB2069_346:                           ;   in Loop: Header=BB2069_316 Depth=2
	s_or_b32 exec_lo, exec_lo, s9
	s_delay_alu instid0(SALU_CYCLE_1)
	s_mov_b32 s9, exec_lo
	v_cmpx_gt_u32_e64 s8, v76
	s_cbranch_execnz .LBB2069_362
.LBB2069_347:                           ;   in Loop: Header=BB2069_316 Depth=2
	s_or_b32 exec_lo, exec_lo, s9
	s_delay_alu instid0(SALU_CYCLE_1)
	s_mov_b32 s9, exec_lo
	v_cmpx_gt_u32_e64 s8, v77
	s_cbranch_execnz .LBB2069_363
.LBB2069_348:                           ;   in Loop: Header=BB2069_316 Depth=2
	s_or_b32 exec_lo, exec_lo, s9
	s_delay_alu instid0(SALU_CYCLE_1)
	s_mov_b32 s9, exec_lo
	v_cmpx_gt_u32_e64 s8, v78
	s_cbranch_execnz .LBB2069_364
.LBB2069_349:                           ;   in Loop: Header=BB2069_316 Depth=2
	s_or_b32 exec_lo, exec_lo, s9
	s_delay_alu instid0(SALU_CYCLE_1)
	s_mov_b32 s9, exec_lo
	v_cmpx_gt_u32_e64 s8, v79
	s_cbranch_execnz .LBB2069_365
.LBB2069_350:                           ;   in Loop: Header=BB2069_316 Depth=2
	s_or_b32 exec_lo, exec_lo, s9
	s_delay_alu instid0(SALU_CYCLE_1)
	s_mov_b32 s9, exec_lo
	v_cmpx_gt_u32_e64 s8, v80
	s_cbranch_execnz .LBB2069_366
.LBB2069_351:                           ;   in Loop: Header=BB2069_316 Depth=2
	s_or_b32 exec_lo, exec_lo, s9
	s_delay_alu instid0(SALU_CYCLE_1)
	s_mov_b32 s9, exec_lo
	v_cmpx_gt_u32_e64 s8, v81
	s_cbranch_execnz .LBB2069_367
.LBB2069_352:                           ;   in Loop: Header=BB2069_316 Depth=2
	s_or_b32 exec_lo, exec_lo, s9
	v_cmp_gt_u32_e32 vcc_lo, s8, v82
	s_and_saveexec_b32 s8, vcc_lo
	s_cbranch_execz .LBB2069_315
	s_branch .LBB2069_368
.LBB2069_353:                           ;   in Loop: Header=BB2069_316 Depth=2
	v_cmp_lt_i16_e32 vcc_lo, -1, v38
	v_cndmask_b32_e64 v39, -1, 0xffff8000, vcc_lo
	s_delay_alu instid0(VALU_DEP_1) | instskip(NEXT) | instid1(VALU_DEP_1)
	v_xor_b32_e32 v39, v39, v38
	v_cmp_ne_u16_e32 vcc_lo, 0x7fff, v39
	v_cndmask_b32_e32 v39, 0xffff8000, v39, vcc_lo
	s_delay_alu instid0(VALU_DEP_1) | instskip(NEXT) | instid1(VALU_DEP_1)
	v_and_b32_e32 v39, 0xffff, v39
	v_lshrrev_b32_e32 v39, s48, v39
	s_delay_alu instid0(VALU_DEP_1) | instskip(NEXT) | instid1(VALU_DEP_1)
	v_and_b32_e32 v39, s52, v39
	v_lshl_or_b32 v39, v39, 4, v83
	ds_add_u32 v39, v96
	s_or_b32 exec_lo, exec_lo, s9
	s_delay_alu instid0(SALU_CYCLE_1)
	s_mov_b32 s9, exec_lo
	v_cmpx_gt_u32_e64 s8, v68
	s_cbranch_execz .LBB2069_339
.LBB2069_354:                           ;   in Loop: Header=BB2069_316 Depth=2
	v_cmp_lt_i16_e32 vcc_lo, -1, v37
	v_cndmask_b32_e64 v39, -1, 0xffff8000, vcc_lo
	s_delay_alu instid0(VALU_DEP_1) | instskip(NEXT) | instid1(VALU_DEP_1)
	v_xor_b32_e32 v39, v39, v37
	v_cmp_ne_u16_e32 vcc_lo, 0x7fff, v39
	v_cndmask_b32_e32 v39, 0xffff8000, v39, vcc_lo
	s_delay_alu instid0(VALU_DEP_1) | instskip(NEXT) | instid1(VALU_DEP_1)
	v_and_b32_e32 v39, 0xffff, v39
	v_lshrrev_b32_e32 v39, s48, v39
	s_delay_alu instid0(VALU_DEP_1) | instskip(NEXT) | instid1(VALU_DEP_1)
	v_and_b32_e32 v39, s52, v39
	v_lshl_or_b32 v39, v39, 4, v83
	ds_add_u32 v39, v96
	s_or_b32 exec_lo, exec_lo, s9
	s_delay_alu instid0(SALU_CYCLE_1)
	s_mov_b32 s9, exec_lo
	v_cmpx_gt_u32_e64 s8, v69
	s_cbranch_execz .LBB2069_340
.LBB2069_355:                           ;   in Loop: Header=BB2069_316 Depth=2
	v_cmp_lt_i16_e32 vcc_lo, -1, v36
	v_cndmask_b32_e64 v39, -1, 0xffff8000, vcc_lo
	s_delay_alu instid0(VALU_DEP_1) | instskip(NEXT) | instid1(VALU_DEP_1)
	v_xor_b32_e32 v39, v39, v36
	v_cmp_ne_u16_e32 vcc_lo, 0x7fff, v39
	v_cndmask_b32_e32 v39, 0xffff8000, v39, vcc_lo
	s_delay_alu instid0(VALU_DEP_1) | instskip(NEXT) | instid1(VALU_DEP_1)
	v_and_b32_e32 v39, 0xffff, v39
	v_lshrrev_b32_e32 v39, s48, v39
	s_delay_alu instid0(VALU_DEP_1) | instskip(NEXT) | instid1(VALU_DEP_1)
	v_and_b32_e32 v39, s52, v39
	v_lshl_or_b32 v39, v39, 4, v83
	ds_add_u32 v39, v96
	s_or_b32 exec_lo, exec_lo, s9
	s_delay_alu instid0(SALU_CYCLE_1)
	s_mov_b32 s9, exec_lo
	v_cmpx_gt_u32_e64 s8, v70
	s_cbranch_execz .LBB2069_341
.LBB2069_356:                           ;   in Loop: Header=BB2069_316 Depth=2
	v_cmp_lt_i16_e32 vcc_lo, -1, v35
	v_cndmask_b32_e64 v39, -1, 0xffff8000, vcc_lo
	s_delay_alu instid0(VALU_DEP_1) | instskip(NEXT) | instid1(VALU_DEP_1)
	v_xor_b32_e32 v39, v39, v35
	v_cmp_ne_u16_e32 vcc_lo, 0x7fff, v39
	v_cndmask_b32_e32 v39, 0xffff8000, v39, vcc_lo
	s_delay_alu instid0(VALU_DEP_1) | instskip(NEXT) | instid1(VALU_DEP_1)
	v_and_b32_e32 v39, 0xffff, v39
	v_lshrrev_b32_e32 v39, s48, v39
	s_delay_alu instid0(VALU_DEP_1) | instskip(NEXT) | instid1(VALU_DEP_1)
	v_and_b32_e32 v39, s52, v39
	v_lshl_or_b32 v39, v39, 4, v83
	ds_add_u32 v39, v96
	s_or_b32 exec_lo, exec_lo, s9
	s_delay_alu instid0(SALU_CYCLE_1)
	s_mov_b32 s9, exec_lo
	v_cmpx_gt_u32_e64 s8, v71
	s_cbranch_execz .LBB2069_342
.LBB2069_357:                           ;   in Loop: Header=BB2069_316 Depth=2
	v_cmp_lt_i16_e32 vcc_lo, -1, v34
	v_cndmask_b32_e64 v39, -1, 0xffff8000, vcc_lo
	s_delay_alu instid0(VALU_DEP_1) | instskip(NEXT) | instid1(VALU_DEP_1)
	v_xor_b32_e32 v39, v39, v34
	v_cmp_ne_u16_e32 vcc_lo, 0x7fff, v39
	v_cndmask_b32_e32 v39, 0xffff8000, v39, vcc_lo
	s_delay_alu instid0(VALU_DEP_1) | instskip(NEXT) | instid1(VALU_DEP_1)
	v_and_b32_e32 v39, 0xffff, v39
	v_lshrrev_b32_e32 v39, s48, v39
	s_delay_alu instid0(VALU_DEP_1) | instskip(NEXT) | instid1(VALU_DEP_1)
	v_and_b32_e32 v39, s52, v39
	v_lshl_or_b32 v39, v39, 4, v83
	ds_add_u32 v39, v96
	s_or_b32 exec_lo, exec_lo, s9
	s_delay_alu instid0(SALU_CYCLE_1)
	s_mov_b32 s9, exec_lo
	v_cmpx_gt_u32_e64 s8, v72
	s_cbranch_execz .LBB2069_343
.LBB2069_358:                           ;   in Loop: Header=BB2069_316 Depth=2
	v_cmp_lt_i16_e32 vcc_lo, -1, v33
	v_cndmask_b32_e64 v39, -1, 0xffff8000, vcc_lo
	s_delay_alu instid0(VALU_DEP_1) | instskip(NEXT) | instid1(VALU_DEP_1)
	v_xor_b32_e32 v39, v39, v33
	v_cmp_ne_u16_e32 vcc_lo, 0x7fff, v39
	v_cndmask_b32_e32 v39, 0xffff8000, v39, vcc_lo
	s_delay_alu instid0(VALU_DEP_1) | instskip(NEXT) | instid1(VALU_DEP_1)
	v_and_b32_e32 v39, 0xffff, v39
	v_lshrrev_b32_e32 v39, s48, v39
	s_delay_alu instid0(VALU_DEP_1) | instskip(NEXT) | instid1(VALU_DEP_1)
	v_and_b32_e32 v39, s52, v39
	v_lshl_or_b32 v39, v39, 4, v83
	ds_add_u32 v39, v96
	s_or_b32 exec_lo, exec_lo, s9
	s_delay_alu instid0(SALU_CYCLE_1)
	s_mov_b32 s9, exec_lo
	v_cmpx_gt_u32_e64 s8, v73
	s_cbranch_execz .LBB2069_344
.LBB2069_359:                           ;   in Loop: Header=BB2069_316 Depth=2
	v_cmp_lt_i16_e32 vcc_lo, -1, v32
	v_cndmask_b32_e64 v39, -1, 0xffff8000, vcc_lo
	s_delay_alu instid0(VALU_DEP_1) | instskip(NEXT) | instid1(VALU_DEP_1)
	v_xor_b32_e32 v39, v39, v32
	v_cmp_ne_u16_e32 vcc_lo, 0x7fff, v39
	v_cndmask_b32_e32 v39, 0xffff8000, v39, vcc_lo
	s_delay_alu instid0(VALU_DEP_1) | instskip(NEXT) | instid1(VALU_DEP_1)
	v_and_b32_e32 v39, 0xffff, v39
	v_lshrrev_b32_e32 v39, s48, v39
	s_delay_alu instid0(VALU_DEP_1) | instskip(NEXT) | instid1(VALU_DEP_1)
	v_and_b32_e32 v39, s52, v39
	v_lshl_or_b32 v39, v39, 4, v83
	ds_add_u32 v39, v96
	s_or_b32 exec_lo, exec_lo, s9
	s_delay_alu instid0(SALU_CYCLE_1)
	s_mov_b32 s9, exec_lo
	v_cmpx_gt_u32_e64 s8, v74
	s_cbranch_execz .LBB2069_345
.LBB2069_360:                           ;   in Loop: Header=BB2069_316 Depth=2
	v_cmp_lt_i16_e32 vcc_lo, -1, v31
	v_cndmask_b32_e64 v39, -1, 0xffff8000, vcc_lo
	s_delay_alu instid0(VALU_DEP_1) | instskip(NEXT) | instid1(VALU_DEP_1)
	v_xor_b32_e32 v39, v39, v31
	v_cmp_ne_u16_e32 vcc_lo, 0x7fff, v39
	v_cndmask_b32_e32 v39, 0xffff8000, v39, vcc_lo
	s_delay_alu instid0(VALU_DEP_1) | instskip(NEXT) | instid1(VALU_DEP_1)
	v_and_b32_e32 v39, 0xffff, v39
	v_lshrrev_b32_e32 v39, s48, v39
	s_delay_alu instid0(VALU_DEP_1) | instskip(NEXT) | instid1(VALU_DEP_1)
	v_and_b32_e32 v39, s52, v39
	v_lshl_or_b32 v39, v39, 4, v83
	ds_add_u32 v39, v96
	s_or_b32 exec_lo, exec_lo, s9
	s_delay_alu instid0(SALU_CYCLE_1)
	s_mov_b32 s9, exec_lo
	v_cmpx_gt_u32_e64 s8, v75
	s_cbranch_execz .LBB2069_346
.LBB2069_361:                           ;   in Loop: Header=BB2069_316 Depth=2
	v_cmp_lt_i16_e32 vcc_lo, -1, v30
	v_cndmask_b32_e64 v39, -1, 0xffff8000, vcc_lo
	s_delay_alu instid0(VALU_DEP_1) | instskip(NEXT) | instid1(VALU_DEP_1)
	v_xor_b32_e32 v39, v39, v30
	v_cmp_ne_u16_e32 vcc_lo, 0x7fff, v39
	v_cndmask_b32_e32 v39, 0xffff8000, v39, vcc_lo
	s_delay_alu instid0(VALU_DEP_1) | instskip(NEXT) | instid1(VALU_DEP_1)
	v_and_b32_e32 v39, 0xffff, v39
	v_lshrrev_b32_e32 v39, s48, v39
	s_delay_alu instid0(VALU_DEP_1) | instskip(NEXT) | instid1(VALU_DEP_1)
	v_and_b32_e32 v39, s52, v39
	v_lshl_or_b32 v39, v39, 4, v83
	ds_add_u32 v39, v96
	s_or_b32 exec_lo, exec_lo, s9
	s_delay_alu instid0(SALU_CYCLE_1)
	s_mov_b32 s9, exec_lo
	v_cmpx_gt_u32_e64 s8, v76
	s_cbranch_execz .LBB2069_347
.LBB2069_362:                           ;   in Loop: Header=BB2069_316 Depth=2
	v_cmp_lt_i16_e32 vcc_lo, -1, v29
	v_cndmask_b32_e64 v39, -1, 0xffff8000, vcc_lo
	s_delay_alu instid0(VALU_DEP_1) | instskip(NEXT) | instid1(VALU_DEP_1)
	v_xor_b32_e32 v39, v39, v29
	v_cmp_ne_u16_e32 vcc_lo, 0x7fff, v39
	v_cndmask_b32_e32 v39, 0xffff8000, v39, vcc_lo
	s_delay_alu instid0(VALU_DEP_1) | instskip(NEXT) | instid1(VALU_DEP_1)
	v_and_b32_e32 v39, 0xffff, v39
	v_lshrrev_b32_e32 v39, s48, v39
	s_delay_alu instid0(VALU_DEP_1) | instskip(NEXT) | instid1(VALU_DEP_1)
	v_and_b32_e32 v39, s52, v39
	v_lshl_or_b32 v39, v39, 4, v83
	ds_add_u32 v39, v96
	s_or_b32 exec_lo, exec_lo, s9
	s_delay_alu instid0(SALU_CYCLE_1)
	s_mov_b32 s9, exec_lo
	v_cmpx_gt_u32_e64 s8, v77
	s_cbranch_execz .LBB2069_348
.LBB2069_363:                           ;   in Loop: Header=BB2069_316 Depth=2
	v_cmp_lt_i16_e32 vcc_lo, -1, v28
	v_cndmask_b32_e64 v39, -1, 0xffff8000, vcc_lo
	s_delay_alu instid0(VALU_DEP_1) | instskip(NEXT) | instid1(VALU_DEP_1)
	v_xor_b32_e32 v39, v39, v28
	v_cmp_ne_u16_e32 vcc_lo, 0x7fff, v39
	v_cndmask_b32_e32 v39, 0xffff8000, v39, vcc_lo
	s_delay_alu instid0(VALU_DEP_1) | instskip(NEXT) | instid1(VALU_DEP_1)
	v_and_b32_e32 v39, 0xffff, v39
	v_lshrrev_b32_e32 v39, s48, v39
	s_delay_alu instid0(VALU_DEP_1) | instskip(NEXT) | instid1(VALU_DEP_1)
	v_and_b32_e32 v39, s52, v39
	v_lshl_or_b32 v39, v39, 4, v83
	ds_add_u32 v39, v96
	s_or_b32 exec_lo, exec_lo, s9
	s_delay_alu instid0(SALU_CYCLE_1)
	s_mov_b32 s9, exec_lo
	v_cmpx_gt_u32_e64 s8, v78
	s_cbranch_execz .LBB2069_349
.LBB2069_364:                           ;   in Loop: Header=BB2069_316 Depth=2
	v_cmp_lt_i16_e32 vcc_lo, -1, v27
	v_cndmask_b32_e64 v39, -1, 0xffff8000, vcc_lo
	s_delay_alu instid0(VALU_DEP_1) | instskip(NEXT) | instid1(VALU_DEP_1)
	v_xor_b32_e32 v39, v39, v27
	v_cmp_ne_u16_e32 vcc_lo, 0x7fff, v39
	v_cndmask_b32_e32 v39, 0xffff8000, v39, vcc_lo
	s_delay_alu instid0(VALU_DEP_1) | instskip(NEXT) | instid1(VALU_DEP_1)
	v_and_b32_e32 v39, 0xffff, v39
	v_lshrrev_b32_e32 v39, s48, v39
	s_delay_alu instid0(VALU_DEP_1) | instskip(NEXT) | instid1(VALU_DEP_1)
	v_and_b32_e32 v39, s52, v39
	v_lshl_or_b32 v39, v39, 4, v83
	ds_add_u32 v39, v96
	s_or_b32 exec_lo, exec_lo, s9
	s_delay_alu instid0(SALU_CYCLE_1)
	s_mov_b32 s9, exec_lo
	v_cmpx_gt_u32_e64 s8, v79
	s_cbranch_execz .LBB2069_350
.LBB2069_365:                           ;   in Loop: Header=BB2069_316 Depth=2
	v_cmp_lt_i16_e32 vcc_lo, -1, v26
	v_cndmask_b32_e64 v39, -1, 0xffff8000, vcc_lo
	s_delay_alu instid0(VALU_DEP_1) | instskip(NEXT) | instid1(VALU_DEP_1)
	v_xor_b32_e32 v39, v39, v26
	v_cmp_ne_u16_e32 vcc_lo, 0x7fff, v39
	v_cndmask_b32_e32 v39, 0xffff8000, v39, vcc_lo
	s_delay_alu instid0(VALU_DEP_1) | instskip(NEXT) | instid1(VALU_DEP_1)
	v_and_b32_e32 v39, 0xffff, v39
	v_lshrrev_b32_e32 v39, s48, v39
	s_delay_alu instid0(VALU_DEP_1) | instskip(NEXT) | instid1(VALU_DEP_1)
	v_and_b32_e32 v39, s52, v39
	v_lshl_or_b32 v39, v39, 4, v83
	ds_add_u32 v39, v96
	s_or_b32 exec_lo, exec_lo, s9
	s_delay_alu instid0(SALU_CYCLE_1)
	s_mov_b32 s9, exec_lo
	v_cmpx_gt_u32_e64 s8, v80
	s_cbranch_execz .LBB2069_351
.LBB2069_366:                           ;   in Loop: Header=BB2069_316 Depth=2
	v_cmp_lt_i16_e32 vcc_lo, -1, v25
	v_cndmask_b32_e64 v39, -1, 0xffff8000, vcc_lo
	s_delay_alu instid0(VALU_DEP_1) | instskip(NEXT) | instid1(VALU_DEP_1)
	v_xor_b32_e32 v39, v39, v25
	v_cmp_ne_u16_e32 vcc_lo, 0x7fff, v39
	v_cndmask_b32_e32 v39, 0xffff8000, v39, vcc_lo
	s_delay_alu instid0(VALU_DEP_1) | instskip(NEXT) | instid1(VALU_DEP_1)
	v_and_b32_e32 v39, 0xffff, v39
	v_lshrrev_b32_e32 v39, s48, v39
	s_delay_alu instid0(VALU_DEP_1) | instskip(NEXT) | instid1(VALU_DEP_1)
	v_and_b32_e32 v39, s52, v39
	v_lshl_or_b32 v39, v39, 4, v83
	ds_add_u32 v39, v96
	s_or_b32 exec_lo, exec_lo, s9
	s_delay_alu instid0(SALU_CYCLE_1)
	s_mov_b32 s9, exec_lo
	v_cmpx_gt_u32_e64 s8, v81
	s_cbranch_execz .LBB2069_352
.LBB2069_367:                           ;   in Loop: Header=BB2069_316 Depth=2
	v_cmp_lt_i16_e32 vcc_lo, -1, v24
	v_cndmask_b32_e64 v39, -1, 0xffff8000, vcc_lo
	s_delay_alu instid0(VALU_DEP_1) | instskip(NEXT) | instid1(VALU_DEP_1)
	v_xor_b32_e32 v39, v39, v24
	v_cmp_ne_u16_e32 vcc_lo, 0x7fff, v39
	v_cndmask_b32_e32 v39, 0xffff8000, v39, vcc_lo
	s_delay_alu instid0(VALU_DEP_1) | instskip(NEXT) | instid1(VALU_DEP_1)
	v_and_b32_e32 v39, 0xffff, v39
	v_lshrrev_b32_e32 v39, s48, v39
	s_delay_alu instid0(VALU_DEP_1) | instskip(NEXT) | instid1(VALU_DEP_1)
	v_and_b32_e32 v39, s52, v39
	v_lshl_or_b32 v39, v39, 4, v83
	ds_add_u32 v39, v96
	s_or_b32 exec_lo, exec_lo, s9
	v_cmp_gt_u32_e32 vcc_lo, s8, v82
	s_and_saveexec_b32 s8, vcc_lo
	s_cbranch_execz .LBB2069_315
.LBB2069_368:                           ;   in Loop: Header=BB2069_316 Depth=2
	v_cmp_lt_i16_e32 vcc_lo, -1, v23
	v_cndmask_b32_e64 v39, -1, 0xffff8000, vcc_lo
	s_delay_alu instid0(VALU_DEP_1) | instskip(NEXT) | instid1(VALU_DEP_1)
	v_xor_b32_e32 v39, v39, v23
	v_cmp_ne_u16_e32 vcc_lo, 0x7fff, v39
	v_cndmask_b32_e32 v39, 0xffff8000, v39, vcc_lo
	s_delay_alu instid0(VALU_DEP_1) | instskip(NEXT) | instid1(VALU_DEP_1)
	v_and_b32_e32 v39, 0xffff, v39
	v_lshrrev_b32_e32 v39, s48, v39
	s_delay_alu instid0(VALU_DEP_1) | instskip(NEXT) | instid1(VALU_DEP_1)
	v_and_b32_e32 v39, s52, v39
	v_lshl_or_b32 v39, v39, 4, v83
	ds_add_u32 v39, v96
	s_branch .LBB2069_315
.LBB2069_369:                           ;   in Loop: Header=BB2069_316 Depth=2
	global_load_u16 v38, v2, s[8:9] scale_offset
	s_wait_xcnt 0x0
	s_or_b32 exec_lo, exec_lo, s11
	s_delay_alu instid0(SALU_CYCLE_1)
	s_mov_b32 s11, exec_lo
	v_cmpx_gt_u32_e64 s7, v68
	s_cbranch_execz .LBB2069_321
.LBB2069_370:                           ;   in Loop: Header=BB2069_316 Depth=2
	global_load_u16 v37, v2, s[8:9] offset:512 scale_offset
	s_wait_xcnt 0x0
	s_or_b32 exec_lo, exec_lo, s11
	s_delay_alu instid0(SALU_CYCLE_1)
	s_mov_b32 s11, exec_lo
	v_cmpx_gt_u32_e64 s7, v69
	s_cbranch_execz .LBB2069_322
.LBB2069_371:                           ;   in Loop: Header=BB2069_316 Depth=2
	global_load_u16 v36, v2, s[8:9] offset:1024 scale_offset
	s_wait_xcnt 0x0
	s_or_b32 exec_lo, exec_lo, s11
	s_delay_alu instid0(SALU_CYCLE_1)
	s_mov_b32 s11, exec_lo
	v_cmpx_gt_u32_e64 s7, v70
	s_cbranch_execz .LBB2069_323
.LBB2069_372:                           ;   in Loop: Header=BB2069_316 Depth=2
	global_load_u16 v35, v2, s[8:9] offset:1536 scale_offset
	s_wait_xcnt 0x0
	s_or_b32 exec_lo, exec_lo, s11
	s_delay_alu instid0(SALU_CYCLE_1)
	s_mov_b32 s11, exec_lo
	v_cmpx_gt_u32_e64 s7, v71
	s_cbranch_execz .LBB2069_324
.LBB2069_373:                           ;   in Loop: Header=BB2069_316 Depth=2
	global_load_u16 v34, v2, s[8:9] offset:2048 scale_offset
	s_wait_xcnt 0x0
	s_or_b32 exec_lo, exec_lo, s11
	s_delay_alu instid0(SALU_CYCLE_1)
	s_mov_b32 s11, exec_lo
	v_cmpx_gt_u32_e64 s7, v72
	s_cbranch_execz .LBB2069_325
.LBB2069_374:                           ;   in Loop: Header=BB2069_316 Depth=2
	global_load_u16 v33, v2, s[8:9] offset:2560 scale_offset
	s_wait_xcnt 0x0
	s_or_b32 exec_lo, exec_lo, s11
	s_delay_alu instid0(SALU_CYCLE_1)
	s_mov_b32 s11, exec_lo
	v_cmpx_gt_u32_e64 s7, v73
	s_cbranch_execz .LBB2069_326
.LBB2069_375:                           ;   in Loop: Header=BB2069_316 Depth=2
	global_load_u16 v32, v2, s[8:9] offset:3072 scale_offset
	s_wait_xcnt 0x0
	s_or_b32 exec_lo, exec_lo, s11
	s_delay_alu instid0(SALU_CYCLE_1)
	s_mov_b32 s11, exec_lo
	v_cmpx_gt_u32_e64 s7, v74
	s_cbranch_execz .LBB2069_327
.LBB2069_376:                           ;   in Loop: Header=BB2069_316 Depth=2
	global_load_u16 v31, v2, s[8:9] offset:3584 scale_offset
	s_wait_xcnt 0x0
	s_or_b32 exec_lo, exec_lo, s11
	s_delay_alu instid0(SALU_CYCLE_1)
	s_mov_b32 s11, exec_lo
	v_cmpx_gt_u32_e64 s7, v75
	s_cbranch_execz .LBB2069_328
.LBB2069_377:                           ;   in Loop: Header=BB2069_316 Depth=2
	global_load_u16 v30, v2, s[8:9] offset:4096 scale_offset
	s_wait_xcnt 0x0
	s_or_b32 exec_lo, exec_lo, s11
	s_delay_alu instid0(SALU_CYCLE_1)
	s_mov_b32 s11, exec_lo
	v_cmpx_gt_u32_e64 s7, v76
	s_cbranch_execz .LBB2069_329
.LBB2069_378:                           ;   in Loop: Header=BB2069_316 Depth=2
	global_load_u16 v29, v2, s[8:9] offset:4608 scale_offset
	s_wait_xcnt 0x0
	s_or_b32 exec_lo, exec_lo, s11
	s_delay_alu instid0(SALU_CYCLE_1)
	s_mov_b32 s11, exec_lo
	v_cmpx_gt_u32_e64 s7, v77
	s_cbranch_execz .LBB2069_330
.LBB2069_379:                           ;   in Loop: Header=BB2069_316 Depth=2
	global_load_u16 v28, v2, s[8:9] offset:5120 scale_offset
	s_wait_xcnt 0x0
	s_or_b32 exec_lo, exec_lo, s11
	s_delay_alu instid0(SALU_CYCLE_1)
	s_mov_b32 s11, exec_lo
	v_cmpx_gt_u32_e64 s7, v78
	s_cbranch_execz .LBB2069_331
.LBB2069_380:                           ;   in Loop: Header=BB2069_316 Depth=2
	global_load_u16 v27, v2, s[8:9] offset:5632 scale_offset
	s_wait_xcnt 0x0
	s_or_b32 exec_lo, exec_lo, s11
	s_delay_alu instid0(SALU_CYCLE_1)
	s_mov_b32 s11, exec_lo
	v_cmpx_gt_u32_e64 s7, v79
	s_cbranch_execz .LBB2069_332
.LBB2069_381:                           ;   in Loop: Header=BB2069_316 Depth=2
	global_load_u16 v26, v2, s[8:9] offset:6144 scale_offset
	s_wait_xcnt 0x0
	s_or_b32 exec_lo, exec_lo, s11
	s_delay_alu instid0(SALU_CYCLE_1)
	s_mov_b32 s11, exec_lo
	v_cmpx_gt_u32_e64 s7, v80
	s_cbranch_execz .LBB2069_333
.LBB2069_382:                           ;   in Loop: Header=BB2069_316 Depth=2
	global_load_u16 v25, v2, s[8:9] offset:6656 scale_offset
	s_wait_xcnt 0x0
	s_or_b32 exec_lo, exec_lo, s11
	s_delay_alu instid0(SALU_CYCLE_1)
	s_mov_b32 s11, exec_lo
	v_cmpx_gt_u32_e64 s7, v81
	s_cbranch_execz .LBB2069_334
.LBB2069_383:                           ;   in Loop: Header=BB2069_316 Depth=2
	global_load_u16 v24, v2, s[8:9] offset:7168 scale_offset
	s_wait_xcnt 0x0
	s_or_b32 exec_lo, exec_lo, s11
	s_delay_alu instid0(SALU_CYCLE_1)
	s_mov_b32 s11, exec_lo
	v_cmpx_gt_u32_e64 s7, v82
	s_cbranch_execnz .LBB2069_335
	s_branch .LBB2069_336
.LBB2069_384:                           ;   in Loop: Header=BB2069_20 Depth=1
	v_mov_b32_e32 v23, 0
	s_wait_dscnt 0x0
	s_barrier_signal -1
	s_barrier_wait -1
	s_and_saveexec_b32 s7, s0
	s_cbranch_execz .LBB2069_386
; %bb.385:                              ;   in Loop: Header=BB2069_20 Depth=1
	ds_load_2addr_b64 v[24:27], v85 offset1:1
	s_wait_dscnt 0x0
	v_add_nc_u32_e32 v23, v25, v24
	s_delay_alu instid0(VALU_DEP_1)
	v_add3_u32 v23, v23, v26, v27
.LBB2069_386:                           ;   in Loop: Header=BB2069_20 Depth=1
	s_or_b32 exec_lo, exec_lo, s7
	s_delay_alu instid0(VALU_DEP_1)
	v_mov_b32_dpp v24, v23 row_shr:1 row_mask:0xf bank_mask:0xf
	v_cmp_eq_u32_e64 s7, 0, v97
	v_cmp_lt_u32_e64 s8, 1, v97
	v_cmp_lt_u32_e64 s9, 3, v97
	;; [unrolled: 1-line block ×3, first 2 shown]
	v_cmp_eq_u32_e64 s11, 0, v99
	v_cndmask_b32_e64 v24, v24, 0, s7
	s_delay_alu instid0(VALU_DEP_1) | instskip(NEXT) | instid1(VALU_DEP_1)
	v_add_nc_u32_e32 v23, v24, v23
	v_mov_b32_dpp v24, v23 row_shr:2 row_mask:0xf bank_mask:0xf
	s_delay_alu instid0(VALU_DEP_1) | instskip(NEXT) | instid1(VALU_DEP_1)
	v_cndmask_b32_e64 v24, 0, v24, s8
	v_add_nc_u32_e32 v23, v23, v24
	s_delay_alu instid0(VALU_DEP_1) | instskip(NEXT) | instid1(VALU_DEP_1)
	v_mov_b32_dpp v24, v23 row_shr:4 row_mask:0xf bank_mask:0xf
	v_cndmask_b32_e64 v24, 0, v24, s9
	s_delay_alu instid0(VALU_DEP_1) | instskip(NEXT) | instid1(VALU_DEP_1)
	v_add_nc_u32_e32 v23, v23, v24
	v_mov_b32_dpp v24, v23 row_shr:8 row_mask:0xf bank_mask:0xf
	s_delay_alu instid0(VALU_DEP_1) | instskip(NEXT) | instid1(VALU_DEP_1)
	v_cndmask_b32_e64 v24, 0, v24, s10
	v_add_nc_u32_e32 v23, v23, v24
	ds_swizzle_b32 v24, v23 offset:swizzle(BROADCAST,32,15)
	s_wait_dscnt 0x0
	v_and_b32_e32 v24, v98, v24
	s_delay_alu instid0(VALU_DEP_1)
	v_add_nc_u32_e32 v23, v23, v24
	s_and_saveexec_b32 s12, s1
; %bb.387:                              ;   in Loop: Header=BB2069_20 Depth=1
	ds_store_b32 v86, v23
; %bb.388:                              ;   in Loop: Header=BB2069_20 Depth=1
	s_or_b32 exec_lo, exec_lo, s12
	s_wait_dscnt 0x0
	s_barrier_signal -1
	s_barrier_wait -1
	s_and_saveexec_b32 s12, s4
	s_cbranch_execz .LBB2069_390
; %bb.389:                              ;   in Loop: Header=BB2069_20 Depth=1
	ds_load_b32 v24, v87
	v_cmp_ne_u32_e32 vcc_lo, 0, v101
	s_wait_dscnt 0x0
	v_mov_b32_dpp v25, v24 row_shr:1 row_mask:0xf bank_mask:0xf
	s_delay_alu instid0(VALU_DEP_1) | instskip(SKIP_1) | instid1(VALU_DEP_2)
	v_cndmask_b32_e32 v25, 0, v25, vcc_lo
	v_cmp_lt_u32_e32 vcc_lo, 1, v101
	v_add_nc_u32_e32 v24, v25, v24
	s_delay_alu instid0(VALU_DEP_1) | instskip(NEXT) | instid1(VALU_DEP_1)
	v_mov_b32_dpp v25, v24 row_shr:2 row_mask:0xf bank_mask:0xf
	v_cndmask_b32_e32 v25, 0, v25, vcc_lo
	v_cmp_lt_u32_e32 vcc_lo, 3, v101
	s_delay_alu instid0(VALU_DEP_2) | instskip(NEXT) | instid1(VALU_DEP_1)
	v_add_nc_u32_e32 v24, v24, v25
	v_mov_b32_dpp v25, v24 row_shr:4 row_mask:0xf bank_mask:0xf
	s_delay_alu instid0(VALU_DEP_1) | instskip(NEXT) | instid1(VALU_DEP_1)
	v_cndmask_b32_e32 v25, 0, v25, vcc_lo
	v_add_nc_u32_e32 v24, v24, v25
	ds_store_b32 v87, v24
.LBB2069_390:                           ;   in Loop: Header=BB2069_20 Depth=1
	s_or_b32 exec_lo, exec_lo, s12
	v_mov_b32_e32 v24, 0
	s_wait_dscnt 0x0
	s_barrier_signal -1
	s_barrier_wait -1
	s_and_saveexec_b32 s12, s5
; %bb.391:                              ;   in Loop: Header=BB2069_20 Depth=1
	ds_load_b32 v24, v88
; %bb.392:                              ;   in Loop: Header=BB2069_20 Depth=1
	s_or_b32 exec_lo, exec_lo, s12
	v_cmp_gt_i32_e32 vcc_lo, 0, v102
	s_wait_dscnt 0x0
	s_barrier_signal -1
	s_barrier_wait -1
	v_cndmask_b32_e32 v25, v102, v95, vcc_lo
	s_delay_alu instid0(VALU_DEP_1)
	v_dual_add_nc_u32 v23, v24, v23 :: v_dual_lshlrev_b32 v122, 2, v25
	ds_bpermute_b32 v23, v122, v23
	s_and_saveexec_b32 s12, s0
	s_cbranch_execz .LBB2069_394
; %bb.393:                              ;   in Loop: Header=BB2069_20 Depth=1
	s_wait_dscnt 0x0
	v_cndmask_b32_e64 v23, v23, v24, s6
	s_delay_alu instid0(VALU_DEP_1)
	v_add_nc_u32_e32 v23, s54, v23
	ds_store_b32 v3, v23
.LBB2069_394:                           ;   in Loop: Header=BB2069_20 Depth=1
	s_or_b32 exec_lo, exec_lo, s12
	s_load_b64 s[12:13], s[34:35], 0x0
	s_mov_b32 s53, s56
                                        ; implicit-def: $vgpr30_vgpr31
                                        ; implicit-def: $vgpr32_vgpr33
                                        ; implicit-def: $vgpr34_vgpr35
                                        ; implicit-def: $vgpr36_vgpr37
                                        ; implicit-def: $vgpr38_vgpr39
                                        ; implicit-def: $vgpr40_vgpr41
                                        ; implicit-def: $vgpr42_vgpr43
                                        ; implicit-def: $vgpr44_vgpr45
                                        ; implicit-def: $vgpr46_vgpr47
                                        ; implicit-def: $vgpr48_vgpr49
                                        ; implicit-def: $vgpr50_vgpr51
                                        ; implicit-def: $vgpr52_vgpr53
                                        ; implicit-def: $vgpr54_vgpr55
                                        ; implicit-def: $vgpr56_vgpr57
                                        ; implicit-def: $vgpr58_vgpr59
                                        ; implicit-def: $vgpr123
                                        ; implicit-def: $vgpr124
                                        ; implicit-def: $vgpr125
                                        ; implicit-def: $vgpr126
                                        ; implicit-def: $vgpr127
                                        ; implicit-def: $vgpr128
                                        ; implicit-def: $vgpr129
                                        ; implicit-def: $vgpr130
                                        ; implicit-def: $vgpr131
                                        ; implicit-def: $vgpr132
                                        ; implicit-def: $vgpr133
                                        ; implicit-def: $vgpr134
                                        ; implicit-def: $vgpr135
                                        ; implicit-def: $vgpr136
                                        ; implicit-def: $vgpr137
                                        ; implicit-def: $vgpr138
	s_wait_kmcnt 0x0
	s_cmp_lt_u32 s33, s12
	s_cselect_b32 s42, 12, 18
	s_cmp_lt_u32 s31, s13
	s_mov_b32 s13, s43
	s_cselect_b32 s12, 14, 20
	s_delay_alu instid0(SALU_CYCLE_1)
	s_add_nc_u64 s[12:13], s[34:35], s[12:13]
	s_load_u16 s14, s[12:13], 0x0
	s_wait_xcnt 0x0
	s_add_nc_u64 s[12:13], s[34:35], s[42:43]
	s_mov_b32 s42, s54
	s_load_u16 s12, s[12:13], 0x0
	s_wait_xcnt 0x0
	v_cmp_lt_u32_e64 s13, 1, v101
	s_wait_dscnt 0x0
	s_wait_kmcnt 0x0
	v_mad_u32_u24 v23, v89, s14, v90
	v_cmp_lt_u32_e64 s14, 3, v101
	s_delay_alu instid0(VALU_DEP_2) | instskip(SKIP_2) | instid1(VALU_DEP_3)
	v_mad_u32 v24, v23, s12, v2
	v_mov_b32_e32 v23, v5
	v_cmp_eq_u32_e64 s12, 0, v101
	v_lshrrev_b32_e32 v28, 3, v24
	v_add_nc_u64_e32 v[24:25], v[12:13], v[4:5]
	s_delay_alu instid0(VALU_DEP_4) | instskip(NEXT) | instid1(VALU_DEP_3)
	v_add_nc_u64_e32 v[26:27], v[14:15], v[22:23]
	v_and_b32_e32 v23, 0x1ffffffc, v28
                                        ; implicit-def: $vgpr28_vgpr29
	s_branch .LBB2069_396
.LBB2069_395:                           ;   in Loop: Header=BB2069_396 Depth=2
	s_or_b32 exec_lo, exec_lo, s15
	s_addk_co_i32 s53, 0xf000
	s_cmp_lt_u32 s57, s51
	s_mov_b32 s42, s57
	s_cbranch_scc0 .LBB2069_604
.LBB2069_396:                           ;   Parent Loop BB2069_20 Depth=1
                                        ; =>  This Inner Loop Header: Depth=2
	s_add_co_i32 s57, s42, 0x1000
	s_delay_alu instid0(SALU_CYCLE_1)
	s_cmp_gt_u32 s57, s51
	s_cbranch_scc1 .LBB2069_398
; %bb.397:                              ;   in Loop: Header=BB2069_396 Depth=2
	s_delay_alu instid0(VALU_DEP_2)
	v_lshl_add_u64 v[60:61], s[42:43], 1, v[26:27]
	s_mov_b32 s15, -1
	s_clause 0xe
	global_load_u16 v140, v[60:61], off
	global_load_u16 v141, v[60:61], off offset:64
	global_load_u16 v144, v[60:61], off offset:128
	;; [unrolled: 1-line block ×14, first 2 shown]
	s_movk_i32 s16, 0x1000
	s_cbranch_execz .LBB2069_399
	s_branch .LBB2069_430
.LBB2069_398:                           ;   in Loop: Header=BB2069_396 Depth=2
	s_mov_b32 s15, 0
                                        ; implicit-def: $vgpr140
                                        ; implicit-def: $vgpr141
                                        ; implicit-def: $vgpr144
                                        ; implicit-def: $vgpr148
                                        ; implicit-def: $vgpr152
                                        ; implicit-def: $vgpr156
                                        ; implicit-def: $vgpr160
                                        ; implicit-def: $vgpr164
                                        ; implicit-def: $vgpr168
                                        ; implicit-def: $vgpr67
                                        ; implicit-def: $vgpr66
                                        ; implicit-def: $vgpr65
                                        ; implicit-def: $vgpr64
                                        ; implicit-def: $vgpr63
                                        ; implicit-def: $vgpr62
	s_movk_i32 s16, 0x1000
.LBB2069_399:                           ;   in Loop: Header=BB2069_396 Depth=2
	s_wait_xcnt 0x0
	v_lshl_add_u64 v[60:61], s[42:43], 1, v[26:27]
	s_wait_loadcnt 0xd
	v_dual_mov_b32 v141, 0x7fff :: v_dual_mov_b32 v140, 0x7fff
	s_mov_b32 s15, exec_lo
	v_cmpx_gt_u32_e64 s53, v100
	s_cbranch_execz .LBB2069_401
; %bb.400:                              ;   in Loop: Header=BB2069_396 Depth=2
	global_load_u16 v140, v[60:61], off
.LBB2069_401:                           ;   in Loop: Header=BB2069_396 Depth=2
	s_wait_xcnt 0x0
	s_or_b32 exec_lo, exec_lo, s15
	s_delay_alu instid0(SALU_CYCLE_1)
	s_mov_b32 s15, exec_lo
	v_cmpx_gt_u32_e64 s53, v103
	s_cbranch_execz .LBB2069_403
; %bb.402:                              ;   in Loop: Header=BB2069_396 Depth=2
	global_load_u16 v141, v[60:61], off offset:64
.LBB2069_403:                           ;   in Loop: Header=BB2069_396 Depth=2
	s_wait_xcnt 0x0
	s_or_b32 exec_lo, exec_lo, s15
	s_wait_loadcnt 0xb
	v_mov_b32_e32 v148, 0x7fff
	v_mov_b32_e32 v144, 0x7fff
	s_mov_b32 s15, exec_lo
	v_cmpx_gt_u32_e64 s53, v104
	s_cbranch_execz .LBB2069_405
; %bb.404:                              ;   in Loop: Header=BB2069_396 Depth=2
	global_load_u16 v144, v[60:61], off offset:128
.LBB2069_405:                           ;   in Loop: Header=BB2069_396 Depth=2
	s_wait_xcnt 0x0
	s_or_b32 exec_lo, exec_lo, s15
	s_delay_alu instid0(SALU_CYCLE_1)
	s_mov_b32 s15, exec_lo
	v_cmpx_gt_u32_e64 s53, v105
	s_cbranch_execz .LBB2069_407
; %bb.406:                              ;   in Loop: Header=BB2069_396 Depth=2
	global_load_u16 v148, v[60:61], off offset:192
.LBB2069_407:                           ;   in Loop: Header=BB2069_396 Depth=2
	s_wait_xcnt 0x0
	s_or_b32 exec_lo, exec_lo, s15
	s_wait_loadcnt 0x9
	v_mov_b32_e32 v156, 0x7fff
	v_mov_b32_e32 v152, 0x7fff
	s_mov_b32 s15, exec_lo
	v_cmpx_gt_u32_e64 s53, v106
	s_cbranch_execz .LBB2069_409
; %bb.408:                              ;   in Loop: Header=BB2069_396 Depth=2
	global_load_u16 v152, v[60:61], off offset:256
.LBB2069_409:                           ;   in Loop: Header=BB2069_396 Depth=2
	;; [unrolled: 20-line block ×3, first 2 shown]
	s_wait_xcnt 0x0
	s_or_b32 exec_lo, exec_lo, s15
	s_delay_alu instid0(SALU_CYCLE_1)
	s_mov_b32 s15, exec_lo
	v_cmpx_gt_u32_e64 s53, v109
	s_cbranch_execz .LBB2069_415
; %bb.414:                              ;   in Loop: Header=BB2069_396 Depth=2
	global_load_u16 v164, v[60:61], off offset:448
.LBB2069_415:                           ;   in Loop: Header=BB2069_396 Depth=2
	s_wait_xcnt 0x0
	s_or_b32 exec_lo, exec_lo, s15
	s_wait_loadcnt 0x5
	v_dual_mov_b32 v67, 0x7fff :: v_dual_mov_b32 v168, 0x7fff
	s_mov_b32 s15, exec_lo
	v_cmpx_gt_u32_e64 s53, v110
	s_cbranch_execz .LBB2069_417
; %bb.416:                              ;   in Loop: Header=BB2069_396 Depth=2
	global_load_u16 v168, v[60:61], off offset:512
.LBB2069_417:                           ;   in Loop: Header=BB2069_396 Depth=2
	s_wait_xcnt 0x0
	s_or_b32 exec_lo, exec_lo, s15
	s_delay_alu instid0(SALU_CYCLE_1)
	s_mov_b32 s15, exec_lo
	v_cmpx_gt_u32_e64 s53, v111
	s_cbranch_execz .LBB2069_419
; %bb.418:                              ;   in Loop: Header=BB2069_396 Depth=2
	global_load_u16 v67, v[60:61], off offset:576
.LBB2069_419:                           ;   in Loop: Header=BB2069_396 Depth=2
	s_wait_xcnt 0x0
	s_or_b32 exec_lo, exec_lo, s15
	s_wait_loadcnt 0x3
	v_dual_mov_b32 v65, 0x7fff :: v_dual_mov_b32 v66, 0x7fff
	s_mov_b32 s15, exec_lo
	v_cmpx_gt_u32_e64 s53, v112
	s_cbranch_execz .LBB2069_421
; %bb.420:                              ;   in Loop: Header=BB2069_396 Depth=2
	global_load_u16 v66, v[60:61], off offset:640
.LBB2069_421:                           ;   in Loop: Header=BB2069_396 Depth=2
	;; [unrolled: 19-line block ×3, first 2 shown]
	s_wait_xcnt 0x0
	s_or_b32 exec_lo, exec_lo, s15
	s_delay_alu instid0(SALU_CYCLE_1)
	s_mov_b32 s15, exec_lo
	v_cmpx_gt_u32_e64 s53, v115
	s_cbranch_execz .LBB2069_427
; %bb.426:                              ;   in Loop: Header=BB2069_396 Depth=2
	global_load_u16 v63, v[60:61], off offset:832
.LBB2069_427:                           ;   in Loop: Header=BB2069_396 Depth=2
	s_wait_xcnt 0x0
	s_or_b32 exec_lo, exec_lo, s15
	s_wait_loadcnt 0x0
	v_mov_b32_e32 v62, 0x7fff
	s_mov_b32 s15, exec_lo
	v_cmpx_gt_u32_e64 s53, v116
	s_cbranch_execz .LBB2069_429
; %bb.428:                              ;   in Loop: Header=BB2069_396 Depth=2
	global_load_u16 v62, v[60:61], off offset:896
.LBB2069_429:                           ;   in Loop: Header=BB2069_396 Depth=2
	s_wait_xcnt 0x0
	s_or_b32 exec_lo, exec_lo, s15
	v_cmp_gt_u32_e64 s15, s53, v117
	s_sub_co_i32 s16, s51, s42
.LBB2069_430:                           ;   in Loop: Header=BB2069_396 Depth=2
	s_wait_xcnt 0x0
	v_dual_mov_b32 v60, 0x7fff :: v_dual_mov_b32 v139, s53
	s_and_saveexec_b32 s17, s15
	s_cbranch_execz .LBB2069_432
; %bb.431:                              ;   in Loop: Header=BB2069_396 Depth=2
	v_lshl_add_u64 v[60:61], s[42:43], 1, v[26:27]
	v_mov_b32_e32 v139, s16
	global_load_u16 v60, v[60:61], off offset:960
.LBB2069_432:                           ;   in Loop: Header=BB2069_396 Depth=2
	s_wait_xcnt 0x0
	s_or_b32 exec_lo, exec_lo, s17
	s_wait_loadcnt 0xe
	v_cmp_lt_i16_e64 vcc_lo, -1, v140
	ds_store_2addr_b32 v121, v5, v5 offset1:1
	ds_store_2addr_b32 v118, v5, v5 offset1:1
	;; [unrolled: 1-line block ×4, first 2 shown]
	ds_store_b32 v91, v5 offset:1088
	s_wait_loadcnt_dscnt 0x0
	s_barrier_signal -1
	v_cndmask_b32_e64 v61, -1, 0xffff8000, vcc_lo
	s_barrier_wait -1
	; wave barrier
	s_delay_alu instid0(VALU_DEP_1) | instskip(NEXT) | instid1(VALU_DEP_1)
	v_xor_b32_e32 v140, v61, v140
	v_cmp_ne_u16_e64 vcc_lo, 0x7fff, v140
	v_cndmask_b32_e32 v61, 0xffff8000, v140, vcc_lo
	s_delay_alu instid0(VALU_DEP_1) | instskip(NEXT) | instid1(VALU_DEP_1)
	v_and_b32_e32 v61, 0xffff, v61
	v_lshrrev_b32_e32 v61, s48, v61
	s_delay_alu instid0(VALU_DEP_1) | instskip(SKIP_1) | instid1(VALU_DEP_2)
	v_bitop3_b32 v142, v61, 1, s52 bitop3:0x80
	v_and_b32_e32 v143, s52, v61
	v_add_co_u32 v61, s15, v142, -1
	s_delay_alu instid0(VALU_DEP_1) | instskip(NEXT) | instid1(VALU_DEP_3)
	v_cndmask_b32_e64 v142, 0, 1, s15
	v_lshlrev_b32_e32 v145, 30, v143
	s_delay_alu instid0(VALU_DEP_2) | instskip(NEXT) | instid1(VALU_DEP_2)
	v_cmp_ne_u32_e32 vcc_lo, 0, v142
	v_not_b32_e32 v142, v145
	s_delay_alu instid0(VALU_DEP_1) | instskip(SKIP_3) | instid1(VALU_DEP_4)
	v_dual_ashrrev_i32 v142, 31, v142 :: v_dual_lshlrev_b32 v146, 29, v143
	v_dual_lshlrev_b32 v147, 28, v143 :: v_dual_lshlrev_b32 v149, 27, v143
	v_lshlrev_b32_e32 v150, 26, v143
	v_cmp_gt_i32_e64 s15, 0, v145
	v_cmp_gt_i32_e64 s16, 0, v146
	v_not_b32_e32 v145, v146
	v_not_b32_e32 v146, v147
	v_dual_lshlrev_b32 v151, 25, v143 :: v_dual_lshlrev_b32 v153, 24, v143
	v_cmp_gt_i32_e64 s17, 0, v147
	v_cmp_gt_i32_e64 s18, 0, v149
	v_not_b32_e32 v147, v149
	v_not_b32_e32 v149, v150
	v_dual_ashrrev_i32 v146, 31, v146 :: v_dual_bitop2_b32 v61, vcc_lo, v61 bitop3:0x14
	v_dual_ashrrev_i32 v145, 31, v145 :: v_dual_bitop2_b32 v142, s15, v142 bitop3:0x14
	v_cmp_gt_i32_e64 s19, 0, v150
	v_cmp_gt_i32_e64 s20, 0, v151
	v_not_b32_e32 v150, v151
	v_not_b32_e32 v151, v153
	v_dual_ashrrev_i32 v147, 31, v147 :: v_dual_ashrrev_i32 v149, 31, v149
	v_xor_b32_e32 v145, s16, v145
	v_xor_b32_e32 v146, s17, v146
	v_bitop3_b32 v61, v61, v142, exec_lo bitop3:0x80
	v_cmp_gt_i32_e64 s21, 0, v153
	v_dual_ashrrev_i32 v142, 31, v150 :: v_dual_ashrrev_i32 v150, 31, v151
	v_xor_b32_e32 v147, s18, v147
	s_delay_alu instid0(VALU_DEP_4) | instskip(SKIP_3) | instid1(VALU_DEP_3)
	v_bitop3_b32 v61, v61, v146, v145 bitop3:0x80
	v_mul_u32_u24_e32 v143, 36, v143
	v_xor_b32_e32 v149, s19, v149
	v_xor_b32_e32 v142, s20, v142
	v_dual_add_nc_u32 v143, v23, v143 :: v_dual_bitop2_b32 v145, s21, v150 bitop3:0x14
	s_delay_alu instid0(VALU_DEP_3) | instskip(NEXT) | instid1(VALU_DEP_1)
	v_bitop3_b32 v61, v61, v149, v147 bitop3:0x80
	v_bitop3_b32 v61, v61, v145, v142 bitop3:0x80
	s_delay_alu instid0(VALU_DEP_1) | instskip(SKIP_1) | instid1(VALU_DEP_2)
	v_mbcnt_lo_u32_b32 v142, v61, 0
	v_cmp_ne_u32_e64 s15, 0, v61
	v_cmp_eq_u32_e32 vcc_lo, 0, v142
	s_and_b32 s16, s15, vcc_lo
	s_delay_alu instid0(SALU_CYCLE_1)
	s_and_saveexec_b32 s15, s16
; %bb.433:                              ;   in Loop: Header=BB2069_396 Depth=2
	v_bcnt_u32_b32 v61, v61, 0
	ds_store_b32 v143, v61 offset:1056
; %bb.434:                              ;   in Loop: Header=BB2069_396 Depth=2
	s_or_b32 exec_lo, exec_lo, s15
	v_cmp_lt_i16_e64 vcc_lo, -1, v141
	; wave barrier
	s_delay_alu instid0(VALU_DEP_1) | instskip(NEXT) | instid1(VALU_DEP_1)
	v_cndmask_b32_e64 v61, -1, 0xffff8000, vcc_lo
	v_xor_b32_e32 v141, v61, v141
	s_delay_alu instid0(VALU_DEP_1) | instskip(SKIP_1) | instid1(VALU_DEP_1)
	v_cmp_ne_u16_e64 vcc_lo, 0x7fff, v141
	v_cndmask_b32_e32 v61, 0xffff8000, v141, vcc_lo
	v_and_b32_e32 v61, 0xffff, v61
	s_delay_alu instid0(VALU_DEP_1) | instskip(NEXT) | instid1(VALU_DEP_1)
	v_lshrrev_b32_e32 v61, s48, v61
	v_and_b32_e32 v147, s52, v61
	s_delay_alu instid0(VALU_DEP_1) | instskip(SKIP_2) | instid1(VALU_DEP_3)
	v_lshlrev_b32_e32 v149, 29, v147
	v_bitop3_b32 v145, v61, 1, s52 bitop3:0x80
	v_lshlrev_b32_e32 v146, 30, v147
	v_cmp_gt_i32_e64 s16, 0, v149
	s_delay_alu instid0(VALU_DEP_3) | instskip(NEXT) | instid1(VALU_DEP_1)
	v_add_co_u32 v61, s15, v145, -1
	v_cndmask_b32_e64 v145, 0, 1, s15
	s_delay_alu instid0(VALU_DEP_4) | instskip(NEXT) | instid1(VALU_DEP_2)
	v_cmp_gt_i32_e64 s15, 0, v146
	v_cmp_ne_u32_e32 vcc_lo, 0, v145
	v_not_b32_e32 v145, v146
	v_not_b32_e32 v146, v149
	s_delay_alu instid0(VALU_DEP_1) | instskip(SKIP_2) | instid1(VALU_DEP_3)
	v_dual_ashrrev_i32 v146, 31, v146 :: v_dual_lshlrev_b32 v150, 28, v147
	v_dual_lshlrev_b32 v151, 27, v147 :: v_dual_lshlrev_b32 v153, 26, v147
	v_dual_lshlrev_b32 v154, 25, v147 :: v_dual_lshlrev_b32 v155, 24, v147
	v_cmp_gt_i32_e64 s17, 0, v150
	v_not_b32_e32 v149, v150
	s_delay_alu instid0(VALU_DEP_4)
	v_not_b32_e32 v150, v151
	v_ashrrev_i32_e32 v145, 31, v145
	v_cmp_gt_i32_e64 s18, 0, v151
	v_cmp_gt_i32_e64 s19, 0, v153
	v_not_b32_e32 v151, v153
	v_cmp_gt_i32_e64 s20, 0, v154
	v_not_b32_e32 v153, v154
	v_not_b32_e32 v154, v155
	s_delay_alu instid0(VALU_DEP_4) | instskip(SKIP_3) | instid1(VALU_DEP_3)
	v_dual_ashrrev_i32 v151, 31, v151 :: v_dual_bitop2_b32 v61, vcc_lo, v61 bitop3:0x14
	v_dual_ashrrev_i32 v149, 31, v149 :: v_dual_bitop2_b32 v146, s16, v146 bitop3:0x14
	v_dual_ashrrev_i32 v150, 31, v150 :: v_dual_bitop2_b32 v145, s15, v145 bitop3:0x14
	v_cmp_gt_i32_e64 s21, 0, v155
	v_xor_b32_e32 v149, s17, v149
	v_xor_b32_e32 v151, s19, v151
	s_delay_alu instid0(VALU_DEP_4) | instskip(SKIP_2) | instid1(VALU_DEP_2)
	v_xor_b32_e32 v150, s18, v150
	v_bitop3_b32 v61, v61, v145, exec_lo bitop3:0x80
	v_dual_ashrrev_i32 v145, 31, v153 :: v_dual_ashrrev_i32 v153, 31, v154
	v_bitop3_b32 v61, v61, v149, v146 bitop3:0x80
	v_mad_u32_u24 v146, v147, 36, v23
	s_delay_alu instid0(VALU_DEP_3) | instskip(NEXT) | instid1(VALU_DEP_4)
	v_xor_b32_e32 v149, s20, v145
	v_xor_b32_e32 v153, s21, v153
	v_mul_u32_u24_e32 v147, 36, v147
	v_bitop3_b32 v61, v61, v151, v150 bitop3:0x80
	ds_load_b32 v145, v146 offset:1056
	; wave barrier
	v_add_nc_u32_e32 v147, v23, v147
	v_bitop3_b32 v61, v61, v153, v149 bitop3:0x80
	s_delay_alu instid0(VALU_DEP_1) | instskip(SKIP_1) | instid1(VALU_DEP_2)
	v_mbcnt_lo_u32_b32 v146, v61, 0
	v_cmp_ne_u32_e64 s15, 0, v61
	v_cmp_eq_u32_e32 vcc_lo, 0, v146
	s_and_b32 s16, s15, vcc_lo
	s_delay_alu instid0(SALU_CYCLE_1)
	s_and_saveexec_b32 s15, s16
	s_cbranch_execz .LBB2069_436
; %bb.435:                              ;   in Loop: Header=BB2069_396 Depth=2
	s_wait_dscnt 0x0
	v_bcnt_u32_b32 v61, v61, v145
	ds_store_b32 v147, v61 offset:1056
.LBB2069_436:                           ;   in Loop: Header=BB2069_396 Depth=2
	s_or_b32 exec_lo, exec_lo, s15
	v_cmp_lt_i16_e64 vcc_lo, -1, v144
	; wave barrier
	s_delay_alu instid0(VALU_DEP_1) | instskip(NEXT) | instid1(VALU_DEP_1)
	v_cndmask_b32_e64 v61, -1, 0xffff8000, vcc_lo
	v_xor_b32_e32 v144, v61, v144
	s_delay_alu instid0(VALU_DEP_1) | instskip(SKIP_1) | instid1(VALU_DEP_1)
	v_cmp_ne_u16_e64 vcc_lo, 0x7fff, v144
	v_cndmask_b32_e32 v61, 0xffff8000, v144, vcc_lo
	v_and_b32_e32 v61, 0xffff, v61
	s_delay_alu instid0(VALU_DEP_1) | instskip(NEXT) | instid1(VALU_DEP_1)
	v_lshrrev_b32_e32 v61, s48, v61
	v_bitop3_b32 v149, v61, 1, s52 bitop3:0x80
	v_and_b32_e32 v151, s52, v61
	s_delay_alu instid0(VALU_DEP_2) | instskip(NEXT) | instid1(VALU_DEP_1)
	v_add_co_u32 v61, s15, v149, -1
	v_cndmask_b32_e64 v149, 0, 1, s15
	s_delay_alu instid0(VALU_DEP_3) | instskip(NEXT) | instid1(VALU_DEP_2)
	v_dual_lshlrev_b32 v150, 30, v151 :: v_dual_lshlrev_b32 v153, 29, v151
	v_cmp_ne_u32_e32 vcc_lo, 0, v149
	s_delay_alu instid0(VALU_DEP_2) | instskip(SKIP_1) | instid1(VALU_DEP_4)
	v_cmp_gt_i32_e64 s15, 0, v150
	v_not_b32_e32 v149, v150
	v_not_b32_e32 v150, v153
	s_delay_alu instid0(VALU_DEP_1) | instskip(SKIP_3) | instid1(VALU_DEP_4)
	v_dual_ashrrev_i32 v150, 31, v150 :: v_dual_lshlrev_b32 v154, 28, v151
	v_dual_lshlrev_b32 v155, 27, v151 :: v_dual_lshlrev_b32 v157, 26, v151
	v_dual_lshlrev_b32 v158, 25, v151 :: v_dual_lshlrev_b32 v159, 24, v151
	v_cmp_gt_i32_e64 s16, 0, v153
	v_cmp_gt_i32_e64 s17, 0, v154
	v_not_b32_e32 v153, v154
	v_not_b32_e32 v154, v155
	v_ashrrev_i32_e32 v149, 31, v149
	v_cmp_gt_i32_e64 s18, 0, v155
	v_cmp_gt_i32_e64 s19, 0, v157
	v_not_b32_e32 v155, v157
	v_cmp_gt_i32_e64 s20, 0, v158
	v_not_b32_e32 v157, v158
	v_not_b32_e32 v158, v159
	s_delay_alu instid0(VALU_DEP_4) | instskip(SKIP_3) | instid1(VALU_DEP_3)
	v_dual_ashrrev_i32 v155, 31, v155 :: v_dual_bitop2_b32 v61, vcc_lo, v61 bitop3:0x14
	v_dual_ashrrev_i32 v153, 31, v153 :: v_dual_bitop2_b32 v150, s16, v150 bitop3:0x14
	v_dual_ashrrev_i32 v154, 31, v154 :: v_dual_bitop2_b32 v149, s15, v149 bitop3:0x14
	v_cmp_gt_i32_e64 s21, 0, v159
	v_xor_b32_e32 v153, s17, v153
	v_xor_b32_e32 v155, s19, v155
	s_delay_alu instid0(VALU_DEP_4) | instskip(SKIP_2) | instid1(VALU_DEP_2)
	v_xor_b32_e32 v154, s18, v154
	v_bitop3_b32 v61, v61, v149, exec_lo bitop3:0x80
	v_dual_ashrrev_i32 v149, 31, v157 :: v_dual_ashrrev_i32 v157, 31, v158
	v_bitop3_b32 v61, v61, v153, v150 bitop3:0x80
	v_mad_u32_u24 v150, v151, 36, v23
	s_delay_alu instid0(VALU_DEP_3) | instskip(NEXT) | instid1(VALU_DEP_4)
	v_xor_b32_e32 v153, s20, v149
	v_xor_b32_e32 v157, s21, v157
	v_mul_u32_u24_e32 v151, 36, v151
	v_bitop3_b32 v61, v61, v155, v154 bitop3:0x80
	ds_load_b32 v149, v150 offset:1056
	; wave barrier
	v_add_nc_u32_e32 v151, v23, v151
	v_bitop3_b32 v61, v61, v157, v153 bitop3:0x80
	s_delay_alu instid0(VALU_DEP_1) | instskip(SKIP_1) | instid1(VALU_DEP_2)
	v_mbcnt_lo_u32_b32 v150, v61, 0
	v_cmp_ne_u32_e64 s15, 0, v61
	v_cmp_eq_u32_e32 vcc_lo, 0, v150
	s_and_b32 s16, s15, vcc_lo
	s_delay_alu instid0(SALU_CYCLE_1)
	s_and_saveexec_b32 s15, s16
	s_cbranch_execz .LBB2069_438
; %bb.437:                              ;   in Loop: Header=BB2069_396 Depth=2
	s_wait_dscnt 0x0
	v_bcnt_u32_b32 v61, v61, v149
	ds_store_b32 v151, v61 offset:1056
.LBB2069_438:                           ;   in Loop: Header=BB2069_396 Depth=2
	s_or_b32 exec_lo, exec_lo, s15
	v_cmp_lt_i16_e64 vcc_lo, -1, v148
	; wave barrier
	s_delay_alu instid0(VALU_DEP_1) | instskip(NEXT) | instid1(VALU_DEP_1)
	v_cndmask_b32_e64 v61, -1, 0xffff8000, vcc_lo
	v_xor_b32_e32 v148, v61, v148
	s_delay_alu instid0(VALU_DEP_1) | instskip(SKIP_1) | instid1(VALU_DEP_1)
	v_cmp_ne_u16_e64 vcc_lo, 0x7fff, v148
	v_cndmask_b32_e32 v61, 0xffff8000, v148, vcc_lo
	v_and_b32_e32 v61, 0xffff, v61
	s_delay_alu instid0(VALU_DEP_1) | instskip(NEXT) | instid1(VALU_DEP_1)
	v_lshrrev_b32_e32 v61, s48, v61
	v_bitop3_b32 v153, v61, 1, s52 bitop3:0x80
	v_and_b32_e32 v155, s52, v61
	s_delay_alu instid0(VALU_DEP_2) | instskip(NEXT) | instid1(VALU_DEP_1)
	v_add_co_u32 v61, s15, v153, -1
	v_cndmask_b32_e64 v153, 0, 1, s15
	s_delay_alu instid0(VALU_DEP_3) | instskip(NEXT) | instid1(VALU_DEP_2)
	v_dual_lshlrev_b32 v154, 30, v155 :: v_dual_lshlrev_b32 v157, 29, v155
	v_cmp_ne_u32_e32 vcc_lo, 0, v153
	s_delay_alu instid0(VALU_DEP_2) | instskip(SKIP_1) | instid1(VALU_DEP_4)
	v_cmp_gt_i32_e64 s15, 0, v154
	v_not_b32_e32 v153, v154
	v_not_b32_e32 v154, v157
	s_delay_alu instid0(VALU_DEP_1) | instskip(SKIP_3) | instid1(VALU_DEP_4)
	v_dual_ashrrev_i32 v154, 31, v154 :: v_dual_lshlrev_b32 v158, 28, v155
	v_dual_lshlrev_b32 v159, 27, v155 :: v_dual_lshlrev_b32 v161, 26, v155
	v_dual_lshlrev_b32 v162, 25, v155 :: v_dual_lshlrev_b32 v163, 24, v155
	v_cmp_gt_i32_e64 s16, 0, v157
	v_cmp_gt_i32_e64 s17, 0, v158
	v_not_b32_e32 v157, v158
	v_not_b32_e32 v158, v159
	v_ashrrev_i32_e32 v153, 31, v153
	v_cmp_gt_i32_e64 s18, 0, v159
	v_cmp_gt_i32_e64 s19, 0, v161
	v_not_b32_e32 v159, v161
	v_cmp_gt_i32_e64 s20, 0, v162
	v_not_b32_e32 v161, v162
	v_not_b32_e32 v162, v163
	s_delay_alu instid0(VALU_DEP_4) | instskip(SKIP_3) | instid1(VALU_DEP_3)
	v_dual_ashrrev_i32 v159, 31, v159 :: v_dual_bitop2_b32 v61, vcc_lo, v61 bitop3:0x14
	v_dual_ashrrev_i32 v157, 31, v157 :: v_dual_bitop2_b32 v154, s16, v154 bitop3:0x14
	v_dual_ashrrev_i32 v158, 31, v158 :: v_dual_bitop2_b32 v153, s15, v153 bitop3:0x14
	v_cmp_gt_i32_e64 s21, 0, v163
	v_xor_b32_e32 v157, s17, v157
	v_xor_b32_e32 v159, s19, v159
	s_delay_alu instid0(VALU_DEP_4) | instskip(SKIP_2) | instid1(VALU_DEP_2)
	v_xor_b32_e32 v158, s18, v158
	v_bitop3_b32 v61, v61, v153, exec_lo bitop3:0x80
	v_dual_ashrrev_i32 v153, 31, v161 :: v_dual_ashrrev_i32 v161, 31, v162
	v_bitop3_b32 v61, v61, v157, v154 bitop3:0x80
	v_mad_u32_u24 v154, v155, 36, v23
	s_delay_alu instid0(VALU_DEP_3) | instskip(NEXT) | instid1(VALU_DEP_4)
	v_xor_b32_e32 v157, s20, v153
	v_xor_b32_e32 v161, s21, v161
	v_mul_u32_u24_e32 v155, 36, v155
	v_bitop3_b32 v61, v61, v159, v158 bitop3:0x80
	ds_load_b32 v153, v154 offset:1056
	; wave barrier
	v_add_nc_u32_e32 v155, v23, v155
	v_bitop3_b32 v61, v61, v161, v157 bitop3:0x80
	s_delay_alu instid0(VALU_DEP_1) | instskip(SKIP_1) | instid1(VALU_DEP_2)
	v_mbcnt_lo_u32_b32 v154, v61, 0
	v_cmp_ne_u32_e64 s15, 0, v61
	v_cmp_eq_u32_e32 vcc_lo, 0, v154
	s_and_b32 s16, s15, vcc_lo
	s_delay_alu instid0(SALU_CYCLE_1)
	s_and_saveexec_b32 s15, s16
	s_cbranch_execz .LBB2069_440
; %bb.439:                              ;   in Loop: Header=BB2069_396 Depth=2
	s_wait_dscnt 0x0
	v_bcnt_u32_b32 v61, v61, v153
	ds_store_b32 v155, v61 offset:1056
.LBB2069_440:                           ;   in Loop: Header=BB2069_396 Depth=2
	s_or_b32 exec_lo, exec_lo, s15
	v_cmp_lt_i16_e64 vcc_lo, -1, v152
	; wave barrier
	s_delay_alu instid0(VALU_DEP_1) | instskip(NEXT) | instid1(VALU_DEP_1)
	v_cndmask_b32_e64 v61, -1, 0xffff8000, vcc_lo
	v_xor_b32_e32 v152, v61, v152
	s_delay_alu instid0(VALU_DEP_1) | instskip(SKIP_1) | instid1(VALU_DEP_1)
	v_cmp_ne_u16_e64 vcc_lo, 0x7fff, v152
	v_cndmask_b32_e32 v61, 0xffff8000, v152, vcc_lo
	v_and_b32_e32 v61, 0xffff, v61
	s_delay_alu instid0(VALU_DEP_1) | instskip(NEXT) | instid1(VALU_DEP_1)
	v_lshrrev_b32_e32 v61, s48, v61
	v_bitop3_b32 v157, v61, 1, s52 bitop3:0x80
	v_and_b32_e32 v159, s52, v61
	s_delay_alu instid0(VALU_DEP_2) | instskip(NEXT) | instid1(VALU_DEP_1)
	v_add_co_u32 v61, s15, v157, -1
	v_cndmask_b32_e64 v157, 0, 1, s15
	s_delay_alu instid0(VALU_DEP_3) | instskip(NEXT) | instid1(VALU_DEP_2)
	v_dual_lshlrev_b32 v158, 30, v159 :: v_dual_lshlrev_b32 v161, 29, v159
	v_cmp_ne_u32_e32 vcc_lo, 0, v157
	s_delay_alu instid0(VALU_DEP_2) | instskip(SKIP_1) | instid1(VALU_DEP_4)
	v_cmp_gt_i32_e64 s15, 0, v158
	v_not_b32_e32 v157, v158
	v_not_b32_e32 v158, v161
	s_delay_alu instid0(VALU_DEP_1) | instskip(SKIP_3) | instid1(VALU_DEP_4)
	v_dual_ashrrev_i32 v158, 31, v158 :: v_dual_lshlrev_b32 v162, 28, v159
	v_dual_lshlrev_b32 v163, 27, v159 :: v_dual_lshlrev_b32 v165, 26, v159
	v_dual_lshlrev_b32 v166, 25, v159 :: v_dual_lshlrev_b32 v167, 24, v159
	v_cmp_gt_i32_e64 s16, 0, v161
	v_cmp_gt_i32_e64 s17, 0, v162
	v_not_b32_e32 v161, v162
	v_not_b32_e32 v162, v163
	v_ashrrev_i32_e32 v157, 31, v157
	v_cmp_gt_i32_e64 s18, 0, v163
	v_cmp_gt_i32_e64 s19, 0, v165
	v_not_b32_e32 v163, v165
	v_cmp_gt_i32_e64 s20, 0, v166
	v_not_b32_e32 v165, v166
	v_not_b32_e32 v166, v167
	s_delay_alu instid0(VALU_DEP_4) | instskip(SKIP_3) | instid1(VALU_DEP_3)
	v_dual_ashrrev_i32 v163, 31, v163 :: v_dual_bitop2_b32 v61, vcc_lo, v61 bitop3:0x14
	v_dual_ashrrev_i32 v161, 31, v161 :: v_dual_bitop2_b32 v158, s16, v158 bitop3:0x14
	v_dual_ashrrev_i32 v162, 31, v162 :: v_dual_bitop2_b32 v157, s15, v157 bitop3:0x14
	v_cmp_gt_i32_e64 s21, 0, v167
	v_xor_b32_e32 v161, s17, v161
	v_xor_b32_e32 v163, s19, v163
	s_delay_alu instid0(VALU_DEP_4) | instskip(SKIP_2) | instid1(VALU_DEP_2)
	v_xor_b32_e32 v162, s18, v162
	v_bitop3_b32 v61, v61, v157, exec_lo bitop3:0x80
	v_dual_ashrrev_i32 v157, 31, v165 :: v_dual_ashrrev_i32 v165, 31, v166
	v_bitop3_b32 v61, v61, v161, v158 bitop3:0x80
	v_mad_u32_u24 v158, v159, 36, v23
	s_delay_alu instid0(VALU_DEP_3) | instskip(NEXT) | instid1(VALU_DEP_4)
	v_xor_b32_e32 v161, s20, v157
	v_xor_b32_e32 v165, s21, v165
	v_mul_u32_u24_e32 v159, 36, v159
	v_bitop3_b32 v61, v61, v163, v162 bitop3:0x80
	ds_load_b32 v157, v158 offset:1056
	; wave barrier
	v_add_nc_u32_e32 v159, v23, v159
	v_bitop3_b32 v61, v61, v165, v161 bitop3:0x80
	s_delay_alu instid0(VALU_DEP_1) | instskip(SKIP_1) | instid1(VALU_DEP_2)
	v_mbcnt_lo_u32_b32 v158, v61, 0
	v_cmp_ne_u32_e64 s15, 0, v61
	v_cmp_eq_u32_e32 vcc_lo, 0, v158
	s_and_b32 s16, s15, vcc_lo
	s_delay_alu instid0(SALU_CYCLE_1)
	s_and_saveexec_b32 s15, s16
	s_cbranch_execz .LBB2069_442
; %bb.441:                              ;   in Loop: Header=BB2069_396 Depth=2
	s_wait_dscnt 0x0
	v_bcnt_u32_b32 v61, v61, v157
	ds_store_b32 v159, v61 offset:1056
.LBB2069_442:                           ;   in Loop: Header=BB2069_396 Depth=2
	s_or_b32 exec_lo, exec_lo, s15
	v_cmp_lt_i16_e64 vcc_lo, -1, v156
	; wave barrier
	s_delay_alu instid0(VALU_DEP_1) | instskip(NEXT) | instid1(VALU_DEP_1)
	v_cndmask_b32_e64 v61, -1, 0xffff8000, vcc_lo
	v_xor_b32_e32 v156, v61, v156
	s_delay_alu instid0(VALU_DEP_1) | instskip(SKIP_1) | instid1(VALU_DEP_1)
	v_cmp_ne_u16_e64 vcc_lo, 0x7fff, v156
	v_cndmask_b32_e32 v61, 0xffff8000, v156, vcc_lo
	v_and_b32_e32 v61, 0xffff, v61
	s_delay_alu instid0(VALU_DEP_1) | instskip(NEXT) | instid1(VALU_DEP_1)
	v_lshrrev_b32_e32 v61, s48, v61
	v_bitop3_b32 v161, v61, 1, s52 bitop3:0x80
	v_and_b32_e32 v163, s52, v61
	s_delay_alu instid0(VALU_DEP_2) | instskip(NEXT) | instid1(VALU_DEP_1)
	v_add_co_u32 v61, s15, v161, -1
	v_cndmask_b32_e64 v161, 0, 1, s15
	s_delay_alu instid0(VALU_DEP_3) | instskip(NEXT) | instid1(VALU_DEP_2)
	v_dual_lshlrev_b32 v162, 30, v163 :: v_dual_lshlrev_b32 v165, 29, v163
	v_cmp_ne_u32_e32 vcc_lo, 0, v161
	s_delay_alu instid0(VALU_DEP_2) | instskip(SKIP_1) | instid1(VALU_DEP_4)
	v_cmp_gt_i32_e64 s15, 0, v162
	v_not_b32_e32 v161, v162
	v_not_b32_e32 v162, v165
	s_delay_alu instid0(VALU_DEP_1) | instskip(SKIP_3) | instid1(VALU_DEP_4)
	v_dual_ashrrev_i32 v162, 31, v162 :: v_dual_lshlrev_b32 v166, 28, v163
	v_dual_lshlrev_b32 v167, 27, v163 :: v_dual_lshlrev_b32 v169, 26, v163
	v_dual_lshlrev_b32 v170, 25, v163 :: v_dual_lshlrev_b32 v171, 24, v163
	v_cmp_gt_i32_e64 s16, 0, v165
	v_cmp_gt_i32_e64 s17, 0, v166
	v_not_b32_e32 v165, v166
	v_not_b32_e32 v166, v167
	v_ashrrev_i32_e32 v161, 31, v161
	v_cmp_gt_i32_e64 s18, 0, v167
	v_cmp_gt_i32_e64 s19, 0, v169
	v_not_b32_e32 v167, v169
	v_cmp_gt_i32_e64 s20, 0, v170
	v_not_b32_e32 v169, v170
	v_not_b32_e32 v170, v171
	s_delay_alu instid0(VALU_DEP_4) | instskip(SKIP_3) | instid1(VALU_DEP_3)
	v_dual_ashrrev_i32 v167, 31, v167 :: v_dual_bitop2_b32 v61, vcc_lo, v61 bitop3:0x14
	v_dual_ashrrev_i32 v165, 31, v165 :: v_dual_bitop2_b32 v162, s16, v162 bitop3:0x14
	v_dual_ashrrev_i32 v166, 31, v166 :: v_dual_bitop2_b32 v161, s15, v161 bitop3:0x14
	v_cmp_gt_i32_e64 s21, 0, v171
	v_xor_b32_e32 v165, s17, v165
	v_xor_b32_e32 v167, s19, v167
	s_delay_alu instid0(VALU_DEP_4) | instskip(SKIP_2) | instid1(VALU_DEP_2)
	v_xor_b32_e32 v166, s18, v166
	v_bitop3_b32 v61, v61, v161, exec_lo bitop3:0x80
	v_dual_ashrrev_i32 v161, 31, v169 :: v_dual_ashrrev_i32 v169, 31, v170
	v_bitop3_b32 v61, v61, v165, v162 bitop3:0x80
	v_mad_u32_u24 v162, v163, 36, v23
	s_delay_alu instid0(VALU_DEP_3) | instskip(NEXT) | instid1(VALU_DEP_4)
	v_xor_b32_e32 v165, s20, v161
	v_xor_b32_e32 v169, s21, v169
	v_mul_u32_u24_e32 v163, 36, v163
	v_bitop3_b32 v61, v61, v167, v166 bitop3:0x80
	ds_load_b32 v161, v162 offset:1056
	; wave barrier
	v_add_nc_u32_e32 v163, v23, v163
	v_bitop3_b32 v61, v61, v169, v165 bitop3:0x80
	s_delay_alu instid0(VALU_DEP_1) | instskip(SKIP_1) | instid1(VALU_DEP_2)
	v_mbcnt_lo_u32_b32 v162, v61, 0
	v_cmp_ne_u32_e64 s15, 0, v61
	v_cmp_eq_u32_e32 vcc_lo, 0, v162
	s_and_b32 s16, s15, vcc_lo
	s_delay_alu instid0(SALU_CYCLE_1)
	s_and_saveexec_b32 s15, s16
	s_cbranch_execz .LBB2069_444
; %bb.443:                              ;   in Loop: Header=BB2069_396 Depth=2
	s_wait_dscnt 0x0
	v_bcnt_u32_b32 v61, v61, v161
	ds_store_b32 v163, v61 offset:1056
.LBB2069_444:                           ;   in Loop: Header=BB2069_396 Depth=2
	s_or_b32 exec_lo, exec_lo, s15
	v_cmp_lt_i16_e64 vcc_lo, -1, v160
	; wave barrier
	s_delay_alu instid0(VALU_DEP_1) | instskip(NEXT) | instid1(VALU_DEP_1)
	v_cndmask_b32_e64 v61, -1, 0xffff8000, vcc_lo
	v_xor_b32_e32 v160, v61, v160
	s_delay_alu instid0(VALU_DEP_1) | instskip(SKIP_1) | instid1(VALU_DEP_1)
	v_cmp_ne_u16_e64 vcc_lo, 0x7fff, v160
	v_cndmask_b32_e32 v61, 0xffff8000, v160, vcc_lo
	v_and_b32_e32 v61, 0xffff, v61
	s_delay_alu instid0(VALU_DEP_1) | instskip(NEXT) | instid1(VALU_DEP_1)
	v_lshrrev_b32_e32 v61, s48, v61
	v_bitop3_b32 v165, v61, 1, s52 bitop3:0x80
	v_and_b32_e32 v167, s52, v61
	s_delay_alu instid0(VALU_DEP_2) | instskip(NEXT) | instid1(VALU_DEP_1)
	v_add_co_u32 v61, s15, v165, -1
	v_cndmask_b32_e64 v165, 0, 1, s15
	s_delay_alu instid0(VALU_DEP_3) | instskip(NEXT) | instid1(VALU_DEP_2)
	v_dual_lshlrev_b32 v166, 30, v167 :: v_dual_lshlrev_b32 v169, 29, v167
	v_cmp_ne_u32_e32 vcc_lo, 0, v165
	s_delay_alu instid0(VALU_DEP_2) | instskip(SKIP_1) | instid1(VALU_DEP_4)
	v_cmp_gt_i32_e64 s15, 0, v166
	v_not_b32_e32 v165, v166
	v_not_b32_e32 v166, v169
	s_delay_alu instid0(VALU_DEP_1) | instskip(SKIP_3) | instid1(VALU_DEP_4)
	v_dual_ashrrev_i32 v166, 31, v166 :: v_dual_lshlrev_b32 v170, 28, v167
	v_dual_lshlrev_b32 v171, 27, v167 :: v_dual_lshlrev_b32 v172, 26, v167
	v_cmp_gt_i32_e64 s16, 0, v169
	v_dual_lshlrev_b32 v173, 25, v167 :: v_dual_lshlrev_b32 v174, 24, v167
	v_cmp_gt_i32_e64 s17, 0, v170
	v_not_b32_e32 v169, v170
	v_not_b32_e32 v170, v171
	v_ashrrev_i32_e32 v165, 31, v165
	v_cmp_gt_i32_e64 s18, 0, v171
	v_not_b32_e32 v171, v172
	v_xor_b32_e32 v61, vcc_lo, v61
	v_dual_ashrrev_i32 v169, 31, v169 :: v_dual_bitop2_b32 v166, s16, v166 bitop3:0x14
	v_dual_ashrrev_i32 v170, 31, v170 :: v_dual_bitop2_b32 v165, s15, v165 bitop3:0x14
	v_cmp_gt_i32_e64 s19, 0, v172
	v_cmp_gt_i32_e64 s20, 0, v173
	v_not_b32_e32 v172, v173
	v_not_b32_e32 v173, v174
	v_dual_ashrrev_i32 v171, 31, v171 :: v_dual_bitop2_b32 v169, s17, v169 bitop3:0x14
	v_bitop3_b32 v61, v61, v165, exec_lo bitop3:0x80
	v_cmp_gt_i32_e64 s21, 0, v174
	s_delay_alu instid0(VALU_DEP_4)
	v_dual_ashrrev_i32 v165, 31, v172 :: v_dual_ashrrev_i32 v172, 31, v173
	v_xor_b32_e32 v170, s18, v170
	v_xor_b32_e32 v171, s19, v171
	v_bitop3_b32 v61, v61, v169, v166 bitop3:0x80
	v_mad_u32_u24 v166, v167, 36, v23
	v_xor_b32_e32 v169, s20, v165
	v_xor_b32_e32 v172, s21, v172
	v_mul_u32_u24_e32 v167, 36, v167
	v_bitop3_b32 v61, v61, v171, v170 bitop3:0x80
	ds_load_b32 v165, v166 offset:1056
	; wave barrier
	v_add_nc_u32_e32 v167, v23, v167
	v_bitop3_b32 v61, v61, v172, v169 bitop3:0x80
	s_delay_alu instid0(VALU_DEP_1) | instskip(SKIP_1) | instid1(VALU_DEP_2)
	v_mbcnt_lo_u32_b32 v166, v61, 0
	v_cmp_ne_u32_e64 s15, 0, v61
	v_cmp_eq_u32_e32 vcc_lo, 0, v166
	s_and_b32 s16, s15, vcc_lo
	s_delay_alu instid0(SALU_CYCLE_1)
	s_and_saveexec_b32 s15, s16
	s_cbranch_execz .LBB2069_446
; %bb.445:                              ;   in Loop: Header=BB2069_396 Depth=2
	s_wait_dscnt 0x0
	v_bcnt_u32_b32 v61, v61, v165
	ds_store_b32 v167, v61 offset:1056
.LBB2069_446:                           ;   in Loop: Header=BB2069_396 Depth=2
	s_or_b32 exec_lo, exec_lo, s15
	v_cmp_lt_i16_e64 vcc_lo, -1, v164
	; wave barrier
	s_delay_alu instid0(VALU_DEP_1) | instskip(NEXT) | instid1(VALU_DEP_1)
	v_cndmask_b32_e64 v61, -1, 0xffff8000, vcc_lo
	v_xor_b32_e32 v164, v61, v164
	s_delay_alu instid0(VALU_DEP_1) | instskip(SKIP_1) | instid1(VALU_DEP_1)
	v_cmp_ne_u16_e64 vcc_lo, 0x7fff, v164
	v_cndmask_b32_e32 v61, 0xffff8000, v164, vcc_lo
	v_and_b32_e32 v61, 0xffff, v61
	s_delay_alu instid0(VALU_DEP_1) | instskip(NEXT) | instid1(VALU_DEP_1)
	v_lshrrev_b32_e32 v61, s48, v61
	v_bitop3_b32 v169, v61, 1, s52 bitop3:0x80
	v_and_b32_e32 v171, s52, v61
	s_delay_alu instid0(VALU_DEP_2) | instskip(NEXT) | instid1(VALU_DEP_1)
	v_add_co_u32 v61, s15, v169, -1
	v_cndmask_b32_e64 v169, 0, 1, s15
	s_delay_alu instid0(VALU_DEP_3) | instskip(NEXT) | instid1(VALU_DEP_2)
	v_dual_lshlrev_b32 v170, 30, v171 :: v_dual_lshlrev_b32 v172, 29, v171
	v_cmp_ne_u32_e32 vcc_lo, 0, v169
	s_delay_alu instid0(VALU_DEP_2) | instskip(SKIP_1) | instid1(VALU_DEP_4)
	v_cmp_gt_i32_e64 s15, 0, v170
	v_not_b32_e32 v169, v170
	v_not_b32_e32 v170, v172
	s_delay_alu instid0(VALU_DEP_1) | instskip(SKIP_3) | instid1(VALU_DEP_4)
	v_dual_ashrrev_i32 v170, 31, v170 :: v_dual_lshlrev_b32 v173, 28, v171
	v_dual_lshlrev_b32 v174, 27, v171 :: v_dual_lshlrev_b32 v175, 26, v171
	v_dual_lshlrev_b32 v176, 25, v171 :: v_dual_lshlrev_b32 v177, 24, v171
	v_cmp_gt_i32_e64 s16, 0, v172
	v_not_b32_e32 v172, v173
	v_ashrrev_i32_e32 v169, 31, v169
	v_cmp_gt_i32_e64 s17, 0, v173
	v_cmp_gt_i32_e64 s18, 0, v174
	v_not_b32_e32 v173, v174
	v_cmp_gt_i32_e64 s19, 0, v175
	v_not_b32_e32 v174, v175
	v_cmp_gt_i32_e64 s20, 0, v176
	v_not_b32_e32 v175, v176
	v_not_b32_e32 v176, v177
	s_delay_alu instid0(VALU_DEP_4) | instskip(SKIP_3) | instid1(VALU_DEP_3)
	v_dual_ashrrev_i32 v174, 31, v174 :: v_dual_bitop2_b32 v61, vcc_lo, v61 bitop3:0x14
	v_dual_ashrrev_i32 v172, 31, v172 :: v_dual_bitop2_b32 v169, s15, v169 bitop3:0x14
	v_dual_ashrrev_i32 v173, 31, v173 :: v_dual_bitop2_b32 v170, s16, v170 bitop3:0x14
	v_cmp_gt_i32_e64 s21, 0, v177
	v_xor_b32_e32 v172, s17, v172
	s_delay_alu instid0(VALU_DEP_4) | instskip(SKIP_2) | instid1(VALU_DEP_3)
	v_bitop3_b32 v61, v61, v169, exec_lo bitop3:0x80
	v_dual_ashrrev_i32 v169, 31, v175 :: v_dual_ashrrev_i32 v175, 31, v176
	v_xor_b32_e32 v174, s19, v174
	v_bitop3_b32 v61, v61, v172, v170 bitop3:0x80
	v_mad_u32_u24 v170, v171, 36, v23
	v_mul_u32_u24_e32 v171, 36, v171
	v_xor_b32_e32 v173, s18, v173
	v_xor_b32_e32 v172, s20, v169
	;; [unrolled: 1-line block ×3, first 2 shown]
	ds_load_b32 v169, v170 offset:1056
	v_add_nc_u32_e32 v171, v23, v171
	v_bitop3_b32 v61, v61, v174, v173 bitop3:0x80
	; wave barrier
	s_delay_alu instid0(VALU_DEP_1) | instskip(NEXT) | instid1(VALU_DEP_1)
	v_bitop3_b32 v61, v61, v175, v172 bitop3:0x80
	v_mbcnt_lo_u32_b32 v170, v61, 0
	v_cmp_ne_u32_e64 s15, 0, v61
	s_delay_alu instid0(VALU_DEP_2) | instskip(SKIP_1) | instid1(SALU_CYCLE_1)
	v_cmp_eq_u32_e32 vcc_lo, 0, v170
	s_and_b32 s16, s15, vcc_lo
	s_and_saveexec_b32 s15, s16
	s_cbranch_execz .LBB2069_448
; %bb.447:                              ;   in Loop: Header=BB2069_396 Depth=2
	s_wait_dscnt 0x0
	v_bcnt_u32_b32 v61, v61, v169
	ds_store_b32 v171, v61 offset:1056
.LBB2069_448:                           ;   in Loop: Header=BB2069_396 Depth=2
	s_or_b32 exec_lo, exec_lo, s15
	v_cmp_lt_i16_e64 vcc_lo, -1, v168
	; wave barrier
	s_delay_alu instid0(VALU_DEP_1) | instskip(NEXT) | instid1(VALU_DEP_1)
	v_cndmask_b32_e64 v61, -1, 0xffff8000, vcc_lo
	v_xor_b32_e32 v168, v61, v168
	s_delay_alu instid0(VALU_DEP_1) | instskip(SKIP_1) | instid1(VALU_DEP_1)
	v_cmp_ne_u16_e64 vcc_lo, 0x7fff, v168
	v_cndmask_b32_e32 v61, 0xffff8000, v168, vcc_lo
	v_and_b32_e32 v61, 0xffff, v61
	s_delay_alu instid0(VALU_DEP_1) | instskip(NEXT) | instid1(VALU_DEP_1)
	v_lshrrev_b32_e32 v61, s48, v61
	v_bitop3_b32 v172, v61, 1, s52 bitop3:0x80
	v_and_b32_e32 v175, s52, v61
	s_delay_alu instid0(VALU_DEP_2) | instskip(NEXT) | instid1(VALU_DEP_1)
	v_add_co_u32 v61, s15, v172, -1
	v_cndmask_b32_e64 v172, 0, 1, s15
	s_delay_alu instid0(VALU_DEP_3) | instskip(NEXT) | instid1(VALU_DEP_2)
	v_lshlrev_b32_e32 v173, 30, v175
	v_cmp_ne_u32_e32 vcc_lo, 0, v172
	s_delay_alu instid0(VALU_DEP_2) | instskip(NEXT) | instid1(VALU_DEP_1)
	v_not_b32_e32 v172, v173
	v_dual_ashrrev_i32 v172, 31, v172 :: v_dual_lshlrev_b32 v174, 29, v175
	v_dual_lshlrev_b32 v176, 28, v175 :: v_dual_lshlrev_b32 v177, 27, v175
	v_lshlrev_b32_e32 v178, 26, v175
	v_cmp_gt_i32_e64 s15, 0, v173
	s_delay_alu instid0(VALU_DEP_4)
	v_cmp_gt_i32_e64 s16, 0, v174
	v_not_b32_e32 v173, v174
	v_not_b32_e32 v174, v176
	v_dual_lshlrev_b32 v179, 25, v175 :: v_dual_lshlrev_b32 v180, 24, v175
	v_cmp_gt_i32_e64 s17, 0, v176
	v_cmp_gt_i32_e64 s18, 0, v177
	v_not_b32_e32 v176, v177
	v_not_b32_e32 v177, v178
	v_dual_ashrrev_i32 v174, 31, v174 :: v_dual_bitop2_b32 v61, vcc_lo, v61 bitop3:0x14
	v_dual_ashrrev_i32 v173, 31, v173 :: v_dual_bitop2_b32 v172, s15, v172 bitop3:0x14
	v_cmp_gt_i32_e64 s19, 0, v178
	v_cmp_gt_i32_e64 s20, 0, v179
	v_not_b32_e32 v178, v179
	v_not_b32_e32 v179, v180
	v_dual_ashrrev_i32 v176, 31, v176 :: v_dual_ashrrev_i32 v177, 31, v177
	v_xor_b32_e32 v173, s16, v173
	v_xor_b32_e32 v174, s17, v174
	v_bitop3_b32 v61, v61, v172, exec_lo bitop3:0x80
	v_cmp_gt_i32_e64 s21, 0, v180
	v_dual_ashrrev_i32 v172, 31, v178 :: v_dual_ashrrev_i32 v178, 31, v179
	v_xor_b32_e32 v176, s18, v176
	v_xor_b32_e32 v177, s19, v177
	v_bitop3_b32 v61, v61, v174, v173 bitop3:0x80
	v_mad_u32_u24 v173, v175, 36, v23
	v_xor_b32_e32 v172, s20, v172
	v_xor_b32_e32 v174, s21, v178
	s_delay_alu instid0(VALU_DEP_4) | instskip(SKIP_3) | instid1(VALU_DEP_2)
	v_bitop3_b32 v61, v61, v177, v176 bitop3:0x80
	ds_load_b32 v173, v173 offset:1056
	; wave barrier
	v_bitop3_b32 v61, v61, v174, v172 bitop3:0x80
	v_mul_u32_u24_e32 v172, 36, v175
	v_mbcnt_lo_u32_b32 v174, v61, 0
	v_cmp_ne_u32_e64 s15, 0, v61
	s_delay_alu instid0(VALU_DEP_3) | instskip(NEXT) | instid1(VALU_DEP_3)
	v_add_nc_u32_e32 v175, v23, v172
	v_cmp_eq_u32_e32 vcc_lo, 0, v174
	s_and_b32 s16, s15, vcc_lo
	s_delay_alu instid0(SALU_CYCLE_1)
	s_and_saveexec_b32 s15, s16
	s_cbranch_execz .LBB2069_450
; %bb.449:                              ;   in Loop: Header=BB2069_396 Depth=2
	s_wait_dscnt 0x0
	v_bcnt_u32_b32 v61, v61, v173
	ds_store_b32 v175, v61 offset:1056
.LBB2069_450:                           ;   in Loop: Header=BB2069_396 Depth=2
	s_or_b32 exec_lo, exec_lo, s15
	v_cmp_lt_i16_e32 vcc_lo, -1, v67
	; wave barrier
	v_cndmask_b32_e64 v61, -1, 0xffff8000, vcc_lo
	s_delay_alu instid0(VALU_DEP_1) | instskip(NEXT) | instid1(VALU_DEP_1)
	v_xor_b32_e32 v172, v61, v67
	v_cmp_ne_u16_e64 vcc_lo, 0x7fff, v172
	v_cndmask_b32_e32 v61, 0xffff8000, v172, vcc_lo
	s_delay_alu instid0(VALU_DEP_1) | instskip(NEXT) | instid1(VALU_DEP_1)
	v_and_b32_e32 v61, 0xffff, v61
	v_lshrrev_b32_e32 v61, s48, v61
	s_delay_alu instid0(VALU_DEP_1) | instskip(SKIP_1) | instid1(VALU_DEP_2)
	v_bitop3_b32 v67, v61, 1, s52 bitop3:0x80
	v_and_b32_e32 v176, s52, v61
	v_add_co_u32 v61, s15, v67, -1
	s_delay_alu instid0(VALU_DEP_1) | instskip(NEXT) | instid1(VALU_DEP_3)
	v_cndmask_b32_e64 v67, 0, 1, s15
	v_lshlrev_b32_e32 v177, 30, v176
	s_delay_alu instid0(VALU_DEP_2) | instskip(NEXT) | instid1(VALU_DEP_2)
	v_cmp_ne_u32_e32 vcc_lo, 0, v67
	v_not_b32_e32 v67, v177
	s_delay_alu instid0(VALU_DEP_1) | instskip(SKIP_4) | instid1(VALU_DEP_4)
	v_dual_ashrrev_i32 v67, 31, v67 :: v_dual_bitop2_b32 v61, vcc_lo, v61 bitop3:0x14
	v_dual_lshlrev_b32 v178, 29, v176 :: v_dual_lshlrev_b32 v179, 28, v176
	v_dual_lshlrev_b32 v180, 27, v176 :: v_dual_lshlrev_b32 v181, 26, v176
	v_lshlrev_b32_e32 v182, 25, v176
	v_cmp_gt_i32_e64 s15, 0, v177
	v_cmp_gt_i32_e64 s16, 0, v178
	v_not_b32_e32 v177, v178
	v_not_b32_e32 v178, v179
	v_lshlrev_b32_e32 v183, 24, v176
	v_cmp_gt_i32_e64 s17, 0, v179
	v_cmp_gt_i32_e64 s18, 0, v180
	v_not_b32_e32 v179, v180
	v_not_b32_e32 v180, v181
	v_dual_ashrrev_i32 v177, 31, v177 :: v_dual_bitop2_b32 v67, s15, v67 bitop3:0x14
	v_ashrrev_i32_e32 v178, 31, v178
	v_cmp_gt_i32_e64 s19, 0, v181
	v_cmp_gt_i32_e64 s20, 0, v182
	v_not_b32_e32 v181, v182
	v_not_b32_e32 v182, v183
	v_dual_ashrrev_i32 v179, 31, v179 :: v_dual_ashrrev_i32 v180, 31, v180
	v_xor_b32_e32 v177, s16, v177
	v_xor_b32_e32 v178, s17, v178
	v_bitop3_b32 v61, v61, v67, exec_lo bitop3:0x80
	v_cmp_gt_i32_e64 s21, 0, v183
	v_dual_ashrrev_i32 v67, 31, v181 :: v_dual_ashrrev_i32 v181, 31, v182
	v_xor_b32_e32 v179, s18, v179
	v_xor_b32_e32 v180, s19, v180
	v_bitop3_b32 v61, v61, v178, v177 bitop3:0x80
	v_mad_u32_u24 v177, v176, 36, v23
	v_xor_b32_e32 v67, s20, v67
	v_xor_b32_e32 v178, s21, v181
	s_delay_alu instid0(VALU_DEP_4) | instskip(SKIP_3) | instid1(VALU_DEP_2)
	v_bitop3_b32 v61, v61, v180, v179 bitop3:0x80
	ds_load_b32 v177, v177 offset:1056
	; wave barrier
	v_bitop3_b32 v61, v61, v178, v67 bitop3:0x80
	v_mul_u32_u24_e32 v67, 36, v176
	v_mbcnt_lo_u32_b32 v178, v61, 0
	v_cmp_ne_u32_e64 s15, 0, v61
	s_delay_alu instid0(VALU_DEP_3) | instskip(NEXT) | instid1(VALU_DEP_3)
	v_add_nc_u32_e32 v179, v23, v67
	v_cmp_eq_u32_e32 vcc_lo, 0, v178
	s_and_b32 s16, s15, vcc_lo
	s_delay_alu instid0(SALU_CYCLE_1)
	s_and_saveexec_b32 s15, s16
	s_cbranch_execz .LBB2069_452
; %bb.451:                              ;   in Loop: Header=BB2069_396 Depth=2
	s_wait_dscnt 0x0
	v_bcnt_u32_b32 v61, v61, v177
	ds_store_b32 v179, v61 offset:1056
.LBB2069_452:                           ;   in Loop: Header=BB2069_396 Depth=2
	s_or_b32 exec_lo, exec_lo, s15
	v_cmp_lt_i16_e32 vcc_lo, -1, v66
	; wave barrier
	v_cndmask_b32_e64 v61, -1, 0xffff8000, vcc_lo
	s_delay_alu instid0(VALU_DEP_1) | instskip(NEXT) | instid1(VALU_DEP_1)
	v_xor_b32_e32 v176, v61, v66
	v_cmp_ne_u16_e64 vcc_lo, 0x7fff, v176
	v_cndmask_b32_e32 v61, 0xffff8000, v176, vcc_lo
	s_delay_alu instid0(VALU_DEP_1) | instskip(NEXT) | instid1(VALU_DEP_1)
	v_and_b32_e32 v61, 0xffff, v61
	v_lshrrev_b32_e32 v61, s48, v61
	s_delay_alu instid0(VALU_DEP_1) | instskip(SKIP_1) | instid1(VALU_DEP_2)
	v_bitop3_b32 v66, v61, 1, s52 bitop3:0x80
	v_and_b32_e32 v67, s52, v61
	v_add_co_u32 v61, s15, v66, -1
	s_delay_alu instid0(VALU_DEP_1) | instskip(NEXT) | instid1(VALU_DEP_3)
	v_cndmask_b32_e64 v66, 0, 1, s15
	v_lshlrev_b32_e32 v180, 30, v67
	s_delay_alu instid0(VALU_DEP_2) | instskip(NEXT) | instid1(VALU_DEP_2)
	v_cmp_ne_u32_e32 vcc_lo, 0, v66
	v_not_b32_e32 v66, v180
	v_cmp_gt_i32_e64 s15, 0, v180
	s_delay_alu instid0(VALU_DEP_2) | instskip(SKIP_3) | instid1(VALU_DEP_4)
	v_dual_ashrrev_i32 v66, 31, v66 :: v_dual_lshlrev_b32 v181, 29, v67
	v_dual_lshlrev_b32 v182, 28, v67 :: v_dual_lshlrev_b32 v183, 27, v67
	v_dual_lshlrev_b32 v184, 26, v67 :: v_dual_lshlrev_b32 v185, 25, v67
	v_lshlrev_b32_e32 v186, 24, v67
	v_cmp_gt_i32_e64 s16, 0, v181
	v_not_b32_e32 v180, v181
	v_not_b32_e32 v181, v182
	v_cmp_gt_i32_e64 s17, 0, v182
	v_cmp_gt_i32_e64 s18, 0, v183
	v_not_b32_e32 v182, v183
	v_not_b32_e32 v183, v184
	v_dual_ashrrev_i32 v180, 31, v180 :: v_dual_bitop2_b32 v61, vcc_lo, v61 bitop3:0x14
	v_dual_ashrrev_i32 v181, 31, v181 :: v_dual_bitop2_b32 v66, s15, v66 bitop3:0x14
	v_cmp_gt_i32_e64 s19, 0, v184
	v_cmp_gt_i32_e64 s20, 0, v185
	v_not_b32_e32 v184, v185
	v_not_b32_e32 v185, v186
	v_dual_ashrrev_i32 v182, 31, v182 :: v_dual_ashrrev_i32 v183, 31, v183
	v_xor_b32_e32 v180, s16, v180
	v_xor_b32_e32 v181, s17, v181
	v_bitop3_b32 v61, v61, v66, exec_lo bitop3:0x80
	v_cmp_gt_i32_e64 s21, 0, v186
	v_dual_ashrrev_i32 v66, 31, v184 :: v_dual_ashrrev_i32 v184, 31, v185
	v_xor_b32_e32 v182, s18, v182
	v_xor_b32_e32 v183, s19, v183
	v_bitop3_b32 v61, v61, v181, v180 bitop3:0x80
	v_mad_u32_u24 v180, v67, 36, v23
	v_xor_b32_e32 v66, s20, v66
	v_xor_b32_e32 v184, s21, v184
	s_delay_alu instid0(VALU_DEP_4) | instskip(SKIP_3) | instid1(VALU_DEP_2)
	v_bitop3_b32 v61, v61, v183, v182 bitop3:0x80
	ds_load_b32 v181, v180 offset:1056
	; wave barrier
	v_bitop3_b32 v61, v61, v184, v66 bitop3:0x80
	v_mul_u32_u24_e32 v66, 36, v67
	v_mbcnt_lo_u32_b32 v182, v61, 0
	v_cmp_ne_u32_e64 s15, 0, v61
	s_delay_alu instid0(VALU_DEP_3) | instskip(NEXT) | instid1(VALU_DEP_3)
	v_add_nc_u32_e32 v183, v23, v66
	v_cmp_eq_u32_e32 vcc_lo, 0, v182
	s_and_b32 s16, s15, vcc_lo
	s_delay_alu instid0(SALU_CYCLE_1)
	s_and_saveexec_b32 s15, s16
	s_cbranch_execz .LBB2069_454
; %bb.453:                              ;   in Loop: Header=BB2069_396 Depth=2
	s_wait_dscnt 0x0
	v_bcnt_u32_b32 v61, v61, v181
	ds_store_b32 v183, v61 offset:1056
.LBB2069_454:                           ;   in Loop: Header=BB2069_396 Depth=2
	s_or_b32 exec_lo, exec_lo, s15
	v_cmp_lt_i16_e32 vcc_lo, -1, v65
	; wave barrier
	v_cndmask_b32_e64 v61, -1, 0xffff8000, vcc_lo
	s_delay_alu instid0(VALU_DEP_1) | instskip(NEXT) | instid1(VALU_DEP_1)
	v_xor_b32_e32 v180, v61, v65
	v_cmp_ne_u16_e64 vcc_lo, 0x7fff, v180
	v_cndmask_b32_e32 v61, 0xffff8000, v180, vcc_lo
	s_delay_alu instid0(VALU_DEP_1) | instskip(NEXT) | instid1(VALU_DEP_1)
	v_and_b32_e32 v61, 0xffff, v61
	v_lshrrev_b32_e32 v61, s48, v61
	s_delay_alu instid0(VALU_DEP_1) | instskip(NEXT) | instid1(VALU_DEP_1)
	v_and_b32_e32 v66, s52, v61
	v_lshlrev_b32_e32 v185, 28, v66
	v_bitop3_b32 v65, v61, 1, s52 bitop3:0x80
	v_dual_lshlrev_b32 v67, 30, v66 :: v_dual_lshlrev_b32 v184, 29, v66
	s_delay_alu instid0(VALU_DEP_3) | instskip(NEXT) | instid1(VALU_DEP_3)
	v_cmp_gt_i32_e64 s17, 0, v185
	v_add_co_u32 v61, s15, v65, -1
	s_delay_alu instid0(VALU_DEP_1) | instskip(NEXT) | instid1(VALU_DEP_4)
	v_cndmask_b32_e64 v65, 0, 1, s15
	v_cmp_gt_i32_e64 s15, 0, v67
	v_cmp_gt_i32_e64 s16, 0, v184
	s_delay_alu instid0(VALU_DEP_3) | instskip(SKIP_3) | instid1(VALU_DEP_2)
	v_cmp_ne_u32_e32 vcc_lo, 0, v65
	v_not_b32_e32 v65, v67
	v_not_b32_e32 v67, v184
	;; [unrolled: 1-line block ×3, first 2 shown]
	v_dual_ashrrev_i32 v65, 31, v65 :: v_dual_ashrrev_i32 v67, 31, v67
	v_dual_lshlrev_b32 v186, 27, v66 :: v_dual_lshlrev_b32 v187, 26, v66
	v_dual_lshlrev_b32 v188, 25, v66 :: v_dual_lshlrev_b32 v189, 24, v66
	s_delay_alu instid0(VALU_DEP_4) | instskip(NEXT) | instid1(VALU_DEP_3)
	v_ashrrev_i32_e32 v184, 31, v184
	v_cmp_gt_i32_e64 s18, 0, v186
	v_not_b32_e32 v185, v186
	v_cmp_gt_i32_e64 s19, 0, v187
	v_not_b32_e32 v186, v187
	;; [unrolled: 2-line block ×3, first 2 shown]
	v_not_b32_e32 v188, v189
	s_delay_alu instid0(VALU_DEP_4) | instskip(SKIP_4) | instid1(VALU_DEP_4)
	v_dual_ashrrev_i32 v186, 31, v186 :: v_dual_bitop2_b32 v61, vcc_lo, v61 bitop3:0x14
	v_xor_b32_e32 v65, s15, v65
	v_dual_ashrrev_i32 v185, 31, v185 :: v_dual_bitop2_b32 v67, s16, v67 bitop3:0x14
	v_xor_b32_e32 v184, s17, v184
	v_cmp_gt_i32_e64 s21, 0, v189
	v_bitop3_b32 v61, v61, v65, exec_lo bitop3:0x80
	v_dual_ashrrev_i32 v65, 31, v187 :: v_dual_ashrrev_i32 v187, 31, v188
	v_xor_b32_e32 v185, s18, v185
	v_xor_b32_e32 v186, s19, v186
	s_delay_alu instid0(VALU_DEP_4) | instskip(SKIP_3) | instid1(VALU_DEP_4)
	v_bitop3_b32 v61, v61, v184, v67 bitop3:0x80
	v_mad_u32_u24 v67, v66, 36, v23
	v_xor_b32_e32 v65, s20, v65
	v_xor_b32_e32 v184, s21, v187
	v_bitop3_b32 v61, v61, v186, v185 bitop3:0x80
	ds_load_b32 v185, v67 offset:1056
	; wave barrier
	v_bitop3_b32 v61, v61, v184, v65 bitop3:0x80
	v_mul_u32_u24_e32 v65, 36, v66
	s_delay_alu instid0(VALU_DEP_2) | instskip(SKIP_1) | instid1(VALU_DEP_3)
	v_mbcnt_lo_u32_b32 v186, v61, 0
	v_cmp_ne_u32_e64 s15, 0, v61
	v_add_nc_u32_e32 v187, v23, v65
	s_delay_alu instid0(VALU_DEP_3) | instskip(SKIP_1) | instid1(SALU_CYCLE_1)
	v_cmp_eq_u32_e32 vcc_lo, 0, v186
	s_and_b32 s16, s15, vcc_lo
	s_and_saveexec_b32 s15, s16
	s_cbranch_execz .LBB2069_456
; %bb.455:                              ;   in Loop: Header=BB2069_396 Depth=2
	s_wait_dscnt 0x0
	v_bcnt_u32_b32 v61, v61, v185
	ds_store_b32 v187, v61 offset:1056
.LBB2069_456:                           ;   in Loop: Header=BB2069_396 Depth=2
	s_or_b32 exec_lo, exec_lo, s15
	v_cmp_lt_i16_e32 vcc_lo, -1, v64
	; wave barrier
	v_cndmask_b32_e64 v61, -1, 0xffff8000, vcc_lo
	s_delay_alu instid0(VALU_DEP_1) | instskip(NEXT) | instid1(VALU_DEP_1)
	v_xor_b32_e32 v184, v61, v64
	v_cmp_ne_u16_e64 vcc_lo, 0x7fff, v184
	v_cndmask_b32_e32 v61, 0xffff8000, v184, vcc_lo
	s_delay_alu instid0(VALU_DEP_1) | instskip(NEXT) | instid1(VALU_DEP_1)
	v_and_b32_e32 v61, 0xffff, v61
	v_lshrrev_b32_e32 v61, s48, v61
	s_delay_alu instid0(VALU_DEP_1) | instskip(SKIP_1) | instid1(VALU_DEP_2)
	v_bitop3_b32 v64, v61, 1, s52 bitop3:0x80
	v_and_b32_e32 v65, s52, v61
	v_add_co_u32 v61, s15, v64, -1
	s_delay_alu instid0(VALU_DEP_1) | instskip(NEXT) | instid1(VALU_DEP_3)
	v_cndmask_b32_e64 v64, 0, 1, s15
	v_lshlrev_b32_e32 v66, 30, v65
	s_delay_alu instid0(VALU_DEP_2) | instskip(NEXT) | instid1(VALU_DEP_2)
	v_cmp_ne_u32_e32 vcc_lo, 0, v64
	v_not_b32_e32 v64, v66
	v_cmp_gt_i32_e64 s15, 0, v66
	s_delay_alu instid0(VALU_DEP_2) | instskip(SKIP_3) | instid1(VALU_DEP_4)
	v_dual_ashrrev_i32 v64, 31, v64 :: v_dual_lshlrev_b32 v67, 29, v65
	v_dual_lshlrev_b32 v188, 28, v65 :: v_dual_lshlrev_b32 v189, 27, v65
	v_dual_lshlrev_b32 v190, 26, v65 :: v_dual_lshlrev_b32 v191, 25, v65
	v_lshlrev_b32_e32 v192, 24, v65
	v_cmp_gt_i32_e64 s16, 0, v67
	v_not_b32_e32 v66, v67
	v_not_b32_e32 v67, v188
	v_cmp_gt_i32_e64 s17, 0, v188
	v_cmp_gt_i32_e64 s18, 0, v189
	v_not_b32_e32 v188, v189
	v_not_b32_e32 v189, v190
	v_dual_ashrrev_i32 v66, 31, v66 :: v_dual_bitop2_b32 v61, vcc_lo, v61 bitop3:0x14
	v_dual_ashrrev_i32 v67, 31, v67 :: v_dual_bitop2_b32 v64, s15, v64 bitop3:0x14
	v_cmp_gt_i32_e64 s19, 0, v190
	v_cmp_gt_i32_e64 s20, 0, v191
	v_not_b32_e32 v190, v191
	v_not_b32_e32 v191, v192
	v_dual_ashrrev_i32 v188, 31, v188 :: v_dual_ashrrev_i32 v189, 31, v189
	v_xor_b32_e32 v66, s16, v66
	v_xor_b32_e32 v67, s17, v67
	v_bitop3_b32 v61, v61, v64, exec_lo bitop3:0x80
	v_cmp_gt_i32_e64 s21, 0, v192
	v_dual_ashrrev_i32 v64, 31, v190 :: v_dual_ashrrev_i32 v190, 31, v191
	v_xor_b32_e32 v188, s18, v188
	v_xor_b32_e32 v189, s19, v189
	v_bitop3_b32 v61, v61, v67, v66 bitop3:0x80
	v_mad_u32_u24 v66, v65, 36, v23
	v_xor_b32_e32 v64, s20, v64
	v_xor_b32_e32 v67, s21, v190
	s_delay_alu instid0(VALU_DEP_4) | instskip(SKIP_3) | instid1(VALU_DEP_2)
	v_bitop3_b32 v61, v61, v189, v188 bitop3:0x80
	ds_load_b32 v189, v66 offset:1056
	; wave barrier
	v_bitop3_b32 v61, v61, v67, v64 bitop3:0x80
	v_mul_u32_u24_e32 v64, 36, v65
	v_mbcnt_lo_u32_b32 v190, v61, 0
	v_cmp_ne_u32_e64 s15, 0, v61
	s_delay_alu instid0(VALU_DEP_3) | instskip(NEXT) | instid1(VALU_DEP_3)
	v_add_nc_u32_e32 v191, v23, v64
	v_cmp_eq_u32_e32 vcc_lo, 0, v190
	s_and_b32 s16, s15, vcc_lo
	s_delay_alu instid0(SALU_CYCLE_1)
	s_and_saveexec_b32 s15, s16
	s_cbranch_execz .LBB2069_458
; %bb.457:                              ;   in Loop: Header=BB2069_396 Depth=2
	s_wait_dscnt 0x0
	v_bcnt_u32_b32 v61, v61, v189
	ds_store_b32 v191, v61 offset:1056
.LBB2069_458:                           ;   in Loop: Header=BB2069_396 Depth=2
	s_or_b32 exec_lo, exec_lo, s15
	v_cmp_lt_i16_e32 vcc_lo, -1, v63
	; wave barrier
	v_cndmask_b32_e64 v61, -1, 0xffff8000, vcc_lo
	s_delay_alu instid0(VALU_DEP_1) | instskip(NEXT) | instid1(VALU_DEP_1)
	v_xor_b32_e32 v188, v61, v63
	v_cmp_ne_u16_e64 vcc_lo, 0x7fff, v188
	v_cndmask_b32_e32 v61, 0xffff8000, v188, vcc_lo
	s_delay_alu instid0(VALU_DEP_1) | instskip(NEXT) | instid1(VALU_DEP_1)
	v_and_b32_e32 v61, 0xffff, v61
	v_lshrrev_b32_e32 v61, s48, v61
	s_delay_alu instid0(VALU_DEP_1) | instskip(SKIP_1) | instid1(VALU_DEP_2)
	v_bitop3_b32 v63, v61, 1, s52 bitop3:0x80
	v_and_b32_e32 v64, s52, v61
	v_add_co_u32 v61, s15, v63, -1
	s_delay_alu instid0(VALU_DEP_1) | instskip(NEXT) | instid1(VALU_DEP_3)
	v_cndmask_b32_e64 v63, 0, 1, s15
	v_lshlrev_b32_e32 v65, 30, v64
	s_delay_alu instid0(VALU_DEP_2) | instskip(NEXT) | instid1(VALU_DEP_2)
	v_cmp_ne_u32_e32 vcc_lo, 0, v63
	v_not_b32_e32 v63, v65
	s_delay_alu instid0(VALU_DEP_1) | instskip(SKIP_4) | instid1(VALU_DEP_4)
	v_dual_ashrrev_i32 v63, 31, v63 :: v_dual_bitop2_b32 v61, vcc_lo, v61 bitop3:0x14
	v_dual_lshlrev_b32 v66, 29, v64 :: v_dual_lshlrev_b32 v67, 28, v64
	v_dual_lshlrev_b32 v192, 27, v64 :: v_dual_lshlrev_b32 v193, 26, v64
	v_lshlrev_b32_e32 v194, 25, v64
	v_cmp_gt_i32_e64 s15, 0, v65
	v_cmp_gt_i32_e64 s16, 0, v66
	v_not_b32_e32 v65, v66
	v_not_b32_e32 v66, v67
	v_lshlrev_b32_e32 v195, 24, v64
	v_cmp_gt_i32_e64 s17, 0, v67
	v_cmp_gt_i32_e64 s18, 0, v192
	v_not_b32_e32 v67, v192
	v_not_b32_e32 v192, v193
	v_dual_ashrrev_i32 v65, 31, v65 :: v_dual_bitop2_b32 v63, s15, v63 bitop3:0x14
	v_ashrrev_i32_e32 v66, 31, v66
	v_cmp_gt_i32_e64 s19, 0, v193
	v_cmp_gt_i32_e64 s20, 0, v194
	v_not_b32_e32 v193, v194
	v_not_b32_e32 v194, v195
	v_dual_ashrrev_i32 v67, 31, v67 :: v_dual_ashrrev_i32 v192, 31, v192
	v_xor_b32_e32 v65, s16, v65
	v_xor_b32_e32 v66, s17, v66
	v_bitop3_b32 v61, v61, v63, exec_lo bitop3:0x80
	v_cmp_gt_i32_e64 s21, 0, v195
	v_dual_ashrrev_i32 v63, 31, v193 :: v_dual_ashrrev_i32 v193, 31, v194
	v_xor_b32_e32 v67, s18, v67
	v_xor_b32_e32 v192, s19, v192
	v_bitop3_b32 v61, v61, v66, v65 bitop3:0x80
	v_mad_u32_u24 v65, v64, 36, v23
	v_xor_b32_e32 v63, s20, v63
	v_xor_b32_e32 v66, s21, v193
	s_delay_alu instid0(VALU_DEP_4) | instskip(SKIP_3) | instid1(VALU_DEP_2)
	v_bitop3_b32 v61, v61, v192, v67 bitop3:0x80
	ds_load_b32 v193, v65 offset:1056
	; wave barrier
	v_bitop3_b32 v61, v61, v66, v63 bitop3:0x80
	v_mul_u32_u24_e32 v63, 36, v64
	v_mbcnt_lo_u32_b32 v194, v61, 0
	v_cmp_ne_u32_e64 s15, 0, v61
	s_delay_alu instid0(VALU_DEP_3) | instskip(NEXT) | instid1(VALU_DEP_3)
	v_add_nc_u32_e32 v195, v23, v63
	v_cmp_eq_u32_e32 vcc_lo, 0, v194
	s_and_b32 s16, s15, vcc_lo
	s_delay_alu instid0(SALU_CYCLE_1)
	s_and_saveexec_b32 s15, s16
	s_cbranch_execz .LBB2069_460
; %bb.459:                              ;   in Loop: Header=BB2069_396 Depth=2
	s_wait_dscnt 0x0
	v_bcnt_u32_b32 v61, v61, v193
	ds_store_b32 v195, v61 offset:1056
.LBB2069_460:                           ;   in Loop: Header=BB2069_396 Depth=2
	s_or_b32 exec_lo, exec_lo, s15
	v_cmp_lt_i16_e32 vcc_lo, -1, v62
	; wave barrier
	v_cndmask_b32_e64 v61, -1, 0xffff8000, vcc_lo
	s_delay_alu instid0(VALU_DEP_1) | instskip(NEXT) | instid1(VALU_DEP_1)
	v_xor_b32_e32 v192, v61, v62
	v_cmp_ne_u16_e64 vcc_lo, 0x7fff, v192
	v_cndmask_b32_e32 v61, 0xffff8000, v192, vcc_lo
	s_delay_alu instid0(VALU_DEP_1) | instskip(NEXT) | instid1(VALU_DEP_1)
	v_and_b32_e32 v61, 0xffff, v61
	v_lshrrev_b32_e32 v61, s48, v61
	s_delay_alu instid0(VALU_DEP_1) | instskip(SKIP_1) | instid1(VALU_DEP_2)
	v_bitop3_b32 v62, v61, 1, s52 bitop3:0x80
	v_and_b32_e32 v63, s52, v61
	v_add_co_u32 v61, s15, v62, -1
	s_delay_alu instid0(VALU_DEP_1) | instskip(NEXT) | instid1(VALU_DEP_3)
	v_cndmask_b32_e64 v62, 0, 1, s15
	v_lshlrev_b32_e32 v64, 30, v63
	s_delay_alu instid0(VALU_DEP_2) | instskip(NEXT) | instid1(VALU_DEP_2)
	v_cmp_ne_u32_e32 vcc_lo, 0, v62
	v_not_b32_e32 v62, v64
	v_cmp_gt_i32_e64 s15, 0, v64
	s_delay_alu instid0(VALU_DEP_2) | instskip(SKIP_3) | instid1(VALU_DEP_4)
	v_dual_ashrrev_i32 v62, 31, v62 :: v_dual_lshlrev_b32 v65, 29, v63
	v_dual_lshlrev_b32 v66, 28, v63 :: v_dual_lshlrev_b32 v67, 27, v63
	v_dual_lshlrev_b32 v196, 26, v63 :: v_dual_lshlrev_b32 v197, 25, v63
	v_lshlrev_b32_e32 v198, 24, v63
	v_cmp_gt_i32_e64 s16, 0, v65
	v_not_b32_e32 v64, v65
	v_not_b32_e32 v65, v66
	v_cmp_gt_i32_e64 s17, 0, v66
	v_cmp_gt_i32_e64 s18, 0, v67
	v_not_b32_e32 v66, v67
	v_not_b32_e32 v67, v196
	v_dual_ashrrev_i32 v64, 31, v64 :: v_dual_bitop2_b32 v61, vcc_lo, v61 bitop3:0x14
	v_dual_ashrrev_i32 v65, 31, v65 :: v_dual_bitop2_b32 v62, s15, v62 bitop3:0x14
	v_cmp_gt_i32_e64 s19, 0, v196
	v_cmp_gt_i32_e64 s20, 0, v197
	v_not_b32_e32 v196, v197
	v_not_b32_e32 v197, v198
	v_dual_ashrrev_i32 v66, 31, v66 :: v_dual_ashrrev_i32 v67, 31, v67
	v_xor_b32_e32 v64, s16, v64
	v_xor_b32_e32 v65, s17, v65
	v_bitop3_b32 v61, v61, v62, exec_lo bitop3:0x80
	v_cmp_gt_i32_e64 s21, 0, v198
	v_dual_ashrrev_i32 v62, 31, v196 :: v_dual_ashrrev_i32 v196, 31, v197
	v_xor_b32_e32 v66, s18, v66
	v_xor_b32_e32 v67, s19, v67
	v_bitop3_b32 v61, v61, v65, v64 bitop3:0x80
	v_mad_u32_u24 v64, v63, 36, v23
	v_xor_b32_e32 v62, s20, v62
	v_xor_b32_e32 v65, s21, v196
	s_delay_alu instid0(VALU_DEP_4) | instskip(SKIP_3) | instid1(VALU_DEP_2)
	v_bitop3_b32 v61, v61, v67, v66 bitop3:0x80
	ds_load_b32 v197, v64 offset:1056
	; wave barrier
	v_bitop3_b32 v61, v61, v65, v62 bitop3:0x80
	v_mul_u32_u24_e32 v62, 36, v63
	v_mbcnt_lo_u32_b32 v198, v61, 0
	v_cmp_ne_u32_e64 s15, 0, v61
	s_delay_alu instid0(VALU_DEP_3) | instskip(NEXT) | instid1(VALU_DEP_3)
	v_add_nc_u32_e32 v199, v23, v62
	v_cmp_eq_u32_e32 vcc_lo, 0, v198
	s_and_b32 s16, s15, vcc_lo
	s_delay_alu instid0(SALU_CYCLE_1)
	s_and_saveexec_b32 s15, s16
	s_cbranch_execz .LBB2069_462
; %bb.461:                              ;   in Loop: Header=BB2069_396 Depth=2
	s_wait_dscnt 0x0
	v_bcnt_u32_b32 v61, v61, v197
	ds_store_b32 v199, v61 offset:1056
.LBB2069_462:                           ;   in Loop: Header=BB2069_396 Depth=2
	s_or_b32 exec_lo, exec_lo, s15
	v_cmp_lt_i16_e32 vcc_lo, -1, v60
	; wave barrier
	v_cndmask_b32_e64 v61, -1, 0xffff8000, vcc_lo
	s_delay_alu instid0(VALU_DEP_1) | instskip(NEXT) | instid1(VALU_DEP_1)
	v_xor_b32_e32 v196, v61, v60
	v_cmp_ne_u16_e64 vcc_lo, 0x7fff, v196
	v_cndmask_b32_e32 v60, 0xffff8000, v196, vcc_lo
	s_delay_alu instid0(VALU_DEP_1) | instskip(NEXT) | instid1(VALU_DEP_1)
	v_and_b32_e32 v60, 0xffff, v60
	v_lshrrev_b32_e32 v60, s48, v60
	s_delay_alu instid0(VALU_DEP_1) | instskip(SKIP_1) | instid1(VALU_DEP_2)
	v_bitop3_b32 v61, v60, 1, s52 bitop3:0x80
	v_and_b32_e32 v62, s52, v60
	v_add_co_u32 v60, s15, v61, -1
	s_delay_alu instid0(VALU_DEP_1) | instskip(NEXT) | instid1(VALU_DEP_3)
	v_cndmask_b32_e64 v61, 0, 1, s15
	v_lshlrev_b32_e32 v63, 30, v62
	s_delay_alu instid0(VALU_DEP_2) | instskip(NEXT) | instid1(VALU_DEP_2)
	v_cmp_ne_u32_e32 vcc_lo, 0, v61
	v_not_b32_e32 v61, v63
	v_cmp_gt_i32_e64 s15, 0, v63
	s_delay_alu instid0(VALU_DEP_2) | instskip(SKIP_3) | instid1(VALU_DEP_4)
	v_dual_ashrrev_i32 v61, 31, v61 :: v_dual_lshlrev_b32 v64, 29, v62
	v_dual_lshlrev_b32 v65, 28, v62 :: v_dual_lshlrev_b32 v66, 27, v62
	v_dual_lshlrev_b32 v67, 26, v62 :: v_dual_lshlrev_b32 v200, 25, v62
	v_lshlrev_b32_e32 v201, 24, v62
	v_cmp_gt_i32_e64 s16, 0, v64
	v_not_b32_e32 v63, v64
	v_not_b32_e32 v64, v65
	v_cmp_gt_i32_e64 s17, 0, v65
	v_cmp_gt_i32_e64 s18, 0, v66
	v_not_b32_e32 v65, v66
	v_not_b32_e32 v66, v67
	v_dual_ashrrev_i32 v63, 31, v63 :: v_dual_bitop2_b32 v60, vcc_lo, v60 bitop3:0x14
	v_dual_ashrrev_i32 v64, 31, v64 :: v_dual_bitop2_b32 v61, s15, v61 bitop3:0x14
	v_cmp_gt_i32_e64 s19, 0, v67
	v_cmp_gt_i32_e64 s20, 0, v200
	v_not_b32_e32 v67, v200
	v_not_b32_e32 v200, v201
	v_dual_ashrrev_i32 v65, 31, v65 :: v_dual_ashrrev_i32 v66, 31, v66
	v_xor_b32_e32 v63, s16, v63
	v_xor_b32_e32 v64, s17, v64
	v_bitop3_b32 v60, v60, v61, exec_lo bitop3:0x80
	v_cmp_gt_i32_e64 s21, 0, v201
	v_dual_ashrrev_i32 v61, 31, v67 :: v_dual_ashrrev_i32 v67, 31, v200
	v_xor_b32_e32 v65, s18, v65
	v_xor_b32_e32 v66, s19, v66
	v_bitop3_b32 v60, v60, v64, v63 bitop3:0x80
	v_mad_u32_u24 v63, v62, 36, v23
	v_xor_b32_e32 v61, s20, v61
	v_xor_b32_e32 v64, s21, v67
	s_delay_alu instid0(VALU_DEP_4) | instskip(SKIP_3) | instid1(VALU_DEP_2)
	v_bitop3_b32 v60, v60, v66, v65 bitop3:0x80
	ds_load_b32 v200, v63 offset:1056
	; wave barrier
	v_bitop3_b32 v60, v60, v64, v61 bitop3:0x80
	v_mul_u32_u24_e32 v61, 36, v62
	v_mbcnt_lo_u32_b32 v201, v60, 0
	v_cmp_ne_u32_e64 s15, 0, v60
	s_delay_alu instid0(VALU_DEP_3) | instskip(NEXT) | instid1(VALU_DEP_3)
	v_add_nc_u32_e32 v202, v23, v61
	v_cmp_eq_u32_e32 vcc_lo, 0, v201
	s_and_b32 s16, s15, vcc_lo
	s_delay_alu instid0(SALU_CYCLE_1)
	s_and_saveexec_b32 s15, s16
	s_cbranch_execz .LBB2069_464
; %bb.463:                              ;   in Loop: Header=BB2069_396 Depth=2
	s_wait_dscnt 0x0
	v_bcnt_u32_b32 v60, v60, v200
	ds_store_b32 v202, v60 offset:1056
.LBB2069_464:                           ;   in Loop: Header=BB2069_396 Depth=2
	s_or_b32 exec_lo, exec_lo, s15
	; wave barrier
	s_wait_dscnt 0x0
	s_barrier_signal -1
	s_barrier_wait -1
	ds_load_2addr_b32 v[66:67], v118 offset1:1
	ds_load_2addr_b32 v[64:65], v119 offset1:1
	;; [unrolled: 1-line block ×4, first 2 shown]
	ds_load_b32 v203, v91 offset:1088
	s_wait_dscnt 0x3
	v_add3_u32 v204, v67, v66, v64
	s_wait_dscnt 0x2
	s_delay_alu instid0(VALU_DEP_1) | instskip(SKIP_1) | instid1(VALU_DEP_1)
	v_add3_u32 v204, v204, v65, v62
	s_wait_dscnt 0x1
	v_add3_u32 v204, v204, v63, v60
	s_wait_dscnt 0x0
	s_delay_alu instid0(VALU_DEP_1) | instskip(NEXT) | instid1(VALU_DEP_1)
	v_add3_u32 v203, v204, v61, v203
	v_mov_b32_dpp v204, v203 row_shr:1 row_mask:0xf bank_mask:0xf
	s_delay_alu instid0(VALU_DEP_1) | instskip(NEXT) | instid1(VALU_DEP_1)
	v_cndmask_b32_e64 v204, v204, 0, s7
	v_add_nc_u32_e32 v203, v204, v203
	s_delay_alu instid0(VALU_DEP_1) | instskip(NEXT) | instid1(VALU_DEP_1)
	v_mov_b32_dpp v204, v203 row_shr:2 row_mask:0xf bank_mask:0xf
	v_cndmask_b32_e64 v204, 0, v204, s8
	s_delay_alu instid0(VALU_DEP_1) | instskip(NEXT) | instid1(VALU_DEP_1)
	v_add_nc_u32_e32 v203, v203, v204
	v_mov_b32_dpp v204, v203 row_shr:4 row_mask:0xf bank_mask:0xf
	s_delay_alu instid0(VALU_DEP_1) | instskip(NEXT) | instid1(VALU_DEP_1)
	v_cndmask_b32_e64 v204, 0, v204, s9
	v_add_nc_u32_e32 v203, v203, v204
	s_delay_alu instid0(VALU_DEP_1) | instskip(NEXT) | instid1(VALU_DEP_1)
	v_mov_b32_dpp v204, v203 row_shr:8 row_mask:0xf bank_mask:0xf
	v_cndmask_b32_e64 v204, 0, v204, s10
	s_delay_alu instid0(VALU_DEP_1) | instskip(SKIP_3) | instid1(VALU_DEP_1)
	v_add_nc_u32_e32 v203, v203, v204
	ds_swizzle_b32 v204, v203 offset:swizzle(BROADCAST,32,15)
	s_wait_dscnt 0x0
	v_cndmask_b32_e64 v204, v204, 0, s11
	v_add_nc_u32_e32 v203, v203, v204
	s_and_saveexec_b32 s15, s1
; %bb.465:                              ;   in Loop: Header=BB2069_396 Depth=2
	ds_store_b32 v84, v203 offset:1024
; %bb.466:                              ;   in Loop: Header=BB2069_396 Depth=2
	s_or_b32 exec_lo, exec_lo, s15
	s_wait_dscnt 0x0
	s_barrier_signal -1
	s_barrier_wait -1
	s_and_saveexec_b32 s15, s4
	s_cbranch_execz .LBB2069_468
; %bb.467:                              ;   in Loop: Header=BB2069_396 Depth=2
	ds_load_b32 v204, v92 offset:1024
	s_wait_dscnt 0x0
	v_mov_b32_dpp v205, v204 row_shr:1 row_mask:0xf bank_mask:0xf
	s_delay_alu instid0(VALU_DEP_1) | instskip(NEXT) | instid1(VALU_DEP_1)
	v_cndmask_b32_e64 v205, v205, 0, s12
	v_add_nc_u32_e32 v204, v205, v204
	s_delay_alu instid0(VALU_DEP_1) | instskip(NEXT) | instid1(VALU_DEP_1)
	v_mov_b32_dpp v205, v204 row_shr:2 row_mask:0xf bank_mask:0xf
	v_cndmask_b32_e64 v205, 0, v205, s13
	s_delay_alu instid0(VALU_DEP_1) | instskip(NEXT) | instid1(VALU_DEP_1)
	v_add_nc_u32_e32 v204, v204, v205
	v_mov_b32_dpp v205, v204 row_shr:4 row_mask:0xf bank_mask:0xf
	s_delay_alu instid0(VALU_DEP_1) | instskip(NEXT) | instid1(VALU_DEP_1)
	v_cndmask_b32_e64 v205, 0, v205, s14
	v_add_nc_u32_e32 v204, v204, v205
	ds_store_b32 v92, v204 offset:1024
.LBB2069_468:                           ;   in Loop: Header=BB2069_396 Depth=2
	s_or_b32 exec_lo, exec_lo, s15
	v_mov_b32_e32 v204, 0
	s_wait_dscnt 0x0
	s_barrier_signal -1
	s_barrier_wait -1
	s_and_saveexec_b32 s15, s5
; %bb.469:                              ;   in Loop: Header=BB2069_396 Depth=2
	ds_load_b32 v204, v84 offset:1020
; %bb.470:                              ;   in Loop: Header=BB2069_396 Depth=2
	s_or_b32 exec_lo, exec_lo, s15
	s_wait_dscnt 0x0
	v_add_nc_u32_e32 v203, v204, v203
	ds_bpermute_b32 v203, v122, v203
	s_wait_dscnt 0x0
	v_cndmask_b32_e64 v203, v203, v204, s6
	s_delay_alu instid0(VALU_DEP_1) | instskip(NEXT) | instid1(VALU_DEP_1)
	v_cndmask_b32_e64 v203, v203, 0, s2
	v_add_nc_u32_e32 v66, v203, v66
	s_delay_alu instid0(VALU_DEP_1) | instskip(NEXT) | instid1(VALU_DEP_1)
	v_add_nc_u32_e32 v67, v66, v67
	v_add_nc_u32_e32 v64, v67, v64
	s_delay_alu instid0(VALU_DEP_1) | instskip(NEXT) | instid1(VALU_DEP_1)
	v_add_nc_u32_e32 v65, v64, v65
	v_add_nc_u32_e32 v62, v65, v62
	s_delay_alu instid0(VALU_DEP_1) | instskip(NEXT) | instid1(VALU_DEP_1)
	v_add_nc_u32_e32 v63, v62, v63
	v_add_nc_u32_e32 v60, v63, v60
	s_delay_alu instid0(VALU_DEP_1)
	v_add_nc_u32_e32 v61, v60, v61
	ds_store_2addr_b32 v121, v63, v60 offset1:1
	ds_store_2addr_b32 v118, v203, v66 offset1:1
	;; [unrolled: 1-line block ×4, first 2 shown]
	ds_store_b32 v91, v61 offset:1088
	s_wait_dscnt 0x0
	s_barrier_signal -1
	s_barrier_wait -1
	ds_load_b32 v63, v143 offset:1056
	ds_load_b32 v65, v147 offset:1056
	;; [unrolled: 1-line block ×17, first 2 shown]
	v_mov_b32_e32 v62, 0x1000
	s_and_saveexec_b32 s15, s3
; %bb.471:                              ;   in Loop: Header=BB2069_396 Depth=2
	ds_load_b32 v62, v91 offset:1092
; %bb.472:                              ;   in Loop: Header=BB2069_396 Depth=2
	s_or_b32 exec_lo, exec_lo, s15
	s_wait_dscnt 0x0
	s_barrier_signal -1
	s_barrier_wait -1
	s_and_saveexec_b32 s15, s0
	s_cbranch_execz .LBB2069_474
; %bb.473:                              ;   in Loop: Header=BB2069_396 Depth=2
	ds_load_b32 v155, v3
	s_wait_dscnt 0x0
	v_sub_nc_u32_e32 v151, v155, v151
	ds_store_b32 v3, v151
.LBB2069_474:                           ;   in Loop: Header=BB2069_396 Depth=2
	s_or_b32 exec_lo, exec_lo, s15
	v_add3_u32 v159, v146, v145, v65
	v_add_nc_u32_e32 v163, v63, v142
	v_add3_u32 v155, v150, v149, v66
	v_add3_u32 v151, v154, v153, v67
	;; [unrolled: 1-line block ×4, first 2 shown]
	v_lshlrev_b32_e32 v60, 1, v159
	v_lshlrev_b32_e32 v153, 1, v163
	v_add3_u32 v150, v158, v157, v143
	v_add3_u32 v147, v166, v165, v203
	;; [unrolled: 1-line block ×4, first 2 shown]
	v_lshlrev_b32_e32 v61, 1, v155
	v_add3_u32 v145, v174, v173, v175
	v_lshlrev_b32_e32 v154, 1, v149
	ds_store_b16 v153, v140 offset:1024
	v_lshlrev_b32_e32 v140, 1, v151
	v_add3_u32 v143, v178, v177, v179
	v_lshlrev_b32_e32 v153, 1, v150
	v_add3_u32 v142, v182, v181, v183
	v_add3_u32 v63, v186, v185, v187
	ds_store_b16 v60, v141 offset:1024
	ds_store_b16 v61, v144 offset:1024
	;; [unrolled: 1-line block ×5, first 2 shown]
	v_dual_lshlrev_b32 v60, 1, v147 :: v_dual_lshlrev_b32 v140, 1, v145
	v_lshlrev_b32_e32 v61, 1, v146
	v_add3_u32 v65, v198, v197, v64
	v_dual_lshlrev_b32 v141, 1, v143 :: v_dual_lshlrev_b32 v144, 1, v142
	v_add3_u32 v64, v201, v200, v167
	ds_store_b16 v60, v160 offset:1024
	ds_store_b16 v61, v164 offset:1024
	ds_store_b16 v140, v168 offset:1024
	ds_store_b16 v141, v172 offset:1024
	ds_store_b16 v144, v176 offset:1024
	v_dual_lshlrev_b32 v60, 1, v63 :: v_dual_lshlrev_b32 v140, 1, v66
	v_cmp_lt_u32_e32 vcc_lo, v2, v139
	v_dual_lshlrev_b32 v61, 1, v67 :: v_dual_lshlrev_b32 v141, 1, v65
	v_lshlrev_b32_e32 v144, 1, v64
	ds_store_b16 v60, v180 offset:1024
	ds_store_b16 v61, v184 offset:1024
	;; [unrolled: 1-line block ×5, first 2 shown]
	s_wait_dscnt 0x0
	s_barrier_signal -1
	s_barrier_wait -1
	s_and_saveexec_b32 s16, vcc_lo
	s_cbranch_execnz .LBB2069_543
; %bb.475:                              ;   in Loop: Header=BB2069_396 Depth=2
	s_or_b32 exec_lo, exec_lo, s16
	v_cmp_lt_u32_e64 s15, v68, v139
	s_and_saveexec_b32 s17, s15
	s_cbranch_execnz .LBB2069_544
.LBB2069_476:                           ;   in Loop: Header=BB2069_396 Depth=2
	s_or_b32 exec_lo, exec_lo, s17
	v_cmp_lt_u32_e64 s16, v69, v139
	s_and_saveexec_b32 s18, s16
	s_cbranch_execnz .LBB2069_545
.LBB2069_477:                           ;   in Loop: Header=BB2069_396 Depth=2
	s_or_b32 exec_lo, exec_lo, s18
	v_cmp_lt_u32_e64 s17, v70, v139
	s_and_saveexec_b32 s19, s17
	s_cbranch_execnz .LBB2069_546
.LBB2069_478:                           ;   in Loop: Header=BB2069_396 Depth=2
	s_or_b32 exec_lo, exec_lo, s19
	v_cmp_lt_u32_e64 s18, v71, v139
	s_and_saveexec_b32 s20, s18
	s_cbranch_execnz .LBB2069_547
.LBB2069_479:                           ;   in Loop: Header=BB2069_396 Depth=2
	s_or_b32 exec_lo, exec_lo, s20
	v_cmp_lt_u32_e64 s19, v72, v139
	s_and_saveexec_b32 s21, s19
	s_cbranch_execnz .LBB2069_548
.LBB2069_480:                           ;   in Loop: Header=BB2069_396 Depth=2
	s_or_b32 exec_lo, exec_lo, s21
	v_cmp_lt_u32_e64 s20, v73, v139
	s_and_saveexec_b32 s22, s20
	s_cbranch_execnz .LBB2069_549
.LBB2069_481:                           ;   in Loop: Header=BB2069_396 Depth=2
	s_or_b32 exec_lo, exec_lo, s22
	v_cmp_lt_u32_e64 s21, v74, v139
	s_and_saveexec_b32 s23, s21
	s_cbranch_execnz .LBB2069_550
.LBB2069_482:                           ;   in Loop: Header=BB2069_396 Depth=2
	s_or_b32 exec_lo, exec_lo, s23
	v_cmp_lt_u32_e64 s22, v75, v139
	s_and_saveexec_b32 s24, s22
	s_cbranch_execnz .LBB2069_551
.LBB2069_483:                           ;   in Loop: Header=BB2069_396 Depth=2
	s_or_b32 exec_lo, exec_lo, s24
	v_cmp_lt_u32_e64 s23, v76, v139
	s_and_saveexec_b32 s25, s23
	s_cbranch_execnz .LBB2069_552
.LBB2069_484:                           ;   in Loop: Header=BB2069_396 Depth=2
	s_or_b32 exec_lo, exec_lo, s25
	v_cmp_lt_u32_e64 s24, v77, v139
	s_and_saveexec_b32 s26, s24
	s_cbranch_execnz .LBB2069_553
.LBB2069_485:                           ;   in Loop: Header=BB2069_396 Depth=2
	s_or_b32 exec_lo, exec_lo, s26
	v_cmp_lt_u32_e64 s25, v78, v139
	s_and_saveexec_b32 s27, s25
	s_cbranch_execnz .LBB2069_554
.LBB2069_486:                           ;   in Loop: Header=BB2069_396 Depth=2
	s_or_b32 exec_lo, exec_lo, s27
	v_cmp_lt_u32_e64 s26, v79, v139
	s_and_saveexec_b32 s28, s26
	s_cbranch_execnz .LBB2069_555
.LBB2069_487:                           ;   in Loop: Header=BB2069_396 Depth=2
	s_or_b32 exec_lo, exec_lo, s28
	v_cmp_lt_u32_e64 s27, v80, v139
	s_and_saveexec_b32 s29, s27
	s_cbranch_execnz .LBB2069_556
.LBB2069_488:                           ;   in Loop: Header=BB2069_396 Depth=2
	s_or_b32 exec_lo, exec_lo, s29
	v_cmp_lt_u32_e64 s28, v81, v139
	s_and_saveexec_b32 s30, s28
	s_cbranch_execnz .LBB2069_557
.LBB2069_489:                           ;   in Loop: Header=BB2069_396 Depth=2
	s_or_b32 exec_lo, exec_lo, s30
	v_cmp_lt_u32_e64 s29, v82, v139
	s_and_saveexec_b32 s58, s29
	s_cbranch_execz .LBB2069_491
.LBB2069_490:                           ;   in Loop: Header=BB2069_396 Depth=2
	ds_load_u16 v60, v93 offset:8704
	s_wait_dscnt 0x0
	v_cmp_ne_u16_e64 s30, 0x7fff, v60
	s_delay_alu instid0(VALU_DEP_1) | instskip(SKIP_1) | instid1(VALU_DEP_2)
	v_cndmask_b32_e64 v61, 0xffff8000, v60, s30
	v_cmp_lt_i16_e64 s30, -1, v60
	v_and_b32_e32 v61, 0xffff, v61
	s_delay_alu instid0(VALU_DEP_2) | instskip(NEXT) | instid1(VALU_DEP_1)
	v_cndmask_b32_e64 v140, 0xffff8000, -1, s30
	v_dual_lshrrev_b32 v61, s48, v61 :: v_dual_bitop2_b32 v60, v140, v60 bitop3:0x14
	s_delay_alu instid0(VALU_DEP_1) | instskip(NEXT) | instid1(VALU_DEP_1)
	v_and_b32_e32 v61, s52, v61
	v_lshlrev_b32_e32 v61, 2, v61
	ds_load_b32 v61, v61
	s_wait_dscnt 0x0
	v_add_nc_u32_e32 v61, v61, v82
	global_store_b16 v61, v60, s[40:41] scale_offset
.LBB2069_491:                           ;   in Loop: Header=BB2069_396 Depth=2
	s_wait_xcnt 0x0
	s_or_b32 exec_lo, exec_lo, s58
	v_lshl_add_u64 v[60:61], s[42:43], 3, v[24:25]
	v_cmp_lt_u32_e64 s30, v100, v139
	s_and_saveexec_b32 s42, s30
	s_delay_alu instid0(SALU_CYCLE_1)
	s_xor_b32 s30, exec_lo, s42
	s_cbranch_execnz .LBB2069_558
; %bb.492:                              ;   in Loop: Header=BB2069_396 Depth=2
	s_or_b32 exec_lo, exec_lo, s30
	s_delay_alu instid0(SALU_CYCLE_1)
	s_mov_b32 s42, exec_lo
	v_cmpx_lt_u32_e64 v103, v139
	s_cbranch_execnz .LBB2069_559
.LBB2069_493:                           ;   in Loop: Header=BB2069_396 Depth=2
	s_or_b32 exec_lo, exec_lo, s42
	s_delay_alu instid0(SALU_CYCLE_1)
	s_mov_b32 s42, exec_lo
	v_cmpx_lt_u32_e64 v104, v139
	s_cbranch_execnz .LBB2069_560
.LBB2069_494:                           ;   in Loop: Header=BB2069_396 Depth=2
	s_or_b32 exec_lo, exec_lo, s42
	s_delay_alu instid0(SALU_CYCLE_1)
	s_mov_b32 s42, exec_lo
	v_cmpx_lt_u32_e64 v105, v139
	s_cbranch_execnz .LBB2069_561
.LBB2069_495:                           ;   in Loop: Header=BB2069_396 Depth=2
	s_or_b32 exec_lo, exec_lo, s42
	s_delay_alu instid0(SALU_CYCLE_1)
	s_mov_b32 s42, exec_lo
	v_cmpx_lt_u32_e64 v106, v139
	s_cbranch_execnz .LBB2069_562
.LBB2069_496:                           ;   in Loop: Header=BB2069_396 Depth=2
	s_or_b32 exec_lo, exec_lo, s42
	s_delay_alu instid0(SALU_CYCLE_1)
	s_mov_b32 s42, exec_lo
	v_cmpx_lt_u32_e64 v107, v139
	s_cbranch_execnz .LBB2069_563
.LBB2069_497:                           ;   in Loop: Header=BB2069_396 Depth=2
	s_or_b32 exec_lo, exec_lo, s42
	s_delay_alu instid0(SALU_CYCLE_1)
	s_mov_b32 s42, exec_lo
	v_cmpx_lt_u32_e64 v108, v139
	s_cbranch_execnz .LBB2069_564
.LBB2069_498:                           ;   in Loop: Header=BB2069_396 Depth=2
	s_or_b32 exec_lo, exec_lo, s42
	s_delay_alu instid0(SALU_CYCLE_1)
	s_mov_b32 s42, exec_lo
	v_cmpx_lt_u32_e64 v109, v139
	s_cbranch_execnz .LBB2069_565
.LBB2069_499:                           ;   in Loop: Header=BB2069_396 Depth=2
	s_or_b32 exec_lo, exec_lo, s42
	s_delay_alu instid0(SALU_CYCLE_1)
	s_mov_b32 s42, exec_lo
	v_cmpx_lt_u32_e64 v110, v139
	s_cbranch_execnz .LBB2069_566
.LBB2069_500:                           ;   in Loop: Header=BB2069_396 Depth=2
	s_or_b32 exec_lo, exec_lo, s42
	s_delay_alu instid0(SALU_CYCLE_1)
	s_mov_b32 s42, exec_lo
	v_cmpx_lt_u32_e64 v111, v139
	s_cbranch_execnz .LBB2069_567
.LBB2069_501:                           ;   in Loop: Header=BB2069_396 Depth=2
	s_or_b32 exec_lo, exec_lo, s42
	s_delay_alu instid0(SALU_CYCLE_1)
	s_mov_b32 s42, exec_lo
	v_cmpx_lt_u32_e64 v112, v139
	s_cbranch_execnz .LBB2069_568
.LBB2069_502:                           ;   in Loop: Header=BB2069_396 Depth=2
	s_or_b32 exec_lo, exec_lo, s42
	s_delay_alu instid0(SALU_CYCLE_1)
	s_mov_b32 s42, exec_lo
	v_cmpx_lt_u32_e64 v113, v139
	s_cbranch_execnz .LBB2069_569
.LBB2069_503:                           ;   in Loop: Header=BB2069_396 Depth=2
	s_or_b32 exec_lo, exec_lo, s42
	s_delay_alu instid0(SALU_CYCLE_1)
	s_mov_b32 s42, exec_lo
	v_cmpx_lt_u32_e64 v114, v139
	s_cbranch_execnz .LBB2069_570
.LBB2069_504:                           ;   in Loop: Header=BB2069_396 Depth=2
	s_or_b32 exec_lo, exec_lo, s42
	s_delay_alu instid0(SALU_CYCLE_1)
	s_mov_b32 s42, exec_lo
	v_cmpx_lt_u32_e64 v115, v139
	s_cbranch_execnz .LBB2069_571
.LBB2069_505:                           ;   in Loop: Header=BB2069_396 Depth=2
	s_or_b32 exec_lo, exec_lo, s42
	s_delay_alu instid0(SALU_CYCLE_1)
	s_mov_b32 s42, exec_lo
	v_cmpx_lt_u32_e64 v116, v139
	s_cbranch_execnz .LBB2069_572
.LBB2069_506:                           ;   in Loop: Header=BB2069_396 Depth=2
	s_or_b32 exec_lo, exec_lo, s42
	s_delay_alu instid0(SALU_CYCLE_1)
	s_mov_b32 s42, exec_lo
	v_cmpx_lt_u32_e64 v117, v139
	s_cbranch_execnz .LBB2069_573
.LBB2069_507:                           ;   in Loop: Header=BB2069_396 Depth=2
	s_or_b32 exec_lo, exec_lo, s42
	s_and_saveexec_b32 s42, vcc_lo
	s_cbranch_execnz .LBB2069_574
.LBB2069_508:                           ;   in Loop: Header=BB2069_396 Depth=2
	s_or_b32 exec_lo, exec_lo, s42
	s_and_saveexec_b32 s42, s15
	s_cbranch_execnz .LBB2069_575
.LBB2069_509:                           ;   in Loop: Header=BB2069_396 Depth=2
	s_or_b32 exec_lo, exec_lo, s42
	s_and_saveexec_b32 s42, s16
	s_cbranch_execnz .LBB2069_576
.LBB2069_510:                           ;   in Loop: Header=BB2069_396 Depth=2
	s_or_b32 exec_lo, exec_lo, s42
	s_and_saveexec_b32 s42, s17
	s_cbranch_execnz .LBB2069_577
.LBB2069_511:                           ;   in Loop: Header=BB2069_396 Depth=2
	s_or_b32 exec_lo, exec_lo, s42
	s_and_saveexec_b32 s42, s18
	s_cbranch_execnz .LBB2069_578
.LBB2069_512:                           ;   in Loop: Header=BB2069_396 Depth=2
	s_or_b32 exec_lo, exec_lo, s42
	s_and_saveexec_b32 s42, s19
	s_cbranch_execnz .LBB2069_579
.LBB2069_513:                           ;   in Loop: Header=BB2069_396 Depth=2
	s_or_b32 exec_lo, exec_lo, s42
	s_and_saveexec_b32 s42, s20
	s_cbranch_execnz .LBB2069_580
.LBB2069_514:                           ;   in Loop: Header=BB2069_396 Depth=2
	s_or_b32 exec_lo, exec_lo, s42
	s_and_saveexec_b32 s42, s21
	s_cbranch_execnz .LBB2069_581
.LBB2069_515:                           ;   in Loop: Header=BB2069_396 Depth=2
	s_or_b32 exec_lo, exec_lo, s42
	s_and_saveexec_b32 s42, s22
	s_cbranch_execnz .LBB2069_582
.LBB2069_516:                           ;   in Loop: Header=BB2069_396 Depth=2
	s_or_b32 exec_lo, exec_lo, s42
	s_and_saveexec_b32 s42, s23
	s_cbranch_execnz .LBB2069_583
.LBB2069_517:                           ;   in Loop: Header=BB2069_396 Depth=2
	s_or_b32 exec_lo, exec_lo, s42
	s_and_saveexec_b32 s42, s24
	s_cbranch_execnz .LBB2069_584
.LBB2069_518:                           ;   in Loop: Header=BB2069_396 Depth=2
	s_or_b32 exec_lo, exec_lo, s42
	s_and_saveexec_b32 s42, s25
	s_cbranch_execnz .LBB2069_585
.LBB2069_519:                           ;   in Loop: Header=BB2069_396 Depth=2
	s_or_b32 exec_lo, exec_lo, s42
	s_and_saveexec_b32 s42, s26
	s_cbranch_execnz .LBB2069_586
.LBB2069_520:                           ;   in Loop: Header=BB2069_396 Depth=2
	s_or_b32 exec_lo, exec_lo, s42
	s_and_saveexec_b32 s42, s27
	s_cbranch_execnz .LBB2069_587
.LBB2069_521:                           ;   in Loop: Header=BB2069_396 Depth=2
	s_or_b32 exec_lo, exec_lo, s42
	s_and_saveexec_b32 s42, s28
	s_cbranch_execnz .LBB2069_588
.LBB2069_522:                           ;   in Loop: Header=BB2069_396 Depth=2
	s_or_b32 exec_lo, exec_lo, s42
	s_and_saveexec_b32 s42, s29
	s_cbranch_execz .LBB2069_524
.LBB2069_523:                           ;   in Loop: Header=BB2069_396 Depth=2
	ds_load_u16 v60, v93 offset:8704
	s_wait_dscnt 0x0
	v_cmp_ne_u16_e64 s30, 0x7fff, v60
	s_delay_alu instid0(VALU_DEP_1) | instskip(NEXT) | instid1(VALU_DEP_1)
	v_cndmask_b32_e64 v60, 0xffff8000, v60, s30
	v_and_b32_e32 v60, 0xffff, v60
	s_delay_alu instid0(VALU_DEP_1) | instskip(NEXT) | instid1(VALU_DEP_1)
	v_lshrrev_b32_e32 v60, s48, v60
	v_and_b32_e32 v123, s52, v60
.LBB2069_524:                           ;   in Loop: Header=BB2069_396 Depth=2
	s_or_b32 exec_lo, exec_lo, s42
	v_dual_lshlrev_b32 v60, 3, v163 :: v_dual_lshlrev_b32 v140, 3, v150
	s_wait_loadcnt 0x0
	s_wait_storecnt 0x0
	s_barrier_signal -1
	s_barrier_wait -1
	ds_store_b64 v60, v[58:59] offset:1024
	v_dual_lshlrev_b32 v60, 3, v159 :: v_dual_lshlrev_b32 v141, 3, v149
	v_lshlrev_b32_e32 v61, 3, v155
	v_lshlrev_b32_e32 v139, 3, v151
	ds_store_b64 v60, v[56:57] offset:1024
	ds_store_b64 v61, v[54:55] offset:1024
	ds_store_b64 v139, v[52:53] offset:1024
	ds_store_b64 v140, v[50:51] offset:1024
	ds_store_b64 v141, v[48:49] offset:1024
	v_dual_lshlrev_b32 v60, 3, v147 :: v_dual_lshlrev_b32 v141, 3, v142
	v_dual_lshlrev_b32 v61, 3, v146 :: v_dual_lshlrev_b32 v139, 3, v145
	v_lshlrev_b32_e32 v140, 3, v143
	ds_store_b64 v60, v[46:47] offset:1024
	ds_store_b64 v61, v[44:45] offset:1024
	;; [unrolled: 1-line block ×5, first 2 shown]
	v_dual_lshlrev_b32 v60, 3, v63 :: v_dual_lshlrev_b32 v65, 3, v65
	v_dual_lshlrev_b32 v61, 3, v67 :: v_dual_lshlrev_b32 v64, 3, v64
	v_lshlrev_b32_e32 v63, 3, v66
	ds_store_b64 v60, v[36:37] offset:1024
	ds_store_b64 v61, v[34:35] offset:1024
	;; [unrolled: 1-line block ×5, first 2 shown]
	s_wait_dscnt 0x0
	s_barrier_signal -1
	s_barrier_wait -1
	s_and_saveexec_b32 s30, vcc_lo
	s_cbranch_execnz .LBB2069_589
; %bb.525:                              ;   in Loop: Header=BB2069_396 Depth=2
	s_or_b32 exec_lo, exec_lo, s30
	s_and_saveexec_b32 s30, s15
	s_cbranch_execnz .LBB2069_590
.LBB2069_526:                           ;   in Loop: Header=BB2069_396 Depth=2
	s_or_b32 exec_lo, exec_lo, s30
	s_and_saveexec_b32 s15, s16
	s_cbranch_execnz .LBB2069_591
.LBB2069_527:                           ;   in Loop: Header=BB2069_396 Depth=2
	s_or_b32 exec_lo, exec_lo, s15
	s_and_saveexec_b32 s15, s17
	s_cbranch_execnz .LBB2069_592
.LBB2069_528:                           ;   in Loop: Header=BB2069_396 Depth=2
	s_or_b32 exec_lo, exec_lo, s15
	s_and_saveexec_b32 s15, s18
	s_cbranch_execnz .LBB2069_593
.LBB2069_529:                           ;   in Loop: Header=BB2069_396 Depth=2
	s_or_b32 exec_lo, exec_lo, s15
	s_and_saveexec_b32 s15, s19
	s_cbranch_execnz .LBB2069_594
.LBB2069_530:                           ;   in Loop: Header=BB2069_396 Depth=2
	s_or_b32 exec_lo, exec_lo, s15
	s_and_saveexec_b32 s15, s20
	s_cbranch_execnz .LBB2069_595
.LBB2069_531:                           ;   in Loop: Header=BB2069_396 Depth=2
	s_or_b32 exec_lo, exec_lo, s15
	s_and_saveexec_b32 s15, s21
	s_cbranch_execnz .LBB2069_596
.LBB2069_532:                           ;   in Loop: Header=BB2069_396 Depth=2
	s_or_b32 exec_lo, exec_lo, s15
	s_and_saveexec_b32 s15, s22
	s_cbranch_execnz .LBB2069_597
.LBB2069_533:                           ;   in Loop: Header=BB2069_396 Depth=2
	s_or_b32 exec_lo, exec_lo, s15
	s_and_saveexec_b32 s15, s23
	s_cbranch_execnz .LBB2069_598
.LBB2069_534:                           ;   in Loop: Header=BB2069_396 Depth=2
	s_or_b32 exec_lo, exec_lo, s15
	s_and_saveexec_b32 s15, s24
	s_cbranch_execnz .LBB2069_599
.LBB2069_535:                           ;   in Loop: Header=BB2069_396 Depth=2
	s_or_b32 exec_lo, exec_lo, s15
	s_and_saveexec_b32 s15, s25
	s_cbranch_execnz .LBB2069_600
.LBB2069_536:                           ;   in Loop: Header=BB2069_396 Depth=2
	s_or_b32 exec_lo, exec_lo, s15
	s_and_saveexec_b32 s15, s26
	s_cbranch_execnz .LBB2069_601
.LBB2069_537:                           ;   in Loop: Header=BB2069_396 Depth=2
	s_or_b32 exec_lo, exec_lo, s15
	s_and_saveexec_b32 s15, s27
	s_cbranch_execnz .LBB2069_602
.LBB2069_538:                           ;   in Loop: Header=BB2069_396 Depth=2
	s_or_b32 exec_lo, exec_lo, s15
	s_and_saveexec_b32 s15, s28
	s_cbranch_execnz .LBB2069_603
.LBB2069_539:                           ;   in Loop: Header=BB2069_396 Depth=2
	s_or_b32 exec_lo, exec_lo, s15
	s_and_saveexec_b32 s15, s29
	s_cbranch_execz .LBB2069_541
.LBB2069_540:                           ;   in Loop: Header=BB2069_396 Depth=2
	v_dual_lshlrev_b32 v60, 2, v123 :: v_dual_add_nc_u32 v61, v93, v94
	ds_load_b32 v63, v60
	ds_load_b64 v[60:61], v61 offset:31744
	s_wait_dscnt 0x1
	v_add_nc_u32_e32 v63, v63, v82
	s_wait_dscnt 0x0
	global_store_b64 v63, v[60:61], s[46:47] scale_offset
.LBB2069_541:                           ;   in Loop: Header=BB2069_396 Depth=2
	s_wait_xcnt 0x0
	s_or_b32 exec_lo, exec_lo, s15
	s_wait_storecnt 0x0
	s_barrier_signal -1
	s_barrier_wait -1
	s_and_saveexec_b32 s15, s0
	s_cbranch_execz .LBB2069_395
; %bb.542:                              ;   in Loop: Header=BB2069_396 Depth=2
	ds_load_b32 v60, v3
	s_wait_dscnt 0x0
	v_add_nc_u32_e32 v60, v60, v62
	ds_store_b32 v3, v60
	s_branch .LBB2069_395
.LBB2069_543:                           ;   in Loop: Header=BB2069_396 Depth=2
	ds_load_u16 v60, v93 offset:1024
	s_wait_dscnt 0x0
	v_cmp_ne_u16_e64 s15, 0x7fff, v60
	s_delay_alu instid0(VALU_DEP_1) | instskip(SKIP_1) | instid1(VALU_DEP_2)
	v_cndmask_b32_e64 v61, 0xffff8000, v60, s15
	v_cmp_lt_i16_e64 s15, -1, v60
	v_and_b32_e32 v61, 0xffff, v61
	s_delay_alu instid0(VALU_DEP_2) | instskip(NEXT) | instid1(VALU_DEP_1)
	v_cndmask_b32_e64 v140, 0xffff8000, -1, s15
	v_dual_lshrrev_b32 v61, s48, v61 :: v_dual_bitop2_b32 v60, v140, v60 bitop3:0x14
	s_delay_alu instid0(VALU_DEP_1) | instskip(NEXT) | instid1(VALU_DEP_1)
	v_and_b32_e32 v61, s52, v61
	v_lshlrev_b32_e32 v61, 2, v61
	ds_load_b32 v61, v61
	s_wait_dscnt 0x0
	v_add_nc_u32_e32 v61, v61, v2
	global_store_b16 v61, v60, s[40:41] scale_offset
	s_wait_xcnt 0x0
	s_or_b32 exec_lo, exec_lo, s16
	v_cmp_lt_u32_e64 s15, v68, v139
	s_and_saveexec_b32 s17, s15
	s_cbranch_execz .LBB2069_476
.LBB2069_544:                           ;   in Loop: Header=BB2069_396 Depth=2
	ds_load_u16 v60, v93 offset:1536
	s_wait_dscnt 0x0
	v_cmp_ne_u16_e64 s16, 0x7fff, v60
	s_delay_alu instid0(VALU_DEP_1) | instskip(SKIP_1) | instid1(VALU_DEP_2)
	v_cndmask_b32_e64 v61, 0xffff8000, v60, s16
	v_cmp_lt_i16_e64 s16, -1, v60
	v_and_b32_e32 v61, 0xffff, v61
	s_delay_alu instid0(VALU_DEP_2) | instskip(NEXT) | instid1(VALU_DEP_1)
	v_cndmask_b32_e64 v140, 0xffff8000, -1, s16
	v_dual_lshrrev_b32 v61, s48, v61 :: v_dual_bitop2_b32 v60, v140, v60 bitop3:0x14
	s_delay_alu instid0(VALU_DEP_1) | instskip(NEXT) | instid1(VALU_DEP_1)
	v_and_b32_e32 v61, s52, v61
	v_lshlrev_b32_e32 v61, 2, v61
	ds_load_b32 v61, v61
	s_wait_dscnt 0x0
	v_add_nc_u32_e32 v61, v61, v68
	global_store_b16 v61, v60, s[40:41] scale_offset
	s_wait_xcnt 0x0
	s_or_b32 exec_lo, exec_lo, s17
	v_cmp_lt_u32_e64 s16, v69, v139
	s_and_saveexec_b32 s18, s16
	s_cbranch_execz .LBB2069_477
.LBB2069_545:                           ;   in Loop: Header=BB2069_396 Depth=2
	ds_load_u16 v60, v93 offset:2048
	s_wait_dscnt 0x0
	v_cmp_ne_u16_e64 s17, 0x7fff, v60
	s_delay_alu instid0(VALU_DEP_1) | instskip(SKIP_1) | instid1(VALU_DEP_2)
	v_cndmask_b32_e64 v61, 0xffff8000, v60, s17
	v_cmp_lt_i16_e64 s17, -1, v60
	v_and_b32_e32 v61, 0xffff, v61
	s_delay_alu instid0(VALU_DEP_2) | instskip(NEXT) | instid1(VALU_DEP_1)
	v_cndmask_b32_e64 v140, 0xffff8000, -1, s17
	v_dual_lshrrev_b32 v61, s48, v61 :: v_dual_bitop2_b32 v60, v140, v60 bitop3:0x14
	s_delay_alu instid0(VALU_DEP_1) | instskip(NEXT) | instid1(VALU_DEP_1)
	v_and_b32_e32 v61, s52, v61
	v_lshlrev_b32_e32 v61, 2, v61
	ds_load_b32 v61, v61
	s_wait_dscnt 0x0
	v_add_nc_u32_e32 v61, v61, v69
	global_store_b16 v61, v60, s[40:41] scale_offset
	s_wait_xcnt 0x0
	s_or_b32 exec_lo, exec_lo, s18
	v_cmp_lt_u32_e64 s17, v70, v139
	s_and_saveexec_b32 s19, s17
	s_cbranch_execz .LBB2069_478
.LBB2069_546:                           ;   in Loop: Header=BB2069_396 Depth=2
	ds_load_u16 v60, v93 offset:2560
	s_wait_dscnt 0x0
	v_cmp_ne_u16_e64 s18, 0x7fff, v60
	s_delay_alu instid0(VALU_DEP_1) | instskip(SKIP_1) | instid1(VALU_DEP_2)
	v_cndmask_b32_e64 v61, 0xffff8000, v60, s18
	v_cmp_lt_i16_e64 s18, -1, v60
	v_and_b32_e32 v61, 0xffff, v61
	s_delay_alu instid0(VALU_DEP_2) | instskip(NEXT) | instid1(VALU_DEP_1)
	v_cndmask_b32_e64 v140, 0xffff8000, -1, s18
	v_dual_lshrrev_b32 v61, s48, v61 :: v_dual_bitop2_b32 v60, v140, v60 bitop3:0x14
	s_delay_alu instid0(VALU_DEP_1) | instskip(NEXT) | instid1(VALU_DEP_1)
	v_and_b32_e32 v61, s52, v61
	v_lshlrev_b32_e32 v61, 2, v61
	ds_load_b32 v61, v61
	s_wait_dscnt 0x0
	v_add_nc_u32_e32 v61, v61, v70
	global_store_b16 v61, v60, s[40:41] scale_offset
	s_wait_xcnt 0x0
	s_or_b32 exec_lo, exec_lo, s19
	v_cmp_lt_u32_e64 s18, v71, v139
	s_and_saveexec_b32 s20, s18
	s_cbranch_execz .LBB2069_479
.LBB2069_547:                           ;   in Loop: Header=BB2069_396 Depth=2
	ds_load_u16 v60, v93 offset:3072
	s_wait_dscnt 0x0
	v_cmp_ne_u16_e64 s19, 0x7fff, v60
	s_delay_alu instid0(VALU_DEP_1) | instskip(SKIP_1) | instid1(VALU_DEP_2)
	v_cndmask_b32_e64 v61, 0xffff8000, v60, s19
	v_cmp_lt_i16_e64 s19, -1, v60
	v_and_b32_e32 v61, 0xffff, v61
	s_delay_alu instid0(VALU_DEP_2) | instskip(NEXT) | instid1(VALU_DEP_1)
	v_cndmask_b32_e64 v140, 0xffff8000, -1, s19
	v_dual_lshrrev_b32 v61, s48, v61 :: v_dual_bitop2_b32 v60, v140, v60 bitop3:0x14
	s_delay_alu instid0(VALU_DEP_1) | instskip(NEXT) | instid1(VALU_DEP_1)
	v_and_b32_e32 v61, s52, v61
	v_lshlrev_b32_e32 v61, 2, v61
	ds_load_b32 v61, v61
	s_wait_dscnt 0x0
	v_add_nc_u32_e32 v61, v61, v71
	global_store_b16 v61, v60, s[40:41] scale_offset
	s_wait_xcnt 0x0
	s_or_b32 exec_lo, exec_lo, s20
	v_cmp_lt_u32_e64 s19, v72, v139
	s_and_saveexec_b32 s21, s19
	s_cbranch_execz .LBB2069_480
.LBB2069_548:                           ;   in Loop: Header=BB2069_396 Depth=2
	ds_load_u16 v60, v93 offset:3584
	s_wait_dscnt 0x0
	v_cmp_ne_u16_e64 s20, 0x7fff, v60
	s_delay_alu instid0(VALU_DEP_1) | instskip(SKIP_1) | instid1(VALU_DEP_2)
	v_cndmask_b32_e64 v61, 0xffff8000, v60, s20
	v_cmp_lt_i16_e64 s20, -1, v60
	v_and_b32_e32 v61, 0xffff, v61
	s_delay_alu instid0(VALU_DEP_2) | instskip(NEXT) | instid1(VALU_DEP_1)
	v_cndmask_b32_e64 v140, 0xffff8000, -1, s20
	v_dual_lshrrev_b32 v61, s48, v61 :: v_dual_bitop2_b32 v60, v140, v60 bitop3:0x14
	s_delay_alu instid0(VALU_DEP_1) | instskip(NEXT) | instid1(VALU_DEP_1)
	v_and_b32_e32 v61, s52, v61
	v_lshlrev_b32_e32 v61, 2, v61
	ds_load_b32 v61, v61
	s_wait_dscnt 0x0
	v_add_nc_u32_e32 v61, v61, v72
	global_store_b16 v61, v60, s[40:41] scale_offset
	s_wait_xcnt 0x0
	s_or_b32 exec_lo, exec_lo, s21
	v_cmp_lt_u32_e64 s20, v73, v139
	s_and_saveexec_b32 s22, s20
	s_cbranch_execz .LBB2069_481
.LBB2069_549:                           ;   in Loop: Header=BB2069_396 Depth=2
	ds_load_u16 v60, v93 offset:4096
	s_wait_dscnt 0x0
	v_cmp_ne_u16_e64 s21, 0x7fff, v60
	s_delay_alu instid0(VALU_DEP_1) | instskip(SKIP_1) | instid1(VALU_DEP_2)
	v_cndmask_b32_e64 v61, 0xffff8000, v60, s21
	v_cmp_lt_i16_e64 s21, -1, v60
	v_and_b32_e32 v61, 0xffff, v61
	s_delay_alu instid0(VALU_DEP_2) | instskip(NEXT) | instid1(VALU_DEP_1)
	v_cndmask_b32_e64 v140, 0xffff8000, -1, s21
	v_dual_lshrrev_b32 v61, s48, v61 :: v_dual_bitop2_b32 v60, v140, v60 bitop3:0x14
	s_delay_alu instid0(VALU_DEP_1) | instskip(NEXT) | instid1(VALU_DEP_1)
	v_and_b32_e32 v61, s52, v61
	v_lshlrev_b32_e32 v61, 2, v61
	ds_load_b32 v61, v61
	s_wait_dscnt 0x0
	v_add_nc_u32_e32 v61, v61, v73
	global_store_b16 v61, v60, s[40:41] scale_offset
	s_wait_xcnt 0x0
	s_or_b32 exec_lo, exec_lo, s22
	v_cmp_lt_u32_e64 s21, v74, v139
	s_and_saveexec_b32 s23, s21
	s_cbranch_execz .LBB2069_482
.LBB2069_550:                           ;   in Loop: Header=BB2069_396 Depth=2
	ds_load_u16 v60, v93 offset:4608
	s_wait_dscnt 0x0
	v_cmp_ne_u16_e64 s22, 0x7fff, v60
	s_delay_alu instid0(VALU_DEP_1) | instskip(SKIP_1) | instid1(VALU_DEP_2)
	v_cndmask_b32_e64 v61, 0xffff8000, v60, s22
	v_cmp_lt_i16_e64 s22, -1, v60
	v_and_b32_e32 v61, 0xffff, v61
	s_delay_alu instid0(VALU_DEP_2) | instskip(NEXT) | instid1(VALU_DEP_1)
	v_cndmask_b32_e64 v140, 0xffff8000, -1, s22
	v_dual_lshrrev_b32 v61, s48, v61 :: v_dual_bitop2_b32 v60, v140, v60 bitop3:0x14
	s_delay_alu instid0(VALU_DEP_1) | instskip(NEXT) | instid1(VALU_DEP_1)
	v_and_b32_e32 v61, s52, v61
	v_lshlrev_b32_e32 v61, 2, v61
	ds_load_b32 v61, v61
	s_wait_dscnt 0x0
	v_add_nc_u32_e32 v61, v61, v74
	global_store_b16 v61, v60, s[40:41] scale_offset
	s_wait_xcnt 0x0
	s_or_b32 exec_lo, exec_lo, s23
	v_cmp_lt_u32_e64 s22, v75, v139
	s_and_saveexec_b32 s24, s22
	s_cbranch_execz .LBB2069_483
.LBB2069_551:                           ;   in Loop: Header=BB2069_396 Depth=2
	ds_load_u16 v60, v93 offset:5120
	s_wait_dscnt 0x0
	v_cmp_ne_u16_e64 s23, 0x7fff, v60
	s_delay_alu instid0(VALU_DEP_1) | instskip(SKIP_1) | instid1(VALU_DEP_2)
	v_cndmask_b32_e64 v61, 0xffff8000, v60, s23
	v_cmp_lt_i16_e64 s23, -1, v60
	v_and_b32_e32 v61, 0xffff, v61
	s_delay_alu instid0(VALU_DEP_2) | instskip(NEXT) | instid1(VALU_DEP_1)
	v_cndmask_b32_e64 v140, 0xffff8000, -1, s23
	v_dual_lshrrev_b32 v61, s48, v61 :: v_dual_bitop2_b32 v60, v140, v60 bitop3:0x14
	s_delay_alu instid0(VALU_DEP_1) | instskip(NEXT) | instid1(VALU_DEP_1)
	v_and_b32_e32 v61, s52, v61
	v_lshlrev_b32_e32 v61, 2, v61
	ds_load_b32 v61, v61
	s_wait_dscnt 0x0
	v_add_nc_u32_e32 v61, v61, v75
	global_store_b16 v61, v60, s[40:41] scale_offset
	s_wait_xcnt 0x0
	s_or_b32 exec_lo, exec_lo, s24
	v_cmp_lt_u32_e64 s23, v76, v139
	s_and_saveexec_b32 s25, s23
	s_cbranch_execz .LBB2069_484
.LBB2069_552:                           ;   in Loop: Header=BB2069_396 Depth=2
	ds_load_u16 v60, v93 offset:5632
	s_wait_dscnt 0x0
	v_cmp_ne_u16_e64 s24, 0x7fff, v60
	s_delay_alu instid0(VALU_DEP_1) | instskip(SKIP_1) | instid1(VALU_DEP_2)
	v_cndmask_b32_e64 v61, 0xffff8000, v60, s24
	v_cmp_lt_i16_e64 s24, -1, v60
	v_and_b32_e32 v61, 0xffff, v61
	s_delay_alu instid0(VALU_DEP_2) | instskip(NEXT) | instid1(VALU_DEP_1)
	v_cndmask_b32_e64 v140, 0xffff8000, -1, s24
	v_dual_lshrrev_b32 v61, s48, v61 :: v_dual_bitop2_b32 v60, v140, v60 bitop3:0x14
	s_delay_alu instid0(VALU_DEP_1) | instskip(NEXT) | instid1(VALU_DEP_1)
	v_and_b32_e32 v61, s52, v61
	v_lshlrev_b32_e32 v61, 2, v61
	ds_load_b32 v61, v61
	s_wait_dscnt 0x0
	v_add_nc_u32_e32 v61, v61, v76
	global_store_b16 v61, v60, s[40:41] scale_offset
	s_wait_xcnt 0x0
	s_or_b32 exec_lo, exec_lo, s25
	v_cmp_lt_u32_e64 s24, v77, v139
	s_and_saveexec_b32 s26, s24
	s_cbranch_execz .LBB2069_485
.LBB2069_553:                           ;   in Loop: Header=BB2069_396 Depth=2
	ds_load_u16 v60, v93 offset:6144
	s_wait_dscnt 0x0
	v_cmp_ne_u16_e64 s25, 0x7fff, v60
	s_delay_alu instid0(VALU_DEP_1) | instskip(SKIP_1) | instid1(VALU_DEP_2)
	v_cndmask_b32_e64 v61, 0xffff8000, v60, s25
	v_cmp_lt_i16_e64 s25, -1, v60
	v_and_b32_e32 v61, 0xffff, v61
	s_delay_alu instid0(VALU_DEP_2) | instskip(NEXT) | instid1(VALU_DEP_1)
	v_cndmask_b32_e64 v140, 0xffff8000, -1, s25
	v_dual_lshrrev_b32 v61, s48, v61 :: v_dual_bitop2_b32 v60, v140, v60 bitop3:0x14
	s_delay_alu instid0(VALU_DEP_1) | instskip(NEXT) | instid1(VALU_DEP_1)
	v_and_b32_e32 v61, s52, v61
	v_lshlrev_b32_e32 v61, 2, v61
	ds_load_b32 v61, v61
	s_wait_dscnt 0x0
	v_add_nc_u32_e32 v61, v61, v77
	global_store_b16 v61, v60, s[40:41] scale_offset
	s_wait_xcnt 0x0
	s_or_b32 exec_lo, exec_lo, s26
	v_cmp_lt_u32_e64 s25, v78, v139
	s_and_saveexec_b32 s27, s25
	s_cbranch_execz .LBB2069_486
.LBB2069_554:                           ;   in Loop: Header=BB2069_396 Depth=2
	ds_load_u16 v60, v93 offset:6656
	s_wait_dscnt 0x0
	v_cmp_ne_u16_e64 s26, 0x7fff, v60
	s_delay_alu instid0(VALU_DEP_1) | instskip(SKIP_1) | instid1(VALU_DEP_2)
	v_cndmask_b32_e64 v61, 0xffff8000, v60, s26
	v_cmp_lt_i16_e64 s26, -1, v60
	v_and_b32_e32 v61, 0xffff, v61
	s_delay_alu instid0(VALU_DEP_2) | instskip(NEXT) | instid1(VALU_DEP_1)
	v_cndmask_b32_e64 v140, 0xffff8000, -1, s26
	v_dual_lshrrev_b32 v61, s48, v61 :: v_dual_bitop2_b32 v60, v140, v60 bitop3:0x14
	s_delay_alu instid0(VALU_DEP_1) | instskip(NEXT) | instid1(VALU_DEP_1)
	v_and_b32_e32 v61, s52, v61
	v_lshlrev_b32_e32 v61, 2, v61
	ds_load_b32 v61, v61
	s_wait_dscnt 0x0
	v_add_nc_u32_e32 v61, v61, v78
	global_store_b16 v61, v60, s[40:41] scale_offset
	s_wait_xcnt 0x0
	s_or_b32 exec_lo, exec_lo, s27
	v_cmp_lt_u32_e64 s26, v79, v139
	s_and_saveexec_b32 s28, s26
	s_cbranch_execz .LBB2069_487
.LBB2069_555:                           ;   in Loop: Header=BB2069_396 Depth=2
	ds_load_u16 v60, v93 offset:7168
	s_wait_dscnt 0x0
	v_cmp_ne_u16_e64 s27, 0x7fff, v60
	s_delay_alu instid0(VALU_DEP_1) | instskip(SKIP_1) | instid1(VALU_DEP_2)
	v_cndmask_b32_e64 v61, 0xffff8000, v60, s27
	v_cmp_lt_i16_e64 s27, -1, v60
	v_and_b32_e32 v61, 0xffff, v61
	s_delay_alu instid0(VALU_DEP_2) | instskip(NEXT) | instid1(VALU_DEP_1)
	v_cndmask_b32_e64 v140, 0xffff8000, -1, s27
	v_dual_lshrrev_b32 v61, s48, v61 :: v_dual_bitop2_b32 v60, v140, v60 bitop3:0x14
	s_delay_alu instid0(VALU_DEP_1) | instskip(NEXT) | instid1(VALU_DEP_1)
	v_and_b32_e32 v61, s52, v61
	v_lshlrev_b32_e32 v61, 2, v61
	ds_load_b32 v61, v61
	s_wait_dscnt 0x0
	v_add_nc_u32_e32 v61, v61, v79
	global_store_b16 v61, v60, s[40:41] scale_offset
	s_wait_xcnt 0x0
	s_or_b32 exec_lo, exec_lo, s28
	v_cmp_lt_u32_e64 s27, v80, v139
	s_and_saveexec_b32 s29, s27
	s_cbranch_execz .LBB2069_488
.LBB2069_556:                           ;   in Loop: Header=BB2069_396 Depth=2
	ds_load_u16 v60, v93 offset:7680
	s_wait_dscnt 0x0
	v_cmp_ne_u16_e64 s28, 0x7fff, v60
	s_delay_alu instid0(VALU_DEP_1) | instskip(SKIP_1) | instid1(VALU_DEP_2)
	v_cndmask_b32_e64 v61, 0xffff8000, v60, s28
	v_cmp_lt_i16_e64 s28, -1, v60
	v_and_b32_e32 v61, 0xffff, v61
	s_delay_alu instid0(VALU_DEP_2) | instskip(NEXT) | instid1(VALU_DEP_1)
	v_cndmask_b32_e64 v140, 0xffff8000, -1, s28
	v_dual_lshrrev_b32 v61, s48, v61 :: v_dual_bitop2_b32 v60, v140, v60 bitop3:0x14
	s_delay_alu instid0(VALU_DEP_1) | instskip(NEXT) | instid1(VALU_DEP_1)
	v_and_b32_e32 v61, s52, v61
	v_lshlrev_b32_e32 v61, 2, v61
	ds_load_b32 v61, v61
	s_wait_dscnt 0x0
	v_add_nc_u32_e32 v61, v61, v80
	global_store_b16 v61, v60, s[40:41] scale_offset
	s_wait_xcnt 0x0
	s_or_b32 exec_lo, exec_lo, s29
	v_cmp_lt_u32_e64 s28, v81, v139
	s_and_saveexec_b32 s30, s28
	s_cbranch_execz .LBB2069_489
.LBB2069_557:                           ;   in Loop: Header=BB2069_396 Depth=2
	ds_load_u16 v60, v93 offset:8192
	s_wait_dscnt 0x0
	v_cmp_ne_u16_e64 s29, 0x7fff, v60
	s_delay_alu instid0(VALU_DEP_1) | instskip(SKIP_1) | instid1(VALU_DEP_2)
	v_cndmask_b32_e64 v61, 0xffff8000, v60, s29
	v_cmp_lt_i16_e64 s29, -1, v60
	v_and_b32_e32 v61, 0xffff, v61
	s_delay_alu instid0(VALU_DEP_2) | instskip(NEXT) | instid1(VALU_DEP_1)
	v_cndmask_b32_e64 v140, 0xffff8000, -1, s29
	v_dual_lshrrev_b32 v61, s48, v61 :: v_dual_bitop2_b32 v60, v140, v60 bitop3:0x14
	s_delay_alu instid0(VALU_DEP_1) | instskip(NEXT) | instid1(VALU_DEP_1)
	v_and_b32_e32 v61, s52, v61
	v_lshlrev_b32_e32 v61, 2, v61
	ds_load_b32 v61, v61
	s_wait_dscnt 0x0
	v_add_nc_u32_e32 v61, v61, v81
	global_store_b16 v61, v60, s[40:41] scale_offset
	s_wait_xcnt 0x0
	s_or_b32 exec_lo, exec_lo, s30
	v_cmp_lt_u32_e64 s29, v82, v139
	s_and_saveexec_b32 s58, s29
	s_cbranch_execnz .LBB2069_490
	s_branch .LBB2069_491
.LBB2069_558:                           ;   in Loop: Header=BB2069_396 Depth=2
	global_load_b64 v[58:59], v[60:61], off
	s_wait_xcnt 0x0
	s_or_b32 exec_lo, exec_lo, s30
	s_delay_alu instid0(SALU_CYCLE_1)
	s_mov_b32 s42, exec_lo
	v_cmpx_lt_u32_e64 v103, v139
	s_cbranch_execz .LBB2069_493
.LBB2069_559:                           ;   in Loop: Header=BB2069_396 Depth=2
	global_load_b64 v[56:57], v[60:61], off offset:256
	s_wait_xcnt 0x0
	s_or_b32 exec_lo, exec_lo, s42
	s_delay_alu instid0(SALU_CYCLE_1)
	s_mov_b32 s42, exec_lo
	v_cmpx_lt_u32_e64 v104, v139
	s_cbranch_execz .LBB2069_494
.LBB2069_560:                           ;   in Loop: Header=BB2069_396 Depth=2
	global_load_b64 v[54:55], v[60:61], off offset:512
	s_wait_xcnt 0x0
	s_or_b32 exec_lo, exec_lo, s42
	s_delay_alu instid0(SALU_CYCLE_1)
	s_mov_b32 s42, exec_lo
	v_cmpx_lt_u32_e64 v105, v139
	s_cbranch_execz .LBB2069_495
.LBB2069_561:                           ;   in Loop: Header=BB2069_396 Depth=2
	global_load_b64 v[52:53], v[60:61], off offset:768
	s_wait_xcnt 0x0
	s_or_b32 exec_lo, exec_lo, s42
	s_delay_alu instid0(SALU_CYCLE_1)
	s_mov_b32 s42, exec_lo
	v_cmpx_lt_u32_e64 v106, v139
	s_cbranch_execz .LBB2069_496
.LBB2069_562:                           ;   in Loop: Header=BB2069_396 Depth=2
	global_load_b64 v[50:51], v[60:61], off offset:1024
	s_wait_xcnt 0x0
	s_or_b32 exec_lo, exec_lo, s42
	s_delay_alu instid0(SALU_CYCLE_1)
	s_mov_b32 s42, exec_lo
	v_cmpx_lt_u32_e64 v107, v139
	s_cbranch_execz .LBB2069_497
.LBB2069_563:                           ;   in Loop: Header=BB2069_396 Depth=2
	global_load_b64 v[48:49], v[60:61], off offset:1280
	s_wait_xcnt 0x0
	s_or_b32 exec_lo, exec_lo, s42
	s_delay_alu instid0(SALU_CYCLE_1)
	s_mov_b32 s42, exec_lo
	v_cmpx_lt_u32_e64 v108, v139
	s_cbranch_execz .LBB2069_498
.LBB2069_564:                           ;   in Loop: Header=BB2069_396 Depth=2
	global_load_b64 v[46:47], v[60:61], off offset:1536
	s_wait_xcnt 0x0
	s_or_b32 exec_lo, exec_lo, s42
	s_delay_alu instid0(SALU_CYCLE_1)
	s_mov_b32 s42, exec_lo
	v_cmpx_lt_u32_e64 v109, v139
	s_cbranch_execz .LBB2069_499
.LBB2069_565:                           ;   in Loop: Header=BB2069_396 Depth=2
	global_load_b64 v[44:45], v[60:61], off offset:1792
	s_wait_xcnt 0x0
	s_or_b32 exec_lo, exec_lo, s42
	s_delay_alu instid0(SALU_CYCLE_1)
	s_mov_b32 s42, exec_lo
	v_cmpx_lt_u32_e64 v110, v139
	s_cbranch_execz .LBB2069_500
.LBB2069_566:                           ;   in Loop: Header=BB2069_396 Depth=2
	global_load_b64 v[42:43], v[60:61], off offset:2048
	s_wait_xcnt 0x0
	s_or_b32 exec_lo, exec_lo, s42
	s_delay_alu instid0(SALU_CYCLE_1)
	s_mov_b32 s42, exec_lo
	v_cmpx_lt_u32_e64 v111, v139
	s_cbranch_execz .LBB2069_501
.LBB2069_567:                           ;   in Loop: Header=BB2069_396 Depth=2
	global_load_b64 v[40:41], v[60:61], off offset:2304
	s_wait_xcnt 0x0
	s_or_b32 exec_lo, exec_lo, s42
	s_delay_alu instid0(SALU_CYCLE_1)
	s_mov_b32 s42, exec_lo
	v_cmpx_lt_u32_e64 v112, v139
	s_cbranch_execz .LBB2069_502
.LBB2069_568:                           ;   in Loop: Header=BB2069_396 Depth=2
	global_load_b64 v[38:39], v[60:61], off offset:2560
	s_wait_xcnt 0x0
	s_or_b32 exec_lo, exec_lo, s42
	s_delay_alu instid0(SALU_CYCLE_1)
	s_mov_b32 s42, exec_lo
	v_cmpx_lt_u32_e64 v113, v139
	s_cbranch_execz .LBB2069_503
.LBB2069_569:                           ;   in Loop: Header=BB2069_396 Depth=2
	global_load_b64 v[36:37], v[60:61], off offset:2816
	s_wait_xcnt 0x0
	s_or_b32 exec_lo, exec_lo, s42
	s_delay_alu instid0(SALU_CYCLE_1)
	s_mov_b32 s42, exec_lo
	v_cmpx_lt_u32_e64 v114, v139
	s_cbranch_execz .LBB2069_504
.LBB2069_570:                           ;   in Loop: Header=BB2069_396 Depth=2
	global_load_b64 v[34:35], v[60:61], off offset:3072
	s_wait_xcnt 0x0
	s_or_b32 exec_lo, exec_lo, s42
	s_delay_alu instid0(SALU_CYCLE_1)
	s_mov_b32 s42, exec_lo
	v_cmpx_lt_u32_e64 v115, v139
	s_cbranch_execz .LBB2069_505
.LBB2069_571:                           ;   in Loop: Header=BB2069_396 Depth=2
	global_load_b64 v[32:33], v[60:61], off offset:3328
	s_wait_xcnt 0x0
	s_or_b32 exec_lo, exec_lo, s42
	s_delay_alu instid0(SALU_CYCLE_1)
	s_mov_b32 s42, exec_lo
	v_cmpx_lt_u32_e64 v116, v139
	s_cbranch_execz .LBB2069_506
.LBB2069_572:                           ;   in Loop: Header=BB2069_396 Depth=2
	global_load_b64 v[30:31], v[60:61], off offset:3584
	s_wait_xcnt 0x0
	s_or_b32 exec_lo, exec_lo, s42
	s_delay_alu instid0(SALU_CYCLE_1)
	s_mov_b32 s42, exec_lo
	v_cmpx_lt_u32_e64 v117, v139
	s_cbranch_execz .LBB2069_507
.LBB2069_573:                           ;   in Loop: Header=BB2069_396 Depth=2
	global_load_b64 v[28:29], v[60:61], off offset:3840
	s_wait_xcnt 0x0
	s_or_b32 exec_lo, exec_lo, s42
	s_and_saveexec_b32 s42, vcc_lo
	s_cbranch_execz .LBB2069_508
.LBB2069_574:                           ;   in Loop: Header=BB2069_396 Depth=2
	ds_load_u16 v60, v93 offset:1024
	s_wait_dscnt 0x0
	v_cmp_ne_u16_e64 s30, 0x7fff, v60
	s_delay_alu instid0(VALU_DEP_1) | instskip(NEXT) | instid1(VALU_DEP_1)
	v_cndmask_b32_e64 v60, 0xffff8000, v60, s30
	v_and_b32_e32 v60, 0xffff, v60
	s_delay_alu instid0(VALU_DEP_1) | instskip(NEXT) | instid1(VALU_DEP_1)
	v_lshrrev_b32_e32 v60, s48, v60
	v_and_b32_e32 v138, s52, v60
	s_or_b32 exec_lo, exec_lo, s42
	s_and_saveexec_b32 s42, s15
	s_cbranch_execz .LBB2069_509
.LBB2069_575:                           ;   in Loop: Header=BB2069_396 Depth=2
	ds_load_u16 v60, v93 offset:1536
	s_wait_dscnt 0x0
	v_cmp_ne_u16_e64 s30, 0x7fff, v60
	s_delay_alu instid0(VALU_DEP_1) | instskip(NEXT) | instid1(VALU_DEP_1)
	v_cndmask_b32_e64 v60, 0xffff8000, v60, s30
	v_and_b32_e32 v60, 0xffff, v60
	s_delay_alu instid0(VALU_DEP_1) | instskip(NEXT) | instid1(VALU_DEP_1)
	v_lshrrev_b32_e32 v60, s48, v60
	v_and_b32_e32 v137, s52, v60
	s_or_b32 exec_lo, exec_lo, s42
	s_and_saveexec_b32 s42, s16
	s_cbranch_execz .LBB2069_510
.LBB2069_576:                           ;   in Loop: Header=BB2069_396 Depth=2
	ds_load_u16 v60, v93 offset:2048
	s_wait_dscnt 0x0
	v_cmp_ne_u16_e64 s30, 0x7fff, v60
	s_delay_alu instid0(VALU_DEP_1) | instskip(NEXT) | instid1(VALU_DEP_1)
	v_cndmask_b32_e64 v60, 0xffff8000, v60, s30
	v_and_b32_e32 v60, 0xffff, v60
	s_delay_alu instid0(VALU_DEP_1) | instskip(NEXT) | instid1(VALU_DEP_1)
	v_lshrrev_b32_e32 v60, s48, v60
	v_and_b32_e32 v136, s52, v60
	s_or_b32 exec_lo, exec_lo, s42
	s_and_saveexec_b32 s42, s17
	s_cbranch_execz .LBB2069_511
.LBB2069_577:                           ;   in Loop: Header=BB2069_396 Depth=2
	ds_load_u16 v60, v93 offset:2560
	s_wait_dscnt 0x0
	v_cmp_ne_u16_e64 s30, 0x7fff, v60
	s_delay_alu instid0(VALU_DEP_1) | instskip(NEXT) | instid1(VALU_DEP_1)
	v_cndmask_b32_e64 v60, 0xffff8000, v60, s30
	v_and_b32_e32 v60, 0xffff, v60
	s_delay_alu instid0(VALU_DEP_1) | instskip(NEXT) | instid1(VALU_DEP_1)
	v_lshrrev_b32_e32 v60, s48, v60
	v_and_b32_e32 v135, s52, v60
	s_or_b32 exec_lo, exec_lo, s42
	s_and_saveexec_b32 s42, s18
	s_cbranch_execz .LBB2069_512
.LBB2069_578:                           ;   in Loop: Header=BB2069_396 Depth=2
	ds_load_u16 v60, v93 offset:3072
	s_wait_dscnt 0x0
	v_cmp_ne_u16_e64 s30, 0x7fff, v60
	s_delay_alu instid0(VALU_DEP_1) | instskip(NEXT) | instid1(VALU_DEP_1)
	v_cndmask_b32_e64 v60, 0xffff8000, v60, s30
	v_and_b32_e32 v60, 0xffff, v60
	s_delay_alu instid0(VALU_DEP_1) | instskip(NEXT) | instid1(VALU_DEP_1)
	v_lshrrev_b32_e32 v60, s48, v60
	v_and_b32_e32 v134, s52, v60
	s_or_b32 exec_lo, exec_lo, s42
	s_and_saveexec_b32 s42, s19
	s_cbranch_execz .LBB2069_513
.LBB2069_579:                           ;   in Loop: Header=BB2069_396 Depth=2
	ds_load_u16 v60, v93 offset:3584
	s_wait_dscnt 0x0
	v_cmp_ne_u16_e64 s30, 0x7fff, v60
	s_delay_alu instid0(VALU_DEP_1) | instskip(NEXT) | instid1(VALU_DEP_1)
	v_cndmask_b32_e64 v60, 0xffff8000, v60, s30
	v_and_b32_e32 v60, 0xffff, v60
	s_delay_alu instid0(VALU_DEP_1) | instskip(NEXT) | instid1(VALU_DEP_1)
	v_lshrrev_b32_e32 v60, s48, v60
	v_and_b32_e32 v133, s52, v60
	s_or_b32 exec_lo, exec_lo, s42
	s_and_saveexec_b32 s42, s20
	s_cbranch_execz .LBB2069_514
.LBB2069_580:                           ;   in Loop: Header=BB2069_396 Depth=2
	ds_load_u16 v60, v93 offset:4096
	s_wait_dscnt 0x0
	v_cmp_ne_u16_e64 s30, 0x7fff, v60
	s_delay_alu instid0(VALU_DEP_1) | instskip(NEXT) | instid1(VALU_DEP_1)
	v_cndmask_b32_e64 v60, 0xffff8000, v60, s30
	v_and_b32_e32 v60, 0xffff, v60
	s_delay_alu instid0(VALU_DEP_1) | instskip(NEXT) | instid1(VALU_DEP_1)
	v_lshrrev_b32_e32 v60, s48, v60
	v_and_b32_e32 v132, s52, v60
	s_or_b32 exec_lo, exec_lo, s42
	s_and_saveexec_b32 s42, s21
	s_cbranch_execz .LBB2069_515
.LBB2069_581:                           ;   in Loop: Header=BB2069_396 Depth=2
	ds_load_u16 v60, v93 offset:4608
	s_wait_dscnt 0x0
	v_cmp_ne_u16_e64 s30, 0x7fff, v60
	s_delay_alu instid0(VALU_DEP_1) | instskip(NEXT) | instid1(VALU_DEP_1)
	v_cndmask_b32_e64 v60, 0xffff8000, v60, s30
	v_and_b32_e32 v60, 0xffff, v60
	s_delay_alu instid0(VALU_DEP_1) | instskip(NEXT) | instid1(VALU_DEP_1)
	v_lshrrev_b32_e32 v60, s48, v60
	v_and_b32_e32 v131, s52, v60
	s_or_b32 exec_lo, exec_lo, s42
	s_and_saveexec_b32 s42, s22
	s_cbranch_execz .LBB2069_516
.LBB2069_582:                           ;   in Loop: Header=BB2069_396 Depth=2
	ds_load_u16 v60, v93 offset:5120
	s_wait_dscnt 0x0
	v_cmp_ne_u16_e64 s30, 0x7fff, v60
	s_delay_alu instid0(VALU_DEP_1) | instskip(NEXT) | instid1(VALU_DEP_1)
	v_cndmask_b32_e64 v60, 0xffff8000, v60, s30
	v_and_b32_e32 v60, 0xffff, v60
	s_delay_alu instid0(VALU_DEP_1) | instskip(NEXT) | instid1(VALU_DEP_1)
	v_lshrrev_b32_e32 v60, s48, v60
	v_and_b32_e32 v130, s52, v60
	s_or_b32 exec_lo, exec_lo, s42
	s_and_saveexec_b32 s42, s23
	s_cbranch_execz .LBB2069_517
.LBB2069_583:                           ;   in Loop: Header=BB2069_396 Depth=2
	ds_load_u16 v60, v93 offset:5632
	s_wait_dscnt 0x0
	v_cmp_ne_u16_e64 s30, 0x7fff, v60
	s_delay_alu instid0(VALU_DEP_1) | instskip(NEXT) | instid1(VALU_DEP_1)
	v_cndmask_b32_e64 v60, 0xffff8000, v60, s30
	v_and_b32_e32 v60, 0xffff, v60
	s_delay_alu instid0(VALU_DEP_1) | instskip(NEXT) | instid1(VALU_DEP_1)
	v_lshrrev_b32_e32 v60, s48, v60
	v_and_b32_e32 v129, s52, v60
	s_or_b32 exec_lo, exec_lo, s42
	s_and_saveexec_b32 s42, s24
	s_cbranch_execz .LBB2069_518
.LBB2069_584:                           ;   in Loop: Header=BB2069_396 Depth=2
	ds_load_u16 v60, v93 offset:6144
	s_wait_dscnt 0x0
	v_cmp_ne_u16_e64 s30, 0x7fff, v60
	s_delay_alu instid0(VALU_DEP_1) | instskip(NEXT) | instid1(VALU_DEP_1)
	v_cndmask_b32_e64 v60, 0xffff8000, v60, s30
	v_and_b32_e32 v60, 0xffff, v60
	s_delay_alu instid0(VALU_DEP_1) | instskip(NEXT) | instid1(VALU_DEP_1)
	v_lshrrev_b32_e32 v60, s48, v60
	v_and_b32_e32 v128, s52, v60
	s_or_b32 exec_lo, exec_lo, s42
	s_and_saveexec_b32 s42, s25
	s_cbranch_execz .LBB2069_519
.LBB2069_585:                           ;   in Loop: Header=BB2069_396 Depth=2
	ds_load_u16 v60, v93 offset:6656
	s_wait_dscnt 0x0
	v_cmp_ne_u16_e64 s30, 0x7fff, v60
	s_delay_alu instid0(VALU_DEP_1) | instskip(NEXT) | instid1(VALU_DEP_1)
	v_cndmask_b32_e64 v60, 0xffff8000, v60, s30
	v_and_b32_e32 v60, 0xffff, v60
	s_delay_alu instid0(VALU_DEP_1) | instskip(NEXT) | instid1(VALU_DEP_1)
	v_lshrrev_b32_e32 v60, s48, v60
	v_and_b32_e32 v127, s52, v60
	s_or_b32 exec_lo, exec_lo, s42
	s_and_saveexec_b32 s42, s26
	s_cbranch_execz .LBB2069_520
.LBB2069_586:                           ;   in Loop: Header=BB2069_396 Depth=2
	ds_load_u16 v60, v93 offset:7168
	s_wait_dscnt 0x0
	v_cmp_ne_u16_e64 s30, 0x7fff, v60
	s_delay_alu instid0(VALU_DEP_1) | instskip(NEXT) | instid1(VALU_DEP_1)
	v_cndmask_b32_e64 v60, 0xffff8000, v60, s30
	v_and_b32_e32 v60, 0xffff, v60
	s_delay_alu instid0(VALU_DEP_1) | instskip(NEXT) | instid1(VALU_DEP_1)
	v_lshrrev_b32_e32 v60, s48, v60
	v_and_b32_e32 v126, s52, v60
	s_or_b32 exec_lo, exec_lo, s42
	s_and_saveexec_b32 s42, s27
	s_cbranch_execz .LBB2069_521
.LBB2069_587:                           ;   in Loop: Header=BB2069_396 Depth=2
	ds_load_u16 v60, v93 offset:7680
	s_wait_dscnt 0x0
	v_cmp_ne_u16_e64 s30, 0x7fff, v60
	s_delay_alu instid0(VALU_DEP_1) | instskip(NEXT) | instid1(VALU_DEP_1)
	v_cndmask_b32_e64 v60, 0xffff8000, v60, s30
	v_and_b32_e32 v60, 0xffff, v60
	s_delay_alu instid0(VALU_DEP_1) | instskip(NEXT) | instid1(VALU_DEP_1)
	v_lshrrev_b32_e32 v60, s48, v60
	v_and_b32_e32 v125, s52, v60
	s_or_b32 exec_lo, exec_lo, s42
	s_and_saveexec_b32 s42, s28
	s_cbranch_execz .LBB2069_522
.LBB2069_588:                           ;   in Loop: Header=BB2069_396 Depth=2
	ds_load_u16 v60, v93 offset:8192
	s_wait_dscnt 0x0
	v_cmp_ne_u16_e64 s30, 0x7fff, v60
	s_delay_alu instid0(VALU_DEP_1) | instskip(NEXT) | instid1(VALU_DEP_1)
	v_cndmask_b32_e64 v60, 0xffff8000, v60, s30
	v_and_b32_e32 v60, 0xffff, v60
	s_delay_alu instid0(VALU_DEP_1) | instskip(NEXT) | instid1(VALU_DEP_1)
	v_lshrrev_b32_e32 v60, s48, v60
	v_and_b32_e32 v124, s52, v60
	s_or_b32 exec_lo, exec_lo, s42
	s_and_saveexec_b32 s42, s29
	s_cbranch_execnz .LBB2069_523
	s_branch .LBB2069_524
.LBB2069_589:                           ;   in Loop: Header=BB2069_396 Depth=2
	v_lshlrev_b32_e32 v60, 2, v138
	v_add_nc_u32_e32 v61, v93, v94
	ds_load_b32 v63, v60
	ds_load_b64 v[60:61], v61 offset:1024
	s_wait_dscnt 0x1
	v_add_nc_u32_e32 v63, v63, v2
	s_wait_dscnt 0x0
	global_store_b64 v63, v[60:61], s[46:47] scale_offset
	s_wait_xcnt 0x0
	s_or_b32 exec_lo, exec_lo, s30
	s_and_saveexec_b32 s30, s15
	s_cbranch_execz .LBB2069_526
.LBB2069_590:                           ;   in Loop: Header=BB2069_396 Depth=2
	v_dual_lshlrev_b32 v60, 2, v137 :: v_dual_add_nc_u32 v61, v93, v94
	ds_load_b32 v63, v60
	ds_load_b64 v[60:61], v61 offset:3072
	s_wait_dscnt 0x1
	v_add_nc_u32_e32 v63, v63, v68
	s_wait_dscnt 0x0
	global_store_b64 v63, v[60:61], s[46:47] scale_offset
	s_wait_xcnt 0x0
	s_or_b32 exec_lo, exec_lo, s30
	s_and_saveexec_b32 s15, s16
	s_cbranch_execz .LBB2069_527
.LBB2069_591:                           ;   in Loop: Header=BB2069_396 Depth=2
	v_dual_lshlrev_b32 v60, 2, v136 :: v_dual_add_nc_u32 v61, v93, v94
	ds_load_b32 v63, v60
	ds_load_b64 v[60:61], v61 offset:5120
	s_wait_dscnt 0x1
	v_add_nc_u32_e32 v63, v63, v69
	s_wait_dscnt 0x0
	global_store_b64 v63, v[60:61], s[46:47] scale_offset
	s_wait_xcnt 0x0
	s_or_b32 exec_lo, exec_lo, s15
	s_and_saveexec_b32 s15, s17
	s_cbranch_execz .LBB2069_528
.LBB2069_592:                           ;   in Loop: Header=BB2069_396 Depth=2
	v_dual_lshlrev_b32 v60, 2, v135 :: v_dual_add_nc_u32 v61, v93, v94
	ds_load_b32 v63, v60
	ds_load_b64 v[60:61], v61 offset:7168
	s_wait_dscnt 0x1
	v_add_nc_u32_e32 v63, v63, v70
	s_wait_dscnt 0x0
	global_store_b64 v63, v[60:61], s[46:47] scale_offset
	s_wait_xcnt 0x0
	s_or_b32 exec_lo, exec_lo, s15
	s_and_saveexec_b32 s15, s18
	s_cbranch_execz .LBB2069_529
.LBB2069_593:                           ;   in Loop: Header=BB2069_396 Depth=2
	v_lshlrev_b32_e32 v60, 2, v134
	v_add_nc_u32_e32 v61, v93, v94
	ds_load_b32 v63, v60
	ds_load_b64 v[60:61], v61 offset:9216
	s_wait_dscnt 0x1
	v_add_nc_u32_e32 v63, v63, v71
	s_wait_dscnt 0x0
	global_store_b64 v63, v[60:61], s[46:47] scale_offset
	s_wait_xcnt 0x0
	s_or_b32 exec_lo, exec_lo, s15
	s_and_saveexec_b32 s15, s19
	s_cbranch_execz .LBB2069_530
.LBB2069_594:                           ;   in Loop: Header=BB2069_396 Depth=2
	v_dual_lshlrev_b32 v60, 2, v133 :: v_dual_add_nc_u32 v61, v93, v94
	ds_load_b32 v63, v60
	ds_load_b64 v[60:61], v61 offset:11264
	s_wait_dscnt 0x1
	v_add_nc_u32_e32 v63, v63, v72
	s_wait_dscnt 0x0
	global_store_b64 v63, v[60:61], s[46:47] scale_offset
	s_wait_xcnt 0x0
	s_or_b32 exec_lo, exec_lo, s15
	s_and_saveexec_b32 s15, s20
	s_cbranch_execz .LBB2069_531
.LBB2069_595:                           ;   in Loop: Header=BB2069_396 Depth=2
	v_dual_lshlrev_b32 v60, 2, v132 :: v_dual_add_nc_u32 v61, v93, v94
	ds_load_b32 v63, v60
	ds_load_b64 v[60:61], v61 offset:13312
	s_wait_dscnt 0x1
	v_add_nc_u32_e32 v63, v63, v73
	s_wait_dscnt 0x0
	global_store_b64 v63, v[60:61], s[46:47] scale_offset
	s_wait_xcnt 0x0
	s_or_b32 exec_lo, exec_lo, s15
	s_and_saveexec_b32 s15, s21
	s_cbranch_execz .LBB2069_532
.LBB2069_596:                           ;   in Loop: Header=BB2069_396 Depth=2
	v_dual_lshlrev_b32 v60, 2, v131 :: v_dual_add_nc_u32 v61, v93, v94
	ds_load_b32 v63, v60
	ds_load_b64 v[60:61], v61 offset:15360
	s_wait_dscnt 0x1
	v_add_nc_u32_e32 v63, v63, v74
	s_wait_dscnt 0x0
	global_store_b64 v63, v[60:61], s[46:47] scale_offset
	s_wait_xcnt 0x0
	s_or_b32 exec_lo, exec_lo, s15
	s_and_saveexec_b32 s15, s22
	s_cbranch_execz .LBB2069_533
.LBB2069_597:                           ;   in Loop: Header=BB2069_396 Depth=2
	v_lshlrev_b32_e32 v60, 2, v130
	v_add_nc_u32_e32 v61, v93, v94
	ds_load_b32 v63, v60
	ds_load_b64 v[60:61], v61 offset:17408
	s_wait_dscnt 0x1
	v_add_nc_u32_e32 v63, v63, v75
	s_wait_dscnt 0x0
	global_store_b64 v63, v[60:61], s[46:47] scale_offset
	s_wait_xcnt 0x0
	s_or_b32 exec_lo, exec_lo, s15
	s_and_saveexec_b32 s15, s23
	s_cbranch_execz .LBB2069_534
.LBB2069_598:                           ;   in Loop: Header=BB2069_396 Depth=2
	v_dual_lshlrev_b32 v60, 2, v129 :: v_dual_add_nc_u32 v61, v93, v94
	ds_load_b32 v63, v60
	ds_load_b64 v[60:61], v61 offset:19456
	s_wait_dscnt 0x1
	v_add_nc_u32_e32 v63, v63, v76
	s_wait_dscnt 0x0
	global_store_b64 v63, v[60:61], s[46:47] scale_offset
	s_wait_xcnt 0x0
	s_or_b32 exec_lo, exec_lo, s15
	s_and_saveexec_b32 s15, s24
	s_cbranch_execz .LBB2069_535
.LBB2069_599:                           ;   in Loop: Header=BB2069_396 Depth=2
	v_dual_lshlrev_b32 v60, 2, v128 :: v_dual_add_nc_u32 v61, v93, v94
	ds_load_b32 v63, v60
	ds_load_b64 v[60:61], v61 offset:21504
	s_wait_dscnt 0x1
	v_add_nc_u32_e32 v63, v63, v77
	s_wait_dscnt 0x0
	global_store_b64 v63, v[60:61], s[46:47] scale_offset
	s_wait_xcnt 0x0
	s_or_b32 exec_lo, exec_lo, s15
	s_and_saveexec_b32 s15, s25
	s_cbranch_execz .LBB2069_536
.LBB2069_600:                           ;   in Loop: Header=BB2069_396 Depth=2
	v_dual_lshlrev_b32 v60, 2, v127 :: v_dual_add_nc_u32 v61, v93, v94
	ds_load_b32 v63, v60
	ds_load_b64 v[60:61], v61 offset:23552
	s_wait_dscnt 0x1
	v_add_nc_u32_e32 v63, v63, v78
	s_wait_dscnt 0x0
	global_store_b64 v63, v[60:61], s[46:47] scale_offset
	s_wait_xcnt 0x0
	s_or_b32 exec_lo, exec_lo, s15
	s_and_saveexec_b32 s15, s26
	s_cbranch_execz .LBB2069_537
.LBB2069_601:                           ;   in Loop: Header=BB2069_396 Depth=2
	v_lshlrev_b32_e32 v60, 2, v126
	v_add_nc_u32_e32 v61, v93, v94
	ds_load_b32 v63, v60
	ds_load_b64 v[60:61], v61 offset:25600
	s_wait_dscnt 0x1
	v_add_nc_u32_e32 v63, v63, v79
	s_wait_dscnt 0x0
	global_store_b64 v63, v[60:61], s[46:47] scale_offset
	s_wait_xcnt 0x0
	s_or_b32 exec_lo, exec_lo, s15
	s_and_saveexec_b32 s15, s27
	s_cbranch_execz .LBB2069_538
.LBB2069_602:                           ;   in Loop: Header=BB2069_396 Depth=2
	v_dual_lshlrev_b32 v60, 2, v125 :: v_dual_add_nc_u32 v61, v93, v94
	ds_load_b32 v63, v60
	ds_load_b64 v[60:61], v61 offset:27648
	s_wait_dscnt 0x1
	v_add_nc_u32_e32 v63, v63, v80
	s_wait_dscnt 0x0
	global_store_b64 v63, v[60:61], s[46:47] scale_offset
	s_wait_xcnt 0x0
	s_or_b32 exec_lo, exec_lo, s15
	s_and_saveexec_b32 s15, s28
	s_cbranch_execz .LBB2069_539
.LBB2069_603:                           ;   in Loop: Header=BB2069_396 Depth=2
	v_dual_lshlrev_b32 v60, 2, v124 :: v_dual_add_nc_u32 v61, v93, v94
	ds_load_b32 v63, v60
	ds_load_b64 v[60:61], v61 offset:29696
	s_wait_dscnt 0x1
	v_add_nc_u32_e32 v63, v63, v81
	s_wait_dscnt 0x0
	global_store_b64 v63, v[60:61], s[46:47] scale_offset
	s_wait_xcnt 0x0
	s_or_b32 exec_lo, exec_lo, s15
	s_and_saveexec_b32 s15, s29
	s_cbranch_execnz .LBB2069_540
	s_branch .LBB2069_541
.LBB2069_604:                           ;   in Loop: Header=BB2069_20 Depth=1
	s_wait_dscnt 0x0
	s_barrier_signal -1
	s_barrier_wait -1
.LBB2069_605:                           ;   in Loop: Header=BB2069_20 Depth=1
	s_mov_b32 s7, 0
.LBB2069_606:                           ;   in Loop: Header=BB2069_20 Depth=1
	s_delay_alu instid0(SALU_CYCLE_1)
	s_and_not1_b32 vcc_lo, exec_lo, s7
	s_cbranch_vccnz .LBB2069_19
; %bb.607:                              ;   in Loop: Header=BB2069_20 Depth=1
	s_and_b32 vcc_lo, exec_lo, s55
	s_mov_b32 s7, -1
	s_cbranch_vccz .LBB2069_899
; %bb.608:                              ;   in Loop: Header=BB2069_20 Depth=1
	s_mov_b32 s7, s56
	s_mov_b32 s42, s54
	s_barrier_signal -1
	s_barrier_wait -1
                                        ; implicit-def: $vgpr23
                                        ; implicit-def: $vgpr24
                                        ; implicit-def: $vgpr25
                                        ; implicit-def: $vgpr26
                                        ; implicit-def: $vgpr27
                                        ; implicit-def: $vgpr28
                                        ; implicit-def: $vgpr29
                                        ; implicit-def: $vgpr30
                                        ; implicit-def: $vgpr31
                                        ; implicit-def: $vgpr32
                                        ; implicit-def: $vgpr33
                                        ; implicit-def: $vgpr34
                                        ; implicit-def: $vgpr35
                                        ; implicit-def: $vgpr36
                                        ; implicit-def: $vgpr37
                                        ; implicit-def: $vgpr38
	s_branch .LBB2069_610
.LBB2069_609:                           ;   in Loop: Header=BB2069_610 Depth=2
	s_or_b32 exec_lo, exec_lo, s8
	s_addk_co_i32 s7, 0xf000
	s_cmp_ge_u32 s10, s51
	s_mov_b32 s42, s10
	s_cbranch_scc1 .LBB2069_678
.LBB2069_610:                           ;   Parent Loop BB2069_20 Depth=1
                                        ; =>  This Inner Loop Header: Depth=2
	s_add_co_i32 s10, s42, 0x1000
	s_mov_b32 s8, -1
	s_cmp_gt_u32 s10, s51
                                        ; implicit-def: $vgpr39
                                        ; implicit-def: $vgpr40
                                        ; implicit-def: $vgpr41
                                        ; implicit-def: $vgpr42
                                        ; implicit-def: $vgpr43
                                        ; implicit-def: $vgpr44
                                        ; implicit-def: $vgpr45
                                        ; implicit-def: $vgpr46
                                        ; implicit-def: $vgpr47
                                        ; implicit-def: $vgpr48
                                        ; implicit-def: $vgpr49
                                        ; implicit-def: $vgpr50
                                        ; implicit-def: $vgpr51
                                        ; implicit-def: $vgpr52
                                        ; implicit-def: $vgpr53
                                        ; implicit-def: $vgpr54
	s_cbranch_scc1 .LBB2069_612
; %bb.611:                              ;   in Loop: Header=BB2069_610 Depth=2
	v_lshl_add_u64 v[54:55], s[42:43], 1, v[16:17]
	s_mov_b32 s8, 0
	s_clause 0xf
	global_load_u16 v39, v[54:55], off
	global_load_u16 v40, v[54:55], off offset:512
	global_load_u16 v41, v[54:55], off offset:1024
	;; [unrolled: 1-line block ×15, first 2 shown]
.LBB2069_612:                           ;   in Loop: Header=BB2069_610 Depth=2
	s_and_not1_b32 vcc_lo, exec_lo, s8
	s_movk_i32 s8, 0x1000
	s_cbranch_vccnz .LBB2069_631
; %bb.613:                              ;   in Loop: Header=BB2069_610 Depth=2
	s_lshl_b64 s[8:9], s[42:43], 1
	s_mov_b32 s11, exec_lo
	s_add_nc_u64 s[8:9], s[36:37], s[8:9]
	s_wait_xcnt 0x0
	v_cmpx_gt_u32_e64 s7, v2
	s_cbranch_execnz .LBB2069_663
; %bb.614:                              ;   in Loop: Header=BB2069_610 Depth=2
	s_or_b32 exec_lo, exec_lo, s11
	s_delay_alu instid0(SALU_CYCLE_1)
	s_mov_b32 s11, exec_lo
	v_cmpx_gt_u32_e64 s7, v68
	s_cbranch_execnz .LBB2069_664
.LBB2069_615:                           ;   in Loop: Header=BB2069_610 Depth=2
	s_or_b32 exec_lo, exec_lo, s11
	s_delay_alu instid0(SALU_CYCLE_1)
	s_mov_b32 s11, exec_lo
	v_cmpx_gt_u32_e64 s7, v69
	s_cbranch_execnz .LBB2069_665
.LBB2069_616:                           ;   in Loop: Header=BB2069_610 Depth=2
	s_or_b32 exec_lo, exec_lo, s11
	s_delay_alu instid0(SALU_CYCLE_1)
	s_mov_b32 s11, exec_lo
	v_cmpx_gt_u32_e64 s7, v70
	s_cbranch_execnz .LBB2069_666
.LBB2069_617:                           ;   in Loop: Header=BB2069_610 Depth=2
	s_or_b32 exec_lo, exec_lo, s11
	s_delay_alu instid0(SALU_CYCLE_1)
	s_mov_b32 s11, exec_lo
	v_cmpx_gt_u32_e64 s7, v71
	s_cbranch_execnz .LBB2069_667
.LBB2069_618:                           ;   in Loop: Header=BB2069_610 Depth=2
	s_or_b32 exec_lo, exec_lo, s11
	s_delay_alu instid0(SALU_CYCLE_1)
	s_mov_b32 s11, exec_lo
	v_cmpx_gt_u32_e64 s7, v72
	s_cbranch_execnz .LBB2069_668
.LBB2069_619:                           ;   in Loop: Header=BB2069_610 Depth=2
	s_or_b32 exec_lo, exec_lo, s11
	s_delay_alu instid0(SALU_CYCLE_1)
	s_mov_b32 s11, exec_lo
	v_cmpx_gt_u32_e64 s7, v73
	s_cbranch_execnz .LBB2069_669
.LBB2069_620:                           ;   in Loop: Header=BB2069_610 Depth=2
	s_or_b32 exec_lo, exec_lo, s11
	s_delay_alu instid0(SALU_CYCLE_1)
	s_mov_b32 s11, exec_lo
	v_cmpx_gt_u32_e64 s7, v74
	s_cbranch_execnz .LBB2069_670
.LBB2069_621:                           ;   in Loop: Header=BB2069_610 Depth=2
	s_or_b32 exec_lo, exec_lo, s11
	s_delay_alu instid0(SALU_CYCLE_1)
	s_mov_b32 s11, exec_lo
	v_cmpx_gt_u32_e64 s7, v75
	s_cbranch_execnz .LBB2069_671
.LBB2069_622:                           ;   in Loop: Header=BB2069_610 Depth=2
	s_or_b32 exec_lo, exec_lo, s11
	s_delay_alu instid0(SALU_CYCLE_1)
	s_mov_b32 s11, exec_lo
	v_cmpx_gt_u32_e64 s7, v76
	s_cbranch_execnz .LBB2069_672
.LBB2069_623:                           ;   in Loop: Header=BB2069_610 Depth=2
	s_or_b32 exec_lo, exec_lo, s11
	s_delay_alu instid0(SALU_CYCLE_1)
	s_mov_b32 s11, exec_lo
	v_cmpx_gt_u32_e64 s7, v77
	s_cbranch_execnz .LBB2069_673
.LBB2069_624:                           ;   in Loop: Header=BB2069_610 Depth=2
	s_or_b32 exec_lo, exec_lo, s11
	s_delay_alu instid0(SALU_CYCLE_1)
	s_mov_b32 s11, exec_lo
	v_cmpx_gt_u32_e64 s7, v78
	s_cbranch_execnz .LBB2069_674
.LBB2069_625:                           ;   in Loop: Header=BB2069_610 Depth=2
	s_or_b32 exec_lo, exec_lo, s11
	s_delay_alu instid0(SALU_CYCLE_1)
	s_mov_b32 s11, exec_lo
	v_cmpx_gt_u32_e64 s7, v79
	s_cbranch_execnz .LBB2069_675
.LBB2069_626:                           ;   in Loop: Header=BB2069_610 Depth=2
	s_or_b32 exec_lo, exec_lo, s11
	s_delay_alu instid0(SALU_CYCLE_1)
	s_mov_b32 s11, exec_lo
	v_cmpx_gt_u32_e64 s7, v80
	s_cbranch_execnz .LBB2069_676
.LBB2069_627:                           ;   in Loop: Header=BB2069_610 Depth=2
	s_or_b32 exec_lo, exec_lo, s11
	s_delay_alu instid0(SALU_CYCLE_1)
	s_mov_b32 s11, exec_lo
	v_cmpx_gt_u32_e64 s7, v81
	s_cbranch_execnz .LBB2069_677
.LBB2069_628:                           ;   in Loop: Header=BB2069_610 Depth=2
	s_or_b32 exec_lo, exec_lo, s11
	s_delay_alu instid0(SALU_CYCLE_1)
	s_mov_b32 s11, exec_lo
	v_cmpx_gt_u32_e64 s7, v82
	s_cbranch_execz .LBB2069_630
.LBB2069_629:                           ;   in Loop: Header=BB2069_610 Depth=2
	global_load_u16 v23, v2, s[8:9] offset:7680 scale_offset
.LBB2069_630:                           ;   in Loop: Header=BB2069_610 Depth=2
	s_wait_xcnt 0x0
	s_or_b32 exec_lo, exec_lo, s11
	s_wait_loadcnt 0x0
	v_dual_mov_b32 v39, v38 :: v_dual_mov_b32 v40, v37
	v_dual_mov_b32 v41, v36 :: v_dual_mov_b32 v42, v35
	;; [unrolled: 1-line block ×8, first 2 shown]
	s_mov_b32 s8, s7
.LBB2069_631:                           ;   in Loop: Header=BB2069_610 Depth=2
	s_wait_loadcnt 0x0
	s_delay_alu instid0(VALU_DEP_1)
	v_dual_mov_b32 v23, v54 :: v_dual_mov_b32 v24, v53
	v_dual_mov_b32 v25, v52 :: v_dual_mov_b32 v26, v51
	;; [unrolled: 1-line block ×8, first 2 shown]
	s_mov_b32 s9, exec_lo
	s_wait_xcnt 0x0
	v_cmpx_gt_u32_e64 s8, v2
	s_cbranch_execnz .LBB2069_647
; %bb.632:                              ;   in Loop: Header=BB2069_610 Depth=2
	s_or_b32 exec_lo, exec_lo, s9
	s_delay_alu instid0(SALU_CYCLE_1)
	s_mov_b32 s9, exec_lo
	v_cmpx_gt_u32_e64 s8, v68
	s_cbranch_execnz .LBB2069_648
.LBB2069_633:                           ;   in Loop: Header=BB2069_610 Depth=2
	s_or_b32 exec_lo, exec_lo, s9
	s_delay_alu instid0(SALU_CYCLE_1)
	s_mov_b32 s9, exec_lo
	v_cmpx_gt_u32_e64 s8, v69
	s_cbranch_execnz .LBB2069_649
.LBB2069_634:                           ;   in Loop: Header=BB2069_610 Depth=2
	s_or_b32 exec_lo, exec_lo, s9
	s_delay_alu instid0(SALU_CYCLE_1)
	s_mov_b32 s9, exec_lo
	v_cmpx_gt_u32_e64 s8, v70
	s_cbranch_execnz .LBB2069_650
.LBB2069_635:                           ;   in Loop: Header=BB2069_610 Depth=2
	s_or_b32 exec_lo, exec_lo, s9
	s_delay_alu instid0(SALU_CYCLE_1)
	s_mov_b32 s9, exec_lo
	v_cmpx_gt_u32_e64 s8, v71
	s_cbranch_execnz .LBB2069_651
.LBB2069_636:                           ;   in Loop: Header=BB2069_610 Depth=2
	s_or_b32 exec_lo, exec_lo, s9
	s_delay_alu instid0(SALU_CYCLE_1)
	s_mov_b32 s9, exec_lo
	v_cmpx_gt_u32_e64 s8, v72
	s_cbranch_execnz .LBB2069_652
.LBB2069_637:                           ;   in Loop: Header=BB2069_610 Depth=2
	s_or_b32 exec_lo, exec_lo, s9
	s_delay_alu instid0(SALU_CYCLE_1)
	s_mov_b32 s9, exec_lo
	v_cmpx_gt_u32_e64 s8, v73
	s_cbranch_execnz .LBB2069_653
.LBB2069_638:                           ;   in Loop: Header=BB2069_610 Depth=2
	s_or_b32 exec_lo, exec_lo, s9
	s_delay_alu instid0(SALU_CYCLE_1)
	s_mov_b32 s9, exec_lo
	v_cmpx_gt_u32_e64 s8, v74
	s_cbranch_execnz .LBB2069_654
.LBB2069_639:                           ;   in Loop: Header=BB2069_610 Depth=2
	s_or_b32 exec_lo, exec_lo, s9
	s_delay_alu instid0(SALU_CYCLE_1)
	s_mov_b32 s9, exec_lo
	v_cmpx_gt_u32_e64 s8, v75
	s_cbranch_execnz .LBB2069_655
.LBB2069_640:                           ;   in Loop: Header=BB2069_610 Depth=2
	s_or_b32 exec_lo, exec_lo, s9
	s_delay_alu instid0(SALU_CYCLE_1)
	s_mov_b32 s9, exec_lo
	v_cmpx_gt_u32_e64 s8, v76
	s_cbranch_execnz .LBB2069_656
.LBB2069_641:                           ;   in Loop: Header=BB2069_610 Depth=2
	s_or_b32 exec_lo, exec_lo, s9
	s_delay_alu instid0(SALU_CYCLE_1)
	s_mov_b32 s9, exec_lo
	v_cmpx_gt_u32_e64 s8, v77
	s_cbranch_execnz .LBB2069_657
.LBB2069_642:                           ;   in Loop: Header=BB2069_610 Depth=2
	s_or_b32 exec_lo, exec_lo, s9
	s_delay_alu instid0(SALU_CYCLE_1)
	s_mov_b32 s9, exec_lo
	v_cmpx_gt_u32_e64 s8, v78
	s_cbranch_execnz .LBB2069_658
.LBB2069_643:                           ;   in Loop: Header=BB2069_610 Depth=2
	s_or_b32 exec_lo, exec_lo, s9
	s_delay_alu instid0(SALU_CYCLE_1)
	s_mov_b32 s9, exec_lo
	v_cmpx_gt_u32_e64 s8, v79
	s_cbranch_execnz .LBB2069_659
.LBB2069_644:                           ;   in Loop: Header=BB2069_610 Depth=2
	s_or_b32 exec_lo, exec_lo, s9
	s_delay_alu instid0(SALU_CYCLE_1)
	s_mov_b32 s9, exec_lo
	v_cmpx_gt_u32_e64 s8, v80
	s_cbranch_execnz .LBB2069_660
.LBB2069_645:                           ;   in Loop: Header=BB2069_610 Depth=2
	s_or_b32 exec_lo, exec_lo, s9
	s_delay_alu instid0(SALU_CYCLE_1)
	s_mov_b32 s9, exec_lo
	v_cmpx_gt_u32_e64 s8, v81
	s_cbranch_execnz .LBB2069_661
.LBB2069_646:                           ;   in Loop: Header=BB2069_610 Depth=2
	s_or_b32 exec_lo, exec_lo, s9
	v_cmp_gt_u32_e32 vcc_lo, s8, v82
	s_and_saveexec_b32 s8, vcc_lo
	s_cbranch_execz .LBB2069_609
	s_branch .LBB2069_662
.LBB2069_647:                           ;   in Loop: Header=BB2069_610 Depth=2
	v_cmp_lt_i16_e32 vcc_lo, -1, v38
	v_cndmask_b32_e64 v39, -1, 0xffff8000, vcc_lo
	s_delay_alu instid0(VALU_DEP_1) | instskip(NEXT) | instid1(VALU_DEP_1)
	v_xor_b32_e32 v39, v39, v38
	v_cmp_ne_u16_e32 vcc_lo, 0x7fff, v39
	v_cndmask_b32_e32 v39, 0xffff8000, v39, vcc_lo
	s_delay_alu instid0(VALU_DEP_1) | instskip(NEXT) | instid1(VALU_DEP_1)
	v_and_b32_e32 v39, 0xffff, v39
	v_lshrrev_b32_e32 v39, s49, v39
	s_delay_alu instid0(VALU_DEP_1) | instskip(NEXT) | instid1(VALU_DEP_1)
	v_and_b32_e32 v39, s52, v39
	v_lshl_or_b32 v39, v39, 4, v83
	ds_add_u32 v39, v96
	s_or_b32 exec_lo, exec_lo, s9
	s_delay_alu instid0(SALU_CYCLE_1)
	s_mov_b32 s9, exec_lo
	v_cmpx_gt_u32_e64 s8, v68
	s_cbranch_execz .LBB2069_633
.LBB2069_648:                           ;   in Loop: Header=BB2069_610 Depth=2
	v_cmp_lt_i16_e32 vcc_lo, -1, v37
	v_cndmask_b32_e64 v39, -1, 0xffff8000, vcc_lo
	s_delay_alu instid0(VALU_DEP_1) | instskip(NEXT) | instid1(VALU_DEP_1)
	v_xor_b32_e32 v39, v39, v37
	v_cmp_ne_u16_e32 vcc_lo, 0x7fff, v39
	v_cndmask_b32_e32 v39, 0xffff8000, v39, vcc_lo
	s_delay_alu instid0(VALU_DEP_1) | instskip(NEXT) | instid1(VALU_DEP_1)
	v_and_b32_e32 v39, 0xffff, v39
	v_lshrrev_b32_e32 v39, s49, v39
	s_delay_alu instid0(VALU_DEP_1) | instskip(NEXT) | instid1(VALU_DEP_1)
	v_and_b32_e32 v39, s52, v39
	v_lshl_or_b32 v39, v39, 4, v83
	ds_add_u32 v39, v96
	s_or_b32 exec_lo, exec_lo, s9
	s_delay_alu instid0(SALU_CYCLE_1)
	s_mov_b32 s9, exec_lo
	v_cmpx_gt_u32_e64 s8, v69
	s_cbranch_execz .LBB2069_634
.LBB2069_649:                           ;   in Loop: Header=BB2069_610 Depth=2
	v_cmp_lt_i16_e32 vcc_lo, -1, v36
	v_cndmask_b32_e64 v39, -1, 0xffff8000, vcc_lo
	s_delay_alu instid0(VALU_DEP_1) | instskip(NEXT) | instid1(VALU_DEP_1)
	v_xor_b32_e32 v39, v39, v36
	v_cmp_ne_u16_e32 vcc_lo, 0x7fff, v39
	v_cndmask_b32_e32 v39, 0xffff8000, v39, vcc_lo
	s_delay_alu instid0(VALU_DEP_1) | instskip(NEXT) | instid1(VALU_DEP_1)
	v_and_b32_e32 v39, 0xffff, v39
	v_lshrrev_b32_e32 v39, s49, v39
	s_delay_alu instid0(VALU_DEP_1) | instskip(NEXT) | instid1(VALU_DEP_1)
	v_and_b32_e32 v39, s52, v39
	v_lshl_or_b32 v39, v39, 4, v83
	ds_add_u32 v39, v96
	s_or_b32 exec_lo, exec_lo, s9
	s_delay_alu instid0(SALU_CYCLE_1)
	s_mov_b32 s9, exec_lo
	v_cmpx_gt_u32_e64 s8, v70
	s_cbranch_execz .LBB2069_635
.LBB2069_650:                           ;   in Loop: Header=BB2069_610 Depth=2
	v_cmp_lt_i16_e32 vcc_lo, -1, v35
	v_cndmask_b32_e64 v39, -1, 0xffff8000, vcc_lo
	s_delay_alu instid0(VALU_DEP_1) | instskip(NEXT) | instid1(VALU_DEP_1)
	v_xor_b32_e32 v39, v39, v35
	v_cmp_ne_u16_e32 vcc_lo, 0x7fff, v39
	v_cndmask_b32_e32 v39, 0xffff8000, v39, vcc_lo
	s_delay_alu instid0(VALU_DEP_1) | instskip(NEXT) | instid1(VALU_DEP_1)
	v_and_b32_e32 v39, 0xffff, v39
	v_lshrrev_b32_e32 v39, s49, v39
	s_delay_alu instid0(VALU_DEP_1) | instskip(NEXT) | instid1(VALU_DEP_1)
	v_and_b32_e32 v39, s52, v39
	v_lshl_or_b32 v39, v39, 4, v83
	ds_add_u32 v39, v96
	s_or_b32 exec_lo, exec_lo, s9
	s_delay_alu instid0(SALU_CYCLE_1)
	s_mov_b32 s9, exec_lo
	v_cmpx_gt_u32_e64 s8, v71
	s_cbranch_execz .LBB2069_636
.LBB2069_651:                           ;   in Loop: Header=BB2069_610 Depth=2
	v_cmp_lt_i16_e32 vcc_lo, -1, v34
	v_cndmask_b32_e64 v39, -1, 0xffff8000, vcc_lo
	s_delay_alu instid0(VALU_DEP_1) | instskip(NEXT) | instid1(VALU_DEP_1)
	v_xor_b32_e32 v39, v39, v34
	v_cmp_ne_u16_e32 vcc_lo, 0x7fff, v39
	v_cndmask_b32_e32 v39, 0xffff8000, v39, vcc_lo
	s_delay_alu instid0(VALU_DEP_1) | instskip(NEXT) | instid1(VALU_DEP_1)
	v_and_b32_e32 v39, 0xffff, v39
	v_lshrrev_b32_e32 v39, s49, v39
	s_delay_alu instid0(VALU_DEP_1) | instskip(NEXT) | instid1(VALU_DEP_1)
	v_and_b32_e32 v39, s52, v39
	v_lshl_or_b32 v39, v39, 4, v83
	ds_add_u32 v39, v96
	s_or_b32 exec_lo, exec_lo, s9
	s_delay_alu instid0(SALU_CYCLE_1)
	s_mov_b32 s9, exec_lo
	v_cmpx_gt_u32_e64 s8, v72
	s_cbranch_execz .LBB2069_637
.LBB2069_652:                           ;   in Loop: Header=BB2069_610 Depth=2
	v_cmp_lt_i16_e32 vcc_lo, -1, v33
	v_cndmask_b32_e64 v39, -1, 0xffff8000, vcc_lo
	s_delay_alu instid0(VALU_DEP_1) | instskip(NEXT) | instid1(VALU_DEP_1)
	v_xor_b32_e32 v39, v39, v33
	v_cmp_ne_u16_e32 vcc_lo, 0x7fff, v39
	v_cndmask_b32_e32 v39, 0xffff8000, v39, vcc_lo
	s_delay_alu instid0(VALU_DEP_1) | instskip(NEXT) | instid1(VALU_DEP_1)
	v_and_b32_e32 v39, 0xffff, v39
	v_lshrrev_b32_e32 v39, s49, v39
	s_delay_alu instid0(VALU_DEP_1) | instskip(NEXT) | instid1(VALU_DEP_1)
	v_and_b32_e32 v39, s52, v39
	v_lshl_or_b32 v39, v39, 4, v83
	ds_add_u32 v39, v96
	s_or_b32 exec_lo, exec_lo, s9
	s_delay_alu instid0(SALU_CYCLE_1)
	s_mov_b32 s9, exec_lo
	v_cmpx_gt_u32_e64 s8, v73
	s_cbranch_execz .LBB2069_638
.LBB2069_653:                           ;   in Loop: Header=BB2069_610 Depth=2
	v_cmp_lt_i16_e32 vcc_lo, -1, v32
	v_cndmask_b32_e64 v39, -1, 0xffff8000, vcc_lo
	s_delay_alu instid0(VALU_DEP_1) | instskip(NEXT) | instid1(VALU_DEP_1)
	v_xor_b32_e32 v39, v39, v32
	v_cmp_ne_u16_e32 vcc_lo, 0x7fff, v39
	v_cndmask_b32_e32 v39, 0xffff8000, v39, vcc_lo
	s_delay_alu instid0(VALU_DEP_1) | instskip(NEXT) | instid1(VALU_DEP_1)
	v_and_b32_e32 v39, 0xffff, v39
	v_lshrrev_b32_e32 v39, s49, v39
	s_delay_alu instid0(VALU_DEP_1) | instskip(NEXT) | instid1(VALU_DEP_1)
	v_and_b32_e32 v39, s52, v39
	v_lshl_or_b32 v39, v39, 4, v83
	ds_add_u32 v39, v96
	s_or_b32 exec_lo, exec_lo, s9
	s_delay_alu instid0(SALU_CYCLE_1)
	s_mov_b32 s9, exec_lo
	v_cmpx_gt_u32_e64 s8, v74
	s_cbranch_execz .LBB2069_639
.LBB2069_654:                           ;   in Loop: Header=BB2069_610 Depth=2
	v_cmp_lt_i16_e32 vcc_lo, -1, v31
	v_cndmask_b32_e64 v39, -1, 0xffff8000, vcc_lo
	s_delay_alu instid0(VALU_DEP_1) | instskip(NEXT) | instid1(VALU_DEP_1)
	v_xor_b32_e32 v39, v39, v31
	v_cmp_ne_u16_e32 vcc_lo, 0x7fff, v39
	v_cndmask_b32_e32 v39, 0xffff8000, v39, vcc_lo
	s_delay_alu instid0(VALU_DEP_1) | instskip(NEXT) | instid1(VALU_DEP_1)
	v_and_b32_e32 v39, 0xffff, v39
	v_lshrrev_b32_e32 v39, s49, v39
	s_delay_alu instid0(VALU_DEP_1) | instskip(NEXT) | instid1(VALU_DEP_1)
	v_and_b32_e32 v39, s52, v39
	v_lshl_or_b32 v39, v39, 4, v83
	ds_add_u32 v39, v96
	s_or_b32 exec_lo, exec_lo, s9
	s_delay_alu instid0(SALU_CYCLE_1)
	s_mov_b32 s9, exec_lo
	v_cmpx_gt_u32_e64 s8, v75
	s_cbranch_execz .LBB2069_640
.LBB2069_655:                           ;   in Loop: Header=BB2069_610 Depth=2
	v_cmp_lt_i16_e32 vcc_lo, -1, v30
	v_cndmask_b32_e64 v39, -1, 0xffff8000, vcc_lo
	s_delay_alu instid0(VALU_DEP_1) | instskip(NEXT) | instid1(VALU_DEP_1)
	v_xor_b32_e32 v39, v39, v30
	v_cmp_ne_u16_e32 vcc_lo, 0x7fff, v39
	v_cndmask_b32_e32 v39, 0xffff8000, v39, vcc_lo
	s_delay_alu instid0(VALU_DEP_1) | instskip(NEXT) | instid1(VALU_DEP_1)
	v_and_b32_e32 v39, 0xffff, v39
	v_lshrrev_b32_e32 v39, s49, v39
	s_delay_alu instid0(VALU_DEP_1) | instskip(NEXT) | instid1(VALU_DEP_1)
	v_and_b32_e32 v39, s52, v39
	v_lshl_or_b32 v39, v39, 4, v83
	ds_add_u32 v39, v96
	s_or_b32 exec_lo, exec_lo, s9
	s_delay_alu instid0(SALU_CYCLE_1)
	s_mov_b32 s9, exec_lo
	v_cmpx_gt_u32_e64 s8, v76
	s_cbranch_execz .LBB2069_641
.LBB2069_656:                           ;   in Loop: Header=BB2069_610 Depth=2
	v_cmp_lt_i16_e32 vcc_lo, -1, v29
	v_cndmask_b32_e64 v39, -1, 0xffff8000, vcc_lo
	s_delay_alu instid0(VALU_DEP_1) | instskip(NEXT) | instid1(VALU_DEP_1)
	v_xor_b32_e32 v39, v39, v29
	v_cmp_ne_u16_e32 vcc_lo, 0x7fff, v39
	v_cndmask_b32_e32 v39, 0xffff8000, v39, vcc_lo
	s_delay_alu instid0(VALU_DEP_1) | instskip(NEXT) | instid1(VALU_DEP_1)
	v_and_b32_e32 v39, 0xffff, v39
	v_lshrrev_b32_e32 v39, s49, v39
	s_delay_alu instid0(VALU_DEP_1) | instskip(NEXT) | instid1(VALU_DEP_1)
	v_and_b32_e32 v39, s52, v39
	v_lshl_or_b32 v39, v39, 4, v83
	ds_add_u32 v39, v96
	s_or_b32 exec_lo, exec_lo, s9
	s_delay_alu instid0(SALU_CYCLE_1)
	s_mov_b32 s9, exec_lo
	v_cmpx_gt_u32_e64 s8, v77
	s_cbranch_execz .LBB2069_642
.LBB2069_657:                           ;   in Loop: Header=BB2069_610 Depth=2
	v_cmp_lt_i16_e32 vcc_lo, -1, v28
	v_cndmask_b32_e64 v39, -1, 0xffff8000, vcc_lo
	s_delay_alu instid0(VALU_DEP_1) | instskip(NEXT) | instid1(VALU_DEP_1)
	v_xor_b32_e32 v39, v39, v28
	v_cmp_ne_u16_e32 vcc_lo, 0x7fff, v39
	v_cndmask_b32_e32 v39, 0xffff8000, v39, vcc_lo
	s_delay_alu instid0(VALU_DEP_1) | instskip(NEXT) | instid1(VALU_DEP_1)
	v_and_b32_e32 v39, 0xffff, v39
	v_lshrrev_b32_e32 v39, s49, v39
	s_delay_alu instid0(VALU_DEP_1) | instskip(NEXT) | instid1(VALU_DEP_1)
	v_and_b32_e32 v39, s52, v39
	v_lshl_or_b32 v39, v39, 4, v83
	ds_add_u32 v39, v96
	s_or_b32 exec_lo, exec_lo, s9
	s_delay_alu instid0(SALU_CYCLE_1)
	s_mov_b32 s9, exec_lo
	v_cmpx_gt_u32_e64 s8, v78
	s_cbranch_execz .LBB2069_643
.LBB2069_658:                           ;   in Loop: Header=BB2069_610 Depth=2
	v_cmp_lt_i16_e32 vcc_lo, -1, v27
	v_cndmask_b32_e64 v39, -1, 0xffff8000, vcc_lo
	s_delay_alu instid0(VALU_DEP_1) | instskip(NEXT) | instid1(VALU_DEP_1)
	v_xor_b32_e32 v39, v39, v27
	v_cmp_ne_u16_e32 vcc_lo, 0x7fff, v39
	v_cndmask_b32_e32 v39, 0xffff8000, v39, vcc_lo
	s_delay_alu instid0(VALU_DEP_1) | instskip(NEXT) | instid1(VALU_DEP_1)
	v_and_b32_e32 v39, 0xffff, v39
	v_lshrrev_b32_e32 v39, s49, v39
	s_delay_alu instid0(VALU_DEP_1) | instskip(NEXT) | instid1(VALU_DEP_1)
	v_and_b32_e32 v39, s52, v39
	v_lshl_or_b32 v39, v39, 4, v83
	ds_add_u32 v39, v96
	s_or_b32 exec_lo, exec_lo, s9
	s_delay_alu instid0(SALU_CYCLE_1)
	s_mov_b32 s9, exec_lo
	v_cmpx_gt_u32_e64 s8, v79
	s_cbranch_execz .LBB2069_644
.LBB2069_659:                           ;   in Loop: Header=BB2069_610 Depth=2
	v_cmp_lt_i16_e32 vcc_lo, -1, v26
	v_cndmask_b32_e64 v39, -1, 0xffff8000, vcc_lo
	s_delay_alu instid0(VALU_DEP_1) | instskip(NEXT) | instid1(VALU_DEP_1)
	v_xor_b32_e32 v39, v39, v26
	v_cmp_ne_u16_e32 vcc_lo, 0x7fff, v39
	v_cndmask_b32_e32 v39, 0xffff8000, v39, vcc_lo
	s_delay_alu instid0(VALU_DEP_1) | instskip(NEXT) | instid1(VALU_DEP_1)
	v_and_b32_e32 v39, 0xffff, v39
	v_lshrrev_b32_e32 v39, s49, v39
	s_delay_alu instid0(VALU_DEP_1) | instskip(NEXT) | instid1(VALU_DEP_1)
	v_and_b32_e32 v39, s52, v39
	v_lshl_or_b32 v39, v39, 4, v83
	ds_add_u32 v39, v96
	s_or_b32 exec_lo, exec_lo, s9
	s_delay_alu instid0(SALU_CYCLE_1)
	s_mov_b32 s9, exec_lo
	v_cmpx_gt_u32_e64 s8, v80
	s_cbranch_execz .LBB2069_645
.LBB2069_660:                           ;   in Loop: Header=BB2069_610 Depth=2
	v_cmp_lt_i16_e32 vcc_lo, -1, v25
	v_cndmask_b32_e64 v39, -1, 0xffff8000, vcc_lo
	s_delay_alu instid0(VALU_DEP_1) | instskip(NEXT) | instid1(VALU_DEP_1)
	v_xor_b32_e32 v39, v39, v25
	v_cmp_ne_u16_e32 vcc_lo, 0x7fff, v39
	v_cndmask_b32_e32 v39, 0xffff8000, v39, vcc_lo
	s_delay_alu instid0(VALU_DEP_1) | instskip(NEXT) | instid1(VALU_DEP_1)
	v_and_b32_e32 v39, 0xffff, v39
	v_lshrrev_b32_e32 v39, s49, v39
	s_delay_alu instid0(VALU_DEP_1) | instskip(NEXT) | instid1(VALU_DEP_1)
	v_and_b32_e32 v39, s52, v39
	v_lshl_or_b32 v39, v39, 4, v83
	ds_add_u32 v39, v96
	s_or_b32 exec_lo, exec_lo, s9
	s_delay_alu instid0(SALU_CYCLE_1)
	s_mov_b32 s9, exec_lo
	v_cmpx_gt_u32_e64 s8, v81
	s_cbranch_execz .LBB2069_646
.LBB2069_661:                           ;   in Loop: Header=BB2069_610 Depth=2
	v_cmp_lt_i16_e32 vcc_lo, -1, v24
	v_cndmask_b32_e64 v39, -1, 0xffff8000, vcc_lo
	s_delay_alu instid0(VALU_DEP_1) | instskip(NEXT) | instid1(VALU_DEP_1)
	v_xor_b32_e32 v39, v39, v24
	v_cmp_ne_u16_e32 vcc_lo, 0x7fff, v39
	v_cndmask_b32_e32 v39, 0xffff8000, v39, vcc_lo
	s_delay_alu instid0(VALU_DEP_1) | instskip(NEXT) | instid1(VALU_DEP_1)
	v_and_b32_e32 v39, 0xffff, v39
	v_lshrrev_b32_e32 v39, s49, v39
	s_delay_alu instid0(VALU_DEP_1) | instskip(NEXT) | instid1(VALU_DEP_1)
	v_and_b32_e32 v39, s52, v39
	v_lshl_or_b32 v39, v39, 4, v83
	ds_add_u32 v39, v96
	s_or_b32 exec_lo, exec_lo, s9
	v_cmp_gt_u32_e32 vcc_lo, s8, v82
	s_and_saveexec_b32 s8, vcc_lo
	s_cbranch_execz .LBB2069_609
.LBB2069_662:                           ;   in Loop: Header=BB2069_610 Depth=2
	v_cmp_lt_i16_e32 vcc_lo, -1, v23
	v_cndmask_b32_e64 v39, -1, 0xffff8000, vcc_lo
	s_delay_alu instid0(VALU_DEP_1) | instskip(NEXT) | instid1(VALU_DEP_1)
	v_xor_b32_e32 v39, v39, v23
	v_cmp_ne_u16_e32 vcc_lo, 0x7fff, v39
	v_cndmask_b32_e32 v39, 0xffff8000, v39, vcc_lo
	s_delay_alu instid0(VALU_DEP_1) | instskip(NEXT) | instid1(VALU_DEP_1)
	v_and_b32_e32 v39, 0xffff, v39
	v_lshrrev_b32_e32 v39, s49, v39
	s_delay_alu instid0(VALU_DEP_1) | instskip(NEXT) | instid1(VALU_DEP_1)
	v_and_b32_e32 v39, s52, v39
	v_lshl_or_b32 v39, v39, 4, v83
	ds_add_u32 v39, v96
	s_branch .LBB2069_609
.LBB2069_663:                           ;   in Loop: Header=BB2069_610 Depth=2
	global_load_u16 v38, v2, s[8:9] scale_offset
	s_wait_xcnt 0x0
	s_or_b32 exec_lo, exec_lo, s11
	s_delay_alu instid0(SALU_CYCLE_1)
	s_mov_b32 s11, exec_lo
	v_cmpx_gt_u32_e64 s7, v68
	s_cbranch_execz .LBB2069_615
.LBB2069_664:                           ;   in Loop: Header=BB2069_610 Depth=2
	global_load_u16 v37, v2, s[8:9] offset:512 scale_offset
	s_wait_xcnt 0x0
	s_or_b32 exec_lo, exec_lo, s11
	s_delay_alu instid0(SALU_CYCLE_1)
	s_mov_b32 s11, exec_lo
	v_cmpx_gt_u32_e64 s7, v69
	s_cbranch_execz .LBB2069_616
.LBB2069_665:                           ;   in Loop: Header=BB2069_610 Depth=2
	global_load_u16 v36, v2, s[8:9] offset:1024 scale_offset
	s_wait_xcnt 0x0
	s_or_b32 exec_lo, exec_lo, s11
	s_delay_alu instid0(SALU_CYCLE_1)
	s_mov_b32 s11, exec_lo
	v_cmpx_gt_u32_e64 s7, v70
	s_cbranch_execz .LBB2069_617
.LBB2069_666:                           ;   in Loop: Header=BB2069_610 Depth=2
	global_load_u16 v35, v2, s[8:9] offset:1536 scale_offset
	s_wait_xcnt 0x0
	s_or_b32 exec_lo, exec_lo, s11
	s_delay_alu instid0(SALU_CYCLE_1)
	s_mov_b32 s11, exec_lo
	v_cmpx_gt_u32_e64 s7, v71
	s_cbranch_execz .LBB2069_618
.LBB2069_667:                           ;   in Loop: Header=BB2069_610 Depth=2
	global_load_u16 v34, v2, s[8:9] offset:2048 scale_offset
	s_wait_xcnt 0x0
	s_or_b32 exec_lo, exec_lo, s11
	s_delay_alu instid0(SALU_CYCLE_1)
	s_mov_b32 s11, exec_lo
	v_cmpx_gt_u32_e64 s7, v72
	s_cbranch_execz .LBB2069_619
.LBB2069_668:                           ;   in Loop: Header=BB2069_610 Depth=2
	global_load_u16 v33, v2, s[8:9] offset:2560 scale_offset
	s_wait_xcnt 0x0
	s_or_b32 exec_lo, exec_lo, s11
	s_delay_alu instid0(SALU_CYCLE_1)
	s_mov_b32 s11, exec_lo
	v_cmpx_gt_u32_e64 s7, v73
	s_cbranch_execz .LBB2069_620
.LBB2069_669:                           ;   in Loop: Header=BB2069_610 Depth=2
	global_load_u16 v32, v2, s[8:9] offset:3072 scale_offset
	s_wait_xcnt 0x0
	s_or_b32 exec_lo, exec_lo, s11
	s_delay_alu instid0(SALU_CYCLE_1)
	s_mov_b32 s11, exec_lo
	v_cmpx_gt_u32_e64 s7, v74
	s_cbranch_execz .LBB2069_621
.LBB2069_670:                           ;   in Loop: Header=BB2069_610 Depth=2
	global_load_u16 v31, v2, s[8:9] offset:3584 scale_offset
	s_wait_xcnt 0x0
	s_or_b32 exec_lo, exec_lo, s11
	s_delay_alu instid0(SALU_CYCLE_1)
	s_mov_b32 s11, exec_lo
	v_cmpx_gt_u32_e64 s7, v75
	s_cbranch_execz .LBB2069_622
.LBB2069_671:                           ;   in Loop: Header=BB2069_610 Depth=2
	global_load_u16 v30, v2, s[8:9] offset:4096 scale_offset
	s_wait_xcnt 0x0
	s_or_b32 exec_lo, exec_lo, s11
	s_delay_alu instid0(SALU_CYCLE_1)
	s_mov_b32 s11, exec_lo
	v_cmpx_gt_u32_e64 s7, v76
	s_cbranch_execz .LBB2069_623
.LBB2069_672:                           ;   in Loop: Header=BB2069_610 Depth=2
	global_load_u16 v29, v2, s[8:9] offset:4608 scale_offset
	s_wait_xcnt 0x0
	s_or_b32 exec_lo, exec_lo, s11
	s_delay_alu instid0(SALU_CYCLE_1)
	s_mov_b32 s11, exec_lo
	v_cmpx_gt_u32_e64 s7, v77
	s_cbranch_execz .LBB2069_624
.LBB2069_673:                           ;   in Loop: Header=BB2069_610 Depth=2
	global_load_u16 v28, v2, s[8:9] offset:5120 scale_offset
	s_wait_xcnt 0x0
	s_or_b32 exec_lo, exec_lo, s11
	s_delay_alu instid0(SALU_CYCLE_1)
	s_mov_b32 s11, exec_lo
	v_cmpx_gt_u32_e64 s7, v78
	s_cbranch_execz .LBB2069_625
.LBB2069_674:                           ;   in Loop: Header=BB2069_610 Depth=2
	global_load_u16 v27, v2, s[8:9] offset:5632 scale_offset
	s_wait_xcnt 0x0
	s_or_b32 exec_lo, exec_lo, s11
	s_delay_alu instid0(SALU_CYCLE_1)
	s_mov_b32 s11, exec_lo
	v_cmpx_gt_u32_e64 s7, v79
	s_cbranch_execz .LBB2069_626
.LBB2069_675:                           ;   in Loop: Header=BB2069_610 Depth=2
	global_load_u16 v26, v2, s[8:9] offset:6144 scale_offset
	s_wait_xcnt 0x0
	s_or_b32 exec_lo, exec_lo, s11
	s_delay_alu instid0(SALU_CYCLE_1)
	s_mov_b32 s11, exec_lo
	v_cmpx_gt_u32_e64 s7, v80
	s_cbranch_execz .LBB2069_627
.LBB2069_676:                           ;   in Loop: Header=BB2069_610 Depth=2
	global_load_u16 v25, v2, s[8:9] offset:6656 scale_offset
	s_wait_xcnt 0x0
	s_or_b32 exec_lo, exec_lo, s11
	s_delay_alu instid0(SALU_CYCLE_1)
	s_mov_b32 s11, exec_lo
	v_cmpx_gt_u32_e64 s7, v81
	s_cbranch_execz .LBB2069_628
.LBB2069_677:                           ;   in Loop: Header=BB2069_610 Depth=2
	global_load_u16 v24, v2, s[8:9] offset:7168 scale_offset
	s_wait_xcnt 0x0
	s_or_b32 exec_lo, exec_lo, s11
	s_delay_alu instid0(SALU_CYCLE_1)
	s_mov_b32 s11, exec_lo
	v_cmpx_gt_u32_e64 s7, v82
	s_cbranch_execnz .LBB2069_629
	s_branch .LBB2069_630
.LBB2069_678:                           ;   in Loop: Header=BB2069_20 Depth=1
	v_mov_b32_e32 v23, 0
	s_wait_dscnt 0x0
	s_barrier_signal -1
	s_barrier_wait -1
	s_and_saveexec_b32 s7, s0
	s_cbranch_execz .LBB2069_680
; %bb.679:                              ;   in Loop: Header=BB2069_20 Depth=1
	ds_load_2addr_b64 v[24:27], v85 offset1:1
	s_wait_dscnt 0x0
	v_add_nc_u32_e32 v23, v25, v24
	s_delay_alu instid0(VALU_DEP_1)
	v_add3_u32 v23, v23, v26, v27
.LBB2069_680:                           ;   in Loop: Header=BB2069_20 Depth=1
	s_or_b32 exec_lo, exec_lo, s7
	s_delay_alu instid0(VALU_DEP_1)
	v_mov_b32_dpp v24, v23 row_shr:1 row_mask:0xf bank_mask:0xf
	v_cmp_eq_u32_e64 s7, 0, v97
	v_cmp_lt_u32_e64 s8, 1, v97
	v_cmp_lt_u32_e64 s9, 3, v97
	;; [unrolled: 1-line block ×3, first 2 shown]
	v_cmp_eq_u32_e64 s11, 0, v99
	v_cndmask_b32_e64 v24, v24, 0, s7
	s_delay_alu instid0(VALU_DEP_1) | instskip(NEXT) | instid1(VALU_DEP_1)
	v_add_nc_u32_e32 v23, v24, v23
	v_mov_b32_dpp v24, v23 row_shr:2 row_mask:0xf bank_mask:0xf
	s_delay_alu instid0(VALU_DEP_1) | instskip(NEXT) | instid1(VALU_DEP_1)
	v_cndmask_b32_e64 v24, 0, v24, s8
	v_add_nc_u32_e32 v23, v23, v24
	s_delay_alu instid0(VALU_DEP_1) | instskip(NEXT) | instid1(VALU_DEP_1)
	v_mov_b32_dpp v24, v23 row_shr:4 row_mask:0xf bank_mask:0xf
	v_cndmask_b32_e64 v24, 0, v24, s9
	s_delay_alu instid0(VALU_DEP_1) | instskip(NEXT) | instid1(VALU_DEP_1)
	v_add_nc_u32_e32 v23, v23, v24
	v_mov_b32_dpp v24, v23 row_shr:8 row_mask:0xf bank_mask:0xf
	s_delay_alu instid0(VALU_DEP_1) | instskip(NEXT) | instid1(VALU_DEP_1)
	v_cndmask_b32_e64 v24, 0, v24, s10
	v_add_nc_u32_e32 v23, v23, v24
	ds_swizzle_b32 v24, v23 offset:swizzle(BROADCAST,32,15)
	s_wait_dscnt 0x0
	v_and_b32_e32 v24, v98, v24
	s_delay_alu instid0(VALU_DEP_1)
	v_add_nc_u32_e32 v23, v23, v24
	s_and_saveexec_b32 s12, s1
; %bb.681:                              ;   in Loop: Header=BB2069_20 Depth=1
	ds_store_b32 v86, v23
; %bb.682:                              ;   in Loop: Header=BB2069_20 Depth=1
	s_or_b32 exec_lo, exec_lo, s12
	s_wait_dscnt 0x0
	s_barrier_signal -1
	s_barrier_wait -1
	s_and_saveexec_b32 s12, s4
	s_cbranch_execz .LBB2069_684
; %bb.683:                              ;   in Loop: Header=BB2069_20 Depth=1
	ds_load_b32 v24, v87
	v_cmp_ne_u32_e32 vcc_lo, 0, v101
	s_wait_dscnt 0x0
	v_mov_b32_dpp v25, v24 row_shr:1 row_mask:0xf bank_mask:0xf
	s_delay_alu instid0(VALU_DEP_1) | instskip(SKIP_1) | instid1(VALU_DEP_2)
	v_cndmask_b32_e32 v25, 0, v25, vcc_lo
	v_cmp_lt_u32_e32 vcc_lo, 1, v101
	v_add_nc_u32_e32 v24, v25, v24
	s_delay_alu instid0(VALU_DEP_1) | instskip(NEXT) | instid1(VALU_DEP_1)
	v_mov_b32_dpp v25, v24 row_shr:2 row_mask:0xf bank_mask:0xf
	v_cndmask_b32_e32 v25, 0, v25, vcc_lo
	v_cmp_lt_u32_e32 vcc_lo, 3, v101
	s_delay_alu instid0(VALU_DEP_2) | instskip(NEXT) | instid1(VALU_DEP_1)
	v_add_nc_u32_e32 v24, v24, v25
	v_mov_b32_dpp v25, v24 row_shr:4 row_mask:0xf bank_mask:0xf
	s_delay_alu instid0(VALU_DEP_1) | instskip(NEXT) | instid1(VALU_DEP_1)
	v_cndmask_b32_e32 v25, 0, v25, vcc_lo
	v_add_nc_u32_e32 v24, v24, v25
	ds_store_b32 v87, v24
.LBB2069_684:                           ;   in Loop: Header=BB2069_20 Depth=1
	s_or_b32 exec_lo, exec_lo, s12
	v_mov_b32_e32 v24, 0
	s_wait_dscnt 0x0
	s_barrier_signal -1
	s_barrier_wait -1
	s_and_saveexec_b32 s12, s5
; %bb.685:                              ;   in Loop: Header=BB2069_20 Depth=1
	ds_load_b32 v24, v88
; %bb.686:                              ;   in Loop: Header=BB2069_20 Depth=1
	s_or_b32 exec_lo, exec_lo, s12
	v_cmp_gt_i32_e32 vcc_lo, 0, v102
	s_wait_dscnt 0x0
	s_barrier_signal -1
	s_barrier_wait -1
	v_cndmask_b32_e32 v25, v102, v95, vcc_lo
	s_delay_alu instid0(VALU_DEP_1)
	v_dual_add_nc_u32 v23, v24, v23 :: v_dual_lshlrev_b32 v122, 2, v25
	ds_bpermute_b32 v23, v122, v23
	s_and_saveexec_b32 s12, s0
	s_cbranch_execz .LBB2069_688
; %bb.687:                              ;   in Loop: Header=BB2069_20 Depth=1
	s_wait_dscnt 0x0
	v_cndmask_b32_e64 v23, v23, v24, s6
	s_delay_alu instid0(VALU_DEP_1)
	v_add_nc_u32_e32 v23, s54, v23
	ds_store_b32 v3, v23
.LBB2069_688:                           ;   in Loop: Header=BB2069_20 Depth=1
	s_or_b32 exec_lo, exec_lo, s12
	s_load_b64 s[12:13], s[34:35], 0x0
	s_mov_b32 s53, s56
                                        ; implicit-def: $vgpr30_vgpr31
                                        ; implicit-def: $vgpr32_vgpr33
                                        ; implicit-def: $vgpr34_vgpr35
                                        ; implicit-def: $vgpr36_vgpr37
                                        ; implicit-def: $vgpr38_vgpr39
                                        ; implicit-def: $vgpr40_vgpr41
                                        ; implicit-def: $vgpr42_vgpr43
                                        ; implicit-def: $vgpr44_vgpr45
                                        ; implicit-def: $vgpr46_vgpr47
                                        ; implicit-def: $vgpr48_vgpr49
                                        ; implicit-def: $vgpr50_vgpr51
                                        ; implicit-def: $vgpr52_vgpr53
                                        ; implicit-def: $vgpr54_vgpr55
                                        ; implicit-def: $vgpr56_vgpr57
                                        ; implicit-def: $vgpr58_vgpr59
                                        ; implicit-def: $vgpr123
                                        ; implicit-def: $vgpr124
                                        ; implicit-def: $vgpr125
                                        ; implicit-def: $vgpr126
                                        ; implicit-def: $vgpr127
                                        ; implicit-def: $vgpr128
                                        ; implicit-def: $vgpr129
                                        ; implicit-def: $vgpr130
                                        ; implicit-def: $vgpr131
                                        ; implicit-def: $vgpr132
                                        ; implicit-def: $vgpr133
                                        ; implicit-def: $vgpr134
                                        ; implicit-def: $vgpr135
                                        ; implicit-def: $vgpr136
                                        ; implicit-def: $vgpr137
                                        ; implicit-def: $vgpr138
	s_wait_kmcnt 0x0
	s_cmp_lt_u32 s33, s12
	s_cselect_b32 s42, 12, 18
	s_cmp_lt_u32 s31, s13
	s_mov_b32 s13, s43
	s_cselect_b32 s12, 14, 20
	s_delay_alu instid0(SALU_CYCLE_1)
	s_add_nc_u64 s[12:13], s[34:35], s[12:13]
	s_load_u16 s14, s[12:13], 0x0
	s_wait_xcnt 0x0
	s_add_nc_u64 s[12:13], s[34:35], s[42:43]
	s_mov_b32 s42, s54
	s_load_u16 s12, s[12:13], 0x0
	s_wait_xcnt 0x0
	v_cmp_lt_u32_e64 s13, 1, v101
	s_wait_dscnt 0x0
	s_wait_kmcnt 0x0
	v_mad_u32_u24 v23, v89, s14, v90
	v_cmp_lt_u32_e64 s14, 3, v101
	s_delay_alu instid0(VALU_DEP_2) | instskip(SKIP_2) | instid1(VALU_DEP_3)
	v_mad_u32 v24, v23, s12, v2
	v_mov_b32_e32 v23, v5
	v_cmp_eq_u32_e64 s12, 0, v101
	v_lshrrev_b32_e32 v28, 3, v24
	v_add_nc_u64_e32 v[24:25], v[18:19], v[4:5]
	s_delay_alu instid0(VALU_DEP_4) | instskip(NEXT) | instid1(VALU_DEP_3)
	v_add_nc_u64_e32 v[26:27], v[20:21], v[22:23]
	v_and_b32_e32 v23, 0x1ffffffc, v28
                                        ; implicit-def: $vgpr28_vgpr29
	s_branch .LBB2069_690
.LBB2069_689:                           ;   in Loop: Header=BB2069_690 Depth=2
	s_or_b32 exec_lo, exec_lo, s15
	s_addk_co_i32 s53, 0xf000
	s_cmp_lt_u32 s57, s51
	s_mov_b32 s42, s57
	s_cbranch_scc0 .LBB2069_898
.LBB2069_690:                           ;   Parent Loop BB2069_20 Depth=1
                                        ; =>  This Inner Loop Header: Depth=2
	s_add_co_i32 s57, s42, 0x1000
	s_delay_alu instid0(SALU_CYCLE_1)
	s_cmp_gt_u32 s57, s51
	s_cbranch_scc1 .LBB2069_692
; %bb.691:                              ;   in Loop: Header=BB2069_690 Depth=2
	s_delay_alu instid0(VALU_DEP_2)
	v_lshl_add_u64 v[60:61], s[42:43], 1, v[26:27]
	s_mov_b32 s15, -1
	s_clause 0xe
	global_load_u16 v140, v[60:61], off
	global_load_u16 v141, v[60:61], off offset:64
	global_load_u16 v144, v[60:61], off offset:128
	;; [unrolled: 1-line block ×14, first 2 shown]
	s_movk_i32 s16, 0x1000
	s_cbranch_execz .LBB2069_693
	s_branch .LBB2069_724
.LBB2069_692:                           ;   in Loop: Header=BB2069_690 Depth=2
	s_mov_b32 s15, 0
                                        ; implicit-def: $vgpr140
                                        ; implicit-def: $vgpr141
                                        ; implicit-def: $vgpr144
                                        ; implicit-def: $vgpr148
                                        ; implicit-def: $vgpr152
                                        ; implicit-def: $vgpr156
                                        ; implicit-def: $vgpr160
                                        ; implicit-def: $vgpr164
                                        ; implicit-def: $vgpr168
                                        ; implicit-def: $vgpr67
                                        ; implicit-def: $vgpr66
                                        ; implicit-def: $vgpr65
                                        ; implicit-def: $vgpr64
                                        ; implicit-def: $vgpr63
                                        ; implicit-def: $vgpr62
	s_movk_i32 s16, 0x1000
.LBB2069_693:                           ;   in Loop: Header=BB2069_690 Depth=2
	s_wait_xcnt 0x0
	v_lshl_add_u64 v[60:61], s[42:43], 1, v[26:27]
	s_wait_loadcnt 0xd
	v_dual_mov_b32 v141, 0x7fff :: v_dual_mov_b32 v140, 0x7fff
	s_mov_b32 s15, exec_lo
	v_cmpx_gt_u32_e64 s53, v100
	s_cbranch_execz .LBB2069_695
; %bb.694:                              ;   in Loop: Header=BB2069_690 Depth=2
	global_load_u16 v140, v[60:61], off
.LBB2069_695:                           ;   in Loop: Header=BB2069_690 Depth=2
	s_wait_xcnt 0x0
	s_or_b32 exec_lo, exec_lo, s15
	s_delay_alu instid0(SALU_CYCLE_1)
	s_mov_b32 s15, exec_lo
	v_cmpx_gt_u32_e64 s53, v103
	s_cbranch_execz .LBB2069_697
; %bb.696:                              ;   in Loop: Header=BB2069_690 Depth=2
	global_load_u16 v141, v[60:61], off offset:64
.LBB2069_697:                           ;   in Loop: Header=BB2069_690 Depth=2
	s_wait_xcnt 0x0
	s_or_b32 exec_lo, exec_lo, s15
	s_wait_loadcnt 0xb
	v_mov_b32_e32 v148, 0x7fff
	v_mov_b32_e32 v144, 0x7fff
	s_mov_b32 s15, exec_lo
	v_cmpx_gt_u32_e64 s53, v104
	s_cbranch_execz .LBB2069_699
; %bb.698:                              ;   in Loop: Header=BB2069_690 Depth=2
	global_load_u16 v144, v[60:61], off offset:128
.LBB2069_699:                           ;   in Loop: Header=BB2069_690 Depth=2
	s_wait_xcnt 0x0
	s_or_b32 exec_lo, exec_lo, s15
	s_delay_alu instid0(SALU_CYCLE_1)
	s_mov_b32 s15, exec_lo
	v_cmpx_gt_u32_e64 s53, v105
	s_cbranch_execz .LBB2069_701
; %bb.700:                              ;   in Loop: Header=BB2069_690 Depth=2
	global_load_u16 v148, v[60:61], off offset:192
.LBB2069_701:                           ;   in Loop: Header=BB2069_690 Depth=2
	s_wait_xcnt 0x0
	s_or_b32 exec_lo, exec_lo, s15
	s_wait_loadcnt 0x9
	v_mov_b32_e32 v156, 0x7fff
	v_mov_b32_e32 v152, 0x7fff
	s_mov_b32 s15, exec_lo
	v_cmpx_gt_u32_e64 s53, v106
	s_cbranch_execz .LBB2069_703
; %bb.702:                              ;   in Loop: Header=BB2069_690 Depth=2
	global_load_u16 v152, v[60:61], off offset:256
.LBB2069_703:                           ;   in Loop: Header=BB2069_690 Depth=2
	;; [unrolled: 20-line block ×3, first 2 shown]
	s_wait_xcnt 0x0
	s_or_b32 exec_lo, exec_lo, s15
	s_delay_alu instid0(SALU_CYCLE_1)
	s_mov_b32 s15, exec_lo
	v_cmpx_gt_u32_e64 s53, v109
	s_cbranch_execz .LBB2069_709
; %bb.708:                              ;   in Loop: Header=BB2069_690 Depth=2
	global_load_u16 v164, v[60:61], off offset:448
.LBB2069_709:                           ;   in Loop: Header=BB2069_690 Depth=2
	s_wait_xcnt 0x0
	s_or_b32 exec_lo, exec_lo, s15
	s_wait_loadcnt 0x5
	v_dual_mov_b32 v67, 0x7fff :: v_dual_mov_b32 v168, 0x7fff
	s_mov_b32 s15, exec_lo
	v_cmpx_gt_u32_e64 s53, v110
	s_cbranch_execz .LBB2069_711
; %bb.710:                              ;   in Loop: Header=BB2069_690 Depth=2
	global_load_u16 v168, v[60:61], off offset:512
.LBB2069_711:                           ;   in Loop: Header=BB2069_690 Depth=2
	s_wait_xcnt 0x0
	s_or_b32 exec_lo, exec_lo, s15
	s_delay_alu instid0(SALU_CYCLE_1)
	s_mov_b32 s15, exec_lo
	v_cmpx_gt_u32_e64 s53, v111
	s_cbranch_execz .LBB2069_713
; %bb.712:                              ;   in Loop: Header=BB2069_690 Depth=2
	global_load_u16 v67, v[60:61], off offset:576
.LBB2069_713:                           ;   in Loop: Header=BB2069_690 Depth=2
	s_wait_xcnt 0x0
	s_or_b32 exec_lo, exec_lo, s15
	s_wait_loadcnt 0x3
	v_dual_mov_b32 v65, 0x7fff :: v_dual_mov_b32 v66, 0x7fff
	s_mov_b32 s15, exec_lo
	v_cmpx_gt_u32_e64 s53, v112
	s_cbranch_execz .LBB2069_715
; %bb.714:                              ;   in Loop: Header=BB2069_690 Depth=2
	global_load_u16 v66, v[60:61], off offset:640
.LBB2069_715:                           ;   in Loop: Header=BB2069_690 Depth=2
	s_wait_xcnt 0x0
	s_or_b32 exec_lo, exec_lo, s15
	s_delay_alu instid0(SALU_CYCLE_1)
	s_mov_b32 s15, exec_lo
	v_cmpx_gt_u32_e64 s53, v113
	s_cbranch_execz .LBB2069_717
; %bb.716:                              ;   in Loop: Header=BB2069_690 Depth=2
	global_load_u16 v65, v[60:61], off offset:704
.LBB2069_717:                           ;   in Loop: Header=BB2069_690 Depth=2
	s_wait_xcnt 0x0
	s_or_b32 exec_lo, exec_lo, s15
	s_wait_loadcnt 0x1
	v_dual_mov_b32 v63, 0x7fff :: v_dual_mov_b32 v64, 0x7fff
	s_mov_b32 s15, exec_lo
	v_cmpx_gt_u32_e64 s53, v114
	s_cbranch_execz .LBB2069_719
; %bb.718:                              ;   in Loop: Header=BB2069_690 Depth=2
	global_load_u16 v64, v[60:61], off offset:768
.LBB2069_719:                           ;   in Loop: Header=BB2069_690 Depth=2
	s_wait_xcnt 0x0
	s_or_b32 exec_lo, exec_lo, s15
	s_delay_alu instid0(SALU_CYCLE_1)
	s_mov_b32 s15, exec_lo
	v_cmpx_gt_u32_e64 s53, v115
	s_cbranch_execz .LBB2069_721
; %bb.720:                              ;   in Loop: Header=BB2069_690 Depth=2
	global_load_u16 v63, v[60:61], off offset:832
.LBB2069_721:                           ;   in Loop: Header=BB2069_690 Depth=2
	s_wait_xcnt 0x0
	s_or_b32 exec_lo, exec_lo, s15
	s_wait_loadcnt 0x0
	v_mov_b32_e32 v62, 0x7fff
	s_mov_b32 s15, exec_lo
	v_cmpx_gt_u32_e64 s53, v116
	s_cbranch_execz .LBB2069_723
; %bb.722:                              ;   in Loop: Header=BB2069_690 Depth=2
	global_load_u16 v62, v[60:61], off offset:896
.LBB2069_723:                           ;   in Loop: Header=BB2069_690 Depth=2
	s_wait_xcnt 0x0
	s_or_b32 exec_lo, exec_lo, s15
	v_cmp_gt_u32_e64 s15, s53, v117
	s_sub_co_i32 s16, s51, s42
.LBB2069_724:                           ;   in Loop: Header=BB2069_690 Depth=2
	s_wait_xcnt 0x0
	v_dual_mov_b32 v60, 0x7fff :: v_dual_mov_b32 v139, s53
	s_and_saveexec_b32 s17, s15
	s_cbranch_execz .LBB2069_726
; %bb.725:                              ;   in Loop: Header=BB2069_690 Depth=2
	v_lshl_add_u64 v[60:61], s[42:43], 1, v[26:27]
	v_mov_b32_e32 v139, s16
	global_load_u16 v60, v[60:61], off offset:960
.LBB2069_726:                           ;   in Loop: Header=BB2069_690 Depth=2
	s_wait_xcnt 0x0
	s_or_b32 exec_lo, exec_lo, s17
	s_wait_loadcnt 0xe
	v_cmp_lt_i16_e64 vcc_lo, -1, v140
	ds_store_2addr_b32 v121, v5, v5 offset1:1
	ds_store_2addr_b32 v118, v5, v5 offset1:1
	;; [unrolled: 1-line block ×4, first 2 shown]
	ds_store_b32 v91, v5 offset:1088
	s_wait_loadcnt_dscnt 0x0
	s_barrier_signal -1
	v_cndmask_b32_e64 v61, -1, 0xffff8000, vcc_lo
	s_barrier_wait -1
	; wave barrier
	s_delay_alu instid0(VALU_DEP_1) | instskip(NEXT) | instid1(VALU_DEP_1)
	v_xor_b32_e32 v140, v61, v140
	v_cmp_ne_u16_e64 vcc_lo, 0x7fff, v140
	v_cndmask_b32_e32 v61, 0xffff8000, v140, vcc_lo
	s_delay_alu instid0(VALU_DEP_1) | instskip(NEXT) | instid1(VALU_DEP_1)
	v_and_b32_e32 v61, 0xffff, v61
	v_lshrrev_b32_e32 v61, s49, v61
	s_delay_alu instid0(VALU_DEP_1) | instskip(SKIP_1) | instid1(VALU_DEP_2)
	v_bitop3_b32 v142, v61, 1, s52 bitop3:0x80
	v_and_b32_e32 v143, s52, v61
	v_add_co_u32 v61, s15, v142, -1
	s_delay_alu instid0(VALU_DEP_1) | instskip(NEXT) | instid1(VALU_DEP_3)
	v_cndmask_b32_e64 v142, 0, 1, s15
	v_lshlrev_b32_e32 v145, 30, v143
	s_delay_alu instid0(VALU_DEP_2) | instskip(NEXT) | instid1(VALU_DEP_2)
	v_cmp_ne_u32_e32 vcc_lo, 0, v142
	v_not_b32_e32 v142, v145
	s_delay_alu instid0(VALU_DEP_1) | instskip(SKIP_3) | instid1(VALU_DEP_4)
	v_dual_ashrrev_i32 v142, 31, v142 :: v_dual_lshlrev_b32 v146, 29, v143
	v_dual_lshlrev_b32 v147, 28, v143 :: v_dual_lshlrev_b32 v149, 27, v143
	v_lshlrev_b32_e32 v150, 26, v143
	v_cmp_gt_i32_e64 s15, 0, v145
	v_cmp_gt_i32_e64 s16, 0, v146
	v_not_b32_e32 v145, v146
	v_not_b32_e32 v146, v147
	v_dual_lshlrev_b32 v151, 25, v143 :: v_dual_lshlrev_b32 v153, 24, v143
	v_cmp_gt_i32_e64 s17, 0, v147
	v_cmp_gt_i32_e64 s18, 0, v149
	v_not_b32_e32 v147, v149
	v_not_b32_e32 v149, v150
	v_dual_ashrrev_i32 v146, 31, v146 :: v_dual_bitop2_b32 v61, vcc_lo, v61 bitop3:0x14
	v_dual_ashrrev_i32 v145, 31, v145 :: v_dual_bitop2_b32 v142, s15, v142 bitop3:0x14
	v_cmp_gt_i32_e64 s19, 0, v150
	v_cmp_gt_i32_e64 s20, 0, v151
	v_not_b32_e32 v150, v151
	v_not_b32_e32 v151, v153
	v_dual_ashrrev_i32 v147, 31, v147 :: v_dual_ashrrev_i32 v149, 31, v149
	v_xor_b32_e32 v145, s16, v145
	v_xor_b32_e32 v146, s17, v146
	v_bitop3_b32 v61, v61, v142, exec_lo bitop3:0x80
	v_cmp_gt_i32_e64 s21, 0, v153
	v_dual_ashrrev_i32 v142, 31, v150 :: v_dual_ashrrev_i32 v150, 31, v151
	v_xor_b32_e32 v147, s18, v147
	s_delay_alu instid0(VALU_DEP_4) | instskip(SKIP_3) | instid1(VALU_DEP_3)
	v_bitop3_b32 v61, v61, v146, v145 bitop3:0x80
	v_mul_u32_u24_e32 v143, 36, v143
	v_xor_b32_e32 v149, s19, v149
	v_xor_b32_e32 v142, s20, v142
	v_dual_add_nc_u32 v143, v23, v143 :: v_dual_bitop2_b32 v145, s21, v150 bitop3:0x14
	s_delay_alu instid0(VALU_DEP_3) | instskip(NEXT) | instid1(VALU_DEP_1)
	v_bitop3_b32 v61, v61, v149, v147 bitop3:0x80
	v_bitop3_b32 v61, v61, v145, v142 bitop3:0x80
	s_delay_alu instid0(VALU_DEP_1) | instskip(SKIP_1) | instid1(VALU_DEP_2)
	v_mbcnt_lo_u32_b32 v142, v61, 0
	v_cmp_ne_u32_e64 s15, 0, v61
	v_cmp_eq_u32_e32 vcc_lo, 0, v142
	s_and_b32 s16, s15, vcc_lo
	s_delay_alu instid0(SALU_CYCLE_1)
	s_and_saveexec_b32 s15, s16
; %bb.727:                              ;   in Loop: Header=BB2069_690 Depth=2
	v_bcnt_u32_b32 v61, v61, 0
	ds_store_b32 v143, v61 offset:1056
; %bb.728:                              ;   in Loop: Header=BB2069_690 Depth=2
	s_or_b32 exec_lo, exec_lo, s15
	v_cmp_lt_i16_e64 vcc_lo, -1, v141
	; wave barrier
	s_delay_alu instid0(VALU_DEP_1) | instskip(NEXT) | instid1(VALU_DEP_1)
	v_cndmask_b32_e64 v61, -1, 0xffff8000, vcc_lo
	v_xor_b32_e32 v141, v61, v141
	s_delay_alu instid0(VALU_DEP_1) | instskip(SKIP_1) | instid1(VALU_DEP_1)
	v_cmp_ne_u16_e64 vcc_lo, 0x7fff, v141
	v_cndmask_b32_e32 v61, 0xffff8000, v141, vcc_lo
	v_and_b32_e32 v61, 0xffff, v61
	s_delay_alu instid0(VALU_DEP_1) | instskip(NEXT) | instid1(VALU_DEP_1)
	v_lshrrev_b32_e32 v61, s49, v61
	v_and_b32_e32 v147, s52, v61
	s_delay_alu instid0(VALU_DEP_1) | instskip(SKIP_2) | instid1(VALU_DEP_3)
	v_lshlrev_b32_e32 v149, 29, v147
	v_bitop3_b32 v145, v61, 1, s52 bitop3:0x80
	v_lshlrev_b32_e32 v146, 30, v147
	v_cmp_gt_i32_e64 s16, 0, v149
	s_delay_alu instid0(VALU_DEP_3) | instskip(NEXT) | instid1(VALU_DEP_1)
	v_add_co_u32 v61, s15, v145, -1
	v_cndmask_b32_e64 v145, 0, 1, s15
	s_delay_alu instid0(VALU_DEP_4) | instskip(NEXT) | instid1(VALU_DEP_2)
	v_cmp_gt_i32_e64 s15, 0, v146
	v_cmp_ne_u32_e32 vcc_lo, 0, v145
	v_not_b32_e32 v145, v146
	v_not_b32_e32 v146, v149
	s_delay_alu instid0(VALU_DEP_1) | instskip(SKIP_2) | instid1(VALU_DEP_3)
	v_dual_ashrrev_i32 v146, 31, v146 :: v_dual_lshlrev_b32 v150, 28, v147
	v_dual_lshlrev_b32 v151, 27, v147 :: v_dual_lshlrev_b32 v153, 26, v147
	v_dual_lshlrev_b32 v154, 25, v147 :: v_dual_lshlrev_b32 v155, 24, v147
	v_cmp_gt_i32_e64 s17, 0, v150
	v_not_b32_e32 v149, v150
	s_delay_alu instid0(VALU_DEP_4)
	v_not_b32_e32 v150, v151
	v_ashrrev_i32_e32 v145, 31, v145
	v_cmp_gt_i32_e64 s18, 0, v151
	v_cmp_gt_i32_e64 s19, 0, v153
	v_not_b32_e32 v151, v153
	v_cmp_gt_i32_e64 s20, 0, v154
	v_not_b32_e32 v153, v154
	v_not_b32_e32 v154, v155
	s_delay_alu instid0(VALU_DEP_4) | instskip(SKIP_3) | instid1(VALU_DEP_3)
	v_dual_ashrrev_i32 v151, 31, v151 :: v_dual_bitop2_b32 v61, vcc_lo, v61 bitop3:0x14
	v_dual_ashrrev_i32 v149, 31, v149 :: v_dual_bitop2_b32 v146, s16, v146 bitop3:0x14
	v_dual_ashrrev_i32 v150, 31, v150 :: v_dual_bitop2_b32 v145, s15, v145 bitop3:0x14
	v_cmp_gt_i32_e64 s21, 0, v155
	v_xor_b32_e32 v149, s17, v149
	v_xor_b32_e32 v151, s19, v151
	s_delay_alu instid0(VALU_DEP_4) | instskip(SKIP_2) | instid1(VALU_DEP_2)
	v_xor_b32_e32 v150, s18, v150
	v_bitop3_b32 v61, v61, v145, exec_lo bitop3:0x80
	v_dual_ashrrev_i32 v145, 31, v153 :: v_dual_ashrrev_i32 v153, 31, v154
	v_bitop3_b32 v61, v61, v149, v146 bitop3:0x80
	v_mad_u32_u24 v146, v147, 36, v23
	s_delay_alu instid0(VALU_DEP_3) | instskip(NEXT) | instid1(VALU_DEP_4)
	v_xor_b32_e32 v149, s20, v145
	v_xor_b32_e32 v153, s21, v153
	v_mul_u32_u24_e32 v147, 36, v147
	v_bitop3_b32 v61, v61, v151, v150 bitop3:0x80
	ds_load_b32 v145, v146 offset:1056
	; wave barrier
	v_add_nc_u32_e32 v147, v23, v147
	v_bitop3_b32 v61, v61, v153, v149 bitop3:0x80
	s_delay_alu instid0(VALU_DEP_1) | instskip(SKIP_1) | instid1(VALU_DEP_2)
	v_mbcnt_lo_u32_b32 v146, v61, 0
	v_cmp_ne_u32_e64 s15, 0, v61
	v_cmp_eq_u32_e32 vcc_lo, 0, v146
	s_and_b32 s16, s15, vcc_lo
	s_delay_alu instid0(SALU_CYCLE_1)
	s_and_saveexec_b32 s15, s16
	s_cbranch_execz .LBB2069_730
; %bb.729:                              ;   in Loop: Header=BB2069_690 Depth=2
	s_wait_dscnt 0x0
	v_bcnt_u32_b32 v61, v61, v145
	ds_store_b32 v147, v61 offset:1056
.LBB2069_730:                           ;   in Loop: Header=BB2069_690 Depth=2
	s_or_b32 exec_lo, exec_lo, s15
	v_cmp_lt_i16_e64 vcc_lo, -1, v144
	; wave barrier
	s_delay_alu instid0(VALU_DEP_1) | instskip(NEXT) | instid1(VALU_DEP_1)
	v_cndmask_b32_e64 v61, -1, 0xffff8000, vcc_lo
	v_xor_b32_e32 v144, v61, v144
	s_delay_alu instid0(VALU_DEP_1) | instskip(SKIP_1) | instid1(VALU_DEP_1)
	v_cmp_ne_u16_e64 vcc_lo, 0x7fff, v144
	v_cndmask_b32_e32 v61, 0xffff8000, v144, vcc_lo
	v_and_b32_e32 v61, 0xffff, v61
	s_delay_alu instid0(VALU_DEP_1) | instskip(NEXT) | instid1(VALU_DEP_1)
	v_lshrrev_b32_e32 v61, s49, v61
	v_bitop3_b32 v149, v61, 1, s52 bitop3:0x80
	v_and_b32_e32 v151, s52, v61
	s_delay_alu instid0(VALU_DEP_2) | instskip(NEXT) | instid1(VALU_DEP_1)
	v_add_co_u32 v61, s15, v149, -1
	v_cndmask_b32_e64 v149, 0, 1, s15
	s_delay_alu instid0(VALU_DEP_3) | instskip(NEXT) | instid1(VALU_DEP_2)
	v_dual_lshlrev_b32 v150, 30, v151 :: v_dual_lshlrev_b32 v153, 29, v151
	v_cmp_ne_u32_e32 vcc_lo, 0, v149
	s_delay_alu instid0(VALU_DEP_2) | instskip(SKIP_1) | instid1(VALU_DEP_4)
	v_cmp_gt_i32_e64 s15, 0, v150
	v_not_b32_e32 v149, v150
	v_not_b32_e32 v150, v153
	s_delay_alu instid0(VALU_DEP_1) | instskip(SKIP_3) | instid1(VALU_DEP_4)
	v_dual_ashrrev_i32 v150, 31, v150 :: v_dual_lshlrev_b32 v154, 28, v151
	v_dual_lshlrev_b32 v155, 27, v151 :: v_dual_lshlrev_b32 v157, 26, v151
	v_dual_lshlrev_b32 v158, 25, v151 :: v_dual_lshlrev_b32 v159, 24, v151
	v_cmp_gt_i32_e64 s16, 0, v153
	v_cmp_gt_i32_e64 s17, 0, v154
	v_not_b32_e32 v153, v154
	v_not_b32_e32 v154, v155
	v_ashrrev_i32_e32 v149, 31, v149
	v_cmp_gt_i32_e64 s18, 0, v155
	v_cmp_gt_i32_e64 s19, 0, v157
	v_not_b32_e32 v155, v157
	v_cmp_gt_i32_e64 s20, 0, v158
	v_not_b32_e32 v157, v158
	v_not_b32_e32 v158, v159
	s_delay_alu instid0(VALU_DEP_4) | instskip(SKIP_3) | instid1(VALU_DEP_3)
	v_dual_ashrrev_i32 v155, 31, v155 :: v_dual_bitop2_b32 v61, vcc_lo, v61 bitop3:0x14
	v_dual_ashrrev_i32 v153, 31, v153 :: v_dual_bitop2_b32 v150, s16, v150 bitop3:0x14
	v_dual_ashrrev_i32 v154, 31, v154 :: v_dual_bitop2_b32 v149, s15, v149 bitop3:0x14
	v_cmp_gt_i32_e64 s21, 0, v159
	v_xor_b32_e32 v153, s17, v153
	v_xor_b32_e32 v155, s19, v155
	s_delay_alu instid0(VALU_DEP_4) | instskip(SKIP_2) | instid1(VALU_DEP_2)
	v_xor_b32_e32 v154, s18, v154
	v_bitop3_b32 v61, v61, v149, exec_lo bitop3:0x80
	v_dual_ashrrev_i32 v149, 31, v157 :: v_dual_ashrrev_i32 v157, 31, v158
	v_bitop3_b32 v61, v61, v153, v150 bitop3:0x80
	v_mad_u32_u24 v150, v151, 36, v23
	s_delay_alu instid0(VALU_DEP_3) | instskip(NEXT) | instid1(VALU_DEP_4)
	v_xor_b32_e32 v153, s20, v149
	v_xor_b32_e32 v157, s21, v157
	v_mul_u32_u24_e32 v151, 36, v151
	v_bitop3_b32 v61, v61, v155, v154 bitop3:0x80
	ds_load_b32 v149, v150 offset:1056
	; wave barrier
	v_add_nc_u32_e32 v151, v23, v151
	v_bitop3_b32 v61, v61, v157, v153 bitop3:0x80
	s_delay_alu instid0(VALU_DEP_1) | instskip(SKIP_1) | instid1(VALU_DEP_2)
	v_mbcnt_lo_u32_b32 v150, v61, 0
	v_cmp_ne_u32_e64 s15, 0, v61
	v_cmp_eq_u32_e32 vcc_lo, 0, v150
	s_and_b32 s16, s15, vcc_lo
	s_delay_alu instid0(SALU_CYCLE_1)
	s_and_saveexec_b32 s15, s16
	s_cbranch_execz .LBB2069_732
; %bb.731:                              ;   in Loop: Header=BB2069_690 Depth=2
	s_wait_dscnt 0x0
	v_bcnt_u32_b32 v61, v61, v149
	ds_store_b32 v151, v61 offset:1056
.LBB2069_732:                           ;   in Loop: Header=BB2069_690 Depth=2
	s_or_b32 exec_lo, exec_lo, s15
	v_cmp_lt_i16_e64 vcc_lo, -1, v148
	; wave barrier
	s_delay_alu instid0(VALU_DEP_1) | instskip(NEXT) | instid1(VALU_DEP_1)
	v_cndmask_b32_e64 v61, -1, 0xffff8000, vcc_lo
	v_xor_b32_e32 v148, v61, v148
	s_delay_alu instid0(VALU_DEP_1) | instskip(SKIP_1) | instid1(VALU_DEP_1)
	v_cmp_ne_u16_e64 vcc_lo, 0x7fff, v148
	v_cndmask_b32_e32 v61, 0xffff8000, v148, vcc_lo
	v_and_b32_e32 v61, 0xffff, v61
	s_delay_alu instid0(VALU_DEP_1) | instskip(NEXT) | instid1(VALU_DEP_1)
	v_lshrrev_b32_e32 v61, s49, v61
	v_bitop3_b32 v153, v61, 1, s52 bitop3:0x80
	v_and_b32_e32 v155, s52, v61
	s_delay_alu instid0(VALU_DEP_2) | instskip(NEXT) | instid1(VALU_DEP_1)
	v_add_co_u32 v61, s15, v153, -1
	v_cndmask_b32_e64 v153, 0, 1, s15
	s_delay_alu instid0(VALU_DEP_3) | instskip(NEXT) | instid1(VALU_DEP_2)
	v_dual_lshlrev_b32 v154, 30, v155 :: v_dual_lshlrev_b32 v157, 29, v155
	v_cmp_ne_u32_e32 vcc_lo, 0, v153
	s_delay_alu instid0(VALU_DEP_2) | instskip(SKIP_1) | instid1(VALU_DEP_4)
	v_cmp_gt_i32_e64 s15, 0, v154
	v_not_b32_e32 v153, v154
	v_not_b32_e32 v154, v157
	s_delay_alu instid0(VALU_DEP_1) | instskip(SKIP_3) | instid1(VALU_DEP_4)
	v_dual_ashrrev_i32 v154, 31, v154 :: v_dual_lshlrev_b32 v158, 28, v155
	v_dual_lshlrev_b32 v159, 27, v155 :: v_dual_lshlrev_b32 v161, 26, v155
	v_dual_lshlrev_b32 v162, 25, v155 :: v_dual_lshlrev_b32 v163, 24, v155
	v_cmp_gt_i32_e64 s16, 0, v157
	v_cmp_gt_i32_e64 s17, 0, v158
	v_not_b32_e32 v157, v158
	v_not_b32_e32 v158, v159
	v_ashrrev_i32_e32 v153, 31, v153
	v_cmp_gt_i32_e64 s18, 0, v159
	v_cmp_gt_i32_e64 s19, 0, v161
	v_not_b32_e32 v159, v161
	v_cmp_gt_i32_e64 s20, 0, v162
	v_not_b32_e32 v161, v162
	v_not_b32_e32 v162, v163
	s_delay_alu instid0(VALU_DEP_4) | instskip(SKIP_3) | instid1(VALU_DEP_3)
	v_dual_ashrrev_i32 v159, 31, v159 :: v_dual_bitop2_b32 v61, vcc_lo, v61 bitop3:0x14
	v_dual_ashrrev_i32 v157, 31, v157 :: v_dual_bitop2_b32 v154, s16, v154 bitop3:0x14
	v_dual_ashrrev_i32 v158, 31, v158 :: v_dual_bitop2_b32 v153, s15, v153 bitop3:0x14
	v_cmp_gt_i32_e64 s21, 0, v163
	v_xor_b32_e32 v157, s17, v157
	v_xor_b32_e32 v159, s19, v159
	s_delay_alu instid0(VALU_DEP_4) | instskip(SKIP_2) | instid1(VALU_DEP_2)
	v_xor_b32_e32 v158, s18, v158
	v_bitop3_b32 v61, v61, v153, exec_lo bitop3:0x80
	v_dual_ashrrev_i32 v153, 31, v161 :: v_dual_ashrrev_i32 v161, 31, v162
	v_bitop3_b32 v61, v61, v157, v154 bitop3:0x80
	v_mad_u32_u24 v154, v155, 36, v23
	s_delay_alu instid0(VALU_DEP_3) | instskip(NEXT) | instid1(VALU_DEP_4)
	v_xor_b32_e32 v157, s20, v153
	v_xor_b32_e32 v161, s21, v161
	v_mul_u32_u24_e32 v155, 36, v155
	v_bitop3_b32 v61, v61, v159, v158 bitop3:0x80
	ds_load_b32 v153, v154 offset:1056
	; wave barrier
	v_add_nc_u32_e32 v155, v23, v155
	v_bitop3_b32 v61, v61, v161, v157 bitop3:0x80
	s_delay_alu instid0(VALU_DEP_1) | instskip(SKIP_1) | instid1(VALU_DEP_2)
	v_mbcnt_lo_u32_b32 v154, v61, 0
	v_cmp_ne_u32_e64 s15, 0, v61
	v_cmp_eq_u32_e32 vcc_lo, 0, v154
	s_and_b32 s16, s15, vcc_lo
	s_delay_alu instid0(SALU_CYCLE_1)
	s_and_saveexec_b32 s15, s16
	s_cbranch_execz .LBB2069_734
; %bb.733:                              ;   in Loop: Header=BB2069_690 Depth=2
	s_wait_dscnt 0x0
	v_bcnt_u32_b32 v61, v61, v153
	ds_store_b32 v155, v61 offset:1056
.LBB2069_734:                           ;   in Loop: Header=BB2069_690 Depth=2
	s_or_b32 exec_lo, exec_lo, s15
	v_cmp_lt_i16_e64 vcc_lo, -1, v152
	; wave barrier
	s_delay_alu instid0(VALU_DEP_1) | instskip(NEXT) | instid1(VALU_DEP_1)
	v_cndmask_b32_e64 v61, -1, 0xffff8000, vcc_lo
	v_xor_b32_e32 v152, v61, v152
	s_delay_alu instid0(VALU_DEP_1) | instskip(SKIP_1) | instid1(VALU_DEP_1)
	v_cmp_ne_u16_e64 vcc_lo, 0x7fff, v152
	v_cndmask_b32_e32 v61, 0xffff8000, v152, vcc_lo
	v_and_b32_e32 v61, 0xffff, v61
	s_delay_alu instid0(VALU_DEP_1) | instskip(NEXT) | instid1(VALU_DEP_1)
	v_lshrrev_b32_e32 v61, s49, v61
	v_bitop3_b32 v157, v61, 1, s52 bitop3:0x80
	v_and_b32_e32 v159, s52, v61
	s_delay_alu instid0(VALU_DEP_2) | instskip(NEXT) | instid1(VALU_DEP_1)
	v_add_co_u32 v61, s15, v157, -1
	v_cndmask_b32_e64 v157, 0, 1, s15
	s_delay_alu instid0(VALU_DEP_3) | instskip(NEXT) | instid1(VALU_DEP_2)
	v_dual_lshlrev_b32 v158, 30, v159 :: v_dual_lshlrev_b32 v161, 29, v159
	v_cmp_ne_u32_e32 vcc_lo, 0, v157
	s_delay_alu instid0(VALU_DEP_2) | instskip(SKIP_1) | instid1(VALU_DEP_4)
	v_cmp_gt_i32_e64 s15, 0, v158
	v_not_b32_e32 v157, v158
	v_not_b32_e32 v158, v161
	s_delay_alu instid0(VALU_DEP_1) | instskip(SKIP_3) | instid1(VALU_DEP_4)
	v_dual_ashrrev_i32 v158, 31, v158 :: v_dual_lshlrev_b32 v162, 28, v159
	v_dual_lshlrev_b32 v163, 27, v159 :: v_dual_lshlrev_b32 v165, 26, v159
	v_dual_lshlrev_b32 v166, 25, v159 :: v_dual_lshlrev_b32 v167, 24, v159
	v_cmp_gt_i32_e64 s16, 0, v161
	v_cmp_gt_i32_e64 s17, 0, v162
	v_not_b32_e32 v161, v162
	v_not_b32_e32 v162, v163
	v_ashrrev_i32_e32 v157, 31, v157
	v_cmp_gt_i32_e64 s18, 0, v163
	v_cmp_gt_i32_e64 s19, 0, v165
	v_not_b32_e32 v163, v165
	v_cmp_gt_i32_e64 s20, 0, v166
	v_not_b32_e32 v165, v166
	v_not_b32_e32 v166, v167
	s_delay_alu instid0(VALU_DEP_4) | instskip(SKIP_3) | instid1(VALU_DEP_3)
	v_dual_ashrrev_i32 v163, 31, v163 :: v_dual_bitop2_b32 v61, vcc_lo, v61 bitop3:0x14
	v_dual_ashrrev_i32 v161, 31, v161 :: v_dual_bitop2_b32 v158, s16, v158 bitop3:0x14
	v_dual_ashrrev_i32 v162, 31, v162 :: v_dual_bitop2_b32 v157, s15, v157 bitop3:0x14
	v_cmp_gt_i32_e64 s21, 0, v167
	v_xor_b32_e32 v161, s17, v161
	v_xor_b32_e32 v163, s19, v163
	s_delay_alu instid0(VALU_DEP_4) | instskip(SKIP_2) | instid1(VALU_DEP_2)
	v_xor_b32_e32 v162, s18, v162
	v_bitop3_b32 v61, v61, v157, exec_lo bitop3:0x80
	v_dual_ashrrev_i32 v157, 31, v165 :: v_dual_ashrrev_i32 v165, 31, v166
	v_bitop3_b32 v61, v61, v161, v158 bitop3:0x80
	v_mad_u32_u24 v158, v159, 36, v23
	s_delay_alu instid0(VALU_DEP_3) | instskip(NEXT) | instid1(VALU_DEP_4)
	v_xor_b32_e32 v161, s20, v157
	v_xor_b32_e32 v165, s21, v165
	v_mul_u32_u24_e32 v159, 36, v159
	v_bitop3_b32 v61, v61, v163, v162 bitop3:0x80
	ds_load_b32 v157, v158 offset:1056
	; wave barrier
	v_add_nc_u32_e32 v159, v23, v159
	v_bitop3_b32 v61, v61, v165, v161 bitop3:0x80
	s_delay_alu instid0(VALU_DEP_1) | instskip(SKIP_1) | instid1(VALU_DEP_2)
	v_mbcnt_lo_u32_b32 v158, v61, 0
	v_cmp_ne_u32_e64 s15, 0, v61
	v_cmp_eq_u32_e32 vcc_lo, 0, v158
	s_and_b32 s16, s15, vcc_lo
	s_delay_alu instid0(SALU_CYCLE_1)
	s_and_saveexec_b32 s15, s16
	s_cbranch_execz .LBB2069_736
; %bb.735:                              ;   in Loop: Header=BB2069_690 Depth=2
	s_wait_dscnt 0x0
	v_bcnt_u32_b32 v61, v61, v157
	ds_store_b32 v159, v61 offset:1056
.LBB2069_736:                           ;   in Loop: Header=BB2069_690 Depth=2
	s_or_b32 exec_lo, exec_lo, s15
	v_cmp_lt_i16_e64 vcc_lo, -1, v156
	; wave barrier
	s_delay_alu instid0(VALU_DEP_1) | instskip(NEXT) | instid1(VALU_DEP_1)
	v_cndmask_b32_e64 v61, -1, 0xffff8000, vcc_lo
	v_xor_b32_e32 v156, v61, v156
	s_delay_alu instid0(VALU_DEP_1) | instskip(SKIP_1) | instid1(VALU_DEP_1)
	v_cmp_ne_u16_e64 vcc_lo, 0x7fff, v156
	v_cndmask_b32_e32 v61, 0xffff8000, v156, vcc_lo
	v_and_b32_e32 v61, 0xffff, v61
	s_delay_alu instid0(VALU_DEP_1) | instskip(NEXT) | instid1(VALU_DEP_1)
	v_lshrrev_b32_e32 v61, s49, v61
	v_bitop3_b32 v161, v61, 1, s52 bitop3:0x80
	v_and_b32_e32 v163, s52, v61
	s_delay_alu instid0(VALU_DEP_2) | instskip(NEXT) | instid1(VALU_DEP_1)
	v_add_co_u32 v61, s15, v161, -1
	v_cndmask_b32_e64 v161, 0, 1, s15
	s_delay_alu instid0(VALU_DEP_3) | instskip(NEXT) | instid1(VALU_DEP_2)
	v_dual_lshlrev_b32 v162, 30, v163 :: v_dual_lshlrev_b32 v165, 29, v163
	v_cmp_ne_u32_e32 vcc_lo, 0, v161
	s_delay_alu instid0(VALU_DEP_2) | instskip(SKIP_1) | instid1(VALU_DEP_4)
	v_cmp_gt_i32_e64 s15, 0, v162
	v_not_b32_e32 v161, v162
	v_not_b32_e32 v162, v165
	s_delay_alu instid0(VALU_DEP_1) | instskip(SKIP_3) | instid1(VALU_DEP_4)
	v_dual_ashrrev_i32 v162, 31, v162 :: v_dual_lshlrev_b32 v166, 28, v163
	v_dual_lshlrev_b32 v167, 27, v163 :: v_dual_lshlrev_b32 v169, 26, v163
	v_dual_lshlrev_b32 v170, 25, v163 :: v_dual_lshlrev_b32 v171, 24, v163
	v_cmp_gt_i32_e64 s16, 0, v165
	v_cmp_gt_i32_e64 s17, 0, v166
	v_not_b32_e32 v165, v166
	v_not_b32_e32 v166, v167
	v_ashrrev_i32_e32 v161, 31, v161
	v_cmp_gt_i32_e64 s18, 0, v167
	v_cmp_gt_i32_e64 s19, 0, v169
	v_not_b32_e32 v167, v169
	v_cmp_gt_i32_e64 s20, 0, v170
	v_not_b32_e32 v169, v170
	v_not_b32_e32 v170, v171
	s_delay_alu instid0(VALU_DEP_4) | instskip(SKIP_3) | instid1(VALU_DEP_3)
	v_dual_ashrrev_i32 v167, 31, v167 :: v_dual_bitop2_b32 v61, vcc_lo, v61 bitop3:0x14
	v_dual_ashrrev_i32 v165, 31, v165 :: v_dual_bitop2_b32 v162, s16, v162 bitop3:0x14
	v_dual_ashrrev_i32 v166, 31, v166 :: v_dual_bitop2_b32 v161, s15, v161 bitop3:0x14
	v_cmp_gt_i32_e64 s21, 0, v171
	v_xor_b32_e32 v165, s17, v165
	v_xor_b32_e32 v167, s19, v167
	s_delay_alu instid0(VALU_DEP_4) | instskip(SKIP_2) | instid1(VALU_DEP_2)
	v_xor_b32_e32 v166, s18, v166
	v_bitop3_b32 v61, v61, v161, exec_lo bitop3:0x80
	v_dual_ashrrev_i32 v161, 31, v169 :: v_dual_ashrrev_i32 v169, 31, v170
	v_bitop3_b32 v61, v61, v165, v162 bitop3:0x80
	v_mad_u32_u24 v162, v163, 36, v23
	s_delay_alu instid0(VALU_DEP_3) | instskip(NEXT) | instid1(VALU_DEP_4)
	v_xor_b32_e32 v165, s20, v161
	v_xor_b32_e32 v169, s21, v169
	v_mul_u32_u24_e32 v163, 36, v163
	v_bitop3_b32 v61, v61, v167, v166 bitop3:0x80
	ds_load_b32 v161, v162 offset:1056
	; wave barrier
	v_add_nc_u32_e32 v163, v23, v163
	v_bitop3_b32 v61, v61, v169, v165 bitop3:0x80
	s_delay_alu instid0(VALU_DEP_1) | instskip(SKIP_1) | instid1(VALU_DEP_2)
	v_mbcnt_lo_u32_b32 v162, v61, 0
	v_cmp_ne_u32_e64 s15, 0, v61
	v_cmp_eq_u32_e32 vcc_lo, 0, v162
	s_and_b32 s16, s15, vcc_lo
	s_delay_alu instid0(SALU_CYCLE_1)
	s_and_saveexec_b32 s15, s16
	s_cbranch_execz .LBB2069_738
; %bb.737:                              ;   in Loop: Header=BB2069_690 Depth=2
	s_wait_dscnt 0x0
	v_bcnt_u32_b32 v61, v61, v161
	ds_store_b32 v163, v61 offset:1056
.LBB2069_738:                           ;   in Loop: Header=BB2069_690 Depth=2
	s_or_b32 exec_lo, exec_lo, s15
	v_cmp_lt_i16_e64 vcc_lo, -1, v160
	; wave barrier
	s_delay_alu instid0(VALU_DEP_1) | instskip(NEXT) | instid1(VALU_DEP_1)
	v_cndmask_b32_e64 v61, -1, 0xffff8000, vcc_lo
	v_xor_b32_e32 v160, v61, v160
	s_delay_alu instid0(VALU_DEP_1) | instskip(SKIP_1) | instid1(VALU_DEP_1)
	v_cmp_ne_u16_e64 vcc_lo, 0x7fff, v160
	v_cndmask_b32_e32 v61, 0xffff8000, v160, vcc_lo
	v_and_b32_e32 v61, 0xffff, v61
	s_delay_alu instid0(VALU_DEP_1) | instskip(NEXT) | instid1(VALU_DEP_1)
	v_lshrrev_b32_e32 v61, s49, v61
	v_bitop3_b32 v165, v61, 1, s52 bitop3:0x80
	v_and_b32_e32 v167, s52, v61
	s_delay_alu instid0(VALU_DEP_2) | instskip(NEXT) | instid1(VALU_DEP_1)
	v_add_co_u32 v61, s15, v165, -1
	v_cndmask_b32_e64 v165, 0, 1, s15
	s_delay_alu instid0(VALU_DEP_3) | instskip(NEXT) | instid1(VALU_DEP_2)
	v_dual_lshlrev_b32 v166, 30, v167 :: v_dual_lshlrev_b32 v169, 29, v167
	v_cmp_ne_u32_e32 vcc_lo, 0, v165
	s_delay_alu instid0(VALU_DEP_2) | instskip(SKIP_1) | instid1(VALU_DEP_4)
	v_cmp_gt_i32_e64 s15, 0, v166
	v_not_b32_e32 v165, v166
	v_not_b32_e32 v166, v169
	s_delay_alu instid0(VALU_DEP_1) | instskip(SKIP_3) | instid1(VALU_DEP_4)
	v_dual_ashrrev_i32 v166, 31, v166 :: v_dual_lshlrev_b32 v170, 28, v167
	v_dual_lshlrev_b32 v171, 27, v167 :: v_dual_lshlrev_b32 v172, 26, v167
	v_cmp_gt_i32_e64 s16, 0, v169
	v_dual_lshlrev_b32 v173, 25, v167 :: v_dual_lshlrev_b32 v174, 24, v167
	v_cmp_gt_i32_e64 s17, 0, v170
	v_not_b32_e32 v169, v170
	v_not_b32_e32 v170, v171
	v_ashrrev_i32_e32 v165, 31, v165
	v_cmp_gt_i32_e64 s18, 0, v171
	v_not_b32_e32 v171, v172
	v_xor_b32_e32 v61, vcc_lo, v61
	v_dual_ashrrev_i32 v169, 31, v169 :: v_dual_bitop2_b32 v166, s16, v166 bitop3:0x14
	v_dual_ashrrev_i32 v170, 31, v170 :: v_dual_bitop2_b32 v165, s15, v165 bitop3:0x14
	v_cmp_gt_i32_e64 s19, 0, v172
	v_cmp_gt_i32_e64 s20, 0, v173
	v_not_b32_e32 v172, v173
	v_not_b32_e32 v173, v174
	v_dual_ashrrev_i32 v171, 31, v171 :: v_dual_bitop2_b32 v169, s17, v169 bitop3:0x14
	v_bitop3_b32 v61, v61, v165, exec_lo bitop3:0x80
	v_cmp_gt_i32_e64 s21, 0, v174
	s_delay_alu instid0(VALU_DEP_4)
	v_dual_ashrrev_i32 v165, 31, v172 :: v_dual_ashrrev_i32 v172, 31, v173
	v_xor_b32_e32 v170, s18, v170
	v_xor_b32_e32 v171, s19, v171
	v_bitop3_b32 v61, v61, v169, v166 bitop3:0x80
	v_mad_u32_u24 v166, v167, 36, v23
	v_xor_b32_e32 v169, s20, v165
	v_xor_b32_e32 v172, s21, v172
	v_mul_u32_u24_e32 v167, 36, v167
	v_bitop3_b32 v61, v61, v171, v170 bitop3:0x80
	ds_load_b32 v165, v166 offset:1056
	; wave barrier
	v_add_nc_u32_e32 v167, v23, v167
	v_bitop3_b32 v61, v61, v172, v169 bitop3:0x80
	s_delay_alu instid0(VALU_DEP_1) | instskip(SKIP_1) | instid1(VALU_DEP_2)
	v_mbcnt_lo_u32_b32 v166, v61, 0
	v_cmp_ne_u32_e64 s15, 0, v61
	v_cmp_eq_u32_e32 vcc_lo, 0, v166
	s_and_b32 s16, s15, vcc_lo
	s_delay_alu instid0(SALU_CYCLE_1)
	s_and_saveexec_b32 s15, s16
	s_cbranch_execz .LBB2069_740
; %bb.739:                              ;   in Loop: Header=BB2069_690 Depth=2
	s_wait_dscnt 0x0
	v_bcnt_u32_b32 v61, v61, v165
	ds_store_b32 v167, v61 offset:1056
.LBB2069_740:                           ;   in Loop: Header=BB2069_690 Depth=2
	s_or_b32 exec_lo, exec_lo, s15
	v_cmp_lt_i16_e64 vcc_lo, -1, v164
	; wave barrier
	s_delay_alu instid0(VALU_DEP_1) | instskip(NEXT) | instid1(VALU_DEP_1)
	v_cndmask_b32_e64 v61, -1, 0xffff8000, vcc_lo
	v_xor_b32_e32 v164, v61, v164
	s_delay_alu instid0(VALU_DEP_1) | instskip(SKIP_1) | instid1(VALU_DEP_1)
	v_cmp_ne_u16_e64 vcc_lo, 0x7fff, v164
	v_cndmask_b32_e32 v61, 0xffff8000, v164, vcc_lo
	v_and_b32_e32 v61, 0xffff, v61
	s_delay_alu instid0(VALU_DEP_1) | instskip(NEXT) | instid1(VALU_DEP_1)
	v_lshrrev_b32_e32 v61, s49, v61
	v_bitop3_b32 v169, v61, 1, s52 bitop3:0x80
	v_and_b32_e32 v171, s52, v61
	s_delay_alu instid0(VALU_DEP_2) | instskip(NEXT) | instid1(VALU_DEP_1)
	v_add_co_u32 v61, s15, v169, -1
	v_cndmask_b32_e64 v169, 0, 1, s15
	s_delay_alu instid0(VALU_DEP_3) | instskip(NEXT) | instid1(VALU_DEP_2)
	v_dual_lshlrev_b32 v170, 30, v171 :: v_dual_lshlrev_b32 v172, 29, v171
	v_cmp_ne_u32_e32 vcc_lo, 0, v169
	s_delay_alu instid0(VALU_DEP_2) | instskip(SKIP_1) | instid1(VALU_DEP_4)
	v_cmp_gt_i32_e64 s15, 0, v170
	v_not_b32_e32 v169, v170
	v_not_b32_e32 v170, v172
	s_delay_alu instid0(VALU_DEP_1) | instskip(SKIP_3) | instid1(VALU_DEP_4)
	v_dual_ashrrev_i32 v170, 31, v170 :: v_dual_lshlrev_b32 v173, 28, v171
	v_dual_lshlrev_b32 v174, 27, v171 :: v_dual_lshlrev_b32 v175, 26, v171
	v_dual_lshlrev_b32 v176, 25, v171 :: v_dual_lshlrev_b32 v177, 24, v171
	v_cmp_gt_i32_e64 s16, 0, v172
	v_not_b32_e32 v172, v173
	v_ashrrev_i32_e32 v169, 31, v169
	v_cmp_gt_i32_e64 s17, 0, v173
	v_cmp_gt_i32_e64 s18, 0, v174
	v_not_b32_e32 v173, v174
	v_cmp_gt_i32_e64 s19, 0, v175
	v_not_b32_e32 v174, v175
	;; [unrolled: 2-line block ×3, first 2 shown]
	v_not_b32_e32 v176, v177
	s_delay_alu instid0(VALU_DEP_4) | instskip(SKIP_3) | instid1(VALU_DEP_3)
	v_dual_ashrrev_i32 v174, 31, v174 :: v_dual_bitop2_b32 v61, vcc_lo, v61 bitop3:0x14
	v_dual_ashrrev_i32 v172, 31, v172 :: v_dual_bitop2_b32 v169, s15, v169 bitop3:0x14
	v_dual_ashrrev_i32 v173, 31, v173 :: v_dual_bitop2_b32 v170, s16, v170 bitop3:0x14
	v_cmp_gt_i32_e64 s21, 0, v177
	v_xor_b32_e32 v172, s17, v172
	s_delay_alu instid0(VALU_DEP_4) | instskip(SKIP_2) | instid1(VALU_DEP_3)
	v_bitop3_b32 v61, v61, v169, exec_lo bitop3:0x80
	v_dual_ashrrev_i32 v169, 31, v175 :: v_dual_ashrrev_i32 v175, 31, v176
	v_xor_b32_e32 v174, s19, v174
	v_bitop3_b32 v61, v61, v172, v170 bitop3:0x80
	v_mad_u32_u24 v170, v171, 36, v23
	v_mul_u32_u24_e32 v171, 36, v171
	v_xor_b32_e32 v173, s18, v173
	v_xor_b32_e32 v172, s20, v169
	v_xor_b32_e32 v175, s21, v175
	ds_load_b32 v169, v170 offset:1056
	v_add_nc_u32_e32 v171, v23, v171
	v_bitop3_b32 v61, v61, v174, v173 bitop3:0x80
	; wave barrier
	s_delay_alu instid0(VALU_DEP_1) | instskip(NEXT) | instid1(VALU_DEP_1)
	v_bitop3_b32 v61, v61, v175, v172 bitop3:0x80
	v_mbcnt_lo_u32_b32 v170, v61, 0
	v_cmp_ne_u32_e64 s15, 0, v61
	s_delay_alu instid0(VALU_DEP_2) | instskip(SKIP_1) | instid1(SALU_CYCLE_1)
	v_cmp_eq_u32_e32 vcc_lo, 0, v170
	s_and_b32 s16, s15, vcc_lo
	s_and_saveexec_b32 s15, s16
	s_cbranch_execz .LBB2069_742
; %bb.741:                              ;   in Loop: Header=BB2069_690 Depth=2
	s_wait_dscnt 0x0
	v_bcnt_u32_b32 v61, v61, v169
	ds_store_b32 v171, v61 offset:1056
.LBB2069_742:                           ;   in Loop: Header=BB2069_690 Depth=2
	s_or_b32 exec_lo, exec_lo, s15
	v_cmp_lt_i16_e64 vcc_lo, -1, v168
	; wave barrier
	s_delay_alu instid0(VALU_DEP_1) | instskip(NEXT) | instid1(VALU_DEP_1)
	v_cndmask_b32_e64 v61, -1, 0xffff8000, vcc_lo
	v_xor_b32_e32 v168, v61, v168
	s_delay_alu instid0(VALU_DEP_1) | instskip(SKIP_1) | instid1(VALU_DEP_1)
	v_cmp_ne_u16_e64 vcc_lo, 0x7fff, v168
	v_cndmask_b32_e32 v61, 0xffff8000, v168, vcc_lo
	v_and_b32_e32 v61, 0xffff, v61
	s_delay_alu instid0(VALU_DEP_1) | instskip(NEXT) | instid1(VALU_DEP_1)
	v_lshrrev_b32_e32 v61, s49, v61
	v_bitop3_b32 v172, v61, 1, s52 bitop3:0x80
	v_and_b32_e32 v175, s52, v61
	s_delay_alu instid0(VALU_DEP_2) | instskip(NEXT) | instid1(VALU_DEP_1)
	v_add_co_u32 v61, s15, v172, -1
	v_cndmask_b32_e64 v172, 0, 1, s15
	s_delay_alu instid0(VALU_DEP_3) | instskip(NEXT) | instid1(VALU_DEP_2)
	v_lshlrev_b32_e32 v173, 30, v175
	v_cmp_ne_u32_e32 vcc_lo, 0, v172
	s_delay_alu instid0(VALU_DEP_2) | instskip(NEXT) | instid1(VALU_DEP_1)
	v_not_b32_e32 v172, v173
	v_dual_ashrrev_i32 v172, 31, v172 :: v_dual_lshlrev_b32 v174, 29, v175
	v_dual_lshlrev_b32 v176, 28, v175 :: v_dual_lshlrev_b32 v177, 27, v175
	v_lshlrev_b32_e32 v178, 26, v175
	v_cmp_gt_i32_e64 s15, 0, v173
	s_delay_alu instid0(VALU_DEP_4)
	v_cmp_gt_i32_e64 s16, 0, v174
	v_not_b32_e32 v173, v174
	v_not_b32_e32 v174, v176
	v_dual_lshlrev_b32 v179, 25, v175 :: v_dual_lshlrev_b32 v180, 24, v175
	v_cmp_gt_i32_e64 s17, 0, v176
	v_cmp_gt_i32_e64 s18, 0, v177
	v_not_b32_e32 v176, v177
	v_not_b32_e32 v177, v178
	v_dual_ashrrev_i32 v174, 31, v174 :: v_dual_bitop2_b32 v61, vcc_lo, v61 bitop3:0x14
	v_dual_ashrrev_i32 v173, 31, v173 :: v_dual_bitop2_b32 v172, s15, v172 bitop3:0x14
	v_cmp_gt_i32_e64 s19, 0, v178
	v_cmp_gt_i32_e64 s20, 0, v179
	v_not_b32_e32 v178, v179
	v_not_b32_e32 v179, v180
	v_dual_ashrrev_i32 v176, 31, v176 :: v_dual_ashrrev_i32 v177, 31, v177
	v_xor_b32_e32 v173, s16, v173
	v_xor_b32_e32 v174, s17, v174
	v_bitop3_b32 v61, v61, v172, exec_lo bitop3:0x80
	v_cmp_gt_i32_e64 s21, 0, v180
	v_dual_ashrrev_i32 v172, 31, v178 :: v_dual_ashrrev_i32 v178, 31, v179
	v_xor_b32_e32 v176, s18, v176
	v_xor_b32_e32 v177, s19, v177
	v_bitop3_b32 v61, v61, v174, v173 bitop3:0x80
	v_mad_u32_u24 v173, v175, 36, v23
	v_xor_b32_e32 v172, s20, v172
	v_xor_b32_e32 v174, s21, v178
	s_delay_alu instid0(VALU_DEP_4) | instskip(SKIP_3) | instid1(VALU_DEP_2)
	v_bitop3_b32 v61, v61, v177, v176 bitop3:0x80
	ds_load_b32 v173, v173 offset:1056
	; wave barrier
	v_bitop3_b32 v61, v61, v174, v172 bitop3:0x80
	v_mul_u32_u24_e32 v172, 36, v175
	v_mbcnt_lo_u32_b32 v174, v61, 0
	v_cmp_ne_u32_e64 s15, 0, v61
	s_delay_alu instid0(VALU_DEP_3) | instskip(NEXT) | instid1(VALU_DEP_3)
	v_add_nc_u32_e32 v175, v23, v172
	v_cmp_eq_u32_e32 vcc_lo, 0, v174
	s_and_b32 s16, s15, vcc_lo
	s_delay_alu instid0(SALU_CYCLE_1)
	s_and_saveexec_b32 s15, s16
	s_cbranch_execz .LBB2069_744
; %bb.743:                              ;   in Loop: Header=BB2069_690 Depth=2
	s_wait_dscnt 0x0
	v_bcnt_u32_b32 v61, v61, v173
	ds_store_b32 v175, v61 offset:1056
.LBB2069_744:                           ;   in Loop: Header=BB2069_690 Depth=2
	s_or_b32 exec_lo, exec_lo, s15
	v_cmp_lt_i16_e32 vcc_lo, -1, v67
	; wave barrier
	v_cndmask_b32_e64 v61, -1, 0xffff8000, vcc_lo
	s_delay_alu instid0(VALU_DEP_1) | instskip(NEXT) | instid1(VALU_DEP_1)
	v_xor_b32_e32 v172, v61, v67
	v_cmp_ne_u16_e64 vcc_lo, 0x7fff, v172
	v_cndmask_b32_e32 v61, 0xffff8000, v172, vcc_lo
	s_delay_alu instid0(VALU_DEP_1) | instskip(NEXT) | instid1(VALU_DEP_1)
	v_and_b32_e32 v61, 0xffff, v61
	v_lshrrev_b32_e32 v61, s49, v61
	s_delay_alu instid0(VALU_DEP_1) | instskip(SKIP_1) | instid1(VALU_DEP_2)
	v_bitop3_b32 v67, v61, 1, s52 bitop3:0x80
	v_and_b32_e32 v176, s52, v61
	v_add_co_u32 v61, s15, v67, -1
	s_delay_alu instid0(VALU_DEP_1) | instskip(NEXT) | instid1(VALU_DEP_3)
	v_cndmask_b32_e64 v67, 0, 1, s15
	v_lshlrev_b32_e32 v177, 30, v176
	s_delay_alu instid0(VALU_DEP_2) | instskip(NEXT) | instid1(VALU_DEP_2)
	v_cmp_ne_u32_e32 vcc_lo, 0, v67
	v_not_b32_e32 v67, v177
	s_delay_alu instid0(VALU_DEP_1) | instskip(SKIP_4) | instid1(VALU_DEP_4)
	v_dual_ashrrev_i32 v67, 31, v67 :: v_dual_bitop2_b32 v61, vcc_lo, v61 bitop3:0x14
	v_dual_lshlrev_b32 v178, 29, v176 :: v_dual_lshlrev_b32 v179, 28, v176
	v_dual_lshlrev_b32 v180, 27, v176 :: v_dual_lshlrev_b32 v181, 26, v176
	v_lshlrev_b32_e32 v182, 25, v176
	v_cmp_gt_i32_e64 s15, 0, v177
	v_cmp_gt_i32_e64 s16, 0, v178
	v_not_b32_e32 v177, v178
	v_not_b32_e32 v178, v179
	v_lshlrev_b32_e32 v183, 24, v176
	v_cmp_gt_i32_e64 s17, 0, v179
	v_cmp_gt_i32_e64 s18, 0, v180
	v_not_b32_e32 v179, v180
	v_not_b32_e32 v180, v181
	v_dual_ashrrev_i32 v177, 31, v177 :: v_dual_bitop2_b32 v67, s15, v67 bitop3:0x14
	v_ashrrev_i32_e32 v178, 31, v178
	v_cmp_gt_i32_e64 s19, 0, v181
	v_cmp_gt_i32_e64 s20, 0, v182
	v_not_b32_e32 v181, v182
	v_not_b32_e32 v182, v183
	v_dual_ashrrev_i32 v179, 31, v179 :: v_dual_ashrrev_i32 v180, 31, v180
	v_xor_b32_e32 v177, s16, v177
	v_xor_b32_e32 v178, s17, v178
	v_bitop3_b32 v61, v61, v67, exec_lo bitop3:0x80
	v_cmp_gt_i32_e64 s21, 0, v183
	v_dual_ashrrev_i32 v67, 31, v181 :: v_dual_ashrrev_i32 v181, 31, v182
	v_xor_b32_e32 v179, s18, v179
	v_xor_b32_e32 v180, s19, v180
	v_bitop3_b32 v61, v61, v178, v177 bitop3:0x80
	v_mad_u32_u24 v177, v176, 36, v23
	v_xor_b32_e32 v67, s20, v67
	v_xor_b32_e32 v178, s21, v181
	s_delay_alu instid0(VALU_DEP_4) | instskip(SKIP_3) | instid1(VALU_DEP_2)
	v_bitop3_b32 v61, v61, v180, v179 bitop3:0x80
	ds_load_b32 v177, v177 offset:1056
	; wave barrier
	v_bitop3_b32 v61, v61, v178, v67 bitop3:0x80
	v_mul_u32_u24_e32 v67, 36, v176
	v_mbcnt_lo_u32_b32 v178, v61, 0
	v_cmp_ne_u32_e64 s15, 0, v61
	s_delay_alu instid0(VALU_DEP_3) | instskip(NEXT) | instid1(VALU_DEP_3)
	v_add_nc_u32_e32 v179, v23, v67
	v_cmp_eq_u32_e32 vcc_lo, 0, v178
	s_and_b32 s16, s15, vcc_lo
	s_delay_alu instid0(SALU_CYCLE_1)
	s_and_saveexec_b32 s15, s16
	s_cbranch_execz .LBB2069_746
; %bb.745:                              ;   in Loop: Header=BB2069_690 Depth=2
	s_wait_dscnt 0x0
	v_bcnt_u32_b32 v61, v61, v177
	ds_store_b32 v179, v61 offset:1056
.LBB2069_746:                           ;   in Loop: Header=BB2069_690 Depth=2
	s_or_b32 exec_lo, exec_lo, s15
	v_cmp_lt_i16_e32 vcc_lo, -1, v66
	; wave barrier
	v_cndmask_b32_e64 v61, -1, 0xffff8000, vcc_lo
	s_delay_alu instid0(VALU_DEP_1) | instskip(NEXT) | instid1(VALU_DEP_1)
	v_xor_b32_e32 v176, v61, v66
	v_cmp_ne_u16_e64 vcc_lo, 0x7fff, v176
	v_cndmask_b32_e32 v61, 0xffff8000, v176, vcc_lo
	s_delay_alu instid0(VALU_DEP_1) | instskip(NEXT) | instid1(VALU_DEP_1)
	v_and_b32_e32 v61, 0xffff, v61
	v_lshrrev_b32_e32 v61, s49, v61
	s_delay_alu instid0(VALU_DEP_1) | instskip(SKIP_1) | instid1(VALU_DEP_2)
	v_bitop3_b32 v66, v61, 1, s52 bitop3:0x80
	v_and_b32_e32 v67, s52, v61
	v_add_co_u32 v61, s15, v66, -1
	s_delay_alu instid0(VALU_DEP_1) | instskip(NEXT) | instid1(VALU_DEP_3)
	v_cndmask_b32_e64 v66, 0, 1, s15
	v_lshlrev_b32_e32 v180, 30, v67
	s_delay_alu instid0(VALU_DEP_2) | instskip(NEXT) | instid1(VALU_DEP_2)
	v_cmp_ne_u32_e32 vcc_lo, 0, v66
	v_not_b32_e32 v66, v180
	v_cmp_gt_i32_e64 s15, 0, v180
	s_delay_alu instid0(VALU_DEP_2) | instskip(SKIP_3) | instid1(VALU_DEP_4)
	v_dual_ashrrev_i32 v66, 31, v66 :: v_dual_lshlrev_b32 v181, 29, v67
	v_dual_lshlrev_b32 v182, 28, v67 :: v_dual_lshlrev_b32 v183, 27, v67
	v_dual_lshlrev_b32 v184, 26, v67 :: v_dual_lshlrev_b32 v185, 25, v67
	v_lshlrev_b32_e32 v186, 24, v67
	v_cmp_gt_i32_e64 s16, 0, v181
	v_not_b32_e32 v180, v181
	v_not_b32_e32 v181, v182
	v_cmp_gt_i32_e64 s17, 0, v182
	v_cmp_gt_i32_e64 s18, 0, v183
	v_not_b32_e32 v182, v183
	v_not_b32_e32 v183, v184
	v_dual_ashrrev_i32 v180, 31, v180 :: v_dual_bitop2_b32 v61, vcc_lo, v61 bitop3:0x14
	v_dual_ashrrev_i32 v181, 31, v181 :: v_dual_bitop2_b32 v66, s15, v66 bitop3:0x14
	v_cmp_gt_i32_e64 s19, 0, v184
	v_cmp_gt_i32_e64 s20, 0, v185
	v_not_b32_e32 v184, v185
	v_not_b32_e32 v185, v186
	v_dual_ashrrev_i32 v182, 31, v182 :: v_dual_ashrrev_i32 v183, 31, v183
	v_xor_b32_e32 v180, s16, v180
	v_xor_b32_e32 v181, s17, v181
	v_bitop3_b32 v61, v61, v66, exec_lo bitop3:0x80
	v_cmp_gt_i32_e64 s21, 0, v186
	v_dual_ashrrev_i32 v66, 31, v184 :: v_dual_ashrrev_i32 v184, 31, v185
	v_xor_b32_e32 v182, s18, v182
	v_xor_b32_e32 v183, s19, v183
	v_bitop3_b32 v61, v61, v181, v180 bitop3:0x80
	v_mad_u32_u24 v180, v67, 36, v23
	v_xor_b32_e32 v66, s20, v66
	v_xor_b32_e32 v184, s21, v184
	s_delay_alu instid0(VALU_DEP_4) | instskip(SKIP_3) | instid1(VALU_DEP_2)
	v_bitop3_b32 v61, v61, v183, v182 bitop3:0x80
	ds_load_b32 v181, v180 offset:1056
	; wave barrier
	v_bitop3_b32 v61, v61, v184, v66 bitop3:0x80
	v_mul_u32_u24_e32 v66, 36, v67
	v_mbcnt_lo_u32_b32 v182, v61, 0
	v_cmp_ne_u32_e64 s15, 0, v61
	s_delay_alu instid0(VALU_DEP_3) | instskip(NEXT) | instid1(VALU_DEP_3)
	v_add_nc_u32_e32 v183, v23, v66
	v_cmp_eq_u32_e32 vcc_lo, 0, v182
	s_and_b32 s16, s15, vcc_lo
	s_delay_alu instid0(SALU_CYCLE_1)
	s_and_saveexec_b32 s15, s16
	s_cbranch_execz .LBB2069_748
; %bb.747:                              ;   in Loop: Header=BB2069_690 Depth=2
	s_wait_dscnt 0x0
	v_bcnt_u32_b32 v61, v61, v181
	ds_store_b32 v183, v61 offset:1056
.LBB2069_748:                           ;   in Loop: Header=BB2069_690 Depth=2
	s_or_b32 exec_lo, exec_lo, s15
	v_cmp_lt_i16_e32 vcc_lo, -1, v65
	; wave barrier
	v_cndmask_b32_e64 v61, -1, 0xffff8000, vcc_lo
	s_delay_alu instid0(VALU_DEP_1) | instskip(NEXT) | instid1(VALU_DEP_1)
	v_xor_b32_e32 v180, v61, v65
	v_cmp_ne_u16_e64 vcc_lo, 0x7fff, v180
	v_cndmask_b32_e32 v61, 0xffff8000, v180, vcc_lo
	s_delay_alu instid0(VALU_DEP_1) | instskip(NEXT) | instid1(VALU_DEP_1)
	v_and_b32_e32 v61, 0xffff, v61
	v_lshrrev_b32_e32 v61, s49, v61
	s_delay_alu instid0(VALU_DEP_1) | instskip(NEXT) | instid1(VALU_DEP_1)
	v_and_b32_e32 v66, s52, v61
	v_lshlrev_b32_e32 v185, 28, v66
	v_bitop3_b32 v65, v61, 1, s52 bitop3:0x80
	v_dual_lshlrev_b32 v67, 30, v66 :: v_dual_lshlrev_b32 v184, 29, v66
	s_delay_alu instid0(VALU_DEP_3) | instskip(NEXT) | instid1(VALU_DEP_3)
	v_cmp_gt_i32_e64 s17, 0, v185
	v_add_co_u32 v61, s15, v65, -1
	s_delay_alu instid0(VALU_DEP_1) | instskip(NEXT) | instid1(VALU_DEP_4)
	v_cndmask_b32_e64 v65, 0, 1, s15
	v_cmp_gt_i32_e64 s15, 0, v67
	v_cmp_gt_i32_e64 s16, 0, v184
	s_delay_alu instid0(VALU_DEP_3) | instskip(SKIP_3) | instid1(VALU_DEP_2)
	v_cmp_ne_u32_e32 vcc_lo, 0, v65
	v_not_b32_e32 v65, v67
	v_not_b32_e32 v67, v184
	;; [unrolled: 1-line block ×3, first 2 shown]
	v_dual_ashrrev_i32 v65, 31, v65 :: v_dual_ashrrev_i32 v67, 31, v67
	v_dual_lshlrev_b32 v186, 27, v66 :: v_dual_lshlrev_b32 v187, 26, v66
	v_dual_lshlrev_b32 v188, 25, v66 :: v_dual_lshlrev_b32 v189, 24, v66
	s_delay_alu instid0(VALU_DEP_4) | instskip(NEXT) | instid1(VALU_DEP_3)
	v_ashrrev_i32_e32 v184, 31, v184
	v_cmp_gt_i32_e64 s18, 0, v186
	v_not_b32_e32 v185, v186
	v_cmp_gt_i32_e64 s19, 0, v187
	v_not_b32_e32 v186, v187
	;; [unrolled: 2-line block ×3, first 2 shown]
	v_not_b32_e32 v188, v189
	s_delay_alu instid0(VALU_DEP_4) | instskip(SKIP_4) | instid1(VALU_DEP_4)
	v_dual_ashrrev_i32 v186, 31, v186 :: v_dual_bitop2_b32 v61, vcc_lo, v61 bitop3:0x14
	v_xor_b32_e32 v65, s15, v65
	v_dual_ashrrev_i32 v185, 31, v185 :: v_dual_bitop2_b32 v67, s16, v67 bitop3:0x14
	v_xor_b32_e32 v184, s17, v184
	v_cmp_gt_i32_e64 s21, 0, v189
	v_bitop3_b32 v61, v61, v65, exec_lo bitop3:0x80
	v_dual_ashrrev_i32 v65, 31, v187 :: v_dual_ashrrev_i32 v187, 31, v188
	v_xor_b32_e32 v185, s18, v185
	v_xor_b32_e32 v186, s19, v186
	s_delay_alu instid0(VALU_DEP_4) | instskip(SKIP_3) | instid1(VALU_DEP_4)
	v_bitop3_b32 v61, v61, v184, v67 bitop3:0x80
	v_mad_u32_u24 v67, v66, 36, v23
	v_xor_b32_e32 v65, s20, v65
	v_xor_b32_e32 v184, s21, v187
	v_bitop3_b32 v61, v61, v186, v185 bitop3:0x80
	ds_load_b32 v185, v67 offset:1056
	; wave barrier
	v_bitop3_b32 v61, v61, v184, v65 bitop3:0x80
	v_mul_u32_u24_e32 v65, 36, v66
	s_delay_alu instid0(VALU_DEP_2) | instskip(SKIP_1) | instid1(VALU_DEP_3)
	v_mbcnt_lo_u32_b32 v186, v61, 0
	v_cmp_ne_u32_e64 s15, 0, v61
	v_add_nc_u32_e32 v187, v23, v65
	s_delay_alu instid0(VALU_DEP_3) | instskip(SKIP_1) | instid1(SALU_CYCLE_1)
	v_cmp_eq_u32_e32 vcc_lo, 0, v186
	s_and_b32 s16, s15, vcc_lo
	s_and_saveexec_b32 s15, s16
	s_cbranch_execz .LBB2069_750
; %bb.749:                              ;   in Loop: Header=BB2069_690 Depth=2
	s_wait_dscnt 0x0
	v_bcnt_u32_b32 v61, v61, v185
	ds_store_b32 v187, v61 offset:1056
.LBB2069_750:                           ;   in Loop: Header=BB2069_690 Depth=2
	s_or_b32 exec_lo, exec_lo, s15
	v_cmp_lt_i16_e32 vcc_lo, -1, v64
	; wave barrier
	v_cndmask_b32_e64 v61, -1, 0xffff8000, vcc_lo
	s_delay_alu instid0(VALU_DEP_1) | instskip(NEXT) | instid1(VALU_DEP_1)
	v_xor_b32_e32 v184, v61, v64
	v_cmp_ne_u16_e64 vcc_lo, 0x7fff, v184
	v_cndmask_b32_e32 v61, 0xffff8000, v184, vcc_lo
	s_delay_alu instid0(VALU_DEP_1) | instskip(NEXT) | instid1(VALU_DEP_1)
	v_and_b32_e32 v61, 0xffff, v61
	v_lshrrev_b32_e32 v61, s49, v61
	s_delay_alu instid0(VALU_DEP_1) | instskip(SKIP_1) | instid1(VALU_DEP_2)
	v_bitop3_b32 v64, v61, 1, s52 bitop3:0x80
	v_and_b32_e32 v65, s52, v61
	v_add_co_u32 v61, s15, v64, -1
	s_delay_alu instid0(VALU_DEP_1) | instskip(NEXT) | instid1(VALU_DEP_3)
	v_cndmask_b32_e64 v64, 0, 1, s15
	v_lshlrev_b32_e32 v66, 30, v65
	s_delay_alu instid0(VALU_DEP_2) | instskip(NEXT) | instid1(VALU_DEP_2)
	v_cmp_ne_u32_e32 vcc_lo, 0, v64
	v_not_b32_e32 v64, v66
	v_cmp_gt_i32_e64 s15, 0, v66
	s_delay_alu instid0(VALU_DEP_2) | instskip(SKIP_3) | instid1(VALU_DEP_4)
	v_dual_ashrrev_i32 v64, 31, v64 :: v_dual_lshlrev_b32 v67, 29, v65
	v_dual_lshlrev_b32 v188, 28, v65 :: v_dual_lshlrev_b32 v189, 27, v65
	v_dual_lshlrev_b32 v190, 26, v65 :: v_dual_lshlrev_b32 v191, 25, v65
	v_lshlrev_b32_e32 v192, 24, v65
	v_cmp_gt_i32_e64 s16, 0, v67
	v_not_b32_e32 v66, v67
	v_not_b32_e32 v67, v188
	v_cmp_gt_i32_e64 s17, 0, v188
	v_cmp_gt_i32_e64 s18, 0, v189
	v_not_b32_e32 v188, v189
	v_not_b32_e32 v189, v190
	v_dual_ashrrev_i32 v66, 31, v66 :: v_dual_bitop2_b32 v61, vcc_lo, v61 bitop3:0x14
	v_dual_ashrrev_i32 v67, 31, v67 :: v_dual_bitop2_b32 v64, s15, v64 bitop3:0x14
	v_cmp_gt_i32_e64 s19, 0, v190
	v_cmp_gt_i32_e64 s20, 0, v191
	v_not_b32_e32 v190, v191
	v_not_b32_e32 v191, v192
	v_dual_ashrrev_i32 v188, 31, v188 :: v_dual_ashrrev_i32 v189, 31, v189
	v_xor_b32_e32 v66, s16, v66
	v_xor_b32_e32 v67, s17, v67
	v_bitop3_b32 v61, v61, v64, exec_lo bitop3:0x80
	v_cmp_gt_i32_e64 s21, 0, v192
	v_dual_ashrrev_i32 v64, 31, v190 :: v_dual_ashrrev_i32 v190, 31, v191
	v_xor_b32_e32 v188, s18, v188
	v_xor_b32_e32 v189, s19, v189
	v_bitop3_b32 v61, v61, v67, v66 bitop3:0x80
	v_mad_u32_u24 v66, v65, 36, v23
	v_xor_b32_e32 v64, s20, v64
	v_xor_b32_e32 v67, s21, v190
	s_delay_alu instid0(VALU_DEP_4) | instskip(SKIP_3) | instid1(VALU_DEP_2)
	v_bitop3_b32 v61, v61, v189, v188 bitop3:0x80
	ds_load_b32 v189, v66 offset:1056
	; wave barrier
	v_bitop3_b32 v61, v61, v67, v64 bitop3:0x80
	v_mul_u32_u24_e32 v64, 36, v65
	v_mbcnt_lo_u32_b32 v190, v61, 0
	v_cmp_ne_u32_e64 s15, 0, v61
	s_delay_alu instid0(VALU_DEP_3) | instskip(NEXT) | instid1(VALU_DEP_3)
	v_add_nc_u32_e32 v191, v23, v64
	v_cmp_eq_u32_e32 vcc_lo, 0, v190
	s_and_b32 s16, s15, vcc_lo
	s_delay_alu instid0(SALU_CYCLE_1)
	s_and_saveexec_b32 s15, s16
	s_cbranch_execz .LBB2069_752
; %bb.751:                              ;   in Loop: Header=BB2069_690 Depth=2
	s_wait_dscnt 0x0
	v_bcnt_u32_b32 v61, v61, v189
	ds_store_b32 v191, v61 offset:1056
.LBB2069_752:                           ;   in Loop: Header=BB2069_690 Depth=2
	s_or_b32 exec_lo, exec_lo, s15
	v_cmp_lt_i16_e32 vcc_lo, -1, v63
	; wave barrier
	v_cndmask_b32_e64 v61, -1, 0xffff8000, vcc_lo
	s_delay_alu instid0(VALU_DEP_1) | instskip(NEXT) | instid1(VALU_DEP_1)
	v_xor_b32_e32 v188, v61, v63
	v_cmp_ne_u16_e64 vcc_lo, 0x7fff, v188
	v_cndmask_b32_e32 v61, 0xffff8000, v188, vcc_lo
	s_delay_alu instid0(VALU_DEP_1) | instskip(NEXT) | instid1(VALU_DEP_1)
	v_and_b32_e32 v61, 0xffff, v61
	v_lshrrev_b32_e32 v61, s49, v61
	s_delay_alu instid0(VALU_DEP_1) | instskip(SKIP_1) | instid1(VALU_DEP_2)
	v_bitop3_b32 v63, v61, 1, s52 bitop3:0x80
	v_and_b32_e32 v64, s52, v61
	v_add_co_u32 v61, s15, v63, -1
	s_delay_alu instid0(VALU_DEP_1) | instskip(NEXT) | instid1(VALU_DEP_3)
	v_cndmask_b32_e64 v63, 0, 1, s15
	v_lshlrev_b32_e32 v65, 30, v64
	s_delay_alu instid0(VALU_DEP_2) | instskip(NEXT) | instid1(VALU_DEP_2)
	v_cmp_ne_u32_e32 vcc_lo, 0, v63
	v_not_b32_e32 v63, v65
	s_delay_alu instid0(VALU_DEP_1) | instskip(SKIP_4) | instid1(VALU_DEP_4)
	v_dual_ashrrev_i32 v63, 31, v63 :: v_dual_bitop2_b32 v61, vcc_lo, v61 bitop3:0x14
	v_dual_lshlrev_b32 v66, 29, v64 :: v_dual_lshlrev_b32 v67, 28, v64
	v_dual_lshlrev_b32 v192, 27, v64 :: v_dual_lshlrev_b32 v193, 26, v64
	v_lshlrev_b32_e32 v194, 25, v64
	v_cmp_gt_i32_e64 s15, 0, v65
	v_cmp_gt_i32_e64 s16, 0, v66
	v_not_b32_e32 v65, v66
	v_not_b32_e32 v66, v67
	v_lshlrev_b32_e32 v195, 24, v64
	v_cmp_gt_i32_e64 s17, 0, v67
	v_cmp_gt_i32_e64 s18, 0, v192
	v_not_b32_e32 v67, v192
	v_not_b32_e32 v192, v193
	v_dual_ashrrev_i32 v65, 31, v65 :: v_dual_bitop2_b32 v63, s15, v63 bitop3:0x14
	v_ashrrev_i32_e32 v66, 31, v66
	v_cmp_gt_i32_e64 s19, 0, v193
	v_cmp_gt_i32_e64 s20, 0, v194
	v_not_b32_e32 v193, v194
	v_not_b32_e32 v194, v195
	v_dual_ashrrev_i32 v67, 31, v67 :: v_dual_ashrrev_i32 v192, 31, v192
	v_xor_b32_e32 v65, s16, v65
	v_xor_b32_e32 v66, s17, v66
	v_bitop3_b32 v61, v61, v63, exec_lo bitop3:0x80
	v_cmp_gt_i32_e64 s21, 0, v195
	v_dual_ashrrev_i32 v63, 31, v193 :: v_dual_ashrrev_i32 v193, 31, v194
	v_xor_b32_e32 v67, s18, v67
	v_xor_b32_e32 v192, s19, v192
	v_bitop3_b32 v61, v61, v66, v65 bitop3:0x80
	v_mad_u32_u24 v65, v64, 36, v23
	v_xor_b32_e32 v63, s20, v63
	v_xor_b32_e32 v66, s21, v193
	s_delay_alu instid0(VALU_DEP_4) | instskip(SKIP_3) | instid1(VALU_DEP_2)
	v_bitop3_b32 v61, v61, v192, v67 bitop3:0x80
	ds_load_b32 v193, v65 offset:1056
	; wave barrier
	v_bitop3_b32 v61, v61, v66, v63 bitop3:0x80
	v_mul_u32_u24_e32 v63, 36, v64
	v_mbcnt_lo_u32_b32 v194, v61, 0
	v_cmp_ne_u32_e64 s15, 0, v61
	s_delay_alu instid0(VALU_DEP_3) | instskip(NEXT) | instid1(VALU_DEP_3)
	v_add_nc_u32_e32 v195, v23, v63
	v_cmp_eq_u32_e32 vcc_lo, 0, v194
	s_and_b32 s16, s15, vcc_lo
	s_delay_alu instid0(SALU_CYCLE_1)
	s_and_saveexec_b32 s15, s16
	s_cbranch_execz .LBB2069_754
; %bb.753:                              ;   in Loop: Header=BB2069_690 Depth=2
	s_wait_dscnt 0x0
	v_bcnt_u32_b32 v61, v61, v193
	ds_store_b32 v195, v61 offset:1056
.LBB2069_754:                           ;   in Loop: Header=BB2069_690 Depth=2
	s_or_b32 exec_lo, exec_lo, s15
	v_cmp_lt_i16_e32 vcc_lo, -1, v62
	; wave barrier
	v_cndmask_b32_e64 v61, -1, 0xffff8000, vcc_lo
	s_delay_alu instid0(VALU_DEP_1) | instskip(NEXT) | instid1(VALU_DEP_1)
	v_xor_b32_e32 v192, v61, v62
	v_cmp_ne_u16_e64 vcc_lo, 0x7fff, v192
	v_cndmask_b32_e32 v61, 0xffff8000, v192, vcc_lo
	s_delay_alu instid0(VALU_DEP_1) | instskip(NEXT) | instid1(VALU_DEP_1)
	v_and_b32_e32 v61, 0xffff, v61
	v_lshrrev_b32_e32 v61, s49, v61
	s_delay_alu instid0(VALU_DEP_1) | instskip(SKIP_1) | instid1(VALU_DEP_2)
	v_bitop3_b32 v62, v61, 1, s52 bitop3:0x80
	v_and_b32_e32 v63, s52, v61
	v_add_co_u32 v61, s15, v62, -1
	s_delay_alu instid0(VALU_DEP_1) | instskip(NEXT) | instid1(VALU_DEP_3)
	v_cndmask_b32_e64 v62, 0, 1, s15
	v_lshlrev_b32_e32 v64, 30, v63
	s_delay_alu instid0(VALU_DEP_2) | instskip(NEXT) | instid1(VALU_DEP_2)
	v_cmp_ne_u32_e32 vcc_lo, 0, v62
	v_not_b32_e32 v62, v64
	v_cmp_gt_i32_e64 s15, 0, v64
	s_delay_alu instid0(VALU_DEP_2) | instskip(SKIP_3) | instid1(VALU_DEP_4)
	v_dual_ashrrev_i32 v62, 31, v62 :: v_dual_lshlrev_b32 v65, 29, v63
	v_dual_lshlrev_b32 v66, 28, v63 :: v_dual_lshlrev_b32 v67, 27, v63
	v_dual_lshlrev_b32 v196, 26, v63 :: v_dual_lshlrev_b32 v197, 25, v63
	v_lshlrev_b32_e32 v198, 24, v63
	v_cmp_gt_i32_e64 s16, 0, v65
	v_not_b32_e32 v64, v65
	v_not_b32_e32 v65, v66
	v_cmp_gt_i32_e64 s17, 0, v66
	v_cmp_gt_i32_e64 s18, 0, v67
	v_not_b32_e32 v66, v67
	v_not_b32_e32 v67, v196
	v_dual_ashrrev_i32 v64, 31, v64 :: v_dual_bitop2_b32 v61, vcc_lo, v61 bitop3:0x14
	v_dual_ashrrev_i32 v65, 31, v65 :: v_dual_bitop2_b32 v62, s15, v62 bitop3:0x14
	v_cmp_gt_i32_e64 s19, 0, v196
	v_cmp_gt_i32_e64 s20, 0, v197
	v_not_b32_e32 v196, v197
	v_not_b32_e32 v197, v198
	v_dual_ashrrev_i32 v66, 31, v66 :: v_dual_ashrrev_i32 v67, 31, v67
	v_xor_b32_e32 v64, s16, v64
	v_xor_b32_e32 v65, s17, v65
	v_bitop3_b32 v61, v61, v62, exec_lo bitop3:0x80
	v_cmp_gt_i32_e64 s21, 0, v198
	v_dual_ashrrev_i32 v62, 31, v196 :: v_dual_ashrrev_i32 v196, 31, v197
	v_xor_b32_e32 v66, s18, v66
	v_xor_b32_e32 v67, s19, v67
	v_bitop3_b32 v61, v61, v65, v64 bitop3:0x80
	v_mad_u32_u24 v64, v63, 36, v23
	v_xor_b32_e32 v62, s20, v62
	v_xor_b32_e32 v65, s21, v196
	s_delay_alu instid0(VALU_DEP_4) | instskip(SKIP_3) | instid1(VALU_DEP_2)
	v_bitop3_b32 v61, v61, v67, v66 bitop3:0x80
	ds_load_b32 v197, v64 offset:1056
	; wave barrier
	v_bitop3_b32 v61, v61, v65, v62 bitop3:0x80
	v_mul_u32_u24_e32 v62, 36, v63
	v_mbcnt_lo_u32_b32 v198, v61, 0
	v_cmp_ne_u32_e64 s15, 0, v61
	s_delay_alu instid0(VALU_DEP_3) | instskip(NEXT) | instid1(VALU_DEP_3)
	v_add_nc_u32_e32 v199, v23, v62
	v_cmp_eq_u32_e32 vcc_lo, 0, v198
	s_and_b32 s16, s15, vcc_lo
	s_delay_alu instid0(SALU_CYCLE_1)
	s_and_saveexec_b32 s15, s16
	s_cbranch_execz .LBB2069_756
; %bb.755:                              ;   in Loop: Header=BB2069_690 Depth=2
	s_wait_dscnt 0x0
	v_bcnt_u32_b32 v61, v61, v197
	ds_store_b32 v199, v61 offset:1056
.LBB2069_756:                           ;   in Loop: Header=BB2069_690 Depth=2
	s_or_b32 exec_lo, exec_lo, s15
	v_cmp_lt_i16_e32 vcc_lo, -1, v60
	; wave barrier
	v_cndmask_b32_e64 v61, -1, 0xffff8000, vcc_lo
	s_delay_alu instid0(VALU_DEP_1) | instskip(NEXT) | instid1(VALU_DEP_1)
	v_xor_b32_e32 v196, v61, v60
	v_cmp_ne_u16_e64 vcc_lo, 0x7fff, v196
	v_cndmask_b32_e32 v60, 0xffff8000, v196, vcc_lo
	s_delay_alu instid0(VALU_DEP_1) | instskip(NEXT) | instid1(VALU_DEP_1)
	v_and_b32_e32 v60, 0xffff, v60
	v_lshrrev_b32_e32 v60, s49, v60
	s_delay_alu instid0(VALU_DEP_1) | instskip(SKIP_1) | instid1(VALU_DEP_2)
	v_bitop3_b32 v61, v60, 1, s52 bitop3:0x80
	v_and_b32_e32 v62, s52, v60
	v_add_co_u32 v60, s15, v61, -1
	s_delay_alu instid0(VALU_DEP_1) | instskip(NEXT) | instid1(VALU_DEP_3)
	v_cndmask_b32_e64 v61, 0, 1, s15
	v_lshlrev_b32_e32 v63, 30, v62
	s_delay_alu instid0(VALU_DEP_2) | instskip(NEXT) | instid1(VALU_DEP_2)
	v_cmp_ne_u32_e32 vcc_lo, 0, v61
	v_not_b32_e32 v61, v63
	v_cmp_gt_i32_e64 s15, 0, v63
	s_delay_alu instid0(VALU_DEP_2) | instskip(SKIP_3) | instid1(VALU_DEP_4)
	v_dual_ashrrev_i32 v61, 31, v61 :: v_dual_lshlrev_b32 v64, 29, v62
	v_dual_lshlrev_b32 v65, 28, v62 :: v_dual_lshlrev_b32 v66, 27, v62
	v_dual_lshlrev_b32 v67, 26, v62 :: v_dual_lshlrev_b32 v200, 25, v62
	v_lshlrev_b32_e32 v201, 24, v62
	v_cmp_gt_i32_e64 s16, 0, v64
	v_not_b32_e32 v63, v64
	v_not_b32_e32 v64, v65
	v_cmp_gt_i32_e64 s17, 0, v65
	v_cmp_gt_i32_e64 s18, 0, v66
	v_not_b32_e32 v65, v66
	v_not_b32_e32 v66, v67
	v_dual_ashrrev_i32 v63, 31, v63 :: v_dual_bitop2_b32 v60, vcc_lo, v60 bitop3:0x14
	v_dual_ashrrev_i32 v64, 31, v64 :: v_dual_bitop2_b32 v61, s15, v61 bitop3:0x14
	v_cmp_gt_i32_e64 s19, 0, v67
	v_cmp_gt_i32_e64 s20, 0, v200
	v_not_b32_e32 v67, v200
	v_not_b32_e32 v200, v201
	v_dual_ashrrev_i32 v65, 31, v65 :: v_dual_ashrrev_i32 v66, 31, v66
	v_xor_b32_e32 v63, s16, v63
	v_xor_b32_e32 v64, s17, v64
	v_bitop3_b32 v60, v60, v61, exec_lo bitop3:0x80
	v_cmp_gt_i32_e64 s21, 0, v201
	v_dual_ashrrev_i32 v61, 31, v67 :: v_dual_ashrrev_i32 v67, 31, v200
	v_xor_b32_e32 v65, s18, v65
	v_xor_b32_e32 v66, s19, v66
	v_bitop3_b32 v60, v60, v64, v63 bitop3:0x80
	v_mad_u32_u24 v63, v62, 36, v23
	v_xor_b32_e32 v61, s20, v61
	v_xor_b32_e32 v64, s21, v67
	s_delay_alu instid0(VALU_DEP_4) | instskip(SKIP_3) | instid1(VALU_DEP_2)
	v_bitop3_b32 v60, v60, v66, v65 bitop3:0x80
	ds_load_b32 v200, v63 offset:1056
	; wave barrier
	v_bitop3_b32 v60, v60, v64, v61 bitop3:0x80
	v_mul_u32_u24_e32 v61, 36, v62
	v_mbcnt_lo_u32_b32 v201, v60, 0
	v_cmp_ne_u32_e64 s15, 0, v60
	s_delay_alu instid0(VALU_DEP_3) | instskip(NEXT) | instid1(VALU_DEP_3)
	v_add_nc_u32_e32 v202, v23, v61
	v_cmp_eq_u32_e32 vcc_lo, 0, v201
	s_and_b32 s16, s15, vcc_lo
	s_delay_alu instid0(SALU_CYCLE_1)
	s_and_saveexec_b32 s15, s16
	s_cbranch_execz .LBB2069_758
; %bb.757:                              ;   in Loop: Header=BB2069_690 Depth=2
	s_wait_dscnt 0x0
	v_bcnt_u32_b32 v60, v60, v200
	ds_store_b32 v202, v60 offset:1056
.LBB2069_758:                           ;   in Loop: Header=BB2069_690 Depth=2
	s_or_b32 exec_lo, exec_lo, s15
	; wave barrier
	s_wait_dscnt 0x0
	s_barrier_signal -1
	s_barrier_wait -1
	ds_load_2addr_b32 v[66:67], v118 offset1:1
	ds_load_2addr_b32 v[64:65], v119 offset1:1
	ds_load_2addr_b32 v[62:63], v120 offset1:1
	ds_load_2addr_b32 v[60:61], v121 offset1:1
	ds_load_b32 v203, v91 offset:1088
	s_wait_dscnt 0x3
	v_add3_u32 v204, v67, v66, v64
	s_wait_dscnt 0x2
	s_delay_alu instid0(VALU_DEP_1) | instskip(SKIP_1) | instid1(VALU_DEP_1)
	v_add3_u32 v204, v204, v65, v62
	s_wait_dscnt 0x1
	v_add3_u32 v204, v204, v63, v60
	s_wait_dscnt 0x0
	s_delay_alu instid0(VALU_DEP_1) | instskip(NEXT) | instid1(VALU_DEP_1)
	v_add3_u32 v203, v204, v61, v203
	v_mov_b32_dpp v204, v203 row_shr:1 row_mask:0xf bank_mask:0xf
	s_delay_alu instid0(VALU_DEP_1) | instskip(NEXT) | instid1(VALU_DEP_1)
	v_cndmask_b32_e64 v204, v204, 0, s7
	v_add_nc_u32_e32 v203, v204, v203
	s_delay_alu instid0(VALU_DEP_1) | instskip(NEXT) | instid1(VALU_DEP_1)
	v_mov_b32_dpp v204, v203 row_shr:2 row_mask:0xf bank_mask:0xf
	v_cndmask_b32_e64 v204, 0, v204, s8
	s_delay_alu instid0(VALU_DEP_1) | instskip(NEXT) | instid1(VALU_DEP_1)
	v_add_nc_u32_e32 v203, v203, v204
	v_mov_b32_dpp v204, v203 row_shr:4 row_mask:0xf bank_mask:0xf
	s_delay_alu instid0(VALU_DEP_1) | instskip(NEXT) | instid1(VALU_DEP_1)
	v_cndmask_b32_e64 v204, 0, v204, s9
	v_add_nc_u32_e32 v203, v203, v204
	s_delay_alu instid0(VALU_DEP_1) | instskip(NEXT) | instid1(VALU_DEP_1)
	v_mov_b32_dpp v204, v203 row_shr:8 row_mask:0xf bank_mask:0xf
	v_cndmask_b32_e64 v204, 0, v204, s10
	s_delay_alu instid0(VALU_DEP_1) | instskip(SKIP_3) | instid1(VALU_DEP_1)
	v_add_nc_u32_e32 v203, v203, v204
	ds_swizzle_b32 v204, v203 offset:swizzle(BROADCAST,32,15)
	s_wait_dscnt 0x0
	v_cndmask_b32_e64 v204, v204, 0, s11
	v_add_nc_u32_e32 v203, v203, v204
	s_and_saveexec_b32 s15, s1
; %bb.759:                              ;   in Loop: Header=BB2069_690 Depth=2
	ds_store_b32 v84, v203 offset:1024
; %bb.760:                              ;   in Loop: Header=BB2069_690 Depth=2
	s_or_b32 exec_lo, exec_lo, s15
	s_wait_dscnt 0x0
	s_barrier_signal -1
	s_barrier_wait -1
	s_and_saveexec_b32 s15, s4
	s_cbranch_execz .LBB2069_762
; %bb.761:                              ;   in Loop: Header=BB2069_690 Depth=2
	ds_load_b32 v204, v92 offset:1024
	s_wait_dscnt 0x0
	v_mov_b32_dpp v205, v204 row_shr:1 row_mask:0xf bank_mask:0xf
	s_delay_alu instid0(VALU_DEP_1) | instskip(NEXT) | instid1(VALU_DEP_1)
	v_cndmask_b32_e64 v205, v205, 0, s12
	v_add_nc_u32_e32 v204, v205, v204
	s_delay_alu instid0(VALU_DEP_1) | instskip(NEXT) | instid1(VALU_DEP_1)
	v_mov_b32_dpp v205, v204 row_shr:2 row_mask:0xf bank_mask:0xf
	v_cndmask_b32_e64 v205, 0, v205, s13
	s_delay_alu instid0(VALU_DEP_1) | instskip(NEXT) | instid1(VALU_DEP_1)
	v_add_nc_u32_e32 v204, v204, v205
	v_mov_b32_dpp v205, v204 row_shr:4 row_mask:0xf bank_mask:0xf
	s_delay_alu instid0(VALU_DEP_1) | instskip(NEXT) | instid1(VALU_DEP_1)
	v_cndmask_b32_e64 v205, 0, v205, s14
	v_add_nc_u32_e32 v204, v204, v205
	ds_store_b32 v92, v204 offset:1024
.LBB2069_762:                           ;   in Loop: Header=BB2069_690 Depth=2
	s_or_b32 exec_lo, exec_lo, s15
	v_mov_b32_e32 v204, 0
	s_wait_dscnt 0x0
	s_barrier_signal -1
	s_barrier_wait -1
	s_and_saveexec_b32 s15, s5
; %bb.763:                              ;   in Loop: Header=BB2069_690 Depth=2
	ds_load_b32 v204, v84 offset:1020
; %bb.764:                              ;   in Loop: Header=BB2069_690 Depth=2
	s_or_b32 exec_lo, exec_lo, s15
	s_wait_dscnt 0x0
	v_add_nc_u32_e32 v203, v204, v203
	ds_bpermute_b32 v203, v122, v203
	s_wait_dscnt 0x0
	v_cndmask_b32_e64 v203, v203, v204, s6
	s_delay_alu instid0(VALU_DEP_1) | instskip(NEXT) | instid1(VALU_DEP_1)
	v_cndmask_b32_e64 v203, v203, 0, s2
	v_add_nc_u32_e32 v66, v203, v66
	s_delay_alu instid0(VALU_DEP_1) | instskip(NEXT) | instid1(VALU_DEP_1)
	v_add_nc_u32_e32 v67, v66, v67
	v_add_nc_u32_e32 v64, v67, v64
	s_delay_alu instid0(VALU_DEP_1) | instskip(NEXT) | instid1(VALU_DEP_1)
	v_add_nc_u32_e32 v65, v64, v65
	;; [unrolled: 3-line block ×3, first 2 shown]
	v_add_nc_u32_e32 v60, v63, v60
	s_delay_alu instid0(VALU_DEP_1)
	v_add_nc_u32_e32 v61, v60, v61
	ds_store_2addr_b32 v121, v63, v60 offset1:1
	ds_store_2addr_b32 v118, v203, v66 offset1:1
	;; [unrolled: 1-line block ×4, first 2 shown]
	ds_store_b32 v91, v61 offset:1088
	s_wait_dscnt 0x0
	s_barrier_signal -1
	s_barrier_wait -1
	ds_load_b32 v63, v143 offset:1056
	ds_load_b32 v65, v147 offset:1056
	;; [unrolled: 1-line block ×17, first 2 shown]
	v_mov_b32_e32 v62, 0x1000
	s_and_saveexec_b32 s15, s3
; %bb.765:                              ;   in Loop: Header=BB2069_690 Depth=2
	ds_load_b32 v62, v91 offset:1092
; %bb.766:                              ;   in Loop: Header=BB2069_690 Depth=2
	s_or_b32 exec_lo, exec_lo, s15
	s_wait_dscnt 0x0
	s_barrier_signal -1
	s_barrier_wait -1
	s_and_saveexec_b32 s15, s0
	s_cbranch_execz .LBB2069_768
; %bb.767:                              ;   in Loop: Header=BB2069_690 Depth=2
	ds_load_b32 v155, v3
	s_wait_dscnt 0x0
	v_sub_nc_u32_e32 v151, v155, v151
	ds_store_b32 v3, v151
.LBB2069_768:                           ;   in Loop: Header=BB2069_690 Depth=2
	s_or_b32 exec_lo, exec_lo, s15
	v_add3_u32 v159, v146, v145, v65
	v_add_nc_u32_e32 v163, v63, v142
	v_add3_u32 v155, v150, v149, v66
	v_add3_u32 v151, v154, v153, v67
	;; [unrolled: 1-line block ×4, first 2 shown]
	v_lshlrev_b32_e32 v60, 1, v159
	v_lshlrev_b32_e32 v153, 1, v163
	v_add3_u32 v150, v158, v157, v143
	v_add3_u32 v147, v166, v165, v203
	v_add3_u32 v146, v170, v169, v171
	v_add3_u32 v66, v194, v193, v61
	v_lshlrev_b32_e32 v61, 1, v155
	v_add3_u32 v145, v174, v173, v175
	v_lshlrev_b32_e32 v154, 1, v149
	ds_store_b16 v153, v140 offset:1024
	v_lshlrev_b32_e32 v140, 1, v151
	v_add3_u32 v143, v178, v177, v179
	v_lshlrev_b32_e32 v153, 1, v150
	v_add3_u32 v142, v182, v181, v183
	v_add3_u32 v63, v186, v185, v187
	ds_store_b16 v60, v141 offset:1024
	ds_store_b16 v61, v144 offset:1024
	;; [unrolled: 1-line block ×5, first 2 shown]
	v_dual_lshlrev_b32 v60, 1, v147 :: v_dual_lshlrev_b32 v140, 1, v145
	v_lshlrev_b32_e32 v61, 1, v146
	v_add3_u32 v65, v198, v197, v64
	v_dual_lshlrev_b32 v141, 1, v143 :: v_dual_lshlrev_b32 v144, 1, v142
	v_add3_u32 v64, v201, v200, v167
	ds_store_b16 v60, v160 offset:1024
	ds_store_b16 v61, v164 offset:1024
	;; [unrolled: 1-line block ×5, first 2 shown]
	v_dual_lshlrev_b32 v60, 1, v63 :: v_dual_lshlrev_b32 v140, 1, v66
	v_cmp_lt_u32_e32 vcc_lo, v2, v139
	v_dual_lshlrev_b32 v61, 1, v67 :: v_dual_lshlrev_b32 v141, 1, v65
	v_lshlrev_b32_e32 v144, 1, v64
	ds_store_b16 v60, v180 offset:1024
	ds_store_b16 v61, v184 offset:1024
	;; [unrolled: 1-line block ×5, first 2 shown]
	s_wait_dscnt 0x0
	s_barrier_signal -1
	s_barrier_wait -1
	s_and_saveexec_b32 s16, vcc_lo
	s_cbranch_execnz .LBB2069_837
; %bb.769:                              ;   in Loop: Header=BB2069_690 Depth=2
	s_or_b32 exec_lo, exec_lo, s16
	v_cmp_lt_u32_e64 s15, v68, v139
	s_and_saveexec_b32 s17, s15
	s_cbranch_execnz .LBB2069_838
.LBB2069_770:                           ;   in Loop: Header=BB2069_690 Depth=2
	s_or_b32 exec_lo, exec_lo, s17
	v_cmp_lt_u32_e64 s16, v69, v139
	s_and_saveexec_b32 s18, s16
	s_cbranch_execnz .LBB2069_839
.LBB2069_771:                           ;   in Loop: Header=BB2069_690 Depth=2
	s_or_b32 exec_lo, exec_lo, s18
	v_cmp_lt_u32_e64 s17, v70, v139
	s_and_saveexec_b32 s19, s17
	s_cbranch_execnz .LBB2069_840
.LBB2069_772:                           ;   in Loop: Header=BB2069_690 Depth=2
	s_or_b32 exec_lo, exec_lo, s19
	v_cmp_lt_u32_e64 s18, v71, v139
	s_and_saveexec_b32 s20, s18
	s_cbranch_execnz .LBB2069_841
.LBB2069_773:                           ;   in Loop: Header=BB2069_690 Depth=2
	s_or_b32 exec_lo, exec_lo, s20
	v_cmp_lt_u32_e64 s19, v72, v139
	s_and_saveexec_b32 s21, s19
	s_cbranch_execnz .LBB2069_842
.LBB2069_774:                           ;   in Loop: Header=BB2069_690 Depth=2
	s_or_b32 exec_lo, exec_lo, s21
	v_cmp_lt_u32_e64 s20, v73, v139
	s_and_saveexec_b32 s22, s20
	s_cbranch_execnz .LBB2069_843
.LBB2069_775:                           ;   in Loop: Header=BB2069_690 Depth=2
	s_or_b32 exec_lo, exec_lo, s22
	v_cmp_lt_u32_e64 s21, v74, v139
	s_and_saveexec_b32 s23, s21
	s_cbranch_execnz .LBB2069_844
.LBB2069_776:                           ;   in Loop: Header=BB2069_690 Depth=2
	s_or_b32 exec_lo, exec_lo, s23
	v_cmp_lt_u32_e64 s22, v75, v139
	s_and_saveexec_b32 s24, s22
	s_cbranch_execnz .LBB2069_845
.LBB2069_777:                           ;   in Loop: Header=BB2069_690 Depth=2
	s_or_b32 exec_lo, exec_lo, s24
	v_cmp_lt_u32_e64 s23, v76, v139
	s_and_saveexec_b32 s25, s23
	s_cbranch_execnz .LBB2069_846
.LBB2069_778:                           ;   in Loop: Header=BB2069_690 Depth=2
	s_or_b32 exec_lo, exec_lo, s25
	v_cmp_lt_u32_e64 s24, v77, v139
	s_and_saveexec_b32 s26, s24
	s_cbranch_execnz .LBB2069_847
.LBB2069_779:                           ;   in Loop: Header=BB2069_690 Depth=2
	s_or_b32 exec_lo, exec_lo, s26
	v_cmp_lt_u32_e64 s25, v78, v139
	s_and_saveexec_b32 s27, s25
	s_cbranch_execnz .LBB2069_848
.LBB2069_780:                           ;   in Loop: Header=BB2069_690 Depth=2
	s_or_b32 exec_lo, exec_lo, s27
	v_cmp_lt_u32_e64 s26, v79, v139
	s_and_saveexec_b32 s28, s26
	s_cbranch_execnz .LBB2069_849
.LBB2069_781:                           ;   in Loop: Header=BB2069_690 Depth=2
	s_or_b32 exec_lo, exec_lo, s28
	v_cmp_lt_u32_e64 s27, v80, v139
	s_and_saveexec_b32 s29, s27
	s_cbranch_execnz .LBB2069_850
.LBB2069_782:                           ;   in Loop: Header=BB2069_690 Depth=2
	s_or_b32 exec_lo, exec_lo, s29
	v_cmp_lt_u32_e64 s28, v81, v139
	s_and_saveexec_b32 s30, s28
	s_cbranch_execnz .LBB2069_851
.LBB2069_783:                           ;   in Loop: Header=BB2069_690 Depth=2
	s_or_b32 exec_lo, exec_lo, s30
	v_cmp_lt_u32_e64 s29, v82, v139
	s_and_saveexec_b32 s58, s29
	s_cbranch_execz .LBB2069_785
.LBB2069_784:                           ;   in Loop: Header=BB2069_690 Depth=2
	ds_load_u16 v60, v93 offset:8704
	s_wait_dscnt 0x0
	v_cmp_ne_u16_e64 s30, 0x7fff, v60
	s_delay_alu instid0(VALU_DEP_1) | instskip(SKIP_1) | instid1(VALU_DEP_2)
	v_cndmask_b32_e64 v61, 0xffff8000, v60, s30
	v_cmp_lt_i16_e64 s30, -1, v60
	v_and_b32_e32 v61, 0xffff, v61
	s_delay_alu instid0(VALU_DEP_2) | instskip(NEXT) | instid1(VALU_DEP_1)
	v_cndmask_b32_e64 v140, 0xffff8000, -1, s30
	v_dual_lshrrev_b32 v61, s49, v61 :: v_dual_bitop2_b32 v60, v140, v60 bitop3:0x14
	s_delay_alu instid0(VALU_DEP_1) | instskip(NEXT) | instid1(VALU_DEP_1)
	v_and_b32_e32 v61, s52, v61
	v_lshlrev_b32_e32 v61, 2, v61
	ds_load_b32 v61, v61
	s_wait_dscnt 0x0
	v_add_nc_u32_e32 v61, v61, v82
	global_store_b16 v61, v60, s[38:39] scale_offset
.LBB2069_785:                           ;   in Loop: Header=BB2069_690 Depth=2
	s_wait_xcnt 0x0
	s_or_b32 exec_lo, exec_lo, s58
	v_lshl_add_u64 v[60:61], s[42:43], 3, v[24:25]
	v_cmp_lt_u32_e64 s30, v100, v139
	s_and_saveexec_b32 s42, s30
	s_delay_alu instid0(SALU_CYCLE_1)
	s_xor_b32 s30, exec_lo, s42
	s_cbranch_execnz .LBB2069_852
; %bb.786:                              ;   in Loop: Header=BB2069_690 Depth=2
	s_or_b32 exec_lo, exec_lo, s30
	s_delay_alu instid0(SALU_CYCLE_1)
	s_mov_b32 s42, exec_lo
	v_cmpx_lt_u32_e64 v103, v139
	s_cbranch_execnz .LBB2069_853
.LBB2069_787:                           ;   in Loop: Header=BB2069_690 Depth=2
	s_or_b32 exec_lo, exec_lo, s42
	s_delay_alu instid0(SALU_CYCLE_1)
	s_mov_b32 s42, exec_lo
	v_cmpx_lt_u32_e64 v104, v139
	s_cbranch_execnz .LBB2069_854
.LBB2069_788:                           ;   in Loop: Header=BB2069_690 Depth=2
	s_or_b32 exec_lo, exec_lo, s42
	s_delay_alu instid0(SALU_CYCLE_1)
	s_mov_b32 s42, exec_lo
	v_cmpx_lt_u32_e64 v105, v139
	s_cbranch_execnz .LBB2069_855
.LBB2069_789:                           ;   in Loop: Header=BB2069_690 Depth=2
	s_or_b32 exec_lo, exec_lo, s42
	s_delay_alu instid0(SALU_CYCLE_1)
	s_mov_b32 s42, exec_lo
	v_cmpx_lt_u32_e64 v106, v139
	s_cbranch_execnz .LBB2069_856
.LBB2069_790:                           ;   in Loop: Header=BB2069_690 Depth=2
	s_or_b32 exec_lo, exec_lo, s42
	s_delay_alu instid0(SALU_CYCLE_1)
	s_mov_b32 s42, exec_lo
	v_cmpx_lt_u32_e64 v107, v139
	s_cbranch_execnz .LBB2069_857
.LBB2069_791:                           ;   in Loop: Header=BB2069_690 Depth=2
	s_or_b32 exec_lo, exec_lo, s42
	s_delay_alu instid0(SALU_CYCLE_1)
	s_mov_b32 s42, exec_lo
	v_cmpx_lt_u32_e64 v108, v139
	s_cbranch_execnz .LBB2069_858
.LBB2069_792:                           ;   in Loop: Header=BB2069_690 Depth=2
	s_or_b32 exec_lo, exec_lo, s42
	s_delay_alu instid0(SALU_CYCLE_1)
	s_mov_b32 s42, exec_lo
	v_cmpx_lt_u32_e64 v109, v139
	s_cbranch_execnz .LBB2069_859
.LBB2069_793:                           ;   in Loop: Header=BB2069_690 Depth=2
	s_or_b32 exec_lo, exec_lo, s42
	s_delay_alu instid0(SALU_CYCLE_1)
	s_mov_b32 s42, exec_lo
	v_cmpx_lt_u32_e64 v110, v139
	s_cbranch_execnz .LBB2069_860
.LBB2069_794:                           ;   in Loop: Header=BB2069_690 Depth=2
	s_or_b32 exec_lo, exec_lo, s42
	s_delay_alu instid0(SALU_CYCLE_1)
	s_mov_b32 s42, exec_lo
	v_cmpx_lt_u32_e64 v111, v139
	s_cbranch_execnz .LBB2069_861
.LBB2069_795:                           ;   in Loop: Header=BB2069_690 Depth=2
	s_or_b32 exec_lo, exec_lo, s42
	s_delay_alu instid0(SALU_CYCLE_1)
	s_mov_b32 s42, exec_lo
	v_cmpx_lt_u32_e64 v112, v139
	s_cbranch_execnz .LBB2069_862
.LBB2069_796:                           ;   in Loop: Header=BB2069_690 Depth=2
	s_or_b32 exec_lo, exec_lo, s42
	s_delay_alu instid0(SALU_CYCLE_1)
	s_mov_b32 s42, exec_lo
	v_cmpx_lt_u32_e64 v113, v139
	s_cbranch_execnz .LBB2069_863
.LBB2069_797:                           ;   in Loop: Header=BB2069_690 Depth=2
	s_or_b32 exec_lo, exec_lo, s42
	s_delay_alu instid0(SALU_CYCLE_1)
	s_mov_b32 s42, exec_lo
	v_cmpx_lt_u32_e64 v114, v139
	s_cbranch_execnz .LBB2069_864
.LBB2069_798:                           ;   in Loop: Header=BB2069_690 Depth=2
	s_or_b32 exec_lo, exec_lo, s42
	s_delay_alu instid0(SALU_CYCLE_1)
	s_mov_b32 s42, exec_lo
	v_cmpx_lt_u32_e64 v115, v139
	s_cbranch_execnz .LBB2069_865
.LBB2069_799:                           ;   in Loop: Header=BB2069_690 Depth=2
	s_or_b32 exec_lo, exec_lo, s42
	s_delay_alu instid0(SALU_CYCLE_1)
	s_mov_b32 s42, exec_lo
	v_cmpx_lt_u32_e64 v116, v139
	s_cbranch_execnz .LBB2069_866
.LBB2069_800:                           ;   in Loop: Header=BB2069_690 Depth=2
	s_or_b32 exec_lo, exec_lo, s42
	s_delay_alu instid0(SALU_CYCLE_1)
	s_mov_b32 s42, exec_lo
	v_cmpx_lt_u32_e64 v117, v139
	s_cbranch_execnz .LBB2069_867
.LBB2069_801:                           ;   in Loop: Header=BB2069_690 Depth=2
	s_or_b32 exec_lo, exec_lo, s42
	s_and_saveexec_b32 s42, vcc_lo
	s_cbranch_execnz .LBB2069_868
.LBB2069_802:                           ;   in Loop: Header=BB2069_690 Depth=2
	s_or_b32 exec_lo, exec_lo, s42
	s_and_saveexec_b32 s42, s15
	s_cbranch_execnz .LBB2069_869
.LBB2069_803:                           ;   in Loop: Header=BB2069_690 Depth=2
	s_or_b32 exec_lo, exec_lo, s42
	s_and_saveexec_b32 s42, s16
	s_cbranch_execnz .LBB2069_870
.LBB2069_804:                           ;   in Loop: Header=BB2069_690 Depth=2
	s_or_b32 exec_lo, exec_lo, s42
	s_and_saveexec_b32 s42, s17
	s_cbranch_execnz .LBB2069_871
.LBB2069_805:                           ;   in Loop: Header=BB2069_690 Depth=2
	s_or_b32 exec_lo, exec_lo, s42
	s_and_saveexec_b32 s42, s18
	s_cbranch_execnz .LBB2069_872
.LBB2069_806:                           ;   in Loop: Header=BB2069_690 Depth=2
	s_or_b32 exec_lo, exec_lo, s42
	s_and_saveexec_b32 s42, s19
	s_cbranch_execnz .LBB2069_873
.LBB2069_807:                           ;   in Loop: Header=BB2069_690 Depth=2
	s_or_b32 exec_lo, exec_lo, s42
	s_and_saveexec_b32 s42, s20
	s_cbranch_execnz .LBB2069_874
.LBB2069_808:                           ;   in Loop: Header=BB2069_690 Depth=2
	s_or_b32 exec_lo, exec_lo, s42
	s_and_saveexec_b32 s42, s21
	s_cbranch_execnz .LBB2069_875
.LBB2069_809:                           ;   in Loop: Header=BB2069_690 Depth=2
	s_or_b32 exec_lo, exec_lo, s42
	s_and_saveexec_b32 s42, s22
	s_cbranch_execnz .LBB2069_876
.LBB2069_810:                           ;   in Loop: Header=BB2069_690 Depth=2
	s_or_b32 exec_lo, exec_lo, s42
	s_and_saveexec_b32 s42, s23
	s_cbranch_execnz .LBB2069_877
.LBB2069_811:                           ;   in Loop: Header=BB2069_690 Depth=2
	s_or_b32 exec_lo, exec_lo, s42
	s_and_saveexec_b32 s42, s24
	s_cbranch_execnz .LBB2069_878
.LBB2069_812:                           ;   in Loop: Header=BB2069_690 Depth=2
	s_or_b32 exec_lo, exec_lo, s42
	s_and_saveexec_b32 s42, s25
	s_cbranch_execnz .LBB2069_879
.LBB2069_813:                           ;   in Loop: Header=BB2069_690 Depth=2
	s_or_b32 exec_lo, exec_lo, s42
	s_and_saveexec_b32 s42, s26
	s_cbranch_execnz .LBB2069_880
.LBB2069_814:                           ;   in Loop: Header=BB2069_690 Depth=2
	s_or_b32 exec_lo, exec_lo, s42
	s_and_saveexec_b32 s42, s27
	s_cbranch_execnz .LBB2069_881
.LBB2069_815:                           ;   in Loop: Header=BB2069_690 Depth=2
	s_or_b32 exec_lo, exec_lo, s42
	s_and_saveexec_b32 s42, s28
	s_cbranch_execnz .LBB2069_882
.LBB2069_816:                           ;   in Loop: Header=BB2069_690 Depth=2
	s_or_b32 exec_lo, exec_lo, s42
	s_and_saveexec_b32 s42, s29
	s_cbranch_execz .LBB2069_818
.LBB2069_817:                           ;   in Loop: Header=BB2069_690 Depth=2
	ds_load_u16 v60, v93 offset:8704
	s_wait_dscnt 0x0
	v_cmp_ne_u16_e64 s30, 0x7fff, v60
	s_delay_alu instid0(VALU_DEP_1) | instskip(NEXT) | instid1(VALU_DEP_1)
	v_cndmask_b32_e64 v60, 0xffff8000, v60, s30
	v_and_b32_e32 v60, 0xffff, v60
	s_delay_alu instid0(VALU_DEP_1) | instskip(NEXT) | instid1(VALU_DEP_1)
	v_lshrrev_b32_e32 v60, s49, v60
	v_and_b32_e32 v123, s52, v60
.LBB2069_818:                           ;   in Loop: Header=BB2069_690 Depth=2
	s_or_b32 exec_lo, exec_lo, s42
	v_dual_lshlrev_b32 v60, 3, v163 :: v_dual_lshlrev_b32 v140, 3, v150
	s_wait_loadcnt 0x0
	s_wait_storecnt 0x0
	s_barrier_signal -1
	s_barrier_wait -1
	ds_store_b64 v60, v[58:59] offset:1024
	v_dual_lshlrev_b32 v60, 3, v159 :: v_dual_lshlrev_b32 v141, 3, v149
	v_lshlrev_b32_e32 v61, 3, v155
	v_lshlrev_b32_e32 v139, 3, v151
	ds_store_b64 v60, v[56:57] offset:1024
	ds_store_b64 v61, v[54:55] offset:1024
	;; [unrolled: 1-line block ×5, first 2 shown]
	v_dual_lshlrev_b32 v60, 3, v147 :: v_dual_lshlrev_b32 v141, 3, v142
	v_dual_lshlrev_b32 v61, 3, v146 :: v_dual_lshlrev_b32 v139, 3, v145
	v_lshlrev_b32_e32 v140, 3, v143
	ds_store_b64 v60, v[46:47] offset:1024
	ds_store_b64 v61, v[44:45] offset:1024
	;; [unrolled: 1-line block ×5, first 2 shown]
	v_dual_lshlrev_b32 v60, 3, v63 :: v_dual_lshlrev_b32 v65, 3, v65
	v_dual_lshlrev_b32 v61, 3, v67 :: v_dual_lshlrev_b32 v64, 3, v64
	v_lshlrev_b32_e32 v63, 3, v66
	ds_store_b64 v60, v[36:37] offset:1024
	ds_store_b64 v61, v[34:35] offset:1024
	;; [unrolled: 1-line block ×5, first 2 shown]
	s_wait_dscnt 0x0
	s_barrier_signal -1
	s_barrier_wait -1
	s_and_saveexec_b32 s30, vcc_lo
	s_cbranch_execnz .LBB2069_883
; %bb.819:                              ;   in Loop: Header=BB2069_690 Depth=2
	s_or_b32 exec_lo, exec_lo, s30
	s_and_saveexec_b32 s30, s15
	s_cbranch_execnz .LBB2069_884
.LBB2069_820:                           ;   in Loop: Header=BB2069_690 Depth=2
	s_or_b32 exec_lo, exec_lo, s30
	s_and_saveexec_b32 s15, s16
	s_cbranch_execnz .LBB2069_885
.LBB2069_821:                           ;   in Loop: Header=BB2069_690 Depth=2
	s_or_b32 exec_lo, exec_lo, s15
	s_and_saveexec_b32 s15, s17
	s_cbranch_execnz .LBB2069_886
.LBB2069_822:                           ;   in Loop: Header=BB2069_690 Depth=2
	s_or_b32 exec_lo, exec_lo, s15
	s_and_saveexec_b32 s15, s18
	s_cbranch_execnz .LBB2069_887
.LBB2069_823:                           ;   in Loop: Header=BB2069_690 Depth=2
	s_or_b32 exec_lo, exec_lo, s15
	s_and_saveexec_b32 s15, s19
	s_cbranch_execnz .LBB2069_888
.LBB2069_824:                           ;   in Loop: Header=BB2069_690 Depth=2
	s_or_b32 exec_lo, exec_lo, s15
	s_and_saveexec_b32 s15, s20
	s_cbranch_execnz .LBB2069_889
.LBB2069_825:                           ;   in Loop: Header=BB2069_690 Depth=2
	s_or_b32 exec_lo, exec_lo, s15
	s_and_saveexec_b32 s15, s21
	s_cbranch_execnz .LBB2069_890
.LBB2069_826:                           ;   in Loop: Header=BB2069_690 Depth=2
	s_or_b32 exec_lo, exec_lo, s15
	s_and_saveexec_b32 s15, s22
	s_cbranch_execnz .LBB2069_891
.LBB2069_827:                           ;   in Loop: Header=BB2069_690 Depth=2
	s_or_b32 exec_lo, exec_lo, s15
	s_and_saveexec_b32 s15, s23
	s_cbranch_execnz .LBB2069_892
.LBB2069_828:                           ;   in Loop: Header=BB2069_690 Depth=2
	s_or_b32 exec_lo, exec_lo, s15
	s_and_saveexec_b32 s15, s24
	s_cbranch_execnz .LBB2069_893
.LBB2069_829:                           ;   in Loop: Header=BB2069_690 Depth=2
	s_or_b32 exec_lo, exec_lo, s15
	s_and_saveexec_b32 s15, s25
	s_cbranch_execnz .LBB2069_894
.LBB2069_830:                           ;   in Loop: Header=BB2069_690 Depth=2
	s_or_b32 exec_lo, exec_lo, s15
	s_and_saveexec_b32 s15, s26
	s_cbranch_execnz .LBB2069_895
.LBB2069_831:                           ;   in Loop: Header=BB2069_690 Depth=2
	s_or_b32 exec_lo, exec_lo, s15
	s_and_saveexec_b32 s15, s27
	s_cbranch_execnz .LBB2069_896
.LBB2069_832:                           ;   in Loop: Header=BB2069_690 Depth=2
	s_or_b32 exec_lo, exec_lo, s15
	s_and_saveexec_b32 s15, s28
	s_cbranch_execnz .LBB2069_897
.LBB2069_833:                           ;   in Loop: Header=BB2069_690 Depth=2
	s_or_b32 exec_lo, exec_lo, s15
	s_and_saveexec_b32 s15, s29
	s_cbranch_execz .LBB2069_835
.LBB2069_834:                           ;   in Loop: Header=BB2069_690 Depth=2
	v_dual_lshlrev_b32 v60, 2, v123 :: v_dual_add_nc_u32 v61, v93, v94
	ds_load_b32 v63, v60
	ds_load_b64 v[60:61], v61 offset:31744
	s_wait_dscnt 0x1
	v_add_nc_u32_e32 v63, v63, v82
	s_wait_dscnt 0x0
	global_store_b64 v63, v[60:61], s[44:45] scale_offset
.LBB2069_835:                           ;   in Loop: Header=BB2069_690 Depth=2
	s_wait_xcnt 0x0
	s_or_b32 exec_lo, exec_lo, s15
	s_wait_storecnt 0x0
	s_barrier_signal -1
	s_barrier_wait -1
	s_and_saveexec_b32 s15, s0
	s_cbranch_execz .LBB2069_689
; %bb.836:                              ;   in Loop: Header=BB2069_690 Depth=2
	ds_load_b32 v60, v3
	s_wait_dscnt 0x0
	v_add_nc_u32_e32 v60, v60, v62
	ds_store_b32 v3, v60
	s_branch .LBB2069_689
.LBB2069_837:                           ;   in Loop: Header=BB2069_690 Depth=2
	ds_load_u16 v60, v93 offset:1024
	s_wait_dscnt 0x0
	v_cmp_ne_u16_e64 s15, 0x7fff, v60
	s_delay_alu instid0(VALU_DEP_1) | instskip(SKIP_1) | instid1(VALU_DEP_2)
	v_cndmask_b32_e64 v61, 0xffff8000, v60, s15
	v_cmp_lt_i16_e64 s15, -1, v60
	v_and_b32_e32 v61, 0xffff, v61
	s_delay_alu instid0(VALU_DEP_2) | instskip(NEXT) | instid1(VALU_DEP_1)
	v_cndmask_b32_e64 v140, 0xffff8000, -1, s15
	v_dual_lshrrev_b32 v61, s49, v61 :: v_dual_bitop2_b32 v60, v140, v60 bitop3:0x14
	s_delay_alu instid0(VALU_DEP_1) | instskip(NEXT) | instid1(VALU_DEP_1)
	v_and_b32_e32 v61, s52, v61
	v_lshlrev_b32_e32 v61, 2, v61
	ds_load_b32 v61, v61
	s_wait_dscnt 0x0
	v_add_nc_u32_e32 v61, v61, v2
	global_store_b16 v61, v60, s[38:39] scale_offset
	s_wait_xcnt 0x0
	s_or_b32 exec_lo, exec_lo, s16
	v_cmp_lt_u32_e64 s15, v68, v139
	s_and_saveexec_b32 s17, s15
	s_cbranch_execz .LBB2069_770
.LBB2069_838:                           ;   in Loop: Header=BB2069_690 Depth=2
	ds_load_u16 v60, v93 offset:1536
	s_wait_dscnt 0x0
	v_cmp_ne_u16_e64 s16, 0x7fff, v60
	s_delay_alu instid0(VALU_DEP_1) | instskip(SKIP_1) | instid1(VALU_DEP_2)
	v_cndmask_b32_e64 v61, 0xffff8000, v60, s16
	v_cmp_lt_i16_e64 s16, -1, v60
	v_and_b32_e32 v61, 0xffff, v61
	s_delay_alu instid0(VALU_DEP_2) | instskip(NEXT) | instid1(VALU_DEP_1)
	v_cndmask_b32_e64 v140, 0xffff8000, -1, s16
	v_dual_lshrrev_b32 v61, s49, v61 :: v_dual_bitop2_b32 v60, v140, v60 bitop3:0x14
	s_delay_alu instid0(VALU_DEP_1) | instskip(NEXT) | instid1(VALU_DEP_1)
	v_and_b32_e32 v61, s52, v61
	v_lshlrev_b32_e32 v61, 2, v61
	ds_load_b32 v61, v61
	s_wait_dscnt 0x0
	v_add_nc_u32_e32 v61, v61, v68
	global_store_b16 v61, v60, s[38:39] scale_offset
	s_wait_xcnt 0x0
	s_or_b32 exec_lo, exec_lo, s17
	v_cmp_lt_u32_e64 s16, v69, v139
	s_and_saveexec_b32 s18, s16
	s_cbranch_execz .LBB2069_771
.LBB2069_839:                           ;   in Loop: Header=BB2069_690 Depth=2
	ds_load_u16 v60, v93 offset:2048
	s_wait_dscnt 0x0
	v_cmp_ne_u16_e64 s17, 0x7fff, v60
	s_delay_alu instid0(VALU_DEP_1) | instskip(SKIP_1) | instid1(VALU_DEP_2)
	v_cndmask_b32_e64 v61, 0xffff8000, v60, s17
	v_cmp_lt_i16_e64 s17, -1, v60
	v_and_b32_e32 v61, 0xffff, v61
	s_delay_alu instid0(VALU_DEP_2) | instskip(NEXT) | instid1(VALU_DEP_1)
	v_cndmask_b32_e64 v140, 0xffff8000, -1, s17
	v_dual_lshrrev_b32 v61, s49, v61 :: v_dual_bitop2_b32 v60, v140, v60 bitop3:0x14
	s_delay_alu instid0(VALU_DEP_1) | instskip(NEXT) | instid1(VALU_DEP_1)
	v_and_b32_e32 v61, s52, v61
	v_lshlrev_b32_e32 v61, 2, v61
	ds_load_b32 v61, v61
	s_wait_dscnt 0x0
	v_add_nc_u32_e32 v61, v61, v69
	global_store_b16 v61, v60, s[38:39] scale_offset
	s_wait_xcnt 0x0
	s_or_b32 exec_lo, exec_lo, s18
	v_cmp_lt_u32_e64 s17, v70, v139
	s_and_saveexec_b32 s19, s17
	s_cbranch_execz .LBB2069_772
.LBB2069_840:                           ;   in Loop: Header=BB2069_690 Depth=2
	ds_load_u16 v60, v93 offset:2560
	s_wait_dscnt 0x0
	v_cmp_ne_u16_e64 s18, 0x7fff, v60
	s_delay_alu instid0(VALU_DEP_1) | instskip(SKIP_1) | instid1(VALU_DEP_2)
	v_cndmask_b32_e64 v61, 0xffff8000, v60, s18
	v_cmp_lt_i16_e64 s18, -1, v60
	v_and_b32_e32 v61, 0xffff, v61
	s_delay_alu instid0(VALU_DEP_2) | instskip(NEXT) | instid1(VALU_DEP_1)
	v_cndmask_b32_e64 v140, 0xffff8000, -1, s18
	v_dual_lshrrev_b32 v61, s49, v61 :: v_dual_bitop2_b32 v60, v140, v60 bitop3:0x14
	s_delay_alu instid0(VALU_DEP_1) | instskip(NEXT) | instid1(VALU_DEP_1)
	v_and_b32_e32 v61, s52, v61
	v_lshlrev_b32_e32 v61, 2, v61
	ds_load_b32 v61, v61
	s_wait_dscnt 0x0
	v_add_nc_u32_e32 v61, v61, v70
	global_store_b16 v61, v60, s[38:39] scale_offset
	s_wait_xcnt 0x0
	s_or_b32 exec_lo, exec_lo, s19
	v_cmp_lt_u32_e64 s18, v71, v139
	s_and_saveexec_b32 s20, s18
	s_cbranch_execz .LBB2069_773
.LBB2069_841:                           ;   in Loop: Header=BB2069_690 Depth=2
	ds_load_u16 v60, v93 offset:3072
	s_wait_dscnt 0x0
	v_cmp_ne_u16_e64 s19, 0x7fff, v60
	s_delay_alu instid0(VALU_DEP_1) | instskip(SKIP_1) | instid1(VALU_DEP_2)
	v_cndmask_b32_e64 v61, 0xffff8000, v60, s19
	v_cmp_lt_i16_e64 s19, -1, v60
	v_and_b32_e32 v61, 0xffff, v61
	s_delay_alu instid0(VALU_DEP_2) | instskip(NEXT) | instid1(VALU_DEP_1)
	v_cndmask_b32_e64 v140, 0xffff8000, -1, s19
	v_dual_lshrrev_b32 v61, s49, v61 :: v_dual_bitop2_b32 v60, v140, v60 bitop3:0x14
	s_delay_alu instid0(VALU_DEP_1) | instskip(NEXT) | instid1(VALU_DEP_1)
	v_and_b32_e32 v61, s52, v61
	v_lshlrev_b32_e32 v61, 2, v61
	ds_load_b32 v61, v61
	s_wait_dscnt 0x0
	v_add_nc_u32_e32 v61, v61, v71
	global_store_b16 v61, v60, s[38:39] scale_offset
	s_wait_xcnt 0x0
	s_or_b32 exec_lo, exec_lo, s20
	v_cmp_lt_u32_e64 s19, v72, v139
	s_and_saveexec_b32 s21, s19
	s_cbranch_execz .LBB2069_774
.LBB2069_842:                           ;   in Loop: Header=BB2069_690 Depth=2
	ds_load_u16 v60, v93 offset:3584
	s_wait_dscnt 0x0
	v_cmp_ne_u16_e64 s20, 0x7fff, v60
	s_delay_alu instid0(VALU_DEP_1) | instskip(SKIP_1) | instid1(VALU_DEP_2)
	v_cndmask_b32_e64 v61, 0xffff8000, v60, s20
	v_cmp_lt_i16_e64 s20, -1, v60
	v_and_b32_e32 v61, 0xffff, v61
	s_delay_alu instid0(VALU_DEP_2) | instskip(NEXT) | instid1(VALU_DEP_1)
	v_cndmask_b32_e64 v140, 0xffff8000, -1, s20
	v_dual_lshrrev_b32 v61, s49, v61 :: v_dual_bitop2_b32 v60, v140, v60 bitop3:0x14
	s_delay_alu instid0(VALU_DEP_1) | instskip(NEXT) | instid1(VALU_DEP_1)
	v_and_b32_e32 v61, s52, v61
	v_lshlrev_b32_e32 v61, 2, v61
	ds_load_b32 v61, v61
	s_wait_dscnt 0x0
	v_add_nc_u32_e32 v61, v61, v72
	global_store_b16 v61, v60, s[38:39] scale_offset
	s_wait_xcnt 0x0
	s_or_b32 exec_lo, exec_lo, s21
	v_cmp_lt_u32_e64 s20, v73, v139
	s_and_saveexec_b32 s22, s20
	s_cbranch_execz .LBB2069_775
.LBB2069_843:                           ;   in Loop: Header=BB2069_690 Depth=2
	ds_load_u16 v60, v93 offset:4096
	s_wait_dscnt 0x0
	v_cmp_ne_u16_e64 s21, 0x7fff, v60
	s_delay_alu instid0(VALU_DEP_1) | instskip(SKIP_1) | instid1(VALU_DEP_2)
	v_cndmask_b32_e64 v61, 0xffff8000, v60, s21
	v_cmp_lt_i16_e64 s21, -1, v60
	v_and_b32_e32 v61, 0xffff, v61
	s_delay_alu instid0(VALU_DEP_2) | instskip(NEXT) | instid1(VALU_DEP_1)
	v_cndmask_b32_e64 v140, 0xffff8000, -1, s21
	v_dual_lshrrev_b32 v61, s49, v61 :: v_dual_bitop2_b32 v60, v140, v60 bitop3:0x14
	s_delay_alu instid0(VALU_DEP_1) | instskip(NEXT) | instid1(VALU_DEP_1)
	v_and_b32_e32 v61, s52, v61
	v_lshlrev_b32_e32 v61, 2, v61
	ds_load_b32 v61, v61
	s_wait_dscnt 0x0
	v_add_nc_u32_e32 v61, v61, v73
	global_store_b16 v61, v60, s[38:39] scale_offset
	s_wait_xcnt 0x0
	s_or_b32 exec_lo, exec_lo, s22
	v_cmp_lt_u32_e64 s21, v74, v139
	s_and_saveexec_b32 s23, s21
	s_cbranch_execz .LBB2069_776
.LBB2069_844:                           ;   in Loop: Header=BB2069_690 Depth=2
	ds_load_u16 v60, v93 offset:4608
	s_wait_dscnt 0x0
	v_cmp_ne_u16_e64 s22, 0x7fff, v60
	s_delay_alu instid0(VALU_DEP_1) | instskip(SKIP_1) | instid1(VALU_DEP_2)
	v_cndmask_b32_e64 v61, 0xffff8000, v60, s22
	v_cmp_lt_i16_e64 s22, -1, v60
	v_and_b32_e32 v61, 0xffff, v61
	s_delay_alu instid0(VALU_DEP_2) | instskip(NEXT) | instid1(VALU_DEP_1)
	v_cndmask_b32_e64 v140, 0xffff8000, -1, s22
	v_dual_lshrrev_b32 v61, s49, v61 :: v_dual_bitop2_b32 v60, v140, v60 bitop3:0x14
	s_delay_alu instid0(VALU_DEP_1) | instskip(NEXT) | instid1(VALU_DEP_1)
	v_and_b32_e32 v61, s52, v61
	v_lshlrev_b32_e32 v61, 2, v61
	ds_load_b32 v61, v61
	s_wait_dscnt 0x0
	v_add_nc_u32_e32 v61, v61, v74
	global_store_b16 v61, v60, s[38:39] scale_offset
	s_wait_xcnt 0x0
	s_or_b32 exec_lo, exec_lo, s23
	v_cmp_lt_u32_e64 s22, v75, v139
	s_and_saveexec_b32 s24, s22
	s_cbranch_execz .LBB2069_777
.LBB2069_845:                           ;   in Loop: Header=BB2069_690 Depth=2
	ds_load_u16 v60, v93 offset:5120
	s_wait_dscnt 0x0
	v_cmp_ne_u16_e64 s23, 0x7fff, v60
	s_delay_alu instid0(VALU_DEP_1) | instskip(SKIP_1) | instid1(VALU_DEP_2)
	v_cndmask_b32_e64 v61, 0xffff8000, v60, s23
	v_cmp_lt_i16_e64 s23, -1, v60
	v_and_b32_e32 v61, 0xffff, v61
	s_delay_alu instid0(VALU_DEP_2) | instskip(NEXT) | instid1(VALU_DEP_1)
	v_cndmask_b32_e64 v140, 0xffff8000, -1, s23
	v_dual_lshrrev_b32 v61, s49, v61 :: v_dual_bitop2_b32 v60, v140, v60 bitop3:0x14
	s_delay_alu instid0(VALU_DEP_1) | instskip(NEXT) | instid1(VALU_DEP_1)
	v_and_b32_e32 v61, s52, v61
	v_lshlrev_b32_e32 v61, 2, v61
	ds_load_b32 v61, v61
	s_wait_dscnt 0x0
	v_add_nc_u32_e32 v61, v61, v75
	global_store_b16 v61, v60, s[38:39] scale_offset
	s_wait_xcnt 0x0
	s_or_b32 exec_lo, exec_lo, s24
	v_cmp_lt_u32_e64 s23, v76, v139
	s_and_saveexec_b32 s25, s23
	s_cbranch_execz .LBB2069_778
.LBB2069_846:                           ;   in Loop: Header=BB2069_690 Depth=2
	ds_load_u16 v60, v93 offset:5632
	s_wait_dscnt 0x0
	v_cmp_ne_u16_e64 s24, 0x7fff, v60
	s_delay_alu instid0(VALU_DEP_1) | instskip(SKIP_1) | instid1(VALU_DEP_2)
	v_cndmask_b32_e64 v61, 0xffff8000, v60, s24
	v_cmp_lt_i16_e64 s24, -1, v60
	v_and_b32_e32 v61, 0xffff, v61
	s_delay_alu instid0(VALU_DEP_2) | instskip(NEXT) | instid1(VALU_DEP_1)
	v_cndmask_b32_e64 v140, 0xffff8000, -1, s24
	v_dual_lshrrev_b32 v61, s49, v61 :: v_dual_bitop2_b32 v60, v140, v60 bitop3:0x14
	s_delay_alu instid0(VALU_DEP_1) | instskip(NEXT) | instid1(VALU_DEP_1)
	v_and_b32_e32 v61, s52, v61
	v_lshlrev_b32_e32 v61, 2, v61
	ds_load_b32 v61, v61
	s_wait_dscnt 0x0
	v_add_nc_u32_e32 v61, v61, v76
	global_store_b16 v61, v60, s[38:39] scale_offset
	s_wait_xcnt 0x0
	s_or_b32 exec_lo, exec_lo, s25
	v_cmp_lt_u32_e64 s24, v77, v139
	s_and_saveexec_b32 s26, s24
	s_cbranch_execz .LBB2069_779
.LBB2069_847:                           ;   in Loop: Header=BB2069_690 Depth=2
	ds_load_u16 v60, v93 offset:6144
	s_wait_dscnt 0x0
	v_cmp_ne_u16_e64 s25, 0x7fff, v60
	s_delay_alu instid0(VALU_DEP_1) | instskip(SKIP_1) | instid1(VALU_DEP_2)
	v_cndmask_b32_e64 v61, 0xffff8000, v60, s25
	v_cmp_lt_i16_e64 s25, -1, v60
	v_and_b32_e32 v61, 0xffff, v61
	s_delay_alu instid0(VALU_DEP_2) | instskip(NEXT) | instid1(VALU_DEP_1)
	v_cndmask_b32_e64 v140, 0xffff8000, -1, s25
	v_dual_lshrrev_b32 v61, s49, v61 :: v_dual_bitop2_b32 v60, v140, v60 bitop3:0x14
	s_delay_alu instid0(VALU_DEP_1) | instskip(NEXT) | instid1(VALU_DEP_1)
	v_and_b32_e32 v61, s52, v61
	v_lshlrev_b32_e32 v61, 2, v61
	ds_load_b32 v61, v61
	s_wait_dscnt 0x0
	v_add_nc_u32_e32 v61, v61, v77
	global_store_b16 v61, v60, s[38:39] scale_offset
	s_wait_xcnt 0x0
	s_or_b32 exec_lo, exec_lo, s26
	v_cmp_lt_u32_e64 s25, v78, v139
	s_and_saveexec_b32 s27, s25
	s_cbranch_execz .LBB2069_780
.LBB2069_848:                           ;   in Loop: Header=BB2069_690 Depth=2
	ds_load_u16 v60, v93 offset:6656
	s_wait_dscnt 0x0
	v_cmp_ne_u16_e64 s26, 0x7fff, v60
	s_delay_alu instid0(VALU_DEP_1) | instskip(SKIP_1) | instid1(VALU_DEP_2)
	v_cndmask_b32_e64 v61, 0xffff8000, v60, s26
	v_cmp_lt_i16_e64 s26, -1, v60
	v_and_b32_e32 v61, 0xffff, v61
	s_delay_alu instid0(VALU_DEP_2) | instskip(NEXT) | instid1(VALU_DEP_1)
	v_cndmask_b32_e64 v140, 0xffff8000, -1, s26
	v_dual_lshrrev_b32 v61, s49, v61 :: v_dual_bitop2_b32 v60, v140, v60 bitop3:0x14
	s_delay_alu instid0(VALU_DEP_1) | instskip(NEXT) | instid1(VALU_DEP_1)
	v_and_b32_e32 v61, s52, v61
	v_lshlrev_b32_e32 v61, 2, v61
	ds_load_b32 v61, v61
	s_wait_dscnt 0x0
	v_add_nc_u32_e32 v61, v61, v78
	global_store_b16 v61, v60, s[38:39] scale_offset
	s_wait_xcnt 0x0
	s_or_b32 exec_lo, exec_lo, s27
	v_cmp_lt_u32_e64 s26, v79, v139
	s_and_saveexec_b32 s28, s26
	s_cbranch_execz .LBB2069_781
.LBB2069_849:                           ;   in Loop: Header=BB2069_690 Depth=2
	ds_load_u16 v60, v93 offset:7168
	s_wait_dscnt 0x0
	v_cmp_ne_u16_e64 s27, 0x7fff, v60
	s_delay_alu instid0(VALU_DEP_1) | instskip(SKIP_1) | instid1(VALU_DEP_2)
	v_cndmask_b32_e64 v61, 0xffff8000, v60, s27
	v_cmp_lt_i16_e64 s27, -1, v60
	v_and_b32_e32 v61, 0xffff, v61
	s_delay_alu instid0(VALU_DEP_2) | instskip(NEXT) | instid1(VALU_DEP_1)
	v_cndmask_b32_e64 v140, 0xffff8000, -1, s27
	v_dual_lshrrev_b32 v61, s49, v61 :: v_dual_bitop2_b32 v60, v140, v60 bitop3:0x14
	s_delay_alu instid0(VALU_DEP_1) | instskip(NEXT) | instid1(VALU_DEP_1)
	v_and_b32_e32 v61, s52, v61
	v_lshlrev_b32_e32 v61, 2, v61
	ds_load_b32 v61, v61
	s_wait_dscnt 0x0
	v_add_nc_u32_e32 v61, v61, v79
	global_store_b16 v61, v60, s[38:39] scale_offset
	s_wait_xcnt 0x0
	s_or_b32 exec_lo, exec_lo, s28
	v_cmp_lt_u32_e64 s27, v80, v139
	s_and_saveexec_b32 s29, s27
	s_cbranch_execz .LBB2069_782
.LBB2069_850:                           ;   in Loop: Header=BB2069_690 Depth=2
	ds_load_u16 v60, v93 offset:7680
	s_wait_dscnt 0x0
	v_cmp_ne_u16_e64 s28, 0x7fff, v60
	s_delay_alu instid0(VALU_DEP_1) | instskip(SKIP_1) | instid1(VALU_DEP_2)
	v_cndmask_b32_e64 v61, 0xffff8000, v60, s28
	v_cmp_lt_i16_e64 s28, -1, v60
	v_and_b32_e32 v61, 0xffff, v61
	s_delay_alu instid0(VALU_DEP_2) | instskip(NEXT) | instid1(VALU_DEP_1)
	v_cndmask_b32_e64 v140, 0xffff8000, -1, s28
	v_dual_lshrrev_b32 v61, s49, v61 :: v_dual_bitop2_b32 v60, v140, v60 bitop3:0x14
	s_delay_alu instid0(VALU_DEP_1) | instskip(NEXT) | instid1(VALU_DEP_1)
	v_and_b32_e32 v61, s52, v61
	v_lshlrev_b32_e32 v61, 2, v61
	ds_load_b32 v61, v61
	s_wait_dscnt 0x0
	v_add_nc_u32_e32 v61, v61, v80
	global_store_b16 v61, v60, s[38:39] scale_offset
	s_wait_xcnt 0x0
	s_or_b32 exec_lo, exec_lo, s29
	v_cmp_lt_u32_e64 s28, v81, v139
	s_and_saveexec_b32 s30, s28
	s_cbranch_execz .LBB2069_783
.LBB2069_851:                           ;   in Loop: Header=BB2069_690 Depth=2
	ds_load_u16 v60, v93 offset:8192
	s_wait_dscnt 0x0
	v_cmp_ne_u16_e64 s29, 0x7fff, v60
	s_delay_alu instid0(VALU_DEP_1) | instskip(SKIP_1) | instid1(VALU_DEP_2)
	v_cndmask_b32_e64 v61, 0xffff8000, v60, s29
	v_cmp_lt_i16_e64 s29, -1, v60
	v_and_b32_e32 v61, 0xffff, v61
	s_delay_alu instid0(VALU_DEP_2) | instskip(NEXT) | instid1(VALU_DEP_1)
	v_cndmask_b32_e64 v140, 0xffff8000, -1, s29
	v_dual_lshrrev_b32 v61, s49, v61 :: v_dual_bitop2_b32 v60, v140, v60 bitop3:0x14
	s_delay_alu instid0(VALU_DEP_1) | instskip(NEXT) | instid1(VALU_DEP_1)
	v_and_b32_e32 v61, s52, v61
	v_lshlrev_b32_e32 v61, 2, v61
	ds_load_b32 v61, v61
	s_wait_dscnt 0x0
	v_add_nc_u32_e32 v61, v61, v81
	global_store_b16 v61, v60, s[38:39] scale_offset
	s_wait_xcnt 0x0
	s_or_b32 exec_lo, exec_lo, s30
	v_cmp_lt_u32_e64 s29, v82, v139
	s_and_saveexec_b32 s58, s29
	s_cbranch_execnz .LBB2069_784
	s_branch .LBB2069_785
.LBB2069_852:                           ;   in Loop: Header=BB2069_690 Depth=2
	global_load_b64 v[58:59], v[60:61], off
	s_wait_xcnt 0x0
	s_or_b32 exec_lo, exec_lo, s30
	s_delay_alu instid0(SALU_CYCLE_1)
	s_mov_b32 s42, exec_lo
	v_cmpx_lt_u32_e64 v103, v139
	s_cbranch_execz .LBB2069_787
.LBB2069_853:                           ;   in Loop: Header=BB2069_690 Depth=2
	global_load_b64 v[56:57], v[60:61], off offset:256
	s_wait_xcnt 0x0
	s_or_b32 exec_lo, exec_lo, s42
	s_delay_alu instid0(SALU_CYCLE_1)
	s_mov_b32 s42, exec_lo
	v_cmpx_lt_u32_e64 v104, v139
	s_cbranch_execz .LBB2069_788
.LBB2069_854:                           ;   in Loop: Header=BB2069_690 Depth=2
	global_load_b64 v[54:55], v[60:61], off offset:512
	s_wait_xcnt 0x0
	s_or_b32 exec_lo, exec_lo, s42
	s_delay_alu instid0(SALU_CYCLE_1)
	s_mov_b32 s42, exec_lo
	v_cmpx_lt_u32_e64 v105, v139
	s_cbranch_execz .LBB2069_789
.LBB2069_855:                           ;   in Loop: Header=BB2069_690 Depth=2
	global_load_b64 v[52:53], v[60:61], off offset:768
	s_wait_xcnt 0x0
	s_or_b32 exec_lo, exec_lo, s42
	s_delay_alu instid0(SALU_CYCLE_1)
	s_mov_b32 s42, exec_lo
	v_cmpx_lt_u32_e64 v106, v139
	s_cbranch_execz .LBB2069_790
.LBB2069_856:                           ;   in Loop: Header=BB2069_690 Depth=2
	global_load_b64 v[50:51], v[60:61], off offset:1024
	s_wait_xcnt 0x0
	s_or_b32 exec_lo, exec_lo, s42
	s_delay_alu instid0(SALU_CYCLE_1)
	s_mov_b32 s42, exec_lo
	v_cmpx_lt_u32_e64 v107, v139
	s_cbranch_execz .LBB2069_791
.LBB2069_857:                           ;   in Loop: Header=BB2069_690 Depth=2
	global_load_b64 v[48:49], v[60:61], off offset:1280
	s_wait_xcnt 0x0
	s_or_b32 exec_lo, exec_lo, s42
	s_delay_alu instid0(SALU_CYCLE_1)
	s_mov_b32 s42, exec_lo
	v_cmpx_lt_u32_e64 v108, v139
	s_cbranch_execz .LBB2069_792
.LBB2069_858:                           ;   in Loop: Header=BB2069_690 Depth=2
	global_load_b64 v[46:47], v[60:61], off offset:1536
	s_wait_xcnt 0x0
	s_or_b32 exec_lo, exec_lo, s42
	s_delay_alu instid0(SALU_CYCLE_1)
	s_mov_b32 s42, exec_lo
	v_cmpx_lt_u32_e64 v109, v139
	s_cbranch_execz .LBB2069_793
.LBB2069_859:                           ;   in Loop: Header=BB2069_690 Depth=2
	global_load_b64 v[44:45], v[60:61], off offset:1792
	s_wait_xcnt 0x0
	s_or_b32 exec_lo, exec_lo, s42
	s_delay_alu instid0(SALU_CYCLE_1)
	s_mov_b32 s42, exec_lo
	v_cmpx_lt_u32_e64 v110, v139
	s_cbranch_execz .LBB2069_794
.LBB2069_860:                           ;   in Loop: Header=BB2069_690 Depth=2
	global_load_b64 v[42:43], v[60:61], off offset:2048
	s_wait_xcnt 0x0
	s_or_b32 exec_lo, exec_lo, s42
	s_delay_alu instid0(SALU_CYCLE_1)
	s_mov_b32 s42, exec_lo
	v_cmpx_lt_u32_e64 v111, v139
	s_cbranch_execz .LBB2069_795
.LBB2069_861:                           ;   in Loop: Header=BB2069_690 Depth=2
	global_load_b64 v[40:41], v[60:61], off offset:2304
	s_wait_xcnt 0x0
	s_or_b32 exec_lo, exec_lo, s42
	s_delay_alu instid0(SALU_CYCLE_1)
	s_mov_b32 s42, exec_lo
	v_cmpx_lt_u32_e64 v112, v139
	s_cbranch_execz .LBB2069_796
.LBB2069_862:                           ;   in Loop: Header=BB2069_690 Depth=2
	global_load_b64 v[38:39], v[60:61], off offset:2560
	s_wait_xcnt 0x0
	s_or_b32 exec_lo, exec_lo, s42
	s_delay_alu instid0(SALU_CYCLE_1)
	s_mov_b32 s42, exec_lo
	v_cmpx_lt_u32_e64 v113, v139
	s_cbranch_execz .LBB2069_797
.LBB2069_863:                           ;   in Loop: Header=BB2069_690 Depth=2
	global_load_b64 v[36:37], v[60:61], off offset:2816
	s_wait_xcnt 0x0
	s_or_b32 exec_lo, exec_lo, s42
	s_delay_alu instid0(SALU_CYCLE_1)
	s_mov_b32 s42, exec_lo
	v_cmpx_lt_u32_e64 v114, v139
	s_cbranch_execz .LBB2069_798
.LBB2069_864:                           ;   in Loop: Header=BB2069_690 Depth=2
	global_load_b64 v[34:35], v[60:61], off offset:3072
	s_wait_xcnt 0x0
	s_or_b32 exec_lo, exec_lo, s42
	s_delay_alu instid0(SALU_CYCLE_1)
	s_mov_b32 s42, exec_lo
	v_cmpx_lt_u32_e64 v115, v139
	s_cbranch_execz .LBB2069_799
.LBB2069_865:                           ;   in Loop: Header=BB2069_690 Depth=2
	global_load_b64 v[32:33], v[60:61], off offset:3328
	s_wait_xcnt 0x0
	s_or_b32 exec_lo, exec_lo, s42
	s_delay_alu instid0(SALU_CYCLE_1)
	s_mov_b32 s42, exec_lo
	v_cmpx_lt_u32_e64 v116, v139
	s_cbranch_execz .LBB2069_800
.LBB2069_866:                           ;   in Loop: Header=BB2069_690 Depth=2
	global_load_b64 v[30:31], v[60:61], off offset:3584
	s_wait_xcnt 0x0
	s_or_b32 exec_lo, exec_lo, s42
	s_delay_alu instid0(SALU_CYCLE_1)
	s_mov_b32 s42, exec_lo
	v_cmpx_lt_u32_e64 v117, v139
	s_cbranch_execz .LBB2069_801
.LBB2069_867:                           ;   in Loop: Header=BB2069_690 Depth=2
	global_load_b64 v[28:29], v[60:61], off offset:3840
	s_wait_xcnt 0x0
	s_or_b32 exec_lo, exec_lo, s42
	s_and_saveexec_b32 s42, vcc_lo
	s_cbranch_execz .LBB2069_802
.LBB2069_868:                           ;   in Loop: Header=BB2069_690 Depth=2
	ds_load_u16 v60, v93 offset:1024
	s_wait_dscnt 0x0
	v_cmp_ne_u16_e64 s30, 0x7fff, v60
	s_delay_alu instid0(VALU_DEP_1) | instskip(NEXT) | instid1(VALU_DEP_1)
	v_cndmask_b32_e64 v60, 0xffff8000, v60, s30
	v_and_b32_e32 v60, 0xffff, v60
	s_delay_alu instid0(VALU_DEP_1) | instskip(NEXT) | instid1(VALU_DEP_1)
	v_lshrrev_b32_e32 v60, s49, v60
	v_and_b32_e32 v138, s52, v60
	s_or_b32 exec_lo, exec_lo, s42
	s_and_saveexec_b32 s42, s15
	s_cbranch_execz .LBB2069_803
.LBB2069_869:                           ;   in Loop: Header=BB2069_690 Depth=2
	ds_load_u16 v60, v93 offset:1536
	s_wait_dscnt 0x0
	v_cmp_ne_u16_e64 s30, 0x7fff, v60
	s_delay_alu instid0(VALU_DEP_1) | instskip(NEXT) | instid1(VALU_DEP_1)
	v_cndmask_b32_e64 v60, 0xffff8000, v60, s30
	v_and_b32_e32 v60, 0xffff, v60
	s_delay_alu instid0(VALU_DEP_1) | instskip(NEXT) | instid1(VALU_DEP_1)
	v_lshrrev_b32_e32 v60, s49, v60
	v_and_b32_e32 v137, s52, v60
	s_or_b32 exec_lo, exec_lo, s42
	s_and_saveexec_b32 s42, s16
	s_cbranch_execz .LBB2069_804
.LBB2069_870:                           ;   in Loop: Header=BB2069_690 Depth=2
	ds_load_u16 v60, v93 offset:2048
	s_wait_dscnt 0x0
	v_cmp_ne_u16_e64 s30, 0x7fff, v60
	s_delay_alu instid0(VALU_DEP_1) | instskip(NEXT) | instid1(VALU_DEP_1)
	v_cndmask_b32_e64 v60, 0xffff8000, v60, s30
	v_and_b32_e32 v60, 0xffff, v60
	s_delay_alu instid0(VALU_DEP_1) | instskip(NEXT) | instid1(VALU_DEP_1)
	v_lshrrev_b32_e32 v60, s49, v60
	v_and_b32_e32 v136, s52, v60
	s_or_b32 exec_lo, exec_lo, s42
	s_and_saveexec_b32 s42, s17
	s_cbranch_execz .LBB2069_805
.LBB2069_871:                           ;   in Loop: Header=BB2069_690 Depth=2
	ds_load_u16 v60, v93 offset:2560
	s_wait_dscnt 0x0
	v_cmp_ne_u16_e64 s30, 0x7fff, v60
	s_delay_alu instid0(VALU_DEP_1) | instskip(NEXT) | instid1(VALU_DEP_1)
	v_cndmask_b32_e64 v60, 0xffff8000, v60, s30
	v_and_b32_e32 v60, 0xffff, v60
	s_delay_alu instid0(VALU_DEP_1) | instskip(NEXT) | instid1(VALU_DEP_1)
	v_lshrrev_b32_e32 v60, s49, v60
	v_and_b32_e32 v135, s52, v60
	s_or_b32 exec_lo, exec_lo, s42
	s_and_saveexec_b32 s42, s18
	s_cbranch_execz .LBB2069_806
.LBB2069_872:                           ;   in Loop: Header=BB2069_690 Depth=2
	ds_load_u16 v60, v93 offset:3072
	s_wait_dscnt 0x0
	v_cmp_ne_u16_e64 s30, 0x7fff, v60
	s_delay_alu instid0(VALU_DEP_1) | instskip(NEXT) | instid1(VALU_DEP_1)
	v_cndmask_b32_e64 v60, 0xffff8000, v60, s30
	v_and_b32_e32 v60, 0xffff, v60
	s_delay_alu instid0(VALU_DEP_1) | instskip(NEXT) | instid1(VALU_DEP_1)
	v_lshrrev_b32_e32 v60, s49, v60
	v_and_b32_e32 v134, s52, v60
	s_or_b32 exec_lo, exec_lo, s42
	s_and_saveexec_b32 s42, s19
	s_cbranch_execz .LBB2069_807
.LBB2069_873:                           ;   in Loop: Header=BB2069_690 Depth=2
	ds_load_u16 v60, v93 offset:3584
	s_wait_dscnt 0x0
	v_cmp_ne_u16_e64 s30, 0x7fff, v60
	s_delay_alu instid0(VALU_DEP_1) | instskip(NEXT) | instid1(VALU_DEP_1)
	v_cndmask_b32_e64 v60, 0xffff8000, v60, s30
	v_and_b32_e32 v60, 0xffff, v60
	s_delay_alu instid0(VALU_DEP_1) | instskip(NEXT) | instid1(VALU_DEP_1)
	v_lshrrev_b32_e32 v60, s49, v60
	v_and_b32_e32 v133, s52, v60
	s_or_b32 exec_lo, exec_lo, s42
	s_and_saveexec_b32 s42, s20
	s_cbranch_execz .LBB2069_808
.LBB2069_874:                           ;   in Loop: Header=BB2069_690 Depth=2
	ds_load_u16 v60, v93 offset:4096
	s_wait_dscnt 0x0
	v_cmp_ne_u16_e64 s30, 0x7fff, v60
	s_delay_alu instid0(VALU_DEP_1) | instskip(NEXT) | instid1(VALU_DEP_1)
	v_cndmask_b32_e64 v60, 0xffff8000, v60, s30
	v_and_b32_e32 v60, 0xffff, v60
	s_delay_alu instid0(VALU_DEP_1) | instskip(NEXT) | instid1(VALU_DEP_1)
	v_lshrrev_b32_e32 v60, s49, v60
	v_and_b32_e32 v132, s52, v60
	s_or_b32 exec_lo, exec_lo, s42
	s_and_saveexec_b32 s42, s21
	s_cbranch_execz .LBB2069_809
.LBB2069_875:                           ;   in Loop: Header=BB2069_690 Depth=2
	ds_load_u16 v60, v93 offset:4608
	s_wait_dscnt 0x0
	v_cmp_ne_u16_e64 s30, 0x7fff, v60
	s_delay_alu instid0(VALU_DEP_1) | instskip(NEXT) | instid1(VALU_DEP_1)
	v_cndmask_b32_e64 v60, 0xffff8000, v60, s30
	v_and_b32_e32 v60, 0xffff, v60
	s_delay_alu instid0(VALU_DEP_1) | instskip(NEXT) | instid1(VALU_DEP_1)
	v_lshrrev_b32_e32 v60, s49, v60
	v_and_b32_e32 v131, s52, v60
	s_or_b32 exec_lo, exec_lo, s42
	s_and_saveexec_b32 s42, s22
	s_cbranch_execz .LBB2069_810
.LBB2069_876:                           ;   in Loop: Header=BB2069_690 Depth=2
	ds_load_u16 v60, v93 offset:5120
	s_wait_dscnt 0x0
	v_cmp_ne_u16_e64 s30, 0x7fff, v60
	s_delay_alu instid0(VALU_DEP_1) | instskip(NEXT) | instid1(VALU_DEP_1)
	v_cndmask_b32_e64 v60, 0xffff8000, v60, s30
	v_and_b32_e32 v60, 0xffff, v60
	s_delay_alu instid0(VALU_DEP_1) | instskip(NEXT) | instid1(VALU_DEP_1)
	v_lshrrev_b32_e32 v60, s49, v60
	v_and_b32_e32 v130, s52, v60
	s_or_b32 exec_lo, exec_lo, s42
	s_and_saveexec_b32 s42, s23
	s_cbranch_execz .LBB2069_811
.LBB2069_877:                           ;   in Loop: Header=BB2069_690 Depth=2
	ds_load_u16 v60, v93 offset:5632
	s_wait_dscnt 0x0
	v_cmp_ne_u16_e64 s30, 0x7fff, v60
	s_delay_alu instid0(VALU_DEP_1) | instskip(NEXT) | instid1(VALU_DEP_1)
	v_cndmask_b32_e64 v60, 0xffff8000, v60, s30
	v_and_b32_e32 v60, 0xffff, v60
	s_delay_alu instid0(VALU_DEP_1) | instskip(NEXT) | instid1(VALU_DEP_1)
	v_lshrrev_b32_e32 v60, s49, v60
	v_and_b32_e32 v129, s52, v60
	s_or_b32 exec_lo, exec_lo, s42
	s_and_saveexec_b32 s42, s24
	s_cbranch_execz .LBB2069_812
.LBB2069_878:                           ;   in Loop: Header=BB2069_690 Depth=2
	ds_load_u16 v60, v93 offset:6144
	s_wait_dscnt 0x0
	v_cmp_ne_u16_e64 s30, 0x7fff, v60
	s_delay_alu instid0(VALU_DEP_1) | instskip(NEXT) | instid1(VALU_DEP_1)
	v_cndmask_b32_e64 v60, 0xffff8000, v60, s30
	v_and_b32_e32 v60, 0xffff, v60
	s_delay_alu instid0(VALU_DEP_1) | instskip(NEXT) | instid1(VALU_DEP_1)
	v_lshrrev_b32_e32 v60, s49, v60
	v_and_b32_e32 v128, s52, v60
	s_or_b32 exec_lo, exec_lo, s42
	s_and_saveexec_b32 s42, s25
	s_cbranch_execz .LBB2069_813
.LBB2069_879:                           ;   in Loop: Header=BB2069_690 Depth=2
	ds_load_u16 v60, v93 offset:6656
	s_wait_dscnt 0x0
	v_cmp_ne_u16_e64 s30, 0x7fff, v60
	s_delay_alu instid0(VALU_DEP_1) | instskip(NEXT) | instid1(VALU_DEP_1)
	v_cndmask_b32_e64 v60, 0xffff8000, v60, s30
	v_and_b32_e32 v60, 0xffff, v60
	s_delay_alu instid0(VALU_DEP_1) | instskip(NEXT) | instid1(VALU_DEP_1)
	v_lshrrev_b32_e32 v60, s49, v60
	v_and_b32_e32 v127, s52, v60
	s_or_b32 exec_lo, exec_lo, s42
	s_and_saveexec_b32 s42, s26
	s_cbranch_execz .LBB2069_814
.LBB2069_880:                           ;   in Loop: Header=BB2069_690 Depth=2
	ds_load_u16 v60, v93 offset:7168
	s_wait_dscnt 0x0
	v_cmp_ne_u16_e64 s30, 0x7fff, v60
	s_delay_alu instid0(VALU_DEP_1) | instskip(NEXT) | instid1(VALU_DEP_1)
	v_cndmask_b32_e64 v60, 0xffff8000, v60, s30
	v_and_b32_e32 v60, 0xffff, v60
	s_delay_alu instid0(VALU_DEP_1) | instskip(NEXT) | instid1(VALU_DEP_1)
	v_lshrrev_b32_e32 v60, s49, v60
	v_and_b32_e32 v126, s52, v60
	s_or_b32 exec_lo, exec_lo, s42
	s_and_saveexec_b32 s42, s27
	s_cbranch_execz .LBB2069_815
.LBB2069_881:                           ;   in Loop: Header=BB2069_690 Depth=2
	ds_load_u16 v60, v93 offset:7680
	s_wait_dscnt 0x0
	v_cmp_ne_u16_e64 s30, 0x7fff, v60
	s_delay_alu instid0(VALU_DEP_1) | instskip(NEXT) | instid1(VALU_DEP_1)
	v_cndmask_b32_e64 v60, 0xffff8000, v60, s30
	v_and_b32_e32 v60, 0xffff, v60
	s_delay_alu instid0(VALU_DEP_1) | instskip(NEXT) | instid1(VALU_DEP_1)
	v_lshrrev_b32_e32 v60, s49, v60
	v_and_b32_e32 v125, s52, v60
	s_or_b32 exec_lo, exec_lo, s42
	s_and_saveexec_b32 s42, s28
	s_cbranch_execz .LBB2069_816
.LBB2069_882:                           ;   in Loop: Header=BB2069_690 Depth=2
	ds_load_u16 v60, v93 offset:8192
	s_wait_dscnt 0x0
	v_cmp_ne_u16_e64 s30, 0x7fff, v60
	s_delay_alu instid0(VALU_DEP_1) | instskip(NEXT) | instid1(VALU_DEP_1)
	v_cndmask_b32_e64 v60, 0xffff8000, v60, s30
	v_and_b32_e32 v60, 0xffff, v60
	s_delay_alu instid0(VALU_DEP_1) | instskip(NEXT) | instid1(VALU_DEP_1)
	v_lshrrev_b32_e32 v60, s49, v60
	v_and_b32_e32 v124, s52, v60
	s_or_b32 exec_lo, exec_lo, s42
	s_and_saveexec_b32 s42, s29
	s_cbranch_execnz .LBB2069_817
	s_branch .LBB2069_818
.LBB2069_883:                           ;   in Loop: Header=BB2069_690 Depth=2
	v_lshlrev_b32_e32 v60, 2, v138
	v_add_nc_u32_e32 v61, v93, v94
	ds_load_b32 v63, v60
	ds_load_b64 v[60:61], v61 offset:1024
	s_wait_dscnt 0x1
	v_add_nc_u32_e32 v63, v63, v2
	s_wait_dscnt 0x0
	global_store_b64 v63, v[60:61], s[44:45] scale_offset
	s_wait_xcnt 0x0
	s_or_b32 exec_lo, exec_lo, s30
	s_and_saveexec_b32 s30, s15
	s_cbranch_execz .LBB2069_820
.LBB2069_884:                           ;   in Loop: Header=BB2069_690 Depth=2
	v_dual_lshlrev_b32 v60, 2, v137 :: v_dual_add_nc_u32 v61, v93, v94
	ds_load_b32 v63, v60
	ds_load_b64 v[60:61], v61 offset:3072
	s_wait_dscnt 0x1
	v_add_nc_u32_e32 v63, v63, v68
	s_wait_dscnt 0x0
	global_store_b64 v63, v[60:61], s[44:45] scale_offset
	s_wait_xcnt 0x0
	s_or_b32 exec_lo, exec_lo, s30
	s_and_saveexec_b32 s15, s16
	s_cbranch_execz .LBB2069_821
.LBB2069_885:                           ;   in Loop: Header=BB2069_690 Depth=2
	v_dual_lshlrev_b32 v60, 2, v136 :: v_dual_add_nc_u32 v61, v93, v94
	ds_load_b32 v63, v60
	ds_load_b64 v[60:61], v61 offset:5120
	s_wait_dscnt 0x1
	v_add_nc_u32_e32 v63, v63, v69
	s_wait_dscnt 0x0
	global_store_b64 v63, v[60:61], s[44:45] scale_offset
	s_wait_xcnt 0x0
	s_or_b32 exec_lo, exec_lo, s15
	s_and_saveexec_b32 s15, s17
	s_cbranch_execz .LBB2069_822
.LBB2069_886:                           ;   in Loop: Header=BB2069_690 Depth=2
	v_dual_lshlrev_b32 v60, 2, v135 :: v_dual_add_nc_u32 v61, v93, v94
	ds_load_b32 v63, v60
	ds_load_b64 v[60:61], v61 offset:7168
	s_wait_dscnt 0x1
	v_add_nc_u32_e32 v63, v63, v70
	s_wait_dscnt 0x0
	global_store_b64 v63, v[60:61], s[44:45] scale_offset
	s_wait_xcnt 0x0
	s_or_b32 exec_lo, exec_lo, s15
	s_and_saveexec_b32 s15, s18
	s_cbranch_execz .LBB2069_823
.LBB2069_887:                           ;   in Loop: Header=BB2069_690 Depth=2
	v_lshlrev_b32_e32 v60, 2, v134
	v_add_nc_u32_e32 v61, v93, v94
	ds_load_b32 v63, v60
	ds_load_b64 v[60:61], v61 offset:9216
	s_wait_dscnt 0x1
	v_add_nc_u32_e32 v63, v63, v71
	s_wait_dscnt 0x0
	global_store_b64 v63, v[60:61], s[44:45] scale_offset
	s_wait_xcnt 0x0
	s_or_b32 exec_lo, exec_lo, s15
	s_and_saveexec_b32 s15, s19
	s_cbranch_execz .LBB2069_824
.LBB2069_888:                           ;   in Loop: Header=BB2069_690 Depth=2
	v_dual_lshlrev_b32 v60, 2, v133 :: v_dual_add_nc_u32 v61, v93, v94
	ds_load_b32 v63, v60
	ds_load_b64 v[60:61], v61 offset:11264
	s_wait_dscnt 0x1
	v_add_nc_u32_e32 v63, v63, v72
	s_wait_dscnt 0x0
	global_store_b64 v63, v[60:61], s[44:45] scale_offset
	s_wait_xcnt 0x0
	s_or_b32 exec_lo, exec_lo, s15
	s_and_saveexec_b32 s15, s20
	s_cbranch_execz .LBB2069_825
.LBB2069_889:                           ;   in Loop: Header=BB2069_690 Depth=2
	v_dual_lshlrev_b32 v60, 2, v132 :: v_dual_add_nc_u32 v61, v93, v94
	ds_load_b32 v63, v60
	ds_load_b64 v[60:61], v61 offset:13312
	s_wait_dscnt 0x1
	v_add_nc_u32_e32 v63, v63, v73
	s_wait_dscnt 0x0
	global_store_b64 v63, v[60:61], s[44:45] scale_offset
	s_wait_xcnt 0x0
	s_or_b32 exec_lo, exec_lo, s15
	s_and_saveexec_b32 s15, s21
	s_cbranch_execz .LBB2069_826
.LBB2069_890:                           ;   in Loop: Header=BB2069_690 Depth=2
	v_dual_lshlrev_b32 v60, 2, v131 :: v_dual_add_nc_u32 v61, v93, v94
	ds_load_b32 v63, v60
	ds_load_b64 v[60:61], v61 offset:15360
	s_wait_dscnt 0x1
	v_add_nc_u32_e32 v63, v63, v74
	s_wait_dscnt 0x0
	global_store_b64 v63, v[60:61], s[44:45] scale_offset
	s_wait_xcnt 0x0
	s_or_b32 exec_lo, exec_lo, s15
	s_and_saveexec_b32 s15, s22
	s_cbranch_execz .LBB2069_827
.LBB2069_891:                           ;   in Loop: Header=BB2069_690 Depth=2
	v_lshlrev_b32_e32 v60, 2, v130
	v_add_nc_u32_e32 v61, v93, v94
	ds_load_b32 v63, v60
	ds_load_b64 v[60:61], v61 offset:17408
	s_wait_dscnt 0x1
	v_add_nc_u32_e32 v63, v63, v75
	s_wait_dscnt 0x0
	global_store_b64 v63, v[60:61], s[44:45] scale_offset
	s_wait_xcnt 0x0
	s_or_b32 exec_lo, exec_lo, s15
	s_and_saveexec_b32 s15, s23
	s_cbranch_execz .LBB2069_828
.LBB2069_892:                           ;   in Loop: Header=BB2069_690 Depth=2
	v_dual_lshlrev_b32 v60, 2, v129 :: v_dual_add_nc_u32 v61, v93, v94
	ds_load_b32 v63, v60
	ds_load_b64 v[60:61], v61 offset:19456
	s_wait_dscnt 0x1
	v_add_nc_u32_e32 v63, v63, v76
	s_wait_dscnt 0x0
	global_store_b64 v63, v[60:61], s[44:45] scale_offset
	s_wait_xcnt 0x0
	s_or_b32 exec_lo, exec_lo, s15
	s_and_saveexec_b32 s15, s24
	s_cbranch_execz .LBB2069_829
.LBB2069_893:                           ;   in Loop: Header=BB2069_690 Depth=2
	v_dual_lshlrev_b32 v60, 2, v128 :: v_dual_add_nc_u32 v61, v93, v94
	ds_load_b32 v63, v60
	ds_load_b64 v[60:61], v61 offset:21504
	s_wait_dscnt 0x1
	v_add_nc_u32_e32 v63, v63, v77
	s_wait_dscnt 0x0
	global_store_b64 v63, v[60:61], s[44:45] scale_offset
	s_wait_xcnt 0x0
	s_or_b32 exec_lo, exec_lo, s15
	s_and_saveexec_b32 s15, s25
	s_cbranch_execz .LBB2069_830
.LBB2069_894:                           ;   in Loop: Header=BB2069_690 Depth=2
	v_dual_lshlrev_b32 v60, 2, v127 :: v_dual_add_nc_u32 v61, v93, v94
	ds_load_b32 v63, v60
	ds_load_b64 v[60:61], v61 offset:23552
	s_wait_dscnt 0x1
	v_add_nc_u32_e32 v63, v63, v78
	s_wait_dscnt 0x0
	global_store_b64 v63, v[60:61], s[44:45] scale_offset
	s_wait_xcnt 0x0
	s_or_b32 exec_lo, exec_lo, s15
	s_and_saveexec_b32 s15, s26
	s_cbranch_execz .LBB2069_831
.LBB2069_895:                           ;   in Loop: Header=BB2069_690 Depth=2
	v_lshlrev_b32_e32 v60, 2, v126
	v_add_nc_u32_e32 v61, v93, v94
	ds_load_b32 v63, v60
	ds_load_b64 v[60:61], v61 offset:25600
	s_wait_dscnt 0x1
	v_add_nc_u32_e32 v63, v63, v79
	s_wait_dscnt 0x0
	global_store_b64 v63, v[60:61], s[44:45] scale_offset
	s_wait_xcnt 0x0
	s_or_b32 exec_lo, exec_lo, s15
	s_and_saveexec_b32 s15, s27
	s_cbranch_execz .LBB2069_832
.LBB2069_896:                           ;   in Loop: Header=BB2069_690 Depth=2
	v_dual_lshlrev_b32 v60, 2, v125 :: v_dual_add_nc_u32 v61, v93, v94
	ds_load_b32 v63, v60
	ds_load_b64 v[60:61], v61 offset:27648
	s_wait_dscnt 0x1
	v_add_nc_u32_e32 v63, v63, v80
	s_wait_dscnt 0x0
	global_store_b64 v63, v[60:61], s[44:45] scale_offset
	s_wait_xcnt 0x0
	s_or_b32 exec_lo, exec_lo, s15
	s_and_saveexec_b32 s15, s28
	s_cbranch_execz .LBB2069_833
.LBB2069_897:                           ;   in Loop: Header=BB2069_690 Depth=2
	v_dual_lshlrev_b32 v60, 2, v124 :: v_dual_add_nc_u32 v61, v93, v94
	ds_load_b32 v63, v60
	ds_load_b64 v[60:61], v61 offset:29696
	s_wait_dscnt 0x1
	v_add_nc_u32_e32 v63, v63, v81
	s_wait_dscnt 0x0
	global_store_b64 v63, v[60:61], s[44:45] scale_offset
	s_wait_xcnt 0x0
	s_or_b32 exec_lo, exec_lo, s15
	s_and_saveexec_b32 s15, s29
	s_cbranch_execnz .LBB2069_834
	s_branch .LBB2069_835
.LBB2069_898:                           ;   in Loop: Header=BB2069_20 Depth=1
	s_wait_dscnt 0x0
	s_barrier_signal -1
	s_mov_b32 s7, 0
	s_barrier_wait -1
.LBB2069_899:                           ;   in Loop: Header=BB2069_20 Depth=1
	s_and_b32 vcc_lo, exec_lo, s7
	s_cbranch_vccz .LBB2069_19
; %bb.900:                              ;   in Loop: Header=BB2069_20 Depth=1
	s_mov_b32 s7, s56
	s_mov_b32 s42, s54
	s_barrier_signal -1
	s_barrier_wait -1
                                        ; implicit-def: $vgpr23
                                        ; implicit-def: $vgpr24
                                        ; implicit-def: $vgpr25
                                        ; implicit-def: $vgpr26
                                        ; implicit-def: $vgpr27
                                        ; implicit-def: $vgpr28
                                        ; implicit-def: $vgpr29
                                        ; implicit-def: $vgpr30
                                        ; implicit-def: $vgpr31
                                        ; implicit-def: $vgpr32
                                        ; implicit-def: $vgpr33
                                        ; implicit-def: $vgpr34
                                        ; implicit-def: $vgpr35
                                        ; implicit-def: $vgpr36
                                        ; implicit-def: $vgpr37
                                        ; implicit-def: $vgpr38
	s_branch .LBB2069_902
.LBB2069_901:                           ;   in Loop: Header=BB2069_902 Depth=2
	s_or_b32 exec_lo, exec_lo, s8
	s_addk_co_i32 s7, 0xf000
	s_cmp_ge_u32 s10, s51
	s_mov_b32 s42, s10
	s_cbranch_scc1 .LBB2069_970
.LBB2069_902:                           ;   Parent Loop BB2069_20 Depth=1
                                        ; =>  This Inner Loop Header: Depth=2
	s_add_co_i32 s10, s42, 0x1000
	s_mov_b32 s8, -1
	s_cmp_gt_u32 s10, s51
                                        ; implicit-def: $vgpr39
                                        ; implicit-def: $vgpr40
                                        ; implicit-def: $vgpr41
                                        ; implicit-def: $vgpr42
                                        ; implicit-def: $vgpr43
                                        ; implicit-def: $vgpr44
                                        ; implicit-def: $vgpr45
                                        ; implicit-def: $vgpr46
                                        ; implicit-def: $vgpr47
                                        ; implicit-def: $vgpr48
                                        ; implicit-def: $vgpr49
                                        ; implicit-def: $vgpr50
                                        ; implicit-def: $vgpr51
                                        ; implicit-def: $vgpr52
                                        ; implicit-def: $vgpr53
                                        ; implicit-def: $vgpr54
	s_cbranch_scc1 .LBB2069_904
; %bb.903:                              ;   in Loop: Header=BB2069_902 Depth=2
	v_lshl_add_u64 v[54:55], s[42:43], 1, v[16:17]
	s_mov_b32 s8, 0
	s_clause 0xf
	global_load_u16 v39, v[54:55], off
	global_load_u16 v40, v[54:55], off offset:512
	global_load_u16 v41, v[54:55], off offset:1024
	;; [unrolled: 1-line block ×15, first 2 shown]
.LBB2069_904:                           ;   in Loop: Header=BB2069_902 Depth=2
	s_and_not1_b32 vcc_lo, exec_lo, s8
	s_movk_i32 s8, 0x1000
	s_cbranch_vccnz .LBB2069_923
; %bb.905:                              ;   in Loop: Header=BB2069_902 Depth=2
	s_lshl_b64 s[8:9], s[42:43], 1
	s_mov_b32 s11, exec_lo
	s_add_nc_u64 s[8:9], s[36:37], s[8:9]
	s_wait_xcnt 0x0
	v_cmpx_gt_u32_e64 s7, v2
	s_cbranch_execnz .LBB2069_955
; %bb.906:                              ;   in Loop: Header=BB2069_902 Depth=2
	s_or_b32 exec_lo, exec_lo, s11
	s_delay_alu instid0(SALU_CYCLE_1)
	s_mov_b32 s11, exec_lo
	v_cmpx_gt_u32_e64 s7, v68
	s_cbranch_execnz .LBB2069_956
.LBB2069_907:                           ;   in Loop: Header=BB2069_902 Depth=2
	s_or_b32 exec_lo, exec_lo, s11
	s_delay_alu instid0(SALU_CYCLE_1)
	s_mov_b32 s11, exec_lo
	v_cmpx_gt_u32_e64 s7, v69
	s_cbranch_execnz .LBB2069_957
.LBB2069_908:                           ;   in Loop: Header=BB2069_902 Depth=2
	s_or_b32 exec_lo, exec_lo, s11
	s_delay_alu instid0(SALU_CYCLE_1)
	s_mov_b32 s11, exec_lo
	v_cmpx_gt_u32_e64 s7, v70
	s_cbranch_execnz .LBB2069_958
.LBB2069_909:                           ;   in Loop: Header=BB2069_902 Depth=2
	s_or_b32 exec_lo, exec_lo, s11
	s_delay_alu instid0(SALU_CYCLE_1)
	s_mov_b32 s11, exec_lo
	v_cmpx_gt_u32_e64 s7, v71
	s_cbranch_execnz .LBB2069_959
.LBB2069_910:                           ;   in Loop: Header=BB2069_902 Depth=2
	s_or_b32 exec_lo, exec_lo, s11
	s_delay_alu instid0(SALU_CYCLE_1)
	s_mov_b32 s11, exec_lo
	v_cmpx_gt_u32_e64 s7, v72
	s_cbranch_execnz .LBB2069_960
.LBB2069_911:                           ;   in Loop: Header=BB2069_902 Depth=2
	s_or_b32 exec_lo, exec_lo, s11
	s_delay_alu instid0(SALU_CYCLE_1)
	s_mov_b32 s11, exec_lo
	v_cmpx_gt_u32_e64 s7, v73
	s_cbranch_execnz .LBB2069_961
.LBB2069_912:                           ;   in Loop: Header=BB2069_902 Depth=2
	s_or_b32 exec_lo, exec_lo, s11
	s_delay_alu instid0(SALU_CYCLE_1)
	s_mov_b32 s11, exec_lo
	v_cmpx_gt_u32_e64 s7, v74
	s_cbranch_execnz .LBB2069_962
.LBB2069_913:                           ;   in Loop: Header=BB2069_902 Depth=2
	s_or_b32 exec_lo, exec_lo, s11
	s_delay_alu instid0(SALU_CYCLE_1)
	s_mov_b32 s11, exec_lo
	v_cmpx_gt_u32_e64 s7, v75
	s_cbranch_execnz .LBB2069_963
.LBB2069_914:                           ;   in Loop: Header=BB2069_902 Depth=2
	s_or_b32 exec_lo, exec_lo, s11
	s_delay_alu instid0(SALU_CYCLE_1)
	s_mov_b32 s11, exec_lo
	v_cmpx_gt_u32_e64 s7, v76
	s_cbranch_execnz .LBB2069_964
.LBB2069_915:                           ;   in Loop: Header=BB2069_902 Depth=2
	s_or_b32 exec_lo, exec_lo, s11
	s_delay_alu instid0(SALU_CYCLE_1)
	s_mov_b32 s11, exec_lo
	v_cmpx_gt_u32_e64 s7, v77
	s_cbranch_execnz .LBB2069_965
.LBB2069_916:                           ;   in Loop: Header=BB2069_902 Depth=2
	s_or_b32 exec_lo, exec_lo, s11
	s_delay_alu instid0(SALU_CYCLE_1)
	s_mov_b32 s11, exec_lo
	v_cmpx_gt_u32_e64 s7, v78
	s_cbranch_execnz .LBB2069_966
.LBB2069_917:                           ;   in Loop: Header=BB2069_902 Depth=2
	s_or_b32 exec_lo, exec_lo, s11
	s_delay_alu instid0(SALU_CYCLE_1)
	s_mov_b32 s11, exec_lo
	v_cmpx_gt_u32_e64 s7, v79
	s_cbranch_execnz .LBB2069_967
.LBB2069_918:                           ;   in Loop: Header=BB2069_902 Depth=2
	s_or_b32 exec_lo, exec_lo, s11
	s_delay_alu instid0(SALU_CYCLE_1)
	s_mov_b32 s11, exec_lo
	v_cmpx_gt_u32_e64 s7, v80
	s_cbranch_execnz .LBB2069_968
.LBB2069_919:                           ;   in Loop: Header=BB2069_902 Depth=2
	s_or_b32 exec_lo, exec_lo, s11
	s_delay_alu instid0(SALU_CYCLE_1)
	s_mov_b32 s11, exec_lo
	v_cmpx_gt_u32_e64 s7, v81
	s_cbranch_execnz .LBB2069_969
.LBB2069_920:                           ;   in Loop: Header=BB2069_902 Depth=2
	s_or_b32 exec_lo, exec_lo, s11
	s_delay_alu instid0(SALU_CYCLE_1)
	s_mov_b32 s11, exec_lo
	v_cmpx_gt_u32_e64 s7, v82
	s_cbranch_execz .LBB2069_922
.LBB2069_921:                           ;   in Loop: Header=BB2069_902 Depth=2
	global_load_u16 v23, v2, s[8:9] offset:7680 scale_offset
.LBB2069_922:                           ;   in Loop: Header=BB2069_902 Depth=2
	s_wait_xcnt 0x0
	s_or_b32 exec_lo, exec_lo, s11
	s_wait_loadcnt 0x0
	v_dual_mov_b32 v39, v38 :: v_dual_mov_b32 v40, v37
	v_dual_mov_b32 v41, v36 :: v_dual_mov_b32 v42, v35
	;; [unrolled: 1-line block ×8, first 2 shown]
	s_mov_b32 s8, s7
.LBB2069_923:                           ;   in Loop: Header=BB2069_902 Depth=2
	s_wait_loadcnt 0x0
	s_delay_alu instid0(VALU_DEP_1)
	v_dual_mov_b32 v23, v54 :: v_dual_mov_b32 v24, v53
	v_dual_mov_b32 v25, v52 :: v_dual_mov_b32 v26, v51
	;; [unrolled: 1-line block ×8, first 2 shown]
	s_mov_b32 s9, exec_lo
	s_wait_xcnt 0x0
	v_cmpx_gt_u32_e64 s8, v2
	s_cbranch_execnz .LBB2069_939
; %bb.924:                              ;   in Loop: Header=BB2069_902 Depth=2
	s_or_b32 exec_lo, exec_lo, s9
	s_delay_alu instid0(SALU_CYCLE_1)
	s_mov_b32 s9, exec_lo
	v_cmpx_gt_u32_e64 s8, v68
	s_cbranch_execnz .LBB2069_940
.LBB2069_925:                           ;   in Loop: Header=BB2069_902 Depth=2
	s_or_b32 exec_lo, exec_lo, s9
	s_delay_alu instid0(SALU_CYCLE_1)
	s_mov_b32 s9, exec_lo
	v_cmpx_gt_u32_e64 s8, v69
	s_cbranch_execnz .LBB2069_941
.LBB2069_926:                           ;   in Loop: Header=BB2069_902 Depth=2
	s_or_b32 exec_lo, exec_lo, s9
	s_delay_alu instid0(SALU_CYCLE_1)
	s_mov_b32 s9, exec_lo
	v_cmpx_gt_u32_e64 s8, v70
	s_cbranch_execnz .LBB2069_942
.LBB2069_927:                           ;   in Loop: Header=BB2069_902 Depth=2
	s_or_b32 exec_lo, exec_lo, s9
	s_delay_alu instid0(SALU_CYCLE_1)
	s_mov_b32 s9, exec_lo
	v_cmpx_gt_u32_e64 s8, v71
	s_cbranch_execnz .LBB2069_943
.LBB2069_928:                           ;   in Loop: Header=BB2069_902 Depth=2
	s_or_b32 exec_lo, exec_lo, s9
	s_delay_alu instid0(SALU_CYCLE_1)
	s_mov_b32 s9, exec_lo
	v_cmpx_gt_u32_e64 s8, v72
	s_cbranch_execnz .LBB2069_944
.LBB2069_929:                           ;   in Loop: Header=BB2069_902 Depth=2
	s_or_b32 exec_lo, exec_lo, s9
	s_delay_alu instid0(SALU_CYCLE_1)
	s_mov_b32 s9, exec_lo
	v_cmpx_gt_u32_e64 s8, v73
	s_cbranch_execnz .LBB2069_945
.LBB2069_930:                           ;   in Loop: Header=BB2069_902 Depth=2
	s_or_b32 exec_lo, exec_lo, s9
	s_delay_alu instid0(SALU_CYCLE_1)
	s_mov_b32 s9, exec_lo
	v_cmpx_gt_u32_e64 s8, v74
	s_cbranch_execnz .LBB2069_946
.LBB2069_931:                           ;   in Loop: Header=BB2069_902 Depth=2
	s_or_b32 exec_lo, exec_lo, s9
	s_delay_alu instid0(SALU_CYCLE_1)
	s_mov_b32 s9, exec_lo
	v_cmpx_gt_u32_e64 s8, v75
	s_cbranch_execnz .LBB2069_947
.LBB2069_932:                           ;   in Loop: Header=BB2069_902 Depth=2
	s_or_b32 exec_lo, exec_lo, s9
	s_delay_alu instid0(SALU_CYCLE_1)
	s_mov_b32 s9, exec_lo
	v_cmpx_gt_u32_e64 s8, v76
	s_cbranch_execnz .LBB2069_948
.LBB2069_933:                           ;   in Loop: Header=BB2069_902 Depth=2
	s_or_b32 exec_lo, exec_lo, s9
	s_delay_alu instid0(SALU_CYCLE_1)
	s_mov_b32 s9, exec_lo
	v_cmpx_gt_u32_e64 s8, v77
	s_cbranch_execnz .LBB2069_949
.LBB2069_934:                           ;   in Loop: Header=BB2069_902 Depth=2
	s_or_b32 exec_lo, exec_lo, s9
	s_delay_alu instid0(SALU_CYCLE_1)
	s_mov_b32 s9, exec_lo
	v_cmpx_gt_u32_e64 s8, v78
	s_cbranch_execnz .LBB2069_950
.LBB2069_935:                           ;   in Loop: Header=BB2069_902 Depth=2
	s_or_b32 exec_lo, exec_lo, s9
	s_delay_alu instid0(SALU_CYCLE_1)
	s_mov_b32 s9, exec_lo
	v_cmpx_gt_u32_e64 s8, v79
	s_cbranch_execnz .LBB2069_951
.LBB2069_936:                           ;   in Loop: Header=BB2069_902 Depth=2
	s_or_b32 exec_lo, exec_lo, s9
	s_delay_alu instid0(SALU_CYCLE_1)
	s_mov_b32 s9, exec_lo
	v_cmpx_gt_u32_e64 s8, v80
	s_cbranch_execnz .LBB2069_952
.LBB2069_937:                           ;   in Loop: Header=BB2069_902 Depth=2
	s_or_b32 exec_lo, exec_lo, s9
	s_delay_alu instid0(SALU_CYCLE_1)
	s_mov_b32 s9, exec_lo
	v_cmpx_gt_u32_e64 s8, v81
	s_cbranch_execnz .LBB2069_953
.LBB2069_938:                           ;   in Loop: Header=BB2069_902 Depth=2
	s_or_b32 exec_lo, exec_lo, s9
	v_cmp_gt_u32_e32 vcc_lo, s8, v82
	s_and_saveexec_b32 s8, vcc_lo
	s_cbranch_execz .LBB2069_901
	s_branch .LBB2069_954
.LBB2069_939:                           ;   in Loop: Header=BB2069_902 Depth=2
	v_cmp_lt_i16_e32 vcc_lo, -1, v38
	v_cndmask_b32_e64 v39, -1, 0xffff8000, vcc_lo
	s_delay_alu instid0(VALU_DEP_1) | instskip(NEXT) | instid1(VALU_DEP_1)
	v_xor_b32_e32 v39, v39, v38
	v_cmp_ne_u16_e32 vcc_lo, 0x7fff, v39
	v_cndmask_b32_e32 v39, 0xffff8000, v39, vcc_lo
	s_delay_alu instid0(VALU_DEP_1) | instskip(NEXT) | instid1(VALU_DEP_1)
	v_and_b32_e32 v39, 0xffff, v39
	v_lshrrev_b32_e32 v39, s49, v39
	s_delay_alu instid0(VALU_DEP_1) | instskip(NEXT) | instid1(VALU_DEP_1)
	v_and_b32_e32 v39, s52, v39
	v_lshl_or_b32 v39, v39, 4, v83
	ds_add_u32 v39, v96
	s_or_b32 exec_lo, exec_lo, s9
	s_delay_alu instid0(SALU_CYCLE_1)
	s_mov_b32 s9, exec_lo
	v_cmpx_gt_u32_e64 s8, v68
	s_cbranch_execz .LBB2069_925
.LBB2069_940:                           ;   in Loop: Header=BB2069_902 Depth=2
	v_cmp_lt_i16_e32 vcc_lo, -1, v37
	v_cndmask_b32_e64 v39, -1, 0xffff8000, vcc_lo
	s_delay_alu instid0(VALU_DEP_1) | instskip(NEXT) | instid1(VALU_DEP_1)
	v_xor_b32_e32 v39, v39, v37
	v_cmp_ne_u16_e32 vcc_lo, 0x7fff, v39
	v_cndmask_b32_e32 v39, 0xffff8000, v39, vcc_lo
	s_delay_alu instid0(VALU_DEP_1) | instskip(NEXT) | instid1(VALU_DEP_1)
	v_and_b32_e32 v39, 0xffff, v39
	v_lshrrev_b32_e32 v39, s49, v39
	s_delay_alu instid0(VALU_DEP_1) | instskip(NEXT) | instid1(VALU_DEP_1)
	v_and_b32_e32 v39, s52, v39
	v_lshl_or_b32 v39, v39, 4, v83
	ds_add_u32 v39, v96
	s_or_b32 exec_lo, exec_lo, s9
	s_delay_alu instid0(SALU_CYCLE_1)
	s_mov_b32 s9, exec_lo
	v_cmpx_gt_u32_e64 s8, v69
	s_cbranch_execz .LBB2069_926
.LBB2069_941:                           ;   in Loop: Header=BB2069_902 Depth=2
	v_cmp_lt_i16_e32 vcc_lo, -1, v36
	v_cndmask_b32_e64 v39, -1, 0xffff8000, vcc_lo
	s_delay_alu instid0(VALU_DEP_1) | instskip(NEXT) | instid1(VALU_DEP_1)
	v_xor_b32_e32 v39, v39, v36
	v_cmp_ne_u16_e32 vcc_lo, 0x7fff, v39
	v_cndmask_b32_e32 v39, 0xffff8000, v39, vcc_lo
	s_delay_alu instid0(VALU_DEP_1) | instskip(NEXT) | instid1(VALU_DEP_1)
	v_and_b32_e32 v39, 0xffff, v39
	v_lshrrev_b32_e32 v39, s49, v39
	s_delay_alu instid0(VALU_DEP_1) | instskip(NEXT) | instid1(VALU_DEP_1)
	v_and_b32_e32 v39, s52, v39
	v_lshl_or_b32 v39, v39, 4, v83
	ds_add_u32 v39, v96
	s_or_b32 exec_lo, exec_lo, s9
	s_delay_alu instid0(SALU_CYCLE_1)
	s_mov_b32 s9, exec_lo
	v_cmpx_gt_u32_e64 s8, v70
	s_cbranch_execz .LBB2069_927
.LBB2069_942:                           ;   in Loop: Header=BB2069_902 Depth=2
	v_cmp_lt_i16_e32 vcc_lo, -1, v35
	v_cndmask_b32_e64 v39, -1, 0xffff8000, vcc_lo
	s_delay_alu instid0(VALU_DEP_1) | instskip(NEXT) | instid1(VALU_DEP_1)
	v_xor_b32_e32 v39, v39, v35
	v_cmp_ne_u16_e32 vcc_lo, 0x7fff, v39
	v_cndmask_b32_e32 v39, 0xffff8000, v39, vcc_lo
	s_delay_alu instid0(VALU_DEP_1) | instskip(NEXT) | instid1(VALU_DEP_1)
	v_and_b32_e32 v39, 0xffff, v39
	v_lshrrev_b32_e32 v39, s49, v39
	s_delay_alu instid0(VALU_DEP_1) | instskip(NEXT) | instid1(VALU_DEP_1)
	v_and_b32_e32 v39, s52, v39
	v_lshl_or_b32 v39, v39, 4, v83
	ds_add_u32 v39, v96
	s_or_b32 exec_lo, exec_lo, s9
	s_delay_alu instid0(SALU_CYCLE_1)
	s_mov_b32 s9, exec_lo
	v_cmpx_gt_u32_e64 s8, v71
	s_cbranch_execz .LBB2069_928
.LBB2069_943:                           ;   in Loop: Header=BB2069_902 Depth=2
	v_cmp_lt_i16_e32 vcc_lo, -1, v34
	v_cndmask_b32_e64 v39, -1, 0xffff8000, vcc_lo
	s_delay_alu instid0(VALU_DEP_1) | instskip(NEXT) | instid1(VALU_DEP_1)
	v_xor_b32_e32 v39, v39, v34
	v_cmp_ne_u16_e32 vcc_lo, 0x7fff, v39
	v_cndmask_b32_e32 v39, 0xffff8000, v39, vcc_lo
	s_delay_alu instid0(VALU_DEP_1) | instskip(NEXT) | instid1(VALU_DEP_1)
	v_and_b32_e32 v39, 0xffff, v39
	v_lshrrev_b32_e32 v39, s49, v39
	s_delay_alu instid0(VALU_DEP_1) | instskip(NEXT) | instid1(VALU_DEP_1)
	v_and_b32_e32 v39, s52, v39
	v_lshl_or_b32 v39, v39, 4, v83
	ds_add_u32 v39, v96
	s_or_b32 exec_lo, exec_lo, s9
	s_delay_alu instid0(SALU_CYCLE_1)
	s_mov_b32 s9, exec_lo
	v_cmpx_gt_u32_e64 s8, v72
	s_cbranch_execz .LBB2069_929
.LBB2069_944:                           ;   in Loop: Header=BB2069_902 Depth=2
	v_cmp_lt_i16_e32 vcc_lo, -1, v33
	v_cndmask_b32_e64 v39, -1, 0xffff8000, vcc_lo
	s_delay_alu instid0(VALU_DEP_1) | instskip(NEXT) | instid1(VALU_DEP_1)
	v_xor_b32_e32 v39, v39, v33
	v_cmp_ne_u16_e32 vcc_lo, 0x7fff, v39
	v_cndmask_b32_e32 v39, 0xffff8000, v39, vcc_lo
	s_delay_alu instid0(VALU_DEP_1) | instskip(NEXT) | instid1(VALU_DEP_1)
	v_and_b32_e32 v39, 0xffff, v39
	v_lshrrev_b32_e32 v39, s49, v39
	s_delay_alu instid0(VALU_DEP_1) | instskip(NEXT) | instid1(VALU_DEP_1)
	v_and_b32_e32 v39, s52, v39
	v_lshl_or_b32 v39, v39, 4, v83
	ds_add_u32 v39, v96
	s_or_b32 exec_lo, exec_lo, s9
	s_delay_alu instid0(SALU_CYCLE_1)
	s_mov_b32 s9, exec_lo
	v_cmpx_gt_u32_e64 s8, v73
	s_cbranch_execz .LBB2069_930
.LBB2069_945:                           ;   in Loop: Header=BB2069_902 Depth=2
	v_cmp_lt_i16_e32 vcc_lo, -1, v32
	v_cndmask_b32_e64 v39, -1, 0xffff8000, vcc_lo
	s_delay_alu instid0(VALU_DEP_1) | instskip(NEXT) | instid1(VALU_DEP_1)
	v_xor_b32_e32 v39, v39, v32
	v_cmp_ne_u16_e32 vcc_lo, 0x7fff, v39
	v_cndmask_b32_e32 v39, 0xffff8000, v39, vcc_lo
	s_delay_alu instid0(VALU_DEP_1) | instskip(NEXT) | instid1(VALU_DEP_1)
	v_and_b32_e32 v39, 0xffff, v39
	v_lshrrev_b32_e32 v39, s49, v39
	s_delay_alu instid0(VALU_DEP_1) | instskip(NEXT) | instid1(VALU_DEP_1)
	v_and_b32_e32 v39, s52, v39
	v_lshl_or_b32 v39, v39, 4, v83
	ds_add_u32 v39, v96
	s_or_b32 exec_lo, exec_lo, s9
	s_delay_alu instid0(SALU_CYCLE_1)
	s_mov_b32 s9, exec_lo
	v_cmpx_gt_u32_e64 s8, v74
	s_cbranch_execz .LBB2069_931
.LBB2069_946:                           ;   in Loop: Header=BB2069_902 Depth=2
	v_cmp_lt_i16_e32 vcc_lo, -1, v31
	v_cndmask_b32_e64 v39, -1, 0xffff8000, vcc_lo
	s_delay_alu instid0(VALU_DEP_1) | instskip(NEXT) | instid1(VALU_DEP_1)
	v_xor_b32_e32 v39, v39, v31
	v_cmp_ne_u16_e32 vcc_lo, 0x7fff, v39
	v_cndmask_b32_e32 v39, 0xffff8000, v39, vcc_lo
	s_delay_alu instid0(VALU_DEP_1) | instskip(NEXT) | instid1(VALU_DEP_1)
	v_and_b32_e32 v39, 0xffff, v39
	v_lshrrev_b32_e32 v39, s49, v39
	s_delay_alu instid0(VALU_DEP_1) | instskip(NEXT) | instid1(VALU_DEP_1)
	v_and_b32_e32 v39, s52, v39
	v_lshl_or_b32 v39, v39, 4, v83
	ds_add_u32 v39, v96
	s_or_b32 exec_lo, exec_lo, s9
	s_delay_alu instid0(SALU_CYCLE_1)
	s_mov_b32 s9, exec_lo
	v_cmpx_gt_u32_e64 s8, v75
	s_cbranch_execz .LBB2069_932
.LBB2069_947:                           ;   in Loop: Header=BB2069_902 Depth=2
	v_cmp_lt_i16_e32 vcc_lo, -1, v30
	v_cndmask_b32_e64 v39, -1, 0xffff8000, vcc_lo
	s_delay_alu instid0(VALU_DEP_1) | instskip(NEXT) | instid1(VALU_DEP_1)
	v_xor_b32_e32 v39, v39, v30
	v_cmp_ne_u16_e32 vcc_lo, 0x7fff, v39
	v_cndmask_b32_e32 v39, 0xffff8000, v39, vcc_lo
	s_delay_alu instid0(VALU_DEP_1) | instskip(NEXT) | instid1(VALU_DEP_1)
	v_and_b32_e32 v39, 0xffff, v39
	v_lshrrev_b32_e32 v39, s49, v39
	s_delay_alu instid0(VALU_DEP_1) | instskip(NEXT) | instid1(VALU_DEP_1)
	v_and_b32_e32 v39, s52, v39
	v_lshl_or_b32 v39, v39, 4, v83
	ds_add_u32 v39, v96
	s_or_b32 exec_lo, exec_lo, s9
	s_delay_alu instid0(SALU_CYCLE_1)
	s_mov_b32 s9, exec_lo
	v_cmpx_gt_u32_e64 s8, v76
	s_cbranch_execz .LBB2069_933
.LBB2069_948:                           ;   in Loop: Header=BB2069_902 Depth=2
	v_cmp_lt_i16_e32 vcc_lo, -1, v29
	v_cndmask_b32_e64 v39, -1, 0xffff8000, vcc_lo
	s_delay_alu instid0(VALU_DEP_1) | instskip(NEXT) | instid1(VALU_DEP_1)
	v_xor_b32_e32 v39, v39, v29
	v_cmp_ne_u16_e32 vcc_lo, 0x7fff, v39
	v_cndmask_b32_e32 v39, 0xffff8000, v39, vcc_lo
	s_delay_alu instid0(VALU_DEP_1) | instskip(NEXT) | instid1(VALU_DEP_1)
	v_and_b32_e32 v39, 0xffff, v39
	v_lshrrev_b32_e32 v39, s49, v39
	s_delay_alu instid0(VALU_DEP_1) | instskip(NEXT) | instid1(VALU_DEP_1)
	v_and_b32_e32 v39, s52, v39
	v_lshl_or_b32 v39, v39, 4, v83
	ds_add_u32 v39, v96
	s_or_b32 exec_lo, exec_lo, s9
	s_delay_alu instid0(SALU_CYCLE_1)
	s_mov_b32 s9, exec_lo
	v_cmpx_gt_u32_e64 s8, v77
	s_cbranch_execz .LBB2069_934
.LBB2069_949:                           ;   in Loop: Header=BB2069_902 Depth=2
	v_cmp_lt_i16_e32 vcc_lo, -1, v28
	v_cndmask_b32_e64 v39, -1, 0xffff8000, vcc_lo
	s_delay_alu instid0(VALU_DEP_1) | instskip(NEXT) | instid1(VALU_DEP_1)
	v_xor_b32_e32 v39, v39, v28
	v_cmp_ne_u16_e32 vcc_lo, 0x7fff, v39
	v_cndmask_b32_e32 v39, 0xffff8000, v39, vcc_lo
	s_delay_alu instid0(VALU_DEP_1) | instskip(NEXT) | instid1(VALU_DEP_1)
	v_and_b32_e32 v39, 0xffff, v39
	v_lshrrev_b32_e32 v39, s49, v39
	s_delay_alu instid0(VALU_DEP_1) | instskip(NEXT) | instid1(VALU_DEP_1)
	v_and_b32_e32 v39, s52, v39
	v_lshl_or_b32 v39, v39, 4, v83
	ds_add_u32 v39, v96
	s_or_b32 exec_lo, exec_lo, s9
	s_delay_alu instid0(SALU_CYCLE_1)
	s_mov_b32 s9, exec_lo
	v_cmpx_gt_u32_e64 s8, v78
	s_cbranch_execz .LBB2069_935
.LBB2069_950:                           ;   in Loop: Header=BB2069_902 Depth=2
	v_cmp_lt_i16_e32 vcc_lo, -1, v27
	v_cndmask_b32_e64 v39, -1, 0xffff8000, vcc_lo
	s_delay_alu instid0(VALU_DEP_1) | instskip(NEXT) | instid1(VALU_DEP_1)
	v_xor_b32_e32 v39, v39, v27
	v_cmp_ne_u16_e32 vcc_lo, 0x7fff, v39
	v_cndmask_b32_e32 v39, 0xffff8000, v39, vcc_lo
	s_delay_alu instid0(VALU_DEP_1) | instskip(NEXT) | instid1(VALU_DEP_1)
	v_and_b32_e32 v39, 0xffff, v39
	v_lshrrev_b32_e32 v39, s49, v39
	s_delay_alu instid0(VALU_DEP_1) | instskip(NEXT) | instid1(VALU_DEP_1)
	v_and_b32_e32 v39, s52, v39
	v_lshl_or_b32 v39, v39, 4, v83
	ds_add_u32 v39, v96
	s_or_b32 exec_lo, exec_lo, s9
	s_delay_alu instid0(SALU_CYCLE_1)
	s_mov_b32 s9, exec_lo
	v_cmpx_gt_u32_e64 s8, v79
	s_cbranch_execz .LBB2069_936
.LBB2069_951:                           ;   in Loop: Header=BB2069_902 Depth=2
	v_cmp_lt_i16_e32 vcc_lo, -1, v26
	v_cndmask_b32_e64 v39, -1, 0xffff8000, vcc_lo
	s_delay_alu instid0(VALU_DEP_1) | instskip(NEXT) | instid1(VALU_DEP_1)
	v_xor_b32_e32 v39, v39, v26
	v_cmp_ne_u16_e32 vcc_lo, 0x7fff, v39
	v_cndmask_b32_e32 v39, 0xffff8000, v39, vcc_lo
	s_delay_alu instid0(VALU_DEP_1) | instskip(NEXT) | instid1(VALU_DEP_1)
	v_and_b32_e32 v39, 0xffff, v39
	v_lshrrev_b32_e32 v39, s49, v39
	s_delay_alu instid0(VALU_DEP_1) | instskip(NEXT) | instid1(VALU_DEP_1)
	v_and_b32_e32 v39, s52, v39
	v_lshl_or_b32 v39, v39, 4, v83
	ds_add_u32 v39, v96
	s_or_b32 exec_lo, exec_lo, s9
	s_delay_alu instid0(SALU_CYCLE_1)
	s_mov_b32 s9, exec_lo
	v_cmpx_gt_u32_e64 s8, v80
	s_cbranch_execz .LBB2069_937
.LBB2069_952:                           ;   in Loop: Header=BB2069_902 Depth=2
	v_cmp_lt_i16_e32 vcc_lo, -1, v25
	v_cndmask_b32_e64 v39, -1, 0xffff8000, vcc_lo
	s_delay_alu instid0(VALU_DEP_1) | instskip(NEXT) | instid1(VALU_DEP_1)
	v_xor_b32_e32 v39, v39, v25
	v_cmp_ne_u16_e32 vcc_lo, 0x7fff, v39
	v_cndmask_b32_e32 v39, 0xffff8000, v39, vcc_lo
	s_delay_alu instid0(VALU_DEP_1) | instskip(NEXT) | instid1(VALU_DEP_1)
	v_and_b32_e32 v39, 0xffff, v39
	v_lshrrev_b32_e32 v39, s49, v39
	s_delay_alu instid0(VALU_DEP_1) | instskip(NEXT) | instid1(VALU_DEP_1)
	v_and_b32_e32 v39, s52, v39
	v_lshl_or_b32 v39, v39, 4, v83
	ds_add_u32 v39, v96
	s_or_b32 exec_lo, exec_lo, s9
	s_delay_alu instid0(SALU_CYCLE_1)
	s_mov_b32 s9, exec_lo
	v_cmpx_gt_u32_e64 s8, v81
	s_cbranch_execz .LBB2069_938
.LBB2069_953:                           ;   in Loop: Header=BB2069_902 Depth=2
	v_cmp_lt_i16_e32 vcc_lo, -1, v24
	v_cndmask_b32_e64 v39, -1, 0xffff8000, vcc_lo
	s_delay_alu instid0(VALU_DEP_1) | instskip(NEXT) | instid1(VALU_DEP_1)
	v_xor_b32_e32 v39, v39, v24
	v_cmp_ne_u16_e32 vcc_lo, 0x7fff, v39
	v_cndmask_b32_e32 v39, 0xffff8000, v39, vcc_lo
	s_delay_alu instid0(VALU_DEP_1) | instskip(NEXT) | instid1(VALU_DEP_1)
	v_and_b32_e32 v39, 0xffff, v39
	v_lshrrev_b32_e32 v39, s49, v39
	s_delay_alu instid0(VALU_DEP_1) | instskip(NEXT) | instid1(VALU_DEP_1)
	v_and_b32_e32 v39, s52, v39
	v_lshl_or_b32 v39, v39, 4, v83
	ds_add_u32 v39, v96
	s_or_b32 exec_lo, exec_lo, s9
	v_cmp_gt_u32_e32 vcc_lo, s8, v82
	s_and_saveexec_b32 s8, vcc_lo
	s_cbranch_execz .LBB2069_901
.LBB2069_954:                           ;   in Loop: Header=BB2069_902 Depth=2
	v_cmp_lt_i16_e32 vcc_lo, -1, v23
	v_cndmask_b32_e64 v39, -1, 0xffff8000, vcc_lo
	s_delay_alu instid0(VALU_DEP_1) | instskip(NEXT) | instid1(VALU_DEP_1)
	v_xor_b32_e32 v39, v39, v23
	v_cmp_ne_u16_e32 vcc_lo, 0x7fff, v39
	v_cndmask_b32_e32 v39, 0xffff8000, v39, vcc_lo
	s_delay_alu instid0(VALU_DEP_1) | instskip(NEXT) | instid1(VALU_DEP_1)
	v_and_b32_e32 v39, 0xffff, v39
	v_lshrrev_b32_e32 v39, s49, v39
	s_delay_alu instid0(VALU_DEP_1) | instskip(NEXT) | instid1(VALU_DEP_1)
	v_and_b32_e32 v39, s52, v39
	v_lshl_or_b32 v39, v39, 4, v83
	ds_add_u32 v39, v96
	s_branch .LBB2069_901
.LBB2069_955:                           ;   in Loop: Header=BB2069_902 Depth=2
	global_load_u16 v38, v2, s[8:9] scale_offset
	s_wait_xcnt 0x0
	s_or_b32 exec_lo, exec_lo, s11
	s_delay_alu instid0(SALU_CYCLE_1)
	s_mov_b32 s11, exec_lo
	v_cmpx_gt_u32_e64 s7, v68
	s_cbranch_execz .LBB2069_907
.LBB2069_956:                           ;   in Loop: Header=BB2069_902 Depth=2
	global_load_u16 v37, v2, s[8:9] offset:512 scale_offset
	s_wait_xcnt 0x0
	s_or_b32 exec_lo, exec_lo, s11
	s_delay_alu instid0(SALU_CYCLE_1)
	s_mov_b32 s11, exec_lo
	v_cmpx_gt_u32_e64 s7, v69
	s_cbranch_execz .LBB2069_908
.LBB2069_957:                           ;   in Loop: Header=BB2069_902 Depth=2
	global_load_u16 v36, v2, s[8:9] offset:1024 scale_offset
	s_wait_xcnt 0x0
	s_or_b32 exec_lo, exec_lo, s11
	s_delay_alu instid0(SALU_CYCLE_1)
	s_mov_b32 s11, exec_lo
	v_cmpx_gt_u32_e64 s7, v70
	s_cbranch_execz .LBB2069_909
.LBB2069_958:                           ;   in Loop: Header=BB2069_902 Depth=2
	global_load_u16 v35, v2, s[8:9] offset:1536 scale_offset
	s_wait_xcnt 0x0
	s_or_b32 exec_lo, exec_lo, s11
	s_delay_alu instid0(SALU_CYCLE_1)
	s_mov_b32 s11, exec_lo
	v_cmpx_gt_u32_e64 s7, v71
	s_cbranch_execz .LBB2069_910
.LBB2069_959:                           ;   in Loop: Header=BB2069_902 Depth=2
	global_load_u16 v34, v2, s[8:9] offset:2048 scale_offset
	s_wait_xcnt 0x0
	s_or_b32 exec_lo, exec_lo, s11
	s_delay_alu instid0(SALU_CYCLE_1)
	s_mov_b32 s11, exec_lo
	v_cmpx_gt_u32_e64 s7, v72
	s_cbranch_execz .LBB2069_911
.LBB2069_960:                           ;   in Loop: Header=BB2069_902 Depth=2
	global_load_u16 v33, v2, s[8:9] offset:2560 scale_offset
	s_wait_xcnt 0x0
	s_or_b32 exec_lo, exec_lo, s11
	s_delay_alu instid0(SALU_CYCLE_1)
	s_mov_b32 s11, exec_lo
	v_cmpx_gt_u32_e64 s7, v73
	s_cbranch_execz .LBB2069_912
.LBB2069_961:                           ;   in Loop: Header=BB2069_902 Depth=2
	global_load_u16 v32, v2, s[8:9] offset:3072 scale_offset
	s_wait_xcnt 0x0
	s_or_b32 exec_lo, exec_lo, s11
	s_delay_alu instid0(SALU_CYCLE_1)
	s_mov_b32 s11, exec_lo
	v_cmpx_gt_u32_e64 s7, v74
	s_cbranch_execz .LBB2069_913
.LBB2069_962:                           ;   in Loop: Header=BB2069_902 Depth=2
	global_load_u16 v31, v2, s[8:9] offset:3584 scale_offset
	s_wait_xcnt 0x0
	s_or_b32 exec_lo, exec_lo, s11
	s_delay_alu instid0(SALU_CYCLE_1)
	s_mov_b32 s11, exec_lo
	v_cmpx_gt_u32_e64 s7, v75
	s_cbranch_execz .LBB2069_914
.LBB2069_963:                           ;   in Loop: Header=BB2069_902 Depth=2
	global_load_u16 v30, v2, s[8:9] offset:4096 scale_offset
	s_wait_xcnt 0x0
	s_or_b32 exec_lo, exec_lo, s11
	s_delay_alu instid0(SALU_CYCLE_1)
	s_mov_b32 s11, exec_lo
	v_cmpx_gt_u32_e64 s7, v76
	s_cbranch_execz .LBB2069_915
.LBB2069_964:                           ;   in Loop: Header=BB2069_902 Depth=2
	global_load_u16 v29, v2, s[8:9] offset:4608 scale_offset
	s_wait_xcnt 0x0
	s_or_b32 exec_lo, exec_lo, s11
	s_delay_alu instid0(SALU_CYCLE_1)
	s_mov_b32 s11, exec_lo
	v_cmpx_gt_u32_e64 s7, v77
	s_cbranch_execz .LBB2069_916
.LBB2069_965:                           ;   in Loop: Header=BB2069_902 Depth=2
	global_load_u16 v28, v2, s[8:9] offset:5120 scale_offset
	s_wait_xcnt 0x0
	s_or_b32 exec_lo, exec_lo, s11
	s_delay_alu instid0(SALU_CYCLE_1)
	s_mov_b32 s11, exec_lo
	v_cmpx_gt_u32_e64 s7, v78
	s_cbranch_execz .LBB2069_917
.LBB2069_966:                           ;   in Loop: Header=BB2069_902 Depth=2
	global_load_u16 v27, v2, s[8:9] offset:5632 scale_offset
	s_wait_xcnt 0x0
	s_or_b32 exec_lo, exec_lo, s11
	s_delay_alu instid0(SALU_CYCLE_1)
	s_mov_b32 s11, exec_lo
	v_cmpx_gt_u32_e64 s7, v79
	s_cbranch_execz .LBB2069_918
.LBB2069_967:                           ;   in Loop: Header=BB2069_902 Depth=2
	global_load_u16 v26, v2, s[8:9] offset:6144 scale_offset
	s_wait_xcnt 0x0
	s_or_b32 exec_lo, exec_lo, s11
	s_delay_alu instid0(SALU_CYCLE_1)
	s_mov_b32 s11, exec_lo
	v_cmpx_gt_u32_e64 s7, v80
	s_cbranch_execz .LBB2069_919
.LBB2069_968:                           ;   in Loop: Header=BB2069_902 Depth=2
	global_load_u16 v25, v2, s[8:9] offset:6656 scale_offset
	s_wait_xcnt 0x0
	s_or_b32 exec_lo, exec_lo, s11
	s_delay_alu instid0(SALU_CYCLE_1)
	s_mov_b32 s11, exec_lo
	v_cmpx_gt_u32_e64 s7, v81
	s_cbranch_execz .LBB2069_920
.LBB2069_969:                           ;   in Loop: Header=BB2069_902 Depth=2
	global_load_u16 v24, v2, s[8:9] offset:7168 scale_offset
	s_wait_xcnt 0x0
	s_or_b32 exec_lo, exec_lo, s11
	s_delay_alu instid0(SALU_CYCLE_1)
	s_mov_b32 s11, exec_lo
	v_cmpx_gt_u32_e64 s7, v82
	s_cbranch_execnz .LBB2069_921
	s_branch .LBB2069_922
.LBB2069_970:                           ;   in Loop: Header=BB2069_20 Depth=1
	v_mov_b32_e32 v23, 0
	s_wait_dscnt 0x0
	s_barrier_signal -1
	s_barrier_wait -1
	s_and_saveexec_b32 s7, s0
	s_cbranch_execz .LBB2069_972
; %bb.971:                              ;   in Loop: Header=BB2069_20 Depth=1
	ds_load_2addr_b64 v[24:27], v85 offset1:1
	s_wait_dscnt 0x0
	v_add_nc_u32_e32 v23, v25, v24
	s_delay_alu instid0(VALU_DEP_1)
	v_add3_u32 v23, v23, v26, v27
.LBB2069_972:                           ;   in Loop: Header=BB2069_20 Depth=1
	s_or_b32 exec_lo, exec_lo, s7
	s_delay_alu instid0(VALU_DEP_1)
	v_mov_b32_dpp v24, v23 row_shr:1 row_mask:0xf bank_mask:0xf
	v_cmp_eq_u32_e64 s7, 0, v97
	v_cmp_lt_u32_e64 s8, 1, v97
	v_cmp_lt_u32_e64 s9, 3, v97
	;; [unrolled: 1-line block ×3, first 2 shown]
	v_cmp_eq_u32_e64 s11, 0, v99
	v_cndmask_b32_e64 v24, v24, 0, s7
	s_delay_alu instid0(VALU_DEP_1) | instskip(NEXT) | instid1(VALU_DEP_1)
	v_add_nc_u32_e32 v23, v24, v23
	v_mov_b32_dpp v24, v23 row_shr:2 row_mask:0xf bank_mask:0xf
	s_delay_alu instid0(VALU_DEP_1) | instskip(NEXT) | instid1(VALU_DEP_1)
	v_cndmask_b32_e64 v24, 0, v24, s8
	v_add_nc_u32_e32 v23, v23, v24
	s_delay_alu instid0(VALU_DEP_1) | instskip(NEXT) | instid1(VALU_DEP_1)
	v_mov_b32_dpp v24, v23 row_shr:4 row_mask:0xf bank_mask:0xf
	v_cndmask_b32_e64 v24, 0, v24, s9
	s_delay_alu instid0(VALU_DEP_1) | instskip(NEXT) | instid1(VALU_DEP_1)
	v_add_nc_u32_e32 v23, v23, v24
	v_mov_b32_dpp v24, v23 row_shr:8 row_mask:0xf bank_mask:0xf
	s_delay_alu instid0(VALU_DEP_1) | instskip(NEXT) | instid1(VALU_DEP_1)
	v_cndmask_b32_e64 v24, 0, v24, s10
	v_add_nc_u32_e32 v23, v23, v24
	ds_swizzle_b32 v24, v23 offset:swizzle(BROADCAST,32,15)
	s_wait_dscnt 0x0
	v_and_b32_e32 v24, v98, v24
	s_delay_alu instid0(VALU_DEP_1)
	v_add_nc_u32_e32 v23, v23, v24
	s_and_saveexec_b32 s12, s1
; %bb.973:                              ;   in Loop: Header=BB2069_20 Depth=1
	ds_store_b32 v86, v23
; %bb.974:                              ;   in Loop: Header=BB2069_20 Depth=1
	s_or_b32 exec_lo, exec_lo, s12
	s_wait_dscnt 0x0
	s_barrier_signal -1
	s_barrier_wait -1
	s_and_saveexec_b32 s12, s4
	s_cbranch_execz .LBB2069_976
; %bb.975:                              ;   in Loop: Header=BB2069_20 Depth=1
	ds_load_b32 v24, v87
	v_cmp_ne_u32_e32 vcc_lo, 0, v101
	s_wait_dscnt 0x0
	v_mov_b32_dpp v25, v24 row_shr:1 row_mask:0xf bank_mask:0xf
	s_delay_alu instid0(VALU_DEP_1) | instskip(SKIP_1) | instid1(VALU_DEP_2)
	v_cndmask_b32_e32 v25, 0, v25, vcc_lo
	v_cmp_lt_u32_e32 vcc_lo, 1, v101
	v_add_nc_u32_e32 v24, v25, v24
	s_delay_alu instid0(VALU_DEP_1) | instskip(NEXT) | instid1(VALU_DEP_1)
	v_mov_b32_dpp v25, v24 row_shr:2 row_mask:0xf bank_mask:0xf
	v_cndmask_b32_e32 v25, 0, v25, vcc_lo
	v_cmp_lt_u32_e32 vcc_lo, 3, v101
	s_delay_alu instid0(VALU_DEP_2) | instskip(NEXT) | instid1(VALU_DEP_1)
	v_add_nc_u32_e32 v24, v24, v25
	v_mov_b32_dpp v25, v24 row_shr:4 row_mask:0xf bank_mask:0xf
	s_delay_alu instid0(VALU_DEP_1) | instskip(NEXT) | instid1(VALU_DEP_1)
	v_cndmask_b32_e32 v25, 0, v25, vcc_lo
	v_add_nc_u32_e32 v24, v24, v25
	ds_store_b32 v87, v24
.LBB2069_976:                           ;   in Loop: Header=BB2069_20 Depth=1
	s_or_b32 exec_lo, exec_lo, s12
	v_mov_b32_e32 v24, 0
	s_wait_dscnt 0x0
	s_barrier_signal -1
	s_barrier_wait -1
	s_and_saveexec_b32 s12, s5
; %bb.977:                              ;   in Loop: Header=BB2069_20 Depth=1
	ds_load_b32 v24, v88
; %bb.978:                              ;   in Loop: Header=BB2069_20 Depth=1
	s_or_b32 exec_lo, exec_lo, s12
	v_cmp_gt_i32_e32 vcc_lo, 0, v102
	s_wait_dscnt 0x0
	s_barrier_signal -1
	s_barrier_wait -1
	v_cndmask_b32_e32 v25, v102, v95, vcc_lo
	s_delay_alu instid0(VALU_DEP_1)
	v_dual_add_nc_u32 v23, v24, v23 :: v_dual_lshlrev_b32 v122, 2, v25
	ds_bpermute_b32 v23, v122, v23
	s_and_saveexec_b32 s12, s0
	s_cbranch_execz .LBB2069_980
; %bb.979:                              ;   in Loop: Header=BB2069_20 Depth=1
	s_wait_dscnt 0x0
	v_cndmask_b32_e64 v23, v23, v24, s6
	s_delay_alu instid0(VALU_DEP_1)
	v_add_nc_u32_e32 v23, s54, v23
	ds_store_b32 v3, v23
.LBB2069_980:                           ;   in Loop: Header=BB2069_20 Depth=1
	s_or_b32 exec_lo, exec_lo, s12
	s_load_b64 s[12:13], s[34:35], 0x0
	s_mov_b32 s53, s56
                                        ; implicit-def: $vgpr30_vgpr31
                                        ; implicit-def: $vgpr32_vgpr33
                                        ; implicit-def: $vgpr34_vgpr35
                                        ; implicit-def: $vgpr36_vgpr37
                                        ; implicit-def: $vgpr38_vgpr39
                                        ; implicit-def: $vgpr40_vgpr41
                                        ; implicit-def: $vgpr42_vgpr43
                                        ; implicit-def: $vgpr44_vgpr45
                                        ; implicit-def: $vgpr46_vgpr47
                                        ; implicit-def: $vgpr48_vgpr49
                                        ; implicit-def: $vgpr50_vgpr51
                                        ; implicit-def: $vgpr52_vgpr53
                                        ; implicit-def: $vgpr54_vgpr55
                                        ; implicit-def: $vgpr56_vgpr57
                                        ; implicit-def: $vgpr58_vgpr59
                                        ; implicit-def: $vgpr123
                                        ; implicit-def: $vgpr124
                                        ; implicit-def: $vgpr125
                                        ; implicit-def: $vgpr126
                                        ; implicit-def: $vgpr127
                                        ; implicit-def: $vgpr128
                                        ; implicit-def: $vgpr129
                                        ; implicit-def: $vgpr130
                                        ; implicit-def: $vgpr131
                                        ; implicit-def: $vgpr132
                                        ; implicit-def: $vgpr133
                                        ; implicit-def: $vgpr134
                                        ; implicit-def: $vgpr135
                                        ; implicit-def: $vgpr136
                                        ; implicit-def: $vgpr137
                                        ; implicit-def: $vgpr138
	s_wait_kmcnt 0x0
	s_cmp_lt_u32 s33, s12
	s_cselect_b32 s42, 12, 18
	s_cmp_lt_u32 s31, s13
	s_mov_b32 s13, s43
	s_cselect_b32 s12, 14, 20
	s_delay_alu instid0(SALU_CYCLE_1)
	s_add_nc_u64 s[12:13], s[34:35], s[12:13]
	s_load_u16 s14, s[12:13], 0x0
	s_wait_xcnt 0x0
	s_add_nc_u64 s[12:13], s[34:35], s[42:43]
	s_mov_b32 s42, s54
	s_load_u16 s12, s[12:13], 0x0
	s_wait_xcnt 0x0
	v_cmp_lt_u32_e64 s13, 1, v101
	s_wait_dscnt 0x0
	s_wait_kmcnt 0x0
	v_mad_u32_u24 v23, v89, s14, v90
	v_cmp_lt_u32_e64 s14, 3, v101
	s_delay_alu instid0(VALU_DEP_2) | instskip(SKIP_2) | instid1(VALU_DEP_3)
	v_mad_u32 v24, v23, s12, v2
	v_mov_b32_e32 v23, v5
	v_cmp_eq_u32_e64 s12, 0, v101
	v_lshrrev_b32_e32 v28, 3, v24
	v_add_nc_u64_e32 v[24:25], v[18:19], v[4:5]
	s_delay_alu instid0(VALU_DEP_4) | instskip(NEXT) | instid1(VALU_DEP_3)
	v_add_nc_u64_e32 v[26:27], v[20:21], v[22:23]
	v_and_b32_e32 v23, 0x1ffffffc, v28
                                        ; implicit-def: $vgpr28_vgpr29
	s_branch .LBB2069_982
.LBB2069_981:                           ;   in Loop: Header=BB2069_982 Depth=2
	s_or_b32 exec_lo, exec_lo, s15
	s_addk_co_i32 s53, 0xf000
	s_cmp_lt_u32 s57, s51
	s_mov_b32 s42, s57
	s_cbranch_scc0 .LBB2069_18
.LBB2069_982:                           ;   Parent Loop BB2069_20 Depth=1
                                        ; =>  This Inner Loop Header: Depth=2
	s_add_co_i32 s57, s42, 0x1000
	s_delay_alu instid0(SALU_CYCLE_1)
	s_cmp_gt_u32 s57, s51
	s_cbranch_scc1 .LBB2069_984
; %bb.983:                              ;   in Loop: Header=BB2069_982 Depth=2
	s_delay_alu instid0(VALU_DEP_2)
	v_lshl_add_u64 v[60:61], s[42:43], 1, v[26:27]
	s_mov_b32 s15, -1
	s_clause 0xe
	global_load_u16 v140, v[60:61], off
	global_load_u16 v141, v[60:61], off offset:64
	global_load_u16 v144, v[60:61], off offset:128
	global_load_u16 v148, v[60:61], off offset:192
	global_load_u16 v152, v[60:61], off offset:256
	global_load_u16 v156, v[60:61], off offset:320
	global_load_u16 v160, v[60:61], off offset:384
	global_load_u16 v164, v[60:61], off offset:448
	global_load_u16 v168, v[60:61], off offset:512
	global_load_u16 v67, v[60:61], off offset:576
	global_load_u16 v66, v[60:61], off offset:640
	global_load_u16 v65, v[60:61], off offset:704
	global_load_u16 v64, v[60:61], off offset:768
	global_load_u16 v63, v[60:61], off offset:832
	global_load_u16 v62, v[60:61], off offset:896
	s_movk_i32 s16, 0x1000
	s_cbranch_execz .LBB2069_985
	s_branch .LBB2069_1016
.LBB2069_984:                           ;   in Loop: Header=BB2069_982 Depth=2
	s_mov_b32 s15, 0
                                        ; implicit-def: $vgpr140
                                        ; implicit-def: $vgpr141
                                        ; implicit-def: $vgpr144
                                        ; implicit-def: $vgpr148
                                        ; implicit-def: $vgpr152
                                        ; implicit-def: $vgpr156
                                        ; implicit-def: $vgpr160
                                        ; implicit-def: $vgpr164
                                        ; implicit-def: $vgpr168
                                        ; implicit-def: $vgpr67
                                        ; implicit-def: $vgpr66
                                        ; implicit-def: $vgpr65
                                        ; implicit-def: $vgpr64
                                        ; implicit-def: $vgpr63
                                        ; implicit-def: $vgpr62
	s_movk_i32 s16, 0x1000
.LBB2069_985:                           ;   in Loop: Header=BB2069_982 Depth=2
	s_wait_xcnt 0x0
	v_lshl_add_u64 v[60:61], s[42:43], 1, v[26:27]
	s_wait_loadcnt 0xd
	v_dual_mov_b32 v141, 0x7fff :: v_dual_mov_b32 v140, 0x7fff
	s_mov_b32 s15, exec_lo
	v_cmpx_gt_u32_e64 s53, v100
	s_cbranch_execz .LBB2069_987
; %bb.986:                              ;   in Loop: Header=BB2069_982 Depth=2
	global_load_u16 v140, v[60:61], off
.LBB2069_987:                           ;   in Loop: Header=BB2069_982 Depth=2
	s_wait_xcnt 0x0
	s_or_b32 exec_lo, exec_lo, s15
	s_delay_alu instid0(SALU_CYCLE_1)
	s_mov_b32 s15, exec_lo
	v_cmpx_gt_u32_e64 s53, v103
	s_cbranch_execz .LBB2069_989
; %bb.988:                              ;   in Loop: Header=BB2069_982 Depth=2
	global_load_u16 v141, v[60:61], off offset:64
.LBB2069_989:                           ;   in Loop: Header=BB2069_982 Depth=2
	s_wait_xcnt 0x0
	s_or_b32 exec_lo, exec_lo, s15
	s_wait_loadcnt 0xb
	v_mov_b32_e32 v148, 0x7fff
	v_mov_b32_e32 v144, 0x7fff
	s_mov_b32 s15, exec_lo
	v_cmpx_gt_u32_e64 s53, v104
	s_cbranch_execz .LBB2069_991
; %bb.990:                              ;   in Loop: Header=BB2069_982 Depth=2
	global_load_u16 v144, v[60:61], off offset:128
.LBB2069_991:                           ;   in Loop: Header=BB2069_982 Depth=2
	s_wait_xcnt 0x0
	s_or_b32 exec_lo, exec_lo, s15
	s_delay_alu instid0(SALU_CYCLE_1)
	s_mov_b32 s15, exec_lo
	v_cmpx_gt_u32_e64 s53, v105
	s_cbranch_execz .LBB2069_993
; %bb.992:                              ;   in Loop: Header=BB2069_982 Depth=2
	global_load_u16 v148, v[60:61], off offset:192
.LBB2069_993:                           ;   in Loop: Header=BB2069_982 Depth=2
	s_wait_xcnt 0x0
	s_or_b32 exec_lo, exec_lo, s15
	s_wait_loadcnt 0x9
	v_mov_b32_e32 v156, 0x7fff
	v_mov_b32_e32 v152, 0x7fff
	s_mov_b32 s15, exec_lo
	v_cmpx_gt_u32_e64 s53, v106
	s_cbranch_execz .LBB2069_995
; %bb.994:                              ;   in Loop: Header=BB2069_982 Depth=2
	global_load_u16 v152, v[60:61], off offset:256
.LBB2069_995:                           ;   in Loop: Header=BB2069_982 Depth=2
	;; [unrolled: 20-line block ×3, first 2 shown]
	s_wait_xcnt 0x0
	s_or_b32 exec_lo, exec_lo, s15
	s_delay_alu instid0(SALU_CYCLE_1)
	s_mov_b32 s15, exec_lo
	v_cmpx_gt_u32_e64 s53, v109
	s_cbranch_execz .LBB2069_1001
; %bb.1000:                             ;   in Loop: Header=BB2069_982 Depth=2
	global_load_u16 v164, v[60:61], off offset:448
.LBB2069_1001:                          ;   in Loop: Header=BB2069_982 Depth=2
	s_wait_xcnt 0x0
	s_or_b32 exec_lo, exec_lo, s15
	s_wait_loadcnt 0x5
	v_dual_mov_b32 v67, 0x7fff :: v_dual_mov_b32 v168, 0x7fff
	s_mov_b32 s15, exec_lo
	v_cmpx_gt_u32_e64 s53, v110
	s_cbranch_execz .LBB2069_1003
; %bb.1002:                             ;   in Loop: Header=BB2069_982 Depth=2
	global_load_u16 v168, v[60:61], off offset:512
.LBB2069_1003:                          ;   in Loop: Header=BB2069_982 Depth=2
	s_wait_xcnt 0x0
	s_or_b32 exec_lo, exec_lo, s15
	s_delay_alu instid0(SALU_CYCLE_1)
	s_mov_b32 s15, exec_lo
	v_cmpx_gt_u32_e64 s53, v111
	s_cbranch_execz .LBB2069_1005
; %bb.1004:                             ;   in Loop: Header=BB2069_982 Depth=2
	global_load_u16 v67, v[60:61], off offset:576
.LBB2069_1005:                          ;   in Loop: Header=BB2069_982 Depth=2
	s_wait_xcnt 0x0
	s_or_b32 exec_lo, exec_lo, s15
	s_wait_loadcnt 0x3
	v_dual_mov_b32 v65, 0x7fff :: v_dual_mov_b32 v66, 0x7fff
	s_mov_b32 s15, exec_lo
	v_cmpx_gt_u32_e64 s53, v112
	s_cbranch_execz .LBB2069_1007
; %bb.1006:                             ;   in Loop: Header=BB2069_982 Depth=2
	global_load_u16 v66, v[60:61], off offset:640
.LBB2069_1007:                          ;   in Loop: Header=BB2069_982 Depth=2
	;; [unrolled: 19-line block ×3, first 2 shown]
	s_wait_xcnt 0x0
	s_or_b32 exec_lo, exec_lo, s15
	s_delay_alu instid0(SALU_CYCLE_1)
	s_mov_b32 s15, exec_lo
	v_cmpx_gt_u32_e64 s53, v115
	s_cbranch_execz .LBB2069_1013
; %bb.1012:                             ;   in Loop: Header=BB2069_982 Depth=2
	global_load_u16 v63, v[60:61], off offset:832
.LBB2069_1013:                          ;   in Loop: Header=BB2069_982 Depth=2
	s_wait_xcnt 0x0
	s_or_b32 exec_lo, exec_lo, s15
	s_wait_loadcnt 0x0
	v_mov_b32_e32 v62, 0x7fff
	s_mov_b32 s15, exec_lo
	v_cmpx_gt_u32_e64 s53, v116
	s_cbranch_execz .LBB2069_1015
; %bb.1014:                             ;   in Loop: Header=BB2069_982 Depth=2
	global_load_u16 v62, v[60:61], off offset:896
.LBB2069_1015:                          ;   in Loop: Header=BB2069_982 Depth=2
	s_wait_xcnt 0x0
	s_or_b32 exec_lo, exec_lo, s15
	v_cmp_gt_u32_e64 s15, s53, v117
	s_sub_co_i32 s16, s51, s42
.LBB2069_1016:                          ;   in Loop: Header=BB2069_982 Depth=2
	s_wait_xcnt 0x0
	v_dual_mov_b32 v60, 0x7fff :: v_dual_mov_b32 v139, s53
	s_and_saveexec_b32 s17, s15
	s_cbranch_execz .LBB2069_1018
; %bb.1017:                             ;   in Loop: Header=BB2069_982 Depth=2
	v_lshl_add_u64 v[60:61], s[42:43], 1, v[26:27]
	v_mov_b32_e32 v139, s16
	global_load_u16 v60, v[60:61], off offset:960
.LBB2069_1018:                          ;   in Loop: Header=BB2069_982 Depth=2
	s_wait_xcnt 0x0
	s_or_b32 exec_lo, exec_lo, s17
	s_wait_loadcnt 0xe
	v_cmp_lt_i16_e64 vcc_lo, -1, v140
	ds_store_2addr_b32 v121, v5, v5 offset1:1
	ds_store_2addr_b32 v118, v5, v5 offset1:1
	;; [unrolled: 1-line block ×4, first 2 shown]
	ds_store_b32 v91, v5 offset:1088
	s_wait_loadcnt_dscnt 0x0
	s_barrier_signal -1
	v_cndmask_b32_e64 v61, -1, 0xffff8000, vcc_lo
	s_barrier_wait -1
	; wave barrier
	s_delay_alu instid0(VALU_DEP_1) | instskip(NEXT) | instid1(VALU_DEP_1)
	v_xor_b32_e32 v140, v61, v140
	v_cmp_ne_u16_e64 vcc_lo, 0x7fff, v140
	v_cndmask_b32_e32 v61, 0xffff8000, v140, vcc_lo
	s_delay_alu instid0(VALU_DEP_1) | instskip(NEXT) | instid1(VALU_DEP_1)
	v_and_b32_e32 v61, 0xffff, v61
	v_lshrrev_b32_e32 v61, s49, v61
	s_delay_alu instid0(VALU_DEP_1) | instskip(SKIP_1) | instid1(VALU_DEP_2)
	v_bitop3_b32 v142, v61, 1, s52 bitop3:0x80
	v_and_b32_e32 v143, s52, v61
	v_add_co_u32 v61, s15, v142, -1
	s_delay_alu instid0(VALU_DEP_1) | instskip(NEXT) | instid1(VALU_DEP_3)
	v_cndmask_b32_e64 v142, 0, 1, s15
	v_lshlrev_b32_e32 v145, 30, v143
	s_delay_alu instid0(VALU_DEP_2) | instskip(NEXT) | instid1(VALU_DEP_2)
	v_cmp_ne_u32_e32 vcc_lo, 0, v142
	v_not_b32_e32 v142, v145
	s_delay_alu instid0(VALU_DEP_1) | instskip(SKIP_3) | instid1(VALU_DEP_4)
	v_dual_ashrrev_i32 v142, 31, v142 :: v_dual_lshlrev_b32 v146, 29, v143
	v_dual_lshlrev_b32 v147, 28, v143 :: v_dual_lshlrev_b32 v149, 27, v143
	v_lshlrev_b32_e32 v150, 26, v143
	v_cmp_gt_i32_e64 s15, 0, v145
	v_cmp_gt_i32_e64 s16, 0, v146
	v_not_b32_e32 v145, v146
	v_not_b32_e32 v146, v147
	v_dual_lshlrev_b32 v151, 25, v143 :: v_dual_lshlrev_b32 v153, 24, v143
	v_cmp_gt_i32_e64 s17, 0, v147
	v_cmp_gt_i32_e64 s18, 0, v149
	v_not_b32_e32 v147, v149
	v_not_b32_e32 v149, v150
	v_dual_ashrrev_i32 v146, 31, v146 :: v_dual_bitop2_b32 v61, vcc_lo, v61 bitop3:0x14
	v_dual_ashrrev_i32 v145, 31, v145 :: v_dual_bitop2_b32 v142, s15, v142 bitop3:0x14
	v_cmp_gt_i32_e64 s19, 0, v150
	v_cmp_gt_i32_e64 s20, 0, v151
	v_not_b32_e32 v150, v151
	v_not_b32_e32 v151, v153
	v_dual_ashrrev_i32 v147, 31, v147 :: v_dual_ashrrev_i32 v149, 31, v149
	v_xor_b32_e32 v145, s16, v145
	v_xor_b32_e32 v146, s17, v146
	v_bitop3_b32 v61, v61, v142, exec_lo bitop3:0x80
	v_cmp_gt_i32_e64 s21, 0, v153
	v_dual_ashrrev_i32 v142, 31, v150 :: v_dual_ashrrev_i32 v150, 31, v151
	v_xor_b32_e32 v147, s18, v147
	s_delay_alu instid0(VALU_DEP_4) | instskip(SKIP_3) | instid1(VALU_DEP_3)
	v_bitop3_b32 v61, v61, v146, v145 bitop3:0x80
	v_mul_u32_u24_e32 v143, 36, v143
	v_xor_b32_e32 v149, s19, v149
	v_xor_b32_e32 v142, s20, v142
	v_dual_add_nc_u32 v143, v23, v143 :: v_dual_bitop2_b32 v145, s21, v150 bitop3:0x14
	s_delay_alu instid0(VALU_DEP_3) | instskip(NEXT) | instid1(VALU_DEP_1)
	v_bitop3_b32 v61, v61, v149, v147 bitop3:0x80
	v_bitop3_b32 v61, v61, v145, v142 bitop3:0x80
	s_delay_alu instid0(VALU_DEP_1) | instskip(SKIP_1) | instid1(VALU_DEP_2)
	v_mbcnt_lo_u32_b32 v142, v61, 0
	v_cmp_ne_u32_e64 s15, 0, v61
	v_cmp_eq_u32_e32 vcc_lo, 0, v142
	s_and_b32 s16, s15, vcc_lo
	s_delay_alu instid0(SALU_CYCLE_1)
	s_and_saveexec_b32 s15, s16
; %bb.1019:                             ;   in Loop: Header=BB2069_982 Depth=2
	v_bcnt_u32_b32 v61, v61, 0
	ds_store_b32 v143, v61 offset:1056
; %bb.1020:                             ;   in Loop: Header=BB2069_982 Depth=2
	s_or_b32 exec_lo, exec_lo, s15
	v_cmp_lt_i16_e64 vcc_lo, -1, v141
	; wave barrier
	s_delay_alu instid0(VALU_DEP_1) | instskip(NEXT) | instid1(VALU_DEP_1)
	v_cndmask_b32_e64 v61, -1, 0xffff8000, vcc_lo
	v_xor_b32_e32 v141, v61, v141
	s_delay_alu instid0(VALU_DEP_1) | instskip(SKIP_1) | instid1(VALU_DEP_1)
	v_cmp_ne_u16_e64 vcc_lo, 0x7fff, v141
	v_cndmask_b32_e32 v61, 0xffff8000, v141, vcc_lo
	v_and_b32_e32 v61, 0xffff, v61
	s_delay_alu instid0(VALU_DEP_1) | instskip(NEXT) | instid1(VALU_DEP_1)
	v_lshrrev_b32_e32 v61, s49, v61
	v_and_b32_e32 v147, s52, v61
	s_delay_alu instid0(VALU_DEP_1) | instskip(SKIP_2) | instid1(VALU_DEP_3)
	v_lshlrev_b32_e32 v149, 29, v147
	v_bitop3_b32 v145, v61, 1, s52 bitop3:0x80
	v_lshlrev_b32_e32 v146, 30, v147
	v_cmp_gt_i32_e64 s16, 0, v149
	s_delay_alu instid0(VALU_DEP_3) | instskip(NEXT) | instid1(VALU_DEP_1)
	v_add_co_u32 v61, s15, v145, -1
	v_cndmask_b32_e64 v145, 0, 1, s15
	s_delay_alu instid0(VALU_DEP_4) | instskip(NEXT) | instid1(VALU_DEP_2)
	v_cmp_gt_i32_e64 s15, 0, v146
	v_cmp_ne_u32_e32 vcc_lo, 0, v145
	v_not_b32_e32 v145, v146
	v_not_b32_e32 v146, v149
	s_delay_alu instid0(VALU_DEP_1) | instskip(SKIP_2) | instid1(VALU_DEP_3)
	v_dual_ashrrev_i32 v146, 31, v146 :: v_dual_lshlrev_b32 v150, 28, v147
	v_dual_lshlrev_b32 v151, 27, v147 :: v_dual_lshlrev_b32 v153, 26, v147
	v_dual_lshlrev_b32 v154, 25, v147 :: v_dual_lshlrev_b32 v155, 24, v147
	v_cmp_gt_i32_e64 s17, 0, v150
	v_not_b32_e32 v149, v150
	s_delay_alu instid0(VALU_DEP_4)
	v_not_b32_e32 v150, v151
	v_ashrrev_i32_e32 v145, 31, v145
	v_cmp_gt_i32_e64 s18, 0, v151
	v_cmp_gt_i32_e64 s19, 0, v153
	v_not_b32_e32 v151, v153
	v_cmp_gt_i32_e64 s20, 0, v154
	v_not_b32_e32 v153, v154
	v_not_b32_e32 v154, v155
	s_delay_alu instid0(VALU_DEP_4) | instskip(SKIP_3) | instid1(VALU_DEP_3)
	v_dual_ashrrev_i32 v151, 31, v151 :: v_dual_bitop2_b32 v61, vcc_lo, v61 bitop3:0x14
	v_dual_ashrrev_i32 v149, 31, v149 :: v_dual_bitop2_b32 v146, s16, v146 bitop3:0x14
	v_dual_ashrrev_i32 v150, 31, v150 :: v_dual_bitop2_b32 v145, s15, v145 bitop3:0x14
	v_cmp_gt_i32_e64 s21, 0, v155
	v_xor_b32_e32 v149, s17, v149
	v_xor_b32_e32 v151, s19, v151
	s_delay_alu instid0(VALU_DEP_4) | instskip(SKIP_2) | instid1(VALU_DEP_2)
	v_xor_b32_e32 v150, s18, v150
	v_bitop3_b32 v61, v61, v145, exec_lo bitop3:0x80
	v_dual_ashrrev_i32 v145, 31, v153 :: v_dual_ashrrev_i32 v153, 31, v154
	v_bitop3_b32 v61, v61, v149, v146 bitop3:0x80
	v_mad_u32_u24 v146, v147, 36, v23
	s_delay_alu instid0(VALU_DEP_3) | instskip(NEXT) | instid1(VALU_DEP_4)
	v_xor_b32_e32 v149, s20, v145
	v_xor_b32_e32 v153, s21, v153
	v_mul_u32_u24_e32 v147, 36, v147
	v_bitop3_b32 v61, v61, v151, v150 bitop3:0x80
	ds_load_b32 v145, v146 offset:1056
	; wave barrier
	v_add_nc_u32_e32 v147, v23, v147
	v_bitop3_b32 v61, v61, v153, v149 bitop3:0x80
	s_delay_alu instid0(VALU_DEP_1) | instskip(SKIP_1) | instid1(VALU_DEP_2)
	v_mbcnt_lo_u32_b32 v146, v61, 0
	v_cmp_ne_u32_e64 s15, 0, v61
	v_cmp_eq_u32_e32 vcc_lo, 0, v146
	s_and_b32 s16, s15, vcc_lo
	s_delay_alu instid0(SALU_CYCLE_1)
	s_and_saveexec_b32 s15, s16
	s_cbranch_execz .LBB2069_1022
; %bb.1021:                             ;   in Loop: Header=BB2069_982 Depth=2
	s_wait_dscnt 0x0
	v_bcnt_u32_b32 v61, v61, v145
	ds_store_b32 v147, v61 offset:1056
.LBB2069_1022:                          ;   in Loop: Header=BB2069_982 Depth=2
	s_or_b32 exec_lo, exec_lo, s15
	v_cmp_lt_i16_e64 vcc_lo, -1, v144
	; wave barrier
	s_delay_alu instid0(VALU_DEP_1) | instskip(NEXT) | instid1(VALU_DEP_1)
	v_cndmask_b32_e64 v61, -1, 0xffff8000, vcc_lo
	v_xor_b32_e32 v144, v61, v144
	s_delay_alu instid0(VALU_DEP_1) | instskip(SKIP_1) | instid1(VALU_DEP_1)
	v_cmp_ne_u16_e64 vcc_lo, 0x7fff, v144
	v_cndmask_b32_e32 v61, 0xffff8000, v144, vcc_lo
	v_and_b32_e32 v61, 0xffff, v61
	s_delay_alu instid0(VALU_DEP_1) | instskip(NEXT) | instid1(VALU_DEP_1)
	v_lshrrev_b32_e32 v61, s49, v61
	v_bitop3_b32 v149, v61, 1, s52 bitop3:0x80
	v_and_b32_e32 v151, s52, v61
	s_delay_alu instid0(VALU_DEP_2) | instskip(NEXT) | instid1(VALU_DEP_1)
	v_add_co_u32 v61, s15, v149, -1
	v_cndmask_b32_e64 v149, 0, 1, s15
	s_delay_alu instid0(VALU_DEP_3) | instskip(NEXT) | instid1(VALU_DEP_2)
	v_dual_lshlrev_b32 v150, 30, v151 :: v_dual_lshlrev_b32 v153, 29, v151
	v_cmp_ne_u32_e32 vcc_lo, 0, v149
	s_delay_alu instid0(VALU_DEP_2) | instskip(SKIP_1) | instid1(VALU_DEP_4)
	v_cmp_gt_i32_e64 s15, 0, v150
	v_not_b32_e32 v149, v150
	v_not_b32_e32 v150, v153
	s_delay_alu instid0(VALU_DEP_1) | instskip(SKIP_3) | instid1(VALU_DEP_4)
	v_dual_ashrrev_i32 v150, 31, v150 :: v_dual_lshlrev_b32 v154, 28, v151
	v_dual_lshlrev_b32 v155, 27, v151 :: v_dual_lshlrev_b32 v157, 26, v151
	v_dual_lshlrev_b32 v158, 25, v151 :: v_dual_lshlrev_b32 v159, 24, v151
	v_cmp_gt_i32_e64 s16, 0, v153
	v_cmp_gt_i32_e64 s17, 0, v154
	v_not_b32_e32 v153, v154
	v_not_b32_e32 v154, v155
	v_ashrrev_i32_e32 v149, 31, v149
	v_cmp_gt_i32_e64 s18, 0, v155
	v_cmp_gt_i32_e64 s19, 0, v157
	v_not_b32_e32 v155, v157
	v_cmp_gt_i32_e64 s20, 0, v158
	v_not_b32_e32 v157, v158
	v_not_b32_e32 v158, v159
	s_delay_alu instid0(VALU_DEP_4) | instskip(SKIP_3) | instid1(VALU_DEP_3)
	v_dual_ashrrev_i32 v155, 31, v155 :: v_dual_bitop2_b32 v61, vcc_lo, v61 bitop3:0x14
	v_dual_ashrrev_i32 v153, 31, v153 :: v_dual_bitop2_b32 v150, s16, v150 bitop3:0x14
	v_dual_ashrrev_i32 v154, 31, v154 :: v_dual_bitop2_b32 v149, s15, v149 bitop3:0x14
	v_cmp_gt_i32_e64 s21, 0, v159
	v_xor_b32_e32 v153, s17, v153
	v_xor_b32_e32 v155, s19, v155
	s_delay_alu instid0(VALU_DEP_4) | instskip(SKIP_2) | instid1(VALU_DEP_2)
	v_xor_b32_e32 v154, s18, v154
	v_bitop3_b32 v61, v61, v149, exec_lo bitop3:0x80
	v_dual_ashrrev_i32 v149, 31, v157 :: v_dual_ashrrev_i32 v157, 31, v158
	v_bitop3_b32 v61, v61, v153, v150 bitop3:0x80
	v_mad_u32_u24 v150, v151, 36, v23
	s_delay_alu instid0(VALU_DEP_3) | instskip(NEXT) | instid1(VALU_DEP_4)
	v_xor_b32_e32 v153, s20, v149
	v_xor_b32_e32 v157, s21, v157
	v_mul_u32_u24_e32 v151, 36, v151
	v_bitop3_b32 v61, v61, v155, v154 bitop3:0x80
	ds_load_b32 v149, v150 offset:1056
	; wave barrier
	v_add_nc_u32_e32 v151, v23, v151
	v_bitop3_b32 v61, v61, v157, v153 bitop3:0x80
	s_delay_alu instid0(VALU_DEP_1) | instskip(SKIP_1) | instid1(VALU_DEP_2)
	v_mbcnt_lo_u32_b32 v150, v61, 0
	v_cmp_ne_u32_e64 s15, 0, v61
	v_cmp_eq_u32_e32 vcc_lo, 0, v150
	s_and_b32 s16, s15, vcc_lo
	s_delay_alu instid0(SALU_CYCLE_1)
	s_and_saveexec_b32 s15, s16
	s_cbranch_execz .LBB2069_1024
; %bb.1023:                             ;   in Loop: Header=BB2069_982 Depth=2
	s_wait_dscnt 0x0
	v_bcnt_u32_b32 v61, v61, v149
	ds_store_b32 v151, v61 offset:1056
.LBB2069_1024:                          ;   in Loop: Header=BB2069_982 Depth=2
	s_or_b32 exec_lo, exec_lo, s15
	v_cmp_lt_i16_e64 vcc_lo, -1, v148
	; wave barrier
	s_delay_alu instid0(VALU_DEP_1) | instskip(NEXT) | instid1(VALU_DEP_1)
	v_cndmask_b32_e64 v61, -1, 0xffff8000, vcc_lo
	v_xor_b32_e32 v148, v61, v148
	s_delay_alu instid0(VALU_DEP_1) | instskip(SKIP_1) | instid1(VALU_DEP_1)
	v_cmp_ne_u16_e64 vcc_lo, 0x7fff, v148
	v_cndmask_b32_e32 v61, 0xffff8000, v148, vcc_lo
	v_and_b32_e32 v61, 0xffff, v61
	s_delay_alu instid0(VALU_DEP_1) | instskip(NEXT) | instid1(VALU_DEP_1)
	v_lshrrev_b32_e32 v61, s49, v61
	v_bitop3_b32 v153, v61, 1, s52 bitop3:0x80
	v_and_b32_e32 v155, s52, v61
	s_delay_alu instid0(VALU_DEP_2) | instskip(NEXT) | instid1(VALU_DEP_1)
	v_add_co_u32 v61, s15, v153, -1
	v_cndmask_b32_e64 v153, 0, 1, s15
	s_delay_alu instid0(VALU_DEP_3) | instskip(NEXT) | instid1(VALU_DEP_2)
	v_dual_lshlrev_b32 v154, 30, v155 :: v_dual_lshlrev_b32 v157, 29, v155
	v_cmp_ne_u32_e32 vcc_lo, 0, v153
	s_delay_alu instid0(VALU_DEP_2) | instskip(SKIP_1) | instid1(VALU_DEP_4)
	v_cmp_gt_i32_e64 s15, 0, v154
	v_not_b32_e32 v153, v154
	v_not_b32_e32 v154, v157
	s_delay_alu instid0(VALU_DEP_1) | instskip(SKIP_3) | instid1(VALU_DEP_4)
	v_dual_ashrrev_i32 v154, 31, v154 :: v_dual_lshlrev_b32 v158, 28, v155
	v_dual_lshlrev_b32 v159, 27, v155 :: v_dual_lshlrev_b32 v161, 26, v155
	v_dual_lshlrev_b32 v162, 25, v155 :: v_dual_lshlrev_b32 v163, 24, v155
	v_cmp_gt_i32_e64 s16, 0, v157
	v_cmp_gt_i32_e64 s17, 0, v158
	v_not_b32_e32 v157, v158
	v_not_b32_e32 v158, v159
	v_ashrrev_i32_e32 v153, 31, v153
	v_cmp_gt_i32_e64 s18, 0, v159
	v_cmp_gt_i32_e64 s19, 0, v161
	v_not_b32_e32 v159, v161
	v_cmp_gt_i32_e64 s20, 0, v162
	v_not_b32_e32 v161, v162
	v_not_b32_e32 v162, v163
	s_delay_alu instid0(VALU_DEP_4) | instskip(SKIP_3) | instid1(VALU_DEP_3)
	v_dual_ashrrev_i32 v159, 31, v159 :: v_dual_bitop2_b32 v61, vcc_lo, v61 bitop3:0x14
	v_dual_ashrrev_i32 v157, 31, v157 :: v_dual_bitop2_b32 v154, s16, v154 bitop3:0x14
	v_dual_ashrrev_i32 v158, 31, v158 :: v_dual_bitop2_b32 v153, s15, v153 bitop3:0x14
	v_cmp_gt_i32_e64 s21, 0, v163
	v_xor_b32_e32 v157, s17, v157
	v_xor_b32_e32 v159, s19, v159
	s_delay_alu instid0(VALU_DEP_4) | instskip(SKIP_2) | instid1(VALU_DEP_2)
	v_xor_b32_e32 v158, s18, v158
	v_bitop3_b32 v61, v61, v153, exec_lo bitop3:0x80
	v_dual_ashrrev_i32 v153, 31, v161 :: v_dual_ashrrev_i32 v161, 31, v162
	v_bitop3_b32 v61, v61, v157, v154 bitop3:0x80
	v_mad_u32_u24 v154, v155, 36, v23
	s_delay_alu instid0(VALU_DEP_3) | instskip(NEXT) | instid1(VALU_DEP_4)
	v_xor_b32_e32 v157, s20, v153
	v_xor_b32_e32 v161, s21, v161
	v_mul_u32_u24_e32 v155, 36, v155
	v_bitop3_b32 v61, v61, v159, v158 bitop3:0x80
	ds_load_b32 v153, v154 offset:1056
	; wave barrier
	v_add_nc_u32_e32 v155, v23, v155
	v_bitop3_b32 v61, v61, v161, v157 bitop3:0x80
	s_delay_alu instid0(VALU_DEP_1) | instskip(SKIP_1) | instid1(VALU_DEP_2)
	v_mbcnt_lo_u32_b32 v154, v61, 0
	v_cmp_ne_u32_e64 s15, 0, v61
	v_cmp_eq_u32_e32 vcc_lo, 0, v154
	s_and_b32 s16, s15, vcc_lo
	s_delay_alu instid0(SALU_CYCLE_1)
	s_and_saveexec_b32 s15, s16
	s_cbranch_execz .LBB2069_1026
; %bb.1025:                             ;   in Loop: Header=BB2069_982 Depth=2
	s_wait_dscnt 0x0
	v_bcnt_u32_b32 v61, v61, v153
	ds_store_b32 v155, v61 offset:1056
.LBB2069_1026:                          ;   in Loop: Header=BB2069_982 Depth=2
	s_or_b32 exec_lo, exec_lo, s15
	v_cmp_lt_i16_e64 vcc_lo, -1, v152
	; wave barrier
	s_delay_alu instid0(VALU_DEP_1) | instskip(NEXT) | instid1(VALU_DEP_1)
	v_cndmask_b32_e64 v61, -1, 0xffff8000, vcc_lo
	v_xor_b32_e32 v152, v61, v152
	s_delay_alu instid0(VALU_DEP_1) | instskip(SKIP_1) | instid1(VALU_DEP_1)
	v_cmp_ne_u16_e64 vcc_lo, 0x7fff, v152
	v_cndmask_b32_e32 v61, 0xffff8000, v152, vcc_lo
	v_and_b32_e32 v61, 0xffff, v61
	s_delay_alu instid0(VALU_DEP_1) | instskip(NEXT) | instid1(VALU_DEP_1)
	v_lshrrev_b32_e32 v61, s49, v61
	v_bitop3_b32 v157, v61, 1, s52 bitop3:0x80
	v_and_b32_e32 v159, s52, v61
	s_delay_alu instid0(VALU_DEP_2) | instskip(NEXT) | instid1(VALU_DEP_1)
	v_add_co_u32 v61, s15, v157, -1
	v_cndmask_b32_e64 v157, 0, 1, s15
	s_delay_alu instid0(VALU_DEP_3) | instskip(NEXT) | instid1(VALU_DEP_2)
	v_dual_lshlrev_b32 v158, 30, v159 :: v_dual_lshlrev_b32 v161, 29, v159
	v_cmp_ne_u32_e32 vcc_lo, 0, v157
	s_delay_alu instid0(VALU_DEP_2) | instskip(SKIP_1) | instid1(VALU_DEP_4)
	v_cmp_gt_i32_e64 s15, 0, v158
	v_not_b32_e32 v157, v158
	v_not_b32_e32 v158, v161
	s_delay_alu instid0(VALU_DEP_1) | instskip(SKIP_3) | instid1(VALU_DEP_4)
	v_dual_ashrrev_i32 v158, 31, v158 :: v_dual_lshlrev_b32 v162, 28, v159
	v_dual_lshlrev_b32 v163, 27, v159 :: v_dual_lshlrev_b32 v165, 26, v159
	v_dual_lshlrev_b32 v166, 25, v159 :: v_dual_lshlrev_b32 v167, 24, v159
	v_cmp_gt_i32_e64 s16, 0, v161
	v_cmp_gt_i32_e64 s17, 0, v162
	v_not_b32_e32 v161, v162
	v_not_b32_e32 v162, v163
	v_ashrrev_i32_e32 v157, 31, v157
	v_cmp_gt_i32_e64 s18, 0, v163
	v_cmp_gt_i32_e64 s19, 0, v165
	v_not_b32_e32 v163, v165
	v_cmp_gt_i32_e64 s20, 0, v166
	v_not_b32_e32 v165, v166
	v_not_b32_e32 v166, v167
	s_delay_alu instid0(VALU_DEP_4) | instskip(SKIP_3) | instid1(VALU_DEP_3)
	v_dual_ashrrev_i32 v163, 31, v163 :: v_dual_bitop2_b32 v61, vcc_lo, v61 bitop3:0x14
	v_dual_ashrrev_i32 v161, 31, v161 :: v_dual_bitop2_b32 v158, s16, v158 bitop3:0x14
	v_dual_ashrrev_i32 v162, 31, v162 :: v_dual_bitop2_b32 v157, s15, v157 bitop3:0x14
	v_cmp_gt_i32_e64 s21, 0, v167
	v_xor_b32_e32 v161, s17, v161
	v_xor_b32_e32 v163, s19, v163
	s_delay_alu instid0(VALU_DEP_4) | instskip(SKIP_2) | instid1(VALU_DEP_2)
	v_xor_b32_e32 v162, s18, v162
	v_bitop3_b32 v61, v61, v157, exec_lo bitop3:0x80
	v_dual_ashrrev_i32 v157, 31, v165 :: v_dual_ashrrev_i32 v165, 31, v166
	v_bitop3_b32 v61, v61, v161, v158 bitop3:0x80
	v_mad_u32_u24 v158, v159, 36, v23
	s_delay_alu instid0(VALU_DEP_3) | instskip(NEXT) | instid1(VALU_DEP_4)
	v_xor_b32_e32 v161, s20, v157
	v_xor_b32_e32 v165, s21, v165
	v_mul_u32_u24_e32 v159, 36, v159
	v_bitop3_b32 v61, v61, v163, v162 bitop3:0x80
	ds_load_b32 v157, v158 offset:1056
	; wave barrier
	v_add_nc_u32_e32 v159, v23, v159
	v_bitop3_b32 v61, v61, v165, v161 bitop3:0x80
	s_delay_alu instid0(VALU_DEP_1) | instskip(SKIP_1) | instid1(VALU_DEP_2)
	v_mbcnt_lo_u32_b32 v158, v61, 0
	v_cmp_ne_u32_e64 s15, 0, v61
	v_cmp_eq_u32_e32 vcc_lo, 0, v158
	s_and_b32 s16, s15, vcc_lo
	s_delay_alu instid0(SALU_CYCLE_1)
	s_and_saveexec_b32 s15, s16
	s_cbranch_execz .LBB2069_1028
; %bb.1027:                             ;   in Loop: Header=BB2069_982 Depth=2
	s_wait_dscnt 0x0
	v_bcnt_u32_b32 v61, v61, v157
	ds_store_b32 v159, v61 offset:1056
.LBB2069_1028:                          ;   in Loop: Header=BB2069_982 Depth=2
	s_or_b32 exec_lo, exec_lo, s15
	v_cmp_lt_i16_e64 vcc_lo, -1, v156
	; wave barrier
	s_delay_alu instid0(VALU_DEP_1) | instskip(NEXT) | instid1(VALU_DEP_1)
	v_cndmask_b32_e64 v61, -1, 0xffff8000, vcc_lo
	v_xor_b32_e32 v156, v61, v156
	s_delay_alu instid0(VALU_DEP_1) | instskip(SKIP_1) | instid1(VALU_DEP_1)
	v_cmp_ne_u16_e64 vcc_lo, 0x7fff, v156
	v_cndmask_b32_e32 v61, 0xffff8000, v156, vcc_lo
	v_and_b32_e32 v61, 0xffff, v61
	s_delay_alu instid0(VALU_DEP_1) | instskip(NEXT) | instid1(VALU_DEP_1)
	v_lshrrev_b32_e32 v61, s49, v61
	v_bitop3_b32 v161, v61, 1, s52 bitop3:0x80
	v_and_b32_e32 v163, s52, v61
	s_delay_alu instid0(VALU_DEP_2) | instskip(NEXT) | instid1(VALU_DEP_1)
	v_add_co_u32 v61, s15, v161, -1
	v_cndmask_b32_e64 v161, 0, 1, s15
	s_delay_alu instid0(VALU_DEP_3) | instskip(NEXT) | instid1(VALU_DEP_2)
	v_dual_lshlrev_b32 v162, 30, v163 :: v_dual_lshlrev_b32 v165, 29, v163
	v_cmp_ne_u32_e32 vcc_lo, 0, v161
	s_delay_alu instid0(VALU_DEP_2) | instskip(SKIP_1) | instid1(VALU_DEP_4)
	v_cmp_gt_i32_e64 s15, 0, v162
	v_not_b32_e32 v161, v162
	v_not_b32_e32 v162, v165
	s_delay_alu instid0(VALU_DEP_1) | instskip(SKIP_3) | instid1(VALU_DEP_4)
	v_dual_ashrrev_i32 v162, 31, v162 :: v_dual_lshlrev_b32 v166, 28, v163
	v_dual_lshlrev_b32 v167, 27, v163 :: v_dual_lshlrev_b32 v169, 26, v163
	v_dual_lshlrev_b32 v170, 25, v163 :: v_dual_lshlrev_b32 v171, 24, v163
	v_cmp_gt_i32_e64 s16, 0, v165
	v_cmp_gt_i32_e64 s17, 0, v166
	v_not_b32_e32 v165, v166
	v_not_b32_e32 v166, v167
	v_ashrrev_i32_e32 v161, 31, v161
	v_cmp_gt_i32_e64 s18, 0, v167
	v_cmp_gt_i32_e64 s19, 0, v169
	v_not_b32_e32 v167, v169
	v_cmp_gt_i32_e64 s20, 0, v170
	v_not_b32_e32 v169, v170
	v_not_b32_e32 v170, v171
	s_delay_alu instid0(VALU_DEP_4) | instskip(SKIP_3) | instid1(VALU_DEP_3)
	v_dual_ashrrev_i32 v167, 31, v167 :: v_dual_bitop2_b32 v61, vcc_lo, v61 bitop3:0x14
	v_dual_ashrrev_i32 v165, 31, v165 :: v_dual_bitop2_b32 v162, s16, v162 bitop3:0x14
	v_dual_ashrrev_i32 v166, 31, v166 :: v_dual_bitop2_b32 v161, s15, v161 bitop3:0x14
	v_cmp_gt_i32_e64 s21, 0, v171
	v_xor_b32_e32 v165, s17, v165
	v_xor_b32_e32 v167, s19, v167
	s_delay_alu instid0(VALU_DEP_4) | instskip(SKIP_2) | instid1(VALU_DEP_2)
	v_xor_b32_e32 v166, s18, v166
	v_bitop3_b32 v61, v61, v161, exec_lo bitop3:0x80
	v_dual_ashrrev_i32 v161, 31, v169 :: v_dual_ashrrev_i32 v169, 31, v170
	v_bitop3_b32 v61, v61, v165, v162 bitop3:0x80
	v_mad_u32_u24 v162, v163, 36, v23
	s_delay_alu instid0(VALU_DEP_3) | instskip(NEXT) | instid1(VALU_DEP_4)
	v_xor_b32_e32 v165, s20, v161
	v_xor_b32_e32 v169, s21, v169
	v_mul_u32_u24_e32 v163, 36, v163
	v_bitop3_b32 v61, v61, v167, v166 bitop3:0x80
	ds_load_b32 v161, v162 offset:1056
	; wave barrier
	v_add_nc_u32_e32 v163, v23, v163
	v_bitop3_b32 v61, v61, v169, v165 bitop3:0x80
	s_delay_alu instid0(VALU_DEP_1) | instskip(SKIP_1) | instid1(VALU_DEP_2)
	v_mbcnt_lo_u32_b32 v162, v61, 0
	v_cmp_ne_u32_e64 s15, 0, v61
	v_cmp_eq_u32_e32 vcc_lo, 0, v162
	s_and_b32 s16, s15, vcc_lo
	s_delay_alu instid0(SALU_CYCLE_1)
	s_and_saveexec_b32 s15, s16
	s_cbranch_execz .LBB2069_1030
; %bb.1029:                             ;   in Loop: Header=BB2069_982 Depth=2
	s_wait_dscnt 0x0
	v_bcnt_u32_b32 v61, v61, v161
	ds_store_b32 v163, v61 offset:1056
.LBB2069_1030:                          ;   in Loop: Header=BB2069_982 Depth=2
	s_or_b32 exec_lo, exec_lo, s15
	v_cmp_lt_i16_e64 vcc_lo, -1, v160
	; wave barrier
	s_delay_alu instid0(VALU_DEP_1) | instskip(NEXT) | instid1(VALU_DEP_1)
	v_cndmask_b32_e64 v61, -1, 0xffff8000, vcc_lo
	v_xor_b32_e32 v160, v61, v160
	s_delay_alu instid0(VALU_DEP_1) | instskip(SKIP_1) | instid1(VALU_DEP_1)
	v_cmp_ne_u16_e64 vcc_lo, 0x7fff, v160
	v_cndmask_b32_e32 v61, 0xffff8000, v160, vcc_lo
	v_and_b32_e32 v61, 0xffff, v61
	s_delay_alu instid0(VALU_DEP_1) | instskip(NEXT) | instid1(VALU_DEP_1)
	v_lshrrev_b32_e32 v61, s49, v61
	v_bitop3_b32 v165, v61, 1, s52 bitop3:0x80
	v_and_b32_e32 v167, s52, v61
	s_delay_alu instid0(VALU_DEP_2) | instskip(NEXT) | instid1(VALU_DEP_1)
	v_add_co_u32 v61, s15, v165, -1
	v_cndmask_b32_e64 v165, 0, 1, s15
	s_delay_alu instid0(VALU_DEP_3) | instskip(NEXT) | instid1(VALU_DEP_2)
	v_dual_lshlrev_b32 v166, 30, v167 :: v_dual_lshlrev_b32 v169, 29, v167
	v_cmp_ne_u32_e32 vcc_lo, 0, v165
	s_delay_alu instid0(VALU_DEP_2) | instskip(SKIP_1) | instid1(VALU_DEP_4)
	v_cmp_gt_i32_e64 s15, 0, v166
	v_not_b32_e32 v165, v166
	v_not_b32_e32 v166, v169
	s_delay_alu instid0(VALU_DEP_1) | instskip(SKIP_3) | instid1(VALU_DEP_4)
	v_dual_ashrrev_i32 v166, 31, v166 :: v_dual_lshlrev_b32 v170, 28, v167
	v_dual_lshlrev_b32 v171, 27, v167 :: v_dual_lshlrev_b32 v172, 26, v167
	v_cmp_gt_i32_e64 s16, 0, v169
	v_dual_lshlrev_b32 v173, 25, v167 :: v_dual_lshlrev_b32 v174, 24, v167
	v_cmp_gt_i32_e64 s17, 0, v170
	v_not_b32_e32 v169, v170
	v_not_b32_e32 v170, v171
	v_ashrrev_i32_e32 v165, 31, v165
	v_cmp_gt_i32_e64 s18, 0, v171
	v_not_b32_e32 v171, v172
	v_xor_b32_e32 v61, vcc_lo, v61
	v_dual_ashrrev_i32 v169, 31, v169 :: v_dual_bitop2_b32 v166, s16, v166 bitop3:0x14
	v_dual_ashrrev_i32 v170, 31, v170 :: v_dual_bitop2_b32 v165, s15, v165 bitop3:0x14
	v_cmp_gt_i32_e64 s19, 0, v172
	v_cmp_gt_i32_e64 s20, 0, v173
	v_not_b32_e32 v172, v173
	v_not_b32_e32 v173, v174
	v_dual_ashrrev_i32 v171, 31, v171 :: v_dual_bitop2_b32 v169, s17, v169 bitop3:0x14
	v_bitop3_b32 v61, v61, v165, exec_lo bitop3:0x80
	v_cmp_gt_i32_e64 s21, 0, v174
	s_delay_alu instid0(VALU_DEP_4)
	v_dual_ashrrev_i32 v165, 31, v172 :: v_dual_ashrrev_i32 v172, 31, v173
	v_xor_b32_e32 v170, s18, v170
	v_xor_b32_e32 v171, s19, v171
	v_bitop3_b32 v61, v61, v169, v166 bitop3:0x80
	v_mad_u32_u24 v166, v167, 36, v23
	v_xor_b32_e32 v169, s20, v165
	v_xor_b32_e32 v172, s21, v172
	v_mul_u32_u24_e32 v167, 36, v167
	v_bitop3_b32 v61, v61, v171, v170 bitop3:0x80
	ds_load_b32 v165, v166 offset:1056
	; wave barrier
	v_add_nc_u32_e32 v167, v23, v167
	v_bitop3_b32 v61, v61, v172, v169 bitop3:0x80
	s_delay_alu instid0(VALU_DEP_1) | instskip(SKIP_1) | instid1(VALU_DEP_2)
	v_mbcnt_lo_u32_b32 v166, v61, 0
	v_cmp_ne_u32_e64 s15, 0, v61
	v_cmp_eq_u32_e32 vcc_lo, 0, v166
	s_and_b32 s16, s15, vcc_lo
	s_delay_alu instid0(SALU_CYCLE_1)
	s_and_saveexec_b32 s15, s16
	s_cbranch_execz .LBB2069_1032
; %bb.1031:                             ;   in Loop: Header=BB2069_982 Depth=2
	s_wait_dscnt 0x0
	v_bcnt_u32_b32 v61, v61, v165
	ds_store_b32 v167, v61 offset:1056
.LBB2069_1032:                          ;   in Loop: Header=BB2069_982 Depth=2
	s_or_b32 exec_lo, exec_lo, s15
	v_cmp_lt_i16_e64 vcc_lo, -1, v164
	; wave barrier
	s_delay_alu instid0(VALU_DEP_1) | instskip(NEXT) | instid1(VALU_DEP_1)
	v_cndmask_b32_e64 v61, -1, 0xffff8000, vcc_lo
	v_xor_b32_e32 v164, v61, v164
	s_delay_alu instid0(VALU_DEP_1) | instskip(SKIP_1) | instid1(VALU_DEP_1)
	v_cmp_ne_u16_e64 vcc_lo, 0x7fff, v164
	v_cndmask_b32_e32 v61, 0xffff8000, v164, vcc_lo
	v_and_b32_e32 v61, 0xffff, v61
	s_delay_alu instid0(VALU_DEP_1) | instskip(NEXT) | instid1(VALU_DEP_1)
	v_lshrrev_b32_e32 v61, s49, v61
	v_bitop3_b32 v169, v61, 1, s52 bitop3:0x80
	v_and_b32_e32 v171, s52, v61
	s_delay_alu instid0(VALU_DEP_2) | instskip(NEXT) | instid1(VALU_DEP_1)
	v_add_co_u32 v61, s15, v169, -1
	v_cndmask_b32_e64 v169, 0, 1, s15
	s_delay_alu instid0(VALU_DEP_3) | instskip(NEXT) | instid1(VALU_DEP_2)
	v_dual_lshlrev_b32 v170, 30, v171 :: v_dual_lshlrev_b32 v172, 29, v171
	v_cmp_ne_u32_e32 vcc_lo, 0, v169
	s_delay_alu instid0(VALU_DEP_2) | instskip(SKIP_1) | instid1(VALU_DEP_4)
	v_cmp_gt_i32_e64 s15, 0, v170
	v_not_b32_e32 v169, v170
	v_not_b32_e32 v170, v172
	s_delay_alu instid0(VALU_DEP_1) | instskip(SKIP_3) | instid1(VALU_DEP_4)
	v_dual_ashrrev_i32 v170, 31, v170 :: v_dual_lshlrev_b32 v173, 28, v171
	v_dual_lshlrev_b32 v174, 27, v171 :: v_dual_lshlrev_b32 v175, 26, v171
	v_dual_lshlrev_b32 v176, 25, v171 :: v_dual_lshlrev_b32 v177, 24, v171
	v_cmp_gt_i32_e64 s16, 0, v172
	v_not_b32_e32 v172, v173
	v_ashrrev_i32_e32 v169, 31, v169
	v_cmp_gt_i32_e64 s17, 0, v173
	v_cmp_gt_i32_e64 s18, 0, v174
	v_not_b32_e32 v173, v174
	v_cmp_gt_i32_e64 s19, 0, v175
	v_not_b32_e32 v174, v175
	;; [unrolled: 2-line block ×3, first 2 shown]
	v_not_b32_e32 v176, v177
	s_delay_alu instid0(VALU_DEP_4) | instskip(SKIP_3) | instid1(VALU_DEP_3)
	v_dual_ashrrev_i32 v174, 31, v174 :: v_dual_bitop2_b32 v61, vcc_lo, v61 bitop3:0x14
	v_dual_ashrrev_i32 v172, 31, v172 :: v_dual_bitop2_b32 v169, s15, v169 bitop3:0x14
	v_dual_ashrrev_i32 v173, 31, v173 :: v_dual_bitop2_b32 v170, s16, v170 bitop3:0x14
	v_cmp_gt_i32_e64 s21, 0, v177
	v_xor_b32_e32 v172, s17, v172
	s_delay_alu instid0(VALU_DEP_4) | instskip(SKIP_2) | instid1(VALU_DEP_3)
	v_bitop3_b32 v61, v61, v169, exec_lo bitop3:0x80
	v_dual_ashrrev_i32 v169, 31, v175 :: v_dual_ashrrev_i32 v175, 31, v176
	v_xor_b32_e32 v174, s19, v174
	v_bitop3_b32 v61, v61, v172, v170 bitop3:0x80
	v_mad_u32_u24 v170, v171, 36, v23
	v_mul_u32_u24_e32 v171, 36, v171
	v_xor_b32_e32 v173, s18, v173
	v_xor_b32_e32 v172, s20, v169
	;; [unrolled: 1-line block ×3, first 2 shown]
	ds_load_b32 v169, v170 offset:1056
	v_add_nc_u32_e32 v171, v23, v171
	v_bitop3_b32 v61, v61, v174, v173 bitop3:0x80
	; wave barrier
	s_delay_alu instid0(VALU_DEP_1) | instskip(NEXT) | instid1(VALU_DEP_1)
	v_bitop3_b32 v61, v61, v175, v172 bitop3:0x80
	v_mbcnt_lo_u32_b32 v170, v61, 0
	v_cmp_ne_u32_e64 s15, 0, v61
	s_delay_alu instid0(VALU_DEP_2) | instskip(SKIP_1) | instid1(SALU_CYCLE_1)
	v_cmp_eq_u32_e32 vcc_lo, 0, v170
	s_and_b32 s16, s15, vcc_lo
	s_and_saveexec_b32 s15, s16
	s_cbranch_execz .LBB2069_1034
; %bb.1033:                             ;   in Loop: Header=BB2069_982 Depth=2
	s_wait_dscnt 0x0
	v_bcnt_u32_b32 v61, v61, v169
	ds_store_b32 v171, v61 offset:1056
.LBB2069_1034:                          ;   in Loop: Header=BB2069_982 Depth=2
	s_or_b32 exec_lo, exec_lo, s15
	v_cmp_lt_i16_e64 vcc_lo, -1, v168
	; wave barrier
	s_delay_alu instid0(VALU_DEP_1) | instskip(NEXT) | instid1(VALU_DEP_1)
	v_cndmask_b32_e64 v61, -1, 0xffff8000, vcc_lo
	v_xor_b32_e32 v168, v61, v168
	s_delay_alu instid0(VALU_DEP_1) | instskip(SKIP_1) | instid1(VALU_DEP_1)
	v_cmp_ne_u16_e64 vcc_lo, 0x7fff, v168
	v_cndmask_b32_e32 v61, 0xffff8000, v168, vcc_lo
	v_and_b32_e32 v61, 0xffff, v61
	s_delay_alu instid0(VALU_DEP_1) | instskip(NEXT) | instid1(VALU_DEP_1)
	v_lshrrev_b32_e32 v61, s49, v61
	v_bitop3_b32 v172, v61, 1, s52 bitop3:0x80
	v_and_b32_e32 v175, s52, v61
	s_delay_alu instid0(VALU_DEP_2) | instskip(NEXT) | instid1(VALU_DEP_1)
	v_add_co_u32 v61, s15, v172, -1
	v_cndmask_b32_e64 v172, 0, 1, s15
	s_delay_alu instid0(VALU_DEP_3) | instskip(NEXT) | instid1(VALU_DEP_2)
	v_lshlrev_b32_e32 v173, 30, v175
	v_cmp_ne_u32_e32 vcc_lo, 0, v172
	s_delay_alu instid0(VALU_DEP_2) | instskip(NEXT) | instid1(VALU_DEP_1)
	v_not_b32_e32 v172, v173
	v_dual_ashrrev_i32 v172, 31, v172 :: v_dual_lshlrev_b32 v174, 29, v175
	v_dual_lshlrev_b32 v176, 28, v175 :: v_dual_lshlrev_b32 v177, 27, v175
	v_lshlrev_b32_e32 v178, 26, v175
	v_cmp_gt_i32_e64 s15, 0, v173
	s_delay_alu instid0(VALU_DEP_4)
	v_cmp_gt_i32_e64 s16, 0, v174
	v_not_b32_e32 v173, v174
	v_not_b32_e32 v174, v176
	v_dual_lshlrev_b32 v179, 25, v175 :: v_dual_lshlrev_b32 v180, 24, v175
	v_cmp_gt_i32_e64 s17, 0, v176
	v_cmp_gt_i32_e64 s18, 0, v177
	v_not_b32_e32 v176, v177
	v_not_b32_e32 v177, v178
	v_dual_ashrrev_i32 v174, 31, v174 :: v_dual_bitop2_b32 v61, vcc_lo, v61 bitop3:0x14
	v_dual_ashrrev_i32 v173, 31, v173 :: v_dual_bitop2_b32 v172, s15, v172 bitop3:0x14
	v_cmp_gt_i32_e64 s19, 0, v178
	v_cmp_gt_i32_e64 s20, 0, v179
	v_not_b32_e32 v178, v179
	v_not_b32_e32 v179, v180
	v_dual_ashrrev_i32 v176, 31, v176 :: v_dual_ashrrev_i32 v177, 31, v177
	v_xor_b32_e32 v173, s16, v173
	v_xor_b32_e32 v174, s17, v174
	v_bitop3_b32 v61, v61, v172, exec_lo bitop3:0x80
	v_cmp_gt_i32_e64 s21, 0, v180
	v_dual_ashrrev_i32 v172, 31, v178 :: v_dual_ashrrev_i32 v178, 31, v179
	v_xor_b32_e32 v176, s18, v176
	v_xor_b32_e32 v177, s19, v177
	v_bitop3_b32 v61, v61, v174, v173 bitop3:0x80
	v_mad_u32_u24 v173, v175, 36, v23
	v_xor_b32_e32 v172, s20, v172
	v_xor_b32_e32 v174, s21, v178
	s_delay_alu instid0(VALU_DEP_4) | instskip(SKIP_3) | instid1(VALU_DEP_2)
	v_bitop3_b32 v61, v61, v177, v176 bitop3:0x80
	ds_load_b32 v173, v173 offset:1056
	; wave barrier
	v_bitop3_b32 v61, v61, v174, v172 bitop3:0x80
	v_mul_u32_u24_e32 v172, 36, v175
	v_mbcnt_lo_u32_b32 v174, v61, 0
	v_cmp_ne_u32_e64 s15, 0, v61
	s_delay_alu instid0(VALU_DEP_3) | instskip(NEXT) | instid1(VALU_DEP_3)
	v_add_nc_u32_e32 v175, v23, v172
	v_cmp_eq_u32_e32 vcc_lo, 0, v174
	s_and_b32 s16, s15, vcc_lo
	s_delay_alu instid0(SALU_CYCLE_1)
	s_and_saveexec_b32 s15, s16
	s_cbranch_execz .LBB2069_1036
; %bb.1035:                             ;   in Loop: Header=BB2069_982 Depth=2
	s_wait_dscnt 0x0
	v_bcnt_u32_b32 v61, v61, v173
	ds_store_b32 v175, v61 offset:1056
.LBB2069_1036:                          ;   in Loop: Header=BB2069_982 Depth=2
	s_or_b32 exec_lo, exec_lo, s15
	v_cmp_lt_i16_e32 vcc_lo, -1, v67
	; wave barrier
	v_cndmask_b32_e64 v61, -1, 0xffff8000, vcc_lo
	s_delay_alu instid0(VALU_DEP_1) | instskip(NEXT) | instid1(VALU_DEP_1)
	v_xor_b32_e32 v172, v61, v67
	v_cmp_ne_u16_e64 vcc_lo, 0x7fff, v172
	v_cndmask_b32_e32 v61, 0xffff8000, v172, vcc_lo
	s_delay_alu instid0(VALU_DEP_1) | instskip(NEXT) | instid1(VALU_DEP_1)
	v_and_b32_e32 v61, 0xffff, v61
	v_lshrrev_b32_e32 v61, s49, v61
	s_delay_alu instid0(VALU_DEP_1) | instskip(SKIP_1) | instid1(VALU_DEP_2)
	v_bitop3_b32 v67, v61, 1, s52 bitop3:0x80
	v_and_b32_e32 v176, s52, v61
	v_add_co_u32 v61, s15, v67, -1
	s_delay_alu instid0(VALU_DEP_1) | instskip(NEXT) | instid1(VALU_DEP_3)
	v_cndmask_b32_e64 v67, 0, 1, s15
	v_lshlrev_b32_e32 v177, 30, v176
	s_delay_alu instid0(VALU_DEP_2) | instskip(NEXT) | instid1(VALU_DEP_2)
	v_cmp_ne_u32_e32 vcc_lo, 0, v67
	v_not_b32_e32 v67, v177
	s_delay_alu instid0(VALU_DEP_1) | instskip(SKIP_4) | instid1(VALU_DEP_4)
	v_dual_ashrrev_i32 v67, 31, v67 :: v_dual_bitop2_b32 v61, vcc_lo, v61 bitop3:0x14
	v_dual_lshlrev_b32 v178, 29, v176 :: v_dual_lshlrev_b32 v179, 28, v176
	v_dual_lshlrev_b32 v180, 27, v176 :: v_dual_lshlrev_b32 v181, 26, v176
	v_lshlrev_b32_e32 v182, 25, v176
	v_cmp_gt_i32_e64 s15, 0, v177
	v_cmp_gt_i32_e64 s16, 0, v178
	v_not_b32_e32 v177, v178
	v_not_b32_e32 v178, v179
	v_lshlrev_b32_e32 v183, 24, v176
	v_cmp_gt_i32_e64 s17, 0, v179
	v_cmp_gt_i32_e64 s18, 0, v180
	v_not_b32_e32 v179, v180
	v_not_b32_e32 v180, v181
	v_dual_ashrrev_i32 v177, 31, v177 :: v_dual_bitop2_b32 v67, s15, v67 bitop3:0x14
	v_ashrrev_i32_e32 v178, 31, v178
	v_cmp_gt_i32_e64 s19, 0, v181
	v_cmp_gt_i32_e64 s20, 0, v182
	v_not_b32_e32 v181, v182
	v_not_b32_e32 v182, v183
	v_dual_ashrrev_i32 v179, 31, v179 :: v_dual_ashrrev_i32 v180, 31, v180
	v_xor_b32_e32 v177, s16, v177
	v_xor_b32_e32 v178, s17, v178
	v_bitop3_b32 v61, v61, v67, exec_lo bitop3:0x80
	v_cmp_gt_i32_e64 s21, 0, v183
	v_dual_ashrrev_i32 v67, 31, v181 :: v_dual_ashrrev_i32 v181, 31, v182
	v_xor_b32_e32 v179, s18, v179
	v_xor_b32_e32 v180, s19, v180
	v_bitop3_b32 v61, v61, v178, v177 bitop3:0x80
	v_mad_u32_u24 v177, v176, 36, v23
	v_xor_b32_e32 v67, s20, v67
	v_xor_b32_e32 v178, s21, v181
	s_delay_alu instid0(VALU_DEP_4) | instskip(SKIP_3) | instid1(VALU_DEP_2)
	v_bitop3_b32 v61, v61, v180, v179 bitop3:0x80
	ds_load_b32 v177, v177 offset:1056
	; wave barrier
	v_bitop3_b32 v61, v61, v178, v67 bitop3:0x80
	v_mul_u32_u24_e32 v67, 36, v176
	v_mbcnt_lo_u32_b32 v178, v61, 0
	v_cmp_ne_u32_e64 s15, 0, v61
	s_delay_alu instid0(VALU_DEP_3) | instskip(NEXT) | instid1(VALU_DEP_3)
	v_add_nc_u32_e32 v179, v23, v67
	v_cmp_eq_u32_e32 vcc_lo, 0, v178
	s_and_b32 s16, s15, vcc_lo
	s_delay_alu instid0(SALU_CYCLE_1)
	s_and_saveexec_b32 s15, s16
	s_cbranch_execz .LBB2069_1038
; %bb.1037:                             ;   in Loop: Header=BB2069_982 Depth=2
	s_wait_dscnt 0x0
	v_bcnt_u32_b32 v61, v61, v177
	ds_store_b32 v179, v61 offset:1056
.LBB2069_1038:                          ;   in Loop: Header=BB2069_982 Depth=2
	s_or_b32 exec_lo, exec_lo, s15
	v_cmp_lt_i16_e32 vcc_lo, -1, v66
	; wave barrier
	v_cndmask_b32_e64 v61, -1, 0xffff8000, vcc_lo
	s_delay_alu instid0(VALU_DEP_1) | instskip(NEXT) | instid1(VALU_DEP_1)
	v_xor_b32_e32 v176, v61, v66
	v_cmp_ne_u16_e64 vcc_lo, 0x7fff, v176
	v_cndmask_b32_e32 v61, 0xffff8000, v176, vcc_lo
	s_delay_alu instid0(VALU_DEP_1) | instskip(NEXT) | instid1(VALU_DEP_1)
	v_and_b32_e32 v61, 0xffff, v61
	v_lshrrev_b32_e32 v61, s49, v61
	s_delay_alu instid0(VALU_DEP_1) | instskip(SKIP_1) | instid1(VALU_DEP_2)
	v_bitop3_b32 v66, v61, 1, s52 bitop3:0x80
	v_and_b32_e32 v67, s52, v61
	v_add_co_u32 v61, s15, v66, -1
	s_delay_alu instid0(VALU_DEP_1) | instskip(NEXT) | instid1(VALU_DEP_3)
	v_cndmask_b32_e64 v66, 0, 1, s15
	v_lshlrev_b32_e32 v180, 30, v67
	s_delay_alu instid0(VALU_DEP_2) | instskip(NEXT) | instid1(VALU_DEP_2)
	v_cmp_ne_u32_e32 vcc_lo, 0, v66
	v_not_b32_e32 v66, v180
	v_cmp_gt_i32_e64 s15, 0, v180
	s_delay_alu instid0(VALU_DEP_2) | instskip(SKIP_3) | instid1(VALU_DEP_4)
	v_dual_ashrrev_i32 v66, 31, v66 :: v_dual_lshlrev_b32 v181, 29, v67
	v_dual_lshlrev_b32 v182, 28, v67 :: v_dual_lshlrev_b32 v183, 27, v67
	v_dual_lshlrev_b32 v184, 26, v67 :: v_dual_lshlrev_b32 v185, 25, v67
	v_lshlrev_b32_e32 v186, 24, v67
	v_cmp_gt_i32_e64 s16, 0, v181
	v_not_b32_e32 v180, v181
	v_not_b32_e32 v181, v182
	v_cmp_gt_i32_e64 s17, 0, v182
	v_cmp_gt_i32_e64 s18, 0, v183
	v_not_b32_e32 v182, v183
	v_not_b32_e32 v183, v184
	v_dual_ashrrev_i32 v180, 31, v180 :: v_dual_bitop2_b32 v61, vcc_lo, v61 bitop3:0x14
	v_dual_ashrrev_i32 v181, 31, v181 :: v_dual_bitop2_b32 v66, s15, v66 bitop3:0x14
	v_cmp_gt_i32_e64 s19, 0, v184
	v_cmp_gt_i32_e64 s20, 0, v185
	v_not_b32_e32 v184, v185
	v_not_b32_e32 v185, v186
	v_dual_ashrrev_i32 v182, 31, v182 :: v_dual_ashrrev_i32 v183, 31, v183
	v_xor_b32_e32 v180, s16, v180
	v_xor_b32_e32 v181, s17, v181
	v_bitop3_b32 v61, v61, v66, exec_lo bitop3:0x80
	v_cmp_gt_i32_e64 s21, 0, v186
	v_dual_ashrrev_i32 v66, 31, v184 :: v_dual_ashrrev_i32 v184, 31, v185
	v_xor_b32_e32 v182, s18, v182
	v_xor_b32_e32 v183, s19, v183
	v_bitop3_b32 v61, v61, v181, v180 bitop3:0x80
	v_mad_u32_u24 v180, v67, 36, v23
	v_xor_b32_e32 v66, s20, v66
	v_xor_b32_e32 v184, s21, v184
	s_delay_alu instid0(VALU_DEP_4) | instskip(SKIP_3) | instid1(VALU_DEP_2)
	v_bitop3_b32 v61, v61, v183, v182 bitop3:0x80
	ds_load_b32 v181, v180 offset:1056
	; wave barrier
	v_bitop3_b32 v61, v61, v184, v66 bitop3:0x80
	v_mul_u32_u24_e32 v66, 36, v67
	v_mbcnt_lo_u32_b32 v182, v61, 0
	v_cmp_ne_u32_e64 s15, 0, v61
	s_delay_alu instid0(VALU_DEP_3) | instskip(NEXT) | instid1(VALU_DEP_3)
	v_add_nc_u32_e32 v183, v23, v66
	v_cmp_eq_u32_e32 vcc_lo, 0, v182
	s_and_b32 s16, s15, vcc_lo
	s_delay_alu instid0(SALU_CYCLE_1)
	s_and_saveexec_b32 s15, s16
	s_cbranch_execz .LBB2069_1040
; %bb.1039:                             ;   in Loop: Header=BB2069_982 Depth=2
	s_wait_dscnt 0x0
	v_bcnt_u32_b32 v61, v61, v181
	ds_store_b32 v183, v61 offset:1056
.LBB2069_1040:                          ;   in Loop: Header=BB2069_982 Depth=2
	s_or_b32 exec_lo, exec_lo, s15
	v_cmp_lt_i16_e32 vcc_lo, -1, v65
	; wave barrier
	v_cndmask_b32_e64 v61, -1, 0xffff8000, vcc_lo
	s_delay_alu instid0(VALU_DEP_1) | instskip(NEXT) | instid1(VALU_DEP_1)
	v_xor_b32_e32 v180, v61, v65
	v_cmp_ne_u16_e64 vcc_lo, 0x7fff, v180
	v_cndmask_b32_e32 v61, 0xffff8000, v180, vcc_lo
	s_delay_alu instid0(VALU_DEP_1) | instskip(NEXT) | instid1(VALU_DEP_1)
	v_and_b32_e32 v61, 0xffff, v61
	v_lshrrev_b32_e32 v61, s49, v61
	s_delay_alu instid0(VALU_DEP_1) | instskip(NEXT) | instid1(VALU_DEP_1)
	v_and_b32_e32 v66, s52, v61
	v_lshlrev_b32_e32 v185, 28, v66
	v_bitop3_b32 v65, v61, 1, s52 bitop3:0x80
	v_dual_lshlrev_b32 v67, 30, v66 :: v_dual_lshlrev_b32 v184, 29, v66
	s_delay_alu instid0(VALU_DEP_3) | instskip(NEXT) | instid1(VALU_DEP_3)
	v_cmp_gt_i32_e64 s17, 0, v185
	v_add_co_u32 v61, s15, v65, -1
	s_delay_alu instid0(VALU_DEP_1) | instskip(NEXT) | instid1(VALU_DEP_4)
	v_cndmask_b32_e64 v65, 0, 1, s15
	v_cmp_gt_i32_e64 s15, 0, v67
	v_cmp_gt_i32_e64 s16, 0, v184
	s_delay_alu instid0(VALU_DEP_3) | instskip(SKIP_3) | instid1(VALU_DEP_2)
	v_cmp_ne_u32_e32 vcc_lo, 0, v65
	v_not_b32_e32 v65, v67
	v_not_b32_e32 v67, v184
	v_not_b32_e32 v184, v185
	v_dual_ashrrev_i32 v65, 31, v65 :: v_dual_ashrrev_i32 v67, 31, v67
	v_dual_lshlrev_b32 v186, 27, v66 :: v_dual_lshlrev_b32 v187, 26, v66
	v_dual_lshlrev_b32 v188, 25, v66 :: v_dual_lshlrev_b32 v189, 24, v66
	s_delay_alu instid0(VALU_DEP_4) | instskip(NEXT) | instid1(VALU_DEP_3)
	v_ashrrev_i32_e32 v184, 31, v184
	v_cmp_gt_i32_e64 s18, 0, v186
	v_not_b32_e32 v185, v186
	v_cmp_gt_i32_e64 s19, 0, v187
	v_not_b32_e32 v186, v187
	;; [unrolled: 2-line block ×3, first 2 shown]
	v_not_b32_e32 v188, v189
	s_delay_alu instid0(VALU_DEP_4) | instskip(SKIP_4) | instid1(VALU_DEP_4)
	v_dual_ashrrev_i32 v186, 31, v186 :: v_dual_bitop2_b32 v61, vcc_lo, v61 bitop3:0x14
	v_xor_b32_e32 v65, s15, v65
	v_dual_ashrrev_i32 v185, 31, v185 :: v_dual_bitop2_b32 v67, s16, v67 bitop3:0x14
	v_xor_b32_e32 v184, s17, v184
	v_cmp_gt_i32_e64 s21, 0, v189
	v_bitop3_b32 v61, v61, v65, exec_lo bitop3:0x80
	v_dual_ashrrev_i32 v65, 31, v187 :: v_dual_ashrrev_i32 v187, 31, v188
	v_xor_b32_e32 v185, s18, v185
	v_xor_b32_e32 v186, s19, v186
	s_delay_alu instid0(VALU_DEP_4) | instskip(SKIP_3) | instid1(VALU_DEP_4)
	v_bitop3_b32 v61, v61, v184, v67 bitop3:0x80
	v_mad_u32_u24 v67, v66, 36, v23
	v_xor_b32_e32 v65, s20, v65
	v_xor_b32_e32 v184, s21, v187
	v_bitop3_b32 v61, v61, v186, v185 bitop3:0x80
	ds_load_b32 v185, v67 offset:1056
	; wave barrier
	v_bitop3_b32 v61, v61, v184, v65 bitop3:0x80
	v_mul_u32_u24_e32 v65, 36, v66
	s_delay_alu instid0(VALU_DEP_2) | instskip(SKIP_1) | instid1(VALU_DEP_3)
	v_mbcnt_lo_u32_b32 v186, v61, 0
	v_cmp_ne_u32_e64 s15, 0, v61
	v_add_nc_u32_e32 v187, v23, v65
	s_delay_alu instid0(VALU_DEP_3) | instskip(SKIP_1) | instid1(SALU_CYCLE_1)
	v_cmp_eq_u32_e32 vcc_lo, 0, v186
	s_and_b32 s16, s15, vcc_lo
	s_and_saveexec_b32 s15, s16
	s_cbranch_execz .LBB2069_1042
; %bb.1041:                             ;   in Loop: Header=BB2069_982 Depth=2
	s_wait_dscnt 0x0
	v_bcnt_u32_b32 v61, v61, v185
	ds_store_b32 v187, v61 offset:1056
.LBB2069_1042:                          ;   in Loop: Header=BB2069_982 Depth=2
	s_or_b32 exec_lo, exec_lo, s15
	v_cmp_lt_i16_e32 vcc_lo, -1, v64
	; wave barrier
	v_cndmask_b32_e64 v61, -1, 0xffff8000, vcc_lo
	s_delay_alu instid0(VALU_DEP_1) | instskip(NEXT) | instid1(VALU_DEP_1)
	v_xor_b32_e32 v184, v61, v64
	v_cmp_ne_u16_e64 vcc_lo, 0x7fff, v184
	v_cndmask_b32_e32 v61, 0xffff8000, v184, vcc_lo
	s_delay_alu instid0(VALU_DEP_1) | instskip(NEXT) | instid1(VALU_DEP_1)
	v_and_b32_e32 v61, 0xffff, v61
	v_lshrrev_b32_e32 v61, s49, v61
	s_delay_alu instid0(VALU_DEP_1) | instskip(SKIP_1) | instid1(VALU_DEP_2)
	v_bitop3_b32 v64, v61, 1, s52 bitop3:0x80
	v_and_b32_e32 v65, s52, v61
	v_add_co_u32 v61, s15, v64, -1
	s_delay_alu instid0(VALU_DEP_2) | instskip(SKIP_1) | instid1(VALU_DEP_2)
	v_lshlrev_b32_e32 v64, 30, v65
	v_cndmask_b32_e64 v192, 0, 1, s15
	v_cmp_gt_i32_e32 vcc_lo, 0, v64
	v_not_b32_e32 v64, v64
	s_delay_alu instid0(VALU_DEP_3) | instskip(NEXT) | instid1(VALU_DEP_2)
	v_cmp_ne_u32_e64 s21, 0, v192
	v_dual_ashrrev_i32 v64, 31, v64 :: v_dual_lshlrev_b32 v66, 29, v65
	v_dual_lshlrev_b32 v67, 28, v65 :: v_dual_lshlrev_b32 v188, 27, v65
	v_dual_lshlrev_b32 v189, 26, v65 :: v_dual_lshlrev_b32 v190, 25, v65
	v_lshlrev_b32_e32 v191, 24, v65
	s_delay_alu instid0(VALU_DEP_4)
	v_cmp_gt_i32_e64 s15, 0, v66
	v_not_b32_e32 v66, v66
	v_cmp_gt_i32_e64 s16, 0, v67
	v_not_b32_e32 v67, v67
	;; [unrolled: 2-line block ×4, first 2 shown]
	v_dual_ashrrev_i32 v66, 31, v66 :: v_dual_ashrrev_i32 v67, 31, v67
	s_delay_alu instid0(VALU_DEP_4) | instskip(NEXT) | instid1(VALU_DEP_3)
	v_dual_ashrrev_i32 v188, 31, v188 :: v_dual_bitop2_b32 v61, s21, v61 bitop3:0x14
	v_dual_ashrrev_i32 v189, 31, v189 :: v_dual_bitop2_b32 v64, vcc_lo, v64 bitop3:0x14
	v_cmp_gt_i32_e64 s19, 0, v190
	v_not_b32_e32 v190, v190
	v_cmp_gt_i32_e64 s20, 0, v191
	v_not_b32_e32 v191, v191
	v_xor_b32_e32 v66, s15, v66
	v_xor_b32_e32 v67, s16, v67
	v_bitop3_b32 v61, v61, v64, exec_lo bitop3:0x80
	s_delay_alu instid0(VALU_DEP_4) | instskip(SKIP_2) | instid1(VALU_DEP_4)
	v_dual_ashrrev_i32 v64, 31, v190 :: v_dual_ashrrev_i32 v190, 31, v191
	v_xor_b32_e32 v188, s17, v188
	v_xor_b32_e32 v189, s18, v189
	v_bitop3_b32 v61, v61, v67, v66 bitop3:0x80
	v_mad_u32_u24 v66, v65, 36, v23
	v_xor_b32_e32 v64, s19, v64
	v_xor_b32_e32 v67, s20, v190
	s_delay_alu instid0(VALU_DEP_4) | instskip(SKIP_3) | instid1(VALU_DEP_2)
	v_bitop3_b32 v61, v61, v189, v188 bitop3:0x80
	ds_load_b32 v189, v66 offset:1056
	; wave barrier
	v_bitop3_b32 v61, v61, v67, v64 bitop3:0x80
	v_mul_u32_u24_e32 v64, 36, v65
	v_mbcnt_lo_u32_b32 v190, v61, 0
	v_cmp_ne_u32_e64 s15, 0, v61
	s_delay_alu instid0(VALU_DEP_3) | instskip(NEXT) | instid1(VALU_DEP_3)
	v_add_nc_u32_e32 v191, v23, v64
	v_cmp_eq_u32_e32 vcc_lo, 0, v190
	s_and_b32 s16, s15, vcc_lo
	s_delay_alu instid0(SALU_CYCLE_1)
	s_and_saveexec_b32 s15, s16
	s_cbranch_execz .LBB2069_1044
; %bb.1043:                             ;   in Loop: Header=BB2069_982 Depth=2
	s_wait_dscnt 0x0
	v_bcnt_u32_b32 v61, v61, v189
	ds_store_b32 v191, v61 offset:1056
.LBB2069_1044:                          ;   in Loop: Header=BB2069_982 Depth=2
	s_or_b32 exec_lo, exec_lo, s15
	v_cmp_lt_i16_e32 vcc_lo, -1, v63
	; wave barrier
	v_cndmask_b32_e64 v61, -1, 0xffff8000, vcc_lo
	s_delay_alu instid0(VALU_DEP_1) | instskip(NEXT) | instid1(VALU_DEP_1)
	v_xor_b32_e32 v188, v61, v63
	v_cmp_ne_u16_e64 vcc_lo, 0x7fff, v188
	v_cndmask_b32_e32 v61, 0xffff8000, v188, vcc_lo
	s_delay_alu instid0(VALU_DEP_1) | instskip(NEXT) | instid1(VALU_DEP_1)
	v_and_b32_e32 v61, 0xffff, v61
	v_lshrrev_b32_e32 v61, s49, v61
	s_delay_alu instid0(VALU_DEP_1) | instskip(SKIP_1) | instid1(VALU_DEP_2)
	v_bitop3_b32 v63, v61, 1, s52 bitop3:0x80
	v_and_b32_e32 v64, s52, v61
	v_add_co_u32 v61, s15, v63, -1
	s_delay_alu instid0(VALU_DEP_1) | instskip(NEXT) | instid1(VALU_DEP_3)
	v_cndmask_b32_e64 v63, 0, 1, s15
	v_lshlrev_b32_e32 v65, 30, v64
	s_delay_alu instid0(VALU_DEP_2) | instskip(NEXT) | instid1(VALU_DEP_2)
	v_cmp_ne_u32_e32 vcc_lo, 0, v63
	v_not_b32_e32 v63, v65
	s_delay_alu instid0(VALU_DEP_1) | instskip(SKIP_4) | instid1(VALU_DEP_4)
	v_dual_ashrrev_i32 v63, 31, v63 :: v_dual_bitop2_b32 v61, vcc_lo, v61 bitop3:0x14
	v_dual_lshlrev_b32 v66, 29, v64 :: v_dual_lshlrev_b32 v67, 28, v64
	v_dual_lshlrev_b32 v192, 27, v64 :: v_dual_lshlrev_b32 v193, 26, v64
	v_lshlrev_b32_e32 v194, 25, v64
	v_cmp_gt_i32_e64 s15, 0, v65
	v_cmp_gt_i32_e64 s16, 0, v66
	v_not_b32_e32 v65, v66
	v_not_b32_e32 v66, v67
	v_lshlrev_b32_e32 v195, 24, v64
	v_cmp_gt_i32_e64 s17, 0, v67
	v_cmp_gt_i32_e64 s18, 0, v192
	v_not_b32_e32 v67, v192
	v_not_b32_e32 v192, v193
	v_dual_ashrrev_i32 v65, 31, v65 :: v_dual_bitop2_b32 v63, s15, v63 bitop3:0x14
	v_ashrrev_i32_e32 v66, 31, v66
	v_cmp_gt_i32_e64 s19, 0, v193
	v_cmp_gt_i32_e64 s20, 0, v194
	v_not_b32_e32 v193, v194
	v_not_b32_e32 v194, v195
	v_dual_ashrrev_i32 v67, 31, v67 :: v_dual_ashrrev_i32 v192, 31, v192
	v_xor_b32_e32 v65, s16, v65
	v_xor_b32_e32 v66, s17, v66
	v_bitop3_b32 v61, v61, v63, exec_lo bitop3:0x80
	v_cmp_gt_i32_e64 s21, 0, v195
	v_dual_ashrrev_i32 v63, 31, v193 :: v_dual_ashrrev_i32 v193, 31, v194
	v_xor_b32_e32 v67, s18, v67
	v_xor_b32_e32 v192, s19, v192
	v_bitop3_b32 v61, v61, v66, v65 bitop3:0x80
	v_mad_u32_u24 v65, v64, 36, v23
	v_xor_b32_e32 v63, s20, v63
	v_xor_b32_e32 v66, s21, v193
	s_delay_alu instid0(VALU_DEP_4) | instskip(SKIP_3) | instid1(VALU_DEP_2)
	v_bitop3_b32 v61, v61, v192, v67 bitop3:0x80
	ds_load_b32 v193, v65 offset:1056
	; wave barrier
	v_bitop3_b32 v61, v61, v66, v63 bitop3:0x80
	v_mul_u32_u24_e32 v63, 36, v64
	v_mbcnt_lo_u32_b32 v194, v61, 0
	v_cmp_ne_u32_e64 s15, 0, v61
	s_delay_alu instid0(VALU_DEP_3) | instskip(NEXT) | instid1(VALU_DEP_3)
	v_add_nc_u32_e32 v195, v23, v63
	v_cmp_eq_u32_e32 vcc_lo, 0, v194
	s_and_b32 s16, s15, vcc_lo
	s_delay_alu instid0(SALU_CYCLE_1)
	s_and_saveexec_b32 s15, s16
	s_cbranch_execz .LBB2069_1046
; %bb.1045:                             ;   in Loop: Header=BB2069_982 Depth=2
	s_wait_dscnt 0x0
	v_bcnt_u32_b32 v61, v61, v193
	ds_store_b32 v195, v61 offset:1056
.LBB2069_1046:                          ;   in Loop: Header=BB2069_982 Depth=2
	s_or_b32 exec_lo, exec_lo, s15
	v_cmp_lt_i16_e32 vcc_lo, -1, v62
	; wave barrier
	v_cndmask_b32_e64 v61, -1, 0xffff8000, vcc_lo
	s_delay_alu instid0(VALU_DEP_1) | instskip(NEXT) | instid1(VALU_DEP_1)
	v_xor_b32_e32 v192, v61, v62
	v_cmp_ne_u16_e64 vcc_lo, 0x7fff, v192
	v_cndmask_b32_e32 v61, 0xffff8000, v192, vcc_lo
	s_delay_alu instid0(VALU_DEP_1) | instskip(NEXT) | instid1(VALU_DEP_1)
	v_and_b32_e32 v61, 0xffff, v61
	v_lshrrev_b32_e32 v61, s49, v61
	s_delay_alu instid0(VALU_DEP_1) | instskip(SKIP_1) | instid1(VALU_DEP_2)
	v_bitop3_b32 v62, v61, 1, s52 bitop3:0x80
	v_and_b32_e32 v63, s52, v61
	v_add_co_u32 v61, s15, v62, -1
	s_delay_alu instid0(VALU_DEP_1) | instskip(NEXT) | instid1(VALU_DEP_3)
	v_cndmask_b32_e64 v62, 0, 1, s15
	v_lshlrev_b32_e32 v64, 30, v63
	s_delay_alu instid0(VALU_DEP_2) | instskip(NEXT) | instid1(VALU_DEP_2)
	v_cmp_ne_u32_e32 vcc_lo, 0, v62
	v_not_b32_e32 v62, v64
	v_cmp_gt_i32_e64 s15, 0, v64
	s_delay_alu instid0(VALU_DEP_2) | instskip(SKIP_3) | instid1(VALU_DEP_4)
	v_dual_ashrrev_i32 v62, 31, v62 :: v_dual_lshlrev_b32 v65, 29, v63
	v_dual_lshlrev_b32 v66, 28, v63 :: v_dual_lshlrev_b32 v67, 27, v63
	v_dual_lshlrev_b32 v196, 26, v63 :: v_dual_lshlrev_b32 v197, 25, v63
	v_lshlrev_b32_e32 v198, 24, v63
	v_cmp_gt_i32_e64 s16, 0, v65
	v_not_b32_e32 v64, v65
	v_not_b32_e32 v65, v66
	v_cmp_gt_i32_e64 s17, 0, v66
	v_cmp_gt_i32_e64 s18, 0, v67
	v_not_b32_e32 v66, v67
	v_not_b32_e32 v67, v196
	v_dual_ashrrev_i32 v64, 31, v64 :: v_dual_bitop2_b32 v61, vcc_lo, v61 bitop3:0x14
	v_dual_ashrrev_i32 v65, 31, v65 :: v_dual_bitop2_b32 v62, s15, v62 bitop3:0x14
	v_cmp_gt_i32_e64 s19, 0, v196
	v_cmp_gt_i32_e64 s20, 0, v197
	v_not_b32_e32 v196, v197
	v_not_b32_e32 v197, v198
	v_dual_ashrrev_i32 v66, 31, v66 :: v_dual_ashrrev_i32 v67, 31, v67
	v_xor_b32_e32 v64, s16, v64
	v_xor_b32_e32 v65, s17, v65
	v_bitop3_b32 v61, v61, v62, exec_lo bitop3:0x80
	v_cmp_gt_i32_e64 s21, 0, v198
	v_dual_ashrrev_i32 v62, 31, v196 :: v_dual_ashrrev_i32 v196, 31, v197
	v_xor_b32_e32 v66, s18, v66
	v_xor_b32_e32 v67, s19, v67
	v_bitop3_b32 v61, v61, v65, v64 bitop3:0x80
	v_mad_u32_u24 v64, v63, 36, v23
	v_xor_b32_e32 v62, s20, v62
	v_xor_b32_e32 v65, s21, v196
	s_delay_alu instid0(VALU_DEP_4) | instskip(SKIP_3) | instid1(VALU_DEP_2)
	v_bitop3_b32 v61, v61, v67, v66 bitop3:0x80
	ds_load_b32 v197, v64 offset:1056
	; wave barrier
	v_bitop3_b32 v61, v61, v65, v62 bitop3:0x80
	v_mul_u32_u24_e32 v62, 36, v63
	v_mbcnt_lo_u32_b32 v198, v61, 0
	v_cmp_ne_u32_e64 s15, 0, v61
	s_delay_alu instid0(VALU_DEP_3) | instskip(NEXT) | instid1(VALU_DEP_3)
	v_add_nc_u32_e32 v199, v23, v62
	v_cmp_eq_u32_e32 vcc_lo, 0, v198
	s_and_b32 s16, s15, vcc_lo
	s_delay_alu instid0(SALU_CYCLE_1)
	s_and_saveexec_b32 s15, s16
	s_cbranch_execz .LBB2069_1048
; %bb.1047:                             ;   in Loop: Header=BB2069_982 Depth=2
	s_wait_dscnt 0x0
	v_bcnt_u32_b32 v61, v61, v197
	ds_store_b32 v199, v61 offset:1056
.LBB2069_1048:                          ;   in Loop: Header=BB2069_982 Depth=2
	s_or_b32 exec_lo, exec_lo, s15
	v_cmp_lt_i16_e32 vcc_lo, -1, v60
	; wave barrier
	v_cndmask_b32_e64 v61, -1, 0xffff8000, vcc_lo
	s_delay_alu instid0(VALU_DEP_1) | instskip(NEXT) | instid1(VALU_DEP_1)
	v_xor_b32_e32 v196, v61, v60
	v_cmp_ne_u16_e64 vcc_lo, 0x7fff, v196
	v_cndmask_b32_e32 v60, 0xffff8000, v196, vcc_lo
	s_delay_alu instid0(VALU_DEP_1) | instskip(NEXT) | instid1(VALU_DEP_1)
	v_and_b32_e32 v60, 0xffff, v60
	v_lshrrev_b32_e32 v60, s49, v60
	s_delay_alu instid0(VALU_DEP_1) | instskip(SKIP_1) | instid1(VALU_DEP_2)
	v_bitop3_b32 v61, v60, 1, s52 bitop3:0x80
	v_and_b32_e32 v62, s52, v60
	v_add_co_u32 v60, s15, v61, -1
	s_delay_alu instid0(VALU_DEP_1) | instskip(NEXT) | instid1(VALU_DEP_3)
	v_cndmask_b32_e64 v61, 0, 1, s15
	v_lshlrev_b32_e32 v63, 30, v62
	s_delay_alu instid0(VALU_DEP_2) | instskip(NEXT) | instid1(VALU_DEP_2)
	v_cmp_ne_u32_e32 vcc_lo, 0, v61
	v_not_b32_e32 v61, v63
	v_cmp_gt_i32_e64 s15, 0, v63
	s_delay_alu instid0(VALU_DEP_2) | instskip(SKIP_3) | instid1(VALU_DEP_4)
	v_dual_ashrrev_i32 v61, 31, v61 :: v_dual_lshlrev_b32 v64, 29, v62
	v_dual_lshlrev_b32 v65, 28, v62 :: v_dual_lshlrev_b32 v66, 27, v62
	v_dual_lshlrev_b32 v67, 26, v62 :: v_dual_lshlrev_b32 v200, 25, v62
	v_lshlrev_b32_e32 v201, 24, v62
	v_cmp_gt_i32_e64 s16, 0, v64
	v_not_b32_e32 v63, v64
	v_not_b32_e32 v64, v65
	v_cmp_gt_i32_e64 s17, 0, v65
	v_cmp_gt_i32_e64 s18, 0, v66
	v_not_b32_e32 v65, v66
	v_not_b32_e32 v66, v67
	v_dual_ashrrev_i32 v63, 31, v63 :: v_dual_bitop2_b32 v60, vcc_lo, v60 bitop3:0x14
	v_dual_ashrrev_i32 v64, 31, v64 :: v_dual_bitop2_b32 v61, s15, v61 bitop3:0x14
	v_cmp_gt_i32_e64 s19, 0, v67
	v_cmp_gt_i32_e64 s20, 0, v200
	v_not_b32_e32 v67, v200
	v_not_b32_e32 v200, v201
	v_dual_ashrrev_i32 v65, 31, v65 :: v_dual_ashrrev_i32 v66, 31, v66
	v_xor_b32_e32 v63, s16, v63
	v_xor_b32_e32 v64, s17, v64
	v_bitop3_b32 v60, v60, v61, exec_lo bitop3:0x80
	v_cmp_gt_i32_e64 s21, 0, v201
	v_dual_ashrrev_i32 v61, 31, v67 :: v_dual_ashrrev_i32 v67, 31, v200
	v_xor_b32_e32 v65, s18, v65
	v_xor_b32_e32 v66, s19, v66
	v_bitop3_b32 v60, v60, v64, v63 bitop3:0x80
	v_mad_u32_u24 v63, v62, 36, v23
	v_xor_b32_e32 v61, s20, v61
	v_xor_b32_e32 v64, s21, v67
	s_delay_alu instid0(VALU_DEP_4) | instskip(SKIP_3) | instid1(VALU_DEP_2)
	v_bitop3_b32 v60, v60, v66, v65 bitop3:0x80
	ds_load_b32 v200, v63 offset:1056
	; wave barrier
	v_bitop3_b32 v60, v60, v64, v61 bitop3:0x80
	v_mul_u32_u24_e32 v61, 36, v62
	v_mbcnt_lo_u32_b32 v201, v60, 0
	v_cmp_ne_u32_e64 s15, 0, v60
	s_delay_alu instid0(VALU_DEP_3) | instskip(NEXT) | instid1(VALU_DEP_3)
	v_add_nc_u32_e32 v202, v23, v61
	v_cmp_eq_u32_e32 vcc_lo, 0, v201
	s_and_b32 s16, s15, vcc_lo
	s_delay_alu instid0(SALU_CYCLE_1)
	s_and_saveexec_b32 s15, s16
	s_cbranch_execz .LBB2069_1050
; %bb.1049:                             ;   in Loop: Header=BB2069_982 Depth=2
	s_wait_dscnt 0x0
	v_bcnt_u32_b32 v60, v60, v200
	ds_store_b32 v202, v60 offset:1056
.LBB2069_1050:                          ;   in Loop: Header=BB2069_982 Depth=2
	s_or_b32 exec_lo, exec_lo, s15
	; wave barrier
	s_wait_dscnt 0x0
	s_barrier_signal -1
	s_barrier_wait -1
	ds_load_2addr_b32 v[66:67], v118 offset1:1
	ds_load_2addr_b32 v[64:65], v119 offset1:1
	;; [unrolled: 1-line block ×4, first 2 shown]
	ds_load_b32 v203, v91 offset:1088
	s_wait_dscnt 0x3
	v_add3_u32 v204, v67, v66, v64
	s_wait_dscnt 0x2
	s_delay_alu instid0(VALU_DEP_1) | instskip(SKIP_1) | instid1(VALU_DEP_1)
	v_add3_u32 v204, v204, v65, v62
	s_wait_dscnt 0x1
	v_add3_u32 v204, v204, v63, v60
	s_wait_dscnt 0x0
	s_delay_alu instid0(VALU_DEP_1) | instskip(NEXT) | instid1(VALU_DEP_1)
	v_add3_u32 v203, v204, v61, v203
	v_mov_b32_dpp v204, v203 row_shr:1 row_mask:0xf bank_mask:0xf
	s_delay_alu instid0(VALU_DEP_1) | instskip(NEXT) | instid1(VALU_DEP_1)
	v_cndmask_b32_e64 v204, v204, 0, s7
	v_add_nc_u32_e32 v203, v204, v203
	s_delay_alu instid0(VALU_DEP_1) | instskip(NEXT) | instid1(VALU_DEP_1)
	v_mov_b32_dpp v204, v203 row_shr:2 row_mask:0xf bank_mask:0xf
	v_cndmask_b32_e64 v204, 0, v204, s8
	s_delay_alu instid0(VALU_DEP_1) | instskip(NEXT) | instid1(VALU_DEP_1)
	v_add_nc_u32_e32 v203, v203, v204
	v_mov_b32_dpp v204, v203 row_shr:4 row_mask:0xf bank_mask:0xf
	s_delay_alu instid0(VALU_DEP_1) | instskip(NEXT) | instid1(VALU_DEP_1)
	v_cndmask_b32_e64 v204, 0, v204, s9
	v_add_nc_u32_e32 v203, v203, v204
	s_delay_alu instid0(VALU_DEP_1) | instskip(NEXT) | instid1(VALU_DEP_1)
	v_mov_b32_dpp v204, v203 row_shr:8 row_mask:0xf bank_mask:0xf
	v_cndmask_b32_e64 v204, 0, v204, s10
	s_delay_alu instid0(VALU_DEP_1) | instskip(SKIP_3) | instid1(VALU_DEP_1)
	v_add_nc_u32_e32 v203, v203, v204
	ds_swizzle_b32 v204, v203 offset:swizzle(BROADCAST,32,15)
	s_wait_dscnt 0x0
	v_cndmask_b32_e64 v204, v204, 0, s11
	v_add_nc_u32_e32 v203, v203, v204
	s_and_saveexec_b32 s15, s1
; %bb.1051:                             ;   in Loop: Header=BB2069_982 Depth=2
	ds_store_b32 v84, v203 offset:1024
; %bb.1052:                             ;   in Loop: Header=BB2069_982 Depth=2
	s_or_b32 exec_lo, exec_lo, s15
	s_wait_dscnt 0x0
	s_barrier_signal -1
	s_barrier_wait -1
	s_and_saveexec_b32 s15, s4
	s_cbranch_execz .LBB2069_1054
; %bb.1053:                             ;   in Loop: Header=BB2069_982 Depth=2
	ds_load_b32 v204, v92 offset:1024
	s_wait_dscnt 0x0
	v_mov_b32_dpp v205, v204 row_shr:1 row_mask:0xf bank_mask:0xf
	s_delay_alu instid0(VALU_DEP_1) | instskip(NEXT) | instid1(VALU_DEP_1)
	v_cndmask_b32_e64 v205, v205, 0, s12
	v_add_nc_u32_e32 v204, v205, v204
	s_delay_alu instid0(VALU_DEP_1) | instskip(NEXT) | instid1(VALU_DEP_1)
	v_mov_b32_dpp v205, v204 row_shr:2 row_mask:0xf bank_mask:0xf
	v_cndmask_b32_e64 v205, 0, v205, s13
	s_delay_alu instid0(VALU_DEP_1) | instskip(NEXT) | instid1(VALU_DEP_1)
	v_add_nc_u32_e32 v204, v204, v205
	v_mov_b32_dpp v205, v204 row_shr:4 row_mask:0xf bank_mask:0xf
	s_delay_alu instid0(VALU_DEP_1) | instskip(NEXT) | instid1(VALU_DEP_1)
	v_cndmask_b32_e64 v205, 0, v205, s14
	v_add_nc_u32_e32 v204, v204, v205
	ds_store_b32 v92, v204 offset:1024
.LBB2069_1054:                          ;   in Loop: Header=BB2069_982 Depth=2
	s_or_b32 exec_lo, exec_lo, s15
	v_mov_b32_e32 v204, 0
	s_wait_dscnt 0x0
	s_barrier_signal -1
	s_barrier_wait -1
	s_and_saveexec_b32 s15, s5
; %bb.1055:                             ;   in Loop: Header=BB2069_982 Depth=2
	ds_load_b32 v204, v84 offset:1020
; %bb.1056:                             ;   in Loop: Header=BB2069_982 Depth=2
	s_or_b32 exec_lo, exec_lo, s15
	s_wait_dscnt 0x0
	v_add_nc_u32_e32 v203, v204, v203
	ds_bpermute_b32 v203, v122, v203
	s_wait_dscnt 0x0
	v_cndmask_b32_e64 v203, v203, v204, s6
	s_delay_alu instid0(VALU_DEP_1) | instskip(NEXT) | instid1(VALU_DEP_1)
	v_cndmask_b32_e64 v203, v203, 0, s2
	v_add_nc_u32_e32 v66, v203, v66
	s_delay_alu instid0(VALU_DEP_1) | instskip(NEXT) | instid1(VALU_DEP_1)
	v_add_nc_u32_e32 v67, v66, v67
	v_add_nc_u32_e32 v64, v67, v64
	s_delay_alu instid0(VALU_DEP_1) | instskip(NEXT) | instid1(VALU_DEP_1)
	v_add_nc_u32_e32 v65, v64, v65
	;; [unrolled: 3-line block ×3, first 2 shown]
	v_add_nc_u32_e32 v60, v63, v60
	s_delay_alu instid0(VALU_DEP_1)
	v_add_nc_u32_e32 v61, v60, v61
	ds_store_2addr_b32 v121, v63, v60 offset1:1
	ds_store_2addr_b32 v118, v203, v66 offset1:1
	;; [unrolled: 1-line block ×4, first 2 shown]
	ds_store_b32 v91, v61 offset:1088
	s_wait_dscnt 0x0
	s_barrier_signal -1
	s_barrier_wait -1
	ds_load_b32 v63, v143 offset:1056
	ds_load_b32 v65, v147 offset:1056
	;; [unrolled: 1-line block ×17, first 2 shown]
	v_mov_b32_e32 v62, 0x1000
	s_and_saveexec_b32 s15, s3
; %bb.1057:                             ;   in Loop: Header=BB2069_982 Depth=2
	ds_load_b32 v62, v91 offset:1092
; %bb.1058:                             ;   in Loop: Header=BB2069_982 Depth=2
	s_or_b32 exec_lo, exec_lo, s15
	s_wait_dscnt 0x0
	s_barrier_signal -1
	s_barrier_wait -1
	s_and_saveexec_b32 s15, s0
	s_cbranch_execz .LBB2069_1060
; %bb.1059:                             ;   in Loop: Header=BB2069_982 Depth=2
	ds_load_b32 v155, v3
	s_wait_dscnt 0x0
	v_sub_nc_u32_e32 v151, v155, v151
	ds_store_b32 v3, v151
.LBB2069_1060:                          ;   in Loop: Header=BB2069_982 Depth=2
	s_or_b32 exec_lo, exec_lo, s15
	v_add3_u32 v159, v146, v145, v65
	v_add_nc_u32_e32 v163, v63, v142
	v_add3_u32 v155, v150, v149, v66
	v_add3_u32 v151, v154, v153, v67
	;; [unrolled: 1-line block ×4, first 2 shown]
	v_lshlrev_b32_e32 v60, 1, v159
	v_lshlrev_b32_e32 v153, 1, v163
	v_add3_u32 v150, v158, v157, v143
	v_add3_u32 v147, v166, v165, v203
	;; [unrolled: 1-line block ×4, first 2 shown]
	v_lshlrev_b32_e32 v61, 1, v155
	v_add3_u32 v145, v174, v173, v175
	v_lshlrev_b32_e32 v154, 1, v149
	ds_store_b16 v153, v140 offset:1024
	v_lshlrev_b32_e32 v140, 1, v151
	v_add3_u32 v143, v178, v177, v179
	v_lshlrev_b32_e32 v153, 1, v150
	v_add3_u32 v142, v182, v181, v183
	v_add3_u32 v63, v186, v185, v187
	ds_store_b16 v60, v141 offset:1024
	ds_store_b16 v61, v144 offset:1024
	;; [unrolled: 1-line block ×5, first 2 shown]
	v_dual_lshlrev_b32 v60, 1, v147 :: v_dual_lshlrev_b32 v140, 1, v145
	v_lshlrev_b32_e32 v61, 1, v146
	v_add3_u32 v65, v198, v197, v64
	v_dual_lshlrev_b32 v141, 1, v143 :: v_dual_lshlrev_b32 v144, 1, v142
	v_add3_u32 v64, v201, v200, v167
	ds_store_b16 v60, v160 offset:1024
	ds_store_b16 v61, v164 offset:1024
	;; [unrolled: 1-line block ×5, first 2 shown]
	v_dual_lshlrev_b32 v60, 1, v63 :: v_dual_lshlrev_b32 v140, 1, v66
	v_cmp_lt_u32_e32 vcc_lo, v2, v139
	v_dual_lshlrev_b32 v61, 1, v67 :: v_dual_lshlrev_b32 v141, 1, v65
	v_lshlrev_b32_e32 v144, 1, v64
	ds_store_b16 v60, v180 offset:1024
	ds_store_b16 v61, v184 offset:1024
	;; [unrolled: 1-line block ×5, first 2 shown]
	s_wait_dscnt 0x0
	s_barrier_signal -1
	s_barrier_wait -1
	s_and_saveexec_b32 s16, vcc_lo
	s_cbranch_execnz .LBB2069_1129
; %bb.1061:                             ;   in Loop: Header=BB2069_982 Depth=2
	s_or_b32 exec_lo, exec_lo, s16
	v_cmp_lt_u32_e64 s15, v68, v139
	s_and_saveexec_b32 s17, s15
	s_cbranch_execnz .LBB2069_1130
.LBB2069_1062:                          ;   in Loop: Header=BB2069_982 Depth=2
	s_or_b32 exec_lo, exec_lo, s17
	v_cmp_lt_u32_e64 s16, v69, v139
	s_and_saveexec_b32 s18, s16
	s_cbranch_execnz .LBB2069_1131
.LBB2069_1063:                          ;   in Loop: Header=BB2069_982 Depth=2
	s_or_b32 exec_lo, exec_lo, s18
	v_cmp_lt_u32_e64 s17, v70, v139
	s_and_saveexec_b32 s19, s17
	s_cbranch_execnz .LBB2069_1132
.LBB2069_1064:                          ;   in Loop: Header=BB2069_982 Depth=2
	s_or_b32 exec_lo, exec_lo, s19
	v_cmp_lt_u32_e64 s18, v71, v139
	s_and_saveexec_b32 s20, s18
	s_cbranch_execnz .LBB2069_1133
.LBB2069_1065:                          ;   in Loop: Header=BB2069_982 Depth=2
	s_or_b32 exec_lo, exec_lo, s20
	v_cmp_lt_u32_e64 s19, v72, v139
	s_and_saveexec_b32 s21, s19
	s_cbranch_execnz .LBB2069_1134
.LBB2069_1066:                          ;   in Loop: Header=BB2069_982 Depth=2
	s_or_b32 exec_lo, exec_lo, s21
	v_cmp_lt_u32_e64 s20, v73, v139
	s_and_saveexec_b32 s22, s20
	s_cbranch_execnz .LBB2069_1135
.LBB2069_1067:                          ;   in Loop: Header=BB2069_982 Depth=2
	s_or_b32 exec_lo, exec_lo, s22
	v_cmp_lt_u32_e64 s21, v74, v139
	s_and_saveexec_b32 s23, s21
	s_cbranch_execnz .LBB2069_1136
.LBB2069_1068:                          ;   in Loop: Header=BB2069_982 Depth=2
	s_or_b32 exec_lo, exec_lo, s23
	v_cmp_lt_u32_e64 s22, v75, v139
	s_and_saveexec_b32 s24, s22
	s_cbranch_execnz .LBB2069_1137
.LBB2069_1069:                          ;   in Loop: Header=BB2069_982 Depth=2
	s_or_b32 exec_lo, exec_lo, s24
	v_cmp_lt_u32_e64 s23, v76, v139
	s_and_saveexec_b32 s25, s23
	s_cbranch_execnz .LBB2069_1138
.LBB2069_1070:                          ;   in Loop: Header=BB2069_982 Depth=2
	s_or_b32 exec_lo, exec_lo, s25
	v_cmp_lt_u32_e64 s24, v77, v139
	s_and_saveexec_b32 s26, s24
	s_cbranch_execnz .LBB2069_1139
.LBB2069_1071:                          ;   in Loop: Header=BB2069_982 Depth=2
	s_or_b32 exec_lo, exec_lo, s26
	v_cmp_lt_u32_e64 s25, v78, v139
	s_and_saveexec_b32 s27, s25
	s_cbranch_execnz .LBB2069_1140
.LBB2069_1072:                          ;   in Loop: Header=BB2069_982 Depth=2
	s_or_b32 exec_lo, exec_lo, s27
	v_cmp_lt_u32_e64 s26, v79, v139
	s_and_saveexec_b32 s28, s26
	s_cbranch_execnz .LBB2069_1141
.LBB2069_1073:                          ;   in Loop: Header=BB2069_982 Depth=2
	s_or_b32 exec_lo, exec_lo, s28
	v_cmp_lt_u32_e64 s27, v80, v139
	s_and_saveexec_b32 s29, s27
	s_cbranch_execnz .LBB2069_1142
.LBB2069_1074:                          ;   in Loop: Header=BB2069_982 Depth=2
	s_or_b32 exec_lo, exec_lo, s29
	v_cmp_lt_u32_e64 s28, v81, v139
	s_and_saveexec_b32 s30, s28
	s_cbranch_execnz .LBB2069_1143
.LBB2069_1075:                          ;   in Loop: Header=BB2069_982 Depth=2
	s_or_b32 exec_lo, exec_lo, s30
	v_cmp_lt_u32_e64 s29, v82, v139
	s_and_saveexec_b32 s58, s29
	s_cbranch_execz .LBB2069_1077
.LBB2069_1076:                          ;   in Loop: Header=BB2069_982 Depth=2
	ds_load_u16 v60, v93 offset:8704
	s_wait_dscnt 0x0
	v_cmp_ne_u16_e64 s30, 0x7fff, v60
	s_delay_alu instid0(VALU_DEP_1) | instskip(SKIP_1) | instid1(VALU_DEP_2)
	v_cndmask_b32_e64 v61, 0xffff8000, v60, s30
	v_cmp_lt_i16_e64 s30, -1, v60
	v_and_b32_e32 v61, 0xffff, v61
	s_delay_alu instid0(VALU_DEP_2) | instskip(NEXT) | instid1(VALU_DEP_1)
	v_cndmask_b32_e64 v140, 0xffff8000, -1, s30
	v_dual_lshrrev_b32 v61, s49, v61 :: v_dual_bitop2_b32 v60, v140, v60 bitop3:0x14
	s_delay_alu instid0(VALU_DEP_1) | instskip(NEXT) | instid1(VALU_DEP_1)
	v_and_b32_e32 v61, s52, v61
	v_lshlrev_b32_e32 v61, 2, v61
	ds_load_b32 v61, v61
	s_wait_dscnt 0x0
	v_add_nc_u32_e32 v61, v61, v82
	global_store_b16 v61, v60, s[40:41] scale_offset
.LBB2069_1077:                          ;   in Loop: Header=BB2069_982 Depth=2
	s_wait_xcnt 0x0
	s_or_b32 exec_lo, exec_lo, s58
	v_lshl_add_u64 v[60:61], s[42:43], 3, v[24:25]
	v_cmp_lt_u32_e64 s30, v100, v139
	s_and_saveexec_b32 s42, s30
	s_delay_alu instid0(SALU_CYCLE_1)
	s_xor_b32 s30, exec_lo, s42
	s_cbranch_execnz .LBB2069_1144
; %bb.1078:                             ;   in Loop: Header=BB2069_982 Depth=2
	s_or_b32 exec_lo, exec_lo, s30
	s_delay_alu instid0(SALU_CYCLE_1)
	s_mov_b32 s42, exec_lo
	v_cmpx_lt_u32_e64 v103, v139
	s_cbranch_execnz .LBB2069_1145
.LBB2069_1079:                          ;   in Loop: Header=BB2069_982 Depth=2
	s_or_b32 exec_lo, exec_lo, s42
	s_delay_alu instid0(SALU_CYCLE_1)
	s_mov_b32 s42, exec_lo
	v_cmpx_lt_u32_e64 v104, v139
	s_cbranch_execnz .LBB2069_1146
.LBB2069_1080:                          ;   in Loop: Header=BB2069_982 Depth=2
	s_or_b32 exec_lo, exec_lo, s42
	s_delay_alu instid0(SALU_CYCLE_1)
	s_mov_b32 s42, exec_lo
	v_cmpx_lt_u32_e64 v105, v139
	s_cbranch_execnz .LBB2069_1147
.LBB2069_1081:                          ;   in Loop: Header=BB2069_982 Depth=2
	s_or_b32 exec_lo, exec_lo, s42
	s_delay_alu instid0(SALU_CYCLE_1)
	s_mov_b32 s42, exec_lo
	v_cmpx_lt_u32_e64 v106, v139
	s_cbranch_execnz .LBB2069_1148
.LBB2069_1082:                          ;   in Loop: Header=BB2069_982 Depth=2
	s_or_b32 exec_lo, exec_lo, s42
	s_delay_alu instid0(SALU_CYCLE_1)
	s_mov_b32 s42, exec_lo
	v_cmpx_lt_u32_e64 v107, v139
	s_cbranch_execnz .LBB2069_1149
.LBB2069_1083:                          ;   in Loop: Header=BB2069_982 Depth=2
	s_or_b32 exec_lo, exec_lo, s42
	s_delay_alu instid0(SALU_CYCLE_1)
	s_mov_b32 s42, exec_lo
	v_cmpx_lt_u32_e64 v108, v139
	s_cbranch_execnz .LBB2069_1150
.LBB2069_1084:                          ;   in Loop: Header=BB2069_982 Depth=2
	s_or_b32 exec_lo, exec_lo, s42
	s_delay_alu instid0(SALU_CYCLE_1)
	s_mov_b32 s42, exec_lo
	v_cmpx_lt_u32_e64 v109, v139
	s_cbranch_execnz .LBB2069_1151
.LBB2069_1085:                          ;   in Loop: Header=BB2069_982 Depth=2
	s_or_b32 exec_lo, exec_lo, s42
	s_delay_alu instid0(SALU_CYCLE_1)
	s_mov_b32 s42, exec_lo
	v_cmpx_lt_u32_e64 v110, v139
	s_cbranch_execnz .LBB2069_1152
.LBB2069_1086:                          ;   in Loop: Header=BB2069_982 Depth=2
	s_or_b32 exec_lo, exec_lo, s42
	s_delay_alu instid0(SALU_CYCLE_1)
	s_mov_b32 s42, exec_lo
	v_cmpx_lt_u32_e64 v111, v139
	s_cbranch_execnz .LBB2069_1153
.LBB2069_1087:                          ;   in Loop: Header=BB2069_982 Depth=2
	s_or_b32 exec_lo, exec_lo, s42
	s_delay_alu instid0(SALU_CYCLE_1)
	s_mov_b32 s42, exec_lo
	v_cmpx_lt_u32_e64 v112, v139
	s_cbranch_execnz .LBB2069_1154
.LBB2069_1088:                          ;   in Loop: Header=BB2069_982 Depth=2
	s_or_b32 exec_lo, exec_lo, s42
	s_delay_alu instid0(SALU_CYCLE_1)
	s_mov_b32 s42, exec_lo
	v_cmpx_lt_u32_e64 v113, v139
	s_cbranch_execnz .LBB2069_1155
.LBB2069_1089:                          ;   in Loop: Header=BB2069_982 Depth=2
	s_or_b32 exec_lo, exec_lo, s42
	s_delay_alu instid0(SALU_CYCLE_1)
	s_mov_b32 s42, exec_lo
	v_cmpx_lt_u32_e64 v114, v139
	s_cbranch_execnz .LBB2069_1156
.LBB2069_1090:                          ;   in Loop: Header=BB2069_982 Depth=2
	s_or_b32 exec_lo, exec_lo, s42
	s_delay_alu instid0(SALU_CYCLE_1)
	s_mov_b32 s42, exec_lo
	v_cmpx_lt_u32_e64 v115, v139
	s_cbranch_execnz .LBB2069_1157
.LBB2069_1091:                          ;   in Loop: Header=BB2069_982 Depth=2
	s_or_b32 exec_lo, exec_lo, s42
	s_delay_alu instid0(SALU_CYCLE_1)
	s_mov_b32 s42, exec_lo
	v_cmpx_lt_u32_e64 v116, v139
	s_cbranch_execnz .LBB2069_1158
.LBB2069_1092:                          ;   in Loop: Header=BB2069_982 Depth=2
	s_or_b32 exec_lo, exec_lo, s42
	s_delay_alu instid0(SALU_CYCLE_1)
	s_mov_b32 s42, exec_lo
	v_cmpx_lt_u32_e64 v117, v139
	s_cbranch_execnz .LBB2069_1159
.LBB2069_1093:                          ;   in Loop: Header=BB2069_982 Depth=2
	s_or_b32 exec_lo, exec_lo, s42
	s_and_saveexec_b32 s42, vcc_lo
	s_cbranch_execnz .LBB2069_1160
.LBB2069_1094:                          ;   in Loop: Header=BB2069_982 Depth=2
	s_or_b32 exec_lo, exec_lo, s42
	s_and_saveexec_b32 s42, s15
	s_cbranch_execnz .LBB2069_1161
.LBB2069_1095:                          ;   in Loop: Header=BB2069_982 Depth=2
	s_or_b32 exec_lo, exec_lo, s42
	s_and_saveexec_b32 s42, s16
	s_cbranch_execnz .LBB2069_1162
.LBB2069_1096:                          ;   in Loop: Header=BB2069_982 Depth=2
	s_or_b32 exec_lo, exec_lo, s42
	s_and_saveexec_b32 s42, s17
	s_cbranch_execnz .LBB2069_1163
.LBB2069_1097:                          ;   in Loop: Header=BB2069_982 Depth=2
	s_or_b32 exec_lo, exec_lo, s42
	s_and_saveexec_b32 s42, s18
	s_cbranch_execnz .LBB2069_1164
.LBB2069_1098:                          ;   in Loop: Header=BB2069_982 Depth=2
	s_or_b32 exec_lo, exec_lo, s42
	s_and_saveexec_b32 s42, s19
	s_cbranch_execnz .LBB2069_1165
.LBB2069_1099:                          ;   in Loop: Header=BB2069_982 Depth=2
	s_or_b32 exec_lo, exec_lo, s42
	s_and_saveexec_b32 s42, s20
	s_cbranch_execnz .LBB2069_1166
.LBB2069_1100:                          ;   in Loop: Header=BB2069_982 Depth=2
	s_or_b32 exec_lo, exec_lo, s42
	s_and_saveexec_b32 s42, s21
	s_cbranch_execnz .LBB2069_1167
.LBB2069_1101:                          ;   in Loop: Header=BB2069_982 Depth=2
	s_or_b32 exec_lo, exec_lo, s42
	s_and_saveexec_b32 s42, s22
	s_cbranch_execnz .LBB2069_1168
.LBB2069_1102:                          ;   in Loop: Header=BB2069_982 Depth=2
	s_or_b32 exec_lo, exec_lo, s42
	s_and_saveexec_b32 s42, s23
	s_cbranch_execnz .LBB2069_1169
.LBB2069_1103:                          ;   in Loop: Header=BB2069_982 Depth=2
	s_or_b32 exec_lo, exec_lo, s42
	s_and_saveexec_b32 s42, s24
	s_cbranch_execnz .LBB2069_1170
.LBB2069_1104:                          ;   in Loop: Header=BB2069_982 Depth=2
	s_or_b32 exec_lo, exec_lo, s42
	s_and_saveexec_b32 s42, s25
	s_cbranch_execnz .LBB2069_1171
.LBB2069_1105:                          ;   in Loop: Header=BB2069_982 Depth=2
	s_or_b32 exec_lo, exec_lo, s42
	s_and_saveexec_b32 s42, s26
	s_cbranch_execnz .LBB2069_1172
.LBB2069_1106:                          ;   in Loop: Header=BB2069_982 Depth=2
	s_or_b32 exec_lo, exec_lo, s42
	s_and_saveexec_b32 s42, s27
	s_cbranch_execnz .LBB2069_1173
.LBB2069_1107:                          ;   in Loop: Header=BB2069_982 Depth=2
	s_or_b32 exec_lo, exec_lo, s42
	s_and_saveexec_b32 s42, s28
	s_cbranch_execnz .LBB2069_1174
.LBB2069_1108:                          ;   in Loop: Header=BB2069_982 Depth=2
	s_or_b32 exec_lo, exec_lo, s42
	s_and_saveexec_b32 s42, s29
	s_cbranch_execz .LBB2069_1110
.LBB2069_1109:                          ;   in Loop: Header=BB2069_982 Depth=2
	ds_load_u16 v60, v93 offset:8704
	s_wait_dscnt 0x0
	v_cmp_ne_u16_e64 s30, 0x7fff, v60
	s_delay_alu instid0(VALU_DEP_1) | instskip(NEXT) | instid1(VALU_DEP_1)
	v_cndmask_b32_e64 v60, 0xffff8000, v60, s30
	v_and_b32_e32 v60, 0xffff, v60
	s_delay_alu instid0(VALU_DEP_1) | instskip(NEXT) | instid1(VALU_DEP_1)
	v_lshrrev_b32_e32 v60, s49, v60
	v_and_b32_e32 v123, s52, v60
.LBB2069_1110:                          ;   in Loop: Header=BB2069_982 Depth=2
	s_or_b32 exec_lo, exec_lo, s42
	v_dual_lshlrev_b32 v60, 3, v163 :: v_dual_lshlrev_b32 v140, 3, v150
	s_wait_loadcnt 0x0
	s_wait_storecnt 0x0
	s_barrier_signal -1
	s_barrier_wait -1
	ds_store_b64 v60, v[58:59] offset:1024
	v_dual_lshlrev_b32 v60, 3, v159 :: v_dual_lshlrev_b32 v141, 3, v149
	v_lshlrev_b32_e32 v61, 3, v155
	v_lshlrev_b32_e32 v139, 3, v151
	ds_store_b64 v60, v[56:57] offset:1024
	ds_store_b64 v61, v[54:55] offset:1024
	ds_store_b64 v139, v[52:53] offset:1024
	ds_store_b64 v140, v[50:51] offset:1024
	ds_store_b64 v141, v[48:49] offset:1024
	v_dual_lshlrev_b32 v60, 3, v147 :: v_dual_lshlrev_b32 v141, 3, v142
	v_dual_lshlrev_b32 v61, 3, v146 :: v_dual_lshlrev_b32 v139, 3, v145
	v_lshlrev_b32_e32 v140, 3, v143
	ds_store_b64 v60, v[46:47] offset:1024
	ds_store_b64 v61, v[44:45] offset:1024
	ds_store_b64 v139, v[42:43] offset:1024
	ds_store_b64 v140, v[40:41] offset:1024
	ds_store_b64 v141, v[38:39] offset:1024
	v_dual_lshlrev_b32 v60, 3, v63 :: v_dual_lshlrev_b32 v65, 3, v65
	v_dual_lshlrev_b32 v61, 3, v67 :: v_dual_lshlrev_b32 v64, 3, v64
	v_lshlrev_b32_e32 v63, 3, v66
	ds_store_b64 v60, v[36:37] offset:1024
	ds_store_b64 v61, v[34:35] offset:1024
	;; [unrolled: 1-line block ×5, first 2 shown]
	v_add_nc_u32_e32 v60, v93, v94
	s_wait_dscnt 0x0
	s_barrier_signal -1
	s_barrier_wait -1
	s_and_saveexec_b32 s30, vcc_lo
	s_cbranch_execnz .LBB2069_1175
; %bb.1111:                             ;   in Loop: Header=BB2069_982 Depth=2
	s_or_b32 exec_lo, exec_lo, s30
	s_and_saveexec_b32 s30, s15
	s_cbranch_execnz .LBB2069_1176
.LBB2069_1112:                          ;   in Loop: Header=BB2069_982 Depth=2
	s_or_b32 exec_lo, exec_lo, s30
	s_and_saveexec_b32 s15, s16
	s_cbranch_execnz .LBB2069_1177
.LBB2069_1113:                          ;   in Loop: Header=BB2069_982 Depth=2
	s_or_b32 exec_lo, exec_lo, s15
	s_and_saveexec_b32 s15, s17
	s_cbranch_execnz .LBB2069_1178
.LBB2069_1114:                          ;   in Loop: Header=BB2069_982 Depth=2
	s_or_b32 exec_lo, exec_lo, s15
	s_and_saveexec_b32 s15, s18
	s_cbranch_execnz .LBB2069_1179
.LBB2069_1115:                          ;   in Loop: Header=BB2069_982 Depth=2
	s_or_b32 exec_lo, exec_lo, s15
	s_and_saveexec_b32 s15, s19
	s_cbranch_execnz .LBB2069_1180
.LBB2069_1116:                          ;   in Loop: Header=BB2069_982 Depth=2
	s_or_b32 exec_lo, exec_lo, s15
	s_and_saveexec_b32 s15, s20
	s_cbranch_execnz .LBB2069_1181
.LBB2069_1117:                          ;   in Loop: Header=BB2069_982 Depth=2
	s_or_b32 exec_lo, exec_lo, s15
	s_and_saveexec_b32 s15, s21
	s_cbranch_execnz .LBB2069_1182
.LBB2069_1118:                          ;   in Loop: Header=BB2069_982 Depth=2
	s_or_b32 exec_lo, exec_lo, s15
	s_and_saveexec_b32 s15, s22
	s_cbranch_execnz .LBB2069_1183
.LBB2069_1119:                          ;   in Loop: Header=BB2069_982 Depth=2
	s_or_b32 exec_lo, exec_lo, s15
	s_and_saveexec_b32 s15, s23
	s_cbranch_execnz .LBB2069_1184
.LBB2069_1120:                          ;   in Loop: Header=BB2069_982 Depth=2
	s_or_b32 exec_lo, exec_lo, s15
	s_and_saveexec_b32 s15, s24
	s_cbranch_execnz .LBB2069_1185
.LBB2069_1121:                          ;   in Loop: Header=BB2069_982 Depth=2
	s_or_b32 exec_lo, exec_lo, s15
	s_and_saveexec_b32 s15, s25
	s_cbranch_execnz .LBB2069_1186
.LBB2069_1122:                          ;   in Loop: Header=BB2069_982 Depth=2
	s_or_b32 exec_lo, exec_lo, s15
	s_and_saveexec_b32 s15, s26
	s_cbranch_execnz .LBB2069_1187
.LBB2069_1123:                          ;   in Loop: Header=BB2069_982 Depth=2
	s_or_b32 exec_lo, exec_lo, s15
	s_and_saveexec_b32 s15, s27
	s_cbranch_execnz .LBB2069_1188
.LBB2069_1124:                          ;   in Loop: Header=BB2069_982 Depth=2
	s_or_b32 exec_lo, exec_lo, s15
	s_and_saveexec_b32 s15, s28
	s_cbranch_execnz .LBB2069_1189
.LBB2069_1125:                          ;   in Loop: Header=BB2069_982 Depth=2
	s_or_b32 exec_lo, exec_lo, s15
	s_and_saveexec_b32 s15, s29
	s_cbranch_execz .LBB2069_1127
.LBB2069_1126:                          ;   in Loop: Header=BB2069_982 Depth=2
	v_lshlrev_b32_e32 v61, 2, v123
	ds_load_b32 v63, v61
	ds_load_b64 v[60:61], v60 offset:31744
	s_wait_dscnt 0x1
	v_add_nc_u32_e32 v63, v63, v82
	s_wait_dscnt 0x0
	global_store_b64 v63, v[60:61], s[46:47] scale_offset
.LBB2069_1127:                          ;   in Loop: Header=BB2069_982 Depth=2
	s_wait_xcnt 0x0
	s_or_b32 exec_lo, exec_lo, s15
	s_wait_storecnt 0x0
	s_barrier_signal -1
	s_barrier_wait -1
	s_and_saveexec_b32 s15, s0
	s_cbranch_execz .LBB2069_981
; %bb.1128:                             ;   in Loop: Header=BB2069_982 Depth=2
	ds_load_b32 v60, v3
	s_wait_dscnt 0x0
	v_add_nc_u32_e32 v60, v60, v62
	ds_store_b32 v3, v60
	s_branch .LBB2069_981
.LBB2069_1129:                          ;   in Loop: Header=BB2069_982 Depth=2
	ds_load_u16 v60, v93 offset:1024
	s_wait_dscnt 0x0
	v_cmp_ne_u16_e64 s15, 0x7fff, v60
	s_delay_alu instid0(VALU_DEP_1) | instskip(SKIP_1) | instid1(VALU_DEP_2)
	v_cndmask_b32_e64 v61, 0xffff8000, v60, s15
	v_cmp_lt_i16_e64 s15, -1, v60
	v_and_b32_e32 v61, 0xffff, v61
	s_delay_alu instid0(VALU_DEP_2) | instskip(NEXT) | instid1(VALU_DEP_1)
	v_cndmask_b32_e64 v140, 0xffff8000, -1, s15
	v_dual_lshrrev_b32 v61, s49, v61 :: v_dual_bitop2_b32 v60, v140, v60 bitop3:0x14
	s_delay_alu instid0(VALU_DEP_1) | instskip(NEXT) | instid1(VALU_DEP_1)
	v_and_b32_e32 v61, s52, v61
	v_lshlrev_b32_e32 v61, 2, v61
	ds_load_b32 v61, v61
	s_wait_dscnt 0x0
	v_add_nc_u32_e32 v61, v61, v2
	global_store_b16 v61, v60, s[40:41] scale_offset
	s_wait_xcnt 0x0
	s_or_b32 exec_lo, exec_lo, s16
	v_cmp_lt_u32_e64 s15, v68, v139
	s_and_saveexec_b32 s17, s15
	s_cbranch_execz .LBB2069_1062
.LBB2069_1130:                          ;   in Loop: Header=BB2069_982 Depth=2
	ds_load_u16 v60, v93 offset:1536
	s_wait_dscnt 0x0
	v_cmp_ne_u16_e64 s16, 0x7fff, v60
	s_delay_alu instid0(VALU_DEP_1) | instskip(SKIP_1) | instid1(VALU_DEP_2)
	v_cndmask_b32_e64 v61, 0xffff8000, v60, s16
	v_cmp_lt_i16_e64 s16, -1, v60
	v_and_b32_e32 v61, 0xffff, v61
	s_delay_alu instid0(VALU_DEP_2) | instskip(NEXT) | instid1(VALU_DEP_1)
	v_cndmask_b32_e64 v140, 0xffff8000, -1, s16
	v_dual_lshrrev_b32 v61, s49, v61 :: v_dual_bitop2_b32 v60, v140, v60 bitop3:0x14
	s_delay_alu instid0(VALU_DEP_1) | instskip(NEXT) | instid1(VALU_DEP_1)
	v_and_b32_e32 v61, s52, v61
	v_lshlrev_b32_e32 v61, 2, v61
	ds_load_b32 v61, v61
	s_wait_dscnt 0x0
	v_add_nc_u32_e32 v61, v61, v68
	global_store_b16 v61, v60, s[40:41] scale_offset
	s_wait_xcnt 0x0
	s_or_b32 exec_lo, exec_lo, s17
	v_cmp_lt_u32_e64 s16, v69, v139
	s_and_saveexec_b32 s18, s16
	s_cbranch_execz .LBB2069_1063
.LBB2069_1131:                          ;   in Loop: Header=BB2069_982 Depth=2
	ds_load_u16 v60, v93 offset:2048
	s_wait_dscnt 0x0
	v_cmp_ne_u16_e64 s17, 0x7fff, v60
	s_delay_alu instid0(VALU_DEP_1) | instskip(SKIP_1) | instid1(VALU_DEP_2)
	v_cndmask_b32_e64 v61, 0xffff8000, v60, s17
	v_cmp_lt_i16_e64 s17, -1, v60
	v_and_b32_e32 v61, 0xffff, v61
	s_delay_alu instid0(VALU_DEP_2) | instskip(NEXT) | instid1(VALU_DEP_1)
	v_cndmask_b32_e64 v140, 0xffff8000, -1, s17
	v_dual_lshrrev_b32 v61, s49, v61 :: v_dual_bitop2_b32 v60, v140, v60 bitop3:0x14
	s_delay_alu instid0(VALU_DEP_1) | instskip(NEXT) | instid1(VALU_DEP_1)
	v_and_b32_e32 v61, s52, v61
	v_lshlrev_b32_e32 v61, 2, v61
	ds_load_b32 v61, v61
	s_wait_dscnt 0x0
	v_add_nc_u32_e32 v61, v61, v69
	global_store_b16 v61, v60, s[40:41] scale_offset
	s_wait_xcnt 0x0
	s_or_b32 exec_lo, exec_lo, s18
	v_cmp_lt_u32_e64 s17, v70, v139
	s_and_saveexec_b32 s19, s17
	s_cbranch_execz .LBB2069_1064
.LBB2069_1132:                          ;   in Loop: Header=BB2069_982 Depth=2
	ds_load_u16 v60, v93 offset:2560
	s_wait_dscnt 0x0
	v_cmp_ne_u16_e64 s18, 0x7fff, v60
	s_delay_alu instid0(VALU_DEP_1) | instskip(SKIP_1) | instid1(VALU_DEP_2)
	v_cndmask_b32_e64 v61, 0xffff8000, v60, s18
	v_cmp_lt_i16_e64 s18, -1, v60
	v_and_b32_e32 v61, 0xffff, v61
	s_delay_alu instid0(VALU_DEP_2) | instskip(NEXT) | instid1(VALU_DEP_1)
	v_cndmask_b32_e64 v140, 0xffff8000, -1, s18
	v_dual_lshrrev_b32 v61, s49, v61 :: v_dual_bitop2_b32 v60, v140, v60 bitop3:0x14
	s_delay_alu instid0(VALU_DEP_1) | instskip(NEXT) | instid1(VALU_DEP_1)
	v_and_b32_e32 v61, s52, v61
	v_lshlrev_b32_e32 v61, 2, v61
	ds_load_b32 v61, v61
	s_wait_dscnt 0x0
	v_add_nc_u32_e32 v61, v61, v70
	global_store_b16 v61, v60, s[40:41] scale_offset
	s_wait_xcnt 0x0
	s_or_b32 exec_lo, exec_lo, s19
	v_cmp_lt_u32_e64 s18, v71, v139
	s_and_saveexec_b32 s20, s18
	s_cbranch_execz .LBB2069_1065
.LBB2069_1133:                          ;   in Loop: Header=BB2069_982 Depth=2
	ds_load_u16 v60, v93 offset:3072
	s_wait_dscnt 0x0
	v_cmp_ne_u16_e64 s19, 0x7fff, v60
	s_delay_alu instid0(VALU_DEP_1) | instskip(SKIP_1) | instid1(VALU_DEP_2)
	v_cndmask_b32_e64 v61, 0xffff8000, v60, s19
	v_cmp_lt_i16_e64 s19, -1, v60
	v_and_b32_e32 v61, 0xffff, v61
	s_delay_alu instid0(VALU_DEP_2) | instskip(NEXT) | instid1(VALU_DEP_1)
	v_cndmask_b32_e64 v140, 0xffff8000, -1, s19
	v_dual_lshrrev_b32 v61, s49, v61 :: v_dual_bitop2_b32 v60, v140, v60 bitop3:0x14
	s_delay_alu instid0(VALU_DEP_1) | instskip(NEXT) | instid1(VALU_DEP_1)
	v_and_b32_e32 v61, s52, v61
	v_lshlrev_b32_e32 v61, 2, v61
	ds_load_b32 v61, v61
	s_wait_dscnt 0x0
	v_add_nc_u32_e32 v61, v61, v71
	global_store_b16 v61, v60, s[40:41] scale_offset
	s_wait_xcnt 0x0
	s_or_b32 exec_lo, exec_lo, s20
	v_cmp_lt_u32_e64 s19, v72, v139
	s_and_saveexec_b32 s21, s19
	s_cbranch_execz .LBB2069_1066
.LBB2069_1134:                          ;   in Loop: Header=BB2069_982 Depth=2
	ds_load_u16 v60, v93 offset:3584
	s_wait_dscnt 0x0
	v_cmp_ne_u16_e64 s20, 0x7fff, v60
	s_delay_alu instid0(VALU_DEP_1) | instskip(SKIP_1) | instid1(VALU_DEP_2)
	v_cndmask_b32_e64 v61, 0xffff8000, v60, s20
	v_cmp_lt_i16_e64 s20, -1, v60
	v_and_b32_e32 v61, 0xffff, v61
	s_delay_alu instid0(VALU_DEP_2) | instskip(NEXT) | instid1(VALU_DEP_1)
	v_cndmask_b32_e64 v140, 0xffff8000, -1, s20
	v_dual_lshrrev_b32 v61, s49, v61 :: v_dual_bitop2_b32 v60, v140, v60 bitop3:0x14
	s_delay_alu instid0(VALU_DEP_1) | instskip(NEXT) | instid1(VALU_DEP_1)
	v_and_b32_e32 v61, s52, v61
	v_lshlrev_b32_e32 v61, 2, v61
	ds_load_b32 v61, v61
	s_wait_dscnt 0x0
	v_add_nc_u32_e32 v61, v61, v72
	global_store_b16 v61, v60, s[40:41] scale_offset
	s_wait_xcnt 0x0
	s_or_b32 exec_lo, exec_lo, s21
	v_cmp_lt_u32_e64 s20, v73, v139
	s_and_saveexec_b32 s22, s20
	s_cbranch_execz .LBB2069_1067
.LBB2069_1135:                          ;   in Loop: Header=BB2069_982 Depth=2
	ds_load_u16 v60, v93 offset:4096
	s_wait_dscnt 0x0
	v_cmp_ne_u16_e64 s21, 0x7fff, v60
	s_delay_alu instid0(VALU_DEP_1) | instskip(SKIP_1) | instid1(VALU_DEP_2)
	v_cndmask_b32_e64 v61, 0xffff8000, v60, s21
	v_cmp_lt_i16_e64 s21, -1, v60
	v_and_b32_e32 v61, 0xffff, v61
	s_delay_alu instid0(VALU_DEP_2) | instskip(NEXT) | instid1(VALU_DEP_1)
	v_cndmask_b32_e64 v140, 0xffff8000, -1, s21
	v_dual_lshrrev_b32 v61, s49, v61 :: v_dual_bitop2_b32 v60, v140, v60 bitop3:0x14
	s_delay_alu instid0(VALU_DEP_1) | instskip(NEXT) | instid1(VALU_DEP_1)
	v_and_b32_e32 v61, s52, v61
	v_lshlrev_b32_e32 v61, 2, v61
	ds_load_b32 v61, v61
	s_wait_dscnt 0x0
	v_add_nc_u32_e32 v61, v61, v73
	global_store_b16 v61, v60, s[40:41] scale_offset
	s_wait_xcnt 0x0
	s_or_b32 exec_lo, exec_lo, s22
	v_cmp_lt_u32_e64 s21, v74, v139
	s_and_saveexec_b32 s23, s21
	s_cbranch_execz .LBB2069_1068
.LBB2069_1136:                          ;   in Loop: Header=BB2069_982 Depth=2
	ds_load_u16 v60, v93 offset:4608
	s_wait_dscnt 0x0
	v_cmp_ne_u16_e64 s22, 0x7fff, v60
	s_delay_alu instid0(VALU_DEP_1) | instskip(SKIP_1) | instid1(VALU_DEP_2)
	v_cndmask_b32_e64 v61, 0xffff8000, v60, s22
	v_cmp_lt_i16_e64 s22, -1, v60
	v_and_b32_e32 v61, 0xffff, v61
	s_delay_alu instid0(VALU_DEP_2) | instskip(NEXT) | instid1(VALU_DEP_1)
	v_cndmask_b32_e64 v140, 0xffff8000, -1, s22
	v_dual_lshrrev_b32 v61, s49, v61 :: v_dual_bitop2_b32 v60, v140, v60 bitop3:0x14
	s_delay_alu instid0(VALU_DEP_1) | instskip(NEXT) | instid1(VALU_DEP_1)
	v_and_b32_e32 v61, s52, v61
	v_lshlrev_b32_e32 v61, 2, v61
	ds_load_b32 v61, v61
	s_wait_dscnt 0x0
	v_add_nc_u32_e32 v61, v61, v74
	global_store_b16 v61, v60, s[40:41] scale_offset
	s_wait_xcnt 0x0
	s_or_b32 exec_lo, exec_lo, s23
	v_cmp_lt_u32_e64 s22, v75, v139
	s_and_saveexec_b32 s24, s22
	s_cbranch_execz .LBB2069_1069
.LBB2069_1137:                          ;   in Loop: Header=BB2069_982 Depth=2
	ds_load_u16 v60, v93 offset:5120
	s_wait_dscnt 0x0
	v_cmp_ne_u16_e64 s23, 0x7fff, v60
	s_delay_alu instid0(VALU_DEP_1) | instskip(SKIP_1) | instid1(VALU_DEP_2)
	v_cndmask_b32_e64 v61, 0xffff8000, v60, s23
	v_cmp_lt_i16_e64 s23, -1, v60
	v_and_b32_e32 v61, 0xffff, v61
	s_delay_alu instid0(VALU_DEP_2) | instskip(NEXT) | instid1(VALU_DEP_1)
	v_cndmask_b32_e64 v140, 0xffff8000, -1, s23
	v_dual_lshrrev_b32 v61, s49, v61 :: v_dual_bitop2_b32 v60, v140, v60 bitop3:0x14
	s_delay_alu instid0(VALU_DEP_1) | instskip(NEXT) | instid1(VALU_DEP_1)
	v_and_b32_e32 v61, s52, v61
	v_lshlrev_b32_e32 v61, 2, v61
	ds_load_b32 v61, v61
	s_wait_dscnt 0x0
	v_add_nc_u32_e32 v61, v61, v75
	global_store_b16 v61, v60, s[40:41] scale_offset
	s_wait_xcnt 0x0
	s_or_b32 exec_lo, exec_lo, s24
	v_cmp_lt_u32_e64 s23, v76, v139
	s_and_saveexec_b32 s25, s23
	s_cbranch_execz .LBB2069_1070
.LBB2069_1138:                          ;   in Loop: Header=BB2069_982 Depth=2
	ds_load_u16 v60, v93 offset:5632
	s_wait_dscnt 0x0
	v_cmp_ne_u16_e64 s24, 0x7fff, v60
	s_delay_alu instid0(VALU_DEP_1) | instskip(SKIP_1) | instid1(VALU_DEP_2)
	v_cndmask_b32_e64 v61, 0xffff8000, v60, s24
	v_cmp_lt_i16_e64 s24, -1, v60
	v_and_b32_e32 v61, 0xffff, v61
	s_delay_alu instid0(VALU_DEP_2) | instskip(NEXT) | instid1(VALU_DEP_1)
	v_cndmask_b32_e64 v140, 0xffff8000, -1, s24
	v_dual_lshrrev_b32 v61, s49, v61 :: v_dual_bitop2_b32 v60, v140, v60 bitop3:0x14
	s_delay_alu instid0(VALU_DEP_1) | instskip(NEXT) | instid1(VALU_DEP_1)
	v_and_b32_e32 v61, s52, v61
	v_lshlrev_b32_e32 v61, 2, v61
	ds_load_b32 v61, v61
	s_wait_dscnt 0x0
	v_add_nc_u32_e32 v61, v61, v76
	global_store_b16 v61, v60, s[40:41] scale_offset
	s_wait_xcnt 0x0
	s_or_b32 exec_lo, exec_lo, s25
	v_cmp_lt_u32_e64 s24, v77, v139
	s_and_saveexec_b32 s26, s24
	s_cbranch_execz .LBB2069_1071
.LBB2069_1139:                          ;   in Loop: Header=BB2069_982 Depth=2
	ds_load_u16 v60, v93 offset:6144
	s_wait_dscnt 0x0
	v_cmp_ne_u16_e64 s25, 0x7fff, v60
	s_delay_alu instid0(VALU_DEP_1) | instskip(SKIP_1) | instid1(VALU_DEP_2)
	v_cndmask_b32_e64 v61, 0xffff8000, v60, s25
	v_cmp_lt_i16_e64 s25, -1, v60
	v_and_b32_e32 v61, 0xffff, v61
	s_delay_alu instid0(VALU_DEP_2) | instskip(NEXT) | instid1(VALU_DEP_1)
	v_cndmask_b32_e64 v140, 0xffff8000, -1, s25
	v_dual_lshrrev_b32 v61, s49, v61 :: v_dual_bitop2_b32 v60, v140, v60 bitop3:0x14
	s_delay_alu instid0(VALU_DEP_1) | instskip(NEXT) | instid1(VALU_DEP_1)
	v_and_b32_e32 v61, s52, v61
	v_lshlrev_b32_e32 v61, 2, v61
	ds_load_b32 v61, v61
	s_wait_dscnt 0x0
	v_add_nc_u32_e32 v61, v61, v77
	global_store_b16 v61, v60, s[40:41] scale_offset
	s_wait_xcnt 0x0
	s_or_b32 exec_lo, exec_lo, s26
	v_cmp_lt_u32_e64 s25, v78, v139
	s_and_saveexec_b32 s27, s25
	s_cbranch_execz .LBB2069_1072
.LBB2069_1140:                          ;   in Loop: Header=BB2069_982 Depth=2
	ds_load_u16 v60, v93 offset:6656
	s_wait_dscnt 0x0
	v_cmp_ne_u16_e64 s26, 0x7fff, v60
	s_delay_alu instid0(VALU_DEP_1) | instskip(SKIP_1) | instid1(VALU_DEP_2)
	v_cndmask_b32_e64 v61, 0xffff8000, v60, s26
	v_cmp_lt_i16_e64 s26, -1, v60
	v_and_b32_e32 v61, 0xffff, v61
	s_delay_alu instid0(VALU_DEP_2) | instskip(NEXT) | instid1(VALU_DEP_1)
	v_cndmask_b32_e64 v140, 0xffff8000, -1, s26
	v_dual_lshrrev_b32 v61, s49, v61 :: v_dual_bitop2_b32 v60, v140, v60 bitop3:0x14
	s_delay_alu instid0(VALU_DEP_1) | instskip(NEXT) | instid1(VALU_DEP_1)
	v_and_b32_e32 v61, s52, v61
	v_lshlrev_b32_e32 v61, 2, v61
	ds_load_b32 v61, v61
	s_wait_dscnt 0x0
	v_add_nc_u32_e32 v61, v61, v78
	global_store_b16 v61, v60, s[40:41] scale_offset
	s_wait_xcnt 0x0
	s_or_b32 exec_lo, exec_lo, s27
	v_cmp_lt_u32_e64 s26, v79, v139
	s_and_saveexec_b32 s28, s26
	s_cbranch_execz .LBB2069_1073
.LBB2069_1141:                          ;   in Loop: Header=BB2069_982 Depth=2
	ds_load_u16 v60, v93 offset:7168
	s_wait_dscnt 0x0
	v_cmp_ne_u16_e64 s27, 0x7fff, v60
	s_delay_alu instid0(VALU_DEP_1) | instskip(SKIP_1) | instid1(VALU_DEP_2)
	v_cndmask_b32_e64 v61, 0xffff8000, v60, s27
	v_cmp_lt_i16_e64 s27, -1, v60
	v_and_b32_e32 v61, 0xffff, v61
	s_delay_alu instid0(VALU_DEP_2) | instskip(NEXT) | instid1(VALU_DEP_1)
	v_cndmask_b32_e64 v140, 0xffff8000, -1, s27
	v_dual_lshrrev_b32 v61, s49, v61 :: v_dual_bitop2_b32 v60, v140, v60 bitop3:0x14
	s_delay_alu instid0(VALU_DEP_1) | instskip(NEXT) | instid1(VALU_DEP_1)
	v_and_b32_e32 v61, s52, v61
	v_lshlrev_b32_e32 v61, 2, v61
	ds_load_b32 v61, v61
	s_wait_dscnt 0x0
	v_add_nc_u32_e32 v61, v61, v79
	global_store_b16 v61, v60, s[40:41] scale_offset
	s_wait_xcnt 0x0
	s_or_b32 exec_lo, exec_lo, s28
	v_cmp_lt_u32_e64 s27, v80, v139
	s_and_saveexec_b32 s29, s27
	s_cbranch_execz .LBB2069_1074
.LBB2069_1142:                          ;   in Loop: Header=BB2069_982 Depth=2
	ds_load_u16 v60, v93 offset:7680
	s_wait_dscnt 0x0
	v_cmp_ne_u16_e64 s28, 0x7fff, v60
	s_delay_alu instid0(VALU_DEP_1) | instskip(SKIP_1) | instid1(VALU_DEP_2)
	v_cndmask_b32_e64 v61, 0xffff8000, v60, s28
	v_cmp_lt_i16_e64 s28, -1, v60
	v_and_b32_e32 v61, 0xffff, v61
	s_delay_alu instid0(VALU_DEP_2) | instskip(NEXT) | instid1(VALU_DEP_1)
	v_cndmask_b32_e64 v140, 0xffff8000, -1, s28
	v_dual_lshrrev_b32 v61, s49, v61 :: v_dual_bitop2_b32 v60, v140, v60 bitop3:0x14
	s_delay_alu instid0(VALU_DEP_1) | instskip(NEXT) | instid1(VALU_DEP_1)
	v_and_b32_e32 v61, s52, v61
	v_lshlrev_b32_e32 v61, 2, v61
	ds_load_b32 v61, v61
	s_wait_dscnt 0x0
	v_add_nc_u32_e32 v61, v61, v80
	global_store_b16 v61, v60, s[40:41] scale_offset
	s_wait_xcnt 0x0
	s_or_b32 exec_lo, exec_lo, s29
	v_cmp_lt_u32_e64 s28, v81, v139
	s_and_saveexec_b32 s30, s28
	s_cbranch_execz .LBB2069_1075
.LBB2069_1143:                          ;   in Loop: Header=BB2069_982 Depth=2
	ds_load_u16 v60, v93 offset:8192
	s_wait_dscnt 0x0
	v_cmp_ne_u16_e64 s29, 0x7fff, v60
	s_delay_alu instid0(VALU_DEP_1) | instskip(SKIP_1) | instid1(VALU_DEP_2)
	v_cndmask_b32_e64 v61, 0xffff8000, v60, s29
	v_cmp_lt_i16_e64 s29, -1, v60
	v_and_b32_e32 v61, 0xffff, v61
	s_delay_alu instid0(VALU_DEP_2) | instskip(NEXT) | instid1(VALU_DEP_1)
	v_cndmask_b32_e64 v140, 0xffff8000, -1, s29
	v_dual_lshrrev_b32 v61, s49, v61 :: v_dual_bitop2_b32 v60, v140, v60 bitop3:0x14
	s_delay_alu instid0(VALU_DEP_1) | instskip(NEXT) | instid1(VALU_DEP_1)
	v_and_b32_e32 v61, s52, v61
	v_lshlrev_b32_e32 v61, 2, v61
	ds_load_b32 v61, v61
	s_wait_dscnt 0x0
	v_add_nc_u32_e32 v61, v61, v81
	global_store_b16 v61, v60, s[40:41] scale_offset
	s_wait_xcnt 0x0
	s_or_b32 exec_lo, exec_lo, s30
	v_cmp_lt_u32_e64 s29, v82, v139
	s_and_saveexec_b32 s58, s29
	s_cbranch_execnz .LBB2069_1076
	s_branch .LBB2069_1077
.LBB2069_1144:                          ;   in Loop: Header=BB2069_982 Depth=2
	global_load_b64 v[58:59], v[60:61], off
	s_wait_xcnt 0x0
	s_or_b32 exec_lo, exec_lo, s30
	s_delay_alu instid0(SALU_CYCLE_1)
	s_mov_b32 s42, exec_lo
	v_cmpx_lt_u32_e64 v103, v139
	s_cbranch_execz .LBB2069_1079
.LBB2069_1145:                          ;   in Loop: Header=BB2069_982 Depth=2
	global_load_b64 v[56:57], v[60:61], off offset:256
	s_wait_xcnt 0x0
	s_or_b32 exec_lo, exec_lo, s42
	s_delay_alu instid0(SALU_CYCLE_1)
	s_mov_b32 s42, exec_lo
	v_cmpx_lt_u32_e64 v104, v139
	s_cbranch_execz .LBB2069_1080
.LBB2069_1146:                          ;   in Loop: Header=BB2069_982 Depth=2
	global_load_b64 v[54:55], v[60:61], off offset:512
	s_wait_xcnt 0x0
	s_or_b32 exec_lo, exec_lo, s42
	s_delay_alu instid0(SALU_CYCLE_1)
	s_mov_b32 s42, exec_lo
	v_cmpx_lt_u32_e64 v105, v139
	s_cbranch_execz .LBB2069_1081
.LBB2069_1147:                          ;   in Loop: Header=BB2069_982 Depth=2
	global_load_b64 v[52:53], v[60:61], off offset:768
	s_wait_xcnt 0x0
	s_or_b32 exec_lo, exec_lo, s42
	s_delay_alu instid0(SALU_CYCLE_1)
	s_mov_b32 s42, exec_lo
	v_cmpx_lt_u32_e64 v106, v139
	s_cbranch_execz .LBB2069_1082
.LBB2069_1148:                          ;   in Loop: Header=BB2069_982 Depth=2
	global_load_b64 v[50:51], v[60:61], off offset:1024
	s_wait_xcnt 0x0
	s_or_b32 exec_lo, exec_lo, s42
	s_delay_alu instid0(SALU_CYCLE_1)
	s_mov_b32 s42, exec_lo
	v_cmpx_lt_u32_e64 v107, v139
	s_cbranch_execz .LBB2069_1083
.LBB2069_1149:                          ;   in Loop: Header=BB2069_982 Depth=2
	global_load_b64 v[48:49], v[60:61], off offset:1280
	s_wait_xcnt 0x0
	s_or_b32 exec_lo, exec_lo, s42
	s_delay_alu instid0(SALU_CYCLE_1)
	s_mov_b32 s42, exec_lo
	v_cmpx_lt_u32_e64 v108, v139
	s_cbranch_execz .LBB2069_1084
.LBB2069_1150:                          ;   in Loop: Header=BB2069_982 Depth=2
	global_load_b64 v[46:47], v[60:61], off offset:1536
	s_wait_xcnt 0x0
	s_or_b32 exec_lo, exec_lo, s42
	s_delay_alu instid0(SALU_CYCLE_1)
	s_mov_b32 s42, exec_lo
	v_cmpx_lt_u32_e64 v109, v139
	s_cbranch_execz .LBB2069_1085
.LBB2069_1151:                          ;   in Loop: Header=BB2069_982 Depth=2
	global_load_b64 v[44:45], v[60:61], off offset:1792
	s_wait_xcnt 0x0
	s_or_b32 exec_lo, exec_lo, s42
	s_delay_alu instid0(SALU_CYCLE_1)
	s_mov_b32 s42, exec_lo
	v_cmpx_lt_u32_e64 v110, v139
	s_cbranch_execz .LBB2069_1086
.LBB2069_1152:                          ;   in Loop: Header=BB2069_982 Depth=2
	global_load_b64 v[42:43], v[60:61], off offset:2048
	s_wait_xcnt 0x0
	s_or_b32 exec_lo, exec_lo, s42
	s_delay_alu instid0(SALU_CYCLE_1)
	s_mov_b32 s42, exec_lo
	v_cmpx_lt_u32_e64 v111, v139
	s_cbranch_execz .LBB2069_1087
.LBB2069_1153:                          ;   in Loop: Header=BB2069_982 Depth=2
	global_load_b64 v[40:41], v[60:61], off offset:2304
	s_wait_xcnt 0x0
	s_or_b32 exec_lo, exec_lo, s42
	s_delay_alu instid0(SALU_CYCLE_1)
	s_mov_b32 s42, exec_lo
	v_cmpx_lt_u32_e64 v112, v139
	s_cbranch_execz .LBB2069_1088
.LBB2069_1154:                          ;   in Loop: Header=BB2069_982 Depth=2
	global_load_b64 v[38:39], v[60:61], off offset:2560
	s_wait_xcnt 0x0
	s_or_b32 exec_lo, exec_lo, s42
	s_delay_alu instid0(SALU_CYCLE_1)
	s_mov_b32 s42, exec_lo
	v_cmpx_lt_u32_e64 v113, v139
	s_cbranch_execz .LBB2069_1089
.LBB2069_1155:                          ;   in Loop: Header=BB2069_982 Depth=2
	global_load_b64 v[36:37], v[60:61], off offset:2816
	s_wait_xcnt 0x0
	s_or_b32 exec_lo, exec_lo, s42
	s_delay_alu instid0(SALU_CYCLE_1)
	s_mov_b32 s42, exec_lo
	v_cmpx_lt_u32_e64 v114, v139
	s_cbranch_execz .LBB2069_1090
.LBB2069_1156:                          ;   in Loop: Header=BB2069_982 Depth=2
	global_load_b64 v[34:35], v[60:61], off offset:3072
	s_wait_xcnt 0x0
	s_or_b32 exec_lo, exec_lo, s42
	s_delay_alu instid0(SALU_CYCLE_1)
	s_mov_b32 s42, exec_lo
	v_cmpx_lt_u32_e64 v115, v139
	s_cbranch_execz .LBB2069_1091
.LBB2069_1157:                          ;   in Loop: Header=BB2069_982 Depth=2
	global_load_b64 v[32:33], v[60:61], off offset:3328
	s_wait_xcnt 0x0
	s_or_b32 exec_lo, exec_lo, s42
	s_delay_alu instid0(SALU_CYCLE_1)
	s_mov_b32 s42, exec_lo
	v_cmpx_lt_u32_e64 v116, v139
	s_cbranch_execz .LBB2069_1092
.LBB2069_1158:                          ;   in Loop: Header=BB2069_982 Depth=2
	global_load_b64 v[30:31], v[60:61], off offset:3584
	s_wait_xcnt 0x0
	s_or_b32 exec_lo, exec_lo, s42
	s_delay_alu instid0(SALU_CYCLE_1)
	s_mov_b32 s42, exec_lo
	v_cmpx_lt_u32_e64 v117, v139
	s_cbranch_execz .LBB2069_1093
.LBB2069_1159:                          ;   in Loop: Header=BB2069_982 Depth=2
	global_load_b64 v[28:29], v[60:61], off offset:3840
	s_wait_xcnt 0x0
	s_or_b32 exec_lo, exec_lo, s42
	s_and_saveexec_b32 s42, vcc_lo
	s_cbranch_execz .LBB2069_1094
.LBB2069_1160:                          ;   in Loop: Header=BB2069_982 Depth=2
	ds_load_u16 v60, v93 offset:1024
	s_wait_dscnt 0x0
	v_cmp_ne_u16_e64 s30, 0x7fff, v60
	s_delay_alu instid0(VALU_DEP_1) | instskip(NEXT) | instid1(VALU_DEP_1)
	v_cndmask_b32_e64 v60, 0xffff8000, v60, s30
	v_and_b32_e32 v60, 0xffff, v60
	s_delay_alu instid0(VALU_DEP_1) | instskip(NEXT) | instid1(VALU_DEP_1)
	v_lshrrev_b32_e32 v60, s49, v60
	v_and_b32_e32 v138, s52, v60
	s_or_b32 exec_lo, exec_lo, s42
	s_and_saveexec_b32 s42, s15
	s_cbranch_execz .LBB2069_1095
.LBB2069_1161:                          ;   in Loop: Header=BB2069_982 Depth=2
	ds_load_u16 v60, v93 offset:1536
	s_wait_dscnt 0x0
	v_cmp_ne_u16_e64 s30, 0x7fff, v60
	s_delay_alu instid0(VALU_DEP_1) | instskip(NEXT) | instid1(VALU_DEP_1)
	v_cndmask_b32_e64 v60, 0xffff8000, v60, s30
	v_and_b32_e32 v60, 0xffff, v60
	s_delay_alu instid0(VALU_DEP_1) | instskip(NEXT) | instid1(VALU_DEP_1)
	v_lshrrev_b32_e32 v60, s49, v60
	v_and_b32_e32 v137, s52, v60
	s_or_b32 exec_lo, exec_lo, s42
	s_and_saveexec_b32 s42, s16
	s_cbranch_execz .LBB2069_1096
.LBB2069_1162:                          ;   in Loop: Header=BB2069_982 Depth=2
	ds_load_u16 v60, v93 offset:2048
	s_wait_dscnt 0x0
	v_cmp_ne_u16_e64 s30, 0x7fff, v60
	s_delay_alu instid0(VALU_DEP_1) | instskip(NEXT) | instid1(VALU_DEP_1)
	v_cndmask_b32_e64 v60, 0xffff8000, v60, s30
	v_and_b32_e32 v60, 0xffff, v60
	s_delay_alu instid0(VALU_DEP_1) | instskip(NEXT) | instid1(VALU_DEP_1)
	v_lshrrev_b32_e32 v60, s49, v60
	v_and_b32_e32 v136, s52, v60
	s_or_b32 exec_lo, exec_lo, s42
	s_and_saveexec_b32 s42, s17
	s_cbranch_execz .LBB2069_1097
.LBB2069_1163:                          ;   in Loop: Header=BB2069_982 Depth=2
	ds_load_u16 v60, v93 offset:2560
	s_wait_dscnt 0x0
	v_cmp_ne_u16_e64 s30, 0x7fff, v60
	s_delay_alu instid0(VALU_DEP_1) | instskip(NEXT) | instid1(VALU_DEP_1)
	v_cndmask_b32_e64 v60, 0xffff8000, v60, s30
	v_and_b32_e32 v60, 0xffff, v60
	s_delay_alu instid0(VALU_DEP_1) | instskip(NEXT) | instid1(VALU_DEP_1)
	v_lshrrev_b32_e32 v60, s49, v60
	v_and_b32_e32 v135, s52, v60
	s_or_b32 exec_lo, exec_lo, s42
	s_and_saveexec_b32 s42, s18
	s_cbranch_execz .LBB2069_1098
.LBB2069_1164:                          ;   in Loop: Header=BB2069_982 Depth=2
	ds_load_u16 v60, v93 offset:3072
	s_wait_dscnt 0x0
	v_cmp_ne_u16_e64 s30, 0x7fff, v60
	s_delay_alu instid0(VALU_DEP_1) | instskip(NEXT) | instid1(VALU_DEP_1)
	v_cndmask_b32_e64 v60, 0xffff8000, v60, s30
	v_and_b32_e32 v60, 0xffff, v60
	s_delay_alu instid0(VALU_DEP_1) | instskip(NEXT) | instid1(VALU_DEP_1)
	v_lshrrev_b32_e32 v60, s49, v60
	v_and_b32_e32 v134, s52, v60
	s_or_b32 exec_lo, exec_lo, s42
	s_and_saveexec_b32 s42, s19
	s_cbranch_execz .LBB2069_1099
.LBB2069_1165:                          ;   in Loop: Header=BB2069_982 Depth=2
	ds_load_u16 v60, v93 offset:3584
	s_wait_dscnt 0x0
	v_cmp_ne_u16_e64 s30, 0x7fff, v60
	s_delay_alu instid0(VALU_DEP_1) | instskip(NEXT) | instid1(VALU_DEP_1)
	v_cndmask_b32_e64 v60, 0xffff8000, v60, s30
	v_and_b32_e32 v60, 0xffff, v60
	s_delay_alu instid0(VALU_DEP_1) | instskip(NEXT) | instid1(VALU_DEP_1)
	v_lshrrev_b32_e32 v60, s49, v60
	v_and_b32_e32 v133, s52, v60
	s_or_b32 exec_lo, exec_lo, s42
	s_and_saveexec_b32 s42, s20
	s_cbranch_execz .LBB2069_1100
.LBB2069_1166:                          ;   in Loop: Header=BB2069_982 Depth=2
	ds_load_u16 v60, v93 offset:4096
	s_wait_dscnt 0x0
	v_cmp_ne_u16_e64 s30, 0x7fff, v60
	s_delay_alu instid0(VALU_DEP_1) | instskip(NEXT) | instid1(VALU_DEP_1)
	v_cndmask_b32_e64 v60, 0xffff8000, v60, s30
	v_and_b32_e32 v60, 0xffff, v60
	s_delay_alu instid0(VALU_DEP_1) | instskip(NEXT) | instid1(VALU_DEP_1)
	v_lshrrev_b32_e32 v60, s49, v60
	v_and_b32_e32 v132, s52, v60
	s_or_b32 exec_lo, exec_lo, s42
	s_and_saveexec_b32 s42, s21
	s_cbranch_execz .LBB2069_1101
.LBB2069_1167:                          ;   in Loop: Header=BB2069_982 Depth=2
	ds_load_u16 v60, v93 offset:4608
	s_wait_dscnt 0x0
	v_cmp_ne_u16_e64 s30, 0x7fff, v60
	s_delay_alu instid0(VALU_DEP_1) | instskip(NEXT) | instid1(VALU_DEP_1)
	v_cndmask_b32_e64 v60, 0xffff8000, v60, s30
	v_and_b32_e32 v60, 0xffff, v60
	s_delay_alu instid0(VALU_DEP_1) | instskip(NEXT) | instid1(VALU_DEP_1)
	v_lshrrev_b32_e32 v60, s49, v60
	v_and_b32_e32 v131, s52, v60
	s_or_b32 exec_lo, exec_lo, s42
	s_and_saveexec_b32 s42, s22
	s_cbranch_execz .LBB2069_1102
.LBB2069_1168:                          ;   in Loop: Header=BB2069_982 Depth=2
	ds_load_u16 v60, v93 offset:5120
	s_wait_dscnt 0x0
	v_cmp_ne_u16_e64 s30, 0x7fff, v60
	s_delay_alu instid0(VALU_DEP_1) | instskip(NEXT) | instid1(VALU_DEP_1)
	v_cndmask_b32_e64 v60, 0xffff8000, v60, s30
	v_and_b32_e32 v60, 0xffff, v60
	s_delay_alu instid0(VALU_DEP_1) | instskip(NEXT) | instid1(VALU_DEP_1)
	v_lshrrev_b32_e32 v60, s49, v60
	v_and_b32_e32 v130, s52, v60
	s_or_b32 exec_lo, exec_lo, s42
	s_and_saveexec_b32 s42, s23
	s_cbranch_execz .LBB2069_1103
.LBB2069_1169:                          ;   in Loop: Header=BB2069_982 Depth=2
	ds_load_u16 v60, v93 offset:5632
	s_wait_dscnt 0x0
	v_cmp_ne_u16_e64 s30, 0x7fff, v60
	s_delay_alu instid0(VALU_DEP_1) | instskip(NEXT) | instid1(VALU_DEP_1)
	v_cndmask_b32_e64 v60, 0xffff8000, v60, s30
	v_and_b32_e32 v60, 0xffff, v60
	s_delay_alu instid0(VALU_DEP_1) | instskip(NEXT) | instid1(VALU_DEP_1)
	v_lshrrev_b32_e32 v60, s49, v60
	v_and_b32_e32 v129, s52, v60
	s_or_b32 exec_lo, exec_lo, s42
	s_and_saveexec_b32 s42, s24
	s_cbranch_execz .LBB2069_1104
.LBB2069_1170:                          ;   in Loop: Header=BB2069_982 Depth=2
	ds_load_u16 v60, v93 offset:6144
	s_wait_dscnt 0x0
	v_cmp_ne_u16_e64 s30, 0x7fff, v60
	s_delay_alu instid0(VALU_DEP_1) | instskip(NEXT) | instid1(VALU_DEP_1)
	v_cndmask_b32_e64 v60, 0xffff8000, v60, s30
	v_and_b32_e32 v60, 0xffff, v60
	s_delay_alu instid0(VALU_DEP_1) | instskip(NEXT) | instid1(VALU_DEP_1)
	v_lshrrev_b32_e32 v60, s49, v60
	v_and_b32_e32 v128, s52, v60
	s_or_b32 exec_lo, exec_lo, s42
	s_and_saveexec_b32 s42, s25
	s_cbranch_execz .LBB2069_1105
.LBB2069_1171:                          ;   in Loop: Header=BB2069_982 Depth=2
	ds_load_u16 v60, v93 offset:6656
	s_wait_dscnt 0x0
	v_cmp_ne_u16_e64 s30, 0x7fff, v60
	s_delay_alu instid0(VALU_DEP_1) | instskip(NEXT) | instid1(VALU_DEP_1)
	v_cndmask_b32_e64 v60, 0xffff8000, v60, s30
	v_and_b32_e32 v60, 0xffff, v60
	s_delay_alu instid0(VALU_DEP_1) | instskip(NEXT) | instid1(VALU_DEP_1)
	v_lshrrev_b32_e32 v60, s49, v60
	v_and_b32_e32 v127, s52, v60
	s_or_b32 exec_lo, exec_lo, s42
	s_and_saveexec_b32 s42, s26
	s_cbranch_execz .LBB2069_1106
.LBB2069_1172:                          ;   in Loop: Header=BB2069_982 Depth=2
	ds_load_u16 v60, v93 offset:7168
	s_wait_dscnt 0x0
	v_cmp_ne_u16_e64 s30, 0x7fff, v60
	s_delay_alu instid0(VALU_DEP_1) | instskip(NEXT) | instid1(VALU_DEP_1)
	v_cndmask_b32_e64 v60, 0xffff8000, v60, s30
	v_and_b32_e32 v60, 0xffff, v60
	s_delay_alu instid0(VALU_DEP_1) | instskip(NEXT) | instid1(VALU_DEP_1)
	v_lshrrev_b32_e32 v60, s49, v60
	v_and_b32_e32 v126, s52, v60
	s_or_b32 exec_lo, exec_lo, s42
	s_and_saveexec_b32 s42, s27
	s_cbranch_execz .LBB2069_1107
.LBB2069_1173:                          ;   in Loop: Header=BB2069_982 Depth=2
	ds_load_u16 v60, v93 offset:7680
	s_wait_dscnt 0x0
	v_cmp_ne_u16_e64 s30, 0x7fff, v60
	s_delay_alu instid0(VALU_DEP_1) | instskip(NEXT) | instid1(VALU_DEP_1)
	v_cndmask_b32_e64 v60, 0xffff8000, v60, s30
	v_and_b32_e32 v60, 0xffff, v60
	s_delay_alu instid0(VALU_DEP_1) | instskip(NEXT) | instid1(VALU_DEP_1)
	v_lshrrev_b32_e32 v60, s49, v60
	v_and_b32_e32 v125, s52, v60
	s_or_b32 exec_lo, exec_lo, s42
	s_and_saveexec_b32 s42, s28
	s_cbranch_execz .LBB2069_1108
.LBB2069_1174:                          ;   in Loop: Header=BB2069_982 Depth=2
	ds_load_u16 v60, v93 offset:8192
	s_wait_dscnt 0x0
	v_cmp_ne_u16_e64 s30, 0x7fff, v60
	s_delay_alu instid0(VALU_DEP_1) | instskip(NEXT) | instid1(VALU_DEP_1)
	v_cndmask_b32_e64 v60, 0xffff8000, v60, s30
	v_and_b32_e32 v60, 0xffff, v60
	s_delay_alu instid0(VALU_DEP_1) | instskip(NEXT) | instid1(VALU_DEP_1)
	v_lshrrev_b32_e32 v60, s49, v60
	v_and_b32_e32 v124, s52, v60
	s_or_b32 exec_lo, exec_lo, s42
	s_and_saveexec_b32 s42, s29
	s_cbranch_execnz .LBB2069_1109
	s_branch .LBB2069_1110
.LBB2069_1175:                          ;   in Loop: Header=BB2069_982 Depth=2
	v_lshlrev_b32_e32 v61, 2, v138
	ds_load_b32 v61, v61
	ds_load_b64 v[64:65], v60 offset:1024
	s_wait_dscnt 0x1
	v_add_nc_u32_e32 v61, v61, v2
	s_wait_dscnt 0x0
	global_store_b64 v61, v[64:65], s[46:47] scale_offset
	s_wait_xcnt 0x0
	s_or_b32 exec_lo, exec_lo, s30
	s_and_saveexec_b32 s30, s15
	s_cbranch_execz .LBB2069_1112
.LBB2069_1176:                          ;   in Loop: Header=BB2069_982 Depth=2
	v_lshlrev_b32_e32 v61, 2, v137
	ds_load_b32 v61, v61
	ds_load_b64 v[64:65], v60 offset:3072
	s_wait_dscnt 0x1
	v_add_nc_u32_e32 v61, v61, v68
	s_wait_dscnt 0x0
	global_store_b64 v61, v[64:65], s[46:47] scale_offset
	s_wait_xcnt 0x0
	s_or_b32 exec_lo, exec_lo, s30
	s_and_saveexec_b32 s15, s16
	s_cbranch_execz .LBB2069_1113
.LBB2069_1177:                          ;   in Loop: Header=BB2069_982 Depth=2
	v_lshlrev_b32_e32 v61, 2, v136
	ds_load_b32 v61, v61
	ds_load_b64 v[64:65], v60 offset:5120
	s_wait_dscnt 0x1
	v_add_nc_u32_e32 v61, v61, v69
	s_wait_dscnt 0x0
	global_store_b64 v61, v[64:65], s[46:47] scale_offset
	s_wait_xcnt 0x0
	s_or_b32 exec_lo, exec_lo, s15
	s_and_saveexec_b32 s15, s17
	s_cbranch_execz .LBB2069_1114
.LBB2069_1178:                          ;   in Loop: Header=BB2069_982 Depth=2
	v_lshlrev_b32_e32 v61, 2, v135
	ds_load_b32 v61, v61
	ds_load_b64 v[64:65], v60 offset:7168
	s_wait_dscnt 0x1
	v_add_nc_u32_e32 v61, v61, v70
	s_wait_dscnt 0x0
	global_store_b64 v61, v[64:65], s[46:47] scale_offset
	s_wait_xcnt 0x0
	s_or_b32 exec_lo, exec_lo, s15
	s_and_saveexec_b32 s15, s18
	s_cbranch_execz .LBB2069_1115
.LBB2069_1179:                          ;   in Loop: Header=BB2069_982 Depth=2
	v_lshlrev_b32_e32 v61, 2, v134
	ds_load_b32 v61, v61
	ds_load_b64 v[64:65], v60 offset:9216
	s_wait_dscnt 0x1
	v_add_nc_u32_e32 v61, v61, v71
	s_wait_dscnt 0x0
	global_store_b64 v61, v[64:65], s[46:47] scale_offset
	s_wait_xcnt 0x0
	s_or_b32 exec_lo, exec_lo, s15
	s_and_saveexec_b32 s15, s19
	s_cbranch_execz .LBB2069_1116
.LBB2069_1180:                          ;   in Loop: Header=BB2069_982 Depth=2
	v_lshlrev_b32_e32 v61, 2, v133
	ds_load_b32 v61, v61
	ds_load_b64 v[64:65], v60 offset:11264
	s_wait_dscnt 0x1
	v_add_nc_u32_e32 v61, v61, v72
	s_wait_dscnt 0x0
	global_store_b64 v61, v[64:65], s[46:47] scale_offset
	s_wait_xcnt 0x0
	s_or_b32 exec_lo, exec_lo, s15
	s_and_saveexec_b32 s15, s20
	s_cbranch_execz .LBB2069_1117
.LBB2069_1181:                          ;   in Loop: Header=BB2069_982 Depth=2
	v_lshlrev_b32_e32 v61, 2, v132
	ds_load_b32 v61, v61
	ds_load_b64 v[64:65], v60 offset:13312
	s_wait_dscnt 0x1
	v_add_nc_u32_e32 v61, v61, v73
	s_wait_dscnt 0x0
	global_store_b64 v61, v[64:65], s[46:47] scale_offset
	s_wait_xcnt 0x0
	s_or_b32 exec_lo, exec_lo, s15
	s_and_saveexec_b32 s15, s21
	s_cbranch_execz .LBB2069_1118
.LBB2069_1182:                          ;   in Loop: Header=BB2069_982 Depth=2
	v_lshlrev_b32_e32 v61, 2, v131
	ds_load_b32 v61, v61
	ds_load_b64 v[64:65], v60 offset:15360
	s_wait_dscnt 0x1
	v_add_nc_u32_e32 v61, v61, v74
	s_wait_dscnt 0x0
	global_store_b64 v61, v[64:65], s[46:47] scale_offset
	s_wait_xcnt 0x0
	s_or_b32 exec_lo, exec_lo, s15
	s_and_saveexec_b32 s15, s22
	s_cbranch_execz .LBB2069_1119
.LBB2069_1183:                          ;   in Loop: Header=BB2069_982 Depth=2
	v_lshlrev_b32_e32 v61, 2, v130
	ds_load_b32 v61, v61
	ds_load_b64 v[64:65], v60 offset:17408
	s_wait_dscnt 0x1
	v_add_nc_u32_e32 v61, v61, v75
	s_wait_dscnt 0x0
	global_store_b64 v61, v[64:65], s[46:47] scale_offset
	s_wait_xcnt 0x0
	s_or_b32 exec_lo, exec_lo, s15
	s_and_saveexec_b32 s15, s23
	s_cbranch_execz .LBB2069_1120
.LBB2069_1184:                          ;   in Loop: Header=BB2069_982 Depth=2
	v_lshlrev_b32_e32 v61, 2, v129
	ds_load_b32 v61, v61
	ds_load_b64 v[64:65], v60 offset:19456
	s_wait_dscnt 0x1
	v_add_nc_u32_e32 v61, v61, v76
	s_wait_dscnt 0x0
	global_store_b64 v61, v[64:65], s[46:47] scale_offset
	s_wait_xcnt 0x0
	s_or_b32 exec_lo, exec_lo, s15
	s_and_saveexec_b32 s15, s24
	s_cbranch_execz .LBB2069_1121
.LBB2069_1185:                          ;   in Loop: Header=BB2069_982 Depth=2
	v_lshlrev_b32_e32 v61, 2, v128
	ds_load_b32 v61, v61
	ds_load_b64 v[64:65], v60 offset:21504
	s_wait_dscnt 0x1
	v_add_nc_u32_e32 v61, v61, v77
	s_wait_dscnt 0x0
	global_store_b64 v61, v[64:65], s[46:47] scale_offset
	s_wait_xcnt 0x0
	s_or_b32 exec_lo, exec_lo, s15
	s_and_saveexec_b32 s15, s25
	s_cbranch_execz .LBB2069_1122
.LBB2069_1186:                          ;   in Loop: Header=BB2069_982 Depth=2
	v_lshlrev_b32_e32 v61, 2, v127
	ds_load_b32 v61, v61
	ds_load_b64 v[64:65], v60 offset:23552
	s_wait_dscnt 0x1
	v_add_nc_u32_e32 v61, v61, v78
	s_wait_dscnt 0x0
	global_store_b64 v61, v[64:65], s[46:47] scale_offset
	s_wait_xcnt 0x0
	s_or_b32 exec_lo, exec_lo, s15
	s_and_saveexec_b32 s15, s26
	s_cbranch_execz .LBB2069_1123
.LBB2069_1187:                          ;   in Loop: Header=BB2069_982 Depth=2
	v_lshlrev_b32_e32 v61, 2, v126
	ds_load_b32 v61, v61
	ds_load_b64 v[64:65], v60 offset:25600
	s_wait_dscnt 0x1
	v_add_nc_u32_e32 v61, v61, v79
	s_wait_dscnt 0x0
	global_store_b64 v61, v[64:65], s[46:47] scale_offset
	s_wait_xcnt 0x0
	s_or_b32 exec_lo, exec_lo, s15
	s_and_saveexec_b32 s15, s27
	s_cbranch_execz .LBB2069_1124
.LBB2069_1188:                          ;   in Loop: Header=BB2069_982 Depth=2
	v_lshlrev_b32_e32 v61, 2, v125
	ds_load_b32 v61, v61
	ds_load_b64 v[64:65], v60 offset:27648
	s_wait_dscnt 0x1
	v_add_nc_u32_e32 v61, v61, v80
	s_wait_dscnt 0x0
	global_store_b64 v61, v[64:65], s[46:47] scale_offset
	s_wait_xcnt 0x0
	s_or_b32 exec_lo, exec_lo, s15
	s_and_saveexec_b32 s15, s28
	s_cbranch_execz .LBB2069_1125
.LBB2069_1189:                          ;   in Loop: Header=BB2069_982 Depth=2
	v_lshlrev_b32_e32 v61, 2, v124
	ds_load_b32 v61, v61
	ds_load_b64 v[64:65], v60 offset:29696
	s_wait_dscnt 0x1
	v_add_nc_u32_e32 v61, v61, v81
	s_wait_dscnt 0x0
	global_store_b64 v61, v[64:65], s[46:47] scale_offset
	s_wait_xcnt 0x0
	s_or_b32 exec_lo, exec_lo, s15
	s_and_saveexec_b32 s15, s29
	s_cbranch_execnz .LBB2069_1126
	s_branch .LBB2069_1127
.LBB2069_1190:
	s_endpgm
	.section	.rodata,"a",@progbits
	.p2align	6, 0x0
	.amdhsa_kernel _ZN7rocprim17ROCPRIM_400000_NS6detail17trampoline_kernelINS0_14default_configENS1_36segmented_radix_sort_config_selectorI12hip_bfloat16lEEZNS1_25segmented_radix_sort_implIS3_Lb0EPKS5_PS5_PKlPlN2at6native12_GLOBAL__N_18offset_tEEE10hipError_tPvRmT1_PNSt15iterator_traitsISL_E10value_typeET2_T3_PNSM_ISR_E10value_typeET4_jRbjT5_SX_jjP12ihipStream_tbEUlT_E2_NS1_11comp_targetILNS1_3genE0ELNS1_11target_archE4294967295ELNS1_3gpuE0ELNS1_3repE0EEENS1_30default_config_static_selectorELNS0_4arch9wavefront6targetE0EEEvSL_
		.amdhsa_group_segment_fixed_size 33824
		.amdhsa_private_segment_fixed_size 0
		.amdhsa_kernarg_size 336
		.amdhsa_user_sgpr_count 4
		.amdhsa_user_sgpr_dispatch_ptr 0
		.amdhsa_user_sgpr_queue_ptr 1
		.amdhsa_user_sgpr_kernarg_segment_ptr 1
		.amdhsa_user_sgpr_dispatch_id 0
		.amdhsa_user_sgpr_kernarg_preload_length 0
		.amdhsa_user_sgpr_kernarg_preload_offset 0
		.amdhsa_user_sgpr_private_segment_size 0
		.amdhsa_wavefront_size32 1
		.amdhsa_uses_dynamic_stack 0
		.amdhsa_enable_private_segment 0
		.amdhsa_system_sgpr_workgroup_id_x 1
		.amdhsa_system_sgpr_workgroup_id_y 1
		.amdhsa_system_sgpr_workgroup_id_z 0
		.amdhsa_system_sgpr_workgroup_info 0
		.amdhsa_system_vgpr_workitem_id 2
		.amdhsa_next_free_vgpr 304
		.amdhsa_next_free_sgpr 59
		.amdhsa_named_barrier_count 0
		.amdhsa_reserve_vcc 1
		.amdhsa_float_round_mode_32 0
		.amdhsa_float_round_mode_16_64 0
		.amdhsa_float_denorm_mode_32 3
		.amdhsa_float_denorm_mode_16_64 3
		.amdhsa_fp16_overflow 0
		.amdhsa_memory_ordered 1
		.amdhsa_forward_progress 1
		.amdhsa_inst_pref_size 255
		.amdhsa_round_robin_scheduling 0
		.amdhsa_exception_fp_ieee_invalid_op 0
		.amdhsa_exception_fp_denorm_src 0
		.amdhsa_exception_fp_ieee_div_zero 0
		.amdhsa_exception_fp_ieee_overflow 0
		.amdhsa_exception_fp_ieee_underflow 0
		.amdhsa_exception_fp_ieee_inexact 0
		.amdhsa_exception_int_div_zero 0
	.end_amdhsa_kernel
	.section	.text._ZN7rocprim17ROCPRIM_400000_NS6detail17trampoline_kernelINS0_14default_configENS1_36segmented_radix_sort_config_selectorI12hip_bfloat16lEEZNS1_25segmented_radix_sort_implIS3_Lb0EPKS5_PS5_PKlPlN2at6native12_GLOBAL__N_18offset_tEEE10hipError_tPvRmT1_PNSt15iterator_traitsISL_E10value_typeET2_T3_PNSM_ISR_E10value_typeET4_jRbjT5_SX_jjP12ihipStream_tbEUlT_E2_NS1_11comp_targetILNS1_3genE0ELNS1_11target_archE4294967295ELNS1_3gpuE0ELNS1_3repE0EEENS1_30default_config_static_selectorELNS0_4arch9wavefront6targetE0EEEvSL_,"axG",@progbits,_ZN7rocprim17ROCPRIM_400000_NS6detail17trampoline_kernelINS0_14default_configENS1_36segmented_radix_sort_config_selectorI12hip_bfloat16lEEZNS1_25segmented_radix_sort_implIS3_Lb0EPKS5_PS5_PKlPlN2at6native12_GLOBAL__N_18offset_tEEE10hipError_tPvRmT1_PNSt15iterator_traitsISL_E10value_typeET2_T3_PNSM_ISR_E10value_typeET4_jRbjT5_SX_jjP12ihipStream_tbEUlT_E2_NS1_11comp_targetILNS1_3genE0ELNS1_11target_archE4294967295ELNS1_3gpuE0ELNS1_3repE0EEENS1_30default_config_static_selectorELNS0_4arch9wavefront6targetE0EEEvSL_,comdat
.Lfunc_end2069:
	.size	_ZN7rocprim17ROCPRIM_400000_NS6detail17trampoline_kernelINS0_14default_configENS1_36segmented_radix_sort_config_selectorI12hip_bfloat16lEEZNS1_25segmented_radix_sort_implIS3_Lb0EPKS5_PS5_PKlPlN2at6native12_GLOBAL__N_18offset_tEEE10hipError_tPvRmT1_PNSt15iterator_traitsISL_E10value_typeET2_T3_PNSM_ISR_E10value_typeET4_jRbjT5_SX_jjP12ihipStream_tbEUlT_E2_NS1_11comp_targetILNS1_3genE0ELNS1_11target_archE4294967295ELNS1_3gpuE0ELNS1_3repE0EEENS1_30default_config_static_selectorELNS0_4arch9wavefront6targetE0EEEvSL_, .Lfunc_end2069-_ZN7rocprim17ROCPRIM_400000_NS6detail17trampoline_kernelINS0_14default_configENS1_36segmented_radix_sort_config_selectorI12hip_bfloat16lEEZNS1_25segmented_radix_sort_implIS3_Lb0EPKS5_PS5_PKlPlN2at6native12_GLOBAL__N_18offset_tEEE10hipError_tPvRmT1_PNSt15iterator_traitsISL_E10value_typeET2_T3_PNSM_ISR_E10value_typeET4_jRbjT5_SX_jjP12ihipStream_tbEUlT_E2_NS1_11comp_targetILNS1_3genE0ELNS1_11target_archE4294967295ELNS1_3gpuE0ELNS1_3repE0EEENS1_30default_config_static_selectorELNS0_4arch9wavefront6targetE0EEEvSL_
                                        ; -- End function
	.set _ZN7rocprim17ROCPRIM_400000_NS6detail17trampoline_kernelINS0_14default_configENS1_36segmented_radix_sort_config_selectorI12hip_bfloat16lEEZNS1_25segmented_radix_sort_implIS3_Lb0EPKS5_PS5_PKlPlN2at6native12_GLOBAL__N_18offset_tEEE10hipError_tPvRmT1_PNSt15iterator_traitsISL_E10value_typeET2_T3_PNSM_ISR_E10value_typeET4_jRbjT5_SX_jjP12ihipStream_tbEUlT_E2_NS1_11comp_targetILNS1_3genE0ELNS1_11target_archE4294967295ELNS1_3gpuE0ELNS1_3repE0EEENS1_30default_config_static_selectorELNS0_4arch9wavefront6targetE0EEEvSL_.num_vgpr, max(206, .L_ZN7rocprim17ROCPRIM_400000_NS6detail26segmented_warp_sort_helperINS1_20WarpSortHelperConfigILj8ELj4ELj256EEE12hip_bfloat16lLi256ELb0EvE4sortIPKS5_PS5_PKlPlEEvT_T0_T1_T2_jjjjRNS6_12storage_typeE.num_vgpr, .L_ZN7rocprim17ROCPRIM_400000_NS6detail40segmented_radix_sort_single_block_helperI12hip_bfloat16lLj256ELj16ELb0EE4sortIPKS3_PS3_PKlPlEEbT_T0_T1_T2_jjjjRNS4_12storage_typeE.num_vgpr)
	.set _ZN7rocprim17ROCPRIM_400000_NS6detail17trampoline_kernelINS0_14default_configENS1_36segmented_radix_sort_config_selectorI12hip_bfloat16lEEZNS1_25segmented_radix_sort_implIS3_Lb0EPKS5_PS5_PKlPlN2at6native12_GLOBAL__N_18offset_tEEE10hipError_tPvRmT1_PNSt15iterator_traitsISL_E10value_typeET2_T3_PNSM_ISR_E10value_typeET4_jRbjT5_SX_jjP12ihipStream_tbEUlT_E2_NS1_11comp_targetILNS1_3genE0ELNS1_11target_archE4294967295ELNS1_3gpuE0ELNS1_3repE0EEENS1_30default_config_static_selectorELNS0_4arch9wavefront6targetE0EEEvSL_.num_agpr, max(0, .L_ZN7rocprim17ROCPRIM_400000_NS6detail26segmented_warp_sort_helperINS1_20WarpSortHelperConfigILj8ELj4ELj256EEE12hip_bfloat16lLi256ELb0EvE4sortIPKS5_PS5_PKlPlEEvT_T0_T1_T2_jjjjRNS6_12storage_typeE.num_agpr, .L_ZN7rocprim17ROCPRIM_400000_NS6detail40segmented_radix_sort_single_block_helperI12hip_bfloat16lLj256ELj16ELb0EE4sortIPKS3_PS3_PKlPlEEbT_T0_T1_T2_jjjjRNS4_12storage_typeE.num_agpr)
	.set _ZN7rocprim17ROCPRIM_400000_NS6detail17trampoline_kernelINS0_14default_configENS1_36segmented_radix_sort_config_selectorI12hip_bfloat16lEEZNS1_25segmented_radix_sort_implIS3_Lb0EPKS5_PS5_PKlPlN2at6native12_GLOBAL__N_18offset_tEEE10hipError_tPvRmT1_PNSt15iterator_traitsISL_E10value_typeET2_T3_PNSM_ISR_E10value_typeET4_jRbjT5_SX_jjP12ihipStream_tbEUlT_E2_NS1_11comp_targetILNS1_3genE0ELNS1_11target_archE4294967295ELNS1_3gpuE0ELNS1_3repE0EEENS1_30default_config_static_selectorELNS0_4arch9wavefront6targetE0EEEvSL_.numbered_sgpr, max(59, .L_ZN7rocprim17ROCPRIM_400000_NS6detail26segmented_warp_sort_helperINS1_20WarpSortHelperConfigILj8ELj4ELj256EEE12hip_bfloat16lLi256ELb0EvE4sortIPKS5_PS5_PKlPlEEvT_T0_T1_T2_jjjjRNS6_12storage_typeE.numbered_sgpr, .L_ZN7rocprim17ROCPRIM_400000_NS6detail40segmented_radix_sort_single_block_helperI12hip_bfloat16lLj256ELj16ELb0EE4sortIPKS3_PS3_PKlPlEEbT_T0_T1_T2_jjjjRNS4_12storage_typeE.numbered_sgpr)
	.set _ZN7rocprim17ROCPRIM_400000_NS6detail17trampoline_kernelINS0_14default_configENS1_36segmented_radix_sort_config_selectorI12hip_bfloat16lEEZNS1_25segmented_radix_sort_implIS3_Lb0EPKS5_PS5_PKlPlN2at6native12_GLOBAL__N_18offset_tEEE10hipError_tPvRmT1_PNSt15iterator_traitsISL_E10value_typeET2_T3_PNSM_ISR_E10value_typeET4_jRbjT5_SX_jjP12ihipStream_tbEUlT_E2_NS1_11comp_targetILNS1_3genE0ELNS1_11target_archE4294967295ELNS1_3gpuE0ELNS1_3repE0EEENS1_30default_config_static_selectorELNS0_4arch9wavefront6targetE0EEEvSL_.num_named_barrier, max(0, .L_ZN7rocprim17ROCPRIM_400000_NS6detail26segmented_warp_sort_helperINS1_20WarpSortHelperConfigILj8ELj4ELj256EEE12hip_bfloat16lLi256ELb0EvE4sortIPKS5_PS5_PKlPlEEvT_T0_T1_T2_jjjjRNS6_12storage_typeE.num_named_barrier, .L_ZN7rocprim17ROCPRIM_400000_NS6detail40segmented_radix_sort_single_block_helperI12hip_bfloat16lLj256ELj16ELb0EE4sortIPKS3_PS3_PKlPlEEbT_T0_T1_T2_jjjjRNS4_12storage_typeE.num_named_barrier)
	.set _ZN7rocprim17ROCPRIM_400000_NS6detail17trampoline_kernelINS0_14default_configENS1_36segmented_radix_sort_config_selectorI12hip_bfloat16lEEZNS1_25segmented_radix_sort_implIS3_Lb0EPKS5_PS5_PKlPlN2at6native12_GLOBAL__N_18offset_tEEE10hipError_tPvRmT1_PNSt15iterator_traitsISL_E10value_typeET2_T3_PNSM_ISR_E10value_typeET4_jRbjT5_SX_jjP12ihipStream_tbEUlT_E2_NS1_11comp_targetILNS1_3genE0ELNS1_11target_archE4294967295ELNS1_3gpuE0ELNS1_3repE0EEENS1_30default_config_static_selectorELNS0_4arch9wavefront6targetE0EEEvSL_.private_seg_size, 0+max(.L_ZN7rocprim17ROCPRIM_400000_NS6detail26segmented_warp_sort_helperINS1_20WarpSortHelperConfigILj8ELj4ELj256EEE12hip_bfloat16lLi256ELb0EvE4sortIPKS5_PS5_PKlPlEEvT_T0_T1_T2_jjjjRNS6_12storage_typeE.private_seg_size, .L_ZN7rocprim17ROCPRIM_400000_NS6detail40segmented_radix_sort_single_block_helperI12hip_bfloat16lLj256ELj16ELb0EE4sortIPKS3_PS3_PKlPlEEbT_T0_T1_T2_jjjjRNS4_12storage_typeE.private_seg_size)
	.set _ZN7rocprim17ROCPRIM_400000_NS6detail17trampoline_kernelINS0_14default_configENS1_36segmented_radix_sort_config_selectorI12hip_bfloat16lEEZNS1_25segmented_radix_sort_implIS3_Lb0EPKS5_PS5_PKlPlN2at6native12_GLOBAL__N_18offset_tEEE10hipError_tPvRmT1_PNSt15iterator_traitsISL_E10value_typeET2_T3_PNSM_ISR_E10value_typeET4_jRbjT5_SX_jjP12ihipStream_tbEUlT_E2_NS1_11comp_targetILNS1_3genE0ELNS1_11target_archE4294967295ELNS1_3gpuE0ELNS1_3repE0EEENS1_30default_config_static_selectorELNS0_4arch9wavefront6targetE0EEEvSL_.uses_vcc, or(1, .L_ZN7rocprim17ROCPRIM_400000_NS6detail26segmented_warp_sort_helperINS1_20WarpSortHelperConfigILj8ELj4ELj256EEE12hip_bfloat16lLi256ELb0EvE4sortIPKS5_PS5_PKlPlEEvT_T0_T1_T2_jjjjRNS6_12storage_typeE.uses_vcc, .L_ZN7rocprim17ROCPRIM_400000_NS6detail40segmented_radix_sort_single_block_helperI12hip_bfloat16lLj256ELj16ELb0EE4sortIPKS3_PS3_PKlPlEEbT_T0_T1_T2_jjjjRNS4_12storage_typeE.uses_vcc)
	.set _ZN7rocprim17ROCPRIM_400000_NS6detail17trampoline_kernelINS0_14default_configENS1_36segmented_radix_sort_config_selectorI12hip_bfloat16lEEZNS1_25segmented_radix_sort_implIS3_Lb0EPKS5_PS5_PKlPlN2at6native12_GLOBAL__N_18offset_tEEE10hipError_tPvRmT1_PNSt15iterator_traitsISL_E10value_typeET2_T3_PNSM_ISR_E10value_typeET4_jRbjT5_SX_jjP12ihipStream_tbEUlT_E2_NS1_11comp_targetILNS1_3genE0ELNS1_11target_archE4294967295ELNS1_3gpuE0ELNS1_3repE0EEENS1_30default_config_static_selectorELNS0_4arch9wavefront6targetE0EEEvSL_.uses_flat_scratch, or(0, .L_ZN7rocprim17ROCPRIM_400000_NS6detail26segmented_warp_sort_helperINS1_20WarpSortHelperConfigILj8ELj4ELj256EEE12hip_bfloat16lLi256ELb0EvE4sortIPKS5_PS5_PKlPlEEvT_T0_T1_T2_jjjjRNS6_12storage_typeE.uses_flat_scratch, .L_ZN7rocprim17ROCPRIM_400000_NS6detail40segmented_radix_sort_single_block_helperI12hip_bfloat16lLj256ELj16ELb0EE4sortIPKS3_PS3_PKlPlEEbT_T0_T1_T2_jjjjRNS4_12storage_typeE.uses_flat_scratch)
	.set _ZN7rocprim17ROCPRIM_400000_NS6detail17trampoline_kernelINS0_14default_configENS1_36segmented_radix_sort_config_selectorI12hip_bfloat16lEEZNS1_25segmented_radix_sort_implIS3_Lb0EPKS5_PS5_PKlPlN2at6native12_GLOBAL__N_18offset_tEEE10hipError_tPvRmT1_PNSt15iterator_traitsISL_E10value_typeET2_T3_PNSM_ISR_E10value_typeET4_jRbjT5_SX_jjP12ihipStream_tbEUlT_E2_NS1_11comp_targetILNS1_3genE0ELNS1_11target_archE4294967295ELNS1_3gpuE0ELNS1_3repE0EEENS1_30default_config_static_selectorELNS0_4arch9wavefront6targetE0EEEvSL_.has_dyn_sized_stack, or(0, .L_ZN7rocprim17ROCPRIM_400000_NS6detail26segmented_warp_sort_helperINS1_20WarpSortHelperConfigILj8ELj4ELj256EEE12hip_bfloat16lLi256ELb0EvE4sortIPKS5_PS5_PKlPlEEvT_T0_T1_T2_jjjjRNS6_12storage_typeE.has_dyn_sized_stack, .L_ZN7rocprim17ROCPRIM_400000_NS6detail40segmented_radix_sort_single_block_helperI12hip_bfloat16lLj256ELj16ELb0EE4sortIPKS3_PS3_PKlPlEEbT_T0_T1_T2_jjjjRNS4_12storage_typeE.has_dyn_sized_stack)
	.set _ZN7rocprim17ROCPRIM_400000_NS6detail17trampoline_kernelINS0_14default_configENS1_36segmented_radix_sort_config_selectorI12hip_bfloat16lEEZNS1_25segmented_radix_sort_implIS3_Lb0EPKS5_PS5_PKlPlN2at6native12_GLOBAL__N_18offset_tEEE10hipError_tPvRmT1_PNSt15iterator_traitsISL_E10value_typeET2_T3_PNSM_ISR_E10value_typeET4_jRbjT5_SX_jjP12ihipStream_tbEUlT_E2_NS1_11comp_targetILNS1_3genE0ELNS1_11target_archE4294967295ELNS1_3gpuE0ELNS1_3repE0EEENS1_30default_config_static_selectorELNS0_4arch9wavefront6targetE0EEEvSL_.has_recursion, or(0, .L_ZN7rocprim17ROCPRIM_400000_NS6detail26segmented_warp_sort_helperINS1_20WarpSortHelperConfigILj8ELj4ELj256EEE12hip_bfloat16lLi256ELb0EvE4sortIPKS5_PS5_PKlPlEEvT_T0_T1_T2_jjjjRNS6_12storage_typeE.has_recursion, .L_ZN7rocprim17ROCPRIM_400000_NS6detail40segmented_radix_sort_single_block_helperI12hip_bfloat16lLj256ELj16ELb0EE4sortIPKS3_PS3_PKlPlEEbT_T0_T1_T2_jjjjRNS4_12storage_typeE.has_recursion)
	.set _ZN7rocprim17ROCPRIM_400000_NS6detail17trampoline_kernelINS0_14default_configENS1_36segmented_radix_sort_config_selectorI12hip_bfloat16lEEZNS1_25segmented_radix_sort_implIS3_Lb0EPKS5_PS5_PKlPlN2at6native12_GLOBAL__N_18offset_tEEE10hipError_tPvRmT1_PNSt15iterator_traitsISL_E10value_typeET2_T3_PNSM_ISR_E10value_typeET4_jRbjT5_SX_jjP12ihipStream_tbEUlT_E2_NS1_11comp_targetILNS1_3genE0ELNS1_11target_archE4294967295ELNS1_3gpuE0ELNS1_3repE0EEENS1_30default_config_static_selectorELNS0_4arch9wavefront6targetE0EEEvSL_.has_indirect_call, or(0, .L_ZN7rocprim17ROCPRIM_400000_NS6detail26segmented_warp_sort_helperINS1_20WarpSortHelperConfigILj8ELj4ELj256EEE12hip_bfloat16lLi256ELb0EvE4sortIPKS5_PS5_PKlPlEEvT_T0_T1_T2_jjjjRNS6_12storage_typeE.has_indirect_call, .L_ZN7rocprim17ROCPRIM_400000_NS6detail40segmented_radix_sort_single_block_helperI12hip_bfloat16lLj256ELj16ELb0EE4sortIPKS3_PS3_PKlPlEEbT_T0_T1_T2_jjjjRNS4_12storage_typeE.has_indirect_call)
	.section	.AMDGPU.csdata,"",@progbits
; Kernel info:
; codeLenInByte = 81080
; TotalNumSgprs: 61
; NumVgprs: 304
; ScratchSize: 0
; MemoryBound: 0
; FloatMode: 240
; IeeeMode: 1
; LDSByteSize: 33824 bytes/workgroup (compile time only)
; SGPRBlocks: 0
; VGPRBlocks: 18
; NumSGPRsForWavesPerEU: 61
; NumVGPRsForWavesPerEU: 304
; NamedBarCnt: 0
; Occupancy: 3
; WaveLimiterHint : 1
; COMPUTE_PGM_RSRC2:SCRATCH_EN: 0
; COMPUTE_PGM_RSRC2:USER_SGPR: 4
; COMPUTE_PGM_RSRC2:TRAP_HANDLER: 0
; COMPUTE_PGM_RSRC2:TGID_X_EN: 1
; COMPUTE_PGM_RSRC2:TGID_Y_EN: 1
; COMPUTE_PGM_RSRC2:TGID_Z_EN: 0
; COMPUTE_PGM_RSRC2:TIDIG_COMP_CNT: 2
	.section	.text._ZN7rocprim17ROCPRIM_400000_NS6detail17trampoline_kernelINS0_14default_configENS1_36segmented_radix_sort_config_selectorI12hip_bfloat16lEEZNS1_25segmented_radix_sort_implIS3_Lb0EPKS5_PS5_PKlPlN2at6native12_GLOBAL__N_18offset_tEEE10hipError_tPvRmT1_PNSt15iterator_traitsISL_E10value_typeET2_T3_PNSM_ISR_E10value_typeET4_jRbjT5_SX_jjP12ihipStream_tbEUlT_E2_NS1_11comp_targetILNS1_3genE5ELNS1_11target_archE942ELNS1_3gpuE9ELNS1_3repE0EEENS1_30default_config_static_selectorELNS0_4arch9wavefront6targetE0EEEvSL_,"axG",@progbits,_ZN7rocprim17ROCPRIM_400000_NS6detail17trampoline_kernelINS0_14default_configENS1_36segmented_radix_sort_config_selectorI12hip_bfloat16lEEZNS1_25segmented_radix_sort_implIS3_Lb0EPKS5_PS5_PKlPlN2at6native12_GLOBAL__N_18offset_tEEE10hipError_tPvRmT1_PNSt15iterator_traitsISL_E10value_typeET2_T3_PNSM_ISR_E10value_typeET4_jRbjT5_SX_jjP12ihipStream_tbEUlT_E2_NS1_11comp_targetILNS1_3genE5ELNS1_11target_archE942ELNS1_3gpuE9ELNS1_3repE0EEENS1_30default_config_static_selectorELNS0_4arch9wavefront6targetE0EEEvSL_,comdat
	.globl	_ZN7rocprim17ROCPRIM_400000_NS6detail17trampoline_kernelINS0_14default_configENS1_36segmented_radix_sort_config_selectorI12hip_bfloat16lEEZNS1_25segmented_radix_sort_implIS3_Lb0EPKS5_PS5_PKlPlN2at6native12_GLOBAL__N_18offset_tEEE10hipError_tPvRmT1_PNSt15iterator_traitsISL_E10value_typeET2_T3_PNSM_ISR_E10value_typeET4_jRbjT5_SX_jjP12ihipStream_tbEUlT_E2_NS1_11comp_targetILNS1_3genE5ELNS1_11target_archE942ELNS1_3gpuE9ELNS1_3repE0EEENS1_30default_config_static_selectorELNS0_4arch9wavefront6targetE0EEEvSL_ ; -- Begin function _ZN7rocprim17ROCPRIM_400000_NS6detail17trampoline_kernelINS0_14default_configENS1_36segmented_radix_sort_config_selectorI12hip_bfloat16lEEZNS1_25segmented_radix_sort_implIS3_Lb0EPKS5_PS5_PKlPlN2at6native12_GLOBAL__N_18offset_tEEE10hipError_tPvRmT1_PNSt15iterator_traitsISL_E10value_typeET2_T3_PNSM_ISR_E10value_typeET4_jRbjT5_SX_jjP12ihipStream_tbEUlT_E2_NS1_11comp_targetILNS1_3genE5ELNS1_11target_archE942ELNS1_3gpuE9ELNS1_3repE0EEENS1_30default_config_static_selectorELNS0_4arch9wavefront6targetE0EEEvSL_
	.p2align	8
	.type	_ZN7rocprim17ROCPRIM_400000_NS6detail17trampoline_kernelINS0_14default_configENS1_36segmented_radix_sort_config_selectorI12hip_bfloat16lEEZNS1_25segmented_radix_sort_implIS3_Lb0EPKS5_PS5_PKlPlN2at6native12_GLOBAL__N_18offset_tEEE10hipError_tPvRmT1_PNSt15iterator_traitsISL_E10value_typeET2_T3_PNSM_ISR_E10value_typeET4_jRbjT5_SX_jjP12ihipStream_tbEUlT_E2_NS1_11comp_targetILNS1_3genE5ELNS1_11target_archE942ELNS1_3gpuE9ELNS1_3repE0EEENS1_30default_config_static_selectorELNS0_4arch9wavefront6targetE0EEEvSL_,@function
_ZN7rocprim17ROCPRIM_400000_NS6detail17trampoline_kernelINS0_14default_configENS1_36segmented_radix_sort_config_selectorI12hip_bfloat16lEEZNS1_25segmented_radix_sort_implIS3_Lb0EPKS5_PS5_PKlPlN2at6native12_GLOBAL__N_18offset_tEEE10hipError_tPvRmT1_PNSt15iterator_traitsISL_E10value_typeET2_T3_PNSM_ISR_E10value_typeET4_jRbjT5_SX_jjP12ihipStream_tbEUlT_E2_NS1_11comp_targetILNS1_3genE5ELNS1_11target_archE942ELNS1_3gpuE9ELNS1_3repE0EEENS1_30default_config_static_selectorELNS0_4arch9wavefront6targetE0EEEvSL_: ; @_ZN7rocprim17ROCPRIM_400000_NS6detail17trampoline_kernelINS0_14default_configENS1_36segmented_radix_sort_config_selectorI12hip_bfloat16lEEZNS1_25segmented_radix_sort_implIS3_Lb0EPKS5_PS5_PKlPlN2at6native12_GLOBAL__N_18offset_tEEE10hipError_tPvRmT1_PNSt15iterator_traitsISL_E10value_typeET2_T3_PNSM_ISR_E10value_typeET4_jRbjT5_SX_jjP12ihipStream_tbEUlT_E2_NS1_11comp_targetILNS1_3genE5ELNS1_11target_archE942ELNS1_3gpuE9ELNS1_3repE0EEENS1_30default_config_static_selectorELNS0_4arch9wavefront6targetE0EEEvSL_
; %bb.0:
	.section	.rodata,"a",@progbits
	.p2align	6, 0x0
	.amdhsa_kernel _ZN7rocprim17ROCPRIM_400000_NS6detail17trampoline_kernelINS0_14default_configENS1_36segmented_radix_sort_config_selectorI12hip_bfloat16lEEZNS1_25segmented_radix_sort_implIS3_Lb0EPKS5_PS5_PKlPlN2at6native12_GLOBAL__N_18offset_tEEE10hipError_tPvRmT1_PNSt15iterator_traitsISL_E10value_typeET2_T3_PNSM_ISR_E10value_typeET4_jRbjT5_SX_jjP12ihipStream_tbEUlT_E2_NS1_11comp_targetILNS1_3genE5ELNS1_11target_archE942ELNS1_3gpuE9ELNS1_3repE0EEENS1_30default_config_static_selectorELNS0_4arch9wavefront6targetE0EEEvSL_
		.amdhsa_group_segment_fixed_size 0
		.amdhsa_private_segment_fixed_size 0
		.amdhsa_kernarg_size 80
		.amdhsa_user_sgpr_count 2
		.amdhsa_user_sgpr_dispatch_ptr 0
		.amdhsa_user_sgpr_queue_ptr 0
		.amdhsa_user_sgpr_kernarg_segment_ptr 1
		.amdhsa_user_sgpr_dispatch_id 0
		.amdhsa_user_sgpr_kernarg_preload_length 0
		.amdhsa_user_sgpr_kernarg_preload_offset 0
		.amdhsa_user_sgpr_private_segment_size 0
		.amdhsa_wavefront_size32 1
		.amdhsa_uses_dynamic_stack 0
		.amdhsa_enable_private_segment 0
		.amdhsa_system_sgpr_workgroup_id_x 1
		.amdhsa_system_sgpr_workgroup_id_y 0
		.amdhsa_system_sgpr_workgroup_id_z 0
		.amdhsa_system_sgpr_workgroup_info 0
		.amdhsa_system_vgpr_workitem_id 0
		.amdhsa_next_free_vgpr 1
		.amdhsa_next_free_sgpr 1
		.amdhsa_named_barrier_count 0
		.amdhsa_reserve_vcc 0
		.amdhsa_float_round_mode_32 0
		.amdhsa_float_round_mode_16_64 0
		.amdhsa_float_denorm_mode_32 3
		.amdhsa_float_denorm_mode_16_64 3
		.amdhsa_fp16_overflow 0
		.amdhsa_memory_ordered 1
		.amdhsa_forward_progress 1
		.amdhsa_inst_pref_size 0
		.amdhsa_round_robin_scheduling 0
		.amdhsa_exception_fp_ieee_invalid_op 0
		.amdhsa_exception_fp_denorm_src 0
		.amdhsa_exception_fp_ieee_div_zero 0
		.amdhsa_exception_fp_ieee_overflow 0
		.amdhsa_exception_fp_ieee_underflow 0
		.amdhsa_exception_fp_ieee_inexact 0
		.amdhsa_exception_int_div_zero 0
	.end_amdhsa_kernel
	.section	.text._ZN7rocprim17ROCPRIM_400000_NS6detail17trampoline_kernelINS0_14default_configENS1_36segmented_radix_sort_config_selectorI12hip_bfloat16lEEZNS1_25segmented_radix_sort_implIS3_Lb0EPKS5_PS5_PKlPlN2at6native12_GLOBAL__N_18offset_tEEE10hipError_tPvRmT1_PNSt15iterator_traitsISL_E10value_typeET2_T3_PNSM_ISR_E10value_typeET4_jRbjT5_SX_jjP12ihipStream_tbEUlT_E2_NS1_11comp_targetILNS1_3genE5ELNS1_11target_archE942ELNS1_3gpuE9ELNS1_3repE0EEENS1_30default_config_static_selectorELNS0_4arch9wavefront6targetE0EEEvSL_,"axG",@progbits,_ZN7rocprim17ROCPRIM_400000_NS6detail17trampoline_kernelINS0_14default_configENS1_36segmented_radix_sort_config_selectorI12hip_bfloat16lEEZNS1_25segmented_radix_sort_implIS3_Lb0EPKS5_PS5_PKlPlN2at6native12_GLOBAL__N_18offset_tEEE10hipError_tPvRmT1_PNSt15iterator_traitsISL_E10value_typeET2_T3_PNSM_ISR_E10value_typeET4_jRbjT5_SX_jjP12ihipStream_tbEUlT_E2_NS1_11comp_targetILNS1_3genE5ELNS1_11target_archE942ELNS1_3gpuE9ELNS1_3repE0EEENS1_30default_config_static_selectorELNS0_4arch9wavefront6targetE0EEEvSL_,comdat
.Lfunc_end2070:
	.size	_ZN7rocprim17ROCPRIM_400000_NS6detail17trampoline_kernelINS0_14default_configENS1_36segmented_radix_sort_config_selectorI12hip_bfloat16lEEZNS1_25segmented_radix_sort_implIS3_Lb0EPKS5_PS5_PKlPlN2at6native12_GLOBAL__N_18offset_tEEE10hipError_tPvRmT1_PNSt15iterator_traitsISL_E10value_typeET2_T3_PNSM_ISR_E10value_typeET4_jRbjT5_SX_jjP12ihipStream_tbEUlT_E2_NS1_11comp_targetILNS1_3genE5ELNS1_11target_archE942ELNS1_3gpuE9ELNS1_3repE0EEENS1_30default_config_static_selectorELNS0_4arch9wavefront6targetE0EEEvSL_, .Lfunc_end2070-_ZN7rocprim17ROCPRIM_400000_NS6detail17trampoline_kernelINS0_14default_configENS1_36segmented_radix_sort_config_selectorI12hip_bfloat16lEEZNS1_25segmented_radix_sort_implIS3_Lb0EPKS5_PS5_PKlPlN2at6native12_GLOBAL__N_18offset_tEEE10hipError_tPvRmT1_PNSt15iterator_traitsISL_E10value_typeET2_T3_PNSM_ISR_E10value_typeET4_jRbjT5_SX_jjP12ihipStream_tbEUlT_E2_NS1_11comp_targetILNS1_3genE5ELNS1_11target_archE942ELNS1_3gpuE9ELNS1_3repE0EEENS1_30default_config_static_selectorELNS0_4arch9wavefront6targetE0EEEvSL_
                                        ; -- End function
	.set _ZN7rocprim17ROCPRIM_400000_NS6detail17trampoline_kernelINS0_14default_configENS1_36segmented_radix_sort_config_selectorI12hip_bfloat16lEEZNS1_25segmented_radix_sort_implIS3_Lb0EPKS5_PS5_PKlPlN2at6native12_GLOBAL__N_18offset_tEEE10hipError_tPvRmT1_PNSt15iterator_traitsISL_E10value_typeET2_T3_PNSM_ISR_E10value_typeET4_jRbjT5_SX_jjP12ihipStream_tbEUlT_E2_NS1_11comp_targetILNS1_3genE5ELNS1_11target_archE942ELNS1_3gpuE9ELNS1_3repE0EEENS1_30default_config_static_selectorELNS0_4arch9wavefront6targetE0EEEvSL_.num_vgpr, 0
	.set _ZN7rocprim17ROCPRIM_400000_NS6detail17trampoline_kernelINS0_14default_configENS1_36segmented_radix_sort_config_selectorI12hip_bfloat16lEEZNS1_25segmented_radix_sort_implIS3_Lb0EPKS5_PS5_PKlPlN2at6native12_GLOBAL__N_18offset_tEEE10hipError_tPvRmT1_PNSt15iterator_traitsISL_E10value_typeET2_T3_PNSM_ISR_E10value_typeET4_jRbjT5_SX_jjP12ihipStream_tbEUlT_E2_NS1_11comp_targetILNS1_3genE5ELNS1_11target_archE942ELNS1_3gpuE9ELNS1_3repE0EEENS1_30default_config_static_selectorELNS0_4arch9wavefront6targetE0EEEvSL_.num_agpr, 0
	.set _ZN7rocprim17ROCPRIM_400000_NS6detail17trampoline_kernelINS0_14default_configENS1_36segmented_radix_sort_config_selectorI12hip_bfloat16lEEZNS1_25segmented_radix_sort_implIS3_Lb0EPKS5_PS5_PKlPlN2at6native12_GLOBAL__N_18offset_tEEE10hipError_tPvRmT1_PNSt15iterator_traitsISL_E10value_typeET2_T3_PNSM_ISR_E10value_typeET4_jRbjT5_SX_jjP12ihipStream_tbEUlT_E2_NS1_11comp_targetILNS1_3genE5ELNS1_11target_archE942ELNS1_3gpuE9ELNS1_3repE0EEENS1_30default_config_static_selectorELNS0_4arch9wavefront6targetE0EEEvSL_.numbered_sgpr, 0
	.set _ZN7rocprim17ROCPRIM_400000_NS6detail17trampoline_kernelINS0_14default_configENS1_36segmented_radix_sort_config_selectorI12hip_bfloat16lEEZNS1_25segmented_radix_sort_implIS3_Lb0EPKS5_PS5_PKlPlN2at6native12_GLOBAL__N_18offset_tEEE10hipError_tPvRmT1_PNSt15iterator_traitsISL_E10value_typeET2_T3_PNSM_ISR_E10value_typeET4_jRbjT5_SX_jjP12ihipStream_tbEUlT_E2_NS1_11comp_targetILNS1_3genE5ELNS1_11target_archE942ELNS1_3gpuE9ELNS1_3repE0EEENS1_30default_config_static_selectorELNS0_4arch9wavefront6targetE0EEEvSL_.num_named_barrier, 0
	.set _ZN7rocprim17ROCPRIM_400000_NS6detail17trampoline_kernelINS0_14default_configENS1_36segmented_radix_sort_config_selectorI12hip_bfloat16lEEZNS1_25segmented_radix_sort_implIS3_Lb0EPKS5_PS5_PKlPlN2at6native12_GLOBAL__N_18offset_tEEE10hipError_tPvRmT1_PNSt15iterator_traitsISL_E10value_typeET2_T3_PNSM_ISR_E10value_typeET4_jRbjT5_SX_jjP12ihipStream_tbEUlT_E2_NS1_11comp_targetILNS1_3genE5ELNS1_11target_archE942ELNS1_3gpuE9ELNS1_3repE0EEENS1_30default_config_static_selectorELNS0_4arch9wavefront6targetE0EEEvSL_.private_seg_size, 0
	.set _ZN7rocprim17ROCPRIM_400000_NS6detail17trampoline_kernelINS0_14default_configENS1_36segmented_radix_sort_config_selectorI12hip_bfloat16lEEZNS1_25segmented_radix_sort_implIS3_Lb0EPKS5_PS5_PKlPlN2at6native12_GLOBAL__N_18offset_tEEE10hipError_tPvRmT1_PNSt15iterator_traitsISL_E10value_typeET2_T3_PNSM_ISR_E10value_typeET4_jRbjT5_SX_jjP12ihipStream_tbEUlT_E2_NS1_11comp_targetILNS1_3genE5ELNS1_11target_archE942ELNS1_3gpuE9ELNS1_3repE0EEENS1_30default_config_static_selectorELNS0_4arch9wavefront6targetE0EEEvSL_.uses_vcc, 0
	.set _ZN7rocprim17ROCPRIM_400000_NS6detail17trampoline_kernelINS0_14default_configENS1_36segmented_radix_sort_config_selectorI12hip_bfloat16lEEZNS1_25segmented_radix_sort_implIS3_Lb0EPKS5_PS5_PKlPlN2at6native12_GLOBAL__N_18offset_tEEE10hipError_tPvRmT1_PNSt15iterator_traitsISL_E10value_typeET2_T3_PNSM_ISR_E10value_typeET4_jRbjT5_SX_jjP12ihipStream_tbEUlT_E2_NS1_11comp_targetILNS1_3genE5ELNS1_11target_archE942ELNS1_3gpuE9ELNS1_3repE0EEENS1_30default_config_static_selectorELNS0_4arch9wavefront6targetE0EEEvSL_.uses_flat_scratch, 0
	.set _ZN7rocprim17ROCPRIM_400000_NS6detail17trampoline_kernelINS0_14default_configENS1_36segmented_radix_sort_config_selectorI12hip_bfloat16lEEZNS1_25segmented_radix_sort_implIS3_Lb0EPKS5_PS5_PKlPlN2at6native12_GLOBAL__N_18offset_tEEE10hipError_tPvRmT1_PNSt15iterator_traitsISL_E10value_typeET2_T3_PNSM_ISR_E10value_typeET4_jRbjT5_SX_jjP12ihipStream_tbEUlT_E2_NS1_11comp_targetILNS1_3genE5ELNS1_11target_archE942ELNS1_3gpuE9ELNS1_3repE0EEENS1_30default_config_static_selectorELNS0_4arch9wavefront6targetE0EEEvSL_.has_dyn_sized_stack, 0
	.set _ZN7rocprim17ROCPRIM_400000_NS6detail17trampoline_kernelINS0_14default_configENS1_36segmented_radix_sort_config_selectorI12hip_bfloat16lEEZNS1_25segmented_radix_sort_implIS3_Lb0EPKS5_PS5_PKlPlN2at6native12_GLOBAL__N_18offset_tEEE10hipError_tPvRmT1_PNSt15iterator_traitsISL_E10value_typeET2_T3_PNSM_ISR_E10value_typeET4_jRbjT5_SX_jjP12ihipStream_tbEUlT_E2_NS1_11comp_targetILNS1_3genE5ELNS1_11target_archE942ELNS1_3gpuE9ELNS1_3repE0EEENS1_30default_config_static_selectorELNS0_4arch9wavefront6targetE0EEEvSL_.has_recursion, 0
	.set _ZN7rocprim17ROCPRIM_400000_NS6detail17trampoline_kernelINS0_14default_configENS1_36segmented_radix_sort_config_selectorI12hip_bfloat16lEEZNS1_25segmented_radix_sort_implIS3_Lb0EPKS5_PS5_PKlPlN2at6native12_GLOBAL__N_18offset_tEEE10hipError_tPvRmT1_PNSt15iterator_traitsISL_E10value_typeET2_T3_PNSM_ISR_E10value_typeET4_jRbjT5_SX_jjP12ihipStream_tbEUlT_E2_NS1_11comp_targetILNS1_3genE5ELNS1_11target_archE942ELNS1_3gpuE9ELNS1_3repE0EEENS1_30default_config_static_selectorELNS0_4arch9wavefront6targetE0EEEvSL_.has_indirect_call, 0
	.section	.AMDGPU.csdata,"",@progbits
; Kernel info:
; codeLenInByte = 0
; TotalNumSgprs: 0
; NumVgprs: 0
; ScratchSize: 0
; MemoryBound: 0
; FloatMode: 240
; IeeeMode: 1
; LDSByteSize: 0 bytes/workgroup (compile time only)
; SGPRBlocks: 0
; VGPRBlocks: 0
; NumSGPRsForWavesPerEU: 1
; NumVGPRsForWavesPerEU: 1
; NamedBarCnt: 0
; Occupancy: 16
; WaveLimiterHint : 0
; COMPUTE_PGM_RSRC2:SCRATCH_EN: 0
; COMPUTE_PGM_RSRC2:USER_SGPR: 2
; COMPUTE_PGM_RSRC2:TRAP_HANDLER: 0
; COMPUTE_PGM_RSRC2:TGID_X_EN: 1
; COMPUTE_PGM_RSRC2:TGID_Y_EN: 0
; COMPUTE_PGM_RSRC2:TGID_Z_EN: 0
; COMPUTE_PGM_RSRC2:TIDIG_COMP_CNT: 0
	.section	.text._ZN7rocprim17ROCPRIM_400000_NS6detail17trampoline_kernelINS0_14default_configENS1_36segmented_radix_sort_config_selectorI12hip_bfloat16lEEZNS1_25segmented_radix_sort_implIS3_Lb0EPKS5_PS5_PKlPlN2at6native12_GLOBAL__N_18offset_tEEE10hipError_tPvRmT1_PNSt15iterator_traitsISL_E10value_typeET2_T3_PNSM_ISR_E10value_typeET4_jRbjT5_SX_jjP12ihipStream_tbEUlT_E2_NS1_11comp_targetILNS1_3genE4ELNS1_11target_archE910ELNS1_3gpuE8ELNS1_3repE0EEENS1_30default_config_static_selectorELNS0_4arch9wavefront6targetE0EEEvSL_,"axG",@progbits,_ZN7rocprim17ROCPRIM_400000_NS6detail17trampoline_kernelINS0_14default_configENS1_36segmented_radix_sort_config_selectorI12hip_bfloat16lEEZNS1_25segmented_radix_sort_implIS3_Lb0EPKS5_PS5_PKlPlN2at6native12_GLOBAL__N_18offset_tEEE10hipError_tPvRmT1_PNSt15iterator_traitsISL_E10value_typeET2_T3_PNSM_ISR_E10value_typeET4_jRbjT5_SX_jjP12ihipStream_tbEUlT_E2_NS1_11comp_targetILNS1_3genE4ELNS1_11target_archE910ELNS1_3gpuE8ELNS1_3repE0EEENS1_30default_config_static_selectorELNS0_4arch9wavefront6targetE0EEEvSL_,comdat
	.globl	_ZN7rocprim17ROCPRIM_400000_NS6detail17trampoline_kernelINS0_14default_configENS1_36segmented_radix_sort_config_selectorI12hip_bfloat16lEEZNS1_25segmented_radix_sort_implIS3_Lb0EPKS5_PS5_PKlPlN2at6native12_GLOBAL__N_18offset_tEEE10hipError_tPvRmT1_PNSt15iterator_traitsISL_E10value_typeET2_T3_PNSM_ISR_E10value_typeET4_jRbjT5_SX_jjP12ihipStream_tbEUlT_E2_NS1_11comp_targetILNS1_3genE4ELNS1_11target_archE910ELNS1_3gpuE8ELNS1_3repE0EEENS1_30default_config_static_selectorELNS0_4arch9wavefront6targetE0EEEvSL_ ; -- Begin function _ZN7rocprim17ROCPRIM_400000_NS6detail17trampoline_kernelINS0_14default_configENS1_36segmented_radix_sort_config_selectorI12hip_bfloat16lEEZNS1_25segmented_radix_sort_implIS3_Lb0EPKS5_PS5_PKlPlN2at6native12_GLOBAL__N_18offset_tEEE10hipError_tPvRmT1_PNSt15iterator_traitsISL_E10value_typeET2_T3_PNSM_ISR_E10value_typeET4_jRbjT5_SX_jjP12ihipStream_tbEUlT_E2_NS1_11comp_targetILNS1_3genE4ELNS1_11target_archE910ELNS1_3gpuE8ELNS1_3repE0EEENS1_30default_config_static_selectorELNS0_4arch9wavefront6targetE0EEEvSL_
	.p2align	8
	.type	_ZN7rocprim17ROCPRIM_400000_NS6detail17trampoline_kernelINS0_14default_configENS1_36segmented_radix_sort_config_selectorI12hip_bfloat16lEEZNS1_25segmented_radix_sort_implIS3_Lb0EPKS5_PS5_PKlPlN2at6native12_GLOBAL__N_18offset_tEEE10hipError_tPvRmT1_PNSt15iterator_traitsISL_E10value_typeET2_T3_PNSM_ISR_E10value_typeET4_jRbjT5_SX_jjP12ihipStream_tbEUlT_E2_NS1_11comp_targetILNS1_3genE4ELNS1_11target_archE910ELNS1_3gpuE8ELNS1_3repE0EEENS1_30default_config_static_selectorELNS0_4arch9wavefront6targetE0EEEvSL_,@function
_ZN7rocprim17ROCPRIM_400000_NS6detail17trampoline_kernelINS0_14default_configENS1_36segmented_radix_sort_config_selectorI12hip_bfloat16lEEZNS1_25segmented_radix_sort_implIS3_Lb0EPKS5_PS5_PKlPlN2at6native12_GLOBAL__N_18offset_tEEE10hipError_tPvRmT1_PNSt15iterator_traitsISL_E10value_typeET2_T3_PNSM_ISR_E10value_typeET4_jRbjT5_SX_jjP12ihipStream_tbEUlT_E2_NS1_11comp_targetILNS1_3genE4ELNS1_11target_archE910ELNS1_3gpuE8ELNS1_3repE0EEENS1_30default_config_static_selectorELNS0_4arch9wavefront6targetE0EEEvSL_: ; @_ZN7rocprim17ROCPRIM_400000_NS6detail17trampoline_kernelINS0_14default_configENS1_36segmented_radix_sort_config_selectorI12hip_bfloat16lEEZNS1_25segmented_radix_sort_implIS3_Lb0EPKS5_PS5_PKlPlN2at6native12_GLOBAL__N_18offset_tEEE10hipError_tPvRmT1_PNSt15iterator_traitsISL_E10value_typeET2_T3_PNSM_ISR_E10value_typeET4_jRbjT5_SX_jjP12ihipStream_tbEUlT_E2_NS1_11comp_targetILNS1_3genE4ELNS1_11target_archE910ELNS1_3gpuE8ELNS1_3repE0EEENS1_30default_config_static_selectorELNS0_4arch9wavefront6targetE0EEEvSL_
; %bb.0:
	.section	.rodata,"a",@progbits
	.p2align	6, 0x0
	.amdhsa_kernel _ZN7rocprim17ROCPRIM_400000_NS6detail17trampoline_kernelINS0_14default_configENS1_36segmented_radix_sort_config_selectorI12hip_bfloat16lEEZNS1_25segmented_radix_sort_implIS3_Lb0EPKS5_PS5_PKlPlN2at6native12_GLOBAL__N_18offset_tEEE10hipError_tPvRmT1_PNSt15iterator_traitsISL_E10value_typeET2_T3_PNSM_ISR_E10value_typeET4_jRbjT5_SX_jjP12ihipStream_tbEUlT_E2_NS1_11comp_targetILNS1_3genE4ELNS1_11target_archE910ELNS1_3gpuE8ELNS1_3repE0EEENS1_30default_config_static_selectorELNS0_4arch9wavefront6targetE0EEEvSL_
		.amdhsa_group_segment_fixed_size 0
		.amdhsa_private_segment_fixed_size 0
		.amdhsa_kernarg_size 80
		.amdhsa_user_sgpr_count 2
		.amdhsa_user_sgpr_dispatch_ptr 0
		.amdhsa_user_sgpr_queue_ptr 0
		.amdhsa_user_sgpr_kernarg_segment_ptr 1
		.amdhsa_user_sgpr_dispatch_id 0
		.amdhsa_user_sgpr_kernarg_preload_length 0
		.amdhsa_user_sgpr_kernarg_preload_offset 0
		.amdhsa_user_sgpr_private_segment_size 0
		.amdhsa_wavefront_size32 1
		.amdhsa_uses_dynamic_stack 0
		.amdhsa_enable_private_segment 0
		.amdhsa_system_sgpr_workgroup_id_x 1
		.amdhsa_system_sgpr_workgroup_id_y 0
		.amdhsa_system_sgpr_workgroup_id_z 0
		.amdhsa_system_sgpr_workgroup_info 0
		.amdhsa_system_vgpr_workitem_id 0
		.amdhsa_next_free_vgpr 1
		.amdhsa_next_free_sgpr 1
		.amdhsa_named_barrier_count 0
		.amdhsa_reserve_vcc 0
		.amdhsa_float_round_mode_32 0
		.amdhsa_float_round_mode_16_64 0
		.amdhsa_float_denorm_mode_32 3
		.amdhsa_float_denorm_mode_16_64 3
		.amdhsa_fp16_overflow 0
		.amdhsa_memory_ordered 1
		.amdhsa_forward_progress 1
		.amdhsa_inst_pref_size 0
		.amdhsa_round_robin_scheduling 0
		.amdhsa_exception_fp_ieee_invalid_op 0
		.amdhsa_exception_fp_denorm_src 0
		.amdhsa_exception_fp_ieee_div_zero 0
		.amdhsa_exception_fp_ieee_overflow 0
		.amdhsa_exception_fp_ieee_underflow 0
		.amdhsa_exception_fp_ieee_inexact 0
		.amdhsa_exception_int_div_zero 0
	.end_amdhsa_kernel
	.section	.text._ZN7rocprim17ROCPRIM_400000_NS6detail17trampoline_kernelINS0_14default_configENS1_36segmented_radix_sort_config_selectorI12hip_bfloat16lEEZNS1_25segmented_radix_sort_implIS3_Lb0EPKS5_PS5_PKlPlN2at6native12_GLOBAL__N_18offset_tEEE10hipError_tPvRmT1_PNSt15iterator_traitsISL_E10value_typeET2_T3_PNSM_ISR_E10value_typeET4_jRbjT5_SX_jjP12ihipStream_tbEUlT_E2_NS1_11comp_targetILNS1_3genE4ELNS1_11target_archE910ELNS1_3gpuE8ELNS1_3repE0EEENS1_30default_config_static_selectorELNS0_4arch9wavefront6targetE0EEEvSL_,"axG",@progbits,_ZN7rocprim17ROCPRIM_400000_NS6detail17trampoline_kernelINS0_14default_configENS1_36segmented_radix_sort_config_selectorI12hip_bfloat16lEEZNS1_25segmented_radix_sort_implIS3_Lb0EPKS5_PS5_PKlPlN2at6native12_GLOBAL__N_18offset_tEEE10hipError_tPvRmT1_PNSt15iterator_traitsISL_E10value_typeET2_T3_PNSM_ISR_E10value_typeET4_jRbjT5_SX_jjP12ihipStream_tbEUlT_E2_NS1_11comp_targetILNS1_3genE4ELNS1_11target_archE910ELNS1_3gpuE8ELNS1_3repE0EEENS1_30default_config_static_selectorELNS0_4arch9wavefront6targetE0EEEvSL_,comdat
.Lfunc_end2071:
	.size	_ZN7rocprim17ROCPRIM_400000_NS6detail17trampoline_kernelINS0_14default_configENS1_36segmented_radix_sort_config_selectorI12hip_bfloat16lEEZNS1_25segmented_radix_sort_implIS3_Lb0EPKS5_PS5_PKlPlN2at6native12_GLOBAL__N_18offset_tEEE10hipError_tPvRmT1_PNSt15iterator_traitsISL_E10value_typeET2_T3_PNSM_ISR_E10value_typeET4_jRbjT5_SX_jjP12ihipStream_tbEUlT_E2_NS1_11comp_targetILNS1_3genE4ELNS1_11target_archE910ELNS1_3gpuE8ELNS1_3repE0EEENS1_30default_config_static_selectorELNS0_4arch9wavefront6targetE0EEEvSL_, .Lfunc_end2071-_ZN7rocprim17ROCPRIM_400000_NS6detail17trampoline_kernelINS0_14default_configENS1_36segmented_radix_sort_config_selectorI12hip_bfloat16lEEZNS1_25segmented_radix_sort_implIS3_Lb0EPKS5_PS5_PKlPlN2at6native12_GLOBAL__N_18offset_tEEE10hipError_tPvRmT1_PNSt15iterator_traitsISL_E10value_typeET2_T3_PNSM_ISR_E10value_typeET4_jRbjT5_SX_jjP12ihipStream_tbEUlT_E2_NS1_11comp_targetILNS1_3genE4ELNS1_11target_archE910ELNS1_3gpuE8ELNS1_3repE0EEENS1_30default_config_static_selectorELNS0_4arch9wavefront6targetE0EEEvSL_
                                        ; -- End function
	.set _ZN7rocprim17ROCPRIM_400000_NS6detail17trampoline_kernelINS0_14default_configENS1_36segmented_radix_sort_config_selectorI12hip_bfloat16lEEZNS1_25segmented_radix_sort_implIS3_Lb0EPKS5_PS5_PKlPlN2at6native12_GLOBAL__N_18offset_tEEE10hipError_tPvRmT1_PNSt15iterator_traitsISL_E10value_typeET2_T3_PNSM_ISR_E10value_typeET4_jRbjT5_SX_jjP12ihipStream_tbEUlT_E2_NS1_11comp_targetILNS1_3genE4ELNS1_11target_archE910ELNS1_3gpuE8ELNS1_3repE0EEENS1_30default_config_static_selectorELNS0_4arch9wavefront6targetE0EEEvSL_.num_vgpr, 0
	.set _ZN7rocprim17ROCPRIM_400000_NS6detail17trampoline_kernelINS0_14default_configENS1_36segmented_radix_sort_config_selectorI12hip_bfloat16lEEZNS1_25segmented_radix_sort_implIS3_Lb0EPKS5_PS5_PKlPlN2at6native12_GLOBAL__N_18offset_tEEE10hipError_tPvRmT1_PNSt15iterator_traitsISL_E10value_typeET2_T3_PNSM_ISR_E10value_typeET4_jRbjT5_SX_jjP12ihipStream_tbEUlT_E2_NS1_11comp_targetILNS1_3genE4ELNS1_11target_archE910ELNS1_3gpuE8ELNS1_3repE0EEENS1_30default_config_static_selectorELNS0_4arch9wavefront6targetE0EEEvSL_.num_agpr, 0
	.set _ZN7rocprim17ROCPRIM_400000_NS6detail17trampoline_kernelINS0_14default_configENS1_36segmented_radix_sort_config_selectorI12hip_bfloat16lEEZNS1_25segmented_radix_sort_implIS3_Lb0EPKS5_PS5_PKlPlN2at6native12_GLOBAL__N_18offset_tEEE10hipError_tPvRmT1_PNSt15iterator_traitsISL_E10value_typeET2_T3_PNSM_ISR_E10value_typeET4_jRbjT5_SX_jjP12ihipStream_tbEUlT_E2_NS1_11comp_targetILNS1_3genE4ELNS1_11target_archE910ELNS1_3gpuE8ELNS1_3repE0EEENS1_30default_config_static_selectorELNS0_4arch9wavefront6targetE0EEEvSL_.numbered_sgpr, 0
	.set _ZN7rocprim17ROCPRIM_400000_NS6detail17trampoline_kernelINS0_14default_configENS1_36segmented_radix_sort_config_selectorI12hip_bfloat16lEEZNS1_25segmented_radix_sort_implIS3_Lb0EPKS5_PS5_PKlPlN2at6native12_GLOBAL__N_18offset_tEEE10hipError_tPvRmT1_PNSt15iterator_traitsISL_E10value_typeET2_T3_PNSM_ISR_E10value_typeET4_jRbjT5_SX_jjP12ihipStream_tbEUlT_E2_NS1_11comp_targetILNS1_3genE4ELNS1_11target_archE910ELNS1_3gpuE8ELNS1_3repE0EEENS1_30default_config_static_selectorELNS0_4arch9wavefront6targetE0EEEvSL_.num_named_barrier, 0
	.set _ZN7rocprim17ROCPRIM_400000_NS6detail17trampoline_kernelINS0_14default_configENS1_36segmented_radix_sort_config_selectorI12hip_bfloat16lEEZNS1_25segmented_radix_sort_implIS3_Lb0EPKS5_PS5_PKlPlN2at6native12_GLOBAL__N_18offset_tEEE10hipError_tPvRmT1_PNSt15iterator_traitsISL_E10value_typeET2_T3_PNSM_ISR_E10value_typeET4_jRbjT5_SX_jjP12ihipStream_tbEUlT_E2_NS1_11comp_targetILNS1_3genE4ELNS1_11target_archE910ELNS1_3gpuE8ELNS1_3repE0EEENS1_30default_config_static_selectorELNS0_4arch9wavefront6targetE0EEEvSL_.private_seg_size, 0
	.set _ZN7rocprim17ROCPRIM_400000_NS6detail17trampoline_kernelINS0_14default_configENS1_36segmented_radix_sort_config_selectorI12hip_bfloat16lEEZNS1_25segmented_radix_sort_implIS3_Lb0EPKS5_PS5_PKlPlN2at6native12_GLOBAL__N_18offset_tEEE10hipError_tPvRmT1_PNSt15iterator_traitsISL_E10value_typeET2_T3_PNSM_ISR_E10value_typeET4_jRbjT5_SX_jjP12ihipStream_tbEUlT_E2_NS1_11comp_targetILNS1_3genE4ELNS1_11target_archE910ELNS1_3gpuE8ELNS1_3repE0EEENS1_30default_config_static_selectorELNS0_4arch9wavefront6targetE0EEEvSL_.uses_vcc, 0
	.set _ZN7rocprim17ROCPRIM_400000_NS6detail17trampoline_kernelINS0_14default_configENS1_36segmented_radix_sort_config_selectorI12hip_bfloat16lEEZNS1_25segmented_radix_sort_implIS3_Lb0EPKS5_PS5_PKlPlN2at6native12_GLOBAL__N_18offset_tEEE10hipError_tPvRmT1_PNSt15iterator_traitsISL_E10value_typeET2_T3_PNSM_ISR_E10value_typeET4_jRbjT5_SX_jjP12ihipStream_tbEUlT_E2_NS1_11comp_targetILNS1_3genE4ELNS1_11target_archE910ELNS1_3gpuE8ELNS1_3repE0EEENS1_30default_config_static_selectorELNS0_4arch9wavefront6targetE0EEEvSL_.uses_flat_scratch, 0
	.set _ZN7rocprim17ROCPRIM_400000_NS6detail17trampoline_kernelINS0_14default_configENS1_36segmented_radix_sort_config_selectorI12hip_bfloat16lEEZNS1_25segmented_radix_sort_implIS3_Lb0EPKS5_PS5_PKlPlN2at6native12_GLOBAL__N_18offset_tEEE10hipError_tPvRmT1_PNSt15iterator_traitsISL_E10value_typeET2_T3_PNSM_ISR_E10value_typeET4_jRbjT5_SX_jjP12ihipStream_tbEUlT_E2_NS1_11comp_targetILNS1_3genE4ELNS1_11target_archE910ELNS1_3gpuE8ELNS1_3repE0EEENS1_30default_config_static_selectorELNS0_4arch9wavefront6targetE0EEEvSL_.has_dyn_sized_stack, 0
	.set _ZN7rocprim17ROCPRIM_400000_NS6detail17trampoline_kernelINS0_14default_configENS1_36segmented_radix_sort_config_selectorI12hip_bfloat16lEEZNS1_25segmented_radix_sort_implIS3_Lb0EPKS5_PS5_PKlPlN2at6native12_GLOBAL__N_18offset_tEEE10hipError_tPvRmT1_PNSt15iterator_traitsISL_E10value_typeET2_T3_PNSM_ISR_E10value_typeET4_jRbjT5_SX_jjP12ihipStream_tbEUlT_E2_NS1_11comp_targetILNS1_3genE4ELNS1_11target_archE910ELNS1_3gpuE8ELNS1_3repE0EEENS1_30default_config_static_selectorELNS0_4arch9wavefront6targetE0EEEvSL_.has_recursion, 0
	.set _ZN7rocprim17ROCPRIM_400000_NS6detail17trampoline_kernelINS0_14default_configENS1_36segmented_radix_sort_config_selectorI12hip_bfloat16lEEZNS1_25segmented_radix_sort_implIS3_Lb0EPKS5_PS5_PKlPlN2at6native12_GLOBAL__N_18offset_tEEE10hipError_tPvRmT1_PNSt15iterator_traitsISL_E10value_typeET2_T3_PNSM_ISR_E10value_typeET4_jRbjT5_SX_jjP12ihipStream_tbEUlT_E2_NS1_11comp_targetILNS1_3genE4ELNS1_11target_archE910ELNS1_3gpuE8ELNS1_3repE0EEENS1_30default_config_static_selectorELNS0_4arch9wavefront6targetE0EEEvSL_.has_indirect_call, 0
	.section	.AMDGPU.csdata,"",@progbits
; Kernel info:
; codeLenInByte = 0
; TotalNumSgprs: 0
; NumVgprs: 0
; ScratchSize: 0
; MemoryBound: 0
; FloatMode: 240
; IeeeMode: 1
; LDSByteSize: 0 bytes/workgroup (compile time only)
; SGPRBlocks: 0
; VGPRBlocks: 0
; NumSGPRsForWavesPerEU: 1
; NumVGPRsForWavesPerEU: 1
; NamedBarCnt: 0
; Occupancy: 16
; WaveLimiterHint : 0
; COMPUTE_PGM_RSRC2:SCRATCH_EN: 0
; COMPUTE_PGM_RSRC2:USER_SGPR: 2
; COMPUTE_PGM_RSRC2:TRAP_HANDLER: 0
; COMPUTE_PGM_RSRC2:TGID_X_EN: 1
; COMPUTE_PGM_RSRC2:TGID_Y_EN: 0
; COMPUTE_PGM_RSRC2:TGID_Z_EN: 0
; COMPUTE_PGM_RSRC2:TIDIG_COMP_CNT: 0
	.section	.text._ZN7rocprim17ROCPRIM_400000_NS6detail17trampoline_kernelINS0_14default_configENS1_36segmented_radix_sort_config_selectorI12hip_bfloat16lEEZNS1_25segmented_radix_sort_implIS3_Lb0EPKS5_PS5_PKlPlN2at6native12_GLOBAL__N_18offset_tEEE10hipError_tPvRmT1_PNSt15iterator_traitsISL_E10value_typeET2_T3_PNSM_ISR_E10value_typeET4_jRbjT5_SX_jjP12ihipStream_tbEUlT_E2_NS1_11comp_targetILNS1_3genE3ELNS1_11target_archE908ELNS1_3gpuE7ELNS1_3repE0EEENS1_30default_config_static_selectorELNS0_4arch9wavefront6targetE0EEEvSL_,"axG",@progbits,_ZN7rocprim17ROCPRIM_400000_NS6detail17trampoline_kernelINS0_14default_configENS1_36segmented_radix_sort_config_selectorI12hip_bfloat16lEEZNS1_25segmented_radix_sort_implIS3_Lb0EPKS5_PS5_PKlPlN2at6native12_GLOBAL__N_18offset_tEEE10hipError_tPvRmT1_PNSt15iterator_traitsISL_E10value_typeET2_T3_PNSM_ISR_E10value_typeET4_jRbjT5_SX_jjP12ihipStream_tbEUlT_E2_NS1_11comp_targetILNS1_3genE3ELNS1_11target_archE908ELNS1_3gpuE7ELNS1_3repE0EEENS1_30default_config_static_selectorELNS0_4arch9wavefront6targetE0EEEvSL_,comdat
	.globl	_ZN7rocprim17ROCPRIM_400000_NS6detail17trampoline_kernelINS0_14default_configENS1_36segmented_radix_sort_config_selectorI12hip_bfloat16lEEZNS1_25segmented_radix_sort_implIS3_Lb0EPKS5_PS5_PKlPlN2at6native12_GLOBAL__N_18offset_tEEE10hipError_tPvRmT1_PNSt15iterator_traitsISL_E10value_typeET2_T3_PNSM_ISR_E10value_typeET4_jRbjT5_SX_jjP12ihipStream_tbEUlT_E2_NS1_11comp_targetILNS1_3genE3ELNS1_11target_archE908ELNS1_3gpuE7ELNS1_3repE0EEENS1_30default_config_static_selectorELNS0_4arch9wavefront6targetE0EEEvSL_ ; -- Begin function _ZN7rocprim17ROCPRIM_400000_NS6detail17trampoline_kernelINS0_14default_configENS1_36segmented_radix_sort_config_selectorI12hip_bfloat16lEEZNS1_25segmented_radix_sort_implIS3_Lb0EPKS5_PS5_PKlPlN2at6native12_GLOBAL__N_18offset_tEEE10hipError_tPvRmT1_PNSt15iterator_traitsISL_E10value_typeET2_T3_PNSM_ISR_E10value_typeET4_jRbjT5_SX_jjP12ihipStream_tbEUlT_E2_NS1_11comp_targetILNS1_3genE3ELNS1_11target_archE908ELNS1_3gpuE7ELNS1_3repE0EEENS1_30default_config_static_selectorELNS0_4arch9wavefront6targetE0EEEvSL_
	.p2align	8
	.type	_ZN7rocprim17ROCPRIM_400000_NS6detail17trampoline_kernelINS0_14default_configENS1_36segmented_radix_sort_config_selectorI12hip_bfloat16lEEZNS1_25segmented_radix_sort_implIS3_Lb0EPKS5_PS5_PKlPlN2at6native12_GLOBAL__N_18offset_tEEE10hipError_tPvRmT1_PNSt15iterator_traitsISL_E10value_typeET2_T3_PNSM_ISR_E10value_typeET4_jRbjT5_SX_jjP12ihipStream_tbEUlT_E2_NS1_11comp_targetILNS1_3genE3ELNS1_11target_archE908ELNS1_3gpuE7ELNS1_3repE0EEENS1_30default_config_static_selectorELNS0_4arch9wavefront6targetE0EEEvSL_,@function
_ZN7rocprim17ROCPRIM_400000_NS6detail17trampoline_kernelINS0_14default_configENS1_36segmented_radix_sort_config_selectorI12hip_bfloat16lEEZNS1_25segmented_radix_sort_implIS3_Lb0EPKS5_PS5_PKlPlN2at6native12_GLOBAL__N_18offset_tEEE10hipError_tPvRmT1_PNSt15iterator_traitsISL_E10value_typeET2_T3_PNSM_ISR_E10value_typeET4_jRbjT5_SX_jjP12ihipStream_tbEUlT_E2_NS1_11comp_targetILNS1_3genE3ELNS1_11target_archE908ELNS1_3gpuE7ELNS1_3repE0EEENS1_30default_config_static_selectorELNS0_4arch9wavefront6targetE0EEEvSL_: ; @_ZN7rocprim17ROCPRIM_400000_NS6detail17trampoline_kernelINS0_14default_configENS1_36segmented_radix_sort_config_selectorI12hip_bfloat16lEEZNS1_25segmented_radix_sort_implIS3_Lb0EPKS5_PS5_PKlPlN2at6native12_GLOBAL__N_18offset_tEEE10hipError_tPvRmT1_PNSt15iterator_traitsISL_E10value_typeET2_T3_PNSM_ISR_E10value_typeET4_jRbjT5_SX_jjP12ihipStream_tbEUlT_E2_NS1_11comp_targetILNS1_3genE3ELNS1_11target_archE908ELNS1_3gpuE7ELNS1_3repE0EEENS1_30default_config_static_selectorELNS0_4arch9wavefront6targetE0EEEvSL_
; %bb.0:
	.section	.rodata,"a",@progbits
	.p2align	6, 0x0
	.amdhsa_kernel _ZN7rocprim17ROCPRIM_400000_NS6detail17trampoline_kernelINS0_14default_configENS1_36segmented_radix_sort_config_selectorI12hip_bfloat16lEEZNS1_25segmented_radix_sort_implIS3_Lb0EPKS5_PS5_PKlPlN2at6native12_GLOBAL__N_18offset_tEEE10hipError_tPvRmT1_PNSt15iterator_traitsISL_E10value_typeET2_T3_PNSM_ISR_E10value_typeET4_jRbjT5_SX_jjP12ihipStream_tbEUlT_E2_NS1_11comp_targetILNS1_3genE3ELNS1_11target_archE908ELNS1_3gpuE7ELNS1_3repE0EEENS1_30default_config_static_selectorELNS0_4arch9wavefront6targetE0EEEvSL_
		.amdhsa_group_segment_fixed_size 0
		.amdhsa_private_segment_fixed_size 0
		.amdhsa_kernarg_size 80
		.amdhsa_user_sgpr_count 2
		.amdhsa_user_sgpr_dispatch_ptr 0
		.amdhsa_user_sgpr_queue_ptr 0
		.amdhsa_user_sgpr_kernarg_segment_ptr 1
		.amdhsa_user_sgpr_dispatch_id 0
		.amdhsa_user_sgpr_kernarg_preload_length 0
		.amdhsa_user_sgpr_kernarg_preload_offset 0
		.amdhsa_user_sgpr_private_segment_size 0
		.amdhsa_wavefront_size32 1
		.amdhsa_uses_dynamic_stack 0
		.amdhsa_enable_private_segment 0
		.amdhsa_system_sgpr_workgroup_id_x 1
		.amdhsa_system_sgpr_workgroup_id_y 0
		.amdhsa_system_sgpr_workgroup_id_z 0
		.amdhsa_system_sgpr_workgroup_info 0
		.amdhsa_system_vgpr_workitem_id 0
		.amdhsa_next_free_vgpr 1
		.amdhsa_next_free_sgpr 1
		.amdhsa_named_barrier_count 0
		.amdhsa_reserve_vcc 0
		.amdhsa_float_round_mode_32 0
		.amdhsa_float_round_mode_16_64 0
		.amdhsa_float_denorm_mode_32 3
		.amdhsa_float_denorm_mode_16_64 3
		.amdhsa_fp16_overflow 0
		.amdhsa_memory_ordered 1
		.amdhsa_forward_progress 1
		.amdhsa_inst_pref_size 0
		.amdhsa_round_robin_scheduling 0
		.amdhsa_exception_fp_ieee_invalid_op 0
		.amdhsa_exception_fp_denorm_src 0
		.amdhsa_exception_fp_ieee_div_zero 0
		.amdhsa_exception_fp_ieee_overflow 0
		.amdhsa_exception_fp_ieee_underflow 0
		.amdhsa_exception_fp_ieee_inexact 0
		.amdhsa_exception_int_div_zero 0
	.end_amdhsa_kernel
	.section	.text._ZN7rocprim17ROCPRIM_400000_NS6detail17trampoline_kernelINS0_14default_configENS1_36segmented_radix_sort_config_selectorI12hip_bfloat16lEEZNS1_25segmented_radix_sort_implIS3_Lb0EPKS5_PS5_PKlPlN2at6native12_GLOBAL__N_18offset_tEEE10hipError_tPvRmT1_PNSt15iterator_traitsISL_E10value_typeET2_T3_PNSM_ISR_E10value_typeET4_jRbjT5_SX_jjP12ihipStream_tbEUlT_E2_NS1_11comp_targetILNS1_3genE3ELNS1_11target_archE908ELNS1_3gpuE7ELNS1_3repE0EEENS1_30default_config_static_selectorELNS0_4arch9wavefront6targetE0EEEvSL_,"axG",@progbits,_ZN7rocprim17ROCPRIM_400000_NS6detail17trampoline_kernelINS0_14default_configENS1_36segmented_radix_sort_config_selectorI12hip_bfloat16lEEZNS1_25segmented_radix_sort_implIS3_Lb0EPKS5_PS5_PKlPlN2at6native12_GLOBAL__N_18offset_tEEE10hipError_tPvRmT1_PNSt15iterator_traitsISL_E10value_typeET2_T3_PNSM_ISR_E10value_typeET4_jRbjT5_SX_jjP12ihipStream_tbEUlT_E2_NS1_11comp_targetILNS1_3genE3ELNS1_11target_archE908ELNS1_3gpuE7ELNS1_3repE0EEENS1_30default_config_static_selectorELNS0_4arch9wavefront6targetE0EEEvSL_,comdat
.Lfunc_end2072:
	.size	_ZN7rocprim17ROCPRIM_400000_NS6detail17trampoline_kernelINS0_14default_configENS1_36segmented_radix_sort_config_selectorI12hip_bfloat16lEEZNS1_25segmented_radix_sort_implIS3_Lb0EPKS5_PS5_PKlPlN2at6native12_GLOBAL__N_18offset_tEEE10hipError_tPvRmT1_PNSt15iterator_traitsISL_E10value_typeET2_T3_PNSM_ISR_E10value_typeET4_jRbjT5_SX_jjP12ihipStream_tbEUlT_E2_NS1_11comp_targetILNS1_3genE3ELNS1_11target_archE908ELNS1_3gpuE7ELNS1_3repE0EEENS1_30default_config_static_selectorELNS0_4arch9wavefront6targetE0EEEvSL_, .Lfunc_end2072-_ZN7rocprim17ROCPRIM_400000_NS6detail17trampoline_kernelINS0_14default_configENS1_36segmented_radix_sort_config_selectorI12hip_bfloat16lEEZNS1_25segmented_radix_sort_implIS3_Lb0EPKS5_PS5_PKlPlN2at6native12_GLOBAL__N_18offset_tEEE10hipError_tPvRmT1_PNSt15iterator_traitsISL_E10value_typeET2_T3_PNSM_ISR_E10value_typeET4_jRbjT5_SX_jjP12ihipStream_tbEUlT_E2_NS1_11comp_targetILNS1_3genE3ELNS1_11target_archE908ELNS1_3gpuE7ELNS1_3repE0EEENS1_30default_config_static_selectorELNS0_4arch9wavefront6targetE0EEEvSL_
                                        ; -- End function
	.set _ZN7rocprim17ROCPRIM_400000_NS6detail17trampoline_kernelINS0_14default_configENS1_36segmented_radix_sort_config_selectorI12hip_bfloat16lEEZNS1_25segmented_radix_sort_implIS3_Lb0EPKS5_PS5_PKlPlN2at6native12_GLOBAL__N_18offset_tEEE10hipError_tPvRmT1_PNSt15iterator_traitsISL_E10value_typeET2_T3_PNSM_ISR_E10value_typeET4_jRbjT5_SX_jjP12ihipStream_tbEUlT_E2_NS1_11comp_targetILNS1_3genE3ELNS1_11target_archE908ELNS1_3gpuE7ELNS1_3repE0EEENS1_30default_config_static_selectorELNS0_4arch9wavefront6targetE0EEEvSL_.num_vgpr, 0
	.set _ZN7rocprim17ROCPRIM_400000_NS6detail17trampoline_kernelINS0_14default_configENS1_36segmented_radix_sort_config_selectorI12hip_bfloat16lEEZNS1_25segmented_radix_sort_implIS3_Lb0EPKS5_PS5_PKlPlN2at6native12_GLOBAL__N_18offset_tEEE10hipError_tPvRmT1_PNSt15iterator_traitsISL_E10value_typeET2_T3_PNSM_ISR_E10value_typeET4_jRbjT5_SX_jjP12ihipStream_tbEUlT_E2_NS1_11comp_targetILNS1_3genE3ELNS1_11target_archE908ELNS1_3gpuE7ELNS1_3repE0EEENS1_30default_config_static_selectorELNS0_4arch9wavefront6targetE0EEEvSL_.num_agpr, 0
	.set _ZN7rocprim17ROCPRIM_400000_NS6detail17trampoline_kernelINS0_14default_configENS1_36segmented_radix_sort_config_selectorI12hip_bfloat16lEEZNS1_25segmented_radix_sort_implIS3_Lb0EPKS5_PS5_PKlPlN2at6native12_GLOBAL__N_18offset_tEEE10hipError_tPvRmT1_PNSt15iterator_traitsISL_E10value_typeET2_T3_PNSM_ISR_E10value_typeET4_jRbjT5_SX_jjP12ihipStream_tbEUlT_E2_NS1_11comp_targetILNS1_3genE3ELNS1_11target_archE908ELNS1_3gpuE7ELNS1_3repE0EEENS1_30default_config_static_selectorELNS0_4arch9wavefront6targetE0EEEvSL_.numbered_sgpr, 0
	.set _ZN7rocprim17ROCPRIM_400000_NS6detail17trampoline_kernelINS0_14default_configENS1_36segmented_radix_sort_config_selectorI12hip_bfloat16lEEZNS1_25segmented_radix_sort_implIS3_Lb0EPKS5_PS5_PKlPlN2at6native12_GLOBAL__N_18offset_tEEE10hipError_tPvRmT1_PNSt15iterator_traitsISL_E10value_typeET2_T3_PNSM_ISR_E10value_typeET4_jRbjT5_SX_jjP12ihipStream_tbEUlT_E2_NS1_11comp_targetILNS1_3genE3ELNS1_11target_archE908ELNS1_3gpuE7ELNS1_3repE0EEENS1_30default_config_static_selectorELNS0_4arch9wavefront6targetE0EEEvSL_.num_named_barrier, 0
	.set _ZN7rocprim17ROCPRIM_400000_NS6detail17trampoline_kernelINS0_14default_configENS1_36segmented_radix_sort_config_selectorI12hip_bfloat16lEEZNS1_25segmented_radix_sort_implIS3_Lb0EPKS5_PS5_PKlPlN2at6native12_GLOBAL__N_18offset_tEEE10hipError_tPvRmT1_PNSt15iterator_traitsISL_E10value_typeET2_T3_PNSM_ISR_E10value_typeET4_jRbjT5_SX_jjP12ihipStream_tbEUlT_E2_NS1_11comp_targetILNS1_3genE3ELNS1_11target_archE908ELNS1_3gpuE7ELNS1_3repE0EEENS1_30default_config_static_selectorELNS0_4arch9wavefront6targetE0EEEvSL_.private_seg_size, 0
	.set _ZN7rocprim17ROCPRIM_400000_NS6detail17trampoline_kernelINS0_14default_configENS1_36segmented_radix_sort_config_selectorI12hip_bfloat16lEEZNS1_25segmented_radix_sort_implIS3_Lb0EPKS5_PS5_PKlPlN2at6native12_GLOBAL__N_18offset_tEEE10hipError_tPvRmT1_PNSt15iterator_traitsISL_E10value_typeET2_T3_PNSM_ISR_E10value_typeET4_jRbjT5_SX_jjP12ihipStream_tbEUlT_E2_NS1_11comp_targetILNS1_3genE3ELNS1_11target_archE908ELNS1_3gpuE7ELNS1_3repE0EEENS1_30default_config_static_selectorELNS0_4arch9wavefront6targetE0EEEvSL_.uses_vcc, 0
	.set _ZN7rocprim17ROCPRIM_400000_NS6detail17trampoline_kernelINS0_14default_configENS1_36segmented_radix_sort_config_selectorI12hip_bfloat16lEEZNS1_25segmented_radix_sort_implIS3_Lb0EPKS5_PS5_PKlPlN2at6native12_GLOBAL__N_18offset_tEEE10hipError_tPvRmT1_PNSt15iterator_traitsISL_E10value_typeET2_T3_PNSM_ISR_E10value_typeET4_jRbjT5_SX_jjP12ihipStream_tbEUlT_E2_NS1_11comp_targetILNS1_3genE3ELNS1_11target_archE908ELNS1_3gpuE7ELNS1_3repE0EEENS1_30default_config_static_selectorELNS0_4arch9wavefront6targetE0EEEvSL_.uses_flat_scratch, 0
	.set _ZN7rocprim17ROCPRIM_400000_NS6detail17trampoline_kernelINS0_14default_configENS1_36segmented_radix_sort_config_selectorI12hip_bfloat16lEEZNS1_25segmented_radix_sort_implIS3_Lb0EPKS5_PS5_PKlPlN2at6native12_GLOBAL__N_18offset_tEEE10hipError_tPvRmT1_PNSt15iterator_traitsISL_E10value_typeET2_T3_PNSM_ISR_E10value_typeET4_jRbjT5_SX_jjP12ihipStream_tbEUlT_E2_NS1_11comp_targetILNS1_3genE3ELNS1_11target_archE908ELNS1_3gpuE7ELNS1_3repE0EEENS1_30default_config_static_selectorELNS0_4arch9wavefront6targetE0EEEvSL_.has_dyn_sized_stack, 0
	.set _ZN7rocprim17ROCPRIM_400000_NS6detail17trampoline_kernelINS0_14default_configENS1_36segmented_radix_sort_config_selectorI12hip_bfloat16lEEZNS1_25segmented_radix_sort_implIS3_Lb0EPKS5_PS5_PKlPlN2at6native12_GLOBAL__N_18offset_tEEE10hipError_tPvRmT1_PNSt15iterator_traitsISL_E10value_typeET2_T3_PNSM_ISR_E10value_typeET4_jRbjT5_SX_jjP12ihipStream_tbEUlT_E2_NS1_11comp_targetILNS1_3genE3ELNS1_11target_archE908ELNS1_3gpuE7ELNS1_3repE0EEENS1_30default_config_static_selectorELNS0_4arch9wavefront6targetE0EEEvSL_.has_recursion, 0
	.set _ZN7rocprim17ROCPRIM_400000_NS6detail17trampoline_kernelINS0_14default_configENS1_36segmented_radix_sort_config_selectorI12hip_bfloat16lEEZNS1_25segmented_radix_sort_implIS3_Lb0EPKS5_PS5_PKlPlN2at6native12_GLOBAL__N_18offset_tEEE10hipError_tPvRmT1_PNSt15iterator_traitsISL_E10value_typeET2_T3_PNSM_ISR_E10value_typeET4_jRbjT5_SX_jjP12ihipStream_tbEUlT_E2_NS1_11comp_targetILNS1_3genE3ELNS1_11target_archE908ELNS1_3gpuE7ELNS1_3repE0EEENS1_30default_config_static_selectorELNS0_4arch9wavefront6targetE0EEEvSL_.has_indirect_call, 0
	.section	.AMDGPU.csdata,"",@progbits
; Kernel info:
; codeLenInByte = 0
; TotalNumSgprs: 0
; NumVgprs: 0
; ScratchSize: 0
; MemoryBound: 0
; FloatMode: 240
; IeeeMode: 1
; LDSByteSize: 0 bytes/workgroup (compile time only)
; SGPRBlocks: 0
; VGPRBlocks: 0
; NumSGPRsForWavesPerEU: 1
; NumVGPRsForWavesPerEU: 1
; NamedBarCnt: 0
; Occupancy: 16
; WaveLimiterHint : 0
; COMPUTE_PGM_RSRC2:SCRATCH_EN: 0
; COMPUTE_PGM_RSRC2:USER_SGPR: 2
; COMPUTE_PGM_RSRC2:TRAP_HANDLER: 0
; COMPUTE_PGM_RSRC2:TGID_X_EN: 1
; COMPUTE_PGM_RSRC2:TGID_Y_EN: 0
; COMPUTE_PGM_RSRC2:TGID_Z_EN: 0
; COMPUTE_PGM_RSRC2:TIDIG_COMP_CNT: 0
	.section	.text._ZN7rocprim17ROCPRIM_400000_NS6detail17trampoline_kernelINS0_14default_configENS1_36segmented_radix_sort_config_selectorI12hip_bfloat16lEEZNS1_25segmented_radix_sort_implIS3_Lb0EPKS5_PS5_PKlPlN2at6native12_GLOBAL__N_18offset_tEEE10hipError_tPvRmT1_PNSt15iterator_traitsISL_E10value_typeET2_T3_PNSM_ISR_E10value_typeET4_jRbjT5_SX_jjP12ihipStream_tbEUlT_E2_NS1_11comp_targetILNS1_3genE2ELNS1_11target_archE906ELNS1_3gpuE6ELNS1_3repE0EEENS1_30default_config_static_selectorELNS0_4arch9wavefront6targetE0EEEvSL_,"axG",@progbits,_ZN7rocprim17ROCPRIM_400000_NS6detail17trampoline_kernelINS0_14default_configENS1_36segmented_radix_sort_config_selectorI12hip_bfloat16lEEZNS1_25segmented_radix_sort_implIS3_Lb0EPKS5_PS5_PKlPlN2at6native12_GLOBAL__N_18offset_tEEE10hipError_tPvRmT1_PNSt15iterator_traitsISL_E10value_typeET2_T3_PNSM_ISR_E10value_typeET4_jRbjT5_SX_jjP12ihipStream_tbEUlT_E2_NS1_11comp_targetILNS1_3genE2ELNS1_11target_archE906ELNS1_3gpuE6ELNS1_3repE0EEENS1_30default_config_static_selectorELNS0_4arch9wavefront6targetE0EEEvSL_,comdat
	.globl	_ZN7rocprim17ROCPRIM_400000_NS6detail17trampoline_kernelINS0_14default_configENS1_36segmented_radix_sort_config_selectorI12hip_bfloat16lEEZNS1_25segmented_radix_sort_implIS3_Lb0EPKS5_PS5_PKlPlN2at6native12_GLOBAL__N_18offset_tEEE10hipError_tPvRmT1_PNSt15iterator_traitsISL_E10value_typeET2_T3_PNSM_ISR_E10value_typeET4_jRbjT5_SX_jjP12ihipStream_tbEUlT_E2_NS1_11comp_targetILNS1_3genE2ELNS1_11target_archE906ELNS1_3gpuE6ELNS1_3repE0EEENS1_30default_config_static_selectorELNS0_4arch9wavefront6targetE0EEEvSL_ ; -- Begin function _ZN7rocprim17ROCPRIM_400000_NS6detail17trampoline_kernelINS0_14default_configENS1_36segmented_radix_sort_config_selectorI12hip_bfloat16lEEZNS1_25segmented_radix_sort_implIS3_Lb0EPKS5_PS5_PKlPlN2at6native12_GLOBAL__N_18offset_tEEE10hipError_tPvRmT1_PNSt15iterator_traitsISL_E10value_typeET2_T3_PNSM_ISR_E10value_typeET4_jRbjT5_SX_jjP12ihipStream_tbEUlT_E2_NS1_11comp_targetILNS1_3genE2ELNS1_11target_archE906ELNS1_3gpuE6ELNS1_3repE0EEENS1_30default_config_static_selectorELNS0_4arch9wavefront6targetE0EEEvSL_
	.p2align	8
	.type	_ZN7rocprim17ROCPRIM_400000_NS6detail17trampoline_kernelINS0_14default_configENS1_36segmented_radix_sort_config_selectorI12hip_bfloat16lEEZNS1_25segmented_radix_sort_implIS3_Lb0EPKS5_PS5_PKlPlN2at6native12_GLOBAL__N_18offset_tEEE10hipError_tPvRmT1_PNSt15iterator_traitsISL_E10value_typeET2_T3_PNSM_ISR_E10value_typeET4_jRbjT5_SX_jjP12ihipStream_tbEUlT_E2_NS1_11comp_targetILNS1_3genE2ELNS1_11target_archE906ELNS1_3gpuE6ELNS1_3repE0EEENS1_30default_config_static_selectorELNS0_4arch9wavefront6targetE0EEEvSL_,@function
_ZN7rocprim17ROCPRIM_400000_NS6detail17trampoline_kernelINS0_14default_configENS1_36segmented_radix_sort_config_selectorI12hip_bfloat16lEEZNS1_25segmented_radix_sort_implIS3_Lb0EPKS5_PS5_PKlPlN2at6native12_GLOBAL__N_18offset_tEEE10hipError_tPvRmT1_PNSt15iterator_traitsISL_E10value_typeET2_T3_PNSM_ISR_E10value_typeET4_jRbjT5_SX_jjP12ihipStream_tbEUlT_E2_NS1_11comp_targetILNS1_3genE2ELNS1_11target_archE906ELNS1_3gpuE6ELNS1_3repE0EEENS1_30default_config_static_selectorELNS0_4arch9wavefront6targetE0EEEvSL_: ; @_ZN7rocprim17ROCPRIM_400000_NS6detail17trampoline_kernelINS0_14default_configENS1_36segmented_radix_sort_config_selectorI12hip_bfloat16lEEZNS1_25segmented_radix_sort_implIS3_Lb0EPKS5_PS5_PKlPlN2at6native12_GLOBAL__N_18offset_tEEE10hipError_tPvRmT1_PNSt15iterator_traitsISL_E10value_typeET2_T3_PNSM_ISR_E10value_typeET4_jRbjT5_SX_jjP12ihipStream_tbEUlT_E2_NS1_11comp_targetILNS1_3genE2ELNS1_11target_archE906ELNS1_3gpuE6ELNS1_3repE0EEENS1_30default_config_static_selectorELNS0_4arch9wavefront6targetE0EEEvSL_
; %bb.0:
	.section	.rodata,"a",@progbits
	.p2align	6, 0x0
	.amdhsa_kernel _ZN7rocprim17ROCPRIM_400000_NS6detail17trampoline_kernelINS0_14default_configENS1_36segmented_radix_sort_config_selectorI12hip_bfloat16lEEZNS1_25segmented_radix_sort_implIS3_Lb0EPKS5_PS5_PKlPlN2at6native12_GLOBAL__N_18offset_tEEE10hipError_tPvRmT1_PNSt15iterator_traitsISL_E10value_typeET2_T3_PNSM_ISR_E10value_typeET4_jRbjT5_SX_jjP12ihipStream_tbEUlT_E2_NS1_11comp_targetILNS1_3genE2ELNS1_11target_archE906ELNS1_3gpuE6ELNS1_3repE0EEENS1_30default_config_static_selectorELNS0_4arch9wavefront6targetE0EEEvSL_
		.amdhsa_group_segment_fixed_size 0
		.amdhsa_private_segment_fixed_size 0
		.amdhsa_kernarg_size 80
		.amdhsa_user_sgpr_count 2
		.amdhsa_user_sgpr_dispatch_ptr 0
		.amdhsa_user_sgpr_queue_ptr 0
		.amdhsa_user_sgpr_kernarg_segment_ptr 1
		.amdhsa_user_sgpr_dispatch_id 0
		.amdhsa_user_sgpr_kernarg_preload_length 0
		.amdhsa_user_sgpr_kernarg_preload_offset 0
		.amdhsa_user_sgpr_private_segment_size 0
		.amdhsa_wavefront_size32 1
		.amdhsa_uses_dynamic_stack 0
		.amdhsa_enable_private_segment 0
		.amdhsa_system_sgpr_workgroup_id_x 1
		.amdhsa_system_sgpr_workgroup_id_y 0
		.amdhsa_system_sgpr_workgroup_id_z 0
		.amdhsa_system_sgpr_workgroup_info 0
		.amdhsa_system_vgpr_workitem_id 0
		.amdhsa_next_free_vgpr 1
		.amdhsa_next_free_sgpr 1
		.amdhsa_named_barrier_count 0
		.amdhsa_reserve_vcc 0
		.amdhsa_float_round_mode_32 0
		.amdhsa_float_round_mode_16_64 0
		.amdhsa_float_denorm_mode_32 3
		.amdhsa_float_denorm_mode_16_64 3
		.amdhsa_fp16_overflow 0
		.amdhsa_memory_ordered 1
		.amdhsa_forward_progress 1
		.amdhsa_inst_pref_size 0
		.amdhsa_round_robin_scheduling 0
		.amdhsa_exception_fp_ieee_invalid_op 0
		.amdhsa_exception_fp_denorm_src 0
		.amdhsa_exception_fp_ieee_div_zero 0
		.amdhsa_exception_fp_ieee_overflow 0
		.amdhsa_exception_fp_ieee_underflow 0
		.amdhsa_exception_fp_ieee_inexact 0
		.amdhsa_exception_int_div_zero 0
	.end_amdhsa_kernel
	.section	.text._ZN7rocprim17ROCPRIM_400000_NS6detail17trampoline_kernelINS0_14default_configENS1_36segmented_radix_sort_config_selectorI12hip_bfloat16lEEZNS1_25segmented_radix_sort_implIS3_Lb0EPKS5_PS5_PKlPlN2at6native12_GLOBAL__N_18offset_tEEE10hipError_tPvRmT1_PNSt15iterator_traitsISL_E10value_typeET2_T3_PNSM_ISR_E10value_typeET4_jRbjT5_SX_jjP12ihipStream_tbEUlT_E2_NS1_11comp_targetILNS1_3genE2ELNS1_11target_archE906ELNS1_3gpuE6ELNS1_3repE0EEENS1_30default_config_static_selectorELNS0_4arch9wavefront6targetE0EEEvSL_,"axG",@progbits,_ZN7rocprim17ROCPRIM_400000_NS6detail17trampoline_kernelINS0_14default_configENS1_36segmented_radix_sort_config_selectorI12hip_bfloat16lEEZNS1_25segmented_radix_sort_implIS3_Lb0EPKS5_PS5_PKlPlN2at6native12_GLOBAL__N_18offset_tEEE10hipError_tPvRmT1_PNSt15iterator_traitsISL_E10value_typeET2_T3_PNSM_ISR_E10value_typeET4_jRbjT5_SX_jjP12ihipStream_tbEUlT_E2_NS1_11comp_targetILNS1_3genE2ELNS1_11target_archE906ELNS1_3gpuE6ELNS1_3repE0EEENS1_30default_config_static_selectorELNS0_4arch9wavefront6targetE0EEEvSL_,comdat
.Lfunc_end2073:
	.size	_ZN7rocprim17ROCPRIM_400000_NS6detail17trampoline_kernelINS0_14default_configENS1_36segmented_radix_sort_config_selectorI12hip_bfloat16lEEZNS1_25segmented_radix_sort_implIS3_Lb0EPKS5_PS5_PKlPlN2at6native12_GLOBAL__N_18offset_tEEE10hipError_tPvRmT1_PNSt15iterator_traitsISL_E10value_typeET2_T3_PNSM_ISR_E10value_typeET4_jRbjT5_SX_jjP12ihipStream_tbEUlT_E2_NS1_11comp_targetILNS1_3genE2ELNS1_11target_archE906ELNS1_3gpuE6ELNS1_3repE0EEENS1_30default_config_static_selectorELNS0_4arch9wavefront6targetE0EEEvSL_, .Lfunc_end2073-_ZN7rocprim17ROCPRIM_400000_NS6detail17trampoline_kernelINS0_14default_configENS1_36segmented_radix_sort_config_selectorI12hip_bfloat16lEEZNS1_25segmented_radix_sort_implIS3_Lb0EPKS5_PS5_PKlPlN2at6native12_GLOBAL__N_18offset_tEEE10hipError_tPvRmT1_PNSt15iterator_traitsISL_E10value_typeET2_T3_PNSM_ISR_E10value_typeET4_jRbjT5_SX_jjP12ihipStream_tbEUlT_E2_NS1_11comp_targetILNS1_3genE2ELNS1_11target_archE906ELNS1_3gpuE6ELNS1_3repE0EEENS1_30default_config_static_selectorELNS0_4arch9wavefront6targetE0EEEvSL_
                                        ; -- End function
	.set _ZN7rocprim17ROCPRIM_400000_NS6detail17trampoline_kernelINS0_14default_configENS1_36segmented_radix_sort_config_selectorI12hip_bfloat16lEEZNS1_25segmented_radix_sort_implIS3_Lb0EPKS5_PS5_PKlPlN2at6native12_GLOBAL__N_18offset_tEEE10hipError_tPvRmT1_PNSt15iterator_traitsISL_E10value_typeET2_T3_PNSM_ISR_E10value_typeET4_jRbjT5_SX_jjP12ihipStream_tbEUlT_E2_NS1_11comp_targetILNS1_3genE2ELNS1_11target_archE906ELNS1_3gpuE6ELNS1_3repE0EEENS1_30default_config_static_selectorELNS0_4arch9wavefront6targetE0EEEvSL_.num_vgpr, 0
	.set _ZN7rocprim17ROCPRIM_400000_NS6detail17trampoline_kernelINS0_14default_configENS1_36segmented_radix_sort_config_selectorI12hip_bfloat16lEEZNS1_25segmented_radix_sort_implIS3_Lb0EPKS5_PS5_PKlPlN2at6native12_GLOBAL__N_18offset_tEEE10hipError_tPvRmT1_PNSt15iterator_traitsISL_E10value_typeET2_T3_PNSM_ISR_E10value_typeET4_jRbjT5_SX_jjP12ihipStream_tbEUlT_E2_NS1_11comp_targetILNS1_3genE2ELNS1_11target_archE906ELNS1_3gpuE6ELNS1_3repE0EEENS1_30default_config_static_selectorELNS0_4arch9wavefront6targetE0EEEvSL_.num_agpr, 0
	.set _ZN7rocprim17ROCPRIM_400000_NS6detail17trampoline_kernelINS0_14default_configENS1_36segmented_radix_sort_config_selectorI12hip_bfloat16lEEZNS1_25segmented_radix_sort_implIS3_Lb0EPKS5_PS5_PKlPlN2at6native12_GLOBAL__N_18offset_tEEE10hipError_tPvRmT1_PNSt15iterator_traitsISL_E10value_typeET2_T3_PNSM_ISR_E10value_typeET4_jRbjT5_SX_jjP12ihipStream_tbEUlT_E2_NS1_11comp_targetILNS1_3genE2ELNS1_11target_archE906ELNS1_3gpuE6ELNS1_3repE0EEENS1_30default_config_static_selectorELNS0_4arch9wavefront6targetE0EEEvSL_.numbered_sgpr, 0
	.set _ZN7rocprim17ROCPRIM_400000_NS6detail17trampoline_kernelINS0_14default_configENS1_36segmented_radix_sort_config_selectorI12hip_bfloat16lEEZNS1_25segmented_radix_sort_implIS3_Lb0EPKS5_PS5_PKlPlN2at6native12_GLOBAL__N_18offset_tEEE10hipError_tPvRmT1_PNSt15iterator_traitsISL_E10value_typeET2_T3_PNSM_ISR_E10value_typeET4_jRbjT5_SX_jjP12ihipStream_tbEUlT_E2_NS1_11comp_targetILNS1_3genE2ELNS1_11target_archE906ELNS1_3gpuE6ELNS1_3repE0EEENS1_30default_config_static_selectorELNS0_4arch9wavefront6targetE0EEEvSL_.num_named_barrier, 0
	.set _ZN7rocprim17ROCPRIM_400000_NS6detail17trampoline_kernelINS0_14default_configENS1_36segmented_radix_sort_config_selectorI12hip_bfloat16lEEZNS1_25segmented_radix_sort_implIS3_Lb0EPKS5_PS5_PKlPlN2at6native12_GLOBAL__N_18offset_tEEE10hipError_tPvRmT1_PNSt15iterator_traitsISL_E10value_typeET2_T3_PNSM_ISR_E10value_typeET4_jRbjT5_SX_jjP12ihipStream_tbEUlT_E2_NS1_11comp_targetILNS1_3genE2ELNS1_11target_archE906ELNS1_3gpuE6ELNS1_3repE0EEENS1_30default_config_static_selectorELNS0_4arch9wavefront6targetE0EEEvSL_.private_seg_size, 0
	.set _ZN7rocprim17ROCPRIM_400000_NS6detail17trampoline_kernelINS0_14default_configENS1_36segmented_radix_sort_config_selectorI12hip_bfloat16lEEZNS1_25segmented_radix_sort_implIS3_Lb0EPKS5_PS5_PKlPlN2at6native12_GLOBAL__N_18offset_tEEE10hipError_tPvRmT1_PNSt15iterator_traitsISL_E10value_typeET2_T3_PNSM_ISR_E10value_typeET4_jRbjT5_SX_jjP12ihipStream_tbEUlT_E2_NS1_11comp_targetILNS1_3genE2ELNS1_11target_archE906ELNS1_3gpuE6ELNS1_3repE0EEENS1_30default_config_static_selectorELNS0_4arch9wavefront6targetE0EEEvSL_.uses_vcc, 0
	.set _ZN7rocprim17ROCPRIM_400000_NS6detail17trampoline_kernelINS0_14default_configENS1_36segmented_radix_sort_config_selectorI12hip_bfloat16lEEZNS1_25segmented_radix_sort_implIS3_Lb0EPKS5_PS5_PKlPlN2at6native12_GLOBAL__N_18offset_tEEE10hipError_tPvRmT1_PNSt15iterator_traitsISL_E10value_typeET2_T3_PNSM_ISR_E10value_typeET4_jRbjT5_SX_jjP12ihipStream_tbEUlT_E2_NS1_11comp_targetILNS1_3genE2ELNS1_11target_archE906ELNS1_3gpuE6ELNS1_3repE0EEENS1_30default_config_static_selectorELNS0_4arch9wavefront6targetE0EEEvSL_.uses_flat_scratch, 0
	.set _ZN7rocprim17ROCPRIM_400000_NS6detail17trampoline_kernelINS0_14default_configENS1_36segmented_radix_sort_config_selectorI12hip_bfloat16lEEZNS1_25segmented_radix_sort_implIS3_Lb0EPKS5_PS5_PKlPlN2at6native12_GLOBAL__N_18offset_tEEE10hipError_tPvRmT1_PNSt15iterator_traitsISL_E10value_typeET2_T3_PNSM_ISR_E10value_typeET4_jRbjT5_SX_jjP12ihipStream_tbEUlT_E2_NS1_11comp_targetILNS1_3genE2ELNS1_11target_archE906ELNS1_3gpuE6ELNS1_3repE0EEENS1_30default_config_static_selectorELNS0_4arch9wavefront6targetE0EEEvSL_.has_dyn_sized_stack, 0
	.set _ZN7rocprim17ROCPRIM_400000_NS6detail17trampoline_kernelINS0_14default_configENS1_36segmented_radix_sort_config_selectorI12hip_bfloat16lEEZNS1_25segmented_radix_sort_implIS3_Lb0EPKS5_PS5_PKlPlN2at6native12_GLOBAL__N_18offset_tEEE10hipError_tPvRmT1_PNSt15iterator_traitsISL_E10value_typeET2_T3_PNSM_ISR_E10value_typeET4_jRbjT5_SX_jjP12ihipStream_tbEUlT_E2_NS1_11comp_targetILNS1_3genE2ELNS1_11target_archE906ELNS1_3gpuE6ELNS1_3repE0EEENS1_30default_config_static_selectorELNS0_4arch9wavefront6targetE0EEEvSL_.has_recursion, 0
	.set _ZN7rocprim17ROCPRIM_400000_NS6detail17trampoline_kernelINS0_14default_configENS1_36segmented_radix_sort_config_selectorI12hip_bfloat16lEEZNS1_25segmented_radix_sort_implIS3_Lb0EPKS5_PS5_PKlPlN2at6native12_GLOBAL__N_18offset_tEEE10hipError_tPvRmT1_PNSt15iterator_traitsISL_E10value_typeET2_T3_PNSM_ISR_E10value_typeET4_jRbjT5_SX_jjP12ihipStream_tbEUlT_E2_NS1_11comp_targetILNS1_3genE2ELNS1_11target_archE906ELNS1_3gpuE6ELNS1_3repE0EEENS1_30default_config_static_selectorELNS0_4arch9wavefront6targetE0EEEvSL_.has_indirect_call, 0
	.section	.AMDGPU.csdata,"",@progbits
; Kernel info:
; codeLenInByte = 0
; TotalNumSgprs: 0
; NumVgprs: 0
; ScratchSize: 0
; MemoryBound: 0
; FloatMode: 240
; IeeeMode: 1
; LDSByteSize: 0 bytes/workgroup (compile time only)
; SGPRBlocks: 0
; VGPRBlocks: 0
; NumSGPRsForWavesPerEU: 1
; NumVGPRsForWavesPerEU: 1
; NamedBarCnt: 0
; Occupancy: 16
; WaveLimiterHint : 0
; COMPUTE_PGM_RSRC2:SCRATCH_EN: 0
; COMPUTE_PGM_RSRC2:USER_SGPR: 2
; COMPUTE_PGM_RSRC2:TRAP_HANDLER: 0
; COMPUTE_PGM_RSRC2:TGID_X_EN: 1
; COMPUTE_PGM_RSRC2:TGID_Y_EN: 0
; COMPUTE_PGM_RSRC2:TGID_Z_EN: 0
; COMPUTE_PGM_RSRC2:TIDIG_COMP_CNT: 0
	.section	.text._ZN7rocprim17ROCPRIM_400000_NS6detail17trampoline_kernelINS0_14default_configENS1_36segmented_radix_sort_config_selectorI12hip_bfloat16lEEZNS1_25segmented_radix_sort_implIS3_Lb0EPKS5_PS5_PKlPlN2at6native12_GLOBAL__N_18offset_tEEE10hipError_tPvRmT1_PNSt15iterator_traitsISL_E10value_typeET2_T3_PNSM_ISR_E10value_typeET4_jRbjT5_SX_jjP12ihipStream_tbEUlT_E2_NS1_11comp_targetILNS1_3genE10ELNS1_11target_archE1201ELNS1_3gpuE5ELNS1_3repE0EEENS1_30default_config_static_selectorELNS0_4arch9wavefront6targetE0EEEvSL_,"axG",@progbits,_ZN7rocprim17ROCPRIM_400000_NS6detail17trampoline_kernelINS0_14default_configENS1_36segmented_radix_sort_config_selectorI12hip_bfloat16lEEZNS1_25segmented_radix_sort_implIS3_Lb0EPKS5_PS5_PKlPlN2at6native12_GLOBAL__N_18offset_tEEE10hipError_tPvRmT1_PNSt15iterator_traitsISL_E10value_typeET2_T3_PNSM_ISR_E10value_typeET4_jRbjT5_SX_jjP12ihipStream_tbEUlT_E2_NS1_11comp_targetILNS1_3genE10ELNS1_11target_archE1201ELNS1_3gpuE5ELNS1_3repE0EEENS1_30default_config_static_selectorELNS0_4arch9wavefront6targetE0EEEvSL_,comdat
	.globl	_ZN7rocprim17ROCPRIM_400000_NS6detail17trampoline_kernelINS0_14default_configENS1_36segmented_radix_sort_config_selectorI12hip_bfloat16lEEZNS1_25segmented_radix_sort_implIS3_Lb0EPKS5_PS5_PKlPlN2at6native12_GLOBAL__N_18offset_tEEE10hipError_tPvRmT1_PNSt15iterator_traitsISL_E10value_typeET2_T3_PNSM_ISR_E10value_typeET4_jRbjT5_SX_jjP12ihipStream_tbEUlT_E2_NS1_11comp_targetILNS1_3genE10ELNS1_11target_archE1201ELNS1_3gpuE5ELNS1_3repE0EEENS1_30default_config_static_selectorELNS0_4arch9wavefront6targetE0EEEvSL_ ; -- Begin function _ZN7rocprim17ROCPRIM_400000_NS6detail17trampoline_kernelINS0_14default_configENS1_36segmented_radix_sort_config_selectorI12hip_bfloat16lEEZNS1_25segmented_radix_sort_implIS3_Lb0EPKS5_PS5_PKlPlN2at6native12_GLOBAL__N_18offset_tEEE10hipError_tPvRmT1_PNSt15iterator_traitsISL_E10value_typeET2_T3_PNSM_ISR_E10value_typeET4_jRbjT5_SX_jjP12ihipStream_tbEUlT_E2_NS1_11comp_targetILNS1_3genE10ELNS1_11target_archE1201ELNS1_3gpuE5ELNS1_3repE0EEENS1_30default_config_static_selectorELNS0_4arch9wavefront6targetE0EEEvSL_
	.p2align	8
	.type	_ZN7rocprim17ROCPRIM_400000_NS6detail17trampoline_kernelINS0_14default_configENS1_36segmented_radix_sort_config_selectorI12hip_bfloat16lEEZNS1_25segmented_radix_sort_implIS3_Lb0EPKS5_PS5_PKlPlN2at6native12_GLOBAL__N_18offset_tEEE10hipError_tPvRmT1_PNSt15iterator_traitsISL_E10value_typeET2_T3_PNSM_ISR_E10value_typeET4_jRbjT5_SX_jjP12ihipStream_tbEUlT_E2_NS1_11comp_targetILNS1_3genE10ELNS1_11target_archE1201ELNS1_3gpuE5ELNS1_3repE0EEENS1_30default_config_static_selectorELNS0_4arch9wavefront6targetE0EEEvSL_,@function
_ZN7rocprim17ROCPRIM_400000_NS6detail17trampoline_kernelINS0_14default_configENS1_36segmented_radix_sort_config_selectorI12hip_bfloat16lEEZNS1_25segmented_radix_sort_implIS3_Lb0EPKS5_PS5_PKlPlN2at6native12_GLOBAL__N_18offset_tEEE10hipError_tPvRmT1_PNSt15iterator_traitsISL_E10value_typeET2_T3_PNSM_ISR_E10value_typeET4_jRbjT5_SX_jjP12ihipStream_tbEUlT_E2_NS1_11comp_targetILNS1_3genE10ELNS1_11target_archE1201ELNS1_3gpuE5ELNS1_3repE0EEENS1_30default_config_static_selectorELNS0_4arch9wavefront6targetE0EEEvSL_: ; @_ZN7rocprim17ROCPRIM_400000_NS6detail17trampoline_kernelINS0_14default_configENS1_36segmented_radix_sort_config_selectorI12hip_bfloat16lEEZNS1_25segmented_radix_sort_implIS3_Lb0EPKS5_PS5_PKlPlN2at6native12_GLOBAL__N_18offset_tEEE10hipError_tPvRmT1_PNSt15iterator_traitsISL_E10value_typeET2_T3_PNSM_ISR_E10value_typeET4_jRbjT5_SX_jjP12ihipStream_tbEUlT_E2_NS1_11comp_targetILNS1_3genE10ELNS1_11target_archE1201ELNS1_3gpuE5ELNS1_3repE0EEENS1_30default_config_static_selectorELNS0_4arch9wavefront6targetE0EEEvSL_
; %bb.0:
	.section	.rodata,"a",@progbits
	.p2align	6, 0x0
	.amdhsa_kernel _ZN7rocprim17ROCPRIM_400000_NS6detail17trampoline_kernelINS0_14default_configENS1_36segmented_radix_sort_config_selectorI12hip_bfloat16lEEZNS1_25segmented_radix_sort_implIS3_Lb0EPKS5_PS5_PKlPlN2at6native12_GLOBAL__N_18offset_tEEE10hipError_tPvRmT1_PNSt15iterator_traitsISL_E10value_typeET2_T3_PNSM_ISR_E10value_typeET4_jRbjT5_SX_jjP12ihipStream_tbEUlT_E2_NS1_11comp_targetILNS1_3genE10ELNS1_11target_archE1201ELNS1_3gpuE5ELNS1_3repE0EEENS1_30default_config_static_selectorELNS0_4arch9wavefront6targetE0EEEvSL_
		.amdhsa_group_segment_fixed_size 0
		.amdhsa_private_segment_fixed_size 0
		.amdhsa_kernarg_size 80
		.amdhsa_user_sgpr_count 2
		.amdhsa_user_sgpr_dispatch_ptr 0
		.amdhsa_user_sgpr_queue_ptr 0
		.amdhsa_user_sgpr_kernarg_segment_ptr 1
		.amdhsa_user_sgpr_dispatch_id 0
		.amdhsa_user_sgpr_kernarg_preload_length 0
		.amdhsa_user_sgpr_kernarg_preload_offset 0
		.amdhsa_user_sgpr_private_segment_size 0
		.amdhsa_wavefront_size32 1
		.amdhsa_uses_dynamic_stack 0
		.amdhsa_enable_private_segment 0
		.amdhsa_system_sgpr_workgroup_id_x 1
		.amdhsa_system_sgpr_workgroup_id_y 0
		.amdhsa_system_sgpr_workgroup_id_z 0
		.amdhsa_system_sgpr_workgroup_info 0
		.amdhsa_system_vgpr_workitem_id 0
		.amdhsa_next_free_vgpr 1
		.amdhsa_next_free_sgpr 1
		.amdhsa_named_barrier_count 0
		.amdhsa_reserve_vcc 0
		.amdhsa_float_round_mode_32 0
		.amdhsa_float_round_mode_16_64 0
		.amdhsa_float_denorm_mode_32 3
		.amdhsa_float_denorm_mode_16_64 3
		.amdhsa_fp16_overflow 0
		.amdhsa_memory_ordered 1
		.amdhsa_forward_progress 1
		.amdhsa_inst_pref_size 0
		.amdhsa_round_robin_scheduling 0
		.amdhsa_exception_fp_ieee_invalid_op 0
		.amdhsa_exception_fp_denorm_src 0
		.amdhsa_exception_fp_ieee_div_zero 0
		.amdhsa_exception_fp_ieee_overflow 0
		.amdhsa_exception_fp_ieee_underflow 0
		.amdhsa_exception_fp_ieee_inexact 0
		.amdhsa_exception_int_div_zero 0
	.end_amdhsa_kernel
	.section	.text._ZN7rocprim17ROCPRIM_400000_NS6detail17trampoline_kernelINS0_14default_configENS1_36segmented_radix_sort_config_selectorI12hip_bfloat16lEEZNS1_25segmented_radix_sort_implIS3_Lb0EPKS5_PS5_PKlPlN2at6native12_GLOBAL__N_18offset_tEEE10hipError_tPvRmT1_PNSt15iterator_traitsISL_E10value_typeET2_T3_PNSM_ISR_E10value_typeET4_jRbjT5_SX_jjP12ihipStream_tbEUlT_E2_NS1_11comp_targetILNS1_3genE10ELNS1_11target_archE1201ELNS1_3gpuE5ELNS1_3repE0EEENS1_30default_config_static_selectorELNS0_4arch9wavefront6targetE0EEEvSL_,"axG",@progbits,_ZN7rocprim17ROCPRIM_400000_NS6detail17trampoline_kernelINS0_14default_configENS1_36segmented_radix_sort_config_selectorI12hip_bfloat16lEEZNS1_25segmented_radix_sort_implIS3_Lb0EPKS5_PS5_PKlPlN2at6native12_GLOBAL__N_18offset_tEEE10hipError_tPvRmT1_PNSt15iterator_traitsISL_E10value_typeET2_T3_PNSM_ISR_E10value_typeET4_jRbjT5_SX_jjP12ihipStream_tbEUlT_E2_NS1_11comp_targetILNS1_3genE10ELNS1_11target_archE1201ELNS1_3gpuE5ELNS1_3repE0EEENS1_30default_config_static_selectorELNS0_4arch9wavefront6targetE0EEEvSL_,comdat
.Lfunc_end2074:
	.size	_ZN7rocprim17ROCPRIM_400000_NS6detail17trampoline_kernelINS0_14default_configENS1_36segmented_radix_sort_config_selectorI12hip_bfloat16lEEZNS1_25segmented_radix_sort_implIS3_Lb0EPKS5_PS5_PKlPlN2at6native12_GLOBAL__N_18offset_tEEE10hipError_tPvRmT1_PNSt15iterator_traitsISL_E10value_typeET2_T3_PNSM_ISR_E10value_typeET4_jRbjT5_SX_jjP12ihipStream_tbEUlT_E2_NS1_11comp_targetILNS1_3genE10ELNS1_11target_archE1201ELNS1_3gpuE5ELNS1_3repE0EEENS1_30default_config_static_selectorELNS0_4arch9wavefront6targetE0EEEvSL_, .Lfunc_end2074-_ZN7rocprim17ROCPRIM_400000_NS6detail17trampoline_kernelINS0_14default_configENS1_36segmented_radix_sort_config_selectorI12hip_bfloat16lEEZNS1_25segmented_radix_sort_implIS3_Lb0EPKS5_PS5_PKlPlN2at6native12_GLOBAL__N_18offset_tEEE10hipError_tPvRmT1_PNSt15iterator_traitsISL_E10value_typeET2_T3_PNSM_ISR_E10value_typeET4_jRbjT5_SX_jjP12ihipStream_tbEUlT_E2_NS1_11comp_targetILNS1_3genE10ELNS1_11target_archE1201ELNS1_3gpuE5ELNS1_3repE0EEENS1_30default_config_static_selectorELNS0_4arch9wavefront6targetE0EEEvSL_
                                        ; -- End function
	.set _ZN7rocprim17ROCPRIM_400000_NS6detail17trampoline_kernelINS0_14default_configENS1_36segmented_radix_sort_config_selectorI12hip_bfloat16lEEZNS1_25segmented_radix_sort_implIS3_Lb0EPKS5_PS5_PKlPlN2at6native12_GLOBAL__N_18offset_tEEE10hipError_tPvRmT1_PNSt15iterator_traitsISL_E10value_typeET2_T3_PNSM_ISR_E10value_typeET4_jRbjT5_SX_jjP12ihipStream_tbEUlT_E2_NS1_11comp_targetILNS1_3genE10ELNS1_11target_archE1201ELNS1_3gpuE5ELNS1_3repE0EEENS1_30default_config_static_selectorELNS0_4arch9wavefront6targetE0EEEvSL_.num_vgpr, 0
	.set _ZN7rocprim17ROCPRIM_400000_NS6detail17trampoline_kernelINS0_14default_configENS1_36segmented_radix_sort_config_selectorI12hip_bfloat16lEEZNS1_25segmented_radix_sort_implIS3_Lb0EPKS5_PS5_PKlPlN2at6native12_GLOBAL__N_18offset_tEEE10hipError_tPvRmT1_PNSt15iterator_traitsISL_E10value_typeET2_T3_PNSM_ISR_E10value_typeET4_jRbjT5_SX_jjP12ihipStream_tbEUlT_E2_NS1_11comp_targetILNS1_3genE10ELNS1_11target_archE1201ELNS1_3gpuE5ELNS1_3repE0EEENS1_30default_config_static_selectorELNS0_4arch9wavefront6targetE0EEEvSL_.num_agpr, 0
	.set _ZN7rocprim17ROCPRIM_400000_NS6detail17trampoline_kernelINS0_14default_configENS1_36segmented_radix_sort_config_selectorI12hip_bfloat16lEEZNS1_25segmented_radix_sort_implIS3_Lb0EPKS5_PS5_PKlPlN2at6native12_GLOBAL__N_18offset_tEEE10hipError_tPvRmT1_PNSt15iterator_traitsISL_E10value_typeET2_T3_PNSM_ISR_E10value_typeET4_jRbjT5_SX_jjP12ihipStream_tbEUlT_E2_NS1_11comp_targetILNS1_3genE10ELNS1_11target_archE1201ELNS1_3gpuE5ELNS1_3repE0EEENS1_30default_config_static_selectorELNS0_4arch9wavefront6targetE0EEEvSL_.numbered_sgpr, 0
	.set _ZN7rocprim17ROCPRIM_400000_NS6detail17trampoline_kernelINS0_14default_configENS1_36segmented_radix_sort_config_selectorI12hip_bfloat16lEEZNS1_25segmented_radix_sort_implIS3_Lb0EPKS5_PS5_PKlPlN2at6native12_GLOBAL__N_18offset_tEEE10hipError_tPvRmT1_PNSt15iterator_traitsISL_E10value_typeET2_T3_PNSM_ISR_E10value_typeET4_jRbjT5_SX_jjP12ihipStream_tbEUlT_E2_NS1_11comp_targetILNS1_3genE10ELNS1_11target_archE1201ELNS1_3gpuE5ELNS1_3repE0EEENS1_30default_config_static_selectorELNS0_4arch9wavefront6targetE0EEEvSL_.num_named_barrier, 0
	.set _ZN7rocprim17ROCPRIM_400000_NS6detail17trampoline_kernelINS0_14default_configENS1_36segmented_radix_sort_config_selectorI12hip_bfloat16lEEZNS1_25segmented_radix_sort_implIS3_Lb0EPKS5_PS5_PKlPlN2at6native12_GLOBAL__N_18offset_tEEE10hipError_tPvRmT1_PNSt15iterator_traitsISL_E10value_typeET2_T3_PNSM_ISR_E10value_typeET4_jRbjT5_SX_jjP12ihipStream_tbEUlT_E2_NS1_11comp_targetILNS1_3genE10ELNS1_11target_archE1201ELNS1_3gpuE5ELNS1_3repE0EEENS1_30default_config_static_selectorELNS0_4arch9wavefront6targetE0EEEvSL_.private_seg_size, 0
	.set _ZN7rocprim17ROCPRIM_400000_NS6detail17trampoline_kernelINS0_14default_configENS1_36segmented_radix_sort_config_selectorI12hip_bfloat16lEEZNS1_25segmented_radix_sort_implIS3_Lb0EPKS5_PS5_PKlPlN2at6native12_GLOBAL__N_18offset_tEEE10hipError_tPvRmT1_PNSt15iterator_traitsISL_E10value_typeET2_T3_PNSM_ISR_E10value_typeET4_jRbjT5_SX_jjP12ihipStream_tbEUlT_E2_NS1_11comp_targetILNS1_3genE10ELNS1_11target_archE1201ELNS1_3gpuE5ELNS1_3repE0EEENS1_30default_config_static_selectorELNS0_4arch9wavefront6targetE0EEEvSL_.uses_vcc, 0
	.set _ZN7rocprim17ROCPRIM_400000_NS6detail17trampoline_kernelINS0_14default_configENS1_36segmented_radix_sort_config_selectorI12hip_bfloat16lEEZNS1_25segmented_radix_sort_implIS3_Lb0EPKS5_PS5_PKlPlN2at6native12_GLOBAL__N_18offset_tEEE10hipError_tPvRmT1_PNSt15iterator_traitsISL_E10value_typeET2_T3_PNSM_ISR_E10value_typeET4_jRbjT5_SX_jjP12ihipStream_tbEUlT_E2_NS1_11comp_targetILNS1_3genE10ELNS1_11target_archE1201ELNS1_3gpuE5ELNS1_3repE0EEENS1_30default_config_static_selectorELNS0_4arch9wavefront6targetE0EEEvSL_.uses_flat_scratch, 0
	.set _ZN7rocprim17ROCPRIM_400000_NS6detail17trampoline_kernelINS0_14default_configENS1_36segmented_radix_sort_config_selectorI12hip_bfloat16lEEZNS1_25segmented_radix_sort_implIS3_Lb0EPKS5_PS5_PKlPlN2at6native12_GLOBAL__N_18offset_tEEE10hipError_tPvRmT1_PNSt15iterator_traitsISL_E10value_typeET2_T3_PNSM_ISR_E10value_typeET4_jRbjT5_SX_jjP12ihipStream_tbEUlT_E2_NS1_11comp_targetILNS1_3genE10ELNS1_11target_archE1201ELNS1_3gpuE5ELNS1_3repE0EEENS1_30default_config_static_selectorELNS0_4arch9wavefront6targetE0EEEvSL_.has_dyn_sized_stack, 0
	.set _ZN7rocprim17ROCPRIM_400000_NS6detail17trampoline_kernelINS0_14default_configENS1_36segmented_radix_sort_config_selectorI12hip_bfloat16lEEZNS1_25segmented_radix_sort_implIS3_Lb0EPKS5_PS5_PKlPlN2at6native12_GLOBAL__N_18offset_tEEE10hipError_tPvRmT1_PNSt15iterator_traitsISL_E10value_typeET2_T3_PNSM_ISR_E10value_typeET4_jRbjT5_SX_jjP12ihipStream_tbEUlT_E2_NS1_11comp_targetILNS1_3genE10ELNS1_11target_archE1201ELNS1_3gpuE5ELNS1_3repE0EEENS1_30default_config_static_selectorELNS0_4arch9wavefront6targetE0EEEvSL_.has_recursion, 0
	.set _ZN7rocprim17ROCPRIM_400000_NS6detail17trampoline_kernelINS0_14default_configENS1_36segmented_radix_sort_config_selectorI12hip_bfloat16lEEZNS1_25segmented_radix_sort_implIS3_Lb0EPKS5_PS5_PKlPlN2at6native12_GLOBAL__N_18offset_tEEE10hipError_tPvRmT1_PNSt15iterator_traitsISL_E10value_typeET2_T3_PNSM_ISR_E10value_typeET4_jRbjT5_SX_jjP12ihipStream_tbEUlT_E2_NS1_11comp_targetILNS1_3genE10ELNS1_11target_archE1201ELNS1_3gpuE5ELNS1_3repE0EEENS1_30default_config_static_selectorELNS0_4arch9wavefront6targetE0EEEvSL_.has_indirect_call, 0
	.section	.AMDGPU.csdata,"",@progbits
; Kernel info:
; codeLenInByte = 0
; TotalNumSgprs: 0
; NumVgprs: 0
; ScratchSize: 0
; MemoryBound: 0
; FloatMode: 240
; IeeeMode: 1
; LDSByteSize: 0 bytes/workgroup (compile time only)
; SGPRBlocks: 0
; VGPRBlocks: 0
; NumSGPRsForWavesPerEU: 1
; NumVGPRsForWavesPerEU: 1
; NamedBarCnt: 0
; Occupancy: 16
; WaveLimiterHint : 0
; COMPUTE_PGM_RSRC2:SCRATCH_EN: 0
; COMPUTE_PGM_RSRC2:USER_SGPR: 2
; COMPUTE_PGM_RSRC2:TRAP_HANDLER: 0
; COMPUTE_PGM_RSRC2:TGID_X_EN: 1
; COMPUTE_PGM_RSRC2:TGID_Y_EN: 0
; COMPUTE_PGM_RSRC2:TGID_Z_EN: 0
; COMPUTE_PGM_RSRC2:TIDIG_COMP_CNT: 0
	.section	.text._ZN7rocprim17ROCPRIM_400000_NS6detail17trampoline_kernelINS0_14default_configENS1_36segmented_radix_sort_config_selectorI12hip_bfloat16lEEZNS1_25segmented_radix_sort_implIS3_Lb0EPKS5_PS5_PKlPlN2at6native12_GLOBAL__N_18offset_tEEE10hipError_tPvRmT1_PNSt15iterator_traitsISL_E10value_typeET2_T3_PNSM_ISR_E10value_typeET4_jRbjT5_SX_jjP12ihipStream_tbEUlT_E2_NS1_11comp_targetILNS1_3genE10ELNS1_11target_archE1200ELNS1_3gpuE4ELNS1_3repE0EEENS1_30default_config_static_selectorELNS0_4arch9wavefront6targetE0EEEvSL_,"axG",@progbits,_ZN7rocprim17ROCPRIM_400000_NS6detail17trampoline_kernelINS0_14default_configENS1_36segmented_radix_sort_config_selectorI12hip_bfloat16lEEZNS1_25segmented_radix_sort_implIS3_Lb0EPKS5_PS5_PKlPlN2at6native12_GLOBAL__N_18offset_tEEE10hipError_tPvRmT1_PNSt15iterator_traitsISL_E10value_typeET2_T3_PNSM_ISR_E10value_typeET4_jRbjT5_SX_jjP12ihipStream_tbEUlT_E2_NS1_11comp_targetILNS1_3genE10ELNS1_11target_archE1200ELNS1_3gpuE4ELNS1_3repE0EEENS1_30default_config_static_selectorELNS0_4arch9wavefront6targetE0EEEvSL_,comdat
	.globl	_ZN7rocprim17ROCPRIM_400000_NS6detail17trampoline_kernelINS0_14default_configENS1_36segmented_radix_sort_config_selectorI12hip_bfloat16lEEZNS1_25segmented_radix_sort_implIS3_Lb0EPKS5_PS5_PKlPlN2at6native12_GLOBAL__N_18offset_tEEE10hipError_tPvRmT1_PNSt15iterator_traitsISL_E10value_typeET2_T3_PNSM_ISR_E10value_typeET4_jRbjT5_SX_jjP12ihipStream_tbEUlT_E2_NS1_11comp_targetILNS1_3genE10ELNS1_11target_archE1200ELNS1_3gpuE4ELNS1_3repE0EEENS1_30default_config_static_selectorELNS0_4arch9wavefront6targetE0EEEvSL_ ; -- Begin function _ZN7rocprim17ROCPRIM_400000_NS6detail17trampoline_kernelINS0_14default_configENS1_36segmented_radix_sort_config_selectorI12hip_bfloat16lEEZNS1_25segmented_radix_sort_implIS3_Lb0EPKS5_PS5_PKlPlN2at6native12_GLOBAL__N_18offset_tEEE10hipError_tPvRmT1_PNSt15iterator_traitsISL_E10value_typeET2_T3_PNSM_ISR_E10value_typeET4_jRbjT5_SX_jjP12ihipStream_tbEUlT_E2_NS1_11comp_targetILNS1_3genE10ELNS1_11target_archE1200ELNS1_3gpuE4ELNS1_3repE0EEENS1_30default_config_static_selectorELNS0_4arch9wavefront6targetE0EEEvSL_
	.p2align	8
	.type	_ZN7rocprim17ROCPRIM_400000_NS6detail17trampoline_kernelINS0_14default_configENS1_36segmented_radix_sort_config_selectorI12hip_bfloat16lEEZNS1_25segmented_radix_sort_implIS3_Lb0EPKS5_PS5_PKlPlN2at6native12_GLOBAL__N_18offset_tEEE10hipError_tPvRmT1_PNSt15iterator_traitsISL_E10value_typeET2_T3_PNSM_ISR_E10value_typeET4_jRbjT5_SX_jjP12ihipStream_tbEUlT_E2_NS1_11comp_targetILNS1_3genE10ELNS1_11target_archE1200ELNS1_3gpuE4ELNS1_3repE0EEENS1_30default_config_static_selectorELNS0_4arch9wavefront6targetE0EEEvSL_,@function
_ZN7rocprim17ROCPRIM_400000_NS6detail17trampoline_kernelINS0_14default_configENS1_36segmented_radix_sort_config_selectorI12hip_bfloat16lEEZNS1_25segmented_radix_sort_implIS3_Lb0EPKS5_PS5_PKlPlN2at6native12_GLOBAL__N_18offset_tEEE10hipError_tPvRmT1_PNSt15iterator_traitsISL_E10value_typeET2_T3_PNSM_ISR_E10value_typeET4_jRbjT5_SX_jjP12ihipStream_tbEUlT_E2_NS1_11comp_targetILNS1_3genE10ELNS1_11target_archE1200ELNS1_3gpuE4ELNS1_3repE0EEENS1_30default_config_static_selectorELNS0_4arch9wavefront6targetE0EEEvSL_: ; @_ZN7rocprim17ROCPRIM_400000_NS6detail17trampoline_kernelINS0_14default_configENS1_36segmented_radix_sort_config_selectorI12hip_bfloat16lEEZNS1_25segmented_radix_sort_implIS3_Lb0EPKS5_PS5_PKlPlN2at6native12_GLOBAL__N_18offset_tEEE10hipError_tPvRmT1_PNSt15iterator_traitsISL_E10value_typeET2_T3_PNSM_ISR_E10value_typeET4_jRbjT5_SX_jjP12ihipStream_tbEUlT_E2_NS1_11comp_targetILNS1_3genE10ELNS1_11target_archE1200ELNS1_3gpuE4ELNS1_3repE0EEENS1_30default_config_static_selectorELNS0_4arch9wavefront6targetE0EEEvSL_
; %bb.0:
	.section	.rodata,"a",@progbits
	.p2align	6, 0x0
	.amdhsa_kernel _ZN7rocprim17ROCPRIM_400000_NS6detail17trampoline_kernelINS0_14default_configENS1_36segmented_radix_sort_config_selectorI12hip_bfloat16lEEZNS1_25segmented_radix_sort_implIS3_Lb0EPKS5_PS5_PKlPlN2at6native12_GLOBAL__N_18offset_tEEE10hipError_tPvRmT1_PNSt15iterator_traitsISL_E10value_typeET2_T3_PNSM_ISR_E10value_typeET4_jRbjT5_SX_jjP12ihipStream_tbEUlT_E2_NS1_11comp_targetILNS1_3genE10ELNS1_11target_archE1200ELNS1_3gpuE4ELNS1_3repE0EEENS1_30default_config_static_selectorELNS0_4arch9wavefront6targetE0EEEvSL_
		.amdhsa_group_segment_fixed_size 0
		.amdhsa_private_segment_fixed_size 0
		.amdhsa_kernarg_size 80
		.amdhsa_user_sgpr_count 2
		.amdhsa_user_sgpr_dispatch_ptr 0
		.amdhsa_user_sgpr_queue_ptr 0
		.amdhsa_user_sgpr_kernarg_segment_ptr 1
		.amdhsa_user_sgpr_dispatch_id 0
		.amdhsa_user_sgpr_kernarg_preload_length 0
		.amdhsa_user_sgpr_kernarg_preload_offset 0
		.amdhsa_user_sgpr_private_segment_size 0
		.amdhsa_wavefront_size32 1
		.amdhsa_uses_dynamic_stack 0
		.amdhsa_enable_private_segment 0
		.amdhsa_system_sgpr_workgroup_id_x 1
		.amdhsa_system_sgpr_workgroup_id_y 0
		.amdhsa_system_sgpr_workgroup_id_z 0
		.amdhsa_system_sgpr_workgroup_info 0
		.amdhsa_system_vgpr_workitem_id 0
		.amdhsa_next_free_vgpr 1
		.amdhsa_next_free_sgpr 1
		.amdhsa_named_barrier_count 0
		.amdhsa_reserve_vcc 0
		.amdhsa_float_round_mode_32 0
		.amdhsa_float_round_mode_16_64 0
		.amdhsa_float_denorm_mode_32 3
		.amdhsa_float_denorm_mode_16_64 3
		.amdhsa_fp16_overflow 0
		.amdhsa_memory_ordered 1
		.amdhsa_forward_progress 1
		.amdhsa_inst_pref_size 0
		.amdhsa_round_robin_scheduling 0
		.amdhsa_exception_fp_ieee_invalid_op 0
		.amdhsa_exception_fp_denorm_src 0
		.amdhsa_exception_fp_ieee_div_zero 0
		.amdhsa_exception_fp_ieee_overflow 0
		.amdhsa_exception_fp_ieee_underflow 0
		.amdhsa_exception_fp_ieee_inexact 0
		.amdhsa_exception_int_div_zero 0
	.end_amdhsa_kernel
	.section	.text._ZN7rocprim17ROCPRIM_400000_NS6detail17trampoline_kernelINS0_14default_configENS1_36segmented_radix_sort_config_selectorI12hip_bfloat16lEEZNS1_25segmented_radix_sort_implIS3_Lb0EPKS5_PS5_PKlPlN2at6native12_GLOBAL__N_18offset_tEEE10hipError_tPvRmT1_PNSt15iterator_traitsISL_E10value_typeET2_T3_PNSM_ISR_E10value_typeET4_jRbjT5_SX_jjP12ihipStream_tbEUlT_E2_NS1_11comp_targetILNS1_3genE10ELNS1_11target_archE1200ELNS1_3gpuE4ELNS1_3repE0EEENS1_30default_config_static_selectorELNS0_4arch9wavefront6targetE0EEEvSL_,"axG",@progbits,_ZN7rocprim17ROCPRIM_400000_NS6detail17trampoline_kernelINS0_14default_configENS1_36segmented_radix_sort_config_selectorI12hip_bfloat16lEEZNS1_25segmented_radix_sort_implIS3_Lb0EPKS5_PS5_PKlPlN2at6native12_GLOBAL__N_18offset_tEEE10hipError_tPvRmT1_PNSt15iterator_traitsISL_E10value_typeET2_T3_PNSM_ISR_E10value_typeET4_jRbjT5_SX_jjP12ihipStream_tbEUlT_E2_NS1_11comp_targetILNS1_3genE10ELNS1_11target_archE1200ELNS1_3gpuE4ELNS1_3repE0EEENS1_30default_config_static_selectorELNS0_4arch9wavefront6targetE0EEEvSL_,comdat
.Lfunc_end2075:
	.size	_ZN7rocprim17ROCPRIM_400000_NS6detail17trampoline_kernelINS0_14default_configENS1_36segmented_radix_sort_config_selectorI12hip_bfloat16lEEZNS1_25segmented_radix_sort_implIS3_Lb0EPKS5_PS5_PKlPlN2at6native12_GLOBAL__N_18offset_tEEE10hipError_tPvRmT1_PNSt15iterator_traitsISL_E10value_typeET2_T3_PNSM_ISR_E10value_typeET4_jRbjT5_SX_jjP12ihipStream_tbEUlT_E2_NS1_11comp_targetILNS1_3genE10ELNS1_11target_archE1200ELNS1_3gpuE4ELNS1_3repE0EEENS1_30default_config_static_selectorELNS0_4arch9wavefront6targetE0EEEvSL_, .Lfunc_end2075-_ZN7rocprim17ROCPRIM_400000_NS6detail17trampoline_kernelINS0_14default_configENS1_36segmented_radix_sort_config_selectorI12hip_bfloat16lEEZNS1_25segmented_radix_sort_implIS3_Lb0EPKS5_PS5_PKlPlN2at6native12_GLOBAL__N_18offset_tEEE10hipError_tPvRmT1_PNSt15iterator_traitsISL_E10value_typeET2_T3_PNSM_ISR_E10value_typeET4_jRbjT5_SX_jjP12ihipStream_tbEUlT_E2_NS1_11comp_targetILNS1_3genE10ELNS1_11target_archE1200ELNS1_3gpuE4ELNS1_3repE0EEENS1_30default_config_static_selectorELNS0_4arch9wavefront6targetE0EEEvSL_
                                        ; -- End function
	.set _ZN7rocprim17ROCPRIM_400000_NS6detail17trampoline_kernelINS0_14default_configENS1_36segmented_radix_sort_config_selectorI12hip_bfloat16lEEZNS1_25segmented_radix_sort_implIS3_Lb0EPKS5_PS5_PKlPlN2at6native12_GLOBAL__N_18offset_tEEE10hipError_tPvRmT1_PNSt15iterator_traitsISL_E10value_typeET2_T3_PNSM_ISR_E10value_typeET4_jRbjT5_SX_jjP12ihipStream_tbEUlT_E2_NS1_11comp_targetILNS1_3genE10ELNS1_11target_archE1200ELNS1_3gpuE4ELNS1_3repE0EEENS1_30default_config_static_selectorELNS0_4arch9wavefront6targetE0EEEvSL_.num_vgpr, 0
	.set _ZN7rocprim17ROCPRIM_400000_NS6detail17trampoline_kernelINS0_14default_configENS1_36segmented_radix_sort_config_selectorI12hip_bfloat16lEEZNS1_25segmented_radix_sort_implIS3_Lb0EPKS5_PS5_PKlPlN2at6native12_GLOBAL__N_18offset_tEEE10hipError_tPvRmT1_PNSt15iterator_traitsISL_E10value_typeET2_T3_PNSM_ISR_E10value_typeET4_jRbjT5_SX_jjP12ihipStream_tbEUlT_E2_NS1_11comp_targetILNS1_3genE10ELNS1_11target_archE1200ELNS1_3gpuE4ELNS1_3repE0EEENS1_30default_config_static_selectorELNS0_4arch9wavefront6targetE0EEEvSL_.num_agpr, 0
	.set _ZN7rocprim17ROCPRIM_400000_NS6detail17trampoline_kernelINS0_14default_configENS1_36segmented_radix_sort_config_selectorI12hip_bfloat16lEEZNS1_25segmented_radix_sort_implIS3_Lb0EPKS5_PS5_PKlPlN2at6native12_GLOBAL__N_18offset_tEEE10hipError_tPvRmT1_PNSt15iterator_traitsISL_E10value_typeET2_T3_PNSM_ISR_E10value_typeET4_jRbjT5_SX_jjP12ihipStream_tbEUlT_E2_NS1_11comp_targetILNS1_3genE10ELNS1_11target_archE1200ELNS1_3gpuE4ELNS1_3repE0EEENS1_30default_config_static_selectorELNS0_4arch9wavefront6targetE0EEEvSL_.numbered_sgpr, 0
	.set _ZN7rocprim17ROCPRIM_400000_NS6detail17trampoline_kernelINS0_14default_configENS1_36segmented_radix_sort_config_selectorI12hip_bfloat16lEEZNS1_25segmented_radix_sort_implIS3_Lb0EPKS5_PS5_PKlPlN2at6native12_GLOBAL__N_18offset_tEEE10hipError_tPvRmT1_PNSt15iterator_traitsISL_E10value_typeET2_T3_PNSM_ISR_E10value_typeET4_jRbjT5_SX_jjP12ihipStream_tbEUlT_E2_NS1_11comp_targetILNS1_3genE10ELNS1_11target_archE1200ELNS1_3gpuE4ELNS1_3repE0EEENS1_30default_config_static_selectorELNS0_4arch9wavefront6targetE0EEEvSL_.num_named_barrier, 0
	.set _ZN7rocprim17ROCPRIM_400000_NS6detail17trampoline_kernelINS0_14default_configENS1_36segmented_radix_sort_config_selectorI12hip_bfloat16lEEZNS1_25segmented_radix_sort_implIS3_Lb0EPKS5_PS5_PKlPlN2at6native12_GLOBAL__N_18offset_tEEE10hipError_tPvRmT1_PNSt15iterator_traitsISL_E10value_typeET2_T3_PNSM_ISR_E10value_typeET4_jRbjT5_SX_jjP12ihipStream_tbEUlT_E2_NS1_11comp_targetILNS1_3genE10ELNS1_11target_archE1200ELNS1_3gpuE4ELNS1_3repE0EEENS1_30default_config_static_selectorELNS0_4arch9wavefront6targetE0EEEvSL_.private_seg_size, 0
	.set _ZN7rocprim17ROCPRIM_400000_NS6detail17trampoline_kernelINS0_14default_configENS1_36segmented_radix_sort_config_selectorI12hip_bfloat16lEEZNS1_25segmented_radix_sort_implIS3_Lb0EPKS5_PS5_PKlPlN2at6native12_GLOBAL__N_18offset_tEEE10hipError_tPvRmT1_PNSt15iterator_traitsISL_E10value_typeET2_T3_PNSM_ISR_E10value_typeET4_jRbjT5_SX_jjP12ihipStream_tbEUlT_E2_NS1_11comp_targetILNS1_3genE10ELNS1_11target_archE1200ELNS1_3gpuE4ELNS1_3repE0EEENS1_30default_config_static_selectorELNS0_4arch9wavefront6targetE0EEEvSL_.uses_vcc, 0
	.set _ZN7rocprim17ROCPRIM_400000_NS6detail17trampoline_kernelINS0_14default_configENS1_36segmented_radix_sort_config_selectorI12hip_bfloat16lEEZNS1_25segmented_radix_sort_implIS3_Lb0EPKS5_PS5_PKlPlN2at6native12_GLOBAL__N_18offset_tEEE10hipError_tPvRmT1_PNSt15iterator_traitsISL_E10value_typeET2_T3_PNSM_ISR_E10value_typeET4_jRbjT5_SX_jjP12ihipStream_tbEUlT_E2_NS1_11comp_targetILNS1_3genE10ELNS1_11target_archE1200ELNS1_3gpuE4ELNS1_3repE0EEENS1_30default_config_static_selectorELNS0_4arch9wavefront6targetE0EEEvSL_.uses_flat_scratch, 0
	.set _ZN7rocprim17ROCPRIM_400000_NS6detail17trampoline_kernelINS0_14default_configENS1_36segmented_radix_sort_config_selectorI12hip_bfloat16lEEZNS1_25segmented_radix_sort_implIS3_Lb0EPKS5_PS5_PKlPlN2at6native12_GLOBAL__N_18offset_tEEE10hipError_tPvRmT1_PNSt15iterator_traitsISL_E10value_typeET2_T3_PNSM_ISR_E10value_typeET4_jRbjT5_SX_jjP12ihipStream_tbEUlT_E2_NS1_11comp_targetILNS1_3genE10ELNS1_11target_archE1200ELNS1_3gpuE4ELNS1_3repE0EEENS1_30default_config_static_selectorELNS0_4arch9wavefront6targetE0EEEvSL_.has_dyn_sized_stack, 0
	.set _ZN7rocprim17ROCPRIM_400000_NS6detail17trampoline_kernelINS0_14default_configENS1_36segmented_radix_sort_config_selectorI12hip_bfloat16lEEZNS1_25segmented_radix_sort_implIS3_Lb0EPKS5_PS5_PKlPlN2at6native12_GLOBAL__N_18offset_tEEE10hipError_tPvRmT1_PNSt15iterator_traitsISL_E10value_typeET2_T3_PNSM_ISR_E10value_typeET4_jRbjT5_SX_jjP12ihipStream_tbEUlT_E2_NS1_11comp_targetILNS1_3genE10ELNS1_11target_archE1200ELNS1_3gpuE4ELNS1_3repE0EEENS1_30default_config_static_selectorELNS0_4arch9wavefront6targetE0EEEvSL_.has_recursion, 0
	.set _ZN7rocprim17ROCPRIM_400000_NS6detail17trampoline_kernelINS0_14default_configENS1_36segmented_radix_sort_config_selectorI12hip_bfloat16lEEZNS1_25segmented_radix_sort_implIS3_Lb0EPKS5_PS5_PKlPlN2at6native12_GLOBAL__N_18offset_tEEE10hipError_tPvRmT1_PNSt15iterator_traitsISL_E10value_typeET2_T3_PNSM_ISR_E10value_typeET4_jRbjT5_SX_jjP12ihipStream_tbEUlT_E2_NS1_11comp_targetILNS1_3genE10ELNS1_11target_archE1200ELNS1_3gpuE4ELNS1_3repE0EEENS1_30default_config_static_selectorELNS0_4arch9wavefront6targetE0EEEvSL_.has_indirect_call, 0
	.section	.AMDGPU.csdata,"",@progbits
; Kernel info:
; codeLenInByte = 0
; TotalNumSgprs: 0
; NumVgprs: 0
; ScratchSize: 0
; MemoryBound: 0
; FloatMode: 240
; IeeeMode: 1
; LDSByteSize: 0 bytes/workgroup (compile time only)
; SGPRBlocks: 0
; VGPRBlocks: 0
; NumSGPRsForWavesPerEU: 1
; NumVGPRsForWavesPerEU: 1
; NamedBarCnt: 0
; Occupancy: 16
; WaveLimiterHint : 0
; COMPUTE_PGM_RSRC2:SCRATCH_EN: 0
; COMPUTE_PGM_RSRC2:USER_SGPR: 2
; COMPUTE_PGM_RSRC2:TRAP_HANDLER: 0
; COMPUTE_PGM_RSRC2:TGID_X_EN: 1
; COMPUTE_PGM_RSRC2:TGID_Y_EN: 0
; COMPUTE_PGM_RSRC2:TGID_Z_EN: 0
; COMPUTE_PGM_RSRC2:TIDIG_COMP_CNT: 0
	.section	.text._ZN7rocprim17ROCPRIM_400000_NS6detail17trampoline_kernelINS0_14default_configENS1_36segmented_radix_sort_config_selectorI12hip_bfloat16lEEZNS1_25segmented_radix_sort_implIS3_Lb0EPKS5_PS5_PKlPlN2at6native12_GLOBAL__N_18offset_tEEE10hipError_tPvRmT1_PNSt15iterator_traitsISL_E10value_typeET2_T3_PNSM_ISR_E10value_typeET4_jRbjT5_SX_jjP12ihipStream_tbEUlT_E2_NS1_11comp_targetILNS1_3genE9ELNS1_11target_archE1100ELNS1_3gpuE3ELNS1_3repE0EEENS1_30default_config_static_selectorELNS0_4arch9wavefront6targetE0EEEvSL_,"axG",@progbits,_ZN7rocprim17ROCPRIM_400000_NS6detail17trampoline_kernelINS0_14default_configENS1_36segmented_radix_sort_config_selectorI12hip_bfloat16lEEZNS1_25segmented_radix_sort_implIS3_Lb0EPKS5_PS5_PKlPlN2at6native12_GLOBAL__N_18offset_tEEE10hipError_tPvRmT1_PNSt15iterator_traitsISL_E10value_typeET2_T3_PNSM_ISR_E10value_typeET4_jRbjT5_SX_jjP12ihipStream_tbEUlT_E2_NS1_11comp_targetILNS1_3genE9ELNS1_11target_archE1100ELNS1_3gpuE3ELNS1_3repE0EEENS1_30default_config_static_selectorELNS0_4arch9wavefront6targetE0EEEvSL_,comdat
	.globl	_ZN7rocprim17ROCPRIM_400000_NS6detail17trampoline_kernelINS0_14default_configENS1_36segmented_radix_sort_config_selectorI12hip_bfloat16lEEZNS1_25segmented_radix_sort_implIS3_Lb0EPKS5_PS5_PKlPlN2at6native12_GLOBAL__N_18offset_tEEE10hipError_tPvRmT1_PNSt15iterator_traitsISL_E10value_typeET2_T3_PNSM_ISR_E10value_typeET4_jRbjT5_SX_jjP12ihipStream_tbEUlT_E2_NS1_11comp_targetILNS1_3genE9ELNS1_11target_archE1100ELNS1_3gpuE3ELNS1_3repE0EEENS1_30default_config_static_selectorELNS0_4arch9wavefront6targetE0EEEvSL_ ; -- Begin function _ZN7rocprim17ROCPRIM_400000_NS6detail17trampoline_kernelINS0_14default_configENS1_36segmented_radix_sort_config_selectorI12hip_bfloat16lEEZNS1_25segmented_radix_sort_implIS3_Lb0EPKS5_PS5_PKlPlN2at6native12_GLOBAL__N_18offset_tEEE10hipError_tPvRmT1_PNSt15iterator_traitsISL_E10value_typeET2_T3_PNSM_ISR_E10value_typeET4_jRbjT5_SX_jjP12ihipStream_tbEUlT_E2_NS1_11comp_targetILNS1_3genE9ELNS1_11target_archE1100ELNS1_3gpuE3ELNS1_3repE0EEENS1_30default_config_static_selectorELNS0_4arch9wavefront6targetE0EEEvSL_
	.p2align	8
	.type	_ZN7rocprim17ROCPRIM_400000_NS6detail17trampoline_kernelINS0_14default_configENS1_36segmented_radix_sort_config_selectorI12hip_bfloat16lEEZNS1_25segmented_radix_sort_implIS3_Lb0EPKS5_PS5_PKlPlN2at6native12_GLOBAL__N_18offset_tEEE10hipError_tPvRmT1_PNSt15iterator_traitsISL_E10value_typeET2_T3_PNSM_ISR_E10value_typeET4_jRbjT5_SX_jjP12ihipStream_tbEUlT_E2_NS1_11comp_targetILNS1_3genE9ELNS1_11target_archE1100ELNS1_3gpuE3ELNS1_3repE0EEENS1_30default_config_static_selectorELNS0_4arch9wavefront6targetE0EEEvSL_,@function
_ZN7rocprim17ROCPRIM_400000_NS6detail17trampoline_kernelINS0_14default_configENS1_36segmented_radix_sort_config_selectorI12hip_bfloat16lEEZNS1_25segmented_radix_sort_implIS3_Lb0EPKS5_PS5_PKlPlN2at6native12_GLOBAL__N_18offset_tEEE10hipError_tPvRmT1_PNSt15iterator_traitsISL_E10value_typeET2_T3_PNSM_ISR_E10value_typeET4_jRbjT5_SX_jjP12ihipStream_tbEUlT_E2_NS1_11comp_targetILNS1_3genE9ELNS1_11target_archE1100ELNS1_3gpuE3ELNS1_3repE0EEENS1_30default_config_static_selectorELNS0_4arch9wavefront6targetE0EEEvSL_: ; @_ZN7rocprim17ROCPRIM_400000_NS6detail17trampoline_kernelINS0_14default_configENS1_36segmented_radix_sort_config_selectorI12hip_bfloat16lEEZNS1_25segmented_radix_sort_implIS3_Lb0EPKS5_PS5_PKlPlN2at6native12_GLOBAL__N_18offset_tEEE10hipError_tPvRmT1_PNSt15iterator_traitsISL_E10value_typeET2_T3_PNSM_ISR_E10value_typeET4_jRbjT5_SX_jjP12ihipStream_tbEUlT_E2_NS1_11comp_targetILNS1_3genE9ELNS1_11target_archE1100ELNS1_3gpuE3ELNS1_3repE0EEENS1_30default_config_static_selectorELNS0_4arch9wavefront6targetE0EEEvSL_
; %bb.0:
	.section	.rodata,"a",@progbits
	.p2align	6, 0x0
	.amdhsa_kernel _ZN7rocprim17ROCPRIM_400000_NS6detail17trampoline_kernelINS0_14default_configENS1_36segmented_radix_sort_config_selectorI12hip_bfloat16lEEZNS1_25segmented_radix_sort_implIS3_Lb0EPKS5_PS5_PKlPlN2at6native12_GLOBAL__N_18offset_tEEE10hipError_tPvRmT1_PNSt15iterator_traitsISL_E10value_typeET2_T3_PNSM_ISR_E10value_typeET4_jRbjT5_SX_jjP12ihipStream_tbEUlT_E2_NS1_11comp_targetILNS1_3genE9ELNS1_11target_archE1100ELNS1_3gpuE3ELNS1_3repE0EEENS1_30default_config_static_selectorELNS0_4arch9wavefront6targetE0EEEvSL_
		.amdhsa_group_segment_fixed_size 0
		.amdhsa_private_segment_fixed_size 0
		.amdhsa_kernarg_size 80
		.amdhsa_user_sgpr_count 2
		.amdhsa_user_sgpr_dispatch_ptr 0
		.amdhsa_user_sgpr_queue_ptr 0
		.amdhsa_user_sgpr_kernarg_segment_ptr 1
		.amdhsa_user_sgpr_dispatch_id 0
		.amdhsa_user_sgpr_kernarg_preload_length 0
		.amdhsa_user_sgpr_kernarg_preload_offset 0
		.amdhsa_user_sgpr_private_segment_size 0
		.amdhsa_wavefront_size32 1
		.amdhsa_uses_dynamic_stack 0
		.amdhsa_enable_private_segment 0
		.amdhsa_system_sgpr_workgroup_id_x 1
		.amdhsa_system_sgpr_workgroup_id_y 0
		.amdhsa_system_sgpr_workgroup_id_z 0
		.amdhsa_system_sgpr_workgroup_info 0
		.amdhsa_system_vgpr_workitem_id 0
		.amdhsa_next_free_vgpr 1
		.amdhsa_next_free_sgpr 1
		.amdhsa_named_barrier_count 0
		.amdhsa_reserve_vcc 0
		.amdhsa_float_round_mode_32 0
		.amdhsa_float_round_mode_16_64 0
		.amdhsa_float_denorm_mode_32 3
		.amdhsa_float_denorm_mode_16_64 3
		.amdhsa_fp16_overflow 0
		.amdhsa_memory_ordered 1
		.amdhsa_forward_progress 1
		.amdhsa_inst_pref_size 0
		.amdhsa_round_robin_scheduling 0
		.amdhsa_exception_fp_ieee_invalid_op 0
		.amdhsa_exception_fp_denorm_src 0
		.amdhsa_exception_fp_ieee_div_zero 0
		.amdhsa_exception_fp_ieee_overflow 0
		.amdhsa_exception_fp_ieee_underflow 0
		.amdhsa_exception_fp_ieee_inexact 0
		.amdhsa_exception_int_div_zero 0
	.end_amdhsa_kernel
	.section	.text._ZN7rocprim17ROCPRIM_400000_NS6detail17trampoline_kernelINS0_14default_configENS1_36segmented_radix_sort_config_selectorI12hip_bfloat16lEEZNS1_25segmented_radix_sort_implIS3_Lb0EPKS5_PS5_PKlPlN2at6native12_GLOBAL__N_18offset_tEEE10hipError_tPvRmT1_PNSt15iterator_traitsISL_E10value_typeET2_T3_PNSM_ISR_E10value_typeET4_jRbjT5_SX_jjP12ihipStream_tbEUlT_E2_NS1_11comp_targetILNS1_3genE9ELNS1_11target_archE1100ELNS1_3gpuE3ELNS1_3repE0EEENS1_30default_config_static_selectorELNS0_4arch9wavefront6targetE0EEEvSL_,"axG",@progbits,_ZN7rocprim17ROCPRIM_400000_NS6detail17trampoline_kernelINS0_14default_configENS1_36segmented_radix_sort_config_selectorI12hip_bfloat16lEEZNS1_25segmented_radix_sort_implIS3_Lb0EPKS5_PS5_PKlPlN2at6native12_GLOBAL__N_18offset_tEEE10hipError_tPvRmT1_PNSt15iterator_traitsISL_E10value_typeET2_T3_PNSM_ISR_E10value_typeET4_jRbjT5_SX_jjP12ihipStream_tbEUlT_E2_NS1_11comp_targetILNS1_3genE9ELNS1_11target_archE1100ELNS1_3gpuE3ELNS1_3repE0EEENS1_30default_config_static_selectorELNS0_4arch9wavefront6targetE0EEEvSL_,comdat
.Lfunc_end2076:
	.size	_ZN7rocprim17ROCPRIM_400000_NS6detail17trampoline_kernelINS0_14default_configENS1_36segmented_radix_sort_config_selectorI12hip_bfloat16lEEZNS1_25segmented_radix_sort_implIS3_Lb0EPKS5_PS5_PKlPlN2at6native12_GLOBAL__N_18offset_tEEE10hipError_tPvRmT1_PNSt15iterator_traitsISL_E10value_typeET2_T3_PNSM_ISR_E10value_typeET4_jRbjT5_SX_jjP12ihipStream_tbEUlT_E2_NS1_11comp_targetILNS1_3genE9ELNS1_11target_archE1100ELNS1_3gpuE3ELNS1_3repE0EEENS1_30default_config_static_selectorELNS0_4arch9wavefront6targetE0EEEvSL_, .Lfunc_end2076-_ZN7rocprim17ROCPRIM_400000_NS6detail17trampoline_kernelINS0_14default_configENS1_36segmented_radix_sort_config_selectorI12hip_bfloat16lEEZNS1_25segmented_radix_sort_implIS3_Lb0EPKS5_PS5_PKlPlN2at6native12_GLOBAL__N_18offset_tEEE10hipError_tPvRmT1_PNSt15iterator_traitsISL_E10value_typeET2_T3_PNSM_ISR_E10value_typeET4_jRbjT5_SX_jjP12ihipStream_tbEUlT_E2_NS1_11comp_targetILNS1_3genE9ELNS1_11target_archE1100ELNS1_3gpuE3ELNS1_3repE0EEENS1_30default_config_static_selectorELNS0_4arch9wavefront6targetE0EEEvSL_
                                        ; -- End function
	.set _ZN7rocprim17ROCPRIM_400000_NS6detail17trampoline_kernelINS0_14default_configENS1_36segmented_radix_sort_config_selectorI12hip_bfloat16lEEZNS1_25segmented_radix_sort_implIS3_Lb0EPKS5_PS5_PKlPlN2at6native12_GLOBAL__N_18offset_tEEE10hipError_tPvRmT1_PNSt15iterator_traitsISL_E10value_typeET2_T3_PNSM_ISR_E10value_typeET4_jRbjT5_SX_jjP12ihipStream_tbEUlT_E2_NS1_11comp_targetILNS1_3genE9ELNS1_11target_archE1100ELNS1_3gpuE3ELNS1_3repE0EEENS1_30default_config_static_selectorELNS0_4arch9wavefront6targetE0EEEvSL_.num_vgpr, 0
	.set _ZN7rocprim17ROCPRIM_400000_NS6detail17trampoline_kernelINS0_14default_configENS1_36segmented_radix_sort_config_selectorI12hip_bfloat16lEEZNS1_25segmented_radix_sort_implIS3_Lb0EPKS5_PS5_PKlPlN2at6native12_GLOBAL__N_18offset_tEEE10hipError_tPvRmT1_PNSt15iterator_traitsISL_E10value_typeET2_T3_PNSM_ISR_E10value_typeET4_jRbjT5_SX_jjP12ihipStream_tbEUlT_E2_NS1_11comp_targetILNS1_3genE9ELNS1_11target_archE1100ELNS1_3gpuE3ELNS1_3repE0EEENS1_30default_config_static_selectorELNS0_4arch9wavefront6targetE0EEEvSL_.num_agpr, 0
	.set _ZN7rocprim17ROCPRIM_400000_NS6detail17trampoline_kernelINS0_14default_configENS1_36segmented_radix_sort_config_selectorI12hip_bfloat16lEEZNS1_25segmented_radix_sort_implIS3_Lb0EPKS5_PS5_PKlPlN2at6native12_GLOBAL__N_18offset_tEEE10hipError_tPvRmT1_PNSt15iterator_traitsISL_E10value_typeET2_T3_PNSM_ISR_E10value_typeET4_jRbjT5_SX_jjP12ihipStream_tbEUlT_E2_NS1_11comp_targetILNS1_3genE9ELNS1_11target_archE1100ELNS1_3gpuE3ELNS1_3repE0EEENS1_30default_config_static_selectorELNS0_4arch9wavefront6targetE0EEEvSL_.numbered_sgpr, 0
	.set _ZN7rocprim17ROCPRIM_400000_NS6detail17trampoline_kernelINS0_14default_configENS1_36segmented_radix_sort_config_selectorI12hip_bfloat16lEEZNS1_25segmented_radix_sort_implIS3_Lb0EPKS5_PS5_PKlPlN2at6native12_GLOBAL__N_18offset_tEEE10hipError_tPvRmT1_PNSt15iterator_traitsISL_E10value_typeET2_T3_PNSM_ISR_E10value_typeET4_jRbjT5_SX_jjP12ihipStream_tbEUlT_E2_NS1_11comp_targetILNS1_3genE9ELNS1_11target_archE1100ELNS1_3gpuE3ELNS1_3repE0EEENS1_30default_config_static_selectorELNS0_4arch9wavefront6targetE0EEEvSL_.num_named_barrier, 0
	.set _ZN7rocprim17ROCPRIM_400000_NS6detail17trampoline_kernelINS0_14default_configENS1_36segmented_radix_sort_config_selectorI12hip_bfloat16lEEZNS1_25segmented_radix_sort_implIS3_Lb0EPKS5_PS5_PKlPlN2at6native12_GLOBAL__N_18offset_tEEE10hipError_tPvRmT1_PNSt15iterator_traitsISL_E10value_typeET2_T3_PNSM_ISR_E10value_typeET4_jRbjT5_SX_jjP12ihipStream_tbEUlT_E2_NS1_11comp_targetILNS1_3genE9ELNS1_11target_archE1100ELNS1_3gpuE3ELNS1_3repE0EEENS1_30default_config_static_selectorELNS0_4arch9wavefront6targetE0EEEvSL_.private_seg_size, 0
	.set _ZN7rocprim17ROCPRIM_400000_NS6detail17trampoline_kernelINS0_14default_configENS1_36segmented_radix_sort_config_selectorI12hip_bfloat16lEEZNS1_25segmented_radix_sort_implIS3_Lb0EPKS5_PS5_PKlPlN2at6native12_GLOBAL__N_18offset_tEEE10hipError_tPvRmT1_PNSt15iterator_traitsISL_E10value_typeET2_T3_PNSM_ISR_E10value_typeET4_jRbjT5_SX_jjP12ihipStream_tbEUlT_E2_NS1_11comp_targetILNS1_3genE9ELNS1_11target_archE1100ELNS1_3gpuE3ELNS1_3repE0EEENS1_30default_config_static_selectorELNS0_4arch9wavefront6targetE0EEEvSL_.uses_vcc, 0
	.set _ZN7rocprim17ROCPRIM_400000_NS6detail17trampoline_kernelINS0_14default_configENS1_36segmented_radix_sort_config_selectorI12hip_bfloat16lEEZNS1_25segmented_radix_sort_implIS3_Lb0EPKS5_PS5_PKlPlN2at6native12_GLOBAL__N_18offset_tEEE10hipError_tPvRmT1_PNSt15iterator_traitsISL_E10value_typeET2_T3_PNSM_ISR_E10value_typeET4_jRbjT5_SX_jjP12ihipStream_tbEUlT_E2_NS1_11comp_targetILNS1_3genE9ELNS1_11target_archE1100ELNS1_3gpuE3ELNS1_3repE0EEENS1_30default_config_static_selectorELNS0_4arch9wavefront6targetE0EEEvSL_.uses_flat_scratch, 0
	.set _ZN7rocprim17ROCPRIM_400000_NS6detail17trampoline_kernelINS0_14default_configENS1_36segmented_radix_sort_config_selectorI12hip_bfloat16lEEZNS1_25segmented_radix_sort_implIS3_Lb0EPKS5_PS5_PKlPlN2at6native12_GLOBAL__N_18offset_tEEE10hipError_tPvRmT1_PNSt15iterator_traitsISL_E10value_typeET2_T3_PNSM_ISR_E10value_typeET4_jRbjT5_SX_jjP12ihipStream_tbEUlT_E2_NS1_11comp_targetILNS1_3genE9ELNS1_11target_archE1100ELNS1_3gpuE3ELNS1_3repE0EEENS1_30default_config_static_selectorELNS0_4arch9wavefront6targetE0EEEvSL_.has_dyn_sized_stack, 0
	.set _ZN7rocprim17ROCPRIM_400000_NS6detail17trampoline_kernelINS0_14default_configENS1_36segmented_radix_sort_config_selectorI12hip_bfloat16lEEZNS1_25segmented_radix_sort_implIS3_Lb0EPKS5_PS5_PKlPlN2at6native12_GLOBAL__N_18offset_tEEE10hipError_tPvRmT1_PNSt15iterator_traitsISL_E10value_typeET2_T3_PNSM_ISR_E10value_typeET4_jRbjT5_SX_jjP12ihipStream_tbEUlT_E2_NS1_11comp_targetILNS1_3genE9ELNS1_11target_archE1100ELNS1_3gpuE3ELNS1_3repE0EEENS1_30default_config_static_selectorELNS0_4arch9wavefront6targetE0EEEvSL_.has_recursion, 0
	.set _ZN7rocprim17ROCPRIM_400000_NS6detail17trampoline_kernelINS0_14default_configENS1_36segmented_radix_sort_config_selectorI12hip_bfloat16lEEZNS1_25segmented_radix_sort_implIS3_Lb0EPKS5_PS5_PKlPlN2at6native12_GLOBAL__N_18offset_tEEE10hipError_tPvRmT1_PNSt15iterator_traitsISL_E10value_typeET2_T3_PNSM_ISR_E10value_typeET4_jRbjT5_SX_jjP12ihipStream_tbEUlT_E2_NS1_11comp_targetILNS1_3genE9ELNS1_11target_archE1100ELNS1_3gpuE3ELNS1_3repE0EEENS1_30default_config_static_selectorELNS0_4arch9wavefront6targetE0EEEvSL_.has_indirect_call, 0
	.section	.AMDGPU.csdata,"",@progbits
; Kernel info:
; codeLenInByte = 0
; TotalNumSgprs: 0
; NumVgprs: 0
; ScratchSize: 0
; MemoryBound: 0
; FloatMode: 240
; IeeeMode: 1
; LDSByteSize: 0 bytes/workgroup (compile time only)
; SGPRBlocks: 0
; VGPRBlocks: 0
; NumSGPRsForWavesPerEU: 1
; NumVGPRsForWavesPerEU: 1
; NamedBarCnt: 0
; Occupancy: 16
; WaveLimiterHint : 0
; COMPUTE_PGM_RSRC2:SCRATCH_EN: 0
; COMPUTE_PGM_RSRC2:USER_SGPR: 2
; COMPUTE_PGM_RSRC2:TRAP_HANDLER: 0
; COMPUTE_PGM_RSRC2:TGID_X_EN: 1
; COMPUTE_PGM_RSRC2:TGID_Y_EN: 0
; COMPUTE_PGM_RSRC2:TGID_Z_EN: 0
; COMPUTE_PGM_RSRC2:TIDIG_COMP_CNT: 0
	.section	.text._ZN7rocprim17ROCPRIM_400000_NS6detail17trampoline_kernelINS0_14default_configENS1_36segmented_radix_sort_config_selectorI12hip_bfloat16lEEZNS1_25segmented_radix_sort_implIS3_Lb0EPKS5_PS5_PKlPlN2at6native12_GLOBAL__N_18offset_tEEE10hipError_tPvRmT1_PNSt15iterator_traitsISL_E10value_typeET2_T3_PNSM_ISR_E10value_typeET4_jRbjT5_SX_jjP12ihipStream_tbEUlT_E2_NS1_11comp_targetILNS1_3genE8ELNS1_11target_archE1030ELNS1_3gpuE2ELNS1_3repE0EEENS1_30default_config_static_selectorELNS0_4arch9wavefront6targetE0EEEvSL_,"axG",@progbits,_ZN7rocprim17ROCPRIM_400000_NS6detail17trampoline_kernelINS0_14default_configENS1_36segmented_radix_sort_config_selectorI12hip_bfloat16lEEZNS1_25segmented_radix_sort_implIS3_Lb0EPKS5_PS5_PKlPlN2at6native12_GLOBAL__N_18offset_tEEE10hipError_tPvRmT1_PNSt15iterator_traitsISL_E10value_typeET2_T3_PNSM_ISR_E10value_typeET4_jRbjT5_SX_jjP12ihipStream_tbEUlT_E2_NS1_11comp_targetILNS1_3genE8ELNS1_11target_archE1030ELNS1_3gpuE2ELNS1_3repE0EEENS1_30default_config_static_selectorELNS0_4arch9wavefront6targetE0EEEvSL_,comdat
	.globl	_ZN7rocprim17ROCPRIM_400000_NS6detail17trampoline_kernelINS0_14default_configENS1_36segmented_radix_sort_config_selectorI12hip_bfloat16lEEZNS1_25segmented_radix_sort_implIS3_Lb0EPKS5_PS5_PKlPlN2at6native12_GLOBAL__N_18offset_tEEE10hipError_tPvRmT1_PNSt15iterator_traitsISL_E10value_typeET2_T3_PNSM_ISR_E10value_typeET4_jRbjT5_SX_jjP12ihipStream_tbEUlT_E2_NS1_11comp_targetILNS1_3genE8ELNS1_11target_archE1030ELNS1_3gpuE2ELNS1_3repE0EEENS1_30default_config_static_selectorELNS0_4arch9wavefront6targetE0EEEvSL_ ; -- Begin function _ZN7rocprim17ROCPRIM_400000_NS6detail17trampoline_kernelINS0_14default_configENS1_36segmented_radix_sort_config_selectorI12hip_bfloat16lEEZNS1_25segmented_radix_sort_implIS3_Lb0EPKS5_PS5_PKlPlN2at6native12_GLOBAL__N_18offset_tEEE10hipError_tPvRmT1_PNSt15iterator_traitsISL_E10value_typeET2_T3_PNSM_ISR_E10value_typeET4_jRbjT5_SX_jjP12ihipStream_tbEUlT_E2_NS1_11comp_targetILNS1_3genE8ELNS1_11target_archE1030ELNS1_3gpuE2ELNS1_3repE0EEENS1_30default_config_static_selectorELNS0_4arch9wavefront6targetE0EEEvSL_
	.p2align	8
	.type	_ZN7rocprim17ROCPRIM_400000_NS6detail17trampoline_kernelINS0_14default_configENS1_36segmented_radix_sort_config_selectorI12hip_bfloat16lEEZNS1_25segmented_radix_sort_implIS3_Lb0EPKS5_PS5_PKlPlN2at6native12_GLOBAL__N_18offset_tEEE10hipError_tPvRmT1_PNSt15iterator_traitsISL_E10value_typeET2_T3_PNSM_ISR_E10value_typeET4_jRbjT5_SX_jjP12ihipStream_tbEUlT_E2_NS1_11comp_targetILNS1_3genE8ELNS1_11target_archE1030ELNS1_3gpuE2ELNS1_3repE0EEENS1_30default_config_static_selectorELNS0_4arch9wavefront6targetE0EEEvSL_,@function
_ZN7rocprim17ROCPRIM_400000_NS6detail17trampoline_kernelINS0_14default_configENS1_36segmented_radix_sort_config_selectorI12hip_bfloat16lEEZNS1_25segmented_radix_sort_implIS3_Lb0EPKS5_PS5_PKlPlN2at6native12_GLOBAL__N_18offset_tEEE10hipError_tPvRmT1_PNSt15iterator_traitsISL_E10value_typeET2_T3_PNSM_ISR_E10value_typeET4_jRbjT5_SX_jjP12ihipStream_tbEUlT_E2_NS1_11comp_targetILNS1_3genE8ELNS1_11target_archE1030ELNS1_3gpuE2ELNS1_3repE0EEENS1_30default_config_static_selectorELNS0_4arch9wavefront6targetE0EEEvSL_: ; @_ZN7rocprim17ROCPRIM_400000_NS6detail17trampoline_kernelINS0_14default_configENS1_36segmented_radix_sort_config_selectorI12hip_bfloat16lEEZNS1_25segmented_radix_sort_implIS3_Lb0EPKS5_PS5_PKlPlN2at6native12_GLOBAL__N_18offset_tEEE10hipError_tPvRmT1_PNSt15iterator_traitsISL_E10value_typeET2_T3_PNSM_ISR_E10value_typeET4_jRbjT5_SX_jjP12ihipStream_tbEUlT_E2_NS1_11comp_targetILNS1_3genE8ELNS1_11target_archE1030ELNS1_3gpuE2ELNS1_3repE0EEENS1_30default_config_static_selectorELNS0_4arch9wavefront6targetE0EEEvSL_
; %bb.0:
	.section	.rodata,"a",@progbits
	.p2align	6, 0x0
	.amdhsa_kernel _ZN7rocprim17ROCPRIM_400000_NS6detail17trampoline_kernelINS0_14default_configENS1_36segmented_radix_sort_config_selectorI12hip_bfloat16lEEZNS1_25segmented_radix_sort_implIS3_Lb0EPKS5_PS5_PKlPlN2at6native12_GLOBAL__N_18offset_tEEE10hipError_tPvRmT1_PNSt15iterator_traitsISL_E10value_typeET2_T3_PNSM_ISR_E10value_typeET4_jRbjT5_SX_jjP12ihipStream_tbEUlT_E2_NS1_11comp_targetILNS1_3genE8ELNS1_11target_archE1030ELNS1_3gpuE2ELNS1_3repE0EEENS1_30default_config_static_selectorELNS0_4arch9wavefront6targetE0EEEvSL_
		.amdhsa_group_segment_fixed_size 0
		.amdhsa_private_segment_fixed_size 0
		.amdhsa_kernarg_size 80
		.amdhsa_user_sgpr_count 2
		.amdhsa_user_sgpr_dispatch_ptr 0
		.amdhsa_user_sgpr_queue_ptr 0
		.amdhsa_user_sgpr_kernarg_segment_ptr 1
		.amdhsa_user_sgpr_dispatch_id 0
		.amdhsa_user_sgpr_kernarg_preload_length 0
		.amdhsa_user_sgpr_kernarg_preload_offset 0
		.amdhsa_user_sgpr_private_segment_size 0
		.amdhsa_wavefront_size32 1
		.amdhsa_uses_dynamic_stack 0
		.amdhsa_enable_private_segment 0
		.amdhsa_system_sgpr_workgroup_id_x 1
		.amdhsa_system_sgpr_workgroup_id_y 0
		.amdhsa_system_sgpr_workgroup_id_z 0
		.amdhsa_system_sgpr_workgroup_info 0
		.amdhsa_system_vgpr_workitem_id 0
		.amdhsa_next_free_vgpr 1
		.amdhsa_next_free_sgpr 1
		.amdhsa_named_barrier_count 0
		.amdhsa_reserve_vcc 0
		.amdhsa_float_round_mode_32 0
		.amdhsa_float_round_mode_16_64 0
		.amdhsa_float_denorm_mode_32 3
		.amdhsa_float_denorm_mode_16_64 3
		.amdhsa_fp16_overflow 0
		.amdhsa_memory_ordered 1
		.amdhsa_forward_progress 1
		.amdhsa_inst_pref_size 0
		.amdhsa_round_robin_scheduling 0
		.amdhsa_exception_fp_ieee_invalid_op 0
		.amdhsa_exception_fp_denorm_src 0
		.amdhsa_exception_fp_ieee_div_zero 0
		.amdhsa_exception_fp_ieee_overflow 0
		.amdhsa_exception_fp_ieee_underflow 0
		.amdhsa_exception_fp_ieee_inexact 0
		.amdhsa_exception_int_div_zero 0
	.end_amdhsa_kernel
	.section	.text._ZN7rocprim17ROCPRIM_400000_NS6detail17trampoline_kernelINS0_14default_configENS1_36segmented_radix_sort_config_selectorI12hip_bfloat16lEEZNS1_25segmented_radix_sort_implIS3_Lb0EPKS5_PS5_PKlPlN2at6native12_GLOBAL__N_18offset_tEEE10hipError_tPvRmT1_PNSt15iterator_traitsISL_E10value_typeET2_T3_PNSM_ISR_E10value_typeET4_jRbjT5_SX_jjP12ihipStream_tbEUlT_E2_NS1_11comp_targetILNS1_3genE8ELNS1_11target_archE1030ELNS1_3gpuE2ELNS1_3repE0EEENS1_30default_config_static_selectorELNS0_4arch9wavefront6targetE0EEEvSL_,"axG",@progbits,_ZN7rocprim17ROCPRIM_400000_NS6detail17trampoline_kernelINS0_14default_configENS1_36segmented_radix_sort_config_selectorI12hip_bfloat16lEEZNS1_25segmented_radix_sort_implIS3_Lb0EPKS5_PS5_PKlPlN2at6native12_GLOBAL__N_18offset_tEEE10hipError_tPvRmT1_PNSt15iterator_traitsISL_E10value_typeET2_T3_PNSM_ISR_E10value_typeET4_jRbjT5_SX_jjP12ihipStream_tbEUlT_E2_NS1_11comp_targetILNS1_3genE8ELNS1_11target_archE1030ELNS1_3gpuE2ELNS1_3repE0EEENS1_30default_config_static_selectorELNS0_4arch9wavefront6targetE0EEEvSL_,comdat
.Lfunc_end2077:
	.size	_ZN7rocprim17ROCPRIM_400000_NS6detail17trampoline_kernelINS0_14default_configENS1_36segmented_radix_sort_config_selectorI12hip_bfloat16lEEZNS1_25segmented_radix_sort_implIS3_Lb0EPKS5_PS5_PKlPlN2at6native12_GLOBAL__N_18offset_tEEE10hipError_tPvRmT1_PNSt15iterator_traitsISL_E10value_typeET2_T3_PNSM_ISR_E10value_typeET4_jRbjT5_SX_jjP12ihipStream_tbEUlT_E2_NS1_11comp_targetILNS1_3genE8ELNS1_11target_archE1030ELNS1_3gpuE2ELNS1_3repE0EEENS1_30default_config_static_selectorELNS0_4arch9wavefront6targetE0EEEvSL_, .Lfunc_end2077-_ZN7rocprim17ROCPRIM_400000_NS6detail17trampoline_kernelINS0_14default_configENS1_36segmented_radix_sort_config_selectorI12hip_bfloat16lEEZNS1_25segmented_radix_sort_implIS3_Lb0EPKS5_PS5_PKlPlN2at6native12_GLOBAL__N_18offset_tEEE10hipError_tPvRmT1_PNSt15iterator_traitsISL_E10value_typeET2_T3_PNSM_ISR_E10value_typeET4_jRbjT5_SX_jjP12ihipStream_tbEUlT_E2_NS1_11comp_targetILNS1_3genE8ELNS1_11target_archE1030ELNS1_3gpuE2ELNS1_3repE0EEENS1_30default_config_static_selectorELNS0_4arch9wavefront6targetE0EEEvSL_
                                        ; -- End function
	.set _ZN7rocprim17ROCPRIM_400000_NS6detail17trampoline_kernelINS0_14default_configENS1_36segmented_radix_sort_config_selectorI12hip_bfloat16lEEZNS1_25segmented_radix_sort_implIS3_Lb0EPKS5_PS5_PKlPlN2at6native12_GLOBAL__N_18offset_tEEE10hipError_tPvRmT1_PNSt15iterator_traitsISL_E10value_typeET2_T3_PNSM_ISR_E10value_typeET4_jRbjT5_SX_jjP12ihipStream_tbEUlT_E2_NS1_11comp_targetILNS1_3genE8ELNS1_11target_archE1030ELNS1_3gpuE2ELNS1_3repE0EEENS1_30default_config_static_selectorELNS0_4arch9wavefront6targetE0EEEvSL_.num_vgpr, 0
	.set _ZN7rocprim17ROCPRIM_400000_NS6detail17trampoline_kernelINS0_14default_configENS1_36segmented_radix_sort_config_selectorI12hip_bfloat16lEEZNS1_25segmented_radix_sort_implIS3_Lb0EPKS5_PS5_PKlPlN2at6native12_GLOBAL__N_18offset_tEEE10hipError_tPvRmT1_PNSt15iterator_traitsISL_E10value_typeET2_T3_PNSM_ISR_E10value_typeET4_jRbjT5_SX_jjP12ihipStream_tbEUlT_E2_NS1_11comp_targetILNS1_3genE8ELNS1_11target_archE1030ELNS1_3gpuE2ELNS1_3repE0EEENS1_30default_config_static_selectorELNS0_4arch9wavefront6targetE0EEEvSL_.num_agpr, 0
	.set _ZN7rocprim17ROCPRIM_400000_NS6detail17trampoline_kernelINS0_14default_configENS1_36segmented_radix_sort_config_selectorI12hip_bfloat16lEEZNS1_25segmented_radix_sort_implIS3_Lb0EPKS5_PS5_PKlPlN2at6native12_GLOBAL__N_18offset_tEEE10hipError_tPvRmT1_PNSt15iterator_traitsISL_E10value_typeET2_T3_PNSM_ISR_E10value_typeET4_jRbjT5_SX_jjP12ihipStream_tbEUlT_E2_NS1_11comp_targetILNS1_3genE8ELNS1_11target_archE1030ELNS1_3gpuE2ELNS1_3repE0EEENS1_30default_config_static_selectorELNS0_4arch9wavefront6targetE0EEEvSL_.numbered_sgpr, 0
	.set _ZN7rocprim17ROCPRIM_400000_NS6detail17trampoline_kernelINS0_14default_configENS1_36segmented_radix_sort_config_selectorI12hip_bfloat16lEEZNS1_25segmented_radix_sort_implIS3_Lb0EPKS5_PS5_PKlPlN2at6native12_GLOBAL__N_18offset_tEEE10hipError_tPvRmT1_PNSt15iterator_traitsISL_E10value_typeET2_T3_PNSM_ISR_E10value_typeET4_jRbjT5_SX_jjP12ihipStream_tbEUlT_E2_NS1_11comp_targetILNS1_3genE8ELNS1_11target_archE1030ELNS1_3gpuE2ELNS1_3repE0EEENS1_30default_config_static_selectorELNS0_4arch9wavefront6targetE0EEEvSL_.num_named_barrier, 0
	.set _ZN7rocprim17ROCPRIM_400000_NS6detail17trampoline_kernelINS0_14default_configENS1_36segmented_radix_sort_config_selectorI12hip_bfloat16lEEZNS1_25segmented_radix_sort_implIS3_Lb0EPKS5_PS5_PKlPlN2at6native12_GLOBAL__N_18offset_tEEE10hipError_tPvRmT1_PNSt15iterator_traitsISL_E10value_typeET2_T3_PNSM_ISR_E10value_typeET4_jRbjT5_SX_jjP12ihipStream_tbEUlT_E2_NS1_11comp_targetILNS1_3genE8ELNS1_11target_archE1030ELNS1_3gpuE2ELNS1_3repE0EEENS1_30default_config_static_selectorELNS0_4arch9wavefront6targetE0EEEvSL_.private_seg_size, 0
	.set _ZN7rocprim17ROCPRIM_400000_NS6detail17trampoline_kernelINS0_14default_configENS1_36segmented_radix_sort_config_selectorI12hip_bfloat16lEEZNS1_25segmented_radix_sort_implIS3_Lb0EPKS5_PS5_PKlPlN2at6native12_GLOBAL__N_18offset_tEEE10hipError_tPvRmT1_PNSt15iterator_traitsISL_E10value_typeET2_T3_PNSM_ISR_E10value_typeET4_jRbjT5_SX_jjP12ihipStream_tbEUlT_E2_NS1_11comp_targetILNS1_3genE8ELNS1_11target_archE1030ELNS1_3gpuE2ELNS1_3repE0EEENS1_30default_config_static_selectorELNS0_4arch9wavefront6targetE0EEEvSL_.uses_vcc, 0
	.set _ZN7rocprim17ROCPRIM_400000_NS6detail17trampoline_kernelINS0_14default_configENS1_36segmented_radix_sort_config_selectorI12hip_bfloat16lEEZNS1_25segmented_radix_sort_implIS3_Lb0EPKS5_PS5_PKlPlN2at6native12_GLOBAL__N_18offset_tEEE10hipError_tPvRmT1_PNSt15iterator_traitsISL_E10value_typeET2_T3_PNSM_ISR_E10value_typeET4_jRbjT5_SX_jjP12ihipStream_tbEUlT_E2_NS1_11comp_targetILNS1_3genE8ELNS1_11target_archE1030ELNS1_3gpuE2ELNS1_3repE0EEENS1_30default_config_static_selectorELNS0_4arch9wavefront6targetE0EEEvSL_.uses_flat_scratch, 0
	.set _ZN7rocprim17ROCPRIM_400000_NS6detail17trampoline_kernelINS0_14default_configENS1_36segmented_radix_sort_config_selectorI12hip_bfloat16lEEZNS1_25segmented_radix_sort_implIS3_Lb0EPKS5_PS5_PKlPlN2at6native12_GLOBAL__N_18offset_tEEE10hipError_tPvRmT1_PNSt15iterator_traitsISL_E10value_typeET2_T3_PNSM_ISR_E10value_typeET4_jRbjT5_SX_jjP12ihipStream_tbEUlT_E2_NS1_11comp_targetILNS1_3genE8ELNS1_11target_archE1030ELNS1_3gpuE2ELNS1_3repE0EEENS1_30default_config_static_selectorELNS0_4arch9wavefront6targetE0EEEvSL_.has_dyn_sized_stack, 0
	.set _ZN7rocprim17ROCPRIM_400000_NS6detail17trampoline_kernelINS0_14default_configENS1_36segmented_radix_sort_config_selectorI12hip_bfloat16lEEZNS1_25segmented_radix_sort_implIS3_Lb0EPKS5_PS5_PKlPlN2at6native12_GLOBAL__N_18offset_tEEE10hipError_tPvRmT1_PNSt15iterator_traitsISL_E10value_typeET2_T3_PNSM_ISR_E10value_typeET4_jRbjT5_SX_jjP12ihipStream_tbEUlT_E2_NS1_11comp_targetILNS1_3genE8ELNS1_11target_archE1030ELNS1_3gpuE2ELNS1_3repE0EEENS1_30default_config_static_selectorELNS0_4arch9wavefront6targetE0EEEvSL_.has_recursion, 0
	.set _ZN7rocprim17ROCPRIM_400000_NS6detail17trampoline_kernelINS0_14default_configENS1_36segmented_radix_sort_config_selectorI12hip_bfloat16lEEZNS1_25segmented_radix_sort_implIS3_Lb0EPKS5_PS5_PKlPlN2at6native12_GLOBAL__N_18offset_tEEE10hipError_tPvRmT1_PNSt15iterator_traitsISL_E10value_typeET2_T3_PNSM_ISR_E10value_typeET4_jRbjT5_SX_jjP12ihipStream_tbEUlT_E2_NS1_11comp_targetILNS1_3genE8ELNS1_11target_archE1030ELNS1_3gpuE2ELNS1_3repE0EEENS1_30default_config_static_selectorELNS0_4arch9wavefront6targetE0EEEvSL_.has_indirect_call, 0
	.section	.AMDGPU.csdata,"",@progbits
; Kernel info:
; codeLenInByte = 0
; TotalNumSgprs: 0
; NumVgprs: 0
; ScratchSize: 0
; MemoryBound: 0
; FloatMode: 240
; IeeeMode: 1
; LDSByteSize: 0 bytes/workgroup (compile time only)
; SGPRBlocks: 0
; VGPRBlocks: 0
; NumSGPRsForWavesPerEU: 1
; NumVGPRsForWavesPerEU: 1
; NamedBarCnt: 0
; Occupancy: 16
; WaveLimiterHint : 0
; COMPUTE_PGM_RSRC2:SCRATCH_EN: 0
; COMPUTE_PGM_RSRC2:USER_SGPR: 2
; COMPUTE_PGM_RSRC2:TRAP_HANDLER: 0
; COMPUTE_PGM_RSRC2:TGID_X_EN: 1
; COMPUTE_PGM_RSRC2:TGID_Y_EN: 0
; COMPUTE_PGM_RSRC2:TGID_Z_EN: 0
; COMPUTE_PGM_RSRC2:TIDIG_COMP_CNT: 0
	.text
	.p2alignl 7, 3214868480
	.fill 96, 4, 3214868480
	.section	.AMDGPU.gpr_maximums,"",@progbits
	.set amdgpu.max_num_vgpr, 320
	.set amdgpu.max_num_agpr, 0
	.set amdgpu.max_num_sgpr, 33
	.text
	.protected	_ZN7rocprim17ROCPRIM_400000_NS16block_radix_sortIhLj256ELj1ElLj1ELj1ELj8ELNS0_26block_radix_rank_algorithmE2ELNS0_18block_padding_hintE2ELNS0_4arch9wavefront6targetE0EE19radix_bits_per_passE ; @_ZN7rocprim17ROCPRIM_400000_NS16block_radix_sortIhLj256ELj1ElLj1ELj1ELj8ELNS0_26block_radix_rank_algorithmE2ELNS0_18block_padding_hintE2ELNS0_4arch9wavefront6targetE0EE19radix_bits_per_passE
	.type	_ZN7rocprim17ROCPRIM_400000_NS16block_radix_sortIhLj256ELj1ElLj1ELj1ELj8ELNS0_26block_radix_rank_algorithmE2ELNS0_18block_padding_hintE2ELNS0_4arch9wavefront6targetE0EE19radix_bits_per_passE,@object
	.section	.rodata._ZN7rocprim17ROCPRIM_400000_NS16block_radix_sortIhLj256ELj1ElLj1ELj1ELj8ELNS0_26block_radix_rank_algorithmE2ELNS0_18block_padding_hintE2ELNS0_4arch9wavefront6targetE0EE19radix_bits_per_passE,"aG",@progbits,_ZN7rocprim17ROCPRIM_400000_NS16block_radix_sortIhLj256ELj1ElLj1ELj1ELj8ELNS0_26block_radix_rank_algorithmE2ELNS0_18block_padding_hintE2ELNS0_4arch9wavefront6targetE0EE19radix_bits_per_passE,comdat
	.weak	_ZN7rocprim17ROCPRIM_400000_NS16block_radix_sortIhLj256ELj1ElLj1ELj1ELj8ELNS0_26block_radix_rank_algorithmE2ELNS0_18block_padding_hintE2ELNS0_4arch9wavefront6targetE0EE19radix_bits_per_passE
	.p2align	2, 0x0
_ZN7rocprim17ROCPRIM_400000_NS16block_radix_sortIhLj256ELj1ElLj1ELj1ELj8ELNS0_26block_radix_rank_algorithmE2ELNS0_18block_padding_hintE2ELNS0_4arch9wavefront6targetE0EE19radix_bits_per_passE:
	.long	8                               ; 0x8
	.size	_ZN7rocprim17ROCPRIM_400000_NS16block_radix_sortIhLj256ELj1ElLj1ELj1ELj8ELNS0_26block_radix_rank_algorithmE2ELNS0_18block_padding_hintE2ELNS0_4arch9wavefront6targetE0EE19radix_bits_per_passE, 4

	.protected	_ZN7rocprim17ROCPRIM_400000_NS16block_radix_sortIhLj256ELj2ElLj1ELj1ELj8ELNS0_26block_radix_rank_algorithmE2ELNS0_18block_padding_hintE2ELNS0_4arch9wavefront6targetE0EE19radix_bits_per_passE ; @_ZN7rocprim17ROCPRIM_400000_NS16block_radix_sortIhLj256ELj2ElLj1ELj1ELj8ELNS0_26block_radix_rank_algorithmE2ELNS0_18block_padding_hintE2ELNS0_4arch9wavefront6targetE0EE19radix_bits_per_passE
	.type	_ZN7rocprim17ROCPRIM_400000_NS16block_radix_sortIhLj256ELj2ElLj1ELj1ELj8ELNS0_26block_radix_rank_algorithmE2ELNS0_18block_padding_hintE2ELNS0_4arch9wavefront6targetE0EE19radix_bits_per_passE,@object
	.section	.rodata._ZN7rocprim17ROCPRIM_400000_NS16block_radix_sortIhLj256ELj2ElLj1ELj1ELj8ELNS0_26block_radix_rank_algorithmE2ELNS0_18block_padding_hintE2ELNS0_4arch9wavefront6targetE0EE19radix_bits_per_passE,"aG",@progbits,_ZN7rocprim17ROCPRIM_400000_NS16block_radix_sortIhLj256ELj2ElLj1ELj1ELj8ELNS0_26block_radix_rank_algorithmE2ELNS0_18block_padding_hintE2ELNS0_4arch9wavefront6targetE0EE19radix_bits_per_passE,comdat
	.weak	_ZN7rocprim17ROCPRIM_400000_NS16block_radix_sortIhLj256ELj2ElLj1ELj1ELj8ELNS0_26block_radix_rank_algorithmE2ELNS0_18block_padding_hintE2ELNS0_4arch9wavefront6targetE0EE19radix_bits_per_passE
	.p2align	2, 0x0
_ZN7rocprim17ROCPRIM_400000_NS16block_radix_sortIhLj256ELj2ElLj1ELj1ELj8ELNS0_26block_radix_rank_algorithmE2ELNS0_18block_padding_hintE2ELNS0_4arch9wavefront6targetE0EE19radix_bits_per_passE:
	.long	8                               ; 0x8
	.size	_ZN7rocprim17ROCPRIM_400000_NS16block_radix_sortIhLj256ELj2ElLj1ELj1ELj8ELNS0_26block_radix_rank_algorithmE2ELNS0_18block_padding_hintE2ELNS0_4arch9wavefront6targetE0EE19radix_bits_per_passE, 4

	.protected	_ZN7rocprim17ROCPRIM_400000_NS16block_radix_sortIhLj256ELj4ElLj1ELj1ELj8ELNS0_26block_radix_rank_algorithmE2ELNS0_18block_padding_hintE2ELNS0_4arch9wavefront6targetE0EE19radix_bits_per_passE ; @_ZN7rocprim17ROCPRIM_400000_NS16block_radix_sortIhLj256ELj4ElLj1ELj1ELj8ELNS0_26block_radix_rank_algorithmE2ELNS0_18block_padding_hintE2ELNS0_4arch9wavefront6targetE0EE19radix_bits_per_passE
	.type	_ZN7rocprim17ROCPRIM_400000_NS16block_radix_sortIhLj256ELj4ElLj1ELj1ELj8ELNS0_26block_radix_rank_algorithmE2ELNS0_18block_padding_hintE2ELNS0_4arch9wavefront6targetE0EE19radix_bits_per_passE,@object
	.section	.rodata._ZN7rocprim17ROCPRIM_400000_NS16block_radix_sortIhLj256ELj4ElLj1ELj1ELj8ELNS0_26block_radix_rank_algorithmE2ELNS0_18block_padding_hintE2ELNS0_4arch9wavefront6targetE0EE19radix_bits_per_passE,"aG",@progbits,_ZN7rocprim17ROCPRIM_400000_NS16block_radix_sortIhLj256ELj4ElLj1ELj1ELj8ELNS0_26block_radix_rank_algorithmE2ELNS0_18block_padding_hintE2ELNS0_4arch9wavefront6targetE0EE19radix_bits_per_passE,comdat
	.weak	_ZN7rocprim17ROCPRIM_400000_NS16block_radix_sortIhLj256ELj4ElLj1ELj1ELj8ELNS0_26block_radix_rank_algorithmE2ELNS0_18block_padding_hintE2ELNS0_4arch9wavefront6targetE0EE19radix_bits_per_passE
	.p2align	2, 0x0
_ZN7rocprim17ROCPRIM_400000_NS16block_radix_sortIhLj256ELj4ElLj1ELj1ELj8ELNS0_26block_radix_rank_algorithmE2ELNS0_18block_padding_hintE2ELNS0_4arch9wavefront6targetE0EE19radix_bits_per_passE:
	.long	8                               ; 0x8
	.size	_ZN7rocprim17ROCPRIM_400000_NS16block_radix_sortIhLj256ELj4ElLj1ELj1ELj8ELNS0_26block_radix_rank_algorithmE2ELNS0_18block_padding_hintE2ELNS0_4arch9wavefront6targetE0EE19radix_bits_per_passE, 4

	.protected	_ZN7rocprim17ROCPRIM_400000_NS16block_radix_sortIhLj256ELj8ElLj1ELj1ELj8ELNS0_26block_radix_rank_algorithmE2ELNS0_18block_padding_hintE2ELNS0_4arch9wavefront6targetE0EE19radix_bits_per_passE ; @_ZN7rocprim17ROCPRIM_400000_NS16block_radix_sortIhLj256ELj8ElLj1ELj1ELj8ELNS0_26block_radix_rank_algorithmE2ELNS0_18block_padding_hintE2ELNS0_4arch9wavefront6targetE0EE19radix_bits_per_passE
	.type	_ZN7rocprim17ROCPRIM_400000_NS16block_radix_sortIhLj256ELj8ElLj1ELj1ELj8ELNS0_26block_radix_rank_algorithmE2ELNS0_18block_padding_hintE2ELNS0_4arch9wavefront6targetE0EE19radix_bits_per_passE,@object
	.section	.rodata._ZN7rocprim17ROCPRIM_400000_NS16block_radix_sortIhLj256ELj8ElLj1ELj1ELj8ELNS0_26block_radix_rank_algorithmE2ELNS0_18block_padding_hintE2ELNS0_4arch9wavefront6targetE0EE19radix_bits_per_passE,"aG",@progbits,_ZN7rocprim17ROCPRIM_400000_NS16block_radix_sortIhLj256ELj8ElLj1ELj1ELj8ELNS0_26block_radix_rank_algorithmE2ELNS0_18block_padding_hintE2ELNS0_4arch9wavefront6targetE0EE19radix_bits_per_passE,comdat
	.weak	_ZN7rocprim17ROCPRIM_400000_NS16block_radix_sortIhLj256ELj8ElLj1ELj1ELj8ELNS0_26block_radix_rank_algorithmE2ELNS0_18block_padding_hintE2ELNS0_4arch9wavefront6targetE0EE19radix_bits_per_passE
	.p2align	2, 0x0
_ZN7rocprim17ROCPRIM_400000_NS16block_radix_sortIhLj256ELj8ElLj1ELj1ELj8ELNS0_26block_radix_rank_algorithmE2ELNS0_18block_padding_hintE2ELNS0_4arch9wavefront6targetE0EE19radix_bits_per_passE:
	.long	8                               ; 0x8
	.size	_ZN7rocprim17ROCPRIM_400000_NS16block_radix_sortIhLj256ELj8ElLj1ELj1ELj8ELNS0_26block_radix_rank_algorithmE2ELNS0_18block_padding_hintE2ELNS0_4arch9wavefront6targetE0EE19radix_bits_per_passE, 4

	.protected	_ZN7rocprim17ROCPRIM_400000_NS16block_radix_sortIhLj256ELj17ElLj1ELj1ELj8ELNS0_26block_radix_rank_algorithmE2ELNS0_18block_padding_hintE2ELNS0_4arch9wavefront6targetE0EE19radix_bits_per_passE ; @_ZN7rocprim17ROCPRIM_400000_NS16block_radix_sortIhLj256ELj17ElLj1ELj1ELj8ELNS0_26block_radix_rank_algorithmE2ELNS0_18block_padding_hintE2ELNS0_4arch9wavefront6targetE0EE19radix_bits_per_passE
	.type	_ZN7rocprim17ROCPRIM_400000_NS16block_radix_sortIhLj256ELj17ElLj1ELj1ELj8ELNS0_26block_radix_rank_algorithmE2ELNS0_18block_padding_hintE2ELNS0_4arch9wavefront6targetE0EE19radix_bits_per_passE,@object
	.section	.rodata._ZN7rocprim17ROCPRIM_400000_NS16block_radix_sortIhLj256ELj17ElLj1ELj1ELj8ELNS0_26block_radix_rank_algorithmE2ELNS0_18block_padding_hintE2ELNS0_4arch9wavefront6targetE0EE19radix_bits_per_passE,"aG",@progbits,_ZN7rocprim17ROCPRIM_400000_NS16block_radix_sortIhLj256ELj17ElLj1ELj1ELj8ELNS0_26block_radix_rank_algorithmE2ELNS0_18block_padding_hintE2ELNS0_4arch9wavefront6targetE0EE19radix_bits_per_passE,comdat
	.weak	_ZN7rocprim17ROCPRIM_400000_NS16block_radix_sortIhLj256ELj17ElLj1ELj1ELj8ELNS0_26block_radix_rank_algorithmE2ELNS0_18block_padding_hintE2ELNS0_4arch9wavefront6targetE0EE19radix_bits_per_passE
	.p2align	2, 0x0
_ZN7rocprim17ROCPRIM_400000_NS16block_radix_sortIhLj256ELj17ElLj1ELj1ELj8ELNS0_26block_radix_rank_algorithmE2ELNS0_18block_padding_hintE2ELNS0_4arch9wavefront6targetE0EE19radix_bits_per_passE:
	.long	8                               ; 0x8
	.size	_ZN7rocprim17ROCPRIM_400000_NS16block_radix_sortIhLj256ELj17ElLj1ELj1ELj8ELNS0_26block_radix_rank_algorithmE2ELNS0_18block_padding_hintE2ELNS0_4arch9wavefront6targetE0EE19radix_bits_per_passE, 4

	.protected	_ZN7rocprim17ROCPRIM_400000_NS16block_radix_sortIaLj256ELj1ElLj1ELj1ELj8ELNS0_26block_radix_rank_algorithmE2ELNS0_18block_padding_hintE2ELNS0_4arch9wavefront6targetE0EE19radix_bits_per_passE ; @_ZN7rocprim17ROCPRIM_400000_NS16block_radix_sortIaLj256ELj1ElLj1ELj1ELj8ELNS0_26block_radix_rank_algorithmE2ELNS0_18block_padding_hintE2ELNS0_4arch9wavefront6targetE0EE19radix_bits_per_passE
	.type	_ZN7rocprim17ROCPRIM_400000_NS16block_radix_sortIaLj256ELj1ElLj1ELj1ELj8ELNS0_26block_radix_rank_algorithmE2ELNS0_18block_padding_hintE2ELNS0_4arch9wavefront6targetE0EE19radix_bits_per_passE,@object
	.section	.rodata._ZN7rocprim17ROCPRIM_400000_NS16block_radix_sortIaLj256ELj1ElLj1ELj1ELj8ELNS0_26block_radix_rank_algorithmE2ELNS0_18block_padding_hintE2ELNS0_4arch9wavefront6targetE0EE19radix_bits_per_passE,"aG",@progbits,_ZN7rocprim17ROCPRIM_400000_NS16block_radix_sortIaLj256ELj1ElLj1ELj1ELj8ELNS0_26block_radix_rank_algorithmE2ELNS0_18block_padding_hintE2ELNS0_4arch9wavefront6targetE0EE19radix_bits_per_passE,comdat
	.weak	_ZN7rocprim17ROCPRIM_400000_NS16block_radix_sortIaLj256ELj1ElLj1ELj1ELj8ELNS0_26block_radix_rank_algorithmE2ELNS0_18block_padding_hintE2ELNS0_4arch9wavefront6targetE0EE19radix_bits_per_passE
	.p2align	2, 0x0
_ZN7rocprim17ROCPRIM_400000_NS16block_radix_sortIaLj256ELj1ElLj1ELj1ELj8ELNS0_26block_radix_rank_algorithmE2ELNS0_18block_padding_hintE2ELNS0_4arch9wavefront6targetE0EE19radix_bits_per_passE:
	.long	8                               ; 0x8
	.size	_ZN7rocprim17ROCPRIM_400000_NS16block_radix_sortIaLj256ELj1ElLj1ELj1ELj8ELNS0_26block_radix_rank_algorithmE2ELNS0_18block_padding_hintE2ELNS0_4arch9wavefront6targetE0EE19radix_bits_per_passE, 4

	.protected	_ZN7rocprim17ROCPRIM_400000_NS16block_radix_sortIaLj256ELj2ElLj1ELj1ELj8ELNS0_26block_radix_rank_algorithmE2ELNS0_18block_padding_hintE2ELNS0_4arch9wavefront6targetE0EE19radix_bits_per_passE ; @_ZN7rocprim17ROCPRIM_400000_NS16block_radix_sortIaLj256ELj2ElLj1ELj1ELj8ELNS0_26block_radix_rank_algorithmE2ELNS0_18block_padding_hintE2ELNS0_4arch9wavefront6targetE0EE19radix_bits_per_passE
	.type	_ZN7rocprim17ROCPRIM_400000_NS16block_radix_sortIaLj256ELj2ElLj1ELj1ELj8ELNS0_26block_radix_rank_algorithmE2ELNS0_18block_padding_hintE2ELNS0_4arch9wavefront6targetE0EE19radix_bits_per_passE,@object
	.section	.rodata._ZN7rocprim17ROCPRIM_400000_NS16block_radix_sortIaLj256ELj2ElLj1ELj1ELj8ELNS0_26block_radix_rank_algorithmE2ELNS0_18block_padding_hintE2ELNS0_4arch9wavefront6targetE0EE19radix_bits_per_passE,"aG",@progbits,_ZN7rocprim17ROCPRIM_400000_NS16block_radix_sortIaLj256ELj2ElLj1ELj1ELj8ELNS0_26block_radix_rank_algorithmE2ELNS0_18block_padding_hintE2ELNS0_4arch9wavefront6targetE0EE19radix_bits_per_passE,comdat
	.weak	_ZN7rocprim17ROCPRIM_400000_NS16block_radix_sortIaLj256ELj2ElLj1ELj1ELj8ELNS0_26block_radix_rank_algorithmE2ELNS0_18block_padding_hintE2ELNS0_4arch9wavefront6targetE0EE19radix_bits_per_passE
	.p2align	2, 0x0
_ZN7rocprim17ROCPRIM_400000_NS16block_radix_sortIaLj256ELj2ElLj1ELj1ELj8ELNS0_26block_radix_rank_algorithmE2ELNS0_18block_padding_hintE2ELNS0_4arch9wavefront6targetE0EE19radix_bits_per_passE:
	.long	8                               ; 0x8
	.size	_ZN7rocprim17ROCPRIM_400000_NS16block_radix_sortIaLj256ELj2ElLj1ELj1ELj8ELNS0_26block_radix_rank_algorithmE2ELNS0_18block_padding_hintE2ELNS0_4arch9wavefront6targetE0EE19radix_bits_per_passE, 4

	.protected	_ZN7rocprim17ROCPRIM_400000_NS16block_radix_sortIaLj256ELj4ElLj1ELj1ELj8ELNS0_26block_radix_rank_algorithmE2ELNS0_18block_padding_hintE2ELNS0_4arch9wavefront6targetE0EE19radix_bits_per_passE ; @_ZN7rocprim17ROCPRIM_400000_NS16block_radix_sortIaLj256ELj4ElLj1ELj1ELj8ELNS0_26block_radix_rank_algorithmE2ELNS0_18block_padding_hintE2ELNS0_4arch9wavefront6targetE0EE19radix_bits_per_passE
	.type	_ZN7rocprim17ROCPRIM_400000_NS16block_radix_sortIaLj256ELj4ElLj1ELj1ELj8ELNS0_26block_radix_rank_algorithmE2ELNS0_18block_padding_hintE2ELNS0_4arch9wavefront6targetE0EE19radix_bits_per_passE,@object
	.section	.rodata._ZN7rocprim17ROCPRIM_400000_NS16block_radix_sortIaLj256ELj4ElLj1ELj1ELj8ELNS0_26block_radix_rank_algorithmE2ELNS0_18block_padding_hintE2ELNS0_4arch9wavefront6targetE0EE19radix_bits_per_passE,"aG",@progbits,_ZN7rocprim17ROCPRIM_400000_NS16block_radix_sortIaLj256ELj4ElLj1ELj1ELj8ELNS0_26block_radix_rank_algorithmE2ELNS0_18block_padding_hintE2ELNS0_4arch9wavefront6targetE0EE19radix_bits_per_passE,comdat
	.weak	_ZN7rocprim17ROCPRIM_400000_NS16block_radix_sortIaLj256ELj4ElLj1ELj1ELj8ELNS0_26block_radix_rank_algorithmE2ELNS0_18block_padding_hintE2ELNS0_4arch9wavefront6targetE0EE19radix_bits_per_passE
	.p2align	2, 0x0
_ZN7rocprim17ROCPRIM_400000_NS16block_radix_sortIaLj256ELj4ElLj1ELj1ELj8ELNS0_26block_radix_rank_algorithmE2ELNS0_18block_padding_hintE2ELNS0_4arch9wavefront6targetE0EE19radix_bits_per_passE:
	.long	8                               ; 0x8
	.size	_ZN7rocprim17ROCPRIM_400000_NS16block_radix_sortIaLj256ELj4ElLj1ELj1ELj8ELNS0_26block_radix_rank_algorithmE2ELNS0_18block_padding_hintE2ELNS0_4arch9wavefront6targetE0EE19radix_bits_per_passE, 4

	.protected	_ZN7rocprim17ROCPRIM_400000_NS16block_radix_sortIaLj256ELj8ElLj1ELj1ELj8ELNS0_26block_radix_rank_algorithmE2ELNS0_18block_padding_hintE2ELNS0_4arch9wavefront6targetE0EE19radix_bits_per_passE ; @_ZN7rocprim17ROCPRIM_400000_NS16block_radix_sortIaLj256ELj8ElLj1ELj1ELj8ELNS0_26block_radix_rank_algorithmE2ELNS0_18block_padding_hintE2ELNS0_4arch9wavefront6targetE0EE19radix_bits_per_passE
	.type	_ZN7rocprim17ROCPRIM_400000_NS16block_radix_sortIaLj256ELj8ElLj1ELj1ELj8ELNS0_26block_radix_rank_algorithmE2ELNS0_18block_padding_hintE2ELNS0_4arch9wavefront6targetE0EE19radix_bits_per_passE,@object
	.section	.rodata._ZN7rocprim17ROCPRIM_400000_NS16block_radix_sortIaLj256ELj8ElLj1ELj1ELj8ELNS0_26block_radix_rank_algorithmE2ELNS0_18block_padding_hintE2ELNS0_4arch9wavefront6targetE0EE19radix_bits_per_passE,"aG",@progbits,_ZN7rocprim17ROCPRIM_400000_NS16block_radix_sortIaLj256ELj8ElLj1ELj1ELj8ELNS0_26block_radix_rank_algorithmE2ELNS0_18block_padding_hintE2ELNS0_4arch9wavefront6targetE0EE19radix_bits_per_passE,comdat
	.weak	_ZN7rocprim17ROCPRIM_400000_NS16block_radix_sortIaLj256ELj8ElLj1ELj1ELj8ELNS0_26block_radix_rank_algorithmE2ELNS0_18block_padding_hintE2ELNS0_4arch9wavefront6targetE0EE19radix_bits_per_passE
	.p2align	2, 0x0
_ZN7rocprim17ROCPRIM_400000_NS16block_radix_sortIaLj256ELj8ElLj1ELj1ELj8ELNS0_26block_radix_rank_algorithmE2ELNS0_18block_padding_hintE2ELNS0_4arch9wavefront6targetE0EE19radix_bits_per_passE:
	.long	8                               ; 0x8
	.size	_ZN7rocprim17ROCPRIM_400000_NS16block_radix_sortIaLj256ELj8ElLj1ELj1ELj8ELNS0_26block_radix_rank_algorithmE2ELNS0_18block_padding_hintE2ELNS0_4arch9wavefront6targetE0EE19radix_bits_per_passE, 4

	.protected	_ZN7rocprim17ROCPRIM_400000_NS16block_radix_sortIaLj256ELj17ElLj1ELj1ELj8ELNS0_26block_radix_rank_algorithmE2ELNS0_18block_padding_hintE2ELNS0_4arch9wavefront6targetE0EE19radix_bits_per_passE ; @_ZN7rocprim17ROCPRIM_400000_NS16block_radix_sortIaLj256ELj17ElLj1ELj1ELj8ELNS0_26block_radix_rank_algorithmE2ELNS0_18block_padding_hintE2ELNS0_4arch9wavefront6targetE0EE19radix_bits_per_passE
	.type	_ZN7rocprim17ROCPRIM_400000_NS16block_radix_sortIaLj256ELj17ElLj1ELj1ELj8ELNS0_26block_radix_rank_algorithmE2ELNS0_18block_padding_hintE2ELNS0_4arch9wavefront6targetE0EE19radix_bits_per_passE,@object
	.section	.rodata._ZN7rocprim17ROCPRIM_400000_NS16block_radix_sortIaLj256ELj17ElLj1ELj1ELj8ELNS0_26block_radix_rank_algorithmE2ELNS0_18block_padding_hintE2ELNS0_4arch9wavefront6targetE0EE19radix_bits_per_passE,"aG",@progbits,_ZN7rocprim17ROCPRIM_400000_NS16block_radix_sortIaLj256ELj17ElLj1ELj1ELj8ELNS0_26block_radix_rank_algorithmE2ELNS0_18block_padding_hintE2ELNS0_4arch9wavefront6targetE0EE19radix_bits_per_passE,comdat
	.weak	_ZN7rocprim17ROCPRIM_400000_NS16block_radix_sortIaLj256ELj17ElLj1ELj1ELj8ELNS0_26block_radix_rank_algorithmE2ELNS0_18block_padding_hintE2ELNS0_4arch9wavefront6targetE0EE19radix_bits_per_passE
	.p2align	2, 0x0
_ZN7rocprim17ROCPRIM_400000_NS16block_radix_sortIaLj256ELj17ElLj1ELj1ELj8ELNS0_26block_radix_rank_algorithmE2ELNS0_18block_padding_hintE2ELNS0_4arch9wavefront6targetE0EE19radix_bits_per_passE:
	.long	8                               ; 0x8
	.size	_ZN7rocprim17ROCPRIM_400000_NS16block_radix_sortIaLj256ELj17ElLj1ELj1ELj8ELNS0_26block_radix_rank_algorithmE2ELNS0_18block_padding_hintE2ELNS0_4arch9wavefront6targetE0EE19radix_bits_per_passE, 4

	.protected	_ZN7rocprim17ROCPRIM_400000_NS16block_radix_sortIiLj256ELj1ElLj1ELj1ELj8ELNS0_26block_radix_rank_algorithmE2ELNS0_18block_padding_hintE2ELNS0_4arch9wavefront6targetE0EE19radix_bits_per_passE ; @_ZN7rocprim17ROCPRIM_400000_NS16block_radix_sortIiLj256ELj1ElLj1ELj1ELj8ELNS0_26block_radix_rank_algorithmE2ELNS0_18block_padding_hintE2ELNS0_4arch9wavefront6targetE0EE19radix_bits_per_passE
	.type	_ZN7rocprim17ROCPRIM_400000_NS16block_radix_sortIiLj256ELj1ElLj1ELj1ELj8ELNS0_26block_radix_rank_algorithmE2ELNS0_18block_padding_hintE2ELNS0_4arch9wavefront6targetE0EE19radix_bits_per_passE,@object
	.section	.rodata._ZN7rocprim17ROCPRIM_400000_NS16block_radix_sortIiLj256ELj1ElLj1ELj1ELj8ELNS0_26block_radix_rank_algorithmE2ELNS0_18block_padding_hintE2ELNS0_4arch9wavefront6targetE0EE19radix_bits_per_passE,"aG",@progbits,_ZN7rocprim17ROCPRIM_400000_NS16block_radix_sortIiLj256ELj1ElLj1ELj1ELj8ELNS0_26block_radix_rank_algorithmE2ELNS0_18block_padding_hintE2ELNS0_4arch9wavefront6targetE0EE19radix_bits_per_passE,comdat
	.weak	_ZN7rocprim17ROCPRIM_400000_NS16block_radix_sortIiLj256ELj1ElLj1ELj1ELj8ELNS0_26block_radix_rank_algorithmE2ELNS0_18block_padding_hintE2ELNS0_4arch9wavefront6targetE0EE19radix_bits_per_passE
	.p2align	2, 0x0
_ZN7rocprim17ROCPRIM_400000_NS16block_radix_sortIiLj256ELj1ElLj1ELj1ELj8ELNS0_26block_radix_rank_algorithmE2ELNS0_18block_padding_hintE2ELNS0_4arch9wavefront6targetE0EE19radix_bits_per_passE:
	.long	8                               ; 0x8
	.size	_ZN7rocprim17ROCPRIM_400000_NS16block_radix_sortIiLj256ELj1ElLj1ELj1ELj8ELNS0_26block_radix_rank_algorithmE2ELNS0_18block_padding_hintE2ELNS0_4arch9wavefront6targetE0EE19radix_bits_per_passE, 4

	.protected	_ZN7rocprim17ROCPRIM_400000_NS16block_radix_sortIiLj256ELj2ElLj1ELj1ELj8ELNS0_26block_radix_rank_algorithmE2ELNS0_18block_padding_hintE2ELNS0_4arch9wavefront6targetE0EE19radix_bits_per_passE ; @_ZN7rocprim17ROCPRIM_400000_NS16block_radix_sortIiLj256ELj2ElLj1ELj1ELj8ELNS0_26block_radix_rank_algorithmE2ELNS0_18block_padding_hintE2ELNS0_4arch9wavefront6targetE0EE19radix_bits_per_passE
	.type	_ZN7rocprim17ROCPRIM_400000_NS16block_radix_sortIiLj256ELj2ElLj1ELj1ELj8ELNS0_26block_radix_rank_algorithmE2ELNS0_18block_padding_hintE2ELNS0_4arch9wavefront6targetE0EE19radix_bits_per_passE,@object
	.section	.rodata._ZN7rocprim17ROCPRIM_400000_NS16block_radix_sortIiLj256ELj2ElLj1ELj1ELj8ELNS0_26block_radix_rank_algorithmE2ELNS0_18block_padding_hintE2ELNS0_4arch9wavefront6targetE0EE19radix_bits_per_passE,"aG",@progbits,_ZN7rocprim17ROCPRIM_400000_NS16block_radix_sortIiLj256ELj2ElLj1ELj1ELj8ELNS0_26block_radix_rank_algorithmE2ELNS0_18block_padding_hintE2ELNS0_4arch9wavefront6targetE0EE19radix_bits_per_passE,comdat
	.weak	_ZN7rocprim17ROCPRIM_400000_NS16block_radix_sortIiLj256ELj2ElLj1ELj1ELj8ELNS0_26block_radix_rank_algorithmE2ELNS0_18block_padding_hintE2ELNS0_4arch9wavefront6targetE0EE19radix_bits_per_passE
	.p2align	2, 0x0
_ZN7rocprim17ROCPRIM_400000_NS16block_radix_sortIiLj256ELj2ElLj1ELj1ELj8ELNS0_26block_radix_rank_algorithmE2ELNS0_18block_padding_hintE2ELNS0_4arch9wavefront6targetE0EE19radix_bits_per_passE:
	.long	8                               ; 0x8
	.size	_ZN7rocprim17ROCPRIM_400000_NS16block_radix_sortIiLj256ELj2ElLj1ELj1ELj8ELNS0_26block_radix_rank_algorithmE2ELNS0_18block_padding_hintE2ELNS0_4arch9wavefront6targetE0EE19radix_bits_per_passE, 4

	.protected	_ZN7rocprim17ROCPRIM_400000_NS16block_radix_sortIiLj256ELj4ElLj1ELj1ELj8ELNS0_26block_radix_rank_algorithmE2ELNS0_18block_padding_hintE2ELNS0_4arch9wavefront6targetE0EE19radix_bits_per_passE ; @_ZN7rocprim17ROCPRIM_400000_NS16block_radix_sortIiLj256ELj4ElLj1ELj1ELj8ELNS0_26block_radix_rank_algorithmE2ELNS0_18block_padding_hintE2ELNS0_4arch9wavefront6targetE0EE19radix_bits_per_passE
	.type	_ZN7rocprim17ROCPRIM_400000_NS16block_radix_sortIiLj256ELj4ElLj1ELj1ELj8ELNS0_26block_radix_rank_algorithmE2ELNS0_18block_padding_hintE2ELNS0_4arch9wavefront6targetE0EE19radix_bits_per_passE,@object
	.section	.rodata._ZN7rocprim17ROCPRIM_400000_NS16block_radix_sortIiLj256ELj4ElLj1ELj1ELj8ELNS0_26block_radix_rank_algorithmE2ELNS0_18block_padding_hintE2ELNS0_4arch9wavefront6targetE0EE19radix_bits_per_passE,"aG",@progbits,_ZN7rocprim17ROCPRIM_400000_NS16block_radix_sortIiLj256ELj4ElLj1ELj1ELj8ELNS0_26block_radix_rank_algorithmE2ELNS0_18block_padding_hintE2ELNS0_4arch9wavefront6targetE0EE19radix_bits_per_passE,comdat
	.weak	_ZN7rocprim17ROCPRIM_400000_NS16block_radix_sortIiLj256ELj4ElLj1ELj1ELj8ELNS0_26block_radix_rank_algorithmE2ELNS0_18block_padding_hintE2ELNS0_4arch9wavefront6targetE0EE19radix_bits_per_passE
	.p2align	2, 0x0
_ZN7rocprim17ROCPRIM_400000_NS16block_radix_sortIiLj256ELj4ElLj1ELj1ELj8ELNS0_26block_radix_rank_algorithmE2ELNS0_18block_padding_hintE2ELNS0_4arch9wavefront6targetE0EE19radix_bits_per_passE:
	.long	8                               ; 0x8
	.size	_ZN7rocprim17ROCPRIM_400000_NS16block_radix_sortIiLj256ELj4ElLj1ELj1ELj8ELNS0_26block_radix_rank_algorithmE2ELNS0_18block_padding_hintE2ELNS0_4arch9wavefront6targetE0EE19radix_bits_per_passE, 4

	.protected	_ZN7rocprim17ROCPRIM_400000_NS16block_radix_sortIiLj256ELj8ElLj1ELj1ELj8ELNS0_26block_radix_rank_algorithmE2ELNS0_18block_padding_hintE2ELNS0_4arch9wavefront6targetE0EE19radix_bits_per_passE ; @_ZN7rocprim17ROCPRIM_400000_NS16block_radix_sortIiLj256ELj8ElLj1ELj1ELj8ELNS0_26block_radix_rank_algorithmE2ELNS0_18block_padding_hintE2ELNS0_4arch9wavefront6targetE0EE19radix_bits_per_passE
	.type	_ZN7rocprim17ROCPRIM_400000_NS16block_radix_sortIiLj256ELj8ElLj1ELj1ELj8ELNS0_26block_radix_rank_algorithmE2ELNS0_18block_padding_hintE2ELNS0_4arch9wavefront6targetE0EE19radix_bits_per_passE,@object
	.section	.rodata._ZN7rocprim17ROCPRIM_400000_NS16block_radix_sortIiLj256ELj8ElLj1ELj1ELj8ELNS0_26block_radix_rank_algorithmE2ELNS0_18block_padding_hintE2ELNS0_4arch9wavefront6targetE0EE19radix_bits_per_passE,"aG",@progbits,_ZN7rocprim17ROCPRIM_400000_NS16block_radix_sortIiLj256ELj8ElLj1ELj1ELj8ELNS0_26block_radix_rank_algorithmE2ELNS0_18block_padding_hintE2ELNS0_4arch9wavefront6targetE0EE19radix_bits_per_passE,comdat
	.weak	_ZN7rocprim17ROCPRIM_400000_NS16block_radix_sortIiLj256ELj8ElLj1ELj1ELj8ELNS0_26block_radix_rank_algorithmE2ELNS0_18block_padding_hintE2ELNS0_4arch9wavefront6targetE0EE19radix_bits_per_passE
	.p2align	2, 0x0
_ZN7rocprim17ROCPRIM_400000_NS16block_radix_sortIiLj256ELj8ElLj1ELj1ELj8ELNS0_26block_radix_rank_algorithmE2ELNS0_18block_padding_hintE2ELNS0_4arch9wavefront6targetE0EE19radix_bits_per_passE:
	.long	8                               ; 0x8
	.size	_ZN7rocprim17ROCPRIM_400000_NS16block_radix_sortIiLj256ELj8ElLj1ELj1ELj8ELNS0_26block_radix_rank_algorithmE2ELNS0_18block_padding_hintE2ELNS0_4arch9wavefront6targetE0EE19radix_bits_per_passE, 4

	.protected	_ZN7rocprim17ROCPRIM_400000_NS16block_radix_sortIiLj256ELj16ElLj1ELj1ELj8ELNS0_26block_radix_rank_algorithmE2ELNS0_18block_padding_hintE2ELNS0_4arch9wavefront6targetE0EE19radix_bits_per_passE ; @_ZN7rocprim17ROCPRIM_400000_NS16block_radix_sortIiLj256ELj16ElLj1ELj1ELj8ELNS0_26block_radix_rank_algorithmE2ELNS0_18block_padding_hintE2ELNS0_4arch9wavefront6targetE0EE19radix_bits_per_passE
	.type	_ZN7rocprim17ROCPRIM_400000_NS16block_radix_sortIiLj256ELj16ElLj1ELj1ELj8ELNS0_26block_radix_rank_algorithmE2ELNS0_18block_padding_hintE2ELNS0_4arch9wavefront6targetE0EE19radix_bits_per_passE,@object
	.section	.rodata._ZN7rocprim17ROCPRIM_400000_NS16block_radix_sortIiLj256ELj16ElLj1ELj1ELj8ELNS0_26block_radix_rank_algorithmE2ELNS0_18block_padding_hintE2ELNS0_4arch9wavefront6targetE0EE19radix_bits_per_passE,"aG",@progbits,_ZN7rocprim17ROCPRIM_400000_NS16block_radix_sortIiLj256ELj16ElLj1ELj1ELj8ELNS0_26block_radix_rank_algorithmE2ELNS0_18block_padding_hintE2ELNS0_4arch9wavefront6targetE0EE19radix_bits_per_passE,comdat
	.weak	_ZN7rocprim17ROCPRIM_400000_NS16block_radix_sortIiLj256ELj16ElLj1ELj1ELj8ELNS0_26block_radix_rank_algorithmE2ELNS0_18block_padding_hintE2ELNS0_4arch9wavefront6targetE0EE19radix_bits_per_passE
	.p2align	2, 0x0
_ZN7rocprim17ROCPRIM_400000_NS16block_radix_sortIiLj256ELj16ElLj1ELj1ELj8ELNS0_26block_radix_rank_algorithmE2ELNS0_18block_padding_hintE2ELNS0_4arch9wavefront6targetE0EE19radix_bits_per_passE:
	.long	8                               ; 0x8
	.size	_ZN7rocprim17ROCPRIM_400000_NS16block_radix_sortIiLj256ELj16ElLj1ELj1ELj8ELNS0_26block_radix_rank_algorithmE2ELNS0_18block_padding_hintE2ELNS0_4arch9wavefront6targetE0EE19radix_bits_per_passE, 4

	.protected	_ZN7rocprim17ROCPRIM_400000_NS16block_radix_sortIlLj256ELj1ElLj1ELj1ELj8ELNS0_26block_radix_rank_algorithmE2ELNS0_18block_padding_hintE2ELNS0_4arch9wavefront6targetE0EE19radix_bits_per_passE ; @_ZN7rocprim17ROCPRIM_400000_NS16block_radix_sortIlLj256ELj1ElLj1ELj1ELj8ELNS0_26block_radix_rank_algorithmE2ELNS0_18block_padding_hintE2ELNS0_4arch9wavefront6targetE0EE19radix_bits_per_passE
	.type	_ZN7rocprim17ROCPRIM_400000_NS16block_radix_sortIlLj256ELj1ElLj1ELj1ELj8ELNS0_26block_radix_rank_algorithmE2ELNS0_18block_padding_hintE2ELNS0_4arch9wavefront6targetE0EE19radix_bits_per_passE,@object
	.section	.rodata._ZN7rocprim17ROCPRIM_400000_NS16block_radix_sortIlLj256ELj1ElLj1ELj1ELj8ELNS0_26block_radix_rank_algorithmE2ELNS0_18block_padding_hintE2ELNS0_4arch9wavefront6targetE0EE19radix_bits_per_passE,"aG",@progbits,_ZN7rocprim17ROCPRIM_400000_NS16block_radix_sortIlLj256ELj1ElLj1ELj1ELj8ELNS0_26block_radix_rank_algorithmE2ELNS0_18block_padding_hintE2ELNS0_4arch9wavefront6targetE0EE19radix_bits_per_passE,comdat
	.weak	_ZN7rocprim17ROCPRIM_400000_NS16block_radix_sortIlLj256ELj1ElLj1ELj1ELj8ELNS0_26block_radix_rank_algorithmE2ELNS0_18block_padding_hintE2ELNS0_4arch9wavefront6targetE0EE19radix_bits_per_passE
	.p2align	2, 0x0
_ZN7rocprim17ROCPRIM_400000_NS16block_radix_sortIlLj256ELj1ElLj1ELj1ELj8ELNS0_26block_radix_rank_algorithmE2ELNS0_18block_padding_hintE2ELNS0_4arch9wavefront6targetE0EE19radix_bits_per_passE:
	.long	8                               ; 0x8
	.size	_ZN7rocprim17ROCPRIM_400000_NS16block_radix_sortIlLj256ELj1ElLj1ELj1ELj8ELNS0_26block_radix_rank_algorithmE2ELNS0_18block_padding_hintE2ELNS0_4arch9wavefront6targetE0EE19radix_bits_per_passE, 4

	.protected	_ZN7rocprim17ROCPRIM_400000_NS16block_radix_sortIlLj256ELj2ElLj1ELj1ELj8ELNS0_26block_radix_rank_algorithmE2ELNS0_18block_padding_hintE2ELNS0_4arch9wavefront6targetE0EE19radix_bits_per_passE ; @_ZN7rocprim17ROCPRIM_400000_NS16block_radix_sortIlLj256ELj2ElLj1ELj1ELj8ELNS0_26block_radix_rank_algorithmE2ELNS0_18block_padding_hintE2ELNS0_4arch9wavefront6targetE0EE19radix_bits_per_passE
	.type	_ZN7rocprim17ROCPRIM_400000_NS16block_radix_sortIlLj256ELj2ElLj1ELj1ELj8ELNS0_26block_radix_rank_algorithmE2ELNS0_18block_padding_hintE2ELNS0_4arch9wavefront6targetE0EE19radix_bits_per_passE,@object
	.section	.rodata._ZN7rocprim17ROCPRIM_400000_NS16block_radix_sortIlLj256ELj2ElLj1ELj1ELj8ELNS0_26block_radix_rank_algorithmE2ELNS0_18block_padding_hintE2ELNS0_4arch9wavefront6targetE0EE19radix_bits_per_passE,"aG",@progbits,_ZN7rocprim17ROCPRIM_400000_NS16block_radix_sortIlLj256ELj2ElLj1ELj1ELj8ELNS0_26block_radix_rank_algorithmE2ELNS0_18block_padding_hintE2ELNS0_4arch9wavefront6targetE0EE19radix_bits_per_passE,comdat
	.weak	_ZN7rocprim17ROCPRIM_400000_NS16block_radix_sortIlLj256ELj2ElLj1ELj1ELj8ELNS0_26block_radix_rank_algorithmE2ELNS0_18block_padding_hintE2ELNS0_4arch9wavefront6targetE0EE19radix_bits_per_passE
	.p2align	2, 0x0
_ZN7rocprim17ROCPRIM_400000_NS16block_radix_sortIlLj256ELj2ElLj1ELj1ELj8ELNS0_26block_radix_rank_algorithmE2ELNS0_18block_padding_hintE2ELNS0_4arch9wavefront6targetE0EE19radix_bits_per_passE:
	.long	8                               ; 0x8
	.size	_ZN7rocprim17ROCPRIM_400000_NS16block_radix_sortIlLj256ELj2ElLj1ELj1ELj8ELNS0_26block_radix_rank_algorithmE2ELNS0_18block_padding_hintE2ELNS0_4arch9wavefront6targetE0EE19radix_bits_per_passE, 4

	.protected	_ZN7rocprim17ROCPRIM_400000_NS16block_radix_sortIlLj256ELj4ElLj1ELj1ELj8ELNS0_26block_radix_rank_algorithmE2ELNS0_18block_padding_hintE2ELNS0_4arch9wavefront6targetE0EE19radix_bits_per_passE ; @_ZN7rocprim17ROCPRIM_400000_NS16block_radix_sortIlLj256ELj4ElLj1ELj1ELj8ELNS0_26block_radix_rank_algorithmE2ELNS0_18block_padding_hintE2ELNS0_4arch9wavefront6targetE0EE19radix_bits_per_passE
	.type	_ZN7rocprim17ROCPRIM_400000_NS16block_radix_sortIlLj256ELj4ElLj1ELj1ELj8ELNS0_26block_radix_rank_algorithmE2ELNS0_18block_padding_hintE2ELNS0_4arch9wavefront6targetE0EE19radix_bits_per_passE,@object
	.section	.rodata._ZN7rocprim17ROCPRIM_400000_NS16block_radix_sortIlLj256ELj4ElLj1ELj1ELj8ELNS0_26block_radix_rank_algorithmE2ELNS0_18block_padding_hintE2ELNS0_4arch9wavefront6targetE0EE19radix_bits_per_passE,"aG",@progbits,_ZN7rocprim17ROCPRIM_400000_NS16block_radix_sortIlLj256ELj4ElLj1ELj1ELj8ELNS0_26block_radix_rank_algorithmE2ELNS0_18block_padding_hintE2ELNS0_4arch9wavefront6targetE0EE19radix_bits_per_passE,comdat
	.weak	_ZN7rocprim17ROCPRIM_400000_NS16block_radix_sortIlLj256ELj4ElLj1ELj1ELj8ELNS0_26block_radix_rank_algorithmE2ELNS0_18block_padding_hintE2ELNS0_4arch9wavefront6targetE0EE19radix_bits_per_passE
	.p2align	2, 0x0
_ZN7rocprim17ROCPRIM_400000_NS16block_radix_sortIlLj256ELj4ElLj1ELj1ELj8ELNS0_26block_radix_rank_algorithmE2ELNS0_18block_padding_hintE2ELNS0_4arch9wavefront6targetE0EE19radix_bits_per_passE:
	.long	8                               ; 0x8
	.size	_ZN7rocprim17ROCPRIM_400000_NS16block_radix_sortIlLj256ELj4ElLj1ELj1ELj8ELNS0_26block_radix_rank_algorithmE2ELNS0_18block_padding_hintE2ELNS0_4arch9wavefront6targetE0EE19radix_bits_per_passE, 4

	.protected	_ZN7rocprim17ROCPRIM_400000_NS16block_radix_sortIlLj256ELj8ElLj1ELj1ELj8ELNS0_26block_radix_rank_algorithmE2ELNS0_18block_padding_hintE2ELNS0_4arch9wavefront6targetE0EE19radix_bits_per_passE ; @_ZN7rocprim17ROCPRIM_400000_NS16block_radix_sortIlLj256ELj8ElLj1ELj1ELj8ELNS0_26block_radix_rank_algorithmE2ELNS0_18block_padding_hintE2ELNS0_4arch9wavefront6targetE0EE19radix_bits_per_passE
	.type	_ZN7rocprim17ROCPRIM_400000_NS16block_radix_sortIlLj256ELj8ElLj1ELj1ELj8ELNS0_26block_radix_rank_algorithmE2ELNS0_18block_padding_hintE2ELNS0_4arch9wavefront6targetE0EE19radix_bits_per_passE,@object
	.section	.rodata._ZN7rocprim17ROCPRIM_400000_NS16block_radix_sortIlLj256ELj8ElLj1ELj1ELj8ELNS0_26block_radix_rank_algorithmE2ELNS0_18block_padding_hintE2ELNS0_4arch9wavefront6targetE0EE19radix_bits_per_passE,"aG",@progbits,_ZN7rocprim17ROCPRIM_400000_NS16block_radix_sortIlLj256ELj8ElLj1ELj1ELj8ELNS0_26block_radix_rank_algorithmE2ELNS0_18block_padding_hintE2ELNS0_4arch9wavefront6targetE0EE19radix_bits_per_passE,comdat
	.weak	_ZN7rocprim17ROCPRIM_400000_NS16block_radix_sortIlLj256ELj8ElLj1ELj1ELj8ELNS0_26block_radix_rank_algorithmE2ELNS0_18block_padding_hintE2ELNS0_4arch9wavefront6targetE0EE19radix_bits_per_passE
	.p2align	2, 0x0
_ZN7rocprim17ROCPRIM_400000_NS16block_radix_sortIlLj256ELj8ElLj1ELj1ELj8ELNS0_26block_radix_rank_algorithmE2ELNS0_18block_padding_hintE2ELNS0_4arch9wavefront6targetE0EE19radix_bits_per_passE:
	.long	8                               ; 0x8
	.size	_ZN7rocprim17ROCPRIM_400000_NS16block_radix_sortIlLj256ELj8ElLj1ELj1ELj8ELNS0_26block_radix_rank_algorithmE2ELNS0_18block_padding_hintE2ELNS0_4arch9wavefront6targetE0EE19radix_bits_per_passE, 4

	.protected	_ZN7rocprim17ROCPRIM_400000_NS16block_radix_sortIlLj256ELj16ElLj1ELj1ELj8ELNS0_26block_radix_rank_algorithmE2ELNS0_18block_padding_hintE2ELNS0_4arch9wavefront6targetE0EE19radix_bits_per_passE ; @_ZN7rocprim17ROCPRIM_400000_NS16block_radix_sortIlLj256ELj16ElLj1ELj1ELj8ELNS0_26block_radix_rank_algorithmE2ELNS0_18block_padding_hintE2ELNS0_4arch9wavefront6targetE0EE19radix_bits_per_passE
	.type	_ZN7rocprim17ROCPRIM_400000_NS16block_radix_sortIlLj256ELj16ElLj1ELj1ELj8ELNS0_26block_radix_rank_algorithmE2ELNS0_18block_padding_hintE2ELNS0_4arch9wavefront6targetE0EE19radix_bits_per_passE,@object
	.section	.rodata._ZN7rocprim17ROCPRIM_400000_NS16block_radix_sortIlLj256ELj16ElLj1ELj1ELj8ELNS0_26block_radix_rank_algorithmE2ELNS0_18block_padding_hintE2ELNS0_4arch9wavefront6targetE0EE19radix_bits_per_passE,"aG",@progbits,_ZN7rocprim17ROCPRIM_400000_NS16block_radix_sortIlLj256ELj16ElLj1ELj1ELj8ELNS0_26block_radix_rank_algorithmE2ELNS0_18block_padding_hintE2ELNS0_4arch9wavefront6targetE0EE19radix_bits_per_passE,comdat
	.weak	_ZN7rocprim17ROCPRIM_400000_NS16block_radix_sortIlLj256ELj16ElLj1ELj1ELj8ELNS0_26block_radix_rank_algorithmE2ELNS0_18block_padding_hintE2ELNS0_4arch9wavefront6targetE0EE19radix_bits_per_passE
	.p2align	2, 0x0
_ZN7rocprim17ROCPRIM_400000_NS16block_radix_sortIlLj256ELj16ElLj1ELj1ELj8ELNS0_26block_radix_rank_algorithmE2ELNS0_18block_padding_hintE2ELNS0_4arch9wavefront6targetE0EE19radix_bits_per_passE:
	.long	8                               ; 0x8
	.size	_ZN7rocprim17ROCPRIM_400000_NS16block_radix_sortIlLj256ELj16ElLj1ELj1ELj8ELNS0_26block_radix_rank_algorithmE2ELNS0_18block_padding_hintE2ELNS0_4arch9wavefront6targetE0EE19radix_bits_per_passE, 4

	.protected	_ZN7rocprim17ROCPRIM_400000_NS16block_radix_sortIsLj256ELj1ElLj1ELj1ELj8ELNS0_26block_radix_rank_algorithmE2ELNS0_18block_padding_hintE2ELNS0_4arch9wavefront6targetE0EE19radix_bits_per_passE ; @_ZN7rocprim17ROCPRIM_400000_NS16block_radix_sortIsLj256ELj1ElLj1ELj1ELj8ELNS0_26block_radix_rank_algorithmE2ELNS0_18block_padding_hintE2ELNS0_4arch9wavefront6targetE0EE19radix_bits_per_passE
	.type	_ZN7rocprim17ROCPRIM_400000_NS16block_radix_sortIsLj256ELj1ElLj1ELj1ELj8ELNS0_26block_radix_rank_algorithmE2ELNS0_18block_padding_hintE2ELNS0_4arch9wavefront6targetE0EE19radix_bits_per_passE,@object
	.section	.rodata._ZN7rocprim17ROCPRIM_400000_NS16block_radix_sortIsLj256ELj1ElLj1ELj1ELj8ELNS0_26block_radix_rank_algorithmE2ELNS0_18block_padding_hintE2ELNS0_4arch9wavefront6targetE0EE19radix_bits_per_passE,"aG",@progbits,_ZN7rocprim17ROCPRIM_400000_NS16block_radix_sortIsLj256ELj1ElLj1ELj1ELj8ELNS0_26block_radix_rank_algorithmE2ELNS0_18block_padding_hintE2ELNS0_4arch9wavefront6targetE0EE19radix_bits_per_passE,comdat
	.weak	_ZN7rocprim17ROCPRIM_400000_NS16block_radix_sortIsLj256ELj1ElLj1ELj1ELj8ELNS0_26block_radix_rank_algorithmE2ELNS0_18block_padding_hintE2ELNS0_4arch9wavefront6targetE0EE19radix_bits_per_passE
	.p2align	2, 0x0
_ZN7rocprim17ROCPRIM_400000_NS16block_radix_sortIsLj256ELj1ElLj1ELj1ELj8ELNS0_26block_radix_rank_algorithmE2ELNS0_18block_padding_hintE2ELNS0_4arch9wavefront6targetE0EE19radix_bits_per_passE:
	.long	8                               ; 0x8
	.size	_ZN7rocprim17ROCPRIM_400000_NS16block_radix_sortIsLj256ELj1ElLj1ELj1ELj8ELNS0_26block_radix_rank_algorithmE2ELNS0_18block_padding_hintE2ELNS0_4arch9wavefront6targetE0EE19radix_bits_per_passE, 4

	.protected	_ZN7rocprim17ROCPRIM_400000_NS16block_radix_sortIsLj256ELj2ElLj1ELj1ELj8ELNS0_26block_radix_rank_algorithmE2ELNS0_18block_padding_hintE2ELNS0_4arch9wavefront6targetE0EE19radix_bits_per_passE ; @_ZN7rocprim17ROCPRIM_400000_NS16block_radix_sortIsLj256ELj2ElLj1ELj1ELj8ELNS0_26block_radix_rank_algorithmE2ELNS0_18block_padding_hintE2ELNS0_4arch9wavefront6targetE0EE19radix_bits_per_passE
	.type	_ZN7rocprim17ROCPRIM_400000_NS16block_radix_sortIsLj256ELj2ElLj1ELj1ELj8ELNS0_26block_radix_rank_algorithmE2ELNS0_18block_padding_hintE2ELNS0_4arch9wavefront6targetE0EE19radix_bits_per_passE,@object
	.section	.rodata._ZN7rocprim17ROCPRIM_400000_NS16block_radix_sortIsLj256ELj2ElLj1ELj1ELj8ELNS0_26block_radix_rank_algorithmE2ELNS0_18block_padding_hintE2ELNS0_4arch9wavefront6targetE0EE19radix_bits_per_passE,"aG",@progbits,_ZN7rocprim17ROCPRIM_400000_NS16block_radix_sortIsLj256ELj2ElLj1ELj1ELj8ELNS0_26block_radix_rank_algorithmE2ELNS0_18block_padding_hintE2ELNS0_4arch9wavefront6targetE0EE19radix_bits_per_passE,comdat
	.weak	_ZN7rocprim17ROCPRIM_400000_NS16block_radix_sortIsLj256ELj2ElLj1ELj1ELj8ELNS0_26block_radix_rank_algorithmE2ELNS0_18block_padding_hintE2ELNS0_4arch9wavefront6targetE0EE19radix_bits_per_passE
	.p2align	2, 0x0
_ZN7rocprim17ROCPRIM_400000_NS16block_radix_sortIsLj256ELj2ElLj1ELj1ELj8ELNS0_26block_radix_rank_algorithmE2ELNS0_18block_padding_hintE2ELNS0_4arch9wavefront6targetE0EE19radix_bits_per_passE:
	.long	8                               ; 0x8
	.size	_ZN7rocprim17ROCPRIM_400000_NS16block_radix_sortIsLj256ELj2ElLj1ELj1ELj8ELNS0_26block_radix_rank_algorithmE2ELNS0_18block_padding_hintE2ELNS0_4arch9wavefront6targetE0EE19radix_bits_per_passE, 4

	.protected	_ZN7rocprim17ROCPRIM_400000_NS16block_radix_sortIsLj256ELj4ElLj1ELj1ELj8ELNS0_26block_radix_rank_algorithmE2ELNS0_18block_padding_hintE2ELNS0_4arch9wavefront6targetE0EE19radix_bits_per_passE ; @_ZN7rocprim17ROCPRIM_400000_NS16block_radix_sortIsLj256ELj4ElLj1ELj1ELj8ELNS0_26block_radix_rank_algorithmE2ELNS0_18block_padding_hintE2ELNS0_4arch9wavefront6targetE0EE19radix_bits_per_passE
	.type	_ZN7rocprim17ROCPRIM_400000_NS16block_radix_sortIsLj256ELj4ElLj1ELj1ELj8ELNS0_26block_radix_rank_algorithmE2ELNS0_18block_padding_hintE2ELNS0_4arch9wavefront6targetE0EE19radix_bits_per_passE,@object
	.section	.rodata._ZN7rocprim17ROCPRIM_400000_NS16block_radix_sortIsLj256ELj4ElLj1ELj1ELj8ELNS0_26block_radix_rank_algorithmE2ELNS0_18block_padding_hintE2ELNS0_4arch9wavefront6targetE0EE19radix_bits_per_passE,"aG",@progbits,_ZN7rocprim17ROCPRIM_400000_NS16block_radix_sortIsLj256ELj4ElLj1ELj1ELj8ELNS0_26block_radix_rank_algorithmE2ELNS0_18block_padding_hintE2ELNS0_4arch9wavefront6targetE0EE19radix_bits_per_passE,comdat
	.weak	_ZN7rocprim17ROCPRIM_400000_NS16block_radix_sortIsLj256ELj4ElLj1ELj1ELj8ELNS0_26block_radix_rank_algorithmE2ELNS0_18block_padding_hintE2ELNS0_4arch9wavefront6targetE0EE19radix_bits_per_passE
	.p2align	2, 0x0
_ZN7rocprim17ROCPRIM_400000_NS16block_radix_sortIsLj256ELj4ElLj1ELj1ELj8ELNS0_26block_radix_rank_algorithmE2ELNS0_18block_padding_hintE2ELNS0_4arch9wavefront6targetE0EE19radix_bits_per_passE:
	.long	8                               ; 0x8
	.size	_ZN7rocprim17ROCPRIM_400000_NS16block_radix_sortIsLj256ELj4ElLj1ELj1ELj8ELNS0_26block_radix_rank_algorithmE2ELNS0_18block_padding_hintE2ELNS0_4arch9wavefront6targetE0EE19radix_bits_per_passE, 4

	.protected	_ZN7rocprim17ROCPRIM_400000_NS16block_radix_sortIsLj256ELj8ElLj1ELj1ELj8ELNS0_26block_radix_rank_algorithmE2ELNS0_18block_padding_hintE2ELNS0_4arch9wavefront6targetE0EE19radix_bits_per_passE ; @_ZN7rocprim17ROCPRIM_400000_NS16block_radix_sortIsLj256ELj8ElLj1ELj1ELj8ELNS0_26block_radix_rank_algorithmE2ELNS0_18block_padding_hintE2ELNS0_4arch9wavefront6targetE0EE19radix_bits_per_passE
	.type	_ZN7rocprim17ROCPRIM_400000_NS16block_radix_sortIsLj256ELj8ElLj1ELj1ELj8ELNS0_26block_radix_rank_algorithmE2ELNS0_18block_padding_hintE2ELNS0_4arch9wavefront6targetE0EE19radix_bits_per_passE,@object
	.section	.rodata._ZN7rocprim17ROCPRIM_400000_NS16block_radix_sortIsLj256ELj8ElLj1ELj1ELj8ELNS0_26block_radix_rank_algorithmE2ELNS0_18block_padding_hintE2ELNS0_4arch9wavefront6targetE0EE19radix_bits_per_passE,"aG",@progbits,_ZN7rocprim17ROCPRIM_400000_NS16block_radix_sortIsLj256ELj8ElLj1ELj1ELj8ELNS0_26block_radix_rank_algorithmE2ELNS0_18block_padding_hintE2ELNS0_4arch9wavefront6targetE0EE19radix_bits_per_passE,comdat
	.weak	_ZN7rocprim17ROCPRIM_400000_NS16block_radix_sortIsLj256ELj8ElLj1ELj1ELj8ELNS0_26block_radix_rank_algorithmE2ELNS0_18block_padding_hintE2ELNS0_4arch9wavefront6targetE0EE19radix_bits_per_passE
	.p2align	2, 0x0
_ZN7rocprim17ROCPRIM_400000_NS16block_radix_sortIsLj256ELj8ElLj1ELj1ELj8ELNS0_26block_radix_rank_algorithmE2ELNS0_18block_padding_hintE2ELNS0_4arch9wavefront6targetE0EE19radix_bits_per_passE:
	.long	8                               ; 0x8
	.size	_ZN7rocprim17ROCPRIM_400000_NS16block_radix_sortIsLj256ELj8ElLj1ELj1ELj8ELNS0_26block_radix_rank_algorithmE2ELNS0_18block_padding_hintE2ELNS0_4arch9wavefront6targetE0EE19radix_bits_per_passE, 4

	.protected	_ZN7rocprim17ROCPRIM_400000_NS16block_radix_sortIsLj256ELj17ElLj1ELj1ELj8ELNS0_26block_radix_rank_algorithmE2ELNS0_18block_padding_hintE2ELNS0_4arch9wavefront6targetE0EE19radix_bits_per_passE ; @_ZN7rocprim17ROCPRIM_400000_NS16block_radix_sortIsLj256ELj17ElLj1ELj1ELj8ELNS0_26block_radix_rank_algorithmE2ELNS0_18block_padding_hintE2ELNS0_4arch9wavefront6targetE0EE19radix_bits_per_passE
	.type	_ZN7rocprim17ROCPRIM_400000_NS16block_radix_sortIsLj256ELj17ElLj1ELj1ELj8ELNS0_26block_radix_rank_algorithmE2ELNS0_18block_padding_hintE2ELNS0_4arch9wavefront6targetE0EE19radix_bits_per_passE,@object
	.section	.rodata._ZN7rocprim17ROCPRIM_400000_NS16block_radix_sortIsLj256ELj17ElLj1ELj1ELj8ELNS0_26block_radix_rank_algorithmE2ELNS0_18block_padding_hintE2ELNS0_4arch9wavefront6targetE0EE19radix_bits_per_passE,"aG",@progbits,_ZN7rocprim17ROCPRIM_400000_NS16block_radix_sortIsLj256ELj17ElLj1ELj1ELj8ELNS0_26block_radix_rank_algorithmE2ELNS0_18block_padding_hintE2ELNS0_4arch9wavefront6targetE0EE19radix_bits_per_passE,comdat
	.weak	_ZN7rocprim17ROCPRIM_400000_NS16block_radix_sortIsLj256ELj17ElLj1ELj1ELj8ELNS0_26block_radix_rank_algorithmE2ELNS0_18block_padding_hintE2ELNS0_4arch9wavefront6targetE0EE19radix_bits_per_passE
	.p2align	2, 0x0
_ZN7rocprim17ROCPRIM_400000_NS16block_radix_sortIsLj256ELj17ElLj1ELj1ELj8ELNS0_26block_radix_rank_algorithmE2ELNS0_18block_padding_hintE2ELNS0_4arch9wavefront6targetE0EE19radix_bits_per_passE:
	.long	8                               ; 0x8
	.size	_ZN7rocprim17ROCPRIM_400000_NS16block_radix_sortIsLj256ELj17ElLj1ELj1ELj8ELNS0_26block_radix_rank_algorithmE2ELNS0_18block_padding_hintE2ELNS0_4arch9wavefront6targetE0EE19radix_bits_per_passE, 4

	.protected	_ZN7rocprim17ROCPRIM_400000_NS16block_radix_sortIdLj256ELj1ElLj1ELj1ELj8ELNS0_26block_radix_rank_algorithmE2ELNS0_18block_padding_hintE2ELNS0_4arch9wavefront6targetE0EE19radix_bits_per_passE ; @_ZN7rocprim17ROCPRIM_400000_NS16block_radix_sortIdLj256ELj1ElLj1ELj1ELj8ELNS0_26block_radix_rank_algorithmE2ELNS0_18block_padding_hintE2ELNS0_4arch9wavefront6targetE0EE19radix_bits_per_passE
	.type	_ZN7rocprim17ROCPRIM_400000_NS16block_radix_sortIdLj256ELj1ElLj1ELj1ELj8ELNS0_26block_radix_rank_algorithmE2ELNS0_18block_padding_hintE2ELNS0_4arch9wavefront6targetE0EE19radix_bits_per_passE,@object
	.section	.rodata._ZN7rocprim17ROCPRIM_400000_NS16block_radix_sortIdLj256ELj1ElLj1ELj1ELj8ELNS0_26block_radix_rank_algorithmE2ELNS0_18block_padding_hintE2ELNS0_4arch9wavefront6targetE0EE19radix_bits_per_passE,"aG",@progbits,_ZN7rocprim17ROCPRIM_400000_NS16block_radix_sortIdLj256ELj1ElLj1ELj1ELj8ELNS0_26block_radix_rank_algorithmE2ELNS0_18block_padding_hintE2ELNS0_4arch9wavefront6targetE0EE19radix_bits_per_passE,comdat
	.weak	_ZN7rocprim17ROCPRIM_400000_NS16block_radix_sortIdLj256ELj1ElLj1ELj1ELj8ELNS0_26block_radix_rank_algorithmE2ELNS0_18block_padding_hintE2ELNS0_4arch9wavefront6targetE0EE19radix_bits_per_passE
	.p2align	2, 0x0
_ZN7rocprim17ROCPRIM_400000_NS16block_radix_sortIdLj256ELj1ElLj1ELj1ELj8ELNS0_26block_radix_rank_algorithmE2ELNS0_18block_padding_hintE2ELNS0_4arch9wavefront6targetE0EE19radix_bits_per_passE:
	.long	8                               ; 0x8
	.size	_ZN7rocprim17ROCPRIM_400000_NS16block_radix_sortIdLj256ELj1ElLj1ELj1ELj8ELNS0_26block_radix_rank_algorithmE2ELNS0_18block_padding_hintE2ELNS0_4arch9wavefront6targetE0EE19radix_bits_per_passE, 4

	.protected	_ZN7rocprim17ROCPRIM_400000_NS16block_radix_sortIdLj256ELj2ElLj1ELj1ELj8ELNS0_26block_radix_rank_algorithmE2ELNS0_18block_padding_hintE2ELNS0_4arch9wavefront6targetE0EE19radix_bits_per_passE ; @_ZN7rocprim17ROCPRIM_400000_NS16block_radix_sortIdLj256ELj2ElLj1ELj1ELj8ELNS0_26block_radix_rank_algorithmE2ELNS0_18block_padding_hintE2ELNS0_4arch9wavefront6targetE0EE19radix_bits_per_passE
	.type	_ZN7rocprim17ROCPRIM_400000_NS16block_radix_sortIdLj256ELj2ElLj1ELj1ELj8ELNS0_26block_radix_rank_algorithmE2ELNS0_18block_padding_hintE2ELNS0_4arch9wavefront6targetE0EE19radix_bits_per_passE,@object
	.section	.rodata._ZN7rocprim17ROCPRIM_400000_NS16block_radix_sortIdLj256ELj2ElLj1ELj1ELj8ELNS0_26block_radix_rank_algorithmE2ELNS0_18block_padding_hintE2ELNS0_4arch9wavefront6targetE0EE19radix_bits_per_passE,"aG",@progbits,_ZN7rocprim17ROCPRIM_400000_NS16block_radix_sortIdLj256ELj2ElLj1ELj1ELj8ELNS0_26block_radix_rank_algorithmE2ELNS0_18block_padding_hintE2ELNS0_4arch9wavefront6targetE0EE19radix_bits_per_passE,comdat
	.weak	_ZN7rocprim17ROCPRIM_400000_NS16block_radix_sortIdLj256ELj2ElLj1ELj1ELj8ELNS0_26block_radix_rank_algorithmE2ELNS0_18block_padding_hintE2ELNS0_4arch9wavefront6targetE0EE19radix_bits_per_passE
	.p2align	2, 0x0
_ZN7rocprim17ROCPRIM_400000_NS16block_radix_sortIdLj256ELj2ElLj1ELj1ELj8ELNS0_26block_radix_rank_algorithmE2ELNS0_18block_padding_hintE2ELNS0_4arch9wavefront6targetE0EE19radix_bits_per_passE:
	.long	8                               ; 0x8
	.size	_ZN7rocprim17ROCPRIM_400000_NS16block_radix_sortIdLj256ELj2ElLj1ELj1ELj8ELNS0_26block_radix_rank_algorithmE2ELNS0_18block_padding_hintE2ELNS0_4arch9wavefront6targetE0EE19radix_bits_per_passE, 4

	.protected	_ZN7rocprim17ROCPRIM_400000_NS16block_radix_sortIdLj256ELj4ElLj1ELj1ELj8ELNS0_26block_radix_rank_algorithmE2ELNS0_18block_padding_hintE2ELNS0_4arch9wavefront6targetE0EE19radix_bits_per_passE ; @_ZN7rocprim17ROCPRIM_400000_NS16block_radix_sortIdLj256ELj4ElLj1ELj1ELj8ELNS0_26block_radix_rank_algorithmE2ELNS0_18block_padding_hintE2ELNS0_4arch9wavefront6targetE0EE19radix_bits_per_passE
	.type	_ZN7rocprim17ROCPRIM_400000_NS16block_radix_sortIdLj256ELj4ElLj1ELj1ELj8ELNS0_26block_radix_rank_algorithmE2ELNS0_18block_padding_hintE2ELNS0_4arch9wavefront6targetE0EE19radix_bits_per_passE,@object
	.section	.rodata._ZN7rocprim17ROCPRIM_400000_NS16block_radix_sortIdLj256ELj4ElLj1ELj1ELj8ELNS0_26block_radix_rank_algorithmE2ELNS0_18block_padding_hintE2ELNS0_4arch9wavefront6targetE0EE19radix_bits_per_passE,"aG",@progbits,_ZN7rocprim17ROCPRIM_400000_NS16block_radix_sortIdLj256ELj4ElLj1ELj1ELj8ELNS0_26block_radix_rank_algorithmE2ELNS0_18block_padding_hintE2ELNS0_4arch9wavefront6targetE0EE19radix_bits_per_passE,comdat
	.weak	_ZN7rocprim17ROCPRIM_400000_NS16block_radix_sortIdLj256ELj4ElLj1ELj1ELj8ELNS0_26block_radix_rank_algorithmE2ELNS0_18block_padding_hintE2ELNS0_4arch9wavefront6targetE0EE19radix_bits_per_passE
	.p2align	2, 0x0
_ZN7rocprim17ROCPRIM_400000_NS16block_radix_sortIdLj256ELj4ElLj1ELj1ELj8ELNS0_26block_radix_rank_algorithmE2ELNS0_18block_padding_hintE2ELNS0_4arch9wavefront6targetE0EE19radix_bits_per_passE:
	.long	8                               ; 0x8
	.size	_ZN7rocprim17ROCPRIM_400000_NS16block_radix_sortIdLj256ELj4ElLj1ELj1ELj8ELNS0_26block_radix_rank_algorithmE2ELNS0_18block_padding_hintE2ELNS0_4arch9wavefront6targetE0EE19radix_bits_per_passE, 4

	.protected	_ZN7rocprim17ROCPRIM_400000_NS16block_radix_sortIdLj256ELj8ElLj1ELj1ELj8ELNS0_26block_radix_rank_algorithmE2ELNS0_18block_padding_hintE2ELNS0_4arch9wavefront6targetE0EE19radix_bits_per_passE ; @_ZN7rocprim17ROCPRIM_400000_NS16block_radix_sortIdLj256ELj8ElLj1ELj1ELj8ELNS0_26block_radix_rank_algorithmE2ELNS0_18block_padding_hintE2ELNS0_4arch9wavefront6targetE0EE19radix_bits_per_passE
	.type	_ZN7rocprim17ROCPRIM_400000_NS16block_radix_sortIdLj256ELj8ElLj1ELj1ELj8ELNS0_26block_radix_rank_algorithmE2ELNS0_18block_padding_hintE2ELNS0_4arch9wavefront6targetE0EE19radix_bits_per_passE,@object
	.section	.rodata._ZN7rocprim17ROCPRIM_400000_NS16block_radix_sortIdLj256ELj8ElLj1ELj1ELj8ELNS0_26block_radix_rank_algorithmE2ELNS0_18block_padding_hintE2ELNS0_4arch9wavefront6targetE0EE19radix_bits_per_passE,"aG",@progbits,_ZN7rocprim17ROCPRIM_400000_NS16block_radix_sortIdLj256ELj8ElLj1ELj1ELj8ELNS0_26block_radix_rank_algorithmE2ELNS0_18block_padding_hintE2ELNS0_4arch9wavefront6targetE0EE19radix_bits_per_passE,comdat
	.weak	_ZN7rocprim17ROCPRIM_400000_NS16block_radix_sortIdLj256ELj8ElLj1ELj1ELj8ELNS0_26block_radix_rank_algorithmE2ELNS0_18block_padding_hintE2ELNS0_4arch9wavefront6targetE0EE19radix_bits_per_passE
	.p2align	2, 0x0
_ZN7rocprim17ROCPRIM_400000_NS16block_radix_sortIdLj256ELj8ElLj1ELj1ELj8ELNS0_26block_radix_rank_algorithmE2ELNS0_18block_padding_hintE2ELNS0_4arch9wavefront6targetE0EE19radix_bits_per_passE:
	.long	8                               ; 0x8
	.size	_ZN7rocprim17ROCPRIM_400000_NS16block_radix_sortIdLj256ELj8ElLj1ELj1ELj8ELNS0_26block_radix_rank_algorithmE2ELNS0_18block_padding_hintE2ELNS0_4arch9wavefront6targetE0EE19radix_bits_per_passE, 4

	.protected	_ZN7rocprim17ROCPRIM_400000_NS16block_radix_sortIdLj256ELj16ElLj1ELj1ELj8ELNS0_26block_radix_rank_algorithmE2ELNS0_18block_padding_hintE2ELNS0_4arch9wavefront6targetE0EE19radix_bits_per_passE ; @_ZN7rocprim17ROCPRIM_400000_NS16block_radix_sortIdLj256ELj16ElLj1ELj1ELj8ELNS0_26block_radix_rank_algorithmE2ELNS0_18block_padding_hintE2ELNS0_4arch9wavefront6targetE0EE19radix_bits_per_passE
	.type	_ZN7rocprim17ROCPRIM_400000_NS16block_radix_sortIdLj256ELj16ElLj1ELj1ELj8ELNS0_26block_radix_rank_algorithmE2ELNS0_18block_padding_hintE2ELNS0_4arch9wavefront6targetE0EE19radix_bits_per_passE,@object
	.section	.rodata._ZN7rocprim17ROCPRIM_400000_NS16block_radix_sortIdLj256ELj16ElLj1ELj1ELj8ELNS0_26block_radix_rank_algorithmE2ELNS0_18block_padding_hintE2ELNS0_4arch9wavefront6targetE0EE19radix_bits_per_passE,"aG",@progbits,_ZN7rocprim17ROCPRIM_400000_NS16block_radix_sortIdLj256ELj16ElLj1ELj1ELj8ELNS0_26block_radix_rank_algorithmE2ELNS0_18block_padding_hintE2ELNS0_4arch9wavefront6targetE0EE19radix_bits_per_passE,comdat
	.weak	_ZN7rocprim17ROCPRIM_400000_NS16block_radix_sortIdLj256ELj16ElLj1ELj1ELj8ELNS0_26block_radix_rank_algorithmE2ELNS0_18block_padding_hintE2ELNS0_4arch9wavefront6targetE0EE19radix_bits_per_passE
	.p2align	2, 0x0
_ZN7rocprim17ROCPRIM_400000_NS16block_radix_sortIdLj256ELj16ElLj1ELj1ELj8ELNS0_26block_radix_rank_algorithmE2ELNS0_18block_padding_hintE2ELNS0_4arch9wavefront6targetE0EE19radix_bits_per_passE:
	.long	8                               ; 0x8
	.size	_ZN7rocprim17ROCPRIM_400000_NS16block_radix_sortIdLj256ELj16ElLj1ELj1ELj8ELNS0_26block_radix_rank_algorithmE2ELNS0_18block_padding_hintE2ELNS0_4arch9wavefront6targetE0EE19radix_bits_per_passE, 4

	.protected	_ZN7rocprim17ROCPRIM_400000_NS16block_radix_sortIfLj256ELj1ElLj1ELj1ELj8ELNS0_26block_radix_rank_algorithmE2ELNS0_18block_padding_hintE2ELNS0_4arch9wavefront6targetE0EE19radix_bits_per_passE ; @_ZN7rocprim17ROCPRIM_400000_NS16block_radix_sortIfLj256ELj1ElLj1ELj1ELj8ELNS0_26block_radix_rank_algorithmE2ELNS0_18block_padding_hintE2ELNS0_4arch9wavefront6targetE0EE19radix_bits_per_passE
	.type	_ZN7rocprim17ROCPRIM_400000_NS16block_radix_sortIfLj256ELj1ElLj1ELj1ELj8ELNS0_26block_radix_rank_algorithmE2ELNS0_18block_padding_hintE2ELNS0_4arch9wavefront6targetE0EE19radix_bits_per_passE,@object
	.section	.rodata._ZN7rocprim17ROCPRIM_400000_NS16block_radix_sortIfLj256ELj1ElLj1ELj1ELj8ELNS0_26block_radix_rank_algorithmE2ELNS0_18block_padding_hintE2ELNS0_4arch9wavefront6targetE0EE19radix_bits_per_passE,"aG",@progbits,_ZN7rocprim17ROCPRIM_400000_NS16block_radix_sortIfLj256ELj1ElLj1ELj1ELj8ELNS0_26block_radix_rank_algorithmE2ELNS0_18block_padding_hintE2ELNS0_4arch9wavefront6targetE0EE19radix_bits_per_passE,comdat
	.weak	_ZN7rocprim17ROCPRIM_400000_NS16block_radix_sortIfLj256ELj1ElLj1ELj1ELj8ELNS0_26block_radix_rank_algorithmE2ELNS0_18block_padding_hintE2ELNS0_4arch9wavefront6targetE0EE19radix_bits_per_passE
	.p2align	2, 0x0
_ZN7rocprim17ROCPRIM_400000_NS16block_radix_sortIfLj256ELj1ElLj1ELj1ELj8ELNS0_26block_radix_rank_algorithmE2ELNS0_18block_padding_hintE2ELNS0_4arch9wavefront6targetE0EE19radix_bits_per_passE:
	.long	8                               ; 0x8
	.size	_ZN7rocprim17ROCPRIM_400000_NS16block_radix_sortIfLj256ELj1ElLj1ELj1ELj8ELNS0_26block_radix_rank_algorithmE2ELNS0_18block_padding_hintE2ELNS0_4arch9wavefront6targetE0EE19radix_bits_per_passE, 4

	.protected	_ZN7rocprim17ROCPRIM_400000_NS16block_radix_sortIfLj256ELj2ElLj1ELj1ELj8ELNS0_26block_radix_rank_algorithmE2ELNS0_18block_padding_hintE2ELNS0_4arch9wavefront6targetE0EE19radix_bits_per_passE ; @_ZN7rocprim17ROCPRIM_400000_NS16block_radix_sortIfLj256ELj2ElLj1ELj1ELj8ELNS0_26block_radix_rank_algorithmE2ELNS0_18block_padding_hintE2ELNS0_4arch9wavefront6targetE0EE19radix_bits_per_passE
	.type	_ZN7rocprim17ROCPRIM_400000_NS16block_radix_sortIfLj256ELj2ElLj1ELj1ELj8ELNS0_26block_radix_rank_algorithmE2ELNS0_18block_padding_hintE2ELNS0_4arch9wavefront6targetE0EE19radix_bits_per_passE,@object
	.section	.rodata._ZN7rocprim17ROCPRIM_400000_NS16block_radix_sortIfLj256ELj2ElLj1ELj1ELj8ELNS0_26block_radix_rank_algorithmE2ELNS0_18block_padding_hintE2ELNS0_4arch9wavefront6targetE0EE19radix_bits_per_passE,"aG",@progbits,_ZN7rocprim17ROCPRIM_400000_NS16block_radix_sortIfLj256ELj2ElLj1ELj1ELj8ELNS0_26block_radix_rank_algorithmE2ELNS0_18block_padding_hintE2ELNS0_4arch9wavefront6targetE0EE19radix_bits_per_passE,comdat
	.weak	_ZN7rocprim17ROCPRIM_400000_NS16block_radix_sortIfLj256ELj2ElLj1ELj1ELj8ELNS0_26block_radix_rank_algorithmE2ELNS0_18block_padding_hintE2ELNS0_4arch9wavefront6targetE0EE19radix_bits_per_passE
	.p2align	2, 0x0
_ZN7rocprim17ROCPRIM_400000_NS16block_radix_sortIfLj256ELj2ElLj1ELj1ELj8ELNS0_26block_radix_rank_algorithmE2ELNS0_18block_padding_hintE2ELNS0_4arch9wavefront6targetE0EE19radix_bits_per_passE:
	.long	8                               ; 0x8
	.size	_ZN7rocprim17ROCPRIM_400000_NS16block_radix_sortIfLj256ELj2ElLj1ELj1ELj8ELNS0_26block_radix_rank_algorithmE2ELNS0_18block_padding_hintE2ELNS0_4arch9wavefront6targetE0EE19radix_bits_per_passE, 4

	.protected	_ZN7rocprim17ROCPRIM_400000_NS16block_radix_sortIfLj256ELj4ElLj1ELj1ELj8ELNS0_26block_radix_rank_algorithmE2ELNS0_18block_padding_hintE2ELNS0_4arch9wavefront6targetE0EE19radix_bits_per_passE ; @_ZN7rocprim17ROCPRIM_400000_NS16block_radix_sortIfLj256ELj4ElLj1ELj1ELj8ELNS0_26block_radix_rank_algorithmE2ELNS0_18block_padding_hintE2ELNS0_4arch9wavefront6targetE0EE19radix_bits_per_passE
	.type	_ZN7rocprim17ROCPRIM_400000_NS16block_radix_sortIfLj256ELj4ElLj1ELj1ELj8ELNS0_26block_radix_rank_algorithmE2ELNS0_18block_padding_hintE2ELNS0_4arch9wavefront6targetE0EE19radix_bits_per_passE,@object
	.section	.rodata._ZN7rocprim17ROCPRIM_400000_NS16block_radix_sortIfLj256ELj4ElLj1ELj1ELj8ELNS0_26block_radix_rank_algorithmE2ELNS0_18block_padding_hintE2ELNS0_4arch9wavefront6targetE0EE19radix_bits_per_passE,"aG",@progbits,_ZN7rocprim17ROCPRIM_400000_NS16block_radix_sortIfLj256ELj4ElLj1ELj1ELj8ELNS0_26block_radix_rank_algorithmE2ELNS0_18block_padding_hintE2ELNS0_4arch9wavefront6targetE0EE19radix_bits_per_passE,comdat
	.weak	_ZN7rocprim17ROCPRIM_400000_NS16block_radix_sortIfLj256ELj4ElLj1ELj1ELj8ELNS0_26block_radix_rank_algorithmE2ELNS0_18block_padding_hintE2ELNS0_4arch9wavefront6targetE0EE19radix_bits_per_passE
	.p2align	2, 0x0
_ZN7rocprim17ROCPRIM_400000_NS16block_radix_sortIfLj256ELj4ElLj1ELj1ELj8ELNS0_26block_radix_rank_algorithmE2ELNS0_18block_padding_hintE2ELNS0_4arch9wavefront6targetE0EE19radix_bits_per_passE:
	.long	8                               ; 0x8
	.size	_ZN7rocprim17ROCPRIM_400000_NS16block_radix_sortIfLj256ELj4ElLj1ELj1ELj8ELNS0_26block_radix_rank_algorithmE2ELNS0_18block_padding_hintE2ELNS0_4arch9wavefront6targetE0EE19radix_bits_per_passE, 4

	.protected	_ZN7rocprim17ROCPRIM_400000_NS16block_radix_sortIfLj256ELj8ElLj1ELj1ELj8ELNS0_26block_radix_rank_algorithmE2ELNS0_18block_padding_hintE2ELNS0_4arch9wavefront6targetE0EE19radix_bits_per_passE ; @_ZN7rocprim17ROCPRIM_400000_NS16block_radix_sortIfLj256ELj8ElLj1ELj1ELj8ELNS0_26block_radix_rank_algorithmE2ELNS0_18block_padding_hintE2ELNS0_4arch9wavefront6targetE0EE19radix_bits_per_passE
	.type	_ZN7rocprim17ROCPRIM_400000_NS16block_radix_sortIfLj256ELj8ElLj1ELj1ELj8ELNS0_26block_radix_rank_algorithmE2ELNS0_18block_padding_hintE2ELNS0_4arch9wavefront6targetE0EE19radix_bits_per_passE,@object
	.section	.rodata._ZN7rocprim17ROCPRIM_400000_NS16block_radix_sortIfLj256ELj8ElLj1ELj1ELj8ELNS0_26block_radix_rank_algorithmE2ELNS0_18block_padding_hintE2ELNS0_4arch9wavefront6targetE0EE19radix_bits_per_passE,"aG",@progbits,_ZN7rocprim17ROCPRIM_400000_NS16block_radix_sortIfLj256ELj8ElLj1ELj1ELj8ELNS0_26block_radix_rank_algorithmE2ELNS0_18block_padding_hintE2ELNS0_4arch9wavefront6targetE0EE19radix_bits_per_passE,comdat
	.weak	_ZN7rocprim17ROCPRIM_400000_NS16block_radix_sortIfLj256ELj8ElLj1ELj1ELj8ELNS0_26block_radix_rank_algorithmE2ELNS0_18block_padding_hintE2ELNS0_4arch9wavefront6targetE0EE19radix_bits_per_passE
	.p2align	2, 0x0
_ZN7rocprim17ROCPRIM_400000_NS16block_radix_sortIfLj256ELj8ElLj1ELj1ELj8ELNS0_26block_radix_rank_algorithmE2ELNS0_18block_padding_hintE2ELNS0_4arch9wavefront6targetE0EE19radix_bits_per_passE:
	.long	8                               ; 0x8
	.size	_ZN7rocprim17ROCPRIM_400000_NS16block_radix_sortIfLj256ELj8ElLj1ELj1ELj8ELNS0_26block_radix_rank_algorithmE2ELNS0_18block_padding_hintE2ELNS0_4arch9wavefront6targetE0EE19radix_bits_per_passE, 4

	.protected	_ZN7rocprim17ROCPRIM_400000_NS16block_radix_sortIfLj256ELj17ElLj1ELj1ELj8ELNS0_26block_radix_rank_algorithmE2ELNS0_18block_padding_hintE2ELNS0_4arch9wavefront6targetE0EE19radix_bits_per_passE ; @_ZN7rocprim17ROCPRIM_400000_NS16block_radix_sortIfLj256ELj17ElLj1ELj1ELj8ELNS0_26block_radix_rank_algorithmE2ELNS0_18block_padding_hintE2ELNS0_4arch9wavefront6targetE0EE19radix_bits_per_passE
	.type	_ZN7rocprim17ROCPRIM_400000_NS16block_radix_sortIfLj256ELj17ElLj1ELj1ELj8ELNS0_26block_radix_rank_algorithmE2ELNS0_18block_padding_hintE2ELNS0_4arch9wavefront6targetE0EE19radix_bits_per_passE,@object
	.section	.rodata._ZN7rocprim17ROCPRIM_400000_NS16block_radix_sortIfLj256ELj17ElLj1ELj1ELj8ELNS0_26block_radix_rank_algorithmE2ELNS0_18block_padding_hintE2ELNS0_4arch9wavefront6targetE0EE19radix_bits_per_passE,"aG",@progbits,_ZN7rocprim17ROCPRIM_400000_NS16block_radix_sortIfLj256ELj17ElLj1ELj1ELj8ELNS0_26block_radix_rank_algorithmE2ELNS0_18block_padding_hintE2ELNS0_4arch9wavefront6targetE0EE19radix_bits_per_passE,comdat
	.weak	_ZN7rocprim17ROCPRIM_400000_NS16block_radix_sortIfLj256ELj17ElLj1ELj1ELj8ELNS0_26block_radix_rank_algorithmE2ELNS0_18block_padding_hintE2ELNS0_4arch9wavefront6targetE0EE19radix_bits_per_passE
	.p2align	2, 0x0
_ZN7rocprim17ROCPRIM_400000_NS16block_radix_sortIfLj256ELj17ElLj1ELj1ELj8ELNS0_26block_radix_rank_algorithmE2ELNS0_18block_padding_hintE2ELNS0_4arch9wavefront6targetE0EE19radix_bits_per_passE:
	.long	8                               ; 0x8
	.size	_ZN7rocprim17ROCPRIM_400000_NS16block_radix_sortIfLj256ELj17ElLj1ELj1ELj8ELNS0_26block_radix_rank_algorithmE2ELNS0_18block_padding_hintE2ELNS0_4arch9wavefront6targetE0EE19radix_bits_per_passE, 4

	.protected	_ZN7rocprim17ROCPRIM_400000_NS16block_radix_sortIbLj256ELj1ElLj1ELj1ELj8ELNS0_26block_radix_rank_algorithmE2ELNS0_18block_padding_hintE2ELNS0_4arch9wavefront6targetE0EE19radix_bits_per_passE ; @_ZN7rocprim17ROCPRIM_400000_NS16block_radix_sortIbLj256ELj1ElLj1ELj1ELj8ELNS0_26block_radix_rank_algorithmE2ELNS0_18block_padding_hintE2ELNS0_4arch9wavefront6targetE0EE19radix_bits_per_passE
	.type	_ZN7rocprim17ROCPRIM_400000_NS16block_radix_sortIbLj256ELj1ElLj1ELj1ELj8ELNS0_26block_radix_rank_algorithmE2ELNS0_18block_padding_hintE2ELNS0_4arch9wavefront6targetE0EE19radix_bits_per_passE,@object
	.section	.rodata._ZN7rocprim17ROCPRIM_400000_NS16block_radix_sortIbLj256ELj1ElLj1ELj1ELj8ELNS0_26block_radix_rank_algorithmE2ELNS0_18block_padding_hintE2ELNS0_4arch9wavefront6targetE0EE19radix_bits_per_passE,"aG",@progbits,_ZN7rocprim17ROCPRIM_400000_NS16block_radix_sortIbLj256ELj1ElLj1ELj1ELj8ELNS0_26block_radix_rank_algorithmE2ELNS0_18block_padding_hintE2ELNS0_4arch9wavefront6targetE0EE19radix_bits_per_passE,comdat
	.weak	_ZN7rocprim17ROCPRIM_400000_NS16block_radix_sortIbLj256ELj1ElLj1ELj1ELj8ELNS0_26block_radix_rank_algorithmE2ELNS0_18block_padding_hintE2ELNS0_4arch9wavefront6targetE0EE19radix_bits_per_passE
	.p2align	2, 0x0
_ZN7rocprim17ROCPRIM_400000_NS16block_radix_sortIbLj256ELj1ElLj1ELj1ELj8ELNS0_26block_radix_rank_algorithmE2ELNS0_18block_padding_hintE2ELNS0_4arch9wavefront6targetE0EE19radix_bits_per_passE:
	.long	8                               ; 0x8
	.size	_ZN7rocprim17ROCPRIM_400000_NS16block_radix_sortIbLj256ELj1ElLj1ELj1ELj8ELNS0_26block_radix_rank_algorithmE2ELNS0_18block_padding_hintE2ELNS0_4arch9wavefront6targetE0EE19radix_bits_per_passE, 4

	.protected	_ZN7rocprim17ROCPRIM_400000_NS16block_radix_sortIbLj256ELj2ElLj1ELj1ELj8ELNS0_26block_radix_rank_algorithmE2ELNS0_18block_padding_hintE2ELNS0_4arch9wavefront6targetE0EE19radix_bits_per_passE ; @_ZN7rocprim17ROCPRIM_400000_NS16block_radix_sortIbLj256ELj2ElLj1ELj1ELj8ELNS0_26block_radix_rank_algorithmE2ELNS0_18block_padding_hintE2ELNS0_4arch9wavefront6targetE0EE19radix_bits_per_passE
	.type	_ZN7rocprim17ROCPRIM_400000_NS16block_radix_sortIbLj256ELj2ElLj1ELj1ELj8ELNS0_26block_radix_rank_algorithmE2ELNS0_18block_padding_hintE2ELNS0_4arch9wavefront6targetE0EE19radix_bits_per_passE,@object
	.section	.rodata._ZN7rocprim17ROCPRIM_400000_NS16block_radix_sortIbLj256ELj2ElLj1ELj1ELj8ELNS0_26block_radix_rank_algorithmE2ELNS0_18block_padding_hintE2ELNS0_4arch9wavefront6targetE0EE19radix_bits_per_passE,"aG",@progbits,_ZN7rocprim17ROCPRIM_400000_NS16block_radix_sortIbLj256ELj2ElLj1ELj1ELj8ELNS0_26block_radix_rank_algorithmE2ELNS0_18block_padding_hintE2ELNS0_4arch9wavefront6targetE0EE19radix_bits_per_passE,comdat
	.weak	_ZN7rocprim17ROCPRIM_400000_NS16block_radix_sortIbLj256ELj2ElLj1ELj1ELj8ELNS0_26block_radix_rank_algorithmE2ELNS0_18block_padding_hintE2ELNS0_4arch9wavefront6targetE0EE19radix_bits_per_passE
	.p2align	2, 0x0
_ZN7rocprim17ROCPRIM_400000_NS16block_radix_sortIbLj256ELj2ElLj1ELj1ELj8ELNS0_26block_radix_rank_algorithmE2ELNS0_18block_padding_hintE2ELNS0_4arch9wavefront6targetE0EE19radix_bits_per_passE:
	.long	8                               ; 0x8
	.size	_ZN7rocprim17ROCPRIM_400000_NS16block_radix_sortIbLj256ELj2ElLj1ELj1ELj8ELNS0_26block_radix_rank_algorithmE2ELNS0_18block_padding_hintE2ELNS0_4arch9wavefront6targetE0EE19radix_bits_per_passE, 4

	.protected	_ZN7rocprim17ROCPRIM_400000_NS16block_radix_sortIbLj256ELj4ElLj1ELj1ELj8ELNS0_26block_radix_rank_algorithmE2ELNS0_18block_padding_hintE2ELNS0_4arch9wavefront6targetE0EE19radix_bits_per_passE ; @_ZN7rocprim17ROCPRIM_400000_NS16block_radix_sortIbLj256ELj4ElLj1ELj1ELj8ELNS0_26block_radix_rank_algorithmE2ELNS0_18block_padding_hintE2ELNS0_4arch9wavefront6targetE0EE19radix_bits_per_passE
	.type	_ZN7rocprim17ROCPRIM_400000_NS16block_radix_sortIbLj256ELj4ElLj1ELj1ELj8ELNS0_26block_radix_rank_algorithmE2ELNS0_18block_padding_hintE2ELNS0_4arch9wavefront6targetE0EE19radix_bits_per_passE,@object
	.section	.rodata._ZN7rocprim17ROCPRIM_400000_NS16block_radix_sortIbLj256ELj4ElLj1ELj1ELj8ELNS0_26block_radix_rank_algorithmE2ELNS0_18block_padding_hintE2ELNS0_4arch9wavefront6targetE0EE19radix_bits_per_passE,"aG",@progbits,_ZN7rocprim17ROCPRIM_400000_NS16block_radix_sortIbLj256ELj4ElLj1ELj1ELj8ELNS0_26block_radix_rank_algorithmE2ELNS0_18block_padding_hintE2ELNS0_4arch9wavefront6targetE0EE19radix_bits_per_passE,comdat
	.weak	_ZN7rocprim17ROCPRIM_400000_NS16block_radix_sortIbLj256ELj4ElLj1ELj1ELj8ELNS0_26block_radix_rank_algorithmE2ELNS0_18block_padding_hintE2ELNS0_4arch9wavefront6targetE0EE19radix_bits_per_passE
	.p2align	2, 0x0
_ZN7rocprim17ROCPRIM_400000_NS16block_radix_sortIbLj256ELj4ElLj1ELj1ELj8ELNS0_26block_radix_rank_algorithmE2ELNS0_18block_padding_hintE2ELNS0_4arch9wavefront6targetE0EE19radix_bits_per_passE:
	.long	8                               ; 0x8
	.size	_ZN7rocprim17ROCPRIM_400000_NS16block_radix_sortIbLj256ELj4ElLj1ELj1ELj8ELNS0_26block_radix_rank_algorithmE2ELNS0_18block_padding_hintE2ELNS0_4arch9wavefront6targetE0EE19radix_bits_per_passE, 4

	.protected	_ZN7rocprim17ROCPRIM_400000_NS16block_radix_sortIbLj256ELj8ElLj1ELj1ELj8ELNS0_26block_radix_rank_algorithmE2ELNS0_18block_padding_hintE2ELNS0_4arch9wavefront6targetE0EE19radix_bits_per_passE ; @_ZN7rocprim17ROCPRIM_400000_NS16block_radix_sortIbLj256ELj8ElLj1ELj1ELj8ELNS0_26block_radix_rank_algorithmE2ELNS0_18block_padding_hintE2ELNS0_4arch9wavefront6targetE0EE19radix_bits_per_passE
	.type	_ZN7rocprim17ROCPRIM_400000_NS16block_radix_sortIbLj256ELj8ElLj1ELj1ELj8ELNS0_26block_radix_rank_algorithmE2ELNS0_18block_padding_hintE2ELNS0_4arch9wavefront6targetE0EE19radix_bits_per_passE,@object
	.section	.rodata._ZN7rocprim17ROCPRIM_400000_NS16block_radix_sortIbLj256ELj8ElLj1ELj1ELj8ELNS0_26block_radix_rank_algorithmE2ELNS0_18block_padding_hintE2ELNS0_4arch9wavefront6targetE0EE19radix_bits_per_passE,"aG",@progbits,_ZN7rocprim17ROCPRIM_400000_NS16block_radix_sortIbLj256ELj8ElLj1ELj1ELj8ELNS0_26block_radix_rank_algorithmE2ELNS0_18block_padding_hintE2ELNS0_4arch9wavefront6targetE0EE19radix_bits_per_passE,comdat
	.weak	_ZN7rocprim17ROCPRIM_400000_NS16block_radix_sortIbLj256ELj8ElLj1ELj1ELj8ELNS0_26block_radix_rank_algorithmE2ELNS0_18block_padding_hintE2ELNS0_4arch9wavefront6targetE0EE19radix_bits_per_passE
	.p2align	2, 0x0
_ZN7rocprim17ROCPRIM_400000_NS16block_radix_sortIbLj256ELj8ElLj1ELj1ELj8ELNS0_26block_radix_rank_algorithmE2ELNS0_18block_padding_hintE2ELNS0_4arch9wavefront6targetE0EE19radix_bits_per_passE:
	.long	8                               ; 0x8
	.size	_ZN7rocprim17ROCPRIM_400000_NS16block_radix_sortIbLj256ELj8ElLj1ELj1ELj8ELNS0_26block_radix_rank_algorithmE2ELNS0_18block_padding_hintE2ELNS0_4arch9wavefront6targetE0EE19radix_bits_per_passE, 4

	.protected	_ZN7rocprim17ROCPRIM_400000_NS16block_radix_sortIbLj256ELj17ElLj1ELj1ELj8ELNS0_26block_radix_rank_algorithmE2ELNS0_18block_padding_hintE2ELNS0_4arch9wavefront6targetE0EE19radix_bits_per_passE ; @_ZN7rocprim17ROCPRIM_400000_NS16block_radix_sortIbLj256ELj17ElLj1ELj1ELj8ELNS0_26block_radix_rank_algorithmE2ELNS0_18block_padding_hintE2ELNS0_4arch9wavefront6targetE0EE19radix_bits_per_passE
	.type	_ZN7rocprim17ROCPRIM_400000_NS16block_radix_sortIbLj256ELj17ElLj1ELj1ELj8ELNS0_26block_radix_rank_algorithmE2ELNS0_18block_padding_hintE2ELNS0_4arch9wavefront6targetE0EE19radix_bits_per_passE,@object
	.section	.rodata._ZN7rocprim17ROCPRIM_400000_NS16block_radix_sortIbLj256ELj17ElLj1ELj1ELj8ELNS0_26block_radix_rank_algorithmE2ELNS0_18block_padding_hintE2ELNS0_4arch9wavefront6targetE0EE19radix_bits_per_passE,"aG",@progbits,_ZN7rocprim17ROCPRIM_400000_NS16block_radix_sortIbLj256ELj17ElLj1ELj1ELj8ELNS0_26block_radix_rank_algorithmE2ELNS0_18block_padding_hintE2ELNS0_4arch9wavefront6targetE0EE19radix_bits_per_passE,comdat
	.weak	_ZN7rocprim17ROCPRIM_400000_NS16block_radix_sortIbLj256ELj17ElLj1ELj1ELj8ELNS0_26block_radix_rank_algorithmE2ELNS0_18block_padding_hintE2ELNS0_4arch9wavefront6targetE0EE19radix_bits_per_passE
	.p2align	2, 0x0
_ZN7rocprim17ROCPRIM_400000_NS16block_radix_sortIbLj256ELj17ElLj1ELj1ELj8ELNS0_26block_radix_rank_algorithmE2ELNS0_18block_padding_hintE2ELNS0_4arch9wavefront6targetE0EE19radix_bits_per_passE:
	.long	8                               ; 0x8
	.size	_ZN7rocprim17ROCPRIM_400000_NS16block_radix_sortIbLj256ELj17ElLj1ELj1ELj8ELNS0_26block_radix_rank_algorithmE2ELNS0_18block_padding_hintE2ELNS0_4arch9wavefront6targetE0EE19radix_bits_per_passE, 4

	.protected	_ZN7rocprim17ROCPRIM_400000_NS16block_radix_sortI6__halfLj256ELj1ElLj1ELj1ELj8ELNS0_26block_radix_rank_algorithmE2ELNS0_18block_padding_hintE2ELNS0_4arch9wavefront6targetE0EE19radix_bits_per_passE ; @_ZN7rocprim17ROCPRIM_400000_NS16block_radix_sortI6__halfLj256ELj1ElLj1ELj1ELj8ELNS0_26block_radix_rank_algorithmE2ELNS0_18block_padding_hintE2ELNS0_4arch9wavefront6targetE0EE19radix_bits_per_passE
	.type	_ZN7rocprim17ROCPRIM_400000_NS16block_radix_sortI6__halfLj256ELj1ElLj1ELj1ELj8ELNS0_26block_radix_rank_algorithmE2ELNS0_18block_padding_hintE2ELNS0_4arch9wavefront6targetE0EE19radix_bits_per_passE,@object
	.section	.rodata._ZN7rocprim17ROCPRIM_400000_NS16block_radix_sortI6__halfLj256ELj1ElLj1ELj1ELj8ELNS0_26block_radix_rank_algorithmE2ELNS0_18block_padding_hintE2ELNS0_4arch9wavefront6targetE0EE19radix_bits_per_passE,"aG",@progbits,_ZN7rocprim17ROCPRIM_400000_NS16block_radix_sortI6__halfLj256ELj1ElLj1ELj1ELj8ELNS0_26block_radix_rank_algorithmE2ELNS0_18block_padding_hintE2ELNS0_4arch9wavefront6targetE0EE19radix_bits_per_passE,comdat
	.weak	_ZN7rocprim17ROCPRIM_400000_NS16block_radix_sortI6__halfLj256ELj1ElLj1ELj1ELj8ELNS0_26block_radix_rank_algorithmE2ELNS0_18block_padding_hintE2ELNS0_4arch9wavefront6targetE0EE19radix_bits_per_passE
	.p2align	2, 0x0
_ZN7rocprim17ROCPRIM_400000_NS16block_radix_sortI6__halfLj256ELj1ElLj1ELj1ELj8ELNS0_26block_radix_rank_algorithmE2ELNS0_18block_padding_hintE2ELNS0_4arch9wavefront6targetE0EE19radix_bits_per_passE:
	.long	8                               ; 0x8
	.size	_ZN7rocprim17ROCPRIM_400000_NS16block_radix_sortI6__halfLj256ELj1ElLj1ELj1ELj8ELNS0_26block_radix_rank_algorithmE2ELNS0_18block_padding_hintE2ELNS0_4arch9wavefront6targetE0EE19radix_bits_per_passE, 4

	.protected	_ZN7rocprim17ROCPRIM_400000_NS16block_radix_sortI6__halfLj256ELj2ElLj1ELj1ELj8ELNS0_26block_radix_rank_algorithmE2ELNS0_18block_padding_hintE2ELNS0_4arch9wavefront6targetE0EE19radix_bits_per_passE ; @_ZN7rocprim17ROCPRIM_400000_NS16block_radix_sortI6__halfLj256ELj2ElLj1ELj1ELj8ELNS0_26block_radix_rank_algorithmE2ELNS0_18block_padding_hintE2ELNS0_4arch9wavefront6targetE0EE19radix_bits_per_passE
	.type	_ZN7rocprim17ROCPRIM_400000_NS16block_radix_sortI6__halfLj256ELj2ElLj1ELj1ELj8ELNS0_26block_radix_rank_algorithmE2ELNS0_18block_padding_hintE2ELNS0_4arch9wavefront6targetE0EE19radix_bits_per_passE,@object
	.section	.rodata._ZN7rocprim17ROCPRIM_400000_NS16block_radix_sortI6__halfLj256ELj2ElLj1ELj1ELj8ELNS0_26block_radix_rank_algorithmE2ELNS0_18block_padding_hintE2ELNS0_4arch9wavefront6targetE0EE19radix_bits_per_passE,"aG",@progbits,_ZN7rocprim17ROCPRIM_400000_NS16block_radix_sortI6__halfLj256ELj2ElLj1ELj1ELj8ELNS0_26block_radix_rank_algorithmE2ELNS0_18block_padding_hintE2ELNS0_4arch9wavefront6targetE0EE19radix_bits_per_passE,comdat
	.weak	_ZN7rocprim17ROCPRIM_400000_NS16block_radix_sortI6__halfLj256ELj2ElLj1ELj1ELj8ELNS0_26block_radix_rank_algorithmE2ELNS0_18block_padding_hintE2ELNS0_4arch9wavefront6targetE0EE19radix_bits_per_passE
	.p2align	2, 0x0
_ZN7rocprim17ROCPRIM_400000_NS16block_radix_sortI6__halfLj256ELj2ElLj1ELj1ELj8ELNS0_26block_radix_rank_algorithmE2ELNS0_18block_padding_hintE2ELNS0_4arch9wavefront6targetE0EE19radix_bits_per_passE:
	.long	8                               ; 0x8
	.size	_ZN7rocprim17ROCPRIM_400000_NS16block_radix_sortI6__halfLj256ELj2ElLj1ELj1ELj8ELNS0_26block_radix_rank_algorithmE2ELNS0_18block_padding_hintE2ELNS0_4arch9wavefront6targetE0EE19radix_bits_per_passE, 4

	.protected	_ZN7rocprim17ROCPRIM_400000_NS16block_radix_sortI6__halfLj256ELj4ElLj1ELj1ELj8ELNS0_26block_radix_rank_algorithmE2ELNS0_18block_padding_hintE2ELNS0_4arch9wavefront6targetE0EE19radix_bits_per_passE ; @_ZN7rocprim17ROCPRIM_400000_NS16block_radix_sortI6__halfLj256ELj4ElLj1ELj1ELj8ELNS0_26block_radix_rank_algorithmE2ELNS0_18block_padding_hintE2ELNS0_4arch9wavefront6targetE0EE19radix_bits_per_passE
	.type	_ZN7rocprim17ROCPRIM_400000_NS16block_radix_sortI6__halfLj256ELj4ElLj1ELj1ELj8ELNS0_26block_radix_rank_algorithmE2ELNS0_18block_padding_hintE2ELNS0_4arch9wavefront6targetE0EE19radix_bits_per_passE,@object
	.section	.rodata._ZN7rocprim17ROCPRIM_400000_NS16block_radix_sortI6__halfLj256ELj4ElLj1ELj1ELj8ELNS0_26block_radix_rank_algorithmE2ELNS0_18block_padding_hintE2ELNS0_4arch9wavefront6targetE0EE19radix_bits_per_passE,"aG",@progbits,_ZN7rocprim17ROCPRIM_400000_NS16block_radix_sortI6__halfLj256ELj4ElLj1ELj1ELj8ELNS0_26block_radix_rank_algorithmE2ELNS0_18block_padding_hintE2ELNS0_4arch9wavefront6targetE0EE19radix_bits_per_passE,comdat
	.weak	_ZN7rocprim17ROCPRIM_400000_NS16block_radix_sortI6__halfLj256ELj4ElLj1ELj1ELj8ELNS0_26block_radix_rank_algorithmE2ELNS0_18block_padding_hintE2ELNS0_4arch9wavefront6targetE0EE19radix_bits_per_passE
	.p2align	2, 0x0
_ZN7rocprim17ROCPRIM_400000_NS16block_radix_sortI6__halfLj256ELj4ElLj1ELj1ELj8ELNS0_26block_radix_rank_algorithmE2ELNS0_18block_padding_hintE2ELNS0_4arch9wavefront6targetE0EE19radix_bits_per_passE:
	.long	8                               ; 0x8
	.size	_ZN7rocprim17ROCPRIM_400000_NS16block_radix_sortI6__halfLj256ELj4ElLj1ELj1ELj8ELNS0_26block_radix_rank_algorithmE2ELNS0_18block_padding_hintE2ELNS0_4arch9wavefront6targetE0EE19radix_bits_per_passE, 4

	.protected	_ZN7rocprim17ROCPRIM_400000_NS16block_radix_sortI6__halfLj256ELj8ElLj1ELj1ELj8ELNS0_26block_radix_rank_algorithmE2ELNS0_18block_padding_hintE2ELNS0_4arch9wavefront6targetE0EE19radix_bits_per_passE ; @_ZN7rocprim17ROCPRIM_400000_NS16block_radix_sortI6__halfLj256ELj8ElLj1ELj1ELj8ELNS0_26block_radix_rank_algorithmE2ELNS0_18block_padding_hintE2ELNS0_4arch9wavefront6targetE0EE19radix_bits_per_passE
	.type	_ZN7rocprim17ROCPRIM_400000_NS16block_radix_sortI6__halfLj256ELj8ElLj1ELj1ELj8ELNS0_26block_radix_rank_algorithmE2ELNS0_18block_padding_hintE2ELNS0_4arch9wavefront6targetE0EE19radix_bits_per_passE,@object
	.section	.rodata._ZN7rocprim17ROCPRIM_400000_NS16block_radix_sortI6__halfLj256ELj8ElLj1ELj1ELj8ELNS0_26block_radix_rank_algorithmE2ELNS0_18block_padding_hintE2ELNS0_4arch9wavefront6targetE0EE19radix_bits_per_passE,"aG",@progbits,_ZN7rocprim17ROCPRIM_400000_NS16block_radix_sortI6__halfLj256ELj8ElLj1ELj1ELj8ELNS0_26block_radix_rank_algorithmE2ELNS0_18block_padding_hintE2ELNS0_4arch9wavefront6targetE0EE19radix_bits_per_passE,comdat
	.weak	_ZN7rocprim17ROCPRIM_400000_NS16block_radix_sortI6__halfLj256ELj8ElLj1ELj1ELj8ELNS0_26block_radix_rank_algorithmE2ELNS0_18block_padding_hintE2ELNS0_4arch9wavefront6targetE0EE19radix_bits_per_passE
	.p2align	2, 0x0
_ZN7rocprim17ROCPRIM_400000_NS16block_radix_sortI6__halfLj256ELj8ElLj1ELj1ELj8ELNS0_26block_radix_rank_algorithmE2ELNS0_18block_padding_hintE2ELNS0_4arch9wavefront6targetE0EE19radix_bits_per_passE:
	.long	8                               ; 0x8
	.size	_ZN7rocprim17ROCPRIM_400000_NS16block_radix_sortI6__halfLj256ELj8ElLj1ELj1ELj8ELNS0_26block_radix_rank_algorithmE2ELNS0_18block_padding_hintE2ELNS0_4arch9wavefront6targetE0EE19radix_bits_per_passE, 4

	.protected	_ZN7rocprim17ROCPRIM_400000_NS16block_radix_sortI6__halfLj256ELj16ElLj1ELj1ELj8ELNS0_26block_radix_rank_algorithmE2ELNS0_18block_padding_hintE2ELNS0_4arch9wavefront6targetE0EE19radix_bits_per_passE ; @_ZN7rocprim17ROCPRIM_400000_NS16block_radix_sortI6__halfLj256ELj16ElLj1ELj1ELj8ELNS0_26block_radix_rank_algorithmE2ELNS0_18block_padding_hintE2ELNS0_4arch9wavefront6targetE0EE19radix_bits_per_passE
	.type	_ZN7rocprim17ROCPRIM_400000_NS16block_radix_sortI6__halfLj256ELj16ElLj1ELj1ELj8ELNS0_26block_radix_rank_algorithmE2ELNS0_18block_padding_hintE2ELNS0_4arch9wavefront6targetE0EE19radix_bits_per_passE,@object
	.section	.rodata._ZN7rocprim17ROCPRIM_400000_NS16block_radix_sortI6__halfLj256ELj16ElLj1ELj1ELj8ELNS0_26block_radix_rank_algorithmE2ELNS0_18block_padding_hintE2ELNS0_4arch9wavefront6targetE0EE19radix_bits_per_passE,"aG",@progbits,_ZN7rocprim17ROCPRIM_400000_NS16block_radix_sortI6__halfLj256ELj16ElLj1ELj1ELj8ELNS0_26block_radix_rank_algorithmE2ELNS0_18block_padding_hintE2ELNS0_4arch9wavefront6targetE0EE19radix_bits_per_passE,comdat
	.weak	_ZN7rocprim17ROCPRIM_400000_NS16block_radix_sortI6__halfLj256ELj16ElLj1ELj1ELj8ELNS0_26block_radix_rank_algorithmE2ELNS0_18block_padding_hintE2ELNS0_4arch9wavefront6targetE0EE19radix_bits_per_passE
	.p2align	2, 0x0
_ZN7rocprim17ROCPRIM_400000_NS16block_radix_sortI6__halfLj256ELj16ElLj1ELj1ELj8ELNS0_26block_radix_rank_algorithmE2ELNS0_18block_padding_hintE2ELNS0_4arch9wavefront6targetE0EE19radix_bits_per_passE:
	.long	8                               ; 0x8
	.size	_ZN7rocprim17ROCPRIM_400000_NS16block_radix_sortI6__halfLj256ELj16ElLj1ELj1ELj8ELNS0_26block_radix_rank_algorithmE2ELNS0_18block_padding_hintE2ELNS0_4arch9wavefront6targetE0EE19radix_bits_per_passE, 4

	.protected	_ZN7rocprim17ROCPRIM_400000_NS16block_radix_sortI12hip_bfloat16Lj256ELj1ElLj1ELj1ELj8ELNS0_26block_radix_rank_algorithmE2ELNS0_18block_padding_hintE2ELNS0_4arch9wavefront6targetE0EE19radix_bits_per_passE ; @_ZN7rocprim17ROCPRIM_400000_NS16block_radix_sortI12hip_bfloat16Lj256ELj1ElLj1ELj1ELj8ELNS0_26block_radix_rank_algorithmE2ELNS0_18block_padding_hintE2ELNS0_4arch9wavefront6targetE0EE19radix_bits_per_passE
	.type	_ZN7rocprim17ROCPRIM_400000_NS16block_radix_sortI12hip_bfloat16Lj256ELj1ElLj1ELj1ELj8ELNS0_26block_radix_rank_algorithmE2ELNS0_18block_padding_hintE2ELNS0_4arch9wavefront6targetE0EE19radix_bits_per_passE,@object
	.section	.rodata._ZN7rocprim17ROCPRIM_400000_NS16block_radix_sortI12hip_bfloat16Lj256ELj1ElLj1ELj1ELj8ELNS0_26block_radix_rank_algorithmE2ELNS0_18block_padding_hintE2ELNS0_4arch9wavefront6targetE0EE19radix_bits_per_passE,"aG",@progbits,_ZN7rocprim17ROCPRIM_400000_NS16block_radix_sortI12hip_bfloat16Lj256ELj1ElLj1ELj1ELj8ELNS0_26block_radix_rank_algorithmE2ELNS0_18block_padding_hintE2ELNS0_4arch9wavefront6targetE0EE19radix_bits_per_passE,comdat
	.weak	_ZN7rocprim17ROCPRIM_400000_NS16block_radix_sortI12hip_bfloat16Lj256ELj1ElLj1ELj1ELj8ELNS0_26block_radix_rank_algorithmE2ELNS0_18block_padding_hintE2ELNS0_4arch9wavefront6targetE0EE19radix_bits_per_passE
	.p2align	2, 0x0
_ZN7rocprim17ROCPRIM_400000_NS16block_radix_sortI12hip_bfloat16Lj256ELj1ElLj1ELj1ELj8ELNS0_26block_radix_rank_algorithmE2ELNS0_18block_padding_hintE2ELNS0_4arch9wavefront6targetE0EE19radix_bits_per_passE:
	.long	8                               ; 0x8
	.size	_ZN7rocprim17ROCPRIM_400000_NS16block_radix_sortI12hip_bfloat16Lj256ELj1ElLj1ELj1ELj8ELNS0_26block_radix_rank_algorithmE2ELNS0_18block_padding_hintE2ELNS0_4arch9wavefront6targetE0EE19radix_bits_per_passE, 4

	.protected	_ZN7rocprim17ROCPRIM_400000_NS16block_radix_sortI12hip_bfloat16Lj256ELj2ElLj1ELj1ELj8ELNS0_26block_radix_rank_algorithmE2ELNS0_18block_padding_hintE2ELNS0_4arch9wavefront6targetE0EE19radix_bits_per_passE ; @_ZN7rocprim17ROCPRIM_400000_NS16block_radix_sortI12hip_bfloat16Lj256ELj2ElLj1ELj1ELj8ELNS0_26block_radix_rank_algorithmE2ELNS0_18block_padding_hintE2ELNS0_4arch9wavefront6targetE0EE19radix_bits_per_passE
	.type	_ZN7rocprim17ROCPRIM_400000_NS16block_radix_sortI12hip_bfloat16Lj256ELj2ElLj1ELj1ELj8ELNS0_26block_radix_rank_algorithmE2ELNS0_18block_padding_hintE2ELNS0_4arch9wavefront6targetE0EE19radix_bits_per_passE,@object
	.section	.rodata._ZN7rocprim17ROCPRIM_400000_NS16block_radix_sortI12hip_bfloat16Lj256ELj2ElLj1ELj1ELj8ELNS0_26block_radix_rank_algorithmE2ELNS0_18block_padding_hintE2ELNS0_4arch9wavefront6targetE0EE19radix_bits_per_passE,"aG",@progbits,_ZN7rocprim17ROCPRIM_400000_NS16block_radix_sortI12hip_bfloat16Lj256ELj2ElLj1ELj1ELj8ELNS0_26block_radix_rank_algorithmE2ELNS0_18block_padding_hintE2ELNS0_4arch9wavefront6targetE0EE19radix_bits_per_passE,comdat
	.weak	_ZN7rocprim17ROCPRIM_400000_NS16block_radix_sortI12hip_bfloat16Lj256ELj2ElLj1ELj1ELj8ELNS0_26block_radix_rank_algorithmE2ELNS0_18block_padding_hintE2ELNS0_4arch9wavefront6targetE0EE19radix_bits_per_passE
	.p2align	2, 0x0
_ZN7rocprim17ROCPRIM_400000_NS16block_radix_sortI12hip_bfloat16Lj256ELj2ElLj1ELj1ELj8ELNS0_26block_radix_rank_algorithmE2ELNS0_18block_padding_hintE2ELNS0_4arch9wavefront6targetE0EE19radix_bits_per_passE:
	.long	8                               ; 0x8
	.size	_ZN7rocprim17ROCPRIM_400000_NS16block_radix_sortI12hip_bfloat16Lj256ELj2ElLj1ELj1ELj8ELNS0_26block_radix_rank_algorithmE2ELNS0_18block_padding_hintE2ELNS0_4arch9wavefront6targetE0EE19radix_bits_per_passE, 4

	.protected	_ZN7rocprim17ROCPRIM_400000_NS16block_radix_sortI12hip_bfloat16Lj256ELj4ElLj1ELj1ELj8ELNS0_26block_radix_rank_algorithmE2ELNS0_18block_padding_hintE2ELNS0_4arch9wavefront6targetE0EE19radix_bits_per_passE ; @_ZN7rocprim17ROCPRIM_400000_NS16block_radix_sortI12hip_bfloat16Lj256ELj4ElLj1ELj1ELj8ELNS0_26block_radix_rank_algorithmE2ELNS0_18block_padding_hintE2ELNS0_4arch9wavefront6targetE0EE19radix_bits_per_passE
	.type	_ZN7rocprim17ROCPRIM_400000_NS16block_radix_sortI12hip_bfloat16Lj256ELj4ElLj1ELj1ELj8ELNS0_26block_radix_rank_algorithmE2ELNS0_18block_padding_hintE2ELNS0_4arch9wavefront6targetE0EE19radix_bits_per_passE,@object
	.section	.rodata._ZN7rocprim17ROCPRIM_400000_NS16block_radix_sortI12hip_bfloat16Lj256ELj4ElLj1ELj1ELj8ELNS0_26block_radix_rank_algorithmE2ELNS0_18block_padding_hintE2ELNS0_4arch9wavefront6targetE0EE19radix_bits_per_passE,"aG",@progbits,_ZN7rocprim17ROCPRIM_400000_NS16block_radix_sortI12hip_bfloat16Lj256ELj4ElLj1ELj1ELj8ELNS0_26block_radix_rank_algorithmE2ELNS0_18block_padding_hintE2ELNS0_4arch9wavefront6targetE0EE19radix_bits_per_passE,comdat
	.weak	_ZN7rocprim17ROCPRIM_400000_NS16block_radix_sortI12hip_bfloat16Lj256ELj4ElLj1ELj1ELj8ELNS0_26block_radix_rank_algorithmE2ELNS0_18block_padding_hintE2ELNS0_4arch9wavefront6targetE0EE19radix_bits_per_passE
	.p2align	2, 0x0
_ZN7rocprim17ROCPRIM_400000_NS16block_radix_sortI12hip_bfloat16Lj256ELj4ElLj1ELj1ELj8ELNS0_26block_radix_rank_algorithmE2ELNS0_18block_padding_hintE2ELNS0_4arch9wavefront6targetE0EE19radix_bits_per_passE:
	.long	8                               ; 0x8
	.size	_ZN7rocprim17ROCPRIM_400000_NS16block_radix_sortI12hip_bfloat16Lj256ELj4ElLj1ELj1ELj8ELNS0_26block_radix_rank_algorithmE2ELNS0_18block_padding_hintE2ELNS0_4arch9wavefront6targetE0EE19radix_bits_per_passE, 4

	.protected	_ZN7rocprim17ROCPRIM_400000_NS16block_radix_sortI12hip_bfloat16Lj256ELj8ElLj1ELj1ELj8ELNS0_26block_radix_rank_algorithmE2ELNS0_18block_padding_hintE2ELNS0_4arch9wavefront6targetE0EE19radix_bits_per_passE ; @_ZN7rocprim17ROCPRIM_400000_NS16block_radix_sortI12hip_bfloat16Lj256ELj8ElLj1ELj1ELj8ELNS0_26block_radix_rank_algorithmE2ELNS0_18block_padding_hintE2ELNS0_4arch9wavefront6targetE0EE19radix_bits_per_passE
	.type	_ZN7rocprim17ROCPRIM_400000_NS16block_radix_sortI12hip_bfloat16Lj256ELj8ElLj1ELj1ELj8ELNS0_26block_radix_rank_algorithmE2ELNS0_18block_padding_hintE2ELNS0_4arch9wavefront6targetE0EE19radix_bits_per_passE,@object
	.section	.rodata._ZN7rocprim17ROCPRIM_400000_NS16block_radix_sortI12hip_bfloat16Lj256ELj8ElLj1ELj1ELj8ELNS0_26block_radix_rank_algorithmE2ELNS0_18block_padding_hintE2ELNS0_4arch9wavefront6targetE0EE19radix_bits_per_passE,"aG",@progbits,_ZN7rocprim17ROCPRIM_400000_NS16block_radix_sortI12hip_bfloat16Lj256ELj8ElLj1ELj1ELj8ELNS0_26block_radix_rank_algorithmE2ELNS0_18block_padding_hintE2ELNS0_4arch9wavefront6targetE0EE19radix_bits_per_passE,comdat
	.weak	_ZN7rocprim17ROCPRIM_400000_NS16block_radix_sortI12hip_bfloat16Lj256ELj8ElLj1ELj1ELj8ELNS0_26block_radix_rank_algorithmE2ELNS0_18block_padding_hintE2ELNS0_4arch9wavefront6targetE0EE19radix_bits_per_passE
	.p2align	2, 0x0
_ZN7rocprim17ROCPRIM_400000_NS16block_radix_sortI12hip_bfloat16Lj256ELj8ElLj1ELj1ELj8ELNS0_26block_radix_rank_algorithmE2ELNS0_18block_padding_hintE2ELNS0_4arch9wavefront6targetE0EE19radix_bits_per_passE:
	.long	8                               ; 0x8
	.size	_ZN7rocprim17ROCPRIM_400000_NS16block_radix_sortI12hip_bfloat16Lj256ELj8ElLj1ELj1ELj8ELNS0_26block_radix_rank_algorithmE2ELNS0_18block_padding_hintE2ELNS0_4arch9wavefront6targetE0EE19radix_bits_per_passE, 4

	.protected	_ZN7rocprim17ROCPRIM_400000_NS16block_radix_sortI12hip_bfloat16Lj256ELj16ElLj1ELj1ELj8ELNS0_26block_radix_rank_algorithmE2ELNS0_18block_padding_hintE2ELNS0_4arch9wavefront6targetE0EE19radix_bits_per_passE ; @_ZN7rocprim17ROCPRIM_400000_NS16block_radix_sortI12hip_bfloat16Lj256ELj16ElLj1ELj1ELj8ELNS0_26block_radix_rank_algorithmE2ELNS0_18block_padding_hintE2ELNS0_4arch9wavefront6targetE0EE19radix_bits_per_passE
	.type	_ZN7rocprim17ROCPRIM_400000_NS16block_radix_sortI12hip_bfloat16Lj256ELj16ElLj1ELj1ELj8ELNS0_26block_radix_rank_algorithmE2ELNS0_18block_padding_hintE2ELNS0_4arch9wavefront6targetE0EE19radix_bits_per_passE,@object
	.section	.rodata._ZN7rocprim17ROCPRIM_400000_NS16block_radix_sortI12hip_bfloat16Lj256ELj16ElLj1ELj1ELj8ELNS0_26block_radix_rank_algorithmE2ELNS0_18block_padding_hintE2ELNS0_4arch9wavefront6targetE0EE19radix_bits_per_passE,"aG",@progbits,_ZN7rocprim17ROCPRIM_400000_NS16block_radix_sortI12hip_bfloat16Lj256ELj16ElLj1ELj1ELj8ELNS0_26block_radix_rank_algorithmE2ELNS0_18block_padding_hintE2ELNS0_4arch9wavefront6targetE0EE19radix_bits_per_passE,comdat
	.weak	_ZN7rocprim17ROCPRIM_400000_NS16block_radix_sortI12hip_bfloat16Lj256ELj16ElLj1ELj1ELj8ELNS0_26block_radix_rank_algorithmE2ELNS0_18block_padding_hintE2ELNS0_4arch9wavefront6targetE0EE19radix_bits_per_passE
	.p2align	2, 0x0
_ZN7rocprim17ROCPRIM_400000_NS16block_radix_sortI12hip_bfloat16Lj256ELj16ElLj1ELj1ELj8ELNS0_26block_radix_rank_algorithmE2ELNS0_18block_padding_hintE2ELNS0_4arch9wavefront6targetE0EE19radix_bits_per_passE:
	.long	8                               ; 0x8
	.size	_ZN7rocprim17ROCPRIM_400000_NS16block_radix_sortI12hip_bfloat16Lj256ELj16ElLj1ELj1ELj8ELNS0_26block_radix_rank_algorithmE2ELNS0_18block_padding_hintE2ELNS0_4arch9wavefront6targetE0EE19radix_bits_per_passE, 4

	.type	__hip_cuid_91f4ab1477aa6799,@object ; @__hip_cuid_91f4ab1477aa6799
	.section	.bss,"aw",@nobits
	.globl	__hip_cuid_91f4ab1477aa6799
__hip_cuid_91f4ab1477aa6799:
	.byte	0                               ; 0x0
	.size	__hip_cuid_91f4ab1477aa6799, 1

	.ident	"AMD clang version 22.0.0git (https://github.com/RadeonOpenCompute/llvm-project roc-7.2.4 26084 f58b06dce1f9c15707c5f808fd002e18c2accf7e)"
	.section	".note.GNU-stack","",@progbits
	.addrsig
	.addrsig_sym __hip_cuid_91f4ab1477aa6799
	.amdgpu_metadata
---
amdhsa.kernels:
  - .args:
      - .address_space:  global
        .offset:         0
        .size:           8
        .value_kind:     global_buffer
      - .offset:         8
        .size:           4
        .value_kind:     by_value
      - .offset:         12
        .size:           12
        .value_kind:     by_value
      - .offset:         24
        .size:           4
        .value_kind:     hidden_block_count_x
      - .offset:         28
        .size:           4
        .value_kind:     hidden_block_count_y
      - .offset:         32
        .size:           4
        .value_kind:     hidden_block_count_z
      - .offset:         36
        .size:           2
        .value_kind:     hidden_group_size_x
      - .offset:         38
        .size:           2
        .value_kind:     hidden_group_size_y
      - .offset:         40
        .size:           2
        .value_kind:     hidden_group_size_z
      - .offset:         42
        .size:           2
        .value_kind:     hidden_remainder_x
      - .offset:         44
        .size:           2
        .value_kind:     hidden_remainder_y
      - .offset:         46
        .size:           2
        .value_kind:     hidden_remainder_z
      - .offset:         64
        .size:           8
        .value_kind:     hidden_global_offset_x
      - .offset:         72
        .size:           8
        .value_kind:     hidden_global_offset_y
      - .offset:         80
        .size:           8
        .value_kind:     hidden_global_offset_z
      - .offset:         88
        .size:           2
        .value_kind:     hidden_grid_dims
    .group_segment_fixed_size: 0
    .kernarg_segment_align: 8
    .kernarg_segment_size: 280
    .language:       OpenCL C
    .language_version:
      - 2
      - 0
    .max_flat_workgroup_size: 1024
    .name:           _ZN2at6native12_GLOBAL__N_129fill_index_and_segment_kernelEP15HIP_vector_typeIiLj2EEiNS_4cuda6detail10IntDividerIjEE
    .private_segment_fixed_size: 0
    .sgpr_count:     22
    .sgpr_spill_count: 0
    .symbol:         _ZN2at6native12_GLOBAL__N_129fill_index_and_segment_kernelEP15HIP_vector_typeIiLj2EEiNS_4cuda6detail10IntDividerIjEE.kd
    .uniform_work_group_size: 1
    .uses_dynamic_stack: false
    .vgpr_count:     12
    .vgpr_spill_count: 0
    .wavefront_size: 32
  - .args:
      - .address_space:  global
        .offset:         0
        .size:           8
        .value_kind:     global_buffer
      - .offset:         8
        .size:           4
        .value_kind:     by_value
      - .offset:         12
        .size:           12
        .value_kind:     by_value
      - .offset:         24
        .size:           4
        .value_kind:     hidden_block_count_x
      - .offset:         28
        .size:           4
        .value_kind:     hidden_block_count_y
      - .offset:         32
        .size:           4
        .value_kind:     hidden_block_count_z
      - .offset:         36
        .size:           2
        .value_kind:     hidden_group_size_x
      - .offset:         38
        .size:           2
        .value_kind:     hidden_group_size_y
      - .offset:         40
        .size:           2
        .value_kind:     hidden_group_size_z
      - .offset:         42
        .size:           2
        .value_kind:     hidden_remainder_x
      - .offset:         44
        .size:           2
        .value_kind:     hidden_remainder_y
      - .offset:         46
        .size:           2
        .value_kind:     hidden_remainder_z
      - .offset:         64
        .size:           8
        .value_kind:     hidden_global_offset_x
      - .offset:         72
        .size:           8
        .value_kind:     hidden_global_offset_y
      - .offset:         80
        .size:           8
        .value_kind:     hidden_global_offset_z
      - .offset:         88
        .size:           2
        .value_kind:     hidden_grid_dims
    .group_segment_fixed_size: 0
    .kernarg_segment_align: 8
    .kernarg_segment_size: 280
    .language:       OpenCL C
    .language_version:
      - 2
      - 0
    .max_flat_workgroup_size: 1024
    .name:           _ZN2at6native12_GLOBAL__N_127fill_reverse_indices_kernelEPliNS_4cuda6detail10IntDividerIjEE
    .private_segment_fixed_size: 0
    .sgpr_count:     22
    .sgpr_spill_count: 0
    .symbol:         _ZN2at6native12_GLOBAL__N_127fill_reverse_indices_kernelEPliNS_4cuda6detail10IntDividerIjEE.kd
    .uniform_work_group_size: 1
    .uses_dynamic_stack: false
    .vgpr_count:     12
    .vgpr_spill_count: 0
    .wavefront_size: 32
  - .args:
      - .address_space:  global
        .offset:         0
        .size:           8
        .value_kind:     global_buffer
      - .address_space:  global
        .offset:         8
        .size:           8
        .value_kind:     global_buffer
      - .address_space:  global
        .offset:         16
        .size:           8
        .value_kind:     global_buffer
      - .address_space:  global
        .offset:         24
        .size:           8
        .value_kind:     global_buffer
      - .offset:         32
        .size:           4
        .value_kind:     by_value
      - .offset:         36
        .size:           4
        .value_kind:     by_value
      - .offset:         40
        .size:           4
        .value_kind:     hidden_block_count_x
      - .offset:         44
        .size:           4
        .value_kind:     hidden_block_count_y
      - .offset:         48
        .size:           4
        .value_kind:     hidden_block_count_z
      - .offset:         52
        .size:           2
        .value_kind:     hidden_group_size_x
      - .offset:         54
        .size:           2
        .value_kind:     hidden_group_size_y
      - .offset:         56
        .size:           2
        .value_kind:     hidden_group_size_z
      - .offset:         58
        .size:           2
        .value_kind:     hidden_remainder_x
      - .offset:         60
        .size:           2
        .value_kind:     hidden_remainder_y
      - .offset:         62
        .size:           2
        .value_kind:     hidden_remainder_z
      - .offset:         80
        .size:           8
        .value_kind:     hidden_global_offset_x
      - .offset:         88
        .size:           8
        .value_kind:     hidden_global_offset_y
      - .offset:         96
        .size:           8
        .value_kind:     hidden_global_offset_z
      - .offset:         104
        .size:           2
        .value_kind:     hidden_grid_dims
    .group_segment_fixed_size: 0
    .kernarg_segment_align: 8
    .kernarg_segment_size: 296
    .language:       OpenCL C
    .language_version:
      - 2
      - 0
    .max_flat_workgroup_size: 1024
    .name:           _ZN2at6native12_GLOBAL__N_123sort_postprocess_kernelIhEEvPKT_PS3_PlPK15HIP_vector_typeIiLj2EEii
    .private_segment_fixed_size: 0
    .sgpr_count:     24
    .sgpr_spill_count: 0
    .symbol:         _ZN2at6native12_GLOBAL__N_123sort_postprocess_kernelIhEEvPKT_PS3_PlPK15HIP_vector_typeIiLj2EEii.kd
    .uniform_work_group_size: 1
    .uses_dynamic_stack: false
    .vgpr_count:     16
    .vgpr_spill_count: 0
    .wavefront_size: 32
  - .args:
      - .address_space:  global
        .offset:         0
        .size:           8
        .value_kind:     global_buffer
      - .offset:         8
        .size:           4
        .value_kind:     by_value
      - .offset:         12
        .size:           1
        .value_kind:     by_value
      - .offset:         16
        .size:           4
        .value_kind:     by_value
      - .address_space:  global
        .offset:         24
        .size:           8
        .value_kind:     global_buffer
      - .offset:         32
        .size:           4
        .value_kind:     hidden_block_count_x
      - .offset:         36
        .size:           4
        .value_kind:     hidden_block_count_y
      - .offset:         40
        .size:           4
        .value_kind:     hidden_block_count_z
      - .offset:         44
        .size:           2
        .value_kind:     hidden_group_size_x
      - .offset:         46
        .size:           2
        .value_kind:     hidden_group_size_y
      - .offset:         48
        .size:           2
        .value_kind:     hidden_group_size_z
      - .offset:         50
        .size:           2
        .value_kind:     hidden_remainder_x
      - .offset:         52
        .size:           2
        .value_kind:     hidden_remainder_y
      - .offset:         54
        .size:           2
        .value_kind:     hidden_remainder_z
      - .offset:         72
        .size:           8
        .value_kind:     hidden_global_offset_x
      - .offset:         80
        .size:           8
        .value_kind:     hidden_global_offset_y
      - .offset:         88
        .size:           8
        .value_kind:     hidden_global_offset_z
      - .offset:         96
        .size:           2
        .value_kind:     hidden_grid_dims
    .group_segment_fixed_size: 0
    .kernarg_segment_align: 8
    .kernarg_segment_size: 288
    .language:       OpenCL C
    .language_version:
      - 2
      - 0
    .max_flat_workgroup_size: 256
    .name:           _ZN7rocprim17ROCPRIM_400000_NS6detail31init_lookback_scan_state_kernelINS1_19lookback_scan_stateI15HIP_vector_typeIjLj2EELb0ELb1EEENS1_16block_id_wrapperIjLb0EEEEEvT_jT0_jPNS9_10value_typeE
    .private_segment_fixed_size: 0
    .sgpr_count:     13
    .sgpr_spill_count: 0
    .symbol:         _ZN7rocprim17ROCPRIM_400000_NS6detail31init_lookback_scan_state_kernelINS1_19lookback_scan_stateI15HIP_vector_typeIjLj2EELb0ELb1EEENS1_16block_id_wrapperIjLb0EEEEEvT_jT0_jPNS9_10value_typeE.kd
    .uniform_work_group_size: 1
    .uses_dynamic_stack: false
    .vgpr_count:     9
    .vgpr_spill_count: 0
    .wavefront_size: 32
  - .args:
      - .offset:         0
        .size:           176
        .value_kind:     by_value
    .group_segment_fixed_size: 13328
    .kernarg_segment_align: 8
    .kernarg_segment_size: 176
    .language:       OpenCL C
    .language_version:
      - 2
      - 0
    .max_flat_workgroup_size: 256
    .name:           _ZN7rocprim17ROCPRIM_400000_NS6detail17trampoline_kernelINS0_13select_configILj256ELj13ELNS0_17block_load_methodE3ELS4_3ELS4_3ELNS0_20block_scan_algorithmE0ELj4294967295EEENS1_25partition_config_selectorILNS1_17partition_subalgoE4EjNS0_10empty_typeEbEEZZNS1_14partition_implILS8_4ELb0ES6_15HIP_vector_typeIjLj2EENS0_17counting_iteratorIjlEEPS9_SG_NS0_5tupleIJPjSI_NS0_16reverse_iteratorISI_EEEEENSH_IJSG_SG_SG_EEES9_SI_JZNS1_25segmented_radix_sort_implINS0_14default_configELb1EPKhPhPKlPlN2at6native12_GLOBAL__N_18offset_tEEE10hipError_tPvRmT1_PNSt15iterator_traitsIS12_E10value_typeET2_T3_PNS13_IS18_E10value_typeET4_jRbjT5_S1E_jjP12ihipStream_tbEUljE_ZNSN_ISO_Lb1ESQ_SR_ST_SU_SY_EESZ_S10_S11_S12_S16_S17_S18_S1B_S1C_jS1D_jS1E_S1E_jjS1G_bEUljE0_EEESZ_S10_S11_S18_S1C_S1E_T6_T7_T9_mT8_S1G_bDpT10_ENKUlT_T0_E_clISt17integral_constantIbLb0EES1U_EEDaS1P_S1Q_EUlS1P_E_NS1_11comp_targetILNS1_3genE0ELNS1_11target_archE4294967295ELNS1_3gpuE0ELNS1_3repE0EEENS1_30default_config_static_selectorELNS0_4arch9wavefront6targetE0EEEvS12_
    .private_segment_fixed_size: 0
    .sgpr_count:     61
    .sgpr_spill_count: 0
    .symbol:         _ZN7rocprim17ROCPRIM_400000_NS6detail17trampoline_kernelINS0_13select_configILj256ELj13ELNS0_17block_load_methodE3ELS4_3ELS4_3ELNS0_20block_scan_algorithmE0ELj4294967295EEENS1_25partition_config_selectorILNS1_17partition_subalgoE4EjNS0_10empty_typeEbEEZZNS1_14partition_implILS8_4ELb0ES6_15HIP_vector_typeIjLj2EENS0_17counting_iteratorIjlEEPS9_SG_NS0_5tupleIJPjSI_NS0_16reverse_iteratorISI_EEEEENSH_IJSG_SG_SG_EEES9_SI_JZNS1_25segmented_radix_sort_implINS0_14default_configELb1EPKhPhPKlPlN2at6native12_GLOBAL__N_18offset_tEEE10hipError_tPvRmT1_PNSt15iterator_traitsIS12_E10value_typeET2_T3_PNS13_IS18_E10value_typeET4_jRbjT5_S1E_jjP12ihipStream_tbEUljE_ZNSN_ISO_Lb1ESQ_SR_ST_SU_SY_EESZ_S10_S11_S12_S16_S17_S18_S1B_S1C_jS1D_jS1E_S1E_jjS1G_bEUljE0_EEESZ_S10_S11_S18_S1C_S1E_T6_T7_T9_mT8_S1G_bDpT10_ENKUlT_T0_E_clISt17integral_constantIbLb0EES1U_EEDaS1P_S1Q_EUlS1P_E_NS1_11comp_targetILNS1_3genE0ELNS1_11target_archE4294967295ELNS1_3gpuE0ELNS1_3repE0EEENS1_30default_config_static_selectorELNS0_4arch9wavefront6targetE0EEEvS12_.kd
    .uniform_work_group_size: 1
    .uses_dynamic_stack: false
    .vgpr_count:     81
    .vgpr_spill_count: 0
    .wavefront_size: 32
  - .args:
      - .offset:         0
        .size:           176
        .value_kind:     by_value
    .group_segment_fixed_size: 0
    .kernarg_segment_align: 8
    .kernarg_segment_size: 176
    .language:       OpenCL C
    .language_version:
      - 2
      - 0
    .max_flat_workgroup_size: 256
    .name:           _ZN7rocprim17ROCPRIM_400000_NS6detail17trampoline_kernelINS0_13select_configILj256ELj13ELNS0_17block_load_methodE3ELS4_3ELS4_3ELNS0_20block_scan_algorithmE0ELj4294967295EEENS1_25partition_config_selectorILNS1_17partition_subalgoE4EjNS0_10empty_typeEbEEZZNS1_14partition_implILS8_4ELb0ES6_15HIP_vector_typeIjLj2EENS0_17counting_iteratorIjlEEPS9_SG_NS0_5tupleIJPjSI_NS0_16reverse_iteratorISI_EEEEENSH_IJSG_SG_SG_EEES9_SI_JZNS1_25segmented_radix_sort_implINS0_14default_configELb1EPKhPhPKlPlN2at6native12_GLOBAL__N_18offset_tEEE10hipError_tPvRmT1_PNSt15iterator_traitsIS12_E10value_typeET2_T3_PNS13_IS18_E10value_typeET4_jRbjT5_S1E_jjP12ihipStream_tbEUljE_ZNSN_ISO_Lb1ESQ_SR_ST_SU_SY_EESZ_S10_S11_S12_S16_S17_S18_S1B_S1C_jS1D_jS1E_S1E_jjS1G_bEUljE0_EEESZ_S10_S11_S18_S1C_S1E_T6_T7_T9_mT8_S1G_bDpT10_ENKUlT_T0_E_clISt17integral_constantIbLb0EES1U_EEDaS1P_S1Q_EUlS1P_E_NS1_11comp_targetILNS1_3genE5ELNS1_11target_archE942ELNS1_3gpuE9ELNS1_3repE0EEENS1_30default_config_static_selectorELNS0_4arch9wavefront6targetE0EEEvS12_
    .private_segment_fixed_size: 0
    .sgpr_count:     0
    .sgpr_spill_count: 0
    .symbol:         _ZN7rocprim17ROCPRIM_400000_NS6detail17trampoline_kernelINS0_13select_configILj256ELj13ELNS0_17block_load_methodE3ELS4_3ELS4_3ELNS0_20block_scan_algorithmE0ELj4294967295EEENS1_25partition_config_selectorILNS1_17partition_subalgoE4EjNS0_10empty_typeEbEEZZNS1_14partition_implILS8_4ELb0ES6_15HIP_vector_typeIjLj2EENS0_17counting_iteratorIjlEEPS9_SG_NS0_5tupleIJPjSI_NS0_16reverse_iteratorISI_EEEEENSH_IJSG_SG_SG_EEES9_SI_JZNS1_25segmented_radix_sort_implINS0_14default_configELb1EPKhPhPKlPlN2at6native12_GLOBAL__N_18offset_tEEE10hipError_tPvRmT1_PNSt15iterator_traitsIS12_E10value_typeET2_T3_PNS13_IS18_E10value_typeET4_jRbjT5_S1E_jjP12ihipStream_tbEUljE_ZNSN_ISO_Lb1ESQ_SR_ST_SU_SY_EESZ_S10_S11_S12_S16_S17_S18_S1B_S1C_jS1D_jS1E_S1E_jjS1G_bEUljE0_EEESZ_S10_S11_S18_S1C_S1E_T6_T7_T9_mT8_S1G_bDpT10_ENKUlT_T0_E_clISt17integral_constantIbLb0EES1U_EEDaS1P_S1Q_EUlS1P_E_NS1_11comp_targetILNS1_3genE5ELNS1_11target_archE942ELNS1_3gpuE9ELNS1_3repE0EEENS1_30default_config_static_selectorELNS0_4arch9wavefront6targetE0EEEvS12_.kd
    .uniform_work_group_size: 1
    .uses_dynamic_stack: false
    .vgpr_count:     0
    .vgpr_spill_count: 0
    .wavefront_size: 32
  - .args:
      - .offset:         0
        .size:           176
        .value_kind:     by_value
    .group_segment_fixed_size: 0
    .kernarg_segment_align: 8
    .kernarg_segment_size: 176
    .language:       OpenCL C
    .language_version:
      - 2
      - 0
    .max_flat_workgroup_size: 256
    .name:           _ZN7rocprim17ROCPRIM_400000_NS6detail17trampoline_kernelINS0_13select_configILj256ELj13ELNS0_17block_load_methodE3ELS4_3ELS4_3ELNS0_20block_scan_algorithmE0ELj4294967295EEENS1_25partition_config_selectorILNS1_17partition_subalgoE4EjNS0_10empty_typeEbEEZZNS1_14partition_implILS8_4ELb0ES6_15HIP_vector_typeIjLj2EENS0_17counting_iteratorIjlEEPS9_SG_NS0_5tupleIJPjSI_NS0_16reverse_iteratorISI_EEEEENSH_IJSG_SG_SG_EEES9_SI_JZNS1_25segmented_radix_sort_implINS0_14default_configELb1EPKhPhPKlPlN2at6native12_GLOBAL__N_18offset_tEEE10hipError_tPvRmT1_PNSt15iterator_traitsIS12_E10value_typeET2_T3_PNS13_IS18_E10value_typeET4_jRbjT5_S1E_jjP12ihipStream_tbEUljE_ZNSN_ISO_Lb1ESQ_SR_ST_SU_SY_EESZ_S10_S11_S12_S16_S17_S18_S1B_S1C_jS1D_jS1E_S1E_jjS1G_bEUljE0_EEESZ_S10_S11_S18_S1C_S1E_T6_T7_T9_mT8_S1G_bDpT10_ENKUlT_T0_E_clISt17integral_constantIbLb0EES1U_EEDaS1P_S1Q_EUlS1P_E_NS1_11comp_targetILNS1_3genE4ELNS1_11target_archE910ELNS1_3gpuE8ELNS1_3repE0EEENS1_30default_config_static_selectorELNS0_4arch9wavefront6targetE0EEEvS12_
    .private_segment_fixed_size: 0
    .sgpr_count:     0
    .sgpr_spill_count: 0
    .symbol:         _ZN7rocprim17ROCPRIM_400000_NS6detail17trampoline_kernelINS0_13select_configILj256ELj13ELNS0_17block_load_methodE3ELS4_3ELS4_3ELNS0_20block_scan_algorithmE0ELj4294967295EEENS1_25partition_config_selectorILNS1_17partition_subalgoE4EjNS0_10empty_typeEbEEZZNS1_14partition_implILS8_4ELb0ES6_15HIP_vector_typeIjLj2EENS0_17counting_iteratorIjlEEPS9_SG_NS0_5tupleIJPjSI_NS0_16reverse_iteratorISI_EEEEENSH_IJSG_SG_SG_EEES9_SI_JZNS1_25segmented_radix_sort_implINS0_14default_configELb1EPKhPhPKlPlN2at6native12_GLOBAL__N_18offset_tEEE10hipError_tPvRmT1_PNSt15iterator_traitsIS12_E10value_typeET2_T3_PNS13_IS18_E10value_typeET4_jRbjT5_S1E_jjP12ihipStream_tbEUljE_ZNSN_ISO_Lb1ESQ_SR_ST_SU_SY_EESZ_S10_S11_S12_S16_S17_S18_S1B_S1C_jS1D_jS1E_S1E_jjS1G_bEUljE0_EEESZ_S10_S11_S18_S1C_S1E_T6_T7_T9_mT8_S1G_bDpT10_ENKUlT_T0_E_clISt17integral_constantIbLb0EES1U_EEDaS1P_S1Q_EUlS1P_E_NS1_11comp_targetILNS1_3genE4ELNS1_11target_archE910ELNS1_3gpuE8ELNS1_3repE0EEENS1_30default_config_static_selectorELNS0_4arch9wavefront6targetE0EEEvS12_.kd
    .uniform_work_group_size: 1
    .uses_dynamic_stack: false
    .vgpr_count:     0
    .vgpr_spill_count: 0
    .wavefront_size: 32
  - .args:
      - .offset:         0
        .size:           176
        .value_kind:     by_value
    .group_segment_fixed_size: 0
    .kernarg_segment_align: 8
    .kernarg_segment_size: 176
    .language:       OpenCL C
    .language_version:
      - 2
      - 0
    .max_flat_workgroup_size: 256
    .name:           _ZN7rocprim17ROCPRIM_400000_NS6detail17trampoline_kernelINS0_13select_configILj256ELj13ELNS0_17block_load_methodE3ELS4_3ELS4_3ELNS0_20block_scan_algorithmE0ELj4294967295EEENS1_25partition_config_selectorILNS1_17partition_subalgoE4EjNS0_10empty_typeEbEEZZNS1_14partition_implILS8_4ELb0ES6_15HIP_vector_typeIjLj2EENS0_17counting_iteratorIjlEEPS9_SG_NS0_5tupleIJPjSI_NS0_16reverse_iteratorISI_EEEEENSH_IJSG_SG_SG_EEES9_SI_JZNS1_25segmented_radix_sort_implINS0_14default_configELb1EPKhPhPKlPlN2at6native12_GLOBAL__N_18offset_tEEE10hipError_tPvRmT1_PNSt15iterator_traitsIS12_E10value_typeET2_T3_PNS13_IS18_E10value_typeET4_jRbjT5_S1E_jjP12ihipStream_tbEUljE_ZNSN_ISO_Lb1ESQ_SR_ST_SU_SY_EESZ_S10_S11_S12_S16_S17_S18_S1B_S1C_jS1D_jS1E_S1E_jjS1G_bEUljE0_EEESZ_S10_S11_S18_S1C_S1E_T6_T7_T9_mT8_S1G_bDpT10_ENKUlT_T0_E_clISt17integral_constantIbLb0EES1U_EEDaS1P_S1Q_EUlS1P_E_NS1_11comp_targetILNS1_3genE3ELNS1_11target_archE908ELNS1_3gpuE7ELNS1_3repE0EEENS1_30default_config_static_selectorELNS0_4arch9wavefront6targetE0EEEvS12_
    .private_segment_fixed_size: 0
    .sgpr_count:     0
    .sgpr_spill_count: 0
    .symbol:         _ZN7rocprim17ROCPRIM_400000_NS6detail17trampoline_kernelINS0_13select_configILj256ELj13ELNS0_17block_load_methodE3ELS4_3ELS4_3ELNS0_20block_scan_algorithmE0ELj4294967295EEENS1_25partition_config_selectorILNS1_17partition_subalgoE4EjNS0_10empty_typeEbEEZZNS1_14partition_implILS8_4ELb0ES6_15HIP_vector_typeIjLj2EENS0_17counting_iteratorIjlEEPS9_SG_NS0_5tupleIJPjSI_NS0_16reverse_iteratorISI_EEEEENSH_IJSG_SG_SG_EEES9_SI_JZNS1_25segmented_radix_sort_implINS0_14default_configELb1EPKhPhPKlPlN2at6native12_GLOBAL__N_18offset_tEEE10hipError_tPvRmT1_PNSt15iterator_traitsIS12_E10value_typeET2_T3_PNS13_IS18_E10value_typeET4_jRbjT5_S1E_jjP12ihipStream_tbEUljE_ZNSN_ISO_Lb1ESQ_SR_ST_SU_SY_EESZ_S10_S11_S12_S16_S17_S18_S1B_S1C_jS1D_jS1E_S1E_jjS1G_bEUljE0_EEESZ_S10_S11_S18_S1C_S1E_T6_T7_T9_mT8_S1G_bDpT10_ENKUlT_T0_E_clISt17integral_constantIbLb0EES1U_EEDaS1P_S1Q_EUlS1P_E_NS1_11comp_targetILNS1_3genE3ELNS1_11target_archE908ELNS1_3gpuE7ELNS1_3repE0EEENS1_30default_config_static_selectorELNS0_4arch9wavefront6targetE0EEEvS12_.kd
    .uniform_work_group_size: 1
    .uses_dynamic_stack: false
    .vgpr_count:     0
    .vgpr_spill_count: 0
    .wavefront_size: 32
  - .args:
      - .offset:         0
        .size:           176
        .value_kind:     by_value
    .group_segment_fixed_size: 0
    .kernarg_segment_align: 8
    .kernarg_segment_size: 176
    .language:       OpenCL C
    .language_version:
      - 2
      - 0
    .max_flat_workgroup_size: 256
    .name:           _ZN7rocprim17ROCPRIM_400000_NS6detail17trampoline_kernelINS0_13select_configILj256ELj13ELNS0_17block_load_methodE3ELS4_3ELS4_3ELNS0_20block_scan_algorithmE0ELj4294967295EEENS1_25partition_config_selectorILNS1_17partition_subalgoE4EjNS0_10empty_typeEbEEZZNS1_14partition_implILS8_4ELb0ES6_15HIP_vector_typeIjLj2EENS0_17counting_iteratorIjlEEPS9_SG_NS0_5tupleIJPjSI_NS0_16reverse_iteratorISI_EEEEENSH_IJSG_SG_SG_EEES9_SI_JZNS1_25segmented_radix_sort_implINS0_14default_configELb1EPKhPhPKlPlN2at6native12_GLOBAL__N_18offset_tEEE10hipError_tPvRmT1_PNSt15iterator_traitsIS12_E10value_typeET2_T3_PNS13_IS18_E10value_typeET4_jRbjT5_S1E_jjP12ihipStream_tbEUljE_ZNSN_ISO_Lb1ESQ_SR_ST_SU_SY_EESZ_S10_S11_S12_S16_S17_S18_S1B_S1C_jS1D_jS1E_S1E_jjS1G_bEUljE0_EEESZ_S10_S11_S18_S1C_S1E_T6_T7_T9_mT8_S1G_bDpT10_ENKUlT_T0_E_clISt17integral_constantIbLb0EES1U_EEDaS1P_S1Q_EUlS1P_E_NS1_11comp_targetILNS1_3genE2ELNS1_11target_archE906ELNS1_3gpuE6ELNS1_3repE0EEENS1_30default_config_static_selectorELNS0_4arch9wavefront6targetE0EEEvS12_
    .private_segment_fixed_size: 0
    .sgpr_count:     0
    .sgpr_spill_count: 0
    .symbol:         _ZN7rocprim17ROCPRIM_400000_NS6detail17trampoline_kernelINS0_13select_configILj256ELj13ELNS0_17block_load_methodE3ELS4_3ELS4_3ELNS0_20block_scan_algorithmE0ELj4294967295EEENS1_25partition_config_selectorILNS1_17partition_subalgoE4EjNS0_10empty_typeEbEEZZNS1_14partition_implILS8_4ELb0ES6_15HIP_vector_typeIjLj2EENS0_17counting_iteratorIjlEEPS9_SG_NS0_5tupleIJPjSI_NS0_16reverse_iteratorISI_EEEEENSH_IJSG_SG_SG_EEES9_SI_JZNS1_25segmented_radix_sort_implINS0_14default_configELb1EPKhPhPKlPlN2at6native12_GLOBAL__N_18offset_tEEE10hipError_tPvRmT1_PNSt15iterator_traitsIS12_E10value_typeET2_T3_PNS13_IS18_E10value_typeET4_jRbjT5_S1E_jjP12ihipStream_tbEUljE_ZNSN_ISO_Lb1ESQ_SR_ST_SU_SY_EESZ_S10_S11_S12_S16_S17_S18_S1B_S1C_jS1D_jS1E_S1E_jjS1G_bEUljE0_EEESZ_S10_S11_S18_S1C_S1E_T6_T7_T9_mT8_S1G_bDpT10_ENKUlT_T0_E_clISt17integral_constantIbLb0EES1U_EEDaS1P_S1Q_EUlS1P_E_NS1_11comp_targetILNS1_3genE2ELNS1_11target_archE906ELNS1_3gpuE6ELNS1_3repE0EEENS1_30default_config_static_selectorELNS0_4arch9wavefront6targetE0EEEvS12_.kd
    .uniform_work_group_size: 1
    .uses_dynamic_stack: false
    .vgpr_count:     0
    .vgpr_spill_count: 0
    .wavefront_size: 32
  - .args:
      - .offset:         0
        .size:           176
        .value_kind:     by_value
    .group_segment_fixed_size: 0
    .kernarg_segment_align: 8
    .kernarg_segment_size: 176
    .language:       OpenCL C
    .language_version:
      - 2
      - 0
    .max_flat_workgroup_size: 256
    .name:           _ZN7rocprim17ROCPRIM_400000_NS6detail17trampoline_kernelINS0_13select_configILj256ELj13ELNS0_17block_load_methodE3ELS4_3ELS4_3ELNS0_20block_scan_algorithmE0ELj4294967295EEENS1_25partition_config_selectorILNS1_17partition_subalgoE4EjNS0_10empty_typeEbEEZZNS1_14partition_implILS8_4ELb0ES6_15HIP_vector_typeIjLj2EENS0_17counting_iteratorIjlEEPS9_SG_NS0_5tupleIJPjSI_NS0_16reverse_iteratorISI_EEEEENSH_IJSG_SG_SG_EEES9_SI_JZNS1_25segmented_radix_sort_implINS0_14default_configELb1EPKhPhPKlPlN2at6native12_GLOBAL__N_18offset_tEEE10hipError_tPvRmT1_PNSt15iterator_traitsIS12_E10value_typeET2_T3_PNS13_IS18_E10value_typeET4_jRbjT5_S1E_jjP12ihipStream_tbEUljE_ZNSN_ISO_Lb1ESQ_SR_ST_SU_SY_EESZ_S10_S11_S12_S16_S17_S18_S1B_S1C_jS1D_jS1E_S1E_jjS1G_bEUljE0_EEESZ_S10_S11_S18_S1C_S1E_T6_T7_T9_mT8_S1G_bDpT10_ENKUlT_T0_E_clISt17integral_constantIbLb0EES1U_EEDaS1P_S1Q_EUlS1P_E_NS1_11comp_targetILNS1_3genE10ELNS1_11target_archE1200ELNS1_3gpuE4ELNS1_3repE0EEENS1_30default_config_static_selectorELNS0_4arch9wavefront6targetE0EEEvS12_
    .private_segment_fixed_size: 0
    .sgpr_count:     0
    .sgpr_spill_count: 0
    .symbol:         _ZN7rocprim17ROCPRIM_400000_NS6detail17trampoline_kernelINS0_13select_configILj256ELj13ELNS0_17block_load_methodE3ELS4_3ELS4_3ELNS0_20block_scan_algorithmE0ELj4294967295EEENS1_25partition_config_selectorILNS1_17partition_subalgoE4EjNS0_10empty_typeEbEEZZNS1_14partition_implILS8_4ELb0ES6_15HIP_vector_typeIjLj2EENS0_17counting_iteratorIjlEEPS9_SG_NS0_5tupleIJPjSI_NS0_16reverse_iteratorISI_EEEEENSH_IJSG_SG_SG_EEES9_SI_JZNS1_25segmented_radix_sort_implINS0_14default_configELb1EPKhPhPKlPlN2at6native12_GLOBAL__N_18offset_tEEE10hipError_tPvRmT1_PNSt15iterator_traitsIS12_E10value_typeET2_T3_PNS13_IS18_E10value_typeET4_jRbjT5_S1E_jjP12ihipStream_tbEUljE_ZNSN_ISO_Lb1ESQ_SR_ST_SU_SY_EESZ_S10_S11_S12_S16_S17_S18_S1B_S1C_jS1D_jS1E_S1E_jjS1G_bEUljE0_EEESZ_S10_S11_S18_S1C_S1E_T6_T7_T9_mT8_S1G_bDpT10_ENKUlT_T0_E_clISt17integral_constantIbLb0EES1U_EEDaS1P_S1Q_EUlS1P_E_NS1_11comp_targetILNS1_3genE10ELNS1_11target_archE1200ELNS1_3gpuE4ELNS1_3repE0EEENS1_30default_config_static_selectorELNS0_4arch9wavefront6targetE0EEEvS12_.kd
    .uniform_work_group_size: 1
    .uses_dynamic_stack: false
    .vgpr_count:     0
    .vgpr_spill_count: 0
    .wavefront_size: 32
  - .args:
      - .offset:         0
        .size:           176
        .value_kind:     by_value
    .group_segment_fixed_size: 0
    .kernarg_segment_align: 8
    .kernarg_segment_size: 176
    .language:       OpenCL C
    .language_version:
      - 2
      - 0
    .max_flat_workgroup_size: 256
    .name:           _ZN7rocprim17ROCPRIM_400000_NS6detail17trampoline_kernelINS0_13select_configILj256ELj13ELNS0_17block_load_methodE3ELS4_3ELS4_3ELNS0_20block_scan_algorithmE0ELj4294967295EEENS1_25partition_config_selectorILNS1_17partition_subalgoE4EjNS0_10empty_typeEbEEZZNS1_14partition_implILS8_4ELb0ES6_15HIP_vector_typeIjLj2EENS0_17counting_iteratorIjlEEPS9_SG_NS0_5tupleIJPjSI_NS0_16reverse_iteratorISI_EEEEENSH_IJSG_SG_SG_EEES9_SI_JZNS1_25segmented_radix_sort_implINS0_14default_configELb1EPKhPhPKlPlN2at6native12_GLOBAL__N_18offset_tEEE10hipError_tPvRmT1_PNSt15iterator_traitsIS12_E10value_typeET2_T3_PNS13_IS18_E10value_typeET4_jRbjT5_S1E_jjP12ihipStream_tbEUljE_ZNSN_ISO_Lb1ESQ_SR_ST_SU_SY_EESZ_S10_S11_S12_S16_S17_S18_S1B_S1C_jS1D_jS1E_S1E_jjS1G_bEUljE0_EEESZ_S10_S11_S18_S1C_S1E_T6_T7_T9_mT8_S1G_bDpT10_ENKUlT_T0_E_clISt17integral_constantIbLb0EES1U_EEDaS1P_S1Q_EUlS1P_E_NS1_11comp_targetILNS1_3genE9ELNS1_11target_archE1100ELNS1_3gpuE3ELNS1_3repE0EEENS1_30default_config_static_selectorELNS0_4arch9wavefront6targetE0EEEvS12_
    .private_segment_fixed_size: 0
    .sgpr_count:     0
    .sgpr_spill_count: 0
    .symbol:         _ZN7rocprim17ROCPRIM_400000_NS6detail17trampoline_kernelINS0_13select_configILj256ELj13ELNS0_17block_load_methodE3ELS4_3ELS4_3ELNS0_20block_scan_algorithmE0ELj4294967295EEENS1_25partition_config_selectorILNS1_17partition_subalgoE4EjNS0_10empty_typeEbEEZZNS1_14partition_implILS8_4ELb0ES6_15HIP_vector_typeIjLj2EENS0_17counting_iteratorIjlEEPS9_SG_NS0_5tupleIJPjSI_NS0_16reverse_iteratorISI_EEEEENSH_IJSG_SG_SG_EEES9_SI_JZNS1_25segmented_radix_sort_implINS0_14default_configELb1EPKhPhPKlPlN2at6native12_GLOBAL__N_18offset_tEEE10hipError_tPvRmT1_PNSt15iterator_traitsIS12_E10value_typeET2_T3_PNS13_IS18_E10value_typeET4_jRbjT5_S1E_jjP12ihipStream_tbEUljE_ZNSN_ISO_Lb1ESQ_SR_ST_SU_SY_EESZ_S10_S11_S12_S16_S17_S18_S1B_S1C_jS1D_jS1E_S1E_jjS1G_bEUljE0_EEESZ_S10_S11_S18_S1C_S1E_T6_T7_T9_mT8_S1G_bDpT10_ENKUlT_T0_E_clISt17integral_constantIbLb0EES1U_EEDaS1P_S1Q_EUlS1P_E_NS1_11comp_targetILNS1_3genE9ELNS1_11target_archE1100ELNS1_3gpuE3ELNS1_3repE0EEENS1_30default_config_static_selectorELNS0_4arch9wavefront6targetE0EEEvS12_.kd
    .uniform_work_group_size: 1
    .uses_dynamic_stack: false
    .vgpr_count:     0
    .vgpr_spill_count: 0
    .wavefront_size: 32
  - .args:
      - .offset:         0
        .size:           176
        .value_kind:     by_value
    .group_segment_fixed_size: 0
    .kernarg_segment_align: 8
    .kernarg_segment_size: 176
    .language:       OpenCL C
    .language_version:
      - 2
      - 0
    .max_flat_workgroup_size: 256
    .name:           _ZN7rocprim17ROCPRIM_400000_NS6detail17trampoline_kernelINS0_13select_configILj256ELj13ELNS0_17block_load_methodE3ELS4_3ELS4_3ELNS0_20block_scan_algorithmE0ELj4294967295EEENS1_25partition_config_selectorILNS1_17partition_subalgoE4EjNS0_10empty_typeEbEEZZNS1_14partition_implILS8_4ELb0ES6_15HIP_vector_typeIjLj2EENS0_17counting_iteratorIjlEEPS9_SG_NS0_5tupleIJPjSI_NS0_16reverse_iteratorISI_EEEEENSH_IJSG_SG_SG_EEES9_SI_JZNS1_25segmented_radix_sort_implINS0_14default_configELb1EPKhPhPKlPlN2at6native12_GLOBAL__N_18offset_tEEE10hipError_tPvRmT1_PNSt15iterator_traitsIS12_E10value_typeET2_T3_PNS13_IS18_E10value_typeET4_jRbjT5_S1E_jjP12ihipStream_tbEUljE_ZNSN_ISO_Lb1ESQ_SR_ST_SU_SY_EESZ_S10_S11_S12_S16_S17_S18_S1B_S1C_jS1D_jS1E_S1E_jjS1G_bEUljE0_EEESZ_S10_S11_S18_S1C_S1E_T6_T7_T9_mT8_S1G_bDpT10_ENKUlT_T0_E_clISt17integral_constantIbLb0EES1U_EEDaS1P_S1Q_EUlS1P_E_NS1_11comp_targetILNS1_3genE8ELNS1_11target_archE1030ELNS1_3gpuE2ELNS1_3repE0EEENS1_30default_config_static_selectorELNS0_4arch9wavefront6targetE0EEEvS12_
    .private_segment_fixed_size: 0
    .sgpr_count:     0
    .sgpr_spill_count: 0
    .symbol:         _ZN7rocprim17ROCPRIM_400000_NS6detail17trampoline_kernelINS0_13select_configILj256ELj13ELNS0_17block_load_methodE3ELS4_3ELS4_3ELNS0_20block_scan_algorithmE0ELj4294967295EEENS1_25partition_config_selectorILNS1_17partition_subalgoE4EjNS0_10empty_typeEbEEZZNS1_14partition_implILS8_4ELb0ES6_15HIP_vector_typeIjLj2EENS0_17counting_iteratorIjlEEPS9_SG_NS0_5tupleIJPjSI_NS0_16reverse_iteratorISI_EEEEENSH_IJSG_SG_SG_EEES9_SI_JZNS1_25segmented_radix_sort_implINS0_14default_configELb1EPKhPhPKlPlN2at6native12_GLOBAL__N_18offset_tEEE10hipError_tPvRmT1_PNSt15iterator_traitsIS12_E10value_typeET2_T3_PNS13_IS18_E10value_typeET4_jRbjT5_S1E_jjP12ihipStream_tbEUljE_ZNSN_ISO_Lb1ESQ_SR_ST_SU_SY_EESZ_S10_S11_S12_S16_S17_S18_S1B_S1C_jS1D_jS1E_S1E_jjS1G_bEUljE0_EEESZ_S10_S11_S18_S1C_S1E_T6_T7_T9_mT8_S1G_bDpT10_ENKUlT_T0_E_clISt17integral_constantIbLb0EES1U_EEDaS1P_S1Q_EUlS1P_E_NS1_11comp_targetILNS1_3genE8ELNS1_11target_archE1030ELNS1_3gpuE2ELNS1_3repE0EEENS1_30default_config_static_selectorELNS0_4arch9wavefront6targetE0EEEvS12_.kd
    .uniform_work_group_size: 1
    .uses_dynamic_stack: false
    .vgpr_count:     0
    .vgpr_spill_count: 0
    .wavefront_size: 32
  - .args:
      - .offset:         0
        .size:           40
        .value_kind:     by_value
      - .offset:         40
        .size:           4
        .value_kind:     hidden_block_count_x
      - .offset:         44
        .size:           4
        .value_kind:     hidden_block_count_y
      - .offset:         48
        .size:           4
        .value_kind:     hidden_block_count_z
      - .offset:         52
        .size:           2
        .value_kind:     hidden_group_size_x
      - .offset:         54
        .size:           2
        .value_kind:     hidden_group_size_y
      - .offset:         56
        .size:           2
        .value_kind:     hidden_group_size_z
      - .offset:         58
        .size:           2
        .value_kind:     hidden_remainder_x
      - .offset:         60
        .size:           2
        .value_kind:     hidden_remainder_y
      - .offset:         62
        .size:           2
        .value_kind:     hidden_remainder_z
      - .offset:         80
        .size:           8
        .value_kind:     hidden_global_offset_x
      - .offset:         88
        .size:           8
        .value_kind:     hidden_global_offset_y
      - .offset:         96
        .size:           8
        .value_kind:     hidden_global_offset_z
      - .offset:         104
        .size:           2
        .value_kind:     hidden_grid_dims
    .group_segment_fixed_size: 0
    .kernarg_segment_align: 8
    .kernarg_segment_size: 296
    .language:       OpenCL C
    .language_version:
      - 2
      - 0
    .max_flat_workgroup_size: 128
    .name:           _ZN7rocprim17ROCPRIM_400000_NS6detail17trampoline_kernelINS0_14default_configENS1_25transform_config_selectorImLb1EEEZNS1_14transform_implILb1ES3_S5_PmPjNS0_8identityIvEEEE10hipError_tT2_T3_mT4_P12ihipStream_tbEUlT_E_NS1_11comp_targetILNS1_3genE0ELNS1_11target_archE4294967295ELNS1_3gpuE0ELNS1_3repE0EEENS1_30default_config_static_selectorELNS0_4arch9wavefront6targetE0EEEvT1_
    .private_segment_fixed_size: 0
    .sgpr_count:     12
    .sgpr_spill_count: 0
    .symbol:         _ZN7rocprim17ROCPRIM_400000_NS6detail17trampoline_kernelINS0_14default_configENS1_25transform_config_selectorImLb1EEEZNS1_14transform_implILb1ES3_S5_PmPjNS0_8identityIvEEEE10hipError_tT2_T3_mT4_P12ihipStream_tbEUlT_E_NS1_11comp_targetILNS1_3genE0ELNS1_11target_archE4294967295ELNS1_3gpuE0ELNS1_3repE0EEENS1_30default_config_static_selectorELNS0_4arch9wavefront6targetE0EEEvT1_.kd
    .uniform_work_group_size: 1
    .uses_dynamic_stack: false
    .vgpr_count:     2
    .vgpr_spill_count: 0
    .wavefront_size: 32
  - .args:
      - .offset:         0
        .size:           40
        .value_kind:     by_value
    .group_segment_fixed_size: 0
    .kernarg_segment_align: 8
    .kernarg_segment_size: 40
    .language:       OpenCL C
    .language_version:
      - 2
      - 0
    .max_flat_workgroup_size: 1024
    .name:           _ZN7rocprim17ROCPRIM_400000_NS6detail17trampoline_kernelINS0_14default_configENS1_25transform_config_selectorImLb1EEEZNS1_14transform_implILb1ES3_S5_PmPjNS0_8identityIvEEEE10hipError_tT2_T3_mT4_P12ihipStream_tbEUlT_E_NS1_11comp_targetILNS1_3genE10ELNS1_11target_archE1201ELNS1_3gpuE5ELNS1_3repE0EEENS1_30default_config_static_selectorELNS0_4arch9wavefront6targetE0EEEvT1_
    .private_segment_fixed_size: 0
    .sgpr_count:     0
    .sgpr_spill_count: 0
    .symbol:         _ZN7rocprim17ROCPRIM_400000_NS6detail17trampoline_kernelINS0_14default_configENS1_25transform_config_selectorImLb1EEEZNS1_14transform_implILb1ES3_S5_PmPjNS0_8identityIvEEEE10hipError_tT2_T3_mT4_P12ihipStream_tbEUlT_E_NS1_11comp_targetILNS1_3genE10ELNS1_11target_archE1201ELNS1_3gpuE5ELNS1_3repE0EEENS1_30default_config_static_selectorELNS0_4arch9wavefront6targetE0EEEvT1_.kd
    .uniform_work_group_size: 1
    .uses_dynamic_stack: false
    .vgpr_count:     0
    .vgpr_spill_count: 0
    .wavefront_size: 32
  - .args:
      - .offset:         0
        .size:           40
        .value_kind:     by_value
    .group_segment_fixed_size: 0
    .kernarg_segment_align: 8
    .kernarg_segment_size: 40
    .language:       OpenCL C
    .language_version:
      - 2
      - 0
    .max_flat_workgroup_size: 512
    .name:           _ZN7rocprim17ROCPRIM_400000_NS6detail17trampoline_kernelINS0_14default_configENS1_25transform_config_selectorImLb1EEEZNS1_14transform_implILb1ES3_S5_PmPjNS0_8identityIvEEEE10hipError_tT2_T3_mT4_P12ihipStream_tbEUlT_E_NS1_11comp_targetILNS1_3genE5ELNS1_11target_archE942ELNS1_3gpuE9ELNS1_3repE0EEENS1_30default_config_static_selectorELNS0_4arch9wavefront6targetE0EEEvT1_
    .private_segment_fixed_size: 0
    .sgpr_count:     0
    .sgpr_spill_count: 0
    .symbol:         _ZN7rocprim17ROCPRIM_400000_NS6detail17trampoline_kernelINS0_14default_configENS1_25transform_config_selectorImLb1EEEZNS1_14transform_implILb1ES3_S5_PmPjNS0_8identityIvEEEE10hipError_tT2_T3_mT4_P12ihipStream_tbEUlT_E_NS1_11comp_targetILNS1_3genE5ELNS1_11target_archE942ELNS1_3gpuE9ELNS1_3repE0EEENS1_30default_config_static_selectorELNS0_4arch9wavefront6targetE0EEEvT1_.kd
    .uniform_work_group_size: 1
    .uses_dynamic_stack: false
    .vgpr_count:     0
    .vgpr_spill_count: 0
    .wavefront_size: 32
  - .args:
      - .offset:         0
        .size:           40
        .value_kind:     by_value
    .group_segment_fixed_size: 0
    .kernarg_segment_align: 8
    .kernarg_segment_size: 40
    .language:       OpenCL C
    .language_version:
      - 2
      - 0
    .max_flat_workgroup_size: 1024
    .name:           _ZN7rocprim17ROCPRIM_400000_NS6detail17trampoline_kernelINS0_14default_configENS1_25transform_config_selectorImLb1EEEZNS1_14transform_implILb1ES3_S5_PmPjNS0_8identityIvEEEE10hipError_tT2_T3_mT4_P12ihipStream_tbEUlT_E_NS1_11comp_targetILNS1_3genE4ELNS1_11target_archE910ELNS1_3gpuE8ELNS1_3repE0EEENS1_30default_config_static_selectorELNS0_4arch9wavefront6targetE0EEEvT1_
    .private_segment_fixed_size: 0
    .sgpr_count:     0
    .sgpr_spill_count: 0
    .symbol:         _ZN7rocprim17ROCPRIM_400000_NS6detail17trampoline_kernelINS0_14default_configENS1_25transform_config_selectorImLb1EEEZNS1_14transform_implILb1ES3_S5_PmPjNS0_8identityIvEEEE10hipError_tT2_T3_mT4_P12ihipStream_tbEUlT_E_NS1_11comp_targetILNS1_3genE4ELNS1_11target_archE910ELNS1_3gpuE8ELNS1_3repE0EEENS1_30default_config_static_selectorELNS0_4arch9wavefront6targetE0EEEvT1_.kd
    .uniform_work_group_size: 1
    .uses_dynamic_stack: false
    .vgpr_count:     0
    .vgpr_spill_count: 0
    .wavefront_size: 32
  - .args:
      - .offset:         0
        .size:           40
        .value_kind:     by_value
    .group_segment_fixed_size: 0
    .kernarg_segment_align: 8
    .kernarg_segment_size: 40
    .language:       OpenCL C
    .language_version:
      - 2
      - 0
    .max_flat_workgroup_size: 128
    .name:           _ZN7rocprim17ROCPRIM_400000_NS6detail17trampoline_kernelINS0_14default_configENS1_25transform_config_selectorImLb1EEEZNS1_14transform_implILb1ES3_S5_PmPjNS0_8identityIvEEEE10hipError_tT2_T3_mT4_P12ihipStream_tbEUlT_E_NS1_11comp_targetILNS1_3genE3ELNS1_11target_archE908ELNS1_3gpuE7ELNS1_3repE0EEENS1_30default_config_static_selectorELNS0_4arch9wavefront6targetE0EEEvT1_
    .private_segment_fixed_size: 0
    .sgpr_count:     0
    .sgpr_spill_count: 0
    .symbol:         _ZN7rocprim17ROCPRIM_400000_NS6detail17trampoline_kernelINS0_14default_configENS1_25transform_config_selectorImLb1EEEZNS1_14transform_implILb1ES3_S5_PmPjNS0_8identityIvEEEE10hipError_tT2_T3_mT4_P12ihipStream_tbEUlT_E_NS1_11comp_targetILNS1_3genE3ELNS1_11target_archE908ELNS1_3gpuE7ELNS1_3repE0EEENS1_30default_config_static_selectorELNS0_4arch9wavefront6targetE0EEEvT1_.kd
    .uniform_work_group_size: 1
    .uses_dynamic_stack: false
    .vgpr_count:     0
    .vgpr_spill_count: 0
    .wavefront_size: 32
  - .args:
      - .offset:         0
        .size:           40
        .value_kind:     by_value
    .group_segment_fixed_size: 0
    .kernarg_segment_align: 8
    .kernarg_segment_size: 40
    .language:       OpenCL C
    .language_version:
      - 2
      - 0
    .max_flat_workgroup_size: 512
    .name:           _ZN7rocprim17ROCPRIM_400000_NS6detail17trampoline_kernelINS0_14default_configENS1_25transform_config_selectorImLb1EEEZNS1_14transform_implILb1ES3_S5_PmPjNS0_8identityIvEEEE10hipError_tT2_T3_mT4_P12ihipStream_tbEUlT_E_NS1_11comp_targetILNS1_3genE2ELNS1_11target_archE906ELNS1_3gpuE6ELNS1_3repE0EEENS1_30default_config_static_selectorELNS0_4arch9wavefront6targetE0EEEvT1_
    .private_segment_fixed_size: 0
    .sgpr_count:     0
    .sgpr_spill_count: 0
    .symbol:         _ZN7rocprim17ROCPRIM_400000_NS6detail17trampoline_kernelINS0_14default_configENS1_25transform_config_selectorImLb1EEEZNS1_14transform_implILb1ES3_S5_PmPjNS0_8identityIvEEEE10hipError_tT2_T3_mT4_P12ihipStream_tbEUlT_E_NS1_11comp_targetILNS1_3genE2ELNS1_11target_archE906ELNS1_3gpuE6ELNS1_3repE0EEENS1_30default_config_static_selectorELNS0_4arch9wavefront6targetE0EEEvT1_.kd
    .uniform_work_group_size: 1
    .uses_dynamic_stack: false
    .vgpr_count:     0
    .vgpr_spill_count: 0
    .wavefront_size: 32
  - .args:
      - .offset:         0
        .size:           40
        .value_kind:     by_value
    .group_segment_fixed_size: 0
    .kernarg_segment_align: 8
    .kernarg_segment_size: 40
    .language:       OpenCL C
    .language_version:
      - 2
      - 0
    .max_flat_workgroup_size: 1024
    .name:           _ZN7rocprim17ROCPRIM_400000_NS6detail17trampoline_kernelINS0_14default_configENS1_25transform_config_selectorImLb1EEEZNS1_14transform_implILb1ES3_S5_PmPjNS0_8identityIvEEEE10hipError_tT2_T3_mT4_P12ihipStream_tbEUlT_E_NS1_11comp_targetILNS1_3genE9ELNS1_11target_archE1100ELNS1_3gpuE3ELNS1_3repE0EEENS1_30default_config_static_selectorELNS0_4arch9wavefront6targetE0EEEvT1_
    .private_segment_fixed_size: 0
    .sgpr_count:     0
    .sgpr_spill_count: 0
    .symbol:         _ZN7rocprim17ROCPRIM_400000_NS6detail17trampoline_kernelINS0_14default_configENS1_25transform_config_selectorImLb1EEEZNS1_14transform_implILb1ES3_S5_PmPjNS0_8identityIvEEEE10hipError_tT2_T3_mT4_P12ihipStream_tbEUlT_E_NS1_11comp_targetILNS1_3genE9ELNS1_11target_archE1100ELNS1_3gpuE3ELNS1_3repE0EEENS1_30default_config_static_selectorELNS0_4arch9wavefront6targetE0EEEvT1_.kd
    .uniform_work_group_size: 1
    .uses_dynamic_stack: false
    .vgpr_count:     0
    .vgpr_spill_count: 0
    .wavefront_size: 32
  - .args:
      - .offset:         0
        .size:           40
        .value_kind:     by_value
    .group_segment_fixed_size: 0
    .kernarg_segment_align: 8
    .kernarg_segment_size: 40
    .language:       OpenCL C
    .language_version:
      - 2
      - 0
    .max_flat_workgroup_size: 1024
    .name:           _ZN7rocprim17ROCPRIM_400000_NS6detail17trampoline_kernelINS0_14default_configENS1_25transform_config_selectorImLb1EEEZNS1_14transform_implILb1ES3_S5_PmPjNS0_8identityIvEEEE10hipError_tT2_T3_mT4_P12ihipStream_tbEUlT_E_NS1_11comp_targetILNS1_3genE8ELNS1_11target_archE1030ELNS1_3gpuE2ELNS1_3repE0EEENS1_30default_config_static_selectorELNS0_4arch9wavefront6targetE0EEEvT1_
    .private_segment_fixed_size: 0
    .sgpr_count:     0
    .sgpr_spill_count: 0
    .symbol:         _ZN7rocprim17ROCPRIM_400000_NS6detail17trampoline_kernelINS0_14default_configENS1_25transform_config_selectorImLb1EEEZNS1_14transform_implILb1ES3_S5_PmPjNS0_8identityIvEEEE10hipError_tT2_T3_mT4_P12ihipStream_tbEUlT_E_NS1_11comp_targetILNS1_3genE8ELNS1_11target_archE1030ELNS1_3gpuE2ELNS1_3repE0EEENS1_30default_config_static_selectorELNS0_4arch9wavefront6targetE0EEEvT1_.kd
    .uniform_work_group_size: 1
    .uses_dynamic_stack: false
    .vgpr_count:     0
    .vgpr_spill_count: 0
    .wavefront_size: 32
  - .args:
      - .address_space:  global
        .offset:         0
        .size:           8
        .value_kind:     global_buffer
      - .offset:         8
        .size:           4
        .value_kind:     by_value
      - .address_space:  global
        .offset:         16
        .size:           8
        .value_kind:     global_buffer
      - .offset:         24
        .size:           4
        .value_kind:     by_value
      - .address_space:  global
        .offset:         32
        .size:           8
        .value_kind:     global_buffer
      - .offset:         40
        .size:           4
        .value_kind:     hidden_block_count_x
      - .offset:         44
        .size:           4
        .value_kind:     hidden_block_count_y
      - .offset:         48
        .size:           4
        .value_kind:     hidden_block_count_z
      - .offset:         52
        .size:           2
        .value_kind:     hidden_group_size_x
      - .offset:         54
        .size:           2
        .value_kind:     hidden_group_size_y
      - .offset:         56
        .size:           2
        .value_kind:     hidden_group_size_z
      - .offset:         58
        .size:           2
        .value_kind:     hidden_remainder_x
      - .offset:         60
        .size:           2
        .value_kind:     hidden_remainder_y
      - .offset:         62
        .size:           2
        .value_kind:     hidden_remainder_z
      - .offset:         80
        .size:           8
        .value_kind:     hidden_global_offset_x
      - .offset:         88
        .size:           8
        .value_kind:     hidden_global_offset_y
      - .offset:         96
        .size:           8
        .value_kind:     hidden_global_offset_z
      - .offset:         104
        .size:           2
        .value_kind:     hidden_grid_dims
    .group_segment_fixed_size: 0
    .kernarg_segment_align: 8
    .kernarg_segment_size: 296
    .language:       OpenCL C
    .language_version:
      - 2
      - 0
    .max_flat_workgroup_size: 256
    .name:           _ZN7rocprim17ROCPRIM_400000_NS6detail31init_lookback_scan_state_kernelINS1_19lookback_scan_stateI15HIP_vector_typeIjLj2EELb1ELb1EEENS1_16block_id_wrapperIjLb1EEEEEvT_jT0_jPNS9_10value_typeE
    .private_segment_fixed_size: 0
    .sgpr_count:     14
    .sgpr_spill_count: 0
    .symbol:         _ZN7rocprim17ROCPRIM_400000_NS6detail31init_lookback_scan_state_kernelINS1_19lookback_scan_stateI15HIP_vector_typeIjLj2EELb1ELb1EEENS1_16block_id_wrapperIjLb1EEEEEvT_jT0_jPNS9_10value_typeE.kd
    .uniform_work_group_size: 1
    .uses_dynamic_stack: false
    .vgpr_count:     9
    .vgpr_spill_count: 0
    .wavefront_size: 32
  - .args:
      - .offset:         0
        .size:           184
        .value_kind:     by_value
    .group_segment_fixed_size: 0
    .kernarg_segment_align: 8
    .kernarg_segment_size: 184
    .language:       OpenCL C
    .language_version:
      - 2
      - 0
    .max_flat_workgroup_size: 256
    .name:           _ZN7rocprim17ROCPRIM_400000_NS6detail17trampoline_kernelINS0_13select_configILj256ELj13ELNS0_17block_load_methodE3ELS4_3ELS4_3ELNS0_20block_scan_algorithmE0ELj4294967295EEENS1_25partition_config_selectorILNS1_17partition_subalgoE4EjNS0_10empty_typeEbEEZZNS1_14partition_implILS8_4ELb0ES6_15HIP_vector_typeIjLj2EENS0_17counting_iteratorIjlEEPS9_SG_NS0_5tupleIJPjSI_NS0_16reverse_iteratorISI_EEEEENSH_IJSG_SG_SG_EEES9_SI_JZNS1_25segmented_radix_sort_implINS0_14default_configELb1EPKhPhPKlPlN2at6native12_GLOBAL__N_18offset_tEEE10hipError_tPvRmT1_PNSt15iterator_traitsIS12_E10value_typeET2_T3_PNS13_IS18_E10value_typeET4_jRbjT5_S1E_jjP12ihipStream_tbEUljE_ZNSN_ISO_Lb1ESQ_SR_ST_SU_SY_EESZ_S10_S11_S12_S16_S17_S18_S1B_S1C_jS1D_jS1E_S1E_jjS1G_bEUljE0_EEESZ_S10_S11_S18_S1C_S1E_T6_T7_T9_mT8_S1G_bDpT10_ENKUlT_T0_E_clISt17integral_constantIbLb1EES1U_EEDaS1P_S1Q_EUlS1P_E_NS1_11comp_targetILNS1_3genE0ELNS1_11target_archE4294967295ELNS1_3gpuE0ELNS1_3repE0EEENS1_30default_config_static_selectorELNS0_4arch9wavefront6targetE0EEEvS12_
    .private_segment_fixed_size: 0
    .sgpr_count:     0
    .sgpr_spill_count: 0
    .symbol:         _ZN7rocprim17ROCPRIM_400000_NS6detail17trampoline_kernelINS0_13select_configILj256ELj13ELNS0_17block_load_methodE3ELS4_3ELS4_3ELNS0_20block_scan_algorithmE0ELj4294967295EEENS1_25partition_config_selectorILNS1_17partition_subalgoE4EjNS0_10empty_typeEbEEZZNS1_14partition_implILS8_4ELb0ES6_15HIP_vector_typeIjLj2EENS0_17counting_iteratorIjlEEPS9_SG_NS0_5tupleIJPjSI_NS0_16reverse_iteratorISI_EEEEENSH_IJSG_SG_SG_EEES9_SI_JZNS1_25segmented_radix_sort_implINS0_14default_configELb1EPKhPhPKlPlN2at6native12_GLOBAL__N_18offset_tEEE10hipError_tPvRmT1_PNSt15iterator_traitsIS12_E10value_typeET2_T3_PNS13_IS18_E10value_typeET4_jRbjT5_S1E_jjP12ihipStream_tbEUljE_ZNSN_ISO_Lb1ESQ_SR_ST_SU_SY_EESZ_S10_S11_S12_S16_S17_S18_S1B_S1C_jS1D_jS1E_S1E_jjS1G_bEUljE0_EEESZ_S10_S11_S18_S1C_S1E_T6_T7_T9_mT8_S1G_bDpT10_ENKUlT_T0_E_clISt17integral_constantIbLb1EES1U_EEDaS1P_S1Q_EUlS1P_E_NS1_11comp_targetILNS1_3genE0ELNS1_11target_archE4294967295ELNS1_3gpuE0ELNS1_3repE0EEENS1_30default_config_static_selectorELNS0_4arch9wavefront6targetE0EEEvS12_.kd
    .uniform_work_group_size: 1
    .uses_dynamic_stack: false
    .vgpr_count:     0
    .vgpr_spill_count: 0
    .wavefront_size: 32
  - .args:
      - .offset:         0
        .size:           184
        .value_kind:     by_value
    .group_segment_fixed_size: 0
    .kernarg_segment_align: 8
    .kernarg_segment_size: 184
    .language:       OpenCL C
    .language_version:
      - 2
      - 0
    .max_flat_workgroup_size: 256
    .name:           _ZN7rocprim17ROCPRIM_400000_NS6detail17trampoline_kernelINS0_13select_configILj256ELj13ELNS0_17block_load_methodE3ELS4_3ELS4_3ELNS0_20block_scan_algorithmE0ELj4294967295EEENS1_25partition_config_selectorILNS1_17partition_subalgoE4EjNS0_10empty_typeEbEEZZNS1_14partition_implILS8_4ELb0ES6_15HIP_vector_typeIjLj2EENS0_17counting_iteratorIjlEEPS9_SG_NS0_5tupleIJPjSI_NS0_16reverse_iteratorISI_EEEEENSH_IJSG_SG_SG_EEES9_SI_JZNS1_25segmented_radix_sort_implINS0_14default_configELb1EPKhPhPKlPlN2at6native12_GLOBAL__N_18offset_tEEE10hipError_tPvRmT1_PNSt15iterator_traitsIS12_E10value_typeET2_T3_PNS13_IS18_E10value_typeET4_jRbjT5_S1E_jjP12ihipStream_tbEUljE_ZNSN_ISO_Lb1ESQ_SR_ST_SU_SY_EESZ_S10_S11_S12_S16_S17_S18_S1B_S1C_jS1D_jS1E_S1E_jjS1G_bEUljE0_EEESZ_S10_S11_S18_S1C_S1E_T6_T7_T9_mT8_S1G_bDpT10_ENKUlT_T0_E_clISt17integral_constantIbLb1EES1U_EEDaS1P_S1Q_EUlS1P_E_NS1_11comp_targetILNS1_3genE5ELNS1_11target_archE942ELNS1_3gpuE9ELNS1_3repE0EEENS1_30default_config_static_selectorELNS0_4arch9wavefront6targetE0EEEvS12_
    .private_segment_fixed_size: 0
    .sgpr_count:     0
    .sgpr_spill_count: 0
    .symbol:         _ZN7rocprim17ROCPRIM_400000_NS6detail17trampoline_kernelINS0_13select_configILj256ELj13ELNS0_17block_load_methodE3ELS4_3ELS4_3ELNS0_20block_scan_algorithmE0ELj4294967295EEENS1_25partition_config_selectorILNS1_17partition_subalgoE4EjNS0_10empty_typeEbEEZZNS1_14partition_implILS8_4ELb0ES6_15HIP_vector_typeIjLj2EENS0_17counting_iteratorIjlEEPS9_SG_NS0_5tupleIJPjSI_NS0_16reverse_iteratorISI_EEEEENSH_IJSG_SG_SG_EEES9_SI_JZNS1_25segmented_radix_sort_implINS0_14default_configELb1EPKhPhPKlPlN2at6native12_GLOBAL__N_18offset_tEEE10hipError_tPvRmT1_PNSt15iterator_traitsIS12_E10value_typeET2_T3_PNS13_IS18_E10value_typeET4_jRbjT5_S1E_jjP12ihipStream_tbEUljE_ZNSN_ISO_Lb1ESQ_SR_ST_SU_SY_EESZ_S10_S11_S12_S16_S17_S18_S1B_S1C_jS1D_jS1E_S1E_jjS1G_bEUljE0_EEESZ_S10_S11_S18_S1C_S1E_T6_T7_T9_mT8_S1G_bDpT10_ENKUlT_T0_E_clISt17integral_constantIbLb1EES1U_EEDaS1P_S1Q_EUlS1P_E_NS1_11comp_targetILNS1_3genE5ELNS1_11target_archE942ELNS1_3gpuE9ELNS1_3repE0EEENS1_30default_config_static_selectorELNS0_4arch9wavefront6targetE0EEEvS12_.kd
    .uniform_work_group_size: 1
    .uses_dynamic_stack: false
    .vgpr_count:     0
    .vgpr_spill_count: 0
    .wavefront_size: 32
  - .args:
      - .offset:         0
        .size:           184
        .value_kind:     by_value
    .group_segment_fixed_size: 0
    .kernarg_segment_align: 8
    .kernarg_segment_size: 184
    .language:       OpenCL C
    .language_version:
      - 2
      - 0
    .max_flat_workgroup_size: 256
    .name:           _ZN7rocprim17ROCPRIM_400000_NS6detail17trampoline_kernelINS0_13select_configILj256ELj13ELNS0_17block_load_methodE3ELS4_3ELS4_3ELNS0_20block_scan_algorithmE0ELj4294967295EEENS1_25partition_config_selectorILNS1_17partition_subalgoE4EjNS0_10empty_typeEbEEZZNS1_14partition_implILS8_4ELb0ES6_15HIP_vector_typeIjLj2EENS0_17counting_iteratorIjlEEPS9_SG_NS0_5tupleIJPjSI_NS0_16reverse_iteratorISI_EEEEENSH_IJSG_SG_SG_EEES9_SI_JZNS1_25segmented_radix_sort_implINS0_14default_configELb1EPKhPhPKlPlN2at6native12_GLOBAL__N_18offset_tEEE10hipError_tPvRmT1_PNSt15iterator_traitsIS12_E10value_typeET2_T3_PNS13_IS18_E10value_typeET4_jRbjT5_S1E_jjP12ihipStream_tbEUljE_ZNSN_ISO_Lb1ESQ_SR_ST_SU_SY_EESZ_S10_S11_S12_S16_S17_S18_S1B_S1C_jS1D_jS1E_S1E_jjS1G_bEUljE0_EEESZ_S10_S11_S18_S1C_S1E_T6_T7_T9_mT8_S1G_bDpT10_ENKUlT_T0_E_clISt17integral_constantIbLb1EES1U_EEDaS1P_S1Q_EUlS1P_E_NS1_11comp_targetILNS1_3genE4ELNS1_11target_archE910ELNS1_3gpuE8ELNS1_3repE0EEENS1_30default_config_static_selectorELNS0_4arch9wavefront6targetE0EEEvS12_
    .private_segment_fixed_size: 0
    .sgpr_count:     0
    .sgpr_spill_count: 0
    .symbol:         _ZN7rocprim17ROCPRIM_400000_NS6detail17trampoline_kernelINS0_13select_configILj256ELj13ELNS0_17block_load_methodE3ELS4_3ELS4_3ELNS0_20block_scan_algorithmE0ELj4294967295EEENS1_25partition_config_selectorILNS1_17partition_subalgoE4EjNS0_10empty_typeEbEEZZNS1_14partition_implILS8_4ELb0ES6_15HIP_vector_typeIjLj2EENS0_17counting_iteratorIjlEEPS9_SG_NS0_5tupleIJPjSI_NS0_16reverse_iteratorISI_EEEEENSH_IJSG_SG_SG_EEES9_SI_JZNS1_25segmented_radix_sort_implINS0_14default_configELb1EPKhPhPKlPlN2at6native12_GLOBAL__N_18offset_tEEE10hipError_tPvRmT1_PNSt15iterator_traitsIS12_E10value_typeET2_T3_PNS13_IS18_E10value_typeET4_jRbjT5_S1E_jjP12ihipStream_tbEUljE_ZNSN_ISO_Lb1ESQ_SR_ST_SU_SY_EESZ_S10_S11_S12_S16_S17_S18_S1B_S1C_jS1D_jS1E_S1E_jjS1G_bEUljE0_EEESZ_S10_S11_S18_S1C_S1E_T6_T7_T9_mT8_S1G_bDpT10_ENKUlT_T0_E_clISt17integral_constantIbLb1EES1U_EEDaS1P_S1Q_EUlS1P_E_NS1_11comp_targetILNS1_3genE4ELNS1_11target_archE910ELNS1_3gpuE8ELNS1_3repE0EEENS1_30default_config_static_selectorELNS0_4arch9wavefront6targetE0EEEvS12_.kd
    .uniform_work_group_size: 1
    .uses_dynamic_stack: false
    .vgpr_count:     0
    .vgpr_spill_count: 0
    .wavefront_size: 32
  - .args:
      - .offset:         0
        .size:           184
        .value_kind:     by_value
    .group_segment_fixed_size: 0
    .kernarg_segment_align: 8
    .kernarg_segment_size: 184
    .language:       OpenCL C
    .language_version:
      - 2
      - 0
    .max_flat_workgroup_size: 256
    .name:           _ZN7rocprim17ROCPRIM_400000_NS6detail17trampoline_kernelINS0_13select_configILj256ELj13ELNS0_17block_load_methodE3ELS4_3ELS4_3ELNS0_20block_scan_algorithmE0ELj4294967295EEENS1_25partition_config_selectorILNS1_17partition_subalgoE4EjNS0_10empty_typeEbEEZZNS1_14partition_implILS8_4ELb0ES6_15HIP_vector_typeIjLj2EENS0_17counting_iteratorIjlEEPS9_SG_NS0_5tupleIJPjSI_NS0_16reverse_iteratorISI_EEEEENSH_IJSG_SG_SG_EEES9_SI_JZNS1_25segmented_radix_sort_implINS0_14default_configELb1EPKhPhPKlPlN2at6native12_GLOBAL__N_18offset_tEEE10hipError_tPvRmT1_PNSt15iterator_traitsIS12_E10value_typeET2_T3_PNS13_IS18_E10value_typeET4_jRbjT5_S1E_jjP12ihipStream_tbEUljE_ZNSN_ISO_Lb1ESQ_SR_ST_SU_SY_EESZ_S10_S11_S12_S16_S17_S18_S1B_S1C_jS1D_jS1E_S1E_jjS1G_bEUljE0_EEESZ_S10_S11_S18_S1C_S1E_T6_T7_T9_mT8_S1G_bDpT10_ENKUlT_T0_E_clISt17integral_constantIbLb1EES1U_EEDaS1P_S1Q_EUlS1P_E_NS1_11comp_targetILNS1_3genE3ELNS1_11target_archE908ELNS1_3gpuE7ELNS1_3repE0EEENS1_30default_config_static_selectorELNS0_4arch9wavefront6targetE0EEEvS12_
    .private_segment_fixed_size: 0
    .sgpr_count:     0
    .sgpr_spill_count: 0
    .symbol:         _ZN7rocprim17ROCPRIM_400000_NS6detail17trampoline_kernelINS0_13select_configILj256ELj13ELNS0_17block_load_methodE3ELS4_3ELS4_3ELNS0_20block_scan_algorithmE0ELj4294967295EEENS1_25partition_config_selectorILNS1_17partition_subalgoE4EjNS0_10empty_typeEbEEZZNS1_14partition_implILS8_4ELb0ES6_15HIP_vector_typeIjLj2EENS0_17counting_iteratorIjlEEPS9_SG_NS0_5tupleIJPjSI_NS0_16reverse_iteratorISI_EEEEENSH_IJSG_SG_SG_EEES9_SI_JZNS1_25segmented_radix_sort_implINS0_14default_configELb1EPKhPhPKlPlN2at6native12_GLOBAL__N_18offset_tEEE10hipError_tPvRmT1_PNSt15iterator_traitsIS12_E10value_typeET2_T3_PNS13_IS18_E10value_typeET4_jRbjT5_S1E_jjP12ihipStream_tbEUljE_ZNSN_ISO_Lb1ESQ_SR_ST_SU_SY_EESZ_S10_S11_S12_S16_S17_S18_S1B_S1C_jS1D_jS1E_S1E_jjS1G_bEUljE0_EEESZ_S10_S11_S18_S1C_S1E_T6_T7_T9_mT8_S1G_bDpT10_ENKUlT_T0_E_clISt17integral_constantIbLb1EES1U_EEDaS1P_S1Q_EUlS1P_E_NS1_11comp_targetILNS1_3genE3ELNS1_11target_archE908ELNS1_3gpuE7ELNS1_3repE0EEENS1_30default_config_static_selectorELNS0_4arch9wavefront6targetE0EEEvS12_.kd
    .uniform_work_group_size: 1
    .uses_dynamic_stack: false
    .vgpr_count:     0
    .vgpr_spill_count: 0
    .wavefront_size: 32
  - .args:
      - .offset:         0
        .size:           184
        .value_kind:     by_value
    .group_segment_fixed_size: 0
    .kernarg_segment_align: 8
    .kernarg_segment_size: 184
    .language:       OpenCL C
    .language_version:
      - 2
      - 0
    .max_flat_workgroup_size: 256
    .name:           _ZN7rocprim17ROCPRIM_400000_NS6detail17trampoline_kernelINS0_13select_configILj256ELj13ELNS0_17block_load_methodE3ELS4_3ELS4_3ELNS0_20block_scan_algorithmE0ELj4294967295EEENS1_25partition_config_selectorILNS1_17partition_subalgoE4EjNS0_10empty_typeEbEEZZNS1_14partition_implILS8_4ELb0ES6_15HIP_vector_typeIjLj2EENS0_17counting_iteratorIjlEEPS9_SG_NS0_5tupleIJPjSI_NS0_16reverse_iteratorISI_EEEEENSH_IJSG_SG_SG_EEES9_SI_JZNS1_25segmented_radix_sort_implINS0_14default_configELb1EPKhPhPKlPlN2at6native12_GLOBAL__N_18offset_tEEE10hipError_tPvRmT1_PNSt15iterator_traitsIS12_E10value_typeET2_T3_PNS13_IS18_E10value_typeET4_jRbjT5_S1E_jjP12ihipStream_tbEUljE_ZNSN_ISO_Lb1ESQ_SR_ST_SU_SY_EESZ_S10_S11_S12_S16_S17_S18_S1B_S1C_jS1D_jS1E_S1E_jjS1G_bEUljE0_EEESZ_S10_S11_S18_S1C_S1E_T6_T7_T9_mT8_S1G_bDpT10_ENKUlT_T0_E_clISt17integral_constantIbLb1EES1U_EEDaS1P_S1Q_EUlS1P_E_NS1_11comp_targetILNS1_3genE2ELNS1_11target_archE906ELNS1_3gpuE6ELNS1_3repE0EEENS1_30default_config_static_selectorELNS0_4arch9wavefront6targetE0EEEvS12_
    .private_segment_fixed_size: 0
    .sgpr_count:     0
    .sgpr_spill_count: 0
    .symbol:         _ZN7rocprim17ROCPRIM_400000_NS6detail17trampoline_kernelINS0_13select_configILj256ELj13ELNS0_17block_load_methodE3ELS4_3ELS4_3ELNS0_20block_scan_algorithmE0ELj4294967295EEENS1_25partition_config_selectorILNS1_17partition_subalgoE4EjNS0_10empty_typeEbEEZZNS1_14partition_implILS8_4ELb0ES6_15HIP_vector_typeIjLj2EENS0_17counting_iteratorIjlEEPS9_SG_NS0_5tupleIJPjSI_NS0_16reverse_iteratorISI_EEEEENSH_IJSG_SG_SG_EEES9_SI_JZNS1_25segmented_radix_sort_implINS0_14default_configELb1EPKhPhPKlPlN2at6native12_GLOBAL__N_18offset_tEEE10hipError_tPvRmT1_PNSt15iterator_traitsIS12_E10value_typeET2_T3_PNS13_IS18_E10value_typeET4_jRbjT5_S1E_jjP12ihipStream_tbEUljE_ZNSN_ISO_Lb1ESQ_SR_ST_SU_SY_EESZ_S10_S11_S12_S16_S17_S18_S1B_S1C_jS1D_jS1E_S1E_jjS1G_bEUljE0_EEESZ_S10_S11_S18_S1C_S1E_T6_T7_T9_mT8_S1G_bDpT10_ENKUlT_T0_E_clISt17integral_constantIbLb1EES1U_EEDaS1P_S1Q_EUlS1P_E_NS1_11comp_targetILNS1_3genE2ELNS1_11target_archE906ELNS1_3gpuE6ELNS1_3repE0EEENS1_30default_config_static_selectorELNS0_4arch9wavefront6targetE0EEEvS12_.kd
    .uniform_work_group_size: 1
    .uses_dynamic_stack: false
    .vgpr_count:     0
    .vgpr_spill_count: 0
    .wavefront_size: 32
  - .args:
      - .offset:         0
        .size:           184
        .value_kind:     by_value
    .group_segment_fixed_size: 0
    .kernarg_segment_align: 8
    .kernarg_segment_size: 184
    .language:       OpenCL C
    .language_version:
      - 2
      - 0
    .max_flat_workgroup_size: 256
    .name:           _ZN7rocprim17ROCPRIM_400000_NS6detail17trampoline_kernelINS0_13select_configILj256ELj13ELNS0_17block_load_methodE3ELS4_3ELS4_3ELNS0_20block_scan_algorithmE0ELj4294967295EEENS1_25partition_config_selectorILNS1_17partition_subalgoE4EjNS0_10empty_typeEbEEZZNS1_14partition_implILS8_4ELb0ES6_15HIP_vector_typeIjLj2EENS0_17counting_iteratorIjlEEPS9_SG_NS0_5tupleIJPjSI_NS0_16reverse_iteratorISI_EEEEENSH_IJSG_SG_SG_EEES9_SI_JZNS1_25segmented_radix_sort_implINS0_14default_configELb1EPKhPhPKlPlN2at6native12_GLOBAL__N_18offset_tEEE10hipError_tPvRmT1_PNSt15iterator_traitsIS12_E10value_typeET2_T3_PNS13_IS18_E10value_typeET4_jRbjT5_S1E_jjP12ihipStream_tbEUljE_ZNSN_ISO_Lb1ESQ_SR_ST_SU_SY_EESZ_S10_S11_S12_S16_S17_S18_S1B_S1C_jS1D_jS1E_S1E_jjS1G_bEUljE0_EEESZ_S10_S11_S18_S1C_S1E_T6_T7_T9_mT8_S1G_bDpT10_ENKUlT_T0_E_clISt17integral_constantIbLb1EES1U_EEDaS1P_S1Q_EUlS1P_E_NS1_11comp_targetILNS1_3genE10ELNS1_11target_archE1200ELNS1_3gpuE4ELNS1_3repE0EEENS1_30default_config_static_selectorELNS0_4arch9wavefront6targetE0EEEvS12_
    .private_segment_fixed_size: 0
    .sgpr_count:     0
    .sgpr_spill_count: 0
    .symbol:         _ZN7rocprim17ROCPRIM_400000_NS6detail17trampoline_kernelINS0_13select_configILj256ELj13ELNS0_17block_load_methodE3ELS4_3ELS4_3ELNS0_20block_scan_algorithmE0ELj4294967295EEENS1_25partition_config_selectorILNS1_17partition_subalgoE4EjNS0_10empty_typeEbEEZZNS1_14partition_implILS8_4ELb0ES6_15HIP_vector_typeIjLj2EENS0_17counting_iteratorIjlEEPS9_SG_NS0_5tupleIJPjSI_NS0_16reverse_iteratorISI_EEEEENSH_IJSG_SG_SG_EEES9_SI_JZNS1_25segmented_radix_sort_implINS0_14default_configELb1EPKhPhPKlPlN2at6native12_GLOBAL__N_18offset_tEEE10hipError_tPvRmT1_PNSt15iterator_traitsIS12_E10value_typeET2_T3_PNS13_IS18_E10value_typeET4_jRbjT5_S1E_jjP12ihipStream_tbEUljE_ZNSN_ISO_Lb1ESQ_SR_ST_SU_SY_EESZ_S10_S11_S12_S16_S17_S18_S1B_S1C_jS1D_jS1E_S1E_jjS1G_bEUljE0_EEESZ_S10_S11_S18_S1C_S1E_T6_T7_T9_mT8_S1G_bDpT10_ENKUlT_T0_E_clISt17integral_constantIbLb1EES1U_EEDaS1P_S1Q_EUlS1P_E_NS1_11comp_targetILNS1_3genE10ELNS1_11target_archE1200ELNS1_3gpuE4ELNS1_3repE0EEENS1_30default_config_static_selectorELNS0_4arch9wavefront6targetE0EEEvS12_.kd
    .uniform_work_group_size: 1
    .uses_dynamic_stack: false
    .vgpr_count:     0
    .vgpr_spill_count: 0
    .wavefront_size: 32
  - .args:
      - .offset:         0
        .size:           184
        .value_kind:     by_value
    .group_segment_fixed_size: 0
    .kernarg_segment_align: 8
    .kernarg_segment_size: 184
    .language:       OpenCL C
    .language_version:
      - 2
      - 0
    .max_flat_workgroup_size: 256
    .name:           _ZN7rocprim17ROCPRIM_400000_NS6detail17trampoline_kernelINS0_13select_configILj256ELj13ELNS0_17block_load_methodE3ELS4_3ELS4_3ELNS0_20block_scan_algorithmE0ELj4294967295EEENS1_25partition_config_selectorILNS1_17partition_subalgoE4EjNS0_10empty_typeEbEEZZNS1_14partition_implILS8_4ELb0ES6_15HIP_vector_typeIjLj2EENS0_17counting_iteratorIjlEEPS9_SG_NS0_5tupleIJPjSI_NS0_16reverse_iteratorISI_EEEEENSH_IJSG_SG_SG_EEES9_SI_JZNS1_25segmented_radix_sort_implINS0_14default_configELb1EPKhPhPKlPlN2at6native12_GLOBAL__N_18offset_tEEE10hipError_tPvRmT1_PNSt15iterator_traitsIS12_E10value_typeET2_T3_PNS13_IS18_E10value_typeET4_jRbjT5_S1E_jjP12ihipStream_tbEUljE_ZNSN_ISO_Lb1ESQ_SR_ST_SU_SY_EESZ_S10_S11_S12_S16_S17_S18_S1B_S1C_jS1D_jS1E_S1E_jjS1G_bEUljE0_EEESZ_S10_S11_S18_S1C_S1E_T6_T7_T9_mT8_S1G_bDpT10_ENKUlT_T0_E_clISt17integral_constantIbLb1EES1U_EEDaS1P_S1Q_EUlS1P_E_NS1_11comp_targetILNS1_3genE9ELNS1_11target_archE1100ELNS1_3gpuE3ELNS1_3repE0EEENS1_30default_config_static_selectorELNS0_4arch9wavefront6targetE0EEEvS12_
    .private_segment_fixed_size: 0
    .sgpr_count:     0
    .sgpr_spill_count: 0
    .symbol:         _ZN7rocprim17ROCPRIM_400000_NS6detail17trampoline_kernelINS0_13select_configILj256ELj13ELNS0_17block_load_methodE3ELS4_3ELS4_3ELNS0_20block_scan_algorithmE0ELj4294967295EEENS1_25partition_config_selectorILNS1_17partition_subalgoE4EjNS0_10empty_typeEbEEZZNS1_14partition_implILS8_4ELb0ES6_15HIP_vector_typeIjLj2EENS0_17counting_iteratorIjlEEPS9_SG_NS0_5tupleIJPjSI_NS0_16reverse_iteratorISI_EEEEENSH_IJSG_SG_SG_EEES9_SI_JZNS1_25segmented_radix_sort_implINS0_14default_configELb1EPKhPhPKlPlN2at6native12_GLOBAL__N_18offset_tEEE10hipError_tPvRmT1_PNSt15iterator_traitsIS12_E10value_typeET2_T3_PNS13_IS18_E10value_typeET4_jRbjT5_S1E_jjP12ihipStream_tbEUljE_ZNSN_ISO_Lb1ESQ_SR_ST_SU_SY_EESZ_S10_S11_S12_S16_S17_S18_S1B_S1C_jS1D_jS1E_S1E_jjS1G_bEUljE0_EEESZ_S10_S11_S18_S1C_S1E_T6_T7_T9_mT8_S1G_bDpT10_ENKUlT_T0_E_clISt17integral_constantIbLb1EES1U_EEDaS1P_S1Q_EUlS1P_E_NS1_11comp_targetILNS1_3genE9ELNS1_11target_archE1100ELNS1_3gpuE3ELNS1_3repE0EEENS1_30default_config_static_selectorELNS0_4arch9wavefront6targetE0EEEvS12_.kd
    .uniform_work_group_size: 1
    .uses_dynamic_stack: false
    .vgpr_count:     0
    .vgpr_spill_count: 0
    .wavefront_size: 32
  - .args:
      - .offset:         0
        .size:           184
        .value_kind:     by_value
    .group_segment_fixed_size: 0
    .kernarg_segment_align: 8
    .kernarg_segment_size: 184
    .language:       OpenCL C
    .language_version:
      - 2
      - 0
    .max_flat_workgroup_size: 256
    .name:           _ZN7rocprim17ROCPRIM_400000_NS6detail17trampoline_kernelINS0_13select_configILj256ELj13ELNS0_17block_load_methodE3ELS4_3ELS4_3ELNS0_20block_scan_algorithmE0ELj4294967295EEENS1_25partition_config_selectorILNS1_17partition_subalgoE4EjNS0_10empty_typeEbEEZZNS1_14partition_implILS8_4ELb0ES6_15HIP_vector_typeIjLj2EENS0_17counting_iteratorIjlEEPS9_SG_NS0_5tupleIJPjSI_NS0_16reverse_iteratorISI_EEEEENSH_IJSG_SG_SG_EEES9_SI_JZNS1_25segmented_radix_sort_implINS0_14default_configELb1EPKhPhPKlPlN2at6native12_GLOBAL__N_18offset_tEEE10hipError_tPvRmT1_PNSt15iterator_traitsIS12_E10value_typeET2_T3_PNS13_IS18_E10value_typeET4_jRbjT5_S1E_jjP12ihipStream_tbEUljE_ZNSN_ISO_Lb1ESQ_SR_ST_SU_SY_EESZ_S10_S11_S12_S16_S17_S18_S1B_S1C_jS1D_jS1E_S1E_jjS1G_bEUljE0_EEESZ_S10_S11_S18_S1C_S1E_T6_T7_T9_mT8_S1G_bDpT10_ENKUlT_T0_E_clISt17integral_constantIbLb1EES1U_EEDaS1P_S1Q_EUlS1P_E_NS1_11comp_targetILNS1_3genE8ELNS1_11target_archE1030ELNS1_3gpuE2ELNS1_3repE0EEENS1_30default_config_static_selectorELNS0_4arch9wavefront6targetE0EEEvS12_
    .private_segment_fixed_size: 0
    .sgpr_count:     0
    .sgpr_spill_count: 0
    .symbol:         _ZN7rocprim17ROCPRIM_400000_NS6detail17trampoline_kernelINS0_13select_configILj256ELj13ELNS0_17block_load_methodE3ELS4_3ELS4_3ELNS0_20block_scan_algorithmE0ELj4294967295EEENS1_25partition_config_selectorILNS1_17partition_subalgoE4EjNS0_10empty_typeEbEEZZNS1_14partition_implILS8_4ELb0ES6_15HIP_vector_typeIjLj2EENS0_17counting_iteratorIjlEEPS9_SG_NS0_5tupleIJPjSI_NS0_16reverse_iteratorISI_EEEEENSH_IJSG_SG_SG_EEES9_SI_JZNS1_25segmented_radix_sort_implINS0_14default_configELb1EPKhPhPKlPlN2at6native12_GLOBAL__N_18offset_tEEE10hipError_tPvRmT1_PNSt15iterator_traitsIS12_E10value_typeET2_T3_PNS13_IS18_E10value_typeET4_jRbjT5_S1E_jjP12ihipStream_tbEUljE_ZNSN_ISO_Lb1ESQ_SR_ST_SU_SY_EESZ_S10_S11_S12_S16_S17_S18_S1B_S1C_jS1D_jS1E_S1E_jjS1G_bEUljE0_EEESZ_S10_S11_S18_S1C_S1E_T6_T7_T9_mT8_S1G_bDpT10_ENKUlT_T0_E_clISt17integral_constantIbLb1EES1U_EEDaS1P_S1Q_EUlS1P_E_NS1_11comp_targetILNS1_3genE8ELNS1_11target_archE1030ELNS1_3gpuE2ELNS1_3repE0EEENS1_30default_config_static_selectorELNS0_4arch9wavefront6targetE0EEEvS12_.kd
    .uniform_work_group_size: 1
    .uses_dynamic_stack: false
    .vgpr_count:     0
    .vgpr_spill_count: 0
    .wavefront_size: 32
  - .args:
      - .address_space:  global
        .offset:         0
        .size:           8
        .value_kind:     global_buffer
      - .offset:         8
        .size:           4
        .value_kind:     by_value
      - .offset:         12
        .size:           1
        .value_kind:     by_value
      - .offset:         16
        .size:           4
        .value_kind:     by_value
      - .address_space:  global
        .offset:         24
        .size:           8
        .value_kind:     global_buffer
      - .offset:         32
        .size:           4
        .value_kind:     hidden_block_count_x
      - .offset:         36
        .size:           4
        .value_kind:     hidden_block_count_y
      - .offset:         40
        .size:           4
        .value_kind:     hidden_block_count_z
      - .offset:         44
        .size:           2
        .value_kind:     hidden_group_size_x
      - .offset:         46
        .size:           2
        .value_kind:     hidden_group_size_y
      - .offset:         48
        .size:           2
        .value_kind:     hidden_group_size_z
      - .offset:         50
        .size:           2
        .value_kind:     hidden_remainder_x
      - .offset:         52
        .size:           2
        .value_kind:     hidden_remainder_y
      - .offset:         54
        .size:           2
        .value_kind:     hidden_remainder_z
      - .offset:         72
        .size:           8
        .value_kind:     hidden_global_offset_x
      - .offset:         80
        .size:           8
        .value_kind:     hidden_global_offset_y
      - .offset:         88
        .size:           8
        .value_kind:     hidden_global_offset_z
      - .offset:         96
        .size:           2
        .value_kind:     hidden_grid_dims
    .group_segment_fixed_size: 0
    .kernarg_segment_align: 8
    .kernarg_segment_size: 288
    .language:       OpenCL C
    .language_version:
      - 2
      - 0
    .max_flat_workgroup_size: 256
    .name:           _ZN7rocprim17ROCPRIM_400000_NS6detail31init_lookback_scan_state_kernelINS1_19lookback_scan_stateI15HIP_vector_typeIjLj2EELb1ELb1EEENS1_16block_id_wrapperIjLb0EEEEEvT_jT0_jPNS9_10value_typeE
    .private_segment_fixed_size: 0
    .sgpr_count:     13
    .sgpr_spill_count: 0
    .symbol:         _ZN7rocprim17ROCPRIM_400000_NS6detail31init_lookback_scan_state_kernelINS1_19lookback_scan_stateI15HIP_vector_typeIjLj2EELb1ELb1EEENS1_16block_id_wrapperIjLb0EEEEEvT_jT0_jPNS9_10value_typeE.kd
    .uniform_work_group_size: 1
    .uses_dynamic_stack: false
    .vgpr_count:     9
    .vgpr_spill_count: 0
    .wavefront_size: 32
  - .args:
      - .offset:         0
        .size:           176
        .value_kind:     by_value
    .group_segment_fixed_size: 0
    .kernarg_segment_align: 8
    .kernarg_segment_size: 176
    .language:       OpenCL C
    .language_version:
      - 2
      - 0
    .max_flat_workgroup_size: 256
    .name:           _ZN7rocprim17ROCPRIM_400000_NS6detail17trampoline_kernelINS0_13select_configILj256ELj13ELNS0_17block_load_methodE3ELS4_3ELS4_3ELNS0_20block_scan_algorithmE0ELj4294967295EEENS1_25partition_config_selectorILNS1_17partition_subalgoE4EjNS0_10empty_typeEbEEZZNS1_14partition_implILS8_4ELb0ES6_15HIP_vector_typeIjLj2EENS0_17counting_iteratorIjlEEPS9_SG_NS0_5tupleIJPjSI_NS0_16reverse_iteratorISI_EEEEENSH_IJSG_SG_SG_EEES9_SI_JZNS1_25segmented_radix_sort_implINS0_14default_configELb1EPKhPhPKlPlN2at6native12_GLOBAL__N_18offset_tEEE10hipError_tPvRmT1_PNSt15iterator_traitsIS12_E10value_typeET2_T3_PNS13_IS18_E10value_typeET4_jRbjT5_S1E_jjP12ihipStream_tbEUljE_ZNSN_ISO_Lb1ESQ_SR_ST_SU_SY_EESZ_S10_S11_S12_S16_S17_S18_S1B_S1C_jS1D_jS1E_S1E_jjS1G_bEUljE0_EEESZ_S10_S11_S18_S1C_S1E_T6_T7_T9_mT8_S1G_bDpT10_ENKUlT_T0_E_clISt17integral_constantIbLb1EES1T_IbLb0EEEEDaS1P_S1Q_EUlS1P_E_NS1_11comp_targetILNS1_3genE0ELNS1_11target_archE4294967295ELNS1_3gpuE0ELNS1_3repE0EEENS1_30default_config_static_selectorELNS0_4arch9wavefront6targetE0EEEvS12_
    .private_segment_fixed_size: 0
    .sgpr_count:     0
    .sgpr_spill_count: 0
    .symbol:         _ZN7rocprim17ROCPRIM_400000_NS6detail17trampoline_kernelINS0_13select_configILj256ELj13ELNS0_17block_load_methodE3ELS4_3ELS4_3ELNS0_20block_scan_algorithmE0ELj4294967295EEENS1_25partition_config_selectorILNS1_17partition_subalgoE4EjNS0_10empty_typeEbEEZZNS1_14partition_implILS8_4ELb0ES6_15HIP_vector_typeIjLj2EENS0_17counting_iteratorIjlEEPS9_SG_NS0_5tupleIJPjSI_NS0_16reverse_iteratorISI_EEEEENSH_IJSG_SG_SG_EEES9_SI_JZNS1_25segmented_radix_sort_implINS0_14default_configELb1EPKhPhPKlPlN2at6native12_GLOBAL__N_18offset_tEEE10hipError_tPvRmT1_PNSt15iterator_traitsIS12_E10value_typeET2_T3_PNS13_IS18_E10value_typeET4_jRbjT5_S1E_jjP12ihipStream_tbEUljE_ZNSN_ISO_Lb1ESQ_SR_ST_SU_SY_EESZ_S10_S11_S12_S16_S17_S18_S1B_S1C_jS1D_jS1E_S1E_jjS1G_bEUljE0_EEESZ_S10_S11_S18_S1C_S1E_T6_T7_T9_mT8_S1G_bDpT10_ENKUlT_T0_E_clISt17integral_constantIbLb1EES1T_IbLb0EEEEDaS1P_S1Q_EUlS1P_E_NS1_11comp_targetILNS1_3genE0ELNS1_11target_archE4294967295ELNS1_3gpuE0ELNS1_3repE0EEENS1_30default_config_static_selectorELNS0_4arch9wavefront6targetE0EEEvS12_.kd
    .uniform_work_group_size: 1
    .uses_dynamic_stack: false
    .vgpr_count:     0
    .vgpr_spill_count: 0
    .wavefront_size: 32
  - .args:
      - .offset:         0
        .size:           176
        .value_kind:     by_value
    .group_segment_fixed_size: 0
    .kernarg_segment_align: 8
    .kernarg_segment_size: 176
    .language:       OpenCL C
    .language_version:
      - 2
      - 0
    .max_flat_workgroup_size: 256
    .name:           _ZN7rocprim17ROCPRIM_400000_NS6detail17trampoline_kernelINS0_13select_configILj256ELj13ELNS0_17block_load_methodE3ELS4_3ELS4_3ELNS0_20block_scan_algorithmE0ELj4294967295EEENS1_25partition_config_selectorILNS1_17partition_subalgoE4EjNS0_10empty_typeEbEEZZNS1_14partition_implILS8_4ELb0ES6_15HIP_vector_typeIjLj2EENS0_17counting_iteratorIjlEEPS9_SG_NS0_5tupleIJPjSI_NS0_16reverse_iteratorISI_EEEEENSH_IJSG_SG_SG_EEES9_SI_JZNS1_25segmented_radix_sort_implINS0_14default_configELb1EPKhPhPKlPlN2at6native12_GLOBAL__N_18offset_tEEE10hipError_tPvRmT1_PNSt15iterator_traitsIS12_E10value_typeET2_T3_PNS13_IS18_E10value_typeET4_jRbjT5_S1E_jjP12ihipStream_tbEUljE_ZNSN_ISO_Lb1ESQ_SR_ST_SU_SY_EESZ_S10_S11_S12_S16_S17_S18_S1B_S1C_jS1D_jS1E_S1E_jjS1G_bEUljE0_EEESZ_S10_S11_S18_S1C_S1E_T6_T7_T9_mT8_S1G_bDpT10_ENKUlT_T0_E_clISt17integral_constantIbLb1EES1T_IbLb0EEEEDaS1P_S1Q_EUlS1P_E_NS1_11comp_targetILNS1_3genE5ELNS1_11target_archE942ELNS1_3gpuE9ELNS1_3repE0EEENS1_30default_config_static_selectorELNS0_4arch9wavefront6targetE0EEEvS12_
    .private_segment_fixed_size: 0
    .sgpr_count:     0
    .sgpr_spill_count: 0
    .symbol:         _ZN7rocprim17ROCPRIM_400000_NS6detail17trampoline_kernelINS0_13select_configILj256ELj13ELNS0_17block_load_methodE3ELS4_3ELS4_3ELNS0_20block_scan_algorithmE0ELj4294967295EEENS1_25partition_config_selectorILNS1_17partition_subalgoE4EjNS0_10empty_typeEbEEZZNS1_14partition_implILS8_4ELb0ES6_15HIP_vector_typeIjLj2EENS0_17counting_iteratorIjlEEPS9_SG_NS0_5tupleIJPjSI_NS0_16reverse_iteratorISI_EEEEENSH_IJSG_SG_SG_EEES9_SI_JZNS1_25segmented_radix_sort_implINS0_14default_configELb1EPKhPhPKlPlN2at6native12_GLOBAL__N_18offset_tEEE10hipError_tPvRmT1_PNSt15iterator_traitsIS12_E10value_typeET2_T3_PNS13_IS18_E10value_typeET4_jRbjT5_S1E_jjP12ihipStream_tbEUljE_ZNSN_ISO_Lb1ESQ_SR_ST_SU_SY_EESZ_S10_S11_S12_S16_S17_S18_S1B_S1C_jS1D_jS1E_S1E_jjS1G_bEUljE0_EEESZ_S10_S11_S18_S1C_S1E_T6_T7_T9_mT8_S1G_bDpT10_ENKUlT_T0_E_clISt17integral_constantIbLb1EES1T_IbLb0EEEEDaS1P_S1Q_EUlS1P_E_NS1_11comp_targetILNS1_3genE5ELNS1_11target_archE942ELNS1_3gpuE9ELNS1_3repE0EEENS1_30default_config_static_selectorELNS0_4arch9wavefront6targetE0EEEvS12_.kd
    .uniform_work_group_size: 1
    .uses_dynamic_stack: false
    .vgpr_count:     0
    .vgpr_spill_count: 0
    .wavefront_size: 32
  - .args:
      - .offset:         0
        .size:           176
        .value_kind:     by_value
    .group_segment_fixed_size: 0
    .kernarg_segment_align: 8
    .kernarg_segment_size: 176
    .language:       OpenCL C
    .language_version:
      - 2
      - 0
    .max_flat_workgroup_size: 256
    .name:           _ZN7rocprim17ROCPRIM_400000_NS6detail17trampoline_kernelINS0_13select_configILj256ELj13ELNS0_17block_load_methodE3ELS4_3ELS4_3ELNS0_20block_scan_algorithmE0ELj4294967295EEENS1_25partition_config_selectorILNS1_17partition_subalgoE4EjNS0_10empty_typeEbEEZZNS1_14partition_implILS8_4ELb0ES6_15HIP_vector_typeIjLj2EENS0_17counting_iteratorIjlEEPS9_SG_NS0_5tupleIJPjSI_NS0_16reverse_iteratorISI_EEEEENSH_IJSG_SG_SG_EEES9_SI_JZNS1_25segmented_radix_sort_implINS0_14default_configELb1EPKhPhPKlPlN2at6native12_GLOBAL__N_18offset_tEEE10hipError_tPvRmT1_PNSt15iterator_traitsIS12_E10value_typeET2_T3_PNS13_IS18_E10value_typeET4_jRbjT5_S1E_jjP12ihipStream_tbEUljE_ZNSN_ISO_Lb1ESQ_SR_ST_SU_SY_EESZ_S10_S11_S12_S16_S17_S18_S1B_S1C_jS1D_jS1E_S1E_jjS1G_bEUljE0_EEESZ_S10_S11_S18_S1C_S1E_T6_T7_T9_mT8_S1G_bDpT10_ENKUlT_T0_E_clISt17integral_constantIbLb1EES1T_IbLb0EEEEDaS1P_S1Q_EUlS1P_E_NS1_11comp_targetILNS1_3genE4ELNS1_11target_archE910ELNS1_3gpuE8ELNS1_3repE0EEENS1_30default_config_static_selectorELNS0_4arch9wavefront6targetE0EEEvS12_
    .private_segment_fixed_size: 0
    .sgpr_count:     0
    .sgpr_spill_count: 0
    .symbol:         _ZN7rocprim17ROCPRIM_400000_NS6detail17trampoline_kernelINS0_13select_configILj256ELj13ELNS0_17block_load_methodE3ELS4_3ELS4_3ELNS0_20block_scan_algorithmE0ELj4294967295EEENS1_25partition_config_selectorILNS1_17partition_subalgoE4EjNS0_10empty_typeEbEEZZNS1_14partition_implILS8_4ELb0ES6_15HIP_vector_typeIjLj2EENS0_17counting_iteratorIjlEEPS9_SG_NS0_5tupleIJPjSI_NS0_16reverse_iteratorISI_EEEEENSH_IJSG_SG_SG_EEES9_SI_JZNS1_25segmented_radix_sort_implINS0_14default_configELb1EPKhPhPKlPlN2at6native12_GLOBAL__N_18offset_tEEE10hipError_tPvRmT1_PNSt15iterator_traitsIS12_E10value_typeET2_T3_PNS13_IS18_E10value_typeET4_jRbjT5_S1E_jjP12ihipStream_tbEUljE_ZNSN_ISO_Lb1ESQ_SR_ST_SU_SY_EESZ_S10_S11_S12_S16_S17_S18_S1B_S1C_jS1D_jS1E_S1E_jjS1G_bEUljE0_EEESZ_S10_S11_S18_S1C_S1E_T6_T7_T9_mT8_S1G_bDpT10_ENKUlT_T0_E_clISt17integral_constantIbLb1EES1T_IbLb0EEEEDaS1P_S1Q_EUlS1P_E_NS1_11comp_targetILNS1_3genE4ELNS1_11target_archE910ELNS1_3gpuE8ELNS1_3repE0EEENS1_30default_config_static_selectorELNS0_4arch9wavefront6targetE0EEEvS12_.kd
    .uniform_work_group_size: 1
    .uses_dynamic_stack: false
    .vgpr_count:     0
    .vgpr_spill_count: 0
    .wavefront_size: 32
  - .args:
      - .offset:         0
        .size:           176
        .value_kind:     by_value
    .group_segment_fixed_size: 0
    .kernarg_segment_align: 8
    .kernarg_segment_size: 176
    .language:       OpenCL C
    .language_version:
      - 2
      - 0
    .max_flat_workgroup_size: 256
    .name:           _ZN7rocprim17ROCPRIM_400000_NS6detail17trampoline_kernelINS0_13select_configILj256ELj13ELNS0_17block_load_methodE3ELS4_3ELS4_3ELNS0_20block_scan_algorithmE0ELj4294967295EEENS1_25partition_config_selectorILNS1_17partition_subalgoE4EjNS0_10empty_typeEbEEZZNS1_14partition_implILS8_4ELb0ES6_15HIP_vector_typeIjLj2EENS0_17counting_iteratorIjlEEPS9_SG_NS0_5tupleIJPjSI_NS0_16reverse_iteratorISI_EEEEENSH_IJSG_SG_SG_EEES9_SI_JZNS1_25segmented_radix_sort_implINS0_14default_configELb1EPKhPhPKlPlN2at6native12_GLOBAL__N_18offset_tEEE10hipError_tPvRmT1_PNSt15iterator_traitsIS12_E10value_typeET2_T3_PNS13_IS18_E10value_typeET4_jRbjT5_S1E_jjP12ihipStream_tbEUljE_ZNSN_ISO_Lb1ESQ_SR_ST_SU_SY_EESZ_S10_S11_S12_S16_S17_S18_S1B_S1C_jS1D_jS1E_S1E_jjS1G_bEUljE0_EEESZ_S10_S11_S18_S1C_S1E_T6_T7_T9_mT8_S1G_bDpT10_ENKUlT_T0_E_clISt17integral_constantIbLb1EES1T_IbLb0EEEEDaS1P_S1Q_EUlS1P_E_NS1_11comp_targetILNS1_3genE3ELNS1_11target_archE908ELNS1_3gpuE7ELNS1_3repE0EEENS1_30default_config_static_selectorELNS0_4arch9wavefront6targetE0EEEvS12_
    .private_segment_fixed_size: 0
    .sgpr_count:     0
    .sgpr_spill_count: 0
    .symbol:         _ZN7rocprim17ROCPRIM_400000_NS6detail17trampoline_kernelINS0_13select_configILj256ELj13ELNS0_17block_load_methodE3ELS4_3ELS4_3ELNS0_20block_scan_algorithmE0ELj4294967295EEENS1_25partition_config_selectorILNS1_17partition_subalgoE4EjNS0_10empty_typeEbEEZZNS1_14partition_implILS8_4ELb0ES6_15HIP_vector_typeIjLj2EENS0_17counting_iteratorIjlEEPS9_SG_NS0_5tupleIJPjSI_NS0_16reverse_iteratorISI_EEEEENSH_IJSG_SG_SG_EEES9_SI_JZNS1_25segmented_radix_sort_implINS0_14default_configELb1EPKhPhPKlPlN2at6native12_GLOBAL__N_18offset_tEEE10hipError_tPvRmT1_PNSt15iterator_traitsIS12_E10value_typeET2_T3_PNS13_IS18_E10value_typeET4_jRbjT5_S1E_jjP12ihipStream_tbEUljE_ZNSN_ISO_Lb1ESQ_SR_ST_SU_SY_EESZ_S10_S11_S12_S16_S17_S18_S1B_S1C_jS1D_jS1E_S1E_jjS1G_bEUljE0_EEESZ_S10_S11_S18_S1C_S1E_T6_T7_T9_mT8_S1G_bDpT10_ENKUlT_T0_E_clISt17integral_constantIbLb1EES1T_IbLb0EEEEDaS1P_S1Q_EUlS1P_E_NS1_11comp_targetILNS1_3genE3ELNS1_11target_archE908ELNS1_3gpuE7ELNS1_3repE0EEENS1_30default_config_static_selectorELNS0_4arch9wavefront6targetE0EEEvS12_.kd
    .uniform_work_group_size: 1
    .uses_dynamic_stack: false
    .vgpr_count:     0
    .vgpr_spill_count: 0
    .wavefront_size: 32
  - .args:
      - .offset:         0
        .size:           176
        .value_kind:     by_value
    .group_segment_fixed_size: 0
    .kernarg_segment_align: 8
    .kernarg_segment_size: 176
    .language:       OpenCL C
    .language_version:
      - 2
      - 0
    .max_flat_workgroup_size: 256
    .name:           _ZN7rocprim17ROCPRIM_400000_NS6detail17trampoline_kernelINS0_13select_configILj256ELj13ELNS0_17block_load_methodE3ELS4_3ELS4_3ELNS0_20block_scan_algorithmE0ELj4294967295EEENS1_25partition_config_selectorILNS1_17partition_subalgoE4EjNS0_10empty_typeEbEEZZNS1_14partition_implILS8_4ELb0ES6_15HIP_vector_typeIjLj2EENS0_17counting_iteratorIjlEEPS9_SG_NS0_5tupleIJPjSI_NS0_16reverse_iteratorISI_EEEEENSH_IJSG_SG_SG_EEES9_SI_JZNS1_25segmented_radix_sort_implINS0_14default_configELb1EPKhPhPKlPlN2at6native12_GLOBAL__N_18offset_tEEE10hipError_tPvRmT1_PNSt15iterator_traitsIS12_E10value_typeET2_T3_PNS13_IS18_E10value_typeET4_jRbjT5_S1E_jjP12ihipStream_tbEUljE_ZNSN_ISO_Lb1ESQ_SR_ST_SU_SY_EESZ_S10_S11_S12_S16_S17_S18_S1B_S1C_jS1D_jS1E_S1E_jjS1G_bEUljE0_EEESZ_S10_S11_S18_S1C_S1E_T6_T7_T9_mT8_S1G_bDpT10_ENKUlT_T0_E_clISt17integral_constantIbLb1EES1T_IbLb0EEEEDaS1P_S1Q_EUlS1P_E_NS1_11comp_targetILNS1_3genE2ELNS1_11target_archE906ELNS1_3gpuE6ELNS1_3repE0EEENS1_30default_config_static_selectorELNS0_4arch9wavefront6targetE0EEEvS12_
    .private_segment_fixed_size: 0
    .sgpr_count:     0
    .sgpr_spill_count: 0
    .symbol:         _ZN7rocprim17ROCPRIM_400000_NS6detail17trampoline_kernelINS0_13select_configILj256ELj13ELNS0_17block_load_methodE3ELS4_3ELS4_3ELNS0_20block_scan_algorithmE0ELj4294967295EEENS1_25partition_config_selectorILNS1_17partition_subalgoE4EjNS0_10empty_typeEbEEZZNS1_14partition_implILS8_4ELb0ES6_15HIP_vector_typeIjLj2EENS0_17counting_iteratorIjlEEPS9_SG_NS0_5tupleIJPjSI_NS0_16reverse_iteratorISI_EEEEENSH_IJSG_SG_SG_EEES9_SI_JZNS1_25segmented_radix_sort_implINS0_14default_configELb1EPKhPhPKlPlN2at6native12_GLOBAL__N_18offset_tEEE10hipError_tPvRmT1_PNSt15iterator_traitsIS12_E10value_typeET2_T3_PNS13_IS18_E10value_typeET4_jRbjT5_S1E_jjP12ihipStream_tbEUljE_ZNSN_ISO_Lb1ESQ_SR_ST_SU_SY_EESZ_S10_S11_S12_S16_S17_S18_S1B_S1C_jS1D_jS1E_S1E_jjS1G_bEUljE0_EEESZ_S10_S11_S18_S1C_S1E_T6_T7_T9_mT8_S1G_bDpT10_ENKUlT_T0_E_clISt17integral_constantIbLb1EES1T_IbLb0EEEEDaS1P_S1Q_EUlS1P_E_NS1_11comp_targetILNS1_3genE2ELNS1_11target_archE906ELNS1_3gpuE6ELNS1_3repE0EEENS1_30default_config_static_selectorELNS0_4arch9wavefront6targetE0EEEvS12_.kd
    .uniform_work_group_size: 1
    .uses_dynamic_stack: false
    .vgpr_count:     0
    .vgpr_spill_count: 0
    .wavefront_size: 32
  - .args:
      - .offset:         0
        .size:           176
        .value_kind:     by_value
    .group_segment_fixed_size: 0
    .kernarg_segment_align: 8
    .kernarg_segment_size: 176
    .language:       OpenCL C
    .language_version:
      - 2
      - 0
    .max_flat_workgroup_size: 256
    .name:           _ZN7rocprim17ROCPRIM_400000_NS6detail17trampoline_kernelINS0_13select_configILj256ELj13ELNS0_17block_load_methodE3ELS4_3ELS4_3ELNS0_20block_scan_algorithmE0ELj4294967295EEENS1_25partition_config_selectorILNS1_17partition_subalgoE4EjNS0_10empty_typeEbEEZZNS1_14partition_implILS8_4ELb0ES6_15HIP_vector_typeIjLj2EENS0_17counting_iteratorIjlEEPS9_SG_NS0_5tupleIJPjSI_NS0_16reverse_iteratorISI_EEEEENSH_IJSG_SG_SG_EEES9_SI_JZNS1_25segmented_radix_sort_implINS0_14default_configELb1EPKhPhPKlPlN2at6native12_GLOBAL__N_18offset_tEEE10hipError_tPvRmT1_PNSt15iterator_traitsIS12_E10value_typeET2_T3_PNS13_IS18_E10value_typeET4_jRbjT5_S1E_jjP12ihipStream_tbEUljE_ZNSN_ISO_Lb1ESQ_SR_ST_SU_SY_EESZ_S10_S11_S12_S16_S17_S18_S1B_S1C_jS1D_jS1E_S1E_jjS1G_bEUljE0_EEESZ_S10_S11_S18_S1C_S1E_T6_T7_T9_mT8_S1G_bDpT10_ENKUlT_T0_E_clISt17integral_constantIbLb1EES1T_IbLb0EEEEDaS1P_S1Q_EUlS1P_E_NS1_11comp_targetILNS1_3genE10ELNS1_11target_archE1200ELNS1_3gpuE4ELNS1_3repE0EEENS1_30default_config_static_selectorELNS0_4arch9wavefront6targetE0EEEvS12_
    .private_segment_fixed_size: 0
    .sgpr_count:     0
    .sgpr_spill_count: 0
    .symbol:         _ZN7rocprim17ROCPRIM_400000_NS6detail17trampoline_kernelINS0_13select_configILj256ELj13ELNS0_17block_load_methodE3ELS4_3ELS4_3ELNS0_20block_scan_algorithmE0ELj4294967295EEENS1_25partition_config_selectorILNS1_17partition_subalgoE4EjNS0_10empty_typeEbEEZZNS1_14partition_implILS8_4ELb0ES6_15HIP_vector_typeIjLj2EENS0_17counting_iteratorIjlEEPS9_SG_NS0_5tupleIJPjSI_NS0_16reverse_iteratorISI_EEEEENSH_IJSG_SG_SG_EEES9_SI_JZNS1_25segmented_radix_sort_implINS0_14default_configELb1EPKhPhPKlPlN2at6native12_GLOBAL__N_18offset_tEEE10hipError_tPvRmT1_PNSt15iterator_traitsIS12_E10value_typeET2_T3_PNS13_IS18_E10value_typeET4_jRbjT5_S1E_jjP12ihipStream_tbEUljE_ZNSN_ISO_Lb1ESQ_SR_ST_SU_SY_EESZ_S10_S11_S12_S16_S17_S18_S1B_S1C_jS1D_jS1E_S1E_jjS1G_bEUljE0_EEESZ_S10_S11_S18_S1C_S1E_T6_T7_T9_mT8_S1G_bDpT10_ENKUlT_T0_E_clISt17integral_constantIbLb1EES1T_IbLb0EEEEDaS1P_S1Q_EUlS1P_E_NS1_11comp_targetILNS1_3genE10ELNS1_11target_archE1200ELNS1_3gpuE4ELNS1_3repE0EEENS1_30default_config_static_selectorELNS0_4arch9wavefront6targetE0EEEvS12_.kd
    .uniform_work_group_size: 1
    .uses_dynamic_stack: false
    .vgpr_count:     0
    .vgpr_spill_count: 0
    .wavefront_size: 32
  - .args:
      - .offset:         0
        .size:           176
        .value_kind:     by_value
    .group_segment_fixed_size: 0
    .kernarg_segment_align: 8
    .kernarg_segment_size: 176
    .language:       OpenCL C
    .language_version:
      - 2
      - 0
    .max_flat_workgroup_size: 256
    .name:           _ZN7rocprim17ROCPRIM_400000_NS6detail17trampoline_kernelINS0_13select_configILj256ELj13ELNS0_17block_load_methodE3ELS4_3ELS4_3ELNS0_20block_scan_algorithmE0ELj4294967295EEENS1_25partition_config_selectorILNS1_17partition_subalgoE4EjNS0_10empty_typeEbEEZZNS1_14partition_implILS8_4ELb0ES6_15HIP_vector_typeIjLj2EENS0_17counting_iteratorIjlEEPS9_SG_NS0_5tupleIJPjSI_NS0_16reverse_iteratorISI_EEEEENSH_IJSG_SG_SG_EEES9_SI_JZNS1_25segmented_radix_sort_implINS0_14default_configELb1EPKhPhPKlPlN2at6native12_GLOBAL__N_18offset_tEEE10hipError_tPvRmT1_PNSt15iterator_traitsIS12_E10value_typeET2_T3_PNS13_IS18_E10value_typeET4_jRbjT5_S1E_jjP12ihipStream_tbEUljE_ZNSN_ISO_Lb1ESQ_SR_ST_SU_SY_EESZ_S10_S11_S12_S16_S17_S18_S1B_S1C_jS1D_jS1E_S1E_jjS1G_bEUljE0_EEESZ_S10_S11_S18_S1C_S1E_T6_T7_T9_mT8_S1G_bDpT10_ENKUlT_T0_E_clISt17integral_constantIbLb1EES1T_IbLb0EEEEDaS1P_S1Q_EUlS1P_E_NS1_11comp_targetILNS1_3genE9ELNS1_11target_archE1100ELNS1_3gpuE3ELNS1_3repE0EEENS1_30default_config_static_selectorELNS0_4arch9wavefront6targetE0EEEvS12_
    .private_segment_fixed_size: 0
    .sgpr_count:     0
    .sgpr_spill_count: 0
    .symbol:         _ZN7rocprim17ROCPRIM_400000_NS6detail17trampoline_kernelINS0_13select_configILj256ELj13ELNS0_17block_load_methodE3ELS4_3ELS4_3ELNS0_20block_scan_algorithmE0ELj4294967295EEENS1_25partition_config_selectorILNS1_17partition_subalgoE4EjNS0_10empty_typeEbEEZZNS1_14partition_implILS8_4ELb0ES6_15HIP_vector_typeIjLj2EENS0_17counting_iteratorIjlEEPS9_SG_NS0_5tupleIJPjSI_NS0_16reverse_iteratorISI_EEEEENSH_IJSG_SG_SG_EEES9_SI_JZNS1_25segmented_radix_sort_implINS0_14default_configELb1EPKhPhPKlPlN2at6native12_GLOBAL__N_18offset_tEEE10hipError_tPvRmT1_PNSt15iterator_traitsIS12_E10value_typeET2_T3_PNS13_IS18_E10value_typeET4_jRbjT5_S1E_jjP12ihipStream_tbEUljE_ZNSN_ISO_Lb1ESQ_SR_ST_SU_SY_EESZ_S10_S11_S12_S16_S17_S18_S1B_S1C_jS1D_jS1E_S1E_jjS1G_bEUljE0_EEESZ_S10_S11_S18_S1C_S1E_T6_T7_T9_mT8_S1G_bDpT10_ENKUlT_T0_E_clISt17integral_constantIbLb1EES1T_IbLb0EEEEDaS1P_S1Q_EUlS1P_E_NS1_11comp_targetILNS1_3genE9ELNS1_11target_archE1100ELNS1_3gpuE3ELNS1_3repE0EEENS1_30default_config_static_selectorELNS0_4arch9wavefront6targetE0EEEvS12_.kd
    .uniform_work_group_size: 1
    .uses_dynamic_stack: false
    .vgpr_count:     0
    .vgpr_spill_count: 0
    .wavefront_size: 32
  - .args:
      - .offset:         0
        .size:           176
        .value_kind:     by_value
    .group_segment_fixed_size: 0
    .kernarg_segment_align: 8
    .kernarg_segment_size: 176
    .language:       OpenCL C
    .language_version:
      - 2
      - 0
    .max_flat_workgroup_size: 256
    .name:           _ZN7rocprim17ROCPRIM_400000_NS6detail17trampoline_kernelINS0_13select_configILj256ELj13ELNS0_17block_load_methodE3ELS4_3ELS4_3ELNS0_20block_scan_algorithmE0ELj4294967295EEENS1_25partition_config_selectorILNS1_17partition_subalgoE4EjNS0_10empty_typeEbEEZZNS1_14partition_implILS8_4ELb0ES6_15HIP_vector_typeIjLj2EENS0_17counting_iteratorIjlEEPS9_SG_NS0_5tupleIJPjSI_NS0_16reverse_iteratorISI_EEEEENSH_IJSG_SG_SG_EEES9_SI_JZNS1_25segmented_radix_sort_implINS0_14default_configELb1EPKhPhPKlPlN2at6native12_GLOBAL__N_18offset_tEEE10hipError_tPvRmT1_PNSt15iterator_traitsIS12_E10value_typeET2_T3_PNS13_IS18_E10value_typeET4_jRbjT5_S1E_jjP12ihipStream_tbEUljE_ZNSN_ISO_Lb1ESQ_SR_ST_SU_SY_EESZ_S10_S11_S12_S16_S17_S18_S1B_S1C_jS1D_jS1E_S1E_jjS1G_bEUljE0_EEESZ_S10_S11_S18_S1C_S1E_T6_T7_T9_mT8_S1G_bDpT10_ENKUlT_T0_E_clISt17integral_constantIbLb1EES1T_IbLb0EEEEDaS1P_S1Q_EUlS1P_E_NS1_11comp_targetILNS1_3genE8ELNS1_11target_archE1030ELNS1_3gpuE2ELNS1_3repE0EEENS1_30default_config_static_selectorELNS0_4arch9wavefront6targetE0EEEvS12_
    .private_segment_fixed_size: 0
    .sgpr_count:     0
    .sgpr_spill_count: 0
    .symbol:         _ZN7rocprim17ROCPRIM_400000_NS6detail17trampoline_kernelINS0_13select_configILj256ELj13ELNS0_17block_load_methodE3ELS4_3ELS4_3ELNS0_20block_scan_algorithmE0ELj4294967295EEENS1_25partition_config_selectorILNS1_17partition_subalgoE4EjNS0_10empty_typeEbEEZZNS1_14partition_implILS8_4ELb0ES6_15HIP_vector_typeIjLj2EENS0_17counting_iteratorIjlEEPS9_SG_NS0_5tupleIJPjSI_NS0_16reverse_iteratorISI_EEEEENSH_IJSG_SG_SG_EEES9_SI_JZNS1_25segmented_radix_sort_implINS0_14default_configELb1EPKhPhPKlPlN2at6native12_GLOBAL__N_18offset_tEEE10hipError_tPvRmT1_PNSt15iterator_traitsIS12_E10value_typeET2_T3_PNS13_IS18_E10value_typeET4_jRbjT5_S1E_jjP12ihipStream_tbEUljE_ZNSN_ISO_Lb1ESQ_SR_ST_SU_SY_EESZ_S10_S11_S12_S16_S17_S18_S1B_S1C_jS1D_jS1E_S1E_jjS1G_bEUljE0_EEESZ_S10_S11_S18_S1C_S1E_T6_T7_T9_mT8_S1G_bDpT10_ENKUlT_T0_E_clISt17integral_constantIbLb1EES1T_IbLb0EEEEDaS1P_S1Q_EUlS1P_E_NS1_11comp_targetILNS1_3genE8ELNS1_11target_archE1030ELNS1_3gpuE2ELNS1_3repE0EEENS1_30default_config_static_selectorELNS0_4arch9wavefront6targetE0EEEvS12_.kd
    .uniform_work_group_size: 1
    .uses_dynamic_stack: false
    .vgpr_count:     0
    .vgpr_spill_count: 0
    .wavefront_size: 32
  - .args:
      - .address_space:  global
        .offset:         0
        .size:           8
        .value_kind:     global_buffer
      - .offset:         8
        .size:           4
        .value_kind:     by_value
      - .address_space:  global
        .offset:         16
        .size:           8
        .value_kind:     global_buffer
      - .offset:         24
        .size:           4
        .value_kind:     by_value
      - .address_space:  global
        .offset:         32
        .size:           8
        .value_kind:     global_buffer
      - .offset:         40
        .size:           4
        .value_kind:     hidden_block_count_x
      - .offset:         44
        .size:           4
        .value_kind:     hidden_block_count_y
      - .offset:         48
        .size:           4
        .value_kind:     hidden_block_count_z
      - .offset:         52
        .size:           2
        .value_kind:     hidden_group_size_x
      - .offset:         54
        .size:           2
        .value_kind:     hidden_group_size_y
      - .offset:         56
        .size:           2
        .value_kind:     hidden_group_size_z
      - .offset:         58
        .size:           2
        .value_kind:     hidden_remainder_x
      - .offset:         60
        .size:           2
        .value_kind:     hidden_remainder_y
      - .offset:         62
        .size:           2
        .value_kind:     hidden_remainder_z
      - .offset:         80
        .size:           8
        .value_kind:     hidden_global_offset_x
      - .offset:         88
        .size:           8
        .value_kind:     hidden_global_offset_y
      - .offset:         96
        .size:           8
        .value_kind:     hidden_global_offset_z
      - .offset:         104
        .size:           2
        .value_kind:     hidden_grid_dims
    .group_segment_fixed_size: 0
    .kernarg_segment_align: 8
    .kernarg_segment_size: 296
    .language:       OpenCL C
    .language_version:
      - 2
      - 0
    .max_flat_workgroup_size: 256
    .name:           _ZN7rocprim17ROCPRIM_400000_NS6detail31init_lookback_scan_state_kernelINS1_19lookback_scan_stateI15HIP_vector_typeIjLj2EELb0ELb1EEENS1_16block_id_wrapperIjLb1EEEEEvT_jT0_jPNS9_10value_typeE
    .private_segment_fixed_size: 0
    .sgpr_count:     14
    .sgpr_spill_count: 0
    .symbol:         _ZN7rocprim17ROCPRIM_400000_NS6detail31init_lookback_scan_state_kernelINS1_19lookback_scan_stateI15HIP_vector_typeIjLj2EELb0ELb1EEENS1_16block_id_wrapperIjLb1EEEEEvT_jT0_jPNS9_10value_typeE.kd
    .uniform_work_group_size: 1
    .uses_dynamic_stack: false
    .vgpr_count:     9
    .vgpr_spill_count: 0
    .wavefront_size: 32
  - .args:
      - .offset:         0
        .size:           184
        .value_kind:     by_value
    .group_segment_fixed_size: 13328
    .kernarg_segment_align: 8
    .kernarg_segment_size: 184
    .language:       OpenCL C
    .language_version:
      - 2
      - 0
    .max_flat_workgroup_size: 256
    .name:           _ZN7rocprim17ROCPRIM_400000_NS6detail17trampoline_kernelINS0_13select_configILj256ELj13ELNS0_17block_load_methodE3ELS4_3ELS4_3ELNS0_20block_scan_algorithmE0ELj4294967295EEENS1_25partition_config_selectorILNS1_17partition_subalgoE4EjNS0_10empty_typeEbEEZZNS1_14partition_implILS8_4ELb0ES6_15HIP_vector_typeIjLj2EENS0_17counting_iteratorIjlEEPS9_SG_NS0_5tupleIJPjSI_NS0_16reverse_iteratorISI_EEEEENSH_IJSG_SG_SG_EEES9_SI_JZNS1_25segmented_radix_sort_implINS0_14default_configELb1EPKhPhPKlPlN2at6native12_GLOBAL__N_18offset_tEEE10hipError_tPvRmT1_PNSt15iterator_traitsIS12_E10value_typeET2_T3_PNS13_IS18_E10value_typeET4_jRbjT5_S1E_jjP12ihipStream_tbEUljE_ZNSN_ISO_Lb1ESQ_SR_ST_SU_SY_EESZ_S10_S11_S12_S16_S17_S18_S1B_S1C_jS1D_jS1E_S1E_jjS1G_bEUljE0_EEESZ_S10_S11_S18_S1C_S1E_T6_T7_T9_mT8_S1G_bDpT10_ENKUlT_T0_E_clISt17integral_constantIbLb0EES1T_IbLb1EEEEDaS1P_S1Q_EUlS1P_E_NS1_11comp_targetILNS1_3genE0ELNS1_11target_archE4294967295ELNS1_3gpuE0ELNS1_3repE0EEENS1_30default_config_static_selectorELNS0_4arch9wavefront6targetE0EEEvS12_
    .private_segment_fixed_size: 0
    .sgpr_count:     57
    .sgpr_spill_count: 0
    .symbol:         _ZN7rocprim17ROCPRIM_400000_NS6detail17trampoline_kernelINS0_13select_configILj256ELj13ELNS0_17block_load_methodE3ELS4_3ELS4_3ELNS0_20block_scan_algorithmE0ELj4294967295EEENS1_25partition_config_selectorILNS1_17partition_subalgoE4EjNS0_10empty_typeEbEEZZNS1_14partition_implILS8_4ELb0ES6_15HIP_vector_typeIjLj2EENS0_17counting_iteratorIjlEEPS9_SG_NS0_5tupleIJPjSI_NS0_16reverse_iteratorISI_EEEEENSH_IJSG_SG_SG_EEES9_SI_JZNS1_25segmented_radix_sort_implINS0_14default_configELb1EPKhPhPKlPlN2at6native12_GLOBAL__N_18offset_tEEE10hipError_tPvRmT1_PNSt15iterator_traitsIS12_E10value_typeET2_T3_PNS13_IS18_E10value_typeET4_jRbjT5_S1E_jjP12ihipStream_tbEUljE_ZNSN_ISO_Lb1ESQ_SR_ST_SU_SY_EESZ_S10_S11_S12_S16_S17_S18_S1B_S1C_jS1D_jS1E_S1E_jjS1G_bEUljE0_EEESZ_S10_S11_S18_S1C_S1E_T6_T7_T9_mT8_S1G_bDpT10_ENKUlT_T0_E_clISt17integral_constantIbLb0EES1T_IbLb1EEEEDaS1P_S1Q_EUlS1P_E_NS1_11comp_targetILNS1_3genE0ELNS1_11target_archE4294967295ELNS1_3gpuE0ELNS1_3repE0EEENS1_30default_config_static_selectorELNS0_4arch9wavefront6targetE0EEEvS12_.kd
    .uniform_work_group_size: 1
    .uses_dynamic_stack: false
    .vgpr_count:     86
    .vgpr_spill_count: 0
    .wavefront_size: 32
  - .args:
      - .offset:         0
        .size:           184
        .value_kind:     by_value
    .group_segment_fixed_size: 0
    .kernarg_segment_align: 8
    .kernarg_segment_size: 184
    .language:       OpenCL C
    .language_version:
      - 2
      - 0
    .max_flat_workgroup_size: 256
    .name:           _ZN7rocprim17ROCPRIM_400000_NS6detail17trampoline_kernelINS0_13select_configILj256ELj13ELNS0_17block_load_methodE3ELS4_3ELS4_3ELNS0_20block_scan_algorithmE0ELj4294967295EEENS1_25partition_config_selectorILNS1_17partition_subalgoE4EjNS0_10empty_typeEbEEZZNS1_14partition_implILS8_4ELb0ES6_15HIP_vector_typeIjLj2EENS0_17counting_iteratorIjlEEPS9_SG_NS0_5tupleIJPjSI_NS0_16reverse_iteratorISI_EEEEENSH_IJSG_SG_SG_EEES9_SI_JZNS1_25segmented_radix_sort_implINS0_14default_configELb1EPKhPhPKlPlN2at6native12_GLOBAL__N_18offset_tEEE10hipError_tPvRmT1_PNSt15iterator_traitsIS12_E10value_typeET2_T3_PNS13_IS18_E10value_typeET4_jRbjT5_S1E_jjP12ihipStream_tbEUljE_ZNSN_ISO_Lb1ESQ_SR_ST_SU_SY_EESZ_S10_S11_S12_S16_S17_S18_S1B_S1C_jS1D_jS1E_S1E_jjS1G_bEUljE0_EEESZ_S10_S11_S18_S1C_S1E_T6_T7_T9_mT8_S1G_bDpT10_ENKUlT_T0_E_clISt17integral_constantIbLb0EES1T_IbLb1EEEEDaS1P_S1Q_EUlS1P_E_NS1_11comp_targetILNS1_3genE5ELNS1_11target_archE942ELNS1_3gpuE9ELNS1_3repE0EEENS1_30default_config_static_selectorELNS0_4arch9wavefront6targetE0EEEvS12_
    .private_segment_fixed_size: 0
    .sgpr_count:     0
    .sgpr_spill_count: 0
    .symbol:         _ZN7rocprim17ROCPRIM_400000_NS6detail17trampoline_kernelINS0_13select_configILj256ELj13ELNS0_17block_load_methodE3ELS4_3ELS4_3ELNS0_20block_scan_algorithmE0ELj4294967295EEENS1_25partition_config_selectorILNS1_17partition_subalgoE4EjNS0_10empty_typeEbEEZZNS1_14partition_implILS8_4ELb0ES6_15HIP_vector_typeIjLj2EENS0_17counting_iteratorIjlEEPS9_SG_NS0_5tupleIJPjSI_NS0_16reverse_iteratorISI_EEEEENSH_IJSG_SG_SG_EEES9_SI_JZNS1_25segmented_radix_sort_implINS0_14default_configELb1EPKhPhPKlPlN2at6native12_GLOBAL__N_18offset_tEEE10hipError_tPvRmT1_PNSt15iterator_traitsIS12_E10value_typeET2_T3_PNS13_IS18_E10value_typeET4_jRbjT5_S1E_jjP12ihipStream_tbEUljE_ZNSN_ISO_Lb1ESQ_SR_ST_SU_SY_EESZ_S10_S11_S12_S16_S17_S18_S1B_S1C_jS1D_jS1E_S1E_jjS1G_bEUljE0_EEESZ_S10_S11_S18_S1C_S1E_T6_T7_T9_mT8_S1G_bDpT10_ENKUlT_T0_E_clISt17integral_constantIbLb0EES1T_IbLb1EEEEDaS1P_S1Q_EUlS1P_E_NS1_11comp_targetILNS1_3genE5ELNS1_11target_archE942ELNS1_3gpuE9ELNS1_3repE0EEENS1_30default_config_static_selectorELNS0_4arch9wavefront6targetE0EEEvS12_.kd
    .uniform_work_group_size: 1
    .uses_dynamic_stack: false
    .vgpr_count:     0
    .vgpr_spill_count: 0
    .wavefront_size: 32
  - .args:
      - .offset:         0
        .size:           184
        .value_kind:     by_value
    .group_segment_fixed_size: 0
    .kernarg_segment_align: 8
    .kernarg_segment_size: 184
    .language:       OpenCL C
    .language_version:
      - 2
      - 0
    .max_flat_workgroup_size: 256
    .name:           _ZN7rocprim17ROCPRIM_400000_NS6detail17trampoline_kernelINS0_13select_configILj256ELj13ELNS0_17block_load_methodE3ELS4_3ELS4_3ELNS0_20block_scan_algorithmE0ELj4294967295EEENS1_25partition_config_selectorILNS1_17partition_subalgoE4EjNS0_10empty_typeEbEEZZNS1_14partition_implILS8_4ELb0ES6_15HIP_vector_typeIjLj2EENS0_17counting_iteratorIjlEEPS9_SG_NS0_5tupleIJPjSI_NS0_16reverse_iteratorISI_EEEEENSH_IJSG_SG_SG_EEES9_SI_JZNS1_25segmented_radix_sort_implINS0_14default_configELb1EPKhPhPKlPlN2at6native12_GLOBAL__N_18offset_tEEE10hipError_tPvRmT1_PNSt15iterator_traitsIS12_E10value_typeET2_T3_PNS13_IS18_E10value_typeET4_jRbjT5_S1E_jjP12ihipStream_tbEUljE_ZNSN_ISO_Lb1ESQ_SR_ST_SU_SY_EESZ_S10_S11_S12_S16_S17_S18_S1B_S1C_jS1D_jS1E_S1E_jjS1G_bEUljE0_EEESZ_S10_S11_S18_S1C_S1E_T6_T7_T9_mT8_S1G_bDpT10_ENKUlT_T0_E_clISt17integral_constantIbLb0EES1T_IbLb1EEEEDaS1P_S1Q_EUlS1P_E_NS1_11comp_targetILNS1_3genE4ELNS1_11target_archE910ELNS1_3gpuE8ELNS1_3repE0EEENS1_30default_config_static_selectorELNS0_4arch9wavefront6targetE0EEEvS12_
    .private_segment_fixed_size: 0
    .sgpr_count:     0
    .sgpr_spill_count: 0
    .symbol:         _ZN7rocprim17ROCPRIM_400000_NS6detail17trampoline_kernelINS0_13select_configILj256ELj13ELNS0_17block_load_methodE3ELS4_3ELS4_3ELNS0_20block_scan_algorithmE0ELj4294967295EEENS1_25partition_config_selectorILNS1_17partition_subalgoE4EjNS0_10empty_typeEbEEZZNS1_14partition_implILS8_4ELb0ES6_15HIP_vector_typeIjLj2EENS0_17counting_iteratorIjlEEPS9_SG_NS0_5tupleIJPjSI_NS0_16reverse_iteratorISI_EEEEENSH_IJSG_SG_SG_EEES9_SI_JZNS1_25segmented_radix_sort_implINS0_14default_configELb1EPKhPhPKlPlN2at6native12_GLOBAL__N_18offset_tEEE10hipError_tPvRmT1_PNSt15iterator_traitsIS12_E10value_typeET2_T3_PNS13_IS18_E10value_typeET4_jRbjT5_S1E_jjP12ihipStream_tbEUljE_ZNSN_ISO_Lb1ESQ_SR_ST_SU_SY_EESZ_S10_S11_S12_S16_S17_S18_S1B_S1C_jS1D_jS1E_S1E_jjS1G_bEUljE0_EEESZ_S10_S11_S18_S1C_S1E_T6_T7_T9_mT8_S1G_bDpT10_ENKUlT_T0_E_clISt17integral_constantIbLb0EES1T_IbLb1EEEEDaS1P_S1Q_EUlS1P_E_NS1_11comp_targetILNS1_3genE4ELNS1_11target_archE910ELNS1_3gpuE8ELNS1_3repE0EEENS1_30default_config_static_selectorELNS0_4arch9wavefront6targetE0EEEvS12_.kd
    .uniform_work_group_size: 1
    .uses_dynamic_stack: false
    .vgpr_count:     0
    .vgpr_spill_count: 0
    .wavefront_size: 32
  - .args:
      - .offset:         0
        .size:           184
        .value_kind:     by_value
    .group_segment_fixed_size: 0
    .kernarg_segment_align: 8
    .kernarg_segment_size: 184
    .language:       OpenCL C
    .language_version:
      - 2
      - 0
    .max_flat_workgroup_size: 256
    .name:           _ZN7rocprim17ROCPRIM_400000_NS6detail17trampoline_kernelINS0_13select_configILj256ELj13ELNS0_17block_load_methodE3ELS4_3ELS4_3ELNS0_20block_scan_algorithmE0ELj4294967295EEENS1_25partition_config_selectorILNS1_17partition_subalgoE4EjNS0_10empty_typeEbEEZZNS1_14partition_implILS8_4ELb0ES6_15HIP_vector_typeIjLj2EENS0_17counting_iteratorIjlEEPS9_SG_NS0_5tupleIJPjSI_NS0_16reverse_iteratorISI_EEEEENSH_IJSG_SG_SG_EEES9_SI_JZNS1_25segmented_radix_sort_implINS0_14default_configELb1EPKhPhPKlPlN2at6native12_GLOBAL__N_18offset_tEEE10hipError_tPvRmT1_PNSt15iterator_traitsIS12_E10value_typeET2_T3_PNS13_IS18_E10value_typeET4_jRbjT5_S1E_jjP12ihipStream_tbEUljE_ZNSN_ISO_Lb1ESQ_SR_ST_SU_SY_EESZ_S10_S11_S12_S16_S17_S18_S1B_S1C_jS1D_jS1E_S1E_jjS1G_bEUljE0_EEESZ_S10_S11_S18_S1C_S1E_T6_T7_T9_mT8_S1G_bDpT10_ENKUlT_T0_E_clISt17integral_constantIbLb0EES1T_IbLb1EEEEDaS1P_S1Q_EUlS1P_E_NS1_11comp_targetILNS1_3genE3ELNS1_11target_archE908ELNS1_3gpuE7ELNS1_3repE0EEENS1_30default_config_static_selectorELNS0_4arch9wavefront6targetE0EEEvS12_
    .private_segment_fixed_size: 0
    .sgpr_count:     0
    .sgpr_spill_count: 0
    .symbol:         _ZN7rocprim17ROCPRIM_400000_NS6detail17trampoline_kernelINS0_13select_configILj256ELj13ELNS0_17block_load_methodE3ELS4_3ELS4_3ELNS0_20block_scan_algorithmE0ELj4294967295EEENS1_25partition_config_selectorILNS1_17partition_subalgoE4EjNS0_10empty_typeEbEEZZNS1_14partition_implILS8_4ELb0ES6_15HIP_vector_typeIjLj2EENS0_17counting_iteratorIjlEEPS9_SG_NS0_5tupleIJPjSI_NS0_16reverse_iteratorISI_EEEEENSH_IJSG_SG_SG_EEES9_SI_JZNS1_25segmented_radix_sort_implINS0_14default_configELb1EPKhPhPKlPlN2at6native12_GLOBAL__N_18offset_tEEE10hipError_tPvRmT1_PNSt15iterator_traitsIS12_E10value_typeET2_T3_PNS13_IS18_E10value_typeET4_jRbjT5_S1E_jjP12ihipStream_tbEUljE_ZNSN_ISO_Lb1ESQ_SR_ST_SU_SY_EESZ_S10_S11_S12_S16_S17_S18_S1B_S1C_jS1D_jS1E_S1E_jjS1G_bEUljE0_EEESZ_S10_S11_S18_S1C_S1E_T6_T7_T9_mT8_S1G_bDpT10_ENKUlT_T0_E_clISt17integral_constantIbLb0EES1T_IbLb1EEEEDaS1P_S1Q_EUlS1P_E_NS1_11comp_targetILNS1_3genE3ELNS1_11target_archE908ELNS1_3gpuE7ELNS1_3repE0EEENS1_30default_config_static_selectorELNS0_4arch9wavefront6targetE0EEEvS12_.kd
    .uniform_work_group_size: 1
    .uses_dynamic_stack: false
    .vgpr_count:     0
    .vgpr_spill_count: 0
    .wavefront_size: 32
  - .args:
      - .offset:         0
        .size:           184
        .value_kind:     by_value
    .group_segment_fixed_size: 0
    .kernarg_segment_align: 8
    .kernarg_segment_size: 184
    .language:       OpenCL C
    .language_version:
      - 2
      - 0
    .max_flat_workgroup_size: 256
    .name:           _ZN7rocprim17ROCPRIM_400000_NS6detail17trampoline_kernelINS0_13select_configILj256ELj13ELNS0_17block_load_methodE3ELS4_3ELS4_3ELNS0_20block_scan_algorithmE0ELj4294967295EEENS1_25partition_config_selectorILNS1_17partition_subalgoE4EjNS0_10empty_typeEbEEZZNS1_14partition_implILS8_4ELb0ES6_15HIP_vector_typeIjLj2EENS0_17counting_iteratorIjlEEPS9_SG_NS0_5tupleIJPjSI_NS0_16reverse_iteratorISI_EEEEENSH_IJSG_SG_SG_EEES9_SI_JZNS1_25segmented_radix_sort_implINS0_14default_configELb1EPKhPhPKlPlN2at6native12_GLOBAL__N_18offset_tEEE10hipError_tPvRmT1_PNSt15iterator_traitsIS12_E10value_typeET2_T3_PNS13_IS18_E10value_typeET4_jRbjT5_S1E_jjP12ihipStream_tbEUljE_ZNSN_ISO_Lb1ESQ_SR_ST_SU_SY_EESZ_S10_S11_S12_S16_S17_S18_S1B_S1C_jS1D_jS1E_S1E_jjS1G_bEUljE0_EEESZ_S10_S11_S18_S1C_S1E_T6_T7_T9_mT8_S1G_bDpT10_ENKUlT_T0_E_clISt17integral_constantIbLb0EES1T_IbLb1EEEEDaS1P_S1Q_EUlS1P_E_NS1_11comp_targetILNS1_3genE2ELNS1_11target_archE906ELNS1_3gpuE6ELNS1_3repE0EEENS1_30default_config_static_selectorELNS0_4arch9wavefront6targetE0EEEvS12_
    .private_segment_fixed_size: 0
    .sgpr_count:     0
    .sgpr_spill_count: 0
    .symbol:         _ZN7rocprim17ROCPRIM_400000_NS6detail17trampoline_kernelINS0_13select_configILj256ELj13ELNS0_17block_load_methodE3ELS4_3ELS4_3ELNS0_20block_scan_algorithmE0ELj4294967295EEENS1_25partition_config_selectorILNS1_17partition_subalgoE4EjNS0_10empty_typeEbEEZZNS1_14partition_implILS8_4ELb0ES6_15HIP_vector_typeIjLj2EENS0_17counting_iteratorIjlEEPS9_SG_NS0_5tupleIJPjSI_NS0_16reverse_iteratorISI_EEEEENSH_IJSG_SG_SG_EEES9_SI_JZNS1_25segmented_radix_sort_implINS0_14default_configELb1EPKhPhPKlPlN2at6native12_GLOBAL__N_18offset_tEEE10hipError_tPvRmT1_PNSt15iterator_traitsIS12_E10value_typeET2_T3_PNS13_IS18_E10value_typeET4_jRbjT5_S1E_jjP12ihipStream_tbEUljE_ZNSN_ISO_Lb1ESQ_SR_ST_SU_SY_EESZ_S10_S11_S12_S16_S17_S18_S1B_S1C_jS1D_jS1E_S1E_jjS1G_bEUljE0_EEESZ_S10_S11_S18_S1C_S1E_T6_T7_T9_mT8_S1G_bDpT10_ENKUlT_T0_E_clISt17integral_constantIbLb0EES1T_IbLb1EEEEDaS1P_S1Q_EUlS1P_E_NS1_11comp_targetILNS1_3genE2ELNS1_11target_archE906ELNS1_3gpuE6ELNS1_3repE0EEENS1_30default_config_static_selectorELNS0_4arch9wavefront6targetE0EEEvS12_.kd
    .uniform_work_group_size: 1
    .uses_dynamic_stack: false
    .vgpr_count:     0
    .vgpr_spill_count: 0
    .wavefront_size: 32
  - .args:
      - .offset:         0
        .size:           184
        .value_kind:     by_value
    .group_segment_fixed_size: 0
    .kernarg_segment_align: 8
    .kernarg_segment_size: 184
    .language:       OpenCL C
    .language_version:
      - 2
      - 0
    .max_flat_workgroup_size: 256
    .name:           _ZN7rocprim17ROCPRIM_400000_NS6detail17trampoline_kernelINS0_13select_configILj256ELj13ELNS0_17block_load_methodE3ELS4_3ELS4_3ELNS0_20block_scan_algorithmE0ELj4294967295EEENS1_25partition_config_selectorILNS1_17partition_subalgoE4EjNS0_10empty_typeEbEEZZNS1_14partition_implILS8_4ELb0ES6_15HIP_vector_typeIjLj2EENS0_17counting_iteratorIjlEEPS9_SG_NS0_5tupleIJPjSI_NS0_16reverse_iteratorISI_EEEEENSH_IJSG_SG_SG_EEES9_SI_JZNS1_25segmented_radix_sort_implINS0_14default_configELb1EPKhPhPKlPlN2at6native12_GLOBAL__N_18offset_tEEE10hipError_tPvRmT1_PNSt15iterator_traitsIS12_E10value_typeET2_T3_PNS13_IS18_E10value_typeET4_jRbjT5_S1E_jjP12ihipStream_tbEUljE_ZNSN_ISO_Lb1ESQ_SR_ST_SU_SY_EESZ_S10_S11_S12_S16_S17_S18_S1B_S1C_jS1D_jS1E_S1E_jjS1G_bEUljE0_EEESZ_S10_S11_S18_S1C_S1E_T6_T7_T9_mT8_S1G_bDpT10_ENKUlT_T0_E_clISt17integral_constantIbLb0EES1T_IbLb1EEEEDaS1P_S1Q_EUlS1P_E_NS1_11comp_targetILNS1_3genE10ELNS1_11target_archE1200ELNS1_3gpuE4ELNS1_3repE0EEENS1_30default_config_static_selectorELNS0_4arch9wavefront6targetE0EEEvS12_
    .private_segment_fixed_size: 0
    .sgpr_count:     0
    .sgpr_spill_count: 0
    .symbol:         _ZN7rocprim17ROCPRIM_400000_NS6detail17trampoline_kernelINS0_13select_configILj256ELj13ELNS0_17block_load_methodE3ELS4_3ELS4_3ELNS0_20block_scan_algorithmE0ELj4294967295EEENS1_25partition_config_selectorILNS1_17partition_subalgoE4EjNS0_10empty_typeEbEEZZNS1_14partition_implILS8_4ELb0ES6_15HIP_vector_typeIjLj2EENS0_17counting_iteratorIjlEEPS9_SG_NS0_5tupleIJPjSI_NS0_16reverse_iteratorISI_EEEEENSH_IJSG_SG_SG_EEES9_SI_JZNS1_25segmented_radix_sort_implINS0_14default_configELb1EPKhPhPKlPlN2at6native12_GLOBAL__N_18offset_tEEE10hipError_tPvRmT1_PNSt15iterator_traitsIS12_E10value_typeET2_T3_PNS13_IS18_E10value_typeET4_jRbjT5_S1E_jjP12ihipStream_tbEUljE_ZNSN_ISO_Lb1ESQ_SR_ST_SU_SY_EESZ_S10_S11_S12_S16_S17_S18_S1B_S1C_jS1D_jS1E_S1E_jjS1G_bEUljE0_EEESZ_S10_S11_S18_S1C_S1E_T6_T7_T9_mT8_S1G_bDpT10_ENKUlT_T0_E_clISt17integral_constantIbLb0EES1T_IbLb1EEEEDaS1P_S1Q_EUlS1P_E_NS1_11comp_targetILNS1_3genE10ELNS1_11target_archE1200ELNS1_3gpuE4ELNS1_3repE0EEENS1_30default_config_static_selectorELNS0_4arch9wavefront6targetE0EEEvS12_.kd
    .uniform_work_group_size: 1
    .uses_dynamic_stack: false
    .vgpr_count:     0
    .vgpr_spill_count: 0
    .wavefront_size: 32
  - .args:
      - .offset:         0
        .size:           184
        .value_kind:     by_value
    .group_segment_fixed_size: 0
    .kernarg_segment_align: 8
    .kernarg_segment_size: 184
    .language:       OpenCL C
    .language_version:
      - 2
      - 0
    .max_flat_workgroup_size: 256
    .name:           _ZN7rocprim17ROCPRIM_400000_NS6detail17trampoline_kernelINS0_13select_configILj256ELj13ELNS0_17block_load_methodE3ELS4_3ELS4_3ELNS0_20block_scan_algorithmE0ELj4294967295EEENS1_25partition_config_selectorILNS1_17partition_subalgoE4EjNS0_10empty_typeEbEEZZNS1_14partition_implILS8_4ELb0ES6_15HIP_vector_typeIjLj2EENS0_17counting_iteratorIjlEEPS9_SG_NS0_5tupleIJPjSI_NS0_16reverse_iteratorISI_EEEEENSH_IJSG_SG_SG_EEES9_SI_JZNS1_25segmented_radix_sort_implINS0_14default_configELb1EPKhPhPKlPlN2at6native12_GLOBAL__N_18offset_tEEE10hipError_tPvRmT1_PNSt15iterator_traitsIS12_E10value_typeET2_T3_PNS13_IS18_E10value_typeET4_jRbjT5_S1E_jjP12ihipStream_tbEUljE_ZNSN_ISO_Lb1ESQ_SR_ST_SU_SY_EESZ_S10_S11_S12_S16_S17_S18_S1B_S1C_jS1D_jS1E_S1E_jjS1G_bEUljE0_EEESZ_S10_S11_S18_S1C_S1E_T6_T7_T9_mT8_S1G_bDpT10_ENKUlT_T0_E_clISt17integral_constantIbLb0EES1T_IbLb1EEEEDaS1P_S1Q_EUlS1P_E_NS1_11comp_targetILNS1_3genE9ELNS1_11target_archE1100ELNS1_3gpuE3ELNS1_3repE0EEENS1_30default_config_static_selectorELNS0_4arch9wavefront6targetE0EEEvS12_
    .private_segment_fixed_size: 0
    .sgpr_count:     0
    .sgpr_spill_count: 0
    .symbol:         _ZN7rocprim17ROCPRIM_400000_NS6detail17trampoline_kernelINS0_13select_configILj256ELj13ELNS0_17block_load_methodE3ELS4_3ELS4_3ELNS0_20block_scan_algorithmE0ELj4294967295EEENS1_25partition_config_selectorILNS1_17partition_subalgoE4EjNS0_10empty_typeEbEEZZNS1_14partition_implILS8_4ELb0ES6_15HIP_vector_typeIjLj2EENS0_17counting_iteratorIjlEEPS9_SG_NS0_5tupleIJPjSI_NS0_16reverse_iteratorISI_EEEEENSH_IJSG_SG_SG_EEES9_SI_JZNS1_25segmented_radix_sort_implINS0_14default_configELb1EPKhPhPKlPlN2at6native12_GLOBAL__N_18offset_tEEE10hipError_tPvRmT1_PNSt15iterator_traitsIS12_E10value_typeET2_T3_PNS13_IS18_E10value_typeET4_jRbjT5_S1E_jjP12ihipStream_tbEUljE_ZNSN_ISO_Lb1ESQ_SR_ST_SU_SY_EESZ_S10_S11_S12_S16_S17_S18_S1B_S1C_jS1D_jS1E_S1E_jjS1G_bEUljE0_EEESZ_S10_S11_S18_S1C_S1E_T6_T7_T9_mT8_S1G_bDpT10_ENKUlT_T0_E_clISt17integral_constantIbLb0EES1T_IbLb1EEEEDaS1P_S1Q_EUlS1P_E_NS1_11comp_targetILNS1_3genE9ELNS1_11target_archE1100ELNS1_3gpuE3ELNS1_3repE0EEENS1_30default_config_static_selectorELNS0_4arch9wavefront6targetE0EEEvS12_.kd
    .uniform_work_group_size: 1
    .uses_dynamic_stack: false
    .vgpr_count:     0
    .vgpr_spill_count: 0
    .wavefront_size: 32
  - .args:
      - .offset:         0
        .size:           184
        .value_kind:     by_value
    .group_segment_fixed_size: 0
    .kernarg_segment_align: 8
    .kernarg_segment_size: 184
    .language:       OpenCL C
    .language_version:
      - 2
      - 0
    .max_flat_workgroup_size: 256
    .name:           _ZN7rocprim17ROCPRIM_400000_NS6detail17trampoline_kernelINS0_13select_configILj256ELj13ELNS0_17block_load_methodE3ELS4_3ELS4_3ELNS0_20block_scan_algorithmE0ELj4294967295EEENS1_25partition_config_selectorILNS1_17partition_subalgoE4EjNS0_10empty_typeEbEEZZNS1_14partition_implILS8_4ELb0ES6_15HIP_vector_typeIjLj2EENS0_17counting_iteratorIjlEEPS9_SG_NS0_5tupleIJPjSI_NS0_16reverse_iteratorISI_EEEEENSH_IJSG_SG_SG_EEES9_SI_JZNS1_25segmented_radix_sort_implINS0_14default_configELb1EPKhPhPKlPlN2at6native12_GLOBAL__N_18offset_tEEE10hipError_tPvRmT1_PNSt15iterator_traitsIS12_E10value_typeET2_T3_PNS13_IS18_E10value_typeET4_jRbjT5_S1E_jjP12ihipStream_tbEUljE_ZNSN_ISO_Lb1ESQ_SR_ST_SU_SY_EESZ_S10_S11_S12_S16_S17_S18_S1B_S1C_jS1D_jS1E_S1E_jjS1G_bEUljE0_EEESZ_S10_S11_S18_S1C_S1E_T6_T7_T9_mT8_S1G_bDpT10_ENKUlT_T0_E_clISt17integral_constantIbLb0EES1T_IbLb1EEEEDaS1P_S1Q_EUlS1P_E_NS1_11comp_targetILNS1_3genE8ELNS1_11target_archE1030ELNS1_3gpuE2ELNS1_3repE0EEENS1_30default_config_static_selectorELNS0_4arch9wavefront6targetE0EEEvS12_
    .private_segment_fixed_size: 0
    .sgpr_count:     0
    .sgpr_spill_count: 0
    .symbol:         _ZN7rocprim17ROCPRIM_400000_NS6detail17trampoline_kernelINS0_13select_configILj256ELj13ELNS0_17block_load_methodE3ELS4_3ELS4_3ELNS0_20block_scan_algorithmE0ELj4294967295EEENS1_25partition_config_selectorILNS1_17partition_subalgoE4EjNS0_10empty_typeEbEEZZNS1_14partition_implILS8_4ELb0ES6_15HIP_vector_typeIjLj2EENS0_17counting_iteratorIjlEEPS9_SG_NS0_5tupleIJPjSI_NS0_16reverse_iteratorISI_EEEEENSH_IJSG_SG_SG_EEES9_SI_JZNS1_25segmented_radix_sort_implINS0_14default_configELb1EPKhPhPKlPlN2at6native12_GLOBAL__N_18offset_tEEE10hipError_tPvRmT1_PNSt15iterator_traitsIS12_E10value_typeET2_T3_PNS13_IS18_E10value_typeET4_jRbjT5_S1E_jjP12ihipStream_tbEUljE_ZNSN_ISO_Lb1ESQ_SR_ST_SU_SY_EESZ_S10_S11_S12_S16_S17_S18_S1B_S1C_jS1D_jS1E_S1E_jjS1G_bEUljE0_EEESZ_S10_S11_S18_S1C_S1E_T6_T7_T9_mT8_S1G_bDpT10_ENKUlT_T0_E_clISt17integral_constantIbLb0EES1T_IbLb1EEEEDaS1P_S1Q_EUlS1P_E_NS1_11comp_targetILNS1_3genE8ELNS1_11target_archE1030ELNS1_3gpuE2ELNS1_3repE0EEENS1_30default_config_static_selectorELNS0_4arch9wavefront6targetE0EEEvS12_.kd
    .uniform_work_group_size: 1
    .uses_dynamic_stack: false
    .vgpr_count:     0
    .vgpr_spill_count: 0
    .wavefront_size: 32
  - .args:
      - .address_space:  global
        .offset:         0
        .size:           8
        .value_kind:     global_buffer
      - .offset:         8
        .size:           4
        .value_kind:     by_value
      - .offset:         12
        .size:           1
        .value_kind:     by_value
      - .offset:         16
        .size:           4
        .value_kind:     by_value
      - .address_space:  global
        .offset:         24
        .size:           8
        .value_kind:     global_buffer
      - .offset:         32
        .size:           4
        .value_kind:     hidden_block_count_x
      - .offset:         36
        .size:           4
        .value_kind:     hidden_block_count_y
      - .offset:         40
        .size:           4
        .value_kind:     hidden_block_count_z
      - .offset:         44
        .size:           2
        .value_kind:     hidden_group_size_x
      - .offset:         46
        .size:           2
        .value_kind:     hidden_group_size_y
      - .offset:         48
        .size:           2
        .value_kind:     hidden_group_size_z
      - .offset:         50
        .size:           2
        .value_kind:     hidden_remainder_x
      - .offset:         52
        .size:           2
        .value_kind:     hidden_remainder_y
      - .offset:         54
        .size:           2
        .value_kind:     hidden_remainder_z
      - .offset:         72
        .size:           8
        .value_kind:     hidden_global_offset_x
      - .offset:         80
        .size:           8
        .value_kind:     hidden_global_offset_y
      - .offset:         88
        .size:           8
        .value_kind:     hidden_global_offset_z
      - .offset:         96
        .size:           2
        .value_kind:     hidden_grid_dims
    .group_segment_fixed_size: 0
    .kernarg_segment_align: 8
    .kernarg_segment_size: 288
    .language:       OpenCL C
    .language_version:
      - 2
      - 0
    .max_flat_workgroup_size: 256
    .name:           _ZN7rocprim17ROCPRIM_400000_NS6detail31init_lookback_scan_state_kernelINS1_19lookback_scan_stateIjLb0ELb1EEENS1_16block_id_wrapperIjLb0EEEEEvT_jT0_jPNS7_10value_typeE
    .private_segment_fixed_size: 0
    .sgpr_count:     13
    .sgpr_spill_count: 0
    .symbol:         _ZN7rocprim17ROCPRIM_400000_NS6detail31init_lookback_scan_state_kernelINS1_19lookback_scan_stateIjLb0ELb1EEENS1_16block_id_wrapperIjLb0EEEEEvT_jT0_jPNS7_10value_typeE.kd
    .uniform_work_group_size: 1
    .uses_dynamic_stack: false
    .vgpr_count:     5
    .vgpr_spill_count: 0
    .wavefront_size: 32
  - .args:
      - .offset:         0
        .size:           144
        .value_kind:     by_value
    .group_segment_fixed_size: 13320
    .kernarg_segment_align: 8
    .kernarg_segment_size: 144
    .language:       OpenCL C
    .language_version:
      - 2
      - 0
    .max_flat_workgroup_size: 256
    .name:           _ZN7rocprim17ROCPRIM_400000_NS6detail17trampoline_kernelINS0_13select_configILj256ELj13ELNS0_17block_load_methodE3ELS4_3ELS4_3ELNS0_20block_scan_algorithmE0ELj4294967295EEENS1_25partition_config_selectorILNS1_17partition_subalgoE3EjNS0_10empty_typeEbEEZZNS1_14partition_implILS8_3ELb0ES6_jNS0_17counting_iteratorIjlEEPS9_SE_NS0_5tupleIJPjSE_EEENSF_IJSE_SE_EEES9_SG_JZNS1_25segmented_radix_sort_implINS0_14default_configELb1EPKhPhPKlPlN2at6native12_GLOBAL__N_18offset_tEEE10hipError_tPvRmT1_PNSt15iterator_traitsISY_E10value_typeET2_T3_PNSZ_IS14_E10value_typeET4_jRbjT5_S1A_jjP12ihipStream_tbEUljE_EEESV_SW_SX_S14_S18_S1A_T6_T7_T9_mT8_S1C_bDpT10_ENKUlT_T0_E_clISt17integral_constantIbLb0EES1P_EEDaS1K_S1L_EUlS1K_E_NS1_11comp_targetILNS1_3genE0ELNS1_11target_archE4294967295ELNS1_3gpuE0ELNS1_3repE0EEENS1_30default_config_static_selectorELNS0_4arch9wavefront6targetE0EEEvSY_
    .private_segment_fixed_size: 0
    .sgpr_count:     28
    .sgpr_spill_count: 0
    .symbol:         _ZN7rocprim17ROCPRIM_400000_NS6detail17trampoline_kernelINS0_13select_configILj256ELj13ELNS0_17block_load_methodE3ELS4_3ELS4_3ELNS0_20block_scan_algorithmE0ELj4294967295EEENS1_25partition_config_selectorILNS1_17partition_subalgoE3EjNS0_10empty_typeEbEEZZNS1_14partition_implILS8_3ELb0ES6_jNS0_17counting_iteratorIjlEEPS9_SE_NS0_5tupleIJPjSE_EEENSF_IJSE_SE_EEES9_SG_JZNS1_25segmented_radix_sort_implINS0_14default_configELb1EPKhPhPKlPlN2at6native12_GLOBAL__N_18offset_tEEE10hipError_tPvRmT1_PNSt15iterator_traitsISY_E10value_typeET2_T3_PNSZ_IS14_E10value_typeET4_jRbjT5_S1A_jjP12ihipStream_tbEUljE_EEESV_SW_SX_S14_S18_S1A_T6_T7_T9_mT8_S1C_bDpT10_ENKUlT_T0_E_clISt17integral_constantIbLb0EES1P_EEDaS1K_S1L_EUlS1K_E_NS1_11comp_targetILNS1_3genE0ELNS1_11target_archE4294967295ELNS1_3gpuE0ELNS1_3repE0EEENS1_30default_config_static_selectorELNS0_4arch9wavefront6targetE0EEEvSY_.kd
    .uniform_work_group_size: 1
    .uses_dynamic_stack: false
    .vgpr_count:     69
    .vgpr_spill_count: 0
    .wavefront_size: 32
  - .args:
      - .offset:         0
        .size:           144
        .value_kind:     by_value
    .group_segment_fixed_size: 0
    .kernarg_segment_align: 8
    .kernarg_segment_size: 144
    .language:       OpenCL C
    .language_version:
      - 2
      - 0
    .max_flat_workgroup_size: 256
    .name:           _ZN7rocprim17ROCPRIM_400000_NS6detail17trampoline_kernelINS0_13select_configILj256ELj13ELNS0_17block_load_methodE3ELS4_3ELS4_3ELNS0_20block_scan_algorithmE0ELj4294967295EEENS1_25partition_config_selectorILNS1_17partition_subalgoE3EjNS0_10empty_typeEbEEZZNS1_14partition_implILS8_3ELb0ES6_jNS0_17counting_iteratorIjlEEPS9_SE_NS0_5tupleIJPjSE_EEENSF_IJSE_SE_EEES9_SG_JZNS1_25segmented_radix_sort_implINS0_14default_configELb1EPKhPhPKlPlN2at6native12_GLOBAL__N_18offset_tEEE10hipError_tPvRmT1_PNSt15iterator_traitsISY_E10value_typeET2_T3_PNSZ_IS14_E10value_typeET4_jRbjT5_S1A_jjP12ihipStream_tbEUljE_EEESV_SW_SX_S14_S18_S1A_T6_T7_T9_mT8_S1C_bDpT10_ENKUlT_T0_E_clISt17integral_constantIbLb0EES1P_EEDaS1K_S1L_EUlS1K_E_NS1_11comp_targetILNS1_3genE5ELNS1_11target_archE942ELNS1_3gpuE9ELNS1_3repE0EEENS1_30default_config_static_selectorELNS0_4arch9wavefront6targetE0EEEvSY_
    .private_segment_fixed_size: 0
    .sgpr_count:     0
    .sgpr_spill_count: 0
    .symbol:         _ZN7rocprim17ROCPRIM_400000_NS6detail17trampoline_kernelINS0_13select_configILj256ELj13ELNS0_17block_load_methodE3ELS4_3ELS4_3ELNS0_20block_scan_algorithmE0ELj4294967295EEENS1_25partition_config_selectorILNS1_17partition_subalgoE3EjNS0_10empty_typeEbEEZZNS1_14partition_implILS8_3ELb0ES6_jNS0_17counting_iteratorIjlEEPS9_SE_NS0_5tupleIJPjSE_EEENSF_IJSE_SE_EEES9_SG_JZNS1_25segmented_radix_sort_implINS0_14default_configELb1EPKhPhPKlPlN2at6native12_GLOBAL__N_18offset_tEEE10hipError_tPvRmT1_PNSt15iterator_traitsISY_E10value_typeET2_T3_PNSZ_IS14_E10value_typeET4_jRbjT5_S1A_jjP12ihipStream_tbEUljE_EEESV_SW_SX_S14_S18_S1A_T6_T7_T9_mT8_S1C_bDpT10_ENKUlT_T0_E_clISt17integral_constantIbLb0EES1P_EEDaS1K_S1L_EUlS1K_E_NS1_11comp_targetILNS1_3genE5ELNS1_11target_archE942ELNS1_3gpuE9ELNS1_3repE0EEENS1_30default_config_static_selectorELNS0_4arch9wavefront6targetE0EEEvSY_.kd
    .uniform_work_group_size: 1
    .uses_dynamic_stack: false
    .vgpr_count:     0
    .vgpr_spill_count: 0
    .wavefront_size: 32
  - .args:
      - .offset:         0
        .size:           144
        .value_kind:     by_value
    .group_segment_fixed_size: 0
    .kernarg_segment_align: 8
    .kernarg_segment_size: 144
    .language:       OpenCL C
    .language_version:
      - 2
      - 0
    .max_flat_workgroup_size: 256
    .name:           _ZN7rocprim17ROCPRIM_400000_NS6detail17trampoline_kernelINS0_13select_configILj256ELj13ELNS0_17block_load_methodE3ELS4_3ELS4_3ELNS0_20block_scan_algorithmE0ELj4294967295EEENS1_25partition_config_selectorILNS1_17partition_subalgoE3EjNS0_10empty_typeEbEEZZNS1_14partition_implILS8_3ELb0ES6_jNS0_17counting_iteratorIjlEEPS9_SE_NS0_5tupleIJPjSE_EEENSF_IJSE_SE_EEES9_SG_JZNS1_25segmented_radix_sort_implINS0_14default_configELb1EPKhPhPKlPlN2at6native12_GLOBAL__N_18offset_tEEE10hipError_tPvRmT1_PNSt15iterator_traitsISY_E10value_typeET2_T3_PNSZ_IS14_E10value_typeET4_jRbjT5_S1A_jjP12ihipStream_tbEUljE_EEESV_SW_SX_S14_S18_S1A_T6_T7_T9_mT8_S1C_bDpT10_ENKUlT_T0_E_clISt17integral_constantIbLb0EES1P_EEDaS1K_S1L_EUlS1K_E_NS1_11comp_targetILNS1_3genE4ELNS1_11target_archE910ELNS1_3gpuE8ELNS1_3repE0EEENS1_30default_config_static_selectorELNS0_4arch9wavefront6targetE0EEEvSY_
    .private_segment_fixed_size: 0
    .sgpr_count:     0
    .sgpr_spill_count: 0
    .symbol:         _ZN7rocprim17ROCPRIM_400000_NS6detail17trampoline_kernelINS0_13select_configILj256ELj13ELNS0_17block_load_methodE3ELS4_3ELS4_3ELNS0_20block_scan_algorithmE0ELj4294967295EEENS1_25partition_config_selectorILNS1_17partition_subalgoE3EjNS0_10empty_typeEbEEZZNS1_14partition_implILS8_3ELb0ES6_jNS0_17counting_iteratorIjlEEPS9_SE_NS0_5tupleIJPjSE_EEENSF_IJSE_SE_EEES9_SG_JZNS1_25segmented_radix_sort_implINS0_14default_configELb1EPKhPhPKlPlN2at6native12_GLOBAL__N_18offset_tEEE10hipError_tPvRmT1_PNSt15iterator_traitsISY_E10value_typeET2_T3_PNSZ_IS14_E10value_typeET4_jRbjT5_S1A_jjP12ihipStream_tbEUljE_EEESV_SW_SX_S14_S18_S1A_T6_T7_T9_mT8_S1C_bDpT10_ENKUlT_T0_E_clISt17integral_constantIbLb0EES1P_EEDaS1K_S1L_EUlS1K_E_NS1_11comp_targetILNS1_3genE4ELNS1_11target_archE910ELNS1_3gpuE8ELNS1_3repE0EEENS1_30default_config_static_selectorELNS0_4arch9wavefront6targetE0EEEvSY_.kd
    .uniform_work_group_size: 1
    .uses_dynamic_stack: false
    .vgpr_count:     0
    .vgpr_spill_count: 0
    .wavefront_size: 32
  - .args:
      - .offset:         0
        .size:           144
        .value_kind:     by_value
    .group_segment_fixed_size: 0
    .kernarg_segment_align: 8
    .kernarg_segment_size: 144
    .language:       OpenCL C
    .language_version:
      - 2
      - 0
    .max_flat_workgroup_size: 256
    .name:           _ZN7rocprim17ROCPRIM_400000_NS6detail17trampoline_kernelINS0_13select_configILj256ELj13ELNS0_17block_load_methodE3ELS4_3ELS4_3ELNS0_20block_scan_algorithmE0ELj4294967295EEENS1_25partition_config_selectorILNS1_17partition_subalgoE3EjNS0_10empty_typeEbEEZZNS1_14partition_implILS8_3ELb0ES6_jNS0_17counting_iteratorIjlEEPS9_SE_NS0_5tupleIJPjSE_EEENSF_IJSE_SE_EEES9_SG_JZNS1_25segmented_radix_sort_implINS0_14default_configELb1EPKhPhPKlPlN2at6native12_GLOBAL__N_18offset_tEEE10hipError_tPvRmT1_PNSt15iterator_traitsISY_E10value_typeET2_T3_PNSZ_IS14_E10value_typeET4_jRbjT5_S1A_jjP12ihipStream_tbEUljE_EEESV_SW_SX_S14_S18_S1A_T6_T7_T9_mT8_S1C_bDpT10_ENKUlT_T0_E_clISt17integral_constantIbLb0EES1P_EEDaS1K_S1L_EUlS1K_E_NS1_11comp_targetILNS1_3genE3ELNS1_11target_archE908ELNS1_3gpuE7ELNS1_3repE0EEENS1_30default_config_static_selectorELNS0_4arch9wavefront6targetE0EEEvSY_
    .private_segment_fixed_size: 0
    .sgpr_count:     0
    .sgpr_spill_count: 0
    .symbol:         _ZN7rocprim17ROCPRIM_400000_NS6detail17trampoline_kernelINS0_13select_configILj256ELj13ELNS0_17block_load_methodE3ELS4_3ELS4_3ELNS0_20block_scan_algorithmE0ELj4294967295EEENS1_25partition_config_selectorILNS1_17partition_subalgoE3EjNS0_10empty_typeEbEEZZNS1_14partition_implILS8_3ELb0ES6_jNS0_17counting_iteratorIjlEEPS9_SE_NS0_5tupleIJPjSE_EEENSF_IJSE_SE_EEES9_SG_JZNS1_25segmented_radix_sort_implINS0_14default_configELb1EPKhPhPKlPlN2at6native12_GLOBAL__N_18offset_tEEE10hipError_tPvRmT1_PNSt15iterator_traitsISY_E10value_typeET2_T3_PNSZ_IS14_E10value_typeET4_jRbjT5_S1A_jjP12ihipStream_tbEUljE_EEESV_SW_SX_S14_S18_S1A_T6_T7_T9_mT8_S1C_bDpT10_ENKUlT_T0_E_clISt17integral_constantIbLb0EES1P_EEDaS1K_S1L_EUlS1K_E_NS1_11comp_targetILNS1_3genE3ELNS1_11target_archE908ELNS1_3gpuE7ELNS1_3repE0EEENS1_30default_config_static_selectorELNS0_4arch9wavefront6targetE0EEEvSY_.kd
    .uniform_work_group_size: 1
    .uses_dynamic_stack: false
    .vgpr_count:     0
    .vgpr_spill_count: 0
    .wavefront_size: 32
  - .args:
      - .offset:         0
        .size:           144
        .value_kind:     by_value
    .group_segment_fixed_size: 0
    .kernarg_segment_align: 8
    .kernarg_segment_size: 144
    .language:       OpenCL C
    .language_version:
      - 2
      - 0
    .max_flat_workgroup_size: 256
    .name:           _ZN7rocprim17ROCPRIM_400000_NS6detail17trampoline_kernelINS0_13select_configILj256ELj13ELNS0_17block_load_methodE3ELS4_3ELS4_3ELNS0_20block_scan_algorithmE0ELj4294967295EEENS1_25partition_config_selectorILNS1_17partition_subalgoE3EjNS0_10empty_typeEbEEZZNS1_14partition_implILS8_3ELb0ES6_jNS0_17counting_iteratorIjlEEPS9_SE_NS0_5tupleIJPjSE_EEENSF_IJSE_SE_EEES9_SG_JZNS1_25segmented_radix_sort_implINS0_14default_configELb1EPKhPhPKlPlN2at6native12_GLOBAL__N_18offset_tEEE10hipError_tPvRmT1_PNSt15iterator_traitsISY_E10value_typeET2_T3_PNSZ_IS14_E10value_typeET4_jRbjT5_S1A_jjP12ihipStream_tbEUljE_EEESV_SW_SX_S14_S18_S1A_T6_T7_T9_mT8_S1C_bDpT10_ENKUlT_T0_E_clISt17integral_constantIbLb0EES1P_EEDaS1K_S1L_EUlS1K_E_NS1_11comp_targetILNS1_3genE2ELNS1_11target_archE906ELNS1_3gpuE6ELNS1_3repE0EEENS1_30default_config_static_selectorELNS0_4arch9wavefront6targetE0EEEvSY_
    .private_segment_fixed_size: 0
    .sgpr_count:     0
    .sgpr_spill_count: 0
    .symbol:         _ZN7rocprim17ROCPRIM_400000_NS6detail17trampoline_kernelINS0_13select_configILj256ELj13ELNS0_17block_load_methodE3ELS4_3ELS4_3ELNS0_20block_scan_algorithmE0ELj4294967295EEENS1_25partition_config_selectorILNS1_17partition_subalgoE3EjNS0_10empty_typeEbEEZZNS1_14partition_implILS8_3ELb0ES6_jNS0_17counting_iteratorIjlEEPS9_SE_NS0_5tupleIJPjSE_EEENSF_IJSE_SE_EEES9_SG_JZNS1_25segmented_radix_sort_implINS0_14default_configELb1EPKhPhPKlPlN2at6native12_GLOBAL__N_18offset_tEEE10hipError_tPvRmT1_PNSt15iterator_traitsISY_E10value_typeET2_T3_PNSZ_IS14_E10value_typeET4_jRbjT5_S1A_jjP12ihipStream_tbEUljE_EEESV_SW_SX_S14_S18_S1A_T6_T7_T9_mT8_S1C_bDpT10_ENKUlT_T0_E_clISt17integral_constantIbLb0EES1P_EEDaS1K_S1L_EUlS1K_E_NS1_11comp_targetILNS1_3genE2ELNS1_11target_archE906ELNS1_3gpuE6ELNS1_3repE0EEENS1_30default_config_static_selectorELNS0_4arch9wavefront6targetE0EEEvSY_.kd
    .uniform_work_group_size: 1
    .uses_dynamic_stack: false
    .vgpr_count:     0
    .vgpr_spill_count: 0
    .wavefront_size: 32
  - .args:
      - .offset:         0
        .size:           144
        .value_kind:     by_value
    .group_segment_fixed_size: 0
    .kernarg_segment_align: 8
    .kernarg_segment_size: 144
    .language:       OpenCL C
    .language_version:
      - 2
      - 0
    .max_flat_workgroup_size: 256
    .name:           _ZN7rocprim17ROCPRIM_400000_NS6detail17trampoline_kernelINS0_13select_configILj256ELj13ELNS0_17block_load_methodE3ELS4_3ELS4_3ELNS0_20block_scan_algorithmE0ELj4294967295EEENS1_25partition_config_selectorILNS1_17partition_subalgoE3EjNS0_10empty_typeEbEEZZNS1_14partition_implILS8_3ELb0ES6_jNS0_17counting_iteratorIjlEEPS9_SE_NS0_5tupleIJPjSE_EEENSF_IJSE_SE_EEES9_SG_JZNS1_25segmented_radix_sort_implINS0_14default_configELb1EPKhPhPKlPlN2at6native12_GLOBAL__N_18offset_tEEE10hipError_tPvRmT1_PNSt15iterator_traitsISY_E10value_typeET2_T3_PNSZ_IS14_E10value_typeET4_jRbjT5_S1A_jjP12ihipStream_tbEUljE_EEESV_SW_SX_S14_S18_S1A_T6_T7_T9_mT8_S1C_bDpT10_ENKUlT_T0_E_clISt17integral_constantIbLb0EES1P_EEDaS1K_S1L_EUlS1K_E_NS1_11comp_targetILNS1_3genE10ELNS1_11target_archE1200ELNS1_3gpuE4ELNS1_3repE0EEENS1_30default_config_static_selectorELNS0_4arch9wavefront6targetE0EEEvSY_
    .private_segment_fixed_size: 0
    .sgpr_count:     0
    .sgpr_spill_count: 0
    .symbol:         _ZN7rocprim17ROCPRIM_400000_NS6detail17trampoline_kernelINS0_13select_configILj256ELj13ELNS0_17block_load_methodE3ELS4_3ELS4_3ELNS0_20block_scan_algorithmE0ELj4294967295EEENS1_25partition_config_selectorILNS1_17partition_subalgoE3EjNS0_10empty_typeEbEEZZNS1_14partition_implILS8_3ELb0ES6_jNS0_17counting_iteratorIjlEEPS9_SE_NS0_5tupleIJPjSE_EEENSF_IJSE_SE_EEES9_SG_JZNS1_25segmented_radix_sort_implINS0_14default_configELb1EPKhPhPKlPlN2at6native12_GLOBAL__N_18offset_tEEE10hipError_tPvRmT1_PNSt15iterator_traitsISY_E10value_typeET2_T3_PNSZ_IS14_E10value_typeET4_jRbjT5_S1A_jjP12ihipStream_tbEUljE_EEESV_SW_SX_S14_S18_S1A_T6_T7_T9_mT8_S1C_bDpT10_ENKUlT_T0_E_clISt17integral_constantIbLb0EES1P_EEDaS1K_S1L_EUlS1K_E_NS1_11comp_targetILNS1_3genE10ELNS1_11target_archE1200ELNS1_3gpuE4ELNS1_3repE0EEENS1_30default_config_static_selectorELNS0_4arch9wavefront6targetE0EEEvSY_.kd
    .uniform_work_group_size: 1
    .uses_dynamic_stack: false
    .vgpr_count:     0
    .vgpr_spill_count: 0
    .wavefront_size: 32
  - .args:
      - .offset:         0
        .size:           144
        .value_kind:     by_value
    .group_segment_fixed_size: 0
    .kernarg_segment_align: 8
    .kernarg_segment_size: 144
    .language:       OpenCL C
    .language_version:
      - 2
      - 0
    .max_flat_workgroup_size: 256
    .name:           _ZN7rocprim17ROCPRIM_400000_NS6detail17trampoline_kernelINS0_13select_configILj256ELj13ELNS0_17block_load_methodE3ELS4_3ELS4_3ELNS0_20block_scan_algorithmE0ELj4294967295EEENS1_25partition_config_selectorILNS1_17partition_subalgoE3EjNS0_10empty_typeEbEEZZNS1_14partition_implILS8_3ELb0ES6_jNS0_17counting_iteratorIjlEEPS9_SE_NS0_5tupleIJPjSE_EEENSF_IJSE_SE_EEES9_SG_JZNS1_25segmented_radix_sort_implINS0_14default_configELb1EPKhPhPKlPlN2at6native12_GLOBAL__N_18offset_tEEE10hipError_tPvRmT1_PNSt15iterator_traitsISY_E10value_typeET2_T3_PNSZ_IS14_E10value_typeET4_jRbjT5_S1A_jjP12ihipStream_tbEUljE_EEESV_SW_SX_S14_S18_S1A_T6_T7_T9_mT8_S1C_bDpT10_ENKUlT_T0_E_clISt17integral_constantIbLb0EES1P_EEDaS1K_S1L_EUlS1K_E_NS1_11comp_targetILNS1_3genE9ELNS1_11target_archE1100ELNS1_3gpuE3ELNS1_3repE0EEENS1_30default_config_static_selectorELNS0_4arch9wavefront6targetE0EEEvSY_
    .private_segment_fixed_size: 0
    .sgpr_count:     0
    .sgpr_spill_count: 0
    .symbol:         _ZN7rocprim17ROCPRIM_400000_NS6detail17trampoline_kernelINS0_13select_configILj256ELj13ELNS0_17block_load_methodE3ELS4_3ELS4_3ELNS0_20block_scan_algorithmE0ELj4294967295EEENS1_25partition_config_selectorILNS1_17partition_subalgoE3EjNS0_10empty_typeEbEEZZNS1_14partition_implILS8_3ELb0ES6_jNS0_17counting_iteratorIjlEEPS9_SE_NS0_5tupleIJPjSE_EEENSF_IJSE_SE_EEES9_SG_JZNS1_25segmented_radix_sort_implINS0_14default_configELb1EPKhPhPKlPlN2at6native12_GLOBAL__N_18offset_tEEE10hipError_tPvRmT1_PNSt15iterator_traitsISY_E10value_typeET2_T3_PNSZ_IS14_E10value_typeET4_jRbjT5_S1A_jjP12ihipStream_tbEUljE_EEESV_SW_SX_S14_S18_S1A_T6_T7_T9_mT8_S1C_bDpT10_ENKUlT_T0_E_clISt17integral_constantIbLb0EES1P_EEDaS1K_S1L_EUlS1K_E_NS1_11comp_targetILNS1_3genE9ELNS1_11target_archE1100ELNS1_3gpuE3ELNS1_3repE0EEENS1_30default_config_static_selectorELNS0_4arch9wavefront6targetE0EEEvSY_.kd
    .uniform_work_group_size: 1
    .uses_dynamic_stack: false
    .vgpr_count:     0
    .vgpr_spill_count: 0
    .wavefront_size: 32
  - .args:
      - .offset:         0
        .size:           144
        .value_kind:     by_value
    .group_segment_fixed_size: 0
    .kernarg_segment_align: 8
    .kernarg_segment_size: 144
    .language:       OpenCL C
    .language_version:
      - 2
      - 0
    .max_flat_workgroup_size: 256
    .name:           _ZN7rocprim17ROCPRIM_400000_NS6detail17trampoline_kernelINS0_13select_configILj256ELj13ELNS0_17block_load_methodE3ELS4_3ELS4_3ELNS0_20block_scan_algorithmE0ELj4294967295EEENS1_25partition_config_selectorILNS1_17partition_subalgoE3EjNS0_10empty_typeEbEEZZNS1_14partition_implILS8_3ELb0ES6_jNS0_17counting_iteratorIjlEEPS9_SE_NS0_5tupleIJPjSE_EEENSF_IJSE_SE_EEES9_SG_JZNS1_25segmented_radix_sort_implINS0_14default_configELb1EPKhPhPKlPlN2at6native12_GLOBAL__N_18offset_tEEE10hipError_tPvRmT1_PNSt15iterator_traitsISY_E10value_typeET2_T3_PNSZ_IS14_E10value_typeET4_jRbjT5_S1A_jjP12ihipStream_tbEUljE_EEESV_SW_SX_S14_S18_S1A_T6_T7_T9_mT8_S1C_bDpT10_ENKUlT_T0_E_clISt17integral_constantIbLb0EES1P_EEDaS1K_S1L_EUlS1K_E_NS1_11comp_targetILNS1_3genE8ELNS1_11target_archE1030ELNS1_3gpuE2ELNS1_3repE0EEENS1_30default_config_static_selectorELNS0_4arch9wavefront6targetE0EEEvSY_
    .private_segment_fixed_size: 0
    .sgpr_count:     0
    .sgpr_spill_count: 0
    .symbol:         _ZN7rocprim17ROCPRIM_400000_NS6detail17trampoline_kernelINS0_13select_configILj256ELj13ELNS0_17block_load_methodE3ELS4_3ELS4_3ELNS0_20block_scan_algorithmE0ELj4294967295EEENS1_25partition_config_selectorILNS1_17partition_subalgoE3EjNS0_10empty_typeEbEEZZNS1_14partition_implILS8_3ELb0ES6_jNS0_17counting_iteratorIjlEEPS9_SE_NS0_5tupleIJPjSE_EEENSF_IJSE_SE_EEES9_SG_JZNS1_25segmented_radix_sort_implINS0_14default_configELb1EPKhPhPKlPlN2at6native12_GLOBAL__N_18offset_tEEE10hipError_tPvRmT1_PNSt15iterator_traitsISY_E10value_typeET2_T3_PNSZ_IS14_E10value_typeET4_jRbjT5_S1A_jjP12ihipStream_tbEUljE_EEESV_SW_SX_S14_S18_S1A_T6_T7_T9_mT8_S1C_bDpT10_ENKUlT_T0_E_clISt17integral_constantIbLb0EES1P_EEDaS1K_S1L_EUlS1K_E_NS1_11comp_targetILNS1_3genE8ELNS1_11target_archE1030ELNS1_3gpuE2ELNS1_3repE0EEENS1_30default_config_static_selectorELNS0_4arch9wavefront6targetE0EEEvSY_.kd
    .uniform_work_group_size: 1
    .uses_dynamic_stack: false
    .vgpr_count:     0
    .vgpr_spill_count: 0
    .wavefront_size: 32
  - .args:
      - .address_space:  global
        .offset:         0
        .size:           8
        .value_kind:     global_buffer
      - .offset:         8
        .size:           4
        .value_kind:     by_value
      - .address_space:  global
        .offset:         16
        .size:           8
        .value_kind:     global_buffer
      - .offset:         24
        .size:           4
        .value_kind:     by_value
      - .address_space:  global
        .offset:         32
        .size:           8
        .value_kind:     global_buffer
      - .offset:         40
        .size:           4
        .value_kind:     hidden_block_count_x
      - .offset:         44
        .size:           4
        .value_kind:     hidden_block_count_y
      - .offset:         48
        .size:           4
        .value_kind:     hidden_block_count_z
      - .offset:         52
        .size:           2
        .value_kind:     hidden_group_size_x
      - .offset:         54
        .size:           2
        .value_kind:     hidden_group_size_y
      - .offset:         56
        .size:           2
        .value_kind:     hidden_group_size_z
      - .offset:         58
        .size:           2
        .value_kind:     hidden_remainder_x
      - .offset:         60
        .size:           2
        .value_kind:     hidden_remainder_y
      - .offset:         62
        .size:           2
        .value_kind:     hidden_remainder_z
      - .offset:         80
        .size:           8
        .value_kind:     hidden_global_offset_x
      - .offset:         88
        .size:           8
        .value_kind:     hidden_global_offset_y
      - .offset:         96
        .size:           8
        .value_kind:     hidden_global_offset_z
      - .offset:         104
        .size:           2
        .value_kind:     hidden_grid_dims
    .group_segment_fixed_size: 0
    .kernarg_segment_align: 8
    .kernarg_segment_size: 296
    .language:       OpenCL C
    .language_version:
      - 2
      - 0
    .max_flat_workgroup_size: 256
    .name:           _ZN7rocprim17ROCPRIM_400000_NS6detail31init_lookback_scan_state_kernelINS1_19lookback_scan_stateIjLb1ELb1EEENS1_16block_id_wrapperIjLb1EEEEEvT_jT0_jPNS7_10value_typeE
    .private_segment_fixed_size: 0
    .sgpr_count:     14
    .sgpr_spill_count: 0
    .symbol:         _ZN7rocprim17ROCPRIM_400000_NS6detail31init_lookback_scan_state_kernelINS1_19lookback_scan_stateIjLb1ELb1EEENS1_16block_id_wrapperIjLb1EEEEEvT_jT0_jPNS7_10value_typeE.kd
    .uniform_work_group_size: 1
    .uses_dynamic_stack: false
    .vgpr_count:     5
    .vgpr_spill_count: 0
    .wavefront_size: 32
  - .args:
      - .offset:         0
        .size:           152
        .value_kind:     by_value
    .group_segment_fixed_size: 0
    .kernarg_segment_align: 8
    .kernarg_segment_size: 152
    .language:       OpenCL C
    .language_version:
      - 2
      - 0
    .max_flat_workgroup_size: 256
    .name:           _ZN7rocprim17ROCPRIM_400000_NS6detail17trampoline_kernelINS0_13select_configILj256ELj13ELNS0_17block_load_methodE3ELS4_3ELS4_3ELNS0_20block_scan_algorithmE0ELj4294967295EEENS1_25partition_config_selectorILNS1_17partition_subalgoE3EjNS0_10empty_typeEbEEZZNS1_14partition_implILS8_3ELb0ES6_jNS0_17counting_iteratorIjlEEPS9_SE_NS0_5tupleIJPjSE_EEENSF_IJSE_SE_EEES9_SG_JZNS1_25segmented_radix_sort_implINS0_14default_configELb1EPKhPhPKlPlN2at6native12_GLOBAL__N_18offset_tEEE10hipError_tPvRmT1_PNSt15iterator_traitsISY_E10value_typeET2_T3_PNSZ_IS14_E10value_typeET4_jRbjT5_S1A_jjP12ihipStream_tbEUljE_EEESV_SW_SX_S14_S18_S1A_T6_T7_T9_mT8_S1C_bDpT10_ENKUlT_T0_E_clISt17integral_constantIbLb1EES1P_EEDaS1K_S1L_EUlS1K_E_NS1_11comp_targetILNS1_3genE0ELNS1_11target_archE4294967295ELNS1_3gpuE0ELNS1_3repE0EEENS1_30default_config_static_selectorELNS0_4arch9wavefront6targetE0EEEvSY_
    .private_segment_fixed_size: 0
    .sgpr_count:     0
    .sgpr_spill_count: 0
    .symbol:         _ZN7rocprim17ROCPRIM_400000_NS6detail17trampoline_kernelINS0_13select_configILj256ELj13ELNS0_17block_load_methodE3ELS4_3ELS4_3ELNS0_20block_scan_algorithmE0ELj4294967295EEENS1_25partition_config_selectorILNS1_17partition_subalgoE3EjNS0_10empty_typeEbEEZZNS1_14partition_implILS8_3ELb0ES6_jNS0_17counting_iteratorIjlEEPS9_SE_NS0_5tupleIJPjSE_EEENSF_IJSE_SE_EEES9_SG_JZNS1_25segmented_radix_sort_implINS0_14default_configELb1EPKhPhPKlPlN2at6native12_GLOBAL__N_18offset_tEEE10hipError_tPvRmT1_PNSt15iterator_traitsISY_E10value_typeET2_T3_PNSZ_IS14_E10value_typeET4_jRbjT5_S1A_jjP12ihipStream_tbEUljE_EEESV_SW_SX_S14_S18_S1A_T6_T7_T9_mT8_S1C_bDpT10_ENKUlT_T0_E_clISt17integral_constantIbLb1EES1P_EEDaS1K_S1L_EUlS1K_E_NS1_11comp_targetILNS1_3genE0ELNS1_11target_archE4294967295ELNS1_3gpuE0ELNS1_3repE0EEENS1_30default_config_static_selectorELNS0_4arch9wavefront6targetE0EEEvSY_.kd
    .uniform_work_group_size: 1
    .uses_dynamic_stack: false
    .vgpr_count:     0
    .vgpr_spill_count: 0
    .wavefront_size: 32
  - .args:
      - .offset:         0
        .size:           152
        .value_kind:     by_value
    .group_segment_fixed_size: 0
    .kernarg_segment_align: 8
    .kernarg_segment_size: 152
    .language:       OpenCL C
    .language_version:
      - 2
      - 0
    .max_flat_workgroup_size: 256
    .name:           _ZN7rocprim17ROCPRIM_400000_NS6detail17trampoline_kernelINS0_13select_configILj256ELj13ELNS0_17block_load_methodE3ELS4_3ELS4_3ELNS0_20block_scan_algorithmE0ELj4294967295EEENS1_25partition_config_selectorILNS1_17partition_subalgoE3EjNS0_10empty_typeEbEEZZNS1_14partition_implILS8_3ELb0ES6_jNS0_17counting_iteratorIjlEEPS9_SE_NS0_5tupleIJPjSE_EEENSF_IJSE_SE_EEES9_SG_JZNS1_25segmented_radix_sort_implINS0_14default_configELb1EPKhPhPKlPlN2at6native12_GLOBAL__N_18offset_tEEE10hipError_tPvRmT1_PNSt15iterator_traitsISY_E10value_typeET2_T3_PNSZ_IS14_E10value_typeET4_jRbjT5_S1A_jjP12ihipStream_tbEUljE_EEESV_SW_SX_S14_S18_S1A_T6_T7_T9_mT8_S1C_bDpT10_ENKUlT_T0_E_clISt17integral_constantIbLb1EES1P_EEDaS1K_S1L_EUlS1K_E_NS1_11comp_targetILNS1_3genE5ELNS1_11target_archE942ELNS1_3gpuE9ELNS1_3repE0EEENS1_30default_config_static_selectorELNS0_4arch9wavefront6targetE0EEEvSY_
    .private_segment_fixed_size: 0
    .sgpr_count:     0
    .sgpr_spill_count: 0
    .symbol:         _ZN7rocprim17ROCPRIM_400000_NS6detail17trampoline_kernelINS0_13select_configILj256ELj13ELNS0_17block_load_methodE3ELS4_3ELS4_3ELNS0_20block_scan_algorithmE0ELj4294967295EEENS1_25partition_config_selectorILNS1_17partition_subalgoE3EjNS0_10empty_typeEbEEZZNS1_14partition_implILS8_3ELb0ES6_jNS0_17counting_iteratorIjlEEPS9_SE_NS0_5tupleIJPjSE_EEENSF_IJSE_SE_EEES9_SG_JZNS1_25segmented_radix_sort_implINS0_14default_configELb1EPKhPhPKlPlN2at6native12_GLOBAL__N_18offset_tEEE10hipError_tPvRmT1_PNSt15iterator_traitsISY_E10value_typeET2_T3_PNSZ_IS14_E10value_typeET4_jRbjT5_S1A_jjP12ihipStream_tbEUljE_EEESV_SW_SX_S14_S18_S1A_T6_T7_T9_mT8_S1C_bDpT10_ENKUlT_T0_E_clISt17integral_constantIbLb1EES1P_EEDaS1K_S1L_EUlS1K_E_NS1_11comp_targetILNS1_3genE5ELNS1_11target_archE942ELNS1_3gpuE9ELNS1_3repE0EEENS1_30default_config_static_selectorELNS0_4arch9wavefront6targetE0EEEvSY_.kd
    .uniform_work_group_size: 1
    .uses_dynamic_stack: false
    .vgpr_count:     0
    .vgpr_spill_count: 0
    .wavefront_size: 32
  - .args:
      - .offset:         0
        .size:           152
        .value_kind:     by_value
    .group_segment_fixed_size: 0
    .kernarg_segment_align: 8
    .kernarg_segment_size: 152
    .language:       OpenCL C
    .language_version:
      - 2
      - 0
    .max_flat_workgroup_size: 256
    .name:           _ZN7rocprim17ROCPRIM_400000_NS6detail17trampoline_kernelINS0_13select_configILj256ELj13ELNS0_17block_load_methodE3ELS4_3ELS4_3ELNS0_20block_scan_algorithmE0ELj4294967295EEENS1_25partition_config_selectorILNS1_17partition_subalgoE3EjNS0_10empty_typeEbEEZZNS1_14partition_implILS8_3ELb0ES6_jNS0_17counting_iteratorIjlEEPS9_SE_NS0_5tupleIJPjSE_EEENSF_IJSE_SE_EEES9_SG_JZNS1_25segmented_radix_sort_implINS0_14default_configELb1EPKhPhPKlPlN2at6native12_GLOBAL__N_18offset_tEEE10hipError_tPvRmT1_PNSt15iterator_traitsISY_E10value_typeET2_T3_PNSZ_IS14_E10value_typeET4_jRbjT5_S1A_jjP12ihipStream_tbEUljE_EEESV_SW_SX_S14_S18_S1A_T6_T7_T9_mT8_S1C_bDpT10_ENKUlT_T0_E_clISt17integral_constantIbLb1EES1P_EEDaS1K_S1L_EUlS1K_E_NS1_11comp_targetILNS1_3genE4ELNS1_11target_archE910ELNS1_3gpuE8ELNS1_3repE0EEENS1_30default_config_static_selectorELNS0_4arch9wavefront6targetE0EEEvSY_
    .private_segment_fixed_size: 0
    .sgpr_count:     0
    .sgpr_spill_count: 0
    .symbol:         _ZN7rocprim17ROCPRIM_400000_NS6detail17trampoline_kernelINS0_13select_configILj256ELj13ELNS0_17block_load_methodE3ELS4_3ELS4_3ELNS0_20block_scan_algorithmE0ELj4294967295EEENS1_25partition_config_selectorILNS1_17partition_subalgoE3EjNS0_10empty_typeEbEEZZNS1_14partition_implILS8_3ELb0ES6_jNS0_17counting_iteratorIjlEEPS9_SE_NS0_5tupleIJPjSE_EEENSF_IJSE_SE_EEES9_SG_JZNS1_25segmented_radix_sort_implINS0_14default_configELb1EPKhPhPKlPlN2at6native12_GLOBAL__N_18offset_tEEE10hipError_tPvRmT1_PNSt15iterator_traitsISY_E10value_typeET2_T3_PNSZ_IS14_E10value_typeET4_jRbjT5_S1A_jjP12ihipStream_tbEUljE_EEESV_SW_SX_S14_S18_S1A_T6_T7_T9_mT8_S1C_bDpT10_ENKUlT_T0_E_clISt17integral_constantIbLb1EES1P_EEDaS1K_S1L_EUlS1K_E_NS1_11comp_targetILNS1_3genE4ELNS1_11target_archE910ELNS1_3gpuE8ELNS1_3repE0EEENS1_30default_config_static_selectorELNS0_4arch9wavefront6targetE0EEEvSY_.kd
    .uniform_work_group_size: 1
    .uses_dynamic_stack: false
    .vgpr_count:     0
    .vgpr_spill_count: 0
    .wavefront_size: 32
  - .args:
      - .offset:         0
        .size:           152
        .value_kind:     by_value
    .group_segment_fixed_size: 0
    .kernarg_segment_align: 8
    .kernarg_segment_size: 152
    .language:       OpenCL C
    .language_version:
      - 2
      - 0
    .max_flat_workgroup_size: 256
    .name:           _ZN7rocprim17ROCPRIM_400000_NS6detail17trampoline_kernelINS0_13select_configILj256ELj13ELNS0_17block_load_methodE3ELS4_3ELS4_3ELNS0_20block_scan_algorithmE0ELj4294967295EEENS1_25partition_config_selectorILNS1_17partition_subalgoE3EjNS0_10empty_typeEbEEZZNS1_14partition_implILS8_3ELb0ES6_jNS0_17counting_iteratorIjlEEPS9_SE_NS0_5tupleIJPjSE_EEENSF_IJSE_SE_EEES9_SG_JZNS1_25segmented_radix_sort_implINS0_14default_configELb1EPKhPhPKlPlN2at6native12_GLOBAL__N_18offset_tEEE10hipError_tPvRmT1_PNSt15iterator_traitsISY_E10value_typeET2_T3_PNSZ_IS14_E10value_typeET4_jRbjT5_S1A_jjP12ihipStream_tbEUljE_EEESV_SW_SX_S14_S18_S1A_T6_T7_T9_mT8_S1C_bDpT10_ENKUlT_T0_E_clISt17integral_constantIbLb1EES1P_EEDaS1K_S1L_EUlS1K_E_NS1_11comp_targetILNS1_3genE3ELNS1_11target_archE908ELNS1_3gpuE7ELNS1_3repE0EEENS1_30default_config_static_selectorELNS0_4arch9wavefront6targetE0EEEvSY_
    .private_segment_fixed_size: 0
    .sgpr_count:     0
    .sgpr_spill_count: 0
    .symbol:         _ZN7rocprim17ROCPRIM_400000_NS6detail17trampoline_kernelINS0_13select_configILj256ELj13ELNS0_17block_load_methodE3ELS4_3ELS4_3ELNS0_20block_scan_algorithmE0ELj4294967295EEENS1_25partition_config_selectorILNS1_17partition_subalgoE3EjNS0_10empty_typeEbEEZZNS1_14partition_implILS8_3ELb0ES6_jNS0_17counting_iteratorIjlEEPS9_SE_NS0_5tupleIJPjSE_EEENSF_IJSE_SE_EEES9_SG_JZNS1_25segmented_radix_sort_implINS0_14default_configELb1EPKhPhPKlPlN2at6native12_GLOBAL__N_18offset_tEEE10hipError_tPvRmT1_PNSt15iterator_traitsISY_E10value_typeET2_T3_PNSZ_IS14_E10value_typeET4_jRbjT5_S1A_jjP12ihipStream_tbEUljE_EEESV_SW_SX_S14_S18_S1A_T6_T7_T9_mT8_S1C_bDpT10_ENKUlT_T0_E_clISt17integral_constantIbLb1EES1P_EEDaS1K_S1L_EUlS1K_E_NS1_11comp_targetILNS1_3genE3ELNS1_11target_archE908ELNS1_3gpuE7ELNS1_3repE0EEENS1_30default_config_static_selectorELNS0_4arch9wavefront6targetE0EEEvSY_.kd
    .uniform_work_group_size: 1
    .uses_dynamic_stack: false
    .vgpr_count:     0
    .vgpr_spill_count: 0
    .wavefront_size: 32
  - .args:
      - .offset:         0
        .size:           152
        .value_kind:     by_value
    .group_segment_fixed_size: 0
    .kernarg_segment_align: 8
    .kernarg_segment_size: 152
    .language:       OpenCL C
    .language_version:
      - 2
      - 0
    .max_flat_workgroup_size: 256
    .name:           _ZN7rocprim17ROCPRIM_400000_NS6detail17trampoline_kernelINS0_13select_configILj256ELj13ELNS0_17block_load_methodE3ELS4_3ELS4_3ELNS0_20block_scan_algorithmE0ELj4294967295EEENS1_25partition_config_selectorILNS1_17partition_subalgoE3EjNS0_10empty_typeEbEEZZNS1_14partition_implILS8_3ELb0ES6_jNS0_17counting_iteratorIjlEEPS9_SE_NS0_5tupleIJPjSE_EEENSF_IJSE_SE_EEES9_SG_JZNS1_25segmented_radix_sort_implINS0_14default_configELb1EPKhPhPKlPlN2at6native12_GLOBAL__N_18offset_tEEE10hipError_tPvRmT1_PNSt15iterator_traitsISY_E10value_typeET2_T3_PNSZ_IS14_E10value_typeET4_jRbjT5_S1A_jjP12ihipStream_tbEUljE_EEESV_SW_SX_S14_S18_S1A_T6_T7_T9_mT8_S1C_bDpT10_ENKUlT_T0_E_clISt17integral_constantIbLb1EES1P_EEDaS1K_S1L_EUlS1K_E_NS1_11comp_targetILNS1_3genE2ELNS1_11target_archE906ELNS1_3gpuE6ELNS1_3repE0EEENS1_30default_config_static_selectorELNS0_4arch9wavefront6targetE0EEEvSY_
    .private_segment_fixed_size: 0
    .sgpr_count:     0
    .sgpr_spill_count: 0
    .symbol:         _ZN7rocprim17ROCPRIM_400000_NS6detail17trampoline_kernelINS0_13select_configILj256ELj13ELNS0_17block_load_methodE3ELS4_3ELS4_3ELNS0_20block_scan_algorithmE0ELj4294967295EEENS1_25partition_config_selectorILNS1_17partition_subalgoE3EjNS0_10empty_typeEbEEZZNS1_14partition_implILS8_3ELb0ES6_jNS0_17counting_iteratorIjlEEPS9_SE_NS0_5tupleIJPjSE_EEENSF_IJSE_SE_EEES9_SG_JZNS1_25segmented_radix_sort_implINS0_14default_configELb1EPKhPhPKlPlN2at6native12_GLOBAL__N_18offset_tEEE10hipError_tPvRmT1_PNSt15iterator_traitsISY_E10value_typeET2_T3_PNSZ_IS14_E10value_typeET4_jRbjT5_S1A_jjP12ihipStream_tbEUljE_EEESV_SW_SX_S14_S18_S1A_T6_T7_T9_mT8_S1C_bDpT10_ENKUlT_T0_E_clISt17integral_constantIbLb1EES1P_EEDaS1K_S1L_EUlS1K_E_NS1_11comp_targetILNS1_3genE2ELNS1_11target_archE906ELNS1_3gpuE6ELNS1_3repE0EEENS1_30default_config_static_selectorELNS0_4arch9wavefront6targetE0EEEvSY_.kd
    .uniform_work_group_size: 1
    .uses_dynamic_stack: false
    .vgpr_count:     0
    .vgpr_spill_count: 0
    .wavefront_size: 32
  - .args:
      - .offset:         0
        .size:           152
        .value_kind:     by_value
    .group_segment_fixed_size: 0
    .kernarg_segment_align: 8
    .kernarg_segment_size: 152
    .language:       OpenCL C
    .language_version:
      - 2
      - 0
    .max_flat_workgroup_size: 256
    .name:           _ZN7rocprim17ROCPRIM_400000_NS6detail17trampoline_kernelINS0_13select_configILj256ELj13ELNS0_17block_load_methodE3ELS4_3ELS4_3ELNS0_20block_scan_algorithmE0ELj4294967295EEENS1_25partition_config_selectorILNS1_17partition_subalgoE3EjNS0_10empty_typeEbEEZZNS1_14partition_implILS8_3ELb0ES6_jNS0_17counting_iteratorIjlEEPS9_SE_NS0_5tupleIJPjSE_EEENSF_IJSE_SE_EEES9_SG_JZNS1_25segmented_radix_sort_implINS0_14default_configELb1EPKhPhPKlPlN2at6native12_GLOBAL__N_18offset_tEEE10hipError_tPvRmT1_PNSt15iterator_traitsISY_E10value_typeET2_T3_PNSZ_IS14_E10value_typeET4_jRbjT5_S1A_jjP12ihipStream_tbEUljE_EEESV_SW_SX_S14_S18_S1A_T6_T7_T9_mT8_S1C_bDpT10_ENKUlT_T0_E_clISt17integral_constantIbLb1EES1P_EEDaS1K_S1L_EUlS1K_E_NS1_11comp_targetILNS1_3genE10ELNS1_11target_archE1200ELNS1_3gpuE4ELNS1_3repE0EEENS1_30default_config_static_selectorELNS0_4arch9wavefront6targetE0EEEvSY_
    .private_segment_fixed_size: 0
    .sgpr_count:     0
    .sgpr_spill_count: 0
    .symbol:         _ZN7rocprim17ROCPRIM_400000_NS6detail17trampoline_kernelINS0_13select_configILj256ELj13ELNS0_17block_load_methodE3ELS4_3ELS4_3ELNS0_20block_scan_algorithmE0ELj4294967295EEENS1_25partition_config_selectorILNS1_17partition_subalgoE3EjNS0_10empty_typeEbEEZZNS1_14partition_implILS8_3ELb0ES6_jNS0_17counting_iteratorIjlEEPS9_SE_NS0_5tupleIJPjSE_EEENSF_IJSE_SE_EEES9_SG_JZNS1_25segmented_radix_sort_implINS0_14default_configELb1EPKhPhPKlPlN2at6native12_GLOBAL__N_18offset_tEEE10hipError_tPvRmT1_PNSt15iterator_traitsISY_E10value_typeET2_T3_PNSZ_IS14_E10value_typeET4_jRbjT5_S1A_jjP12ihipStream_tbEUljE_EEESV_SW_SX_S14_S18_S1A_T6_T7_T9_mT8_S1C_bDpT10_ENKUlT_T0_E_clISt17integral_constantIbLb1EES1P_EEDaS1K_S1L_EUlS1K_E_NS1_11comp_targetILNS1_3genE10ELNS1_11target_archE1200ELNS1_3gpuE4ELNS1_3repE0EEENS1_30default_config_static_selectorELNS0_4arch9wavefront6targetE0EEEvSY_.kd
    .uniform_work_group_size: 1
    .uses_dynamic_stack: false
    .vgpr_count:     0
    .vgpr_spill_count: 0
    .wavefront_size: 32
  - .args:
      - .offset:         0
        .size:           152
        .value_kind:     by_value
    .group_segment_fixed_size: 0
    .kernarg_segment_align: 8
    .kernarg_segment_size: 152
    .language:       OpenCL C
    .language_version:
      - 2
      - 0
    .max_flat_workgroup_size: 256
    .name:           _ZN7rocprim17ROCPRIM_400000_NS6detail17trampoline_kernelINS0_13select_configILj256ELj13ELNS0_17block_load_methodE3ELS4_3ELS4_3ELNS0_20block_scan_algorithmE0ELj4294967295EEENS1_25partition_config_selectorILNS1_17partition_subalgoE3EjNS0_10empty_typeEbEEZZNS1_14partition_implILS8_3ELb0ES6_jNS0_17counting_iteratorIjlEEPS9_SE_NS0_5tupleIJPjSE_EEENSF_IJSE_SE_EEES9_SG_JZNS1_25segmented_radix_sort_implINS0_14default_configELb1EPKhPhPKlPlN2at6native12_GLOBAL__N_18offset_tEEE10hipError_tPvRmT1_PNSt15iterator_traitsISY_E10value_typeET2_T3_PNSZ_IS14_E10value_typeET4_jRbjT5_S1A_jjP12ihipStream_tbEUljE_EEESV_SW_SX_S14_S18_S1A_T6_T7_T9_mT8_S1C_bDpT10_ENKUlT_T0_E_clISt17integral_constantIbLb1EES1P_EEDaS1K_S1L_EUlS1K_E_NS1_11comp_targetILNS1_3genE9ELNS1_11target_archE1100ELNS1_3gpuE3ELNS1_3repE0EEENS1_30default_config_static_selectorELNS0_4arch9wavefront6targetE0EEEvSY_
    .private_segment_fixed_size: 0
    .sgpr_count:     0
    .sgpr_spill_count: 0
    .symbol:         _ZN7rocprim17ROCPRIM_400000_NS6detail17trampoline_kernelINS0_13select_configILj256ELj13ELNS0_17block_load_methodE3ELS4_3ELS4_3ELNS0_20block_scan_algorithmE0ELj4294967295EEENS1_25partition_config_selectorILNS1_17partition_subalgoE3EjNS0_10empty_typeEbEEZZNS1_14partition_implILS8_3ELb0ES6_jNS0_17counting_iteratorIjlEEPS9_SE_NS0_5tupleIJPjSE_EEENSF_IJSE_SE_EEES9_SG_JZNS1_25segmented_radix_sort_implINS0_14default_configELb1EPKhPhPKlPlN2at6native12_GLOBAL__N_18offset_tEEE10hipError_tPvRmT1_PNSt15iterator_traitsISY_E10value_typeET2_T3_PNSZ_IS14_E10value_typeET4_jRbjT5_S1A_jjP12ihipStream_tbEUljE_EEESV_SW_SX_S14_S18_S1A_T6_T7_T9_mT8_S1C_bDpT10_ENKUlT_T0_E_clISt17integral_constantIbLb1EES1P_EEDaS1K_S1L_EUlS1K_E_NS1_11comp_targetILNS1_3genE9ELNS1_11target_archE1100ELNS1_3gpuE3ELNS1_3repE0EEENS1_30default_config_static_selectorELNS0_4arch9wavefront6targetE0EEEvSY_.kd
    .uniform_work_group_size: 1
    .uses_dynamic_stack: false
    .vgpr_count:     0
    .vgpr_spill_count: 0
    .wavefront_size: 32
  - .args:
      - .offset:         0
        .size:           152
        .value_kind:     by_value
    .group_segment_fixed_size: 0
    .kernarg_segment_align: 8
    .kernarg_segment_size: 152
    .language:       OpenCL C
    .language_version:
      - 2
      - 0
    .max_flat_workgroup_size: 256
    .name:           _ZN7rocprim17ROCPRIM_400000_NS6detail17trampoline_kernelINS0_13select_configILj256ELj13ELNS0_17block_load_methodE3ELS4_3ELS4_3ELNS0_20block_scan_algorithmE0ELj4294967295EEENS1_25partition_config_selectorILNS1_17partition_subalgoE3EjNS0_10empty_typeEbEEZZNS1_14partition_implILS8_3ELb0ES6_jNS0_17counting_iteratorIjlEEPS9_SE_NS0_5tupleIJPjSE_EEENSF_IJSE_SE_EEES9_SG_JZNS1_25segmented_radix_sort_implINS0_14default_configELb1EPKhPhPKlPlN2at6native12_GLOBAL__N_18offset_tEEE10hipError_tPvRmT1_PNSt15iterator_traitsISY_E10value_typeET2_T3_PNSZ_IS14_E10value_typeET4_jRbjT5_S1A_jjP12ihipStream_tbEUljE_EEESV_SW_SX_S14_S18_S1A_T6_T7_T9_mT8_S1C_bDpT10_ENKUlT_T0_E_clISt17integral_constantIbLb1EES1P_EEDaS1K_S1L_EUlS1K_E_NS1_11comp_targetILNS1_3genE8ELNS1_11target_archE1030ELNS1_3gpuE2ELNS1_3repE0EEENS1_30default_config_static_selectorELNS0_4arch9wavefront6targetE0EEEvSY_
    .private_segment_fixed_size: 0
    .sgpr_count:     0
    .sgpr_spill_count: 0
    .symbol:         _ZN7rocprim17ROCPRIM_400000_NS6detail17trampoline_kernelINS0_13select_configILj256ELj13ELNS0_17block_load_methodE3ELS4_3ELS4_3ELNS0_20block_scan_algorithmE0ELj4294967295EEENS1_25partition_config_selectorILNS1_17partition_subalgoE3EjNS0_10empty_typeEbEEZZNS1_14partition_implILS8_3ELb0ES6_jNS0_17counting_iteratorIjlEEPS9_SE_NS0_5tupleIJPjSE_EEENSF_IJSE_SE_EEES9_SG_JZNS1_25segmented_radix_sort_implINS0_14default_configELb1EPKhPhPKlPlN2at6native12_GLOBAL__N_18offset_tEEE10hipError_tPvRmT1_PNSt15iterator_traitsISY_E10value_typeET2_T3_PNSZ_IS14_E10value_typeET4_jRbjT5_S1A_jjP12ihipStream_tbEUljE_EEESV_SW_SX_S14_S18_S1A_T6_T7_T9_mT8_S1C_bDpT10_ENKUlT_T0_E_clISt17integral_constantIbLb1EES1P_EEDaS1K_S1L_EUlS1K_E_NS1_11comp_targetILNS1_3genE8ELNS1_11target_archE1030ELNS1_3gpuE2ELNS1_3repE0EEENS1_30default_config_static_selectorELNS0_4arch9wavefront6targetE0EEEvSY_.kd
    .uniform_work_group_size: 1
    .uses_dynamic_stack: false
    .vgpr_count:     0
    .vgpr_spill_count: 0
    .wavefront_size: 32
  - .args:
      - .address_space:  global
        .offset:         0
        .size:           8
        .value_kind:     global_buffer
      - .offset:         8
        .size:           4
        .value_kind:     by_value
      - .offset:         12
        .size:           1
        .value_kind:     by_value
      - .offset:         16
        .size:           4
        .value_kind:     by_value
      - .address_space:  global
        .offset:         24
        .size:           8
        .value_kind:     global_buffer
      - .offset:         32
        .size:           4
        .value_kind:     hidden_block_count_x
      - .offset:         36
        .size:           4
        .value_kind:     hidden_block_count_y
      - .offset:         40
        .size:           4
        .value_kind:     hidden_block_count_z
      - .offset:         44
        .size:           2
        .value_kind:     hidden_group_size_x
      - .offset:         46
        .size:           2
        .value_kind:     hidden_group_size_y
      - .offset:         48
        .size:           2
        .value_kind:     hidden_group_size_z
      - .offset:         50
        .size:           2
        .value_kind:     hidden_remainder_x
      - .offset:         52
        .size:           2
        .value_kind:     hidden_remainder_y
      - .offset:         54
        .size:           2
        .value_kind:     hidden_remainder_z
      - .offset:         72
        .size:           8
        .value_kind:     hidden_global_offset_x
      - .offset:         80
        .size:           8
        .value_kind:     hidden_global_offset_y
      - .offset:         88
        .size:           8
        .value_kind:     hidden_global_offset_z
      - .offset:         96
        .size:           2
        .value_kind:     hidden_grid_dims
    .group_segment_fixed_size: 0
    .kernarg_segment_align: 8
    .kernarg_segment_size: 288
    .language:       OpenCL C
    .language_version:
      - 2
      - 0
    .max_flat_workgroup_size: 256
    .name:           _ZN7rocprim17ROCPRIM_400000_NS6detail31init_lookback_scan_state_kernelINS1_19lookback_scan_stateIjLb1ELb1EEENS1_16block_id_wrapperIjLb0EEEEEvT_jT0_jPNS7_10value_typeE
    .private_segment_fixed_size: 0
    .sgpr_count:     13
    .sgpr_spill_count: 0
    .symbol:         _ZN7rocprim17ROCPRIM_400000_NS6detail31init_lookback_scan_state_kernelINS1_19lookback_scan_stateIjLb1ELb1EEENS1_16block_id_wrapperIjLb0EEEEEvT_jT0_jPNS7_10value_typeE.kd
    .uniform_work_group_size: 1
    .uses_dynamic_stack: false
    .vgpr_count:     5
    .vgpr_spill_count: 0
    .wavefront_size: 32
  - .args:
      - .offset:         0
        .size:           144
        .value_kind:     by_value
    .group_segment_fixed_size: 0
    .kernarg_segment_align: 8
    .kernarg_segment_size: 144
    .language:       OpenCL C
    .language_version:
      - 2
      - 0
    .max_flat_workgroup_size: 256
    .name:           _ZN7rocprim17ROCPRIM_400000_NS6detail17trampoline_kernelINS0_13select_configILj256ELj13ELNS0_17block_load_methodE3ELS4_3ELS4_3ELNS0_20block_scan_algorithmE0ELj4294967295EEENS1_25partition_config_selectorILNS1_17partition_subalgoE3EjNS0_10empty_typeEbEEZZNS1_14partition_implILS8_3ELb0ES6_jNS0_17counting_iteratorIjlEEPS9_SE_NS0_5tupleIJPjSE_EEENSF_IJSE_SE_EEES9_SG_JZNS1_25segmented_radix_sort_implINS0_14default_configELb1EPKhPhPKlPlN2at6native12_GLOBAL__N_18offset_tEEE10hipError_tPvRmT1_PNSt15iterator_traitsISY_E10value_typeET2_T3_PNSZ_IS14_E10value_typeET4_jRbjT5_S1A_jjP12ihipStream_tbEUljE_EEESV_SW_SX_S14_S18_S1A_T6_T7_T9_mT8_S1C_bDpT10_ENKUlT_T0_E_clISt17integral_constantIbLb1EES1O_IbLb0EEEEDaS1K_S1L_EUlS1K_E_NS1_11comp_targetILNS1_3genE0ELNS1_11target_archE4294967295ELNS1_3gpuE0ELNS1_3repE0EEENS1_30default_config_static_selectorELNS0_4arch9wavefront6targetE0EEEvSY_
    .private_segment_fixed_size: 0
    .sgpr_count:     0
    .sgpr_spill_count: 0
    .symbol:         _ZN7rocprim17ROCPRIM_400000_NS6detail17trampoline_kernelINS0_13select_configILj256ELj13ELNS0_17block_load_methodE3ELS4_3ELS4_3ELNS0_20block_scan_algorithmE0ELj4294967295EEENS1_25partition_config_selectorILNS1_17partition_subalgoE3EjNS0_10empty_typeEbEEZZNS1_14partition_implILS8_3ELb0ES6_jNS0_17counting_iteratorIjlEEPS9_SE_NS0_5tupleIJPjSE_EEENSF_IJSE_SE_EEES9_SG_JZNS1_25segmented_radix_sort_implINS0_14default_configELb1EPKhPhPKlPlN2at6native12_GLOBAL__N_18offset_tEEE10hipError_tPvRmT1_PNSt15iterator_traitsISY_E10value_typeET2_T3_PNSZ_IS14_E10value_typeET4_jRbjT5_S1A_jjP12ihipStream_tbEUljE_EEESV_SW_SX_S14_S18_S1A_T6_T7_T9_mT8_S1C_bDpT10_ENKUlT_T0_E_clISt17integral_constantIbLb1EES1O_IbLb0EEEEDaS1K_S1L_EUlS1K_E_NS1_11comp_targetILNS1_3genE0ELNS1_11target_archE4294967295ELNS1_3gpuE0ELNS1_3repE0EEENS1_30default_config_static_selectorELNS0_4arch9wavefront6targetE0EEEvSY_.kd
    .uniform_work_group_size: 1
    .uses_dynamic_stack: false
    .vgpr_count:     0
    .vgpr_spill_count: 0
    .wavefront_size: 32
  - .args:
      - .offset:         0
        .size:           144
        .value_kind:     by_value
    .group_segment_fixed_size: 0
    .kernarg_segment_align: 8
    .kernarg_segment_size: 144
    .language:       OpenCL C
    .language_version:
      - 2
      - 0
    .max_flat_workgroup_size: 256
    .name:           _ZN7rocprim17ROCPRIM_400000_NS6detail17trampoline_kernelINS0_13select_configILj256ELj13ELNS0_17block_load_methodE3ELS4_3ELS4_3ELNS0_20block_scan_algorithmE0ELj4294967295EEENS1_25partition_config_selectorILNS1_17partition_subalgoE3EjNS0_10empty_typeEbEEZZNS1_14partition_implILS8_3ELb0ES6_jNS0_17counting_iteratorIjlEEPS9_SE_NS0_5tupleIJPjSE_EEENSF_IJSE_SE_EEES9_SG_JZNS1_25segmented_radix_sort_implINS0_14default_configELb1EPKhPhPKlPlN2at6native12_GLOBAL__N_18offset_tEEE10hipError_tPvRmT1_PNSt15iterator_traitsISY_E10value_typeET2_T3_PNSZ_IS14_E10value_typeET4_jRbjT5_S1A_jjP12ihipStream_tbEUljE_EEESV_SW_SX_S14_S18_S1A_T6_T7_T9_mT8_S1C_bDpT10_ENKUlT_T0_E_clISt17integral_constantIbLb1EES1O_IbLb0EEEEDaS1K_S1L_EUlS1K_E_NS1_11comp_targetILNS1_3genE5ELNS1_11target_archE942ELNS1_3gpuE9ELNS1_3repE0EEENS1_30default_config_static_selectorELNS0_4arch9wavefront6targetE0EEEvSY_
    .private_segment_fixed_size: 0
    .sgpr_count:     0
    .sgpr_spill_count: 0
    .symbol:         _ZN7rocprim17ROCPRIM_400000_NS6detail17trampoline_kernelINS0_13select_configILj256ELj13ELNS0_17block_load_methodE3ELS4_3ELS4_3ELNS0_20block_scan_algorithmE0ELj4294967295EEENS1_25partition_config_selectorILNS1_17partition_subalgoE3EjNS0_10empty_typeEbEEZZNS1_14partition_implILS8_3ELb0ES6_jNS0_17counting_iteratorIjlEEPS9_SE_NS0_5tupleIJPjSE_EEENSF_IJSE_SE_EEES9_SG_JZNS1_25segmented_radix_sort_implINS0_14default_configELb1EPKhPhPKlPlN2at6native12_GLOBAL__N_18offset_tEEE10hipError_tPvRmT1_PNSt15iterator_traitsISY_E10value_typeET2_T3_PNSZ_IS14_E10value_typeET4_jRbjT5_S1A_jjP12ihipStream_tbEUljE_EEESV_SW_SX_S14_S18_S1A_T6_T7_T9_mT8_S1C_bDpT10_ENKUlT_T0_E_clISt17integral_constantIbLb1EES1O_IbLb0EEEEDaS1K_S1L_EUlS1K_E_NS1_11comp_targetILNS1_3genE5ELNS1_11target_archE942ELNS1_3gpuE9ELNS1_3repE0EEENS1_30default_config_static_selectorELNS0_4arch9wavefront6targetE0EEEvSY_.kd
    .uniform_work_group_size: 1
    .uses_dynamic_stack: false
    .vgpr_count:     0
    .vgpr_spill_count: 0
    .wavefront_size: 32
  - .args:
      - .offset:         0
        .size:           144
        .value_kind:     by_value
    .group_segment_fixed_size: 0
    .kernarg_segment_align: 8
    .kernarg_segment_size: 144
    .language:       OpenCL C
    .language_version:
      - 2
      - 0
    .max_flat_workgroup_size: 256
    .name:           _ZN7rocprim17ROCPRIM_400000_NS6detail17trampoline_kernelINS0_13select_configILj256ELj13ELNS0_17block_load_methodE3ELS4_3ELS4_3ELNS0_20block_scan_algorithmE0ELj4294967295EEENS1_25partition_config_selectorILNS1_17partition_subalgoE3EjNS0_10empty_typeEbEEZZNS1_14partition_implILS8_3ELb0ES6_jNS0_17counting_iteratorIjlEEPS9_SE_NS0_5tupleIJPjSE_EEENSF_IJSE_SE_EEES9_SG_JZNS1_25segmented_radix_sort_implINS0_14default_configELb1EPKhPhPKlPlN2at6native12_GLOBAL__N_18offset_tEEE10hipError_tPvRmT1_PNSt15iterator_traitsISY_E10value_typeET2_T3_PNSZ_IS14_E10value_typeET4_jRbjT5_S1A_jjP12ihipStream_tbEUljE_EEESV_SW_SX_S14_S18_S1A_T6_T7_T9_mT8_S1C_bDpT10_ENKUlT_T0_E_clISt17integral_constantIbLb1EES1O_IbLb0EEEEDaS1K_S1L_EUlS1K_E_NS1_11comp_targetILNS1_3genE4ELNS1_11target_archE910ELNS1_3gpuE8ELNS1_3repE0EEENS1_30default_config_static_selectorELNS0_4arch9wavefront6targetE0EEEvSY_
    .private_segment_fixed_size: 0
    .sgpr_count:     0
    .sgpr_spill_count: 0
    .symbol:         _ZN7rocprim17ROCPRIM_400000_NS6detail17trampoline_kernelINS0_13select_configILj256ELj13ELNS0_17block_load_methodE3ELS4_3ELS4_3ELNS0_20block_scan_algorithmE0ELj4294967295EEENS1_25partition_config_selectorILNS1_17partition_subalgoE3EjNS0_10empty_typeEbEEZZNS1_14partition_implILS8_3ELb0ES6_jNS0_17counting_iteratorIjlEEPS9_SE_NS0_5tupleIJPjSE_EEENSF_IJSE_SE_EEES9_SG_JZNS1_25segmented_radix_sort_implINS0_14default_configELb1EPKhPhPKlPlN2at6native12_GLOBAL__N_18offset_tEEE10hipError_tPvRmT1_PNSt15iterator_traitsISY_E10value_typeET2_T3_PNSZ_IS14_E10value_typeET4_jRbjT5_S1A_jjP12ihipStream_tbEUljE_EEESV_SW_SX_S14_S18_S1A_T6_T7_T9_mT8_S1C_bDpT10_ENKUlT_T0_E_clISt17integral_constantIbLb1EES1O_IbLb0EEEEDaS1K_S1L_EUlS1K_E_NS1_11comp_targetILNS1_3genE4ELNS1_11target_archE910ELNS1_3gpuE8ELNS1_3repE0EEENS1_30default_config_static_selectorELNS0_4arch9wavefront6targetE0EEEvSY_.kd
    .uniform_work_group_size: 1
    .uses_dynamic_stack: false
    .vgpr_count:     0
    .vgpr_spill_count: 0
    .wavefront_size: 32
  - .args:
      - .offset:         0
        .size:           144
        .value_kind:     by_value
    .group_segment_fixed_size: 0
    .kernarg_segment_align: 8
    .kernarg_segment_size: 144
    .language:       OpenCL C
    .language_version:
      - 2
      - 0
    .max_flat_workgroup_size: 256
    .name:           _ZN7rocprim17ROCPRIM_400000_NS6detail17trampoline_kernelINS0_13select_configILj256ELj13ELNS0_17block_load_methodE3ELS4_3ELS4_3ELNS0_20block_scan_algorithmE0ELj4294967295EEENS1_25partition_config_selectorILNS1_17partition_subalgoE3EjNS0_10empty_typeEbEEZZNS1_14partition_implILS8_3ELb0ES6_jNS0_17counting_iteratorIjlEEPS9_SE_NS0_5tupleIJPjSE_EEENSF_IJSE_SE_EEES9_SG_JZNS1_25segmented_radix_sort_implINS0_14default_configELb1EPKhPhPKlPlN2at6native12_GLOBAL__N_18offset_tEEE10hipError_tPvRmT1_PNSt15iterator_traitsISY_E10value_typeET2_T3_PNSZ_IS14_E10value_typeET4_jRbjT5_S1A_jjP12ihipStream_tbEUljE_EEESV_SW_SX_S14_S18_S1A_T6_T7_T9_mT8_S1C_bDpT10_ENKUlT_T0_E_clISt17integral_constantIbLb1EES1O_IbLb0EEEEDaS1K_S1L_EUlS1K_E_NS1_11comp_targetILNS1_3genE3ELNS1_11target_archE908ELNS1_3gpuE7ELNS1_3repE0EEENS1_30default_config_static_selectorELNS0_4arch9wavefront6targetE0EEEvSY_
    .private_segment_fixed_size: 0
    .sgpr_count:     0
    .sgpr_spill_count: 0
    .symbol:         _ZN7rocprim17ROCPRIM_400000_NS6detail17trampoline_kernelINS0_13select_configILj256ELj13ELNS0_17block_load_methodE3ELS4_3ELS4_3ELNS0_20block_scan_algorithmE0ELj4294967295EEENS1_25partition_config_selectorILNS1_17partition_subalgoE3EjNS0_10empty_typeEbEEZZNS1_14partition_implILS8_3ELb0ES6_jNS0_17counting_iteratorIjlEEPS9_SE_NS0_5tupleIJPjSE_EEENSF_IJSE_SE_EEES9_SG_JZNS1_25segmented_radix_sort_implINS0_14default_configELb1EPKhPhPKlPlN2at6native12_GLOBAL__N_18offset_tEEE10hipError_tPvRmT1_PNSt15iterator_traitsISY_E10value_typeET2_T3_PNSZ_IS14_E10value_typeET4_jRbjT5_S1A_jjP12ihipStream_tbEUljE_EEESV_SW_SX_S14_S18_S1A_T6_T7_T9_mT8_S1C_bDpT10_ENKUlT_T0_E_clISt17integral_constantIbLb1EES1O_IbLb0EEEEDaS1K_S1L_EUlS1K_E_NS1_11comp_targetILNS1_3genE3ELNS1_11target_archE908ELNS1_3gpuE7ELNS1_3repE0EEENS1_30default_config_static_selectorELNS0_4arch9wavefront6targetE0EEEvSY_.kd
    .uniform_work_group_size: 1
    .uses_dynamic_stack: false
    .vgpr_count:     0
    .vgpr_spill_count: 0
    .wavefront_size: 32
  - .args:
      - .offset:         0
        .size:           144
        .value_kind:     by_value
    .group_segment_fixed_size: 0
    .kernarg_segment_align: 8
    .kernarg_segment_size: 144
    .language:       OpenCL C
    .language_version:
      - 2
      - 0
    .max_flat_workgroup_size: 256
    .name:           _ZN7rocprim17ROCPRIM_400000_NS6detail17trampoline_kernelINS0_13select_configILj256ELj13ELNS0_17block_load_methodE3ELS4_3ELS4_3ELNS0_20block_scan_algorithmE0ELj4294967295EEENS1_25partition_config_selectorILNS1_17partition_subalgoE3EjNS0_10empty_typeEbEEZZNS1_14partition_implILS8_3ELb0ES6_jNS0_17counting_iteratorIjlEEPS9_SE_NS0_5tupleIJPjSE_EEENSF_IJSE_SE_EEES9_SG_JZNS1_25segmented_radix_sort_implINS0_14default_configELb1EPKhPhPKlPlN2at6native12_GLOBAL__N_18offset_tEEE10hipError_tPvRmT1_PNSt15iterator_traitsISY_E10value_typeET2_T3_PNSZ_IS14_E10value_typeET4_jRbjT5_S1A_jjP12ihipStream_tbEUljE_EEESV_SW_SX_S14_S18_S1A_T6_T7_T9_mT8_S1C_bDpT10_ENKUlT_T0_E_clISt17integral_constantIbLb1EES1O_IbLb0EEEEDaS1K_S1L_EUlS1K_E_NS1_11comp_targetILNS1_3genE2ELNS1_11target_archE906ELNS1_3gpuE6ELNS1_3repE0EEENS1_30default_config_static_selectorELNS0_4arch9wavefront6targetE0EEEvSY_
    .private_segment_fixed_size: 0
    .sgpr_count:     0
    .sgpr_spill_count: 0
    .symbol:         _ZN7rocprim17ROCPRIM_400000_NS6detail17trampoline_kernelINS0_13select_configILj256ELj13ELNS0_17block_load_methodE3ELS4_3ELS4_3ELNS0_20block_scan_algorithmE0ELj4294967295EEENS1_25partition_config_selectorILNS1_17partition_subalgoE3EjNS0_10empty_typeEbEEZZNS1_14partition_implILS8_3ELb0ES6_jNS0_17counting_iteratorIjlEEPS9_SE_NS0_5tupleIJPjSE_EEENSF_IJSE_SE_EEES9_SG_JZNS1_25segmented_radix_sort_implINS0_14default_configELb1EPKhPhPKlPlN2at6native12_GLOBAL__N_18offset_tEEE10hipError_tPvRmT1_PNSt15iterator_traitsISY_E10value_typeET2_T3_PNSZ_IS14_E10value_typeET4_jRbjT5_S1A_jjP12ihipStream_tbEUljE_EEESV_SW_SX_S14_S18_S1A_T6_T7_T9_mT8_S1C_bDpT10_ENKUlT_T0_E_clISt17integral_constantIbLb1EES1O_IbLb0EEEEDaS1K_S1L_EUlS1K_E_NS1_11comp_targetILNS1_3genE2ELNS1_11target_archE906ELNS1_3gpuE6ELNS1_3repE0EEENS1_30default_config_static_selectorELNS0_4arch9wavefront6targetE0EEEvSY_.kd
    .uniform_work_group_size: 1
    .uses_dynamic_stack: false
    .vgpr_count:     0
    .vgpr_spill_count: 0
    .wavefront_size: 32
  - .args:
      - .offset:         0
        .size:           144
        .value_kind:     by_value
    .group_segment_fixed_size: 0
    .kernarg_segment_align: 8
    .kernarg_segment_size: 144
    .language:       OpenCL C
    .language_version:
      - 2
      - 0
    .max_flat_workgroup_size: 256
    .name:           _ZN7rocprim17ROCPRIM_400000_NS6detail17trampoline_kernelINS0_13select_configILj256ELj13ELNS0_17block_load_methodE3ELS4_3ELS4_3ELNS0_20block_scan_algorithmE0ELj4294967295EEENS1_25partition_config_selectorILNS1_17partition_subalgoE3EjNS0_10empty_typeEbEEZZNS1_14partition_implILS8_3ELb0ES6_jNS0_17counting_iteratorIjlEEPS9_SE_NS0_5tupleIJPjSE_EEENSF_IJSE_SE_EEES9_SG_JZNS1_25segmented_radix_sort_implINS0_14default_configELb1EPKhPhPKlPlN2at6native12_GLOBAL__N_18offset_tEEE10hipError_tPvRmT1_PNSt15iterator_traitsISY_E10value_typeET2_T3_PNSZ_IS14_E10value_typeET4_jRbjT5_S1A_jjP12ihipStream_tbEUljE_EEESV_SW_SX_S14_S18_S1A_T6_T7_T9_mT8_S1C_bDpT10_ENKUlT_T0_E_clISt17integral_constantIbLb1EES1O_IbLb0EEEEDaS1K_S1L_EUlS1K_E_NS1_11comp_targetILNS1_3genE10ELNS1_11target_archE1200ELNS1_3gpuE4ELNS1_3repE0EEENS1_30default_config_static_selectorELNS0_4arch9wavefront6targetE0EEEvSY_
    .private_segment_fixed_size: 0
    .sgpr_count:     0
    .sgpr_spill_count: 0
    .symbol:         _ZN7rocprim17ROCPRIM_400000_NS6detail17trampoline_kernelINS0_13select_configILj256ELj13ELNS0_17block_load_methodE3ELS4_3ELS4_3ELNS0_20block_scan_algorithmE0ELj4294967295EEENS1_25partition_config_selectorILNS1_17partition_subalgoE3EjNS0_10empty_typeEbEEZZNS1_14partition_implILS8_3ELb0ES6_jNS0_17counting_iteratorIjlEEPS9_SE_NS0_5tupleIJPjSE_EEENSF_IJSE_SE_EEES9_SG_JZNS1_25segmented_radix_sort_implINS0_14default_configELb1EPKhPhPKlPlN2at6native12_GLOBAL__N_18offset_tEEE10hipError_tPvRmT1_PNSt15iterator_traitsISY_E10value_typeET2_T3_PNSZ_IS14_E10value_typeET4_jRbjT5_S1A_jjP12ihipStream_tbEUljE_EEESV_SW_SX_S14_S18_S1A_T6_T7_T9_mT8_S1C_bDpT10_ENKUlT_T0_E_clISt17integral_constantIbLb1EES1O_IbLb0EEEEDaS1K_S1L_EUlS1K_E_NS1_11comp_targetILNS1_3genE10ELNS1_11target_archE1200ELNS1_3gpuE4ELNS1_3repE0EEENS1_30default_config_static_selectorELNS0_4arch9wavefront6targetE0EEEvSY_.kd
    .uniform_work_group_size: 1
    .uses_dynamic_stack: false
    .vgpr_count:     0
    .vgpr_spill_count: 0
    .wavefront_size: 32
  - .args:
      - .offset:         0
        .size:           144
        .value_kind:     by_value
    .group_segment_fixed_size: 0
    .kernarg_segment_align: 8
    .kernarg_segment_size: 144
    .language:       OpenCL C
    .language_version:
      - 2
      - 0
    .max_flat_workgroup_size: 256
    .name:           _ZN7rocprim17ROCPRIM_400000_NS6detail17trampoline_kernelINS0_13select_configILj256ELj13ELNS0_17block_load_methodE3ELS4_3ELS4_3ELNS0_20block_scan_algorithmE0ELj4294967295EEENS1_25partition_config_selectorILNS1_17partition_subalgoE3EjNS0_10empty_typeEbEEZZNS1_14partition_implILS8_3ELb0ES6_jNS0_17counting_iteratorIjlEEPS9_SE_NS0_5tupleIJPjSE_EEENSF_IJSE_SE_EEES9_SG_JZNS1_25segmented_radix_sort_implINS0_14default_configELb1EPKhPhPKlPlN2at6native12_GLOBAL__N_18offset_tEEE10hipError_tPvRmT1_PNSt15iterator_traitsISY_E10value_typeET2_T3_PNSZ_IS14_E10value_typeET4_jRbjT5_S1A_jjP12ihipStream_tbEUljE_EEESV_SW_SX_S14_S18_S1A_T6_T7_T9_mT8_S1C_bDpT10_ENKUlT_T0_E_clISt17integral_constantIbLb1EES1O_IbLb0EEEEDaS1K_S1L_EUlS1K_E_NS1_11comp_targetILNS1_3genE9ELNS1_11target_archE1100ELNS1_3gpuE3ELNS1_3repE0EEENS1_30default_config_static_selectorELNS0_4arch9wavefront6targetE0EEEvSY_
    .private_segment_fixed_size: 0
    .sgpr_count:     0
    .sgpr_spill_count: 0
    .symbol:         _ZN7rocprim17ROCPRIM_400000_NS6detail17trampoline_kernelINS0_13select_configILj256ELj13ELNS0_17block_load_methodE3ELS4_3ELS4_3ELNS0_20block_scan_algorithmE0ELj4294967295EEENS1_25partition_config_selectorILNS1_17partition_subalgoE3EjNS0_10empty_typeEbEEZZNS1_14partition_implILS8_3ELb0ES6_jNS0_17counting_iteratorIjlEEPS9_SE_NS0_5tupleIJPjSE_EEENSF_IJSE_SE_EEES9_SG_JZNS1_25segmented_radix_sort_implINS0_14default_configELb1EPKhPhPKlPlN2at6native12_GLOBAL__N_18offset_tEEE10hipError_tPvRmT1_PNSt15iterator_traitsISY_E10value_typeET2_T3_PNSZ_IS14_E10value_typeET4_jRbjT5_S1A_jjP12ihipStream_tbEUljE_EEESV_SW_SX_S14_S18_S1A_T6_T7_T9_mT8_S1C_bDpT10_ENKUlT_T0_E_clISt17integral_constantIbLb1EES1O_IbLb0EEEEDaS1K_S1L_EUlS1K_E_NS1_11comp_targetILNS1_3genE9ELNS1_11target_archE1100ELNS1_3gpuE3ELNS1_3repE0EEENS1_30default_config_static_selectorELNS0_4arch9wavefront6targetE0EEEvSY_.kd
    .uniform_work_group_size: 1
    .uses_dynamic_stack: false
    .vgpr_count:     0
    .vgpr_spill_count: 0
    .wavefront_size: 32
  - .args:
      - .offset:         0
        .size:           144
        .value_kind:     by_value
    .group_segment_fixed_size: 0
    .kernarg_segment_align: 8
    .kernarg_segment_size: 144
    .language:       OpenCL C
    .language_version:
      - 2
      - 0
    .max_flat_workgroup_size: 256
    .name:           _ZN7rocprim17ROCPRIM_400000_NS6detail17trampoline_kernelINS0_13select_configILj256ELj13ELNS0_17block_load_methodE3ELS4_3ELS4_3ELNS0_20block_scan_algorithmE0ELj4294967295EEENS1_25partition_config_selectorILNS1_17partition_subalgoE3EjNS0_10empty_typeEbEEZZNS1_14partition_implILS8_3ELb0ES6_jNS0_17counting_iteratorIjlEEPS9_SE_NS0_5tupleIJPjSE_EEENSF_IJSE_SE_EEES9_SG_JZNS1_25segmented_radix_sort_implINS0_14default_configELb1EPKhPhPKlPlN2at6native12_GLOBAL__N_18offset_tEEE10hipError_tPvRmT1_PNSt15iterator_traitsISY_E10value_typeET2_T3_PNSZ_IS14_E10value_typeET4_jRbjT5_S1A_jjP12ihipStream_tbEUljE_EEESV_SW_SX_S14_S18_S1A_T6_T7_T9_mT8_S1C_bDpT10_ENKUlT_T0_E_clISt17integral_constantIbLb1EES1O_IbLb0EEEEDaS1K_S1L_EUlS1K_E_NS1_11comp_targetILNS1_3genE8ELNS1_11target_archE1030ELNS1_3gpuE2ELNS1_3repE0EEENS1_30default_config_static_selectorELNS0_4arch9wavefront6targetE0EEEvSY_
    .private_segment_fixed_size: 0
    .sgpr_count:     0
    .sgpr_spill_count: 0
    .symbol:         _ZN7rocprim17ROCPRIM_400000_NS6detail17trampoline_kernelINS0_13select_configILj256ELj13ELNS0_17block_load_methodE3ELS4_3ELS4_3ELNS0_20block_scan_algorithmE0ELj4294967295EEENS1_25partition_config_selectorILNS1_17partition_subalgoE3EjNS0_10empty_typeEbEEZZNS1_14partition_implILS8_3ELb0ES6_jNS0_17counting_iteratorIjlEEPS9_SE_NS0_5tupleIJPjSE_EEENSF_IJSE_SE_EEES9_SG_JZNS1_25segmented_radix_sort_implINS0_14default_configELb1EPKhPhPKlPlN2at6native12_GLOBAL__N_18offset_tEEE10hipError_tPvRmT1_PNSt15iterator_traitsISY_E10value_typeET2_T3_PNSZ_IS14_E10value_typeET4_jRbjT5_S1A_jjP12ihipStream_tbEUljE_EEESV_SW_SX_S14_S18_S1A_T6_T7_T9_mT8_S1C_bDpT10_ENKUlT_T0_E_clISt17integral_constantIbLb1EES1O_IbLb0EEEEDaS1K_S1L_EUlS1K_E_NS1_11comp_targetILNS1_3genE8ELNS1_11target_archE1030ELNS1_3gpuE2ELNS1_3repE0EEENS1_30default_config_static_selectorELNS0_4arch9wavefront6targetE0EEEvSY_.kd
    .uniform_work_group_size: 1
    .uses_dynamic_stack: false
    .vgpr_count:     0
    .vgpr_spill_count: 0
    .wavefront_size: 32
  - .args:
      - .address_space:  global
        .offset:         0
        .size:           8
        .value_kind:     global_buffer
      - .offset:         8
        .size:           4
        .value_kind:     by_value
      - .address_space:  global
        .offset:         16
        .size:           8
        .value_kind:     global_buffer
      - .offset:         24
        .size:           4
        .value_kind:     by_value
      - .address_space:  global
        .offset:         32
        .size:           8
        .value_kind:     global_buffer
      - .offset:         40
        .size:           4
        .value_kind:     hidden_block_count_x
      - .offset:         44
        .size:           4
        .value_kind:     hidden_block_count_y
      - .offset:         48
        .size:           4
        .value_kind:     hidden_block_count_z
      - .offset:         52
        .size:           2
        .value_kind:     hidden_group_size_x
      - .offset:         54
        .size:           2
        .value_kind:     hidden_group_size_y
      - .offset:         56
        .size:           2
        .value_kind:     hidden_group_size_z
      - .offset:         58
        .size:           2
        .value_kind:     hidden_remainder_x
      - .offset:         60
        .size:           2
        .value_kind:     hidden_remainder_y
      - .offset:         62
        .size:           2
        .value_kind:     hidden_remainder_z
      - .offset:         80
        .size:           8
        .value_kind:     hidden_global_offset_x
      - .offset:         88
        .size:           8
        .value_kind:     hidden_global_offset_y
      - .offset:         96
        .size:           8
        .value_kind:     hidden_global_offset_z
      - .offset:         104
        .size:           2
        .value_kind:     hidden_grid_dims
    .group_segment_fixed_size: 0
    .kernarg_segment_align: 8
    .kernarg_segment_size: 296
    .language:       OpenCL C
    .language_version:
      - 2
      - 0
    .max_flat_workgroup_size: 256
    .name:           _ZN7rocprim17ROCPRIM_400000_NS6detail31init_lookback_scan_state_kernelINS1_19lookback_scan_stateIjLb0ELb1EEENS1_16block_id_wrapperIjLb1EEEEEvT_jT0_jPNS7_10value_typeE
    .private_segment_fixed_size: 0
    .sgpr_count:     13
    .sgpr_spill_count: 0
    .symbol:         _ZN7rocprim17ROCPRIM_400000_NS6detail31init_lookback_scan_state_kernelINS1_19lookback_scan_stateIjLb0ELb1EEENS1_16block_id_wrapperIjLb1EEEEEvT_jT0_jPNS7_10value_typeE.kd
    .uniform_work_group_size: 1
    .uses_dynamic_stack: false
    .vgpr_count:     5
    .vgpr_spill_count: 0
    .wavefront_size: 32
  - .args:
      - .offset:         0
        .size:           152
        .value_kind:     by_value
    .group_segment_fixed_size: 13320
    .kernarg_segment_align: 8
    .kernarg_segment_size: 152
    .language:       OpenCL C
    .language_version:
      - 2
      - 0
    .max_flat_workgroup_size: 256
    .name:           _ZN7rocprim17ROCPRIM_400000_NS6detail17trampoline_kernelINS0_13select_configILj256ELj13ELNS0_17block_load_methodE3ELS4_3ELS4_3ELNS0_20block_scan_algorithmE0ELj4294967295EEENS1_25partition_config_selectorILNS1_17partition_subalgoE3EjNS0_10empty_typeEbEEZZNS1_14partition_implILS8_3ELb0ES6_jNS0_17counting_iteratorIjlEEPS9_SE_NS0_5tupleIJPjSE_EEENSF_IJSE_SE_EEES9_SG_JZNS1_25segmented_radix_sort_implINS0_14default_configELb1EPKhPhPKlPlN2at6native12_GLOBAL__N_18offset_tEEE10hipError_tPvRmT1_PNSt15iterator_traitsISY_E10value_typeET2_T3_PNSZ_IS14_E10value_typeET4_jRbjT5_S1A_jjP12ihipStream_tbEUljE_EEESV_SW_SX_S14_S18_S1A_T6_T7_T9_mT8_S1C_bDpT10_ENKUlT_T0_E_clISt17integral_constantIbLb0EES1O_IbLb1EEEEDaS1K_S1L_EUlS1K_E_NS1_11comp_targetILNS1_3genE0ELNS1_11target_archE4294967295ELNS1_3gpuE0ELNS1_3repE0EEENS1_30default_config_static_selectorELNS0_4arch9wavefront6targetE0EEEvSY_
    .private_segment_fixed_size: 0
    .sgpr_count:     26
    .sgpr_spill_count: 0
    .symbol:         _ZN7rocprim17ROCPRIM_400000_NS6detail17trampoline_kernelINS0_13select_configILj256ELj13ELNS0_17block_load_methodE3ELS4_3ELS4_3ELNS0_20block_scan_algorithmE0ELj4294967295EEENS1_25partition_config_selectorILNS1_17partition_subalgoE3EjNS0_10empty_typeEbEEZZNS1_14partition_implILS8_3ELb0ES6_jNS0_17counting_iteratorIjlEEPS9_SE_NS0_5tupleIJPjSE_EEENSF_IJSE_SE_EEES9_SG_JZNS1_25segmented_radix_sort_implINS0_14default_configELb1EPKhPhPKlPlN2at6native12_GLOBAL__N_18offset_tEEE10hipError_tPvRmT1_PNSt15iterator_traitsISY_E10value_typeET2_T3_PNSZ_IS14_E10value_typeET4_jRbjT5_S1A_jjP12ihipStream_tbEUljE_EEESV_SW_SX_S14_S18_S1A_T6_T7_T9_mT8_S1C_bDpT10_ENKUlT_T0_E_clISt17integral_constantIbLb0EES1O_IbLb1EEEEDaS1K_S1L_EUlS1K_E_NS1_11comp_targetILNS1_3genE0ELNS1_11target_archE4294967295ELNS1_3gpuE0ELNS1_3repE0EEENS1_30default_config_static_selectorELNS0_4arch9wavefront6targetE0EEEvSY_.kd
    .uniform_work_group_size: 1
    .uses_dynamic_stack: false
    .vgpr_count:     72
    .vgpr_spill_count: 0
    .wavefront_size: 32
  - .args:
      - .offset:         0
        .size:           152
        .value_kind:     by_value
    .group_segment_fixed_size: 0
    .kernarg_segment_align: 8
    .kernarg_segment_size: 152
    .language:       OpenCL C
    .language_version:
      - 2
      - 0
    .max_flat_workgroup_size: 256
    .name:           _ZN7rocprim17ROCPRIM_400000_NS6detail17trampoline_kernelINS0_13select_configILj256ELj13ELNS0_17block_load_methodE3ELS4_3ELS4_3ELNS0_20block_scan_algorithmE0ELj4294967295EEENS1_25partition_config_selectorILNS1_17partition_subalgoE3EjNS0_10empty_typeEbEEZZNS1_14partition_implILS8_3ELb0ES6_jNS0_17counting_iteratorIjlEEPS9_SE_NS0_5tupleIJPjSE_EEENSF_IJSE_SE_EEES9_SG_JZNS1_25segmented_radix_sort_implINS0_14default_configELb1EPKhPhPKlPlN2at6native12_GLOBAL__N_18offset_tEEE10hipError_tPvRmT1_PNSt15iterator_traitsISY_E10value_typeET2_T3_PNSZ_IS14_E10value_typeET4_jRbjT5_S1A_jjP12ihipStream_tbEUljE_EEESV_SW_SX_S14_S18_S1A_T6_T7_T9_mT8_S1C_bDpT10_ENKUlT_T0_E_clISt17integral_constantIbLb0EES1O_IbLb1EEEEDaS1K_S1L_EUlS1K_E_NS1_11comp_targetILNS1_3genE5ELNS1_11target_archE942ELNS1_3gpuE9ELNS1_3repE0EEENS1_30default_config_static_selectorELNS0_4arch9wavefront6targetE0EEEvSY_
    .private_segment_fixed_size: 0
    .sgpr_count:     0
    .sgpr_spill_count: 0
    .symbol:         _ZN7rocprim17ROCPRIM_400000_NS6detail17trampoline_kernelINS0_13select_configILj256ELj13ELNS0_17block_load_methodE3ELS4_3ELS4_3ELNS0_20block_scan_algorithmE0ELj4294967295EEENS1_25partition_config_selectorILNS1_17partition_subalgoE3EjNS0_10empty_typeEbEEZZNS1_14partition_implILS8_3ELb0ES6_jNS0_17counting_iteratorIjlEEPS9_SE_NS0_5tupleIJPjSE_EEENSF_IJSE_SE_EEES9_SG_JZNS1_25segmented_radix_sort_implINS0_14default_configELb1EPKhPhPKlPlN2at6native12_GLOBAL__N_18offset_tEEE10hipError_tPvRmT1_PNSt15iterator_traitsISY_E10value_typeET2_T3_PNSZ_IS14_E10value_typeET4_jRbjT5_S1A_jjP12ihipStream_tbEUljE_EEESV_SW_SX_S14_S18_S1A_T6_T7_T9_mT8_S1C_bDpT10_ENKUlT_T0_E_clISt17integral_constantIbLb0EES1O_IbLb1EEEEDaS1K_S1L_EUlS1K_E_NS1_11comp_targetILNS1_3genE5ELNS1_11target_archE942ELNS1_3gpuE9ELNS1_3repE0EEENS1_30default_config_static_selectorELNS0_4arch9wavefront6targetE0EEEvSY_.kd
    .uniform_work_group_size: 1
    .uses_dynamic_stack: false
    .vgpr_count:     0
    .vgpr_spill_count: 0
    .wavefront_size: 32
  - .args:
      - .offset:         0
        .size:           152
        .value_kind:     by_value
    .group_segment_fixed_size: 0
    .kernarg_segment_align: 8
    .kernarg_segment_size: 152
    .language:       OpenCL C
    .language_version:
      - 2
      - 0
    .max_flat_workgroup_size: 256
    .name:           _ZN7rocprim17ROCPRIM_400000_NS6detail17trampoline_kernelINS0_13select_configILj256ELj13ELNS0_17block_load_methodE3ELS4_3ELS4_3ELNS0_20block_scan_algorithmE0ELj4294967295EEENS1_25partition_config_selectorILNS1_17partition_subalgoE3EjNS0_10empty_typeEbEEZZNS1_14partition_implILS8_3ELb0ES6_jNS0_17counting_iteratorIjlEEPS9_SE_NS0_5tupleIJPjSE_EEENSF_IJSE_SE_EEES9_SG_JZNS1_25segmented_radix_sort_implINS0_14default_configELb1EPKhPhPKlPlN2at6native12_GLOBAL__N_18offset_tEEE10hipError_tPvRmT1_PNSt15iterator_traitsISY_E10value_typeET2_T3_PNSZ_IS14_E10value_typeET4_jRbjT5_S1A_jjP12ihipStream_tbEUljE_EEESV_SW_SX_S14_S18_S1A_T6_T7_T9_mT8_S1C_bDpT10_ENKUlT_T0_E_clISt17integral_constantIbLb0EES1O_IbLb1EEEEDaS1K_S1L_EUlS1K_E_NS1_11comp_targetILNS1_3genE4ELNS1_11target_archE910ELNS1_3gpuE8ELNS1_3repE0EEENS1_30default_config_static_selectorELNS0_4arch9wavefront6targetE0EEEvSY_
    .private_segment_fixed_size: 0
    .sgpr_count:     0
    .sgpr_spill_count: 0
    .symbol:         _ZN7rocprim17ROCPRIM_400000_NS6detail17trampoline_kernelINS0_13select_configILj256ELj13ELNS0_17block_load_methodE3ELS4_3ELS4_3ELNS0_20block_scan_algorithmE0ELj4294967295EEENS1_25partition_config_selectorILNS1_17partition_subalgoE3EjNS0_10empty_typeEbEEZZNS1_14partition_implILS8_3ELb0ES6_jNS0_17counting_iteratorIjlEEPS9_SE_NS0_5tupleIJPjSE_EEENSF_IJSE_SE_EEES9_SG_JZNS1_25segmented_radix_sort_implINS0_14default_configELb1EPKhPhPKlPlN2at6native12_GLOBAL__N_18offset_tEEE10hipError_tPvRmT1_PNSt15iterator_traitsISY_E10value_typeET2_T3_PNSZ_IS14_E10value_typeET4_jRbjT5_S1A_jjP12ihipStream_tbEUljE_EEESV_SW_SX_S14_S18_S1A_T6_T7_T9_mT8_S1C_bDpT10_ENKUlT_T0_E_clISt17integral_constantIbLb0EES1O_IbLb1EEEEDaS1K_S1L_EUlS1K_E_NS1_11comp_targetILNS1_3genE4ELNS1_11target_archE910ELNS1_3gpuE8ELNS1_3repE0EEENS1_30default_config_static_selectorELNS0_4arch9wavefront6targetE0EEEvSY_.kd
    .uniform_work_group_size: 1
    .uses_dynamic_stack: false
    .vgpr_count:     0
    .vgpr_spill_count: 0
    .wavefront_size: 32
  - .args:
      - .offset:         0
        .size:           152
        .value_kind:     by_value
    .group_segment_fixed_size: 0
    .kernarg_segment_align: 8
    .kernarg_segment_size: 152
    .language:       OpenCL C
    .language_version:
      - 2
      - 0
    .max_flat_workgroup_size: 256
    .name:           _ZN7rocprim17ROCPRIM_400000_NS6detail17trampoline_kernelINS0_13select_configILj256ELj13ELNS0_17block_load_methodE3ELS4_3ELS4_3ELNS0_20block_scan_algorithmE0ELj4294967295EEENS1_25partition_config_selectorILNS1_17partition_subalgoE3EjNS0_10empty_typeEbEEZZNS1_14partition_implILS8_3ELb0ES6_jNS0_17counting_iteratorIjlEEPS9_SE_NS0_5tupleIJPjSE_EEENSF_IJSE_SE_EEES9_SG_JZNS1_25segmented_radix_sort_implINS0_14default_configELb1EPKhPhPKlPlN2at6native12_GLOBAL__N_18offset_tEEE10hipError_tPvRmT1_PNSt15iterator_traitsISY_E10value_typeET2_T3_PNSZ_IS14_E10value_typeET4_jRbjT5_S1A_jjP12ihipStream_tbEUljE_EEESV_SW_SX_S14_S18_S1A_T6_T7_T9_mT8_S1C_bDpT10_ENKUlT_T0_E_clISt17integral_constantIbLb0EES1O_IbLb1EEEEDaS1K_S1L_EUlS1K_E_NS1_11comp_targetILNS1_3genE3ELNS1_11target_archE908ELNS1_3gpuE7ELNS1_3repE0EEENS1_30default_config_static_selectorELNS0_4arch9wavefront6targetE0EEEvSY_
    .private_segment_fixed_size: 0
    .sgpr_count:     0
    .sgpr_spill_count: 0
    .symbol:         _ZN7rocprim17ROCPRIM_400000_NS6detail17trampoline_kernelINS0_13select_configILj256ELj13ELNS0_17block_load_methodE3ELS4_3ELS4_3ELNS0_20block_scan_algorithmE0ELj4294967295EEENS1_25partition_config_selectorILNS1_17partition_subalgoE3EjNS0_10empty_typeEbEEZZNS1_14partition_implILS8_3ELb0ES6_jNS0_17counting_iteratorIjlEEPS9_SE_NS0_5tupleIJPjSE_EEENSF_IJSE_SE_EEES9_SG_JZNS1_25segmented_radix_sort_implINS0_14default_configELb1EPKhPhPKlPlN2at6native12_GLOBAL__N_18offset_tEEE10hipError_tPvRmT1_PNSt15iterator_traitsISY_E10value_typeET2_T3_PNSZ_IS14_E10value_typeET4_jRbjT5_S1A_jjP12ihipStream_tbEUljE_EEESV_SW_SX_S14_S18_S1A_T6_T7_T9_mT8_S1C_bDpT10_ENKUlT_T0_E_clISt17integral_constantIbLb0EES1O_IbLb1EEEEDaS1K_S1L_EUlS1K_E_NS1_11comp_targetILNS1_3genE3ELNS1_11target_archE908ELNS1_3gpuE7ELNS1_3repE0EEENS1_30default_config_static_selectorELNS0_4arch9wavefront6targetE0EEEvSY_.kd
    .uniform_work_group_size: 1
    .uses_dynamic_stack: false
    .vgpr_count:     0
    .vgpr_spill_count: 0
    .wavefront_size: 32
  - .args:
      - .offset:         0
        .size:           152
        .value_kind:     by_value
    .group_segment_fixed_size: 0
    .kernarg_segment_align: 8
    .kernarg_segment_size: 152
    .language:       OpenCL C
    .language_version:
      - 2
      - 0
    .max_flat_workgroup_size: 256
    .name:           _ZN7rocprim17ROCPRIM_400000_NS6detail17trampoline_kernelINS0_13select_configILj256ELj13ELNS0_17block_load_methodE3ELS4_3ELS4_3ELNS0_20block_scan_algorithmE0ELj4294967295EEENS1_25partition_config_selectorILNS1_17partition_subalgoE3EjNS0_10empty_typeEbEEZZNS1_14partition_implILS8_3ELb0ES6_jNS0_17counting_iteratorIjlEEPS9_SE_NS0_5tupleIJPjSE_EEENSF_IJSE_SE_EEES9_SG_JZNS1_25segmented_radix_sort_implINS0_14default_configELb1EPKhPhPKlPlN2at6native12_GLOBAL__N_18offset_tEEE10hipError_tPvRmT1_PNSt15iterator_traitsISY_E10value_typeET2_T3_PNSZ_IS14_E10value_typeET4_jRbjT5_S1A_jjP12ihipStream_tbEUljE_EEESV_SW_SX_S14_S18_S1A_T6_T7_T9_mT8_S1C_bDpT10_ENKUlT_T0_E_clISt17integral_constantIbLb0EES1O_IbLb1EEEEDaS1K_S1L_EUlS1K_E_NS1_11comp_targetILNS1_3genE2ELNS1_11target_archE906ELNS1_3gpuE6ELNS1_3repE0EEENS1_30default_config_static_selectorELNS0_4arch9wavefront6targetE0EEEvSY_
    .private_segment_fixed_size: 0
    .sgpr_count:     0
    .sgpr_spill_count: 0
    .symbol:         _ZN7rocprim17ROCPRIM_400000_NS6detail17trampoline_kernelINS0_13select_configILj256ELj13ELNS0_17block_load_methodE3ELS4_3ELS4_3ELNS0_20block_scan_algorithmE0ELj4294967295EEENS1_25partition_config_selectorILNS1_17partition_subalgoE3EjNS0_10empty_typeEbEEZZNS1_14partition_implILS8_3ELb0ES6_jNS0_17counting_iteratorIjlEEPS9_SE_NS0_5tupleIJPjSE_EEENSF_IJSE_SE_EEES9_SG_JZNS1_25segmented_radix_sort_implINS0_14default_configELb1EPKhPhPKlPlN2at6native12_GLOBAL__N_18offset_tEEE10hipError_tPvRmT1_PNSt15iterator_traitsISY_E10value_typeET2_T3_PNSZ_IS14_E10value_typeET4_jRbjT5_S1A_jjP12ihipStream_tbEUljE_EEESV_SW_SX_S14_S18_S1A_T6_T7_T9_mT8_S1C_bDpT10_ENKUlT_T0_E_clISt17integral_constantIbLb0EES1O_IbLb1EEEEDaS1K_S1L_EUlS1K_E_NS1_11comp_targetILNS1_3genE2ELNS1_11target_archE906ELNS1_3gpuE6ELNS1_3repE0EEENS1_30default_config_static_selectorELNS0_4arch9wavefront6targetE0EEEvSY_.kd
    .uniform_work_group_size: 1
    .uses_dynamic_stack: false
    .vgpr_count:     0
    .vgpr_spill_count: 0
    .wavefront_size: 32
  - .args:
      - .offset:         0
        .size:           152
        .value_kind:     by_value
    .group_segment_fixed_size: 0
    .kernarg_segment_align: 8
    .kernarg_segment_size: 152
    .language:       OpenCL C
    .language_version:
      - 2
      - 0
    .max_flat_workgroup_size: 256
    .name:           _ZN7rocprim17ROCPRIM_400000_NS6detail17trampoline_kernelINS0_13select_configILj256ELj13ELNS0_17block_load_methodE3ELS4_3ELS4_3ELNS0_20block_scan_algorithmE0ELj4294967295EEENS1_25partition_config_selectorILNS1_17partition_subalgoE3EjNS0_10empty_typeEbEEZZNS1_14partition_implILS8_3ELb0ES6_jNS0_17counting_iteratorIjlEEPS9_SE_NS0_5tupleIJPjSE_EEENSF_IJSE_SE_EEES9_SG_JZNS1_25segmented_radix_sort_implINS0_14default_configELb1EPKhPhPKlPlN2at6native12_GLOBAL__N_18offset_tEEE10hipError_tPvRmT1_PNSt15iterator_traitsISY_E10value_typeET2_T3_PNSZ_IS14_E10value_typeET4_jRbjT5_S1A_jjP12ihipStream_tbEUljE_EEESV_SW_SX_S14_S18_S1A_T6_T7_T9_mT8_S1C_bDpT10_ENKUlT_T0_E_clISt17integral_constantIbLb0EES1O_IbLb1EEEEDaS1K_S1L_EUlS1K_E_NS1_11comp_targetILNS1_3genE10ELNS1_11target_archE1200ELNS1_3gpuE4ELNS1_3repE0EEENS1_30default_config_static_selectorELNS0_4arch9wavefront6targetE0EEEvSY_
    .private_segment_fixed_size: 0
    .sgpr_count:     0
    .sgpr_spill_count: 0
    .symbol:         _ZN7rocprim17ROCPRIM_400000_NS6detail17trampoline_kernelINS0_13select_configILj256ELj13ELNS0_17block_load_methodE3ELS4_3ELS4_3ELNS0_20block_scan_algorithmE0ELj4294967295EEENS1_25partition_config_selectorILNS1_17partition_subalgoE3EjNS0_10empty_typeEbEEZZNS1_14partition_implILS8_3ELb0ES6_jNS0_17counting_iteratorIjlEEPS9_SE_NS0_5tupleIJPjSE_EEENSF_IJSE_SE_EEES9_SG_JZNS1_25segmented_radix_sort_implINS0_14default_configELb1EPKhPhPKlPlN2at6native12_GLOBAL__N_18offset_tEEE10hipError_tPvRmT1_PNSt15iterator_traitsISY_E10value_typeET2_T3_PNSZ_IS14_E10value_typeET4_jRbjT5_S1A_jjP12ihipStream_tbEUljE_EEESV_SW_SX_S14_S18_S1A_T6_T7_T9_mT8_S1C_bDpT10_ENKUlT_T0_E_clISt17integral_constantIbLb0EES1O_IbLb1EEEEDaS1K_S1L_EUlS1K_E_NS1_11comp_targetILNS1_3genE10ELNS1_11target_archE1200ELNS1_3gpuE4ELNS1_3repE0EEENS1_30default_config_static_selectorELNS0_4arch9wavefront6targetE0EEEvSY_.kd
    .uniform_work_group_size: 1
    .uses_dynamic_stack: false
    .vgpr_count:     0
    .vgpr_spill_count: 0
    .wavefront_size: 32
  - .args:
      - .offset:         0
        .size:           152
        .value_kind:     by_value
    .group_segment_fixed_size: 0
    .kernarg_segment_align: 8
    .kernarg_segment_size: 152
    .language:       OpenCL C
    .language_version:
      - 2
      - 0
    .max_flat_workgroup_size: 256
    .name:           _ZN7rocprim17ROCPRIM_400000_NS6detail17trampoline_kernelINS0_13select_configILj256ELj13ELNS0_17block_load_methodE3ELS4_3ELS4_3ELNS0_20block_scan_algorithmE0ELj4294967295EEENS1_25partition_config_selectorILNS1_17partition_subalgoE3EjNS0_10empty_typeEbEEZZNS1_14partition_implILS8_3ELb0ES6_jNS0_17counting_iteratorIjlEEPS9_SE_NS0_5tupleIJPjSE_EEENSF_IJSE_SE_EEES9_SG_JZNS1_25segmented_radix_sort_implINS0_14default_configELb1EPKhPhPKlPlN2at6native12_GLOBAL__N_18offset_tEEE10hipError_tPvRmT1_PNSt15iterator_traitsISY_E10value_typeET2_T3_PNSZ_IS14_E10value_typeET4_jRbjT5_S1A_jjP12ihipStream_tbEUljE_EEESV_SW_SX_S14_S18_S1A_T6_T7_T9_mT8_S1C_bDpT10_ENKUlT_T0_E_clISt17integral_constantIbLb0EES1O_IbLb1EEEEDaS1K_S1L_EUlS1K_E_NS1_11comp_targetILNS1_3genE9ELNS1_11target_archE1100ELNS1_3gpuE3ELNS1_3repE0EEENS1_30default_config_static_selectorELNS0_4arch9wavefront6targetE0EEEvSY_
    .private_segment_fixed_size: 0
    .sgpr_count:     0
    .sgpr_spill_count: 0
    .symbol:         _ZN7rocprim17ROCPRIM_400000_NS6detail17trampoline_kernelINS0_13select_configILj256ELj13ELNS0_17block_load_methodE3ELS4_3ELS4_3ELNS0_20block_scan_algorithmE0ELj4294967295EEENS1_25partition_config_selectorILNS1_17partition_subalgoE3EjNS0_10empty_typeEbEEZZNS1_14partition_implILS8_3ELb0ES6_jNS0_17counting_iteratorIjlEEPS9_SE_NS0_5tupleIJPjSE_EEENSF_IJSE_SE_EEES9_SG_JZNS1_25segmented_radix_sort_implINS0_14default_configELb1EPKhPhPKlPlN2at6native12_GLOBAL__N_18offset_tEEE10hipError_tPvRmT1_PNSt15iterator_traitsISY_E10value_typeET2_T3_PNSZ_IS14_E10value_typeET4_jRbjT5_S1A_jjP12ihipStream_tbEUljE_EEESV_SW_SX_S14_S18_S1A_T6_T7_T9_mT8_S1C_bDpT10_ENKUlT_T0_E_clISt17integral_constantIbLb0EES1O_IbLb1EEEEDaS1K_S1L_EUlS1K_E_NS1_11comp_targetILNS1_3genE9ELNS1_11target_archE1100ELNS1_3gpuE3ELNS1_3repE0EEENS1_30default_config_static_selectorELNS0_4arch9wavefront6targetE0EEEvSY_.kd
    .uniform_work_group_size: 1
    .uses_dynamic_stack: false
    .vgpr_count:     0
    .vgpr_spill_count: 0
    .wavefront_size: 32
  - .args:
      - .offset:         0
        .size:           152
        .value_kind:     by_value
    .group_segment_fixed_size: 0
    .kernarg_segment_align: 8
    .kernarg_segment_size: 152
    .language:       OpenCL C
    .language_version:
      - 2
      - 0
    .max_flat_workgroup_size: 256
    .name:           _ZN7rocprim17ROCPRIM_400000_NS6detail17trampoline_kernelINS0_13select_configILj256ELj13ELNS0_17block_load_methodE3ELS4_3ELS4_3ELNS0_20block_scan_algorithmE0ELj4294967295EEENS1_25partition_config_selectorILNS1_17partition_subalgoE3EjNS0_10empty_typeEbEEZZNS1_14partition_implILS8_3ELb0ES6_jNS0_17counting_iteratorIjlEEPS9_SE_NS0_5tupleIJPjSE_EEENSF_IJSE_SE_EEES9_SG_JZNS1_25segmented_radix_sort_implINS0_14default_configELb1EPKhPhPKlPlN2at6native12_GLOBAL__N_18offset_tEEE10hipError_tPvRmT1_PNSt15iterator_traitsISY_E10value_typeET2_T3_PNSZ_IS14_E10value_typeET4_jRbjT5_S1A_jjP12ihipStream_tbEUljE_EEESV_SW_SX_S14_S18_S1A_T6_T7_T9_mT8_S1C_bDpT10_ENKUlT_T0_E_clISt17integral_constantIbLb0EES1O_IbLb1EEEEDaS1K_S1L_EUlS1K_E_NS1_11comp_targetILNS1_3genE8ELNS1_11target_archE1030ELNS1_3gpuE2ELNS1_3repE0EEENS1_30default_config_static_selectorELNS0_4arch9wavefront6targetE0EEEvSY_
    .private_segment_fixed_size: 0
    .sgpr_count:     0
    .sgpr_spill_count: 0
    .symbol:         _ZN7rocprim17ROCPRIM_400000_NS6detail17trampoline_kernelINS0_13select_configILj256ELj13ELNS0_17block_load_methodE3ELS4_3ELS4_3ELNS0_20block_scan_algorithmE0ELj4294967295EEENS1_25partition_config_selectorILNS1_17partition_subalgoE3EjNS0_10empty_typeEbEEZZNS1_14partition_implILS8_3ELb0ES6_jNS0_17counting_iteratorIjlEEPS9_SE_NS0_5tupleIJPjSE_EEENSF_IJSE_SE_EEES9_SG_JZNS1_25segmented_radix_sort_implINS0_14default_configELb1EPKhPhPKlPlN2at6native12_GLOBAL__N_18offset_tEEE10hipError_tPvRmT1_PNSt15iterator_traitsISY_E10value_typeET2_T3_PNSZ_IS14_E10value_typeET4_jRbjT5_S1A_jjP12ihipStream_tbEUljE_EEESV_SW_SX_S14_S18_S1A_T6_T7_T9_mT8_S1C_bDpT10_ENKUlT_T0_E_clISt17integral_constantIbLb0EES1O_IbLb1EEEEDaS1K_S1L_EUlS1K_E_NS1_11comp_targetILNS1_3genE8ELNS1_11target_archE1030ELNS1_3gpuE2ELNS1_3repE0EEENS1_30default_config_static_selectorELNS0_4arch9wavefront6targetE0EEEvSY_.kd
    .uniform_work_group_size: 1
    .uses_dynamic_stack: false
    .vgpr_count:     0
    .vgpr_spill_count: 0
    .wavefront_size: 32
  - .args:
      - .offset:         0
        .size:           96
        .value_kind:     by_value
      - .offset:         96
        .size:           4
        .value_kind:     hidden_block_count_x
      - .offset:         100
        .size:           4
        .value_kind:     hidden_block_count_y
      - .offset:         104
        .size:           4
        .value_kind:     hidden_block_count_z
      - .offset:         108
        .size:           2
        .value_kind:     hidden_group_size_x
      - .offset:         110
        .size:           2
        .value_kind:     hidden_group_size_y
      - .offset:         112
        .size:           2
        .value_kind:     hidden_group_size_z
      - .offset:         114
        .size:           2
        .value_kind:     hidden_remainder_x
      - .offset:         116
        .size:           2
        .value_kind:     hidden_remainder_y
      - .offset:         118
        .size:           2
        .value_kind:     hidden_remainder_z
      - .offset:         136
        .size:           8
        .value_kind:     hidden_global_offset_x
      - .offset:         144
        .size:           8
        .value_kind:     hidden_global_offset_y
      - .offset:         152
        .size:           8
        .value_kind:     hidden_global_offset_z
      - .offset:         160
        .size:           2
        .value_kind:     hidden_grid_dims
      - .offset:         176
        .size:           8
        .value_kind:     hidden_hostcall_buffer
      - .offset:         184
        .size:           8
        .value_kind:     hidden_multigrid_sync_arg
      - .offset:         192
        .size:           8
        .value_kind:     hidden_heap_v1
      - .offset:         200
        .size:           8
        .value_kind:     hidden_default_queue
      - .offset:         208
        .size:           8
        .value_kind:     hidden_completion_action
      - .offset:         296
        .size:           8
        .value_kind:     hidden_queue_ptr
    .group_segment_fixed_size: 35344
    .kernarg_segment_align: 8
    .kernarg_segment_size: 352
    .language:       OpenCL C
    .language_version:
      - 2
      - 0
    .max_flat_workgroup_size: 256
    .name:           _ZN7rocprim17ROCPRIM_400000_NS6detail17trampoline_kernelINS0_14default_configENS1_36segmented_radix_sort_config_selectorIhlEEZNS1_25segmented_radix_sort_implIS3_Lb1EPKhPhPKlPlN2at6native12_GLOBAL__N_18offset_tEEE10hipError_tPvRmT1_PNSt15iterator_traitsISK_E10value_typeET2_T3_PNSL_ISQ_E10value_typeET4_jRbjT5_SW_jjP12ihipStream_tbEUlT_E_NS1_11comp_targetILNS1_3genE0ELNS1_11target_archE4294967295ELNS1_3gpuE0ELNS1_3repE0EEENS1_30default_config_static_selectorELNS0_4arch9wavefront6targetE0EEEvSK_
    .private_segment_fixed_size: 0
    .sgpr_count:     63
    .sgpr_spill_count: 0
    .symbol:         _ZN7rocprim17ROCPRIM_400000_NS6detail17trampoline_kernelINS0_14default_configENS1_36segmented_radix_sort_config_selectorIhlEEZNS1_25segmented_radix_sort_implIS3_Lb1EPKhPhPKlPlN2at6native12_GLOBAL__N_18offset_tEEE10hipError_tPvRmT1_PNSt15iterator_traitsISK_E10value_typeET2_T3_PNSL_ISQ_E10value_typeET4_jRbjT5_SW_jjP12ihipStream_tbEUlT_E_NS1_11comp_targetILNS1_3genE0ELNS1_11target_archE4294967295ELNS1_3gpuE0ELNS1_3repE0EEENS1_30default_config_static_selectorELNS0_4arch9wavefront6targetE0EEEvSK_.kd
    .uniform_work_group_size: 1
    .uses_dynamic_stack: false
    .vgpr_count:     315
    .vgpr_spill_count: 0
    .wavefront_size: 32
  - .args:
      - .offset:         0
        .size:           96
        .value_kind:     by_value
    .group_segment_fixed_size: 0
    .kernarg_segment_align: 8
    .kernarg_segment_size: 96
    .language:       OpenCL C
    .language_version:
      - 2
      - 0
    .max_flat_workgroup_size: 256
    .name:           _ZN7rocprim17ROCPRIM_400000_NS6detail17trampoline_kernelINS0_14default_configENS1_36segmented_radix_sort_config_selectorIhlEEZNS1_25segmented_radix_sort_implIS3_Lb1EPKhPhPKlPlN2at6native12_GLOBAL__N_18offset_tEEE10hipError_tPvRmT1_PNSt15iterator_traitsISK_E10value_typeET2_T3_PNSL_ISQ_E10value_typeET4_jRbjT5_SW_jjP12ihipStream_tbEUlT_E_NS1_11comp_targetILNS1_3genE5ELNS1_11target_archE942ELNS1_3gpuE9ELNS1_3repE0EEENS1_30default_config_static_selectorELNS0_4arch9wavefront6targetE0EEEvSK_
    .private_segment_fixed_size: 0
    .sgpr_count:     0
    .sgpr_spill_count: 0
    .symbol:         _ZN7rocprim17ROCPRIM_400000_NS6detail17trampoline_kernelINS0_14default_configENS1_36segmented_radix_sort_config_selectorIhlEEZNS1_25segmented_radix_sort_implIS3_Lb1EPKhPhPKlPlN2at6native12_GLOBAL__N_18offset_tEEE10hipError_tPvRmT1_PNSt15iterator_traitsISK_E10value_typeET2_T3_PNSL_ISQ_E10value_typeET4_jRbjT5_SW_jjP12ihipStream_tbEUlT_E_NS1_11comp_targetILNS1_3genE5ELNS1_11target_archE942ELNS1_3gpuE9ELNS1_3repE0EEENS1_30default_config_static_selectorELNS0_4arch9wavefront6targetE0EEEvSK_.kd
    .uniform_work_group_size: 1
    .uses_dynamic_stack: false
    .vgpr_count:     0
    .vgpr_spill_count: 0
    .wavefront_size: 32
  - .args:
      - .offset:         0
        .size:           96
        .value_kind:     by_value
    .group_segment_fixed_size: 0
    .kernarg_segment_align: 8
    .kernarg_segment_size: 96
    .language:       OpenCL C
    .language_version:
      - 2
      - 0
    .max_flat_workgroup_size: 256
    .name:           _ZN7rocprim17ROCPRIM_400000_NS6detail17trampoline_kernelINS0_14default_configENS1_36segmented_radix_sort_config_selectorIhlEEZNS1_25segmented_radix_sort_implIS3_Lb1EPKhPhPKlPlN2at6native12_GLOBAL__N_18offset_tEEE10hipError_tPvRmT1_PNSt15iterator_traitsISK_E10value_typeET2_T3_PNSL_ISQ_E10value_typeET4_jRbjT5_SW_jjP12ihipStream_tbEUlT_E_NS1_11comp_targetILNS1_3genE4ELNS1_11target_archE910ELNS1_3gpuE8ELNS1_3repE0EEENS1_30default_config_static_selectorELNS0_4arch9wavefront6targetE0EEEvSK_
    .private_segment_fixed_size: 0
    .sgpr_count:     0
    .sgpr_spill_count: 0
    .symbol:         _ZN7rocprim17ROCPRIM_400000_NS6detail17trampoline_kernelINS0_14default_configENS1_36segmented_radix_sort_config_selectorIhlEEZNS1_25segmented_radix_sort_implIS3_Lb1EPKhPhPKlPlN2at6native12_GLOBAL__N_18offset_tEEE10hipError_tPvRmT1_PNSt15iterator_traitsISK_E10value_typeET2_T3_PNSL_ISQ_E10value_typeET4_jRbjT5_SW_jjP12ihipStream_tbEUlT_E_NS1_11comp_targetILNS1_3genE4ELNS1_11target_archE910ELNS1_3gpuE8ELNS1_3repE0EEENS1_30default_config_static_selectorELNS0_4arch9wavefront6targetE0EEEvSK_.kd
    .uniform_work_group_size: 1
    .uses_dynamic_stack: false
    .vgpr_count:     0
    .vgpr_spill_count: 0
    .wavefront_size: 32
  - .args:
      - .offset:         0
        .size:           96
        .value_kind:     by_value
    .group_segment_fixed_size: 0
    .kernarg_segment_align: 8
    .kernarg_segment_size: 96
    .language:       OpenCL C
    .language_version:
      - 2
      - 0
    .max_flat_workgroup_size: 256
    .name:           _ZN7rocprim17ROCPRIM_400000_NS6detail17trampoline_kernelINS0_14default_configENS1_36segmented_radix_sort_config_selectorIhlEEZNS1_25segmented_radix_sort_implIS3_Lb1EPKhPhPKlPlN2at6native12_GLOBAL__N_18offset_tEEE10hipError_tPvRmT1_PNSt15iterator_traitsISK_E10value_typeET2_T3_PNSL_ISQ_E10value_typeET4_jRbjT5_SW_jjP12ihipStream_tbEUlT_E_NS1_11comp_targetILNS1_3genE3ELNS1_11target_archE908ELNS1_3gpuE7ELNS1_3repE0EEENS1_30default_config_static_selectorELNS0_4arch9wavefront6targetE0EEEvSK_
    .private_segment_fixed_size: 0
    .sgpr_count:     0
    .sgpr_spill_count: 0
    .symbol:         _ZN7rocprim17ROCPRIM_400000_NS6detail17trampoline_kernelINS0_14default_configENS1_36segmented_radix_sort_config_selectorIhlEEZNS1_25segmented_radix_sort_implIS3_Lb1EPKhPhPKlPlN2at6native12_GLOBAL__N_18offset_tEEE10hipError_tPvRmT1_PNSt15iterator_traitsISK_E10value_typeET2_T3_PNSL_ISQ_E10value_typeET4_jRbjT5_SW_jjP12ihipStream_tbEUlT_E_NS1_11comp_targetILNS1_3genE3ELNS1_11target_archE908ELNS1_3gpuE7ELNS1_3repE0EEENS1_30default_config_static_selectorELNS0_4arch9wavefront6targetE0EEEvSK_.kd
    .uniform_work_group_size: 1
    .uses_dynamic_stack: false
    .vgpr_count:     0
    .vgpr_spill_count: 0
    .wavefront_size: 32
  - .args:
      - .offset:         0
        .size:           96
        .value_kind:     by_value
    .group_segment_fixed_size: 0
    .kernarg_segment_align: 8
    .kernarg_segment_size: 96
    .language:       OpenCL C
    .language_version:
      - 2
      - 0
    .max_flat_workgroup_size: 256
    .name:           _ZN7rocprim17ROCPRIM_400000_NS6detail17trampoline_kernelINS0_14default_configENS1_36segmented_radix_sort_config_selectorIhlEEZNS1_25segmented_radix_sort_implIS3_Lb1EPKhPhPKlPlN2at6native12_GLOBAL__N_18offset_tEEE10hipError_tPvRmT1_PNSt15iterator_traitsISK_E10value_typeET2_T3_PNSL_ISQ_E10value_typeET4_jRbjT5_SW_jjP12ihipStream_tbEUlT_E_NS1_11comp_targetILNS1_3genE2ELNS1_11target_archE906ELNS1_3gpuE6ELNS1_3repE0EEENS1_30default_config_static_selectorELNS0_4arch9wavefront6targetE0EEEvSK_
    .private_segment_fixed_size: 0
    .sgpr_count:     0
    .sgpr_spill_count: 0
    .symbol:         _ZN7rocprim17ROCPRIM_400000_NS6detail17trampoline_kernelINS0_14default_configENS1_36segmented_radix_sort_config_selectorIhlEEZNS1_25segmented_radix_sort_implIS3_Lb1EPKhPhPKlPlN2at6native12_GLOBAL__N_18offset_tEEE10hipError_tPvRmT1_PNSt15iterator_traitsISK_E10value_typeET2_T3_PNSL_ISQ_E10value_typeET4_jRbjT5_SW_jjP12ihipStream_tbEUlT_E_NS1_11comp_targetILNS1_3genE2ELNS1_11target_archE906ELNS1_3gpuE6ELNS1_3repE0EEENS1_30default_config_static_selectorELNS0_4arch9wavefront6targetE0EEEvSK_.kd
    .uniform_work_group_size: 1
    .uses_dynamic_stack: false
    .vgpr_count:     0
    .vgpr_spill_count: 0
    .wavefront_size: 32
  - .args:
      - .offset:         0
        .size:           96
        .value_kind:     by_value
    .group_segment_fixed_size: 0
    .kernarg_segment_align: 8
    .kernarg_segment_size: 96
    .language:       OpenCL C
    .language_version:
      - 2
      - 0
    .max_flat_workgroup_size: 256
    .name:           _ZN7rocprim17ROCPRIM_400000_NS6detail17trampoline_kernelINS0_14default_configENS1_36segmented_radix_sort_config_selectorIhlEEZNS1_25segmented_radix_sort_implIS3_Lb1EPKhPhPKlPlN2at6native12_GLOBAL__N_18offset_tEEE10hipError_tPvRmT1_PNSt15iterator_traitsISK_E10value_typeET2_T3_PNSL_ISQ_E10value_typeET4_jRbjT5_SW_jjP12ihipStream_tbEUlT_E_NS1_11comp_targetILNS1_3genE10ELNS1_11target_archE1201ELNS1_3gpuE5ELNS1_3repE0EEENS1_30default_config_static_selectorELNS0_4arch9wavefront6targetE0EEEvSK_
    .private_segment_fixed_size: 0
    .sgpr_count:     0
    .sgpr_spill_count: 0
    .symbol:         _ZN7rocprim17ROCPRIM_400000_NS6detail17trampoline_kernelINS0_14default_configENS1_36segmented_radix_sort_config_selectorIhlEEZNS1_25segmented_radix_sort_implIS3_Lb1EPKhPhPKlPlN2at6native12_GLOBAL__N_18offset_tEEE10hipError_tPvRmT1_PNSt15iterator_traitsISK_E10value_typeET2_T3_PNSL_ISQ_E10value_typeET4_jRbjT5_SW_jjP12ihipStream_tbEUlT_E_NS1_11comp_targetILNS1_3genE10ELNS1_11target_archE1201ELNS1_3gpuE5ELNS1_3repE0EEENS1_30default_config_static_selectorELNS0_4arch9wavefront6targetE0EEEvSK_.kd
    .uniform_work_group_size: 1
    .uses_dynamic_stack: false
    .vgpr_count:     0
    .vgpr_spill_count: 0
    .wavefront_size: 32
  - .args:
      - .offset:         0
        .size:           96
        .value_kind:     by_value
    .group_segment_fixed_size: 0
    .kernarg_segment_align: 8
    .kernarg_segment_size: 96
    .language:       OpenCL C
    .language_version:
      - 2
      - 0
    .max_flat_workgroup_size: 128
    .name:           _ZN7rocprim17ROCPRIM_400000_NS6detail17trampoline_kernelINS0_14default_configENS1_36segmented_radix_sort_config_selectorIhlEEZNS1_25segmented_radix_sort_implIS3_Lb1EPKhPhPKlPlN2at6native12_GLOBAL__N_18offset_tEEE10hipError_tPvRmT1_PNSt15iterator_traitsISK_E10value_typeET2_T3_PNSL_ISQ_E10value_typeET4_jRbjT5_SW_jjP12ihipStream_tbEUlT_E_NS1_11comp_targetILNS1_3genE10ELNS1_11target_archE1200ELNS1_3gpuE4ELNS1_3repE0EEENS1_30default_config_static_selectorELNS0_4arch9wavefront6targetE0EEEvSK_
    .private_segment_fixed_size: 0
    .sgpr_count:     0
    .sgpr_spill_count: 0
    .symbol:         _ZN7rocprim17ROCPRIM_400000_NS6detail17trampoline_kernelINS0_14default_configENS1_36segmented_radix_sort_config_selectorIhlEEZNS1_25segmented_radix_sort_implIS3_Lb1EPKhPhPKlPlN2at6native12_GLOBAL__N_18offset_tEEE10hipError_tPvRmT1_PNSt15iterator_traitsISK_E10value_typeET2_T3_PNSL_ISQ_E10value_typeET4_jRbjT5_SW_jjP12ihipStream_tbEUlT_E_NS1_11comp_targetILNS1_3genE10ELNS1_11target_archE1200ELNS1_3gpuE4ELNS1_3repE0EEENS1_30default_config_static_selectorELNS0_4arch9wavefront6targetE0EEEvSK_.kd
    .uniform_work_group_size: 1
    .uses_dynamic_stack: false
    .vgpr_count:     0
    .vgpr_spill_count: 0
    .wavefront_size: 32
  - .args:
      - .offset:         0
        .size:           96
        .value_kind:     by_value
    .group_segment_fixed_size: 0
    .kernarg_segment_align: 8
    .kernarg_segment_size: 96
    .language:       OpenCL C
    .language_version:
      - 2
      - 0
    .max_flat_workgroup_size: 256
    .name:           _ZN7rocprim17ROCPRIM_400000_NS6detail17trampoline_kernelINS0_14default_configENS1_36segmented_radix_sort_config_selectorIhlEEZNS1_25segmented_radix_sort_implIS3_Lb1EPKhPhPKlPlN2at6native12_GLOBAL__N_18offset_tEEE10hipError_tPvRmT1_PNSt15iterator_traitsISK_E10value_typeET2_T3_PNSL_ISQ_E10value_typeET4_jRbjT5_SW_jjP12ihipStream_tbEUlT_E_NS1_11comp_targetILNS1_3genE9ELNS1_11target_archE1100ELNS1_3gpuE3ELNS1_3repE0EEENS1_30default_config_static_selectorELNS0_4arch9wavefront6targetE0EEEvSK_
    .private_segment_fixed_size: 0
    .sgpr_count:     0
    .sgpr_spill_count: 0
    .symbol:         _ZN7rocprim17ROCPRIM_400000_NS6detail17trampoline_kernelINS0_14default_configENS1_36segmented_radix_sort_config_selectorIhlEEZNS1_25segmented_radix_sort_implIS3_Lb1EPKhPhPKlPlN2at6native12_GLOBAL__N_18offset_tEEE10hipError_tPvRmT1_PNSt15iterator_traitsISK_E10value_typeET2_T3_PNSL_ISQ_E10value_typeET4_jRbjT5_SW_jjP12ihipStream_tbEUlT_E_NS1_11comp_targetILNS1_3genE9ELNS1_11target_archE1100ELNS1_3gpuE3ELNS1_3repE0EEENS1_30default_config_static_selectorELNS0_4arch9wavefront6targetE0EEEvSK_.kd
    .uniform_work_group_size: 1
    .uses_dynamic_stack: false
    .vgpr_count:     0
    .vgpr_spill_count: 0
    .wavefront_size: 32
  - .args:
      - .offset:         0
        .size:           96
        .value_kind:     by_value
    .group_segment_fixed_size: 0
    .kernarg_segment_align: 8
    .kernarg_segment_size: 96
    .language:       OpenCL C
    .language_version:
      - 2
      - 0
    .max_flat_workgroup_size: 256
    .name:           _ZN7rocprim17ROCPRIM_400000_NS6detail17trampoline_kernelINS0_14default_configENS1_36segmented_radix_sort_config_selectorIhlEEZNS1_25segmented_radix_sort_implIS3_Lb1EPKhPhPKlPlN2at6native12_GLOBAL__N_18offset_tEEE10hipError_tPvRmT1_PNSt15iterator_traitsISK_E10value_typeET2_T3_PNSL_ISQ_E10value_typeET4_jRbjT5_SW_jjP12ihipStream_tbEUlT_E_NS1_11comp_targetILNS1_3genE8ELNS1_11target_archE1030ELNS1_3gpuE2ELNS1_3repE0EEENS1_30default_config_static_selectorELNS0_4arch9wavefront6targetE0EEEvSK_
    .private_segment_fixed_size: 0
    .sgpr_count:     0
    .sgpr_spill_count: 0
    .symbol:         _ZN7rocprim17ROCPRIM_400000_NS6detail17trampoline_kernelINS0_14default_configENS1_36segmented_radix_sort_config_selectorIhlEEZNS1_25segmented_radix_sort_implIS3_Lb1EPKhPhPKlPlN2at6native12_GLOBAL__N_18offset_tEEE10hipError_tPvRmT1_PNSt15iterator_traitsISK_E10value_typeET2_T3_PNSL_ISQ_E10value_typeET4_jRbjT5_SW_jjP12ihipStream_tbEUlT_E_NS1_11comp_targetILNS1_3genE8ELNS1_11target_archE1030ELNS1_3gpuE2ELNS1_3repE0EEENS1_30default_config_static_selectorELNS0_4arch9wavefront6targetE0EEEvSK_.kd
    .uniform_work_group_size: 1
    .uses_dynamic_stack: false
    .vgpr_count:     0
    .vgpr_spill_count: 0
    .wavefront_size: 32
  - .args:
      - .offset:         0
        .size:           88
        .value_kind:     by_value
      - .offset:         88
        .size:           4
        .value_kind:     hidden_block_count_x
      - .offset:         92
        .size:           4
        .value_kind:     hidden_block_count_y
      - .offset:         96
        .size:           4
        .value_kind:     hidden_block_count_z
      - .offset:         100
        .size:           2
        .value_kind:     hidden_group_size_x
      - .offset:         102
        .size:           2
        .value_kind:     hidden_group_size_y
      - .offset:         104
        .size:           2
        .value_kind:     hidden_group_size_z
      - .offset:         106
        .size:           2
        .value_kind:     hidden_remainder_x
      - .offset:         108
        .size:           2
        .value_kind:     hidden_remainder_y
      - .offset:         110
        .size:           2
        .value_kind:     hidden_remainder_z
      - .offset:         128
        .size:           8
        .value_kind:     hidden_global_offset_x
      - .offset:         136
        .size:           8
        .value_kind:     hidden_global_offset_y
      - .offset:         144
        .size:           8
        .value_kind:     hidden_global_offset_z
      - .offset:         152
        .size:           2
        .value_kind:     hidden_grid_dims
      - .offset:         168
        .size:           8
        .value_kind:     hidden_hostcall_buffer
      - .offset:         176
        .size:           8
        .value_kind:     hidden_multigrid_sync_arg
      - .offset:         184
        .size:           8
        .value_kind:     hidden_heap_v1
      - .offset:         192
        .size:           8
        .value_kind:     hidden_default_queue
      - .offset:         200
        .size:           8
        .value_kind:     hidden_completion_action
      - .offset:         288
        .size:           8
        .value_kind:     hidden_queue_ptr
    .group_segment_fixed_size: 9216
    .kernarg_segment_align: 8
    .kernarg_segment_size: 344
    .language:       OpenCL C
    .language_version:
      - 2
      - 0
    .max_flat_workgroup_size: 256
    .name:           _ZN7rocprim17ROCPRIM_400000_NS6detail17trampoline_kernelINS0_14default_configENS1_36segmented_radix_sort_config_selectorIhlEEZNS1_25segmented_radix_sort_implIS3_Lb1EPKhPhPKlPlN2at6native12_GLOBAL__N_18offset_tEEE10hipError_tPvRmT1_PNSt15iterator_traitsISK_E10value_typeET2_T3_PNSL_ISQ_E10value_typeET4_jRbjT5_SW_jjP12ihipStream_tbEUlT_E0_NS1_11comp_targetILNS1_3genE0ELNS1_11target_archE4294967295ELNS1_3gpuE0ELNS1_3repE0EEENS1_60segmented_radix_sort_warp_sort_medium_config_static_selectorELNS0_4arch9wavefront6targetE0EEEvSK_
    .private_segment_fixed_size: 0
    .sgpr_count:     42
    .sgpr_spill_count: 0
    .symbol:         _ZN7rocprim17ROCPRIM_400000_NS6detail17trampoline_kernelINS0_14default_configENS1_36segmented_radix_sort_config_selectorIhlEEZNS1_25segmented_radix_sort_implIS3_Lb1EPKhPhPKlPlN2at6native12_GLOBAL__N_18offset_tEEE10hipError_tPvRmT1_PNSt15iterator_traitsISK_E10value_typeET2_T3_PNSL_ISQ_E10value_typeET4_jRbjT5_SW_jjP12ihipStream_tbEUlT_E0_NS1_11comp_targetILNS1_3genE0ELNS1_11target_archE4294967295ELNS1_3gpuE0ELNS1_3repE0EEENS1_60segmented_radix_sort_warp_sort_medium_config_static_selectorELNS0_4arch9wavefront6targetE0EEEvSK_.kd
    .uniform_work_group_size: 1
    .uses_dynamic_stack: false
    .vgpr_count:     55
    .vgpr_spill_count: 0
    .wavefront_size: 32
  - .args:
      - .offset:         0
        .size:           88
        .value_kind:     by_value
    .group_segment_fixed_size: 0
    .kernarg_segment_align: 8
    .kernarg_segment_size: 88
    .language:       OpenCL C
    .language_version:
      - 2
      - 0
    .max_flat_workgroup_size: 256
    .name:           _ZN7rocprim17ROCPRIM_400000_NS6detail17trampoline_kernelINS0_14default_configENS1_36segmented_radix_sort_config_selectorIhlEEZNS1_25segmented_radix_sort_implIS3_Lb1EPKhPhPKlPlN2at6native12_GLOBAL__N_18offset_tEEE10hipError_tPvRmT1_PNSt15iterator_traitsISK_E10value_typeET2_T3_PNSL_ISQ_E10value_typeET4_jRbjT5_SW_jjP12ihipStream_tbEUlT_E0_NS1_11comp_targetILNS1_3genE5ELNS1_11target_archE942ELNS1_3gpuE9ELNS1_3repE0EEENS1_60segmented_radix_sort_warp_sort_medium_config_static_selectorELNS0_4arch9wavefront6targetE0EEEvSK_
    .private_segment_fixed_size: 0
    .sgpr_count:     0
    .sgpr_spill_count: 0
    .symbol:         _ZN7rocprim17ROCPRIM_400000_NS6detail17trampoline_kernelINS0_14default_configENS1_36segmented_radix_sort_config_selectorIhlEEZNS1_25segmented_radix_sort_implIS3_Lb1EPKhPhPKlPlN2at6native12_GLOBAL__N_18offset_tEEE10hipError_tPvRmT1_PNSt15iterator_traitsISK_E10value_typeET2_T3_PNSL_ISQ_E10value_typeET4_jRbjT5_SW_jjP12ihipStream_tbEUlT_E0_NS1_11comp_targetILNS1_3genE5ELNS1_11target_archE942ELNS1_3gpuE9ELNS1_3repE0EEENS1_60segmented_radix_sort_warp_sort_medium_config_static_selectorELNS0_4arch9wavefront6targetE0EEEvSK_.kd
    .uniform_work_group_size: 1
    .uses_dynamic_stack: false
    .vgpr_count:     0
    .vgpr_spill_count: 0
    .wavefront_size: 32
  - .args:
      - .offset:         0
        .size:           88
        .value_kind:     by_value
    .group_segment_fixed_size: 0
    .kernarg_segment_align: 8
    .kernarg_segment_size: 88
    .language:       OpenCL C
    .language_version:
      - 2
      - 0
    .max_flat_workgroup_size: 256
    .name:           _ZN7rocprim17ROCPRIM_400000_NS6detail17trampoline_kernelINS0_14default_configENS1_36segmented_radix_sort_config_selectorIhlEEZNS1_25segmented_radix_sort_implIS3_Lb1EPKhPhPKlPlN2at6native12_GLOBAL__N_18offset_tEEE10hipError_tPvRmT1_PNSt15iterator_traitsISK_E10value_typeET2_T3_PNSL_ISQ_E10value_typeET4_jRbjT5_SW_jjP12ihipStream_tbEUlT_E0_NS1_11comp_targetILNS1_3genE4ELNS1_11target_archE910ELNS1_3gpuE8ELNS1_3repE0EEENS1_60segmented_radix_sort_warp_sort_medium_config_static_selectorELNS0_4arch9wavefront6targetE0EEEvSK_
    .private_segment_fixed_size: 0
    .sgpr_count:     0
    .sgpr_spill_count: 0
    .symbol:         _ZN7rocprim17ROCPRIM_400000_NS6detail17trampoline_kernelINS0_14default_configENS1_36segmented_radix_sort_config_selectorIhlEEZNS1_25segmented_radix_sort_implIS3_Lb1EPKhPhPKlPlN2at6native12_GLOBAL__N_18offset_tEEE10hipError_tPvRmT1_PNSt15iterator_traitsISK_E10value_typeET2_T3_PNSL_ISQ_E10value_typeET4_jRbjT5_SW_jjP12ihipStream_tbEUlT_E0_NS1_11comp_targetILNS1_3genE4ELNS1_11target_archE910ELNS1_3gpuE8ELNS1_3repE0EEENS1_60segmented_radix_sort_warp_sort_medium_config_static_selectorELNS0_4arch9wavefront6targetE0EEEvSK_.kd
    .uniform_work_group_size: 1
    .uses_dynamic_stack: false
    .vgpr_count:     0
    .vgpr_spill_count: 0
    .wavefront_size: 32
  - .args:
      - .offset:         0
        .size:           88
        .value_kind:     by_value
    .group_segment_fixed_size: 0
    .kernarg_segment_align: 8
    .kernarg_segment_size: 88
    .language:       OpenCL C
    .language_version:
      - 2
      - 0
    .max_flat_workgroup_size: 256
    .name:           _ZN7rocprim17ROCPRIM_400000_NS6detail17trampoline_kernelINS0_14default_configENS1_36segmented_radix_sort_config_selectorIhlEEZNS1_25segmented_radix_sort_implIS3_Lb1EPKhPhPKlPlN2at6native12_GLOBAL__N_18offset_tEEE10hipError_tPvRmT1_PNSt15iterator_traitsISK_E10value_typeET2_T3_PNSL_ISQ_E10value_typeET4_jRbjT5_SW_jjP12ihipStream_tbEUlT_E0_NS1_11comp_targetILNS1_3genE3ELNS1_11target_archE908ELNS1_3gpuE7ELNS1_3repE0EEENS1_60segmented_radix_sort_warp_sort_medium_config_static_selectorELNS0_4arch9wavefront6targetE0EEEvSK_
    .private_segment_fixed_size: 0
    .sgpr_count:     0
    .sgpr_spill_count: 0
    .symbol:         _ZN7rocprim17ROCPRIM_400000_NS6detail17trampoline_kernelINS0_14default_configENS1_36segmented_radix_sort_config_selectorIhlEEZNS1_25segmented_radix_sort_implIS3_Lb1EPKhPhPKlPlN2at6native12_GLOBAL__N_18offset_tEEE10hipError_tPvRmT1_PNSt15iterator_traitsISK_E10value_typeET2_T3_PNSL_ISQ_E10value_typeET4_jRbjT5_SW_jjP12ihipStream_tbEUlT_E0_NS1_11comp_targetILNS1_3genE3ELNS1_11target_archE908ELNS1_3gpuE7ELNS1_3repE0EEENS1_60segmented_radix_sort_warp_sort_medium_config_static_selectorELNS0_4arch9wavefront6targetE0EEEvSK_.kd
    .uniform_work_group_size: 1
    .uses_dynamic_stack: false
    .vgpr_count:     0
    .vgpr_spill_count: 0
    .wavefront_size: 32
  - .args:
      - .offset:         0
        .size:           88
        .value_kind:     by_value
    .group_segment_fixed_size: 0
    .kernarg_segment_align: 8
    .kernarg_segment_size: 88
    .language:       OpenCL C
    .language_version:
      - 2
      - 0
    .max_flat_workgroup_size: 256
    .name:           _ZN7rocprim17ROCPRIM_400000_NS6detail17trampoline_kernelINS0_14default_configENS1_36segmented_radix_sort_config_selectorIhlEEZNS1_25segmented_radix_sort_implIS3_Lb1EPKhPhPKlPlN2at6native12_GLOBAL__N_18offset_tEEE10hipError_tPvRmT1_PNSt15iterator_traitsISK_E10value_typeET2_T3_PNSL_ISQ_E10value_typeET4_jRbjT5_SW_jjP12ihipStream_tbEUlT_E0_NS1_11comp_targetILNS1_3genE2ELNS1_11target_archE906ELNS1_3gpuE6ELNS1_3repE0EEENS1_60segmented_radix_sort_warp_sort_medium_config_static_selectorELNS0_4arch9wavefront6targetE0EEEvSK_
    .private_segment_fixed_size: 0
    .sgpr_count:     0
    .sgpr_spill_count: 0
    .symbol:         _ZN7rocprim17ROCPRIM_400000_NS6detail17trampoline_kernelINS0_14default_configENS1_36segmented_radix_sort_config_selectorIhlEEZNS1_25segmented_radix_sort_implIS3_Lb1EPKhPhPKlPlN2at6native12_GLOBAL__N_18offset_tEEE10hipError_tPvRmT1_PNSt15iterator_traitsISK_E10value_typeET2_T3_PNSL_ISQ_E10value_typeET4_jRbjT5_SW_jjP12ihipStream_tbEUlT_E0_NS1_11comp_targetILNS1_3genE2ELNS1_11target_archE906ELNS1_3gpuE6ELNS1_3repE0EEENS1_60segmented_radix_sort_warp_sort_medium_config_static_selectorELNS0_4arch9wavefront6targetE0EEEvSK_.kd
    .uniform_work_group_size: 1
    .uses_dynamic_stack: false
    .vgpr_count:     0
    .vgpr_spill_count: 0
    .wavefront_size: 32
  - .args:
      - .offset:         0
        .size:           88
        .value_kind:     by_value
    .group_segment_fixed_size: 0
    .kernarg_segment_align: 8
    .kernarg_segment_size: 88
    .language:       OpenCL C
    .language_version:
      - 2
      - 0
    .max_flat_workgroup_size: 256
    .name:           _ZN7rocprim17ROCPRIM_400000_NS6detail17trampoline_kernelINS0_14default_configENS1_36segmented_radix_sort_config_selectorIhlEEZNS1_25segmented_radix_sort_implIS3_Lb1EPKhPhPKlPlN2at6native12_GLOBAL__N_18offset_tEEE10hipError_tPvRmT1_PNSt15iterator_traitsISK_E10value_typeET2_T3_PNSL_ISQ_E10value_typeET4_jRbjT5_SW_jjP12ihipStream_tbEUlT_E0_NS1_11comp_targetILNS1_3genE10ELNS1_11target_archE1201ELNS1_3gpuE5ELNS1_3repE0EEENS1_60segmented_radix_sort_warp_sort_medium_config_static_selectorELNS0_4arch9wavefront6targetE0EEEvSK_
    .private_segment_fixed_size: 0
    .sgpr_count:     0
    .sgpr_spill_count: 0
    .symbol:         _ZN7rocprim17ROCPRIM_400000_NS6detail17trampoline_kernelINS0_14default_configENS1_36segmented_radix_sort_config_selectorIhlEEZNS1_25segmented_radix_sort_implIS3_Lb1EPKhPhPKlPlN2at6native12_GLOBAL__N_18offset_tEEE10hipError_tPvRmT1_PNSt15iterator_traitsISK_E10value_typeET2_T3_PNSL_ISQ_E10value_typeET4_jRbjT5_SW_jjP12ihipStream_tbEUlT_E0_NS1_11comp_targetILNS1_3genE10ELNS1_11target_archE1201ELNS1_3gpuE5ELNS1_3repE0EEENS1_60segmented_radix_sort_warp_sort_medium_config_static_selectorELNS0_4arch9wavefront6targetE0EEEvSK_.kd
    .uniform_work_group_size: 1
    .uses_dynamic_stack: false
    .vgpr_count:     0
    .vgpr_spill_count: 0
    .wavefront_size: 32
  - .args:
      - .offset:         0
        .size:           88
        .value_kind:     by_value
    .group_segment_fixed_size: 0
    .kernarg_segment_align: 8
    .kernarg_segment_size: 88
    .language:       OpenCL C
    .language_version:
      - 2
      - 0
    .max_flat_workgroup_size: 256
    .name:           _ZN7rocprim17ROCPRIM_400000_NS6detail17trampoline_kernelINS0_14default_configENS1_36segmented_radix_sort_config_selectorIhlEEZNS1_25segmented_radix_sort_implIS3_Lb1EPKhPhPKlPlN2at6native12_GLOBAL__N_18offset_tEEE10hipError_tPvRmT1_PNSt15iterator_traitsISK_E10value_typeET2_T3_PNSL_ISQ_E10value_typeET4_jRbjT5_SW_jjP12ihipStream_tbEUlT_E0_NS1_11comp_targetILNS1_3genE10ELNS1_11target_archE1200ELNS1_3gpuE4ELNS1_3repE0EEENS1_60segmented_radix_sort_warp_sort_medium_config_static_selectorELNS0_4arch9wavefront6targetE0EEEvSK_
    .private_segment_fixed_size: 0
    .sgpr_count:     0
    .sgpr_spill_count: 0
    .symbol:         _ZN7rocprim17ROCPRIM_400000_NS6detail17trampoline_kernelINS0_14default_configENS1_36segmented_radix_sort_config_selectorIhlEEZNS1_25segmented_radix_sort_implIS3_Lb1EPKhPhPKlPlN2at6native12_GLOBAL__N_18offset_tEEE10hipError_tPvRmT1_PNSt15iterator_traitsISK_E10value_typeET2_T3_PNSL_ISQ_E10value_typeET4_jRbjT5_SW_jjP12ihipStream_tbEUlT_E0_NS1_11comp_targetILNS1_3genE10ELNS1_11target_archE1200ELNS1_3gpuE4ELNS1_3repE0EEENS1_60segmented_radix_sort_warp_sort_medium_config_static_selectorELNS0_4arch9wavefront6targetE0EEEvSK_.kd
    .uniform_work_group_size: 1
    .uses_dynamic_stack: false
    .vgpr_count:     0
    .vgpr_spill_count: 0
    .wavefront_size: 32
  - .args:
      - .offset:         0
        .size:           88
        .value_kind:     by_value
    .group_segment_fixed_size: 0
    .kernarg_segment_align: 8
    .kernarg_segment_size: 88
    .language:       OpenCL C
    .language_version:
      - 2
      - 0
    .max_flat_workgroup_size: 256
    .name:           _ZN7rocprim17ROCPRIM_400000_NS6detail17trampoline_kernelINS0_14default_configENS1_36segmented_radix_sort_config_selectorIhlEEZNS1_25segmented_radix_sort_implIS3_Lb1EPKhPhPKlPlN2at6native12_GLOBAL__N_18offset_tEEE10hipError_tPvRmT1_PNSt15iterator_traitsISK_E10value_typeET2_T3_PNSL_ISQ_E10value_typeET4_jRbjT5_SW_jjP12ihipStream_tbEUlT_E0_NS1_11comp_targetILNS1_3genE9ELNS1_11target_archE1100ELNS1_3gpuE3ELNS1_3repE0EEENS1_60segmented_radix_sort_warp_sort_medium_config_static_selectorELNS0_4arch9wavefront6targetE0EEEvSK_
    .private_segment_fixed_size: 0
    .sgpr_count:     0
    .sgpr_spill_count: 0
    .symbol:         _ZN7rocprim17ROCPRIM_400000_NS6detail17trampoline_kernelINS0_14default_configENS1_36segmented_radix_sort_config_selectorIhlEEZNS1_25segmented_radix_sort_implIS3_Lb1EPKhPhPKlPlN2at6native12_GLOBAL__N_18offset_tEEE10hipError_tPvRmT1_PNSt15iterator_traitsISK_E10value_typeET2_T3_PNSL_ISQ_E10value_typeET4_jRbjT5_SW_jjP12ihipStream_tbEUlT_E0_NS1_11comp_targetILNS1_3genE9ELNS1_11target_archE1100ELNS1_3gpuE3ELNS1_3repE0EEENS1_60segmented_radix_sort_warp_sort_medium_config_static_selectorELNS0_4arch9wavefront6targetE0EEEvSK_.kd
    .uniform_work_group_size: 1
    .uses_dynamic_stack: false
    .vgpr_count:     0
    .vgpr_spill_count: 0
    .wavefront_size: 32
  - .args:
      - .offset:         0
        .size:           88
        .value_kind:     by_value
    .group_segment_fixed_size: 0
    .kernarg_segment_align: 8
    .kernarg_segment_size: 88
    .language:       OpenCL C
    .language_version:
      - 2
      - 0
    .max_flat_workgroup_size: 256
    .name:           _ZN7rocprim17ROCPRIM_400000_NS6detail17trampoline_kernelINS0_14default_configENS1_36segmented_radix_sort_config_selectorIhlEEZNS1_25segmented_radix_sort_implIS3_Lb1EPKhPhPKlPlN2at6native12_GLOBAL__N_18offset_tEEE10hipError_tPvRmT1_PNSt15iterator_traitsISK_E10value_typeET2_T3_PNSL_ISQ_E10value_typeET4_jRbjT5_SW_jjP12ihipStream_tbEUlT_E0_NS1_11comp_targetILNS1_3genE8ELNS1_11target_archE1030ELNS1_3gpuE2ELNS1_3repE0EEENS1_60segmented_radix_sort_warp_sort_medium_config_static_selectorELNS0_4arch9wavefront6targetE0EEEvSK_
    .private_segment_fixed_size: 0
    .sgpr_count:     0
    .sgpr_spill_count: 0
    .symbol:         _ZN7rocprim17ROCPRIM_400000_NS6detail17trampoline_kernelINS0_14default_configENS1_36segmented_radix_sort_config_selectorIhlEEZNS1_25segmented_radix_sort_implIS3_Lb1EPKhPhPKlPlN2at6native12_GLOBAL__N_18offset_tEEE10hipError_tPvRmT1_PNSt15iterator_traitsISK_E10value_typeET2_T3_PNSL_ISQ_E10value_typeET4_jRbjT5_SW_jjP12ihipStream_tbEUlT_E0_NS1_11comp_targetILNS1_3genE8ELNS1_11target_archE1030ELNS1_3gpuE2ELNS1_3repE0EEENS1_60segmented_radix_sort_warp_sort_medium_config_static_selectorELNS0_4arch9wavefront6targetE0EEEvSK_.kd
    .uniform_work_group_size: 1
    .uses_dynamic_stack: false
    .vgpr_count:     0
    .vgpr_spill_count: 0
    .wavefront_size: 32
  - .args:
      - .offset:         0
        .size:           88
        .value_kind:     by_value
      - .offset:         88
        .size:           4
        .value_kind:     hidden_block_count_x
      - .offset:         92
        .size:           4
        .value_kind:     hidden_block_count_y
      - .offset:         96
        .size:           4
        .value_kind:     hidden_block_count_z
      - .offset:         100
        .size:           2
        .value_kind:     hidden_group_size_x
      - .offset:         102
        .size:           2
        .value_kind:     hidden_group_size_y
      - .offset:         104
        .size:           2
        .value_kind:     hidden_group_size_z
      - .offset:         106
        .size:           2
        .value_kind:     hidden_remainder_x
      - .offset:         108
        .size:           2
        .value_kind:     hidden_remainder_y
      - .offset:         110
        .size:           2
        .value_kind:     hidden_remainder_z
      - .offset:         128
        .size:           8
        .value_kind:     hidden_global_offset_x
      - .offset:         136
        .size:           8
        .value_kind:     hidden_global_offset_y
      - .offset:         144
        .size:           8
        .value_kind:     hidden_global_offset_z
      - .offset:         152
        .size:           2
        .value_kind:     hidden_grid_dims
      - .offset:         168
        .size:           8
        .value_kind:     hidden_hostcall_buffer
      - .offset:         176
        .size:           8
        .value_kind:     hidden_multigrid_sync_arg
      - .offset:         184
        .size:           8
        .value_kind:     hidden_heap_v1
      - .offset:         192
        .size:           8
        .value_kind:     hidden_default_queue
      - .offset:         200
        .size:           8
        .value_kind:     hidden_completion_action
      - .offset:         288
        .size:           8
        .value_kind:     hidden_queue_ptr
    .group_segment_fixed_size: 9216
    .kernarg_segment_align: 8
    .kernarg_segment_size: 344
    .language:       OpenCL C
    .language_version:
      - 2
      - 0
    .max_flat_workgroup_size: 256
    .name:           _ZN7rocprim17ROCPRIM_400000_NS6detail17trampoline_kernelINS0_14default_configENS1_36segmented_radix_sort_config_selectorIhlEEZNS1_25segmented_radix_sort_implIS3_Lb1EPKhPhPKlPlN2at6native12_GLOBAL__N_18offset_tEEE10hipError_tPvRmT1_PNSt15iterator_traitsISK_E10value_typeET2_T3_PNSL_ISQ_E10value_typeET4_jRbjT5_SW_jjP12ihipStream_tbEUlT_E1_NS1_11comp_targetILNS1_3genE0ELNS1_11target_archE4294967295ELNS1_3gpuE0ELNS1_3repE0EEENS1_59segmented_radix_sort_warp_sort_small_config_static_selectorELNS0_4arch9wavefront6targetE0EEEvSK_
    .private_segment_fixed_size: 0
    .sgpr_count:     42
    .sgpr_spill_count: 0
    .symbol:         _ZN7rocprim17ROCPRIM_400000_NS6detail17trampoline_kernelINS0_14default_configENS1_36segmented_radix_sort_config_selectorIhlEEZNS1_25segmented_radix_sort_implIS3_Lb1EPKhPhPKlPlN2at6native12_GLOBAL__N_18offset_tEEE10hipError_tPvRmT1_PNSt15iterator_traitsISK_E10value_typeET2_T3_PNSL_ISQ_E10value_typeET4_jRbjT5_SW_jjP12ihipStream_tbEUlT_E1_NS1_11comp_targetILNS1_3genE0ELNS1_11target_archE4294967295ELNS1_3gpuE0ELNS1_3repE0EEENS1_59segmented_radix_sort_warp_sort_small_config_static_selectorELNS0_4arch9wavefront6targetE0EEEvSK_.kd
    .uniform_work_group_size: 1
    .uses_dynamic_stack: false
    .vgpr_count:     55
    .vgpr_spill_count: 0
    .wavefront_size: 32
  - .args:
      - .offset:         0
        .size:           88
        .value_kind:     by_value
    .group_segment_fixed_size: 0
    .kernarg_segment_align: 8
    .kernarg_segment_size: 88
    .language:       OpenCL C
    .language_version:
      - 2
      - 0
    .max_flat_workgroup_size: 256
    .name:           _ZN7rocprim17ROCPRIM_400000_NS6detail17trampoline_kernelINS0_14default_configENS1_36segmented_radix_sort_config_selectorIhlEEZNS1_25segmented_radix_sort_implIS3_Lb1EPKhPhPKlPlN2at6native12_GLOBAL__N_18offset_tEEE10hipError_tPvRmT1_PNSt15iterator_traitsISK_E10value_typeET2_T3_PNSL_ISQ_E10value_typeET4_jRbjT5_SW_jjP12ihipStream_tbEUlT_E1_NS1_11comp_targetILNS1_3genE5ELNS1_11target_archE942ELNS1_3gpuE9ELNS1_3repE0EEENS1_59segmented_radix_sort_warp_sort_small_config_static_selectorELNS0_4arch9wavefront6targetE0EEEvSK_
    .private_segment_fixed_size: 0
    .sgpr_count:     0
    .sgpr_spill_count: 0
    .symbol:         _ZN7rocprim17ROCPRIM_400000_NS6detail17trampoline_kernelINS0_14default_configENS1_36segmented_radix_sort_config_selectorIhlEEZNS1_25segmented_radix_sort_implIS3_Lb1EPKhPhPKlPlN2at6native12_GLOBAL__N_18offset_tEEE10hipError_tPvRmT1_PNSt15iterator_traitsISK_E10value_typeET2_T3_PNSL_ISQ_E10value_typeET4_jRbjT5_SW_jjP12ihipStream_tbEUlT_E1_NS1_11comp_targetILNS1_3genE5ELNS1_11target_archE942ELNS1_3gpuE9ELNS1_3repE0EEENS1_59segmented_radix_sort_warp_sort_small_config_static_selectorELNS0_4arch9wavefront6targetE0EEEvSK_.kd
    .uniform_work_group_size: 1
    .uses_dynamic_stack: false
    .vgpr_count:     0
    .vgpr_spill_count: 0
    .wavefront_size: 32
  - .args:
      - .offset:         0
        .size:           88
        .value_kind:     by_value
    .group_segment_fixed_size: 0
    .kernarg_segment_align: 8
    .kernarg_segment_size: 88
    .language:       OpenCL C
    .language_version:
      - 2
      - 0
    .max_flat_workgroup_size: 256
    .name:           _ZN7rocprim17ROCPRIM_400000_NS6detail17trampoline_kernelINS0_14default_configENS1_36segmented_radix_sort_config_selectorIhlEEZNS1_25segmented_radix_sort_implIS3_Lb1EPKhPhPKlPlN2at6native12_GLOBAL__N_18offset_tEEE10hipError_tPvRmT1_PNSt15iterator_traitsISK_E10value_typeET2_T3_PNSL_ISQ_E10value_typeET4_jRbjT5_SW_jjP12ihipStream_tbEUlT_E1_NS1_11comp_targetILNS1_3genE4ELNS1_11target_archE910ELNS1_3gpuE8ELNS1_3repE0EEENS1_59segmented_radix_sort_warp_sort_small_config_static_selectorELNS0_4arch9wavefront6targetE0EEEvSK_
    .private_segment_fixed_size: 0
    .sgpr_count:     0
    .sgpr_spill_count: 0
    .symbol:         _ZN7rocprim17ROCPRIM_400000_NS6detail17trampoline_kernelINS0_14default_configENS1_36segmented_radix_sort_config_selectorIhlEEZNS1_25segmented_radix_sort_implIS3_Lb1EPKhPhPKlPlN2at6native12_GLOBAL__N_18offset_tEEE10hipError_tPvRmT1_PNSt15iterator_traitsISK_E10value_typeET2_T3_PNSL_ISQ_E10value_typeET4_jRbjT5_SW_jjP12ihipStream_tbEUlT_E1_NS1_11comp_targetILNS1_3genE4ELNS1_11target_archE910ELNS1_3gpuE8ELNS1_3repE0EEENS1_59segmented_radix_sort_warp_sort_small_config_static_selectorELNS0_4arch9wavefront6targetE0EEEvSK_.kd
    .uniform_work_group_size: 1
    .uses_dynamic_stack: false
    .vgpr_count:     0
    .vgpr_spill_count: 0
    .wavefront_size: 32
  - .args:
      - .offset:         0
        .size:           88
        .value_kind:     by_value
    .group_segment_fixed_size: 0
    .kernarg_segment_align: 8
    .kernarg_segment_size: 88
    .language:       OpenCL C
    .language_version:
      - 2
      - 0
    .max_flat_workgroup_size: 256
    .name:           _ZN7rocprim17ROCPRIM_400000_NS6detail17trampoline_kernelINS0_14default_configENS1_36segmented_radix_sort_config_selectorIhlEEZNS1_25segmented_radix_sort_implIS3_Lb1EPKhPhPKlPlN2at6native12_GLOBAL__N_18offset_tEEE10hipError_tPvRmT1_PNSt15iterator_traitsISK_E10value_typeET2_T3_PNSL_ISQ_E10value_typeET4_jRbjT5_SW_jjP12ihipStream_tbEUlT_E1_NS1_11comp_targetILNS1_3genE3ELNS1_11target_archE908ELNS1_3gpuE7ELNS1_3repE0EEENS1_59segmented_radix_sort_warp_sort_small_config_static_selectorELNS0_4arch9wavefront6targetE0EEEvSK_
    .private_segment_fixed_size: 0
    .sgpr_count:     0
    .sgpr_spill_count: 0
    .symbol:         _ZN7rocprim17ROCPRIM_400000_NS6detail17trampoline_kernelINS0_14default_configENS1_36segmented_radix_sort_config_selectorIhlEEZNS1_25segmented_radix_sort_implIS3_Lb1EPKhPhPKlPlN2at6native12_GLOBAL__N_18offset_tEEE10hipError_tPvRmT1_PNSt15iterator_traitsISK_E10value_typeET2_T3_PNSL_ISQ_E10value_typeET4_jRbjT5_SW_jjP12ihipStream_tbEUlT_E1_NS1_11comp_targetILNS1_3genE3ELNS1_11target_archE908ELNS1_3gpuE7ELNS1_3repE0EEENS1_59segmented_radix_sort_warp_sort_small_config_static_selectorELNS0_4arch9wavefront6targetE0EEEvSK_.kd
    .uniform_work_group_size: 1
    .uses_dynamic_stack: false
    .vgpr_count:     0
    .vgpr_spill_count: 0
    .wavefront_size: 32
  - .args:
      - .offset:         0
        .size:           88
        .value_kind:     by_value
    .group_segment_fixed_size: 0
    .kernarg_segment_align: 8
    .kernarg_segment_size: 88
    .language:       OpenCL C
    .language_version:
      - 2
      - 0
    .max_flat_workgroup_size: 256
    .name:           _ZN7rocprim17ROCPRIM_400000_NS6detail17trampoline_kernelINS0_14default_configENS1_36segmented_radix_sort_config_selectorIhlEEZNS1_25segmented_radix_sort_implIS3_Lb1EPKhPhPKlPlN2at6native12_GLOBAL__N_18offset_tEEE10hipError_tPvRmT1_PNSt15iterator_traitsISK_E10value_typeET2_T3_PNSL_ISQ_E10value_typeET4_jRbjT5_SW_jjP12ihipStream_tbEUlT_E1_NS1_11comp_targetILNS1_3genE2ELNS1_11target_archE906ELNS1_3gpuE6ELNS1_3repE0EEENS1_59segmented_radix_sort_warp_sort_small_config_static_selectorELNS0_4arch9wavefront6targetE0EEEvSK_
    .private_segment_fixed_size: 0
    .sgpr_count:     0
    .sgpr_spill_count: 0
    .symbol:         _ZN7rocprim17ROCPRIM_400000_NS6detail17trampoline_kernelINS0_14default_configENS1_36segmented_radix_sort_config_selectorIhlEEZNS1_25segmented_radix_sort_implIS3_Lb1EPKhPhPKlPlN2at6native12_GLOBAL__N_18offset_tEEE10hipError_tPvRmT1_PNSt15iterator_traitsISK_E10value_typeET2_T3_PNSL_ISQ_E10value_typeET4_jRbjT5_SW_jjP12ihipStream_tbEUlT_E1_NS1_11comp_targetILNS1_3genE2ELNS1_11target_archE906ELNS1_3gpuE6ELNS1_3repE0EEENS1_59segmented_radix_sort_warp_sort_small_config_static_selectorELNS0_4arch9wavefront6targetE0EEEvSK_.kd
    .uniform_work_group_size: 1
    .uses_dynamic_stack: false
    .vgpr_count:     0
    .vgpr_spill_count: 0
    .wavefront_size: 32
  - .args:
      - .offset:         0
        .size:           88
        .value_kind:     by_value
    .group_segment_fixed_size: 0
    .kernarg_segment_align: 8
    .kernarg_segment_size: 88
    .language:       OpenCL C
    .language_version:
      - 2
      - 0
    .max_flat_workgroup_size: 256
    .name:           _ZN7rocprim17ROCPRIM_400000_NS6detail17trampoline_kernelINS0_14default_configENS1_36segmented_radix_sort_config_selectorIhlEEZNS1_25segmented_radix_sort_implIS3_Lb1EPKhPhPKlPlN2at6native12_GLOBAL__N_18offset_tEEE10hipError_tPvRmT1_PNSt15iterator_traitsISK_E10value_typeET2_T3_PNSL_ISQ_E10value_typeET4_jRbjT5_SW_jjP12ihipStream_tbEUlT_E1_NS1_11comp_targetILNS1_3genE10ELNS1_11target_archE1201ELNS1_3gpuE5ELNS1_3repE0EEENS1_59segmented_radix_sort_warp_sort_small_config_static_selectorELNS0_4arch9wavefront6targetE0EEEvSK_
    .private_segment_fixed_size: 0
    .sgpr_count:     0
    .sgpr_spill_count: 0
    .symbol:         _ZN7rocprim17ROCPRIM_400000_NS6detail17trampoline_kernelINS0_14default_configENS1_36segmented_radix_sort_config_selectorIhlEEZNS1_25segmented_radix_sort_implIS3_Lb1EPKhPhPKlPlN2at6native12_GLOBAL__N_18offset_tEEE10hipError_tPvRmT1_PNSt15iterator_traitsISK_E10value_typeET2_T3_PNSL_ISQ_E10value_typeET4_jRbjT5_SW_jjP12ihipStream_tbEUlT_E1_NS1_11comp_targetILNS1_3genE10ELNS1_11target_archE1201ELNS1_3gpuE5ELNS1_3repE0EEENS1_59segmented_radix_sort_warp_sort_small_config_static_selectorELNS0_4arch9wavefront6targetE0EEEvSK_.kd
    .uniform_work_group_size: 1
    .uses_dynamic_stack: false
    .vgpr_count:     0
    .vgpr_spill_count: 0
    .wavefront_size: 32
  - .args:
      - .offset:         0
        .size:           88
        .value_kind:     by_value
    .group_segment_fixed_size: 0
    .kernarg_segment_align: 8
    .kernarg_segment_size: 88
    .language:       OpenCL C
    .language_version:
      - 2
      - 0
    .max_flat_workgroup_size: 256
    .name:           _ZN7rocprim17ROCPRIM_400000_NS6detail17trampoline_kernelINS0_14default_configENS1_36segmented_radix_sort_config_selectorIhlEEZNS1_25segmented_radix_sort_implIS3_Lb1EPKhPhPKlPlN2at6native12_GLOBAL__N_18offset_tEEE10hipError_tPvRmT1_PNSt15iterator_traitsISK_E10value_typeET2_T3_PNSL_ISQ_E10value_typeET4_jRbjT5_SW_jjP12ihipStream_tbEUlT_E1_NS1_11comp_targetILNS1_3genE10ELNS1_11target_archE1200ELNS1_3gpuE4ELNS1_3repE0EEENS1_59segmented_radix_sort_warp_sort_small_config_static_selectorELNS0_4arch9wavefront6targetE0EEEvSK_
    .private_segment_fixed_size: 0
    .sgpr_count:     0
    .sgpr_spill_count: 0
    .symbol:         _ZN7rocprim17ROCPRIM_400000_NS6detail17trampoline_kernelINS0_14default_configENS1_36segmented_radix_sort_config_selectorIhlEEZNS1_25segmented_radix_sort_implIS3_Lb1EPKhPhPKlPlN2at6native12_GLOBAL__N_18offset_tEEE10hipError_tPvRmT1_PNSt15iterator_traitsISK_E10value_typeET2_T3_PNSL_ISQ_E10value_typeET4_jRbjT5_SW_jjP12ihipStream_tbEUlT_E1_NS1_11comp_targetILNS1_3genE10ELNS1_11target_archE1200ELNS1_3gpuE4ELNS1_3repE0EEENS1_59segmented_radix_sort_warp_sort_small_config_static_selectorELNS0_4arch9wavefront6targetE0EEEvSK_.kd
    .uniform_work_group_size: 1
    .uses_dynamic_stack: false
    .vgpr_count:     0
    .vgpr_spill_count: 0
    .wavefront_size: 32
  - .args:
      - .offset:         0
        .size:           88
        .value_kind:     by_value
    .group_segment_fixed_size: 0
    .kernarg_segment_align: 8
    .kernarg_segment_size: 88
    .language:       OpenCL C
    .language_version:
      - 2
      - 0
    .max_flat_workgroup_size: 256
    .name:           _ZN7rocprim17ROCPRIM_400000_NS6detail17trampoline_kernelINS0_14default_configENS1_36segmented_radix_sort_config_selectorIhlEEZNS1_25segmented_radix_sort_implIS3_Lb1EPKhPhPKlPlN2at6native12_GLOBAL__N_18offset_tEEE10hipError_tPvRmT1_PNSt15iterator_traitsISK_E10value_typeET2_T3_PNSL_ISQ_E10value_typeET4_jRbjT5_SW_jjP12ihipStream_tbEUlT_E1_NS1_11comp_targetILNS1_3genE9ELNS1_11target_archE1100ELNS1_3gpuE3ELNS1_3repE0EEENS1_59segmented_radix_sort_warp_sort_small_config_static_selectorELNS0_4arch9wavefront6targetE0EEEvSK_
    .private_segment_fixed_size: 0
    .sgpr_count:     0
    .sgpr_spill_count: 0
    .symbol:         _ZN7rocprim17ROCPRIM_400000_NS6detail17trampoline_kernelINS0_14default_configENS1_36segmented_radix_sort_config_selectorIhlEEZNS1_25segmented_radix_sort_implIS3_Lb1EPKhPhPKlPlN2at6native12_GLOBAL__N_18offset_tEEE10hipError_tPvRmT1_PNSt15iterator_traitsISK_E10value_typeET2_T3_PNSL_ISQ_E10value_typeET4_jRbjT5_SW_jjP12ihipStream_tbEUlT_E1_NS1_11comp_targetILNS1_3genE9ELNS1_11target_archE1100ELNS1_3gpuE3ELNS1_3repE0EEENS1_59segmented_radix_sort_warp_sort_small_config_static_selectorELNS0_4arch9wavefront6targetE0EEEvSK_.kd
    .uniform_work_group_size: 1
    .uses_dynamic_stack: false
    .vgpr_count:     0
    .vgpr_spill_count: 0
    .wavefront_size: 32
  - .args:
      - .offset:         0
        .size:           88
        .value_kind:     by_value
    .group_segment_fixed_size: 0
    .kernarg_segment_align: 8
    .kernarg_segment_size: 88
    .language:       OpenCL C
    .language_version:
      - 2
      - 0
    .max_flat_workgroup_size: 256
    .name:           _ZN7rocprim17ROCPRIM_400000_NS6detail17trampoline_kernelINS0_14default_configENS1_36segmented_radix_sort_config_selectorIhlEEZNS1_25segmented_radix_sort_implIS3_Lb1EPKhPhPKlPlN2at6native12_GLOBAL__N_18offset_tEEE10hipError_tPvRmT1_PNSt15iterator_traitsISK_E10value_typeET2_T3_PNSL_ISQ_E10value_typeET4_jRbjT5_SW_jjP12ihipStream_tbEUlT_E1_NS1_11comp_targetILNS1_3genE8ELNS1_11target_archE1030ELNS1_3gpuE2ELNS1_3repE0EEENS1_59segmented_radix_sort_warp_sort_small_config_static_selectorELNS0_4arch9wavefront6targetE0EEEvSK_
    .private_segment_fixed_size: 0
    .sgpr_count:     0
    .sgpr_spill_count: 0
    .symbol:         _ZN7rocprim17ROCPRIM_400000_NS6detail17trampoline_kernelINS0_14default_configENS1_36segmented_radix_sort_config_selectorIhlEEZNS1_25segmented_radix_sort_implIS3_Lb1EPKhPhPKlPlN2at6native12_GLOBAL__N_18offset_tEEE10hipError_tPvRmT1_PNSt15iterator_traitsISK_E10value_typeET2_T3_PNSL_ISQ_E10value_typeET4_jRbjT5_SW_jjP12ihipStream_tbEUlT_E1_NS1_11comp_targetILNS1_3genE8ELNS1_11target_archE1030ELNS1_3gpuE2ELNS1_3repE0EEENS1_59segmented_radix_sort_warp_sort_small_config_static_selectorELNS0_4arch9wavefront6targetE0EEEvSK_.kd
    .uniform_work_group_size: 1
    .uses_dynamic_stack: false
    .vgpr_count:     0
    .vgpr_spill_count: 0
    .wavefront_size: 32
  - .args:
      - .offset:         0
        .size:           80
        .value_kind:     by_value
      - .offset:         80
        .size:           4
        .value_kind:     hidden_block_count_x
      - .offset:         84
        .size:           4
        .value_kind:     hidden_block_count_y
      - .offset:         88
        .size:           4
        .value_kind:     hidden_block_count_z
      - .offset:         92
        .size:           2
        .value_kind:     hidden_group_size_x
      - .offset:         94
        .size:           2
        .value_kind:     hidden_group_size_y
      - .offset:         96
        .size:           2
        .value_kind:     hidden_group_size_z
      - .offset:         98
        .size:           2
        .value_kind:     hidden_remainder_x
      - .offset:         100
        .size:           2
        .value_kind:     hidden_remainder_y
      - .offset:         102
        .size:           2
        .value_kind:     hidden_remainder_z
      - .offset:         120
        .size:           8
        .value_kind:     hidden_global_offset_x
      - .offset:         128
        .size:           8
        .value_kind:     hidden_global_offset_y
      - .offset:         136
        .size:           8
        .value_kind:     hidden_global_offset_z
      - .offset:         144
        .size:           2
        .value_kind:     hidden_grid_dims
      - .offset:         160
        .size:           8
        .value_kind:     hidden_hostcall_buffer
      - .offset:         168
        .size:           8
        .value_kind:     hidden_multigrid_sync_arg
      - .offset:         176
        .size:           8
        .value_kind:     hidden_heap_v1
      - .offset:         184
        .size:           8
        .value_kind:     hidden_default_queue
      - .offset:         192
        .size:           8
        .value_kind:     hidden_completion_action
      - .offset:         280
        .size:           8
        .value_kind:     hidden_queue_ptr
    .group_segment_fixed_size: 35344
    .kernarg_segment_align: 8
    .kernarg_segment_size: 336
    .language:       OpenCL C
    .language_version:
      - 2
      - 0
    .max_flat_workgroup_size: 256
    .name:           _ZN7rocprim17ROCPRIM_400000_NS6detail17trampoline_kernelINS0_14default_configENS1_36segmented_radix_sort_config_selectorIhlEEZNS1_25segmented_radix_sort_implIS3_Lb1EPKhPhPKlPlN2at6native12_GLOBAL__N_18offset_tEEE10hipError_tPvRmT1_PNSt15iterator_traitsISK_E10value_typeET2_T3_PNSL_ISQ_E10value_typeET4_jRbjT5_SW_jjP12ihipStream_tbEUlT_E2_NS1_11comp_targetILNS1_3genE0ELNS1_11target_archE4294967295ELNS1_3gpuE0ELNS1_3repE0EEENS1_30default_config_static_selectorELNS0_4arch9wavefront6targetE0EEEvSK_
    .private_segment_fixed_size: 0
    .sgpr_count:     63
    .sgpr_spill_count: 0
    .symbol:         _ZN7rocprim17ROCPRIM_400000_NS6detail17trampoline_kernelINS0_14default_configENS1_36segmented_radix_sort_config_selectorIhlEEZNS1_25segmented_radix_sort_implIS3_Lb1EPKhPhPKlPlN2at6native12_GLOBAL__N_18offset_tEEE10hipError_tPvRmT1_PNSt15iterator_traitsISK_E10value_typeET2_T3_PNSL_ISQ_E10value_typeET4_jRbjT5_SW_jjP12ihipStream_tbEUlT_E2_NS1_11comp_targetILNS1_3genE0ELNS1_11target_archE4294967295ELNS1_3gpuE0ELNS1_3repE0EEENS1_30default_config_static_selectorELNS0_4arch9wavefront6targetE0EEEvSK_.kd
    .uniform_work_group_size: 1
    .uses_dynamic_stack: false
    .vgpr_count:     315
    .vgpr_spill_count: 0
    .wavefront_size: 32
  - .args:
      - .offset:         0
        .size:           80
        .value_kind:     by_value
    .group_segment_fixed_size: 0
    .kernarg_segment_align: 8
    .kernarg_segment_size: 80
    .language:       OpenCL C
    .language_version:
      - 2
      - 0
    .max_flat_workgroup_size: 256
    .name:           _ZN7rocprim17ROCPRIM_400000_NS6detail17trampoline_kernelINS0_14default_configENS1_36segmented_radix_sort_config_selectorIhlEEZNS1_25segmented_radix_sort_implIS3_Lb1EPKhPhPKlPlN2at6native12_GLOBAL__N_18offset_tEEE10hipError_tPvRmT1_PNSt15iterator_traitsISK_E10value_typeET2_T3_PNSL_ISQ_E10value_typeET4_jRbjT5_SW_jjP12ihipStream_tbEUlT_E2_NS1_11comp_targetILNS1_3genE5ELNS1_11target_archE942ELNS1_3gpuE9ELNS1_3repE0EEENS1_30default_config_static_selectorELNS0_4arch9wavefront6targetE0EEEvSK_
    .private_segment_fixed_size: 0
    .sgpr_count:     0
    .sgpr_spill_count: 0
    .symbol:         _ZN7rocprim17ROCPRIM_400000_NS6detail17trampoline_kernelINS0_14default_configENS1_36segmented_radix_sort_config_selectorIhlEEZNS1_25segmented_radix_sort_implIS3_Lb1EPKhPhPKlPlN2at6native12_GLOBAL__N_18offset_tEEE10hipError_tPvRmT1_PNSt15iterator_traitsISK_E10value_typeET2_T3_PNSL_ISQ_E10value_typeET4_jRbjT5_SW_jjP12ihipStream_tbEUlT_E2_NS1_11comp_targetILNS1_3genE5ELNS1_11target_archE942ELNS1_3gpuE9ELNS1_3repE0EEENS1_30default_config_static_selectorELNS0_4arch9wavefront6targetE0EEEvSK_.kd
    .uniform_work_group_size: 1
    .uses_dynamic_stack: false
    .vgpr_count:     0
    .vgpr_spill_count: 0
    .wavefront_size: 32
  - .args:
      - .offset:         0
        .size:           80
        .value_kind:     by_value
    .group_segment_fixed_size: 0
    .kernarg_segment_align: 8
    .kernarg_segment_size: 80
    .language:       OpenCL C
    .language_version:
      - 2
      - 0
    .max_flat_workgroup_size: 256
    .name:           _ZN7rocprim17ROCPRIM_400000_NS6detail17trampoline_kernelINS0_14default_configENS1_36segmented_radix_sort_config_selectorIhlEEZNS1_25segmented_radix_sort_implIS3_Lb1EPKhPhPKlPlN2at6native12_GLOBAL__N_18offset_tEEE10hipError_tPvRmT1_PNSt15iterator_traitsISK_E10value_typeET2_T3_PNSL_ISQ_E10value_typeET4_jRbjT5_SW_jjP12ihipStream_tbEUlT_E2_NS1_11comp_targetILNS1_3genE4ELNS1_11target_archE910ELNS1_3gpuE8ELNS1_3repE0EEENS1_30default_config_static_selectorELNS0_4arch9wavefront6targetE0EEEvSK_
    .private_segment_fixed_size: 0
    .sgpr_count:     0
    .sgpr_spill_count: 0
    .symbol:         _ZN7rocprim17ROCPRIM_400000_NS6detail17trampoline_kernelINS0_14default_configENS1_36segmented_radix_sort_config_selectorIhlEEZNS1_25segmented_radix_sort_implIS3_Lb1EPKhPhPKlPlN2at6native12_GLOBAL__N_18offset_tEEE10hipError_tPvRmT1_PNSt15iterator_traitsISK_E10value_typeET2_T3_PNSL_ISQ_E10value_typeET4_jRbjT5_SW_jjP12ihipStream_tbEUlT_E2_NS1_11comp_targetILNS1_3genE4ELNS1_11target_archE910ELNS1_3gpuE8ELNS1_3repE0EEENS1_30default_config_static_selectorELNS0_4arch9wavefront6targetE0EEEvSK_.kd
    .uniform_work_group_size: 1
    .uses_dynamic_stack: false
    .vgpr_count:     0
    .vgpr_spill_count: 0
    .wavefront_size: 32
  - .args:
      - .offset:         0
        .size:           80
        .value_kind:     by_value
    .group_segment_fixed_size: 0
    .kernarg_segment_align: 8
    .kernarg_segment_size: 80
    .language:       OpenCL C
    .language_version:
      - 2
      - 0
    .max_flat_workgroup_size: 256
    .name:           _ZN7rocprim17ROCPRIM_400000_NS6detail17trampoline_kernelINS0_14default_configENS1_36segmented_radix_sort_config_selectorIhlEEZNS1_25segmented_radix_sort_implIS3_Lb1EPKhPhPKlPlN2at6native12_GLOBAL__N_18offset_tEEE10hipError_tPvRmT1_PNSt15iterator_traitsISK_E10value_typeET2_T3_PNSL_ISQ_E10value_typeET4_jRbjT5_SW_jjP12ihipStream_tbEUlT_E2_NS1_11comp_targetILNS1_3genE3ELNS1_11target_archE908ELNS1_3gpuE7ELNS1_3repE0EEENS1_30default_config_static_selectorELNS0_4arch9wavefront6targetE0EEEvSK_
    .private_segment_fixed_size: 0
    .sgpr_count:     0
    .sgpr_spill_count: 0
    .symbol:         _ZN7rocprim17ROCPRIM_400000_NS6detail17trampoline_kernelINS0_14default_configENS1_36segmented_radix_sort_config_selectorIhlEEZNS1_25segmented_radix_sort_implIS3_Lb1EPKhPhPKlPlN2at6native12_GLOBAL__N_18offset_tEEE10hipError_tPvRmT1_PNSt15iterator_traitsISK_E10value_typeET2_T3_PNSL_ISQ_E10value_typeET4_jRbjT5_SW_jjP12ihipStream_tbEUlT_E2_NS1_11comp_targetILNS1_3genE3ELNS1_11target_archE908ELNS1_3gpuE7ELNS1_3repE0EEENS1_30default_config_static_selectorELNS0_4arch9wavefront6targetE0EEEvSK_.kd
    .uniform_work_group_size: 1
    .uses_dynamic_stack: false
    .vgpr_count:     0
    .vgpr_spill_count: 0
    .wavefront_size: 32
  - .args:
      - .offset:         0
        .size:           80
        .value_kind:     by_value
    .group_segment_fixed_size: 0
    .kernarg_segment_align: 8
    .kernarg_segment_size: 80
    .language:       OpenCL C
    .language_version:
      - 2
      - 0
    .max_flat_workgroup_size: 256
    .name:           _ZN7rocprim17ROCPRIM_400000_NS6detail17trampoline_kernelINS0_14default_configENS1_36segmented_radix_sort_config_selectorIhlEEZNS1_25segmented_radix_sort_implIS3_Lb1EPKhPhPKlPlN2at6native12_GLOBAL__N_18offset_tEEE10hipError_tPvRmT1_PNSt15iterator_traitsISK_E10value_typeET2_T3_PNSL_ISQ_E10value_typeET4_jRbjT5_SW_jjP12ihipStream_tbEUlT_E2_NS1_11comp_targetILNS1_3genE2ELNS1_11target_archE906ELNS1_3gpuE6ELNS1_3repE0EEENS1_30default_config_static_selectorELNS0_4arch9wavefront6targetE0EEEvSK_
    .private_segment_fixed_size: 0
    .sgpr_count:     0
    .sgpr_spill_count: 0
    .symbol:         _ZN7rocprim17ROCPRIM_400000_NS6detail17trampoline_kernelINS0_14default_configENS1_36segmented_radix_sort_config_selectorIhlEEZNS1_25segmented_radix_sort_implIS3_Lb1EPKhPhPKlPlN2at6native12_GLOBAL__N_18offset_tEEE10hipError_tPvRmT1_PNSt15iterator_traitsISK_E10value_typeET2_T3_PNSL_ISQ_E10value_typeET4_jRbjT5_SW_jjP12ihipStream_tbEUlT_E2_NS1_11comp_targetILNS1_3genE2ELNS1_11target_archE906ELNS1_3gpuE6ELNS1_3repE0EEENS1_30default_config_static_selectorELNS0_4arch9wavefront6targetE0EEEvSK_.kd
    .uniform_work_group_size: 1
    .uses_dynamic_stack: false
    .vgpr_count:     0
    .vgpr_spill_count: 0
    .wavefront_size: 32
  - .args:
      - .offset:         0
        .size:           80
        .value_kind:     by_value
    .group_segment_fixed_size: 0
    .kernarg_segment_align: 8
    .kernarg_segment_size: 80
    .language:       OpenCL C
    .language_version:
      - 2
      - 0
    .max_flat_workgroup_size: 256
    .name:           _ZN7rocprim17ROCPRIM_400000_NS6detail17trampoline_kernelINS0_14default_configENS1_36segmented_radix_sort_config_selectorIhlEEZNS1_25segmented_radix_sort_implIS3_Lb1EPKhPhPKlPlN2at6native12_GLOBAL__N_18offset_tEEE10hipError_tPvRmT1_PNSt15iterator_traitsISK_E10value_typeET2_T3_PNSL_ISQ_E10value_typeET4_jRbjT5_SW_jjP12ihipStream_tbEUlT_E2_NS1_11comp_targetILNS1_3genE10ELNS1_11target_archE1201ELNS1_3gpuE5ELNS1_3repE0EEENS1_30default_config_static_selectorELNS0_4arch9wavefront6targetE0EEEvSK_
    .private_segment_fixed_size: 0
    .sgpr_count:     0
    .sgpr_spill_count: 0
    .symbol:         _ZN7rocprim17ROCPRIM_400000_NS6detail17trampoline_kernelINS0_14default_configENS1_36segmented_radix_sort_config_selectorIhlEEZNS1_25segmented_radix_sort_implIS3_Lb1EPKhPhPKlPlN2at6native12_GLOBAL__N_18offset_tEEE10hipError_tPvRmT1_PNSt15iterator_traitsISK_E10value_typeET2_T3_PNSL_ISQ_E10value_typeET4_jRbjT5_SW_jjP12ihipStream_tbEUlT_E2_NS1_11comp_targetILNS1_3genE10ELNS1_11target_archE1201ELNS1_3gpuE5ELNS1_3repE0EEENS1_30default_config_static_selectorELNS0_4arch9wavefront6targetE0EEEvSK_.kd
    .uniform_work_group_size: 1
    .uses_dynamic_stack: false
    .vgpr_count:     0
    .vgpr_spill_count: 0
    .wavefront_size: 32
  - .args:
      - .offset:         0
        .size:           80
        .value_kind:     by_value
    .group_segment_fixed_size: 0
    .kernarg_segment_align: 8
    .kernarg_segment_size: 80
    .language:       OpenCL C
    .language_version:
      - 2
      - 0
    .max_flat_workgroup_size: 128
    .name:           _ZN7rocprim17ROCPRIM_400000_NS6detail17trampoline_kernelINS0_14default_configENS1_36segmented_radix_sort_config_selectorIhlEEZNS1_25segmented_radix_sort_implIS3_Lb1EPKhPhPKlPlN2at6native12_GLOBAL__N_18offset_tEEE10hipError_tPvRmT1_PNSt15iterator_traitsISK_E10value_typeET2_T3_PNSL_ISQ_E10value_typeET4_jRbjT5_SW_jjP12ihipStream_tbEUlT_E2_NS1_11comp_targetILNS1_3genE10ELNS1_11target_archE1200ELNS1_3gpuE4ELNS1_3repE0EEENS1_30default_config_static_selectorELNS0_4arch9wavefront6targetE0EEEvSK_
    .private_segment_fixed_size: 0
    .sgpr_count:     0
    .sgpr_spill_count: 0
    .symbol:         _ZN7rocprim17ROCPRIM_400000_NS6detail17trampoline_kernelINS0_14default_configENS1_36segmented_radix_sort_config_selectorIhlEEZNS1_25segmented_radix_sort_implIS3_Lb1EPKhPhPKlPlN2at6native12_GLOBAL__N_18offset_tEEE10hipError_tPvRmT1_PNSt15iterator_traitsISK_E10value_typeET2_T3_PNSL_ISQ_E10value_typeET4_jRbjT5_SW_jjP12ihipStream_tbEUlT_E2_NS1_11comp_targetILNS1_3genE10ELNS1_11target_archE1200ELNS1_3gpuE4ELNS1_3repE0EEENS1_30default_config_static_selectorELNS0_4arch9wavefront6targetE0EEEvSK_.kd
    .uniform_work_group_size: 1
    .uses_dynamic_stack: false
    .vgpr_count:     0
    .vgpr_spill_count: 0
    .wavefront_size: 32
  - .args:
      - .offset:         0
        .size:           80
        .value_kind:     by_value
    .group_segment_fixed_size: 0
    .kernarg_segment_align: 8
    .kernarg_segment_size: 80
    .language:       OpenCL C
    .language_version:
      - 2
      - 0
    .max_flat_workgroup_size: 256
    .name:           _ZN7rocprim17ROCPRIM_400000_NS6detail17trampoline_kernelINS0_14default_configENS1_36segmented_radix_sort_config_selectorIhlEEZNS1_25segmented_radix_sort_implIS3_Lb1EPKhPhPKlPlN2at6native12_GLOBAL__N_18offset_tEEE10hipError_tPvRmT1_PNSt15iterator_traitsISK_E10value_typeET2_T3_PNSL_ISQ_E10value_typeET4_jRbjT5_SW_jjP12ihipStream_tbEUlT_E2_NS1_11comp_targetILNS1_3genE9ELNS1_11target_archE1100ELNS1_3gpuE3ELNS1_3repE0EEENS1_30default_config_static_selectorELNS0_4arch9wavefront6targetE0EEEvSK_
    .private_segment_fixed_size: 0
    .sgpr_count:     0
    .sgpr_spill_count: 0
    .symbol:         _ZN7rocprim17ROCPRIM_400000_NS6detail17trampoline_kernelINS0_14default_configENS1_36segmented_radix_sort_config_selectorIhlEEZNS1_25segmented_radix_sort_implIS3_Lb1EPKhPhPKlPlN2at6native12_GLOBAL__N_18offset_tEEE10hipError_tPvRmT1_PNSt15iterator_traitsISK_E10value_typeET2_T3_PNSL_ISQ_E10value_typeET4_jRbjT5_SW_jjP12ihipStream_tbEUlT_E2_NS1_11comp_targetILNS1_3genE9ELNS1_11target_archE1100ELNS1_3gpuE3ELNS1_3repE0EEENS1_30default_config_static_selectorELNS0_4arch9wavefront6targetE0EEEvSK_.kd
    .uniform_work_group_size: 1
    .uses_dynamic_stack: false
    .vgpr_count:     0
    .vgpr_spill_count: 0
    .wavefront_size: 32
  - .args:
      - .offset:         0
        .size:           80
        .value_kind:     by_value
    .group_segment_fixed_size: 0
    .kernarg_segment_align: 8
    .kernarg_segment_size: 80
    .language:       OpenCL C
    .language_version:
      - 2
      - 0
    .max_flat_workgroup_size: 256
    .name:           _ZN7rocprim17ROCPRIM_400000_NS6detail17trampoline_kernelINS0_14default_configENS1_36segmented_radix_sort_config_selectorIhlEEZNS1_25segmented_radix_sort_implIS3_Lb1EPKhPhPKlPlN2at6native12_GLOBAL__N_18offset_tEEE10hipError_tPvRmT1_PNSt15iterator_traitsISK_E10value_typeET2_T3_PNSL_ISQ_E10value_typeET4_jRbjT5_SW_jjP12ihipStream_tbEUlT_E2_NS1_11comp_targetILNS1_3genE8ELNS1_11target_archE1030ELNS1_3gpuE2ELNS1_3repE0EEENS1_30default_config_static_selectorELNS0_4arch9wavefront6targetE0EEEvSK_
    .private_segment_fixed_size: 0
    .sgpr_count:     0
    .sgpr_spill_count: 0
    .symbol:         _ZN7rocprim17ROCPRIM_400000_NS6detail17trampoline_kernelINS0_14default_configENS1_36segmented_radix_sort_config_selectorIhlEEZNS1_25segmented_radix_sort_implIS3_Lb1EPKhPhPKlPlN2at6native12_GLOBAL__N_18offset_tEEE10hipError_tPvRmT1_PNSt15iterator_traitsISK_E10value_typeET2_T3_PNSL_ISQ_E10value_typeET4_jRbjT5_SW_jjP12ihipStream_tbEUlT_E2_NS1_11comp_targetILNS1_3genE8ELNS1_11target_archE1030ELNS1_3gpuE2ELNS1_3repE0EEENS1_30default_config_static_selectorELNS0_4arch9wavefront6targetE0EEEvSK_.kd
    .uniform_work_group_size: 1
    .uses_dynamic_stack: false
    .vgpr_count:     0
    .vgpr_spill_count: 0
    .wavefront_size: 32
  - .args:
      - .offset:         0
        .size:           176
        .value_kind:     by_value
    .group_segment_fixed_size: 13328
    .kernarg_segment_align: 8
    .kernarg_segment_size: 176
    .language:       OpenCL C
    .language_version:
      - 2
      - 0
    .max_flat_workgroup_size: 256
    .name:           _ZN7rocprim17ROCPRIM_400000_NS6detail17trampoline_kernelINS0_13select_configILj256ELj13ELNS0_17block_load_methodE3ELS4_3ELS4_3ELNS0_20block_scan_algorithmE0ELj4294967295EEENS1_25partition_config_selectorILNS1_17partition_subalgoE4EjNS0_10empty_typeEbEEZZNS1_14partition_implILS8_4ELb0ES6_15HIP_vector_typeIjLj2EENS0_17counting_iteratorIjlEEPS9_SG_NS0_5tupleIJPjSI_NS0_16reverse_iteratorISI_EEEEENSH_IJSG_SG_SG_EEES9_SI_JZNS1_25segmented_radix_sort_implINS0_14default_configELb0EPKhPhPKlPlN2at6native12_GLOBAL__N_18offset_tEEE10hipError_tPvRmT1_PNSt15iterator_traitsIS12_E10value_typeET2_T3_PNS13_IS18_E10value_typeET4_jRbjT5_S1E_jjP12ihipStream_tbEUljE_ZNSN_ISO_Lb0ESQ_SR_ST_SU_SY_EESZ_S10_S11_S12_S16_S17_S18_S1B_S1C_jS1D_jS1E_S1E_jjS1G_bEUljE0_EEESZ_S10_S11_S18_S1C_S1E_T6_T7_T9_mT8_S1G_bDpT10_ENKUlT_T0_E_clISt17integral_constantIbLb0EES1U_EEDaS1P_S1Q_EUlS1P_E_NS1_11comp_targetILNS1_3genE0ELNS1_11target_archE4294967295ELNS1_3gpuE0ELNS1_3repE0EEENS1_30default_config_static_selectorELNS0_4arch9wavefront6targetE0EEEvS12_
    .private_segment_fixed_size: 0
    .sgpr_count:     61
    .sgpr_spill_count: 0
    .symbol:         _ZN7rocprim17ROCPRIM_400000_NS6detail17trampoline_kernelINS0_13select_configILj256ELj13ELNS0_17block_load_methodE3ELS4_3ELS4_3ELNS0_20block_scan_algorithmE0ELj4294967295EEENS1_25partition_config_selectorILNS1_17partition_subalgoE4EjNS0_10empty_typeEbEEZZNS1_14partition_implILS8_4ELb0ES6_15HIP_vector_typeIjLj2EENS0_17counting_iteratorIjlEEPS9_SG_NS0_5tupleIJPjSI_NS0_16reverse_iteratorISI_EEEEENSH_IJSG_SG_SG_EEES9_SI_JZNS1_25segmented_radix_sort_implINS0_14default_configELb0EPKhPhPKlPlN2at6native12_GLOBAL__N_18offset_tEEE10hipError_tPvRmT1_PNSt15iterator_traitsIS12_E10value_typeET2_T3_PNS13_IS18_E10value_typeET4_jRbjT5_S1E_jjP12ihipStream_tbEUljE_ZNSN_ISO_Lb0ESQ_SR_ST_SU_SY_EESZ_S10_S11_S12_S16_S17_S18_S1B_S1C_jS1D_jS1E_S1E_jjS1G_bEUljE0_EEESZ_S10_S11_S18_S1C_S1E_T6_T7_T9_mT8_S1G_bDpT10_ENKUlT_T0_E_clISt17integral_constantIbLb0EES1U_EEDaS1P_S1Q_EUlS1P_E_NS1_11comp_targetILNS1_3genE0ELNS1_11target_archE4294967295ELNS1_3gpuE0ELNS1_3repE0EEENS1_30default_config_static_selectorELNS0_4arch9wavefront6targetE0EEEvS12_.kd
    .uniform_work_group_size: 1
    .uses_dynamic_stack: false
    .vgpr_count:     81
    .vgpr_spill_count: 0
    .wavefront_size: 32
  - .args:
      - .offset:         0
        .size:           176
        .value_kind:     by_value
    .group_segment_fixed_size: 0
    .kernarg_segment_align: 8
    .kernarg_segment_size: 176
    .language:       OpenCL C
    .language_version:
      - 2
      - 0
    .max_flat_workgroup_size: 256
    .name:           _ZN7rocprim17ROCPRIM_400000_NS6detail17trampoline_kernelINS0_13select_configILj256ELj13ELNS0_17block_load_methodE3ELS4_3ELS4_3ELNS0_20block_scan_algorithmE0ELj4294967295EEENS1_25partition_config_selectorILNS1_17partition_subalgoE4EjNS0_10empty_typeEbEEZZNS1_14partition_implILS8_4ELb0ES6_15HIP_vector_typeIjLj2EENS0_17counting_iteratorIjlEEPS9_SG_NS0_5tupleIJPjSI_NS0_16reverse_iteratorISI_EEEEENSH_IJSG_SG_SG_EEES9_SI_JZNS1_25segmented_radix_sort_implINS0_14default_configELb0EPKhPhPKlPlN2at6native12_GLOBAL__N_18offset_tEEE10hipError_tPvRmT1_PNSt15iterator_traitsIS12_E10value_typeET2_T3_PNS13_IS18_E10value_typeET4_jRbjT5_S1E_jjP12ihipStream_tbEUljE_ZNSN_ISO_Lb0ESQ_SR_ST_SU_SY_EESZ_S10_S11_S12_S16_S17_S18_S1B_S1C_jS1D_jS1E_S1E_jjS1G_bEUljE0_EEESZ_S10_S11_S18_S1C_S1E_T6_T7_T9_mT8_S1G_bDpT10_ENKUlT_T0_E_clISt17integral_constantIbLb0EES1U_EEDaS1P_S1Q_EUlS1P_E_NS1_11comp_targetILNS1_3genE5ELNS1_11target_archE942ELNS1_3gpuE9ELNS1_3repE0EEENS1_30default_config_static_selectorELNS0_4arch9wavefront6targetE0EEEvS12_
    .private_segment_fixed_size: 0
    .sgpr_count:     0
    .sgpr_spill_count: 0
    .symbol:         _ZN7rocprim17ROCPRIM_400000_NS6detail17trampoline_kernelINS0_13select_configILj256ELj13ELNS0_17block_load_methodE3ELS4_3ELS4_3ELNS0_20block_scan_algorithmE0ELj4294967295EEENS1_25partition_config_selectorILNS1_17partition_subalgoE4EjNS0_10empty_typeEbEEZZNS1_14partition_implILS8_4ELb0ES6_15HIP_vector_typeIjLj2EENS0_17counting_iteratorIjlEEPS9_SG_NS0_5tupleIJPjSI_NS0_16reverse_iteratorISI_EEEEENSH_IJSG_SG_SG_EEES9_SI_JZNS1_25segmented_radix_sort_implINS0_14default_configELb0EPKhPhPKlPlN2at6native12_GLOBAL__N_18offset_tEEE10hipError_tPvRmT1_PNSt15iterator_traitsIS12_E10value_typeET2_T3_PNS13_IS18_E10value_typeET4_jRbjT5_S1E_jjP12ihipStream_tbEUljE_ZNSN_ISO_Lb0ESQ_SR_ST_SU_SY_EESZ_S10_S11_S12_S16_S17_S18_S1B_S1C_jS1D_jS1E_S1E_jjS1G_bEUljE0_EEESZ_S10_S11_S18_S1C_S1E_T6_T7_T9_mT8_S1G_bDpT10_ENKUlT_T0_E_clISt17integral_constantIbLb0EES1U_EEDaS1P_S1Q_EUlS1P_E_NS1_11comp_targetILNS1_3genE5ELNS1_11target_archE942ELNS1_3gpuE9ELNS1_3repE0EEENS1_30default_config_static_selectorELNS0_4arch9wavefront6targetE0EEEvS12_.kd
    .uniform_work_group_size: 1
    .uses_dynamic_stack: false
    .vgpr_count:     0
    .vgpr_spill_count: 0
    .wavefront_size: 32
  - .args:
      - .offset:         0
        .size:           176
        .value_kind:     by_value
    .group_segment_fixed_size: 0
    .kernarg_segment_align: 8
    .kernarg_segment_size: 176
    .language:       OpenCL C
    .language_version:
      - 2
      - 0
    .max_flat_workgroup_size: 256
    .name:           _ZN7rocprim17ROCPRIM_400000_NS6detail17trampoline_kernelINS0_13select_configILj256ELj13ELNS0_17block_load_methodE3ELS4_3ELS4_3ELNS0_20block_scan_algorithmE0ELj4294967295EEENS1_25partition_config_selectorILNS1_17partition_subalgoE4EjNS0_10empty_typeEbEEZZNS1_14partition_implILS8_4ELb0ES6_15HIP_vector_typeIjLj2EENS0_17counting_iteratorIjlEEPS9_SG_NS0_5tupleIJPjSI_NS0_16reverse_iteratorISI_EEEEENSH_IJSG_SG_SG_EEES9_SI_JZNS1_25segmented_radix_sort_implINS0_14default_configELb0EPKhPhPKlPlN2at6native12_GLOBAL__N_18offset_tEEE10hipError_tPvRmT1_PNSt15iterator_traitsIS12_E10value_typeET2_T3_PNS13_IS18_E10value_typeET4_jRbjT5_S1E_jjP12ihipStream_tbEUljE_ZNSN_ISO_Lb0ESQ_SR_ST_SU_SY_EESZ_S10_S11_S12_S16_S17_S18_S1B_S1C_jS1D_jS1E_S1E_jjS1G_bEUljE0_EEESZ_S10_S11_S18_S1C_S1E_T6_T7_T9_mT8_S1G_bDpT10_ENKUlT_T0_E_clISt17integral_constantIbLb0EES1U_EEDaS1P_S1Q_EUlS1P_E_NS1_11comp_targetILNS1_3genE4ELNS1_11target_archE910ELNS1_3gpuE8ELNS1_3repE0EEENS1_30default_config_static_selectorELNS0_4arch9wavefront6targetE0EEEvS12_
    .private_segment_fixed_size: 0
    .sgpr_count:     0
    .sgpr_spill_count: 0
    .symbol:         _ZN7rocprim17ROCPRIM_400000_NS6detail17trampoline_kernelINS0_13select_configILj256ELj13ELNS0_17block_load_methodE3ELS4_3ELS4_3ELNS0_20block_scan_algorithmE0ELj4294967295EEENS1_25partition_config_selectorILNS1_17partition_subalgoE4EjNS0_10empty_typeEbEEZZNS1_14partition_implILS8_4ELb0ES6_15HIP_vector_typeIjLj2EENS0_17counting_iteratorIjlEEPS9_SG_NS0_5tupleIJPjSI_NS0_16reverse_iteratorISI_EEEEENSH_IJSG_SG_SG_EEES9_SI_JZNS1_25segmented_radix_sort_implINS0_14default_configELb0EPKhPhPKlPlN2at6native12_GLOBAL__N_18offset_tEEE10hipError_tPvRmT1_PNSt15iterator_traitsIS12_E10value_typeET2_T3_PNS13_IS18_E10value_typeET4_jRbjT5_S1E_jjP12ihipStream_tbEUljE_ZNSN_ISO_Lb0ESQ_SR_ST_SU_SY_EESZ_S10_S11_S12_S16_S17_S18_S1B_S1C_jS1D_jS1E_S1E_jjS1G_bEUljE0_EEESZ_S10_S11_S18_S1C_S1E_T6_T7_T9_mT8_S1G_bDpT10_ENKUlT_T0_E_clISt17integral_constantIbLb0EES1U_EEDaS1P_S1Q_EUlS1P_E_NS1_11comp_targetILNS1_3genE4ELNS1_11target_archE910ELNS1_3gpuE8ELNS1_3repE0EEENS1_30default_config_static_selectorELNS0_4arch9wavefront6targetE0EEEvS12_.kd
    .uniform_work_group_size: 1
    .uses_dynamic_stack: false
    .vgpr_count:     0
    .vgpr_spill_count: 0
    .wavefront_size: 32
  - .args:
      - .offset:         0
        .size:           176
        .value_kind:     by_value
    .group_segment_fixed_size: 0
    .kernarg_segment_align: 8
    .kernarg_segment_size: 176
    .language:       OpenCL C
    .language_version:
      - 2
      - 0
    .max_flat_workgroup_size: 256
    .name:           _ZN7rocprim17ROCPRIM_400000_NS6detail17trampoline_kernelINS0_13select_configILj256ELj13ELNS0_17block_load_methodE3ELS4_3ELS4_3ELNS0_20block_scan_algorithmE0ELj4294967295EEENS1_25partition_config_selectorILNS1_17partition_subalgoE4EjNS0_10empty_typeEbEEZZNS1_14partition_implILS8_4ELb0ES6_15HIP_vector_typeIjLj2EENS0_17counting_iteratorIjlEEPS9_SG_NS0_5tupleIJPjSI_NS0_16reverse_iteratorISI_EEEEENSH_IJSG_SG_SG_EEES9_SI_JZNS1_25segmented_radix_sort_implINS0_14default_configELb0EPKhPhPKlPlN2at6native12_GLOBAL__N_18offset_tEEE10hipError_tPvRmT1_PNSt15iterator_traitsIS12_E10value_typeET2_T3_PNS13_IS18_E10value_typeET4_jRbjT5_S1E_jjP12ihipStream_tbEUljE_ZNSN_ISO_Lb0ESQ_SR_ST_SU_SY_EESZ_S10_S11_S12_S16_S17_S18_S1B_S1C_jS1D_jS1E_S1E_jjS1G_bEUljE0_EEESZ_S10_S11_S18_S1C_S1E_T6_T7_T9_mT8_S1G_bDpT10_ENKUlT_T0_E_clISt17integral_constantIbLb0EES1U_EEDaS1P_S1Q_EUlS1P_E_NS1_11comp_targetILNS1_3genE3ELNS1_11target_archE908ELNS1_3gpuE7ELNS1_3repE0EEENS1_30default_config_static_selectorELNS0_4arch9wavefront6targetE0EEEvS12_
    .private_segment_fixed_size: 0
    .sgpr_count:     0
    .sgpr_spill_count: 0
    .symbol:         _ZN7rocprim17ROCPRIM_400000_NS6detail17trampoline_kernelINS0_13select_configILj256ELj13ELNS0_17block_load_methodE3ELS4_3ELS4_3ELNS0_20block_scan_algorithmE0ELj4294967295EEENS1_25partition_config_selectorILNS1_17partition_subalgoE4EjNS0_10empty_typeEbEEZZNS1_14partition_implILS8_4ELb0ES6_15HIP_vector_typeIjLj2EENS0_17counting_iteratorIjlEEPS9_SG_NS0_5tupleIJPjSI_NS0_16reverse_iteratorISI_EEEEENSH_IJSG_SG_SG_EEES9_SI_JZNS1_25segmented_radix_sort_implINS0_14default_configELb0EPKhPhPKlPlN2at6native12_GLOBAL__N_18offset_tEEE10hipError_tPvRmT1_PNSt15iterator_traitsIS12_E10value_typeET2_T3_PNS13_IS18_E10value_typeET4_jRbjT5_S1E_jjP12ihipStream_tbEUljE_ZNSN_ISO_Lb0ESQ_SR_ST_SU_SY_EESZ_S10_S11_S12_S16_S17_S18_S1B_S1C_jS1D_jS1E_S1E_jjS1G_bEUljE0_EEESZ_S10_S11_S18_S1C_S1E_T6_T7_T9_mT8_S1G_bDpT10_ENKUlT_T0_E_clISt17integral_constantIbLb0EES1U_EEDaS1P_S1Q_EUlS1P_E_NS1_11comp_targetILNS1_3genE3ELNS1_11target_archE908ELNS1_3gpuE7ELNS1_3repE0EEENS1_30default_config_static_selectorELNS0_4arch9wavefront6targetE0EEEvS12_.kd
    .uniform_work_group_size: 1
    .uses_dynamic_stack: false
    .vgpr_count:     0
    .vgpr_spill_count: 0
    .wavefront_size: 32
  - .args:
      - .offset:         0
        .size:           176
        .value_kind:     by_value
    .group_segment_fixed_size: 0
    .kernarg_segment_align: 8
    .kernarg_segment_size: 176
    .language:       OpenCL C
    .language_version:
      - 2
      - 0
    .max_flat_workgroup_size: 256
    .name:           _ZN7rocprim17ROCPRIM_400000_NS6detail17trampoline_kernelINS0_13select_configILj256ELj13ELNS0_17block_load_methodE3ELS4_3ELS4_3ELNS0_20block_scan_algorithmE0ELj4294967295EEENS1_25partition_config_selectorILNS1_17partition_subalgoE4EjNS0_10empty_typeEbEEZZNS1_14partition_implILS8_4ELb0ES6_15HIP_vector_typeIjLj2EENS0_17counting_iteratorIjlEEPS9_SG_NS0_5tupleIJPjSI_NS0_16reverse_iteratorISI_EEEEENSH_IJSG_SG_SG_EEES9_SI_JZNS1_25segmented_radix_sort_implINS0_14default_configELb0EPKhPhPKlPlN2at6native12_GLOBAL__N_18offset_tEEE10hipError_tPvRmT1_PNSt15iterator_traitsIS12_E10value_typeET2_T3_PNS13_IS18_E10value_typeET4_jRbjT5_S1E_jjP12ihipStream_tbEUljE_ZNSN_ISO_Lb0ESQ_SR_ST_SU_SY_EESZ_S10_S11_S12_S16_S17_S18_S1B_S1C_jS1D_jS1E_S1E_jjS1G_bEUljE0_EEESZ_S10_S11_S18_S1C_S1E_T6_T7_T9_mT8_S1G_bDpT10_ENKUlT_T0_E_clISt17integral_constantIbLb0EES1U_EEDaS1P_S1Q_EUlS1P_E_NS1_11comp_targetILNS1_3genE2ELNS1_11target_archE906ELNS1_3gpuE6ELNS1_3repE0EEENS1_30default_config_static_selectorELNS0_4arch9wavefront6targetE0EEEvS12_
    .private_segment_fixed_size: 0
    .sgpr_count:     0
    .sgpr_spill_count: 0
    .symbol:         _ZN7rocprim17ROCPRIM_400000_NS6detail17trampoline_kernelINS0_13select_configILj256ELj13ELNS0_17block_load_methodE3ELS4_3ELS4_3ELNS0_20block_scan_algorithmE0ELj4294967295EEENS1_25partition_config_selectorILNS1_17partition_subalgoE4EjNS0_10empty_typeEbEEZZNS1_14partition_implILS8_4ELb0ES6_15HIP_vector_typeIjLj2EENS0_17counting_iteratorIjlEEPS9_SG_NS0_5tupleIJPjSI_NS0_16reverse_iteratorISI_EEEEENSH_IJSG_SG_SG_EEES9_SI_JZNS1_25segmented_radix_sort_implINS0_14default_configELb0EPKhPhPKlPlN2at6native12_GLOBAL__N_18offset_tEEE10hipError_tPvRmT1_PNSt15iterator_traitsIS12_E10value_typeET2_T3_PNS13_IS18_E10value_typeET4_jRbjT5_S1E_jjP12ihipStream_tbEUljE_ZNSN_ISO_Lb0ESQ_SR_ST_SU_SY_EESZ_S10_S11_S12_S16_S17_S18_S1B_S1C_jS1D_jS1E_S1E_jjS1G_bEUljE0_EEESZ_S10_S11_S18_S1C_S1E_T6_T7_T9_mT8_S1G_bDpT10_ENKUlT_T0_E_clISt17integral_constantIbLb0EES1U_EEDaS1P_S1Q_EUlS1P_E_NS1_11comp_targetILNS1_3genE2ELNS1_11target_archE906ELNS1_3gpuE6ELNS1_3repE0EEENS1_30default_config_static_selectorELNS0_4arch9wavefront6targetE0EEEvS12_.kd
    .uniform_work_group_size: 1
    .uses_dynamic_stack: false
    .vgpr_count:     0
    .vgpr_spill_count: 0
    .wavefront_size: 32
  - .args:
      - .offset:         0
        .size:           176
        .value_kind:     by_value
    .group_segment_fixed_size: 0
    .kernarg_segment_align: 8
    .kernarg_segment_size: 176
    .language:       OpenCL C
    .language_version:
      - 2
      - 0
    .max_flat_workgroup_size: 256
    .name:           _ZN7rocprim17ROCPRIM_400000_NS6detail17trampoline_kernelINS0_13select_configILj256ELj13ELNS0_17block_load_methodE3ELS4_3ELS4_3ELNS0_20block_scan_algorithmE0ELj4294967295EEENS1_25partition_config_selectorILNS1_17partition_subalgoE4EjNS0_10empty_typeEbEEZZNS1_14partition_implILS8_4ELb0ES6_15HIP_vector_typeIjLj2EENS0_17counting_iteratorIjlEEPS9_SG_NS0_5tupleIJPjSI_NS0_16reverse_iteratorISI_EEEEENSH_IJSG_SG_SG_EEES9_SI_JZNS1_25segmented_radix_sort_implINS0_14default_configELb0EPKhPhPKlPlN2at6native12_GLOBAL__N_18offset_tEEE10hipError_tPvRmT1_PNSt15iterator_traitsIS12_E10value_typeET2_T3_PNS13_IS18_E10value_typeET4_jRbjT5_S1E_jjP12ihipStream_tbEUljE_ZNSN_ISO_Lb0ESQ_SR_ST_SU_SY_EESZ_S10_S11_S12_S16_S17_S18_S1B_S1C_jS1D_jS1E_S1E_jjS1G_bEUljE0_EEESZ_S10_S11_S18_S1C_S1E_T6_T7_T9_mT8_S1G_bDpT10_ENKUlT_T0_E_clISt17integral_constantIbLb0EES1U_EEDaS1P_S1Q_EUlS1P_E_NS1_11comp_targetILNS1_3genE10ELNS1_11target_archE1200ELNS1_3gpuE4ELNS1_3repE0EEENS1_30default_config_static_selectorELNS0_4arch9wavefront6targetE0EEEvS12_
    .private_segment_fixed_size: 0
    .sgpr_count:     0
    .sgpr_spill_count: 0
    .symbol:         _ZN7rocprim17ROCPRIM_400000_NS6detail17trampoline_kernelINS0_13select_configILj256ELj13ELNS0_17block_load_methodE3ELS4_3ELS4_3ELNS0_20block_scan_algorithmE0ELj4294967295EEENS1_25partition_config_selectorILNS1_17partition_subalgoE4EjNS0_10empty_typeEbEEZZNS1_14partition_implILS8_4ELb0ES6_15HIP_vector_typeIjLj2EENS0_17counting_iteratorIjlEEPS9_SG_NS0_5tupleIJPjSI_NS0_16reverse_iteratorISI_EEEEENSH_IJSG_SG_SG_EEES9_SI_JZNS1_25segmented_radix_sort_implINS0_14default_configELb0EPKhPhPKlPlN2at6native12_GLOBAL__N_18offset_tEEE10hipError_tPvRmT1_PNSt15iterator_traitsIS12_E10value_typeET2_T3_PNS13_IS18_E10value_typeET4_jRbjT5_S1E_jjP12ihipStream_tbEUljE_ZNSN_ISO_Lb0ESQ_SR_ST_SU_SY_EESZ_S10_S11_S12_S16_S17_S18_S1B_S1C_jS1D_jS1E_S1E_jjS1G_bEUljE0_EEESZ_S10_S11_S18_S1C_S1E_T6_T7_T9_mT8_S1G_bDpT10_ENKUlT_T0_E_clISt17integral_constantIbLb0EES1U_EEDaS1P_S1Q_EUlS1P_E_NS1_11comp_targetILNS1_3genE10ELNS1_11target_archE1200ELNS1_3gpuE4ELNS1_3repE0EEENS1_30default_config_static_selectorELNS0_4arch9wavefront6targetE0EEEvS12_.kd
    .uniform_work_group_size: 1
    .uses_dynamic_stack: false
    .vgpr_count:     0
    .vgpr_spill_count: 0
    .wavefront_size: 32
  - .args:
      - .offset:         0
        .size:           176
        .value_kind:     by_value
    .group_segment_fixed_size: 0
    .kernarg_segment_align: 8
    .kernarg_segment_size: 176
    .language:       OpenCL C
    .language_version:
      - 2
      - 0
    .max_flat_workgroup_size: 256
    .name:           _ZN7rocprim17ROCPRIM_400000_NS6detail17trampoline_kernelINS0_13select_configILj256ELj13ELNS0_17block_load_methodE3ELS4_3ELS4_3ELNS0_20block_scan_algorithmE0ELj4294967295EEENS1_25partition_config_selectorILNS1_17partition_subalgoE4EjNS0_10empty_typeEbEEZZNS1_14partition_implILS8_4ELb0ES6_15HIP_vector_typeIjLj2EENS0_17counting_iteratorIjlEEPS9_SG_NS0_5tupleIJPjSI_NS0_16reverse_iteratorISI_EEEEENSH_IJSG_SG_SG_EEES9_SI_JZNS1_25segmented_radix_sort_implINS0_14default_configELb0EPKhPhPKlPlN2at6native12_GLOBAL__N_18offset_tEEE10hipError_tPvRmT1_PNSt15iterator_traitsIS12_E10value_typeET2_T3_PNS13_IS18_E10value_typeET4_jRbjT5_S1E_jjP12ihipStream_tbEUljE_ZNSN_ISO_Lb0ESQ_SR_ST_SU_SY_EESZ_S10_S11_S12_S16_S17_S18_S1B_S1C_jS1D_jS1E_S1E_jjS1G_bEUljE0_EEESZ_S10_S11_S18_S1C_S1E_T6_T7_T9_mT8_S1G_bDpT10_ENKUlT_T0_E_clISt17integral_constantIbLb0EES1U_EEDaS1P_S1Q_EUlS1P_E_NS1_11comp_targetILNS1_3genE9ELNS1_11target_archE1100ELNS1_3gpuE3ELNS1_3repE0EEENS1_30default_config_static_selectorELNS0_4arch9wavefront6targetE0EEEvS12_
    .private_segment_fixed_size: 0
    .sgpr_count:     0
    .sgpr_spill_count: 0
    .symbol:         _ZN7rocprim17ROCPRIM_400000_NS6detail17trampoline_kernelINS0_13select_configILj256ELj13ELNS0_17block_load_methodE3ELS4_3ELS4_3ELNS0_20block_scan_algorithmE0ELj4294967295EEENS1_25partition_config_selectorILNS1_17partition_subalgoE4EjNS0_10empty_typeEbEEZZNS1_14partition_implILS8_4ELb0ES6_15HIP_vector_typeIjLj2EENS0_17counting_iteratorIjlEEPS9_SG_NS0_5tupleIJPjSI_NS0_16reverse_iteratorISI_EEEEENSH_IJSG_SG_SG_EEES9_SI_JZNS1_25segmented_radix_sort_implINS0_14default_configELb0EPKhPhPKlPlN2at6native12_GLOBAL__N_18offset_tEEE10hipError_tPvRmT1_PNSt15iterator_traitsIS12_E10value_typeET2_T3_PNS13_IS18_E10value_typeET4_jRbjT5_S1E_jjP12ihipStream_tbEUljE_ZNSN_ISO_Lb0ESQ_SR_ST_SU_SY_EESZ_S10_S11_S12_S16_S17_S18_S1B_S1C_jS1D_jS1E_S1E_jjS1G_bEUljE0_EEESZ_S10_S11_S18_S1C_S1E_T6_T7_T9_mT8_S1G_bDpT10_ENKUlT_T0_E_clISt17integral_constantIbLb0EES1U_EEDaS1P_S1Q_EUlS1P_E_NS1_11comp_targetILNS1_3genE9ELNS1_11target_archE1100ELNS1_3gpuE3ELNS1_3repE0EEENS1_30default_config_static_selectorELNS0_4arch9wavefront6targetE0EEEvS12_.kd
    .uniform_work_group_size: 1
    .uses_dynamic_stack: false
    .vgpr_count:     0
    .vgpr_spill_count: 0
    .wavefront_size: 32
  - .args:
      - .offset:         0
        .size:           176
        .value_kind:     by_value
    .group_segment_fixed_size: 0
    .kernarg_segment_align: 8
    .kernarg_segment_size: 176
    .language:       OpenCL C
    .language_version:
      - 2
      - 0
    .max_flat_workgroup_size: 256
    .name:           _ZN7rocprim17ROCPRIM_400000_NS6detail17trampoline_kernelINS0_13select_configILj256ELj13ELNS0_17block_load_methodE3ELS4_3ELS4_3ELNS0_20block_scan_algorithmE0ELj4294967295EEENS1_25partition_config_selectorILNS1_17partition_subalgoE4EjNS0_10empty_typeEbEEZZNS1_14partition_implILS8_4ELb0ES6_15HIP_vector_typeIjLj2EENS0_17counting_iteratorIjlEEPS9_SG_NS0_5tupleIJPjSI_NS0_16reverse_iteratorISI_EEEEENSH_IJSG_SG_SG_EEES9_SI_JZNS1_25segmented_radix_sort_implINS0_14default_configELb0EPKhPhPKlPlN2at6native12_GLOBAL__N_18offset_tEEE10hipError_tPvRmT1_PNSt15iterator_traitsIS12_E10value_typeET2_T3_PNS13_IS18_E10value_typeET4_jRbjT5_S1E_jjP12ihipStream_tbEUljE_ZNSN_ISO_Lb0ESQ_SR_ST_SU_SY_EESZ_S10_S11_S12_S16_S17_S18_S1B_S1C_jS1D_jS1E_S1E_jjS1G_bEUljE0_EEESZ_S10_S11_S18_S1C_S1E_T6_T7_T9_mT8_S1G_bDpT10_ENKUlT_T0_E_clISt17integral_constantIbLb0EES1U_EEDaS1P_S1Q_EUlS1P_E_NS1_11comp_targetILNS1_3genE8ELNS1_11target_archE1030ELNS1_3gpuE2ELNS1_3repE0EEENS1_30default_config_static_selectorELNS0_4arch9wavefront6targetE0EEEvS12_
    .private_segment_fixed_size: 0
    .sgpr_count:     0
    .sgpr_spill_count: 0
    .symbol:         _ZN7rocprim17ROCPRIM_400000_NS6detail17trampoline_kernelINS0_13select_configILj256ELj13ELNS0_17block_load_methodE3ELS4_3ELS4_3ELNS0_20block_scan_algorithmE0ELj4294967295EEENS1_25partition_config_selectorILNS1_17partition_subalgoE4EjNS0_10empty_typeEbEEZZNS1_14partition_implILS8_4ELb0ES6_15HIP_vector_typeIjLj2EENS0_17counting_iteratorIjlEEPS9_SG_NS0_5tupleIJPjSI_NS0_16reverse_iteratorISI_EEEEENSH_IJSG_SG_SG_EEES9_SI_JZNS1_25segmented_radix_sort_implINS0_14default_configELb0EPKhPhPKlPlN2at6native12_GLOBAL__N_18offset_tEEE10hipError_tPvRmT1_PNSt15iterator_traitsIS12_E10value_typeET2_T3_PNS13_IS18_E10value_typeET4_jRbjT5_S1E_jjP12ihipStream_tbEUljE_ZNSN_ISO_Lb0ESQ_SR_ST_SU_SY_EESZ_S10_S11_S12_S16_S17_S18_S1B_S1C_jS1D_jS1E_S1E_jjS1G_bEUljE0_EEESZ_S10_S11_S18_S1C_S1E_T6_T7_T9_mT8_S1G_bDpT10_ENKUlT_T0_E_clISt17integral_constantIbLb0EES1U_EEDaS1P_S1Q_EUlS1P_E_NS1_11comp_targetILNS1_3genE8ELNS1_11target_archE1030ELNS1_3gpuE2ELNS1_3repE0EEENS1_30default_config_static_selectorELNS0_4arch9wavefront6targetE0EEEvS12_.kd
    .uniform_work_group_size: 1
    .uses_dynamic_stack: false
    .vgpr_count:     0
    .vgpr_spill_count: 0
    .wavefront_size: 32
  - .args:
      - .offset:         0
        .size:           184
        .value_kind:     by_value
    .group_segment_fixed_size: 0
    .kernarg_segment_align: 8
    .kernarg_segment_size: 184
    .language:       OpenCL C
    .language_version:
      - 2
      - 0
    .max_flat_workgroup_size: 256
    .name:           _ZN7rocprim17ROCPRIM_400000_NS6detail17trampoline_kernelINS0_13select_configILj256ELj13ELNS0_17block_load_methodE3ELS4_3ELS4_3ELNS0_20block_scan_algorithmE0ELj4294967295EEENS1_25partition_config_selectorILNS1_17partition_subalgoE4EjNS0_10empty_typeEbEEZZNS1_14partition_implILS8_4ELb0ES6_15HIP_vector_typeIjLj2EENS0_17counting_iteratorIjlEEPS9_SG_NS0_5tupleIJPjSI_NS0_16reverse_iteratorISI_EEEEENSH_IJSG_SG_SG_EEES9_SI_JZNS1_25segmented_radix_sort_implINS0_14default_configELb0EPKhPhPKlPlN2at6native12_GLOBAL__N_18offset_tEEE10hipError_tPvRmT1_PNSt15iterator_traitsIS12_E10value_typeET2_T3_PNS13_IS18_E10value_typeET4_jRbjT5_S1E_jjP12ihipStream_tbEUljE_ZNSN_ISO_Lb0ESQ_SR_ST_SU_SY_EESZ_S10_S11_S12_S16_S17_S18_S1B_S1C_jS1D_jS1E_S1E_jjS1G_bEUljE0_EEESZ_S10_S11_S18_S1C_S1E_T6_T7_T9_mT8_S1G_bDpT10_ENKUlT_T0_E_clISt17integral_constantIbLb1EES1U_EEDaS1P_S1Q_EUlS1P_E_NS1_11comp_targetILNS1_3genE0ELNS1_11target_archE4294967295ELNS1_3gpuE0ELNS1_3repE0EEENS1_30default_config_static_selectorELNS0_4arch9wavefront6targetE0EEEvS12_
    .private_segment_fixed_size: 0
    .sgpr_count:     0
    .sgpr_spill_count: 0
    .symbol:         _ZN7rocprim17ROCPRIM_400000_NS6detail17trampoline_kernelINS0_13select_configILj256ELj13ELNS0_17block_load_methodE3ELS4_3ELS4_3ELNS0_20block_scan_algorithmE0ELj4294967295EEENS1_25partition_config_selectorILNS1_17partition_subalgoE4EjNS0_10empty_typeEbEEZZNS1_14partition_implILS8_4ELb0ES6_15HIP_vector_typeIjLj2EENS0_17counting_iteratorIjlEEPS9_SG_NS0_5tupleIJPjSI_NS0_16reverse_iteratorISI_EEEEENSH_IJSG_SG_SG_EEES9_SI_JZNS1_25segmented_radix_sort_implINS0_14default_configELb0EPKhPhPKlPlN2at6native12_GLOBAL__N_18offset_tEEE10hipError_tPvRmT1_PNSt15iterator_traitsIS12_E10value_typeET2_T3_PNS13_IS18_E10value_typeET4_jRbjT5_S1E_jjP12ihipStream_tbEUljE_ZNSN_ISO_Lb0ESQ_SR_ST_SU_SY_EESZ_S10_S11_S12_S16_S17_S18_S1B_S1C_jS1D_jS1E_S1E_jjS1G_bEUljE0_EEESZ_S10_S11_S18_S1C_S1E_T6_T7_T9_mT8_S1G_bDpT10_ENKUlT_T0_E_clISt17integral_constantIbLb1EES1U_EEDaS1P_S1Q_EUlS1P_E_NS1_11comp_targetILNS1_3genE0ELNS1_11target_archE4294967295ELNS1_3gpuE0ELNS1_3repE0EEENS1_30default_config_static_selectorELNS0_4arch9wavefront6targetE0EEEvS12_.kd
    .uniform_work_group_size: 1
    .uses_dynamic_stack: false
    .vgpr_count:     0
    .vgpr_spill_count: 0
    .wavefront_size: 32
  - .args:
      - .offset:         0
        .size:           184
        .value_kind:     by_value
    .group_segment_fixed_size: 0
    .kernarg_segment_align: 8
    .kernarg_segment_size: 184
    .language:       OpenCL C
    .language_version:
      - 2
      - 0
    .max_flat_workgroup_size: 256
    .name:           _ZN7rocprim17ROCPRIM_400000_NS6detail17trampoline_kernelINS0_13select_configILj256ELj13ELNS0_17block_load_methodE3ELS4_3ELS4_3ELNS0_20block_scan_algorithmE0ELj4294967295EEENS1_25partition_config_selectorILNS1_17partition_subalgoE4EjNS0_10empty_typeEbEEZZNS1_14partition_implILS8_4ELb0ES6_15HIP_vector_typeIjLj2EENS0_17counting_iteratorIjlEEPS9_SG_NS0_5tupleIJPjSI_NS0_16reverse_iteratorISI_EEEEENSH_IJSG_SG_SG_EEES9_SI_JZNS1_25segmented_radix_sort_implINS0_14default_configELb0EPKhPhPKlPlN2at6native12_GLOBAL__N_18offset_tEEE10hipError_tPvRmT1_PNSt15iterator_traitsIS12_E10value_typeET2_T3_PNS13_IS18_E10value_typeET4_jRbjT5_S1E_jjP12ihipStream_tbEUljE_ZNSN_ISO_Lb0ESQ_SR_ST_SU_SY_EESZ_S10_S11_S12_S16_S17_S18_S1B_S1C_jS1D_jS1E_S1E_jjS1G_bEUljE0_EEESZ_S10_S11_S18_S1C_S1E_T6_T7_T9_mT8_S1G_bDpT10_ENKUlT_T0_E_clISt17integral_constantIbLb1EES1U_EEDaS1P_S1Q_EUlS1P_E_NS1_11comp_targetILNS1_3genE5ELNS1_11target_archE942ELNS1_3gpuE9ELNS1_3repE0EEENS1_30default_config_static_selectorELNS0_4arch9wavefront6targetE0EEEvS12_
    .private_segment_fixed_size: 0
    .sgpr_count:     0
    .sgpr_spill_count: 0
    .symbol:         _ZN7rocprim17ROCPRIM_400000_NS6detail17trampoline_kernelINS0_13select_configILj256ELj13ELNS0_17block_load_methodE3ELS4_3ELS4_3ELNS0_20block_scan_algorithmE0ELj4294967295EEENS1_25partition_config_selectorILNS1_17partition_subalgoE4EjNS0_10empty_typeEbEEZZNS1_14partition_implILS8_4ELb0ES6_15HIP_vector_typeIjLj2EENS0_17counting_iteratorIjlEEPS9_SG_NS0_5tupleIJPjSI_NS0_16reverse_iteratorISI_EEEEENSH_IJSG_SG_SG_EEES9_SI_JZNS1_25segmented_radix_sort_implINS0_14default_configELb0EPKhPhPKlPlN2at6native12_GLOBAL__N_18offset_tEEE10hipError_tPvRmT1_PNSt15iterator_traitsIS12_E10value_typeET2_T3_PNS13_IS18_E10value_typeET4_jRbjT5_S1E_jjP12ihipStream_tbEUljE_ZNSN_ISO_Lb0ESQ_SR_ST_SU_SY_EESZ_S10_S11_S12_S16_S17_S18_S1B_S1C_jS1D_jS1E_S1E_jjS1G_bEUljE0_EEESZ_S10_S11_S18_S1C_S1E_T6_T7_T9_mT8_S1G_bDpT10_ENKUlT_T0_E_clISt17integral_constantIbLb1EES1U_EEDaS1P_S1Q_EUlS1P_E_NS1_11comp_targetILNS1_3genE5ELNS1_11target_archE942ELNS1_3gpuE9ELNS1_3repE0EEENS1_30default_config_static_selectorELNS0_4arch9wavefront6targetE0EEEvS12_.kd
    .uniform_work_group_size: 1
    .uses_dynamic_stack: false
    .vgpr_count:     0
    .vgpr_spill_count: 0
    .wavefront_size: 32
  - .args:
      - .offset:         0
        .size:           184
        .value_kind:     by_value
    .group_segment_fixed_size: 0
    .kernarg_segment_align: 8
    .kernarg_segment_size: 184
    .language:       OpenCL C
    .language_version:
      - 2
      - 0
    .max_flat_workgroup_size: 256
    .name:           _ZN7rocprim17ROCPRIM_400000_NS6detail17trampoline_kernelINS0_13select_configILj256ELj13ELNS0_17block_load_methodE3ELS4_3ELS4_3ELNS0_20block_scan_algorithmE0ELj4294967295EEENS1_25partition_config_selectorILNS1_17partition_subalgoE4EjNS0_10empty_typeEbEEZZNS1_14partition_implILS8_4ELb0ES6_15HIP_vector_typeIjLj2EENS0_17counting_iteratorIjlEEPS9_SG_NS0_5tupleIJPjSI_NS0_16reverse_iteratorISI_EEEEENSH_IJSG_SG_SG_EEES9_SI_JZNS1_25segmented_radix_sort_implINS0_14default_configELb0EPKhPhPKlPlN2at6native12_GLOBAL__N_18offset_tEEE10hipError_tPvRmT1_PNSt15iterator_traitsIS12_E10value_typeET2_T3_PNS13_IS18_E10value_typeET4_jRbjT5_S1E_jjP12ihipStream_tbEUljE_ZNSN_ISO_Lb0ESQ_SR_ST_SU_SY_EESZ_S10_S11_S12_S16_S17_S18_S1B_S1C_jS1D_jS1E_S1E_jjS1G_bEUljE0_EEESZ_S10_S11_S18_S1C_S1E_T6_T7_T9_mT8_S1G_bDpT10_ENKUlT_T0_E_clISt17integral_constantIbLb1EES1U_EEDaS1P_S1Q_EUlS1P_E_NS1_11comp_targetILNS1_3genE4ELNS1_11target_archE910ELNS1_3gpuE8ELNS1_3repE0EEENS1_30default_config_static_selectorELNS0_4arch9wavefront6targetE0EEEvS12_
    .private_segment_fixed_size: 0
    .sgpr_count:     0
    .sgpr_spill_count: 0
    .symbol:         _ZN7rocprim17ROCPRIM_400000_NS6detail17trampoline_kernelINS0_13select_configILj256ELj13ELNS0_17block_load_methodE3ELS4_3ELS4_3ELNS0_20block_scan_algorithmE0ELj4294967295EEENS1_25partition_config_selectorILNS1_17partition_subalgoE4EjNS0_10empty_typeEbEEZZNS1_14partition_implILS8_4ELb0ES6_15HIP_vector_typeIjLj2EENS0_17counting_iteratorIjlEEPS9_SG_NS0_5tupleIJPjSI_NS0_16reverse_iteratorISI_EEEEENSH_IJSG_SG_SG_EEES9_SI_JZNS1_25segmented_radix_sort_implINS0_14default_configELb0EPKhPhPKlPlN2at6native12_GLOBAL__N_18offset_tEEE10hipError_tPvRmT1_PNSt15iterator_traitsIS12_E10value_typeET2_T3_PNS13_IS18_E10value_typeET4_jRbjT5_S1E_jjP12ihipStream_tbEUljE_ZNSN_ISO_Lb0ESQ_SR_ST_SU_SY_EESZ_S10_S11_S12_S16_S17_S18_S1B_S1C_jS1D_jS1E_S1E_jjS1G_bEUljE0_EEESZ_S10_S11_S18_S1C_S1E_T6_T7_T9_mT8_S1G_bDpT10_ENKUlT_T0_E_clISt17integral_constantIbLb1EES1U_EEDaS1P_S1Q_EUlS1P_E_NS1_11comp_targetILNS1_3genE4ELNS1_11target_archE910ELNS1_3gpuE8ELNS1_3repE0EEENS1_30default_config_static_selectorELNS0_4arch9wavefront6targetE0EEEvS12_.kd
    .uniform_work_group_size: 1
    .uses_dynamic_stack: false
    .vgpr_count:     0
    .vgpr_spill_count: 0
    .wavefront_size: 32
  - .args:
      - .offset:         0
        .size:           184
        .value_kind:     by_value
    .group_segment_fixed_size: 0
    .kernarg_segment_align: 8
    .kernarg_segment_size: 184
    .language:       OpenCL C
    .language_version:
      - 2
      - 0
    .max_flat_workgroup_size: 256
    .name:           _ZN7rocprim17ROCPRIM_400000_NS6detail17trampoline_kernelINS0_13select_configILj256ELj13ELNS0_17block_load_methodE3ELS4_3ELS4_3ELNS0_20block_scan_algorithmE0ELj4294967295EEENS1_25partition_config_selectorILNS1_17partition_subalgoE4EjNS0_10empty_typeEbEEZZNS1_14partition_implILS8_4ELb0ES6_15HIP_vector_typeIjLj2EENS0_17counting_iteratorIjlEEPS9_SG_NS0_5tupleIJPjSI_NS0_16reverse_iteratorISI_EEEEENSH_IJSG_SG_SG_EEES9_SI_JZNS1_25segmented_radix_sort_implINS0_14default_configELb0EPKhPhPKlPlN2at6native12_GLOBAL__N_18offset_tEEE10hipError_tPvRmT1_PNSt15iterator_traitsIS12_E10value_typeET2_T3_PNS13_IS18_E10value_typeET4_jRbjT5_S1E_jjP12ihipStream_tbEUljE_ZNSN_ISO_Lb0ESQ_SR_ST_SU_SY_EESZ_S10_S11_S12_S16_S17_S18_S1B_S1C_jS1D_jS1E_S1E_jjS1G_bEUljE0_EEESZ_S10_S11_S18_S1C_S1E_T6_T7_T9_mT8_S1G_bDpT10_ENKUlT_T0_E_clISt17integral_constantIbLb1EES1U_EEDaS1P_S1Q_EUlS1P_E_NS1_11comp_targetILNS1_3genE3ELNS1_11target_archE908ELNS1_3gpuE7ELNS1_3repE0EEENS1_30default_config_static_selectorELNS0_4arch9wavefront6targetE0EEEvS12_
    .private_segment_fixed_size: 0
    .sgpr_count:     0
    .sgpr_spill_count: 0
    .symbol:         _ZN7rocprim17ROCPRIM_400000_NS6detail17trampoline_kernelINS0_13select_configILj256ELj13ELNS0_17block_load_methodE3ELS4_3ELS4_3ELNS0_20block_scan_algorithmE0ELj4294967295EEENS1_25partition_config_selectorILNS1_17partition_subalgoE4EjNS0_10empty_typeEbEEZZNS1_14partition_implILS8_4ELb0ES6_15HIP_vector_typeIjLj2EENS0_17counting_iteratorIjlEEPS9_SG_NS0_5tupleIJPjSI_NS0_16reverse_iteratorISI_EEEEENSH_IJSG_SG_SG_EEES9_SI_JZNS1_25segmented_radix_sort_implINS0_14default_configELb0EPKhPhPKlPlN2at6native12_GLOBAL__N_18offset_tEEE10hipError_tPvRmT1_PNSt15iterator_traitsIS12_E10value_typeET2_T3_PNS13_IS18_E10value_typeET4_jRbjT5_S1E_jjP12ihipStream_tbEUljE_ZNSN_ISO_Lb0ESQ_SR_ST_SU_SY_EESZ_S10_S11_S12_S16_S17_S18_S1B_S1C_jS1D_jS1E_S1E_jjS1G_bEUljE0_EEESZ_S10_S11_S18_S1C_S1E_T6_T7_T9_mT8_S1G_bDpT10_ENKUlT_T0_E_clISt17integral_constantIbLb1EES1U_EEDaS1P_S1Q_EUlS1P_E_NS1_11comp_targetILNS1_3genE3ELNS1_11target_archE908ELNS1_3gpuE7ELNS1_3repE0EEENS1_30default_config_static_selectorELNS0_4arch9wavefront6targetE0EEEvS12_.kd
    .uniform_work_group_size: 1
    .uses_dynamic_stack: false
    .vgpr_count:     0
    .vgpr_spill_count: 0
    .wavefront_size: 32
  - .args:
      - .offset:         0
        .size:           184
        .value_kind:     by_value
    .group_segment_fixed_size: 0
    .kernarg_segment_align: 8
    .kernarg_segment_size: 184
    .language:       OpenCL C
    .language_version:
      - 2
      - 0
    .max_flat_workgroup_size: 256
    .name:           _ZN7rocprim17ROCPRIM_400000_NS6detail17trampoline_kernelINS0_13select_configILj256ELj13ELNS0_17block_load_methodE3ELS4_3ELS4_3ELNS0_20block_scan_algorithmE0ELj4294967295EEENS1_25partition_config_selectorILNS1_17partition_subalgoE4EjNS0_10empty_typeEbEEZZNS1_14partition_implILS8_4ELb0ES6_15HIP_vector_typeIjLj2EENS0_17counting_iteratorIjlEEPS9_SG_NS0_5tupleIJPjSI_NS0_16reverse_iteratorISI_EEEEENSH_IJSG_SG_SG_EEES9_SI_JZNS1_25segmented_radix_sort_implINS0_14default_configELb0EPKhPhPKlPlN2at6native12_GLOBAL__N_18offset_tEEE10hipError_tPvRmT1_PNSt15iterator_traitsIS12_E10value_typeET2_T3_PNS13_IS18_E10value_typeET4_jRbjT5_S1E_jjP12ihipStream_tbEUljE_ZNSN_ISO_Lb0ESQ_SR_ST_SU_SY_EESZ_S10_S11_S12_S16_S17_S18_S1B_S1C_jS1D_jS1E_S1E_jjS1G_bEUljE0_EEESZ_S10_S11_S18_S1C_S1E_T6_T7_T9_mT8_S1G_bDpT10_ENKUlT_T0_E_clISt17integral_constantIbLb1EES1U_EEDaS1P_S1Q_EUlS1P_E_NS1_11comp_targetILNS1_3genE2ELNS1_11target_archE906ELNS1_3gpuE6ELNS1_3repE0EEENS1_30default_config_static_selectorELNS0_4arch9wavefront6targetE0EEEvS12_
    .private_segment_fixed_size: 0
    .sgpr_count:     0
    .sgpr_spill_count: 0
    .symbol:         _ZN7rocprim17ROCPRIM_400000_NS6detail17trampoline_kernelINS0_13select_configILj256ELj13ELNS0_17block_load_methodE3ELS4_3ELS4_3ELNS0_20block_scan_algorithmE0ELj4294967295EEENS1_25partition_config_selectorILNS1_17partition_subalgoE4EjNS0_10empty_typeEbEEZZNS1_14partition_implILS8_4ELb0ES6_15HIP_vector_typeIjLj2EENS0_17counting_iteratorIjlEEPS9_SG_NS0_5tupleIJPjSI_NS0_16reverse_iteratorISI_EEEEENSH_IJSG_SG_SG_EEES9_SI_JZNS1_25segmented_radix_sort_implINS0_14default_configELb0EPKhPhPKlPlN2at6native12_GLOBAL__N_18offset_tEEE10hipError_tPvRmT1_PNSt15iterator_traitsIS12_E10value_typeET2_T3_PNS13_IS18_E10value_typeET4_jRbjT5_S1E_jjP12ihipStream_tbEUljE_ZNSN_ISO_Lb0ESQ_SR_ST_SU_SY_EESZ_S10_S11_S12_S16_S17_S18_S1B_S1C_jS1D_jS1E_S1E_jjS1G_bEUljE0_EEESZ_S10_S11_S18_S1C_S1E_T6_T7_T9_mT8_S1G_bDpT10_ENKUlT_T0_E_clISt17integral_constantIbLb1EES1U_EEDaS1P_S1Q_EUlS1P_E_NS1_11comp_targetILNS1_3genE2ELNS1_11target_archE906ELNS1_3gpuE6ELNS1_3repE0EEENS1_30default_config_static_selectorELNS0_4arch9wavefront6targetE0EEEvS12_.kd
    .uniform_work_group_size: 1
    .uses_dynamic_stack: false
    .vgpr_count:     0
    .vgpr_spill_count: 0
    .wavefront_size: 32
  - .args:
      - .offset:         0
        .size:           184
        .value_kind:     by_value
    .group_segment_fixed_size: 0
    .kernarg_segment_align: 8
    .kernarg_segment_size: 184
    .language:       OpenCL C
    .language_version:
      - 2
      - 0
    .max_flat_workgroup_size: 256
    .name:           _ZN7rocprim17ROCPRIM_400000_NS6detail17trampoline_kernelINS0_13select_configILj256ELj13ELNS0_17block_load_methodE3ELS4_3ELS4_3ELNS0_20block_scan_algorithmE0ELj4294967295EEENS1_25partition_config_selectorILNS1_17partition_subalgoE4EjNS0_10empty_typeEbEEZZNS1_14partition_implILS8_4ELb0ES6_15HIP_vector_typeIjLj2EENS0_17counting_iteratorIjlEEPS9_SG_NS0_5tupleIJPjSI_NS0_16reverse_iteratorISI_EEEEENSH_IJSG_SG_SG_EEES9_SI_JZNS1_25segmented_radix_sort_implINS0_14default_configELb0EPKhPhPKlPlN2at6native12_GLOBAL__N_18offset_tEEE10hipError_tPvRmT1_PNSt15iterator_traitsIS12_E10value_typeET2_T3_PNS13_IS18_E10value_typeET4_jRbjT5_S1E_jjP12ihipStream_tbEUljE_ZNSN_ISO_Lb0ESQ_SR_ST_SU_SY_EESZ_S10_S11_S12_S16_S17_S18_S1B_S1C_jS1D_jS1E_S1E_jjS1G_bEUljE0_EEESZ_S10_S11_S18_S1C_S1E_T6_T7_T9_mT8_S1G_bDpT10_ENKUlT_T0_E_clISt17integral_constantIbLb1EES1U_EEDaS1P_S1Q_EUlS1P_E_NS1_11comp_targetILNS1_3genE10ELNS1_11target_archE1200ELNS1_3gpuE4ELNS1_3repE0EEENS1_30default_config_static_selectorELNS0_4arch9wavefront6targetE0EEEvS12_
    .private_segment_fixed_size: 0
    .sgpr_count:     0
    .sgpr_spill_count: 0
    .symbol:         _ZN7rocprim17ROCPRIM_400000_NS6detail17trampoline_kernelINS0_13select_configILj256ELj13ELNS0_17block_load_methodE3ELS4_3ELS4_3ELNS0_20block_scan_algorithmE0ELj4294967295EEENS1_25partition_config_selectorILNS1_17partition_subalgoE4EjNS0_10empty_typeEbEEZZNS1_14partition_implILS8_4ELb0ES6_15HIP_vector_typeIjLj2EENS0_17counting_iteratorIjlEEPS9_SG_NS0_5tupleIJPjSI_NS0_16reverse_iteratorISI_EEEEENSH_IJSG_SG_SG_EEES9_SI_JZNS1_25segmented_radix_sort_implINS0_14default_configELb0EPKhPhPKlPlN2at6native12_GLOBAL__N_18offset_tEEE10hipError_tPvRmT1_PNSt15iterator_traitsIS12_E10value_typeET2_T3_PNS13_IS18_E10value_typeET4_jRbjT5_S1E_jjP12ihipStream_tbEUljE_ZNSN_ISO_Lb0ESQ_SR_ST_SU_SY_EESZ_S10_S11_S12_S16_S17_S18_S1B_S1C_jS1D_jS1E_S1E_jjS1G_bEUljE0_EEESZ_S10_S11_S18_S1C_S1E_T6_T7_T9_mT8_S1G_bDpT10_ENKUlT_T0_E_clISt17integral_constantIbLb1EES1U_EEDaS1P_S1Q_EUlS1P_E_NS1_11comp_targetILNS1_3genE10ELNS1_11target_archE1200ELNS1_3gpuE4ELNS1_3repE0EEENS1_30default_config_static_selectorELNS0_4arch9wavefront6targetE0EEEvS12_.kd
    .uniform_work_group_size: 1
    .uses_dynamic_stack: false
    .vgpr_count:     0
    .vgpr_spill_count: 0
    .wavefront_size: 32
  - .args:
      - .offset:         0
        .size:           184
        .value_kind:     by_value
    .group_segment_fixed_size: 0
    .kernarg_segment_align: 8
    .kernarg_segment_size: 184
    .language:       OpenCL C
    .language_version:
      - 2
      - 0
    .max_flat_workgroup_size: 256
    .name:           _ZN7rocprim17ROCPRIM_400000_NS6detail17trampoline_kernelINS0_13select_configILj256ELj13ELNS0_17block_load_methodE3ELS4_3ELS4_3ELNS0_20block_scan_algorithmE0ELj4294967295EEENS1_25partition_config_selectorILNS1_17partition_subalgoE4EjNS0_10empty_typeEbEEZZNS1_14partition_implILS8_4ELb0ES6_15HIP_vector_typeIjLj2EENS0_17counting_iteratorIjlEEPS9_SG_NS0_5tupleIJPjSI_NS0_16reverse_iteratorISI_EEEEENSH_IJSG_SG_SG_EEES9_SI_JZNS1_25segmented_radix_sort_implINS0_14default_configELb0EPKhPhPKlPlN2at6native12_GLOBAL__N_18offset_tEEE10hipError_tPvRmT1_PNSt15iterator_traitsIS12_E10value_typeET2_T3_PNS13_IS18_E10value_typeET4_jRbjT5_S1E_jjP12ihipStream_tbEUljE_ZNSN_ISO_Lb0ESQ_SR_ST_SU_SY_EESZ_S10_S11_S12_S16_S17_S18_S1B_S1C_jS1D_jS1E_S1E_jjS1G_bEUljE0_EEESZ_S10_S11_S18_S1C_S1E_T6_T7_T9_mT8_S1G_bDpT10_ENKUlT_T0_E_clISt17integral_constantIbLb1EES1U_EEDaS1P_S1Q_EUlS1P_E_NS1_11comp_targetILNS1_3genE9ELNS1_11target_archE1100ELNS1_3gpuE3ELNS1_3repE0EEENS1_30default_config_static_selectorELNS0_4arch9wavefront6targetE0EEEvS12_
    .private_segment_fixed_size: 0
    .sgpr_count:     0
    .sgpr_spill_count: 0
    .symbol:         _ZN7rocprim17ROCPRIM_400000_NS6detail17trampoline_kernelINS0_13select_configILj256ELj13ELNS0_17block_load_methodE3ELS4_3ELS4_3ELNS0_20block_scan_algorithmE0ELj4294967295EEENS1_25partition_config_selectorILNS1_17partition_subalgoE4EjNS0_10empty_typeEbEEZZNS1_14partition_implILS8_4ELb0ES6_15HIP_vector_typeIjLj2EENS0_17counting_iteratorIjlEEPS9_SG_NS0_5tupleIJPjSI_NS0_16reverse_iteratorISI_EEEEENSH_IJSG_SG_SG_EEES9_SI_JZNS1_25segmented_radix_sort_implINS0_14default_configELb0EPKhPhPKlPlN2at6native12_GLOBAL__N_18offset_tEEE10hipError_tPvRmT1_PNSt15iterator_traitsIS12_E10value_typeET2_T3_PNS13_IS18_E10value_typeET4_jRbjT5_S1E_jjP12ihipStream_tbEUljE_ZNSN_ISO_Lb0ESQ_SR_ST_SU_SY_EESZ_S10_S11_S12_S16_S17_S18_S1B_S1C_jS1D_jS1E_S1E_jjS1G_bEUljE0_EEESZ_S10_S11_S18_S1C_S1E_T6_T7_T9_mT8_S1G_bDpT10_ENKUlT_T0_E_clISt17integral_constantIbLb1EES1U_EEDaS1P_S1Q_EUlS1P_E_NS1_11comp_targetILNS1_3genE9ELNS1_11target_archE1100ELNS1_3gpuE3ELNS1_3repE0EEENS1_30default_config_static_selectorELNS0_4arch9wavefront6targetE0EEEvS12_.kd
    .uniform_work_group_size: 1
    .uses_dynamic_stack: false
    .vgpr_count:     0
    .vgpr_spill_count: 0
    .wavefront_size: 32
  - .args:
      - .offset:         0
        .size:           184
        .value_kind:     by_value
    .group_segment_fixed_size: 0
    .kernarg_segment_align: 8
    .kernarg_segment_size: 184
    .language:       OpenCL C
    .language_version:
      - 2
      - 0
    .max_flat_workgroup_size: 256
    .name:           _ZN7rocprim17ROCPRIM_400000_NS6detail17trampoline_kernelINS0_13select_configILj256ELj13ELNS0_17block_load_methodE3ELS4_3ELS4_3ELNS0_20block_scan_algorithmE0ELj4294967295EEENS1_25partition_config_selectorILNS1_17partition_subalgoE4EjNS0_10empty_typeEbEEZZNS1_14partition_implILS8_4ELb0ES6_15HIP_vector_typeIjLj2EENS0_17counting_iteratorIjlEEPS9_SG_NS0_5tupleIJPjSI_NS0_16reverse_iteratorISI_EEEEENSH_IJSG_SG_SG_EEES9_SI_JZNS1_25segmented_radix_sort_implINS0_14default_configELb0EPKhPhPKlPlN2at6native12_GLOBAL__N_18offset_tEEE10hipError_tPvRmT1_PNSt15iterator_traitsIS12_E10value_typeET2_T3_PNS13_IS18_E10value_typeET4_jRbjT5_S1E_jjP12ihipStream_tbEUljE_ZNSN_ISO_Lb0ESQ_SR_ST_SU_SY_EESZ_S10_S11_S12_S16_S17_S18_S1B_S1C_jS1D_jS1E_S1E_jjS1G_bEUljE0_EEESZ_S10_S11_S18_S1C_S1E_T6_T7_T9_mT8_S1G_bDpT10_ENKUlT_T0_E_clISt17integral_constantIbLb1EES1U_EEDaS1P_S1Q_EUlS1P_E_NS1_11comp_targetILNS1_3genE8ELNS1_11target_archE1030ELNS1_3gpuE2ELNS1_3repE0EEENS1_30default_config_static_selectorELNS0_4arch9wavefront6targetE0EEEvS12_
    .private_segment_fixed_size: 0
    .sgpr_count:     0
    .sgpr_spill_count: 0
    .symbol:         _ZN7rocprim17ROCPRIM_400000_NS6detail17trampoline_kernelINS0_13select_configILj256ELj13ELNS0_17block_load_methodE3ELS4_3ELS4_3ELNS0_20block_scan_algorithmE0ELj4294967295EEENS1_25partition_config_selectorILNS1_17partition_subalgoE4EjNS0_10empty_typeEbEEZZNS1_14partition_implILS8_4ELb0ES6_15HIP_vector_typeIjLj2EENS0_17counting_iteratorIjlEEPS9_SG_NS0_5tupleIJPjSI_NS0_16reverse_iteratorISI_EEEEENSH_IJSG_SG_SG_EEES9_SI_JZNS1_25segmented_radix_sort_implINS0_14default_configELb0EPKhPhPKlPlN2at6native12_GLOBAL__N_18offset_tEEE10hipError_tPvRmT1_PNSt15iterator_traitsIS12_E10value_typeET2_T3_PNS13_IS18_E10value_typeET4_jRbjT5_S1E_jjP12ihipStream_tbEUljE_ZNSN_ISO_Lb0ESQ_SR_ST_SU_SY_EESZ_S10_S11_S12_S16_S17_S18_S1B_S1C_jS1D_jS1E_S1E_jjS1G_bEUljE0_EEESZ_S10_S11_S18_S1C_S1E_T6_T7_T9_mT8_S1G_bDpT10_ENKUlT_T0_E_clISt17integral_constantIbLb1EES1U_EEDaS1P_S1Q_EUlS1P_E_NS1_11comp_targetILNS1_3genE8ELNS1_11target_archE1030ELNS1_3gpuE2ELNS1_3repE0EEENS1_30default_config_static_selectorELNS0_4arch9wavefront6targetE0EEEvS12_.kd
    .uniform_work_group_size: 1
    .uses_dynamic_stack: false
    .vgpr_count:     0
    .vgpr_spill_count: 0
    .wavefront_size: 32
  - .args:
      - .offset:         0
        .size:           176
        .value_kind:     by_value
    .group_segment_fixed_size: 0
    .kernarg_segment_align: 8
    .kernarg_segment_size: 176
    .language:       OpenCL C
    .language_version:
      - 2
      - 0
    .max_flat_workgroup_size: 256
    .name:           _ZN7rocprim17ROCPRIM_400000_NS6detail17trampoline_kernelINS0_13select_configILj256ELj13ELNS0_17block_load_methodE3ELS4_3ELS4_3ELNS0_20block_scan_algorithmE0ELj4294967295EEENS1_25partition_config_selectorILNS1_17partition_subalgoE4EjNS0_10empty_typeEbEEZZNS1_14partition_implILS8_4ELb0ES6_15HIP_vector_typeIjLj2EENS0_17counting_iteratorIjlEEPS9_SG_NS0_5tupleIJPjSI_NS0_16reverse_iteratorISI_EEEEENSH_IJSG_SG_SG_EEES9_SI_JZNS1_25segmented_radix_sort_implINS0_14default_configELb0EPKhPhPKlPlN2at6native12_GLOBAL__N_18offset_tEEE10hipError_tPvRmT1_PNSt15iterator_traitsIS12_E10value_typeET2_T3_PNS13_IS18_E10value_typeET4_jRbjT5_S1E_jjP12ihipStream_tbEUljE_ZNSN_ISO_Lb0ESQ_SR_ST_SU_SY_EESZ_S10_S11_S12_S16_S17_S18_S1B_S1C_jS1D_jS1E_S1E_jjS1G_bEUljE0_EEESZ_S10_S11_S18_S1C_S1E_T6_T7_T9_mT8_S1G_bDpT10_ENKUlT_T0_E_clISt17integral_constantIbLb1EES1T_IbLb0EEEEDaS1P_S1Q_EUlS1P_E_NS1_11comp_targetILNS1_3genE0ELNS1_11target_archE4294967295ELNS1_3gpuE0ELNS1_3repE0EEENS1_30default_config_static_selectorELNS0_4arch9wavefront6targetE0EEEvS12_
    .private_segment_fixed_size: 0
    .sgpr_count:     0
    .sgpr_spill_count: 0
    .symbol:         _ZN7rocprim17ROCPRIM_400000_NS6detail17trampoline_kernelINS0_13select_configILj256ELj13ELNS0_17block_load_methodE3ELS4_3ELS4_3ELNS0_20block_scan_algorithmE0ELj4294967295EEENS1_25partition_config_selectorILNS1_17partition_subalgoE4EjNS0_10empty_typeEbEEZZNS1_14partition_implILS8_4ELb0ES6_15HIP_vector_typeIjLj2EENS0_17counting_iteratorIjlEEPS9_SG_NS0_5tupleIJPjSI_NS0_16reverse_iteratorISI_EEEEENSH_IJSG_SG_SG_EEES9_SI_JZNS1_25segmented_radix_sort_implINS0_14default_configELb0EPKhPhPKlPlN2at6native12_GLOBAL__N_18offset_tEEE10hipError_tPvRmT1_PNSt15iterator_traitsIS12_E10value_typeET2_T3_PNS13_IS18_E10value_typeET4_jRbjT5_S1E_jjP12ihipStream_tbEUljE_ZNSN_ISO_Lb0ESQ_SR_ST_SU_SY_EESZ_S10_S11_S12_S16_S17_S18_S1B_S1C_jS1D_jS1E_S1E_jjS1G_bEUljE0_EEESZ_S10_S11_S18_S1C_S1E_T6_T7_T9_mT8_S1G_bDpT10_ENKUlT_T0_E_clISt17integral_constantIbLb1EES1T_IbLb0EEEEDaS1P_S1Q_EUlS1P_E_NS1_11comp_targetILNS1_3genE0ELNS1_11target_archE4294967295ELNS1_3gpuE0ELNS1_3repE0EEENS1_30default_config_static_selectorELNS0_4arch9wavefront6targetE0EEEvS12_.kd
    .uniform_work_group_size: 1
    .uses_dynamic_stack: false
    .vgpr_count:     0
    .vgpr_spill_count: 0
    .wavefront_size: 32
  - .args:
      - .offset:         0
        .size:           176
        .value_kind:     by_value
    .group_segment_fixed_size: 0
    .kernarg_segment_align: 8
    .kernarg_segment_size: 176
    .language:       OpenCL C
    .language_version:
      - 2
      - 0
    .max_flat_workgroup_size: 256
    .name:           _ZN7rocprim17ROCPRIM_400000_NS6detail17trampoline_kernelINS0_13select_configILj256ELj13ELNS0_17block_load_methodE3ELS4_3ELS4_3ELNS0_20block_scan_algorithmE0ELj4294967295EEENS1_25partition_config_selectorILNS1_17partition_subalgoE4EjNS0_10empty_typeEbEEZZNS1_14partition_implILS8_4ELb0ES6_15HIP_vector_typeIjLj2EENS0_17counting_iteratorIjlEEPS9_SG_NS0_5tupleIJPjSI_NS0_16reverse_iteratorISI_EEEEENSH_IJSG_SG_SG_EEES9_SI_JZNS1_25segmented_radix_sort_implINS0_14default_configELb0EPKhPhPKlPlN2at6native12_GLOBAL__N_18offset_tEEE10hipError_tPvRmT1_PNSt15iterator_traitsIS12_E10value_typeET2_T3_PNS13_IS18_E10value_typeET4_jRbjT5_S1E_jjP12ihipStream_tbEUljE_ZNSN_ISO_Lb0ESQ_SR_ST_SU_SY_EESZ_S10_S11_S12_S16_S17_S18_S1B_S1C_jS1D_jS1E_S1E_jjS1G_bEUljE0_EEESZ_S10_S11_S18_S1C_S1E_T6_T7_T9_mT8_S1G_bDpT10_ENKUlT_T0_E_clISt17integral_constantIbLb1EES1T_IbLb0EEEEDaS1P_S1Q_EUlS1P_E_NS1_11comp_targetILNS1_3genE5ELNS1_11target_archE942ELNS1_3gpuE9ELNS1_3repE0EEENS1_30default_config_static_selectorELNS0_4arch9wavefront6targetE0EEEvS12_
    .private_segment_fixed_size: 0
    .sgpr_count:     0
    .sgpr_spill_count: 0
    .symbol:         _ZN7rocprim17ROCPRIM_400000_NS6detail17trampoline_kernelINS0_13select_configILj256ELj13ELNS0_17block_load_methodE3ELS4_3ELS4_3ELNS0_20block_scan_algorithmE0ELj4294967295EEENS1_25partition_config_selectorILNS1_17partition_subalgoE4EjNS0_10empty_typeEbEEZZNS1_14partition_implILS8_4ELb0ES6_15HIP_vector_typeIjLj2EENS0_17counting_iteratorIjlEEPS9_SG_NS0_5tupleIJPjSI_NS0_16reverse_iteratorISI_EEEEENSH_IJSG_SG_SG_EEES9_SI_JZNS1_25segmented_radix_sort_implINS0_14default_configELb0EPKhPhPKlPlN2at6native12_GLOBAL__N_18offset_tEEE10hipError_tPvRmT1_PNSt15iterator_traitsIS12_E10value_typeET2_T3_PNS13_IS18_E10value_typeET4_jRbjT5_S1E_jjP12ihipStream_tbEUljE_ZNSN_ISO_Lb0ESQ_SR_ST_SU_SY_EESZ_S10_S11_S12_S16_S17_S18_S1B_S1C_jS1D_jS1E_S1E_jjS1G_bEUljE0_EEESZ_S10_S11_S18_S1C_S1E_T6_T7_T9_mT8_S1G_bDpT10_ENKUlT_T0_E_clISt17integral_constantIbLb1EES1T_IbLb0EEEEDaS1P_S1Q_EUlS1P_E_NS1_11comp_targetILNS1_3genE5ELNS1_11target_archE942ELNS1_3gpuE9ELNS1_3repE0EEENS1_30default_config_static_selectorELNS0_4arch9wavefront6targetE0EEEvS12_.kd
    .uniform_work_group_size: 1
    .uses_dynamic_stack: false
    .vgpr_count:     0
    .vgpr_spill_count: 0
    .wavefront_size: 32
  - .args:
      - .offset:         0
        .size:           176
        .value_kind:     by_value
    .group_segment_fixed_size: 0
    .kernarg_segment_align: 8
    .kernarg_segment_size: 176
    .language:       OpenCL C
    .language_version:
      - 2
      - 0
    .max_flat_workgroup_size: 256
    .name:           _ZN7rocprim17ROCPRIM_400000_NS6detail17trampoline_kernelINS0_13select_configILj256ELj13ELNS0_17block_load_methodE3ELS4_3ELS4_3ELNS0_20block_scan_algorithmE0ELj4294967295EEENS1_25partition_config_selectorILNS1_17partition_subalgoE4EjNS0_10empty_typeEbEEZZNS1_14partition_implILS8_4ELb0ES6_15HIP_vector_typeIjLj2EENS0_17counting_iteratorIjlEEPS9_SG_NS0_5tupleIJPjSI_NS0_16reverse_iteratorISI_EEEEENSH_IJSG_SG_SG_EEES9_SI_JZNS1_25segmented_radix_sort_implINS0_14default_configELb0EPKhPhPKlPlN2at6native12_GLOBAL__N_18offset_tEEE10hipError_tPvRmT1_PNSt15iterator_traitsIS12_E10value_typeET2_T3_PNS13_IS18_E10value_typeET4_jRbjT5_S1E_jjP12ihipStream_tbEUljE_ZNSN_ISO_Lb0ESQ_SR_ST_SU_SY_EESZ_S10_S11_S12_S16_S17_S18_S1B_S1C_jS1D_jS1E_S1E_jjS1G_bEUljE0_EEESZ_S10_S11_S18_S1C_S1E_T6_T7_T9_mT8_S1G_bDpT10_ENKUlT_T0_E_clISt17integral_constantIbLb1EES1T_IbLb0EEEEDaS1P_S1Q_EUlS1P_E_NS1_11comp_targetILNS1_3genE4ELNS1_11target_archE910ELNS1_3gpuE8ELNS1_3repE0EEENS1_30default_config_static_selectorELNS0_4arch9wavefront6targetE0EEEvS12_
    .private_segment_fixed_size: 0
    .sgpr_count:     0
    .sgpr_spill_count: 0
    .symbol:         _ZN7rocprim17ROCPRIM_400000_NS6detail17trampoline_kernelINS0_13select_configILj256ELj13ELNS0_17block_load_methodE3ELS4_3ELS4_3ELNS0_20block_scan_algorithmE0ELj4294967295EEENS1_25partition_config_selectorILNS1_17partition_subalgoE4EjNS0_10empty_typeEbEEZZNS1_14partition_implILS8_4ELb0ES6_15HIP_vector_typeIjLj2EENS0_17counting_iteratorIjlEEPS9_SG_NS0_5tupleIJPjSI_NS0_16reverse_iteratorISI_EEEEENSH_IJSG_SG_SG_EEES9_SI_JZNS1_25segmented_radix_sort_implINS0_14default_configELb0EPKhPhPKlPlN2at6native12_GLOBAL__N_18offset_tEEE10hipError_tPvRmT1_PNSt15iterator_traitsIS12_E10value_typeET2_T3_PNS13_IS18_E10value_typeET4_jRbjT5_S1E_jjP12ihipStream_tbEUljE_ZNSN_ISO_Lb0ESQ_SR_ST_SU_SY_EESZ_S10_S11_S12_S16_S17_S18_S1B_S1C_jS1D_jS1E_S1E_jjS1G_bEUljE0_EEESZ_S10_S11_S18_S1C_S1E_T6_T7_T9_mT8_S1G_bDpT10_ENKUlT_T0_E_clISt17integral_constantIbLb1EES1T_IbLb0EEEEDaS1P_S1Q_EUlS1P_E_NS1_11comp_targetILNS1_3genE4ELNS1_11target_archE910ELNS1_3gpuE8ELNS1_3repE0EEENS1_30default_config_static_selectorELNS0_4arch9wavefront6targetE0EEEvS12_.kd
    .uniform_work_group_size: 1
    .uses_dynamic_stack: false
    .vgpr_count:     0
    .vgpr_spill_count: 0
    .wavefront_size: 32
  - .args:
      - .offset:         0
        .size:           176
        .value_kind:     by_value
    .group_segment_fixed_size: 0
    .kernarg_segment_align: 8
    .kernarg_segment_size: 176
    .language:       OpenCL C
    .language_version:
      - 2
      - 0
    .max_flat_workgroup_size: 256
    .name:           _ZN7rocprim17ROCPRIM_400000_NS6detail17trampoline_kernelINS0_13select_configILj256ELj13ELNS0_17block_load_methodE3ELS4_3ELS4_3ELNS0_20block_scan_algorithmE0ELj4294967295EEENS1_25partition_config_selectorILNS1_17partition_subalgoE4EjNS0_10empty_typeEbEEZZNS1_14partition_implILS8_4ELb0ES6_15HIP_vector_typeIjLj2EENS0_17counting_iteratorIjlEEPS9_SG_NS0_5tupleIJPjSI_NS0_16reverse_iteratorISI_EEEEENSH_IJSG_SG_SG_EEES9_SI_JZNS1_25segmented_radix_sort_implINS0_14default_configELb0EPKhPhPKlPlN2at6native12_GLOBAL__N_18offset_tEEE10hipError_tPvRmT1_PNSt15iterator_traitsIS12_E10value_typeET2_T3_PNS13_IS18_E10value_typeET4_jRbjT5_S1E_jjP12ihipStream_tbEUljE_ZNSN_ISO_Lb0ESQ_SR_ST_SU_SY_EESZ_S10_S11_S12_S16_S17_S18_S1B_S1C_jS1D_jS1E_S1E_jjS1G_bEUljE0_EEESZ_S10_S11_S18_S1C_S1E_T6_T7_T9_mT8_S1G_bDpT10_ENKUlT_T0_E_clISt17integral_constantIbLb1EES1T_IbLb0EEEEDaS1P_S1Q_EUlS1P_E_NS1_11comp_targetILNS1_3genE3ELNS1_11target_archE908ELNS1_3gpuE7ELNS1_3repE0EEENS1_30default_config_static_selectorELNS0_4arch9wavefront6targetE0EEEvS12_
    .private_segment_fixed_size: 0
    .sgpr_count:     0
    .sgpr_spill_count: 0
    .symbol:         _ZN7rocprim17ROCPRIM_400000_NS6detail17trampoline_kernelINS0_13select_configILj256ELj13ELNS0_17block_load_methodE3ELS4_3ELS4_3ELNS0_20block_scan_algorithmE0ELj4294967295EEENS1_25partition_config_selectorILNS1_17partition_subalgoE4EjNS0_10empty_typeEbEEZZNS1_14partition_implILS8_4ELb0ES6_15HIP_vector_typeIjLj2EENS0_17counting_iteratorIjlEEPS9_SG_NS0_5tupleIJPjSI_NS0_16reverse_iteratorISI_EEEEENSH_IJSG_SG_SG_EEES9_SI_JZNS1_25segmented_radix_sort_implINS0_14default_configELb0EPKhPhPKlPlN2at6native12_GLOBAL__N_18offset_tEEE10hipError_tPvRmT1_PNSt15iterator_traitsIS12_E10value_typeET2_T3_PNS13_IS18_E10value_typeET4_jRbjT5_S1E_jjP12ihipStream_tbEUljE_ZNSN_ISO_Lb0ESQ_SR_ST_SU_SY_EESZ_S10_S11_S12_S16_S17_S18_S1B_S1C_jS1D_jS1E_S1E_jjS1G_bEUljE0_EEESZ_S10_S11_S18_S1C_S1E_T6_T7_T9_mT8_S1G_bDpT10_ENKUlT_T0_E_clISt17integral_constantIbLb1EES1T_IbLb0EEEEDaS1P_S1Q_EUlS1P_E_NS1_11comp_targetILNS1_3genE3ELNS1_11target_archE908ELNS1_3gpuE7ELNS1_3repE0EEENS1_30default_config_static_selectorELNS0_4arch9wavefront6targetE0EEEvS12_.kd
    .uniform_work_group_size: 1
    .uses_dynamic_stack: false
    .vgpr_count:     0
    .vgpr_spill_count: 0
    .wavefront_size: 32
  - .args:
      - .offset:         0
        .size:           176
        .value_kind:     by_value
    .group_segment_fixed_size: 0
    .kernarg_segment_align: 8
    .kernarg_segment_size: 176
    .language:       OpenCL C
    .language_version:
      - 2
      - 0
    .max_flat_workgroup_size: 256
    .name:           _ZN7rocprim17ROCPRIM_400000_NS6detail17trampoline_kernelINS0_13select_configILj256ELj13ELNS0_17block_load_methodE3ELS4_3ELS4_3ELNS0_20block_scan_algorithmE0ELj4294967295EEENS1_25partition_config_selectorILNS1_17partition_subalgoE4EjNS0_10empty_typeEbEEZZNS1_14partition_implILS8_4ELb0ES6_15HIP_vector_typeIjLj2EENS0_17counting_iteratorIjlEEPS9_SG_NS0_5tupleIJPjSI_NS0_16reverse_iteratorISI_EEEEENSH_IJSG_SG_SG_EEES9_SI_JZNS1_25segmented_radix_sort_implINS0_14default_configELb0EPKhPhPKlPlN2at6native12_GLOBAL__N_18offset_tEEE10hipError_tPvRmT1_PNSt15iterator_traitsIS12_E10value_typeET2_T3_PNS13_IS18_E10value_typeET4_jRbjT5_S1E_jjP12ihipStream_tbEUljE_ZNSN_ISO_Lb0ESQ_SR_ST_SU_SY_EESZ_S10_S11_S12_S16_S17_S18_S1B_S1C_jS1D_jS1E_S1E_jjS1G_bEUljE0_EEESZ_S10_S11_S18_S1C_S1E_T6_T7_T9_mT8_S1G_bDpT10_ENKUlT_T0_E_clISt17integral_constantIbLb1EES1T_IbLb0EEEEDaS1P_S1Q_EUlS1P_E_NS1_11comp_targetILNS1_3genE2ELNS1_11target_archE906ELNS1_3gpuE6ELNS1_3repE0EEENS1_30default_config_static_selectorELNS0_4arch9wavefront6targetE0EEEvS12_
    .private_segment_fixed_size: 0
    .sgpr_count:     0
    .sgpr_spill_count: 0
    .symbol:         _ZN7rocprim17ROCPRIM_400000_NS6detail17trampoline_kernelINS0_13select_configILj256ELj13ELNS0_17block_load_methodE3ELS4_3ELS4_3ELNS0_20block_scan_algorithmE0ELj4294967295EEENS1_25partition_config_selectorILNS1_17partition_subalgoE4EjNS0_10empty_typeEbEEZZNS1_14partition_implILS8_4ELb0ES6_15HIP_vector_typeIjLj2EENS0_17counting_iteratorIjlEEPS9_SG_NS0_5tupleIJPjSI_NS0_16reverse_iteratorISI_EEEEENSH_IJSG_SG_SG_EEES9_SI_JZNS1_25segmented_radix_sort_implINS0_14default_configELb0EPKhPhPKlPlN2at6native12_GLOBAL__N_18offset_tEEE10hipError_tPvRmT1_PNSt15iterator_traitsIS12_E10value_typeET2_T3_PNS13_IS18_E10value_typeET4_jRbjT5_S1E_jjP12ihipStream_tbEUljE_ZNSN_ISO_Lb0ESQ_SR_ST_SU_SY_EESZ_S10_S11_S12_S16_S17_S18_S1B_S1C_jS1D_jS1E_S1E_jjS1G_bEUljE0_EEESZ_S10_S11_S18_S1C_S1E_T6_T7_T9_mT8_S1G_bDpT10_ENKUlT_T0_E_clISt17integral_constantIbLb1EES1T_IbLb0EEEEDaS1P_S1Q_EUlS1P_E_NS1_11comp_targetILNS1_3genE2ELNS1_11target_archE906ELNS1_3gpuE6ELNS1_3repE0EEENS1_30default_config_static_selectorELNS0_4arch9wavefront6targetE0EEEvS12_.kd
    .uniform_work_group_size: 1
    .uses_dynamic_stack: false
    .vgpr_count:     0
    .vgpr_spill_count: 0
    .wavefront_size: 32
  - .args:
      - .offset:         0
        .size:           176
        .value_kind:     by_value
    .group_segment_fixed_size: 0
    .kernarg_segment_align: 8
    .kernarg_segment_size: 176
    .language:       OpenCL C
    .language_version:
      - 2
      - 0
    .max_flat_workgroup_size: 256
    .name:           _ZN7rocprim17ROCPRIM_400000_NS6detail17trampoline_kernelINS0_13select_configILj256ELj13ELNS0_17block_load_methodE3ELS4_3ELS4_3ELNS0_20block_scan_algorithmE0ELj4294967295EEENS1_25partition_config_selectorILNS1_17partition_subalgoE4EjNS0_10empty_typeEbEEZZNS1_14partition_implILS8_4ELb0ES6_15HIP_vector_typeIjLj2EENS0_17counting_iteratorIjlEEPS9_SG_NS0_5tupleIJPjSI_NS0_16reverse_iteratorISI_EEEEENSH_IJSG_SG_SG_EEES9_SI_JZNS1_25segmented_radix_sort_implINS0_14default_configELb0EPKhPhPKlPlN2at6native12_GLOBAL__N_18offset_tEEE10hipError_tPvRmT1_PNSt15iterator_traitsIS12_E10value_typeET2_T3_PNS13_IS18_E10value_typeET4_jRbjT5_S1E_jjP12ihipStream_tbEUljE_ZNSN_ISO_Lb0ESQ_SR_ST_SU_SY_EESZ_S10_S11_S12_S16_S17_S18_S1B_S1C_jS1D_jS1E_S1E_jjS1G_bEUljE0_EEESZ_S10_S11_S18_S1C_S1E_T6_T7_T9_mT8_S1G_bDpT10_ENKUlT_T0_E_clISt17integral_constantIbLb1EES1T_IbLb0EEEEDaS1P_S1Q_EUlS1P_E_NS1_11comp_targetILNS1_3genE10ELNS1_11target_archE1200ELNS1_3gpuE4ELNS1_3repE0EEENS1_30default_config_static_selectorELNS0_4arch9wavefront6targetE0EEEvS12_
    .private_segment_fixed_size: 0
    .sgpr_count:     0
    .sgpr_spill_count: 0
    .symbol:         _ZN7rocprim17ROCPRIM_400000_NS6detail17trampoline_kernelINS0_13select_configILj256ELj13ELNS0_17block_load_methodE3ELS4_3ELS4_3ELNS0_20block_scan_algorithmE0ELj4294967295EEENS1_25partition_config_selectorILNS1_17partition_subalgoE4EjNS0_10empty_typeEbEEZZNS1_14partition_implILS8_4ELb0ES6_15HIP_vector_typeIjLj2EENS0_17counting_iteratorIjlEEPS9_SG_NS0_5tupleIJPjSI_NS0_16reverse_iteratorISI_EEEEENSH_IJSG_SG_SG_EEES9_SI_JZNS1_25segmented_radix_sort_implINS0_14default_configELb0EPKhPhPKlPlN2at6native12_GLOBAL__N_18offset_tEEE10hipError_tPvRmT1_PNSt15iterator_traitsIS12_E10value_typeET2_T3_PNS13_IS18_E10value_typeET4_jRbjT5_S1E_jjP12ihipStream_tbEUljE_ZNSN_ISO_Lb0ESQ_SR_ST_SU_SY_EESZ_S10_S11_S12_S16_S17_S18_S1B_S1C_jS1D_jS1E_S1E_jjS1G_bEUljE0_EEESZ_S10_S11_S18_S1C_S1E_T6_T7_T9_mT8_S1G_bDpT10_ENKUlT_T0_E_clISt17integral_constantIbLb1EES1T_IbLb0EEEEDaS1P_S1Q_EUlS1P_E_NS1_11comp_targetILNS1_3genE10ELNS1_11target_archE1200ELNS1_3gpuE4ELNS1_3repE0EEENS1_30default_config_static_selectorELNS0_4arch9wavefront6targetE0EEEvS12_.kd
    .uniform_work_group_size: 1
    .uses_dynamic_stack: false
    .vgpr_count:     0
    .vgpr_spill_count: 0
    .wavefront_size: 32
  - .args:
      - .offset:         0
        .size:           176
        .value_kind:     by_value
    .group_segment_fixed_size: 0
    .kernarg_segment_align: 8
    .kernarg_segment_size: 176
    .language:       OpenCL C
    .language_version:
      - 2
      - 0
    .max_flat_workgroup_size: 256
    .name:           _ZN7rocprim17ROCPRIM_400000_NS6detail17trampoline_kernelINS0_13select_configILj256ELj13ELNS0_17block_load_methodE3ELS4_3ELS4_3ELNS0_20block_scan_algorithmE0ELj4294967295EEENS1_25partition_config_selectorILNS1_17partition_subalgoE4EjNS0_10empty_typeEbEEZZNS1_14partition_implILS8_4ELb0ES6_15HIP_vector_typeIjLj2EENS0_17counting_iteratorIjlEEPS9_SG_NS0_5tupleIJPjSI_NS0_16reverse_iteratorISI_EEEEENSH_IJSG_SG_SG_EEES9_SI_JZNS1_25segmented_radix_sort_implINS0_14default_configELb0EPKhPhPKlPlN2at6native12_GLOBAL__N_18offset_tEEE10hipError_tPvRmT1_PNSt15iterator_traitsIS12_E10value_typeET2_T3_PNS13_IS18_E10value_typeET4_jRbjT5_S1E_jjP12ihipStream_tbEUljE_ZNSN_ISO_Lb0ESQ_SR_ST_SU_SY_EESZ_S10_S11_S12_S16_S17_S18_S1B_S1C_jS1D_jS1E_S1E_jjS1G_bEUljE0_EEESZ_S10_S11_S18_S1C_S1E_T6_T7_T9_mT8_S1G_bDpT10_ENKUlT_T0_E_clISt17integral_constantIbLb1EES1T_IbLb0EEEEDaS1P_S1Q_EUlS1P_E_NS1_11comp_targetILNS1_3genE9ELNS1_11target_archE1100ELNS1_3gpuE3ELNS1_3repE0EEENS1_30default_config_static_selectorELNS0_4arch9wavefront6targetE0EEEvS12_
    .private_segment_fixed_size: 0
    .sgpr_count:     0
    .sgpr_spill_count: 0
    .symbol:         _ZN7rocprim17ROCPRIM_400000_NS6detail17trampoline_kernelINS0_13select_configILj256ELj13ELNS0_17block_load_methodE3ELS4_3ELS4_3ELNS0_20block_scan_algorithmE0ELj4294967295EEENS1_25partition_config_selectorILNS1_17partition_subalgoE4EjNS0_10empty_typeEbEEZZNS1_14partition_implILS8_4ELb0ES6_15HIP_vector_typeIjLj2EENS0_17counting_iteratorIjlEEPS9_SG_NS0_5tupleIJPjSI_NS0_16reverse_iteratorISI_EEEEENSH_IJSG_SG_SG_EEES9_SI_JZNS1_25segmented_radix_sort_implINS0_14default_configELb0EPKhPhPKlPlN2at6native12_GLOBAL__N_18offset_tEEE10hipError_tPvRmT1_PNSt15iterator_traitsIS12_E10value_typeET2_T3_PNS13_IS18_E10value_typeET4_jRbjT5_S1E_jjP12ihipStream_tbEUljE_ZNSN_ISO_Lb0ESQ_SR_ST_SU_SY_EESZ_S10_S11_S12_S16_S17_S18_S1B_S1C_jS1D_jS1E_S1E_jjS1G_bEUljE0_EEESZ_S10_S11_S18_S1C_S1E_T6_T7_T9_mT8_S1G_bDpT10_ENKUlT_T0_E_clISt17integral_constantIbLb1EES1T_IbLb0EEEEDaS1P_S1Q_EUlS1P_E_NS1_11comp_targetILNS1_3genE9ELNS1_11target_archE1100ELNS1_3gpuE3ELNS1_3repE0EEENS1_30default_config_static_selectorELNS0_4arch9wavefront6targetE0EEEvS12_.kd
    .uniform_work_group_size: 1
    .uses_dynamic_stack: false
    .vgpr_count:     0
    .vgpr_spill_count: 0
    .wavefront_size: 32
  - .args:
      - .offset:         0
        .size:           176
        .value_kind:     by_value
    .group_segment_fixed_size: 0
    .kernarg_segment_align: 8
    .kernarg_segment_size: 176
    .language:       OpenCL C
    .language_version:
      - 2
      - 0
    .max_flat_workgroup_size: 256
    .name:           _ZN7rocprim17ROCPRIM_400000_NS6detail17trampoline_kernelINS0_13select_configILj256ELj13ELNS0_17block_load_methodE3ELS4_3ELS4_3ELNS0_20block_scan_algorithmE0ELj4294967295EEENS1_25partition_config_selectorILNS1_17partition_subalgoE4EjNS0_10empty_typeEbEEZZNS1_14partition_implILS8_4ELb0ES6_15HIP_vector_typeIjLj2EENS0_17counting_iteratorIjlEEPS9_SG_NS0_5tupleIJPjSI_NS0_16reverse_iteratorISI_EEEEENSH_IJSG_SG_SG_EEES9_SI_JZNS1_25segmented_radix_sort_implINS0_14default_configELb0EPKhPhPKlPlN2at6native12_GLOBAL__N_18offset_tEEE10hipError_tPvRmT1_PNSt15iterator_traitsIS12_E10value_typeET2_T3_PNS13_IS18_E10value_typeET4_jRbjT5_S1E_jjP12ihipStream_tbEUljE_ZNSN_ISO_Lb0ESQ_SR_ST_SU_SY_EESZ_S10_S11_S12_S16_S17_S18_S1B_S1C_jS1D_jS1E_S1E_jjS1G_bEUljE0_EEESZ_S10_S11_S18_S1C_S1E_T6_T7_T9_mT8_S1G_bDpT10_ENKUlT_T0_E_clISt17integral_constantIbLb1EES1T_IbLb0EEEEDaS1P_S1Q_EUlS1P_E_NS1_11comp_targetILNS1_3genE8ELNS1_11target_archE1030ELNS1_3gpuE2ELNS1_3repE0EEENS1_30default_config_static_selectorELNS0_4arch9wavefront6targetE0EEEvS12_
    .private_segment_fixed_size: 0
    .sgpr_count:     0
    .sgpr_spill_count: 0
    .symbol:         _ZN7rocprim17ROCPRIM_400000_NS6detail17trampoline_kernelINS0_13select_configILj256ELj13ELNS0_17block_load_methodE3ELS4_3ELS4_3ELNS0_20block_scan_algorithmE0ELj4294967295EEENS1_25partition_config_selectorILNS1_17partition_subalgoE4EjNS0_10empty_typeEbEEZZNS1_14partition_implILS8_4ELb0ES6_15HIP_vector_typeIjLj2EENS0_17counting_iteratorIjlEEPS9_SG_NS0_5tupleIJPjSI_NS0_16reverse_iteratorISI_EEEEENSH_IJSG_SG_SG_EEES9_SI_JZNS1_25segmented_radix_sort_implINS0_14default_configELb0EPKhPhPKlPlN2at6native12_GLOBAL__N_18offset_tEEE10hipError_tPvRmT1_PNSt15iterator_traitsIS12_E10value_typeET2_T3_PNS13_IS18_E10value_typeET4_jRbjT5_S1E_jjP12ihipStream_tbEUljE_ZNSN_ISO_Lb0ESQ_SR_ST_SU_SY_EESZ_S10_S11_S12_S16_S17_S18_S1B_S1C_jS1D_jS1E_S1E_jjS1G_bEUljE0_EEESZ_S10_S11_S18_S1C_S1E_T6_T7_T9_mT8_S1G_bDpT10_ENKUlT_T0_E_clISt17integral_constantIbLb1EES1T_IbLb0EEEEDaS1P_S1Q_EUlS1P_E_NS1_11comp_targetILNS1_3genE8ELNS1_11target_archE1030ELNS1_3gpuE2ELNS1_3repE0EEENS1_30default_config_static_selectorELNS0_4arch9wavefront6targetE0EEEvS12_.kd
    .uniform_work_group_size: 1
    .uses_dynamic_stack: false
    .vgpr_count:     0
    .vgpr_spill_count: 0
    .wavefront_size: 32
  - .args:
      - .offset:         0
        .size:           184
        .value_kind:     by_value
    .group_segment_fixed_size: 13328
    .kernarg_segment_align: 8
    .kernarg_segment_size: 184
    .language:       OpenCL C
    .language_version:
      - 2
      - 0
    .max_flat_workgroup_size: 256
    .name:           _ZN7rocprim17ROCPRIM_400000_NS6detail17trampoline_kernelINS0_13select_configILj256ELj13ELNS0_17block_load_methodE3ELS4_3ELS4_3ELNS0_20block_scan_algorithmE0ELj4294967295EEENS1_25partition_config_selectorILNS1_17partition_subalgoE4EjNS0_10empty_typeEbEEZZNS1_14partition_implILS8_4ELb0ES6_15HIP_vector_typeIjLj2EENS0_17counting_iteratorIjlEEPS9_SG_NS0_5tupleIJPjSI_NS0_16reverse_iteratorISI_EEEEENSH_IJSG_SG_SG_EEES9_SI_JZNS1_25segmented_radix_sort_implINS0_14default_configELb0EPKhPhPKlPlN2at6native12_GLOBAL__N_18offset_tEEE10hipError_tPvRmT1_PNSt15iterator_traitsIS12_E10value_typeET2_T3_PNS13_IS18_E10value_typeET4_jRbjT5_S1E_jjP12ihipStream_tbEUljE_ZNSN_ISO_Lb0ESQ_SR_ST_SU_SY_EESZ_S10_S11_S12_S16_S17_S18_S1B_S1C_jS1D_jS1E_S1E_jjS1G_bEUljE0_EEESZ_S10_S11_S18_S1C_S1E_T6_T7_T9_mT8_S1G_bDpT10_ENKUlT_T0_E_clISt17integral_constantIbLb0EES1T_IbLb1EEEEDaS1P_S1Q_EUlS1P_E_NS1_11comp_targetILNS1_3genE0ELNS1_11target_archE4294967295ELNS1_3gpuE0ELNS1_3repE0EEENS1_30default_config_static_selectorELNS0_4arch9wavefront6targetE0EEEvS12_
    .private_segment_fixed_size: 0
    .sgpr_count:     57
    .sgpr_spill_count: 0
    .symbol:         _ZN7rocprim17ROCPRIM_400000_NS6detail17trampoline_kernelINS0_13select_configILj256ELj13ELNS0_17block_load_methodE3ELS4_3ELS4_3ELNS0_20block_scan_algorithmE0ELj4294967295EEENS1_25partition_config_selectorILNS1_17partition_subalgoE4EjNS0_10empty_typeEbEEZZNS1_14partition_implILS8_4ELb0ES6_15HIP_vector_typeIjLj2EENS0_17counting_iteratorIjlEEPS9_SG_NS0_5tupleIJPjSI_NS0_16reverse_iteratorISI_EEEEENSH_IJSG_SG_SG_EEES9_SI_JZNS1_25segmented_radix_sort_implINS0_14default_configELb0EPKhPhPKlPlN2at6native12_GLOBAL__N_18offset_tEEE10hipError_tPvRmT1_PNSt15iterator_traitsIS12_E10value_typeET2_T3_PNS13_IS18_E10value_typeET4_jRbjT5_S1E_jjP12ihipStream_tbEUljE_ZNSN_ISO_Lb0ESQ_SR_ST_SU_SY_EESZ_S10_S11_S12_S16_S17_S18_S1B_S1C_jS1D_jS1E_S1E_jjS1G_bEUljE0_EEESZ_S10_S11_S18_S1C_S1E_T6_T7_T9_mT8_S1G_bDpT10_ENKUlT_T0_E_clISt17integral_constantIbLb0EES1T_IbLb1EEEEDaS1P_S1Q_EUlS1P_E_NS1_11comp_targetILNS1_3genE0ELNS1_11target_archE4294967295ELNS1_3gpuE0ELNS1_3repE0EEENS1_30default_config_static_selectorELNS0_4arch9wavefront6targetE0EEEvS12_.kd
    .uniform_work_group_size: 1
    .uses_dynamic_stack: false
    .vgpr_count:     86
    .vgpr_spill_count: 0
    .wavefront_size: 32
  - .args:
      - .offset:         0
        .size:           184
        .value_kind:     by_value
    .group_segment_fixed_size: 0
    .kernarg_segment_align: 8
    .kernarg_segment_size: 184
    .language:       OpenCL C
    .language_version:
      - 2
      - 0
    .max_flat_workgroup_size: 256
    .name:           _ZN7rocprim17ROCPRIM_400000_NS6detail17trampoline_kernelINS0_13select_configILj256ELj13ELNS0_17block_load_methodE3ELS4_3ELS4_3ELNS0_20block_scan_algorithmE0ELj4294967295EEENS1_25partition_config_selectorILNS1_17partition_subalgoE4EjNS0_10empty_typeEbEEZZNS1_14partition_implILS8_4ELb0ES6_15HIP_vector_typeIjLj2EENS0_17counting_iteratorIjlEEPS9_SG_NS0_5tupleIJPjSI_NS0_16reverse_iteratorISI_EEEEENSH_IJSG_SG_SG_EEES9_SI_JZNS1_25segmented_radix_sort_implINS0_14default_configELb0EPKhPhPKlPlN2at6native12_GLOBAL__N_18offset_tEEE10hipError_tPvRmT1_PNSt15iterator_traitsIS12_E10value_typeET2_T3_PNS13_IS18_E10value_typeET4_jRbjT5_S1E_jjP12ihipStream_tbEUljE_ZNSN_ISO_Lb0ESQ_SR_ST_SU_SY_EESZ_S10_S11_S12_S16_S17_S18_S1B_S1C_jS1D_jS1E_S1E_jjS1G_bEUljE0_EEESZ_S10_S11_S18_S1C_S1E_T6_T7_T9_mT8_S1G_bDpT10_ENKUlT_T0_E_clISt17integral_constantIbLb0EES1T_IbLb1EEEEDaS1P_S1Q_EUlS1P_E_NS1_11comp_targetILNS1_3genE5ELNS1_11target_archE942ELNS1_3gpuE9ELNS1_3repE0EEENS1_30default_config_static_selectorELNS0_4arch9wavefront6targetE0EEEvS12_
    .private_segment_fixed_size: 0
    .sgpr_count:     0
    .sgpr_spill_count: 0
    .symbol:         _ZN7rocprim17ROCPRIM_400000_NS6detail17trampoline_kernelINS0_13select_configILj256ELj13ELNS0_17block_load_methodE3ELS4_3ELS4_3ELNS0_20block_scan_algorithmE0ELj4294967295EEENS1_25partition_config_selectorILNS1_17partition_subalgoE4EjNS0_10empty_typeEbEEZZNS1_14partition_implILS8_4ELb0ES6_15HIP_vector_typeIjLj2EENS0_17counting_iteratorIjlEEPS9_SG_NS0_5tupleIJPjSI_NS0_16reverse_iteratorISI_EEEEENSH_IJSG_SG_SG_EEES9_SI_JZNS1_25segmented_radix_sort_implINS0_14default_configELb0EPKhPhPKlPlN2at6native12_GLOBAL__N_18offset_tEEE10hipError_tPvRmT1_PNSt15iterator_traitsIS12_E10value_typeET2_T3_PNS13_IS18_E10value_typeET4_jRbjT5_S1E_jjP12ihipStream_tbEUljE_ZNSN_ISO_Lb0ESQ_SR_ST_SU_SY_EESZ_S10_S11_S12_S16_S17_S18_S1B_S1C_jS1D_jS1E_S1E_jjS1G_bEUljE0_EEESZ_S10_S11_S18_S1C_S1E_T6_T7_T9_mT8_S1G_bDpT10_ENKUlT_T0_E_clISt17integral_constantIbLb0EES1T_IbLb1EEEEDaS1P_S1Q_EUlS1P_E_NS1_11comp_targetILNS1_3genE5ELNS1_11target_archE942ELNS1_3gpuE9ELNS1_3repE0EEENS1_30default_config_static_selectorELNS0_4arch9wavefront6targetE0EEEvS12_.kd
    .uniform_work_group_size: 1
    .uses_dynamic_stack: false
    .vgpr_count:     0
    .vgpr_spill_count: 0
    .wavefront_size: 32
  - .args:
      - .offset:         0
        .size:           184
        .value_kind:     by_value
    .group_segment_fixed_size: 0
    .kernarg_segment_align: 8
    .kernarg_segment_size: 184
    .language:       OpenCL C
    .language_version:
      - 2
      - 0
    .max_flat_workgroup_size: 256
    .name:           _ZN7rocprim17ROCPRIM_400000_NS6detail17trampoline_kernelINS0_13select_configILj256ELj13ELNS0_17block_load_methodE3ELS4_3ELS4_3ELNS0_20block_scan_algorithmE0ELj4294967295EEENS1_25partition_config_selectorILNS1_17partition_subalgoE4EjNS0_10empty_typeEbEEZZNS1_14partition_implILS8_4ELb0ES6_15HIP_vector_typeIjLj2EENS0_17counting_iteratorIjlEEPS9_SG_NS0_5tupleIJPjSI_NS0_16reverse_iteratorISI_EEEEENSH_IJSG_SG_SG_EEES9_SI_JZNS1_25segmented_radix_sort_implINS0_14default_configELb0EPKhPhPKlPlN2at6native12_GLOBAL__N_18offset_tEEE10hipError_tPvRmT1_PNSt15iterator_traitsIS12_E10value_typeET2_T3_PNS13_IS18_E10value_typeET4_jRbjT5_S1E_jjP12ihipStream_tbEUljE_ZNSN_ISO_Lb0ESQ_SR_ST_SU_SY_EESZ_S10_S11_S12_S16_S17_S18_S1B_S1C_jS1D_jS1E_S1E_jjS1G_bEUljE0_EEESZ_S10_S11_S18_S1C_S1E_T6_T7_T9_mT8_S1G_bDpT10_ENKUlT_T0_E_clISt17integral_constantIbLb0EES1T_IbLb1EEEEDaS1P_S1Q_EUlS1P_E_NS1_11comp_targetILNS1_3genE4ELNS1_11target_archE910ELNS1_3gpuE8ELNS1_3repE0EEENS1_30default_config_static_selectorELNS0_4arch9wavefront6targetE0EEEvS12_
    .private_segment_fixed_size: 0
    .sgpr_count:     0
    .sgpr_spill_count: 0
    .symbol:         _ZN7rocprim17ROCPRIM_400000_NS6detail17trampoline_kernelINS0_13select_configILj256ELj13ELNS0_17block_load_methodE3ELS4_3ELS4_3ELNS0_20block_scan_algorithmE0ELj4294967295EEENS1_25partition_config_selectorILNS1_17partition_subalgoE4EjNS0_10empty_typeEbEEZZNS1_14partition_implILS8_4ELb0ES6_15HIP_vector_typeIjLj2EENS0_17counting_iteratorIjlEEPS9_SG_NS0_5tupleIJPjSI_NS0_16reverse_iteratorISI_EEEEENSH_IJSG_SG_SG_EEES9_SI_JZNS1_25segmented_radix_sort_implINS0_14default_configELb0EPKhPhPKlPlN2at6native12_GLOBAL__N_18offset_tEEE10hipError_tPvRmT1_PNSt15iterator_traitsIS12_E10value_typeET2_T3_PNS13_IS18_E10value_typeET4_jRbjT5_S1E_jjP12ihipStream_tbEUljE_ZNSN_ISO_Lb0ESQ_SR_ST_SU_SY_EESZ_S10_S11_S12_S16_S17_S18_S1B_S1C_jS1D_jS1E_S1E_jjS1G_bEUljE0_EEESZ_S10_S11_S18_S1C_S1E_T6_T7_T9_mT8_S1G_bDpT10_ENKUlT_T0_E_clISt17integral_constantIbLb0EES1T_IbLb1EEEEDaS1P_S1Q_EUlS1P_E_NS1_11comp_targetILNS1_3genE4ELNS1_11target_archE910ELNS1_3gpuE8ELNS1_3repE0EEENS1_30default_config_static_selectorELNS0_4arch9wavefront6targetE0EEEvS12_.kd
    .uniform_work_group_size: 1
    .uses_dynamic_stack: false
    .vgpr_count:     0
    .vgpr_spill_count: 0
    .wavefront_size: 32
  - .args:
      - .offset:         0
        .size:           184
        .value_kind:     by_value
    .group_segment_fixed_size: 0
    .kernarg_segment_align: 8
    .kernarg_segment_size: 184
    .language:       OpenCL C
    .language_version:
      - 2
      - 0
    .max_flat_workgroup_size: 256
    .name:           _ZN7rocprim17ROCPRIM_400000_NS6detail17trampoline_kernelINS0_13select_configILj256ELj13ELNS0_17block_load_methodE3ELS4_3ELS4_3ELNS0_20block_scan_algorithmE0ELj4294967295EEENS1_25partition_config_selectorILNS1_17partition_subalgoE4EjNS0_10empty_typeEbEEZZNS1_14partition_implILS8_4ELb0ES6_15HIP_vector_typeIjLj2EENS0_17counting_iteratorIjlEEPS9_SG_NS0_5tupleIJPjSI_NS0_16reverse_iteratorISI_EEEEENSH_IJSG_SG_SG_EEES9_SI_JZNS1_25segmented_radix_sort_implINS0_14default_configELb0EPKhPhPKlPlN2at6native12_GLOBAL__N_18offset_tEEE10hipError_tPvRmT1_PNSt15iterator_traitsIS12_E10value_typeET2_T3_PNS13_IS18_E10value_typeET4_jRbjT5_S1E_jjP12ihipStream_tbEUljE_ZNSN_ISO_Lb0ESQ_SR_ST_SU_SY_EESZ_S10_S11_S12_S16_S17_S18_S1B_S1C_jS1D_jS1E_S1E_jjS1G_bEUljE0_EEESZ_S10_S11_S18_S1C_S1E_T6_T7_T9_mT8_S1G_bDpT10_ENKUlT_T0_E_clISt17integral_constantIbLb0EES1T_IbLb1EEEEDaS1P_S1Q_EUlS1P_E_NS1_11comp_targetILNS1_3genE3ELNS1_11target_archE908ELNS1_3gpuE7ELNS1_3repE0EEENS1_30default_config_static_selectorELNS0_4arch9wavefront6targetE0EEEvS12_
    .private_segment_fixed_size: 0
    .sgpr_count:     0
    .sgpr_spill_count: 0
    .symbol:         _ZN7rocprim17ROCPRIM_400000_NS6detail17trampoline_kernelINS0_13select_configILj256ELj13ELNS0_17block_load_methodE3ELS4_3ELS4_3ELNS0_20block_scan_algorithmE0ELj4294967295EEENS1_25partition_config_selectorILNS1_17partition_subalgoE4EjNS0_10empty_typeEbEEZZNS1_14partition_implILS8_4ELb0ES6_15HIP_vector_typeIjLj2EENS0_17counting_iteratorIjlEEPS9_SG_NS0_5tupleIJPjSI_NS0_16reverse_iteratorISI_EEEEENSH_IJSG_SG_SG_EEES9_SI_JZNS1_25segmented_radix_sort_implINS0_14default_configELb0EPKhPhPKlPlN2at6native12_GLOBAL__N_18offset_tEEE10hipError_tPvRmT1_PNSt15iterator_traitsIS12_E10value_typeET2_T3_PNS13_IS18_E10value_typeET4_jRbjT5_S1E_jjP12ihipStream_tbEUljE_ZNSN_ISO_Lb0ESQ_SR_ST_SU_SY_EESZ_S10_S11_S12_S16_S17_S18_S1B_S1C_jS1D_jS1E_S1E_jjS1G_bEUljE0_EEESZ_S10_S11_S18_S1C_S1E_T6_T7_T9_mT8_S1G_bDpT10_ENKUlT_T0_E_clISt17integral_constantIbLb0EES1T_IbLb1EEEEDaS1P_S1Q_EUlS1P_E_NS1_11comp_targetILNS1_3genE3ELNS1_11target_archE908ELNS1_3gpuE7ELNS1_3repE0EEENS1_30default_config_static_selectorELNS0_4arch9wavefront6targetE0EEEvS12_.kd
    .uniform_work_group_size: 1
    .uses_dynamic_stack: false
    .vgpr_count:     0
    .vgpr_spill_count: 0
    .wavefront_size: 32
  - .args:
      - .offset:         0
        .size:           184
        .value_kind:     by_value
    .group_segment_fixed_size: 0
    .kernarg_segment_align: 8
    .kernarg_segment_size: 184
    .language:       OpenCL C
    .language_version:
      - 2
      - 0
    .max_flat_workgroup_size: 256
    .name:           _ZN7rocprim17ROCPRIM_400000_NS6detail17trampoline_kernelINS0_13select_configILj256ELj13ELNS0_17block_load_methodE3ELS4_3ELS4_3ELNS0_20block_scan_algorithmE0ELj4294967295EEENS1_25partition_config_selectorILNS1_17partition_subalgoE4EjNS0_10empty_typeEbEEZZNS1_14partition_implILS8_4ELb0ES6_15HIP_vector_typeIjLj2EENS0_17counting_iteratorIjlEEPS9_SG_NS0_5tupleIJPjSI_NS0_16reverse_iteratorISI_EEEEENSH_IJSG_SG_SG_EEES9_SI_JZNS1_25segmented_radix_sort_implINS0_14default_configELb0EPKhPhPKlPlN2at6native12_GLOBAL__N_18offset_tEEE10hipError_tPvRmT1_PNSt15iterator_traitsIS12_E10value_typeET2_T3_PNS13_IS18_E10value_typeET4_jRbjT5_S1E_jjP12ihipStream_tbEUljE_ZNSN_ISO_Lb0ESQ_SR_ST_SU_SY_EESZ_S10_S11_S12_S16_S17_S18_S1B_S1C_jS1D_jS1E_S1E_jjS1G_bEUljE0_EEESZ_S10_S11_S18_S1C_S1E_T6_T7_T9_mT8_S1G_bDpT10_ENKUlT_T0_E_clISt17integral_constantIbLb0EES1T_IbLb1EEEEDaS1P_S1Q_EUlS1P_E_NS1_11comp_targetILNS1_3genE2ELNS1_11target_archE906ELNS1_3gpuE6ELNS1_3repE0EEENS1_30default_config_static_selectorELNS0_4arch9wavefront6targetE0EEEvS12_
    .private_segment_fixed_size: 0
    .sgpr_count:     0
    .sgpr_spill_count: 0
    .symbol:         _ZN7rocprim17ROCPRIM_400000_NS6detail17trampoline_kernelINS0_13select_configILj256ELj13ELNS0_17block_load_methodE3ELS4_3ELS4_3ELNS0_20block_scan_algorithmE0ELj4294967295EEENS1_25partition_config_selectorILNS1_17partition_subalgoE4EjNS0_10empty_typeEbEEZZNS1_14partition_implILS8_4ELb0ES6_15HIP_vector_typeIjLj2EENS0_17counting_iteratorIjlEEPS9_SG_NS0_5tupleIJPjSI_NS0_16reverse_iteratorISI_EEEEENSH_IJSG_SG_SG_EEES9_SI_JZNS1_25segmented_radix_sort_implINS0_14default_configELb0EPKhPhPKlPlN2at6native12_GLOBAL__N_18offset_tEEE10hipError_tPvRmT1_PNSt15iterator_traitsIS12_E10value_typeET2_T3_PNS13_IS18_E10value_typeET4_jRbjT5_S1E_jjP12ihipStream_tbEUljE_ZNSN_ISO_Lb0ESQ_SR_ST_SU_SY_EESZ_S10_S11_S12_S16_S17_S18_S1B_S1C_jS1D_jS1E_S1E_jjS1G_bEUljE0_EEESZ_S10_S11_S18_S1C_S1E_T6_T7_T9_mT8_S1G_bDpT10_ENKUlT_T0_E_clISt17integral_constantIbLb0EES1T_IbLb1EEEEDaS1P_S1Q_EUlS1P_E_NS1_11comp_targetILNS1_3genE2ELNS1_11target_archE906ELNS1_3gpuE6ELNS1_3repE0EEENS1_30default_config_static_selectorELNS0_4arch9wavefront6targetE0EEEvS12_.kd
    .uniform_work_group_size: 1
    .uses_dynamic_stack: false
    .vgpr_count:     0
    .vgpr_spill_count: 0
    .wavefront_size: 32
  - .args:
      - .offset:         0
        .size:           184
        .value_kind:     by_value
    .group_segment_fixed_size: 0
    .kernarg_segment_align: 8
    .kernarg_segment_size: 184
    .language:       OpenCL C
    .language_version:
      - 2
      - 0
    .max_flat_workgroup_size: 256
    .name:           _ZN7rocprim17ROCPRIM_400000_NS6detail17trampoline_kernelINS0_13select_configILj256ELj13ELNS0_17block_load_methodE3ELS4_3ELS4_3ELNS0_20block_scan_algorithmE0ELj4294967295EEENS1_25partition_config_selectorILNS1_17partition_subalgoE4EjNS0_10empty_typeEbEEZZNS1_14partition_implILS8_4ELb0ES6_15HIP_vector_typeIjLj2EENS0_17counting_iteratorIjlEEPS9_SG_NS0_5tupleIJPjSI_NS0_16reverse_iteratorISI_EEEEENSH_IJSG_SG_SG_EEES9_SI_JZNS1_25segmented_radix_sort_implINS0_14default_configELb0EPKhPhPKlPlN2at6native12_GLOBAL__N_18offset_tEEE10hipError_tPvRmT1_PNSt15iterator_traitsIS12_E10value_typeET2_T3_PNS13_IS18_E10value_typeET4_jRbjT5_S1E_jjP12ihipStream_tbEUljE_ZNSN_ISO_Lb0ESQ_SR_ST_SU_SY_EESZ_S10_S11_S12_S16_S17_S18_S1B_S1C_jS1D_jS1E_S1E_jjS1G_bEUljE0_EEESZ_S10_S11_S18_S1C_S1E_T6_T7_T9_mT8_S1G_bDpT10_ENKUlT_T0_E_clISt17integral_constantIbLb0EES1T_IbLb1EEEEDaS1P_S1Q_EUlS1P_E_NS1_11comp_targetILNS1_3genE10ELNS1_11target_archE1200ELNS1_3gpuE4ELNS1_3repE0EEENS1_30default_config_static_selectorELNS0_4arch9wavefront6targetE0EEEvS12_
    .private_segment_fixed_size: 0
    .sgpr_count:     0
    .sgpr_spill_count: 0
    .symbol:         _ZN7rocprim17ROCPRIM_400000_NS6detail17trampoline_kernelINS0_13select_configILj256ELj13ELNS0_17block_load_methodE3ELS4_3ELS4_3ELNS0_20block_scan_algorithmE0ELj4294967295EEENS1_25partition_config_selectorILNS1_17partition_subalgoE4EjNS0_10empty_typeEbEEZZNS1_14partition_implILS8_4ELb0ES6_15HIP_vector_typeIjLj2EENS0_17counting_iteratorIjlEEPS9_SG_NS0_5tupleIJPjSI_NS0_16reverse_iteratorISI_EEEEENSH_IJSG_SG_SG_EEES9_SI_JZNS1_25segmented_radix_sort_implINS0_14default_configELb0EPKhPhPKlPlN2at6native12_GLOBAL__N_18offset_tEEE10hipError_tPvRmT1_PNSt15iterator_traitsIS12_E10value_typeET2_T3_PNS13_IS18_E10value_typeET4_jRbjT5_S1E_jjP12ihipStream_tbEUljE_ZNSN_ISO_Lb0ESQ_SR_ST_SU_SY_EESZ_S10_S11_S12_S16_S17_S18_S1B_S1C_jS1D_jS1E_S1E_jjS1G_bEUljE0_EEESZ_S10_S11_S18_S1C_S1E_T6_T7_T9_mT8_S1G_bDpT10_ENKUlT_T0_E_clISt17integral_constantIbLb0EES1T_IbLb1EEEEDaS1P_S1Q_EUlS1P_E_NS1_11comp_targetILNS1_3genE10ELNS1_11target_archE1200ELNS1_3gpuE4ELNS1_3repE0EEENS1_30default_config_static_selectorELNS0_4arch9wavefront6targetE0EEEvS12_.kd
    .uniform_work_group_size: 1
    .uses_dynamic_stack: false
    .vgpr_count:     0
    .vgpr_spill_count: 0
    .wavefront_size: 32
  - .args:
      - .offset:         0
        .size:           184
        .value_kind:     by_value
    .group_segment_fixed_size: 0
    .kernarg_segment_align: 8
    .kernarg_segment_size: 184
    .language:       OpenCL C
    .language_version:
      - 2
      - 0
    .max_flat_workgroup_size: 256
    .name:           _ZN7rocprim17ROCPRIM_400000_NS6detail17trampoline_kernelINS0_13select_configILj256ELj13ELNS0_17block_load_methodE3ELS4_3ELS4_3ELNS0_20block_scan_algorithmE0ELj4294967295EEENS1_25partition_config_selectorILNS1_17partition_subalgoE4EjNS0_10empty_typeEbEEZZNS1_14partition_implILS8_4ELb0ES6_15HIP_vector_typeIjLj2EENS0_17counting_iteratorIjlEEPS9_SG_NS0_5tupleIJPjSI_NS0_16reverse_iteratorISI_EEEEENSH_IJSG_SG_SG_EEES9_SI_JZNS1_25segmented_radix_sort_implINS0_14default_configELb0EPKhPhPKlPlN2at6native12_GLOBAL__N_18offset_tEEE10hipError_tPvRmT1_PNSt15iterator_traitsIS12_E10value_typeET2_T3_PNS13_IS18_E10value_typeET4_jRbjT5_S1E_jjP12ihipStream_tbEUljE_ZNSN_ISO_Lb0ESQ_SR_ST_SU_SY_EESZ_S10_S11_S12_S16_S17_S18_S1B_S1C_jS1D_jS1E_S1E_jjS1G_bEUljE0_EEESZ_S10_S11_S18_S1C_S1E_T6_T7_T9_mT8_S1G_bDpT10_ENKUlT_T0_E_clISt17integral_constantIbLb0EES1T_IbLb1EEEEDaS1P_S1Q_EUlS1P_E_NS1_11comp_targetILNS1_3genE9ELNS1_11target_archE1100ELNS1_3gpuE3ELNS1_3repE0EEENS1_30default_config_static_selectorELNS0_4arch9wavefront6targetE0EEEvS12_
    .private_segment_fixed_size: 0
    .sgpr_count:     0
    .sgpr_spill_count: 0
    .symbol:         _ZN7rocprim17ROCPRIM_400000_NS6detail17trampoline_kernelINS0_13select_configILj256ELj13ELNS0_17block_load_methodE3ELS4_3ELS4_3ELNS0_20block_scan_algorithmE0ELj4294967295EEENS1_25partition_config_selectorILNS1_17partition_subalgoE4EjNS0_10empty_typeEbEEZZNS1_14partition_implILS8_4ELb0ES6_15HIP_vector_typeIjLj2EENS0_17counting_iteratorIjlEEPS9_SG_NS0_5tupleIJPjSI_NS0_16reverse_iteratorISI_EEEEENSH_IJSG_SG_SG_EEES9_SI_JZNS1_25segmented_radix_sort_implINS0_14default_configELb0EPKhPhPKlPlN2at6native12_GLOBAL__N_18offset_tEEE10hipError_tPvRmT1_PNSt15iterator_traitsIS12_E10value_typeET2_T3_PNS13_IS18_E10value_typeET4_jRbjT5_S1E_jjP12ihipStream_tbEUljE_ZNSN_ISO_Lb0ESQ_SR_ST_SU_SY_EESZ_S10_S11_S12_S16_S17_S18_S1B_S1C_jS1D_jS1E_S1E_jjS1G_bEUljE0_EEESZ_S10_S11_S18_S1C_S1E_T6_T7_T9_mT8_S1G_bDpT10_ENKUlT_T0_E_clISt17integral_constantIbLb0EES1T_IbLb1EEEEDaS1P_S1Q_EUlS1P_E_NS1_11comp_targetILNS1_3genE9ELNS1_11target_archE1100ELNS1_3gpuE3ELNS1_3repE0EEENS1_30default_config_static_selectorELNS0_4arch9wavefront6targetE0EEEvS12_.kd
    .uniform_work_group_size: 1
    .uses_dynamic_stack: false
    .vgpr_count:     0
    .vgpr_spill_count: 0
    .wavefront_size: 32
  - .args:
      - .offset:         0
        .size:           184
        .value_kind:     by_value
    .group_segment_fixed_size: 0
    .kernarg_segment_align: 8
    .kernarg_segment_size: 184
    .language:       OpenCL C
    .language_version:
      - 2
      - 0
    .max_flat_workgroup_size: 256
    .name:           _ZN7rocprim17ROCPRIM_400000_NS6detail17trampoline_kernelINS0_13select_configILj256ELj13ELNS0_17block_load_methodE3ELS4_3ELS4_3ELNS0_20block_scan_algorithmE0ELj4294967295EEENS1_25partition_config_selectorILNS1_17partition_subalgoE4EjNS0_10empty_typeEbEEZZNS1_14partition_implILS8_4ELb0ES6_15HIP_vector_typeIjLj2EENS0_17counting_iteratorIjlEEPS9_SG_NS0_5tupleIJPjSI_NS0_16reverse_iteratorISI_EEEEENSH_IJSG_SG_SG_EEES9_SI_JZNS1_25segmented_radix_sort_implINS0_14default_configELb0EPKhPhPKlPlN2at6native12_GLOBAL__N_18offset_tEEE10hipError_tPvRmT1_PNSt15iterator_traitsIS12_E10value_typeET2_T3_PNS13_IS18_E10value_typeET4_jRbjT5_S1E_jjP12ihipStream_tbEUljE_ZNSN_ISO_Lb0ESQ_SR_ST_SU_SY_EESZ_S10_S11_S12_S16_S17_S18_S1B_S1C_jS1D_jS1E_S1E_jjS1G_bEUljE0_EEESZ_S10_S11_S18_S1C_S1E_T6_T7_T9_mT8_S1G_bDpT10_ENKUlT_T0_E_clISt17integral_constantIbLb0EES1T_IbLb1EEEEDaS1P_S1Q_EUlS1P_E_NS1_11comp_targetILNS1_3genE8ELNS1_11target_archE1030ELNS1_3gpuE2ELNS1_3repE0EEENS1_30default_config_static_selectorELNS0_4arch9wavefront6targetE0EEEvS12_
    .private_segment_fixed_size: 0
    .sgpr_count:     0
    .sgpr_spill_count: 0
    .symbol:         _ZN7rocprim17ROCPRIM_400000_NS6detail17trampoline_kernelINS0_13select_configILj256ELj13ELNS0_17block_load_methodE3ELS4_3ELS4_3ELNS0_20block_scan_algorithmE0ELj4294967295EEENS1_25partition_config_selectorILNS1_17partition_subalgoE4EjNS0_10empty_typeEbEEZZNS1_14partition_implILS8_4ELb0ES6_15HIP_vector_typeIjLj2EENS0_17counting_iteratorIjlEEPS9_SG_NS0_5tupleIJPjSI_NS0_16reverse_iteratorISI_EEEEENSH_IJSG_SG_SG_EEES9_SI_JZNS1_25segmented_radix_sort_implINS0_14default_configELb0EPKhPhPKlPlN2at6native12_GLOBAL__N_18offset_tEEE10hipError_tPvRmT1_PNSt15iterator_traitsIS12_E10value_typeET2_T3_PNS13_IS18_E10value_typeET4_jRbjT5_S1E_jjP12ihipStream_tbEUljE_ZNSN_ISO_Lb0ESQ_SR_ST_SU_SY_EESZ_S10_S11_S12_S16_S17_S18_S1B_S1C_jS1D_jS1E_S1E_jjS1G_bEUljE0_EEESZ_S10_S11_S18_S1C_S1E_T6_T7_T9_mT8_S1G_bDpT10_ENKUlT_T0_E_clISt17integral_constantIbLb0EES1T_IbLb1EEEEDaS1P_S1Q_EUlS1P_E_NS1_11comp_targetILNS1_3genE8ELNS1_11target_archE1030ELNS1_3gpuE2ELNS1_3repE0EEENS1_30default_config_static_selectorELNS0_4arch9wavefront6targetE0EEEvS12_.kd
    .uniform_work_group_size: 1
    .uses_dynamic_stack: false
    .vgpr_count:     0
    .vgpr_spill_count: 0
    .wavefront_size: 32
  - .args:
      - .offset:         0
        .size:           144
        .value_kind:     by_value
    .group_segment_fixed_size: 13320
    .kernarg_segment_align: 8
    .kernarg_segment_size: 144
    .language:       OpenCL C
    .language_version:
      - 2
      - 0
    .max_flat_workgroup_size: 256
    .name:           _ZN7rocprim17ROCPRIM_400000_NS6detail17trampoline_kernelINS0_13select_configILj256ELj13ELNS0_17block_load_methodE3ELS4_3ELS4_3ELNS0_20block_scan_algorithmE0ELj4294967295EEENS1_25partition_config_selectorILNS1_17partition_subalgoE3EjNS0_10empty_typeEbEEZZNS1_14partition_implILS8_3ELb0ES6_jNS0_17counting_iteratorIjlEEPS9_SE_NS0_5tupleIJPjSE_EEENSF_IJSE_SE_EEES9_SG_JZNS1_25segmented_radix_sort_implINS0_14default_configELb0EPKhPhPKlPlN2at6native12_GLOBAL__N_18offset_tEEE10hipError_tPvRmT1_PNSt15iterator_traitsISY_E10value_typeET2_T3_PNSZ_IS14_E10value_typeET4_jRbjT5_S1A_jjP12ihipStream_tbEUljE_EEESV_SW_SX_S14_S18_S1A_T6_T7_T9_mT8_S1C_bDpT10_ENKUlT_T0_E_clISt17integral_constantIbLb0EES1P_EEDaS1K_S1L_EUlS1K_E_NS1_11comp_targetILNS1_3genE0ELNS1_11target_archE4294967295ELNS1_3gpuE0ELNS1_3repE0EEENS1_30default_config_static_selectorELNS0_4arch9wavefront6targetE0EEEvSY_
    .private_segment_fixed_size: 0
    .sgpr_count:     28
    .sgpr_spill_count: 0
    .symbol:         _ZN7rocprim17ROCPRIM_400000_NS6detail17trampoline_kernelINS0_13select_configILj256ELj13ELNS0_17block_load_methodE3ELS4_3ELS4_3ELNS0_20block_scan_algorithmE0ELj4294967295EEENS1_25partition_config_selectorILNS1_17partition_subalgoE3EjNS0_10empty_typeEbEEZZNS1_14partition_implILS8_3ELb0ES6_jNS0_17counting_iteratorIjlEEPS9_SE_NS0_5tupleIJPjSE_EEENSF_IJSE_SE_EEES9_SG_JZNS1_25segmented_radix_sort_implINS0_14default_configELb0EPKhPhPKlPlN2at6native12_GLOBAL__N_18offset_tEEE10hipError_tPvRmT1_PNSt15iterator_traitsISY_E10value_typeET2_T3_PNSZ_IS14_E10value_typeET4_jRbjT5_S1A_jjP12ihipStream_tbEUljE_EEESV_SW_SX_S14_S18_S1A_T6_T7_T9_mT8_S1C_bDpT10_ENKUlT_T0_E_clISt17integral_constantIbLb0EES1P_EEDaS1K_S1L_EUlS1K_E_NS1_11comp_targetILNS1_3genE0ELNS1_11target_archE4294967295ELNS1_3gpuE0ELNS1_3repE0EEENS1_30default_config_static_selectorELNS0_4arch9wavefront6targetE0EEEvSY_.kd
    .uniform_work_group_size: 1
    .uses_dynamic_stack: false
    .vgpr_count:     69
    .vgpr_spill_count: 0
    .wavefront_size: 32
  - .args:
      - .offset:         0
        .size:           144
        .value_kind:     by_value
    .group_segment_fixed_size: 0
    .kernarg_segment_align: 8
    .kernarg_segment_size: 144
    .language:       OpenCL C
    .language_version:
      - 2
      - 0
    .max_flat_workgroup_size: 256
    .name:           _ZN7rocprim17ROCPRIM_400000_NS6detail17trampoline_kernelINS0_13select_configILj256ELj13ELNS0_17block_load_methodE3ELS4_3ELS4_3ELNS0_20block_scan_algorithmE0ELj4294967295EEENS1_25partition_config_selectorILNS1_17partition_subalgoE3EjNS0_10empty_typeEbEEZZNS1_14partition_implILS8_3ELb0ES6_jNS0_17counting_iteratorIjlEEPS9_SE_NS0_5tupleIJPjSE_EEENSF_IJSE_SE_EEES9_SG_JZNS1_25segmented_radix_sort_implINS0_14default_configELb0EPKhPhPKlPlN2at6native12_GLOBAL__N_18offset_tEEE10hipError_tPvRmT1_PNSt15iterator_traitsISY_E10value_typeET2_T3_PNSZ_IS14_E10value_typeET4_jRbjT5_S1A_jjP12ihipStream_tbEUljE_EEESV_SW_SX_S14_S18_S1A_T6_T7_T9_mT8_S1C_bDpT10_ENKUlT_T0_E_clISt17integral_constantIbLb0EES1P_EEDaS1K_S1L_EUlS1K_E_NS1_11comp_targetILNS1_3genE5ELNS1_11target_archE942ELNS1_3gpuE9ELNS1_3repE0EEENS1_30default_config_static_selectorELNS0_4arch9wavefront6targetE0EEEvSY_
    .private_segment_fixed_size: 0
    .sgpr_count:     0
    .sgpr_spill_count: 0
    .symbol:         _ZN7rocprim17ROCPRIM_400000_NS6detail17trampoline_kernelINS0_13select_configILj256ELj13ELNS0_17block_load_methodE3ELS4_3ELS4_3ELNS0_20block_scan_algorithmE0ELj4294967295EEENS1_25partition_config_selectorILNS1_17partition_subalgoE3EjNS0_10empty_typeEbEEZZNS1_14partition_implILS8_3ELb0ES6_jNS0_17counting_iteratorIjlEEPS9_SE_NS0_5tupleIJPjSE_EEENSF_IJSE_SE_EEES9_SG_JZNS1_25segmented_radix_sort_implINS0_14default_configELb0EPKhPhPKlPlN2at6native12_GLOBAL__N_18offset_tEEE10hipError_tPvRmT1_PNSt15iterator_traitsISY_E10value_typeET2_T3_PNSZ_IS14_E10value_typeET4_jRbjT5_S1A_jjP12ihipStream_tbEUljE_EEESV_SW_SX_S14_S18_S1A_T6_T7_T9_mT8_S1C_bDpT10_ENKUlT_T0_E_clISt17integral_constantIbLb0EES1P_EEDaS1K_S1L_EUlS1K_E_NS1_11comp_targetILNS1_3genE5ELNS1_11target_archE942ELNS1_3gpuE9ELNS1_3repE0EEENS1_30default_config_static_selectorELNS0_4arch9wavefront6targetE0EEEvSY_.kd
    .uniform_work_group_size: 1
    .uses_dynamic_stack: false
    .vgpr_count:     0
    .vgpr_spill_count: 0
    .wavefront_size: 32
  - .args:
      - .offset:         0
        .size:           144
        .value_kind:     by_value
    .group_segment_fixed_size: 0
    .kernarg_segment_align: 8
    .kernarg_segment_size: 144
    .language:       OpenCL C
    .language_version:
      - 2
      - 0
    .max_flat_workgroup_size: 256
    .name:           _ZN7rocprim17ROCPRIM_400000_NS6detail17trampoline_kernelINS0_13select_configILj256ELj13ELNS0_17block_load_methodE3ELS4_3ELS4_3ELNS0_20block_scan_algorithmE0ELj4294967295EEENS1_25partition_config_selectorILNS1_17partition_subalgoE3EjNS0_10empty_typeEbEEZZNS1_14partition_implILS8_3ELb0ES6_jNS0_17counting_iteratorIjlEEPS9_SE_NS0_5tupleIJPjSE_EEENSF_IJSE_SE_EEES9_SG_JZNS1_25segmented_radix_sort_implINS0_14default_configELb0EPKhPhPKlPlN2at6native12_GLOBAL__N_18offset_tEEE10hipError_tPvRmT1_PNSt15iterator_traitsISY_E10value_typeET2_T3_PNSZ_IS14_E10value_typeET4_jRbjT5_S1A_jjP12ihipStream_tbEUljE_EEESV_SW_SX_S14_S18_S1A_T6_T7_T9_mT8_S1C_bDpT10_ENKUlT_T0_E_clISt17integral_constantIbLb0EES1P_EEDaS1K_S1L_EUlS1K_E_NS1_11comp_targetILNS1_3genE4ELNS1_11target_archE910ELNS1_3gpuE8ELNS1_3repE0EEENS1_30default_config_static_selectorELNS0_4arch9wavefront6targetE0EEEvSY_
    .private_segment_fixed_size: 0
    .sgpr_count:     0
    .sgpr_spill_count: 0
    .symbol:         _ZN7rocprim17ROCPRIM_400000_NS6detail17trampoline_kernelINS0_13select_configILj256ELj13ELNS0_17block_load_methodE3ELS4_3ELS4_3ELNS0_20block_scan_algorithmE0ELj4294967295EEENS1_25partition_config_selectorILNS1_17partition_subalgoE3EjNS0_10empty_typeEbEEZZNS1_14partition_implILS8_3ELb0ES6_jNS0_17counting_iteratorIjlEEPS9_SE_NS0_5tupleIJPjSE_EEENSF_IJSE_SE_EEES9_SG_JZNS1_25segmented_radix_sort_implINS0_14default_configELb0EPKhPhPKlPlN2at6native12_GLOBAL__N_18offset_tEEE10hipError_tPvRmT1_PNSt15iterator_traitsISY_E10value_typeET2_T3_PNSZ_IS14_E10value_typeET4_jRbjT5_S1A_jjP12ihipStream_tbEUljE_EEESV_SW_SX_S14_S18_S1A_T6_T7_T9_mT8_S1C_bDpT10_ENKUlT_T0_E_clISt17integral_constantIbLb0EES1P_EEDaS1K_S1L_EUlS1K_E_NS1_11comp_targetILNS1_3genE4ELNS1_11target_archE910ELNS1_3gpuE8ELNS1_3repE0EEENS1_30default_config_static_selectorELNS0_4arch9wavefront6targetE0EEEvSY_.kd
    .uniform_work_group_size: 1
    .uses_dynamic_stack: false
    .vgpr_count:     0
    .vgpr_spill_count: 0
    .wavefront_size: 32
  - .args:
      - .offset:         0
        .size:           144
        .value_kind:     by_value
    .group_segment_fixed_size: 0
    .kernarg_segment_align: 8
    .kernarg_segment_size: 144
    .language:       OpenCL C
    .language_version:
      - 2
      - 0
    .max_flat_workgroup_size: 256
    .name:           _ZN7rocprim17ROCPRIM_400000_NS6detail17trampoline_kernelINS0_13select_configILj256ELj13ELNS0_17block_load_methodE3ELS4_3ELS4_3ELNS0_20block_scan_algorithmE0ELj4294967295EEENS1_25partition_config_selectorILNS1_17partition_subalgoE3EjNS0_10empty_typeEbEEZZNS1_14partition_implILS8_3ELb0ES6_jNS0_17counting_iteratorIjlEEPS9_SE_NS0_5tupleIJPjSE_EEENSF_IJSE_SE_EEES9_SG_JZNS1_25segmented_radix_sort_implINS0_14default_configELb0EPKhPhPKlPlN2at6native12_GLOBAL__N_18offset_tEEE10hipError_tPvRmT1_PNSt15iterator_traitsISY_E10value_typeET2_T3_PNSZ_IS14_E10value_typeET4_jRbjT5_S1A_jjP12ihipStream_tbEUljE_EEESV_SW_SX_S14_S18_S1A_T6_T7_T9_mT8_S1C_bDpT10_ENKUlT_T0_E_clISt17integral_constantIbLb0EES1P_EEDaS1K_S1L_EUlS1K_E_NS1_11comp_targetILNS1_3genE3ELNS1_11target_archE908ELNS1_3gpuE7ELNS1_3repE0EEENS1_30default_config_static_selectorELNS0_4arch9wavefront6targetE0EEEvSY_
    .private_segment_fixed_size: 0
    .sgpr_count:     0
    .sgpr_spill_count: 0
    .symbol:         _ZN7rocprim17ROCPRIM_400000_NS6detail17trampoline_kernelINS0_13select_configILj256ELj13ELNS0_17block_load_methodE3ELS4_3ELS4_3ELNS0_20block_scan_algorithmE0ELj4294967295EEENS1_25partition_config_selectorILNS1_17partition_subalgoE3EjNS0_10empty_typeEbEEZZNS1_14partition_implILS8_3ELb0ES6_jNS0_17counting_iteratorIjlEEPS9_SE_NS0_5tupleIJPjSE_EEENSF_IJSE_SE_EEES9_SG_JZNS1_25segmented_radix_sort_implINS0_14default_configELb0EPKhPhPKlPlN2at6native12_GLOBAL__N_18offset_tEEE10hipError_tPvRmT1_PNSt15iterator_traitsISY_E10value_typeET2_T3_PNSZ_IS14_E10value_typeET4_jRbjT5_S1A_jjP12ihipStream_tbEUljE_EEESV_SW_SX_S14_S18_S1A_T6_T7_T9_mT8_S1C_bDpT10_ENKUlT_T0_E_clISt17integral_constantIbLb0EES1P_EEDaS1K_S1L_EUlS1K_E_NS1_11comp_targetILNS1_3genE3ELNS1_11target_archE908ELNS1_3gpuE7ELNS1_3repE0EEENS1_30default_config_static_selectorELNS0_4arch9wavefront6targetE0EEEvSY_.kd
    .uniform_work_group_size: 1
    .uses_dynamic_stack: false
    .vgpr_count:     0
    .vgpr_spill_count: 0
    .wavefront_size: 32
  - .args:
      - .offset:         0
        .size:           144
        .value_kind:     by_value
    .group_segment_fixed_size: 0
    .kernarg_segment_align: 8
    .kernarg_segment_size: 144
    .language:       OpenCL C
    .language_version:
      - 2
      - 0
    .max_flat_workgroup_size: 256
    .name:           _ZN7rocprim17ROCPRIM_400000_NS6detail17trampoline_kernelINS0_13select_configILj256ELj13ELNS0_17block_load_methodE3ELS4_3ELS4_3ELNS0_20block_scan_algorithmE0ELj4294967295EEENS1_25partition_config_selectorILNS1_17partition_subalgoE3EjNS0_10empty_typeEbEEZZNS1_14partition_implILS8_3ELb0ES6_jNS0_17counting_iteratorIjlEEPS9_SE_NS0_5tupleIJPjSE_EEENSF_IJSE_SE_EEES9_SG_JZNS1_25segmented_radix_sort_implINS0_14default_configELb0EPKhPhPKlPlN2at6native12_GLOBAL__N_18offset_tEEE10hipError_tPvRmT1_PNSt15iterator_traitsISY_E10value_typeET2_T3_PNSZ_IS14_E10value_typeET4_jRbjT5_S1A_jjP12ihipStream_tbEUljE_EEESV_SW_SX_S14_S18_S1A_T6_T7_T9_mT8_S1C_bDpT10_ENKUlT_T0_E_clISt17integral_constantIbLb0EES1P_EEDaS1K_S1L_EUlS1K_E_NS1_11comp_targetILNS1_3genE2ELNS1_11target_archE906ELNS1_3gpuE6ELNS1_3repE0EEENS1_30default_config_static_selectorELNS0_4arch9wavefront6targetE0EEEvSY_
    .private_segment_fixed_size: 0
    .sgpr_count:     0
    .sgpr_spill_count: 0
    .symbol:         _ZN7rocprim17ROCPRIM_400000_NS6detail17trampoline_kernelINS0_13select_configILj256ELj13ELNS0_17block_load_methodE3ELS4_3ELS4_3ELNS0_20block_scan_algorithmE0ELj4294967295EEENS1_25partition_config_selectorILNS1_17partition_subalgoE3EjNS0_10empty_typeEbEEZZNS1_14partition_implILS8_3ELb0ES6_jNS0_17counting_iteratorIjlEEPS9_SE_NS0_5tupleIJPjSE_EEENSF_IJSE_SE_EEES9_SG_JZNS1_25segmented_radix_sort_implINS0_14default_configELb0EPKhPhPKlPlN2at6native12_GLOBAL__N_18offset_tEEE10hipError_tPvRmT1_PNSt15iterator_traitsISY_E10value_typeET2_T3_PNSZ_IS14_E10value_typeET4_jRbjT5_S1A_jjP12ihipStream_tbEUljE_EEESV_SW_SX_S14_S18_S1A_T6_T7_T9_mT8_S1C_bDpT10_ENKUlT_T0_E_clISt17integral_constantIbLb0EES1P_EEDaS1K_S1L_EUlS1K_E_NS1_11comp_targetILNS1_3genE2ELNS1_11target_archE906ELNS1_3gpuE6ELNS1_3repE0EEENS1_30default_config_static_selectorELNS0_4arch9wavefront6targetE0EEEvSY_.kd
    .uniform_work_group_size: 1
    .uses_dynamic_stack: false
    .vgpr_count:     0
    .vgpr_spill_count: 0
    .wavefront_size: 32
  - .args:
      - .offset:         0
        .size:           144
        .value_kind:     by_value
    .group_segment_fixed_size: 0
    .kernarg_segment_align: 8
    .kernarg_segment_size: 144
    .language:       OpenCL C
    .language_version:
      - 2
      - 0
    .max_flat_workgroup_size: 256
    .name:           _ZN7rocprim17ROCPRIM_400000_NS6detail17trampoline_kernelINS0_13select_configILj256ELj13ELNS0_17block_load_methodE3ELS4_3ELS4_3ELNS0_20block_scan_algorithmE0ELj4294967295EEENS1_25partition_config_selectorILNS1_17partition_subalgoE3EjNS0_10empty_typeEbEEZZNS1_14partition_implILS8_3ELb0ES6_jNS0_17counting_iteratorIjlEEPS9_SE_NS0_5tupleIJPjSE_EEENSF_IJSE_SE_EEES9_SG_JZNS1_25segmented_radix_sort_implINS0_14default_configELb0EPKhPhPKlPlN2at6native12_GLOBAL__N_18offset_tEEE10hipError_tPvRmT1_PNSt15iterator_traitsISY_E10value_typeET2_T3_PNSZ_IS14_E10value_typeET4_jRbjT5_S1A_jjP12ihipStream_tbEUljE_EEESV_SW_SX_S14_S18_S1A_T6_T7_T9_mT8_S1C_bDpT10_ENKUlT_T0_E_clISt17integral_constantIbLb0EES1P_EEDaS1K_S1L_EUlS1K_E_NS1_11comp_targetILNS1_3genE10ELNS1_11target_archE1200ELNS1_3gpuE4ELNS1_3repE0EEENS1_30default_config_static_selectorELNS0_4arch9wavefront6targetE0EEEvSY_
    .private_segment_fixed_size: 0
    .sgpr_count:     0
    .sgpr_spill_count: 0
    .symbol:         _ZN7rocprim17ROCPRIM_400000_NS6detail17trampoline_kernelINS0_13select_configILj256ELj13ELNS0_17block_load_methodE3ELS4_3ELS4_3ELNS0_20block_scan_algorithmE0ELj4294967295EEENS1_25partition_config_selectorILNS1_17partition_subalgoE3EjNS0_10empty_typeEbEEZZNS1_14partition_implILS8_3ELb0ES6_jNS0_17counting_iteratorIjlEEPS9_SE_NS0_5tupleIJPjSE_EEENSF_IJSE_SE_EEES9_SG_JZNS1_25segmented_radix_sort_implINS0_14default_configELb0EPKhPhPKlPlN2at6native12_GLOBAL__N_18offset_tEEE10hipError_tPvRmT1_PNSt15iterator_traitsISY_E10value_typeET2_T3_PNSZ_IS14_E10value_typeET4_jRbjT5_S1A_jjP12ihipStream_tbEUljE_EEESV_SW_SX_S14_S18_S1A_T6_T7_T9_mT8_S1C_bDpT10_ENKUlT_T0_E_clISt17integral_constantIbLb0EES1P_EEDaS1K_S1L_EUlS1K_E_NS1_11comp_targetILNS1_3genE10ELNS1_11target_archE1200ELNS1_3gpuE4ELNS1_3repE0EEENS1_30default_config_static_selectorELNS0_4arch9wavefront6targetE0EEEvSY_.kd
    .uniform_work_group_size: 1
    .uses_dynamic_stack: false
    .vgpr_count:     0
    .vgpr_spill_count: 0
    .wavefront_size: 32
  - .args:
      - .offset:         0
        .size:           144
        .value_kind:     by_value
    .group_segment_fixed_size: 0
    .kernarg_segment_align: 8
    .kernarg_segment_size: 144
    .language:       OpenCL C
    .language_version:
      - 2
      - 0
    .max_flat_workgroup_size: 256
    .name:           _ZN7rocprim17ROCPRIM_400000_NS6detail17trampoline_kernelINS0_13select_configILj256ELj13ELNS0_17block_load_methodE3ELS4_3ELS4_3ELNS0_20block_scan_algorithmE0ELj4294967295EEENS1_25partition_config_selectorILNS1_17partition_subalgoE3EjNS0_10empty_typeEbEEZZNS1_14partition_implILS8_3ELb0ES6_jNS0_17counting_iteratorIjlEEPS9_SE_NS0_5tupleIJPjSE_EEENSF_IJSE_SE_EEES9_SG_JZNS1_25segmented_radix_sort_implINS0_14default_configELb0EPKhPhPKlPlN2at6native12_GLOBAL__N_18offset_tEEE10hipError_tPvRmT1_PNSt15iterator_traitsISY_E10value_typeET2_T3_PNSZ_IS14_E10value_typeET4_jRbjT5_S1A_jjP12ihipStream_tbEUljE_EEESV_SW_SX_S14_S18_S1A_T6_T7_T9_mT8_S1C_bDpT10_ENKUlT_T0_E_clISt17integral_constantIbLb0EES1P_EEDaS1K_S1L_EUlS1K_E_NS1_11comp_targetILNS1_3genE9ELNS1_11target_archE1100ELNS1_3gpuE3ELNS1_3repE0EEENS1_30default_config_static_selectorELNS0_4arch9wavefront6targetE0EEEvSY_
    .private_segment_fixed_size: 0
    .sgpr_count:     0
    .sgpr_spill_count: 0
    .symbol:         _ZN7rocprim17ROCPRIM_400000_NS6detail17trampoline_kernelINS0_13select_configILj256ELj13ELNS0_17block_load_methodE3ELS4_3ELS4_3ELNS0_20block_scan_algorithmE0ELj4294967295EEENS1_25partition_config_selectorILNS1_17partition_subalgoE3EjNS0_10empty_typeEbEEZZNS1_14partition_implILS8_3ELb0ES6_jNS0_17counting_iteratorIjlEEPS9_SE_NS0_5tupleIJPjSE_EEENSF_IJSE_SE_EEES9_SG_JZNS1_25segmented_radix_sort_implINS0_14default_configELb0EPKhPhPKlPlN2at6native12_GLOBAL__N_18offset_tEEE10hipError_tPvRmT1_PNSt15iterator_traitsISY_E10value_typeET2_T3_PNSZ_IS14_E10value_typeET4_jRbjT5_S1A_jjP12ihipStream_tbEUljE_EEESV_SW_SX_S14_S18_S1A_T6_T7_T9_mT8_S1C_bDpT10_ENKUlT_T0_E_clISt17integral_constantIbLb0EES1P_EEDaS1K_S1L_EUlS1K_E_NS1_11comp_targetILNS1_3genE9ELNS1_11target_archE1100ELNS1_3gpuE3ELNS1_3repE0EEENS1_30default_config_static_selectorELNS0_4arch9wavefront6targetE0EEEvSY_.kd
    .uniform_work_group_size: 1
    .uses_dynamic_stack: false
    .vgpr_count:     0
    .vgpr_spill_count: 0
    .wavefront_size: 32
  - .args:
      - .offset:         0
        .size:           144
        .value_kind:     by_value
    .group_segment_fixed_size: 0
    .kernarg_segment_align: 8
    .kernarg_segment_size: 144
    .language:       OpenCL C
    .language_version:
      - 2
      - 0
    .max_flat_workgroup_size: 256
    .name:           _ZN7rocprim17ROCPRIM_400000_NS6detail17trampoline_kernelINS0_13select_configILj256ELj13ELNS0_17block_load_methodE3ELS4_3ELS4_3ELNS0_20block_scan_algorithmE0ELj4294967295EEENS1_25partition_config_selectorILNS1_17partition_subalgoE3EjNS0_10empty_typeEbEEZZNS1_14partition_implILS8_3ELb0ES6_jNS0_17counting_iteratorIjlEEPS9_SE_NS0_5tupleIJPjSE_EEENSF_IJSE_SE_EEES9_SG_JZNS1_25segmented_radix_sort_implINS0_14default_configELb0EPKhPhPKlPlN2at6native12_GLOBAL__N_18offset_tEEE10hipError_tPvRmT1_PNSt15iterator_traitsISY_E10value_typeET2_T3_PNSZ_IS14_E10value_typeET4_jRbjT5_S1A_jjP12ihipStream_tbEUljE_EEESV_SW_SX_S14_S18_S1A_T6_T7_T9_mT8_S1C_bDpT10_ENKUlT_T0_E_clISt17integral_constantIbLb0EES1P_EEDaS1K_S1L_EUlS1K_E_NS1_11comp_targetILNS1_3genE8ELNS1_11target_archE1030ELNS1_3gpuE2ELNS1_3repE0EEENS1_30default_config_static_selectorELNS0_4arch9wavefront6targetE0EEEvSY_
    .private_segment_fixed_size: 0
    .sgpr_count:     0
    .sgpr_spill_count: 0
    .symbol:         _ZN7rocprim17ROCPRIM_400000_NS6detail17trampoline_kernelINS0_13select_configILj256ELj13ELNS0_17block_load_methodE3ELS4_3ELS4_3ELNS0_20block_scan_algorithmE0ELj4294967295EEENS1_25partition_config_selectorILNS1_17partition_subalgoE3EjNS0_10empty_typeEbEEZZNS1_14partition_implILS8_3ELb0ES6_jNS0_17counting_iteratorIjlEEPS9_SE_NS0_5tupleIJPjSE_EEENSF_IJSE_SE_EEES9_SG_JZNS1_25segmented_radix_sort_implINS0_14default_configELb0EPKhPhPKlPlN2at6native12_GLOBAL__N_18offset_tEEE10hipError_tPvRmT1_PNSt15iterator_traitsISY_E10value_typeET2_T3_PNSZ_IS14_E10value_typeET4_jRbjT5_S1A_jjP12ihipStream_tbEUljE_EEESV_SW_SX_S14_S18_S1A_T6_T7_T9_mT8_S1C_bDpT10_ENKUlT_T0_E_clISt17integral_constantIbLb0EES1P_EEDaS1K_S1L_EUlS1K_E_NS1_11comp_targetILNS1_3genE8ELNS1_11target_archE1030ELNS1_3gpuE2ELNS1_3repE0EEENS1_30default_config_static_selectorELNS0_4arch9wavefront6targetE0EEEvSY_.kd
    .uniform_work_group_size: 1
    .uses_dynamic_stack: false
    .vgpr_count:     0
    .vgpr_spill_count: 0
    .wavefront_size: 32
  - .args:
      - .offset:         0
        .size:           152
        .value_kind:     by_value
    .group_segment_fixed_size: 0
    .kernarg_segment_align: 8
    .kernarg_segment_size: 152
    .language:       OpenCL C
    .language_version:
      - 2
      - 0
    .max_flat_workgroup_size: 256
    .name:           _ZN7rocprim17ROCPRIM_400000_NS6detail17trampoline_kernelINS0_13select_configILj256ELj13ELNS0_17block_load_methodE3ELS4_3ELS4_3ELNS0_20block_scan_algorithmE0ELj4294967295EEENS1_25partition_config_selectorILNS1_17partition_subalgoE3EjNS0_10empty_typeEbEEZZNS1_14partition_implILS8_3ELb0ES6_jNS0_17counting_iteratorIjlEEPS9_SE_NS0_5tupleIJPjSE_EEENSF_IJSE_SE_EEES9_SG_JZNS1_25segmented_radix_sort_implINS0_14default_configELb0EPKhPhPKlPlN2at6native12_GLOBAL__N_18offset_tEEE10hipError_tPvRmT1_PNSt15iterator_traitsISY_E10value_typeET2_T3_PNSZ_IS14_E10value_typeET4_jRbjT5_S1A_jjP12ihipStream_tbEUljE_EEESV_SW_SX_S14_S18_S1A_T6_T7_T9_mT8_S1C_bDpT10_ENKUlT_T0_E_clISt17integral_constantIbLb1EES1P_EEDaS1K_S1L_EUlS1K_E_NS1_11comp_targetILNS1_3genE0ELNS1_11target_archE4294967295ELNS1_3gpuE0ELNS1_3repE0EEENS1_30default_config_static_selectorELNS0_4arch9wavefront6targetE0EEEvSY_
    .private_segment_fixed_size: 0
    .sgpr_count:     0
    .sgpr_spill_count: 0
    .symbol:         _ZN7rocprim17ROCPRIM_400000_NS6detail17trampoline_kernelINS0_13select_configILj256ELj13ELNS0_17block_load_methodE3ELS4_3ELS4_3ELNS0_20block_scan_algorithmE0ELj4294967295EEENS1_25partition_config_selectorILNS1_17partition_subalgoE3EjNS0_10empty_typeEbEEZZNS1_14partition_implILS8_3ELb0ES6_jNS0_17counting_iteratorIjlEEPS9_SE_NS0_5tupleIJPjSE_EEENSF_IJSE_SE_EEES9_SG_JZNS1_25segmented_radix_sort_implINS0_14default_configELb0EPKhPhPKlPlN2at6native12_GLOBAL__N_18offset_tEEE10hipError_tPvRmT1_PNSt15iterator_traitsISY_E10value_typeET2_T3_PNSZ_IS14_E10value_typeET4_jRbjT5_S1A_jjP12ihipStream_tbEUljE_EEESV_SW_SX_S14_S18_S1A_T6_T7_T9_mT8_S1C_bDpT10_ENKUlT_T0_E_clISt17integral_constantIbLb1EES1P_EEDaS1K_S1L_EUlS1K_E_NS1_11comp_targetILNS1_3genE0ELNS1_11target_archE4294967295ELNS1_3gpuE0ELNS1_3repE0EEENS1_30default_config_static_selectorELNS0_4arch9wavefront6targetE0EEEvSY_.kd
    .uniform_work_group_size: 1
    .uses_dynamic_stack: false
    .vgpr_count:     0
    .vgpr_spill_count: 0
    .wavefront_size: 32
  - .args:
      - .offset:         0
        .size:           152
        .value_kind:     by_value
    .group_segment_fixed_size: 0
    .kernarg_segment_align: 8
    .kernarg_segment_size: 152
    .language:       OpenCL C
    .language_version:
      - 2
      - 0
    .max_flat_workgroup_size: 256
    .name:           _ZN7rocprim17ROCPRIM_400000_NS6detail17trampoline_kernelINS0_13select_configILj256ELj13ELNS0_17block_load_methodE3ELS4_3ELS4_3ELNS0_20block_scan_algorithmE0ELj4294967295EEENS1_25partition_config_selectorILNS1_17partition_subalgoE3EjNS0_10empty_typeEbEEZZNS1_14partition_implILS8_3ELb0ES6_jNS0_17counting_iteratorIjlEEPS9_SE_NS0_5tupleIJPjSE_EEENSF_IJSE_SE_EEES9_SG_JZNS1_25segmented_radix_sort_implINS0_14default_configELb0EPKhPhPKlPlN2at6native12_GLOBAL__N_18offset_tEEE10hipError_tPvRmT1_PNSt15iterator_traitsISY_E10value_typeET2_T3_PNSZ_IS14_E10value_typeET4_jRbjT5_S1A_jjP12ihipStream_tbEUljE_EEESV_SW_SX_S14_S18_S1A_T6_T7_T9_mT8_S1C_bDpT10_ENKUlT_T0_E_clISt17integral_constantIbLb1EES1P_EEDaS1K_S1L_EUlS1K_E_NS1_11comp_targetILNS1_3genE5ELNS1_11target_archE942ELNS1_3gpuE9ELNS1_3repE0EEENS1_30default_config_static_selectorELNS0_4arch9wavefront6targetE0EEEvSY_
    .private_segment_fixed_size: 0
    .sgpr_count:     0
    .sgpr_spill_count: 0
    .symbol:         _ZN7rocprim17ROCPRIM_400000_NS6detail17trampoline_kernelINS0_13select_configILj256ELj13ELNS0_17block_load_methodE3ELS4_3ELS4_3ELNS0_20block_scan_algorithmE0ELj4294967295EEENS1_25partition_config_selectorILNS1_17partition_subalgoE3EjNS0_10empty_typeEbEEZZNS1_14partition_implILS8_3ELb0ES6_jNS0_17counting_iteratorIjlEEPS9_SE_NS0_5tupleIJPjSE_EEENSF_IJSE_SE_EEES9_SG_JZNS1_25segmented_radix_sort_implINS0_14default_configELb0EPKhPhPKlPlN2at6native12_GLOBAL__N_18offset_tEEE10hipError_tPvRmT1_PNSt15iterator_traitsISY_E10value_typeET2_T3_PNSZ_IS14_E10value_typeET4_jRbjT5_S1A_jjP12ihipStream_tbEUljE_EEESV_SW_SX_S14_S18_S1A_T6_T7_T9_mT8_S1C_bDpT10_ENKUlT_T0_E_clISt17integral_constantIbLb1EES1P_EEDaS1K_S1L_EUlS1K_E_NS1_11comp_targetILNS1_3genE5ELNS1_11target_archE942ELNS1_3gpuE9ELNS1_3repE0EEENS1_30default_config_static_selectorELNS0_4arch9wavefront6targetE0EEEvSY_.kd
    .uniform_work_group_size: 1
    .uses_dynamic_stack: false
    .vgpr_count:     0
    .vgpr_spill_count: 0
    .wavefront_size: 32
  - .args:
      - .offset:         0
        .size:           152
        .value_kind:     by_value
    .group_segment_fixed_size: 0
    .kernarg_segment_align: 8
    .kernarg_segment_size: 152
    .language:       OpenCL C
    .language_version:
      - 2
      - 0
    .max_flat_workgroup_size: 256
    .name:           _ZN7rocprim17ROCPRIM_400000_NS6detail17trampoline_kernelINS0_13select_configILj256ELj13ELNS0_17block_load_methodE3ELS4_3ELS4_3ELNS0_20block_scan_algorithmE0ELj4294967295EEENS1_25partition_config_selectorILNS1_17partition_subalgoE3EjNS0_10empty_typeEbEEZZNS1_14partition_implILS8_3ELb0ES6_jNS0_17counting_iteratorIjlEEPS9_SE_NS0_5tupleIJPjSE_EEENSF_IJSE_SE_EEES9_SG_JZNS1_25segmented_radix_sort_implINS0_14default_configELb0EPKhPhPKlPlN2at6native12_GLOBAL__N_18offset_tEEE10hipError_tPvRmT1_PNSt15iterator_traitsISY_E10value_typeET2_T3_PNSZ_IS14_E10value_typeET4_jRbjT5_S1A_jjP12ihipStream_tbEUljE_EEESV_SW_SX_S14_S18_S1A_T6_T7_T9_mT8_S1C_bDpT10_ENKUlT_T0_E_clISt17integral_constantIbLb1EES1P_EEDaS1K_S1L_EUlS1K_E_NS1_11comp_targetILNS1_3genE4ELNS1_11target_archE910ELNS1_3gpuE8ELNS1_3repE0EEENS1_30default_config_static_selectorELNS0_4arch9wavefront6targetE0EEEvSY_
    .private_segment_fixed_size: 0
    .sgpr_count:     0
    .sgpr_spill_count: 0
    .symbol:         _ZN7rocprim17ROCPRIM_400000_NS6detail17trampoline_kernelINS0_13select_configILj256ELj13ELNS0_17block_load_methodE3ELS4_3ELS4_3ELNS0_20block_scan_algorithmE0ELj4294967295EEENS1_25partition_config_selectorILNS1_17partition_subalgoE3EjNS0_10empty_typeEbEEZZNS1_14partition_implILS8_3ELb0ES6_jNS0_17counting_iteratorIjlEEPS9_SE_NS0_5tupleIJPjSE_EEENSF_IJSE_SE_EEES9_SG_JZNS1_25segmented_radix_sort_implINS0_14default_configELb0EPKhPhPKlPlN2at6native12_GLOBAL__N_18offset_tEEE10hipError_tPvRmT1_PNSt15iterator_traitsISY_E10value_typeET2_T3_PNSZ_IS14_E10value_typeET4_jRbjT5_S1A_jjP12ihipStream_tbEUljE_EEESV_SW_SX_S14_S18_S1A_T6_T7_T9_mT8_S1C_bDpT10_ENKUlT_T0_E_clISt17integral_constantIbLb1EES1P_EEDaS1K_S1L_EUlS1K_E_NS1_11comp_targetILNS1_3genE4ELNS1_11target_archE910ELNS1_3gpuE8ELNS1_3repE0EEENS1_30default_config_static_selectorELNS0_4arch9wavefront6targetE0EEEvSY_.kd
    .uniform_work_group_size: 1
    .uses_dynamic_stack: false
    .vgpr_count:     0
    .vgpr_spill_count: 0
    .wavefront_size: 32
  - .args:
      - .offset:         0
        .size:           152
        .value_kind:     by_value
    .group_segment_fixed_size: 0
    .kernarg_segment_align: 8
    .kernarg_segment_size: 152
    .language:       OpenCL C
    .language_version:
      - 2
      - 0
    .max_flat_workgroup_size: 256
    .name:           _ZN7rocprim17ROCPRIM_400000_NS6detail17trampoline_kernelINS0_13select_configILj256ELj13ELNS0_17block_load_methodE3ELS4_3ELS4_3ELNS0_20block_scan_algorithmE0ELj4294967295EEENS1_25partition_config_selectorILNS1_17partition_subalgoE3EjNS0_10empty_typeEbEEZZNS1_14partition_implILS8_3ELb0ES6_jNS0_17counting_iteratorIjlEEPS9_SE_NS0_5tupleIJPjSE_EEENSF_IJSE_SE_EEES9_SG_JZNS1_25segmented_radix_sort_implINS0_14default_configELb0EPKhPhPKlPlN2at6native12_GLOBAL__N_18offset_tEEE10hipError_tPvRmT1_PNSt15iterator_traitsISY_E10value_typeET2_T3_PNSZ_IS14_E10value_typeET4_jRbjT5_S1A_jjP12ihipStream_tbEUljE_EEESV_SW_SX_S14_S18_S1A_T6_T7_T9_mT8_S1C_bDpT10_ENKUlT_T0_E_clISt17integral_constantIbLb1EES1P_EEDaS1K_S1L_EUlS1K_E_NS1_11comp_targetILNS1_3genE3ELNS1_11target_archE908ELNS1_3gpuE7ELNS1_3repE0EEENS1_30default_config_static_selectorELNS0_4arch9wavefront6targetE0EEEvSY_
    .private_segment_fixed_size: 0
    .sgpr_count:     0
    .sgpr_spill_count: 0
    .symbol:         _ZN7rocprim17ROCPRIM_400000_NS6detail17trampoline_kernelINS0_13select_configILj256ELj13ELNS0_17block_load_methodE3ELS4_3ELS4_3ELNS0_20block_scan_algorithmE0ELj4294967295EEENS1_25partition_config_selectorILNS1_17partition_subalgoE3EjNS0_10empty_typeEbEEZZNS1_14partition_implILS8_3ELb0ES6_jNS0_17counting_iteratorIjlEEPS9_SE_NS0_5tupleIJPjSE_EEENSF_IJSE_SE_EEES9_SG_JZNS1_25segmented_radix_sort_implINS0_14default_configELb0EPKhPhPKlPlN2at6native12_GLOBAL__N_18offset_tEEE10hipError_tPvRmT1_PNSt15iterator_traitsISY_E10value_typeET2_T3_PNSZ_IS14_E10value_typeET4_jRbjT5_S1A_jjP12ihipStream_tbEUljE_EEESV_SW_SX_S14_S18_S1A_T6_T7_T9_mT8_S1C_bDpT10_ENKUlT_T0_E_clISt17integral_constantIbLb1EES1P_EEDaS1K_S1L_EUlS1K_E_NS1_11comp_targetILNS1_3genE3ELNS1_11target_archE908ELNS1_3gpuE7ELNS1_3repE0EEENS1_30default_config_static_selectorELNS0_4arch9wavefront6targetE0EEEvSY_.kd
    .uniform_work_group_size: 1
    .uses_dynamic_stack: false
    .vgpr_count:     0
    .vgpr_spill_count: 0
    .wavefront_size: 32
  - .args:
      - .offset:         0
        .size:           152
        .value_kind:     by_value
    .group_segment_fixed_size: 0
    .kernarg_segment_align: 8
    .kernarg_segment_size: 152
    .language:       OpenCL C
    .language_version:
      - 2
      - 0
    .max_flat_workgroup_size: 256
    .name:           _ZN7rocprim17ROCPRIM_400000_NS6detail17trampoline_kernelINS0_13select_configILj256ELj13ELNS0_17block_load_methodE3ELS4_3ELS4_3ELNS0_20block_scan_algorithmE0ELj4294967295EEENS1_25partition_config_selectorILNS1_17partition_subalgoE3EjNS0_10empty_typeEbEEZZNS1_14partition_implILS8_3ELb0ES6_jNS0_17counting_iteratorIjlEEPS9_SE_NS0_5tupleIJPjSE_EEENSF_IJSE_SE_EEES9_SG_JZNS1_25segmented_radix_sort_implINS0_14default_configELb0EPKhPhPKlPlN2at6native12_GLOBAL__N_18offset_tEEE10hipError_tPvRmT1_PNSt15iterator_traitsISY_E10value_typeET2_T3_PNSZ_IS14_E10value_typeET4_jRbjT5_S1A_jjP12ihipStream_tbEUljE_EEESV_SW_SX_S14_S18_S1A_T6_T7_T9_mT8_S1C_bDpT10_ENKUlT_T0_E_clISt17integral_constantIbLb1EES1P_EEDaS1K_S1L_EUlS1K_E_NS1_11comp_targetILNS1_3genE2ELNS1_11target_archE906ELNS1_3gpuE6ELNS1_3repE0EEENS1_30default_config_static_selectorELNS0_4arch9wavefront6targetE0EEEvSY_
    .private_segment_fixed_size: 0
    .sgpr_count:     0
    .sgpr_spill_count: 0
    .symbol:         _ZN7rocprim17ROCPRIM_400000_NS6detail17trampoline_kernelINS0_13select_configILj256ELj13ELNS0_17block_load_methodE3ELS4_3ELS4_3ELNS0_20block_scan_algorithmE0ELj4294967295EEENS1_25partition_config_selectorILNS1_17partition_subalgoE3EjNS0_10empty_typeEbEEZZNS1_14partition_implILS8_3ELb0ES6_jNS0_17counting_iteratorIjlEEPS9_SE_NS0_5tupleIJPjSE_EEENSF_IJSE_SE_EEES9_SG_JZNS1_25segmented_radix_sort_implINS0_14default_configELb0EPKhPhPKlPlN2at6native12_GLOBAL__N_18offset_tEEE10hipError_tPvRmT1_PNSt15iterator_traitsISY_E10value_typeET2_T3_PNSZ_IS14_E10value_typeET4_jRbjT5_S1A_jjP12ihipStream_tbEUljE_EEESV_SW_SX_S14_S18_S1A_T6_T7_T9_mT8_S1C_bDpT10_ENKUlT_T0_E_clISt17integral_constantIbLb1EES1P_EEDaS1K_S1L_EUlS1K_E_NS1_11comp_targetILNS1_3genE2ELNS1_11target_archE906ELNS1_3gpuE6ELNS1_3repE0EEENS1_30default_config_static_selectorELNS0_4arch9wavefront6targetE0EEEvSY_.kd
    .uniform_work_group_size: 1
    .uses_dynamic_stack: false
    .vgpr_count:     0
    .vgpr_spill_count: 0
    .wavefront_size: 32
  - .args:
      - .offset:         0
        .size:           152
        .value_kind:     by_value
    .group_segment_fixed_size: 0
    .kernarg_segment_align: 8
    .kernarg_segment_size: 152
    .language:       OpenCL C
    .language_version:
      - 2
      - 0
    .max_flat_workgroup_size: 256
    .name:           _ZN7rocprim17ROCPRIM_400000_NS6detail17trampoline_kernelINS0_13select_configILj256ELj13ELNS0_17block_load_methodE3ELS4_3ELS4_3ELNS0_20block_scan_algorithmE0ELj4294967295EEENS1_25partition_config_selectorILNS1_17partition_subalgoE3EjNS0_10empty_typeEbEEZZNS1_14partition_implILS8_3ELb0ES6_jNS0_17counting_iteratorIjlEEPS9_SE_NS0_5tupleIJPjSE_EEENSF_IJSE_SE_EEES9_SG_JZNS1_25segmented_radix_sort_implINS0_14default_configELb0EPKhPhPKlPlN2at6native12_GLOBAL__N_18offset_tEEE10hipError_tPvRmT1_PNSt15iterator_traitsISY_E10value_typeET2_T3_PNSZ_IS14_E10value_typeET4_jRbjT5_S1A_jjP12ihipStream_tbEUljE_EEESV_SW_SX_S14_S18_S1A_T6_T7_T9_mT8_S1C_bDpT10_ENKUlT_T0_E_clISt17integral_constantIbLb1EES1P_EEDaS1K_S1L_EUlS1K_E_NS1_11comp_targetILNS1_3genE10ELNS1_11target_archE1200ELNS1_3gpuE4ELNS1_3repE0EEENS1_30default_config_static_selectorELNS0_4arch9wavefront6targetE0EEEvSY_
    .private_segment_fixed_size: 0
    .sgpr_count:     0
    .sgpr_spill_count: 0
    .symbol:         _ZN7rocprim17ROCPRIM_400000_NS6detail17trampoline_kernelINS0_13select_configILj256ELj13ELNS0_17block_load_methodE3ELS4_3ELS4_3ELNS0_20block_scan_algorithmE0ELj4294967295EEENS1_25partition_config_selectorILNS1_17partition_subalgoE3EjNS0_10empty_typeEbEEZZNS1_14partition_implILS8_3ELb0ES6_jNS0_17counting_iteratorIjlEEPS9_SE_NS0_5tupleIJPjSE_EEENSF_IJSE_SE_EEES9_SG_JZNS1_25segmented_radix_sort_implINS0_14default_configELb0EPKhPhPKlPlN2at6native12_GLOBAL__N_18offset_tEEE10hipError_tPvRmT1_PNSt15iterator_traitsISY_E10value_typeET2_T3_PNSZ_IS14_E10value_typeET4_jRbjT5_S1A_jjP12ihipStream_tbEUljE_EEESV_SW_SX_S14_S18_S1A_T6_T7_T9_mT8_S1C_bDpT10_ENKUlT_T0_E_clISt17integral_constantIbLb1EES1P_EEDaS1K_S1L_EUlS1K_E_NS1_11comp_targetILNS1_3genE10ELNS1_11target_archE1200ELNS1_3gpuE4ELNS1_3repE0EEENS1_30default_config_static_selectorELNS0_4arch9wavefront6targetE0EEEvSY_.kd
    .uniform_work_group_size: 1
    .uses_dynamic_stack: false
    .vgpr_count:     0
    .vgpr_spill_count: 0
    .wavefront_size: 32
  - .args:
      - .offset:         0
        .size:           152
        .value_kind:     by_value
    .group_segment_fixed_size: 0
    .kernarg_segment_align: 8
    .kernarg_segment_size: 152
    .language:       OpenCL C
    .language_version:
      - 2
      - 0
    .max_flat_workgroup_size: 256
    .name:           _ZN7rocprim17ROCPRIM_400000_NS6detail17trampoline_kernelINS0_13select_configILj256ELj13ELNS0_17block_load_methodE3ELS4_3ELS4_3ELNS0_20block_scan_algorithmE0ELj4294967295EEENS1_25partition_config_selectorILNS1_17partition_subalgoE3EjNS0_10empty_typeEbEEZZNS1_14partition_implILS8_3ELb0ES6_jNS0_17counting_iteratorIjlEEPS9_SE_NS0_5tupleIJPjSE_EEENSF_IJSE_SE_EEES9_SG_JZNS1_25segmented_radix_sort_implINS0_14default_configELb0EPKhPhPKlPlN2at6native12_GLOBAL__N_18offset_tEEE10hipError_tPvRmT1_PNSt15iterator_traitsISY_E10value_typeET2_T3_PNSZ_IS14_E10value_typeET4_jRbjT5_S1A_jjP12ihipStream_tbEUljE_EEESV_SW_SX_S14_S18_S1A_T6_T7_T9_mT8_S1C_bDpT10_ENKUlT_T0_E_clISt17integral_constantIbLb1EES1P_EEDaS1K_S1L_EUlS1K_E_NS1_11comp_targetILNS1_3genE9ELNS1_11target_archE1100ELNS1_3gpuE3ELNS1_3repE0EEENS1_30default_config_static_selectorELNS0_4arch9wavefront6targetE0EEEvSY_
    .private_segment_fixed_size: 0
    .sgpr_count:     0
    .sgpr_spill_count: 0
    .symbol:         _ZN7rocprim17ROCPRIM_400000_NS6detail17trampoline_kernelINS0_13select_configILj256ELj13ELNS0_17block_load_methodE3ELS4_3ELS4_3ELNS0_20block_scan_algorithmE0ELj4294967295EEENS1_25partition_config_selectorILNS1_17partition_subalgoE3EjNS0_10empty_typeEbEEZZNS1_14partition_implILS8_3ELb0ES6_jNS0_17counting_iteratorIjlEEPS9_SE_NS0_5tupleIJPjSE_EEENSF_IJSE_SE_EEES9_SG_JZNS1_25segmented_radix_sort_implINS0_14default_configELb0EPKhPhPKlPlN2at6native12_GLOBAL__N_18offset_tEEE10hipError_tPvRmT1_PNSt15iterator_traitsISY_E10value_typeET2_T3_PNSZ_IS14_E10value_typeET4_jRbjT5_S1A_jjP12ihipStream_tbEUljE_EEESV_SW_SX_S14_S18_S1A_T6_T7_T9_mT8_S1C_bDpT10_ENKUlT_T0_E_clISt17integral_constantIbLb1EES1P_EEDaS1K_S1L_EUlS1K_E_NS1_11comp_targetILNS1_3genE9ELNS1_11target_archE1100ELNS1_3gpuE3ELNS1_3repE0EEENS1_30default_config_static_selectorELNS0_4arch9wavefront6targetE0EEEvSY_.kd
    .uniform_work_group_size: 1
    .uses_dynamic_stack: false
    .vgpr_count:     0
    .vgpr_spill_count: 0
    .wavefront_size: 32
  - .args:
      - .offset:         0
        .size:           152
        .value_kind:     by_value
    .group_segment_fixed_size: 0
    .kernarg_segment_align: 8
    .kernarg_segment_size: 152
    .language:       OpenCL C
    .language_version:
      - 2
      - 0
    .max_flat_workgroup_size: 256
    .name:           _ZN7rocprim17ROCPRIM_400000_NS6detail17trampoline_kernelINS0_13select_configILj256ELj13ELNS0_17block_load_methodE3ELS4_3ELS4_3ELNS0_20block_scan_algorithmE0ELj4294967295EEENS1_25partition_config_selectorILNS1_17partition_subalgoE3EjNS0_10empty_typeEbEEZZNS1_14partition_implILS8_3ELb0ES6_jNS0_17counting_iteratorIjlEEPS9_SE_NS0_5tupleIJPjSE_EEENSF_IJSE_SE_EEES9_SG_JZNS1_25segmented_radix_sort_implINS0_14default_configELb0EPKhPhPKlPlN2at6native12_GLOBAL__N_18offset_tEEE10hipError_tPvRmT1_PNSt15iterator_traitsISY_E10value_typeET2_T3_PNSZ_IS14_E10value_typeET4_jRbjT5_S1A_jjP12ihipStream_tbEUljE_EEESV_SW_SX_S14_S18_S1A_T6_T7_T9_mT8_S1C_bDpT10_ENKUlT_T0_E_clISt17integral_constantIbLb1EES1P_EEDaS1K_S1L_EUlS1K_E_NS1_11comp_targetILNS1_3genE8ELNS1_11target_archE1030ELNS1_3gpuE2ELNS1_3repE0EEENS1_30default_config_static_selectorELNS0_4arch9wavefront6targetE0EEEvSY_
    .private_segment_fixed_size: 0
    .sgpr_count:     0
    .sgpr_spill_count: 0
    .symbol:         _ZN7rocprim17ROCPRIM_400000_NS6detail17trampoline_kernelINS0_13select_configILj256ELj13ELNS0_17block_load_methodE3ELS4_3ELS4_3ELNS0_20block_scan_algorithmE0ELj4294967295EEENS1_25partition_config_selectorILNS1_17partition_subalgoE3EjNS0_10empty_typeEbEEZZNS1_14partition_implILS8_3ELb0ES6_jNS0_17counting_iteratorIjlEEPS9_SE_NS0_5tupleIJPjSE_EEENSF_IJSE_SE_EEES9_SG_JZNS1_25segmented_radix_sort_implINS0_14default_configELb0EPKhPhPKlPlN2at6native12_GLOBAL__N_18offset_tEEE10hipError_tPvRmT1_PNSt15iterator_traitsISY_E10value_typeET2_T3_PNSZ_IS14_E10value_typeET4_jRbjT5_S1A_jjP12ihipStream_tbEUljE_EEESV_SW_SX_S14_S18_S1A_T6_T7_T9_mT8_S1C_bDpT10_ENKUlT_T0_E_clISt17integral_constantIbLb1EES1P_EEDaS1K_S1L_EUlS1K_E_NS1_11comp_targetILNS1_3genE8ELNS1_11target_archE1030ELNS1_3gpuE2ELNS1_3repE0EEENS1_30default_config_static_selectorELNS0_4arch9wavefront6targetE0EEEvSY_.kd
    .uniform_work_group_size: 1
    .uses_dynamic_stack: false
    .vgpr_count:     0
    .vgpr_spill_count: 0
    .wavefront_size: 32
  - .args:
      - .offset:         0
        .size:           144
        .value_kind:     by_value
    .group_segment_fixed_size: 0
    .kernarg_segment_align: 8
    .kernarg_segment_size: 144
    .language:       OpenCL C
    .language_version:
      - 2
      - 0
    .max_flat_workgroup_size: 256
    .name:           _ZN7rocprim17ROCPRIM_400000_NS6detail17trampoline_kernelINS0_13select_configILj256ELj13ELNS0_17block_load_methodE3ELS4_3ELS4_3ELNS0_20block_scan_algorithmE0ELj4294967295EEENS1_25partition_config_selectorILNS1_17partition_subalgoE3EjNS0_10empty_typeEbEEZZNS1_14partition_implILS8_3ELb0ES6_jNS0_17counting_iteratorIjlEEPS9_SE_NS0_5tupleIJPjSE_EEENSF_IJSE_SE_EEES9_SG_JZNS1_25segmented_radix_sort_implINS0_14default_configELb0EPKhPhPKlPlN2at6native12_GLOBAL__N_18offset_tEEE10hipError_tPvRmT1_PNSt15iterator_traitsISY_E10value_typeET2_T3_PNSZ_IS14_E10value_typeET4_jRbjT5_S1A_jjP12ihipStream_tbEUljE_EEESV_SW_SX_S14_S18_S1A_T6_T7_T9_mT8_S1C_bDpT10_ENKUlT_T0_E_clISt17integral_constantIbLb1EES1O_IbLb0EEEEDaS1K_S1L_EUlS1K_E_NS1_11comp_targetILNS1_3genE0ELNS1_11target_archE4294967295ELNS1_3gpuE0ELNS1_3repE0EEENS1_30default_config_static_selectorELNS0_4arch9wavefront6targetE0EEEvSY_
    .private_segment_fixed_size: 0
    .sgpr_count:     0
    .sgpr_spill_count: 0
    .symbol:         _ZN7rocprim17ROCPRIM_400000_NS6detail17trampoline_kernelINS0_13select_configILj256ELj13ELNS0_17block_load_methodE3ELS4_3ELS4_3ELNS0_20block_scan_algorithmE0ELj4294967295EEENS1_25partition_config_selectorILNS1_17partition_subalgoE3EjNS0_10empty_typeEbEEZZNS1_14partition_implILS8_3ELb0ES6_jNS0_17counting_iteratorIjlEEPS9_SE_NS0_5tupleIJPjSE_EEENSF_IJSE_SE_EEES9_SG_JZNS1_25segmented_radix_sort_implINS0_14default_configELb0EPKhPhPKlPlN2at6native12_GLOBAL__N_18offset_tEEE10hipError_tPvRmT1_PNSt15iterator_traitsISY_E10value_typeET2_T3_PNSZ_IS14_E10value_typeET4_jRbjT5_S1A_jjP12ihipStream_tbEUljE_EEESV_SW_SX_S14_S18_S1A_T6_T7_T9_mT8_S1C_bDpT10_ENKUlT_T0_E_clISt17integral_constantIbLb1EES1O_IbLb0EEEEDaS1K_S1L_EUlS1K_E_NS1_11comp_targetILNS1_3genE0ELNS1_11target_archE4294967295ELNS1_3gpuE0ELNS1_3repE0EEENS1_30default_config_static_selectorELNS0_4arch9wavefront6targetE0EEEvSY_.kd
    .uniform_work_group_size: 1
    .uses_dynamic_stack: false
    .vgpr_count:     0
    .vgpr_spill_count: 0
    .wavefront_size: 32
  - .args:
      - .offset:         0
        .size:           144
        .value_kind:     by_value
    .group_segment_fixed_size: 0
    .kernarg_segment_align: 8
    .kernarg_segment_size: 144
    .language:       OpenCL C
    .language_version:
      - 2
      - 0
    .max_flat_workgroup_size: 256
    .name:           _ZN7rocprim17ROCPRIM_400000_NS6detail17trampoline_kernelINS0_13select_configILj256ELj13ELNS0_17block_load_methodE3ELS4_3ELS4_3ELNS0_20block_scan_algorithmE0ELj4294967295EEENS1_25partition_config_selectorILNS1_17partition_subalgoE3EjNS0_10empty_typeEbEEZZNS1_14partition_implILS8_3ELb0ES6_jNS0_17counting_iteratorIjlEEPS9_SE_NS0_5tupleIJPjSE_EEENSF_IJSE_SE_EEES9_SG_JZNS1_25segmented_radix_sort_implINS0_14default_configELb0EPKhPhPKlPlN2at6native12_GLOBAL__N_18offset_tEEE10hipError_tPvRmT1_PNSt15iterator_traitsISY_E10value_typeET2_T3_PNSZ_IS14_E10value_typeET4_jRbjT5_S1A_jjP12ihipStream_tbEUljE_EEESV_SW_SX_S14_S18_S1A_T6_T7_T9_mT8_S1C_bDpT10_ENKUlT_T0_E_clISt17integral_constantIbLb1EES1O_IbLb0EEEEDaS1K_S1L_EUlS1K_E_NS1_11comp_targetILNS1_3genE5ELNS1_11target_archE942ELNS1_3gpuE9ELNS1_3repE0EEENS1_30default_config_static_selectorELNS0_4arch9wavefront6targetE0EEEvSY_
    .private_segment_fixed_size: 0
    .sgpr_count:     0
    .sgpr_spill_count: 0
    .symbol:         _ZN7rocprim17ROCPRIM_400000_NS6detail17trampoline_kernelINS0_13select_configILj256ELj13ELNS0_17block_load_methodE3ELS4_3ELS4_3ELNS0_20block_scan_algorithmE0ELj4294967295EEENS1_25partition_config_selectorILNS1_17partition_subalgoE3EjNS0_10empty_typeEbEEZZNS1_14partition_implILS8_3ELb0ES6_jNS0_17counting_iteratorIjlEEPS9_SE_NS0_5tupleIJPjSE_EEENSF_IJSE_SE_EEES9_SG_JZNS1_25segmented_radix_sort_implINS0_14default_configELb0EPKhPhPKlPlN2at6native12_GLOBAL__N_18offset_tEEE10hipError_tPvRmT1_PNSt15iterator_traitsISY_E10value_typeET2_T3_PNSZ_IS14_E10value_typeET4_jRbjT5_S1A_jjP12ihipStream_tbEUljE_EEESV_SW_SX_S14_S18_S1A_T6_T7_T9_mT8_S1C_bDpT10_ENKUlT_T0_E_clISt17integral_constantIbLb1EES1O_IbLb0EEEEDaS1K_S1L_EUlS1K_E_NS1_11comp_targetILNS1_3genE5ELNS1_11target_archE942ELNS1_3gpuE9ELNS1_3repE0EEENS1_30default_config_static_selectorELNS0_4arch9wavefront6targetE0EEEvSY_.kd
    .uniform_work_group_size: 1
    .uses_dynamic_stack: false
    .vgpr_count:     0
    .vgpr_spill_count: 0
    .wavefront_size: 32
  - .args:
      - .offset:         0
        .size:           144
        .value_kind:     by_value
    .group_segment_fixed_size: 0
    .kernarg_segment_align: 8
    .kernarg_segment_size: 144
    .language:       OpenCL C
    .language_version:
      - 2
      - 0
    .max_flat_workgroup_size: 256
    .name:           _ZN7rocprim17ROCPRIM_400000_NS6detail17trampoline_kernelINS0_13select_configILj256ELj13ELNS0_17block_load_methodE3ELS4_3ELS4_3ELNS0_20block_scan_algorithmE0ELj4294967295EEENS1_25partition_config_selectorILNS1_17partition_subalgoE3EjNS0_10empty_typeEbEEZZNS1_14partition_implILS8_3ELb0ES6_jNS0_17counting_iteratorIjlEEPS9_SE_NS0_5tupleIJPjSE_EEENSF_IJSE_SE_EEES9_SG_JZNS1_25segmented_radix_sort_implINS0_14default_configELb0EPKhPhPKlPlN2at6native12_GLOBAL__N_18offset_tEEE10hipError_tPvRmT1_PNSt15iterator_traitsISY_E10value_typeET2_T3_PNSZ_IS14_E10value_typeET4_jRbjT5_S1A_jjP12ihipStream_tbEUljE_EEESV_SW_SX_S14_S18_S1A_T6_T7_T9_mT8_S1C_bDpT10_ENKUlT_T0_E_clISt17integral_constantIbLb1EES1O_IbLb0EEEEDaS1K_S1L_EUlS1K_E_NS1_11comp_targetILNS1_3genE4ELNS1_11target_archE910ELNS1_3gpuE8ELNS1_3repE0EEENS1_30default_config_static_selectorELNS0_4arch9wavefront6targetE0EEEvSY_
    .private_segment_fixed_size: 0
    .sgpr_count:     0
    .sgpr_spill_count: 0
    .symbol:         _ZN7rocprim17ROCPRIM_400000_NS6detail17trampoline_kernelINS0_13select_configILj256ELj13ELNS0_17block_load_methodE3ELS4_3ELS4_3ELNS0_20block_scan_algorithmE0ELj4294967295EEENS1_25partition_config_selectorILNS1_17partition_subalgoE3EjNS0_10empty_typeEbEEZZNS1_14partition_implILS8_3ELb0ES6_jNS0_17counting_iteratorIjlEEPS9_SE_NS0_5tupleIJPjSE_EEENSF_IJSE_SE_EEES9_SG_JZNS1_25segmented_radix_sort_implINS0_14default_configELb0EPKhPhPKlPlN2at6native12_GLOBAL__N_18offset_tEEE10hipError_tPvRmT1_PNSt15iterator_traitsISY_E10value_typeET2_T3_PNSZ_IS14_E10value_typeET4_jRbjT5_S1A_jjP12ihipStream_tbEUljE_EEESV_SW_SX_S14_S18_S1A_T6_T7_T9_mT8_S1C_bDpT10_ENKUlT_T0_E_clISt17integral_constantIbLb1EES1O_IbLb0EEEEDaS1K_S1L_EUlS1K_E_NS1_11comp_targetILNS1_3genE4ELNS1_11target_archE910ELNS1_3gpuE8ELNS1_3repE0EEENS1_30default_config_static_selectorELNS0_4arch9wavefront6targetE0EEEvSY_.kd
    .uniform_work_group_size: 1
    .uses_dynamic_stack: false
    .vgpr_count:     0
    .vgpr_spill_count: 0
    .wavefront_size: 32
  - .args:
      - .offset:         0
        .size:           144
        .value_kind:     by_value
    .group_segment_fixed_size: 0
    .kernarg_segment_align: 8
    .kernarg_segment_size: 144
    .language:       OpenCL C
    .language_version:
      - 2
      - 0
    .max_flat_workgroup_size: 256
    .name:           _ZN7rocprim17ROCPRIM_400000_NS6detail17trampoline_kernelINS0_13select_configILj256ELj13ELNS0_17block_load_methodE3ELS4_3ELS4_3ELNS0_20block_scan_algorithmE0ELj4294967295EEENS1_25partition_config_selectorILNS1_17partition_subalgoE3EjNS0_10empty_typeEbEEZZNS1_14partition_implILS8_3ELb0ES6_jNS0_17counting_iteratorIjlEEPS9_SE_NS0_5tupleIJPjSE_EEENSF_IJSE_SE_EEES9_SG_JZNS1_25segmented_radix_sort_implINS0_14default_configELb0EPKhPhPKlPlN2at6native12_GLOBAL__N_18offset_tEEE10hipError_tPvRmT1_PNSt15iterator_traitsISY_E10value_typeET2_T3_PNSZ_IS14_E10value_typeET4_jRbjT5_S1A_jjP12ihipStream_tbEUljE_EEESV_SW_SX_S14_S18_S1A_T6_T7_T9_mT8_S1C_bDpT10_ENKUlT_T0_E_clISt17integral_constantIbLb1EES1O_IbLb0EEEEDaS1K_S1L_EUlS1K_E_NS1_11comp_targetILNS1_3genE3ELNS1_11target_archE908ELNS1_3gpuE7ELNS1_3repE0EEENS1_30default_config_static_selectorELNS0_4arch9wavefront6targetE0EEEvSY_
    .private_segment_fixed_size: 0
    .sgpr_count:     0
    .sgpr_spill_count: 0
    .symbol:         _ZN7rocprim17ROCPRIM_400000_NS6detail17trampoline_kernelINS0_13select_configILj256ELj13ELNS0_17block_load_methodE3ELS4_3ELS4_3ELNS0_20block_scan_algorithmE0ELj4294967295EEENS1_25partition_config_selectorILNS1_17partition_subalgoE3EjNS0_10empty_typeEbEEZZNS1_14partition_implILS8_3ELb0ES6_jNS0_17counting_iteratorIjlEEPS9_SE_NS0_5tupleIJPjSE_EEENSF_IJSE_SE_EEES9_SG_JZNS1_25segmented_radix_sort_implINS0_14default_configELb0EPKhPhPKlPlN2at6native12_GLOBAL__N_18offset_tEEE10hipError_tPvRmT1_PNSt15iterator_traitsISY_E10value_typeET2_T3_PNSZ_IS14_E10value_typeET4_jRbjT5_S1A_jjP12ihipStream_tbEUljE_EEESV_SW_SX_S14_S18_S1A_T6_T7_T9_mT8_S1C_bDpT10_ENKUlT_T0_E_clISt17integral_constantIbLb1EES1O_IbLb0EEEEDaS1K_S1L_EUlS1K_E_NS1_11comp_targetILNS1_3genE3ELNS1_11target_archE908ELNS1_3gpuE7ELNS1_3repE0EEENS1_30default_config_static_selectorELNS0_4arch9wavefront6targetE0EEEvSY_.kd
    .uniform_work_group_size: 1
    .uses_dynamic_stack: false
    .vgpr_count:     0
    .vgpr_spill_count: 0
    .wavefront_size: 32
  - .args:
      - .offset:         0
        .size:           144
        .value_kind:     by_value
    .group_segment_fixed_size: 0
    .kernarg_segment_align: 8
    .kernarg_segment_size: 144
    .language:       OpenCL C
    .language_version:
      - 2
      - 0
    .max_flat_workgroup_size: 256
    .name:           _ZN7rocprim17ROCPRIM_400000_NS6detail17trampoline_kernelINS0_13select_configILj256ELj13ELNS0_17block_load_methodE3ELS4_3ELS4_3ELNS0_20block_scan_algorithmE0ELj4294967295EEENS1_25partition_config_selectorILNS1_17partition_subalgoE3EjNS0_10empty_typeEbEEZZNS1_14partition_implILS8_3ELb0ES6_jNS0_17counting_iteratorIjlEEPS9_SE_NS0_5tupleIJPjSE_EEENSF_IJSE_SE_EEES9_SG_JZNS1_25segmented_radix_sort_implINS0_14default_configELb0EPKhPhPKlPlN2at6native12_GLOBAL__N_18offset_tEEE10hipError_tPvRmT1_PNSt15iterator_traitsISY_E10value_typeET2_T3_PNSZ_IS14_E10value_typeET4_jRbjT5_S1A_jjP12ihipStream_tbEUljE_EEESV_SW_SX_S14_S18_S1A_T6_T7_T9_mT8_S1C_bDpT10_ENKUlT_T0_E_clISt17integral_constantIbLb1EES1O_IbLb0EEEEDaS1K_S1L_EUlS1K_E_NS1_11comp_targetILNS1_3genE2ELNS1_11target_archE906ELNS1_3gpuE6ELNS1_3repE0EEENS1_30default_config_static_selectorELNS0_4arch9wavefront6targetE0EEEvSY_
    .private_segment_fixed_size: 0
    .sgpr_count:     0
    .sgpr_spill_count: 0
    .symbol:         _ZN7rocprim17ROCPRIM_400000_NS6detail17trampoline_kernelINS0_13select_configILj256ELj13ELNS0_17block_load_methodE3ELS4_3ELS4_3ELNS0_20block_scan_algorithmE0ELj4294967295EEENS1_25partition_config_selectorILNS1_17partition_subalgoE3EjNS0_10empty_typeEbEEZZNS1_14partition_implILS8_3ELb0ES6_jNS0_17counting_iteratorIjlEEPS9_SE_NS0_5tupleIJPjSE_EEENSF_IJSE_SE_EEES9_SG_JZNS1_25segmented_radix_sort_implINS0_14default_configELb0EPKhPhPKlPlN2at6native12_GLOBAL__N_18offset_tEEE10hipError_tPvRmT1_PNSt15iterator_traitsISY_E10value_typeET2_T3_PNSZ_IS14_E10value_typeET4_jRbjT5_S1A_jjP12ihipStream_tbEUljE_EEESV_SW_SX_S14_S18_S1A_T6_T7_T9_mT8_S1C_bDpT10_ENKUlT_T0_E_clISt17integral_constantIbLb1EES1O_IbLb0EEEEDaS1K_S1L_EUlS1K_E_NS1_11comp_targetILNS1_3genE2ELNS1_11target_archE906ELNS1_3gpuE6ELNS1_3repE0EEENS1_30default_config_static_selectorELNS0_4arch9wavefront6targetE0EEEvSY_.kd
    .uniform_work_group_size: 1
    .uses_dynamic_stack: false
    .vgpr_count:     0
    .vgpr_spill_count: 0
    .wavefront_size: 32
  - .args:
      - .offset:         0
        .size:           144
        .value_kind:     by_value
    .group_segment_fixed_size: 0
    .kernarg_segment_align: 8
    .kernarg_segment_size: 144
    .language:       OpenCL C
    .language_version:
      - 2
      - 0
    .max_flat_workgroup_size: 256
    .name:           _ZN7rocprim17ROCPRIM_400000_NS6detail17trampoline_kernelINS0_13select_configILj256ELj13ELNS0_17block_load_methodE3ELS4_3ELS4_3ELNS0_20block_scan_algorithmE0ELj4294967295EEENS1_25partition_config_selectorILNS1_17partition_subalgoE3EjNS0_10empty_typeEbEEZZNS1_14partition_implILS8_3ELb0ES6_jNS0_17counting_iteratorIjlEEPS9_SE_NS0_5tupleIJPjSE_EEENSF_IJSE_SE_EEES9_SG_JZNS1_25segmented_radix_sort_implINS0_14default_configELb0EPKhPhPKlPlN2at6native12_GLOBAL__N_18offset_tEEE10hipError_tPvRmT1_PNSt15iterator_traitsISY_E10value_typeET2_T3_PNSZ_IS14_E10value_typeET4_jRbjT5_S1A_jjP12ihipStream_tbEUljE_EEESV_SW_SX_S14_S18_S1A_T6_T7_T9_mT8_S1C_bDpT10_ENKUlT_T0_E_clISt17integral_constantIbLb1EES1O_IbLb0EEEEDaS1K_S1L_EUlS1K_E_NS1_11comp_targetILNS1_3genE10ELNS1_11target_archE1200ELNS1_3gpuE4ELNS1_3repE0EEENS1_30default_config_static_selectorELNS0_4arch9wavefront6targetE0EEEvSY_
    .private_segment_fixed_size: 0
    .sgpr_count:     0
    .sgpr_spill_count: 0
    .symbol:         _ZN7rocprim17ROCPRIM_400000_NS6detail17trampoline_kernelINS0_13select_configILj256ELj13ELNS0_17block_load_methodE3ELS4_3ELS4_3ELNS0_20block_scan_algorithmE0ELj4294967295EEENS1_25partition_config_selectorILNS1_17partition_subalgoE3EjNS0_10empty_typeEbEEZZNS1_14partition_implILS8_3ELb0ES6_jNS0_17counting_iteratorIjlEEPS9_SE_NS0_5tupleIJPjSE_EEENSF_IJSE_SE_EEES9_SG_JZNS1_25segmented_radix_sort_implINS0_14default_configELb0EPKhPhPKlPlN2at6native12_GLOBAL__N_18offset_tEEE10hipError_tPvRmT1_PNSt15iterator_traitsISY_E10value_typeET2_T3_PNSZ_IS14_E10value_typeET4_jRbjT5_S1A_jjP12ihipStream_tbEUljE_EEESV_SW_SX_S14_S18_S1A_T6_T7_T9_mT8_S1C_bDpT10_ENKUlT_T0_E_clISt17integral_constantIbLb1EES1O_IbLb0EEEEDaS1K_S1L_EUlS1K_E_NS1_11comp_targetILNS1_3genE10ELNS1_11target_archE1200ELNS1_3gpuE4ELNS1_3repE0EEENS1_30default_config_static_selectorELNS0_4arch9wavefront6targetE0EEEvSY_.kd
    .uniform_work_group_size: 1
    .uses_dynamic_stack: false
    .vgpr_count:     0
    .vgpr_spill_count: 0
    .wavefront_size: 32
  - .args:
      - .offset:         0
        .size:           144
        .value_kind:     by_value
    .group_segment_fixed_size: 0
    .kernarg_segment_align: 8
    .kernarg_segment_size: 144
    .language:       OpenCL C
    .language_version:
      - 2
      - 0
    .max_flat_workgroup_size: 256
    .name:           _ZN7rocprim17ROCPRIM_400000_NS6detail17trampoline_kernelINS0_13select_configILj256ELj13ELNS0_17block_load_methodE3ELS4_3ELS4_3ELNS0_20block_scan_algorithmE0ELj4294967295EEENS1_25partition_config_selectorILNS1_17partition_subalgoE3EjNS0_10empty_typeEbEEZZNS1_14partition_implILS8_3ELb0ES6_jNS0_17counting_iteratorIjlEEPS9_SE_NS0_5tupleIJPjSE_EEENSF_IJSE_SE_EEES9_SG_JZNS1_25segmented_radix_sort_implINS0_14default_configELb0EPKhPhPKlPlN2at6native12_GLOBAL__N_18offset_tEEE10hipError_tPvRmT1_PNSt15iterator_traitsISY_E10value_typeET2_T3_PNSZ_IS14_E10value_typeET4_jRbjT5_S1A_jjP12ihipStream_tbEUljE_EEESV_SW_SX_S14_S18_S1A_T6_T7_T9_mT8_S1C_bDpT10_ENKUlT_T0_E_clISt17integral_constantIbLb1EES1O_IbLb0EEEEDaS1K_S1L_EUlS1K_E_NS1_11comp_targetILNS1_3genE9ELNS1_11target_archE1100ELNS1_3gpuE3ELNS1_3repE0EEENS1_30default_config_static_selectorELNS0_4arch9wavefront6targetE0EEEvSY_
    .private_segment_fixed_size: 0
    .sgpr_count:     0
    .sgpr_spill_count: 0
    .symbol:         _ZN7rocprim17ROCPRIM_400000_NS6detail17trampoline_kernelINS0_13select_configILj256ELj13ELNS0_17block_load_methodE3ELS4_3ELS4_3ELNS0_20block_scan_algorithmE0ELj4294967295EEENS1_25partition_config_selectorILNS1_17partition_subalgoE3EjNS0_10empty_typeEbEEZZNS1_14partition_implILS8_3ELb0ES6_jNS0_17counting_iteratorIjlEEPS9_SE_NS0_5tupleIJPjSE_EEENSF_IJSE_SE_EEES9_SG_JZNS1_25segmented_radix_sort_implINS0_14default_configELb0EPKhPhPKlPlN2at6native12_GLOBAL__N_18offset_tEEE10hipError_tPvRmT1_PNSt15iterator_traitsISY_E10value_typeET2_T3_PNSZ_IS14_E10value_typeET4_jRbjT5_S1A_jjP12ihipStream_tbEUljE_EEESV_SW_SX_S14_S18_S1A_T6_T7_T9_mT8_S1C_bDpT10_ENKUlT_T0_E_clISt17integral_constantIbLb1EES1O_IbLb0EEEEDaS1K_S1L_EUlS1K_E_NS1_11comp_targetILNS1_3genE9ELNS1_11target_archE1100ELNS1_3gpuE3ELNS1_3repE0EEENS1_30default_config_static_selectorELNS0_4arch9wavefront6targetE0EEEvSY_.kd
    .uniform_work_group_size: 1
    .uses_dynamic_stack: false
    .vgpr_count:     0
    .vgpr_spill_count: 0
    .wavefront_size: 32
  - .args:
      - .offset:         0
        .size:           144
        .value_kind:     by_value
    .group_segment_fixed_size: 0
    .kernarg_segment_align: 8
    .kernarg_segment_size: 144
    .language:       OpenCL C
    .language_version:
      - 2
      - 0
    .max_flat_workgroup_size: 256
    .name:           _ZN7rocprim17ROCPRIM_400000_NS6detail17trampoline_kernelINS0_13select_configILj256ELj13ELNS0_17block_load_methodE3ELS4_3ELS4_3ELNS0_20block_scan_algorithmE0ELj4294967295EEENS1_25partition_config_selectorILNS1_17partition_subalgoE3EjNS0_10empty_typeEbEEZZNS1_14partition_implILS8_3ELb0ES6_jNS0_17counting_iteratorIjlEEPS9_SE_NS0_5tupleIJPjSE_EEENSF_IJSE_SE_EEES9_SG_JZNS1_25segmented_radix_sort_implINS0_14default_configELb0EPKhPhPKlPlN2at6native12_GLOBAL__N_18offset_tEEE10hipError_tPvRmT1_PNSt15iterator_traitsISY_E10value_typeET2_T3_PNSZ_IS14_E10value_typeET4_jRbjT5_S1A_jjP12ihipStream_tbEUljE_EEESV_SW_SX_S14_S18_S1A_T6_T7_T9_mT8_S1C_bDpT10_ENKUlT_T0_E_clISt17integral_constantIbLb1EES1O_IbLb0EEEEDaS1K_S1L_EUlS1K_E_NS1_11comp_targetILNS1_3genE8ELNS1_11target_archE1030ELNS1_3gpuE2ELNS1_3repE0EEENS1_30default_config_static_selectorELNS0_4arch9wavefront6targetE0EEEvSY_
    .private_segment_fixed_size: 0
    .sgpr_count:     0
    .sgpr_spill_count: 0
    .symbol:         _ZN7rocprim17ROCPRIM_400000_NS6detail17trampoline_kernelINS0_13select_configILj256ELj13ELNS0_17block_load_methodE3ELS4_3ELS4_3ELNS0_20block_scan_algorithmE0ELj4294967295EEENS1_25partition_config_selectorILNS1_17partition_subalgoE3EjNS0_10empty_typeEbEEZZNS1_14partition_implILS8_3ELb0ES6_jNS0_17counting_iteratorIjlEEPS9_SE_NS0_5tupleIJPjSE_EEENSF_IJSE_SE_EEES9_SG_JZNS1_25segmented_radix_sort_implINS0_14default_configELb0EPKhPhPKlPlN2at6native12_GLOBAL__N_18offset_tEEE10hipError_tPvRmT1_PNSt15iterator_traitsISY_E10value_typeET2_T3_PNSZ_IS14_E10value_typeET4_jRbjT5_S1A_jjP12ihipStream_tbEUljE_EEESV_SW_SX_S14_S18_S1A_T6_T7_T9_mT8_S1C_bDpT10_ENKUlT_T0_E_clISt17integral_constantIbLb1EES1O_IbLb0EEEEDaS1K_S1L_EUlS1K_E_NS1_11comp_targetILNS1_3genE8ELNS1_11target_archE1030ELNS1_3gpuE2ELNS1_3repE0EEENS1_30default_config_static_selectorELNS0_4arch9wavefront6targetE0EEEvSY_.kd
    .uniform_work_group_size: 1
    .uses_dynamic_stack: false
    .vgpr_count:     0
    .vgpr_spill_count: 0
    .wavefront_size: 32
  - .args:
      - .offset:         0
        .size:           152
        .value_kind:     by_value
    .group_segment_fixed_size: 13320
    .kernarg_segment_align: 8
    .kernarg_segment_size: 152
    .language:       OpenCL C
    .language_version:
      - 2
      - 0
    .max_flat_workgroup_size: 256
    .name:           _ZN7rocprim17ROCPRIM_400000_NS6detail17trampoline_kernelINS0_13select_configILj256ELj13ELNS0_17block_load_methodE3ELS4_3ELS4_3ELNS0_20block_scan_algorithmE0ELj4294967295EEENS1_25partition_config_selectorILNS1_17partition_subalgoE3EjNS0_10empty_typeEbEEZZNS1_14partition_implILS8_3ELb0ES6_jNS0_17counting_iteratorIjlEEPS9_SE_NS0_5tupleIJPjSE_EEENSF_IJSE_SE_EEES9_SG_JZNS1_25segmented_radix_sort_implINS0_14default_configELb0EPKhPhPKlPlN2at6native12_GLOBAL__N_18offset_tEEE10hipError_tPvRmT1_PNSt15iterator_traitsISY_E10value_typeET2_T3_PNSZ_IS14_E10value_typeET4_jRbjT5_S1A_jjP12ihipStream_tbEUljE_EEESV_SW_SX_S14_S18_S1A_T6_T7_T9_mT8_S1C_bDpT10_ENKUlT_T0_E_clISt17integral_constantIbLb0EES1O_IbLb1EEEEDaS1K_S1L_EUlS1K_E_NS1_11comp_targetILNS1_3genE0ELNS1_11target_archE4294967295ELNS1_3gpuE0ELNS1_3repE0EEENS1_30default_config_static_selectorELNS0_4arch9wavefront6targetE0EEEvSY_
    .private_segment_fixed_size: 0
    .sgpr_count:     26
    .sgpr_spill_count: 0
    .symbol:         _ZN7rocprim17ROCPRIM_400000_NS6detail17trampoline_kernelINS0_13select_configILj256ELj13ELNS0_17block_load_methodE3ELS4_3ELS4_3ELNS0_20block_scan_algorithmE0ELj4294967295EEENS1_25partition_config_selectorILNS1_17partition_subalgoE3EjNS0_10empty_typeEbEEZZNS1_14partition_implILS8_3ELb0ES6_jNS0_17counting_iteratorIjlEEPS9_SE_NS0_5tupleIJPjSE_EEENSF_IJSE_SE_EEES9_SG_JZNS1_25segmented_radix_sort_implINS0_14default_configELb0EPKhPhPKlPlN2at6native12_GLOBAL__N_18offset_tEEE10hipError_tPvRmT1_PNSt15iterator_traitsISY_E10value_typeET2_T3_PNSZ_IS14_E10value_typeET4_jRbjT5_S1A_jjP12ihipStream_tbEUljE_EEESV_SW_SX_S14_S18_S1A_T6_T7_T9_mT8_S1C_bDpT10_ENKUlT_T0_E_clISt17integral_constantIbLb0EES1O_IbLb1EEEEDaS1K_S1L_EUlS1K_E_NS1_11comp_targetILNS1_3genE0ELNS1_11target_archE4294967295ELNS1_3gpuE0ELNS1_3repE0EEENS1_30default_config_static_selectorELNS0_4arch9wavefront6targetE0EEEvSY_.kd
    .uniform_work_group_size: 1
    .uses_dynamic_stack: false
    .vgpr_count:     72
    .vgpr_spill_count: 0
    .wavefront_size: 32
  - .args:
      - .offset:         0
        .size:           152
        .value_kind:     by_value
    .group_segment_fixed_size: 0
    .kernarg_segment_align: 8
    .kernarg_segment_size: 152
    .language:       OpenCL C
    .language_version:
      - 2
      - 0
    .max_flat_workgroup_size: 256
    .name:           _ZN7rocprim17ROCPRIM_400000_NS6detail17trampoline_kernelINS0_13select_configILj256ELj13ELNS0_17block_load_methodE3ELS4_3ELS4_3ELNS0_20block_scan_algorithmE0ELj4294967295EEENS1_25partition_config_selectorILNS1_17partition_subalgoE3EjNS0_10empty_typeEbEEZZNS1_14partition_implILS8_3ELb0ES6_jNS0_17counting_iteratorIjlEEPS9_SE_NS0_5tupleIJPjSE_EEENSF_IJSE_SE_EEES9_SG_JZNS1_25segmented_radix_sort_implINS0_14default_configELb0EPKhPhPKlPlN2at6native12_GLOBAL__N_18offset_tEEE10hipError_tPvRmT1_PNSt15iterator_traitsISY_E10value_typeET2_T3_PNSZ_IS14_E10value_typeET4_jRbjT5_S1A_jjP12ihipStream_tbEUljE_EEESV_SW_SX_S14_S18_S1A_T6_T7_T9_mT8_S1C_bDpT10_ENKUlT_T0_E_clISt17integral_constantIbLb0EES1O_IbLb1EEEEDaS1K_S1L_EUlS1K_E_NS1_11comp_targetILNS1_3genE5ELNS1_11target_archE942ELNS1_3gpuE9ELNS1_3repE0EEENS1_30default_config_static_selectorELNS0_4arch9wavefront6targetE0EEEvSY_
    .private_segment_fixed_size: 0
    .sgpr_count:     0
    .sgpr_spill_count: 0
    .symbol:         _ZN7rocprim17ROCPRIM_400000_NS6detail17trampoline_kernelINS0_13select_configILj256ELj13ELNS0_17block_load_methodE3ELS4_3ELS4_3ELNS0_20block_scan_algorithmE0ELj4294967295EEENS1_25partition_config_selectorILNS1_17partition_subalgoE3EjNS0_10empty_typeEbEEZZNS1_14partition_implILS8_3ELb0ES6_jNS0_17counting_iteratorIjlEEPS9_SE_NS0_5tupleIJPjSE_EEENSF_IJSE_SE_EEES9_SG_JZNS1_25segmented_radix_sort_implINS0_14default_configELb0EPKhPhPKlPlN2at6native12_GLOBAL__N_18offset_tEEE10hipError_tPvRmT1_PNSt15iterator_traitsISY_E10value_typeET2_T3_PNSZ_IS14_E10value_typeET4_jRbjT5_S1A_jjP12ihipStream_tbEUljE_EEESV_SW_SX_S14_S18_S1A_T6_T7_T9_mT8_S1C_bDpT10_ENKUlT_T0_E_clISt17integral_constantIbLb0EES1O_IbLb1EEEEDaS1K_S1L_EUlS1K_E_NS1_11comp_targetILNS1_3genE5ELNS1_11target_archE942ELNS1_3gpuE9ELNS1_3repE0EEENS1_30default_config_static_selectorELNS0_4arch9wavefront6targetE0EEEvSY_.kd
    .uniform_work_group_size: 1
    .uses_dynamic_stack: false
    .vgpr_count:     0
    .vgpr_spill_count: 0
    .wavefront_size: 32
  - .args:
      - .offset:         0
        .size:           152
        .value_kind:     by_value
    .group_segment_fixed_size: 0
    .kernarg_segment_align: 8
    .kernarg_segment_size: 152
    .language:       OpenCL C
    .language_version:
      - 2
      - 0
    .max_flat_workgroup_size: 256
    .name:           _ZN7rocprim17ROCPRIM_400000_NS6detail17trampoline_kernelINS0_13select_configILj256ELj13ELNS0_17block_load_methodE3ELS4_3ELS4_3ELNS0_20block_scan_algorithmE0ELj4294967295EEENS1_25partition_config_selectorILNS1_17partition_subalgoE3EjNS0_10empty_typeEbEEZZNS1_14partition_implILS8_3ELb0ES6_jNS0_17counting_iteratorIjlEEPS9_SE_NS0_5tupleIJPjSE_EEENSF_IJSE_SE_EEES9_SG_JZNS1_25segmented_radix_sort_implINS0_14default_configELb0EPKhPhPKlPlN2at6native12_GLOBAL__N_18offset_tEEE10hipError_tPvRmT1_PNSt15iterator_traitsISY_E10value_typeET2_T3_PNSZ_IS14_E10value_typeET4_jRbjT5_S1A_jjP12ihipStream_tbEUljE_EEESV_SW_SX_S14_S18_S1A_T6_T7_T9_mT8_S1C_bDpT10_ENKUlT_T0_E_clISt17integral_constantIbLb0EES1O_IbLb1EEEEDaS1K_S1L_EUlS1K_E_NS1_11comp_targetILNS1_3genE4ELNS1_11target_archE910ELNS1_3gpuE8ELNS1_3repE0EEENS1_30default_config_static_selectorELNS0_4arch9wavefront6targetE0EEEvSY_
    .private_segment_fixed_size: 0
    .sgpr_count:     0
    .sgpr_spill_count: 0
    .symbol:         _ZN7rocprim17ROCPRIM_400000_NS6detail17trampoline_kernelINS0_13select_configILj256ELj13ELNS0_17block_load_methodE3ELS4_3ELS4_3ELNS0_20block_scan_algorithmE0ELj4294967295EEENS1_25partition_config_selectorILNS1_17partition_subalgoE3EjNS0_10empty_typeEbEEZZNS1_14partition_implILS8_3ELb0ES6_jNS0_17counting_iteratorIjlEEPS9_SE_NS0_5tupleIJPjSE_EEENSF_IJSE_SE_EEES9_SG_JZNS1_25segmented_radix_sort_implINS0_14default_configELb0EPKhPhPKlPlN2at6native12_GLOBAL__N_18offset_tEEE10hipError_tPvRmT1_PNSt15iterator_traitsISY_E10value_typeET2_T3_PNSZ_IS14_E10value_typeET4_jRbjT5_S1A_jjP12ihipStream_tbEUljE_EEESV_SW_SX_S14_S18_S1A_T6_T7_T9_mT8_S1C_bDpT10_ENKUlT_T0_E_clISt17integral_constantIbLb0EES1O_IbLb1EEEEDaS1K_S1L_EUlS1K_E_NS1_11comp_targetILNS1_3genE4ELNS1_11target_archE910ELNS1_3gpuE8ELNS1_3repE0EEENS1_30default_config_static_selectorELNS0_4arch9wavefront6targetE0EEEvSY_.kd
    .uniform_work_group_size: 1
    .uses_dynamic_stack: false
    .vgpr_count:     0
    .vgpr_spill_count: 0
    .wavefront_size: 32
  - .args:
      - .offset:         0
        .size:           152
        .value_kind:     by_value
    .group_segment_fixed_size: 0
    .kernarg_segment_align: 8
    .kernarg_segment_size: 152
    .language:       OpenCL C
    .language_version:
      - 2
      - 0
    .max_flat_workgroup_size: 256
    .name:           _ZN7rocprim17ROCPRIM_400000_NS6detail17trampoline_kernelINS0_13select_configILj256ELj13ELNS0_17block_load_methodE3ELS4_3ELS4_3ELNS0_20block_scan_algorithmE0ELj4294967295EEENS1_25partition_config_selectorILNS1_17partition_subalgoE3EjNS0_10empty_typeEbEEZZNS1_14partition_implILS8_3ELb0ES6_jNS0_17counting_iteratorIjlEEPS9_SE_NS0_5tupleIJPjSE_EEENSF_IJSE_SE_EEES9_SG_JZNS1_25segmented_radix_sort_implINS0_14default_configELb0EPKhPhPKlPlN2at6native12_GLOBAL__N_18offset_tEEE10hipError_tPvRmT1_PNSt15iterator_traitsISY_E10value_typeET2_T3_PNSZ_IS14_E10value_typeET4_jRbjT5_S1A_jjP12ihipStream_tbEUljE_EEESV_SW_SX_S14_S18_S1A_T6_T7_T9_mT8_S1C_bDpT10_ENKUlT_T0_E_clISt17integral_constantIbLb0EES1O_IbLb1EEEEDaS1K_S1L_EUlS1K_E_NS1_11comp_targetILNS1_3genE3ELNS1_11target_archE908ELNS1_3gpuE7ELNS1_3repE0EEENS1_30default_config_static_selectorELNS0_4arch9wavefront6targetE0EEEvSY_
    .private_segment_fixed_size: 0
    .sgpr_count:     0
    .sgpr_spill_count: 0
    .symbol:         _ZN7rocprim17ROCPRIM_400000_NS6detail17trampoline_kernelINS0_13select_configILj256ELj13ELNS0_17block_load_methodE3ELS4_3ELS4_3ELNS0_20block_scan_algorithmE0ELj4294967295EEENS1_25partition_config_selectorILNS1_17partition_subalgoE3EjNS0_10empty_typeEbEEZZNS1_14partition_implILS8_3ELb0ES6_jNS0_17counting_iteratorIjlEEPS9_SE_NS0_5tupleIJPjSE_EEENSF_IJSE_SE_EEES9_SG_JZNS1_25segmented_radix_sort_implINS0_14default_configELb0EPKhPhPKlPlN2at6native12_GLOBAL__N_18offset_tEEE10hipError_tPvRmT1_PNSt15iterator_traitsISY_E10value_typeET2_T3_PNSZ_IS14_E10value_typeET4_jRbjT5_S1A_jjP12ihipStream_tbEUljE_EEESV_SW_SX_S14_S18_S1A_T6_T7_T9_mT8_S1C_bDpT10_ENKUlT_T0_E_clISt17integral_constantIbLb0EES1O_IbLb1EEEEDaS1K_S1L_EUlS1K_E_NS1_11comp_targetILNS1_3genE3ELNS1_11target_archE908ELNS1_3gpuE7ELNS1_3repE0EEENS1_30default_config_static_selectorELNS0_4arch9wavefront6targetE0EEEvSY_.kd
    .uniform_work_group_size: 1
    .uses_dynamic_stack: false
    .vgpr_count:     0
    .vgpr_spill_count: 0
    .wavefront_size: 32
  - .args:
      - .offset:         0
        .size:           152
        .value_kind:     by_value
    .group_segment_fixed_size: 0
    .kernarg_segment_align: 8
    .kernarg_segment_size: 152
    .language:       OpenCL C
    .language_version:
      - 2
      - 0
    .max_flat_workgroup_size: 256
    .name:           _ZN7rocprim17ROCPRIM_400000_NS6detail17trampoline_kernelINS0_13select_configILj256ELj13ELNS0_17block_load_methodE3ELS4_3ELS4_3ELNS0_20block_scan_algorithmE0ELj4294967295EEENS1_25partition_config_selectorILNS1_17partition_subalgoE3EjNS0_10empty_typeEbEEZZNS1_14partition_implILS8_3ELb0ES6_jNS0_17counting_iteratorIjlEEPS9_SE_NS0_5tupleIJPjSE_EEENSF_IJSE_SE_EEES9_SG_JZNS1_25segmented_radix_sort_implINS0_14default_configELb0EPKhPhPKlPlN2at6native12_GLOBAL__N_18offset_tEEE10hipError_tPvRmT1_PNSt15iterator_traitsISY_E10value_typeET2_T3_PNSZ_IS14_E10value_typeET4_jRbjT5_S1A_jjP12ihipStream_tbEUljE_EEESV_SW_SX_S14_S18_S1A_T6_T7_T9_mT8_S1C_bDpT10_ENKUlT_T0_E_clISt17integral_constantIbLb0EES1O_IbLb1EEEEDaS1K_S1L_EUlS1K_E_NS1_11comp_targetILNS1_3genE2ELNS1_11target_archE906ELNS1_3gpuE6ELNS1_3repE0EEENS1_30default_config_static_selectorELNS0_4arch9wavefront6targetE0EEEvSY_
    .private_segment_fixed_size: 0
    .sgpr_count:     0
    .sgpr_spill_count: 0
    .symbol:         _ZN7rocprim17ROCPRIM_400000_NS6detail17trampoline_kernelINS0_13select_configILj256ELj13ELNS0_17block_load_methodE3ELS4_3ELS4_3ELNS0_20block_scan_algorithmE0ELj4294967295EEENS1_25partition_config_selectorILNS1_17partition_subalgoE3EjNS0_10empty_typeEbEEZZNS1_14partition_implILS8_3ELb0ES6_jNS0_17counting_iteratorIjlEEPS9_SE_NS0_5tupleIJPjSE_EEENSF_IJSE_SE_EEES9_SG_JZNS1_25segmented_radix_sort_implINS0_14default_configELb0EPKhPhPKlPlN2at6native12_GLOBAL__N_18offset_tEEE10hipError_tPvRmT1_PNSt15iterator_traitsISY_E10value_typeET2_T3_PNSZ_IS14_E10value_typeET4_jRbjT5_S1A_jjP12ihipStream_tbEUljE_EEESV_SW_SX_S14_S18_S1A_T6_T7_T9_mT8_S1C_bDpT10_ENKUlT_T0_E_clISt17integral_constantIbLb0EES1O_IbLb1EEEEDaS1K_S1L_EUlS1K_E_NS1_11comp_targetILNS1_3genE2ELNS1_11target_archE906ELNS1_3gpuE6ELNS1_3repE0EEENS1_30default_config_static_selectorELNS0_4arch9wavefront6targetE0EEEvSY_.kd
    .uniform_work_group_size: 1
    .uses_dynamic_stack: false
    .vgpr_count:     0
    .vgpr_spill_count: 0
    .wavefront_size: 32
  - .args:
      - .offset:         0
        .size:           152
        .value_kind:     by_value
    .group_segment_fixed_size: 0
    .kernarg_segment_align: 8
    .kernarg_segment_size: 152
    .language:       OpenCL C
    .language_version:
      - 2
      - 0
    .max_flat_workgroup_size: 256
    .name:           _ZN7rocprim17ROCPRIM_400000_NS6detail17trampoline_kernelINS0_13select_configILj256ELj13ELNS0_17block_load_methodE3ELS4_3ELS4_3ELNS0_20block_scan_algorithmE0ELj4294967295EEENS1_25partition_config_selectorILNS1_17partition_subalgoE3EjNS0_10empty_typeEbEEZZNS1_14partition_implILS8_3ELb0ES6_jNS0_17counting_iteratorIjlEEPS9_SE_NS0_5tupleIJPjSE_EEENSF_IJSE_SE_EEES9_SG_JZNS1_25segmented_radix_sort_implINS0_14default_configELb0EPKhPhPKlPlN2at6native12_GLOBAL__N_18offset_tEEE10hipError_tPvRmT1_PNSt15iterator_traitsISY_E10value_typeET2_T3_PNSZ_IS14_E10value_typeET4_jRbjT5_S1A_jjP12ihipStream_tbEUljE_EEESV_SW_SX_S14_S18_S1A_T6_T7_T9_mT8_S1C_bDpT10_ENKUlT_T0_E_clISt17integral_constantIbLb0EES1O_IbLb1EEEEDaS1K_S1L_EUlS1K_E_NS1_11comp_targetILNS1_3genE10ELNS1_11target_archE1200ELNS1_3gpuE4ELNS1_3repE0EEENS1_30default_config_static_selectorELNS0_4arch9wavefront6targetE0EEEvSY_
    .private_segment_fixed_size: 0
    .sgpr_count:     0
    .sgpr_spill_count: 0
    .symbol:         _ZN7rocprim17ROCPRIM_400000_NS6detail17trampoline_kernelINS0_13select_configILj256ELj13ELNS0_17block_load_methodE3ELS4_3ELS4_3ELNS0_20block_scan_algorithmE0ELj4294967295EEENS1_25partition_config_selectorILNS1_17partition_subalgoE3EjNS0_10empty_typeEbEEZZNS1_14partition_implILS8_3ELb0ES6_jNS0_17counting_iteratorIjlEEPS9_SE_NS0_5tupleIJPjSE_EEENSF_IJSE_SE_EEES9_SG_JZNS1_25segmented_radix_sort_implINS0_14default_configELb0EPKhPhPKlPlN2at6native12_GLOBAL__N_18offset_tEEE10hipError_tPvRmT1_PNSt15iterator_traitsISY_E10value_typeET2_T3_PNSZ_IS14_E10value_typeET4_jRbjT5_S1A_jjP12ihipStream_tbEUljE_EEESV_SW_SX_S14_S18_S1A_T6_T7_T9_mT8_S1C_bDpT10_ENKUlT_T0_E_clISt17integral_constantIbLb0EES1O_IbLb1EEEEDaS1K_S1L_EUlS1K_E_NS1_11comp_targetILNS1_3genE10ELNS1_11target_archE1200ELNS1_3gpuE4ELNS1_3repE0EEENS1_30default_config_static_selectorELNS0_4arch9wavefront6targetE0EEEvSY_.kd
    .uniform_work_group_size: 1
    .uses_dynamic_stack: false
    .vgpr_count:     0
    .vgpr_spill_count: 0
    .wavefront_size: 32
  - .args:
      - .offset:         0
        .size:           152
        .value_kind:     by_value
    .group_segment_fixed_size: 0
    .kernarg_segment_align: 8
    .kernarg_segment_size: 152
    .language:       OpenCL C
    .language_version:
      - 2
      - 0
    .max_flat_workgroup_size: 256
    .name:           _ZN7rocprim17ROCPRIM_400000_NS6detail17trampoline_kernelINS0_13select_configILj256ELj13ELNS0_17block_load_methodE3ELS4_3ELS4_3ELNS0_20block_scan_algorithmE0ELj4294967295EEENS1_25partition_config_selectorILNS1_17partition_subalgoE3EjNS0_10empty_typeEbEEZZNS1_14partition_implILS8_3ELb0ES6_jNS0_17counting_iteratorIjlEEPS9_SE_NS0_5tupleIJPjSE_EEENSF_IJSE_SE_EEES9_SG_JZNS1_25segmented_radix_sort_implINS0_14default_configELb0EPKhPhPKlPlN2at6native12_GLOBAL__N_18offset_tEEE10hipError_tPvRmT1_PNSt15iterator_traitsISY_E10value_typeET2_T3_PNSZ_IS14_E10value_typeET4_jRbjT5_S1A_jjP12ihipStream_tbEUljE_EEESV_SW_SX_S14_S18_S1A_T6_T7_T9_mT8_S1C_bDpT10_ENKUlT_T0_E_clISt17integral_constantIbLb0EES1O_IbLb1EEEEDaS1K_S1L_EUlS1K_E_NS1_11comp_targetILNS1_3genE9ELNS1_11target_archE1100ELNS1_3gpuE3ELNS1_3repE0EEENS1_30default_config_static_selectorELNS0_4arch9wavefront6targetE0EEEvSY_
    .private_segment_fixed_size: 0
    .sgpr_count:     0
    .sgpr_spill_count: 0
    .symbol:         _ZN7rocprim17ROCPRIM_400000_NS6detail17trampoline_kernelINS0_13select_configILj256ELj13ELNS0_17block_load_methodE3ELS4_3ELS4_3ELNS0_20block_scan_algorithmE0ELj4294967295EEENS1_25partition_config_selectorILNS1_17partition_subalgoE3EjNS0_10empty_typeEbEEZZNS1_14partition_implILS8_3ELb0ES6_jNS0_17counting_iteratorIjlEEPS9_SE_NS0_5tupleIJPjSE_EEENSF_IJSE_SE_EEES9_SG_JZNS1_25segmented_radix_sort_implINS0_14default_configELb0EPKhPhPKlPlN2at6native12_GLOBAL__N_18offset_tEEE10hipError_tPvRmT1_PNSt15iterator_traitsISY_E10value_typeET2_T3_PNSZ_IS14_E10value_typeET4_jRbjT5_S1A_jjP12ihipStream_tbEUljE_EEESV_SW_SX_S14_S18_S1A_T6_T7_T9_mT8_S1C_bDpT10_ENKUlT_T0_E_clISt17integral_constantIbLb0EES1O_IbLb1EEEEDaS1K_S1L_EUlS1K_E_NS1_11comp_targetILNS1_3genE9ELNS1_11target_archE1100ELNS1_3gpuE3ELNS1_3repE0EEENS1_30default_config_static_selectorELNS0_4arch9wavefront6targetE0EEEvSY_.kd
    .uniform_work_group_size: 1
    .uses_dynamic_stack: false
    .vgpr_count:     0
    .vgpr_spill_count: 0
    .wavefront_size: 32
  - .args:
      - .offset:         0
        .size:           152
        .value_kind:     by_value
    .group_segment_fixed_size: 0
    .kernarg_segment_align: 8
    .kernarg_segment_size: 152
    .language:       OpenCL C
    .language_version:
      - 2
      - 0
    .max_flat_workgroup_size: 256
    .name:           _ZN7rocprim17ROCPRIM_400000_NS6detail17trampoline_kernelINS0_13select_configILj256ELj13ELNS0_17block_load_methodE3ELS4_3ELS4_3ELNS0_20block_scan_algorithmE0ELj4294967295EEENS1_25partition_config_selectorILNS1_17partition_subalgoE3EjNS0_10empty_typeEbEEZZNS1_14partition_implILS8_3ELb0ES6_jNS0_17counting_iteratorIjlEEPS9_SE_NS0_5tupleIJPjSE_EEENSF_IJSE_SE_EEES9_SG_JZNS1_25segmented_radix_sort_implINS0_14default_configELb0EPKhPhPKlPlN2at6native12_GLOBAL__N_18offset_tEEE10hipError_tPvRmT1_PNSt15iterator_traitsISY_E10value_typeET2_T3_PNSZ_IS14_E10value_typeET4_jRbjT5_S1A_jjP12ihipStream_tbEUljE_EEESV_SW_SX_S14_S18_S1A_T6_T7_T9_mT8_S1C_bDpT10_ENKUlT_T0_E_clISt17integral_constantIbLb0EES1O_IbLb1EEEEDaS1K_S1L_EUlS1K_E_NS1_11comp_targetILNS1_3genE8ELNS1_11target_archE1030ELNS1_3gpuE2ELNS1_3repE0EEENS1_30default_config_static_selectorELNS0_4arch9wavefront6targetE0EEEvSY_
    .private_segment_fixed_size: 0
    .sgpr_count:     0
    .sgpr_spill_count: 0
    .symbol:         _ZN7rocprim17ROCPRIM_400000_NS6detail17trampoline_kernelINS0_13select_configILj256ELj13ELNS0_17block_load_methodE3ELS4_3ELS4_3ELNS0_20block_scan_algorithmE0ELj4294967295EEENS1_25partition_config_selectorILNS1_17partition_subalgoE3EjNS0_10empty_typeEbEEZZNS1_14partition_implILS8_3ELb0ES6_jNS0_17counting_iteratorIjlEEPS9_SE_NS0_5tupleIJPjSE_EEENSF_IJSE_SE_EEES9_SG_JZNS1_25segmented_radix_sort_implINS0_14default_configELb0EPKhPhPKlPlN2at6native12_GLOBAL__N_18offset_tEEE10hipError_tPvRmT1_PNSt15iterator_traitsISY_E10value_typeET2_T3_PNSZ_IS14_E10value_typeET4_jRbjT5_S1A_jjP12ihipStream_tbEUljE_EEESV_SW_SX_S14_S18_S1A_T6_T7_T9_mT8_S1C_bDpT10_ENKUlT_T0_E_clISt17integral_constantIbLb0EES1O_IbLb1EEEEDaS1K_S1L_EUlS1K_E_NS1_11comp_targetILNS1_3genE8ELNS1_11target_archE1030ELNS1_3gpuE2ELNS1_3repE0EEENS1_30default_config_static_selectorELNS0_4arch9wavefront6targetE0EEEvSY_.kd
    .uniform_work_group_size: 1
    .uses_dynamic_stack: false
    .vgpr_count:     0
    .vgpr_spill_count: 0
    .wavefront_size: 32
  - .args:
      - .offset:         0
        .size:           96
        .value_kind:     by_value
      - .offset:         96
        .size:           4
        .value_kind:     hidden_block_count_x
      - .offset:         100
        .size:           4
        .value_kind:     hidden_block_count_y
      - .offset:         104
        .size:           4
        .value_kind:     hidden_block_count_z
      - .offset:         108
        .size:           2
        .value_kind:     hidden_group_size_x
      - .offset:         110
        .size:           2
        .value_kind:     hidden_group_size_y
      - .offset:         112
        .size:           2
        .value_kind:     hidden_group_size_z
      - .offset:         114
        .size:           2
        .value_kind:     hidden_remainder_x
      - .offset:         116
        .size:           2
        .value_kind:     hidden_remainder_y
      - .offset:         118
        .size:           2
        .value_kind:     hidden_remainder_z
      - .offset:         136
        .size:           8
        .value_kind:     hidden_global_offset_x
      - .offset:         144
        .size:           8
        .value_kind:     hidden_global_offset_y
      - .offset:         152
        .size:           8
        .value_kind:     hidden_global_offset_z
      - .offset:         160
        .size:           2
        .value_kind:     hidden_grid_dims
      - .offset:         176
        .size:           8
        .value_kind:     hidden_hostcall_buffer
      - .offset:         184
        .size:           8
        .value_kind:     hidden_multigrid_sync_arg
      - .offset:         192
        .size:           8
        .value_kind:     hidden_heap_v1
      - .offset:         200
        .size:           8
        .value_kind:     hidden_default_queue
      - .offset:         208
        .size:           8
        .value_kind:     hidden_completion_action
      - .offset:         296
        .size:           8
        .value_kind:     hidden_queue_ptr
    .group_segment_fixed_size: 35344
    .kernarg_segment_align: 8
    .kernarg_segment_size: 352
    .language:       OpenCL C
    .language_version:
      - 2
      - 0
    .max_flat_workgroup_size: 256
    .name:           _ZN7rocprim17ROCPRIM_400000_NS6detail17trampoline_kernelINS0_14default_configENS1_36segmented_radix_sort_config_selectorIhlEEZNS1_25segmented_radix_sort_implIS3_Lb0EPKhPhPKlPlN2at6native12_GLOBAL__N_18offset_tEEE10hipError_tPvRmT1_PNSt15iterator_traitsISK_E10value_typeET2_T3_PNSL_ISQ_E10value_typeET4_jRbjT5_SW_jjP12ihipStream_tbEUlT_E_NS1_11comp_targetILNS1_3genE0ELNS1_11target_archE4294967295ELNS1_3gpuE0ELNS1_3repE0EEENS1_30default_config_static_selectorELNS0_4arch9wavefront6targetE0EEEvSK_
    .private_segment_fixed_size: 0
    .sgpr_count:     63
    .sgpr_spill_count: 0
    .symbol:         _ZN7rocprim17ROCPRIM_400000_NS6detail17trampoline_kernelINS0_14default_configENS1_36segmented_radix_sort_config_selectorIhlEEZNS1_25segmented_radix_sort_implIS3_Lb0EPKhPhPKlPlN2at6native12_GLOBAL__N_18offset_tEEE10hipError_tPvRmT1_PNSt15iterator_traitsISK_E10value_typeET2_T3_PNSL_ISQ_E10value_typeET4_jRbjT5_SW_jjP12ihipStream_tbEUlT_E_NS1_11comp_targetILNS1_3genE0ELNS1_11target_archE4294967295ELNS1_3gpuE0ELNS1_3repE0EEENS1_30default_config_static_selectorELNS0_4arch9wavefront6targetE0EEEvSK_.kd
    .uniform_work_group_size: 1
    .uses_dynamic_stack: false
    .vgpr_count:     319
    .vgpr_spill_count: 0
    .wavefront_size: 32
  - .args:
      - .offset:         0
        .size:           96
        .value_kind:     by_value
    .group_segment_fixed_size: 0
    .kernarg_segment_align: 8
    .kernarg_segment_size: 96
    .language:       OpenCL C
    .language_version:
      - 2
      - 0
    .max_flat_workgroup_size: 256
    .name:           _ZN7rocprim17ROCPRIM_400000_NS6detail17trampoline_kernelINS0_14default_configENS1_36segmented_radix_sort_config_selectorIhlEEZNS1_25segmented_radix_sort_implIS3_Lb0EPKhPhPKlPlN2at6native12_GLOBAL__N_18offset_tEEE10hipError_tPvRmT1_PNSt15iterator_traitsISK_E10value_typeET2_T3_PNSL_ISQ_E10value_typeET4_jRbjT5_SW_jjP12ihipStream_tbEUlT_E_NS1_11comp_targetILNS1_3genE5ELNS1_11target_archE942ELNS1_3gpuE9ELNS1_3repE0EEENS1_30default_config_static_selectorELNS0_4arch9wavefront6targetE0EEEvSK_
    .private_segment_fixed_size: 0
    .sgpr_count:     0
    .sgpr_spill_count: 0
    .symbol:         _ZN7rocprim17ROCPRIM_400000_NS6detail17trampoline_kernelINS0_14default_configENS1_36segmented_radix_sort_config_selectorIhlEEZNS1_25segmented_radix_sort_implIS3_Lb0EPKhPhPKlPlN2at6native12_GLOBAL__N_18offset_tEEE10hipError_tPvRmT1_PNSt15iterator_traitsISK_E10value_typeET2_T3_PNSL_ISQ_E10value_typeET4_jRbjT5_SW_jjP12ihipStream_tbEUlT_E_NS1_11comp_targetILNS1_3genE5ELNS1_11target_archE942ELNS1_3gpuE9ELNS1_3repE0EEENS1_30default_config_static_selectorELNS0_4arch9wavefront6targetE0EEEvSK_.kd
    .uniform_work_group_size: 1
    .uses_dynamic_stack: false
    .vgpr_count:     0
    .vgpr_spill_count: 0
    .wavefront_size: 32
  - .args:
      - .offset:         0
        .size:           96
        .value_kind:     by_value
    .group_segment_fixed_size: 0
    .kernarg_segment_align: 8
    .kernarg_segment_size: 96
    .language:       OpenCL C
    .language_version:
      - 2
      - 0
    .max_flat_workgroup_size: 256
    .name:           _ZN7rocprim17ROCPRIM_400000_NS6detail17trampoline_kernelINS0_14default_configENS1_36segmented_radix_sort_config_selectorIhlEEZNS1_25segmented_radix_sort_implIS3_Lb0EPKhPhPKlPlN2at6native12_GLOBAL__N_18offset_tEEE10hipError_tPvRmT1_PNSt15iterator_traitsISK_E10value_typeET2_T3_PNSL_ISQ_E10value_typeET4_jRbjT5_SW_jjP12ihipStream_tbEUlT_E_NS1_11comp_targetILNS1_3genE4ELNS1_11target_archE910ELNS1_3gpuE8ELNS1_3repE0EEENS1_30default_config_static_selectorELNS0_4arch9wavefront6targetE0EEEvSK_
    .private_segment_fixed_size: 0
    .sgpr_count:     0
    .sgpr_spill_count: 0
    .symbol:         _ZN7rocprim17ROCPRIM_400000_NS6detail17trampoline_kernelINS0_14default_configENS1_36segmented_radix_sort_config_selectorIhlEEZNS1_25segmented_radix_sort_implIS3_Lb0EPKhPhPKlPlN2at6native12_GLOBAL__N_18offset_tEEE10hipError_tPvRmT1_PNSt15iterator_traitsISK_E10value_typeET2_T3_PNSL_ISQ_E10value_typeET4_jRbjT5_SW_jjP12ihipStream_tbEUlT_E_NS1_11comp_targetILNS1_3genE4ELNS1_11target_archE910ELNS1_3gpuE8ELNS1_3repE0EEENS1_30default_config_static_selectorELNS0_4arch9wavefront6targetE0EEEvSK_.kd
    .uniform_work_group_size: 1
    .uses_dynamic_stack: false
    .vgpr_count:     0
    .vgpr_spill_count: 0
    .wavefront_size: 32
  - .args:
      - .offset:         0
        .size:           96
        .value_kind:     by_value
    .group_segment_fixed_size: 0
    .kernarg_segment_align: 8
    .kernarg_segment_size: 96
    .language:       OpenCL C
    .language_version:
      - 2
      - 0
    .max_flat_workgroup_size: 256
    .name:           _ZN7rocprim17ROCPRIM_400000_NS6detail17trampoline_kernelINS0_14default_configENS1_36segmented_radix_sort_config_selectorIhlEEZNS1_25segmented_radix_sort_implIS3_Lb0EPKhPhPKlPlN2at6native12_GLOBAL__N_18offset_tEEE10hipError_tPvRmT1_PNSt15iterator_traitsISK_E10value_typeET2_T3_PNSL_ISQ_E10value_typeET4_jRbjT5_SW_jjP12ihipStream_tbEUlT_E_NS1_11comp_targetILNS1_3genE3ELNS1_11target_archE908ELNS1_3gpuE7ELNS1_3repE0EEENS1_30default_config_static_selectorELNS0_4arch9wavefront6targetE0EEEvSK_
    .private_segment_fixed_size: 0
    .sgpr_count:     0
    .sgpr_spill_count: 0
    .symbol:         _ZN7rocprim17ROCPRIM_400000_NS6detail17trampoline_kernelINS0_14default_configENS1_36segmented_radix_sort_config_selectorIhlEEZNS1_25segmented_radix_sort_implIS3_Lb0EPKhPhPKlPlN2at6native12_GLOBAL__N_18offset_tEEE10hipError_tPvRmT1_PNSt15iterator_traitsISK_E10value_typeET2_T3_PNSL_ISQ_E10value_typeET4_jRbjT5_SW_jjP12ihipStream_tbEUlT_E_NS1_11comp_targetILNS1_3genE3ELNS1_11target_archE908ELNS1_3gpuE7ELNS1_3repE0EEENS1_30default_config_static_selectorELNS0_4arch9wavefront6targetE0EEEvSK_.kd
    .uniform_work_group_size: 1
    .uses_dynamic_stack: false
    .vgpr_count:     0
    .vgpr_spill_count: 0
    .wavefront_size: 32
  - .args:
      - .offset:         0
        .size:           96
        .value_kind:     by_value
    .group_segment_fixed_size: 0
    .kernarg_segment_align: 8
    .kernarg_segment_size: 96
    .language:       OpenCL C
    .language_version:
      - 2
      - 0
    .max_flat_workgroup_size: 256
    .name:           _ZN7rocprim17ROCPRIM_400000_NS6detail17trampoline_kernelINS0_14default_configENS1_36segmented_radix_sort_config_selectorIhlEEZNS1_25segmented_radix_sort_implIS3_Lb0EPKhPhPKlPlN2at6native12_GLOBAL__N_18offset_tEEE10hipError_tPvRmT1_PNSt15iterator_traitsISK_E10value_typeET2_T3_PNSL_ISQ_E10value_typeET4_jRbjT5_SW_jjP12ihipStream_tbEUlT_E_NS1_11comp_targetILNS1_3genE2ELNS1_11target_archE906ELNS1_3gpuE6ELNS1_3repE0EEENS1_30default_config_static_selectorELNS0_4arch9wavefront6targetE0EEEvSK_
    .private_segment_fixed_size: 0
    .sgpr_count:     0
    .sgpr_spill_count: 0
    .symbol:         _ZN7rocprim17ROCPRIM_400000_NS6detail17trampoline_kernelINS0_14default_configENS1_36segmented_radix_sort_config_selectorIhlEEZNS1_25segmented_radix_sort_implIS3_Lb0EPKhPhPKlPlN2at6native12_GLOBAL__N_18offset_tEEE10hipError_tPvRmT1_PNSt15iterator_traitsISK_E10value_typeET2_T3_PNSL_ISQ_E10value_typeET4_jRbjT5_SW_jjP12ihipStream_tbEUlT_E_NS1_11comp_targetILNS1_3genE2ELNS1_11target_archE906ELNS1_3gpuE6ELNS1_3repE0EEENS1_30default_config_static_selectorELNS0_4arch9wavefront6targetE0EEEvSK_.kd
    .uniform_work_group_size: 1
    .uses_dynamic_stack: false
    .vgpr_count:     0
    .vgpr_spill_count: 0
    .wavefront_size: 32
  - .args:
      - .offset:         0
        .size:           96
        .value_kind:     by_value
    .group_segment_fixed_size: 0
    .kernarg_segment_align: 8
    .kernarg_segment_size: 96
    .language:       OpenCL C
    .language_version:
      - 2
      - 0
    .max_flat_workgroup_size: 256
    .name:           _ZN7rocprim17ROCPRIM_400000_NS6detail17trampoline_kernelINS0_14default_configENS1_36segmented_radix_sort_config_selectorIhlEEZNS1_25segmented_radix_sort_implIS3_Lb0EPKhPhPKlPlN2at6native12_GLOBAL__N_18offset_tEEE10hipError_tPvRmT1_PNSt15iterator_traitsISK_E10value_typeET2_T3_PNSL_ISQ_E10value_typeET4_jRbjT5_SW_jjP12ihipStream_tbEUlT_E_NS1_11comp_targetILNS1_3genE10ELNS1_11target_archE1201ELNS1_3gpuE5ELNS1_3repE0EEENS1_30default_config_static_selectorELNS0_4arch9wavefront6targetE0EEEvSK_
    .private_segment_fixed_size: 0
    .sgpr_count:     0
    .sgpr_spill_count: 0
    .symbol:         _ZN7rocprim17ROCPRIM_400000_NS6detail17trampoline_kernelINS0_14default_configENS1_36segmented_radix_sort_config_selectorIhlEEZNS1_25segmented_radix_sort_implIS3_Lb0EPKhPhPKlPlN2at6native12_GLOBAL__N_18offset_tEEE10hipError_tPvRmT1_PNSt15iterator_traitsISK_E10value_typeET2_T3_PNSL_ISQ_E10value_typeET4_jRbjT5_SW_jjP12ihipStream_tbEUlT_E_NS1_11comp_targetILNS1_3genE10ELNS1_11target_archE1201ELNS1_3gpuE5ELNS1_3repE0EEENS1_30default_config_static_selectorELNS0_4arch9wavefront6targetE0EEEvSK_.kd
    .uniform_work_group_size: 1
    .uses_dynamic_stack: false
    .vgpr_count:     0
    .vgpr_spill_count: 0
    .wavefront_size: 32
  - .args:
      - .offset:         0
        .size:           96
        .value_kind:     by_value
    .group_segment_fixed_size: 0
    .kernarg_segment_align: 8
    .kernarg_segment_size: 96
    .language:       OpenCL C
    .language_version:
      - 2
      - 0
    .max_flat_workgroup_size: 128
    .name:           _ZN7rocprim17ROCPRIM_400000_NS6detail17trampoline_kernelINS0_14default_configENS1_36segmented_radix_sort_config_selectorIhlEEZNS1_25segmented_radix_sort_implIS3_Lb0EPKhPhPKlPlN2at6native12_GLOBAL__N_18offset_tEEE10hipError_tPvRmT1_PNSt15iterator_traitsISK_E10value_typeET2_T3_PNSL_ISQ_E10value_typeET4_jRbjT5_SW_jjP12ihipStream_tbEUlT_E_NS1_11comp_targetILNS1_3genE10ELNS1_11target_archE1200ELNS1_3gpuE4ELNS1_3repE0EEENS1_30default_config_static_selectorELNS0_4arch9wavefront6targetE0EEEvSK_
    .private_segment_fixed_size: 0
    .sgpr_count:     0
    .sgpr_spill_count: 0
    .symbol:         _ZN7rocprim17ROCPRIM_400000_NS6detail17trampoline_kernelINS0_14default_configENS1_36segmented_radix_sort_config_selectorIhlEEZNS1_25segmented_radix_sort_implIS3_Lb0EPKhPhPKlPlN2at6native12_GLOBAL__N_18offset_tEEE10hipError_tPvRmT1_PNSt15iterator_traitsISK_E10value_typeET2_T3_PNSL_ISQ_E10value_typeET4_jRbjT5_SW_jjP12ihipStream_tbEUlT_E_NS1_11comp_targetILNS1_3genE10ELNS1_11target_archE1200ELNS1_3gpuE4ELNS1_3repE0EEENS1_30default_config_static_selectorELNS0_4arch9wavefront6targetE0EEEvSK_.kd
    .uniform_work_group_size: 1
    .uses_dynamic_stack: false
    .vgpr_count:     0
    .vgpr_spill_count: 0
    .wavefront_size: 32
  - .args:
      - .offset:         0
        .size:           96
        .value_kind:     by_value
    .group_segment_fixed_size: 0
    .kernarg_segment_align: 8
    .kernarg_segment_size: 96
    .language:       OpenCL C
    .language_version:
      - 2
      - 0
    .max_flat_workgroup_size: 256
    .name:           _ZN7rocprim17ROCPRIM_400000_NS6detail17trampoline_kernelINS0_14default_configENS1_36segmented_radix_sort_config_selectorIhlEEZNS1_25segmented_radix_sort_implIS3_Lb0EPKhPhPKlPlN2at6native12_GLOBAL__N_18offset_tEEE10hipError_tPvRmT1_PNSt15iterator_traitsISK_E10value_typeET2_T3_PNSL_ISQ_E10value_typeET4_jRbjT5_SW_jjP12ihipStream_tbEUlT_E_NS1_11comp_targetILNS1_3genE9ELNS1_11target_archE1100ELNS1_3gpuE3ELNS1_3repE0EEENS1_30default_config_static_selectorELNS0_4arch9wavefront6targetE0EEEvSK_
    .private_segment_fixed_size: 0
    .sgpr_count:     0
    .sgpr_spill_count: 0
    .symbol:         _ZN7rocprim17ROCPRIM_400000_NS6detail17trampoline_kernelINS0_14default_configENS1_36segmented_radix_sort_config_selectorIhlEEZNS1_25segmented_radix_sort_implIS3_Lb0EPKhPhPKlPlN2at6native12_GLOBAL__N_18offset_tEEE10hipError_tPvRmT1_PNSt15iterator_traitsISK_E10value_typeET2_T3_PNSL_ISQ_E10value_typeET4_jRbjT5_SW_jjP12ihipStream_tbEUlT_E_NS1_11comp_targetILNS1_3genE9ELNS1_11target_archE1100ELNS1_3gpuE3ELNS1_3repE0EEENS1_30default_config_static_selectorELNS0_4arch9wavefront6targetE0EEEvSK_.kd
    .uniform_work_group_size: 1
    .uses_dynamic_stack: false
    .vgpr_count:     0
    .vgpr_spill_count: 0
    .wavefront_size: 32
  - .args:
      - .offset:         0
        .size:           96
        .value_kind:     by_value
    .group_segment_fixed_size: 0
    .kernarg_segment_align: 8
    .kernarg_segment_size: 96
    .language:       OpenCL C
    .language_version:
      - 2
      - 0
    .max_flat_workgroup_size: 256
    .name:           _ZN7rocprim17ROCPRIM_400000_NS6detail17trampoline_kernelINS0_14default_configENS1_36segmented_radix_sort_config_selectorIhlEEZNS1_25segmented_radix_sort_implIS3_Lb0EPKhPhPKlPlN2at6native12_GLOBAL__N_18offset_tEEE10hipError_tPvRmT1_PNSt15iterator_traitsISK_E10value_typeET2_T3_PNSL_ISQ_E10value_typeET4_jRbjT5_SW_jjP12ihipStream_tbEUlT_E_NS1_11comp_targetILNS1_3genE8ELNS1_11target_archE1030ELNS1_3gpuE2ELNS1_3repE0EEENS1_30default_config_static_selectorELNS0_4arch9wavefront6targetE0EEEvSK_
    .private_segment_fixed_size: 0
    .sgpr_count:     0
    .sgpr_spill_count: 0
    .symbol:         _ZN7rocprim17ROCPRIM_400000_NS6detail17trampoline_kernelINS0_14default_configENS1_36segmented_radix_sort_config_selectorIhlEEZNS1_25segmented_radix_sort_implIS3_Lb0EPKhPhPKlPlN2at6native12_GLOBAL__N_18offset_tEEE10hipError_tPvRmT1_PNSt15iterator_traitsISK_E10value_typeET2_T3_PNSL_ISQ_E10value_typeET4_jRbjT5_SW_jjP12ihipStream_tbEUlT_E_NS1_11comp_targetILNS1_3genE8ELNS1_11target_archE1030ELNS1_3gpuE2ELNS1_3repE0EEENS1_30default_config_static_selectorELNS0_4arch9wavefront6targetE0EEEvSK_.kd
    .uniform_work_group_size: 1
    .uses_dynamic_stack: false
    .vgpr_count:     0
    .vgpr_spill_count: 0
    .wavefront_size: 32
  - .args:
      - .offset:         0
        .size:           88
        .value_kind:     by_value
      - .offset:         88
        .size:           4
        .value_kind:     hidden_block_count_x
      - .offset:         92
        .size:           4
        .value_kind:     hidden_block_count_y
      - .offset:         96
        .size:           4
        .value_kind:     hidden_block_count_z
      - .offset:         100
        .size:           2
        .value_kind:     hidden_group_size_x
      - .offset:         102
        .size:           2
        .value_kind:     hidden_group_size_y
      - .offset:         104
        .size:           2
        .value_kind:     hidden_group_size_z
      - .offset:         106
        .size:           2
        .value_kind:     hidden_remainder_x
      - .offset:         108
        .size:           2
        .value_kind:     hidden_remainder_y
      - .offset:         110
        .size:           2
        .value_kind:     hidden_remainder_z
      - .offset:         128
        .size:           8
        .value_kind:     hidden_global_offset_x
      - .offset:         136
        .size:           8
        .value_kind:     hidden_global_offset_y
      - .offset:         144
        .size:           8
        .value_kind:     hidden_global_offset_z
      - .offset:         152
        .size:           2
        .value_kind:     hidden_grid_dims
      - .offset:         168
        .size:           8
        .value_kind:     hidden_hostcall_buffer
      - .offset:         176
        .size:           8
        .value_kind:     hidden_multigrid_sync_arg
      - .offset:         184
        .size:           8
        .value_kind:     hidden_heap_v1
      - .offset:         192
        .size:           8
        .value_kind:     hidden_default_queue
      - .offset:         200
        .size:           8
        .value_kind:     hidden_completion_action
      - .offset:         288
        .size:           8
        .value_kind:     hidden_queue_ptr
    .group_segment_fixed_size: 9216
    .kernarg_segment_align: 8
    .kernarg_segment_size: 344
    .language:       OpenCL C
    .language_version:
      - 2
      - 0
    .max_flat_workgroup_size: 256
    .name:           _ZN7rocprim17ROCPRIM_400000_NS6detail17trampoline_kernelINS0_14default_configENS1_36segmented_radix_sort_config_selectorIhlEEZNS1_25segmented_radix_sort_implIS3_Lb0EPKhPhPKlPlN2at6native12_GLOBAL__N_18offset_tEEE10hipError_tPvRmT1_PNSt15iterator_traitsISK_E10value_typeET2_T3_PNSL_ISQ_E10value_typeET4_jRbjT5_SW_jjP12ihipStream_tbEUlT_E0_NS1_11comp_targetILNS1_3genE0ELNS1_11target_archE4294967295ELNS1_3gpuE0ELNS1_3repE0EEENS1_60segmented_radix_sort_warp_sort_medium_config_static_selectorELNS0_4arch9wavefront6targetE0EEEvSK_
    .private_segment_fixed_size: 0
    .sgpr_count:     42
    .sgpr_spill_count: 0
    .symbol:         _ZN7rocprim17ROCPRIM_400000_NS6detail17trampoline_kernelINS0_14default_configENS1_36segmented_radix_sort_config_selectorIhlEEZNS1_25segmented_radix_sort_implIS3_Lb0EPKhPhPKlPlN2at6native12_GLOBAL__N_18offset_tEEE10hipError_tPvRmT1_PNSt15iterator_traitsISK_E10value_typeET2_T3_PNSL_ISQ_E10value_typeET4_jRbjT5_SW_jjP12ihipStream_tbEUlT_E0_NS1_11comp_targetILNS1_3genE0ELNS1_11target_archE4294967295ELNS1_3gpuE0ELNS1_3repE0EEENS1_60segmented_radix_sort_warp_sort_medium_config_static_selectorELNS0_4arch9wavefront6targetE0EEEvSK_.kd
    .uniform_work_group_size: 1
    .uses_dynamic_stack: false
    .vgpr_count:     54
    .vgpr_spill_count: 0
    .wavefront_size: 32
  - .args:
      - .offset:         0
        .size:           88
        .value_kind:     by_value
    .group_segment_fixed_size: 0
    .kernarg_segment_align: 8
    .kernarg_segment_size: 88
    .language:       OpenCL C
    .language_version:
      - 2
      - 0
    .max_flat_workgroup_size: 256
    .name:           _ZN7rocprim17ROCPRIM_400000_NS6detail17trampoline_kernelINS0_14default_configENS1_36segmented_radix_sort_config_selectorIhlEEZNS1_25segmented_radix_sort_implIS3_Lb0EPKhPhPKlPlN2at6native12_GLOBAL__N_18offset_tEEE10hipError_tPvRmT1_PNSt15iterator_traitsISK_E10value_typeET2_T3_PNSL_ISQ_E10value_typeET4_jRbjT5_SW_jjP12ihipStream_tbEUlT_E0_NS1_11comp_targetILNS1_3genE5ELNS1_11target_archE942ELNS1_3gpuE9ELNS1_3repE0EEENS1_60segmented_radix_sort_warp_sort_medium_config_static_selectorELNS0_4arch9wavefront6targetE0EEEvSK_
    .private_segment_fixed_size: 0
    .sgpr_count:     0
    .sgpr_spill_count: 0
    .symbol:         _ZN7rocprim17ROCPRIM_400000_NS6detail17trampoline_kernelINS0_14default_configENS1_36segmented_radix_sort_config_selectorIhlEEZNS1_25segmented_radix_sort_implIS3_Lb0EPKhPhPKlPlN2at6native12_GLOBAL__N_18offset_tEEE10hipError_tPvRmT1_PNSt15iterator_traitsISK_E10value_typeET2_T3_PNSL_ISQ_E10value_typeET4_jRbjT5_SW_jjP12ihipStream_tbEUlT_E0_NS1_11comp_targetILNS1_3genE5ELNS1_11target_archE942ELNS1_3gpuE9ELNS1_3repE0EEENS1_60segmented_radix_sort_warp_sort_medium_config_static_selectorELNS0_4arch9wavefront6targetE0EEEvSK_.kd
    .uniform_work_group_size: 1
    .uses_dynamic_stack: false
    .vgpr_count:     0
    .vgpr_spill_count: 0
    .wavefront_size: 32
  - .args:
      - .offset:         0
        .size:           88
        .value_kind:     by_value
    .group_segment_fixed_size: 0
    .kernarg_segment_align: 8
    .kernarg_segment_size: 88
    .language:       OpenCL C
    .language_version:
      - 2
      - 0
    .max_flat_workgroup_size: 256
    .name:           _ZN7rocprim17ROCPRIM_400000_NS6detail17trampoline_kernelINS0_14default_configENS1_36segmented_radix_sort_config_selectorIhlEEZNS1_25segmented_radix_sort_implIS3_Lb0EPKhPhPKlPlN2at6native12_GLOBAL__N_18offset_tEEE10hipError_tPvRmT1_PNSt15iterator_traitsISK_E10value_typeET2_T3_PNSL_ISQ_E10value_typeET4_jRbjT5_SW_jjP12ihipStream_tbEUlT_E0_NS1_11comp_targetILNS1_3genE4ELNS1_11target_archE910ELNS1_3gpuE8ELNS1_3repE0EEENS1_60segmented_radix_sort_warp_sort_medium_config_static_selectorELNS0_4arch9wavefront6targetE0EEEvSK_
    .private_segment_fixed_size: 0
    .sgpr_count:     0
    .sgpr_spill_count: 0
    .symbol:         _ZN7rocprim17ROCPRIM_400000_NS6detail17trampoline_kernelINS0_14default_configENS1_36segmented_radix_sort_config_selectorIhlEEZNS1_25segmented_radix_sort_implIS3_Lb0EPKhPhPKlPlN2at6native12_GLOBAL__N_18offset_tEEE10hipError_tPvRmT1_PNSt15iterator_traitsISK_E10value_typeET2_T3_PNSL_ISQ_E10value_typeET4_jRbjT5_SW_jjP12ihipStream_tbEUlT_E0_NS1_11comp_targetILNS1_3genE4ELNS1_11target_archE910ELNS1_3gpuE8ELNS1_3repE0EEENS1_60segmented_radix_sort_warp_sort_medium_config_static_selectorELNS0_4arch9wavefront6targetE0EEEvSK_.kd
    .uniform_work_group_size: 1
    .uses_dynamic_stack: false
    .vgpr_count:     0
    .vgpr_spill_count: 0
    .wavefront_size: 32
  - .args:
      - .offset:         0
        .size:           88
        .value_kind:     by_value
    .group_segment_fixed_size: 0
    .kernarg_segment_align: 8
    .kernarg_segment_size: 88
    .language:       OpenCL C
    .language_version:
      - 2
      - 0
    .max_flat_workgroup_size: 256
    .name:           _ZN7rocprim17ROCPRIM_400000_NS6detail17trampoline_kernelINS0_14default_configENS1_36segmented_radix_sort_config_selectorIhlEEZNS1_25segmented_radix_sort_implIS3_Lb0EPKhPhPKlPlN2at6native12_GLOBAL__N_18offset_tEEE10hipError_tPvRmT1_PNSt15iterator_traitsISK_E10value_typeET2_T3_PNSL_ISQ_E10value_typeET4_jRbjT5_SW_jjP12ihipStream_tbEUlT_E0_NS1_11comp_targetILNS1_3genE3ELNS1_11target_archE908ELNS1_3gpuE7ELNS1_3repE0EEENS1_60segmented_radix_sort_warp_sort_medium_config_static_selectorELNS0_4arch9wavefront6targetE0EEEvSK_
    .private_segment_fixed_size: 0
    .sgpr_count:     0
    .sgpr_spill_count: 0
    .symbol:         _ZN7rocprim17ROCPRIM_400000_NS6detail17trampoline_kernelINS0_14default_configENS1_36segmented_radix_sort_config_selectorIhlEEZNS1_25segmented_radix_sort_implIS3_Lb0EPKhPhPKlPlN2at6native12_GLOBAL__N_18offset_tEEE10hipError_tPvRmT1_PNSt15iterator_traitsISK_E10value_typeET2_T3_PNSL_ISQ_E10value_typeET4_jRbjT5_SW_jjP12ihipStream_tbEUlT_E0_NS1_11comp_targetILNS1_3genE3ELNS1_11target_archE908ELNS1_3gpuE7ELNS1_3repE0EEENS1_60segmented_radix_sort_warp_sort_medium_config_static_selectorELNS0_4arch9wavefront6targetE0EEEvSK_.kd
    .uniform_work_group_size: 1
    .uses_dynamic_stack: false
    .vgpr_count:     0
    .vgpr_spill_count: 0
    .wavefront_size: 32
  - .args:
      - .offset:         0
        .size:           88
        .value_kind:     by_value
    .group_segment_fixed_size: 0
    .kernarg_segment_align: 8
    .kernarg_segment_size: 88
    .language:       OpenCL C
    .language_version:
      - 2
      - 0
    .max_flat_workgroup_size: 256
    .name:           _ZN7rocprim17ROCPRIM_400000_NS6detail17trampoline_kernelINS0_14default_configENS1_36segmented_radix_sort_config_selectorIhlEEZNS1_25segmented_radix_sort_implIS3_Lb0EPKhPhPKlPlN2at6native12_GLOBAL__N_18offset_tEEE10hipError_tPvRmT1_PNSt15iterator_traitsISK_E10value_typeET2_T3_PNSL_ISQ_E10value_typeET4_jRbjT5_SW_jjP12ihipStream_tbEUlT_E0_NS1_11comp_targetILNS1_3genE2ELNS1_11target_archE906ELNS1_3gpuE6ELNS1_3repE0EEENS1_60segmented_radix_sort_warp_sort_medium_config_static_selectorELNS0_4arch9wavefront6targetE0EEEvSK_
    .private_segment_fixed_size: 0
    .sgpr_count:     0
    .sgpr_spill_count: 0
    .symbol:         _ZN7rocprim17ROCPRIM_400000_NS6detail17trampoline_kernelINS0_14default_configENS1_36segmented_radix_sort_config_selectorIhlEEZNS1_25segmented_radix_sort_implIS3_Lb0EPKhPhPKlPlN2at6native12_GLOBAL__N_18offset_tEEE10hipError_tPvRmT1_PNSt15iterator_traitsISK_E10value_typeET2_T3_PNSL_ISQ_E10value_typeET4_jRbjT5_SW_jjP12ihipStream_tbEUlT_E0_NS1_11comp_targetILNS1_3genE2ELNS1_11target_archE906ELNS1_3gpuE6ELNS1_3repE0EEENS1_60segmented_radix_sort_warp_sort_medium_config_static_selectorELNS0_4arch9wavefront6targetE0EEEvSK_.kd
    .uniform_work_group_size: 1
    .uses_dynamic_stack: false
    .vgpr_count:     0
    .vgpr_spill_count: 0
    .wavefront_size: 32
  - .args:
      - .offset:         0
        .size:           88
        .value_kind:     by_value
    .group_segment_fixed_size: 0
    .kernarg_segment_align: 8
    .kernarg_segment_size: 88
    .language:       OpenCL C
    .language_version:
      - 2
      - 0
    .max_flat_workgroup_size: 256
    .name:           _ZN7rocprim17ROCPRIM_400000_NS6detail17trampoline_kernelINS0_14default_configENS1_36segmented_radix_sort_config_selectorIhlEEZNS1_25segmented_radix_sort_implIS3_Lb0EPKhPhPKlPlN2at6native12_GLOBAL__N_18offset_tEEE10hipError_tPvRmT1_PNSt15iterator_traitsISK_E10value_typeET2_T3_PNSL_ISQ_E10value_typeET4_jRbjT5_SW_jjP12ihipStream_tbEUlT_E0_NS1_11comp_targetILNS1_3genE10ELNS1_11target_archE1201ELNS1_3gpuE5ELNS1_3repE0EEENS1_60segmented_radix_sort_warp_sort_medium_config_static_selectorELNS0_4arch9wavefront6targetE0EEEvSK_
    .private_segment_fixed_size: 0
    .sgpr_count:     0
    .sgpr_spill_count: 0
    .symbol:         _ZN7rocprim17ROCPRIM_400000_NS6detail17trampoline_kernelINS0_14default_configENS1_36segmented_radix_sort_config_selectorIhlEEZNS1_25segmented_radix_sort_implIS3_Lb0EPKhPhPKlPlN2at6native12_GLOBAL__N_18offset_tEEE10hipError_tPvRmT1_PNSt15iterator_traitsISK_E10value_typeET2_T3_PNSL_ISQ_E10value_typeET4_jRbjT5_SW_jjP12ihipStream_tbEUlT_E0_NS1_11comp_targetILNS1_3genE10ELNS1_11target_archE1201ELNS1_3gpuE5ELNS1_3repE0EEENS1_60segmented_radix_sort_warp_sort_medium_config_static_selectorELNS0_4arch9wavefront6targetE0EEEvSK_.kd
    .uniform_work_group_size: 1
    .uses_dynamic_stack: false
    .vgpr_count:     0
    .vgpr_spill_count: 0
    .wavefront_size: 32
  - .args:
      - .offset:         0
        .size:           88
        .value_kind:     by_value
    .group_segment_fixed_size: 0
    .kernarg_segment_align: 8
    .kernarg_segment_size: 88
    .language:       OpenCL C
    .language_version:
      - 2
      - 0
    .max_flat_workgroup_size: 256
    .name:           _ZN7rocprim17ROCPRIM_400000_NS6detail17trampoline_kernelINS0_14default_configENS1_36segmented_radix_sort_config_selectorIhlEEZNS1_25segmented_radix_sort_implIS3_Lb0EPKhPhPKlPlN2at6native12_GLOBAL__N_18offset_tEEE10hipError_tPvRmT1_PNSt15iterator_traitsISK_E10value_typeET2_T3_PNSL_ISQ_E10value_typeET4_jRbjT5_SW_jjP12ihipStream_tbEUlT_E0_NS1_11comp_targetILNS1_3genE10ELNS1_11target_archE1200ELNS1_3gpuE4ELNS1_3repE0EEENS1_60segmented_radix_sort_warp_sort_medium_config_static_selectorELNS0_4arch9wavefront6targetE0EEEvSK_
    .private_segment_fixed_size: 0
    .sgpr_count:     0
    .sgpr_spill_count: 0
    .symbol:         _ZN7rocprim17ROCPRIM_400000_NS6detail17trampoline_kernelINS0_14default_configENS1_36segmented_radix_sort_config_selectorIhlEEZNS1_25segmented_radix_sort_implIS3_Lb0EPKhPhPKlPlN2at6native12_GLOBAL__N_18offset_tEEE10hipError_tPvRmT1_PNSt15iterator_traitsISK_E10value_typeET2_T3_PNSL_ISQ_E10value_typeET4_jRbjT5_SW_jjP12ihipStream_tbEUlT_E0_NS1_11comp_targetILNS1_3genE10ELNS1_11target_archE1200ELNS1_3gpuE4ELNS1_3repE0EEENS1_60segmented_radix_sort_warp_sort_medium_config_static_selectorELNS0_4arch9wavefront6targetE0EEEvSK_.kd
    .uniform_work_group_size: 1
    .uses_dynamic_stack: false
    .vgpr_count:     0
    .vgpr_spill_count: 0
    .wavefront_size: 32
  - .args:
      - .offset:         0
        .size:           88
        .value_kind:     by_value
    .group_segment_fixed_size: 0
    .kernarg_segment_align: 8
    .kernarg_segment_size: 88
    .language:       OpenCL C
    .language_version:
      - 2
      - 0
    .max_flat_workgroup_size: 256
    .name:           _ZN7rocprim17ROCPRIM_400000_NS6detail17trampoline_kernelINS0_14default_configENS1_36segmented_radix_sort_config_selectorIhlEEZNS1_25segmented_radix_sort_implIS3_Lb0EPKhPhPKlPlN2at6native12_GLOBAL__N_18offset_tEEE10hipError_tPvRmT1_PNSt15iterator_traitsISK_E10value_typeET2_T3_PNSL_ISQ_E10value_typeET4_jRbjT5_SW_jjP12ihipStream_tbEUlT_E0_NS1_11comp_targetILNS1_3genE9ELNS1_11target_archE1100ELNS1_3gpuE3ELNS1_3repE0EEENS1_60segmented_radix_sort_warp_sort_medium_config_static_selectorELNS0_4arch9wavefront6targetE0EEEvSK_
    .private_segment_fixed_size: 0
    .sgpr_count:     0
    .sgpr_spill_count: 0
    .symbol:         _ZN7rocprim17ROCPRIM_400000_NS6detail17trampoline_kernelINS0_14default_configENS1_36segmented_radix_sort_config_selectorIhlEEZNS1_25segmented_radix_sort_implIS3_Lb0EPKhPhPKlPlN2at6native12_GLOBAL__N_18offset_tEEE10hipError_tPvRmT1_PNSt15iterator_traitsISK_E10value_typeET2_T3_PNSL_ISQ_E10value_typeET4_jRbjT5_SW_jjP12ihipStream_tbEUlT_E0_NS1_11comp_targetILNS1_3genE9ELNS1_11target_archE1100ELNS1_3gpuE3ELNS1_3repE0EEENS1_60segmented_radix_sort_warp_sort_medium_config_static_selectorELNS0_4arch9wavefront6targetE0EEEvSK_.kd
    .uniform_work_group_size: 1
    .uses_dynamic_stack: false
    .vgpr_count:     0
    .vgpr_spill_count: 0
    .wavefront_size: 32
  - .args:
      - .offset:         0
        .size:           88
        .value_kind:     by_value
    .group_segment_fixed_size: 0
    .kernarg_segment_align: 8
    .kernarg_segment_size: 88
    .language:       OpenCL C
    .language_version:
      - 2
      - 0
    .max_flat_workgroup_size: 256
    .name:           _ZN7rocprim17ROCPRIM_400000_NS6detail17trampoline_kernelINS0_14default_configENS1_36segmented_radix_sort_config_selectorIhlEEZNS1_25segmented_radix_sort_implIS3_Lb0EPKhPhPKlPlN2at6native12_GLOBAL__N_18offset_tEEE10hipError_tPvRmT1_PNSt15iterator_traitsISK_E10value_typeET2_T3_PNSL_ISQ_E10value_typeET4_jRbjT5_SW_jjP12ihipStream_tbEUlT_E0_NS1_11comp_targetILNS1_3genE8ELNS1_11target_archE1030ELNS1_3gpuE2ELNS1_3repE0EEENS1_60segmented_radix_sort_warp_sort_medium_config_static_selectorELNS0_4arch9wavefront6targetE0EEEvSK_
    .private_segment_fixed_size: 0
    .sgpr_count:     0
    .sgpr_spill_count: 0
    .symbol:         _ZN7rocprim17ROCPRIM_400000_NS6detail17trampoline_kernelINS0_14default_configENS1_36segmented_radix_sort_config_selectorIhlEEZNS1_25segmented_radix_sort_implIS3_Lb0EPKhPhPKlPlN2at6native12_GLOBAL__N_18offset_tEEE10hipError_tPvRmT1_PNSt15iterator_traitsISK_E10value_typeET2_T3_PNSL_ISQ_E10value_typeET4_jRbjT5_SW_jjP12ihipStream_tbEUlT_E0_NS1_11comp_targetILNS1_3genE8ELNS1_11target_archE1030ELNS1_3gpuE2ELNS1_3repE0EEENS1_60segmented_radix_sort_warp_sort_medium_config_static_selectorELNS0_4arch9wavefront6targetE0EEEvSK_.kd
    .uniform_work_group_size: 1
    .uses_dynamic_stack: false
    .vgpr_count:     0
    .vgpr_spill_count: 0
    .wavefront_size: 32
  - .args:
      - .offset:         0
        .size:           88
        .value_kind:     by_value
      - .offset:         88
        .size:           4
        .value_kind:     hidden_block_count_x
      - .offset:         92
        .size:           4
        .value_kind:     hidden_block_count_y
      - .offset:         96
        .size:           4
        .value_kind:     hidden_block_count_z
      - .offset:         100
        .size:           2
        .value_kind:     hidden_group_size_x
      - .offset:         102
        .size:           2
        .value_kind:     hidden_group_size_y
      - .offset:         104
        .size:           2
        .value_kind:     hidden_group_size_z
      - .offset:         106
        .size:           2
        .value_kind:     hidden_remainder_x
      - .offset:         108
        .size:           2
        .value_kind:     hidden_remainder_y
      - .offset:         110
        .size:           2
        .value_kind:     hidden_remainder_z
      - .offset:         128
        .size:           8
        .value_kind:     hidden_global_offset_x
      - .offset:         136
        .size:           8
        .value_kind:     hidden_global_offset_y
      - .offset:         144
        .size:           8
        .value_kind:     hidden_global_offset_z
      - .offset:         152
        .size:           2
        .value_kind:     hidden_grid_dims
      - .offset:         168
        .size:           8
        .value_kind:     hidden_hostcall_buffer
      - .offset:         176
        .size:           8
        .value_kind:     hidden_multigrid_sync_arg
      - .offset:         184
        .size:           8
        .value_kind:     hidden_heap_v1
      - .offset:         192
        .size:           8
        .value_kind:     hidden_default_queue
      - .offset:         200
        .size:           8
        .value_kind:     hidden_completion_action
      - .offset:         288
        .size:           8
        .value_kind:     hidden_queue_ptr
    .group_segment_fixed_size: 9216
    .kernarg_segment_align: 8
    .kernarg_segment_size: 344
    .language:       OpenCL C
    .language_version:
      - 2
      - 0
    .max_flat_workgroup_size: 256
    .name:           _ZN7rocprim17ROCPRIM_400000_NS6detail17trampoline_kernelINS0_14default_configENS1_36segmented_radix_sort_config_selectorIhlEEZNS1_25segmented_radix_sort_implIS3_Lb0EPKhPhPKlPlN2at6native12_GLOBAL__N_18offset_tEEE10hipError_tPvRmT1_PNSt15iterator_traitsISK_E10value_typeET2_T3_PNSL_ISQ_E10value_typeET4_jRbjT5_SW_jjP12ihipStream_tbEUlT_E1_NS1_11comp_targetILNS1_3genE0ELNS1_11target_archE4294967295ELNS1_3gpuE0ELNS1_3repE0EEENS1_59segmented_radix_sort_warp_sort_small_config_static_selectorELNS0_4arch9wavefront6targetE0EEEvSK_
    .private_segment_fixed_size: 0
    .sgpr_count:     42
    .sgpr_spill_count: 0
    .symbol:         _ZN7rocprim17ROCPRIM_400000_NS6detail17trampoline_kernelINS0_14default_configENS1_36segmented_radix_sort_config_selectorIhlEEZNS1_25segmented_radix_sort_implIS3_Lb0EPKhPhPKlPlN2at6native12_GLOBAL__N_18offset_tEEE10hipError_tPvRmT1_PNSt15iterator_traitsISK_E10value_typeET2_T3_PNSL_ISQ_E10value_typeET4_jRbjT5_SW_jjP12ihipStream_tbEUlT_E1_NS1_11comp_targetILNS1_3genE0ELNS1_11target_archE4294967295ELNS1_3gpuE0ELNS1_3repE0EEENS1_59segmented_radix_sort_warp_sort_small_config_static_selectorELNS0_4arch9wavefront6targetE0EEEvSK_.kd
    .uniform_work_group_size: 1
    .uses_dynamic_stack: false
    .vgpr_count:     54
    .vgpr_spill_count: 0
    .wavefront_size: 32
  - .args:
      - .offset:         0
        .size:           88
        .value_kind:     by_value
    .group_segment_fixed_size: 0
    .kernarg_segment_align: 8
    .kernarg_segment_size: 88
    .language:       OpenCL C
    .language_version:
      - 2
      - 0
    .max_flat_workgroup_size: 256
    .name:           _ZN7rocprim17ROCPRIM_400000_NS6detail17trampoline_kernelINS0_14default_configENS1_36segmented_radix_sort_config_selectorIhlEEZNS1_25segmented_radix_sort_implIS3_Lb0EPKhPhPKlPlN2at6native12_GLOBAL__N_18offset_tEEE10hipError_tPvRmT1_PNSt15iterator_traitsISK_E10value_typeET2_T3_PNSL_ISQ_E10value_typeET4_jRbjT5_SW_jjP12ihipStream_tbEUlT_E1_NS1_11comp_targetILNS1_3genE5ELNS1_11target_archE942ELNS1_3gpuE9ELNS1_3repE0EEENS1_59segmented_radix_sort_warp_sort_small_config_static_selectorELNS0_4arch9wavefront6targetE0EEEvSK_
    .private_segment_fixed_size: 0
    .sgpr_count:     0
    .sgpr_spill_count: 0
    .symbol:         _ZN7rocprim17ROCPRIM_400000_NS6detail17trampoline_kernelINS0_14default_configENS1_36segmented_radix_sort_config_selectorIhlEEZNS1_25segmented_radix_sort_implIS3_Lb0EPKhPhPKlPlN2at6native12_GLOBAL__N_18offset_tEEE10hipError_tPvRmT1_PNSt15iterator_traitsISK_E10value_typeET2_T3_PNSL_ISQ_E10value_typeET4_jRbjT5_SW_jjP12ihipStream_tbEUlT_E1_NS1_11comp_targetILNS1_3genE5ELNS1_11target_archE942ELNS1_3gpuE9ELNS1_3repE0EEENS1_59segmented_radix_sort_warp_sort_small_config_static_selectorELNS0_4arch9wavefront6targetE0EEEvSK_.kd
    .uniform_work_group_size: 1
    .uses_dynamic_stack: false
    .vgpr_count:     0
    .vgpr_spill_count: 0
    .wavefront_size: 32
  - .args:
      - .offset:         0
        .size:           88
        .value_kind:     by_value
    .group_segment_fixed_size: 0
    .kernarg_segment_align: 8
    .kernarg_segment_size: 88
    .language:       OpenCL C
    .language_version:
      - 2
      - 0
    .max_flat_workgroup_size: 256
    .name:           _ZN7rocprim17ROCPRIM_400000_NS6detail17trampoline_kernelINS0_14default_configENS1_36segmented_radix_sort_config_selectorIhlEEZNS1_25segmented_radix_sort_implIS3_Lb0EPKhPhPKlPlN2at6native12_GLOBAL__N_18offset_tEEE10hipError_tPvRmT1_PNSt15iterator_traitsISK_E10value_typeET2_T3_PNSL_ISQ_E10value_typeET4_jRbjT5_SW_jjP12ihipStream_tbEUlT_E1_NS1_11comp_targetILNS1_3genE4ELNS1_11target_archE910ELNS1_3gpuE8ELNS1_3repE0EEENS1_59segmented_radix_sort_warp_sort_small_config_static_selectorELNS0_4arch9wavefront6targetE0EEEvSK_
    .private_segment_fixed_size: 0
    .sgpr_count:     0
    .sgpr_spill_count: 0
    .symbol:         _ZN7rocprim17ROCPRIM_400000_NS6detail17trampoline_kernelINS0_14default_configENS1_36segmented_radix_sort_config_selectorIhlEEZNS1_25segmented_radix_sort_implIS3_Lb0EPKhPhPKlPlN2at6native12_GLOBAL__N_18offset_tEEE10hipError_tPvRmT1_PNSt15iterator_traitsISK_E10value_typeET2_T3_PNSL_ISQ_E10value_typeET4_jRbjT5_SW_jjP12ihipStream_tbEUlT_E1_NS1_11comp_targetILNS1_3genE4ELNS1_11target_archE910ELNS1_3gpuE8ELNS1_3repE0EEENS1_59segmented_radix_sort_warp_sort_small_config_static_selectorELNS0_4arch9wavefront6targetE0EEEvSK_.kd
    .uniform_work_group_size: 1
    .uses_dynamic_stack: false
    .vgpr_count:     0
    .vgpr_spill_count: 0
    .wavefront_size: 32
  - .args:
      - .offset:         0
        .size:           88
        .value_kind:     by_value
    .group_segment_fixed_size: 0
    .kernarg_segment_align: 8
    .kernarg_segment_size: 88
    .language:       OpenCL C
    .language_version:
      - 2
      - 0
    .max_flat_workgroup_size: 256
    .name:           _ZN7rocprim17ROCPRIM_400000_NS6detail17trampoline_kernelINS0_14default_configENS1_36segmented_radix_sort_config_selectorIhlEEZNS1_25segmented_radix_sort_implIS3_Lb0EPKhPhPKlPlN2at6native12_GLOBAL__N_18offset_tEEE10hipError_tPvRmT1_PNSt15iterator_traitsISK_E10value_typeET2_T3_PNSL_ISQ_E10value_typeET4_jRbjT5_SW_jjP12ihipStream_tbEUlT_E1_NS1_11comp_targetILNS1_3genE3ELNS1_11target_archE908ELNS1_3gpuE7ELNS1_3repE0EEENS1_59segmented_radix_sort_warp_sort_small_config_static_selectorELNS0_4arch9wavefront6targetE0EEEvSK_
    .private_segment_fixed_size: 0
    .sgpr_count:     0
    .sgpr_spill_count: 0
    .symbol:         _ZN7rocprim17ROCPRIM_400000_NS6detail17trampoline_kernelINS0_14default_configENS1_36segmented_radix_sort_config_selectorIhlEEZNS1_25segmented_radix_sort_implIS3_Lb0EPKhPhPKlPlN2at6native12_GLOBAL__N_18offset_tEEE10hipError_tPvRmT1_PNSt15iterator_traitsISK_E10value_typeET2_T3_PNSL_ISQ_E10value_typeET4_jRbjT5_SW_jjP12ihipStream_tbEUlT_E1_NS1_11comp_targetILNS1_3genE3ELNS1_11target_archE908ELNS1_3gpuE7ELNS1_3repE0EEENS1_59segmented_radix_sort_warp_sort_small_config_static_selectorELNS0_4arch9wavefront6targetE0EEEvSK_.kd
    .uniform_work_group_size: 1
    .uses_dynamic_stack: false
    .vgpr_count:     0
    .vgpr_spill_count: 0
    .wavefront_size: 32
  - .args:
      - .offset:         0
        .size:           88
        .value_kind:     by_value
    .group_segment_fixed_size: 0
    .kernarg_segment_align: 8
    .kernarg_segment_size: 88
    .language:       OpenCL C
    .language_version:
      - 2
      - 0
    .max_flat_workgroup_size: 256
    .name:           _ZN7rocprim17ROCPRIM_400000_NS6detail17trampoline_kernelINS0_14default_configENS1_36segmented_radix_sort_config_selectorIhlEEZNS1_25segmented_radix_sort_implIS3_Lb0EPKhPhPKlPlN2at6native12_GLOBAL__N_18offset_tEEE10hipError_tPvRmT1_PNSt15iterator_traitsISK_E10value_typeET2_T3_PNSL_ISQ_E10value_typeET4_jRbjT5_SW_jjP12ihipStream_tbEUlT_E1_NS1_11comp_targetILNS1_3genE2ELNS1_11target_archE906ELNS1_3gpuE6ELNS1_3repE0EEENS1_59segmented_radix_sort_warp_sort_small_config_static_selectorELNS0_4arch9wavefront6targetE0EEEvSK_
    .private_segment_fixed_size: 0
    .sgpr_count:     0
    .sgpr_spill_count: 0
    .symbol:         _ZN7rocprim17ROCPRIM_400000_NS6detail17trampoline_kernelINS0_14default_configENS1_36segmented_radix_sort_config_selectorIhlEEZNS1_25segmented_radix_sort_implIS3_Lb0EPKhPhPKlPlN2at6native12_GLOBAL__N_18offset_tEEE10hipError_tPvRmT1_PNSt15iterator_traitsISK_E10value_typeET2_T3_PNSL_ISQ_E10value_typeET4_jRbjT5_SW_jjP12ihipStream_tbEUlT_E1_NS1_11comp_targetILNS1_3genE2ELNS1_11target_archE906ELNS1_3gpuE6ELNS1_3repE0EEENS1_59segmented_radix_sort_warp_sort_small_config_static_selectorELNS0_4arch9wavefront6targetE0EEEvSK_.kd
    .uniform_work_group_size: 1
    .uses_dynamic_stack: false
    .vgpr_count:     0
    .vgpr_spill_count: 0
    .wavefront_size: 32
  - .args:
      - .offset:         0
        .size:           88
        .value_kind:     by_value
    .group_segment_fixed_size: 0
    .kernarg_segment_align: 8
    .kernarg_segment_size: 88
    .language:       OpenCL C
    .language_version:
      - 2
      - 0
    .max_flat_workgroup_size: 256
    .name:           _ZN7rocprim17ROCPRIM_400000_NS6detail17trampoline_kernelINS0_14default_configENS1_36segmented_radix_sort_config_selectorIhlEEZNS1_25segmented_radix_sort_implIS3_Lb0EPKhPhPKlPlN2at6native12_GLOBAL__N_18offset_tEEE10hipError_tPvRmT1_PNSt15iterator_traitsISK_E10value_typeET2_T3_PNSL_ISQ_E10value_typeET4_jRbjT5_SW_jjP12ihipStream_tbEUlT_E1_NS1_11comp_targetILNS1_3genE10ELNS1_11target_archE1201ELNS1_3gpuE5ELNS1_3repE0EEENS1_59segmented_radix_sort_warp_sort_small_config_static_selectorELNS0_4arch9wavefront6targetE0EEEvSK_
    .private_segment_fixed_size: 0
    .sgpr_count:     0
    .sgpr_spill_count: 0
    .symbol:         _ZN7rocprim17ROCPRIM_400000_NS6detail17trampoline_kernelINS0_14default_configENS1_36segmented_radix_sort_config_selectorIhlEEZNS1_25segmented_radix_sort_implIS3_Lb0EPKhPhPKlPlN2at6native12_GLOBAL__N_18offset_tEEE10hipError_tPvRmT1_PNSt15iterator_traitsISK_E10value_typeET2_T3_PNSL_ISQ_E10value_typeET4_jRbjT5_SW_jjP12ihipStream_tbEUlT_E1_NS1_11comp_targetILNS1_3genE10ELNS1_11target_archE1201ELNS1_3gpuE5ELNS1_3repE0EEENS1_59segmented_radix_sort_warp_sort_small_config_static_selectorELNS0_4arch9wavefront6targetE0EEEvSK_.kd
    .uniform_work_group_size: 1
    .uses_dynamic_stack: false
    .vgpr_count:     0
    .vgpr_spill_count: 0
    .wavefront_size: 32
  - .args:
      - .offset:         0
        .size:           88
        .value_kind:     by_value
    .group_segment_fixed_size: 0
    .kernarg_segment_align: 8
    .kernarg_segment_size: 88
    .language:       OpenCL C
    .language_version:
      - 2
      - 0
    .max_flat_workgroup_size: 256
    .name:           _ZN7rocprim17ROCPRIM_400000_NS6detail17trampoline_kernelINS0_14default_configENS1_36segmented_radix_sort_config_selectorIhlEEZNS1_25segmented_radix_sort_implIS3_Lb0EPKhPhPKlPlN2at6native12_GLOBAL__N_18offset_tEEE10hipError_tPvRmT1_PNSt15iterator_traitsISK_E10value_typeET2_T3_PNSL_ISQ_E10value_typeET4_jRbjT5_SW_jjP12ihipStream_tbEUlT_E1_NS1_11comp_targetILNS1_3genE10ELNS1_11target_archE1200ELNS1_3gpuE4ELNS1_3repE0EEENS1_59segmented_radix_sort_warp_sort_small_config_static_selectorELNS0_4arch9wavefront6targetE0EEEvSK_
    .private_segment_fixed_size: 0
    .sgpr_count:     0
    .sgpr_spill_count: 0
    .symbol:         _ZN7rocprim17ROCPRIM_400000_NS6detail17trampoline_kernelINS0_14default_configENS1_36segmented_radix_sort_config_selectorIhlEEZNS1_25segmented_radix_sort_implIS3_Lb0EPKhPhPKlPlN2at6native12_GLOBAL__N_18offset_tEEE10hipError_tPvRmT1_PNSt15iterator_traitsISK_E10value_typeET2_T3_PNSL_ISQ_E10value_typeET4_jRbjT5_SW_jjP12ihipStream_tbEUlT_E1_NS1_11comp_targetILNS1_3genE10ELNS1_11target_archE1200ELNS1_3gpuE4ELNS1_3repE0EEENS1_59segmented_radix_sort_warp_sort_small_config_static_selectorELNS0_4arch9wavefront6targetE0EEEvSK_.kd
    .uniform_work_group_size: 1
    .uses_dynamic_stack: false
    .vgpr_count:     0
    .vgpr_spill_count: 0
    .wavefront_size: 32
  - .args:
      - .offset:         0
        .size:           88
        .value_kind:     by_value
    .group_segment_fixed_size: 0
    .kernarg_segment_align: 8
    .kernarg_segment_size: 88
    .language:       OpenCL C
    .language_version:
      - 2
      - 0
    .max_flat_workgroup_size: 256
    .name:           _ZN7rocprim17ROCPRIM_400000_NS6detail17trampoline_kernelINS0_14default_configENS1_36segmented_radix_sort_config_selectorIhlEEZNS1_25segmented_radix_sort_implIS3_Lb0EPKhPhPKlPlN2at6native12_GLOBAL__N_18offset_tEEE10hipError_tPvRmT1_PNSt15iterator_traitsISK_E10value_typeET2_T3_PNSL_ISQ_E10value_typeET4_jRbjT5_SW_jjP12ihipStream_tbEUlT_E1_NS1_11comp_targetILNS1_3genE9ELNS1_11target_archE1100ELNS1_3gpuE3ELNS1_3repE0EEENS1_59segmented_radix_sort_warp_sort_small_config_static_selectorELNS0_4arch9wavefront6targetE0EEEvSK_
    .private_segment_fixed_size: 0
    .sgpr_count:     0
    .sgpr_spill_count: 0
    .symbol:         _ZN7rocprim17ROCPRIM_400000_NS6detail17trampoline_kernelINS0_14default_configENS1_36segmented_radix_sort_config_selectorIhlEEZNS1_25segmented_radix_sort_implIS3_Lb0EPKhPhPKlPlN2at6native12_GLOBAL__N_18offset_tEEE10hipError_tPvRmT1_PNSt15iterator_traitsISK_E10value_typeET2_T3_PNSL_ISQ_E10value_typeET4_jRbjT5_SW_jjP12ihipStream_tbEUlT_E1_NS1_11comp_targetILNS1_3genE9ELNS1_11target_archE1100ELNS1_3gpuE3ELNS1_3repE0EEENS1_59segmented_radix_sort_warp_sort_small_config_static_selectorELNS0_4arch9wavefront6targetE0EEEvSK_.kd
    .uniform_work_group_size: 1
    .uses_dynamic_stack: false
    .vgpr_count:     0
    .vgpr_spill_count: 0
    .wavefront_size: 32
  - .args:
      - .offset:         0
        .size:           88
        .value_kind:     by_value
    .group_segment_fixed_size: 0
    .kernarg_segment_align: 8
    .kernarg_segment_size: 88
    .language:       OpenCL C
    .language_version:
      - 2
      - 0
    .max_flat_workgroup_size: 256
    .name:           _ZN7rocprim17ROCPRIM_400000_NS6detail17trampoline_kernelINS0_14default_configENS1_36segmented_radix_sort_config_selectorIhlEEZNS1_25segmented_radix_sort_implIS3_Lb0EPKhPhPKlPlN2at6native12_GLOBAL__N_18offset_tEEE10hipError_tPvRmT1_PNSt15iterator_traitsISK_E10value_typeET2_T3_PNSL_ISQ_E10value_typeET4_jRbjT5_SW_jjP12ihipStream_tbEUlT_E1_NS1_11comp_targetILNS1_3genE8ELNS1_11target_archE1030ELNS1_3gpuE2ELNS1_3repE0EEENS1_59segmented_radix_sort_warp_sort_small_config_static_selectorELNS0_4arch9wavefront6targetE0EEEvSK_
    .private_segment_fixed_size: 0
    .sgpr_count:     0
    .sgpr_spill_count: 0
    .symbol:         _ZN7rocprim17ROCPRIM_400000_NS6detail17trampoline_kernelINS0_14default_configENS1_36segmented_radix_sort_config_selectorIhlEEZNS1_25segmented_radix_sort_implIS3_Lb0EPKhPhPKlPlN2at6native12_GLOBAL__N_18offset_tEEE10hipError_tPvRmT1_PNSt15iterator_traitsISK_E10value_typeET2_T3_PNSL_ISQ_E10value_typeET4_jRbjT5_SW_jjP12ihipStream_tbEUlT_E1_NS1_11comp_targetILNS1_3genE8ELNS1_11target_archE1030ELNS1_3gpuE2ELNS1_3repE0EEENS1_59segmented_radix_sort_warp_sort_small_config_static_selectorELNS0_4arch9wavefront6targetE0EEEvSK_.kd
    .uniform_work_group_size: 1
    .uses_dynamic_stack: false
    .vgpr_count:     0
    .vgpr_spill_count: 0
    .wavefront_size: 32
  - .args:
      - .offset:         0
        .size:           80
        .value_kind:     by_value
      - .offset:         80
        .size:           4
        .value_kind:     hidden_block_count_x
      - .offset:         84
        .size:           4
        .value_kind:     hidden_block_count_y
      - .offset:         88
        .size:           4
        .value_kind:     hidden_block_count_z
      - .offset:         92
        .size:           2
        .value_kind:     hidden_group_size_x
      - .offset:         94
        .size:           2
        .value_kind:     hidden_group_size_y
      - .offset:         96
        .size:           2
        .value_kind:     hidden_group_size_z
      - .offset:         98
        .size:           2
        .value_kind:     hidden_remainder_x
      - .offset:         100
        .size:           2
        .value_kind:     hidden_remainder_y
      - .offset:         102
        .size:           2
        .value_kind:     hidden_remainder_z
      - .offset:         120
        .size:           8
        .value_kind:     hidden_global_offset_x
      - .offset:         128
        .size:           8
        .value_kind:     hidden_global_offset_y
      - .offset:         136
        .size:           8
        .value_kind:     hidden_global_offset_z
      - .offset:         144
        .size:           2
        .value_kind:     hidden_grid_dims
      - .offset:         160
        .size:           8
        .value_kind:     hidden_hostcall_buffer
      - .offset:         168
        .size:           8
        .value_kind:     hidden_multigrid_sync_arg
      - .offset:         176
        .size:           8
        .value_kind:     hidden_heap_v1
      - .offset:         184
        .size:           8
        .value_kind:     hidden_default_queue
      - .offset:         192
        .size:           8
        .value_kind:     hidden_completion_action
      - .offset:         280
        .size:           8
        .value_kind:     hidden_queue_ptr
    .group_segment_fixed_size: 35344
    .kernarg_segment_align: 8
    .kernarg_segment_size: 336
    .language:       OpenCL C
    .language_version:
      - 2
      - 0
    .max_flat_workgroup_size: 256
    .name:           _ZN7rocprim17ROCPRIM_400000_NS6detail17trampoline_kernelINS0_14default_configENS1_36segmented_radix_sort_config_selectorIhlEEZNS1_25segmented_radix_sort_implIS3_Lb0EPKhPhPKlPlN2at6native12_GLOBAL__N_18offset_tEEE10hipError_tPvRmT1_PNSt15iterator_traitsISK_E10value_typeET2_T3_PNSL_ISQ_E10value_typeET4_jRbjT5_SW_jjP12ihipStream_tbEUlT_E2_NS1_11comp_targetILNS1_3genE0ELNS1_11target_archE4294967295ELNS1_3gpuE0ELNS1_3repE0EEENS1_30default_config_static_selectorELNS0_4arch9wavefront6targetE0EEEvSK_
    .private_segment_fixed_size: 0
    .sgpr_count:     63
    .sgpr_spill_count: 0
    .symbol:         _ZN7rocprim17ROCPRIM_400000_NS6detail17trampoline_kernelINS0_14default_configENS1_36segmented_radix_sort_config_selectorIhlEEZNS1_25segmented_radix_sort_implIS3_Lb0EPKhPhPKlPlN2at6native12_GLOBAL__N_18offset_tEEE10hipError_tPvRmT1_PNSt15iterator_traitsISK_E10value_typeET2_T3_PNSL_ISQ_E10value_typeET4_jRbjT5_SW_jjP12ihipStream_tbEUlT_E2_NS1_11comp_targetILNS1_3genE0ELNS1_11target_archE4294967295ELNS1_3gpuE0ELNS1_3repE0EEENS1_30default_config_static_selectorELNS0_4arch9wavefront6targetE0EEEvSK_.kd
    .uniform_work_group_size: 1
    .uses_dynamic_stack: false
    .vgpr_count:     319
    .vgpr_spill_count: 0
    .wavefront_size: 32
  - .args:
      - .offset:         0
        .size:           80
        .value_kind:     by_value
    .group_segment_fixed_size: 0
    .kernarg_segment_align: 8
    .kernarg_segment_size: 80
    .language:       OpenCL C
    .language_version:
      - 2
      - 0
    .max_flat_workgroup_size: 256
    .name:           _ZN7rocprim17ROCPRIM_400000_NS6detail17trampoline_kernelINS0_14default_configENS1_36segmented_radix_sort_config_selectorIhlEEZNS1_25segmented_radix_sort_implIS3_Lb0EPKhPhPKlPlN2at6native12_GLOBAL__N_18offset_tEEE10hipError_tPvRmT1_PNSt15iterator_traitsISK_E10value_typeET2_T3_PNSL_ISQ_E10value_typeET4_jRbjT5_SW_jjP12ihipStream_tbEUlT_E2_NS1_11comp_targetILNS1_3genE5ELNS1_11target_archE942ELNS1_3gpuE9ELNS1_3repE0EEENS1_30default_config_static_selectorELNS0_4arch9wavefront6targetE0EEEvSK_
    .private_segment_fixed_size: 0
    .sgpr_count:     0
    .sgpr_spill_count: 0
    .symbol:         _ZN7rocprim17ROCPRIM_400000_NS6detail17trampoline_kernelINS0_14default_configENS1_36segmented_radix_sort_config_selectorIhlEEZNS1_25segmented_radix_sort_implIS3_Lb0EPKhPhPKlPlN2at6native12_GLOBAL__N_18offset_tEEE10hipError_tPvRmT1_PNSt15iterator_traitsISK_E10value_typeET2_T3_PNSL_ISQ_E10value_typeET4_jRbjT5_SW_jjP12ihipStream_tbEUlT_E2_NS1_11comp_targetILNS1_3genE5ELNS1_11target_archE942ELNS1_3gpuE9ELNS1_3repE0EEENS1_30default_config_static_selectorELNS0_4arch9wavefront6targetE0EEEvSK_.kd
    .uniform_work_group_size: 1
    .uses_dynamic_stack: false
    .vgpr_count:     0
    .vgpr_spill_count: 0
    .wavefront_size: 32
  - .args:
      - .offset:         0
        .size:           80
        .value_kind:     by_value
    .group_segment_fixed_size: 0
    .kernarg_segment_align: 8
    .kernarg_segment_size: 80
    .language:       OpenCL C
    .language_version:
      - 2
      - 0
    .max_flat_workgroup_size: 256
    .name:           _ZN7rocprim17ROCPRIM_400000_NS6detail17trampoline_kernelINS0_14default_configENS1_36segmented_radix_sort_config_selectorIhlEEZNS1_25segmented_radix_sort_implIS3_Lb0EPKhPhPKlPlN2at6native12_GLOBAL__N_18offset_tEEE10hipError_tPvRmT1_PNSt15iterator_traitsISK_E10value_typeET2_T3_PNSL_ISQ_E10value_typeET4_jRbjT5_SW_jjP12ihipStream_tbEUlT_E2_NS1_11comp_targetILNS1_3genE4ELNS1_11target_archE910ELNS1_3gpuE8ELNS1_3repE0EEENS1_30default_config_static_selectorELNS0_4arch9wavefront6targetE0EEEvSK_
    .private_segment_fixed_size: 0
    .sgpr_count:     0
    .sgpr_spill_count: 0
    .symbol:         _ZN7rocprim17ROCPRIM_400000_NS6detail17trampoline_kernelINS0_14default_configENS1_36segmented_radix_sort_config_selectorIhlEEZNS1_25segmented_radix_sort_implIS3_Lb0EPKhPhPKlPlN2at6native12_GLOBAL__N_18offset_tEEE10hipError_tPvRmT1_PNSt15iterator_traitsISK_E10value_typeET2_T3_PNSL_ISQ_E10value_typeET4_jRbjT5_SW_jjP12ihipStream_tbEUlT_E2_NS1_11comp_targetILNS1_3genE4ELNS1_11target_archE910ELNS1_3gpuE8ELNS1_3repE0EEENS1_30default_config_static_selectorELNS0_4arch9wavefront6targetE0EEEvSK_.kd
    .uniform_work_group_size: 1
    .uses_dynamic_stack: false
    .vgpr_count:     0
    .vgpr_spill_count: 0
    .wavefront_size: 32
  - .args:
      - .offset:         0
        .size:           80
        .value_kind:     by_value
    .group_segment_fixed_size: 0
    .kernarg_segment_align: 8
    .kernarg_segment_size: 80
    .language:       OpenCL C
    .language_version:
      - 2
      - 0
    .max_flat_workgroup_size: 256
    .name:           _ZN7rocprim17ROCPRIM_400000_NS6detail17trampoline_kernelINS0_14default_configENS1_36segmented_radix_sort_config_selectorIhlEEZNS1_25segmented_radix_sort_implIS3_Lb0EPKhPhPKlPlN2at6native12_GLOBAL__N_18offset_tEEE10hipError_tPvRmT1_PNSt15iterator_traitsISK_E10value_typeET2_T3_PNSL_ISQ_E10value_typeET4_jRbjT5_SW_jjP12ihipStream_tbEUlT_E2_NS1_11comp_targetILNS1_3genE3ELNS1_11target_archE908ELNS1_3gpuE7ELNS1_3repE0EEENS1_30default_config_static_selectorELNS0_4arch9wavefront6targetE0EEEvSK_
    .private_segment_fixed_size: 0
    .sgpr_count:     0
    .sgpr_spill_count: 0
    .symbol:         _ZN7rocprim17ROCPRIM_400000_NS6detail17trampoline_kernelINS0_14default_configENS1_36segmented_radix_sort_config_selectorIhlEEZNS1_25segmented_radix_sort_implIS3_Lb0EPKhPhPKlPlN2at6native12_GLOBAL__N_18offset_tEEE10hipError_tPvRmT1_PNSt15iterator_traitsISK_E10value_typeET2_T3_PNSL_ISQ_E10value_typeET4_jRbjT5_SW_jjP12ihipStream_tbEUlT_E2_NS1_11comp_targetILNS1_3genE3ELNS1_11target_archE908ELNS1_3gpuE7ELNS1_3repE0EEENS1_30default_config_static_selectorELNS0_4arch9wavefront6targetE0EEEvSK_.kd
    .uniform_work_group_size: 1
    .uses_dynamic_stack: false
    .vgpr_count:     0
    .vgpr_spill_count: 0
    .wavefront_size: 32
  - .args:
      - .offset:         0
        .size:           80
        .value_kind:     by_value
    .group_segment_fixed_size: 0
    .kernarg_segment_align: 8
    .kernarg_segment_size: 80
    .language:       OpenCL C
    .language_version:
      - 2
      - 0
    .max_flat_workgroup_size: 256
    .name:           _ZN7rocprim17ROCPRIM_400000_NS6detail17trampoline_kernelINS0_14default_configENS1_36segmented_radix_sort_config_selectorIhlEEZNS1_25segmented_radix_sort_implIS3_Lb0EPKhPhPKlPlN2at6native12_GLOBAL__N_18offset_tEEE10hipError_tPvRmT1_PNSt15iterator_traitsISK_E10value_typeET2_T3_PNSL_ISQ_E10value_typeET4_jRbjT5_SW_jjP12ihipStream_tbEUlT_E2_NS1_11comp_targetILNS1_3genE2ELNS1_11target_archE906ELNS1_3gpuE6ELNS1_3repE0EEENS1_30default_config_static_selectorELNS0_4arch9wavefront6targetE0EEEvSK_
    .private_segment_fixed_size: 0
    .sgpr_count:     0
    .sgpr_spill_count: 0
    .symbol:         _ZN7rocprim17ROCPRIM_400000_NS6detail17trampoline_kernelINS0_14default_configENS1_36segmented_radix_sort_config_selectorIhlEEZNS1_25segmented_radix_sort_implIS3_Lb0EPKhPhPKlPlN2at6native12_GLOBAL__N_18offset_tEEE10hipError_tPvRmT1_PNSt15iterator_traitsISK_E10value_typeET2_T3_PNSL_ISQ_E10value_typeET4_jRbjT5_SW_jjP12ihipStream_tbEUlT_E2_NS1_11comp_targetILNS1_3genE2ELNS1_11target_archE906ELNS1_3gpuE6ELNS1_3repE0EEENS1_30default_config_static_selectorELNS0_4arch9wavefront6targetE0EEEvSK_.kd
    .uniform_work_group_size: 1
    .uses_dynamic_stack: false
    .vgpr_count:     0
    .vgpr_spill_count: 0
    .wavefront_size: 32
  - .args:
      - .offset:         0
        .size:           80
        .value_kind:     by_value
    .group_segment_fixed_size: 0
    .kernarg_segment_align: 8
    .kernarg_segment_size: 80
    .language:       OpenCL C
    .language_version:
      - 2
      - 0
    .max_flat_workgroup_size: 256
    .name:           _ZN7rocprim17ROCPRIM_400000_NS6detail17trampoline_kernelINS0_14default_configENS1_36segmented_radix_sort_config_selectorIhlEEZNS1_25segmented_radix_sort_implIS3_Lb0EPKhPhPKlPlN2at6native12_GLOBAL__N_18offset_tEEE10hipError_tPvRmT1_PNSt15iterator_traitsISK_E10value_typeET2_T3_PNSL_ISQ_E10value_typeET4_jRbjT5_SW_jjP12ihipStream_tbEUlT_E2_NS1_11comp_targetILNS1_3genE10ELNS1_11target_archE1201ELNS1_3gpuE5ELNS1_3repE0EEENS1_30default_config_static_selectorELNS0_4arch9wavefront6targetE0EEEvSK_
    .private_segment_fixed_size: 0
    .sgpr_count:     0
    .sgpr_spill_count: 0
    .symbol:         _ZN7rocprim17ROCPRIM_400000_NS6detail17trampoline_kernelINS0_14default_configENS1_36segmented_radix_sort_config_selectorIhlEEZNS1_25segmented_radix_sort_implIS3_Lb0EPKhPhPKlPlN2at6native12_GLOBAL__N_18offset_tEEE10hipError_tPvRmT1_PNSt15iterator_traitsISK_E10value_typeET2_T3_PNSL_ISQ_E10value_typeET4_jRbjT5_SW_jjP12ihipStream_tbEUlT_E2_NS1_11comp_targetILNS1_3genE10ELNS1_11target_archE1201ELNS1_3gpuE5ELNS1_3repE0EEENS1_30default_config_static_selectorELNS0_4arch9wavefront6targetE0EEEvSK_.kd
    .uniform_work_group_size: 1
    .uses_dynamic_stack: false
    .vgpr_count:     0
    .vgpr_spill_count: 0
    .wavefront_size: 32
  - .args:
      - .offset:         0
        .size:           80
        .value_kind:     by_value
    .group_segment_fixed_size: 0
    .kernarg_segment_align: 8
    .kernarg_segment_size: 80
    .language:       OpenCL C
    .language_version:
      - 2
      - 0
    .max_flat_workgroup_size: 128
    .name:           _ZN7rocprim17ROCPRIM_400000_NS6detail17trampoline_kernelINS0_14default_configENS1_36segmented_radix_sort_config_selectorIhlEEZNS1_25segmented_radix_sort_implIS3_Lb0EPKhPhPKlPlN2at6native12_GLOBAL__N_18offset_tEEE10hipError_tPvRmT1_PNSt15iterator_traitsISK_E10value_typeET2_T3_PNSL_ISQ_E10value_typeET4_jRbjT5_SW_jjP12ihipStream_tbEUlT_E2_NS1_11comp_targetILNS1_3genE10ELNS1_11target_archE1200ELNS1_3gpuE4ELNS1_3repE0EEENS1_30default_config_static_selectorELNS0_4arch9wavefront6targetE0EEEvSK_
    .private_segment_fixed_size: 0
    .sgpr_count:     0
    .sgpr_spill_count: 0
    .symbol:         _ZN7rocprim17ROCPRIM_400000_NS6detail17trampoline_kernelINS0_14default_configENS1_36segmented_radix_sort_config_selectorIhlEEZNS1_25segmented_radix_sort_implIS3_Lb0EPKhPhPKlPlN2at6native12_GLOBAL__N_18offset_tEEE10hipError_tPvRmT1_PNSt15iterator_traitsISK_E10value_typeET2_T3_PNSL_ISQ_E10value_typeET4_jRbjT5_SW_jjP12ihipStream_tbEUlT_E2_NS1_11comp_targetILNS1_3genE10ELNS1_11target_archE1200ELNS1_3gpuE4ELNS1_3repE0EEENS1_30default_config_static_selectorELNS0_4arch9wavefront6targetE0EEEvSK_.kd
    .uniform_work_group_size: 1
    .uses_dynamic_stack: false
    .vgpr_count:     0
    .vgpr_spill_count: 0
    .wavefront_size: 32
  - .args:
      - .offset:         0
        .size:           80
        .value_kind:     by_value
    .group_segment_fixed_size: 0
    .kernarg_segment_align: 8
    .kernarg_segment_size: 80
    .language:       OpenCL C
    .language_version:
      - 2
      - 0
    .max_flat_workgroup_size: 256
    .name:           _ZN7rocprim17ROCPRIM_400000_NS6detail17trampoline_kernelINS0_14default_configENS1_36segmented_radix_sort_config_selectorIhlEEZNS1_25segmented_radix_sort_implIS3_Lb0EPKhPhPKlPlN2at6native12_GLOBAL__N_18offset_tEEE10hipError_tPvRmT1_PNSt15iterator_traitsISK_E10value_typeET2_T3_PNSL_ISQ_E10value_typeET4_jRbjT5_SW_jjP12ihipStream_tbEUlT_E2_NS1_11comp_targetILNS1_3genE9ELNS1_11target_archE1100ELNS1_3gpuE3ELNS1_3repE0EEENS1_30default_config_static_selectorELNS0_4arch9wavefront6targetE0EEEvSK_
    .private_segment_fixed_size: 0
    .sgpr_count:     0
    .sgpr_spill_count: 0
    .symbol:         _ZN7rocprim17ROCPRIM_400000_NS6detail17trampoline_kernelINS0_14default_configENS1_36segmented_radix_sort_config_selectorIhlEEZNS1_25segmented_radix_sort_implIS3_Lb0EPKhPhPKlPlN2at6native12_GLOBAL__N_18offset_tEEE10hipError_tPvRmT1_PNSt15iterator_traitsISK_E10value_typeET2_T3_PNSL_ISQ_E10value_typeET4_jRbjT5_SW_jjP12ihipStream_tbEUlT_E2_NS1_11comp_targetILNS1_3genE9ELNS1_11target_archE1100ELNS1_3gpuE3ELNS1_3repE0EEENS1_30default_config_static_selectorELNS0_4arch9wavefront6targetE0EEEvSK_.kd
    .uniform_work_group_size: 1
    .uses_dynamic_stack: false
    .vgpr_count:     0
    .vgpr_spill_count: 0
    .wavefront_size: 32
  - .args:
      - .offset:         0
        .size:           80
        .value_kind:     by_value
    .group_segment_fixed_size: 0
    .kernarg_segment_align: 8
    .kernarg_segment_size: 80
    .language:       OpenCL C
    .language_version:
      - 2
      - 0
    .max_flat_workgroup_size: 256
    .name:           _ZN7rocprim17ROCPRIM_400000_NS6detail17trampoline_kernelINS0_14default_configENS1_36segmented_radix_sort_config_selectorIhlEEZNS1_25segmented_radix_sort_implIS3_Lb0EPKhPhPKlPlN2at6native12_GLOBAL__N_18offset_tEEE10hipError_tPvRmT1_PNSt15iterator_traitsISK_E10value_typeET2_T3_PNSL_ISQ_E10value_typeET4_jRbjT5_SW_jjP12ihipStream_tbEUlT_E2_NS1_11comp_targetILNS1_3genE8ELNS1_11target_archE1030ELNS1_3gpuE2ELNS1_3repE0EEENS1_30default_config_static_selectorELNS0_4arch9wavefront6targetE0EEEvSK_
    .private_segment_fixed_size: 0
    .sgpr_count:     0
    .sgpr_spill_count: 0
    .symbol:         _ZN7rocprim17ROCPRIM_400000_NS6detail17trampoline_kernelINS0_14default_configENS1_36segmented_radix_sort_config_selectorIhlEEZNS1_25segmented_radix_sort_implIS3_Lb0EPKhPhPKlPlN2at6native12_GLOBAL__N_18offset_tEEE10hipError_tPvRmT1_PNSt15iterator_traitsISK_E10value_typeET2_T3_PNSL_ISQ_E10value_typeET4_jRbjT5_SW_jjP12ihipStream_tbEUlT_E2_NS1_11comp_targetILNS1_3genE8ELNS1_11target_archE1030ELNS1_3gpuE2ELNS1_3repE0EEENS1_30default_config_static_selectorELNS0_4arch9wavefront6targetE0EEEvSK_.kd
    .uniform_work_group_size: 1
    .uses_dynamic_stack: false
    .vgpr_count:     0
    .vgpr_spill_count: 0
    .wavefront_size: 32
  - .args:
      - .address_space:  global
        .offset:         0
        .size:           8
        .value_kind:     global_buffer
      - .address_space:  global
        .offset:         8
        .size:           8
        .value_kind:     global_buffer
      - .address_space:  global
        .offset:         16
        .size:           8
        .value_kind:     global_buffer
      - .address_space:  global
        .offset:         24
        .size:           8
        .value_kind:     global_buffer
      - .offset:         32
        .size:           4
        .value_kind:     by_value
      - .offset:         36
        .size:           4
        .value_kind:     by_value
      - .offset:         40
        .size:           4
        .value_kind:     hidden_block_count_x
      - .offset:         44
        .size:           4
        .value_kind:     hidden_block_count_y
      - .offset:         48
        .size:           4
        .value_kind:     hidden_block_count_z
      - .offset:         52
        .size:           2
        .value_kind:     hidden_group_size_x
      - .offset:         54
        .size:           2
        .value_kind:     hidden_group_size_y
      - .offset:         56
        .size:           2
        .value_kind:     hidden_group_size_z
      - .offset:         58
        .size:           2
        .value_kind:     hidden_remainder_x
      - .offset:         60
        .size:           2
        .value_kind:     hidden_remainder_y
      - .offset:         62
        .size:           2
        .value_kind:     hidden_remainder_z
      - .offset:         80
        .size:           8
        .value_kind:     hidden_global_offset_x
      - .offset:         88
        .size:           8
        .value_kind:     hidden_global_offset_y
      - .offset:         96
        .size:           8
        .value_kind:     hidden_global_offset_z
      - .offset:         104
        .size:           2
        .value_kind:     hidden_grid_dims
    .group_segment_fixed_size: 0
    .kernarg_segment_align: 8
    .kernarg_segment_size: 296
    .language:       OpenCL C
    .language_version:
      - 2
      - 0
    .max_flat_workgroup_size: 1024
    .name:           _ZN2at6native12_GLOBAL__N_123sort_postprocess_kernelIaEEvPKT_PS3_PlPK15HIP_vector_typeIiLj2EEii
    .private_segment_fixed_size: 0
    .sgpr_count:     24
    .sgpr_spill_count: 0
    .symbol:         _ZN2at6native12_GLOBAL__N_123sort_postprocess_kernelIaEEvPKT_PS3_PlPK15HIP_vector_typeIiLj2EEii.kd
    .uniform_work_group_size: 1
    .uses_dynamic_stack: false
    .vgpr_count:     16
    .vgpr_spill_count: 0
    .wavefront_size: 32
  - .args:
      - .offset:         0
        .size:           176
        .value_kind:     by_value
    .group_segment_fixed_size: 13328
    .kernarg_segment_align: 8
    .kernarg_segment_size: 176
    .language:       OpenCL C
    .language_version:
      - 2
      - 0
    .max_flat_workgroup_size: 256
    .name:           _ZN7rocprim17ROCPRIM_400000_NS6detail17trampoline_kernelINS0_13select_configILj256ELj13ELNS0_17block_load_methodE3ELS4_3ELS4_3ELNS0_20block_scan_algorithmE0ELj4294967295EEENS1_25partition_config_selectorILNS1_17partition_subalgoE4EjNS0_10empty_typeEbEEZZNS1_14partition_implILS8_4ELb0ES6_15HIP_vector_typeIjLj2EENS0_17counting_iteratorIjlEEPS9_SG_NS0_5tupleIJPjSI_NS0_16reverse_iteratorISI_EEEEENSH_IJSG_SG_SG_EEES9_SI_JZNS1_25segmented_radix_sort_implINS0_14default_configELb1EPKaPaPKlPlN2at6native12_GLOBAL__N_18offset_tEEE10hipError_tPvRmT1_PNSt15iterator_traitsIS12_E10value_typeET2_T3_PNS13_IS18_E10value_typeET4_jRbjT5_S1E_jjP12ihipStream_tbEUljE_ZNSN_ISO_Lb1ESQ_SR_ST_SU_SY_EESZ_S10_S11_S12_S16_S17_S18_S1B_S1C_jS1D_jS1E_S1E_jjS1G_bEUljE0_EEESZ_S10_S11_S18_S1C_S1E_T6_T7_T9_mT8_S1G_bDpT10_ENKUlT_T0_E_clISt17integral_constantIbLb0EES1U_EEDaS1P_S1Q_EUlS1P_E_NS1_11comp_targetILNS1_3genE0ELNS1_11target_archE4294967295ELNS1_3gpuE0ELNS1_3repE0EEENS1_30default_config_static_selectorELNS0_4arch9wavefront6targetE0EEEvS12_
    .private_segment_fixed_size: 0
    .sgpr_count:     61
    .sgpr_spill_count: 0
    .symbol:         _ZN7rocprim17ROCPRIM_400000_NS6detail17trampoline_kernelINS0_13select_configILj256ELj13ELNS0_17block_load_methodE3ELS4_3ELS4_3ELNS0_20block_scan_algorithmE0ELj4294967295EEENS1_25partition_config_selectorILNS1_17partition_subalgoE4EjNS0_10empty_typeEbEEZZNS1_14partition_implILS8_4ELb0ES6_15HIP_vector_typeIjLj2EENS0_17counting_iteratorIjlEEPS9_SG_NS0_5tupleIJPjSI_NS0_16reverse_iteratorISI_EEEEENSH_IJSG_SG_SG_EEES9_SI_JZNS1_25segmented_radix_sort_implINS0_14default_configELb1EPKaPaPKlPlN2at6native12_GLOBAL__N_18offset_tEEE10hipError_tPvRmT1_PNSt15iterator_traitsIS12_E10value_typeET2_T3_PNS13_IS18_E10value_typeET4_jRbjT5_S1E_jjP12ihipStream_tbEUljE_ZNSN_ISO_Lb1ESQ_SR_ST_SU_SY_EESZ_S10_S11_S12_S16_S17_S18_S1B_S1C_jS1D_jS1E_S1E_jjS1G_bEUljE0_EEESZ_S10_S11_S18_S1C_S1E_T6_T7_T9_mT8_S1G_bDpT10_ENKUlT_T0_E_clISt17integral_constantIbLb0EES1U_EEDaS1P_S1Q_EUlS1P_E_NS1_11comp_targetILNS1_3genE0ELNS1_11target_archE4294967295ELNS1_3gpuE0ELNS1_3repE0EEENS1_30default_config_static_selectorELNS0_4arch9wavefront6targetE0EEEvS12_.kd
    .uniform_work_group_size: 1
    .uses_dynamic_stack: false
    .vgpr_count:     81
    .vgpr_spill_count: 0
    .wavefront_size: 32
  - .args:
      - .offset:         0
        .size:           176
        .value_kind:     by_value
    .group_segment_fixed_size: 0
    .kernarg_segment_align: 8
    .kernarg_segment_size: 176
    .language:       OpenCL C
    .language_version:
      - 2
      - 0
    .max_flat_workgroup_size: 256
    .name:           _ZN7rocprim17ROCPRIM_400000_NS6detail17trampoline_kernelINS0_13select_configILj256ELj13ELNS0_17block_load_methodE3ELS4_3ELS4_3ELNS0_20block_scan_algorithmE0ELj4294967295EEENS1_25partition_config_selectorILNS1_17partition_subalgoE4EjNS0_10empty_typeEbEEZZNS1_14partition_implILS8_4ELb0ES6_15HIP_vector_typeIjLj2EENS0_17counting_iteratorIjlEEPS9_SG_NS0_5tupleIJPjSI_NS0_16reverse_iteratorISI_EEEEENSH_IJSG_SG_SG_EEES9_SI_JZNS1_25segmented_radix_sort_implINS0_14default_configELb1EPKaPaPKlPlN2at6native12_GLOBAL__N_18offset_tEEE10hipError_tPvRmT1_PNSt15iterator_traitsIS12_E10value_typeET2_T3_PNS13_IS18_E10value_typeET4_jRbjT5_S1E_jjP12ihipStream_tbEUljE_ZNSN_ISO_Lb1ESQ_SR_ST_SU_SY_EESZ_S10_S11_S12_S16_S17_S18_S1B_S1C_jS1D_jS1E_S1E_jjS1G_bEUljE0_EEESZ_S10_S11_S18_S1C_S1E_T6_T7_T9_mT8_S1G_bDpT10_ENKUlT_T0_E_clISt17integral_constantIbLb0EES1U_EEDaS1P_S1Q_EUlS1P_E_NS1_11comp_targetILNS1_3genE5ELNS1_11target_archE942ELNS1_3gpuE9ELNS1_3repE0EEENS1_30default_config_static_selectorELNS0_4arch9wavefront6targetE0EEEvS12_
    .private_segment_fixed_size: 0
    .sgpr_count:     0
    .sgpr_spill_count: 0
    .symbol:         _ZN7rocprim17ROCPRIM_400000_NS6detail17trampoline_kernelINS0_13select_configILj256ELj13ELNS0_17block_load_methodE3ELS4_3ELS4_3ELNS0_20block_scan_algorithmE0ELj4294967295EEENS1_25partition_config_selectorILNS1_17partition_subalgoE4EjNS0_10empty_typeEbEEZZNS1_14partition_implILS8_4ELb0ES6_15HIP_vector_typeIjLj2EENS0_17counting_iteratorIjlEEPS9_SG_NS0_5tupleIJPjSI_NS0_16reverse_iteratorISI_EEEEENSH_IJSG_SG_SG_EEES9_SI_JZNS1_25segmented_radix_sort_implINS0_14default_configELb1EPKaPaPKlPlN2at6native12_GLOBAL__N_18offset_tEEE10hipError_tPvRmT1_PNSt15iterator_traitsIS12_E10value_typeET2_T3_PNS13_IS18_E10value_typeET4_jRbjT5_S1E_jjP12ihipStream_tbEUljE_ZNSN_ISO_Lb1ESQ_SR_ST_SU_SY_EESZ_S10_S11_S12_S16_S17_S18_S1B_S1C_jS1D_jS1E_S1E_jjS1G_bEUljE0_EEESZ_S10_S11_S18_S1C_S1E_T6_T7_T9_mT8_S1G_bDpT10_ENKUlT_T0_E_clISt17integral_constantIbLb0EES1U_EEDaS1P_S1Q_EUlS1P_E_NS1_11comp_targetILNS1_3genE5ELNS1_11target_archE942ELNS1_3gpuE9ELNS1_3repE0EEENS1_30default_config_static_selectorELNS0_4arch9wavefront6targetE0EEEvS12_.kd
    .uniform_work_group_size: 1
    .uses_dynamic_stack: false
    .vgpr_count:     0
    .vgpr_spill_count: 0
    .wavefront_size: 32
  - .args:
      - .offset:         0
        .size:           176
        .value_kind:     by_value
    .group_segment_fixed_size: 0
    .kernarg_segment_align: 8
    .kernarg_segment_size: 176
    .language:       OpenCL C
    .language_version:
      - 2
      - 0
    .max_flat_workgroup_size: 256
    .name:           _ZN7rocprim17ROCPRIM_400000_NS6detail17trampoline_kernelINS0_13select_configILj256ELj13ELNS0_17block_load_methodE3ELS4_3ELS4_3ELNS0_20block_scan_algorithmE0ELj4294967295EEENS1_25partition_config_selectorILNS1_17partition_subalgoE4EjNS0_10empty_typeEbEEZZNS1_14partition_implILS8_4ELb0ES6_15HIP_vector_typeIjLj2EENS0_17counting_iteratorIjlEEPS9_SG_NS0_5tupleIJPjSI_NS0_16reverse_iteratorISI_EEEEENSH_IJSG_SG_SG_EEES9_SI_JZNS1_25segmented_radix_sort_implINS0_14default_configELb1EPKaPaPKlPlN2at6native12_GLOBAL__N_18offset_tEEE10hipError_tPvRmT1_PNSt15iterator_traitsIS12_E10value_typeET2_T3_PNS13_IS18_E10value_typeET4_jRbjT5_S1E_jjP12ihipStream_tbEUljE_ZNSN_ISO_Lb1ESQ_SR_ST_SU_SY_EESZ_S10_S11_S12_S16_S17_S18_S1B_S1C_jS1D_jS1E_S1E_jjS1G_bEUljE0_EEESZ_S10_S11_S18_S1C_S1E_T6_T7_T9_mT8_S1G_bDpT10_ENKUlT_T0_E_clISt17integral_constantIbLb0EES1U_EEDaS1P_S1Q_EUlS1P_E_NS1_11comp_targetILNS1_3genE4ELNS1_11target_archE910ELNS1_3gpuE8ELNS1_3repE0EEENS1_30default_config_static_selectorELNS0_4arch9wavefront6targetE0EEEvS12_
    .private_segment_fixed_size: 0
    .sgpr_count:     0
    .sgpr_spill_count: 0
    .symbol:         _ZN7rocprim17ROCPRIM_400000_NS6detail17trampoline_kernelINS0_13select_configILj256ELj13ELNS0_17block_load_methodE3ELS4_3ELS4_3ELNS0_20block_scan_algorithmE0ELj4294967295EEENS1_25partition_config_selectorILNS1_17partition_subalgoE4EjNS0_10empty_typeEbEEZZNS1_14partition_implILS8_4ELb0ES6_15HIP_vector_typeIjLj2EENS0_17counting_iteratorIjlEEPS9_SG_NS0_5tupleIJPjSI_NS0_16reverse_iteratorISI_EEEEENSH_IJSG_SG_SG_EEES9_SI_JZNS1_25segmented_radix_sort_implINS0_14default_configELb1EPKaPaPKlPlN2at6native12_GLOBAL__N_18offset_tEEE10hipError_tPvRmT1_PNSt15iterator_traitsIS12_E10value_typeET2_T3_PNS13_IS18_E10value_typeET4_jRbjT5_S1E_jjP12ihipStream_tbEUljE_ZNSN_ISO_Lb1ESQ_SR_ST_SU_SY_EESZ_S10_S11_S12_S16_S17_S18_S1B_S1C_jS1D_jS1E_S1E_jjS1G_bEUljE0_EEESZ_S10_S11_S18_S1C_S1E_T6_T7_T9_mT8_S1G_bDpT10_ENKUlT_T0_E_clISt17integral_constantIbLb0EES1U_EEDaS1P_S1Q_EUlS1P_E_NS1_11comp_targetILNS1_3genE4ELNS1_11target_archE910ELNS1_3gpuE8ELNS1_3repE0EEENS1_30default_config_static_selectorELNS0_4arch9wavefront6targetE0EEEvS12_.kd
    .uniform_work_group_size: 1
    .uses_dynamic_stack: false
    .vgpr_count:     0
    .vgpr_spill_count: 0
    .wavefront_size: 32
  - .args:
      - .offset:         0
        .size:           176
        .value_kind:     by_value
    .group_segment_fixed_size: 0
    .kernarg_segment_align: 8
    .kernarg_segment_size: 176
    .language:       OpenCL C
    .language_version:
      - 2
      - 0
    .max_flat_workgroup_size: 256
    .name:           _ZN7rocprim17ROCPRIM_400000_NS6detail17trampoline_kernelINS0_13select_configILj256ELj13ELNS0_17block_load_methodE3ELS4_3ELS4_3ELNS0_20block_scan_algorithmE0ELj4294967295EEENS1_25partition_config_selectorILNS1_17partition_subalgoE4EjNS0_10empty_typeEbEEZZNS1_14partition_implILS8_4ELb0ES6_15HIP_vector_typeIjLj2EENS0_17counting_iteratorIjlEEPS9_SG_NS0_5tupleIJPjSI_NS0_16reverse_iteratorISI_EEEEENSH_IJSG_SG_SG_EEES9_SI_JZNS1_25segmented_radix_sort_implINS0_14default_configELb1EPKaPaPKlPlN2at6native12_GLOBAL__N_18offset_tEEE10hipError_tPvRmT1_PNSt15iterator_traitsIS12_E10value_typeET2_T3_PNS13_IS18_E10value_typeET4_jRbjT5_S1E_jjP12ihipStream_tbEUljE_ZNSN_ISO_Lb1ESQ_SR_ST_SU_SY_EESZ_S10_S11_S12_S16_S17_S18_S1B_S1C_jS1D_jS1E_S1E_jjS1G_bEUljE0_EEESZ_S10_S11_S18_S1C_S1E_T6_T7_T9_mT8_S1G_bDpT10_ENKUlT_T0_E_clISt17integral_constantIbLb0EES1U_EEDaS1P_S1Q_EUlS1P_E_NS1_11comp_targetILNS1_3genE3ELNS1_11target_archE908ELNS1_3gpuE7ELNS1_3repE0EEENS1_30default_config_static_selectorELNS0_4arch9wavefront6targetE0EEEvS12_
    .private_segment_fixed_size: 0
    .sgpr_count:     0
    .sgpr_spill_count: 0
    .symbol:         _ZN7rocprim17ROCPRIM_400000_NS6detail17trampoline_kernelINS0_13select_configILj256ELj13ELNS0_17block_load_methodE3ELS4_3ELS4_3ELNS0_20block_scan_algorithmE0ELj4294967295EEENS1_25partition_config_selectorILNS1_17partition_subalgoE4EjNS0_10empty_typeEbEEZZNS1_14partition_implILS8_4ELb0ES6_15HIP_vector_typeIjLj2EENS0_17counting_iteratorIjlEEPS9_SG_NS0_5tupleIJPjSI_NS0_16reverse_iteratorISI_EEEEENSH_IJSG_SG_SG_EEES9_SI_JZNS1_25segmented_radix_sort_implINS0_14default_configELb1EPKaPaPKlPlN2at6native12_GLOBAL__N_18offset_tEEE10hipError_tPvRmT1_PNSt15iterator_traitsIS12_E10value_typeET2_T3_PNS13_IS18_E10value_typeET4_jRbjT5_S1E_jjP12ihipStream_tbEUljE_ZNSN_ISO_Lb1ESQ_SR_ST_SU_SY_EESZ_S10_S11_S12_S16_S17_S18_S1B_S1C_jS1D_jS1E_S1E_jjS1G_bEUljE0_EEESZ_S10_S11_S18_S1C_S1E_T6_T7_T9_mT8_S1G_bDpT10_ENKUlT_T0_E_clISt17integral_constantIbLb0EES1U_EEDaS1P_S1Q_EUlS1P_E_NS1_11comp_targetILNS1_3genE3ELNS1_11target_archE908ELNS1_3gpuE7ELNS1_3repE0EEENS1_30default_config_static_selectorELNS0_4arch9wavefront6targetE0EEEvS12_.kd
    .uniform_work_group_size: 1
    .uses_dynamic_stack: false
    .vgpr_count:     0
    .vgpr_spill_count: 0
    .wavefront_size: 32
  - .args:
      - .offset:         0
        .size:           176
        .value_kind:     by_value
    .group_segment_fixed_size: 0
    .kernarg_segment_align: 8
    .kernarg_segment_size: 176
    .language:       OpenCL C
    .language_version:
      - 2
      - 0
    .max_flat_workgroup_size: 256
    .name:           _ZN7rocprim17ROCPRIM_400000_NS6detail17trampoline_kernelINS0_13select_configILj256ELj13ELNS0_17block_load_methodE3ELS4_3ELS4_3ELNS0_20block_scan_algorithmE0ELj4294967295EEENS1_25partition_config_selectorILNS1_17partition_subalgoE4EjNS0_10empty_typeEbEEZZNS1_14partition_implILS8_4ELb0ES6_15HIP_vector_typeIjLj2EENS0_17counting_iteratorIjlEEPS9_SG_NS0_5tupleIJPjSI_NS0_16reverse_iteratorISI_EEEEENSH_IJSG_SG_SG_EEES9_SI_JZNS1_25segmented_radix_sort_implINS0_14default_configELb1EPKaPaPKlPlN2at6native12_GLOBAL__N_18offset_tEEE10hipError_tPvRmT1_PNSt15iterator_traitsIS12_E10value_typeET2_T3_PNS13_IS18_E10value_typeET4_jRbjT5_S1E_jjP12ihipStream_tbEUljE_ZNSN_ISO_Lb1ESQ_SR_ST_SU_SY_EESZ_S10_S11_S12_S16_S17_S18_S1B_S1C_jS1D_jS1E_S1E_jjS1G_bEUljE0_EEESZ_S10_S11_S18_S1C_S1E_T6_T7_T9_mT8_S1G_bDpT10_ENKUlT_T0_E_clISt17integral_constantIbLb0EES1U_EEDaS1P_S1Q_EUlS1P_E_NS1_11comp_targetILNS1_3genE2ELNS1_11target_archE906ELNS1_3gpuE6ELNS1_3repE0EEENS1_30default_config_static_selectorELNS0_4arch9wavefront6targetE0EEEvS12_
    .private_segment_fixed_size: 0
    .sgpr_count:     0
    .sgpr_spill_count: 0
    .symbol:         _ZN7rocprim17ROCPRIM_400000_NS6detail17trampoline_kernelINS0_13select_configILj256ELj13ELNS0_17block_load_methodE3ELS4_3ELS4_3ELNS0_20block_scan_algorithmE0ELj4294967295EEENS1_25partition_config_selectorILNS1_17partition_subalgoE4EjNS0_10empty_typeEbEEZZNS1_14partition_implILS8_4ELb0ES6_15HIP_vector_typeIjLj2EENS0_17counting_iteratorIjlEEPS9_SG_NS0_5tupleIJPjSI_NS0_16reverse_iteratorISI_EEEEENSH_IJSG_SG_SG_EEES9_SI_JZNS1_25segmented_radix_sort_implINS0_14default_configELb1EPKaPaPKlPlN2at6native12_GLOBAL__N_18offset_tEEE10hipError_tPvRmT1_PNSt15iterator_traitsIS12_E10value_typeET2_T3_PNS13_IS18_E10value_typeET4_jRbjT5_S1E_jjP12ihipStream_tbEUljE_ZNSN_ISO_Lb1ESQ_SR_ST_SU_SY_EESZ_S10_S11_S12_S16_S17_S18_S1B_S1C_jS1D_jS1E_S1E_jjS1G_bEUljE0_EEESZ_S10_S11_S18_S1C_S1E_T6_T7_T9_mT8_S1G_bDpT10_ENKUlT_T0_E_clISt17integral_constantIbLb0EES1U_EEDaS1P_S1Q_EUlS1P_E_NS1_11comp_targetILNS1_3genE2ELNS1_11target_archE906ELNS1_3gpuE6ELNS1_3repE0EEENS1_30default_config_static_selectorELNS0_4arch9wavefront6targetE0EEEvS12_.kd
    .uniform_work_group_size: 1
    .uses_dynamic_stack: false
    .vgpr_count:     0
    .vgpr_spill_count: 0
    .wavefront_size: 32
  - .args:
      - .offset:         0
        .size:           176
        .value_kind:     by_value
    .group_segment_fixed_size: 0
    .kernarg_segment_align: 8
    .kernarg_segment_size: 176
    .language:       OpenCL C
    .language_version:
      - 2
      - 0
    .max_flat_workgroup_size: 256
    .name:           _ZN7rocprim17ROCPRIM_400000_NS6detail17trampoline_kernelINS0_13select_configILj256ELj13ELNS0_17block_load_methodE3ELS4_3ELS4_3ELNS0_20block_scan_algorithmE0ELj4294967295EEENS1_25partition_config_selectorILNS1_17partition_subalgoE4EjNS0_10empty_typeEbEEZZNS1_14partition_implILS8_4ELb0ES6_15HIP_vector_typeIjLj2EENS0_17counting_iteratorIjlEEPS9_SG_NS0_5tupleIJPjSI_NS0_16reverse_iteratorISI_EEEEENSH_IJSG_SG_SG_EEES9_SI_JZNS1_25segmented_radix_sort_implINS0_14default_configELb1EPKaPaPKlPlN2at6native12_GLOBAL__N_18offset_tEEE10hipError_tPvRmT1_PNSt15iterator_traitsIS12_E10value_typeET2_T3_PNS13_IS18_E10value_typeET4_jRbjT5_S1E_jjP12ihipStream_tbEUljE_ZNSN_ISO_Lb1ESQ_SR_ST_SU_SY_EESZ_S10_S11_S12_S16_S17_S18_S1B_S1C_jS1D_jS1E_S1E_jjS1G_bEUljE0_EEESZ_S10_S11_S18_S1C_S1E_T6_T7_T9_mT8_S1G_bDpT10_ENKUlT_T0_E_clISt17integral_constantIbLb0EES1U_EEDaS1P_S1Q_EUlS1P_E_NS1_11comp_targetILNS1_3genE10ELNS1_11target_archE1200ELNS1_3gpuE4ELNS1_3repE0EEENS1_30default_config_static_selectorELNS0_4arch9wavefront6targetE0EEEvS12_
    .private_segment_fixed_size: 0
    .sgpr_count:     0
    .sgpr_spill_count: 0
    .symbol:         _ZN7rocprim17ROCPRIM_400000_NS6detail17trampoline_kernelINS0_13select_configILj256ELj13ELNS0_17block_load_methodE3ELS4_3ELS4_3ELNS0_20block_scan_algorithmE0ELj4294967295EEENS1_25partition_config_selectorILNS1_17partition_subalgoE4EjNS0_10empty_typeEbEEZZNS1_14partition_implILS8_4ELb0ES6_15HIP_vector_typeIjLj2EENS0_17counting_iteratorIjlEEPS9_SG_NS0_5tupleIJPjSI_NS0_16reverse_iteratorISI_EEEEENSH_IJSG_SG_SG_EEES9_SI_JZNS1_25segmented_radix_sort_implINS0_14default_configELb1EPKaPaPKlPlN2at6native12_GLOBAL__N_18offset_tEEE10hipError_tPvRmT1_PNSt15iterator_traitsIS12_E10value_typeET2_T3_PNS13_IS18_E10value_typeET4_jRbjT5_S1E_jjP12ihipStream_tbEUljE_ZNSN_ISO_Lb1ESQ_SR_ST_SU_SY_EESZ_S10_S11_S12_S16_S17_S18_S1B_S1C_jS1D_jS1E_S1E_jjS1G_bEUljE0_EEESZ_S10_S11_S18_S1C_S1E_T6_T7_T9_mT8_S1G_bDpT10_ENKUlT_T0_E_clISt17integral_constantIbLb0EES1U_EEDaS1P_S1Q_EUlS1P_E_NS1_11comp_targetILNS1_3genE10ELNS1_11target_archE1200ELNS1_3gpuE4ELNS1_3repE0EEENS1_30default_config_static_selectorELNS0_4arch9wavefront6targetE0EEEvS12_.kd
    .uniform_work_group_size: 1
    .uses_dynamic_stack: false
    .vgpr_count:     0
    .vgpr_spill_count: 0
    .wavefront_size: 32
  - .args:
      - .offset:         0
        .size:           176
        .value_kind:     by_value
    .group_segment_fixed_size: 0
    .kernarg_segment_align: 8
    .kernarg_segment_size: 176
    .language:       OpenCL C
    .language_version:
      - 2
      - 0
    .max_flat_workgroup_size: 256
    .name:           _ZN7rocprim17ROCPRIM_400000_NS6detail17trampoline_kernelINS0_13select_configILj256ELj13ELNS0_17block_load_methodE3ELS4_3ELS4_3ELNS0_20block_scan_algorithmE0ELj4294967295EEENS1_25partition_config_selectorILNS1_17partition_subalgoE4EjNS0_10empty_typeEbEEZZNS1_14partition_implILS8_4ELb0ES6_15HIP_vector_typeIjLj2EENS0_17counting_iteratorIjlEEPS9_SG_NS0_5tupleIJPjSI_NS0_16reverse_iteratorISI_EEEEENSH_IJSG_SG_SG_EEES9_SI_JZNS1_25segmented_radix_sort_implINS0_14default_configELb1EPKaPaPKlPlN2at6native12_GLOBAL__N_18offset_tEEE10hipError_tPvRmT1_PNSt15iterator_traitsIS12_E10value_typeET2_T3_PNS13_IS18_E10value_typeET4_jRbjT5_S1E_jjP12ihipStream_tbEUljE_ZNSN_ISO_Lb1ESQ_SR_ST_SU_SY_EESZ_S10_S11_S12_S16_S17_S18_S1B_S1C_jS1D_jS1E_S1E_jjS1G_bEUljE0_EEESZ_S10_S11_S18_S1C_S1E_T6_T7_T9_mT8_S1G_bDpT10_ENKUlT_T0_E_clISt17integral_constantIbLb0EES1U_EEDaS1P_S1Q_EUlS1P_E_NS1_11comp_targetILNS1_3genE9ELNS1_11target_archE1100ELNS1_3gpuE3ELNS1_3repE0EEENS1_30default_config_static_selectorELNS0_4arch9wavefront6targetE0EEEvS12_
    .private_segment_fixed_size: 0
    .sgpr_count:     0
    .sgpr_spill_count: 0
    .symbol:         _ZN7rocprim17ROCPRIM_400000_NS6detail17trampoline_kernelINS0_13select_configILj256ELj13ELNS0_17block_load_methodE3ELS4_3ELS4_3ELNS0_20block_scan_algorithmE0ELj4294967295EEENS1_25partition_config_selectorILNS1_17partition_subalgoE4EjNS0_10empty_typeEbEEZZNS1_14partition_implILS8_4ELb0ES6_15HIP_vector_typeIjLj2EENS0_17counting_iteratorIjlEEPS9_SG_NS0_5tupleIJPjSI_NS0_16reverse_iteratorISI_EEEEENSH_IJSG_SG_SG_EEES9_SI_JZNS1_25segmented_radix_sort_implINS0_14default_configELb1EPKaPaPKlPlN2at6native12_GLOBAL__N_18offset_tEEE10hipError_tPvRmT1_PNSt15iterator_traitsIS12_E10value_typeET2_T3_PNS13_IS18_E10value_typeET4_jRbjT5_S1E_jjP12ihipStream_tbEUljE_ZNSN_ISO_Lb1ESQ_SR_ST_SU_SY_EESZ_S10_S11_S12_S16_S17_S18_S1B_S1C_jS1D_jS1E_S1E_jjS1G_bEUljE0_EEESZ_S10_S11_S18_S1C_S1E_T6_T7_T9_mT8_S1G_bDpT10_ENKUlT_T0_E_clISt17integral_constantIbLb0EES1U_EEDaS1P_S1Q_EUlS1P_E_NS1_11comp_targetILNS1_3genE9ELNS1_11target_archE1100ELNS1_3gpuE3ELNS1_3repE0EEENS1_30default_config_static_selectorELNS0_4arch9wavefront6targetE0EEEvS12_.kd
    .uniform_work_group_size: 1
    .uses_dynamic_stack: false
    .vgpr_count:     0
    .vgpr_spill_count: 0
    .wavefront_size: 32
  - .args:
      - .offset:         0
        .size:           176
        .value_kind:     by_value
    .group_segment_fixed_size: 0
    .kernarg_segment_align: 8
    .kernarg_segment_size: 176
    .language:       OpenCL C
    .language_version:
      - 2
      - 0
    .max_flat_workgroup_size: 256
    .name:           _ZN7rocprim17ROCPRIM_400000_NS6detail17trampoline_kernelINS0_13select_configILj256ELj13ELNS0_17block_load_methodE3ELS4_3ELS4_3ELNS0_20block_scan_algorithmE0ELj4294967295EEENS1_25partition_config_selectorILNS1_17partition_subalgoE4EjNS0_10empty_typeEbEEZZNS1_14partition_implILS8_4ELb0ES6_15HIP_vector_typeIjLj2EENS0_17counting_iteratorIjlEEPS9_SG_NS0_5tupleIJPjSI_NS0_16reverse_iteratorISI_EEEEENSH_IJSG_SG_SG_EEES9_SI_JZNS1_25segmented_radix_sort_implINS0_14default_configELb1EPKaPaPKlPlN2at6native12_GLOBAL__N_18offset_tEEE10hipError_tPvRmT1_PNSt15iterator_traitsIS12_E10value_typeET2_T3_PNS13_IS18_E10value_typeET4_jRbjT5_S1E_jjP12ihipStream_tbEUljE_ZNSN_ISO_Lb1ESQ_SR_ST_SU_SY_EESZ_S10_S11_S12_S16_S17_S18_S1B_S1C_jS1D_jS1E_S1E_jjS1G_bEUljE0_EEESZ_S10_S11_S18_S1C_S1E_T6_T7_T9_mT8_S1G_bDpT10_ENKUlT_T0_E_clISt17integral_constantIbLb0EES1U_EEDaS1P_S1Q_EUlS1P_E_NS1_11comp_targetILNS1_3genE8ELNS1_11target_archE1030ELNS1_3gpuE2ELNS1_3repE0EEENS1_30default_config_static_selectorELNS0_4arch9wavefront6targetE0EEEvS12_
    .private_segment_fixed_size: 0
    .sgpr_count:     0
    .sgpr_spill_count: 0
    .symbol:         _ZN7rocprim17ROCPRIM_400000_NS6detail17trampoline_kernelINS0_13select_configILj256ELj13ELNS0_17block_load_methodE3ELS4_3ELS4_3ELNS0_20block_scan_algorithmE0ELj4294967295EEENS1_25partition_config_selectorILNS1_17partition_subalgoE4EjNS0_10empty_typeEbEEZZNS1_14partition_implILS8_4ELb0ES6_15HIP_vector_typeIjLj2EENS0_17counting_iteratorIjlEEPS9_SG_NS0_5tupleIJPjSI_NS0_16reverse_iteratorISI_EEEEENSH_IJSG_SG_SG_EEES9_SI_JZNS1_25segmented_radix_sort_implINS0_14default_configELb1EPKaPaPKlPlN2at6native12_GLOBAL__N_18offset_tEEE10hipError_tPvRmT1_PNSt15iterator_traitsIS12_E10value_typeET2_T3_PNS13_IS18_E10value_typeET4_jRbjT5_S1E_jjP12ihipStream_tbEUljE_ZNSN_ISO_Lb1ESQ_SR_ST_SU_SY_EESZ_S10_S11_S12_S16_S17_S18_S1B_S1C_jS1D_jS1E_S1E_jjS1G_bEUljE0_EEESZ_S10_S11_S18_S1C_S1E_T6_T7_T9_mT8_S1G_bDpT10_ENKUlT_T0_E_clISt17integral_constantIbLb0EES1U_EEDaS1P_S1Q_EUlS1P_E_NS1_11comp_targetILNS1_3genE8ELNS1_11target_archE1030ELNS1_3gpuE2ELNS1_3repE0EEENS1_30default_config_static_selectorELNS0_4arch9wavefront6targetE0EEEvS12_.kd
    .uniform_work_group_size: 1
    .uses_dynamic_stack: false
    .vgpr_count:     0
    .vgpr_spill_count: 0
    .wavefront_size: 32
  - .args:
      - .offset:         0
        .size:           184
        .value_kind:     by_value
    .group_segment_fixed_size: 0
    .kernarg_segment_align: 8
    .kernarg_segment_size: 184
    .language:       OpenCL C
    .language_version:
      - 2
      - 0
    .max_flat_workgroup_size: 256
    .name:           _ZN7rocprim17ROCPRIM_400000_NS6detail17trampoline_kernelINS0_13select_configILj256ELj13ELNS0_17block_load_methodE3ELS4_3ELS4_3ELNS0_20block_scan_algorithmE0ELj4294967295EEENS1_25partition_config_selectorILNS1_17partition_subalgoE4EjNS0_10empty_typeEbEEZZNS1_14partition_implILS8_4ELb0ES6_15HIP_vector_typeIjLj2EENS0_17counting_iteratorIjlEEPS9_SG_NS0_5tupleIJPjSI_NS0_16reverse_iteratorISI_EEEEENSH_IJSG_SG_SG_EEES9_SI_JZNS1_25segmented_radix_sort_implINS0_14default_configELb1EPKaPaPKlPlN2at6native12_GLOBAL__N_18offset_tEEE10hipError_tPvRmT1_PNSt15iterator_traitsIS12_E10value_typeET2_T3_PNS13_IS18_E10value_typeET4_jRbjT5_S1E_jjP12ihipStream_tbEUljE_ZNSN_ISO_Lb1ESQ_SR_ST_SU_SY_EESZ_S10_S11_S12_S16_S17_S18_S1B_S1C_jS1D_jS1E_S1E_jjS1G_bEUljE0_EEESZ_S10_S11_S18_S1C_S1E_T6_T7_T9_mT8_S1G_bDpT10_ENKUlT_T0_E_clISt17integral_constantIbLb1EES1U_EEDaS1P_S1Q_EUlS1P_E_NS1_11comp_targetILNS1_3genE0ELNS1_11target_archE4294967295ELNS1_3gpuE0ELNS1_3repE0EEENS1_30default_config_static_selectorELNS0_4arch9wavefront6targetE0EEEvS12_
    .private_segment_fixed_size: 0
    .sgpr_count:     0
    .sgpr_spill_count: 0
    .symbol:         _ZN7rocprim17ROCPRIM_400000_NS6detail17trampoline_kernelINS0_13select_configILj256ELj13ELNS0_17block_load_methodE3ELS4_3ELS4_3ELNS0_20block_scan_algorithmE0ELj4294967295EEENS1_25partition_config_selectorILNS1_17partition_subalgoE4EjNS0_10empty_typeEbEEZZNS1_14partition_implILS8_4ELb0ES6_15HIP_vector_typeIjLj2EENS0_17counting_iteratorIjlEEPS9_SG_NS0_5tupleIJPjSI_NS0_16reverse_iteratorISI_EEEEENSH_IJSG_SG_SG_EEES9_SI_JZNS1_25segmented_radix_sort_implINS0_14default_configELb1EPKaPaPKlPlN2at6native12_GLOBAL__N_18offset_tEEE10hipError_tPvRmT1_PNSt15iterator_traitsIS12_E10value_typeET2_T3_PNS13_IS18_E10value_typeET4_jRbjT5_S1E_jjP12ihipStream_tbEUljE_ZNSN_ISO_Lb1ESQ_SR_ST_SU_SY_EESZ_S10_S11_S12_S16_S17_S18_S1B_S1C_jS1D_jS1E_S1E_jjS1G_bEUljE0_EEESZ_S10_S11_S18_S1C_S1E_T6_T7_T9_mT8_S1G_bDpT10_ENKUlT_T0_E_clISt17integral_constantIbLb1EES1U_EEDaS1P_S1Q_EUlS1P_E_NS1_11comp_targetILNS1_3genE0ELNS1_11target_archE4294967295ELNS1_3gpuE0ELNS1_3repE0EEENS1_30default_config_static_selectorELNS0_4arch9wavefront6targetE0EEEvS12_.kd
    .uniform_work_group_size: 1
    .uses_dynamic_stack: false
    .vgpr_count:     0
    .vgpr_spill_count: 0
    .wavefront_size: 32
  - .args:
      - .offset:         0
        .size:           184
        .value_kind:     by_value
    .group_segment_fixed_size: 0
    .kernarg_segment_align: 8
    .kernarg_segment_size: 184
    .language:       OpenCL C
    .language_version:
      - 2
      - 0
    .max_flat_workgroup_size: 256
    .name:           _ZN7rocprim17ROCPRIM_400000_NS6detail17trampoline_kernelINS0_13select_configILj256ELj13ELNS0_17block_load_methodE3ELS4_3ELS4_3ELNS0_20block_scan_algorithmE0ELj4294967295EEENS1_25partition_config_selectorILNS1_17partition_subalgoE4EjNS0_10empty_typeEbEEZZNS1_14partition_implILS8_4ELb0ES6_15HIP_vector_typeIjLj2EENS0_17counting_iteratorIjlEEPS9_SG_NS0_5tupleIJPjSI_NS0_16reverse_iteratorISI_EEEEENSH_IJSG_SG_SG_EEES9_SI_JZNS1_25segmented_radix_sort_implINS0_14default_configELb1EPKaPaPKlPlN2at6native12_GLOBAL__N_18offset_tEEE10hipError_tPvRmT1_PNSt15iterator_traitsIS12_E10value_typeET2_T3_PNS13_IS18_E10value_typeET4_jRbjT5_S1E_jjP12ihipStream_tbEUljE_ZNSN_ISO_Lb1ESQ_SR_ST_SU_SY_EESZ_S10_S11_S12_S16_S17_S18_S1B_S1C_jS1D_jS1E_S1E_jjS1G_bEUljE0_EEESZ_S10_S11_S18_S1C_S1E_T6_T7_T9_mT8_S1G_bDpT10_ENKUlT_T0_E_clISt17integral_constantIbLb1EES1U_EEDaS1P_S1Q_EUlS1P_E_NS1_11comp_targetILNS1_3genE5ELNS1_11target_archE942ELNS1_3gpuE9ELNS1_3repE0EEENS1_30default_config_static_selectorELNS0_4arch9wavefront6targetE0EEEvS12_
    .private_segment_fixed_size: 0
    .sgpr_count:     0
    .sgpr_spill_count: 0
    .symbol:         _ZN7rocprim17ROCPRIM_400000_NS6detail17trampoline_kernelINS0_13select_configILj256ELj13ELNS0_17block_load_methodE3ELS4_3ELS4_3ELNS0_20block_scan_algorithmE0ELj4294967295EEENS1_25partition_config_selectorILNS1_17partition_subalgoE4EjNS0_10empty_typeEbEEZZNS1_14partition_implILS8_4ELb0ES6_15HIP_vector_typeIjLj2EENS0_17counting_iteratorIjlEEPS9_SG_NS0_5tupleIJPjSI_NS0_16reverse_iteratorISI_EEEEENSH_IJSG_SG_SG_EEES9_SI_JZNS1_25segmented_radix_sort_implINS0_14default_configELb1EPKaPaPKlPlN2at6native12_GLOBAL__N_18offset_tEEE10hipError_tPvRmT1_PNSt15iterator_traitsIS12_E10value_typeET2_T3_PNS13_IS18_E10value_typeET4_jRbjT5_S1E_jjP12ihipStream_tbEUljE_ZNSN_ISO_Lb1ESQ_SR_ST_SU_SY_EESZ_S10_S11_S12_S16_S17_S18_S1B_S1C_jS1D_jS1E_S1E_jjS1G_bEUljE0_EEESZ_S10_S11_S18_S1C_S1E_T6_T7_T9_mT8_S1G_bDpT10_ENKUlT_T0_E_clISt17integral_constantIbLb1EES1U_EEDaS1P_S1Q_EUlS1P_E_NS1_11comp_targetILNS1_3genE5ELNS1_11target_archE942ELNS1_3gpuE9ELNS1_3repE0EEENS1_30default_config_static_selectorELNS0_4arch9wavefront6targetE0EEEvS12_.kd
    .uniform_work_group_size: 1
    .uses_dynamic_stack: false
    .vgpr_count:     0
    .vgpr_spill_count: 0
    .wavefront_size: 32
  - .args:
      - .offset:         0
        .size:           184
        .value_kind:     by_value
    .group_segment_fixed_size: 0
    .kernarg_segment_align: 8
    .kernarg_segment_size: 184
    .language:       OpenCL C
    .language_version:
      - 2
      - 0
    .max_flat_workgroup_size: 256
    .name:           _ZN7rocprim17ROCPRIM_400000_NS6detail17trampoline_kernelINS0_13select_configILj256ELj13ELNS0_17block_load_methodE3ELS4_3ELS4_3ELNS0_20block_scan_algorithmE0ELj4294967295EEENS1_25partition_config_selectorILNS1_17partition_subalgoE4EjNS0_10empty_typeEbEEZZNS1_14partition_implILS8_4ELb0ES6_15HIP_vector_typeIjLj2EENS0_17counting_iteratorIjlEEPS9_SG_NS0_5tupleIJPjSI_NS0_16reverse_iteratorISI_EEEEENSH_IJSG_SG_SG_EEES9_SI_JZNS1_25segmented_radix_sort_implINS0_14default_configELb1EPKaPaPKlPlN2at6native12_GLOBAL__N_18offset_tEEE10hipError_tPvRmT1_PNSt15iterator_traitsIS12_E10value_typeET2_T3_PNS13_IS18_E10value_typeET4_jRbjT5_S1E_jjP12ihipStream_tbEUljE_ZNSN_ISO_Lb1ESQ_SR_ST_SU_SY_EESZ_S10_S11_S12_S16_S17_S18_S1B_S1C_jS1D_jS1E_S1E_jjS1G_bEUljE0_EEESZ_S10_S11_S18_S1C_S1E_T6_T7_T9_mT8_S1G_bDpT10_ENKUlT_T0_E_clISt17integral_constantIbLb1EES1U_EEDaS1P_S1Q_EUlS1P_E_NS1_11comp_targetILNS1_3genE4ELNS1_11target_archE910ELNS1_3gpuE8ELNS1_3repE0EEENS1_30default_config_static_selectorELNS0_4arch9wavefront6targetE0EEEvS12_
    .private_segment_fixed_size: 0
    .sgpr_count:     0
    .sgpr_spill_count: 0
    .symbol:         _ZN7rocprim17ROCPRIM_400000_NS6detail17trampoline_kernelINS0_13select_configILj256ELj13ELNS0_17block_load_methodE3ELS4_3ELS4_3ELNS0_20block_scan_algorithmE0ELj4294967295EEENS1_25partition_config_selectorILNS1_17partition_subalgoE4EjNS0_10empty_typeEbEEZZNS1_14partition_implILS8_4ELb0ES6_15HIP_vector_typeIjLj2EENS0_17counting_iteratorIjlEEPS9_SG_NS0_5tupleIJPjSI_NS0_16reverse_iteratorISI_EEEEENSH_IJSG_SG_SG_EEES9_SI_JZNS1_25segmented_radix_sort_implINS0_14default_configELb1EPKaPaPKlPlN2at6native12_GLOBAL__N_18offset_tEEE10hipError_tPvRmT1_PNSt15iterator_traitsIS12_E10value_typeET2_T3_PNS13_IS18_E10value_typeET4_jRbjT5_S1E_jjP12ihipStream_tbEUljE_ZNSN_ISO_Lb1ESQ_SR_ST_SU_SY_EESZ_S10_S11_S12_S16_S17_S18_S1B_S1C_jS1D_jS1E_S1E_jjS1G_bEUljE0_EEESZ_S10_S11_S18_S1C_S1E_T6_T7_T9_mT8_S1G_bDpT10_ENKUlT_T0_E_clISt17integral_constantIbLb1EES1U_EEDaS1P_S1Q_EUlS1P_E_NS1_11comp_targetILNS1_3genE4ELNS1_11target_archE910ELNS1_3gpuE8ELNS1_3repE0EEENS1_30default_config_static_selectorELNS0_4arch9wavefront6targetE0EEEvS12_.kd
    .uniform_work_group_size: 1
    .uses_dynamic_stack: false
    .vgpr_count:     0
    .vgpr_spill_count: 0
    .wavefront_size: 32
  - .args:
      - .offset:         0
        .size:           184
        .value_kind:     by_value
    .group_segment_fixed_size: 0
    .kernarg_segment_align: 8
    .kernarg_segment_size: 184
    .language:       OpenCL C
    .language_version:
      - 2
      - 0
    .max_flat_workgroup_size: 256
    .name:           _ZN7rocprim17ROCPRIM_400000_NS6detail17trampoline_kernelINS0_13select_configILj256ELj13ELNS0_17block_load_methodE3ELS4_3ELS4_3ELNS0_20block_scan_algorithmE0ELj4294967295EEENS1_25partition_config_selectorILNS1_17partition_subalgoE4EjNS0_10empty_typeEbEEZZNS1_14partition_implILS8_4ELb0ES6_15HIP_vector_typeIjLj2EENS0_17counting_iteratorIjlEEPS9_SG_NS0_5tupleIJPjSI_NS0_16reverse_iteratorISI_EEEEENSH_IJSG_SG_SG_EEES9_SI_JZNS1_25segmented_radix_sort_implINS0_14default_configELb1EPKaPaPKlPlN2at6native12_GLOBAL__N_18offset_tEEE10hipError_tPvRmT1_PNSt15iterator_traitsIS12_E10value_typeET2_T3_PNS13_IS18_E10value_typeET4_jRbjT5_S1E_jjP12ihipStream_tbEUljE_ZNSN_ISO_Lb1ESQ_SR_ST_SU_SY_EESZ_S10_S11_S12_S16_S17_S18_S1B_S1C_jS1D_jS1E_S1E_jjS1G_bEUljE0_EEESZ_S10_S11_S18_S1C_S1E_T6_T7_T9_mT8_S1G_bDpT10_ENKUlT_T0_E_clISt17integral_constantIbLb1EES1U_EEDaS1P_S1Q_EUlS1P_E_NS1_11comp_targetILNS1_3genE3ELNS1_11target_archE908ELNS1_3gpuE7ELNS1_3repE0EEENS1_30default_config_static_selectorELNS0_4arch9wavefront6targetE0EEEvS12_
    .private_segment_fixed_size: 0
    .sgpr_count:     0
    .sgpr_spill_count: 0
    .symbol:         _ZN7rocprim17ROCPRIM_400000_NS6detail17trampoline_kernelINS0_13select_configILj256ELj13ELNS0_17block_load_methodE3ELS4_3ELS4_3ELNS0_20block_scan_algorithmE0ELj4294967295EEENS1_25partition_config_selectorILNS1_17partition_subalgoE4EjNS0_10empty_typeEbEEZZNS1_14partition_implILS8_4ELb0ES6_15HIP_vector_typeIjLj2EENS0_17counting_iteratorIjlEEPS9_SG_NS0_5tupleIJPjSI_NS0_16reverse_iteratorISI_EEEEENSH_IJSG_SG_SG_EEES9_SI_JZNS1_25segmented_radix_sort_implINS0_14default_configELb1EPKaPaPKlPlN2at6native12_GLOBAL__N_18offset_tEEE10hipError_tPvRmT1_PNSt15iterator_traitsIS12_E10value_typeET2_T3_PNS13_IS18_E10value_typeET4_jRbjT5_S1E_jjP12ihipStream_tbEUljE_ZNSN_ISO_Lb1ESQ_SR_ST_SU_SY_EESZ_S10_S11_S12_S16_S17_S18_S1B_S1C_jS1D_jS1E_S1E_jjS1G_bEUljE0_EEESZ_S10_S11_S18_S1C_S1E_T6_T7_T9_mT8_S1G_bDpT10_ENKUlT_T0_E_clISt17integral_constantIbLb1EES1U_EEDaS1P_S1Q_EUlS1P_E_NS1_11comp_targetILNS1_3genE3ELNS1_11target_archE908ELNS1_3gpuE7ELNS1_3repE0EEENS1_30default_config_static_selectorELNS0_4arch9wavefront6targetE0EEEvS12_.kd
    .uniform_work_group_size: 1
    .uses_dynamic_stack: false
    .vgpr_count:     0
    .vgpr_spill_count: 0
    .wavefront_size: 32
  - .args:
      - .offset:         0
        .size:           184
        .value_kind:     by_value
    .group_segment_fixed_size: 0
    .kernarg_segment_align: 8
    .kernarg_segment_size: 184
    .language:       OpenCL C
    .language_version:
      - 2
      - 0
    .max_flat_workgroup_size: 256
    .name:           _ZN7rocprim17ROCPRIM_400000_NS6detail17trampoline_kernelINS0_13select_configILj256ELj13ELNS0_17block_load_methodE3ELS4_3ELS4_3ELNS0_20block_scan_algorithmE0ELj4294967295EEENS1_25partition_config_selectorILNS1_17partition_subalgoE4EjNS0_10empty_typeEbEEZZNS1_14partition_implILS8_4ELb0ES6_15HIP_vector_typeIjLj2EENS0_17counting_iteratorIjlEEPS9_SG_NS0_5tupleIJPjSI_NS0_16reverse_iteratorISI_EEEEENSH_IJSG_SG_SG_EEES9_SI_JZNS1_25segmented_radix_sort_implINS0_14default_configELb1EPKaPaPKlPlN2at6native12_GLOBAL__N_18offset_tEEE10hipError_tPvRmT1_PNSt15iterator_traitsIS12_E10value_typeET2_T3_PNS13_IS18_E10value_typeET4_jRbjT5_S1E_jjP12ihipStream_tbEUljE_ZNSN_ISO_Lb1ESQ_SR_ST_SU_SY_EESZ_S10_S11_S12_S16_S17_S18_S1B_S1C_jS1D_jS1E_S1E_jjS1G_bEUljE0_EEESZ_S10_S11_S18_S1C_S1E_T6_T7_T9_mT8_S1G_bDpT10_ENKUlT_T0_E_clISt17integral_constantIbLb1EES1U_EEDaS1P_S1Q_EUlS1P_E_NS1_11comp_targetILNS1_3genE2ELNS1_11target_archE906ELNS1_3gpuE6ELNS1_3repE0EEENS1_30default_config_static_selectorELNS0_4arch9wavefront6targetE0EEEvS12_
    .private_segment_fixed_size: 0
    .sgpr_count:     0
    .sgpr_spill_count: 0
    .symbol:         _ZN7rocprim17ROCPRIM_400000_NS6detail17trampoline_kernelINS0_13select_configILj256ELj13ELNS0_17block_load_methodE3ELS4_3ELS4_3ELNS0_20block_scan_algorithmE0ELj4294967295EEENS1_25partition_config_selectorILNS1_17partition_subalgoE4EjNS0_10empty_typeEbEEZZNS1_14partition_implILS8_4ELb0ES6_15HIP_vector_typeIjLj2EENS0_17counting_iteratorIjlEEPS9_SG_NS0_5tupleIJPjSI_NS0_16reverse_iteratorISI_EEEEENSH_IJSG_SG_SG_EEES9_SI_JZNS1_25segmented_radix_sort_implINS0_14default_configELb1EPKaPaPKlPlN2at6native12_GLOBAL__N_18offset_tEEE10hipError_tPvRmT1_PNSt15iterator_traitsIS12_E10value_typeET2_T3_PNS13_IS18_E10value_typeET4_jRbjT5_S1E_jjP12ihipStream_tbEUljE_ZNSN_ISO_Lb1ESQ_SR_ST_SU_SY_EESZ_S10_S11_S12_S16_S17_S18_S1B_S1C_jS1D_jS1E_S1E_jjS1G_bEUljE0_EEESZ_S10_S11_S18_S1C_S1E_T6_T7_T9_mT8_S1G_bDpT10_ENKUlT_T0_E_clISt17integral_constantIbLb1EES1U_EEDaS1P_S1Q_EUlS1P_E_NS1_11comp_targetILNS1_3genE2ELNS1_11target_archE906ELNS1_3gpuE6ELNS1_3repE0EEENS1_30default_config_static_selectorELNS0_4arch9wavefront6targetE0EEEvS12_.kd
    .uniform_work_group_size: 1
    .uses_dynamic_stack: false
    .vgpr_count:     0
    .vgpr_spill_count: 0
    .wavefront_size: 32
  - .args:
      - .offset:         0
        .size:           184
        .value_kind:     by_value
    .group_segment_fixed_size: 0
    .kernarg_segment_align: 8
    .kernarg_segment_size: 184
    .language:       OpenCL C
    .language_version:
      - 2
      - 0
    .max_flat_workgroup_size: 256
    .name:           _ZN7rocprim17ROCPRIM_400000_NS6detail17trampoline_kernelINS0_13select_configILj256ELj13ELNS0_17block_load_methodE3ELS4_3ELS4_3ELNS0_20block_scan_algorithmE0ELj4294967295EEENS1_25partition_config_selectorILNS1_17partition_subalgoE4EjNS0_10empty_typeEbEEZZNS1_14partition_implILS8_4ELb0ES6_15HIP_vector_typeIjLj2EENS0_17counting_iteratorIjlEEPS9_SG_NS0_5tupleIJPjSI_NS0_16reverse_iteratorISI_EEEEENSH_IJSG_SG_SG_EEES9_SI_JZNS1_25segmented_radix_sort_implINS0_14default_configELb1EPKaPaPKlPlN2at6native12_GLOBAL__N_18offset_tEEE10hipError_tPvRmT1_PNSt15iterator_traitsIS12_E10value_typeET2_T3_PNS13_IS18_E10value_typeET4_jRbjT5_S1E_jjP12ihipStream_tbEUljE_ZNSN_ISO_Lb1ESQ_SR_ST_SU_SY_EESZ_S10_S11_S12_S16_S17_S18_S1B_S1C_jS1D_jS1E_S1E_jjS1G_bEUljE0_EEESZ_S10_S11_S18_S1C_S1E_T6_T7_T9_mT8_S1G_bDpT10_ENKUlT_T0_E_clISt17integral_constantIbLb1EES1U_EEDaS1P_S1Q_EUlS1P_E_NS1_11comp_targetILNS1_3genE10ELNS1_11target_archE1200ELNS1_3gpuE4ELNS1_3repE0EEENS1_30default_config_static_selectorELNS0_4arch9wavefront6targetE0EEEvS12_
    .private_segment_fixed_size: 0
    .sgpr_count:     0
    .sgpr_spill_count: 0
    .symbol:         _ZN7rocprim17ROCPRIM_400000_NS6detail17trampoline_kernelINS0_13select_configILj256ELj13ELNS0_17block_load_methodE3ELS4_3ELS4_3ELNS0_20block_scan_algorithmE0ELj4294967295EEENS1_25partition_config_selectorILNS1_17partition_subalgoE4EjNS0_10empty_typeEbEEZZNS1_14partition_implILS8_4ELb0ES6_15HIP_vector_typeIjLj2EENS0_17counting_iteratorIjlEEPS9_SG_NS0_5tupleIJPjSI_NS0_16reverse_iteratorISI_EEEEENSH_IJSG_SG_SG_EEES9_SI_JZNS1_25segmented_radix_sort_implINS0_14default_configELb1EPKaPaPKlPlN2at6native12_GLOBAL__N_18offset_tEEE10hipError_tPvRmT1_PNSt15iterator_traitsIS12_E10value_typeET2_T3_PNS13_IS18_E10value_typeET4_jRbjT5_S1E_jjP12ihipStream_tbEUljE_ZNSN_ISO_Lb1ESQ_SR_ST_SU_SY_EESZ_S10_S11_S12_S16_S17_S18_S1B_S1C_jS1D_jS1E_S1E_jjS1G_bEUljE0_EEESZ_S10_S11_S18_S1C_S1E_T6_T7_T9_mT8_S1G_bDpT10_ENKUlT_T0_E_clISt17integral_constantIbLb1EES1U_EEDaS1P_S1Q_EUlS1P_E_NS1_11comp_targetILNS1_3genE10ELNS1_11target_archE1200ELNS1_3gpuE4ELNS1_3repE0EEENS1_30default_config_static_selectorELNS0_4arch9wavefront6targetE0EEEvS12_.kd
    .uniform_work_group_size: 1
    .uses_dynamic_stack: false
    .vgpr_count:     0
    .vgpr_spill_count: 0
    .wavefront_size: 32
  - .args:
      - .offset:         0
        .size:           184
        .value_kind:     by_value
    .group_segment_fixed_size: 0
    .kernarg_segment_align: 8
    .kernarg_segment_size: 184
    .language:       OpenCL C
    .language_version:
      - 2
      - 0
    .max_flat_workgroup_size: 256
    .name:           _ZN7rocprim17ROCPRIM_400000_NS6detail17trampoline_kernelINS0_13select_configILj256ELj13ELNS0_17block_load_methodE3ELS4_3ELS4_3ELNS0_20block_scan_algorithmE0ELj4294967295EEENS1_25partition_config_selectorILNS1_17partition_subalgoE4EjNS0_10empty_typeEbEEZZNS1_14partition_implILS8_4ELb0ES6_15HIP_vector_typeIjLj2EENS0_17counting_iteratorIjlEEPS9_SG_NS0_5tupleIJPjSI_NS0_16reverse_iteratorISI_EEEEENSH_IJSG_SG_SG_EEES9_SI_JZNS1_25segmented_radix_sort_implINS0_14default_configELb1EPKaPaPKlPlN2at6native12_GLOBAL__N_18offset_tEEE10hipError_tPvRmT1_PNSt15iterator_traitsIS12_E10value_typeET2_T3_PNS13_IS18_E10value_typeET4_jRbjT5_S1E_jjP12ihipStream_tbEUljE_ZNSN_ISO_Lb1ESQ_SR_ST_SU_SY_EESZ_S10_S11_S12_S16_S17_S18_S1B_S1C_jS1D_jS1E_S1E_jjS1G_bEUljE0_EEESZ_S10_S11_S18_S1C_S1E_T6_T7_T9_mT8_S1G_bDpT10_ENKUlT_T0_E_clISt17integral_constantIbLb1EES1U_EEDaS1P_S1Q_EUlS1P_E_NS1_11comp_targetILNS1_3genE9ELNS1_11target_archE1100ELNS1_3gpuE3ELNS1_3repE0EEENS1_30default_config_static_selectorELNS0_4arch9wavefront6targetE0EEEvS12_
    .private_segment_fixed_size: 0
    .sgpr_count:     0
    .sgpr_spill_count: 0
    .symbol:         _ZN7rocprim17ROCPRIM_400000_NS6detail17trampoline_kernelINS0_13select_configILj256ELj13ELNS0_17block_load_methodE3ELS4_3ELS4_3ELNS0_20block_scan_algorithmE0ELj4294967295EEENS1_25partition_config_selectorILNS1_17partition_subalgoE4EjNS0_10empty_typeEbEEZZNS1_14partition_implILS8_4ELb0ES6_15HIP_vector_typeIjLj2EENS0_17counting_iteratorIjlEEPS9_SG_NS0_5tupleIJPjSI_NS0_16reverse_iteratorISI_EEEEENSH_IJSG_SG_SG_EEES9_SI_JZNS1_25segmented_radix_sort_implINS0_14default_configELb1EPKaPaPKlPlN2at6native12_GLOBAL__N_18offset_tEEE10hipError_tPvRmT1_PNSt15iterator_traitsIS12_E10value_typeET2_T3_PNS13_IS18_E10value_typeET4_jRbjT5_S1E_jjP12ihipStream_tbEUljE_ZNSN_ISO_Lb1ESQ_SR_ST_SU_SY_EESZ_S10_S11_S12_S16_S17_S18_S1B_S1C_jS1D_jS1E_S1E_jjS1G_bEUljE0_EEESZ_S10_S11_S18_S1C_S1E_T6_T7_T9_mT8_S1G_bDpT10_ENKUlT_T0_E_clISt17integral_constantIbLb1EES1U_EEDaS1P_S1Q_EUlS1P_E_NS1_11comp_targetILNS1_3genE9ELNS1_11target_archE1100ELNS1_3gpuE3ELNS1_3repE0EEENS1_30default_config_static_selectorELNS0_4arch9wavefront6targetE0EEEvS12_.kd
    .uniform_work_group_size: 1
    .uses_dynamic_stack: false
    .vgpr_count:     0
    .vgpr_spill_count: 0
    .wavefront_size: 32
  - .args:
      - .offset:         0
        .size:           184
        .value_kind:     by_value
    .group_segment_fixed_size: 0
    .kernarg_segment_align: 8
    .kernarg_segment_size: 184
    .language:       OpenCL C
    .language_version:
      - 2
      - 0
    .max_flat_workgroup_size: 256
    .name:           _ZN7rocprim17ROCPRIM_400000_NS6detail17trampoline_kernelINS0_13select_configILj256ELj13ELNS0_17block_load_methodE3ELS4_3ELS4_3ELNS0_20block_scan_algorithmE0ELj4294967295EEENS1_25partition_config_selectorILNS1_17partition_subalgoE4EjNS0_10empty_typeEbEEZZNS1_14partition_implILS8_4ELb0ES6_15HIP_vector_typeIjLj2EENS0_17counting_iteratorIjlEEPS9_SG_NS0_5tupleIJPjSI_NS0_16reverse_iteratorISI_EEEEENSH_IJSG_SG_SG_EEES9_SI_JZNS1_25segmented_radix_sort_implINS0_14default_configELb1EPKaPaPKlPlN2at6native12_GLOBAL__N_18offset_tEEE10hipError_tPvRmT1_PNSt15iterator_traitsIS12_E10value_typeET2_T3_PNS13_IS18_E10value_typeET4_jRbjT5_S1E_jjP12ihipStream_tbEUljE_ZNSN_ISO_Lb1ESQ_SR_ST_SU_SY_EESZ_S10_S11_S12_S16_S17_S18_S1B_S1C_jS1D_jS1E_S1E_jjS1G_bEUljE0_EEESZ_S10_S11_S18_S1C_S1E_T6_T7_T9_mT8_S1G_bDpT10_ENKUlT_T0_E_clISt17integral_constantIbLb1EES1U_EEDaS1P_S1Q_EUlS1P_E_NS1_11comp_targetILNS1_3genE8ELNS1_11target_archE1030ELNS1_3gpuE2ELNS1_3repE0EEENS1_30default_config_static_selectorELNS0_4arch9wavefront6targetE0EEEvS12_
    .private_segment_fixed_size: 0
    .sgpr_count:     0
    .sgpr_spill_count: 0
    .symbol:         _ZN7rocprim17ROCPRIM_400000_NS6detail17trampoline_kernelINS0_13select_configILj256ELj13ELNS0_17block_load_methodE3ELS4_3ELS4_3ELNS0_20block_scan_algorithmE0ELj4294967295EEENS1_25partition_config_selectorILNS1_17partition_subalgoE4EjNS0_10empty_typeEbEEZZNS1_14partition_implILS8_4ELb0ES6_15HIP_vector_typeIjLj2EENS0_17counting_iteratorIjlEEPS9_SG_NS0_5tupleIJPjSI_NS0_16reverse_iteratorISI_EEEEENSH_IJSG_SG_SG_EEES9_SI_JZNS1_25segmented_radix_sort_implINS0_14default_configELb1EPKaPaPKlPlN2at6native12_GLOBAL__N_18offset_tEEE10hipError_tPvRmT1_PNSt15iterator_traitsIS12_E10value_typeET2_T3_PNS13_IS18_E10value_typeET4_jRbjT5_S1E_jjP12ihipStream_tbEUljE_ZNSN_ISO_Lb1ESQ_SR_ST_SU_SY_EESZ_S10_S11_S12_S16_S17_S18_S1B_S1C_jS1D_jS1E_S1E_jjS1G_bEUljE0_EEESZ_S10_S11_S18_S1C_S1E_T6_T7_T9_mT8_S1G_bDpT10_ENKUlT_T0_E_clISt17integral_constantIbLb1EES1U_EEDaS1P_S1Q_EUlS1P_E_NS1_11comp_targetILNS1_3genE8ELNS1_11target_archE1030ELNS1_3gpuE2ELNS1_3repE0EEENS1_30default_config_static_selectorELNS0_4arch9wavefront6targetE0EEEvS12_.kd
    .uniform_work_group_size: 1
    .uses_dynamic_stack: false
    .vgpr_count:     0
    .vgpr_spill_count: 0
    .wavefront_size: 32
  - .args:
      - .offset:         0
        .size:           176
        .value_kind:     by_value
    .group_segment_fixed_size: 0
    .kernarg_segment_align: 8
    .kernarg_segment_size: 176
    .language:       OpenCL C
    .language_version:
      - 2
      - 0
    .max_flat_workgroup_size: 256
    .name:           _ZN7rocprim17ROCPRIM_400000_NS6detail17trampoline_kernelINS0_13select_configILj256ELj13ELNS0_17block_load_methodE3ELS4_3ELS4_3ELNS0_20block_scan_algorithmE0ELj4294967295EEENS1_25partition_config_selectorILNS1_17partition_subalgoE4EjNS0_10empty_typeEbEEZZNS1_14partition_implILS8_4ELb0ES6_15HIP_vector_typeIjLj2EENS0_17counting_iteratorIjlEEPS9_SG_NS0_5tupleIJPjSI_NS0_16reverse_iteratorISI_EEEEENSH_IJSG_SG_SG_EEES9_SI_JZNS1_25segmented_radix_sort_implINS0_14default_configELb1EPKaPaPKlPlN2at6native12_GLOBAL__N_18offset_tEEE10hipError_tPvRmT1_PNSt15iterator_traitsIS12_E10value_typeET2_T3_PNS13_IS18_E10value_typeET4_jRbjT5_S1E_jjP12ihipStream_tbEUljE_ZNSN_ISO_Lb1ESQ_SR_ST_SU_SY_EESZ_S10_S11_S12_S16_S17_S18_S1B_S1C_jS1D_jS1E_S1E_jjS1G_bEUljE0_EEESZ_S10_S11_S18_S1C_S1E_T6_T7_T9_mT8_S1G_bDpT10_ENKUlT_T0_E_clISt17integral_constantIbLb1EES1T_IbLb0EEEEDaS1P_S1Q_EUlS1P_E_NS1_11comp_targetILNS1_3genE0ELNS1_11target_archE4294967295ELNS1_3gpuE0ELNS1_3repE0EEENS1_30default_config_static_selectorELNS0_4arch9wavefront6targetE0EEEvS12_
    .private_segment_fixed_size: 0
    .sgpr_count:     0
    .sgpr_spill_count: 0
    .symbol:         _ZN7rocprim17ROCPRIM_400000_NS6detail17trampoline_kernelINS0_13select_configILj256ELj13ELNS0_17block_load_methodE3ELS4_3ELS4_3ELNS0_20block_scan_algorithmE0ELj4294967295EEENS1_25partition_config_selectorILNS1_17partition_subalgoE4EjNS0_10empty_typeEbEEZZNS1_14partition_implILS8_4ELb0ES6_15HIP_vector_typeIjLj2EENS0_17counting_iteratorIjlEEPS9_SG_NS0_5tupleIJPjSI_NS0_16reverse_iteratorISI_EEEEENSH_IJSG_SG_SG_EEES9_SI_JZNS1_25segmented_radix_sort_implINS0_14default_configELb1EPKaPaPKlPlN2at6native12_GLOBAL__N_18offset_tEEE10hipError_tPvRmT1_PNSt15iterator_traitsIS12_E10value_typeET2_T3_PNS13_IS18_E10value_typeET4_jRbjT5_S1E_jjP12ihipStream_tbEUljE_ZNSN_ISO_Lb1ESQ_SR_ST_SU_SY_EESZ_S10_S11_S12_S16_S17_S18_S1B_S1C_jS1D_jS1E_S1E_jjS1G_bEUljE0_EEESZ_S10_S11_S18_S1C_S1E_T6_T7_T9_mT8_S1G_bDpT10_ENKUlT_T0_E_clISt17integral_constantIbLb1EES1T_IbLb0EEEEDaS1P_S1Q_EUlS1P_E_NS1_11comp_targetILNS1_3genE0ELNS1_11target_archE4294967295ELNS1_3gpuE0ELNS1_3repE0EEENS1_30default_config_static_selectorELNS0_4arch9wavefront6targetE0EEEvS12_.kd
    .uniform_work_group_size: 1
    .uses_dynamic_stack: false
    .vgpr_count:     0
    .vgpr_spill_count: 0
    .wavefront_size: 32
  - .args:
      - .offset:         0
        .size:           176
        .value_kind:     by_value
    .group_segment_fixed_size: 0
    .kernarg_segment_align: 8
    .kernarg_segment_size: 176
    .language:       OpenCL C
    .language_version:
      - 2
      - 0
    .max_flat_workgroup_size: 256
    .name:           _ZN7rocprim17ROCPRIM_400000_NS6detail17trampoline_kernelINS0_13select_configILj256ELj13ELNS0_17block_load_methodE3ELS4_3ELS4_3ELNS0_20block_scan_algorithmE0ELj4294967295EEENS1_25partition_config_selectorILNS1_17partition_subalgoE4EjNS0_10empty_typeEbEEZZNS1_14partition_implILS8_4ELb0ES6_15HIP_vector_typeIjLj2EENS0_17counting_iteratorIjlEEPS9_SG_NS0_5tupleIJPjSI_NS0_16reverse_iteratorISI_EEEEENSH_IJSG_SG_SG_EEES9_SI_JZNS1_25segmented_radix_sort_implINS0_14default_configELb1EPKaPaPKlPlN2at6native12_GLOBAL__N_18offset_tEEE10hipError_tPvRmT1_PNSt15iterator_traitsIS12_E10value_typeET2_T3_PNS13_IS18_E10value_typeET4_jRbjT5_S1E_jjP12ihipStream_tbEUljE_ZNSN_ISO_Lb1ESQ_SR_ST_SU_SY_EESZ_S10_S11_S12_S16_S17_S18_S1B_S1C_jS1D_jS1E_S1E_jjS1G_bEUljE0_EEESZ_S10_S11_S18_S1C_S1E_T6_T7_T9_mT8_S1G_bDpT10_ENKUlT_T0_E_clISt17integral_constantIbLb1EES1T_IbLb0EEEEDaS1P_S1Q_EUlS1P_E_NS1_11comp_targetILNS1_3genE5ELNS1_11target_archE942ELNS1_3gpuE9ELNS1_3repE0EEENS1_30default_config_static_selectorELNS0_4arch9wavefront6targetE0EEEvS12_
    .private_segment_fixed_size: 0
    .sgpr_count:     0
    .sgpr_spill_count: 0
    .symbol:         _ZN7rocprim17ROCPRIM_400000_NS6detail17trampoline_kernelINS0_13select_configILj256ELj13ELNS0_17block_load_methodE3ELS4_3ELS4_3ELNS0_20block_scan_algorithmE0ELj4294967295EEENS1_25partition_config_selectorILNS1_17partition_subalgoE4EjNS0_10empty_typeEbEEZZNS1_14partition_implILS8_4ELb0ES6_15HIP_vector_typeIjLj2EENS0_17counting_iteratorIjlEEPS9_SG_NS0_5tupleIJPjSI_NS0_16reverse_iteratorISI_EEEEENSH_IJSG_SG_SG_EEES9_SI_JZNS1_25segmented_radix_sort_implINS0_14default_configELb1EPKaPaPKlPlN2at6native12_GLOBAL__N_18offset_tEEE10hipError_tPvRmT1_PNSt15iterator_traitsIS12_E10value_typeET2_T3_PNS13_IS18_E10value_typeET4_jRbjT5_S1E_jjP12ihipStream_tbEUljE_ZNSN_ISO_Lb1ESQ_SR_ST_SU_SY_EESZ_S10_S11_S12_S16_S17_S18_S1B_S1C_jS1D_jS1E_S1E_jjS1G_bEUljE0_EEESZ_S10_S11_S18_S1C_S1E_T6_T7_T9_mT8_S1G_bDpT10_ENKUlT_T0_E_clISt17integral_constantIbLb1EES1T_IbLb0EEEEDaS1P_S1Q_EUlS1P_E_NS1_11comp_targetILNS1_3genE5ELNS1_11target_archE942ELNS1_3gpuE9ELNS1_3repE0EEENS1_30default_config_static_selectorELNS0_4arch9wavefront6targetE0EEEvS12_.kd
    .uniform_work_group_size: 1
    .uses_dynamic_stack: false
    .vgpr_count:     0
    .vgpr_spill_count: 0
    .wavefront_size: 32
  - .args:
      - .offset:         0
        .size:           176
        .value_kind:     by_value
    .group_segment_fixed_size: 0
    .kernarg_segment_align: 8
    .kernarg_segment_size: 176
    .language:       OpenCL C
    .language_version:
      - 2
      - 0
    .max_flat_workgroup_size: 256
    .name:           _ZN7rocprim17ROCPRIM_400000_NS6detail17trampoline_kernelINS0_13select_configILj256ELj13ELNS0_17block_load_methodE3ELS4_3ELS4_3ELNS0_20block_scan_algorithmE0ELj4294967295EEENS1_25partition_config_selectorILNS1_17partition_subalgoE4EjNS0_10empty_typeEbEEZZNS1_14partition_implILS8_4ELb0ES6_15HIP_vector_typeIjLj2EENS0_17counting_iteratorIjlEEPS9_SG_NS0_5tupleIJPjSI_NS0_16reverse_iteratorISI_EEEEENSH_IJSG_SG_SG_EEES9_SI_JZNS1_25segmented_radix_sort_implINS0_14default_configELb1EPKaPaPKlPlN2at6native12_GLOBAL__N_18offset_tEEE10hipError_tPvRmT1_PNSt15iterator_traitsIS12_E10value_typeET2_T3_PNS13_IS18_E10value_typeET4_jRbjT5_S1E_jjP12ihipStream_tbEUljE_ZNSN_ISO_Lb1ESQ_SR_ST_SU_SY_EESZ_S10_S11_S12_S16_S17_S18_S1B_S1C_jS1D_jS1E_S1E_jjS1G_bEUljE0_EEESZ_S10_S11_S18_S1C_S1E_T6_T7_T9_mT8_S1G_bDpT10_ENKUlT_T0_E_clISt17integral_constantIbLb1EES1T_IbLb0EEEEDaS1P_S1Q_EUlS1P_E_NS1_11comp_targetILNS1_3genE4ELNS1_11target_archE910ELNS1_3gpuE8ELNS1_3repE0EEENS1_30default_config_static_selectorELNS0_4arch9wavefront6targetE0EEEvS12_
    .private_segment_fixed_size: 0
    .sgpr_count:     0
    .sgpr_spill_count: 0
    .symbol:         _ZN7rocprim17ROCPRIM_400000_NS6detail17trampoline_kernelINS0_13select_configILj256ELj13ELNS0_17block_load_methodE3ELS4_3ELS4_3ELNS0_20block_scan_algorithmE0ELj4294967295EEENS1_25partition_config_selectorILNS1_17partition_subalgoE4EjNS0_10empty_typeEbEEZZNS1_14partition_implILS8_4ELb0ES6_15HIP_vector_typeIjLj2EENS0_17counting_iteratorIjlEEPS9_SG_NS0_5tupleIJPjSI_NS0_16reverse_iteratorISI_EEEEENSH_IJSG_SG_SG_EEES9_SI_JZNS1_25segmented_radix_sort_implINS0_14default_configELb1EPKaPaPKlPlN2at6native12_GLOBAL__N_18offset_tEEE10hipError_tPvRmT1_PNSt15iterator_traitsIS12_E10value_typeET2_T3_PNS13_IS18_E10value_typeET4_jRbjT5_S1E_jjP12ihipStream_tbEUljE_ZNSN_ISO_Lb1ESQ_SR_ST_SU_SY_EESZ_S10_S11_S12_S16_S17_S18_S1B_S1C_jS1D_jS1E_S1E_jjS1G_bEUljE0_EEESZ_S10_S11_S18_S1C_S1E_T6_T7_T9_mT8_S1G_bDpT10_ENKUlT_T0_E_clISt17integral_constantIbLb1EES1T_IbLb0EEEEDaS1P_S1Q_EUlS1P_E_NS1_11comp_targetILNS1_3genE4ELNS1_11target_archE910ELNS1_3gpuE8ELNS1_3repE0EEENS1_30default_config_static_selectorELNS0_4arch9wavefront6targetE0EEEvS12_.kd
    .uniform_work_group_size: 1
    .uses_dynamic_stack: false
    .vgpr_count:     0
    .vgpr_spill_count: 0
    .wavefront_size: 32
  - .args:
      - .offset:         0
        .size:           176
        .value_kind:     by_value
    .group_segment_fixed_size: 0
    .kernarg_segment_align: 8
    .kernarg_segment_size: 176
    .language:       OpenCL C
    .language_version:
      - 2
      - 0
    .max_flat_workgroup_size: 256
    .name:           _ZN7rocprim17ROCPRIM_400000_NS6detail17trampoline_kernelINS0_13select_configILj256ELj13ELNS0_17block_load_methodE3ELS4_3ELS4_3ELNS0_20block_scan_algorithmE0ELj4294967295EEENS1_25partition_config_selectorILNS1_17partition_subalgoE4EjNS0_10empty_typeEbEEZZNS1_14partition_implILS8_4ELb0ES6_15HIP_vector_typeIjLj2EENS0_17counting_iteratorIjlEEPS9_SG_NS0_5tupleIJPjSI_NS0_16reverse_iteratorISI_EEEEENSH_IJSG_SG_SG_EEES9_SI_JZNS1_25segmented_radix_sort_implINS0_14default_configELb1EPKaPaPKlPlN2at6native12_GLOBAL__N_18offset_tEEE10hipError_tPvRmT1_PNSt15iterator_traitsIS12_E10value_typeET2_T3_PNS13_IS18_E10value_typeET4_jRbjT5_S1E_jjP12ihipStream_tbEUljE_ZNSN_ISO_Lb1ESQ_SR_ST_SU_SY_EESZ_S10_S11_S12_S16_S17_S18_S1B_S1C_jS1D_jS1E_S1E_jjS1G_bEUljE0_EEESZ_S10_S11_S18_S1C_S1E_T6_T7_T9_mT8_S1G_bDpT10_ENKUlT_T0_E_clISt17integral_constantIbLb1EES1T_IbLb0EEEEDaS1P_S1Q_EUlS1P_E_NS1_11comp_targetILNS1_3genE3ELNS1_11target_archE908ELNS1_3gpuE7ELNS1_3repE0EEENS1_30default_config_static_selectorELNS0_4arch9wavefront6targetE0EEEvS12_
    .private_segment_fixed_size: 0
    .sgpr_count:     0
    .sgpr_spill_count: 0
    .symbol:         _ZN7rocprim17ROCPRIM_400000_NS6detail17trampoline_kernelINS0_13select_configILj256ELj13ELNS0_17block_load_methodE3ELS4_3ELS4_3ELNS0_20block_scan_algorithmE0ELj4294967295EEENS1_25partition_config_selectorILNS1_17partition_subalgoE4EjNS0_10empty_typeEbEEZZNS1_14partition_implILS8_4ELb0ES6_15HIP_vector_typeIjLj2EENS0_17counting_iteratorIjlEEPS9_SG_NS0_5tupleIJPjSI_NS0_16reverse_iteratorISI_EEEEENSH_IJSG_SG_SG_EEES9_SI_JZNS1_25segmented_radix_sort_implINS0_14default_configELb1EPKaPaPKlPlN2at6native12_GLOBAL__N_18offset_tEEE10hipError_tPvRmT1_PNSt15iterator_traitsIS12_E10value_typeET2_T3_PNS13_IS18_E10value_typeET4_jRbjT5_S1E_jjP12ihipStream_tbEUljE_ZNSN_ISO_Lb1ESQ_SR_ST_SU_SY_EESZ_S10_S11_S12_S16_S17_S18_S1B_S1C_jS1D_jS1E_S1E_jjS1G_bEUljE0_EEESZ_S10_S11_S18_S1C_S1E_T6_T7_T9_mT8_S1G_bDpT10_ENKUlT_T0_E_clISt17integral_constantIbLb1EES1T_IbLb0EEEEDaS1P_S1Q_EUlS1P_E_NS1_11comp_targetILNS1_3genE3ELNS1_11target_archE908ELNS1_3gpuE7ELNS1_3repE0EEENS1_30default_config_static_selectorELNS0_4arch9wavefront6targetE0EEEvS12_.kd
    .uniform_work_group_size: 1
    .uses_dynamic_stack: false
    .vgpr_count:     0
    .vgpr_spill_count: 0
    .wavefront_size: 32
  - .args:
      - .offset:         0
        .size:           176
        .value_kind:     by_value
    .group_segment_fixed_size: 0
    .kernarg_segment_align: 8
    .kernarg_segment_size: 176
    .language:       OpenCL C
    .language_version:
      - 2
      - 0
    .max_flat_workgroup_size: 256
    .name:           _ZN7rocprim17ROCPRIM_400000_NS6detail17trampoline_kernelINS0_13select_configILj256ELj13ELNS0_17block_load_methodE3ELS4_3ELS4_3ELNS0_20block_scan_algorithmE0ELj4294967295EEENS1_25partition_config_selectorILNS1_17partition_subalgoE4EjNS0_10empty_typeEbEEZZNS1_14partition_implILS8_4ELb0ES6_15HIP_vector_typeIjLj2EENS0_17counting_iteratorIjlEEPS9_SG_NS0_5tupleIJPjSI_NS0_16reverse_iteratorISI_EEEEENSH_IJSG_SG_SG_EEES9_SI_JZNS1_25segmented_radix_sort_implINS0_14default_configELb1EPKaPaPKlPlN2at6native12_GLOBAL__N_18offset_tEEE10hipError_tPvRmT1_PNSt15iterator_traitsIS12_E10value_typeET2_T3_PNS13_IS18_E10value_typeET4_jRbjT5_S1E_jjP12ihipStream_tbEUljE_ZNSN_ISO_Lb1ESQ_SR_ST_SU_SY_EESZ_S10_S11_S12_S16_S17_S18_S1B_S1C_jS1D_jS1E_S1E_jjS1G_bEUljE0_EEESZ_S10_S11_S18_S1C_S1E_T6_T7_T9_mT8_S1G_bDpT10_ENKUlT_T0_E_clISt17integral_constantIbLb1EES1T_IbLb0EEEEDaS1P_S1Q_EUlS1P_E_NS1_11comp_targetILNS1_3genE2ELNS1_11target_archE906ELNS1_3gpuE6ELNS1_3repE0EEENS1_30default_config_static_selectorELNS0_4arch9wavefront6targetE0EEEvS12_
    .private_segment_fixed_size: 0
    .sgpr_count:     0
    .sgpr_spill_count: 0
    .symbol:         _ZN7rocprim17ROCPRIM_400000_NS6detail17trampoline_kernelINS0_13select_configILj256ELj13ELNS0_17block_load_methodE3ELS4_3ELS4_3ELNS0_20block_scan_algorithmE0ELj4294967295EEENS1_25partition_config_selectorILNS1_17partition_subalgoE4EjNS0_10empty_typeEbEEZZNS1_14partition_implILS8_4ELb0ES6_15HIP_vector_typeIjLj2EENS0_17counting_iteratorIjlEEPS9_SG_NS0_5tupleIJPjSI_NS0_16reverse_iteratorISI_EEEEENSH_IJSG_SG_SG_EEES9_SI_JZNS1_25segmented_radix_sort_implINS0_14default_configELb1EPKaPaPKlPlN2at6native12_GLOBAL__N_18offset_tEEE10hipError_tPvRmT1_PNSt15iterator_traitsIS12_E10value_typeET2_T3_PNS13_IS18_E10value_typeET4_jRbjT5_S1E_jjP12ihipStream_tbEUljE_ZNSN_ISO_Lb1ESQ_SR_ST_SU_SY_EESZ_S10_S11_S12_S16_S17_S18_S1B_S1C_jS1D_jS1E_S1E_jjS1G_bEUljE0_EEESZ_S10_S11_S18_S1C_S1E_T6_T7_T9_mT8_S1G_bDpT10_ENKUlT_T0_E_clISt17integral_constantIbLb1EES1T_IbLb0EEEEDaS1P_S1Q_EUlS1P_E_NS1_11comp_targetILNS1_3genE2ELNS1_11target_archE906ELNS1_3gpuE6ELNS1_3repE0EEENS1_30default_config_static_selectorELNS0_4arch9wavefront6targetE0EEEvS12_.kd
    .uniform_work_group_size: 1
    .uses_dynamic_stack: false
    .vgpr_count:     0
    .vgpr_spill_count: 0
    .wavefront_size: 32
  - .args:
      - .offset:         0
        .size:           176
        .value_kind:     by_value
    .group_segment_fixed_size: 0
    .kernarg_segment_align: 8
    .kernarg_segment_size: 176
    .language:       OpenCL C
    .language_version:
      - 2
      - 0
    .max_flat_workgroup_size: 256
    .name:           _ZN7rocprim17ROCPRIM_400000_NS6detail17trampoline_kernelINS0_13select_configILj256ELj13ELNS0_17block_load_methodE3ELS4_3ELS4_3ELNS0_20block_scan_algorithmE0ELj4294967295EEENS1_25partition_config_selectorILNS1_17partition_subalgoE4EjNS0_10empty_typeEbEEZZNS1_14partition_implILS8_4ELb0ES6_15HIP_vector_typeIjLj2EENS0_17counting_iteratorIjlEEPS9_SG_NS0_5tupleIJPjSI_NS0_16reverse_iteratorISI_EEEEENSH_IJSG_SG_SG_EEES9_SI_JZNS1_25segmented_radix_sort_implINS0_14default_configELb1EPKaPaPKlPlN2at6native12_GLOBAL__N_18offset_tEEE10hipError_tPvRmT1_PNSt15iterator_traitsIS12_E10value_typeET2_T3_PNS13_IS18_E10value_typeET4_jRbjT5_S1E_jjP12ihipStream_tbEUljE_ZNSN_ISO_Lb1ESQ_SR_ST_SU_SY_EESZ_S10_S11_S12_S16_S17_S18_S1B_S1C_jS1D_jS1E_S1E_jjS1G_bEUljE0_EEESZ_S10_S11_S18_S1C_S1E_T6_T7_T9_mT8_S1G_bDpT10_ENKUlT_T0_E_clISt17integral_constantIbLb1EES1T_IbLb0EEEEDaS1P_S1Q_EUlS1P_E_NS1_11comp_targetILNS1_3genE10ELNS1_11target_archE1200ELNS1_3gpuE4ELNS1_3repE0EEENS1_30default_config_static_selectorELNS0_4arch9wavefront6targetE0EEEvS12_
    .private_segment_fixed_size: 0
    .sgpr_count:     0
    .sgpr_spill_count: 0
    .symbol:         _ZN7rocprim17ROCPRIM_400000_NS6detail17trampoline_kernelINS0_13select_configILj256ELj13ELNS0_17block_load_methodE3ELS4_3ELS4_3ELNS0_20block_scan_algorithmE0ELj4294967295EEENS1_25partition_config_selectorILNS1_17partition_subalgoE4EjNS0_10empty_typeEbEEZZNS1_14partition_implILS8_4ELb0ES6_15HIP_vector_typeIjLj2EENS0_17counting_iteratorIjlEEPS9_SG_NS0_5tupleIJPjSI_NS0_16reverse_iteratorISI_EEEEENSH_IJSG_SG_SG_EEES9_SI_JZNS1_25segmented_radix_sort_implINS0_14default_configELb1EPKaPaPKlPlN2at6native12_GLOBAL__N_18offset_tEEE10hipError_tPvRmT1_PNSt15iterator_traitsIS12_E10value_typeET2_T3_PNS13_IS18_E10value_typeET4_jRbjT5_S1E_jjP12ihipStream_tbEUljE_ZNSN_ISO_Lb1ESQ_SR_ST_SU_SY_EESZ_S10_S11_S12_S16_S17_S18_S1B_S1C_jS1D_jS1E_S1E_jjS1G_bEUljE0_EEESZ_S10_S11_S18_S1C_S1E_T6_T7_T9_mT8_S1G_bDpT10_ENKUlT_T0_E_clISt17integral_constantIbLb1EES1T_IbLb0EEEEDaS1P_S1Q_EUlS1P_E_NS1_11comp_targetILNS1_3genE10ELNS1_11target_archE1200ELNS1_3gpuE4ELNS1_3repE0EEENS1_30default_config_static_selectorELNS0_4arch9wavefront6targetE0EEEvS12_.kd
    .uniform_work_group_size: 1
    .uses_dynamic_stack: false
    .vgpr_count:     0
    .vgpr_spill_count: 0
    .wavefront_size: 32
  - .args:
      - .offset:         0
        .size:           176
        .value_kind:     by_value
    .group_segment_fixed_size: 0
    .kernarg_segment_align: 8
    .kernarg_segment_size: 176
    .language:       OpenCL C
    .language_version:
      - 2
      - 0
    .max_flat_workgroup_size: 256
    .name:           _ZN7rocprim17ROCPRIM_400000_NS6detail17trampoline_kernelINS0_13select_configILj256ELj13ELNS0_17block_load_methodE3ELS4_3ELS4_3ELNS0_20block_scan_algorithmE0ELj4294967295EEENS1_25partition_config_selectorILNS1_17partition_subalgoE4EjNS0_10empty_typeEbEEZZNS1_14partition_implILS8_4ELb0ES6_15HIP_vector_typeIjLj2EENS0_17counting_iteratorIjlEEPS9_SG_NS0_5tupleIJPjSI_NS0_16reverse_iteratorISI_EEEEENSH_IJSG_SG_SG_EEES9_SI_JZNS1_25segmented_radix_sort_implINS0_14default_configELb1EPKaPaPKlPlN2at6native12_GLOBAL__N_18offset_tEEE10hipError_tPvRmT1_PNSt15iterator_traitsIS12_E10value_typeET2_T3_PNS13_IS18_E10value_typeET4_jRbjT5_S1E_jjP12ihipStream_tbEUljE_ZNSN_ISO_Lb1ESQ_SR_ST_SU_SY_EESZ_S10_S11_S12_S16_S17_S18_S1B_S1C_jS1D_jS1E_S1E_jjS1G_bEUljE0_EEESZ_S10_S11_S18_S1C_S1E_T6_T7_T9_mT8_S1G_bDpT10_ENKUlT_T0_E_clISt17integral_constantIbLb1EES1T_IbLb0EEEEDaS1P_S1Q_EUlS1P_E_NS1_11comp_targetILNS1_3genE9ELNS1_11target_archE1100ELNS1_3gpuE3ELNS1_3repE0EEENS1_30default_config_static_selectorELNS0_4arch9wavefront6targetE0EEEvS12_
    .private_segment_fixed_size: 0
    .sgpr_count:     0
    .sgpr_spill_count: 0
    .symbol:         _ZN7rocprim17ROCPRIM_400000_NS6detail17trampoline_kernelINS0_13select_configILj256ELj13ELNS0_17block_load_methodE3ELS4_3ELS4_3ELNS0_20block_scan_algorithmE0ELj4294967295EEENS1_25partition_config_selectorILNS1_17partition_subalgoE4EjNS0_10empty_typeEbEEZZNS1_14partition_implILS8_4ELb0ES6_15HIP_vector_typeIjLj2EENS0_17counting_iteratorIjlEEPS9_SG_NS0_5tupleIJPjSI_NS0_16reverse_iteratorISI_EEEEENSH_IJSG_SG_SG_EEES9_SI_JZNS1_25segmented_radix_sort_implINS0_14default_configELb1EPKaPaPKlPlN2at6native12_GLOBAL__N_18offset_tEEE10hipError_tPvRmT1_PNSt15iterator_traitsIS12_E10value_typeET2_T3_PNS13_IS18_E10value_typeET4_jRbjT5_S1E_jjP12ihipStream_tbEUljE_ZNSN_ISO_Lb1ESQ_SR_ST_SU_SY_EESZ_S10_S11_S12_S16_S17_S18_S1B_S1C_jS1D_jS1E_S1E_jjS1G_bEUljE0_EEESZ_S10_S11_S18_S1C_S1E_T6_T7_T9_mT8_S1G_bDpT10_ENKUlT_T0_E_clISt17integral_constantIbLb1EES1T_IbLb0EEEEDaS1P_S1Q_EUlS1P_E_NS1_11comp_targetILNS1_3genE9ELNS1_11target_archE1100ELNS1_3gpuE3ELNS1_3repE0EEENS1_30default_config_static_selectorELNS0_4arch9wavefront6targetE0EEEvS12_.kd
    .uniform_work_group_size: 1
    .uses_dynamic_stack: false
    .vgpr_count:     0
    .vgpr_spill_count: 0
    .wavefront_size: 32
  - .args:
      - .offset:         0
        .size:           176
        .value_kind:     by_value
    .group_segment_fixed_size: 0
    .kernarg_segment_align: 8
    .kernarg_segment_size: 176
    .language:       OpenCL C
    .language_version:
      - 2
      - 0
    .max_flat_workgroup_size: 256
    .name:           _ZN7rocprim17ROCPRIM_400000_NS6detail17trampoline_kernelINS0_13select_configILj256ELj13ELNS0_17block_load_methodE3ELS4_3ELS4_3ELNS0_20block_scan_algorithmE0ELj4294967295EEENS1_25partition_config_selectorILNS1_17partition_subalgoE4EjNS0_10empty_typeEbEEZZNS1_14partition_implILS8_4ELb0ES6_15HIP_vector_typeIjLj2EENS0_17counting_iteratorIjlEEPS9_SG_NS0_5tupleIJPjSI_NS0_16reverse_iteratorISI_EEEEENSH_IJSG_SG_SG_EEES9_SI_JZNS1_25segmented_radix_sort_implINS0_14default_configELb1EPKaPaPKlPlN2at6native12_GLOBAL__N_18offset_tEEE10hipError_tPvRmT1_PNSt15iterator_traitsIS12_E10value_typeET2_T3_PNS13_IS18_E10value_typeET4_jRbjT5_S1E_jjP12ihipStream_tbEUljE_ZNSN_ISO_Lb1ESQ_SR_ST_SU_SY_EESZ_S10_S11_S12_S16_S17_S18_S1B_S1C_jS1D_jS1E_S1E_jjS1G_bEUljE0_EEESZ_S10_S11_S18_S1C_S1E_T6_T7_T9_mT8_S1G_bDpT10_ENKUlT_T0_E_clISt17integral_constantIbLb1EES1T_IbLb0EEEEDaS1P_S1Q_EUlS1P_E_NS1_11comp_targetILNS1_3genE8ELNS1_11target_archE1030ELNS1_3gpuE2ELNS1_3repE0EEENS1_30default_config_static_selectorELNS0_4arch9wavefront6targetE0EEEvS12_
    .private_segment_fixed_size: 0
    .sgpr_count:     0
    .sgpr_spill_count: 0
    .symbol:         _ZN7rocprim17ROCPRIM_400000_NS6detail17trampoline_kernelINS0_13select_configILj256ELj13ELNS0_17block_load_methodE3ELS4_3ELS4_3ELNS0_20block_scan_algorithmE0ELj4294967295EEENS1_25partition_config_selectorILNS1_17partition_subalgoE4EjNS0_10empty_typeEbEEZZNS1_14partition_implILS8_4ELb0ES6_15HIP_vector_typeIjLj2EENS0_17counting_iteratorIjlEEPS9_SG_NS0_5tupleIJPjSI_NS0_16reverse_iteratorISI_EEEEENSH_IJSG_SG_SG_EEES9_SI_JZNS1_25segmented_radix_sort_implINS0_14default_configELb1EPKaPaPKlPlN2at6native12_GLOBAL__N_18offset_tEEE10hipError_tPvRmT1_PNSt15iterator_traitsIS12_E10value_typeET2_T3_PNS13_IS18_E10value_typeET4_jRbjT5_S1E_jjP12ihipStream_tbEUljE_ZNSN_ISO_Lb1ESQ_SR_ST_SU_SY_EESZ_S10_S11_S12_S16_S17_S18_S1B_S1C_jS1D_jS1E_S1E_jjS1G_bEUljE0_EEESZ_S10_S11_S18_S1C_S1E_T6_T7_T9_mT8_S1G_bDpT10_ENKUlT_T0_E_clISt17integral_constantIbLb1EES1T_IbLb0EEEEDaS1P_S1Q_EUlS1P_E_NS1_11comp_targetILNS1_3genE8ELNS1_11target_archE1030ELNS1_3gpuE2ELNS1_3repE0EEENS1_30default_config_static_selectorELNS0_4arch9wavefront6targetE0EEEvS12_.kd
    .uniform_work_group_size: 1
    .uses_dynamic_stack: false
    .vgpr_count:     0
    .vgpr_spill_count: 0
    .wavefront_size: 32
  - .args:
      - .offset:         0
        .size:           184
        .value_kind:     by_value
    .group_segment_fixed_size: 13328
    .kernarg_segment_align: 8
    .kernarg_segment_size: 184
    .language:       OpenCL C
    .language_version:
      - 2
      - 0
    .max_flat_workgroup_size: 256
    .name:           _ZN7rocprim17ROCPRIM_400000_NS6detail17trampoline_kernelINS0_13select_configILj256ELj13ELNS0_17block_load_methodE3ELS4_3ELS4_3ELNS0_20block_scan_algorithmE0ELj4294967295EEENS1_25partition_config_selectorILNS1_17partition_subalgoE4EjNS0_10empty_typeEbEEZZNS1_14partition_implILS8_4ELb0ES6_15HIP_vector_typeIjLj2EENS0_17counting_iteratorIjlEEPS9_SG_NS0_5tupleIJPjSI_NS0_16reverse_iteratorISI_EEEEENSH_IJSG_SG_SG_EEES9_SI_JZNS1_25segmented_radix_sort_implINS0_14default_configELb1EPKaPaPKlPlN2at6native12_GLOBAL__N_18offset_tEEE10hipError_tPvRmT1_PNSt15iterator_traitsIS12_E10value_typeET2_T3_PNS13_IS18_E10value_typeET4_jRbjT5_S1E_jjP12ihipStream_tbEUljE_ZNSN_ISO_Lb1ESQ_SR_ST_SU_SY_EESZ_S10_S11_S12_S16_S17_S18_S1B_S1C_jS1D_jS1E_S1E_jjS1G_bEUljE0_EEESZ_S10_S11_S18_S1C_S1E_T6_T7_T9_mT8_S1G_bDpT10_ENKUlT_T0_E_clISt17integral_constantIbLb0EES1T_IbLb1EEEEDaS1P_S1Q_EUlS1P_E_NS1_11comp_targetILNS1_3genE0ELNS1_11target_archE4294967295ELNS1_3gpuE0ELNS1_3repE0EEENS1_30default_config_static_selectorELNS0_4arch9wavefront6targetE0EEEvS12_
    .private_segment_fixed_size: 0
    .sgpr_count:     57
    .sgpr_spill_count: 0
    .symbol:         _ZN7rocprim17ROCPRIM_400000_NS6detail17trampoline_kernelINS0_13select_configILj256ELj13ELNS0_17block_load_methodE3ELS4_3ELS4_3ELNS0_20block_scan_algorithmE0ELj4294967295EEENS1_25partition_config_selectorILNS1_17partition_subalgoE4EjNS0_10empty_typeEbEEZZNS1_14partition_implILS8_4ELb0ES6_15HIP_vector_typeIjLj2EENS0_17counting_iteratorIjlEEPS9_SG_NS0_5tupleIJPjSI_NS0_16reverse_iteratorISI_EEEEENSH_IJSG_SG_SG_EEES9_SI_JZNS1_25segmented_radix_sort_implINS0_14default_configELb1EPKaPaPKlPlN2at6native12_GLOBAL__N_18offset_tEEE10hipError_tPvRmT1_PNSt15iterator_traitsIS12_E10value_typeET2_T3_PNS13_IS18_E10value_typeET4_jRbjT5_S1E_jjP12ihipStream_tbEUljE_ZNSN_ISO_Lb1ESQ_SR_ST_SU_SY_EESZ_S10_S11_S12_S16_S17_S18_S1B_S1C_jS1D_jS1E_S1E_jjS1G_bEUljE0_EEESZ_S10_S11_S18_S1C_S1E_T6_T7_T9_mT8_S1G_bDpT10_ENKUlT_T0_E_clISt17integral_constantIbLb0EES1T_IbLb1EEEEDaS1P_S1Q_EUlS1P_E_NS1_11comp_targetILNS1_3genE0ELNS1_11target_archE4294967295ELNS1_3gpuE0ELNS1_3repE0EEENS1_30default_config_static_selectorELNS0_4arch9wavefront6targetE0EEEvS12_.kd
    .uniform_work_group_size: 1
    .uses_dynamic_stack: false
    .vgpr_count:     86
    .vgpr_spill_count: 0
    .wavefront_size: 32
  - .args:
      - .offset:         0
        .size:           184
        .value_kind:     by_value
    .group_segment_fixed_size: 0
    .kernarg_segment_align: 8
    .kernarg_segment_size: 184
    .language:       OpenCL C
    .language_version:
      - 2
      - 0
    .max_flat_workgroup_size: 256
    .name:           _ZN7rocprim17ROCPRIM_400000_NS6detail17trampoline_kernelINS0_13select_configILj256ELj13ELNS0_17block_load_methodE3ELS4_3ELS4_3ELNS0_20block_scan_algorithmE0ELj4294967295EEENS1_25partition_config_selectorILNS1_17partition_subalgoE4EjNS0_10empty_typeEbEEZZNS1_14partition_implILS8_4ELb0ES6_15HIP_vector_typeIjLj2EENS0_17counting_iteratorIjlEEPS9_SG_NS0_5tupleIJPjSI_NS0_16reverse_iteratorISI_EEEEENSH_IJSG_SG_SG_EEES9_SI_JZNS1_25segmented_radix_sort_implINS0_14default_configELb1EPKaPaPKlPlN2at6native12_GLOBAL__N_18offset_tEEE10hipError_tPvRmT1_PNSt15iterator_traitsIS12_E10value_typeET2_T3_PNS13_IS18_E10value_typeET4_jRbjT5_S1E_jjP12ihipStream_tbEUljE_ZNSN_ISO_Lb1ESQ_SR_ST_SU_SY_EESZ_S10_S11_S12_S16_S17_S18_S1B_S1C_jS1D_jS1E_S1E_jjS1G_bEUljE0_EEESZ_S10_S11_S18_S1C_S1E_T6_T7_T9_mT8_S1G_bDpT10_ENKUlT_T0_E_clISt17integral_constantIbLb0EES1T_IbLb1EEEEDaS1P_S1Q_EUlS1P_E_NS1_11comp_targetILNS1_3genE5ELNS1_11target_archE942ELNS1_3gpuE9ELNS1_3repE0EEENS1_30default_config_static_selectorELNS0_4arch9wavefront6targetE0EEEvS12_
    .private_segment_fixed_size: 0
    .sgpr_count:     0
    .sgpr_spill_count: 0
    .symbol:         _ZN7rocprim17ROCPRIM_400000_NS6detail17trampoline_kernelINS0_13select_configILj256ELj13ELNS0_17block_load_methodE3ELS4_3ELS4_3ELNS0_20block_scan_algorithmE0ELj4294967295EEENS1_25partition_config_selectorILNS1_17partition_subalgoE4EjNS0_10empty_typeEbEEZZNS1_14partition_implILS8_4ELb0ES6_15HIP_vector_typeIjLj2EENS0_17counting_iteratorIjlEEPS9_SG_NS0_5tupleIJPjSI_NS0_16reverse_iteratorISI_EEEEENSH_IJSG_SG_SG_EEES9_SI_JZNS1_25segmented_radix_sort_implINS0_14default_configELb1EPKaPaPKlPlN2at6native12_GLOBAL__N_18offset_tEEE10hipError_tPvRmT1_PNSt15iterator_traitsIS12_E10value_typeET2_T3_PNS13_IS18_E10value_typeET4_jRbjT5_S1E_jjP12ihipStream_tbEUljE_ZNSN_ISO_Lb1ESQ_SR_ST_SU_SY_EESZ_S10_S11_S12_S16_S17_S18_S1B_S1C_jS1D_jS1E_S1E_jjS1G_bEUljE0_EEESZ_S10_S11_S18_S1C_S1E_T6_T7_T9_mT8_S1G_bDpT10_ENKUlT_T0_E_clISt17integral_constantIbLb0EES1T_IbLb1EEEEDaS1P_S1Q_EUlS1P_E_NS1_11comp_targetILNS1_3genE5ELNS1_11target_archE942ELNS1_3gpuE9ELNS1_3repE0EEENS1_30default_config_static_selectorELNS0_4arch9wavefront6targetE0EEEvS12_.kd
    .uniform_work_group_size: 1
    .uses_dynamic_stack: false
    .vgpr_count:     0
    .vgpr_spill_count: 0
    .wavefront_size: 32
  - .args:
      - .offset:         0
        .size:           184
        .value_kind:     by_value
    .group_segment_fixed_size: 0
    .kernarg_segment_align: 8
    .kernarg_segment_size: 184
    .language:       OpenCL C
    .language_version:
      - 2
      - 0
    .max_flat_workgroup_size: 256
    .name:           _ZN7rocprim17ROCPRIM_400000_NS6detail17trampoline_kernelINS0_13select_configILj256ELj13ELNS0_17block_load_methodE3ELS4_3ELS4_3ELNS0_20block_scan_algorithmE0ELj4294967295EEENS1_25partition_config_selectorILNS1_17partition_subalgoE4EjNS0_10empty_typeEbEEZZNS1_14partition_implILS8_4ELb0ES6_15HIP_vector_typeIjLj2EENS0_17counting_iteratorIjlEEPS9_SG_NS0_5tupleIJPjSI_NS0_16reverse_iteratorISI_EEEEENSH_IJSG_SG_SG_EEES9_SI_JZNS1_25segmented_radix_sort_implINS0_14default_configELb1EPKaPaPKlPlN2at6native12_GLOBAL__N_18offset_tEEE10hipError_tPvRmT1_PNSt15iterator_traitsIS12_E10value_typeET2_T3_PNS13_IS18_E10value_typeET4_jRbjT5_S1E_jjP12ihipStream_tbEUljE_ZNSN_ISO_Lb1ESQ_SR_ST_SU_SY_EESZ_S10_S11_S12_S16_S17_S18_S1B_S1C_jS1D_jS1E_S1E_jjS1G_bEUljE0_EEESZ_S10_S11_S18_S1C_S1E_T6_T7_T9_mT8_S1G_bDpT10_ENKUlT_T0_E_clISt17integral_constantIbLb0EES1T_IbLb1EEEEDaS1P_S1Q_EUlS1P_E_NS1_11comp_targetILNS1_3genE4ELNS1_11target_archE910ELNS1_3gpuE8ELNS1_3repE0EEENS1_30default_config_static_selectorELNS0_4arch9wavefront6targetE0EEEvS12_
    .private_segment_fixed_size: 0
    .sgpr_count:     0
    .sgpr_spill_count: 0
    .symbol:         _ZN7rocprim17ROCPRIM_400000_NS6detail17trampoline_kernelINS0_13select_configILj256ELj13ELNS0_17block_load_methodE3ELS4_3ELS4_3ELNS0_20block_scan_algorithmE0ELj4294967295EEENS1_25partition_config_selectorILNS1_17partition_subalgoE4EjNS0_10empty_typeEbEEZZNS1_14partition_implILS8_4ELb0ES6_15HIP_vector_typeIjLj2EENS0_17counting_iteratorIjlEEPS9_SG_NS0_5tupleIJPjSI_NS0_16reverse_iteratorISI_EEEEENSH_IJSG_SG_SG_EEES9_SI_JZNS1_25segmented_radix_sort_implINS0_14default_configELb1EPKaPaPKlPlN2at6native12_GLOBAL__N_18offset_tEEE10hipError_tPvRmT1_PNSt15iterator_traitsIS12_E10value_typeET2_T3_PNS13_IS18_E10value_typeET4_jRbjT5_S1E_jjP12ihipStream_tbEUljE_ZNSN_ISO_Lb1ESQ_SR_ST_SU_SY_EESZ_S10_S11_S12_S16_S17_S18_S1B_S1C_jS1D_jS1E_S1E_jjS1G_bEUljE0_EEESZ_S10_S11_S18_S1C_S1E_T6_T7_T9_mT8_S1G_bDpT10_ENKUlT_T0_E_clISt17integral_constantIbLb0EES1T_IbLb1EEEEDaS1P_S1Q_EUlS1P_E_NS1_11comp_targetILNS1_3genE4ELNS1_11target_archE910ELNS1_3gpuE8ELNS1_3repE0EEENS1_30default_config_static_selectorELNS0_4arch9wavefront6targetE0EEEvS12_.kd
    .uniform_work_group_size: 1
    .uses_dynamic_stack: false
    .vgpr_count:     0
    .vgpr_spill_count: 0
    .wavefront_size: 32
  - .args:
      - .offset:         0
        .size:           184
        .value_kind:     by_value
    .group_segment_fixed_size: 0
    .kernarg_segment_align: 8
    .kernarg_segment_size: 184
    .language:       OpenCL C
    .language_version:
      - 2
      - 0
    .max_flat_workgroup_size: 256
    .name:           _ZN7rocprim17ROCPRIM_400000_NS6detail17trampoline_kernelINS0_13select_configILj256ELj13ELNS0_17block_load_methodE3ELS4_3ELS4_3ELNS0_20block_scan_algorithmE0ELj4294967295EEENS1_25partition_config_selectorILNS1_17partition_subalgoE4EjNS0_10empty_typeEbEEZZNS1_14partition_implILS8_4ELb0ES6_15HIP_vector_typeIjLj2EENS0_17counting_iteratorIjlEEPS9_SG_NS0_5tupleIJPjSI_NS0_16reverse_iteratorISI_EEEEENSH_IJSG_SG_SG_EEES9_SI_JZNS1_25segmented_radix_sort_implINS0_14default_configELb1EPKaPaPKlPlN2at6native12_GLOBAL__N_18offset_tEEE10hipError_tPvRmT1_PNSt15iterator_traitsIS12_E10value_typeET2_T3_PNS13_IS18_E10value_typeET4_jRbjT5_S1E_jjP12ihipStream_tbEUljE_ZNSN_ISO_Lb1ESQ_SR_ST_SU_SY_EESZ_S10_S11_S12_S16_S17_S18_S1B_S1C_jS1D_jS1E_S1E_jjS1G_bEUljE0_EEESZ_S10_S11_S18_S1C_S1E_T6_T7_T9_mT8_S1G_bDpT10_ENKUlT_T0_E_clISt17integral_constantIbLb0EES1T_IbLb1EEEEDaS1P_S1Q_EUlS1P_E_NS1_11comp_targetILNS1_3genE3ELNS1_11target_archE908ELNS1_3gpuE7ELNS1_3repE0EEENS1_30default_config_static_selectorELNS0_4arch9wavefront6targetE0EEEvS12_
    .private_segment_fixed_size: 0
    .sgpr_count:     0
    .sgpr_spill_count: 0
    .symbol:         _ZN7rocprim17ROCPRIM_400000_NS6detail17trampoline_kernelINS0_13select_configILj256ELj13ELNS0_17block_load_methodE3ELS4_3ELS4_3ELNS0_20block_scan_algorithmE0ELj4294967295EEENS1_25partition_config_selectorILNS1_17partition_subalgoE4EjNS0_10empty_typeEbEEZZNS1_14partition_implILS8_4ELb0ES6_15HIP_vector_typeIjLj2EENS0_17counting_iteratorIjlEEPS9_SG_NS0_5tupleIJPjSI_NS0_16reverse_iteratorISI_EEEEENSH_IJSG_SG_SG_EEES9_SI_JZNS1_25segmented_radix_sort_implINS0_14default_configELb1EPKaPaPKlPlN2at6native12_GLOBAL__N_18offset_tEEE10hipError_tPvRmT1_PNSt15iterator_traitsIS12_E10value_typeET2_T3_PNS13_IS18_E10value_typeET4_jRbjT5_S1E_jjP12ihipStream_tbEUljE_ZNSN_ISO_Lb1ESQ_SR_ST_SU_SY_EESZ_S10_S11_S12_S16_S17_S18_S1B_S1C_jS1D_jS1E_S1E_jjS1G_bEUljE0_EEESZ_S10_S11_S18_S1C_S1E_T6_T7_T9_mT8_S1G_bDpT10_ENKUlT_T0_E_clISt17integral_constantIbLb0EES1T_IbLb1EEEEDaS1P_S1Q_EUlS1P_E_NS1_11comp_targetILNS1_3genE3ELNS1_11target_archE908ELNS1_3gpuE7ELNS1_3repE0EEENS1_30default_config_static_selectorELNS0_4arch9wavefront6targetE0EEEvS12_.kd
    .uniform_work_group_size: 1
    .uses_dynamic_stack: false
    .vgpr_count:     0
    .vgpr_spill_count: 0
    .wavefront_size: 32
  - .args:
      - .offset:         0
        .size:           184
        .value_kind:     by_value
    .group_segment_fixed_size: 0
    .kernarg_segment_align: 8
    .kernarg_segment_size: 184
    .language:       OpenCL C
    .language_version:
      - 2
      - 0
    .max_flat_workgroup_size: 256
    .name:           _ZN7rocprim17ROCPRIM_400000_NS6detail17trampoline_kernelINS0_13select_configILj256ELj13ELNS0_17block_load_methodE3ELS4_3ELS4_3ELNS0_20block_scan_algorithmE0ELj4294967295EEENS1_25partition_config_selectorILNS1_17partition_subalgoE4EjNS0_10empty_typeEbEEZZNS1_14partition_implILS8_4ELb0ES6_15HIP_vector_typeIjLj2EENS0_17counting_iteratorIjlEEPS9_SG_NS0_5tupleIJPjSI_NS0_16reverse_iteratorISI_EEEEENSH_IJSG_SG_SG_EEES9_SI_JZNS1_25segmented_radix_sort_implINS0_14default_configELb1EPKaPaPKlPlN2at6native12_GLOBAL__N_18offset_tEEE10hipError_tPvRmT1_PNSt15iterator_traitsIS12_E10value_typeET2_T3_PNS13_IS18_E10value_typeET4_jRbjT5_S1E_jjP12ihipStream_tbEUljE_ZNSN_ISO_Lb1ESQ_SR_ST_SU_SY_EESZ_S10_S11_S12_S16_S17_S18_S1B_S1C_jS1D_jS1E_S1E_jjS1G_bEUljE0_EEESZ_S10_S11_S18_S1C_S1E_T6_T7_T9_mT8_S1G_bDpT10_ENKUlT_T0_E_clISt17integral_constantIbLb0EES1T_IbLb1EEEEDaS1P_S1Q_EUlS1P_E_NS1_11comp_targetILNS1_3genE2ELNS1_11target_archE906ELNS1_3gpuE6ELNS1_3repE0EEENS1_30default_config_static_selectorELNS0_4arch9wavefront6targetE0EEEvS12_
    .private_segment_fixed_size: 0
    .sgpr_count:     0
    .sgpr_spill_count: 0
    .symbol:         _ZN7rocprim17ROCPRIM_400000_NS6detail17trampoline_kernelINS0_13select_configILj256ELj13ELNS0_17block_load_methodE3ELS4_3ELS4_3ELNS0_20block_scan_algorithmE0ELj4294967295EEENS1_25partition_config_selectorILNS1_17partition_subalgoE4EjNS0_10empty_typeEbEEZZNS1_14partition_implILS8_4ELb0ES6_15HIP_vector_typeIjLj2EENS0_17counting_iteratorIjlEEPS9_SG_NS0_5tupleIJPjSI_NS0_16reverse_iteratorISI_EEEEENSH_IJSG_SG_SG_EEES9_SI_JZNS1_25segmented_radix_sort_implINS0_14default_configELb1EPKaPaPKlPlN2at6native12_GLOBAL__N_18offset_tEEE10hipError_tPvRmT1_PNSt15iterator_traitsIS12_E10value_typeET2_T3_PNS13_IS18_E10value_typeET4_jRbjT5_S1E_jjP12ihipStream_tbEUljE_ZNSN_ISO_Lb1ESQ_SR_ST_SU_SY_EESZ_S10_S11_S12_S16_S17_S18_S1B_S1C_jS1D_jS1E_S1E_jjS1G_bEUljE0_EEESZ_S10_S11_S18_S1C_S1E_T6_T7_T9_mT8_S1G_bDpT10_ENKUlT_T0_E_clISt17integral_constantIbLb0EES1T_IbLb1EEEEDaS1P_S1Q_EUlS1P_E_NS1_11comp_targetILNS1_3genE2ELNS1_11target_archE906ELNS1_3gpuE6ELNS1_3repE0EEENS1_30default_config_static_selectorELNS0_4arch9wavefront6targetE0EEEvS12_.kd
    .uniform_work_group_size: 1
    .uses_dynamic_stack: false
    .vgpr_count:     0
    .vgpr_spill_count: 0
    .wavefront_size: 32
  - .args:
      - .offset:         0
        .size:           184
        .value_kind:     by_value
    .group_segment_fixed_size: 0
    .kernarg_segment_align: 8
    .kernarg_segment_size: 184
    .language:       OpenCL C
    .language_version:
      - 2
      - 0
    .max_flat_workgroup_size: 256
    .name:           _ZN7rocprim17ROCPRIM_400000_NS6detail17trampoline_kernelINS0_13select_configILj256ELj13ELNS0_17block_load_methodE3ELS4_3ELS4_3ELNS0_20block_scan_algorithmE0ELj4294967295EEENS1_25partition_config_selectorILNS1_17partition_subalgoE4EjNS0_10empty_typeEbEEZZNS1_14partition_implILS8_4ELb0ES6_15HIP_vector_typeIjLj2EENS0_17counting_iteratorIjlEEPS9_SG_NS0_5tupleIJPjSI_NS0_16reverse_iteratorISI_EEEEENSH_IJSG_SG_SG_EEES9_SI_JZNS1_25segmented_radix_sort_implINS0_14default_configELb1EPKaPaPKlPlN2at6native12_GLOBAL__N_18offset_tEEE10hipError_tPvRmT1_PNSt15iterator_traitsIS12_E10value_typeET2_T3_PNS13_IS18_E10value_typeET4_jRbjT5_S1E_jjP12ihipStream_tbEUljE_ZNSN_ISO_Lb1ESQ_SR_ST_SU_SY_EESZ_S10_S11_S12_S16_S17_S18_S1B_S1C_jS1D_jS1E_S1E_jjS1G_bEUljE0_EEESZ_S10_S11_S18_S1C_S1E_T6_T7_T9_mT8_S1G_bDpT10_ENKUlT_T0_E_clISt17integral_constantIbLb0EES1T_IbLb1EEEEDaS1P_S1Q_EUlS1P_E_NS1_11comp_targetILNS1_3genE10ELNS1_11target_archE1200ELNS1_3gpuE4ELNS1_3repE0EEENS1_30default_config_static_selectorELNS0_4arch9wavefront6targetE0EEEvS12_
    .private_segment_fixed_size: 0
    .sgpr_count:     0
    .sgpr_spill_count: 0
    .symbol:         _ZN7rocprim17ROCPRIM_400000_NS6detail17trampoline_kernelINS0_13select_configILj256ELj13ELNS0_17block_load_methodE3ELS4_3ELS4_3ELNS0_20block_scan_algorithmE0ELj4294967295EEENS1_25partition_config_selectorILNS1_17partition_subalgoE4EjNS0_10empty_typeEbEEZZNS1_14partition_implILS8_4ELb0ES6_15HIP_vector_typeIjLj2EENS0_17counting_iteratorIjlEEPS9_SG_NS0_5tupleIJPjSI_NS0_16reverse_iteratorISI_EEEEENSH_IJSG_SG_SG_EEES9_SI_JZNS1_25segmented_radix_sort_implINS0_14default_configELb1EPKaPaPKlPlN2at6native12_GLOBAL__N_18offset_tEEE10hipError_tPvRmT1_PNSt15iterator_traitsIS12_E10value_typeET2_T3_PNS13_IS18_E10value_typeET4_jRbjT5_S1E_jjP12ihipStream_tbEUljE_ZNSN_ISO_Lb1ESQ_SR_ST_SU_SY_EESZ_S10_S11_S12_S16_S17_S18_S1B_S1C_jS1D_jS1E_S1E_jjS1G_bEUljE0_EEESZ_S10_S11_S18_S1C_S1E_T6_T7_T9_mT8_S1G_bDpT10_ENKUlT_T0_E_clISt17integral_constantIbLb0EES1T_IbLb1EEEEDaS1P_S1Q_EUlS1P_E_NS1_11comp_targetILNS1_3genE10ELNS1_11target_archE1200ELNS1_3gpuE4ELNS1_3repE0EEENS1_30default_config_static_selectorELNS0_4arch9wavefront6targetE0EEEvS12_.kd
    .uniform_work_group_size: 1
    .uses_dynamic_stack: false
    .vgpr_count:     0
    .vgpr_spill_count: 0
    .wavefront_size: 32
  - .args:
      - .offset:         0
        .size:           184
        .value_kind:     by_value
    .group_segment_fixed_size: 0
    .kernarg_segment_align: 8
    .kernarg_segment_size: 184
    .language:       OpenCL C
    .language_version:
      - 2
      - 0
    .max_flat_workgroup_size: 256
    .name:           _ZN7rocprim17ROCPRIM_400000_NS6detail17trampoline_kernelINS0_13select_configILj256ELj13ELNS0_17block_load_methodE3ELS4_3ELS4_3ELNS0_20block_scan_algorithmE0ELj4294967295EEENS1_25partition_config_selectorILNS1_17partition_subalgoE4EjNS0_10empty_typeEbEEZZNS1_14partition_implILS8_4ELb0ES6_15HIP_vector_typeIjLj2EENS0_17counting_iteratorIjlEEPS9_SG_NS0_5tupleIJPjSI_NS0_16reverse_iteratorISI_EEEEENSH_IJSG_SG_SG_EEES9_SI_JZNS1_25segmented_radix_sort_implINS0_14default_configELb1EPKaPaPKlPlN2at6native12_GLOBAL__N_18offset_tEEE10hipError_tPvRmT1_PNSt15iterator_traitsIS12_E10value_typeET2_T3_PNS13_IS18_E10value_typeET4_jRbjT5_S1E_jjP12ihipStream_tbEUljE_ZNSN_ISO_Lb1ESQ_SR_ST_SU_SY_EESZ_S10_S11_S12_S16_S17_S18_S1B_S1C_jS1D_jS1E_S1E_jjS1G_bEUljE0_EEESZ_S10_S11_S18_S1C_S1E_T6_T7_T9_mT8_S1G_bDpT10_ENKUlT_T0_E_clISt17integral_constantIbLb0EES1T_IbLb1EEEEDaS1P_S1Q_EUlS1P_E_NS1_11comp_targetILNS1_3genE9ELNS1_11target_archE1100ELNS1_3gpuE3ELNS1_3repE0EEENS1_30default_config_static_selectorELNS0_4arch9wavefront6targetE0EEEvS12_
    .private_segment_fixed_size: 0
    .sgpr_count:     0
    .sgpr_spill_count: 0
    .symbol:         _ZN7rocprim17ROCPRIM_400000_NS6detail17trampoline_kernelINS0_13select_configILj256ELj13ELNS0_17block_load_methodE3ELS4_3ELS4_3ELNS0_20block_scan_algorithmE0ELj4294967295EEENS1_25partition_config_selectorILNS1_17partition_subalgoE4EjNS0_10empty_typeEbEEZZNS1_14partition_implILS8_4ELb0ES6_15HIP_vector_typeIjLj2EENS0_17counting_iteratorIjlEEPS9_SG_NS0_5tupleIJPjSI_NS0_16reverse_iteratorISI_EEEEENSH_IJSG_SG_SG_EEES9_SI_JZNS1_25segmented_radix_sort_implINS0_14default_configELb1EPKaPaPKlPlN2at6native12_GLOBAL__N_18offset_tEEE10hipError_tPvRmT1_PNSt15iterator_traitsIS12_E10value_typeET2_T3_PNS13_IS18_E10value_typeET4_jRbjT5_S1E_jjP12ihipStream_tbEUljE_ZNSN_ISO_Lb1ESQ_SR_ST_SU_SY_EESZ_S10_S11_S12_S16_S17_S18_S1B_S1C_jS1D_jS1E_S1E_jjS1G_bEUljE0_EEESZ_S10_S11_S18_S1C_S1E_T6_T7_T9_mT8_S1G_bDpT10_ENKUlT_T0_E_clISt17integral_constantIbLb0EES1T_IbLb1EEEEDaS1P_S1Q_EUlS1P_E_NS1_11comp_targetILNS1_3genE9ELNS1_11target_archE1100ELNS1_3gpuE3ELNS1_3repE0EEENS1_30default_config_static_selectorELNS0_4arch9wavefront6targetE0EEEvS12_.kd
    .uniform_work_group_size: 1
    .uses_dynamic_stack: false
    .vgpr_count:     0
    .vgpr_spill_count: 0
    .wavefront_size: 32
  - .args:
      - .offset:         0
        .size:           184
        .value_kind:     by_value
    .group_segment_fixed_size: 0
    .kernarg_segment_align: 8
    .kernarg_segment_size: 184
    .language:       OpenCL C
    .language_version:
      - 2
      - 0
    .max_flat_workgroup_size: 256
    .name:           _ZN7rocprim17ROCPRIM_400000_NS6detail17trampoline_kernelINS0_13select_configILj256ELj13ELNS0_17block_load_methodE3ELS4_3ELS4_3ELNS0_20block_scan_algorithmE0ELj4294967295EEENS1_25partition_config_selectorILNS1_17partition_subalgoE4EjNS0_10empty_typeEbEEZZNS1_14partition_implILS8_4ELb0ES6_15HIP_vector_typeIjLj2EENS0_17counting_iteratorIjlEEPS9_SG_NS0_5tupleIJPjSI_NS0_16reverse_iteratorISI_EEEEENSH_IJSG_SG_SG_EEES9_SI_JZNS1_25segmented_radix_sort_implINS0_14default_configELb1EPKaPaPKlPlN2at6native12_GLOBAL__N_18offset_tEEE10hipError_tPvRmT1_PNSt15iterator_traitsIS12_E10value_typeET2_T3_PNS13_IS18_E10value_typeET4_jRbjT5_S1E_jjP12ihipStream_tbEUljE_ZNSN_ISO_Lb1ESQ_SR_ST_SU_SY_EESZ_S10_S11_S12_S16_S17_S18_S1B_S1C_jS1D_jS1E_S1E_jjS1G_bEUljE0_EEESZ_S10_S11_S18_S1C_S1E_T6_T7_T9_mT8_S1G_bDpT10_ENKUlT_T0_E_clISt17integral_constantIbLb0EES1T_IbLb1EEEEDaS1P_S1Q_EUlS1P_E_NS1_11comp_targetILNS1_3genE8ELNS1_11target_archE1030ELNS1_3gpuE2ELNS1_3repE0EEENS1_30default_config_static_selectorELNS0_4arch9wavefront6targetE0EEEvS12_
    .private_segment_fixed_size: 0
    .sgpr_count:     0
    .sgpr_spill_count: 0
    .symbol:         _ZN7rocprim17ROCPRIM_400000_NS6detail17trampoline_kernelINS0_13select_configILj256ELj13ELNS0_17block_load_methodE3ELS4_3ELS4_3ELNS0_20block_scan_algorithmE0ELj4294967295EEENS1_25partition_config_selectorILNS1_17partition_subalgoE4EjNS0_10empty_typeEbEEZZNS1_14partition_implILS8_4ELb0ES6_15HIP_vector_typeIjLj2EENS0_17counting_iteratorIjlEEPS9_SG_NS0_5tupleIJPjSI_NS0_16reverse_iteratorISI_EEEEENSH_IJSG_SG_SG_EEES9_SI_JZNS1_25segmented_radix_sort_implINS0_14default_configELb1EPKaPaPKlPlN2at6native12_GLOBAL__N_18offset_tEEE10hipError_tPvRmT1_PNSt15iterator_traitsIS12_E10value_typeET2_T3_PNS13_IS18_E10value_typeET4_jRbjT5_S1E_jjP12ihipStream_tbEUljE_ZNSN_ISO_Lb1ESQ_SR_ST_SU_SY_EESZ_S10_S11_S12_S16_S17_S18_S1B_S1C_jS1D_jS1E_S1E_jjS1G_bEUljE0_EEESZ_S10_S11_S18_S1C_S1E_T6_T7_T9_mT8_S1G_bDpT10_ENKUlT_T0_E_clISt17integral_constantIbLb0EES1T_IbLb1EEEEDaS1P_S1Q_EUlS1P_E_NS1_11comp_targetILNS1_3genE8ELNS1_11target_archE1030ELNS1_3gpuE2ELNS1_3repE0EEENS1_30default_config_static_selectorELNS0_4arch9wavefront6targetE0EEEvS12_.kd
    .uniform_work_group_size: 1
    .uses_dynamic_stack: false
    .vgpr_count:     0
    .vgpr_spill_count: 0
    .wavefront_size: 32
  - .args:
      - .offset:         0
        .size:           144
        .value_kind:     by_value
    .group_segment_fixed_size: 13320
    .kernarg_segment_align: 8
    .kernarg_segment_size: 144
    .language:       OpenCL C
    .language_version:
      - 2
      - 0
    .max_flat_workgroup_size: 256
    .name:           _ZN7rocprim17ROCPRIM_400000_NS6detail17trampoline_kernelINS0_13select_configILj256ELj13ELNS0_17block_load_methodE3ELS4_3ELS4_3ELNS0_20block_scan_algorithmE0ELj4294967295EEENS1_25partition_config_selectorILNS1_17partition_subalgoE3EjNS0_10empty_typeEbEEZZNS1_14partition_implILS8_3ELb0ES6_jNS0_17counting_iteratorIjlEEPS9_SE_NS0_5tupleIJPjSE_EEENSF_IJSE_SE_EEES9_SG_JZNS1_25segmented_radix_sort_implINS0_14default_configELb1EPKaPaPKlPlN2at6native12_GLOBAL__N_18offset_tEEE10hipError_tPvRmT1_PNSt15iterator_traitsISY_E10value_typeET2_T3_PNSZ_IS14_E10value_typeET4_jRbjT5_S1A_jjP12ihipStream_tbEUljE_EEESV_SW_SX_S14_S18_S1A_T6_T7_T9_mT8_S1C_bDpT10_ENKUlT_T0_E_clISt17integral_constantIbLb0EES1P_EEDaS1K_S1L_EUlS1K_E_NS1_11comp_targetILNS1_3genE0ELNS1_11target_archE4294967295ELNS1_3gpuE0ELNS1_3repE0EEENS1_30default_config_static_selectorELNS0_4arch9wavefront6targetE0EEEvSY_
    .private_segment_fixed_size: 0
    .sgpr_count:     28
    .sgpr_spill_count: 0
    .symbol:         _ZN7rocprim17ROCPRIM_400000_NS6detail17trampoline_kernelINS0_13select_configILj256ELj13ELNS0_17block_load_methodE3ELS4_3ELS4_3ELNS0_20block_scan_algorithmE0ELj4294967295EEENS1_25partition_config_selectorILNS1_17partition_subalgoE3EjNS0_10empty_typeEbEEZZNS1_14partition_implILS8_3ELb0ES6_jNS0_17counting_iteratorIjlEEPS9_SE_NS0_5tupleIJPjSE_EEENSF_IJSE_SE_EEES9_SG_JZNS1_25segmented_radix_sort_implINS0_14default_configELb1EPKaPaPKlPlN2at6native12_GLOBAL__N_18offset_tEEE10hipError_tPvRmT1_PNSt15iterator_traitsISY_E10value_typeET2_T3_PNSZ_IS14_E10value_typeET4_jRbjT5_S1A_jjP12ihipStream_tbEUljE_EEESV_SW_SX_S14_S18_S1A_T6_T7_T9_mT8_S1C_bDpT10_ENKUlT_T0_E_clISt17integral_constantIbLb0EES1P_EEDaS1K_S1L_EUlS1K_E_NS1_11comp_targetILNS1_3genE0ELNS1_11target_archE4294967295ELNS1_3gpuE0ELNS1_3repE0EEENS1_30default_config_static_selectorELNS0_4arch9wavefront6targetE0EEEvSY_.kd
    .uniform_work_group_size: 1
    .uses_dynamic_stack: false
    .vgpr_count:     69
    .vgpr_spill_count: 0
    .wavefront_size: 32
  - .args:
      - .offset:         0
        .size:           144
        .value_kind:     by_value
    .group_segment_fixed_size: 0
    .kernarg_segment_align: 8
    .kernarg_segment_size: 144
    .language:       OpenCL C
    .language_version:
      - 2
      - 0
    .max_flat_workgroup_size: 256
    .name:           _ZN7rocprim17ROCPRIM_400000_NS6detail17trampoline_kernelINS0_13select_configILj256ELj13ELNS0_17block_load_methodE3ELS4_3ELS4_3ELNS0_20block_scan_algorithmE0ELj4294967295EEENS1_25partition_config_selectorILNS1_17partition_subalgoE3EjNS0_10empty_typeEbEEZZNS1_14partition_implILS8_3ELb0ES6_jNS0_17counting_iteratorIjlEEPS9_SE_NS0_5tupleIJPjSE_EEENSF_IJSE_SE_EEES9_SG_JZNS1_25segmented_radix_sort_implINS0_14default_configELb1EPKaPaPKlPlN2at6native12_GLOBAL__N_18offset_tEEE10hipError_tPvRmT1_PNSt15iterator_traitsISY_E10value_typeET2_T3_PNSZ_IS14_E10value_typeET4_jRbjT5_S1A_jjP12ihipStream_tbEUljE_EEESV_SW_SX_S14_S18_S1A_T6_T7_T9_mT8_S1C_bDpT10_ENKUlT_T0_E_clISt17integral_constantIbLb0EES1P_EEDaS1K_S1L_EUlS1K_E_NS1_11comp_targetILNS1_3genE5ELNS1_11target_archE942ELNS1_3gpuE9ELNS1_3repE0EEENS1_30default_config_static_selectorELNS0_4arch9wavefront6targetE0EEEvSY_
    .private_segment_fixed_size: 0
    .sgpr_count:     0
    .sgpr_spill_count: 0
    .symbol:         _ZN7rocprim17ROCPRIM_400000_NS6detail17trampoline_kernelINS0_13select_configILj256ELj13ELNS0_17block_load_methodE3ELS4_3ELS4_3ELNS0_20block_scan_algorithmE0ELj4294967295EEENS1_25partition_config_selectorILNS1_17partition_subalgoE3EjNS0_10empty_typeEbEEZZNS1_14partition_implILS8_3ELb0ES6_jNS0_17counting_iteratorIjlEEPS9_SE_NS0_5tupleIJPjSE_EEENSF_IJSE_SE_EEES9_SG_JZNS1_25segmented_radix_sort_implINS0_14default_configELb1EPKaPaPKlPlN2at6native12_GLOBAL__N_18offset_tEEE10hipError_tPvRmT1_PNSt15iterator_traitsISY_E10value_typeET2_T3_PNSZ_IS14_E10value_typeET4_jRbjT5_S1A_jjP12ihipStream_tbEUljE_EEESV_SW_SX_S14_S18_S1A_T6_T7_T9_mT8_S1C_bDpT10_ENKUlT_T0_E_clISt17integral_constantIbLb0EES1P_EEDaS1K_S1L_EUlS1K_E_NS1_11comp_targetILNS1_3genE5ELNS1_11target_archE942ELNS1_3gpuE9ELNS1_3repE0EEENS1_30default_config_static_selectorELNS0_4arch9wavefront6targetE0EEEvSY_.kd
    .uniform_work_group_size: 1
    .uses_dynamic_stack: false
    .vgpr_count:     0
    .vgpr_spill_count: 0
    .wavefront_size: 32
  - .args:
      - .offset:         0
        .size:           144
        .value_kind:     by_value
    .group_segment_fixed_size: 0
    .kernarg_segment_align: 8
    .kernarg_segment_size: 144
    .language:       OpenCL C
    .language_version:
      - 2
      - 0
    .max_flat_workgroup_size: 256
    .name:           _ZN7rocprim17ROCPRIM_400000_NS6detail17trampoline_kernelINS0_13select_configILj256ELj13ELNS0_17block_load_methodE3ELS4_3ELS4_3ELNS0_20block_scan_algorithmE0ELj4294967295EEENS1_25partition_config_selectorILNS1_17partition_subalgoE3EjNS0_10empty_typeEbEEZZNS1_14partition_implILS8_3ELb0ES6_jNS0_17counting_iteratorIjlEEPS9_SE_NS0_5tupleIJPjSE_EEENSF_IJSE_SE_EEES9_SG_JZNS1_25segmented_radix_sort_implINS0_14default_configELb1EPKaPaPKlPlN2at6native12_GLOBAL__N_18offset_tEEE10hipError_tPvRmT1_PNSt15iterator_traitsISY_E10value_typeET2_T3_PNSZ_IS14_E10value_typeET4_jRbjT5_S1A_jjP12ihipStream_tbEUljE_EEESV_SW_SX_S14_S18_S1A_T6_T7_T9_mT8_S1C_bDpT10_ENKUlT_T0_E_clISt17integral_constantIbLb0EES1P_EEDaS1K_S1L_EUlS1K_E_NS1_11comp_targetILNS1_3genE4ELNS1_11target_archE910ELNS1_3gpuE8ELNS1_3repE0EEENS1_30default_config_static_selectorELNS0_4arch9wavefront6targetE0EEEvSY_
    .private_segment_fixed_size: 0
    .sgpr_count:     0
    .sgpr_spill_count: 0
    .symbol:         _ZN7rocprim17ROCPRIM_400000_NS6detail17trampoline_kernelINS0_13select_configILj256ELj13ELNS0_17block_load_methodE3ELS4_3ELS4_3ELNS0_20block_scan_algorithmE0ELj4294967295EEENS1_25partition_config_selectorILNS1_17partition_subalgoE3EjNS0_10empty_typeEbEEZZNS1_14partition_implILS8_3ELb0ES6_jNS0_17counting_iteratorIjlEEPS9_SE_NS0_5tupleIJPjSE_EEENSF_IJSE_SE_EEES9_SG_JZNS1_25segmented_radix_sort_implINS0_14default_configELb1EPKaPaPKlPlN2at6native12_GLOBAL__N_18offset_tEEE10hipError_tPvRmT1_PNSt15iterator_traitsISY_E10value_typeET2_T3_PNSZ_IS14_E10value_typeET4_jRbjT5_S1A_jjP12ihipStream_tbEUljE_EEESV_SW_SX_S14_S18_S1A_T6_T7_T9_mT8_S1C_bDpT10_ENKUlT_T0_E_clISt17integral_constantIbLb0EES1P_EEDaS1K_S1L_EUlS1K_E_NS1_11comp_targetILNS1_3genE4ELNS1_11target_archE910ELNS1_3gpuE8ELNS1_3repE0EEENS1_30default_config_static_selectorELNS0_4arch9wavefront6targetE0EEEvSY_.kd
    .uniform_work_group_size: 1
    .uses_dynamic_stack: false
    .vgpr_count:     0
    .vgpr_spill_count: 0
    .wavefront_size: 32
  - .args:
      - .offset:         0
        .size:           144
        .value_kind:     by_value
    .group_segment_fixed_size: 0
    .kernarg_segment_align: 8
    .kernarg_segment_size: 144
    .language:       OpenCL C
    .language_version:
      - 2
      - 0
    .max_flat_workgroup_size: 256
    .name:           _ZN7rocprim17ROCPRIM_400000_NS6detail17trampoline_kernelINS0_13select_configILj256ELj13ELNS0_17block_load_methodE3ELS4_3ELS4_3ELNS0_20block_scan_algorithmE0ELj4294967295EEENS1_25partition_config_selectorILNS1_17partition_subalgoE3EjNS0_10empty_typeEbEEZZNS1_14partition_implILS8_3ELb0ES6_jNS0_17counting_iteratorIjlEEPS9_SE_NS0_5tupleIJPjSE_EEENSF_IJSE_SE_EEES9_SG_JZNS1_25segmented_radix_sort_implINS0_14default_configELb1EPKaPaPKlPlN2at6native12_GLOBAL__N_18offset_tEEE10hipError_tPvRmT1_PNSt15iterator_traitsISY_E10value_typeET2_T3_PNSZ_IS14_E10value_typeET4_jRbjT5_S1A_jjP12ihipStream_tbEUljE_EEESV_SW_SX_S14_S18_S1A_T6_T7_T9_mT8_S1C_bDpT10_ENKUlT_T0_E_clISt17integral_constantIbLb0EES1P_EEDaS1K_S1L_EUlS1K_E_NS1_11comp_targetILNS1_3genE3ELNS1_11target_archE908ELNS1_3gpuE7ELNS1_3repE0EEENS1_30default_config_static_selectorELNS0_4arch9wavefront6targetE0EEEvSY_
    .private_segment_fixed_size: 0
    .sgpr_count:     0
    .sgpr_spill_count: 0
    .symbol:         _ZN7rocprim17ROCPRIM_400000_NS6detail17trampoline_kernelINS0_13select_configILj256ELj13ELNS0_17block_load_methodE3ELS4_3ELS4_3ELNS0_20block_scan_algorithmE0ELj4294967295EEENS1_25partition_config_selectorILNS1_17partition_subalgoE3EjNS0_10empty_typeEbEEZZNS1_14partition_implILS8_3ELb0ES6_jNS0_17counting_iteratorIjlEEPS9_SE_NS0_5tupleIJPjSE_EEENSF_IJSE_SE_EEES9_SG_JZNS1_25segmented_radix_sort_implINS0_14default_configELb1EPKaPaPKlPlN2at6native12_GLOBAL__N_18offset_tEEE10hipError_tPvRmT1_PNSt15iterator_traitsISY_E10value_typeET2_T3_PNSZ_IS14_E10value_typeET4_jRbjT5_S1A_jjP12ihipStream_tbEUljE_EEESV_SW_SX_S14_S18_S1A_T6_T7_T9_mT8_S1C_bDpT10_ENKUlT_T0_E_clISt17integral_constantIbLb0EES1P_EEDaS1K_S1L_EUlS1K_E_NS1_11comp_targetILNS1_3genE3ELNS1_11target_archE908ELNS1_3gpuE7ELNS1_3repE0EEENS1_30default_config_static_selectorELNS0_4arch9wavefront6targetE0EEEvSY_.kd
    .uniform_work_group_size: 1
    .uses_dynamic_stack: false
    .vgpr_count:     0
    .vgpr_spill_count: 0
    .wavefront_size: 32
  - .args:
      - .offset:         0
        .size:           144
        .value_kind:     by_value
    .group_segment_fixed_size: 0
    .kernarg_segment_align: 8
    .kernarg_segment_size: 144
    .language:       OpenCL C
    .language_version:
      - 2
      - 0
    .max_flat_workgroup_size: 256
    .name:           _ZN7rocprim17ROCPRIM_400000_NS6detail17trampoline_kernelINS0_13select_configILj256ELj13ELNS0_17block_load_methodE3ELS4_3ELS4_3ELNS0_20block_scan_algorithmE0ELj4294967295EEENS1_25partition_config_selectorILNS1_17partition_subalgoE3EjNS0_10empty_typeEbEEZZNS1_14partition_implILS8_3ELb0ES6_jNS0_17counting_iteratorIjlEEPS9_SE_NS0_5tupleIJPjSE_EEENSF_IJSE_SE_EEES9_SG_JZNS1_25segmented_radix_sort_implINS0_14default_configELb1EPKaPaPKlPlN2at6native12_GLOBAL__N_18offset_tEEE10hipError_tPvRmT1_PNSt15iterator_traitsISY_E10value_typeET2_T3_PNSZ_IS14_E10value_typeET4_jRbjT5_S1A_jjP12ihipStream_tbEUljE_EEESV_SW_SX_S14_S18_S1A_T6_T7_T9_mT8_S1C_bDpT10_ENKUlT_T0_E_clISt17integral_constantIbLb0EES1P_EEDaS1K_S1L_EUlS1K_E_NS1_11comp_targetILNS1_3genE2ELNS1_11target_archE906ELNS1_3gpuE6ELNS1_3repE0EEENS1_30default_config_static_selectorELNS0_4arch9wavefront6targetE0EEEvSY_
    .private_segment_fixed_size: 0
    .sgpr_count:     0
    .sgpr_spill_count: 0
    .symbol:         _ZN7rocprim17ROCPRIM_400000_NS6detail17trampoline_kernelINS0_13select_configILj256ELj13ELNS0_17block_load_methodE3ELS4_3ELS4_3ELNS0_20block_scan_algorithmE0ELj4294967295EEENS1_25partition_config_selectorILNS1_17partition_subalgoE3EjNS0_10empty_typeEbEEZZNS1_14partition_implILS8_3ELb0ES6_jNS0_17counting_iteratorIjlEEPS9_SE_NS0_5tupleIJPjSE_EEENSF_IJSE_SE_EEES9_SG_JZNS1_25segmented_radix_sort_implINS0_14default_configELb1EPKaPaPKlPlN2at6native12_GLOBAL__N_18offset_tEEE10hipError_tPvRmT1_PNSt15iterator_traitsISY_E10value_typeET2_T3_PNSZ_IS14_E10value_typeET4_jRbjT5_S1A_jjP12ihipStream_tbEUljE_EEESV_SW_SX_S14_S18_S1A_T6_T7_T9_mT8_S1C_bDpT10_ENKUlT_T0_E_clISt17integral_constantIbLb0EES1P_EEDaS1K_S1L_EUlS1K_E_NS1_11comp_targetILNS1_3genE2ELNS1_11target_archE906ELNS1_3gpuE6ELNS1_3repE0EEENS1_30default_config_static_selectorELNS0_4arch9wavefront6targetE0EEEvSY_.kd
    .uniform_work_group_size: 1
    .uses_dynamic_stack: false
    .vgpr_count:     0
    .vgpr_spill_count: 0
    .wavefront_size: 32
  - .args:
      - .offset:         0
        .size:           144
        .value_kind:     by_value
    .group_segment_fixed_size: 0
    .kernarg_segment_align: 8
    .kernarg_segment_size: 144
    .language:       OpenCL C
    .language_version:
      - 2
      - 0
    .max_flat_workgroup_size: 256
    .name:           _ZN7rocprim17ROCPRIM_400000_NS6detail17trampoline_kernelINS0_13select_configILj256ELj13ELNS0_17block_load_methodE3ELS4_3ELS4_3ELNS0_20block_scan_algorithmE0ELj4294967295EEENS1_25partition_config_selectorILNS1_17partition_subalgoE3EjNS0_10empty_typeEbEEZZNS1_14partition_implILS8_3ELb0ES6_jNS0_17counting_iteratorIjlEEPS9_SE_NS0_5tupleIJPjSE_EEENSF_IJSE_SE_EEES9_SG_JZNS1_25segmented_radix_sort_implINS0_14default_configELb1EPKaPaPKlPlN2at6native12_GLOBAL__N_18offset_tEEE10hipError_tPvRmT1_PNSt15iterator_traitsISY_E10value_typeET2_T3_PNSZ_IS14_E10value_typeET4_jRbjT5_S1A_jjP12ihipStream_tbEUljE_EEESV_SW_SX_S14_S18_S1A_T6_T7_T9_mT8_S1C_bDpT10_ENKUlT_T0_E_clISt17integral_constantIbLb0EES1P_EEDaS1K_S1L_EUlS1K_E_NS1_11comp_targetILNS1_3genE10ELNS1_11target_archE1200ELNS1_3gpuE4ELNS1_3repE0EEENS1_30default_config_static_selectorELNS0_4arch9wavefront6targetE0EEEvSY_
    .private_segment_fixed_size: 0
    .sgpr_count:     0
    .sgpr_spill_count: 0
    .symbol:         _ZN7rocprim17ROCPRIM_400000_NS6detail17trampoline_kernelINS0_13select_configILj256ELj13ELNS0_17block_load_methodE3ELS4_3ELS4_3ELNS0_20block_scan_algorithmE0ELj4294967295EEENS1_25partition_config_selectorILNS1_17partition_subalgoE3EjNS0_10empty_typeEbEEZZNS1_14partition_implILS8_3ELb0ES6_jNS0_17counting_iteratorIjlEEPS9_SE_NS0_5tupleIJPjSE_EEENSF_IJSE_SE_EEES9_SG_JZNS1_25segmented_radix_sort_implINS0_14default_configELb1EPKaPaPKlPlN2at6native12_GLOBAL__N_18offset_tEEE10hipError_tPvRmT1_PNSt15iterator_traitsISY_E10value_typeET2_T3_PNSZ_IS14_E10value_typeET4_jRbjT5_S1A_jjP12ihipStream_tbEUljE_EEESV_SW_SX_S14_S18_S1A_T6_T7_T9_mT8_S1C_bDpT10_ENKUlT_T0_E_clISt17integral_constantIbLb0EES1P_EEDaS1K_S1L_EUlS1K_E_NS1_11comp_targetILNS1_3genE10ELNS1_11target_archE1200ELNS1_3gpuE4ELNS1_3repE0EEENS1_30default_config_static_selectorELNS0_4arch9wavefront6targetE0EEEvSY_.kd
    .uniform_work_group_size: 1
    .uses_dynamic_stack: false
    .vgpr_count:     0
    .vgpr_spill_count: 0
    .wavefront_size: 32
  - .args:
      - .offset:         0
        .size:           144
        .value_kind:     by_value
    .group_segment_fixed_size: 0
    .kernarg_segment_align: 8
    .kernarg_segment_size: 144
    .language:       OpenCL C
    .language_version:
      - 2
      - 0
    .max_flat_workgroup_size: 256
    .name:           _ZN7rocprim17ROCPRIM_400000_NS6detail17trampoline_kernelINS0_13select_configILj256ELj13ELNS0_17block_load_methodE3ELS4_3ELS4_3ELNS0_20block_scan_algorithmE0ELj4294967295EEENS1_25partition_config_selectorILNS1_17partition_subalgoE3EjNS0_10empty_typeEbEEZZNS1_14partition_implILS8_3ELb0ES6_jNS0_17counting_iteratorIjlEEPS9_SE_NS0_5tupleIJPjSE_EEENSF_IJSE_SE_EEES9_SG_JZNS1_25segmented_radix_sort_implINS0_14default_configELb1EPKaPaPKlPlN2at6native12_GLOBAL__N_18offset_tEEE10hipError_tPvRmT1_PNSt15iterator_traitsISY_E10value_typeET2_T3_PNSZ_IS14_E10value_typeET4_jRbjT5_S1A_jjP12ihipStream_tbEUljE_EEESV_SW_SX_S14_S18_S1A_T6_T7_T9_mT8_S1C_bDpT10_ENKUlT_T0_E_clISt17integral_constantIbLb0EES1P_EEDaS1K_S1L_EUlS1K_E_NS1_11comp_targetILNS1_3genE9ELNS1_11target_archE1100ELNS1_3gpuE3ELNS1_3repE0EEENS1_30default_config_static_selectorELNS0_4arch9wavefront6targetE0EEEvSY_
    .private_segment_fixed_size: 0
    .sgpr_count:     0
    .sgpr_spill_count: 0
    .symbol:         _ZN7rocprim17ROCPRIM_400000_NS6detail17trampoline_kernelINS0_13select_configILj256ELj13ELNS0_17block_load_methodE3ELS4_3ELS4_3ELNS0_20block_scan_algorithmE0ELj4294967295EEENS1_25partition_config_selectorILNS1_17partition_subalgoE3EjNS0_10empty_typeEbEEZZNS1_14partition_implILS8_3ELb0ES6_jNS0_17counting_iteratorIjlEEPS9_SE_NS0_5tupleIJPjSE_EEENSF_IJSE_SE_EEES9_SG_JZNS1_25segmented_radix_sort_implINS0_14default_configELb1EPKaPaPKlPlN2at6native12_GLOBAL__N_18offset_tEEE10hipError_tPvRmT1_PNSt15iterator_traitsISY_E10value_typeET2_T3_PNSZ_IS14_E10value_typeET4_jRbjT5_S1A_jjP12ihipStream_tbEUljE_EEESV_SW_SX_S14_S18_S1A_T6_T7_T9_mT8_S1C_bDpT10_ENKUlT_T0_E_clISt17integral_constantIbLb0EES1P_EEDaS1K_S1L_EUlS1K_E_NS1_11comp_targetILNS1_3genE9ELNS1_11target_archE1100ELNS1_3gpuE3ELNS1_3repE0EEENS1_30default_config_static_selectorELNS0_4arch9wavefront6targetE0EEEvSY_.kd
    .uniform_work_group_size: 1
    .uses_dynamic_stack: false
    .vgpr_count:     0
    .vgpr_spill_count: 0
    .wavefront_size: 32
  - .args:
      - .offset:         0
        .size:           144
        .value_kind:     by_value
    .group_segment_fixed_size: 0
    .kernarg_segment_align: 8
    .kernarg_segment_size: 144
    .language:       OpenCL C
    .language_version:
      - 2
      - 0
    .max_flat_workgroup_size: 256
    .name:           _ZN7rocprim17ROCPRIM_400000_NS6detail17trampoline_kernelINS0_13select_configILj256ELj13ELNS0_17block_load_methodE3ELS4_3ELS4_3ELNS0_20block_scan_algorithmE0ELj4294967295EEENS1_25partition_config_selectorILNS1_17partition_subalgoE3EjNS0_10empty_typeEbEEZZNS1_14partition_implILS8_3ELb0ES6_jNS0_17counting_iteratorIjlEEPS9_SE_NS0_5tupleIJPjSE_EEENSF_IJSE_SE_EEES9_SG_JZNS1_25segmented_radix_sort_implINS0_14default_configELb1EPKaPaPKlPlN2at6native12_GLOBAL__N_18offset_tEEE10hipError_tPvRmT1_PNSt15iterator_traitsISY_E10value_typeET2_T3_PNSZ_IS14_E10value_typeET4_jRbjT5_S1A_jjP12ihipStream_tbEUljE_EEESV_SW_SX_S14_S18_S1A_T6_T7_T9_mT8_S1C_bDpT10_ENKUlT_T0_E_clISt17integral_constantIbLb0EES1P_EEDaS1K_S1L_EUlS1K_E_NS1_11comp_targetILNS1_3genE8ELNS1_11target_archE1030ELNS1_3gpuE2ELNS1_3repE0EEENS1_30default_config_static_selectorELNS0_4arch9wavefront6targetE0EEEvSY_
    .private_segment_fixed_size: 0
    .sgpr_count:     0
    .sgpr_spill_count: 0
    .symbol:         _ZN7rocprim17ROCPRIM_400000_NS6detail17trampoline_kernelINS0_13select_configILj256ELj13ELNS0_17block_load_methodE3ELS4_3ELS4_3ELNS0_20block_scan_algorithmE0ELj4294967295EEENS1_25partition_config_selectorILNS1_17partition_subalgoE3EjNS0_10empty_typeEbEEZZNS1_14partition_implILS8_3ELb0ES6_jNS0_17counting_iteratorIjlEEPS9_SE_NS0_5tupleIJPjSE_EEENSF_IJSE_SE_EEES9_SG_JZNS1_25segmented_radix_sort_implINS0_14default_configELb1EPKaPaPKlPlN2at6native12_GLOBAL__N_18offset_tEEE10hipError_tPvRmT1_PNSt15iterator_traitsISY_E10value_typeET2_T3_PNSZ_IS14_E10value_typeET4_jRbjT5_S1A_jjP12ihipStream_tbEUljE_EEESV_SW_SX_S14_S18_S1A_T6_T7_T9_mT8_S1C_bDpT10_ENKUlT_T0_E_clISt17integral_constantIbLb0EES1P_EEDaS1K_S1L_EUlS1K_E_NS1_11comp_targetILNS1_3genE8ELNS1_11target_archE1030ELNS1_3gpuE2ELNS1_3repE0EEENS1_30default_config_static_selectorELNS0_4arch9wavefront6targetE0EEEvSY_.kd
    .uniform_work_group_size: 1
    .uses_dynamic_stack: false
    .vgpr_count:     0
    .vgpr_spill_count: 0
    .wavefront_size: 32
  - .args:
      - .offset:         0
        .size:           152
        .value_kind:     by_value
    .group_segment_fixed_size: 0
    .kernarg_segment_align: 8
    .kernarg_segment_size: 152
    .language:       OpenCL C
    .language_version:
      - 2
      - 0
    .max_flat_workgroup_size: 256
    .name:           _ZN7rocprim17ROCPRIM_400000_NS6detail17trampoline_kernelINS0_13select_configILj256ELj13ELNS0_17block_load_methodE3ELS4_3ELS4_3ELNS0_20block_scan_algorithmE0ELj4294967295EEENS1_25partition_config_selectorILNS1_17partition_subalgoE3EjNS0_10empty_typeEbEEZZNS1_14partition_implILS8_3ELb0ES6_jNS0_17counting_iteratorIjlEEPS9_SE_NS0_5tupleIJPjSE_EEENSF_IJSE_SE_EEES9_SG_JZNS1_25segmented_radix_sort_implINS0_14default_configELb1EPKaPaPKlPlN2at6native12_GLOBAL__N_18offset_tEEE10hipError_tPvRmT1_PNSt15iterator_traitsISY_E10value_typeET2_T3_PNSZ_IS14_E10value_typeET4_jRbjT5_S1A_jjP12ihipStream_tbEUljE_EEESV_SW_SX_S14_S18_S1A_T6_T7_T9_mT8_S1C_bDpT10_ENKUlT_T0_E_clISt17integral_constantIbLb1EES1P_EEDaS1K_S1L_EUlS1K_E_NS1_11comp_targetILNS1_3genE0ELNS1_11target_archE4294967295ELNS1_3gpuE0ELNS1_3repE0EEENS1_30default_config_static_selectorELNS0_4arch9wavefront6targetE0EEEvSY_
    .private_segment_fixed_size: 0
    .sgpr_count:     0
    .sgpr_spill_count: 0
    .symbol:         _ZN7rocprim17ROCPRIM_400000_NS6detail17trampoline_kernelINS0_13select_configILj256ELj13ELNS0_17block_load_methodE3ELS4_3ELS4_3ELNS0_20block_scan_algorithmE0ELj4294967295EEENS1_25partition_config_selectorILNS1_17partition_subalgoE3EjNS0_10empty_typeEbEEZZNS1_14partition_implILS8_3ELb0ES6_jNS0_17counting_iteratorIjlEEPS9_SE_NS0_5tupleIJPjSE_EEENSF_IJSE_SE_EEES9_SG_JZNS1_25segmented_radix_sort_implINS0_14default_configELb1EPKaPaPKlPlN2at6native12_GLOBAL__N_18offset_tEEE10hipError_tPvRmT1_PNSt15iterator_traitsISY_E10value_typeET2_T3_PNSZ_IS14_E10value_typeET4_jRbjT5_S1A_jjP12ihipStream_tbEUljE_EEESV_SW_SX_S14_S18_S1A_T6_T7_T9_mT8_S1C_bDpT10_ENKUlT_T0_E_clISt17integral_constantIbLb1EES1P_EEDaS1K_S1L_EUlS1K_E_NS1_11comp_targetILNS1_3genE0ELNS1_11target_archE4294967295ELNS1_3gpuE0ELNS1_3repE0EEENS1_30default_config_static_selectorELNS0_4arch9wavefront6targetE0EEEvSY_.kd
    .uniform_work_group_size: 1
    .uses_dynamic_stack: false
    .vgpr_count:     0
    .vgpr_spill_count: 0
    .wavefront_size: 32
  - .args:
      - .offset:         0
        .size:           152
        .value_kind:     by_value
    .group_segment_fixed_size: 0
    .kernarg_segment_align: 8
    .kernarg_segment_size: 152
    .language:       OpenCL C
    .language_version:
      - 2
      - 0
    .max_flat_workgroup_size: 256
    .name:           _ZN7rocprim17ROCPRIM_400000_NS6detail17trampoline_kernelINS0_13select_configILj256ELj13ELNS0_17block_load_methodE3ELS4_3ELS4_3ELNS0_20block_scan_algorithmE0ELj4294967295EEENS1_25partition_config_selectorILNS1_17partition_subalgoE3EjNS0_10empty_typeEbEEZZNS1_14partition_implILS8_3ELb0ES6_jNS0_17counting_iteratorIjlEEPS9_SE_NS0_5tupleIJPjSE_EEENSF_IJSE_SE_EEES9_SG_JZNS1_25segmented_radix_sort_implINS0_14default_configELb1EPKaPaPKlPlN2at6native12_GLOBAL__N_18offset_tEEE10hipError_tPvRmT1_PNSt15iterator_traitsISY_E10value_typeET2_T3_PNSZ_IS14_E10value_typeET4_jRbjT5_S1A_jjP12ihipStream_tbEUljE_EEESV_SW_SX_S14_S18_S1A_T6_T7_T9_mT8_S1C_bDpT10_ENKUlT_T0_E_clISt17integral_constantIbLb1EES1P_EEDaS1K_S1L_EUlS1K_E_NS1_11comp_targetILNS1_3genE5ELNS1_11target_archE942ELNS1_3gpuE9ELNS1_3repE0EEENS1_30default_config_static_selectorELNS0_4arch9wavefront6targetE0EEEvSY_
    .private_segment_fixed_size: 0
    .sgpr_count:     0
    .sgpr_spill_count: 0
    .symbol:         _ZN7rocprim17ROCPRIM_400000_NS6detail17trampoline_kernelINS0_13select_configILj256ELj13ELNS0_17block_load_methodE3ELS4_3ELS4_3ELNS0_20block_scan_algorithmE0ELj4294967295EEENS1_25partition_config_selectorILNS1_17partition_subalgoE3EjNS0_10empty_typeEbEEZZNS1_14partition_implILS8_3ELb0ES6_jNS0_17counting_iteratorIjlEEPS9_SE_NS0_5tupleIJPjSE_EEENSF_IJSE_SE_EEES9_SG_JZNS1_25segmented_radix_sort_implINS0_14default_configELb1EPKaPaPKlPlN2at6native12_GLOBAL__N_18offset_tEEE10hipError_tPvRmT1_PNSt15iterator_traitsISY_E10value_typeET2_T3_PNSZ_IS14_E10value_typeET4_jRbjT5_S1A_jjP12ihipStream_tbEUljE_EEESV_SW_SX_S14_S18_S1A_T6_T7_T9_mT8_S1C_bDpT10_ENKUlT_T0_E_clISt17integral_constantIbLb1EES1P_EEDaS1K_S1L_EUlS1K_E_NS1_11comp_targetILNS1_3genE5ELNS1_11target_archE942ELNS1_3gpuE9ELNS1_3repE0EEENS1_30default_config_static_selectorELNS0_4arch9wavefront6targetE0EEEvSY_.kd
    .uniform_work_group_size: 1
    .uses_dynamic_stack: false
    .vgpr_count:     0
    .vgpr_spill_count: 0
    .wavefront_size: 32
  - .args:
      - .offset:         0
        .size:           152
        .value_kind:     by_value
    .group_segment_fixed_size: 0
    .kernarg_segment_align: 8
    .kernarg_segment_size: 152
    .language:       OpenCL C
    .language_version:
      - 2
      - 0
    .max_flat_workgroup_size: 256
    .name:           _ZN7rocprim17ROCPRIM_400000_NS6detail17trampoline_kernelINS0_13select_configILj256ELj13ELNS0_17block_load_methodE3ELS4_3ELS4_3ELNS0_20block_scan_algorithmE0ELj4294967295EEENS1_25partition_config_selectorILNS1_17partition_subalgoE3EjNS0_10empty_typeEbEEZZNS1_14partition_implILS8_3ELb0ES6_jNS0_17counting_iteratorIjlEEPS9_SE_NS0_5tupleIJPjSE_EEENSF_IJSE_SE_EEES9_SG_JZNS1_25segmented_radix_sort_implINS0_14default_configELb1EPKaPaPKlPlN2at6native12_GLOBAL__N_18offset_tEEE10hipError_tPvRmT1_PNSt15iterator_traitsISY_E10value_typeET2_T3_PNSZ_IS14_E10value_typeET4_jRbjT5_S1A_jjP12ihipStream_tbEUljE_EEESV_SW_SX_S14_S18_S1A_T6_T7_T9_mT8_S1C_bDpT10_ENKUlT_T0_E_clISt17integral_constantIbLb1EES1P_EEDaS1K_S1L_EUlS1K_E_NS1_11comp_targetILNS1_3genE4ELNS1_11target_archE910ELNS1_3gpuE8ELNS1_3repE0EEENS1_30default_config_static_selectorELNS0_4arch9wavefront6targetE0EEEvSY_
    .private_segment_fixed_size: 0
    .sgpr_count:     0
    .sgpr_spill_count: 0
    .symbol:         _ZN7rocprim17ROCPRIM_400000_NS6detail17trampoline_kernelINS0_13select_configILj256ELj13ELNS0_17block_load_methodE3ELS4_3ELS4_3ELNS0_20block_scan_algorithmE0ELj4294967295EEENS1_25partition_config_selectorILNS1_17partition_subalgoE3EjNS0_10empty_typeEbEEZZNS1_14partition_implILS8_3ELb0ES6_jNS0_17counting_iteratorIjlEEPS9_SE_NS0_5tupleIJPjSE_EEENSF_IJSE_SE_EEES9_SG_JZNS1_25segmented_radix_sort_implINS0_14default_configELb1EPKaPaPKlPlN2at6native12_GLOBAL__N_18offset_tEEE10hipError_tPvRmT1_PNSt15iterator_traitsISY_E10value_typeET2_T3_PNSZ_IS14_E10value_typeET4_jRbjT5_S1A_jjP12ihipStream_tbEUljE_EEESV_SW_SX_S14_S18_S1A_T6_T7_T9_mT8_S1C_bDpT10_ENKUlT_T0_E_clISt17integral_constantIbLb1EES1P_EEDaS1K_S1L_EUlS1K_E_NS1_11comp_targetILNS1_3genE4ELNS1_11target_archE910ELNS1_3gpuE8ELNS1_3repE0EEENS1_30default_config_static_selectorELNS0_4arch9wavefront6targetE0EEEvSY_.kd
    .uniform_work_group_size: 1
    .uses_dynamic_stack: false
    .vgpr_count:     0
    .vgpr_spill_count: 0
    .wavefront_size: 32
  - .args:
      - .offset:         0
        .size:           152
        .value_kind:     by_value
    .group_segment_fixed_size: 0
    .kernarg_segment_align: 8
    .kernarg_segment_size: 152
    .language:       OpenCL C
    .language_version:
      - 2
      - 0
    .max_flat_workgroup_size: 256
    .name:           _ZN7rocprim17ROCPRIM_400000_NS6detail17trampoline_kernelINS0_13select_configILj256ELj13ELNS0_17block_load_methodE3ELS4_3ELS4_3ELNS0_20block_scan_algorithmE0ELj4294967295EEENS1_25partition_config_selectorILNS1_17partition_subalgoE3EjNS0_10empty_typeEbEEZZNS1_14partition_implILS8_3ELb0ES6_jNS0_17counting_iteratorIjlEEPS9_SE_NS0_5tupleIJPjSE_EEENSF_IJSE_SE_EEES9_SG_JZNS1_25segmented_radix_sort_implINS0_14default_configELb1EPKaPaPKlPlN2at6native12_GLOBAL__N_18offset_tEEE10hipError_tPvRmT1_PNSt15iterator_traitsISY_E10value_typeET2_T3_PNSZ_IS14_E10value_typeET4_jRbjT5_S1A_jjP12ihipStream_tbEUljE_EEESV_SW_SX_S14_S18_S1A_T6_T7_T9_mT8_S1C_bDpT10_ENKUlT_T0_E_clISt17integral_constantIbLb1EES1P_EEDaS1K_S1L_EUlS1K_E_NS1_11comp_targetILNS1_3genE3ELNS1_11target_archE908ELNS1_3gpuE7ELNS1_3repE0EEENS1_30default_config_static_selectorELNS0_4arch9wavefront6targetE0EEEvSY_
    .private_segment_fixed_size: 0
    .sgpr_count:     0
    .sgpr_spill_count: 0
    .symbol:         _ZN7rocprim17ROCPRIM_400000_NS6detail17trampoline_kernelINS0_13select_configILj256ELj13ELNS0_17block_load_methodE3ELS4_3ELS4_3ELNS0_20block_scan_algorithmE0ELj4294967295EEENS1_25partition_config_selectorILNS1_17partition_subalgoE3EjNS0_10empty_typeEbEEZZNS1_14partition_implILS8_3ELb0ES6_jNS0_17counting_iteratorIjlEEPS9_SE_NS0_5tupleIJPjSE_EEENSF_IJSE_SE_EEES9_SG_JZNS1_25segmented_radix_sort_implINS0_14default_configELb1EPKaPaPKlPlN2at6native12_GLOBAL__N_18offset_tEEE10hipError_tPvRmT1_PNSt15iterator_traitsISY_E10value_typeET2_T3_PNSZ_IS14_E10value_typeET4_jRbjT5_S1A_jjP12ihipStream_tbEUljE_EEESV_SW_SX_S14_S18_S1A_T6_T7_T9_mT8_S1C_bDpT10_ENKUlT_T0_E_clISt17integral_constantIbLb1EES1P_EEDaS1K_S1L_EUlS1K_E_NS1_11comp_targetILNS1_3genE3ELNS1_11target_archE908ELNS1_3gpuE7ELNS1_3repE0EEENS1_30default_config_static_selectorELNS0_4arch9wavefront6targetE0EEEvSY_.kd
    .uniform_work_group_size: 1
    .uses_dynamic_stack: false
    .vgpr_count:     0
    .vgpr_spill_count: 0
    .wavefront_size: 32
  - .args:
      - .offset:         0
        .size:           152
        .value_kind:     by_value
    .group_segment_fixed_size: 0
    .kernarg_segment_align: 8
    .kernarg_segment_size: 152
    .language:       OpenCL C
    .language_version:
      - 2
      - 0
    .max_flat_workgroup_size: 256
    .name:           _ZN7rocprim17ROCPRIM_400000_NS6detail17trampoline_kernelINS0_13select_configILj256ELj13ELNS0_17block_load_methodE3ELS4_3ELS4_3ELNS0_20block_scan_algorithmE0ELj4294967295EEENS1_25partition_config_selectorILNS1_17partition_subalgoE3EjNS0_10empty_typeEbEEZZNS1_14partition_implILS8_3ELb0ES6_jNS0_17counting_iteratorIjlEEPS9_SE_NS0_5tupleIJPjSE_EEENSF_IJSE_SE_EEES9_SG_JZNS1_25segmented_radix_sort_implINS0_14default_configELb1EPKaPaPKlPlN2at6native12_GLOBAL__N_18offset_tEEE10hipError_tPvRmT1_PNSt15iterator_traitsISY_E10value_typeET2_T3_PNSZ_IS14_E10value_typeET4_jRbjT5_S1A_jjP12ihipStream_tbEUljE_EEESV_SW_SX_S14_S18_S1A_T6_T7_T9_mT8_S1C_bDpT10_ENKUlT_T0_E_clISt17integral_constantIbLb1EES1P_EEDaS1K_S1L_EUlS1K_E_NS1_11comp_targetILNS1_3genE2ELNS1_11target_archE906ELNS1_3gpuE6ELNS1_3repE0EEENS1_30default_config_static_selectorELNS0_4arch9wavefront6targetE0EEEvSY_
    .private_segment_fixed_size: 0
    .sgpr_count:     0
    .sgpr_spill_count: 0
    .symbol:         _ZN7rocprim17ROCPRIM_400000_NS6detail17trampoline_kernelINS0_13select_configILj256ELj13ELNS0_17block_load_methodE3ELS4_3ELS4_3ELNS0_20block_scan_algorithmE0ELj4294967295EEENS1_25partition_config_selectorILNS1_17partition_subalgoE3EjNS0_10empty_typeEbEEZZNS1_14partition_implILS8_3ELb0ES6_jNS0_17counting_iteratorIjlEEPS9_SE_NS0_5tupleIJPjSE_EEENSF_IJSE_SE_EEES9_SG_JZNS1_25segmented_radix_sort_implINS0_14default_configELb1EPKaPaPKlPlN2at6native12_GLOBAL__N_18offset_tEEE10hipError_tPvRmT1_PNSt15iterator_traitsISY_E10value_typeET2_T3_PNSZ_IS14_E10value_typeET4_jRbjT5_S1A_jjP12ihipStream_tbEUljE_EEESV_SW_SX_S14_S18_S1A_T6_T7_T9_mT8_S1C_bDpT10_ENKUlT_T0_E_clISt17integral_constantIbLb1EES1P_EEDaS1K_S1L_EUlS1K_E_NS1_11comp_targetILNS1_3genE2ELNS1_11target_archE906ELNS1_3gpuE6ELNS1_3repE0EEENS1_30default_config_static_selectorELNS0_4arch9wavefront6targetE0EEEvSY_.kd
    .uniform_work_group_size: 1
    .uses_dynamic_stack: false
    .vgpr_count:     0
    .vgpr_spill_count: 0
    .wavefront_size: 32
  - .args:
      - .offset:         0
        .size:           152
        .value_kind:     by_value
    .group_segment_fixed_size: 0
    .kernarg_segment_align: 8
    .kernarg_segment_size: 152
    .language:       OpenCL C
    .language_version:
      - 2
      - 0
    .max_flat_workgroup_size: 256
    .name:           _ZN7rocprim17ROCPRIM_400000_NS6detail17trampoline_kernelINS0_13select_configILj256ELj13ELNS0_17block_load_methodE3ELS4_3ELS4_3ELNS0_20block_scan_algorithmE0ELj4294967295EEENS1_25partition_config_selectorILNS1_17partition_subalgoE3EjNS0_10empty_typeEbEEZZNS1_14partition_implILS8_3ELb0ES6_jNS0_17counting_iteratorIjlEEPS9_SE_NS0_5tupleIJPjSE_EEENSF_IJSE_SE_EEES9_SG_JZNS1_25segmented_radix_sort_implINS0_14default_configELb1EPKaPaPKlPlN2at6native12_GLOBAL__N_18offset_tEEE10hipError_tPvRmT1_PNSt15iterator_traitsISY_E10value_typeET2_T3_PNSZ_IS14_E10value_typeET4_jRbjT5_S1A_jjP12ihipStream_tbEUljE_EEESV_SW_SX_S14_S18_S1A_T6_T7_T9_mT8_S1C_bDpT10_ENKUlT_T0_E_clISt17integral_constantIbLb1EES1P_EEDaS1K_S1L_EUlS1K_E_NS1_11comp_targetILNS1_3genE10ELNS1_11target_archE1200ELNS1_3gpuE4ELNS1_3repE0EEENS1_30default_config_static_selectorELNS0_4arch9wavefront6targetE0EEEvSY_
    .private_segment_fixed_size: 0
    .sgpr_count:     0
    .sgpr_spill_count: 0
    .symbol:         _ZN7rocprim17ROCPRIM_400000_NS6detail17trampoline_kernelINS0_13select_configILj256ELj13ELNS0_17block_load_methodE3ELS4_3ELS4_3ELNS0_20block_scan_algorithmE0ELj4294967295EEENS1_25partition_config_selectorILNS1_17partition_subalgoE3EjNS0_10empty_typeEbEEZZNS1_14partition_implILS8_3ELb0ES6_jNS0_17counting_iteratorIjlEEPS9_SE_NS0_5tupleIJPjSE_EEENSF_IJSE_SE_EEES9_SG_JZNS1_25segmented_radix_sort_implINS0_14default_configELb1EPKaPaPKlPlN2at6native12_GLOBAL__N_18offset_tEEE10hipError_tPvRmT1_PNSt15iterator_traitsISY_E10value_typeET2_T3_PNSZ_IS14_E10value_typeET4_jRbjT5_S1A_jjP12ihipStream_tbEUljE_EEESV_SW_SX_S14_S18_S1A_T6_T7_T9_mT8_S1C_bDpT10_ENKUlT_T0_E_clISt17integral_constantIbLb1EES1P_EEDaS1K_S1L_EUlS1K_E_NS1_11comp_targetILNS1_3genE10ELNS1_11target_archE1200ELNS1_3gpuE4ELNS1_3repE0EEENS1_30default_config_static_selectorELNS0_4arch9wavefront6targetE0EEEvSY_.kd
    .uniform_work_group_size: 1
    .uses_dynamic_stack: false
    .vgpr_count:     0
    .vgpr_spill_count: 0
    .wavefront_size: 32
  - .args:
      - .offset:         0
        .size:           152
        .value_kind:     by_value
    .group_segment_fixed_size: 0
    .kernarg_segment_align: 8
    .kernarg_segment_size: 152
    .language:       OpenCL C
    .language_version:
      - 2
      - 0
    .max_flat_workgroup_size: 256
    .name:           _ZN7rocprim17ROCPRIM_400000_NS6detail17trampoline_kernelINS0_13select_configILj256ELj13ELNS0_17block_load_methodE3ELS4_3ELS4_3ELNS0_20block_scan_algorithmE0ELj4294967295EEENS1_25partition_config_selectorILNS1_17partition_subalgoE3EjNS0_10empty_typeEbEEZZNS1_14partition_implILS8_3ELb0ES6_jNS0_17counting_iteratorIjlEEPS9_SE_NS0_5tupleIJPjSE_EEENSF_IJSE_SE_EEES9_SG_JZNS1_25segmented_radix_sort_implINS0_14default_configELb1EPKaPaPKlPlN2at6native12_GLOBAL__N_18offset_tEEE10hipError_tPvRmT1_PNSt15iterator_traitsISY_E10value_typeET2_T3_PNSZ_IS14_E10value_typeET4_jRbjT5_S1A_jjP12ihipStream_tbEUljE_EEESV_SW_SX_S14_S18_S1A_T6_T7_T9_mT8_S1C_bDpT10_ENKUlT_T0_E_clISt17integral_constantIbLb1EES1P_EEDaS1K_S1L_EUlS1K_E_NS1_11comp_targetILNS1_3genE9ELNS1_11target_archE1100ELNS1_3gpuE3ELNS1_3repE0EEENS1_30default_config_static_selectorELNS0_4arch9wavefront6targetE0EEEvSY_
    .private_segment_fixed_size: 0
    .sgpr_count:     0
    .sgpr_spill_count: 0
    .symbol:         _ZN7rocprim17ROCPRIM_400000_NS6detail17trampoline_kernelINS0_13select_configILj256ELj13ELNS0_17block_load_methodE3ELS4_3ELS4_3ELNS0_20block_scan_algorithmE0ELj4294967295EEENS1_25partition_config_selectorILNS1_17partition_subalgoE3EjNS0_10empty_typeEbEEZZNS1_14partition_implILS8_3ELb0ES6_jNS0_17counting_iteratorIjlEEPS9_SE_NS0_5tupleIJPjSE_EEENSF_IJSE_SE_EEES9_SG_JZNS1_25segmented_radix_sort_implINS0_14default_configELb1EPKaPaPKlPlN2at6native12_GLOBAL__N_18offset_tEEE10hipError_tPvRmT1_PNSt15iterator_traitsISY_E10value_typeET2_T3_PNSZ_IS14_E10value_typeET4_jRbjT5_S1A_jjP12ihipStream_tbEUljE_EEESV_SW_SX_S14_S18_S1A_T6_T7_T9_mT8_S1C_bDpT10_ENKUlT_T0_E_clISt17integral_constantIbLb1EES1P_EEDaS1K_S1L_EUlS1K_E_NS1_11comp_targetILNS1_3genE9ELNS1_11target_archE1100ELNS1_3gpuE3ELNS1_3repE0EEENS1_30default_config_static_selectorELNS0_4arch9wavefront6targetE0EEEvSY_.kd
    .uniform_work_group_size: 1
    .uses_dynamic_stack: false
    .vgpr_count:     0
    .vgpr_spill_count: 0
    .wavefront_size: 32
  - .args:
      - .offset:         0
        .size:           152
        .value_kind:     by_value
    .group_segment_fixed_size: 0
    .kernarg_segment_align: 8
    .kernarg_segment_size: 152
    .language:       OpenCL C
    .language_version:
      - 2
      - 0
    .max_flat_workgroup_size: 256
    .name:           _ZN7rocprim17ROCPRIM_400000_NS6detail17trampoline_kernelINS0_13select_configILj256ELj13ELNS0_17block_load_methodE3ELS4_3ELS4_3ELNS0_20block_scan_algorithmE0ELj4294967295EEENS1_25partition_config_selectorILNS1_17partition_subalgoE3EjNS0_10empty_typeEbEEZZNS1_14partition_implILS8_3ELb0ES6_jNS0_17counting_iteratorIjlEEPS9_SE_NS0_5tupleIJPjSE_EEENSF_IJSE_SE_EEES9_SG_JZNS1_25segmented_radix_sort_implINS0_14default_configELb1EPKaPaPKlPlN2at6native12_GLOBAL__N_18offset_tEEE10hipError_tPvRmT1_PNSt15iterator_traitsISY_E10value_typeET2_T3_PNSZ_IS14_E10value_typeET4_jRbjT5_S1A_jjP12ihipStream_tbEUljE_EEESV_SW_SX_S14_S18_S1A_T6_T7_T9_mT8_S1C_bDpT10_ENKUlT_T0_E_clISt17integral_constantIbLb1EES1P_EEDaS1K_S1L_EUlS1K_E_NS1_11comp_targetILNS1_3genE8ELNS1_11target_archE1030ELNS1_3gpuE2ELNS1_3repE0EEENS1_30default_config_static_selectorELNS0_4arch9wavefront6targetE0EEEvSY_
    .private_segment_fixed_size: 0
    .sgpr_count:     0
    .sgpr_spill_count: 0
    .symbol:         _ZN7rocprim17ROCPRIM_400000_NS6detail17trampoline_kernelINS0_13select_configILj256ELj13ELNS0_17block_load_methodE3ELS4_3ELS4_3ELNS0_20block_scan_algorithmE0ELj4294967295EEENS1_25partition_config_selectorILNS1_17partition_subalgoE3EjNS0_10empty_typeEbEEZZNS1_14partition_implILS8_3ELb0ES6_jNS0_17counting_iteratorIjlEEPS9_SE_NS0_5tupleIJPjSE_EEENSF_IJSE_SE_EEES9_SG_JZNS1_25segmented_radix_sort_implINS0_14default_configELb1EPKaPaPKlPlN2at6native12_GLOBAL__N_18offset_tEEE10hipError_tPvRmT1_PNSt15iterator_traitsISY_E10value_typeET2_T3_PNSZ_IS14_E10value_typeET4_jRbjT5_S1A_jjP12ihipStream_tbEUljE_EEESV_SW_SX_S14_S18_S1A_T6_T7_T9_mT8_S1C_bDpT10_ENKUlT_T0_E_clISt17integral_constantIbLb1EES1P_EEDaS1K_S1L_EUlS1K_E_NS1_11comp_targetILNS1_3genE8ELNS1_11target_archE1030ELNS1_3gpuE2ELNS1_3repE0EEENS1_30default_config_static_selectorELNS0_4arch9wavefront6targetE0EEEvSY_.kd
    .uniform_work_group_size: 1
    .uses_dynamic_stack: false
    .vgpr_count:     0
    .vgpr_spill_count: 0
    .wavefront_size: 32
  - .args:
      - .offset:         0
        .size:           144
        .value_kind:     by_value
    .group_segment_fixed_size: 0
    .kernarg_segment_align: 8
    .kernarg_segment_size: 144
    .language:       OpenCL C
    .language_version:
      - 2
      - 0
    .max_flat_workgroup_size: 256
    .name:           _ZN7rocprim17ROCPRIM_400000_NS6detail17trampoline_kernelINS0_13select_configILj256ELj13ELNS0_17block_load_methodE3ELS4_3ELS4_3ELNS0_20block_scan_algorithmE0ELj4294967295EEENS1_25partition_config_selectorILNS1_17partition_subalgoE3EjNS0_10empty_typeEbEEZZNS1_14partition_implILS8_3ELb0ES6_jNS0_17counting_iteratorIjlEEPS9_SE_NS0_5tupleIJPjSE_EEENSF_IJSE_SE_EEES9_SG_JZNS1_25segmented_radix_sort_implINS0_14default_configELb1EPKaPaPKlPlN2at6native12_GLOBAL__N_18offset_tEEE10hipError_tPvRmT1_PNSt15iterator_traitsISY_E10value_typeET2_T3_PNSZ_IS14_E10value_typeET4_jRbjT5_S1A_jjP12ihipStream_tbEUljE_EEESV_SW_SX_S14_S18_S1A_T6_T7_T9_mT8_S1C_bDpT10_ENKUlT_T0_E_clISt17integral_constantIbLb1EES1O_IbLb0EEEEDaS1K_S1L_EUlS1K_E_NS1_11comp_targetILNS1_3genE0ELNS1_11target_archE4294967295ELNS1_3gpuE0ELNS1_3repE0EEENS1_30default_config_static_selectorELNS0_4arch9wavefront6targetE0EEEvSY_
    .private_segment_fixed_size: 0
    .sgpr_count:     0
    .sgpr_spill_count: 0
    .symbol:         _ZN7rocprim17ROCPRIM_400000_NS6detail17trampoline_kernelINS0_13select_configILj256ELj13ELNS0_17block_load_methodE3ELS4_3ELS4_3ELNS0_20block_scan_algorithmE0ELj4294967295EEENS1_25partition_config_selectorILNS1_17partition_subalgoE3EjNS0_10empty_typeEbEEZZNS1_14partition_implILS8_3ELb0ES6_jNS0_17counting_iteratorIjlEEPS9_SE_NS0_5tupleIJPjSE_EEENSF_IJSE_SE_EEES9_SG_JZNS1_25segmented_radix_sort_implINS0_14default_configELb1EPKaPaPKlPlN2at6native12_GLOBAL__N_18offset_tEEE10hipError_tPvRmT1_PNSt15iterator_traitsISY_E10value_typeET2_T3_PNSZ_IS14_E10value_typeET4_jRbjT5_S1A_jjP12ihipStream_tbEUljE_EEESV_SW_SX_S14_S18_S1A_T6_T7_T9_mT8_S1C_bDpT10_ENKUlT_T0_E_clISt17integral_constantIbLb1EES1O_IbLb0EEEEDaS1K_S1L_EUlS1K_E_NS1_11comp_targetILNS1_3genE0ELNS1_11target_archE4294967295ELNS1_3gpuE0ELNS1_3repE0EEENS1_30default_config_static_selectorELNS0_4arch9wavefront6targetE0EEEvSY_.kd
    .uniform_work_group_size: 1
    .uses_dynamic_stack: false
    .vgpr_count:     0
    .vgpr_spill_count: 0
    .wavefront_size: 32
  - .args:
      - .offset:         0
        .size:           144
        .value_kind:     by_value
    .group_segment_fixed_size: 0
    .kernarg_segment_align: 8
    .kernarg_segment_size: 144
    .language:       OpenCL C
    .language_version:
      - 2
      - 0
    .max_flat_workgroup_size: 256
    .name:           _ZN7rocprim17ROCPRIM_400000_NS6detail17trampoline_kernelINS0_13select_configILj256ELj13ELNS0_17block_load_methodE3ELS4_3ELS4_3ELNS0_20block_scan_algorithmE0ELj4294967295EEENS1_25partition_config_selectorILNS1_17partition_subalgoE3EjNS0_10empty_typeEbEEZZNS1_14partition_implILS8_3ELb0ES6_jNS0_17counting_iteratorIjlEEPS9_SE_NS0_5tupleIJPjSE_EEENSF_IJSE_SE_EEES9_SG_JZNS1_25segmented_radix_sort_implINS0_14default_configELb1EPKaPaPKlPlN2at6native12_GLOBAL__N_18offset_tEEE10hipError_tPvRmT1_PNSt15iterator_traitsISY_E10value_typeET2_T3_PNSZ_IS14_E10value_typeET4_jRbjT5_S1A_jjP12ihipStream_tbEUljE_EEESV_SW_SX_S14_S18_S1A_T6_T7_T9_mT8_S1C_bDpT10_ENKUlT_T0_E_clISt17integral_constantIbLb1EES1O_IbLb0EEEEDaS1K_S1L_EUlS1K_E_NS1_11comp_targetILNS1_3genE5ELNS1_11target_archE942ELNS1_3gpuE9ELNS1_3repE0EEENS1_30default_config_static_selectorELNS0_4arch9wavefront6targetE0EEEvSY_
    .private_segment_fixed_size: 0
    .sgpr_count:     0
    .sgpr_spill_count: 0
    .symbol:         _ZN7rocprim17ROCPRIM_400000_NS6detail17trampoline_kernelINS0_13select_configILj256ELj13ELNS0_17block_load_methodE3ELS4_3ELS4_3ELNS0_20block_scan_algorithmE0ELj4294967295EEENS1_25partition_config_selectorILNS1_17partition_subalgoE3EjNS0_10empty_typeEbEEZZNS1_14partition_implILS8_3ELb0ES6_jNS0_17counting_iteratorIjlEEPS9_SE_NS0_5tupleIJPjSE_EEENSF_IJSE_SE_EEES9_SG_JZNS1_25segmented_radix_sort_implINS0_14default_configELb1EPKaPaPKlPlN2at6native12_GLOBAL__N_18offset_tEEE10hipError_tPvRmT1_PNSt15iterator_traitsISY_E10value_typeET2_T3_PNSZ_IS14_E10value_typeET4_jRbjT5_S1A_jjP12ihipStream_tbEUljE_EEESV_SW_SX_S14_S18_S1A_T6_T7_T9_mT8_S1C_bDpT10_ENKUlT_T0_E_clISt17integral_constantIbLb1EES1O_IbLb0EEEEDaS1K_S1L_EUlS1K_E_NS1_11comp_targetILNS1_3genE5ELNS1_11target_archE942ELNS1_3gpuE9ELNS1_3repE0EEENS1_30default_config_static_selectorELNS0_4arch9wavefront6targetE0EEEvSY_.kd
    .uniform_work_group_size: 1
    .uses_dynamic_stack: false
    .vgpr_count:     0
    .vgpr_spill_count: 0
    .wavefront_size: 32
  - .args:
      - .offset:         0
        .size:           144
        .value_kind:     by_value
    .group_segment_fixed_size: 0
    .kernarg_segment_align: 8
    .kernarg_segment_size: 144
    .language:       OpenCL C
    .language_version:
      - 2
      - 0
    .max_flat_workgroup_size: 256
    .name:           _ZN7rocprim17ROCPRIM_400000_NS6detail17trampoline_kernelINS0_13select_configILj256ELj13ELNS0_17block_load_methodE3ELS4_3ELS4_3ELNS0_20block_scan_algorithmE0ELj4294967295EEENS1_25partition_config_selectorILNS1_17partition_subalgoE3EjNS0_10empty_typeEbEEZZNS1_14partition_implILS8_3ELb0ES6_jNS0_17counting_iteratorIjlEEPS9_SE_NS0_5tupleIJPjSE_EEENSF_IJSE_SE_EEES9_SG_JZNS1_25segmented_radix_sort_implINS0_14default_configELb1EPKaPaPKlPlN2at6native12_GLOBAL__N_18offset_tEEE10hipError_tPvRmT1_PNSt15iterator_traitsISY_E10value_typeET2_T3_PNSZ_IS14_E10value_typeET4_jRbjT5_S1A_jjP12ihipStream_tbEUljE_EEESV_SW_SX_S14_S18_S1A_T6_T7_T9_mT8_S1C_bDpT10_ENKUlT_T0_E_clISt17integral_constantIbLb1EES1O_IbLb0EEEEDaS1K_S1L_EUlS1K_E_NS1_11comp_targetILNS1_3genE4ELNS1_11target_archE910ELNS1_3gpuE8ELNS1_3repE0EEENS1_30default_config_static_selectorELNS0_4arch9wavefront6targetE0EEEvSY_
    .private_segment_fixed_size: 0
    .sgpr_count:     0
    .sgpr_spill_count: 0
    .symbol:         _ZN7rocprim17ROCPRIM_400000_NS6detail17trampoline_kernelINS0_13select_configILj256ELj13ELNS0_17block_load_methodE3ELS4_3ELS4_3ELNS0_20block_scan_algorithmE0ELj4294967295EEENS1_25partition_config_selectorILNS1_17partition_subalgoE3EjNS0_10empty_typeEbEEZZNS1_14partition_implILS8_3ELb0ES6_jNS0_17counting_iteratorIjlEEPS9_SE_NS0_5tupleIJPjSE_EEENSF_IJSE_SE_EEES9_SG_JZNS1_25segmented_radix_sort_implINS0_14default_configELb1EPKaPaPKlPlN2at6native12_GLOBAL__N_18offset_tEEE10hipError_tPvRmT1_PNSt15iterator_traitsISY_E10value_typeET2_T3_PNSZ_IS14_E10value_typeET4_jRbjT5_S1A_jjP12ihipStream_tbEUljE_EEESV_SW_SX_S14_S18_S1A_T6_T7_T9_mT8_S1C_bDpT10_ENKUlT_T0_E_clISt17integral_constantIbLb1EES1O_IbLb0EEEEDaS1K_S1L_EUlS1K_E_NS1_11comp_targetILNS1_3genE4ELNS1_11target_archE910ELNS1_3gpuE8ELNS1_3repE0EEENS1_30default_config_static_selectorELNS0_4arch9wavefront6targetE0EEEvSY_.kd
    .uniform_work_group_size: 1
    .uses_dynamic_stack: false
    .vgpr_count:     0
    .vgpr_spill_count: 0
    .wavefront_size: 32
  - .args:
      - .offset:         0
        .size:           144
        .value_kind:     by_value
    .group_segment_fixed_size: 0
    .kernarg_segment_align: 8
    .kernarg_segment_size: 144
    .language:       OpenCL C
    .language_version:
      - 2
      - 0
    .max_flat_workgroup_size: 256
    .name:           _ZN7rocprim17ROCPRIM_400000_NS6detail17trampoline_kernelINS0_13select_configILj256ELj13ELNS0_17block_load_methodE3ELS4_3ELS4_3ELNS0_20block_scan_algorithmE0ELj4294967295EEENS1_25partition_config_selectorILNS1_17partition_subalgoE3EjNS0_10empty_typeEbEEZZNS1_14partition_implILS8_3ELb0ES6_jNS0_17counting_iteratorIjlEEPS9_SE_NS0_5tupleIJPjSE_EEENSF_IJSE_SE_EEES9_SG_JZNS1_25segmented_radix_sort_implINS0_14default_configELb1EPKaPaPKlPlN2at6native12_GLOBAL__N_18offset_tEEE10hipError_tPvRmT1_PNSt15iterator_traitsISY_E10value_typeET2_T3_PNSZ_IS14_E10value_typeET4_jRbjT5_S1A_jjP12ihipStream_tbEUljE_EEESV_SW_SX_S14_S18_S1A_T6_T7_T9_mT8_S1C_bDpT10_ENKUlT_T0_E_clISt17integral_constantIbLb1EES1O_IbLb0EEEEDaS1K_S1L_EUlS1K_E_NS1_11comp_targetILNS1_3genE3ELNS1_11target_archE908ELNS1_3gpuE7ELNS1_3repE0EEENS1_30default_config_static_selectorELNS0_4arch9wavefront6targetE0EEEvSY_
    .private_segment_fixed_size: 0
    .sgpr_count:     0
    .sgpr_spill_count: 0
    .symbol:         _ZN7rocprim17ROCPRIM_400000_NS6detail17trampoline_kernelINS0_13select_configILj256ELj13ELNS0_17block_load_methodE3ELS4_3ELS4_3ELNS0_20block_scan_algorithmE0ELj4294967295EEENS1_25partition_config_selectorILNS1_17partition_subalgoE3EjNS0_10empty_typeEbEEZZNS1_14partition_implILS8_3ELb0ES6_jNS0_17counting_iteratorIjlEEPS9_SE_NS0_5tupleIJPjSE_EEENSF_IJSE_SE_EEES9_SG_JZNS1_25segmented_radix_sort_implINS0_14default_configELb1EPKaPaPKlPlN2at6native12_GLOBAL__N_18offset_tEEE10hipError_tPvRmT1_PNSt15iterator_traitsISY_E10value_typeET2_T3_PNSZ_IS14_E10value_typeET4_jRbjT5_S1A_jjP12ihipStream_tbEUljE_EEESV_SW_SX_S14_S18_S1A_T6_T7_T9_mT8_S1C_bDpT10_ENKUlT_T0_E_clISt17integral_constantIbLb1EES1O_IbLb0EEEEDaS1K_S1L_EUlS1K_E_NS1_11comp_targetILNS1_3genE3ELNS1_11target_archE908ELNS1_3gpuE7ELNS1_3repE0EEENS1_30default_config_static_selectorELNS0_4arch9wavefront6targetE0EEEvSY_.kd
    .uniform_work_group_size: 1
    .uses_dynamic_stack: false
    .vgpr_count:     0
    .vgpr_spill_count: 0
    .wavefront_size: 32
  - .args:
      - .offset:         0
        .size:           144
        .value_kind:     by_value
    .group_segment_fixed_size: 0
    .kernarg_segment_align: 8
    .kernarg_segment_size: 144
    .language:       OpenCL C
    .language_version:
      - 2
      - 0
    .max_flat_workgroup_size: 256
    .name:           _ZN7rocprim17ROCPRIM_400000_NS6detail17trampoline_kernelINS0_13select_configILj256ELj13ELNS0_17block_load_methodE3ELS4_3ELS4_3ELNS0_20block_scan_algorithmE0ELj4294967295EEENS1_25partition_config_selectorILNS1_17partition_subalgoE3EjNS0_10empty_typeEbEEZZNS1_14partition_implILS8_3ELb0ES6_jNS0_17counting_iteratorIjlEEPS9_SE_NS0_5tupleIJPjSE_EEENSF_IJSE_SE_EEES9_SG_JZNS1_25segmented_radix_sort_implINS0_14default_configELb1EPKaPaPKlPlN2at6native12_GLOBAL__N_18offset_tEEE10hipError_tPvRmT1_PNSt15iterator_traitsISY_E10value_typeET2_T3_PNSZ_IS14_E10value_typeET4_jRbjT5_S1A_jjP12ihipStream_tbEUljE_EEESV_SW_SX_S14_S18_S1A_T6_T7_T9_mT8_S1C_bDpT10_ENKUlT_T0_E_clISt17integral_constantIbLb1EES1O_IbLb0EEEEDaS1K_S1L_EUlS1K_E_NS1_11comp_targetILNS1_3genE2ELNS1_11target_archE906ELNS1_3gpuE6ELNS1_3repE0EEENS1_30default_config_static_selectorELNS0_4arch9wavefront6targetE0EEEvSY_
    .private_segment_fixed_size: 0
    .sgpr_count:     0
    .sgpr_spill_count: 0
    .symbol:         _ZN7rocprim17ROCPRIM_400000_NS6detail17trampoline_kernelINS0_13select_configILj256ELj13ELNS0_17block_load_methodE3ELS4_3ELS4_3ELNS0_20block_scan_algorithmE0ELj4294967295EEENS1_25partition_config_selectorILNS1_17partition_subalgoE3EjNS0_10empty_typeEbEEZZNS1_14partition_implILS8_3ELb0ES6_jNS0_17counting_iteratorIjlEEPS9_SE_NS0_5tupleIJPjSE_EEENSF_IJSE_SE_EEES9_SG_JZNS1_25segmented_radix_sort_implINS0_14default_configELb1EPKaPaPKlPlN2at6native12_GLOBAL__N_18offset_tEEE10hipError_tPvRmT1_PNSt15iterator_traitsISY_E10value_typeET2_T3_PNSZ_IS14_E10value_typeET4_jRbjT5_S1A_jjP12ihipStream_tbEUljE_EEESV_SW_SX_S14_S18_S1A_T6_T7_T9_mT8_S1C_bDpT10_ENKUlT_T0_E_clISt17integral_constantIbLb1EES1O_IbLb0EEEEDaS1K_S1L_EUlS1K_E_NS1_11comp_targetILNS1_3genE2ELNS1_11target_archE906ELNS1_3gpuE6ELNS1_3repE0EEENS1_30default_config_static_selectorELNS0_4arch9wavefront6targetE0EEEvSY_.kd
    .uniform_work_group_size: 1
    .uses_dynamic_stack: false
    .vgpr_count:     0
    .vgpr_spill_count: 0
    .wavefront_size: 32
  - .args:
      - .offset:         0
        .size:           144
        .value_kind:     by_value
    .group_segment_fixed_size: 0
    .kernarg_segment_align: 8
    .kernarg_segment_size: 144
    .language:       OpenCL C
    .language_version:
      - 2
      - 0
    .max_flat_workgroup_size: 256
    .name:           _ZN7rocprim17ROCPRIM_400000_NS6detail17trampoline_kernelINS0_13select_configILj256ELj13ELNS0_17block_load_methodE3ELS4_3ELS4_3ELNS0_20block_scan_algorithmE0ELj4294967295EEENS1_25partition_config_selectorILNS1_17partition_subalgoE3EjNS0_10empty_typeEbEEZZNS1_14partition_implILS8_3ELb0ES6_jNS0_17counting_iteratorIjlEEPS9_SE_NS0_5tupleIJPjSE_EEENSF_IJSE_SE_EEES9_SG_JZNS1_25segmented_radix_sort_implINS0_14default_configELb1EPKaPaPKlPlN2at6native12_GLOBAL__N_18offset_tEEE10hipError_tPvRmT1_PNSt15iterator_traitsISY_E10value_typeET2_T3_PNSZ_IS14_E10value_typeET4_jRbjT5_S1A_jjP12ihipStream_tbEUljE_EEESV_SW_SX_S14_S18_S1A_T6_T7_T9_mT8_S1C_bDpT10_ENKUlT_T0_E_clISt17integral_constantIbLb1EES1O_IbLb0EEEEDaS1K_S1L_EUlS1K_E_NS1_11comp_targetILNS1_3genE10ELNS1_11target_archE1200ELNS1_3gpuE4ELNS1_3repE0EEENS1_30default_config_static_selectorELNS0_4arch9wavefront6targetE0EEEvSY_
    .private_segment_fixed_size: 0
    .sgpr_count:     0
    .sgpr_spill_count: 0
    .symbol:         _ZN7rocprim17ROCPRIM_400000_NS6detail17trampoline_kernelINS0_13select_configILj256ELj13ELNS0_17block_load_methodE3ELS4_3ELS4_3ELNS0_20block_scan_algorithmE0ELj4294967295EEENS1_25partition_config_selectorILNS1_17partition_subalgoE3EjNS0_10empty_typeEbEEZZNS1_14partition_implILS8_3ELb0ES6_jNS0_17counting_iteratorIjlEEPS9_SE_NS0_5tupleIJPjSE_EEENSF_IJSE_SE_EEES9_SG_JZNS1_25segmented_radix_sort_implINS0_14default_configELb1EPKaPaPKlPlN2at6native12_GLOBAL__N_18offset_tEEE10hipError_tPvRmT1_PNSt15iterator_traitsISY_E10value_typeET2_T3_PNSZ_IS14_E10value_typeET4_jRbjT5_S1A_jjP12ihipStream_tbEUljE_EEESV_SW_SX_S14_S18_S1A_T6_T7_T9_mT8_S1C_bDpT10_ENKUlT_T0_E_clISt17integral_constantIbLb1EES1O_IbLb0EEEEDaS1K_S1L_EUlS1K_E_NS1_11comp_targetILNS1_3genE10ELNS1_11target_archE1200ELNS1_3gpuE4ELNS1_3repE0EEENS1_30default_config_static_selectorELNS0_4arch9wavefront6targetE0EEEvSY_.kd
    .uniform_work_group_size: 1
    .uses_dynamic_stack: false
    .vgpr_count:     0
    .vgpr_spill_count: 0
    .wavefront_size: 32
  - .args:
      - .offset:         0
        .size:           144
        .value_kind:     by_value
    .group_segment_fixed_size: 0
    .kernarg_segment_align: 8
    .kernarg_segment_size: 144
    .language:       OpenCL C
    .language_version:
      - 2
      - 0
    .max_flat_workgroup_size: 256
    .name:           _ZN7rocprim17ROCPRIM_400000_NS6detail17trampoline_kernelINS0_13select_configILj256ELj13ELNS0_17block_load_methodE3ELS4_3ELS4_3ELNS0_20block_scan_algorithmE0ELj4294967295EEENS1_25partition_config_selectorILNS1_17partition_subalgoE3EjNS0_10empty_typeEbEEZZNS1_14partition_implILS8_3ELb0ES6_jNS0_17counting_iteratorIjlEEPS9_SE_NS0_5tupleIJPjSE_EEENSF_IJSE_SE_EEES9_SG_JZNS1_25segmented_radix_sort_implINS0_14default_configELb1EPKaPaPKlPlN2at6native12_GLOBAL__N_18offset_tEEE10hipError_tPvRmT1_PNSt15iterator_traitsISY_E10value_typeET2_T3_PNSZ_IS14_E10value_typeET4_jRbjT5_S1A_jjP12ihipStream_tbEUljE_EEESV_SW_SX_S14_S18_S1A_T6_T7_T9_mT8_S1C_bDpT10_ENKUlT_T0_E_clISt17integral_constantIbLb1EES1O_IbLb0EEEEDaS1K_S1L_EUlS1K_E_NS1_11comp_targetILNS1_3genE9ELNS1_11target_archE1100ELNS1_3gpuE3ELNS1_3repE0EEENS1_30default_config_static_selectorELNS0_4arch9wavefront6targetE0EEEvSY_
    .private_segment_fixed_size: 0
    .sgpr_count:     0
    .sgpr_spill_count: 0
    .symbol:         _ZN7rocprim17ROCPRIM_400000_NS6detail17trampoline_kernelINS0_13select_configILj256ELj13ELNS0_17block_load_methodE3ELS4_3ELS4_3ELNS0_20block_scan_algorithmE0ELj4294967295EEENS1_25partition_config_selectorILNS1_17partition_subalgoE3EjNS0_10empty_typeEbEEZZNS1_14partition_implILS8_3ELb0ES6_jNS0_17counting_iteratorIjlEEPS9_SE_NS0_5tupleIJPjSE_EEENSF_IJSE_SE_EEES9_SG_JZNS1_25segmented_radix_sort_implINS0_14default_configELb1EPKaPaPKlPlN2at6native12_GLOBAL__N_18offset_tEEE10hipError_tPvRmT1_PNSt15iterator_traitsISY_E10value_typeET2_T3_PNSZ_IS14_E10value_typeET4_jRbjT5_S1A_jjP12ihipStream_tbEUljE_EEESV_SW_SX_S14_S18_S1A_T6_T7_T9_mT8_S1C_bDpT10_ENKUlT_T0_E_clISt17integral_constantIbLb1EES1O_IbLb0EEEEDaS1K_S1L_EUlS1K_E_NS1_11comp_targetILNS1_3genE9ELNS1_11target_archE1100ELNS1_3gpuE3ELNS1_3repE0EEENS1_30default_config_static_selectorELNS0_4arch9wavefront6targetE0EEEvSY_.kd
    .uniform_work_group_size: 1
    .uses_dynamic_stack: false
    .vgpr_count:     0
    .vgpr_spill_count: 0
    .wavefront_size: 32
  - .args:
      - .offset:         0
        .size:           144
        .value_kind:     by_value
    .group_segment_fixed_size: 0
    .kernarg_segment_align: 8
    .kernarg_segment_size: 144
    .language:       OpenCL C
    .language_version:
      - 2
      - 0
    .max_flat_workgroup_size: 256
    .name:           _ZN7rocprim17ROCPRIM_400000_NS6detail17trampoline_kernelINS0_13select_configILj256ELj13ELNS0_17block_load_methodE3ELS4_3ELS4_3ELNS0_20block_scan_algorithmE0ELj4294967295EEENS1_25partition_config_selectorILNS1_17partition_subalgoE3EjNS0_10empty_typeEbEEZZNS1_14partition_implILS8_3ELb0ES6_jNS0_17counting_iteratorIjlEEPS9_SE_NS0_5tupleIJPjSE_EEENSF_IJSE_SE_EEES9_SG_JZNS1_25segmented_radix_sort_implINS0_14default_configELb1EPKaPaPKlPlN2at6native12_GLOBAL__N_18offset_tEEE10hipError_tPvRmT1_PNSt15iterator_traitsISY_E10value_typeET2_T3_PNSZ_IS14_E10value_typeET4_jRbjT5_S1A_jjP12ihipStream_tbEUljE_EEESV_SW_SX_S14_S18_S1A_T6_T7_T9_mT8_S1C_bDpT10_ENKUlT_T0_E_clISt17integral_constantIbLb1EES1O_IbLb0EEEEDaS1K_S1L_EUlS1K_E_NS1_11comp_targetILNS1_3genE8ELNS1_11target_archE1030ELNS1_3gpuE2ELNS1_3repE0EEENS1_30default_config_static_selectorELNS0_4arch9wavefront6targetE0EEEvSY_
    .private_segment_fixed_size: 0
    .sgpr_count:     0
    .sgpr_spill_count: 0
    .symbol:         _ZN7rocprim17ROCPRIM_400000_NS6detail17trampoline_kernelINS0_13select_configILj256ELj13ELNS0_17block_load_methodE3ELS4_3ELS4_3ELNS0_20block_scan_algorithmE0ELj4294967295EEENS1_25partition_config_selectorILNS1_17partition_subalgoE3EjNS0_10empty_typeEbEEZZNS1_14partition_implILS8_3ELb0ES6_jNS0_17counting_iteratorIjlEEPS9_SE_NS0_5tupleIJPjSE_EEENSF_IJSE_SE_EEES9_SG_JZNS1_25segmented_radix_sort_implINS0_14default_configELb1EPKaPaPKlPlN2at6native12_GLOBAL__N_18offset_tEEE10hipError_tPvRmT1_PNSt15iterator_traitsISY_E10value_typeET2_T3_PNSZ_IS14_E10value_typeET4_jRbjT5_S1A_jjP12ihipStream_tbEUljE_EEESV_SW_SX_S14_S18_S1A_T6_T7_T9_mT8_S1C_bDpT10_ENKUlT_T0_E_clISt17integral_constantIbLb1EES1O_IbLb0EEEEDaS1K_S1L_EUlS1K_E_NS1_11comp_targetILNS1_3genE8ELNS1_11target_archE1030ELNS1_3gpuE2ELNS1_3repE0EEENS1_30default_config_static_selectorELNS0_4arch9wavefront6targetE0EEEvSY_.kd
    .uniform_work_group_size: 1
    .uses_dynamic_stack: false
    .vgpr_count:     0
    .vgpr_spill_count: 0
    .wavefront_size: 32
  - .args:
      - .offset:         0
        .size:           152
        .value_kind:     by_value
    .group_segment_fixed_size: 13320
    .kernarg_segment_align: 8
    .kernarg_segment_size: 152
    .language:       OpenCL C
    .language_version:
      - 2
      - 0
    .max_flat_workgroup_size: 256
    .name:           _ZN7rocprim17ROCPRIM_400000_NS6detail17trampoline_kernelINS0_13select_configILj256ELj13ELNS0_17block_load_methodE3ELS4_3ELS4_3ELNS0_20block_scan_algorithmE0ELj4294967295EEENS1_25partition_config_selectorILNS1_17partition_subalgoE3EjNS0_10empty_typeEbEEZZNS1_14partition_implILS8_3ELb0ES6_jNS0_17counting_iteratorIjlEEPS9_SE_NS0_5tupleIJPjSE_EEENSF_IJSE_SE_EEES9_SG_JZNS1_25segmented_radix_sort_implINS0_14default_configELb1EPKaPaPKlPlN2at6native12_GLOBAL__N_18offset_tEEE10hipError_tPvRmT1_PNSt15iterator_traitsISY_E10value_typeET2_T3_PNSZ_IS14_E10value_typeET4_jRbjT5_S1A_jjP12ihipStream_tbEUljE_EEESV_SW_SX_S14_S18_S1A_T6_T7_T9_mT8_S1C_bDpT10_ENKUlT_T0_E_clISt17integral_constantIbLb0EES1O_IbLb1EEEEDaS1K_S1L_EUlS1K_E_NS1_11comp_targetILNS1_3genE0ELNS1_11target_archE4294967295ELNS1_3gpuE0ELNS1_3repE0EEENS1_30default_config_static_selectorELNS0_4arch9wavefront6targetE0EEEvSY_
    .private_segment_fixed_size: 0
    .sgpr_count:     26
    .sgpr_spill_count: 0
    .symbol:         _ZN7rocprim17ROCPRIM_400000_NS6detail17trampoline_kernelINS0_13select_configILj256ELj13ELNS0_17block_load_methodE3ELS4_3ELS4_3ELNS0_20block_scan_algorithmE0ELj4294967295EEENS1_25partition_config_selectorILNS1_17partition_subalgoE3EjNS0_10empty_typeEbEEZZNS1_14partition_implILS8_3ELb0ES6_jNS0_17counting_iteratorIjlEEPS9_SE_NS0_5tupleIJPjSE_EEENSF_IJSE_SE_EEES9_SG_JZNS1_25segmented_radix_sort_implINS0_14default_configELb1EPKaPaPKlPlN2at6native12_GLOBAL__N_18offset_tEEE10hipError_tPvRmT1_PNSt15iterator_traitsISY_E10value_typeET2_T3_PNSZ_IS14_E10value_typeET4_jRbjT5_S1A_jjP12ihipStream_tbEUljE_EEESV_SW_SX_S14_S18_S1A_T6_T7_T9_mT8_S1C_bDpT10_ENKUlT_T0_E_clISt17integral_constantIbLb0EES1O_IbLb1EEEEDaS1K_S1L_EUlS1K_E_NS1_11comp_targetILNS1_3genE0ELNS1_11target_archE4294967295ELNS1_3gpuE0ELNS1_3repE0EEENS1_30default_config_static_selectorELNS0_4arch9wavefront6targetE0EEEvSY_.kd
    .uniform_work_group_size: 1
    .uses_dynamic_stack: false
    .vgpr_count:     72
    .vgpr_spill_count: 0
    .wavefront_size: 32
  - .args:
      - .offset:         0
        .size:           152
        .value_kind:     by_value
    .group_segment_fixed_size: 0
    .kernarg_segment_align: 8
    .kernarg_segment_size: 152
    .language:       OpenCL C
    .language_version:
      - 2
      - 0
    .max_flat_workgroup_size: 256
    .name:           _ZN7rocprim17ROCPRIM_400000_NS6detail17trampoline_kernelINS0_13select_configILj256ELj13ELNS0_17block_load_methodE3ELS4_3ELS4_3ELNS0_20block_scan_algorithmE0ELj4294967295EEENS1_25partition_config_selectorILNS1_17partition_subalgoE3EjNS0_10empty_typeEbEEZZNS1_14partition_implILS8_3ELb0ES6_jNS0_17counting_iteratorIjlEEPS9_SE_NS0_5tupleIJPjSE_EEENSF_IJSE_SE_EEES9_SG_JZNS1_25segmented_radix_sort_implINS0_14default_configELb1EPKaPaPKlPlN2at6native12_GLOBAL__N_18offset_tEEE10hipError_tPvRmT1_PNSt15iterator_traitsISY_E10value_typeET2_T3_PNSZ_IS14_E10value_typeET4_jRbjT5_S1A_jjP12ihipStream_tbEUljE_EEESV_SW_SX_S14_S18_S1A_T6_T7_T9_mT8_S1C_bDpT10_ENKUlT_T0_E_clISt17integral_constantIbLb0EES1O_IbLb1EEEEDaS1K_S1L_EUlS1K_E_NS1_11comp_targetILNS1_3genE5ELNS1_11target_archE942ELNS1_3gpuE9ELNS1_3repE0EEENS1_30default_config_static_selectorELNS0_4arch9wavefront6targetE0EEEvSY_
    .private_segment_fixed_size: 0
    .sgpr_count:     0
    .sgpr_spill_count: 0
    .symbol:         _ZN7rocprim17ROCPRIM_400000_NS6detail17trampoline_kernelINS0_13select_configILj256ELj13ELNS0_17block_load_methodE3ELS4_3ELS4_3ELNS0_20block_scan_algorithmE0ELj4294967295EEENS1_25partition_config_selectorILNS1_17partition_subalgoE3EjNS0_10empty_typeEbEEZZNS1_14partition_implILS8_3ELb0ES6_jNS0_17counting_iteratorIjlEEPS9_SE_NS0_5tupleIJPjSE_EEENSF_IJSE_SE_EEES9_SG_JZNS1_25segmented_radix_sort_implINS0_14default_configELb1EPKaPaPKlPlN2at6native12_GLOBAL__N_18offset_tEEE10hipError_tPvRmT1_PNSt15iterator_traitsISY_E10value_typeET2_T3_PNSZ_IS14_E10value_typeET4_jRbjT5_S1A_jjP12ihipStream_tbEUljE_EEESV_SW_SX_S14_S18_S1A_T6_T7_T9_mT8_S1C_bDpT10_ENKUlT_T0_E_clISt17integral_constantIbLb0EES1O_IbLb1EEEEDaS1K_S1L_EUlS1K_E_NS1_11comp_targetILNS1_3genE5ELNS1_11target_archE942ELNS1_3gpuE9ELNS1_3repE0EEENS1_30default_config_static_selectorELNS0_4arch9wavefront6targetE0EEEvSY_.kd
    .uniform_work_group_size: 1
    .uses_dynamic_stack: false
    .vgpr_count:     0
    .vgpr_spill_count: 0
    .wavefront_size: 32
  - .args:
      - .offset:         0
        .size:           152
        .value_kind:     by_value
    .group_segment_fixed_size: 0
    .kernarg_segment_align: 8
    .kernarg_segment_size: 152
    .language:       OpenCL C
    .language_version:
      - 2
      - 0
    .max_flat_workgroup_size: 256
    .name:           _ZN7rocprim17ROCPRIM_400000_NS6detail17trampoline_kernelINS0_13select_configILj256ELj13ELNS0_17block_load_methodE3ELS4_3ELS4_3ELNS0_20block_scan_algorithmE0ELj4294967295EEENS1_25partition_config_selectorILNS1_17partition_subalgoE3EjNS0_10empty_typeEbEEZZNS1_14partition_implILS8_3ELb0ES6_jNS0_17counting_iteratorIjlEEPS9_SE_NS0_5tupleIJPjSE_EEENSF_IJSE_SE_EEES9_SG_JZNS1_25segmented_radix_sort_implINS0_14default_configELb1EPKaPaPKlPlN2at6native12_GLOBAL__N_18offset_tEEE10hipError_tPvRmT1_PNSt15iterator_traitsISY_E10value_typeET2_T3_PNSZ_IS14_E10value_typeET4_jRbjT5_S1A_jjP12ihipStream_tbEUljE_EEESV_SW_SX_S14_S18_S1A_T6_T7_T9_mT8_S1C_bDpT10_ENKUlT_T0_E_clISt17integral_constantIbLb0EES1O_IbLb1EEEEDaS1K_S1L_EUlS1K_E_NS1_11comp_targetILNS1_3genE4ELNS1_11target_archE910ELNS1_3gpuE8ELNS1_3repE0EEENS1_30default_config_static_selectorELNS0_4arch9wavefront6targetE0EEEvSY_
    .private_segment_fixed_size: 0
    .sgpr_count:     0
    .sgpr_spill_count: 0
    .symbol:         _ZN7rocprim17ROCPRIM_400000_NS6detail17trampoline_kernelINS0_13select_configILj256ELj13ELNS0_17block_load_methodE3ELS4_3ELS4_3ELNS0_20block_scan_algorithmE0ELj4294967295EEENS1_25partition_config_selectorILNS1_17partition_subalgoE3EjNS0_10empty_typeEbEEZZNS1_14partition_implILS8_3ELb0ES6_jNS0_17counting_iteratorIjlEEPS9_SE_NS0_5tupleIJPjSE_EEENSF_IJSE_SE_EEES9_SG_JZNS1_25segmented_radix_sort_implINS0_14default_configELb1EPKaPaPKlPlN2at6native12_GLOBAL__N_18offset_tEEE10hipError_tPvRmT1_PNSt15iterator_traitsISY_E10value_typeET2_T3_PNSZ_IS14_E10value_typeET4_jRbjT5_S1A_jjP12ihipStream_tbEUljE_EEESV_SW_SX_S14_S18_S1A_T6_T7_T9_mT8_S1C_bDpT10_ENKUlT_T0_E_clISt17integral_constantIbLb0EES1O_IbLb1EEEEDaS1K_S1L_EUlS1K_E_NS1_11comp_targetILNS1_3genE4ELNS1_11target_archE910ELNS1_3gpuE8ELNS1_3repE0EEENS1_30default_config_static_selectorELNS0_4arch9wavefront6targetE0EEEvSY_.kd
    .uniform_work_group_size: 1
    .uses_dynamic_stack: false
    .vgpr_count:     0
    .vgpr_spill_count: 0
    .wavefront_size: 32
  - .args:
      - .offset:         0
        .size:           152
        .value_kind:     by_value
    .group_segment_fixed_size: 0
    .kernarg_segment_align: 8
    .kernarg_segment_size: 152
    .language:       OpenCL C
    .language_version:
      - 2
      - 0
    .max_flat_workgroup_size: 256
    .name:           _ZN7rocprim17ROCPRIM_400000_NS6detail17trampoline_kernelINS0_13select_configILj256ELj13ELNS0_17block_load_methodE3ELS4_3ELS4_3ELNS0_20block_scan_algorithmE0ELj4294967295EEENS1_25partition_config_selectorILNS1_17partition_subalgoE3EjNS0_10empty_typeEbEEZZNS1_14partition_implILS8_3ELb0ES6_jNS0_17counting_iteratorIjlEEPS9_SE_NS0_5tupleIJPjSE_EEENSF_IJSE_SE_EEES9_SG_JZNS1_25segmented_radix_sort_implINS0_14default_configELb1EPKaPaPKlPlN2at6native12_GLOBAL__N_18offset_tEEE10hipError_tPvRmT1_PNSt15iterator_traitsISY_E10value_typeET2_T3_PNSZ_IS14_E10value_typeET4_jRbjT5_S1A_jjP12ihipStream_tbEUljE_EEESV_SW_SX_S14_S18_S1A_T6_T7_T9_mT8_S1C_bDpT10_ENKUlT_T0_E_clISt17integral_constantIbLb0EES1O_IbLb1EEEEDaS1K_S1L_EUlS1K_E_NS1_11comp_targetILNS1_3genE3ELNS1_11target_archE908ELNS1_3gpuE7ELNS1_3repE0EEENS1_30default_config_static_selectorELNS0_4arch9wavefront6targetE0EEEvSY_
    .private_segment_fixed_size: 0
    .sgpr_count:     0
    .sgpr_spill_count: 0
    .symbol:         _ZN7rocprim17ROCPRIM_400000_NS6detail17trampoline_kernelINS0_13select_configILj256ELj13ELNS0_17block_load_methodE3ELS4_3ELS4_3ELNS0_20block_scan_algorithmE0ELj4294967295EEENS1_25partition_config_selectorILNS1_17partition_subalgoE3EjNS0_10empty_typeEbEEZZNS1_14partition_implILS8_3ELb0ES6_jNS0_17counting_iteratorIjlEEPS9_SE_NS0_5tupleIJPjSE_EEENSF_IJSE_SE_EEES9_SG_JZNS1_25segmented_radix_sort_implINS0_14default_configELb1EPKaPaPKlPlN2at6native12_GLOBAL__N_18offset_tEEE10hipError_tPvRmT1_PNSt15iterator_traitsISY_E10value_typeET2_T3_PNSZ_IS14_E10value_typeET4_jRbjT5_S1A_jjP12ihipStream_tbEUljE_EEESV_SW_SX_S14_S18_S1A_T6_T7_T9_mT8_S1C_bDpT10_ENKUlT_T0_E_clISt17integral_constantIbLb0EES1O_IbLb1EEEEDaS1K_S1L_EUlS1K_E_NS1_11comp_targetILNS1_3genE3ELNS1_11target_archE908ELNS1_3gpuE7ELNS1_3repE0EEENS1_30default_config_static_selectorELNS0_4arch9wavefront6targetE0EEEvSY_.kd
    .uniform_work_group_size: 1
    .uses_dynamic_stack: false
    .vgpr_count:     0
    .vgpr_spill_count: 0
    .wavefront_size: 32
  - .args:
      - .offset:         0
        .size:           152
        .value_kind:     by_value
    .group_segment_fixed_size: 0
    .kernarg_segment_align: 8
    .kernarg_segment_size: 152
    .language:       OpenCL C
    .language_version:
      - 2
      - 0
    .max_flat_workgroup_size: 256
    .name:           _ZN7rocprim17ROCPRIM_400000_NS6detail17trampoline_kernelINS0_13select_configILj256ELj13ELNS0_17block_load_methodE3ELS4_3ELS4_3ELNS0_20block_scan_algorithmE0ELj4294967295EEENS1_25partition_config_selectorILNS1_17partition_subalgoE3EjNS0_10empty_typeEbEEZZNS1_14partition_implILS8_3ELb0ES6_jNS0_17counting_iteratorIjlEEPS9_SE_NS0_5tupleIJPjSE_EEENSF_IJSE_SE_EEES9_SG_JZNS1_25segmented_radix_sort_implINS0_14default_configELb1EPKaPaPKlPlN2at6native12_GLOBAL__N_18offset_tEEE10hipError_tPvRmT1_PNSt15iterator_traitsISY_E10value_typeET2_T3_PNSZ_IS14_E10value_typeET4_jRbjT5_S1A_jjP12ihipStream_tbEUljE_EEESV_SW_SX_S14_S18_S1A_T6_T7_T9_mT8_S1C_bDpT10_ENKUlT_T0_E_clISt17integral_constantIbLb0EES1O_IbLb1EEEEDaS1K_S1L_EUlS1K_E_NS1_11comp_targetILNS1_3genE2ELNS1_11target_archE906ELNS1_3gpuE6ELNS1_3repE0EEENS1_30default_config_static_selectorELNS0_4arch9wavefront6targetE0EEEvSY_
    .private_segment_fixed_size: 0
    .sgpr_count:     0
    .sgpr_spill_count: 0
    .symbol:         _ZN7rocprim17ROCPRIM_400000_NS6detail17trampoline_kernelINS0_13select_configILj256ELj13ELNS0_17block_load_methodE3ELS4_3ELS4_3ELNS0_20block_scan_algorithmE0ELj4294967295EEENS1_25partition_config_selectorILNS1_17partition_subalgoE3EjNS0_10empty_typeEbEEZZNS1_14partition_implILS8_3ELb0ES6_jNS0_17counting_iteratorIjlEEPS9_SE_NS0_5tupleIJPjSE_EEENSF_IJSE_SE_EEES9_SG_JZNS1_25segmented_radix_sort_implINS0_14default_configELb1EPKaPaPKlPlN2at6native12_GLOBAL__N_18offset_tEEE10hipError_tPvRmT1_PNSt15iterator_traitsISY_E10value_typeET2_T3_PNSZ_IS14_E10value_typeET4_jRbjT5_S1A_jjP12ihipStream_tbEUljE_EEESV_SW_SX_S14_S18_S1A_T6_T7_T9_mT8_S1C_bDpT10_ENKUlT_T0_E_clISt17integral_constantIbLb0EES1O_IbLb1EEEEDaS1K_S1L_EUlS1K_E_NS1_11comp_targetILNS1_3genE2ELNS1_11target_archE906ELNS1_3gpuE6ELNS1_3repE0EEENS1_30default_config_static_selectorELNS0_4arch9wavefront6targetE0EEEvSY_.kd
    .uniform_work_group_size: 1
    .uses_dynamic_stack: false
    .vgpr_count:     0
    .vgpr_spill_count: 0
    .wavefront_size: 32
  - .args:
      - .offset:         0
        .size:           152
        .value_kind:     by_value
    .group_segment_fixed_size: 0
    .kernarg_segment_align: 8
    .kernarg_segment_size: 152
    .language:       OpenCL C
    .language_version:
      - 2
      - 0
    .max_flat_workgroup_size: 256
    .name:           _ZN7rocprim17ROCPRIM_400000_NS6detail17trampoline_kernelINS0_13select_configILj256ELj13ELNS0_17block_load_methodE3ELS4_3ELS4_3ELNS0_20block_scan_algorithmE0ELj4294967295EEENS1_25partition_config_selectorILNS1_17partition_subalgoE3EjNS0_10empty_typeEbEEZZNS1_14partition_implILS8_3ELb0ES6_jNS0_17counting_iteratorIjlEEPS9_SE_NS0_5tupleIJPjSE_EEENSF_IJSE_SE_EEES9_SG_JZNS1_25segmented_radix_sort_implINS0_14default_configELb1EPKaPaPKlPlN2at6native12_GLOBAL__N_18offset_tEEE10hipError_tPvRmT1_PNSt15iterator_traitsISY_E10value_typeET2_T3_PNSZ_IS14_E10value_typeET4_jRbjT5_S1A_jjP12ihipStream_tbEUljE_EEESV_SW_SX_S14_S18_S1A_T6_T7_T9_mT8_S1C_bDpT10_ENKUlT_T0_E_clISt17integral_constantIbLb0EES1O_IbLb1EEEEDaS1K_S1L_EUlS1K_E_NS1_11comp_targetILNS1_3genE10ELNS1_11target_archE1200ELNS1_3gpuE4ELNS1_3repE0EEENS1_30default_config_static_selectorELNS0_4arch9wavefront6targetE0EEEvSY_
    .private_segment_fixed_size: 0
    .sgpr_count:     0
    .sgpr_spill_count: 0
    .symbol:         _ZN7rocprim17ROCPRIM_400000_NS6detail17trampoline_kernelINS0_13select_configILj256ELj13ELNS0_17block_load_methodE3ELS4_3ELS4_3ELNS0_20block_scan_algorithmE0ELj4294967295EEENS1_25partition_config_selectorILNS1_17partition_subalgoE3EjNS0_10empty_typeEbEEZZNS1_14partition_implILS8_3ELb0ES6_jNS0_17counting_iteratorIjlEEPS9_SE_NS0_5tupleIJPjSE_EEENSF_IJSE_SE_EEES9_SG_JZNS1_25segmented_radix_sort_implINS0_14default_configELb1EPKaPaPKlPlN2at6native12_GLOBAL__N_18offset_tEEE10hipError_tPvRmT1_PNSt15iterator_traitsISY_E10value_typeET2_T3_PNSZ_IS14_E10value_typeET4_jRbjT5_S1A_jjP12ihipStream_tbEUljE_EEESV_SW_SX_S14_S18_S1A_T6_T7_T9_mT8_S1C_bDpT10_ENKUlT_T0_E_clISt17integral_constantIbLb0EES1O_IbLb1EEEEDaS1K_S1L_EUlS1K_E_NS1_11comp_targetILNS1_3genE10ELNS1_11target_archE1200ELNS1_3gpuE4ELNS1_3repE0EEENS1_30default_config_static_selectorELNS0_4arch9wavefront6targetE0EEEvSY_.kd
    .uniform_work_group_size: 1
    .uses_dynamic_stack: false
    .vgpr_count:     0
    .vgpr_spill_count: 0
    .wavefront_size: 32
  - .args:
      - .offset:         0
        .size:           152
        .value_kind:     by_value
    .group_segment_fixed_size: 0
    .kernarg_segment_align: 8
    .kernarg_segment_size: 152
    .language:       OpenCL C
    .language_version:
      - 2
      - 0
    .max_flat_workgroup_size: 256
    .name:           _ZN7rocprim17ROCPRIM_400000_NS6detail17trampoline_kernelINS0_13select_configILj256ELj13ELNS0_17block_load_methodE3ELS4_3ELS4_3ELNS0_20block_scan_algorithmE0ELj4294967295EEENS1_25partition_config_selectorILNS1_17partition_subalgoE3EjNS0_10empty_typeEbEEZZNS1_14partition_implILS8_3ELb0ES6_jNS0_17counting_iteratorIjlEEPS9_SE_NS0_5tupleIJPjSE_EEENSF_IJSE_SE_EEES9_SG_JZNS1_25segmented_radix_sort_implINS0_14default_configELb1EPKaPaPKlPlN2at6native12_GLOBAL__N_18offset_tEEE10hipError_tPvRmT1_PNSt15iterator_traitsISY_E10value_typeET2_T3_PNSZ_IS14_E10value_typeET4_jRbjT5_S1A_jjP12ihipStream_tbEUljE_EEESV_SW_SX_S14_S18_S1A_T6_T7_T9_mT8_S1C_bDpT10_ENKUlT_T0_E_clISt17integral_constantIbLb0EES1O_IbLb1EEEEDaS1K_S1L_EUlS1K_E_NS1_11comp_targetILNS1_3genE9ELNS1_11target_archE1100ELNS1_3gpuE3ELNS1_3repE0EEENS1_30default_config_static_selectorELNS0_4arch9wavefront6targetE0EEEvSY_
    .private_segment_fixed_size: 0
    .sgpr_count:     0
    .sgpr_spill_count: 0
    .symbol:         _ZN7rocprim17ROCPRIM_400000_NS6detail17trampoline_kernelINS0_13select_configILj256ELj13ELNS0_17block_load_methodE3ELS4_3ELS4_3ELNS0_20block_scan_algorithmE0ELj4294967295EEENS1_25partition_config_selectorILNS1_17partition_subalgoE3EjNS0_10empty_typeEbEEZZNS1_14partition_implILS8_3ELb0ES6_jNS0_17counting_iteratorIjlEEPS9_SE_NS0_5tupleIJPjSE_EEENSF_IJSE_SE_EEES9_SG_JZNS1_25segmented_radix_sort_implINS0_14default_configELb1EPKaPaPKlPlN2at6native12_GLOBAL__N_18offset_tEEE10hipError_tPvRmT1_PNSt15iterator_traitsISY_E10value_typeET2_T3_PNSZ_IS14_E10value_typeET4_jRbjT5_S1A_jjP12ihipStream_tbEUljE_EEESV_SW_SX_S14_S18_S1A_T6_T7_T9_mT8_S1C_bDpT10_ENKUlT_T0_E_clISt17integral_constantIbLb0EES1O_IbLb1EEEEDaS1K_S1L_EUlS1K_E_NS1_11comp_targetILNS1_3genE9ELNS1_11target_archE1100ELNS1_3gpuE3ELNS1_3repE0EEENS1_30default_config_static_selectorELNS0_4arch9wavefront6targetE0EEEvSY_.kd
    .uniform_work_group_size: 1
    .uses_dynamic_stack: false
    .vgpr_count:     0
    .vgpr_spill_count: 0
    .wavefront_size: 32
  - .args:
      - .offset:         0
        .size:           152
        .value_kind:     by_value
    .group_segment_fixed_size: 0
    .kernarg_segment_align: 8
    .kernarg_segment_size: 152
    .language:       OpenCL C
    .language_version:
      - 2
      - 0
    .max_flat_workgroup_size: 256
    .name:           _ZN7rocprim17ROCPRIM_400000_NS6detail17trampoline_kernelINS0_13select_configILj256ELj13ELNS0_17block_load_methodE3ELS4_3ELS4_3ELNS0_20block_scan_algorithmE0ELj4294967295EEENS1_25partition_config_selectorILNS1_17partition_subalgoE3EjNS0_10empty_typeEbEEZZNS1_14partition_implILS8_3ELb0ES6_jNS0_17counting_iteratorIjlEEPS9_SE_NS0_5tupleIJPjSE_EEENSF_IJSE_SE_EEES9_SG_JZNS1_25segmented_radix_sort_implINS0_14default_configELb1EPKaPaPKlPlN2at6native12_GLOBAL__N_18offset_tEEE10hipError_tPvRmT1_PNSt15iterator_traitsISY_E10value_typeET2_T3_PNSZ_IS14_E10value_typeET4_jRbjT5_S1A_jjP12ihipStream_tbEUljE_EEESV_SW_SX_S14_S18_S1A_T6_T7_T9_mT8_S1C_bDpT10_ENKUlT_T0_E_clISt17integral_constantIbLb0EES1O_IbLb1EEEEDaS1K_S1L_EUlS1K_E_NS1_11comp_targetILNS1_3genE8ELNS1_11target_archE1030ELNS1_3gpuE2ELNS1_3repE0EEENS1_30default_config_static_selectorELNS0_4arch9wavefront6targetE0EEEvSY_
    .private_segment_fixed_size: 0
    .sgpr_count:     0
    .sgpr_spill_count: 0
    .symbol:         _ZN7rocprim17ROCPRIM_400000_NS6detail17trampoline_kernelINS0_13select_configILj256ELj13ELNS0_17block_load_methodE3ELS4_3ELS4_3ELNS0_20block_scan_algorithmE0ELj4294967295EEENS1_25partition_config_selectorILNS1_17partition_subalgoE3EjNS0_10empty_typeEbEEZZNS1_14partition_implILS8_3ELb0ES6_jNS0_17counting_iteratorIjlEEPS9_SE_NS0_5tupleIJPjSE_EEENSF_IJSE_SE_EEES9_SG_JZNS1_25segmented_radix_sort_implINS0_14default_configELb1EPKaPaPKlPlN2at6native12_GLOBAL__N_18offset_tEEE10hipError_tPvRmT1_PNSt15iterator_traitsISY_E10value_typeET2_T3_PNSZ_IS14_E10value_typeET4_jRbjT5_S1A_jjP12ihipStream_tbEUljE_EEESV_SW_SX_S14_S18_S1A_T6_T7_T9_mT8_S1C_bDpT10_ENKUlT_T0_E_clISt17integral_constantIbLb0EES1O_IbLb1EEEEDaS1K_S1L_EUlS1K_E_NS1_11comp_targetILNS1_3genE8ELNS1_11target_archE1030ELNS1_3gpuE2ELNS1_3repE0EEENS1_30default_config_static_selectorELNS0_4arch9wavefront6targetE0EEEvSY_.kd
    .uniform_work_group_size: 1
    .uses_dynamic_stack: false
    .vgpr_count:     0
    .vgpr_spill_count: 0
    .wavefront_size: 32
  - .args:
      - .offset:         0
        .size:           96
        .value_kind:     by_value
      - .offset:         96
        .size:           4
        .value_kind:     hidden_block_count_x
      - .offset:         100
        .size:           4
        .value_kind:     hidden_block_count_y
      - .offset:         104
        .size:           4
        .value_kind:     hidden_block_count_z
      - .offset:         108
        .size:           2
        .value_kind:     hidden_group_size_x
      - .offset:         110
        .size:           2
        .value_kind:     hidden_group_size_y
      - .offset:         112
        .size:           2
        .value_kind:     hidden_group_size_z
      - .offset:         114
        .size:           2
        .value_kind:     hidden_remainder_x
      - .offset:         116
        .size:           2
        .value_kind:     hidden_remainder_y
      - .offset:         118
        .size:           2
        .value_kind:     hidden_remainder_z
      - .offset:         136
        .size:           8
        .value_kind:     hidden_global_offset_x
      - .offset:         144
        .size:           8
        .value_kind:     hidden_global_offset_y
      - .offset:         152
        .size:           8
        .value_kind:     hidden_global_offset_z
      - .offset:         160
        .size:           2
        .value_kind:     hidden_grid_dims
      - .offset:         176
        .size:           8
        .value_kind:     hidden_hostcall_buffer
      - .offset:         184
        .size:           8
        .value_kind:     hidden_multigrid_sync_arg
      - .offset:         192
        .size:           8
        .value_kind:     hidden_heap_v1
      - .offset:         200
        .size:           8
        .value_kind:     hidden_default_queue
      - .offset:         208
        .size:           8
        .value_kind:     hidden_completion_action
      - .offset:         296
        .size:           8
        .value_kind:     hidden_queue_ptr
    .group_segment_fixed_size: 35344
    .kernarg_segment_align: 8
    .kernarg_segment_size: 352
    .language:       OpenCL C
    .language_version:
      - 2
      - 0
    .max_flat_workgroup_size: 256
    .name:           _ZN7rocprim17ROCPRIM_400000_NS6detail17trampoline_kernelINS0_14default_configENS1_36segmented_radix_sort_config_selectorIalEEZNS1_25segmented_radix_sort_implIS3_Lb1EPKaPaPKlPlN2at6native12_GLOBAL__N_18offset_tEEE10hipError_tPvRmT1_PNSt15iterator_traitsISK_E10value_typeET2_T3_PNSL_ISQ_E10value_typeET4_jRbjT5_SW_jjP12ihipStream_tbEUlT_E_NS1_11comp_targetILNS1_3genE0ELNS1_11target_archE4294967295ELNS1_3gpuE0ELNS1_3repE0EEENS1_30default_config_static_selectorELNS0_4arch9wavefront6targetE0EEEvSK_
    .private_segment_fixed_size: 0
    .sgpr_count:     64
    .sgpr_spill_count: 0
    .symbol:         _ZN7rocprim17ROCPRIM_400000_NS6detail17trampoline_kernelINS0_14default_configENS1_36segmented_radix_sort_config_selectorIalEEZNS1_25segmented_radix_sort_implIS3_Lb1EPKaPaPKlPlN2at6native12_GLOBAL__N_18offset_tEEE10hipError_tPvRmT1_PNSt15iterator_traitsISK_E10value_typeET2_T3_PNSL_ISQ_E10value_typeET4_jRbjT5_SW_jjP12ihipStream_tbEUlT_E_NS1_11comp_targetILNS1_3genE0ELNS1_11target_archE4294967295ELNS1_3gpuE0ELNS1_3repE0EEENS1_30default_config_static_selectorELNS0_4arch9wavefront6targetE0EEEvSK_.kd
    .uniform_work_group_size: 1
    .uses_dynamic_stack: false
    .vgpr_count:     315
    .vgpr_spill_count: 0
    .wavefront_size: 32
  - .args:
      - .offset:         0
        .size:           96
        .value_kind:     by_value
    .group_segment_fixed_size: 0
    .kernarg_segment_align: 8
    .kernarg_segment_size: 96
    .language:       OpenCL C
    .language_version:
      - 2
      - 0
    .max_flat_workgroup_size: 256
    .name:           _ZN7rocprim17ROCPRIM_400000_NS6detail17trampoline_kernelINS0_14default_configENS1_36segmented_radix_sort_config_selectorIalEEZNS1_25segmented_radix_sort_implIS3_Lb1EPKaPaPKlPlN2at6native12_GLOBAL__N_18offset_tEEE10hipError_tPvRmT1_PNSt15iterator_traitsISK_E10value_typeET2_T3_PNSL_ISQ_E10value_typeET4_jRbjT5_SW_jjP12ihipStream_tbEUlT_E_NS1_11comp_targetILNS1_3genE5ELNS1_11target_archE942ELNS1_3gpuE9ELNS1_3repE0EEENS1_30default_config_static_selectorELNS0_4arch9wavefront6targetE0EEEvSK_
    .private_segment_fixed_size: 0
    .sgpr_count:     0
    .sgpr_spill_count: 0
    .symbol:         _ZN7rocprim17ROCPRIM_400000_NS6detail17trampoline_kernelINS0_14default_configENS1_36segmented_radix_sort_config_selectorIalEEZNS1_25segmented_radix_sort_implIS3_Lb1EPKaPaPKlPlN2at6native12_GLOBAL__N_18offset_tEEE10hipError_tPvRmT1_PNSt15iterator_traitsISK_E10value_typeET2_T3_PNSL_ISQ_E10value_typeET4_jRbjT5_SW_jjP12ihipStream_tbEUlT_E_NS1_11comp_targetILNS1_3genE5ELNS1_11target_archE942ELNS1_3gpuE9ELNS1_3repE0EEENS1_30default_config_static_selectorELNS0_4arch9wavefront6targetE0EEEvSK_.kd
    .uniform_work_group_size: 1
    .uses_dynamic_stack: false
    .vgpr_count:     0
    .vgpr_spill_count: 0
    .wavefront_size: 32
  - .args:
      - .offset:         0
        .size:           96
        .value_kind:     by_value
    .group_segment_fixed_size: 0
    .kernarg_segment_align: 8
    .kernarg_segment_size: 96
    .language:       OpenCL C
    .language_version:
      - 2
      - 0
    .max_flat_workgroup_size: 256
    .name:           _ZN7rocprim17ROCPRIM_400000_NS6detail17trampoline_kernelINS0_14default_configENS1_36segmented_radix_sort_config_selectorIalEEZNS1_25segmented_radix_sort_implIS3_Lb1EPKaPaPKlPlN2at6native12_GLOBAL__N_18offset_tEEE10hipError_tPvRmT1_PNSt15iterator_traitsISK_E10value_typeET2_T3_PNSL_ISQ_E10value_typeET4_jRbjT5_SW_jjP12ihipStream_tbEUlT_E_NS1_11comp_targetILNS1_3genE4ELNS1_11target_archE910ELNS1_3gpuE8ELNS1_3repE0EEENS1_30default_config_static_selectorELNS0_4arch9wavefront6targetE0EEEvSK_
    .private_segment_fixed_size: 0
    .sgpr_count:     0
    .sgpr_spill_count: 0
    .symbol:         _ZN7rocprim17ROCPRIM_400000_NS6detail17trampoline_kernelINS0_14default_configENS1_36segmented_radix_sort_config_selectorIalEEZNS1_25segmented_radix_sort_implIS3_Lb1EPKaPaPKlPlN2at6native12_GLOBAL__N_18offset_tEEE10hipError_tPvRmT1_PNSt15iterator_traitsISK_E10value_typeET2_T3_PNSL_ISQ_E10value_typeET4_jRbjT5_SW_jjP12ihipStream_tbEUlT_E_NS1_11comp_targetILNS1_3genE4ELNS1_11target_archE910ELNS1_3gpuE8ELNS1_3repE0EEENS1_30default_config_static_selectorELNS0_4arch9wavefront6targetE0EEEvSK_.kd
    .uniform_work_group_size: 1
    .uses_dynamic_stack: false
    .vgpr_count:     0
    .vgpr_spill_count: 0
    .wavefront_size: 32
  - .args:
      - .offset:         0
        .size:           96
        .value_kind:     by_value
    .group_segment_fixed_size: 0
    .kernarg_segment_align: 8
    .kernarg_segment_size: 96
    .language:       OpenCL C
    .language_version:
      - 2
      - 0
    .max_flat_workgroup_size: 256
    .name:           _ZN7rocprim17ROCPRIM_400000_NS6detail17trampoline_kernelINS0_14default_configENS1_36segmented_radix_sort_config_selectorIalEEZNS1_25segmented_radix_sort_implIS3_Lb1EPKaPaPKlPlN2at6native12_GLOBAL__N_18offset_tEEE10hipError_tPvRmT1_PNSt15iterator_traitsISK_E10value_typeET2_T3_PNSL_ISQ_E10value_typeET4_jRbjT5_SW_jjP12ihipStream_tbEUlT_E_NS1_11comp_targetILNS1_3genE3ELNS1_11target_archE908ELNS1_3gpuE7ELNS1_3repE0EEENS1_30default_config_static_selectorELNS0_4arch9wavefront6targetE0EEEvSK_
    .private_segment_fixed_size: 0
    .sgpr_count:     0
    .sgpr_spill_count: 0
    .symbol:         _ZN7rocprim17ROCPRIM_400000_NS6detail17trampoline_kernelINS0_14default_configENS1_36segmented_radix_sort_config_selectorIalEEZNS1_25segmented_radix_sort_implIS3_Lb1EPKaPaPKlPlN2at6native12_GLOBAL__N_18offset_tEEE10hipError_tPvRmT1_PNSt15iterator_traitsISK_E10value_typeET2_T3_PNSL_ISQ_E10value_typeET4_jRbjT5_SW_jjP12ihipStream_tbEUlT_E_NS1_11comp_targetILNS1_3genE3ELNS1_11target_archE908ELNS1_3gpuE7ELNS1_3repE0EEENS1_30default_config_static_selectorELNS0_4arch9wavefront6targetE0EEEvSK_.kd
    .uniform_work_group_size: 1
    .uses_dynamic_stack: false
    .vgpr_count:     0
    .vgpr_spill_count: 0
    .wavefront_size: 32
  - .args:
      - .offset:         0
        .size:           96
        .value_kind:     by_value
    .group_segment_fixed_size: 0
    .kernarg_segment_align: 8
    .kernarg_segment_size: 96
    .language:       OpenCL C
    .language_version:
      - 2
      - 0
    .max_flat_workgroup_size: 256
    .name:           _ZN7rocprim17ROCPRIM_400000_NS6detail17trampoline_kernelINS0_14default_configENS1_36segmented_radix_sort_config_selectorIalEEZNS1_25segmented_radix_sort_implIS3_Lb1EPKaPaPKlPlN2at6native12_GLOBAL__N_18offset_tEEE10hipError_tPvRmT1_PNSt15iterator_traitsISK_E10value_typeET2_T3_PNSL_ISQ_E10value_typeET4_jRbjT5_SW_jjP12ihipStream_tbEUlT_E_NS1_11comp_targetILNS1_3genE2ELNS1_11target_archE906ELNS1_3gpuE6ELNS1_3repE0EEENS1_30default_config_static_selectorELNS0_4arch9wavefront6targetE0EEEvSK_
    .private_segment_fixed_size: 0
    .sgpr_count:     0
    .sgpr_spill_count: 0
    .symbol:         _ZN7rocprim17ROCPRIM_400000_NS6detail17trampoline_kernelINS0_14default_configENS1_36segmented_radix_sort_config_selectorIalEEZNS1_25segmented_radix_sort_implIS3_Lb1EPKaPaPKlPlN2at6native12_GLOBAL__N_18offset_tEEE10hipError_tPvRmT1_PNSt15iterator_traitsISK_E10value_typeET2_T3_PNSL_ISQ_E10value_typeET4_jRbjT5_SW_jjP12ihipStream_tbEUlT_E_NS1_11comp_targetILNS1_3genE2ELNS1_11target_archE906ELNS1_3gpuE6ELNS1_3repE0EEENS1_30default_config_static_selectorELNS0_4arch9wavefront6targetE0EEEvSK_.kd
    .uniform_work_group_size: 1
    .uses_dynamic_stack: false
    .vgpr_count:     0
    .vgpr_spill_count: 0
    .wavefront_size: 32
  - .args:
      - .offset:         0
        .size:           96
        .value_kind:     by_value
    .group_segment_fixed_size: 0
    .kernarg_segment_align: 8
    .kernarg_segment_size: 96
    .language:       OpenCL C
    .language_version:
      - 2
      - 0
    .max_flat_workgroup_size: 256
    .name:           _ZN7rocprim17ROCPRIM_400000_NS6detail17trampoline_kernelINS0_14default_configENS1_36segmented_radix_sort_config_selectorIalEEZNS1_25segmented_radix_sort_implIS3_Lb1EPKaPaPKlPlN2at6native12_GLOBAL__N_18offset_tEEE10hipError_tPvRmT1_PNSt15iterator_traitsISK_E10value_typeET2_T3_PNSL_ISQ_E10value_typeET4_jRbjT5_SW_jjP12ihipStream_tbEUlT_E_NS1_11comp_targetILNS1_3genE10ELNS1_11target_archE1201ELNS1_3gpuE5ELNS1_3repE0EEENS1_30default_config_static_selectorELNS0_4arch9wavefront6targetE0EEEvSK_
    .private_segment_fixed_size: 0
    .sgpr_count:     0
    .sgpr_spill_count: 0
    .symbol:         _ZN7rocprim17ROCPRIM_400000_NS6detail17trampoline_kernelINS0_14default_configENS1_36segmented_radix_sort_config_selectorIalEEZNS1_25segmented_radix_sort_implIS3_Lb1EPKaPaPKlPlN2at6native12_GLOBAL__N_18offset_tEEE10hipError_tPvRmT1_PNSt15iterator_traitsISK_E10value_typeET2_T3_PNSL_ISQ_E10value_typeET4_jRbjT5_SW_jjP12ihipStream_tbEUlT_E_NS1_11comp_targetILNS1_3genE10ELNS1_11target_archE1201ELNS1_3gpuE5ELNS1_3repE0EEENS1_30default_config_static_selectorELNS0_4arch9wavefront6targetE0EEEvSK_.kd
    .uniform_work_group_size: 1
    .uses_dynamic_stack: false
    .vgpr_count:     0
    .vgpr_spill_count: 0
    .wavefront_size: 32
  - .args:
      - .offset:         0
        .size:           96
        .value_kind:     by_value
    .group_segment_fixed_size: 0
    .kernarg_segment_align: 8
    .kernarg_segment_size: 96
    .language:       OpenCL C
    .language_version:
      - 2
      - 0
    .max_flat_workgroup_size: 128
    .name:           _ZN7rocprim17ROCPRIM_400000_NS6detail17trampoline_kernelINS0_14default_configENS1_36segmented_radix_sort_config_selectorIalEEZNS1_25segmented_radix_sort_implIS3_Lb1EPKaPaPKlPlN2at6native12_GLOBAL__N_18offset_tEEE10hipError_tPvRmT1_PNSt15iterator_traitsISK_E10value_typeET2_T3_PNSL_ISQ_E10value_typeET4_jRbjT5_SW_jjP12ihipStream_tbEUlT_E_NS1_11comp_targetILNS1_3genE10ELNS1_11target_archE1200ELNS1_3gpuE4ELNS1_3repE0EEENS1_30default_config_static_selectorELNS0_4arch9wavefront6targetE0EEEvSK_
    .private_segment_fixed_size: 0
    .sgpr_count:     0
    .sgpr_spill_count: 0
    .symbol:         _ZN7rocprim17ROCPRIM_400000_NS6detail17trampoline_kernelINS0_14default_configENS1_36segmented_radix_sort_config_selectorIalEEZNS1_25segmented_radix_sort_implIS3_Lb1EPKaPaPKlPlN2at6native12_GLOBAL__N_18offset_tEEE10hipError_tPvRmT1_PNSt15iterator_traitsISK_E10value_typeET2_T3_PNSL_ISQ_E10value_typeET4_jRbjT5_SW_jjP12ihipStream_tbEUlT_E_NS1_11comp_targetILNS1_3genE10ELNS1_11target_archE1200ELNS1_3gpuE4ELNS1_3repE0EEENS1_30default_config_static_selectorELNS0_4arch9wavefront6targetE0EEEvSK_.kd
    .uniform_work_group_size: 1
    .uses_dynamic_stack: false
    .vgpr_count:     0
    .vgpr_spill_count: 0
    .wavefront_size: 32
  - .args:
      - .offset:         0
        .size:           96
        .value_kind:     by_value
    .group_segment_fixed_size: 0
    .kernarg_segment_align: 8
    .kernarg_segment_size: 96
    .language:       OpenCL C
    .language_version:
      - 2
      - 0
    .max_flat_workgroup_size: 256
    .name:           _ZN7rocprim17ROCPRIM_400000_NS6detail17trampoline_kernelINS0_14default_configENS1_36segmented_radix_sort_config_selectorIalEEZNS1_25segmented_radix_sort_implIS3_Lb1EPKaPaPKlPlN2at6native12_GLOBAL__N_18offset_tEEE10hipError_tPvRmT1_PNSt15iterator_traitsISK_E10value_typeET2_T3_PNSL_ISQ_E10value_typeET4_jRbjT5_SW_jjP12ihipStream_tbEUlT_E_NS1_11comp_targetILNS1_3genE9ELNS1_11target_archE1100ELNS1_3gpuE3ELNS1_3repE0EEENS1_30default_config_static_selectorELNS0_4arch9wavefront6targetE0EEEvSK_
    .private_segment_fixed_size: 0
    .sgpr_count:     0
    .sgpr_spill_count: 0
    .symbol:         _ZN7rocprim17ROCPRIM_400000_NS6detail17trampoline_kernelINS0_14default_configENS1_36segmented_radix_sort_config_selectorIalEEZNS1_25segmented_radix_sort_implIS3_Lb1EPKaPaPKlPlN2at6native12_GLOBAL__N_18offset_tEEE10hipError_tPvRmT1_PNSt15iterator_traitsISK_E10value_typeET2_T3_PNSL_ISQ_E10value_typeET4_jRbjT5_SW_jjP12ihipStream_tbEUlT_E_NS1_11comp_targetILNS1_3genE9ELNS1_11target_archE1100ELNS1_3gpuE3ELNS1_3repE0EEENS1_30default_config_static_selectorELNS0_4arch9wavefront6targetE0EEEvSK_.kd
    .uniform_work_group_size: 1
    .uses_dynamic_stack: false
    .vgpr_count:     0
    .vgpr_spill_count: 0
    .wavefront_size: 32
  - .args:
      - .offset:         0
        .size:           96
        .value_kind:     by_value
    .group_segment_fixed_size: 0
    .kernarg_segment_align: 8
    .kernarg_segment_size: 96
    .language:       OpenCL C
    .language_version:
      - 2
      - 0
    .max_flat_workgroup_size: 256
    .name:           _ZN7rocprim17ROCPRIM_400000_NS6detail17trampoline_kernelINS0_14default_configENS1_36segmented_radix_sort_config_selectorIalEEZNS1_25segmented_radix_sort_implIS3_Lb1EPKaPaPKlPlN2at6native12_GLOBAL__N_18offset_tEEE10hipError_tPvRmT1_PNSt15iterator_traitsISK_E10value_typeET2_T3_PNSL_ISQ_E10value_typeET4_jRbjT5_SW_jjP12ihipStream_tbEUlT_E_NS1_11comp_targetILNS1_3genE8ELNS1_11target_archE1030ELNS1_3gpuE2ELNS1_3repE0EEENS1_30default_config_static_selectorELNS0_4arch9wavefront6targetE0EEEvSK_
    .private_segment_fixed_size: 0
    .sgpr_count:     0
    .sgpr_spill_count: 0
    .symbol:         _ZN7rocprim17ROCPRIM_400000_NS6detail17trampoline_kernelINS0_14default_configENS1_36segmented_radix_sort_config_selectorIalEEZNS1_25segmented_radix_sort_implIS3_Lb1EPKaPaPKlPlN2at6native12_GLOBAL__N_18offset_tEEE10hipError_tPvRmT1_PNSt15iterator_traitsISK_E10value_typeET2_T3_PNSL_ISQ_E10value_typeET4_jRbjT5_SW_jjP12ihipStream_tbEUlT_E_NS1_11comp_targetILNS1_3genE8ELNS1_11target_archE1030ELNS1_3gpuE2ELNS1_3repE0EEENS1_30default_config_static_selectorELNS0_4arch9wavefront6targetE0EEEvSK_.kd
    .uniform_work_group_size: 1
    .uses_dynamic_stack: false
    .vgpr_count:     0
    .vgpr_spill_count: 0
    .wavefront_size: 32
  - .args:
      - .offset:         0
        .size:           88
        .value_kind:     by_value
      - .offset:         88
        .size:           4
        .value_kind:     hidden_block_count_x
      - .offset:         92
        .size:           4
        .value_kind:     hidden_block_count_y
      - .offset:         96
        .size:           4
        .value_kind:     hidden_block_count_z
      - .offset:         100
        .size:           2
        .value_kind:     hidden_group_size_x
      - .offset:         102
        .size:           2
        .value_kind:     hidden_group_size_y
      - .offset:         104
        .size:           2
        .value_kind:     hidden_group_size_z
      - .offset:         106
        .size:           2
        .value_kind:     hidden_remainder_x
      - .offset:         108
        .size:           2
        .value_kind:     hidden_remainder_y
      - .offset:         110
        .size:           2
        .value_kind:     hidden_remainder_z
      - .offset:         128
        .size:           8
        .value_kind:     hidden_global_offset_x
      - .offset:         136
        .size:           8
        .value_kind:     hidden_global_offset_y
      - .offset:         144
        .size:           8
        .value_kind:     hidden_global_offset_z
      - .offset:         152
        .size:           2
        .value_kind:     hidden_grid_dims
      - .offset:         168
        .size:           8
        .value_kind:     hidden_hostcall_buffer
      - .offset:         176
        .size:           8
        .value_kind:     hidden_multigrid_sync_arg
      - .offset:         184
        .size:           8
        .value_kind:     hidden_heap_v1
      - .offset:         192
        .size:           8
        .value_kind:     hidden_default_queue
      - .offset:         200
        .size:           8
        .value_kind:     hidden_completion_action
      - .offset:         288
        .size:           8
        .value_kind:     hidden_queue_ptr
    .group_segment_fixed_size: 9216
    .kernarg_segment_align: 8
    .kernarg_segment_size: 344
    .language:       OpenCL C
    .language_version:
      - 2
      - 0
    .max_flat_workgroup_size: 256
    .name:           _ZN7rocprim17ROCPRIM_400000_NS6detail17trampoline_kernelINS0_14default_configENS1_36segmented_radix_sort_config_selectorIalEEZNS1_25segmented_radix_sort_implIS3_Lb1EPKaPaPKlPlN2at6native12_GLOBAL__N_18offset_tEEE10hipError_tPvRmT1_PNSt15iterator_traitsISK_E10value_typeET2_T3_PNSL_ISQ_E10value_typeET4_jRbjT5_SW_jjP12ihipStream_tbEUlT_E0_NS1_11comp_targetILNS1_3genE0ELNS1_11target_archE4294967295ELNS1_3gpuE0ELNS1_3repE0EEENS1_60segmented_radix_sort_warp_sort_medium_config_static_selectorELNS0_4arch9wavefront6targetE0EEEvSK_
    .private_segment_fixed_size: 0
    .sgpr_count:     42
    .sgpr_spill_count: 0
    .symbol:         _ZN7rocprim17ROCPRIM_400000_NS6detail17trampoline_kernelINS0_14default_configENS1_36segmented_radix_sort_config_selectorIalEEZNS1_25segmented_radix_sort_implIS3_Lb1EPKaPaPKlPlN2at6native12_GLOBAL__N_18offset_tEEE10hipError_tPvRmT1_PNSt15iterator_traitsISK_E10value_typeET2_T3_PNSL_ISQ_E10value_typeET4_jRbjT5_SW_jjP12ihipStream_tbEUlT_E0_NS1_11comp_targetILNS1_3genE0ELNS1_11target_archE4294967295ELNS1_3gpuE0ELNS1_3repE0EEENS1_60segmented_radix_sort_warp_sort_medium_config_static_selectorELNS0_4arch9wavefront6targetE0EEEvSK_.kd
    .uniform_work_group_size: 1
    .uses_dynamic_stack: false
    .vgpr_count:     54
    .vgpr_spill_count: 0
    .wavefront_size: 32
  - .args:
      - .offset:         0
        .size:           88
        .value_kind:     by_value
    .group_segment_fixed_size: 0
    .kernarg_segment_align: 8
    .kernarg_segment_size: 88
    .language:       OpenCL C
    .language_version:
      - 2
      - 0
    .max_flat_workgroup_size: 256
    .name:           _ZN7rocprim17ROCPRIM_400000_NS6detail17trampoline_kernelINS0_14default_configENS1_36segmented_radix_sort_config_selectorIalEEZNS1_25segmented_radix_sort_implIS3_Lb1EPKaPaPKlPlN2at6native12_GLOBAL__N_18offset_tEEE10hipError_tPvRmT1_PNSt15iterator_traitsISK_E10value_typeET2_T3_PNSL_ISQ_E10value_typeET4_jRbjT5_SW_jjP12ihipStream_tbEUlT_E0_NS1_11comp_targetILNS1_3genE5ELNS1_11target_archE942ELNS1_3gpuE9ELNS1_3repE0EEENS1_60segmented_radix_sort_warp_sort_medium_config_static_selectorELNS0_4arch9wavefront6targetE0EEEvSK_
    .private_segment_fixed_size: 0
    .sgpr_count:     0
    .sgpr_spill_count: 0
    .symbol:         _ZN7rocprim17ROCPRIM_400000_NS6detail17trampoline_kernelINS0_14default_configENS1_36segmented_radix_sort_config_selectorIalEEZNS1_25segmented_radix_sort_implIS3_Lb1EPKaPaPKlPlN2at6native12_GLOBAL__N_18offset_tEEE10hipError_tPvRmT1_PNSt15iterator_traitsISK_E10value_typeET2_T3_PNSL_ISQ_E10value_typeET4_jRbjT5_SW_jjP12ihipStream_tbEUlT_E0_NS1_11comp_targetILNS1_3genE5ELNS1_11target_archE942ELNS1_3gpuE9ELNS1_3repE0EEENS1_60segmented_radix_sort_warp_sort_medium_config_static_selectorELNS0_4arch9wavefront6targetE0EEEvSK_.kd
    .uniform_work_group_size: 1
    .uses_dynamic_stack: false
    .vgpr_count:     0
    .vgpr_spill_count: 0
    .wavefront_size: 32
  - .args:
      - .offset:         0
        .size:           88
        .value_kind:     by_value
    .group_segment_fixed_size: 0
    .kernarg_segment_align: 8
    .kernarg_segment_size: 88
    .language:       OpenCL C
    .language_version:
      - 2
      - 0
    .max_flat_workgroup_size: 256
    .name:           _ZN7rocprim17ROCPRIM_400000_NS6detail17trampoline_kernelINS0_14default_configENS1_36segmented_radix_sort_config_selectorIalEEZNS1_25segmented_radix_sort_implIS3_Lb1EPKaPaPKlPlN2at6native12_GLOBAL__N_18offset_tEEE10hipError_tPvRmT1_PNSt15iterator_traitsISK_E10value_typeET2_T3_PNSL_ISQ_E10value_typeET4_jRbjT5_SW_jjP12ihipStream_tbEUlT_E0_NS1_11comp_targetILNS1_3genE4ELNS1_11target_archE910ELNS1_3gpuE8ELNS1_3repE0EEENS1_60segmented_radix_sort_warp_sort_medium_config_static_selectorELNS0_4arch9wavefront6targetE0EEEvSK_
    .private_segment_fixed_size: 0
    .sgpr_count:     0
    .sgpr_spill_count: 0
    .symbol:         _ZN7rocprim17ROCPRIM_400000_NS6detail17trampoline_kernelINS0_14default_configENS1_36segmented_radix_sort_config_selectorIalEEZNS1_25segmented_radix_sort_implIS3_Lb1EPKaPaPKlPlN2at6native12_GLOBAL__N_18offset_tEEE10hipError_tPvRmT1_PNSt15iterator_traitsISK_E10value_typeET2_T3_PNSL_ISQ_E10value_typeET4_jRbjT5_SW_jjP12ihipStream_tbEUlT_E0_NS1_11comp_targetILNS1_3genE4ELNS1_11target_archE910ELNS1_3gpuE8ELNS1_3repE0EEENS1_60segmented_radix_sort_warp_sort_medium_config_static_selectorELNS0_4arch9wavefront6targetE0EEEvSK_.kd
    .uniform_work_group_size: 1
    .uses_dynamic_stack: false
    .vgpr_count:     0
    .vgpr_spill_count: 0
    .wavefront_size: 32
  - .args:
      - .offset:         0
        .size:           88
        .value_kind:     by_value
    .group_segment_fixed_size: 0
    .kernarg_segment_align: 8
    .kernarg_segment_size: 88
    .language:       OpenCL C
    .language_version:
      - 2
      - 0
    .max_flat_workgroup_size: 256
    .name:           _ZN7rocprim17ROCPRIM_400000_NS6detail17trampoline_kernelINS0_14default_configENS1_36segmented_radix_sort_config_selectorIalEEZNS1_25segmented_radix_sort_implIS3_Lb1EPKaPaPKlPlN2at6native12_GLOBAL__N_18offset_tEEE10hipError_tPvRmT1_PNSt15iterator_traitsISK_E10value_typeET2_T3_PNSL_ISQ_E10value_typeET4_jRbjT5_SW_jjP12ihipStream_tbEUlT_E0_NS1_11comp_targetILNS1_3genE3ELNS1_11target_archE908ELNS1_3gpuE7ELNS1_3repE0EEENS1_60segmented_radix_sort_warp_sort_medium_config_static_selectorELNS0_4arch9wavefront6targetE0EEEvSK_
    .private_segment_fixed_size: 0
    .sgpr_count:     0
    .sgpr_spill_count: 0
    .symbol:         _ZN7rocprim17ROCPRIM_400000_NS6detail17trampoline_kernelINS0_14default_configENS1_36segmented_radix_sort_config_selectorIalEEZNS1_25segmented_radix_sort_implIS3_Lb1EPKaPaPKlPlN2at6native12_GLOBAL__N_18offset_tEEE10hipError_tPvRmT1_PNSt15iterator_traitsISK_E10value_typeET2_T3_PNSL_ISQ_E10value_typeET4_jRbjT5_SW_jjP12ihipStream_tbEUlT_E0_NS1_11comp_targetILNS1_3genE3ELNS1_11target_archE908ELNS1_3gpuE7ELNS1_3repE0EEENS1_60segmented_radix_sort_warp_sort_medium_config_static_selectorELNS0_4arch9wavefront6targetE0EEEvSK_.kd
    .uniform_work_group_size: 1
    .uses_dynamic_stack: false
    .vgpr_count:     0
    .vgpr_spill_count: 0
    .wavefront_size: 32
  - .args:
      - .offset:         0
        .size:           88
        .value_kind:     by_value
    .group_segment_fixed_size: 0
    .kernarg_segment_align: 8
    .kernarg_segment_size: 88
    .language:       OpenCL C
    .language_version:
      - 2
      - 0
    .max_flat_workgroup_size: 256
    .name:           _ZN7rocprim17ROCPRIM_400000_NS6detail17trampoline_kernelINS0_14default_configENS1_36segmented_radix_sort_config_selectorIalEEZNS1_25segmented_radix_sort_implIS3_Lb1EPKaPaPKlPlN2at6native12_GLOBAL__N_18offset_tEEE10hipError_tPvRmT1_PNSt15iterator_traitsISK_E10value_typeET2_T3_PNSL_ISQ_E10value_typeET4_jRbjT5_SW_jjP12ihipStream_tbEUlT_E0_NS1_11comp_targetILNS1_3genE2ELNS1_11target_archE906ELNS1_3gpuE6ELNS1_3repE0EEENS1_60segmented_radix_sort_warp_sort_medium_config_static_selectorELNS0_4arch9wavefront6targetE0EEEvSK_
    .private_segment_fixed_size: 0
    .sgpr_count:     0
    .sgpr_spill_count: 0
    .symbol:         _ZN7rocprim17ROCPRIM_400000_NS6detail17trampoline_kernelINS0_14default_configENS1_36segmented_radix_sort_config_selectorIalEEZNS1_25segmented_radix_sort_implIS3_Lb1EPKaPaPKlPlN2at6native12_GLOBAL__N_18offset_tEEE10hipError_tPvRmT1_PNSt15iterator_traitsISK_E10value_typeET2_T3_PNSL_ISQ_E10value_typeET4_jRbjT5_SW_jjP12ihipStream_tbEUlT_E0_NS1_11comp_targetILNS1_3genE2ELNS1_11target_archE906ELNS1_3gpuE6ELNS1_3repE0EEENS1_60segmented_radix_sort_warp_sort_medium_config_static_selectorELNS0_4arch9wavefront6targetE0EEEvSK_.kd
    .uniform_work_group_size: 1
    .uses_dynamic_stack: false
    .vgpr_count:     0
    .vgpr_spill_count: 0
    .wavefront_size: 32
  - .args:
      - .offset:         0
        .size:           88
        .value_kind:     by_value
    .group_segment_fixed_size: 0
    .kernarg_segment_align: 8
    .kernarg_segment_size: 88
    .language:       OpenCL C
    .language_version:
      - 2
      - 0
    .max_flat_workgroup_size: 256
    .name:           _ZN7rocprim17ROCPRIM_400000_NS6detail17trampoline_kernelINS0_14default_configENS1_36segmented_radix_sort_config_selectorIalEEZNS1_25segmented_radix_sort_implIS3_Lb1EPKaPaPKlPlN2at6native12_GLOBAL__N_18offset_tEEE10hipError_tPvRmT1_PNSt15iterator_traitsISK_E10value_typeET2_T3_PNSL_ISQ_E10value_typeET4_jRbjT5_SW_jjP12ihipStream_tbEUlT_E0_NS1_11comp_targetILNS1_3genE10ELNS1_11target_archE1201ELNS1_3gpuE5ELNS1_3repE0EEENS1_60segmented_radix_sort_warp_sort_medium_config_static_selectorELNS0_4arch9wavefront6targetE0EEEvSK_
    .private_segment_fixed_size: 0
    .sgpr_count:     0
    .sgpr_spill_count: 0
    .symbol:         _ZN7rocprim17ROCPRIM_400000_NS6detail17trampoline_kernelINS0_14default_configENS1_36segmented_radix_sort_config_selectorIalEEZNS1_25segmented_radix_sort_implIS3_Lb1EPKaPaPKlPlN2at6native12_GLOBAL__N_18offset_tEEE10hipError_tPvRmT1_PNSt15iterator_traitsISK_E10value_typeET2_T3_PNSL_ISQ_E10value_typeET4_jRbjT5_SW_jjP12ihipStream_tbEUlT_E0_NS1_11comp_targetILNS1_3genE10ELNS1_11target_archE1201ELNS1_3gpuE5ELNS1_3repE0EEENS1_60segmented_radix_sort_warp_sort_medium_config_static_selectorELNS0_4arch9wavefront6targetE0EEEvSK_.kd
    .uniform_work_group_size: 1
    .uses_dynamic_stack: false
    .vgpr_count:     0
    .vgpr_spill_count: 0
    .wavefront_size: 32
  - .args:
      - .offset:         0
        .size:           88
        .value_kind:     by_value
    .group_segment_fixed_size: 0
    .kernarg_segment_align: 8
    .kernarg_segment_size: 88
    .language:       OpenCL C
    .language_version:
      - 2
      - 0
    .max_flat_workgroup_size: 256
    .name:           _ZN7rocprim17ROCPRIM_400000_NS6detail17trampoline_kernelINS0_14default_configENS1_36segmented_radix_sort_config_selectorIalEEZNS1_25segmented_radix_sort_implIS3_Lb1EPKaPaPKlPlN2at6native12_GLOBAL__N_18offset_tEEE10hipError_tPvRmT1_PNSt15iterator_traitsISK_E10value_typeET2_T3_PNSL_ISQ_E10value_typeET4_jRbjT5_SW_jjP12ihipStream_tbEUlT_E0_NS1_11comp_targetILNS1_3genE10ELNS1_11target_archE1200ELNS1_3gpuE4ELNS1_3repE0EEENS1_60segmented_radix_sort_warp_sort_medium_config_static_selectorELNS0_4arch9wavefront6targetE0EEEvSK_
    .private_segment_fixed_size: 0
    .sgpr_count:     0
    .sgpr_spill_count: 0
    .symbol:         _ZN7rocprim17ROCPRIM_400000_NS6detail17trampoline_kernelINS0_14default_configENS1_36segmented_radix_sort_config_selectorIalEEZNS1_25segmented_radix_sort_implIS3_Lb1EPKaPaPKlPlN2at6native12_GLOBAL__N_18offset_tEEE10hipError_tPvRmT1_PNSt15iterator_traitsISK_E10value_typeET2_T3_PNSL_ISQ_E10value_typeET4_jRbjT5_SW_jjP12ihipStream_tbEUlT_E0_NS1_11comp_targetILNS1_3genE10ELNS1_11target_archE1200ELNS1_3gpuE4ELNS1_3repE0EEENS1_60segmented_radix_sort_warp_sort_medium_config_static_selectorELNS0_4arch9wavefront6targetE0EEEvSK_.kd
    .uniform_work_group_size: 1
    .uses_dynamic_stack: false
    .vgpr_count:     0
    .vgpr_spill_count: 0
    .wavefront_size: 32
  - .args:
      - .offset:         0
        .size:           88
        .value_kind:     by_value
    .group_segment_fixed_size: 0
    .kernarg_segment_align: 8
    .kernarg_segment_size: 88
    .language:       OpenCL C
    .language_version:
      - 2
      - 0
    .max_flat_workgroup_size: 256
    .name:           _ZN7rocprim17ROCPRIM_400000_NS6detail17trampoline_kernelINS0_14default_configENS1_36segmented_radix_sort_config_selectorIalEEZNS1_25segmented_radix_sort_implIS3_Lb1EPKaPaPKlPlN2at6native12_GLOBAL__N_18offset_tEEE10hipError_tPvRmT1_PNSt15iterator_traitsISK_E10value_typeET2_T3_PNSL_ISQ_E10value_typeET4_jRbjT5_SW_jjP12ihipStream_tbEUlT_E0_NS1_11comp_targetILNS1_3genE9ELNS1_11target_archE1100ELNS1_3gpuE3ELNS1_3repE0EEENS1_60segmented_radix_sort_warp_sort_medium_config_static_selectorELNS0_4arch9wavefront6targetE0EEEvSK_
    .private_segment_fixed_size: 0
    .sgpr_count:     0
    .sgpr_spill_count: 0
    .symbol:         _ZN7rocprim17ROCPRIM_400000_NS6detail17trampoline_kernelINS0_14default_configENS1_36segmented_radix_sort_config_selectorIalEEZNS1_25segmented_radix_sort_implIS3_Lb1EPKaPaPKlPlN2at6native12_GLOBAL__N_18offset_tEEE10hipError_tPvRmT1_PNSt15iterator_traitsISK_E10value_typeET2_T3_PNSL_ISQ_E10value_typeET4_jRbjT5_SW_jjP12ihipStream_tbEUlT_E0_NS1_11comp_targetILNS1_3genE9ELNS1_11target_archE1100ELNS1_3gpuE3ELNS1_3repE0EEENS1_60segmented_radix_sort_warp_sort_medium_config_static_selectorELNS0_4arch9wavefront6targetE0EEEvSK_.kd
    .uniform_work_group_size: 1
    .uses_dynamic_stack: false
    .vgpr_count:     0
    .vgpr_spill_count: 0
    .wavefront_size: 32
  - .args:
      - .offset:         0
        .size:           88
        .value_kind:     by_value
    .group_segment_fixed_size: 0
    .kernarg_segment_align: 8
    .kernarg_segment_size: 88
    .language:       OpenCL C
    .language_version:
      - 2
      - 0
    .max_flat_workgroup_size: 256
    .name:           _ZN7rocprim17ROCPRIM_400000_NS6detail17trampoline_kernelINS0_14default_configENS1_36segmented_radix_sort_config_selectorIalEEZNS1_25segmented_radix_sort_implIS3_Lb1EPKaPaPKlPlN2at6native12_GLOBAL__N_18offset_tEEE10hipError_tPvRmT1_PNSt15iterator_traitsISK_E10value_typeET2_T3_PNSL_ISQ_E10value_typeET4_jRbjT5_SW_jjP12ihipStream_tbEUlT_E0_NS1_11comp_targetILNS1_3genE8ELNS1_11target_archE1030ELNS1_3gpuE2ELNS1_3repE0EEENS1_60segmented_radix_sort_warp_sort_medium_config_static_selectorELNS0_4arch9wavefront6targetE0EEEvSK_
    .private_segment_fixed_size: 0
    .sgpr_count:     0
    .sgpr_spill_count: 0
    .symbol:         _ZN7rocprim17ROCPRIM_400000_NS6detail17trampoline_kernelINS0_14default_configENS1_36segmented_radix_sort_config_selectorIalEEZNS1_25segmented_radix_sort_implIS3_Lb1EPKaPaPKlPlN2at6native12_GLOBAL__N_18offset_tEEE10hipError_tPvRmT1_PNSt15iterator_traitsISK_E10value_typeET2_T3_PNSL_ISQ_E10value_typeET4_jRbjT5_SW_jjP12ihipStream_tbEUlT_E0_NS1_11comp_targetILNS1_3genE8ELNS1_11target_archE1030ELNS1_3gpuE2ELNS1_3repE0EEENS1_60segmented_radix_sort_warp_sort_medium_config_static_selectorELNS0_4arch9wavefront6targetE0EEEvSK_.kd
    .uniform_work_group_size: 1
    .uses_dynamic_stack: false
    .vgpr_count:     0
    .vgpr_spill_count: 0
    .wavefront_size: 32
  - .args:
      - .offset:         0
        .size:           88
        .value_kind:     by_value
      - .offset:         88
        .size:           4
        .value_kind:     hidden_block_count_x
      - .offset:         92
        .size:           4
        .value_kind:     hidden_block_count_y
      - .offset:         96
        .size:           4
        .value_kind:     hidden_block_count_z
      - .offset:         100
        .size:           2
        .value_kind:     hidden_group_size_x
      - .offset:         102
        .size:           2
        .value_kind:     hidden_group_size_y
      - .offset:         104
        .size:           2
        .value_kind:     hidden_group_size_z
      - .offset:         106
        .size:           2
        .value_kind:     hidden_remainder_x
      - .offset:         108
        .size:           2
        .value_kind:     hidden_remainder_y
      - .offset:         110
        .size:           2
        .value_kind:     hidden_remainder_z
      - .offset:         128
        .size:           8
        .value_kind:     hidden_global_offset_x
      - .offset:         136
        .size:           8
        .value_kind:     hidden_global_offset_y
      - .offset:         144
        .size:           8
        .value_kind:     hidden_global_offset_z
      - .offset:         152
        .size:           2
        .value_kind:     hidden_grid_dims
      - .offset:         168
        .size:           8
        .value_kind:     hidden_hostcall_buffer
      - .offset:         176
        .size:           8
        .value_kind:     hidden_multigrid_sync_arg
      - .offset:         184
        .size:           8
        .value_kind:     hidden_heap_v1
      - .offset:         192
        .size:           8
        .value_kind:     hidden_default_queue
      - .offset:         200
        .size:           8
        .value_kind:     hidden_completion_action
      - .offset:         288
        .size:           8
        .value_kind:     hidden_queue_ptr
    .group_segment_fixed_size: 9216
    .kernarg_segment_align: 8
    .kernarg_segment_size: 344
    .language:       OpenCL C
    .language_version:
      - 2
      - 0
    .max_flat_workgroup_size: 256
    .name:           _ZN7rocprim17ROCPRIM_400000_NS6detail17trampoline_kernelINS0_14default_configENS1_36segmented_radix_sort_config_selectorIalEEZNS1_25segmented_radix_sort_implIS3_Lb1EPKaPaPKlPlN2at6native12_GLOBAL__N_18offset_tEEE10hipError_tPvRmT1_PNSt15iterator_traitsISK_E10value_typeET2_T3_PNSL_ISQ_E10value_typeET4_jRbjT5_SW_jjP12ihipStream_tbEUlT_E1_NS1_11comp_targetILNS1_3genE0ELNS1_11target_archE4294967295ELNS1_3gpuE0ELNS1_3repE0EEENS1_59segmented_radix_sort_warp_sort_small_config_static_selectorELNS0_4arch9wavefront6targetE0EEEvSK_
    .private_segment_fixed_size: 0
    .sgpr_count:     42
    .sgpr_spill_count: 0
    .symbol:         _ZN7rocprim17ROCPRIM_400000_NS6detail17trampoline_kernelINS0_14default_configENS1_36segmented_radix_sort_config_selectorIalEEZNS1_25segmented_radix_sort_implIS3_Lb1EPKaPaPKlPlN2at6native12_GLOBAL__N_18offset_tEEE10hipError_tPvRmT1_PNSt15iterator_traitsISK_E10value_typeET2_T3_PNSL_ISQ_E10value_typeET4_jRbjT5_SW_jjP12ihipStream_tbEUlT_E1_NS1_11comp_targetILNS1_3genE0ELNS1_11target_archE4294967295ELNS1_3gpuE0ELNS1_3repE0EEENS1_59segmented_radix_sort_warp_sort_small_config_static_selectorELNS0_4arch9wavefront6targetE0EEEvSK_.kd
    .uniform_work_group_size: 1
    .uses_dynamic_stack: false
    .vgpr_count:     54
    .vgpr_spill_count: 0
    .wavefront_size: 32
  - .args:
      - .offset:         0
        .size:           88
        .value_kind:     by_value
    .group_segment_fixed_size: 0
    .kernarg_segment_align: 8
    .kernarg_segment_size: 88
    .language:       OpenCL C
    .language_version:
      - 2
      - 0
    .max_flat_workgroup_size: 256
    .name:           _ZN7rocprim17ROCPRIM_400000_NS6detail17trampoline_kernelINS0_14default_configENS1_36segmented_radix_sort_config_selectorIalEEZNS1_25segmented_radix_sort_implIS3_Lb1EPKaPaPKlPlN2at6native12_GLOBAL__N_18offset_tEEE10hipError_tPvRmT1_PNSt15iterator_traitsISK_E10value_typeET2_T3_PNSL_ISQ_E10value_typeET4_jRbjT5_SW_jjP12ihipStream_tbEUlT_E1_NS1_11comp_targetILNS1_3genE5ELNS1_11target_archE942ELNS1_3gpuE9ELNS1_3repE0EEENS1_59segmented_radix_sort_warp_sort_small_config_static_selectorELNS0_4arch9wavefront6targetE0EEEvSK_
    .private_segment_fixed_size: 0
    .sgpr_count:     0
    .sgpr_spill_count: 0
    .symbol:         _ZN7rocprim17ROCPRIM_400000_NS6detail17trampoline_kernelINS0_14default_configENS1_36segmented_radix_sort_config_selectorIalEEZNS1_25segmented_radix_sort_implIS3_Lb1EPKaPaPKlPlN2at6native12_GLOBAL__N_18offset_tEEE10hipError_tPvRmT1_PNSt15iterator_traitsISK_E10value_typeET2_T3_PNSL_ISQ_E10value_typeET4_jRbjT5_SW_jjP12ihipStream_tbEUlT_E1_NS1_11comp_targetILNS1_3genE5ELNS1_11target_archE942ELNS1_3gpuE9ELNS1_3repE0EEENS1_59segmented_radix_sort_warp_sort_small_config_static_selectorELNS0_4arch9wavefront6targetE0EEEvSK_.kd
    .uniform_work_group_size: 1
    .uses_dynamic_stack: false
    .vgpr_count:     0
    .vgpr_spill_count: 0
    .wavefront_size: 32
  - .args:
      - .offset:         0
        .size:           88
        .value_kind:     by_value
    .group_segment_fixed_size: 0
    .kernarg_segment_align: 8
    .kernarg_segment_size: 88
    .language:       OpenCL C
    .language_version:
      - 2
      - 0
    .max_flat_workgroup_size: 256
    .name:           _ZN7rocprim17ROCPRIM_400000_NS6detail17trampoline_kernelINS0_14default_configENS1_36segmented_radix_sort_config_selectorIalEEZNS1_25segmented_radix_sort_implIS3_Lb1EPKaPaPKlPlN2at6native12_GLOBAL__N_18offset_tEEE10hipError_tPvRmT1_PNSt15iterator_traitsISK_E10value_typeET2_T3_PNSL_ISQ_E10value_typeET4_jRbjT5_SW_jjP12ihipStream_tbEUlT_E1_NS1_11comp_targetILNS1_3genE4ELNS1_11target_archE910ELNS1_3gpuE8ELNS1_3repE0EEENS1_59segmented_radix_sort_warp_sort_small_config_static_selectorELNS0_4arch9wavefront6targetE0EEEvSK_
    .private_segment_fixed_size: 0
    .sgpr_count:     0
    .sgpr_spill_count: 0
    .symbol:         _ZN7rocprim17ROCPRIM_400000_NS6detail17trampoline_kernelINS0_14default_configENS1_36segmented_radix_sort_config_selectorIalEEZNS1_25segmented_radix_sort_implIS3_Lb1EPKaPaPKlPlN2at6native12_GLOBAL__N_18offset_tEEE10hipError_tPvRmT1_PNSt15iterator_traitsISK_E10value_typeET2_T3_PNSL_ISQ_E10value_typeET4_jRbjT5_SW_jjP12ihipStream_tbEUlT_E1_NS1_11comp_targetILNS1_3genE4ELNS1_11target_archE910ELNS1_3gpuE8ELNS1_3repE0EEENS1_59segmented_radix_sort_warp_sort_small_config_static_selectorELNS0_4arch9wavefront6targetE0EEEvSK_.kd
    .uniform_work_group_size: 1
    .uses_dynamic_stack: false
    .vgpr_count:     0
    .vgpr_spill_count: 0
    .wavefront_size: 32
  - .args:
      - .offset:         0
        .size:           88
        .value_kind:     by_value
    .group_segment_fixed_size: 0
    .kernarg_segment_align: 8
    .kernarg_segment_size: 88
    .language:       OpenCL C
    .language_version:
      - 2
      - 0
    .max_flat_workgroup_size: 256
    .name:           _ZN7rocprim17ROCPRIM_400000_NS6detail17trampoline_kernelINS0_14default_configENS1_36segmented_radix_sort_config_selectorIalEEZNS1_25segmented_radix_sort_implIS3_Lb1EPKaPaPKlPlN2at6native12_GLOBAL__N_18offset_tEEE10hipError_tPvRmT1_PNSt15iterator_traitsISK_E10value_typeET2_T3_PNSL_ISQ_E10value_typeET4_jRbjT5_SW_jjP12ihipStream_tbEUlT_E1_NS1_11comp_targetILNS1_3genE3ELNS1_11target_archE908ELNS1_3gpuE7ELNS1_3repE0EEENS1_59segmented_radix_sort_warp_sort_small_config_static_selectorELNS0_4arch9wavefront6targetE0EEEvSK_
    .private_segment_fixed_size: 0
    .sgpr_count:     0
    .sgpr_spill_count: 0
    .symbol:         _ZN7rocprim17ROCPRIM_400000_NS6detail17trampoline_kernelINS0_14default_configENS1_36segmented_radix_sort_config_selectorIalEEZNS1_25segmented_radix_sort_implIS3_Lb1EPKaPaPKlPlN2at6native12_GLOBAL__N_18offset_tEEE10hipError_tPvRmT1_PNSt15iterator_traitsISK_E10value_typeET2_T3_PNSL_ISQ_E10value_typeET4_jRbjT5_SW_jjP12ihipStream_tbEUlT_E1_NS1_11comp_targetILNS1_3genE3ELNS1_11target_archE908ELNS1_3gpuE7ELNS1_3repE0EEENS1_59segmented_radix_sort_warp_sort_small_config_static_selectorELNS0_4arch9wavefront6targetE0EEEvSK_.kd
    .uniform_work_group_size: 1
    .uses_dynamic_stack: false
    .vgpr_count:     0
    .vgpr_spill_count: 0
    .wavefront_size: 32
  - .args:
      - .offset:         0
        .size:           88
        .value_kind:     by_value
    .group_segment_fixed_size: 0
    .kernarg_segment_align: 8
    .kernarg_segment_size: 88
    .language:       OpenCL C
    .language_version:
      - 2
      - 0
    .max_flat_workgroup_size: 256
    .name:           _ZN7rocprim17ROCPRIM_400000_NS6detail17trampoline_kernelINS0_14default_configENS1_36segmented_radix_sort_config_selectorIalEEZNS1_25segmented_radix_sort_implIS3_Lb1EPKaPaPKlPlN2at6native12_GLOBAL__N_18offset_tEEE10hipError_tPvRmT1_PNSt15iterator_traitsISK_E10value_typeET2_T3_PNSL_ISQ_E10value_typeET4_jRbjT5_SW_jjP12ihipStream_tbEUlT_E1_NS1_11comp_targetILNS1_3genE2ELNS1_11target_archE906ELNS1_3gpuE6ELNS1_3repE0EEENS1_59segmented_radix_sort_warp_sort_small_config_static_selectorELNS0_4arch9wavefront6targetE0EEEvSK_
    .private_segment_fixed_size: 0
    .sgpr_count:     0
    .sgpr_spill_count: 0
    .symbol:         _ZN7rocprim17ROCPRIM_400000_NS6detail17trampoline_kernelINS0_14default_configENS1_36segmented_radix_sort_config_selectorIalEEZNS1_25segmented_radix_sort_implIS3_Lb1EPKaPaPKlPlN2at6native12_GLOBAL__N_18offset_tEEE10hipError_tPvRmT1_PNSt15iterator_traitsISK_E10value_typeET2_T3_PNSL_ISQ_E10value_typeET4_jRbjT5_SW_jjP12ihipStream_tbEUlT_E1_NS1_11comp_targetILNS1_3genE2ELNS1_11target_archE906ELNS1_3gpuE6ELNS1_3repE0EEENS1_59segmented_radix_sort_warp_sort_small_config_static_selectorELNS0_4arch9wavefront6targetE0EEEvSK_.kd
    .uniform_work_group_size: 1
    .uses_dynamic_stack: false
    .vgpr_count:     0
    .vgpr_spill_count: 0
    .wavefront_size: 32
  - .args:
      - .offset:         0
        .size:           88
        .value_kind:     by_value
    .group_segment_fixed_size: 0
    .kernarg_segment_align: 8
    .kernarg_segment_size: 88
    .language:       OpenCL C
    .language_version:
      - 2
      - 0
    .max_flat_workgroup_size: 256
    .name:           _ZN7rocprim17ROCPRIM_400000_NS6detail17trampoline_kernelINS0_14default_configENS1_36segmented_radix_sort_config_selectorIalEEZNS1_25segmented_radix_sort_implIS3_Lb1EPKaPaPKlPlN2at6native12_GLOBAL__N_18offset_tEEE10hipError_tPvRmT1_PNSt15iterator_traitsISK_E10value_typeET2_T3_PNSL_ISQ_E10value_typeET4_jRbjT5_SW_jjP12ihipStream_tbEUlT_E1_NS1_11comp_targetILNS1_3genE10ELNS1_11target_archE1201ELNS1_3gpuE5ELNS1_3repE0EEENS1_59segmented_radix_sort_warp_sort_small_config_static_selectorELNS0_4arch9wavefront6targetE0EEEvSK_
    .private_segment_fixed_size: 0
    .sgpr_count:     0
    .sgpr_spill_count: 0
    .symbol:         _ZN7rocprim17ROCPRIM_400000_NS6detail17trampoline_kernelINS0_14default_configENS1_36segmented_radix_sort_config_selectorIalEEZNS1_25segmented_radix_sort_implIS3_Lb1EPKaPaPKlPlN2at6native12_GLOBAL__N_18offset_tEEE10hipError_tPvRmT1_PNSt15iterator_traitsISK_E10value_typeET2_T3_PNSL_ISQ_E10value_typeET4_jRbjT5_SW_jjP12ihipStream_tbEUlT_E1_NS1_11comp_targetILNS1_3genE10ELNS1_11target_archE1201ELNS1_3gpuE5ELNS1_3repE0EEENS1_59segmented_radix_sort_warp_sort_small_config_static_selectorELNS0_4arch9wavefront6targetE0EEEvSK_.kd
    .uniform_work_group_size: 1
    .uses_dynamic_stack: false
    .vgpr_count:     0
    .vgpr_spill_count: 0
    .wavefront_size: 32
  - .args:
      - .offset:         0
        .size:           88
        .value_kind:     by_value
    .group_segment_fixed_size: 0
    .kernarg_segment_align: 8
    .kernarg_segment_size: 88
    .language:       OpenCL C
    .language_version:
      - 2
      - 0
    .max_flat_workgroup_size: 256
    .name:           _ZN7rocprim17ROCPRIM_400000_NS6detail17trampoline_kernelINS0_14default_configENS1_36segmented_radix_sort_config_selectorIalEEZNS1_25segmented_radix_sort_implIS3_Lb1EPKaPaPKlPlN2at6native12_GLOBAL__N_18offset_tEEE10hipError_tPvRmT1_PNSt15iterator_traitsISK_E10value_typeET2_T3_PNSL_ISQ_E10value_typeET4_jRbjT5_SW_jjP12ihipStream_tbEUlT_E1_NS1_11comp_targetILNS1_3genE10ELNS1_11target_archE1200ELNS1_3gpuE4ELNS1_3repE0EEENS1_59segmented_radix_sort_warp_sort_small_config_static_selectorELNS0_4arch9wavefront6targetE0EEEvSK_
    .private_segment_fixed_size: 0
    .sgpr_count:     0
    .sgpr_spill_count: 0
    .symbol:         _ZN7rocprim17ROCPRIM_400000_NS6detail17trampoline_kernelINS0_14default_configENS1_36segmented_radix_sort_config_selectorIalEEZNS1_25segmented_radix_sort_implIS3_Lb1EPKaPaPKlPlN2at6native12_GLOBAL__N_18offset_tEEE10hipError_tPvRmT1_PNSt15iterator_traitsISK_E10value_typeET2_T3_PNSL_ISQ_E10value_typeET4_jRbjT5_SW_jjP12ihipStream_tbEUlT_E1_NS1_11comp_targetILNS1_3genE10ELNS1_11target_archE1200ELNS1_3gpuE4ELNS1_3repE0EEENS1_59segmented_radix_sort_warp_sort_small_config_static_selectorELNS0_4arch9wavefront6targetE0EEEvSK_.kd
    .uniform_work_group_size: 1
    .uses_dynamic_stack: false
    .vgpr_count:     0
    .vgpr_spill_count: 0
    .wavefront_size: 32
  - .args:
      - .offset:         0
        .size:           88
        .value_kind:     by_value
    .group_segment_fixed_size: 0
    .kernarg_segment_align: 8
    .kernarg_segment_size: 88
    .language:       OpenCL C
    .language_version:
      - 2
      - 0
    .max_flat_workgroup_size: 256
    .name:           _ZN7rocprim17ROCPRIM_400000_NS6detail17trampoline_kernelINS0_14default_configENS1_36segmented_radix_sort_config_selectorIalEEZNS1_25segmented_radix_sort_implIS3_Lb1EPKaPaPKlPlN2at6native12_GLOBAL__N_18offset_tEEE10hipError_tPvRmT1_PNSt15iterator_traitsISK_E10value_typeET2_T3_PNSL_ISQ_E10value_typeET4_jRbjT5_SW_jjP12ihipStream_tbEUlT_E1_NS1_11comp_targetILNS1_3genE9ELNS1_11target_archE1100ELNS1_3gpuE3ELNS1_3repE0EEENS1_59segmented_radix_sort_warp_sort_small_config_static_selectorELNS0_4arch9wavefront6targetE0EEEvSK_
    .private_segment_fixed_size: 0
    .sgpr_count:     0
    .sgpr_spill_count: 0
    .symbol:         _ZN7rocprim17ROCPRIM_400000_NS6detail17trampoline_kernelINS0_14default_configENS1_36segmented_radix_sort_config_selectorIalEEZNS1_25segmented_radix_sort_implIS3_Lb1EPKaPaPKlPlN2at6native12_GLOBAL__N_18offset_tEEE10hipError_tPvRmT1_PNSt15iterator_traitsISK_E10value_typeET2_T3_PNSL_ISQ_E10value_typeET4_jRbjT5_SW_jjP12ihipStream_tbEUlT_E1_NS1_11comp_targetILNS1_3genE9ELNS1_11target_archE1100ELNS1_3gpuE3ELNS1_3repE0EEENS1_59segmented_radix_sort_warp_sort_small_config_static_selectorELNS0_4arch9wavefront6targetE0EEEvSK_.kd
    .uniform_work_group_size: 1
    .uses_dynamic_stack: false
    .vgpr_count:     0
    .vgpr_spill_count: 0
    .wavefront_size: 32
  - .args:
      - .offset:         0
        .size:           88
        .value_kind:     by_value
    .group_segment_fixed_size: 0
    .kernarg_segment_align: 8
    .kernarg_segment_size: 88
    .language:       OpenCL C
    .language_version:
      - 2
      - 0
    .max_flat_workgroup_size: 256
    .name:           _ZN7rocprim17ROCPRIM_400000_NS6detail17trampoline_kernelINS0_14default_configENS1_36segmented_radix_sort_config_selectorIalEEZNS1_25segmented_radix_sort_implIS3_Lb1EPKaPaPKlPlN2at6native12_GLOBAL__N_18offset_tEEE10hipError_tPvRmT1_PNSt15iterator_traitsISK_E10value_typeET2_T3_PNSL_ISQ_E10value_typeET4_jRbjT5_SW_jjP12ihipStream_tbEUlT_E1_NS1_11comp_targetILNS1_3genE8ELNS1_11target_archE1030ELNS1_3gpuE2ELNS1_3repE0EEENS1_59segmented_radix_sort_warp_sort_small_config_static_selectorELNS0_4arch9wavefront6targetE0EEEvSK_
    .private_segment_fixed_size: 0
    .sgpr_count:     0
    .sgpr_spill_count: 0
    .symbol:         _ZN7rocprim17ROCPRIM_400000_NS6detail17trampoline_kernelINS0_14default_configENS1_36segmented_radix_sort_config_selectorIalEEZNS1_25segmented_radix_sort_implIS3_Lb1EPKaPaPKlPlN2at6native12_GLOBAL__N_18offset_tEEE10hipError_tPvRmT1_PNSt15iterator_traitsISK_E10value_typeET2_T3_PNSL_ISQ_E10value_typeET4_jRbjT5_SW_jjP12ihipStream_tbEUlT_E1_NS1_11comp_targetILNS1_3genE8ELNS1_11target_archE1030ELNS1_3gpuE2ELNS1_3repE0EEENS1_59segmented_radix_sort_warp_sort_small_config_static_selectorELNS0_4arch9wavefront6targetE0EEEvSK_.kd
    .uniform_work_group_size: 1
    .uses_dynamic_stack: false
    .vgpr_count:     0
    .vgpr_spill_count: 0
    .wavefront_size: 32
  - .args:
      - .offset:         0
        .size:           80
        .value_kind:     by_value
      - .offset:         80
        .size:           4
        .value_kind:     hidden_block_count_x
      - .offset:         84
        .size:           4
        .value_kind:     hidden_block_count_y
      - .offset:         88
        .size:           4
        .value_kind:     hidden_block_count_z
      - .offset:         92
        .size:           2
        .value_kind:     hidden_group_size_x
      - .offset:         94
        .size:           2
        .value_kind:     hidden_group_size_y
      - .offset:         96
        .size:           2
        .value_kind:     hidden_group_size_z
      - .offset:         98
        .size:           2
        .value_kind:     hidden_remainder_x
      - .offset:         100
        .size:           2
        .value_kind:     hidden_remainder_y
      - .offset:         102
        .size:           2
        .value_kind:     hidden_remainder_z
      - .offset:         120
        .size:           8
        .value_kind:     hidden_global_offset_x
      - .offset:         128
        .size:           8
        .value_kind:     hidden_global_offset_y
      - .offset:         136
        .size:           8
        .value_kind:     hidden_global_offset_z
      - .offset:         144
        .size:           2
        .value_kind:     hidden_grid_dims
      - .offset:         160
        .size:           8
        .value_kind:     hidden_hostcall_buffer
      - .offset:         168
        .size:           8
        .value_kind:     hidden_multigrid_sync_arg
      - .offset:         176
        .size:           8
        .value_kind:     hidden_heap_v1
      - .offset:         184
        .size:           8
        .value_kind:     hidden_default_queue
      - .offset:         192
        .size:           8
        .value_kind:     hidden_completion_action
      - .offset:         280
        .size:           8
        .value_kind:     hidden_queue_ptr
    .group_segment_fixed_size: 35344
    .kernarg_segment_align: 8
    .kernarg_segment_size: 336
    .language:       OpenCL C
    .language_version:
      - 2
      - 0
    .max_flat_workgroup_size: 256
    .name:           _ZN7rocprim17ROCPRIM_400000_NS6detail17trampoline_kernelINS0_14default_configENS1_36segmented_radix_sort_config_selectorIalEEZNS1_25segmented_radix_sort_implIS3_Lb1EPKaPaPKlPlN2at6native12_GLOBAL__N_18offset_tEEE10hipError_tPvRmT1_PNSt15iterator_traitsISK_E10value_typeET2_T3_PNSL_ISQ_E10value_typeET4_jRbjT5_SW_jjP12ihipStream_tbEUlT_E2_NS1_11comp_targetILNS1_3genE0ELNS1_11target_archE4294967295ELNS1_3gpuE0ELNS1_3repE0EEENS1_30default_config_static_selectorELNS0_4arch9wavefront6targetE0EEEvSK_
    .private_segment_fixed_size: 0
    .sgpr_count:     64
    .sgpr_spill_count: 0
    .symbol:         _ZN7rocprim17ROCPRIM_400000_NS6detail17trampoline_kernelINS0_14default_configENS1_36segmented_radix_sort_config_selectorIalEEZNS1_25segmented_radix_sort_implIS3_Lb1EPKaPaPKlPlN2at6native12_GLOBAL__N_18offset_tEEE10hipError_tPvRmT1_PNSt15iterator_traitsISK_E10value_typeET2_T3_PNSL_ISQ_E10value_typeET4_jRbjT5_SW_jjP12ihipStream_tbEUlT_E2_NS1_11comp_targetILNS1_3genE0ELNS1_11target_archE4294967295ELNS1_3gpuE0ELNS1_3repE0EEENS1_30default_config_static_selectorELNS0_4arch9wavefront6targetE0EEEvSK_.kd
    .uniform_work_group_size: 1
    .uses_dynamic_stack: false
    .vgpr_count:     315
    .vgpr_spill_count: 0
    .wavefront_size: 32
  - .args:
      - .offset:         0
        .size:           80
        .value_kind:     by_value
    .group_segment_fixed_size: 0
    .kernarg_segment_align: 8
    .kernarg_segment_size: 80
    .language:       OpenCL C
    .language_version:
      - 2
      - 0
    .max_flat_workgroup_size: 256
    .name:           _ZN7rocprim17ROCPRIM_400000_NS6detail17trampoline_kernelINS0_14default_configENS1_36segmented_radix_sort_config_selectorIalEEZNS1_25segmented_radix_sort_implIS3_Lb1EPKaPaPKlPlN2at6native12_GLOBAL__N_18offset_tEEE10hipError_tPvRmT1_PNSt15iterator_traitsISK_E10value_typeET2_T3_PNSL_ISQ_E10value_typeET4_jRbjT5_SW_jjP12ihipStream_tbEUlT_E2_NS1_11comp_targetILNS1_3genE5ELNS1_11target_archE942ELNS1_3gpuE9ELNS1_3repE0EEENS1_30default_config_static_selectorELNS0_4arch9wavefront6targetE0EEEvSK_
    .private_segment_fixed_size: 0
    .sgpr_count:     0
    .sgpr_spill_count: 0
    .symbol:         _ZN7rocprim17ROCPRIM_400000_NS6detail17trampoline_kernelINS0_14default_configENS1_36segmented_radix_sort_config_selectorIalEEZNS1_25segmented_radix_sort_implIS3_Lb1EPKaPaPKlPlN2at6native12_GLOBAL__N_18offset_tEEE10hipError_tPvRmT1_PNSt15iterator_traitsISK_E10value_typeET2_T3_PNSL_ISQ_E10value_typeET4_jRbjT5_SW_jjP12ihipStream_tbEUlT_E2_NS1_11comp_targetILNS1_3genE5ELNS1_11target_archE942ELNS1_3gpuE9ELNS1_3repE0EEENS1_30default_config_static_selectorELNS0_4arch9wavefront6targetE0EEEvSK_.kd
    .uniform_work_group_size: 1
    .uses_dynamic_stack: false
    .vgpr_count:     0
    .vgpr_spill_count: 0
    .wavefront_size: 32
  - .args:
      - .offset:         0
        .size:           80
        .value_kind:     by_value
    .group_segment_fixed_size: 0
    .kernarg_segment_align: 8
    .kernarg_segment_size: 80
    .language:       OpenCL C
    .language_version:
      - 2
      - 0
    .max_flat_workgroup_size: 256
    .name:           _ZN7rocprim17ROCPRIM_400000_NS6detail17trampoline_kernelINS0_14default_configENS1_36segmented_radix_sort_config_selectorIalEEZNS1_25segmented_radix_sort_implIS3_Lb1EPKaPaPKlPlN2at6native12_GLOBAL__N_18offset_tEEE10hipError_tPvRmT1_PNSt15iterator_traitsISK_E10value_typeET2_T3_PNSL_ISQ_E10value_typeET4_jRbjT5_SW_jjP12ihipStream_tbEUlT_E2_NS1_11comp_targetILNS1_3genE4ELNS1_11target_archE910ELNS1_3gpuE8ELNS1_3repE0EEENS1_30default_config_static_selectorELNS0_4arch9wavefront6targetE0EEEvSK_
    .private_segment_fixed_size: 0
    .sgpr_count:     0
    .sgpr_spill_count: 0
    .symbol:         _ZN7rocprim17ROCPRIM_400000_NS6detail17trampoline_kernelINS0_14default_configENS1_36segmented_radix_sort_config_selectorIalEEZNS1_25segmented_radix_sort_implIS3_Lb1EPKaPaPKlPlN2at6native12_GLOBAL__N_18offset_tEEE10hipError_tPvRmT1_PNSt15iterator_traitsISK_E10value_typeET2_T3_PNSL_ISQ_E10value_typeET4_jRbjT5_SW_jjP12ihipStream_tbEUlT_E2_NS1_11comp_targetILNS1_3genE4ELNS1_11target_archE910ELNS1_3gpuE8ELNS1_3repE0EEENS1_30default_config_static_selectorELNS0_4arch9wavefront6targetE0EEEvSK_.kd
    .uniform_work_group_size: 1
    .uses_dynamic_stack: false
    .vgpr_count:     0
    .vgpr_spill_count: 0
    .wavefront_size: 32
  - .args:
      - .offset:         0
        .size:           80
        .value_kind:     by_value
    .group_segment_fixed_size: 0
    .kernarg_segment_align: 8
    .kernarg_segment_size: 80
    .language:       OpenCL C
    .language_version:
      - 2
      - 0
    .max_flat_workgroup_size: 256
    .name:           _ZN7rocprim17ROCPRIM_400000_NS6detail17trampoline_kernelINS0_14default_configENS1_36segmented_radix_sort_config_selectorIalEEZNS1_25segmented_radix_sort_implIS3_Lb1EPKaPaPKlPlN2at6native12_GLOBAL__N_18offset_tEEE10hipError_tPvRmT1_PNSt15iterator_traitsISK_E10value_typeET2_T3_PNSL_ISQ_E10value_typeET4_jRbjT5_SW_jjP12ihipStream_tbEUlT_E2_NS1_11comp_targetILNS1_3genE3ELNS1_11target_archE908ELNS1_3gpuE7ELNS1_3repE0EEENS1_30default_config_static_selectorELNS0_4arch9wavefront6targetE0EEEvSK_
    .private_segment_fixed_size: 0
    .sgpr_count:     0
    .sgpr_spill_count: 0
    .symbol:         _ZN7rocprim17ROCPRIM_400000_NS6detail17trampoline_kernelINS0_14default_configENS1_36segmented_radix_sort_config_selectorIalEEZNS1_25segmented_radix_sort_implIS3_Lb1EPKaPaPKlPlN2at6native12_GLOBAL__N_18offset_tEEE10hipError_tPvRmT1_PNSt15iterator_traitsISK_E10value_typeET2_T3_PNSL_ISQ_E10value_typeET4_jRbjT5_SW_jjP12ihipStream_tbEUlT_E2_NS1_11comp_targetILNS1_3genE3ELNS1_11target_archE908ELNS1_3gpuE7ELNS1_3repE0EEENS1_30default_config_static_selectorELNS0_4arch9wavefront6targetE0EEEvSK_.kd
    .uniform_work_group_size: 1
    .uses_dynamic_stack: false
    .vgpr_count:     0
    .vgpr_spill_count: 0
    .wavefront_size: 32
  - .args:
      - .offset:         0
        .size:           80
        .value_kind:     by_value
    .group_segment_fixed_size: 0
    .kernarg_segment_align: 8
    .kernarg_segment_size: 80
    .language:       OpenCL C
    .language_version:
      - 2
      - 0
    .max_flat_workgroup_size: 256
    .name:           _ZN7rocprim17ROCPRIM_400000_NS6detail17trampoline_kernelINS0_14default_configENS1_36segmented_radix_sort_config_selectorIalEEZNS1_25segmented_radix_sort_implIS3_Lb1EPKaPaPKlPlN2at6native12_GLOBAL__N_18offset_tEEE10hipError_tPvRmT1_PNSt15iterator_traitsISK_E10value_typeET2_T3_PNSL_ISQ_E10value_typeET4_jRbjT5_SW_jjP12ihipStream_tbEUlT_E2_NS1_11comp_targetILNS1_3genE2ELNS1_11target_archE906ELNS1_3gpuE6ELNS1_3repE0EEENS1_30default_config_static_selectorELNS0_4arch9wavefront6targetE0EEEvSK_
    .private_segment_fixed_size: 0
    .sgpr_count:     0
    .sgpr_spill_count: 0
    .symbol:         _ZN7rocprim17ROCPRIM_400000_NS6detail17trampoline_kernelINS0_14default_configENS1_36segmented_radix_sort_config_selectorIalEEZNS1_25segmented_radix_sort_implIS3_Lb1EPKaPaPKlPlN2at6native12_GLOBAL__N_18offset_tEEE10hipError_tPvRmT1_PNSt15iterator_traitsISK_E10value_typeET2_T3_PNSL_ISQ_E10value_typeET4_jRbjT5_SW_jjP12ihipStream_tbEUlT_E2_NS1_11comp_targetILNS1_3genE2ELNS1_11target_archE906ELNS1_3gpuE6ELNS1_3repE0EEENS1_30default_config_static_selectorELNS0_4arch9wavefront6targetE0EEEvSK_.kd
    .uniform_work_group_size: 1
    .uses_dynamic_stack: false
    .vgpr_count:     0
    .vgpr_spill_count: 0
    .wavefront_size: 32
  - .args:
      - .offset:         0
        .size:           80
        .value_kind:     by_value
    .group_segment_fixed_size: 0
    .kernarg_segment_align: 8
    .kernarg_segment_size: 80
    .language:       OpenCL C
    .language_version:
      - 2
      - 0
    .max_flat_workgroup_size: 256
    .name:           _ZN7rocprim17ROCPRIM_400000_NS6detail17trampoline_kernelINS0_14default_configENS1_36segmented_radix_sort_config_selectorIalEEZNS1_25segmented_radix_sort_implIS3_Lb1EPKaPaPKlPlN2at6native12_GLOBAL__N_18offset_tEEE10hipError_tPvRmT1_PNSt15iterator_traitsISK_E10value_typeET2_T3_PNSL_ISQ_E10value_typeET4_jRbjT5_SW_jjP12ihipStream_tbEUlT_E2_NS1_11comp_targetILNS1_3genE10ELNS1_11target_archE1201ELNS1_3gpuE5ELNS1_3repE0EEENS1_30default_config_static_selectorELNS0_4arch9wavefront6targetE0EEEvSK_
    .private_segment_fixed_size: 0
    .sgpr_count:     0
    .sgpr_spill_count: 0
    .symbol:         _ZN7rocprim17ROCPRIM_400000_NS6detail17trampoline_kernelINS0_14default_configENS1_36segmented_radix_sort_config_selectorIalEEZNS1_25segmented_radix_sort_implIS3_Lb1EPKaPaPKlPlN2at6native12_GLOBAL__N_18offset_tEEE10hipError_tPvRmT1_PNSt15iterator_traitsISK_E10value_typeET2_T3_PNSL_ISQ_E10value_typeET4_jRbjT5_SW_jjP12ihipStream_tbEUlT_E2_NS1_11comp_targetILNS1_3genE10ELNS1_11target_archE1201ELNS1_3gpuE5ELNS1_3repE0EEENS1_30default_config_static_selectorELNS0_4arch9wavefront6targetE0EEEvSK_.kd
    .uniform_work_group_size: 1
    .uses_dynamic_stack: false
    .vgpr_count:     0
    .vgpr_spill_count: 0
    .wavefront_size: 32
  - .args:
      - .offset:         0
        .size:           80
        .value_kind:     by_value
    .group_segment_fixed_size: 0
    .kernarg_segment_align: 8
    .kernarg_segment_size: 80
    .language:       OpenCL C
    .language_version:
      - 2
      - 0
    .max_flat_workgroup_size: 128
    .name:           _ZN7rocprim17ROCPRIM_400000_NS6detail17trampoline_kernelINS0_14default_configENS1_36segmented_radix_sort_config_selectorIalEEZNS1_25segmented_radix_sort_implIS3_Lb1EPKaPaPKlPlN2at6native12_GLOBAL__N_18offset_tEEE10hipError_tPvRmT1_PNSt15iterator_traitsISK_E10value_typeET2_T3_PNSL_ISQ_E10value_typeET4_jRbjT5_SW_jjP12ihipStream_tbEUlT_E2_NS1_11comp_targetILNS1_3genE10ELNS1_11target_archE1200ELNS1_3gpuE4ELNS1_3repE0EEENS1_30default_config_static_selectorELNS0_4arch9wavefront6targetE0EEEvSK_
    .private_segment_fixed_size: 0
    .sgpr_count:     0
    .sgpr_spill_count: 0
    .symbol:         _ZN7rocprim17ROCPRIM_400000_NS6detail17trampoline_kernelINS0_14default_configENS1_36segmented_radix_sort_config_selectorIalEEZNS1_25segmented_radix_sort_implIS3_Lb1EPKaPaPKlPlN2at6native12_GLOBAL__N_18offset_tEEE10hipError_tPvRmT1_PNSt15iterator_traitsISK_E10value_typeET2_T3_PNSL_ISQ_E10value_typeET4_jRbjT5_SW_jjP12ihipStream_tbEUlT_E2_NS1_11comp_targetILNS1_3genE10ELNS1_11target_archE1200ELNS1_3gpuE4ELNS1_3repE0EEENS1_30default_config_static_selectorELNS0_4arch9wavefront6targetE0EEEvSK_.kd
    .uniform_work_group_size: 1
    .uses_dynamic_stack: false
    .vgpr_count:     0
    .vgpr_spill_count: 0
    .wavefront_size: 32
  - .args:
      - .offset:         0
        .size:           80
        .value_kind:     by_value
    .group_segment_fixed_size: 0
    .kernarg_segment_align: 8
    .kernarg_segment_size: 80
    .language:       OpenCL C
    .language_version:
      - 2
      - 0
    .max_flat_workgroup_size: 256
    .name:           _ZN7rocprim17ROCPRIM_400000_NS6detail17trampoline_kernelINS0_14default_configENS1_36segmented_radix_sort_config_selectorIalEEZNS1_25segmented_radix_sort_implIS3_Lb1EPKaPaPKlPlN2at6native12_GLOBAL__N_18offset_tEEE10hipError_tPvRmT1_PNSt15iterator_traitsISK_E10value_typeET2_T3_PNSL_ISQ_E10value_typeET4_jRbjT5_SW_jjP12ihipStream_tbEUlT_E2_NS1_11comp_targetILNS1_3genE9ELNS1_11target_archE1100ELNS1_3gpuE3ELNS1_3repE0EEENS1_30default_config_static_selectorELNS0_4arch9wavefront6targetE0EEEvSK_
    .private_segment_fixed_size: 0
    .sgpr_count:     0
    .sgpr_spill_count: 0
    .symbol:         _ZN7rocprim17ROCPRIM_400000_NS6detail17trampoline_kernelINS0_14default_configENS1_36segmented_radix_sort_config_selectorIalEEZNS1_25segmented_radix_sort_implIS3_Lb1EPKaPaPKlPlN2at6native12_GLOBAL__N_18offset_tEEE10hipError_tPvRmT1_PNSt15iterator_traitsISK_E10value_typeET2_T3_PNSL_ISQ_E10value_typeET4_jRbjT5_SW_jjP12ihipStream_tbEUlT_E2_NS1_11comp_targetILNS1_3genE9ELNS1_11target_archE1100ELNS1_3gpuE3ELNS1_3repE0EEENS1_30default_config_static_selectorELNS0_4arch9wavefront6targetE0EEEvSK_.kd
    .uniform_work_group_size: 1
    .uses_dynamic_stack: false
    .vgpr_count:     0
    .vgpr_spill_count: 0
    .wavefront_size: 32
  - .args:
      - .offset:         0
        .size:           80
        .value_kind:     by_value
    .group_segment_fixed_size: 0
    .kernarg_segment_align: 8
    .kernarg_segment_size: 80
    .language:       OpenCL C
    .language_version:
      - 2
      - 0
    .max_flat_workgroup_size: 256
    .name:           _ZN7rocprim17ROCPRIM_400000_NS6detail17trampoline_kernelINS0_14default_configENS1_36segmented_radix_sort_config_selectorIalEEZNS1_25segmented_radix_sort_implIS3_Lb1EPKaPaPKlPlN2at6native12_GLOBAL__N_18offset_tEEE10hipError_tPvRmT1_PNSt15iterator_traitsISK_E10value_typeET2_T3_PNSL_ISQ_E10value_typeET4_jRbjT5_SW_jjP12ihipStream_tbEUlT_E2_NS1_11comp_targetILNS1_3genE8ELNS1_11target_archE1030ELNS1_3gpuE2ELNS1_3repE0EEENS1_30default_config_static_selectorELNS0_4arch9wavefront6targetE0EEEvSK_
    .private_segment_fixed_size: 0
    .sgpr_count:     0
    .sgpr_spill_count: 0
    .symbol:         _ZN7rocprim17ROCPRIM_400000_NS6detail17trampoline_kernelINS0_14default_configENS1_36segmented_radix_sort_config_selectorIalEEZNS1_25segmented_radix_sort_implIS3_Lb1EPKaPaPKlPlN2at6native12_GLOBAL__N_18offset_tEEE10hipError_tPvRmT1_PNSt15iterator_traitsISK_E10value_typeET2_T3_PNSL_ISQ_E10value_typeET4_jRbjT5_SW_jjP12ihipStream_tbEUlT_E2_NS1_11comp_targetILNS1_3genE8ELNS1_11target_archE1030ELNS1_3gpuE2ELNS1_3repE0EEENS1_30default_config_static_selectorELNS0_4arch9wavefront6targetE0EEEvSK_.kd
    .uniform_work_group_size: 1
    .uses_dynamic_stack: false
    .vgpr_count:     0
    .vgpr_spill_count: 0
    .wavefront_size: 32
  - .args:
      - .offset:         0
        .size:           176
        .value_kind:     by_value
    .group_segment_fixed_size: 13328
    .kernarg_segment_align: 8
    .kernarg_segment_size: 176
    .language:       OpenCL C
    .language_version:
      - 2
      - 0
    .max_flat_workgroup_size: 256
    .name:           _ZN7rocprim17ROCPRIM_400000_NS6detail17trampoline_kernelINS0_13select_configILj256ELj13ELNS0_17block_load_methodE3ELS4_3ELS4_3ELNS0_20block_scan_algorithmE0ELj4294967295EEENS1_25partition_config_selectorILNS1_17partition_subalgoE4EjNS0_10empty_typeEbEEZZNS1_14partition_implILS8_4ELb0ES6_15HIP_vector_typeIjLj2EENS0_17counting_iteratorIjlEEPS9_SG_NS0_5tupleIJPjSI_NS0_16reverse_iteratorISI_EEEEENSH_IJSG_SG_SG_EEES9_SI_JZNS1_25segmented_radix_sort_implINS0_14default_configELb0EPKaPaPKlPlN2at6native12_GLOBAL__N_18offset_tEEE10hipError_tPvRmT1_PNSt15iterator_traitsIS12_E10value_typeET2_T3_PNS13_IS18_E10value_typeET4_jRbjT5_S1E_jjP12ihipStream_tbEUljE_ZNSN_ISO_Lb0ESQ_SR_ST_SU_SY_EESZ_S10_S11_S12_S16_S17_S18_S1B_S1C_jS1D_jS1E_S1E_jjS1G_bEUljE0_EEESZ_S10_S11_S18_S1C_S1E_T6_T7_T9_mT8_S1G_bDpT10_ENKUlT_T0_E_clISt17integral_constantIbLb0EES1U_EEDaS1P_S1Q_EUlS1P_E_NS1_11comp_targetILNS1_3genE0ELNS1_11target_archE4294967295ELNS1_3gpuE0ELNS1_3repE0EEENS1_30default_config_static_selectorELNS0_4arch9wavefront6targetE0EEEvS12_
    .private_segment_fixed_size: 0
    .sgpr_count:     61
    .sgpr_spill_count: 0
    .symbol:         _ZN7rocprim17ROCPRIM_400000_NS6detail17trampoline_kernelINS0_13select_configILj256ELj13ELNS0_17block_load_methodE3ELS4_3ELS4_3ELNS0_20block_scan_algorithmE0ELj4294967295EEENS1_25partition_config_selectorILNS1_17partition_subalgoE4EjNS0_10empty_typeEbEEZZNS1_14partition_implILS8_4ELb0ES6_15HIP_vector_typeIjLj2EENS0_17counting_iteratorIjlEEPS9_SG_NS0_5tupleIJPjSI_NS0_16reverse_iteratorISI_EEEEENSH_IJSG_SG_SG_EEES9_SI_JZNS1_25segmented_radix_sort_implINS0_14default_configELb0EPKaPaPKlPlN2at6native12_GLOBAL__N_18offset_tEEE10hipError_tPvRmT1_PNSt15iterator_traitsIS12_E10value_typeET2_T3_PNS13_IS18_E10value_typeET4_jRbjT5_S1E_jjP12ihipStream_tbEUljE_ZNSN_ISO_Lb0ESQ_SR_ST_SU_SY_EESZ_S10_S11_S12_S16_S17_S18_S1B_S1C_jS1D_jS1E_S1E_jjS1G_bEUljE0_EEESZ_S10_S11_S18_S1C_S1E_T6_T7_T9_mT8_S1G_bDpT10_ENKUlT_T0_E_clISt17integral_constantIbLb0EES1U_EEDaS1P_S1Q_EUlS1P_E_NS1_11comp_targetILNS1_3genE0ELNS1_11target_archE4294967295ELNS1_3gpuE0ELNS1_3repE0EEENS1_30default_config_static_selectorELNS0_4arch9wavefront6targetE0EEEvS12_.kd
    .uniform_work_group_size: 1
    .uses_dynamic_stack: false
    .vgpr_count:     81
    .vgpr_spill_count: 0
    .wavefront_size: 32
  - .args:
      - .offset:         0
        .size:           176
        .value_kind:     by_value
    .group_segment_fixed_size: 0
    .kernarg_segment_align: 8
    .kernarg_segment_size: 176
    .language:       OpenCL C
    .language_version:
      - 2
      - 0
    .max_flat_workgroup_size: 256
    .name:           _ZN7rocprim17ROCPRIM_400000_NS6detail17trampoline_kernelINS0_13select_configILj256ELj13ELNS0_17block_load_methodE3ELS4_3ELS4_3ELNS0_20block_scan_algorithmE0ELj4294967295EEENS1_25partition_config_selectorILNS1_17partition_subalgoE4EjNS0_10empty_typeEbEEZZNS1_14partition_implILS8_4ELb0ES6_15HIP_vector_typeIjLj2EENS0_17counting_iteratorIjlEEPS9_SG_NS0_5tupleIJPjSI_NS0_16reverse_iteratorISI_EEEEENSH_IJSG_SG_SG_EEES9_SI_JZNS1_25segmented_radix_sort_implINS0_14default_configELb0EPKaPaPKlPlN2at6native12_GLOBAL__N_18offset_tEEE10hipError_tPvRmT1_PNSt15iterator_traitsIS12_E10value_typeET2_T3_PNS13_IS18_E10value_typeET4_jRbjT5_S1E_jjP12ihipStream_tbEUljE_ZNSN_ISO_Lb0ESQ_SR_ST_SU_SY_EESZ_S10_S11_S12_S16_S17_S18_S1B_S1C_jS1D_jS1E_S1E_jjS1G_bEUljE0_EEESZ_S10_S11_S18_S1C_S1E_T6_T7_T9_mT8_S1G_bDpT10_ENKUlT_T0_E_clISt17integral_constantIbLb0EES1U_EEDaS1P_S1Q_EUlS1P_E_NS1_11comp_targetILNS1_3genE5ELNS1_11target_archE942ELNS1_3gpuE9ELNS1_3repE0EEENS1_30default_config_static_selectorELNS0_4arch9wavefront6targetE0EEEvS12_
    .private_segment_fixed_size: 0
    .sgpr_count:     0
    .sgpr_spill_count: 0
    .symbol:         _ZN7rocprim17ROCPRIM_400000_NS6detail17trampoline_kernelINS0_13select_configILj256ELj13ELNS0_17block_load_methodE3ELS4_3ELS4_3ELNS0_20block_scan_algorithmE0ELj4294967295EEENS1_25partition_config_selectorILNS1_17partition_subalgoE4EjNS0_10empty_typeEbEEZZNS1_14partition_implILS8_4ELb0ES6_15HIP_vector_typeIjLj2EENS0_17counting_iteratorIjlEEPS9_SG_NS0_5tupleIJPjSI_NS0_16reverse_iteratorISI_EEEEENSH_IJSG_SG_SG_EEES9_SI_JZNS1_25segmented_radix_sort_implINS0_14default_configELb0EPKaPaPKlPlN2at6native12_GLOBAL__N_18offset_tEEE10hipError_tPvRmT1_PNSt15iterator_traitsIS12_E10value_typeET2_T3_PNS13_IS18_E10value_typeET4_jRbjT5_S1E_jjP12ihipStream_tbEUljE_ZNSN_ISO_Lb0ESQ_SR_ST_SU_SY_EESZ_S10_S11_S12_S16_S17_S18_S1B_S1C_jS1D_jS1E_S1E_jjS1G_bEUljE0_EEESZ_S10_S11_S18_S1C_S1E_T6_T7_T9_mT8_S1G_bDpT10_ENKUlT_T0_E_clISt17integral_constantIbLb0EES1U_EEDaS1P_S1Q_EUlS1P_E_NS1_11comp_targetILNS1_3genE5ELNS1_11target_archE942ELNS1_3gpuE9ELNS1_3repE0EEENS1_30default_config_static_selectorELNS0_4arch9wavefront6targetE0EEEvS12_.kd
    .uniform_work_group_size: 1
    .uses_dynamic_stack: false
    .vgpr_count:     0
    .vgpr_spill_count: 0
    .wavefront_size: 32
  - .args:
      - .offset:         0
        .size:           176
        .value_kind:     by_value
    .group_segment_fixed_size: 0
    .kernarg_segment_align: 8
    .kernarg_segment_size: 176
    .language:       OpenCL C
    .language_version:
      - 2
      - 0
    .max_flat_workgroup_size: 256
    .name:           _ZN7rocprim17ROCPRIM_400000_NS6detail17trampoline_kernelINS0_13select_configILj256ELj13ELNS0_17block_load_methodE3ELS4_3ELS4_3ELNS0_20block_scan_algorithmE0ELj4294967295EEENS1_25partition_config_selectorILNS1_17partition_subalgoE4EjNS0_10empty_typeEbEEZZNS1_14partition_implILS8_4ELb0ES6_15HIP_vector_typeIjLj2EENS0_17counting_iteratorIjlEEPS9_SG_NS0_5tupleIJPjSI_NS0_16reverse_iteratorISI_EEEEENSH_IJSG_SG_SG_EEES9_SI_JZNS1_25segmented_radix_sort_implINS0_14default_configELb0EPKaPaPKlPlN2at6native12_GLOBAL__N_18offset_tEEE10hipError_tPvRmT1_PNSt15iterator_traitsIS12_E10value_typeET2_T3_PNS13_IS18_E10value_typeET4_jRbjT5_S1E_jjP12ihipStream_tbEUljE_ZNSN_ISO_Lb0ESQ_SR_ST_SU_SY_EESZ_S10_S11_S12_S16_S17_S18_S1B_S1C_jS1D_jS1E_S1E_jjS1G_bEUljE0_EEESZ_S10_S11_S18_S1C_S1E_T6_T7_T9_mT8_S1G_bDpT10_ENKUlT_T0_E_clISt17integral_constantIbLb0EES1U_EEDaS1P_S1Q_EUlS1P_E_NS1_11comp_targetILNS1_3genE4ELNS1_11target_archE910ELNS1_3gpuE8ELNS1_3repE0EEENS1_30default_config_static_selectorELNS0_4arch9wavefront6targetE0EEEvS12_
    .private_segment_fixed_size: 0
    .sgpr_count:     0
    .sgpr_spill_count: 0
    .symbol:         _ZN7rocprim17ROCPRIM_400000_NS6detail17trampoline_kernelINS0_13select_configILj256ELj13ELNS0_17block_load_methodE3ELS4_3ELS4_3ELNS0_20block_scan_algorithmE0ELj4294967295EEENS1_25partition_config_selectorILNS1_17partition_subalgoE4EjNS0_10empty_typeEbEEZZNS1_14partition_implILS8_4ELb0ES6_15HIP_vector_typeIjLj2EENS0_17counting_iteratorIjlEEPS9_SG_NS0_5tupleIJPjSI_NS0_16reverse_iteratorISI_EEEEENSH_IJSG_SG_SG_EEES9_SI_JZNS1_25segmented_radix_sort_implINS0_14default_configELb0EPKaPaPKlPlN2at6native12_GLOBAL__N_18offset_tEEE10hipError_tPvRmT1_PNSt15iterator_traitsIS12_E10value_typeET2_T3_PNS13_IS18_E10value_typeET4_jRbjT5_S1E_jjP12ihipStream_tbEUljE_ZNSN_ISO_Lb0ESQ_SR_ST_SU_SY_EESZ_S10_S11_S12_S16_S17_S18_S1B_S1C_jS1D_jS1E_S1E_jjS1G_bEUljE0_EEESZ_S10_S11_S18_S1C_S1E_T6_T7_T9_mT8_S1G_bDpT10_ENKUlT_T0_E_clISt17integral_constantIbLb0EES1U_EEDaS1P_S1Q_EUlS1P_E_NS1_11comp_targetILNS1_3genE4ELNS1_11target_archE910ELNS1_3gpuE8ELNS1_3repE0EEENS1_30default_config_static_selectorELNS0_4arch9wavefront6targetE0EEEvS12_.kd
    .uniform_work_group_size: 1
    .uses_dynamic_stack: false
    .vgpr_count:     0
    .vgpr_spill_count: 0
    .wavefront_size: 32
  - .args:
      - .offset:         0
        .size:           176
        .value_kind:     by_value
    .group_segment_fixed_size: 0
    .kernarg_segment_align: 8
    .kernarg_segment_size: 176
    .language:       OpenCL C
    .language_version:
      - 2
      - 0
    .max_flat_workgroup_size: 256
    .name:           _ZN7rocprim17ROCPRIM_400000_NS6detail17trampoline_kernelINS0_13select_configILj256ELj13ELNS0_17block_load_methodE3ELS4_3ELS4_3ELNS0_20block_scan_algorithmE0ELj4294967295EEENS1_25partition_config_selectorILNS1_17partition_subalgoE4EjNS0_10empty_typeEbEEZZNS1_14partition_implILS8_4ELb0ES6_15HIP_vector_typeIjLj2EENS0_17counting_iteratorIjlEEPS9_SG_NS0_5tupleIJPjSI_NS0_16reverse_iteratorISI_EEEEENSH_IJSG_SG_SG_EEES9_SI_JZNS1_25segmented_radix_sort_implINS0_14default_configELb0EPKaPaPKlPlN2at6native12_GLOBAL__N_18offset_tEEE10hipError_tPvRmT1_PNSt15iterator_traitsIS12_E10value_typeET2_T3_PNS13_IS18_E10value_typeET4_jRbjT5_S1E_jjP12ihipStream_tbEUljE_ZNSN_ISO_Lb0ESQ_SR_ST_SU_SY_EESZ_S10_S11_S12_S16_S17_S18_S1B_S1C_jS1D_jS1E_S1E_jjS1G_bEUljE0_EEESZ_S10_S11_S18_S1C_S1E_T6_T7_T9_mT8_S1G_bDpT10_ENKUlT_T0_E_clISt17integral_constantIbLb0EES1U_EEDaS1P_S1Q_EUlS1P_E_NS1_11comp_targetILNS1_3genE3ELNS1_11target_archE908ELNS1_3gpuE7ELNS1_3repE0EEENS1_30default_config_static_selectorELNS0_4arch9wavefront6targetE0EEEvS12_
    .private_segment_fixed_size: 0
    .sgpr_count:     0
    .sgpr_spill_count: 0
    .symbol:         _ZN7rocprim17ROCPRIM_400000_NS6detail17trampoline_kernelINS0_13select_configILj256ELj13ELNS0_17block_load_methodE3ELS4_3ELS4_3ELNS0_20block_scan_algorithmE0ELj4294967295EEENS1_25partition_config_selectorILNS1_17partition_subalgoE4EjNS0_10empty_typeEbEEZZNS1_14partition_implILS8_4ELb0ES6_15HIP_vector_typeIjLj2EENS0_17counting_iteratorIjlEEPS9_SG_NS0_5tupleIJPjSI_NS0_16reverse_iteratorISI_EEEEENSH_IJSG_SG_SG_EEES9_SI_JZNS1_25segmented_radix_sort_implINS0_14default_configELb0EPKaPaPKlPlN2at6native12_GLOBAL__N_18offset_tEEE10hipError_tPvRmT1_PNSt15iterator_traitsIS12_E10value_typeET2_T3_PNS13_IS18_E10value_typeET4_jRbjT5_S1E_jjP12ihipStream_tbEUljE_ZNSN_ISO_Lb0ESQ_SR_ST_SU_SY_EESZ_S10_S11_S12_S16_S17_S18_S1B_S1C_jS1D_jS1E_S1E_jjS1G_bEUljE0_EEESZ_S10_S11_S18_S1C_S1E_T6_T7_T9_mT8_S1G_bDpT10_ENKUlT_T0_E_clISt17integral_constantIbLb0EES1U_EEDaS1P_S1Q_EUlS1P_E_NS1_11comp_targetILNS1_3genE3ELNS1_11target_archE908ELNS1_3gpuE7ELNS1_3repE0EEENS1_30default_config_static_selectorELNS0_4arch9wavefront6targetE0EEEvS12_.kd
    .uniform_work_group_size: 1
    .uses_dynamic_stack: false
    .vgpr_count:     0
    .vgpr_spill_count: 0
    .wavefront_size: 32
  - .args:
      - .offset:         0
        .size:           176
        .value_kind:     by_value
    .group_segment_fixed_size: 0
    .kernarg_segment_align: 8
    .kernarg_segment_size: 176
    .language:       OpenCL C
    .language_version:
      - 2
      - 0
    .max_flat_workgroup_size: 256
    .name:           _ZN7rocprim17ROCPRIM_400000_NS6detail17trampoline_kernelINS0_13select_configILj256ELj13ELNS0_17block_load_methodE3ELS4_3ELS4_3ELNS0_20block_scan_algorithmE0ELj4294967295EEENS1_25partition_config_selectorILNS1_17partition_subalgoE4EjNS0_10empty_typeEbEEZZNS1_14partition_implILS8_4ELb0ES6_15HIP_vector_typeIjLj2EENS0_17counting_iteratorIjlEEPS9_SG_NS0_5tupleIJPjSI_NS0_16reverse_iteratorISI_EEEEENSH_IJSG_SG_SG_EEES9_SI_JZNS1_25segmented_radix_sort_implINS0_14default_configELb0EPKaPaPKlPlN2at6native12_GLOBAL__N_18offset_tEEE10hipError_tPvRmT1_PNSt15iterator_traitsIS12_E10value_typeET2_T3_PNS13_IS18_E10value_typeET4_jRbjT5_S1E_jjP12ihipStream_tbEUljE_ZNSN_ISO_Lb0ESQ_SR_ST_SU_SY_EESZ_S10_S11_S12_S16_S17_S18_S1B_S1C_jS1D_jS1E_S1E_jjS1G_bEUljE0_EEESZ_S10_S11_S18_S1C_S1E_T6_T7_T9_mT8_S1G_bDpT10_ENKUlT_T0_E_clISt17integral_constantIbLb0EES1U_EEDaS1P_S1Q_EUlS1P_E_NS1_11comp_targetILNS1_3genE2ELNS1_11target_archE906ELNS1_3gpuE6ELNS1_3repE0EEENS1_30default_config_static_selectorELNS0_4arch9wavefront6targetE0EEEvS12_
    .private_segment_fixed_size: 0
    .sgpr_count:     0
    .sgpr_spill_count: 0
    .symbol:         _ZN7rocprim17ROCPRIM_400000_NS6detail17trampoline_kernelINS0_13select_configILj256ELj13ELNS0_17block_load_methodE3ELS4_3ELS4_3ELNS0_20block_scan_algorithmE0ELj4294967295EEENS1_25partition_config_selectorILNS1_17partition_subalgoE4EjNS0_10empty_typeEbEEZZNS1_14partition_implILS8_4ELb0ES6_15HIP_vector_typeIjLj2EENS0_17counting_iteratorIjlEEPS9_SG_NS0_5tupleIJPjSI_NS0_16reverse_iteratorISI_EEEEENSH_IJSG_SG_SG_EEES9_SI_JZNS1_25segmented_radix_sort_implINS0_14default_configELb0EPKaPaPKlPlN2at6native12_GLOBAL__N_18offset_tEEE10hipError_tPvRmT1_PNSt15iterator_traitsIS12_E10value_typeET2_T3_PNS13_IS18_E10value_typeET4_jRbjT5_S1E_jjP12ihipStream_tbEUljE_ZNSN_ISO_Lb0ESQ_SR_ST_SU_SY_EESZ_S10_S11_S12_S16_S17_S18_S1B_S1C_jS1D_jS1E_S1E_jjS1G_bEUljE0_EEESZ_S10_S11_S18_S1C_S1E_T6_T7_T9_mT8_S1G_bDpT10_ENKUlT_T0_E_clISt17integral_constantIbLb0EES1U_EEDaS1P_S1Q_EUlS1P_E_NS1_11comp_targetILNS1_3genE2ELNS1_11target_archE906ELNS1_3gpuE6ELNS1_3repE0EEENS1_30default_config_static_selectorELNS0_4arch9wavefront6targetE0EEEvS12_.kd
    .uniform_work_group_size: 1
    .uses_dynamic_stack: false
    .vgpr_count:     0
    .vgpr_spill_count: 0
    .wavefront_size: 32
  - .args:
      - .offset:         0
        .size:           176
        .value_kind:     by_value
    .group_segment_fixed_size: 0
    .kernarg_segment_align: 8
    .kernarg_segment_size: 176
    .language:       OpenCL C
    .language_version:
      - 2
      - 0
    .max_flat_workgroup_size: 256
    .name:           _ZN7rocprim17ROCPRIM_400000_NS6detail17trampoline_kernelINS0_13select_configILj256ELj13ELNS0_17block_load_methodE3ELS4_3ELS4_3ELNS0_20block_scan_algorithmE0ELj4294967295EEENS1_25partition_config_selectorILNS1_17partition_subalgoE4EjNS0_10empty_typeEbEEZZNS1_14partition_implILS8_4ELb0ES6_15HIP_vector_typeIjLj2EENS0_17counting_iteratorIjlEEPS9_SG_NS0_5tupleIJPjSI_NS0_16reverse_iteratorISI_EEEEENSH_IJSG_SG_SG_EEES9_SI_JZNS1_25segmented_radix_sort_implINS0_14default_configELb0EPKaPaPKlPlN2at6native12_GLOBAL__N_18offset_tEEE10hipError_tPvRmT1_PNSt15iterator_traitsIS12_E10value_typeET2_T3_PNS13_IS18_E10value_typeET4_jRbjT5_S1E_jjP12ihipStream_tbEUljE_ZNSN_ISO_Lb0ESQ_SR_ST_SU_SY_EESZ_S10_S11_S12_S16_S17_S18_S1B_S1C_jS1D_jS1E_S1E_jjS1G_bEUljE0_EEESZ_S10_S11_S18_S1C_S1E_T6_T7_T9_mT8_S1G_bDpT10_ENKUlT_T0_E_clISt17integral_constantIbLb0EES1U_EEDaS1P_S1Q_EUlS1P_E_NS1_11comp_targetILNS1_3genE10ELNS1_11target_archE1200ELNS1_3gpuE4ELNS1_3repE0EEENS1_30default_config_static_selectorELNS0_4arch9wavefront6targetE0EEEvS12_
    .private_segment_fixed_size: 0
    .sgpr_count:     0
    .sgpr_spill_count: 0
    .symbol:         _ZN7rocprim17ROCPRIM_400000_NS6detail17trampoline_kernelINS0_13select_configILj256ELj13ELNS0_17block_load_methodE3ELS4_3ELS4_3ELNS0_20block_scan_algorithmE0ELj4294967295EEENS1_25partition_config_selectorILNS1_17partition_subalgoE4EjNS0_10empty_typeEbEEZZNS1_14partition_implILS8_4ELb0ES6_15HIP_vector_typeIjLj2EENS0_17counting_iteratorIjlEEPS9_SG_NS0_5tupleIJPjSI_NS0_16reverse_iteratorISI_EEEEENSH_IJSG_SG_SG_EEES9_SI_JZNS1_25segmented_radix_sort_implINS0_14default_configELb0EPKaPaPKlPlN2at6native12_GLOBAL__N_18offset_tEEE10hipError_tPvRmT1_PNSt15iterator_traitsIS12_E10value_typeET2_T3_PNS13_IS18_E10value_typeET4_jRbjT5_S1E_jjP12ihipStream_tbEUljE_ZNSN_ISO_Lb0ESQ_SR_ST_SU_SY_EESZ_S10_S11_S12_S16_S17_S18_S1B_S1C_jS1D_jS1E_S1E_jjS1G_bEUljE0_EEESZ_S10_S11_S18_S1C_S1E_T6_T7_T9_mT8_S1G_bDpT10_ENKUlT_T0_E_clISt17integral_constantIbLb0EES1U_EEDaS1P_S1Q_EUlS1P_E_NS1_11comp_targetILNS1_3genE10ELNS1_11target_archE1200ELNS1_3gpuE4ELNS1_3repE0EEENS1_30default_config_static_selectorELNS0_4arch9wavefront6targetE0EEEvS12_.kd
    .uniform_work_group_size: 1
    .uses_dynamic_stack: false
    .vgpr_count:     0
    .vgpr_spill_count: 0
    .wavefront_size: 32
  - .args:
      - .offset:         0
        .size:           176
        .value_kind:     by_value
    .group_segment_fixed_size: 0
    .kernarg_segment_align: 8
    .kernarg_segment_size: 176
    .language:       OpenCL C
    .language_version:
      - 2
      - 0
    .max_flat_workgroup_size: 256
    .name:           _ZN7rocprim17ROCPRIM_400000_NS6detail17trampoline_kernelINS0_13select_configILj256ELj13ELNS0_17block_load_methodE3ELS4_3ELS4_3ELNS0_20block_scan_algorithmE0ELj4294967295EEENS1_25partition_config_selectorILNS1_17partition_subalgoE4EjNS0_10empty_typeEbEEZZNS1_14partition_implILS8_4ELb0ES6_15HIP_vector_typeIjLj2EENS0_17counting_iteratorIjlEEPS9_SG_NS0_5tupleIJPjSI_NS0_16reverse_iteratorISI_EEEEENSH_IJSG_SG_SG_EEES9_SI_JZNS1_25segmented_radix_sort_implINS0_14default_configELb0EPKaPaPKlPlN2at6native12_GLOBAL__N_18offset_tEEE10hipError_tPvRmT1_PNSt15iterator_traitsIS12_E10value_typeET2_T3_PNS13_IS18_E10value_typeET4_jRbjT5_S1E_jjP12ihipStream_tbEUljE_ZNSN_ISO_Lb0ESQ_SR_ST_SU_SY_EESZ_S10_S11_S12_S16_S17_S18_S1B_S1C_jS1D_jS1E_S1E_jjS1G_bEUljE0_EEESZ_S10_S11_S18_S1C_S1E_T6_T7_T9_mT8_S1G_bDpT10_ENKUlT_T0_E_clISt17integral_constantIbLb0EES1U_EEDaS1P_S1Q_EUlS1P_E_NS1_11comp_targetILNS1_3genE9ELNS1_11target_archE1100ELNS1_3gpuE3ELNS1_3repE0EEENS1_30default_config_static_selectorELNS0_4arch9wavefront6targetE0EEEvS12_
    .private_segment_fixed_size: 0
    .sgpr_count:     0
    .sgpr_spill_count: 0
    .symbol:         _ZN7rocprim17ROCPRIM_400000_NS6detail17trampoline_kernelINS0_13select_configILj256ELj13ELNS0_17block_load_methodE3ELS4_3ELS4_3ELNS0_20block_scan_algorithmE0ELj4294967295EEENS1_25partition_config_selectorILNS1_17partition_subalgoE4EjNS0_10empty_typeEbEEZZNS1_14partition_implILS8_4ELb0ES6_15HIP_vector_typeIjLj2EENS0_17counting_iteratorIjlEEPS9_SG_NS0_5tupleIJPjSI_NS0_16reverse_iteratorISI_EEEEENSH_IJSG_SG_SG_EEES9_SI_JZNS1_25segmented_radix_sort_implINS0_14default_configELb0EPKaPaPKlPlN2at6native12_GLOBAL__N_18offset_tEEE10hipError_tPvRmT1_PNSt15iterator_traitsIS12_E10value_typeET2_T3_PNS13_IS18_E10value_typeET4_jRbjT5_S1E_jjP12ihipStream_tbEUljE_ZNSN_ISO_Lb0ESQ_SR_ST_SU_SY_EESZ_S10_S11_S12_S16_S17_S18_S1B_S1C_jS1D_jS1E_S1E_jjS1G_bEUljE0_EEESZ_S10_S11_S18_S1C_S1E_T6_T7_T9_mT8_S1G_bDpT10_ENKUlT_T0_E_clISt17integral_constantIbLb0EES1U_EEDaS1P_S1Q_EUlS1P_E_NS1_11comp_targetILNS1_3genE9ELNS1_11target_archE1100ELNS1_3gpuE3ELNS1_3repE0EEENS1_30default_config_static_selectorELNS0_4arch9wavefront6targetE0EEEvS12_.kd
    .uniform_work_group_size: 1
    .uses_dynamic_stack: false
    .vgpr_count:     0
    .vgpr_spill_count: 0
    .wavefront_size: 32
  - .args:
      - .offset:         0
        .size:           176
        .value_kind:     by_value
    .group_segment_fixed_size: 0
    .kernarg_segment_align: 8
    .kernarg_segment_size: 176
    .language:       OpenCL C
    .language_version:
      - 2
      - 0
    .max_flat_workgroup_size: 256
    .name:           _ZN7rocprim17ROCPRIM_400000_NS6detail17trampoline_kernelINS0_13select_configILj256ELj13ELNS0_17block_load_methodE3ELS4_3ELS4_3ELNS0_20block_scan_algorithmE0ELj4294967295EEENS1_25partition_config_selectorILNS1_17partition_subalgoE4EjNS0_10empty_typeEbEEZZNS1_14partition_implILS8_4ELb0ES6_15HIP_vector_typeIjLj2EENS0_17counting_iteratorIjlEEPS9_SG_NS0_5tupleIJPjSI_NS0_16reverse_iteratorISI_EEEEENSH_IJSG_SG_SG_EEES9_SI_JZNS1_25segmented_radix_sort_implINS0_14default_configELb0EPKaPaPKlPlN2at6native12_GLOBAL__N_18offset_tEEE10hipError_tPvRmT1_PNSt15iterator_traitsIS12_E10value_typeET2_T3_PNS13_IS18_E10value_typeET4_jRbjT5_S1E_jjP12ihipStream_tbEUljE_ZNSN_ISO_Lb0ESQ_SR_ST_SU_SY_EESZ_S10_S11_S12_S16_S17_S18_S1B_S1C_jS1D_jS1E_S1E_jjS1G_bEUljE0_EEESZ_S10_S11_S18_S1C_S1E_T6_T7_T9_mT8_S1G_bDpT10_ENKUlT_T0_E_clISt17integral_constantIbLb0EES1U_EEDaS1P_S1Q_EUlS1P_E_NS1_11comp_targetILNS1_3genE8ELNS1_11target_archE1030ELNS1_3gpuE2ELNS1_3repE0EEENS1_30default_config_static_selectorELNS0_4arch9wavefront6targetE0EEEvS12_
    .private_segment_fixed_size: 0
    .sgpr_count:     0
    .sgpr_spill_count: 0
    .symbol:         _ZN7rocprim17ROCPRIM_400000_NS6detail17trampoline_kernelINS0_13select_configILj256ELj13ELNS0_17block_load_methodE3ELS4_3ELS4_3ELNS0_20block_scan_algorithmE0ELj4294967295EEENS1_25partition_config_selectorILNS1_17partition_subalgoE4EjNS0_10empty_typeEbEEZZNS1_14partition_implILS8_4ELb0ES6_15HIP_vector_typeIjLj2EENS0_17counting_iteratorIjlEEPS9_SG_NS0_5tupleIJPjSI_NS0_16reverse_iteratorISI_EEEEENSH_IJSG_SG_SG_EEES9_SI_JZNS1_25segmented_radix_sort_implINS0_14default_configELb0EPKaPaPKlPlN2at6native12_GLOBAL__N_18offset_tEEE10hipError_tPvRmT1_PNSt15iterator_traitsIS12_E10value_typeET2_T3_PNS13_IS18_E10value_typeET4_jRbjT5_S1E_jjP12ihipStream_tbEUljE_ZNSN_ISO_Lb0ESQ_SR_ST_SU_SY_EESZ_S10_S11_S12_S16_S17_S18_S1B_S1C_jS1D_jS1E_S1E_jjS1G_bEUljE0_EEESZ_S10_S11_S18_S1C_S1E_T6_T7_T9_mT8_S1G_bDpT10_ENKUlT_T0_E_clISt17integral_constantIbLb0EES1U_EEDaS1P_S1Q_EUlS1P_E_NS1_11comp_targetILNS1_3genE8ELNS1_11target_archE1030ELNS1_3gpuE2ELNS1_3repE0EEENS1_30default_config_static_selectorELNS0_4arch9wavefront6targetE0EEEvS12_.kd
    .uniform_work_group_size: 1
    .uses_dynamic_stack: false
    .vgpr_count:     0
    .vgpr_spill_count: 0
    .wavefront_size: 32
  - .args:
      - .offset:         0
        .size:           184
        .value_kind:     by_value
    .group_segment_fixed_size: 0
    .kernarg_segment_align: 8
    .kernarg_segment_size: 184
    .language:       OpenCL C
    .language_version:
      - 2
      - 0
    .max_flat_workgroup_size: 256
    .name:           _ZN7rocprim17ROCPRIM_400000_NS6detail17trampoline_kernelINS0_13select_configILj256ELj13ELNS0_17block_load_methodE3ELS4_3ELS4_3ELNS0_20block_scan_algorithmE0ELj4294967295EEENS1_25partition_config_selectorILNS1_17partition_subalgoE4EjNS0_10empty_typeEbEEZZNS1_14partition_implILS8_4ELb0ES6_15HIP_vector_typeIjLj2EENS0_17counting_iteratorIjlEEPS9_SG_NS0_5tupleIJPjSI_NS0_16reverse_iteratorISI_EEEEENSH_IJSG_SG_SG_EEES9_SI_JZNS1_25segmented_radix_sort_implINS0_14default_configELb0EPKaPaPKlPlN2at6native12_GLOBAL__N_18offset_tEEE10hipError_tPvRmT1_PNSt15iterator_traitsIS12_E10value_typeET2_T3_PNS13_IS18_E10value_typeET4_jRbjT5_S1E_jjP12ihipStream_tbEUljE_ZNSN_ISO_Lb0ESQ_SR_ST_SU_SY_EESZ_S10_S11_S12_S16_S17_S18_S1B_S1C_jS1D_jS1E_S1E_jjS1G_bEUljE0_EEESZ_S10_S11_S18_S1C_S1E_T6_T7_T9_mT8_S1G_bDpT10_ENKUlT_T0_E_clISt17integral_constantIbLb1EES1U_EEDaS1P_S1Q_EUlS1P_E_NS1_11comp_targetILNS1_3genE0ELNS1_11target_archE4294967295ELNS1_3gpuE0ELNS1_3repE0EEENS1_30default_config_static_selectorELNS0_4arch9wavefront6targetE0EEEvS12_
    .private_segment_fixed_size: 0
    .sgpr_count:     0
    .sgpr_spill_count: 0
    .symbol:         _ZN7rocprim17ROCPRIM_400000_NS6detail17trampoline_kernelINS0_13select_configILj256ELj13ELNS0_17block_load_methodE3ELS4_3ELS4_3ELNS0_20block_scan_algorithmE0ELj4294967295EEENS1_25partition_config_selectorILNS1_17partition_subalgoE4EjNS0_10empty_typeEbEEZZNS1_14partition_implILS8_4ELb0ES6_15HIP_vector_typeIjLj2EENS0_17counting_iteratorIjlEEPS9_SG_NS0_5tupleIJPjSI_NS0_16reverse_iteratorISI_EEEEENSH_IJSG_SG_SG_EEES9_SI_JZNS1_25segmented_radix_sort_implINS0_14default_configELb0EPKaPaPKlPlN2at6native12_GLOBAL__N_18offset_tEEE10hipError_tPvRmT1_PNSt15iterator_traitsIS12_E10value_typeET2_T3_PNS13_IS18_E10value_typeET4_jRbjT5_S1E_jjP12ihipStream_tbEUljE_ZNSN_ISO_Lb0ESQ_SR_ST_SU_SY_EESZ_S10_S11_S12_S16_S17_S18_S1B_S1C_jS1D_jS1E_S1E_jjS1G_bEUljE0_EEESZ_S10_S11_S18_S1C_S1E_T6_T7_T9_mT8_S1G_bDpT10_ENKUlT_T0_E_clISt17integral_constantIbLb1EES1U_EEDaS1P_S1Q_EUlS1P_E_NS1_11comp_targetILNS1_3genE0ELNS1_11target_archE4294967295ELNS1_3gpuE0ELNS1_3repE0EEENS1_30default_config_static_selectorELNS0_4arch9wavefront6targetE0EEEvS12_.kd
    .uniform_work_group_size: 1
    .uses_dynamic_stack: false
    .vgpr_count:     0
    .vgpr_spill_count: 0
    .wavefront_size: 32
  - .args:
      - .offset:         0
        .size:           184
        .value_kind:     by_value
    .group_segment_fixed_size: 0
    .kernarg_segment_align: 8
    .kernarg_segment_size: 184
    .language:       OpenCL C
    .language_version:
      - 2
      - 0
    .max_flat_workgroup_size: 256
    .name:           _ZN7rocprim17ROCPRIM_400000_NS6detail17trampoline_kernelINS0_13select_configILj256ELj13ELNS0_17block_load_methodE3ELS4_3ELS4_3ELNS0_20block_scan_algorithmE0ELj4294967295EEENS1_25partition_config_selectorILNS1_17partition_subalgoE4EjNS0_10empty_typeEbEEZZNS1_14partition_implILS8_4ELb0ES6_15HIP_vector_typeIjLj2EENS0_17counting_iteratorIjlEEPS9_SG_NS0_5tupleIJPjSI_NS0_16reverse_iteratorISI_EEEEENSH_IJSG_SG_SG_EEES9_SI_JZNS1_25segmented_radix_sort_implINS0_14default_configELb0EPKaPaPKlPlN2at6native12_GLOBAL__N_18offset_tEEE10hipError_tPvRmT1_PNSt15iterator_traitsIS12_E10value_typeET2_T3_PNS13_IS18_E10value_typeET4_jRbjT5_S1E_jjP12ihipStream_tbEUljE_ZNSN_ISO_Lb0ESQ_SR_ST_SU_SY_EESZ_S10_S11_S12_S16_S17_S18_S1B_S1C_jS1D_jS1E_S1E_jjS1G_bEUljE0_EEESZ_S10_S11_S18_S1C_S1E_T6_T7_T9_mT8_S1G_bDpT10_ENKUlT_T0_E_clISt17integral_constantIbLb1EES1U_EEDaS1P_S1Q_EUlS1P_E_NS1_11comp_targetILNS1_3genE5ELNS1_11target_archE942ELNS1_3gpuE9ELNS1_3repE0EEENS1_30default_config_static_selectorELNS0_4arch9wavefront6targetE0EEEvS12_
    .private_segment_fixed_size: 0
    .sgpr_count:     0
    .sgpr_spill_count: 0
    .symbol:         _ZN7rocprim17ROCPRIM_400000_NS6detail17trampoline_kernelINS0_13select_configILj256ELj13ELNS0_17block_load_methodE3ELS4_3ELS4_3ELNS0_20block_scan_algorithmE0ELj4294967295EEENS1_25partition_config_selectorILNS1_17partition_subalgoE4EjNS0_10empty_typeEbEEZZNS1_14partition_implILS8_4ELb0ES6_15HIP_vector_typeIjLj2EENS0_17counting_iteratorIjlEEPS9_SG_NS0_5tupleIJPjSI_NS0_16reverse_iteratorISI_EEEEENSH_IJSG_SG_SG_EEES9_SI_JZNS1_25segmented_radix_sort_implINS0_14default_configELb0EPKaPaPKlPlN2at6native12_GLOBAL__N_18offset_tEEE10hipError_tPvRmT1_PNSt15iterator_traitsIS12_E10value_typeET2_T3_PNS13_IS18_E10value_typeET4_jRbjT5_S1E_jjP12ihipStream_tbEUljE_ZNSN_ISO_Lb0ESQ_SR_ST_SU_SY_EESZ_S10_S11_S12_S16_S17_S18_S1B_S1C_jS1D_jS1E_S1E_jjS1G_bEUljE0_EEESZ_S10_S11_S18_S1C_S1E_T6_T7_T9_mT8_S1G_bDpT10_ENKUlT_T0_E_clISt17integral_constantIbLb1EES1U_EEDaS1P_S1Q_EUlS1P_E_NS1_11comp_targetILNS1_3genE5ELNS1_11target_archE942ELNS1_3gpuE9ELNS1_3repE0EEENS1_30default_config_static_selectorELNS0_4arch9wavefront6targetE0EEEvS12_.kd
    .uniform_work_group_size: 1
    .uses_dynamic_stack: false
    .vgpr_count:     0
    .vgpr_spill_count: 0
    .wavefront_size: 32
  - .args:
      - .offset:         0
        .size:           184
        .value_kind:     by_value
    .group_segment_fixed_size: 0
    .kernarg_segment_align: 8
    .kernarg_segment_size: 184
    .language:       OpenCL C
    .language_version:
      - 2
      - 0
    .max_flat_workgroup_size: 256
    .name:           _ZN7rocprim17ROCPRIM_400000_NS6detail17trampoline_kernelINS0_13select_configILj256ELj13ELNS0_17block_load_methodE3ELS4_3ELS4_3ELNS0_20block_scan_algorithmE0ELj4294967295EEENS1_25partition_config_selectorILNS1_17partition_subalgoE4EjNS0_10empty_typeEbEEZZNS1_14partition_implILS8_4ELb0ES6_15HIP_vector_typeIjLj2EENS0_17counting_iteratorIjlEEPS9_SG_NS0_5tupleIJPjSI_NS0_16reverse_iteratorISI_EEEEENSH_IJSG_SG_SG_EEES9_SI_JZNS1_25segmented_radix_sort_implINS0_14default_configELb0EPKaPaPKlPlN2at6native12_GLOBAL__N_18offset_tEEE10hipError_tPvRmT1_PNSt15iterator_traitsIS12_E10value_typeET2_T3_PNS13_IS18_E10value_typeET4_jRbjT5_S1E_jjP12ihipStream_tbEUljE_ZNSN_ISO_Lb0ESQ_SR_ST_SU_SY_EESZ_S10_S11_S12_S16_S17_S18_S1B_S1C_jS1D_jS1E_S1E_jjS1G_bEUljE0_EEESZ_S10_S11_S18_S1C_S1E_T6_T7_T9_mT8_S1G_bDpT10_ENKUlT_T0_E_clISt17integral_constantIbLb1EES1U_EEDaS1P_S1Q_EUlS1P_E_NS1_11comp_targetILNS1_3genE4ELNS1_11target_archE910ELNS1_3gpuE8ELNS1_3repE0EEENS1_30default_config_static_selectorELNS0_4arch9wavefront6targetE0EEEvS12_
    .private_segment_fixed_size: 0
    .sgpr_count:     0
    .sgpr_spill_count: 0
    .symbol:         _ZN7rocprim17ROCPRIM_400000_NS6detail17trampoline_kernelINS0_13select_configILj256ELj13ELNS0_17block_load_methodE3ELS4_3ELS4_3ELNS0_20block_scan_algorithmE0ELj4294967295EEENS1_25partition_config_selectorILNS1_17partition_subalgoE4EjNS0_10empty_typeEbEEZZNS1_14partition_implILS8_4ELb0ES6_15HIP_vector_typeIjLj2EENS0_17counting_iteratorIjlEEPS9_SG_NS0_5tupleIJPjSI_NS0_16reverse_iteratorISI_EEEEENSH_IJSG_SG_SG_EEES9_SI_JZNS1_25segmented_radix_sort_implINS0_14default_configELb0EPKaPaPKlPlN2at6native12_GLOBAL__N_18offset_tEEE10hipError_tPvRmT1_PNSt15iterator_traitsIS12_E10value_typeET2_T3_PNS13_IS18_E10value_typeET4_jRbjT5_S1E_jjP12ihipStream_tbEUljE_ZNSN_ISO_Lb0ESQ_SR_ST_SU_SY_EESZ_S10_S11_S12_S16_S17_S18_S1B_S1C_jS1D_jS1E_S1E_jjS1G_bEUljE0_EEESZ_S10_S11_S18_S1C_S1E_T6_T7_T9_mT8_S1G_bDpT10_ENKUlT_T0_E_clISt17integral_constantIbLb1EES1U_EEDaS1P_S1Q_EUlS1P_E_NS1_11comp_targetILNS1_3genE4ELNS1_11target_archE910ELNS1_3gpuE8ELNS1_3repE0EEENS1_30default_config_static_selectorELNS0_4arch9wavefront6targetE0EEEvS12_.kd
    .uniform_work_group_size: 1
    .uses_dynamic_stack: false
    .vgpr_count:     0
    .vgpr_spill_count: 0
    .wavefront_size: 32
  - .args:
      - .offset:         0
        .size:           184
        .value_kind:     by_value
    .group_segment_fixed_size: 0
    .kernarg_segment_align: 8
    .kernarg_segment_size: 184
    .language:       OpenCL C
    .language_version:
      - 2
      - 0
    .max_flat_workgroup_size: 256
    .name:           _ZN7rocprim17ROCPRIM_400000_NS6detail17trampoline_kernelINS0_13select_configILj256ELj13ELNS0_17block_load_methodE3ELS4_3ELS4_3ELNS0_20block_scan_algorithmE0ELj4294967295EEENS1_25partition_config_selectorILNS1_17partition_subalgoE4EjNS0_10empty_typeEbEEZZNS1_14partition_implILS8_4ELb0ES6_15HIP_vector_typeIjLj2EENS0_17counting_iteratorIjlEEPS9_SG_NS0_5tupleIJPjSI_NS0_16reverse_iteratorISI_EEEEENSH_IJSG_SG_SG_EEES9_SI_JZNS1_25segmented_radix_sort_implINS0_14default_configELb0EPKaPaPKlPlN2at6native12_GLOBAL__N_18offset_tEEE10hipError_tPvRmT1_PNSt15iterator_traitsIS12_E10value_typeET2_T3_PNS13_IS18_E10value_typeET4_jRbjT5_S1E_jjP12ihipStream_tbEUljE_ZNSN_ISO_Lb0ESQ_SR_ST_SU_SY_EESZ_S10_S11_S12_S16_S17_S18_S1B_S1C_jS1D_jS1E_S1E_jjS1G_bEUljE0_EEESZ_S10_S11_S18_S1C_S1E_T6_T7_T9_mT8_S1G_bDpT10_ENKUlT_T0_E_clISt17integral_constantIbLb1EES1U_EEDaS1P_S1Q_EUlS1P_E_NS1_11comp_targetILNS1_3genE3ELNS1_11target_archE908ELNS1_3gpuE7ELNS1_3repE0EEENS1_30default_config_static_selectorELNS0_4arch9wavefront6targetE0EEEvS12_
    .private_segment_fixed_size: 0
    .sgpr_count:     0
    .sgpr_spill_count: 0
    .symbol:         _ZN7rocprim17ROCPRIM_400000_NS6detail17trampoline_kernelINS0_13select_configILj256ELj13ELNS0_17block_load_methodE3ELS4_3ELS4_3ELNS0_20block_scan_algorithmE0ELj4294967295EEENS1_25partition_config_selectorILNS1_17partition_subalgoE4EjNS0_10empty_typeEbEEZZNS1_14partition_implILS8_4ELb0ES6_15HIP_vector_typeIjLj2EENS0_17counting_iteratorIjlEEPS9_SG_NS0_5tupleIJPjSI_NS0_16reverse_iteratorISI_EEEEENSH_IJSG_SG_SG_EEES9_SI_JZNS1_25segmented_radix_sort_implINS0_14default_configELb0EPKaPaPKlPlN2at6native12_GLOBAL__N_18offset_tEEE10hipError_tPvRmT1_PNSt15iterator_traitsIS12_E10value_typeET2_T3_PNS13_IS18_E10value_typeET4_jRbjT5_S1E_jjP12ihipStream_tbEUljE_ZNSN_ISO_Lb0ESQ_SR_ST_SU_SY_EESZ_S10_S11_S12_S16_S17_S18_S1B_S1C_jS1D_jS1E_S1E_jjS1G_bEUljE0_EEESZ_S10_S11_S18_S1C_S1E_T6_T7_T9_mT8_S1G_bDpT10_ENKUlT_T0_E_clISt17integral_constantIbLb1EES1U_EEDaS1P_S1Q_EUlS1P_E_NS1_11comp_targetILNS1_3genE3ELNS1_11target_archE908ELNS1_3gpuE7ELNS1_3repE0EEENS1_30default_config_static_selectorELNS0_4arch9wavefront6targetE0EEEvS12_.kd
    .uniform_work_group_size: 1
    .uses_dynamic_stack: false
    .vgpr_count:     0
    .vgpr_spill_count: 0
    .wavefront_size: 32
  - .args:
      - .offset:         0
        .size:           184
        .value_kind:     by_value
    .group_segment_fixed_size: 0
    .kernarg_segment_align: 8
    .kernarg_segment_size: 184
    .language:       OpenCL C
    .language_version:
      - 2
      - 0
    .max_flat_workgroup_size: 256
    .name:           _ZN7rocprim17ROCPRIM_400000_NS6detail17trampoline_kernelINS0_13select_configILj256ELj13ELNS0_17block_load_methodE3ELS4_3ELS4_3ELNS0_20block_scan_algorithmE0ELj4294967295EEENS1_25partition_config_selectorILNS1_17partition_subalgoE4EjNS0_10empty_typeEbEEZZNS1_14partition_implILS8_4ELb0ES6_15HIP_vector_typeIjLj2EENS0_17counting_iteratorIjlEEPS9_SG_NS0_5tupleIJPjSI_NS0_16reverse_iteratorISI_EEEEENSH_IJSG_SG_SG_EEES9_SI_JZNS1_25segmented_radix_sort_implINS0_14default_configELb0EPKaPaPKlPlN2at6native12_GLOBAL__N_18offset_tEEE10hipError_tPvRmT1_PNSt15iterator_traitsIS12_E10value_typeET2_T3_PNS13_IS18_E10value_typeET4_jRbjT5_S1E_jjP12ihipStream_tbEUljE_ZNSN_ISO_Lb0ESQ_SR_ST_SU_SY_EESZ_S10_S11_S12_S16_S17_S18_S1B_S1C_jS1D_jS1E_S1E_jjS1G_bEUljE0_EEESZ_S10_S11_S18_S1C_S1E_T6_T7_T9_mT8_S1G_bDpT10_ENKUlT_T0_E_clISt17integral_constantIbLb1EES1U_EEDaS1P_S1Q_EUlS1P_E_NS1_11comp_targetILNS1_3genE2ELNS1_11target_archE906ELNS1_3gpuE6ELNS1_3repE0EEENS1_30default_config_static_selectorELNS0_4arch9wavefront6targetE0EEEvS12_
    .private_segment_fixed_size: 0
    .sgpr_count:     0
    .sgpr_spill_count: 0
    .symbol:         _ZN7rocprim17ROCPRIM_400000_NS6detail17trampoline_kernelINS0_13select_configILj256ELj13ELNS0_17block_load_methodE3ELS4_3ELS4_3ELNS0_20block_scan_algorithmE0ELj4294967295EEENS1_25partition_config_selectorILNS1_17partition_subalgoE4EjNS0_10empty_typeEbEEZZNS1_14partition_implILS8_4ELb0ES6_15HIP_vector_typeIjLj2EENS0_17counting_iteratorIjlEEPS9_SG_NS0_5tupleIJPjSI_NS0_16reverse_iteratorISI_EEEEENSH_IJSG_SG_SG_EEES9_SI_JZNS1_25segmented_radix_sort_implINS0_14default_configELb0EPKaPaPKlPlN2at6native12_GLOBAL__N_18offset_tEEE10hipError_tPvRmT1_PNSt15iterator_traitsIS12_E10value_typeET2_T3_PNS13_IS18_E10value_typeET4_jRbjT5_S1E_jjP12ihipStream_tbEUljE_ZNSN_ISO_Lb0ESQ_SR_ST_SU_SY_EESZ_S10_S11_S12_S16_S17_S18_S1B_S1C_jS1D_jS1E_S1E_jjS1G_bEUljE0_EEESZ_S10_S11_S18_S1C_S1E_T6_T7_T9_mT8_S1G_bDpT10_ENKUlT_T0_E_clISt17integral_constantIbLb1EES1U_EEDaS1P_S1Q_EUlS1P_E_NS1_11comp_targetILNS1_3genE2ELNS1_11target_archE906ELNS1_3gpuE6ELNS1_3repE0EEENS1_30default_config_static_selectorELNS0_4arch9wavefront6targetE0EEEvS12_.kd
    .uniform_work_group_size: 1
    .uses_dynamic_stack: false
    .vgpr_count:     0
    .vgpr_spill_count: 0
    .wavefront_size: 32
  - .args:
      - .offset:         0
        .size:           184
        .value_kind:     by_value
    .group_segment_fixed_size: 0
    .kernarg_segment_align: 8
    .kernarg_segment_size: 184
    .language:       OpenCL C
    .language_version:
      - 2
      - 0
    .max_flat_workgroup_size: 256
    .name:           _ZN7rocprim17ROCPRIM_400000_NS6detail17trampoline_kernelINS0_13select_configILj256ELj13ELNS0_17block_load_methodE3ELS4_3ELS4_3ELNS0_20block_scan_algorithmE0ELj4294967295EEENS1_25partition_config_selectorILNS1_17partition_subalgoE4EjNS0_10empty_typeEbEEZZNS1_14partition_implILS8_4ELb0ES6_15HIP_vector_typeIjLj2EENS0_17counting_iteratorIjlEEPS9_SG_NS0_5tupleIJPjSI_NS0_16reverse_iteratorISI_EEEEENSH_IJSG_SG_SG_EEES9_SI_JZNS1_25segmented_radix_sort_implINS0_14default_configELb0EPKaPaPKlPlN2at6native12_GLOBAL__N_18offset_tEEE10hipError_tPvRmT1_PNSt15iterator_traitsIS12_E10value_typeET2_T3_PNS13_IS18_E10value_typeET4_jRbjT5_S1E_jjP12ihipStream_tbEUljE_ZNSN_ISO_Lb0ESQ_SR_ST_SU_SY_EESZ_S10_S11_S12_S16_S17_S18_S1B_S1C_jS1D_jS1E_S1E_jjS1G_bEUljE0_EEESZ_S10_S11_S18_S1C_S1E_T6_T7_T9_mT8_S1G_bDpT10_ENKUlT_T0_E_clISt17integral_constantIbLb1EES1U_EEDaS1P_S1Q_EUlS1P_E_NS1_11comp_targetILNS1_3genE10ELNS1_11target_archE1200ELNS1_3gpuE4ELNS1_3repE0EEENS1_30default_config_static_selectorELNS0_4arch9wavefront6targetE0EEEvS12_
    .private_segment_fixed_size: 0
    .sgpr_count:     0
    .sgpr_spill_count: 0
    .symbol:         _ZN7rocprim17ROCPRIM_400000_NS6detail17trampoline_kernelINS0_13select_configILj256ELj13ELNS0_17block_load_methodE3ELS4_3ELS4_3ELNS0_20block_scan_algorithmE0ELj4294967295EEENS1_25partition_config_selectorILNS1_17partition_subalgoE4EjNS0_10empty_typeEbEEZZNS1_14partition_implILS8_4ELb0ES6_15HIP_vector_typeIjLj2EENS0_17counting_iteratorIjlEEPS9_SG_NS0_5tupleIJPjSI_NS0_16reverse_iteratorISI_EEEEENSH_IJSG_SG_SG_EEES9_SI_JZNS1_25segmented_radix_sort_implINS0_14default_configELb0EPKaPaPKlPlN2at6native12_GLOBAL__N_18offset_tEEE10hipError_tPvRmT1_PNSt15iterator_traitsIS12_E10value_typeET2_T3_PNS13_IS18_E10value_typeET4_jRbjT5_S1E_jjP12ihipStream_tbEUljE_ZNSN_ISO_Lb0ESQ_SR_ST_SU_SY_EESZ_S10_S11_S12_S16_S17_S18_S1B_S1C_jS1D_jS1E_S1E_jjS1G_bEUljE0_EEESZ_S10_S11_S18_S1C_S1E_T6_T7_T9_mT8_S1G_bDpT10_ENKUlT_T0_E_clISt17integral_constantIbLb1EES1U_EEDaS1P_S1Q_EUlS1P_E_NS1_11comp_targetILNS1_3genE10ELNS1_11target_archE1200ELNS1_3gpuE4ELNS1_3repE0EEENS1_30default_config_static_selectorELNS0_4arch9wavefront6targetE0EEEvS12_.kd
    .uniform_work_group_size: 1
    .uses_dynamic_stack: false
    .vgpr_count:     0
    .vgpr_spill_count: 0
    .wavefront_size: 32
  - .args:
      - .offset:         0
        .size:           184
        .value_kind:     by_value
    .group_segment_fixed_size: 0
    .kernarg_segment_align: 8
    .kernarg_segment_size: 184
    .language:       OpenCL C
    .language_version:
      - 2
      - 0
    .max_flat_workgroup_size: 256
    .name:           _ZN7rocprim17ROCPRIM_400000_NS6detail17trampoline_kernelINS0_13select_configILj256ELj13ELNS0_17block_load_methodE3ELS4_3ELS4_3ELNS0_20block_scan_algorithmE0ELj4294967295EEENS1_25partition_config_selectorILNS1_17partition_subalgoE4EjNS0_10empty_typeEbEEZZNS1_14partition_implILS8_4ELb0ES6_15HIP_vector_typeIjLj2EENS0_17counting_iteratorIjlEEPS9_SG_NS0_5tupleIJPjSI_NS0_16reverse_iteratorISI_EEEEENSH_IJSG_SG_SG_EEES9_SI_JZNS1_25segmented_radix_sort_implINS0_14default_configELb0EPKaPaPKlPlN2at6native12_GLOBAL__N_18offset_tEEE10hipError_tPvRmT1_PNSt15iterator_traitsIS12_E10value_typeET2_T3_PNS13_IS18_E10value_typeET4_jRbjT5_S1E_jjP12ihipStream_tbEUljE_ZNSN_ISO_Lb0ESQ_SR_ST_SU_SY_EESZ_S10_S11_S12_S16_S17_S18_S1B_S1C_jS1D_jS1E_S1E_jjS1G_bEUljE0_EEESZ_S10_S11_S18_S1C_S1E_T6_T7_T9_mT8_S1G_bDpT10_ENKUlT_T0_E_clISt17integral_constantIbLb1EES1U_EEDaS1P_S1Q_EUlS1P_E_NS1_11comp_targetILNS1_3genE9ELNS1_11target_archE1100ELNS1_3gpuE3ELNS1_3repE0EEENS1_30default_config_static_selectorELNS0_4arch9wavefront6targetE0EEEvS12_
    .private_segment_fixed_size: 0
    .sgpr_count:     0
    .sgpr_spill_count: 0
    .symbol:         _ZN7rocprim17ROCPRIM_400000_NS6detail17trampoline_kernelINS0_13select_configILj256ELj13ELNS0_17block_load_methodE3ELS4_3ELS4_3ELNS0_20block_scan_algorithmE0ELj4294967295EEENS1_25partition_config_selectorILNS1_17partition_subalgoE4EjNS0_10empty_typeEbEEZZNS1_14partition_implILS8_4ELb0ES6_15HIP_vector_typeIjLj2EENS0_17counting_iteratorIjlEEPS9_SG_NS0_5tupleIJPjSI_NS0_16reverse_iteratorISI_EEEEENSH_IJSG_SG_SG_EEES9_SI_JZNS1_25segmented_radix_sort_implINS0_14default_configELb0EPKaPaPKlPlN2at6native12_GLOBAL__N_18offset_tEEE10hipError_tPvRmT1_PNSt15iterator_traitsIS12_E10value_typeET2_T3_PNS13_IS18_E10value_typeET4_jRbjT5_S1E_jjP12ihipStream_tbEUljE_ZNSN_ISO_Lb0ESQ_SR_ST_SU_SY_EESZ_S10_S11_S12_S16_S17_S18_S1B_S1C_jS1D_jS1E_S1E_jjS1G_bEUljE0_EEESZ_S10_S11_S18_S1C_S1E_T6_T7_T9_mT8_S1G_bDpT10_ENKUlT_T0_E_clISt17integral_constantIbLb1EES1U_EEDaS1P_S1Q_EUlS1P_E_NS1_11comp_targetILNS1_3genE9ELNS1_11target_archE1100ELNS1_3gpuE3ELNS1_3repE0EEENS1_30default_config_static_selectorELNS0_4arch9wavefront6targetE0EEEvS12_.kd
    .uniform_work_group_size: 1
    .uses_dynamic_stack: false
    .vgpr_count:     0
    .vgpr_spill_count: 0
    .wavefront_size: 32
  - .args:
      - .offset:         0
        .size:           184
        .value_kind:     by_value
    .group_segment_fixed_size: 0
    .kernarg_segment_align: 8
    .kernarg_segment_size: 184
    .language:       OpenCL C
    .language_version:
      - 2
      - 0
    .max_flat_workgroup_size: 256
    .name:           _ZN7rocprim17ROCPRIM_400000_NS6detail17trampoline_kernelINS0_13select_configILj256ELj13ELNS0_17block_load_methodE3ELS4_3ELS4_3ELNS0_20block_scan_algorithmE0ELj4294967295EEENS1_25partition_config_selectorILNS1_17partition_subalgoE4EjNS0_10empty_typeEbEEZZNS1_14partition_implILS8_4ELb0ES6_15HIP_vector_typeIjLj2EENS0_17counting_iteratorIjlEEPS9_SG_NS0_5tupleIJPjSI_NS0_16reverse_iteratorISI_EEEEENSH_IJSG_SG_SG_EEES9_SI_JZNS1_25segmented_radix_sort_implINS0_14default_configELb0EPKaPaPKlPlN2at6native12_GLOBAL__N_18offset_tEEE10hipError_tPvRmT1_PNSt15iterator_traitsIS12_E10value_typeET2_T3_PNS13_IS18_E10value_typeET4_jRbjT5_S1E_jjP12ihipStream_tbEUljE_ZNSN_ISO_Lb0ESQ_SR_ST_SU_SY_EESZ_S10_S11_S12_S16_S17_S18_S1B_S1C_jS1D_jS1E_S1E_jjS1G_bEUljE0_EEESZ_S10_S11_S18_S1C_S1E_T6_T7_T9_mT8_S1G_bDpT10_ENKUlT_T0_E_clISt17integral_constantIbLb1EES1U_EEDaS1P_S1Q_EUlS1P_E_NS1_11comp_targetILNS1_3genE8ELNS1_11target_archE1030ELNS1_3gpuE2ELNS1_3repE0EEENS1_30default_config_static_selectorELNS0_4arch9wavefront6targetE0EEEvS12_
    .private_segment_fixed_size: 0
    .sgpr_count:     0
    .sgpr_spill_count: 0
    .symbol:         _ZN7rocprim17ROCPRIM_400000_NS6detail17trampoline_kernelINS0_13select_configILj256ELj13ELNS0_17block_load_methodE3ELS4_3ELS4_3ELNS0_20block_scan_algorithmE0ELj4294967295EEENS1_25partition_config_selectorILNS1_17partition_subalgoE4EjNS0_10empty_typeEbEEZZNS1_14partition_implILS8_4ELb0ES6_15HIP_vector_typeIjLj2EENS0_17counting_iteratorIjlEEPS9_SG_NS0_5tupleIJPjSI_NS0_16reverse_iteratorISI_EEEEENSH_IJSG_SG_SG_EEES9_SI_JZNS1_25segmented_radix_sort_implINS0_14default_configELb0EPKaPaPKlPlN2at6native12_GLOBAL__N_18offset_tEEE10hipError_tPvRmT1_PNSt15iterator_traitsIS12_E10value_typeET2_T3_PNS13_IS18_E10value_typeET4_jRbjT5_S1E_jjP12ihipStream_tbEUljE_ZNSN_ISO_Lb0ESQ_SR_ST_SU_SY_EESZ_S10_S11_S12_S16_S17_S18_S1B_S1C_jS1D_jS1E_S1E_jjS1G_bEUljE0_EEESZ_S10_S11_S18_S1C_S1E_T6_T7_T9_mT8_S1G_bDpT10_ENKUlT_T0_E_clISt17integral_constantIbLb1EES1U_EEDaS1P_S1Q_EUlS1P_E_NS1_11comp_targetILNS1_3genE8ELNS1_11target_archE1030ELNS1_3gpuE2ELNS1_3repE0EEENS1_30default_config_static_selectorELNS0_4arch9wavefront6targetE0EEEvS12_.kd
    .uniform_work_group_size: 1
    .uses_dynamic_stack: false
    .vgpr_count:     0
    .vgpr_spill_count: 0
    .wavefront_size: 32
  - .args:
      - .offset:         0
        .size:           176
        .value_kind:     by_value
    .group_segment_fixed_size: 0
    .kernarg_segment_align: 8
    .kernarg_segment_size: 176
    .language:       OpenCL C
    .language_version:
      - 2
      - 0
    .max_flat_workgroup_size: 256
    .name:           _ZN7rocprim17ROCPRIM_400000_NS6detail17trampoline_kernelINS0_13select_configILj256ELj13ELNS0_17block_load_methodE3ELS4_3ELS4_3ELNS0_20block_scan_algorithmE0ELj4294967295EEENS1_25partition_config_selectorILNS1_17partition_subalgoE4EjNS0_10empty_typeEbEEZZNS1_14partition_implILS8_4ELb0ES6_15HIP_vector_typeIjLj2EENS0_17counting_iteratorIjlEEPS9_SG_NS0_5tupleIJPjSI_NS0_16reverse_iteratorISI_EEEEENSH_IJSG_SG_SG_EEES9_SI_JZNS1_25segmented_radix_sort_implINS0_14default_configELb0EPKaPaPKlPlN2at6native12_GLOBAL__N_18offset_tEEE10hipError_tPvRmT1_PNSt15iterator_traitsIS12_E10value_typeET2_T3_PNS13_IS18_E10value_typeET4_jRbjT5_S1E_jjP12ihipStream_tbEUljE_ZNSN_ISO_Lb0ESQ_SR_ST_SU_SY_EESZ_S10_S11_S12_S16_S17_S18_S1B_S1C_jS1D_jS1E_S1E_jjS1G_bEUljE0_EEESZ_S10_S11_S18_S1C_S1E_T6_T7_T9_mT8_S1G_bDpT10_ENKUlT_T0_E_clISt17integral_constantIbLb1EES1T_IbLb0EEEEDaS1P_S1Q_EUlS1P_E_NS1_11comp_targetILNS1_3genE0ELNS1_11target_archE4294967295ELNS1_3gpuE0ELNS1_3repE0EEENS1_30default_config_static_selectorELNS0_4arch9wavefront6targetE0EEEvS12_
    .private_segment_fixed_size: 0
    .sgpr_count:     0
    .sgpr_spill_count: 0
    .symbol:         _ZN7rocprim17ROCPRIM_400000_NS6detail17trampoline_kernelINS0_13select_configILj256ELj13ELNS0_17block_load_methodE3ELS4_3ELS4_3ELNS0_20block_scan_algorithmE0ELj4294967295EEENS1_25partition_config_selectorILNS1_17partition_subalgoE4EjNS0_10empty_typeEbEEZZNS1_14partition_implILS8_4ELb0ES6_15HIP_vector_typeIjLj2EENS0_17counting_iteratorIjlEEPS9_SG_NS0_5tupleIJPjSI_NS0_16reverse_iteratorISI_EEEEENSH_IJSG_SG_SG_EEES9_SI_JZNS1_25segmented_radix_sort_implINS0_14default_configELb0EPKaPaPKlPlN2at6native12_GLOBAL__N_18offset_tEEE10hipError_tPvRmT1_PNSt15iterator_traitsIS12_E10value_typeET2_T3_PNS13_IS18_E10value_typeET4_jRbjT5_S1E_jjP12ihipStream_tbEUljE_ZNSN_ISO_Lb0ESQ_SR_ST_SU_SY_EESZ_S10_S11_S12_S16_S17_S18_S1B_S1C_jS1D_jS1E_S1E_jjS1G_bEUljE0_EEESZ_S10_S11_S18_S1C_S1E_T6_T7_T9_mT8_S1G_bDpT10_ENKUlT_T0_E_clISt17integral_constantIbLb1EES1T_IbLb0EEEEDaS1P_S1Q_EUlS1P_E_NS1_11comp_targetILNS1_3genE0ELNS1_11target_archE4294967295ELNS1_3gpuE0ELNS1_3repE0EEENS1_30default_config_static_selectorELNS0_4arch9wavefront6targetE0EEEvS12_.kd
    .uniform_work_group_size: 1
    .uses_dynamic_stack: false
    .vgpr_count:     0
    .vgpr_spill_count: 0
    .wavefront_size: 32
  - .args:
      - .offset:         0
        .size:           176
        .value_kind:     by_value
    .group_segment_fixed_size: 0
    .kernarg_segment_align: 8
    .kernarg_segment_size: 176
    .language:       OpenCL C
    .language_version:
      - 2
      - 0
    .max_flat_workgroup_size: 256
    .name:           _ZN7rocprim17ROCPRIM_400000_NS6detail17trampoline_kernelINS0_13select_configILj256ELj13ELNS0_17block_load_methodE3ELS4_3ELS4_3ELNS0_20block_scan_algorithmE0ELj4294967295EEENS1_25partition_config_selectorILNS1_17partition_subalgoE4EjNS0_10empty_typeEbEEZZNS1_14partition_implILS8_4ELb0ES6_15HIP_vector_typeIjLj2EENS0_17counting_iteratorIjlEEPS9_SG_NS0_5tupleIJPjSI_NS0_16reverse_iteratorISI_EEEEENSH_IJSG_SG_SG_EEES9_SI_JZNS1_25segmented_radix_sort_implINS0_14default_configELb0EPKaPaPKlPlN2at6native12_GLOBAL__N_18offset_tEEE10hipError_tPvRmT1_PNSt15iterator_traitsIS12_E10value_typeET2_T3_PNS13_IS18_E10value_typeET4_jRbjT5_S1E_jjP12ihipStream_tbEUljE_ZNSN_ISO_Lb0ESQ_SR_ST_SU_SY_EESZ_S10_S11_S12_S16_S17_S18_S1B_S1C_jS1D_jS1E_S1E_jjS1G_bEUljE0_EEESZ_S10_S11_S18_S1C_S1E_T6_T7_T9_mT8_S1G_bDpT10_ENKUlT_T0_E_clISt17integral_constantIbLb1EES1T_IbLb0EEEEDaS1P_S1Q_EUlS1P_E_NS1_11comp_targetILNS1_3genE5ELNS1_11target_archE942ELNS1_3gpuE9ELNS1_3repE0EEENS1_30default_config_static_selectorELNS0_4arch9wavefront6targetE0EEEvS12_
    .private_segment_fixed_size: 0
    .sgpr_count:     0
    .sgpr_spill_count: 0
    .symbol:         _ZN7rocprim17ROCPRIM_400000_NS6detail17trampoline_kernelINS0_13select_configILj256ELj13ELNS0_17block_load_methodE3ELS4_3ELS4_3ELNS0_20block_scan_algorithmE0ELj4294967295EEENS1_25partition_config_selectorILNS1_17partition_subalgoE4EjNS0_10empty_typeEbEEZZNS1_14partition_implILS8_4ELb0ES6_15HIP_vector_typeIjLj2EENS0_17counting_iteratorIjlEEPS9_SG_NS0_5tupleIJPjSI_NS0_16reverse_iteratorISI_EEEEENSH_IJSG_SG_SG_EEES9_SI_JZNS1_25segmented_radix_sort_implINS0_14default_configELb0EPKaPaPKlPlN2at6native12_GLOBAL__N_18offset_tEEE10hipError_tPvRmT1_PNSt15iterator_traitsIS12_E10value_typeET2_T3_PNS13_IS18_E10value_typeET4_jRbjT5_S1E_jjP12ihipStream_tbEUljE_ZNSN_ISO_Lb0ESQ_SR_ST_SU_SY_EESZ_S10_S11_S12_S16_S17_S18_S1B_S1C_jS1D_jS1E_S1E_jjS1G_bEUljE0_EEESZ_S10_S11_S18_S1C_S1E_T6_T7_T9_mT8_S1G_bDpT10_ENKUlT_T0_E_clISt17integral_constantIbLb1EES1T_IbLb0EEEEDaS1P_S1Q_EUlS1P_E_NS1_11comp_targetILNS1_3genE5ELNS1_11target_archE942ELNS1_3gpuE9ELNS1_3repE0EEENS1_30default_config_static_selectorELNS0_4arch9wavefront6targetE0EEEvS12_.kd
    .uniform_work_group_size: 1
    .uses_dynamic_stack: false
    .vgpr_count:     0
    .vgpr_spill_count: 0
    .wavefront_size: 32
  - .args:
      - .offset:         0
        .size:           176
        .value_kind:     by_value
    .group_segment_fixed_size: 0
    .kernarg_segment_align: 8
    .kernarg_segment_size: 176
    .language:       OpenCL C
    .language_version:
      - 2
      - 0
    .max_flat_workgroup_size: 256
    .name:           _ZN7rocprim17ROCPRIM_400000_NS6detail17trampoline_kernelINS0_13select_configILj256ELj13ELNS0_17block_load_methodE3ELS4_3ELS4_3ELNS0_20block_scan_algorithmE0ELj4294967295EEENS1_25partition_config_selectorILNS1_17partition_subalgoE4EjNS0_10empty_typeEbEEZZNS1_14partition_implILS8_4ELb0ES6_15HIP_vector_typeIjLj2EENS0_17counting_iteratorIjlEEPS9_SG_NS0_5tupleIJPjSI_NS0_16reverse_iteratorISI_EEEEENSH_IJSG_SG_SG_EEES9_SI_JZNS1_25segmented_radix_sort_implINS0_14default_configELb0EPKaPaPKlPlN2at6native12_GLOBAL__N_18offset_tEEE10hipError_tPvRmT1_PNSt15iterator_traitsIS12_E10value_typeET2_T3_PNS13_IS18_E10value_typeET4_jRbjT5_S1E_jjP12ihipStream_tbEUljE_ZNSN_ISO_Lb0ESQ_SR_ST_SU_SY_EESZ_S10_S11_S12_S16_S17_S18_S1B_S1C_jS1D_jS1E_S1E_jjS1G_bEUljE0_EEESZ_S10_S11_S18_S1C_S1E_T6_T7_T9_mT8_S1G_bDpT10_ENKUlT_T0_E_clISt17integral_constantIbLb1EES1T_IbLb0EEEEDaS1P_S1Q_EUlS1P_E_NS1_11comp_targetILNS1_3genE4ELNS1_11target_archE910ELNS1_3gpuE8ELNS1_3repE0EEENS1_30default_config_static_selectorELNS0_4arch9wavefront6targetE0EEEvS12_
    .private_segment_fixed_size: 0
    .sgpr_count:     0
    .sgpr_spill_count: 0
    .symbol:         _ZN7rocprim17ROCPRIM_400000_NS6detail17trampoline_kernelINS0_13select_configILj256ELj13ELNS0_17block_load_methodE3ELS4_3ELS4_3ELNS0_20block_scan_algorithmE0ELj4294967295EEENS1_25partition_config_selectorILNS1_17partition_subalgoE4EjNS0_10empty_typeEbEEZZNS1_14partition_implILS8_4ELb0ES6_15HIP_vector_typeIjLj2EENS0_17counting_iteratorIjlEEPS9_SG_NS0_5tupleIJPjSI_NS0_16reverse_iteratorISI_EEEEENSH_IJSG_SG_SG_EEES9_SI_JZNS1_25segmented_radix_sort_implINS0_14default_configELb0EPKaPaPKlPlN2at6native12_GLOBAL__N_18offset_tEEE10hipError_tPvRmT1_PNSt15iterator_traitsIS12_E10value_typeET2_T3_PNS13_IS18_E10value_typeET4_jRbjT5_S1E_jjP12ihipStream_tbEUljE_ZNSN_ISO_Lb0ESQ_SR_ST_SU_SY_EESZ_S10_S11_S12_S16_S17_S18_S1B_S1C_jS1D_jS1E_S1E_jjS1G_bEUljE0_EEESZ_S10_S11_S18_S1C_S1E_T6_T7_T9_mT8_S1G_bDpT10_ENKUlT_T0_E_clISt17integral_constantIbLb1EES1T_IbLb0EEEEDaS1P_S1Q_EUlS1P_E_NS1_11comp_targetILNS1_3genE4ELNS1_11target_archE910ELNS1_3gpuE8ELNS1_3repE0EEENS1_30default_config_static_selectorELNS0_4arch9wavefront6targetE0EEEvS12_.kd
    .uniform_work_group_size: 1
    .uses_dynamic_stack: false
    .vgpr_count:     0
    .vgpr_spill_count: 0
    .wavefront_size: 32
  - .args:
      - .offset:         0
        .size:           176
        .value_kind:     by_value
    .group_segment_fixed_size: 0
    .kernarg_segment_align: 8
    .kernarg_segment_size: 176
    .language:       OpenCL C
    .language_version:
      - 2
      - 0
    .max_flat_workgroup_size: 256
    .name:           _ZN7rocprim17ROCPRIM_400000_NS6detail17trampoline_kernelINS0_13select_configILj256ELj13ELNS0_17block_load_methodE3ELS4_3ELS4_3ELNS0_20block_scan_algorithmE0ELj4294967295EEENS1_25partition_config_selectorILNS1_17partition_subalgoE4EjNS0_10empty_typeEbEEZZNS1_14partition_implILS8_4ELb0ES6_15HIP_vector_typeIjLj2EENS0_17counting_iteratorIjlEEPS9_SG_NS0_5tupleIJPjSI_NS0_16reverse_iteratorISI_EEEEENSH_IJSG_SG_SG_EEES9_SI_JZNS1_25segmented_radix_sort_implINS0_14default_configELb0EPKaPaPKlPlN2at6native12_GLOBAL__N_18offset_tEEE10hipError_tPvRmT1_PNSt15iterator_traitsIS12_E10value_typeET2_T3_PNS13_IS18_E10value_typeET4_jRbjT5_S1E_jjP12ihipStream_tbEUljE_ZNSN_ISO_Lb0ESQ_SR_ST_SU_SY_EESZ_S10_S11_S12_S16_S17_S18_S1B_S1C_jS1D_jS1E_S1E_jjS1G_bEUljE0_EEESZ_S10_S11_S18_S1C_S1E_T6_T7_T9_mT8_S1G_bDpT10_ENKUlT_T0_E_clISt17integral_constantIbLb1EES1T_IbLb0EEEEDaS1P_S1Q_EUlS1P_E_NS1_11comp_targetILNS1_3genE3ELNS1_11target_archE908ELNS1_3gpuE7ELNS1_3repE0EEENS1_30default_config_static_selectorELNS0_4arch9wavefront6targetE0EEEvS12_
    .private_segment_fixed_size: 0
    .sgpr_count:     0
    .sgpr_spill_count: 0
    .symbol:         _ZN7rocprim17ROCPRIM_400000_NS6detail17trampoline_kernelINS0_13select_configILj256ELj13ELNS0_17block_load_methodE3ELS4_3ELS4_3ELNS0_20block_scan_algorithmE0ELj4294967295EEENS1_25partition_config_selectorILNS1_17partition_subalgoE4EjNS0_10empty_typeEbEEZZNS1_14partition_implILS8_4ELb0ES6_15HIP_vector_typeIjLj2EENS0_17counting_iteratorIjlEEPS9_SG_NS0_5tupleIJPjSI_NS0_16reverse_iteratorISI_EEEEENSH_IJSG_SG_SG_EEES9_SI_JZNS1_25segmented_radix_sort_implINS0_14default_configELb0EPKaPaPKlPlN2at6native12_GLOBAL__N_18offset_tEEE10hipError_tPvRmT1_PNSt15iterator_traitsIS12_E10value_typeET2_T3_PNS13_IS18_E10value_typeET4_jRbjT5_S1E_jjP12ihipStream_tbEUljE_ZNSN_ISO_Lb0ESQ_SR_ST_SU_SY_EESZ_S10_S11_S12_S16_S17_S18_S1B_S1C_jS1D_jS1E_S1E_jjS1G_bEUljE0_EEESZ_S10_S11_S18_S1C_S1E_T6_T7_T9_mT8_S1G_bDpT10_ENKUlT_T0_E_clISt17integral_constantIbLb1EES1T_IbLb0EEEEDaS1P_S1Q_EUlS1P_E_NS1_11comp_targetILNS1_3genE3ELNS1_11target_archE908ELNS1_3gpuE7ELNS1_3repE0EEENS1_30default_config_static_selectorELNS0_4arch9wavefront6targetE0EEEvS12_.kd
    .uniform_work_group_size: 1
    .uses_dynamic_stack: false
    .vgpr_count:     0
    .vgpr_spill_count: 0
    .wavefront_size: 32
  - .args:
      - .offset:         0
        .size:           176
        .value_kind:     by_value
    .group_segment_fixed_size: 0
    .kernarg_segment_align: 8
    .kernarg_segment_size: 176
    .language:       OpenCL C
    .language_version:
      - 2
      - 0
    .max_flat_workgroup_size: 256
    .name:           _ZN7rocprim17ROCPRIM_400000_NS6detail17trampoline_kernelINS0_13select_configILj256ELj13ELNS0_17block_load_methodE3ELS4_3ELS4_3ELNS0_20block_scan_algorithmE0ELj4294967295EEENS1_25partition_config_selectorILNS1_17partition_subalgoE4EjNS0_10empty_typeEbEEZZNS1_14partition_implILS8_4ELb0ES6_15HIP_vector_typeIjLj2EENS0_17counting_iteratorIjlEEPS9_SG_NS0_5tupleIJPjSI_NS0_16reverse_iteratorISI_EEEEENSH_IJSG_SG_SG_EEES9_SI_JZNS1_25segmented_radix_sort_implINS0_14default_configELb0EPKaPaPKlPlN2at6native12_GLOBAL__N_18offset_tEEE10hipError_tPvRmT1_PNSt15iterator_traitsIS12_E10value_typeET2_T3_PNS13_IS18_E10value_typeET4_jRbjT5_S1E_jjP12ihipStream_tbEUljE_ZNSN_ISO_Lb0ESQ_SR_ST_SU_SY_EESZ_S10_S11_S12_S16_S17_S18_S1B_S1C_jS1D_jS1E_S1E_jjS1G_bEUljE0_EEESZ_S10_S11_S18_S1C_S1E_T6_T7_T9_mT8_S1G_bDpT10_ENKUlT_T0_E_clISt17integral_constantIbLb1EES1T_IbLb0EEEEDaS1P_S1Q_EUlS1P_E_NS1_11comp_targetILNS1_3genE2ELNS1_11target_archE906ELNS1_3gpuE6ELNS1_3repE0EEENS1_30default_config_static_selectorELNS0_4arch9wavefront6targetE0EEEvS12_
    .private_segment_fixed_size: 0
    .sgpr_count:     0
    .sgpr_spill_count: 0
    .symbol:         _ZN7rocprim17ROCPRIM_400000_NS6detail17trampoline_kernelINS0_13select_configILj256ELj13ELNS0_17block_load_methodE3ELS4_3ELS4_3ELNS0_20block_scan_algorithmE0ELj4294967295EEENS1_25partition_config_selectorILNS1_17partition_subalgoE4EjNS0_10empty_typeEbEEZZNS1_14partition_implILS8_4ELb0ES6_15HIP_vector_typeIjLj2EENS0_17counting_iteratorIjlEEPS9_SG_NS0_5tupleIJPjSI_NS0_16reverse_iteratorISI_EEEEENSH_IJSG_SG_SG_EEES9_SI_JZNS1_25segmented_radix_sort_implINS0_14default_configELb0EPKaPaPKlPlN2at6native12_GLOBAL__N_18offset_tEEE10hipError_tPvRmT1_PNSt15iterator_traitsIS12_E10value_typeET2_T3_PNS13_IS18_E10value_typeET4_jRbjT5_S1E_jjP12ihipStream_tbEUljE_ZNSN_ISO_Lb0ESQ_SR_ST_SU_SY_EESZ_S10_S11_S12_S16_S17_S18_S1B_S1C_jS1D_jS1E_S1E_jjS1G_bEUljE0_EEESZ_S10_S11_S18_S1C_S1E_T6_T7_T9_mT8_S1G_bDpT10_ENKUlT_T0_E_clISt17integral_constantIbLb1EES1T_IbLb0EEEEDaS1P_S1Q_EUlS1P_E_NS1_11comp_targetILNS1_3genE2ELNS1_11target_archE906ELNS1_3gpuE6ELNS1_3repE0EEENS1_30default_config_static_selectorELNS0_4arch9wavefront6targetE0EEEvS12_.kd
    .uniform_work_group_size: 1
    .uses_dynamic_stack: false
    .vgpr_count:     0
    .vgpr_spill_count: 0
    .wavefront_size: 32
  - .args:
      - .offset:         0
        .size:           176
        .value_kind:     by_value
    .group_segment_fixed_size: 0
    .kernarg_segment_align: 8
    .kernarg_segment_size: 176
    .language:       OpenCL C
    .language_version:
      - 2
      - 0
    .max_flat_workgroup_size: 256
    .name:           _ZN7rocprim17ROCPRIM_400000_NS6detail17trampoline_kernelINS0_13select_configILj256ELj13ELNS0_17block_load_methodE3ELS4_3ELS4_3ELNS0_20block_scan_algorithmE0ELj4294967295EEENS1_25partition_config_selectorILNS1_17partition_subalgoE4EjNS0_10empty_typeEbEEZZNS1_14partition_implILS8_4ELb0ES6_15HIP_vector_typeIjLj2EENS0_17counting_iteratorIjlEEPS9_SG_NS0_5tupleIJPjSI_NS0_16reverse_iteratorISI_EEEEENSH_IJSG_SG_SG_EEES9_SI_JZNS1_25segmented_radix_sort_implINS0_14default_configELb0EPKaPaPKlPlN2at6native12_GLOBAL__N_18offset_tEEE10hipError_tPvRmT1_PNSt15iterator_traitsIS12_E10value_typeET2_T3_PNS13_IS18_E10value_typeET4_jRbjT5_S1E_jjP12ihipStream_tbEUljE_ZNSN_ISO_Lb0ESQ_SR_ST_SU_SY_EESZ_S10_S11_S12_S16_S17_S18_S1B_S1C_jS1D_jS1E_S1E_jjS1G_bEUljE0_EEESZ_S10_S11_S18_S1C_S1E_T6_T7_T9_mT8_S1G_bDpT10_ENKUlT_T0_E_clISt17integral_constantIbLb1EES1T_IbLb0EEEEDaS1P_S1Q_EUlS1P_E_NS1_11comp_targetILNS1_3genE10ELNS1_11target_archE1200ELNS1_3gpuE4ELNS1_3repE0EEENS1_30default_config_static_selectorELNS0_4arch9wavefront6targetE0EEEvS12_
    .private_segment_fixed_size: 0
    .sgpr_count:     0
    .sgpr_spill_count: 0
    .symbol:         _ZN7rocprim17ROCPRIM_400000_NS6detail17trampoline_kernelINS0_13select_configILj256ELj13ELNS0_17block_load_methodE3ELS4_3ELS4_3ELNS0_20block_scan_algorithmE0ELj4294967295EEENS1_25partition_config_selectorILNS1_17partition_subalgoE4EjNS0_10empty_typeEbEEZZNS1_14partition_implILS8_4ELb0ES6_15HIP_vector_typeIjLj2EENS0_17counting_iteratorIjlEEPS9_SG_NS0_5tupleIJPjSI_NS0_16reverse_iteratorISI_EEEEENSH_IJSG_SG_SG_EEES9_SI_JZNS1_25segmented_radix_sort_implINS0_14default_configELb0EPKaPaPKlPlN2at6native12_GLOBAL__N_18offset_tEEE10hipError_tPvRmT1_PNSt15iterator_traitsIS12_E10value_typeET2_T3_PNS13_IS18_E10value_typeET4_jRbjT5_S1E_jjP12ihipStream_tbEUljE_ZNSN_ISO_Lb0ESQ_SR_ST_SU_SY_EESZ_S10_S11_S12_S16_S17_S18_S1B_S1C_jS1D_jS1E_S1E_jjS1G_bEUljE0_EEESZ_S10_S11_S18_S1C_S1E_T6_T7_T9_mT8_S1G_bDpT10_ENKUlT_T0_E_clISt17integral_constantIbLb1EES1T_IbLb0EEEEDaS1P_S1Q_EUlS1P_E_NS1_11comp_targetILNS1_3genE10ELNS1_11target_archE1200ELNS1_3gpuE4ELNS1_3repE0EEENS1_30default_config_static_selectorELNS0_4arch9wavefront6targetE0EEEvS12_.kd
    .uniform_work_group_size: 1
    .uses_dynamic_stack: false
    .vgpr_count:     0
    .vgpr_spill_count: 0
    .wavefront_size: 32
  - .args:
      - .offset:         0
        .size:           176
        .value_kind:     by_value
    .group_segment_fixed_size: 0
    .kernarg_segment_align: 8
    .kernarg_segment_size: 176
    .language:       OpenCL C
    .language_version:
      - 2
      - 0
    .max_flat_workgroup_size: 256
    .name:           _ZN7rocprim17ROCPRIM_400000_NS6detail17trampoline_kernelINS0_13select_configILj256ELj13ELNS0_17block_load_methodE3ELS4_3ELS4_3ELNS0_20block_scan_algorithmE0ELj4294967295EEENS1_25partition_config_selectorILNS1_17partition_subalgoE4EjNS0_10empty_typeEbEEZZNS1_14partition_implILS8_4ELb0ES6_15HIP_vector_typeIjLj2EENS0_17counting_iteratorIjlEEPS9_SG_NS0_5tupleIJPjSI_NS0_16reverse_iteratorISI_EEEEENSH_IJSG_SG_SG_EEES9_SI_JZNS1_25segmented_radix_sort_implINS0_14default_configELb0EPKaPaPKlPlN2at6native12_GLOBAL__N_18offset_tEEE10hipError_tPvRmT1_PNSt15iterator_traitsIS12_E10value_typeET2_T3_PNS13_IS18_E10value_typeET4_jRbjT5_S1E_jjP12ihipStream_tbEUljE_ZNSN_ISO_Lb0ESQ_SR_ST_SU_SY_EESZ_S10_S11_S12_S16_S17_S18_S1B_S1C_jS1D_jS1E_S1E_jjS1G_bEUljE0_EEESZ_S10_S11_S18_S1C_S1E_T6_T7_T9_mT8_S1G_bDpT10_ENKUlT_T0_E_clISt17integral_constantIbLb1EES1T_IbLb0EEEEDaS1P_S1Q_EUlS1P_E_NS1_11comp_targetILNS1_3genE9ELNS1_11target_archE1100ELNS1_3gpuE3ELNS1_3repE0EEENS1_30default_config_static_selectorELNS0_4arch9wavefront6targetE0EEEvS12_
    .private_segment_fixed_size: 0
    .sgpr_count:     0
    .sgpr_spill_count: 0
    .symbol:         _ZN7rocprim17ROCPRIM_400000_NS6detail17trampoline_kernelINS0_13select_configILj256ELj13ELNS0_17block_load_methodE3ELS4_3ELS4_3ELNS0_20block_scan_algorithmE0ELj4294967295EEENS1_25partition_config_selectorILNS1_17partition_subalgoE4EjNS0_10empty_typeEbEEZZNS1_14partition_implILS8_4ELb0ES6_15HIP_vector_typeIjLj2EENS0_17counting_iteratorIjlEEPS9_SG_NS0_5tupleIJPjSI_NS0_16reverse_iteratorISI_EEEEENSH_IJSG_SG_SG_EEES9_SI_JZNS1_25segmented_radix_sort_implINS0_14default_configELb0EPKaPaPKlPlN2at6native12_GLOBAL__N_18offset_tEEE10hipError_tPvRmT1_PNSt15iterator_traitsIS12_E10value_typeET2_T3_PNS13_IS18_E10value_typeET4_jRbjT5_S1E_jjP12ihipStream_tbEUljE_ZNSN_ISO_Lb0ESQ_SR_ST_SU_SY_EESZ_S10_S11_S12_S16_S17_S18_S1B_S1C_jS1D_jS1E_S1E_jjS1G_bEUljE0_EEESZ_S10_S11_S18_S1C_S1E_T6_T7_T9_mT8_S1G_bDpT10_ENKUlT_T0_E_clISt17integral_constantIbLb1EES1T_IbLb0EEEEDaS1P_S1Q_EUlS1P_E_NS1_11comp_targetILNS1_3genE9ELNS1_11target_archE1100ELNS1_3gpuE3ELNS1_3repE0EEENS1_30default_config_static_selectorELNS0_4arch9wavefront6targetE0EEEvS12_.kd
    .uniform_work_group_size: 1
    .uses_dynamic_stack: false
    .vgpr_count:     0
    .vgpr_spill_count: 0
    .wavefront_size: 32
  - .args:
      - .offset:         0
        .size:           176
        .value_kind:     by_value
    .group_segment_fixed_size: 0
    .kernarg_segment_align: 8
    .kernarg_segment_size: 176
    .language:       OpenCL C
    .language_version:
      - 2
      - 0
    .max_flat_workgroup_size: 256
    .name:           _ZN7rocprim17ROCPRIM_400000_NS6detail17trampoline_kernelINS0_13select_configILj256ELj13ELNS0_17block_load_methodE3ELS4_3ELS4_3ELNS0_20block_scan_algorithmE0ELj4294967295EEENS1_25partition_config_selectorILNS1_17partition_subalgoE4EjNS0_10empty_typeEbEEZZNS1_14partition_implILS8_4ELb0ES6_15HIP_vector_typeIjLj2EENS0_17counting_iteratorIjlEEPS9_SG_NS0_5tupleIJPjSI_NS0_16reverse_iteratorISI_EEEEENSH_IJSG_SG_SG_EEES9_SI_JZNS1_25segmented_radix_sort_implINS0_14default_configELb0EPKaPaPKlPlN2at6native12_GLOBAL__N_18offset_tEEE10hipError_tPvRmT1_PNSt15iterator_traitsIS12_E10value_typeET2_T3_PNS13_IS18_E10value_typeET4_jRbjT5_S1E_jjP12ihipStream_tbEUljE_ZNSN_ISO_Lb0ESQ_SR_ST_SU_SY_EESZ_S10_S11_S12_S16_S17_S18_S1B_S1C_jS1D_jS1E_S1E_jjS1G_bEUljE0_EEESZ_S10_S11_S18_S1C_S1E_T6_T7_T9_mT8_S1G_bDpT10_ENKUlT_T0_E_clISt17integral_constantIbLb1EES1T_IbLb0EEEEDaS1P_S1Q_EUlS1P_E_NS1_11comp_targetILNS1_3genE8ELNS1_11target_archE1030ELNS1_3gpuE2ELNS1_3repE0EEENS1_30default_config_static_selectorELNS0_4arch9wavefront6targetE0EEEvS12_
    .private_segment_fixed_size: 0
    .sgpr_count:     0
    .sgpr_spill_count: 0
    .symbol:         _ZN7rocprim17ROCPRIM_400000_NS6detail17trampoline_kernelINS0_13select_configILj256ELj13ELNS0_17block_load_methodE3ELS4_3ELS4_3ELNS0_20block_scan_algorithmE0ELj4294967295EEENS1_25partition_config_selectorILNS1_17partition_subalgoE4EjNS0_10empty_typeEbEEZZNS1_14partition_implILS8_4ELb0ES6_15HIP_vector_typeIjLj2EENS0_17counting_iteratorIjlEEPS9_SG_NS0_5tupleIJPjSI_NS0_16reverse_iteratorISI_EEEEENSH_IJSG_SG_SG_EEES9_SI_JZNS1_25segmented_radix_sort_implINS0_14default_configELb0EPKaPaPKlPlN2at6native12_GLOBAL__N_18offset_tEEE10hipError_tPvRmT1_PNSt15iterator_traitsIS12_E10value_typeET2_T3_PNS13_IS18_E10value_typeET4_jRbjT5_S1E_jjP12ihipStream_tbEUljE_ZNSN_ISO_Lb0ESQ_SR_ST_SU_SY_EESZ_S10_S11_S12_S16_S17_S18_S1B_S1C_jS1D_jS1E_S1E_jjS1G_bEUljE0_EEESZ_S10_S11_S18_S1C_S1E_T6_T7_T9_mT8_S1G_bDpT10_ENKUlT_T0_E_clISt17integral_constantIbLb1EES1T_IbLb0EEEEDaS1P_S1Q_EUlS1P_E_NS1_11comp_targetILNS1_3genE8ELNS1_11target_archE1030ELNS1_3gpuE2ELNS1_3repE0EEENS1_30default_config_static_selectorELNS0_4arch9wavefront6targetE0EEEvS12_.kd
    .uniform_work_group_size: 1
    .uses_dynamic_stack: false
    .vgpr_count:     0
    .vgpr_spill_count: 0
    .wavefront_size: 32
  - .args:
      - .offset:         0
        .size:           184
        .value_kind:     by_value
    .group_segment_fixed_size: 13328
    .kernarg_segment_align: 8
    .kernarg_segment_size: 184
    .language:       OpenCL C
    .language_version:
      - 2
      - 0
    .max_flat_workgroup_size: 256
    .name:           _ZN7rocprim17ROCPRIM_400000_NS6detail17trampoline_kernelINS0_13select_configILj256ELj13ELNS0_17block_load_methodE3ELS4_3ELS4_3ELNS0_20block_scan_algorithmE0ELj4294967295EEENS1_25partition_config_selectorILNS1_17partition_subalgoE4EjNS0_10empty_typeEbEEZZNS1_14partition_implILS8_4ELb0ES6_15HIP_vector_typeIjLj2EENS0_17counting_iteratorIjlEEPS9_SG_NS0_5tupleIJPjSI_NS0_16reverse_iteratorISI_EEEEENSH_IJSG_SG_SG_EEES9_SI_JZNS1_25segmented_radix_sort_implINS0_14default_configELb0EPKaPaPKlPlN2at6native12_GLOBAL__N_18offset_tEEE10hipError_tPvRmT1_PNSt15iterator_traitsIS12_E10value_typeET2_T3_PNS13_IS18_E10value_typeET4_jRbjT5_S1E_jjP12ihipStream_tbEUljE_ZNSN_ISO_Lb0ESQ_SR_ST_SU_SY_EESZ_S10_S11_S12_S16_S17_S18_S1B_S1C_jS1D_jS1E_S1E_jjS1G_bEUljE0_EEESZ_S10_S11_S18_S1C_S1E_T6_T7_T9_mT8_S1G_bDpT10_ENKUlT_T0_E_clISt17integral_constantIbLb0EES1T_IbLb1EEEEDaS1P_S1Q_EUlS1P_E_NS1_11comp_targetILNS1_3genE0ELNS1_11target_archE4294967295ELNS1_3gpuE0ELNS1_3repE0EEENS1_30default_config_static_selectorELNS0_4arch9wavefront6targetE0EEEvS12_
    .private_segment_fixed_size: 0
    .sgpr_count:     57
    .sgpr_spill_count: 0
    .symbol:         _ZN7rocprim17ROCPRIM_400000_NS6detail17trampoline_kernelINS0_13select_configILj256ELj13ELNS0_17block_load_methodE3ELS4_3ELS4_3ELNS0_20block_scan_algorithmE0ELj4294967295EEENS1_25partition_config_selectorILNS1_17partition_subalgoE4EjNS0_10empty_typeEbEEZZNS1_14partition_implILS8_4ELb0ES6_15HIP_vector_typeIjLj2EENS0_17counting_iteratorIjlEEPS9_SG_NS0_5tupleIJPjSI_NS0_16reverse_iteratorISI_EEEEENSH_IJSG_SG_SG_EEES9_SI_JZNS1_25segmented_radix_sort_implINS0_14default_configELb0EPKaPaPKlPlN2at6native12_GLOBAL__N_18offset_tEEE10hipError_tPvRmT1_PNSt15iterator_traitsIS12_E10value_typeET2_T3_PNS13_IS18_E10value_typeET4_jRbjT5_S1E_jjP12ihipStream_tbEUljE_ZNSN_ISO_Lb0ESQ_SR_ST_SU_SY_EESZ_S10_S11_S12_S16_S17_S18_S1B_S1C_jS1D_jS1E_S1E_jjS1G_bEUljE0_EEESZ_S10_S11_S18_S1C_S1E_T6_T7_T9_mT8_S1G_bDpT10_ENKUlT_T0_E_clISt17integral_constantIbLb0EES1T_IbLb1EEEEDaS1P_S1Q_EUlS1P_E_NS1_11comp_targetILNS1_3genE0ELNS1_11target_archE4294967295ELNS1_3gpuE0ELNS1_3repE0EEENS1_30default_config_static_selectorELNS0_4arch9wavefront6targetE0EEEvS12_.kd
    .uniform_work_group_size: 1
    .uses_dynamic_stack: false
    .vgpr_count:     86
    .vgpr_spill_count: 0
    .wavefront_size: 32
  - .args:
      - .offset:         0
        .size:           184
        .value_kind:     by_value
    .group_segment_fixed_size: 0
    .kernarg_segment_align: 8
    .kernarg_segment_size: 184
    .language:       OpenCL C
    .language_version:
      - 2
      - 0
    .max_flat_workgroup_size: 256
    .name:           _ZN7rocprim17ROCPRIM_400000_NS6detail17trampoline_kernelINS0_13select_configILj256ELj13ELNS0_17block_load_methodE3ELS4_3ELS4_3ELNS0_20block_scan_algorithmE0ELj4294967295EEENS1_25partition_config_selectorILNS1_17partition_subalgoE4EjNS0_10empty_typeEbEEZZNS1_14partition_implILS8_4ELb0ES6_15HIP_vector_typeIjLj2EENS0_17counting_iteratorIjlEEPS9_SG_NS0_5tupleIJPjSI_NS0_16reverse_iteratorISI_EEEEENSH_IJSG_SG_SG_EEES9_SI_JZNS1_25segmented_radix_sort_implINS0_14default_configELb0EPKaPaPKlPlN2at6native12_GLOBAL__N_18offset_tEEE10hipError_tPvRmT1_PNSt15iterator_traitsIS12_E10value_typeET2_T3_PNS13_IS18_E10value_typeET4_jRbjT5_S1E_jjP12ihipStream_tbEUljE_ZNSN_ISO_Lb0ESQ_SR_ST_SU_SY_EESZ_S10_S11_S12_S16_S17_S18_S1B_S1C_jS1D_jS1E_S1E_jjS1G_bEUljE0_EEESZ_S10_S11_S18_S1C_S1E_T6_T7_T9_mT8_S1G_bDpT10_ENKUlT_T0_E_clISt17integral_constantIbLb0EES1T_IbLb1EEEEDaS1P_S1Q_EUlS1P_E_NS1_11comp_targetILNS1_3genE5ELNS1_11target_archE942ELNS1_3gpuE9ELNS1_3repE0EEENS1_30default_config_static_selectorELNS0_4arch9wavefront6targetE0EEEvS12_
    .private_segment_fixed_size: 0
    .sgpr_count:     0
    .sgpr_spill_count: 0
    .symbol:         _ZN7rocprim17ROCPRIM_400000_NS6detail17trampoline_kernelINS0_13select_configILj256ELj13ELNS0_17block_load_methodE3ELS4_3ELS4_3ELNS0_20block_scan_algorithmE0ELj4294967295EEENS1_25partition_config_selectorILNS1_17partition_subalgoE4EjNS0_10empty_typeEbEEZZNS1_14partition_implILS8_4ELb0ES6_15HIP_vector_typeIjLj2EENS0_17counting_iteratorIjlEEPS9_SG_NS0_5tupleIJPjSI_NS0_16reverse_iteratorISI_EEEEENSH_IJSG_SG_SG_EEES9_SI_JZNS1_25segmented_radix_sort_implINS0_14default_configELb0EPKaPaPKlPlN2at6native12_GLOBAL__N_18offset_tEEE10hipError_tPvRmT1_PNSt15iterator_traitsIS12_E10value_typeET2_T3_PNS13_IS18_E10value_typeET4_jRbjT5_S1E_jjP12ihipStream_tbEUljE_ZNSN_ISO_Lb0ESQ_SR_ST_SU_SY_EESZ_S10_S11_S12_S16_S17_S18_S1B_S1C_jS1D_jS1E_S1E_jjS1G_bEUljE0_EEESZ_S10_S11_S18_S1C_S1E_T6_T7_T9_mT8_S1G_bDpT10_ENKUlT_T0_E_clISt17integral_constantIbLb0EES1T_IbLb1EEEEDaS1P_S1Q_EUlS1P_E_NS1_11comp_targetILNS1_3genE5ELNS1_11target_archE942ELNS1_3gpuE9ELNS1_3repE0EEENS1_30default_config_static_selectorELNS0_4arch9wavefront6targetE0EEEvS12_.kd
    .uniform_work_group_size: 1
    .uses_dynamic_stack: false
    .vgpr_count:     0
    .vgpr_spill_count: 0
    .wavefront_size: 32
  - .args:
      - .offset:         0
        .size:           184
        .value_kind:     by_value
    .group_segment_fixed_size: 0
    .kernarg_segment_align: 8
    .kernarg_segment_size: 184
    .language:       OpenCL C
    .language_version:
      - 2
      - 0
    .max_flat_workgroup_size: 256
    .name:           _ZN7rocprim17ROCPRIM_400000_NS6detail17trampoline_kernelINS0_13select_configILj256ELj13ELNS0_17block_load_methodE3ELS4_3ELS4_3ELNS0_20block_scan_algorithmE0ELj4294967295EEENS1_25partition_config_selectorILNS1_17partition_subalgoE4EjNS0_10empty_typeEbEEZZNS1_14partition_implILS8_4ELb0ES6_15HIP_vector_typeIjLj2EENS0_17counting_iteratorIjlEEPS9_SG_NS0_5tupleIJPjSI_NS0_16reverse_iteratorISI_EEEEENSH_IJSG_SG_SG_EEES9_SI_JZNS1_25segmented_radix_sort_implINS0_14default_configELb0EPKaPaPKlPlN2at6native12_GLOBAL__N_18offset_tEEE10hipError_tPvRmT1_PNSt15iterator_traitsIS12_E10value_typeET2_T3_PNS13_IS18_E10value_typeET4_jRbjT5_S1E_jjP12ihipStream_tbEUljE_ZNSN_ISO_Lb0ESQ_SR_ST_SU_SY_EESZ_S10_S11_S12_S16_S17_S18_S1B_S1C_jS1D_jS1E_S1E_jjS1G_bEUljE0_EEESZ_S10_S11_S18_S1C_S1E_T6_T7_T9_mT8_S1G_bDpT10_ENKUlT_T0_E_clISt17integral_constantIbLb0EES1T_IbLb1EEEEDaS1P_S1Q_EUlS1P_E_NS1_11comp_targetILNS1_3genE4ELNS1_11target_archE910ELNS1_3gpuE8ELNS1_3repE0EEENS1_30default_config_static_selectorELNS0_4arch9wavefront6targetE0EEEvS12_
    .private_segment_fixed_size: 0
    .sgpr_count:     0
    .sgpr_spill_count: 0
    .symbol:         _ZN7rocprim17ROCPRIM_400000_NS6detail17trampoline_kernelINS0_13select_configILj256ELj13ELNS0_17block_load_methodE3ELS4_3ELS4_3ELNS0_20block_scan_algorithmE0ELj4294967295EEENS1_25partition_config_selectorILNS1_17partition_subalgoE4EjNS0_10empty_typeEbEEZZNS1_14partition_implILS8_4ELb0ES6_15HIP_vector_typeIjLj2EENS0_17counting_iteratorIjlEEPS9_SG_NS0_5tupleIJPjSI_NS0_16reverse_iteratorISI_EEEEENSH_IJSG_SG_SG_EEES9_SI_JZNS1_25segmented_radix_sort_implINS0_14default_configELb0EPKaPaPKlPlN2at6native12_GLOBAL__N_18offset_tEEE10hipError_tPvRmT1_PNSt15iterator_traitsIS12_E10value_typeET2_T3_PNS13_IS18_E10value_typeET4_jRbjT5_S1E_jjP12ihipStream_tbEUljE_ZNSN_ISO_Lb0ESQ_SR_ST_SU_SY_EESZ_S10_S11_S12_S16_S17_S18_S1B_S1C_jS1D_jS1E_S1E_jjS1G_bEUljE0_EEESZ_S10_S11_S18_S1C_S1E_T6_T7_T9_mT8_S1G_bDpT10_ENKUlT_T0_E_clISt17integral_constantIbLb0EES1T_IbLb1EEEEDaS1P_S1Q_EUlS1P_E_NS1_11comp_targetILNS1_3genE4ELNS1_11target_archE910ELNS1_3gpuE8ELNS1_3repE0EEENS1_30default_config_static_selectorELNS0_4arch9wavefront6targetE0EEEvS12_.kd
    .uniform_work_group_size: 1
    .uses_dynamic_stack: false
    .vgpr_count:     0
    .vgpr_spill_count: 0
    .wavefront_size: 32
  - .args:
      - .offset:         0
        .size:           184
        .value_kind:     by_value
    .group_segment_fixed_size: 0
    .kernarg_segment_align: 8
    .kernarg_segment_size: 184
    .language:       OpenCL C
    .language_version:
      - 2
      - 0
    .max_flat_workgroup_size: 256
    .name:           _ZN7rocprim17ROCPRIM_400000_NS6detail17trampoline_kernelINS0_13select_configILj256ELj13ELNS0_17block_load_methodE3ELS4_3ELS4_3ELNS0_20block_scan_algorithmE0ELj4294967295EEENS1_25partition_config_selectorILNS1_17partition_subalgoE4EjNS0_10empty_typeEbEEZZNS1_14partition_implILS8_4ELb0ES6_15HIP_vector_typeIjLj2EENS0_17counting_iteratorIjlEEPS9_SG_NS0_5tupleIJPjSI_NS0_16reverse_iteratorISI_EEEEENSH_IJSG_SG_SG_EEES9_SI_JZNS1_25segmented_radix_sort_implINS0_14default_configELb0EPKaPaPKlPlN2at6native12_GLOBAL__N_18offset_tEEE10hipError_tPvRmT1_PNSt15iterator_traitsIS12_E10value_typeET2_T3_PNS13_IS18_E10value_typeET4_jRbjT5_S1E_jjP12ihipStream_tbEUljE_ZNSN_ISO_Lb0ESQ_SR_ST_SU_SY_EESZ_S10_S11_S12_S16_S17_S18_S1B_S1C_jS1D_jS1E_S1E_jjS1G_bEUljE0_EEESZ_S10_S11_S18_S1C_S1E_T6_T7_T9_mT8_S1G_bDpT10_ENKUlT_T0_E_clISt17integral_constantIbLb0EES1T_IbLb1EEEEDaS1P_S1Q_EUlS1P_E_NS1_11comp_targetILNS1_3genE3ELNS1_11target_archE908ELNS1_3gpuE7ELNS1_3repE0EEENS1_30default_config_static_selectorELNS0_4arch9wavefront6targetE0EEEvS12_
    .private_segment_fixed_size: 0
    .sgpr_count:     0
    .sgpr_spill_count: 0
    .symbol:         _ZN7rocprim17ROCPRIM_400000_NS6detail17trampoline_kernelINS0_13select_configILj256ELj13ELNS0_17block_load_methodE3ELS4_3ELS4_3ELNS0_20block_scan_algorithmE0ELj4294967295EEENS1_25partition_config_selectorILNS1_17partition_subalgoE4EjNS0_10empty_typeEbEEZZNS1_14partition_implILS8_4ELb0ES6_15HIP_vector_typeIjLj2EENS0_17counting_iteratorIjlEEPS9_SG_NS0_5tupleIJPjSI_NS0_16reverse_iteratorISI_EEEEENSH_IJSG_SG_SG_EEES9_SI_JZNS1_25segmented_radix_sort_implINS0_14default_configELb0EPKaPaPKlPlN2at6native12_GLOBAL__N_18offset_tEEE10hipError_tPvRmT1_PNSt15iterator_traitsIS12_E10value_typeET2_T3_PNS13_IS18_E10value_typeET4_jRbjT5_S1E_jjP12ihipStream_tbEUljE_ZNSN_ISO_Lb0ESQ_SR_ST_SU_SY_EESZ_S10_S11_S12_S16_S17_S18_S1B_S1C_jS1D_jS1E_S1E_jjS1G_bEUljE0_EEESZ_S10_S11_S18_S1C_S1E_T6_T7_T9_mT8_S1G_bDpT10_ENKUlT_T0_E_clISt17integral_constantIbLb0EES1T_IbLb1EEEEDaS1P_S1Q_EUlS1P_E_NS1_11comp_targetILNS1_3genE3ELNS1_11target_archE908ELNS1_3gpuE7ELNS1_3repE0EEENS1_30default_config_static_selectorELNS0_4arch9wavefront6targetE0EEEvS12_.kd
    .uniform_work_group_size: 1
    .uses_dynamic_stack: false
    .vgpr_count:     0
    .vgpr_spill_count: 0
    .wavefront_size: 32
  - .args:
      - .offset:         0
        .size:           184
        .value_kind:     by_value
    .group_segment_fixed_size: 0
    .kernarg_segment_align: 8
    .kernarg_segment_size: 184
    .language:       OpenCL C
    .language_version:
      - 2
      - 0
    .max_flat_workgroup_size: 256
    .name:           _ZN7rocprim17ROCPRIM_400000_NS6detail17trampoline_kernelINS0_13select_configILj256ELj13ELNS0_17block_load_methodE3ELS4_3ELS4_3ELNS0_20block_scan_algorithmE0ELj4294967295EEENS1_25partition_config_selectorILNS1_17partition_subalgoE4EjNS0_10empty_typeEbEEZZNS1_14partition_implILS8_4ELb0ES6_15HIP_vector_typeIjLj2EENS0_17counting_iteratorIjlEEPS9_SG_NS0_5tupleIJPjSI_NS0_16reverse_iteratorISI_EEEEENSH_IJSG_SG_SG_EEES9_SI_JZNS1_25segmented_radix_sort_implINS0_14default_configELb0EPKaPaPKlPlN2at6native12_GLOBAL__N_18offset_tEEE10hipError_tPvRmT1_PNSt15iterator_traitsIS12_E10value_typeET2_T3_PNS13_IS18_E10value_typeET4_jRbjT5_S1E_jjP12ihipStream_tbEUljE_ZNSN_ISO_Lb0ESQ_SR_ST_SU_SY_EESZ_S10_S11_S12_S16_S17_S18_S1B_S1C_jS1D_jS1E_S1E_jjS1G_bEUljE0_EEESZ_S10_S11_S18_S1C_S1E_T6_T7_T9_mT8_S1G_bDpT10_ENKUlT_T0_E_clISt17integral_constantIbLb0EES1T_IbLb1EEEEDaS1P_S1Q_EUlS1P_E_NS1_11comp_targetILNS1_3genE2ELNS1_11target_archE906ELNS1_3gpuE6ELNS1_3repE0EEENS1_30default_config_static_selectorELNS0_4arch9wavefront6targetE0EEEvS12_
    .private_segment_fixed_size: 0
    .sgpr_count:     0
    .sgpr_spill_count: 0
    .symbol:         _ZN7rocprim17ROCPRIM_400000_NS6detail17trampoline_kernelINS0_13select_configILj256ELj13ELNS0_17block_load_methodE3ELS4_3ELS4_3ELNS0_20block_scan_algorithmE0ELj4294967295EEENS1_25partition_config_selectorILNS1_17partition_subalgoE4EjNS0_10empty_typeEbEEZZNS1_14partition_implILS8_4ELb0ES6_15HIP_vector_typeIjLj2EENS0_17counting_iteratorIjlEEPS9_SG_NS0_5tupleIJPjSI_NS0_16reverse_iteratorISI_EEEEENSH_IJSG_SG_SG_EEES9_SI_JZNS1_25segmented_radix_sort_implINS0_14default_configELb0EPKaPaPKlPlN2at6native12_GLOBAL__N_18offset_tEEE10hipError_tPvRmT1_PNSt15iterator_traitsIS12_E10value_typeET2_T3_PNS13_IS18_E10value_typeET4_jRbjT5_S1E_jjP12ihipStream_tbEUljE_ZNSN_ISO_Lb0ESQ_SR_ST_SU_SY_EESZ_S10_S11_S12_S16_S17_S18_S1B_S1C_jS1D_jS1E_S1E_jjS1G_bEUljE0_EEESZ_S10_S11_S18_S1C_S1E_T6_T7_T9_mT8_S1G_bDpT10_ENKUlT_T0_E_clISt17integral_constantIbLb0EES1T_IbLb1EEEEDaS1P_S1Q_EUlS1P_E_NS1_11comp_targetILNS1_3genE2ELNS1_11target_archE906ELNS1_3gpuE6ELNS1_3repE0EEENS1_30default_config_static_selectorELNS0_4arch9wavefront6targetE0EEEvS12_.kd
    .uniform_work_group_size: 1
    .uses_dynamic_stack: false
    .vgpr_count:     0
    .vgpr_spill_count: 0
    .wavefront_size: 32
  - .args:
      - .offset:         0
        .size:           184
        .value_kind:     by_value
    .group_segment_fixed_size: 0
    .kernarg_segment_align: 8
    .kernarg_segment_size: 184
    .language:       OpenCL C
    .language_version:
      - 2
      - 0
    .max_flat_workgroup_size: 256
    .name:           _ZN7rocprim17ROCPRIM_400000_NS6detail17trampoline_kernelINS0_13select_configILj256ELj13ELNS0_17block_load_methodE3ELS4_3ELS4_3ELNS0_20block_scan_algorithmE0ELj4294967295EEENS1_25partition_config_selectorILNS1_17partition_subalgoE4EjNS0_10empty_typeEbEEZZNS1_14partition_implILS8_4ELb0ES6_15HIP_vector_typeIjLj2EENS0_17counting_iteratorIjlEEPS9_SG_NS0_5tupleIJPjSI_NS0_16reverse_iteratorISI_EEEEENSH_IJSG_SG_SG_EEES9_SI_JZNS1_25segmented_radix_sort_implINS0_14default_configELb0EPKaPaPKlPlN2at6native12_GLOBAL__N_18offset_tEEE10hipError_tPvRmT1_PNSt15iterator_traitsIS12_E10value_typeET2_T3_PNS13_IS18_E10value_typeET4_jRbjT5_S1E_jjP12ihipStream_tbEUljE_ZNSN_ISO_Lb0ESQ_SR_ST_SU_SY_EESZ_S10_S11_S12_S16_S17_S18_S1B_S1C_jS1D_jS1E_S1E_jjS1G_bEUljE0_EEESZ_S10_S11_S18_S1C_S1E_T6_T7_T9_mT8_S1G_bDpT10_ENKUlT_T0_E_clISt17integral_constantIbLb0EES1T_IbLb1EEEEDaS1P_S1Q_EUlS1P_E_NS1_11comp_targetILNS1_3genE10ELNS1_11target_archE1200ELNS1_3gpuE4ELNS1_3repE0EEENS1_30default_config_static_selectorELNS0_4arch9wavefront6targetE0EEEvS12_
    .private_segment_fixed_size: 0
    .sgpr_count:     0
    .sgpr_spill_count: 0
    .symbol:         _ZN7rocprim17ROCPRIM_400000_NS6detail17trampoline_kernelINS0_13select_configILj256ELj13ELNS0_17block_load_methodE3ELS4_3ELS4_3ELNS0_20block_scan_algorithmE0ELj4294967295EEENS1_25partition_config_selectorILNS1_17partition_subalgoE4EjNS0_10empty_typeEbEEZZNS1_14partition_implILS8_4ELb0ES6_15HIP_vector_typeIjLj2EENS0_17counting_iteratorIjlEEPS9_SG_NS0_5tupleIJPjSI_NS0_16reverse_iteratorISI_EEEEENSH_IJSG_SG_SG_EEES9_SI_JZNS1_25segmented_radix_sort_implINS0_14default_configELb0EPKaPaPKlPlN2at6native12_GLOBAL__N_18offset_tEEE10hipError_tPvRmT1_PNSt15iterator_traitsIS12_E10value_typeET2_T3_PNS13_IS18_E10value_typeET4_jRbjT5_S1E_jjP12ihipStream_tbEUljE_ZNSN_ISO_Lb0ESQ_SR_ST_SU_SY_EESZ_S10_S11_S12_S16_S17_S18_S1B_S1C_jS1D_jS1E_S1E_jjS1G_bEUljE0_EEESZ_S10_S11_S18_S1C_S1E_T6_T7_T9_mT8_S1G_bDpT10_ENKUlT_T0_E_clISt17integral_constantIbLb0EES1T_IbLb1EEEEDaS1P_S1Q_EUlS1P_E_NS1_11comp_targetILNS1_3genE10ELNS1_11target_archE1200ELNS1_3gpuE4ELNS1_3repE0EEENS1_30default_config_static_selectorELNS0_4arch9wavefront6targetE0EEEvS12_.kd
    .uniform_work_group_size: 1
    .uses_dynamic_stack: false
    .vgpr_count:     0
    .vgpr_spill_count: 0
    .wavefront_size: 32
  - .args:
      - .offset:         0
        .size:           184
        .value_kind:     by_value
    .group_segment_fixed_size: 0
    .kernarg_segment_align: 8
    .kernarg_segment_size: 184
    .language:       OpenCL C
    .language_version:
      - 2
      - 0
    .max_flat_workgroup_size: 256
    .name:           _ZN7rocprim17ROCPRIM_400000_NS6detail17trampoline_kernelINS0_13select_configILj256ELj13ELNS0_17block_load_methodE3ELS4_3ELS4_3ELNS0_20block_scan_algorithmE0ELj4294967295EEENS1_25partition_config_selectorILNS1_17partition_subalgoE4EjNS0_10empty_typeEbEEZZNS1_14partition_implILS8_4ELb0ES6_15HIP_vector_typeIjLj2EENS0_17counting_iteratorIjlEEPS9_SG_NS0_5tupleIJPjSI_NS0_16reverse_iteratorISI_EEEEENSH_IJSG_SG_SG_EEES9_SI_JZNS1_25segmented_radix_sort_implINS0_14default_configELb0EPKaPaPKlPlN2at6native12_GLOBAL__N_18offset_tEEE10hipError_tPvRmT1_PNSt15iterator_traitsIS12_E10value_typeET2_T3_PNS13_IS18_E10value_typeET4_jRbjT5_S1E_jjP12ihipStream_tbEUljE_ZNSN_ISO_Lb0ESQ_SR_ST_SU_SY_EESZ_S10_S11_S12_S16_S17_S18_S1B_S1C_jS1D_jS1E_S1E_jjS1G_bEUljE0_EEESZ_S10_S11_S18_S1C_S1E_T6_T7_T9_mT8_S1G_bDpT10_ENKUlT_T0_E_clISt17integral_constantIbLb0EES1T_IbLb1EEEEDaS1P_S1Q_EUlS1P_E_NS1_11comp_targetILNS1_3genE9ELNS1_11target_archE1100ELNS1_3gpuE3ELNS1_3repE0EEENS1_30default_config_static_selectorELNS0_4arch9wavefront6targetE0EEEvS12_
    .private_segment_fixed_size: 0
    .sgpr_count:     0
    .sgpr_spill_count: 0
    .symbol:         _ZN7rocprim17ROCPRIM_400000_NS6detail17trampoline_kernelINS0_13select_configILj256ELj13ELNS0_17block_load_methodE3ELS4_3ELS4_3ELNS0_20block_scan_algorithmE0ELj4294967295EEENS1_25partition_config_selectorILNS1_17partition_subalgoE4EjNS0_10empty_typeEbEEZZNS1_14partition_implILS8_4ELb0ES6_15HIP_vector_typeIjLj2EENS0_17counting_iteratorIjlEEPS9_SG_NS0_5tupleIJPjSI_NS0_16reverse_iteratorISI_EEEEENSH_IJSG_SG_SG_EEES9_SI_JZNS1_25segmented_radix_sort_implINS0_14default_configELb0EPKaPaPKlPlN2at6native12_GLOBAL__N_18offset_tEEE10hipError_tPvRmT1_PNSt15iterator_traitsIS12_E10value_typeET2_T3_PNS13_IS18_E10value_typeET4_jRbjT5_S1E_jjP12ihipStream_tbEUljE_ZNSN_ISO_Lb0ESQ_SR_ST_SU_SY_EESZ_S10_S11_S12_S16_S17_S18_S1B_S1C_jS1D_jS1E_S1E_jjS1G_bEUljE0_EEESZ_S10_S11_S18_S1C_S1E_T6_T7_T9_mT8_S1G_bDpT10_ENKUlT_T0_E_clISt17integral_constantIbLb0EES1T_IbLb1EEEEDaS1P_S1Q_EUlS1P_E_NS1_11comp_targetILNS1_3genE9ELNS1_11target_archE1100ELNS1_3gpuE3ELNS1_3repE0EEENS1_30default_config_static_selectorELNS0_4arch9wavefront6targetE0EEEvS12_.kd
    .uniform_work_group_size: 1
    .uses_dynamic_stack: false
    .vgpr_count:     0
    .vgpr_spill_count: 0
    .wavefront_size: 32
  - .args:
      - .offset:         0
        .size:           184
        .value_kind:     by_value
    .group_segment_fixed_size: 0
    .kernarg_segment_align: 8
    .kernarg_segment_size: 184
    .language:       OpenCL C
    .language_version:
      - 2
      - 0
    .max_flat_workgroup_size: 256
    .name:           _ZN7rocprim17ROCPRIM_400000_NS6detail17trampoline_kernelINS0_13select_configILj256ELj13ELNS0_17block_load_methodE3ELS4_3ELS4_3ELNS0_20block_scan_algorithmE0ELj4294967295EEENS1_25partition_config_selectorILNS1_17partition_subalgoE4EjNS0_10empty_typeEbEEZZNS1_14partition_implILS8_4ELb0ES6_15HIP_vector_typeIjLj2EENS0_17counting_iteratorIjlEEPS9_SG_NS0_5tupleIJPjSI_NS0_16reverse_iteratorISI_EEEEENSH_IJSG_SG_SG_EEES9_SI_JZNS1_25segmented_radix_sort_implINS0_14default_configELb0EPKaPaPKlPlN2at6native12_GLOBAL__N_18offset_tEEE10hipError_tPvRmT1_PNSt15iterator_traitsIS12_E10value_typeET2_T3_PNS13_IS18_E10value_typeET4_jRbjT5_S1E_jjP12ihipStream_tbEUljE_ZNSN_ISO_Lb0ESQ_SR_ST_SU_SY_EESZ_S10_S11_S12_S16_S17_S18_S1B_S1C_jS1D_jS1E_S1E_jjS1G_bEUljE0_EEESZ_S10_S11_S18_S1C_S1E_T6_T7_T9_mT8_S1G_bDpT10_ENKUlT_T0_E_clISt17integral_constantIbLb0EES1T_IbLb1EEEEDaS1P_S1Q_EUlS1P_E_NS1_11comp_targetILNS1_3genE8ELNS1_11target_archE1030ELNS1_3gpuE2ELNS1_3repE0EEENS1_30default_config_static_selectorELNS0_4arch9wavefront6targetE0EEEvS12_
    .private_segment_fixed_size: 0
    .sgpr_count:     0
    .sgpr_spill_count: 0
    .symbol:         _ZN7rocprim17ROCPRIM_400000_NS6detail17trampoline_kernelINS0_13select_configILj256ELj13ELNS0_17block_load_methodE3ELS4_3ELS4_3ELNS0_20block_scan_algorithmE0ELj4294967295EEENS1_25partition_config_selectorILNS1_17partition_subalgoE4EjNS0_10empty_typeEbEEZZNS1_14partition_implILS8_4ELb0ES6_15HIP_vector_typeIjLj2EENS0_17counting_iteratorIjlEEPS9_SG_NS0_5tupleIJPjSI_NS0_16reverse_iteratorISI_EEEEENSH_IJSG_SG_SG_EEES9_SI_JZNS1_25segmented_radix_sort_implINS0_14default_configELb0EPKaPaPKlPlN2at6native12_GLOBAL__N_18offset_tEEE10hipError_tPvRmT1_PNSt15iterator_traitsIS12_E10value_typeET2_T3_PNS13_IS18_E10value_typeET4_jRbjT5_S1E_jjP12ihipStream_tbEUljE_ZNSN_ISO_Lb0ESQ_SR_ST_SU_SY_EESZ_S10_S11_S12_S16_S17_S18_S1B_S1C_jS1D_jS1E_S1E_jjS1G_bEUljE0_EEESZ_S10_S11_S18_S1C_S1E_T6_T7_T9_mT8_S1G_bDpT10_ENKUlT_T0_E_clISt17integral_constantIbLb0EES1T_IbLb1EEEEDaS1P_S1Q_EUlS1P_E_NS1_11comp_targetILNS1_3genE8ELNS1_11target_archE1030ELNS1_3gpuE2ELNS1_3repE0EEENS1_30default_config_static_selectorELNS0_4arch9wavefront6targetE0EEEvS12_.kd
    .uniform_work_group_size: 1
    .uses_dynamic_stack: false
    .vgpr_count:     0
    .vgpr_spill_count: 0
    .wavefront_size: 32
  - .args:
      - .offset:         0
        .size:           144
        .value_kind:     by_value
    .group_segment_fixed_size: 13320
    .kernarg_segment_align: 8
    .kernarg_segment_size: 144
    .language:       OpenCL C
    .language_version:
      - 2
      - 0
    .max_flat_workgroup_size: 256
    .name:           _ZN7rocprim17ROCPRIM_400000_NS6detail17trampoline_kernelINS0_13select_configILj256ELj13ELNS0_17block_load_methodE3ELS4_3ELS4_3ELNS0_20block_scan_algorithmE0ELj4294967295EEENS1_25partition_config_selectorILNS1_17partition_subalgoE3EjNS0_10empty_typeEbEEZZNS1_14partition_implILS8_3ELb0ES6_jNS0_17counting_iteratorIjlEEPS9_SE_NS0_5tupleIJPjSE_EEENSF_IJSE_SE_EEES9_SG_JZNS1_25segmented_radix_sort_implINS0_14default_configELb0EPKaPaPKlPlN2at6native12_GLOBAL__N_18offset_tEEE10hipError_tPvRmT1_PNSt15iterator_traitsISY_E10value_typeET2_T3_PNSZ_IS14_E10value_typeET4_jRbjT5_S1A_jjP12ihipStream_tbEUljE_EEESV_SW_SX_S14_S18_S1A_T6_T7_T9_mT8_S1C_bDpT10_ENKUlT_T0_E_clISt17integral_constantIbLb0EES1P_EEDaS1K_S1L_EUlS1K_E_NS1_11comp_targetILNS1_3genE0ELNS1_11target_archE4294967295ELNS1_3gpuE0ELNS1_3repE0EEENS1_30default_config_static_selectorELNS0_4arch9wavefront6targetE0EEEvSY_
    .private_segment_fixed_size: 0
    .sgpr_count:     28
    .sgpr_spill_count: 0
    .symbol:         _ZN7rocprim17ROCPRIM_400000_NS6detail17trampoline_kernelINS0_13select_configILj256ELj13ELNS0_17block_load_methodE3ELS4_3ELS4_3ELNS0_20block_scan_algorithmE0ELj4294967295EEENS1_25partition_config_selectorILNS1_17partition_subalgoE3EjNS0_10empty_typeEbEEZZNS1_14partition_implILS8_3ELb0ES6_jNS0_17counting_iteratorIjlEEPS9_SE_NS0_5tupleIJPjSE_EEENSF_IJSE_SE_EEES9_SG_JZNS1_25segmented_radix_sort_implINS0_14default_configELb0EPKaPaPKlPlN2at6native12_GLOBAL__N_18offset_tEEE10hipError_tPvRmT1_PNSt15iterator_traitsISY_E10value_typeET2_T3_PNSZ_IS14_E10value_typeET4_jRbjT5_S1A_jjP12ihipStream_tbEUljE_EEESV_SW_SX_S14_S18_S1A_T6_T7_T9_mT8_S1C_bDpT10_ENKUlT_T0_E_clISt17integral_constantIbLb0EES1P_EEDaS1K_S1L_EUlS1K_E_NS1_11comp_targetILNS1_3genE0ELNS1_11target_archE4294967295ELNS1_3gpuE0ELNS1_3repE0EEENS1_30default_config_static_selectorELNS0_4arch9wavefront6targetE0EEEvSY_.kd
    .uniform_work_group_size: 1
    .uses_dynamic_stack: false
    .vgpr_count:     69
    .vgpr_spill_count: 0
    .wavefront_size: 32
  - .args:
      - .offset:         0
        .size:           144
        .value_kind:     by_value
    .group_segment_fixed_size: 0
    .kernarg_segment_align: 8
    .kernarg_segment_size: 144
    .language:       OpenCL C
    .language_version:
      - 2
      - 0
    .max_flat_workgroup_size: 256
    .name:           _ZN7rocprim17ROCPRIM_400000_NS6detail17trampoline_kernelINS0_13select_configILj256ELj13ELNS0_17block_load_methodE3ELS4_3ELS4_3ELNS0_20block_scan_algorithmE0ELj4294967295EEENS1_25partition_config_selectorILNS1_17partition_subalgoE3EjNS0_10empty_typeEbEEZZNS1_14partition_implILS8_3ELb0ES6_jNS0_17counting_iteratorIjlEEPS9_SE_NS0_5tupleIJPjSE_EEENSF_IJSE_SE_EEES9_SG_JZNS1_25segmented_radix_sort_implINS0_14default_configELb0EPKaPaPKlPlN2at6native12_GLOBAL__N_18offset_tEEE10hipError_tPvRmT1_PNSt15iterator_traitsISY_E10value_typeET2_T3_PNSZ_IS14_E10value_typeET4_jRbjT5_S1A_jjP12ihipStream_tbEUljE_EEESV_SW_SX_S14_S18_S1A_T6_T7_T9_mT8_S1C_bDpT10_ENKUlT_T0_E_clISt17integral_constantIbLb0EES1P_EEDaS1K_S1L_EUlS1K_E_NS1_11comp_targetILNS1_3genE5ELNS1_11target_archE942ELNS1_3gpuE9ELNS1_3repE0EEENS1_30default_config_static_selectorELNS0_4arch9wavefront6targetE0EEEvSY_
    .private_segment_fixed_size: 0
    .sgpr_count:     0
    .sgpr_spill_count: 0
    .symbol:         _ZN7rocprim17ROCPRIM_400000_NS6detail17trampoline_kernelINS0_13select_configILj256ELj13ELNS0_17block_load_methodE3ELS4_3ELS4_3ELNS0_20block_scan_algorithmE0ELj4294967295EEENS1_25partition_config_selectorILNS1_17partition_subalgoE3EjNS0_10empty_typeEbEEZZNS1_14partition_implILS8_3ELb0ES6_jNS0_17counting_iteratorIjlEEPS9_SE_NS0_5tupleIJPjSE_EEENSF_IJSE_SE_EEES9_SG_JZNS1_25segmented_radix_sort_implINS0_14default_configELb0EPKaPaPKlPlN2at6native12_GLOBAL__N_18offset_tEEE10hipError_tPvRmT1_PNSt15iterator_traitsISY_E10value_typeET2_T3_PNSZ_IS14_E10value_typeET4_jRbjT5_S1A_jjP12ihipStream_tbEUljE_EEESV_SW_SX_S14_S18_S1A_T6_T7_T9_mT8_S1C_bDpT10_ENKUlT_T0_E_clISt17integral_constantIbLb0EES1P_EEDaS1K_S1L_EUlS1K_E_NS1_11comp_targetILNS1_3genE5ELNS1_11target_archE942ELNS1_3gpuE9ELNS1_3repE0EEENS1_30default_config_static_selectorELNS0_4arch9wavefront6targetE0EEEvSY_.kd
    .uniform_work_group_size: 1
    .uses_dynamic_stack: false
    .vgpr_count:     0
    .vgpr_spill_count: 0
    .wavefront_size: 32
  - .args:
      - .offset:         0
        .size:           144
        .value_kind:     by_value
    .group_segment_fixed_size: 0
    .kernarg_segment_align: 8
    .kernarg_segment_size: 144
    .language:       OpenCL C
    .language_version:
      - 2
      - 0
    .max_flat_workgroup_size: 256
    .name:           _ZN7rocprim17ROCPRIM_400000_NS6detail17trampoline_kernelINS0_13select_configILj256ELj13ELNS0_17block_load_methodE3ELS4_3ELS4_3ELNS0_20block_scan_algorithmE0ELj4294967295EEENS1_25partition_config_selectorILNS1_17partition_subalgoE3EjNS0_10empty_typeEbEEZZNS1_14partition_implILS8_3ELb0ES6_jNS0_17counting_iteratorIjlEEPS9_SE_NS0_5tupleIJPjSE_EEENSF_IJSE_SE_EEES9_SG_JZNS1_25segmented_radix_sort_implINS0_14default_configELb0EPKaPaPKlPlN2at6native12_GLOBAL__N_18offset_tEEE10hipError_tPvRmT1_PNSt15iterator_traitsISY_E10value_typeET2_T3_PNSZ_IS14_E10value_typeET4_jRbjT5_S1A_jjP12ihipStream_tbEUljE_EEESV_SW_SX_S14_S18_S1A_T6_T7_T9_mT8_S1C_bDpT10_ENKUlT_T0_E_clISt17integral_constantIbLb0EES1P_EEDaS1K_S1L_EUlS1K_E_NS1_11comp_targetILNS1_3genE4ELNS1_11target_archE910ELNS1_3gpuE8ELNS1_3repE0EEENS1_30default_config_static_selectorELNS0_4arch9wavefront6targetE0EEEvSY_
    .private_segment_fixed_size: 0
    .sgpr_count:     0
    .sgpr_spill_count: 0
    .symbol:         _ZN7rocprim17ROCPRIM_400000_NS6detail17trampoline_kernelINS0_13select_configILj256ELj13ELNS0_17block_load_methodE3ELS4_3ELS4_3ELNS0_20block_scan_algorithmE0ELj4294967295EEENS1_25partition_config_selectorILNS1_17partition_subalgoE3EjNS0_10empty_typeEbEEZZNS1_14partition_implILS8_3ELb0ES6_jNS0_17counting_iteratorIjlEEPS9_SE_NS0_5tupleIJPjSE_EEENSF_IJSE_SE_EEES9_SG_JZNS1_25segmented_radix_sort_implINS0_14default_configELb0EPKaPaPKlPlN2at6native12_GLOBAL__N_18offset_tEEE10hipError_tPvRmT1_PNSt15iterator_traitsISY_E10value_typeET2_T3_PNSZ_IS14_E10value_typeET4_jRbjT5_S1A_jjP12ihipStream_tbEUljE_EEESV_SW_SX_S14_S18_S1A_T6_T7_T9_mT8_S1C_bDpT10_ENKUlT_T0_E_clISt17integral_constantIbLb0EES1P_EEDaS1K_S1L_EUlS1K_E_NS1_11comp_targetILNS1_3genE4ELNS1_11target_archE910ELNS1_3gpuE8ELNS1_3repE0EEENS1_30default_config_static_selectorELNS0_4arch9wavefront6targetE0EEEvSY_.kd
    .uniform_work_group_size: 1
    .uses_dynamic_stack: false
    .vgpr_count:     0
    .vgpr_spill_count: 0
    .wavefront_size: 32
  - .args:
      - .offset:         0
        .size:           144
        .value_kind:     by_value
    .group_segment_fixed_size: 0
    .kernarg_segment_align: 8
    .kernarg_segment_size: 144
    .language:       OpenCL C
    .language_version:
      - 2
      - 0
    .max_flat_workgroup_size: 256
    .name:           _ZN7rocprim17ROCPRIM_400000_NS6detail17trampoline_kernelINS0_13select_configILj256ELj13ELNS0_17block_load_methodE3ELS4_3ELS4_3ELNS0_20block_scan_algorithmE0ELj4294967295EEENS1_25partition_config_selectorILNS1_17partition_subalgoE3EjNS0_10empty_typeEbEEZZNS1_14partition_implILS8_3ELb0ES6_jNS0_17counting_iteratorIjlEEPS9_SE_NS0_5tupleIJPjSE_EEENSF_IJSE_SE_EEES9_SG_JZNS1_25segmented_radix_sort_implINS0_14default_configELb0EPKaPaPKlPlN2at6native12_GLOBAL__N_18offset_tEEE10hipError_tPvRmT1_PNSt15iterator_traitsISY_E10value_typeET2_T3_PNSZ_IS14_E10value_typeET4_jRbjT5_S1A_jjP12ihipStream_tbEUljE_EEESV_SW_SX_S14_S18_S1A_T6_T7_T9_mT8_S1C_bDpT10_ENKUlT_T0_E_clISt17integral_constantIbLb0EES1P_EEDaS1K_S1L_EUlS1K_E_NS1_11comp_targetILNS1_3genE3ELNS1_11target_archE908ELNS1_3gpuE7ELNS1_3repE0EEENS1_30default_config_static_selectorELNS0_4arch9wavefront6targetE0EEEvSY_
    .private_segment_fixed_size: 0
    .sgpr_count:     0
    .sgpr_spill_count: 0
    .symbol:         _ZN7rocprim17ROCPRIM_400000_NS6detail17trampoline_kernelINS0_13select_configILj256ELj13ELNS0_17block_load_methodE3ELS4_3ELS4_3ELNS0_20block_scan_algorithmE0ELj4294967295EEENS1_25partition_config_selectorILNS1_17partition_subalgoE3EjNS0_10empty_typeEbEEZZNS1_14partition_implILS8_3ELb0ES6_jNS0_17counting_iteratorIjlEEPS9_SE_NS0_5tupleIJPjSE_EEENSF_IJSE_SE_EEES9_SG_JZNS1_25segmented_radix_sort_implINS0_14default_configELb0EPKaPaPKlPlN2at6native12_GLOBAL__N_18offset_tEEE10hipError_tPvRmT1_PNSt15iterator_traitsISY_E10value_typeET2_T3_PNSZ_IS14_E10value_typeET4_jRbjT5_S1A_jjP12ihipStream_tbEUljE_EEESV_SW_SX_S14_S18_S1A_T6_T7_T9_mT8_S1C_bDpT10_ENKUlT_T0_E_clISt17integral_constantIbLb0EES1P_EEDaS1K_S1L_EUlS1K_E_NS1_11comp_targetILNS1_3genE3ELNS1_11target_archE908ELNS1_3gpuE7ELNS1_3repE0EEENS1_30default_config_static_selectorELNS0_4arch9wavefront6targetE0EEEvSY_.kd
    .uniform_work_group_size: 1
    .uses_dynamic_stack: false
    .vgpr_count:     0
    .vgpr_spill_count: 0
    .wavefront_size: 32
  - .args:
      - .offset:         0
        .size:           144
        .value_kind:     by_value
    .group_segment_fixed_size: 0
    .kernarg_segment_align: 8
    .kernarg_segment_size: 144
    .language:       OpenCL C
    .language_version:
      - 2
      - 0
    .max_flat_workgroup_size: 256
    .name:           _ZN7rocprim17ROCPRIM_400000_NS6detail17trampoline_kernelINS0_13select_configILj256ELj13ELNS0_17block_load_methodE3ELS4_3ELS4_3ELNS0_20block_scan_algorithmE0ELj4294967295EEENS1_25partition_config_selectorILNS1_17partition_subalgoE3EjNS0_10empty_typeEbEEZZNS1_14partition_implILS8_3ELb0ES6_jNS0_17counting_iteratorIjlEEPS9_SE_NS0_5tupleIJPjSE_EEENSF_IJSE_SE_EEES9_SG_JZNS1_25segmented_radix_sort_implINS0_14default_configELb0EPKaPaPKlPlN2at6native12_GLOBAL__N_18offset_tEEE10hipError_tPvRmT1_PNSt15iterator_traitsISY_E10value_typeET2_T3_PNSZ_IS14_E10value_typeET4_jRbjT5_S1A_jjP12ihipStream_tbEUljE_EEESV_SW_SX_S14_S18_S1A_T6_T7_T9_mT8_S1C_bDpT10_ENKUlT_T0_E_clISt17integral_constantIbLb0EES1P_EEDaS1K_S1L_EUlS1K_E_NS1_11comp_targetILNS1_3genE2ELNS1_11target_archE906ELNS1_3gpuE6ELNS1_3repE0EEENS1_30default_config_static_selectorELNS0_4arch9wavefront6targetE0EEEvSY_
    .private_segment_fixed_size: 0
    .sgpr_count:     0
    .sgpr_spill_count: 0
    .symbol:         _ZN7rocprim17ROCPRIM_400000_NS6detail17trampoline_kernelINS0_13select_configILj256ELj13ELNS0_17block_load_methodE3ELS4_3ELS4_3ELNS0_20block_scan_algorithmE0ELj4294967295EEENS1_25partition_config_selectorILNS1_17partition_subalgoE3EjNS0_10empty_typeEbEEZZNS1_14partition_implILS8_3ELb0ES6_jNS0_17counting_iteratorIjlEEPS9_SE_NS0_5tupleIJPjSE_EEENSF_IJSE_SE_EEES9_SG_JZNS1_25segmented_radix_sort_implINS0_14default_configELb0EPKaPaPKlPlN2at6native12_GLOBAL__N_18offset_tEEE10hipError_tPvRmT1_PNSt15iterator_traitsISY_E10value_typeET2_T3_PNSZ_IS14_E10value_typeET4_jRbjT5_S1A_jjP12ihipStream_tbEUljE_EEESV_SW_SX_S14_S18_S1A_T6_T7_T9_mT8_S1C_bDpT10_ENKUlT_T0_E_clISt17integral_constantIbLb0EES1P_EEDaS1K_S1L_EUlS1K_E_NS1_11comp_targetILNS1_3genE2ELNS1_11target_archE906ELNS1_3gpuE6ELNS1_3repE0EEENS1_30default_config_static_selectorELNS0_4arch9wavefront6targetE0EEEvSY_.kd
    .uniform_work_group_size: 1
    .uses_dynamic_stack: false
    .vgpr_count:     0
    .vgpr_spill_count: 0
    .wavefront_size: 32
  - .args:
      - .offset:         0
        .size:           144
        .value_kind:     by_value
    .group_segment_fixed_size: 0
    .kernarg_segment_align: 8
    .kernarg_segment_size: 144
    .language:       OpenCL C
    .language_version:
      - 2
      - 0
    .max_flat_workgroup_size: 256
    .name:           _ZN7rocprim17ROCPRIM_400000_NS6detail17trampoline_kernelINS0_13select_configILj256ELj13ELNS0_17block_load_methodE3ELS4_3ELS4_3ELNS0_20block_scan_algorithmE0ELj4294967295EEENS1_25partition_config_selectorILNS1_17partition_subalgoE3EjNS0_10empty_typeEbEEZZNS1_14partition_implILS8_3ELb0ES6_jNS0_17counting_iteratorIjlEEPS9_SE_NS0_5tupleIJPjSE_EEENSF_IJSE_SE_EEES9_SG_JZNS1_25segmented_radix_sort_implINS0_14default_configELb0EPKaPaPKlPlN2at6native12_GLOBAL__N_18offset_tEEE10hipError_tPvRmT1_PNSt15iterator_traitsISY_E10value_typeET2_T3_PNSZ_IS14_E10value_typeET4_jRbjT5_S1A_jjP12ihipStream_tbEUljE_EEESV_SW_SX_S14_S18_S1A_T6_T7_T9_mT8_S1C_bDpT10_ENKUlT_T0_E_clISt17integral_constantIbLb0EES1P_EEDaS1K_S1L_EUlS1K_E_NS1_11comp_targetILNS1_3genE10ELNS1_11target_archE1200ELNS1_3gpuE4ELNS1_3repE0EEENS1_30default_config_static_selectorELNS0_4arch9wavefront6targetE0EEEvSY_
    .private_segment_fixed_size: 0
    .sgpr_count:     0
    .sgpr_spill_count: 0
    .symbol:         _ZN7rocprim17ROCPRIM_400000_NS6detail17trampoline_kernelINS0_13select_configILj256ELj13ELNS0_17block_load_methodE3ELS4_3ELS4_3ELNS0_20block_scan_algorithmE0ELj4294967295EEENS1_25partition_config_selectorILNS1_17partition_subalgoE3EjNS0_10empty_typeEbEEZZNS1_14partition_implILS8_3ELb0ES6_jNS0_17counting_iteratorIjlEEPS9_SE_NS0_5tupleIJPjSE_EEENSF_IJSE_SE_EEES9_SG_JZNS1_25segmented_radix_sort_implINS0_14default_configELb0EPKaPaPKlPlN2at6native12_GLOBAL__N_18offset_tEEE10hipError_tPvRmT1_PNSt15iterator_traitsISY_E10value_typeET2_T3_PNSZ_IS14_E10value_typeET4_jRbjT5_S1A_jjP12ihipStream_tbEUljE_EEESV_SW_SX_S14_S18_S1A_T6_T7_T9_mT8_S1C_bDpT10_ENKUlT_T0_E_clISt17integral_constantIbLb0EES1P_EEDaS1K_S1L_EUlS1K_E_NS1_11comp_targetILNS1_3genE10ELNS1_11target_archE1200ELNS1_3gpuE4ELNS1_3repE0EEENS1_30default_config_static_selectorELNS0_4arch9wavefront6targetE0EEEvSY_.kd
    .uniform_work_group_size: 1
    .uses_dynamic_stack: false
    .vgpr_count:     0
    .vgpr_spill_count: 0
    .wavefront_size: 32
  - .args:
      - .offset:         0
        .size:           144
        .value_kind:     by_value
    .group_segment_fixed_size: 0
    .kernarg_segment_align: 8
    .kernarg_segment_size: 144
    .language:       OpenCL C
    .language_version:
      - 2
      - 0
    .max_flat_workgroup_size: 256
    .name:           _ZN7rocprim17ROCPRIM_400000_NS6detail17trampoline_kernelINS0_13select_configILj256ELj13ELNS0_17block_load_methodE3ELS4_3ELS4_3ELNS0_20block_scan_algorithmE0ELj4294967295EEENS1_25partition_config_selectorILNS1_17partition_subalgoE3EjNS0_10empty_typeEbEEZZNS1_14partition_implILS8_3ELb0ES6_jNS0_17counting_iteratorIjlEEPS9_SE_NS0_5tupleIJPjSE_EEENSF_IJSE_SE_EEES9_SG_JZNS1_25segmented_radix_sort_implINS0_14default_configELb0EPKaPaPKlPlN2at6native12_GLOBAL__N_18offset_tEEE10hipError_tPvRmT1_PNSt15iterator_traitsISY_E10value_typeET2_T3_PNSZ_IS14_E10value_typeET4_jRbjT5_S1A_jjP12ihipStream_tbEUljE_EEESV_SW_SX_S14_S18_S1A_T6_T7_T9_mT8_S1C_bDpT10_ENKUlT_T0_E_clISt17integral_constantIbLb0EES1P_EEDaS1K_S1L_EUlS1K_E_NS1_11comp_targetILNS1_3genE9ELNS1_11target_archE1100ELNS1_3gpuE3ELNS1_3repE0EEENS1_30default_config_static_selectorELNS0_4arch9wavefront6targetE0EEEvSY_
    .private_segment_fixed_size: 0
    .sgpr_count:     0
    .sgpr_spill_count: 0
    .symbol:         _ZN7rocprim17ROCPRIM_400000_NS6detail17trampoline_kernelINS0_13select_configILj256ELj13ELNS0_17block_load_methodE3ELS4_3ELS4_3ELNS0_20block_scan_algorithmE0ELj4294967295EEENS1_25partition_config_selectorILNS1_17partition_subalgoE3EjNS0_10empty_typeEbEEZZNS1_14partition_implILS8_3ELb0ES6_jNS0_17counting_iteratorIjlEEPS9_SE_NS0_5tupleIJPjSE_EEENSF_IJSE_SE_EEES9_SG_JZNS1_25segmented_radix_sort_implINS0_14default_configELb0EPKaPaPKlPlN2at6native12_GLOBAL__N_18offset_tEEE10hipError_tPvRmT1_PNSt15iterator_traitsISY_E10value_typeET2_T3_PNSZ_IS14_E10value_typeET4_jRbjT5_S1A_jjP12ihipStream_tbEUljE_EEESV_SW_SX_S14_S18_S1A_T6_T7_T9_mT8_S1C_bDpT10_ENKUlT_T0_E_clISt17integral_constantIbLb0EES1P_EEDaS1K_S1L_EUlS1K_E_NS1_11comp_targetILNS1_3genE9ELNS1_11target_archE1100ELNS1_3gpuE3ELNS1_3repE0EEENS1_30default_config_static_selectorELNS0_4arch9wavefront6targetE0EEEvSY_.kd
    .uniform_work_group_size: 1
    .uses_dynamic_stack: false
    .vgpr_count:     0
    .vgpr_spill_count: 0
    .wavefront_size: 32
  - .args:
      - .offset:         0
        .size:           144
        .value_kind:     by_value
    .group_segment_fixed_size: 0
    .kernarg_segment_align: 8
    .kernarg_segment_size: 144
    .language:       OpenCL C
    .language_version:
      - 2
      - 0
    .max_flat_workgroup_size: 256
    .name:           _ZN7rocprim17ROCPRIM_400000_NS6detail17trampoline_kernelINS0_13select_configILj256ELj13ELNS0_17block_load_methodE3ELS4_3ELS4_3ELNS0_20block_scan_algorithmE0ELj4294967295EEENS1_25partition_config_selectorILNS1_17partition_subalgoE3EjNS0_10empty_typeEbEEZZNS1_14partition_implILS8_3ELb0ES6_jNS0_17counting_iteratorIjlEEPS9_SE_NS0_5tupleIJPjSE_EEENSF_IJSE_SE_EEES9_SG_JZNS1_25segmented_radix_sort_implINS0_14default_configELb0EPKaPaPKlPlN2at6native12_GLOBAL__N_18offset_tEEE10hipError_tPvRmT1_PNSt15iterator_traitsISY_E10value_typeET2_T3_PNSZ_IS14_E10value_typeET4_jRbjT5_S1A_jjP12ihipStream_tbEUljE_EEESV_SW_SX_S14_S18_S1A_T6_T7_T9_mT8_S1C_bDpT10_ENKUlT_T0_E_clISt17integral_constantIbLb0EES1P_EEDaS1K_S1L_EUlS1K_E_NS1_11comp_targetILNS1_3genE8ELNS1_11target_archE1030ELNS1_3gpuE2ELNS1_3repE0EEENS1_30default_config_static_selectorELNS0_4arch9wavefront6targetE0EEEvSY_
    .private_segment_fixed_size: 0
    .sgpr_count:     0
    .sgpr_spill_count: 0
    .symbol:         _ZN7rocprim17ROCPRIM_400000_NS6detail17trampoline_kernelINS0_13select_configILj256ELj13ELNS0_17block_load_methodE3ELS4_3ELS4_3ELNS0_20block_scan_algorithmE0ELj4294967295EEENS1_25partition_config_selectorILNS1_17partition_subalgoE3EjNS0_10empty_typeEbEEZZNS1_14partition_implILS8_3ELb0ES6_jNS0_17counting_iteratorIjlEEPS9_SE_NS0_5tupleIJPjSE_EEENSF_IJSE_SE_EEES9_SG_JZNS1_25segmented_radix_sort_implINS0_14default_configELb0EPKaPaPKlPlN2at6native12_GLOBAL__N_18offset_tEEE10hipError_tPvRmT1_PNSt15iterator_traitsISY_E10value_typeET2_T3_PNSZ_IS14_E10value_typeET4_jRbjT5_S1A_jjP12ihipStream_tbEUljE_EEESV_SW_SX_S14_S18_S1A_T6_T7_T9_mT8_S1C_bDpT10_ENKUlT_T0_E_clISt17integral_constantIbLb0EES1P_EEDaS1K_S1L_EUlS1K_E_NS1_11comp_targetILNS1_3genE8ELNS1_11target_archE1030ELNS1_3gpuE2ELNS1_3repE0EEENS1_30default_config_static_selectorELNS0_4arch9wavefront6targetE0EEEvSY_.kd
    .uniform_work_group_size: 1
    .uses_dynamic_stack: false
    .vgpr_count:     0
    .vgpr_spill_count: 0
    .wavefront_size: 32
  - .args:
      - .offset:         0
        .size:           152
        .value_kind:     by_value
    .group_segment_fixed_size: 0
    .kernarg_segment_align: 8
    .kernarg_segment_size: 152
    .language:       OpenCL C
    .language_version:
      - 2
      - 0
    .max_flat_workgroup_size: 256
    .name:           _ZN7rocprim17ROCPRIM_400000_NS6detail17trampoline_kernelINS0_13select_configILj256ELj13ELNS0_17block_load_methodE3ELS4_3ELS4_3ELNS0_20block_scan_algorithmE0ELj4294967295EEENS1_25partition_config_selectorILNS1_17partition_subalgoE3EjNS0_10empty_typeEbEEZZNS1_14partition_implILS8_3ELb0ES6_jNS0_17counting_iteratorIjlEEPS9_SE_NS0_5tupleIJPjSE_EEENSF_IJSE_SE_EEES9_SG_JZNS1_25segmented_radix_sort_implINS0_14default_configELb0EPKaPaPKlPlN2at6native12_GLOBAL__N_18offset_tEEE10hipError_tPvRmT1_PNSt15iterator_traitsISY_E10value_typeET2_T3_PNSZ_IS14_E10value_typeET4_jRbjT5_S1A_jjP12ihipStream_tbEUljE_EEESV_SW_SX_S14_S18_S1A_T6_T7_T9_mT8_S1C_bDpT10_ENKUlT_T0_E_clISt17integral_constantIbLb1EES1P_EEDaS1K_S1L_EUlS1K_E_NS1_11comp_targetILNS1_3genE0ELNS1_11target_archE4294967295ELNS1_3gpuE0ELNS1_3repE0EEENS1_30default_config_static_selectorELNS0_4arch9wavefront6targetE0EEEvSY_
    .private_segment_fixed_size: 0
    .sgpr_count:     0
    .sgpr_spill_count: 0
    .symbol:         _ZN7rocprim17ROCPRIM_400000_NS6detail17trampoline_kernelINS0_13select_configILj256ELj13ELNS0_17block_load_methodE3ELS4_3ELS4_3ELNS0_20block_scan_algorithmE0ELj4294967295EEENS1_25partition_config_selectorILNS1_17partition_subalgoE3EjNS0_10empty_typeEbEEZZNS1_14partition_implILS8_3ELb0ES6_jNS0_17counting_iteratorIjlEEPS9_SE_NS0_5tupleIJPjSE_EEENSF_IJSE_SE_EEES9_SG_JZNS1_25segmented_radix_sort_implINS0_14default_configELb0EPKaPaPKlPlN2at6native12_GLOBAL__N_18offset_tEEE10hipError_tPvRmT1_PNSt15iterator_traitsISY_E10value_typeET2_T3_PNSZ_IS14_E10value_typeET4_jRbjT5_S1A_jjP12ihipStream_tbEUljE_EEESV_SW_SX_S14_S18_S1A_T6_T7_T9_mT8_S1C_bDpT10_ENKUlT_T0_E_clISt17integral_constantIbLb1EES1P_EEDaS1K_S1L_EUlS1K_E_NS1_11comp_targetILNS1_3genE0ELNS1_11target_archE4294967295ELNS1_3gpuE0ELNS1_3repE0EEENS1_30default_config_static_selectorELNS0_4arch9wavefront6targetE0EEEvSY_.kd
    .uniform_work_group_size: 1
    .uses_dynamic_stack: false
    .vgpr_count:     0
    .vgpr_spill_count: 0
    .wavefront_size: 32
  - .args:
      - .offset:         0
        .size:           152
        .value_kind:     by_value
    .group_segment_fixed_size: 0
    .kernarg_segment_align: 8
    .kernarg_segment_size: 152
    .language:       OpenCL C
    .language_version:
      - 2
      - 0
    .max_flat_workgroup_size: 256
    .name:           _ZN7rocprim17ROCPRIM_400000_NS6detail17trampoline_kernelINS0_13select_configILj256ELj13ELNS0_17block_load_methodE3ELS4_3ELS4_3ELNS0_20block_scan_algorithmE0ELj4294967295EEENS1_25partition_config_selectorILNS1_17partition_subalgoE3EjNS0_10empty_typeEbEEZZNS1_14partition_implILS8_3ELb0ES6_jNS0_17counting_iteratorIjlEEPS9_SE_NS0_5tupleIJPjSE_EEENSF_IJSE_SE_EEES9_SG_JZNS1_25segmented_radix_sort_implINS0_14default_configELb0EPKaPaPKlPlN2at6native12_GLOBAL__N_18offset_tEEE10hipError_tPvRmT1_PNSt15iterator_traitsISY_E10value_typeET2_T3_PNSZ_IS14_E10value_typeET4_jRbjT5_S1A_jjP12ihipStream_tbEUljE_EEESV_SW_SX_S14_S18_S1A_T6_T7_T9_mT8_S1C_bDpT10_ENKUlT_T0_E_clISt17integral_constantIbLb1EES1P_EEDaS1K_S1L_EUlS1K_E_NS1_11comp_targetILNS1_3genE5ELNS1_11target_archE942ELNS1_3gpuE9ELNS1_3repE0EEENS1_30default_config_static_selectorELNS0_4arch9wavefront6targetE0EEEvSY_
    .private_segment_fixed_size: 0
    .sgpr_count:     0
    .sgpr_spill_count: 0
    .symbol:         _ZN7rocprim17ROCPRIM_400000_NS6detail17trampoline_kernelINS0_13select_configILj256ELj13ELNS0_17block_load_methodE3ELS4_3ELS4_3ELNS0_20block_scan_algorithmE0ELj4294967295EEENS1_25partition_config_selectorILNS1_17partition_subalgoE3EjNS0_10empty_typeEbEEZZNS1_14partition_implILS8_3ELb0ES6_jNS0_17counting_iteratorIjlEEPS9_SE_NS0_5tupleIJPjSE_EEENSF_IJSE_SE_EEES9_SG_JZNS1_25segmented_radix_sort_implINS0_14default_configELb0EPKaPaPKlPlN2at6native12_GLOBAL__N_18offset_tEEE10hipError_tPvRmT1_PNSt15iterator_traitsISY_E10value_typeET2_T3_PNSZ_IS14_E10value_typeET4_jRbjT5_S1A_jjP12ihipStream_tbEUljE_EEESV_SW_SX_S14_S18_S1A_T6_T7_T9_mT8_S1C_bDpT10_ENKUlT_T0_E_clISt17integral_constantIbLb1EES1P_EEDaS1K_S1L_EUlS1K_E_NS1_11comp_targetILNS1_3genE5ELNS1_11target_archE942ELNS1_3gpuE9ELNS1_3repE0EEENS1_30default_config_static_selectorELNS0_4arch9wavefront6targetE0EEEvSY_.kd
    .uniform_work_group_size: 1
    .uses_dynamic_stack: false
    .vgpr_count:     0
    .vgpr_spill_count: 0
    .wavefront_size: 32
  - .args:
      - .offset:         0
        .size:           152
        .value_kind:     by_value
    .group_segment_fixed_size: 0
    .kernarg_segment_align: 8
    .kernarg_segment_size: 152
    .language:       OpenCL C
    .language_version:
      - 2
      - 0
    .max_flat_workgroup_size: 256
    .name:           _ZN7rocprim17ROCPRIM_400000_NS6detail17trampoline_kernelINS0_13select_configILj256ELj13ELNS0_17block_load_methodE3ELS4_3ELS4_3ELNS0_20block_scan_algorithmE0ELj4294967295EEENS1_25partition_config_selectorILNS1_17partition_subalgoE3EjNS0_10empty_typeEbEEZZNS1_14partition_implILS8_3ELb0ES6_jNS0_17counting_iteratorIjlEEPS9_SE_NS0_5tupleIJPjSE_EEENSF_IJSE_SE_EEES9_SG_JZNS1_25segmented_radix_sort_implINS0_14default_configELb0EPKaPaPKlPlN2at6native12_GLOBAL__N_18offset_tEEE10hipError_tPvRmT1_PNSt15iterator_traitsISY_E10value_typeET2_T3_PNSZ_IS14_E10value_typeET4_jRbjT5_S1A_jjP12ihipStream_tbEUljE_EEESV_SW_SX_S14_S18_S1A_T6_T7_T9_mT8_S1C_bDpT10_ENKUlT_T0_E_clISt17integral_constantIbLb1EES1P_EEDaS1K_S1L_EUlS1K_E_NS1_11comp_targetILNS1_3genE4ELNS1_11target_archE910ELNS1_3gpuE8ELNS1_3repE0EEENS1_30default_config_static_selectorELNS0_4arch9wavefront6targetE0EEEvSY_
    .private_segment_fixed_size: 0
    .sgpr_count:     0
    .sgpr_spill_count: 0
    .symbol:         _ZN7rocprim17ROCPRIM_400000_NS6detail17trampoline_kernelINS0_13select_configILj256ELj13ELNS0_17block_load_methodE3ELS4_3ELS4_3ELNS0_20block_scan_algorithmE0ELj4294967295EEENS1_25partition_config_selectorILNS1_17partition_subalgoE3EjNS0_10empty_typeEbEEZZNS1_14partition_implILS8_3ELb0ES6_jNS0_17counting_iteratorIjlEEPS9_SE_NS0_5tupleIJPjSE_EEENSF_IJSE_SE_EEES9_SG_JZNS1_25segmented_radix_sort_implINS0_14default_configELb0EPKaPaPKlPlN2at6native12_GLOBAL__N_18offset_tEEE10hipError_tPvRmT1_PNSt15iterator_traitsISY_E10value_typeET2_T3_PNSZ_IS14_E10value_typeET4_jRbjT5_S1A_jjP12ihipStream_tbEUljE_EEESV_SW_SX_S14_S18_S1A_T6_T7_T9_mT8_S1C_bDpT10_ENKUlT_T0_E_clISt17integral_constantIbLb1EES1P_EEDaS1K_S1L_EUlS1K_E_NS1_11comp_targetILNS1_3genE4ELNS1_11target_archE910ELNS1_3gpuE8ELNS1_3repE0EEENS1_30default_config_static_selectorELNS0_4arch9wavefront6targetE0EEEvSY_.kd
    .uniform_work_group_size: 1
    .uses_dynamic_stack: false
    .vgpr_count:     0
    .vgpr_spill_count: 0
    .wavefront_size: 32
  - .args:
      - .offset:         0
        .size:           152
        .value_kind:     by_value
    .group_segment_fixed_size: 0
    .kernarg_segment_align: 8
    .kernarg_segment_size: 152
    .language:       OpenCL C
    .language_version:
      - 2
      - 0
    .max_flat_workgroup_size: 256
    .name:           _ZN7rocprim17ROCPRIM_400000_NS6detail17trampoline_kernelINS0_13select_configILj256ELj13ELNS0_17block_load_methodE3ELS4_3ELS4_3ELNS0_20block_scan_algorithmE0ELj4294967295EEENS1_25partition_config_selectorILNS1_17partition_subalgoE3EjNS0_10empty_typeEbEEZZNS1_14partition_implILS8_3ELb0ES6_jNS0_17counting_iteratorIjlEEPS9_SE_NS0_5tupleIJPjSE_EEENSF_IJSE_SE_EEES9_SG_JZNS1_25segmented_radix_sort_implINS0_14default_configELb0EPKaPaPKlPlN2at6native12_GLOBAL__N_18offset_tEEE10hipError_tPvRmT1_PNSt15iterator_traitsISY_E10value_typeET2_T3_PNSZ_IS14_E10value_typeET4_jRbjT5_S1A_jjP12ihipStream_tbEUljE_EEESV_SW_SX_S14_S18_S1A_T6_T7_T9_mT8_S1C_bDpT10_ENKUlT_T0_E_clISt17integral_constantIbLb1EES1P_EEDaS1K_S1L_EUlS1K_E_NS1_11comp_targetILNS1_3genE3ELNS1_11target_archE908ELNS1_3gpuE7ELNS1_3repE0EEENS1_30default_config_static_selectorELNS0_4arch9wavefront6targetE0EEEvSY_
    .private_segment_fixed_size: 0
    .sgpr_count:     0
    .sgpr_spill_count: 0
    .symbol:         _ZN7rocprim17ROCPRIM_400000_NS6detail17trampoline_kernelINS0_13select_configILj256ELj13ELNS0_17block_load_methodE3ELS4_3ELS4_3ELNS0_20block_scan_algorithmE0ELj4294967295EEENS1_25partition_config_selectorILNS1_17partition_subalgoE3EjNS0_10empty_typeEbEEZZNS1_14partition_implILS8_3ELb0ES6_jNS0_17counting_iteratorIjlEEPS9_SE_NS0_5tupleIJPjSE_EEENSF_IJSE_SE_EEES9_SG_JZNS1_25segmented_radix_sort_implINS0_14default_configELb0EPKaPaPKlPlN2at6native12_GLOBAL__N_18offset_tEEE10hipError_tPvRmT1_PNSt15iterator_traitsISY_E10value_typeET2_T3_PNSZ_IS14_E10value_typeET4_jRbjT5_S1A_jjP12ihipStream_tbEUljE_EEESV_SW_SX_S14_S18_S1A_T6_T7_T9_mT8_S1C_bDpT10_ENKUlT_T0_E_clISt17integral_constantIbLb1EES1P_EEDaS1K_S1L_EUlS1K_E_NS1_11comp_targetILNS1_3genE3ELNS1_11target_archE908ELNS1_3gpuE7ELNS1_3repE0EEENS1_30default_config_static_selectorELNS0_4arch9wavefront6targetE0EEEvSY_.kd
    .uniform_work_group_size: 1
    .uses_dynamic_stack: false
    .vgpr_count:     0
    .vgpr_spill_count: 0
    .wavefront_size: 32
  - .args:
      - .offset:         0
        .size:           152
        .value_kind:     by_value
    .group_segment_fixed_size: 0
    .kernarg_segment_align: 8
    .kernarg_segment_size: 152
    .language:       OpenCL C
    .language_version:
      - 2
      - 0
    .max_flat_workgroup_size: 256
    .name:           _ZN7rocprim17ROCPRIM_400000_NS6detail17trampoline_kernelINS0_13select_configILj256ELj13ELNS0_17block_load_methodE3ELS4_3ELS4_3ELNS0_20block_scan_algorithmE0ELj4294967295EEENS1_25partition_config_selectorILNS1_17partition_subalgoE3EjNS0_10empty_typeEbEEZZNS1_14partition_implILS8_3ELb0ES6_jNS0_17counting_iteratorIjlEEPS9_SE_NS0_5tupleIJPjSE_EEENSF_IJSE_SE_EEES9_SG_JZNS1_25segmented_radix_sort_implINS0_14default_configELb0EPKaPaPKlPlN2at6native12_GLOBAL__N_18offset_tEEE10hipError_tPvRmT1_PNSt15iterator_traitsISY_E10value_typeET2_T3_PNSZ_IS14_E10value_typeET4_jRbjT5_S1A_jjP12ihipStream_tbEUljE_EEESV_SW_SX_S14_S18_S1A_T6_T7_T9_mT8_S1C_bDpT10_ENKUlT_T0_E_clISt17integral_constantIbLb1EES1P_EEDaS1K_S1L_EUlS1K_E_NS1_11comp_targetILNS1_3genE2ELNS1_11target_archE906ELNS1_3gpuE6ELNS1_3repE0EEENS1_30default_config_static_selectorELNS0_4arch9wavefront6targetE0EEEvSY_
    .private_segment_fixed_size: 0
    .sgpr_count:     0
    .sgpr_spill_count: 0
    .symbol:         _ZN7rocprim17ROCPRIM_400000_NS6detail17trampoline_kernelINS0_13select_configILj256ELj13ELNS0_17block_load_methodE3ELS4_3ELS4_3ELNS0_20block_scan_algorithmE0ELj4294967295EEENS1_25partition_config_selectorILNS1_17partition_subalgoE3EjNS0_10empty_typeEbEEZZNS1_14partition_implILS8_3ELb0ES6_jNS0_17counting_iteratorIjlEEPS9_SE_NS0_5tupleIJPjSE_EEENSF_IJSE_SE_EEES9_SG_JZNS1_25segmented_radix_sort_implINS0_14default_configELb0EPKaPaPKlPlN2at6native12_GLOBAL__N_18offset_tEEE10hipError_tPvRmT1_PNSt15iterator_traitsISY_E10value_typeET2_T3_PNSZ_IS14_E10value_typeET4_jRbjT5_S1A_jjP12ihipStream_tbEUljE_EEESV_SW_SX_S14_S18_S1A_T6_T7_T9_mT8_S1C_bDpT10_ENKUlT_T0_E_clISt17integral_constantIbLb1EES1P_EEDaS1K_S1L_EUlS1K_E_NS1_11comp_targetILNS1_3genE2ELNS1_11target_archE906ELNS1_3gpuE6ELNS1_3repE0EEENS1_30default_config_static_selectorELNS0_4arch9wavefront6targetE0EEEvSY_.kd
    .uniform_work_group_size: 1
    .uses_dynamic_stack: false
    .vgpr_count:     0
    .vgpr_spill_count: 0
    .wavefront_size: 32
  - .args:
      - .offset:         0
        .size:           152
        .value_kind:     by_value
    .group_segment_fixed_size: 0
    .kernarg_segment_align: 8
    .kernarg_segment_size: 152
    .language:       OpenCL C
    .language_version:
      - 2
      - 0
    .max_flat_workgroup_size: 256
    .name:           _ZN7rocprim17ROCPRIM_400000_NS6detail17trampoline_kernelINS0_13select_configILj256ELj13ELNS0_17block_load_methodE3ELS4_3ELS4_3ELNS0_20block_scan_algorithmE0ELj4294967295EEENS1_25partition_config_selectorILNS1_17partition_subalgoE3EjNS0_10empty_typeEbEEZZNS1_14partition_implILS8_3ELb0ES6_jNS0_17counting_iteratorIjlEEPS9_SE_NS0_5tupleIJPjSE_EEENSF_IJSE_SE_EEES9_SG_JZNS1_25segmented_radix_sort_implINS0_14default_configELb0EPKaPaPKlPlN2at6native12_GLOBAL__N_18offset_tEEE10hipError_tPvRmT1_PNSt15iterator_traitsISY_E10value_typeET2_T3_PNSZ_IS14_E10value_typeET4_jRbjT5_S1A_jjP12ihipStream_tbEUljE_EEESV_SW_SX_S14_S18_S1A_T6_T7_T9_mT8_S1C_bDpT10_ENKUlT_T0_E_clISt17integral_constantIbLb1EES1P_EEDaS1K_S1L_EUlS1K_E_NS1_11comp_targetILNS1_3genE10ELNS1_11target_archE1200ELNS1_3gpuE4ELNS1_3repE0EEENS1_30default_config_static_selectorELNS0_4arch9wavefront6targetE0EEEvSY_
    .private_segment_fixed_size: 0
    .sgpr_count:     0
    .sgpr_spill_count: 0
    .symbol:         _ZN7rocprim17ROCPRIM_400000_NS6detail17trampoline_kernelINS0_13select_configILj256ELj13ELNS0_17block_load_methodE3ELS4_3ELS4_3ELNS0_20block_scan_algorithmE0ELj4294967295EEENS1_25partition_config_selectorILNS1_17partition_subalgoE3EjNS0_10empty_typeEbEEZZNS1_14partition_implILS8_3ELb0ES6_jNS0_17counting_iteratorIjlEEPS9_SE_NS0_5tupleIJPjSE_EEENSF_IJSE_SE_EEES9_SG_JZNS1_25segmented_radix_sort_implINS0_14default_configELb0EPKaPaPKlPlN2at6native12_GLOBAL__N_18offset_tEEE10hipError_tPvRmT1_PNSt15iterator_traitsISY_E10value_typeET2_T3_PNSZ_IS14_E10value_typeET4_jRbjT5_S1A_jjP12ihipStream_tbEUljE_EEESV_SW_SX_S14_S18_S1A_T6_T7_T9_mT8_S1C_bDpT10_ENKUlT_T0_E_clISt17integral_constantIbLb1EES1P_EEDaS1K_S1L_EUlS1K_E_NS1_11comp_targetILNS1_3genE10ELNS1_11target_archE1200ELNS1_3gpuE4ELNS1_3repE0EEENS1_30default_config_static_selectorELNS0_4arch9wavefront6targetE0EEEvSY_.kd
    .uniform_work_group_size: 1
    .uses_dynamic_stack: false
    .vgpr_count:     0
    .vgpr_spill_count: 0
    .wavefront_size: 32
  - .args:
      - .offset:         0
        .size:           152
        .value_kind:     by_value
    .group_segment_fixed_size: 0
    .kernarg_segment_align: 8
    .kernarg_segment_size: 152
    .language:       OpenCL C
    .language_version:
      - 2
      - 0
    .max_flat_workgroup_size: 256
    .name:           _ZN7rocprim17ROCPRIM_400000_NS6detail17trampoline_kernelINS0_13select_configILj256ELj13ELNS0_17block_load_methodE3ELS4_3ELS4_3ELNS0_20block_scan_algorithmE0ELj4294967295EEENS1_25partition_config_selectorILNS1_17partition_subalgoE3EjNS0_10empty_typeEbEEZZNS1_14partition_implILS8_3ELb0ES6_jNS0_17counting_iteratorIjlEEPS9_SE_NS0_5tupleIJPjSE_EEENSF_IJSE_SE_EEES9_SG_JZNS1_25segmented_radix_sort_implINS0_14default_configELb0EPKaPaPKlPlN2at6native12_GLOBAL__N_18offset_tEEE10hipError_tPvRmT1_PNSt15iterator_traitsISY_E10value_typeET2_T3_PNSZ_IS14_E10value_typeET4_jRbjT5_S1A_jjP12ihipStream_tbEUljE_EEESV_SW_SX_S14_S18_S1A_T6_T7_T9_mT8_S1C_bDpT10_ENKUlT_T0_E_clISt17integral_constantIbLb1EES1P_EEDaS1K_S1L_EUlS1K_E_NS1_11comp_targetILNS1_3genE9ELNS1_11target_archE1100ELNS1_3gpuE3ELNS1_3repE0EEENS1_30default_config_static_selectorELNS0_4arch9wavefront6targetE0EEEvSY_
    .private_segment_fixed_size: 0
    .sgpr_count:     0
    .sgpr_spill_count: 0
    .symbol:         _ZN7rocprim17ROCPRIM_400000_NS6detail17trampoline_kernelINS0_13select_configILj256ELj13ELNS0_17block_load_methodE3ELS4_3ELS4_3ELNS0_20block_scan_algorithmE0ELj4294967295EEENS1_25partition_config_selectorILNS1_17partition_subalgoE3EjNS0_10empty_typeEbEEZZNS1_14partition_implILS8_3ELb0ES6_jNS0_17counting_iteratorIjlEEPS9_SE_NS0_5tupleIJPjSE_EEENSF_IJSE_SE_EEES9_SG_JZNS1_25segmented_radix_sort_implINS0_14default_configELb0EPKaPaPKlPlN2at6native12_GLOBAL__N_18offset_tEEE10hipError_tPvRmT1_PNSt15iterator_traitsISY_E10value_typeET2_T3_PNSZ_IS14_E10value_typeET4_jRbjT5_S1A_jjP12ihipStream_tbEUljE_EEESV_SW_SX_S14_S18_S1A_T6_T7_T9_mT8_S1C_bDpT10_ENKUlT_T0_E_clISt17integral_constantIbLb1EES1P_EEDaS1K_S1L_EUlS1K_E_NS1_11comp_targetILNS1_3genE9ELNS1_11target_archE1100ELNS1_3gpuE3ELNS1_3repE0EEENS1_30default_config_static_selectorELNS0_4arch9wavefront6targetE0EEEvSY_.kd
    .uniform_work_group_size: 1
    .uses_dynamic_stack: false
    .vgpr_count:     0
    .vgpr_spill_count: 0
    .wavefront_size: 32
  - .args:
      - .offset:         0
        .size:           152
        .value_kind:     by_value
    .group_segment_fixed_size: 0
    .kernarg_segment_align: 8
    .kernarg_segment_size: 152
    .language:       OpenCL C
    .language_version:
      - 2
      - 0
    .max_flat_workgroup_size: 256
    .name:           _ZN7rocprim17ROCPRIM_400000_NS6detail17trampoline_kernelINS0_13select_configILj256ELj13ELNS0_17block_load_methodE3ELS4_3ELS4_3ELNS0_20block_scan_algorithmE0ELj4294967295EEENS1_25partition_config_selectorILNS1_17partition_subalgoE3EjNS0_10empty_typeEbEEZZNS1_14partition_implILS8_3ELb0ES6_jNS0_17counting_iteratorIjlEEPS9_SE_NS0_5tupleIJPjSE_EEENSF_IJSE_SE_EEES9_SG_JZNS1_25segmented_radix_sort_implINS0_14default_configELb0EPKaPaPKlPlN2at6native12_GLOBAL__N_18offset_tEEE10hipError_tPvRmT1_PNSt15iterator_traitsISY_E10value_typeET2_T3_PNSZ_IS14_E10value_typeET4_jRbjT5_S1A_jjP12ihipStream_tbEUljE_EEESV_SW_SX_S14_S18_S1A_T6_T7_T9_mT8_S1C_bDpT10_ENKUlT_T0_E_clISt17integral_constantIbLb1EES1P_EEDaS1K_S1L_EUlS1K_E_NS1_11comp_targetILNS1_3genE8ELNS1_11target_archE1030ELNS1_3gpuE2ELNS1_3repE0EEENS1_30default_config_static_selectorELNS0_4arch9wavefront6targetE0EEEvSY_
    .private_segment_fixed_size: 0
    .sgpr_count:     0
    .sgpr_spill_count: 0
    .symbol:         _ZN7rocprim17ROCPRIM_400000_NS6detail17trampoline_kernelINS0_13select_configILj256ELj13ELNS0_17block_load_methodE3ELS4_3ELS4_3ELNS0_20block_scan_algorithmE0ELj4294967295EEENS1_25partition_config_selectorILNS1_17partition_subalgoE3EjNS0_10empty_typeEbEEZZNS1_14partition_implILS8_3ELb0ES6_jNS0_17counting_iteratorIjlEEPS9_SE_NS0_5tupleIJPjSE_EEENSF_IJSE_SE_EEES9_SG_JZNS1_25segmented_radix_sort_implINS0_14default_configELb0EPKaPaPKlPlN2at6native12_GLOBAL__N_18offset_tEEE10hipError_tPvRmT1_PNSt15iterator_traitsISY_E10value_typeET2_T3_PNSZ_IS14_E10value_typeET4_jRbjT5_S1A_jjP12ihipStream_tbEUljE_EEESV_SW_SX_S14_S18_S1A_T6_T7_T9_mT8_S1C_bDpT10_ENKUlT_T0_E_clISt17integral_constantIbLb1EES1P_EEDaS1K_S1L_EUlS1K_E_NS1_11comp_targetILNS1_3genE8ELNS1_11target_archE1030ELNS1_3gpuE2ELNS1_3repE0EEENS1_30default_config_static_selectorELNS0_4arch9wavefront6targetE0EEEvSY_.kd
    .uniform_work_group_size: 1
    .uses_dynamic_stack: false
    .vgpr_count:     0
    .vgpr_spill_count: 0
    .wavefront_size: 32
  - .args:
      - .offset:         0
        .size:           144
        .value_kind:     by_value
    .group_segment_fixed_size: 0
    .kernarg_segment_align: 8
    .kernarg_segment_size: 144
    .language:       OpenCL C
    .language_version:
      - 2
      - 0
    .max_flat_workgroup_size: 256
    .name:           _ZN7rocprim17ROCPRIM_400000_NS6detail17trampoline_kernelINS0_13select_configILj256ELj13ELNS0_17block_load_methodE3ELS4_3ELS4_3ELNS0_20block_scan_algorithmE0ELj4294967295EEENS1_25partition_config_selectorILNS1_17partition_subalgoE3EjNS0_10empty_typeEbEEZZNS1_14partition_implILS8_3ELb0ES6_jNS0_17counting_iteratorIjlEEPS9_SE_NS0_5tupleIJPjSE_EEENSF_IJSE_SE_EEES9_SG_JZNS1_25segmented_radix_sort_implINS0_14default_configELb0EPKaPaPKlPlN2at6native12_GLOBAL__N_18offset_tEEE10hipError_tPvRmT1_PNSt15iterator_traitsISY_E10value_typeET2_T3_PNSZ_IS14_E10value_typeET4_jRbjT5_S1A_jjP12ihipStream_tbEUljE_EEESV_SW_SX_S14_S18_S1A_T6_T7_T9_mT8_S1C_bDpT10_ENKUlT_T0_E_clISt17integral_constantIbLb1EES1O_IbLb0EEEEDaS1K_S1L_EUlS1K_E_NS1_11comp_targetILNS1_3genE0ELNS1_11target_archE4294967295ELNS1_3gpuE0ELNS1_3repE0EEENS1_30default_config_static_selectorELNS0_4arch9wavefront6targetE0EEEvSY_
    .private_segment_fixed_size: 0
    .sgpr_count:     0
    .sgpr_spill_count: 0
    .symbol:         _ZN7rocprim17ROCPRIM_400000_NS6detail17trampoline_kernelINS0_13select_configILj256ELj13ELNS0_17block_load_methodE3ELS4_3ELS4_3ELNS0_20block_scan_algorithmE0ELj4294967295EEENS1_25partition_config_selectorILNS1_17partition_subalgoE3EjNS0_10empty_typeEbEEZZNS1_14partition_implILS8_3ELb0ES6_jNS0_17counting_iteratorIjlEEPS9_SE_NS0_5tupleIJPjSE_EEENSF_IJSE_SE_EEES9_SG_JZNS1_25segmented_radix_sort_implINS0_14default_configELb0EPKaPaPKlPlN2at6native12_GLOBAL__N_18offset_tEEE10hipError_tPvRmT1_PNSt15iterator_traitsISY_E10value_typeET2_T3_PNSZ_IS14_E10value_typeET4_jRbjT5_S1A_jjP12ihipStream_tbEUljE_EEESV_SW_SX_S14_S18_S1A_T6_T7_T9_mT8_S1C_bDpT10_ENKUlT_T0_E_clISt17integral_constantIbLb1EES1O_IbLb0EEEEDaS1K_S1L_EUlS1K_E_NS1_11comp_targetILNS1_3genE0ELNS1_11target_archE4294967295ELNS1_3gpuE0ELNS1_3repE0EEENS1_30default_config_static_selectorELNS0_4arch9wavefront6targetE0EEEvSY_.kd
    .uniform_work_group_size: 1
    .uses_dynamic_stack: false
    .vgpr_count:     0
    .vgpr_spill_count: 0
    .wavefront_size: 32
  - .args:
      - .offset:         0
        .size:           144
        .value_kind:     by_value
    .group_segment_fixed_size: 0
    .kernarg_segment_align: 8
    .kernarg_segment_size: 144
    .language:       OpenCL C
    .language_version:
      - 2
      - 0
    .max_flat_workgroup_size: 256
    .name:           _ZN7rocprim17ROCPRIM_400000_NS6detail17trampoline_kernelINS0_13select_configILj256ELj13ELNS0_17block_load_methodE3ELS4_3ELS4_3ELNS0_20block_scan_algorithmE0ELj4294967295EEENS1_25partition_config_selectorILNS1_17partition_subalgoE3EjNS0_10empty_typeEbEEZZNS1_14partition_implILS8_3ELb0ES6_jNS0_17counting_iteratorIjlEEPS9_SE_NS0_5tupleIJPjSE_EEENSF_IJSE_SE_EEES9_SG_JZNS1_25segmented_radix_sort_implINS0_14default_configELb0EPKaPaPKlPlN2at6native12_GLOBAL__N_18offset_tEEE10hipError_tPvRmT1_PNSt15iterator_traitsISY_E10value_typeET2_T3_PNSZ_IS14_E10value_typeET4_jRbjT5_S1A_jjP12ihipStream_tbEUljE_EEESV_SW_SX_S14_S18_S1A_T6_T7_T9_mT8_S1C_bDpT10_ENKUlT_T0_E_clISt17integral_constantIbLb1EES1O_IbLb0EEEEDaS1K_S1L_EUlS1K_E_NS1_11comp_targetILNS1_3genE5ELNS1_11target_archE942ELNS1_3gpuE9ELNS1_3repE0EEENS1_30default_config_static_selectorELNS0_4arch9wavefront6targetE0EEEvSY_
    .private_segment_fixed_size: 0
    .sgpr_count:     0
    .sgpr_spill_count: 0
    .symbol:         _ZN7rocprim17ROCPRIM_400000_NS6detail17trampoline_kernelINS0_13select_configILj256ELj13ELNS0_17block_load_methodE3ELS4_3ELS4_3ELNS0_20block_scan_algorithmE0ELj4294967295EEENS1_25partition_config_selectorILNS1_17partition_subalgoE3EjNS0_10empty_typeEbEEZZNS1_14partition_implILS8_3ELb0ES6_jNS0_17counting_iteratorIjlEEPS9_SE_NS0_5tupleIJPjSE_EEENSF_IJSE_SE_EEES9_SG_JZNS1_25segmented_radix_sort_implINS0_14default_configELb0EPKaPaPKlPlN2at6native12_GLOBAL__N_18offset_tEEE10hipError_tPvRmT1_PNSt15iterator_traitsISY_E10value_typeET2_T3_PNSZ_IS14_E10value_typeET4_jRbjT5_S1A_jjP12ihipStream_tbEUljE_EEESV_SW_SX_S14_S18_S1A_T6_T7_T9_mT8_S1C_bDpT10_ENKUlT_T0_E_clISt17integral_constantIbLb1EES1O_IbLb0EEEEDaS1K_S1L_EUlS1K_E_NS1_11comp_targetILNS1_3genE5ELNS1_11target_archE942ELNS1_3gpuE9ELNS1_3repE0EEENS1_30default_config_static_selectorELNS0_4arch9wavefront6targetE0EEEvSY_.kd
    .uniform_work_group_size: 1
    .uses_dynamic_stack: false
    .vgpr_count:     0
    .vgpr_spill_count: 0
    .wavefront_size: 32
  - .args:
      - .offset:         0
        .size:           144
        .value_kind:     by_value
    .group_segment_fixed_size: 0
    .kernarg_segment_align: 8
    .kernarg_segment_size: 144
    .language:       OpenCL C
    .language_version:
      - 2
      - 0
    .max_flat_workgroup_size: 256
    .name:           _ZN7rocprim17ROCPRIM_400000_NS6detail17trampoline_kernelINS0_13select_configILj256ELj13ELNS0_17block_load_methodE3ELS4_3ELS4_3ELNS0_20block_scan_algorithmE0ELj4294967295EEENS1_25partition_config_selectorILNS1_17partition_subalgoE3EjNS0_10empty_typeEbEEZZNS1_14partition_implILS8_3ELb0ES6_jNS0_17counting_iteratorIjlEEPS9_SE_NS0_5tupleIJPjSE_EEENSF_IJSE_SE_EEES9_SG_JZNS1_25segmented_radix_sort_implINS0_14default_configELb0EPKaPaPKlPlN2at6native12_GLOBAL__N_18offset_tEEE10hipError_tPvRmT1_PNSt15iterator_traitsISY_E10value_typeET2_T3_PNSZ_IS14_E10value_typeET4_jRbjT5_S1A_jjP12ihipStream_tbEUljE_EEESV_SW_SX_S14_S18_S1A_T6_T7_T9_mT8_S1C_bDpT10_ENKUlT_T0_E_clISt17integral_constantIbLb1EES1O_IbLb0EEEEDaS1K_S1L_EUlS1K_E_NS1_11comp_targetILNS1_3genE4ELNS1_11target_archE910ELNS1_3gpuE8ELNS1_3repE0EEENS1_30default_config_static_selectorELNS0_4arch9wavefront6targetE0EEEvSY_
    .private_segment_fixed_size: 0
    .sgpr_count:     0
    .sgpr_spill_count: 0
    .symbol:         _ZN7rocprim17ROCPRIM_400000_NS6detail17trampoline_kernelINS0_13select_configILj256ELj13ELNS0_17block_load_methodE3ELS4_3ELS4_3ELNS0_20block_scan_algorithmE0ELj4294967295EEENS1_25partition_config_selectorILNS1_17partition_subalgoE3EjNS0_10empty_typeEbEEZZNS1_14partition_implILS8_3ELb0ES6_jNS0_17counting_iteratorIjlEEPS9_SE_NS0_5tupleIJPjSE_EEENSF_IJSE_SE_EEES9_SG_JZNS1_25segmented_radix_sort_implINS0_14default_configELb0EPKaPaPKlPlN2at6native12_GLOBAL__N_18offset_tEEE10hipError_tPvRmT1_PNSt15iterator_traitsISY_E10value_typeET2_T3_PNSZ_IS14_E10value_typeET4_jRbjT5_S1A_jjP12ihipStream_tbEUljE_EEESV_SW_SX_S14_S18_S1A_T6_T7_T9_mT8_S1C_bDpT10_ENKUlT_T0_E_clISt17integral_constantIbLb1EES1O_IbLb0EEEEDaS1K_S1L_EUlS1K_E_NS1_11comp_targetILNS1_3genE4ELNS1_11target_archE910ELNS1_3gpuE8ELNS1_3repE0EEENS1_30default_config_static_selectorELNS0_4arch9wavefront6targetE0EEEvSY_.kd
    .uniform_work_group_size: 1
    .uses_dynamic_stack: false
    .vgpr_count:     0
    .vgpr_spill_count: 0
    .wavefront_size: 32
  - .args:
      - .offset:         0
        .size:           144
        .value_kind:     by_value
    .group_segment_fixed_size: 0
    .kernarg_segment_align: 8
    .kernarg_segment_size: 144
    .language:       OpenCL C
    .language_version:
      - 2
      - 0
    .max_flat_workgroup_size: 256
    .name:           _ZN7rocprim17ROCPRIM_400000_NS6detail17trampoline_kernelINS0_13select_configILj256ELj13ELNS0_17block_load_methodE3ELS4_3ELS4_3ELNS0_20block_scan_algorithmE0ELj4294967295EEENS1_25partition_config_selectorILNS1_17partition_subalgoE3EjNS0_10empty_typeEbEEZZNS1_14partition_implILS8_3ELb0ES6_jNS0_17counting_iteratorIjlEEPS9_SE_NS0_5tupleIJPjSE_EEENSF_IJSE_SE_EEES9_SG_JZNS1_25segmented_radix_sort_implINS0_14default_configELb0EPKaPaPKlPlN2at6native12_GLOBAL__N_18offset_tEEE10hipError_tPvRmT1_PNSt15iterator_traitsISY_E10value_typeET2_T3_PNSZ_IS14_E10value_typeET4_jRbjT5_S1A_jjP12ihipStream_tbEUljE_EEESV_SW_SX_S14_S18_S1A_T6_T7_T9_mT8_S1C_bDpT10_ENKUlT_T0_E_clISt17integral_constantIbLb1EES1O_IbLb0EEEEDaS1K_S1L_EUlS1K_E_NS1_11comp_targetILNS1_3genE3ELNS1_11target_archE908ELNS1_3gpuE7ELNS1_3repE0EEENS1_30default_config_static_selectorELNS0_4arch9wavefront6targetE0EEEvSY_
    .private_segment_fixed_size: 0
    .sgpr_count:     0
    .sgpr_spill_count: 0
    .symbol:         _ZN7rocprim17ROCPRIM_400000_NS6detail17trampoline_kernelINS0_13select_configILj256ELj13ELNS0_17block_load_methodE3ELS4_3ELS4_3ELNS0_20block_scan_algorithmE0ELj4294967295EEENS1_25partition_config_selectorILNS1_17partition_subalgoE3EjNS0_10empty_typeEbEEZZNS1_14partition_implILS8_3ELb0ES6_jNS0_17counting_iteratorIjlEEPS9_SE_NS0_5tupleIJPjSE_EEENSF_IJSE_SE_EEES9_SG_JZNS1_25segmented_radix_sort_implINS0_14default_configELb0EPKaPaPKlPlN2at6native12_GLOBAL__N_18offset_tEEE10hipError_tPvRmT1_PNSt15iterator_traitsISY_E10value_typeET2_T3_PNSZ_IS14_E10value_typeET4_jRbjT5_S1A_jjP12ihipStream_tbEUljE_EEESV_SW_SX_S14_S18_S1A_T6_T7_T9_mT8_S1C_bDpT10_ENKUlT_T0_E_clISt17integral_constantIbLb1EES1O_IbLb0EEEEDaS1K_S1L_EUlS1K_E_NS1_11comp_targetILNS1_3genE3ELNS1_11target_archE908ELNS1_3gpuE7ELNS1_3repE0EEENS1_30default_config_static_selectorELNS0_4arch9wavefront6targetE0EEEvSY_.kd
    .uniform_work_group_size: 1
    .uses_dynamic_stack: false
    .vgpr_count:     0
    .vgpr_spill_count: 0
    .wavefront_size: 32
  - .args:
      - .offset:         0
        .size:           144
        .value_kind:     by_value
    .group_segment_fixed_size: 0
    .kernarg_segment_align: 8
    .kernarg_segment_size: 144
    .language:       OpenCL C
    .language_version:
      - 2
      - 0
    .max_flat_workgroup_size: 256
    .name:           _ZN7rocprim17ROCPRIM_400000_NS6detail17trampoline_kernelINS0_13select_configILj256ELj13ELNS0_17block_load_methodE3ELS4_3ELS4_3ELNS0_20block_scan_algorithmE0ELj4294967295EEENS1_25partition_config_selectorILNS1_17partition_subalgoE3EjNS0_10empty_typeEbEEZZNS1_14partition_implILS8_3ELb0ES6_jNS0_17counting_iteratorIjlEEPS9_SE_NS0_5tupleIJPjSE_EEENSF_IJSE_SE_EEES9_SG_JZNS1_25segmented_radix_sort_implINS0_14default_configELb0EPKaPaPKlPlN2at6native12_GLOBAL__N_18offset_tEEE10hipError_tPvRmT1_PNSt15iterator_traitsISY_E10value_typeET2_T3_PNSZ_IS14_E10value_typeET4_jRbjT5_S1A_jjP12ihipStream_tbEUljE_EEESV_SW_SX_S14_S18_S1A_T6_T7_T9_mT8_S1C_bDpT10_ENKUlT_T0_E_clISt17integral_constantIbLb1EES1O_IbLb0EEEEDaS1K_S1L_EUlS1K_E_NS1_11comp_targetILNS1_3genE2ELNS1_11target_archE906ELNS1_3gpuE6ELNS1_3repE0EEENS1_30default_config_static_selectorELNS0_4arch9wavefront6targetE0EEEvSY_
    .private_segment_fixed_size: 0
    .sgpr_count:     0
    .sgpr_spill_count: 0
    .symbol:         _ZN7rocprim17ROCPRIM_400000_NS6detail17trampoline_kernelINS0_13select_configILj256ELj13ELNS0_17block_load_methodE3ELS4_3ELS4_3ELNS0_20block_scan_algorithmE0ELj4294967295EEENS1_25partition_config_selectorILNS1_17partition_subalgoE3EjNS0_10empty_typeEbEEZZNS1_14partition_implILS8_3ELb0ES6_jNS0_17counting_iteratorIjlEEPS9_SE_NS0_5tupleIJPjSE_EEENSF_IJSE_SE_EEES9_SG_JZNS1_25segmented_radix_sort_implINS0_14default_configELb0EPKaPaPKlPlN2at6native12_GLOBAL__N_18offset_tEEE10hipError_tPvRmT1_PNSt15iterator_traitsISY_E10value_typeET2_T3_PNSZ_IS14_E10value_typeET4_jRbjT5_S1A_jjP12ihipStream_tbEUljE_EEESV_SW_SX_S14_S18_S1A_T6_T7_T9_mT8_S1C_bDpT10_ENKUlT_T0_E_clISt17integral_constantIbLb1EES1O_IbLb0EEEEDaS1K_S1L_EUlS1K_E_NS1_11comp_targetILNS1_3genE2ELNS1_11target_archE906ELNS1_3gpuE6ELNS1_3repE0EEENS1_30default_config_static_selectorELNS0_4arch9wavefront6targetE0EEEvSY_.kd
    .uniform_work_group_size: 1
    .uses_dynamic_stack: false
    .vgpr_count:     0
    .vgpr_spill_count: 0
    .wavefront_size: 32
  - .args:
      - .offset:         0
        .size:           144
        .value_kind:     by_value
    .group_segment_fixed_size: 0
    .kernarg_segment_align: 8
    .kernarg_segment_size: 144
    .language:       OpenCL C
    .language_version:
      - 2
      - 0
    .max_flat_workgroup_size: 256
    .name:           _ZN7rocprim17ROCPRIM_400000_NS6detail17trampoline_kernelINS0_13select_configILj256ELj13ELNS0_17block_load_methodE3ELS4_3ELS4_3ELNS0_20block_scan_algorithmE0ELj4294967295EEENS1_25partition_config_selectorILNS1_17partition_subalgoE3EjNS0_10empty_typeEbEEZZNS1_14partition_implILS8_3ELb0ES6_jNS0_17counting_iteratorIjlEEPS9_SE_NS0_5tupleIJPjSE_EEENSF_IJSE_SE_EEES9_SG_JZNS1_25segmented_radix_sort_implINS0_14default_configELb0EPKaPaPKlPlN2at6native12_GLOBAL__N_18offset_tEEE10hipError_tPvRmT1_PNSt15iterator_traitsISY_E10value_typeET2_T3_PNSZ_IS14_E10value_typeET4_jRbjT5_S1A_jjP12ihipStream_tbEUljE_EEESV_SW_SX_S14_S18_S1A_T6_T7_T9_mT8_S1C_bDpT10_ENKUlT_T0_E_clISt17integral_constantIbLb1EES1O_IbLb0EEEEDaS1K_S1L_EUlS1K_E_NS1_11comp_targetILNS1_3genE10ELNS1_11target_archE1200ELNS1_3gpuE4ELNS1_3repE0EEENS1_30default_config_static_selectorELNS0_4arch9wavefront6targetE0EEEvSY_
    .private_segment_fixed_size: 0
    .sgpr_count:     0
    .sgpr_spill_count: 0
    .symbol:         _ZN7rocprim17ROCPRIM_400000_NS6detail17trampoline_kernelINS0_13select_configILj256ELj13ELNS0_17block_load_methodE3ELS4_3ELS4_3ELNS0_20block_scan_algorithmE0ELj4294967295EEENS1_25partition_config_selectorILNS1_17partition_subalgoE3EjNS0_10empty_typeEbEEZZNS1_14partition_implILS8_3ELb0ES6_jNS0_17counting_iteratorIjlEEPS9_SE_NS0_5tupleIJPjSE_EEENSF_IJSE_SE_EEES9_SG_JZNS1_25segmented_radix_sort_implINS0_14default_configELb0EPKaPaPKlPlN2at6native12_GLOBAL__N_18offset_tEEE10hipError_tPvRmT1_PNSt15iterator_traitsISY_E10value_typeET2_T3_PNSZ_IS14_E10value_typeET4_jRbjT5_S1A_jjP12ihipStream_tbEUljE_EEESV_SW_SX_S14_S18_S1A_T6_T7_T9_mT8_S1C_bDpT10_ENKUlT_T0_E_clISt17integral_constantIbLb1EES1O_IbLb0EEEEDaS1K_S1L_EUlS1K_E_NS1_11comp_targetILNS1_3genE10ELNS1_11target_archE1200ELNS1_3gpuE4ELNS1_3repE0EEENS1_30default_config_static_selectorELNS0_4arch9wavefront6targetE0EEEvSY_.kd
    .uniform_work_group_size: 1
    .uses_dynamic_stack: false
    .vgpr_count:     0
    .vgpr_spill_count: 0
    .wavefront_size: 32
  - .args:
      - .offset:         0
        .size:           144
        .value_kind:     by_value
    .group_segment_fixed_size: 0
    .kernarg_segment_align: 8
    .kernarg_segment_size: 144
    .language:       OpenCL C
    .language_version:
      - 2
      - 0
    .max_flat_workgroup_size: 256
    .name:           _ZN7rocprim17ROCPRIM_400000_NS6detail17trampoline_kernelINS0_13select_configILj256ELj13ELNS0_17block_load_methodE3ELS4_3ELS4_3ELNS0_20block_scan_algorithmE0ELj4294967295EEENS1_25partition_config_selectorILNS1_17partition_subalgoE3EjNS0_10empty_typeEbEEZZNS1_14partition_implILS8_3ELb0ES6_jNS0_17counting_iteratorIjlEEPS9_SE_NS0_5tupleIJPjSE_EEENSF_IJSE_SE_EEES9_SG_JZNS1_25segmented_radix_sort_implINS0_14default_configELb0EPKaPaPKlPlN2at6native12_GLOBAL__N_18offset_tEEE10hipError_tPvRmT1_PNSt15iterator_traitsISY_E10value_typeET2_T3_PNSZ_IS14_E10value_typeET4_jRbjT5_S1A_jjP12ihipStream_tbEUljE_EEESV_SW_SX_S14_S18_S1A_T6_T7_T9_mT8_S1C_bDpT10_ENKUlT_T0_E_clISt17integral_constantIbLb1EES1O_IbLb0EEEEDaS1K_S1L_EUlS1K_E_NS1_11comp_targetILNS1_3genE9ELNS1_11target_archE1100ELNS1_3gpuE3ELNS1_3repE0EEENS1_30default_config_static_selectorELNS0_4arch9wavefront6targetE0EEEvSY_
    .private_segment_fixed_size: 0
    .sgpr_count:     0
    .sgpr_spill_count: 0
    .symbol:         _ZN7rocprim17ROCPRIM_400000_NS6detail17trampoline_kernelINS0_13select_configILj256ELj13ELNS0_17block_load_methodE3ELS4_3ELS4_3ELNS0_20block_scan_algorithmE0ELj4294967295EEENS1_25partition_config_selectorILNS1_17partition_subalgoE3EjNS0_10empty_typeEbEEZZNS1_14partition_implILS8_3ELb0ES6_jNS0_17counting_iteratorIjlEEPS9_SE_NS0_5tupleIJPjSE_EEENSF_IJSE_SE_EEES9_SG_JZNS1_25segmented_radix_sort_implINS0_14default_configELb0EPKaPaPKlPlN2at6native12_GLOBAL__N_18offset_tEEE10hipError_tPvRmT1_PNSt15iterator_traitsISY_E10value_typeET2_T3_PNSZ_IS14_E10value_typeET4_jRbjT5_S1A_jjP12ihipStream_tbEUljE_EEESV_SW_SX_S14_S18_S1A_T6_T7_T9_mT8_S1C_bDpT10_ENKUlT_T0_E_clISt17integral_constantIbLb1EES1O_IbLb0EEEEDaS1K_S1L_EUlS1K_E_NS1_11comp_targetILNS1_3genE9ELNS1_11target_archE1100ELNS1_3gpuE3ELNS1_3repE0EEENS1_30default_config_static_selectorELNS0_4arch9wavefront6targetE0EEEvSY_.kd
    .uniform_work_group_size: 1
    .uses_dynamic_stack: false
    .vgpr_count:     0
    .vgpr_spill_count: 0
    .wavefront_size: 32
  - .args:
      - .offset:         0
        .size:           144
        .value_kind:     by_value
    .group_segment_fixed_size: 0
    .kernarg_segment_align: 8
    .kernarg_segment_size: 144
    .language:       OpenCL C
    .language_version:
      - 2
      - 0
    .max_flat_workgroup_size: 256
    .name:           _ZN7rocprim17ROCPRIM_400000_NS6detail17trampoline_kernelINS0_13select_configILj256ELj13ELNS0_17block_load_methodE3ELS4_3ELS4_3ELNS0_20block_scan_algorithmE0ELj4294967295EEENS1_25partition_config_selectorILNS1_17partition_subalgoE3EjNS0_10empty_typeEbEEZZNS1_14partition_implILS8_3ELb0ES6_jNS0_17counting_iteratorIjlEEPS9_SE_NS0_5tupleIJPjSE_EEENSF_IJSE_SE_EEES9_SG_JZNS1_25segmented_radix_sort_implINS0_14default_configELb0EPKaPaPKlPlN2at6native12_GLOBAL__N_18offset_tEEE10hipError_tPvRmT1_PNSt15iterator_traitsISY_E10value_typeET2_T3_PNSZ_IS14_E10value_typeET4_jRbjT5_S1A_jjP12ihipStream_tbEUljE_EEESV_SW_SX_S14_S18_S1A_T6_T7_T9_mT8_S1C_bDpT10_ENKUlT_T0_E_clISt17integral_constantIbLb1EES1O_IbLb0EEEEDaS1K_S1L_EUlS1K_E_NS1_11comp_targetILNS1_3genE8ELNS1_11target_archE1030ELNS1_3gpuE2ELNS1_3repE0EEENS1_30default_config_static_selectorELNS0_4arch9wavefront6targetE0EEEvSY_
    .private_segment_fixed_size: 0
    .sgpr_count:     0
    .sgpr_spill_count: 0
    .symbol:         _ZN7rocprim17ROCPRIM_400000_NS6detail17trampoline_kernelINS0_13select_configILj256ELj13ELNS0_17block_load_methodE3ELS4_3ELS4_3ELNS0_20block_scan_algorithmE0ELj4294967295EEENS1_25partition_config_selectorILNS1_17partition_subalgoE3EjNS0_10empty_typeEbEEZZNS1_14partition_implILS8_3ELb0ES6_jNS0_17counting_iteratorIjlEEPS9_SE_NS0_5tupleIJPjSE_EEENSF_IJSE_SE_EEES9_SG_JZNS1_25segmented_radix_sort_implINS0_14default_configELb0EPKaPaPKlPlN2at6native12_GLOBAL__N_18offset_tEEE10hipError_tPvRmT1_PNSt15iterator_traitsISY_E10value_typeET2_T3_PNSZ_IS14_E10value_typeET4_jRbjT5_S1A_jjP12ihipStream_tbEUljE_EEESV_SW_SX_S14_S18_S1A_T6_T7_T9_mT8_S1C_bDpT10_ENKUlT_T0_E_clISt17integral_constantIbLb1EES1O_IbLb0EEEEDaS1K_S1L_EUlS1K_E_NS1_11comp_targetILNS1_3genE8ELNS1_11target_archE1030ELNS1_3gpuE2ELNS1_3repE0EEENS1_30default_config_static_selectorELNS0_4arch9wavefront6targetE0EEEvSY_.kd
    .uniform_work_group_size: 1
    .uses_dynamic_stack: false
    .vgpr_count:     0
    .vgpr_spill_count: 0
    .wavefront_size: 32
  - .args:
      - .offset:         0
        .size:           152
        .value_kind:     by_value
    .group_segment_fixed_size: 13320
    .kernarg_segment_align: 8
    .kernarg_segment_size: 152
    .language:       OpenCL C
    .language_version:
      - 2
      - 0
    .max_flat_workgroup_size: 256
    .name:           _ZN7rocprim17ROCPRIM_400000_NS6detail17trampoline_kernelINS0_13select_configILj256ELj13ELNS0_17block_load_methodE3ELS4_3ELS4_3ELNS0_20block_scan_algorithmE0ELj4294967295EEENS1_25partition_config_selectorILNS1_17partition_subalgoE3EjNS0_10empty_typeEbEEZZNS1_14partition_implILS8_3ELb0ES6_jNS0_17counting_iteratorIjlEEPS9_SE_NS0_5tupleIJPjSE_EEENSF_IJSE_SE_EEES9_SG_JZNS1_25segmented_radix_sort_implINS0_14default_configELb0EPKaPaPKlPlN2at6native12_GLOBAL__N_18offset_tEEE10hipError_tPvRmT1_PNSt15iterator_traitsISY_E10value_typeET2_T3_PNSZ_IS14_E10value_typeET4_jRbjT5_S1A_jjP12ihipStream_tbEUljE_EEESV_SW_SX_S14_S18_S1A_T6_T7_T9_mT8_S1C_bDpT10_ENKUlT_T0_E_clISt17integral_constantIbLb0EES1O_IbLb1EEEEDaS1K_S1L_EUlS1K_E_NS1_11comp_targetILNS1_3genE0ELNS1_11target_archE4294967295ELNS1_3gpuE0ELNS1_3repE0EEENS1_30default_config_static_selectorELNS0_4arch9wavefront6targetE0EEEvSY_
    .private_segment_fixed_size: 0
    .sgpr_count:     26
    .sgpr_spill_count: 0
    .symbol:         _ZN7rocprim17ROCPRIM_400000_NS6detail17trampoline_kernelINS0_13select_configILj256ELj13ELNS0_17block_load_methodE3ELS4_3ELS4_3ELNS0_20block_scan_algorithmE0ELj4294967295EEENS1_25partition_config_selectorILNS1_17partition_subalgoE3EjNS0_10empty_typeEbEEZZNS1_14partition_implILS8_3ELb0ES6_jNS0_17counting_iteratorIjlEEPS9_SE_NS0_5tupleIJPjSE_EEENSF_IJSE_SE_EEES9_SG_JZNS1_25segmented_radix_sort_implINS0_14default_configELb0EPKaPaPKlPlN2at6native12_GLOBAL__N_18offset_tEEE10hipError_tPvRmT1_PNSt15iterator_traitsISY_E10value_typeET2_T3_PNSZ_IS14_E10value_typeET4_jRbjT5_S1A_jjP12ihipStream_tbEUljE_EEESV_SW_SX_S14_S18_S1A_T6_T7_T9_mT8_S1C_bDpT10_ENKUlT_T0_E_clISt17integral_constantIbLb0EES1O_IbLb1EEEEDaS1K_S1L_EUlS1K_E_NS1_11comp_targetILNS1_3genE0ELNS1_11target_archE4294967295ELNS1_3gpuE0ELNS1_3repE0EEENS1_30default_config_static_selectorELNS0_4arch9wavefront6targetE0EEEvSY_.kd
    .uniform_work_group_size: 1
    .uses_dynamic_stack: false
    .vgpr_count:     72
    .vgpr_spill_count: 0
    .wavefront_size: 32
  - .args:
      - .offset:         0
        .size:           152
        .value_kind:     by_value
    .group_segment_fixed_size: 0
    .kernarg_segment_align: 8
    .kernarg_segment_size: 152
    .language:       OpenCL C
    .language_version:
      - 2
      - 0
    .max_flat_workgroup_size: 256
    .name:           _ZN7rocprim17ROCPRIM_400000_NS6detail17trampoline_kernelINS0_13select_configILj256ELj13ELNS0_17block_load_methodE3ELS4_3ELS4_3ELNS0_20block_scan_algorithmE0ELj4294967295EEENS1_25partition_config_selectorILNS1_17partition_subalgoE3EjNS0_10empty_typeEbEEZZNS1_14partition_implILS8_3ELb0ES6_jNS0_17counting_iteratorIjlEEPS9_SE_NS0_5tupleIJPjSE_EEENSF_IJSE_SE_EEES9_SG_JZNS1_25segmented_radix_sort_implINS0_14default_configELb0EPKaPaPKlPlN2at6native12_GLOBAL__N_18offset_tEEE10hipError_tPvRmT1_PNSt15iterator_traitsISY_E10value_typeET2_T3_PNSZ_IS14_E10value_typeET4_jRbjT5_S1A_jjP12ihipStream_tbEUljE_EEESV_SW_SX_S14_S18_S1A_T6_T7_T9_mT8_S1C_bDpT10_ENKUlT_T0_E_clISt17integral_constantIbLb0EES1O_IbLb1EEEEDaS1K_S1L_EUlS1K_E_NS1_11comp_targetILNS1_3genE5ELNS1_11target_archE942ELNS1_3gpuE9ELNS1_3repE0EEENS1_30default_config_static_selectorELNS0_4arch9wavefront6targetE0EEEvSY_
    .private_segment_fixed_size: 0
    .sgpr_count:     0
    .sgpr_spill_count: 0
    .symbol:         _ZN7rocprim17ROCPRIM_400000_NS6detail17trampoline_kernelINS0_13select_configILj256ELj13ELNS0_17block_load_methodE3ELS4_3ELS4_3ELNS0_20block_scan_algorithmE0ELj4294967295EEENS1_25partition_config_selectorILNS1_17partition_subalgoE3EjNS0_10empty_typeEbEEZZNS1_14partition_implILS8_3ELb0ES6_jNS0_17counting_iteratorIjlEEPS9_SE_NS0_5tupleIJPjSE_EEENSF_IJSE_SE_EEES9_SG_JZNS1_25segmented_radix_sort_implINS0_14default_configELb0EPKaPaPKlPlN2at6native12_GLOBAL__N_18offset_tEEE10hipError_tPvRmT1_PNSt15iterator_traitsISY_E10value_typeET2_T3_PNSZ_IS14_E10value_typeET4_jRbjT5_S1A_jjP12ihipStream_tbEUljE_EEESV_SW_SX_S14_S18_S1A_T6_T7_T9_mT8_S1C_bDpT10_ENKUlT_T0_E_clISt17integral_constantIbLb0EES1O_IbLb1EEEEDaS1K_S1L_EUlS1K_E_NS1_11comp_targetILNS1_3genE5ELNS1_11target_archE942ELNS1_3gpuE9ELNS1_3repE0EEENS1_30default_config_static_selectorELNS0_4arch9wavefront6targetE0EEEvSY_.kd
    .uniform_work_group_size: 1
    .uses_dynamic_stack: false
    .vgpr_count:     0
    .vgpr_spill_count: 0
    .wavefront_size: 32
  - .args:
      - .offset:         0
        .size:           152
        .value_kind:     by_value
    .group_segment_fixed_size: 0
    .kernarg_segment_align: 8
    .kernarg_segment_size: 152
    .language:       OpenCL C
    .language_version:
      - 2
      - 0
    .max_flat_workgroup_size: 256
    .name:           _ZN7rocprim17ROCPRIM_400000_NS6detail17trampoline_kernelINS0_13select_configILj256ELj13ELNS0_17block_load_methodE3ELS4_3ELS4_3ELNS0_20block_scan_algorithmE0ELj4294967295EEENS1_25partition_config_selectorILNS1_17partition_subalgoE3EjNS0_10empty_typeEbEEZZNS1_14partition_implILS8_3ELb0ES6_jNS0_17counting_iteratorIjlEEPS9_SE_NS0_5tupleIJPjSE_EEENSF_IJSE_SE_EEES9_SG_JZNS1_25segmented_radix_sort_implINS0_14default_configELb0EPKaPaPKlPlN2at6native12_GLOBAL__N_18offset_tEEE10hipError_tPvRmT1_PNSt15iterator_traitsISY_E10value_typeET2_T3_PNSZ_IS14_E10value_typeET4_jRbjT5_S1A_jjP12ihipStream_tbEUljE_EEESV_SW_SX_S14_S18_S1A_T6_T7_T9_mT8_S1C_bDpT10_ENKUlT_T0_E_clISt17integral_constantIbLb0EES1O_IbLb1EEEEDaS1K_S1L_EUlS1K_E_NS1_11comp_targetILNS1_3genE4ELNS1_11target_archE910ELNS1_3gpuE8ELNS1_3repE0EEENS1_30default_config_static_selectorELNS0_4arch9wavefront6targetE0EEEvSY_
    .private_segment_fixed_size: 0
    .sgpr_count:     0
    .sgpr_spill_count: 0
    .symbol:         _ZN7rocprim17ROCPRIM_400000_NS6detail17trampoline_kernelINS0_13select_configILj256ELj13ELNS0_17block_load_methodE3ELS4_3ELS4_3ELNS0_20block_scan_algorithmE0ELj4294967295EEENS1_25partition_config_selectorILNS1_17partition_subalgoE3EjNS0_10empty_typeEbEEZZNS1_14partition_implILS8_3ELb0ES6_jNS0_17counting_iteratorIjlEEPS9_SE_NS0_5tupleIJPjSE_EEENSF_IJSE_SE_EEES9_SG_JZNS1_25segmented_radix_sort_implINS0_14default_configELb0EPKaPaPKlPlN2at6native12_GLOBAL__N_18offset_tEEE10hipError_tPvRmT1_PNSt15iterator_traitsISY_E10value_typeET2_T3_PNSZ_IS14_E10value_typeET4_jRbjT5_S1A_jjP12ihipStream_tbEUljE_EEESV_SW_SX_S14_S18_S1A_T6_T7_T9_mT8_S1C_bDpT10_ENKUlT_T0_E_clISt17integral_constantIbLb0EES1O_IbLb1EEEEDaS1K_S1L_EUlS1K_E_NS1_11comp_targetILNS1_3genE4ELNS1_11target_archE910ELNS1_3gpuE8ELNS1_3repE0EEENS1_30default_config_static_selectorELNS0_4arch9wavefront6targetE0EEEvSY_.kd
    .uniform_work_group_size: 1
    .uses_dynamic_stack: false
    .vgpr_count:     0
    .vgpr_spill_count: 0
    .wavefront_size: 32
  - .args:
      - .offset:         0
        .size:           152
        .value_kind:     by_value
    .group_segment_fixed_size: 0
    .kernarg_segment_align: 8
    .kernarg_segment_size: 152
    .language:       OpenCL C
    .language_version:
      - 2
      - 0
    .max_flat_workgroup_size: 256
    .name:           _ZN7rocprim17ROCPRIM_400000_NS6detail17trampoline_kernelINS0_13select_configILj256ELj13ELNS0_17block_load_methodE3ELS4_3ELS4_3ELNS0_20block_scan_algorithmE0ELj4294967295EEENS1_25partition_config_selectorILNS1_17partition_subalgoE3EjNS0_10empty_typeEbEEZZNS1_14partition_implILS8_3ELb0ES6_jNS0_17counting_iteratorIjlEEPS9_SE_NS0_5tupleIJPjSE_EEENSF_IJSE_SE_EEES9_SG_JZNS1_25segmented_radix_sort_implINS0_14default_configELb0EPKaPaPKlPlN2at6native12_GLOBAL__N_18offset_tEEE10hipError_tPvRmT1_PNSt15iterator_traitsISY_E10value_typeET2_T3_PNSZ_IS14_E10value_typeET4_jRbjT5_S1A_jjP12ihipStream_tbEUljE_EEESV_SW_SX_S14_S18_S1A_T6_T7_T9_mT8_S1C_bDpT10_ENKUlT_T0_E_clISt17integral_constantIbLb0EES1O_IbLb1EEEEDaS1K_S1L_EUlS1K_E_NS1_11comp_targetILNS1_3genE3ELNS1_11target_archE908ELNS1_3gpuE7ELNS1_3repE0EEENS1_30default_config_static_selectorELNS0_4arch9wavefront6targetE0EEEvSY_
    .private_segment_fixed_size: 0
    .sgpr_count:     0
    .sgpr_spill_count: 0
    .symbol:         _ZN7rocprim17ROCPRIM_400000_NS6detail17trampoline_kernelINS0_13select_configILj256ELj13ELNS0_17block_load_methodE3ELS4_3ELS4_3ELNS0_20block_scan_algorithmE0ELj4294967295EEENS1_25partition_config_selectorILNS1_17partition_subalgoE3EjNS0_10empty_typeEbEEZZNS1_14partition_implILS8_3ELb0ES6_jNS0_17counting_iteratorIjlEEPS9_SE_NS0_5tupleIJPjSE_EEENSF_IJSE_SE_EEES9_SG_JZNS1_25segmented_radix_sort_implINS0_14default_configELb0EPKaPaPKlPlN2at6native12_GLOBAL__N_18offset_tEEE10hipError_tPvRmT1_PNSt15iterator_traitsISY_E10value_typeET2_T3_PNSZ_IS14_E10value_typeET4_jRbjT5_S1A_jjP12ihipStream_tbEUljE_EEESV_SW_SX_S14_S18_S1A_T6_T7_T9_mT8_S1C_bDpT10_ENKUlT_T0_E_clISt17integral_constantIbLb0EES1O_IbLb1EEEEDaS1K_S1L_EUlS1K_E_NS1_11comp_targetILNS1_3genE3ELNS1_11target_archE908ELNS1_3gpuE7ELNS1_3repE0EEENS1_30default_config_static_selectorELNS0_4arch9wavefront6targetE0EEEvSY_.kd
    .uniform_work_group_size: 1
    .uses_dynamic_stack: false
    .vgpr_count:     0
    .vgpr_spill_count: 0
    .wavefront_size: 32
  - .args:
      - .offset:         0
        .size:           152
        .value_kind:     by_value
    .group_segment_fixed_size: 0
    .kernarg_segment_align: 8
    .kernarg_segment_size: 152
    .language:       OpenCL C
    .language_version:
      - 2
      - 0
    .max_flat_workgroup_size: 256
    .name:           _ZN7rocprim17ROCPRIM_400000_NS6detail17trampoline_kernelINS0_13select_configILj256ELj13ELNS0_17block_load_methodE3ELS4_3ELS4_3ELNS0_20block_scan_algorithmE0ELj4294967295EEENS1_25partition_config_selectorILNS1_17partition_subalgoE3EjNS0_10empty_typeEbEEZZNS1_14partition_implILS8_3ELb0ES6_jNS0_17counting_iteratorIjlEEPS9_SE_NS0_5tupleIJPjSE_EEENSF_IJSE_SE_EEES9_SG_JZNS1_25segmented_radix_sort_implINS0_14default_configELb0EPKaPaPKlPlN2at6native12_GLOBAL__N_18offset_tEEE10hipError_tPvRmT1_PNSt15iterator_traitsISY_E10value_typeET2_T3_PNSZ_IS14_E10value_typeET4_jRbjT5_S1A_jjP12ihipStream_tbEUljE_EEESV_SW_SX_S14_S18_S1A_T6_T7_T9_mT8_S1C_bDpT10_ENKUlT_T0_E_clISt17integral_constantIbLb0EES1O_IbLb1EEEEDaS1K_S1L_EUlS1K_E_NS1_11comp_targetILNS1_3genE2ELNS1_11target_archE906ELNS1_3gpuE6ELNS1_3repE0EEENS1_30default_config_static_selectorELNS0_4arch9wavefront6targetE0EEEvSY_
    .private_segment_fixed_size: 0
    .sgpr_count:     0
    .sgpr_spill_count: 0
    .symbol:         _ZN7rocprim17ROCPRIM_400000_NS6detail17trampoline_kernelINS0_13select_configILj256ELj13ELNS0_17block_load_methodE3ELS4_3ELS4_3ELNS0_20block_scan_algorithmE0ELj4294967295EEENS1_25partition_config_selectorILNS1_17partition_subalgoE3EjNS0_10empty_typeEbEEZZNS1_14partition_implILS8_3ELb0ES6_jNS0_17counting_iteratorIjlEEPS9_SE_NS0_5tupleIJPjSE_EEENSF_IJSE_SE_EEES9_SG_JZNS1_25segmented_radix_sort_implINS0_14default_configELb0EPKaPaPKlPlN2at6native12_GLOBAL__N_18offset_tEEE10hipError_tPvRmT1_PNSt15iterator_traitsISY_E10value_typeET2_T3_PNSZ_IS14_E10value_typeET4_jRbjT5_S1A_jjP12ihipStream_tbEUljE_EEESV_SW_SX_S14_S18_S1A_T6_T7_T9_mT8_S1C_bDpT10_ENKUlT_T0_E_clISt17integral_constantIbLb0EES1O_IbLb1EEEEDaS1K_S1L_EUlS1K_E_NS1_11comp_targetILNS1_3genE2ELNS1_11target_archE906ELNS1_3gpuE6ELNS1_3repE0EEENS1_30default_config_static_selectorELNS0_4arch9wavefront6targetE0EEEvSY_.kd
    .uniform_work_group_size: 1
    .uses_dynamic_stack: false
    .vgpr_count:     0
    .vgpr_spill_count: 0
    .wavefront_size: 32
  - .args:
      - .offset:         0
        .size:           152
        .value_kind:     by_value
    .group_segment_fixed_size: 0
    .kernarg_segment_align: 8
    .kernarg_segment_size: 152
    .language:       OpenCL C
    .language_version:
      - 2
      - 0
    .max_flat_workgroup_size: 256
    .name:           _ZN7rocprim17ROCPRIM_400000_NS6detail17trampoline_kernelINS0_13select_configILj256ELj13ELNS0_17block_load_methodE3ELS4_3ELS4_3ELNS0_20block_scan_algorithmE0ELj4294967295EEENS1_25partition_config_selectorILNS1_17partition_subalgoE3EjNS0_10empty_typeEbEEZZNS1_14partition_implILS8_3ELb0ES6_jNS0_17counting_iteratorIjlEEPS9_SE_NS0_5tupleIJPjSE_EEENSF_IJSE_SE_EEES9_SG_JZNS1_25segmented_radix_sort_implINS0_14default_configELb0EPKaPaPKlPlN2at6native12_GLOBAL__N_18offset_tEEE10hipError_tPvRmT1_PNSt15iterator_traitsISY_E10value_typeET2_T3_PNSZ_IS14_E10value_typeET4_jRbjT5_S1A_jjP12ihipStream_tbEUljE_EEESV_SW_SX_S14_S18_S1A_T6_T7_T9_mT8_S1C_bDpT10_ENKUlT_T0_E_clISt17integral_constantIbLb0EES1O_IbLb1EEEEDaS1K_S1L_EUlS1K_E_NS1_11comp_targetILNS1_3genE10ELNS1_11target_archE1200ELNS1_3gpuE4ELNS1_3repE0EEENS1_30default_config_static_selectorELNS0_4arch9wavefront6targetE0EEEvSY_
    .private_segment_fixed_size: 0
    .sgpr_count:     0
    .sgpr_spill_count: 0
    .symbol:         _ZN7rocprim17ROCPRIM_400000_NS6detail17trampoline_kernelINS0_13select_configILj256ELj13ELNS0_17block_load_methodE3ELS4_3ELS4_3ELNS0_20block_scan_algorithmE0ELj4294967295EEENS1_25partition_config_selectorILNS1_17partition_subalgoE3EjNS0_10empty_typeEbEEZZNS1_14partition_implILS8_3ELb0ES6_jNS0_17counting_iteratorIjlEEPS9_SE_NS0_5tupleIJPjSE_EEENSF_IJSE_SE_EEES9_SG_JZNS1_25segmented_radix_sort_implINS0_14default_configELb0EPKaPaPKlPlN2at6native12_GLOBAL__N_18offset_tEEE10hipError_tPvRmT1_PNSt15iterator_traitsISY_E10value_typeET2_T3_PNSZ_IS14_E10value_typeET4_jRbjT5_S1A_jjP12ihipStream_tbEUljE_EEESV_SW_SX_S14_S18_S1A_T6_T7_T9_mT8_S1C_bDpT10_ENKUlT_T0_E_clISt17integral_constantIbLb0EES1O_IbLb1EEEEDaS1K_S1L_EUlS1K_E_NS1_11comp_targetILNS1_3genE10ELNS1_11target_archE1200ELNS1_3gpuE4ELNS1_3repE0EEENS1_30default_config_static_selectorELNS0_4arch9wavefront6targetE0EEEvSY_.kd
    .uniform_work_group_size: 1
    .uses_dynamic_stack: false
    .vgpr_count:     0
    .vgpr_spill_count: 0
    .wavefront_size: 32
  - .args:
      - .offset:         0
        .size:           152
        .value_kind:     by_value
    .group_segment_fixed_size: 0
    .kernarg_segment_align: 8
    .kernarg_segment_size: 152
    .language:       OpenCL C
    .language_version:
      - 2
      - 0
    .max_flat_workgroup_size: 256
    .name:           _ZN7rocprim17ROCPRIM_400000_NS6detail17trampoline_kernelINS0_13select_configILj256ELj13ELNS0_17block_load_methodE3ELS4_3ELS4_3ELNS0_20block_scan_algorithmE0ELj4294967295EEENS1_25partition_config_selectorILNS1_17partition_subalgoE3EjNS0_10empty_typeEbEEZZNS1_14partition_implILS8_3ELb0ES6_jNS0_17counting_iteratorIjlEEPS9_SE_NS0_5tupleIJPjSE_EEENSF_IJSE_SE_EEES9_SG_JZNS1_25segmented_radix_sort_implINS0_14default_configELb0EPKaPaPKlPlN2at6native12_GLOBAL__N_18offset_tEEE10hipError_tPvRmT1_PNSt15iterator_traitsISY_E10value_typeET2_T3_PNSZ_IS14_E10value_typeET4_jRbjT5_S1A_jjP12ihipStream_tbEUljE_EEESV_SW_SX_S14_S18_S1A_T6_T7_T9_mT8_S1C_bDpT10_ENKUlT_T0_E_clISt17integral_constantIbLb0EES1O_IbLb1EEEEDaS1K_S1L_EUlS1K_E_NS1_11comp_targetILNS1_3genE9ELNS1_11target_archE1100ELNS1_3gpuE3ELNS1_3repE0EEENS1_30default_config_static_selectorELNS0_4arch9wavefront6targetE0EEEvSY_
    .private_segment_fixed_size: 0
    .sgpr_count:     0
    .sgpr_spill_count: 0
    .symbol:         _ZN7rocprim17ROCPRIM_400000_NS6detail17trampoline_kernelINS0_13select_configILj256ELj13ELNS0_17block_load_methodE3ELS4_3ELS4_3ELNS0_20block_scan_algorithmE0ELj4294967295EEENS1_25partition_config_selectorILNS1_17partition_subalgoE3EjNS0_10empty_typeEbEEZZNS1_14partition_implILS8_3ELb0ES6_jNS0_17counting_iteratorIjlEEPS9_SE_NS0_5tupleIJPjSE_EEENSF_IJSE_SE_EEES9_SG_JZNS1_25segmented_radix_sort_implINS0_14default_configELb0EPKaPaPKlPlN2at6native12_GLOBAL__N_18offset_tEEE10hipError_tPvRmT1_PNSt15iterator_traitsISY_E10value_typeET2_T3_PNSZ_IS14_E10value_typeET4_jRbjT5_S1A_jjP12ihipStream_tbEUljE_EEESV_SW_SX_S14_S18_S1A_T6_T7_T9_mT8_S1C_bDpT10_ENKUlT_T0_E_clISt17integral_constantIbLb0EES1O_IbLb1EEEEDaS1K_S1L_EUlS1K_E_NS1_11comp_targetILNS1_3genE9ELNS1_11target_archE1100ELNS1_3gpuE3ELNS1_3repE0EEENS1_30default_config_static_selectorELNS0_4arch9wavefront6targetE0EEEvSY_.kd
    .uniform_work_group_size: 1
    .uses_dynamic_stack: false
    .vgpr_count:     0
    .vgpr_spill_count: 0
    .wavefront_size: 32
  - .args:
      - .offset:         0
        .size:           152
        .value_kind:     by_value
    .group_segment_fixed_size: 0
    .kernarg_segment_align: 8
    .kernarg_segment_size: 152
    .language:       OpenCL C
    .language_version:
      - 2
      - 0
    .max_flat_workgroup_size: 256
    .name:           _ZN7rocprim17ROCPRIM_400000_NS6detail17trampoline_kernelINS0_13select_configILj256ELj13ELNS0_17block_load_methodE3ELS4_3ELS4_3ELNS0_20block_scan_algorithmE0ELj4294967295EEENS1_25partition_config_selectorILNS1_17partition_subalgoE3EjNS0_10empty_typeEbEEZZNS1_14partition_implILS8_3ELb0ES6_jNS0_17counting_iteratorIjlEEPS9_SE_NS0_5tupleIJPjSE_EEENSF_IJSE_SE_EEES9_SG_JZNS1_25segmented_radix_sort_implINS0_14default_configELb0EPKaPaPKlPlN2at6native12_GLOBAL__N_18offset_tEEE10hipError_tPvRmT1_PNSt15iterator_traitsISY_E10value_typeET2_T3_PNSZ_IS14_E10value_typeET4_jRbjT5_S1A_jjP12ihipStream_tbEUljE_EEESV_SW_SX_S14_S18_S1A_T6_T7_T9_mT8_S1C_bDpT10_ENKUlT_T0_E_clISt17integral_constantIbLb0EES1O_IbLb1EEEEDaS1K_S1L_EUlS1K_E_NS1_11comp_targetILNS1_3genE8ELNS1_11target_archE1030ELNS1_3gpuE2ELNS1_3repE0EEENS1_30default_config_static_selectorELNS0_4arch9wavefront6targetE0EEEvSY_
    .private_segment_fixed_size: 0
    .sgpr_count:     0
    .sgpr_spill_count: 0
    .symbol:         _ZN7rocprim17ROCPRIM_400000_NS6detail17trampoline_kernelINS0_13select_configILj256ELj13ELNS0_17block_load_methodE3ELS4_3ELS4_3ELNS0_20block_scan_algorithmE0ELj4294967295EEENS1_25partition_config_selectorILNS1_17partition_subalgoE3EjNS0_10empty_typeEbEEZZNS1_14partition_implILS8_3ELb0ES6_jNS0_17counting_iteratorIjlEEPS9_SE_NS0_5tupleIJPjSE_EEENSF_IJSE_SE_EEES9_SG_JZNS1_25segmented_radix_sort_implINS0_14default_configELb0EPKaPaPKlPlN2at6native12_GLOBAL__N_18offset_tEEE10hipError_tPvRmT1_PNSt15iterator_traitsISY_E10value_typeET2_T3_PNSZ_IS14_E10value_typeET4_jRbjT5_S1A_jjP12ihipStream_tbEUljE_EEESV_SW_SX_S14_S18_S1A_T6_T7_T9_mT8_S1C_bDpT10_ENKUlT_T0_E_clISt17integral_constantIbLb0EES1O_IbLb1EEEEDaS1K_S1L_EUlS1K_E_NS1_11comp_targetILNS1_3genE8ELNS1_11target_archE1030ELNS1_3gpuE2ELNS1_3repE0EEENS1_30default_config_static_selectorELNS0_4arch9wavefront6targetE0EEEvSY_.kd
    .uniform_work_group_size: 1
    .uses_dynamic_stack: false
    .vgpr_count:     0
    .vgpr_spill_count: 0
    .wavefront_size: 32
  - .args:
      - .offset:         0
        .size:           96
        .value_kind:     by_value
      - .offset:         96
        .size:           4
        .value_kind:     hidden_block_count_x
      - .offset:         100
        .size:           4
        .value_kind:     hidden_block_count_y
      - .offset:         104
        .size:           4
        .value_kind:     hidden_block_count_z
      - .offset:         108
        .size:           2
        .value_kind:     hidden_group_size_x
      - .offset:         110
        .size:           2
        .value_kind:     hidden_group_size_y
      - .offset:         112
        .size:           2
        .value_kind:     hidden_group_size_z
      - .offset:         114
        .size:           2
        .value_kind:     hidden_remainder_x
      - .offset:         116
        .size:           2
        .value_kind:     hidden_remainder_y
      - .offset:         118
        .size:           2
        .value_kind:     hidden_remainder_z
      - .offset:         136
        .size:           8
        .value_kind:     hidden_global_offset_x
      - .offset:         144
        .size:           8
        .value_kind:     hidden_global_offset_y
      - .offset:         152
        .size:           8
        .value_kind:     hidden_global_offset_z
      - .offset:         160
        .size:           2
        .value_kind:     hidden_grid_dims
      - .offset:         176
        .size:           8
        .value_kind:     hidden_hostcall_buffer
      - .offset:         184
        .size:           8
        .value_kind:     hidden_multigrid_sync_arg
      - .offset:         192
        .size:           8
        .value_kind:     hidden_heap_v1
      - .offset:         200
        .size:           8
        .value_kind:     hidden_default_queue
      - .offset:         208
        .size:           8
        .value_kind:     hidden_completion_action
      - .offset:         296
        .size:           8
        .value_kind:     hidden_queue_ptr
    .group_segment_fixed_size: 35344
    .kernarg_segment_align: 8
    .kernarg_segment_size: 352
    .language:       OpenCL C
    .language_version:
      - 2
      - 0
    .max_flat_workgroup_size: 256
    .name:           _ZN7rocprim17ROCPRIM_400000_NS6detail17trampoline_kernelINS0_14default_configENS1_36segmented_radix_sort_config_selectorIalEEZNS1_25segmented_radix_sort_implIS3_Lb0EPKaPaPKlPlN2at6native12_GLOBAL__N_18offset_tEEE10hipError_tPvRmT1_PNSt15iterator_traitsISK_E10value_typeET2_T3_PNSL_ISQ_E10value_typeET4_jRbjT5_SW_jjP12ihipStream_tbEUlT_E_NS1_11comp_targetILNS1_3genE0ELNS1_11target_archE4294967295ELNS1_3gpuE0ELNS1_3repE0EEENS1_30default_config_static_selectorELNS0_4arch9wavefront6targetE0EEEvSK_
    .private_segment_fixed_size: 0
    .sgpr_count:     64
    .sgpr_spill_count: 0
    .symbol:         _ZN7rocprim17ROCPRIM_400000_NS6detail17trampoline_kernelINS0_14default_configENS1_36segmented_radix_sort_config_selectorIalEEZNS1_25segmented_radix_sort_implIS3_Lb0EPKaPaPKlPlN2at6native12_GLOBAL__N_18offset_tEEE10hipError_tPvRmT1_PNSt15iterator_traitsISK_E10value_typeET2_T3_PNSL_ISQ_E10value_typeET4_jRbjT5_SW_jjP12ihipStream_tbEUlT_E_NS1_11comp_targetILNS1_3genE0ELNS1_11target_archE4294967295ELNS1_3gpuE0ELNS1_3repE0EEENS1_30default_config_static_selectorELNS0_4arch9wavefront6targetE0EEEvSK_.kd
    .uniform_work_group_size: 1
    .uses_dynamic_stack: false
    .vgpr_count:     315
    .vgpr_spill_count: 0
    .wavefront_size: 32
  - .args:
      - .offset:         0
        .size:           96
        .value_kind:     by_value
    .group_segment_fixed_size: 0
    .kernarg_segment_align: 8
    .kernarg_segment_size: 96
    .language:       OpenCL C
    .language_version:
      - 2
      - 0
    .max_flat_workgroup_size: 256
    .name:           _ZN7rocprim17ROCPRIM_400000_NS6detail17trampoline_kernelINS0_14default_configENS1_36segmented_radix_sort_config_selectorIalEEZNS1_25segmented_radix_sort_implIS3_Lb0EPKaPaPKlPlN2at6native12_GLOBAL__N_18offset_tEEE10hipError_tPvRmT1_PNSt15iterator_traitsISK_E10value_typeET2_T3_PNSL_ISQ_E10value_typeET4_jRbjT5_SW_jjP12ihipStream_tbEUlT_E_NS1_11comp_targetILNS1_3genE5ELNS1_11target_archE942ELNS1_3gpuE9ELNS1_3repE0EEENS1_30default_config_static_selectorELNS0_4arch9wavefront6targetE0EEEvSK_
    .private_segment_fixed_size: 0
    .sgpr_count:     0
    .sgpr_spill_count: 0
    .symbol:         _ZN7rocprim17ROCPRIM_400000_NS6detail17trampoline_kernelINS0_14default_configENS1_36segmented_radix_sort_config_selectorIalEEZNS1_25segmented_radix_sort_implIS3_Lb0EPKaPaPKlPlN2at6native12_GLOBAL__N_18offset_tEEE10hipError_tPvRmT1_PNSt15iterator_traitsISK_E10value_typeET2_T3_PNSL_ISQ_E10value_typeET4_jRbjT5_SW_jjP12ihipStream_tbEUlT_E_NS1_11comp_targetILNS1_3genE5ELNS1_11target_archE942ELNS1_3gpuE9ELNS1_3repE0EEENS1_30default_config_static_selectorELNS0_4arch9wavefront6targetE0EEEvSK_.kd
    .uniform_work_group_size: 1
    .uses_dynamic_stack: false
    .vgpr_count:     0
    .vgpr_spill_count: 0
    .wavefront_size: 32
  - .args:
      - .offset:         0
        .size:           96
        .value_kind:     by_value
    .group_segment_fixed_size: 0
    .kernarg_segment_align: 8
    .kernarg_segment_size: 96
    .language:       OpenCL C
    .language_version:
      - 2
      - 0
    .max_flat_workgroup_size: 256
    .name:           _ZN7rocprim17ROCPRIM_400000_NS6detail17trampoline_kernelINS0_14default_configENS1_36segmented_radix_sort_config_selectorIalEEZNS1_25segmented_radix_sort_implIS3_Lb0EPKaPaPKlPlN2at6native12_GLOBAL__N_18offset_tEEE10hipError_tPvRmT1_PNSt15iterator_traitsISK_E10value_typeET2_T3_PNSL_ISQ_E10value_typeET4_jRbjT5_SW_jjP12ihipStream_tbEUlT_E_NS1_11comp_targetILNS1_3genE4ELNS1_11target_archE910ELNS1_3gpuE8ELNS1_3repE0EEENS1_30default_config_static_selectorELNS0_4arch9wavefront6targetE0EEEvSK_
    .private_segment_fixed_size: 0
    .sgpr_count:     0
    .sgpr_spill_count: 0
    .symbol:         _ZN7rocprim17ROCPRIM_400000_NS6detail17trampoline_kernelINS0_14default_configENS1_36segmented_radix_sort_config_selectorIalEEZNS1_25segmented_radix_sort_implIS3_Lb0EPKaPaPKlPlN2at6native12_GLOBAL__N_18offset_tEEE10hipError_tPvRmT1_PNSt15iterator_traitsISK_E10value_typeET2_T3_PNSL_ISQ_E10value_typeET4_jRbjT5_SW_jjP12ihipStream_tbEUlT_E_NS1_11comp_targetILNS1_3genE4ELNS1_11target_archE910ELNS1_3gpuE8ELNS1_3repE0EEENS1_30default_config_static_selectorELNS0_4arch9wavefront6targetE0EEEvSK_.kd
    .uniform_work_group_size: 1
    .uses_dynamic_stack: false
    .vgpr_count:     0
    .vgpr_spill_count: 0
    .wavefront_size: 32
  - .args:
      - .offset:         0
        .size:           96
        .value_kind:     by_value
    .group_segment_fixed_size: 0
    .kernarg_segment_align: 8
    .kernarg_segment_size: 96
    .language:       OpenCL C
    .language_version:
      - 2
      - 0
    .max_flat_workgroup_size: 256
    .name:           _ZN7rocprim17ROCPRIM_400000_NS6detail17trampoline_kernelINS0_14default_configENS1_36segmented_radix_sort_config_selectorIalEEZNS1_25segmented_radix_sort_implIS3_Lb0EPKaPaPKlPlN2at6native12_GLOBAL__N_18offset_tEEE10hipError_tPvRmT1_PNSt15iterator_traitsISK_E10value_typeET2_T3_PNSL_ISQ_E10value_typeET4_jRbjT5_SW_jjP12ihipStream_tbEUlT_E_NS1_11comp_targetILNS1_3genE3ELNS1_11target_archE908ELNS1_3gpuE7ELNS1_3repE0EEENS1_30default_config_static_selectorELNS0_4arch9wavefront6targetE0EEEvSK_
    .private_segment_fixed_size: 0
    .sgpr_count:     0
    .sgpr_spill_count: 0
    .symbol:         _ZN7rocprim17ROCPRIM_400000_NS6detail17trampoline_kernelINS0_14default_configENS1_36segmented_radix_sort_config_selectorIalEEZNS1_25segmented_radix_sort_implIS3_Lb0EPKaPaPKlPlN2at6native12_GLOBAL__N_18offset_tEEE10hipError_tPvRmT1_PNSt15iterator_traitsISK_E10value_typeET2_T3_PNSL_ISQ_E10value_typeET4_jRbjT5_SW_jjP12ihipStream_tbEUlT_E_NS1_11comp_targetILNS1_3genE3ELNS1_11target_archE908ELNS1_3gpuE7ELNS1_3repE0EEENS1_30default_config_static_selectorELNS0_4arch9wavefront6targetE0EEEvSK_.kd
    .uniform_work_group_size: 1
    .uses_dynamic_stack: false
    .vgpr_count:     0
    .vgpr_spill_count: 0
    .wavefront_size: 32
  - .args:
      - .offset:         0
        .size:           96
        .value_kind:     by_value
    .group_segment_fixed_size: 0
    .kernarg_segment_align: 8
    .kernarg_segment_size: 96
    .language:       OpenCL C
    .language_version:
      - 2
      - 0
    .max_flat_workgroup_size: 256
    .name:           _ZN7rocprim17ROCPRIM_400000_NS6detail17trampoline_kernelINS0_14default_configENS1_36segmented_radix_sort_config_selectorIalEEZNS1_25segmented_radix_sort_implIS3_Lb0EPKaPaPKlPlN2at6native12_GLOBAL__N_18offset_tEEE10hipError_tPvRmT1_PNSt15iterator_traitsISK_E10value_typeET2_T3_PNSL_ISQ_E10value_typeET4_jRbjT5_SW_jjP12ihipStream_tbEUlT_E_NS1_11comp_targetILNS1_3genE2ELNS1_11target_archE906ELNS1_3gpuE6ELNS1_3repE0EEENS1_30default_config_static_selectorELNS0_4arch9wavefront6targetE0EEEvSK_
    .private_segment_fixed_size: 0
    .sgpr_count:     0
    .sgpr_spill_count: 0
    .symbol:         _ZN7rocprim17ROCPRIM_400000_NS6detail17trampoline_kernelINS0_14default_configENS1_36segmented_radix_sort_config_selectorIalEEZNS1_25segmented_radix_sort_implIS3_Lb0EPKaPaPKlPlN2at6native12_GLOBAL__N_18offset_tEEE10hipError_tPvRmT1_PNSt15iterator_traitsISK_E10value_typeET2_T3_PNSL_ISQ_E10value_typeET4_jRbjT5_SW_jjP12ihipStream_tbEUlT_E_NS1_11comp_targetILNS1_3genE2ELNS1_11target_archE906ELNS1_3gpuE6ELNS1_3repE0EEENS1_30default_config_static_selectorELNS0_4arch9wavefront6targetE0EEEvSK_.kd
    .uniform_work_group_size: 1
    .uses_dynamic_stack: false
    .vgpr_count:     0
    .vgpr_spill_count: 0
    .wavefront_size: 32
  - .args:
      - .offset:         0
        .size:           96
        .value_kind:     by_value
    .group_segment_fixed_size: 0
    .kernarg_segment_align: 8
    .kernarg_segment_size: 96
    .language:       OpenCL C
    .language_version:
      - 2
      - 0
    .max_flat_workgroup_size: 256
    .name:           _ZN7rocprim17ROCPRIM_400000_NS6detail17trampoline_kernelINS0_14default_configENS1_36segmented_radix_sort_config_selectorIalEEZNS1_25segmented_radix_sort_implIS3_Lb0EPKaPaPKlPlN2at6native12_GLOBAL__N_18offset_tEEE10hipError_tPvRmT1_PNSt15iterator_traitsISK_E10value_typeET2_T3_PNSL_ISQ_E10value_typeET4_jRbjT5_SW_jjP12ihipStream_tbEUlT_E_NS1_11comp_targetILNS1_3genE10ELNS1_11target_archE1201ELNS1_3gpuE5ELNS1_3repE0EEENS1_30default_config_static_selectorELNS0_4arch9wavefront6targetE0EEEvSK_
    .private_segment_fixed_size: 0
    .sgpr_count:     0
    .sgpr_spill_count: 0
    .symbol:         _ZN7rocprim17ROCPRIM_400000_NS6detail17trampoline_kernelINS0_14default_configENS1_36segmented_radix_sort_config_selectorIalEEZNS1_25segmented_radix_sort_implIS3_Lb0EPKaPaPKlPlN2at6native12_GLOBAL__N_18offset_tEEE10hipError_tPvRmT1_PNSt15iterator_traitsISK_E10value_typeET2_T3_PNSL_ISQ_E10value_typeET4_jRbjT5_SW_jjP12ihipStream_tbEUlT_E_NS1_11comp_targetILNS1_3genE10ELNS1_11target_archE1201ELNS1_3gpuE5ELNS1_3repE0EEENS1_30default_config_static_selectorELNS0_4arch9wavefront6targetE0EEEvSK_.kd
    .uniform_work_group_size: 1
    .uses_dynamic_stack: false
    .vgpr_count:     0
    .vgpr_spill_count: 0
    .wavefront_size: 32
  - .args:
      - .offset:         0
        .size:           96
        .value_kind:     by_value
    .group_segment_fixed_size: 0
    .kernarg_segment_align: 8
    .kernarg_segment_size: 96
    .language:       OpenCL C
    .language_version:
      - 2
      - 0
    .max_flat_workgroup_size: 128
    .name:           _ZN7rocprim17ROCPRIM_400000_NS6detail17trampoline_kernelINS0_14default_configENS1_36segmented_radix_sort_config_selectorIalEEZNS1_25segmented_radix_sort_implIS3_Lb0EPKaPaPKlPlN2at6native12_GLOBAL__N_18offset_tEEE10hipError_tPvRmT1_PNSt15iterator_traitsISK_E10value_typeET2_T3_PNSL_ISQ_E10value_typeET4_jRbjT5_SW_jjP12ihipStream_tbEUlT_E_NS1_11comp_targetILNS1_3genE10ELNS1_11target_archE1200ELNS1_3gpuE4ELNS1_3repE0EEENS1_30default_config_static_selectorELNS0_4arch9wavefront6targetE0EEEvSK_
    .private_segment_fixed_size: 0
    .sgpr_count:     0
    .sgpr_spill_count: 0
    .symbol:         _ZN7rocprim17ROCPRIM_400000_NS6detail17trampoline_kernelINS0_14default_configENS1_36segmented_radix_sort_config_selectorIalEEZNS1_25segmented_radix_sort_implIS3_Lb0EPKaPaPKlPlN2at6native12_GLOBAL__N_18offset_tEEE10hipError_tPvRmT1_PNSt15iterator_traitsISK_E10value_typeET2_T3_PNSL_ISQ_E10value_typeET4_jRbjT5_SW_jjP12ihipStream_tbEUlT_E_NS1_11comp_targetILNS1_3genE10ELNS1_11target_archE1200ELNS1_3gpuE4ELNS1_3repE0EEENS1_30default_config_static_selectorELNS0_4arch9wavefront6targetE0EEEvSK_.kd
    .uniform_work_group_size: 1
    .uses_dynamic_stack: false
    .vgpr_count:     0
    .vgpr_spill_count: 0
    .wavefront_size: 32
  - .args:
      - .offset:         0
        .size:           96
        .value_kind:     by_value
    .group_segment_fixed_size: 0
    .kernarg_segment_align: 8
    .kernarg_segment_size: 96
    .language:       OpenCL C
    .language_version:
      - 2
      - 0
    .max_flat_workgroup_size: 256
    .name:           _ZN7rocprim17ROCPRIM_400000_NS6detail17trampoline_kernelINS0_14default_configENS1_36segmented_radix_sort_config_selectorIalEEZNS1_25segmented_radix_sort_implIS3_Lb0EPKaPaPKlPlN2at6native12_GLOBAL__N_18offset_tEEE10hipError_tPvRmT1_PNSt15iterator_traitsISK_E10value_typeET2_T3_PNSL_ISQ_E10value_typeET4_jRbjT5_SW_jjP12ihipStream_tbEUlT_E_NS1_11comp_targetILNS1_3genE9ELNS1_11target_archE1100ELNS1_3gpuE3ELNS1_3repE0EEENS1_30default_config_static_selectorELNS0_4arch9wavefront6targetE0EEEvSK_
    .private_segment_fixed_size: 0
    .sgpr_count:     0
    .sgpr_spill_count: 0
    .symbol:         _ZN7rocprim17ROCPRIM_400000_NS6detail17trampoline_kernelINS0_14default_configENS1_36segmented_radix_sort_config_selectorIalEEZNS1_25segmented_radix_sort_implIS3_Lb0EPKaPaPKlPlN2at6native12_GLOBAL__N_18offset_tEEE10hipError_tPvRmT1_PNSt15iterator_traitsISK_E10value_typeET2_T3_PNSL_ISQ_E10value_typeET4_jRbjT5_SW_jjP12ihipStream_tbEUlT_E_NS1_11comp_targetILNS1_3genE9ELNS1_11target_archE1100ELNS1_3gpuE3ELNS1_3repE0EEENS1_30default_config_static_selectorELNS0_4arch9wavefront6targetE0EEEvSK_.kd
    .uniform_work_group_size: 1
    .uses_dynamic_stack: false
    .vgpr_count:     0
    .vgpr_spill_count: 0
    .wavefront_size: 32
  - .args:
      - .offset:         0
        .size:           96
        .value_kind:     by_value
    .group_segment_fixed_size: 0
    .kernarg_segment_align: 8
    .kernarg_segment_size: 96
    .language:       OpenCL C
    .language_version:
      - 2
      - 0
    .max_flat_workgroup_size: 256
    .name:           _ZN7rocprim17ROCPRIM_400000_NS6detail17trampoline_kernelINS0_14default_configENS1_36segmented_radix_sort_config_selectorIalEEZNS1_25segmented_radix_sort_implIS3_Lb0EPKaPaPKlPlN2at6native12_GLOBAL__N_18offset_tEEE10hipError_tPvRmT1_PNSt15iterator_traitsISK_E10value_typeET2_T3_PNSL_ISQ_E10value_typeET4_jRbjT5_SW_jjP12ihipStream_tbEUlT_E_NS1_11comp_targetILNS1_3genE8ELNS1_11target_archE1030ELNS1_3gpuE2ELNS1_3repE0EEENS1_30default_config_static_selectorELNS0_4arch9wavefront6targetE0EEEvSK_
    .private_segment_fixed_size: 0
    .sgpr_count:     0
    .sgpr_spill_count: 0
    .symbol:         _ZN7rocprim17ROCPRIM_400000_NS6detail17trampoline_kernelINS0_14default_configENS1_36segmented_radix_sort_config_selectorIalEEZNS1_25segmented_radix_sort_implIS3_Lb0EPKaPaPKlPlN2at6native12_GLOBAL__N_18offset_tEEE10hipError_tPvRmT1_PNSt15iterator_traitsISK_E10value_typeET2_T3_PNSL_ISQ_E10value_typeET4_jRbjT5_SW_jjP12ihipStream_tbEUlT_E_NS1_11comp_targetILNS1_3genE8ELNS1_11target_archE1030ELNS1_3gpuE2ELNS1_3repE0EEENS1_30default_config_static_selectorELNS0_4arch9wavefront6targetE0EEEvSK_.kd
    .uniform_work_group_size: 1
    .uses_dynamic_stack: false
    .vgpr_count:     0
    .vgpr_spill_count: 0
    .wavefront_size: 32
  - .args:
      - .offset:         0
        .size:           88
        .value_kind:     by_value
      - .offset:         88
        .size:           4
        .value_kind:     hidden_block_count_x
      - .offset:         92
        .size:           4
        .value_kind:     hidden_block_count_y
      - .offset:         96
        .size:           4
        .value_kind:     hidden_block_count_z
      - .offset:         100
        .size:           2
        .value_kind:     hidden_group_size_x
      - .offset:         102
        .size:           2
        .value_kind:     hidden_group_size_y
      - .offset:         104
        .size:           2
        .value_kind:     hidden_group_size_z
      - .offset:         106
        .size:           2
        .value_kind:     hidden_remainder_x
      - .offset:         108
        .size:           2
        .value_kind:     hidden_remainder_y
      - .offset:         110
        .size:           2
        .value_kind:     hidden_remainder_z
      - .offset:         128
        .size:           8
        .value_kind:     hidden_global_offset_x
      - .offset:         136
        .size:           8
        .value_kind:     hidden_global_offset_y
      - .offset:         144
        .size:           8
        .value_kind:     hidden_global_offset_z
      - .offset:         152
        .size:           2
        .value_kind:     hidden_grid_dims
      - .offset:         168
        .size:           8
        .value_kind:     hidden_hostcall_buffer
      - .offset:         176
        .size:           8
        .value_kind:     hidden_multigrid_sync_arg
      - .offset:         184
        .size:           8
        .value_kind:     hidden_heap_v1
      - .offset:         192
        .size:           8
        .value_kind:     hidden_default_queue
      - .offset:         200
        .size:           8
        .value_kind:     hidden_completion_action
      - .offset:         288
        .size:           8
        .value_kind:     hidden_queue_ptr
    .group_segment_fixed_size: 9216
    .kernarg_segment_align: 8
    .kernarg_segment_size: 344
    .language:       OpenCL C
    .language_version:
      - 2
      - 0
    .max_flat_workgroup_size: 256
    .name:           _ZN7rocprim17ROCPRIM_400000_NS6detail17trampoline_kernelINS0_14default_configENS1_36segmented_radix_sort_config_selectorIalEEZNS1_25segmented_radix_sort_implIS3_Lb0EPKaPaPKlPlN2at6native12_GLOBAL__N_18offset_tEEE10hipError_tPvRmT1_PNSt15iterator_traitsISK_E10value_typeET2_T3_PNSL_ISQ_E10value_typeET4_jRbjT5_SW_jjP12ihipStream_tbEUlT_E0_NS1_11comp_targetILNS1_3genE0ELNS1_11target_archE4294967295ELNS1_3gpuE0ELNS1_3repE0EEENS1_60segmented_radix_sort_warp_sort_medium_config_static_selectorELNS0_4arch9wavefront6targetE0EEEvSK_
    .private_segment_fixed_size: 0
    .sgpr_count:     42
    .sgpr_spill_count: 0
    .symbol:         _ZN7rocprim17ROCPRIM_400000_NS6detail17trampoline_kernelINS0_14default_configENS1_36segmented_radix_sort_config_selectorIalEEZNS1_25segmented_radix_sort_implIS3_Lb0EPKaPaPKlPlN2at6native12_GLOBAL__N_18offset_tEEE10hipError_tPvRmT1_PNSt15iterator_traitsISK_E10value_typeET2_T3_PNSL_ISQ_E10value_typeET4_jRbjT5_SW_jjP12ihipStream_tbEUlT_E0_NS1_11comp_targetILNS1_3genE0ELNS1_11target_archE4294967295ELNS1_3gpuE0ELNS1_3repE0EEENS1_60segmented_radix_sort_warp_sort_medium_config_static_selectorELNS0_4arch9wavefront6targetE0EEEvSK_.kd
    .uniform_work_group_size: 1
    .uses_dynamic_stack: false
    .vgpr_count:     54
    .vgpr_spill_count: 0
    .wavefront_size: 32
  - .args:
      - .offset:         0
        .size:           88
        .value_kind:     by_value
    .group_segment_fixed_size: 0
    .kernarg_segment_align: 8
    .kernarg_segment_size: 88
    .language:       OpenCL C
    .language_version:
      - 2
      - 0
    .max_flat_workgroup_size: 256
    .name:           _ZN7rocprim17ROCPRIM_400000_NS6detail17trampoline_kernelINS0_14default_configENS1_36segmented_radix_sort_config_selectorIalEEZNS1_25segmented_radix_sort_implIS3_Lb0EPKaPaPKlPlN2at6native12_GLOBAL__N_18offset_tEEE10hipError_tPvRmT1_PNSt15iterator_traitsISK_E10value_typeET2_T3_PNSL_ISQ_E10value_typeET4_jRbjT5_SW_jjP12ihipStream_tbEUlT_E0_NS1_11comp_targetILNS1_3genE5ELNS1_11target_archE942ELNS1_3gpuE9ELNS1_3repE0EEENS1_60segmented_radix_sort_warp_sort_medium_config_static_selectorELNS0_4arch9wavefront6targetE0EEEvSK_
    .private_segment_fixed_size: 0
    .sgpr_count:     0
    .sgpr_spill_count: 0
    .symbol:         _ZN7rocprim17ROCPRIM_400000_NS6detail17trampoline_kernelINS0_14default_configENS1_36segmented_radix_sort_config_selectorIalEEZNS1_25segmented_radix_sort_implIS3_Lb0EPKaPaPKlPlN2at6native12_GLOBAL__N_18offset_tEEE10hipError_tPvRmT1_PNSt15iterator_traitsISK_E10value_typeET2_T3_PNSL_ISQ_E10value_typeET4_jRbjT5_SW_jjP12ihipStream_tbEUlT_E0_NS1_11comp_targetILNS1_3genE5ELNS1_11target_archE942ELNS1_3gpuE9ELNS1_3repE0EEENS1_60segmented_radix_sort_warp_sort_medium_config_static_selectorELNS0_4arch9wavefront6targetE0EEEvSK_.kd
    .uniform_work_group_size: 1
    .uses_dynamic_stack: false
    .vgpr_count:     0
    .vgpr_spill_count: 0
    .wavefront_size: 32
  - .args:
      - .offset:         0
        .size:           88
        .value_kind:     by_value
    .group_segment_fixed_size: 0
    .kernarg_segment_align: 8
    .kernarg_segment_size: 88
    .language:       OpenCL C
    .language_version:
      - 2
      - 0
    .max_flat_workgroup_size: 256
    .name:           _ZN7rocprim17ROCPRIM_400000_NS6detail17trampoline_kernelINS0_14default_configENS1_36segmented_radix_sort_config_selectorIalEEZNS1_25segmented_radix_sort_implIS3_Lb0EPKaPaPKlPlN2at6native12_GLOBAL__N_18offset_tEEE10hipError_tPvRmT1_PNSt15iterator_traitsISK_E10value_typeET2_T3_PNSL_ISQ_E10value_typeET4_jRbjT5_SW_jjP12ihipStream_tbEUlT_E0_NS1_11comp_targetILNS1_3genE4ELNS1_11target_archE910ELNS1_3gpuE8ELNS1_3repE0EEENS1_60segmented_radix_sort_warp_sort_medium_config_static_selectorELNS0_4arch9wavefront6targetE0EEEvSK_
    .private_segment_fixed_size: 0
    .sgpr_count:     0
    .sgpr_spill_count: 0
    .symbol:         _ZN7rocprim17ROCPRIM_400000_NS6detail17trampoline_kernelINS0_14default_configENS1_36segmented_radix_sort_config_selectorIalEEZNS1_25segmented_radix_sort_implIS3_Lb0EPKaPaPKlPlN2at6native12_GLOBAL__N_18offset_tEEE10hipError_tPvRmT1_PNSt15iterator_traitsISK_E10value_typeET2_T3_PNSL_ISQ_E10value_typeET4_jRbjT5_SW_jjP12ihipStream_tbEUlT_E0_NS1_11comp_targetILNS1_3genE4ELNS1_11target_archE910ELNS1_3gpuE8ELNS1_3repE0EEENS1_60segmented_radix_sort_warp_sort_medium_config_static_selectorELNS0_4arch9wavefront6targetE0EEEvSK_.kd
    .uniform_work_group_size: 1
    .uses_dynamic_stack: false
    .vgpr_count:     0
    .vgpr_spill_count: 0
    .wavefront_size: 32
  - .args:
      - .offset:         0
        .size:           88
        .value_kind:     by_value
    .group_segment_fixed_size: 0
    .kernarg_segment_align: 8
    .kernarg_segment_size: 88
    .language:       OpenCL C
    .language_version:
      - 2
      - 0
    .max_flat_workgroup_size: 256
    .name:           _ZN7rocprim17ROCPRIM_400000_NS6detail17trampoline_kernelINS0_14default_configENS1_36segmented_radix_sort_config_selectorIalEEZNS1_25segmented_radix_sort_implIS3_Lb0EPKaPaPKlPlN2at6native12_GLOBAL__N_18offset_tEEE10hipError_tPvRmT1_PNSt15iterator_traitsISK_E10value_typeET2_T3_PNSL_ISQ_E10value_typeET4_jRbjT5_SW_jjP12ihipStream_tbEUlT_E0_NS1_11comp_targetILNS1_3genE3ELNS1_11target_archE908ELNS1_3gpuE7ELNS1_3repE0EEENS1_60segmented_radix_sort_warp_sort_medium_config_static_selectorELNS0_4arch9wavefront6targetE0EEEvSK_
    .private_segment_fixed_size: 0
    .sgpr_count:     0
    .sgpr_spill_count: 0
    .symbol:         _ZN7rocprim17ROCPRIM_400000_NS6detail17trampoline_kernelINS0_14default_configENS1_36segmented_radix_sort_config_selectorIalEEZNS1_25segmented_radix_sort_implIS3_Lb0EPKaPaPKlPlN2at6native12_GLOBAL__N_18offset_tEEE10hipError_tPvRmT1_PNSt15iterator_traitsISK_E10value_typeET2_T3_PNSL_ISQ_E10value_typeET4_jRbjT5_SW_jjP12ihipStream_tbEUlT_E0_NS1_11comp_targetILNS1_3genE3ELNS1_11target_archE908ELNS1_3gpuE7ELNS1_3repE0EEENS1_60segmented_radix_sort_warp_sort_medium_config_static_selectorELNS0_4arch9wavefront6targetE0EEEvSK_.kd
    .uniform_work_group_size: 1
    .uses_dynamic_stack: false
    .vgpr_count:     0
    .vgpr_spill_count: 0
    .wavefront_size: 32
  - .args:
      - .offset:         0
        .size:           88
        .value_kind:     by_value
    .group_segment_fixed_size: 0
    .kernarg_segment_align: 8
    .kernarg_segment_size: 88
    .language:       OpenCL C
    .language_version:
      - 2
      - 0
    .max_flat_workgroup_size: 256
    .name:           _ZN7rocprim17ROCPRIM_400000_NS6detail17trampoline_kernelINS0_14default_configENS1_36segmented_radix_sort_config_selectorIalEEZNS1_25segmented_radix_sort_implIS3_Lb0EPKaPaPKlPlN2at6native12_GLOBAL__N_18offset_tEEE10hipError_tPvRmT1_PNSt15iterator_traitsISK_E10value_typeET2_T3_PNSL_ISQ_E10value_typeET4_jRbjT5_SW_jjP12ihipStream_tbEUlT_E0_NS1_11comp_targetILNS1_3genE2ELNS1_11target_archE906ELNS1_3gpuE6ELNS1_3repE0EEENS1_60segmented_radix_sort_warp_sort_medium_config_static_selectorELNS0_4arch9wavefront6targetE0EEEvSK_
    .private_segment_fixed_size: 0
    .sgpr_count:     0
    .sgpr_spill_count: 0
    .symbol:         _ZN7rocprim17ROCPRIM_400000_NS6detail17trampoline_kernelINS0_14default_configENS1_36segmented_radix_sort_config_selectorIalEEZNS1_25segmented_radix_sort_implIS3_Lb0EPKaPaPKlPlN2at6native12_GLOBAL__N_18offset_tEEE10hipError_tPvRmT1_PNSt15iterator_traitsISK_E10value_typeET2_T3_PNSL_ISQ_E10value_typeET4_jRbjT5_SW_jjP12ihipStream_tbEUlT_E0_NS1_11comp_targetILNS1_3genE2ELNS1_11target_archE906ELNS1_3gpuE6ELNS1_3repE0EEENS1_60segmented_radix_sort_warp_sort_medium_config_static_selectorELNS0_4arch9wavefront6targetE0EEEvSK_.kd
    .uniform_work_group_size: 1
    .uses_dynamic_stack: false
    .vgpr_count:     0
    .vgpr_spill_count: 0
    .wavefront_size: 32
  - .args:
      - .offset:         0
        .size:           88
        .value_kind:     by_value
    .group_segment_fixed_size: 0
    .kernarg_segment_align: 8
    .kernarg_segment_size: 88
    .language:       OpenCL C
    .language_version:
      - 2
      - 0
    .max_flat_workgroup_size: 256
    .name:           _ZN7rocprim17ROCPRIM_400000_NS6detail17trampoline_kernelINS0_14default_configENS1_36segmented_radix_sort_config_selectorIalEEZNS1_25segmented_radix_sort_implIS3_Lb0EPKaPaPKlPlN2at6native12_GLOBAL__N_18offset_tEEE10hipError_tPvRmT1_PNSt15iterator_traitsISK_E10value_typeET2_T3_PNSL_ISQ_E10value_typeET4_jRbjT5_SW_jjP12ihipStream_tbEUlT_E0_NS1_11comp_targetILNS1_3genE10ELNS1_11target_archE1201ELNS1_3gpuE5ELNS1_3repE0EEENS1_60segmented_radix_sort_warp_sort_medium_config_static_selectorELNS0_4arch9wavefront6targetE0EEEvSK_
    .private_segment_fixed_size: 0
    .sgpr_count:     0
    .sgpr_spill_count: 0
    .symbol:         _ZN7rocprim17ROCPRIM_400000_NS6detail17trampoline_kernelINS0_14default_configENS1_36segmented_radix_sort_config_selectorIalEEZNS1_25segmented_radix_sort_implIS3_Lb0EPKaPaPKlPlN2at6native12_GLOBAL__N_18offset_tEEE10hipError_tPvRmT1_PNSt15iterator_traitsISK_E10value_typeET2_T3_PNSL_ISQ_E10value_typeET4_jRbjT5_SW_jjP12ihipStream_tbEUlT_E0_NS1_11comp_targetILNS1_3genE10ELNS1_11target_archE1201ELNS1_3gpuE5ELNS1_3repE0EEENS1_60segmented_radix_sort_warp_sort_medium_config_static_selectorELNS0_4arch9wavefront6targetE0EEEvSK_.kd
    .uniform_work_group_size: 1
    .uses_dynamic_stack: false
    .vgpr_count:     0
    .vgpr_spill_count: 0
    .wavefront_size: 32
  - .args:
      - .offset:         0
        .size:           88
        .value_kind:     by_value
    .group_segment_fixed_size: 0
    .kernarg_segment_align: 8
    .kernarg_segment_size: 88
    .language:       OpenCL C
    .language_version:
      - 2
      - 0
    .max_flat_workgroup_size: 256
    .name:           _ZN7rocprim17ROCPRIM_400000_NS6detail17trampoline_kernelINS0_14default_configENS1_36segmented_radix_sort_config_selectorIalEEZNS1_25segmented_radix_sort_implIS3_Lb0EPKaPaPKlPlN2at6native12_GLOBAL__N_18offset_tEEE10hipError_tPvRmT1_PNSt15iterator_traitsISK_E10value_typeET2_T3_PNSL_ISQ_E10value_typeET4_jRbjT5_SW_jjP12ihipStream_tbEUlT_E0_NS1_11comp_targetILNS1_3genE10ELNS1_11target_archE1200ELNS1_3gpuE4ELNS1_3repE0EEENS1_60segmented_radix_sort_warp_sort_medium_config_static_selectorELNS0_4arch9wavefront6targetE0EEEvSK_
    .private_segment_fixed_size: 0
    .sgpr_count:     0
    .sgpr_spill_count: 0
    .symbol:         _ZN7rocprim17ROCPRIM_400000_NS6detail17trampoline_kernelINS0_14default_configENS1_36segmented_radix_sort_config_selectorIalEEZNS1_25segmented_radix_sort_implIS3_Lb0EPKaPaPKlPlN2at6native12_GLOBAL__N_18offset_tEEE10hipError_tPvRmT1_PNSt15iterator_traitsISK_E10value_typeET2_T3_PNSL_ISQ_E10value_typeET4_jRbjT5_SW_jjP12ihipStream_tbEUlT_E0_NS1_11comp_targetILNS1_3genE10ELNS1_11target_archE1200ELNS1_3gpuE4ELNS1_3repE0EEENS1_60segmented_radix_sort_warp_sort_medium_config_static_selectorELNS0_4arch9wavefront6targetE0EEEvSK_.kd
    .uniform_work_group_size: 1
    .uses_dynamic_stack: false
    .vgpr_count:     0
    .vgpr_spill_count: 0
    .wavefront_size: 32
  - .args:
      - .offset:         0
        .size:           88
        .value_kind:     by_value
    .group_segment_fixed_size: 0
    .kernarg_segment_align: 8
    .kernarg_segment_size: 88
    .language:       OpenCL C
    .language_version:
      - 2
      - 0
    .max_flat_workgroup_size: 256
    .name:           _ZN7rocprim17ROCPRIM_400000_NS6detail17trampoline_kernelINS0_14default_configENS1_36segmented_radix_sort_config_selectorIalEEZNS1_25segmented_radix_sort_implIS3_Lb0EPKaPaPKlPlN2at6native12_GLOBAL__N_18offset_tEEE10hipError_tPvRmT1_PNSt15iterator_traitsISK_E10value_typeET2_T3_PNSL_ISQ_E10value_typeET4_jRbjT5_SW_jjP12ihipStream_tbEUlT_E0_NS1_11comp_targetILNS1_3genE9ELNS1_11target_archE1100ELNS1_3gpuE3ELNS1_3repE0EEENS1_60segmented_radix_sort_warp_sort_medium_config_static_selectorELNS0_4arch9wavefront6targetE0EEEvSK_
    .private_segment_fixed_size: 0
    .sgpr_count:     0
    .sgpr_spill_count: 0
    .symbol:         _ZN7rocprim17ROCPRIM_400000_NS6detail17trampoline_kernelINS0_14default_configENS1_36segmented_radix_sort_config_selectorIalEEZNS1_25segmented_radix_sort_implIS3_Lb0EPKaPaPKlPlN2at6native12_GLOBAL__N_18offset_tEEE10hipError_tPvRmT1_PNSt15iterator_traitsISK_E10value_typeET2_T3_PNSL_ISQ_E10value_typeET4_jRbjT5_SW_jjP12ihipStream_tbEUlT_E0_NS1_11comp_targetILNS1_3genE9ELNS1_11target_archE1100ELNS1_3gpuE3ELNS1_3repE0EEENS1_60segmented_radix_sort_warp_sort_medium_config_static_selectorELNS0_4arch9wavefront6targetE0EEEvSK_.kd
    .uniform_work_group_size: 1
    .uses_dynamic_stack: false
    .vgpr_count:     0
    .vgpr_spill_count: 0
    .wavefront_size: 32
  - .args:
      - .offset:         0
        .size:           88
        .value_kind:     by_value
    .group_segment_fixed_size: 0
    .kernarg_segment_align: 8
    .kernarg_segment_size: 88
    .language:       OpenCL C
    .language_version:
      - 2
      - 0
    .max_flat_workgroup_size: 256
    .name:           _ZN7rocprim17ROCPRIM_400000_NS6detail17trampoline_kernelINS0_14default_configENS1_36segmented_radix_sort_config_selectorIalEEZNS1_25segmented_radix_sort_implIS3_Lb0EPKaPaPKlPlN2at6native12_GLOBAL__N_18offset_tEEE10hipError_tPvRmT1_PNSt15iterator_traitsISK_E10value_typeET2_T3_PNSL_ISQ_E10value_typeET4_jRbjT5_SW_jjP12ihipStream_tbEUlT_E0_NS1_11comp_targetILNS1_3genE8ELNS1_11target_archE1030ELNS1_3gpuE2ELNS1_3repE0EEENS1_60segmented_radix_sort_warp_sort_medium_config_static_selectorELNS0_4arch9wavefront6targetE0EEEvSK_
    .private_segment_fixed_size: 0
    .sgpr_count:     0
    .sgpr_spill_count: 0
    .symbol:         _ZN7rocprim17ROCPRIM_400000_NS6detail17trampoline_kernelINS0_14default_configENS1_36segmented_radix_sort_config_selectorIalEEZNS1_25segmented_radix_sort_implIS3_Lb0EPKaPaPKlPlN2at6native12_GLOBAL__N_18offset_tEEE10hipError_tPvRmT1_PNSt15iterator_traitsISK_E10value_typeET2_T3_PNSL_ISQ_E10value_typeET4_jRbjT5_SW_jjP12ihipStream_tbEUlT_E0_NS1_11comp_targetILNS1_3genE8ELNS1_11target_archE1030ELNS1_3gpuE2ELNS1_3repE0EEENS1_60segmented_radix_sort_warp_sort_medium_config_static_selectorELNS0_4arch9wavefront6targetE0EEEvSK_.kd
    .uniform_work_group_size: 1
    .uses_dynamic_stack: false
    .vgpr_count:     0
    .vgpr_spill_count: 0
    .wavefront_size: 32
  - .args:
      - .offset:         0
        .size:           88
        .value_kind:     by_value
      - .offset:         88
        .size:           4
        .value_kind:     hidden_block_count_x
      - .offset:         92
        .size:           4
        .value_kind:     hidden_block_count_y
      - .offset:         96
        .size:           4
        .value_kind:     hidden_block_count_z
      - .offset:         100
        .size:           2
        .value_kind:     hidden_group_size_x
      - .offset:         102
        .size:           2
        .value_kind:     hidden_group_size_y
      - .offset:         104
        .size:           2
        .value_kind:     hidden_group_size_z
      - .offset:         106
        .size:           2
        .value_kind:     hidden_remainder_x
      - .offset:         108
        .size:           2
        .value_kind:     hidden_remainder_y
      - .offset:         110
        .size:           2
        .value_kind:     hidden_remainder_z
      - .offset:         128
        .size:           8
        .value_kind:     hidden_global_offset_x
      - .offset:         136
        .size:           8
        .value_kind:     hidden_global_offset_y
      - .offset:         144
        .size:           8
        .value_kind:     hidden_global_offset_z
      - .offset:         152
        .size:           2
        .value_kind:     hidden_grid_dims
      - .offset:         168
        .size:           8
        .value_kind:     hidden_hostcall_buffer
      - .offset:         176
        .size:           8
        .value_kind:     hidden_multigrid_sync_arg
      - .offset:         184
        .size:           8
        .value_kind:     hidden_heap_v1
      - .offset:         192
        .size:           8
        .value_kind:     hidden_default_queue
      - .offset:         200
        .size:           8
        .value_kind:     hidden_completion_action
      - .offset:         288
        .size:           8
        .value_kind:     hidden_queue_ptr
    .group_segment_fixed_size: 9216
    .kernarg_segment_align: 8
    .kernarg_segment_size: 344
    .language:       OpenCL C
    .language_version:
      - 2
      - 0
    .max_flat_workgroup_size: 256
    .name:           _ZN7rocprim17ROCPRIM_400000_NS6detail17trampoline_kernelINS0_14default_configENS1_36segmented_radix_sort_config_selectorIalEEZNS1_25segmented_radix_sort_implIS3_Lb0EPKaPaPKlPlN2at6native12_GLOBAL__N_18offset_tEEE10hipError_tPvRmT1_PNSt15iterator_traitsISK_E10value_typeET2_T3_PNSL_ISQ_E10value_typeET4_jRbjT5_SW_jjP12ihipStream_tbEUlT_E1_NS1_11comp_targetILNS1_3genE0ELNS1_11target_archE4294967295ELNS1_3gpuE0ELNS1_3repE0EEENS1_59segmented_radix_sort_warp_sort_small_config_static_selectorELNS0_4arch9wavefront6targetE0EEEvSK_
    .private_segment_fixed_size: 0
    .sgpr_count:     42
    .sgpr_spill_count: 0
    .symbol:         _ZN7rocprim17ROCPRIM_400000_NS6detail17trampoline_kernelINS0_14default_configENS1_36segmented_radix_sort_config_selectorIalEEZNS1_25segmented_radix_sort_implIS3_Lb0EPKaPaPKlPlN2at6native12_GLOBAL__N_18offset_tEEE10hipError_tPvRmT1_PNSt15iterator_traitsISK_E10value_typeET2_T3_PNSL_ISQ_E10value_typeET4_jRbjT5_SW_jjP12ihipStream_tbEUlT_E1_NS1_11comp_targetILNS1_3genE0ELNS1_11target_archE4294967295ELNS1_3gpuE0ELNS1_3repE0EEENS1_59segmented_radix_sort_warp_sort_small_config_static_selectorELNS0_4arch9wavefront6targetE0EEEvSK_.kd
    .uniform_work_group_size: 1
    .uses_dynamic_stack: false
    .vgpr_count:     54
    .vgpr_spill_count: 0
    .wavefront_size: 32
  - .args:
      - .offset:         0
        .size:           88
        .value_kind:     by_value
    .group_segment_fixed_size: 0
    .kernarg_segment_align: 8
    .kernarg_segment_size: 88
    .language:       OpenCL C
    .language_version:
      - 2
      - 0
    .max_flat_workgroup_size: 256
    .name:           _ZN7rocprim17ROCPRIM_400000_NS6detail17trampoline_kernelINS0_14default_configENS1_36segmented_radix_sort_config_selectorIalEEZNS1_25segmented_radix_sort_implIS3_Lb0EPKaPaPKlPlN2at6native12_GLOBAL__N_18offset_tEEE10hipError_tPvRmT1_PNSt15iterator_traitsISK_E10value_typeET2_T3_PNSL_ISQ_E10value_typeET4_jRbjT5_SW_jjP12ihipStream_tbEUlT_E1_NS1_11comp_targetILNS1_3genE5ELNS1_11target_archE942ELNS1_3gpuE9ELNS1_3repE0EEENS1_59segmented_radix_sort_warp_sort_small_config_static_selectorELNS0_4arch9wavefront6targetE0EEEvSK_
    .private_segment_fixed_size: 0
    .sgpr_count:     0
    .sgpr_spill_count: 0
    .symbol:         _ZN7rocprim17ROCPRIM_400000_NS6detail17trampoline_kernelINS0_14default_configENS1_36segmented_radix_sort_config_selectorIalEEZNS1_25segmented_radix_sort_implIS3_Lb0EPKaPaPKlPlN2at6native12_GLOBAL__N_18offset_tEEE10hipError_tPvRmT1_PNSt15iterator_traitsISK_E10value_typeET2_T3_PNSL_ISQ_E10value_typeET4_jRbjT5_SW_jjP12ihipStream_tbEUlT_E1_NS1_11comp_targetILNS1_3genE5ELNS1_11target_archE942ELNS1_3gpuE9ELNS1_3repE0EEENS1_59segmented_radix_sort_warp_sort_small_config_static_selectorELNS0_4arch9wavefront6targetE0EEEvSK_.kd
    .uniform_work_group_size: 1
    .uses_dynamic_stack: false
    .vgpr_count:     0
    .vgpr_spill_count: 0
    .wavefront_size: 32
  - .args:
      - .offset:         0
        .size:           88
        .value_kind:     by_value
    .group_segment_fixed_size: 0
    .kernarg_segment_align: 8
    .kernarg_segment_size: 88
    .language:       OpenCL C
    .language_version:
      - 2
      - 0
    .max_flat_workgroup_size: 256
    .name:           _ZN7rocprim17ROCPRIM_400000_NS6detail17trampoline_kernelINS0_14default_configENS1_36segmented_radix_sort_config_selectorIalEEZNS1_25segmented_radix_sort_implIS3_Lb0EPKaPaPKlPlN2at6native12_GLOBAL__N_18offset_tEEE10hipError_tPvRmT1_PNSt15iterator_traitsISK_E10value_typeET2_T3_PNSL_ISQ_E10value_typeET4_jRbjT5_SW_jjP12ihipStream_tbEUlT_E1_NS1_11comp_targetILNS1_3genE4ELNS1_11target_archE910ELNS1_3gpuE8ELNS1_3repE0EEENS1_59segmented_radix_sort_warp_sort_small_config_static_selectorELNS0_4arch9wavefront6targetE0EEEvSK_
    .private_segment_fixed_size: 0
    .sgpr_count:     0
    .sgpr_spill_count: 0
    .symbol:         _ZN7rocprim17ROCPRIM_400000_NS6detail17trampoline_kernelINS0_14default_configENS1_36segmented_radix_sort_config_selectorIalEEZNS1_25segmented_radix_sort_implIS3_Lb0EPKaPaPKlPlN2at6native12_GLOBAL__N_18offset_tEEE10hipError_tPvRmT1_PNSt15iterator_traitsISK_E10value_typeET2_T3_PNSL_ISQ_E10value_typeET4_jRbjT5_SW_jjP12ihipStream_tbEUlT_E1_NS1_11comp_targetILNS1_3genE4ELNS1_11target_archE910ELNS1_3gpuE8ELNS1_3repE0EEENS1_59segmented_radix_sort_warp_sort_small_config_static_selectorELNS0_4arch9wavefront6targetE0EEEvSK_.kd
    .uniform_work_group_size: 1
    .uses_dynamic_stack: false
    .vgpr_count:     0
    .vgpr_spill_count: 0
    .wavefront_size: 32
  - .args:
      - .offset:         0
        .size:           88
        .value_kind:     by_value
    .group_segment_fixed_size: 0
    .kernarg_segment_align: 8
    .kernarg_segment_size: 88
    .language:       OpenCL C
    .language_version:
      - 2
      - 0
    .max_flat_workgroup_size: 256
    .name:           _ZN7rocprim17ROCPRIM_400000_NS6detail17trampoline_kernelINS0_14default_configENS1_36segmented_radix_sort_config_selectorIalEEZNS1_25segmented_radix_sort_implIS3_Lb0EPKaPaPKlPlN2at6native12_GLOBAL__N_18offset_tEEE10hipError_tPvRmT1_PNSt15iterator_traitsISK_E10value_typeET2_T3_PNSL_ISQ_E10value_typeET4_jRbjT5_SW_jjP12ihipStream_tbEUlT_E1_NS1_11comp_targetILNS1_3genE3ELNS1_11target_archE908ELNS1_3gpuE7ELNS1_3repE0EEENS1_59segmented_radix_sort_warp_sort_small_config_static_selectorELNS0_4arch9wavefront6targetE0EEEvSK_
    .private_segment_fixed_size: 0
    .sgpr_count:     0
    .sgpr_spill_count: 0
    .symbol:         _ZN7rocprim17ROCPRIM_400000_NS6detail17trampoline_kernelINS0_14default_configENS1_36segmented_radix_sort_config_selectorIalEEZNS1_25segmented_radix_sort_implIS3_Lb0EPKaPaPKlPlN2at6native12_GLOBAL__N_18offset_tEEE10hipError_tPvRmT1_PNSt15iterator_traitsISK_E10value_typeET2_T3_PNSL_ISQ_E10value_typeET4_jRbjT5_SW_jjP12ihipStream_tbEUlT_E1_NS1_11comp_targetILNS1_3genE3ELNS1_11target_archE908ELNS1_3gpuE7ELNS1_3repE0EEENS1_59segmented_radix_sort_warp_sort_small_config_static_selectorELNS0_4arch9wavefront6targetE0EEEvSK_.kd
    .uniform_work_group_size: 1
    .uses_dynamic_stack: false
    .vgpr_count:     0
    .vgpr_spill_count: 0
    .wavefront_size: 32
  - .args:
      - .offset:         0
        .size:           88
        .value_kind:     by_value
    .group_segment_fixed_size: 0
    .kernarg_segment_align: 8
    .kernarg_segment_size: 88
    .language:       OpenCL C
    .language_version:
      - 2
      - 0
    .max_flat_workgroup_size: 256
    .name:           _ZN7rocprim17ROCPRIM_400000_NS6detail17trampoline_kernelINS0_14default_configENS1_36segmented_radix_sort_config_selectorIalEEZNS1_25segmented_radix_sort_implIS3_Lb0EPKaPaPKlPlN2at6native12_GLOBAL__N_18offset_tEEE10hipError_tPvRmT1_PNSt15iterator_traitsISK_E10value_typeET2_T3_PNSL_ISQ_E10value_typeET4_jRbjT5_SW_jjP12ihipStream_tbEUlT_E1_NS1_11comp_targetILNS1_3genE2ELNS1_11target_archE906ELNS1_3gpuE6ELNS1_3repE0EEENS1_59segmented_radix_sort_warp_sort_small_config_static_selectorELNS0_4arch9wavefront6targetE0EEEvSK_
    .private_segment_fixed_size: 0
    .sgpr_count:     0
    .sgpr_spill_count: 0
    .symbol:         _ZN7rocprim17ROCPRIM_400000_NS6detail17trampoline_kernelINS0_14default_configENS1_36segmented_radix_sort_config_selectorIalEEZNS1_25segmented_radix_sort_implIS3_Lb0EPKaPaPKlPlN2at6native12_GLOBAL__N_18offset_tEEE10hipError_tPvRmT1_PNSt15iterator_traitsISK_E10value_typeET2_T3_PNSL_ISQ_E10value_typeET4_jRbjT5_SW_jjP12ihipStream_tbEUlT_E1_NS1_11comp_targetILNS1_3genE2ELNS1_11target_archE906ELNS1_3gpuE6ELNS1_3repE0EEENS1_59segmented_radix_sort_warp_sort_small_config_static_selectorELNS0_4arch9wavefront6targetE0EEEvSK_.kd
    .uniform_work_group_size: 1
    .uses_dynamic_stack: false
    .vgpr_count:     0
    .vgpr_spill_count: 0
    .wavefront_size: 32
  - .args:
      - .offset:         0
        .size:           88
        .value_kind:     by_value
    .group_segment_fixed_size: 0
    .kernarg_segment_align: 8
    .kernarg_segment_size: 88
    .language:       OpenCL C
    .language_version:
      - 2
      - 0
    .max_flat_workgroup_size: 256
    .name:           _ZN7rocprim17ROCPRIM_400000_NS6detail17trampoline_kernelINS0_14default_configENS1_36segmented_radix_sort_config_selectorIalEEZNS1_25segmented_radix_sort_implIS3_Lb0EPKaPaPKlPlN2at6native12_GLOBAL__N_18offset_tEEE10hipError_tPvRmT1_PNSt15iterator_traitsISK_E10value_typeET2_T3_PNSL_ISQ_E10value_typeET4_jRbjT5_SW_jjP12ihipStream_tbEUlT_E1_NS1_11comp_targetILNS1_3genE10ELNS1_11target_archE1201ELNS1_3gpuE5ELNS1_3repE0EEENS1_59segmented_radix_sort_warp_sort_small_config_static_selectorELNS0_4arch9wavefront6targetE0EEEvSK_
    .private_segment_fixed_size: 0
    .sgpr_count:     0
    .sgpr_spill_count: 0
    .symbol:         _ZN7rocprim17ROCPRIM_400000_NS6detail17trampoline_kernelINS0_14default_configENS1_36segmented_radix_sort_config_selectorIalEEZNS1_25segmented_radix_sort_implIS3_Lb0EPKaPaPKlPlN2at6native12_GLOBAL__N_18offset_tEEE10hipError_tPvRmT1_PNSt15iterator_traitsISK_E10value_typeET2_T3_PNSL_ISQ_E10value_typeET4_jRbjT5_SW_jjP12ihipStream_tbEUlT_E1_NS1_11comp_targetILNS1_3genE10ELNS1_11target_archE1201ELNS1_3gpuE5ELNS1_3repE0EEENS1_59segmented_radix_sort_warp_sort_small_config_static_selectorELNS0_4arch9wavefront6targetE0EEEvSK_.kd
    .uniform_work_group_size: 1
    .uses_dynamic_stack: false
    .vgpr_count:     0
    .vgpr_spill_count: 0
    .wavefront_size: 32
  - .args:
      - .offset:         0
        .size:           88
        .value_kind:     by_value
    .group_segment_fixed_size: 0
    .kernarg_segment_align: 8
    .kernarg_segment_size: 88
    .language:       OpenCL C
    .language_version:
      - 2
      - 0
    .max_flat_workgroup_size: 256
    .name:           _ZN7rocprim17ROCPRIM_400000_NS6detail17trampoline_kernelINS0_14default_configENS1_36segmented_radix_sort_config_selectorIalEEZNS1_25segmented_radix_sort_implIS3_Lb0EPKaPaPKlPlN2at6native12_GLOBAL__N_18offset_tEEE10hipError_tPvRmT1_PNSt15iterator_traitsISK_E10value_typeET2_T3_PNSL_ISQ_E10value_typeET4_jRbjT5_SW_jjP12ihipStream_tbEUlT_E1_NS1_11comp_targetILNS1_3genE10ELNS1_11target_archE1200ELNS1_3gpuE4ELNS1_3repE0EEENS1_59segmented_radix_sort_warp_sort_small_config_static_selectorELNS0_4arch9wavefront6targetE0EEEvSK_
    .private_segment_fixed_size: 0
    .sgpr_count:     0
    .sgpr_spill_count: 0
    .symbol:         _ZN7rocprim17ROCPRIM_400000_NS6detail17trampoline_kernelINS0_14default_configENS1_36segmented_radix_sort_config_selectorIalEEZNS1_25segmented_radix_sort_implIS3_Lb0EPKaPaPKlPlN2at6native12_GLOBAL__N_18offset_tEEE10hipError_tPvRmT1_PNSt15iterator_traitsISK_E10value_typeET2_T3_PNSL_ISQ_E10value_typeET4_jRbjT5_SW_jjP12ihipStream_tbEUlT_E1_NS1_11comp_targetILNS1_3genE10ELNS1_11target_archE1200ELNS1_3gpuE4ELNS1_3repE0EEENS1_59segmented_radix_sort_warp_sort_small_config_static_selectorELNS0_4arch9wavefront6targetE0EEEvSK_.kd
    .uniform_work_group_size: 1
    .uses_dynamic_stack: false
    .vgpr_count:     0
    .vgpr_spill_count: 0
    .wavefront_size: 32
  - .args:
      - .offset:         0
        .size:           88
        .value_kind:     by_value
    .group_segment_fixed_size: 0
    .kernarg_segment_align: 8
    .kernarg_segment_size: 88
    .language:       OpenCL C
    .language_version:
      - 2
      - 0
    .max_flat_workgroup_size: 256
    .name:           _ZN7rocprim17ROCPRIM_400000_NS6detail17trampoline_kernelINS0_14default_configENS1_36segmented_radix_sort_config_selectorIalEEZNS1_25segmented_radix_sort_implIS3_Lb0EPKaPaPKlPlN2at6native12_GLOBAL__N_18offset_tEEE10hipError_tPvRmT1_PNSt15iterator_traitsISK_E10value_typeET2_T3_PNSL_ISQ_E10value_typeET4_jRbjT5_SW_jjP12ihipStream_tbEUlT_E1_NS1_11comp_targetILNS1_3genE9ELNS1_11target_archE1100ELNS1_3gpuE3ELNS1_3repE0EEENS1_59segmented_radix_sort_warp_sort_small_config_static_selectorELNS0_4arch9wavefront6targetE0EEEvSK_
    .private_segment_fixed_size: 0
    .sgpr_count:     0
    .sgpr_spill_count: 0
    .symbol:         _ZN7rocprim17ROCPRIM_400000_NS6detail17trampoline_kernelINS0_14default_configENS1_36segmented_radix_sort_config_selectorIalEEZNS1_25segmented_radix_sort_implIS3_Lb0EPKaPaPKlPlN2at6native12_GLOBAL__N_18offset_tEEE10hipError_tPvRmT1_PNSt15iterator_traitsISK_E10value_typeET2_T3_PNSL_ISQ_E10value_typeET4_jRbjT5_SW_jjP12ihipStream_tbEUlT_E1_NS1_11comp_targetILNS1_3genE9ELNS1_11target_archE1100ELNS1_3gpuE3ELNS1_3repE0EEENS1_59segmented_radix_sort_warp_sort_small_config_static_selectorELNS0_4arch9wavefront6targetE0EEEvSK_.kd
    .uniform_work_group_size: 1
    .uses_dynamic_stack: false
    .vgpr_count:     0
    .vgpr_spill_count: 0
    .wavefront_size: 32
  - .args:
      - .offset:         0
        .size:           88
        .value_kind:     by_value
    .group_segment_fixed_size: 0
    .kernarg_segment_align: 8
    .kernarg_segment_size: 88
    .language:       OpenCL C
    .language_version:
      - 2
      - 0
    .max_flat_workgroup_size: 256
    .name:           _ZN7rocprim17ROCPRIM_400000_NS6detail17trampoline_kernelINS0_14default_configENS1_36segmented_radix_sort_config_selectorIalEEZNS1_25segmented_radix_sort_implIS3_Lb0EPKaPaPKlPlN2at6native12_GLOBAL__N_18offset_tEEE10hipError_tPvRmT1_PNSt15iterator_traitsISK_E10value_typeET2_T3_PNSL_ISQ_E10value_typeET4_jRbjT5_SW_jjP12ihipStream_tbEUlT_E1_NS1_11comp_targetILNS1_3genE8ELNS1_11target_archE1030ELNS1_3gpuE2ELNS1_3repE0EEENS1_59segmented_radix_sort_warp_sort_small_config_static_selectorELNS0_4arch9wavefront6targetE0EEEvSK_
    .private_segment_fixed_size: 0
    .sgpr_count:     0
    .sgpr_spill_count: 0
    .symbol:         _ZN7rocprim17ROCPRIM_400000_NS6detail17trampoline_kernelINS0_14default_configENS1_36segmented_radix_sort_config_selectorIalEEZNS1_25segmented_radix_sort_implIS3_Lb0EPKaPaPKlPlN2at6native12_GLOBAL__N_18offset_tEEE10hipError_tPvRmT1_PNSt15iterator_traitsISK_E10value_typeET2_T3_PNSL_ISQ_E10value_typeET4_jRbjT5_SW_jjP12ihipStream_tbEUlT_E1_NS1_11comp_targetILNS1_3genE8ELNS1_11target_archE1030ELNS1_3gpuE2ELNS1_3repE0EEENS1_59segmented_radix_sort_warp_sort_small_config_static_selectorELNS0_4arch9wavefront6targetE0EEEvSK_.kd
    .uniform_work_group_size: 1
    .uses_dynamic_stack: false
    .vgpr_count:     0
    .vgpr_spill_count: 0
    .wavefront_size: 32
  - .args:
      - .offset:         0
        .size:           80
        .value_kind:     by_value
      - .offset:         80
        .size:           4
        .value_kind:     hidden_block_count_x
      - .offset:         84
        .size:           4
        .value_kind:     hidden_block_count_y
      - .offset:         88
        .size:           4
        .value_kind:     hidden_block_count_z
      - .offset:         92
        .size:           2
        .value_kind:     hidden_group_size_x
      - .offset:         94
        .size:           2
        .value_kind:     hidden_group_size_y
      - .offset:         96
        .size:           2
        .value_kind:     hidden_group_size_z
      - .offset:         98
        .size:           2
        .value_kind:     hidden_remainder_x
      - .offset:         100
        .size:           2
        .value_kind:     hidden_remainder_y
      - .offset:         102
        .size:           2
        .value_kind:     hidden_remainder_z
      - .offset:         120
        .size:           8
        .value_kind:     hidden_global_offset_x
      - .offset:         128
        .size:           8
        .value_kind:     hidden_global_offset_y
      - .offset:         136
        .size:           8
        .value_kind:     hidden_global_offset_z
      - .offset:         144
        .size:           2
        .value_kind:     hidden_grid_dims
      - .offset:         160
        .size:           8
        .value_kind:     hidden_hostcall_buffer
      - .offset:         168
        .size:           8
        .value_kind:     hidden_multigrid_sync_arg
      - .offset:         176
        .size:           8
        .value_kind:     hidden_heap_v1
      - .offset:         184
        .size:           8
        .value_kind:     hidden_default_queue
      - .offset:         192
        .size:           8
        .value_kind:     hidden_completion_action
      - .offset:         280
        .size:           8
        .value_kind:     hidden_queue_ptr
    .group_segment_fixed_size: 35344
    .kernarg_segment_align: 8
    .kernarg_segment_size: 336
    .language:       OpenCL C
    .language_version:
      - 2
      - 0
    .max_flat_workgroup_size: 256
    .name:           _ZN7rocprim17ROCPRIM_400000_NS6detail17trampoline_kernelINS0_14default_configENS1_36segmented_radix_sort_config_selectorIalEEZNS1_25segmented_radix_sort_implIS3_Lb0EPKaPaPKlPlN2at6native12_GLOBAL__N_18offset_tEEE10hipError_tPvRmT1_PNSt15iterator_traitsISK_E10value_typeET2_T3_PNSL_ISQ_E10value_typeET4_jRbjT5_SW_jjP12ihipStream_tbEUlT_E2_NS1_11comp_targetILNS1_3genE0ELNS1_11target_archE4294967295ELNS1_3gpuE0ELNS1_3repE0EEENS1_30default_config_static_selectorELNS0_4arch9wavefront6targetE0EEEvSK_
    .private_segment_fixed_size: 0
    .sgpr_count:     64
    .sgpr_spill_count: 0
    .symbol:         _ZN7rocprim17ROCPRIM_400000_NS6detail17trampoline_kernelINS0_14default_configENS1_36segmented_radix_sort_config_selectorIalEEZNS1_25segmented_radix_sort_implIS3_Lb0EPKaPaPKlPlN2at6native12_GLOBAL__N_18offset_tEEE10hipError_tPvRmT1_PNSt15iterator_traitsISK_E10value_typeET2_T3_PNSL_ISQ_E10value_typeET4_jRbjT5_SW_jjP12ihipStream_tbEUlT_E2_NS1_11comp_targetILNS1_3genE0ELNS1_11target_archE4294967295ELNS1_3gpuE0ELNS1_3repE0EEENS1_30default_config_static_selectorELNS0_4arch9wavefront6targetE0EEEvSK_.kd
    .uniform_work_group_size: 1
    .uses_dynamic_stack: false
    .vgpr_count:     315
    .vgpr_spill_count: 0
    .wavefront_size: 32
  - .args:
      - .offset:         0
        .size:           80
        .value_kind:     by_value
    .group_segment_fixed_size: 0
    .kernarg_segment_align: 8
    .kernarg_segment_size: 80
    .language:       OpenCL C
    .language_version:
      - 2
      - 0
    .max_flat_workgroup_size: 256
    .name:           _ZN7rocprim17ROCPRIM_400000_NS6detail17trampoline_kernelINS0_14default_configENS1_36segmented_radix_sort_config_selectorIalEEZNS1_25segmented_radix_sort_implIS3_Lb0EPKaPaPKlPlN2at6native12_GLOBAL__N_18offset_tEEE10hipError_tPvRmT1_PNSt15iterator_traitsISK_E10value_typeET2_T3_PNSL_ISQ_E10value_typeET4_jRbjT5_SW_jjP12ihipStream_tbEUlT_E2_NS1_11comp_targetILNS1_3genE5ELNS1_11target_archE942ELNS1_3gpuE9ELNS1_3repE0EEENS1_30default_config_static_selectorELNS0_4arch9wavefront6targetE0EEEvSK_
    .private_segment_fixed_size: 0
    .sgpr_count:     0
    .sgpr_spill_count: 0
    .symbol:         _ZN7rocprim17ROCPRIM_400000_NS6detail17trampoline_kernelINS0_14default_configENS1_36segmented_radix_sort_config_selectorIalEEZNS1_25segmented_radix_sort_implIS3_Lb0EPKaPaPKlPlN2at6native12_GLOBAL__N_18offset_tEEE10hipError_tPvRmT1_PNSt15iterator_traitsISK_E10value_typeET2_T3_PNSL_ISQ_E10value_typeET4_jRbjT5_SW_jjP12ihipStream_tbEUlT_E2_NS1_11comp_targetILNS1_3genE5ELNS1_11target_archE942ELNS1_3gpuE9ELNS1_3repE0EEENS1_30default_config_static_selectorELNS0_4arch9wavefront6targetE0EEEvSK_.kd
    .uniform_work_group_size: 1
    .uses_dynamic_stack: false
    .vgpr_count:     0
    .vgpr_spill_count: 0
    .wavefront_size: 32
  - .args:
      - .offset:         0
        .size:           80
        .value_kind:     by_value
    .group_segment_fixed_size: 0
    .kernarg_segment_align: 8
    .kernarg_segment_size: 80
    .language:       OpenCL C
    .language_version:
      - 2
      - 0
    .max_flat_workgroup_size: 256
    .name:           _ZN7rocprim17ROCPRIM_400000_NS6detail17trampoline_kernelINS0_14default_configENS1_36segmented_radix_sort_config_selectorIalEEZNS1_25segmented_radix_sort_implIS3_Lb0EPKaPaPKlPlN2at6native12_GLOBAL__N_18offset_tEEE10hipError_tPvRmT1_PNSt15iterator_traitsISK_E10value_typeET2_T3_PNSL_ISQ_E10value_typeET4_jRbjT5_SW_jjP12ihipStream_tbEUlT_E2_NS1_11comp_targetILNS1_3genE4ELNS1_11target_archE910ELNS1_3gpuE8ELNS1_3repE0EEENS1_30default_config_static_selectorELNS0_4arch9wavefront6targetE0EEEvSK_
    .private_segment_fixed_size: 0
    .sgpr_count:     0
    .sgpr_spill_count: 0
    .symbol:         _ZN7rocprim17ROCPRIM_400000_NS6detail17trampoline_kernelINS0_14default_configENS1_36segmented_radix_sort_config_selectorIalEEZNS1_25segmented_radix_sort_implIS3_Lb0EPKaPaPKlPlN2at6native12_GLOBAL__N_18offset_tEEE10hipError_tPvRmT1_PNSt15iterator_traitsISK_E10value_typeET2_T3_PNSL_ISQ_E10value_typeET4_jRbjT5_SW_jjP12ihipStream_tbEUlT_E2_NS1_11comp_targetILNS1_3genE4ELNS1_11target_archE910ELNS1_3gpuE8ELNS1_3repE0EEENS1_30default_config_static_selectorELNS0_4arch9wavefront6targetE0EEEvSK_.kd
    .uniform_work_group_size: 1
    .uses_dynamic_stack: false
    .vgpr_count:     0
    .vgpr_spill_count: 0
    .wavefront_size: 32
  - .args:
      - .offset:         0
        .size:           80
        .value_kind:     by_value
    .group_segment_fixed_size: 0
    .kernarg_segment_align: 8
    .kernarg_segment_size: 80
    .language:       OpenCL C
    .language_version:
      - 2
      - 0
    .max_flat_workgroup_size: 256
    .name:           _ZN7rocprim17ROCPRIM_400000_NS6detail17trampoline_kernelINS0_14default_configENS1_36segmented_radix_sort_config_selectorIalEEZNS1_25segmented_radix_sort_implIS3_Lb0EPKaPaPKlPlN2at6native12_GLOBAL__N_18offset_tEEE10hipError_tPvRmT1_PNSt15iterator_traitsISK_E10value_typeET2_T3_PNSL_ISQ_E10value_typeET4_jRbjT5_SW_jjP12ihipStream_tbEUlT_E2_NS1_11comp_targetILNS1_3genE3ELNS1_11target_archE908ELNS1_3gpuE7ELNS1_3repE0EEENS1_30default_config_static_selectorELNS0_4arch9wavefront6targetE0EEEvSK_
    .private_segment_fixed_size: 0
    .sgpr_count:     0
    .sgpr_spill_count: 0
    .symbol:         _ZN7rocprim17ROCPRIM_400000_NS6detail17trampoline_kernelINS0_14default_configENS1_36segmented_radix_sort_config_selectorIalEEZNS1_25segmented_radix_sort_implIS3_Lb0EPKaPaPKlPlN2at6native12_GLOBAL__N_18offset_tEEE10hipError_tPvRmT1_PNSt15iterator_traitsISK_E10value_typeET2_T3_PNSL_ISQ_E10value_typeET4_jRbjT5_SW_jjP12ihipStream_tbEUlT_E2_NS1_11comp_targetILNS1_3genE3ELNS1_11target_archE908ELNS1_3gpuE7ELNS1_3repE0EEENS1_30default_config_static_selectorELNS0_4arch9wavefront6targetE0EEEvSK_.kd
    .uniform_work_group_size: 1
    .uses_dynamic_stack: false
    .vgpr_count:     0
    .vgpr_spill_count: 0
    .wavefront_size: 32
  - .args:
      - .offset:         0
        .size:           80
        .value_kind:     by_value
    .group_segment_fixed_size: 0
    .kernarg_segment_align: 8
    .kernarg_segment_size: 80
    .language:       OpenCL C
    .language_version:
      - 2
      - 0
    .max_flat_workgroup_size: 256
    .name:           _ZN7rocprim17ROCPRIM_400000_NS6detail17trampoline_kernelINS0_14default_configENS1_36segmented_radix_sort_config_selectorIalEEZNS1_25segmented_radix_sort_implIS3_Lb0EPKaPaPKlPlN2at6native12_GLOBAL__N_18offset_tEEE10hipError_tPvRmT1_PNSt15iterator_traitsISK_E10value_typeET2_T3_PNSL_ISQ_E10value_typeET4_jRbjT5_SW_jjP12ihipStream_tbEUlT_E2_NS1_11comp_targetILNS1_3genE2ELNS1_11target_archE906ELNS1_3gpuE6ELNS1_3repE0EEENS1_30default_config_static_selectorELNS0_4arch9wavefront6targetE0EEEvSK_
    .private_segment_fixed_size: 0
    .sgpr_count:     0
    .sgpr_spill_count: 0
    .symbol:         _ZN7rocprim17ROCPRIM_400000_NS6detail17trampoline_kernelINS0_14default_configENS1_36segmented_radix_sort_config_selectorIalEEZNS1_25segmented_radix_sort_implIS3_Lb0EPKaPaPKlPlN2at6native12_GLOBAL__N_18offset_tEEE10hipError_tPvRmT1_PNSt15iterator_traitsISK_E10value_typeET2_T3_PNSL_ISQ_E10value_typeET4_jRbjT5_SW_jjP12ihipStream_tbEUlT_E2_NS1_11comp_targetILNS1_3genE2ELNS1_11target_archE906ELNS1_3gpuE6ELNS1_3repE0EEENS1_30default_config_static_selectorELNS0_4arch9wavefront6targetE0EEEvSK_.kd
    .uniform_work_group_size: 1
    .uses_dynamic_stack: false
    .vgpr_count:     0
    .vgpr_spill_count: 0
    .wavefront_size: 32
  - .args:
      - .offset:         0
        .size:           80
        .value_kind:     by_value
    .group_segment_fixed_size: 0
    .kernarg_segment_align: 8
    .kernarg_segment_size: 80
    .language:       OpenCL C
    .language_version:
      - 2
      - 0
    .max_flat_workgroup_size: 256
    .name:           _ZN7rocprim17ROCPRIM_400000_NS6detail17trampoline_kernelINS0_14default_configENS1_36segmented_radix_sort_config_selectorIalEEZNS1_25segmented_radix_sort_implIS3_Lb0EPKaPaPKlPlN2at6native12_GLOBAL__N_18offset_tEEE10hipError_tPvRmT1_PNSt15iterator_traitsISK_E10value_typeET2_T3_PNSL_ISQ_E10value_typeET4_jRbjT5_SW_jjP12ihipStream_tbEUlT_E2_NS1_11comp_targetILNS1_3genE10ELNS1_11target_archE1201ELNS1_3gpuE5ELNS1_3repE0EEENS1_30default_config_static_selectorELNS0_4arch9wavefront6targetE0EEEvSK_
    .private_segment_fixed_size: 0
    .sgpr_count:     0
    .sgpr_spill_count: 0
    .symbol:         _ZN7rocprim17ROCPRIM_400000_NS6detail17trampoline_kernelINS0_14default_configENS1_36segmented_radix_sort_config_selectorIalEEZNS1_25segmented_radix_sort_implIS3_Lb0EPKaPaPKlPlN2at6native12_GLOBAL__N_18offset_tEEE10hipError_tPvRmT1_PNSt15iterator_traitsISK_E10value_typeET2_T3_PNSL_ISQ_E10value_typeET4_jRbjT5_SW_jjP12ihipStream_tbEUlT_E2_NS1_11comp_targetILNS1_3genE10ELNS1_11target_archE1201ELNS1_3gpuE5ELNS1_3repE0EEENS1_30default_config_static_selectorELNS0_4arch9wavefront6targetE0EEEvSK_.kd
    .uniform_work_group_size: 1
    .uses_dynamic_stack: false
    .vgpr_count:     0
    .vgpr_spill_count: 0
    .wavefront_size: 32
  - .args:
      - .offset:         0
        .size:           80
        .value_kind:     by_value
    .group_segment_fixed_size: 0
    .kernarg_segment_align: 8
    .kernarg_segment_size: 80
    .language:       OpenCL C
    .language_version:
      - 2
      - 0
    .max_flat_workgroup_size: 128
    .name:           _ZN7rocprim17ROCPRIM_400000_NS6detail17trampoline_kernelINS0_14default_configENS1_36segmented_radix_sort_config_selectorIalEEZNS1_25segmented_radix_sort_implIS3_Lb0EPKaPaPKlPlN2at6native12_GLOBAL__N_18offset_tEEE10hipError_tPvRmT1_PNSt15iterator_traitsISK_E10value_typeET2_T3_PNSL_ISQ_E10value_typeET4_jRbjT5_SW_jjP12ihipStream_tbEUlT_E2_NS1_11comp_targetILNS1_3genE10ELNS1_11target_archE1200ELNS1_3gpuE4ELNS1_3repE0EEENS1_30default_config_static_selectorELNS0_4arch9wavefront6targetE0EEEvSK_
    .private_segment_fixed_size: 0
    .sgpr_count:     0
    .sgpr_spill_count: 0
    .symbol:         _ZN7rocprim17ROCPRIM_400000_NS6detail17trampoline_kernelINS0_14default_configENS1_36segmented_radix_sort_config_selectorIalEEZNS1_25segmented_radix_sort_implIS3_Lb0EPKaPaPKlPlN2at6native12_GLOBAL__N_18offset_tEEE10hipError_tPvRmT1_PNSt15iterator_traitsISK_E10value_typeET2_T3_PNSL_ISQ_E10value_typeET4_jRbjT5_SW_jjP12ihipStream_tbEUlT_E2_NS1_11comp_targetILNS1_3genE10ELNS1_11target_archE1200ELNS1_3gpuE4ELNS1_3repE0EEENS1_30default_config_static_selectorELNS0_4arch9wavefront6targetE0EEEvSK_.kd
    .uniform_work_group_size: 1
    .uses_dynamic_stack: false
    .vgpr_count:     0
    .vgpr_spill_count: 0
    .wavefront_size: 32
  - .args:
      - .offset:         0
        .size:           80
        .value_kind:     by_value
    .group_segment_fixed_size: 0
    .kernarg_segment_align: 8
    .kernarg_segment_size: 80
    .language:       OpenCL C
    .language_version:
      - 2
      - 0
    .max_flat_workgroup_size: 256
    .name:           _ZN7rocprim17ROCPRIM_400000_NS6detail17trampoline_kernelINS0_14default_configENS1_36segmented_radix_sort_config_selectorIalEEZNS1_25segmented_radix_sort_implIS3_Lb0EPKaPaPKlPlN2at6native12_GLOBAL__N_18offset_tEEE10hipError_tPvRmT1_PNSt15iterator_traitsISK_E10value_typeET2_T3_PNSL_ISQ_E10value_typeET4_jRbjT5_SW_jjP12ihipStream_tbEUlT_E2_NS1_11comp_targetILNS1_3genE9ELNS1_11target_archE1100ELNS1_3gpuE3ELNS1_3repE0EEENS1_30default_config_static_selectorELNS0_4arch9wavefront6targetE0EEEvSK_
    .private_segment_fixed_size: 0
    .sgpr_count:     0
    .sgpr_spill_count: 0
    .symbol:         _ZN7rocprim17ROCPRIM_400000_NS6detail17trampoline_kernelINS0_14default_configENS1_36segmented_radix_sort_config_selectorIalEEZNS1_25segmented_radix_sort_implIS3_Lb0EPKaPaPKlPlN2at6native12_GLOBAL__N_18offset_tEEE10hipError_tPvRmT1_PNSt15iterator_traitsISK_E10value_typeET2_T3_PNSL_ISQ_E10value_typeET4_jRbjT5_SW_jjP12ihipStream_tbEUlT_E2_NS1_11comp_targetILNS1_3genE9ELNS1_11target_archE1100ELNS1_3gpuE3ELNS1_3repE0EEENS1_30default_config_static_selectorELNS0_4arch9wavefront6targetE0EEEvSK_.kd
    .uniform_work_group_size: 1
    .uses_dynamic_stack: false
    .vgpr_count:     0
    .vgpr_spill_count: 0
    .wavefront_size: 32
  - .args:
      - .offset:         0
        .size:           80
        .value_kind:     by_value
    .group_segment_fixed_size: 0
    .kernarg_segment_align: 8
    .kernarg_segment_size: 80
    .language:       OpenCL C
    .language_version:
      - 2
      - 0
    .max_flat_workgroup_size: 256
    .name:           _ZN7rocprim17ROCPRIM_400000_NS6detail17trampoline_kernelINS0_14default_configENS1_36segmented_radix_sort_config_selectorIalEEZNS1_25segmented_radix_sort_implIS3_Lb0EPKaPaPKlPlN2at6native12_GLOBAL__N_18offset_tEEE10hipError_tPvRmT1_PNSt15iterator_traitsISK_E10value_typeET2_T3_PNSL_ISQ_E10value_typeET4_jRbjT5_SW_jjP12ihipStream_tbEUlT_E2_NS1_11comp_targetILNS1_3genE8ELNS1_11target_archE1030ELNS1_3gpuE2ELNS1_3repE0EEENS1_30default_config_static_selectorELNS0_4arch9wavefront6targetE0EEEvSK_
    .private_segment_fixed_size: 0
    .sgpr_count:     0
    .sgpr_spill_count: 0
    .symbol:         _ZN7rocprim17ROCPRIM_400000_NS6detail17trampoline_kernelINS0_14default_configENS1_36segmented_radix_sort_config_selectorIalEEZNS1_25segmented_radix_sort_implIS3_Lb0EPKaPaPKlPlN2at6native12_GLOBAL__N_18offset_tEEE10hipError_tPvRmT1_PNSt15iterator_traitsISK_E10value_typeET2_T3_PNSL_ISQ_E10value_typeET4_jRbjT5_SW_jjP12ihipStream_tbEUlT_E2_NS1_11comp_targetILNS1_3genE8ELNS1_11target_archE1030ELNS1_3gpuE2ELNS1_3repE0EEENS1_30default_config_static_selectorELNS0_4arch9wavefront6targetE0EEEvSK_.kd
    .uniform_work_group_size: 1
    .uses_dynamic_stack: false
    .vgpr_count:     0
    .vgpr_spill_count: 0
    .wavefront_size: 32
  - .args:
      - .address_space:  global
        .offset:         0
        .size:           8
        .value_kind:     global_buffer
      - .address_space:  global
        .offset:         8
        .size:           8
        .value_kind:     global_buffer
      - .address_space:  global
        .offset:         16
        .size:           8
        .value_kind:     global_buffer
      - .address_space:  global
        .offset:         24
        .size:           8
        .value_kind:     global_buffer
      - .offset:         32
        .size:           4
        .value_kind:     by_value
      - .offset:         36
        .size:           4
        .value_kind:     by_value
      - .offset:         40
        .size:           4
        .value_kind:     hidden_block_count_x
      - .offset:         44
        .size:           4
        .value_kind:     hidden_block_count_y
      - .offset:         48
        .size:           4
        .value_kind:     hidden_block_count_z
      - .offset:         52
        .size:           2
        .value_kind:     hidden_group_size_x
      - .offset:         54
        .size:           2
        .value_kind:     hidden_group_size_y
      - .offset:         56
        .size:           2
        .value_kind:     hidden_group_size_z
      - .offset:         58
        .size:           2
        .value_kind:     hidden_remainder_x
      - .offset:         60
        .size:           2
        .value_kind:     hidden_remainder_y
      - .offset:         62
        .size:           2
        .value_kind:     hidden_remainder_z
      - .offset:         80
        .size:           8
        .value_kind:     hidden_global_offset_x
      - .offset:         88
        .size:           8
        .value_kind:     hidden_global_offset_y
      - .offset:         96
        .size:           8
        .value_kind:     hidden_global_offset_z
      - .offset:         104
        .size:           2
        .value_kind:     hidden_grid_dims
    .group_segment_fixed_size: 0
    .kernarg_segment_align: 8
    .kernarg_segment_size: 296
    .language:       OpenCL C
    .language_version:
      - 2
      - 0
    .max_flat_workgroup_size: 1024
    .name:           _ZN2at6native12_GLOBAL__N_123sort_postprocess_kernelIiEEvPKT_PS3_PlPK15HIP_vector_typeIiLj2EEii
    .private_segment_fixed_size: 0
    .sgpr_count:     24
    .sgpr_spill_count: 0
    .symbol:         _ZN2at6native12_GLOBAL__N_123sort_postprocess_kernelIiEEvPKT_PS3_PlPK15HIP_vector_typeIiLj2EEii.kd
    .uniform_work_group_size: 1
    .uses_dynamic_stack: false
    .vgpr_count:     16
    .vgpr_spill_count: 0
    .wavefront_size: 32
  - .args:
      - .offset:         0
        .size:           176
        .value_kind:     by_value
    .group_segment_fixed_size: 13328
    .kernarg_segment_align: 8
    .kernarg_segment_size: 176
    .language:       OpenCL C
    .language_version:
      - 2
      - 0
    .max_flat_workgroup_size: 256
    .name:           _ZN7rocprim17ROCPRIM_400000_NS6detail17trampoline_kernelINS0_13select_configILj256ELj13ELNS0_17block_load_methodE3ELS4_3ELS4_3ELNS0_20block_scan_algorithmE0ELj4294967295EEENS1_25partition_config_selectorILNS1_17partition_subalgoE4EjNS0_10empty_typeEbEEZZNS1_14partition_implILS8_4ELb0ES6_15HIP_vector_typeIjLj2EENS0_17counting_iteratorIjlEEPS9_SG_NS0_5tupleIJPjSI_NS0_16reverse_iteratorISI_EEEEENSH_IJSG_SG_SG_EEES9_SI_JZNS1_25segmented_radix_sort_implINS0_14default_configELb1EPKiPiPKlPlN2at6native12_GLOBAL__N_18offset_tEEE10hipError_tPvRmT1_PNSt15iterator_traitsIS12_E10value_typeET2_T3_PNS13_IS18_E10value_typeET4_jRbjT5_S1E_jjP12ihipStream_tbEUljE_ZNSN_ISO_Lb1ESQ_SR_ST_SU_SY_EESZ_S10_S11_S12_S16_S17_S18_S1B_S1C_jS1D_jS1E_S1E_jjS1G_bEUljE0_EEESZ_S10_S11_S18_S1C_S1E_T6_T7_T9_mT8_S1G_bDpT10_ENKUlT_T0_E_clISt17integral_constantIbLb0EES1U_EEDaS1P_S1Q_EUlS1P_E_NS1_11comp_targetILNS1_3genE0ELNS1_11target_archE4294967295ELNS1_3gpuE0ELNS1_3repE0EEENS1_30default_config_static_selectorELNS0_4arch9wavefront6targetE0EEEvS12_
    .private_segment_fixed_size: 0
    .sgpr_count:     61
    .sgpr_spill_count: 0
    .symbol:         _ZN7rocprim17ROCPRIM_400000_NS6detail17trampoline_kernelINS0_13select_configILj256ELj13ELNS0_17block_load_methodE3ELS4_3ELS4_3ELNS0_20block_scan_algorithmE0ELj4294967295EEENS1_25partition_config_selectorILNS1_17partition_subalgoE4EjNS0_10empty_typeEbEEZZNS1_14partition_implILS8_4ELb0ES6_15HIP_vector_typeIjLj2EENS0_17counting_iteratorIjlEEPS9_SG_NS0_5tupleIJPjSI_NS0_16reverse_iteratorISI_EEEEENSH_IJSG_SG_SG_EEES9_SI_JZNS1_25segmented_radix_sort_implINS0_14default_configELb1EPKiPiPKlPlN2at6native12_GLOBAL__N_18offset_tEEE10hipError_tPvRmT1_PNSt15iterator_traitsIS12_E10value_typeET2_T3_PNS13_IS18_E10value_typeET4_jRbjT5_S1E_jjP12ihipStream_tbEUljE_ZNSN_ISO_Lb1ESQ_SR_ST_SU_SY_EESZ_S10_S11_S12_S16_S17_S18_S1B_S1C_jS1D_jS1E_S1E_jjS1G_bEUljE0_EEESZ_S10_S11_S18_S1C_S1E_T6_T7_T9_mT8_S1G_bDpT10_ENKUlT_T0_E_clISt17integral_constantIbLb0EES1U_EEDaS1P_S1Q_EUlS1P_E_NS1_11comp_targetILNS1_3genE0ELNS1_11target_archE4294967295ELNS1_3gpuE0ELNS1_3repE0EEENS1_30default_config_static_selectorELNS0_4arch9wavefront6targetE0EEEvS12_.kd
    .uniform_work_group_size: 1
    .uses_dynamic_stack: false
    .vgpr_count:     81
    .vgpr_spill_count: 0
    .wavefront_size: 32
  - .args:
      - .offset:         0
        .size:           176
        .value_kind:     by_value
    .group_segment_fixed_size: 0
    .kernarg_segment_align: 8
    .kernarg_segment_size: 176
    .language:       OpenCL C
    .language_version:
      - 2
      - 0
    .max_flat_workgroup_size: 256
    .name:           _ZN7rocprim17ROCPRIM_400000_NS6detail17trampoline_kernelINS0_13select_configILj256ELj13ELNS0_17block_load_methodE3ELS4_3ELS4_3ELNS0_20block_scan_algorithmE0ELj4294967295EEENS1_25partition_config_selectorILNS1_17partition_subalgoE4EjNS0_10empty_typeEbEEZZNS1_14partition_implILS8_4ELb0ES6_15HIP_vector_typeIjLj2EENS0_17counting_iteratorIjlEEPS9_SG_NS0_5tupleIJPjSI_NS0_16reverse_iteratorISI_EEEEENSH_IJSG_SG_SG_EEES9_SI_JZNS1_25segmented_radix_sort_implINS0_14default_configELb1EPKiPiPKlPlN2at6native12_GLOBAL__N_18offset_tEEE10hipError_tPvRmT1_PNSt15iterator_traitsIS12_E10value_typeET2_T3_PNS13_IS18_E10value_typeET4_jRbjT5_S1E_jjP12ihipStream_tbEUljE_ZNSN_ISO_Lb1ESQ_SR_ST_SU_SY_EESZ_S10_S11_S12_S16_S17_S18_S1B_S1C_jS1D_jS1E_S1E_jjS1G_bEUljE0_EEESZ_S10_S11_S18_S1C_S1E_T6_T7_T9_mT8_S1G_bDpT10_ENKUlT_T0_E_clISt17integral_constantIbLb0EES1U_EEDaS1P_S1Q_EUlS1P_E_NS1_11comp_targetILNS1_3genE5ELNS1_11target_archE942ELNS1_3gpuE9ELNS1_3repE0EEENS1_30default_config_static_selectorELNS0_4arch9wavefront6targetE0EEEvS12_
    .private_segment_fixed_size: 0
    .sgpr_count:     0
    .sgpr_spill_count: 0
    .symbol:         _ZN7rocprim17ROCPRIM_400000_NS6detail17trampoline_kernelINS0_13select_configILj256ELj13ELNS0_17block_load_methodE3ELS4_3ELS4_3ELNS0_20block_scan_algorithmE0ELj4294967295EEENS1_25partition_config_selectorILNS1_17partition_subalgoE4EjNS0_10empty_typeEbEEZZNS1_14partition_implILS8_4ELb0ES6_15HIP_vector_typeIjLj2EENS0_17counting_iteratorIjlEEPS9_SG_NS0_5tupleIJPjSI_NS0_16reverse_iteratorISI_EEEEENSH_IJSG_SG_SG_EEES9_SI_JZNS1_25segmented_radix_sort_implINS0_14default_configELb1EPKiPiPKlPlN2at6native12_GLOBAL__N_18offset_tEEE10hipError_tPvRmT1_PNSt15iterator_traitsIS12_E10value_typeET2_T3_PNS13_IS18_E10value_typeET4_jRbjT5_S1E_jjP12ihipStream_tbEUljE_ZNSN_ISO_Lb1ESQ_SR_ST_SU_SY_EESZ_S10_S11_S12_S16_S17_S18_S1B_S1C_jS1D_jS1E_S1E_jjS1G_bEUljE0_EEESZ_S10_S11_S18_S1C_S1E_T6_T7_T9_mT8_S1G_bDpT10_ENKUlT_T0_E_clISt17integral_constantIbLb0EES1U_EEDaS1P_S1Q_EUlS1P_E_NS1_11comp_targetILNS1_3genE5ELNS1_11target_archE942ELNS1_3gpuE9ELNS1_3repE0EEENS1_30default_config_static_selectorELNS0_4arch9wavefront6targetE0EEEvS12_.kd
    .uniform_work_group_size: 1
    .uses_dynamic_stack: false
    .vgpr_count:     0
    .vgpr_spill_count: 0
    .wavefront_size: 32
  - .args:
      - .offset:         0
        .size:           176
        .value_kind:     by_value
    .group_segment_fixed_size: 0
    .kernarg_segment_align: 8
    .kernarg_segment_size: 176
    .language:       OpenCL C
    .language_version:
      - 2
      - 0
    .max_flat_workgroup_size: 256
    .name:           _ZN7rocprim17ROCPRIM_400000_NS6detail17trampoline_kernelINS0_13select_configILj256ELj13ELNS0_17block_load_methodE3ELS4_3ELS4_3ELNS0_20block_scan_algorithmE0ELj4294967295EEENS1_25partition_config_selectorILNS1_17partition_subalgoE4EjNS0_10empty_typeEbEEZZNS1_14partition_implILS8_4ELb0ES6_15HIP_vector_typeIjLj2EENS0_17counting_iteratorIjlEEPS9_SG_NS0_5tupleIJPjSI_NS0_16reverse_iteratorISI_EEEEENSH_IJSG_SG_SG_EEES9_SI_JZNS1_25segmented_radix_sort_implINS0_14default_configELb1EPKiPiPKlPlN2at6native12_GLOBAL__N_18offset_tEEE10hipError_tPvRmT1_PNSt15iterator_traitsIS12_E10value_typeET2_T3_PNS13_IS18_E10value_typeET4_jRbjT5_S1E_jjP12ihipStream_tbEUljE_ZNSN_ISO_Lb1ESQ_SR_ST_SU_SY_EESZ_S10_S11_S12_S16_S17_S18_S1B_S1C_jS1D_jS1E_S1E_jjS1G_bEUljE0_EEESZ_S10_S11_S18_S1C_S1E_T6_T7_T9_mT8_S1G_bDpT10_ENKUlT_T0_E_clISt17integral_constantIbLb0EES1U_EEDaS1P_S1Q_EUlS1P_E_NS1_11comp_targetILNS1_3genE4ELNS1_11target_archE910ELNS1_3gpuE8ELNS1_3repE0EEENS1_30default_config_static_selectorELNS0_4arch9wavefront6targetE0EEEvS12_
    .private_segment_fixed_size: 0
    .sgpr_count:     0
    .sgpr_spill_count: 0
    .symbol:         _ZN7rocprim17ROCPRIM_400000_NS6detail17trampoline_kernelINS0_13select_configILj256ELj13ELNS0_17block_load_methodE3ELS4_3ELS4_3ELNS0_20block_scan_algorithmE0ELj4294967295EEENS1_25partition_config_selectorILNS1_17partition_subalgoE4EjNS0_10empty_typeEbEEZZNS1_14partition_implILS8_4ELb0ES6_15HIP_vector_typeIjLj2EENS0_17counting_iteratorIjlEEPS9_SG_NS0_5tupleIJPjSI_NS0_16reverse_iteratorISI_EEEEENSH_IJSG_SG_SG_EEES9_SI_JZNS1_25segmented_radix_sort_implINS0_14default_configELb1EPKiPiPKlPlN2at6native12_GLOBAL__N_18offset_tEEE10hipError_tPvRmT1_PNSt15iterator_traitsIS12_E10value_typeET2_T3_PNS13_IS18_E10value_typeET4_jRbjT5_S1E_jjP12ihipStream_tbEUljE_ZNSN_ISO_Lb1ESQ_SR_ST_SU_SY_EESZ_S10_S11_S12_S16_S17_S18_S1B_S1C_jS1D_jS1E_S1E_jjS1G_bEUljE0_EEESZ_S10_S11_S18_S1C_S1E_T6_T7_T9_mT8_S1G_bDpT10_ENKUlT_T0_E_clISt17integral_constantIbLb0EES1U_EEDaS1P_S1Q_EUlS1P_E_NS1_11comp_targetILNS1_3genE4ELNS1_11target_archE910ELNS1_3gpuE8ELNS1_3repE0EEENS1_30default_config_static_selectorELNS0_4arch9wavefront6targetE0EEEvS12_.kd
    .uniform_work_group_size: 1
    .uses_dynamic_stack: false
    .vgpr_count:     0
    .vgpr_spill_count: 0
    .wavefront_size: 32
  - .args:
      - .offset:         0
        .size:           176
        .value_kind:     by_value
    .group_segment_fixed_size: 0
    .kernarg_segment_align: 8
    .kernarg_segment_size: 176
    .language:       OpenCL C
    .language_version:
      - 2
      - 0
    .max_flat_workgroup_size: 256
    .name:           _ZN7rocprim17ROCPRIM_400000_NS6detail17trampoline_kernelINS0_13select_configILj256ELj13ELNS0_17block_load_methodE3ELS4_3ELS4_3ELNS0_20block_scan_algorithmE0ELj4294967295EEENS1_25partition_config_selectorILNS1_17partition_subalgoE4EjNS0_10empty_typeEbEEZZNS1_14partition_implILS8_4ELb0ES6_15HIP_vector_typeIjLj2EENS0_17counting_iteratorIjlEEPS9_SG_NS0_5tupleIJPjSI_NS0_16reverse_iteratorISI_EEEEENSH_IJSG_SG_SG_EEES9_SI_JZNS1_25segmented_radix_sort_implINS0_14default_configELb1EPKiPiPKlPlN2at6native12_GLOBAL__N_18offset_tEEE10hipError_tPvRmT1_PNSt15iterator_traitsIS12_E10value_typeET2_T3_PNS13_IS18_E10value_typeET4_jRbjT5_S1E_jjP12ihipStream_tbEUljE_ZNSN_ISO_Lb1ESQ_SR_ST_SU_SY_EESZ_S10_S11_S12_S16_S17_S18_S1B_S1C_jS1D_jS1E_S1E_jjS1G_bEUljE0_EEESZ_S10_S11_S18_S1C_S1E_T6_T7_T9_mT8_S1G_bDpT10_ENKUlT_T0_E_clISt17integral_constantIbLb0EES1U_EEDaS1P_S1Q_EUlS1P_E_NS1_11comp_targetILNS1_3genE3ELNS1_11target_archE908ELNS1_3gpuE7ELNS1_3repE0EEENS1_30default_config_static_selectorELNS0_4arch9wavefront6targetE0EEEvS12_
    .private_segment_fixed_size: 0
    .sgpr_count:     0
    .sgpr_spill_count: 0
    .symbol:         _ZN7rocprim17ROCPRIM_400000_NS6detail17trampoline_kernelINS0_13select_configILj256ELj13ELNS0_17block_load_methodE3ELS4_3ELS4_3ELNS0_20block_scan_algorithmE0ELj4294967295EEENS1_25partition_config_selectorILNS1_17partition_subalgoE4EjNS0_10empty_typeEbEEZZNS1_14partition_implILS8_4ELb0ES6_15HIP_vector_typeIjLj2EENS0_17counting_iteratorIjlEEPS9_SG_NS0_5tupleIJPjSI_NS0_16reverse_iteratorISI_EEEEENSH_IJSG_SG_SG_EEES9_SI_JZNS1_25segmented_radix_sort_implINS0_14default_configELb1EPKiPiPKlPlN2at6native12_GLOBAL__N_18offset_tEEE10hipError_tPvRmT1_PNSt15iterator_traitsIS12_E10value_typeET2_T3_PNS13_IS18_E10value_typeET4_jRbjT5_S1E_jjP12ihipStream_tbEUljE_ZNSN_ISO_Lb1ESQ_SR_ST_SU_SY_EESZ_S10_S11_S12_S16_S17_S18_S1B_S1C_jS1D_jS1E_S1E_jjS1G_bEUljE0_EEESZ_S10_S11_S18_S1C_S1E_T6_T7_T9_mT8_S1G_bDpT10_ENKUlT_T0_E_clISt17integral_constantIbLb0EES1U_EEDaS1P_S1Q_EUlS1P_E_NS1_11comp_targetILNS1_3genE3ELNS1_11target_archE908ELNS1_3gpuE7ELNS1_3repE0EEENS1_30default_config_static_selectorELNS0_4arch9wavefront6targetE0EEEvS12_.kd
    .uniform_work_group_size: 1
    .uses_dynamic_stack: false
    .vgpr_count:     0
    .vgpr_spill_count: 0
    .wavefront_size: 32
  - .args:
      - .offset:         0
        .size:           176
        .value_kind:     by_value
    .group_segment_fixed_size: 0
    .kernarg_segment_align: 8
    .kernarg_segment_size: 176
    .language:       OpenCL C
    .language_version:
      - 2
      - 0
    .max_flat_workgroup_size: 256
    .name:           _ZN7rocprim17ROCPRIM_400000_NS6detail17trampoline_kernelINS0_13select_configILj256ELj13ELNS0_17block_load_methodE3ELS4_3ELS4_3ELNS0_20block_scan_algorithmE0ELj4294967295EEENS1_25partition_config_selectorILNS1_17partition_subalgoE4EjNS0_10empty_typeEbEEZZNS1_14partition_implILS8_4ELb0ES6_15HIP_vector_typeIjLj2EENS0_17counting_iteratorIjlEEPS9_SG_NS0_5tupleIJPjSI_NS0_16reverse_iteratorISI_EEEEENSH_IJSG_SG_SG_EEES9_SI_JZNS1_25segmented_radix_sort_implINS0_14default_configELb1EPKiPiPKlPlN2at6native12_GLOBAL__N_18offset_tEEE10hipError_tPvRmT1_PNSt15iterator_traitsIS12_E10value_typeET2_T3_PNS13_IS18_E10value_typeET4_jRbjT5_S1E_jjP12ihipStream_tbEUljE_ZNSN_ISO_Lb1ESQ_SR_ST_SU_SY_EESZ_S10_S11_S12_S16_S17_S18_S1B_S1C_jS1D_jS1E_S1E_jjS1G_bEUljE0_EEESZ_S10_S11_S18_S1C_S1E_T6_T7_T9_mT8_S1G_bDpT10_ENKUlT_T0_E_clISt17integral_constantIbLb0EES1U_EEDaS1P_S1Q_EUlS1P_E_NS1_11comp_targetILNS1_3genE2ELNS1_11target_archE906ELNS1_3gpuE6ELNS1_3repE0EEENS1_30default_config_static_selectorELNS0_4arch9wavefront6targetE0EEEvS12_
    .private_segment_fixed_size: 0
    .sgpr_count:     0
    .sgpr_spill_count: 0
    .symbol:         _ZN7rocprim17ROCPRIM_400000_NS6detail17trampoline_kernelINS0_13select_configILj256ELj13ELNS0_17block_load_methodE3ELS4_3ELS4_3ELNS0_20block_scan_algorithmE0ELj4294967295EEENS1_25partition_config_selectorILNS1_17partition_subalgoE4EjNS0_10empty_typeEbEEZZNS1_14partition_implILS8_4ELb0ES6_15HIP_vector_typeIjLj2EENS0_17counting_iteratorIjlEEPS9_SG_NS0_5tupleIJPjSI_NS0_16reverse_iteratorISI_EEEEENSH_IJSG_SG_SG_EEES9_SI_JZNS1_25segmented_radix_sort_implINS0_14default_configELb1EPKiPiPKlPlN2at6native12_GLOBAL__N_18offset_tEEE10hipError_tPvRmT1_PNSt15iterator_traitsIS12_E10value_typeET2_T3_PNS13_IS18_E10value_typeET4_jRbjT5_S1E_jjP12ihipStream_tbEUljE_ZNSN_ISO_Lb1ESQ_SR_ST_SU_SY_EESZ_S10_S11_S12_S16_S17_S18_S1B_S1C_jS1D_jS1E_S1E_jjS1G_bEUljE0_EEESZ_S10_S11_S18_S1C_S1E_T6_T7_T9_mT8_S1G_bDpT10_ENKUlT_T0_E_clISt17integral_constantIbLb0EES1U_EEDaS1P_S1Q_EUlS1P_E_NS1_11comp_targetILNS1_3genE2ELNS1_11target_archE906ELNS1_3gpuE6ELNS1_3repE0EEENS1_30default_config_static_selectorELNS0_4arch9wavefront6targetE0EEEvS12_.kd
    .uniform_work_group_size: 1
    .uses_dynamic_stack: false
    .vgpr_count:     0
    .vgpr_spill_count: 0
    .wavefront_size: 32
  - .args:
      - .offset:         0
        .size:           176
        .value_kind:     by_value
    .group_segment_fixed_size: 0
    .kernarg_segment_align: 8
    .kernarg_segment_size: 176
    .language:       OpenCL C
    .language_version:
      - 2
      - 0
    .max_flat_workgroup_size: 256
    .name:           _ZN7rocprim17ROCPRIM_400000_NS6detail17trampoline_kernelINS0_13select_configILj256ELj13ELNS0_17block_load_methodE3ELS4_3ELS4_3ELNS0_20block_scan_algorithmE0ELj4294967295EEENS1_25partition_config_selectorILNS1_17partition_subalgoE4EjNS0_10empty_typeEbEEZZNS1_14partition_implILS8_4ELb0ES6_15HIP_vector_typeIjLj2EENS0_17counting_iteratorIjlEEPS9_SG_NS0_5tupleIJPjSI_NS0_16reverse_iteratorISI_EEEEENSH_IJSG_SG_SG_EEES9_SI_JZNS1_25segmented_radix_sort_implINS0_14default_configELb1EPKiPiPKlPlN2at6native12_GLOBAL__N_18offset_tEEE10hipError_tPvRmT1_PNSt15iterator_traitsIS12_E10value_typeET2_T3_PNS13_IS18_E10value_typeET4_jRbjT5_S1E_jjP12ihipStream_tbEUljE_ZNSN_ISO_Lb1ESQ_SR_ST_SU_SY_EESZ_S10_S11_S12_S16_S17_S18_S1B_S1C_jS1D_jS1E_S1E_jjS1G_bEUljE0_EEESZ_S10_S11_S18_S1C_S1E_T6_T7_T9_mT8_S1G_bDpT10_ENKUlT_T0_E_clISt17integral_constantIbLb0EES1U_EEDaS1P_S1Q_EUlS1P_E_NS1_11comp_targetILNS1_3genE10ELNS1_11target_archE1200ELNS1_3gpuE4ELNS1_3repE0EEENS1_30default_config_static_selectorELNS0_4arch9wavefront6targetE0EEEvS12_
    .private_segment_fixed_size: 0
    .sgpr_count:     0
    .sgpr_spill_count: 0
    .symbol:         _ZN7rocprim17ROCPRIM_400000_NS6detail17trampoline_kernelINS0_13select_configILj256ELj13ELNS0_17block_load_methodE3ELS4_3ELS4_3ELNS0_20block_scan_algorithmE0ELj4294967295EEENS1_25partition_config_selectorILNS1_17partition_subalgoE4EjNS0_10empty_typeEbEEZZNS1_14partition_implILS8_4ELb0ES6_15HIP_vector_typeIjLj2EENS0_17counting_iteratorIjlEEPS9_SG_NS0_5tupleIJPjSI_NS0_16reverse_iteratorISI_EEEEENSH_IJSG_SG_SG_EEES9_SI_JZNS1_25segmented_radix_sort_implINS0_14default_configELb1EPKiPiPKlPlN2at6native12_GLOBAL__N_18offset_tEEE10hipError_tPvRmT1_PNSt15iterator_traitsIS12_E10value_typeET2_T3_PNS13_IS18_E10value_typeET4_jRbjT5_S1E_jjP12ihipStream_tbEUljE_ZNSN_ISO_Lb1ESQ_SR_ST_SU_SY_EESZ_S10_S11_S12_S16_S17_S18_S1B_S1C_jS1D_jS1E_S1E_jjS1G_bEUljE0_EEESZ_S10_S11_S18_S1C_S1E_T6_T7_T9_mT8_S1G_bDpT10_ENKUlT_T0_E_clISt17integral_constantIbLb0EES1U_EEDaS1P_S1Q_EUlS1P_E_NS1_11comp_targetILNS1_3genE10ELNS1_11target_archE1200ELNS1_3gpuE4ELNS1_3repE0EEENS1_30default_config_static_selectorELNS0_4arch9wavefront6targetE0EEEvS12_.kd
    .uniform_work_group_size: 1
    .uses_dynamic_stack: false
    .vgpr_count:     0
    .vgpr_spill_count: 0
    .wavefront_size: 32
  - .args:
      - .offset:         0
        .size:           176
        .value_kind:     by_value
    .group_segment_fixed_size: 0
    .kernarg_segment_align: 8
    .kernarg_segment_size: 176
    .language:       OpenCL C
    .language_version:
      - 2
      - 0
    .max_flat_workgroup_size: 256
    .name:           _ZN7rocprim17ROCPRIM_400000_NS6detail17trampoline_kernelINS0_13select_configILj256ELj13ELNS0_17block_load_methodE3ELS4_3ELS4_3ELNS0_20block_scan_algorithmE0ELj4294967295EEENS1_25partition_config_selectorILNS1_17partition_subalgoE4EjNS0_10empty_typeEbEEZZNS1_14partition_implILS8_4ELb0ES6_15HIP_vector_typeIjLj2EENS0_17counting_iteratorIjlEEPS9_SG_NS0_5tupleIJPjSI_NS0_16reverse_iteratorISI_EEEEENSH_IJSG_SG_SG_EEES9_SI_JZNS1_25segmented_radix_sort_implINS0_14default_configELb1EPKiPiPKlPlN2at6native12_GLOBAL__N_18offset_tEEE10hipError_tPvRmT1_PNSt15iterator_traitsIS12_E10value_typeET2_T3_PNS13_IS18_E10value_typeET4_jRbjT5_S1E_jjP12ihipStream_tbEUljE_ZNSN_ISO_Lb1ESQ_SR_ST_SU_SY_EESZ_S10_S11_S12_S16_S17_S18_S1B_S1C_jS1D_jS1E_S1E_jjS1G_bEUljE0_EEESZ_S10_S11_S18_S1C_S1E_T6_T7_T9_mT8_S1G_bDpT10_ENKUlT_T0_E_clISt17integral_constantIbLb0EES1U_EEDaS1P_S1Q_EUlS1P_E_NS1_11comp_targetILNS1_3genE9ELNS1_11target_archE1100ELNS1_3gpuE3ELNS1_3repE0EEENS1_30default_config_static_selectorELNS0_4arch9wavefront6targetE0EEEvS12_
    .private_segment_fixed_size: 0
    .sgpr_count:     0
    .sgpr_spill_count: 0
    .symbol:         _ZN7rocprim17ROCPRIM_400000_NS6detail17trampoline_kernelINS0_13select_configILj256ELj13ELNS0_17block_load_methodE3ELS4_3ELS4_3ELNS0_20block_scan_algorithmE0ELj4294967295EEENS1_25partition_config_selectorILNS1_17partition_subalgoE4EjNS0_10empty_typeEbEEZZNS1_14partition_implILS8_4ELb0ES6_15HIP_vector_typeIjLj2EENS0_17counting_iteratorIjlEEPS9_SG_NS0_5tupleIJPjSI_NS0_16reverse_iteratorISI_EEEEENSH_IJSG_SG_SG_EEES9_SI_JZNS1_25segmented_radix_sort_implINS0_14default_configELb1EPKiPiPKlPlN2at6native12_GLOBAL__N_18offset_tEEE10hipError_tPvRmT1_PNSt15iterator_traitsIS12_E10value_typeET2_T3_PNS13_IS18_E10value_typeET4_jRbjT5_S1E_jjP12ihipStream_tbEUljE_ZNSN_ISO_Lb1ESQ_SR_ST_SU_SY_EESZ_S10_S11_S12_S16_S17_S18_S1B_S1C_jS1D_jS1E_S1E_jjS1G_bEUljE0_EEESZ_S10_S11_S18_S1C_S1E_T6_T7_T9_mT8_S1G_bDpT10_ENKUlT_T0_E_clISt17integral_constantIbLb0EES1U_EEDaS1P_S1Q_EUlS1P_E_NS1_11comp_targetILNS1_3genE9ELNS1_11target_archE1100ELNS1_3gpuE3ELNS1_3repE0EEENS1_30default_config_static_selectorELNS0_4arch9wavefront6targetE0EEEvS12_.kd
    .uniform_work_group_size: 1
    .uses_dynamic_stack: false
    .vgpr_count:     0
    .vgpr_spill_count: 0
    .wavefront_size: 32
  - .args:
      - .offset:         0
        .size:           176
        .value_kind:     by_value
    .group_segment_fixed_size: 0
    .kernarg_segment_align: 8
    .kernarg_segment_size: 176
    .language:       OpenCL C
    .language_version:
      - 2
      - 0
    .max_flat_workgroup_size: 256
    .name:           _ZN7rocprim17ROCPRIM_400000_NS6detail17trampoline_kernelINS0_13select_configILj256ELj13ELNS0_17block_load_methodE3ELS4_3ELS4_3ELNS0_20block_scan_algorithmE0ELj4294967295EEENS1_25partition_config_selectorILNS1_17partition_subalgoE4EjNS0_10empty_typeEbEEZZNS1_14partition_implILS8_4ELb0ES6_15HIP_vector_typeIjLj2EENS0_17counting_iteratorIjlEEPS9_SG_NS0_5tupleIJPjSI_NS0_16reverse_iteratorISI_EEEEENSH_IJSG_SG_SG_EEES9_SI_JZNS1_25segmented_radix_sort_implINS0_14default_configELb1EPKiPiPKlPlN2at6native12_GLOBAL__N_18offset_tEEE10hipError_tPvRmT1_PNSt15iterator_traitsIS12_E10value_typeET2_T3_PNS13_IS18_E10value_typeET4_jRbjT5_S1E_jjP12ihipStream_tbEUljE_ZNSN_ISO_Lb1ESQ_SR_ST_SU_SY_EESZ_S10_S11_S12_S16_S17_S18_S1B_S1C_jS1D_jS1E_S1E_jjS1G_bEUljE0_EEESZ_S10_S11_S18_S1C_S1E_T6_T7_T9_mT8_S1G_bDpT10_ENKUlT_T0_E_clISt17integral_constantIbLb0EES1U_EEDaS1P_S1Q_EUlS1P_E_NS1_11comp_targetILNS1_3genE8ELNS1_11target_archE1030ELNS1_3gpuE2ELNS1_3repE0EEENS1_30default_config_static_selectorELNS0_4arch9wavefront6targetE0EEEvS12_
    .private_segment_fixed_size: 0
    .sgpr_count:     0
    .sgpr_spill_count: 0
    .symbol:         _ZN7rocprim17ROCPRIM_400000_NS6detail17trampoline_kernelINS0_13select_configILj256ELj13ELNS0_17block_load_methodE3ELS4_3ELS4_3ELNS0_20block_scan_algorithmE0ELj4294967295EEENS1_25partition_config_selectorILNS1_17partition_subalgoE4EjNS0_10empty_typeEbEEZZNS1_14partition_implILS8_4ELb0ES6_15HIP_vector_typeIjLj2EENS0_17counting_iteratorIjlEEPS9_SG_NS0_5tupleIJPjSI_NS0_16reverse_iteratorISI_EEEEENSH_IJSG_SG_SG_EEES9_SI_JZNS1_25segmented_radix_sort_implINS0_14default_configELb1EPKiPiPKlPlN2at6native12_GLOBAL__N_18offset_tEEE10hipError_tPvRmT1_PNSt15iterator_traitsIS12_E10value_typeET2_T3_PNS13_IS18_E10value_typeET4_jRbjT5_S1E_jjP12ihipStream_tbEUljE_ZNSN_ISO_Lb1ESQ_SR_ST_SU_SY_EESZ_S10_S11_S12_S16_S17_S18_S1B_S1C_jS1D_jS1E_S1E_jjS1G_bEUljE0_EEESZ_S10_S11_S18_S1C_S1E_T6_T7_T9_mT8_S1G_bDpT10_ENKUlT_T0_E_clISt17integral_constantIbLb0EES1U_EEDaS1P_S1Q_EUlS1P_E_NS1_11comp_targetILNS1_3genE8ELNS1_11target_archE1030ELNS1_3gpuE2ELNS1_3repE0EEENS1_30default_config_static_selectorELNS0_4arch9wavefront6targetE0EEEvS12_.kd
    .uniform_work_group_size: 1
    .uses_dynamic_stack: false
    .vgpr_count:     0
    .vgpr_spill_count: 0
    .wavefront_size: 32
  - .args:
      - .offset:         0
        .size:           184
        .value_kind:     by_value
    .group_segment_fixed_size: 0
    .kernarg_segment_align: 8
    .kernarg_segment_size: 184
    .language:       OpenCL C
    .language_version:
      - 2
      - 0
    .max_flat_workgroup_size: 256
    .name:           _ZN7rocprim17ROCPRIM_400000_NS6detail17trampoline_kernelINS0_13select_configILj256ELj13ELNS0_17block_load_methodE3ELS4_3ELS4_3ELNS0_20block_scan_algorithmE0ELj4294967295EEENS1_25partition_config_selectorILNS1_17partition_subalgoE4EjNS0_10empty_typeEbEEZZNS1_14partition_implILS8_4ELb0ES6_15HIP_vector_typeIjLj2EENS0_17counting_iteratorIjlEEPS9_SG_NS0_5tupleIJPjSI_NS0_16reverse_iteratorISI_EEEEENSH_IJSG_SG_SG_EEES9_SI_JZNS1_25segmented_radix_sort_implINS0_14default_configELb1EPKiPiPKlPlN2at6native12_GLOBAL__N_18offset_tEEE10hipError_tPvRmT1_PNSt15iterator_traitsIS12_E10value_typeET2_T3_PNS13_IS18_E10value_typeET4_jRbjT5_S1E_jjP12ihipStream_tbEUljE_ZNSN_ISO_Lb1ESQ_SR_ST_SU_SY_EESZ_S10_S11_S12_S16_S17_S18_S1B_S1C_jS1D_jS1E_S1E_jjS1G_bEUljE0_EEESZ_S10_S11_S18_S1C_S1E_T6_T7_T9_mT8_S1G_bDpT10_ENKUlT_T0_E_clISt17integral_constantIbLb1EES1U_EEDaS1P_S1Q_EUlS1P_E_NS1_11comp_targetILNS1_3genE0ELNS1_11target_archE4294967295ELNS1_3gpuE0ELNS1_3repE0EEENS1_30default_config_static_selectorELNS0_4arch9wavefront6targetE0EEEvS12_
    .private_segment_fixed_size: 0
    .sgpr_count:     0
    .sgpr_spill_count: 0
    .symbol:         _ZN7rocprim17ROCPRIM_400000_NS6detail17trampoline_kernelINS0_13select_configILj256ELj13ELNS0_17block_load_methodE3ELS4_3ELS4_3ELNS0_20block_scan_algorithmE0ELj4294967295EEENS1_25partition_config_selectorILNS1_17partition_subalgoE4EjNS0_10empty_typeEbEEZZNS1_14partition_implILS8_4ELb0ES6_15HIP_vector_typeIjLj2EENS0_17counting_iteratorIjlEEPS9_SG_NS0_5tupleIJPjSI_NS0_16reverse_iteratorISI_EEEEENSH_IJSG_SG_SG_EEES9_SI_JZNS1_25segmented_radix_sort_implINS0_14default_configELb1EPKiPiPKlPlN2at6native12_GLOBAL__N_18offset_tEEE10hipError_tPvRmT1_PNSt15iterator_traitsIS12_E10value_typeET2_T3_PNS13_IS18_E10value_typeET4_jRbjT5_S1E_jjP12ihipStream_tbEUljE_ZNSN_ISO_Lb1ESQ_SR_ST_SU_SY_EESZ_S10_S11_S12_S16_S17_S18_S1B_S1C_jS1D_jS1E_S1E_jjS1G_bEUljE0_EEESZ_S10_S11_S18_S1C_S1E_T6_T7_T9_mT8_S1G_bDpT10_ENKUlT_T0_E_clISt17integral_constantIbLb1EES1U_EEDaS1P_S1Q_EUlS1P_E_NS1_11comp_targetILNS1_3genE0ELNS1_11target_archE4294967295ELNS1_3gpuE0ELNS1_3repE0EEENS1_30default_config_static_selectorELNS0_4arch9wavefront6targetE0EEEvS12_.kd
    .uniform_work_group_size: 1
    .uses_dynamic_stack: false
    .vgpr_count:     0
    .vgpr_spill_count: 0
    .wavefront_size: 32
  - .args:
      - .offset:         0
        .size:           184
        .value_kind:     by_value
    .group_segment_fixed_size: 0
    .kernarg_segment_align: 8
    .kernarg_segment_size: 184
    .language:       OpenCL C
    .language_version:
      - 2
      - 0
    .max_flat_workgroup_size: 256
    .name:           _ZN7rocprim17ROCPRIM_400000_NS6detail17trampoline_kernelINS0_13select_configILj256ELj13ELNS0_17block_load_methodE3ELS4_3ELS4_3ELNS0_20block_scan_algorithmE0ELj4294967295EEENS1_25partition_config_selectorILNS1_17partition_subalgoE4EjNS0_10empty_typeEbEEZZNS1_14partition_implILS8_4ELb0ES6_15HIP_vector_typeIjLj2EENS0_17counting_iteratorIjlEEPS9_SG_NS0_5tupleIJPjSI_NS0_16reverse_iteratorISI_EEEEENSH_IJSG_SG_SG_EEES9_SI_JZNS1_25segmented_radix_sort_implINS0_14default_configELb1EPKiPiPKlPlN2at6native12_GLOBAL__N_18offset_tEEE10hipError_tPvRmT1_PNSt15iterator_traitsIS12_E10value_typeET2_T3_PNS13_IS18_E10value_typeET4_jRbjT5_S1E_jjP12ihipStream_tbEUljE_ZNSN_ISO_Lb1ESQ_SR_ST_SU_SY_EESZ_S10_S11_S12_S16_S17_S18_S1B_S1C_jS1D_jS1E_S1E_jjS1G_bEUljE0_EEESZ_S10_S11_S18_S1C_S1E_T6_T7_T9_mT8_S1G_bDpT10_ENKUlT_T0_E_clISt17integral_constantIbLb1EES1U_EEDaS1P_S1Q_EUlS1P_E_NS1_11comp_targetILNS1_3genE5ELNS1_11target_archE942ELNS1_3gpuE9ELNS1_3repE0EEENS1_30default_config_static_selectorELNS0_4arch9wavefront6targetE0EEEvS12_
    .private_segment_fixed_size: 0
    .sgpr_count:     0
    .sgpr_spill_count: 0
    .symbol:         _ZN7rocprim17ROCPRIM_400000_NS6detail17trampoline_kernelINS0_13select_configILj256ELj13ELNS0_17block_load_methodE3ELS4_3ELS4_3ELNS0_20block_scan_algorithmE0ELj4294967295EEENS1_25partition_config_selectorILNS1_17partition_subalgoE4EjNS0_10empty_typeEbEEZZNS1_14partition_implILS8_4ELb0ES6_15HIP_vector_typeIjLj2EENS0_17counting_iteratorIjlEEPS9_SG_NS0_5tupleIJPjSI_NS0_16reverse_iteratorISI_EEEEENSH_IJSG_SG_SG_EEES9_SI_JZNS1_25segmented_radix_sort_implINS0_14default_configELb1EPKiPiPKlPlN2at6native12_GLOBAL__N_18offset_tEEE10hipError_tPvRmT1_PNSt15iterator_traitsIS12_E10value_typeET2_T3_PNS13_IS18_E10value_typeET4_jRbjT5_S1E_jjP12ihipStream_tbEUljE_ZNSN_ISO_Lb1ESQ_SR_ST_SU_SY_EESZ_S10_S11_S12_S16_S17_S18_S1B_S1C_jS1D_jS1E_S1E_jjS1G_bEUljE0_EEESZ_S10_S11_S18_S1C_S1E_T6_T7_T9_mT8_S1G_bDpT10_ENKUlT_T0_E_clISt17integral_constantIbLb1EES1U_EEDaS1P_S1Q_EUlS1P_E_NS1_11comp_targetILNS1_3genE5ELNS1_11target_archE942ELNS1_3gpuE9ELNS1_3repE0EEENS1_30default_config_static_selectorELNS0_4arch9wavefront6targetE0EEEvS12_.kd
    .uniform_work_group_size: 1
    .uses_dynamic_stack: false
    .vgpr_count:     0
    .vgpr_spill_count: 0
    .wavefront_size: 32
  - .args:
      - .offset:         0
        .size:           184
        .value_kind:     by_value
    .group_segment_fixed_size: 0
    .kernarg_segment_align: 8
    .kernarg_segment_size: 184
    .language:       OpenCL C
    .language_version:
      - 2
      - 0
    .max_flat_workgroup_size: 256
    .name:           _ZN7rocprim17ROCPRIM_400000_NS6detail17trampoline_kernelINS0_13select_configILj256ELj13ELNS0_17block_load_methodE3ELS4_3ELS4_3ELNS0_20block_scan_algorithmE0ELj4294967295EEENS1_25partition_config_selectorILNS1_17partition_subalgoE4EjNS0_10empty_typeEbEEZZNS1_14partition_implILS8_4ELb0ES6_15HIP_vector_typeIjLj2EENS0_17counting_iteratorIjlEEPS9_SG_NS0_5tupleIJPjSI_NS0_16reverse_iteratorISI_EEEEENSH_IJSG_SG_SG_EEES9_SI_JZNS1_25segmented_radix_sort_implINS0_14default_configELb1EPKiPiPKlPlN2at6native12_GLOBAL__N_18offset_tEEE10hipError_tPvRmT1_PNSt15iterator_traitsIS12_E10value_typeET2_T3_PNS13_IS18_E10value_typeET4_jRbjT5_S1E_jjP12ihipStream_tbEUljE_ZNSN_ISO_Lb1ESQ_SR_ST_SU_SY_EESZ_S10_S11_S12_S16_S17_S18_S1B_S1C_jS1D_jS1E_S1E_jjS1G_bEUljE0_EEESZ_S10_S11_S18_S1C_S1E_T6_T7_T9_mT8_S1G_bDpT10_ENKUlT_T0_E_clISt17integral_constantIbLb1EES1U_EEDaS1P_S1Q_EUlS1P_E_NS1_11comp_targetILNS1_3genE4ELNS1_11target_archE910ELNS1_3gpuE8ELNS1_3repE0EEENS1_30default_config_static_selectorELNS0_4arch9wavefront6targetE0EEEvS12_
    .private_segment_fixed_size: 0
    .sgpr_count:     0
    .sgpr_spill_count: 0
    .symbol:         _ZN7rocprim17ROCPRIM_400000_NS6detail17trampoline_kernelINS0_13select_configILj256ELj13ELNS0_17block_load_methodE3ELS4_3ELS4_3ELNS0_20block_scan_algorithmE0ELj4294967295EEENS1_25partition_config_selectorILNS1_17partition_subalgoE4EjNS0_10empty_typeEbEEZZNS1_14partition_implILS8_4ELb0ES6_15HIP_vector_typeIjLj2EENS0_17counting_iteratorIjlEEPS9_SG_NS0_5tupleIJPjSI_NS0_16reverse_iteratorISI_EEEEENSH_IJSG_SG_SG_EEES9_SI_JZNS1_25segmented_radix_sort_implINS0_14default_configELb1EPKiPiPKlPlN2at6native12_GLOBAL__N_18offset_tEEE10hipError_tPvRmT1_PNSt15iterator_traitsIS12_E10value_typeET2_T3_PNS13_IS18_E10value_typeET4_jRbjT5_S1E_jjP12ihipStream_tbEUljE_ZNSN_ISO_Lb1ESQ_SR_ST_SU_SY_EESZ_S10_S11_S12_S16_S17_S18_S1B_S1C_jS1D_jS1E_S1E_jjS1G_bEUljE0_EEESZ_S10_S11_S18_S1C_S1E_T6_T7_T9_mT8_S1G_bDpT10_ENKUlT_T0_E_clISt17integral_constantIbLb1EES1U_EEDaS1P_S1Q_EUlS1P_E_NS1_11comp_targetILNS1_3genE4ELNS1_11target_archE910ELNS1_3gpuE8ELNS1_3repE0EEENS1_30default_config_static_selectorELNS0_4arch9wavefront6targetE0EEEvS12_.kd
    .uniform_work_group_size: 1
    .uses_dynamic_stack: false
    .vgpr_count:     0
    .vgpr_spill_count: 0
    .wavefront_size: 32
  - .args:
      - .offset:         0
        .size:           184
        .value_kind:     by_value
    .group_segment_fixed_size: 0
    .kernarg_segment_align: 8
    .kernarg_segment_size: 184
    .language:       OpenCL C
    .language_version:
      - 2
      - 0
    .max_flat_workgroup_size: 256
    .name:           _ZN7rocprim17ROCPRIM_400000_NS6detail17trampoline_kernelINS0_13select_configILj256ELj13ELNS0_17block_load_methodE3ELS4_3ELS4_3ELNS0_20block_scan_algorithmE0ELj4294967295EEENS1_25partition_config_selectorILNS1_17partition_subalgoE4EjNS0_10empty_typeEbEEZZNS1_14partition_implILS8_4ELb0ES6_15HIP_vector_typeIjLj2EENS0_17counting_iteratorIjlEEPS9_SG_NS0_5tupleIJPjSI_NS0_16reverse_iteratorISI_EEEEENSH_IJSG_SG_SG_EEES9_SI_JZNS1_25segmented_radix_sort_implINS0_14default_configELb1EPKiPiPKlPlN2at6native12_GLOBAL__N_18offset_tEEE10hipError_tPvRmT1_PNSt15iterator_traitsIS12_E10value_typeET2_T3_PNS13_IS18_E10value_typeET4_jRbjT5_S1E_jjP12ihipStream_tbEUljE_ZNSN_ISO_Lb1ESQ_SR_ST_SU_SY_EESZ_S10_S11_S12_S16_S17_S18_S1B_S1C_jS1D_jS1E_S1E_jjS1G_bEUljE0_EEESZ_S10_S11_S18_S1C_S1E_T6_T7_T9_mT8_S1G_bDpT10_ENKUlT_T0_E_clISt17integral_constantIbLb1EES1U_EEDaS1P_S1Q_EUlS1P_E_NS1_11comp_targetILNS1_3genE3ELNS1_11target_archE908ELNS1_3gpuE7ELNS1_3repE0EEENS1_30default_config_static_selectorELNS0_4arch9wavefront6targetE0EEEvS12_
    .private_segment_fixed_size: 0
    .sgpr_count:     0
    .sgpr_spill_count: 0
    .symbol:         _ZN7rocprim17ROCPRIM_400000_NS6detail17trampoline_kernelINS0_13select_configILj256ELj13ELNS0_17block_load_methodE3ELS4_3ELS4_3ELNS0_20block_scan_algorithmE0ELj4294967295EEENS1_25partition_config_selectorILNS1_17partition_subalgoE4EjNS0_10empty_typeEbEEZZNS1_14partition_implILS8_4ELb0ES6_15HIP_vector_typeIjLj2EENS0_17counting_iteratorIjlEEPS9_SG_NS0_5tupleIJPjSI_NS0_16reverse_iteratorISI_EEEEENSH_IJSG_SG_SG_EEES9_SI_JZNS1_25segmented_radix_sort_implINS0_14default_configELb1EPKiPiPKlPlN2at6native12_GLOBAL__N_18offset_tEEE10hipError_tPvRmT1_PNSt15iterator_traitsIS12_E10value_typeET2_T3_PNS13_IS18_E10value_typeET4_jRbjT5_S1E_jjP12ihipStream_tbEUljE_ZNSN_ISO_Lb1ESQ_SR_ST_SU_SY_EESZ_S10_S11_S12_S16_S17_S18_S1B_S1C_jS1D_jS1E_S1E_jjS1G_bEUljE0_EEESZ_S10_S11_S18_S1C_S1E_T6_T7_T9_mT8_S1G_bDpT10_ENKUlT_T0_E_clISt17integral_constantIbLb1EES1U_EEDaS1P_S1Q_EUlS1P_E_NS1_11comp_targetILNS1_3genE3ELNS1_11target_archE908ELNS1_3gpuE7ELNS1_3repE0EEENS1_30default_config_static_selectorELNS0_4arch9wavefront6targetE0EEEvS12_.kd
    .uniform_work_group_size: 1
    .uses_dynamic_stack: false
    .vgpr_count:     0
    .vgpr_spill_count: 0
    .wavefront_size: 32
  - .args:
      - .offset:         0
        .size:           184
        .value_kind:     by_value
    .group_segment_fixed_size: 0
    .kernarg_segment_align: 8
    .kernarg_segment_size: 184
    .language:       OpenCL C
    .language_version:
      - 2
      - 0
    .max_flat_workgroup_size: 256
    .name:           _ZN7rocprim17ROCPRIM_400000_NS6detail17trampoline_kernelINS0_13select_configILj256ELj13ELNS0_17block_load_methodE3ELS4_3ELS4_3ELNS0_20block_scan_algorithmE0ELj4294967295EEENS1_25partition_config_selectorILNS1_17partition_subalgoE4EjNS0_10empty_typeEbEEZZNS1_14partition_implILS8_4ELb0ES6_15HIP_vector_typeIjLj2EENS0_17counting_iteratorIjlEEPS9_SG_NS0_5tupleIJPjSI_NS0_16reverse_iteratorISI_EEEEENSH_IJSG_SG_SG_EEES9_SI_JZNS1_25segmented_radix_sort_implINS0_14default_configELb1EPKiPiPKlPlN2at6native12_GLOBAL__N_18offset_tEEE10hipError_tPvRmT1_PNSt15iterator_traitsIS12_E10value_typeET2_T3_PNS13_IS18_E10value_typeET4_jRbjT5_S1E_jjP12ihipStream_tbEUljE_ZNSN_ISO_Lb1ESQ_SR_ST_SU_SY_EESZ_S10_S11_S12_S16_S17_S18_S1B_S1C_jS1D_jS1E_S1E_jjS1G_bEUljE0_EEESZ_S10_S11_S18_S1C_S1E_T6_T7_T9_mT8_S1G_bDpT10_ENKUlT_T0_E_clISt17integral_constantIbLb1EES1U_EEDaS1P_S1Q_EUlS1P_E_NS1_11comp_targetILNS1_3genE2ELNS1_11target_archE906ELNS1_3gpuE6ELNS1_3repE0EEENS1_30default_config_static_selectorELNS0_4arch9wavefront6targetE0EEEvS12_
    .private_segment_fixed_size: 0
    .sgpr_count:     0
    .sgpr_spill_count: 0
    .symbol:         _ZN7rocprim17ROCPRIM_400000_NS6detail17trampoline_kernelINS0_13select_configILj256ELj13ELNS0_17block_load_methodE3ELS4_3ELS4_3ELNS0_20block_scan_algorithmE0ELj4294967295EEENS1_25partition_config_selectorILNS1_17partition_subalgoE4EjNS0_10empty_typeEbEEZZNS1_14partition_implILS8_4ELb0ES6_15HIP_vector_typeIjLj2EENS0_17counting_iteratorIjlEEPS9_SG_NS0_5tupleIJPjSI_NS0_16reverse_iteratorISI_EEEEENSH_IJSG_SG_SG_EEES9_SI_JZNS1_25segmented_radix_sort_implINS0_14default_configELb1EPKiPiPKlPlN2at6native12_GLOBAL__N_18offset_tEEE10hipError_tPvRmT1_PNSt15iterator_traitsIS12_E10value_typeET2_T3_PNS13_IS18_E10value_typeET4_jRbjT5_S1E_jjP12ihipStream_tbEUljE_ZNSN_ISO_Lb1ESQ_SR_ST_SU_SY_EESZ_S10_S11_S12_S16_S17_S18_S1B_S1C_jS1D_jS1E_S1E_jjS1G_bEUljE0_EEESZ_S10_S11_S18_S1C_S1E_T6_T7_T9_mT8_S1G_bDpT10_ENKUlT_T0_E_clISt17integral_constantIbLb1EES1U_EEDaS1P_S1Q_EUlS1P_E_NS1_11comp_targetILNS1_3genE2ELNS1_11target_archE906ELNS1_3gpuE6ELNS1_3repE0EEENS1_30default_config_static_selectorELNS0_4arch9wavefront6targetE0EEEvS12_.kd
    .uniform_work_group_size: 1
    .uses_dynamic_stack: false
    .vgpr_count:     0
    .vgpr_spill_count: 0
    .wavefront_size: 32
  - .args:
      - .offset:         0
        .size:           184
        .value_kind:     by_value
    .group_segment_fixed_size: 0
    .kernarg_segment_align: 8
    .kernarg_segment_size: 184
    .language:       OpenCL C
    .language_version:
      - 2
      - 0
    .max_flat_workgroup_size: 256
    .name:           _ZN7rocprim17ROCPRIM_400000_NS6detail17trampoline_kernelINS0_13select_configILj256ELj13ELNS0_17block_load_methodE3ELS4_3ELS4_3ELNS0_20block_scan_algorithmE0ELj4294967295EEENS1_25partition_config_selectorILNS1_17partition_subalgoE4EjNS0_10empty_typeEbEEZZNS1_14partition_implILS8_4ELb0ES6_15HIP_vector_typeIjLj2EENS0_17counting_iteratorIjlEEPS9_SG_NS0_5tupleIJPjSI_NS0_16reverse_iteratorISI_EEEEENSH_IJSG_SG_SG_EEES9_SI_JZNS1_25segmented_radix_sort_implINS0_14default_configELb1EPKiPiPKlPlN2at6native12_GLOBAL__N_18offset_tEEE10hipError_tPvRmT1_PNSt15iterator_traitsIS12_E10value_typeET2_T3_PNS13_IS18_E10value_typeET4_jRbjT5_S1E_jjP12ihipStream_tbEUljE_ZNSN_ISO_Lb1ESQ_SR_ST_SU_SY_EESZ_S10_S11_S12_S16_S17_S18_S1B_S1C_jS1D_jS1E_S1E_jjS1G_bEUljE0_EEESZ_S10_S11_S18_S1C_S1E_T6_T7_T9_mT8_S1G_bDpT10_ENKUlT_T0_E_clISt17integral_constantIbLb1EES1U_EEDaS1P_S1Q_EUlS1P_E_NS1_11comp_targetILNS1_3genE10ELNS1_11target_archE1200ELNS1_3gpuE4ELNS1_3repE0EEENS1_30default_config_static_selectorELNS0_4arch9wavefront6targetE0EEEvS12_
    .private_segment_fixed_size: 0
    .sgpr_count:     0
    .sgpr_spill_count: 0
    .symbol:         _ZN7rocprim17ROCPRIM_400000_NS6detail17trampoline_kernelINS0_13select_configILj256ELj13ELNS0_17block_load_methodE3ELS4_3ELS4_3ELNS0_20block_scan_algorithmE0ELj4294967295EEENS1_25partition_config_selectorILNS1_17partition_subalgoE4EjNS0_10empty_typeEbEEZZNS1_14partition_implILS8_4ELb0ES6_15HIP_vector_typeIjLj2EENS0_17counting_iteratorIjlEEPS9_SG_NS0_5tupleIJPjSI_NS0_16reverse_iteratorISI_EEEEENSH_IJSG_SG_SG_EEES9_SI_JZNS1_25segmented_radix_sort_implINS0_14default_configELb1EPKiPiPKlPlN2at6native12_GLOBAL__N_18offset_tEEE10hipError_tPvRmT1_PNSt15iterator_traitsIS12_E10value_typeET2_T3_PNS13_IS18_E10value_typeET4_jRbjT5_S1E_jjP12ihipStream_tbEUljE_ZNSN_ISO_Lb1ESQ_SR_ST_SU_SY_EESZ_S10_S11_S12_S16_S17_S18_S1B_S1C_jS1D_jS1E_S1E_jjS1G_bEUljE0_EEESZ_S10_S11_S18_S1C_S1E_T6_T7_T9_mT8_S1G_bDpT10_ENKUlT_T0_E_clISt17integral_constantIbLb1EES1U_EEDaS1P_S1Q_EUlS1P_E_NS1_11comp_targetILNS1_3genE10ELNS1_11target_archE1200ELNS1_3gpuE4ELNS1_3repE0EEENS1_30default_config_static_selectorELNS0_4arch9wavefront6targetE0EEEvS12_.kd
    .uniform_work_group_size: 1
    .uses_dynamic_stack: false
    .vgpr_count:     0
    .vgpr_spill_count: 0
    .wavefront_size: 32
  - .args:
      - .offset:         0
        .size:           184
        .value_kind:     by_value
    .group_segment_fixed_size: 0
    .kernarg_segment_align: 8
    .kernarg_segment_size: 184
    .language:       OpenCL C
    .language_version:
      - 2
      - 0
    .max_flat_workgroup_size: 256
    .name:           _ZN7rocprim17ROCPRIM_400000_NS6detail17trampoline_kernelINS0_13select_configILj256ELj13ELNS0_17block_load_methodE3ELS4_3ELS4_3ELNS0_20block_scan_algorithmE0ELj4294967295EEENS1_25partition_config_selectorILNS1_17partition_subalgoE4EjNS0_10empty_typeEbEEZZNS1_14partition_implILS8_4ELb0ES6_15HIP_vector_typeIjLj2EENS0_17counting_iteratorIjlEEPS9_SG_NS0_5tupleIJPjSI_NS0_16reverse_iteratorISI_EEEEENSH_IJSG_SG_SG_EEES9_SI_JZNS1_25segmented_radix_sort_implINS0_14default_configELb1EPKiPiPKlPlN2at6native12_GLOBAL__N_18offset_tEEE10hipError_tPvRmT1_PNSt15iterator_traitsIS12_E10value_typeET2_T3_PNS13_IS18_E10value_typeET4_jRbjT5_S1E_jjP12ihipStream_tbEUljE_ZNSN_ISO_Lb1ESQ_SR_ST_SU_SY_EESZ_S10_S11_S12_S16_S17_S18_S1B_S1C_jS1D_jS1E_S1E_jjS1G_bEUljE0_EEESZ_S10_S11_S18_S1C_S1E_T6_T7_T9_mT8_S1G_bDpT10_ENKUlT_T0_E_clISt17integral_constantIbLb1EES1U_EEDaS1P_S1Q_EUlS1P_E_NS1_11comp_targetILNS1_3genE9ELNS1_11target_archE1100ELNS1_3gpuE3ELNS1_3repE0EEENS1_30default_config_static_selectorELNS0_4arch9wavefront6targetE0EEEvS12_
    .private_segment_fixed_size: 0
    .sgpr_count:     0
    .sgpr_spill_count: 0
    .symbol:         _ZN7rocprim17ROCPRIM_400000_NS6detail17trampoline_kernelINS0_13select_configILj256ELj13ELNS0_17block_load_methodE3ELS4_3ELS4_3ELNS0_20block_scan_algorithmE0ELj4294967295EEENS1_25partition_config_selectorILNS1_17partition_subalgoE4EjNS0_10empty_typeEbEEZZNS1_14partition_implILS8_4ELb0ES6_15HIP_vector_typeIjLj2EENS0_17counting_iteratorIjlEEPS9_SG_NS0_5tupleIJPjSI_NS0_16reverse_iteratorISI_EEEEENSH_IJSG_SG_SG_EEES9_SI_JZNS1_25segmented_radix_sort_implINS0_14default_configELb1EPKiPiPKlPlN2at6native12_GLOBAL__N_18offset_tEEE10hipError_tPvRmT1_PNSt15iterator_traitsIS12_E10value_typeET2_T3_PNS13_IS18_E10value_typeET4_jRbjT5_S1E_jjP12ihipStream_tbEUljE_ZNSN_ISO_Lb1ESQ_SR_ST_SU_SY_EESZ_S10_S11_S12_S16_S17_S18_S1B_S1C_jS1D_jS1E_S1E_jjS1G_bEUljE0_EEESZ_S10_S11_S18_S1C_S1E_T6_T7_T9_mT8_S1G_bDpT10_ENKUlT_T0_E_clISt17integral_constantIbLb1EES1U_EEDaS1P_S1Q_EUlS1P_E_NS1_11comp_targetILNS1_3genE9ELNS1_11target_archE1100ELNS1_3gpuE3ELNS1_3repE0EEENS1_30default_config_static_selectorELNS0_4arch9wavefront6targetE0EEEvS12_.kd
    .uniform_work_group_size: 1
    .uses_dynamic_stack: false
    .vgpr_count:     0
    .vgpr_spill_count: 0
    .wavefront_size: 32
  - .args:
      - .offset:         0
        .size:           184
        .value_kind:     by_value
    .group_segment_fixed_size: 0
    .kernarg_segment_align: 8
    .kernarg_segment_size: 184
    .language:       OpenCL C
    .language_version:
      - 2
      - 0
    .max_flat_workgroup_size: 256
    .name:           _ZN7rocprim17ROCPRIM_400000_NS6detail17trampoline_kernelINS0_13select_configILj256ELj13ELNS0_17block_load_methodE3ELS4_3ELS4_3ELNS0_20block_scan_algorithmE0ELj4294967295EEENS1_25partition_config_selectorILNS1_17partition_subalgoE4EjNS0_10empty_typeEbEEZZNS1_14partition_implILS8_4ELb0ES6_15HIP_vector_typeIjLj2EENS0_17counting_iteratorIjlEEPS9_SG_NS0_5tupleIJPjSI_NS0_16reverse_iteratorISI_EEEEENSH_IJSG_SG_SG_EEES9_SI_JZNS1_25segmented_radix_sort_implINS0_14default_configELb1EPKiPiPKlPlN2at6native12_GLOBAL__N_18offset_tEEE10hipError_tPvRmT1_PNSt15iterator_traitsIS12_E10value_typeET2_T3_PNS13_IS18_E10value_typeET4_jRbjT5_S1E_jjP12ihipStream_tbEUljE_ZNSN_ISO_Lb1ESQ_SR_ST_SU_SY_EESZ_S10_S11_S12_S16_S17_S18_S1B_S1C_jS1D_jS1E_S1E_jjS1G_bEUljE0_EEESZ_S10_S11_S18_S1C_S1E_T6_T7_T9_mT8_S1G_bDpT10_ENKUlT_T0_E_clISt17integral_constantIbLb1EES1U_EEDaS1P_S1Q_EUlS1P_E_NS1_11comp_targetILNS1_3genE8ELNS1_11target_archE1030ELNS1_3gpuE2ELNS1_3repE0EEENS1_30default_config_static_selectorELNS0_4arch9wavefront6targetE0EEEvS12_
    .private_segment_fixed_size: 0
    .sgpr_count:     0
    .sgpr_spill_count: 0
    .symbol:         _ZN7rocprim17ROCPRIM_400000_NS6detail17trampoline_kernelINS0_13select_configILj256ELj13ELNS0_17block_load_methodE3ELS4_3ELS4_3ELNS0_20block_scan_algorithmE0ELj4294967295EEENS1_25partition_config_selectorILNS1_17partition_subalgoE4EjNS0_10empty_typeEbEEZZNS1_14partition_implILS8_4ELb0ES6_15HIP_vector_typeIjLj2EENS0_17counting_iteratorIjlEEPS9_SG_NS0_5tupleIJPjSI_NS0_16reverse_iteratorISI_EEEEENSH_IJSG_SG_SG_EEES9_SI_JZNS1_25segmented_radix_sort_implINS0_14default_configELb1EPKiPiPKlPlN2at6native12_GLOBAL__N_18offset_tEEE10hipError_tPvRmT1_PNSt15iterator_traitsIS12_E10value_typeET2_T3_PNS13_IS18_E10value_typeET4_jRbjT5_S1E_jjP12ihipStream_tbEUljE_ZNSN_ISO_Lb1ESQ_SR_ST_SU_SY_EESZ_S10_S11_S12_S16_S17_S18_S1B_S1C_jS1D_jS1E_S1E_jjS1G_bEUljE0_EEESZ_S10_S11_S18_S1C_S1E_T6_T7_T9_mT8_S1G_bDpT10_ENKUlT_T0_E_clISt17integral_constantIbLb1EES1U_EEDaS1P_S1Q_EUlS1P_E_NS1_11comp_targetILNS1_3genE8ELNS1_11target_archE1030ELNS1_3gpuE2ELNS1_3repE0EEENS1_30default_config_static_selectorELNS0_4arch9wavefront6targetE0EEEvS12_.kd
    .uniform_work_group_size: 1
    .uses_dynamic_stack: false
    .vgpr_count:     0
    .vgpr_spill_count: 0
    .wavefront_size: 32
  - .args:
      - .offset:         0
        .size:           176
        .value_kind:     by_value
    .group_segment_fixed_size: 0
    .kernarg_segment_align: 8
    .kernarg_segment_size: 176
    .language:       OpenCL C
    .language_version:
      - 2
      - 0
    .max_flat_workgroup_size: 256
    .name:           _ZN7rocprim17ROCPRIM_400000_NS6detail17trampoline_kernelINS0_13select_configILj256ELj13ELNS0_17block_load_methodE3ELS4_3ELS4_3ELNS0_20block_scan_algorithmE0ELj4294967295EEENS1_25partition_config_selectorILNS1_17partition_subalgoE4EjNS0_10empty_typeEbEEZZNS1_14partition_implILS8_4ELb0ES6_15HIP_vector_typeIjLj2EENS0_17counting_iteratorIjlEEPS9_SG_NS0_5tupleIJPjSI_NS0_16reverse_iteratorISI_EEEEENSH_IJSG_SG_SG_EEES9_SI_JZNS1_25segmented_radix_sort_implINS0_14default_configELb1EPKiPiPKlPlN2at6native12_GLOBAL__N_18offset_tEEE10hipError_tPvRmT1_PNSt15iterator_traitsIS12_E10value_typeET2_T3_PNS13_IS18_E10value_typeET4_jRbjT5_S1E_jjP12ihipStream_tbEUljE_ZNSN_ISO_Lb1ESQ_SR_ST_SU_SY_EESZ_S10_S11_S12_S16_S17_S18_S1B_S1C_jS1D_jS1E_S1E_jjS1G_bEUljE0_EEESZ_S10_S11_S18_S1C_S1E_T6_T7_T9_mT8_S1G_bDpT10_ENKUlT_T0_E_clISt17integral_constantIbLb1EES1T_IbLb0EEEEDaS1P_S1Q_EUlS1P_E_NS1_11comp_targetILNS1_3genE0ELNS1_11target_archE4294967295ELNS1_3gpuE0ELNS1_3repE0EEENS1_30default_config_static_selectorELNS0_4arch9wavefront6targetE0EEEvS12_
    .private_segment_fixed_size: 0
    .sgpr_count:     0
    .sgpr_spill_count: 0
    .symbol:         _ZN7rocprim17ROCPRIM_400000_NS6detail17trampoline_kernelINS0_13select_configILj256ELj13ELNS0_17block_load_methodE3ELS4_3ELS4_3ELNS0_20block_scan_algorithmE0ELj4294967295EEENS1_25partition_config_selectorILNS1_17partition_subalgoE4EjNS0_10empty_typeEbEEZZNS1_14partition_implILS8_4ELb0ES6_15HIP_vector_typeIjLj2EENS0_17counting_iteratorIjlEEPS9_SG_NS0_5tupleIJPjSI_NS0_16reverse_iteratorISI_EEEEENSH_IJSG_SG_SG_EEES9_SI_JZNS1_25segmented_radix_sort_implINS0_14default_configELb1EPKiPiPKlPlN2at6native12_GLOBAL__N_18offset_tEEE10hipError_tPvRmT1_PNSt15iterator_traitsIS12_E10value_typeET2_T3_PNS13_IS18_E10value_typeET4_jRbjT5_S1E_jjP12ihipStream_tbEUljE_ZNSN_ISO_Lb1ESQ_SR_ST_SU_SY_EESZ_S10_S11_S12_S16_S17_S18_S1B_S1C_jS1D_jS1E_S1E_jjS1G_bEUljE0_EEESZ_S10_S11_S18_S1C_S1E_T6_T7_T9_mT8_S1G_bDpT10_ENKUlT_T0_E_clISt17integral_constantIbLb1EES1T_IbLb0EEEEDaS1P_S1Q_EUlS1P_E_NS1_11comp_targetILNS1_3genE0ELNS1_11target_archE4294967295ELNS1_3gpuE0ELNS1_3repE0EEENS1_30default_config_static_selectorELNS0_4arch9wavefront6targetE0EEEvS12_.kd
    .uniform_work_group_size: 1
    .uses_dynamic_stack: false
    .vgpr_count:     0
    .vgpr_spill_count: 0
    .wavefront_size: 32
  - .args:
      - .offset:         0
        .size:           176
        .value_kind:     by_value
    .group_segment_fixed_size: 0
    .kernarg_segment_align: 8
    .kernarg_segment_size: 176
    .language:       OpenCL C
    .language_version:
      - 2
      - 0
    .max_flat_workgroup_size: 256
    .name:           _ZN7rocprim17ROCPRIM_400000_NS6detail17trampoline_kernelINS0_13select_configILj256ELj13ELNS0_17block_load_methodE3ELS4_3ELS4_3ELNS0_20block_scan_algorithmE0ELj4294967295EEENS1_25partition_config_selectorILNS1_17partition_subalgoE4EjNS0_10empty_typeEbEEZZNS1_14partition_implILS8_4ELb0ES6_15HIP_vector_typeIjLj2EENS0_17counting_iteratorIjlEEPS9_SG_NS0_5tupleIJPjSI_NS0_16reverse_iteratorISI_EEEEENSH_IJSG_SG_SG_EEES9_SI_JZNS1_25segmented_radix_sort_implINS0_14default_configELb1EPKiPiPKlPlN2at6native12_GLOBAL__N_18offset_tEEE10hipError_tPvRmT1_PNSt15iterator_traitsIS12_E10value_typeET2_T3_PNS13_IS18_E10value_typeET4_jRbjT5_S1E_jjP12ihipStream_tbEUljE_ZNSN_ISO_Lb1ESQ_SR_ST_SU_SY_EESZ_S10_S11_S12_S16_S17_S18_S1B_S1C_jS1D_jS1E_S1E_jjS1G_bEUljE0_EEESZ_S10_S11_S18_S1C_S1E_T6_T7_T9_mT8_S1G_bDpT10_ENKUlT_T0_E_clISt17integral_constantIbLb1EES1T_IbLb0EEEEDaS1P_S1Q_EUlS1P_E_NS1_11comp_targetILNS1_3genE5ELNS1_11target_archE942ELNS1_3gpuE9ELNS1_3repE0EEENS1_30default_config_static_selectorELNS0_4arch9wavefront6targetE0EEEvS12_
    .private_segment_fixed_size: 0
    .sgpr_count:     0
    .sgpr_spill_count: 0
    .symbol:         _ZN7rocprim17ROCPRIM_400000_NS6detail17trampoline_kernelINS0_13select_configILj256ELj13ELNS0_17block_load_methodE3ELS4_3ELS4_3ELNS0_20block_scan_algorithmE0ELj4294967295EEENS1_25partition_config_selectorILNS1_17partition_subalgoE4EjNS0_10empty_typeEbEEZZNS1_14partition_implILS8_4ELb0ES6_15HIP_vector_typeIjLj2EENS0_17counting_iteratorIjlEEPS9_SG_NS0_5tupleIJPjSI_NS0_16reverse_iteratorISI_EEEEENSH_IJSG_SG_SG_EEES9_SI_JZNS1_25segmented_radix_sort_implINS0_14default_configELb1EPKiPiPKlPlN2at6native12_GLOBAL__N_18offset_tEEE10hipError_tPvRmT1_PNSt15iterator_traitsIS12_E10value_typeET2_T3_PNS13_IS18_E10value_typeET4_jRbjT5_S1E_jjP12ihipStream_tbEUljE_ZNSN_ISO_Lb1ESQ_SR_ST_SU_SY_EESZ_S10_S11_S12_S16_S17_S18_S1B_S1C_jS1D_jS1E_S1E_jjS1G_bEUljE0_EEESZ_S10_S11_S18_S1C_S1E_T6_T7_T9_mT8_S1G_bDpT10_ENKUlT_T0_E_clISt17integral_constantIbLb1EES1T_IbLb0EEEEDaS1P_S1Q_EUlS1P_E_NS1_11comp_targetILNS1_3genE5ELNS1_11target_archE942ELNS1_3gpuE9ELNS1_3repE0EEENS1_30default_config_static_selectorELNS0_4arch9wavefront6targetE0EEEvS12_.kd
    .uniform_work_group_size: 1
    .uses_dynamic_stack: false
    .vgpr_count:     0
    .vgpr_spill_count: 0
    .wavefront_size: 32
  - .args:
      - .offset:         0
        .size:           176
        .value_kind:     by_value
    .group_segment_fixed_size: 0
    .kernarg_segment_align: 8
    .kernarg_segment_size: 176
    .language:       OpenCL C
    .language_version:
      - 2
      - 0
    .max_flat_workgroup_size: 256
    .name:           _ZN7rocprim17ROCPRIM_400000_NS6detail17trampoline_kernelINS0_13select_configILj256ELj13ELNS0_17block_load_methodE3ELS4_3ELS4_3ELNS0_20block_scan_algorithmE0ELj4294967295EEENS1_25partition_config_selectorILNS1_17partition_subalgoE4EjNS0_10empty_typeEbEEZZNS1_14partition_implILS8_4ELb0ES6_15HIP_vector_typeIjLj2EENS0_17counting_iteratorIjlEEPS9_SG_NS0_5tupleIJPjSI_NS0_16reverse_iteratorISI_EEEEENSH_IJSG_SG_SG_EEES9_SI_JZNS1_25segmented_radix_sort_implINS0_14default_configELb1EPKiPiPKlPlN2at6native12_GLOBAL__N_18offset_tEEE10hipError_tPvRmT1_PNSt15iterator_traitsIS12_E10value_typeET2_T3_PNS13_IS18_E10value_typeET4_jRbjT5_S1E_jjP12ihipStream_tbEUljE_ZNSN_ISO_Lb1ESQ_SR_ST_SU_SY_EESZ_S10_S11_S12_S16_S17_S18_S1B_S1C_jS1D_jS1E_S1E_jjS1G_bEUljE0_EEESZ_S10_S11_S18_S1C_S1E_T6_T7_T9_mT8_S1G_bDpT10_ENKUlT_T0_E_clISt17integral_constantIbLb1EES1T_IbLb0EEEEDaS1P_S1Q_EUlS1P_E_NS1_11comp_targetILNS1_3genE4ELNS1_11target_archE910ELNS1_3gpuE8ELNS1_3repE0EEENS1_30default_config_static_selectorELNS0_4arch9wavefront6targetE0EEEvS12_
    .private_segment_fixed_size: 0
    .sgpr_count:     0
    .sgpr_spill_count: 0
    .symbol:         _ZN7rocprim17ROCPRIM_400000_NS6detail17trampoline_kernelINS0_13select_configILj256ELj13ELNS0_17block_load_methodE3ELS4_3ELS4_3ELNS0_20block_scan_algorithmE0ELj4294967295EEENS1_25partition_config_selectorILNS1_17partition_subalgoE4EjNS0_10empty_typeEbEEZZNS1_14partition_implILS8_4ELb0ES6_15HIP_vector_typeIjLj2EENS0_17counting_iteratorIjlEEPS9_SG_NS0_5tupleIJPjSI_NS0_16reverse_iteratorISI_EEEEENSH_IJSG_SG_SG_EEES9_SI_JZNS1_25segmented_radix_sort_implINS0_14default_configELb1EPKiPiPKlPlN2at6native12_GLOBAL__N_18offset_tEEE10hipError_tPvRmT1_PNSt15iterator_traitsIS12_E10value_typeET2_T3_PNS13_IS18_E10value_typeET4_jRbjT5_S1E_jjP12ihipStream_tbEUljE_ZNSN_ISO_Lb1ESQ_SR_ST_SU_SY_EESZ_S10_S11_S12_S16_S17_S18_S1B_S1C_jS1D_jS1E_S1E_jjS1G_bEUljE0_EEESZ_S10_S11_S18_S1C_S1E_T6_T7_T9_mT8_S1G_bDpT10_ENKUlT_T0_E_clISt17integral_constantIbLb1EES1T_IbLb0EEEEDaS1P_S1Q_EUlS1P_E_NS1_11comp_targetILNS1_3genE4ELNS1_11target_archE910ELNS1_3gpuE8ELNS1_3repE0EEENS1_30default_config_static_selectorELNS0_4arch9wavefront6targetE0EEEvS12_.kd
    .uniform_work_group_size: 1
    .uses_dynamic_stack: false
    .vgpr_count:     0
    .vgpr_spill_count: 0
    .wavefront_size: 32
  - .args:
      - .offset:         0
        .size:           176
        .value_kind:     by_value
    .group_segment_fixed_size: 0
    .kernarg_segment_align: 8
    .kernarg_segment_size: 176
    .language:       OpenCL C
    .language_version:
      - 2
      - 0
    .max_flat_workgroup_size: 256
    .name:           _ZN7rocprim17ROCPRIM_400000_NS6detail17trampoline_kernelINS0_13select_configILj256ELj13ELNS0_17block_load_methodE3ELS4_3ELS4_3ELNS0_20block_scan_algorithmE0ELj4294967295EEENS1_25partition_config_selectorILNS1_17partition_subalgoE4EjNS0_10empty_typeEbEEZZNS1_14partition_implILS8_4ELb0ES6_15HIP_vector_typeIjLj2EENS0_17counting_iteratorIjlEEPS9_SG_NS0_5tupleIJPjSI_NS0_16reverse_iteratorISI_EEEEENSH_IJSG_SG_SG_EEES9_SI_JZNS1_25segmented_radix_sort_implINS0_14default_configELb1EPKiPiPKlPlN2at6native12_GLOBAL__N_18offset_tEEE10hipError_tPvRmT1_PNSt15iterator_traitsIS12_E10value_typeET2_T3_PNS13_IS18_E10value_typeET4_jRbjT5_S1E_jjP12ihipStream_tbEUljE_ZNSN_ISO_Lb1ESQ_SR_ST_SU_SY_EESZ_S10_S11_S12_S16_S17_S18_S1B_S1C_jS1D_jS1E_S1E_jjS1G_bEUljE0_EEESZ_S10_S11_S18_S1C_S1E_T6_T7_T9_mT8_S1G_bDpT10_ENKUlT_T0_E_clISt17integral_constantIbLb1EES1T_IbLb0EEEEDaS1P_S1Q_EUlS1P_E_NS1_11comp_targetILNS1_3genE3ELNS1_11target_archE908ELNS1_3gpuE7ELNS1_3repE0EEENS1_30default_config_static_selectorELNS0_4arch9wavefront6targetE0EEEvS12_
    .private_segment_fixed_size: 0
    .sgpr_count:     0
    .sgpr_spill_count: 0
    .symbol:         _ZN7rocprim17ROCPRIM_400000_NS6detail17trampoline_kernelINS0_13select_configILj256ELj13ELNS0_17block_load_methodE3ELS4_3ELS4_3ELNS0_20block_scan_algorithmE0ELj4294967295EEENS1_25partition_config_selectorILNS1_17partition_subalgoE4EjNS0_10empty_typeEbEEZZNS1_14partition_implILS8_4ELb0ES6_15HIP_vector_typeIjLj2EENS0_17counting_iteratorIjlEEPS9_SG_NS0_5tupleIJPjSI_NS0_16reverse_iteratorISI_EEEEENSH_IJSG_SG_SG_EEES9_SI_JZNS1_25segmented_radix_sort_implINS0_14default_configELb1EPKiPiPKlPlN2at6native12_GLOBAL__N_18offset_tEEE10hipError_tPvRmT1_PNSt15iterator_traitsIS12_E10value_typeET2_T3_PNS13_IS18_E10value_typeET4_jRbjT5_S1E_jjP12ihipStream_tbEUljE_ZNSN_ISO_Lb1ESQ_SR_ST_SU_SY_EESZ_S10_S11_S12_S16_S17_S18_S1B_S1C_jS1D_jS1E_S1E_jjS1G_bEUljE0_EEESZ_S10_S11_S18_S1C_S1E_T6_T7_T9_mT8_S1G_bDpT10_ENKUlT_T0_E_clISt17integral_constantIbLb1EES1T_IbLb0EEEEDaS1P_S1Q_EUlS1P_E_NS1_11comp_targetILNS1_3genE3ELNS1_11target_archE908ELNS1_3gpuE7ELNS1_3repE0EEENS1_30default_config_static_selectorELNS0_4arch9wavefront6targetE0EEEvS12_.kd
    .uniform_work_group_size: 1
    .uses_dynamic_stack: false
    .vgpr_count:     0
    .vgpr_spill_count: 0
    .wavefront_size: 32
  - .args:
      - .offset:         0
        .size:           176
        .value_kind:     by_value
    .group_segment_fixed_size: 0
    .kernarg_segment_align: 8
    .kernarg_segment_size: 176
    .language:       OpenCL C
    .language_version:
      - 2
      - 0
    .max_flat_workgroup_size: 256
    .name:           _ZN7rocprim17ROCPRIM_400000_NS6detail17trampoline_kernelINS0_13select_configILj256ELj13ELNS0_17block_load_methodE3ELS4_3ELS4_3ELNS0_20block_scan_algorithmE0ELj4294967295EEENS1_25partition_config_selectorILNS1_17partition_subalgoE4EjNS0_10empty_typeEbEEZZNS1_14partition_implILS8_4ELb0ES6_15HIP_vector_typeIjLj2EENS0_17counting_iteratorIjlEEPS9_SG_NS0_5tupleIJPjSI_NS0_16reverse_iteratorISI_EEEEENSH_IJSG_SG_SG_EEES9_SI_JZNS1_25segmented_radix_sort_implINS0_14default_configELb1EPKiPiPKlPlN2at6native12_GLOBAL__N_18offset_tEEE10hipError_tPvRmT1_PNSt15iterator_traitsIS12_E10value_typeET2_T3_PNS13_IS18_E10value_typeET4_jRbjT5_S1E_jjP12ihipStream_tbEUljE_ZNSN_ISO_Lb1ESQ_SR_ST_SU_SY_EESZ_S10_S11_S12_S16_S17_S18_S1B_S1C_jS1D_jS1E_S1E_jjS1G_bEUljE0_EEESZ_S10_S11_S18_S1C_S1E_T6_T7_T9_mT8_S1G_bDpT10_ENKUlT_T0_E_clISt17integral_constantIbLb1EES1T_IbLb0EEEEDaS1P_S1Q_EUlS1P_E_NS1_11comp_targetILNS1_3genE2ELNS1_11target_archE906ELNS1_3gpuE6ELNS1_3repE0EEENS1_30default_config_static_selectorELNS0_4arch9wavefront6targetE0EEEvS12_
    .private_segment_fixed_size: 0
    .sgpr_count:     0
    .sgpr_spill_count: 0
    .symbol:         _ZN7rocprim17ROCPRIM_400000_NS6detail17trampoline_kernelINS0_13select_configILj256ELj13ELNS0_17block_load_methodE3ELS4_3ELS4_3ELNS0_20block_scan_algorithmE0ELj4294967295EEENS1_25partition_config_selectorILNS1_17partition_subalgoE4EjNS0_10empty_typeEbEEZZNS1_14partition_implILS8_4ELb0ES6_15HIP_vector_typeIjLj2EENS0_17counting_iteratorIjlEEPS9_SG_NS0_5tupleIJPjSI_NS0_16reverse_iteratorISI_EEEEENSH_IJSG_SG_SG_EEES9_SI_JZNS1_25segmented_radix_sort_implINS0_14default_configELb1EPKiPiPKlPlN2at6native12_GLOBAL__N_18offset_tEEE10hipError_tPvRmT1_PNSt15iterator_traitsIS12_E10value_typeET2_T3_PNS13_IS18_E10value_typeET4_jRbjT5_S1E_jjP12ihipStream_tbEUljE_ZNSN_ISO_Lb1ESQ_SR_ST_SU_SY_EESZ_S10_S11_S12_S16_S17_S18_S1B_S1C_jS1D_jS1E_S1E_jjS1G_bEUljE0_EEESZ_S10_S11_S18_S1C_S1E_T6_T7_T9_mT8_S1G_bDpT10_ENKUlT_T0_E_clISt17integral_constantIbLb1EES1T_IbLb0EEEEDaS1P_S1Q_EUlS1P_E_NS1_11comp_targetILNS1_3genE2ELNS1_11target_archE906ELNS1_3gpuE6ELNS1_3repE0EEENS1_30default_config_static_selectorELNS0_4arch9wavefront6targetE0EEEvS12_.kd
    .uniform_work_group_size: 1
    .uses_dynamic_stack: false
    .vgpr_count:     0
    .vgpr_spill_count: 0
    .wavefront_size: 32
  - .args:
      - .offset:         0
        .size:           176
        .value_kind:     by_value
    .group_segment_fixed_size: 0
    .kernarg_segment_align: 8
    .kernarg_segment_size: 176
    .language:       OpenCL C
    .language_version:
      - 2
      - 0
    .max_flat_workgroup_size: 256
    .name:           _ZN7rocprim17ROCPRIM_400000_NS6detail17trampoline_kernelINS0_13select_configILj256ELj13ELNS0_17block_load_methodE3ELS4_3ELS4_3ELNS0_20block_scan_algorithmE0ELj4294967295EEENS1_25partition_config_selectorILNS1_17partition_subalgoE4EjNS0_10empty_typeEbEEZZNS1_14partition_implILS8_4ELb0ES6_15HIP_vector_typeIjLj2EENS0_17counting_iteratorIjlEEPS9_SG_NS0_5tupleIJPjSI_NS0_16reverse_iteratorISI_EEEEENSH_IJSG_SG_SG_EEES9_SI_JZNS1_25segmented_radix_sort_implINS0_14default_configELb1EPKiPiPKlPlN2at6native12_GLOBAL__N_18offset_tEEE10hipError_tPvRmT1_PNSt15iterator_traitsIS12_E10value_typeET2_T3_PNS13_IS18_E10value_typeET4_jRbjT5_S1E_jjP12ihipStream_tbEUljE_ZNSN_ISO_Lb1ESQ_SR_ST_SU_SY_EESZ_S10_S11_S12_S16_S17_S18_S1B_S1C_jS1D_jS1E_S1E_jjS1G_bEUljE0_EEESZ_S10_S11_S18_S1C_S1E_T6_T7_T9_mT8_S1G_bDpT10_ENKUlT_T0_E_clISt17integral_constantIbLb1EES1T_IbLb0EEEEDaS1P_S1Q_EUlS1P_E_NS1_11comp_targetILNS1_3genE10ELNS1_11target_archE1200ELNS1_3gpuE4ELNS1_3repE0EEENS1_30default_config_static_selectorELNS0_4arch9wavefront6targetE0EEEvS12_
    .private_segment_fixed_size: 0
    .sgpr_count:     0
    .sgpr_spill_count: 0
    .symbol:         _ZN7rocprim17ROCPRIM_400000_NS6detail17trampoline_kernelINS0_13select_configILj256ELj13ELNS0_17block_load_methodE3ELS4_3ELS4_3ELNS0_20block_scan_algorithmE0ELj4294967295EEENS1_25partition_config_selectorILNS1_17partition_subalgoE4EjNS0_10empty_typeEbEEZZNS1_14partition_implILS8_4ELb0ES6_15HIP_vector_typeIjLj2EENS0_17counting_iteratorIjlEEPS9_SG_NS0_5tupleIJPjSI_NS0_16reverse_iteratorISI_EEEEENSH_IJSG_SG_SG_EEES9_SI_JZNS1_25segmented_radix_sort_implINS0_14default_configELb1EPKiPiPKlPlN2at6native12_GLOBAL__N_18offset_tEEE10hipError_tPvRmT1_PNSt15iterator_traitsIS12_E10value_typeET2_T3_PNS13_IS18_E10value_typeET4_jRbjT5_S1E_jjP12ihipStream_tbEUljE_ZNSN_ISO_Lb1ESQ_SR_ST_SU_SY_EESZ_S10_S11_S12_S16_S17_S18_S1B_S1C_jS1D_jS1E_S1E_jjS1G_bEUljE0_EEESZ_S10_S11_S18_S1C_S1E_T6_T7_T9_mT8_S1G_bDpT10_ENKUlT_T0_E_clISt17integral_constantIbLb1EES1T_IbLb0EEEEDaS1P_S1Q_EUlS1P_E_NS1_11comp_targetILNS1_3genE10ELNS1_11target_archE1200ELNS1_3gpuE4ELNS1_3repE0EEENS1_30default_config_static_selectorELNS0_4arch9wavefront6targetE0EEEvS12_.kd
    .uniform_work_group_size: 1
    .uses_dynamic_stack: false
    .vgpr_count:     0
    .vgpr_spill_count: 0
    .wavefront_size: 32
  - .args:
      - .offset:         0
        .size:           176
        .value_kind:     by_value
    .group_segment_fixed_size: 0
    .kernarg_segment_align: 8
    .kernarg_segment_size: 176
    .language:       OpenCL C
    .language_version:
      - 2
      - 0
    .max_flat_workgroup_size: 256
    .name:           _ZN7rocprim17ROCPRIM_400000_NS6detail17trampoline_kernelINS0_13select_configILj256ELj13ELNS0_17block_load_methodE3ELS4_3ELS4_3ELNS0_20block_scan_algorithmE0ELj4294967295EEENS1_25partition_config_selectorILNS1_17partition_subalgoE4EjNS0_10empty_typeEbEEZZNS1_14partition_implILS8_4ELb0ES6_15HIP_vector_typeIjLj2EENS0_17counting_iteratorIjlEEPS9_SG_NS0_5tupleIJPjSI_NS0_16reverse_iteratorISI_EEEEENSH_IJSG_SG_SG_EEES9_SI_JZNS1_25segmented_radix_sort_implINS0_14default_configELb1EPKiPiPKlPlN2at6native12_GLOBAL__N_18offset_tEEE10hipError_tPvRmT1_PNSt15iterator_traitsIS12_E10value_typeET2_T3_PNS13_IS18_E10value_typeET4_jRbjT5_S1E_jjP12ihipStream_tbEUljE_ZNSN_ISO_Lb1ESQ_SR_ST_SU_SY_EESZ_S10_S11_S12_S16_S17_S18_S1B_S1C_jS1D_jS1E_S1E_jjS1G_bEUljE0_EEESZ_S10_S11_S18_S1C_S1E_T6_T7_T9_mT8_S1G_bDpT10_ENKUlT_T0_E_clISt17integral_constantIbLb1EES1T_IbLb0EEEEDaS1P_S1Q_EUlS1P_E_NS1_11comp_targetILNS1_3genE9ELNS1_11target_archE1100ELNS1_3gpuE3ELNS1_3repE0EEENS1_30default_config_static_selectorELNS0_4arch9wavefront6targetE0EEEvS12_
    .private_segment_fixed_size: 0
    .sgpr_count:     0
    .sgpr_spill_count: 0
    .symbol:         _ZN7rocprim17ROCPRIM_400000_NS6detail17trampoline_kernelINS0_13select_configILj256ELj13ELNS0_17block_load_methodE3ELS4_3ELS4_3ELNS0_20block_scan_algorithmE0ELj4294967295EEENS1_25partition_config_selectorILNS1_17partition_subalgoE4EjNS0_10empty_typeEbEEZZNS1_14partition_implILS8_4ELb0ES6_15HIP_vector_typeIjLj2EENS0_17counting_iteratorIjlEEPS9_SG_NS0_5tupleIJPjSI_NS0_16reverse_iteratorISI_EEEEENSH_IJSG_SG_SG_EEES9_SI_JZNS1_25segmented_radix_sort_implINS0_14default_configELb1EPKiPiPKlPlN2at6native12_GLOBAL__N_18offset_tEEE10hipError_tPvRmT1_PNSt15iterator_traitsIS12_E10value_typeET2_T3_PNS13_IS18_E10value_typeET4_jRbjT5_S1E_jjP12ihipStream_tbEUljE_ZNSN_ISO_Lb1ESQ_SR_ST_SU_SY_EESZ_S10_S11_S12_S16_S17_S18_S1B_S1C_jS1D_jS1E_S1E_jjS1G_bEUljE0_EEESZ_S10_S11_S18_S1C_S1E_T6_T7_T9_mT8_S1G_bDpT10_ENKUlT_T0_E_clISt17integral_constantIbLb1EES1T_IbLb0EEEEDaS1P_S1Q_EUlS1P_E_NS1_11comp_targetILNS1_3genE9ELNS1_11target_archE1100ELNS1_3gpuE3ELNS1_3repE0EEENS1_30default_config_static_selectorELNS0_4arch9wavefront6targetE0EEEvS12_.kd
    .uniform_work_group_size: 1
    .uses_dynamic_stack: false
    .vgpr_count:     0
    .vgpr_spill_count: 0
    .wavefront_size: 32
  - .args:
      - .offset:         0
        .size:           176
        .value_kind:     by_value
    .group_segment_fixed_size: 0
    .kernarg_segment_align: 8
    .kernarg_segment_size: 176
    .language:       OpenCL C
    .language_version:
      - 2
      - 0
    .max_flat_workgroup_size: 256
    .name:           _ZN7rocprim17ROCPRIM_400000_NS6detail17trampoline_kernelINS0_13select_configILj256ELj13ELNS0_17block_load_methodE3ELS4_3ELS4_3ELNS0_20block_scan_algorithmE0ELj4294967295EEENS1_25partition_config_selectorILNS1_17partition_subalgoE4EjNS0_10empty_typeEbEEZZNS1_14partition_implILS8_4ELb0ES6_15HIP_vector_typeIjLj2EENS0_17counting_iteratorIjlEEPS9_SG_NS0_5tupleIJPjSI_NS0_16reverse_iteratorISI_EEEEENSH_IJSG_SG_SG_EEES9_SI_JZNS1_25segmented_radix_sort_implINS0_14default_configELb1EPKiPiPKlPlN2at6native12_GLOBAL__N_18offset_tEEE10hipError_tPvRmT1_PNSt15iterator_traitsIS12_E10value_typeET2_T3_PNS13_IS18_E10value_typeET4_jRbjT5_S1E_jjP12ihipStream_tbEUljE_ZNSN_ISO_Lb1ESQ_SR_ST_SU_SY_EESZ_S10_S11_S12_S16_S17_S18_S1B_S1C_jS1D_jS1E_S1E_jjS1G_bEUljE0_EEESZ_S10_S11_S18_S1C_S1E_T6_T7_T9_mT8_S1G_bDpT10_ENKUlT_T0_E_clISt17integral_constantIbLb1EES1T_IbLb0EEEEDaS1P_S1Q_EUlS1P_E_NS1_11comp_targetILNS1_3genE8ELNS1_11target_archE1030ELNS1_3gpuE2ELNS1_3repE0EEENS1_30default_config_static_selectorELNS0_4arch9wavefront6targetE0EEEvS12_
    .private_segment_fixed_size: 0
    .sgpr_count:     0
    .sgpr_spill_count: 0
    .symbol:         _ZN7rocprim17ROCPRIM_400000_NS6detail17trampoline_kernelINS0_13select_configILj256ELj13ELNS0_17block_load_methodE3ELS4_3ELS4_3ELNS0_20block_scan_algorithmE0ELj4294967295EEENS1_25partition_config_selectorILNS1_17partition_subalgoE4EjNS0_10empty_typeEbEEZZNS1_14partition_implILS8_4ELb0ES6_15HIP_vector_typeIjLj2EENS0_17counting_iteratorIjlEEPS9_SG_NS0_5tupleIJPjSI_NS0_16reverse_iteratorISI_EEEEENSH_IJSG_SG_SG_EEES9_SI_JZNS1_25segmented_radix_sort_implINS0_14default_configELb1EPKiPiPKlPlN2at6native12_GLOBAL__N_18offset_tEEE10hipError_tPvRmT1_PNSt15iterator_traitsIS12_E10value_typeET2_T3_PNS13_IS18_E10value_typeET4_jRbjT5_S1E_jjP12ihipStream_tbEUljE_ZNSN_ISO_Lb1ESQ_SR_ST_SU_SY_EESZ_S10_S11_S12_S16_S17_S18_S1B_S1C_jS1D_jS1E_S1E_jjS1G_bEUljE0_EEESZ_S10_S11_S18_S1C_S1E_T6_T7_T9_mT8_S1G_bDpT10_ENKUlT_T0_E_clISt17integral_constantIbLb1EES1T_IbLb0EEEEDaS1P_S1Q_EUlS1P_E_NS1_11comp_targetILNS1_3genE8ELNS1_11target_archE1030ELNS1_3gpuE2ELNS1_3repE0EEENS1_30default_config_static_selectorELNS0_4arch9wavefront6targetE0EEEvS12_.kd
    .uniform_work_group_size: 1
    .uses_dynamic_stack: false
    .vgpr_count:     0
    .vgpr_spill_count: 0
    .wavefront_size: 32
  - .args:
      - .offset:         0
        .size:           184
        .value_kind:     by_value
    .group_segment_fixed_size: 13328
    .kernarg_segment_align: 8
    .kernarg_segment_size: 184
    .language:       OpenCL C
    .language_version:
      - 2
      - 0
    .max_flat_workgroup_size: 256
    .name:           _ZN7rocprim17ROCPRIM_400000_NS6detail17trampoline_kernelINS0_13select_configILj256ELj13ELNS0_17block_load_methodE3ELS4_3ELS4_3ELNS0_20block_scan_algorithmE0ELj4294967295EEENS1_25partition_config_selectorILNS1_17partition_subalgoE4EjNS0_10empty_typeEbEEZZNS1_14partition_implILS8_4ELb0ES6_15HIP_vector_typeIjLj2EENS0_17counting_iteratorIjlEEPS9_SG_NS0_5tupleIJPjSI_NS0_16reverse_iteratorISI_EEEEENSH_IJSG_SG_SG_EEES9_SI_JZNS1_25segmented_radix_sort_implINS0_14default_configELb1EPKiPiPKlPlN2at6native12_GLOBAL__N_18offset_tEEE10hipError_tPvRmT1_PNSt15iterator_traitsIS12_E10value_typeET2_T3_PNS13_IS18_E10value_typeET4_jRbjT5_S1E_jjP12ihipStream_tbEUljE_ZNSN_ISO_Lb1ESQ_SR_ST_SU_SY_EESZ_S10_S11_S12_S16_S17_S18_S1B_S1C_jS1D_jS1E_S1E_jjS1G_bEUljE0_EEESZ_S10_S11_S18_S1C_S1E_T6_T7_T9_mT8_S1G_bDpT10_ENKUlT_T0_E_clISt17integral_constantIbLb0EES1T_IbLb1EEEEDaS1P_S1Q_EUlS1P_E_NS1_11comp_targetILNS1_3genE0ELNS1_11target_archE4294967295ELNS1_3gpuE0ELNS1_3repE0EEENS1_30default_config_static_selectorELNS0_4arch9wavefront6targetE0EEEvS12_
    .private_segment_fixed_size: 0
    .sgpr_count:     57
    .sgpr_spill_count: 0
    .symbol:         _ZN7rocprim17ROCPRIM_400000_NS6detail17trampoline_kernelINS0_13select_configILj256ELj13ELNS0_17block_load_methodE3ELS4_3ELS4_3ELNS0_20block_scan_algorithmE0ELj4294967295EEENS1_25partition_config_selectorILNS1_17partition_subalgoE4EjNS0_10empty_typeEbEEZZNS1_14partition_implILS8_4ELb0ES6_15HIP_vector_typeIjLj2EENS0_17counting_iteratorIjlEEPS9_SG_NS0_5tupleIJPjSI_NS0_16reverse_iteratorISI_EEEEENSH_IJSG_SG_SG_EEES9_SI_JZNS1_25segmented_radix_sort_implINS0_14default_configELb1EPKiPiPKlPlN2at6native12_GLOBAL__N_18offset_tEEE10hipError_tPvRmT1_PNSt15iterator_traitsIS12_E10value_typeET2_T3_PNS13_IS18_E10value_typeET4_jRbjT5_S1E_jjP12ihipStream_tbEUljE_ZNSN_ISO_Lb1ESQ_SR_ST_SU_SY_EESZ_S10_S11_S12_S16_S17_S18_S1B_S1C_jS1D_jS1E_S1E_jjS1G_bEUljE0_EEESZ_S10_S11_S18_S1C_S1E_T6_T7_T9_mT8_S1G_bDpT10_ENKUlT_T0_E_clISt17integral_constantIbLb0EES1T_IbLb1EEEEDaS1P_S1Q_EUlS1P_E_NS1_11comp_targetILNS1_3genE0ELNS1_11target_archE4294967295ELNS1_3gpuE0ELNS1_3repE0EEENS1_30default_config_static_selectorELNS0_4arch9wavefront6targetE0EEEvS12_.kd
    .uniform_work_group_size: 1
    .uses_dynamic_stack: false
    .vgpr_count:     86
    .vgpr_spill_count: 0
    .wavefront_size: 32
  - .args:
      - .offset:         0
        .size:           184
        .value_kind:     by_value
    .group_segment_fixed_size: 0
    .kernarg_segment_align: 8
    .kernarg_segment_size: 184
    .language:       OpenCL C
    .language_version:
      - 2
      - 0
    .max_flat_workgroup_size: 256
    .name:           _ZN7rocprim17ROCPRIM_400000_NS6detail17trampoline_kernelINS0_13select_configILj256ELj13ELNS0_17block_load_methodE3ELS4_3ELS4_3ELNS0_20block_scan_algorithmE0ELj4294967295EEENS1_25partition_config_selectorILNS1_17partition_subalgoE4EjNS0_10empty_typeEbEEZZNS1_14partition_implILS8_4ELb0ES6_15HIP_vector_typeIjLj2EENS0_17counting_iteratorIjlEEPS9_SG_NS0_5tupleIJPjSI_NS0_16reverse_iteratorISI_EEEEENSH_IJSG_SG_SG_EEES9_SI_JZNS1_25segmented_radix_sort_implINS0_14default_configELb1EPKiPiPKlPlN2at6native12_GLOBAL__N_18offset_tEEE10hipError_tPvRmT1_PNSt15iterator_traitsIS12_E10value_typeET2_T3_PNS13_IS18_E10value_typeET4_jRbjT5_S1E_jjP12ihipStream_tbEUljE_ZNSN_ISO_Lb1ESQ_SR_ST_SU_SY_EESZ_S10_S11_S12_S16_S17_S18_S1B_S1C_jS1D_jS1E_S1E_jjS1G_bEUljE0_EEESZ_S10_S11_S18_S1C_S1E_T6_T7_T9_mT8_S1G_bDpT10_ENKUlT_T0_E_clISt17integral_constantIbLb0EES1T_IbLb1EEEEDaS1P_S1Q_EUlS1P_E_NS1_11comp_targetILNS1_3genE5ELNS1_11target_archE942ELNS1_3gpuE9ELNS1_3repE0EEENS1_30default_config_static_selectorELNS0_4arch9wavefront6targetE0EEEvS12_
    .private_segment_fixed_size: 0
    .sgpr_count:     0
    .sgpr_spill_count: 0
    .symbol:         _ZN7rocprim17ROCPRIM_400000_NS6detail17trampoline_kernelINS0_13select_configILj256ELj13ELNS0_17block_load_methodE3ELS4_3ELS4_3ELNS0_20block_scan_algorithmE0ELj4294967295EEENS1_25partition_config_selectorILNS1_17partition_subalgoE4EjNS0_10empty_typeEbEEZZNS1_14partition_implILS8_4ELb0ES6_15HIP_vector_typeIjLj2EENS0_17counting_iteratorIjlEEPS9_SG_NS0_5tupleIJPjSI_NS0_16reverse_iteratorISI_EEEEENSH_IJSG_SG_SG_EEES9_SI_JZNS1_25segmented_radix_sort_implINS0_14default_configELb1EPKiPiPKlPlN2at6native12_GLOBAL__N_18offset_tEEE10hipError_tPvRmT1_PNSt15iterator_traitsIS12_E10value_typeET2_T3_PNS13_IS18_E10value_typeET4_jRbjT5_S1E_jjP12ihipStream_tbEUljE_ZNSN_ISO_Lb1ESQ_SR_ST_SU_SY_EESZ_S10_S11_S12_S16_S17_S18_S1B_S1C_jS1D_jS1E_S1E_jjS1G_bEUljE0_EEESZ_S10_S11_S18_S1C_S1E_T6_T7_T9_mT8_S1G_bDpT10_ENKUlT_T0_E_clISt17integral_constantIbLb0EES1T_IbLb1EEEEDaS1P_S1Q_EUlS1P_E_NS1_11comp_targetILNS1_3genE5ELNS1_11target_archE942ELNS1_3gpuE9ELNS1_3repE0EEENS1_30default_config_static_selectorELNS0_4arch9wavefront6targetE0EEEvS12_.kd
    .uniform_work_group_size: 1
    .uses_dynamic_stack: false
    .vgpr_count:     0
    .vgpr_spill_count: 0
    .wavefront_size: 32
  - .args:
      - .offset:         0
        .size:           184
        .value_kind:     by_value
    .group_segment_fixed_size: 0
    .kernarg_segment_align: 8
    .kernarg_segment_size: 184
    .language:       OpenCL C
    .language_version:
      - 2
      - 0
    .max_flat_workgroup_size: 256
    .name:           _ZN7rocprim17ROCPRIM_400000_NS6detail17trampoline_kernelINS0_13select_configILj256ELj13ELNS0_17block_load_methodE3ELS4_3ELS4_3ELNS0_20block_scan_algorithmE0ELj4294967295EEENS1_25partition_config_selectorILNS1_17partition_subalgoE4EjNS0_10empty_typeEbEEZZNS1_14partition_implILS8_4ELb0ES6_15HIP_vector_typeIjLj2EENS0_17counting_iteratorIjlEEPS9_SG_NS0_5tupleIJPjSI_NS0_16reverse_iteratorISI_EEEEENSH_IJSG_SG_SG_EEES9_SI_JZNS1_25segmented_radix_sort_implINS0_14default_configELb1EPKiPiPKlPlN2at6native12_GLOBAL__N_18offset_tEEE10hipError_tPvRmT1_PNSt15iterator_traitsIS12_E10value_typeET2_T3_PNS13_IS18_E10value_typeET4_jRbjT5_S1E_jjP12ihipStream_tbEUljE_ZNSN_ISO_Lb1ESQ_SR_ST_SU_SY_EESZ_S10_S11_S12_S16_S17_S18_S1B_S1C_jS1D_jS1E_S1E_jjS1G_bEUljE0_EEESZ_S10_S11_S18_S1C_S1E_T6_T7_T9_mT8_S1G_bDpT10_ENKUlT_T0_E_clISt17integral_constantIbLb0EES1T_IbLb1EEEEDaS1P_S1Q_EUlS1P_E_NS1_11comp_targetILNS1_3genE4ELNS1_11target_archE910ELNS1_3gpuE8ELNS1_3repE0EEENS1_30default_config_static_selectorELNS0_4arch9wavefront6targetE0EEEvS12_
    .private_segment_fixed_size: 0
    .sgpr_count:     0
    .sgpr_spill_count: 0
    .symbol:         _ZN7rocprim17ROCPRIM_400000_NS6detail17trampoline_kernelINS0_13select_configILj256ELj13ELNS0_17block_load_methodE3ELS4_3ELS4_3ELNS0_20block_scan_algorithmE0ELj4294967295EEENS1_25partition_config_selectorILNS1_17partition_subalgoE4EjNS0_10empty_typeEbEEZZNS1_14partition_implILS8_4ELb0ES6_15HIP_vector_typeIjLj2EENS0_17counting_iteratorIjlEEPS9_SG_NS0_5tupleIJPjSI_NS0_16reverse_iteratorISI_EEEEENSH_IJSG_SG_SG_EEES9_SI_JZNS1_25segmented_radix_sort_implINS0_14default_configELb1EPKiPiPKlPlN2at6native12_GLOBAL__N_18offset_tEEE10hipError_tPvRmT1_PNSt15iterator_traitsIS12_E10value_typeET2_T3_PNS13_IS18_E10value_typeET4_jRbjT5_S1E_jjP12ihipStream_tbEUljE_ZNSN_ISO_Lb1ESQ_SR_ST_SU_SY_EESZ_S10_S11_S12_S16_S17_S18_S1B_S1C_jS1D_jS1E_S1E_jjS1G_bEUljE0_EEESZ_S10_S11_S18_S1C_S1E_T6_T7_T9_mT8_S1G_bDpT10_ENKUlT_T0_E_clISt17integral_constantIbLb0EES1T_IbLb1EEEEDaS1P_S1Q_EUlS1P_E_NS1_11comp_targetILNS1_3genE4ELNS1_11target_archE910ELNS1_3gpuE8ELNS1_3repE0EEENS1_30default_config_static_selectorELNS0_4arch9wavefront6targetE0EEEvS12_.kd
    .uniform_work_group_size: 1
    .uses_dynamic_stack: false
    .vgpr_count:     0
    .vgpr_spill_count: 0
    .wavefront_size: 32
  - .args:
      - .offset:         0
        .size:           184
        .value_kind:     by_value
    .group_segment_fixed_size: 0
    .kernarg_segment_align: 8
    .kernarg_segment_size: 184
    .language:       OpenCL C
    .language_version:
      - 2
      - 0
    .max_flat_workgroup_size: 256
    .name:           _ZN7rocprim17ROCPRIM_400000_NS6detail17trampoline_kernelINS0_13select_configILj256ELj13ELNS0_17block_load_methodE3ELS4_3ELS4_3ELNS0_20block_scan_algorithmE0ELj4294967295EEENS1_25partition_config_selectorILNS1_17partition_subalgoE4EjNS0_10empty_typeEbEEZZNS1_14partition_implILS8_4ELb0ES6_15HIP_vector_typeIjLj2EENS0_17counting_iteratorIjlEEPS9_SG_NS0_5tupleIJPjSI_NS0_16reverse_iteratorISI_EEEEENSH_IJSG_SG_SG_EEES9_SI_JZNS1_25segmented_radix_sort_implINS0_14default_configELb1EPKiPiPKlPlN2at6native12_GLOBAL__N_18offset_tEEE10hipError_tPvRmT1_PNSt15iterator_traitsIS12_E10value_typeET2_T3_PNS13_IS18_E10value_typeET4_jRbjT5_S1E_jjP12ihipStream_tbEUljE_ZNSN_ISO_Lb1ESQ_SR_ST_SU_SY_EESZ_S10_S11_S12_S16_S17_S18_S1B_S1C_jS1D_jS1E_S1E_jjS1G_bEUljE0_EEESZ_S10_S11_S18_S1C_S1E_T6_T7_T9_mT8_S1G_bDpT10_ENKUlT_T0_E_clISt17integral_constantIbLb0EES1T_IbLb1EEEEDaS1P_S1Q_EUlS1P_E_NS1_11comp_targetILNS1_3genE3ELNS1_11target_archE908ELNS1_3gpuE7ELNS1_3repE0EEENS1_30default_config_static_selectorELNS0_4arch9wavefront6targetE0EEEvS12_
    .private_segment_fixed_size: 0
    .sgpr_count:     0
    .sgpr_spill_count: 0
    .symbol:         _ZN7rocprim17ROCPRIM_400000_NS6detail17trampoline_kernelINS0_13select_configILj256ELj13ELNS0_17block_load_methodE3ELS4_3ELS4_3ELNS0_20block_scan_algorithmE0ELj4294967295EEENS1_25partition_config_selectorILNS1_17partition_subalgoE4EjNS0_10empty_typeEbEEZZNS1_14partition_implILS8_4ELb0ES6_15HIP_vector_typeIjLj2EENS0_17counting_iteratorIjlEEPS9_SG_NS0_5tupleIJPjSI_NS0_16reverse_iteratorISI_EEEEENSH_IJSG_SG_SG_EEES9_SI_JZNS1_25segmented_radix_sort_implINS0_14default_configELb1EPKiPiPKlPlN2at6native12_GLOBAL__N_18offset_tEEE10hipError_tPvRmT1_PNSt15iterator_traitsIS12_E10value_typeET2_T3_PNS13_IS18_E10value_typeET4_jRbjT5_S1E_jjP12ihipStream_tbEUljE_ZNSN_ISO_Lb1ESQ_SR_ST_SU_SY_EESZ_S10_S11_S12_S16_S17_S18_S1B_S1C_jS1D_jS1E_S1E_jjS1G_bEUljE0_EEESZ_S10_S11_S18_S1C_S1E_T6_T7_T9_mT8_S1G_bDpT10_ENKUlT_T0_E_clISt17integral_constantIbLb0EES1T_IbLb1EEEEDaS1P_S1Q_EUlS1P_E_NS1_11comp_targetILNS1_3genE3ELNS1_11target_archE908ELNS1_3gpuE7ELNS1_3repE0EEENS1_30default_config_static_selectorELNS0_4arch9wavefront6targetE0EEEvS12_.kd
    .uniform_work_group_size: 1
    .uses_dynamic_stack: false
    .vgpr_count:     0
    .vgpr_spill_count: 0
    .wavefront_size: 32
  - .args:
      - .offset:         0
        .size:           184
        .value_kind:     by_value
    .group_segment_fixed_size: 0
    .kernarg_segment_align: 8
    .kernarg_segment_size: 184
    .language:       OpenCL C
    .language_version:
      - 2
      - 0
    .max_flat_workgroup_size: 256
    .name:           _ZN7rocprim17ROCPRIM_400000_NS6detail17trampoline_kernelINS0_13select_configILj256ELj13ELNS0_17block_load_methodE3ELS4_3ELS4_3ELNS0_20block_scan_algorithmE0ELj4294967295EEENS1_25partition_config_selectorILNS1_17partition_subalgoE4EjNS0_10empty_typeEbEEZZNS1_14partition_implILS8_4ELb0ES6_15HIP_vector_typeIjLj2EENS0_17counting_iteratorIjlEEPS9_SG_NS0_5tupleIJPjSI_NS0_16reverse_iteratorISI_EEEEENSH_IJSG_SG_SG_EEES9_SI_JZNS1_25segmented_radix_sort_implINS0_14default_configELb1EPKiPiPKlPlN2at6native12_GLOBAL__N_18offset_tEEE10hipError_tPvRmT1_PNSt15iterator_traitsIS12_E10value_typeET2_T3_PNS13_IS18_E10value_typeET4_jRbjT5_S1E_jjP12ihipStream_tbEUljE_ZNSN_ISO_Lb1ESQ_SR_ST_SU_SY_EESZ_S10_S11_S12_S16_S17_S18_S1B_S1C_jS1D_jS1E_S1E_jjS1G_bEUljE0_EEESZ_S10_S11_S18_S1C_S1E_T6_T7_T9_mT8_S1G_bDpT10_ENKUlT_T0_E_clISt17integral_constantIbLb0EES1T_IbLb1EEEEDaS1P_S1Q_EUlS1P_E_NS1_11comp_targetILNS1_3genE2ELNS1_11target_archE906ELNS1_3gpuE6ELNS1_3repE0EEENS1_30default_config_static_selectorELNS0_4arch9wavefront6targetE0EEEvS12_
    .private_segment_fixed_size: 0
    .sgpr_count:     0
    .sgpr_spill_count: 0
    .symbol:         _ZN7rocprim17ROCPRIM_400000_NS6detail17trampoline_kernelINS0_13select_configILj256ELj13ELNS0_17block_load_methodE3ELS4_3ELS4_3ELNS0_20block_scan_algorithmE0ELj4294967295EEENS1_25partition_config_selectorILNS1_17partition_subalgoE4EjNS0_10empty_typeEbEEZZNS1_14partition_implILS8_4ELb0ES6_15HIP_vector_typeIjLj2EENS0_17counting_iteratorIjlEEPS9_SG_NS0_5tupleIJPjSI_NS0_16reverse_iteratorISI_EEEEENSH_IJSG_SG_SG_EEES9_SI_JZNS1_25segmented_radix_sort_implINS0_14default_configELb1EPKiPiPKlPlN2at6native12_GLOBAL__N_18offset_tEEE10hipError_tPvRmT1_PNSt15iterator_traitsIS12_E10value_typeET2_T3_PNS13_IS18_E10value_typeET4_jRbjT5_S1E_jjP12ihipStream_tbEUljE_ZNSN_ISO_Lb1ESQ_SR_ST_SU_SY_EESZ_S10_S11_S12_S16_S17_S18_S1B_S1C_jS1D_jS1E_S1E_jjS1G_bEUljE0_EEESZ_S10_S11_S18_S1C_S1E_T6_T7_T9_mT8_S1G_bDpT10_ENKUlT_T0_E_clISt17integral_constantIbLb0EES1T_IbLb1EEEEDaS1P_S1Q_EUlS1P_E_NS1_11comp_targetILNS1_3genE2ELNS1_11target_archE906ELNS1_3gpuE6ELNS1_3repE0EEENS1_30default_config_static_selectorELNS0_4arch9wavefront6targetE0EEEvS12_.kd
    .uniform_work_group_size: 1
    .uses_dynamic_stack: false
    .vgpr_count:     0
    .vgpr_spill_count: 0
    .wavefront_size: 32
  - .args:
      - .offset:         0
        .size:           184
        .value_kind:     by_value
    .group_segment_fixed_size: 0
    .kernarg_segment_align: 8
    .kernarg_segment_size: 184
    .language:       OpenCL C
    .language_version:
      - 2
      - 0
    .max_flat_workgroup_size: 256
    .name:           _ZN7rocprim17ROCPRIM_400000_NS6detail17trampoline_kernelINS0_13select_configILj256ELj13ELNS0_17block_load_methodE3ELS4_3ELS4_3ELNS0_20block_scan_algorithmE0ELj4294967295EEENS1_25partition_config_selectorILNS1_17partition_subalgoE4EjNS0_10empty_typeEbEEZZNS1_14partition_implILS8_4ELb0ES6_15HIP_vector_typeIjLj2EENS0_17counting_iteratorIjlEEPS9_SG_NS0_5tupleIJPjSI_NS0_16reverse_iteratorISI_EEEEENSH_IJSG_SG_SG_EEES9_SI_JZNS1_25segmented_radix_sort_implINS0_14default_configELb1EPKiPiPKlPlN2at6native12_GLOBAL__N_18offset_tEEE10hipError_tPvRmT1_PNSt15iterator_traitsIS12_E10value_typeET2_T3_PNS13_IS18_E10value_typeET4_jRbjT5_S1E_jjP12ihipStream_tbEUljE_ZNSN_ISO_Lb1ESQ_SR_ST_SU_SY_EESZ_S10_S11_S12_S16_S17_S18_S1B_S1C_jS1D_jS1E_S1E_jjS1G_bEUljE0_EEESZ_S10_S11_S18_S1C_S1E_T6_T7_T9_mT8_S1G_bDpT10_ENKUlT_T0_E_clISt17integral_constantIbLb0EES1T_IbLb1EEEEDaS1P_S1Q_EUlS1P_E_NS1_11comp_targetILNS1_3genE10ELNS1_11target_archE1200ELNS1_3gpuE4ELNS1_3repE0EEENS1_30default_config_static_selectorELNS0_4arch9wavefront6targetE0EEEvS12_
    .private_segment_fixed_size: 0
    .sgpr_count:     0
    .sgpr_spill_count: 0
    .symbol:         _ZN7rocprim17ROCPRIM_400000_NS6detail17trampoline_kernelINS0_13select_configILj256ELj13ELNS0_17block_load_methodE3ELS4_3ELS4_3ELNS0_20block_scan_algorithmE0ELj4294967295EEENS1_25partition_config_selectorILNS1_17partition_subalgoE4EjNS0_10empty_typeEbEEZZNS1_14partition_implILS8_4ELb0ES6_15HIP_vector_typeIjLj2EENS0_17counting_iteratorIjlEEPS9_SG_NS0_5tupleIJPjSI_NS0_16reverse_iteratorISI_EEEEENSH_IJSG_SG_SG_EEES9_SI_JZNS1_25segmented_radix_sort_implINS0_14default_configELb1EPKiPiPKlPlN2at6native12_GLOBAL__N_18offset_tEEE10hipError_tPvRmT1_PNSt15iterator_traitsIS12_E10value_typeET2_T3_PNS13_IS18_E10value_typeET4_jRbjT5_S1E_jjP12ihipStream_tbEUljE_ZNSN_ISO_Lb1ESQ_SR_ST_SU_SY_EESZ_S10_S11_S12_S16_S17_S18_S1B_S1C_jS1D_jS1E_S1E_jjS1G_bEUljE0_EEESZ_S10_S11_S18_S1C_S1E_T6_T7_T9_mT8_S1G_bDpT10_ENKUlT_T0_E_clISt17integral_constantIbLb0EES1T_IbLb1EEEEDaS1P_S1Q_EUlS1P_E_NS1_11comp_targetILNS1_3genE10ELNS1_11target_archE1200ELNS1_3gpuE4ELNS1_3repE0EEENS1_30default_config_static_selectorELNS0_4arch9wavefront6targetE0EEEvS12_.kd
    .uniform_work_group_size: 1
    .uses_dynamic_stack: false
    .vgpr_count:     0
    .vgpr_spill_count: 0
    .wavefront_size: 32
  - .args:
      - .offset:         0
        .size:           184
        .value_kind:     by_value
    .group_segment_fixed_size: 0
    .kernarg_segment_align: 8
    .kernarg_segment_size: 184
    .language:       OpenCL C
    .language_version:
      - 2
      - 0
    .max_flat_workgroup_size: 256
    .name:           _ZN7rocprim17ROCPRIM_400000_NS6detail17trampoline_kernelINS0_13select_configILj256ELj13ELNS0_17block_load_methodE3ELS4_3ELS4_3ELNS0_20block_scan_algorithmE0ELj4294967295EEENS1_25partition_config_selectorILNS1_17partition_subalgoE4EjNS0_10empty_typeEbEEZZNS1_14partition_implILS8_4ELb0ES6_15HIP_vector_typeIjLj2EENS0_17counting_iteratorIjlEEPS9_SG_NS0_5tupleIJPjSI_NS0_16reverse_iteratorISI_EEEEENSH_IJSG_SG_SG_EEES9_SI_JZNS1_25segmented_radix_sort_implINS0_14default_configELb1EPKiPiPKlPlN2at6native12_GLOBAL__N_18offset_tEEE10hipError_tPvRmT1_PNSt15iterator_traitsIS12_E10value_typeET2_T3_PNS13_IS18_E10value_typeET4_jRbjT5_S1E_jjP12ihipStream_tbEUljE_ZNSN_ISO_Lb1ESQ_SR_ST_SU_SY_EESZ_S10_S11_S12_S16_S17_S18_S1B_S1C_jS1D_jS1E_S1E_jjS1G_bEUljE0_EEESZ_S10_S11_S18_S1C_S1E_T6_T7_T9_mT8_S1G_bDpT10_ENKUlT_T0_E_clISt17integral_constantIbLb0EES1T_IbLb1EEEEDaS1P_S1Q_EUlS1P_E_NS1_11comp_targetILNS1_3genE9ELNS1_11target_archE1100ELNS1_3gpuE3ELNS1_3repE0EEENS1_30default_config_static_selectorELNS0_4arch9wavefront6targetE0EEEvS12_
    .private_segment_fixed_size: 0
    .sgpr_count:     0
    .sgpr_spill_count: 0
    .symbol:         _ZN7rocprim17ROCPRIM_400000_NS6detail17trampoline_kernelINS0_13select_configILj256ELj13ELNS0_17block_load_methodE3ELS4_3ELS4_3ELNS0_20block_scan_algorithmE0ELj4294967295EEENS1_25partition_config_selectorILNS1_17partition_subalgoE4EjNS0_10empty_typeEbEEZZNS1_14partition_implILS8_4ELb0ES6_15HIP_vector_typeIjLj2EENS0_17counting_iteratorIjlEEPS9_SG_NS0_5tupleIJPjSI_NS0_16reverse_iteratorISI_EEEEENSH_IJSG_SG_SG_EEES9_SI_JZNS1_25segmented_radix_sort_implINS0_14default_configELb1EPKiPiPKlPlN2at6native12_GLOBAL__N_18offset_tEEE10hipError_tPvRmT1_PNSt15iterator_traitsIS12_E10value_typeET2_T3_PNS13_IS18_E10value_typeET4_jRbjT5_S1E_jjP12ihipStream_tbEUljE_ZNSN_ISO_Lb1ESQ_SR_ST_SU_SY_EESZ_S10_S11_S12_S16_S17_S18_S1B_S1C_jS1D_jS1E_S1E_jjS1G_bEUljE0_EEESZ_S10_S11_S18_S1C_S1E_T6_T7_T9_mT8_S1G_bDpT10_ENKUlT_T0_E_clISt17integral_constantIbLb0EES1T_IbLb1EEEEDaS1P_S1Q_EUlS1P_E_NS1_11comp_targetILNS1_3genE9ELNS1_11target_archE1100ELNS1_3gpuE3ELNS1_3repE0EEENS1_30default_config_static_selectorELNS0_4arch9wavefront6targetE0EEEvS12_.kd
    .uniform_work_group_size: 1
    .uses_dynamic_stack: false
    .vgpr_count:     0
    .vgpr_spill_count: 0
    .wavefront_size: 32
  - .args:
      - .offset:         0
        .size:           184
        .value_kind:     by_value
    .group_segment_fixed_size: 0
    .kernarg_segment_align: 8
    .kernarg_segment_size: 184
    .language:       OpenCL C
    .language_version:
      - 2
      - 0
    .max_flat_workgroup_size: 256
    .name:           _ZN7rocprim17ROCPRIM_400000_NS6detail17trampoline_kernelINS0_13select_configILj256ELj13ELNS0_17block_load_methodE3ELS4_3ELS4_3ELNS0_20block_scan_algorithmE0ELj4294967295EEENS1_25partition_config_selectorILNS1_17partition_subalgoE4EjNS0_10empty_typeEbEEZZNS1_14partition_implILS8_4ELb0ES6_15HIP_vector_typeIjLj2EENS0_17counting_iteratorIjlEEPS9_SG_NS0_5tupleIJPjSI_NS0_16reverse_iteratorISI_EEEEENSH_IJSG_SG_SG_EEES9_SI_JZNS1_25segmented_radix_sort_implINS0_14default_configELb1EPKiPiPKlPlN2at6native12_GLOBAL__N_18offset_tEEE10hipError_tPvRmT1_PNSt15iterator_traitsIS12_E10value_typeET2_T3_PNS13_IS18_E10value_typeET4_jRbjT5_S1E_jjP12ihipStream_tbEUljE_ZNSN_ISO_Lb1ESQ_SR_ST_SU_SY_EESZ_S10_S11_S12_S16_S17_S18_S1B_S1C_jS1D_jS1E_S1E_jjS1G_bEUljE0_EEESZ_S10_S11_S18_S1C_S1E_T6_T7_T9_mT8_S1G_bDpT10_ENKUlT_T0_E_clISt17integral_constantIbLb0EES1T_IbLb1EEEEDaS1P_S1Q_EUlS1P_E_NS1_11comp_targetILNS1_3genE8ELNS1_11target_archE1030ELNS1_3gpuE2ELNS1_3repE0EEENS1_30default_config_static_selectorELNS0_4arch9wavefront6targetE0EEEvS12_
    .private_segment_fixed_size: 0
    .sgpr_count:     0
    .sgpr_spill_count: 0
    .symbol:         _ZN7rocprim17ROCPRIM_400000_NS6detail17trampoline_kernelINS0_13select_configILj256ELj13ELNS0_17block_load_methodE3ELS4_3ELS4_3ELNS0_20block_scan_algorithmE0ELj4294967295EEENS1_25partition_config_selectorILNS1_17partition_subalgoE4EjNS0_10empty_typeEbEEZZNS1_14partition_implILS8_4ELb0ES6_15HIP_vector_typeIjLj2EENS0_17counting_iteratorIjlEEPS9_SG_NS0_5tupleIJPjSI_NS0_16reverse_iteratorISI_EEEEENSH_IJSG_SG_SG_EEES9_SI_JZNS1_25segmented_radix_sort_implINS0_14default_configELb1EPKiPiPKlPlN2at6native12_GLOBAL__N_18offset_tEEE10hipError_tPvRmT1_PNSt15iterator_traitsIS12_E10value_typeET2_T3_PNS13_IS18_E10value_typeET4_jRbjT5_S1E_jjP12ihipStream_tbEUljE_ZNSN_ISO_Lb1ESQ_SR_ST_SU_SY_EESZ_S10_S11_S12_S16_S17_S18_S1B_S1C_jS1D_jS1E_S1E_jjS1G_bEUljE0_EEESZ_S10_S11_S18_S1C_S1E_T6_T7_T9_mT8_S1G_bDpT10_ENKUlT_T0_E_clISt17integral_constantIbLb0EES1T_IbLb1EEEEDaS1P_S1Q_EUlS1P_E_NS1_11comp_targetILNS1_3genE8ELNS1_11target_archE1030ELNS1_3gpuE2ELNS1_3repE0EEENS1_30default_config_static_selectorELNS0_4arch9wavefront6targetE0EEEvS12_.kd
    .uniform_work_group_size: 1
    .uses_dynamic_stack: false
    .vgpr_count:     0
    .vgpr_spill_count: 0
    .wavefront_size: 32
  - .args:
      - .offset:         0
        .size:           144
        .value_kind:     by_value
    .group_segment_fixed_size: 13320
    .kernarg_segment_align: 8
    .kernarg_segment_size: 144
    .language:       OpenCL C
    .language_version:
      - 2
      - 0
    .max_flat_workgroup_size: 256
    .name:           _ZN7rocprim17ROCPRIM_400000_NS6detail17trampoline_kernelINS0_13select_configILj256ELj13ELNS0_17block_load_methodE3ELS4_3ELS4_3ELNS0_20block_scan_algorithmE0ELj4294967295EEENS1_25partition_config_selectorILNS1_17partition_subalgoE3EjNS0_10empty_typeEbEEZZNS1_14partition_implILS8_3ELb0ES6_jNS0_17counting_iteratorIjlEEPS9_SE_NS0_5tupleIJPjSE_EEENSF_IJSE_SE_EEES9_SG_JZNS1_25segmented_radix_sort_implINS0_14default_configELb1EPKiPiPKlPlN2at6native12_GLOBAL__N_18offset_tEEE10hipError_tPvRmT1_PNSt15iterator_traitsISY_E10value_typeET2_T3_PNSZ_IS14_E10value_typeET4_jRbjT5_S1A_jjP12ihipStream_tbEUljE_EEESV_SW_SX_S14_S18_S1A_T6_T7_T9_mT8_S1C_bDpT10_ENKUlT_T0_E_clISt17integral_constantIbLb0EES1P_EEDaS1K_S1L_EUlS1K_E_NS1_11comp_targetILNS1_3genE0ELNS1_11target_archE4294967295ELNS1_3gpuE0ELNS1_3repE0EEENS1_30default_config_static_selectorELNS0_4arch9wavefront6targetE0EEEvSY_
    .private_segment_fixed_size: 0
    .sgpr_count:     28
    .sgpr_spill_count: 0
    .symbol:         _ZN7rocprim17ROCPRIM_400000_NS6detail17trampoline_kernelINS0_13select_configILj256ELj13ELNS0_17block_load_methodE3ELS4_3ELS4_3ELNS0_20block_scan_algorithmE0ELj4294967295EEENS1_25partition_config_selectorILNS1_17partition_subalgoE3EjNS0_10empty_typeEbEEZZNS1_14partition_implILS8_3ELb0ES6_jNS0_17counting_iteratorIjlEEPS9_SE_NS0_5tupleIJPjSE_EEENSF_IJSE_SE_EEES9_SG_JZNS1_25segmented_radix_sort_implINS0_14default_configELb1EPKiPiPKlPlN2at6native12_GLOBAL__N_18offset_tEEE10hipError_tPvRmT1_PNSt15iterator_traitsISY_E10value_typeET2_T3_PNSZ_IS14_E10value_typeET4_jRbjT5_S1A_jjP12ihipStream_tbEUljE_EEESV_SW_SX_S14_S18_S1A_T6_T7_T9_mT8_S1C_bDpT10_ENKUlT_T0_E_clISt17integral_constantIbLb0EES1P_EEDaS1K_S1L_EUlS1K_E_NS1_11comp_targetILNS1_3genE0ELNS1_11target_archE4294967295ELNS1_3gpuE0ELNS1_3repE0EEENS1_30default_config_static_selectorELNS0_4arch9wavefront6targetE0EEEvSY_.kd
    .uniform_work_group_size: 1
    .uses_dynamic_stack: false
    .vgpr_count:     69
    .vgpr_spill_count: 0
    .wavefront_size: 32
  - .args:
      - .offset:         0
        .size:           144
        .value_kind:     by_value
    .group_segment_fixed_size: 0
    .kernarg_segment_align: 8
    .kernarg_segment_size: 144
    .language:       OpenCL C
    .language_version:
      - 2
      - 0
    .max_flat_workgroup_size: 256
    .name:           _ZN7rocprim17ROCPRIM_400000_NS6detail17trampoline_kernelINS0_13select_configILj256ELj13ELNS0_17block_load_methodE3ELS4_3ELS4_3ELNS0_20block_scan_algorithmE0ELj4294967295EEENS1_25partition_config_selectorILNS1_17partition_subalgoE3EjNS0_10empty_typeEbEEZZNS1_14partition_implILS8_3ELb0ES6_jNS0_17counting_iteratorIjlEEPS9_SE_NS0_5tupleIJPjSE_EEENSF_IJSE_SE_EEES9_SG_JZNS1_25segmented_radix_sort_implINS0_14default_configELb1EPKiPiPKlPlN2at6native12_GLOBAL__N_18offset_tEEE10hipError_tPvRmT1_PNSt15iterator_traitsISY_E10value_typeET2_T3_PNSZ_IS14_E10value_typeET4_jRbjT5_S1A_jjP12ihipStream_tbEUljE_EEESV_SW_SX_S14_S18_S1A_T6_T7_T9_mT8_S1C_bDpT10_ENKUlT_T0_E_clISt17integral_constantIbLb0EES1P_EEDaS1K_S1L_EUlS1K_E_NS1_11comp_targetILNS1_3genE5ELNS1_11target_archE942ELNS1_3gpuE9ELNS1_3repE0EEENS1_30default_config_static_selectorELNS0_4arch9wavefront6targetE0EEEvSY_
    .private_segment_fixed_size: 0
    .sgpr_count:     0
    .sgpr_spill_count: 0
    .symbol:         _ZN7rocprim17ROCPRIM_400000_NS6detail17trampoline_kernelINS0_13select_configILj256ELj13ELNS0_17block_load_methodE3ELS4_3ELS4_3ELNS0_20block_scan_algorithmE0ELj4294967295EEENS1_25partition_config_selectorILNS1_17partition_subalgoE3EjNS0_10empty_typeEbEEZZNS1_14partition_implILS8_3ELb0ES6_jNS0_17counting_iteratorIjlEEPS9_SE_NS0_5tupleIJPjSE_EEENSF_IJSE_SE_EEES9_SG_JZNS1_25segmented_radix_sort_implINS0_14default_configELb1EPKiPiPKlPlN2at6native12_GLOBAL__N_18offset_tEEE10hipError_tPvRmT1_PNSt15iterator_traitsISY_E10value_typeET2_T3_PNSZ_IS14_E10value_typeET4_jRbjT5_S1A_jjP12ihipStream_tbEUljE_EEESV_SW_SX_S14_S18_S1A_T6_T7_T9_mT8_S1C_bDpT10_ENKUlT_T0_E_clISt17integral_constantIbLb0EES1P_EEDaS1K_S1L_EUlS1K_E_NS1_11comp_targetILNS1_3genE5ELNS1_11target_archE942ELNS1_3gpuE9ELNS1_3repE0EEENS1_30default_config_static_selectorELNS0_4arch9wavefront6targetE0EEEvSY_.kd
    .uniform_work_group_size: 1
    .uses_dynamic_stack: false
    .vgpr_count:     0
    .vgpr_spill_count: 0
    .wavefront_size: 32
  - .args:
      - .offset:         0
        .size:           144
        .value_kind:     by_value
    .group_segment_fixed_size: 0
    .kernarg_segment_align: 8
    .kernarg_segment_size: 144
    .language:       OpenCL C
    .language_version:
      - 2
      - 0
    .max_flat_workgroup_size: 256
    .name:           _ZN7rocprim17ROCPRIM_400000_NS6detail17trampoline_kernelINS0_13select_configILj256ELj13ELNS0_17block_load_methodE3ELS4_3ELS4_3ELNS0_20block_scan_algorithmE0ELj4294967295EEENS1_25partition_config_selectorILNS1_17partition_subalgoE3EjNS0_10empty_typeEbEEZZNS1_14partition_implILS8_3ELb0ES6_jNS0_17counting_iteratorIjlEEPS9_SE_NS0_5tupleIJPjSE_EEENSF_IJSE_SE_EEES9_SG_JZNS1_25segmented_radix_sort_implINS0_14default_configELb1EPKiPiPKlPlN2at6native12_GLOBAL__N_18offset_tEEE10hipError_tPvRmT1_PNSt15iterator_traitsISY_E10value_typeET2_T3_PNSZ_IS14_E10value_typeET4_jRbjT5_S1A_jjP12ihipStream_tbEUljE_EEESV_SW_SX_S14_S18_S1A_T6_T7_T9_mT8_S1C_bDpT10_ENKUlT_T0_E_clISt17integral_constantIbLb0EES1P_EEDaS1K_S1L_EUlS1K_E_NS1_11comp_targetILNS1_3genE4ELNS1_11target_archE910ELNS1_3gpuE8ELNS1_3repE0EEENS1_30default_config_static_selectorELNS0_4arch9wavefront6targetE0EEEvSY_
    .private_segment_fixed_size: 0
    .sgpr_count:     0
    .sgpr_spill_count: 0
    .symbol:         _ZN7rocprim17ROCPRIM_400000_NS6detail17trampoline_kernelINS0_13select_configILj256ELj13ELNS0_17block_load_methodE3ELS4_3ELS4_3ELNS0_20block_scan_algorithmE0ELj4294967295EEENS1_25partition_config_selectorILNS1_17partition_subalgoE3EjNS0_10empty_typeEbEEZZNS1_14partition_implILS8_3ELb0ES6_jNS0_17counting_iteratorIjlEEPS9_SE_NS0_5tupleIJPjSE_EEENSF_IJSE_SE_EEES9_SG_JZNS1_25segmented_radix_sort_implINS0_14default_configELb1EPKiPiPKlPlN2at6native12_GLOBAL__N_18offset_tEEE10hipError_tPvRmT1_PNSt15iterator_traitsISY_E10value_typeET2_T3_PNSZ_IS14_E10value_typeET4_jRbjT5_S1A_jjP12ihipStream_tbEUljE_EEESV_SW_SX_S14_S18_S1A_T6_T7_T9_mT8_S1C_bDpT10_ENKUlT_T0_E_clISt17integral_constantIbLb0EES1P_EEDaS1K_S1L_EUlS1K_E_NS1_11comp_targetILNS1_3genE4ELNS1_11target_archE910ELNS1_3gpuE8ELNS1_3repE0EEENS1_30default_config_static_selectorELNS0_4arch9wavefront6targetE0EEEvSY_.kd
    .uniform_work_group_size: 1
    .uses_dynamic_stack: false
    .vgpr_count:     0
    .vgpr_spill_count: 0
    .wavefront_size: 32
  - .args:
      - .offset:         0
        .size:           144
        .value_kind:     by_value
    .group_segment_fixed_size: 0
    .kernarg_segment_align: 8
    .kernarg_segment_size: 144
    .language:       OpenCL C
    .language_version:
      - 2
      - 0
    .max_flat_workgroup_size: 256
    .name:           _ZN7rocprim17ROCPRIM_400000_NS6detail17trampoline_kernelINS0_13select_configILj256ELj13ELNS0_17block_load_methodE3ELS4_3ELS4_3ELNS0_20block_scan_algorithmE0ELj4294967295EEENS1_25partition_config_selectorILNS1_17partition_subalgoE3EjNS0_10empty_typeEbEEZZNS1_14partition_implILS8_3ELb0ES6_jNS0_17counting_iteratorIjlEEPS9_SE_NS0_5tupleIJPjSE_EEENSF_IJSE_SE_EEES9_SG_JZNS1_25segmented_radix_sort_implINS0_14default_configELb1EPKiPiPKlPlN2at6native12_GLOBAL__N_18offset_tEEE10hipError_tPvRmT1_PNSt15iterator_traitsISY_E10value_typeET2_T3_PNSZ_IS14_E10value_typeET4_jRbjT5_S1A_jjP12ihipStream_tbEUljE_EEESV_SW_SX_S14_S18_S1A_T6_T7_T9_mT8_S1C_bDpT10_ENKUlT_T0_E_clISt17integral_constantIbLb0EES1P_EEDaS1K_S1L_EUlS1K_E_NS1_11comp_targetILNS1_3genE3ELNS1_11target_archE908ELNS1_3gpuE7ELNS1_3repE0EEENS1_30default_config_static_selectorELNS0_4arch9wavefront6targetE0EEEvSY_
    .private_segment_fixed_size: 0
    .sgpr_count:     0
    .sgpr_spill_count: 0
    .symbol:         _ZN7rocprim17ROCPRIM_400000_NS6detail17trampoline_kernelINS0_13select_configILj256ELj13ELNS0_17block_load_methodE3ELS4_3ELS4_3ELNS0_20block_scan_algorithmE0ELj4294967295EEENS1_25partition_config_selectorILNS1_17partition_subalgoE3EjNS0_10empty_typeEbEEZZNS1_14partition_implILS8_3ELb0ES6_jNS0_17counting_iteratorIjlEEPS9_SE_NS0_5tupleIJPjSE_EEENSF_IJSE_SE_EEES9_SG_JZNS1_25segmented_radix_sort_implINS0_14default_configELb1EPKiPiPKlPlN2at6native12_GLOBAL__N_18offset_tEEE10hipError_tPvRmT1_PNSt15iterator_traitsISY_E10value_typeET2_T3_PNSZ_IS14_E10value_typeET4_jRbjT5_S1A_jjP12ihipStream_tbEUljE_EEESV_SW_SX_S14_S18_S1A_T6_T7_T9_mT8_S1C_bDpT10_ENKUlT_T0_E_clISt17integral_constantIbLb0EES1P_EEDaS1K_S1L_EUlS1K_E_NS1_11comp_targetILNS1_3genE3ELNS1_11target_archE908ELNS1_3gpuE7ELNS1_3repE0EEENS1_30default_config_static_selectorELNS0_4arch9wavefront6targetE0EEEvSY_.kd
    .uniform_work_group_size: 1
    .uses_dynamic_stack: false
    .vgpr_count:     0
    .vgpr_spill_count: 0
    .wavefront_size: 32
  - .args:
      - .offset:         0
        .size:           144
        .value_kind:     by_value
    .group_segment_fixed_size: 0
    .kernarg_segment_align: 8
    .kernarg_segment_size: 144
    .language:       OpenCL C
    .language_version:
      - 2
      - 0
    .max_flat_workgroup_size: 256
    .name:           _ZN7rocprim17ROCPRIM_400000_NS6detail17trampoline_kernelINS0_13select_configILj256ELj13ELNS0_17block_load_methodE3ELS4_3ELS4_3ELNS0_20block_scan_algorithmE0ELj4294967295EEENS1_25partition_config_selectorILNS1_17partition_subalgoE3EjNS0_10empty_typeEbEEZZNS1_14partition_implILS8_3ELb0ES6_jNS0_17counting_iteratorIjlEEPS9_SE_NS0_5tupleIJPjSE_EEENSF_IJSE_SE_EEES9_SG_JZNS1_25segmented_radix_sort_implINS0_14default_configELb1EPKiPiPKlPlN2at6native12_GLOBAL__N_18offset_tEEE10hipError_tPvRmT1_PNSt15iterator_traitsISY_E10value_typeET2_T3_PNSZ_IS14_E10value_typeET4_jRbjT5_S1A_jjP12ihipStream_tbEUljE_EEESV_SW_SX_S14_S18_S1A_T6_T7_T9_mT8_S1C_bDpT10_ENKUlT_T0_E_clISt17integral_constantIbLb0EES1P_EEDaS1K_S1L_EUlS1K_E_NS1_11comp_targetILNS1_3genE2ELNS1_11target_archE906ELNS1_3gpuE6ELNS1_3repE0EEENS1_30default_config_static_selectorELNS0_4arch9wavefront6targetE0EEEvSY_
    .private_segment_fixed_size: 0
    .sgpr_count:     0
    .sgpr_spill_count: 0
    .symbol:         _ZN7rocprim17ROCPRIM_400000_NS6detail17trampoline_kernelINS0_13select_configILj256ELj13ELNS0_17block_load_methodE3ELS4_3ELS4_3ELNS0_20block_scan_algorithmE0ELj4294967295EEENS1_25partition_config_selectorILNS1_17partition_subalgoE3EjNS0_10empty_typeEbEEZZNS1_14partition_implILS8_3ELb0ES6_jNS0_17counting_iteratorIjlEEPS9_SE_NS0_5tupleIJPjSE_EEENSF_IJSE_SE_EEES9_SG_JZNS1_25segmented_radix_sort_implINS0_14default_configELb1EPKiPiPKlPlN2at6native12_GLOBAL__N_18offset_tEEE10hipError_tPvRmT1_PNSt15iterator_traitsISY_E10value_typeET2_T3_PNSZ_IS14_E10value_typeET4_jRbjT5_S1A_jjP12ihipStream_tbEUljE_EEESV_SW_SX_S14_S18_S1A_T6_T7_T9_mT8_S1C_bDpT10_ENKUlT_T0_E_clISt17integral_constantIbLb0EES1P_EEDaS1K_S1L_EUlS1K_E_NS1_11comp_targetILNS1_3genE2ELNS1_11target_archE906ELNS1_3gpuE6ELNS1_3repE0EEENS1_30default_config_static_selectorELNS0_4arch9wavefront6targetE0EEEvSY_.kd
    .uniform_work_group_size: 1
    .uses_dynamic_stack: false
    .vgpr_count:     0
    .vgpr_spill_count: 0
    .wavefront_size: 32
  - .args:
      - .offset:         0
        .size:           144
        .value_kind:     by_value
    .group_segment_fixed_size: 0
    .kernarg_segment_align: 8
    .kernarg_segment_size: 144
    .language:       OpenCL C
    .language_version:
      - 2
      - 0
    .max_flat_workgroup_size: 256
    .name:           _ZN7rocprim17ROCPRIM_400000_NS6detail17trampoline_kernelINS0_13select_configILj256ELj13ELNS0_17block_load_methodE3ELS4_3ELS4_3ELNS0_20block_scan_algorithmE0ELj4294967295EEENS1_25partition_config_selectorILNS1_17partition_subalgoE3EjNS0_10empty_typeEbEEZZNS1_14partition_implILS8_3ELb0ES6_jNS0_17counting_iteratorIjlEEPS9_SE_NS0_5tupleIJPjSE_EEENSF_IJSE_SE_EEES9_SG_JZNS1_25segmented_radix_sort_implINS0_14default_configELb1EPKiPiPKlPlN2at6native12_GLOBAL__N_18offset_tEEE10hipError_tPvRmT1_PNSt15iterator_traitsISY_E10value_typeET2_T3_PNSZ_IS14_E10value_typeET4_jRbjT5_S1A_jjP12ihipStream_tbEUljE_EEESV_SW_SX_S14_S18_S1A_T6_T7_T9_mT8_S1C_bDpT10_ENKUlT_T0_E_clISt17integral_constantIbLb0EES1P_EEDaS1K_S1L_EUlS1K_E_NS1_11comp_targetILNS1_3genE10ELNS1_11target_archE1200ELNS1_3gpuE4ELNS1_3repE0EEENS1_30default_config_static_selectorELNS0_4arch9wavefront6targetE0EEEvSY_
    .private_segment_fixed_size: 0
    .sgpr_count:     0
    .sgpr_spill_count: 0
    .symbol:         _ZN7rocprim17ROCPRIM_400000_NS6detail17trampoline_kernelINS0_13select_configILj256ELj13ELNS0_17block_load_methodE3ELS4_3ELS4_3ELNS0_20block_scan_algorithmE0ELj4294967295EEENS1_25partition_config_selectorILNS1_17partition_subalgoE3EjNS0_10empty_typeEbEEZZNS1_14partition_implILS8_3ELb0ES6_jNS0_17counting_iteratorIjlEEPS9_SE_NS0_5tupleIJPjSE_EEENSF_IJSE_SE_EEES9_SG_JZNS1_25segmented_radix_sort_implINS0_14default_configELb1EPKiPiPKlPlN2at6native12_GLOBAL__N_18offset_tEEE10hipError_tPvRmT1_PNSt15iterator_traitsISY_E10value_typeET2_T3_PNSZ_IS14_E10value_typeET4_jRbjT5_S1A_jjP12ihipStream_tbEUljE_EEESV_SW_SX_S14_S18_S1A_T6_T7_T9_mT8_S1C_bDpT10_ENKUlT_T0_E_clISt17integral_constantIbLb0EES1P_EEDaS1K_S1L_EUlS1K_E_NS1_11comp_targetILNS1_3genE10ELNS1_11target_archE1200ELNS1_3gpuE4ELNS1_3repE0EEENS1_30default_config_static_selectorELNS0_4arch9wavefront6targetE0EEEvSY_.kd
    .uniform_work_group_size: 1
    .uses_dynamic_stack: false
    .vgpr_count:     0
    .vgpr_spill_count: 0
    .wavefront_size: 32
  - .args:
      - .offset:         0
        .size:           144
        .value_kind:     by_value
    .group_segment_fixed_size: 0
    .kernarg_segment_align: 8
    .kernarg_segment_size: 144
    .language:       OpenCL C
    .language_version:
      - 2
      - 0
    .max_flat_workgroup_size: 256
    .name:           _ZN7rocprim17ROCPRIM_400000_NS6detail17trampoline_kernelINS0_13select_configILj256ELj13ELNS0_17block_load_methodE3ELS4_3ELS4_3ELNS0_20block_scan_algorithmE0ELj4294967295EEENS1_25partition_config_selectorILNS1_17partition_subalgoE3EjNS0_10empty_typeEbEEZZNS1_14partition_implILS8_3ELb0ES6_jNS0_17counting_iteratorIjlEEPS9_SE_NS0_5tupleIJPjSE_EEENSF_IJSE_SE_EEES9_SG_JZNS1_25segmented_radix_sort_implINS0_14default_configELb1EPKiPiPKlPlN2at6native12_GLOBAL__N_18offset_tEEE10hipError_tPvRmT1_PNSt15iterator_traitsISY_E10value_typeET2_T3_PNSZ_IS14_E10value_typeET4_jRbjT5_S1A_jjP12ihipStream_tbEUljE_EEESV_SW_SX_S14_S18_S1A_T6_T7_T9_mT8_S1C_bDpT10_ENKUlT_T0_E_clISt17integral_constantIbLb0EES1P_EEDaS1K_S1L_EUlS1K_E_NS1_11comp_targetILNS1_3genE9ELNS1_11target_archE1100ELNS1_3gpuE3ELNS1_3repE0EEENS1_30default_config_static_selectorELNS0_4arch9wavefront6targetE0EEEvSY_
    .private_segment_fixed_size: 0
    .sgpr_count:     0
    .sgpr_spill_count: 0
    .symbol:         _ZN7rocprim17ROCPRIM_400000_NS6detail17trampoline_kernelINS0_13select_configILj256ELj13ELNS0_17block_load_methodE3ELS4_3ELS4_3ELNS0_20block_scan_algorithmE0ELj4294967295EEENS1_25partition_config_selectorILNS1_17partition_subalgoE3EjNS0_10empty_typeEbEEZZNS1_14partition_implILS8_3ELb0ES6_jNS0_17counting_iteratorIjlEEPS9_SE_NS0_5tupleIJPjSE_EEENSF_IJSE_SE_EEES9_SG_JZNS1_25segmented_radix_sort_implINS0_14default_configELb1EPKiPiPKlPlN2at6native12_GLOBAL__N_18offset_tEEE10hipError_tPvRmT1_PNSt15iterator_traitsISY_E10value_typeET2_T3_PNSZ_IS14_E10value_typeET4_jRbjT5_S1A_jjP12ihipStream_tbEUljE_EEESV_SW_SX_S14_S18_S1A_T6_T7_T9_mT8_S1C_bDpT10_ENKUlT_T0_E_clISt17integral_constantIbLb0EES1P_EEDaS1K_S1L_EUlS1K_E_NS1_11comp_targetILNS1_3genE9ELNS1_11target_archE1100ELNS1_3gpuE3ELNS1_3repE0EEENS1_30default_config_static_selectorELNS0_4arch9wavefront6targetE0EEEvSY_.kd
    .uniform_work_group_size: 1
    .uses_dynamic_stack: false
    .vgpr_count:     0
    .vgpr_spill_count: 0
    .wavefront_size: 32
  - .args:
      - .offset:         0
        .size:           144
        .value_kind:     by_value
    .group_segment_fixed_size: 0
    .kernarg_segment_align: 8
    .kernarg_segment_size: 144
    .language:       OpenCL C
    .language_version:
      - 2
      - 0
    .max_flat_workgroup_size: 256
    .name:           _ZN7rocprim17ROCPRIM_400000_NS6detail17trampoline_kernelINS0_13select_configILj256ELj13ELNS0_17block_load_methodE3ELS4_3ELS4_3ELNS0_20block_scan_algorithmE0ELj4294967295EEENS1_25partition_config_selectorILNS1_17partition_subalgoE3EjNS0_10empty_typeEbEEZZNS1_14partition_implILS8_3ELb0ES6_jNS0_17counting_iteratorIjlEEPS9_SE_NS0_5tupleIJPjSE_EEENSF_IJSE_SE_EEES9_SG_JZNS1_25segmented_radix_sort_implINS0_14default_configELb1EPKiPiPKlPlN2at6native12_GLOBAL__N_18offset_tEEE10hipError_tPvRmT1_PNSt15iterator_traitsISY_E10value_typeET2_T3_PNSZ_IS14_E10value_typeET4_jRbjT5_S1A_jjP12ihipStream_tbEUljE_EEESV_SW_SX_S14_S18_S1A_T6_T7_T9_mT8_S1C_bDpT10_ENKUlT_T0_E_clISt17integral_constantIbLb0EES1P_EEDaS1K_S1L_EUlS1K_E_NS1_11comp_targetILNS1_3genE8ELNS1_11target_archE1030ELNS1_3gpuE2ELNS1_3repE0EEENS1_30default_config_static_selectorELNS0_4arch9wavefront6targetE0EEEvSY_
    .private_segment_fixed_size: 0
    .sgpr_count:     0
    .sgpr_spill_count: 0
    .symbol:         _ZN7rocprim17ROCPRIM_400000_NS6detail17trampoline_kernelINS0_13select_configILj256ELj13ELNS0_17block_load_methodE3ELS4_3ELS4_3ELNS0_20block_scan_algorithmE0ELj4294967295EEENS1_25partition_config_selectorILNS1_17partition_subalgoE3EjNS0_10empty_typeEbEEZZNS1_14partition_implILS8_3ELb0ES6_jNS0_17counting_iteratorIjlEEPS9_SE_NS0_5tupleIJPjSE_EEENSF_IJSE_SE_EEES9_SG_JZNS1_25segmented_radix_sort_implINS0_14default_configELb1EPKiPiPKlPlN2at6native12_GLOBAL__N_18offset_tEEE10hipError_tPvRmT1_PNSt15iterator_traitsISY_E10value_typeET2_T3_PNSZ_IS14_E10value_typeET4_jRbjT5_S1A_jjP12ihipStream_tbEUljE_EEESV_SW_SX_S14_S18_S1A_T6_T7_T9_mT8_S1C_bDpT10_ENKUlT_T0_E_clISt17integral_constantIbLb0EES1P_EEDaS1K_S1L_EUlS1K_E_NS1_11comp_targetILNS1_3genE8ELNS1_11target_archE1030ELNS1_3gpuE2ELNS1_3repE0EEENS1_30default_config_static_selectorELNS0_4arch9wavefront6targetE0EEEvSY_.kd
    .uniform_work_group_size: 1
    .uses_dynamic_stack: false
    .vgpr_count:     0
    .vgpr_spill_count: 0
    .wavefront_size: 32
  - .args:
      - .offset:         0
        .size:           152
        .value_kind:     by_value
    .group_segment_fixed_size: 0
    .kernarg_segment_align: 8
    .kernarg_segment_size: 152
    .language:       OpenCL C
    .language_version:
      - 2
      - 0
    .max_flat_workgroup_size: 256
    .name:           _ZN7rocprim17ROCPRIM_400000_NS6detail17trampoline_kernelINS0_13select_configILj256ELj13ELNS0_17block_load_methodE3ELS4_3ELS4_3ELNS0_20block_scan_algorithmE0ELj4294967295EEENS1_25partition_config_selectorILNS1_17partition_subalgoE3EjNS0_10empty_typeEbEEZZNS1_14partition_implILS8_3ELb0ES6_jNS0_17counting_iteratorIjlEEPS9_SE_NS0_5tupleIJPjSE_EEENSF_IJSE_SE_EEES9_SG_JZNS1_25segmented_radix_sort_implINS0_14default_configELb1EPKiPiPKlPlN2at6native12_GLOBAL__N_18offset_tEEE10hipError_tPvRmT1_PNSt15iterator_traitsISY_E10value_typeET2_T3_PNSZ_IS14_E10value_typeET4_jRbjT5_S1A_jjP12ihipStream_tbEUljE_EEESV_SW_SX_S14_S18_S1A_T6_T7_T9_mT8_S1C_bDpT10_ENKUlT_T0_E_clISt17integral_constantIbLb1EES1P_EEDaS1K_S1L_EUlS1K_E_NS1_11comp_targetILNS1_3genE0ELNS1_11target_archE4294967295ELNS1_3gpuE0ELNS1_3repE0EEENS1_30default_config_static_selectorELNS0_4arch9wavefront6targetE0EEEvSY_
    .private_segment_fixed_size: 0
    .sgpr_count:     0
    .sgpr_spill_count: 0
    .symbol:         _ZN7rocprim17ROCPRIM_400000_NS6detail17trampoline_kernelINS0_13select_configILj256ELj13ELNS0_17block_load_methodE3ELS4_3ELS4_3ELNS0_20block_scan_algorithmE0ELj4294967295EEENS1_25partition_config_selectorILNS1_17partition_subalgoE3EjNS0_10empty_typeEbEEZZNS1_14partition_implILS8_3ELb0ES6_jNS0_17counting_iteratorIjlEEPS9_SE_NS0_5tupleIJPjSE_EEENSF_IJSE_SE_EEES9_SG_JZNS1_25segmented_radix_sort_implINS0_14default_configELb1EPKiPiPKlPlN2at6native12_GLOBAL__N_18offset_tEEE10hipError_tPvRmT1_PNSt15iterator_traitsISY_E10value_typeET2_T3_PNSZ_IS14_E10value_typeET4_jRbjT5_S1A_jjP12ihipStream_tbEUljE_EEESV_SW_SX_S14_S18_S1A_T6_T7_T9_mT8_S1C_bDpT10_ENKUlT_T0_E_clISt17integral_constantIbLb1EES1P_EEDaS1K_S1L_EUlS1K_E_NS1_11comp_targetILNS1_3genE0ELNS1_11target_archE4294967295ELNS1_3gpuE0ELNS1_3repE0EEENS1_30default_config_static_selectorELNS0_4arch9wavefront6targetE0EEEvSY_.kd
    .uniform_work_group_size: 1
    .uses_dynamic_stack: false
    .vgpr_count:     0
    .vgpr_spill_count: 0
    .wavefront_size: 32
  - .args:
      - .offset:         0
        .size:           152
        .value_kind:     by_value
    .group_segment_fixed_size: 0
    .kernarg_segment_align: 8
    .kernarg_segment_size: 152
    .language:       OpenCL C
    .language_version:
      - 2
      - 0
    .max_flat_workgroup_size: 256
    .name:           _ZN7rocprim17ROCPRIM_400000_NS6detail17trampoline_kernelINS0_13select_configILj256ELj13ELNS0_17block_load_methodE3ELS4_3ELS4_3ELNS0_20block_scan_algorithmE0ELj4294967295EEENS1_25partition_config_selectorILNS1_17partition_subalgoE3EjNS0_10empty_typeEbEEZZNS1_14partition_implILS8_3ELb0ES6_jNS0_17counting_iteratorIjlEEPS9_SE_NS0_5tupleIJPjSE_EEENSF_IJSE_SE_EEES9_SG_JZNS1_25segmented_radix_sort_implINS0_14default_configELb1EPKiPiPKlPlN2at6native12_GLOBAL__N_18offset_tEEE10hipError_tPvRmT1_PNSt15iterator_traitsISY_E10value_typeET2_T3_PNSZ_IS14_E10value_typeET4_jRbjT5_S1A_jjP12ihipStream_tbEUljE_EEESV_SW_SX_S14_S18_S1A_T6_T7_T9_mT8_S1C_bDpT10_ENKUlT_T0_E_clISt17integral_constantIbLb1EES1P_EEDaS1K_S1L_EUlS1K_E_NS1_11comp_targetILNS1_3genE5ELNS1_11target_archE942ELNS1_3gpuE9ELNS1_3repE0EEENS1_30default_config_static_selectorELNS0_4arch9wavefront6targetE0EEEvSY_
    .private_segment_fixed_size: 0
    .sgpr_count:     0
    .sgpr_spill_count: 0
    .symbol:         _ZN7rocprim17ROCPRIM_400000_NS6detail17trampoline_kernelINS0_13select_configILj256ELj13ELNS0_17block_load_methodE3ELS4_3ELS4_3ELNS0_20block_scan_algorithmE0ELj4294967295EEENS1_25partition_config_selectorILNS1_17partition_subalgoE3EjNS0_10empty_typeEbEEZZNS1_14partition_implILS8_3ELb0ES6_jNS0_17counting_iteratorIjlEEPS9_SE_NS0_5tupleIJPjSE_EEENSF_IJSE_SE_EEES9_SG_JZNS1_25segmented_radix_sort_implINS0_14default_configELb1EPKiPiPKlPlN2at6native12_GLOBAL__N_18offset_tEEE10hipError_tPvRmT1_PNSt15iterator_traitsISY_E10value_typeET2_T3_PNSZ_IS14_E10value_typeET4_jRbjT5_S1A_jjP12ihipStream_tbEUljE_EEESV_SW_SX_S14_S18_S1A_T6_T7_T9_mT8_S1C_bDpT10_ENKUlT_T0_E_clISt17integral_constantIbLb1EES1P_EEDaS1K_S1L_EUlS1K_E_NS1_11comp_targetILNS1_3genE5ELNS1_11target_archE942ELNS1_3gpuE9ELNS1_3repE0EEENS1_30default_config_static_selectorELNS0_4arch9wavefront6targetE0EEEvSY_.kd
    .uniform_work_group_size: 1
    .uses_dynamic_stack: false
    .vgpr_count:     0
    .vgpr_spill_count: 0
    .wavefront_size: 32
  - .args:
      - .offset:         0
        .size:           152
        .value_kind:     by_value
    .group_segment_fixed_size: 0
    .kernarg_segment_align: 8
    .kernarg_segment_size: 152
    .language:       OpenCL C
    .language_version:
      - 2
      - 0
    .max_flat_workgroup_size: 256
    .name:           _ZN7rocprim17ROCPRIM_400000_NS6detail17trampoline_kernelINS0_13select_configILj256ELj13ELNS0_17block_load_methodE3ELS4_3ELS4_3ELNS0_20block_scan_algorithmE0ELj4294967295EEENS1_25partition_config_selectorILNS1_17partition_subalgoE3EjNS0_10empty_typeEbEEZZNS1_14partition_implILS8_3ELb0ES6_jNS0_17counting_iteratorIjlEEPS9_SE_NS0_5tupleIJPjSE_EEENSF_IJSE_SE_EEES9_SG_JZNS1_25segmented_radix_sort_implINS0_14default_configELb1EPKiPiPKlPlN2at6native12_GLOBAL__N_18offset_tEEE10hipError_tPvRmT1_PNSt15iterator_traitsISY_E10value_typeET2_T3_PNSZ_IS14_E10value_typeET4_jRbjT5_S1A_jjP12ihipStream_tbEUljE_EEESV_SW_SX_S14_S18_S1A_T6_T7_T9_mT8_S1C_bDpT10_ENKUlT_T0_E_clISt17integral_constantIbLb1EES1P_EEDaS1K_S1L_EUlS1K_E_NS1_11comp_targetILNS1_3genE4ELNS1_11target_archE910ELNS1_3gpuE8ELNS1_3repE0EEENS1_30default_config_static_selectorELNS0_4arch9wavefront6targetE0EEEvSY_
    .private_segment_fixed_size: 0
    .sgpr_count:     0
    .sgpr_spill_count: 0
    .symbol:         _ZN7rocprim17ROCPRIM_400000_NS6detail17trampoline_kernelINS0_13select_configILj256ELj13ELNS0_17block_load_methodE3ELS4_3ELS4_3ELNS0_20block_scan_algorithmE0ELj4294967295EEENS1_25partition_config_selectorILNS1_17partition_subalgoE3EjNS0_10empty_typeEbEEZZNS1_14partition_implILS8_3ELb0ES6_jNS0_17counting_iteratorIjlEEPS9_SE_NS0_5tupleIJPjSE_EEENSF_IJSE_SE_EEES9_SG_JZNS1_25segmented_radix_sort_implINS0_14default_configELb1EPKiPiPKlPlN2at6native12_GLOBAL__N_18offset_tEEE10hipError_tPvRmT1_PNSt15iterator_traitsISY_E10value_typeET2_T3_PNSZ_IS14_E10value_typeET4_jRbjT5_S1A_jjP12ihipStream_tbEUljE_EEESV_SW_SX_S14_S18_S1A_T6_T7_T9_mT8_S1C_bDpT10_ENKUlT_T0_E_clISt17integral_constantIbLb1EES1P_EEDaS1K_S1L_EUlS1K_E_NS1_11comp_targetILNS1_3genE4ELNS1_11target_archE910ELNS1_3gpuE8ELNS1_3repE0EEENS1_30default_config_static_selectorELNS0_4arch9wavefront6targetE0EEEvSY_.kd
    .uniform_work_group_size: 1
    .uses_dynamic_stack: false
    .vgpr_count:     0
    .vgpr_spill_count: 0
    .wavefront_size: 32
  - .args:
      - .offset:         0
        .size:           152
        .value_kind:     by_value
    .group_segment_fixed_size: 0
    .kernarg_segment_align: 8
    .kernarg_segment_size: 152
    .language:       OpenCL C
    .language_version:
      - 2
      - 0
    .max_flat_workgroup_size: 256
    .name:           _ZN7rocprim17ROCPRIM_400000_NS6detail17trampoline_kernelINS0_13select_configILj256ELj13ELNS0_17block_load_methodE3ELS4_3ELS4_3ELNS0_20block_scan_algorithmE0ELj4294967295EEENS1_25partition_config_selectorILNS1_17partition_subalgoE3EjNS0_10empty_typeEbEEZZNS1_14partition_implILS8_3ELb0ES6_jNS0_17counting_iteratorIjlEEPS9_SE_NS0_5tupleIJPjSE_EEENSF_IJSE_SE_EEES9_SG_JZNS1_25segmented_radix_sort_implINS0_14default_configELb1EPKiPiPKlPlN2at6native12_GLOBAL__N_18offset_tEEE10hipError_tPvRmT1_PNSt15iterator_traitsISY_E10value_typeET2_T3_PNSZ_IS14_E10value_typeET4_jRbjT5_S1A_jjP12ihipStream_tbEUljE_EEESV_SW_SX_S14_S18_S1A_T6_T7_T9_mT8_S1C_bDpT10_ENKUlT_T0_E_clISt17integral_constantIbLb1EES1P_EEDaS1K_S1L_EUlS1K_E_NS1_11comp_targetILNS1_3genE3ELNS1_11target_archE908ELNS1_3gpuE7ELNS1_3repE0EEENS1_30default_config_static_selectorELNS0_4arch9wavefront6targetE0EEEvSY_
    .private_segment_fixed_size: 0
    .sgpr_count:     0
    .sgpr_spill_count: 0
    .symbol:         _ZN7rocprim17ROCPRIM_400000_NS6detail17trampoline_kernelINS0_13select_configILj256ELj13ELNS0_17block_load_methodE3ELS4_3ELS4_3ELNS0_20block_scan_algorithmE0ELj4294967295EEENS1_25partition_config_selectorILNS1_17partition_subalgoE3EjNS0_10empty_typeEbEEZZNS1_14partition_implILS8_3ELb0ES6_jNS0_17counting_iteratorIjlEEPS9_SE_NS0_5tupleIJPjSE_EEENSF_IJSE_SE_EEES9_SG_JZNS1_25segmented_radix_sort_implINS0_14default_configELb1EPKiPiPKlPlN2at6native12_GLOBAL__N_18offset_tEEE10hipError_tPvRmT1_PNSt15iterator_traitsISY_E10value_typeET2_T3_PNSZ_IS14_E10value_typeET4_jRbjT5_S1A_jjP12ihipStream_tbEUljE_EEESV_SW_SX_S14_S18_S1A_T6_T7_T9_mT8_S1C_bDpT10_ENKUlT_T0_E_clISt17integral_constantIbLb1EES1P_EEDaS1K_S1L_EUlS1K_E_NS1_11comp_targetILNS1_3genE3ELNS1_11target_archE908ELNS1_3gpuE7ELNS1_3repE0EEENS1_30default_config_static_selectorELNS0_4arch9wavefront6targetE0EEEvSY_.kd
    .uniform_work_group_size: 1
    .uses_dynamic_stack: false
    .vgpr_count:     0
    .vgpr_spill_count: 0
    .wavefront_size: 32
  - .args:
      - .offset:         0
        .size:           152
        .value_kind:     by_value
    .group_segment_fixed_size: 0
    .kernarg_segment_align: 8
    .kernarg_segment_size: 152
    .language:       OpenCL C
    .language_version:
      - 2
      - 0
    .max_flat_workgroup_size: 256
    .name:           _ZN7rocprim17ROCPRIM_400000_NS6detail17trampoline_kernelINS0_13select_configILj256ELj13ELNS0_17block_load_methodE3ELS4_3ELS4_3ELNS0_20block_scan_algorithmE0ELj4294967295EEENS1_25partition_config_selectorILNS1_17partition_subalgoE3EjNS0_10empty_typeEbEEZZNS1_14partition_implILS8_3ELb0ES6_jNS0_17counting_iteratorIjlEEPS9_SE_NS0_5tupleIJPjSE_EEENSF_IJSE_SE_EEES9_SG_JZNS1_25segmented_radix_sort_implINS0_14default_configELb1EPKiPiPKlPlN2at6native12_GLOBAL__N_18offset_tEEE10hipError_tPvRmT1_PNSt15iterator_traitsISY_E10value_typeET2_T3_PNSZ_IS14_E10value_typeET4_jRbjT5_S1A_jjP12ihipStream_tbEUljE_EEESV_SW_SX_S14_S18_S1A_T6_T7_T9_mT8_S1C_bDpT10_ENKUlT_T0_E_clISt17integral_constantIbLb1EES1P_EEDaS1K_S1L_EUlS1K_E_NS1_11comp_targetILNS1_3genE2ELNS1_11target_archE906ELNS1_3gpuE6ELNS1_3repE0EEENS1_30default_config_static_selectorELNS0_4arch9wavefront6targetE0EEEvSY_
    .private_segment_fixed_size: 0
    .sgpr_count:     0
    .sgpr_spill_count: 0
    .symbol:         _ZN7rocprim17ROCPRIM_400000_NS6detail17trampoline_kernelINS0_13select_configILj256ELj13ELNS0_17block_load_methodE3ELS4_3ELS4_3ELNS0_20block_scan_algorithmE0ELj4294967295EEENS1_25partition_config_selectorILNS1_17partition_subalgoE3EjNS0_10empty_typeEbEEZZNS1_14partition_implILS8_3ELb0ES6_jNS0_17counting_iteratorIjlEEPS9_SE_NS0_5tupleIJPjSE_EEENSF_IJSE_SE_EEES9_SG_JZNS1_25segmented_radix_sort_implINS0_14default_configELb1EPKiPiPKlPlN2at6native12_GLOBAL__N_18offset_tEEE10hipError_tPvRmT1_PNSt15iterator_traitsISY_E10value_typeET2_T3_PNSZ_IS14_E10value_typeET4_jRbjT5_S1A_jjP12ihipStream_tbEUljE_EEESV_SW_SX_S14_S18_S1A_T6_T7_T9_mT8_S1C_bDpT10_ENKUlT_T0_E_clISt17integral_constantIbLb1EES1P_EEDaS1K_S1L_EUlS1K_E_NS1_11comp_targetILNS1_3genE2ELNS1_11target_archE906ELNS1_3gpuE6ELNS1_3repE0EEENS1_30default_config_static_selectorELNS0_4arch9wavefront6targetE0EEEvSY_.kd
    .uniform_work_group_size: 1
    .uses_dynamic_stack: false
    .vgpr_count:     0
    .vgpr_spill_count: 0
    .wavefront_size: 32
  - .args:
      - .offset:         0
        .size:           152
        .value_kind:     by_value
    .group_segment_fixed_size: 0
    .kernarg_segment_align: 8
    .kernarg_segment_size: 152
    .language:       OpenCL C
    .language_version:
      - 2
      - 0
    .max_flat_workgroup_size: 256
    .name:           _ZN7rocprim17ROCPRIM_400000_NS6detail17trampoline_kernelINS0_13select_configILj256ELj13ELNS0_17block_load_methodE3ELS4_3ELS4_3ELNS0_20block_scan_algorithmE0ELj4294967295EEENS1_25partition_config_selectorILNS1_17partition_subalgoE3EjNS0_10empty_typeEbEEZZNS1_14partition_implILS8_3ELb0ES6_jNS0_17counting_iteratorIjlEEPS9_SE_NS0_5tupleIJPjSE_EEENSF_IJSE_SE_EEES9_SG_JZNS1_25segmented_radix_sort_implINS0_14default_configELb1EPKiPiPKlPlN2at6native12_GLOBAL__N_18offset_tEEE10hipError_tPvRmT1_PNSt15iterator_traitsISY_E10value_typeET2_T3_PNSZ_IS14_E10value_typeET4_jRbjT5_S1A_jjP12ihipStream_tbEUljE_EEESV_SW_SX_S14_S18_S1A_T6_T7_T9_mT8_S1C_bDpT10_ENKUlT_T0_E_clISt17integral_constantIbLb1EES1P_EEDaS1K_S1L_EUlS1K_E_NS1_11comp_targetILNS1_3genE10ELNS1_11target_archE1200ELNS1_3gpuE4ELNS1_3repE0EEENS1_30default_config_static_selectorELNS0_4arch9wavefront6targetE0EEEvSY_
    .private_segment_fixed_size: 0
    .sgpr_count:     0
    .sgpr_spill_count: 0
    .symbol:         _ZN7rocprim17ROCPRIM_400000_NS6detail17trampoline_kernelINS0_13select_configILj256ELj13ELNS0_17block_load_methodE3ELS4_3ELS4_3ELNS0_20block_scan_algorithmE0ELj4294967295EEENS1_25partition_config_selectorILNS1_17partition_subalgoE3EjNS0_10empty_typeEbEEZZNS1_14partition_implILS8_3ELb0ES6_jNS0_17counting_iteratorIjlEEPS9_SE_NS0_5tupleIJPjSE_EEENSF_IJSE_SE_EEES9_SG_JZNS1_25segmented_radix_sort_implINS0_14default_configELb1EPKiPiPKlPlN2at6native12_GLOBAL__N_18offset_tEEE10hipError_tPvRmT1_PNSt15iterator_traitsISY_E10value_typeET2_T3_PNSZ_IS14_E10value_typeET4_jRbjT5_S1A_jjP12ihipStream_tbEUljE_EEESV_SW_SX_S14_S18_S1A_T6_T7_T9_mT8_S1C_bDpT10_ENKUlT_T0_E_clISt17integral_constantIbLb1EES1P_EEDaS1K_S1L_EUlS1K_E_NS1_11comp_targetILNS1_3genE10ELNS1_11target_archE1200ELNS1_3gpuE4ELNS1_3repE0EEENS1_30default_config_static_selectorELNS0_4arch9wavefront6targetE0EEEvSY_.kd
    .uniform_work_group_size: 1
    .uses_dynamic_stack: false
    .vgpr_count:     0
    .vgpr_spill_count: 0
    .wavefront_size: 32
  - .args:
      - .offset:         0
        .size:           152
        .value_kind:     by_value
    .group_segment_fixed_size: 0
    .kernarg_segment_align: 8
    .kernarg_segment_size: 152
    .language:       OpenCL C
    .language_version:
      - 2
      - 0
    .max_flat_workgroup_size: 256
    .name:           _ZN7rocprim17ROCPRIM_400000_NS6detail17trampoline_kernelINS0_13select_configILj256ELj13ELNS0_17block_load_methodE3ELS4_3ELS4_3ELNS0_20block_scan_algorithmE0ELj4294967295EEENS1_25partition_config_selectorILNS1_17partition_subalgoE3EjNS0_10empty_typeEbEEZZNS1_14partition_implILS8_3ELb0ES6_jNS0_17counting_iteratorIjlEEPS9_SE_NS0_5tupleIJPjSE_EEENSF_IJSE_SE_EEES9_SG_JZNS1_25segmented_radix_sort_implINS0_14default_configELb1EPKiPiPKlPlN2at6native12_GLOBAL__N_18offset_tEEE10hipError_tPvRmT1_PNSt15iterator_traitsISY_E10value_typeET2_T3_PNSZ_IS14_E10value_typeET4_jRbjT5_S1A_jjP12ihipStream_tbEUljE_EEESV_SW_SX_S14_S18_S1A_T6_T7_T9_mT8_S1C_bDpT10_ENKUlT_T0_E_clISt17integral_constantIbLb1EES1P_EEDaS1K_S1L_EUlS1K_E_NS1_11comp_targetILNS1_3genE9ELNS1_11target_archE1100ELNS1_3gpuE3ELNS1_3repE0EEENS1_30default_config_static_selectorELNS0_4arch9wavefront6targetE0EEEvSY_
    .private_segment_fixed_size: 0
    .sgpr_count:     0
    .sgpr_spill_count: 0
    .symbol:         _ZN7rocprim17ROCPRIM_400000_NS6detail17trampoline_kernelINS0_13select_configILj256ELj13ELNS0_17block_load_methodE3ELS4_3ELS4_3ELNS0_20block_scan_algorithmE0ELj4294967295EEENS1_25partition_config_selectorILNS1_17partition_subalgoE3EjNS0_10empty_typeEbEEZZNS1_14partition_implILS8_3ELb0ES6_jNS0_17counting_iteratorIjlEEPS9_SE_NS0_5tupleIJPjSE_EEENSF_IJSE_SE_EEES9_SG_JZNS1_25segmented_radix_sort_implINS0_14default_configELb1EPKiPiPKlPlN2at6native12_GLOBAL__N_18offset_tEEE10hipError_tPvRmT1_PNSt15iterator_traitsISY_E10value_typeET2_T3_PNSZ_IS14_E10value_typeET4_jRbjT5_S1A_jjP12ihipStream_tbEUljE_EEESV_SW_SX_S14_S18_S1A_T6_T7_T9_mT8_S1C_bDpT10_ENKUlT_T0_E_clISt17integral_constantIbLb1EES1P_EEDaS1K_S1L_EUlS1K_E_NS1_11comp_targetILNS1_3genE9ELNS1_11target_archE1100ELNS1_3gpuE3ELNS1_3repE0EEENS1_30default_config_static_selectorELNS0_4arch9wavefront6targetE0EEEvSY_.kd
    .uniform_work_group_size: 1
    .uses_dynamic_stack: false
    .vgpr_count:     0
    .vgpr_spill_count: 0
    .wavefront_size: 32
  - .args:
      - .offset:         0
        .size:           152
        .value_kind:     by_value
    .group_segment_fixed_size: 0
    .kernarg_segment_align: 8
    .kernarg_segment_size: 152
    .language:       OpenCL C
    .language_version:
      - 2
      - 0
    .max_flat_workgroup_size: 256
    .name:           _ZN7rocprim17ROCPRIM_400000_NS6detail17trampoline_kernelINS0_13select_configILj256ELj13ELNS0_17block_load_methodE3ELS4_3ELS4_3ELNS0_20block_scan_algorithmE0ELj4294967295EEENS1_25partition_config_selectorILNS1_17partition_subalgoE3EjNS0_10empty_typeEbEEZZNS1_14partition_implILS8_3ELb0ES6_jNS0_17counting_iteratorIjlEEPS9_SE_NS0_5tupleIJPjSE_EEENSF_IJSE_SE_EEES9_SG_JZNS1_25segmented_radix_sort_implINS0_14default_configELb1EPKiPiPKlPlN2at6native12_GLOBAL__N_18offset_tEEE10hipError_tPvRmT1_PNSt15iterator_traitsISY_E10value_typeET2_T3_PNSZ_IS14_E10value_typeET4_jRbjT5_S1A_jjP12ihipStream_tbEUljE_EEESV_SW_SX_S14_S18_S1A_T6_T7_T9_mT8_S1C_bDpT10_ENKUlT_T0_E_clISt17integral_constantIbLb1EES1P_EEDaS1K_S1L_EUlS1K_E_NS1_11comp_targetILNS1_3genE8ELNS1_11target_archE1030ELNS1_3gpuE2ELNS1_3repE0EEENS1_30default_config_static_selectorELNS0_4arch9wavefront6targetE0EEEvSY_
    .private_segment_fixed_size: 0
    .sgpr_count:     0
    .sgpr_spill_count: 0
    .symbol:         _ZN7rocprim17ROCPRIM_400000_NS6detail17trampoline_kernelINS0_13select_configILj256ELj13ELNS0_17block_load_methodE3ELS4_3ELS4_3ELNS0_20block_scan_algorithmE0ELj4294967295EEENS1_25partition_config_selectorILNS1_17partition_subalgoE3EjNS0_10empty_typeEbEEZZNS1_14partition_implILS8_3ELb0ES6_jNS0_17counting_iteratorIjlEEPS9_SE_NS0_5tupleIJPjSE_EEENSF_IJSE_SE_EEES9_SG_JZNS1_25segmented_radix_sort_implINS0_14default_configELb1EPKiPiPKlPlN2at6native12_GLOBAL__N_18offset_tEEE10hipError_tPvRmT1_PNSt15iterator_traitsISY_E10value_typeET2_T3_PNSZ_IS14_E10value_typeET4_jRbjT5_S1A_jjP12ihipStream_tbEUljE_EEESV_SW_SX_S14_S18_S1A_T6_T7_T9_mT8_S1C_bDpT10_ENKUlT_T0_E_clISt17integral_constantIbLb1EES1P_EEDaS1K_S1L_EUlS1K_E_NS1_11comp_targetILNS1_3genE8ELNS1_11target_archE1030ELNS1_3gpuE2ELNS1_3repE0EEENS1_30default_config_static_selectorELNS0_4arch9wavefront6targetE0EEEvSY_.kd
    .uniform_work_group_size: 1
    .uses_dynamic_stack: false
    .vgpr_count:     0
    .vgpr_spill_count: 0
    .wavefront_size: 32
  - .args:
      - .offset:         0
        .size:           144
        .value_kind:     by_value
    .group_segment_fixed_size: 0
    .kernarg_segment_align: 8
    .kernarg_segment_size: 144
    .language:       OpenCL C
    .language_version:
      - 2
      - 0
    .max_flat_workgroup_size: 256
    .name:           _ZN7rocprim17ROCPRIM_400000_NS6detail17trampoline_kernelINS0_13select_configILj256ELj13ELNS0_17block_load_methodE3ELS4_3ELS4_3ELNS0_20block_scan_algorithmE0ELj4294967295EEENS1_25partition_config_selectorILNS1_17partition_subalgoE3EjNS0_10empty_typeEbEEZZNS1_14partition_implILS8_3ELb0ES6_jNS0_17counting_iteratorIjlEEPS9_SE_NS0_5tupleIJPjSE_EEENSF_IJSE_SE_EEES9_SG_JZNS1_25segmented_radix_sort_implINS0_14default_configELb1EPKiPiPKlPlN2at6native12_GLOBAL__N_18offset_tEEE10hipError_tPvRmT1_PNSt15iterator_traitsISY_E10value_typeET2_T3_PNSZ_IS14_E10value_typeET4_jRbjT5_S1A_jjP12ihipStream_tbEUljE_EEESV_SW_SX_S14_S18_S1A_T6_T7_T9_mT8_S1C_bDpT10_ENKUlT_T0_E_clISt17integral_constantIbLb1EES1O_IbLb0EEEEDaS1K_S1L_EUlS1K_E_NS1_11comp_targetILNS1_3genE0ELNS1_11target_archE4294967295ELNS1_3gpuE0ELNS1_3repE0EEENS1_30default_config_static_selectorELNS0_4arch9wavefront6targetE0EEEvSY_
    .private_segment_fixed_size: 0
    .sgpr_count:     0
    .sgpr_spill_count: 0
    .symbol:         _ZN7rocprim17ROCPRIM_400000_NS6detail17trampoline_kernelINS0_13select_configILj256ELj13ELNS0_17block_load_methodE3ELS4_3ELS4_3ELNS0_20block_scan_algorithmE0ELj4294967295EEENS1_25partition_config_selectorILNS1_17partition_subalgoE3EjNS0_10empty_typeEbEEZZNS1_14partition_implILS8_3ELb0ES6_jNS0_17counting_iteratorIjlEEPS9_SE_NS0_5tupleIJPjSE_EEENSF_IJSE_SE_EEES9_SG_JZNS1_25segmented_radix_sort_implINS0_14default_configELb1EPKiPiPKlPlN2at6native12_GLOBAL__N_18offset_tEEE10hipError_tPvRmT1_PNSt15iterator_traitsISY_E10value_typeET2_T3_PNSZ_IS14_E10value_typeET4_jRbjT5_S1A_jjP12ihipStream_tbEUljE_EEESV_SW_SX_S14_S18_S1A_T6_T7_T9_mT8_S1C_bDpT10_ENKUlT_T0_E_clISt17integral_constantIbLb1EES1O_IbLb0EEEEDaS1K_S1L_EUlS1K_E_NS1_11comp_targetILNS1_3genE0ELNS1_11target_archE4294967295ELNS1_3gpuE0ELNS1_3repE0EEENS1_30default_config_static_selectorELNS0_4arch9wavefront6targetE0EEEvSY_.kd
    .uniform_work_group_size: 1
    .uses_dynamic_stack: false
    .vgpr_count:     0
    .vgpr_spill_count: 0
    .wavefront_size: 32
  - .args:
      - .offset:         0
        .size:           144
        .value_kind:     by_value
    .group_segment_fixed_size: 0
    .kernarg_segment_align: 8
    .kernarg_segment_size: 144
    .language:       OpenCL C
    .language_version:
      - 2
      - 0
    .max_flat_workgroup_size: 256
    .name:           _ZN7rocprim17ROCPRIM_400000_NS6detail17trampoline_kernelINS0_13select_configILj256ELj13ELNS0_17block_load_methodE3ELS4_3ELS4_3ELNS0_20block_scan_algorithmE0ELj4294967295EEENS1_25partition_config_selectorILNS1_17partition_subalgoE3EjNS0_10empty_typeEbEEZZNS1_14partition_implILS8_3ELb0ES6_jNS0_17counting_iteratorIjlEEPS9_SE_NS0_5tupleIJPjSE_EEENSF_IJSE_SE_EEES9_SG_JZNS1_25segmented_radix_sort_implINS0_14default_configELb1EPKiPiPKlPlN2at6native12_GLOBAL__N_18offset_tEEE10hipError_tPvRmT1_PNSt15iterator_traitsISY_E10value_typeET2_T3_PNSZ_IS14_E10value_typeET4_jRbjT5_S1A_jjP12ihipStream_tbEUljE_EEESV_SW_SX_S14_S18_S1A_T6_T7_T9_mT8_S1C_bDpT10_ENKUlT_T0_E_clISt17integral_constantIbLb1EES1O_IbLb0EEEEDaS1K_S1L_EUlS1K_E_NS1_11comp_targetILNS1_3genE5ELNS1_11target_archE942ELNS1_3gpuE9ELNS1_3repE0EEENS1_30default_config_static_selectorELNS0_4arch9wavefront6targetE0EEEvSY_
    .private_segment_fixed_size: 0
    .sgpr_count:     0
    .sgpr_spill_count: 0
    .symbol:         _ZN7rocprim17ROCPRIM_400000_NS6detail17trampoline_kernelINS0_13select_configILj256ELj13ELNS0_17block_load_methodE3ELS4_3ELS4_3ELNS0_20block_scan_algorithmE0ELj4294967295EEENS1_25partition_config_selectorILNS1_17partition_subalgoE3EjNS0_10empty_typeEbEEZZNS1_14partition_implILS8_3ELb0ES6_jNS0_17counting_iteratorIjlEEPS9_SE_NS0_5tupleIJPjSE_EEENSF_IJSE_SE_EEES9_SG_JZNS1_25segmented_radix_sort_implINS0_14default_configELb1EPKiPiPKlPlN2at6native12_GLOBAL__N_18offset_tEEE10hipError_tPvRmT1_PNSt15iterator_traitsISY_E10value_typeET2_T3_PNSZ_IS14_E10value_typeET4_jRbjT5_S1A_jjP12ihipStream_tbEUljE_EEESV_SW_SX_S14_S18_S1A_T6_T7_T9_mT8_S1C_bDpT10_ENKUlT_T0_E_clISt17integral_constantIbLb1EES1O_IbLb0EEEEDaS1K_S1L_EUlS1K_E_NS1_11comp_targetILNS1_3genE5ELNS1_11target_archE942ELNS1_3gpuE9ELNS1_3repE0EEENS1_30default_config_static_selectorELNS0_4arch9wavefront6targetE0EEEvSY_.kd
    .uniform_work_group_size: 1
    .uses_dynamic_stack: false
    .vgpr_count:     0
    .vgpr_spill_count: 0
    .wavefront_size: 32
  - .args:
      - .offset:         0
        .size:           144
        .value_kind:     by_value
    .group_segment_fixed_size: 0
    .kernarg_segment_align: 8
    .kernarg_segment_size: 144
    .language:       OpenCL C
    .language_version:
      - 2
      - 0
    .max_flat_workgroup_size: 256
    .name:           _ZN7rocprim17ROCPRIM_400000_NS6detail17trampoline_kernelINS0_13select_configILj256ELj13ELNS0_17block_load_methodE3ELS4_3ELS4_3ELNS0_20block_scan_algorithmE0ELj4294967295EEENS1_25partition_config_selectorILNS1_17partition_subalgoE3EjNS0_10empty_typeEbEEZZNS1_14partition_implILS8_3ELb0ES6_jNS0_17counting_iteratorIjlEEPS9_SE_NS0_5tupleIJPjSE_EEENSF_IJSE_SE_EEES9_SG_JZNS1_25segmented_radix_sort_implINS0_14default_configELb1EPKiPiPKlPlN2at6native12_GLOBAL__N_18offset_tEEE10hipError_tPvRmT1_PNSt15iterator_traitsISY_E10value_typeET2_T3_PNSZ_IS14_E10value_typeET4_jRbjT5_S1A_jjP12ihipStream_tbEUljE_EEESV_SW_SX_S14_S18_S1A_T6_T7_T9_mT8_S1C_bDpT10_ENKUlT_T0_E_clISt17integral_constantIbLb1EES1O_IbLb0EEEEDaS1K_S1L_EUlS1K_E_NS1_11comp_targetILNS1_3genE4ELNS1_11target_archE910ELNS1_3gpuE8ELNS1_3repE0EEENS1_30default_config_static_selectorELNS0_4arch9wavefront6targetE0EEEvSY_
    .private_segment_fixed_size: 0
    .sgpr_count:     0
    .sgpr_spill_count: 0
    .symbol:         _ZN7rocprim17ROCPRIM_400000_NS6detail17trampoline_kernelINS0_13select_configILj256ELj13ELNS0_17block_load_methodE3ELS4_3ELS4_3ELNS0_20block_scan_algorithmE0ELj4294967295EEENS1_25partition_config_selectorILNS1_17partition_subalgoE3EjNS0_10empty_typeEbEEZZNS1_14partition_implILS8_3ELb0ES6_jNS0_17counting_iteratorIjlEEPS9_SE_NS0_5tupleIJPjSE_EEENSF_IJSE_SE_EEES9_SG_JZNS1_25segmented_radix_sort_implINS0_14default_configELb1EPKiPiPKlPlN2at6native12_GLOBAL__N_18offset_tEEE10hipError_tPvRmT1_PNSt15iterator_traitsISY_E10value_typeET2_T3_PNSZ_IS14_E10value_typeET4_jRbjT5_S1A_jjP12ihipStream_tbEUljE_EEESV_SW_SX_S14_S18_S1A_T6_T7_T9_mT8_S1C_bDpT10_ENKUlT_T0_E_clISt17integral_constantIbLb1EES1O_IbLb0EEEEDaS1K_S1L_EUlS1K_E_NS1_11comp_targetILNS1_3genE4ELNS1_11target_archE910ELNS1_3gpuE8ELNS1_3repE0EEENS1_30default_config_static_selectorELNS0_4arch9wavefront6targetE0EEEvSY_.kd
    .uniform_work_group_size: 1
    .uses_dynamic_stack: false
    .vgpr_count:     0
    .vgpr_spill_count: 0
    .wavefront_size: 32
  - .args:
      - .offset:         0
        .size:           144
        .value_kind:     by_value
    .group_segment_fixed_size: 0
    .kernarg_segment_align: 8
    .kernarg_segment_size: 144
    .language:       OpenCL C
    .language_version:
      - 2
      - 0
    .max_flat_workgroup_size: 256
    .name:           _ZN7rocprim17ROCPRIM_400000_NS6detail17trampoline_kernelINS0_13select_configILj256ELj13ELNS0_17block_load_methodE3ELS4_3ELS4_3ELNS0_20block_scan_algorithmE0ELj4294967295EEENS1_25partition_config_selectorILNS1_17partition_subalgoE3EjNS0_10empty_typeEbEEZZNS1_14partition_implILS8_3ELb0ES6_jNS0_17counting_iteratorIjlEEPS9_SE_NS0_5tupleIJPjSE_EEENSF_IJSE_SE_EEES9_SG_JZNS1_25segmented_radix_sort_implINS0_14default_configELb1EPKiPiPKlPlN2at6native12_GLOBAL__N_18offset_tEEE10hipError_tPvRmT1_PNSt15iterator_traitsISY_E10value_typeET2_T3_PNSZ_IS14_E10value_typeET4_jRbjT5_S1A_jjP12ihipStream_tbEUljE_EEESV_SW_SX_S14_S18_S1A_T6_T7_T9_mT8_S1C_bDpT10_ENKUlT_T0_E_clISt17integral_constantIbLb1EES1O_IbLb0EEEEDaS1K_S1L_EUlS1K_E_NS1_11comp_targetILNS1_3genE3ELNS1_11target_archE908ELNS1_3gpuE7ELNS1_3repE0EEENS1_30default_config_static_selectorELNS0_4arch9wavefront6targetE0EEEvSY_
    .private_segment_fixed_size: 0
    .sgpr_count:     0
    .sgpr_spill_count: 0
    .symbol:         _ZN7rocprim17ROCPRIM_400000_NS6detail17trampoline_kernelINS0_13select_configILj256ELj13ELNS0_17block_load_methodE3ELS4_3ELS4_3ELNS0_20block_scan_algorithmE0ELj4294967295EEENS1_25partition_config_selectorILNS1_17partition_subalgoE3EjNS0_10empty_typeEbEEZZNS1_14partition_implILS8_3ELb0ES6_jNS0_17counting_iteratorIjlEEPS9_SE_NS0_5tupleIJPjSE_EEENSF_IJSE_SE_EEES9_SG_JZNS1_25segmented_radix_sort_implINS0_14default_configELb1EPKiPiPKlPlN2at6native12_GLOBAL__N_18offset_tEEE10hipError_tPvRmT1_PNSt15iterator_traitsISY_E10value_typeET2_T3_PNSZ_IS14_E10value_typeET4_jRbjT5_S1A_jjP12ihipStream_tbEUljE_EEESV_SW_SX_S14_S18_S1A_T6_T7_T9_mT8_S1C_bDpT10_ENKUlT_T0_E_clISt17integral_constantIbLb1EES1O_IbLb0EEEEDaS1K_S1L_EUlS1K_E_NS1_11comp_targetILNS1_3genE3ELNS1_11target_archE908ELNS1_3gpuE7ELNS1_3repE0EEENS1_30default_config_static_selectorELNS0_4arch9wavefront6targetE0EEEvSY_.kd
    .uniform_work_group_size: 1
    .uses_dynamic_stack: false
    .vgpr_count:     0
    .vgpr_spill_count: 0
    .wavefront_size: 32
  - .args:
      - .offset:         0
        .size:           144
        .value_kind:     by_value
    .group_segment_fixed_size: 0
    .kernarg_segment_align: 8
    .kernarg_segment_size: 144
    .language:       OpenCL C
    .language_version:
      - 2
      - 0
    .max_flat_workgroup_size: 256
    .name:           _ZN7rocprim17ROCPRIM_400000_NS6detail17trampoline_kernelINS0_13select_configILj256ELj13ELNS0_17block_load_methodE3ELS4_3ELS4_3ELNS0_20block_scan_algorithmE0ELj4294967295EEENS1_25partition_config_selectorILNS1_17partition_subalgoE3EjNS0_10empty_typeEbEEZZNS1_14partition_implILS8_3ELb0ES6_jNS0_17counting_iteratorIjlEEPS9_SE_NS0_5tupleIJPjSE_EEENSF_IJSE_SE_EEES9_SG_JZNS1_25segmented_radix_sort_implINS0_14default_configELb1EPKiPiPKlPlN2at6native12_GLOBAL__N_18offset_tEEE10hipError_tPvRmT1_PNSt15iterator_traitsISY_E10value_typeET2_T3_PNSZ_IS14_E10value_typeET4_jRbjT5_S1A_jjP12ihipStream_tbEUljE_EEESV_SW_SX_S14_S18_S1A_T6_T7_T9_mT8_S1C_bDpT10_ENKUlT_T0_E_clISt17integral_constantIbLb1EES1O_IbLb0EEEEDaS1K_S1L_EUlS1K_E_NS1_11comp_targetILNS1_3genE2ELNS1_11target_archE906ELNS1_3gpuE6ELNS1_3repE0EEENS1_30default_config_static_selectorELNS0_4arch9wavefront6targetE0EEEvSY_
    .private_segment_fixed_size: 0
    .sgpr_count:     0
    .sgpr_spill_count: 0
    .symbol:         _ZN7rocprim17ROCPRIM_400000_NS6detail17trampoline_kernelINS0_13select_configILj256ELj13ELNS0_17block_load_methodE3ELS4_3ELS4_3ELNS0_20block_scan_algorithmE0ELj4294967295EEENS1_25partition_config_selectorILNS1_17partition_subalgoE3EjNS0_10empty_typeEbEEZZNS1_14partition_implILS8_3ELb0ES6_jNS0_17counting_iteratorIjlEEPS9_SE_NS0_5tupleIJPjSE_EEENSF_IJSE_SE_EEES9_SG_JZNS1_25segmented_radix_sort_implINS0_14default_configELb1EPKiPiPKlPlN2at6native12_GLOBAL__N_18offset_tEEE10hipError_tPvRmT1_PNSt15iterator_traitsISY_E10value_typeET2_T3_PNSZ_IS14_E10value_typeET4_jRbjT5_S1A_jjP12ihipStream_tbEUljE_EEESV_SW_SX_S14_S18_S1A_T6_T7_T9_mT8_S1C_bDpT10_ENKUlT_T0_E_clISt17integral_constantIbLb1EES1O_IbLb0EEEEDaS1K_S1L_EUlS1K_E_NS1_11comp_targetILNS1_3genE2ELNS1_11target_archE906ELNS1_3gpuE6ELNS1_3repE0EEENS1_30default_config_static_selectorELNS0_4arch9wavefront6targetE0EEEvSY_.kd
    .uniform_work_group_size: 1
    .uses_dynamic_stack: false
    .vgpr_count:     0
    .vgpr_spill_count: 0
    .wavefront_size: 32
  - .args:
      - .offset:         0
        .size:           144
        .value_kind:     by_value
    .group_segment_fixed_size: 0
    .kernarg_segment_align: 8
    .kernarg_segment_size: 144
    .language:       OpenCL C
    .language_version:
      - 2
      - 0
    .max_flat_workgroup_size: 256
    .name:           _ZN7rocprim17ROCPRIM_400000_NS6detail17trampoline_kernelINS0_13select_configILj256ELj13ELNS0_17block_load_methodE3ELS4_3ELS4_3ELNS0_20block_scan_algorithmE0ELj4294967295EEENS1_25partition_config_selectorILNS1_17partition_subalgoE3EjNS0_10empty_typeEbEEZZNS1_14partition_implILS8_3ELb0ES6_jNS0_17counting_iteratorIjlEEPS9_SE_NS0_5tupleIJPjSE_EEENSF_IJSE_SE_EEES9_SG_JZNS1_25segmented_radix_sort_implINS0_14default_configELb1EPKiPiPKlPlN2at6native12_GLOBAL__N_18offset_tEEE10hipError_tPvRmT1_PNSt15iterator_traitsISY_E10value_typeET2_T3_PNSZ_IS14_E10value_typeET4_jRbjT5_S1A_jjP12ihipStream_tbEUljE_EEESV_SW_SX_S14_S18_S1A_T6_T7_T9_mT8_S1C_bDpT10_ENKUlT_T0_E_clISt17integral_constantIbLb1EES1O_IbLb0EEEEDaS1K_S1L_EUlS1K_E_NS1_11comp_targetILNS1_3genE10ELNS1_11target_archE1200ELNS1_3gpuE4ELNS1_3repE0EEENS1_30default_config_static_selectorELNS0_4arch9wavefront6targetE0EEEvSY_
    .private_segment_fixed_size: 0
    .sgpr_count:     0
    .sgpr_spill_count: 0
    .symbol:         _ZN7rocprim17ROCPRIM_400000_NS6detail17trampoline_kernelINS0_13select_configILj256ELj13ELNS0_17block_load_methodE3ELS4_3ELS4_3ELNS0_20block_scan_algorithmE0ELj4294967295EEENS1_25partition_config_selectorILNS1_17partition_subalgoE3EjNS0_10empty_typeEbEEZZNS1_14partition_implILS8_3ELb0ES6_jNS0_17counting_iteratorIjlEEPS9_SE_NS0_5tupleIJPjSE_EEENSF_IJSE_SE_EEES9_SG_JZNS1_25segmented_radix_sort_implINS0_14default_configELb1EPKiPiPKlPlN2at6native12_GLOBAL__N_18offset_tEEE10hipError_tPvRmT1_PNSt15iterator_traitsISY_E10value_typeET2_T3_PNSZ_IS14_E10value_typeET4_jRbjT5_S1A_jjP12ihipStream_tbEUljE_EEESV_SW_SX_S14_S18_S1A_T6_T7_T9_mT8_S1C_bDpT10_ENKUlT_T0_E_clISt17integral_constantIbLb1EES1O_IbLb0EEEEDaS1K_S1L_EUlS1K_E_NS1_11comp_targetILNS1_3genE10ELNS1_11target_archE1200ELNS1_3gpuE4ELNS1_3repE0EEENS1_30default_config_static_selectorELNS0_4arch9wavefront6targetE0EEEvSY_.kd
    .uniform_work_group_size: 1
    .uses_dynamic_stack: false
    .vgpr_count:     0
    .vgpr_spill_count: 0
    .wavefront_size: 32
  - .args:
      - .offset:         0
        .size:           144
        .value_kind:     by_value
    .group_segment_fixed_size: 0
    .kernarg_segment_align: 8
    .kernarg_segment_size: 144
    .language:       OpenCL C
    .language_version:
      - 2
      - 0
    .max_flat_workgroup_size: 256
    .name:           _ZN7rocprim17ROCPRIM_400000_NS6detail17trampoline_kernelINS0_13select_configILj256ELj13ELNS0_17block_load_methodE3ELS4_3ELS4_3ELNS0_20block_scan_algorithmE0ELj4294967295EEENS1_25partition_config_selectorILNS1_17partition_subalgoE3EjNS0_10empty_typeEbEEZZNS1_14partition_implILS8_3ELb0ES6_jNS0_17counting_iteratorIjlEEPS9_SE_NS0_5tupleIJPjSE_EEENSF_IJSE_SE_EEES9_SG_JZNS1_25segmented_radix_sort_implINS0_14default_configELb1EPKiPiPKlPlN2at6native12_GLOBAL__N_18offset_tEEE10hipError_tPvRmT1_PNSt15iterator_traitsISY_E10value_typeET2_T3_PNSZ_IS14_E10value_typeET4_jRbjT5_S1A_jjP12ihipStream_tbEUljE_EEESV_SW_SX_S14_S18_S1A_T6_T7_T9_mT8_S1C_bDpT10_ENKUlT_T0_E_clISt17integral_constantIbLb1EES1O_IbLb0EEEEDaS1K_S1L_EUlS1K_E_NS1_11comp_targetILNS1_3genE9ELNS1_11target_archE1100ELNS1_3gpuE3ELNS1_3repE0EEENS1_30default_config_static_selectorELNS0_4arch9wavefront6targetE0EEEvSY_
    .private_segment_fixed_size: 0
    .sgpr_count:     0
    .sgpr_spill_count: 0
    .symbol:         _ZN7rocprim17ROCPRIM_400000_NS6detail17trampoline_kernelINS0_13select_configILj256ELj13ELNS0_17block_load_methodE3ELS4_3ELS4_3ELNS0_20block_scan_algorithmE0ELj4294967295EEENS1_25partition_config_selectorILNS1_17partition_subalgoE3EjNS0_10empty_typeEbEEZZNS1_14partition_implILS8_3ELb0ES6_jNS0_17counting_iteratorIjlEEPS9_SE_NS0_5tupleIJPjSE_EEENSF_IJSE_SE_EEES9_SG_JZNS1_25segmented_radix_sort_implINS0_14default_configELb1EPKiPiPKlPlN2at6native12_GLOBAL__N_18offset_tEEE10hipError_tPvRmT1_PNSt15iterator_traitsISY_E10value_typeET2_T3_PNSZ_IS14_E10value_typeET4_jRbjT5_S1A_jjP12ihipStream_tbEUljE_EEESV_SW_SX_S14_S18_S1A_T6_T7_T9_mT8_S1C_bDpT10_ENKUlT_T0_E_clISt17integral_constantIbLb1EES1O_IbLb0EEEEDaS1K_S1L_EUlS1K_E_NS1_11comp_targetILNS1_3genE9ELNS1_11target_archE1100ELNS1_3gpuE3ELNS1_3repE0EEENS1_30default_config_static_selectorELNS0_4arch9wavefront6targetE0EEEvSY_.kd
    .uniform_work_group_size: 1
    .uses_dynamic_stack: false
    .vgpr_count:     0
    .vgpr_spill_count: 0
    .wavefront_size: 32
  - .args:
      - .offset:         0
        .size:           144
        .value_kind:     by_value
    .group_segment_fixed_size: 0
    .kernarg_segment_align: 8
    .kernarg_segment_size: 144
    .language:       OpenCL C
    .language_version:
      - 2
      - 0
    .max_flat_workgroup_size: 256
    .name:           _ZN7rocprim17ROCPRIM_400000_NS6detail17trampoline_kernelINS0_13select_configILj256ELj13ELNS0_17block_load_methodE3ELS4_3ELS4_3ELNS0_20block_scan_algorithmE0ELj4294967295EEENS1_25partition_config_selectorILNS1_17partition_subalgoE3EjNS0_10empty_typeEbEEZZNS1_14partition_implILS8_3ELb0ES6_jNS0_17counting_iteratorIjlEEPS9_SE_NS0_5tupleIJPjSE_EEENSF_IJSE_SE_EEES9_SG_JZNS1_25segmented_radix_sort_implINS0_14default_configELb1EPKiPiPKlPlN2at6native12_GLOBAL__N_18offset_tEEE10hipError_tPvRmT1_PNSt15iterator_traitsISY_E10value_typeET2_T3_PNSZ_IS14_E10value_typeET4_jRbjT5_S1A_jjP12ihipStream_tbEUljE_EEESV_SW_SX_S14_S18_S1A_T6_T7_T9_mT8_S1C_bDpT10_ENKUlT_T0_E_clISt17integral_constantIbLb1EES1O_IbLb0EEEEDaS1K_S1L_EUlS1K_E_NS1_11comp_targetILNS1_3genE8ELNS1_11target_archE1030ELNS1_3gpuE2ELNS1_3repE0EEENS1_30default_config_static_selectorELNS0_4arch9wavefront6targetE0EEEvSY_
    .private_segment_fixed_size: 0
    .sgpr_count:     0
    .sgpr_spill_count: 0
    .symbol:         _ZN7rocprim17ROCPRIM_400000_NS6detail17trampoline_kernelINS0_13select_configILj256ELj13ELNS0_17block_load_methodE3ELS4_3ELS4_3ELNS0_20block_scan_algorithmE0ELj4294967295EEENS1_25partition_config_selectorILNS1_17partition_subalgoE3EjNS0_10empty_typeEbEEZZNS1_14partition_implILS8_3ELb0ES6_jNS0_17counting_iteratorIjlEEPS9_SE_NS0_5tupleIJPjSE_EEENSF_IJSE_SE_EEES9_SG_JZNS1_25segmented_radix_sort_implINS0_14default_configELb1EPKiPiPKlPlN2at6native12_GLOBAL__N_18offset_tEEE10hipError_tPvRmT1_PNSt15iterator_traitsISY_E10value_typeET2_T3_PNSZ_IS14_E10value_typeET4_jRbjT5_S1A_jjP12ihipStream_tbEUljE_EEESV_SW_SX_S14_S18_S1A_T6_T7_T9_mT8_S1C_bDpT10_ENKUlT_T0_E_clISt17integral_constantIbLb1EES1O_IbLb0EEEEDaS1K_S1L_EUlS1K_E_NS1_11comp_targetILNS1_3genE8ELNS1_11target_archE1030ELNS1_3gpuE2ELNS1_3repE0EEENS1_30default_config_static_selectorELNS0_4arch9wavefront6targetE0EEEvSY_.kd
    .uniform_work_group_size: 1
    .uses_dynamic_stack: false
    .vgpr_count:     0
    .vgpr_spill_count: 0
    .wavefront_size: 32
  - .args:
      - .offset:         0
        .size:           152
        .value_kind:     by_value
    .group_segment_fixed_size: 13320
    .kernarg_segment_align: 8
    .kernarg_segment_size: 152
    .language:       OpenCL C
    .language_version:
      - 2
      - 0
    .max_flat_workgroup_size: 256
    .name:           _ZN7rocprim17ROCPRIM_400000_NS6detail17trampoline_kernelINS0_13select_configILj256ELj13ELNS0_17block_load_methodE3ELS4_3ELS4_3ELNS0_20block_scan_algorithmE0ELj4294967295EEENS1_25partition_config_selectorILNS1_17partition_subalgoE3EjNS0_10empty_typeEbEEZZNS1_14partition_implILS8_3ELb0ES6_jNS0_17counting_iteratorIjlEEPS9_SE_NS0_5tupleIJPjSE_EEENSF_IJSE_SE_EEES9_SG_JZNS1_25segmented_radix_sort_implINS0_14default_configELb1EPKiPiPKlPlN2at6native12_GLOBAL__N_18offset_tEEE10hipError_tPvRmT1_PNSt15iterator_traitsISY_E10value_typeET2_T3_PNSZ_IS14_E10value_typeET4_jRbjT5_S1A_jjP12ihipStream_tbEUljE_EEESV_SW_SX_S14_S18_S1A_T6_T7_T9_mT8_S1C_bDpT10_ENKUlT_T0_E_clISt17integral_constantIbLb0EES1O_IbLb1EEEEDaS1K_S1L_EUlS1K_E_NS1_11comp_targetILNS1_3genE0ELNS1_11target_archE4294967295ELNS1_3gpuE0ELNS1_3repE0EEENS1_30default_config_static_selectorELNS0_4arch9wavefront6targetE0EEEvSY_
    .private_segment_fixed_size: 0
    .sgpr_count:     26
    .sgpr_spill_count: 0
    .symbol:         _ZN7rocprim17ROCPRIM_400000_NS6detail17trampoline_kernelINS0_13select_configILj256ELj13ELNS0_17block_load_methodE3ELS4_3ELS4_3ELNS0_20block_scan_algorithmE0ELj4294967295EEENS1_25partition_config_selectorILNS1_17partition_subalgoE3EjNS0_10empty_typeEbEEZZNS1_14partition_implILS8_3ELb0ES6_jNS0_17counting_iteratorIjlEEPS9_SE_NS0_5tupleIJPjSE_EEENSF_IJSE_SE_EEES9_SG_JZNS1_25segmented_radix_sort_implINS0_14default_configELb1EPKiPiPKlPlN2at6native12_GLOBAL__N_18offset_tEEE10hipError_tPvRmT1_PNSt15iterator_traitsISY_E10value_typeET2_T3_PNSZ_IS14_E10value_typeET4_jRbjT5_S1A_jjP12ihipStream_tbEUljE_EEESV_SW_SX_S14_S18_S1A_T6_T7_T9_mT8_S1C_bDpT10_ENKUlT_T0_E_clISt17integral_constantIbLb0EES1O_IbLb1EEEEDaS1K_S1L_EUlS1K_E_NS1_11comp_targetILNS1_3genE0ELNS1_11target_archE4294967295ELNS1_3gpuE0ELNS1_3repE0EEENS1_30default_config_static_selectorELNS0_4arch9wavefront6targetE0EEEvSY_.kd
    .uniform_work_group_size: 1
    .uses_dynamic_stack: false
    .vgpr_count:     72
    .vgpr_spill_count: 0
    .wavefront_size: 32
  - .args:
      - .offset:         0
        .size:           152
        .value_kind:     by_value
    .group_segment_fixed_size: 0
    .kernarg_segment_align: 8
    .kernarg_segment_size: 152
    .language:       OpenCL C
    .language_version:
      - 2
      - 0
    .max_flat_workgroup_size: 256
    .name:           _ZN7rocprim17ROCPRIM_400000_NS6detail17trampoline_kernelINS0_13select_configILj256ELj13ELNS0_17block_load_methodE3ELS4_3ELS4_3ELNS0_20block_scan_algorithmE0ELj4294967295EEENS1_25partition_config_selectorILNS1_17partition_subalgoE3EjNS0_10empty_typeEbEEZZNS1_14partition_implILS8_3ELb0ES6_jNS0_17counting_iteratorIjlEEPS9_SE_NS0_5tupleIJPjSE_EEENSF_IJSE_SE_EEES9_SG_JZNS1_25segmented_radix_sort_implINS0_14default_configELb1EPKiPiPKlPlN2at6native12_GLOBAL__N_18offset_tEEE10hipError_tPvRmT1_PNSt15iterator_traitsISY_E10value_typeET2_T3_PNSZ_IS14_E10value_typeET4_jRbjT5_S1A_jjP12ihipStream_tbEUljE_EEESV_SW_SX_S14_S18_S1A_T6_T7_T9_mT8_S1C_bDpT10_ENKUlT_T0_E_clISt17integral_constantIbLb0EES1O_IbLb1EEEEDaS1K_S1L_EUlS1K_E_NS1_11comp_targetILNS1_3genE5ELNS1_11target_archE942ELNS1_3gpuE9ELNS1_3repE0EEENS1_30default_config_static_selectorELNS0_4arch9wavefront6targetE0EEEvSY_
    .private_segment_fixed_size: 0
    .sgpr_count:     0
    .sgpr_spill_count: 0
    .symbol:         _ZN7rocprim17ROCPRIM_400000_NS6detail17trampoline_kernelINS0_13select_configILj256ELj13ELNS0_17block_load_methodE3ELS4_3ELS4_3ELNS0_20block_scan_algorithmE0ELj4294967295EEENS1_25partition_config_selectorILNS1_17partition_subalgoE3EjNS0_10empty_typeEbEEZZNS1_14partition_implILS8_3ELb0ES6_jNS0_17counting_iteratorIjlEEPS9_SE_NS0_5tupleIJPjSE_EEENSF_IJSE_SE_EEES9_SG_JZNS1_25segmented_radix_sort_implINS0_14default_configELb1EPKiPiPKlPlN2at6native12_GLOBAL__N_18offset_tEEE10hipError_tPvRmT1_PNSt15iterator_traitsISY_E10value_typeET2_T3_PNSZ_IS14_E10value_typeET4_jRbjT5_S1A_jjP12ihipStream_tbEUljE_EEESV_SW_SX_S14_S18_S1A_T6_T7_T9_mT8_S1C_bDpT10_ENKUlT_T0_E_clISt17integral_constantIbLb0EES1O_IbLb1EEEEDaS1K_S1L_EUlS1K_E_NS1_11comp_targetILNS1_3genE5ELNS1_11target_archE942ELNS1_3gpuE9ELNS1_3repE0EEENS1_30default_config_static_selectorELNS0_4arch9wavefront6targetE0EEEvSY_.kd
    .uniform_work_group_size: 1
    .uses_dynamic_stack: false
    .vgpr_count:     0
    .vgpr_spill_count: 0
    .wavefront_size: 32
  - .args:
      - .offset:         0
        .size:           152
        .value_kind:     by_value
    .group_segment_fixed_size: 0
    .kernarg_segment_align: 8
    .kernarg_segment_size: 152
    .language:       OpenCL C
    .language_version:
      - 2
      - 0
    .max_flat_workgroup_size: 256
    .name:           _ZN7rocprim17ROCPRIM_400000_NS6detail17trampoline_kernelINS0_13select_configILj256ELj13ELNS0_17block_load_methodE3ELS4_3ELS4_3ELNS0_20block_scan_algorithmE0ELj4294967295EEENS1_25partition_config_selectorILNS1_17partition_subalgoE3EjNS0_10empty_typeEbEEZZNS1_14partition_implILS8_3ELb0ES6_jNS0_17counting_iteratorIjlEEPS9_SE_NS0_5tupleIJPjSE_EEENSF_IJSE_SE_EEES9_SG_JZNS1_25segmented_radix_sort_implINS0_14default_configELb1EPKiPiPKlPlN2at6native12_GLOBAL__N_18offset_tEEE10hipError_tPvRmT1_PNSt15iterator_traitsISY_E10value_typeET2_T3_PNSZ_IS14_E10value_typeET4_jRbjT5_S1A_jjP12ihipStream_tbEUljE_EEESV_SW_SX_S14_S18_S1A_T6_T7_T9_mT8_S1C_bDpT10_ENKUlT_T0_E_clISt17integral_constantIbLb0EES1O_IbLb1EEEEDaS1K_S1L_EUlS1K_E_NS1_11comp_targetILNS1_3genE4ELNS1_11target_archE910ELNS1_3gpuE8ELNS1_3repE0EEENS1_30default_config_static_selectorELNS0_4arch9wavefront6targetE0EEEvSY_
    .private_segment_fixed_size: 0
    .sgpr_count:     0
    .sgpr_spill_count: 0
    .symbol:         _ZN7rocprim17ROCPRIM_400000_NS6detail17trampoline_kernelINS0_13select_configILj256ELj13ELNS0_17block_load_methodE3ELS4_3ELS4_3ELNS0_20block_scan_algorithmE0ELj4294967295EEENS1_25partition_config_selectorILNS1_17partition_subalgoE3EjNS0_10empty_typeEbEEZZNS1_14partition_implILS8_3ELb0ES6_jNS0_17counting_iteratorIjlEEPS9_SE_NS0_5tupleIJPjSE_EEENSF_IJSE_SE_EEES9_SG_JZNS1_25segmented_radix_sort_implINS0_14default_configELb1EPKiPiPKlPlN2at6native12_GLOBAL__N_18offset_tEEE10hipError_tPvRmT1_PNSt15iterator_traitsISY_E10value_typeET2_T3_PNSZ_IS14_E10value_typeET4_jRbjT5_S1A_jjP12ihipStream_tbEUljE_EEESV_SW_SX_S14_S18_S1A_T6_T7_T9_mT8_S1C_bDpT10_ENKUlT_T0_E_clISt17integral_constantIbLb0EES1O_IbLb1EEEEDaS1K_S1L_EUlS1K_E_NS1_11comp_targetILNS1_3genE4ELNS1_11target_archE910ELNS1_3gpuE8ELNS1_3repE0EEENS1_30default_config_static_selectorELNS0_4arch9wavefront6targetE0EEEvSY_.kd
    .uniform_work_group_size: 1
    .uses_dynamic_stack: false
    .vgpr_count:     0
    .vgpr_spill_count: 0
    .wavefront_size: 32
  - .args:
      - .offset:         0
        .size:           152
        .value_kind:     by_value
    .group_segment_fixed_size: 0
    .kernarg_segment_align: 8
    .kernarg_segment_size: 152
    .language:       OpenCL C
    .language_version:
      - 2
      - 0
    .max_flat_workgroup_size: 256
    .name:           _ZN7rocprim17ROCPRIM_400000_NS6detail17trampoline_kernelINS0_13select_configILj256ELj13ELNS0_17block_load_methodE3ELS4_3ELS4_3ELNS0_20block_scan_algorithmE0ELj4294967295EEENS1_25partition_config_selectorILNS1_17partition_subalgoE3EjNS0_10empty_typeEbEEZZNS1_14partition_implILS8_3ELb0ES6_jNS0_17counting_iteratorIjlEEPS9_SE_NS0_5tupleIJPjSE_EEENSF_IJSE_SE_EEES9_SG_JZNS1_25segmented_radix_sort_implINS0_14default_configELb1EPKiPiPKlPlN2at6native12_GLOBAL__N_18offset_tEEE10hipError_tPvRmT1_PNSt15iterator_traitsISY_E10value_typeET2_T3_PNSZ_IS14_E10value_typeET4_jRbjT5_S1A_jjP12ihipStream_tbEUljE_EEESV_SW_SX_S14_S18_S1A_T6_T7_T9_mT8_S1C_bDpT10_ENKUlT_T0_E_clISt17integral_constantIbLb0EES1O_IbLb1EEEEDaS1K_S1L_EUlS1K_E_NS1_11comp_targetILNS1_3genE3ELNS1_11target_archE908ELNS1_3gpuE7ELNS1_3repE0EEENS1_30default_config_static_selectorELNS0_4arch9wavefront6targetE0EEEvSY_
    .private_segment_fixed_size: 0
    .sgpr_count:     0
    .sgpr_spill_count: 0
    .symbol:         _ZN7rocprim17ROCPRIM_400000_NS6detail17trampoline_kernelINS0_13select_configILj256ELj13ELNS0_17block_load_methodE3ELS4_3ELS4_3ELNS0_20block_scan_algorithmE0ELj4294967295EEENS1_25partition_config_selectorILNS1_17partition_subalgoE3EjNS0_10empty_typeEbEEZZNS1_14partition_implILS8_3ELb0ES6_jNS0_17counting_iteratorIjlEEPS9_SE_NS0_5tupleIJPjSE_EEENSF_IJSE_SE_EEES9_SG_JZNS1_25segmented_radix_sort_implINS0_14default_configELb1EPKiPiPKlPlN2at6native12_GLOBAL__N_18offset_tEEE10hipError_tPvRmT1_PNSt15iterator_traitsISY_E10value_typeET2_T3_PNSZ_IS14_E10value_typeET4_jRbjT5_S1A_jjP12ihipStream_tbEUljE_EEESV_SW_SX_S14_S18_S1A_T6_T7_T9_mT8_S1C_bDpT10_ENKUlT_T0_E_clISt17integral_constantIbLb0EES1O_IbLb1EEEEDaS1K_S1L_EUlS1K_E_NS1_11comp_targetILNS1_3genE3ELNS1_11target_archE908ELNS1_3gpuE7ELNS1_3repE0EEENS1_30default_config_static_selectorELNS0_4arch9wavefront6targetE0EEEvSY_.kd
    .uniform_work_group_size: 1
    .uses_dynamic_stack: false
    .vgpr_count:     0
    .vgpr_spill_count: 0
    .wavefront_size: 32
  - .args:
      - .offset:         0
        .size:           152
        .value_kind:     by_value
    .group_segment_fixed_size: 0
    .kernarg_segment_align: 8
    .kernarg_segment_size: 152
    .language:       OpenCL C
    .language_version:
      - 2
      - 0
    .max_flat_workgroup_size: 256
    .name:           _ZN7rocprim17ROCPRIM_400000_NS6detail17trampoline_kernelINS0_13select_configILj256ELj13ELNS0_17block_load_methodE3ELS4_3ELS4_3ELNS0_20block_scan_algorithmE0ELj4294967295EEENS1_25partition_config_selectorILNS1_17partition_subalgoE3EjNS0_10empty_typeEbEEZZNS1_14partition_implILS8_3ELb0ES6_jNS0_17counting_iteratorIjlEEPS9_SE_NS0_5tupleIJPjSE_EEENSF_IJSE_SE_EEES9_SG_JZNS1_25segmented_radix_sort_implINS0_14default_configELb1EPKiPiPKlPlN2at6native12_GLOBAL__N_18offset_tEEE10hipError_tPvRmT1_PNSt15iterator_traitsISY_E10value_typeET2_T3_PNSZ_IS14_E10value_typeET4_jRbjT5_S1A_jjP12ihipStream_tbEUljE_EEESV_SW_SX_S14_S18_S1A_T6_T7_T9_mT8_S1C_bDpT10_ENKUlT_T0_E_clISt17integral_constantIbLb0EES1O_IbLb1EEEEDaS1K_S1L_EUlS1K_E_NS1_11comp_targetILNS1_3genE2ELNS1_11target_archE906ELNS1_3gpuE6ELNS1_3repE0EEENS1_30default_config_static_selectorELNS0_4arch9wavefront6targetE0EEEvSY_
    .private_segment_fixed_size: 0
    .sgpr_count:     0
    .sgpr_spill_count: 0
    .symbol:         _ZN7rocprim17ROCPRIM_400000_NS6detail17trampoline_kernelINS0_13select_configILj256ELj13ELNS0_17block_load_methodE3ELS4_3ELS4_3ELNS0_20block_scan_algorithmE0ELj4294967295EEENS1_25partition_config_selectorILNS1_17partition_subalgoE3EjNS0_10empty_typeEbEEZZNS1_14partition_implILS8_3ELb0ES6_jNS0_17counting_iteratorIjlEEPS9_SE_NS0_5tupleIJPjSE_EEENSF_IJSE_SE_EEES9_SG_JZNS1_25segmented_radix_sort_implINS0_14default_configELb1EPKiPiPKlPlN2at6native12_GLOBAL__N_18offset_tEEE10hipError_tPvRmT1_PNSt15iterator_traitsISY_E10value_typeET2_T3_PNSZ_IS14_E10value_typeET4_jRbjT5_S1A_jjP12ihipStream_tbEUljE_EEESV_SW_SX_S14_S18_S1A_T6_T7_T9_mT8_S1C_bDpT10_ENKUlT_T0_E_clISt17integral_constantIbLb0EES1O_IbLb1EEEEDaS1K_S1L_EUlS1K_E_NS1_11comp_targetILNS1_3genE2ELNS1_11target_archE906ELNS1_3gpuE6ELNS1_3repE0EEENS1_30default_config_static_selectorELNS0_4arch9wavefront6targetE0EEEvSY_.kd
    .uniform_work_group_size: 1
    .uses_dynamic_stack: false
    .vgpr_count:     0
    .vgpr_spill_count: 0
    .wavefront_size: 32
  - .args:
      - .offset:         0
        .size:           152
        .value_kind:     by_value
    .group_segment_fixed_size: 0
    .kernarg_segment_align: 8
    .kernarg_segment_size: 152
    .language:       OpenCL C
    .language_version:
      - 2
      - 0
    .max_flat_workgroup_size: 256
    .name:           _ZN7rocprim17ROCPRIM_400000_NS6detail17trampoline_kernelINS0_13select_configILj256ELj13ELNS0_17block_load_methodE3ELS4_3ELS4_3ELNS0_20block_scan_algorithmE0ELj4294967295EEENS1_25partition_config_selectorILNS1_17partition_subalgoE3EjNS0_10empty_typeEbEEZZNS1_14partition_implILS8_3ELb0ES6_jNS0_17counting_iteratorIjlEEPS9_SE_NS0_5tupleIJPjSE_EEENSF_IJSE_SE_EEES9_SG_JZNS1_25segmented_radix_sort_implINS0_14default_configELb1EPKiPiPKlPlN2at6native12_GLOBAL__N_18offset_tEEE10hipError_tPvRmT1_PNSt15iterator_traitsISY_E10value_typeET2_T3_PNSZ_IS14_E10value_typeET4_jRbjT5_S1A_jjP12ihipStream_tbEUljE_EEESV_SW_SX_S14_S18_S1A_T6_T7_T9_mT8_S1C_bDpT10_ENKUlT_T0_E_clISt17integral_constantIbLb0EES1O_IbLb1EEEEDaS1K_S1L_EUlS1K_E_NS1_11comp_targetILNS1_3genE10ELNS1_11target_archE1200ELNS1_3gpuE4ELNS1_3repE0EEENS1_30default_config_static_selectorELNS0_4arch9wavefront6targetE0EEEvSY_
    .private_segment_fixed_size: 0
    .sgpr_count:     0
    .sgpr_spill_count: 0
    .symbol:         _ZN7rocprim17ROCPRIM_400000_NS6detail17trampoline_kernelINS0_13select_configILj256ELj13ELNS0_17block_load_methodE3ELS4_3ELS4_3ELNS0_20block_scan_algorithmE0ELj4294967295EEENS1_25partition_config_selectorILNS1_17partition_subalgoE3EjNS0_10empty_typeEbEEZZNS1_14partition_implILS8_3ELb0ES6_jNS0_17counting_iteratorIjlEEPS9_SE_NS0_5tupleIJPjSE_EEENSF_IJSE_SE_EEES9_SG_JZNS1_25segmented_radix_sort_implINS0_14default_configELb1EPKiPiPKlPlN2at6native12_GLOBAL__N_18offset_tEEE10hipError_tPvRmT1_PNSt15iterator_traitsISY_E10value_typeET2_T3_PNSZ_IS14_E10value_typeET4_jRbjT5_S1A_jjP12ihipStream_tbEUljE_EEESV_SW_SX_S14_S18_S1A_T6_T7_T9_mT8_S1C_bDpT10_ENKUlT_T0_E_clISt17integral_constantIbLb0EES1O_IbLb1EEEEDaS1K_S1L_EUlS1K_E_NS1_11comp_targetILNS1_3genE10ELNS1_11target_archE1200ELNS1_3gpuE4ELNS1_3repE0EEENS1_30default_config_static_selectorELNS0_4arch9wavefront6targetE0EEEvSY_.kd
    .uniform_work_group_size: 1
    .uses_dynamic_stack: false
    .vgpr_count:     0
    .vgpr_spill_count: 0
    .wavefront_size: 32
  - .args:
      - .offset:         0
        .size:           152
        .value_kind:     by_value
    .group_segment_fixed_size: 0
    .kernarg_segment_align: 8
    .kernarg_segment_size: 152
    .language:       OpenCL C
    .language_version:
      - 2
      - 0
    .max_flat_workgroup_size: 256
    .name:           _ZN7rocprim17ROCPRIM_400000_NS6detail17trampoline_kernelINS0_13select_configILj256ELj13ELNS0_17block_load_methodE3ELS4_3ELS4_3ELNS0_20block_scan_algorithmE0ELj4294967295EEENS1_25partition_config_selectorILNS1_17partition_subalgoE3EjNS0_10empty_typeEbEEZZNS1_14partition_implILS8_3ELb0ES6_jNS0_17counting_iteratorIjlEEPS9_SE_NS0_5tupleIJPjSE_EEENSF_IJSE_SE_EEES9_SG_JZNS1_25segmented_radix_sort_implINS0_14default_configELb1EPKiPiPKlPlN2at6native12_GLOBAL__N_18offset_tEEE10hipError_tPvRmT1_PNSt15iterator_traitsISY_E10value_typeET2_T3_PNSZ_IS14_E10value_typeET4_jRbjT5_S1A_jjP12ihipStream_tbEUljE_EEESV_SW_SX_S14_S18_S1A_T6_T7_T9_mT8_S1C_bDpT10_ENKUlT_T0_E_clISt17integral_constantIbLb0EES1O_IbLb1EEEEDaS1K_S1L_EUlS1K_E_NS1_11comp_targetILNS1_3genE9ELNS1_11target_archE1100ELNS1_3gpuE3ELNS1_3repE0EEENS1_30default_config_static_selectorELNS0_4arch9wavefront6targetE0EEEvSY_
    .private_segment_fixed_size: 0
    .sgpr_count:     0
    .sgpr_spill_count: 0
    .symbol:         _ZN7rocprim17ROCPRIM_400000_NS6detail17trampoline_kernelINS0_13select_configILj256ELj13ELNS0_17block_load_methodE3ELS4_3ELS4_3ELNS0_20block_scan_algorithmE0ELj4294967295EEENS1_25partition_config_selectorILNS1_17partition_subalgoE3EjNS0_10empty_typeEbEEZZNS1_14partition_implILS8_3ELb0ES6_jNS0_17counting_iteratorIjlEEPS9_SE_NS0_5tupleIJPjSE_EEENSF_IJSE_SE_EEES9_SG_JZNS1_25segmented_radix_sort_implINS0_14default_configELb1EPKiPiPKlPlN2at6native12_GLOBAL__N_18offset_tEEE10hipError_tPvRmT1_PNSt15iterator_traitsISY_E10value_typeET2_T3_PNSZ_IS14_E10value_typeET4_jRbjT5_S1A_jjP12ihipStream_tbEUljE_EEESV_SW_SX_S14_S18_S1A_T6_T7_T9_mT8_S1C_bDpT10_ENKUlT_T0_E_clISt17integral_constantIbLb0EES1O_IbLb1EEEEDaS1K_S1L_EUlS1K_E_NS1_11comp_targetILNS1_3genE9ELNS1_11target_archE1100ELNS1_3gpuE3ELNS1_3repE0EEENS1_30default_config_static_selectorELNS0_4arch9wavefront6targetE0EEEvSY_.kd
    .uniform_work_group_size: 1
    .uses_dynamic_stack: false
    .vgpr_count:     0
    .vgpr_spill_count: 0
    .wavefront_size: 32
  - .args:
      - .offset:         0
        .size:           152
        .value_kind:     by_value
    .group_segment_fixed_size: 0
    .kernarg_segment_align: 8
    .kernarg_segment_size: 152
    .language:       OpenCL C
    .language_version:
      - 2
      - 0
    .max_flat_workgroup_size: 256
    .name:           _ZN7rocprim17ROCPRIM_400000_NS6detail17trampoline_kernelINS0_13select_configILj256ELj13ELNS0_17block_load_methodE3ELS4_3ELS4_3ELNS0_20block_scan_algorithmE0ELj4294967295EEENS1_25partition_config_selectorILNS1_17partition_subalgoE3EjNS0_10empty_typeEbEEZZNS1_14partition_implILS8_3ELb0ES6_jNS0_17counting_iteratorIjlEEPS9_SE_NS0_5tupleIJPjSE_EEENSF_IJSE_SE_EEES9_SG_JZNS1_25segmented_radix_sort_implINS0_14default_configELb1EPKiPiPKlPlN2at6native12_GLOBAL__N_18offset_tEEE10hipError_tPvRmT1_PNSt15iterator_traitsISY_E10value_typeET2_T3_PNSZ_IS14_E10value_typeET4_jRbjT5_S1A_jjP12ihipStream_tbEUljE_EEESV_SW_SX_S14_S18_S1A_T6_T7_T9_mT8_S1C_bDpT10_ENKUlT_T0_E_clISt17integral_constantIbLb0EES1O_IbLb1EEEEDaS1K_S1L_EUlS1K_E_NS1_11comp_targetILNS1_3genE8ELNS1_11target_archE1030ELNS1_3gpuE2ELNS1_3repE0EEENS1_30default_config_static_selectorELNS0_4arch9wavefront6targetE0EEEvSY_
    .private_segment_fixed_size: 0
    .sgpr_count:     0
    .sgpr_spill_count: 0
    .symbol:         _ZN7rocprim17ROCPRIM_400000_NS6detail17trampoline_kernelINS0_13select_configILj256ELj13ELNS0_17block_load_methodE3ELS4_3ELS4_3ELNS0_20block_scan_algorithmE0ELj4294967295EEENS1_25partition_config_selectorILNS1_17partition_subalgoE3EjNS0_10empty_typeEbEEZZNS1_14partition_implILS8_3ELb0ES6_jNS0_17counting_iteratorIjlEEPS9_SE_NS0_5tupleIJPjSE_EEENSF_IJSE_SE_EEES9_SG_JZNS1_25segmented_radix_sort_implINS0_14default_configELb1EPKiPiPKlPlN2at6native12_GLOBAL__N_18offset_tEEE10hipError_tPvRmT1_PNSt15iterator_traitsISY_E10value_typeET2_T3_PNSZ_IS14_E10value_typeET4_jRbjT5_S1A_jjP12ihipStream_tbEUljE_EEESV_SW_SX_S14_S18_S1A_T6_T7_T9_mT8_S1C_bDpT10_ENKUlT_T0_E_clISt17integral_constantIbLb0EES1O_IbLb1EEEEDaS1K_S1L_EUlS1K_E_NS1_11comp_targetILNS1_3genE8ELNS1_11target_archE1030ELNS1_3gpuE2ELNS1_3repE0EEENS1_30default_config_static_selectorELNS0_4arch9wavefront6targetE0EEEvSY_.kd
    .uniform_work_group_size: 1
    .uses_dynamic_stack: false
    .vgpr_count:     0
    .vgpr_spill_count: 0
    .wavefront_size: 32
  - .args:
      - .offset:         0
        .size:           96
        .value_kind:     by_value
      - .offset:         96
        .size:           4
        .value_kind:     hidden_block_count_x
      - .offset:         100
        .size:           4
        .value_kind:     hidden_block_count_y
      - .offset:         104
        .size:           4
        .value_kind:     hidden_block_count_z
      - .offset:         108
        .size:           2
        .value_kind:     hidden_group_size_x
      - .offset:         110
        .size:           2
        .value_kind:     hidden_group_size_y
      - .offset:         112
        .size:           2
        .value_kind:     hidden_group_size_z
      - .offset:         114
        .size:           2
        .value_kind:     hidden_remainder_x
      - .offset:         116
        .size:           2
        .value_kind:     hidden_remainder_y
      - .offset:         118
        .size:           2
        .value_kind:     hidden_remainder_z
      - .offset:         136
        .size:           8
        .value_kind:     hidden_global_offset_x
      - .offset:         144
        .size:           8
        .value_kind:     hidden_global_offset_y
      - .offset:         152
        .size:           8
        .value_kind:     hidden_global_offset_z
      - .offset:         160
        .size:           2
        .value_kind:     hidden_grid_dims
      - .offset:         176
        .size:           8
        .value_kind:     hidden_hostcall_buffer
      - .offset:         184
        .size:           8
        .value_kind:     hidden_multigrid_sync_arg
      - .offset:         192
        .size:           8
        .value_kind:     hidden_heap_v1
      - .offset:         200
        .size:           8
        .value_kind:     hidden_default_queue
      - .offset:         208
        .size:           8
        .value_kind:     hidden_completion_action
      - .offset:         296
        .size:           8
        .value_kind:     hidden_queue_ptr
    .group_segment_fixed_size: 33824
    .kernarg_segment_align: 8
    .kernarg_segment_size: 352
    .language:       OpenCL C
    .language_version:
      - 2
      - 0
    .max_flat_workgroup_size: 256
    .name:           _ZN7rocprim17ROCPRIM_400000_NS6detail17trampoline_kernelINS0_14default_configENS1_36segmented_radix_sort_config_selectorIilEEZNS1_25segmented_radix_sort_implIS3_Lb1EPKiPiPKlPlN2at6native12_GLOBAL__N_18offset_tEEE10hipError_tPvRmT1_PNSt15iterator_traitsISK_E10value_typeET2_T3_PNSL_ISQ_E10value_typeET4_jRbjT5_SW_jjP12ihipStream_tbEUlT_E_NS1_11comp_targetILNS1_3genE0ELNS1_11target_archE4294967295ELNS1_3gpuE0ELNS1_3repE0EEENS1_30default_config_static_selectorELNS0_4arch9wavefront6targetE0EEEvSK_
    .private_segment_fixed_size: 0
    .sgpr_count:     60
    .sgpr_spill_count: 0
    .symbol:         _ZN7rocprim17ROCPRIM_400000_NS6detail17trampoline_kernelINS0_14default_configENS1_36segmented_radix_sort_config_selectorIilEEZNS1_25segmented_radix_sort_implIS3_Lb1EPKiPiPKlPlN2at6native12_GLOBAL__N_18offset_tEEE10hipError_tPvRmT1_PNSt15iterator_traitsISK_E10value_typeET2_T3_PNSL_ISQ_E10value_typeET4_jRbjT5_SW_jjP12ihipStream_tbEUlT_E_NS1_11comp_targetILNS1_3genE0ELNS1_11target_archE4294967295ELNS1_3gpuE0ELNS1_3repE0EEENS1_30default_config_static_selectorELNS0_4arch9wavefront6targetE0EEEvSK_.kd
    .uniform_work_group_size: 1
    .uses_dynamic_stack: false
    .vgpr_count:     287
    .vgpr_spill_count: 0
    .wavefront_size: 32
  - .args:
      - .offset:         0
        .size:           96
        .value_kind:     by_value
    .group_segment_fixed_size: 0
    .kernarg_segment_align: 8
    .kernarg_segment_size: 96
    .language:       OpenCL C
    .language_version:
      - 2
      - 0
    .max_flat_workgroup_size: 256
    .name:           _ZN7rocprim17ROCPRIM_400000_NS6detail17trampoline_kernelINS0_14default_configENS1_36segmented_radix_sort_config_selectorIilEEZNS1_25segmented_radix_sort_implIS3_Lb1EPKiPiPKlPlN2at6native12_GLOBAL__N_18offset_tEEE10hipError_tPvRmT1_PNSt15iterator_traitsISK_E10value_typeET2_T3_PNSL_ISQ_E10value_typeET4_jRbjT5_SW_jjP12ihipStream_tbEUlT_E_NS1_11comp_targetILNS1_3genE5ELNS1_11target_archE942ELNS1_3gpuE9ELNS1_3repE0EEENS1_30default_config_static_selectorELNS0_4arch9wavefront6targetE0EEEvSK_
    .private_segment_fixed_size: 0
    .sgpr_count:     0
    .sgpr_spill_count: 0
    .symbol:         _ZN7rocprim17ROCPRIM_400000_NS6detail17trampoline_kernelINS0_14default_configENS1_36segmented_radix_sort_config_selectorIilEEZNS1_25segmented_radix_sort_implIS3_Lb1EPKiPiPKlPlN2at6native12_GLOBAL__N_18offset_tEEE10hipError_tPvRmT1_PNSt15iterator_traitsISK_E10value_typeET2_T3_PNSL_ISQ_E10value_typeET4_jRbjT5_SW_jjP12ihipStream_tbEUlT_E_NS1_11comp_targetILNS1_3genE5ELNS1_11target_archE942ELNS1_3gpuE9ELNS1_3repE0EEENS1_30default_config_static_selectorELNS0_4arch9wavefront6targetE0EEEvSK_.kd
    .uniform_work_group_size: 1
    .uses_dynamic_stack: false
    .vgpr_count:     0
    .vgpr_spill_count: 0
    .wavefront_size: 32
  - .args:
      - .offset:         0
        .size:           96
        .value_kind:     by_value
    .group_segment_fixed_size: 0
    .kernarg_segment_align: 8
    .kernarg_segment_size: 96
    .language:       OpenCL C
    .language_version:
      - 2
      - 0
    .max_flat_workgroup_size: 256
    .name:           _ZN7rocprim17ROCPRIM_400000_NS6detail17trampoline_kernelINS0_14default_configENS1_36segmented_radix_sort_config_selectorIilEEZNS1_25segmented_radix_sort_implIS3_Lb1EPKiPiPKlPlN2at6native12_GLOBAL__N_18offset_tEEE10hipError_tPvRmT1_PNSt15iterator_traitsISK_E10value_typeET2_T3_PNSL_ISQ_E10value_typeET4_jRbjT5_SW_jjP12ihipStream_tbEUlT_E_NS1_11comp_targetILNS1_3genE4ELNS1_11target_archE910ELNS1_3gpuE8ELNS1_3repE0EEENS1_30default_config_static_selectorELNS0_4arch9wavefront6targetE0EEEvSK_
    .private_segment_fixed_size: 0
    .sgpr_count:     0
    .sgpr_spill_count: 0
    .symbol:         _ZN7rocprim17ROCPRIM_400000_NS6detail17trampoline_kernelINS0_14default_configENS1_36segmented_radix_sort_config_selectorIilEEZNS1_25segmented_radix_sort_implIS3_Lb1EPKiPiPKlPlN2at6native12_GLOBAL__N_18offset_tEEE10hipError_tPvRmT1_PNSt15iterator_traitsISK_E10value_typeET2_T3_PNSL_ISQ_E10value_typeET4_jRbjT5_SW_jjP12ihipStream_tbEUlT_E_NS1_11comp_targetILNS1_3genE4ELNS1_11target_archE910ELNS1_3gpuE8ELNS1_3repE0EEENS1_30default_config_static_selectorELNS0_4arch9wavefront6targetE0EEEvSK_.kd
    .uniform_work_group_size: 1
    .uses_dynamic_stack: false
    .vgpr_count:     0
    .vgpr_spill_count: 0
    .wavefront_size: 32
  - .args:
      - .offset:         0
        .size:           96
        .value_kind:     by_value
    .group_segment_fixed_size: 0
    .kernarg_segment_align: 8
    .kernarg_segment_size: 96
    .language:       OpenCL C
    .language_version:
      - 2
      - 0
    .max_flat_workgroup_size: 256
    .name:           _ZN7rocprim17ROCPRIM_400000_NS6detail17trampoline_kernelINS0_14default_configENS1_36segmented_radix_sort_config_selectorIilEEZNS1_25segmented_radix_sort_implIS3_Lb1EPKiPiPKlPlN2at6native12_GLOBAL__N_18offset_tEEE10hipError_tPvRmT1_PNSt15iterator_traitsISK_E10value_typeET2_T3_PNSL_ISQ_E10value_typeET4_jRbjT5_SW_jjP12ihipStream_tbEUlT_E_NS1_11comp_targetILNS1_3genE3ELNS1_11target_archE908ELNS1_3gpuE7ELNS1_3repE0EEENS1_30default_config_static_selectorELNS0_4arch9wavefront6targetE0EEEvSK_
    .private_segment_fixed_size: 0
    .sgpr_count:     0
    .sgpr_spill_count: 0
    .symbol:         _ZN7rocprim17ROCPRIM_400000_NS6detail17trampoline_kernelINS0_14default_configENS1_36segmented_radix_sort_config_selectorIilEEZNS1_25segmented_radix_sort_implIS3_Lb1EPKiPiPKlPlN2at6native12_GLOBAL__N_18offset_tEEE10hipError_tPvRmT1_PNSt15iterator_traitsISK_E10value_typeET2_T3_PNSL_ISQ_E10value_typeET4_jRbjT5_SW_jjP12ihipStream_tbEUlT_E_NS1_11comp_targetILNS1_3genE3ELNS1_11target_archE908ELNS1_3gpuE7ELNS1_3repE0EEENS1_30default_config_static_selectorELNS0_4arch9wavefront6targetE0EEEvSK_.kd
    .uniform_work_group_size: 1
    .uses_dynamic_stack: false
    .vgpr_count:     0
    .vgpr_spill_count: 0
    .wavefront_size: 32
  - .args:
      - .offset:         0
        .size:           96
        .value_kind:     by_value
    .group_segment_fixed_size: 0
    .kernarg_segment_align: 8
    .kernarg_segment_size: 96
    .language:       OpenCL C
    .language_version:
      - 2
      - 0
    .max_flat_workgroup_size: 256
    .name:           _ZN7rocprim17ROCPRIM_400000_NS6detail17trampoline_kernelINS0_14default_configENS1_36segmented_radix_sort_config_selectorIilEEZNS1_25segmented_radix_sort_implIS3_Lb1EPKiPiPKlPlN2at6native12_GLOBAL__N_18offset_tEEE10hipError_tPvRmT1_PNSt15iterator_traitsISK_E10value_typeET2_T3_PNSL_ISQ_E10value_typeET4_jRbjT5_SW_jjP12ihipStream_tbEUlT_E_NS1_11comp_targetILNS1_3genE2ELNS1_11target_archE906ELNS1_3gpuE6ELNS1_3repE0EEENS1_30default_config_static_selectorELNS0_4arch9wavefront6targetE0EEEvSK_
    .private_segment_fixed_size: 0
    .sgpr_count:     0
    .sgpr_spill_count: 0
    .symbol:         _ZN7rocprim17ROCPRIM_400000_NS6detail17trampoline_kernelINS0_14default_configENS1_36segmented_radix_sort_config_selectorIilEEZNS1_25segmented_radix_sort_implIS3_Lb1EPKiPiPKlPlN2at6native12_GLOBAL__N_18offset_tEEE10hipError_tPvRmT1_PNSt15iterator_traitsISK_E10value_typeET2_T3_PNSL_ISQ_E10value_typeET4_jRbjT5_SW_jjP12ihipStream_tbEUlT_E_NS1_11comp_targetILNS1_3genE2ELNS1_11target_archE906ELNS1_3gpuE6ELNS1_3repE0EEENS1_30default_config_static_selectorELNS0_4arch9wavefront6targetE0EEEvSK_.kd
    .uniform_work_group_size: 1
    .uses_dynamic_stack: false
    .vgpr_count:     0
    .vgpr_spill_count: 0
    .wavefront_size: 32
  - .args:
      - .offset:         0
        .size:           96
        .value_kind:     by_value
    .group_segment_fixed_size: 0
    .kernarg_segment_align: 8
    .kernarg_segment_size: 96
    .language:       OpenCL C
    .language_version:
      - 2
      - 0
    .max_flat_workgroup_size: 256
    .name:           _ZN7rocprim17ROCPRIM_400000_NS6detail17trampoline_kernelINS0_14default_configENS1_36segmented_radix_sort_config_selectorIilEEZNS1_25segmented_radix_sort_implIS3_Lb1EPKiPiPKlPlN2at6native12_GLOBAL__N_18offset_tEEE10hipError_tPvRmT1_PNSt15iterator_traitsISK_E10value_typeET2_T3_PNSL_ISQ_E10value_typeET4_jRbjT5_SW_jjP12ihipStream_tbEUlT_E_NS1_11comp_targetILNS1_3genE10ELNS1_11target_archE1201ELNS1_3gpuE5ELNS1_3repE0EEENS1_30default_config_static_selectorELNS0_4arch9wavefront6targetE0EEEvSK_
    .private_segment_fixed_size: 0
    .sgpr_count:     0
    .sgpr_spill_count: 0
    .symbol:         _ZN7rocprim17ROCPRIM_400000_NS6detail17trampoline_kernelINS0_14default_configENS1_36segmented_radix_sort_config_selectorIilEEZNS1_25segmented_radix_sort_implIS3_Lb1EPKiPiPKlPlN2at6native12_GLOBAL__N_18offset_tEEE10hipError_tPvRmT1_PNSt15iterator_traitsISK_E10value_typeET2_T3_PNSL_ISQ_E10value_typeET4_jRbjT5_SW_jjP12ihipStream_tbEUlT_E_NS1_11comp_targetILNS1_3genE10ELNS1_11target_archE1201ELNS1_3gpuE5ELNS1_3repE0EEENS1_30default_config_static_selectorELNS0_4arch9wavefront6targetE0EEEvSK_.kd
    .uniform_work_group_size: 1
    .uses_dynamic_stack: false
    .vgpr_count:     0
    .vgpr_spill_count: 0
    .wavefront_size: 32
  - .args:
      - .offset:         0
        .size:           96
        .value_kind:     by_value
    .group_segment_fixed_size: 0
    .kernarg_segment_align: 8
    .kernarg_segment_size: 96
    .language:       OpenCL C
    .language_version:
      - 2
      - 0
    .max_flat_workgroup_size: 128
    .name:           _ZN7rocprim17ROCPRIM_400000_NS6detail17trampoline_kernelINS0_14default_configENS1_36segmented_radix_sort_config_selectorIilEEZNS1_25segmented_radix_sort_implIS3_Lb1EPKiPiPKlPlN2at6native12_GLOBAL__N_18offset_tEEE10hipError_tPvRmT1_PNSt15iterator_traitsISK_E10value_typeET2_T3_PNSL_ISQ_E10value_typeET4_jRbjT5_SW_jjP12ihipStream_tbEUlT_E_NS1_11comp_targetILNS1_3genE10ELNS1_11target_archE1200ELNS1_3gpuE4ELNS1_3repE0EEENS1_30default_config_static_selectorELNS0_4arch9wavefront6targetE0EEEvSK_
    .private_segment_fixed_size: 0
    .sgpr_count:     0
    .sgpr_spill_count: 0
    .symbol:         _ZN7rocprim17ROCPRIM_400000_NS6detail17trampoline_kernelINS0_14default_configENS1_36segmented_radix_sort_config_selectorIilEEZNS1_25segmented_radix_sort_implIS3_Lb1EPKiPiPKlPlN2at6native12_GLOBAL__N_18offset_tEEE10hipError_tPvRmT1_PNSt15iterator_traitsISK_E10value_typeET2_T3_PNSL_ISQ_E10value_typeET4_jRbjT5_SW_jjP12ihipStream_tbEUlT_E_NS1_11comp_targetILNS1_3genE10ELNS1_11target_archE1200ELNS1_3gpuE4ELNS1_3repE0EEENS1_30default_config_static_selectorELNS0_4arch9wavefront6targetE0EEEvSK_.kd
    .uniform_work_group_size: 1
    .uses_dynamic_stack: false
    .vgpr_count:     0
    .vgpr_spill_count: 0
    .wavefront_size: 32
  - .args:
      - .offset:         0
        .size:           96
        .value_kind:     by_value
    .group_segment_fixed_size: 0
    .kernarg_segment_align: 8
    .kernarg_segment_size: 96
    .language:       OpenCL C
    .language_version:
      - 2
      - 0
    .max_flat_workgroup_size: 256
    .name:           _ZN7rocprim17ROCPRIM_400000_NS6detail17trampoline_kernelINS0_14default_configENS1_36segmented_radix_sort_config_selectorIilEEZNS1_25segmented_radix_sort_implIS3_Lb1EPKiPiPKlPlN2at6native12_GLOBAL__N_18offset_tEEE10hipError_tPvRmT1_PNSt15iterator_traitsISK_E10value_typeET2_T3_PNSL_ISQ_E10value_typeET4_jRbjT5_SW_jjP12ihipStream_tbEUlT_E_NS1_11comp_targetILNS1_3genE9ELNS1_11target_archE1100ELNS1_3gpuE3ELNS1_3repE0EEENS1_30default_config_static_selectorELNS0_4arch9wavefront6targetE0EEEvSK_
    .private_segment_fixed_size: 0
    .sgpr_count:     0
    .sgpr_spill_count: 0
    .symbol:         _ZN7rocprim17ROCPRIM_400000_NS6detail17trampoline_kernelINS0_14default_configENS1_36segmented_radix_sort_config_selectorIilEEZNS1_25segmented_radix_sort_implIS3_Lb1EPKiPiPKlPlN2at6native12_GLOBAL__N_18offset_tEEE10hipError_tPvRmT1_PNSt15iterator_traitsISK_E10value_typeET2_T3_PNSL_ISQ_E10value_typeET4_jRbjT5_SW_jjP12ihipStream_tbEUlT_E_NS1_11comp_targetILNS1_3genE9ELNS1_11target_archE1100ELNS1_3gpuE3ELNS1_3repE0EEENS1_30default_config_static_selectorELNS0_4arch9wavefront6targetE0EEEvSK_.kd
    .uniform_work_group_size: 1
    .uses_dynamic_stack: false
    .vgpr_count:     0
    .vgpr_spill_count: 0
    .wavefront_size: 32
  - .args:
      - .offset:         0
        .size:           96
        .value_kind:     by_value
    .group_segment_fixed_size: 0
    .kernarg_segment_align: 8
    .kernarg_segment_size: 96
    .language:       OpenCL C
    .language_version:
      - 2
      - 0
    .max_flat_workgroup_size: 256
    .name:           _ZN7rocprim17ROCPRIM_400000_NS6detail17trampoline_kernelINS0_14default_configENS1_36segmented_radix_sort_config_selectorIilEEZNS1_25segmented_radix_sort_implIS3_Lb1EPKiPiPKlPlN2at6native12_GLOBAL__N_18offset_tEEE10hipError_tPvRmT1_PNSt15iterator_traitsISK_E10value_typeET2_T3_PNSL_ISQ_E10value_typeET4_jRbjT5_SW_jjP12ihipStream_tbEUlT_E_NS1_11comp_targetILNS1_3genE8ELNS1_11target_archE1030ELNS1_3gpuE2ELNS1_3repE0EEENS1_30default_config_static_selectorELNS0_4arch9wavefront6targetE0EEEvSK_
    .private_segment_fixed_size: 0
    .sgpr_count:     0
    .sgpr_spill_count: 0
    .symbol:         _ZN7rocprim17ROCPRIM_400000_NS6detail17trampoline_kernelINS0_14default_configENS1_36segmented_radix_sort_config_selectorIilEEZNS1_25segmented_radix_sort_implIS3_Lb1EPKiPiPKlPlN2at6native12_GLOBAL__N_18offset_tEEE10hipError_tPvRmT1_PNSt15iterator_traitsISK_E10value_typeET2_T3_PNSL_ISQ_E10value_typeET4_jRbjT5_SW_jjP12ihipStream_tbEUlT_E_NS1_11comp_targetILNS1_3genE8ELNS1_11target_archE1030ELNS1_3gpuE2ELNS1_3repE0EEENS1_30default_config_static_selectorELNS0_4arch9wavefront6targetE0EEEvSK_.kd
    .uniform_work_group_size: 1
    .uses_dynamic_stack: false
    .vgpr_count:     0
    .vgpr_spill_count: 0
    .wavefront_size: 32
  - .args:
      - .offset:         0
        .size:           88
        .value_kind:     by_value
      - .offset:         88
        .size:           4
        .value_kind:     hidden_block_count_x
      - .offset:         92
        .size:           4
        .value_kind:     hidden_block_count_y
      - .offset:         96
        .size:           4
        .value_kind:     hidden_block_count_z
      - .offset:         100
        .size:           2
        .value_kind:     hidden_group_size_x
      - .offset:         102
        .size:           2
        .value_kind:     hidden_group_size_y
      - .offset:         104
        .size:           2
        .value_kind:     hidden_group_size_z
      - .offset:         106
        .size:           2
        .value_kind:     hidden_remainder_x
      - .offset:         108
        .size:           2
        .value_kind:     hidden_remainder_y
      - .offset:         110
        .size:           2
        .value_kind:     hidden_remainder_z
      - .offset:         128
        .size:           8
        .value_kind:     hidden_global_offset_x
      - .offset:         136
        .size:           8
        .value_kind:     hidden_global_offset_y
      - .offset:         144
        .size:           8
        .value_kind:     hidden_global_offset_z
      - .offset:         152
        .size:           2
        .value_kind:     hidden_grid_dims
      - .offset:         168
        .size:           8
        .value_kind:     hidden_hostcall_buffer
      - .offset:         176
        .size:           8
        .value_kind:     hidden_multigrid_sync_arg
      - .offset:         184
        .size:           8
        .value_kind:     hidden_heap_v1
      - .offset:         192
        .size:           8
        .value_kind:     hidden_default_queue
      - .offset:         200
        .size:           8
        .value_kind:     hidden_completion_action
      - .offset:         288
        .size:           8
        .value_kind:     hidden_queue_ptr
    .group_segment_fixed_size: 24576
    .kernarg_segment_align: 8
    .kernarg_segment_size: 344
    .language:       OpenCL C
    .language_version:
      - 2
      - 0
    .max_flat_workgroup_size: 256
    .name:           _ZN7rocprim17ROCPRIM_400000_NS6detail17trampoline_kernelINS0_14default_configENS1_36segmented_radix_sort_config_selectorIilEEZNS1_25segmented_radix_sort_implIS3_Lb1EPKiPiPKlPlN2at6native12_GLOBAL__N_18offset_tEEE10hipError_tPvRmT1_PNSt15iterator_traitsISK_E10value_typeET2_T3_PNSL_ISQ_E10value_typeET4_jRbjT5_SW_jjP12ihipStream_tbEUlT_E0_NS1_11comp_targetILNS1_3genE0ELNS1_11target_archE4294967295ELNS1_3gpuE0ELNS1_3repE0EEENS1_60segmented_radix_sort_warp_sort_medium_config_static_selectorELNS0_4arch9wavefront6targetE0EEEvSK_
    .private_segment_fixed_size: 0
    .sgpr_count:     46
    .sgpr_spill_count: 0
    .symbol:         _ZN7rocprim17ROCPRIM_400000_NS6detail17trampoline_kernelINS0_14default_configENS1_36segmented_radix_sort_config_selectorIilEEZNS1_25segmented_radix_sort_implIS3_Lb1EPKiPiPKlPlN2at6native12_GLOBAL__N_18offset_tEEE10hipError_tPvRmT1_PNSt15iterator_traitsISK_E10value_typeET2_T3_PNSL_ISQ_E10value_typeET4_jRbjT5_SW_jjP12ihipStream_tbEUlT_E0_NS1_11comp_targetILNS1_3genE0ELNS1_11target_archE4294967295ELNS1_3gpuE0ELNS1_3repE0EEENS1_60segmented_radix_sort_warp_sort_medium_config_static_selectorELNS0_4arch9wavefront6targetE0EEEvSK_.kd
    .uniform_work_group_size: 1
    .uses_dynamic_stack: false
    .vgpr_count:     72
    .vgpr_spill_count: 0
    .wavefront_size: 32
  - .args:
      - .offset:         0
        .size:           88
        .value_kind:     by_value
    .group_segment_fixed_size: 0
    .kernarg_segment_align: 8
    .kernarg_segment_size: 88
    .language:       OpenCL C
    .language_version:
      - 2
      - 0
    .max_flat_workgroup_size: 256
    .name:           _ZN7rocprim17ROCPRIM_400000_NS6detail17trampoline_kernelINS0_14default_configENS1_36segmented_radix_sort_config_selectorIilEEZNS1_25segmented_radix_sort_implIS3_Lb1EPKiPiPKlPlN2at6native12_GLOBAL__N_18offset_tEEE10hipError_tPvRmT1_PNSt15iterator_traitsISK_E10value_typeET2_T3_PNSL_ISQ_E10value_typeET4_jRbjT5_SW_jjP12ihipStream_tbEUlT_E0_NS1_11comp_targetILNS1_3genE5ELNS1_11target_archE942ELNS1_3gpuE9ELNS1_3repE0EEENS1_60segmented_radix_sort_warp_sort_medium_config_static_selectorELNS0_4arch9wavefront6targetE0EEEvSK_
    .private_segment_fixed_size: 0
    .sgpr_count:     0
    .sgpr_spill_count: 0
    .symbol:         _ZN7rocprim17ROCPRIM_400000_NS6detail17trampoline_kernelINS0_14default_configENS1_36segmented_radix_sort_config_selectorIilEEZNS1_25segmented_radix_sort_implIS3_Lb1EPKiPiPKlPlN2at6native12_GLOBAL__N_18offset_tEEE10hipError_tPvRmT1_PNSt15iterator_traitsISK_E10value_typeET2_T3_PNSL_ISQ_E10value_typeET4_jRbjT5_SW_jjP12ihipStream_tbEUlT_E0_NS1_11comp_targetILNS1_3genE5ELNS1_11target_archE942ELNS1_3gpuE9ELNS1_3repE0EEENS1_60segmented_radix_sort_warp_sort_medium_config_static_selectorELNS0_4arch9wavefront6targetE0EEEvSK_.kd
    .uniform_work_group_size: 1
    .uses_dynamic_stack: false
    .vgpr_count:     0
    .vgpr_spill_count: 0
    .wavefront_size: 32
  - .args:
      - .offset:         0
        .size:           88
        .value_kind:     by_value
    .group_segment_fixed_size: 0
    .kernarg_segment_align: 8
    .kernarg_segment_size: 88
    .language:       OpenCL C
    .language_version:
      - 2
      - 0
    .max_flat_workgroup_size: 256
    .name:           _ZN7rocprim17ROCPRIM_400000_NS6detail17trampoline_kernelINS0_14default_configENS1_36segmented_radix_sort_config_selectorIilEEZNS1_25segmented_radix_sort_implIS3_Lb1EPKiPiPKlPlN2at6native12_GLOBAL__N_18offset_tEEE10hipError_tPvRmT1_PNSt15iterator_traitsISK_E10value_typeET2_T3_PNSL_ISQ_E10value_typeET4_jRbjT5_SW_jjP12ihipStream_tbEUlT_E0_NS1_11comp_targetILNS1_3genE4ELNS1_11target_archE910ELNS1_3gpuE8ELNS1_3repE0EEENS1_60segmented_radix_sort_warp_sort_medium_config_static_selectorELNS0_4arch9wavefront6targetE0EEEvSK_
    .private_segment_fixed_size: 0
    .sgpr_count:     0
    .sgpr_spill_count: 0
    .symbol:         _ZN7rocprim17ROCPRIM_400000_NS6detail17trampoline_kernelINS0_14default_configENS1_36segmented_radix_sort_config_selectorIilEEZNS1_25segmented_radix_sort_implIS3_Lb1EPKiPiPKlPlN2at6native12_GLOBAL__N_18offset_tEEE10hipError_tPvRmT1_PNSt15iterator_traitsISK_E10value_typeET2_T3_PNSL_ISQ_E10value_typeET4_jRbjT5_SW_jjP12ihipStream_tbEUlT_E0_NS1_11comp_targetILNS1_3genE4ELNS1_11target_archE910ELNS1_3gpuE8ELNS1_3repE0EEENS1_60segmented_radix_sort_warp_sort_medium_config_static_selectorELNS0_4arch9wavefront6targetE0EEEvSK_.kd
    .uniform_work_group_size: 1
    .uses_dynamic_stack: false
    .vgpr_count:     0
    .vgpr_spill_count: 0
    .wavefront_size: 32
  - .args:
      - .offset:         0
        .size:           88
        .value_kind:     by_value
    .group_segment_fixed_size: 0
    .kernarg_segment_align: 8
    .kernarg_segment_size: 88
    .language:       OpenCL C
    .language_version:
      - 2
      - 0
    .max_flat_workgroup_size: 256
    .name:           _ZN7rocprim17ROCPRIM_400000_NS6detail17trampoline_kernelINS0_14default_configENS1_36segmented_radix_sort_config_selectorIilEEZNS1_25segmented_radix_sort_implIS3_Lb1EPKiPiPKlPlN2at6native12_GLOBAL__N_18offset_tEEE10hipError_tPvRmT1_PNSt15iterator_traitsISK_E10value_typeET2_T3_PNSL_ISQ_E10value_typeET4_jRbjT5_SW_jjP12ihipStream_tbEUlT_E0_NS1_11comp_targetILNS1_3genE3ELNS1_11target_archE908ELNS1_3gpuE7ELNS1_3repE0EEENS1_60segmented_radix_sort_warp_sort_medium_config_static_selectorELNS0_4arch9wavefront6targetE0EEEvSK_
    .private_segment_fixed_size: 0
    .sgpr_count:     0
    .sgpr_spill_count: 0
    .symbol:         _ZN7rocprim17ROCPRIM_400000_NS6detail17trampoline_kernelINS0_14default_configENS1_36segmented_radix_sort_config_selectorIilEEZNS1_25segmented_radix_sort_implIS3_Lb1EPKiPiPKlPlN2at6native12_GLOBAL__N_18offset_tEEE10hipError_tPvRmT1_PNSt15iterator_traitsISK_E10value_typeET2_T3_PNSL_ISQ_E10value_typeET4_jRbjT5_SW_jjP12ihipStream_tbEUlT_E0_NS1_11comp_targetILNS1_3genE3ELNS1_11target_archE908ELNS1_3gpuE7ELNS1_3repE0EEENS1_60segmented_radix_sort_warp_sort_medium_config_static_selectorELNS0_4arch9wavefront6targetE0EEEvSK_.kd
    .uniform_work_group_size: 1
    .uses_dynamic_stack: false
    .vgpr_count:     0
    .vgpr_spill_count: 0
    .wavefront_size: 32
  - .args:
      - .offset:         0
        .size:           88
        .value_kind:     by_value
    .group_segment_fixed_size: 0
    .kernarg_segment_align: 8
    .kernarg_segment_size: 88
    .language:       OpenCL C
    .language_version:
      - 2
      - 0
    .max_flat_workgroup_size: 256
    .name:           _ZN7rocprim17ROCPRIM_400000_NS6detail17trampoline_kernelINS0_14default_configENS1_36segmented_radix_sort_config_selectorIilEEZNS1_25segmented_radix_sort_implIS3_Lb1EPKiPiPKlPlN2at6native12_GLOBAL__N_18offset_tEEE10hipError_tPvRmT1_PNSt15iterator_traitsISK_E10value_typeET2_T3_PNSL_ISQ_E10value_typeET4_jRbjT5_SW_jjP12ihipStream_tbEUlT_E0_NS1_11comp_targetILNS1_3genE2ELNS1_11target_archE906ELNS1_3gpuE6ELNS1_3repE0EEENS1_60segmented_radix_sort_warp_sort_medium_config_static_selectorELNS0_4arch9wavefront6targetE0EEEvSK_
    .private_segment_fixed_size: 0
    .sgpr_count:     0
    .sgpr_spill_count: 0
    .symbol:         _ZN7rocprim17ROCPRIM_400000_NS6detail17trampoline_kernelINS0_14default_configENS1_36segmented_radix_sort_config_selectorIilEEZNS1_25segmented_radix_sort_implIS3_Lb1EPKiPiPKlPlN2at6native12_GLOBAL__N_18offset_tEEE10hipError_tPvRmT1_PNSt15iterator_traitsISK_E10value_typeET2_T3_PNSL_ISQ_E10value_typeET4_jRbjT5_SW_jjP12ihipStream_tbEUlT_E0_NS1_11comp_targetILNS1_3genE2ELNS1_11target_archE906ELNS1_3gpuE6ELNS1_3repE0EEENS1_60segmented_radix_sort_warp_sort_medium_config_static_selectorELNS0_4arch9wavefront6targetE0EEEvSK_.kd
    .uniform_work_group_size: 1
    .uses_dynamic_stack: false
    .vgpr_count:     0
    .vgpr_spill_count: 0
    .wavefront_size: 32
  - .args:
      - .offset:         0
        .size:           88
        .value_kind:     by_value
    .group_segment_fixed_size: 0
    .kernarg_segment_align: 8
    .kernarg_segment_size: 88
    .language:       OpenCL C
    .language_version:
      - 2
      - 0
    .max_flat_workgroup_size: 256
    .name:           _ZN7rocprim17ROCPRIM_400000_NS6detail17trampoline_kernelINS0_14default_configENS1_36segmented_radix_sort_config_selectorIilEEZNS1_25segmented_radix_sort_implIS3_Lb1EPKiPiPKlPlN2at6native12_GLOBAL__N_18offset_tEEE10hipError_tPvRmT1_PNSt15iterator_traitsISK_E10value_typeET2_T3_PNSL_ISQ_E10value_typeET4_jRbjT5_SW_jjP12ihipStream_tbEUlT_E0_NS1_11comp_targetILNS1_3genE10ELNS1_11target_archE1201ELNS1_3gpuE5ELNS1_3repE0EEENS1_60segmented_radix_sort_warp_sort_medium_config_static_selectorELNS0_4arch9wavefront6targetE0EEEvSK_
    .private_segment_fixed_size: 0
    .sgpr_count:     0
    .sgpr_spill_count: 0
    .symbol:         _ZN7rocprim17ROCPRIM_400000_NS6detail17trampoline_kernelINS0_14default_configENS1_36segmented_radix_sort_config_selectorIilEEZNS1_25segmented_radix_sort_implIS3_Lb1EPKiPiPKlPlN2at6native12_GLOBAL__N_18offset_tEEE10hipError_tPvRmT1_PNSt15iterator_traitsISK_E10value_typeET2_T3_PNSL_ISQ_E10value_typeET4_jRbjT5_SW_jjP12ihipStream_tbEUlT_E0_NS1_11comp_targetILNS1_3genE10ELNS1_11target_archE1201ELNS1_3gpuE5ELNS1_3repE0EEENS1_60segmented_radix_sort_warp_sort_medium_config_static_selectorELNS0_4arch9wavefront6targetE0EEEvSK_.kd
    .uniform_work_group_size: 1
    .uses_dynamic_stack: false
    .vgpr_count:     0
    .vgpr_spill_count: 0
    .wavefront_size: 32
  - .args:
      - .offset:         0
        .size:           88
        .value_kind:     by_value
    .group_segment_fixed_size: 0
    .kernarg_segment_align: 8
    .kernarg_segment_size: 88
    .language:       OpenCL C
    .language_version:
      - 2
      - 0
    .max_flat_workgroup_size: 256
    .name:           _ZN7rocprim17ROCPRIM_400000_NS6detail17trampoline_kernelINS0_14default_configENS1_36segmented_radix_sort_config_selectorIilEEZNS1_25segmented_radix_sort_implIS3_Lb1EPKiPiPKlPlN2at6native12_GLOBAL__N_18offset_tEEE10hipError_tPvRmT1_PNSt15iterator_traitsISK_E10value_typeET2_T3_PNSL_ISQ_E10value_typeET4_jRbjT5_SW_jjP12ihipStream_tbEUlT_E0_NS1_11comp_targetILNS1_3genE10ELNS1_11target_archE1200ELNS1_3gpuE4ELNS1_3repE0EEENS1_60segmented_radix_sort_warp_sort_medium_config_static_selectorELNS0_4arch9wavefront6targetE0EEEvSK_
    .private_segment_fixed_size: 0
    .sgpr_count:     0
    .sgpr_spill_count: 0
    .symbol:         _ZN7rocprim17ROCPRIM_400000_NS6detail17trampoline_kernelINS0_14default_configENS1_36segmented_radix_sort_config_selectorIilEEZNS1_25segmented_radix_sort_implIS3_Lb1EPKiPiPKlPlN2at6native12_GLOBAL__N_18offset_tEEE10hipError_tPvRmT1_PNSt15iterator_traitsISK_E10value_typeET2_T3_PNSL_ISQ_E10value_typeET4_jRbjT5_SW_jjP12ihipStream_tbEUlT_E0_NS1_11comp_targetILNS1_3genE10ELNS1_11target_archE1200ELNS1_3gpuE4ELNS1_3repE0EEENS1_60segmented_radix_sort_warp_sort_medium_config_static_selectorELNS0_4arch9wavefront6targetE0EEEvSK_.kd
    .uniform_work_group_size: 1
    .uses_dynamic_stack: false
    .vgpr_count:     0
    .vgpr_spill_count: 0
    .wavefront_size: 32
  - .args:
      - .offset:         0
        .size:           88
        .value_kind:     by_value
    .group_segment_fixed_size: 0
    .kernarg_segment_align: 8
    .kernarg_segment_size: 88
    .language:       OpenCL C
    .language_version:
      - 2
      - 0
    .max_flat_workgroup_size: 256
    .name:           _ZN7rocprim17ROCPRIM_400000_NS6detail17trampoline_kernelINS0_14default_configENS1_36segmented_radix_sort_config_selectorIilEEZNS1_25segmented_radix_sort_implIS3_Lb1EPKiPiPKlPlN2at6native12_GLOBAL__N_18offset_tEEE10hipError_tPvRmT1_PNSt15iterator_traitsISK_E10value_typeET2_T3_PNSL_ISQ_E10value_typeET4_jRbjT5_SW_jjP12ihipStream_tbEUlT_E0_NS1_11comp_targetILNS1_3genE9ELNS1_11target_archE1100ELNS1_3gpuE3ELNS1_3repE0EEENS1_60segmented_radix_sort_warp_sort_medium_config_static_selectorELNS0_4arch9wavefront6targetE0EEEvSK_
    .private_segment_fixed_size: 0
    .sgpr_count:     0
    .sgpr_spill_count: 0
    .symbol:         _ZN7rocprim17ROCPRIM_400000_NS6detail17trampoline_kernelINS0_14default_configENS1_36segmented_radix_sort_config_selectorIilEEZNS1_25segmented_radix_sort_implIS3_Lb1EPKiPiPKlPlN2at6native12_GLOBAL__N_18offset_tEEE10hipError_tPvRmT1_PNSt15iterator_traitsISK_E10value_typeET2_T3_PNSL_ISQ_E10value_typeET4_jRbjT5_SW_jjP12ihipStream_tbEUlT_E0_NS1_11comp_targetILNS1_3genE9ELNS1_11target_archE1100ELNS1_3gpuE3ELNS1_3repE0EEENS1_60segmented_radix_sort_warp_sort_medium_config_static_selectorELNS0_4arch9wavefront6targetE0EEEvSK_.kd
    .uniform_work_group_size: 1
    .uses_dynamic_stack: false
    .vgpr_count:     0
    .vgpr_spill_count: 0
    .wavefront_size: 32
  - .args:
      - .offset:         0
        .size:           88
        .value_kind:     by_value
    .group_segment_fixed_size: 0
    .kernarg_segment_align: 8
    .kernarg_segment_size: 88
    .language:       OpenCL C
    .language_version:
      - 2
      - 0
    .max_flat_workgroup_size: 256
    .name:           _ZN7rocprim17ROCPRIM_400000_NS6detail17trampoline_kernelINS0_14default_configENS1_36segmented_radix_sort_config_selectorIilEEZNS1_25segmented_radix_sort_implIS3_Lb1EPKiPiPKlPlN2at6native12_GLOBAL__N_18offset_tEEE10hipError_tPvRmT1_PNSt15iterator_traitsISK_E10value_typeET2_T3_PNSL_ISQ_E10value_typeET4_jRbjT5_SW_jjP12ihipStream_tbEUlT_E0_NS1_11comp_targetILNS1_3genE8ELNS1_11target_archE1030ELNS1_3gpuE2ELNS1_3repE0EEENS1_60segmented_radix_sort_warp_sort_medium_config_static_selectorELNS0_4arch9wavefront6targetE0EEEvSK_
    .private_segment_fixed_size: 0
    .sgpr_count:     0
    .sgpr_spill_count: 0
    .symbol:         _ZN7rocprim17ROCPRIM_400000_NS6detail17trampoline_kernelINS0_14default_configENS1_36segmented_radix_sort_config_selectorIilEEZNS1_25segmented_radix_sort_implIS3_Lb1EPKiPiPKlPlN2at6native12_GLOBAL__N_18offset_tEEE10hipError_tPvRmT1_PNSt15iterator_traitsISK_E10value_typeET2_T3_PNSL_ISQ_E10value_typeET4_jRbjT5_SW_jjP12ihipStream_tbEUlT_E0_NS1_11comp_targetILNS1_3genE8ELNS1_11target_archE1030ELNS1_3gpuE2ELNS1_3repE0EEENS1_60segmented_radix_sort_warp_sort_medium_config_static_selectorELNS0_4arch9wavefront6targetE0EEEvSK_.kd
    .uniform_work_group_size: 1
    .uses_dynamic_stack: false
    .vgpr_count:     0
    .vgpr_spill_count: 0
    .wavefront_size: 32
  - .args:
      - .offset:         0
        .size:           88
        .value_kind:     by_value
      - .offset:         88
        .size:           4
        .value_kind:     hidden_block_count_x
      - .offset:         92
        .size:           4
        .value_kind:     hidden_block_count_y
      - .offset:         96
        .size:           4
        .value_kind:     hidden_block_count_z
      - .offset:         100
        .size:           2
        .value_kind:     hidden_group_size_x
      - .offset:         102
        .size:           2
        .value_kind:     hidden_group_size_y
      - .offset:         104
        .size:           2
        .value_kind:     hidden_group_size_z
      - .offset:         106
        .size:           2
        .value_kind:     hidden_remainder_x
      - .offset:         108
        .size:           2
        .value_kind:     hidden_remainder_y
      - .offset:         110
        .size:           2
        .value_kind:     hidden_remainder_z
      - .offset:         128
        .size:           8
        .value_kind:     hidden_global_offset_x
      - .offset:         136
        .size:           8
        .value_kind:     hidden_global_offset_y
      - .offset:         144
        .size:           8
        .value_kind:     hidden_global_offset_z
      - .offset:         152
        .size:           2
        .value_kind:     hidden_grid_dims
      - .offset:         168
        .size:           8
        .value_kind:     hidden_hostcall_buffer
      - .offset:         176
        .size:           8
        .value_kind:     hidden_multigrid_sync_arg
      - .offset:         184
        .size:           8
        .value_kind:     hidden_heap_v1
      - .offset:         192
        .size:           8
        .value_kind:     hidden_default_queue
      - .offset:         200
        .size:           8
        .value_kind:     hidden_completion_action
      - .offset:         288
        .size:           8
        .value_kind:     hidden_queue_ptr
    .group_segment_fixed_size: 12288
    .kernarg_segment_align: 8
    .kernarg_segment_size: 344
    .language:       OpenCL C
    .language_version:
      - 2
      - 0
    .max_flat_workgroup_size: 256
    .name:           _ZN7rocprim17ROCPRIM_400000_NS6detail17trampoline_kernelINS0_14default_configENS1_36segmented_radix_sort_config_selectorIilEEZNS1_25segmented_radix_sort_implIS3_Lb1EPKiPiPKlPlN2at6native12_GLOBAL__N_18offset_tEEE10hipError_tPvRmT1_PNSt15iterator_traitsISK_E10value_typeET2_T3_PNSL_ISQ_E10value_typeET4_jRbjT5_SW_jjP12ihipStream_tbEUlT_E1_NS1_11comp_targetILNS1_3genE0ELNS1_11target_archE4294967295ELNS1_3gpuE0ELNS1_3repE0EEENS1_59segmented_radix_sort_warp_sort_small_config_static_selectorELNS0_4arch9wavefront6targetE0EEEvSK_
    .private_segment_fixed_size: 0
    .sgpr_count:     42
    .sgpr_spill_count: 0
    .symbol:         _ZN7rocprim17ROCPRIM_400000_NS6detail17trampoline_kernelINS0_14default_configENS1_36segmented_radix_sort_config_selectorIilEEZNS1_25segmented_radix_sort_implIS3_Lb1EPKiPiPKlPlN2at6native12_GLOBAL__N_18offset_tEEE10hipError_tPvRmT1_PNSt15iterator_traitsISK_E10value_typeET2_T3_PNSL_ISQ_E10value_typeET4_jRbjT5_SW_jjP12ihipStream_tbEUlT_E1_NS1_11comp_targetILNS1_3genE0ELNS1_11target_archE4294967295ELNS1_3gpuE0ELNS1_3repE0EEENS1_59segmented_radix_sort_warp_sort_small_config_static_selectorELNS0_4arch9wavefront6targetE0EEEvSK_.kd
    .uniform_work_group_size: 1
    .uses_dynamic_stack: false
    .vgpr_count:     54
    .vgpr_spill_count: 0
    .wavefront_size: 32
  - .args:
      - .offset:         0
        .size:           88
        .value_kind:     by_value
    .group_segment_fixed_size: 0
    .kernarg_segment_align: 8
    .kernarg_segment_size: 88
    .language:       OpenCL C
    .language_version:
      - 2
      - 0
    .max_flat_workgroup_size: 256
    .name:           _ZN7rocprim17ROCPRIM_400000_NS6detail17trampoline_kernelINS0_14default_configENS1_36segmented_radix_sort_config_selectorIilEEZNS1_25segmented_radix_sort_implIS3_Lb1EPKiPiPKlPlN2at6native12_GLOBAL__N_18offset_tEEE10hipError_tPvRmT1_PNSt15iterator_traitsISK_E10value_typeET2_T3_PNSL_ISQ_E10value_typeET4_jRbjT5_SW_jjP12ihipStream_tbEUlT_E1_NS1_11comp_targetILNS1_3genE5ELNS1_11target_archE942ELNS1_3gpuE9ELNS1_3repE0EEENS1_59segmented_radix_sort_warp_sort_small_config_static_selectorELNS0_4arch9wavefront6targetE0EEEvSK_
    .private_segment_fixed_size: 0
    .sgpr_count:     0
    .sgpr_spill_count: 0
    .symbol:         _ZN7rocprim17ROCPRIM_400000_NS6detail17trampoline_kernelINS0_14default_configENS1_36segmented_radix_sort_config_selectorIilEEZNS1_25segmented_radix_sort_implIS3_Lb1EPKiPiPKlPlN2at6native12_GLOBAL__N_18offset_tEEE10hipError_tPvRmT1_PNSt15iterator_traitsISK_E10value_typeET2_T3_PNSL_ISQ_E10value_typeET4_jRbjT5_SW_jjP12ihipStream_tbEUlT_E1_NS1_11comp_targetILNS1_3genE5ELNS1_11target_archE942ELNS1_3gpuE9ELNS1_3repE0EEENS1_59segmented_radix_sort_warp_sort_small_config_static_selectorELNS0_4arch9wavefront6targetE0EEEvSK_.kd
    .uniform_work_group_size: 1
    .uses_dynamic_stack: false
    .vgpr_count:     0
    .vgpr_spill_count: 0
    .wavefront_size: 32
  - .args:
      - .offset:         0
        .size:           88
        .value_kind:     by_value
    .group_segment_fixed_size: 0
    .kernarg_segment_align: 8
    .kernarg_segment_size: 88
    .language:       OpenCL C
    .language_version:
      - 2
      - 0
    .max_flat_workgroup_size: 256
    .name:           _ZN7rocprim17ROCPRIM_400000_NS6detail17trampoline_kernelINS0_14default_configENS1_36segmented_radix_sort_config_selectorIilEEZNS1_25segmented_radix_sort_implIS3_Lb1EPKiPiPKlPlN2at6native12_GLOBAL__N_18offset_tEEE10hipError_tPvRmT1_PNSt15iterator_traitsISK_E10value_typeET2_T3_PNSL_ISQ_E10value_typeET4_jRbjT5_SW_jjP12ihipStream_tbEUlT_E1_NS1_11comp_targetILNS1_3genE4ELNS1_11target_archE910ELNS1_3gpuE8ELNS1_3repE0EEENS1_59segmented_radix_sort_warp_sort_small_config_static_selectorELNS0_4arch9wavefront6targetE0EEEvSK_
    .private_segment_fixed_size: 0
    .sgpr_count:     0
    .sgpr_spill_count: 0
    .symbol:         _ZN7rocprim17ROCPRIM_400000_NS6detail17trampoline_kernelINS0_14default_configENS1_36segmented_radix_sort_config_selectorIilEEZNS1_25segmented_radix_sort_implIS3_Lb1EPKiPiPKlPlN2at6native12_GLOBAL__N_18offset_tEEE10hipError_tPvRmT1_PNSt15iterator_traitsISK_E10value_typeET2_T3_PNSL_ISQ_E10value_typeET4_jRbjT5_SW_jjP12ihipStream_tbEUlT_E1_NS1_11comp_targetILNS1_3genE4ELNS1_11target_archE910ELNS1_3gpuE8ELNS1_3repE0EEENS1_59segmented_radix_sort_warp_sort_small_config_static_selectorELNS0_4arch9wavefront6targetE0EEEvSK_.kd
    .uniform_work_group_size: 1
    .uses_dynamic_stack: false
    .vgpr_count:     0
    .vgpr_spill_count: 0
    .wavefront_size: 32
  - .args:
      - .offset:         0
        .size:           88
        .value_kind:     by_value
    .group_segment_fixed_size: 0
    .kernarg_segment_align: 8
    .kernarg_segment_size: 88
    .language:       OpenCL C
    .language_version:
      - 2
      - 0
    .max_flat_workgroup_size: 256
    .name:           _ZN7rocprim17ROCPRIM_400000_NS6detail17trampoline_kernelINS0_14default_configENS1_36segmented_radix_sort_config_selectorIilEEZNS1_25segmented_radix_sort_implIS3_Lb1EPKiPiPKlPlN2at6native12_GLOBAL__N_18offset_tEEE10hipError_tPvRmT1_PNSt15iterator_traitsISK_E10value_typeET2_T3_PNSL_ISQ_E10value_typeET4_jRbjT5_SW_jjP12ihipStream_tbEUlT_E1_NS1_11comp_targetILNS1_3genE3ELNS1_11target_archE908ELNS1_3gpuE7ELNS1_3repE0EEENS1_59segmented_radix_sort_warp_sort_small_config_static_selectorELNS0_4arch9wavefront6targetE0EEEvSK_
    .private_segment_fixed_size: 0
    .sgpr_count:     0
    .sgpr_spill_count: 0
    .symbol:         _ZN7rocprim17ROCPRIM_400000_NS6detail17trampoline_kernelINS0_14default_configENS1_36segmented_radix_sort_config_selectorIilEEZNS1_25segmented_radix_sort_implIS3_Lb1EPKiPiPKlPlN2at6native12_GLOBAL__N_18offset_tEEE10hipError_tPvRmT1_PNSt15iterator_traitsISK_E10value_typeET2_T3_PNSL_ISQ_E10value_typeET4_jRbjT5_SW_jjP12ihipStream_tbEUlT_E1_NS1_11comp_targetILNS1_3genE3ELNS1_11target_archE908ELNS1_3gpuE7ELNS1_3repE0EEENS1_59segmented_radix_sort_warp_sort_small_config_static_selectorELNS0_4arch9wavefront6targetE0EEEvSK_.kd
    .uniform_work_group_size: 1
    .uses_dynamic_stack: false
    .vgpr_count:     0
    .vgpr_spill_count: 0
    .wavefront_size: 32
  - .args:
      - .offset:         0
        .size:           88
        .value_kind:     by_value
    .group_segment_fixed_size: 0
    .kernarg_segment_align: 8
    .kernarg_segment_size: 88
    .language:       OpenCL C
    .language_version:
      - 2
      - 0
    .max_flat_workgroup_size: 256
    .name:           _ZN7rocprim17ROCPRIM_400000_NS6detail17trampoline_kernelINS0_14default_configENS1_36segmented_radix_sort_config_selectorIilEEZNS1_25segmented_radix_sort_implIS3_Lb1EPKiPiPKlPlN2at6native12_GLOBAL__N_18offset_tEEE10hipError_tPvRmT1_PNSt15iterator_traitsISK_E10value_typeET2_T3_PNSL_ISQ_E10value_typeET4_jRbjT5_SW_jjP12ihipStream_tbEUlT_E1_NS1_11comp_targetILNS1_3genE2ELNS1_11target_archE906ELNS1_3gpuE6ELNS1_3repE0EEENS1_59segmented_radix_sort_warp_sort_small_config_static_selectorELNS0_4arch9wavefront6targetE0EEEvSK_
    .private_segment_fixed_size: 0
    .sgpr_count:     0
    .sgpr_spill_count: 0
    .symbol:         _ZN7rocprim17ROCPRIM_400000_NS6detail17trampoline_kernelINS0_14default_configENS1_36segmented_radix_sort_config_selectorIilEEZNS1_25segmented_radix_sort_implIS3_Lb1EPKiPiPKlPlN2at6native12_GLOBAL__N_18offset_tEEE10hipError_tPvRmT1_PNSt15iterator_traitsISK_E10value_typeET2_T3_PNSL_ISQ_E10value_typeET4_jRbjT5_SW_jjP12ihipStream_tbEUlT_E1_NS1_11comp_targetILNS1_3genE2ELNS1_11target_archE906ELNS1_3gpuE6ELNS1_3repE0EEENS1_59segmented_radix_sort_warp_sort_small_config_static_selectorELNS0_4arch9wavefront6targetE0EEEvSK_.kd
    .uniform_work_group_size: 1
    .uses_dynamic_stack: false
    .vgpr_count:     0
    .vgpr_spill_count: 0
    .wavefront_size: 32
  - .args:
      - .offset:         0
        .size:           88
        .value_kind:     by_value
    .group_segment_fixed_size: 0
    .kernarg_segment_align: 8
    .kernarg_segment_size: 88
    .language:       OpenCL C
    .language_version:
      - 2
      - 0
    .max_flat_workgroup_size: 256
    .name:           _ZN7rocprim17ROCPRIM_400000_NS6detail17trampoline_kernelINS0_14default_configENS1_36segmented_radix_sort_config_selectorIilEEZNS1_25segmented_radix_sort_implIS3_Lb1EPKiPiPKlPlN2at6native12_GLOBAL__N_18offset_tEEE10hipError_tPvRmT1_PNSt15iterator_traitsISK_E10value_typeET2_T3_PNSL_ISQ_E10value_typeET4_jRbjT5_SW_jjP12ihipStream_tbEUlT_E1_NS1_11comp_targetILNS1_3genE10ELNS1_11target_archE1201ELNS1_3gpuE5ELNS1_3repE0EEENS1_59segmented_radix_sort_warp_sort_small_config_static_selectorELNS0_4arch9wavefront6targetE0EEEvSK_
    .private_segment_fixed_size: 0
    .sgpr_count:     0
    .sgpr_spill_count: 0
    .symbol:         _ZN7rocprim17ROCPRIM_400000_NS6detail17trampoline_kernelINS0_14default_configENS1_36segmented_radix_sort_config_selectorIilEEZNS1_25segmented_radix_sort_implIS3_Lb1EPKiPiPKlPlN2at6native12_GLOBAL__N_18offset_tEEE10hipError_tPvRmT1_PNSt15iterator_traitsISK_E10value_typeET2_T3_PNSL_ISQ_E10value_typeET4_jRbjT5_SW_jjP12ihipStream_tbEUlT_E1_NS1_11comp_targetILNS1_3genE10ELNS1_11target_archE1201ELNS1_3gpuE5ELNS1_3repE0EEENS1_59segmented_radix_sort_warp_sort_small_config_static_selectorELNS0_4arch9wavefront6targetE0EEEvSK_.kd
    .uniform_work_group_size: 1
    .uses_dynamic_stack: false
    .vgpr_count:     0
    .vgpr_spill_count: 0
    .wavefront_size: 32
  - .args:
      - .offset:         0
        .size:           88
        .value_kind:     by_value
    .group_segment_fixed_size: 0
    .kernarg_segment_align: 8
    .kernarg_segment_size: 88
    .language:       OpenCL C
    .language_version:
      - 2
      - 0
    .max_flat_workgroup_size: 256
    .name:           _ZN7rocprim17ROCPRIM_400000_NS6detail17trampoline_kernelINS0_14default_configENS1_36segmented_radix_sort_config_selectorIilEEZNS1_25segmented_radix_sort_implIS3_Lb1EPKiPiPKlPlN2at6native12_GLOBAL__N_18offset_tEEE10hipError_tPvRmT1_PNSt15iterator_traitsISK_E10value_typeET2_T3_PNSL_ISQ_E10value_typeET4_jRbjT5_SW_jjP12ihipStream_tbEUlT_E1_NS1_11comp_targetILNS1_3genE10ELNS1_11target_archE1200ELNS1_3gpuE4ELNS1_3repE0EEENS1_59segmented_radix_sort_warp_sort_small_config_static_selectorELNS0_4arch9wavefront6targetE0EEEvSK_
    .private_segment_fixed_size: 0
    .sgpr_count:     0
    .sgpr_spill_count: 0
    .symbol:         _ZN7rocprim17ROCPRIM_400000_NS6detail17trampoline_kernelINS0_14default_configENS1_36segmented_radix_sort_config_selectorIilEEZNS1_25segmented_radix_sort_implIS3_Lb1EPKiPiPKlPlN2at6native12_GLOBAL__N_18offset_tEEE10hipError_tPvRmT1_PNSt15iterator_traitsISK_E10value_typeET2_T3_PNSL_ISQ_E10value_typeET4_jRbjT5_SW_jjP12ihipStream_tbEUlT_E1_NS1_11comp_targetILNS1_3genE10ELNS1_11target_archE1200ELNS1_3gpuE4ELNS1_3repE0EEENS1_59segmented_radix_sort_warp_sort_small_config_static_selectorELNS0_4arch9wavefront6targetE0EEEvSK_.kd
    .uniform_work_group_size: 1
    .uses_dynamic_stack: false
    .vgpr_count:     0
    .vgpr_spill_count: 0
    .wavefront_size: 32
  - .args:
      - .offset:         0
        .size:           88
        .value_kind:     by_value
    .group_segment_fixed_size: 0
    .kernarg_segment_align: 8
    .kernarg_segment_size: 88
    .language:       OpenCL C
    .language_version:
      - 2
      - 0
    .max_flat_workgroup_size: 256
    .name:           _ZN7rocprim17ROCPRIM_400000_NS6detail17trampoline_kernelINS0_14default_configENS1_36segmented_radix_sort_config_selectorIilEEZNS1_25segmented_radix_sort_implIS3_Lb1EPKiPiPKlPlN2at6native12_GLOBAL__N_18offset_tEEE10hipError_tPvRmT1_PNSt15iterator_traitsISK_E10value_typeET2_T3_PNSL_ISQ_E10value_typeET4_jRbjT5_SW_jjP12ihipStream_tbEUlT_E1_NS1_11comp_targetILNS1_3genE9ELNS1_11target_archE1100ELNS1_3gpuE3ELNS1_3repE0EEENS1_59segmented_radix_sort_warp_sort_small_config_static_selectorELNS0_4arch9wavefront6targetE0EEEvSK_
    .private_segment_fixed_size: 0
    .sgpr_count:     0
    .sgpr_spill_count: 0
    .symbol:         _ZN7rocprim17ROCPRIM_400000_NS6detail17trampoline_kernelINS0_14default_configENS1_36segmented_radix_sort_config_selectorIilEEZNS1_25segmented_radix_sort_implIS3_Lb1EPKiPiPKlPlN2at6native12_GLOBAL__N_18offset_tEEE10hipError_tPvRmT1_PNSt15iterator_traitsISK_E10value_typeET2_T3_PNSL_ISQ_E10value_typeET4_jRbjT5_SW_jjP12ihipStream_tbEUlT_E1_NS1_11comp_targetILNS1_3genE9ELNS1_11target_archE1100ELNS1_3gpuE3ELNS1_3repE0EEENS1_59segmented_radix_sort_warp_sort_small_config_static_selectorELNS0_4arch9wavefront6targetE0EEEvSK_.kd
    .uniform_work_group_size: 1
    .uses_dynamic_stack: false
    .vgpr_count:     0
    .vgpr_spill_count: 0
    .wavefront_size: 32
  - .args:
      - .offset:         0
        .size:           88
        .value_kind:     by_value
    .group_segment_fixed_size: 0
    .kernarg_segment_align: 8
    .kernarg_segment_size: 88
    .language:       OpenCL C
    .language_version:
      - 2
      - 0
    .max_flat_workgroup_size: 256
    .name:           _ZN7rocprim17ROCPRIM_400000_NS6detail17trampoline_kernelINS0_14default_configENS1_36segmented_radix_sort_config_selectorIilEEZNS1_25segmented_radix_sort_implIS3_Lb1EPKiPiPKlPlN2at6native12_GLOBAL__N_18offset_tEEE10hipError_tPvRmT1_PNSt15iterator_traitsISK_E10value_typeET2_T3_PNSL_ISQ_E10value_typeET4_jRbjT5_SW_jjP12ihipStream_tbEUlT_E1_NS1_11comp_targetILNS1_3genE8ELNS1_11target_archE1030ELNS1_3gpuE2ELNS1_3repE0EEENS1_59segmented_radix_sort_warp_sort_small_config_static_selectorELNS0_4arch9wavefront6targetE0EEEvSK_
    .private_segment_fixed_size: 0
    .sgpr_count:     0
    .sgpr_spill_count: 0
    .symbol:         _ZN7rocprim17ROCPRIM_400000_NS6detail17trampoline_kernelINS0_14default_configENS1_36segmented_radix_sort_config_selectorIilEEZNS1_25segmented_radix_sort_implIS3_Lb1EPKiPiPKlPlN2at6native12_GLOBAL__N_18offset_tEEE10hipError_tPvRmT1_PNSt15iterator_traitsISK_E10value_typeET2_T3_PNSL_ISQ_E10value_typeET4_jRbjT5_SW_jjP12ihipStream_tbEUlT_E1_NS1_11comp_targetILNS1_3genE8ELNS1_11target_archE1030ELNS1_3gpuE2ELNS1_3repE0EEENS1_59segmented_radix_sort_warp_sort_small_config_static_selectorELNS0_4arch9wavefront6targetE0EEEvSK_.kd
    .uniform_work_group_size: 1
    .uses_dynamic_stack: false
    .vgpr_count:     0
    .vgpr_spill_count: 0
    .wavefront_size: 32
  - .args:
      - .offset:         0
        .size:           80
        .value_kind:     by_value
      - .offset:         80
        .size:           4
        .value_kind:     hidden_block_count_x
      - .offset:         84
        .size:           4
        .value_kind:     hidden_block_count_y
      - .offset:         88
        .size:           4
        .value_kind:     hidden_block_count_z
      - .offset:         92
        .size:           2
        .value_kind:     hidden_group_size_x
      - .offset:         94
        .size:           2
        .value_kind:     hidden_group_size_y
      - .offset:         96
        .size:           2
        .value_kind:     hidden_group_size_z
      - .offset:         98
        .size:           2
        .value_kind:     hidden_remainder_x
      - .offset:         100
        .size:           2
        .value_kind:     hidden_remainder_y
      - .offset:         102
        .size:           2
        .value_kind:     hidden_remainder_z
      - .offset:         120
        .size:           8
        .value_kind:     hidden_global_offset_x
      - .offset:         128
        .size:           8
        .value_kind:     hidden_global_offset_y
      - .offset:         136
        .size:           8
        .value_kind:     hidden_global_offset_z
      - .offset:         144
        .size:           2
        .value_kind:     hidden_grid_dims
      - .offset:         160
        .size:           8
        .value_kind:     hidden_hostcall_buffer
      - .offset:         168
        .size:           8
        .value_kind:     hidden_multigrid_sync_arg
      - .offset:         176
        .size:           8
        .value_kind:     hidden_heap_v1
      - .offset:         184
        .size:           8
        .value_kind:     hidden_default_queue
      - .offset:         192
        .size:           8
        .value_kind:     hidden_completion_action
      - .offset:         280
        .size:           8
        .value_kind:     hidden_queue_ptr
    .group_segment_fixed_size: 33824
    .kernarg_segment_align: 8
    .kernarg_segment_size: 336
    .language:       OpenCL C
    .language_version:
      - 2
      - 0
    .max_flat_workgroup_size: 256
    .name:           _ZN7rocprim17ROCPRIM_400000_NS6detail17trampoline_kernelINS0_14default_configENS1_36segmented_radix_sort_config_selectorIilEEZNS1_25segmented_radix_sort_implIS3_Lb1EPKiPiPKlPlN2at6native12_GLOBAL__N_18offset_tEEE10hipError_tPvRmT1_PNSt15iterator_traitsISK_E10value_typeET2_T3_PNSL_ISQ_E10value_typeET4_jRbjT5_SW_jjP12ihipStream_tbEUlT_E2_NS1_11comp_targetILNS1_3genE0ELNS1_11target_archE4294967295ELNS1_3gpuE0ELNS1_3repE0EEENS1_30default_config_static_selectorELNS0_4arch9wavefront6targetE0EEEvSK_
    .private_segment_fixed_size: 0
    .sgpr_count:     60
    .sgpr_spill_count: 0
    .symbol:         _ZN7rocprim17ROCPRIM_400000_NS6detail17trampoline_kernelINS0_14default_configENS1_36segmented_radix_sort_config_selectorIilEEZNS1_25segmented_radix_sort_implIS3_Lb1EPKiPiPKlPlN2at6native12_GLOBAL__N_18offset_tEEE10hipError_tPvRmT1_PNSt15iterator_traitsISK_E10value_typeET2_T3_PNSL_ISQ_E10value_typeET4_jRbjT5_SW_jjP12ihipStream_tbEUlT_E2_NS1_11comp_targetILNS1_3genE0ELNS1_11target_archE4294967295ELNS1_3gpuE0ELNS1_3repE0EEENS1_30default_config_static_selectorELNS0_4arch9wavefront6targetE0EEEvSK_.kd
    .uniform_work_group_size: 1
    .uses_dynamic_stack: false
    .vgpr_count:     287
    .vgpr_spill_count: 0
    .wavefront_size: 32
  - .args:
      - .offset:         0
        .size:           80
        .value_kind:     by_value
    .group_segment_fixed_size: 0
    .kernarg_segment_align: 8
    .kernarg_segment_size: 80
    .language:       OpenCL C
    .language_version:
      - 2
      - 0
    .max_flat_workgroup_size: 256
    .name:           _ZN7rocprim17ROCPRIM_400000_NS6detail17trampoline_kernelINS0_14default_configENS1_36segmented_radix_sort_config_selectorIilEEZNS1_25segmented_radix_sort_implIS3_Lb1EPKiPiPKlPlN2at6native12_GLOBAL__N_18offset_tEEE10hipError_tPvRmT1_PNSt15iterator_traitsISK_E10value_typeET2_T3_PNSL_ISQ_E10value_typeET4_jRbjT5_SW_jjP12ihipStream_tbEUlT_E2_NS1_11comp_targetILNS1_3genE5ELNS1_11target_archE942ELNS1_3gpuE9ELNS1_3repE0EEENS1_30default_config_static_selectorELNS0_4arch9wavefront6targetE0EEEvSK_
    .private_segment_fixed_size: 0
    .sgpr_count:     0
    .sgpr_spill_count: 0
    .symbol:         _ZN7rocprim17ROCPRIM_400000_NS6detail17trampoline_kernelINS0_14default_configENS1_36segmented_radix_sort_config_selectorIilEEZNS1_25segmented_radix_sort_implIS3_Lb1EPKiPiPKlPlN2at6native12_GLOBAL__N_18offset_tEEE10hipError_tPvRmT1_PNSt15iterator_traitsISK_E10value_typeET2_T3_PNSL_ISQ_E10value_typeET4_jRbjT5_SW_jjP12ihipStream_tbEUlT_E2_NS1_11comp_targetILNS1_3genE5ELNS1_11target_archE942ELNS1_3gpuE9ELNS1_3repE0EEENS1_30default_config_static_selectorELNS0_4arch9wavefront6targetE0EEEvSK_.kd
    .uniform_work_group_size: 1
    .uses_dynamic_stack: false
    .vgpr_count:     0
    .vgpr_spill_count: 0
    .wavefront_size: 32
  - .args:
      - .offset:         0
        .size:           80
        .value_kind:     by_value
    .group_segment_fixed_size: 0
    .kernarg_segment_align: 8
    .kernarg_segment_size: 80
    .language:       OpenCL C
    .language_version:
      - 2
      - 0
    .max_flat_workgroup_size: 256
    .name:           _ZN7rocprim17ROCPRIM_400000_NS6detail17trampoline_kernelINS0_14default_configENS1_36segmented_radix_sort_config_selectorIilEEZNS1_25segmented_radix_sort_implIS3_Lb1EPKiPiPKlPlN2at6native12_GLOBAL__N_18offset_tEEE10hipError_tPvRmT1_PNSt15iterator_traitsISK_E10value_typeET2_T3_PNSL_ISQ_E10value_typeET4_jRbjT5_SW_jjP12ihipStream_tbEUlT_E2_NS1_11comp_targetILNS1_3genE4ELNS1_11target_archE910ELNS1_3gpuE8ELNS1_3repE0EEENS1_30default_config_static_selectorELNS0_4arch9wavefront6targetE0EEEvSK_
    .private_segment_fixed_size: 0
    .sgpr_count:     0
    .sgpr_spill_count: 0
    .symbol:         _ZN7rocprim17ROCPRIM_400000_NS6detail17trampoline_kernelINS0_14default_configENS1_36segmented_radix_sort_config_selectorIilEEZNS1_25segmented_radix_sort_implIS3_Lb1EPKiPiPKlPlN2at6native12_GLOBAL__N_18offset_tEEE10hipError_tPvRmT1_PNSt15iterator_traitsISK_E10value_typeET2_T3_PNSL_ISQ_E10value_typeET4_jRbjT5_SW_jjP12ihipStream_tbEUlT_E2_NS1_11comp_targetILNS1_3genE4ELNS1_11target_archE910ELNS1_3gpuE8ELNS1_3repE0EEENS1_30default_config_static_selectorELNS0_4arch9wavefront6targetE0EEEvSK_.kd
    .uniform_work_group_size: 1
    .uses_dynamic_stack: false
    .vgpr_count:     0
    .vgpr_spill_count: 0
    .wavefront_size: 32
  - .args:
      - .offset:         0
        .size:           80
        .value_kind:     by_value
    .group_segment_fixed_size: 0
    .kernarg_segment_align: 8
    .kernarg_segment_size: 80
    .language:       OpenCL C
    .language_version:
      - 2
      - 0
    .max_flat_workgroup_size: 256
    .name:           _ZN7rocprim17ROCPRIM_400000_NS6detail17trampoline_kernelINS0_14default_configENS1_36segmented_radix_sort_config_selectorIilEEZNS1_25segmented_radix_sort_implIS3_Lb1EPKiPiPKlPlN2at6native12_GLOBAL__N_18offset_tEEE10hipError_tPvRmT1_PNSt15iterator_traitsISK_E10value_typeET2_T3_PNSL_ISQ_E10value_typeET4_jRbjT5_SW_jjP12ihipStream_tbEUlT_E2_NS1_11comp_targetILNS1_3genE3ELNS1_11target_archE908ELNS1_3gpuE7ELNS1_3repE0EEENS1_30default_config_static_selectorELNS0_4arch9wavefront6targetE0EEEvSK_
    .private_segment_fixed_size: 0
    .sgpr_count:     0
    .sgpr_spill_count: 0
    .symbol:         _ZN7rocprim17ROCPRIM_400000_NS6detail17trampoline_kernelINS0_14default_configENS1_36segmented_radix_sort_config_selectorIilEEZNS1_25segmented_radix_sort_implIS3_Lb1EPKiPiPKlPlN2at6native12_GLOBAL__N_18offset_tEEE10hipError_tPvRmT1_PNSt15iterator_traitsISK_E10value_typeET2_T3_PNSL_ISQ_E10value_typeET4_jRbjT5_SW_jjP12ihipStream_tbEUlT_E2_NS1_11comp_targetILNS1_3genE3ELNS1_11target_archE908ELNS1_3gpuE7ELNS1_3repE0EEENS1_30default_config_static_selectorELNS0_4arch9wavefront6targetE0EEEvSK_.kd
    .uniform_work_group_size: 1
    .uses_dynamic_stack: false
    .vgpr_count:     0
    .vgpr_spill_count: 0
    .wavefront_size: 32
  - .args:
      - .offset:         0
        .size:           80
        .value_kind:     by_value
    .group_segment_fixed_size: 0
    .kernarg_segment_align: 8
    .kernarg_segment_size: 80
    .language:       OpenCL C
    .language_version:
      - 2
      - 0
    .max_flat_workgroup_size: 256
    .name:           _ZN7rocprim17ROCPRIM_400000_NS6detail17trampoline_kernelINS0_14default_configENS1_36segmented_radix_sort_config_selectorIilEEZNS1_25segmented_radix_sort_implIS3_Lb1EPKiPiPKlPlN2at6native12_GLOBAL__N_18offset_tEEE10hipError_tPvRmT1_PNSt15iterator_traitsISK_E10value_typeET2_T3_PNSL_ISQ_E10value_typeET4_jRbjT5_SW_jjP12ihipStream_tbEUlT_E2_NS1_11comp_targetILNS1_3genE2ELNS1_11target_archE906ELNS1_3gpuE6ELNS1_3repE0EEENS1_30default_config_static_selectorELNS0_4arch9wavefront6targetE0EEEvSK_
    .private_segment_fixed_size: 0
    .sgpr_count:     0
    .sgpr_spill_count: 0
    .symbol:         _ZN7rocprim17ROCPRIM_400000_NS6detail17trampoline_kernelINS0_14default_configENS1_36segmented_radix_sort_config_selectorIilEEZNS1_25segmented_radix_sort_implIS3_Lb1EPKiPiPKlPlN2at6native12_GLOBAL__N_18offset_tEEE10hipError_tPvRmT1_PNSt15iterator_traitsISK_E10value_typeET2_T3_PNSL_ISQ_E10value_typeET4_jRbjT5_SW_jjP12ihipStream_tbEUlT_E2_NS1_11comp_targetILNS1_3genE2ELNS1_11target_archE906ELNS1_3gpuE6ELNS1_3repE0EEENS1_30default_config_static_selectorELNS0_4arch9wavefront6targetE0EEEvSK_.kd
    .uniform_work_group_size: 1
    .uses_dynamic_stack: false
    .vgpr_count:     0
    .vgpr_spill_count: 0
    .wavefront_size: 32
  - .args:
      - .offset:         0
        .size:           80
        .value_kind:     by_value
    .group_segment_fixed_size: 0
    .kernarg_segment_align: 8
    .kernarg_segment_size: 80
    .language:       OpenCL C
    .language_version:
      - 2
      - 0
    .max_flat_workgroup_size: 256
    .name:           _ZN7rocprim17ROCPRIM_400000_NS6detail17trampoline_kernelINS0_14default_configENS1_36segmented_radix_sort_config_selectorIilEEZNS1_25segmented_radix_sort_implIS3_Lb1EPKiPiPKlPlN2at6native12_GLOBAL__N_18offset_tEEE10hipError_tPvRmT1_PNSt15iterator_traitsISK_E10value_typeET2_T3_PNSL_ISQ_E10value_typeET4_jRbjT5_SW_jjP12ihipStream_tbEUlT_E2_NS1_11comp_targetILNS1_3genE10ELNS1_11target_archE1201ELNS1_3gpuE5ELNS1_3repE0EEENS1_30default_config_static_selectorELNS0_4arch9wavefront6targetE0EEEvSK_
    .private_segment_fixed_size: 0
    .sgpr_count:     0
    .sgpr_spill_count: 0
    .symbol:         _ZN7rocprim17ROCPRIM_400000_NS6detail17trampoline_kernelINS0_14default_configENS1_36segmented_radix_sort_config_selectorIilEEZNS1_25segmented_radix_sort_implIS3_Lb1EPKiPiPKlPlN2at6native12_GLOBAL__N_18offset_tEEE10hipError_tPvRmT1_PNSt15iterator_traitsISK_E10value_typeET2_T3_PNSL_ISQ_E10value_typeET4_jRbjT5_SW_jjP12ihipStream_tbEUlT_E2_NS1_11comp_targetILNS1_3genE10ELNS1_11target_archE1201ELNS1_3gpuE5ELNS1_3repE0EEENS1_30default_config_static_selectorELNS0_4arch9wavefront6targetE0EEEvSK_.kd
    .uniform_work_group_size: 1
    .uses_dynamic_stack: false
    .vgpr_count:     0
    .vgpr_spill_count: 0
    .wavefront_size: 32
  - .args:
      - .offset:         0
        .size:           80
        .value_kind:     by_value
    .group_segment_fixed_size: 0
    .kernarg_segment_align: 8
    .kernarg_segment_size: 80
    .language:       OpenCL C
    .language_version:
      - 2
      - 0
    .max_flat_workgroup_size: 128
    .name:           _ZN7rocprim17ROCPRIM_400000_NS6detail17trampoline_kernelINS0_14default_configENS1_36segmented_radix_sort_config_selectorIilEEZNS1_25segmented_radix_sort_implIS3_Lb1EPKiPiPKlPlN2at6native12_GLOBAL__N_18offset_tEEE10hipError_tPvRmT1_PNSt15iterator_traitsISK_E10value_typeET2_T3_PNSL_ISQ_E10value_typeET4_jRbjT5_SW_jjP12ihipStream_tbEUlT_E2_NS1_11comp_targetILNS1_3genE10ELNS1_11target_archE1200ELNS1_3gpuE4ELNS1_3repE0EEENS1_30default_config_static_selectorELNS0_4arch9wavefront6targetE0EEEvSK_
    .private_segment_fixed_size: 0
    .sgpr_count:     0
    .sgpr_spill_count: 0
    .symbol:         _ZN7rocprim17ROCPRIM_400000_NS6detail17trampoline_kernelINS0_14default_configENS1_36segmented_radix_sort_config_selectorIilEEZNS1_25segmented_radix_sort_implIS3_Lb1EPKiPiPKlPlN2at6native12_GLOBAL__N_18offset_tEEE10hipError_tPvRmT1_PNSt15iterator_traitsISK_E10value_typeET2_T3_PNSL_ISQ_E10value_typeET4_jRbjT5_SW_jjP12ihipStream_tbEUlT_E2_NS1_11comp_targetILNS1_3genE10ELNS1_11target_archE1200ELNS1_3gpuE4ELNS1_3repE0EEENS1_30default_config_static_selectorELNS0_4arch9wavefront6targetE0EEEvSK_.kd
    .uniform_work_group_size: 1
    .uses_dynamic_stack: false
    .vgpr_count:     0
    .vgpr_spill_count: 0
    .wavefront_size: 32
  - .args:
      - .offset:         0
        .size:           80
        .value_kind:     by_value
    .group_segment_fixed_size: 0
    .kernarg_segment_align: 8
    .kernarg_segment_size: 80
    .language:       OpenCL C
    .language_version:
      - 2
      - 0
    .max_flat_workgroup_size: 256
    .name:           _ZN7rocprim17ROCPRIM_400000_NS6detail17trampoline_kernelINS0_14default_configENS1_36segmented_radix_sort_config_selectorIilEEZNS1_25segmented_radix_sort_implIS3_Lb1EPKiPiPKlPlN2at6native12_GLOBAL__N_18offset_tEEE10hipError_tPvRmT1_PNSt15iterator_traitsISK_E10value_typeET2_T3_PNSL_ISQ_E10value_typeET4_jRbjT5_SW_jjP12ihipStream_tbEUlT_E2_NS1_11comp_targetILNS1_3genE9ELNS1_11target_archE1100ELNS1_3gpuE3ELNS1_3repE0EEENS1_30default_config_static_selectorELNS0_4arch9wavefront6targetE0EEEvSK_
    .private_segment_fixed_size: 0
    .sgpr_count:     0
    .sgpr_spill_count: 0
    .symbol:         _ZN7rocprim17ROCPRIM_400000_NS6detail17trampoline_kernelINS0_14default_configENS1_36segmented_radix_sort_config_selectorIilEEZNS1_25segmented_radix_sort_implIS3_Lb1EPKiPiPKlPlN2at6native12_GLOBAL__N_18offset_tEEE10hipError_tPvRmT1_PNSt15iterator_traitsISK_E10value_typeET2_T3_PNSL_ISQ_E10value_typeET4_jRbjT5_SW_jjP12ihipStream_tbEUlT_E2_NS1_11comp_targetILNS1_3genE9ELNS1_11target_archE1100ELNS1_3gpuE3ELNS1_3repE0EEENS1_30default_config_static_selectorELNS0_4arch9wavefront6targetE0EEEvSK_.kd
    .uniform_work_group_size: 1
    .uses_dynamic_stack: false
    .vgpr_count:     0
    .vgpr_spill_count: 0
    .wavefront_size: 32
  - .args:
      - .offset:         0
        .size:           80
        .value_kind:     by_value
    .group_segment_fixed_size: 0
    .kernarg_segment_align: 8
    .kernarg_segment_size: 80
    .language:       OpenCL C
    .language_version:
      - 2
      - 0
    .max_flat_workgroup_size: 256
    .name:           _ZN7rocprim17ROCPRIM_400000_NS6detail17trampoline_kernelINS0_14default_configENS1_36segmented_radix_sort_config_selectorIilEEZNS1_25segmented_radix_sort_implIS3_Lb1EPKiPiPKlPlN2at6native12_GLOBAL__N_18offset_tEEE10hipError_tPvRmT1_PNSt15iterator_traitsISK_E10value_typeET2_T3_PNSL_ISQ_E10value_typeET4_jRbjT5_SW_jjP12ihipStream_tbEUlT_E2_NS1_11comp_targetILNS1_3genE8ELNS1_11target_archE1030ELNS1_3gpuE2ELNS1_3repE0EEENS1_30default_config_static_selectorELNS0_4arch9wavefront6targetE0EEEvSK_
    .private_segment_fixed_size: 0
    .sgpr_count:     0
    .sgpr_spill_count: 0
    .symbol:         _ZN7rocprim17ROCPRIM_400000_NS6detail17trampoline_kernelINS0_14default_configENS1_36segmented_radix_sort_config_selectorIilEEZNS1_25segmented_radix_sort_implIS3_Lb1EPKiPiPKlPlN2at6native12_GLOBAL__N_18offset_tEEE10hipError_tPvRmT1_PNSt15iterator_traitsISK_E10value_typeET2_T3_PNSL_ISQ_E10value_typeET4_jRbjT5_SW_jjP12ihipStream_tbEUlT_E2_NS1_11comp_targetILNS1_3genE8ELNS1_11target_archE1030ELNS1_3gpuE2ELNS1_3repE0EEENS1_30default_config_static_selectorELNS0_4arch9wavefront6targetE0EEEvSK_.kd
    .uniform_work_group_size: 1
    .uses_dynamic_stack: false
    .vgpr_count:     0
    .vgpr_spill_count: 0
    .wavefront_size: 32
  - .args:
      - .offset:         0
        .size:           176
        .value_kind:     by_value
    .group_segment_fixed_size: 13328
    .kernarg_segment_align: 8
    .kernarg_segment_size: 176
    .language:       OpenCL C
    .language_version:
      - 2
      - 0
    .max_flat_workgroup_size: 256
    .name:           _ZN7rocprim17ROCPRIM_400000_NS6detail17trampoline_kernelINS0_13select_configILj256ELj13ELNS0_17block_load_methodE3ELS4_3ELS4_3ELNS0_20block_scan_algorithmE0ELj4294967295EEENS1_25partition_config_selectorILNS1_17partition_subalgoE4EjNS0_10empty_typeEbEEZZNS1_14partition_implILS8_4ELb0ES6_15HIP_vector_typeIjLj2EENS0_17counting_iteratorIjlEEPS9_SG_NS0_5tupleIJPjSI_NS0_16reverse_iteratorISI_EEEEENSH_IJSG_SG_SG_EEES9_SI_JZNS1_25segmented_radix_sort_implINS0_14default_configELb0EPKiPiPKlPlN2at6native12_GLOBAL__N_18offset_tEEE10hipError_tPvRmT1_PNSt15iterator_traitsIS12_E10value_typeET2_T3_PNS13_IS18_E10value_typeET4_jRbjT5_S1E_jjP12ihipStream_tbEUljE_ZNSN_ISO_Lb0ESQ_SR_ST_SU_SY_EESZ_S10_S11_S12_S16_S17_S18_S1B_S1C_jS1D_jS1E_S1E_jjS1G_bEUljE0_EEESZ_S10_S11_S18_S1C_S1E_T6_T7_T9_mT8_S1G_bDpT10_ENKUlT_T0_E_clISt17integral_constantIbLb0EES1U_EEDaS1P_S1Q_EUlS1P_E_NS1_11comp_targetILNS1_3genE0ELNS1_11target_archE4294967295ELNS1_3gpuE0ELNS1_3repE0EEENS1_30default_config_static_selectorELNS0_4arch9wavefront6targetE0EEEvS12_
    .private_segment_fixed_size: 0
    .sgpr_count:     61
    .sgpr_spill_count: 0
    .symbol:         _ZN7rocprim17ROCPRIM_400000_NS6detail17trampoline_kernelINS0_13select_configILj256ELj13ELNS0_17block_load_methodE3ELS4_3ELS4_3ELNS0_20block_scan_algorithmE0ELj4294967295EEENS1_25partition_config_selectorILNS1_17partition_subalgoE4EjNS0_10empty_typeEbEEZZNS1_14partition_implILS8_4ELb0ES6_15HIP_vector_typeIjLj2EENS0_17counting_iteratorIjlEEPS9_SG_NS0_5tupleIJPjSI_NS0_16reverse_iteratorISI_EEEEENSH_IJSG_SG_SG_EEES9_SI_JZNS1_25segmented_radix_sort_implINS0_14default_configELb0EPKiPiPKlPlN2at6native12_GLOBAL__N_18offset_tEEE10hipError_tPvRmT1_PNSt15iterator_traitsIS12_E10value_typeET2_T3_PNS13_IS18_E10value_typeET4_jRbjT5_S1E_jjP12ihipStream_tbEUljE_ZNSN_ISO_Lb0ESQ_SR_ST_SU_SY_EESZ_S10_S11_S12_S16_S17_S18_S1B_S1C_jS1D_jS1E_S1E_jjS1G_bEUljE0_EEESZ_S10_S11_S18_S1C_S1E_T6_T7_T9_mT8_S1G_bDpT10_ENKUlT_T0_E_clISt17integral_constantIbLb0EES1U_EEDaS1P_S1Q_EUlS1P_E_NS1_11comp_targetILNS1_3genE0ELNS1_11target_archE4294967295ELNS1_3gpuE0ELNS1_3repE0EEENS1_30default_config_static_selectorELNS0_4arch9wavefront6targetE0EEEvS12_.kd
    .uniform_work_group_size: 1
    .uses_dynamic_stack: false
    .vgpr_count:     81
    .vgpr_spill_count: 0
    .wavefront_size: 32
  - .args:
      - .offset:         0
        .size:           176
        .value_kind:     by_value
    .group_segment_fixed_size: 0
    .kernarg_segment_align: 8
    .kernarg_segment_size: 176
    .language:       OpenCL C
    .language_version:
      - 2
      - 0
    .max_flat_workgroup_size: 256
    .name:           _ZN7rocprim17ROCPRIM_400000_NS6detail17trampoline_kernelINS0_13select_configILj256ELj13ELNS0_17block_load_methodE3ELS4_3ELS4_3ELNS0_20block_scan_algorithmE0ELj4294967295EEENS1_25partition_config_selectorILNS1_17partition_subalgoE4EjNS0_10empty_typeEbEEZZNS1_14partition_implILS8_4ELb0ES6_15HIP_vector_typeIjLj2EENS0_17counting_iteratorIjlEEPS9_SG_NS0_5tupleIJPjSI_NS0_16reverse_iteratorISI_EEEEENSH_IJSG_SG_SG_EEES9_SI_JZNS1_25segmented_radix_sort_implINS0_14default_configELb0EPKiPiPKlPlN2at6native12_GLOBAL__N_18offset_tEEE10hipError_tPvRmT1_PNSt15iterator_traitsIS12_E10value_typeET2_T3_PNS13_IS18_E10value_typeET4_jRbjT5_S1E_jjP12ihipStream_tbEUljE_ZNSN_ISO_Lb0ESQ_SR_ST_SU_SY_EESZ_S10_S11_S12_S16_S17_S18_S1B_S1C_jS1D_jS1E_S1E_jjS1G_bEUljE0_EEESZ_S10_S11_S18_S1C_S1E_T6_T7_T9_mT8_S1G_bDpT10_ENKUlT_T0_E_clISt17integral_constantIbLb0EES1U_EEDaS1P_S1Q_EUlS1P_E_NS1_11comp_targetILNS1_3genE5ELNS1_11target_archE942ELNS1_3gpuE9ELNS1_3repE0EEENS1_30default_config_static_selectorELNS0_4arch9wavefront6targetE0EEEvS12_
    .private_segment_fixed_size: 0
    .sgpr_count:     0
    .sgpr_spill_count: 0
    .symbol:         _ZN7rocprim17ROCPRIM_400000_NS6detail17trampoline_kernelINS0_13select_configILj256ELj13ELNS0_17block_load_methodE3ELS4_3ELS4_3ELNS0_20block_scan_algorithmE0ELj4294967295EEENS1_25partition_config_selectorILNS1_17partition_subalgoE4EjNS0_10empty_typeEbEEZZNS1_14partition_implILS8_4ELb0ES6_15HIP_vector_typeIjLj2EENS0_17counting_iteratorIjlEEPS9_SG_NS0_5tupleIJPjSI_NS0_16reverse_iteratorISI_EEEEENSH_IJSG_SG_SG_EEES9_SI_JZNS1_25segmented_radix_sort_implINS0_14default_configELb0EPKiPiPKlPlN2at6native12_GLOBAL__N_18offset_tEEE10hipError_tPvRmT1_PNSt15iterator_traitsIS12_E10value_typeET2_T3_PNS13_IS18_E10value_typeET4_jRbjT5_S1E_jjP12ihipStream_tbEUljE_ZNSN_ISO_Lb0ESQ_SR_ST_SU_SY_EESZ_S10_S11_S12_S16_S17_S18_S1B_S1C_jS1D_jS1E_S1E_jjS1G_bEUljE0_EEESZ_S10_S11_S18_S1C_S1E_T6_T7_T9_mT8_S1G_bDpT10_ENKUlT_T0_E_clISt17integral_constantIbLb0EES1U_EEDaS1P_S1Q_EUlS1P_E_NS1_11comp_targetILNS1_3genE5ELNS1_11target_archE942ELNS1_3gpuE9ELNS1_3repE0EEENS1_30default_config_static_selectorELNS0_4arch9wavefront6targetE0EEEvS12_.kd
    .uniform_work_group_size: 1
    .uses_dynamic_stack: false
    .vgpr_count:     0
    .vgpr_spill_count: 0
    .wavefront_size: 32
  - .args:
      - .offset:         0
        .size:           176
        .value_kind:     by_value
    .group_segment_fixed_size: 0
    .kernarg_segment_align: 8
    .kernarg_segment_size: 176
    .language:       OpenCL C
    .language_version:
      - 2
      - 0
    .max_flat_workgroup_size: 256
    .name:           _ZN7rocprim17ROCPRIM_400000_NS6detail17trampoline_kernelINS0_13select_configILj256ELj13ELNS0_17block_load_methodE3ELS4_3ELS4_3ELNS0_20block_scan_algorithmE0ELj4294967295EEENS1_25partition_config_selectorILNS1_17partition_subalgoE4EjNS0_10empty_typeEbEEZZNS1_14partition_implILS8_4ELb0ES6_15HIP_vector_typeIjLj2EENS0_17counting_iteratorIjlEEPS9_SG_NS0_5tupleIJPjSI_NS0_16reverse_iteratorISI_EEEEENSH_IJSG_SG_SG_EEES9_SI_JZNS1_25segmented_radix_sort_implINS0_14default_configELb0EPKiPiPKlPlN2at6native12_GLOBAL__N_18offset_tEEE10hipError_tPvRmT1_PNSt15iterator_traitsIS12_E10value_typeET2_T3_PNS13_IS18_E10value_typeET4_jRbjT5_S1E_jjP12ihipStream_tbEUljE_ZNSN_ISO_Lb0ESQ_SR_ST_SU_SY_EESZ_S10_S11_S12_S16_S17_S18_S1B_S1C_jS1D_jS1E_S1E_jjS1G_bEUljE0_EEESZ_S10_S11_S18_S1C_S1E_T6_T7_T9_mT8_S1G_bDpT10_ENKUlT_T0_E_clISt17integral_constantIbLb0EES1U_EEDaS1P_S1Q_EUlS1P_E_NS1_11comp_targetILNS1_3genE4ELNS1_11target_archE910ELNS1_3gpuE8ELNS1_3repE0EEENS1_30default_config_static_selectorELNS0_4arch9wavefront6targetE0EEEvS12_
    .private_segment_fixed_size: 0
    .sgpr_count:     0
    .sgpr_spill_count: 0
    .symbol:         _ZN7rocprim17ROCPRIM_400000_NS6detail17trampoline_kernelINS0_13select_configILj256ELj13ELNS0_17block_load_methodE3ELS4_3ELS4_3ELNS0_20block_scan_algorithmE0ELj4294967295EEENS1_25partition_config_selectorILNS1_17partition_subalgoE4EjNS0_10empty_typeEbEEZZNS1_14partition_implILS8_4ELb0ES6_15HIP_vector_typeIjLj2EENS0_17counting_iteratorIjlEEPS9_SG_NS0_5tupleIJPjSI_NS0_16reverse_iteratorISI_EEEEENSH_IJSG_SG_SG_EEES9_SI_JZNS1_25segmented_radix_sort_implINS0_14default_configELb0EPKiPiPKlPlN2at6native12_GLOBAL__N_18offset_tEEE10hipError_tPvRmT1_PNSt15iterator_traitsIS12_E10value_typeET2_T3_PNS13_IS18_E10value_typeET4_jRbjT5_S1E_jjP12ihipStream_tbEUljE_ZNSN_ISO_Lb0ESQ_SR_ST_SU_SY_EESZ_S10_S11_S12_S16_S17_S18_S1B_S1C_jS1D_jS1E_S1E_jjS1G_bEUljE0_EEESZ_S10_S11_S18_S1C_S1E_T6_T7_T9_mT8_S1G_bDpT10_ENKUlT_T0_E_clISt17integral_constantIbLb0EES1U_EEDaS1P_S1Q_EUlS1P_E_NS1_11comp_targetILNS1_3genE4ELNS1_11target_archE910ELNS1_3gpuE8ELNS1_3repE0EEENS1_30default_config_static_selectorELNS0_4arch9wavefront6targetE0EEEvS12_.kd
    .uniform_work_group_size: 1
    .uses_dynamic_stack: false
    .vgpr_count:     0
    .vgpr_spill_count: 0
    .wavefront_size: 32
  - .args:
      - .offset:         0
        .size:           176
        .value_kind:     by_value
    .group_segment_fixed_size: 0
    .kernarg_segment_align: 8
    .kernarg_segment_size: 176
    .language:       OpenCL C
    .language_version:
      - 2
      - 0
    .max_flat_workgroup_size: 256
    .name:           _ZN7rocprim17ROCPRIM_400000_NS6detail17trampoline_kernelINS0_13select_configILj256ELj13ELNS0_17block_load_methodE3ELS4_3ELS4_3ELNS0_20block_scan_algorithmE0ELj4294967295EEENS1_25partition_config_selectorILNS1_17partition_subalgoE4EjNS0_10empty_typeEbEEZZNS1_14partition_implILS8_4ELb0ES6_15HIP_vector_typeIjLj2EENS0_17counting_iteratorIjlEEPS9_SG_NS0_5tupleIJPjSI_NS0_16reverse_iteratorISI_EEEEENSH_IJSG_SG_SG_EEES9_SI_JZNS1_25segmented_radix_sort_implINS0_14default_configELb0EPKiPiPKlPlN2at6native12_GLOBAL__N_18offset_tEEE10hipError_tPvRmT1_PNSt15iterator_traitsIS12_E10value_typeET2_T3_PNS13_IS18_E10value_typeET4_jRbjT5_S1E_jjP12ihipStream_tbEUljE_ZNSN_ISO_Lb0ESQ_SR_ST_SU_SY_EESZ_S10_S11_S12_S16_S17_S18_S1B_S1C_jS1D_jS1E_S1E_jjS1G_bEUljE0_EEESZ_S10_S11_S18_S1C_S1E_T6_T7_T9_mT8_S1G_bDpT10_ENKUlT_T0_E_clISt17integral_constantIbLb0EES1U_EEDaS1P_S1Q_EUlS1P_E_NS1_11comp_targetILNS1_3genE3ELNS1_11target_archE908ELNS1_3gpuE7ELNS1_3repE0EEENS1_30default_config_static_selectorELNS0_4arch9wavefront6targetE0EEEvS12_
    .private_segment_fixed_size: 0
    .sgpr_count:     0
    .sgpr_spill_count: 0
    .symbol:         _ZN7rocprim17ROCPRIM_400000_NS6detail17trampoline_kernelINS0_13select_configILj256ELj13ELNS0_17block_load_methodE3ELS4_3ELS4_3ELNS0_20block_scan_algorithmE0ELj4294967295EEENS1_25partition_config_selectorILNS1_17partition_subalgoE4EjNS0_10empty_typeEbEEZZNS1_14partition_implILS8_4ELb0ES6_15HIP_vector_typeIjLj2EENS0_17counting_iteratorIjlEEPS9_SG_NS0_5tupleIJPjSI_NS0_16reverse_iteratorISI_EEEEENSH_IJSG_SG_SG_EEES9_SI_JZNS1_25segmented_radix_sort_implINS0_14default_configELb0EPKiPiPKlPlN2at6native12_GLOBAL__N_18offset_tEEE10hipError_tPvRmT1_PNSt15iterator_traitsIS12_E10value_typeET2_T3_PNS13_IS18_E10value_typeET4_jRbjT5_S1E_jjP12ihipStream_tbEUljE_ZNSN_ISO_Lb0ESQ_SR_ST_SU_SY_EESZ_S10_S11_S12_S16_S17_S18_S1B_S1C_jS1D_jS1E_S1E_jjS1G_bEUljE0_EEESZ_S10_S11_S18_S1C_S1E_T6_T7_T9_mT8_S1G_bDpT10_ENKUlT_T0_E_clISt17integral_constantIbLb0EES1U_EEDaS1P_S1Q_EUlS1P_E_NS1_11comp_targetILNS1_3genE3ELNS1_11target_archE908ELNS1_3gpuE7ELNS1_3repE0EEENS1_30default_config_static_selectorELNS0_4arch9wavefront6targetE0EEEvS12_.kd
    .uniform_work_group_size: 1
    .uses_dynamic_stack: false
    .vgpr_count:     0
    .vgpr_spill_count: 0
    .wavefront_size: 32
  - .args:
      - .offset:         0
        .size:           176
        .value_kind:     by_value
    .group_segment_fixed_size: 0
    .kernarg_segment_align: 8
    .kernarg_segment_size: 176
    .language:       OpenCL C
    .language_version:
      - 2
      - 0
    .max_flat_workgroup_size: 256
    .name:           _ZN7rocprim17ROCPRIM_400000_NS6detail17trampoline_kernelINS0_13select_configILj256ELj13ELNS0_17block_load_methodE3ELS4_3ELS4_3ELNS0_20block_scan_algorithmE0ELj4294967295EEENS1_25partition_config_selectorILNS1_17partition_subalgoE4EjNS0_10empty_typeEbEEZZNS1_14partition_implILS8_4ELb0ES6_15HIP_vector_typeIjLj2EENS0_17counting_iteratorIjlEEPS9_SG_NS0_5tupleIJPjSI_NS0_16reverse_iteratorISI_EEEEENSH_IJSG_SG_SG_EEES9_SI_JZNS1_25segmented_radix_sort_implINS0_14default_configELb0EPKiPiPKlPlN2at6native12_GLOBAL__N_18offset_tEEE10hipError_tPvRmT1_PNSt15iterator_traitsIS12_E10value_typeET2_T3_PNS13_IS18_E10value_typeET4_jRbjT5_S1E_jjP12ihipStream_tbEUljE_ZNSN_ISO_Lb0ESQ_SR_ST_SU_SY_EESZ_S10_S11_S12_S16_S17_S18_S1B_S1C_jS1D_jS1E_S1E_jjS1G_bEUljE0_EEESZ_S10_S11_S18_S1C_S1E_T6_T7_T9_mT8_S1G_bDpT10_ENKUlT_T0_E_clISt17integral_constantIbLb0EES1U_EEDaS1P_S1Q_EUlS1P_E_NS1_11comp_targetILNS1_3genE2ELNS1_11target_archE906ELNS1_3gpuE6ELNS1_3repE0EEENS1_30default_config_static_selectorELNS0_4arch9wavefront6targetE0EEEvS12_
    .private_segment_fixed_size: 0
    .sgpr_count:     0
    .sgpr_spill_count: 0
    .symbol:         _ZN7rocprim17ROCPRIM_400000_NS6detail17trampoline_kernelINS0_13select_configILj256ELj13ELNS0_17block_load_methodE3ELS4_3ELS4_3ELNS0_20block_scan_algorithmE0ELj4294967295EEENS1_25partition_config_selectorILNS1_17partition_subalgoE4EjNS0_10empty_typeEbEEZZNS1_14partition_implILS8_4ELb0ES6_15HIP_vector_typeIjLj2EENS0_17counting_iteratorIjlEEPS9_SG_NS0_5tupleIJPjSI_NS0_16reverse_iteratorISI_EEEEENSH_IJSG_SG_SG_EEES9_SI_JZNS1_25segmented_radix_sort_implINS0_14default_configELb0EPKiPiPKlPlN2at6native12_GLOBAL__N_18offset_tEEE10hipError_tPvRmT1_PNSt15iterator_traitsIS12_E10value_typeET2_T3_PNS13_IS18_E10value_typeET4_jRbjT5_S1E_jjP12ihipStream_tbEUljE_ZNSN_ISO_Lb0ESQ_SR_ST_SU_SY_EESZ_S10_S11_S12_S16_S17_S18_S1B_S1C_jS1D_jS1E_S1E_jjS1G_bEUljE0_EEESZ_S10_S11_S18_S1C_S1E_T6_T7_T9_mT8_S1G_bDpT10_ENKUlT_T0_E_clISt17integral_constantIbLb0EES1U_EEDaS1P_S1Q_EUlS1P_E_NS1_11comp_targetILNS1_3genE2ELNS1_11target_archE906ELNS1_3gpuE6ELNS1_3repE0EEENS1_30default_config_static_selectorELNS0_4arch9wavefront6targetE0EEEvS12_.kd
    .uniform_work_group_size: 1
    .uses_dynamic_stack: false
    .vgpr_count:     0
    .vgpr_spill_count: 0
    .wavefront_size: 32
  - .args:
      - .offset:         0
        .size:           176
        .value_kind:     by_value
    .group_segment_fixed_size: 0
    .kernarg_segment_align: 8
    .kernarg_segment_size: 176
    .language:       OpenCL C
    .language_version:
      - 2
      - 0
    .max_flat_workgroup_size: 256
    .name:           _ZN7rocprim17ROCPRIM_400000_NS6detail17trampoline_kernelINS0_13select_configILj256ELj13ELNS0_17block_load_methodE3ELS4_3ELS4_3ELNS0_20block_scan_algorithmE0ELj4294967295EEENS1_25partition_config_selectorILNS1_17partition_subalgoE4EjNS0_10empty_typeEbEEZZNS1_14partition_implILS8_4ELb0ES6_15HIP_vector_typeIjLj2EENS0_17counting_iteratorIjlEEPS9_SG_NS0_5tupleIJPjSI_NS0_16reverse_iteratorISI_EEEEENSH_IJSG_SG_SG_EEES9_SI_JZNS1_25segmented_radix_sort_implINS0_14default_configELb0EPKiPiPKlPlN2at6native12_GLOBAL__N_18offset_tEEE10hipError_tPvRmT1_PNSt15iterator_traitsIS12_E10value_typeET2_T3_PNS13_IS18_E10value_typeET4_jRbjT5_S1E_jjP12ihipStream_tbEUljE_ZNSN_ISO_Lb0ESQ_SR_ST_SU_SY_EESZ_S10_S11_S12_S16_S17_S18_S1B_S1C_jS1D_jS1E_S1E_jjS1G_bEUljE0_EEESZ_S10_S11_S18_S1C_S1E_T6_T7_T9_mT8_S1G_bDpT10_ENKUlT_T0_E_clISt17integral_constantIbLb0EES1U_EEDaS1P_S1Q_EUlS1P_E_NS1_11comp_targetILNS1_3genE10ELNS1_11target_archE1200ELNS1_3gpuE4ELNS1_3repE0EEENS1_30default_config_static_selectorELNS0_4arch9wavefront6targetE0EEEvS12_
    .private_segment_fixed_size: 0
    .sgpr_count:     0
    .sgpr_spill_count: 0
    .symbol:         _ZN7rocprim17ROCPRIM_400000_NS6detail17trampoline_kernelINS0_13select_configILj256ELj13ELNS0_17block_load_methodE3ELS4_3ELS4_3ELNS0_20block_scan_algorithmE0ELj4294967295EEENS1_25partition_config_selectorILNS1_17partition_subalgoE4EjNS0_10empty_typeEbEEZZNS1_14partition_implILS8_4ELb0ES6_15HIP_vector_typeIjLj2EENS0_17counting_iteratorIjlEEPS9_SG_NS0_5tupleIJPjSI_NS0_16reverse_iteratorISI_EEEEENSH_IJSG_SG_SG_EEES9_SI_JZNS1_25segmented_radix_sort_implINS0_14default_configELb0EPKiPiPKlPlN2at6native12_GLOBAL__N_18offset_tEEE10hipError_tPvRmT1_PNSt15iterator_traitsIS12_E10value_typeET2_T3_PNS13_IS18_E10value_typeET4_jRbjT5_S1E_jjP12ihipStream_tbEUljE_ZNSN_ISO_Lb0ESQ_SR_ST_SU_SY_EESZ_S10_S11_S12_S16_S17_S18_S1B_S1C_jS1D_jS1E_S1E_jjS1G_bEUljE0_EEESZ_S10_S11_S18_S1C_S1E_T6_T7_T9_mT8_S1G_bDpT10_ENKUlT_T0_E_clISt17integral_constantIbLb0EES1U_EEDaS1P_S1Q_EUlS1P_E_NS1_11comp_targetILNS1_3genE10ELNS1_11target_archE1200ELNS1_3gpuE4ELNS1_3repE0EEENS1_30default_config_static_selectorELNS0_4arch9wavefront6targetE0EEEvS12_.kd
    .uniform_work_group_size: 1
    .uses_dynamic_stack: false
    .vgpr_count:     0
    .vgpr_spill_count: 0
    .wavefront_size: 32
  - .args:
      - .offset:         0
        .size:           176
        .value_kind:     by_value
    .group_segment_fixed_size: 0
    .kernarg_segment_align: 8
    .kernarg_segment_size: 176
    .language:       OpenCL C
    .language_version:
      - 2
      - 0
    .max_flat_workgroup_size: 256
    .name:           _ZN7rocprim17ROCPRIM_400000_NS6detail17trampoline_kernelINS0_13select_configILj256ELj13ELNS0_17block_load_methodE3ELS4_3ELS4_3ELNS0_20block_scan_algorithmE0ELj4294967295EEENS1_25partition_config_selectorILNS1_17partition_subalgoE4EjNS0_10empty_typeEbEEZZNS1_14partition_implILS8_4ELb0ES6_15HIP_vector_typeIjLj2EENS0_17counting_iteratorIjlEEPS9_SG_NS0_5tupleIJPjSI_NS0_16reverse_iteratorISI_EEEEENSH_IJSG_SG_SG_EEES9_SI_JZNS1_25segmented_radix_sort_implINS0_14default_configELb0EPKiPiPKlPlN2at6native12_GLOBAL__N_18offset_tEEE10hipError_tPvRmT1_PNSt15iterator_traitsIS12_E10value_typeET2_T3_PNS13_IS18_E10value_typeET4_jRbjT5_S1E_jjP12ihipStream_tbEUljE_ZNSN_ISO_Lb0ESQ_SR_ST_SU_SY_EESZ_S10_S11_S12_S16_S17_S18_S1B_S1C_jS1D_jS1E_S1E_jjS1G_bEUljE0_EEESZ_S10_S11_S18_S1C_S1E_T6_T7_T9_mT8_S1G_bDpT10_ENKUlT_T0_E_clISt17integral_constantIbLb0EES1U_EEDaS1P_S1Q_EUlS1P_E_NS1_11comp_targetILNS1_3genE9ELNS1_11target_archE1100ELNS1_3gpuE3ELNS1_3repE0EEENS1_30default_config_static_selectorELNS0_4arch9wavefront6targetE0EEEvS12_
    .private_segment_fixed_size: 0
    .sgpr_count:     0
    .sgpr_spill_count: 0
    .symbol:         _ZN7rocprim17ROCPRIM_400000_NS6detail17trampoline_kernelINS0_13select_configILj256ELj13ELNS0_17block_load_methodE3ELS4_3ELS4_3ELNS0_20block_scan_algorithmE0ELj4294967295EEENS1_25partition_config_selectorILNS1_17partition_subalgoE4EjNS0_10empty_typeEbEEZZNS1_14partition_implILS8_4ELb0ES6_15HIP_vector_typeIjLj2EENS0_17counting_iteratorIjlEEPS9_SG_NS0_5tupleIJPjSI_NS0_16reverse_iteratorISI_EEEEENSH_IJSG_SG_SG_EEES9_SI_JZNS1_25segmented_radix_sort_implINS0_14default_configELb0EPKiPiPKlPlN2at6native12_GLOBAL__N_18offset_tEEE10hipError_tPvRmT1_PNSt15iterator_traitsIS12_E10value_typeET2_T3_PNS13_IS18_E10value_typeET4_jRbjT5_S1E_jjP12ihipStream_tbEUljE_ZNSN_ISO_Lb0ESQ_SR_ST_SU_SY_EESZ_S10_S11_S12_S16_S17_S18_S1B_S1C_jS1D_jS1E_S1E_jjS1G_bEUljE0_EEESZ_S10_S11_S18_S1C_S1E_T6_T7_T9_mT8_S1G_bDpT10_ENKUlT_T0_E_clISt17integral_constantIbLb0EES1U_EEDaS1P_S1Q_EUlS1P_E_NS1_11comp_targetILNS1_3genE9ELNS1_11target_archE1100ELNS1_3gpuE3ELNS1_3repE0EEENS1_30default_config_static_selectorELNS0_4arch9wavefront6targetE0EEEvS12_.kd
    .uniform_work_group_size: 1
    .uses_dynamic_stack: false
    .vgpr_count:     0
    .vgpr_spill_count: 0
    .wavefront_size: 32
  - .args:
      - .offset:         0
        .size:           176
        .value_kind:     by_value
    .group_segment_fixed_size: 0
    .kernarg_segment_align: 8
    .kernarg_segment_size: 176
    .language:       OpenCL C
    .language_version:
      - 2
      - 0
    .max_flat_workgroup_size: 256
    .name:           _ZN7rocprim17ROCPRIM_400000_NS6detail17trampoline_kernelINS0_13select_configILj256ELj13ELNS0_17block_load_methodE3ELS4_3ELS4_3ELNS0_20block_scan_algorithmE0ELj4294967295EEENS1_25partition_config_selectorILNS1_17partition_subalgoE4EjNS0_10empty_typeEbEEZZNS1_14partition_implILS8_4ELb0ES6_15HIP_vector_typeIjLj2EENS0_17counting_iteratorIjlEEPS9_SG_NS0_5tupleIJPjSI_NS0_16reverse_iteratorISI_EEEEENSH_IJSG_SG_SG_EEES9_SI_JZNS1_25segmented_radix_sort_implINS0_14default_configELb0EPKiPiPKlPlN2at6native12_GLOBAL__N_18offset_tEEE10hipError_tPvRmT1_PNSt15iterator_traitsIS12_E10value_typeET2_T3_PNS13_IS18_E10value_typeET4_jRbjT5_S1E_jjP12ihipStream_tbEUljE_ZNSN_ISO_Lb0ESQ_SR_ST_SU_SY_EESZ_S10_S11_S12_S16_S17_S18_S1B_S1C_jS1D_jS1E_S1E_jjS1G_bEUljE0_EEESZ_S10_S11_S18_S1C_S1E_T6_T7_T9_mT8_S1G_bDpT10_ENKUlT_T0_E_clISt17integral_constantIbLb0EES1U_EEDaS1P_S1Q_EUlS1P_E_NS1_11comp_targetILNS1_3genE8ELNS1_11target_archE1030ELNS1_3gpuE2ELNS1_3repE0EEENS1_30default_config_static_selectorELNS0_4arch9wavefront6targetE0EEEvS12_
    .private_segment_fixed_size: 0
    .sgpr_count:     0
    .sgpr_spill_count: 0
    .symbol:         _ZN7rocprim17ROCPRIM_400000_NS6detail17trampoline_kernelINS0_13select_configILj256ELj13ELNS0_17block_load_methodE3ELS4_3ELS4_3ELNS0_20block_scan_algorithmE0ELj4294967295EEENS1_25partition_config_selectorILNS1_17partition_subalgoE4EjNS0_10empty_typeEbEEZZNS1_14partition_implILS8_4ELb0ES6_15HIP_vector_typeIjLj2EENS0_17counting_iteratorIjlEEPS9_SG_NS0_5tupleIJPjSI_NS0_16reverse_iteratorISI_EEEEENSH_IJSG_SG_SG_EEES9_SI_JZNS1_25segmented_radix_sort_implINS0_14default_configELb0EPKiPiPKlPlN2at6native12_GLOBAL__N_18offset_tEEE10hipError_tPvRmT1_PNSt15iterator_traitsIS12_E10value_typeET2_T3_PNS13_IS18_E10value_typeET4_jRbjT5_S1E_jjP12ihipStream_tbEUljE_ZNSN_ISO_Lb0ESQ_SR_ST_SU_SY_EESZ_S10_S11_S12_S16_S17_S18_S1B_S1C_jS1D_jS1E_S1E_jjS1G_bEUljE0_EEESZ_S10_S11_S18_S1C_S1E_T6_T7_T9_mT8_S1G_bDpT10_ENKUlT_T0_E_clISt17integral_constantIbLb0EES1U_EEDaS1P_S1Q_EUlS1P_E_NS1_11comp_targetILNS1_3genE8ELNS1_11target_archE1030ELNS1_3gpuE2ELNS1_3repE0EEENS1_30default_config_static_selectorELNS0_4arch9wavefront6targetE0EEEvS12_.kd
    .uniform_work_group_size: 1
    .uses_dynamic_stack: false
    .vgpr_count:     0
    .vgpr_spill_count: 0
    .wavefront_size: 32
  - .args:
      - .offset:         0
        .size:           184
        .value_kind:     by_value
    .group_segment_fixed_size: 0
    .kernarg_segment_align: 8
    .kernarg_segment_size: 184
    .language:       OpenCL C
    .language_version:
      - 2
      - 0
    .max_flat_workgroup_size: 256
    .name:           _ZN7rocprim17ROCPRIM_400000_NS6detail17trampoline_kernelINS0_13select_configILj256ELj13ELNS0_17block_load_methodE3ELS4_3ELS4_3ELNS0_20block_scan_algorithmE0ELj4294967295EEENS1_25partition_config_selectorILNS1_17partition_subalgoE4EjNS0_10empty_typeEbEEZZNS1_14partition_implILS8_4ELb0ES6_15HIP_vector_typeIjLj2EENS0_17counting_iteratorIjlEEPS9_SG_NS0_5tupleIJPjSI_NS0_16reverse_iteratorISI_EEEEENSH_IJSG_SG_SG_EEES9_SI_JZNS1_25segmented_radix_sort_implINS0_14default_configELb0EPKiPiPKlPlN2at6native12_GLOBAL__N_18offset_tEEE10hipError_tPvRmT1_PNSt15iterator_traitsIS12_E10value_typeET2_T3_PNS13_IS18_E10value_typeET4_jRbjT5_S1E_jjP12ihipStream_tbEUljE_ZNSN_ISO_Lb0ESQ_SR_ST_SU_SY_EESZ_S10_S11_S12_S16_S17_S18_S1B_S1C_jS1D_jS1E_S1E_jjS1G_bEUljE0_EEESZ_S10_S11_S18_S1C_S1E_T6_T7_T9_mT8_S1G_bDpT10_ENKUlT_T0_E_clISt17integral_constantIbLb1EES1U_EEDaS1P_S1Q_EUlS1P_E_NS1_11comp_targetILNS1_3genE0ELNS1_11target_archE4294967295ELNS1_3gpuE0ELNS1_3repE0EEENS1_30default_config_static_selectorELNS0_4arch9wavefront6targetE0EEEvS12_
    .private_segment_fixed_size: 0
    .sgpr_count:     0
    .sgpr_spill_count: 0
    .symbol:         _ZN7rocprim17ROCPRIM_400000_NS6detail17trampoline_kernelINS0_13select_configILj256ELj13ELNS0_17block_load_methodE3ELS4_3ELS4_3ELNS0_20block_scan_algorithmE0ELj4294967295EEENS1_25partition_config_selectorILNS1_17partition_subalgoE4EjNS0_10empty_typeEbEEZZNS1_14partition_implILS8_4ELb0ES6_15HIP_vector_typeIjLj2EENS0_17counting_iteratorIjlEEPS9_SG_NS0_5tupleIJPjSI_NS0_16reverse_iteratorISI_EEEEENSH_IJSG_SG_SG_EEES9_SI_JZNS1_25segmented_radix_sort_implINS0_14default_configELb0EPKiPiPKlPlN2at6native12_GLOBAL__N_18offset_tEEE10hipError_tPvRmT1_PNSt15iterator_traitsIS12_E10value_typeET2_T3_PNS13_IS18_E10value_typeET4_jRbjT5_S1E_jjP12ihipStream_tbEUljE_ZNSN_ISO_Lb0ESQ_SR_ST_SU_SY_EESZ_S10_S11_S12_S16_S17_S18_S1B_S1C_jS1D_jS1E_S1E_jjS1G_bEUljE0_EEESZ_S10_S11_S18_S1C_S1E_T6_T7_T9_mT8_S1G_bDpT10_ENKUlT_T0_E_clISt17integral_constantIbLb1EES1U_EEDaS1P_S1Q_EUlS1P_E_NS1_11comp_targetILNS1_3genE0ELNS1_11target_archE4294967295ELNS1_3gpuE0ELNS1_3repE0EEENS1_30default_config_static_selectorELNS0_4arch9wavefront6targetE0EEEvS12_.kd
    .uniform_work_group_size: 1
    .uses_dynamic_stack: false
    .vgpr_count:     0
    .vgpr_spill_count: 0
    .wavefront_size: 32
  - .args:
      - .offset:         0
        .size:           184
        .value_kind:     by_value
    .group_segment_fixed_size: 0
    .kernarg_segment_align: 8
    .kernarg_segment_size: 184
    .language:       OpenCL C
    .language_version:
      - 2
      - 0
    .max_flat_workgroup_size: 256
    .name:           _ZN7rocprim17ROCPRIM_400000_NS6detail17trampoline_kernelINS0_13select_configILj256ELj13ELNS0_17block_load_methodE3ELS4_3ELS4_3ELNS0_20block_scan_algorithmE0ELj4294967295EEENS1_25partition_config_selectorILNS1_17partition_subalgoE4EjNS0_10empty_typeEbEEZZNS1_14partition_implILS8_4ELb0ES6_15HIP_vector_typeIjLj2EENS0_17counting_iteratorIjlEEPS9_SG_NS0_5tupleIJPjSI_NS0_16reverse_iteratorISI_EEEEENSH_IJSG_SG_SG_EEES9_SI_JZNS1_25segmented_radix_sort_implINS0_14default_configELb0EPKiPiPKlPlN2at6native12_GLOBAL__N_18offset_tEEE10hipError_tPvRmT1_PNSt15iterator_traitsIS12_E10value_typeET2_T3_PNS13_IS18_E10value_typeET4_jRbjT5_S1E_jjP12ihipStream_tbEUljE_ZNSN_ISO_Lb0ESQ_SR_ST_SU_SY_EESZ_S10_S11_S12_S16_S17_S18_S1B_S1C_jS1D_jS1E_S1E_jjS1G_bEUljE0_EEESZ_S10_S11_S18_S1C_S1E_T6_T7_T9_mT8_S1G_bDpT10_ENKUlT_T0_E_clISt17integral_constantIbLb1EES1U_EEDaS1P_S1Q_EUlS1P_E_NS1_11comp_targetILNS1_3genE5ELNS1_11target_archE942ELNS1_3gpuE9ELNS1_3repE0EEENS1_30default_config_static_selectorELNS0_4arch9wavefront6targetE0EEEvS12_
    .private_segment_fixed_size: 0
    .sgpr_count:     0
    .sgpr_spill_count: 0
    .symbol:         _ZN7rocprim17ROCPRIM_400000_NS6detail17trampoline_kernelINS0_13select_configILj256ELj13ELNS0_17block_load_methodE3ELS4_3ELS4_3ELNS0_20block_scan_algorithmE0ELj4294967295EEENS1_25partition_config_selectorILNS1_17partition_subalgoE4EjNS0_10empty_typeEbEEZZNS1_14partition_implILS8_4ELb0ES6_15HIP_vector_typeIjLj2EENS0_17counting_iteratorIjlEEPS9_SG_NS0_5tupleIJPjSI_NS0_16reverse_iteratorISI_EEEEENSH_IJSG_SG_SG_EEES9_SI_JZNS1_25segmented_radix_sort_implINS0_14default_configELb0EPKiPiPKlPlN2at6native12_GLOBAL__N_18offset_tEEE10hipError_tPvRmT1_PNSt15iterator_traitsIS12_E10value_typeET2_T3_PNS13_IS18_E10value_typeET4_jRbjT5_S1E_jjP12ihipStream_tbEUljE_ZNSN_ISO_Lb0ESQ_SR_ST_SU_SY_EESZ_S10_S11_S12_S16_S17_S18_S1B_S1C_jS1D_jS1E_S1E_jjS1G_bEUljE0_EEESZ_S10_S11_S18_S1C_S1E_T6_T7_T9_mT8_S1G_bDpT10_ENKUlT_T0_E_clISt17integral_constantIbLb1EES1U_EEDaS1P_S1Q_EUlS1P_E_NS1_11comp_targetILNS1_3genE5ELNS1_11target_archE942ELNS1_3gpuE9ELNS1_3repE0EEENS1_30default_config_static_selectorELNS0_4arch9wavefront6targetE0EEEvS12_.kd
    .uniform_work_group_size: 1
    .uses_dynamic_stack: false
    .vgpr_count:     0
    .vgpr_spill_count: 0
    .wavefront_size: 32
  - .args:
      - .offset:         0
        .size:           184
        .value_kind:     by_value
    .group_segment_fixed_size: 0
    .kernarg_segment_align: 8
    .kernarg_segment_size: 184
    .language:       OpenCL C
    .language_version:
      - 2
      - 0
    .max_flat_workgroup_size: 256
    .name:           _ZN7rocprim17ROCPRIM_400000_NS6detail17trampoline_kernelINS0_13select_configILj256ELj13ELNS0_17block_load_methodE3ELS4_3ELS4_3ELNS0_20block_scan_algorithmE0ELj4294967295EEENS1_25partition_config_selectorILNS1_17partition_subalgoE4EjNS0_10empty_typeEbEEZZNS1_14partition_implILS8_4ELb0ES6_15HIP_vector_typeIjLj2EENS0_17counting_iteratorIjlEEPS9_SG_NS0_5tupleIJPjSI_NS0_16reverse_iteratorISI_EEEEENSH_IJSG_SG_SG_EEES9_SI_JZNS1_25segmented_radix_sort_implINS0_14default_configELb0EPKiPiPKlPlN2at6native12_GLOBAL__N_18offset_tEEE10hipError_tPvRmT1_PNSt15iterator_traitsIS12_E10value_typeET2_T3_PNS13_IS18_E10value_typeET4_jRbjT5_S1E_jjP12ihipStream_tbEUljE_ZNSN_ISO_Lb0ESQ_SR_ST_SU_SY_EESZ_S10_S11_S12_S16_S17_S18_S1B_S1C_jS1D_jS1E_S1E_jjS1G_bEUljE0_EEESZ_S10_S11_S18_S1C_S1E_T6_T7_T9_mT8_S1G_bDpT10_ENKUlT_T0_E_clISt17integral_constantIbLb1EES1U_EEDaS1P_S1Q_EUlS1P_E_NS1_11comp_targetILNS1_3genE4ELNS1_11target_archE910ELNS1_3gpuE8ELNS1_3repE0EEENS1_30default_config_static_selectorELNS0_4arch9wavefront6targetE0EEEvS12_
    .private_segment_fixed_size: 0
    .sgpr_count:     0
    .sgpr_spill_count: 0
    .symbol:         _ZN7rocprim17ROCPRIM_400000_NS6detail17trampoline_kernelINS0_13select_configILj256ELj13ELNS0_17block_load_methodE3ELS4_3ELS4_3ELNS0_20block_scan_algorithmE0ELj4294967295EEENS1_25partition_config_selectorILNS1_17partition_subalgoE4EjNS0_10empty_typeEbEEZZNS1_14partition_implILS8_4ELb0ES6_15HIP_vector_typeIjLj2EENS0_17counting_iteratorIjlEEPS9_SG_NS0_5tupleIJPjSI_NS0_16reverse_iteratorISI_EEEEENSH_IJSG_SG_SG_EEES9_SI_JZNS1_25segmented_radix_sort_implINS0_14default_configELb0EPKiPiPKlPlN2at6native12_GLOBAL__N_18offset_tEEE10hipError_tPvRmT1_PNSt15iterator_traitsIS12_E10value_typeET2_T3_PNS13_IS18_E10value_typeET4_jRbjT5_S1E_jjP12ihipStream_tbEUljE_ZNSN_ISO_Lb0ESQ_SR_ST_SU_SY_EESZ_S10_S11_S12_S16_S17_S18_S1B_S1C_jS1D_jS1E_S1E_jjS1G_bEUljE0_EEESZ_S10_S11_S18_S1C_S1E_T6_T7_T9_mT8_S1G_bDpT10_ENKUlT_T0_E_clISt17integral_constantIbLb1EES1U_EEDaS1P_S1Q_EUlS1P_E_NS1_11comp_targetILNS1_3genE4ELNS1_11target_archE910ELNS1_3gpuE8ELNS1_3repE0EEENS1_30default_config_static_selectorELNS0_4arch9wavefront6targetE0EEEvS12_.kd
    .uniform_work_group_size: 1
    .uses_dynamic_stack: false
    .vgpr_count:     0
    .vgpr_spill_count: 0
    .wavefront_size: 32
  - .args:
      - .offset:         0
        .size:           184
        .value_kind:     by_value
    .group_segment_fixed_size: 0
    .kernarg_segment_align: 8
    .kernarg_segment_size: 184
    .language:       OpenCL C
    .language_version:
      - 2
      - 0
    .max_flat_workgroup_size: 256
    .name:           _ZN7rocprim17ROCPRIM_400000_NS6detail17trampoline_kernelINS0_13select_configILj256ELj13ELNS0_17block_load_methodE3ELS4_3ELS4_3ELNS0_20block_scan_algorithmE0ELj4294967295EEENS1_25partition_config_selectorILNS1_17partition_subalgoE4EjNS0_10empty_typeEbEEZZNS1_14partition_implILS8_4ELb0ES6_15HIP_vector_typeIjLj2EENS0_17counting_iteratorIjlEEPS9_SG_NS0_5tupleIJPjSI_NS0_16reverse_iteratorISI_EEEEENSH_IJSG_SG_SG_EEES9_SI_JZNS1_25segmented_radix_sort_implINS0_14default_configELb0EPKiPiPKlPlN2at6native12_GLOBAL__N_18offset_tEEE10hipError_tPvRmT1_PNSt15iterator_traitsIS12_E10value_typeET2_T3_PNS13_IS18_E10value_typeET4_jRbjT5_S1E_jjP12ihipStream_tbEUljE_ZNSN_ISO_Lb0ESQ_SR_ST_SU_SY_EESZ_S10_S11_S12_S16_S17_S18_S1B_S1C_jS1D_jS1E_S1E_jjS1G_bEUljE0_EEESZ_S10_S11_S18_S1C_S1E_T6_T7_T9_mT8_S1G_bDpT10_ENKUlT_T0_E_clISt17integral_constantIbLb1EES1U_EEDaS1P_S1Q_EUlS1P_E_NS1_11comp_targetILNS1_3genE3ELNS1_11target_archE908ELNS1_3gpuE7ELNS1_3repE0EEENS1_30default_config_static_selectorELNS0_4arch9wavefront6targetE0EEEvS12_
    .private_segment_fixed_size: 0
    .sgpr_count:     0
    .sgpr_spill_count: 0
    .symbol:         _ZN7rocprim17ROCPRIM_400000_NS6detail17trampoline_kernelINS0_13select_configILj256ELj13ELNS0_17block_load_methodE3ELS4_3ELS4_3ELNS0_20block_scan_algorithmE0ELj4294967295EEENS1_25partition_config_selectorILNS1_17partition_subalgoE4EjNS0_10empty_typeEbEEZZNS1_14partition_implILS8_4ELb0ES6_15HIP_vector_typeIjLj2EENS0_17counting_iteratorIjlEEPS9_SG_NS0_5tupleIJPjSI_NS0_16reverse_iteratorISI_EEEEENSH_IJSG_SG_SG_EEES9_SI_JZNS1_25segmented_radix_sort_implINS0_14default_configELb0EPKiPiPKlPlN2at6native12_GLOBAL__N_18offset_tEEE10hipError_tPvRmT1_PNSt15iterator_traitsIS12_E10value_typeET2_T3_PNS13_IS18_E10value_typeET4_jRbjT5_S1E_jjP12ihipStream_tbEUljE_ZNSN_ISO_Lb0ESQ_SR_ST_SU_SY_EESZ_S10_S11_S12_S16_S17_S18_S1B_S1C_jS1D_jS1E_S1E_jjS1G_bEUljE0_EEESZ_S10_S11_S18_S1C_S1E_T6_T7_T9_mT8_S1G_bDpT10_ENKUlT_T0_E_clISt17integral_constantIbLb1EES1U_EEDaS1P_S1Q_EUlS1P_E_NS1_11comp_targetILNS1_3genE3ELNS1_11target_archE908ELNS1_3gpuE7ELNS1_3repE0EEENS1_30default_config_static_selectorELNS0_4arch9wavefront6targetE0EEEvS12_.kd
    .uniform_work_group_size: 1
    .uses_dynamic_stack: false
    .vgpr_count:     0
    .vgpr_spill_count: 0
    .wavefront_size: 32
  - .args:
      - .offset:         0
        .size:           184
        .value_kind:     by_value
    .group_segment_fixed_size: 0
    .kernarg_segment_align: 8
    .kernarg_segment_size: 184
    .language:       OpenCL C
    .language_version:
      - 2
      - 0
    .max_flat_workgroup_size: 256
    .name:           _ZN7rocprim17ROCPRIM_400000_NS6detail17trampoline_kernelINS0_13select_configILj256ELj13ELNS0_17block_load_methodE3ELS4_3ELS4_3ELNS0_20block_scan_algorithmE0ELj4294967295EEENS1_25partition_config_selectorILNS1_17partition_subalgoE4EjNS0_10empty_typeEbEEZZNS1_14partition_implILS8_4ELb0ES6_15HIP_vector_typeIjLj2EENS0_17counting_iteratorIjlEEPS9_SG_NS0_5tupleIJPjSI_NS0_16reverse_iteratorISI_EEEEENSH_IJSG_SG_SG_EEES9_SI_JZNS1_25segmented_radix_sort_implINS0_14default_configELb0EPKiPiPKlPlN2at6native12_GLOBAL__N_18offset_tEEE10hipError_tPvRmT1_PNSt15iterator_traitsIS12_E10value_typeET2_T3_PNS13_IS18_E10value_typeET4_jRbjT5_S1E_jjP12ihipStream_tbEUljE_ZNSN_ISO_Lb0ESQ_SR_ST_SU_SY_EESZ_S10_S11_S12_S16_S17_S18_S1B_S1C_jS1D_jS1E_S1E_jjS1G_bEUljE0_EEESZ_S10_S11_S18_S1C_S1E_T6_T7_T9_mT8_S1G_bDpT10_ENKUlT_T0_E_clISt17integral_constantIbLb1EES1U_EEDaS1P_S1Q_EUlS1P_E_NS1_11comp_targetILNS1_3genE2ELNS1_11target_archE906ELNS1_3gpuE6ELNS1_3repE0EEENS1_30default_config_static_selectorELNS0_4arch9wavefront6targetE0EEEvS12_
    .private_segment_fixed_size: 0
    .sgpr_count:     0
    .sgpr_spill_count: 0
    .symbol:         _ZN7rocprim17ROCPRIM_400000_NS6detail17trampoline_kernelINS0_13select_configILj256ELj13ELNS0_17block_load_methodE3ELS4_3ELS4_3ELNS0_20block_scan_algorithmE0ELj4294967295EEENS1_25partition_config_selectorILNS1_17partition_subalgoE4EjNS0_10empty_typeEbEEZZNS1_14partition_implILS8_4ELb0ES6_15HIP_vector_typeIjLj2EENS0_17counting_iteratorIjlEEPS9_SG_NS0_5tupleIJPjSI_NS0_16reverse_iteratorISI_EEEEENSH_IJSG_SG_SG_EEES9_SI_JZNS1_25segmented_radix_sort_implINS0_14default_configELb0EPKiPiPKlPlN2at6native12_GLOBAL__N_18offset_tEEE10hipError_tPvRmT1_PNSt15iterator_traitsIS12_E10value_typeET2_T3_PNS13_IS18_E10value_typeET4_jRbjT5_S1E_jjP12ihipStream_tbEUljE_ZNSN_ISO_Lb0ESQ_SR_ST_SU_SY_EESZ_S10_S11_S12_S16_S17_S18_S1B_S1C_jS1D_jS1E_S1E_jjS1G_bEUljE0_EEESZ_S10_S11_S18_S1C_S1E_T6_T7_T9_mT8_S1G_bDpT10_ENKUlT_T0_E_clISt17integral_constantIbLb1EES1U_EEDaS1P_S1Q_EUlS1P_E_NS1_11comp_targetILNS1_3genE2ELNS1_11target_archE906ELNS1_3gpuE6ELNS1_3repE0EEENS1_30default_config_static_selectorELNS0_4arch9wavefront6targetE0EEEvS12_.kd
    .uniform_work_group_size: 1
    .uses_dynamic_stack: false
    .vgpr_count:     0
    .vgpr_spill_count: 0
    .wavefront_size: 32
  - .args:
      - .offset:         0
        .size:           184
        .value_kind:     by_value
    .group_segment_fixed_size: 0
    .kernarg_segment_align: 8
    .kernarg_segment_size: 184
    .language:       OpenCL C
    .language_version:
      - 2
      - 0
    .max_flat_workgroup_size: 256
    .name:           _ZN7rocprim17ROCPRIM_400000_NS6detail17trampoline_kernelINS0_13select_configILj256ELj13ELNS0_17block_load_methodE3ELS4_3ELS4_3ELNS0_20block_scan_algorithmE0ELj4294967295EEENS1_25partition_config_selectorILNS1_17partition_subalgoE4EjNS0_10empty_typeEbEEZZNS1_14partition_implILS8_4ELb0ES6_15HIP_vector_typeIjLj2EENS0_17counting_iteratorIjlEEPS9_SG_NS0_5tupleIJPjSI_NS0_16reverse_iteratorISI_EEEEENSH_IJSG_SG_SG_EEES9_SI_JZNS1_25segmented_radix_sort_implINS0_14default_configELb0EPKiPiPKlPlN2at6native12_GLOBAL__N_18offset_tEEE10hipError_tPvRmT1_PNSt15iterator_traitsIS12_E10value_typeET2_T3_PNS13_IS18_E10value_typeET4_jRbjT5_S1E_jjP12ihipStream_tbEUljE_ZNSN_ISO_Lb0ESQ_SR_ST_SU_SY_EESZ_S10_S11_S12_S16_S17_S18_S1B_S1C_jS1D_jS1E_S1E_jjS1G_bEUljE0_EEESZ_S10_S11_S18_S1C_S1E_T6_T7_T9_mT8_S1G_bDpT10_ENKUlT_T0_E_clISt17integral_constantIbLb1EES1U_EEDaS1P_S1Q_EUlS1P_E_NS1_11comp_targetILNS1_3genE10ELNS1_11target_archE1200ELNS1_3gpuE4ELNS1_3repE0EEENS1_30default_config_static_selectorELNS0_4arch9wavefront6targetE0EEEvS12_
    .private_segment_fixed_size: 0
    .sgpr_count:     0
    .sgpr_spill_count: 0
    .symbol:         _ZN7rocprim17ROCPRIM_400000_NS6detail17trampoline_kernelINS0_13select_configILj256ELj13ELNS0_17block_load_methodE3ELS4_3ELS4_3ELNS0_20block_scan_algorithmE0ELj4294967295EEENS1_25partition_config_selectorILNS1_17partition_subalgoE4EjNS0_10empty_typeEbEEZZNS1_14partition_implILS8_4ELb0ES6_15HIP_vector_typeIjLj2EENS0_17counting_iteratorIjlEEPS9_SG_NS0_5tupleIJPjSI_NS0_16reverse_iteratorISI_EEEEENSH_IJSG_SG_SG_EEES9_SI_JZNS1_25segmented_radix_sort_implINS0_14default_configELb0EPKiPiPKlPlN2at6native12_GLOBAL__N_18offset_tEEE10hipError_tPvRmT1_PNSt15iterator_traitsIS12_E10value_typeET2_T3_PNS13_IS18_E10value_typeET4_jRbjT5_S1E_jjP12ihipStream_tbEUljE_ZNSN_ISO_Lb0ESQ_SR_ST_SU_SY_EESZ_S10_S11_S12_S16_S17_S18_S1B_S1C_jS1D_jS1E_S1E_jjS1G_bEUljE0_EEESZ_S10_S11_S18_S1C_S1E_T6_T7_T9_mT8_S1G_bDpT10_ENKUlT_T0_E_clISt17integral_constantIbLb1EES1U_EEDaS1P_S1Q_EUlS1P_E_NS1_11comp_targetILNS1_3genE10ELNS1_11target_archE1200ELNS1_3gpuE4ELNS1_3repE0EEENS1_30default_config_static_selectorELNS0_4arch9wavefront6targetE0EEEvS12_.kd
    .uniform_work_group_size: 1
    .uses_dynamic_stack: false
    .vgpr_count:     0
    .vgpr_spill_count: 0
    .wavefront_size: 32
  - .args:
      - .offset:         0
        .size:           184
        .value_kind:     by_value
    .group_segment_fixed_size: 0
    .kernarg_segment_align: 8
    .kernarg_segment_size: 184
    .language:       OpenCL C
    .language_version:
      - 2
      - 0
    .max_flat_workgroup_size: 256
    .name:           _ZN7rocprim17ROCPRIM_400000_NS6detail17trampoline_kernelINS0_13select_configILj256ELj13ELNS0_17block_load_methodE3ELS4_3ELS4_3ELNS0_20block_scan_algorithmE0ELj4294967295EEENS1_25partition_config_selectorILNS1_17partition_subalgoE4EjNS0_10empty_typeEbEEZZNS1_14partition_implILS8_4ELb0ES6_15HIP_vector_typeIjLj2EENS0_17counting_iteratorIjlEEPS9_SG_NS0_5tupleIJPjSI_NS0_16reverse_iteratorISI_EEEEENSH_IJSG_SG_SG_EEES9_SI_JZNS1_25segmented_radix_sort_implINS0_14default_configELb0EPKiPiPKlPlN2at6native12_GLOBAL__N_18offset_tEEE10hipError_tPvRmT1_PNSt15iterator_traitsIS12_E10value_typeET2_T3_PNS13_IS18_E10value_typeET4_jRbjT5_S1E_jjP12ihipStream_tbEUljE_ZNSN_ISO_Lb0ESQ_SR_ST_SU_SY_EESZ_S10_S11_S12_S16_S17_S18_S1B_S1C_jS1D_jS1E_S1E_jjS1G_bEUljE0_EEESZ_S10_S11_S18_S1C_S1E_T6_T7_T9_mT8_S1G_bDpT10_ENKUlT_T0_E_clISt17integral_constantIbLb1EES1U_EEDaS1P_S1Q_EUlS1P_E_NS1_11comp_targetILNS1_3genE9ELNS1_11target_archE1100ELNS1_3gpuE3ELNS1_3repE0EEENS1_30default_config_static_selectorELNS0_4arch9wavefront6targetE0EEEvS12_
    .private_segment_fixed_size: 0
    .sgpr_count:     0
    .sgpr_spill_count: 0
    .symbol:         _ZN7rocprim17ROCPRIM_400000_NS6detail17trampoline_kernelINS0_13select_configILj256ELj13ELNS0_17block_load_methodE3ELS4_3ELS4_3ELNS0_20block_scan_algorithmE0ELj4294967295EEENS1_25partition_config_selectorILNS1_17partition_subalgoE4EjNS0_10empty_typeEbEEZZNS1_14partition_implILS8_4ELb0ES6_15HIP_vector_typeIjLj2EENS0_17counting_iteratorIjlEEPS9_SG_NS0_5tupleIJPjSI_NS0_16reverse_iteratorISI_EEEEENSH_IJSG_SG_SG_EEES9_SI_JZNS1_25segmented_radix_sort_implINS0_14default_configELb0EPKiPiPKlPlN2at6native12_GLOBAL__N_18offset_tEEE10hipError_tPvRmT1_PNSt15iterator_traitsIS12_E10value_typeET2_T3_PNS13_IS18_E10value_typeET4_jRbjT5_S1E_jjP12ihipStream_tbEUljE_ZNSN_ISO_Lb0ESQ_SR_ST_SU_SY_EESZ_S10_S11_S12_S16_S17_S18_S1B_S1C_jS1D_jS1E_S1E_jjS1G_bEUljE0_EEESZ_S10_S11_S18_S1C_S1E_T6_T7_T9_mT8_S1G_bDpT10_ENKUlT_T0_E_clISt17integral_constantIbLb1EES1U_EEDaS1P_S1Q_EUlS1P_E_NS1_11comp_targetILNS1_3genE9ELNS1_11target_archE1100ELNS1_3gpuE3ELNS1_3repE0EEENS1_30default_config_static_selectorELNS0_4arch9wavefront6targetE0EEEvS12_.kd
    .uniform_work_group_size: 1
    .uses_dynamic_stack: false
    .vgpr_count:     0
    .vgpr_spill_count: 0
    .wavefront_size: 32
  - .args:
      - .offset:         0
        .size:           184
        .value_kind:     by_value
    .group_segment_fixed_size: 0
    .kernarg_segment_align: 8
    .kernarg_segment_size: 184
    .language:       OpenCL C
    .language_version:
      - 2
      - 0
    .max_flat_workgroup_size: 256
    .name:           _ZN7rocprim17ROCPRIM_400000_NS6detail17trampoline_kernelINS0_13select_configILj256ELj13ELNS0_17block_load_methodE3ELS4_3ELS4_3ELNS0_20block_scan_algorithmE0ELj4294967295EEENS1_25partition_config_selectorILNS1_17partition_subalgoE4EjNS0_10empty_typeEbEEZZNS1_14partition_implILS8_4ELb0ES6_15HIP_vector_typeIjLj2EENS0_17counting_iteratorIjlEEPS9_SG_NS0_5tupleIJPjSI_NS0_16reverse_iteratorISI_EEEEENSH_IJSG_SG_SG_EEES9_SI_JZNS1_25segmented_radix_sort_implINS0_14default_configELb0EPKiPiPKlPlN2at6native12_GLOBAL__N_18offset_tEEE10hipError_tPvRmT1_PNSt15iterator_traitsIS12_E10value_typeET2_T3_PNS13_IS18_E10value_typeET4_jRbjT5_S1E_jjP12ihipStream_tbEUljE_ZNSN_ISO_Lb0ESQ_SR_ST_SU_SY_EESZ_S10_S11_S12_S16_S17_S18_S1B_S1C_jS1D_jS1E_S1E_jjS1G_bEUljE0_EEESZ_S10_S11_S18_S1C_S1E_T6_T7_T9_mT8_S1G_bDpT10_ENKUlT_T0_E_clISt17integral_constantIbLb1EES1U_EEDaS1P_S1Q_EUlS1P_E_NS1_11comp_targetILNS1_3genE8ELNS1_11target_archE1030ELNS1_3gpuE2ELNS1_3repE0EEENS1_30default_config_static_selectorELNS0_4arch9wavefront6targetE0EEEvS12_
    .private_segment_fixed_size: 0
    .sgpr_count:     0
    .sgpr_spill_count: 0
    .symbol:         _ZN7rocprim17ROCPRIM_400000_NS6detail17trampoline_kernelINS0_13select_configILj256ELj13ELNS0_17block_load_methodE3ELS4_3ELS4_3ELNS0_20block_scan_algorithmE0ELj4294967295EEENS1_25partition_config_selectorILNS1_17partition_subalgoE4EjNS0_10empty_typeEbEEZZNS1_14partition_implILS8_4ELb0ES6_15HIP_vector_typeIjLj2EENS0_17counting_iteratorIjlEEPS9_SG_NS0_5tupleIJPjSI_NS0_16reverse_iteratorISI_EEEEENSH_IJSG_SG_SG_EEES9_SI_JZNS1_25segmented_radix_sort_implINS0_14default_configELb0EPKiPiPKlPlN2at6native12_GLOBAL__N_18offset_tEEE10hipError_tPvRmT1_PNSt15iterator_traitsIS12_E10value_typeET2_T3_PNS13_IS18_E10value_typeET4_jRbjT5_S1E_jjP12ihipStream_tbEUljE_ZNSN_ISO_Lb0ESQ_SR_ST_SU_SY_EESZ_S10_S11_S12_S16_S17_S18_S1B_S1C_jS1D_jS1E_S1E_jjS1G_bEUljE0_EEESZ_S10_S11_S18_S1C_S1E_T6_T7_T9_mT8_S1G_bDpT10_ENKUlT_T0_E_clISt17integral_constantIbLb1EES1U_EEDaS1P_S1Q_EUlS1P_E_NS1_11comp_targetILNS1_3genE8ELNS1_11target_archE1030ELNS1_3gpuE2ELNS1_3repE0EEENS1_30default_config_static_selectorELNS0_4arch9wavefront6targetE0EEEvS12_.kd
    .uniform_work_group_size: 1
    .uses_dynamic_stack: false
    .vgpr_count:     0
    .vgpr_spill_count: 0
    .wavefront_size: 32
  - .args:
      - .offset:         0
        .size:           176
        .value_kind:     by_value
    .group_segment_fixed_size: 0
    .kernarg_segment_align: 8
    .kernarg_segment_size: 176
    .language:       OpenCL C
    .language_version:
      - 2
      - 0
    .max_flat_workgroup_size: 256
    .name:           _ZN7rocprim17ROCPRIM_400000_NS6detail17trampoline_kernelINS0_13select_configILj256ELj13ELNS0_17block_load_methodE3ELS4_3ELS4_3ELNS0_20block_scan_algorithmE0ELj4294967295EEENS1_25partition_config_selectorILNS1_17partition_subalgoE4EjNS0_10empty_typeEbEEZZNS1_14partition_implILS8_4ELb0ES6_15HIP_vector_typeIjLj2EENS0_17counting_iteratorIjlEEPS9_SG_NS0_5tupleIJPjSI_NS0_16reverse_iteratorISI_EEEEENSH_IJSG_SG_SG_EEES9_SI_JZNS1_25segmented_radix_sort_implINS0_14default_configELb0EPKiPiPKlPlN2at6native12_GLOBAL__N_18offset_tEEE10hipError_tPvRmT1_PNSt15iterator_traitsIS12_E10value_typeET2_T3_PNS13_IS18_E10value_typeET4_jRbjT5_S1E_jjP12ihipStream_tbEUljE_ZNSN_ISO_Lb0ESQ_SR_ST_SU_SY_EESZ_S10_S11_S12_S16_S17_S18_S1B_S1C_jS1D_jS1E_S1E_jjS1G_bEUljE0_EEESZ_S10_S11_S18_S1C_S1E_T6_T7_T9_mT8_S1G_bDpT10_ENKUlT_T0_E_clISt17integral_constantIbLb1EES1T_IbLb0EEEEDaS1P_S1Q_EUlS1P_E_NS1_11comp_targetILNS1_3genE0ELNS1_11target_archE4294967295ELNS1_3gpuE0ELNS1_3repE0EEENS1_30default_config_static_selectorELNS0_4arch9wavefront6targetE0EEEvS12_
    .private_segment_fixed_size: 0
    .sgpr_count:     0
    .sgpr_spill_count: 0
    .symbol:         _ZN7rocprim17ROCPRIM_400000_NS6detail17trampoline_kernelINS0_13select_configILj256ELj13ELNS0_17block_load_methodE3ELS4_3ELS4_3ELNS0_20block_scan_algorithmE0ELj4294967295EEENS1_25partition_config_selectorILNS1_17partition_subalgoE4EjNS0_10empty_typeEbEEZZNS1_14partition_implILS8_4ELb0ES6_15HIP_vector_typeIjLj2EENS0_17counting_iteratorIjlEEPS9_SG_NS0_5tupleIJPjSI_NS0_16reverse_iteratorISI_EEEEENSH_IJSG_SG_SG_EEES9_SI_JZNS1_25segmented_radix_sort_implINS0_14default_configELb0EPKiPiPKlPlN2at6native12_GLOBAL__N_18offset_tEEE10hipError_tPvRmT1_PNSt15iterator_traitsIS12_E10value_typeET2_T3_PNS13_IS18_E10value_typeET4_jRbjT5_S1E_jjP12ihipStream_tbEUljE_ZNSN_ISO_Lb0ESQ_SR_ST_SU_SY_EESZ_S10_S11_S12_S16_S17_S18_S1B_S1C_jS1D_jS1E_S1E_jjS1G_bEUljE0_EEESZ_S10_S11_S18_S1C_S1E_T6_T7_T9_mT8_S1G_bDpT10_ENKUlT_T0_E_clISt17integral_constantIbLb1EES1T_IbLb0EEEEDaS1P_S1Q_EUlS1P_E_NS1_11comp_targetILNS1_3genE0ELNS1_11target_archE4294967295ELNS1_3gpuE0ELNS1_3repE0EEENS1_30default_config_static_selectorELNS0_4arch9wavefront6targetE0EEEvS12_.kd
    .uniform_work_group_size: 1
    .uses_dynamic_stack: false
    .vgpr_count:     0
    .vgpr_spill_count: 0
    .wavefront_size: 32
  - .args:
      - .offset:         0
        .size:           176
        .value_kind:     by_value
    .group_segment_fixed_size: 0
    .kernarg_segment_align: 8
    .kernarg_segment_size: 176
    .language:       OpenCL C
    .language_version:
      - 2
      - 0
    .max_flat_workgroup_size: 256
    .name:           _ZN7rocprim17ROCPRIM_400000_NS6detail17trampoline_kernelINS0_13select_configILj256ELj13ELNS0_17block_load_methodE3ELS4_3ELS4_3ELNS0_20block_scan_algorithmE0ELj4294967295EEENS1_25partition_config_selectorILNS1_17partition_subalgoE4EjNS0_10empty_typeEbEEZZNS1_14partition_implILS8_4ELb0ES6_15HIP_vector_typeIjLj2EENS0_17counting_iteratorIjlEEPS9_SG_NS0_5tupleIJPjSI_NS0_16reverse_iteratorISI_EEEEENSH_IJSG_SG_SG_EEES9_SI_JZNS1_25segmented_radix_sort_implINS0_14default_configELb0EPKiPiPKlPlN2at6native12_GLOBAL__N_18offset_tEEE10hipError_tPvRmT1_PNSt15iterator_traitsIS12_E10value_typeET2_T3_PNS13_IS18_E10value_typeET4_jRbjT5_S1E_jjP12ihipStream_tbEUljE_ZNSN_ISO_Lb0ESQ_SR_ST_SU_SY_EESZ_S10_S11_S12_S16_S17_S18_S1B_S1C_jS1D_jS1E_S1E_jjS1G_bEUljE0_EEESZ_S10_S11_S18_S1C_S1E_T6_T7_T9_mT8_S1G_bDpT10_ENKUlT_T0_E_clISt17integral_constantIbLb1EES1T_IbLb0EEEEDaS1P_S1Q_EUlS1P_E_NS1_11comp_targetILNS1_3genE5ELNS1_11target_archE942ELNS1_3gpuE9ELNS1_3repE0EEENS1_30default_config_static_selectorELNS0_4arch9wavefront6targetE0EEEvS12_
    .private_segment_fixed_size: 0
    .sgpr_count:     0
    .sgpr_spill_count: 0
    .symbol:         _ZN7rocprim17ROCPRIM_400000_NS6detail17trampoline_kernelINS0_13select_configILj256ELj13ELNS0_17block_load_methodE3ELS4_3ELS4_3ELNS0_20block_scan_algorithmE0ELj4294967295EEENS1_25partition_config_selectorILNS1_17partition_subalgoE4EjNS0_10empty_typeEbEEZZNS1_14partition_implILS8_4ELb0ES6_15HIP_vector_typeIjLj2EENS0_17counting_iteratorIjlEEPS9_SG_NS0_5tupleIJPjSI_NS0_16reverse_iteratorISI_EEEEENSH_IJSG_SG_SG_EEES9_SI_JZNS1_25segmented_radix_sort_implINS0_14default_configELb0EPKiPiPKlPlN2at6native12_GLOBAL__N_18offset_tEEE10hipError_tPvRmT1_PNSt15iterator_traitsIS12_E10value_typeET2_T3_PNS13_IS18_E10value_typeET4_jRbjT5_S1E_jjP12ihipStream_tbEUljE_ZNSN_ISO_Lb0ESQ_SR_ST_SU_SY_EESZ_S10_S11_S12_S16_S17_S18_S1B_S1C_jS1D_jS1E_S1E_jjS1G_bEUljE0_EEESZ_S10_S11_S18_S1C_S1E_T6_T7_T9_mT8_S1G_bDpT10_ENKUlT_T0_E_clISt17integral_constantIbLb1EES1T_IbLb0EEEEDaS1P_S1Q_EUlS1P_E_NS1_11comp_targetILNS1_3genE5ELNS1_11target_archE942ELNS1_3gpuE9ELNS1_3repE0EEENS1_30default_config_static_selectorELNS0_4arch9wavefront6targetE0EEEvS12_.kd
    .uniform_work_group_size: 1
    .uses_dynamic_stack: false
    .vgpr_count:     0
    .vgpr_spill_count: 0
    .wavefront_size: 32
  - .args:
      - .offset:         0
        .size:           176
        .value_kind:     by_value
    .group_segment_fixed_size: 0
    .kernarg_segment_align: 8
    .kernarg_segment_size: 176
    .language:       OpenCL C
    .language_version:
      - 2
      - 0
    .max_flat_workgroup_size: 256
    .name:           _ZN7rocprim17ROCPRIM_400000_NS6detail17trampoline_kernelINS0_13select_configILj256ELj13ELNS0_17block_load_methodE3ELS4_3ELS4_3ELNS0_20block_scan_algorithmE0ELj4294967295EEENS1_25partition_config_selectorILNS1_17partition_subalgoE4EjNS0_10empty_typeEbEEZZNS1_14partition_implILS8_4ELb0ES6_15HIP_vector_typeIjLj2EENS0_17counting_iteratorIjlEEPS9_SG_NS0_5tupleIJPjSI_NS0_16reverse_iteratorISI_EEEEENSH_IJSG_SG_SG_EEES9_SI_JZNS1_25segmented_radix_sort_implINS0_14default_configELb0EPKiPiPKlPlN2at6native12_GLOBAL__N_18offset_tEEE10hipError_tPvRmT1_PNSt15iterator_traitsIS12_E10value_typeET2_T3_PNS13_IS18_E10value_typeET4_jRbjT5_S1E_jjP12ihipStream_tbEUljE_ZNSN_ISO_Lb0ESQ_SR_ST_SU_SY_EESZ_S10_S11_S12_S16_S17_S18_S1B_S1C_jS1D_jS1E_S1E_jjS1G_bEUljE0_EEESZ_S10_S11_S18_S1C_S1E_T6_T7_T9_mT8_S1G_bDpT10_ENKUlT_T0_E_clISt17integral_constantIbLb1EES1T_IbLb0EEEEDaS1P_S1Q_EUlS1P_E_NS1_11comp_targetILNS1_3genE4ELNS1_11target_archE910ELNS1_3gpuE8ELNS1_3repE0EEENS1_30default_config_static_selectorELNS0_4arch9wavefront6targetE0EEEvS12_
    .private_segment_fixed_size: 0
    .sgpr_count:     0
    .sgpr_spill_count: 0
    .symbol:         _ZN7rocprim17ROCPRIM_400000_NS6detail17trampoline_kernelINS0_13select_configILj256ELj13ELNS0_17block_load_methodE3ELS4_3ELS4_3ELNS0_20block_scan_algorithmE0ELj4294967295EEENS1_25partition_config_selectorILNS1_17partition_subalgoE4EjNS0_10empty_typeEbEEZZNS1_14partition_implILS8_4ELb0ES6_15HIP_vector_typeIjLj2EENS0_17counting_iteratorIjlEEPS9_SG_NS0_5tupleIJPjSI_NS0_16reverse_iteratorISI_EEEEENSH_IJSG_SG_SG_EEES9_SI_JZNS1_25segmented_radix_sort_implINS0_14default_configELb0EPKiPiPKlPlN2at6native12_GLOBAL__N_18offset_tEEE10hipError_tPvRmT1_PNSt15iterator_traitsIS12_E10value_typeET2_T3_PNS13_IS18_E10value_typeET4_jRbjT5_S1E_jjP12ihipStream_tbEUljE_ZNSN_ISO_Lb0ESQ_SR_ST_SU_SY_EESZ_S10_S11_S12_S16_S17_S18_S1B_S1C_jS1D_jS1E_S1E_jjS1G_bEUljE0_EEESZ_S10_S11_S18_S1C_S1E_T6_T7_T9_mT8_S1G_bDpT10_ENKUlT_T0_E_clISt17integral_constantIbLb1EES1T_IbLb0EEEEDaS1P_S1Q_EUlS1P_E_NS1_11comp_targetILNS1_3genE4ELNS1_11target_archE910ELNS1_3gpuE8ELNS1_3repE0EEENS1_30default_config_static_selectorELNS0_4arch9wavefront6targetE0EEEvS12_.kd
    .uniform_work_group_size: 1
    .uses_dynamic_stack: false
    .vgpr_count:     0
    .vgpr_spill_count: 0
    .wavefront_size: 32
  - .args:
      - .offset:         0
        .size:           176
        .value_kind:     by_value
    .group_segment_fixed_size: 0
    .kernarg_segment_align: 8
    .kernarg_segment_size: 176
    .language:       OpenCL C
    .language_version:
      - 2
      - 0
    .max_flat_workgroup_size: 256
    .name:           _ZN7rocprim17ROCPRIM_400000_NS6detail17trampoline_kernelINS0_13select_configILj256ELj13ELNS0_17block_load_methodE3ELS4_3ELS4_3ELNS0_20block_scan_algorithmE0ELj4294967295EEENS1_25partition_config_selectorILNS1_17partition_subalgoE4EjNS0_10empty_typeEbEEZZNS1_14partition_implILS8_4ELb0ES6_15HIP_vector_typeIjLj2EENS0_17counting_iteratorIjlEEPS9_SG_NS0_5tupleIJPjSI_NS0_16reverse_iteratorISI_EEEEENSH_IJSG_SG_SG_EEES9_SI_JZNS1_25segmented_radix_sort_implINS0_14default_configELb0EPKiPiPKlPlN2at6native12_GLOBAL__N_18offset_tEEE10hipError_tPvRmT1_PNSt15iterator_traitsIS12_E10value_typeET2_T3_PNS13_IS18_E10value_typeET4_jRbjT5_S1E_jjP12ihipStream_tbEUljE_ZNSN_ISO_Lb0ESQ_SR_ST_SU_SY_EESZ_S10_S11_S12_S16_S17_S18_S1B_S1C_jS1D_jS1E_S1E_jjS1G_bEUljE0_EEESZ_S10_S11_S18_S1C_S1E_T6_T7_T9_mT8_S1G_bDpT10_ENKUlT_T0_E_clISt17integral_constantIbLb1EES1T_IbLb0EEEEDaS1P_S1Q_EUlS1P_E_NS1_11comp_targetILNS1_3genE3ELNS1_11target_archE908ELNS1_3gpuE7ELNS1_3repE0EEENS1_30default_config_static_selectorELNS0_4arch9wavefront6targetE0EEEvS12_
    .private_segment_fixed_size: 0
    .sgpr_count:     0
    .sgpr_spill_count: 0
    .symbol:         _ZN7rocprim17ROCPRIM_400000_NS6detail17trampoline_kernelINS0_13select_configILj256ELj13ELNS0_17block_load_methodE3ELS4_3ELS4_3ELNS0_20block_scan_algorithmE0ELj4294967295EEENS1_25partition_config_selectorILNS1_17partition_subalgoE4EjNS0_10empty_typeEbEEZZNS1_14partition_implILS8_4ELb0ES6_15HIP_vector_typeIjLj2EENS0_17counting_iteratorIjlEEPS9_SG_NS0_5tupleIJPjSI_NS0_16reverse_iteratorISI_EEEEENSH_IJSG_SG_SG_EEES9_SI_JZNS1_25segmented_radix_sort_implINS0_14default_configELb0EPKiPiPKlPlN2at6native12_GLOBAL__N_18offset_tEEE10hipError_tPvRmT1_PNSt15iterator_traitsIS12_E10value_typeET2_T3_PNS13_IS18_E10value_typeET4_jRbjT5_S1E_jjP12ihipStream_tbEUljE_ZNSN_ISO_Lb0ESQ_SR_ST_SU_SY_EESZ_S10_S11_S12_S16_S17_S18_S1B_S1C_jS1D_jS1E_S1E_jjS1G_bEUljE0_EEESZ_S10_S11_S18_S1C_S1E_T6_T7_T9_mT8_S1G_bDpT10_ENKUlT_T0_E_clISt17integral_constantIbLb1EES1T_IbLb0EEEEDaS1P_S1Q_EUlS1P_E_NS1_11comp_targetILNS1_3genE3ELNS1_11target_archE908ELNS1_3gpuE7ELNS1_3repE0EEENS1_30default_config_static_selectorELNS0_4arch9wavefront6targetE0EEEvS12_.kd
    .uniform_work_group_size: 1
    .uses_dynamic_stack: false
    .vgpr_count:     0
    .vgpr_spill_count: 0
    .wavefront_size: 32
  - .args:
      - .offset:         0
        .size:           176
        .value_kind:     by_value
    .group_segment_fixed_size: 0
    .kernarg_segment_align: 8
    .kernarg_segment_size: 176
    .language:       OpenCL C
    .language_version:
      - 2
      - 0
    .max_flat_workgroup_size: 256
    .name:           _ZN7rocprim17ROCPRIM_400000_NS6detail17trampoline_kernelINS0_13select_configILj256ELj13ELNS0_17block_load_methodE3ELS4_3ELS4_3ELNS0_20block_scan_algorithmE0ELj4294967295EEENS1_25partition_config_selectorILNS1_17partition_subalgoE4EjNS0_10empty_typeEbEEZZNS1_14partition_implILS8_4ELb0ES6_15HIP_vector_typeIjLj2EENS0_17counting_iteratorIjlEEPS9_SG_NS0_5tupleIJPjSI_NS0_16reverse_iteratorISI_EEEEENSH_IJSG_SG_SG_EEES9_SI_JZNS1_25segmented_radix_sort_implINS0_14default_configELb0EPKiPiPKlPlN2at6native12_GLOBAL__N_18offset_tEEE10hipError_tPvRmT1_PNSt15iterator_traitsIS12_E10value_typeET2_T3_PNS13_IS18_E10value_typeET4_jRbjT5_S1E_jjP12ihipStream_tbEUljE_ZNSN_ISO_Lb0ESQ_SR_ST_SU_SY_EESZ_S10_S11_S12_S16_S17_S18_S1B_S1C_jS1D_jS1E_S1E_jjS1G_bEUljE0_EEESZ_S10_S11_S18_S1C_S1E_T6_T7_T9_mT8_S1G_bDpT10_ENKUlT_T0_E_clISt17integral_constantIbLb1EES1T_IbLb0EEEEDaS1P_S1Q_EUlS1P_E_NS1_11comp_targetILNS1_3genE2ELNS1_11target_archE906ELNS1_3gpuE6ELNS1_3repE0EEENS1_30default_config_static_selectorELNS0_4arch9wavefront6targetE0EEEvS12_
    .private_segment_fixed_size: 0
    .sgpr_count:     0
    .sgpr_spill_count: 0
    .symbol:         _ZN7rocprim17ROCPRIM_400000_NS6detail17trampoline_kernelINS0_13select_configILj256ELj13ELNS0_17block_load_methodE3ELS4_3ELS4_3ELNS0_20block_scan_algorithmE0ELj4294967295EEENS1_25partition_config_selectorILNS1_17partition_subalgoE4EjNS0_10empty_typeEbEEZZNS1_14partition_implILS8_4ELb0ES6_15HIP_vector_typeIjLj2EENS0_17counting_iteratorIjlEEPS9_SG_NS0_5tupleIJPjSI_NS0_16reverse_iteratorISI_EEEEENSH_IJSG_SG_SG_EEES9_SI_JZNS1_25segmented_radix_sort_implINS0_14default_configELb0EPKiPiPKlPlN2at6native12_GLOBAL__N_18offset_tEEE10hipError_tPvRmT1_PNSt15iterator_traitsIS12_E10value_typeET2_T3_PNS13_IS18_E10value_typeET4_jRbjT5_S1E_jjP12ihipStream_tbEUljE_ZNSN_ISO_Lb0ESQ_SR_ST_SU_SY_EESZ_S10_S11_S12_S16_S17_S18_S1B_S1C_jS1D_jS1E_S1E_jjS1G_bEUljE0_EEESZ_S10_S11_S18_S1C_S1E_T6_T7_T9_mT8_S1G_bDpT10_ENKUlT_T0_E_clISt17integral_constantIbLb1EES1T_IbLb0EEEEDaS1P_S1Q_EUlS1P_E_NS1_11comp_targetILNS1_3genE2ELNS1_11target_archE906ELNS1_3gpuE6ELNS1_3repE0EEENS1_30default_config_static_selectorELNS0_4arch9wavefront6targetE0EEEvS12_.kd
    .uniform_work_group_size: 1
    .uses_dynamic_stack: false
    .vgpr_count:     0
    .vgpr_spill_count: 0
    .wavefront_size: 32
  - .args:
      - .offset:         0
        .size:           176
        .value_kind:     by_value
    .group_segment_fixed_size: 0
    .kernarg_segment_align: 8
    .kernarg_segment_size: 176
    .language:       OpenCL C
    .language_version:
      - 2
      - 0
    .max_flat_workgroup_size: 256
    .name:           _ZN7rocprim17ROCPRIM_400000_NS6detail17trampoline_kernelINS0_13select_configILj256ELj13ELNS0_17block_load_methodE3ELS4_3ELS4_3ELNS0_20block_scan_algorithmE0ELj4294967295EEENS1_25partition_config_selectorILNS1_17partition_subalgoE4EjNS0_10empty_typeEbEEZZNS1_14partition_implILS8_4ELb0ES6_15HIP_vector_typeIjLj2EENS0_17counting_iteratorIjlEEPS9_SG_NS0_5tupleIJPjSI_NS0_16reverse_iteratorISI_EEEEENSH_IJSG_SG_SG_EEES9_SI_JZNS1_25segmented_radix_sort_implINS0_14default_configELb0EPKiPiPKlPlN2at6native12_GLOBAL__N_18offset_tEEE10hipError_tPvRmT1_PNSt15iterator_traitsIS12_E10value_typeET2_T3_PNS13_IS18_E10value_typeET4_jRbjT5_S1E_jjP12ihipStream_tbEUljE_ZNSN_ISO_Lb0ESQ_SR_ST_SU_SY_EESZ_S10_S11_S12_S16_S17_S18_S1B_S1C_jS1D_jS1E_S1E_jjS1G_bEUljE0_EEESZ_S10_S11_S18_S1C_S1E_T6_T7_T9_mT8_S1G_bDpT10_ENKUlT_T0_E_clISt17integral_constantIbLb1EES1T_IbLb0EEEEDaS1P_S1Q_EUlS1P_E_NS1_11comp_targetILNS1_3genE10ELNS1_11target_archE1200ELNS1_3gpuE4ELNS1_3repE0EEENS1_30default_config_static_selectorELNS0_4arch9wavefront6targetE0EEEvS12_
    .private_segment_fixed_size: 0
    .sgpr_count:     0
    .sgpr_spill_count: 0
    .symbol:         _ZN7rocprim17ROCPRIM_400000_NS6detail17trampoline_kernelINS0_13select_configILj256ELj13ELNS0_17block_load_methodE3ELS4_3ELS4_3ELNS0_20block_scan_algorithmE0ELj4294967295EEENS1_25partition_config_selectorILNS1_17partition_subalgoE4EjNS0_10empty_typeEbEEZZNS1_14partition_implILS8_4ELb0ES6_15HIP_vector_typeIjLj2EENS0_17counting_iteratorIjlEEPS9_SG_NS0_5tupleIJPjSI_NS0_16reverse_iteratorISI_EEEEENSH_IJSG_SG_SG_EEES9_SI_JZNS1_25segmented_radix_sort_implINS0_14default_configELb0EPKiPiPKlPlN2at6native12_GLOBAL__N_18offset_tEEE10hipError_tPvRmT1_PNSt15iterator_traitsIS12_E10value_typeET2_T3_PNS13_IS18_E10value_typeET4_jRbjT5_S1E_jjP12ihipStream_tbEUljE_ZNSN_ISO_Lb0ESQ_SR_ST_SU_SY_EESZ_S10_S11_S12_S16_S17_S18_S1B_S1C_jS1D_jS1E_S1E_jjS1G_bEUljE0_EEESZ_S10_S11_S18_S1C_S1E_T6_T7_T9_mT8_S1G_bDpT10_ENKUlT_T0_E_clISt17integral_constantIbLb1EES1T_IbLb0EEEEDaS1P_S1Q_EUlS1P_E_NS1_11comp_targetILNS1_3genE10ELNS1_11target_archE1200ELNS1_3gpuE4ELNS1_3repE0EEENS1_30default_config_static_selectorELNS0_4arch9wavefront6targetE0EEEvS12_.kd
    .uniform_work_group_size: 1
    .uses_dynamic_stack: false
    .vgpr_count:     0
    .vgpr_spill_count: 0
    .wavefront_size: 32
  - .args:
      - .offset:         0
        .size:           176
        .value_kind:     by_value
    .group_segment_fixed_size: 0
    .kernarg_segment_align: 8
    .kernarg_segment_size: 176
    .language:       OpenCL C
    .language_version:
      - 2
      - 0
    .max_flat_workgroup_size: 256
    .name:           _ZN7rocprim17ROCPRIM_400000_NS6detail17trampoline_kernelINS0_13select_configILj256ELj13ELNS0_17block_load_methodE3ELS4_3ELS4_3ELNS0_20block_scan_algorithmE0ELj4294967295EEENS1_25partition_config_selectorILNS1_17partition_subalgoE4EjNS0_10empty_typeEbEEZZNS1_14partition_implILS8_4ELb0ES6_15HIP_vector_typeIjLj2EENS0_17counting_iteratorIjlEEPS9_SG_NS0_5tupleIJPjSI_NS0_16reverse_iteratorISI_EEEEENSH_IJSG_SG_SG_EEES9_SI_JZNS1_25segmented_radix_sort_implINS0_14default_configELb0EPKiPiPKlPlN2at6native12_GLOBAL__N_18offset_tEEE10hipError_tPvRmT1_PNSt15iterator_traitsIS12_E10value_typeET2_T3_PNS13_IS18_E10value_typeET4_jRbjT5_S1E_jjP12ihipStream_tbEUljE_ZNSN_ISO_Lb0ESQ_SR_ST_SU_SY_EESZ_S10_S11_S12_S16_S17_S18_S1B_S1C_jS1D_jS1E_S1E_jjS1G_bEUljE0_EEESZ_S10_S11_S18_S1C_S1E_T6_T7_T9_mT8_S1G_bDpT10_ENKUlT_T0_E_clISt17integral_constantIbLb1EES1T_IbLb0EEEEDaS1P_S1Q_EUlS1P_E_NS1_11comp_targetILNS1_3genE9ELNS1_11target_archE1100ELNS1_3gpuE3ELNS1_3repE0EEENS1_30default_config_static_selectorELNS0_4arch9wavefront6targetE0EEEvS12_
    .private_segment_fixed_size: 0
    .sgpr_count:     0
    .sgpr_spill_count: 0
    .symbol:         _ZN7rocprim17ROCPRIM_400000_NS6detail17trampoline_kernelINS0_13select_configILj256ELj13ELNS0_17block_load_methodE3ELS4_3ELS4_3ELNS0_20block_scan_algorithmE0ELj4294967295EEENS1_25partition_config_selectorILNS1_17partition_subalgoE4EjNS0_10empty_typeEbEEZZNS1_14partition_implILS8_4ELb0ES6_15HIP_vector_typeIjLj2EENS0_17counting_iteratorIjlEEPS9_SG_NS0_5tupleIJPjSI_NS0_16reverse_iteratorISI_EEEEENSH_IJSG_SG_SG_EEES9_SI_JZNS1_25segmented_radix_sort_implINS0_14default_configELb0EPKiPiPKlPlN2at6native12_GLOBAL__N_18offset_tEEE10hipError_tPvRmT1_PNSt15iterator_traitsIS12_E10value_typeET2_T3_PNS13_IS18_E10value_typeET4_jRbjT5_S1E_jjP12ihipStream_tbEUljE_ZNSN_ISO_Lb0ESQ_SR_ST_SU_SY_EESZ_S10_S11_S12_S16_S17_S18_S1B_S1C_jS1D_jS1E_S1E_jjS1G_bEUljE0_EEESZ_S10_S11_S18_S1C_S1E_T6_T7_T9_mT8_S1G_bDpT10_ENKUlT_T0_E_clISt17integral_constantIbLb1EES1T_IbLb0EEEEDaS1P_S1Q_EUlS1P_E_NS1_11comp_targetILNS1_3genE9ELNS1_11target_archE1100ELNS1_3gpuE3ELNS1_3repE0EEENS1_30default_config_static_selectorELNS0_4arch9wavefront6targetE0EEEvS12_.kd
    .uniform_work_group_size: 1
    .uses_dynamic_stack: false
    .vgpr_count:     0
    .vgpr_spill_count: 0
    .wavefront_size: 32
  - .args:
      - .offset:         0
        .size:           176
        .value_kind:     by_value
    .group_segment_fixed_size: 0
    .kernarg_segment_align: 8
    .kernarg_segment_size: 176
    .language:       OpenCL C
    .language_version:
      - 2
      - 0
    .max_flat_workgroup_size: 256
    .name:           _ZN7rocprim17ROCPRIM_400000_NS6detail17trampoline_kernelINS0_13select_configILj256ELj13ELNS0_17block_load_methodE3ELS4_3ELS4_3ELNS0_20block_scan_algorithmE0ELj4294967295EEENS1_25partition_config_selectorILNS1_17partition_subalgoE4EjNS0_10empty_typeEbEEZZNS1_14partition_implILS8_4ELb0ES6_15HIP_vector_typeIjLj2EENS0_17counting_iteratorIjlEEPS9_SG_NS0_5tupleIJPjSI_NS0_16reverse_iteratorISI_EEEEENSH_IJSG_SG_SG_EEES9_SI_JZNS1_25segmented_radix_sort_implINS0_14default_configELb0EPKiPiPKlPlN2at6native12_GLOBAL__N_18offset_tEEE10hipError_tPvRmT1_PNSt15iterator_traitsIS12_E10value_typeET2_T3_PNS13_IS18_E10value_typeET4_jRbjT5_S1E_jjP12ihipStream_tbEUljE_ZNSN_ISO_Lb0ESQ_SR_ST_SU_SY_EESZ_S10_S11_S12_S16_S17_S18_S1B_S1C_jS1D_jS1E_S1E_jjS1G_bEUljE0_EEESZ_S10_S11_S18_S1C_S1E_T6_T7_T9_mT8_S1G_bDpT10_ENKUlT_T0_E_clISt17integral_constantIbLb1EES1T_IbLb0EEEEDaS1P_S1Q_EUlS1P_E_NS1_11comp_targetILNS1_3genE8ELNS1_11target_archE1030ELNS1_3gpuE2ELNS1_3repE0EEENS1_30default_config_static_selectorELNS0_4arch9wavefront6targetE0EEEvS12_
    .private_segment_fixed_size: 0
    .sgpr_count:     0
    .sgpr_spill_count: 0
    .symbol:         _ZN7rocprim17ROCPRIM_400000_NS6detail17trampoline_kernelINS0_13select_configILj256ELj13ELNS0_17block_load_methodE3ELS4_3ELS4_3ELNS0_20block_scan_algorithmE0ELj4294967295EEENS1_25partition_config_selectorILNS1_17partition_subalgoE4EjNS0_10empty_typeEbEEZZNS1_14partition_implILS8_4ELb0ES6_15HIP_vector_typeIjLj2EENS0_17counting_iteratorIjlEEPS9_SG_NS0_5tupleIJPjSI_NS0_16reverse_iteratorISI_EEEEENSH_IJSG_SG_SG_EEES9_SI_JZNS1_25segmented_radix_sort_implINS0_14default_configELb0EPKiPiPKlPlN2at6native12_GLOBAL__N_18offset_tEEE10hipError_tPvRmT1_PNSt15iterator_traitsIS12_E10value_typeET2_T3_PNS13_IS18_E10value_typeET4_jRbjT5_S1E_jjP12ihipStream_tbEUljE_ZNSN_ISO_Lb0ESQ_SR_ST_SU_SY_EESZ_S10_S11_S12_S16_S17_S18_S1B_S1C_jS1D_jS1E_S1E_jjS1G_bEUljE0_EEESZ_S10_S11_S18_S1C_S1E_T6_T7_T9_mT8_S1G_bDpT10_ENKUlT_T0_E_clISt17integral_constantIbLb1EES1T_IbLb0EEEEDaS1P_S1Q_EUlS1P_E_NS1_11comp_targetILNS1_3genE8ELNS1_11target_archE1030ELNS1_3gpuE2ELNS1_3repE0EEENS1_30default_config_static_selectorELNS0_4arch9wavefront6targetE0EEEvS12_.kd
    .uniform_work_group_size: 1
    .uses_dynamic_stack: false
    .vgpr_count:     0
    .vgpr_spill_count: 0
    .wavefront_size: 32
  - .args:
      - .offset:         0
        .size:           184
        .value_kind:     by_value
    .group_segment_fixed_size: 13328
    .kernarg_segment_align: 8
    .kernarg_segment_size: 184
    .language:       OpenCL C
    .language_version:
      - 2
      - 0
    .max_flat_workgroup_size: 256
    .name:           _ZN7rocprim17ROCPRIM_400000_NS6detail17trampoline_kernelINS0_13select_configILj256ELj13ELNS0_17block_load_methodE3ELS4_3ELS4_3ELNS0_20block_scan_algorithmE0ELj4294967295EEENS1_25partition_config_selectorILNS1_17partition_subalgoE4EjNS0_10empty_typeEbEEZZNS1_14partition_implILS8_4ELb0ES6_15HIP_vector_typeIjLj2EENS0_17counting_iteratorIjlEEPS9_SG_NS0_5tupleIJPjSI_NS0_16reverse_iteratorISI_EEEEENSH_IJSG_SG_SG_EEES9_SI_JZNS1_25segmented_radix_sort_implINS0_14default_configELb0EPKiPiPKlPlN2at6native12_GLOBAL__N_18offset_tEEE10hipError_tPvRmT1_PNSt15iterator_traitsIS12_E10value_typeET2_T3_PNS13_IS18_E10value_typeET4_jRbjT5_S1E_jjP12ihipStream_tbEUljE_ZNSN_ISO_Lb0ESQ_SR_ST_SU_SY_EESZ_S10_S11_S12_S16_S17_S18_S1B_S1C_jS1D_jS1E_S1E_jjS1G_bEUljE0_EEESZ_S10_S11_S18_S1C_S1E_T6_T7_T9_mT8_S1G_bDpT10_ENKUlT_T0_E_clISt17integral_constantIbLb0EES1T_IbLb1EEEEDaS1P_S1Q_EUlS1P_E_NS1_11comp_targetILNS1_3genE0ELNS1_11target_archE4294967295ELNS1_3gpuE0ELNS1_3repE0EEENS1_30default_config_static_selectorELNS0_4arch9wavefront6targetE0EEEvS12_
    .private_segment_fixed_size: 0
    .sgpr_count:     57
    .sgpr_spill_count: 0
    .symbol:         _ZN7rocprim17ROCPRIM_400000_NS6detail17trampoline_kernelINS0_13select_configILj256ELj13ELNS0_17block_load_methodE3ELS4_3ELS4_3ELNS0_20block_scan_algorithmE0ELj4294967295EEENS1_25partition_config_selectorILNS1_17partition_subalgoE4EjNS0_10empty_typeEbEEZZNS1_14partition_implILS8_4ELb0ES6_15HIP_vector_typeIjLj2EENS0_17counting_iteratorIjlEEPS9_SG_NS0_5tupleIJPjSI_NS0_16reverse_iteratorISI_EEEEENSH_IJSG_SG_SG_EEES9_SI_JZNS1_25segmented_radix_sort_implINS0_14default_configELb0EPKiPiPKlPlN2at6native12_GLOBAL__N_18offset_tEEE10hipError_tPvRmT1_PNSt15iterator_traitsIS12_E10value_typeET2_T3_PNS13_IS18_E10value_typeET4_jRbjT5_S1E_jjP12ihipStream_tbEUljE_ZNSN_ISO_Lb0ESQ_SR_ST_SU_SY_EESZ_S10_S11_S12_S16_S17_S18_S1B_S1C_jS1D_jS1E_S1E_jjS1G_bEUljE0_EEESZ_S10_S11_S18_S1C_S1E_T6_T7_T9_mT8_S1G_bDpT10_ENKUlT_T0_E_clISt17integral_constantIbLb0EES1T_IbLb1EEEEDaS1P_S1Q_EUlS1P_E_NS1_11comp_targetILNS1_3genE0ELNS1_11target_archE4294967295ELNS1_3gpuE0ELNS1_3repE0EEENS1_30default_config_static_selectorELNS0_4arch9wavefront6targetE0EEEvS12_.kd
    .uniform_work_group_size: 1
    .uses_dynamic_stack: false
    .vgpr_count:     86
    .vgpr_spill_count: 0
    .wavefront_size: 32
  - .args:
      - .offset:         0
        .size:           184
        .value_kind:     by_value
    .group_segment_fixed_size: 0
    .kernarg_segment_align: 8
    .kernarg_segment_size: 184
    .language:       OpenCL C
    .language_version:
      - 2
      - 0
    .max_flat_workgroup_size: 256
    .name:           _ZN7rocprim17ROCPRIM_400000_NS6detail17trampoline_kernelINS0_13select_configILj256ELj13ELNS0_17block_load_methodE3ELS4_3ELS4_3ELNS0_20block_scan_algorithmE0ELj4294967295EEENS1_25partition_config_selectorILNS1_17partition_subalgoE4EjNS0_10empty_typeEbEEZZNS1_14partition_implILS8_4ELb0ES6_15HIP_vector_typeIjLj2EENS0_17counting_iteratorIjlEEPS9_SG_NS0_5tupleIJPjSI_NS0_16reverse_iteratorISI_EEEEENSH_IJSG_SG_SG_EEES9_SI_JZNS1_25segmented_radix_sort_implINS0_14default_configELb0EPKiPiPKlPlN2at6native12_GLOBAL__N_18offset_tEEE10hipError_tPvRmT1_PNSt15iterator_traitsIS12_E10value_typeET2_T3_PNS13_IS18_E10value_typeET4_jRbjT5_S1E_jjP12ihipStream_tbEUljE_ZNSN_ISO_Lb0ESQ_SR_ST_SU_SY_EESZ_S10_S11_S12_S16_S17_S18_S1B_S1C_jS1D_jS1E_S1E_jjS1G_bEUljE0_EEESZ_S10_S11_S18_S1C_S1E_T6_T7_T9_mT8_S1G_bDpT10_ENKUlT_T0_E_clISt17integral_constantIbLb0EES1T_IbLb1EEEEDaS1P_S1Q_EUlS1P_E_NS1_11comp_targetILNS1_3genE5ELNS1_11target_archE942ELNS1_3gpuE9ELNS1_3repE0EEENS1_30default_config_static_selectorELNS0_4arch9wavefront6targetE0EEEvS12_
    .private_segment_fixed_size: 0
    .sgpr_count:     0
    .sgpr_spill_count: 0
    .symbol:         _ZN7rocprim17ROCPRIM_400000_NS6detail17trampoline_kernelINS0_13select_configILj256ELj13ELNS0_17block_load_methodE3ELS4_3ELS4_3ELNS0_20block_scan_algorithmE0ELj4294967295EEENS1_25partition_config_selectorILNS1_17partition_subalgoE4EjNS0_10empty_typeEbEEZZNS1_14partition_implILS8_4ELb0ES6_15HIP_vector_typeIjLj2EENS0_17counting_iteratorIjlEEPS9_SG_NS0_5tupleIJPjSI_NS0_16reverse_iteratorISI_EEEEENSH_IJSG_SG_SG_EEES9_SI_JZNS1_25segmented_radix_sort_implINS0_14default_configELb0EPKiPiPKlPlN2at6native12_GLOBAL__N_18offset_tEEE10hipError_tPvRmT1_PNSt15iterator_traitsIS12_E10value_typeET2_T3_PNS13_IS18_E10value_typeET4_jRbjT5_S1E_jjP12ihipStream_tbEUljE_ZNSN_ISO_Lb0ESQ_SR_ST_SU_SY_EESZ_S10_S11_S12_S16_S17_S18_S1B_S1C_jS1D_jS1E_S1E_jjS1G_bEUljE0_EEESZ_S10_S11_S18_S1C_S1E_T6_T7_T9_mT8_S1G_bDpT10_ENKUlT_T0_E_clISt17integral_constantIbLb0EES1T_IbLb1EEEEDaS1P_S1Q_EUlS1P_E_NS1_11comp_targetILNS1_3genE5ELNS1_11target_archE942ELNS1_3gpuE9ELNS1_3repE0EEENS1_30default_config_static_selectorELNS0_4arch9wavefront6targetE0EEEvS12_.kd
    .uniform_work_group_size: 1
    .uses_dynamic_stack: false
    .vgpr_count:     0
    .vgpr_spill_count: 0
    .wavefront_size: 32
  - .args:
      - .offset:         0
        .size:           184
        .value_kind:     by_value
    .group_segment_fixed_size: 0
    .kernarg_segment_align: 8
    .kernarg_segment_size: 184
    .language:       OpenCL C
    .language_version:
      - 2
      - 0
    .max_flat_workgroup_size: 256
    .name:           _ZN7rocprim17ROCPRIM_400000_NS6detail17trampoline_kernelINS0_13select_configILj256ELj13ELNS0_17block_load_methodE3ELS4_3ELS4_3ELNS0_20block_scan_algorithmE0ELj4294967295EEENS1_25partition_config_selectorILNS1_17partition_subalgoE4EjNS0_10empty_typeEbEEZZNS1_14partition_implILS8_4ELb0ES6_15HIP_vector_typeIjLj2EENS0_17counting_iteratorIjlEEPS9_SG_NS0_5tupleIJPjSI_NS0_16reverse_iteratorISI_EEEEENSH_IJSG_SG_SG_EEES9_SI_JZNS1_25segmented_radix_sort_implINS0_14default_configELb0EPKiPiPKlPlN2at6native12_GLOBAL__N_18offset_tEEE10hipError_tPvRmT1_PNSt15iterator_traitsIS12_E10value_typeET2_T3_PNS13_IS18_E10value_typeET4_jRbjT5_S1E_jjP12ihipStream_tbEUljE_ZNSN_ISO_Lb0ESQ_SR_ST_SU_SY_EESZ_S10_S11_S12_S16_S17_S18_S1B_S1C_jS1D_jS1E_S1E_jjS1G_bEUljE0_EEESZ_S10_S11_S18_S1C_S1E_T6_T7_T9_mT8_S1G_bDpT10_ENKUlT_T0_E_clISt17integral_constantIbLb0EES1T_IbLb1EEEEDaS1P_S1Q_EUlS1P_E_NS1_11comp_targetILNS1_3genE4ELNS1_11target_archE910ELNS1_3gpuE8ELNS1_3repE0EEENS1_30default_config_static_selectorELNS0_4arch9wavefront6targetE0EEEvS12_
    .private_segment_fixed_size: 0
    .sgpr_count:     0
    .sgpr_spill_count: 0
    .symbol:         _ZN7rocprim17ROCPRIM_400000_NS6detail17trampoline_kernelINS0_13select_configILj256ELj13ELNS0_17block_load_methodE3ELS4_3ELS4_3ELNS0_20block_scan_algorithmE0ELj4294967295EEENS1_25partition_config_selectorILNS1_17partition_subalgoE4EjNS0_10empty_typeEbEEZZNS1_14partition_implILS8_4ELb0ES6_15HIP_vector_typeIjLj2EENS0_17counting_iteratorIjlEEPS9_SG_NS0_5tupleIJPjSI_NS0_16reverse_iteratorISI_EEEEENSH_IJSG_SG_SG_EEES9_SI_JZNS1_25segmented_radix_sort_implINS0_14default_configELb0EPKiPiPKlPlN2at6native12_GLOBAL__N_18offset_tEEE10hipError_tPvRmT1_PNSt15iterator_traitsIS12_E10value_typeET2_T3_PNS13_IS18_E10value_typeET4_jRbjT5_S1E_jjP12ihipStream_tbEUljE_ZNSN_ISO_Lb0ESQ_SR_ST_SU_SY_EESZ_S10_S11_S12_S16_S17_S18_S1B_S1C_jS1D_jS1E_S1E_jjS1G_bEUljE0_EEESZ_S10_S11_S18_S1C_S1E_T6_T7_T9_mT8_S1G_bDpT10_ENKUlT_T0_E_clISt17integral_constantIbLb0EES1T_IbLb1EEEEDaS1P_S1Q_EUlS1P_E_NS1_11comp_targetILNS1_3genE4ELNS1_11target_archE910ELNS1_3gpuE8ELNS1_3repE0EEENS1_30default_config_static_selectorELNS0_4arch9wavefront6targetE0EEEvS12_.kd
    .uniform_work_group_size: 1
    .uses_dynamic_stack: false
    .vgpr_count:     0
    .vgpr_spill_count: 0
    .wavefront_size: 32
  - .args:
      - .offset:         0
        .size:           184
        .value_kind:     by_value
    .group_segment_fixed_size: 0
    .kernarg_segment_align: 8
    .kernarg_segment_size: 184
    .language:       OpenCL C
    .language_version:
      - 2
      - 0
    .max_flat_workgroup_size: 256
    .name:           _ZN7rocprim17ROCPRIM_400000_NS6detail17trampoline_kernelINS0_13select_configILj256ELj13ELNS0_17block_load_methodE3ELS4_3ELS4_3ELNS0_20block_scan_algorithmE0ELj4294967295EEENS1_25partition_config_selectorILNS1_17partition_subalgoE4EjNS0_10empty_typeEbEEZZNS1_14partition_implILS8_4ELb0ES6_15HIP_vector_typeIjLj2EENS0_17counting_iteratorIjlEEPS9_SG_NS0_5tupleIJPjSI_NS0_16reverse_iteratorISI_EEEEENSH_IJSG_SG_SG_EEES9_SI_JZNS1_25segmented_radix_sort_implINS0_14default_configELb0EPKiPiPKlPlN2at6native12_GLOBAL__N_18offset_tEEE10hipError_tPvRmT1_PNSt15iterator_traitsIS12_E10value_typeET2_T3_PNS13_IS18_E10value_typeET4_jRbjT5_S1E_jjP12ihipStream_tbEUljE_ZNSN_ISO_Lb0ESQ_SR_ST_SU_SY_EESZ_S10_S11_S12_S16_S17_S18_S1B_S1C_jS1D_jS1E_S1E_jjS1G_bEUljE0_EEESZ_S10_S11_S18_S1C_S1E_T6_T7_T9_mT8_S1G_bDpT10_ENKUlT_T0_E_clISt17integral_constantIbLb0EES1T_IbLb1EEEEDaS1P_S1Q_EUlS1P_E_NS1_11comp_targetILNS1_3genE3ELNS1_11target_archE908ELNS1_3gpuE7ELNS1_3repE0EEENS1_30default_config_static_selectorELNS0_4arch9wavefront6targetE0EEEvS12_
    .private_segment_fixed_size: 0
    .sgpr_count:     0
    .sgpr_spill_count: 0
    .symbol:         _ZN7rocprim17ROCPRIM_400000_NS6detail17trampoline_kernelINS0_13select_configILj256ELj13ELNS0_17block_load_methodE3ELS4_3ELS4_3ELNS0_20block_scan_algorithmE0ELj4294967295EEENS1_25partition_config_selectorILNS1_17partition_subalgoE4EjNS0_10empty_typeEbEEZZNS1_14partition_implILS8_4ELb0ES6_15HIP_vector_typeIjLj2EENS0_17counting_iteratorIjlEEPS9_SG_NS0_5tupleIJPjSI_NS0_16reverse_iteratorISI_EEEEENSH_IJSG_SG_SG_EEES9_SI_JZNS1_25segmented_radix_sort_implINS0_14default_configELb0EPKiPiPKlPlN2at6native12_GLOBAL__N_18offset_tEEE10hipError_tPvRmT1_PNSt15iterator_traitsIS12_E10value_typeET2_T3_PNS13_IS18_E10value_typeET4_jRbjT5_S1E_jjP12ihipStream_tbEUljE_ZNSN_ISO_Lb0ESQ_SR_ST_SU_SY_EESZ_S10_S11_S12_S16_S17_S18_S1B_S1C_jS1D_jS1E_S1E_jjS1G_bEUljE0_EEESZ_S10_S11_S18_S1C_S1E_T6_T7_T9_mT8_S1G_bDpT10_ENKUlT_T0_E_clISt17integral_constantIbLb0EES1T_IbLb1EEEEDaS1P_S1Q_EUlS1P_E_NS1_11comp_targetILNS1_3genE3ELNS1_11target_archE908ELNS1_3gpuE7ELNS1_3repE0EEENS1_30default_config_static_selectorELNS0_4arch9wavefront6targetE0EEEvS12_.kd
    .uniform_work_group_size: 1
    .uses_dynamic_stack: false
    .vgpr_count:     0
    .vgpr_spill_count: 0
    .wavefront_size: 32
  - .args:
      - .offset:         0
        .size:           184
        .value_kind:     by_value
    .group_segment_fixed_size: 0
    .kernarg_segment_align: 8
    .kernarg_segment_size: 184
    .language:       OpenCL C
    .language_version:
      - 2
      - 0
    .max_flat_workgroup_size: 256
    .name:           _ZN7rocprim17ROCPRIM_400000_NS6detail17trampoline_kernelINS0_13select_configILj256ELj13ELNS0_17block_load_methodE3ELS4_3ELS4_3ELNS0_20block_scan_algorithmE0ELj4294967295EEENS1_25partition_config_selectorILNS1_17partition_subalgoE4EjNS0_10empty_typeEbEEZZNS1_14partition_implILS8_4ELb0ES6_15HIP_vector_typeIjLj2EENS0_17counting_iteratorIjlEEPS9_SG_NS0_5tupleIJPjSI_NS0_16reverse_iteratorISI_EEEEENSH_IJSG_SG_SG_EEES9_SI_JZNS1_25segmented_radix_sort_implINS0_14default_configELb0EPKiPiPKlPlN2at6native12_GLOBAL__N_18offset_tEEE10hipError_tPvRmT1_PNSt15iterator_traitsIS12_E10value_typeET2_T3_PNS13_IS18_E10value_typeET4_jRbjT5_S1E_jjP12ihipStream_tbEUljE_ZNSN_ISO_Lb0ESQ_SR_ST_SU_SY_EESZ_S10_S11_S12_S16_S17_S18_S1B_S1C_jS1D_jS1E_S1E_jjS1G_bEUljE0_EEESZ_S10_S11_S18_S1C_S1E_T6_T7_T9_mT8_S1G_bDpT10_ENKUlT_T0_E_clISt17integral_constantIbLb0EES1T_IbLb1EEEEDaS1P_S1Q_EUlS1P_E_NS1_11comp_targetILNS1_3genE2ELNS1_11target_archE906ELNS1_3gpuE6ELNS1_3repE0EEENS1_30default_config_static_selectorELNS0_4arch9wavefront6targetE0EEEvS12_
    .private_segment_fixed_size: 0
    .sgpr_count:     0
    .sgpr_spill_count: 0
    .symbol:         _ZN7rocprim17ROCPRIM_400000_NS6detail17trampoline_kernelINS0_13select_configILj256ELj13ELNS0_17block_load_methodE3ELS4_3ELS4_3ELNS0_20block_scan_algorithmE0ELj4294967295EEENS1_25partition_config_selectorILNS1_17partition_subalgoE4EjNS0_10empty_typeEbEEZZNS1_14partition_implILS8_4ELb0ES6_15HIP_vector_typeIjLj2EENS0_17counting_iteratorIjlEEPS9_SG_NS0_5tupleIJPjSI_NS0_16reverse_iteratorISI_EEEEENSH_IJSG_SG_SG_EEES9_SI_JZNS1_25segmented_radix_sort_implINS0_14default_configELb0EPKiPiPKlPlN2at6native12_GLOBAL__N_18offset_tEEE10hipError_tPvRmT1_PNSt15iterator_traitsIS12_E10value_typeET2_T3_PNS13_IS18_E10value_typeET4_jRbjT5_S1E_jjP12ihipStream_tbEUljE_ZNSN_ISO_Lb0ESQ_SR_ST_SU_SY_EESZ_S10_S11_S12_S16_S17_S18_S1B_S1C_jS1D_jS1E_S1E_jjS1G_bEUljE0_EEESZ_S10_S11_S18_S1C_S1E_T6_T7_T9_mT8_S1G_bDpT10_ENKUlT_T0_E_clISt17integral_constantIbLb0EES1T_IbLb1EEEEDaS1P_S1Q_EUlS1P_E_NS1_11comp_targetILNS1_3genE2ELNS1_11target_archE906ELNS1_3gpuE6ELNS1_3repE0EEENS1_30default_config_static_selectorELNS0_4arch9wavefront6targetE0EEEvS12_.kd
    .uniform_work_group_size: 1
    .uses_dynamic_stack: false
    .vgpr_count:     0
    .vgpr_spill_count: 0
    .wavefront_size: 32
  - .args:
      - .offset:         0
        .size:           184
        .value_kind:     by_value
    .group_segment_fixed_size: 0
    .kernarg_segment_align: 8
    .kernarg_segment_size: 184
    .language:       OpenCL C
    .language_version:
      - 2
      - 0
    .max_flat_workgroup_size: 256
    .name:           _ZN7rocprim17ROCPRIM_400000_NS6detail17trampoline_kernelINS0_13select_configILj256ELj13ELNS0_17block_load_methodE3ELS4_3ELS4_3ELNS0_20block_scan_algorithmE0ELj4294967295EEENS1_25partition_config_selectorILNS1_17partition_subalgoE4EjNS0_10empty_typeEbEEZZNS1_14partition_implILS8_4ELb0ES6_15HIP_vector_typeIjLj2EENS0_17counting_iteratorIjlEEPS9_SG_NS0_5tupleIJPjSI_NS0_16reverse_iteratorISI_EEEEENSH_IJSG_SG_SG_EEES9_SI_JZNS1_25segmented_radix_sort_implINS0_14default_configELb0EPKiPiPKlPlN2at6native12_GLOBAL__N_18offset_tEEE10hipError_tPvRmT1_PNSt15iterator_traitsIS12_E10value_typeET2_T3_PNS13_IS18_E10value_typeET4_jRbjT5_S1E_jjP12ihipStream_tbEUljE_ZNSN_ISO_Lb0ESQ_SR_ST_SU_SY_EESZ_S10_S11_S12_S16_S17_S18_S1B_S1C_jS1D_jS1E_S1E_jjS1G_bEUljE0_EEESZ_S10_S11_S18_S1C_S1E_T6_T7_T9_mT8_S1G_bDpT10_ENKUlT_T0_E_clISt17integral_constantIbLb0EES1T_IbLb1EEEEDaS1P_S1Q_EUlS1P_E_NS1_11comp_targetILNS1_3genE10ELNS1_11target_archE1200ELNS1_3gpuE4ELNS1_3repE0EEENS1_30default_config_static_selectorELNS0_4arch9wavefront6targetE0EEEvS12_
    .private_segment_fixed_size: 0
    .sgpr_count:     0
    .sgpr_spill_count: 0
    .symbol:         _ZN7rocprim17ROCPRIM_400000_NS6detail17trampoline_kernelINS0_13select_configILj256ELj13ELNS0_17block_load_methodE3ELS4_3ELS4_3ELNS0_20block_scan_algorithmE0ELj4294967295EEENS1_25partition_config_selectorILNS1_17partition_subalgoE4EjNS0_10empty_typeEbEEZZNS1_14partition_implILS8_4ELb0ES6_15HIP_vector_typeIjLj2EENS0_17counting_iteratorIjlEEPS9_SG_NS0_5tupleIJPjSI_NS0_16reverse_iteratorISI_EEEEENSH_IJSG_SG_SG_EEES9_SI_JZNS1_25segmented_radix_sort_implINS0_14default_configELb0EPKiPiPKlPlN2at6native12_GLOBAL__N_18offset_tEEE10hipError_tPvRmT1_PNSt15iterator_traitsIS12_E10value_typeET2_T3_PNS13_IS18_E10value_typeET4_jRbjT5_S1E_jjP12ihipStream_tbEUljE_ZNSN_ISO_Lb0ESQ_SR_ST_SU_SY_EESZ_S10_S11_S12_S16_S17_S18_S1B_S1C_jS1D_jS1E_S1E_jjS1G_bEUljE0_EEESZ_S10_S11_S18_S1C_S1E_T6_T7_T9_mT8_S1G_bDpT10_ENKUlT_T0_E_clISt17integral_constantIbLb0EES1T_IbLb1EEEEDaS1P_S1Q_EUlS1P_E_NS1_11comp_targetILNS1_3genE10ELNS1_11target_archE1200ELNS1_3gpuE4ELNS1_3repE0EEENS1_30default_config_static_selectorELNS0_4arch9wavefront6targetE0EEEvS12_.kd
    .uniform_work_group_size: 1
    .uses_dynamic_stack: false
    .vgpr_count:     0
    .vgpr_spill_count: 0
    .wavefront_size: 32
  - .args:
      - .offset:         0
        .size:           184
        .value_kind:     by_value
    .group_segment_fixed_size: 0
    .kernarg_segment_align: 8
    .kernarg_segment_size: 184
    .language:       OpenCL C
    .language_version:
      - 2
      - 0
    .max_flat_workgroup_size: 256
    .name:           _ZN7rocprim17ROCPRIM_400000_NS6detail17trampoline_kernelINS0_13select_configILj256ELj13ELNS0_17block_load_methodE3ELS4_3ELS4_3ELNS0_20block_scan_algorithmE0ELj4294967295EEENS1_25partition_config_selectorILNS1_17partition_subalgoE4EjNS0_10empty_typeEbEEZZNS1_14partition_implILS8_4ELb0ES6_15HIP_vector_typeIjLj2EENS0_17counting_iteratorIjlEEPS9_SG_NS0_5tupleIJPjSI_NS0_16reverse_iteratorISI_EEEEENSH_IJSG_SG_SG_EEES9_SI_JZNS1_25segmented_radix_sort_implINS0_14default_configELb0EPKiPiPKlPlN2at6native12_GLOBAL__N_18offset_tEEE10hipError_tPvRmT1_PNSt15iterator_traitsIS12_E10value_typeET2_T3_PNS13_IS18_E10value_typeET4_jRbjT5_S1E_jjP12ihipStream_tbEUljE_ZNSN_ISO_Lb0ESQ_SR_ST_SU_SY_EESZ_S10_S11_S12_S16_S17_S18_S1B_S1C_jS1D_jS1E_S1E_jjS1G_bEUljE0_EEESZ_S10_S11_S18_S1C_S1E_T6_T7_T9_mT8_S1G_bDpT10_ENKUlT_T0_E_clISt17integral_constantIbLb0EES1T_IbLb1EEEEDaS1P_S1Q_EUlS1P_E_NS1_11comp_targetILNS1_3genE9ELNS1_11target_archE1100ELNS1_3gpuE3ELNS1_3repE0EEENS1_30default_config_static_selectorELNS0_4arch9wavefront6targetE0EEEvS12_
    .private_segment_fixed_size: 0
    .sgpr_count:     0
    .sgpr_spill_count: 0
    .symbol:         _ZN7rocprim17ROCPRIM_400000_NS6detail17trampoline_kernelINS0_13select_configILj256ELj13ELNS0_17block_load_methodE3ELS4_3ELS4_3ELNS0_20block_scan_algorithmE0ELj4294967295EEENS1_25partition_config_selectorILNS1_17partition_subalgoE4EjNS0_10empty_typeEbEEZZNS1_14partition_implILS8_4ELb0ES6_15HIP_vector_typeIjLj2EENS0_17counting_iteratorIjlEEPS9_SG_NS0_5tupleIJPjSI_NS0_16reverse_iteratorISI_EEEEENSH_IJSG_SG_SG_EEES9_SI_JZNS1_25segmented_radix_sort_implINS0_14default_configELb0EPKiPiPKlPlN2at6native12_GLOBAL__N_18offset_tEEE10hipError_tPvRmT1_PNSt15iterator_traitsIS12_E10value_typeET2_T3_PNS13_IS18_E10value_typeET4_jRbjT5_S1E_jjP12ihipStream_tbEUljE_ZNSN_ISO_Lb0ESQ_SR_ST_SU_SY_EESZ_S10_S11_S12_S16_S17_S18_S1B_S1C_jS1D_jS1E_S1E_jjS1G_bEUljE0_EEESZ_S10_S11_S18_S1C_S1E_T6_T7_T9_mT8_S1G_bDpT10_ENKUlT_T0_E_clISt17integral_constantIbLb0EES1T_IbLb1EEEEDaS1P_S1Q_EUlS1P_E_NS1_11comp_targetILNS1_3genE9ELNS1_11target_archE1100ELNS1_3gpuE3ELNS1_3repE0EEENS1_30default_config_static_selectorELNS0_4arch9wavefront6targetE0EEEvS12_.kd
    .uniform_work_group_size: 1
    .uses_dynamic_stack: false
    .vgpr_count:     0
    .vgpr_spill_count: 0
    .wavefront_size: 32
  - .args:
      - .offset:         0
        .size:           184
        .value_kind:     by_value
    .group_segment_fixed_size: 0
    .kernarg_segment_align: 8
    .kernarg_segment_size: 184
    .language:       OpenCL C
    .language_version:
      - 2
      - 0
    .max_flat_workgroup_size: 256
    .name:           _ZN7rocprim17ROCPRIM_400000_NS6detail17trampoline_kernelINS0_13select_configILj256ELj13ELNS0_17block_load_methodE3ELS4_3ELS4_3ELNS0_20block_scan_algorithmE0ELj4294967295EEENS1_25partition_config_selectorILNS1_17partition_subalgoE4EjNS0_10empty_typeEbEEZZNS1_14partition_implILS8_4ELb0ES6_15HIP_vector_typeIjLj2EENS0_17counting_iteratorIjlEEPS9_SG_NS0_5tupleIJPjSI_NS0_16reverse_iteratorISI_EEEEENSH_IJSG_SG_SG_EEES9_SI_JZNS1_25segmented_radix_sort_implINS0_14default_configELb0EPKiPiPKlPlN2at6native12_GLOBAL__N_18offset_tEEE10hipError_tPvRmT1_PNSt15iterator_traitsIS12_E10value_typeET2_T3_PNS13_IS18_E10value_typeET4_jRbjT5_S1E_jjP12ihipStream_tbEUljE_ZNSN_ISO_Lb0ESQ_SR_ST_SU_SY_EESZ_S10_S11_S12_S16_S17_S18_S1B_S1C_jS1D_jS1E_S1E_jjS1G_bEUljE0_EEESZ_S10_S11_S18_S1C_S1E_T6_T7_T9_mT8_S1G_bDpT10_ENKUlT_T0_E_clISt17integral_constantIbLb0EES1T_IbLb1EEEEDaS1P_S1Q_EUlS1P_E_NS1_11comp_targetILNS1_3genE8ELNS1_11target_archE1030ELNS1_3gpuE2ELNS1_3repE0EEENS1_30default_config_static_selectorELNS0_4arch9wavefront6targetE0EEEvS12_
    .private_segment_fixed_size: 0
    .sgpr_count:     0
    .sgpr_spill_count: 0
    .symbol:         _ZN7rocprim17ROCPRIM_400000_NS6detail17trampoline_kernelINS0_13select_configILj256ELj13ELNS0_17block_load_methodE3ELS4_3ELS4_3ELNS0_20block_scan_algorithmE0ELj4294967295EEENS1_25partition_config_selectorILNS1_17partition_subalgoE4EjNS0_10empty_typeEbEEZZNS1_14partition_implILS8_4ELb0ES6_15HIP_vector_typeIjLj2EENS0_17counting_iteratorIjlEEPS9_SG_NS0_5tupleIJPjSI_NS0_16reverse_iteratorISI_EEEEENSH_IJSG_SG_SG_EEES9_SI_JZNS1_25segmented_radix_sort_implINS0_14default_configELb0EPKiPiPKlPlN2at6native12_GLOBAL__N_18offset_tEEE10hipError_tPvRmT1_PNSt15iterator_traitsIS12_E10value_typeET2_T3_PNS13_IS18_E10value_typeET4_jRbjT5_S1E_jjP12ihipStream_tbEUljE_ZNSN_ISO_Lb0ESQ_SR_ST_SU_SY_EESZ_S10_S11_S12_S16_S17_S18_S1B_S1C_jS1D_jS1E_S1E_jjS1G_bEUljE0_EEESZ_S10_S11_S18_S1C_S1E_T6_T7_T9_mT8_S1G_bDpT10_ENKUlT_T0_E_clISt17integral_constantIbLb0EES1T_IbLb1EEEEDaS1P_S1Q_EUlS1P_E_NS1_11comp_targetILNS1_3genE8ELNS1_11target_archE1030ELNS1_3gpuE2ELNS1_3repE0EEENS1_30default_config_static_selectorELNS0_4arch9wavefront6targetE0EEEvS12_.kd
    .uniform_work_group_size: 1
    .uses_dynamic_stack: false
    .vgpr_count:     0
    .vgpr_spill_count: 0
    .wavefront_size: 32
  - .args:
      - .offset:         0
        .size:           144
        .value_kind:     by_value
    .group_segment_fixed_size: 13320
    .kernarg_segment_align: 8
    .kernarg_segment_size: 144
    .language:       OpenCL C
    .language_version:
      - 2
      - 0
    .max_flat_workgroup_size: 256
    .name:           _ZN7rocprim17ROCPRIM_400000_NS6detail17trampoline_kernelINS0_13select_configILj256ELj13ELNS0_17block_load_methodE3ELS4_3ELS4_3ELNS0_20block_scan_algorithmE0ELj4294967295EEENS1_25partition_config_selectorILNS1_17partition_subalgoE3EjNS0_10empty_typeEbEEZZNS1_14partition_implILS8_3ELb0ES6_jNS0_17counting_iteratorIjlEEPS9_SE_NS0_5tupleIJPjSE_EEENSF_IJSE_SE_EEES9_SG_JZNS1_25segmented_radix_sort_implINS0_14default_configELb0EPKiPiPKlPlN2at6native12_GLOBAL__N_18offset_tEEE10hipError_tPvRmT1_PNSt15iterator_traitsISY_E10value_typeET2_T3_PNSZ_IS14_E10value_typeET4_jRbjT5_S1A_jjP12ihipStream_tbEUljE_EEESV_SW_SX_S14_S18_S1A_T6_T7_T9_mT8_S1C_bDpT10_ENKUlT_T0_E_clISt17integral_constantIbLb0EES1P_EEDaS1K_S1L_EUlS1K_E_NS1_11comp_targetILNS1_3genE0ELNS1_11target_archE4294967295ELNS1_3gpuE0ELNS1_3repE0EEENS1_30default_config_static_selectorELNS0_4arch9wavefront6targetE0EEEvSY_
    .private_segment_fixed_size: 0
    .sgpr_count:     28
    .sgpr_spill_count: 0
    .symbol:         _ZN7rocprim17ROCPRIM_400000_NS6detail17trampoline_kernelINS0_13select_configILj256ELj13ELNS0_17block_load_methodE3ELS4_3ELS4_3ELNS0_20block_scan_algorithmE0ELj4294967295EEENS1_25partition_config_selectorILNS1_17partition_subalgoE3EjNS0_10empty_typeEbEEZZNS1_14partition_implILS8_3ELb0ES6_jNS0_17counting_iteratorIjlEEPS9_SE_NS0_5tupleIJPjSE_EEENSF_IJSE_SE_EEES9_SG_JZNS1_25segmented_radix_sort_implINS0_14default_configELb0EPKiPiPKlPlN2at6native12_GLOBAL__N_18offset_tEEE10hipError_tPvRmT1_PNSt15iterator_traitsISY_E10value_typeET2_T3_PNSZ_IS14_E10value_typeET4_jRbjT5_S1A_jjP12ihipStream_tbEUljE_EEESV_SW_SX_S14_S18_S1A_T6_T7_T9_mT8_S1C_bDpT10_ENKUlT_T0_E_clISt17integral_constantIbLb0EES1P_EEDaS1K_S1L_EUlS1K_E_NS1_11comp_targetILNS1_3genE0ELNS1_11target_archE4294967295ELNS1_3gpuE0ELNS1_3repE0EEENS1_30default_config_static_selectorELNS0_4arch9wavefront6targetE0EEEvSY_.kd
    .uniform_work_group_size: 1
    .uses_dynamic_stack: false
    .vgpr_count:     69
    .vgpr_spill_count: 0
    .wavefront_size: 32
  - .args:
      - .offset:         0
        .size:           144
        .value_kind:     by_value
    .group_segment_fixed_size: 0
    .kernarg_segment_align: 8
    .kernarg_segment_size: 144
    .language:       OpenCL C
    .language_version:
      - 2
      - 0
    .max_flat_workgroup_size: 256
    .name:           _ZN7rocprim17ROCPRIM_400000_NS6detail17trampoline_kernelINS0_13select_configILj256ELj13ELNS0_17block_load_methodE3ELS4_3ELS4_3ELNS0_20block_scan_algorithmE0ELj4294967295EEENS1_25partition_config_selectorILNS1_17partition_subalgoE3EjNS0_10empty_typeEbEEZZNS1_14partition_implILS8_3ELb0ES6_jNS0_17counting_iteratorIjlEEPS9_SE_NS0_5tupleIJPjSE_EEENSF_IJSE_SE_EEES9_SG_JZNS1_25segmented_radix_sort_implINS0_14default_configELb0EPKiPiPKlPlN2at6native12_GLOBAL__N_18offset_tEEE10hipError_tPvRmT1_PNSt15iterator_traitsISY_E10value_typeET2_T3_PNSZ_IS14_E10value_typeET4_jRbjT5_S1A_jjP12ihipStream_tbEUljE_EEESV_SW_SX_S14_S18_S1A_T6_T7_T9_mT8_S1C_bDpT10_ENKUlT_T0_E_clISt17integral_constantIbLb0EES1P_EEDaS1K_S1L_EUlS1K_E_NS1_11comp_targetILNS1_3genE5ELNS1_11target_archE942ELNS1_3gpuE9ELNS1_3repE0EEENS1_30default_config_static_selectorELNS0_4arch9wavefront6targetE0EEEvSY_
    .private_segment_fixed_size: 0
    .sgpr_count:     0
    .sgpr_spill_count: 0
    .symbol:         _ZN7rocprim17ROCPRIM_400000_NS6detail17trampoline_kernelINS0_13select_configILj256ELj13ELNS0_17block_load_methodE3ELS4_3ELS4_3ELNS0_20block_scan_algorithmE0ELj4294967295EEENS1_25partition_config_selectorILNS1_17partition_subalgoE3EjNS0_10empty_typeEbEEZZNS1_14partition_implILS8_3ELb0ES6_jNS0_17counting_iteratorIjlEEPS9_SE_NS0_5tupleIJPjSE_EEENSF_IJSE_SE_EEES9_SG_JZNS1_25segmented_radix_sort_implINS0_14default_configELb0EPKiPiPKlPlN2at6native12_GLOBAL__N_18offset_tEEE10hipError_tPvRmT1_PNSt15iterator_traitsISY_E10value_typeET2_T3_PNSZ_IS14_E10value_typeET4_jRbjT5_S1A_jjP12ihipStream_tbEUljE_EEESV_SW_SX_S14_S18_S1A_T6_T7_T9_mT8_S1C_bDpT10_ENKUlT_T0_E_clISt17integral_constantIbLb0EES1P_EEDaS1K_S1L_EUlS1K_E_NS1_11comp_targetILNS1_3genE5ELNS1_11target_archE942ELNS1_3gpuE9ELNS1_3repE0EEENS1_30default_config_static_selectorELNS0_4arch9wavefront6targetE0EEEvSY_.kd
    .uniform_work_group_size: 1
    .uses_dynamic_stack: false
    .vgpr_count:     0
    .vgpr_spill_count: 0
    .wavefront_size: 32
  - .args:
      - .offset:         0
        .size:           144
        .value_kind:     by_value
    .group_segment_fixed_size: 0
    .kernarg_segment_align: 8
    .kernarg_segment_size: 144
    .language:       OpenCL C
    .language_version:
      - 2
      - 0
    .max_flat_workgroup_size: 256
    .name:           _ZN7rocprim17ROCPRIM_400000_NS6detail17trampoline_kernelINS0_13select_configILj256ELj13ELNS0_17block_load_methodE3ELS4_3ELS4_3ELNS0_20block_scan_algorithmE0ELj4294967295EEENS1_25partition_config_selectorILNS1_17partition_subalgoE3EjNS0_10empty_typeEbEEZZNS1_14partition_implILS8_3ELb0ES6_jNS0_17counting_iteratorIjlEEPS9_SE_NS0_5tupleIJPjSE_EEENSF_IJSE_SE_EEES9_SG_JZNS1_25segmented_radix_sort_implINS0_14default_configELb0EPKiPiPKlPlN2at6native12_GLOBAL__N_18offset_tEEE10hipError_tPvRmT1_PNSt15iterator_traitsISY_E10value_typeET2_T3_PNSZ_IS14_E10value_typeET4_jRbjT5_S1A_jjP12ihipStream_tbEUljE_EEESV_SW_SX_S14_S18_S1A_T6_T7_T9_mT8_S1C_bDpT10_ENKUlT_T0_E_clISt17integral_constantIbLb0EES1P_EEDaS1K_S1L_EUlS1K_E_NS1_11comp_targetILNS1_3genE4ELNS1_11target_archE910ELNS1_3gpuE8ELNS1_3repE0EEENS1_30default_config_static_selectorELNS0_4arch9wavefront6targetE0EEEvSY_
    .private_segment_fixed_size: 0
    .sgpr_count:     0
    .sgpr_spill_count: 0
    .symbol:         _ZN7rocprim17ROCPRIM_400000_NS6detail17trampoline_kernelINS0_13select_configILj256ELj13ELNS0_17block_load_methodE3ELS4_3ELS4_3ELNS0_20block_scan_algorithmE0ELj4294967295EEENS1_25partition_config_selectorILNS1_17partition_subalgoE3EjNS0_10empty_typeEbEEZZNS1_14partition_implILS8_3ELb0ES6_jNS0_17counting_iteratorIjlEEPS9_SE_NS0_5tupleIJPjSE_EEENSF_IJSE_SE_EEES9_SG_JZNS1_25segmented_radix_sort_implINS0_14default_configELb0EPKiPiPKlPlN2at6native12_GLOBAL__N_18offset_tEEE10hipError_tPvRmT1_PNSt15iterator_traitsISY_E10value_typeET2_T3_PNSZ_IS14_E10value_typeET4_jRbjT5_S1A_jjP12ihipStream_tbEUljE_EEESV_SW_SX_S14_S18_S1A_T6_T7_T9_mT8_S1C_bDpT10_ENKUlT_T0_E_clISt17integral_constantIbLb0EES1P_EEDaS1K_S1L_EUlS1K_E_NS1_11comp_targetILNS1_3genE4ELNS1_11target_archE910ELNS1_3gpuE8ELNS1_3repE0EEENS1_30default_config_static_selectorELNS0_4arch9wavefront6targetE0EEEvSY_.kd
    .uniform_work_group_size: 1
    .uses_dynamic_stack: false
    .vgpr_count:     0
    .vgpr_spill_count: 0
    .wavefront_size: 32
  - .args:
      - .offset:         0
        .size:           144
        .value_kind:     by_value
    .group_segment_fixed_size: 0
    .kernarg_segment_align: 8
    .kernarg_segment_size: 144
    .language:       OpenCL C
    .language_version:
      - 2
      - 0
    .max_flat_workgroup_size: 256
    .name:           _ZN7rocprim17ROCPRIM_400000_NS6detail17trampoline_kernelINS0_13select_configILj256ELj13ELNS0_17block_load_methodE3ELS4_3ELS4_3ELNS0_20block_scan_algorithmE0ELj4294967295EEENS1_25partition_config_selectorILNS1_17partition_subalgoE3EjNS0_10empty_typeEbEEZZNS1_14partition_implILS8_3ELb0ES6_jNS0_17counting_iteratorIjlEEPS9_SE_NS0_5tupleIJPjSE_EEENSF_IJSE_SE_EEES9_SG_JZNS1_25segmented_radix_sort_implINS0_14default_configELb0EPKiPiPKlPlN2at6native12_GLOBAL__N_18offset_tEEE10hipError_tPvRmT1_PNSt15iterator_traitsISY_E10value_typeET2_T3_PNSZ_IS14_E10value_typeET4_jRbjT5_S1A_jjP12ihipStream_tbEUljE_EEESV_SW_SX_S14_S18_S1A_T6_T7_T9_mT8_S1C_bDpT10_ENKUlT_T0_E_clISt17integral_constantIbLb0EES1P_EEDaS1K_S1L_EUlS1K_E_NS1_11comp_targetILNS1_3genE3ELNS1_11target_archE908ELNS1_3gpuE7ELNS1_3repE0EEENS1_30default_config_static_selectorELNS0_4arch9wavefront6targetE0EEEvSY_
    .private_segment_fixed_size: 0
    .sgpr_count:     0
    .sgpr_spill_count: 0
    .symbol:         _ZN7rocprim17ROCPRIM_400000_NS6detail17trampoline_kernelINS0_13select_configILj256ELj13ELNS0_17block_load_methodE3ELS4_3ELS4_3ELNS0_20block_scan_algorithmE0ELj4294967295EEENS1_25partition_config_selectorILNS1_17partition_subalgoE3EjNS0_10empty_typeEbEEZZNS1_14partition_implILS8_3ELb0ES6_jNS0_17counting_iteratorIjlEEPS9_SE_NS0_5tupleIJPjSE_EEENSF_IJSE_SE_EEES9_SG_JZNS1_25segmented_radix_sort_implINS0_14default_configELb0EPKiPiPKlPlN2at6native12_GLOBAL__N_18offset_tEEE10hipError_tPvRmT1_PNSt15iterator_traitsISY_E10value_typeET2_T3_PNSZ_IS14_E10value_typeET4_jRbjT5_S1A_jjP12ihipStream_tbEUljE_EEESV_SW_SX_S14_S18_S1A_T6_T7_T9_mT8_S1C_bDpT10_ENKUlT_T0_E_clISt17integral_constantIbLb0EES1P_EEDaS1K_S1L_EUlS1K_E_NS1_11comp_targetILNS1_3genE3ELNS1_11target_archE908ELNS1_3gpuE7ELNS1_3repE0EEENS1_30default_config_static_selectorELNS0_4arch9wavefront6targetE0EEEvSY_.kd
    .uniform_work_group_size: 1
    .uses_dynamic_stack: false
    .vgpr_count:     0
    .vgpr_spill_count: 0
    .wavefront_size: 32
  - .args:
      - .offset:         0
        .size:           144
        .value_kind:     by_value
    .group_segment_fixed_size: 0
    .kernarg_segment_align: 8
    .kernarg_segment_size: 144
    .language:       OpenCL C
    .language_version:
      - 2
      - 0
    .max_flat_workgroup_size: 256
    .name:           _ZN7rocprim17ROCPRIM_400000_NS6detail17trampoline_kernelINS0_13select_configILj256ELj13ELNS0_17block_load_methodE3ELS4_3ELS4_3ELNS0_20block_scan_algorithmE0ELj4294967295EEENS1_25partition_config_selectorILNS1_17partition_subalgoE3EjNS0_10empty_typeEbEEZZNS1_14partition_implILS8_3ELb0ES6_jNS0_17counting_iteratorIjlEEPS9_SE_NS0_5tupleIJPjSE_EEENSF_IJSE_SE_EEES9_SG_JZNS1_25segmented_radix_sort_implINS0_14default_configELb0EPKiPiPKlPlN2at6native12_GLOBAL__N_18offset_tEEE10hipError_tPvRmT1_PNSt15iterator_traitsISY_E10value_typeET2_T3_PNSZ_IS14_E10value_typeET4_jRbjT5_S1A_jjP12ihipStream_tbEUljE_EEESV_SW_SX_S14_S18_S1A_T6_T7_T9_mT8_S1C_bDpT10_ENKUlT_T0_E_clISt17integral_constantIbLb0EES1P_EEDaS1K_S1L_EUlS1K_E_NS1_11comp_targetILNS1_3genE2ELNS1_11target_archE906ELNS1_3gpuE6ELNS1_3repE0EEENS1_30default_config_static_selectorELNS0_4arch9wavefront6targetE0EEEvSY_
    .private_segment_fixed_size: 0
    .sgpr_count:     0
    .sgpr_spill_count: 0
    .symbol:         _ZN7rocprim17ROCPRIM_400000_NS6detail17trampoline_kernelINS0_13select_configILj256ELj13ELNS0_17block_load_methodE3ELS4_3ELS4_3ELNS0_20block_scan_algorithmE0ELj4294967295EEENS1_25partition_config_selectorILNS1_17partition_subalgoE3EjNS0_10empty_typeEbEEZZNS1_14partition_implILS8_3ELb0ES6_jNS0_17counting_iteratorIjlEEPS9_SE_NS0_5tupleIJPjSE_EEENSF_IJSE_SE_EEES9_SG_JZNS1_25segmented_radix_sort_implINS0_14default_configELb0EPKiPiPKlPlN2at6native12_GLOBAL__N_18offset_tEEE10hipError_tPvRmT1_PNSt15iterator_traitsISY_E10value_typeET2_T3_PNSZ_IS14_E10value_typeET4_jRbjT5_S1A_jjP12ihipStream_tbEUljE_EEESV_SW_SX_S14_S18_S1A_T6_T7_T9_mT8_S1C_bDpT10_ENKUlT_T0_E_clISt17integral_constantIbLb0EES1P_EEDaS1K_S1L_EUlS1K_E_NS1_11comp_targetILNS1_3genE2ELNS1_11target_archE906ELNS1_3gpuE6ELNS1_3repE0EEENS1_30default_config_static_selectorELNS0_4arch9wavefront6targetE0EEEvSY_.kd
    .uniform_work_group_size: 1
    .uses_dynamic_stack: false
    .vgpr_count:     0
    .vgpr_spill_count: 0
    .wavefront_size: 32
  - .args:
      - .offset:         0
        .size:           144
        .value_kind:     by_value
    .group_segment_fixed_size: 0
    .kernarg_segment_align: 8
    .kernarg_segment_size: 144
    .language:       OpenCL C
    .language_version:
      - 2
      - 0
    .max_flat_workgroup_size: 256
    .name:           _ZN7rocprim17ROCPRIM_400000_NS6detail17trampoline_kernelINS0_13select_configILj256ELj13ELNS0_17block_load_methodE3ELS4_3ELS4_3ELNS0_20block_scan_algorithmE0ELj4294967295EEENS1_25partition_config_selectorILNS1_17partition_subalgoE3EjNS0_10empty_typeEbEEZZNS1_14partition_implILS8_3ELb0ES6_jNS0_17counting_iteratorIjlEEPS9_SE_NS0_5tupleIJPjSE_EEENSF_IJSE_SE_EEES9_SG_JZNS1_25segmented_radix_sort_implINS0_14default_configELb0EPKiPiPKlPlN2at6native12_GLOBAL__N_18offset_tEEE10hipError_tPvRmT1_PNSt15iterator_traitsISY_E10value_typeET2_T3_PNSZ_IS14_E10value_typeET4_jRbjT5_S1A_jjP12ihipStream_tbEUljE_EEESV_SW_SX_S14_S18_S1A_T6_T7_T9_mT8_S1C_bDpT10_ENKUlT_T0_E_clISt17integral_constantIbLb0EES1P_EEDaS1K_S1L_EUlS1K_E_NS1_11comp_targetILNS1_3genE10ELNS1_11target_archE1200ELNS1_3gpuE4ELNS1_3repE0EEENS1_30default_config_static_selectorELNS0_4arch9wavefront6targetE0EEEvSY_
    .private_segment_fixed_size: 0
    .sgpr_count:     0
    .sgpr_spill_count: 0
    .symbol:         _ZN7rocprim17ROCPRIM_400000_NS6detail17trampoline_kernelINS0_13select_configILj256ELj13ELNS0_17block_load_methodE3ELS4_3ELS4_3ELNS0_20block_scan_algorithmE0ELj4294967295EEENS1_25partition_config_selectorILNS1_17partition_subalgoE3EjNS0_10empty_typeEbEEZZNS1_14partition_implILS8_3ELb0ES6_jNS0_17counting_iteratorIjlEEPS9_SE_NS0_5tupleIJPjSE_EEENSF_IJSE_SE_EEES9_SG_JZNS1_25segmented_radix_sort_implINS0_14default_configELb0EPKiPiPKlPlN2at6native12_GLOBAL__N_18offset_tEEE10hipError_tPvRmT1_PNSt15iterator_traitsISY_E10value_typeET2_T3_PNSZ_IS14_E10value_typeET4_jRbjT5_S1A_jjP12ihipStream_tbEUljE_EEESV_SW_SX_S14_S18_S1A_T6_T7_T9_mT8_S1C_bDpT10_ENKUlT_T0_E_clISt17integral_constantIbLb0EES1P_EEDaS1K_S1L_EUlS1K_E_NS1_11comp_targetILNS1_3genE10ELNS1_11target_archE1200ELNS1_3gpuE4ELNS1_3repE0EEENS1_30default_config_static_selectorELNS0_4arch9wavefront6targetE0EEEvSY_.kd
    .uniform_work_group_size: 1
    .uses_dynamic_stack: false
    .vgpr_count:     0
    .vgpr_spill_count: 0
    .wavefront_size: 32
  - .args:
      - .offset:         0
        .size:           144
        .value_kind:     by_value
    .group_segment_fixed_size: 0
    .kernarg_segment_align: 8
    .kernarg_segment_size: 144
    .language:       OpenCL C
    .language_version:
      - 2
      - 0
    .max_flat_workgroup_size: 256
    .name:           _ZN7rocprim17ROCPRIM_400000_NS6detail17trampoline_kernelINS0_13select_configILj256ELj13ELNS0_17block_load_methodE3ELS4_3ELS4_3ELNS0_20block_scan_algorithmE0ELj4294967295EEENS1_25partition_config_selectorILNS1_17partition_subalgoE3EjNS0_10empty_typeEbEEZZNS1_14partition_implILS8_3ELb0ES6_jNS0_17counting_iteratorIjlEEPS9_SE_NS0_5tupleIJPjSE_EEENSF_IJSE_SE_EEES9_SG_JZNS1_25segmented_radix_sort_implINS0_14default_configELb0EPKiPiPKlPlN2at6native12_GLOBAL__N_18offset_tEEE10hipError_tPvRmT1_PNSt15iterator_traitsISY_E10value_typeET2_T3_PNSZ_IS14_E10value_typeET4_jRbjT5_S1A_jjP12ihipStream_tbEUljE_EEESV_SW_SX_S14_S18_S1A_T6_T7_T9_mT8_S1C_bDpT10_ENKUlT_T0_E_clISt17integral_constantIbLb0EES1P_EEDaS1K_S1L_EUlS1K_E_NS1_11comp_targetILNS1_3genE9ELNS1_11target_archE1100ELNS1_3gpuE3ELNS1_3repE0EEENS1_30default_config_static_selectorELNS0_4arch9wavefront6targetE0EEEvSY_
    .private_segment_fixed_size: 0
    .sgpr_count:     0
    .sgpr_spill_count: 0
    .symbol:         _ZN7rocprim17ROCPRIM_400000_NS6detail17trampoline_kernelINS0_13select_configILj256ELj13ELNS0_17block_load_methodE3ELS4_3ELS4_3ELNS0_20block_scan_algorithmE0ELj4294967295EEENS1_25partition_config_selectorILNS1_17partition_subalgoE3EjNS0_10empty_typeEbEEZZNS1_14partition_implILS8_3ELb0ES6_jNS0_17counting_iteratorIjlEEPS9_SE_NS0_5tupleIJPjSE_EEENSF_IJSE_SE_EEES9_SG_JZNS1_25segmented_radix_sort_implINS0_14default_configELb0EPKiPiPKlPlN2at6native12_GLOBAL__N_18offset_tEEE10hipError_tPvRmT1_PNSt15iterator_traitsISY_E10value_typeET2_T3_PNSZ_IS14_E10value_typeET4_jRbjT5_S1A_jjP12ihipStream_tbEUljE_EEESV_SW_SX_S14_S18_S1A_T6_T7_T9_mT8_S1C_bDpT10_ENKUlT_T0_E_clISt17integral_constantIbLb0EES1P_EEDaS1K_S1L_EUlS1K_E_NS1_11comp_targetILNS1_3genE9ELNS1_11target_archE1100ELNS1_3gpuE3ELNS1_3repE0EEENS1_30default_config_static_selectorELNS0_4arch9wavefront6targetE0EEEvSY_.kd
    .uniform_work_group_size: 1
    .uses_dynamic_stack: false
    .vgpr_count:     0
    .vgpr_spill_count: 0
    .wavefront_size: 32
  - .args:
      - .offset:         0
        .size:           144
        .value_kind:     by_value
    .group_segment_fixed_size: 0
    .kernarg_segment_align: 8
    .kernarg_segment_size: 144
    .language:       OpenCL C
    .language_version:
      - 2
      - 0
    .max_flat_workgroup_size: 256
    .name:           _ZN7rocprim17ROCPRIM_400000_NS6detail17trampoline_kernelINS0_13select_configILj256ELj13ELNS0_17block_load_methodE3ELS4_3ELS4_3ELNS0_20block_scan_algorithmE0ELj4294967295EEENS1_25partition_config_selectorILNS1_17partition_subalgoE3EjNS0_10empty_typeEbEEZZNS1_14partition_implILS8_3ELb0ES6_jNS0_17counting_iteratorIjlEEPS9_SE_NS0_5tupleIJPjSE_EEENSF_IJSE_SE_EEES9_SG_JZNS1_25segmented_radix_sort_implINS0_14default_configELb0EPKiPiPKlPlN2at6native12_GLOBAL__N_18offset_tEEE10hipError_tPvRmT1_PNSt15iterator_traitsISY_E10value_typeET2_T3_PNSZ_IS14_E10value_typeET4_jRbjT5_S1A_jjP12ihipStream_tbEUljE_EEESV_SW_SX_S14_S18_S1A_T6_T7_T9_mT8_S1C_bDpT10_ENKUlT_T0_E_clISt17integral_constantIbLb0EES1P_EEDaS1K_S1L_EUlS1K_E_NS1_11comp_targetILNS1_3genE8ELNS1_11target_archE1030ELNS1_3gpuE2ELNS1_3repE0EEENS1_30default_config_static_selectorELNS0_4arch9wavefront6targetE0EEEvSY_
    .private_segment_fixed_size: 0
    .sgpr_count:     0
    .sgpr_spill_count: 0
    .symbol:         _ZN7rocprim17ROCPRIM_400000_NS6detail17trampoline_kernelINS0_13select_configILj256ELj13ELNS0_17block_load_methodE3ELS4_3ELS4_3ELNS0_20block_scan_algorithmE0ELj4294967295EEENS1_25partition_config_selectorILNS1_17partition_subalgoE3EjNS0_10empty_typeEbEEZZNS1_14partition_implILS8_3ELb0ES6_jNS0_17counting_iteratorIjlEEPS9_SE_NS0_5tupleIJPjSE_EEENSF_IJSE_SE_EEES9_SG_JZNS1_25segmented_radix_sort_implINS0_14default_configELb0EPKiPiPKlPlN2at6native12_GLOBAL__N_18offset_tEEE10hipError_tPvRmT1_PNSt15iterator_traitsISY_E10value_typeET2_T3_PNSZ_IS14_E10value_typeET4_jRbjT5_S1A_jjP12ihipStream_tbEUljE_EEESV_SW_SX_S14_S18_S1A_T6_T7_T9_mT8_S1C_bDpT10_ENKUlT_T0_E_clISt17integral_constantIbLb0EES1P_EEDaS1K_S1L_EUlS1K_E_NS1_11comp_targetILNS1_3genE8ELNS1_11target_archE1030ELNS1_3gpuE2ELNS1_3repE0EEENS1_30default_config_static_selectorELNS0_4arch9wavefront6targetE0EEEvSY_.kd
    .uniform_work_group_size: 1
    .uses_dynamic_stack: false
    .vgpr_count:     0
    .vgpr_spill_count: 0
    .wavefront_size: 32
  - .args:
      - .offset:         0
        .size:           152
        .value_kind:     by_value
    .group_segment_fixed_size: 0
    .kernarg_segment_align: 8
    .kernarg_segment_size: 152
    .language:       OpenCL C
    .language_version:
      - 2
      - 0
    .max_flat_workgroup_size: 256
    .name:           _ZN7rocprim17ROCPRIM_400000_NS6detail17trampoline_kernelINS0_13select_configILj256ELj13ELNS0_17block_load_methodE3ELS4_3ELS4_3ELNS0_20block_scan_algorithmE0ELj4294967295EEENS1_25partition_config_selectorILNS1_17partition_subalgoE3EjNS0_10empty_typeEbEEZZNS1_14partition_implILS8_3ELb0ES6_jNS0_17counting_iteratorIjlEEPS9_SE_NS0_5tupleIJPjSE_EEENSF_IJSE_SE_EEES9_SG_JZNS1_25segmented_radix_sort_implINS0_14default_configELb0EPKiPiPKlPlN2at6native12_GLOBAL__N_18offset_tEEE10hipError_tPvRmT1_PNSt15iterator_traitsISY_E10value_typeET2_T3_PNSZ_IS14_E10value_typeET4_jRbjT5_S1A_jjP12ihipStream_tbEUljE_EEESV_SW_SX_S14_S18_S1A_T6_T7_T9_mT8_S1C_bDpT10_ENKUlT_T0_E_clISt17integral_constantIbLb1EES1P_EEDaS1K_S1L_EUlS1K_E_NS1_11comp_targetILNS1_3genE0ELNS1_11target_archE4294967295ELNS1_3gpuE0ELNS1_3repE0EEENS1_30default_config_static_selectorELNS0_4arch9wavefront6targetE0EEEvSY_
    .private_segment_fixed_size: 0
    .sgpr_count:     0
    .sgpr_spill_count: 0
    .symbol:         _ZN7rocprim17ROCPRIM_400000_NS6detail17trampoline_kernelINS0_13select_configILj256ELj13ELNS0_17block_load_methodE3ELS4_3ELS4_3ELNS0_20block_scan_algorithmE0ELj4294967295EEENS1_25partition_config_selectorILNS1_17partition_subalgoE3EjNS0_10empty_typeEbEEZZNS1_14partition_implILS8_3ELb0ES6_jNS0_17counting_iteratorIjlEEPS9_SE_NS0_5tupleIJPjSE_EEENSF_IJSE_SE_EEES9_SG_JZNS1_25segmented_radix_sort_implINS0_14default_configELb0EPKiPiPKlPlN2at6native12_GLOBAL__N_18offset_tEEE10hipError_tPvRmT1_PNSt15iterator_traitsISY_E10value_typeET2_T3_PNSZ_IS14_E10value_typeET4_jRbjT5_S1A_jjP12ihipStream_tbEUljE_EEESV_SW_SX_S14_S18_S1A_T6_T7_T9_mT8_S1C_bDpT10_ENKUlT_T0_E_clISt17integral_constantIbLb1EES1P_EEDaS1K_S1L_EUlS1K_E_NS1_11comp_targetILNS1_3genE0ELNS1_11target_archE4294967295ELNS1_3gpuE0ELNS1_3repE0EEENS1_30default_config_static_selectorELNS0_4arch9wavefront6targetE0EEEvSY_.kd
    .uniform_work_group_size: 1
    .uses_dynamic_stack: false
    .vgpr_count:     0
    .vgpr_spill_count: 0
    .wavefront_size: 32
  - .args:
      - .offset:         0
        .size:           152
        .value_kind:     by_value
    .group_segment_fixed_size: 0
    .kernarg_segment_align: 8
    .kernarg_segment_size: 152
    .language:       OpenCL C
    .language_version:
      - 2
      - 0
    .max_flat_workgroup_size: 256
    .name:           _ZN7rocprim17ROCPRIM_400000_NS6detail17trampoline_kernelINS0_13select_configILj256ELj13ELNS0_17block_load_methodE3ELS4_3ELS4_3ELNS0_20block_scan_algorithmE0ELj4294967295EEENS1_25partition_config_selectorILNS1_17partition_subalgoE3EjNS0_10empty_typeEbEEZZNS1_14partition_implILS8_3ELb0ES6_jNS0_17counting_iteratorIjlEEPS9_SE_NS0_5tupleIJPjSE_EEENSF_IJSE_SE_EEES9_SG_JZNS1_25segmented_radix_sort_implINS0_14default_configELb0EPKiPiPKlPlN2at6native12_GLOBAL__N_18offset_tEEE10hipError_tPvRmT1_PNSt15iterator_traitsISY_E10value_typeET2_T3_PNSZ_IS14_E10value_typeET4_jRbjT5_S1A_jjP12ihipStream_tbEUljE_EEESV_SW_SX_S14_S18_S1A_T6_T7_T9_mT8_S1C_bDpT10_ENKUlT_T0_E_clISt17integral_constantIbLb1EES1P_EEDaS1K_S1L_EUlS1K_E_NS1_11comp_targetILNS1_3genE5ELNS1_11target_archE942ELNS1_3gpuE9ELNS1_3repE0EEENS1_30default_config_static_selectorELNS0_4arch9wavefront6targetE0EEEvSY_
    .private_segment_fixed_size: 0
    .sgpr_count:     0
    .sgpr_spill_count: 0
    .symbol:         _ZN7rocprim17ROCPRIM_400000_NS6detail17trampoline_kernelINS0_13select_configILj256ELj13ELNS0_17block_load_methodE3ELS4_3ELS4_3ELNS0_20block_scan_algorithmE0ELj4294967295EEENS1_25partition_config_selectorILNS1_17partition_subalgoE3EjNS0_10empty_typeEbEEZZNS1_14partition_implILS8_3ELb0ES6_jNS0_17counting_iteratorIjlEEPS9_SE_NS0_5tupleIJPjSE_EEENSF_IJSE_SE_EEES9_SG_JZNS1_25segmented_radix_sort_implINS0_14default_configELb0EPKiPiPKlPlN2at6native12_GLOBAL__N_18offset_tEEE10hipError_tPvRmT1_PNSt15iterator_traitsISY_E10value_typeET2_T3_PNSZ_IS14_E10value_typeET4_jRbjT5_S1A_jjP12ihipStream_tbEUljE_EEESV_SW_SX_S14_S18_S1A_T6_T7_T9_mT8_S1C_bDpT10_ENKUlT_T0_E_clISt17integral_constantIbLb1EES1P_EEDaS1K_S1L_EUlS1K_E_NS1_11comp_targetILNS1_3genE5ELNS1_11target_archE942ELNS1_3gpuE9ELNS1_3repE0EEENS1_30default_config_static_selectorELNS0_4arch9wavefront6targetE0EEEvSY_.kd
    .uniform_work_group_size: 1
    .uses_dynamic_stack: false
    .vgpr_count:     0
    .vgpr_spill_count: 0
    .wavefront_size: 32
  - .args:
      - .offset:         0
        .size:           152
        .value_kind:     by_value
    .group_segment_fixed_size: 0
    .kernarg_segment_align: 8
    .kernarg_segment_size: 152
    .language:       OpenCL C
    .language_version:
      - 2
      - 0
    .max_flat_workgroup_size: 256
    .name:           _ZN7rocprim17ROCPRIM_400000_NS6detail17trampoline_kernelINS0_13select_configILj256ELj13ELNS0_17block_load_methodE3ELS4_3ELS4_3ELNS0_20block_scan_algorithmE0ELj4294967295EEENS1_25partition_config_selectorILNS1_17partition_subalgoE3EjNS0_10empty_typeEbEEZZNS1_14partition_implILS8_3ELb0ES6_jNS0_17counting_iteratorIjlEEPS9_SE_NS0_5tupleIJPjSE_EEENSF_IJSE_SE_EEES9_SG_JZNS1_25segmented_radix_sort_implINS0_14default_configELb0EPKiPiPKlPlN2at6native12_GLOBAL__N_18offset_tEEE10hipError_tPvRmT1_PNSt15iterator_traitsISY_E10value_typeET2_T3_PNSZ_IS14_E10value_typeET4_jRbjT5_S1A_jjP12ihipStream_tbEUljE_EEESV_SW_SX_S14_S18_S1A_T6_T7_T9_mT8_S1C_bDpT10_ENKUlT_T0_E_clISt17integral_constantIbLb1EES1P_EEDaS1K_S1L_EUlS1K_E_NS1_11comp_targetILNS1_3genE4ELNS1_11target_archE910ELNS1_3gpuE8ELNS1_3repE0EEENS1_30default_config_static_selectorELNS0_4arch9wavefront6targetE0EEEvSY_
    .private_segment_fixed_size: 0
    .sgpr_count:     0
    .sgpr_spill_count: 0
    .symbol:         _ZN7rocprim17ROCPRIM_400000_NS6detail17trampoline_kernelINS0_13select_configILj256ELj13ELNS0_17block_load_methodE3ELS4_3ELS4_3ELNS0_20block_scan_algorithmE0ELj4294967295EEENS1_25partition_config_selectorILNS1_17partition_subalgoE3EjNS0_10empty_typeEbEEZZNS1_14partition_implILS8_3ELb0ES6_jNS0_17counting_iteratorIjlEEPS9_SE_NS0_5tupleIJPjSE_EEENSF_IJSE_SE_EEES9_SG_JZNS1_25segmented_radix_sort_implINS0_14default_configELb0EPKiPiPKlPlN2at6native12_GLOBAL__N_18offset_tEEE10hipError_tPvRmT1_PNSt15iterator_traitsISY_E10value_typeET2_T3_PNSZ_IS14_E10value_typeET4_jRbjT5_S1A_jjP12ihipStream_tbEUljE_EEESV_SW_SX_S14_S18_S1A_T6_T7_T9_mT8_S1C_bDpT10_ENKUlT_T0_E_clISt17integral_constantIbLb1EES1P_EEDaS1K_S1L_EUlS1K_E_NS1_11comp_targetILNS1_3genE4ELNS1_11target_archE910ELNS1_3gpuE8ELNS1_3repE0EEENS1_30default_config_static_selectorELNS0_4arch9wavefront6targetE0EEEvSY_.kd
    .uniform_work_group_size: 1
    .uses_dynamic_stack: false
    .vgpr_count:     0
    .vgpr_spill_count: 0
    .wavefront_size: 32
  - .args:
      - .offset:         0
        .size:           152
        .value_kind:     by_value
    .group_segment_fixed_size: 0
    .kernarg_segment_align: 8
    .kernarg_segment_size: 152
    .language:       OpenCL C
    .language_version:
      - 2
      - 0
    .max_flat_workgroup_size: 256
    .name:           _ZN7rocprim17ROCPRIM_400000_NS6detail17trampoline_kernelINS0_13select_configILj256ELj13ELNS0_17block_load_methodE3ELS4_3ELS4_3ELNS0_20block_scan_algorithmE0ELj4294967295EEENS1_25partition_config_selectorILNS1_17partition_subalgoE3EjNS0_10empty_typeEbEEZZNS1_14partition_implILS8_3ELb0ES6_jNS0_17counting_iteratorIjlEEPS9_SE_NS0_5tupleIJPjSE_EEENSF_IJSE_SE_EEES9_SG_JZNS1_25segmented_radix_sort_implINS0_14default_configELb0EPKiPiPKlPlN2at6native12_GLOBAL__N_18offset_tEEE10hipError_tPvRmT1_PNSt15iterator_traitsISY_E10value_typeET2_T3_PNSZ_IS14_E10value_typeET4_jRbjT5_S1A_jjP12ihipStream_tbEUljE_EEESV_SW_SX_S14_S18_S1A_T6_T7_T9_mT8_S1C_bDpT10_ENKUlT_T0_E_clISt17integral_constantIbLb1EES1P_EEDaS1K_S1L_EUlS1K_E_NS1_11comp_targetILNS1_3genE3ELNS1_11target_archE908ELNS1_3gpuE7ELNS1_3repE0EEENS1_30default_config_static_selectorELNS0_4arch9wavefront6targetE0EEEvSY_
    .private_segment_fixed_size: 0
    .sgpr_count:     0
    .sgpr_spill_count: 0
    .symbol:         _ZN7rocprim17ROCPRIM_400000_NS6detail17trampoline_kernelINS0_13select_configILj256ELj13ELNS0_17block_load_methodE3ELS4_3ELS4_3ELNS0_20block_scan_algorithmE0ELj4294967295EEENS1_25partition_config_selectorILNS1_17partition_subalgoE3EjNS0_10empty_typeEbEEZZNS1_14partition_implILS8_3ELb0ES6_jNS0_17counting_iteratorIjlEEPS9_SE_NS0_5tupleIJPjSE_EEENSF_IJSE_SE_EEES9_SG_JZNS1_25segmented_radix_sort_implINS0_14default_configELb0EPKiPiPKlPlN2at6native12_GLOBAL__N_18offset_tEEE10hipError_tPvRmT1_PNSt15iterator_traitsISY_E10value_typeET2_T3_PNSZ_IS14_E10value_typeET4_jRbjT5_S1A_jjP12ihipStream_tbEUljE_EEESV_SW_SX_S14_S18_S1A_T6_T7_T9_mT8_S1C_bDpT10_ENKUlT_T0_E_clISt17integral_constantIbLb1EES1P_EEDaS1K_S1L_EUlS1K_E_NS1_11comp_targetILNS1_3genE3ELNS1_11target_archE908ELNS1_3gpuE7ELNS1_3repE0EEENS1_30default_config_static_selectorELNS0_4arch9wavefront6targetE0EEEvSY_.kd
    .uniform_work_group_size: 1
    .uses_dynamic_stack: false
    .vgpr_count:     0
    .vgpr_spill_count: 0
    .wavefront_size: 32
  - .args:
      - .offset:         0
        .size:           152
        .value_kind:     by_value
    .group_segment_fixed_size: 0
    .kernarg_segment_align: 8
    .kernarg_segment_size: 152
    .language:       OpenCL C
    .language_version:
      - 2
      - 0
    .max_flat_workgroup_size: 256
    .name:           _ZN7rocprim17ROCPRIM_400000_NS6detail17trampoline_kernelINS0_13select_configILj256ELj13ELNS0_17block_load_methodE3ELS4_3ELS4_3ELNS0_20block_scan_algorithmE0ELj4294967295EEENS1_25partition_config_selectorILNS1_17partition_subalgoE3EjNS0_10empty_typeEbEEZZNS1_14partition_implILS8_3ELb0ES6_jNS0_17counting_iteratorIjlEEPS9_SE_NS0_5tupleIJPjSE_EEENSF_IJSE_SE_EEES9_SG_JZNS1_25segmented_radix_sort_implINS0_14default_configELb0EPKiPiPKlPlN2at6native12_GLOBAL__N_18offset_tEEE10hipError_tPvRmT1_PNSt15iterator_traitsISY_E10value_typeET2_T3_PNSZ_IS14_E10value_typeET4_jRbjT5_S1A_jjP12ihipStream_tbEUljE_EEESV_SW_SX_S14_S18_S1A_T6_T7_T9_mT8_S1C_bDpT10_ENKUlT_T0_E_clISt17integral_constantIbLb1EES1P_EEDaS1K_S1L_EUlS1K_E_NS1_11comp_targetILNS1_3genE2ELNS1_11target_archE906ELNS1_3gpuE6ELNS1_3repE0EEENS1_30default_config_static_selectorELNS0_4arch9wavefront6targetE0EEEvSY_
    .private_segment_fixed_size: 0
    .sgpr_count:     0
    .sgpr_spill_count: 0
    .symbol:         _ZN7rocprim17ROCPRIM_400000_NS6detail17trampoline_kernelINS0_13select_configILj256ELj13ELNS0_17block_load_methodE3ELS4_3ELS4_3ELNS0_20block_scan_algorithmE0ELj4294967295EEENS1_25partition_config_selectorILNS1_17partition_subalgoE3EjNS0_10empty_typeEbEEZZNS1_14partition_implILS8_3ELb0ES6_jNS0_17counting_iteratorIjlEEPS9_SE_NS0_5tupleIJPjSE_EEENSF_IJSE_SE_EEES9_SG_JZNS1_25segmented_radix_sort_implINS0_14default_configELb0EPKiPiPKlPlN2at6native12_GLOBAL__N_18offset_tEEE10hipError_tPvRmT1_PNSt15iterator_traitsISY_E10value_typeET2_T3_PNSZ_IS14_E10value_typeET4_jRbjT5_S1A_jjP12ihipStream_tbEUljE_EEESV_SW_SX_S14_S18_S1A_T6_T7_T9_mT8_S1C_bDpT10_ENKUlT_T0_E_clISt17integral_constantIbLb1EES1P_EEDaS1K_S1L_EUlS1K_E_NS1_11comp_targetILNS1_3genE2ELNS1_11target_archE906ELNS1_3gpuE6ELNS1_3repE0EEENS1_30default_config_static_selectorELNS0_4arch9wavefront6targetE0EEEvSY_.kd
    .uniform_work_group_size: 1
    .uses_dynamic_stack: false
    .vgpr_count:     0
    .vgpr_spill_count: 0
    .wavefront_size: 32
  - .args:
      - .offset:         0
        .size:           152
        .value_kind:     by_value
    .group_segment_fixed_size: 0
    .kernarg_segment_align: 8
    .kernarg_segment_size: 152
    .language:       OpenCL C
    .language_version:
      - 2
      - 0
    .max_flat_workgroup_size: 256
    .name:           _ZN7rocprim17ROCPRIM_400000_NS6detail17trampoline_kernelINS0_13select_configILj256ELj13ELNS0_17block_load_methodE3ELS4_3ELS4_3ELNS0_20block_scan_algorithmE0ELj4294967295EEENS1_25partition_config_selectorILNS1_17partition_subalgoE3EjNS0_10empty_typeEbEEZZNS1_14partition_implILS8_3ELb0ES6_jNS0_17counting_iteratorIjlEEPS9_SE_NS0_5tupleIJPjSE_EEENSF_IJSE_SE_EEES9_SG_JZNS1_25segmented_radix_sort_implINS0_14default_configELb0EPKiPiPKlPlN2at6native12_GLOBAL__N_18offset_tEEE10hipError_tPvRmT1_PNSt15iterator_traitsISY_E10value_typeET2_T3_PNSZ_IS14_E10value_typeET4_jRbjT5_S1A_jjP12ihipStream_tbEUljE_EEESV_SW_SX_S14_S18_S1A_T6_T7_T9_mT8_S1C_bDpT10_ENKUlT_T0_E_clISt17integral_constantIbLb1EES1P_EEDaS1K_S1L_EUlS1K_E_NS1_11comp_targetILNS1_3genE10ELNS1_11target_archE1200ELNS1_3gpuE4ELNS1_3repE0EEENS1_30default_config_static_selectorELNS0_4arch9wavefront6targetE0EEEvSY_
    .private_segment_fixed_size: 0
    .sgpr_count:     0
    .sgpr_spill_count: 0
    .symbol:         _ZN7rocprim17ROCPRIM_400000_NS6detail17trampoline_kernelINS0_13select_configILj256ELj13ELNS0_17block_load_methodE3ELS4_3ELS4_3ELNS0_20block_scan_algorithmE0ELj4294967295EEENS1_25partition_config_selectorILNS1_17partition_subalgoE3EjNS0_10empty_typeEbEEZZNS1_14partition_implILS8_3ELb0ES6_jNS0_17counting_iteratorIjlEEPS9_SE_NS0_5tupleIJPjSE_EEENSF_IJSE_SE_EEES9_SG_JZNS1_25segmented_radix_sort_implINS0_14default_configELb0EPKiPiPKlPlN2at6native12_GLOBAL__N_18offset_tEEE10hipError_tPvRmT1_PNSt15iterator_traitsISY_E10value_typeET2_T3_PNSZ_IS14_E10value_typeET4_jRbjT5_S1A_jjP12ihipStream_tbEUljE_EEESV_SW_SX_S14_S18_S1A_T6_T7_T9_mT8_S1C_bDpT10_ENKUlT_T0_E_clISt17integral_constantIbLb1EES1P_EEDaS1K_S1L_EUlS1K_E_NS1_11comp_targetILNS1_3genE10ELNS1_11target_archE1200ELNS1_3gpuE4ELNS1_3repE0EEENS1_30default_config_static_selectorELNS0_4arch9wavefront6targetE0EEEvSY_.kd
    .uniform_work_group_size: 1
    .uses_dynamic_stack: false
    .vgpr_count:     0
    .vgpr_spill_count: 0
    .wavefront_size: 32
  - .args:
      - .offset:         0
        .size:           152
        .value_kind:     by_value
    .group_segment_fixed_size: 0
    .kernarg_segment_align: 8
    .kernarg_segment_size: 152
    .language:       OpenCL C
    .language_version:
      - 2
      - 0
    .max_flat_workgroup_size: 256
    .name:           _ZN7rocprim17ROCPRIM_400000_NS6detail17trampoline_kernelINS0_13select_configILj256ELj13ELNS0_17block_load_methodE3ELS4_3ELS4_3ELNS0_20block_scan_algorithmE0ELj4294967295EEENS1_25partition_config_selectorILNS1_17partition_subalgoE3EjNS0_10empty_typeEbEEZZNS1_14partition_implILS8_3ELb0ES6_jNS0_17counting_iteratorIjlEEPS9_SE_NS0_5tupleIJPjSE_EEENSF_IJSE_SE_EEES9_SG_JZNS1_25segmented_radix_sort_implINS0_14default_configELb0EPKiPiPKlPlN2at6native12_GLOBAL__N_18offset_tEEE10hipError_tPvRmT1_PNSt15iterator_traitsISY_E10value_typeET2_T3_PNSZ_IS14_E10value_typeET4_jRbjT5_S1A_jjP12ihipStream_tbEUljE_EEESV_SW_SX_S14_S18_S1A_T6_T7_T9_mT8_S1C_bDpT10_ENKUlT_T0_E_clISt17integral_constantIbLb1EES1P_EEDaS1K_S1L_EUlS1K_E_NS1_11comp_targetILNS1_3genE9ELNS1_11target_archE1100ELNS1_3gpuE3ELNS1_3repE0EEENS1_30default_config_static_selectorELNS0_4arch9wavefront6targetE0EEEvSY_
    .private_segment_fixed_size: 0
    .sgpr_count:     0
    .sgpr_spill_count: 0
    .symbol:         _ZN7rocprim17ROCPRIM_400000_NS6detail17trampoline_kernelINS0_13select_configILj256ELj13ELNS0_17block_load_methodE3ELS4_3ELS4_3ELNS0_20block_scan_algorithmE0ELj4294967295EEENS1_25partition_config_selectorILNS1_17partition_subalgoE3EjNS0_10empty_typeEbEEZZNS1_14partition_implILS8_3ELb0ES6_jNS0_17counting_iteratorIjlEEPS9_SE_NS0_5tupleIJPjSE_EEENSF_IJSE_SE_EEES9_SG_JZNS1_25segmented_radix_sort_implINS0_14default_configELb0EPKiPiPKlPlN2at6native12_GLOBAL__N_18offset_tEEE10hipError_tPvRmT1_PNSt15iterator_traitsISY_E10value_typeET2_T3_PNSZ_IS14_E10value_typeET4_jRbjT5_S1A_jjP12ihipStream_tbEUljE_EEESV_SW_SX_S14_S18_S1A_T6_T7_T9_mT8_S1C_bDpT10_ENKUlT_T0_E_clISt17integral_constantIbLb1EES1P_EEDaS1K_S1L_EUlS1K_E_NS1_11comp_targetILNS1_3genE9ELNS1_11target_archE1100ELNS1_3gpuE3ELNS1_3repE0EEENS1_30default_config_static_selectorELNS0_4arch9wavefront6targetE0EEEvSY_.kd
    .uniform_work_group_size: 1
    .uses_dynamic_stack: false
    .vgpr_count:     0
    .vgpr_spill_count: 0
    .wavefront_size: 32
  - .args:
      - .offset:         0
        .size:           152
        .value_kind:     by_value
    .group_segment_fixed_size: 0
    .kernarg_segment_align: 8
    .kernarg_segment_size: 152
    .language:       OpenCL C
    .language_version:
      - 2
      - 0
    .max_flat_workgroup_size: 256
    .name:           _ZN7rocprim17ROCPRIM_400000_NS6detail17trampoline_kernelINS0_13select_configILj256ELj13ELNS0_17block_load_methodE3ELS4_3ELS4_3ELNS0_20block_scan_algorithmE0ELj4294967295EEENS1_25partition_config_selectorILNS1_17partition_subalgoE3EjNS0_10empty_typeEbEEZZNS1_14partition_implILS8_3ELb0ES6_jNS0_17counting_iteratorIjlEEPS9_SE_NS0_5tupleIJPjSE_EEENSF_IJSE_SE_EEES9_SG_JZNS1_25segmented_radix_sort_implINS0_14default_configELb0EPKiPiPKlPlN2at6native12_GLOBAL__N_18offset_tEEE10hipError_tPvRmT1_PNSt15iterator_traitsISY_E10value_typeET2_T3_PNSZ_IS14_E10value_typeET4_jRbjT5_S1A_jjP12ihipStream_tbEUljE_EEESV_SW_SX_S14_S18_S1A_T6_T7_T9_mT8_S1C_bDpT10_ENKUlT_T0_E_clISt17integral_constantIbLb1EES1P_EEDaS1K_S1L_EUlS1K_E_NS1_11comp_targetILNS1_3genE8ELNS1_11target_archE1030ELNS1_3gpuE2ELNS1_3repE0EEENS1_30default_config_static_selectorELNS0_4arch9wavefront6targetE0EEEvSY_
    .private_segment_fixed_size: 0
    .sgpr_count:     0
    .sgpr_spill_count: 0
    .symbol:         _ZN7rocprim17ROCPRIM_400000_NS6detail17trampoline_kernelINS0_13select_configILj256ELj13ELNS0_17block_load_methodE3ELS4_3ELS4_3ELNS0_20block_scan_algorithmE0ELj4294967295EEENS1_25partition_config_selectorILNS1_17partition_subalgoE3EjNS0_10empty_typeEbEEZZNS1_14partition_implILS8_3ELb0ES6_jNS0_17counting_iteratorIjlEEPS9_SE_NS0_5tupleIJPjSE_EEENSF_IJSE_SE_EEES9_SG_JZNS1_25segmented_radix_sort_implINS0_14default_configELb0EPKiPiPKlPlN2at6native12_GLOBAL__N_18offset_tEEE10hipError_tPvRmT1_PNSt15iterator_traitsISY_E10value_typeET2_T3_PNSZ_IS14_E10value_typeET4_jRbjT5_S1A_jjP12ihipStream_tbEUljE_EEESV_SW_SX_S14_S18_S1A_T6_T7_T9_mT8_S1C_bDpT10_ENKUlT_T0_E_clISt17integral_constantIbLb1EES1P_EEDaS1K_S1L_EUlS1K_E_NS1_11comp_targetILNS1_3genE8ELNS1_11target_archE1030ELNS1_3gpuE2ELNS1_3repE0EEENS1_30default_config_static_selectorELNS0_4arch9wavefront6targetE0EEEvSY_.kd
    .uniform_work_group_size: 1
    .uses_dynamic_stack: false
    .vgpr_count:     0
    .vgpr_spill_count: 0
    .wavefront_size: 32
  - .args:
      - .offset:         0
        .size:           144
        .value_kind:     by_value
    .group_segment_fixed_size: 0
    .kernarg_segment_align: 8
    .kernarg_segment_size: 144
    .language:       OpenCL C
    .language_version:
      - 2
      - 0
    .max_flat_workgroup_size: 256
    .name:           _ZN7rocprim17ROCPRIM_400000_NS6detail17trampoline_kernelINS0_13select_configILj256ELj13ELNS0_17block_load_methodE3ELS4_3ELS4_3ELNS0_20block_scan_algorithmE0ELj4294967295EEENS1_25partition_config_selectorILNS1_17partition_subalgoE3EjNS0_10empty_typeEbEEZZNS1_14partition_implILS8_3ELb0ES6_jNS0_17counting_iteratorIjlEEPS9_SE_NS0_5tupleIJPjSE_EEENSF_IJSE_SE_EEES9_SG_JZNS1_25segmented_radix_sort_implINS0_14default_configELb0EPKiPiPKlPlN2at6native12_GLOBAL__N_18offset_tEEE10hipError_tPvRmT1_PNSt15iterator_traitsISY_E10value_typeET2_T3_PNSZ_IS14_E10value_typeET4_jRbjT5_S1A_jjP12ihipStream_tbEUljE_EEESV_SW_SX_S14_S18_S1A_T6_T7_T9_mT8_S1C_bDpT10_ENKUlT_T0_E_clISt17integral_constantIbLb1EES1O_IbLb0EEEEDaS1K_S1L_EUlS1K_E_NS1_11comp_targetILNS1_3genE0ELNS1_11target_archE4294967295ELNS1_3gpuE0ELNS1_3repE0EEENS1_30default_config_static_selectorELNS0_4arch9wavefront6targetE0EEEvSY_
    .private_segment_fixed_size: 0
    .sgpr_count:     0
    .sgpr_spill_count: 0
    .symbol:         _ZN7rocprim17ROCPRIM_400000_NS6detail17trampoline_kernelINS0_13select_configILj256ELj13ELNS0_17block_load_methodE3ELS4_3ELS4_3ELNS0_20block_scan_algorithmE0ELj4294967295EEENS1_25partition_config_selectorILNS1_17partition_subalgoE3EjNS0_10empty_typeEbEEZZNS1_14partition_implILS8_3ELb0ES6_jNS0_17counting_iteratorIjlEEPS9_SE_NS0_5tupleIJPjSE_EEENSF_IJSE_SE_EEES9_SG_JZNS1_25segmented_radix_sort_implINS0_14default_configELb0EPKiPiPKlPlN2at6native12_GLOBAL__N_18offset_tEEE10hipError_tPvRmT1_PNSt15iterator_traitsISY_E10value_typeET2_T3_PNSZ_IS14_E10value_typeET4_jRbjT5_S1A_jjP12ihipStream_tbEUljE_EEESV_SW_SX_S14_S18_S1A_T6_T7_T9_mT8_S1C_bDpT10_ENKUlT_T0_E_clISt17integral_constantIbLb1EES1O_IbLb0EEEEDaS1K_S1L_EUlS1K_E_NS1_11comp_targetILNS1_3genE0ELNS1_11target_archE4294967295ELNS1_3gpuE0ELNS1_3repE0EEENS1_30default_config_static_selectorELNS0_4arch9wavefront6targetE0EEEvSY_.kd
    .uniform_work_group_size: 1
    .uses_dynamic_stack: false
    .vgpr_count:     0
    .vgpr_spill_count: 0
    .wavefront_size: 32
  - .args:
      - .offset:         0
        .size:           144
        .value_kind:     by_value
    .group_segment_fixed_size: 0
    .kernarg_segment_align: 8
    .kernarg_segment_size: 144
    .language:       OpenCL C
    .language_version:
      - 2
      - 0
    .max_flat_workgroup_size: 256
    .name:           _ZN7rocprim17ROCPRIM_400000_NS6detail17trampoline_kernelINS0_13select_configILj256ELj13ELNS0_17block_load_methodE3ELS4_3ELS4_3ELNS0_20block_scan_algorithmE0ELj4294967295EEENS1_25partition_config_selectorILNS1_17partition_subalgoE3EjNS0_10empty_typeEbEEZZNS1_14partition_implILS8_3ELb0ES6_jNS0_17counting_iteratorIjlEEPS9_SE_NS0_5tupleIJPjSE_EEENSF_IJSE_SE_EEES9_SG_JZNS1_25segmented_radix_sort_implINS0_14default_configELb0EPKiPiPKlPlN2at6native12_GLOBAL__N_18offset_tEEE10hipError_tPvRmT1_PNSt15iterator_traitsISY_E10value_typeET2_T3_PNSZ_IS14_E10value_typeET4_jRbjT5_S1A_jjP12ihipStream_tbEUljE_EEESV_SW_SX_S14_S18_S1A_T6_T7_T9_mT8_S1C_bDpT10_ENKUlT_T0_E_clISt17integral_constantIbLb1EES1O_IbLb0EEEEDaS1K_S1L_EUlS1K_E_NS1_11comp_targetILNS1_3genE5ELNS1_11target_archE942ELNS1_3gpuE9ELNS1_3repE0EEENS1_30default_config_static_selectorELNS0_4arch9wavefront6targetE0EEEvSY_
    .private_segment_fixed_size: 0
    .sgpr_count:     0
    .sgpr_spill_count: 0
    .symbol:         _ZN7rocprim17ROCPRIM_400000_NS6detail17trampoline_kernelINS0_13select_configILj256ELj13ELNS0_17block_load_methodE3ELS4_3ELS4_3ELNS0_20block_scan_algorithmE0ELj4294967295EEENS1_25partition_config_selectorILNS1_17partition_subalgoE3EjNS0_10empty_typeEbEEZZNS1_14partition_implILS8_3ELb0ES6_jNS0_17counting_iteratorIjlEEPS9_SE_NS0_5tupleIJPjSE_EEENSF_IJSE_SE_EEES9_SG_JZNS1_25segmented_radix_sort_implINS0_14default_configELb0EPKiPiPKlPlN2at6native12_GLOBAL__N_18offset_tEEE10hipError_tPvRmT1_PNSt15iterator_traitsISY_E10value_typeET2_T3_PNSZ_IS14_E10value_typeET4_jRbjT5_S1A_jjP12ihipStream_tbEUljE_EEESV_SW_SX_S14_S18_S1A_T6_T7_T9_mT8_S1C_bDpT10_ENKUlT_T0_E_clISt17integral_constantIbLb1EES1O_IbLb0EEEEDaS1K_S1L_EUlS1K_E_NS1_11comp_targetILNS1_3genE5ELNS1_11target_archE942ELNS1_3gpuE9ELNS1_3repE0EEENS1_30default_config_static_selectorELNS0_4arch9wavefront6targetE0EEEvSY_.kd
    .uniform_work_group_size: 1
    .uses_dynamic_stack: false
    .vgpr_count:     0
    .vgpr_spill_count: 0
    .wavefront_size: 32
  - .args:
      - .offset:         0
        .size:           144
        .value_kind:     by_value
    .group_segment_fixed_size: 0
    .kernarg_segment_align: 8
    .kernarg_segment_size: 144
    .language:       OpenCL C
    .language_version:
      - 2
      - 0
    .max_flat_workgroup_size: 256
    .name:           _ZN7rocprim17ROCPRIM_400000_NS6detail17trampoline_kernelINS0_13select_configILj256ELj13ELNS0_17block_load_methodE3ELS4_3ELS4_3ELNS0_20block_scan_algorithmE0ELj4294967295EEENS1_25partition_config_selectorILNS1_17partition_subalgoE3EjNS0_10empty_typeEbEEZZNS1_14partition_implILS8_3ELb0ES6_jNS0_17counting_iteratorIjlEEPS9_SE_NS0_5tupleIJPjSE_EEENSF_IJSE_SE_EEES9_SG_JZNS1_25segmented_radix_sort_implINS0_14default_configELb0EPKiPiPKlPlN2at6native12_GLOBAL__N_18offset_tEEE10hipError_tPvRmT1_PNSt15iterator_traitsISY_E10value_typeET2_T3_PNSZ_IS14_E10value_typeET4_jRbjT5_S1A_jjP12ihipStream_tbEUljE_EEESV_SW_SX_S14_S18_S1A_T6_T7_T9_mT8_S1C_bDpT10_ENKUlT_T0_E_clISt17integral_constantIbLb1EES1O_IbLb0EEEEDaS1K_S1L_EUlS1K_E_NS1_11comp_targetILNS1_3genE4ELNS1_11target_archE910ELNS1_3gpuE8ELNS1_3repE0EEENS1_30default_config_static_selectorELNS0_4arch9wavefront6targetE0EEEvSY_
    .private_segment_fixed_size: 0
    .sgpr_count:     0
    .sgpr_spill_count: 0
    .symbol:         _ZN7rocprim17ROCPRIM_400000_NS6detail17trampoline_kernelINS0_13select_configILj256ELj13ELNS0_17block_load_methodE3ELS4_3ELS4_3ELNS0_20block_scan_algorithmE0ELj4294967295EEENS1_25partition_config_selectorILNS1_17partition_subalgoE3EjNS0_10empty_typeEbEEZZNS1_14partition_implILS8_3ELb0ES6_jNS0_17counting_iteratorIjlEEPS9_SE_NS0_5tupleIJPjSE_EEENSF_IJSE_SE_EEES9_SG_JZNS1_25segmented_radix_sort_implINS0_14default_configELb0EPKiPiPKlPlN2at6native12_GLOBAL__N_18offset_tEEE10hipError_tPvRmT1_PNSt15iterator_traitsISY_E10value_typeET2_T3_PNSZ_IS14_E10value_typeET4_jRbjT5_S1A_jjP12ihipStream_tbEUljE_EEESV_SW_SX_S14_S18_S1A_T6_T7_T9_mT8_S1C_bDpT10_ENKUlT_T0_E_clISt17integral_constantIbLb1EES1O_IbLb0EEEEDaS1K_S1L_EUlS1K_E_NS1_11comp_targetILNS1_3genE4ELNS1_11target_archE910ELNS1_3gpuE8ELNS1_3repE0EEENS1_30default_config_static_selectorELNS0_4arch9wavefront6targetE0EEEvSY_.kd
    .uniform_work_group_size: 1
    .uses_dynamic_stack: false
    .vgpr_count:     0
    .vgpr_spill_count: 0
    .wavefront_size: 32
  - .args:
      - .offset:         0
        .size:           144
        .value_kind:     by_value
    .group_segment_fixed_size: 0
    .kernarg_segment_align: 8
    .kernarg_segment_size: 144
    .language:       OpenCL C
    .language_version:
      - 2
      - 0
    .max_flat_workgroup_size: 256
    .name:           _ZN7rocprim17ROCPRIM_400000_NS6detail17trampoline_kernelINS0_13select_configILj256ELj13ELNS0_17block_load_methodE3ELS4_3ELS4_3ELNS0_20block_scan_algorithmE0ELj4294967295EEENS1_25partition_config_selectorILNS1_17partition_subalgoE3EjNS0_10empty_typeEbEEZZNS1_14partition_implILS8_3ELb0ES6_jNS0_17counting_iteratorIjlEEPS9_SE_NS0_5tupleIJPjSE_EEENSF_IJSE_SE_EEES9_SG_JZNS1_25segmented_radix_sort_implINS0_14default_configELb0EPKiPiPKlPlN2at6native12_GLOBAL__N_18offset_tEEE10hipError_tPvRmT1_PNSt15iterator_traitsISY_E10value_typeET2_T3_PNSZ_IS14_E10value_typeET4_jRbjT5_S1A_jjP12ihipStream_tbEUljE_EEESV_SW_SX_S14_S18_S1A_T6_T7_T9_mT8_S1C_bDpT10_ENKUlT_T0_E_clISt17integral_constantIbLb1EES1O_IbLb0EEEEDaS1K_S1L_EUlS1K_E_NS1_11comp_targetILNS1_3genE3ELNS1_11target_archE908ELNS1_3gpuE7ELNS1_3repE0EEENS1_30default_config_static_selectorELNS0_4arch9wavefront6targetE0EEEvSY_
    .private_segment_fixed_size: 0
    .sgpr_count:     0
    .sgpr_spill_count: 0
    .symbol:         _ZN7rocprim17ROCPRIM_400000_NS6detail17trampoline_kernelINS0_13select_configILj256ELj13ELNS0_17block_load_methodE3ELS4_3ELS4_3ELNS0_20block_scan_algorithmE0ELj4294967295EEENS1_25partition_config_selectorILNS1_17partition_subalgoE3EjNS0_10empty_typeEbEEZZNS1_14partition_implILS8_3ELb0ES6_jNS0_17counting_iteratorIjlEEPS9_SE_NS0_5tupleIJPjSE_EEENSF_IJSE_SE_EEES9_SG_JZNS1_25segmented_radix_sort_implINS0_14default_configELb0EPKiPiPKlPlN2at6native12_GLOBAL__N_18offset_tEEE10hipError_tPvRmT1_PNSt15iterator_traitsISY_E10value_typeET2_T3_PNSZ_IS14_E10value_typeET4_jRbjT5_S1A_jjP12ihipStream_tbEUljE_EEESV_SW_SX_S14_S18_S1A_T6_T7_T9_mT8_S1C_bDpT10_ENKUlT_T0_E_clISt17integral_constantIbLb1EES1O_IbLb0EEEEDaS1K_S1L_EUlS1K_E_NS1_11comp_targetILNS1_3genE3ELNS1_11target_archE908ELNS1_3gpuE7ELNS1_3repE0EEENS1_30default_config_static_selectorELNS0_4arch9wavefront6targetE0EEEvSY_.kd
    .uniform_work_group_size: 1
    .uses_dynamic_stack: false
    .vgpr_count:     0
    .vgpr_spill_count: 0
    .wavefront_size: 32
  - .args:
      - .offset:         0
        .size:           144
        .value_kind:     by_value
    .group_segment_fixed_size: 0
    .kernarg_segment_align: 8
    .kernarg_segment_size: 144
    .language:       OpenCL C
    .language_version:
      - 2
      - 0
    .max_flat_workgroup_size: 256
    .name:           _ZN7rocprim17ROCPRIM_400000_NS6detail17trampoline_kernelINS0_13select_configILj256ELj13ELNS0_17block_load_methodE3ELS4_3ELS4_3ELNS0_20block_scan_algorithmE0ELj4294967295EEENS1_25partition_config_selectorILNS1_17partition_subalgoE3EjNS0_10empty_typeEbEEZZNS1_14partition_implILS8_3ELb0ES6_jNS0_17counting_iteratorIjlEEPS9_SE_NS0_5tupleIJPjSE_EEENSF_IJSE_SE_EEES9_SG_JZNS1_25segmented_radix_sort_implINS0_14default_configELb0EPKiPiPKlPlN2at6native12_GLOBAL__N_18offset_tEEE10hipError_tPvRmT1_PNSt15iterator_traitsISY_E10value_typeET2_T3_PNSZ_IS14_E10value_typeET4_jRbjT5_S1A_jjP12ihipStream_tbEUljE_EEESV_SW_SX_S14_S18_S1A_T6_T7_T9_mT8_S1C_bDpT10_ENKUlT_T0_E_clISt17integral_constantIbLb1EES1O_IbLb0EEEEDaS1K_S1L_EUlS1K_E_NS1_11comp_targetILNS1_3genE2ELNS1_11target_archE906ELNS1_3gpuE6ELNS1_3repE0EEENS1_30default_config_static_selectorELNS0_4arch9wavefront6targetE0EEEvSY_
    .private_segment_fixed_size: 0
    .sgpr_count:     0
    .sgpr_spill_count: 0
    .symbol:         _ZN7rocprim17ROCPRIM_400000_NS6detail17trampoline_kernelINS0_13select_configILj256ELj13ELNS0_17block_load_methodE3ELS4_3ELS4_3ELNS0_20block_scan_algorithmE0ELj4294967295EEENS1_25partition_config_selectorILNS1_17partition_subalgoE3EjNS0_10empty_typeEbEEZZNS1_14partition_implILS8_3ELb0ES6_jNS0_17counting_iteratorIjlEEPS9_SE_NS0_5tupleIJPjSE_EEENSF_IJSE_SE_EEES9_SG_JZNS1_25segmented_radix_sort_implINS0_14default_configELb0EPKiPiPKlPlN2at6native12_GLOBAL__N_18offset_tEEE10hipError_tPvRmT1_PNSt15iterator_traitsISY_E10value_typeET2_T3_PNSZ_IS14_E10value_typeET4_jRbjT5_S1A_jjP12ihipStream_tbEUljE_EEESV_SW_SX_S14_S18_S1A_T6_T7_T9_mT8_S1C_bDpT10_ENKUlT_T0_E_clISt17integral_constantIbLb1EES1O_IbLb0EEEEDaS1K_S1L_EUlS1K_E_NS1_11comp_targetILNS1_3genE2ELNS1_11target_archE906ELNS1_3gpuE6ELNS1_3repE0EEENS1_30default_config_static_selectorELNS0_4arch9wavefront6targetE0EEEvSY_.kd
    .uniform_work_group_size: 1
    .uses_dynamic_stack: false
    .vgpr_count:     0
    .vgpr_spill_count: 0
    .wavefront_size: 32
  - .args:
      - .offset:         0
        .size:           144
        .value_kind:     by_value
    .group_segment_fixed_size: 0
    .kernarg_segment_align: 8
    .kernarg_segment_size: 144
    .language:       OpenCL C
    .language_version:
      - 2
      - 0
    .max_flat_workgroup_size: 256
    .name:           _ZN7rocprim17ROCPRIM_400000_NS6detail17trampoline_kernelINS0_13select_configILj256ELj13ELNS0_17block_load_methodE3ELS4_3ELS4_3ELNS0_20block_scan_algorithmE0ELj4294967295EEENS1_25partition_config_selectorILNS1_17partition_subalgoE3EjNS0_10empty_typeEbEEZZNS1_14partition_implILS8_3ELb0ES6_jNS0_17counting_iteratorIjlEEPS9_SE_NS0_5tupleIJPjSE_EEENSF_IJSE_SE_EEES9_SG_JZNS1_25segmented_radix_sort_implINS0_14default_configELb0EPKiPiPKlPlN2at6native12_GLOBAL__N_18offset_tEEE10hipError_tPvRmT1_PNSt15iterator_traitsISY_E10value_typeET2_T3_PNSZ_IS14_E10value_typeET4_jRbjT5_S1A_jjP12ihipStream_tbEUljE_EEESV_SW_SX_S14_S18_S1A_T6_T7_T9_mT8_S1C_bDpT10_ENKUlT_T0_E_clISt17integral_constantIbLb1EES1O_IbLb0EEEEDaS1K_S1L_EUlS1K_E_NS1_11comp_targetILNS1_3genE10ELNS1_11target_archE1200ELNS1_3gpuE4ELNS1_3repE0EEENS1_30default_config_static_selectorELNS0_4arch9wavefront6targetE0EEEvSY_
    .private_segment_fixed_size: 0
    .sgpr_count:     0
    .sgpr_spill_count: 0
    .symbol:         _ZN7rocprim17ROCPRIM_400000_NS6detail17trampoline_kernelINS0_13select_configILj256ELj13ELNS0_17block_load_methodE3ELS4_3ELS4_3ELNS0_20block_scan_algorithmE0ELj4294967295EEENS1_25partition_config_selectorILNS1_17partition_subalgoE3EjNS0_10empty_typeEbEEZZNS1_14partition_implILS8_3ELb0ES6_jNS0_17counting_iteratorIjlEEPS9_SE_NS0_5tupleIJPjSE_EEENSF_IJSE_SE_EEES9_SG_JZNS1_25segmented_radix_sort_implINS0_14default_configELb0EPKiPiPKlPlN2at6native12_GLOBAL__N_18offset_tEEE10hipError_tPvRmT1_PNSt15iterator_traitsISY_E10value_typeET2_T3_PNSZ_IS14_E10value_typeET4_jRbjT5_S1A_jjP12ihipStream_tbEUljE_EEESV_SW_SX_S14_S18_S1A_T6_T7_T9_mT8_S1C_bDpT10_ENKUlT_T0_E_clISt17integral_constantIbLb1EES1O_IbLb0EEEEDaS1K_S1L_EUlS1K_E_NS1_11comp_targetILNS1_3genE10ELNS1_11target_archE1200ELNS1_3gpuE4ELNS1_3repE0EEENS1_30default_config_static_selectorELNS0_4arch9wavefront6targetE0EEEvSY_.kd
    .uniform_work_group_size: 1
    .uses_dynamic_stack: false
    .vgpr_count:     0
    .vgpr_spill_count: 0
    .wavefront_size: 32
  - .args:
      - .offset:         0
        .size:           144
        .value_kind:     by_value
    .group_segment_fixed_size: 0
    .kernarg_segment_align: 8
    .kernarg_segment_size: 144
    .language:       OpenCL C
    .language_version:
      - 2
      - 0
    .max_flat_workgroup_size: 256
    .name:           _ZN7rocprim17ROCPRIM_400000_NS6detail17trampoline_kernelINS0_13select_configILj256ELj13ELNS0_17block_load_methodE3ELS4_3ELS4_3ELNS0_20block_scan_algorithmE0ELj4294967295EEENS1_25partition_config_selectorILNS1_17partition_subalgoE3EjNS0_10empty_typeEbEEZZNS1_14partition_implILS8_3ELb0ES6_jNS0_17counting_iteratorIjlEEPS9_SE_NS0_5tupleIJPjSE_EEENSF_IJSE_SE_EEES9_SG_JZNS1_25segmented_radix_sort_implINS0_14default_configELb0EPKiPiPKlPlN2at6native12_GLOBAL__N_18offset_tEEE10hipError_tPvRmT1_PNSt15iterator_traitsISY_E10value_typeET2_T3_PNSZ_IS14_E10value_typeET4_jRbjT5_S1A_jjP12ihipStream_tbEUljE_EEESV_SW_SX_S14_S18_S1A_T6_T7_T9_mT8_S1C_bDpT10_ENKUlT_T0_E_clISt17integral_constantIbLb1EES1O_IbLb0EEEEDaS1K_S1L_EUlS1K_E_NS1_11comp_targetILNS1_3genE9ELNS1_11target_archE1100ELNS1_3gpuE3ELNS1_3repE0EEENS1_30default_config_static_selectorELNS0_4arch9wavefront6targetE0EEEvSY_
    .private_segment_fixed_size: 0
    .sgpr_count:     0
    .sgpr_spill_count: 0
    .symbol:         _ZN7rocprim17ROCPRIM_400000_NS6detail17trampoline_kernelINS0_13select_configILj256ELj13ELNS0_17block_load_methodE3ELS4_3ELS4_3ELNS0_20block_scan_algorithmE0ELj4294967295EEENS1_25partition_config_selectorILNS1_17partition_subalgoE3EjNS0_10empty_typeEbEEZZNS1_14partition_implILS8_3ELb0ES6_jNS0_17counting_iteratorIjlEEPS9_SE_NS0_5tupleIJPjSE_EEENSF_IJSE_SE_EEES9_SG_JZNS1_25segmented_radix_sort_implINS0_14default_configELb0EPKiPiPKlPlN2at6native12_GLOBAL__N_18offset_tEEE10hipError_tPvRmT1_PNSt15iterator_traitsISY_E10value_typeET2_T3_PNSZ_IS14_E10value_typeET4_jRbjT5_S1A_jjP12ihipStream_tbEUljE_EEESV_SW_SX_S14_S18_S1A_T6_T7_T9_mT8_S1C_bDpT10_ENKUlT_T0_E_clISt17integral_constantIbLb1EES1O_IbLb0EEEEDaS1K_S1L_EUlS1K_E_NS1_11comp_targetILNS1_3genE9ELNS1_11target_archE1100ELNS1_3gpuE3ELNS1_3repE0EEENS1_30default_config_static_selectorELNS0_4arch9wavefront6targetE0EEEvSY_.kd
    .uniform_work_group_size: 1
    .uses_dynamic_stack: false
    .vgpr_count:     0
    .vgpr_spill_count: 0
    .wavefront_size: 32
  - .args:
      - .offset:         0
        .size:           144
        .value_kind:     by_value
    .group_segment_fixed_size: 0
    .kernarg_segment_align: 8
    .kernarg_segment_size: 144
    .language:       OpenCL C
    .language_version:
      - 2
      - 0
    .max_flat_workgroup_size: 256
    .name:           _ZN7rocprim17ROCPRIM_400000_NS6detail17trampoline_kernelINS0_13select_configILj256ELj13ELNS0_17block_load_methodE3ELS4_3ELS4_3ELNS0_20block_scan_algorithmE0ELj4294967295EEENS1_25partition_config_selectorILNS1_17partition_subalgoE3EjNS0_10empty_typeEbEEZZNS1_14partition_implILS8_3ELb0ES6_jNS0_17counting_iteratorIjlEEPS9_SE_NS0_5tupleIJPjSE_EEENSF_IJSE_SE_EEES9_SG_JZNS1_25segmented_radix_sort_implINS0_14default_configELb0EPKiPiPKlPlN2at6native12_GLOBAL__N_18offset_tEEE10hipError_tPvRmT1_PNSt15iterator_traitsISY_E10value_typeET2_T3_PNSZ_IS14_E10value_typeET4_jRbjT5_S1A_jjP12ihipStream_tbEUljE_EEESV_SW_SX_S14_S18_S1A_T6_T7_T9_mT8_S1C_bDpT10_ENKUlT_T0_E_clISt17integral_constantIbLb1EES1O_IbLb0EEEEDaS1K_S1L_EUlS1K_E_NS1_11comp_targetILNS1_3genE8ELNS1_11target_archE1030ELNS1_3gpuE2ELNS1_3repE0EEENS1_30default_config_static_selectorELNS0_4arch9wavefront6targetE0EEEvSY_
    .private_segment_fixed_size: 0
    .sgpr_count:     0
    .sgpr_spill_count: 0
    .symbol:         _ZN7rocprim17ROCPRIM_400000_NS6detail17trampoline_kernelINS0_13select_configILj256ELj13ELNS0_17block_load_methodE3ELS4_3ELS4_3ELNS0_20block_scan_algorithmE0ELj4294967295EEENS1_25partition_config_selectorILNS1_17partition_subalgoE3EjNS0_10empty_typeEbEEZZNS1_14partition_implILS8_3ELb0ES6_jNS0_17counting_iteratorIjlEEPS9_SE_NS0_5tupleIJPjSE_EEENSF_IJSE_SE_EEES9_SG_JZNS1_25segmented_radix_sort_implINS0_14default_configELb0EPKiPiPKlPlN2at6native12_GLOBAL__N_18offset_tEEE10hipError_tPvRmT1_PNSt15iterator_traitsISY_E10value_typeET2_T3_PNSZ_IS14_E10value_typeET4_jRbjT5_S1A_jjP12ihipStream_tbEUljE_EEESV_SW_SX_S14_S18_S1A_T6_T7_T9_mT8_S1C_bDpT10_ENKUlT_T0_E_clISt17integral_constantIbLb1EES1O_IbLb0EEEEDaS1K_S1L_EUlS1K_E_NS1_11comp_targetILNS1_3genE8ELNS1_11target_archE1030ELNS1_3gpuE2ELNS1_3repE0EEENS1_30default_config_static_selectorELNS0_4arch9wavefront6targetE0EEEvSY_.kd
    .uniform_work_group_size: 1
    .uses_dynamic_stack: false
    .vgpr_count:     0
    .vgpr_spill_count: 0
    .wavefront_size: 32
  - .args:
      - .offset:         0
        .size:           152
        .value_kind:     by_value
    .group_segment_fixed_size: 13320
    .kernarg_segment_align: 8
    .kernarg_segment_size: 152
    .language:       OpenCL C
    .language_version:
      - 2
      - 0
    .max_flat_workgroup_size: 256
    .name:           _ZN7rocprim17ROCPRIM_400000_NS6detail17trampoline_kernelINS0_13select_configILj256ELj13ELNS0_17block_load_methodE3ELS4_3ELS4_3ELNS0_20block_scan_algorithmE0ELj4294967295EEENS1_25partition_config_selectorILNS1_17partition_subalgoE3EjNS0_10empty_typeEbEEZZNS1_14partition_implILS8_3ELb0ES6_jNS0_17counting_iteratorIjlEEPS9_SE_NS0_5tupleIJPjSE_EEENSF_IJSE_SE_EEES9_SG_JZNS1_25segmented_radix_sort_implINS0_14default_configELb0EPKiPiPKlPlN2at6native12_GLOBAL__N_18offset_tEEE10hipError_tPvRmT1_PNSt15iterator_traitsISY_E10value_typeET2_T3_PNSZ_IS14_E10value_typeET4_jRbjT5_S1A_jjP12ihipStream_tbEUljE_EEESV_SW_SX_S14_S18_S1A_T6_T7_T9_mT8_S1C_bDpT10_ENKUlT_T0_E_clISt17integral_constantIbLb0EES1O_IbLb1EEEEDaS1K_S1L_EUlS1K_E_NS1_11comp_targetILNS1_3genE0ELNS1_11target_archE4294967295ELNS1_3gpuE0ELNS1_3repE0EEENS1_30default_config_static_selectorELNS0_4arch9wavefront6targetE0EEEvSY_
    .private_segment_fixed_size: 0
    .sgpr_count:     26
    .sgpr_spill_count: 0
    .symbol:         _ZN7rocprim17ROCPRIM_400000_NS6detail17trampoline_kernelINS0_13select_configILj256ELj13ELNS0_17block_load_methodE3ELS4_3ELS4_3ELNS0_20block_scan_algorithmE0ELj4294967295EEENS1_25partition_config_selectorILNS1_17partition_subalgoE3EjNS0_10empty_typeEbEEZZNS1_14partition_implILS8_3ELb0ES6_jNS0_17counting_iteratorIjlEEPS9_SE_NS0_5tupleIJPjSE_EEENSF_IJSE_SE_EEES9_SG_JZNS1_25segmented_radix_sort_implINS0_14default_configELb0EPKiPiPKlPlN2at6native12_GLOBAL__N_18offset_tEEE10hipError_tPvRmT1_PNSt15iterator_traitsISY_E10value_typeET2_T3_PNSZ_IS14_E10value_typeET4_jRbjT5_S1A_jjP12ihipStream_tbEUljE_EEESV_SW_SX_S14_S18_S1A_T6_T7_T9_mT8_S1C_bDpT10_ENKUlT_T0_E_clISt17integral_constantIbLb0EES1O_IbLb1EEEEDaS1K_S1L_EUlS1K_E_NS1_11comp_targetILNS1_3genE0ELNS1_11target_archE4294967295ELNS1_3gpuE0ELNS1_3repE0EEENS1_30default_config_static_selectorELNS0_4arch9wavefront6targetE0EEEvSY_.kd
    .uniform_work_group_size: 1
    .uses_dynamic_stack: false
    .vgpr_count:     72
    .vgpr_spill_count: 0
    .wavefront_size: 32
  - .args:
      - .offset:         0
        .size:           152
        .value_kind:     by_value
    .group_segment_fixed_size: 0
    .kernarg_segment_align: 8
    .kernarg_segment_size: 152
    .language:       OpenCL C
    .language_version:
      - 2
      - 0
    .max_flat_workgroup_size: 256
    .name:           _ZN7rocprim17ROCPRIM_400000_NS6detail17trampoline_kernelINS0_13select_configILj256ELj13ELNS0_17block_load_methodE3ELS4_3ELS4_3ELNS0_20block_scan_algorithmE0ELj4294967295EEENS1_25partition_config_selectorILNS1_17partition_subalgoE3EjNS0_10empty_typeEbEEZZNS1_14partition_implILS8_3ELb0ES6_jNS0_17counting_iteratorIjlEEPS9_SE_NS0_5tupleIJPjSE_EEENSF_IJSE_SE_EEES9_SG_JZNS1_25segmented_radix_sort_implINS0_14default_configELb0EPKiPiPKlPlN2at6native12_GLOBAL__N_18offset_tEEE10hipError_tPvRmT1_PNSt15iterator_traitsISY_E10value_typeET2_T3_PNSZ_IS14_E10value_typeET4_jRbjT5_S1A_jjP12ihipStream_tbEUljE_EEESV_SW_SX_S14_S18_S1A_T6_T7_T9_mT8_S1C_bDpT10_ENKUlT_T0_E_clISt17integral_constantIbLb0EES1O_IbLb1EEEEDaS1K_S1L_EUlS1K_E_NS1_11comp_targetILNS1_3genE5ELNS1_11target_archE942ELNS1_3gpuE9ELNS1_3repE0EEENS1_30default_config_static_selectorELNS0_4arch9wavefront6targetE0EEEvSY_
    .private_segment_fixed_size: 0
    .sgpr_count:     0
    .sgpr_spill_count: 0
    .symbol:         _ZN7rocprim17ROCPRIM_400000_NS6detail17trampoline_kernelINS0_13select_configILj256ELj13ELNS0_17block_load_methodE3ELS4_3ELS4_3ELNS0_20block_scan_algorithmE0ELj4294967295EEENS1_25partition_config_selectorILNS1_17partition_subalgoE3EjNS0_10empty_typeEbEEZZNS1_14partition_implILS8_3ELb0ES6_jNS0_17counting_iteratorIjlEEPS9_SE_NS0_5tupleIJPjSE_EEENSF_IJSE_SE_EEES9_SG_JZNS1_25segmented_radix_sort_implINS0_14default_configELb0EPKiPiPKlPlN2at6native12_GLOBAL__N_18offset_tEEE10hipError_tPvRmT1_PNSt15iterator_traitsISY_E10value_typeET2_T3_PNSZ_IS14_E10value_typeET4_jRbjT5_S1A_jjP12ihipStream_tbEUljE_EEESV_SW_SX_S14_S18_S1A_T6_T7_T9_mT8_S1C_bDpT10_ENKUlT_T0_E_clISt17integral_constantIbLb0EES1O_IbLb1EEEEDaS1K_S1L_EUlS1K_E_NS1_11comp_targetILNS1_3genE5ELNS1_11target_archE942ELNS1_3gpuE9ELNS1_3repE0EEENS1_30default_config_static_selectorELNS0_4arch9wavefront6targetE0EEEvSY_.kd
    .uniform_work_group_size: 1
    .uses_dynamic_stack: false
    .vgpr_count:     0
    .vgpr_spill_count: 0
    .wavefront_size: 32
  - .args:
      - .offset:         0
        .size:           152
        .value_kind:     by_value
    .group_segment_fixed_size: 0
    .kernarg_segment_align: 8
    .kernarg_segment_size: 152
    .language:       OpenCL C
    .language_version:
      - 2
      - 0
    .max_flat_workgroup_size: 256
    .name:           _ZN7rocprim17ROCPRIM_400000_NS6detail17trampoline_kernelINS0_13select_configILj256ELj13ELNS0_17block_load_methodE3ELS4_3ELS4_3ELNS0_20block_scan_algorithmE0ELj4294967295EEENS1_25partition_config_selectorILNS1_17partition_subalgoE3EjNS0_10empty_typeEbEEZZNS1_14partition_implILS8_3ELb0ES6_jNS0_17counting_iteratorIjlEEPS9_SE_NS0_5tupleIJPjSE_EEENSF_IJSE_SE_EEES9_SG_JZNS1_25segmented_radix_sort_implINS0_14default_configELb0EPKiPiPKlPlN2at6native12_GLOBAL__N_18offset_tEEE10hipError_tPvRmT1_PNSt15iterator_traitsISY_E10value_typeET2_T3_PNSZ_IS14_E10value_typeET4_jRbjT5_S1A_jjP12ihipStream_tbEUljE_EEESV_SW_SX_S14_S18_S1A_T6_T7_T9_mT8_S1C_bDpT10_ENKUlT_T0_E_clISt17integral_constantIbLb0EES1O_IbLb1EEEEDaS1K_S1L_EUlS1K_E_NS1_11comp_targetILNS1_3genE4ELNS1_11target_archE910ELNS1_3gpuE8ELNS1_3repE0EEENS1_30default_config_static_selectorELNS0_4arch9wavefront6targetE0EEEvSY_
    .private_segment_fixed_size: 0
    .sgpr_count:     0
    .sgpr_spill_count: 0
    .symbol:         _ZN7rocprim17ROCPRIM_400000_NS6detail17trampoline_kernelINS0_13select_configILj256ELj13ELNS0_17block_load_methodE3ELS4_3ELS4_3ELNS0_20block_scan_algorithmE0ELj4294967295EEENS1_25partition_config_selectorILNS1_17partition_subalgoE3EjNS0_10empty_typeEbEEZZNS1_14partition_implILS8_3ELb0ES6_jNS0_17counting_iteratorIjlEEPS9_SE_NS0_5tupleIJPjSE_EEENSF_IJSE_SE_EEES9_SG_JZNS1_25segmented_radix_sort_implINS0_14default_configELb0EPKiPiPKlPlN2at6native12_GLOBAL__N_18offset_tEEE10hipError_tPvRmT1_PNSt15iterator_traitsISY_E10value_typeET2_T3_PNSZ_IS14_E10value_typeET4_jRbjT5_S1A_jjP12ihipStream_tbEUljE_EEESV_SW_SX_S14_S18_S1A_T6_T7_T9_mT8_S1C_bDpT10_ENKUlT_T0_E_clISt17integral_constantIbLb0EES1O_IbLb1EEEEDaS1K_S1L_EUlS1K_E_NS1_11comp_targetILNS1_3genE4ELNS1_11target_archE910ELNS1_3gpuE8ELNS1_3repE0EEENS1_30default_config_static_selectorELNS0_4arch9wavefront6targetE0EEEvSY_.kd
    .uniform_work_group_size: 1
    .uses_dynamic_stack: false
    .vgpr_count:     0
    .vgpr_spill_count: 0
    .wavefront_size: 32
  - .args:
      - .offset:         0
        .size:           152
        .value_kind:     by_value
    .group_segment_fixed_size: 0
    .kernarg_segment_align: 8
    .kernarg_segment_size: 152
    .language:       OpenCL C
    .language_version:
      - 2
      - 0
    .max_flat_workgroup_size: 256
    .name:           _ZN7rocprim17ROCPRIM_400000_NS6detail17trampoline_kernelINS0_13select_configILj256ELj13ELNS0_17block_load_methodE3ELS4_3ELS4_3ELNS0_20block_scan_algorithmE0ELj4294967295EEENS1_25partition_config_selectorILNS1_17partition_subalgoE3EjNS0_10empty_typeEbEEZZNS1_14partition_implILS8_3ELb0ES6_jNS0_17counting_iteratorIjlEEPS9_SE_NS0_5tupleIJPjSE_EEENSF_IJSE_SE_EEES9_SG_JZNS1_25segmented_radix_sort_implINS0_14default_configELb0EPKiPiPKlPlN2at6native12_GLOBAL__N_18offset_tEEE10hipError_tPvRmT1_PNSt15iterator_traitsISY_E10value_typeET2_T3_PNSZ_IS14_E10value_typeET4_jRbjT5_S1A_jjP12ihipStream_tbEUljE_EEESV_SW_SX_S14_S18_S1A_T6_T7_T9_mT8_S1C_bDpT10_ENKUlT_T0_E_clISt17integral_constantIbLb0EES1O_IbLb1EEEEDaS1K_S1L_EUlS1K_E_NS1_11comp_targetILNS1_3genE3ELNS1_11target_archE908ELNS1_3gpuE7ELNS1_3repE0EEENS1_30default_config_static_selectorELNS0_4arch9wavefront6targetE0EEEvSY_
    .private_segment_fixed_size: 0
    .sgpr_count:     0
    .sgpr_spill_count: 0
    .symbol:         _ZN7rocprim17ROCPRIM_400000_NS6detail17trampoline_kernelINS0_13select_configILj256ELj13ELNS0_17block_load_methodE3ELS4_3ELS4_3ELNS0_20block_scan_algorithmE0ELj4294967295EEENS1_25partition_config_selectorILNS1_17partition_subalgoE3EjNS0_10empty_typeEbEEZZNS1_14partition_implILS8_3ELb0ES6_jNS0_17counting_iteratorIjlEEPS9_SE_NS0_5tupleIJPjSE_EEENSF_IJSE_SE_EEES9_SG_JZNS1_25segmented_radix_sort_implINS0_14default_configELb0EPKiPiPKlPlN2at6native12_GLOBAL__N_18offset_tEEE10hipError_tPvRmT1_PNSt15iterator_traitsISY_E10value_typeET2_T3_PNSZ_IS14_E10value_typeET4_jRbjT5_S1A_jjP12ihipStream_tbEUljE_EEESV_SW_SX_S14_S18_S1A_T6_T7_T9_mT8_S1C_bDpT10_ENKUlT_T0_E_clISt17integral_constantIbLb0EES1O_IbLb1EEEEDaS1K_S1L_EUlS1K_E_NS1_11comp_targetILNS1_3genE3ELNS1_11target_archE908ELNS1_3gpuE7ELNS1_3repE0EEENS1_30default_config_static_selectorELNS0_4arch9wavefront6targetE0EEEvSY_.kd
    .uniform_work_group_size: 1
    .uses_dynamic_stack: false
    .vgpr_count:     0
    .vgpr_spill_count: 0
    .wavefront_size: 32
  - .args:
      - .offset:         0
        .size:           152
        .value_kind:     by_value
    .group_segment_fixed_size: 0
    .kernarg_segment_align: 8
    .kernarg_segment_size: 152
    .language:       OpenCL C
    .language_version:
      - 2
      - 0
    .max_flat_workgroup_size: 256
    .name:           _ZN7rocprim17ROCPRIM_400000_NS6detail17trampoline_kernelINS0_13select_configILj256ELj13ELNS0_17block_load_methodE3ELS4_3ELS4_3ELNS0_20block_scan_algorithmE0ELj4294967295EEENS1_25partition_config_selectorILNS1_17partition_subalgoE3EjNS0_10empty_typeEbEEZZNS1_14partition_implILS8_3ELb0ES6_jNS0_17counting_iteratorIjlEEPS9_SE_NS0_5tupleIJPjSE_EEENSF_IJSE_SE_EEES9_SG_JZNS1_25segmented_radix_sort_implINS0_14default_configELb0EPKiPiPKlPlN2at6native12_GLOBAL__N_18offset_tEEE10hipError_tPvRmT1_PNSt15iterator_traitsISY_E10value_typeET2_T3_PNSZ_IS14_E10value_typeET4_jRbjT5_S1A_jjP12ihipStream_tbEUljE_EEESV_SW_SX_S14_S18_S1A_T6_T7_T9_mT8_S1C_bDpT10_ENKUlT_T0_E_clISt17integral_constantIbLb0EES1O_IbLb1EEEEDaS1K_S1L_EUlS1K_E_NS1_11comp_targetILNS1_3genE2ELNS1_11target_archE906ELNS1_3gpuE6ELNS1_3repE0EEENS1_30default_config_static_selectorELNS0_4arch9wavefront6targetE0EEEvSY_
    .private_segment_fixed_size: 0
    .sgpr_count:     0
    .sgpr_spill_count: 0
    .symbol:         _ZN7rocprim17ROCPRIM_400000_NS6detail17trampoline_kernelINS0_13select_configILj256ELj13ELNS0_17block_load_methodE3ELS4_3ELS4_3ELNS0_20block_scan_algorithmE0ELj4294967295EEENS1_25partition_config_selectorILNS1_17partition_subalgoE3EjNS0_10empty_typeEbEEZZNS1_14partition_implILS8_3ELb0ES6_jNS0_17counting_iteratorIjlEEPS9_SE_NS0_5tupleIJPjSE_EEENSF_IJSE_SE_EEES9_SG_JZNS1_25segmented_radix_sort_implINS0_14default_configELb0EPKiPiPKlPlN2at6native12_GLOBAL__N_18offset_tEEE10hipError_tPvRmT1_PNSt15iterator_traitsISY_E10value_typeET2_T3_PNSZ_IS14_E10value_typeET4_jRbjT5_S1A_jjP12ihipStream_tbEUljE_EEESV_SW_SX_S14_S18_S1A_T6_T7_T9_mT8_S1C_bDpT10_ENKUlT_T0_E_clISt17integral_constantIbLb0EES1O_IbLb1EEEEDaS1K_S1L_EUlS1K_E_NS1_11comp_targetILNS1_3genE2ELNS1_11target_archE906ELNS1_3gpuE6ELNS1_3repE0EEENS1_30default_config_static_selectorELNS0_4arch9wavefront6targetE0EEEvSY_.kd
    .uniform_work_group_size: 1
    .uses_dynamic_stack: false
    .vgpr_count:     0
    .vgpr_spill_count: 0
    .wavefront_size: 32
  - .args:
      - .offset:         0
        .size:           152
        .value_kind:     by_value
    .group_segment_fixed_size: 0
    .kernarg_segment_align: 8
    .kernarg_segment_size: 152
    .language:       OpenCL C
    .language_version:
      - 2
      - 0
    .max_flat_workgroup_size: 256
    .name:           _ZN7rocprim17ROCPRIM_400000_NS6detail17trampoline_kernelINS0_13select_configILj256ELj13ELNS0_17block_load_methodE3ELS4_3ELS4_3ELNS0_20block_scan_algorithmE0ELj4294967295EEENS1_25partition_config_selectorILNS1_17partition_subalgoE3EjNS0_10empty_typeEbEEZZNS1_14partition_implILS8_3ELb0ES6_jNS0_17counting_iteratorIjlEEPS9_SE_NS0_5tupleIJPjSE_EEENSF_IJSE_SE_EEES9_SG_JZNS1_25segmented_radix_sort_implINS0_14default_configELb0EPKiPiPKlPlN2at6native12_GLOBAL__N_18offset_tEEE10hipError_tPvRmT1_PNSt15iterator_traitsISY_E10value_typeET2_T3_PNSZ_IS14_E10value_typeET4_jRbjT5_S1A_jjP12ihipStream_tbEUljE_EEESV_SW_SX_S14_S18_S1A_T6_T7_T9_mT8_S1C_bDpT10_ENKUlT_T0_E_clISt17integral_constantIbLb0EES1O_IbLb1EEEEDaS1K_S1L_EUlS1K_E_NS1_11comp_targetILNS1_3genE10ELNS1_11target_archE1200ELNS1_3gpuE4ELNS1_3repE0EEENS1_30default_config_static_selectorELNS0_4arch9wavefront6targetE0EEEvSY_
    .private_segment_fixed_size: 0
    .sgpr_count:     0
    .sgpr_spill_count: 0
    .symbol:         _ZN7rocprim17ROCPRIM_400000_NS6detail17trampoline_kernelINS0_13select_configILj256ELj13ELNS0_17block_load_methodE3ELS4_3ELS4_3ELNS0_20block_scan_algorithmE0ELj4294967295EEENS1_25partition_config_selectorILNS1_17partition_subalgoE3EjNS0_10empty_typeEbEEZZNS1_14partition_implILS8_3ELb0ES6_jNS0_17counting_iteratorIjlEEPS9_SE_NS0_5tupleIJPjSE_EEENSF_IJSE_SE_EEES9_SG_JZNS1_25segmented_radix_sort_implINS0_14default_configELb0EPKiPiPKlPlN2at6native12_GLOBAL__N_18offset_tEEE10hipError_tPvRmT1_PNSt15iterator_traitsISY_E10value_typeET2_T3_PNSZ_IS14_E10value_typeET4_jRbjT5_S1A_jjP12ihipStream_tbEUljE_EEESV_SW_SX_S14_S18_S1A_T6_T7_T9_mT8_S1C_bDpT10_ENKUlT_T0_E_clISt17integral_constantIbLb0EES1O_IbLb1EEEEDaS1K_S1L_EUlS1K_E_NS1_11comp_targetILNS1_3genE10ELNS1_11target_archE1200ELNS1_3gpuE4ELNS1_3repE0EEENS1_30default_config_static_selectorELNS0_4arch9wavefront6targetE0EEEvSY_.kd
    .uniform_work_group_size: 1
    .uses_dynamic_stack: false
    .vgpr_count:     0
    .vgpr_spill_count: 0
    .wavefront_size: 32
  - .args:
      - .offset:         0
        .size:           152
        .value_kind:     by_value
    .group_segment_fixed_size: 0
    .kernarg_segment_align: 8
    .kernarg_segment_size: 152
    .language:       OpenCL C
    .language_version:
      - 2
      - 0
    .max_flat_workgroup_size: 256
    .name:           _ZN7rocprim17ROCPRIM_400000_NS6detail17trampoline_kernelINS0_13select_configILj256ELj13ELNS0_17block_load_methodE3ELS4_3ELS4_3ELNS0_20block_scan_algorithmE0ELj4294967295EEENS1_25partition_config_selectorILNS1_17partition_subalgoE3EjNS0_10empty_typeEbEEZZNS1_14partition_implILS8_3ELb0ES6_jNS0_17counting_iteratorIjlEEPS9_SE_NS0_5tupleIJPjSE_EEENSF_IJSE_SE_EEES9_SG_JZNS1_25segmented_radix_sort_implINS0_14default_configELb0EPKiPiPKlPlN2at6native12_GLOBAL__N_18offset_tEEE10hipError_tPvRmT1_PNSt15iterator_traitsISY_E10value_typeET2_T3_PNSZ_IS14_E10value_typeET4_jRbjT5_S1A_jjP12ihipStream_tbEUljE_EEESV_SW_SX_S14_S18_S1A_T6_T7_T9_mT8_S1C_bDpT10_ENKUlT_T0_E_clISt17integral_constantIbLb0EES1O_IbLb1EEEEDaS1K_S1L_EUlS1K_E_NS1_11comp_targetILNS1_3genE9ELNS1_11target_archE1100ELNS1_3gpuE3ELNS1_3repE0EEENS1_30default_config_static_selectorELNS0_4arch9wavefront6targetE0EEEvSY_
    .private_segment_fixed_size: 0
    .sgpr_count:     0
    .sgpr_spill_count: 0
    .symbol:         _ZN7rocprim17ROCPRIM_400000_NS6detail17trampoline_kernelINS0_13select_configILj256ELj13ELNS0_17block_load_methodE3ELS4_3ELS4_3ELNS0_20block_scan_algorithmE0ELj4294967295EEENS1_25partition_config_selectorILNS1_17partition_subalgoE3EjNS0_10empty_typeEbEEZZNS1_14partition_implILS8_3ELb0ES6_jNS0_17counting_iteratorIjlEEPS9_SE_NS0_5tupleIJPjSE_EEENSF_IJSE_SE_EEES9_SG_JZNS1_25segmented_radix_sort_implINS0_14default_configELb0EPKiPiPKlPlN2at6native12_GLOBAL__N_18offset_tEEE10hipError_tPvRmT1_PNSt15iterator_traitsISY_E10value_typeET2_T3_PNSZ_IS14_E10value_typeET4_jRbjT5_S1A_jjP12ihipStream_tbEUljE_EEESV_SW_SX_S14_S18_S1A_T6_T7_T9_mT8_S1C_bDpT10_ENKUlT_T0_E_clISt17integral_constantIbLb0EES1O_IbLb1EEEEDaS1K_S1L_EUlS1K_E_NS1_11comp_targetILNS1_3genE9ELNS1_11target_archE1100ELNS1_3gpuE3ELNS1_3repE0EEENS1_30default_config_static_selectorELNS0_4arch9wavefront6targetE0EEEvSY_.kd
    .uniform_work_group_size: 1
    .uses_dynamic_stack: false
    .vgpr_count:     0
    .vgpr_spill_count: 0
    .wavefront_size: 32
  - .args:
      - .offset:         0
        .size:           152
        .value_kind:     by_value
    .group_segment_fixed_size: 0
    .kernarg_segment_align: 8
    .kernarg_segment_size: 152
    .language:       OpenCL C
    .language_version:
      - 2
      - 0
    .max_flat_workgroup_size: 256
    .name:           _ZN7rocprim17ROCPRIM_400000_NS6detail17trampoline_kernelINS0_13select_configILj256ELj13ELNS0_17block_load_methodE3ELS4_3ELS4_3ELNS0_20block_scan_algorithmE0ELj4294967295EEENS1_25partition_config_selectorILNS1_17partition_subalgoE3EjNS0_10empty_typeEbEEZZNS1_14partition_implILS8_3ELb0ES6_jNS0_17counting_iteratorIjlEEPS9_SE_NS0_5tupleIJPjSE_EEENSF_IJSE_SE_EEES9_SG_JZNS1_25segmented_radix_sort_implINS0_14default_configELb0EPKiPiPKlPlN2at6native12_GLOBAL__N_18offset_tEEE10hipError_tPvRmT1_PNSt15iterator_traitsISY_E10value_typeET2_T3_PNSZ_IS14_E10value_typeET4_jRbjT5_S1A_jjP12ihipStream_tbEUljE_EEESV_SW_SX_S14_S18_S1A_T6_T7_T9_mT8_S1C_bDpT10_ENKUlT_T0_E_clISt17integral_constantIbLb0EES1O_IbLb1EEEEDaS1K_S1L_EUlS1K_E_NS1_11comp_targetILNS1_3genE8ELNS1_11target_archE1030ELNS1_3gpuE2ELNS1_3repE0EEENS1_30default_config_static_selectorELNS0_4arch9wavefront6targetE0EEEvSY_
    .private_segment_fixed_size: 0
    .sgpr_count:     0
    .sgpr_spill_count: 0
    .symbol:         _ZN7rocprim17ROCPRIM_400000_NS6detail17trampoline_kernelINS0_13select_configILj256ELj13ELNS0_17block_load_methodE3ELS4_3ELS4_3ELNS0_20block_scan_algorithmE0ELj4294967295EEENS1_25partition_config_selectorILNS1_17partition_subalgoE3EjNS0_10empty_typeEbEEZZNS1_14partition_implILS8_3ELb0ES6_jNS0_17counting_iteratorIjlEEPS9_SE_NS0_5tupleIJPjSE_EEENSF_IJSE_SE_EEES9_SG_JZNS1_25segmented_radix_sort_implINS0_14default_configELb0EPKiPiPKlPlN2at6native12_GLOBAL__N_18offset_tEEE10hipError_tPvRmT1_PNSt15iterator_traitsISY_E10value_typeET2_T3_PNSZ_IS14_E10value_typeET4_jRbjT5_S1A_jjP12ihipStream_tbEUljE_EEESV_SW_SX_S14_S18_S1A_T6_T7_T9_mT8_S1C_bDpT10_ENKUlT_T0_E_clISt17integral_constantIbLb0EES1O_IbLb1EEEEDaS1K_S1L_EUlS1K_E_NS1_11comp_targetILNS1_3genE8ELNS1_11target_archE1030ELNS1_3gpuE2ELNS1_3repE0EEENS1_30default_config_static_selectorELNS0_4arch9wavefront6targetE0EEEvSY_.kd
    .uniform_work_group_size: 1
    .uses_dynamic_stack: false
    .vgpr_count:     0
    .vgpr_spill_count: 0
    .wavefront_size: 32
  - .args:
      - .offset:         0
        .size:           96
        .value_kind:     by_value
      - .offset:         96
        .size:           4
        .value_kind:     hidden_block_count_x
      - .offset:         100
        .size:           4
        .value_kind:     hidden_block_count_y
      - .offset:         104
        .size:           4
        .value_kind:     hidden_block_count_z
      - .offset:         108
        .size:           2
        .value_kind:     hidden_group_size_x
      - .offset:         110
        .size:           2
        .value_kind:     hidden_group_size_y
      - .offset:         112
        .size:           2
        .value_kind:     hidden_group_size_z
      - .offset:         114
        .size:           2
        .value_kind:     hidden_remainder_x
      - .offset:         116
        .size:           2
        .value_kind:     hidden_remainder_y
      - .offset:         118
        .size:           2
        .value_kind:     hidden_remainder_z
      - .offset:         136
        .size:           8
        .value_kind:     hidden_global_offset_x
      - .offset:         144
        .size:           8
        .value_kind:     hidden_global_offset_y
      - .offset:         152
        .size:           8
        .value_kind:     hidden_global_offset_z
      - .offset:         160
        .size:           2
        .value_kind:     hidden_grid_dims
      - .offset:         176
        .size:           8
        .value_kind:     hidden_hostcall_buffer
      - .offset:         184
        .size:           8
        .value_kind:     hidden_multigrid_sync_arg
      - .offset:         192
        .size:           8
        .value_kind:     hidden_heap_v1
      - .offset:         200
        .size:           8
        .value_kind:     hidden_default_queue
      - .offset:         208
        .size:           8
        .value_kind:     hidden_completion_action
      - .offset:         296
        .size:           8
        .value_kind:     hidden_queue_ptr
    .group_segment_fixed_size: 33824
    .kernarg_segment_align: 8
    .kernarg_segment_size: 352
    .language:       OpenCL C
    .language_version:
      - 2
      - 0
    .max_flat_workgroup_size: 256
    .name:           _ZN7rocprim17ROCPRIM_400000_NS6detail17trampoline_kernelINS0_14default_configENS1_36segmented_radix_sort_config_selectorIilEEZNS1_25segmented_radix_sort_implIS3_Lb0EPKiPiPKlPlN2at6native12_GLOBAL__N_18offset_tEEE10hipError_tPvRmT1_PNSt15iterator_traitsISK_E10value_typeET2_T3_PNSL_ISQ_E10value_typeET4_jRbjT5_SW_jjP12ihipStream_tbEUlT_E_NS1_11comp_targetILNS1_3genE0ELNS1_11target_archE4294967295ELNS1_3gpuE0ELNS1_3repE0EEENS1_30default_config_static_selectorELNS0_4arch9wavefront6targetE0EEEvSK_
    .private_segment_fixed_size: 0
    .sgpr_count:     60
    .sgpr_spill_count: 0
    .symbol:         _ZN7rocprim17ROCPRIM_400000_NS6detail17trampoline_kernelINS0_14default_configENS1_36segmented_radix_sort_config_selectorIilEEZNS1_25segmented_radix_sort_implIS3_Lb0EPKiPiPKlPlN2at6native12_GLOBAL__N_18offset_tEEE10hipError_tPvRmT1_PNSt15iterator_traitsISK_E10value_typeET2_T3_PNSL_ISQ_E10value_typeET4_jRbjT5_SW_jjP12ihipStream_tbEUlT_E_NS1_11comp_targetILNS1_3genE0ELNS1_11target_archE4294967295ELNS1_3gpuE0ELNS1_3repE0EEENS1_30default_config_static_selectorELNS0_4arch9wavefront6targetE0EEEvSK_.kd
    .uniform_work_group_size: 1
    .uses_dynamic_stack: false
    .vgpr_count:     287
    .vgpr_spill_count: 0
    .wavefront_size: 32
  - .args:
      - .offset:         0
        .size:           96
        .value_kind:     by_value
    .group_segment_fixed_size: 0
    .kernarg_segment_align: 8
    .kernarg_segment_size: 96
    .language:       OpenCL C
    .language_version:
      - 2
      - 0
    .max_flat_workgroup_size: 256
    .name:           _ZN7rocprim17ROCPRIM_400000_NS6detail17trampoline_kernelINS0_14default_configENS1_36segmented_radix_sort_config_selectorIilEEZNS1_25segmented_radix_sort_implIS3_Lb0EPKiPiPKlPlN2at6native12_GLOBAL__N_18offset_tEEE10hipError_tPvRmT1_PNSt15iterator_traitsISK_E10value_typeET2_T3_PNSL_ISQ_E10value_typeET4_jRbjT5_SW_jjP12ihipStream_tbEUlT_E_NS1_11comp_targetILNS1_3genE5ELNS1_11target_archE942ELNS1_3gpuE9ELNS1_3repE0EEENS1_30default_config_static_selectorELNS0_4arch9wavefront6targetE0EEEvSK_
    .private_segment_fixed_size: 0
    .sgpr_count:     0
    .sgpr_spill_count: 0
    .symbol:         _ZN7rocprim17ROCPRIM_400000_NS6detail17trampoline_kernelINS0_14default_configENS1_36segmented_radix_sort_config_selectorIilEEZNS1_25segmented_radix_sort_implIS3_Lb0EPKiPiPKlPlN2at6native12_GLOBAL__N_18offset_tEEE10hipError_tPvRmT1_PNSt15iterator_traitsISK_E10value_typeET2_T3_PNSL_ISQ_E10value_typeET4_jRbjT5_SW_jjP12ihipStream_tbEUlT_E_NS1_11comp_targetILNS1_3genE5ELNS1_11target_archE942ELNS1_3gpuE9ELNS1_3repE0EEENS1_30default_config_static_selectorELNS0_4arch9wavefront6targetE0EEEvSK_.kd
    .uniform_work_group_size: 1
    .uses_dynamic_stack: false
    .vgpr_count:     0
    .vgpr_spill_count: 0
    .wavefront_size: 32
  - .args:
      - .offset:         0
        .size:           96
        .value_kind:     by_value
    .group_segment_fixed_size: 0
    .kernarg_segment_align: 8
    .kernarg_segment_size: 96
    .language:       OpenCL C
    .language_version:
      - 2
      - 0
    .max_flat_workgroup_size: 256
    .name:           _ZN7rocprim17ROCPRIM_400000_NS6detail17trampoline_kernelINS0_14default_configENS1_36segmented_radix_sort_config_selectorIilEEZNS1_25segmented_radix_sort_implIS3_Lb0EPKiPiPKlPlN2at6native12_GLOBAL__N_18offset_tEEE10hipError_tPvRmT1_PNSt15iterator_traitsISK_E10value_typeET2_T3_PNSL_ISQ_E10value_typeET4_jRbjT5_SW_jjP12ihipStream_tbEUlT_E_NS1_11comp_targetILNS1_3genE4ELNS1_11target_archE910ELNS1_3gpuE8ELNS1_3repE0EEENS1_30default_config_static_selectorELNS0_4arch9wavefront6targetE0EEEvSK_
    .private_segment_fixed_size: 0
    .sgpr_count:     0
    .sgpr_spill_count: 0
    .symbol:         _ZN7rocprim17ROCPRIM_400000_NS6detail17trampoline_kernelINS0_14default_configENS1_36segmented_radix_sort_config_selectorIilEEZNS1_25segmented_radix_sort_implIS3_Lb0EPKiPiPKlPlN2at6native12_GLOBAL__N_18offset_tEEE10hipError_tPvRmT1_PNSt15iterator_traitsISK_E10value_typeET2_T3_PNSL_ISQ_E10value_typeET4_jRbjT5_SW_jjP12ihipStream_tbEUlT_E_NS1_11comp_targetILNS1_3genE4ELNS1_11target_archE910ELNS1_3gpuE8ELNS1_3repE0EEENS1_30default_config_static_selectorELNS0_4arch9wavefront6targetE0EEEvSK_.kd
    .uniform_work_group_size: 1
    .uses_dynamic_stack: false
    .vgpr_count:     0
    .vgpr_spill_count: 0
    .wavefront_size: 32
  - .args:
      - .offset:         0
        .size:           96
        .value_kind:     by_value
    .group_segment_fixed_size: 0
    .kernarg_segment_align: 8
    .kernarg_segment_size: 96
    .language:       OpenCL C
    .language_version:
      - 2
      - 0
    .max_flat_workgroup_size: 256
    .name:           _ZN7rocprim17ROCPRIM_400000_NS6detail17trampoline_kernelINS0_14default_configENS1_36segmented_radix_sort_config_selectorIilEEZNS1_25segmented_radix_sort_implIS3_Lb0EPKiPiPKlPlN2at6native12_GLOBAL__N_18offset_tEEE10hipError_tPvRmT1_PNSt15iterator_traitsISK_E10value_typeET2_T3_PNSL_ISQ_E10value_typeET4_jRbjT5_SW_jjP12ihipStream_tbEUlT_E_NS1_11comp_targetILNS1_3genE3ELNS1_11target_archE908ELNS1_3gpuE7ELNS1_3repE0EEENS1_30default_config_static_selectorELNS0_4arch9wavefront6targetE0EEEvSK_
    .private_segment_fixed_size: 0
    .sgpr_count:     0
    .sgpr_spill_count: 0
    .symbol:         _ZN7rocprim17ROCPRIM_400000_NS6detail17trampoline_kernelINS0_14default_configENS1_36segmented_radix_sort_config_selectorIilEEZNS1_25segmented_radix_sort_implIS3_Lb0EPKiPiPKlPlN2at6native12_GLOBAL__N_18offset_tEEE10hipError_tPvRmT1_PNSt15iterator_traitsISK_E10value_typeET2_T3_PNSL_ISQ_E10value_typeET4_jRbjT5_SW_jjP12ihipStream_tbEUlT_E_NS1_11comp_targetILNS1_3genE3ELNS1_11target_archE908ELNS1_3gpuE7ELNS1_3repE0EEENS1_30default_config_static_selectorELNS0_4arch9wavefront6targetE0EEEvSK_.kd
    .uniform_work_group_size: 1
    .uses_dynamic_stack: false
    .vgpr_count:     0
    .vgpr_spill_count: 0
    .wavefront_size: 32
  - .args:
      - .offset:         0
        .size:           96
        .value_kind:     by_value
    .group_segment_fixed_size: 0
    .kernarg_segment_align: 8
    .kernarg_segment_size: 96
    .language:       OpenCL C
    .language_version:
      - 2
      - 0
    .max_flat_workgroup_size: 256
    .name:           _ZN7rocprim17ROCPRIM_400000_NS6detail17trampoline_kernelINS0_14default_configENS1_36segmented_radix_sort_config_selectorIilEEZNS1_25segmented_radix_sort_implIS3_Lb0EPKiPiPKlPlN2at6native12_GLOBAL__N_18offset_tEEE10hipError_tPvRmT1_PNSt15iterator_traitsISK_E10value_typeET2_T3_PNSL_ISQ_E10value_typeET4_jRbjT5_SW_jjP12ihipStream_tbEUlT_E_NS1_11comp_targetILNS1_3genE2ELNS1_11target_archE906ELNS1_3gpuE6ELNS1_3repE0EEENS1_30default_config_static_selectorELNS0_4arch9wavefront6targetE0EEEvSK_
    .private_segment_fixed_size: 0
    .sgpr_count:     0
    .sgpr_spill_count: 0
    .symbol:         _ZN7rocprim17ROCPRIM_400000_NS6detail17trampoline_kernelINS0_14default_configENS1_36segmented_radix_sort_config_selectorIilEEZNS1_25segmented_radix_sort_implIS3_Lb0EPKiPiPKlPlN2at6native12_GLOBAL__N_18offset_tEEE10hipError_tPvRmT1_PNSt15iterator_traitsISK_E10value_typeET2_T3_PNSL_ISQ_E10value_typeET4_jRbjT5_SW_jjP12ihipStream_tbEUlT_E_NS1_11comp_targetILNS1_3genE2ELNS1_11target_archE906ELNS1_3gpuE6ELNS1_3repE0EEENS1_30default_config_static_selectorELNS0_4arch9wavefront6targetE0EEEvSK_.kd
    .uniform_work_group_size: 1
    .uses_dynamic_stack: false
    .vgpr_count:     0
    .vgpr_spill_count: 0
    .wavefront_size: 32
  - .args:
      - .offset:         0
        .size:           96
        .value_kind:     by_value
    .group_segment_fixed_size: 0
    .kernarg_segment_align: 8
    .kernarg_segment_size: 96
    .language:       OpenCL C
    .language_version:
      - 2
      - 0
    .max_flat_workgroup_size: 256
    .name:           _ZN7rocprim17ROCPRIM_400000_NS6detail17trampoline_kernelINS0_14default_configENS1_36segmented_radix_sort_config_selectorIilEEZNS1_25segmented_radix_sort_implIS3_Lb0EPKiPiPKlPlN2at6native12_GLOBAL__N_18offset_tEEE10hipError_tPvRmT1_PNSt15iterator_traitsISK_E10value_typeET2_T3_PNSL_ISQ_E10value_typeET4_jRbjT5_SW_jjP12ihipStream_tbEUlT_E_NS1_11comp_targetILNS1_3genE10ELNS1_11target_archE1201ELNS1_3gpuE5ELNS1_3repE0EEENS1_30default_config_static_selectorELNS0_4arch9wavefront6targetE0EEEvSK_
    .private_segment_fixed_size: 0
    .sgpr_count:     0
    .sgpr_spill_count: 0
    .symbol:         _ZN7rocprim17ROCPRIM_400000_NS6detail17trampoline_kernelINS0_14default_configENS1_36segmented_radix_sort_config_selectorIilEEZNS1_25segmented_radix_sort_implIS3_Lb0EPKiPiPKlPlN2at6native12_GLOBAL__N_18offset_tEEE10hipError_tPvRmT1_PNSt15iterator_traitsISK_E10value_typeET2_T3_PNSL_ISQ_E10value_typeET4_jRbjT5_SW_jjP12ihipStream_tbEUlT_E_NS1_11comp_targetILNS1_3genE10ELNS1_11target_archE1201ELNS1_3gpuE5ELNS1_3repE0EEENS1_30default_config_static_selectorELNS0_4arch9wavefront6targetE0EEEvSK_.kd
    .uniform_work_group_size: 1
    .uses_dynamic_stack: false
    .vgpr_count:     0
    .vgpr_spill_count: 0
    .wavefront_size: 32
  - .args:
      - .offset:         0
        .size:           96
        .value_kind:     by_value
    .group_segment_fixed_size: 0
    .kernarg_segment_align: 8
    .kernarg_segment_size: 96
    .language:       OpenCL C
    .language_version:
      - 2
      - 0
    .max_flat_workgroup_size: 128
    .name:           _ZN7rocprim17ROCPRIM_400000_NS6detail17trampoline_kernelINS0_14default_configENS1_36segmented_radix_sort_config_selectorIilEEZNS1_25segmented_radix_sort_implIS3_Lb0EPKiPiPKlPlN2at6native12_GLOBAL__N_18offset_tEEE10hipError_tPvRmT1_PNSt15iterator_traitsISK_E10value_typeET2_T3_PNSL_ISQ_E10value_typeET4_jRbjT5_SW_jjP12ihipStream_tbEUlT_E_NS1_11comp_targetILNS1_3genE10ELNS1_11target_archE1200ELNS1_3gpuE4ELNS1_3repE0EEENS1_30default_config_static_selectorELNS0_4arch9wavefront6targetE0EEEvSK_
    .private_segment_fixed_size: 0
    .sgpr_count:     0
    .sgpr_spill_count: 0
    .symbol:         _ZN7rocprim17ROCPRIM_400000_NS6detail17trampoline_kernelINS0_14default_configENS1_36segmented_radix_sort_config_selectorIilEEZNS1_25segmented_radix_sort_implIS3_Lb0EPKiPiPKlPlN2at6native12_GLOBAL__N_18offset_tEEE10hipError_tPvRmT1_PNSt15iterator_traitsISK_E10value_typeET2_T3_PNSL_ISQ_E10value_typeET4_jRbjT5_SW_jjP12ihipStream_tbEUlT_E_NS1_11comp_targetILNS1_3genE10ELNS1_11target_archE1200ELNS1_3gpuE4ELNS1_3repE0EEENS1_30default_config_static_selectorELNS0_4arch9wavefront6targetE0EEEvSK_.kd
    .uniform_work_group_size: 1
    .uses_dynamic_stack: false
    .vgpr_count:     0
    .vgpr_spill_count: 0
    .wavefront_size: 32
  - .args:
      - .offset:         0
        .size:           96
        .value_kind:     by_value
    .group_segment_fixed_size: 0
    .kernarg_segment_align: 8
    .kernarg_segment_size: 96
    .language:       OpenCL C
    .language_version:
      - 2
      - 0
    .max_flat_workgroup_size: 256
    .name:           _ZN7rocprim17ROCPRIM_400000_NS6detail17trampoline_kernelINS0_14default_configENS1_36segmented_radix_sort_config_selectorIilEEZNS1_25segmented_radix_sort_implIS3_Lb0EPKiPiPKlPlN2at6native12_GLOBAL__N_18offset_tEEE10hipError_tPvRmT1_PNSt15iterator_traitsISK_E10value_typeET2_T3_PNSL_ISQ_E10value_typeET4_jRbjT5_SW_jjP12ihipStream_tbEUlT_E_NS1_11comp_targetILNS1_3genE9ELNS1_11target_archE1100ELNS1_3gpuE3ELNS1_3repE0EEENS1_30default_config_static_selectorELNS0_4arch9wavefront6targetE0EEEvSK_
    .private_segment_fixed_size: 0
    .sgpr_count:     0
    .sgpr_spill_count: 0
    .symbol:         _ZN7rocprim17ROCPRIM_400000_NS6detail17trampoline_kernelINS0_14default_configENS1_36segmented_radix_sort_config_selectorIilEEZNS1_25segmented_radix_sort_implIS3_Lb0EPKiPiPKlPlN2at6native12_GLOBAL__N_18offset_tEEE10hipError_tPvRmT1_PNSt15iterator_traitsISK_E10value_typeET2_T3_PNSL_ISQ_E10value_typeET4_jRbjT5_SW_jjP12ihipStream_tbEUlT_E_NS1_11comp_targetILNS1_3genE9ELNS1_11target_archE1100ELNS1_3gpuE3ELNS1_3repE0EEENS1_30default_config_static_selectorELNS0_4arch9wavefront6targetE0EEEvSK_.kd
    .uniform_work_group_size: 1
    .uses_dynamic_stack: false
    .vgpr_count:     0
    .vgpr_spill_count: 0
    .wavefront_size: 32
  - .args:
      - .offset:         0
        .size:           96
        .value_kind:     by_value
    .group_segment_fixed_size: 0
    .kernarg_segment_align: 8
    .kernarg_segment_size: 96
    .language:       OpenCL C
    .language_version:
      - 2
      - 0
    .max_flat_workgroup_size: 256
    .name:           _ZN7rocprim17ROCPRIM_400000_NS6detail17trampoline_kernelINS0_14default_configENS1_36segmented_radix_sort_config_selectorIilEEZNS1_25segmented_radix_sort_implIS3_Lb0EPKiPiPKlPlN2at6native12_GLOBAL__N_18offset_tEEE10hipError_tPvRmT1_PNSt15iterator_traitsISK_E10value_typeET2_T3_PNSL_ISQ_E10value_typeET4_jRbjT5_SW_jjP12ihipStream_tbEUlT_E_NS1_11comp_targetILNS1_3genE8ELNS1_11target_archE1030ELNS1_3gpuE2ELNS1_3repE0EEENS1_30default_config_static_selectorELNS0_4arch9wavefront6targetE0EEEvSK_
    .private_segment_fixed_size: 0
    .sgpr_count:     0
    .sgpr_spill_count: 0
    .symbol:         _ZN7rocprim17ROCPRIM_400000_NS6detail17trampoline_kernelINS0_14default_configENS1_36segmented_radix_sort_config_selectorIilEEZNS1_25segmented_radix_sort_implIS3_Lb0EPKiPiPKlPlN2at6native12_GLOBAL__N_18offset_tEEE10hipError_tPvRmT1_PNSt15iterator_traitsISK_E10value_typeET2_T3_PNSL_ISQ_E10value_typeET4_jRbjT5_SW_jjP12ihipStream_tbEUlT_E_NS1_11comp_targetILNS1_3genE8ELNS1_11target_archE1030ELNS1_3gpuE2ELNS1_3repE0EEENS1_30default_config_static_selectorELNS0_4arch9wavefront6targetE0EEEvSK_.kd
    .uniform_work_group_size: 1
    .uses_dynamic_stack: false
    .vgpr_count:     0
    .vgpr_spill_count: 0
    .wavefront_size: 32
  - .args:
      - .offset:         0
        .size:           88
        .value_kind:     by_value
      - .offset:         88
        .size:           4
        .value_kind:     hidden_block_count_x
      - .offset:         92
        .size:           4
        .value_kind:     hidden_block_count_y
      - .offset:         96
        .size:           4
        .value_kind:     hidden_block_count_z
      - .offset:         100
        .size:           2
        .value_kind:     hidden_group_size_x
      - .offset:         102
        .size:           2
        .value_kind:     hidden_group_size_y
      - .offset:         104
        .size:           2
        .value_kind:     hidden_group_size_z
      - .offset:         106
        .size:           2
        .value_kind:     hidden_remainder_x
      - .offset:         108
        .size:           2
        .value_kind:     hidden_remainder_y
      - .offset:         110
        .size:           2
        .value_kind:     hidden_remainder_z
      - .offset:         128
        .size:           8
        .value_kind:     hidden_global_offset_x
      - .offset:         136
        .size:           8
        .value_kind:     hidden_global_offset_y
      - .offset:         144
        .size:           8
        .value_kind:     hidden_global_offset_z
      - .offset:         152
        .size:           2
        .value_kind:     hidden_grid_dims
      - .offset:         168
        .size:           8
        .value_kind:     hidden_hostcall_buffer
      - .offset:         176
        .size:           8
        .value_kind:     hidden_multigrid_sync_arg
      - .offset:         184
        .size:           8
        .value_kind:     hidden_heap_v1
      - .offset:         192
        .size:           8
        .value_kind:     hidden_default_queue
      - .offset:         200
        .size:           8
        .value_kind:     hidden_completion_action
      - .offset:         288
        .size:           8
        .value_kind:     hidden_queue_ptr
    .group_segment_fixed_size: 24576
    .kernarg_segment_align: 8
    .kernarg_segment_size: 344
    .language:       OpenCL C
    .language_version:
      - 2
      - 0
    .max_flat_workgroup_size: 256
    .name:           _ZN7rocprim17ROCPRIM_400000_NS6detail17trampoline_kernelINS0_14default_configENS1_36segmented_radix_sort_config_selectorIilEEZNS1_25segmented_radix_sort_implIS3_Lb0EPKiPiPKlPlN2at6native12_GLOBAL__N_18offset_tEEE10hipError_tPvRmT1_PNSt15iterator_traitsISK_E10value_typeET2_T3_PNSL_ISQ_E10value_typeET4_jRbjT5_SW_jjP12ihipStream_tbEUlT_E0_NS1_11comp_targetILNS1_3genE0ELNS1_11target_archE4294967295ELNS1_3gpuE0ELNS1_3repE0EEENS1_60segmented_radix_sort_warp_sort_medium_config_static_selectorELNS0_4arch9wavefront6targetE0EEEvSK_
    .private_segment_fixed_size: 0
    .sgpr_count:     46
    .sgpr_spill_count: 0
    .symbol:         _ZN7rocprim17ROCPRIM_400000_NS6detail17trampoline_kernelINS0_14default_configENS1_36segmented_radix_sort_config_selectorIilEEZNS1_25segmented_radix_sort_implIS3_Lb0EPKiPiPKlPlN2at6native12_GLOBAL__N_18offset_tEEE10hipError_tPvRmT1_PNSt15iterator_traitsISK_E10value_typeET2_T3_PNSL_ISQ_E10value_typeET4_jRbjT5_SW_jjP12ihipStream_tbEUlT_E0_NS1_11comp_targetILNS1_3genE0ELNS1_11target_archE4294967295ELNS1_3gpuE0ELNS1_3repE0EEENS1_60segmented_radix_sort_warp_sort_medium_config_static_selectorELNS0_4arch9wavefront6targetE0EEEvSK_.kd
    .uniform_work_group_size: 1
    .uses_dynamic_stack: false
    .vgpr_count:     72
    .vgpr_spill_count: 0
    .wavefront_size: 32
  - .args:
      - .offset:         0
        .size:           88
        .value_kind:     by_value
    .group_segment_fixed_size: 0
    .kernarg_segment_align: 8
    .kernarg_segment_size: 88
    .language:       OpenCL C
    .language_version:
      - 2
      - 0
    .max_flat_workgroup_size: 256
    .name:           _ZN7rocprim17ROCPRIM_400000_NS6detail17trampoline_kernelINS0_14default_configENS1_36segmented_radix_sort_config_selectorIilEEZNS1_25segmented_radix_sort_implIS3_Lb0EPKiPiPKlPlN2at6native12_GLOBAL__N_18offset_tEEE10hipError_tPvRmT1_PNSt15iterator_traitsISK_E10value_typeET2_T3_PNSL_ISQ_E10value_typeET4_jRbjT5_SW_jjP12ihipStream_tbEUlT_E0_NS1_11comp_targetILNS1_3genE5ELNS1_11target_archE942ELNS1_3gpuE9ELNS1_3repE0EEENS1_60segmented_radix_sort_warp_sort_medium_config_static_selectorELNS0_4arch9wavefront6targetE0EEEvSK_
    .private_segment_fixed_size: 0
    .sgpr_count:     0
    .sgpr_spill_count: 0
    .symbol:         _ZN7rocprim17ROCPRIM_400000_NS6detail17trampoline_kernelINS0_14default_configENS1_36segmented_radix_sort_config_selectorIilEEZNS1_25segmented_radix_sort_implIS3_Lb0EPKiPiPKlPlN2at6native12_GLOBAL__N_18offset_tEEE10hipError_tPvRmT1_PNSt15iterator_traitsISK_E10value_typeET2_T3_PNSL_ISQ_E10value_typeET4_jRbjT5_SW_jjP12ihipStream_tbEUlT_E0_NS1_11comp_targetILNS1_3genE5ELNS1_11target_archE942ELNS1_3gpuE9ELNS1_3repE0EEENS1_60segmented_radix_sort_warp_sort_medium_config_static_selectorELNS0_4arch9wavefront6targetE0EEEvSK_.kd
    .uniform_work_group_size: 1
    .uses_dynamic_stack: false
    .vgpr_count:     0
    .vgpr_spill_count: 0
    .wavefront_size: 32
  - .args:
      - .offset:         0
        .size:           88
        .value_kind:     by_value
    .group_segment_fixed_size: 0
    .kernarg_segment_align: 8
    .kernarg_segment_size: 88
    .language:       OpenCL C
    .language_version:
      - 2
      - 0
    .max_flat_workgroup_size: 256
    .name:           _ZN7rocprim17ROCPRIM_400000_NS6detail17trampoline_kernelINS0_14default_configENS1_36segmented_radix_sort_config_selectorIilEEZNS1_25segmented_radix_sort_implIS3_Lb0EPKiPiPKlPlN2at6native12_GLOBAL__N_18offset_tEEE10hipError_tPvRmT1_PNSt15iterator_traitsISK_E10value_typeET2_T3_PNSL_ISQ_E10value_typeET4_jRbjT5_SW_jjP12ihipStream_tbEUlT_E0_NS1_11comp_targetILNS1_3genE4ELNS1_11target_archE910ELNS1_3gpuE8ELNS1_3repE0EEENS1_60segmented_radix_sort_warp_sort_medium_config_static_selectorELNS0_4arch9wavefront6targetE0EEEvSK_
    .private_segment_fixed_size: 0
    .sgpr_count:     0
    .sgpr_spill_count: 0
    .symbol:         _ZN7rocprim17ROCPRIM_400000_NS6detail17trampoline_kernelINS0_14default_configENS1_36segmented_radix_sort_config_selectorIilEEZNS1_25segmented_radix_sort_implIS3_Lb0EPKiPiPKlPlN2at6native12_GLOBAL__N_18offset_tEEE10hipError_tPvRmT1_PNSt15iterator_traitsISK_E10value_typeET2_T3_PNSL_ISQ_E10value_typeET4_jRbjT5_SW_jjP12ihipStream_tbEUlT_E0_NS1_11comp_targetILNS1_3genE4ELNS1_11target_archE910ELNS1_3gpuE8ELNS1_3repE0EEENS1_60segmented_radix_sort_warp_sort_medium_config_static_selectorELNS0_4arch9wavefront6targetE0EEEvSK_.kd
    .uniform_work_group_size: 1
    .uses_dynamic_stack: false
    .vgpr_count:     0
    .vgpr_spill_count: 0
    .wavefront_size: 32
  - .args:
      - .offset:         0
        .size:           88
        .value_kind:     by_value
    .group_segment_fixed_size: 0
    .kernarg_segment_align: 8
    .kernarg_segment_size: 88
    .language:       OpenCL C
    .language_version:
      - 2
      - 0
    .max_flat_workgroup_size: 256
    .name:           _ZN7rocprim17ROCPRIM_400000_NS6detail17trampoline_kernelINS0_14default_configENS1_36segmented_radix_sort_config_selectorIilEEZNS1_25segmented_radix_sort_implIS3_Lb0EPKiPiPKlPlN2at6native12_GLOBAL__N_18offset_tEEE10hipError_tPvRmT1_PNSt15iterator_traitsISK_E10value_typeET2_T3_PNSL_ISQ_E10value_typeET4_jRbjT5_SW_jjP12ihipStream_tbEUlT_E0_NS1_11comp_targetILNS1_3genE3ELNS1_11target_archE908ELNS1_3gpuE7ELNS1_3repE0EEENS1_60segmented_radix_sort_warp_sort_medium_config_static_selectorELNS0_4arch9wavefront6targetE0EEEvSK_
    .private_segment_fixed_size: 0
    .sgpr_count:     0
    .sgpr_spill_count: 0
    .symbol:         _ZN7rocprim17ROCPRIM_400000_NS6detail17trampoline_kernelINS0_14default_configENS1_36segmented_radix_sort_config_selectorIilEEZNS1_25segmented_radix_sort_implIS3_Lb0EPKiPiPKlPlN2at6native12_GLOBAL__N_18offset_tEEE10hipError_tPvRmT1_PNSt15iterator_traitsISK_E10value_typeET2_T3_PNSL_ISQ_E10value_typeET4_jRbjT5_SW_jjP12ihipStream_tbEUlT_E0_NS1_11comp_targetILNS1_3genE3ELNS1_11target_archE908ELNS1_3gpuE7ELNS1_3repE0EEENS1_60segmented_radix_sort_warp_sort_medium_config_static_selectorELNS0_4arch9wavefront6targetE0EEEvSK_.kd
    .uniform_work_group_size: 1
    .uses_dynamic_stack: false
    .vgpr_count:     0
    .vgpr_spill_count: 0
    .wavefront_size: 32
  - .args:
      - .offset:         0
        .size:           88
        .value_kind:     by_value
    .group_segment_fixed_size: 0
    .kernarg_segment_align: 8
    .kernarg_segment_size: 88
    .language:       OpenCL C
    .language_version:
      - 2
      - 0
    .max_flat_workgroup_size: 256
    .name:           _ZN7rocprim17ROCPRIM_400000_NS6detail17trampoline_kernelINS0_14default_configENS1_36segmented_radix_sort_config_selectorIilEEZNS1_25segmented_radix_sort_implIS3_Lb0EPKiPiPKlPlN2at6native12_GLOBAL__N_18offset_tEEE10hipError_tPvRmT1_PNSt15iterator_traitsISK_E10value_typeET2_T3_PNSL_ISQ_E10value_typeET4_jRbjT5_SW_jjP12ihipStream_tbEUlT_E0_NS1_11comp_targetILNS1_3genE2ELNS1_11target_archE906ELNS1_3gpuE6ELNS1_3repE0EEENS1_60segmented_radix_sort_warp_sort_medium_config_static_selectorELNS0_4arch9wavefront6targetE0EEEvSK_
    .private_segment_fixed_size: 0
    .sgpr_count:     0
    .sgpr_spill_count: 0
    .symbol:         _ZN7rocprim17ROCPRIM_400000_NS6detail17trampoline_kernelINS0_14default_configENS1_36segmented_radix_sort_config_selectorIilEEZNS1_25segmented_radix_sort_implIS3_Lb0EPKiPiPKlPlN2at6native12_GLOBAL__N_18offset_tEEE10hipError_tPvRmT1_PNSt15iterator_traitsISK_E10value_typeET2_T3_PNSL_ISQ_E10value_typeET4_jRbjT5_SW_jjP12ihipStream_tbEUlT_E0_NS1_11comp_targetILNS1_3genE2ELNS1_11target_archE906ELNS1_3gpuE6ELNS1_3repE0EEENS1_60segmented_radix_sort_warp_sort_medium_config_static_selectorELNS0_4arch9wavefront6targetE0EEEvSK_.kd
    .uniform_work_group_size: 1
    .uses_dynamic_stack: false
    .vgpr_count:     0
    .vgpr_spill_count: 0
    .wavefront_size: 32
  - .args:
      - .offset:         0
        .size:           88
        .value_kind:     by_value
    .group_segment_fixed_size: 0
    .kernarg_segment_align: 8
    .kernarg_segment_size: 88
    .language:       OpenCL C
    .language_version:
      - 2
      - 0
    .max_flat_workgroup_size: 256
    .name:           _ZN7rocprim17ROCPRIM_400000_NS6detail17trampoline_kernelINS0_14default_configENS1_36segmented_radix_sort_config_selectorIilEEZNS1_25segmented_radix_sort_implIS3_Lb0EPKiPiPKlPlN2at6native12_GLOBAL__N_18offset_tEEE10hipError_tPvRmT1_PNSt15iterator_traitsISK_E10value_typeET2_T3_PNSL_ISQ_E10value_typeET4_jRbjT5_SW_jjP12ihipStream_tbEUlT_E0_NS1_11comp_targetILNS1_3genE10ELNS1_11target_archE1201ELNS1_3gpuE5ELNS1_3repE0EEENS1_60segmented_radix_sort_warp_sort_medium_config_static_selectorELNS0_4arch9wavefront6targetE0EEEvSK_
    .private_segment_fixed_size: 0
    .sgpr_count:     0
    .sgpr_spill_count: 0
    .symbol:         _ZN7rocprim17ROCPRIM_400000_NS6detail17trampoline_kernelINS0_14default_configENS1_36segmented_radix_sort_config_selectorIilEEZNS1_25segmented_radix_sort_implIS3_Lb0EPKiPiPKlPlN2at6native12_GLOBAL__N_18offset_tEEE10hipError_tPvRmT1_PNSt15iterator_traitsISK_E10value_typeET2_T3_PNSL_ISQ_E10value_typeET4_jRbjT5_SW_jjP12ihipStream_tbEUlT_E0_NS1_11comp_targetILNS1_3genE10ELNS1_11target_archE1201ELNS1_3gpuE5ELNS1_3repE0EEENS1_60segmented_radix_sort_warp_sort_medium_config_static_selectorELNS0_4arch9wavefront6targetE0EEEvSK_.kd
    .uniform_work_group_size: 1
    .uses_dynamic_stack: false
    .vgpr_count:     0
    .vgpr_spill_count: 0
    .wavefront_size: 32
  - .args:
      - .offset:         0
        .size:           88
        .value_kind:     by_value
    .group_segment_fixed_size: 0
    .kernarg_segment_align: 8
    .kernarg_segment_size: 88
    .language:       OpenCL C
    .language_version:
      - 2
      - 0
    .max_flat_workgroup_size: 256
    .name:           _ZN7rocprim17ROCPRIM_400000_NS6detail17trampoline_kernelINS0_14default_configENS1_36segmented_radix_sort_config_selectorIilEEZNS1_25segmented_radix_sort_implIS3_Lb0EPKiPiPKlPlN2at6native12_GLOBAL__N_18offset_tEEE10hipError_tPvRmT1_PNSt15iterator_traitsISK_E10value_typeET2_T3_PNSL_ISQ_E10value_typeET4_jRbjT5_SW_jjP12ihipStream_tbEUlT_E0_NS1_11comp_targetILNS1_3genE10ELNS1_11target_archE1200ELNS1_3gpuE4ELNS1_3repE0EEENS1_60segmented_radix_sort_warp_sort_medium_config_static_selectorELNS0_4arch9wavefront6targetE0EEEvSK_
    .private_segment_fixed_size: 0
    .sgpr_count:     0
    .sgpr_spill_count: 0
    .symbol:         _ZN7rocprim17ROCPRIM_400000_NS6detail17trampoline_kernelINS0_14default_configENS1_36segmented_radix_sort_config_selectorIilEEZNS1_25segmented_radix_sort_implIS3_Lb0EPKiPiPKlPlN2at6native12_GLOBAL__N_18offset_tEEE10hipError_tPvRmT1_PNSt15iterator_traitsISK_E10value_typeET2_T3_PNSL_ISQ_E10value_typeET4_jRbjT5_SW_jjP12ihipStream_tbEUlT_E0_NS1_11comp_targetILNS1_3genE10ELNS1_11target_archE1200ELNS1_3gpuE4ELNS1_3repE0EEENS1_60segmented_radix_sort_warp_sort_medium_config_static_selectorELNS0_4arch9wavefront6targetE0EEEvSK_.kd
    .uniform_work_group_size: 1
    .uses_dynamic_stack: false
    .vgpr_count:     0
    .vgpr_spill_count: 0
    .wavefront_size: 32
  - .args:
      - .offset:         0
        .size:           88
        .value_kind:     by_value
    .group_segment_fixed_size: 0
    .kernarg_segment_align: 8
    .kernarg_segment_size: 88
    .language:       OpenCL C
    .language_version:
      - 2
      - 0
    .max_flat_workgroup_size: 256
    .name:           _ZN7rocprim17ROCPRIM_400000_NS6detail17trampoline_kernelINS0_14default_configENS1_36segmented_radix_sort_config_selectorIilEEZNS1_25segmented_radix_sort_implIS3_Lb0EPKiPiPKlPlN2at6native12_GLOBAL__N_18offset_tEEE10hipError_tPvRmT1_PNSt15iterator_traitsISK_E10value_typeET2_T3_PNSL_ISQ_E10value_typeET4_jRbjT5_SW_jjP12ihipStream_tbEUlT_E0_NS1_11comp_targetILNS1_3genE9ELNS1_11target_archE1100ELNS1_3gpuE3ELNS1_3repE0EEENS1_60segmented_radix_sort_warp_sort_medium_config_static_selectorELNS0_4arch9wavefront6targetE0EEEvSK_
    .private_segment_fixed_size: 0
    .sgpr_count:     0
    .sgpr_spill_count: 0
    .symbol:         _ZN7rocprim17ROCPRIM_400000_NS6detail17trampoline_kernelINS0_14default_configENS1_36segmented_radix_sort_config_selectorIilEEZNS1_25segmented_radix_sort_implIS3_Lb0EPKiPiPKlPlN2at6native12_GLOBAL__N_18offset_tEEE10hipError_tPvRmT1_PNSt15iterator_traitsISK_E10value_typeET2_T3_PNSL_ISQ_E10value_typeET4_jRbjT5_SW_jjP12ihipStream_tbEUlT_E0_NS1_11comp_targetILNS1_3genE9ELNS1_11target_archE1100ELNS1_3gpuE3ELNS1_3repE0EEENS1_60segmented_radix_sort_warp_sort_medium_config_static_selectorELNS0_4arch9wavefront6targetE0EEEvSK_.kd
    .uniform_work_group_size: 1
    .uses_dynamic_stack: false
    .vgpr_count:     0
    .vgpr_spill_count: 0
    .wavefront_size: 32
  - .args:
      - .offset:         0
        .size:           88
        .value_kind:     by_value
    .group_segment_fixed_size: 0
    .kernarg_segment_align: 8
    .kernarg_segment_size: 88
    .language:       OpenCL C
    .language_version:
      - 2
      - 0
    .max_flat_workgroup_size: 256
    .name:           _ZN7rocprim17ROCPRIM_400000_NS6detail17trampoline_kernelINS0_14default_configENS1_36segmented_radix_sort_config_selectorIilEEZNS1_25segmented_radix_sort_implIS3_Lb0EPKiPiPKlPlN2at6native12_GLOBAL__N_18offset_tEEE10hipError_tPvRmT1_PNSt15iterator_traitsISK_E10value_typeET2_T3_PNSL_ISQ_E10value_typeET4_jRbjT5_SW_jjP12ihipStream_tbEUlT_E0_NS1_11comp_targetILNS1_3genE8ELNS1_11target_archE1030ELNS1_3gpuE2ELNS1_3repE0EEENS1_60segmented_radix_sort_warp_sort_medium_config_static_selectorELNS0_4arch9wavefront6targetE0EEEvSK_
    .private_segment_fixed_size: 0
    .sgpr_count:     0
    .sgpr_spill_count: 0
    .symbol:         _ZN7rocprim17ROCPRIM_400000_NS6detail17trampoline_kernelINS0_14default_configENS1_36segmented_radix_sort_config_selectorIilEEZNS1_25segmented_radix_sort_implIS3_Lb0EPKiPiPKlPlN2at6native12_GLOBAL__N_18offset_tEEE10hipError_tPvRmT1_PNSt15iterator_traitsISK_E10value_typeET2_T3_PNSL_ISQ_E10value_typeET4_jRbjT5_SW_jjP12ihipStream_tbEUlT_E0_NS1_11comp_targetILNS1_3genE8ELNS1_11target_archE1030ELNS1_3gpuE2ELNS1_3repE0EEENS1_60segmented_radix_sort_warp_sort_medium_config_static_selectorELNS0_4arch9wavefront6targetE0EEEvSK_.kd
    .uniform_work_group_size: 1
    .uses_dynamic_stack: false
    .vgpr_count:     0
    .vgpr_spill_count: 0
    .wavefront_size: 32
  - .args:
      - .offset:         0
        .size:           88
        .value_kind:     by_value
      - .offset:         88
        .size:           4
        .value_kind:     hidden_block_count_x
      - .offset:         92
        .size:           4
        .value_kind:     hidden_block_count_y
      - .offset:         96
        .size:           4
        .value_kind:     hidden_block_count_z
      - .offset:         100
        .size:           2
        .value_kind:     hidden_group_size_x
      - .offset:         102
        .size:           2
        .value_kind:     hidden_group_size_y
      - .offset:         104
        .size:           2
        .value_kind:     hidden_group_size_z
      - .offset:         106
        .size:           2
        .value_kind:     hidden_remainder_x
      - .offset:         108
        .size:           2
        .value_kind:     hidden_remainder_y
      - .offset:         110
        .size:           2
        .value_kind:     hidden_remainder_z
      - .offset:         128
        .size:           8
        .value_kind:     hidden_global_offset_x
      - .offset:         136
        .size:           8
        .value_kind:     hidden_global_offset_y
      - .offset:         144
        .size:           8
        .value_kind:     hidden_global_offset_z
      - .offset:         152
        .size:           2
        .value_kind:     hidden_grid_dims
      - .offset:         168
        .size:           8
        .value_kind:     hidden_hostcall_buffer
      - .offset:         176
        .size:           8
        .value_kind:     hidden_multigrid_sync_arg
      - .offset:         184
        .size:           8
        .value_kind:     hidden_heap_v1
      - .offset:         192
        .size:           8
        .value_kind:     hidden_default_queue
      - .offset:         200
        .size:           8
        .value_kind:     hidden_completion_action
      - .offset:         288
        .size:           8
        .value_kind:     hidden_queue_ptr
    .group_segment_fixed_size: 12288
    .kernarg_segment_align: 8
    .kernarg_segment_size: 344
    .language:       OpenCL C
    .language_version:
      - 2
      - 0
    .max_flat_workgroup_size: 256
    .name:           _ZN7rocprim17ROCPRIM_400000_NS6detail17trampoline_kernelINS0_14default_configENS1_36segmented_radix_sort_config_selectorIilEEZNS1_25segmented_radix_sort_implIS3_Lb0EPKiPiPKlPlN2at6native12_GLOBAL__N_18offset_tEEE10hipError_tPvRmT1_PNSt15iterator_traitsISK_E10value_typeET2_T3_PNSL_ISQ_E10value_typeET4_jRbjT5_SW_jjP12ihipStream_tbEUlT_E1_NS1_11comp_targetILNS1_3genE0ELNS1_11target_archE4294967295ELNS1_3gpuE0ELNS1_3repE0EEENS1_59segmented_radix_sort_warp_sort_small_config_static_selectorELNS0_4arch9wavefront6targetE0EEEvSK_
    .private_segment_fixed_size: 0
    .sgpr_count:     42
    .sgpr_spill_count: 0
    .symbol:         _ZN7rocprim17ROCPRIM_400000_NS6detail17trampoline_kernelINS0_14default_configENS1_36segmented_radix_sort_config_selectorIilEEZNS1_25segmented_radix_sort_implIS3_Lb0EPKiPiPKlPlN2at6native12_GLOBAL__N_18offset_tEEE10hipError_tPvRmT1_PNSt15iterator_traitsISK_E10value_typeET2_T3_PNSL_ISQ_E10value_typeET4_jRbjT5_SW_jjP12ihipStream_tbEUlT_E1_NS1_11comp_targetILNS1_3genE0ELNS1_11target_archE4294967295ELNS1_3gpuE0ELNS1_3repE0EEENS1_59segmented_radix_sort_warp_sort_small_config_static_selectorELNS0_4arch9wavefront6targetE0EEEvSK_.kd
    .uniform_work_group_size: 1
    .uses_dynamic_stack: false
    .vgpr_count:     54
    .vgpr_spill_count: 0
    .wavefront_size: 32
  - .args:
      - .offset:         0
        .size:           88
        .value_kind:     by_value
    .group_segment_fixed_size: 0
    .kernarg_segment_align: 8
    .kernarg_segment_size: 88
    .language:       OpenCL C
    .language_version:
      - 2
      - 0
    .max_flat_workgroup_size: 256
    .name:           _ZN7rocprim17ROCPRIM_400000_NS6detail17trampoline_kernelINS0_14default_configENS1_36segmented_radix_sort_config_selectorIilEEZNS1_25segmented_radix_sort_implIS3_Lb0EPKiPiPKlPlN2at6native12_GLOBAL__N_18offset_tEEE10hipError_tPvRmT1_PNSt15iterator_traitsISK_E10value_typeET2_T3_PNSL_ISQ_E10value_typeET4_jRbjT5_SW_jjP12ihipStream_tbEUlT_E1_NS1_11comp_targetILNS1_3genE5ELNS1_11target_archE942ELNS1_3gpuE9ELNS1_3repE0EEENS1_59segmented_radix_sort_warp_sort_small_config_static_selectorELNS0_4arch9wavefront6targetE0EEEvSK_
    .private_segment_fixed_size: 0
    .sgpr_count:     0
    .sgpr_spill_count: 0
    .symbol:         _ZN7rocprim17ROCPRIM_400000_NS6detail17trampoline_kernelINS0_14default_configENS1_36segmented_radix_sort_config_selectorIilEEZNS1_25segmented_radix_sort_implIS3_Lb0EPKiPiPKlPlN2at6native12_GLOBAL__N_18offset_tEEE10hipError_tPvRmT1_PNSt15iterator_traitsISK_E10value_typeET2_T3_PNSL_ISQ_E10value_typeET4_jRbjT5_SW_jjP12ihipStream_tbEUlT_E1_NS1_11comp_targetILNS1_3genE5ELNS1_11target_archE942ELNS1_3gpuE9ELNS1_3repE0EEENS1_59segmented_radix_sort_warp_sort_small_config_static_selectorELNS0_4arch9wavefront6targetE0EEEvSK_.kd
    .uniform_work_group_size: 1
    .uses_dynamic_stack: false
    .vgpr_count:     0
    .vgpr_spill_count: 0
    .wavefront_size: 32
  - .args:
      - .offset:         0
        .size:           88
        .value_kind:     by_value
    .group_segment_fixed_size: 0
    .kernarg_segment_align: 8
    .kernarg_segment_size: 88
    .language:       OpenCL C
    .language_version:
      - 2
      - 0
    .max_flat_workgroup_size: 256
    .name:           _ZN7rocprim17ROCPRIM_400000_NS6detail17trampoline_kernelINS0_14default_configENS1_36segmented_radix_sort_config_selectorIilEEZNS1_25segmented_radix_sort_implIS3_Lb0EPKiPiPKlPlN2at6native12_GLOBAL__N_18offset_tEEE10hipError_tPvRmT1_PNSt15iterator_traitsISK_E10value_typeET2_T3_PNSL_ISQ_E10value_typeET4_jRbjT5_SW_jjP12ihipStream_tbEUlT_E1_NS1_11comp_targetILNS1_3genE4ELNS1_11target_archE910ELNS1_3gpuE8ELNS1_3repE0EEENS1_59segmented_radix_sort_warp_sort_small_config_static_selectorELNS0_4arch9wavefront6targetE0EEEvSK_
    .private_segment_fixed_size: 0
    .sgpr_count:     0
    .sgpr_spill_count: 0
    .symbol:         _ZN7rocprim17ROCPRIM_400000_NS6detail17trampoline_kernelINS0_14default_configENS1_36segmented_radix_sort_config_selectorIilEEZNS1_25segmented_radix_sort_implIS3_Lb0EPKiPiPKlPlN2at6native12_GLOBAL__N_18offset_tEEE10hipError_tPvRmT1_PNSt15iterator_traitsISK_E10value_typeET2_T3_PNSL_ISQ_E10value_typeET4_jRbjT5_SW_jjP12ihipStream_tbEUlT_E1_NS1_11comp_targetILNS1_3genE4ELNS1_11target_archE910ELNS1_3gpuE8ELNS1_3repE0EEENS1_59segmented_radix_sort_warp_sort_small_config_static_selectorELNS0_4arch9wavefront6targetE0EEEvSK_.kd
    .uniform_work_group_size: 1
    .uses_dynamic_stack: false
    .vgpr_count:     0
    .vgpr_spill_count: 0
    .wavefront_size: 32
  - .args:
      - .offset:         0
        .size:           88
        .value_kind:     by_value
    .group_segment_fixed_size: 0
    .kernarg_segment_align: 8
    .kernarg_segment_size: 88
    .language:       OpenCL C
    .language_version:
      - 2
      - 0
    .max_flat_workgroup_size: 256
    .name:           _ZN7rocprim17ROCPRIM_400000_NS6detail17trampoline_kernelINS0_14default_configENS1_36segmented_radix_sort_config_selectorIilEEZNS1_25segmented_radix_sort_implIS3_Lb0EPKiPiPKlPlN2at6native12_GLOBAL__N_18offset_tEEE10hipError_tPvRmT1_PNSt15iterator_traitsISK_E10value_typeET2_T3_PNSL_ISQ_E10value_typeET4_jRbjT5_SW_jjP12ihipStream_tbEUlT_E1_NS1_11comp_targetILNS1_3genE3ELNS1_11target_archE908ELNS1_3gpuE7ELNS1_3repE0EEENS1_59segmented_radix_sort_warp_sort_small_config_static_selectorELNS0_4arch9wavefront6targetE0EEEvSK_
    .private_segment_fixed_size: 0
    .sgpr_count:     0
    .sgpr_spill_count: 0
    .symbol:         _ZN7rocprim17ROCPRIM_400000_NS6detail17trampoline_kernelINS0_14default_configENS1_36segmented_radix_sort_config_selectorIilEEZNS1_25segmented_radix_sort_implIS3_Lb0EPKiPiPKlPlN2at6native12_GLOBAL__N_18offset_tEEE10hipError_tPvRmT1_PNSt15iterator_traitsISK_E10value_typeET2_T3_PNSL_ISQ_E10value_typeET4_jRbjT5_SW_jjP12ihipStream_tbEUlT_E1_NS1_11comp_targetILNS1_3genE3ELNS1_11target_archE908ELNS1_3gpuE7ELNS1_3repE0EEENS1_59segmented_radix_sort_warp_sort_small_config_static_selectorELNS0_4arch9wavefront6targetE0EEEvSK_.kd
    .uniform_work_group_size: 1
    .uses_dynamic_stack: false
    .vgpr_count:     0
    .vgpr_spill_count: 0
    .wavefront_size: 32
  - .args:
      - .offset:         0
        .size:           88
        .value_kind:     by_value
    .group_segment_fixed_size: 0
    .kernarg_segment_align: 8
    .kernarg_segment_size: 88
    .language:       OpenCL C
    .language_version:
      - 2
      - 0
    .max_flat_workgroup_size: 256
    .name:           _ZN7rocprim17ROCPRIM_400000_NS6detail17trampoline_kernelINS0_14default_configENS1_36segmented_radix_sort_config_selectorIilEEZNS1_25segmented_radix_sort_implIS3_Lb0EPKiPiPKlPlN2at6native12_GLOBAL__N_18offset_tEEE10hipError_tPvRmT1_PNSt15iterator_traitsISK_E10value_typeET2_T3_PNSL_ISQ_E10value_typeET4_jRbjT5_SW_jjP12ihipStream_tbEUlT_E1_NS1_11comp_targetILNS1_3genE2ELNS1_11target_archE906ELNS1_3gpuE6ELNS1_3repE0EEENS1_59segmented_radix_sort_warp_sort_small_config_static_selectorELNS0_4arch9wavefront6targetE0EEEvSK_
    .private_segment_fixed_size: 0
    .sgpr_count:     0
    .sgpr_spill_count: 0
    .symbol:         _ZN7rocprim17ROCPRIM_400000_NS6detail17trampoline_kernelINS0_14default_configENS1_36segmented_radix_sort_config_selectorIilEEZNS1_25segmented_radix_sort_implIS3_Lb0EPKiPiPKlPlN2at6native12_GLOBAL__N_18offset_tEEE10hipError_tPvRmT1_PNSt15iterator_traitsISK_E10value_typeET2_T3_PNSL_ISQ_E10value_typeET4_jRbjT5_SW_jjP12ihipStream_tbEUlT_E1_NS1_11comp_targetILNS1_3genE2ELNS1_11target_archE906ELNS1_3gpuE6ELNS1_3repE0EEENS1_59segmented_radix_sort_warp_sort_small_config_static_selectorELNS0_4arch9wavefront6targetE0EEEvSK_.kd
    .uniform_work_group_size: 1
    .uses_dynamic_stack: false
    .vgpr_count:     0
    .vgpr_spill_count: 0
    .wavefront_size: 32
  - .args:
      - .offset:         0
        .size:           88
        .value_kind:     by_value
    .group_segment_fixed_size: 0
    .kernarg_segment_align: 8
    .kernarg_segment_size: 88
    .language:       OpenCL C
    .language_version:
      - 2
      - 0
    .max_flat_workgroup_size: 256
    .name:           _ZN7rocprim17ROCPRIM_400000_NS6detail17trampoline_kernelINS0_14default_configENS1_36segmented_radix_sort_config_selectorIilEEZNS1_25segmented_radix_sort_implIS3_Lb0EPKiPiPKlPlN2at6native12_GLOBAL__N_18offset_tEEE10hipError_tPvRmT1_PNSt15iterator_traitsISK_E10value_typeET2_T3_PNSL_ISQ_E10value_typeET4_jRbjT5_SW_jjP12ihipStream_tbEUlT_E1_NS1_11comp_targetILNS1_3genE10ELNS1_11target_archE1201ELNS1_3gpuE5ELNS1_3repE0EEENS1_59segmented_radix_sort_warp_sort_small_config_static_selectorELNS0_4arch9wavefront6targetE0EEEvSK_
    .private_segment_fixed_size: 0
    .sgpr_count:     0
    .sgpr_spill_count: 0
    .symbol:         _ZN7rocprim17ROCPRIM_400000_NS6detail17trampoline_kernelINS0_14default_configENS1_36segmented_radix_sort_config_selectorIilEEZNS1_25segmented_radix_sort_implIS3_Lb0EPKiPiPKlPlN2at6native12_GLOBAL__N_18offset_tEEE10hipError_tPvRmT1_PNSt15iterator_traitsISK_E10value_typeET2_T3_PNSL_ISQ_E10value_typeET4_jRbjT5_SW_jjP12ihipStream_tbEUlT_E1_NS1_11comp_targetILNS1_3genE10ELNS1_11target_archE1201ELNS1_3gpuE5ELNS1_3repE0EEENS1_59segmented_radix_sort_warp_sort_small_config_static_selectorELNS0_4arch9wavefront6targetE0EEEvSK_.kd
    .uniform_work_group_size: 1
    .uses_dynamic_stack: false
    .vgpr_count:     0
    .vgpr_spill_count: 0
    .wavefront_size: 32
  - .args:
      - .offset:         0
        .size:           88
        .value_kind:     by_value
    .group_segment_fixed_size: 0
    .kernarg_segment_align: 8
    .kernarg_segment_size: 88
    .language:       OpenCL C
    .language_version:
      - 2
      - 0
    .max_flat_workgroup_size: 256
    .name:           _ZN7rocprim17ROCPRIM_400000_NS6detail17trampoline_kernelINS0_14default_configENS1_36segmented_radix_sort_config_selectorIilEEZNS1_25segmented_radix_sort_implIS3_Lb0EPKiPiPKlPlN2at6native12_GLOBAL__N_18offset_tEEE10hipError_tPvRmT1_PNSt15iterator_traitsISK_E10value_typeET2_T3_PNSL_ISQ_E10value_typeET4_jRbjT5_SW_jjP12ihipStream_tbEUlT_E1_NS1_11comp_targetILNS1_3genE10ELNS1_11target_archE1200ELNS1_3gpuE4ELNS1_3repE0EEENS1_59segmented_radix_sort_warp_sort_small_config_static_selectorELNS0_4arch9wavefront6targetE0EEEvSK_
    .private_segment_fixed_size: 0
    .sgpr_count:     0
    .sgpr_spill_count: 0
    .symbol:         _ZN7rocprim17ROCPRIM_400000_NS6detail17trampoline_kernelINS0_14default_configENS1_36segmented_radix_sort_config_selectorIilEEZNS1_25segmented_radix_sort_implIS3_Lb0EPKiPiPKlPlN2at6native12_GLOBAL__N_18offset_tEEE10hipError_tPvRmT1_PNSt15iterator_traitsISK_E10value_typeET2_T3_PNSL_ISQ_E10value_typeET4_jRbjT5_SW_jjP12ihipStream_tbEUlT_E1_NS1_11comp_targetILNS1_3genE10ELNS1_11target_archE1200ELNS1_3gpuE4ELNS1_3repE0EEENS1_59segmented_radix_sort_warp_sort_small_config_static_selectorELNS0_4arch9wavefront6targetE0EEEvSK_.kd
    .uniform_work_group_size: 1
    .uses_dynamic_stack: false
    .vgpr_count:     0
    .vgpr_spill_count: 0
    .wavefront_size: 32
  - .args:
      - .offset:         0
        .size:           88
        .value_kind:     by_value
    .group_segment_fixed_size: 0
    .kernarg_segment_align: 8
    .kernarg_segment_size: 88
    .language:       OpenCL C
    .language_version:
      - 2
      - 0
    .max_flat_workgroup_size: 256
    .name:           _ZN7rocprim17ROCPRIM_400000_NS6detail17trampoline_kernelINS0_14default_configENS1_36segmented_radix_sort_config_selectorIilEEZNS1_25segmented_radix_sort_implIS3_Lb0EPKiPiPKlPlN2at6native12_GLOBAL__N_18offset_tEEE10hipError_tPvRmT1_PNSt15iterator_traitsISK_E10value_typeET2_T3_PNSL_ISQ_E10value_typeET4_jRbjT5_SW_jjP12ihipStream_tbEUlT_E1_NS1_11comp_targetILNS1_3genE9ELNS1_11target_archE1100ELNS1_3gpuE3ELNS1_3repE0EEENS1_59segmented_radix_sort_warp_sort_small_config_static_selectorELNS0_4arch9wavefront6targetE0EEEvSK_
    .private_segment_fixed_size: 0
    .sgpr_count:     0
    .sgpr_spill_count: 0
    .symbol:         _ZN7rocprim17ROCPRIM_400000_NS6detail17trampoline_kernelINS0_14default_configENS1_36segmented_radix_sort_config_selectorIilEEZNS1_25segmented_radix_sort_implIS3_Lb0EPKiPiPKlPlN2at6native12_GLOBAL__N_18offset_tEEE10hipError_tPvRmT1_PNSt15iterator_traitsISK_E10value_typeET2_T3_PNSL_ISQ_E10value_typeET4_jRbjT5_SW_jjP12ihipStream_tbEUlT_E1_NS1_11comp_targetILNS1_3genE9ELNS1_11target_archE1100ELNS1_3gpuE3ELNS1_3repE0EEENS1_59segmented_radix_sort_warp_sort_small_config_static_selectorELNS0_4arch9wavefront6targetE0EEEvSK_.kd
    .uniform_work_group_size: 1
    .uses_dynamic_stack: false
    .vgpr_count:     0
    .vgpr_spill_count: 0
    .wavefront_size: 32
  - .args:
      - .offset:         0
        .size:           88
        .value_kind:     by_value
    .group_segment_fixed_size: 0
    .kernarg_segment_align: 8
    .kernarg_segment_size: 88
    .language:       OpenCL C
    .language_version:
      - 2
      - 0
    .max_flat_workgroup_size: 256
    .name:           _ZN7rocprim17ROCPRIM_400000_NS6detail17trampoline_kernelINS0_14default_configENS1_36segmented_radix_sort_config_selectorIilEEZNS1_25segmented_radix_sort_implIS3_Lb0EPKiPiPKlPlN2at6native12_GLOBAL__N_18offset_tEEE10hipError_tPvRmT1_PNSt15iterator_traitsISK_E10value_typeET2_T3_PNSL_ISQ_E10value_typeET4_jRbjT5_SW_jjP12ihipStream_tbEUlT_E1_NS1_11comp_targetILNS1_3genE8ELNS1_11target_archE1030ELNS1_3gpuE2ELNS1_3repE0EEENS1_59segmented_radix_sort_warp_sort_small_config_static_selectorELNS0_4arch9wavefront6targetE0EEEvSK_
    .private_segment_fixed_size: 0
    .sgpr_count:     0
    .sgpr_spill_count: 0
    .symbol:         _ZN7rocprim17ROCPRIM_400000_NS6detail17trampoline_kernelINS0_14default_configENS1_36segmented_radix_sort_config_selectorIilEEZNS1_25segmented_radix_sort_implIS3_Lb0EPKiPiPKlPlN2at6native12_GLOBAL__N_18offset_tEEE10hipError_tPvRmT1_PNSt15iterator_traitsISK_E10value_typeET2_T3_PNSL_ISQ_E10value_typeET4_jRbjT5_SW_jjP12ihipStream_tbEUlT_E1_NS1_11comp_targetILNS1_3genE8ELNS1_11target_archE1030ELNS1_3gpuE2ELNS1_3repE0EEENS1_59segmented_radix_sort_warp_sort_small_config_static_selectorELNS0_4arch9wavefront6targetE0EEEvSK_.kd
    .uniform_work_group_size: 1
    .uses_dynamic_stack: false
    .vgpr_count:     0
    .vgpr_spill_count: 0
    .wavefront_size: 32
  - .args:
      - .offset:         0
        .size:           80
        .value_kind:     by_value
      - .offset:         80
        .size:           4
        .value_kind:     hidden_block_count_x
      - .offset:         84
        .size:           4
        .value_kind:     hidden_block_count_y
      - .offset:         88
        .size:           4
        .value_kind:     hidden_block_count_z
      - .offset:         92
        .size:           2
        .value_kind:     hidden_group_size_x
      - .offset:         94
        .size:           2
        .value_kind:     hidden_group_size_y
      - .offset:         96
        .size:           2
        .value_kind:     hidden_group_size_z
      - .offset:         98
        .size:           2
        .value_kind:     hidden_remainder_x
      - .offset:         100
        .size:           2
        .value_kind:     hidden_remainder_y
      - .offset:         102
        .size:           2
        .value_kind:     hidden_remainder_z
      - .offset:         120
        .size:           8
        .value_kind:     hidden_global_offset_x
      - .offset:         128
        .size:           8
        .value_kind:     hidden_global_offset_y
      - .offset:         136
        .size:           8
        .value_kind:     hidden_global_offset_z
      - .offset:         144
        .size:           2
        .value_kind:     hidden_grid_dims
      - .offset:         160
        .size:           8
        .value_kind:     hidden_hostcall_buffer
      - .offset:         168
        .size:           8
        .value_kind:     hidden_multigrid_sync_arg
      - .offset:         176
        .size:           8
        .value_kind:     hidden_heap_v1
      - .offset:         184
        .size:           8
        .value_kind:     hidden_default_queue
      - .offset:         192
        .size:           8
        .value_kind:     hidden_completion_action
      - .offset:         280
        .size:           8
        .value_kind:     hidden_queue_ptr
    .group_segment_fixed_size: 33824
    .kernarg_segment_align: 8
    .kernarg_segment_size: 336
    .language:       OpenCL C
    .language_version:
      - 2
      - 0
    .max_flat_workgroup_size: 256
    .name:           _ZN7rocprim17ROCPRIM_400000_NS6detail17trampoline_kernelINS0_14default_configENS1_36segmented_radix_sort_config_selectorIilEEZNS1_25segmented_radix_sort_implIS3_Lb0EPKiPiPKlPlN2at6native12_GLOBAL__N_18offset_tEEE10hipError_tPvRmT1_PNSt15iterator_traitsISK_E10value_typeET2_T3_PNSL_ISQ_E10value_typeET4_jRbjT5_SW_jjP12ihipStream_tbEUlT_E2_NS1_11comp_targetILNS1_3genE0ELNS1_11target_archE4294967295ELNS1_3gpuE0ELNS1_3repE0EEENS1_30default_config_static_selectorELNS0_4arch9wavefront6targetE0EEEvSK_
    .private_segment_fixed_size: 0
    .sgpr_count:     60
    .sgpr_spill_count: 0
    .symbol:         _ZN7rocprim17ROCPRIM_400000_NS6detail17trampoline_kernelINS0_14default_configENS1_36segmented_radix_sort_config_selectorIilEEZNS1_25segmented_radix_sort_implIS3_Lb0EPKiPiPKlPlN2at6native12_GLOBAL__N_18offset_tEEE10hipError_tPvRmT1_PNSt15iterator_traitsISK_E10value_typeET2_T3_PNSL_ISQ_E10value_typeET4_jRbjT5_SW_jjP12ihipStream_tbEUlT_E2_NS1_11comp_targetILNS1_3genE0ELNS1_11target_archE4294967295ELNS1_3gpuE0ELNS1_3repE0EEENS1_30default_config_static_selectorELNS0_4arch9wavefront6targetE0EEEvSK_.kd
    .uniform_work_group_size: 1
    .uses_dynamic_stack: false
    .vgpr_count:     287
    .vgpr_spill_count: 0
    .wavefront_size: 32
  - .args:
      - .offset:         0
        .size:           80
        .value_kind:     by_value
    .group_segment_fixed_size: 0
    .kernarg_segment_align: 8
    .kernarg_segment_size: 80
    .language:       OpenCL C
    .language_version:
      - 2
      - 0
    .max_flat_workgroup_size: 256
    .name:           _ZN7rocprim17ROCPRIM_400000_NS6detail17trampoline_kernelINS0_14default_configENS1_36segmented_radix_sort_config_selectorIilEEZNS1_25segmented_radix_sort_implIS3_Lb0EPKiPiPKlPlN2at6native12_GLOBAL__N_18offset_tEEE10hipError_tPvRmT1_PNSt15iterator_traitsISK_E10value_typeET2_T3_PNSL_ISQ_E10value_typeET4_jRbjT5_SW_jjP12ihipStream_tbEUlT_E2_NS1_11comp_targetILNS1_3genE5ELNS1_11target_archE942ELNS1_3gpuE9ELNS1_3repE0EEENS1_30default_config_static_selectorELNS0_4arch9wavefront6targetE0EEEvSK_
    .private_segment_fixed_size: 0
    .sgpr_count:     0
    .sgpr_spill_count: 0
    .symbol:         _ZN7rocprim17ROCPRIM_400000_NS6detail17trampoline_kernelINS0_14default_configENS1_36segmented_radix_sort_config_selectorIilEEZNS1_25segmented_radix_sort_implIS3_Lb0EPKiPiPKlPlN2at6native12_GLOBAL__N_18offset_tEEE10hipError_tPvRmT1_PNSt15iterator_traitsISK_E10value_typeET2_T3_PNSL_ISQ_E10value_typeET4_jRbjT5_SW_jjP12ihipStream_tbEUlT_E2_NS1_11comp_targetILNS1_3genE5ELNS1_11target_archE942ELNS1_3gpuE9ELNS1_3repE0EEENS1_30default_config_static_selectorELNS0_4arch9wavefront6targetE0EEEvSK_.kd
    .uniform_work_group_size: 1
    .uses_dynamic_stack: false
    .vgpr_count:     0
    .vgpr_spill_count: 0
    .wavefront_size: 32
  - .args:
      - .offset:         0
        .size:           80
        .value_kind:     by_value
    .group_segment_fixed_size: 0
    .kernarg_segment_align: 8
    .kernarg_segment_size: 80
    .language:       OpenCL C
    .language_version:
      - 2
      - 0
    .max_flat_workgroup_size: 256
    .name:           _ZN7rocprim17ROCPRIM_400000_NS6detail17trampoline_kernelINS0_14default_configENS1_36segmented_radix_sort_config_selectorIilEEZNS1_25segmented_radix_sort_implIS3_Lb0EPKiPiPKlPlN2at6native12_GLOBAL__N_18offset_tEEE10hipError_tPvRmT1_PNSt15iterator_traitsISK_E10value_typeET2_T3_PNSL_ISQ_E10value_typeET4_jRbjT5_SW_jjP12ihipStream_tbEUlT_E2_NS1_11comp_targetILNS1_3genE4ELNS1_11target_archE910ELNS1_3gpuE8ELNS1_3repE0EEENS1_30default_config_static_selectorELNS0_4arch9wavefront6targetE0EEEvSK_
    .private_segment_fixed_size: 0
    .sgpr_count:     0
    .sgpr_spill_count: 0
    .symbol:         _ZN7rocprim17ROCPRIM_400000_NS6detail17trampoline_kernelINS0_14default_configENS1_36segmented_radix_sort_config_selectorIilEEZNS1_25segmented_radix_sort_implIS3_Lb0EPKiPiPKlPlN2at6native12_GLOBAL__N_18offset_tEEE10hipError_tPvRmT1_PNSt15iterator_traitsISK_E10value_typeET2_T3_PNSL_ISQ_E10value_typeET4_jRbjT5_SW_jjP12ihipStream_tbEUlT_E2_NS1_11comp_targetILNS1_3genE4ELNS1_11target_archE910ELNS1_3gpuE8ELNS1_3repE0EEENS1_30default_config_static_selectorELNS0_4arch9wavefront6targetE0EEEvSK_.kd
    .uniform_work_group_size: 1
    .uses_dynamic_stack: false
    .vgpr_count:     0
    .vgpr_spill_count: 0
    .wavefront_size: 32
  - .args:
      - .offset:         0
        .size:           80
        .value_kind:     by_value
    .group_segment_fixed_size: 0
    .kernarg_segment_align: 8
    .kernarg_segment_size: 80
    .language:       OpenCL C
    .language_version:
      - 2
      - 0
    .max_flat_workgroup_size: 256
    .name:           _ZN7rocprim17ROCPRIM_400000_NS6detail17trampoline_kernelINS0_14default_configENS1_36segmented_radix_sort_config_selectorIilEEZNS1_25segmented_radix_sort_implIS3_Lb0EPKiPiPKlPlN2at6native12_GLOBAL__N_18offset_tEEE10hipError_tPvRmT1_PNSt15iterator_traitsISK_E10value_typeET2_T3_PNSL_ISQ_E10value_typeET4_jRbjT5_SW_jjP12ihipStream_tbEUlT_E2_NS1_11comp_targetILNS1_3genE3ELNS1_11target_archE908ELNS1_3gpuE7ELNS1_3repE0EEENS1_30default_config_static_selectorELNS0_4arch9wavefront6targetE0EEEvSK_
    .private_segment_fixed_size: 0
    .sgpr_count:     0
    .sgpr_spill_count: 0
    .symbol:         _ZN7rocprim17ROCPRIM_400000_NS6detail17trampoline_kernelINS0_14default_configENS1_36segmented_radix_sort_config_selectorIilEEZNS1_25segmented_radix_sort_implIS3_Lb0EPKiPiPKlPlN2at6native12_GLOBAL__N_18offset_tEEE10hipError_tPvRmT1_PNSt15iterator_traitsISK_E10value_typeET2_T3_PNSL_ISQ_E10value_typeET4_jRbjT5_SW_jjP12ihipStream_tbEUlT_E2_NS1_11comp_targetILNS1_3genE3ELNS1_11target_archE908ELNS1_3gpuE7ELNS1_3repE0EEENS1_30default_config_static_selectorELNS0_4arch9wavefront6targetE0EEEvSK_.kd
    .uniform_work_group_size: 1
    .uses_dynamic_stack: false
    .vgpr_count:     0
    .vgpr_spill_count: 0
    .wavefront_size: 32
  - .args:
      - .offset:         0
        .size:           80
        .value_kind:     by_value
    .group_segment_fixed_size: 0
    .kernarg_segment_align: 8
    .kernarg_segment_size: 80
    .language:       OpenCL C
    .language_version:
      - 2
      - 0
    .max_flat_workgroup_size: 256
    .name:           _ZN7rocprim17ROCPRIM_400000_NS6detail17trampoline_kernelINS0_14default_configENS1_36segmented_radix_sort_config_selectorIilEEZNS1_25segmented_radix_sort_implIS3_Lb0EPKiPiPKlPlN2at6native12_GLOBAL__N_18offset_tEEE10hipError_tPvRmT1_PNSt15iterator_traitsISK_E10value_typeET2_T3_PNSL_ISQ_E10value_typeET4_jRbjT5_SW_jjP12ihipStream_tbEUlT_E2_NS1_11comp_targetILNS1_3genE2ELNS1_11target_archE906ELNS1_3gpuE6ELNS1_3repE0EEENS1_30default_config_static_selectorELNS0_4arch9wavefront6targetE0EEEvSK_
    .private_segment_fixed_size: 0
    .sgpr_count:     0
    .sgpr_spill_count: 0
    .symbol:         _ZN7rocprim17ROCPRIM_400000_NS6detail17trampoline_kernelINS0_14default_configENS1_36segmented_radix_sort_config_selectorIilEEZNS1_25segmented_radix_sort_implIS3_Lb0EPKiPiPKlPlN2at6native12_GLOBAL__N_18offset_tEEE10hipError_tPvRmT1_PNSt15iterator_traitsISK_E10value_typeET2_T3_PNSL_ISQ_E10value_typeET4_jRbjT5_SW_jjP12ihipStream_tbEUlT_E2_NS1_11comp_targetILNS1_3genE2ELNS1_11target_archE906ELNS1_3gpuE6ELNS1_3repE0EEENS1_30default_config_static_selectorELNS0_4arch9wavefront6targetE0EEEvSK_.kd
    .uniform_work_group_size: 1
    .uses_dynamic_stack: false
    .vgpr_count:     0
    .vgpr_spill_count: 0
    .wavefront_size: 32
  - .args:
      - .offset:         0
        .size:           80
        .value_kind:     by_value
    .group_segment_fixed_size: 0
    .kernarg_segment_align: 8
    .kernarg_segment_size: 80
    .language:       OpenCL C
    .language_version:
      - 2
      - 0
    .max_flat_workgroup_size: 256
    .name:           _ZN7rocprim17ROCPRIM_400000_NS6detail17trampoline_kernelINS0_14default_configENS1_36segmented_radix_sort_config_selectorIilEEZNS1_25segmented_radix_sort_implIS3_Lb0EPKiPiPKlPlN2at6native12_GLOBAL__N_18offset_tEEE10hipError_tPvRmT1_PNSt15iterator_traitsISK_E10value_typeET2_T3_PNSL_ISQ_E10value_typeET4_jRbjT5_SW_jjP12ihipStream_tbEUlT_E2_NS1_11comp_targetILNS1_3genE10ELNS1_11target_archE1201ELNS1_3gpuE5ELNS1_3repE0EEENS1_30default_config_static_selectorELNS0_4arch9wavefront6targetE0EEEvSK_
    .private_segment_fixed_size: 0
    .sgpr_count:     0
    .sgpr_spill_count: 0
    .symbol:         _ZN7rocprim17ROCPRIM_400000_NS6detail17trampoline_kernelINS0_14default_configENS1_36segmented_radix_sort_config_selectorIilEEZNS1_25segmented_radix_sort_implIS3_Lb0EPKiPiPKlPlN2at6native12_GLOBAL__N_18offset_tEEE10hipError_tPvRmT1_PNSt15iterator_traitsISK_E10value_typeET2_T3_PNSL_ISQ_E10value_typeET4_jRbjT5_SW_jjP12ihipStream_tbEUlT_E2_NS1_11comp_targetILNS1_3genE10ELNS1_11target_archE1201ELNS1_3gpuE5ELNS1_3repE0EEENS1_30default_config_static_selectorELNS0_4arch9wavefront6targetE0EEEvSK_.kd
    .uniform_work_group_size: 1
    .uses_dynamic_stack: false
    .vgpr_count:     0
    .vgpr_spill_count: 0
    .wavefront_size: 32
  - .args:
      - .offset:         0
        .size:           80
        .value_kind:     by_value
    .group_segment_fixed_size: 0
    .kernarg_segment_align: 8
    .kernarg_segment_size: 80
    .language:       OpenCL C
    .language_version:
      - 2
      - 0
    .max_flat_workgroup_size: 128
    .name:           _ZN7rocprim17ROCPRIM_400000_NS6detail17trampoline_kernelINS0_14default_configENS1_36segmented_radix_sort_config_selectorIilEEZNS1_25segmented_radix_sort_implIS3_Lb0EPKiPiPKlPlN2at6native12_GLOBAL__N_18offset_tEEE10hipError_tPvRmT1_PNSt15iterator_traitsISK_E10value_typeET2_T3_PNSL_ISQ_E10value_typeET4_jRbjT5_SW_jjP12ihipStream_tbEUlT_E2_NS1_11comp_targetILNS1_3genE10ELNS1_11target_archE1200ELNS1_3gpuE4ELNS1_3repE0EEENS1_30default_config_static_selectorELNS0_4arch9wavefront6targetE0EEEvSK_
    .private_segment_fixed_size: 0
    .sgpr_count:     0
    .sgpr_spill_count: 0
    .symbol:         _ZN7rocprim17ROCPRIM_400000_NS6detail17trampoline_kernelINS0_14default_configENS1_36segmented_radix_sort_config_selectorIilEEZNS1_25segmented_radix_sort_implIS3_Lb0EPKiPiPKlPlN2at6native12_GLOBAL__N_18offset_tEEE10hipError_tPvRmT1_PNSt15iterator_traitsISK_E10value_typeET2_T3_PNSL_ISQ_E10value_typeET4_jRbjT5_SW_jjP12ihipStream_tbEUlT_E2_NS1_11comp_targetILNS1_3genE10ELNS1_11target_archE1200ELNS1_3gpuE4ELNS1_3repE0EEENS1_30default_config_static_selectorELNS0_4arch9wavefront6targetE0EEEvSK_.kd
    .uniform_work_group_size: 1
    .uses_dynamic_stack: false
    .vgpr_count:     0
    .vgpr_spill_count: 0
    .wavefront_size: 32
  - .args:
      - .offset:         0
        .size:           80
        .value_kind:     by_value
    .group_segment_fixed_size: 0
    .kernarg_segment_align: 8
    .kernarg_segment_size: 80
    .language:       OpenCL C
    .language_version:
      - 2
      - 0
    .max_flat_workgroup_size: 256
    .name:           _ZN7rocprim17ROCPRIM_400000_NS6detail17trampoline_kernelINS0_14default_configENS1_36segmented_radix_sort_config_selectorIilEEZNS1_25segmented_radix_sort_implIS3_Lb0EPKiPiPKlPlN2at6native12_GLOBAL__N_18offset_tEEE10hipError_tPvRmT1_PNSt15iterator_traitsISK_E10value_typeET2_T3_PNSL_ISQ_E10value_typeET4_jRbjT5_SW_jjP12ihipStream_tbEUlT_E2_NS1_11comp_targetILNS1_3genE9ELNS1_11target_archE1100ELNS1_3gpuE3ELNS1_3repE0EEENS1_30default_config_static_selectorELNS0_4arch9wavefront6targetE0EEEvSK_
    .private_segment_fixed_size: 0
    .sgpr_count:     0
    .sgpr_spill_count: 0
    .symbol:         _ZN7rocprim17ROCPRIM_400000_NS6detail17trampoline_kernelINS0_14default_configENS1_36segmented_radix_sort_config_selectorIilEEZNS1_25segmented_radix_sort_implIS3_Lb0EPKiPiPKlPlN2at6native12_GLOBAL__N_18offset_tEEE10hipError_tPvRmT1_PNSt15iterator_traitsISK_E10value_typeET2_T3_PNSL_ISQ_E10value_typeET4_jRbjT5_SW_jjP12ihipStream_tbEUlT_E2_NS1_11comp_targetILNS1_3genE9ELNS1_11target_archE1100ELNS1_3gpuE3ELNS1_3repE0EEENS1_30default_config_static_selectorELNS0_4arch9wavefront6targetE0EEEvSK_.kd
    .uniform_work_group_size: 1
    .uses_dynamic_stack: false
    .vgpr_count:     0
    .vgpr_spill_count: 0
    .wavefront_size: 32
  - .args:
      - .offset:         0
        .size:           80
        .value_kind:     by_value
    .group_segment_fixed_size: 0
    .kernarg_segment_align: 8
    .kernarg_segment_size: 80
    .language:       OpenCL C
    .language_version:
      - 2
      - 0
    .max_flat_workgroup_size: 256
    .name:           _ZN7rocprim17ROCPRIM_400000_NS6detail17trampoline_kernelINS0_14default_configENS1_36segmented_radix_sort_config_selectorIilEEZNS1_25segmented_radix_sort_implIS3_Lb0EPKiPiPKlPlN2at6native12_GLOBAL__N_18offset_tEEE10hipError_tPvRmT1_PNSt15iterator_traitsISK_E10value_typeET2_T3_PNSL_ISQ_E10value_typeET4_jRbjT5_SW_jjP12ihipStream_tbEUlT_E2_NS1_11comp_targetILNS1_3genE8ELNS1_11target_archE1030ELNS1_3gpuE2ELNS1_3repE0EEENS1_30default_config_static_selectorELNS0_4arch9wavefront6targetE0EEEvSK_
    .private_segment_fixed_size: 0
    .sgpr_count:     0
    .sgpr_spill_count: 0
    .symbol:         _ZN7rocprim17ROCPRIM_400000_NS6detail17trampoline_kernelINS0_14default_configENS1_36segmented_radix_sort_config_selectorIilEEZNS1_25segmented_radix_sort_implIS3_Lb0EPKiPiPKlPlN2at6native12_GLOBAL__N_18offset_tEEE10hipError_tPvRmT1_PNSt15iterator_traitsISK_E10value_typeET2_T3_PNSL_ISQ_E10value_typeET4_jRbjT5_SW_jjP12ihipStream_tbEUlT_E2_NS1_11comp_targetILNS1_3genE8ELNS1_11target_archE1030ELNS1_3gpuE2ELNS1_3repE0EEENS1_30default_config_static_selectorELNS0_4arch9wavefront6targetE0EEEvSK_.kd
    .uniform_work_group_size: 1
    .uses_dynamic_stack: false
    .vgpr_count:     0
    .vgpr_spill_count: 0
    .wavefront_size: 32
  - .args:
      - .address_space:  global
        .offset:         0
        .size:           8
        .value_kind:     global_buffer
      - .address_space:  global
        .offset:         8
        .size:           8
        .value_kind:     global_buffer
      - .address_space:  global
        .offset:         16
        .size:           8
        .value_kind:     global_buffer
      - .address_space:  global
        .offset:         24
        .size:           8
        .value_kind:     global_buffer
      - .offset:         32
        .size:           4
        .value_kind:     by_value
      - .offset:         36
        .size:           4
        .value_kind:     by_value
      - .offset:         40
        .size:           4
        .value_kind:     hidden_block_count_x
      - .offset:         44
        .size:           4
        .value_kind:     hidden_block_count_y
      - .offset:         48
        .size:           4
        .value_kind:     hidden_block_count_z
      - .offset:         52
        .size:           2
        .value_kind:     hidden_group_size_x
      - .offset:         54
        .size:           2
        .value_kind:     hidden_group_size_y
      - .offset:         56
        .size:           2
        .value_kind:     hidden_group_size_z
      - .offset:         58
        .size:           2
        .value_kind:     hidden_remainder_x
      - .offset:         60
        .size:           2
        .value_kind:     hidden_remainder_y
      - .offset:         62
        .size:           2
        .value_kind:     hidden_remainder_z
      - .offset:         80
        .size:           8
        .value_kind:     hidden_global_offset_x
      - .offset:         88
        .size:           8
        .value_kind:     hidden_global_offset_y
      - .offset:         96
        .size:           8
        .value_kind:     hidden_global_offset_z
      - .offset:         104
        .size:           2
        .value_kind:     hidden_grid_dims
    .group_segment_fixed_size: 0
    .kernarg_segment_align: 8
    .kernarg_segment_size: 296
    .language:       OpenCL C
    .language_version:
      - 2
      - 0
    .max_flat_workgroup_size: 1024
    .name:           _ZN2at6native12_GLOBAL__N_123sort_postprocess_kernelIlEEvPKT_PS3_PlPK15HIP_vector_typeIiLj2EEii
    .private_segment_fixed_size: 0
    .sgpr_count:     24
    .sgpr_spill_count: 0
    .symbol:         _ZN2at6native12_GLOBAL__N_123sort_postprocess_kernelIlEEvPKT_PS3_PlPK15HIP_vector_typeIiLj2EEii.kd
    .uniform_work_group_size: 1
    .uses_dynamic_stack: false
    .vgpr_count:     14
    .vgpr_spill_count: 0
    .wavefront_size: 32
  - .args:
      - .offset:         0
        .size:           176
        .value_kind:     by_value
    .group_segment_fixed_size: 13328
    .kernarg_segment_align: 8
    .kernarg_segment_size: 176
    .language:       OpenCL C
    .language_version:
      - 2
      - 0
    .max_flat_workgroup_size: 256
    .name:           _ZN7rocprim17ROCPRIM_400000_NS6detail17trampoline_kernelINS0_13select_configILj256ELj13ELNS0_17block_load_methodE3ELS4_3ELS4_3ELNS0_20block_scan_algorithmE0ELj4294967295EEENS1_25partition_config_selectorILNS1_17partition_subalgoE4EjNS0_10empty_typeEbEEZZNS1_14partition_implILS8_4ELb0ES6_15HIP_vector_typeIjLj2EENS0_17counting_iteratorIjlEEPS9_SG_NS0_5tupleIJPjSI_NS0_16reverse_iteratorISI_EEEEENSH_IJSG_SG_SG_EEES9_SI_JZNS1_25segmented_radix_sort_implINS0_14default_configELb1EPKlPlSQ_SR_N2at6native12_GLOBAL__N_18offset_tEEE10hipError_tPvRmT1_PNSt15iterator_traitsISZ_E10value_typeET2_T3_PNS10_IS15_E10value_typeET4_jRbjT5_S1B_jjP12ihipStream_tbEUljE_ZNSN_ISO_Lb1ESQ_SR_SQ_SR_SV_EESW_SX_SY_SZ_S13_S14_S15_S18_S19_jS1A_jS1B_S1B_jjS1D_bEUljE0_EEESW_SX_SY_S15_S19_S1B_T6_T7_T9_mT8_S1D_bDpT10_ENKUlT_T0_E_clISt17integral_constantIbLb0EES1R_EEDaS1M_S1N_EUlS1M_E_NS1_11comp_targetILNS1_3genE0ELNS1_11target_archE4294967295ELNS1_3gpuE0ELNS1_3repE0EEENS1_30default_config_static_selectorELNS0_4arch9wavefront6targetE0EEEvSZ_
    .private_segment_fixed_size: 0
    .sgpr_count:     61
    .sgpr_spill_count: 0
    .symbol:         _ZN7rocprim17ROCPRIM_400000_NS6detail17trampoline_kernelINS0_13select_configILj256ELj13ELNS0_17block_load_methodE3ELS4_3ELS4_3ELNS0_20block_scan_algorithmE0ELj4294967295EEENS1_25partition_config_selectorILNS1_17partition_subalgoE4EjNS0_10empty_typeEbEEZZNS1_14partition_implILS8_4ELb0ES6_15HIP_vector_typeIjLj2EENS0_17counting_iteratorIjlEEPS9_SG_NS0_5tupleIJPjSI_NS0_16reverse_iteratorISI_EEEEENSH_IJSG_SG_SG_EEES9_SI_JZNS1_25segmented_radix_sort_implINS0_14default_configELb1EPKlPlSQ_SR_N2at6native12_GLOBAL__N_18offset_tEEE10hipError_tPvRmT1_PNSt15iterator_traitsISZ_E10value_typeET2_T3_PNS10_IS15_E10value_typeET4_jRbjT5_S1B_jjP12ihipStream_tbEUljE_ZNSN_ISO_Lb1ESQ_SR_SQ_SR_SV_EESW_SX_SY_SZ_S13_S14_S15_S18_S19_jS1A_jS1B_S1B_jjS1D_bEUljE0_EEESW_SX_SY_S15_S19_S1B_T6_T7_T9_mT8_S1D_bDpT10_ENKUlT_T0_E_clISt17integral_constantIbLb0EES1R_EEDaS1M_S1N_EUlS1M_E_NS1_11comp_targetILNS1_3genE0ELNS1_11target_archE4294967295ELNS1_3gpuE0ELNS1_3repE0EEENS1_30default_config_static_selectorELNS0_4arch9wavefront6targetE0EEEvSZ_.kd
    .uniform_work_group_size: 1
    .uses_dynamic_stack: false
    .vgpr_count:     81
    .vgpr_spill_count: 0
    .wavefront_size: 32
  - .args:
      - .offset:         0
        .size:           176
        .value_kind:     by_value
    .group_segment_fixed_size: 0
    .kernarg_segment_align: 8
    .kernarg_segment_size: 176
    .language:       OpenCL C
    .language_version:
      - 2
      - 0
    .max_flat_workgroup_size: 256
    .name:           _ZN7rocprim17ROCPRIM_400000_NS6detail17trampoline_kernelINS0_13select_configILj256ELj13ELNS0_17block_load_methodE3ELS4_3ELS4_3ELNS0_20block_scan_algorithmE0ELj4294967295EEENS1_25partition_config_selectorILNS1_17partition_subalgoE4EjNS0_10empty_typeEbEEZZNS1_14partition_implILS8_4ELb0ES6_15HIP_vector_typeIjLj2EENS0_17counting_iteratorIjlEEPS9_SG_NS0_5tupleIJPjSI_NS0_16reverse_iteratorISI_EEEEENSH_IJSG_SG_SG_EEES9_SI_JZNS1_25segmented_radix_sort_implINS0_14default_configELb1EPKlPlSQ_SR_N2at6native12_GLOBAL__N_18offset_tEEE10hipError_tPvRmT1_PNSt15iterator_traitsISZ_E10value_typeET2_T3_PNS10_IS15_E10value_typeET4_jRbjT5_S1B_jjP12ihipStream_tbEUljE_ZNSN_ISO_Lb1ESQ_SR_SQ_SR_SV_EESW_SX_SY_SZ_S13_S14_S15_S18_S19_jS1A_jS1B_S1B_jjS1D_bEUljE0_EEESW_SX_SY_S15_S19_S1B_T6_T7_T9_mT8_S1D_bDpT10_ENKUlT_T0_E_clISt17integral_constantIbLb0EES1R_EEDaS1M_S1N_EUlS1M_E_NS1_11comp_targetILNS1_3genE5ELNS1_11target_archE942ELNS1_3gpuE9ELNS1_3repE0EEENS1_30default_config_static_selectorELNS0_4arch9wavefront6targetE0EEEvSZ_
    .private_segment_fixed_size: 0
    .sgpr_count:     0
    .sgpr_spill_count: 0
    .symbol:         _ZN7rocprim17ROCPRIM_400000_NS6detail17trampoline_kernelINS0_13select_configILj256ELj13ELNS0_17block_load_methodE3ELS4_3ELS4_3ELNS0_20block_scan_algorithmE0ELj4294967295EEENS1_25partition_config_selectorILNS1_17partition_subalgoE4EjNS0_10empty_typeEbEEZZNS1_14partition_implILS8_4ELb0ES6_15HIP_vector_typeIjLj2EENS0_17counting_iteratorIjlEEPS9_SG_NS0_5tupleIJPjSI_NS0_16reverse_iteratorISI_EEEEENSH_IJSG_SG_SG_EEES9_SI_JZNS1_25segmented_radix_sort_implINS0_14default_configELb1EPKlPlSQ_SR_N2at6native12_GLOBAL__N_18offset_tEEE10hipError_tPvRmT1_PNSt15iterator_traitsISZ_E10value_typeET2_T3_PNS10_IS15_E10value_typeET4_jRbjT5_S1B_jjP12ihipStream_tbEUljE_ZNSN_ISO_Lb1ESQ_SR_SQ_SR_SV_EESW_SX_SY_SZ_S13_S14_S15_S18_S19_jS1A_jS1B_S1B_jjS1D_bEUljE0_EEESW_SX_SY_S15_S19_S1B_T6_T7_T9_mT8_S1D_bDpT10_ENKUlT_T0_E_clISt17integral_constantIbLb0EES1R_EEDaS1M_S1N_EUlS1M_E_NS1_11comp_targetILNS1_3genE5ELNS1_11target_archE942ELNS1_3gpuE9ELNS1_3repE0EEENS1_30default_config_static_selectorELNS0_4arch9wavefront6targetE0EEEvSZ_.kd
    .uniform_work_group_size: 1
    .uses_dynamic_stack: false
    .vgpr_count:     0
    .vgpr_spill_count: 0
    .wavefront_size: 32
  - .args:
      - .offset:         0
        .size:           176
        .value_kind:     by_value
    .group_segment_fixed_size: 0
    .kernarg_segment_align: 8
    .kernarg_segment_size: 176
    .language:       OpenCL C
    .language_version:
      - 2
      - 0
    .max_flat_workgroup_size: 256
    .name:           _ZN7rocprim17ROCPRIM_400000_NS6detail17trampoline_kernelINS0_13select_configILj256ELj13ELNS0_17block_load_methodE3ELS4_3ELS4_3ELNS0_20block_scan_algorithmE0ELj4294967295EEENS1_25partition_config_selectorILNS1_17partition_subalgoE4EjNS0_10empty_typeEbEEZZNS1_14partition_implILS8_4ELb0ES6_15HIP_vector_typeIjLj2EENS0_17counting_iteratorIjlEEPS9_SG_NS0_5tupleIJPjSI_NS0_16reverse_iteratorISI_EEEEENSH_IJSG_SG_SG_EEES9_SI_JZNS1_25segmented_radix_sort_implINS0_14default_configELb1EPKlPlSQ_SR_N2at6native12_GLOBAL__N_18offset_tEEE10hipError_tPvRmT1_PNSt15iterator_traitsISZ_E10value_typeET2_T3_PNS10_IS15_E10value_typeET4_jRbjT5_S1B_jjP12ihipStream_tbEUljE_ZNSN_ISO_Lb1ESQ_SR_SQ_SR_SV_EESW_SX_SY_SZ_S13_S14_S15_S18_S19_jS1A_jS1B_S1B_jjS1D_bEUljE0_EEESW_SX_SY_S15_S19_S1B_T6_T7_T9_mT8_S1D_bDpT10_ENKUlT_T0_E_clISt17integral_constantIbLb0EES1R_EEDaS1M_S1N_EUlS1M_E_NS1_11comp_targetILNS1_3genE4ELNS1_11target_archE910ELNS1_3gpuE8ELNS1_3repE0EEENS1_30default_config_static_selectorELNS0_4arch9wavefront6targetE0EEEvSZ_
    .private_segment_fixed_size: 0
    .sgpr_count:     0
    .sgpr_spill_count: 0
    .symbol:         _ZN7rocprim17ROCPRIM_400000_NS6detail17trampoline_kernelINS0_13select_configILj256ELj13ELNS0_17block_load_methodE3ELS4_3ELS4_3ELNS0_20block_scan_algorithmE0ELj4294967295EEENS1_25partition_config_selectorILNS1_17partition_subalgoE4EjNS0_10empty_typeEbEEZZNS1_14partition_implILS8_4ELb0ES6_15HIP_vector_typeIjLj2EENS0_17counting_iteratorIjlEEPS9_SG_NS0_5tupleIJPjSI_NS0_16reverse_iteratorISI_EEEEENSH_IJSG_SG_SG_EEES9_SI_JZNS1_25segmented_radix_sort_implINS0_14default_configELb1EPKlPlSQ_SR_N2at6native12_GLOBAL__N_18offset_tEEE10hipError_tPvRmT1_PNSt15iterator_traitsISZ_E10value_typeET2_T3_PNS10_IS15_E10value_typeET4_jRbjT5_S1B_jjP12ihipStream_tbEUljE_ZNSN_ISO_Lb1ESQ_SR_SQ_SR_SV_EESW_SX_SY_SZ_S13_S14_S15_S18_S19_jS1A_jS1B_S1B_jjS1D_bEUljE0_EEESW_SX_SY_S15_S19_S1B_T6_T7_T9_mT8_S1D_bDpT10_ENKUlT_T0_E_clISt17integral_constantIbLb0EES1R_EEDaS1M_S1N_EUlS1M_E_NS1_11comp_targetILNS1_3genE4ELNS1_11target_archE910ELNS1_3gpuE8ELNS1_3repE0EEENS1_30default_config_static_selectorELNS0_4arch9wavefront6targetE0EEEvSZ_.kd
    .uniform_work_group_size: 1
    .uses_dynamic_stack: false
    .vgpr_count:     0
    .vgpr_spill_count: 0
    .wavefront_size: 32
  - .args:
      - .offset:         0
        .size:           176
        .value_kind:     by_value
    .group_segment_fixed_size: 0
    .kernarg_segment_align: 8
    .kernarg_segment_size: 176
    .language:       OpenCL C
    .language_version:
      - 2
      - 0
    .max_flat_workgroup_size: 256
    .name:           _ZN7rocprim17ROCPRIM_400000_NS6detail17trampoline_kernelINS0_13select_configILj256ELj13ELNS0_17block_load_methodE3ELS4_3ELS4_3ELNS0_20block_scan_algorithmE0ELj4294967295EEENS1_25partition_config_selectorILNS1_17partition_subalgoE4EjNS0_10empty_typeEbEEZZNS1_14partition_implILS8_4ELb0ES6_15HIP_vector_typeIjLj2EENS0_17counting_iteratorIjlEEPS9_SG_NS0_5tupleIJPjSI_NS0_16reverse_iteratorISI_EEEEENSH_IJSG_SG_SG_EEES9_SI_JZNS1_25segmented_radix_sort_implINS0_14default_configELb1EPKlPlSQ_SR_N2at6native12_GLOBAL__N_18offset_tEEE10hipError_tPvRmT1_PNSt15iterator_traitsISZ_E10value_typeET2_T3_PNS10_IS15_E10value_typeET4_jRbjT5_S1B_jjP12ihipStream_tbEUljE_ZNSN_ISO_Lb1ESQ_SR_SQ_SR_SV_EESW_SX_SY_SZ_S13_S14_S15_S18_S19_jS1A_jS1B_S1B_jjS1D_bEUljE0_EEESW_SX_SY_S15_S19_S1B_T6_T7_T9_mT8_S1D_bDpT10_ENKUlT_T0_E_clISt17integral_constantIbLb0EES1R_EEDaS1M_S1N_EUlS1M_E_NS1_11comp_targetILNS1_3genE3ELNS1_11target_archE908ELNS1_3gpuE7ELNS1_3repE0EEENS1_30default_config_static_selectorELNS0_4arch9wavefront6targetE0EEEvSZ_
    .private_segment_fixed_size: 0
    .sgpr_count:     0
    .sgpr_spill_count: 0
    .symbol:         _ZN7rocprim17ROCPRIM_400000_NS6detail17trampoline_kernelINS0_13select_configILj256ELj13ELNS0_17block_load_methodE3ELS4_3ELS4_3ELNS0_20block_scan_algorithmE0ELj4294967295EEENS1_25partition_config_selectorILNS1_17partition_subalgoE4EjNS0_10empty_typeEbEEZZNS1_14partition_implILS8_4ELb0ES6_15HIP_vector_typeIjLj2EENS0_17counting_iteratorIjlEEPS9_SG_NS0_5tupleIJPjSI_NS0_16reverse_iteratorISI_EEEEENSH_IJSG_SG_SG_EEES9_SI_JZNS1_25segmented_radix_sort_implINS0_14default_configELb1EPKlPlSQ_SR_N2at6native12_GLOBAL__N_18offset_tEEE10hipError_tPvRmT1_PNSt15iterator_traitsISZ_E10value_typeET2_T3_PNS10_IS15_E10value_typeET4_jRbjT5_S1B_jjP12ihipStream_tbEUljE_ZNSN_ISO_Lb1ESQ_SR_SQ_SR_SV_EESW_SX_SY_SZ_S13_S14_S15_S18_S19_jS1A_jS1B_S1B_jjS1D_bEUljE0_EEESW_SX_SY_S15_S19_S1B_T6_T7_T9_mT8_S1D_bDpT10_ENKUlT_T0_E_clISt17integral_constantIbLb0EES1R_EEDaS1M_S1N_EUlS1M_E_NS1_11comp_targetILNS1_3genE3ELNS1_11target_archE908ELNS1_3gpuE7ELNS1_3repE0EEENS1_30default_config_static_selectorELNS0_4arch9wavefront6targetE0EEEvSZ_.kd
    .uniform_work_group_size: 1
    .uses_dynamic_stack: false
    .vgpr_count:     0
    .vgpr_spill_count: 0
    .wavefront_size: 32
  - .args:
      - .offset:         0
        .size:           176
        .value_kind:     by_value
    .group_segment_fixed_size: 0
    .kernarg_segment_align: 8
    .kernarg_segment_size: 176
    .language:       OpenCL C
    .language_version:
      - 2
      - 0
    .max_flat_workgroup_size: 256
    .name:           _ZN7rocprim17ROCPRIM_400000_NS6detail17trampoline_kernelINS0_13select_configILj256ELj13ELNS0_17block_load_methodE3ELS4_3ELS4_3ELNS0_20block_scan_algorithmE0ELj4294967295EEENS1_25partition_config_selectorILNS1_17partition_subalgoE4EjNS0_10empty_typeEbEEZZNS1_14partition_implILS8_4ELb0ES6_15HIP_vector_typeIjLj2EENS0_17counting_iteratorIjlEEPS9_SG_NS0_5tupleIJPjSI_NS0_16reverse_iteratorISI_EEEEENSH_IJSG_SG_SG_EEES9_SI_JZNS1_25segmented_radix_sort_implINS0_14default_configELb1EPKlPlSQ_SR_N2at6native12_GLOBAL__N_18offset_tEEE10hipError_tPvRmT1_PNSt15iterator_traitsISZ_E10value_typeET2_T3_PNS10_IS15_E10value_typeET4_jRbjT5_S1B_jjP12ihipStream_tbEUljE_ZNSN_ISO_Lb1ESQ_SR_SQ_SR_SV_EESW_SX_SY_SZ_S13_S14_S15_S18_S19_jS1A_jS1B_S1B_jjS1D_bEUljE0_EEESW_SX_SY_S15_S19_S1B_T6_T7_T9_mT8_S1D_bDpT10_ENKUlT_T0_E_clISt17integral_constantIbLb0EES1R_EEDaS1M_S1N_EUlS1M_E_NS1_11comp_targetILNS1_3genE2ELNS1_11target_archE906ELNS1_3gpuE6ELNS1_3repE0EEENS1_30default_config_static_selectorELNS0_4arch9wavefront6targetE0EEEvSZ_
    .private_segment_fixed_size: 0
    .sgpr_count:     0
    .sgpr_spill_count: 0
    .symbol:         _ZN7rocprim17ROCPRIM_400000_NS6detail17trampoline_kernelINS0_13select_configILj256ELj13ELNS0_17block_load_methodE3ELS4_3ELS4_3ELNS0_20block_scan_algorithmE0ELj4294967295EEENS1_25partition_config_selectorILNS1_17partition_subalgoE4EjNS0_10empty_typeEbEEZZNS1_14partition_implILS8_4ELb0ES6_15HIP_vector_typeIjLj2EENS0_17counting_iteratorIjlEEPS9_SG_NS0_5tupleIJPjSI_NS0_16reverse_iteratorISI_EEEEENSH_IJSG_SG_SG_EEES9_SI_JZNS1_25segmented_radix_sort_implINS0_14default_configELb1EPKlPlSQ_SR_N2at6native12_GLOBAL__N_18offset_tEEE10hipError_tPvRmT1_PNSt15iterator_traitsISZ_E10value_typeET2_T3_PNS10_IS15_E10value_typeET4_jRbjT5_S1B_jjP12ihipStream_tbEUljE_ZNSN_ISO_Lb1ESQ_SR_SQ_SR_SV_EESW_SX_SY_SZ_S13_S14_S15_S18_S19_jS1A_jS1B_S1B_jjS1D_bEUljE0_EEESW_SX_SY_S15_S19_S1B_T6_T7_T9_mT8_S1D_bDpT10_ENKUlT_T0_E_clISt17integral_constantIbLb0EES1R_EEDaS1M_S1N_EUlS1M_E_NS1_11comp_targetILNS1_3genE2ELNS1_11target_archE906ELNS1_3gpuE6ELNS1_3repE0EEENS1_30default_config_static_selectorELNS0_4arch9wavefront6targetE0EEEvSZ_.kd
    .uniform_work_group_size: 1
    .uses_dynamic_stack: false
    .vgpr_count:     0
    .vgpr_spill_count: 0
    .wavefront_size: 32
  - .args:
      - .offset:         0
        .size:           176
        .value_kind:     by_value
    .group_segment_fixed_size: 0
    .kernarg_segment_align: 8
    .kernarg_segment_size: 176
    .language:       OpenCL C
    .language_version:
      - 2
      - 0
    .max_flat_workgroup_size: 256
    .name:           _ZN7rocprim17ROCPRIM_400000_NS6detail17trampoline_kernelINS0_13select_configILj256ELj13ELNS0_17block_load_methodE3ELS4_3ELS4_3ELNS0_20block_scan_algorithmE0ELj4294967295EEENS1_25partition_config_selectorILNS1_17partition_subalgoE4EjNS0_10empty_typeEbEEZZNS1_14partition_implILS8_4ELb0ES6_15HIP_vector_typeIjLj2EENS0_17counting_iteratorIjlEEPS9_SG_NS0_5tupleIJPjSI_NS0_16reverse_iteratorISI_EEEEENSH_IJSG_SG_SG_EEES9_SI_JZNS1_25segmented_radix_sort_implINS0_14default_configELb1EPKlPlSQ_SR_N2at6native12_GLOBAL__N_18offset_tEEE10hipError_tPvRmT1_PNSt15iterator_traitsISZ_E10value_typeET2_T3_PNS10_IS15_E10value_typeET4_jRbjT5_S1B_jjP12ihipStream_tbEUljE_ZNSN_ISO_Lb1ESQ_SR_SQ_SR_SV_EESW_SX_SY_SZ_S13_S14_S15_S18_S19_jS1A_jS1B_S1B_jjS1D_bEUljE0_EEESW_SX_SY_S15_S19_S1B_T6_T7_T9_mT8_S1D_bDpT10_ENKUlT_T0_E_clISt17integral_constantIbLb0EES1R_EEDaS1M_S1N_EUlS1M_E_NS1_11comp_targetILNS1_3genE10ELNS1_11target_archE1200ELNS1_3gpuE4ELNS1_3repE0EEENS1_30default_config_static_selectorELNS0_4arch9wavefront6targetE0EEEvSZ_
    .private_segment_fixed_size: 0
    .sgpr_count:     0
    .sgpr_spill_count: 0
    .symbol:         _ZN7rocprim17ROCPRIM_400000_NS6detail17trampoline_kernelINS0_13select_configILj256ELj13ELNS0_17block_load_methodE3ELS4_3ELS4_3ELNS0_20block_scan_algorithmE0ELj4294967295EEENS1_25partition_config_selectorILNS1_17partition_subalgoE4EjNS0_10empty_typeEbEEZZNS1_14partition_implILS8_4ELb0ES6_15HIP_vector_typeIjLj2EENS0_17counting_iteratorIjlEEPS9_SG_NS0_5tupleIJPjSI_NS0_16reverse_iteratorISI_EEEEENSH_IJSG_SG_SG_EEES9_SI_JZNS1_25segmented_radix_sort_implINS0_14default_configELb1EPKlPlSQ_SR_N2at6native12_GLOBAL__N_18offset_tEEE10hipError_tPvRmT1_PNSt15iterator_traitsISZ_E10value_typeET2_T3_PNS10_IS15_E10value_typeET4_jRbjT5_S1B_jjP12ihipStream_tbEUljE_ZNSN_ISO_Lb1ESQ_SR_SQ_SR_SV_EESW_SX_SY_SZ_S13_S14_S15_S18_S19_jS1A_jS1B_S1B_jjS1D_bEUljE0_EEESW_SX_SY_S15_S19_S1B_T6_T7_T9_mT8_S1D_bDpT10_ENKUlT_T0_E_clISt17integral_constantIbLb0EES1R_EEDaS1M_S1N_EUlS1M_E_NS1_11comp_targetILNS1_3genE10ELNS1_11target_archE1200ELNS1_3gpuE4ELNS1_3repE0EEENS1_30default_config_static_selectorELNS0_4arch9wavefront6targetE0EEEvSZ_.kd
    .uniform_work_group_size: 1
    .uses_dynamic_stack: false
    .vgpr_count:     0
    .vgpr_spill_count: 0
    .wavefront_size: 32
  - .args:
      - .offset:         0
        .size:           176
        .value_kind:     by_value
    .group_segment_fixed_size: 0
    .kernarg_segment_align: 8
    .kernarg_segment_size: 176
    .language:       OpenCL C
    .language_version:
      - 2
      - 0
    .max_flat_workgroup_size: 256
    .name:           _ZN7rocprim17ROCPRIM_400000_NS6detail17trampoline_kernelINS0_13select_configILj256ELj13ELNS0_17block_load_methodE3ELS4_3ELS4_3ELNS0_20block_scan_algorithmE0ELj4294967295EEENS1_25partition_config_selectorILNS1_17partition_subalgoE4EjNS0_10empty_typeEbEEZZNS1_14partition_implILS8_4ELb0ES6_15HIP_vector_typeIjLj2EENS0_17counting_iteratorIjlEEPS9_SG_NS0_5tupleIJPjSI_NS0_16reverse_iteratorISI_EEEEENSH_IJSG_SG_SG_EEES9_SI_JZNS1_25segmented_radix_sort_implINS0_14default_configELb1EPKlPlSQ_SR_N2at6native12_GLOBAL__N_18offset_tEEE10hipError_tPvRmT1_PNSt15iterator_traitsISZ_E10value_typeET2_T3_PNS10_IS15_E10value_typeET4_jRbjT5_S1B_jjP12ihipStream_tbEUljE_ZNSN_ISO_Lb1ESQ_SR_SQ_SR_SV_EESW_SX_SY_SZ_S13_S14_S15_S18_S19_jS1A_jS1B_S1B_jjS1D_bEUljE0_EEESW_SX_SY_S15_S19_S1B_T6_T7_T9_mT8_S1D_bDpT10_ENKUlT_T0_E_clISt17integral_constantIbLb0EES1R_EEDaS1M_S1N_EUlS1M_E_NS1_11comp_targetILNS1_3genE9ELNS1_11target_archE1100ELNS1_3gpuE3ELNS1_3repE0EEENS1_30default_config_static_selectorELNS0_4arch9wavefront6targetE0EEEvSZ_
    .private_segment_fixed_size: 0
    .sgpr_count:     0
    .sgpr_spill_count: 0
    .symbol:         _ZN7rocprim17ROCPRIM_400000_NS6detail17trampoline_kernelINS0_13select_configILj256ELj13ELNS0_17block_load_methodE3ELS4_3ELS4_3ELNS0_20block_scan_algorithmE0ELj4294967295EEENS1_25partition_config_selectorILNS1_17partition_subalgoE4EjNS0_10empty_typeEbEEZZNS1_14partition_implILS8_4ELb0ES6_15HIP_vector_typeIjLj2EENS0_17counting_iteratorIjlEEPS9_SG_NS0_5tupleIJPjSI_NS0_16reverse_iteratorISI_EEEEENSH_IJSG_SG_SG_EEES9_SI_JZNS1_25segmented_radix_sort_implINS0_14default_configELb1EPKlPlSQ_SR_N2at6native12_GLOBAL__N_18offset_tEEE10hipError_tPvRmT1_PNSt15iterator_traitsISZ_E10value_typeET2_T3_PNS10_IS15_E10value_typeET4_jRbjT5_S1B_jjP12ihipStream_tbEUljE_ZNSN_ISO_Lb1ESQ_SR_SQ_SR_SV_EESW_SX_SY_SZ_S13_S14_S15_S18_S19_jS1A_jS1B_S1B_jjS1D_bEUljE0_EEESW_SX_SY_S15_S19_S1B_T6_T7_T9_mT8_S1D_bDpT10_ENKUlT_T0_E_clISt17integral_constantIbLb0EES1R_EEDaS1M_S1N_EUlS1M_E_NS1_11comp_targetILNS1_3genE9ELNS1_11target_archE1100ELNS1_3gpuE3ELNS1_3repE0EEENS1_30default_config_static_selectorELNS0_4arch9wavefront6targetE0EEEvSZ_.kd
    .uniform_work_group_size: 1
    .uses_dynamic_stack: false
    .vgpr_count:     0
    .vgpr_spill_count: 0
    .wavefront_size: 32
  - .args:
      - .offset:         0
        .size:           176
        .value_kind:     by_value
    .group_segment_fixed_size: 0
    .kernarg_segment_align: 8
    .kernarg_segment_size: 176
    .language:       OpenCL C
    .language_version:
      - 2
      - 0
    .max_flat_workgroup_size: 256
    .name:           _ZN7rocprim17ROCPRIM_400000_NS6detail17trampoline_kernelINS0_13select_configILj256ELj13ELNS0_17block_load_methodE3ELS4_3ELS4_3ELNS0_20block_scan_algorithmE0ELj4294967295EEENS1_25partition_config_selectorILNS1_17partition_subalgoE4EjNS0_10empty_typeEbEEZZNS1_14partition_implILS8_4ELb0ES6_15HIP_vector_typeIjLj2EENS0_17counting_iteratorIjlEEPS9_SG_NS0_5tupleIJPjSI_NS0_16reverse_iteratorISI_EEEEENSH_IJSG_SG_SG_EEES9_SI_JZNS1_25segmented_radix_sort_implINS0_14default_configELb1EPKlPlSQ_SR_N2at6native12_GLOBAL__N_18offset_tEEE10hipError_tPvRmT1_PNSt15iterator_traitsISZ_E10value_typeET2_T3_PNS10_IS15_E10value_typeET4_jRbjT5_S1B_jjP12ihipStream_tbEUljE_ZNSN_ISO_Lb1ESQ_SR_SQ_SR_SV_EESW_SX_SY_SZ_S13_S14_S15_S18_S19_jS1A_jS1B_S1B_jjS1D_bEUljE0_EEESW_SX_SY_S15_S19_S1B_T6_T7_T9_mT8_S1D_bDpT10_ENKUlT_T0_E_clISt17integral_constantIbLb0EES1R_EEDaS1M_S1N_EUlS1M_E_NS1_11comp_targetILNS1_3genE8ELNS1_11target_archE1030ELNS1_3gpuE2ELNS1_3repE0EEENS1_30default_config_static_selectorELNS0_4arch9wavefront6targetE0EEEvSZ_
    .private_segment_fixed_size: 0
    .sgpr_count:     0
    .sgpr_spill_count: 0
    .symbol:         _ZN7rocprim17ROCPRIM_400000_NS6detail17trampoline_kernelINS0_13select_configILj256ELj13ELNS0_17block_load_methodE3ELS4_3ELS4_3ELNS0_20block_scan_algorithmE0ELj4294967295EEENS1_25partition_config_selectorILNS1_17partition_subalgoE4EjNS0_10empty_typeEbEEZZNS1_14partition_implILS8_4ELb0ES6_15HIP_vector_typeIjLj2EENS0_17counting_iteratorIjlEEPS9_SG_NS0_5tupleIJPjSI_NS0_16reverse_iteratorISI_EEEEENSH_IJSG_SG_SG_EEES9_SI_JZNS1_25segmented_radix_sort_implINS0_14default_configELb1EPKlPlSQ_SR_N2at6native12_GLOBAL__N_18offset_tEEE10hipError_tPvRmT1_PNSt15iterator_traitsISZ_E10value_typeET2_T3_PNS10_IS15_E10value_typeET4_jRbjT5_S1B_jjP12ihipStream_tbEUljE_ZNSN_ISO_Lb1ESQ_SR_SQ_SR_SV_EESW_SX_SY_SZ_S13_S14_S15_S18_S19_jS1A_jS1B_S1B_jjS1D_bEUljE0_EEESW_SX_SY_S15_S19_S1B_T6_T7_T9_mT8_S1D_bDpT10_ENKUlT_T0_E_clISt17integral_constantIbLb0EES1R_EEDaS1M_S1N_EUlS1M_E_NS1_11comp_targetILNS1_3genE8ELNS1_11target_archE1030ELNS1_3gpuE2ELNS1_3repE0EEENS1_30default_config_static_selectorELNS0_4arch9wavefront6targetE0EEEvSZ_.kd
    .uniform_work_group_size: 1
    .uses_dynamic_stack: false
    .vgpr_count:     0
    .vgpr_spill_count: 0
    .wavefront_size: 32
  - .args:
      - .offset:         0
        .size:           184
        .value_kind:     by_value
    .group_segment_fixed_size: 0
    .kernarg_segment_align: 8
    .kernarg_segment_size: 184
    .language:       OpenCL C
    .language_version:
      - 2
      - 0
    .max_flat_workgroup_size: 256
    .name:           _ZN7rocprim17ROCPRIM_400000_NS6detail17trampoline_kernelINS0_13select_configILj256ELj13ELNS0_17block_load_methodE3ELS4_3ELS4_3ELNS0_20block_scan_algorithmE0ELj4294967295EEENS1_25partition_config_selectorILNS1_17partition_subalgoE4EjNS0_10empty_typeEbEEZZNS1_14partition_implILS8_4ELb0ES6_15HIP_vector_typeIjLj2EENS0_17counting_iteratorIjlEEPS9_SG_NS0_5tupleIJPjSI_NS0_16reverse_iteratorISI_EEEEENSH_IJSG_SG_SG_EEES9_SI_JZNS1_25segmented_radix_sort_implINS0_14default_configELb1EPKlPlSQ_SR_N2at6native12_GLOBAL__N_18offset_tEEE10hipError_tPvRmT1_PNSt15iterator_traitsISZ_E10value_typeET2_T3_PNS10_IS15_E10value_typeET4_jRbjT5_S1B_jjP12ihipStream_tbEUljE_ZNSN_ISO_Lb1ESQ_SR_SQ_SR_SV_EESW_SX_SY_SZ_S13_S14_S15_S18_S19_jS1A_jS1B_S1B_jjS1D_bEUljE0_EEESW_SX_SY_S15_S19_S1B_T6_T7_T9_mT8_S1D_bDpT10_ENKUlT_T0_E_clISt17integral_constantIbLb1EES1R_EEDaS1M_S1N_EUlS1M_E_NS1_11comp_targetILNS1_3genE0ELNS1_11target_archE4294967295ELNS1_3gpuE0ELNS1_3repE0EEENS1_30default_config_static_selectorELNS0_4arch9wavefront6targetE0EEEvSZ_
    .private_segment_fixed_size: 0
    .sgpr_count:     0
    .sgpr_spill_count: 0
    .symbol:         _ZN7rocprim17ROCPRIM_400000_NS6detail17trampoline_kernelINS0_13select_configILj256ELj13ELNS0_17block_load_methodE3ELS4_3ELS4_3ELNS0_20block_scan_algorithmE0ELj4294967295EEENS1_25partition_config_selectorILNS1_17partition_subalgoE4EjNS0_10empty_typeEbEEZZNS1_14partition_implILS8_4ELb0ES6_15HIP_vector_typeIjLj2EENS0_17counting_iteratorIjlEEPS9_SG_NS0_5tupleIJPjSI_NS0_16reverse_iteratorISI_EEEEENSH_IJSG_SG_SG_EEES9_SI_JZNS1_25segmented_radix_sort_implINS0_14default_configELb1EPKlPlSQ_SR_N2at6native12_GLOBAL__N_18offset_tEEE10hipError_tPvRmT1_PNSt15iterator_traitsISZ_E10value_typeET2_T3_PNS10_IS15_E10value_typeET4_jRbjT5_S1B_jjP12ihipStream_tbEUljE_ZNSN_ISO_Lb1ESQ_SR_SQ_SR_SV_EESW_SX_SY_SZ_S13_S14_S15_S18_S19_jS1A_jS1B_S1B_jjS1D_bEUljE0_EEESW_SX_SY_S15_S19_S1B_T6_T7_T9_mT8_S1D_bDpT10_ENKUlT_T0_E_clISt17integral_constantIbLb1EES1R_EEDaS1M_S1N_EUlS1M_E_NS1_11comp_targetILNS1_3genE0ELNS1_11target_archE4294967295ELNS1_3gpuE0ELNS1_3repE0EEENS1_30default_config_static_selectorELNS0_4arch9wavefront6targetE0EEEvSZ_.kd
    .uniform_work_group_size: 1
    .uses_dynamic_stack: false
    .vgpr_count:     0
    .vgpr_spill_count: 0
    .wavefront_size: 32
  - .args:
      - .offset:         0
        .size:           184
        .value_kind:     by_value
    .group_segment_fixed_size: 0
    .kernarg_segment_align: 8
    .kernarg_segment_size: 184
    .language:       OpenCL C
    .language_version:
      - 2
      - 0
    .max_flat_workgroup_size: 256
    .name:           _ZN7rocprim17ROCPRIM_400000_NS6detail17trampoline_kernelINS0_13select_configILj256ELj13ELNS0_17block_load_methodE3ELS4_3ELS4_3ELNS0_20block_scan_algorithmE0ELj4294967295EEENS1_25partition_config_selectorILNS1_17partition_subalgoE4EjNS0_10empty_typeEbEEZZNS1_14partition_implILS8_4ELb0ES6_15HIP_vector_typeIjLj2EENS0_17counting_iteratorIjlEEPS9_SG_NS0_5tupleIJPjSI_NS0_16reverse_iteratorISI_EEEEENSH_IJSG_SG_SG_EEES9_SI_JZNS1_25segmented_radix_sort_implINS0_14default_configELb1EPKlPlSQ_SR_N2at6native12_GLOBAL__N_18offset_tEEE10hipError_tPvRmT1_PNSt15iterator_traitsISZ_E10value_typeET2_T3_PNS10_IS15_E10value_typeET4_jRbjT5_S1B_jjP12ihipStream_tbEUljE_ZNSN_ISO_Lb1ESQ_SR_SQ_SR_SV_EESW_SX_SY_SZ_S13_S14_S15_S18_S19_jS1A_jS1B_S1B_jjS1D_bEUljE0_EEESW_SX_SY_S15_S19_S1B_T6_T7_T9_mT8_S1D_bDpT10_ENKUlT_T0_E_clISt17integral_constantIbLb1EES1R_EEDaS1M_S1N_EUlS1M_E_NS1_11comp_targetILNS1_3genE5ELNS1_11target_archE942ELNS1_3gpuE9ELNS1_3repE0EEENS1_30default_config_static_selectorELNS0_4arch9wavefront6targetE0EEEvSZ_
    .private_segment_fixed_size: 0
    .sgpr_count:     0
    .sgpr_spill_count: 0
    .symbol:         _ZN7rocprim17ROCPRIM_400000_NS6detail17trampoline_kernelINS0_13select_configILj256ELj13ELNS0_17block_load_methodE3ELS4_3ELS4_3ELNS0_20block_scan_algorithmE0ELj4294967295EEENS1_25partition_config_selectorILNS1_17partition_subalgoE4EjNS0_10empty_typeEbEEZZNS1_14partition_implILS8_4ELb0ES6_15HIP_vector_typeIjLj2EENS0_17counting_iteratorIjlEEPS9_SG_NS0_5tupleIJPjSI_NS0_16reverse_iteratorISI_EEEEENSH_IJSG_SG_SG_EEES9_SI_JZNS1_25segmented_radix_sort_implINS0_14default_configELb1EPKlPlSQ_SR_N2at6native12_GLOBAL__N_18offset_tEEE10hipError_tPvRmT1_PNSt15iterator_traitsISZ_E10value_typeET2_T3_PNS10_IS15_E10value_typeET4_jRbjT5_S1B_jjP12ihipStream_tbEUljE_ZNSN_ISO_Lb1ESQ_SR_SQ_SR_SV_EESW_SX_SY_SZ_S13_S14_S15_S18_S19_jS1A_jS1B_S1B_jjS1D_bEUljE0_EEESW_SX_SY_S15_S19_S1B_T6_T7_T9_mT8_S1D_bDpT10_ENKUlT_T0_E_clISt17integral_constantIbLb1EES1R_EEDaS1M_S1N_EUlS1M_E_NS1_11comp_targetILNS1_3genE5ELNS1_11target_archE942ELNS1_3gpuE9ELNS1_3repE0EEENS1_30default_config_static_selectorELNS0_4arch9wavefront6targetE0EEEvSZ_.kd
    .uniform_work_group_size: 1
    .uses_dynamic_stack: false
    .vgpr_count:     0
    .vgpr_spill_count: 0
    .wavefront_size: 32
  - .args:
      - .offset:         0
        .size:           184
        .value_kind:     by_value
    .group_segment_fixed_size: 0
    .kernarg_segment_align: 8
    .kernarg_segment_size: 184
    .language:       OpenCL C
    .language_version:
      - 2
      - 0
    .max_flat_workgroup_size: 256
    .name:           _ZN7rocprim17ROCPRIM_400000_NS6detail17trampoline_kernelINS0_13select_configILj256ELj13ELNS0_17block_load_methodE3ELS4_3ELS4_3ELNS0_20block_scan_algorithmE0ELj4294967295EEENS1_25partition_config_selectorILNS1_17partition_subalgoE4EjNS0_10empty_typeEbEEZZNS1_14partition_implILS8_4ELb0ES6_15HIP_vector_typeIjLj2EENS0_17counting_iteratorIjlEEPS9_SG_NS0_5tupleIJPjSI_NS0_16reverse_iteratorISI_EEEEENSH_IJSG_SG_SG_EEES9_SI_JZNS1_25segmented_radix_sort_implINS0_14default_configELb1EPKlPlSQ_SR_N2at6native12_GLOBAL__N_18offset_tEEE10hipError_tPvRmT1_PNSt15iterator_traitsISZ_E10value_typeET2_T3_PNS10_IS15_E10value_typeET4_jRbjT5_S1B_jjP12ihipStream_tbEUljE_ZNSN_ISO_Lb1ESQ_SR_SQ_SR_SV_EESW_SX_SY_SZ_S13_S14_S15_S18_S19_jS1A_jS1B_S1B_jjS1D_bEUljE0_EEESW_SX_SY_S15_S19_S1B_T6_T7_T9_mT8_S1D_bDpT10_ENKUlT_T0_E_clISt17integral_constantIbLb1EES1R_EEDaS1M_S1N_EUlS1M_E_NS1_11comp_targetILNS1_3genE4ELNS1_11target_archE910ELNS1_3gpuE8ELNS1_3repE0EEENS1_30default_config_static_selectorELNS0_4arch9wavefront6targetE0EEEvSZ_
    .private_segment_fixed_size: 0
    .sgpr_count:     0
    .sgpr_spill_count: 0
    .symbol:         _ZN7rocprim17ROCPRIM_400000_NS6detail17trampoline_kernelINS0_13select_configILj256ELj13ELNS0_17block_load_methodE3ELS4_3ELS4_3ELNS0_20block_scan_algorithmE0ELj4294967295EEENS1_25partition_config_selectorILNS1_17partition_subalgoE4EjNS0_10empty_typeEbEEZZNS1_14partition_implILS8_4ELb0ES6_15HIP_vector_typeIjLj2EENS0_17counting_iteratorIjlEEPS9_SG_NS0_5tupleIJPjSI_NS0_16reverse_iteratorISI_EEEEENSH_IJSG_SG_SG_EEES9_SI_JZNS1_25segmented_radix_sort_implINS0_14default_configELb1EPKlPlSQ_SR_N2at6native12_GLOBAL__N_18offset_tEEE10hipError_tPvRmT1_PNSt15iterator_traitsISZ_E10value_typeET2_T3_PNS10_IS15_E10value_typeET4_jRbjT5_S1B_jjP12ihipStream_tbEUljE_ZNSN_ISO_Lb1ESQ_SR_SQ_SR_SV_EESW_SX_SY_SZ_S13_S14_S15_S18_S19_jS1A_jS1B_S1B_jjS1D_bEUljE0_EEESW_SX_SY_S15_S19_S1B_T6_T7_T9_mT8_S1D_bDpT10_ENKUlT_T0_E_clISt17integral_constantIbLb1EES1R_EEDaS1M_S1N_EUlS1M_E_NS1_11comp_targetILNS1_3genE4ELNS1_11target_archE910ELNS1_3gpuE8ELNS1_3repE0EEENS1_30default_config_static_selectorELNS0_4arch9wavefront6targetE0EEEvSZ_.kd
    .uniform_work_group_size: 1
    .uses_dynamic_stack: false
    .vgpr_count:     0
    .vgpr_spill_count: 0
    .wavefront_size: 32
  - .args:
      - .offset:         0
        .size:           184
        .value_kind:     by_value
    .group_segment_fixed_size: 0
    .kernarg_segment_align: 8
    .kernarg_segment_size: 184
    .language:       OpenCL C
    .language_version:
      - 2
      - 0
    .max_flat_workgroup_size: 256
    .name:           _ZN7rocprim17ROCPRIM_400000_NS6detail17trampoline_kernelINS0_13select_configILj256ELj13ELNS0_17block_load_methodE3ELS4_3ELS4_3ELNS0_20block_scan_algorithmE0ELj4294967295EEENS1_25partition_config_selectorILNS1_17partition_subalgoE4EjNS0_10empty_typeEbEEZZNS1_14partition_implILS8_4ELb0ES6_15HIP_vector_typeIjLj2EENS0_17counting_iteratorIjlEEPS9_SG_NS0_5tupleIJPjSI_NS0_16reverse_iteratorISI_EEEEENSH_IJSG_SG_SG_EEES9_SI_JZNS1_25segmented_radix_sort_implINS0_14default_configELb1EPKlPlSQ_SR_N2at6native12_GLOBAL__N_18offset_tEEE10hipError_tPvRmT1_PNSt15iterator_traitsISZ_E10value_typeET2_T3_PNS10_IS15_E10value_typeET4_jRbjT5_S1B_jjP12ihipStream_tbEUljE_ZNSN_ISO_Lb1ESQ_SR_SQ_SR_SV_EESW_SX_SY_SZ_S13_S14_S15_S18_S19_jS1A_jS1B_S1B_jjS1D_bEUljE0_EEESW_SX_SY_S15_S19_S1B_T6_T7_T9_mT8_S1D_bDpT10_ENKUlT_T0_E_clISt17integral_constantIbLb1EES1R_EEDaS1M_S1N_EUlS1M_E_NS1_11comp_targetILNS1_3genE3ELNS1_11target_archE908ELNS1_3gpuE7ELNS1_3repE0EEENS1_30default_config_static_selectorELNS0_4arch9wavefront6targetE0EEEvSZ_
    .private_segment_fixed_size: 0
    .sgpr_count:     0
    .sgpr_spill_count: 0
    .symbol:         _ZN7rocprim17ROCPRIM_400000_NS6detail17trampoline_kernelINS0_13select_configILj256ELj13ELNS0_17block_load_methodE3ELS4_3ELS4_3ELNS0_20block_scan_algorithmE0ELj4294967295EEENS1_25partition_config_selectorILNS1_17partition_subalgoE4EjNS0_10empty_typeEbEEZZNS1_14partition_implILS8_4ELb0ES6_15HIP_vector_typeIjLj2EENS0_17counting_iteratorIjlEEPS9_SG_NS0_5tupleIJPjSI_NS0_16reverse_iteratorISI_EEEEENSH_IJSG_SG_SG_EEES9_SI_JZNS1_25segmented_radix_sort_implINS0_14default_configELb1EPKlPlSQ_SR_N2at6native12_GLOBAL__N_18offset_tEEE10hipError_tPvRmT1_PNSt15iterator_traitsISZ_E10value_typeET2_T3_PNS10_IS15_E10value_typeET4_jRbjT5_S1B_jjP12ihipStream_tbEUljE_ZNSN_ISO_Lb1ESQ_SR_SQ_SR_SV_EESW_SX_SY_SZ_S13_S14_S15_S18_S19_jS1A_jS1B_S1B_jjS1D_bEUljE0_EEESW_SX_SY_S15_S19_S1B_T6_T7_T9_mT8_S1D_bDpT10_ENKUlT_T0_E_clISt17integral_constantIbLb1EES1R_EEDaS1M_S1N_EUlS1M_E_NS1_11comp_targetILNS1_3genE3ELNS1_11target_archE908ELNS1_3gpuE7ELNS1_3repE0EEENS1_30default_config_static_selectorELNS0_4arch9wavefront6targetE0EEEvSZ_.kd
    .uniform_work_group_size: 1
    .uses_dynamic_stack: false
    .vgpr_count:     0
    .vgpr_spill_count: 0
    .wavefront_size: 32
  - .args:
      - .offset:         0
        .size:           184
        .value_kind:     by_value
    .group_segment_fixed_size: 0
    .kernarg_segment_align: 8
    .kernarg_segment_size: 184
    .language:       OpenCL C
    .language_version:
      - 2
      - 0
    .max_flat_workgroup_size: 256
    .name:           _ZN7rocprim17ROCPRIM_400000_NS6detail17trampoline_kernelINS0_13select_configILj256ELj13ELNS0_17block_load_methodE3ELS4_3ELS4_3ELNS0_20block_scan_algorithmE0ELj4294967295EEENS1_25partition_config_selectorILNS1_17partition_subalgoE4EjNS0_10empty_typeEbEEZZNS1_14partition_implILS8_4ELb0ES6_15HIP_vector_typeIjLj2EENS0_17counting_iteratorIjlEEPS9_SG_NS0_5tupleIJPjSI_NS0_16reverse_iteratorISI_EEEEENSH_IJSG_SG_SG_EEES9_SI_JZNS1_25segmented_radix_sort_implINS0_14default_configELb1EPKlPlSQ_SR_N2at6native12_GLOBAL__N_18offset_tEEE10hipError_tPvRmT1_PNSt15iterator_traitsISZ_E10value_typeET2_T3_PNS10_IS15_E10value_typeET4_jRbjT5_S1B_jjP12ihipStream_tbEUljE_ZNSN_ISO_Lb1ESQ_SR_SQ_SR_SV_EESW_SX_SY_SZ_S13_S14_S15_S18_S19_jS1A_jS1B_S1B_jjS1D_bEUljE0_EEESW_SX_SY_S15_S19_S1B_T6_T7_T9_mT8_S1D_bDpT10_ENKUlT_T0_E_clISt17integral_constantIbLb1EES1R_EEDaS1M_S1N_EUlS1M_E_NS1_11comp_targetILNS1_3genE2ELNS1_11target_archE906ELNS1_3gpuE6ELNS1_3repE0EEENS1_30default_config_static_selectorELNS0_4arch9wavefront6targetE0EEEvSZ_
    .private_segment_fixed_size: 0
    .sgpr_count:     0
    .sgpr_spill_count: 0
    .symbol:         _ZN7rocprim17ROCPRIM_400000_NS6detail17trampoline_kernelINS0_13select_configILj256ELj13ELNS0_17block_load_methodE3ELS4_3ELS4_3ELNS0_20block_scan_algorithmE0ELj4294967295EEENS1_25partition_config_selectorILNS1_17partition_subalgoE4EjNS0_10empty_typeEbEEZZNS1_14partition_implILS8_4ELb0ES6_15HIP_vector_typeIjLj2EENS0_17counting_iteratorIjlEEPS9_SG_NS0_5tupleIJPjSI_NS0_16reverse_iteratorISI_EEEEENSH_IJSG_SG_SG_EEES9_SI_JZNS1_25segmented_radix_sort_implINS0_14default_configELb1EPKlPlSQ_SR_N2at6native12_GLOBAL__N_18offset_tEEE10hipError_tPvRmT1_PNSt15iterator_traitsISZ_E10value_typeET2_T3_PNS10_IS15_E10value_typeET4_jRbjT5_S1B_jjP12ihipStream_tbEUljE_ZNSN_ISO_Lb1ESQ_SR_SQ_SR_SV_EESW_SX_SY_SZ_S13_S14_S15_S18_S19_jS1A_jS1B_S1B_jjS1D_bEUljE0_EEESW_SX_SY_S15_S19_S1B_T6_T7_T9_mT8_S1D_bDpT10_ENKUlT_T0_E_clISt17integral_constantIbLb1EES1R_EEDaS1M_S1N_EUlS1M_E_NS1_11comp_targetILNS1_3genE2ELNS1_11target_archE906ELNS1_3gpuE6ELNS1_3repE0EEENS1_30default_config_static_selectorELNS0_4arch9wavefront6targetE0EEEvSZ_.kd
    .uniform_work_group_size: 1
    .uses_dynamic_stack: false
    .vgpr_count:     0
    .vgpr_spill_count: 0
    .wavefront_size: 32
  - .args:
      - .offset:         0
        .size:           184
        .value_kind:     by_value
    .group_segment_fixed_size: 0
    .kernarg_segment_align: 8
    .kernarg_segment_size: 184
    .language:       OpenCL C
    .language_version:
      - 2
      - 0
    .max_flat_workgroup_size: 256
    .name:           _ZN7rocprim17ROCPRIM_400000_NS6detail17trampoline_kernelINS0_13select_configILj256ELj13ELNS0_17block_load_methodE3ELS4_3ELS4_3ELNS0_20block_scan_algorithmE0ELj4294967295EEENS1_25partition_config_selectorILNS1_17partition_subalgoE4EjNS0_10empty_typeEbEEZZNS1_14partition_implILS8_4ELb0ES6_15HIP_vector_typeIjLj2EENS0_17counting_iteratorIjlEEPS9_SG_NS0_5tupleIJPjSI_NS0_16reverse_iteratorISI_EEEEENSH_IJSG_SG_SG_EEES9_SI_JZNS1_25segmented_radix_sort_implINS0_14default_configELb1EPKlPlSQ_SR_N2at6native12_GLOBAL__N_18offset_tEEE10hipError_tPvRmT1_PNSt15iterator_traitsISZ_E10value_typeET2_T3_PNS10_IS15_E10value_typeET4_jRbjT5_S1B_jjP12ihipStream_tbEUljE_ZNSN_ISO_Lb1ESQ_SR_SQ_SR_SV_EESW_SX_SY_SZ_S13_S14_S15_S18_S19_jS1A_jS1B_S1B_jjS1D_bEUljE0_EEESW_SX_SY_S15_S19_S1B_T6_T7_T9_mT8_S1D_bDpT10_ENKUlT_T0_E_clISt17integral_constantIbLb1EES1R_EEDaS1M_S1N_EUlS1M_E_NS1_11comp_targetILNS1_3genE10ELNS1_11target_archE1200ELNS1_3gpuE4ELNS1_3repE0EEENS1_30default_config_static_selectorELNS0_4arch9wavefront6targetE0EEEvSZ_
    .private_segment_fixed_size: 0
    .sgpr_count:     0
    .sgpr_spill_count: 0
    .symbol:         _ZN7rocprim17ROCPRIM_400000_NS6detail17trampoline_kernelINS0_13select_configILj256ELj13ELNS0_17block_load_methodE3ELS4_3ELS4_3ELNS0_20block_scan_algorithmE0ELj4294967295EEENS1_25partition_config_selectorILNS1_17partition_subalgoE4EjNS0_10empty_typeEbEEZZNS1_14partition_implILS8_4ELb0ES6_15HIP_vector_typeIjLj2EENS0_17counting_iteratorIjlEEPS9_SG_NS0_5tupleIJPjSI_NS0_16reverse_iteratorISI_EEEEENSH_IJSG_SG_SG_EEES9_SI_JZNS1_25segmented_radix_sort_implINS0_14default_configELb1EPKlPlSQ_SR_N2at6native12_GLOBAL__N_18offset_tEEE10hipError_tPvRmT1_PNSt15iterator_traitsISZ_E10value_typeET2_T3_PNS10_IS15_E10value_typeET4_jRbjT5_S1B_jjP12ihipStream_tbEUljE_ZNSN_ISO_Lb1ESQ_SR_SQ_SR_SV_EESW_SX_SY_SZ_S13_S14_S15_S18_S19_jS1A_jS1B_S1B_jjS1D_bEUljE0_EEESW_SX_SY_S15_S19_S1B_T6_T7_T9_mT8_S1D_bDpT10_ENKUlT_T0_E_clISt17integral_constantIbLb1EES1R_EEDaS1M_S1N_EUlS1M_E_NS1_11comp_targetILNS1_3genE10ELNS1_11target_archE1200ELNS1_3gpuE4ELNS1_3repE0EEENS1_30default_config_static_selectorELNS0_4arch9wavefront6targetE0EEEvSZ_.kd
    .uniform_work_group_size: 1
    .uses_dynamic_stack: false
    .vgpr_count:     0
    .vgpr_spill_count: 0
    .wavefront_size: 32
  - .args:
      - .offset:         0
        .size:           184
        .value_kind:     by_value
    .group_segment_fixed_size: 0
    .kernarg_segment_align: 8
    .kernarg_segment_size: 184
    .language:       OpenCL C
    .language_version:
      - 2
      - 0
    .max_flat_workgroup_size: 256
    .name:           _ZN7rocprim17ROCPRIM_400000_NS6detail17trampoline_kernelINS0_13select_configILj256ELj13ELNS0_17block_load_methodE3ELS4_3ELS4_3ELNS0_20block_scan_algorithmE0ELj4294967295EEENS1_25partition_config_selectorILNS1_17partition_subalgoE4EjNS0_10empty_typeEbEEZZNS1_14partition_implILS8_4ELb0ES6_15HIP_vector_typeIjLj2EENS0_17counting_iteratorIjlEEPS9_SG_NS0_5tupleIJPjSI_NS0_16reverse_iteratorISI_EEEEENSH_IJSG_SG_SG_EEES9_SI_JZNS1_25segmented_radix_sort_implINS0_14default_configELb1EPKlPlSQ_SR_N2at6native12_GLOBAL__N_18offset_tEEE10hipError_tPvRmT1_PNSt15iterator_traitsISZ_E10value_typeET2_T3_PNS10_IS15_E10value_typeET4_jRbjT5_S1B_jjP12ihipStream_tbEUljE_ZNSN_ISO_Lb1ESQ_SR_SQ_SR_SV_EESW_SX_SY_SZ_S13_S14_S15_S18_S19_jS1A_jS1B_S1B_jjS1D_bEUljE0_EEESW_SX_SY_S15_S19_S1B_T6_T7_T9_mT8_S1D_bDpT10_ENKUlT_T0_E_clISt17integral_constantIbLb1EES1R_EEDaS1M_S1N_EUlS1M_E_NS1_11comp_targetILNS1_3genE9ELNS1_11target_archE1100ELNS1_3gpuE3ELNS1_3repE0EEENS1_30default_config_static_selectorELNS0_4arch9wavefront6targetE0EEEvSZ_
    .private_segment_fixed_size: 0
    .sgpr_count:     0
    .sgpr_spill_count: 0
    .symbol:         _ZN7rocprim17ROCPRIM_400000_NS6detail17trampoline_kernelINS0_13select_configILj256ELj13ELNS0_17block_load_methodE3ELS4_3ELS4_3ELNS0_20block_scan_algorithmE0ELj4294967295EEENS1_25partition_config_selectorILNS1_17partition_subalgoE4EjNS0_10empty_typeEbEEZZNS1_14partition_implILS8_4ELb0ES6_15HIP_vector_typeIjLj2EENS0_17counting_iteratorIjlEEPS9_SG_NS0_5tupleIJPjSI_NS0_16reverse_iteratorISI_EEEEENSH_IJSG_SG_SG_EEES9_SI_JZNS1_25segmented_radix_sort_implINS0_14default_configELb1EPKlPlSQ_SR_N2at6native12_GLOBAL__N_18offset_tEEE10hipError_tPvRmT1_PNSt15iterator_traitsISZ_E10value_typeET2_T3_PNS10_IS15_E10value_typeET4_jRbjT5_S1B_jjP12ihipStream_tbEUljE_ZNSN_ISO_Lb1ESQ_SR_SQ_SR_SV_EESW_SX_SY_SZ_S13_S14_S15_S18_S19_jS1A_jS1B_S1B_jjS1D_bEUljE0_EEESW_SX_SY_S15_S19_S1B_T6_T7_T9_mT8_S1D_bDpT10_ENKUlT_T0_E_clISt17integral_constantIbLb1EES1R_EEDaS1M_S1N_EUlS1M_E_NS1_11comp_targetILNS1_3genE9ELNS1_11target_archE1100ELNS1_3gpuE3ELNS1_3repE0EEENS1_30default_config_static_selectorELNS0_4arch9wavefront6targetE0EEEvSZ_.kd
    .uniform_work_group_size: 1
    .uses_dynamic_stack: false
    .vgpr_count:     0
    .vgpr_spill_count: 0
    .wavefront_size: 32
  - .args:
      - .offset:         0
        .size:           184
        .value_kind:     by_value
    .group_segment_fixed_size: 0
    .kernarg_segment_align: 8
    .kernarg_segment_size: 184
    .language:       OpenCL C
    .language_version:
      - 2
      - 0
    .max_flat_workgroup_size: 256
    .name:           _ZN7rocprim17ROCPRIM_400000_NS6detail17trampoline_kernelINS0_13select_configILj256ELj13ELNS0_17block_load_methodE3ELS4_3ELS4_3ELNS0_20block_scan_algorithmE0ELj4294967295EEENS1_25partition_config_selectorILNS1_17partition_subalgoE4EjNS0_10empty_typeEbEEZZNS1_14partition_implILS8_4ELb0ES6_15HIP_vector_typeIjLj2EENS0_17counting_iteratorIjlEEPS9_SG_NS0_5tupleIJPjSI_NS0_16reverse_iteratorISI_EEEEENSH_IJSG_SG_SG_EEES9_SI_JZNS1_25segmented_radix_sort_implINS0_14default_configELb1EPKlPlSQ_SR_N2at6native12_GLOBAL__N_18offset_tEEE10hipError_tPvRmT1_PNSt15iterator_traitsISZ_E10value_typeET2_T3_PNS10_IS15_E10value_typeET4_jRbjT5_S1B_jjP12ihipStream_tbEUljE_ZNSN_ISO_Lb1ESQ_SR_SQ_SR_SV_EESW_SX_SY_SZ_S13_S14_S15_S18_S19_jS1A_jS1B_S1B_jjS1D_bEUljE0_EEESW_SX_SY_S15_S19_S1B_T6_T7_T9_mT8_S1D_bDpT10_ENKUlT_T0_E_clISt17integral_constantIbLb1EES1R_EEDaS1M_S1N_EUlS1M_E_NS1_11comp_targetILNS1_3genE8ELNS1_11target_archE1030ELNS1_3gpuE2ELNS1_3repE0EEENS1_30default_config_static_selectorELNS0_4arch9wavefront6targetE0EEEvSZ_
    .private_segment_fixed_size: 0
    .sgpr_count:     0
    .sgpr_spill_count: 0
    .symbol:         _ZN7rocprim17ROCPRIM_400000_NS6detail17trampoline_kernelINS0_13select_configILj256ELj13ELNS0_17block_load_methodE3ELS4_3ELS4_3ELNS0_20block_scan_algorithmE0ELj4294967295EEENS1_25partition_config_selectorILNS1_17partition_subalgoE4EjNS0_10empty_typeEbEEZZNS1_14partition_implILS8_4ELb0ES6_15HIP_vector_typeIjLj2EENS0_17counting_iteratorIjlEEPS9_SG_NS0_5tupleIJPjSI_NS0_16reverse_iteratorISI_EEEEENSH_IJSG_SG_SG_EEES9_SI_JZNS1_25segmented_radix_sort_implINS0_14default_configELb1EPKlPlSQ_SR_N2at6native12_GLOBAL__N_18offset_tEEE10hipError_tPvRmT1_PNSt15iterator_traitsISZ_E10value_typeET2_T3_PNS10_IS15_E10value_typeET4_jRbjT5_S1B_jjP12ihipStream_tbEUljE_ZNSN_ISO_Lb1ESQ_SR_SQ_SR_SV_EESW_SX_SY_SZ_S13_S14_S15_S18_S19_jS1A_jS1B_S1B_jjS1D_bEUljE0_EEESW_SX_SY_S15_S19_S1B_T6_T7_T9_mT8_S1D_bDpT10_ENKUlT_T0_E_clISt17integral_constantIbLb1EES1R_EEDaS1M_S1N_EUlS1M_E_NS1_11comp_targetILNS1_3genE8ELNS1_11target_archE1030ELNS1_3gpuE2ELNS1_3repE0EEENS1_30default_config_static_selectorELNS0_4arch9wavefront6targetE0EEEvSZ_.kd
    .uniform_work_group_size: 1
    .uses_dynamic_stack: false
    .vgpr_count:     0
    .vgpr_spill_count: 0
    .wavefront_size: 32
  - .args:
      - .offset:         0
        .size:           176
        .value_kind:     by_value
    .group_segment_fixed_size: 0
    .kernarg_segment_align: 8
    .kernarg_segment_size: 176
    .language:       OpenCL C
    .language_version:
      - 2
      - 0
    .max_flat_workgroup_size: 256
    .name:           _ZN7rocprim17ROCPRIM_400000_NS6detail17trampoline_kernelINS0_13select_configILj256ELj13ELNS0_17block_load_methodE3ELS4_3ELS4_3ELNS0_20block_scan_algorithmE0ELj4294967295EEENS1_25partition_config_selectorILNS1_17partition_subalgoE4EjNS0_10empty_typeEbEEZZNS1_14partition_implILS8_4ELb0ES6_15HIP_vector_typeIjLj2EENS0_17counting_iteratorIjlEEPS9_SG_NS0_5tupleIJPjSI_NS0_16reverse_iteratorISI_EEEEENSH_IJSG_SG_SG_EEES9_SI_JZNS1_25segmented_radix_sort_implINS0_14default_configELb1EPKlPlSQ_SR_N2at6native12_GLOBAL__N_18offset_tEEE10hipError_tPvRmT1_PNSt15iterator_traitsISZ_E10value_typeET2_T3_PNS10_IS15_E10value_typeET4_jRbjT5_S1B_jjP12ihipStream_tbEUljE_ZNSN_ISO_Lb1ESQ_SR_SQ_SR_SV_EESW_SX_SY_SZ_S13_S14_S15_S18_S19_jS1A_jS1B_S1B_jjS1D_bEUljE0_EEESW_SX_SY_S15_S19_S1B_T6_T7_T9_mT8_S1D_bDpT10_ENKUlT_T0_E_clISt17integral_constantIbLb1EES1Q_IbLb0EEEEDaS1M_S1N_EUlS1M_E_NS1_11comp_targetILNS1_3genE0ELNS1_11target_archE4294967295ELNS1_3gpuE0ELNS1_3repE0EEENS1_30default_config_static_selectorELNS0_4arch9wavefront6targetE0EEEvSZ_
    .private_segment_fixed_size: 0
    .sgpr_count:     0
    .sgpr_spill_count: 0
    .symbol:         _ZN7rocprim17ROCPRIM_400000_NS6detail17trampoline_kernelINS0_13select_configILj256ELj13ELNS0_17block_load_methodE3ELS4_3ELS4_3ELNS0_20block_scan_algorithmE0ELj4294967295EEENS1_25partition_config_selectorILNS1_17partition_subalgoE4EjNS0_10empty_typeEbEEZZNS1_14partition_implILS8_4ELb0ES6_15HIP_vector_typeIjLj2EENS0_17counting_iteratorIjlEEPS9_SG_NS0_5tupleIJPjSI_NS0_16reverse_iteratorISI_EEEEENSH_IJSG_SG_SG_EEES9_SI_JZNS1_25segmented_radix_sort_implINS0_14default_configELb1EPKlPlSQ_SR_N2at6native12_GLOBAL__N_18offset_tEEE10hipError_tPvRmT1_PNSt15iterator_traitsISZ_E10value_typeET2_T3_PNS10_IS15_E10value_typeET4_jRbjT5_S1B_jjP12ihipStream_tbEUljE_ZNSN_ISO_Lb1ESQ_SR_SQ_SR_SV_EESW_SX_SY_SZ_S13_S14_S15_S18_S19_jS1A_jS1B_S1B_jjS1D_bEUljE0_EEESW_SX_SY_S15_S19_S1B_T6_T7_T9_mT8_S1D_bDpT10_ENKUlT_T0_E_clISt17integral_constantIbLb1EES1Q_IbLb0EEEEDaS1M_S1N_EUlS1M_E_NS1_11comp_targetILNS1_3genE0ELNS1_11target_archE4294967295ELNS1_3gpuE0ELNS1_3repE0EEENS1_30default_config_static_selectorELNS0_4arch9wavefront6targetE0EEEvSZ_.kd
    .uniform_work_group_size: 1
    .uses_dynamic_stack: false
    .vgpr_count:     0
    .vgpr_spill_count: 0
    .wavefront_size: 32
  - .args:
      - .offset:         0
        .size:           176
        .value_kind:     by_value
    .group_segment_fixed_size: 0
    .kernarg_segment_align: 8
    .kernarg_segment_size: 176
    .language:       OpenCL C
    .language_version:
      - 2
      - 0
    .max_flat_workgroup_size: 256
    .name:           _ZN7rocprim17ROCPRIM_400000_NS6detail17trampoline_kernelINS0_13select_configILj256ELj13ELNS0_17block_load_methodE3ELS4_3ELS4_3ELNS0_20block_scan_algorithmE0ELj4294967295EEENS1_25partition_config_selectorILNS1_17partition_subalgoE4EjNS0_10empty_typeEbEEZZNS1_14partition_implILS8_4ELb0ES6_15HIP_vector_typeIjLj2EENS0_17counting_iteratorIjlEEPS9_SG_NS0_5tupleIJPjSI_NS0_16reverse_iteratorISI_EEEEENSH_IJSG_SG_SG_EEES9_SI_JZNS1_25segmented_radix_sort_implINS0_14default_configELb1EPKlPlSQ_SR_N2at6native12_GLOBAL__N_18offset_tEEE10hipError_tPvRmT1_PNSt15iterator_traitsISZ_E10value_typeET2_T3_PNS10_IS15_E10value_typeET4_jRbjT5_S1B_jjP12ihipStream_tbEUljE_ZNSN_ISO_Lb1ESQ_SR_SQ_SR_SV_EESW_SX_SY_SZ_S13_S14_S15_S18_S19_jS1A_jS1B_S1B_jjS1D_bEUljE0_EEESW_SX_SY_S15_S19_S1B_T6_T7_T9_mT8_S1D_bDpT10_ENKUlT_T0_E_clISt17integral_constantIbLb1EES1Q_IbLb0EEEEDaS1M_S1N_EUlS1M_E_NS1_11comp_targetILNS1_3genE5ELNS1_11target_archE942ELNS1_3gpuE9ELNS1_3repE0EEENS1_30default_config_static_selectorELNS0_4arch9wavefront6targetE0EEEvSZ_
    .private_segment_fixed_size: 0
    .sgpr_count:     0
    .sgpr_spill_count: 0
    .symbol:         _ZN7rocprim17ROCPRIM_400000_NS6detail17trampoline_kernelINS0_13select_configILj256ELj13ELNS0_17block_load_methodE3ELS4_3ELS4_3ELNS0_20block_scan_algorithmE0ELj4294967295EEENS1_25partition_config_selectorILNS1_17partition_subalgoE4EjNS0_10empty_typeEbEEZZNS1_14partition_implILS8_4ELb0ES6_15HIP_vector_typeIjLj2EENS0_17counting_iteratorIjlEEPS9_SG_NS0_5tupleIJPjSI_NS0_16reverse_iteratorISI_EEEEENSH_IJSG_SG_SG_EEES9_SI_JZNS1_25segmented_radix_sort_implINS0_14default_configELb1EPKlPlSQ_SR_N2at6native12_GLOBAL__N_18offset_tEEE10hipError_tPvRmT1_PNSt15iterator_traitsISZ_E10value_typeET2_T3_PNS10_IS15_E10value_typeET4_jRbjT5_S1B_jjP12ihipStream_tbEUljE_ZNSN_ISO_Lb1ESQ_SR_SQ_SR_SV_EESW_SX_SY_SZ_S13_S14_S15_S18_S19_jS1A_jS1B_S1B_jjS1D_bEUljE0_EEESW_SX_SY_S15_S19_S1B_T6_T7_T9_mT8_S1D_bDpT10_ENKUlT_T0_E_clISt17integral_constantIbLb1EES1Q_IbLb0EEEEDaS1M_S1N_EUlS1M_E_NS1_11comp_targetILNS1_3genE5ELNS1_11target_archE942ELNS1_3gpuE9ELNS1_3repE0EEENS1_30default_config_static_selectorELNS0_4arch9wavefront6targetE0EEEvSZ_.kd
    .uniform_work_group_size: 1
    .uses_dynamic_stack: false
    .vgpr_count:     0
    .vgpr_spill_count: 0
    .wavefront_size: 32
  - .args:
      - .offset:         0
        .size:           176
        .value_kind:     by_value
    .group_segment_fixed_size: 0
    .kernarg_segment_align: 8
    .kernarg_segment_size: 176
    .language:       OpenCL C
    .language_version:
      - 2
      - 0
    .max_flat_workgroup_size: 256
    .name:           _ZN7rocprim17ROCPRIM_400000_NS6detail17trampoline_kernelINS0_13select_configILj256ELj13ELNS0_17block_load_methodE3ELS4_3ELS4_3ELNS0_20block_scan_algorithmE0ELj4294967295EEENS1_25partition_config_selectorILNS1_17partition_subalgoE4EjNS0_10empty_typeEbEEZZNS1_14partition_implILS8_4ELb0ES6_15HIP_vector_typeIjLj2EENS0_17counting_iteratorIjlEEPS9_SG_NS0_5tupleIJPjSI_NS0_16reverse_iteratorISI_EEEEENSH_IJSG_SG_SG_EEES9_SI_JZNS1_25segmented_radix_sort_implINS0_14default_configELb1EPKlPlSQ_SR_N2at6native12_GLOBAL__N_18offset_tEEE10hipError_tPvRmT1_PNSt15iterator_traitsISZ_E10value_typeET2_T3_PNS10_IS15_E10value_typeET4_jRbjT5_S1B_jjP12ihipStream_tbEUljE_ZNSN_ISO_Lb1ESQ_SR_SQ_SR_SV_EESW_SX_SY_SZ_S13_S14_S15_S18_S19_jS1A_jS1B_S1B_jjS1D_bEUljE0_EEESW_SX_SY_S15_S19_S1B_T6_T7_T9_mT8_S1D_bDpT10_ENKUlT_T0_E_clISt17integral_constantIbLb1EES1Q_IbLb0EEEEDaS1M_S1N_EUlS1M_E_NS1_11comp_targetILNS1_3genE4ELNS1_11target_archE910ELNS1_3gpuE8ELNS1_3repE0EEENS1_30default_config_static_selectorELNS0_4arch9wavefront6targetE0EEEvSZ_
    .private_segment_fixed_size: 0
    .sgpr_count:     0
    .sgpr_spill_count: 0
    .symbol:         _ZN7rocprim17ROCPRIM_400000_NS6detail17trampoline_kernelINS0_13select_configILj256ELj13ELNS0_17block_load_methodE3ELS4_3ELS4_3ELNS0_20block_scan_algorithmE0ELj4294967295EEENS1_25partition_config_selectorILNS1_17partition_subalgoE4EjNS0_10empty_typeEbEEZZNS1_14partition_implILS8_4ELb0ES6_15HIP_vector_typeIjLj2EENS0_17counting_iteratorIjlEEPS9_SG_NS0_5tupleIJPjSI_NS0_16reverse_iteratorISI_EEEEENSH_IJSG_SG_SG_EEES9_SI_JZNS1_25segmented_radix_sort_implINS0_14default_configELb1EPKlPlSQ_SR_N2at6native12_GLOBAL__N_18offset_tEEE10hipError_tPvRmT1_PNSt15iterator_traitsISZ_E10value_typeET2_T3_PNS10_IS15_E10value_typeET4_jRbjT5_S1B_jjP12ihipStream_tbEUljE_ZNSN_ISO_Lb1ESQ_SR_SQ_SR_SV_EESW_SX_SY_SZ_S13_S14_S15_S18_S19_jS1A_jS1B_S1B_jjS1D_bEUljE0_EEESW_SX_SY_S15_S19_S1B_T6_T7_T9_mT8_S1D_bDpT10_ENKUlT_T0_E_clISt17integral_constantIbLb1EES1Q_IbLb0EEEEDaS1M_S1N_EUlS1M_E_NS1_11comp_targetILNS1_3genE4ELNS1_11target_archE910ELNS1_3gpuE8ELNS1_3repE0EEENS1_30default_config_static_selectorELNS0_4arch9wavefront6targetE0EEEvSZ_.kd
    .uniform_work_group_size: 1
    .uses_dynamic_stack: false
    .vgpr_count:     0
    .vgpr_spill_count: 0
    .wavefront_size: 32
  - .args:
      - .offset:         0
        .size:           176
        .value_kind:     by_value
    .group_segment_fixed_size: 0
    .kernarg_segment_align: 8
    .kernarg_segment_size: 176
    .language:       OpenCL C
    .language_version:
      - 2
      - 0
    .max_flat_workgroup_size: 256
    .name:           _ZN7rocprim17ROCPRIM_400000_NS6detail17trampoline_kernelINS0_13select_configILj256ELj13ELNS0_17block_load_methodE3ELS4_3ELS4_3ELNS0_20block_scan_algorithmE0ELj4294967295EEENS1_25partition_config_selectorILNS1_17partition_subalgoE4EjNS0_10empty_typeEbEEZZNS1_14partition_implILS8_4ELb0ES6_15HIP_vector_typeIjLj2EENS0_17counting_iteratorIjlEEPS9_SG_NS0_5tupleIJPjSI_NS0_16reverse_iteratorISI_EEEEENSH_IJSG_SG_SG_EEES9_SI_JZNS1_25segmented_radix_sort_implINS0_14default_configELb1EPKlPlSQ_SR_N2at6native12_GLOBAL__N_18offset_tEEE10hipError_tPvRmT1_PNSt15iterator_traitsISZ_E10value_typeET2_T3_PNS10_IS15_E10value_typeET4_jRbjT5_S1B_jjP12ihipStream_tbEUljE_ZNSN_ISO_Lb1ESQ_SR_SQ_SR_SV_EESW_SX_SY_SZ_S13_S14_S15_S18_S19_jS1A_jS1B_S1B_jjS1D_bEUljE0_EEESW_SX_SY_S15_S19_S1B_T6_T7_T9_mT8_S1D_bDpT10_ENKUlT_T0_E_clISt17integral_constantIbLb1EES1Q_IbLb0EEEEDaS1M_S1N_EUlS1M_E_NS1_11comp_targetILNS1_3genE3ELNS1_11target_archE908ELNS1_3gpuE7ELNS1_3repE0EEENS1_30default_config_static_selectorELNS0_4arch9wavefront6targetE0EEEvSZ_
    .private_segment_fixed_size: 0
    .sgpr_count:     0
    .sgpr_spill_count: 0
    .symbol:         _ZN7rocprim17ROCPRIM_400000_NS6detail17trampoline_kernelINS0_13select_configILj256ELj13ELNS0_17block_load_methodE3ELS4_3ELS4_3ELNS0_20block_scan_algorithmE0ELj4294967295EEENS1_25partition_config_selectorILNS1_17partition_subalgoE4EjNS0_10empty_typeEbEEZZNS1_14partition_implILS8_4ELb0ES6_15HIP_vector_typeIjLj2EENS0_17counting_iteratorIjlEEPS9_SG_NS0_5tupleIJPjSI_NS0_16reverse_iteratorISI_EEEEENSH_IJSG_SG_SG_EEES9_SI_JZNS1_25segmented_radix_sort_implINS0_14default_configELb1EPKlPlSQ_SR_N2at6native12_GLOBAL__N_18offset_tEEE10hipError_tPvRmT1_PNSt15iterator_traitsISZ_E10value_typeET2_T3_PNS10_IS15_E10value_typeET4_jRbjT5_S1B_jjP12ihipStream_tbEUljE_ZNSN_ISO_Lb1ESQ_SR_SQ_SR_SV_EESW_SX_SY_SZ_S13_S14_S15_S18_S19_jS1A_jS1B_S1B_jjS1D_bEUljE0_EEESW_SX_SY_S15_S19_S1B_T6_T7_T9_mT8_S1D_bDpT10_ENKUlT_T0_E_clISt17integral_constantIbLb1EES1Q_IbLb0EEEEDaS1M_S1N_EUlS1M_E_NS1_11comp_targetILNS1_3genE3ELNS1_11target_archE908ELNS1_3gpuE7ELNS1_3repE0EEENS1_30default_config_static_selectorELNS0_4arch9wavefront6targetE0EEEvSZ_.kd
    .uniform_work_group_size: 1
    .uses_dynamic_stack: false
    .vgpr_count:     0
    .vgpr_spill_count: 0
    .wavefront_size: 32
  - .args:
      - .offset:         0
        .size:           176
        .value_kind:     by_value
    .group_segment_fixed_size: 0
    .kernarg_segment_align: 8
    .kernarg_segment_size: 176
    .language:       OpenCL C
    .language_version:
      - 2
      - 0
    .max_flat_workgroup_size: 256
    .name:           _ZN7rocprim17ROCPRIM_400000_NS6detail17trampoline_kernelINS0_13select_configILj256ELj13ELNS0_17block_load_methodE3ELS4_3ELS4_3ELNS0_20block_scan_algorithmE0ELj4294967295EEENS1_25partition_config_selectorILNS1_17partition_subalgoE4EjNS0_10empty_typeEbEEZZNS1_14partition_implILS8_4ELb0ES6_15HIP_vector_typeIjLj2EENS0_17counting_iteratorIjlEEPS9_SG_NS0_5tupleIJPjSI_NS0_16reverse_iteratorISI_EEEEENSH_IJSG_SG_SG_EEES9_SI_JZNS1_25segmented_radix_sort_implINS0_14default_configELb1EPKlPlSQ_SR_N2at6native12_GLOBAL__N_18offset_tEEE10hipError_tPvRmT1_PNSt15iterator_traitsISZ_E10value_typeET2_T3_PNS10_IS15_E10value_typeET4_jRbjT5_S1B_jjP12ihipStream_tbEUljE_ZNSN_ISO_Lb1ESQ_SR_SQ_SR_SV_EESW_SX_SY_SZ_S13_S14_S15_S18_S19_jS1A_jS1B_S1B_jjS1D_bEUljE0_EEESW_SX_SY_S15_S19_S1B_T6_T7_T9_mT8_S1D_bDpT10_ENKUlT_T0_E_clISt17integral_constantIbLb1EES1Q_IbLb0EEEEDaS1M_S1N_EUlS1M_E_NS1_11comp_targetILNS1_3genE2ELNS1_11target_archE906ELNS1_3gpuE6ELNS1_3repE0EEENS1_30default_config_static_selectorELNS0_4arch9wavefront6targetE0EEEvSZ_
    .private_segment_fixed_size: 0
    .sgpr_count:     0
    .sgpr_spill_count: 0
    .symbol:         _ZN7rocprim17ROCPRIM_400000_NS6detail17trampoline_kernelINS0_13select_configILj256ELj13ELNS0_17block_load_methodE3ELS4_3ELS4_3ELNS0_20block_scan_algorithmE0ELj4294967295EEENS1_25partition_config_selectorILNS1_17partition_subalgoE4EjNS0_10empty_typeEbEEZZNS1_14partition_implILS8_4ELb0ES6_15HIP_vector_typeIjLj2EENS0_17counting_iteratorIjlEEPS9_SG_NS0_5tupleIJPjSI_NS0_16reverse_iteratorISI_EEEEENSH_IJSG_SG_SG_EEES9_SI_JZNS1_25segmented_radix_sort_implINS0_14default_configELb1EPKlPlSQ_SR_N2at6native12_GLOBAL__N_18offset_tEEE10hipError_tPvRmT1_PNSt15iterator_traitsISZ_E10value_typeET2_T3_PNS10_IS15_E10value_typeET4_jRbjT5_S1B_jjP12ihipStream_tbEUljE_ZNSN_ISO_Lb1ESQ_SR_SQ_SR_SV_EESW_SX_SY_SZ_S13_S14_S15_S18_S19_jS1A_jS1B_S1B_jjS1D_bEUljE0_EEESW_SX_SY_S15_S19_S1B_T6_T7_T9_mT8_S1D_bDpT10_ENKUlT_T0_E_clISt17integral_constantIbLb1EES1Q_IbLb0EEEEDaS1M_S1N_EUlS1M_E_NS1_11comp_targetILNS1_3genE2ELNS1_11target_archE906ELNS1_3gpuE6ELNS1_3repE0EEENS1_30default_config_static_selectorELNS0_4arch9wavefront6targetE0EEEvSZ_.kd
    .uniform_work_group_size: 1
    .uses_dynamic_stack: false
    .vgpr_count:     0
    .vgpr_spill_count: 0
    .wavefront_size: 32
  - .args:
      - .offset:         0
        .size:           176
        .value_kind:     by_value
    .group_segment_fixed_size: 0
    .kernarg_segment_align: 8
    .kernarg_segment_size: 176
    .language:       OpenCL C
    .language_version:
      - 2
      - 0
    .max_flat_workgroup_size: 256
    .name:           _ZN7rocprim17ROCPRIM_400000_NS6detail17trampoline_kernelINS0_13select_configILj256ELj13ELNS0_17block_load_methodE3ELS4_3ELS4_3ELNS0_20block_scan_algorithmE0ELj4294967295EEENS1_25partition_config_selectorILNS1_17partition_subalgoE4EjNS0_10empty_typeEbEEZZNS1_14partition_implILS8_4ELb0ES6_15HIP_vector_typeIjLj2EENS0_17counting_iteratorIjlEEPS9_SG_NS0_5tupleIJPjSI_NS0_16reverse_iteratorISI_EEEEENSH_IJSG_SG_SG_EEES9_SI_JZNS1_25segmented_radix_sort_implINS0_14default_configELb1EPKlPlSQ_SR_N2at6native12_GLOBAL__N_18offset_tEEE10hipError_tPvRmT1_PNSt15iterator_traitsISZ_E10value_typeET2_T3_PNS10_IS15_E10value_typeET4_jRbjT5_S1B_jjP12ihipStream_tbEUljE_ZNSN_ISO_Lb1ESQ_SR_SQ_SR_SV_EESW_SX_SY_SZ_S13_S14_S15_S18_S19_jS1A_jS1B_S1B_jjS1D_bEUljE0_EEESW_SX_SY_S15_S19_S1B_T6_T7_T9_mT8_S1D_bDpT10_ENKUlT_T0_E_clISt17integral_constantIbLb1EES1Q_IbLb0EEEEDaS1M_S1N_EUlS1M_E_NS1_11comp_targetILNS1_3genE10ELNS1_11target_archE1200ELNS1_3gpuE4ELNS1_3repE0EEENS1_30default_config_static_selectorELNS0_4arch9wavefront6targetE0EEEvSZ_
    .private_segment_fixed_size: 0
    .sgpr_count:     0
    .sgpr_spill_count: 0
    .symbol:         _ZN7rocprim17ROCPRIM_400000_NS6detail17trampoline_kernelINS0_13select_configILj256ELj13ELNS0_17block_load_methodE3ELS4_3ELS4_3ELNS0_20block_scan_algorithmE0ELj4294967295EEENS1_25partition_config_selectorILNS1_17partition_subalgoE4EjNS0_10empty_typeEbEEZZNS1_14partition_implILS8_4ELb0ES6_15HIP_vector_typeIjLj2EENS0_17counting_iteratorIjlEEPS9_SG_NS0_5tupleIJPjSI_NS0_16reverse_iteratorISI_EEEEENSH_IJSG_SG_SG_EEES9_SI_JZNS1_25segmented_radix_sort_implINS0_14default_configELb1EPKlPlSQ_SR_N2at6native12_GLOBAL__N_18offset_tEEE10hipError_tPvRmT1_PNSt15iterator_traitsISZ_E10value_typeET2_T3_PNS10_IS15_E10value_typeET4_jRbjT5_S1B_jjP12ihipStream_tbEUljE_ZNSN_ISO_Lb1ESQ_SR_SQ_SR_SV_EESW_SX_SY_SZ_S13_S14_S15_S18_S19_jS1A_jS1B_S1B_jjS1D_bEUljE0_EEESW_SX_SY_S15_S19_S1B_T6_T7_T9_mT8_S1D_bDpT10_ENKUlT_T0_E_clISt17integral_constantIbLb1EES1Q_IbLb0EEEEDaS1M_S1N_EUlS1M_E_NS1_11comp_targetILNS1_3genE10ELNS1_11target_archE1200ELNS1_3gpuE4ELNS1_3repE0EEENS1_30default_config_static_selectorELNS0_4arch9wavefront6targetE0EEEvSZ_.kd
    .uniform_work_group_size: 1
    .uses_dynamic_stack: false
    .vgpr_count:     0
    .vgpr_spill_count: 0
    .wavefront_size: 32
  - .args:
      - .offset:         0
        .size:           176
        .value_kind:     by_value
    .group_segment_fixed_size: 0
    .kernarg_segment_align: 8
    .kernarg_segment_size: 176
    .language:       OpenCL C
    .language_version:
      - 2
      - 0
    .max_flat_workgroup_size: 256
    .name:           _ZN7rocprim17ROCPRIM_400000_NS6detail17trampoline_kernelINS0_13select_configILj256ELj13ELNS0_17block_load_methodE3ELS4_3ELS4_3ELNS0_20block_scan_algorithmE0ELj4294967295EEENS1_25partition_config_selectorILNS1_17partition_subalgoE4EjNS0_10empty_typeEbEEZZNS1_14partition_implILS8_4ELb0ES6_15HIP_vector_typeIjLj2EENS0_17counting_iteratorIjlEEPS9_SG_NS0_5tupleIJPjSI_NS0_16reverse_iteratorISI_EEEEENSH_IJSG_SG_SG_EEES9_SI_JZNS1_25segmented_radix_sort_implINS0_14default_configELb1EPKlPlSQ_SR_N2at6native12_GLOBAL__N_18offset_tEEE10hipError_tPvRmT1_PNSt15iterator_traitsISZ_E10value_typeET2_T3_PNS10_IS15_E10value_typeET4_jRbjT5_S1B_jjP12ihipStream_tbEUljE_ZNSN_ISO_Lb1ESQ_SR_SQ_SR_SV_EESW_SX_SY_SZ_S13_S14_S15_S18_S19_jS1A_jS1B_S1B_jjS1D_bEUljE0_EEESW_SX_SY_S15_S19_S1B_T6_T7_T9_mT8_S1D_bDpT10_ENKUlT_T0_E_clISt17integral_constantIbLb1EES1Q_IbLb0EEEEDaS1M_S1N_EUlS1M_E_NS1_11comp_targetILNS1_3genE9ELNS1_11target_archE1100ELNS1_3gpuE3ELNS1_3repE0EEENS1_30default_config_static_selectorELNS0_4arch9wavefront6targetE0EEEvSZ_
    .private_segment_fixed_size: 0
    .sgpr_count:     0
    .sgpr_spill_count: 0
    .symbol:         _ZN7rocprim17ROCPRIM_400000_NS6detail17trampoline_kernelINS0_13select_configILj256ELj13ELNS0_17block_load_methodE3ELS4_3ELS4_3ELNS0_20block_scan_algorithmE0ELj4294967295EEENS1_25partition_config_selectorILNS1_17partition_subalgoE4EjNS0_10empty_typeEbEEZZNS1_14partition_implILS8_4ELb0ES6_15HIP_vector_typeIjLj2EENS0_17counting_iteratorIjlEEPS9_SG_NS0_5tupleIJPjSI_NS0_16reverse_iteratorISI_EEEEENSH_IJSG_SG_SG_EEES9_SI_JZNS1_25segmented_radix_sort_implINS0_14default_configELb1EPKlPlSQ_SR_N2at6native12_GLOBAL__N_18offset_tEEE10hipError_tPvRmT1_PNSt15iterator_traitsISZ_E10value_typeET2_T3_PNS10_IS15_E10value_typeET4_jRbjT5_S1B_jjP12ihipStream_tbEUljE_ZNSN_ISO_Lb1ESQ_SR_SQ_SR_SV_EESW_SX_SY_SZ_S13_S14_S15_S18_S19_jS1A_jS1B_S1B_jjS1D_bEUljE0_EEESW_SX_SY_S15_S19_S1B_T6_T7_T9_mT8_S1D_bDpT10_ENKUlT_T0_E_clISt17integral_constantIbLb1EES1Q_IbLb0EEEEDaS1M_S1N_EUlS1M_E_NS1_11comp_targetILNS1_3genE9ELNS1_11target_archE1100ELNS1_3gpuE3ELNS1_3repE0EEENS1_30default_config_static_selectorELNS0_4arch9wavefront6targetE0EEEvSZ_.kd
    .uniform_work_group_size: 1
    .uses_dynamic_stack: false
    .vgpr_count:     0
    .vgpr_spill_count: 0
    .wavefront_size: 32
  - .args:
      - .offset:         0
        .size:           176
        .value_kind:     by_value
    .group_segment_fixed_size: 0
    .kernarg_segment_align: 8
    .kernarg_segment_size: 176
    .language:       OpenCL C
    .language_version:
      - 2
      - 0
    .max_flat_workgroup_size: 256
    .name:           _ZN7rocprim17ROCPRIM_400000_NS6detail17trampoline_kernelINS0_13select_configILj256ELj13ELNS0_17block_load_methodE3ELS4_3ELS4_3ELNS0_20block_scan_algorithmE0ELj4294967295EEENS1_25partition_config_selectorILNS1_17partition_subalgoE4EjNS0_10empty_typeEbEEZZNS1_14partition_implILS8_4ELb0ES6_15HIP_vector_typeIjLj2EENS0_17counting_iteratorIjlEEPS9_SG_NS0_5tupleIJPjSI_NS0_16reverse_iteratorISI_EEEEENSH_IJSG_SG_SG_EEES9_SI_JZNS1_25segmented_radix_sort_implINS0_14default_configELb1EPKlPlSQ_SR_N2at6native12_GLOBAL__N_18offset_tEEE10hipError_tPvRmT1_PNSt15iterator_traitsISZ_E10value_typeET2_T3_PNS10_IS15_E10value_typeET4_jRbjT5_S1B_jjP12ihipStream_tbEUljE_ZNSN_ISO_Lb1ESQ_SR_SQ_SR_SV_EESW_SX_SY_SZ_S13_S14_S15_S18_S19_jS1A_jS1B_S1B_jjS1D_bEUljE0_EEESW_SX_SY_S15_S19_S1B_T6_T7_T9_mT8_S1D_bDpT10_ENKUlT_T0_E_clISt17integral_constantIbLb1EES1Q_IbLb0EEEEDaS1M_S1N_EUlS1M_E_NS1_11comp_targetILNS1_3genE8ELNS1_11target_archE1030ELNS1_3gpuE2ELNS1_3repE0EEENS1_30default_config_static_selectorELNS0_4arch9wavefront6targetE0EEEvSZ_
    .private_segment_fixed_size: 0
    .sgpr_count:     0
    .sgpr_spill_count: 0
    .symbol:         _ZN7rocprim17ROCPRIM_400000_NS6detail17trampoline_kernelINS0_13select_configILj256ELj13ELNS0_17block_load_methodE3ELS4_3ELS4_3ELNS0_20block_scan_algorithmE0ELj4294967295EEENS1_25partition_config_selectorILNS1_17partition_subalgoE4EjNS0_10empty_typeEbEEZZNS1_14partition_implILS8_4ELb0ES6_15HIP_vector_typeIjLj2EENS0_17counting_iteratorIjlEEPS9_SG_NS0_5tupleIJPjSI_NS0_16reverse_iteratorISI_EEEEENSH_IJSG_SG_SG_EEES9_SI_JZNS1_25segmented_radix_sort_implINS0_14default_configELb1EPKlPlSQ_SR_N2at6native12_GLOBAL__N_18offset_tEEE10hipError_tPvRmT1_PNSt15iterator_traitsISZ_E10value_typeET2_T3_PNS10_IS15_E10value_typeET4_jRbjT5_S1B_jjP12ihipStream_tbEUljE_ZNSN_ISO_Lb1ESQ_SR_SQ_SR_SV_EESW_SX_SY_SZ_S13_S14_S15_S18_S19_jS1A_jS1B_S1B_jjS1D_bEUljE0_EEESW_SX_SY_S15_S19_S1B_T6_T7_T9_mT8_S1D_bDpT10_ENKUlT_T0_E_clISt17integral_constantIbLb1EES1Q_IbLb0EEEEDaS1M_S1N_EUlS1M_E_NS1_11comp_targetILNS1_3genE8ELNS1_11target_archE1030ELNS1_3gpuE2ELNS1_3repE0EEENS1_30default_config_static_selectorELNS0_4arch9wavefront6targetE0EEEvSZ_.kd
    .uniform_work_group_size: 1
    .uses_dynamic_stack: false
    .vgpr_count:     0
    .vgpr_spill_count: 0
    .wavefront_size: 32
  - .args:
      - .offset:         0
        .size:           184
        .value_kind:     by_value
    .group_segment_fixed_size: 13328
    .kernarg_segment_align: 8
    .kernarg_segment_size: 184
    .language:       OpenCL C
    .language_version:
      - 2
      - 0
    .max_flat_workgroup_size: 256
    .name:           _ZN7rocprim17ROCPRIM_400000_NS6detail17trampoline_kernelINS0_13select_configILj256ELj13ELNS0_17block_load_methodE3ELS4_3ELS4_3ELNS0_20block_scan_algorithmE0ELj4294967295EEENS1_25partition_config_selectorILNS1_17partition_subalgoE4EjNS0_10empty_typeEbEEZZNS1_14partition_implILS8_4ELb0ES6_15HIP_vector_typeIjLj2EENS0_17counting_iteratorIjlEEPS9_SG_NS0_5tupleIJPjSI_NS0_16reverse_iteratorISI_EEEEENSH_IJSG_SG_SG_EEES9_SI_JZNS1_25segmented_radix_sort_implINS0_14default_configELb1EPKlPlSQ_SR_N2at6native12_GLOBAL__N_18offset_tEEE10hipError_tPvRmT1_PNSt15iterator_traitsISZ_E10value_typeET2_T3_PNS10_IS15_E10value_typeET4_jRbjT5_S1B_jjP12ihipStream_tbEUljE_ZNSN_ISO_Lb1ESQ_SR_SQ_SR_SV_EESW_SX_SY_SZ_S13_S14_S15_S18_S19_jS1A_jS1B_S1B_jjS1D_bEUljE0_EEESW_SX_SY_S15_S19_S1B_T6_T7_T9_mT8_S1D_bDpT10_ENKUlT_T0_E_clISt17integral_constantIbLb0EES1Q_IbLb1EEEEDaS1M_S1N_EUlS1M_E_NS1_11comp_targetILNS1_3genE0ELNS1_11target_archE4294967295ELNS1_3gpuE0ELNS1_3repE0EEENS1_30default_config_static_selectorELNS0_4arch9wavefront6targetE0EEEvSZ_
    .private_segment_fixed_size: 0
    .sgpr_count:     57
    .sgpr_spill_count: 0
    .symbol:         _ZN7rocprim17ROCPRIM_400000_NS6detail17trampoline_kernelINS0_13select_configILj256ELj13ELNS0_17block_load_methodE3ELS4_3ELS4_3ELNS0_20block_scan_algorithmE0ELj4294967295EEENS1_25partition_config_selectorILNS1_17partition_subalgoE4EjNS0_10empty_typeEbEEZZNS1_14partition_implILS8_4ELb0ES6_15HIP_vector_typeIjLj2EENS0_17counting_iteratorIjlEEPS9_SG_NS0_5tupleIJPjSI_NS0_16reverse_iteratorISI_EEEEENSH_IJSG_SG_SG_EEES9_SI_JZNS1_25segmented_radix_sort_implINS0_14default_configELb1EPKlPlSQ_SR_N2at6native12_GLOBAL__N_18offset_tEEE10hipError_tPvRmT1_PNSt15iterator_traitsISZ_E10value_typeET2_T3_PNS10_IS15_E10value_typeET4_jRbjT5_S1B_jjP12ihipStream_tbEUljE_ZNSN_ISO_Lb1ESQ_SR_SQ_SR_SV_EESW_SX_SY_SZ_S13_S14_S15_S18_S19_jS1A_jS1B_S1B_jjS1D_bEUljE0_EEESW_SX_SY_S15_S19_S1B_T6_T7_T9_mT8_S1D_bDpT10_ENKUlT_T0_E_clISt17integral_constantIbLb0EES1Q_IbLb1EEEEDaS1M_S1N_EUlS1M_E_NS1_11comp_targetILNS1_3genE0ELNS1_11target_archE4294967295ELNS1_3gpuE0ELNS1_3repE0EEENS1_30default_config_static_selectorELNS0_4arch9wavefront6targetE0EEEvSZ_.kd
    .uniform_work_group_size: 1
    .uses_dynamic_stack: false
    .vgpr_count:     86
    .vgpr_spill_count: 0
    .wavefront_size: 32
  - .args:
      - .offset:         0
        .size:           184
        .value_kind:     by_value
    .group_segment_fixed_size: 0
    .kernarg_segment_align: 8
    .kernarg_segment_size: 184
    .language:       OpenCL C
    .language_version:
      - 2
      - 0
    .max_flat_workgroup_size: 256
    .name:           _ZN7rocprim17ROCPRIM_400000_NS6detail17trampoline_kernelINS0_13select_configILj256ELj13ELNS0_17block_load_methodE3ELS4_3ELS4_3ELNS0_20block_scan_algorithmE0ELj4294967295EEENS1_25partition_config_selectorILNS1_17partition_subalgoE4EjNS0_10empty_typeEbEEZZNS1_14partition_implILS8_4ELb0ES6_15HIP_vector_typeIjLj2EENS0_17counting_iteratorIjlEEPS9_SG_NS0_5tupleIJPjSI_NS0_16reverse_iteratorISI_EEEEENSH_IJSG_SG_SG_EEES9_SI_JZNS1_25segmented_radix_sort_implINS0_14default_configELb1EPKlPlSQ_SR_N2at6native12_GLOBAL__N_18offset_tEEE10hipError_tPvRmT1_PNSt15iterator_traitsISZ_E10value_typeET2_T3_PNS10_IS15_E10value_typeET4_jRbjT5_S1B_jjP12ihipStream_tbEUljE_ZNSN_ISO_Lb1ESQ_SR_SQ_SR_SV_EESW_SX_SY_SZ_S13_S14_S15_S18_S19_jS1A_jS1B_S1B_jjS1D_bEUljE0_EEESW_SX_SY_S15_S19_S1B_T6_T7_T9_mT8_S1D_bDpT10_ENKUlT_T0_E_clISt17integral_constantIbLb0EES1Q_IbLb1EEEEDaS1M_S1N_EUlS1M_E_NS1_11comp_targetILNS1_3genE5ELNS1_11target_archE942ELNS1_3gpuE9ELNS1_3repE0EEENS1_30default_config_static_selectorELNS0_4arch9wavefront6targetE0EEEvSZ_
    .private_segment_fixed_size: 0
    .sgpr_count:     0
    .sgpr_spill_count: 0
    .symbol:         _ZN7rocprim17ROCPRIM_400000_NS6detail17trampoline_kernelINS0_13select_configILj256ELj13ELNS0_17block_load_methodE3ELS4_3ELS4_3ELNS0_20block_scan_algorithmE0ELj4294967295EEENS1_25partition_config_selectorILNS1_17partition_subalgoE4EjNS0_10empty_typeEbEEZZNS1_14partition_implILS8_4ELb0ES6_15HIP_vector_typeIjLj2EENS0_17counting_iteratorIjlEEPS9_SG_NS0_5tupleIJPjSI_NS0_16reverse_iteratorISI_EEEEENSH_IJSG_SG_SG_EEES9_SI_JZNS1_25segmented_radix_sort_implINS0_14default_configELb1EPKlPlSQ_SR_N2at6native12_GLOBAL__N_18offset_tEEE10hipError_tPvRmT1_PNSt15iterator_traitsISZ_E10value_typeET2_T3_PNS10_IS15_E10value_typeET4_jRbjT5_S1B_jjP12ihipStream_tbEUljE_ZNSN_ISO_Lb1ESQ_SR_SQ_SR_SV_EESW_SX_SY_SZ_S13_S14_S15_S18_S19_jS1A_jS1B_S1B_jjS1D_bEUljE0_EEESW_SX_SY_S15_S19_S1B_T6_T7_T9_mT8_S1D_bDpT10_ENKUlT_T0_E_clISt17integral_constantIbLb0EES1Q_IbLb1EEEEDaS1M_S1N_EUlS1M_E_NS1_11comp_targetILNS1_3genE5ELNS1_11target_archE942ELNS1_3gpuE9ELNS1_3repE0EEENS1_30default_config_static_selectorELNS0_4arch9wavefront6targetE0EEEvSZ_.kd
    .uniform_work_group_size: 1
    .uses_dynamic_stack: false
    .vgpr_count:     0
    .vgpr_spill_count: 0
    .wavefront_size: 32
  - .args:
      - .offset:         0
        .size:           184
        .value_kind:     by_value
    .group_segment_fixed_size: 0
    .kernarg_segment_align: 8
    .kernarg_segment_size: 184
    .language:       OpenCL C
    .language_version:
      - 2
      - 0
    .max_flat_workgroup_size: 256
    .name:           _ZN7rocprim17ROCPRIM_400000_NS6detail17trampoline_kernelINS0_13select_configILj256ELj13ELNS0_17block_load_methodE3ELS4_3ELS4_3ELNS0_20block_scan_algorithmE0ELj4294967295EEENS1_25partition_config_selectorILNS1_17partition_subalgoE4EjNS0_10empty_typeEbEEZZNS1_14partition_implILS8_4ELb0ES6_15HIP_vector_typeIjLj2EENS0_17counting_iteratorIjlEEPS9_SG_NS0_5tupleIJPjSI_NS0_16reverse_iteratorISI_EEEEENSH_IJSG_SG_SG_EEES9_SI_JZNS1_25segmented_radix_sort_implINS0_14default_configELb1EPKlPlSQ_SR_N2at6native12_GLOBAL__N_18offset_tEEE10hipError_tPvRmT1_PNSt15iterator_traitsISZ_E10value_typeET2_T3_PNS10_IS15_E10value_typeET4_jRbjT5_S1B_jjP12ihipStream_tbEUljE_ZNSN_ISO_Lb1ESQ_SR_SQ_SR_SV_EESW_SX_SY_SZ_S13_S14_S15_S18_S19_jS1A_jS1B_S1B_jjS1D_bEUljE0_EEESW_SX_SY_S15_S19_S1B_T6_T7_T9_mT8_S1D_bDpT10_ENKUlT_T0_E_clISt17integral_constantIbLb0EES1Q_IbLb1EEEEDaS1M_S1N_EUlS1M_E_NS1_11comp_targetILNS1_3genE4ELNS1_11target_archE910ELNS1_3gpuE8ELNS1_3repE0EEENS1_30default_config_static_selectorELNS0_4arch9wavefront6targetE0EEEvSZ_
    .private_segment_fixed_size: 0
    .sgpr_count:     0
    .sgpr_spill_count: 0
    .symbol:         _ZN7rocprim17ROCPRIM_400000_NS6detail17trampoline_kernelINS0_13select_configILj256ELj13ELNS0_17block_load_methodE3ELS4_3ELS4_3ELNS0_20block_scan_algorithmE0ELj4294967295EEENS1_25partition_config_selectorILNS1_17partition_subalgoE4EjNS0_10empty_typeEbEEZZNS1_14partition_implILS8_4ELb0ES6_15HIP_vector_typeIjLj2EENS0_17counting_iteratorIjlEEPS9_SG_NS0_5tupleIJPjSI_NS0_16reverse_iteratorISI_EEEEENSH_IJSG_SG_SG_EEES9_SI_JZNS1_25segmented_radix_sort_implINS0_14default_configELb1EPKlPlSQ_SR_N2at6native12_GLOBAL__N_18offset_tEEE10hipError_tPvRmT1_PNSt15iterator_traitsISZ_E10value_typeET2_T3_PNS10_IS15_E10value_typeET4_jRbjT5_S1B_jjP12ihipStream_tbEUljE_ZNSN_ISO_Lb1ESQ_SR_SQ_SR_SV_EESW_SX_SY_SZ_S13_S14_S15_S18_S19_jS1A_jS1B_S1B_jjS1D_bEUljE0_EEESW_SX_SY_S15_S19_S1B_T6_T7_T9_mT8_S1D_bDpT10_ENKUlT_T0_E_clISt17integral_constantIbLb0EES1Q_IbLb1EEEEDaS1M_S1N_EUlS1M_E_NS1_11comp_targetILNS1_3genE4ELNS1_11target_archE910ELNS1_3gpuE8ELNS1_3repE0EEENS1_30default_config_static_selectorELNS0_4arch9wavefront6targetE0EEEvSZ_.kd
    .uniform_work_group_size: 1
    .uses_dynamic_stack: false
    .vgpr_count:     0
    .vgpr_spill_count: 0
    .wavefront_size: 32
  - .args:
      - .offset:         0
        .size:           184
        .value_kind:     by_value
    .group_segment_fixed_size: 0
    .kernarg_segment_align: 8
    .kernarg_segment_size: 184
    .language:       OpenCL C
    .language_version:
      - 2
      - 0
    .max_flat_workgroup_size: 256
    .name:           _ZN7rocprim17ROCPRIM_400000_NS6detail17trampoline_kernelINS0_13select_configILj256ELj13ELNS0_17block_load_methodE3ELS4_3ELS4_3ELNS0_20block_scan_algorithmE0ELj4294967295EEENS1_25partition_config_selectorILNS1_17partition_subalgoE4EjNS0_10empty_typeEbEEZZNS1_14partition_implILS8_4ELb0ES6_15HIP_vector_typeIjLj2EENS0_17counting_iteratorIjlEEPS9_SG_NS0_5tupleIJPjSI_NS0_16reverse_iteratorISI_EEEEENSH_IJSG_SG_SG_EEES9_SI_JZNS1_25segmented_radix_sort_implINS0_14default_configELb1EPKlPlSQ_SR_N2at6native12_GLOBAL__N_18offset_tEEE10hipError_tPvRmT1_PNSt15iterator_traitsISZ_E10value_typeET2_T3_PNS10_IS15_E10value_typeET4_jRbjT5_S1B_jjP12ihipStream_tbEUljE_ZNSN_ISO_Lb1ESQ_SR_SQ_SR_SV_EESW_SX_SY_SZ_S13_S14_S15_S18_S19_jS1A_jS1B_S1B_jjS1D_bEUljE0_EEESW_SX_SY_S15_S19_S1B_T6_T7_T9_mT8_S1D_bDpT10_ENKUlT_T0_E_clISt17integral_constantIbLb0EES1Q_IbLb1EEEEDaS1M_S1N_EUlS1M_E_NS1_11comp_targetILNS1_3genE3ELNS1_11target_archE908ELNS1_3gpuE7ELNS1_3repE0EEENS1_30default_config_static_selectorELNS0_4arch9wavefront6targetE0EEEvSZ_
    .private_segment_fixed_size: 0
    .sgpr_count:     0
    .sgpr_spill_count: 0
    .symbol:         _ZN7rocprim17ROCPRIM_400000_NS6detail17trampoline_kernelINS0_13select_configILj256ELj13ELNS0_17block_load_methodE3ELS4_3ELS4_3ELNS0_20block_scan_algorithmE0ELj4294967295EEENS1_25partition_config_selectorILNS1_17partition_subalgoE4EjNS0_10empty_typeEbEEZZNS1_14partition_implILS8_4ELb0ES6_15HIP_vector_typeIjLj2EENS0_17counting_iteratorIjlEEPS9_SG_NS0_5tupleIJPjSI_NS0_16reverse_iteratorISI_EEEEENSH_IJSG_SG_SG_EEES9_SI_JZNS1_25segmented_radix_sort_implINS0_14default_configELb1EPKlPlSQ_SR_N2at6native12_GLOBAL__N_18offset_tEEE10hipError_tPvRmT1_PNSt15iterator_traitsISZ_E10value_typeET2_T3_PNS10_IS15_E10value_typeET4_jRbjT5_S1B_jjP12ihipStream_tbEUljE_ZNSN_ISO_Lb1ESQ_SR_SQ_SR_SV_EESW_SX_SY_SZ_S13_S14_S15_S18_S19_jS1A_jS1B_S1B_jjS1D_bEUljE0_EEESW_SX_SY_S15_S19_S1B_T6_T7_T9_mT8_S1D_bDpT10_ENKUlT_T0_E_clISt17integral_constantIbLb0EES1Q_IbLb1EEEEDaS1M_S1N_EUlS1M_E_NS1_11comp_targetILNS1_3genE3ELNS1_11target_archE908ELNS1_3gpuE7ELNS1_3repE0EEENS1_30default_config_static_selectorELNS0_4arch9wavefront6targetE0EEEvSZ_.kd
    .uniform_work_group_size: 1
    .uses_dynamic_stack: false
    .vgpr_count:     0
    .vgpr_spill_count: 0
    .wavefront_size: 32
  - .args:
      - .offset:         0
        .size:           184
        .value_kind:     by_value
    .group_segment_fixed_size: 0
    .kernarg_segment_align: 8
    .kernarg_segment_size: 184
    .language:       OpenCL C
    .language_version:
      - 2
      - 0
    .max_flat_workgroup_size: 256
    .name:           _ZN7rocprim17ROCPRIM_400000_NS6detail17trampoline_kernelINS0_13select_configILj256ELj13ELNS0_17block_load_methodE3ELS4_3ELS4_3ELNS0_20block_scan_algorithmE0ELj4294967295EEENS1_25partition_config_selectorILNS1_17partition_subalgoE4EjNS0_10empty_typeEbEEZZNS1_14partition_implILS8_4ELb0ES6_15HIP_vector_typeIjLj2EENS0_17counting_iteratorIjlEEPS9_SG_NS0_5tupleIJPjSI_NS0_16reverse_iteratorISI_EEEEENSH_IJSG_SG_SG_EEES9_SI_JZNS1_25segmented_radix_sort_implINS0_14default_configELb1EPKlPlSQ_SR_N2at6native12_GLOBAL__N_18offset_tEEE10hipError_tPvRmT1_PNSt15iterator_traitsISZ_E10value_typeET2_T3_PNS10_IS15_E10value_typeET4_jRbjT5_S1B_jjP12ihipStream_tbEUljE_ZNSN_ISO_Lb1ESQ_SR_SQ_SR_SV_EESW_SX_SY_SZ_S13_S14_S15_S18_S19_jS1A_jS1B_S1B_jjS1D_bEUljE0_EEESW_SX_SY_S15_S19_S1B_T6_T7_T9_mT8_S1D_bDpT10_ENKUlT_T0_E_clISt17integral_constantIbLb0EES1Q_IbLb1EEEEDaS1M_S1N_EUlS1M_E_NS1_11comp_targetILNS1_3genE2ELNS1_11target_archE906ELNS1_3gpuE6ELNS1_3repE0EEENS1_30default_config_static_selectorELNS0_4arch9wavefront6targetE0EEEvSZ_
    .private_segment_fixed_size: 0
    .sgpr_count:     0
    .sgpr_spill_count: 0
    .symbol:         _ZN7rocprim17ROCPRIM_400000_NS6detail17trampoline_kernelINS0_13select_configILj256ELj13ELNS0_17block_load_methodE3ELS4_3ELS4_3ELNS0_20block_scan_algorithmE0ELj4294967295EEENS1_25partition_config_selectorILNS1_17partition_subalgoE4EjNS0_10empty_typeEbEEZZNS1_14partition_implILS8_4ELb0ES6_15HIP_vector_typeIjLj2EENS0_17counting_iteratorIjlEEPS9_SG_NS0_5tupleIJPjSI_NS0_16reverse_iteratorISI_EEEEENSH_IJSG_SG_SG_EEES9_SI_JZNS1_25segmented_radix_sort_implINS0_14default_configELb1EPKlPlSQ_SR_N2at6native12_GLOBAL__N_18offset_tEEE10hipError_tPvRmT1_PNSt15iterator_traitsISZ_E10value_typeET2_T3_PNS10_IS15_E10value_typeET4_jRbjT5_S1B_jjP12ihipStream_tbEUljE_ZNSN_ISO_Lb1ESQ_SR_SQ_SR_SV_EESW_SX_SY_SZ_S13_S14_S15_S18_S19_jS1A_jS1B_S1B_jjS1D_bEUljE0_EEESW_SX_SY_S15_S19_S1B_T6_T7_T9_mT8_S1D_bDpT10_ENKUlT_T0_E_clISt17integral_constantIbLb0EES1Q_IbLb1EEEEDaS1M_S1N_EUlS1M_E_NS1_11comp_targetILNS1_3genE2ELNS1_11target_archE906ELNS1_3gpuE6ELNS1_3repE0EEENS1_30default_config_static_selectorELNS0_4arch9wavefront6targetE0EEEvSZ_.kd
    .uniform_work_group_size: 1
    .uses_dynamic_stack: false
    .vgpr_count:     0
    .vgpr_spill_count: 0
    .wavefront_size: 32
  - .args:
      - .offset:         0
        .size:           184
        .value_kind:     by_value
    .group_segment_fixed_size: 0
    .kernarg_segment_align: 8
    .kernarg_segment_size: 184
    .language:       OpenCL C
    .language_version:
      - 2
      - 0
    .max_flat_workgroup_size: 256
    .name:           _ZN7rocprim17ROCPRIM_400000_NS6detail17trampoline_kernelINS0_13select_configILj256ELj13ELNS0_17block_load_methodE3ELS4_3ELS4_3ELNS0_20block_scan_algorithmE0ELj4294967295EEENS1_25partition_config_selectorILNS1_17partition_subalgoE4EjNS0_10empty_typeEbEEZZNS1_14partition_implILS8_4ELb0ES6_15HIP_vector_typeIjLj2EENS0_17counting_iteratorIjlEEPS9_SG_NS0_5tupleIJPjSI_NS0_16reverse_iteratorISI_EEEEENSH_IJSG_SG_SG_EEES9_SI_JZNS1_25segmented_radix_sort_implINS0_14default_configELb1EPKlPlSQ_SR_N2at6native12_GLOBAL__N_18offset_tEEE10hipError_tPvRmT1_PNSt15iterator_traitsISZ_E10value_typeET2_T3_PNS10_IS15_E10value_typeET4_jRbjT5_S1B_jjP12ihipStream_tbEUljE_ZNSN_ISO_Lb1ESQ_SR_SQ_SR_SV_EESW_SX_SY_SZ_S13_S14_S15_S18_S19_jS1A_jS1B_S1B_jjS1D_bEUljE0_EEESW_SX_SY_S15_S19_S1B_T6_T7_T9_mT8_S1D_bDpT10_ENKUlT_T0_E_clISt17integral_constantIbLb0EES1Q_IbLb1EEEEDaS1M_S1N_EUlS1M_E_NS1_11comp_targetILNS1_3genE10ELNS1_11target_archE1200ELNS1_3gpuE4ELNS1_3repE0EEENS1_30default_config_static_selectorELNS0_4arch9wavefront6targetE0EEEvSZ_
    .private_segment_fixed_size: 0
    .sgpr_count:     0
    .sgpr_spill_count: 0
    .symbol:         _ZN7rocprim17ROCPRIM_400000_NS6detail17trampoline_kernelINS0_13select_configILj256ELj13ELNS0_17block_load_methodE3ELS4_3ELS4_3ELNS0_20block_scan_algorithmE0ELj4294967295EEENS1_25partition_config_selectorILNS1_17partition_subalgoE4EjNS0_10empty_typeEbEEZZNS1_14partition_implILS8_4ELb0ES6_15HIP_vector_typeIjLj2EENS0_17counting_iteratorIjlEEPS9_SG_NS0_5tupleIJPjSI_NS0_16reverse_iteratorISI_EEEEENSH_IJSG_SG_SG_EEES9_SI_JZNS1_25segmented_radix_sort_implINS0_14default_configELb1EPKlPlSQ_SR_N2at6native12_GLOBAL__N_18offset_tEEE10hipError_tPvRmT1_PNSt15iterator_traitsISZ_E10value_typeET2_T3_PNS10_IS15_E10value_typeET4_jRbjT5_S1B_jjP12ihipStream_tbEUljE_ZNSN_ISO_Lb1ESQ_SR_SQ_SR_SV_EESW_SX_SY_SZ_S13_S14_S15_S18_S19_jS1A_jS1B_S1B_jjS1D_bEUljE0_EEESW_SX_SY_S15_S19_S1B_T6_T7_T9_mT8_S1D_bDpT10_ENKUlT_T0_E_clISt17integral_constantIbLb0EES1Q_IbLb1EEEEDaS1M_S1N_EUlS1M_E_NS1_11comp_targetILNS1_3genE10ELNS1_11target_archE1200ELNS1_3gpuE4ELNS1_3repE0EEENS1_30default_config_static_selectorELNS0_4arch9wavefront6targetE0EEEvSZ_.kd
    .uniform_work_group_size: 1
    .uses_dynamic_stack: false
    .vgpr_count:     0
    .vgpr_spill_count: 0
    .wavefront_size: 32
  - .args:
      - .offset:         0
        .size:           184
        .value_kind:     by_value
    .group_segment_fixed_size: 0
    .kernarg_segment_align: 8
    .kernarg_segment_size: 184
    .language:       OpenCL C
    .language_version:
      - 2
      - 0
    .max_flat_workgroup_size: 256
    .name:           _ZN7rocprim17ROCPRIM_400000_NS6detail17trampoline_kernelINS0_13select_configILj256ELj13ELNS0_17block_load_methodE3ELS4_3ELS4_3ELNS0_20block_scan_algorithmE0ELj4294967295EEENS1_25partition_config_selectorILNS1_17partition_subalgoE4EjNS0_10empty_typeEbEEZZNS1_14partition_implILS8_4ELb0ES6_15HIP_vector_typeIjLj2EENS0_17counting_iteratorIjlEEPS9_SG_NS0_5tupleIJPjSI_NS0_16reverse_iteratorISI_EEEEENSH_IJSG_SG_SG_EEES9_SI_JZNS1_25segmented_radix_sort_implINS0_14default_configELb1EPKlPlSQ_SR_N2at6native12_GLOBAL__N_18offset_tEEE10hipError_tPvRmT1_PNSt15iterator_traitsISZ_E10value_typeET2_T3_PNS10_IS15_E10value_typeET4_jRbjT5_S1B_jjP12ihipStream_tbEUljE_ZNSN_ISO_Lb1ESQ_SR_SQ_SR_SV_EESW_SX_SY_SZ_S13_S14_S15_S18_S19_jS1A_jS1B_S1B_jjS1D_bEUljE0_EEESW_SX_SY_S15_S19_S1B_T6_T7_T9_mT8_S1D_bDpT10_ENKUlT_T0_E_clISt17integral_constantIbLb0EES1Q_IbLb1EEEEDaS1M_S1N_EUlS1M_E_NS1_11comp_targetILNS1_3genE9ELNS1_11target_archE1100ELNS1_3gpuE3ELNS1_3repE0EEENS1_30default_config_static_selectorELNS0_4arch9wavefront6targetE0EEEvSZ_
    .private_segment_fixed_size: 0
    .sgpr_count:     0
    .sgpr_spill_count: 0
    .symbol:         _ZN7rocprim17ROCPRIM_400000_NS6detail17trampoline_kernelINS0_13select_configILj256ELj13ELNS0_17block_load_methodE3ELS4_3ELS4_3ELNS0_20block_scan_algorithmE0ELj4294967295EEENS1_25partition_config_selectorILNS1_17partition_subalgoE4EjNS0_10empty_typeEbEEZZNS1_14partition_implILS8_4ELb0ES6_15HIP_vector_typeIjLj2EENS0_17counting_iteratorIjlEEPS9_SG_NS0_5tupleIJPjSI_NS0_16reverse_iteratorISI_EEEEENSH_IJSG_SG_SG_EEES9_SI_JZNS1_25segmented_radix_sort_implINS0_14default_configELb1EPKlPlSQ_SR_N2at6native12_GLOBAL__N_18offset_tEEE10hipError_tPvRmT1_PNSt15iterator_traitsISZ_E10value_typeET2_T3_PNS10_IS15_E10value_typeET4_jRbjT5_S1B_jjP12ihipStream_tbEUljE_ZNSN_ISO_Lb1ESQ_SR_SQ_SR_SV_EESW_SX_SY_SZ_S13_S14_S15_S18_S19_jS1A_jS1B_S1B_jjS1D_bEUljE0_EEESW_SX_SY_S15_S19_S1B_T6_T7_T9_mT8_S1D_bDpT10_ENKUlT_T0_E_clISt17integral_constantIbLb0EES1Q_IbLb1EEEEDaS1M_S1N_EUlS1M_E_NS1_11comp_targetILNS1_3genE9ELNS1_11target_archE1100ELNS1_3gpuE3ELNS1_3repE0EEENS1_30default_config_static_selectorELNS0_4arch9wavefront6targetE0EEEvSZ_.kd
    .uniform_work_group_size: 1
    .uses_dynamic_stack: false
    .vgpr_count:     0
    .vgpr_spill_count: 0
    .wavefront_size: 32
  - .args:
      - .offset:         0
        .size:           184
        .value_kind:     by_value
    .group_segment_fixed_size: 0
    .kernarg_segment_align: 8
    .kernarg_segment_size: 184
    .language:       OpenCL C
    .language_version:
      - 2
      - 0
    .max_flat_workgroup_size: 256
    .name:           _ZN7rocprim17ROCPRIM_400000_NS6detail17trampoline_kernelINS0_13select_configILj256ELj13ELNS0_17block_load_methodE3ELS4_3ELS4_3ELNS0_20block_scan_algorithmE0ELj4294967295EEENS1_25partition_config_selectorILNS1_17partition_subalgoE4EjNS0_10empty_typeEbEEZZNS1_14partition_implILS8_4ELb0ES6_15HIP_vector_typeIjLj2EENS0_17counting_iteratorIjlEEPS9_SG_NS0_5tupleIJPjSI_NS0_16reverse_iteratorISI_EEEEENSH_IJSG_SG_SG_EEES9_SI_JZNS1_25segmented_radix_sort_implINS0_14default_configELb1EPKlPlSQ_SR_N2at6native12_GLOBAL__N_18offset_tEEE10hipError_tPvRmT1_PNSt15iterator_traitsISZ_E10value_typeET2_T3_PNS10_IS15_E10value_typeET4_jRbjT5_S1B_jjP12ihipStream_tbEUljE_ZNSN_ISO_Lb1ESQ_SR_SQ_SR_SV_EESW_SX_SY_SZ_S13_S14_S15_S18_S19_jS1A_jS1B_S1B_jjS1D_bEUljE0_EEESW_SX_SY_S15_S19_S1B_T6_T7_T9_mT8_S1D_bDpT10_ENKUlT_T0_E_clISt17integral_constantIbLb0EES1Q_IbLb1EEEEDaS1M_S1N_EUlS1M_E_NS1_11comp_targetILNS1_3genE8ELNS1_11target_archE1030ELNS1_3gpuE2ELNS1_3repE0EEENS1_30default_config_static_selectorELNS0_4arch9wavefront6targetE0EEEvSZ_
    .private_segment_fixed_size: 0
    .sgpr_count:     0
    .sgpr_spill_count: 0
    .symbol:         _ZN7rocprim17ROCPRIM_400000_NS6detail17trampoline_kernelINS0_13select_configILj256ELj13ELNS0_17block_load_methodE3ELS4_3ELS4_3ELNS0_20block_scan_algorithmE0ELj4294967295EEENS1_25partition_config_selectorILNS1_17partition_subalgoE4EjNS0_10empty_typeEbEEZZNS1_14partition_implILS8_4ELb0ES6_15HIP_vector_typeIjLj2EENS0_17counting_iteratorIjlEEPS9_SG_NS0_5tupleIJPjSI_NS0_16reverse_iteratorISI_EEEEENSH_IJSG_SG_SG_EEES9_SI_JZNS1_25segmented_radix_sort_implINS0_14default_configELb1EPKlPlSQ_SR_N2at6native12_GLOBAL__N_18offset_tEEE10hipError_tPvRmT1_PNSt15iterator_traitsISZ_E10value_typeET2_T3_PNS10_IS15_E10value_typeET4_jRbjT5_S1B_jjP12ihipStream_tbEUljE_ZNSN_ISO_Lb1ESQ_SR_SQ_SR_SV_EESW_SX_SY_SZ_S13_S14_S15_S18_S19_jS1A_jS1B_S1B_jjS1D_bEUljE0_EEESW_SX_SY_S15_S19_S1B_T6_T7_T9_mT8_S1D_bDpT10_ENKUlT_T0_E_clISt17integral_constantIbLb0EES1Q_IbLb1EEEEDaS1M_S1N_EUlS1M_E_NS1_11comp_targetILNS1_3genE8ELNS1_11target_archE1030ELNS1_3gpuE2ELNS1_3repE0EEENS1_30default_config_static_selectorELNS0_4arch9wavefront6targetE0EEEvSZ_.kd
    .uniform_work_group_size: 1
    .uses_dynamic_stack: false
    .vgpr_count:     0
    .vgpr_spill_count: 0
    .wavefront_size: 32
  - .args:
      - .offset:         0
        .size:           144
        .value_kind:     by_value
    .group_segment_fixed_size: 13320
    .kernarg_segment_align: 8
    .kernarg_segment_size: 144
    .language:       OpenCL C
    .language_version:
      - 2
      - 0
    .max_flat_workgroup_size: 256
    .name:           _ZN7rocprim17ROCPRIM_400000_NS6detail17trampoline_kernelINS0_13select_configILj256ELj13ELNS0_17block_load_methodE3ELS4_3ELS4_3ELNS0_20block_scan_algorithmE0ELj4294967295EEENS1_25partition_config_selectorILNS1_17partition_subalgoE3EjNS0_10empty_typeEbEEZZNS1_14partition_implILS8_3ELb0ES6_jNS0_17counting_iteratorIjlEEPS9_SE_NS0_5tupleIJPjSE_EEENSF_IJSE_SE_EEES9_SG_JZNS1_25segmented_radix_sort_implINS0_14default_configELb1EPKlPlSM_SN_N2at6native12_GLOBAL__N_18offset_tEEE10hipError_tPvRmT1_PNSt15iterator_traitsISV_E10value_typeET2_T3_PNSW_IS11_E10value_typeET4_jRbjT5_S17_jjP12ihipStream_tbEUljE_EEESS_ST_SU_S11_S15_S17_T6_T7_T9_mT8_S19_bDpT10_ENKUlT_T0_E_clISt17integral_constantIbLb0EES1M_EEDaS1H_S1I_EUlS1H_E_NS1_11comp_targetILNS1_3genE0ELNS1_11target_archE4294967295ELNS1_3gpuE0ELNS1_3repE0EEENS1_30default_config_static_selectorELNS0_4arch9wavefront6targetE0EEEvSV_
    .private_segment_fixed_size: 0
    .sgpr_count:     28
    .sgpr_spill_count: 0
    .symbol:         _ZN7rocprim17ROCPRIM_400000_NS6detail17trampoline_kernelINS0_13select_configILj256ELj13ELNS0_17block_load_methodE3ELS4_3ELS4_3ELNS0_20block_scan_algorithmE0ELj4294967295EEENS1_25partition_config_selectorILNS1_17partition_subalgoE3EjNS0_10empty_typeEbEEZZNS1_14partition_implILS8_3ELb0ES6_jNS0_17counting_iteratorIjlEEPS9_SE_NS0_5tupleIJPjSE_EEENSF_IJSE_SE_EEES9_SG_JZNS1_25segmented_radix_sort_implINS0_14default_configELb1EPKlPlSM_SN_N2at6native12_GLOBAL__N_18offset_tEEE10hipError_tPvRmT1_PNSt15iterator_traitsISV_E10value_typeET2_T3_PNSW_IS11_E10value_typeET4_jRbjT5_S17_jjP12ihipStream_tbEUljE_EEESS_ST_SU_S11_S15_S17_T6_T7_T9_mT8_S19_bDpT10_ENKUlT_T0_E_clISt17integral_constantIbLb0EES1M_EEDaS1H_S1I_EUlS1H_E_NS1_11comp_targetILNS1_3genE0ELNS1_11target_archE4294967295ELNS1_3gpuE0ELNS1_3repE0EEENS1_30default_config_static_selectorELNS0_4arch9wavefront6targetE0EEEvSV_.kd
    .uniform_work_group_size: 1
    .uses_dynamic_stack: false
    .vgpr_count:     69
    .vgpr_spill_count: 0
    .wavefront_size: 32
  - .args:
      - .offset:         0
        .size:           144
        .value_kind:     by_value
    .group_segment_fixed_size: 0
    .kernarg_segment_align: 8
    .kernarg_segment_size: 144
    .language:       OpenCL C
    .language_version:
      - 2
      - 0
    .max_flat_workgroup_size: 256
    .name:           _ZN7rocprim17ROCPRIM_400000_NS6detail17trampoline_kernelINS0_13select_configILj256ELj13ELNS0_17block_load_methodE3ELS4_3ELS4_3ELNS0_20block_scan_algorithmE0ELj4294967295EEENS1_25partition_config_selectorILNS1_17partition_subalgoE3EjNS0_10empty_typeEbEEZZNS1_14partition_implILS8_3ELb0ES6_jNS0_17counting_iteratorIjlEEPS9_SE_NS0_5tupleIJPjSE_EEENSF_IJSE_SE_EEES9_SG_JZNS1_25segmented_radix_sort_implINS0_14default_configELb1EPKlPlSM_SN_N2at6native12_GLOBAL__N_18offset_tEEE10hipError_tPvRmT1_PNSt15iterator_traitsISV_E10value_typeET2_T3_PNSW_IS11_E10value_typeET4_jRbjT5_S17_jjP12ihipStream_tbEUljE_EEESS_ST_SU_S11_S15_S17_T6_T7_T9_mT8_S19_bDpT10_ENKUlT_T0_E_clISt17integral_constantIbLb0EES1M_EEDaS1H_S1I_EUlS1H_E_NS1_11comp_targetILNS1_3genE5ELNS1_11target_archE942ELNS1_3gpuE9ELNS1_3repE0EEENS1_30default_config_static_selectorELNS0_4arch9wavefront6targetE0EEEvSV_
    .private_segment_fixed_size: 0
    .sgpr_count:     0
    .sgpr_spill_count: 0
    .symbol:         _ZN7rocprim17ROCPRIM_400000_NS6detail17trampoline_kernelINS0_13select_configILj256ELj13ELNS0_17block_load_methodE3ELS4_3ELS4_3ELNS0_20block_scan_algorithmE0ELj4294967295EEENS1_25partition_config_selectorILNS1_17partition_subalgoE3EjNS0_10empty_typeEbEEZZNS1_14partition_implILS8_3ELb0ES6_jNS0_17counting_iteratorIjlEEPS9_SE_NS0_5tupleIJPjSE_EEENSF_IJSE_SE_EEES9_SG_JZNS1_25segmented_radix_sort_implINS0_14default_configELb1EPKlPlSM_SN_N2at6native12_GLOBAL__N_18offset_tEEE10hipError_tPvRmT1_PNSt15iterator_traitsISV_E10value_typeET2_T3_PNSW_IS11_E10value_typeET4_jRbjT5_S17_jjP12ihipStream_tbEUljE_EEESS_ST_SU_S11_S15_S17_T6_T7_T9_mT8_S19_bDpT10_ENKUlT_T0_E_clISt17integral_constantIbLb0EES1M_EEDaS1H_S1I_EUlS1H_E_NS1_11comp_targetILNS1_3genE5ELNS1_11target_archE942ELNS1_3gpuE9ELNS1_3repE0EEENS1_30default_config_static_selectorELNS0_4arch9wavefront6targetE0EEEvSV_.kd
    .uniform_work_group_size: 1
    .uses_dynamic_stack: false
    .vgpr_count:     0
    .vgpr_spill_count: 0
    .wavefront_size: 32
  - .args:
      - .offset:         0
        .size:           144
        .value_kind:     by_value
    .group_segment_fixed_size: 0
    .kernarg_segment_align: 8
    .kernarg_segment_size: 144
    .language:       OpenCL C
    .language_version:
      - 2
      - 0
    .max_flat_workgroup_size: 256
    .name:           _ZN7rocprim17ROCPRIM_400000_NS6detail17trampoline_kernelINS0_13select_configILj256ELj13ELNS0_17block_load_methodE3ELS4_3ELS4_3ELNS0_20block_scan_algorithmE0ELj4294967295EEENS1_25partition_config_selectorILNS1_17partition_subalgoE3EjNS0_10empty_typeEbEEZZNS1_14partition_implILS8_3ELb0ES6_jNS0_17counting_iteratorIjlEEPS9_SE_NS0_5tupleIJPjSE_EEENSF_IJSE_SE_EEES9_SG_JZNS1_25segmented_radix_sort_implINS0_14default_configELb1EPKlPlSM_SN_N2at6native12_GLOBAL__N_18offset_tEEE10hipError_tPvRmT1_PNSt15iterator_traitsISV_E10value_typeET2_T3_PNSW_IS11_E10value_typeET4_jRbjT5_S17_jjP12ihipStream_tbEUljE_EEESS_ST_SU_S11_S15_S17_T6_T7_T9_mT8_S19_bDpT10_ENKUlT_T0_E_clISt17integral_constantIbLb0EES1M_EEDaS1H_S1I_EUlS1H_E_NS1_11comp_targetILNS1_3genE4ELNS1_11target_archE910ELNS1_3gpuE8ELNS1_3repE0EEENS1_30default_config_static_selectorELNS0_4arch9wavefront6targetE0EEEvSV_
    .private_segment_fixed_size: 0
    .sgpr_count:     0
    .sgpr_spill_count: 0
    .symbol:         _ZN7rocprim17ROCPRIM_400000_NS6detail17trampoline_kernelINS0_13select_configILj256ELj13ELNS0_17block_load_methodE3ELS4_3ELS4_3ELNS0_20block_scan_algorithmE0ELj4294967295EEENS1_25partition_config_selectorILNS1_17partition_subalgoE3EjNS0_10empty_typeEbEEZZNS1_14partition_implILS8_3ELb0ES6_jNS0_17counting_iteratorIjlEEPS9_SE_NS0_5tupleIJPjSE_EEENSF_IJSE_SE_EEES9_SG_JZNS1_25segmented_radix_sort_implINS0_14default_configELb1EPKlPlSM_SN_N2at6native12_GLOBAL__N_18offset_tEEE10hipError_tPvRmT1_PNSt15iterator_traitsISV_E10value_typeET2_T3_PNSW_IS11_E10value_typeET4_jRbjT5_S17_jjP12ihipStream_tbEUljE_EEESS_ST_SU_S11_S15_S17_T6_T7_T9_mT8_S19_bDpT10_ENKUlT_T0_E_clISt17integral_constantIbLb0EES1M_EEDaS1H_S1I_EUlS1H_E_NS1_11comp_targetILNS1_3genE4ELNS1_11target_archE910ELNS1_3gpuE8ELNS1_3repE0EEENS1_30default_config_static_selectorELNS0_4arch9wavefront6targetE0EEEvSV_.kd
    .uniform_work_group_size: 1
    .uses_dynamic_stack: false
    .vgpr_count:     0
    .vgpr_spill_count: 0
    .wavefront_size: 32
  - .args:
      - .offset:         0
        .size:           144
        .value_kind:     by_value
    .group_segment_fixed_size: 0
    .kernarg_segment_align: 8
    .kernarg_segment_size: 144
    .language:       OpenCL C
    .language_version:
      - 2
      - 0
    .max_flat_workgroup_size: 256
    .name:           _ZN7rocprim17ROCPRIM_400000_NS6detail17trampoline_kernelINS0_13select_configILj256ELj13ELNS0_17block_load_methodE3ELS4_3ELS4_3ELNS0_20block_scan_algorithmE0ELj4294967295EEENS1_25partition_config_selectorILNS1_17partition_subalgoE3EjNS0_10empty_typeEbEEZZNS1_14partition_implILS8_3ELb0ES6_jNS0_17counting_iteratorIjlEEPS9_SE_NS0_5tupleIJPjSE_EEENSF_IJSE_SE_EEES9_SG_JZNS1_25segmented_radix_sort_implINS0_14default_configELb1EPKlPlSM_SN_N2at6native12_GLOBAL__N_18offset_tEEE10hipError_tPvRmT1_PNSt15iterator_traitsISV_E10value_typeET2_T3_PNSW_IS11_E10value_typeET4_jRbjT5_S17_jjP12ihipStream_tbEUljE_EEESS_ST_SU_S11_S15_S17_T6_T7_T9_mT8_S19_bDpT10_ENKUlT_T0_E_clISt17integral_constantIbLb0EES1M_EEDaS1H_S1I_EUlS1H_E_NS1_11comp_targetILNS1_3genE3ELNS1_11target_archE908ELNS1_3gpuE7ELNS1_3repE0EEENS1_30default_config_static_selectorELNS0_4arch9wavefront6targetE0EEEvSV_
    .private_segment_fixed_size: 0
    .sgpr_count:     0
    .sgpr_spill_count: 0
    .symbol:         _ZN7rocprim17ROCPRIM_400000_NS6detail17trampoline_kernelINS0_13select_configILj256ELj13ELNS0_17block_load_methodE3ELS4_3ELS4_3ELNS0_20block_scan_algorithmE0ELj4294967295EEENS1_25partition_config_selectorILNS1_17partition_subalgoE3EjNS0_10empty_typeEbEEZZNS1_14partition_implILS8_3ELb0ES6_jNS0_17counting_iteratorIjlEEPS9_SE_NS0_5tupleIJPjSE_EEENSF_IJSE_SE_EEES9_SG_JZNS1_25segmented_radix_sort_implINS0_14default_configELb1EPKlPlSM_SN_N2at6native12_GLOBAL__N_18offset_tEEE10hipError_tPvRmT1_PNSt15iterator_traitsISV_E10value_typeET2_T3_PNSW_IS11_E10value_typeET4_jRbjT5_S17_jjP12ihipStream_tbEUljE_EEESS_ST_SU_S11_S15_S17_T6_T7_T9_mT8_S19_bDpT10_ENKUlT_T0_E_clISt17integral_constantIbLb0EES1M_EEDaS1H_S1I_EUlS1H_E_NS1_11comp_targetILNS1_3genE3ELNS1_11target_archE908ELNS1_3gpuE7ELNS1_3repE0EEENS1_30default_config_static_selectorELNS0_4arch9wavefront6targetE0EEEvSV_.kd
    .uniform_work_group_size: 1
    .uses_dynamic_stack: false
    .vgpr_count:     0
    .vgpr_spill_count: 0
    .wavefront_size: 32
  - .args:
      - .offset:         0
        .size:           144
        .value_kind:     by_value
    .group_segment_fixed_size: 0
    .kernarg_segment_align: 8
    .kernarg_segment_size: 144
    .language:       OpenCL C
    .language_version:
      - 2
      - 0
    .max_flat_workgroup_size: 256
    .name:           _ZN7rocprim17ROCPRIM_400000_NS6detail17trampoline_kernelINS0_13select_configILj256ELj13ELNS0_17block_load_methodE3ELS4_3ELS4_3ELNS0_20block_scan_algorithmE0ELj4294967295EEENS1_25partition_config_selectorILNS1_17partition_subalgoE3EjNS0_10empty_typeEbEEZZNS1_14partition_implILS8_3ELb0ES6_jNS0_17counting_iteratorIjlEEPS9_SE_NS0_5tupleIJPjSE_EEENSF_IJSE_SE_EEES9_SG_JZNS1_25segmented_radix_sort_implINS0_14default_configELb1EPKlPlSM_SN_N2at6native12_GLOBAL__N_18offset_tEEE10hipError_tPvRmT1_PNSt15iterator_traitsISV_E10value_typeET2_T3_PNSW_IS11_E10value_typeET4_jRbjT5_S17_jjP12ihipStream_tbEUljE_EEESS_ST_SU_S11_S15_S17_T6_T7_T9_mT8_S19_bDpT10_ENKUlT_T0_E_clISt17integral_constantIbLb0EES1M_EEDaS1H_S1I_EUlS1H_E_NS1_11comp_targetILNS1_3genE2ELNS1_11target_archE906ELNS1_3gpuE6ELNS1_3repE0EEENS1_30default_config_static_selectorELNS0_4arch9wavefront6targetE0EEEvSV_
    .private_segment_fixed_size: 0
    .sgpr_count:     0
    .sgpr_spill_count: 0
    .symbol:         _ZN7rocprim17ROCPRIM_400000_NS6detail17trampoline_kernelINS0_13select_configILj256ELj13ELNS0_17block_load_methodE3ELS4_3ELS4_3ELNS0_20block_scan_algorithmE0ELj4294967295EEENS1_25partition_config_selectorILNS1_17partition_subalgoE3EjNS0_10empty_typeEbEEZZNS1_14partition_implILS8_3ELb0ES6_jNS0_17counting_iteratorIjlEEPS9_SE_NS0_5tupleIJPjSE_EEENSF_IJSE_SE_EEES9_SG_JZNS1_25segmented_radix_sort_implINS0_14default_configELb1EPKlPlSM_SN_N2at6native12_GLOBAL__N_18offset_tEEE10hipError_tPvRmT1_PNSt15iterator_traitsISV_E10value_typeET2_T3_PNSW_IS11_E10value_typeET4_jRbjT5_S17_jjP12ihipStream_tbEUljE_EEESS_ST_SU_S11_S15_S17_T6_T7_T9_mT8_S19_bDpT10_ENKUlT_T0_E_clISt17integral_constantIbLb0EES1M_EEDaS1H_S1I_EUlS1H_E_NS1_11comp_targetILNS1_3genE2ELNS1_11target_archE906ELNS1_3gpuE6ELNS1_3repE0EEENS1_30default_config_static_selectorELNS0_4arch9wavefront6targetE0EEEvSV_.kd
    .uniform_work_group_size: 1
    .uses_dynamic_stack: false
    .vgpr_count:     0
    .vgpr_spill_count: 0
    .wavefront_size: 32
  - .args:
      - .offset:         0
        .size:           144
        .value_kind:     by_value
    .group_segment_fixed_size: 0
    .kernarg_segment_align: 8
    .kernarg_segment_size: 144
    .language:       OpenCL C
    .language_version:
      - 2
      - 0
    .max_flat_workgroup_size: 256
    .name:           _ZN7rocprim17ROCPRIM_400000_NS6detail17trampoline_kernelINS0_13select_configILj256ELj13ELNS0_17block_load_methodE3ELS4_3ELS4_3ELNS0_20block_scan_algorithmE0ELj4294967295EEENS1_25partition_config_selectorILNS1_17partition_subalgoE3EjNS0_10empty_typeEbEEZZNS1_14partition_implILS8_3ELb0ES6_jNS0_17counting_iteratorIjlEEPS9_SE_NS0_5tupleIJPjSE_EEENSF_IJSE_SE_EEES9_SG_JZNS1_25segmented_radix_sort_implINS0_14default_configELb1EPKlPlSM_SN_N2at6native12_GLOBAL__N_18offset_tEEE10hipError_tPvRmT1_PNSt15iterator_traitsISV_E10value_typeET2_T3_PNSW_IS11_E10value_typeET4_jRbjT5_S17_jjP12ihipStream_tbEUljE_EEESS_ST_SU_S11_S15_S17_T6_T7_T9_mT8_S19_bDpT10_ENKUlT_T0_E_clISt17integral_constantIbLb0EES1M_EEDaS1H_S1I_EUlS1H_E_NS1_11comp_targetILNS1_3genE10ELNS1_11target_archE1200ELNS1_3gpuE4ELNS1_3repE0EEENS1_30default_config_static_selectorELNS0_4arch9wavefront6targetE0EEEvSV_
    .private_segment_fixed_size: 0
    .sgpr_count:     0
    .sgpr_spill_count: 0
    .symbol:         _ZN7rocprim17ROCPRIM_400000_NS6detail17trampoline_kernelINS0_13select_configILj256ELj13ELNS0_17block_load_methodE3ELS4_3ELS4_3ELNS0_20block_scan_algorithmE0ELj4294967295EEENS1_25partition_config_selectorILNS1_17partition_subalgoE3EjNS0_10empty_typeEbEEZZNS1_14partition_implILS8_3ELb0ES6_jNS0_17counting_iteratorIjlEEPS9_SE_NS0_5tupleIJPjSE_EEENSF_IJSE_SE_EEES9_SG_JZNS1_25segmented_radix_sort_implINS0_14default_configELb1EPKlPlSM_SN_N2at6native12_GLOBAL__N_18offset_tEEE10hipError_tPvRmT1_PNSt15iterator_traitsISV_E10value_typeET2_T3_PNSW_IS11_E10value_typeET4_jRbjT5_S17_jjP12ihipStream_tbEUljE_EEESS_ST_SU_S11_S15_S17_T6_T7_T9_mT8_S19_bDpT10_ENKUlT_T0_E_clISt17integral_constantIbLb0EES1M_EEDaS1H_S1I_EUlS1H_E_NS1_11comp_targetILNS1_3genE10ELNS1_11target_archE1200ELNS1_3gpuE4ELNS1_3repE0EEENS1_30default_config_static_selectorELNS0_4arch9wavefront6targetE0EEEvSV_.kd
    .uniform_work_group_size: 1
    .uses_dynamic_stack: false
    .vgpr_count:     0
    .vgpr_spill_count: 0
    .wavefront_size: 32
  - .args:
      - .offset:         0
        .size:           144
        .value_kind:     by_value
    .group_segment_fixed_size: 0
    .kernarg_segment_align: 8
    .kernarg_segment_size: 144
    .language:       OpenCL C
    .language_version:
      - 2
      - 0
    .max_flat_workgroup_size: 256
    .name:           _ZN7rocprim17ROCPRIM_400000_NS6detail17trampoline_kernelINS0_13select_configILj256ELj13ELNS0_17block_load_methodE3ELS4_3ELS4_3ELNS0_20block_scan_algorithmE0ELj4294967295EEENS1_25partition_config_selectorILNS1_17partition_subalgoE3EjNS0_10empty_typeEbEEZZNS1_14partition_implILS8_3ELb0ES6_jNS0_17counting_iteratorIjlEEPS9_SE_NS0_5tupleIJPjSE_EEENSF_IJSE_SE_EEES9_SG_JZNS1_25segmented_radix_sort_implINS0_14default_configELb1EPKlPlSM_SN_N2at6native12_GLOBAL__N_18offset_tEEE10hipError_tPvRmT1_PNSt15iterator_traitsISV_E10value_typeET2_T3_PNSW_IS11_E10value_typeET4_jRbjT5_S17_jjP12ihipStream_tbEUljE_EEESS_ST_SU_S11_S15_S17_T6_T7_T9_mT8_S19_bDpT10_ENKUlT_T0_E_clISt17integral_constantIbLb0EES1M_EEDaS1H_S1I_EUlS1H_E_NS1_11comp_targetILNS1_3genE9ELNS1_11target_archE1100ELNS1_3gpuE3ELNS1_3repE0EEENS1_30default_config_static_selectorELNS0_4arch9wavefront6targetE0EEEvSV_
    .private_segment_fixed_size: 0
    .sgpr_count:     0
    .sgpr_spill_count: 0
    .symbol:         _ZN7rocprim17ROCPRIM_400000_NS6detail17trampoline_kernelINS0_13select_configILj256ELj13ELNS0_17block_load_methodE3ELS4_3ELS4_3ELNS0_20block_scan_algorithmE0ELj4294967295EEENS1_25partition_config_selectorILNS1_17partition_subalgoE3EjNS0_10empty_typeEbEEZZNS1_14partition_implILS8_3ELb0ES6_jNS0_17counting_iteratorIjlEEPS9_SE_NS0_5tupleIJPjSE_EEENSF_IJSE_SE_EEES9_SG_JZNS1_25segmented_radix_sort_implINS0_14default_configELb1EPKlPlSM_SN_N2at6native12_GLOBAL__N_18offset_tEEE10hipError_tPvRmT1_PNSt15iterator_traitsISV_E10value_typeET2_T3_PNSW_IS11_E10value_typeET4_jRbjT5_S17_jjP12ihipStream_tbEUljE_EEESS_ST_SU_S11_S15_S17_T6_T7_T9_mT8_S19_bDpT10_ENKUlT_T0_E_clISt17integral_constantIbLb0EES1M_EEDaS1H_S1I_EUlS1H_E_NS1_11comp_targetILNS1_3genE9ELNS1_11target_archE1100ELNS1_3gpuE3ELNS1_3repE0EEENS1_30default_config_static_selectorELNS0_4arch9wavefront6targetE0EEEvSV_.kd
    .uniform_work_group_size: 1
    .uses_dynamic_stack: false
    .vgpr_count:     0
    .vgpr_spill_count: 0
    .wavefront_size: 32
  - .args:
      - .offset:         0
        .size:           144
        .value_kind:     by_value
    .group_segment_fixed_size: 0
    .kernarg_segment_align: 8
    .kernarg_segment_size: 144
    .language:       OpenCL C
    .language_version:
      - 2
      - 0
    .max_flat_workgroup_size: 256
    .name:           _ZN7rocprim17ROCPRIM_400000_NS6detail17trampoline_kernelINS0_13select_configILj256ELj13ELNS0_17block_load_methodE3ELS4_3ELS4_3ELNS0_20block_scan_algorithmE0ELj4294967295EEENS1_25partition_config_selectorILNS1_17partition_subalgoE3EjNS0_10empty_typeEbEEZZNS1_14partition_implILS8_3ELb0ES6_jNS0_17counting_iteratorIjlEEPS9_SE_NS0_5tupleIJPjSE_EEENSF_IJSE_SE_EEES9_SG_JZNS1_25segmented_radix_sort_implINS0_14default_configELb1EPKlPlSM_SN_N2at6native12_GLOBAL__N_18offset_tEEE10hipError_tPvRmT1_PNSt15iterator_traitsISV_E10value_typeET2_T3_PNSW_IS11_E10value_typeET4_jRbjT5_S17_jjP12ihipStream_tbEUljE_EEESS_ST_SU_S11_S15_S17_T6_T7_T9_mT8_S19_bDpT10_ENKUlT_T0_E_clISt17integral_constantIbLb0EES1M_EEDaS1H_S1I_EUlS1H_E_NS1_11comp_targetILNS1_3genE8ELNS1_11target_archE1030ELNS1_3gpuE2ELNS1_3repE0EEENS1_30default_config_static_selectorELNS0_4arch9wavefront6targetE0EEEvSV_
    .private_segment_fixed_size: 0
    .sgpr_count:     0
    .sgpr_spill_count: 0
    .symbol:         _ZN7rocprim17ROCPRIM_400000_NS6detail17trampoline_kernelINS0_13select_configILj256ELj13ELNS0_17block_load_methodE3ELS4_3ELS4_3ELNS0_20block_scan_algorithmE0ELj4294967295EEENS1_25partition_config_selectorILNS1_17partition_subalgoE3EjNS0_10empty_typeEbEEZZNS1_14partition_implILS8_3ELb0ES6_jNS0_17counting_iteratorIjlEEPS9_SE_NS0_5tupleIJPjSE_EEENSF_IJSE_SE_EEES9_SG_JZNS1_25segmented_radix_sort_implINS0_14default_configELb1EPKlPlSM_SN_N2at6native12_GLOBAL__N_18offset_tEEE10hipError_tPvRmT1_PNSt15iterator_traitsISV_E10value_typeET2_T3_PNSW_IS11_E10value_typeET4_jRbjT5_S17_jjP12ihipStream_tbEUljE_EEESS_ST_SU_S11_S15_S17_T6_T7_T9_mT8_S19_bDpT10_ENKUlT_T0_E_clISt17integral_constantIbLb0EES1M_EEDaS1H_S1I_EUlS1H_E_NS1_11comp_targetILNS1_3genE8ELNS1_11target_archE1030ELNS1_3gpuE2ELNS1_3repE0EEENS1_30default_config_static_selectorELNS0_4arch9wavefront6targetE0EEEvSV_.kd
    .uniform_work_group_size: 1
    .uses_dynamic_stack: false
    .vgpr_count:     0
    .vgpr_spill_count: 0
    .wavefront_size: 32
  - .args:
      - .offset:         0
        .size:           152
        .value_kind:     by_value
    .group_segment_fixed_size: 0
    .kernarg_segment_align: 8
    .kernarg_segment_size: 152
    .language:       OpenCL C
    .language_version:
      - 2
      - 0
    .max_flat_workgroup_size: 256
    .name:           _ZN7rocprim17ROCPRIM_400000_NS6detail17trampoline_kernelINS0_13select_configILj256ELj13ELNS0_17block_load_methodE3ELS4_3ELS4_3ELNS0_20block_scan_algorithmE0ELj4294967295EEENS1_25partition_config_selectorILNS1_17partition_subalgoE3EjNS0_10empty_typeEbEEZZNS1_14partition_implILS8_3ELb0ES6_jNS0_17counting_iteratorIjlEEPS9_SE_NS0_5tupleIJPjSE_EEENSF_IJSE_SE_EEES9_SG_JZNS1_25segmented_radix_sort_implINS0_14default_configELb1EPKlPlSM_SN_N2at6native12_GLOBAL__N_18offset_tEEE10hipError_tPvRmT1_PNSt15iterator_traitsISV_E10value_typeET2_T3_PNSW_IS11_E10value_typeET4_jRbjT5_S17_jjP12ihipStream_tbEUljE_EEESS_ST_SU_S11_S15_S17_T6_T7_T9_mT8_S19_bDpT10_ENKUlT_T0_E_clISt17integral_constantIbLb1EES1M_EEDaS1H_S1I_EUlS1H_E_NS1_11comp_targetILNS1_3genE0ELNS1_11target_archE4294967295ELNS1_3gpuE0ELNS1_3repE0EEENS1_30default_config_static_selectorELNS0_4arch9wavefront6targetE0EEEvSV_
    .private_segment_fixed_size: 0
    .sgpr_count:     0
    .sgpr_spill_count: 0
    .symbol:         _ZN7rocprim17ROCPRIM_400000_NS6detail17trampoline_kernelINS0_13select_configILj256ELj13ELNS0_17block_load_methodE3ELS4_3ELS4_3ELNS0_20block_scan_algorithmE0ELj4294967295EEENS1_25partition_config_selectorILNS1_17partition_subalgoE3EjNS0_10empty_typeEbEEZZNS1_14partition_implILS8_3ELb0ES6_jNS0_17counting_iteratorIjlEEPS9_SE_NS0_5tupleIJPjSE_EEENSF_IJSE_SE_EEES9_SG_JZNS1_25segmented_radix_sort_implINS0_14default_configELb1EPKlPlSM_SN_N2at6native12_GLOBAL__N_18offset_tEEE10hipError_tPvRmT1_PNSt15iterator_traitsISV_E10value_typeET2_T3_PNSW_IS11_E10value_typeET4_jRbjT5_S17_jjP12ihipStream_tbEUljE_EEESS_ST_SU_S11_S15_S17_T6_T7_T9_mT8_S19_bDpT10_ENKUlT_T0_E_clISt17integral_constantIbLb1EES1M_EEDaS1H_S1I_EUlS1H_E_NS1_11comp_targetILNS1_3genE0ELNS1_11target_archE4294967295ELNS1_3gpuE0ELNS1_3repE0EEENS1_30default_config_static_selectorELNS0_4arch9wavefront6targetE0EEEvSV_.kd
    .uniform_work_group_size: 1
    .uses_dynamic_stack: false
    .vgpr_count:     0
    .vgpr_spill_count: 0
    .wavefront_size: 32
  - .args:
      - .offset:         0
        .size:           152
        .value_kind:     by_value
    .group_segment_fixed_size: 0
    .kernarg_segment_align: 8
    .kernarg_segment_size: 152
    .language:       OpenCL C
    .language_version:
      - 2
      - 0
    .max_flat_workgroup_size: 256
    .name:           _ZN7rocprim17ROCPRIM_400000_NS6detail17trampoline_kernelINS0_13select_configILj256ELj13ELNS0_17block_load_methodE3ELS4_3ELS4_3ELNS0_20block_scan_algorithmE0ELj4294967295EEENS1_25partition_config_selectorILNS1_17partition_subalgoE3EjNS0_10empty_typeEbEEZZNS1_14partition_implILS8_3ELb0ES6_jNS0_17counting_iteratorIjlEEPS9_SE_NS0_5tupleIJPjSE_EEENSF_IJSE_SE_EEES9_SG_JZNS1_25segmented_radix_sort_implINS0_14default_configELb1EPKlPlSM_SN_N2at6native12_GLOBAL__N_18offset_tEEE10hipError_tPvRmT1_PNSt15iterator_traitsISV_E10value_typeET2_T3_PNSW_IS11_E10value_typeET4_jRbjT5_S17_jjP12ihipStream_tbEUljE_EEESS_ST_SU_S11_S15_S17_T6_T7_T9_mT8_S19_bDpT10_ENKUlT_T0_E_clISt17integral_constantIbLb1EES1M_EEDaS1H_S1I_EUlS1H_E_NS1_11comp_targetILNS1_3genE5ELNS1_11target_archE942ELNS1_3gpuE9ELNS1_3repE0EEENS1_30default_config_static_selectorELNS0_4arch9wavefront6targetE0EEEvSV_
    .private_segment_fixed_size: 0
    .sgpr_count:     0
    .sgpr_spill_count: 0
    .symbol:         _ZN7rocprim17ROCPRIM_400000_NS6detail17trampoline_kernelINS0_13select_configILj256ELj13ELNS0_17block_load_methodE3ELS4_3ELS4_3ELNS0_20block_scan_algorithmE0ELj4294967295EEENS1_25partition_config_selectorILNS1_17partition_subalgoE3EjNS0_10empty_typeEbEEZZNS1_14partition_implILS8_3ELb0ES6_jNS0_17counting_iteratorIjlEEPS9_SE_NS0_5tupleIJPjSE_EEENSF_IJSE_SE_EEES9_SG_JZNS1_25segmented_radix_sort_implINS0_14default_configELb1EPKlPlSM_SN_N2at6native12_GLOBAL__N_18offset_tEEE10hipError_tPvRmT1_PNSt15iterator_traitsISV_E10value_typeET2_T3_PNSW_IS11_E10value_typeET4_jRbjT5_S17_jjP12ihipStream_tbEUljE_EEESS_ST_SU_S11_S15_S17_T6_T7_T9_mT8_S19_bDpT10_ENKUlT_T0_E_clISt17integral_constantIbLb1EES1M_EEDaS1H_S1I_EUlS1H_E_NS1_11comp_targetILNS1_3genE5ELNS1_11target_archE942ELNS1_3gpuE9ELNS1_3repE0EEENS1_30default_config_static_selectorELNS0_4arch9wavefront6targetE0EEEvSV_.kd
    .uniform_work_group_size: 1
    .uses_dynamic_stack: false
    .vgpr_count:     0
    .vgpr_spill_count: 0
    .wavefront_size: 32
  - .args:
      - .offset:         0
        .size:           152
        .value_kind:     by_value
    .group_segment_fixed_size: 0
    .kernarg_segment_align: 8
    .kernarg_segment_size: 152
    .language:       OpenCL C
    .language_version:
      - 2
      - 0
    .max_flat_workgroup_size: 256
    .name:           _ZN7rocprim17ROCPRIM_400000_NS6detail17trampoline_kernelINS0_13select_configILj256ELj13ELNS0_17block_load_methodE3ELS4_3ELS4_3ELNS0_20block_scan_algorithmE0ELj4294967295EEENS1_25partition_config_selectorILNS1_17partition_subalgoE3EjNS0_10empty_typeEbEEZZNS1_14partition_implILS8_3ELb0ES6_jNS0_17counting_iteratorIjlEEPS9_SE_NS0_5tupleIJPjSE_EEENSF_IJSE_SE_EEES9_SG_JZNS1_25segmented_radix_sort_implINS0_14default_configELb1EPKlPlSM_SN_N2at6native12_GLOBAL__N_18offset_tEEE10hipError_tPvRmT1_PNSt15iterator_traitsISV_E10value_typeET2_T3_PNSW_IS11_E10value_typeET4_jRbjT5_S17_jjP12ihipStream_tbEUljE_EEESS_ST_SU_S11_S15_S17_T6_T7_T9_mT8_S19_bDpT10_ENKUlT_T0_E_clISt17integral_constantIbLb1EES1M_EEDaS1H_S1I_EUlS1H_E_NS1_11comp_targetILNS1_3genE4ELNS1_11target_archE910ELNS1_3gpuE8ELNS1_3repE0EEENS1_30default_config_static_selectorELNS0_4arch9wavefront6targetE0EEEvSV_
    .private_segment_fixed_size: 0
    .sgpr_count:     0
    .sgpr_spill_count: 0
    .symbol:         _ZN7rocprim17ROCPRIM_400000_NS6detail17trampoline_kernelINS0_13select_configILj256ELj13ELNS0_17block_load_methodE3ELS4_3ELS4_3ELNS0_20block_scan_algorithmE0ELj4294967295EEENS1_25partition_config_selectorILNS1_17partition_subalgoE3EjNS0_10empty_typeEbEEZZNS1_14partition_implILS8_3ELb0ES6_jNS0_17counting_iteratorIjlEEPS9_SE_NS0_5tupleIJPjSE_EEENSF_IJSE_SE_EEES9_SG_JZNS1_25segmented_radix_sort_implINS0_14default_configELb1EPKlPlSM_SN_N2at6native12_GLOBAL__N_18offset_tEEE10hipError_tPvRmT1_PNSt15iterator_traitsISV_E10value_typeET2_T3_PNSW_IS11_E10value_typeET4_jRbjT5_S17_jjP12ihipStream_tbEUljE_EEESS_ST_SU_S11_S15_S17_T6_T7_T9_mT8_S19_bDpT10_ENKUlT_T0_E_clISt17integral_constantIbLb1EES1M_EEDaS1H_S1I_EUlS1H_E_NS1_11comp_targetILNS1_3genE4ELNS1_11target_archE910ELNS1_3gpuE8ELNS1_3repE0EEENS1_30default_config_static_selectorELNS0_4arch9wavefront6targetE0EEEvSV_.kd
    .uniform_work_group_size: 1
    .uses_dynamic_stack: false
    .vgpr_count:     0
    .vgpr_spill_count: 0
    .wavefront_size: 32
  - .args:
      - .offset:         0
        .size:           152
        .value_kind:     by_value
    .group_segment_fixed_size: 0
    .kernarg_segment_align: 8
    .kernarg_segment_size: 152
    .language:       OpenCL C
    .language_version:
      - 2
      - 0
    .max_flat_workgroup_size: 256
    .name:           _ZN7rocprim17ROCPRIM_400000_NS6detail17trampoline_kernelINS0_13select_configILj256ELj13ELNS0_17block_load_methodE3ELS4_3ELS4_3ELNS0_20block_scan_algorithmE0ELj4294967295EEENS1_25partition_config_selectorILNS1_17partition_subalgoE3EjNS0_10empty_typeEbEEZZNS1_14partition_implILS8_3ELb0ES6_jNS0_17counting_iteratorIjlEEPS9_SE_NS0_5tupleIJPjSE_EEENSF_IJSE_SE_EEES9_SG_JZNS1_25segmented_radix_sort_implINS0_14default_configELb1EPKlPlSM_SN_N2at6native12_GLOBAL__N_18offset_tEEE10hipError_tPvRmT1_PNSt15iterator_traitsISV_E10value_typeET2_T3_PNSW_IS11_E10value_typeET4_jRbjT5_S17_jjP12ihipStream_tbEUljE_EEESS_ST_SU_S11_S15_S17_T6_T7_T9_mT8_S19_bDpT10_ENKUlT_T0_E_clISt17integral_constantIbLb1EES1M_EEDaS1H_S1I_EUlS1H_E_NS1_11comp_targetILNS1_3genE3ELNS1_11target_archE908ELNS1_3gpuE7ELNS1_3repE0EEENS1_30default_config_static_selectorELNS0_4arch9wavefront6targetE0EEEvSV_
    .private_segment_fixed_size: 0
    .sgpr_count:     0
    .sgpr_spill_count: 0
    .symbol:         _ZN7rocprim17ROCPRIM_400000_NS6detail17trampoline_kernelINS0_13select_configILj256ELj13ELNS0_17block_load_methodE3ELS4_3ELS4_3ELNS0_20block_scan_algorithmE0ELj4294967295EEENS1_25partition_config_selectorILNS1_17partition_subalgoE3EjNS0_10empty_typeEbEEZZNS1_14partition_implILS8_3ELb0ES6_jNS0_17counting_iteratorIjlEEPS9_SE_NS0_5tupleIJPjSE_EEENSF_IJSE_SE_EEES9_SG_JZNS1_25segmented_radix_sort_implINS0_14default_configELb1EPKlPlSM_SN_N2at6native12_GLOBAL__N_18offset_tEEE10hipError_tPvRmT1_PNSt15iterator_traitsISV_E10value_typeET2_T3_PNSW_IS11_E10value_typeET4_jRbjT5_S17_jjP12ihipStream_tbEUljE_EEESS_ST_SU_S11_S15_S17_T6_T7_T9_mT8_S19_bDpT10_ENKUlT_T0_E_clISt17integral_constantIbLb1EES1M_EEDaS1H_S1I_EUlS1H_E_NS1_11comp_targetILNS1_3genE3ELNS1_11target_archE908ELNS1_3gpuE7ELNS1_3repE0EEENS1_30default_config_static_selectorELNS0_4arch9wavefront6targetE0EEEvSV_.kd
    .uniform_work_group_size: 1
    .uses_dynamic_stack: false
    .vgpr_count:     0
    .vgpr_spill_count: 0
    .wavefront_size: 32
  - .args:
      - .offset:         0
        .size:           152
        .value_kind:     by_value
    .group_segment_fixed_size: 0
    .kernarg_segment_align: 8
    .kernarg_segment_size: 152
    .language:       OpenCL C
    .language_version:
      - 2
      - 0
    .max_flat_workgroup_size: 256
    .name:           _ZN7rocprim17ROCPRIM_400000_NS6detail17trampoline_kernelINS0_13select_configILj256ELj13ELNS0_17block_load_methodE3ELS4_3ELS4_3ELNS0_20block_scan_algorithmE0ELj4294967295EEENS1_25partition_config_selectorILNS1_17partition_subalgoE3EjNS0_10empty_typeEbEEZZNS1_14partition_implILS8_3ELb0ES6_jNS0_17counting_iteratorIjlEEPS9_SE_NS0_5tupleIJPjSE_EEENSF_IJSE_SE_EEES9_SG_JZNS1_25segmented_radix_sort_implINS0_14default_configELb1EPKlPlSM_SN_N2at6native12_GLOBAL__N_18offset_tEEE10hipError_tPvRmT1_PNSt15iterator_traitsISV_E10value_typeET2_T3_PNSW_IS11_E10value_typeET4_jRbjT5_S17_jjP12ihipStream_tbEUljE_EEESS_ST_SU_S11_S15_S17_T6_T7_T9_mT8_S19_bDpT10_ENKUlT_T0_E_clISt17integral_constantIbLb1EES1M_EEDaS1H_S1I_EUlS1H_E_NS1_11comp_targetILNS1_3genE2ELNS1_11target_archE906ELNS1_3gpuE6ELNS1_3repE0EEENS1_30default_config_static_selectorELNS0_4arch9wavefront6targetE0EEEvSV_
    .private_segment_fixed_size: 0
    .sgpr_count:     0
    .sgpr_spill_count: 0
    .symbol:         _ZN7rocprim17ROCPRIM_400000_NS6detail17trampoline_kernelINS0_13select_configILj256ELj13ELNS0_17block_load_methodE3ELS4_3ELS4_3ELNS0_20block_scan_algorithmE0ELj4294967295EEENS1_25partition_config_selectorILNS1_17partition_subalgoE3EjNS0_10empty_typeEbEEZZNS1_14partition_implILS8_3ELb0ES6_jNS0_17counting_iteratorIjlEEPS9_SE_NS0_5tupleIJPjSE_EEENSF_IJSE_SE_EEES9_SG_JZNS1_25segmented_radix_sort_implINS0_14default_configELb1EPKlPlSM_SN_N2at6native12_GLOBAL__N_18offset_tEEE10hipError_tPvRmT1_PNSt15iterator_traitsISV_E10value_typeET2_T3_PNSW_IS11_E10value_typeET4_jRbjT5_S17_jjP12ihipStream_tbEUljE_EEESS_ST_SU_S11_S15_S17_T6_T7_T9_mT8_S19_bDpT10_ENKUlT_T0_E_clISt17integral_constantIbLb1EES1M_EEDaS1H_S1I_EUlS1H_E_NS1_11comp_targetILNS1_3genE2ELNS1_11target_archE906ELNS1_3gpuE6ELNS1_3repE0EEENS1_30default_config_static_selectorELNS0_4arch9wavefront6targetE0EEEvSV_.kd
    .uniform_work_group_size: 1
    .uses_dynamic_stack: false
    .vgpr_count:     0
    .vgpr_spill_count: 0
    .wavefront_size: 32
  - .args:
      - .offset:         0
        .size:           152
        .value_kind:     by_value
    .group_segment_fixed_size: 0
    .kernarg_segment_align: 8
    .kernarg_segment_size: 152
    .language:       OpenCL C
    .language_version:
      - 2
      - 0
    .max_flat_workgroup_size: 256
    .name:           _ZN7rocprim17ROCPRIM_400000_NS6detail17trampoline_kernelINS0_13select_configILj256ELj13ELNS0_17block_load_methodE3ELS4_3ELS4_3ELNS0_20block_scan_algorithmE0ELj4294967295EEENS1_25partition_config_selectorILNS1_17partition_subalgoE3EjNS0_10empty_typeEbEEZZNS1_14partition_implILS8_3ELb0ES6_jNS0_17counting_iteratorIjlEEPS9_SE_NS0_5tupleIJPjSE_EEENSF_IJSE_SE_EEES9_SG_JZNS1_25segmented_radix_sort_implINS0_14default_configELb1EPKlPlSM_SN_N2at6native12_GLOBAL__N_18offset_tEEE10hipError_tPvRmT1_PNSt15iterator_traitsISV_E10value_typeET2_T3_PNSW_IS11_E10value_typeET4_jRbjT5_S17_jjP12ihipStream_tbEUljE_EEESS_ST_SU_S11_S15_S17_T6_T7_T9_mT8_S19_bDpT10_ENKUlT_T0_E_clISt17integral_constantIbLb1EES1M_EEDaS1H_S1I_EUlS1H_E_NS1_11comp_targetILNS1_3genE10ELNS1_11target_archE1200ELNS1_3gpuE4ELNS1_3repE0EEENS1_30default_config_static_selectorELNS0_4arch9wavefront6targetE0EEEvSV_
    .private_segment_fixed_size: 0
    .sgpr_count:     0
    .sgpr_spill_count: 0
    .symbol:         _ZN7rocprim17ROCPRIM_400000_NS6detail17trampoline_kernelINS0_13select_configILj256ELj13ELNS0_17block_load_methodE3ELS4_3ELS4_3ELNS0_20block_scan_algorithmE0ELj4294967295EEENS1_25partition_config_selectorILNS1_17partition_subalgoE3EjNS0_10empty_typeEbEEZZNS1_14partition_implILS8_3ELb0ES6_jNS0_17counting_iteratorIjlEEPS9_SE_NS0_5tupleIJPjSE_EEENSF_IJSE_SE_EEES9_SG_JZNS1_25segmented_radix_sort_implINS0_14default_configELb1EPKlPlSM_SN_N2at6native12_GLOBAL__N_18offset_tEEE10hipError_tPvRmT1_PNSt15iterator_traitsISV_E10value_typeET2_T3_PNSW_IS11_E10value_typeET4_jRbjT5_S17_jjP12ihipStream_tbEUljE_EEESS_ST_SU_S11_S15_S17_T6_T7_T9_mT8_S19_bDpT10_ENKUlT_T0_E_clISt17integral_constantIbLb1EES1M_EEDaS1H_S1I_EUlS1H_E_NS1_11comp_targetILNS1_3genE10ELNS1_11target_archE1200ELNS1_3gpuE4ELNS1_3repE0EEENS1_30default_config_static_selectorELNS0_4arch9wavefront6targetE0EEEvSV_.kd
    .uniform_work_group_size: 1
    .uses_dynamic_stack: false
    .vgpr_count:     0
    .vgpr_spill_count: 0
    .wavefront_size: 32
  - .args:
      - .offset:         0
        .size:           152
        .value_kind:     by_value
    .group_segment_fixed_size: 0
    .kernarg_segment_align: 8
    .kernarg_segment_size: 152
    .language:       OpenCL C
    .language_version:
      - 2
      - 0
    .max_flat_workgroup_size: 256
    .name:           _ZN7rocprim17ROCPRIM_400000_NS6detail17trampoline_kernelINS0_13select_configILj256ELj13ELNS0_17block_load_methodE3ELS4_3ELS4_3ELNS0_20block_scan_algorithmE0ELj4294967295EEENS1_25partition_config_selectorILNS1_17partition_subalgoE3EjNS0_10empty_typeEbEEZZNS1_14partition_implILS8_3ELb0ES6_jNS0_17counting_iteratorIjlEEPS9_SE_NS0_5tupleIJPjSE_EEENSF_IJSE_SE_EEES9_SG_JZNS1_25segmented_radix_sort_implINS0_14default_configELb1EPKlPlSM_SN_N2at6native12_GLOBAL__N_18offset_tEEE10hipError_tPvRmT1_PNSt15iterator_traitsISV_E10value_typeET2_T3_PNSW_IS11_E10value_typeET4_jRbjT5_S17_jjP12ihipStream_tbEUljE_EEESS_ST_SU_S11_S15_S17_T6_T7_T9_mT8_S19_bDpT10_ENKUlT_T0_E_clISt17integral_constantIbLb1EES1M_EEDaS1H_S1I_EUlS1H_E_NS1_11comp_targetILNS1_3genE9ELNS1_11target_archE1100ELNS1_3gpuE3ELNS1_3repE0EEENS1_30default_config_static_selectorELNS0_4arch9wavefront6targetE0EEEvSV_
    .private_segment_fixed_size: 0
    .sgpr_count:     0
    .sgpr_spill_count: 0
    .symbol:         _ZN7rocprim17ROCPRIM_400000_NS6detail17trampoline_kernelINS0_13select_configILj256ELj13ELNS0_17block_load_methodE3ELS4_3ELS4_3ELNS0_20block_scan_algorithmE0ELj4294967295EEENS1_25partition_config_selectorILNS1_17partition_subalgoE3EjNS0_10empty_typeEbEEZZNS1_14partition_implILS8_3ELb0ES6_jNS0_17counting_iteratorIjlEEPS9_SE_NS0_5tupleIJPjSE_EEENSF_IJSE_SE_EEES9_SG_JZNS1_25segmented_radix_sort_implINS0_14default_configELb1EPKlPlSM_SN_N2at6native12_GLOBAL__N_18offset_tEEE10hipError_tPvRmT1_PNSt15iterator_traitsISV_E10value_typeET2_T3_PNSW_IS11_E10value_typeET4_jRbjT5_S17_jjP12ihipStream_tbEUljE_EEESS_ST_SU_S11_S15_S17_T6_T7_T9_mT8_S19_bDpT10_ENKUlT_T0_E_clISt17integral_constantIbLb1EES1M_EEDaS1H_S1I_EUlS1H_E_NS1_11comp_targetILNS1_3genE9ELNS1_11target_archE1100ELNS1_3gpuE3ELNS1_3repE0EEENS1_30default_config_static_selectorELNS0_4arch9wavefront6targetE0EEEvSV_.kd
    .uniform_work_group_size: 1
    .uses_dynamic_stack: false
    .vgpr_count:     0
    .vgpr_spill_count: 0
    .wavefront_size: 32
  - .args:
      - .offset:         0
        .size:           152
        .value_kind:     by_value
    .group_segment_fixed_size: 0
    .kernarg_segment_align: 8
    .kernarg_segment_size: 152
    .language:       OpenCL C
    .language_version:
      - 2
      - 0
    .max_flat_workgroup_size: 256
    .name:           _ZN7rocprim17ROCPRIM_400000_NS6detail17trampoline_kernelINS0_13select_configILj256ELj13ELNS0_17block_load_methodE3ELS4_3ELS4_3ELNS0_20block_scan_algorithmE0ELj4294967295EEENS1_25partition_config_selectorILNS1_17partition_subalgoE3EjNS0_10empty_typeEbEEZZNS1_14partition_implILS8_3ELb0ES6_jNS0_17counting_iteratorIjlEEPS9_SE_NS0_5tupleIJPjSE_EEENSF_IJSE_SE_EEES9_SG_JZNS1_25segmented_radix_sort_implINS0_14default_configELb1EPKlPlSM_SN_N2at6native12_GLOBAL__N_18offset_tEEE10hipError_tPvRmT1_PNSt15iterator_traitsISV_E10value_typeET2_T3_PNSW_IS11_E10value_typeET4_jRbjT5_S17_jjP12ihipStream_tbEUljE_EEESS_ST_SU_S11_S15_S17_T6_T7_T9_mT8_S19_bDpT10_ENKUlT_T0_E_clISt17integral_constantIbLb1EES1M_EEDaS1H_S1I_EUlS1H_E_NS1_11comp_targetILNS1_3genE8ELNS1_11target_archE1030ELNS1_3gpuE2ELNS1_3repE0EEENS1_30default_config_static_selectorELNS0_4arch9wavefront6targetE0EEEvSV_
    .private_segment_fixed_size: 0
    .sgpr_count:     0
    .sgpr_spill_count: 0
    .symbol:         _ZN7rocprim17ROCPRIM_400000_NS6detail17trampoline_kernelINS0_13select_configILj256ELj13ELNS0_17block_load_methodE3ELS4_3ELS4_3ELNS0_20block_scan_algorithmE0ELj4294967295EEENS1_25partition_config_selectorILNS1_17partition_subalgoE3EjNS0_10empty_typeEbEEZZNS1_14partition_implILS8_3ELb0ES6_jNS0_17counting_iteratorIjlEEPS9_SE_NS0_5tupleIJPjSE_EEENSF_IJSE_SE_EEES9_SG_JZNS1_25segmented_radix_sort_implINS0_14default_configELb1EPKlPlSM_SN_N2at6native12_GLOBAL__N_18offset_tEEE10hipError_tPvRmT1_PNSt15iterator_traitsISV_E10value_typeET2_T3_PNSW_IS11_E10value_typeET4_jRbjT5_S17_jjP12ihipStream_tbEUljE_EEESS_ST_SU_S11_S15_S17_T6_T7_T9_mT8_S19_bDpT10_ENKUlT_T0_E_clISt17integral_constantIbLb1EES1M_EEDaS1H_S1I_EUlS1H_E_NS1_11comp_targetILNS1_3genE8ELNS1_11target_archE1030ELNS1_3gpuE2ELNS1_3repE0EEENS1_30default_config_static_selectorELNS0_4arch9wavefront6targetE0EEEvSV_.kd
    .uniform_work_group_size: 1
    .uses_dynamic_stack: false
    .vgpr_count:     0
    .vgpr_spill_count: 0
    .wavefront_size: 32
  - .args:
      - .offset:         0
        .size:           144
        .value_kind:     by_value
    .group_segment_fixed_size: 0
    .kernarg_segment_align: 8
    .kernarg_segment_size: 144
    .language:       OpenCL C
    .language_version:
      - 2
      - 0
    .max_flat_workgroup_size: 256
    .name:           _ZN7rocprim17ROCPRIM_400000_NS6detail17trampoline_kernelINS0_13select_configILj256ELj13ELNS0_17block_load_methodE3ELS4_3ELS4_3ELNS0_20block_scan_algorithmE0ELj4294967295EEENS1_25partition_config_selectorILNS1_17partition_subalgoE3EjNS0_10empty_typeEbEEZZNS1_14partition_implILS8_3ELb0ES6_jNS0_17counting_iteratorIjlEEPS9_SE_NS0_5tupleIJPjSE_EEENSF_IJSE_SE_EEES9_SG_JZNS1_25segmented_radix_sort_implINS0_14default_configELb1EPKlPlSM_SN_N2at6native12_GLOBAL__N_18offset_tEEE10hipError_tPvRmT1_PNSt15iterator_traitsISV_E10value_typeET2_T3_PNSW_IS11_E10value_typeET4_jRbjT5_S17_jjP12ihipStream_tbEUljE_EEESS_ST_SU_S11_S15_S17_T6_T7_T9_mT8_S19_bDpT10_ENKUlT_T0_E_clISt17integral_constantIbLb1EES1L_IbLb0EEEEDaS1H_S1I_EUlS1H_E_NS1_11comp_targetILNS1_3genE0ELNS1_11target_archE4294967295ELNS1_3gpuE0ELNS1_3repE0EEENS1_30default_config_static_selectorELNS0_4arch9wavefront6targetE0EEEvSV_
    .private_segment_fixed_size: 0
    .sgpr_count:     0
    .sgpr_spill_count: 0
    .symbol:         _ZN7rocprim17ROCPRIM_400000_NS6detail17trampoline_kernelINS0_13select_configILj256ELj13ELNS0_17block_load_methodE3ELS4_3ELS4_3ELNS0_20block_scan_algorithmE0ELj4294967295EEENS1_25partition_config_selectorILNS1_17partition_subalgoE3EjNS0_10empty_typeEbEEZZNS1_14partition_implILS8_3ELb0ES6_jNS0_17counting_iteratorIjlEEPS9_SE_NS0_5tupleIJPjSE_EEENSF_IJSE_SE_EEES9_SG_JZNS1_25segmented_radix_sort_implINS0_14default_configELb1EPKlPlSM_SN_N2at6native12_GLOBAL__N_18offset_tEEE10hipError_tPvRmT1_PNSt15iterator_traitsISV_E10value_typeET2_T3_PNSW_IS11_E10value_typeET4_jRbjT5_S17_jjP12ihipStream_tbEUljE_EEESS_ST_SU_S11_S15_S17_T6_T7_T9_mT8_S19_bDpT10_ENKUlT_T0_E_clISt17integral_constantIbLb1EES1L_IbLb0EEEEDaS1H_S1I_EUlS1H_E_NS1_11comp_targetILNS1_3genE0ELNS1_11target_archE4294967295ELNS1_3gpuE0ELNS1_3repE0EEENS1_30default_config_static_selectorELNS0_4arch9wavefront6targetE0EEEvSV_.kd
    .uniform_work_group_size: 1
    .uses_dynamic_stack: false
    .vgpr_count:     0
    .vgpr_spill_count: 0
    .wavefront_size: 32
  - .args:
      - .offset:         0
        .size:           144
        .value_kind:     by_value
    .group_segment_fixed_size: 0
    .kernarg_segment_align: 8
    .kernarg_segment_size: 144
    .language:       OpenCL C
    .language_version:
      - 2
      - 0
    .max_flat_workgroup_size: 256
    .name:           _ZN7rocprim17ROCPRIM_400000_NS6detail17trampoline_kernelINS0_13select_configILj256ELj13ELNS0_17block_load_methodE3ELS4_3ELS4_3ELNS0_20block_scan_algorithmE0ELj4294967295EEENS1_25partition_config_selectorILNS1_17partition_subalgoE3EjNS0_10empty_typeEbEEZZNS1_14partition_implILS8_3ELb0ES6_jNS0_17counting_iteratorIjlEEPS9_SE_NS0_5tupleIJPjSE_EEENSF_IJSE_SE_EEES9_SG_JZNS1_25segmented_radix_sort_implINS0_14default_configELb1EPKlPlSM_SN_N2at6native12_GLOBAL__N_18offset_tEEE10hipError_tPvRmT1_PNSt15iterator_traitsISV_E10value_typeET2_T3_PNSW_IS11_E10value_typeET4_jRbjT5_S17_jjP12ihipStream_tbEUljE_EEESS_ST_SU_S11_S15_S17_T6_T7_T9_mT8_S19_bDpT10_ENKUlT_T0_E_clISt17integral_constantIbLb1EES1L_IbLb0EEEEDaS1H_S1I_EUlS1H_E_NS1_11comp_targetILNS1_3genE5ELNS1_11target_archE942ELNS1_3gpuE9ELNS1_3repE0EEENS1_30default_config_static_selectorELNS0_4arch9wavefront6targetE0EEEvSV_
    .private_segment_fixed_size: 0
    .sgpr_count:     0
    .sgpr_spill_count: 0
    .symbol:         _ZN7rocprim17ROCPRIM_400000_NS6detail17trampoline_kernelINS0_13select_configILj256ELj13ELNS0_17block_load_methodE3ELS4_3ELS4_3ELNS0_20block_scan_algorithmE0ELj4294967295EEENS1_25partition_config_selectorILNS1_17partition_subalgoE3EjNS0_10empty_typeEbEEZZNS1_14partition_implILS8_3ELb0ES6_jNS0_17counting_iteratorIjlEEPS9_SE_NS0_5tupleIJPjSE_EEENSF_IJSE_SE_EEES9_SG_JZNS1_25segmented_radix_sort_implINS0_14default_configELb1EPKlPlSM_SN_N2at6native12_GLOBAL__N_18offset_tEEE10hipError_tPvRmT1_PNSt15iterator_traitsISV_E10value_typeET2_T3_PNSW_IS11_E10value_typeET4_jRbjT5_S17_jjP12ihipStream_tbEUljE_EEESS_ST_SU_S11_S15_S17_T6_T7_T9_mT8_S19_bDpT10_ENKUlT_T0_E_clISt17integral_constantIbLb1EES1L_IbLb0EEEEDaS1H_S1I_EUlS1H_E_NS1_11comp_targetILNS1_3genE5ELNS1_11target_archE942ELNS1_3gpuE9ELNS1_3repE0EEENS1_30default_config_static_selectorELNS0_4arch9wavefront6targetE0EEEvSV_.kd
    .uniform_work_group_size: 1
    .uses_dynamic_stack: false
    .vgpr_count:     0
    .vgpr_spill_count: 0
    .wavefront_size: 32
  - .args:
      - .offset:         0
        .size:           144
        .value_kind:     by_value
    .group_segment_fixed_size: 0
    .kernarg_segment_align: 8
    .kernarg_segment_size: 144
    .language:       OpenCL C
    .language_version:
      - 2
      - 0
    .max_flat_workgroup_size: 256
    .name:           _ZN7rocprim17ROCPRIM_400000_NS6detail17trampoline_kernelINS0_13select_configILj256ELj13ELNS0_17block_load_methodE3ELS4_3ELS4_3ELNS0_20block_scan_algorithmE0ELj4294967295EEENS1_25partition_config_selectorILNS1_17partition_subalgoE3EjNS0_10empty_typeEbEEZZNS1_14partition_implILS8_3ELb0ES6_jNS0_17counting_iteratorIjlEEPS9_SE_NS0_5tupleIJPjSE_EEENSF_IJSE_SE_EEES9_SG_JZNS1_25segmented_radix_sort_implINS0_14default_configELb1EPKlPlSM_SN_N2at6native12_GLOBAL__N_18offset_tEEE10hipError_tPvRmT1_PNSt15iterator_traitsISV_E10value_typeET2_T3_PNSW_IS11_E10value_typeET4_jRbjT5_S17_jjP12ihipStream_tbEUljE_EEESS_ST_SU_S11_S15_S17_T6_T7_T9_mT8_S19_bDpT10_ENKUlT_T0_E_clISt17integral_constantIbLb1EES1L_IbLb0EEEEDaS1H_S1I_EUlS1H_E_NS1_11comp_targetILNS1_3genE4ELNS1_11target_archE910ELNS1_3gpuE8ELNS1_3repE0EEENS1_30default_config_static_selectorELNS0_4arch9wavefront6targetE0EEEvSV_
    .private_segment_fixed_size: 0
    .sgpr_count:     0
    .sgpr_spill_count: 0
    .symbol:         _ZN7rocprim17ROCPRIM_400000_NS6detail17trampoline_kernelINS0_13select_configILj256ELj13ELNS0_17block_load_methodE3ELS4_3ELS4_3ELNS0_20block_scan_algorithmE0ELj4294967295EEENS1_25partition_config_selectorILNS1_17partition_subalgoE3EjNS0_10empty_typeEbEEZZNS1_14partition_implILS8_3ELb0ES6_jNS0_17counting_iteratorIjlEEPS9_SE_NS0_5tupleIJPjSE_EEENSF_IJSE_SE_EEES9_SG_JZNS1_25segmented_radix_sort_implINS0_14default_configELb1EPKlPlSM_SN_N2at6native12_GLOBAL__N_18offset_tEEE10hipError_tPvRmT1_PNSt15iterator_traitsISV_E10value_typeET2_T3_PNSW_IS11_E10value_typeET4_jRbjT5_S17_jjP12ihipStream_tbEUljE_EEESS_ST_SU_S11_S15_S17_T6_T7_T9_mT8_S19_bDpT10_ENKUlT_T0_E_clISt17integral_constantIbLb1EES1L_IbLb0EEEEDaS1H_S1I_EUlS1H_E_NS1_11comp_targetILNS1_3genE4ELNS1_11target_archE910ELNS1_3gpuE8ELNS1_3repE0EEENS1_30default_config_static_selectorELNS0_4arch9wavefront6targetE0EEEvSV_.kd
    .uniform_work_group_size: 1
    .uses_dynamic_stack: false
    .vgpr_count:     0
    .vgpr_spill_count: 0
    .wavefront_size: 32
  - .args:
      - .offset:         0
        .size:           144
        .value_kind:     by_value
    .group_segment_fixed_size: 0
    .kernarg_segment_align: 8
    .kernarg_segment_size: 144
    .language:       OpenCL C
    .language_version:
      - 2
      - 0
    .max_flat_workgroup_size: 256
    .name:           _ZN7rocprim17ROCPRIM_400000_NS6detail17trampoline_kernelINS0_13select_configILj256ELj13ELNS0_17block_load_methodE3ELS4_3ELS4_3ELNS0_20block_scan_algorithmE0ELj4294967295EEENS1_25partition_config_selectorILNS1_17partition_subalgoE3EjNS0_10empty_typeEbEEZZNS1_14partition_implILS8_3ELb0ES6_jNS0_17counting_iteratorIjlEEPS9_SE_NS0_5tupleIJPjSE_EEENSF_IJSE_SE_EEES9_SG_JZNS1_25segmented_radix_sort_implINS0_14default_configELb1EPKlPlSM_SN_N2at6native12_GLOBAL__N_18offset_tEEE10hipError_tPvRmT1_PNSt15iterator_traitsISV_E10value_typeET2_T3_PNSW_IS11_E10value_typeET4_jRbjT5_S17_jjP12ihipStream_tbEUljE_EEESS_ST_SU_S11_S15_S17_T6_T7_T9_mT8_S19_bDpT10_ENKUlT_T0_E_clISt17integral_constantIbLb1EES1L_IbLb0EEEEDaS1H_S1I_EUlS1H_E_NS1_11comp_targetILNS1_3genE3ELNS1_11target_archE908ELNS1_3gpuE7ELNS1_3repE0EEENS1_30default_config_static_selectorELNS0_4arch9wavefront6targetE0EEEvSV_
    .private_segment_fixed_size: 0
    .sgpr_count:     0
    .sgpr_spill_count: 0
    .symbol:         _ZN7rocprim17ROCPRIM_400000_NS6detail17trampoline_kernelINS0_13select_configILj256ELj13ELNS0_17block_load_methodE3ELS4_3ELS4_3ELNS0_20block_scan_algorithmE0ELj4294967295EEENS1_25partition_config_selectorILNS1_17partition_subalgoE3EjNS0_10empty_typeEbEEZZNS1_14partition_implILS8_3ELb0ES6_jNS0_17counting_iteratorIjlEEPS9_SE_NS0_5tupleIJPjSE_EEENSF_IJSE_SE_EEES9_SG_JZNS1_25segmented_radix_sort_implINS0_14default_configELb1EPKlPlSM_SN_N2at6native12_GLOBAL__N_18offset_tEEE10hipError_tPvRmT1_PNSt15iterator_traitsISV_E10value_typeET2_T3_PNSW_IS11_E10value_typeET4_jRbjT5_S17_jjP12ihipStream_tbEUljE_EEESS_ST_SU_S11_S15_S17_T6_T7_T9_mT8_S19_bDpT10_ENKUlT_T0_E_clISt17integral_constantIbLb1EES1L_IbLb0EEEEDaS1H_S1I_EUlS1H_E_NS1_11comp_targetILNS1_3genE3ELNS1_11target_archE908ELNS1_3gpuE7ELNS1_3repE0EEENS1_30default_config_static_selectorELNS0_4arch9wavefront6targetE0EEEvSV_.kd
    .uniform_work_group_size: 1
    .uses_dynamic_stack: false
    .vgpr_count:     0
    .vgpr_spill_count: 0
    .wavefront_size: 32
  - .args:
      - .offset:         0
        .size:           144
        .value_kind:     by_value
    .group_segment_fixed_size: 0
    .kernarg_segment_align: 8
    .kernarg_segment_size: 144
    .language:       OpenCL C
    .language_version:
      - 2
      - 0
    .max_flat_workgroup_size: 256
    .name:           _ZN7rocprim17ROCPRIM_400000_NS6detail17trampoline_kernelINS0_13select_configILj256ELj13ELNS0_17block_load_methodE3ELS4_3ELS4_3ELNS0_20block_scan_algorithmE0ELj4294967295EEENS1_25partition_config_selectorILNS1_17partition_subalgoE3EjNS0_10empty_typeEbEEZZNS1_14partition_implILS8_3ELb0ES6_jNS0_17counting_iteratorIjlEEPS9_SE_NS0_5tupleIJPjSE_EEENSF_IJSE_SE_EEES9_SG_JZNS1_25segmented_radix_sort_implINS0_14default_configELb1EPKlPlSM_SN_N2at6native12_GLOBAL__N_18offset_tEEE10hipError_tPvRmT1_PNSt15iterator_traitsISV_E10value_typeET2_T3_PNSW_IS11_E10value_typeET4_jRbjT5_S17_jjP12ihipStream_tbEUljE_EEESS_ST_SU_S11_S15_S17_T6_T7_T9_mT8_S19_bDpT10_ENKUlT_T0_E_clISt17integral_constantIbLb1EES1L_IbLb0EEEEDaS1H_S1I_EUlS1H_E_NS1_11comp_targetILNS1_3genE2ELNS1_11target_archE906ELNS1_3gpuE6ELNS1_3repE0EEENS1_30default_config_static_selectorELNS0_4arch9wavefront6targetE0EEEvSV_
    .private_segment_fixed_size: 0
    .sgpr_count:     0
    .sgpr_spill_count: 0
    .symbol:         _ZN7rocprim17ROCPRIM_400000_NS6detail17trampoline_kernelINS0_13select_configILj256ELj13ELNS0_17block_load_methodE3ELS4_3ELS4_3ELNS0_20block_scan_algorithmE0ELj4294967295EEENS1_25partition_config_selectorILNS1_17partition_subalgoE3EjNS0_10empty_typeEbEEZZNS1_14partition_implILS8_3ELb0ES6_jNS0_17counting_iteratorIjlEEPS9_SE_NS0_5tupleIJPjSE_EEENSF_IJSE_SE_EEES9_SG_JZNS1_25segmented_radix_sort_implINS0_14default_configELb1EPKlPlSM_SN_N2at6native12_GLOBAL__N_18offset_tEEE10hipError_tPvRmT1_PNSt15iterator_traitsISV_E10value_typeET2_T3_PNSW_IS11_E10value_typeET4_jRbjT5_S17_jjP12ihipStream_tbEUljE_EEESS_ST_SU_S11_S15_S17_T6_T7_T9_mT8_S19_bDpT10_ENKUlT_T0_E_clISt17integral_constantIbLb1EES1L_IbLb0EEEEDaS1H_S1I_EUlS1H_E_NS1_11comp_targetILNS1_3genE2ELNS1_11target_archE906ELNS1_3gpuE6ELNS1_3repE0EEENS1_30default_config_static_selectorELNS0_4arch9wavefront6targetE0EEEvSV_.kd
    .uniform_work_group_size: 1
    .uses_dynamic_stack: false
    .vgpr_count:     0
    .vgpr_spill_count: 0
    .wavefront_size: 32
  - .args:
      - .offset:         0
        .size:           144
        .value_kind:     by_value
    .group_segment_fixed_size: 0
    .kernarg_segment_align: 8
    .kernarg_segment_size: 144
    .language:       OpenCL C
    .language_version:
      - 2
      - 0
    .max_flat_workgroup_size: 256
    .name:           _ZN7rocprim17ROCPRIM_400000_NS6detail17trampoline_kernelINS0_13select_configILj256ELj13ELNS0_17block_load_methodE3ELS4_3ELS4_3ELNS0_20block_scan_algorithmE0ELj4294967295EEENS1_25partition_config_selectorILNS1_17partition_subalgoE3EjNS0_10empty_typeEbEEZZNS1_14partition_implILS8_3ELb0ES6_jNS0_17counting_iteratorIjlEEPS9_SE_NS0_5tupleIJPjSE_EEENSF_IJSE_SE_EEES9_SG_JZNS1_25segmented_radix_sort_implINS0_14default_configELb1EPKlPlSM_SN_N2at6native12_GLOBAL__N_18offset_tEEE10hipError_tPvRmT1_PNSt15iterator_traitsISV_E10value_typeET2_T3_PNSW_IS11_E10value_typeET4_jRbjT5_S17_jjP12ihipStream_tbEUljE_EEESS_ST_SU_S11_S15_S17_T6_T7_T9_mT8_S19_bDpT10_ENKUlT_T0_E_clISt17integral_constantIbLb1EES1L_IbLb0EEEEDaS1H_S1I_EUlS1H_E_NS1_11comp_targetILNS1_3genE10ELNS1_11target_archE1200ELNS1_3gpuE4ELNS1_3repE0EEENS1_30default_config_static_selectorELNS0_4arch9wavefront6targetE0EEEvSV_
    .private_segment_fixed_size: 0
    .sgpr_count:     0
    .sgpr_spill_count: 0
    .symbol:         _ZN7rocprim17ROCPRIM_400000_NS6detail17trampoline_kernelINS0_13select_configILj256ELj13ELNS0_17block_load_methodE3ELS4_3ELS4_3ELNS0_20block_scan_algorithmE0ELj4294967295EEENS1_25partition_config_selectorILNS1_17partition_subalgoE3EjNS0_10empty_typeEbEEZZNS1_14partition_implILS8_3ELb0ES6_jNS0_17counting_iteratorIjlEEPS9_SE_NS0_5tupleIJPjSE_EEENSF_IJSE_SE_EEES9_SG_JZNS1_25segmented_radix_sort_implINS0_14default_configELb1EPKlPlSM_SN_N2at6native12_GLOBAL__N_18offset_tEEE10hipError_tPvRmT1_PNSt15iterator_traitsISV_E10value_typeET2_T3_PNSW_IS11_E10value_typeET4_jRbjT5_S17_jjP12ihipStream_tbEUljE_EEESS_ST_SU_S11_S15_S17_T6_T7_T9_mT8_S19_bDpT10_ENKUlT_T0_E_clISt17integral_constantIbLb1EES1L_IbLb0EEEEDaS1H_S1I_EUlS1H_E_NS1_11comp_targetILNS1_3genE10ELNS1_11target_archE1200ELNS1_3gpuE4ELNS1_3repE0EEENS1_30default_config_static_selectorELNS0_4arch9wavefront6targetE0EEEvSV_.kd
    .uniform_work_group_size: 1
    .uses_dynamic_stack: false
    .vgpr_count:     0
    .vgpr_spill_count: 0
    .wavefront_size: 32
  - .args:
      - .offset:         0
        .size:           144
        .value_kind:     by_value
    .group_segment_fixed_size: 0
    .kernarg_segment_align: 8
    .kernarg_segment_size: 144
    .language:       OpenCL C
    .language_version:
      - 2
      - 0
    .max_flat_workgroup_size: 256
    .name:           _ZN7rocprim17ROCPRIM_400000_NS6detail17trampoline_kernelINS0_13select_configILj256ELj13ELNS0_17block_load_methodE3ELS4_3ELS4_3ELNS0_20block_scan_algorithmE0ELj4294967295EEENS1_25partition_config_selectorILNS1_17partition_subalgoE3EjNS0_10empty_typeEbEEZZNS1_14partition_implILS8_3ELb0ES6_jNS0_17counting_iteratorIjlEEPS9_SE_NS0_5tupleIJPjSE_EEENSF_IJSE_SE_EEES9_SG_JZNS1_25segmented_radix_sort_implINS0_14default_configELb1EPKlPlSM_SN_N2at6native12_GLOBAL__N_18offset_tEEE10hipError_tPvRmT1_PNSt15iterator_traitsISV_E10value_typeET2_T3_PNSW_IS11_E10value_typeET4_jRbjT5_S17_jjP12ihipStream_tbEUljE_EEESS_ST_SU_S11_S15_S17_T6_T7_T9_mT8_S19_bDpT10_ENKUlT_T0_E_clISt17integral_constantIbLb1EES1L_IbLb0EEEEDaS1H_S1I_EUlS1H_E_NS1_11comp_targetILNS1_3genE9ELNS1_11target_archE1100ELNS1_3gpuE3ELNS1_3repE0EEENS1_30default_config_static_selectorELNS0_4arch9wavefront6targetE0EEEvSV_
    .private_segment_fixed_size: 0
    .sgpr_count:     0
    .sgpr_spill_count: 0
    .symbol:         _ZN7rocprim17ROCPRIM_400000_NS6detail17trampoline_kernelINS0_13select_configILj256ELj13ELNS0_17block_load_methodE3ELS4_3ELS4_3ELNS0_20block_scan_algorithmE0ELj4294967295EEENS1_25partition_config_selectorILNS1_17partition_subalgoE3EjNS0_10empty_typeEbEEZZNS1_14partition_implILS8_3ELb0ES6_jNS0_17counting_iteratorIjlEEPS9_SE_NS0_5tupleIJPjSE_EEENSF_IJSE_SE_EEES9_SG_JZNS1_25segmented_radix_sort_implINS0_14default_configELb1EPKlPlSM_SN_N2at6native12_GLOBAL__N_18offset_tEEE10hipError_tPvRmT1_PNSt15iterator_traitsISV_E10value_typeET2_T3_PNSW_IS11_E10value_typeET4_jRbjT5_S17_jjP12ihipStream_tbEUljE_EEESS_ST_SU_S11_S15_S17_T6_T7_T9_mT8_S19_bDpT10_ENKUlT_T0_E_clISt17integral_constantIbLb1EES1L_IbLb0EEEEDaS1H_S1I_EUlS1H_E_NS1_11comp_targetILNS1_3genE9ELNS1_11target_archE1100ELNS1_3gpuE3ELNS1_3repE0EEENS1_30default_config_static_selectorELNS0_4arch9wavefront6targetE0EEEvSV_.kd
    .uniform_work_group_size: 1
    .uses_dynamic_stack: false
    .vgpr_count:     0
    .vgpr_spill_count: 0
    .wavefront_size: 32
  - .args:
      - .offset:         0
        .size:           144
        .value_kind:     by_value
    .group_segment_fixed_size: 0
    .kernarg_segment_align: 8
    .kernarg_segment_size: 144
    .language:       OpenCL C
    .language_version:
      - 2
      - 0
    .max_flat_workgroup_size: 256
    .name:           _ZN7rocprim17ROCPRIM_400000_NS6detail17trampoline_kernelINS0_13select_configILj256ELj13ELNS0_17block_load_methodE3ELS4_3ELS4_3ELNS0_20block_scan_algorithmE0ELj4294967295EEENS1_25partition_config_selectorILNS1_17partition_subalgoE3EjNS0_10empty_typeEbEEZZNS1_14partition_implILS8_3ELb0ES6_jNS0_17counting_iteratorIjlEEPS9_SE_NS0_5tupleIJPjSE_EEENSF_IJSE_SE_EEES9_SG_JZNS1_25segmented_radix_sort_implINS0_14default_configELb1EPKlPlSM_SN_N2at6native12_GLOBAL__N_18offset_tEEE10hipError_tPvRmT1_PNSt15iterator_traitsISV_E10value_typeET2_T3_PNSW_IS11_E10value_typeET4_jRbjT5_S17_jjP12ihipStream_tbEUljE_EEESS_ST_SU_S11_S15_S17_T6_T7_T9_mT8_S19_bDpT10_ENKUlT_T0_E_clISt17integral_constantIbLb1EES1L_IbLb0EEEEDaS1H_S1I_EUlS1H_E_NS1_11comp_targetILNS1_3genE8ELNS1_11target_archE1030ELNS1_3gpuE2ELNS1_3repE0EEENS1_30default_config_static_selectorELNS0_4arch9wavefront6targetE0EEEvSV_
    .private_segment_fixed_size: 0
    .sgpr_count:     0
    .sgpr_spill_count: 0
    .symbol:         _ZN7rocprim17ROCPRIM_400000_NS6detail17trampoline_kernelINS0_13select_configILj256ELj13ELNS0_17block_load_methodE3ELS4_3ELS4_3ELNS0_20block_scan_algorithmE0ELj4294967295EEENS1_25partition_config_selectorILNS1_17partition_subalgoE3EjNS0_10empty_typeEbEEZZNS1_14partition_implILS8_3ELb0ES6_jNS0_17counting_iteratorIjlEEPS9_SE_NS0_5tupleIJPjSE_EEENSF_IJSE_SE_EEES9_SG_JZNS1_25segmented_radix_sort_implINS0_14default_configELb1EPKlPlSM_SN_N2at6native12_GLOBAL__N_18offset_tEEE10hipError_tPvRmT1_PNSt15iterator_traitsISV_E10value_typeET2_T3_PNSW_IS11_E10value_typeET4_jRbjT5_S17_jjP12ihipStream_tbEUljE_EEESS_ST_SU_S11_S15_S17_T6_T7_T9_mT8_S19_bDpT10_ENKUlT_T0_E_clISt17integral_constantIbLb1EES1L_IbLb0EEEEDaS1H_S1I_EUlS1H_E_NS1_11comp_targetILNS1_3genE8ELNS1_11target_archE1030ELNS1_3gpuE2ELNS1_3repE0EEENS1_30default_config_static_selectorELNS0_4arch9wavefront6targetE0EEEvSV_.kd
    .uniform_work_group_size: 1
    .uses_dynamic_stack: false
    .vgpr_count:     0
    .vgpr_spill_count: 0
    .wavefront_size: 32
  - .args:
      - .offset:         0
        .size:           152
        .value_kind:     by_value
    .group_segment_fixed_size: 13320
    .kernarg_segment_align: 8
    .kernarg_segment_size: 152
    .language:       OpenCL C
    .language_version:
      - 2
      - 0
    .max_flat_workgroup_size: 256
    .name:           _ZN7rocprim17ROCPRIM_400000_NS6detail17trampoline_kernelINS0_13select_configILj256ELj13ELNS0_17block_load_methodE3ELS4_3ELS4_3ELNS0_20block_scan_algorithmE0ELj4294967295EEENS1_25partition_config_selectorILNS1_17partition_subalgoE3EjNS0_10empty_typeEbEEZZNS1_14partition_implILS8_3ELb0ES6_jNS0_17counting_iteratorIjlEEPS9_SE_NS0_5tupleIJPjSE_EEENSF_IJSE_SE_EEES9_SG_JZNS1_25segmented_radix_sort_implINS0_14default_configELb1EPKlPlSM_SN_N2at6native12_GLOBAL__N_18offset_tEEE10hipError_tPvRmT1_PNSt15iterator_traitsISV_E10value_typeET2_T3_PNSW_IS11_E10value_typeET4_jRbjT5_S17_jjP12ihipStream_tbEUljE_EEESS_ST_SU_S11_S15_S17_T6_T7_T9_mT8_S19_bDpT10_ENKUlT_T0_E_clISt17integral_constantIbLb0EES1L_IbLb1EEEEDaS1H_S1I_EUlS1H_E_NS1_11comp_targetILNS1_3genE0ELNS1_11target_archE4294967295ELNS1_3gpuE0ELNS1_3repE0EEENS1_30default_config_static_selectorELNS0_4arch9wavefront6targetE0EEEvSV_
    .private_segment_fixed_size: 0
    .sgpr_count:     26
    .sgpr_spill_count: 0
    .symbol:         _ZN7rocprim17ROCPRIM_400000_NS6detail17trampoline_kernelINS0_13select_configILj256ELj13ELNS0_17block_load_methodE3ELS4_3ELS4_3ELNS0_20block_scan_algorithmE0ELj4294967295EEENS1_25partition_config_selectorILNS1_17partition_subalgoE3EjNS0_10empty_typeEbEEZZNS1_14partition_implILS8_3ELb0ES6_jNS0_17counting_iteratorIjlEEPS9_SE_NS0_5tupleIJPjSE_EEENSF_IJSE_SE_EEES9_SG_JZNS1_25segmented_radix_sort_implINS0_14default_configELb1EPKlPlSM_SN_N2at6native12_GLOBAL__N_18offset_tEEE10hipError_tPvRmT1_PNSt15iterator_traitsISV_E10value_typeET2_T3_PNSW_IS11_E10value_typeET4_jRbjT5_S17_jjP12ihipStream_tbEUljE_EEESS_ST_SU_S11_S15_S17_T6_T7_T9_mT8_S19_bDpT10_ENKUlT_T0_E_clISt17integral_constantIbLb0EES1L_IbLb1EEEEDaS1H_S1I_EUlS1H_E_NS1_11comp_targetILNS1_3genE0ELNS1_11target_archE4294967295ELNS1_3gpuE0ELNS1_3repE0EEENS1_30default_config_static_selectorELNS0_4arch9wavefront6targetE0EEEvSV_.kd
    .uniform_work_group_size: 1
    .uses_dynamic_stack: false
    .vgpr_count:     72
    .vgpr_spill_count: 0
    .wavefront_size: 32
  - .args:
      - .offset:         0
        .size:           152
        .value_kind:     by_value
    .group_segment_fixed_size: 0
    .kernarg_segment_align: 8
    .kernarg_segment_size: 152
    .language:       OpenCL C
    .language_version:
      - 2
      - 0
    .max_flat_workgroup_size: 256
    .name:           _ZN7rocprim17ROCPRIM_400000_NS6detail17trampoline_kernelINS0_13select_configILj256ELj13ELNS0_17block_load_methodE3ELS4_3ELS4_3ELNS0_20block_scan_algorithmE0ELj4294967295EEENS1_25partition_config_selectorILNS1_17partition_subalgoE3EjNS0_10empty_typeEbEEZZNS1_14partition_implILS8_3ELb0ES6_jNS0_17counting_iteratorIjlEEPS9_SE_NS0_5tupleIJPjSE_EEENSF_IJSE_SE_EEES9_SG_JZNS1_25segmented_radix_sort_implINS0_14default_configELb1EPKlPlSM_SN_N2at6native12_GLOBAL__N_18offset_tEEE10hipError_tPvRmT1_PNSt15iterator_traitsISV_E10value_typeET2_T3_PNSW_IS11_E10value_typeET4_jRbjT5_S17_jjP12ihipStream_tbEUljE_EEESS_ST_SU_S11_S15_S17_T6_T7_T9_mT8_S19_bDpT10_ENKUlT_T0_E_clISt17integral_constantIbLb0EES1L_IbLb1EEEEDaS1H_S1I_EUlS1H_E_NS1_11comp_targetILNS1_3genE5ELNS1_11target_archE942ELNS1_3gpuE9ELNS1_3repE0EEENS1_30default_config_static_selectorELNS0_4arch9wavefront6targetE0EEEvSV_
    .private_segment_fixed_size: 0
    .sgpr_count:     0
    .sgpr_spill_count: 0
    .symbol:         _ZN7rocprim17ROCPRIM_400000_NS6detail17trampoline_kernelINS0_13select_configILj256ELj13ELNS0_17block_load_methodE3ELS4_3ELS4_3ELNS0_20block_scan_algorithmE0ELj4294967295EEENS1_25partition_config_selectorILNS1_17partition_subalgoE3EjNS0_10empty_typeEbEEZZNS1_14partition_implILS8_3ELb0ES6_jNS0_17counting_iteratorIjlEEPS9_SE_NS0_5tupleIJPjSE_EEENSF_IJSE_SE_EEES9_SG_JZNS1_25segmented_radix_sort_implINS0_14default_configELb1EPKlPlSM_SN_N2at6native12_GLOBAL__N_18offset_tEEE10hipError_tPvRmT1_PNSt15iterator_traitsISV_E10value_typeET2_T3_PNSW_IS11_E10value_typeET4_jRbjT5_S17_jjP12ihipStream_tbEUljE_EEESS_ST_SU_S11_S15_S17_T6_T7_T9_mT8_S19_bDpT10_ENKUlT_T0_E_clISt17integral_constantIbLb0EES1L_IbLb1EEEEDaS1H_S1I_EUlS1H_E_NS1_11comp_targetILNS1_3genE5ELNS1_11target_archE942ELNS1_3gpuE9ELNS1_3repE0EEENS1_30default_config_static_selectorELNS0_4arch9wavefront6targetE0EEEvSV_.kd
    .uniform_work_group_size: 1
    .uses_dynamic_stack: false
    .vgpr_count:     0
    .vgpr_spill_count: 0
    .wavefront_size: 32
  - .args:
      - .offset:         0
        .size:           152
        .value_kind:     by_value
    .group_segment_fixed_size: 0
    .kernarg_segment_align: 8
    .kernarg_segment_size: 152
    .language:       OpenCL C
    .language_version:
      - 2
      - 0
    .max_flat_workgroup_size: 256
    .name:           _ZN7rocprim17ROCPRIM_400000_NS6detail17trampoline_kernelINS0_13select_configILj256ELj13ELNS0_17block_load_methodE3ELS4_3ELS4_3ELNS0_20block_scan_algorithmE0ELj4294967295EEENS1_25partition_config_selectorILNS1_17partition_subalgoE3EjNS0_10empty_typeEbEEZZNS1_14partition_implILS8_3ELb0ES6_jNS0_17counting_iteratorIjlEEPS9_SE_NS0_5tupleIJPjSE_EEENSF_IJSE_SE_EEES9_SG_JZNS1_25segmented_radix_sort_implINS0_14default_configELb1EPKlPlSM_SN_N2at6native12_GLOBAL__N_18offset_tEEE10hipError_tPvRmT1_PNSt15iterator_traitsISV_E10value_typeET2_T3_PNSW_IS11_E10value_typeET4_jRbjT5_S17_jjP12ihipStream_tbEUljE_EEESS_ST_SU_S11_S15_S17_T6_T7_T9_mT8_S19_bDpT10_ENKUlT_T0_E_clISt17integral_constantIbLb0EES1L_IbLb1EEEEDaS1H_S1I_EUlS1H_E_NS1_11comp_targetILNS1_3genE4ELNS1_11target_archE910ELNS1_3gpuE8ELNS1_3repE0EEENS1_30default_config_static_selectorELNS0_4arch9wavefront6targetE0EEEvSV_
    .private_segment_fixed_size: 0
    .sgpr_count:     0
    .sgpr_spill_count: 0
    .symbol:         _ZN7rocprim17ROCPRIM_400000_NS6detail17trampoline_kernelINS0_13select_configILj256ELj13ELNS0_17block_load_methodE3ELS4_3ELS4_3ELNS0_20block_scan_algorithmE0ELj4294967295EEENS1_25partition_config_selectorILNS1_17partition_subalgoE3EjNS0_10empty_typeEbEEZZNS1_14partition_implILS8_3ELb0ES6_jNS0_17counting_iteratorIjlEEPS9_SE_NS0_5tupleIJPjSE_EEENSF_IJSE_SE_EEES9_SG_JZNS1_25segmented_radix_sort_implINS0_14default_configELb1EPKlPlSM_SN_N2at6native12_GLOBAL__N_18offset_tEEE10hipError_tPvRmT1_PNSt15iterator_traitsISV_E10value_typeET2_T3_PNSW_IS11_E10value_typeET4_jRbjT5_S17_jjP12ihipStream_tbEUljE_EEESS_ST_SU_S11_S15_S17_T6_T7_T9_mT8_S19_bDpT10_ENKUlT_T0_E_clISt17integral_constantIbLb0EES1L_IbLb1EEEEDaS1H_S1I_EUlS1H_E_NS1_11comp_targetILNS1_3genE4ELNS1_11target_archE910ELNS1_3gpuE8ELNS1_3repE0EEENS1_30default_config_static_selectorELNS0_4arch9wavefront6targetE0EEEvSV_.kd
    .uniform_work_group_size: 1
    .uses_dynamic_stack: false
    .vgpr_count:     0
    .vgpr_spill_count: 0
    .wavefront_size: 32
  - .args:
      - .offset:         0
        .size:           152
        .value_kind:     by_value
    .group_segment_fixed_size: 0
    .kernarg_segment_align: 8
    .kernarg_segment_size: 152
    .language:       OpenCL C
    .language_version:
      - 2
      - 0
    .max_flat_workgroup_size: 256
    .name:           _ZN7rocprim17ROCPRIM_400000_NS6detail17trampoline_kernelINS0_13select_configILj256ELj13ELNS0_17block_load_methodE3ELS4_3ELS4_3ELNS0_20block_scan_algorithmE0ELj4294967295EEENS1_25partition_config_selectorILNS1_17partition_subalgoE3EjNS0_10empty_typeEbEEZZNS1_14partition_implILS8_3ELb0ES6_jNS0_17counting_iteratorIjlEEPS9_SE_NS0_5tupleIJPjSE_EEENSF_IJSE_SE_EEES9_SG_JZNS1_25segmented_radix_sort_implINS0_14default_configELb1EPKlPlSM_SN_N2at6native12_GLOBAL__N_18offset_tEEE10hipError_tPvRmT1_PNSt15iterator_traitsISV_E10value_typeET2_T3_PNSW_IS11_E10value_typeET4_jRbjT5_S17_jjP12ihipStream_tbEUljE_EEESS_ST_SU_S11_S15_S17_T6_T7_T9_mT8_S19_bDpT10_ENKUlT_T0_E_clISt17integral_constantIbLb0EES1L_IbLb1EEEEDaS1H_S1I_EUlS1H_E_NS1_11comp_targetILNS1_3genE3ELNS1_11target_archE908ELNS1_3gpuE7ELNS1_3repE0EEENS1_30default_config_static_selectorELNS0_4arch9wavefront6targetE0EEEvSV_
    .private_segment_fixed_size: 0
    .sgpr_count:     0
    .sgpr_spill_count: 0
    .symbol:         _ZN7rocprim17ROCPRIM_400000_NS6detail17trampoline_kernelINS0_13select_configILj256ELj13ELNS0_17block_load_methodE3ELS4_3ELS4_3ELNS0_20block_scan_algorithmE0ELj4294967295EEENS1_25partition_config_selectorILNS1_17partition_subalgoE3EjNS0_10empty_typeEbEEZZNS1_14partition_implILS8_3ELb0ES6_jNS0_17counting_iteratorIjlEEPS9_SE_NS0_5tupleIJPjSE_EEENSF_IJSE_SE_EEES9_SG_JZNS1_25segmented_radix_sort_implINS0_14default_configELb1EPKlPlSM_SN_N2at6native12_GLOBAL__N_18offset_tEEE10hipError_tPvRmT1_PNSt15iterator_traitsISV_E10value_typeET2_T3_PNSW_IS11_E10value_typeET4_jRbjT5_S17_jjP12ihipStream_tbEUljE_EEESS_ST_SU_S11_S15_S17_T6_T7_T9_mT8_S19_bDpT10_ENKUlT_T0_E_clISt17integral_constantIbLb0EES1L_IbLb1EEEEDaS1H_S1I_EUlS1H_E_NS1_11comp_targetILNS1_3genE3ELNS1_11target_archE908ELNS1_3gpuE7ELNS1_3repE0EEENS1_30default_config_static_selectorELNS0_4arch9wavefront6targetE0EEEvSV_.kd
    .uniform_work_group_size: 1
    .uses_dynamic_stack: false
    .vgpr_count:     0
    .vgpr_spill_count: 0
    .wavefront_size: 32
  - .args:
      - .offset:         0
        .size:           152
        .value_kind:     by_value
    .group_segment_fixed_size: 0
    .kernarg_segment_align: 8
    .kernarg_segment_size: 152
    .language:       OpenCL C
    .language_version:
      - 2
      - 0
    .max_flat_workgroup_size: 256
    .name:           _ZN7rocprim17ROCPRIM_400000_NS6detail17trampoline_kernelINS0_13select_configILj256ELj13ELNS0_17block_load_methodE3ELS4_3ELS4_3ELNS0_20block_scan_algorithmE0ELj4294967295EEENS1_25partition_config_selectorILNS1_17partition_subalgoE3EjNS0_10empty_typeEbEEZZNS1_14partition_implILS8_3ELb0ES6_jNS0_17counting_iteratorIjlEEPS9_SE_NS0_5tupleIJPjSE_EEENSF_IJSE_SE_EEES9_SG_JZNS1_25segmented_radix_sort_implINS0_14default_configELb1EPKlPlSM_SN_N2at6native12_GLOBAL__N_18offset_tEEE10hipError_tPvRmT1_PNSt15iterator_traitsISV_E10value_typeET2_T3_PNSW_IS11_E10value_typeET4_jRbjT5_S17_jjP12ihipStream_tbEUljE_EEESS_ST_SU_S11_S15_S17_T6_T7_T9_mT8_S19_bDpT10_ENKUlT_T0_E_clISt17integral_constantIbLb0EES1L_IbLb1EEEEDaS1H_S1I_EUlS1H_E_NS1_11comp_targetILNS1_3genE2ELNS1_11target_archE906ELNS1_3gpuE6ELNS1_3repE0EEENS1_30default_config_static_selectorELNS0_4arch9wavefront6targetE0EEEvSV_
    .private_segment_fixed_size: 0
    .sgpr_count:     0
    .sgpr_spill_count: 0
    .symbol:         _ZN7rocprim17ROCPRIM_400000_NS6detail17trampoline_kernelINS0_13select_configILj256ELj13ELNS0_17block_load_methodE3ELS4_3ELS4_3ELNS0_20block_scan_algorithmE0ELj4294967295EEENS1_25partition_config_selectorILNS1_17partition_subalgoE3EjNS0_10empty_typeEbEEZZNS1_14partition_implILS8_3ELb0ES6_jNS0_17counting_iteratorIjlEEPS9_SE_NS0_5tupleIJPjSE_EEENSF_IJSE_SE_EEES9_SG_JZNS1_25segmented_radix_sort_implINS0_14default_configELb1EPKlPlSM_SN_N2at6native12_GLOBAL__N_18offset_tEEE10hipError_tPvRmT1_PNSt15iterator_traitsISV_E10value_typeET2_T3_PNSW_IS11_E10value_typeET4_jRbjT5_S17_jjP12ihipStream_tbEUljE_EEESS_ST_SU_S11_S15_S17_T6_T7_T9_mT8_S19_bDpT10_ENKUlT_T0_E_clISt17integral_constantIbLb0EES1L_IbLb1EEEEDaS1H_S1I_EUlS1H_E_NS1_11comp_targetILNS1_3genE2ELNS1_11target_archE906ELNS1_3gpuE6ELNS1_3repE0EEENS1_30default_config_static_selectorELNS0_4arch9wavefront6targetE0EEEvSV_.kd
    .uniform_work_group_size: 1
    .uses_dynamic_stack: false
    .vgpr_count:     0
    .vgpr_spill_count: 0
    .wavefront_size: 32
  - .args:
      - .offset:         0
        .size:           152
        .value_kind:     by_value
    .group_segment_fixed_size: 0
    .kernarg_segment_align: 8
    .kernarg_segment_size: 152
    .language:       OpenCL C
    .language_version:
      - 2
      - 0
    .max_flat_workgroup_size: 256
    .name:           _ZN7rocprim17ROCPRIM_400000_NS6detail17trampoline_kernelINS0_13select_configILj256ELj13ELNS0_17block_load_methodE3ELS4_3ELS4_3ELNS0_20block_scan_algorithmE0ELj4294967295EEENS1_25partition_config_selectorILNS1_17partition_subalgoE3EjNS0_10empty_typeEbEEZZNS1_14partition_implILS8_3ELb0ES6_jNS0_17counting_iteratorIjlEEPS9_SE_NS0_5tupleIJPjSE_EEENSF_IJSE_SE_EEES9_SG_JZNS1_25segmented_radix_sort_implINS0_14default_configELb1EPKlPlSM_SN_N2at6native12_GLOBAL__N_18offset_tEEE10hipError_tPvRmT1_PNSt15iterator_traitsISV_E10value_typeET2_T3_PNSW_IS11_E10value_typeET4_jRbjT5_S17_jjP12ihipStream_tbEUljE_EEESS_ST_SU_S11_S15_S17_T6_T7_T9_mT8_S19_bDpT10_ENKUlT_T0_E_clISt17integral_constantIbLb0EES1L_IbLb1EEEEDaS1H_S1I_EUlS1H_E_NS1_11comp_targetILNS1_3genE10ELNS1_11target_archE1200ELNS1_3gpuE4ELNS1_3repE0EEENS1_30default_config_static_selectorELNS0_4arch9wavefront6targetE0EEEvSV_
    .private_segment_fixed_size: 0
    .sgpr_count:     0
    .sgpr_spill_count: 0
    .symbol:         _ZN7rocprim17ROCPRIM_400000_NS6detail17trampoline_kernelINS0_13select_configILj256ELj13ELNS0_17block_load_methodE3ELS4_3ELS4_3ELNS0_20block_scan_algorithmE0ELj4294967295EEENS1_25partition_config_selectorILNS1_17partition_subalgoE3EjNS0_10empty_typeEbEEZZNS1_14partition_implILS8_3ELb0ES6_jNS0_17counting_iteratorIjlEEPS9_SE_NS0_5tupleIJPjSE_EEENSF_IJSE_SE_EEES9_SG_JZNS1_25segmented_radix_sort_implINS0_14default_configELb1EPKlPlSM_SN_N2at6native12_GLOBAL__N_18offset_tEEE10hipError_tPvRmT1_PNSt15iterator_traitsISV_E10value_typeET2_T3_PNSW_IS11_E10value_typeET4_jRbjT5_S17_jjP12ihipStream_tbEUljE_EEESS_ST_SU_S11_S15_S17_T6_T7_T9_mT8_S19_bDpT10_ENKUlT_T0_E_clISt17integral_constantIbLb0EES1L_IbLb1EEEEDaS1H_S1I_EUlS1H_E_NS1_11comp_targetILNS1_3genE10ELNS1_11target_archE1200ELNS1_3gpuE4ELNS1_3repE0EEENS1_30default_config_static_selectorELNS0_4arch9wavefront6targetE0EEEvSV_.kd
    .uniform_work_group_size: 1
    .uses_dynamic_stack: false
    .vgpr_count:     0
    .vgpr_spill_count: 0
    .wavefront_size: 32
  - .args:
      - .offset:         0
        .size:           152
        .value_kind:     by_value
    .group_segment_fixed_size: 0
    .kernarg_segment_align: 8
    .kernarg_segment_size: 152
    .language:       OpenCL C
    .language_version:
      - 2
      - 0
    .max_flat_workgroup_size: 256
    .name:           _ZN7rocprim17ROCPRIM_400000_NS6detail17trampoline_kernelINS0_13select_configILj256ELj13ELNS0_17block_load_methodE3ELS4_3ELS4_3ELNS0_20block_scan_algorithmE0ELj4294967295EEENS1_25partition_config_selectorILNS1_17partition_subalgoE3EjNS0_10empty_typeEbEEZZNS1_14partition_implILS8_3ELb0ES6_jNS0_17counting_iteratorIjlEEPS9_SE_NS0_5tupleIJPjSE_EEENSF_IJSE_SE_EEES9_SG_JZNS1_25segmented_radix_sort_implINS0_14default_configELb1EPKlPlSM_SN_N2at6native12_GLOBAL__N_18offset_tEEE10hipError_tPvRmT1_PNSt15iterator_traitsISV_E10value_typeET2_T3_PNSW_IS11_E10value_typeET4_jRbjT5_S17_jjP12ihipStream_tbEUljE_EEESS_ST_SU_S11_S15_S17_T6_T7_T9_mT8_S19_bDpT10_ENKUlT_T0_E_clISt17integral_constantIbLb0EES1L_IbLb1EEEEDaS1H_S1I_EUlS1H_E_NS1_11comp_targetILNS1_3genE9ELNS1_11target_archE1100ELNS1_3gpuE3ELNS1_3repE0EEENS1_30default_config_static_selectorELNS0_4arch9wavefront6targetE0EEEvSV_
    .private_segment_fixed_size: 0
    .sgpr_count:     0
    .sgpr_spill_count: 0
    .symbol:         _ZN7rocprim17ROCPRIM_400000_NS6detail17trampoline_kernelINS0_13select_configILj256ELj13ELNS0_17block_load_methodE3ELS4_3ELS4_3ELNS0_20block_scan_algorithmE0ELj4294967295EEENS1_25partition_config_selectorILNS1_17partition_subalgoE3EjNS0_10empty_typeEbEEZZNS1_14partition_implILS8_3ELb0ES6_jNS0_17counting_iteratorIjlEEPS9_SE_NS0_5tupleIJPjSE_EEENSF_IJSE_SE_EEES9_SG_JZNS1_25segmented_radix_sort_implINS0_14default_configELb1EPKlPlSM_SN_N2at6native12_GLOBAL__N_18offset_tEEE10hipError_tPvRmT1_PNSt15iterator_traitsISV_E10value_typeET2_T3_PNSW_IS11_E10value_typeET4_jRbjT5_S17_jjP12ihipStream_tbEUljE_EEESS_ST_SU_S11_S15_S17_T6_T7_T9_mT8_S19_bDpT10_ENKUlT_T0_E_clISt17integral_constantIbLb0EES1L_IbLb1EEEEDaS1H_S1I_EUlS1H_E_NS1_11comp_targetILNS1_3genE9ELNS1_11target_archE1100ELNS1_3gpuE3ELNS1_3repE0EEENS1_30default_config_static_selectorELNS0_4arch9wavefront6targetE0EEEvSV_.kd
    .uniform_work_group_size: 1
    .uses_dynamic_stack: false
    .vgpr_count:     0
    .vgpr_spill_count: 0
    .wavefront_size: 32
  - .args:
      - .offset:         0
        .size:           152
        .value_kind:     by_value
    .group_segment_fixed_size: 0
    .kernarg_segment_align: 8
    .kernarg_segment_size: 152
    .language:       OpenCL C
    .language_version:
      - 2
      - 0
    .max_flat_workgroup_size: 256
    .name:           _ZN7rocprim17ROCPRIM_400000_NS6detail17trampoline_kernelINS0_13select_configILj256ELj13ELNS0_17block_load_methodE3ELS4_3ELS4_3ELNS0_20block_scan_algorithmE0ELj4294967295EEENS1_25partition_config_selectorILNS1_17partition_subalgoE3EjNS0_10empty_typeEbEEZZNS1_14partition_implILS8_3ELb0ES6_jNS0_17counting_iteratorIjlEEPS9_SE_NS0_5tupleIJPjSE_EEENSF_IJSE_SE_EEES9_SG_JZNS1_25segmented_radix_sort_implINS0_14default_configELb1EPKlPlSM_SN_N2at6native12_GLOBAL__N_18offset_tEEE10hipError_tPvRmT1_PNSt15iterator_traitsISV_E10value_typeET2_T3_PNSW_IS11_E10value_typeET4_jRbjT5_S17_jjP12ihipStream_tbEUljE_EEESS_ST_SU_S11_S15_S17_T6_T7_T9_mT8_S19_bDpT10_ENKUlT_T0_E_clISt17integral_constantIbLb0EES1L_IbLb1EEEEDaS1H_S1I_EUlS1H_E_NS1_11comp_targetILNS1_3genE8ELNS1_11target_archE1030ELNS1_3gpuE2ELNS1_3repE0EEENS1_30default_config_static_selectorELNS0_4arch9wavefront6targetE0EEEvSV_
    .private_segment_fixed_size: 0
    .sgpr_count:     0
    .sgpr_spill_count: 0
    .symbol:         _ZN7rocprim17ROCPRIM_400000_NS6detail17trampoline_kernelINS0_13select_configILj256ELj13ELNS0_17block_load_methodE3ELS4_3ELS4_3ELNS0_20block_scan_algorithmE0ELj4294967295EEENS1_25partition_config_selectorILNS1_17partition_subalgoE3EjNS0_10empty_typeEbEEZZNS1_14partition_implILS8_3ELb0ES6_jNS0_17counting_iteratorIjlEEPS9_SE_NS0_5tupleIJPjSE_EEENSF_IJSE_SE_EEES9_SG_JZNS1_25segmented_radix_sort_implINS0_14default_configELb1EPKlPlSM_SN_N2at6native12_GLOBAL__N_18offset_tEEE10hipError_tPvRmT1_PNSt15iterator_traitsISV_E10value_typeET2_T3_PNSW_IS11_E10value_typeET4_jRbjT5_S17_jjP12ihipStream_tbEUljE_EEESS_ST_SU_S11_S15_S17_T6_T7_T9_mT8_S19_bDpT10_ENKUlT_T0_E_clISt17integral_constantIbLb0EES1L_IbLb1EEEEDaS1H_S1I_EUlS1H_E_NS1_11comp_targetILNS1_3genE8ELNS1_11target_archE1030ELNS1_3gpuE2ELNS1_3repE0EEENS1_30default_config_static_selectorELNS0_4arch9wavefront6targetE0EEEvSV_.kd
    .uniform_work_group_size: 1
    .uses_dynamic_stack: false
    .vgpr_count:     0
    .vgpr_spill_count: 0
    .wavefront_size: 32
  - .args:
      - .offset:         0
        .size:           96
        .value_kind:     by_value
      - .offset:         96
        .size:           4
        .value_kind:     hidden_block_count_x
      - .offset:         100
        .size:           4
        .value_kind:     hidden_block_count_y
      - .offset:         104
        .size:           4
        .value_kind:     hidden_block_count_z
      - .offset:         108
        .size:           2
        .value_kind:     hidden_group_size_x
      - .offset:         110
        .size:           2
        .value_kind:     hidden_group_size_y
      - .offset:         112
        .size:           2
        .value_kind:     hidden_group_size_z
      - .offset:         114
        .size:           2
        .value_kind:     hidden_remainder_x
      - .offset:         116
        .size:           2
        .value_kind:     hidden_remainder_y
      - .offset:         118
        .size:           2
        .value_kind:     hidden_remainder_z
      - .offset:         136
        .size:           8
        .value_kind:     hidden_global_offset_x
      - .offset:         144
        .size:           8
        .value_kind:     hidden_global_offset_y
      - .offset:         152
        .size:           8
        .value_kind:     hidden_global_offset_z
      - .offset:         160
        .size:           2
        .value_kind:     hidden_grid_dims
      - .offset:         176
        .size:           8
        .value_kind:     hidden_hostcall_buffer
      - .offset:         184
        .size:           8
        .value_kind:     hidden_multigrid_sync_arg
      - .offset:         192
        .size:           8
        .value_kind:     hidden_heap_v1
      - .offset:         200
        .size:           8
        .value_kind:     hidden_default_queue
      - .offset:         208
        .size:           8
        .value_kind:     hidden_completion_action
      - .offset:         296
        .size:           8
        .value_kind:     hidden_queue_ptr
    .group_segment_fixed_size: 33824
    .kernarg_segment_align: 8
    .kernarg_segment_size: 352
    .language:       OpenCL C
    .language_version:
      - 2
      - 0
    .max_flat_workgroup_size: 256
    .name:           _ZN7rocprim17ROCPRIM_400000_NS6detail17trampoline_kernelINS0_14default_configENS1_36segmented_radix_sort_config_selectorIllEEZNS1_25segmented_radix_sort_implIS3_Lb1EPKlPlS8_S9_N2at6native12_GLOBAL__N_18offset_tEEE10hipError_tPvRmT1_PNSt15iterator_traitsISH_E10value_typeET2_T3_PNSI_ISN_E10value_typeET4_jRbjT5_ST_jjP12ihipStream_tbEUlT_E_NS1_11comp_targetILNS1_3genE0ELNS1_11target_archE4294967295ELNS1_3gpuE0ELNS1_3repE0EEENS1_30default_config_static_selectorELNS0_4arch9wavefront6targetE0EEEvSH_
    .private_segment_fixed_size: 0
    .sgpr_count:     62
    .sgpr_spill_count: 0
    .symbol:         _ZN7rocprim17ROCPRIM_400000_NS6detail17trampoline_kernelINS0_14default_configENS1_36segmented_radix_sort_config_selectorIllEEZNS1_25segmented_radix_sort_implIS3_Lb1EPKlPlS8_S9_N2at6native12_GLOBAL__N_18offset_tEEE10hipError_tPvRmT1_PNSt15iterator_traitsISH_E10value_typeET2_T3_PNSI_ISN_E10value_typeET4_jRbjT5_ST_jjP12ihipStream_tbEUlT_E_NS1_11comp_targetILNS1_3genE0ELNS1_11target_archE4294967295ELNS1_3gpuE0ELNS1_3repE0EEENS1_30default_config_static_selectorELNS0_4arch9wavefront6targetE0EEEvSH_.kd
    .uniform_work_group_size: 1
    .uses_dynamic_stack: false
    .vgpr_count:     319
    .vgpr_spill_count: 0
    .wavefront_size: 32
  - .args:
      - .offset:         0
        .size:           96
        .value_kind:     by_value
    .group_segment_fixed_size: 0
    .kernarg_segment_align: 8
    .kernarg_segment_size: 96
    .language:       OpenCL C
    .language_version:
      - 2
      - 0
    .max_flat_workgroup_size: 256
    .name:           _ZN7rocprim17ROCPRIM_400000_NS6detail17trampoline_kernelINS0_14default_configENS1_36segmented_radix_sort_config_selectorIllEEZNS1_25segmented_radix_sort_implIS3_Lb1EPKlPlS8_S9_N2at6native12_GLOBAL__N_18offset_tEEE10hipError_tPvRmT1_PNSt15iterator_traitsISH_E10value_typeET2_T3_PNSI_ISN_E10value_typeET4_jRbjT5_ST_jjP12ihipStream_tbEUlT_E_NS1_11comp_targetILNS1_3genE5ELNS1_11target_archE942ELNS1_3gpuE9ELNS1_3repE0EEENS1_30default_config_static_selectorELNS0_4arch9wavefront6targetE0EEEvSH_
    .private_segment_fixed_size: 0
    .sgpr_count:     0
    .sgpr_spill_count: 0
    .symbol:         _ZN7rocprim17ROCPRIM_400000_NS6detail17trampoline_kernelINS0_14default_configENS1_36segmented_radix_sort_config_selectorIllEEZNS1_25segmented_radix_sort_implIS3_Lb1EPKlPlS8_S9_N2at6native12_GLOBAL__N_18offset_tEEE10hipError_tPvRmT1_PNSt15iterator_traitsISH_E10value_typeET2_T3_PNSI_ISN_E10value_typeET4_jRbjT5_ST_jjP12ihipStream_tbEUlT_E_NS1_11comp_targetILNS1_3genE5ELNS1_11target_archE942ELNS1_3gpuE9ELNS1_3repE0EEENS1_30default_config_static_selectorELNS0_4arch9wavefront6targetE0EEEvSH_.kd
    .uniform_work_group_size: 1
    .uses_dynamic_stack: false
    .vgpr_count:     0
    .vgpr_spill_count: 0
    .wavefront_size: 32
  - .args:
      - .offset:         0
        .size:           96
        .value_kind:     by_value
    .group_segment_fixed_size: 0
    .kernarg_segment_align: 8
    .kernarg_segment_size: 96
    .language:       OpenCL C
    .language_version:
      - 2
      - 0
    .max_flat_workgroup_size: 256
    .name:           _ZN7rocprim17ROCPRIM_400000_NS6detail17trampoline_kernelINS0_14default_configENS1_36segmented_radix_sort_config_selectorIllEEZNS1_25segmented_radix_sort_implIS3_Lb1EPKlPlS8_S9_N2at6native12_GLOBAL__N_18offset_tEEE10hipError_tPvRmT1_PNSt15iterator_traitsISH_E10value_typeET2_T3_PNSI_ISN_E10value_typeET4_jRbjT5_ST_jjP12ihipStream_tbEUlT_E_NS1_11comp_targetILNS1_3genE4ELNS1_11target_archE910ELNS1_3gpuE8ELNS1_3repE0EEENS1_30default_config_static_selectorELNS0_4arch9wavefront6targetE0EEEvSH_
    .private_segment_fixed_size: 0
    .sgpr_count:     0
    .sgpr_spill_count: 0
    .symbol:         _ZN7rocprim17ROCPRIM_400000_NS6detail17trampoline_kernelINS0_14default_configENS1_36segmented_radix_sort_config_selectorIllEEZNS1_25segmented_radix_sort_implIS3_Lb1EPKlPlS8_S9_N2at6native12_GLOBAL__N_18offset_tEEE10hipError_tPvRmT1_PNSt15iterator_traitsISH_E10value_typeET2_T3_PNSI_ISN_E10value_typeET4_jRbjT5_ST_jjP12ihipStream_tbEUlT_E_NS1_11comp_targetILNS1_3genE4ELNS1_11target_archE910ELNS1_3gpuE8ELNS1_3repE0EEENS1_30default_config_static_selectorELNS0_4arch9wavefront6targetE0EEEvSH_.kd
    .uniform_work_group_size: 1
    .uses_dynamic_stack: false
    .vgpr_count:     0
    .vgpr_spill_count: 0
    .wavefront_size: 32
  - .args:
      - .offset:         0
        .size:           96
        .value_kind:     by_value
    .group_segment_fixed_size: 0
    .kernarg_segment_align: 8
    .kernarg_segment_size: 96
    .language:       OpenCL C
    .language_version:
      - 2
      - 0
    .max_flat_workgroup_size: 256
    .name:           _ZN7rocprim17ROCPRIM_400000_NS6detail17trampoline_kernelINS0_14default_configENS1_36segmented_radix_sort_config_selectorIllEEZNS1_25segmented_radix_sort_implIS3_Lb1EPKlPlS8_S9_N2at6native12_GLOBAL__N_18offset_tEEE10hipError_tPvRmT1_PNSt15iterator_traitsISH_E10value_typeET2_T3_PNSI_ISN_E10value_typeET4_jRbjT5_ST_jjP12ihipStream_tbEUlT_E_NS1_11comp_targetILNS1_3genE3ELNS1_11target_archE908ELNS1_3gpuE7ELNS1_3repE0EEENS1_30default_config_static_selectorELNS0_4arch9wavefront6targetE0EEEvSH_
    .private_segment_fixed_size: 0
    .sgpr_count:     0
    .sgpr_spill_count: 0
    .symbol:         _ZN7rocprim17ROCPRIM_400000_NS6detail17trampoline_kernelINS0_14default_configENS1_36segmented_radix_sort_config_selectorIllEEZNS1_25segmented_radix_sort_implIS3_Lb1EPKlPlS8_S9_N2at6native12_GLOBAL__N_18offset_tEEE10hipError_tPvRmT1_PNSt15iterator_traitsISH_E10value_typeET2_T3_PNSI_ISN_E10value_typeET4_jRbjT5_ST_jjP12ihipStream_tbEUlT_E_NS1_11comp_targetILNS1_3genE3ELNS1_11target_archE908ELNS1_3gpuE7ELNS1_3repE0EEENS1_30default_config_static_selectorELNS0_4arch9wavefront6targetE0EEEvSH_.kd
    .uniform_work_group_size: 1
    .uses_dynamic_stack: false
    .vgpr_count:     0
    .vgpr_spill_count: 0
    .wavefront_size: 32
  - .args:
      - .offset:         0
        .size:           96
        .value_kind:     by_value
    .group_segment_fixed_size: 0
    .kernarg_segment_align: 8
    .kernarg_segment_size: 96
    .language:       OpenCL C
    .language_version:
      - 2
      - 0
    .max_flat_workgroup_size: 256
    .name:           _ZN7rocprim17ROCPRIM_400000_NS6detail17trampoline_kernelINS0_14default_configENS1_36segmented_radix_sort_config_selectorIllEEZNS1_25segmented_radix_sort_implIS3_Lb1EPKlPlS8_S9_N2at6native12_GLOBAL__N_18offset_tEEE10hipError_tPvRmT1_PNSt15iterator_traitsISH_E10value_typeET2_T3_PNSI_ISN_E10value_typeET4_jRbjT5_ST_jjP12ihipStream_tbEUlT_E_NS1_11comp_targetILNS1_3genE2ELNS1_11target_archE906ELNS1_3gpuE6ELNS1_3repE0EEENS1_30default_config_static_selectorELNS0_4arch9wavefront6targetE0EEEvSH_
    .private_segment_fixed_size: 0
    .sgpr_count:     0
    .sgpr_spill_count: 0
    .symbol:         _ZN7rocprim17ROCPRIM_400000_NS6detail17trampoline_kernelINS0_14default_configENS1_36segmented_radix_sort_config_selectorIllEEZNS1_25segmented_radix_sort_implIS3_Lb1EPKlPlS8_S9_N2at6native12_GLOBAL__N_18offset_tEEE10hipError_tPvRmT1_PNSt15iterator_traitsISH_E10value_typeET2_T3_PNSI_ISN_E10value_typeET4_jRbjT5_ST_jjP12ihipStream_tbEUlT_E_NS1_11comp_targetILNS1_3genE2ELNS1_11target_archE906ELNS1_3gpuE6ELNS1_3repE0EEENS1_30default_config_static_selectorELNS0_4arch9wavefront6targetE0EEEvSH_.kd
    .uniform_work_group_size: 1
    .uses_dynamic_stack: false
    .vgpr_count:     0
    .vgpr_spill_count: 0
    .wavefront_size: 32
  - .args:
      - .offset:         0
        .size:           96
        .value_kind:     by_value
    .group_segment_fixed_size: 0
    .kernarg_segment_align: 8
    .kernarg_segment_size: 96
    .language:       OpenCL C
    .language_version:
      - 2
      - 0
    .max_flat_workgroup_size: 256
    .name:           _ZN7rocprim17ROCPRIM_400000_NS6detail17trampoline_kernelINS0_14default_configENS1_36segmented_radix_sort_config_selectorIllEEZNS1_25segmented_radix_sort_implIS3_Lb1EPKlPlS8_S9_N2at6native12_GLOBAL__N_18offset_tEEE10hipError_tPvRmT1_PNSt15iterator_traitsISH_E10value_typeET2_T3_PNSI_ISN_E10value_typeET4_jRbjT5_ST_jjP12ihipStream_tbEUlT_E_NS1_11comp_targetILNS1_3genE10ELNS1_11target_archE1201ELNS1_3gpuE5ELNS1_3repE0EEENS1_30default_config_static_selectorELNS0_4arch9wavefront6targetE0EEEvSH_
    .private_segment_fixed_size: 0
    .sgpr_count:     0
    .sgpr_spill_count: 0
    .symbol:         _ZN7rocprim17ROCPRIM_400000_NS6detail17trampoline_kernelINS0_14default_configENS1_36segmented_radix_sort_config_selectorIllEEZNS1_25segmented_radix_sort_implIS3_Lb1EPKlPlS8_S9_N2at6native12_GLOBAL__N_18offset_tEEE10hipError_tPvRmT1_PNSt15iterator_traitsISH_E10value_typeET2_T3_PNSI_ISN_E10value_typeET4_jRbjT5_ST_jjP12ihipStream_tbEUlT_E_NS1_11comp_targetILNS1_3genE10ELNS1_11target_archE1201ELNS1_3gpuE5ELNS1_3repE0EEENS1_30default_config_static_selectorELNS0_4arch9wavefront6targetE0EEEvSH_.kd
    .uniform_work_group_size: 1
    .uses_dynamic_stack: false
    .vgpr_count:     0
    .vgpr_spill_count: 0
    .wavefront_size: 32
  - .args:
      - .offset:         0
        .size:           96
        .value_kind:     by_value
    .group_segment_fixed_size: 0
    .kernarg_segment_align: 8
    .kernarg_segment_size: 96
    .language:       OpenCL C
    .language_version:
      - 2
      - 0
    .max_flat_workgroup_size: 128
    .name:           _ZN7rocprim17ROCPRIM_400000_NS6detail17trampoline_kernelINS0_14default_configENS1_36segmented_radix_sort_config_selectorIllEEZNS1_25segmented_radix_sort_implIS3_Lb1EPKlPlS8_S9_N2at6native12_GLOBAL__N_18offset_tEEE10hipError_tPvRmT1_PNSt15iterator_traitsISH_E10value_typeET2_T3_PNSI_ISN_E10value_typeET4_jRbjT5_ST_jjP12ihipStream_tbEUlT_E_NS1_11comp_targetILNS1_3genE10ELNS1_11target_archE1200ELNS1_3gpuE4ELNS1_3repE0EEENS1_30default_config_static_selectorELNS0_4arch9wavefront6targetE0EEEvSH_
    .private_segment_fixed_size: 0
    .sgpr_count:     0
    .sgpr_spill_count: 0
    .symbol:         _ZN7rocprim17ROCPRIM_400000_NS6detail17trampoline_kernelINS0_14default_configENS1_36segmented_radix_sort_config_selectorIllEEZNS1_25segmented_radix_sort_implIS3_Lb1EPKlPlS8_S9_N2at6native12_GLOBAL__N_18offset_tEEE10hipError_tPvRmT1_PNSt15iterator_traitsISH_E10value_typeET2_T3_PNSI_ISN_E10value_typeET4_jRbjT5_ST_jjP12ihipStream_tbEUlT_E_NS1_11comp_targetILNS1_3genE10ELNS1_11target_archE1200ELNS1_3gpuE4ELNS1_3repE0EEENS1_30default_config_static_selectorELNS0_4arch9wavefront6targetE0EEEvSH_.kd
    .uniform_work_group_size: 1
    .uses_dynamic_stack: false
    .vgpr_count:     0
    .vgpr_spill_count: 0
    .wavefront_size: 32
  - .args:
      - .offset:         0
        .size:           96
        .value_kind:     by_value
    .group_segment_fixed_size: 0
    .kernarg_segment_align: 8
    .kernarg_segment_size: 96
    .language:       OpenCL C
    .language_version:
      - 2
      - 0
    .max_flat_workgroup_size: 256
    .name:           _ZN7rocprim17ROCPRIM_400000_NS6detail17trampoline_kernelINS0_14default_configENS1_36segmented_radix_sort_config_selectorIllEEZNS1_25segmented_radix_sort_implIS3_Lb1EPKlPlS8_S9_N2at6native12_GLOBAL__N_18offset_tEEE10hipError_tPvRmT1_PNSt15iterator_traitsISH_E10value_typeET2_T3_PNSI_ISN_E10value_typeET4_jRbjT5_ST_jjP12ihipStream_tbEUlT_E_NS1_11comp_targetILNS1_3genE9ELNS1_11target_archE1100ELNS1_3gpuE3ELNS1_3repE0EEENS1_30default_config_static_selectorELNS0_4arch9wavefront6targetE0EEEvSH_
    .private_segment_fixed_size: 0
    .sgpr_count:     0
    .sgpr_spill_count: 0
    .symbol:         _ZN7rocprim17ROCPRIM_400000_NS6detail17trampoline_kernelINS0_14default_configENS1_36segmented_radix_sort_config_selectorIllEEZNS1_25segmented_radix_sort_implIS3_Lb1EPKlPlS8_S9_N2at6native12_GLOBAL__N_18offset_tEEE10hipError_tPvRmT1_PNSt15iterator_traitsISH_E10value_typeET2_T3_PNSI_ISN_E10value_typeET4_jRbjT5_ST_jjP12ihipStream_tbEUlT_E_NS1_11comp_targetILNS1_3genE9ELNS1_11target_archE1100ELNS1_3gpuE3ELNS1_3repE0EEENS1_30default_config_static_selectorELNS0_4arch9wavefront6targetE0EEEvSH_.kd
    .uniform_work_group_size: 1
    .uses_dynamic_stack: false
    .vgpr_count:     0
    .vgpr_spill_count: 0
    .wavefront_size: 32
  - .args:
      - .offset:         0
        .size:           96
        .value_kind:     by_value
    .group_segment_fixed_size: 0
    .kernarg_segment_align: 8
    .kernarg_segment_size: 96
    .language:       OpenCL C
    .language_version:
      - 2
      - 0
    .max_flat_workgroup_size: 256
    .name:           _ZN7rocprim17ROCPRIM_400000_NS6detail17trampoline_kernelINS0_14default_configENS1_36segmented_radix_sort_config_selectorIllEEZNS1_25segmented_radix_sort_implIS3_Lb1EPKlPlS8_S9_N2at6native12_GLOBAL__N_18offset_tEEE10hipError_tPvRmT1_PNSt15iterator_traitsISH_E10value_typeET2_T3_PNSI_ISN_E10value_typeET4_jRbjT5_ST_jjP12ihipStream_tbEUlT_E_NS1_11comp_targetILNS1_3genE8ELNS1_11target_archE1030ELNS1_3gpuE2ELNS1_3repE0EEENS1_30default_config_static_selectorELNS0_4arch9wavefront6targetE0EEEvSH_
    .private_segment_fixed_size: 0
    .sgpr_count:     0
    .sgpr_spill_count: 0
    .symbol:         _ZN7rocprim17ROCPRIM_400000_NS6detail17trampoline_kernelINS0_14default_configENS1_36segmented_radix_sort_config_selectorIllEEZNS1_25segmented_radix_sort_implIS3_Lb1EPKlPlS8_S9_N2at6native12_GLOBAL__N_18offset_tEEE10hipError_tPvRmT1_PNSt15iterator_traitsISH_E10value_typeET2_T3_PNSI_ISN_E10value_typeET4_jRbjT5_ST_jjP12ihipStream_tbEUlT_E_NS1_11comp_targetILNS1_3genE8ELNS1_11target_archE1030ELNS1_3gpuE2ELNS1_3repE0EEENS1_30default_config_static_selectorELNS0_4arch9wavefront6targetE0EEEvSH_.kd
    .uniform_work_group_size: 1
    .uses_dynamic_stack: false
    .vgpr_count:     0
    .vgpr_spill_count: 0
    .wavefront_size: 32
  - .args:
      - .offset:         0
        .size:           88
        .value_kind:     by_value
      - .offset:         88
        .size:           4
        .value_kind:     hidden_block_count_x
      - .offset:         92
        .size:           4
        .value_kind:     hidden_block_count_y
      - .offset:         96
        .size:           4
        .value_kind:     hidden_block_count_z
      - .offset:         100
        .size:           2
        .value_kind:     hidden_group_size_x
      - .offset:         102
        .size:           2
        .value_kind:     hidden_group_size_y
      - .offset:         104
        .size:           2
        .value_kind:     hidden_group_size_z
      - .offset:         106
        .size:           2
        .value_kind:     hidden_remainder_x
      - .offset:         108
        .size:           2
        .value_kind:     hidden_remainder_y
      - .offset:         110
        .size:           2
        .value_kind:     hidden_remainder_z
      - .offset:         128
        .size:           8
        .value_kind:     hidden_global_offset_x
      - .offset:         136
        .size:           8
        .value_kind:     hidden_global_offset_y
      - .offset:         144
        .size:           8
        .value_kind:     hidden_global_offset_z
      - .offset:         152
        .size:           2
        .value_kind:     hidden_grid_dims
      - .offset:         168
        .size:           8
        .value_kind:     hidden_hostcall_buffer
      - .offset:         176
        .size:           8
        .value_kind:     hidden_multigrid_sync_arg
      - .offset:         184
        .size:           8
        .value_kind:     hidden_heap_v1
      - .offset:         192
        .size:           8
        .value_kind:     hidden_default_queue
      - .offset:         200
        .size:           8
        .value_kind:     hidden_completion_action
      - .offset:         288
        .size:           8
        .value_kind:     hidden_queue_ptr
    .group_segment_fixed_size: 32768
    .kernarg_segment_align: 8
    .kernarg_segment_size: 344
    .language:       OpenCL C
    .language_version:
      - 2
      - 0
    .max_flat_workgroup_size: 256
    .name:           _ZN7rocprim17ROCPRIM_400000_NS6detail17trampoline_kernelINS0_14default_configENS1_36segmented_radix_sort_config_selectorIllEEZNS1_25segmented_radix_sort_implIS3_Lb1EPKlPlS8_S9_N2at6native12_GLOBAL__N_18offset_tEEE10hipError_tPvRmT1_PNSt15iterator_traitsISH_E10value_typeET2_T3_PNSI_ISN_E10value_typeET4_jRbjT5_ST_jjP12ihipStream_tbEUlT_E0_NS1_11comp_targetILNS1_3genE0ELNS1_11target_archE4294967295ELNS1_3gpuE0ELNS1_3repE0EEENS1_60segmented_radix_sort_warp_sort_medium_config_static_selectorELNS0_4arch9wavefront6targetE0EEEvSH_
    .private_segment_fixed_size: 0
    .sgpr_count:     46
    .sgpr_spill_count: 0
    .symbol:         _ZN7rocprim17ROCPRIM_400000_NS6detail17trampoline_kernelINS0_14default_configENS1_36segmented_radix_sort_config_selectorIllEEZNS1_25segmented_radix_sort_implIS3_Lb1EPKlPlS8_S9_N2at6native12_GLOBAL__N_18offset_tEEE10hipError_tPvRmT1_PNSt15iterator_traitsISH_E10value_typeET2_T3_PNSI_ISN_E10value_typeET4_jRbjT5_ST_jjP12ihipStream_tbEUlT_E0_NS1_11comp_targetILNS1_3genE0ELNS1_11target_archE4294967295ELNS1_3gpuE0ELNS1_3repE0EEENS1_60segmented_radix_sort_warp_sort_medium_config_static_selectorELNS0_4arch9wavefront6targetE0EEEvSH_.kd
    .uniform_work_group_size: 1
    .uses_dynamic_stack: false
    .vgpr_count:     98
    .vgpr_spill_count: 0
    .wavefront_size: 32
  - .args:
      - .offset:         0
        .size:           88
        .value_kind:     by_value
    .group_segment_fixed_size: 0
    .kernarg_segment_align: 8
    .kernarg_segment_size: 88
    .language:       OpenCL C
    .language_version:
      - 2
      - 0
    .max_flat_workgroup_size: 256
    .name:           _ZN7rocprim17ROCPRIM_400000_NS6detail17trampoline_kernelINS0_14default_configENS1_36segmented_radix_sort_config_selectorIllEEZNS1_25segmented_radix_sort_implIS3_Lb1EPKlPlS8_S9_N2at6native12_GLOBAL__N_18offset_tEEE10hipError_tPvRmT1_PNSt15iterator_traitsISH_E10value_typeET2_T3_PNSI_ISN_E10value_typeET4_jRbjT5_ST_jjP12ihipStream_tbEUlT_E0_NS1_11comp_targetILNS1_3genE5ELNS1_11target_archE942ELNS1_3gpuE9ELNS1_3repE0EEENS1_60segmented_radix_sort_warp_sort_medium_config_static_selectorELNS0_4arch9wavefront6targetE0EEEvSH_
    .private_segment_fixed_size: 0
    .sgpr_count:     0
    .sgpr_spill_count: 0
    .symbol:         _ZN7rocprim17ROCPRIM_400000_NS6detail17trampoline_kernelINS0_14default_configENS1_36segmented_radix_sort_config_selectorIllEEZNS1_25segmented_radix_sort_implIS3_Lb1EPKlPlS8_S9_N2at6native12_GLOBAL__N_18offset_tEEE10hipError_tPvRmT1_PNSt15iterator_traitsISH_E10value_typeET2_T3_PNSI_ISN_E10value_typeET4_jRbjT5_ST_jjP12ihipStream_tbEUlT_E0_NS1_11comp_targetILNS1_3genE5ELNS1_11target_archE942ELNS1_3gpuE9ELNS1_3repE0EEENS1_60segmented_radix_sort_warp_sort_medium_config_static_selectorELNS0_4arch9wavefront6targetE0EEEvSH_.kd
    .uniform_work_group_size: 1
    .uses_dynamic_stack: false
    .vgpr_count:     0
    .vgpr_spill_count: 0
    .wavefront_size: 32
  - .args:
      - .offset:         0
        .size:           88
        .value_kind:     by_value
    .group_segment_fixed_size: 0
    .kernarg_segment_align: 8
    .kernarg_segment_size: 88
    .language:       OpenCL C
    .language_version:
      - 2
      - 0
    .max_flat_workgroup_size: 256
    .name:           _ZN7rocprim17ROCPRIM_400000_NS6detail17trampoline_kernelINS0_14default_configENS1_36segmented_radix_sort_config_selectorIllEEZNS1_25segmented_radix_sort_implIS3_Lb1EPKlPlS8_S9_N2at6native12_GLOBAL__N_18offset_tEEE10hipError_tPvRmT1_PNSt15iterator_traitsISH_E10value_typeET2_T3_PNSI_ISN_E10value_typeET4_jRbjT5_ST_jjP12ihipStream_tbEUlT_E0_NS1_11comp_targetILNS1_3genE4ELNS1_11target_archE910ELNS1_3gpuE8ELNS1_3repE0EEENS1_60segmented_radix_sort_warp_sort_medium_config_static_selectorELNS0_4arch9wavefront6targetE0EEEvSH_
    .private_segment_fixed_size: 0
    .sgpr_count:     0
    .sgpr_spill_count: 0
    .symbol:         _ZN7rocprim17ROCPRIM_400000_NS6detail17trampoline_kernelINS0_14default_configENS1_36segmented_radix_sort_config_selectorIllEEZNS1_25segmented_radix_sort_implIS3_Lb1EPKlPlS8_S9_N2at6native12_GLOBAL__N_18offset_tEEE10hipError_tPvRmT1_PNSt15iterator_traitsISH_E10value_typeET2_T3_PNSI_ISN_E10value_typeET4_jRbjT5_ST_jjP12ihipStream_tbEUlT_E0_NS1_11comp_targetILNS1_3genE4ELNS1_11target_archE910ELNS1_3gpuE8ELNS1_3repE0EEENS1_60segmented_radix_sort_warp_sort_medium_config_static_selectorELNS0_4arch9wavefront6targetE0EEEvSH_.kd
    .uniform_work_group_size: 1
    .uses_dynamic_stack: false
    .vgpr_count:     0
    .vgpr_spill_count: 0
    .wavefront_size: 32
  - .args:
      - .offset:         0
        .size:           88
        .value_kind:     by_value
    .group_segment_fixed_size: 0
    .kernarg_segment_align: 8
    .kernarg_segment_size: 88
    .language:       OpenCL C
    .language_version:
      - 2
      - 0
    .max_flat_workgroup_size: 256
    .name:           _ZN7rocprim17ROCPRIM_400000_NS6detail17trampoline_kernelINS0_14default_configENS1_36segmented_radix_sort_config_selectorIllEEZNS1_25segmented_radix_sort_implIS3_Lb1EPKlPlS8_S9_N2at6native12_GLOBAL__N_18offset_tEEE10hipError_tPvRmT1_PNSt15iterator_traitsISH_E10value_typeET2_T3_PNSI_ISN_E10value_typeET4_jRbjT5_ST_jjP12ihipStream_tbEUlT_E0_NS1_11comp_targetILNS1_3genE3ELNS1_11target_archE908ELNS1_3gpuE7ELNS1_3repE0EEENS1_60segmented_radix_sort_warp_sort_medium_config_static_selectorELNS0_4arch9wavefront6targetE0EEEvSH_
    .private_segment_fixed_size: 0
    .sgpr_count:     0
    .sgpr_spill_count: 0
    .symbol:         _ZN7rocprim17ROCPRIM_400000_NS6detail17trampoline_kernelINS0_14default_configENS1_36segmented_radix_sort_config_selectorIllEEZNS1_25segmented_radix_sort_implIS3_Lb1EPKlPlS8_S9_N2at6native12_GLOBAL__N_18offset_tEEE10hipError_tPvRmT1_PNSt15iterator_traitsISH_E10value_typeET2_T3_PNSI_ISN_E10value_typeET4_jRbjT5_ST_jjP12ihipStream_tbEUlT_E0_NS1_11comp_targetILNS1_3genE3ELNS1_11target_archE908ELNS1_3gpuE7ELNS1_3repE0EEENS1_60segmented_radix_sort_warp_sort_medium_config_static_selectorELNS0_4arch9wavefront6targetE0EEEvSH_.kd
    .uniform_work_group_size: 1
    .uses_dynamic_stack: false
    .vgpr_count:     0
    .vgpr_spill_count: 0
    .wavefront_size: 32
  - .args:
      - .offset:         0
        .size:           88
        .value_kind:     by_value
    .group_segment_fixed_size: 0
    .kernarg_segment_align: 8
    .kernarg_segment_size: 88
    .language:       OpenCL C
    .language_version:
      - 2
      - 0
    .max_flat_workgroup_size: 256
    .name:           _ZN7rocprim17ROCPRIM_400000_NS6detail17trampoline_kernelINS0_14default_configENS1_36segmented_radix_sort_config_selectorIllEEZNS1_25segmented_radix_sort_implIS3_Lb1EPKlPlS8_S9_N2at6native12_GLOBAL__N_18offset_tEEE10hipError_tPvRmT1_PNSt15iterator_traitsISH_E10value_typeET2_T3_PNSI_ISN_E10value_typeET4_jRbjT5_ST_jjP12ihipStream_tbEUlT_E0_NS1_11comp_targetILNS1_3genE2ELNS1_11target_archE906ELNS1_3gpuE6ELNS1_3repE0EEENS1_60segmented_radix_sort_warp_sort_medium_config_static_selectorELNS0_4arch9wavefront6targetE0EEEvSH_
    .private_segment_fixed_size: 0
    .sgpr_count:     0
    .sgpr_spill_count: 0
    .symbol:         _ZN7rocprim17ROCPRIM_400000_NS6detail17trampoline_kernelINS0_14default_configENS1_36segmented_radix_sort_config_selectorIllEEZNS1_25segmented_radix_sort_implIS3_Lb1EPKlPlS8_S9_N2at6native12_GLOBAL__N_18offset_tEEE10hipError_tPvRmT1_PNSt15iterator_traitsISH_E10value_typeET2_T3_PNSI_ISN_E10value_typeET4_jRbjT5_ST_jjP12ihipStream_tbEUlT_E0_NS1_11comp_targetILNS1_3genE2ELNS1_11target_archE906ELNS1_3gpuE6ELNS1_3repE0EEENS1_60segmented_radix_sort_warp_sort_medium_config_static_selectorELNS0_4arch9wavefront6targetE0EEEvSH_.kd
    .uniform_work_group_size: 1
    .uses_dynamic_stack: false
    .vgpr_count:     0
    .vgpr_spill_count: 0
    .wavefront_size: 32
  - .args:
      - .offset:         0
        .size:           88
        .value_kind:     by_value
    .group_segment_fixed_size: 0
    .kernarg_segment_align: 8
    .kernarg_segment_size: 88
    .language:       OpenCL C
    .language_version:
      - 2
      - 0
    .max_flat_workgroup_size: 256
    .name:           _ZN7rocprim17ROCPRIM_400000_NS6detail17trampoline_kernelINS0_14default_configENS1_36segmented_radix_sort_config_selectorIllEEZNS1_25segmented_radix_sort_implIS3_Lb1EPKlPlS8_S9_N2at6native12_GLOBAL__N_18offset_tEEE10hipError_tPvRmT1_PNSt15iterator_traitsISH_E10value_typeET2_T3_PNSI_ISN_E10value_typeET4_jRbjT5_ST_jjP12ihipStream_tbEUlT_E0_NS1_11comp_targetILNS1_3genE10ELNS1_11target_archE1201ELNS1_3gpuE5ELNS1_3repE0EEENS1_60segmented_radix_sort_warp_sort_medium_config_static_selectorELNS0_4arch9wavefront6targetE0EEEvSH_
    .private_segment_fixed_size: 0
    .sgpr_count:     0
    .sgpr_spill_count: 0
    .symbol:         _ZN7rocprim17ROCPRIM_400000_NS6detail17trampoline_kernelINS0_14default_configENS1_36segmented_radix_sort_config_selectorIllEEZNS1_25segmented_radix_sort_implIS3_Lb1EPKlPlS8_S9_N2at6native12_GLOBAL__N_18offset_tEEE10hipError_tPvRmT1_PNSt15iterator_traitsISH_E10value_typeET2_T3_PNSI_ISN_E10value_typeET4_jRbjT5_ST_jjP12ihipStream_tbEUlT_E0_NS1_11comp_targetILNS1_3genE10ELNS1_11target_archE1201ELNS1_3gpuE5ELNS1_3repE0EEENS1_60segmented_radix_sort_warp_sort_medium_config_static_selectorELNS0_4arch9wavefront6targetE0EEEvSH_.kd
    .uniform_work_group_size: 1
    .uses_dynamic_stack: false
    .vgpr_count:     0
    .vgpr_spill_count: 0
    .wavefront_size: 32
  - .args:
      - .offset:         0
        .size:           88
        .value_kind:     by_value
    .group_segment_fixed_size: 0
    .kernarg_segment_align: 8
    .kernarg_segment_size: 88
    .language:       OpenCL C
    .language_version:
      - 2
      - 0
    .max_flat_workgroup_size: 256
    .name:           _ZN7rocprim17ROCPRIM_400000_NS6detail17trampoline_kernelINS0_14default_configENS1_36segmented_radix_sort_config_selectorIllEEZNS1_25segmented_radix_sort_implIS3_Lb1EPKlPlS8_S9_N2at6native12_GLOBAL__N_18offset_tEEE10hipError_tPvRmT1_PNSt15iterator_traitsISH_E10value_typeET2_T3_PNSI_ISN_E10value_typeET4_jRbjT5_ST_jjP12ihipStream_tbEUlT_E0_NS1_11comp_targetILNS1_3genE10ELNS1_11target_archE1200ELNS1_3gpuE4ELNS1_3repE0EEENS1_60segmented_radix_sort_warp_sort_medium_config_static_selectorELNS0_4arch9wavefront6targetE0EEEvSH_
    .private_segment_fixed_size: 0
    .sgpr_count:     0
    .sgpr_spill_count: 0
    .symbol:         _ZN7rocprim17ROCPRIM_400000_NS6detail17trampoline_kernelINS0_14default_configENS1_36segmented_radix_sort_config_selectorIllEEZNS1_25segmented_radix_sort_implIS3_Lb1EPKlPlS8_S9_N2at6native12_GLOBAL__N_18offset_tEEE10hipError_tPvRmT1_PNSt15iterator_traitsISH_E10value_typeET2_T3_PNSI_ISN_E10value_typeET4_jRbjT5_ST_jjP12ihipStream_tbEUlT_E0_NS1_11comp_targetILNS1_3genE10ELNS1_11target_archE1200ELNS1_3gpuE4ELNS1_3repE0EEENS1_60segmented_radix_sort_warp_sort_medium_config_static_selectorELNS0_4arch9wavefront6targetE0EEEvSH_.kd
    .uniform_work_group_size: 1
    .uses_dynamic_stack: false
    .vgpr_count:     0
    .vgpr_spill_count: 0
    .wavefront_size: 32
  - .args:
      - .offset:         0
        .size:           88
        .value_kind:     by_value
    .group_segment_fixed_size: 0
    .kernarg_segment_align: 8
    .kernarg_segment_size: 88
    .language:       OpenCL C
    .language_version:
      - 2
      - 0
    .max_flat_workgroup_size: 256
    .name:           _ZN7rocprim17ROCPRIM_400000_NS6detail17trampoline_kernelINS0_14default_configENS1_36segmented_radix_sort_config_selectorIllEEZNS1_25segmented_radix_sort_implIS3_Lb1EPKlPlS8_S9_N2at6native12_GLOBAL__N_18offset_tEEE10hipError_tPvRmT1_PNSt15iterator_traitsISH_E10value_typeET2_T3_PNSI_ISN_E10value_typeET4_jRbjT5_ST_jjP12ihipStream_tbEUlT_E0_NS1_11comp_targetILNS1_3genE9ELNS1_11target_archE1100ELNS1_3gpuE3ELNS1_3repE0EEENS1_60segmented_radix_sort_warp_sort_medium_config_static_selectorELNS0_4arch9wavefront6targetE0EEEvSH_
    .private_segment_fixed_size: 0
    .sgpr_count:     0
    .sgpr_spill_count: 0
    .symbol:         _ZN7rocprim17ROCPRIM_400000_NS6detail17trampoline_kernelINS0_14default_configENS1_36segmented_radix_sort_config_selectorIllEEZNS1_25segmented_radix_sort_implIS3_Lb1EPKlPlS8_S9_N2at6native12_GLOBAL__N_18offset_tEEE10hipError_tPvRmT1_PNSt15iterator_traitsISH_E10value_typeET2_T3_PNSI_ISN_E10value_typeET4_jRbjT5_ST_jjP12ihipStream_tbEUlT_E0_NS1_11comp_targetILNS1_3genE9ELNS1_11target_archE1100ELNS1_3gpuE3ELNS1_3repE0EEENS1_60segmented_radix_sort_warp_sort_medium_config_static_selectorELNS0_4arch9wavefront6targetE0EEEvSH_.kd
    .uniform_work_group_size: 1
    .uses_dynamic_stack: false
    .vgpr_count:     0
    .vgpr_spill_count: 0
    .wavefront_size: 32
  - .args:
      - .offset:         0
        .size:           88
        .value_kind:     by_value
    .group_segment_fixed_size: 0
    .kernarg_segment_align: 8
    .kernarg_segment_size: 88
    .language:       OpenCL C
    .language_version:
      - 2
      - 0
    .max_flat_workgroup_size: 256
    .name:           _ZN7rocprim17ROCPRIM_400000_NS6detail17trampoline_kernelINS0_14default_configENS1_36segmented_radix_sort_config_selectorIllEEZNS1_25segmented_radix_sort_implIS3_Lb1EPKlPlS8_S9_N2at6native12_GLOBAL__N_18offset_tEEE10hipError_tPvRmT1_PNSt15iterator_traitsISH_E10value_typeET2_T3_PNSI_ISN_E10value_typeET4_jRbjT5_ST_jjP12ihipStream_tbEUlT_E0_NS1_11comp_targetILNS1_3genE8ELNS1_11target_archE1030ELNS1_3gpuE2ELNS1_3repE0EEENS1_60segmented_radix_sort_warp_sort_medium_config_static_selectorELNS0_4arch9wavefront6targetE0EEEvSH_
    .private_segment_fixed_size: 0
    .sgpr_count:     0
    .sgpr_spill_count: 0
    .symbol:         _ZN7rocprim17ROCPRIM_400000_NS6detail17trampoline_kernelINS0_14default_configENS1_36segmented_radix_sort_config_selectorIllEEZNS1_25segmented_radix_sort_implIS3_Lb1EPKlPlS8_S9_N2at6native12_GLOBAL__N_18offset_tEEE10hipError_tPvRmT1_PNSt15iterator_traitsISH_E10value_typeET2_T3_PNSI_ISN_E10value_typeET4_jRbjT5_ST_jjP12ihipStream_tbEUlT_E0_NS1_11comp_targetILNS1_3genE8ELNS1_11target_archE1030ELNS1_3gpuE2ELNS1_3repE0EEENS1_60segmented_radix_sort_warp_sort_medium_config_static_selectorELNS0_4arch9wavefront6targetE0EEEvSH_.kd
    .uniform_work_group_size: 1
    .uses_dynamic_stack: false
    .vgpr_count:     0
    .vgpr_spill_count: 0
    .wavefront_size: 32
  - .args:
      - .offset:         0
        .size:           88
        .value_kind:     by_value
      - .offset:         88
        .size:           4
        .value_kind:     hidden_block_count_x
      - .offset:         92
        .size:           4
        .value_kind:     hidden_block_count_y
      - .offset:         96
        .size:           4
        .value_kind:     hidden_block_count_z
      - .offset:         100
        .size:           2
        .value_kind:     hidden_group_size_x
      - .offset:         102
        .size:           2
        .value_kind:     hidden_group_size_y
      - .offset:         104
        .size:           2
        .value_kind:     hidden_group_size_z
      - .offset:         106
        .size:           2
        .value_kind:     hidden_remainder_x
      - .offset:         108
        .size:           2
        .value_kind:     hidden_remainder_y
      - .offset:         110
        .size:           2
        .value_kind:     hidden_remainder_z
      - .offset:         128
        .size:           8
        .value_kind:     hidden_global_offset_x
      - .offset:         136
        .size:           8
        .value_kind:     hidden_global_offset_y
      - .offset:         144
        .size:           8
        .value_kind:     hidden_global_offset_z
      - .offset:         152
        .size:           2
        .value_kind:     hidden_grid_dims
      - .offset:         168
        .size:           8
        .value_kind:     hidden_hostcall_buffer
      - .offset:         176
        .size:           8
        .value_kind:     hidden_multigrid_sync_arg
      - .offset:         184
        .size:           8
        .value_kind:     hidden_heap_v1
      - .offset:         192
        .size:           8
        .value_kind:     hidden_default_queue
      - .offset:         200
        .size:           8
        .value_kind:     hidden_completion_action
      - .offset:         288
        .size:           8
        .value_kind:     hidden_queue_ptr
    .group_segment_fixed_size: 16384
    .kernarg_segment_align: 8
    .kernarg_segment_size: 344
    .language:       OpenCL C
    .language_version:
      - 2
      - 0
    .max_flat_workgroup_size: 256
    .name:           _ZN7rocprim17ROCPRIM_400000_NS6detail17trampoline_kernelINS0_14default_configENS1_36segmented_radix_sort_config_selectorIllEEZNS1_25segmented_radix_sort_implIS3_Lb1EPKlPlS8_S9_N2at6native12_GLOBAL__N_18offset_tEEE10hipError_tPvRmT1_PNSt15iterator_traitsISH_E10value_typeET2_T3_PNSI_ISN_E10value_typeET4_jRbjT5_ST_jjP12ihipStream_tbEUlT_E1_NS1_11comp_targetILNS1_3genE0ELNS1_11target_archE4294967295ELNS1_3gpuE0ELNS1_3repE0EEENS1_59segmented_radix_sort_warp_sort_small_config_static_selectorELNS0_4arch9wavefront6targetE0EEEvSH_
    .private_segment_fixed_size: 0
    .sgpr_count:     42
    .sgpr_spill_count: 0
    .symbol:         _ZN7rocprim17ROCPRIM_400000_NS6detail17trampoline_kernelINS0_14default_configENS1_36segmented_radix_sort_config_selectorIllEEZNS1_25segmented_radix_sort_implIS3_Lb1EPKlPlS8_S9_N2at6native12_GLOBAL__N_18offset_tEEE10hipError_tPvRmT1_PNSt15iterator_traitsISH_E10value_typeET2_T3_PNSI_ISN_E10value_typeET4_jRbjT5_ST_jjP12ihipStream_tbEUlT_E1_NS1_11comp_targetILNS1_3genE0ELNS1_11target_archE4294967295ELNS1_3gpuE0ELNS1_3repE0EEENS1_59segmented_radix_sort_warp_sort_small_config_static_selectorELNS0_4arch9wavefront6targetE0EEEvSH_.kd
    .uniform_work_group_size: 1
    .uses_dynamic_stack: false
    .vgpr_count:     70
    .vgpr_spill_count: 0
    .wavefront_size: 32
  - .args:
      - .offset:         0
        .size:           88
        .value_kind:     by_value
    .group_segment_fixed_size: 0
    .kernarg_segment_align: 8
    .kernarg_segment_size: 88
    .language:       OpenCL C
    .language_version:
      - 2
      - 0
    .max_flat_workgroup_size: 256
    .name:           _ZN7rocprim17ROCPRIM_400000_NS6detail17trampoline_kernelINS0_14default_configENS1_36segmented_radix_sort_config_selectorIllEEZNS1_25segmented_radix_sort_implIS3_Lb1EPKlPlS8_S9_N2at6native12_GLOBAL__N_18offset_tEEE10hipError_tPvRmT1_PNSt15iterator_traitsISH_E10value_typeET2_T3_PNSI_ISN_E10value_typeET4_jRbjT5_ST_jjP12ihipStream_tbEUlT_E1_NS1_11comp_targetILNS1_3genE5ELNS1_11target_archE942ELNS1_3gpuE9ELNS1_3repE0EEENS1_59segmented_radix_sort_warp_sort_small_config_static_selectorELNS0_4arch9wavefront6targetE0EEEvSH_
    .private_segment_fixed_size: 0
    .sgpr_count:     0
    .sgpr_spill_count: 0
    .symbol:         _ZN7rocprim17ROCPRIM_400000_NS6detail17trampoline_kernelINS0_14default_configENS1_36segmented_radix_sort_config_selectorIllEEZNS1_25segmented_radix_sort_implIS3_Lb1EPKlPlS8_S9_N2at6native12_GLOBAL__N_18offset_tEEE10hipError_tPvRmT1_PNSt15iterator_traitsISH_E10value_typeET2_T3_PNSI_ISN_E10value_typeET4_jRbjT5_ST_jjP12ihipStream_tbEUlT_E1_NS1_11comp_targetILNS1_3genE5ELNS1_11target_archE942ELNS1_3gpuE9ELNS1_3repE0EEENS1_59segmented_radix_sort_warp_sort_small_config_static_selectorELNS0_4arch9wavefront6targetE0EEEvSH_.kd
    .uniform_work_group_size: 1
    .uses_dynamic_stack: false
    .vgpr_count:     0
    .vgpr_spill_count: 0
    .wavefront_size: 32
  - .args:
      - .offset:         0
        .size:           88
        .value_kind:     by_value
    .group_segment_fixed_size: 0
    .kernarg_segment_align: 8
    .kernarg_segment_size: 88
    .language:       OpenCL C
    .language_version:
      - 2
      - 0
    .max_flat_workgroup_size: 256
    .name:           _ZN7rocprim17ROCPRIM_400000_NS6detail17trampoline_kernelINS0_14default_configENS1_36segmented_radix_sort_config_selectorIllEEZNS1_25segmented_radix_sort_implIS3_Lb1EPKlPlS8_S9_N2at6native12_GLOBAL__N_18offset_tEEE10hipError_tPvRmT1_PNSt15iterator_traitsISH_E10value_typeET2_T3_PNSI_ISN_E10value_typeET4_jRbjT5_ST_jjP12ihipStream_tbEUlT_E1_NS1_11comp_targetILNS1_3genE4ELNS1_11target_archE910ELNS1_3gpuE8ELNS1_3repE0EEENS1_59segmented_radix_sort_warp_sort_small_config_static_selectorELNS0_4arch9wavefront6targetE0EEEvSH_
    .private_segment_fixed_size: 0
    .sgpr_count:     0
    .sgpr_spill_count: 0
    .symbol:         _ZN7rocprim17ROCPRIM_400000_NS6detail17trampoline_kernelINS0_14default_configENS1_36segmented_radix_sort_config_selectorIllEEZNS1_25segmented_radix_sort_implIS3_Lb1EPKlPlS8_S9_N2at6native12_GLOBAL__N_18offset_tEEE10hipError_tPvRmT1_PNSt15iterator_traitsISH_E10value_typeET2_T3_PNSI_ISN_E10value_typeET4_jRbjT5_ST_jjP12ihipStream_tbEUlT_E1_NS1_11comp_targetILNS1_3genE4ELNS1_11target_archE910ELNS1_3gpuE8ELNS1_3repE0EEENS1_59segmented_radix_sort_warp_sort_small_config_static_selectorELNS0_4arch9wavefront6targetE0EEEvSH_.kd
    .uniform_work_group_size: 1
    .uses_dynamic_stack: false
    .vgpr_count:     0
    .vgpr_spill_count: 0
    .wavefront_size: 32
  - .args:
      - .offset:         0
        .size:           88
        .value_kind:     by_value
    .group_segment_fixed_size: 0
    .kernarg_segment_align: 8
    .kernarg_segment_size: 88
    .language:       OpenCL C
    .language_version:
      - 2
      - 0
    .max_flat_workgroup_size: 256
    .name:           _ZN7rocprim17ROCPRIM_400000_NS6detail17trampoline_kernelINS0_14default_configENS1_36segmented_radix_sort_config_selectorIllEEZNS1_25segmented_radix_sort_implIS3_Lb1EPKlPlS8_S9_N2at6native12_GLOBAL__N_18offset_tEEE10hipError_tPvRmT1_PNSt15iterator_traitsISH_E10value_typeET2_T3_PNSI_ISN_E10value_typeET4_jRbjT5_ST_jjP12ihipStream_tbEUlT_E1_NS1_11comp_targetILNS1_3genE3ELNS1_11target_archE908ELNS1_3gpuE7ELNS1_3repE0EEENS1_59segmented_radix_sort_warp_sort_small_config_static_selectorELNS0_4arch9wavefront6targetE0EEEvSH_
    .private_segment_fixed_size: 0
    .sgpr_count:     0
    .sgpr_spill_count: 0
    .symbol:         _ZN7rocprim17ROCPRIM_400000_NS6detail17trampoline_kernelINS0_14default_configENS1_36segmented_radix_sort_config_selectorIllEEZNS1_25segmented_radix_sort_implIS3_Lb1EPKlPlS8_S9_N2at6native12_GLOBAL__N_18offset_tEEE10hipError_tPvRmT1_PNSt15iterator_traitsISH_E10value_typeET2_T3_PNSI_ISN_E10value_typeET4_jRbjT5_ST_jjP12ihipStream_tbEUlT_E1_NS1_11comp_targetILNS1_3genE3ELNS1_11target_archE908ELNS1_3gpuE7ELNS1_3repE0EEENS1_59segmented_radix_sort_warp_sort_small_config_static_selectorELNS0_4arch9wavefront6targetE0EEEvSH_.kd
    .uniform_work_group_size: 1
    .uses_dynamic_stack: false
    .vgpr_count:     0
    .vgpr_spill_count: 0
    .wavefront_size: 32
  - .args:
      - .offset:         0
        .size:           88
        .value_kind:     by_value
    .group_segment_fixed_size: 0
    .kernarg_segment_align: 8
    .kernarg_segment_size: 88
    .language:       OpenCL C
    .language_version:
      - 2
      - 0
    .max_flat_workgroup_size: 256
    .name:           _ZN7rocprim17ROCPRIM_400000_NS6detail17trampoline_kernelINS0_14default_configENS1_36segmented_radix_sort_config_selectorIllEEZNS1_25segmented_radix_sort_implIS3_Lb1EPKlPlS8_S9_N2at6native12_GLOBAL__N_18offset_tEEE10hipError_tPvRmT1_PNSt15iterator_traitsISH_E10value_typeET2_T3_PNSI_ISN_E10value_typeET4_jRbjT5_ST_jjP12ihipStream_tbEUlT_E1_NS1_11comp_targetILNS1_3genE2ELNS1_11target_archE906ELNS1_3gpuE6ELNS1_3repE0EEENS1_59segmented_radix_sort_warp_sort_small_config_static_selectorELNS0_4arch9wavefront6targetE0EEEvSH_
    .private_segment_fixed_size: 0
    .sgpr_count:     0
    .sgpr_spill_count: 0
    .symbol:         _ZN7rocprim17ROCPRIM_400000_NS6detail17trampoline_kernelINS0_14default_configENS1_36segmented_radix_sort_config_selectorIllEEZNS1_25segmented_radix_sort_implIS3_Lb1EPKlPlS8_S9_N2at6native12_GLOBAL__N_18offset_tEEE10hipError_tPvRmT1_PNSt15iterator_traitsISH_E10value_typeET2_T3_PNSI_ISN_E10value_typeET4_jRbjT5_ST_jjP12ihipStream_tbEUlT_E1_NS1_11comp_targetILNS1_3genE2ELNS1_11target_archE906ELNS1_3gpuE6ELNS1_3repE0EEENS1_59segmented_radix_sort_warp_sort_small_config_static_selectorELNS0_4arch9wavefront6targetE0EEEvSH_.kd
    .uniform_work_group_size: 1
    .uses_dynamic_stack: false
    .vgpr_count:     0
    .vgpr_spill_count: 0
    .wavefront_size: 32
  - .args:
      - .offset:         0
        .size:           88
        .value_kind:     by_value
    .group_segment_fixed_size: 0
    .kernarg_segment_align: 8
    .kernarg_segment_size: 88
    .language:       OpenCL C
    .language_version:
      - 2
      - 0
    .max_flat_workgroup_size: 256
    .name:           _ZN7rocprim17ROCPRIM_400000_NS6detail17trampoline_kernelINS0_14default_configENS1_36segmented_radix_sort_config_selectorIllEEZNS1_25segmented_radix_sort_implIS3_Lb1EPKlPlS8_S9_N2at6native12_GLOBAL__N_18offset_tEEE10hipError_tPvRmT1_PNSt15iterator_traitsISH_E10value_typeET2_T3_PNSI_ISN_E10value_typeET4_jRbjT5_ST_jjP12ihipStream_tbEUlT_E1_NS1_11comp_targetILNS1_3genE10ELNS1_11target_archE1201ELNS1_3gpuE5ELNS1_3repE0EEENS1_59segmented_radix_sort_warp_sort_small_config_static_selectorELNS0_4arch9wavefront6targetE0EEEvSH_
    .private_segment_fixed_size: 0
    .sgpr_count:     0
    .sgpr_spill_count: 0
    .symbol:         _ZN7rocprim17ROCPRIM_400000_NS6detail17trampoline_kernelINS0_14default_configENS1_36segmented_radix_sort_config_selectorIllEEZNS1_25segmented_radix_sort_implIS3_Lb1EPKlPlS8_S9_N2at6native12_GLOBAL__N_18offset_tEEE10hipError_tPvRmT1_PNSt15iterator_traitsISH_E10value_typeET2_T3_PNSI_ISN_E10value_typeET4_jRbjT5_ST_jjP12ihipStream_tbEUlT_E1_NS1_11comp_targetILNS1_3genE10ELNS1_11target_archE1201ELNS1_3gpuE5ELNS1_3repE0EEENS1_59segmented_radix_sort_warp_sort_small_config_static_selectorELNS0_4arch9wavefront6targetE0EEEvSH_.kd
    .uniform_work_group_size: 1
    .uses_dynamic_stack: false
    .vgpr_count:     0
    .vgpr_spill_count: 0
    .wavefront_size: 32
  - .args:
      - .offset:         0
        .size:           88
        .value_kind:     by_value
    .group_segment_fixed_size: 0
    .kernarg_segment_align: 8
    .kernarg_segment_size: 88
    .language:       OpenCL C
    .language_version:
      - 2
      - 0
    .max_flat_workgroup_size: 256
    .name:           _ZN7rocprim17ROCPRIM_400000_NS6detail17trampoline_kernelINS0_14default_configENS1_36segmented_radix_sort_config_selectorIllEEZNS1_25segmented_radix_sort_implIS3_Lb1EPKlPlS8_S9_N2at6native12_GLOBAL__N_18offset_tEEE10hipError_tPvRmT1_PNSt15iterator_traitsISH_E10value_typeET2_T3_PNSI_ISN_E10value_typeET4_jRbjT5_ST_jjP12ihipStream_tbEUlT_E1_NS1_11comp_targetILNS1_3genE10ELNS1_11target_archE1200ELNS1_3gpuE4ELNS1_3repE0EEENS1_59segmented_radix_sort_warp_sort_small_config_static_selectorELNS0_4arch9wavefront6targetE0EEEvSH_
    .private_segment_fixed_size: 0
    .sgpr_count:     0
    .sgpr_spill_count: 0
    .symbol:         _ZN7rocprim17ROCPRIM_400000_NS6detail17trampoline_kernelINS0_14default_configENS1_36segmented_radix_sort_config_selectorIllEEZNS1_25segmented_radix_sort_implIS3_Lb1EPKlPlS8_S9_N2at6native12_GLOBAL__N_18offset_tEEE10hipError_tPvRmT1_PNSt15iterator_traitsISH_E10value_typeET2_T3_PNSI_ISN_E10value_typeET4_jRbjT5_ST_jjP12ihipStream_tbEUlT_E1_NS1_11comp_targetILNS1_3genE10ELNS1_11target_archE1200ELNS1_3gpuE4ELNS1_3repE0EEENS1_59segmented_radix_sort_warp_sort_small_config_static_selectorELNS0_4arch9wavefront6targetE0EEEvSH_.kd
    .uniform_work_group_size: 1
    .uses_dynamic_stack: false
    .vgpr_count:     0
    .vgpr_spill_count: 0
    .wavefront_size: 32
  - .args:
      - .offset:         0
        .size:           88
        .value_kind:     by_value
    .group_segment_fixed_size: 0
    .kernarg_segment_align: 8
    .kernarg_segment_size: 88
    .language:       OpenCL C
    .language_version:
      - 2
      - 0
    .max_flat_workgroup_size: 256
    .name:           _ZN7rocprim17ROCPRIM_400000_NS6detail17trampoline_kernelINS0_14default_configENS1_36segmented_radix_sort_config_selectorIllEEZNS1_25segmented_radix_sort_implIS3_Lb1EPKlPlS8_S9_N2at6native12_GLOBAL__N_18offset_tEEE10hipError_tPvRmT1_PNSt15iterator_traitsISH_E10value_typeET2_T3_PNSI_ISN_E10value_typeET4_jRbjT5_ST_jjP12ihipStream_tbEUlT_E1_NS1_11comp_targetILNS1_3genE9ELNS1_11target_archE1100ELNS1_3gpuE3ELNS1_3repE0EEENS1_59segmented_radix_sort_warp_sort_small_config_static_selectorELNS0_4arch9wavefront6targetE0EEEvSH_
    .private_segment_fixed_size: 0
    .sgpr_count:     0
    .sgpr_spill_count: 0
    .symbol:         _ZN7rocprim17ROCPRIM_400000_NS6detail17trampoline_kernelINS0_14default_configENS1_36segmented_radix_sort_config_selectorIllEEZNS1_25segmented_radix_sort_implIS3_Lb1EPKlPlS8_S9_N2at6native12_GLOBAL__N_18offset_tEEE10hipError_tPvRmT1_PNSt15iterator_traitsISH_E10value_typeET2_T3_PNSI_ISN_E10value_typeET4_jRbjT5_ST_jjP12ihipStream_tbEUlT_E1_NS1_11comp_targetILNS1_3genE9ELNS1_11target_archE1100ELNS1_3gpuE3ELNS1_3repE0EEENS1_59segmented_radix_sort_warp_sort_small_config_static_selectorELNS0_4arch9wavefront6targetE0EEEvSH_.kd
    .uniform_work_group_size: 1
    .uses_dynamic_stack: false
    .vgpr_count:     0
    .vgpr_spill_count: 0
    .wavefront_size: 32
  - .args:
      - .offset:         0
        .size:           88
        .value_kind:     by_value
    .group_segment_fixed_size: 0
    .kernarg_segment_align: 8
    .kernarg_segment_size: 88
    .language:       OpenCL C
    .language_version:
      - 2
      - 0
    .max_flat_workgroup_size: 256
    .name:           _ZN7rocprim17ROCPRIM_400000_NS6detail17trampoline_kernelINS0_14default_configENS1_36segmented_radix_sort_config_selectorIllEEZNS1_25segmented_radix_sort_implIS3_Lb1EPKlPlS8_S9_N2at6native12_GLOBAL__N_18offset_tEEE10hipError_tPvRmT1_PNSt15iterator_traitsISH_E10value_typeET2_T3_PNSI_ISN_E10value_typeET4_jRbjT5_ST_jjP12ihipStream_tbEUlT_E1_NS1_11comp_targetILNS1_3genE8ELNS1_11target_archE1030ELNS1_3gpuE2ELNS1_3repE0EEENS1_59segmented_radix_sort_warp_sort_small_config_static_selectorELNS0_4arch9wavefront6targetE0EEEvSH_
    .private_segment_fixed_size: 0
    .sgpr_count:     0
    .sgpr_spill_count: 0
    .symbol:         _ZN7rocprim17ROCPRIM_400000_NS6detail17trampoline_kernelINS0_14default_configENS1_36segmented_radix_sort_config_selectorIllEEZNS1_25segmented_radix_sort_implIS3_Lb1EPKlPlS8_S9_N2at6native12_GLOBAL__N_18offset_tEEE10hipError_tPvRmT1_PNSt15iterator_traitsISH_E10value_typeET2_T3_PNSI_ISN_E10value_typeET4_jRbjT5_ST_jjP12ihipStream_tbEUlT_E1_NS1_11comp_targetILNS1_3genE8ELNS1_11target_archE1030ELNS1_3gpuE2ELNS1_3repE0EEENS1_59segmented_radix_sort_warp_sort_small_config_static_selectorELNS0_4arch9wavefront6targetE0EEEvSH_.kd
    .uniform_work_group_size: 1
    .uses_dynamic_stack: false
    .vgpr_count:     0
    .vgpr_spill_count: 0
    .wavefront_size: 32
  - .args:
      - .offset:         0
        .size:           80
        .value_kind:     by_value
      - .offset:         80
        .size:           4
        .value_kind:     hidden_block_count_x
      - .offset:         84
        .size:           4
        .value_kind:     hidden_block_count_y
      - .offset:         88
        .size:           4
        .value_kind:     hidden_block_count_z
      - .offset:         92
        .size:           2
        .value_kind:     hidden_group_size_x
      - .offset:         94
        .size:           2
        .value_kind:     hidden_group_size_y
      - .offset:         96
        .size:           2
        .value_kind:     hidden_group_size_z
      - .offset:         98
        .size:           2
        .value_kind:     hidden_remainder_x
      - .offset:         100
        .size:           2
        .value_kind:     hidden_remainder_y
      - .offset:         102
        .size:           2
        .value_kind:     hidden_remainder_z
      - .offset:         120
        .size:           8
        .value_kind:     hidden_global_offset_x
      - .offset:         128
        .size:           8
        .value_kind:     hidden_global_offset_y
      - .offset:         136
        .size:           8
        .value_kind:     hidden_global_offset_z
      - .offset:         144
        .size:           2
        .value_kind:     hidden_grid_dims
      - .offset:         160
        .size:           8
        .value_kind:     hidden_hostcall_buffer
      - .offset:         168
        .size:           8
        .value_kind:     hidden_multigrid_sync_arg
      - .offset:         176
        .size:           8
        .value_kind:     hidden_heap_v1
      - .offset:         184
        .size:           8
        .value_kind:     hidden_default_queue
      - .offset:         192
        .size:           8
        .value_kind:     hidden_completion_action
      - .offset:         280
        .size:           8
        .value_kind:     hidden_queue_ptr
    .group_segment_fixed_size: 33824
    .kernarg_segment_align: 8
    .kernarg_segment_size: 336
    .language:       OpenCL C
    .language_version:
      - 2
      - 0
    .max_flat_workgroup_size: 256
    .name:           _ZN7rocprim17ROCPRIM_400000_NS6detail17trampoline_kernelINS0_14default_configENS1_36segmented_radix_sort_config_selectorIllEEZNS1_25segmented_radix_sort_implIS3_Lb1EPKlPlS8_S9_N2at6native12_GLOBAL__N_18offset_tEEE10hipError_tPvRmT1_PNSt15iterator_traitsISH_E10value_typeET2_T3_PNSI_ISN_E10value_typeET4_jRbjT5_ST_jjP12ihipStream_tbEUlT_E2_NS1_11comp_targetILNS1_3genE0ELNS1_11target_archE4294967295ELNS1_3gpuE0ELNS1_3repE0EEENS1_30default_config_static_selectorELNS0_4arch9wavefront6targetE0EEEvSH_
    .private_segment_fixed_size: 0
    .sgpr_count:     62
    .sgpr_spill_count: 0
    .symbol:         _ZN7rocprim17ROCPRIM_400000_NS6detail17trampoline_kernelINS0_14default_configENS1_36segmented_radix_sort_config_selectorIllEEZNS1_25segmented_radix_sort_implIS3_Lb1EPKlPlS8_S9_N2at6native12_GLOBAL__N_18offset_tEEE10hipError_tPvRmT1_PNSt15iterator_traitsISH_E10value_typeET2_T3_PNSI_ISN_E10value_typeET4_jRbjT5_ST_jjP12ihipStream_tbEUlT_E2_NS1_11comp_targetILNS1_3genE0ELNS1_11target_archE4294967295ELNS1_3gpuE0ELNS1_3repE0EEENS1_30default_config_static_selectorELNS0_4arch9wavefront6targetE0EEEvSH_.kd
    .uniform_work_group_size: 1
    .uses_dynamic_stack: false
    .vgpr_count:     319
    .vgpr_spill_count: 0
    .wavefront_size: 32
  - .args:
      - .offset:         0
        .size:           80
        .value_kind:     by_value
    .group_segment_fixed_size: 0
    .kernarg_segment_align: 8
    .kernarg_segment_size: 80
    .language:       OpenCL C
    .language_version:
      - 2
      - 0
    .max_flat_workgroup_size: 256
    .name:           _ZN7rocprim17ROCPRIM_400000_NS6detail17trampoline_kernelINS0_14default_configENS1_36segmented_radix_sort_config_selectorIllEEZNS1_25segmented_radix_sort_implIS3_Lb1EPKlPlS8_S9_N2at6native12_GLOBAL__N_18offset_tEEE10hipError_tPvRmT1_PNSt15iterator_traitsISH_E10value_typeET2_T3_PNSI_ISN_E10value_typeET4_jRbjT5_ST_jjP12ihipStream_tbEUlT_E2_NS1_11comp_targetILNS1_3genE5ELNS1_11target_archE942ELNS1_3gpuE9ELNS1_3repE0EEENS1_30default_config_static_selectorELNS0_4arch9wavefront6targetE0EEEvSH_
    .private_segment_fixed_size: 0
    .sgpr_count:     0
    .sgpr_spill_count: 0
    .symbol:         _ZN7rocprim17ROCPRIM_400000_NS6detail17trampoline_kernelINS0_14default_configENS1_36segmented_radix_sort_config_selectorIllEEZNS1_25segmented_radix_sort_implIS3_Lb1EPKlPlS8_S9_N2at6native12_GLOBAL__N_18offset_tEEE10hipError_tPvRmT1_PNSt15iterator_traitsISH_E10value_typeET2_T3_PNSI_ISN_E10value_typeET4_jRbjT5_ST_jjP12ihipStream_tbEUlT_E2_NS1_11comp_targetILNS1_3genE5ELNS1_11target_archE942ELNS1_3gpuE9ELNS1_3repE0EEENS1_30default_config_static_selectorELNS0_4arch9wavefront6targetE0EEEvSH_.kd
    .uniform_work_group_size: 1
    .uses_dynamic_stack: false
    .vgpr_count:     0
    .vgpr_spill_count: 0
    .wavefront_size: 32
  - .args:
      - .offset:         0
        .size:           80
        .value_kind:     by_value
    .group_segment_fixed_size: 0
    .kernarg_segment_align: 8
    .kernarg_segment_size: 80
    .language:       OpenCL C
    .language_version:
      - 2
      - 0
    .max_flat_workgroup_size: 256
    .name:           _ZN7rocprim17ROCPRIM_400000_NS6detail17trampoline_kernelINS0_14default_configENS1_36segmented_radix_sort_config_selectorIllEEZNS1_25segmented_radix_sort_implIS3_Lb1EPKlPlS8_S9_N2at6native12_GLOBAL__N_18offset_tEEE10hipError_tPvRmT1_PNSt15iterator_traitsISH_E10value_typeET2_T3_PNSI_ISN_E10value_typeET4_jRbjT5_ST_jjP12ihipStream_tbEUlT_E2_NS1_11comp_targetILNS1_3genE4ELNS1_11target_archE910ELNS1_3gpuE8ELNS1_3repE0EEENS1_30default_config_static_selectorELNS0_4arch9wavefront6targetE0EEEvSH_
    .private_segment_fixed_size: 0
    .sgpr_count:     0
    .sgpr_spill_count: 0
    .symbol:         _ZN7rocprim17ROCPRIM_400000_NS6detail17trampoline_kernelINS0_14default_configENS1_36segmented_radix_sort_config_selectorIllEEZNS1_25segmented_radix_sort_implIS3_Lb1EPKlPlS8_S9_N2at6native12_GLOBAL__N_18offset_tEEE10hipError_tPvRmT1_PNSt15iterator_traitsISH_E10value_typeET2_T3_PNSI_ISN_E10value_typeET4_jRbjT5_ST_jjP12ihipStream_tbEUlT_E2_NS1_11comp_targetILNS1_3genE4ELNS1_11target_archE910ELNS1_3gpuE8ELNS1_3repE0EEENS1_30default_config_static_selectorELNS0_4arch9wavefront6targetE0EEEvSH_.kd
    .uniform_work_group_size: 1
    .uses_dynamic_stack: false
    .vgpr_count:     0
    .vgpr_spill_count: 0
    .wavefront_size: 32
  - .args:
      - .offset:         0
        .size:           80
        .value_kind:     by_value
    .group_segment_fixed_size: 0
    .kernarg_segment_align: 8
    .kernarg_segment_size: 80
    .language:       OpenCL C
    .language_version:
      - 2
      - 0
    .max_flat_workgroup_size: 256
    .name:           _ZN7rocprim17ROCPRIM_400000_NS6detail17trampoline_kernelINS0_14default_configENS1_36segmented_radix_sort_config_selectorIllEEZNS1_25segmented_radix_sort_implIS3_Lb1EPKlPlS8_S9_N2at6native12_GLOBAL__N_18offset_tEEE10hipError_tPvRmT1_PNSt15iterator_traitsISH_E10value_typeET2_T3_PNSI_ISN_E10value_typeET4_jRbjT5_ST_jjP12ihipStream_tbEUlT_E2_NS1_11comp_targetILNS1_3genE3ELNS1_11target_archE908ELNS1_3gpuE7ELNS1_3repE0EEENS1_30default_config_static_selectorELNS0_4arch9wavefront6targetE0EEEvSH_
    .private_segment_fixed_size: 0
    .sgpr_count:     0
    .sgpr_spill_count: 0
    .symbol:         _ZN7rocprim17ROCPRIM_400000_NS6detail17trampoline_kernelINS0_14default_configENS1_36segmented_radix_sort_config_selectorIllEEZNS1_25segmented_radix_sort_implIS3_Lb1EPKlPlS8_S9_N2at6native12_GLOBAL__N_18offset_tEEE10hipError_tPvRmT1_PNSt15iterator_traitsISH_E10value_typeET2_T3_PNSI_ISN_E10value_typeET4_jRbjT5_ST_jjP12ihipStream_tbEUlT_E2_NS1_11comp_targetILNS1_3genE3ELNS1_11target_archE908ELNS1_3gpuE7ELNS1_3repE0EEENS1_30default_config_static_selectorELNS0_4arch9wavefront6targetE0EEEvSH_.kd
    .uniform_work_group_size: 1
    .uses_dynamic_stack: false
    .vgpr_count:     0
    .vgpr_spill_count: 0
    .wavefront_size: 32
  - .args:
      - .offset:         0
        .size:           80
        .value_kind:     by_value
    .group_segment_fixed_size: 0
    .kernarg_segment_align: 8
    .kernarg_segment_size: 80
    .language:       OpenCL C
    .language_version:
      - 2
      - 0
    .max_flat_workgroup_size: 256
    .name:           _ZN7rocprim17ROCPRIM_400000_NS6detail17trampoline_kernelINS0_14default_configENS1_36segmented_radix_sort_config_selectorIllEEZNS1_25segmented_radix_sort_implIS3_Lb1EPKlPlS8_S9_N2at6native12_GLOBAL__N_18offset_tEEE10hipError_tPvRmT1_PNSt15iterator_traitsISH_E10value_typeET2_T3_PNSI_ISN_E10value_typeET4_jRbjT5_ST_jjP12ihipStream_tbEUlT_E2_NS1_11comp_targetILNS1_3genE2ELNS1_11target_archE906ELNS1_3gpuE6ELNS1_3repE0EEENS1_30default_config_static_selectorELNS0_4arch9wavefront6targetE0EEEvSH_
    .private_segment_fixed_size: 0
    .sgpr_count:     0
    .sgpr_spill_count: 0
    .symbol:         _ZN7rocprim17ROCPRIM_400000_NS6detail17trampoline_kernelINS0_14default_configENS1_36segmented_radix_sort_config_selectorIllEEZNS1_25segmented_radix_sort_implIS3_Lb1EPKlPlS8_S9_N2at6native12_GLOBAL__N_18offset_tEEE10hipError_tPvRmT1_PNSt15iterator_traitsISH_E10value_typeET2_T3_PNSI_ISN_E10value_typeET4_jRbjT5_ST_jjP12ihipStream_tbEUlT_E2_NS1_11comp_targetILNS1_3genE2ELNS1_11target_archE906ELNS1_3gpuE6ELNS1_3repE0EEENS1_30default_config_static_selectorELNS0_4arch9wavefront6targetE0EEEvSH_.kd
    .uniform_work_group_size: 1
    .uses_dynamic_stack: false
    .vgpr_count:     0
    .vgpr_spill_count: 0
    .wavefront_size: 32
  - .args:
      - .offset:         0
        .size:           80
        .value_kind:     by_value
    .group_segment_fixed_size: 0
    .kernarg_segment_align: 8
    .kernarg_segment_size: 80
    .language:       OpenCL C
    .language_version:
      - 2
      - 0
    .max_flat_workgroup_size: 256
    .name:           _ZN7rocprim17ROCPRIM_400000_NS6detail17trampoline_kernelINS0_14default_configENS1_36segmented_radix_sort_config_selectorIllEEZNS1_25segmented_radix_sort_implIS3_Lb1EPKlPlS8_S9_N2at6native12_GLOBAL__N_18offset_tEEE10hipError_tPvRmT1_PNSt15iterator_traitsISH_E10value_typeET2_T3_PNSI_ISN_E10value_typeET4_jRbjT5_ST_jjP12ihipStream_tbEUlT_E2_NS1_11comp_targetILNS1_3genE10ELNS1_11target_archE1201ELNS1_3gpuE5ELNS1_3repE0EEENS1_30default_config_static_selectorELNS0_4arch9wavefront6targetE0EEEvSH_
    .private_segment_fixed_size: 0
    .sgpr_count:     0
    .sgpr_spill_count: 0
    .symbol:         _ZN7rocprim17ROCPRIM_400000_NS6detail17trampoline_kernelINS0_14default_configENS1_36segmented_radix_sort_config_selectorIllEEZNS1_25segmented_radix_sort_implIS3_Lb1EPKlPlS8_S9_N2at6native12_GLOBAL__N_18offset_tEEE10hipError_tPvRmT1_PNSt15iterator_traitsISH_E10value_typeET2_T3_PNSI_ISN_E10value_typeET4_jRbjT5_ST_jjP12ihipStream_tbEUlT_E2_NS1_11comp_targetILNS1_3genE10ELNS1_11target_archE1201ELNS1_3gpuE5ELNS1_3repE0EEENS1_30default_config_static_selectorELNS0_4arch9wavefront6targetE0EEEvSH_.kd
    .uniform_work_group_size: 1
    .uses_dynamic_stack: false
    .vgpr_count:     0
    .vgpr_spill_count: 0
    .wavefront_size: 32
  - .args:
      - .offset:         0
        .size:           80
        .value_kind:     by_value
    .group_segment_fixed_size: 0
    .kernarg_segment_align: 8
    .kernarg_segment_size: 80
    .language:       OpenCL C
    .language_version:
      - 2
      - 0
    .max_flat_workgroup_size: 128
    .name:           _ZN7rocprim17ROCPRIM_400000_NS6detail17trampoline_kernelINS0_14default_configENS1_36segmented_radix_sort_config_selectorIllEEZNS1_25segmented_radix_sort_implIS3_Lb1EPKlPlS8_S9_N2at6native12_GLOBAL__N_18offset_tEEE10hipError_tPvRmT1_PNSt15iterator_traitsISH_E10value_typeET2_T3_PNSI_ISN_E10value_typeET4_jRbjT5_ST_jjP12ihipStream_tbEUlT_E2_NS1_11comp_targetILNS1_3genE10ELNS1_11target_archE1200ELNS1_3gpuE4ELNS1_3repE0EEENS1_30default_config_static_selectorELNS0_4arch9wavefront6targetE0EEEvSH_
    .private_segment_fixed_size: 0
    .sgpr_count:     0
    .sgpr_spill_count: 0
    .symbol:         _ZN7rocprim17ROCPRIM_400000_NS6detail17trampoline_kernelINS0_14default_configENS1_36segmented_radix_sort_config_selectorIllEEZNS1_25segmented_radix_sort_implIS3_Lb1EPKlPlS8_S9_N2at6native12_GLOBAL__N_18offset_tEEE10hipError_tPvRmT1_PNSt15iterator_traitsISH_E10value_typeET2_T3_PNSI_ISN_E10value_typeET4_jRbjT5_ST_jjP12ihipStream_tbEUlT_E2_NS1_11comp_targetILNS1_3genE10ELNS1_11target_archE1200ELNS1_3gpuE4ELNS1_3repE0EEENS1_30default_config_static_selectorELNS0_4arch9wavefront6targetE0EEEvSH_.kd
    .uniform_work_group_size: 1
    .uses_dynamic_stack: false
    .vgpr_count:     0
    .vgpr_spill_count: 0
    .wavefront_size: 32
  - .args:
      - .offset:         0
        .size:           80
        .value_kind:     by_value
    .group_segment_fixed_size: 0
    .kernarg_segment_align: 8
    .kernarg_segment_size: 80
    .language:       OpenCL C
    .language_version:
      - 2
      - 0
    .max_flat_workgroup_size: 256
    .name:           _ZN7rocprim17ROCPRIM_400000_NS6detail17trampoline_kernelINS0_14default_configENS1_36segmented_radix_sort_config_selectorIllEEZNS1_25segmented_radix_sort_implIS3_Lb1EPKlPlS8_S9_N2at6native12_GLOBAL__N_18offset_tEEE10hipError_tPvRmT1_PNSt15iterator_traitsISH_E10value_typeET2_T3_PNSI_ISN_E10value_typeET4_jRbjT5_ST_jjP12ihipStream_tbEUlT_E2_NS1_11comp_targetILNS1_3genE9ELNS1_11target_archE1100ELNS1_3gpuE3ELNS1_3repE0EEENS1_30default_config_static_selectorELNS0_4arch9wavefront6targetE0EEEvSH_
    .private_segment_fixed_size: 0
    .sgpr_count:     0
    .sgpr_spill_count: 0
    .symbol:         _ZN7rocprim17ROCPRIM_400000_NS6detail17trampoline_kernelINS0_14default_configENS1_36segmented_radix_sort_config_selectorIllEEZNS1_25segmented_radix_sort_implIS3_Lb1EPKlPlS8_S9_N2at6native12_GLOBAL__N_18offset_tEEE10hipError_tPvRmT1_PNSt15iterator_traitsISH_E10value_typeET2_T3_PNSI_ISN_E10value_typeET4_jRbjT5_ST_jjP12ihipStream_tbEUlT_E2_NS1_11comp_targetILNS1_3genE9ELNS1_11target_archE1100ELNS1_3gpuE3ELNS1_3repE0EEENS1_30default_config_static_selectorELNS0_4arch9wavefront6targetE0EEEvSH_.kd
    .uniform_work_group_size: 1
    .uses_dynamic_stack: false
    .vgpr_count:     0
    .vgpr_spill_count: 0
    .wavefront_size: 32
  - .args:
      - .offset:         0
        .size:           80
        .value_kind:     by_value
    .group_segment_fixed_size: 0
    .kernarg_segment_align: 8
    .kernarg_segment_size: 80
    .language:       OpenCL C
    .language_version:
      - 2
      - 0
    .max_flat_workgroup_size: 256
    .name:           _ZN7rocprim17ROCPRIM_400000_NS6detail17trampoline_kernelINS0_14default_configENS1_36segmented_radix_sort_config_selectorIllEEZNS1_25segmented_radix_sort_implIS3_Lb1EPKlPlS8_S9_N2at6native12_GLOBAL__N_18offset_tEEE10hipError_tPvRmT1_PNSt15iterator_traitsISH_E10value_typeET2_T3_PNSI_ISN_E10value_typeET4_jRbjT5_ST_jjP12ihipStream_tbEUlT_E2_NS1_11comp_targetILNS1_3genE8ELNS1_11target_archE1030ELNS1_3gpuE2ELNS1_3repE0EEENS1_30default_config_static_selectorELNS0_4arch9wavefront6targetE0EEEvSH_
    .private_segment_fixed_size: 0
    .sgpr_count:     0
    .sgpr_spill_count: 0
    .symbol:         _ZN7rocprim17ROCPRIM_400000_NS6detail17trampoline_kernelINS0_14default_configENS1_36segmented_radix_sort_config_selectorIllEEZNS1_25segmented_radix_sort_implIS3_Lb1EPKlPlS8_S9_N2at6native12_GLOBAL__N_18offset_tEEE10hipError_tPvRmT1_PNSt15iterator_traitsISH_E10value_typeET2_T3_PNSI_ISN_E10value_typeET4_jRbjT5_ST_jjP12ihipStream_tbEUlT_E2_NS1_11comp_targetILNS1_3genE8ELNS1_11target_archE1030ELNS1_3gpuE2ELNS1_3repE0EEENS1_30default_config_static_selectorELNS0_4arch9wavefront6targetE0EEEvSH_.kd
    .uniform_work_group_size: 1
    .uses_dynamic_stack: false
    .vgpr_count:     0
    .vgpr_spill_count: 0
    .wavefront_size: 32
  - .args:
      - .offset:         0
        .size:           176
        .value_kind:     by_value
    .group_segment_fixed_size: 13328
    .kernarg_segment_align: 8
    .kernarg_segment_size: 176
    .language:       OpenCL C
    .language_version:
      - 2
      - 0
    .max_flat_workgroup_size: 256
    .name:           _ZN7rocprim17ROCPRIM_400000_NS6detail17trampoline_kernelINS0_13select_configILj256ELj13ELNS0_17block_load_methodE3ELS4_3ELS4_3ELNS0_20block_scan_algorithmE0ELj4294967295EEENS1_25partition_config_selectorILNS1_17partition_subalgoE4EjNS0_10empty_typeEbEEZZNS1_14partition_implILS8_4ELb0ES6_15HIP_vector_typeIjLj2EENS0_17counting_iteratorIjlEEPS9_SG_NS0_5tupleIJPjSI_NS0_16reverse_iteratorISI_EEEEENSH_IJSG_SG_SG_EEES9_SI_JZNS1_25segmented_radix_sort_implINS0_14default_configELb0EPKlPlSQ_SR_N2at6native12_GLOBAL__N_18offset_tEEE10hipError_tPvRmT1_PNSt15iterator_traitsISZ_E10value_typeET2_T3_PNS10_IS15_E10value_typeET4_jRbjT5_S1B_jjP12ihipStream_tbEUljE_ZNSN_ISO_Lb0ESQ_SR_SQ_SR_SV_EESW_SX_SY_SZ_S13_S14_S15_S18_S19_jS1A_jS1B_S1B_jjS1D_bEUljE0_EEESW_SX_SY_S15_S19_S1B_T6_T7_T9_mT8_S1D_bDpT10_ENKUlT_T0_E_clISt17integral_constantIbLb0EES1R_EEDaS1M_S1N_EUlS1M_E_NS1_11comp_targetILNS1_3genE0ELNS1_11target_archE4294967295ELNS1_3gpuE0ELNS1_3repE0EEENS1_30default_config_static_selectorELNS0_4arch9wavefront6targetE0EEEvSZ_
    .private_segment_fixed_size: 0
    .sgpr_count:     61
    .sgpr_spill_count: 0
    .symbol:         _ZN7rocprim17ROCPRIM_400000_NS6detail17trampoline_kernelINS0_13select_configILj256ELj13ELNS0_17block_load_methodE3ELS4_3ELS4_3ELNS0_20block_scan_algorithmE0ELj4294967295EEENS1_25partition_config_selectorILNS1_17partition_subalgoE4EjNS0_10empty_typeEbEEZZNS1_14partition_implILS8_4ELb0ES6_15HIP_vector_typeIjLj2EENS0_17counting_iteratorIjlEEPS9_SG_NS0_5tupleIJPjSI_NS0_16reverse_iteratorISI_EEEEENSH_IJSG_SG_SG_EEES9_SI_JZNS1_25segmented_radix_sort_implINS0_14default_configELb0EPKlPlSQ_SR_N2at6native12_GLOBAL__N_18offset_tEEE10hipError_tPvRmT1_PNSt15iterator_traitsISZ_E10value_typeET2_T3_PNS10_IS15_E10value_typeET4_jRbjT5_S1B_jjP12ihipStream_tbEUljE_ZNSN_ISO_Lb0ESQ_SR_SQ_SR_SV_EESW_SX_SY_SZ_S13_S14_S15_S18_S19_jS1A_jS1B_S1B_jjS1D_bEUljE0_EEESW_SX_SY_S15_S19_S1B_T6_T7_T9_mT8_S1D_bDpT10_ENKUlT_T0_E_clISt17integral_constantIbLb0EES1R_EEDaS1M_S1N_EUlS1M_E_NS1_11comp_targetILNS1_3genE0ELNS1_11target_archE4294967295ELNS1_3gpuE0ELNS1_3repE0EEENS1_30default_config_static_selectorELNS0_4arch9wavefront6targetE0EEEvSZ_.kd
    .uniform_work_group_size: 1
    .uses_dynamic_stack: false
    .vgpr_count:     81
    .vgpr_spill_count: 0
    .wavefront_size: 32
  - .args:
      - .offset:         0
        .size:           176
        .value_kind:     by_value
    .group_segment_fixed_size: 0
    .kernarg_segment_align: 8
    .kernarg_segment_size: 176
    .language:       OpenCL C
    .language_version:
      - 2
      - 0
    .max_flat_workgroup_size: 256
    .name:           _ZN7rocprim17ROCPRIM_400000_NS6detail17trampoline_kernelINS0_13select_configILj256ELj13ELNS0_17block_load_methodE3ELS4_3ELS4_3ELNS0_20block_scan_algorithmE0ELj4294967295EEENS1_25partition_config_selectorILNS1_17partition_subalgoE4EjNS0_10empty_typeEbEEZZNS1_14partition_implILS8_4ELb0ES6_15HIP_vector_typeIjLj2EENS0_17counting_iteratorIjlEEPS9_SG_NS0_5tupleIJPjSI_NS0_16reverse_iteratorISI_EEEEENSH_IJSG_SG_SG_EEES9_SI_JZNS1_25segmented_radix_sort_implINS0_14default_configELb0EPKlPlSQ_SR_N2at6native12_GLOBAL__N_18offset_tEEE10hipError_tPvRmT1_PNSt15iterator_traitsISZ_E10value_typeET2_T3_PNS10_IS15_E10value_typeET4_jRbjT5_S1B_jjP12ihipStream_tbEUljE_ZNSN_ISO_Lb0ESQ_SR_SQ_SR_SV_EESW_SX_SY_SZ_S13_S14_S15_S18_S19_jS1A_jS1B_S1B_jjS1D_bEUljE0_EEESW_SX_SY_S15_S19_S1B_T6_T7_T9_mT8_S1D_bDpT10_ENKUlT_T0_E_clISt17integral_constantIbLb0EES1R_EEDaS1M_S1N_EUlS1M_E_NS1_11comp_targetILNS1_3genE5ELNS1_11target_archE942ELNS1_3gpuE9ELNS1_3repE0EEENS1_30default_config_static_selectorELNS0_4arch9wavefront6targetE0EEEvSZ_
    .private_segment_fixed_size: 0
    .sgpr_count:     0
    .sgpr_spill_count: 0
    .symbol:         _ZN7rocprim17ROCPRIM_400000_NS6detail17trampoline_kernelINS0_13select_configILj256ELj13ELNS0_17block_load_methodE3ELS4_3ELS4_3ELNS0_20block_scan_algorithmE0ELj4294967295EEENS1_25partition_config_selectorILNS1_17partition_subalgoE4EjNS0_10empty_typeEbEEZZNS1_14partition_implILS8_4ELb0ES6_15HIP_vector_typeIjLj2EENS0_17counting_iteratorIjlEEPS9_SG_NS0_5tupleIJPjSI_NS0_16reverse_iteratorISI_EEEEENSH_IJSG_SG_SG_EEES9_SI_JZNS1_25segmented_radix_sort_implINS0_14default_configELb0EPKlPlSQ_SR_N2at6native12_GLOBAL__N_18offset_tEEE10hipError_tPvRmT1_PNSt15iterator_traitsISZ_E10value_typeET2_T3_PNS10_IS15_E10value_typeET4_jRbjT5_S1B_jjP12ihipStream_tbEUljE_ZNSN_ISO_Lb0ESQ_SR_SQ_SR_SV_EESW_SX_SY_SZ_S13_S14_S15_S18_S19_jS1A_jS1B_S1B_jjS1D_bEUljE0_EEESW_SX_SY_S15_S19_S1B_T6_T7_T9_mT8_S1D_bDpT10_ENKUlT_T0_E_clISt17integral_constantIbLb0EES1R_EEDaS1M_S1N_EUlS1M_E_NS1_11comp_targetILNS1_3genE5ELNS1_11target_archE942ELNS1_3gpuE9ELNS1_3repE0EEENS1_30default_config_static_selectorELNS0_4arch9wavefront6targetE0EEEvSZ_.kd
    .uniform_work_group_size: 1
    .uses_dynamic_stack: false
    .vgpr_count:     0
    .vgpr_spill_count: 0
    .wavefront_size: 32
  - .args:
      - .offset:         0
        .size:           176
        .value_kind:     by_value
    .group_segment_fixed_size: 0
    .kernarg_segment_align: 8
    .kernarg_segment_size: 176
    .language:       OpenCL C
    .language_version:
      - 2
      - 0
    .max_flat_workgroup_size: 256
    .name:           _ZN7rocprim17ROCPRIM_400000_NS6detail17trampoline_kernelINS0_13select_configILj256ELj13ELNS0_17block_load_methodE3ELS4_3ELS4_3ELNS0_20block_scan_algorithmE0ELj4294967295EEENS1_25partition_config_selectorILNS1_17partition_subalgoE4EjNS0_10empty_typeEbEEZZNS1_14partition_implILS8_4ELb0ES6_15HIP_vector_typeIjLj2EENS0_17counting_iteratorIjlEEPS9_SG_NS0_5tupleIJPjSI_NS0_16reverse_iteratorISI_EEEEENSH_IJSG_SG_SG_EEES9_SI_JZNS1_25segmented_radix_sort_implINS0_14default_configELb0EPKlPlSQ_SR_N2at6native12_GLOBAL__N_18offset_tEEE10hipError_tPvRmT1_PNSt15iterator_traitsISZ_E10value_typeET2_T3_PNS10_IS15_E10value_typeET4_jRbjT5_S1B_jjP12ihipStream_tbEUljE_ZNSN_ISO_Lb0ESQ_SR_SQ_SR_SV_EESW_SX_SY_SZ_S13_S14_S15_S18_S19_jS1A_jS1B_S1B_jjS1D_bEUljE0_EEESW_SX_SY_S15_S19_S1B_T6_T7_T9_mT8_S1D_bDpT10_ENKUlT_T0_E_clISt17integral_constantIbLb0EES1R_EEDaS1M_S1N_EUlS1M_E_NS1_11comp_targetILNS1_3genE4ELNS1_11target_archE910ELNS1_3gpuE8ELNS1_3repE0EEENS1_30default_config_static_selectorELNS0_4arch9wavefront6targetE0EEEvSZ_
    .private_segment_fixed_size: 0
    .sgpr_count:     0
    .sgpr_spill_count: 0
    .symbol:         _ZN7rocprim17ROCPRIM_400000_NS6detail17trampoline_kernelINS0_13select_configILj256ELj13ELNS0_17block_load_methodE3ELS4_3ELS4_3ELNS0_20block_scan_algorithmE0ELj4294967295EEENS1_25partition_config_selectorILNS1_17partition_subalgoE4EjNS0_10empty_typeEbEEZZNS1_14partition_implILS8_4ELb0ES6_15HIP_vector_typeIjLj2EENS0_17counting_iteratorIjlEEPS9_SG_NS0_5tupleIJPjSI_NS0_16reverse_iteratorISI_EEEEENSH_IJSG_SG_SG_EEES9_SI_JZNS1_25segmented_radix_sort_implINS0_14default_configELb0EPKlPlSQ_SR_N2at6native12_GLOBAL__N_18offset_tEEE10hipError_tPvRmT1_PNSt15iterator_traitsISZ_E10value_typeET2_T3_PNS10_IS15_E10value_typeET4_jRbjT5_S1B_jjP12ihipStream_tbEUljE_ZNSN_ISO_Lb0ESQ_SR_SQ_SR_SV_EESW_SX_SY_SZ_S13_S14_S15_S18_S19_jS1A_jS1B_S1B_jjS1D_bEUljE0_EEESW_SX_SY_S15_S19_S1B_T6_T7_T9_mT8_S1D_bDpT10_ENKUlT_T0_E_clISt17integral_constantIbLb0EES1R_EEDaS1M_S1N_EUlS1M_E_NS1_11comp_targetILNS1_3genE4ELNS1_11target_archE910ELNS1_3gpuE8ELNS1_3repE0EEENS1_30default_config_static_selectorELNS0_4arch9wavefront6targetE0EEEvSZ_.kd
    .uniform_work_group_size: 1
    .uses_dynamic_stack: false
    .vgpr_count:     0
    .vgpr_spill_count: 0
    .wavefront_size: 32
  - .args:
      - .offset:         0
        .size:           176
        .value_kind:     by_value
    .group_segment_fixed_size: 0
    .kernarg_segment_align: 8
    .kernarg_segment_size: 176
    .language:       OpenCL C
    .language_version:
      - 2
      - 0
    .max_flat_workgroup_size: 256
    .name:           _ZN7rocprim17ROCPRIM_400000_NS6detail17trampoline_kernelINS0_13select_configILj256ELj13ELNS0_17block_load_methodE3ELS4_3ELS4_3ELNS0_20block_scan_algorithmE0ELj4294967295EEENS1_25partition_config_selectorILNS1_17partition_subalgoE4EjNS0_10empty_typeEbEEZZNS1_14partition_implILS8_4ELb0ES6_15HIP_vector_typeIjLj2EENS0_17counting_iteratorIjlEEPS9_SG_NS0_5tupleIJPjSI_NS0_16reverse_iteratorISI_EEEEENSH_IJSG_SG_SG_EEES9_SI_JZNS1_25segmented_radix_sort_implINS0_14default_configELb0EPKlPlSQ_SR_N2at6native12_GLOBAL__N_18offset_tEEE10hipError_tPvRmT1_PNSt15iterator_traitsISZ_E10value_typeET2_T3_PNS10_IS15_E10value_typeET4_jRbjT5_S1B_jjP12ihipStream_tbEUljE_ZNSN_ISO_Lb0ESQ_SR_SQ_SR_SV_EESW_SX_SY_SZ_S13_S14_S15_S18_S19_jS1A_jS1B_S1B_jjS1D_bEUljE0_EEESW_SX_SY_S15_S19_S1B_T6_T7_T9_mT8_S1D_bDpT10_ENKUlT_T0_E_clISt17integral_constantIbLb0EES1R_EEDaS1M_S1N_EUlS1M_E_NS1_11comp_targetILNS1_3genE3ELNS1_11target_archE908ELNS1_3gpuE7ELNS1_3repE0EEENS1_30default_config_static_selectorELNS0_4arch9wavefront6targetE0EEEvSZ_
    .private_segment_fixed_size: 0
    .sgpr_count:     0
    .sgpr_spill_count: 0
    .symbol:         _ZN7rocprim17ROCPRIM_400000_NS6detail17trampoline_kernelINS0_13select_configILj256ELj13ELNS0_17block_load_methodE3ELS4_3ELS4_3ELNS0_20block_scan_algorithmE0ELj4294967295EEENS1_25partition_config_selectorILNS1_17partition_subalgoE4EjNS0_10empty_typeEbEEZZNS1_14partition_implILS8_4ELb0ES6_15HIP_vector_typeIjLj2EENS0_17counting_iteratorIjlEEPS9_SG_NS0_5tupleIJPjSI_NS0_16reverse_iteratorISI_EEEEENSH_IJSG_SG_SG_EEES9_SI_JZNS1_25segmented_radix_sort_implINS0_14default_configELb0EPKlPlSQ_SR_N2at6native12_GLOBAL__N_18offset_tEEE10hipError_tPvRmT1_PNSt15iterator_traitsISZ_E10value_typeET2_T3_PNS10_IS15_E10value_typeET4_jRbjT5_S1B_jjP12ihipStream_tbEUljE_ZNSN_ISO_Lb0ESQ_SR_SQ_SR_SV_EESW_SX_SY_SZ_S13_S14_S15_S18_S19_jS1A_jS1B_S1B_jjS1D_bEUljE0_EEESW_SX_SY_S15_S19_S1B_T6_T7_T9_mT8_S1D_bDpT10_ENKUlT_T0_E_clISt17integral_constantIbLb0EES1R_EEDaS1M_S1N_EUlS1M_E_NS1_11comp_targetILNS1_3genE3ELNS1_11target_archE908ELNS1_3gpuE7ELNS1_3repE0EEENS1_30default_config_static_selectorELNS0_4arch9wavefront6targetE0EEEvSZ_.kd
    .uniform_work_group_size: 1
    .uses_dynamic_stack: false
    .vgpr_count:     0
    .vgpr_spill_count: 0
    .wavefront_size: 32
  - .args:
      - .offset:         0
        .size:           176
        .value_kind:     by_value
    .group_segment_fixed_size: 0
    .kernarg_segment_align: 8
    .kernarg_segment_size: 176
    .language:       OpenCL C
    .language_version:
      - 2
      - 0
    .max_flat_workgroup_size: 256
    .name:           _ZN7rocprim17ROCPRIM_400000_NS6detail17trampoline_kernelINS0_13select_configILj256ELj13ELNS0_17block_load_methodE3ELS4_3ELS4_3ELNS0_20block_scan_algorithmE0ELj4294967295EEENS1_25partition_config_selectorILNS1_17partition_subalgoE4EjNS0_10empty_typeEbEEZZNS1_14partition_implILS8_4ELb0ES6_15HIP_vector_typeIjLj2EENS0_17counting_iteratorIjlEEPS9_SG_NS0_5tupleIJPjSI_NS0_16reverse_iteratorISI_EEEEENSH_IJSG_SG_SG_EEES9_SI_JZNS1_25segmented_radix_sort_implINS0_14default_configELb0EPKlPlSQ_SR_N2at6native12_GLOBAL__N_18offset_tEEE10hipError_tPvRmT1_PNSt15iterator_traitsISZ_E10value_typeET2_T3_PNS10_IS15_E10value_typeET4_jRbjT5_S1B_jjP12ihipStream_tbEUljE_ZNSN_ISO_Lb0ESQ_SR_SQ_SR_SV_EESW_SX_SY_SZ_S13_S14_S15_S18_S19_jS1A_jS1B_S1B_jjS1D_bEUljE0_EEESW_SX_SY_S15_S19_S1B_T6_T7_T9_mT8_S1D_bDpT10_ENKUlT_T0_E_clISt17integral_constantIbLb0EES1R_EEDaS1M_S1N_EUlS1M_E_NS1_11comp_targetILNS1_3genE2ELNS1_11target_archE906ELNS1_3gpuE6ELNS1_3repE0EEENS1_30default_config_static_selectorELNS0_4arch9wavefront6targetE0EEEvSZ_
    .private_segment_fixed_size: 0
    .sgpr_count:     0
    .sgpr_spill_count: 0
    .symbol:         _ZN7rocprim17ROCPRIM_400000_NS6detail17trampoline_kernelINS0_13select_configILj256ELj13ELNS0_17block_load_methodE3ELS4_3ELS4_3ELNS0_20block_scan_algorithmE0ELj4294967295EEENS1_25partition_config_selectorILNS1_17partition_subalgoE4EjNS0_10empty_typeEbEEZZNS1_14partition_implILS8_4ELb0ES6_15HIP_vector_typeIjLj2EENS0_17counting_iteratorIjlEEPS9_SG_NS0_5tupleIJPjSI_NS0_16reverse_iteratorISI_EEEEENSH_IJSG_SG_SG_EEES9_SI_JZNS1_25segmented_radix_sort_implINS0_14default_configELb0EPKlPlSQ_SR_N2at6native12_GLOBAL__N_18offset_tEEE10hipError_tPvRmT1_PNSt15iterator_traitsISZ_E10value_typeET2_T3_PNS10_IS15_E10value_typeET4_jRbjT5_S1B_jjP12ihipStream_tbEUljE_ZNSN_ISO_Lb0ESQ_SR_SQ_SR_SV_EESW_SX_SY_SZ_S13_S14_S15_S18_S19_jS1A_jS1B_S1B_jjS1D_bEUljE0_EEESW_SX_SY_S15_S19_S1B_T6_T7_T9_mT8_S1D_bDpT10_ENKUlT_T0_E_clISt17integral_constantIbLb0EES1R_EEDaS1M_S1N_EUlS1M_E_NS1_11comp_targetILNS1_3genE2ELNS1_11target_archE906ELNS1_3gpuE6ELNS1_3repE0EEENS1_30default_config_static_selectorELNS0_4arch9wavefront6targetE0EEEvSZ_.kd
    .uniform_work_group_size: 1
    .uses_dynamic_stack: false
    .vgpr_count:     0
    .vgpr_spill_count: 0
    .wavefront_size: 32
  - .args:
      - .offset:         0
        .size:           176
        .value_kind:     by_value
    .group_segment_fixed_size: 0
    .kernarg_segment_align: 8
    .kernarg_segment_size: 176
    .language:       OpenCL C
    .language_version:
      - 2
      - 0
    .max_flat_workgroup_size: 256
    .name:           _ZN7rocprim17ROCPRIM_400000_NS6detail17trampoline_kernelINS0_13select_configILj256ELj13ELNS0_17block_load_methodE3ELS4_3ELS4_3ELNS0_20block_scan_algorithmE0ELj4294967295EEENS1_25partition_config_selectorILNS1_17partition_subalgoE4EjNS0_10empty_typeEbEEZZNS1_14partition_implILS8_4ELb0ES6_15HIP_vector_typeIjLj2EENS0_17counting_iteratorIjlEEPS9_SG_NS0_5tupleIJPjSI_NS0_16reverse_iteratorISI_EEEEENSH_IJSG_SG_SG_EEES9_SI_JZNS1_25segmented_radix_sort_implINS0_14default_configELb0EPKlPlSQ_SR_N2at6native12_GLOBAL__N_18offset_tEEE10hipError_tPvRmT1_PNSt15iterator_traitsISZ_E10value_typeET2_T3_PNS10_IS15_E10value_typeET4_jRbjT5_S1B_jjP12ihipStream_tbEUljE_ZNSN_ISO_Lb0ESQ_SR_SQ_SR_SV_EESW_SX_SY_SZ_S13_S14_S15_S18_S19_jS1A_jS1B_S1B_jjS1D_bEUljE0_EEESW_SX_SY_S15_S19_S1B_T6_T7_T9_mT8_S1D_bDpT10_ENKUlT_T0_E_clISt17integral_constantIbLb0EES1R_EEDaS1M_S1N_EUlS1M_E_NS1_11comp_targetILNS1_3genE10ELNS1_11target_archE1200ELNS1_3gpuE4ELNS1_3repE0EEENS1_30default_config_static_selectorELNS0_4arch9wavefront6targetE0EEEvSZ_
    .private_segment_fixed_size: 0
    .sgpr_count:     0
    .sgpr_spill_count: 0
    .symbol:         _ZN7rocprim17ROCPRIM_400000_NS6detail17trampoline_kernelINS0_13select_configILj256ELj13ELNS0_17block_load_methodE3ELS4_3ELS4_3ELNS0_20block_scan_algorithmE0ELj4294967295EEENS1_25partition_config_selectorILNS1_17partition_subalgoE4EjNS0_10empty_typeEbEEZZNS1_14partition_implILS8_4ELb0ES6_15HIP_vector_typeIjLj2EENS0_17counting_iteratorIjlEEPS9_SG_NS0_5tupleIJPjSI_NS0_16reverse_iteratorISI_EEEEENSH_IJSG_SG_SG_EEES9_SI_JZNS1_25segmented_radix_sort_implINS0_14default_configELb0EPKlPlSQ_SR_N2at6native12_GLOBAL__N_18offset_tEEE10hipError_tPvRmT1_PNSt15iterator_traitsISZ_E10value_typeET2_T3_PNS10_IS15_E10value_typeET4_jRbjT5_S1B_jjP12ihipStream_tbEUljE_ZNSN_ISO_Lb0ESQ_SR_SQ_SR_SV_EESW_SX_SY_SZ_S13_S14_S15_S18_S19_jS1A_jS1B_S1B_jjS1D_bEUljE0_EEESW_SX_SY_S15_S19_S1B_T6_T7_T9_mT8_S1D_bDpT10_ENKUlT_T0_E_clISt17integral_constantIbLb0EES1R_EEDaS1M_S1N_EUlS1M_E_NS1_11comp_targetILNS1_3genE10ELNS1_11target_archE1200ELNS1_3gpuE4ELNS1_3repE0EEENS1_30default_config_static_selectorELNS0_4arch9wavefront6targetE0EEEvSZ_.kd
    .uniform_work_group_size: 1
    .uses_dynamic_stack: false
    .vgpr_count:     0
    .vgpr_spill_count: 0
    .wavefront_size: 32
  - .args:
      - .offset:         0
        .size:           176
        .value_kind:     by_value
    .group_segment_fixed_size: 0
    .kernarg_segment_align: 8
    .kernarg_segment_size: 176
    .language:       OpenCL C
    .language_version:
      - 2
      - 0
    .max_flat_workgroup_size: 256
    .name:           _ZN7rocprim17ROCPRIM_400000_NS6detail17trampoline_kernelINS0_13select_configILj256ELj13ELNS0_17block_load_methodE3ELS4_3ELS4_3ELNS0_20block_scan_algorithmE0ELj4294967295EEENS1_25partition_config_selectorILNS1_17partition_subalgoE4EjNS0_10empty_typeEbEEZZNS1_14partition_implILS8_4ELb0ES6_15HIP_vector_typeIjLj2EENS0_17counting_iteratorIjlEEPS9_SG_NS0_5tupleIJPjSI_NS0_16reverse_iteratorISI_EEEEENSH_IJSG_SG_SG_EEES9_SI_JZNS1_25segmented_radix_sort_implINS0_14default_configELb0EPKlPlSQ_SR_N2at6native12_GLOBAL__N_18offset_tEEE10hipError_tPvRmT1_PNSt15iterator_traitsISZ_E10value_typeET2_T3_PNS10_IS15_E10value_typeET4_jRbjT5_S1B_jjP12ihipStream_tbEUljE_ZNSN_ISO_Lb0ESQ_SR_SQ_SR_SV_EESW_SX_SY_SZ_S13_S14_S15_S18_S19_jS1A_jS1B_S1B_jjS1D_bEUljE0_EEESW_SX_SY_S15_S19_S1B_T6_T7_T9_mT8_S1D_bDpT10_ENKUlT_T0_E_clISt17integral_constantIbLb0EES1R_EEDaS1M_S1N_EUlS1M_E_NS1_11comp_targetILNS1_3genE9ELNS1_11target_archE1100ELNS1_3gpuE3ELNS1_3repE0EEENS1_30default_config_static_selectorELNS0_4arch9wavefront6targetE0EEEvSZ_
    .private_segment_fixed_size: 0
    .sgpr_count:     0
    .sgpr_spill_count: 0
    .symbol:         _ZN7rocprim17ROCPRIM_400000_NS6detail17trampoline_kernelINS0_13select_configILj256ELj13ELNS0_17block_load_methodE3ELS4_3ELS4_3ELNS0_20block_scan_algorithmE0ELj4294967295EEENS1_25partition_config_selectorILNS1_17partition_subalgoE4EjNS0_10empty_typeEbEEZZNS1_14partition_implILS8_4ELb0ES6_15HIP_vector_typeIjLj2EENS0_17counting_iteratorIjlEEPS9_SG_NS0_5tupleIJPjSI_NS0_16reverse_iteratorISI_EEEEENSH_IJSG_SG_SG_EEES9_SI_JZNS1_25segmented_radix_sort_implINS0_14default_configELb0EPKlPlSQ_SR_N2at6native12_GLOBAL__N_18offset_tEEE10hipError_tPvRmT1_PNSt15iterator_traitsISZ_E10value_typeET2_T3_PNS10_IS15_E10value_typeET4_jRbjT5_S1B_jjP12ihipStream_tbEUljE_ZNSN_ISO_Lb0ESQ_SR_SQ_SR_SV_EESW_SX_SY_SZ_S13_S14_S15_S18_S19_jS1A_jS1B_S1B_jjS1D_bEUljE0_EEESW_SX_SY_S15_S19_S1B_T6_T7_T9_mT8_S1D_bDpT10_ENKUlT_T0_E_clISt17integral_constantIbLb0EES1R_EEDaS1M_S1N_EUlS1M_E_NS1_11comp_targetILNS1_3genE9ELNS1_11target_archE1100ELNS1_3gpuE3ELNS1_3repE0EEENS1_30default_config_static_selectorELNS0_4arch9wavefront6targetE0EEEvSZ_.kd
    .uniform_work_group_size: 1
    .uses_dynamic_stack: false
    .vgpr_count:     0
    .vgpr_spill_count: 0
    .wavefront_size: 32
  - .args:
      - .offset:         0
        .size:           176
        .value_kind:     by_value
    .group_segment_fixed_size: 0
    .kernarg_segment_align: 8
    .kernarg_segment_size: 176
    .language:       OpenCL C
    .language_version:
      - 2
      - 0
    .max_flat_workgroup_size: 256
    .name:           _ZN7rocprim17ROCPRIM_400000_NS6detail17trampoline_kernelINS0_13select_configILj256ELj13ELNS0_17block_load_methodE3ELS4_3ELS4_3ELNS0_20block_scan_algorithmE0ELj4294967295EEENS1_25partition_config_selectorILNS1_17partition_subalgoE4EjNS0_10empty_typeEbEEZZNS1_14partition_implILS8_4ELb0ES6_15HIP_vector_typeIjLj2EENS0_17counting_iteratorIjlEEPS9_SG_NS0_5tupleIJPjSI_NS0_16reverse_iteratorISI_EEEEENSH_IJSG_SG_SG_EEES9_SI_JZNS1_25segmented_radix_sort_implINS0_14default_configELb0EPKlPlSQ_SR_N2at6native12_GLOBAL__N_18offset_tEEE10hipError_tPvRmT1_PNSt15iterator_traitsISZ_E10value_typeET2_T3_PNS10_IS15_E10value_typeET4_jRbjT5_S1B_jjP12ihipStream_tbEUljE_ZNSN_ISO_Lb0ESQ_SR_SQ_SR_SV_EESW_SX_SY_SZ_S13_S14_S15_S18_S19_jS1A_jS1B_S1B_jjS1D_bEUljE0_EEESW_SX_SY_S15_S19_S1B_T6_T7_T9_mT8_S1D_bDpT10_ENKUlT_T0_E_clISt17integral_constantIbLb0EES1R_EEDaS1M_S1N_EUlS1M_E_NS1_11comp_targetILNS1_3genE8ELNS1_11target_archE1030ELNS1_3gpuE2ELNS1_3repE0EEENS1_30default_config_static_selectorELNS0_4arch9wavefront6targetE0EEEvSZ_
    .private_segment_fixed_size: 0
    .sgpr_count:     0
    .sgpr_spill_count: 0
    .symbol:         _ZN7rocprim17ROCPRIM_400000_NS6detail17trampoline_kernelINS0_13select_configILj256ELj13ELNS0_17block_load_methodE3ELS4_3ELS4_3ELNS0_20block_scan_algorithmE0ELj4294967295EEENS1_25partition_config_selectorILNS1_17partition_subalgoE4EjNS0_10empty_typeEbEEZZNS1_14partition_implILS8_4ELb0ES6_15HIP_vector_typeIjLj2EENS0_17counting_iteratorIjlEEPS9_SG_NS0_5tupleIJPjSI_NS0_16reverse_iteratorISI_EEEEENSH_IJSG_SG_SG_EEES9_SI_JZNS1_25segmented_radix_sort_implINS0_14default_configELb0EPKlPlSQ_SR_N2at6native12_GLOBAL__N_18offset_tEEE10hipError_tPvRmT1_PNSt15iterator_traitsISZ_E10value_typeET2_T3_PNS10_IS15_E10value_typeET4_jRbjT5_S1B_jjP12ihipStream_tbEUljE_ZNSN_ISO_Lb0ESQ_SR_SQ_SR_SV_EESW_SX_SY_SZ_S13_S14_S15_S18_S19_jS1A_jS1B_S1B_jjS1D_bEUljE0_EEESW_SX_SY_S15_S19_S1B_T6_T7_T9_mT8_S1D_bDpT10_ENKUlT_T0_E_clISt17integral_constantIbLb0EES1R_EEDaS1M_S1N_EUlS1M_E_NS1_11comp_targetILNS1_3genE8ELNS1_11target_archE1030ELNS1_3gpuE2ELNS1_3repE0EEENS1_30default_config_static_selectorELNS0_4arch9wavefront6targetE0EEEvSZ_.kd
    .uniform_work_group_size: 1
    .uses_dynamic_stack: false
    .vgpr_count:     0
    .vgpr_spill_count: 0
    .wavefront_size: 32
  - .args:
      - .offset:         0
        .size:           184
        .value_kind:     by_value
    .group_segment_fixed_size: 0
    .kernarg_segment_align: 8
    .kernarg_segment_size: 184
    .language:       OpenCL C
    .language_version:
      - 2
      - 0
    .max_flat_workgroup_size: 256
    .name:           _ZN7rocprim17ROCPRIM_400000_NS6detail17trampoline_kernelINS0_13select_configILj256ELj13ELNS0_17block_load_methodE3ELS4_3ELS4_3ELNS0_20block_scan_algorithmE0ELj4294967295EEENS1_25partition_config_selectorILNS1_17partition_subalgoE4EjNS0_10empty_typeEbEEZZNS1_14partition_implILS8_4ELb0ES6_15HIP_vector_typeIjLj2EENS0_17counting_iteratorIjlEEPS9_SG_NS0_5tupleIJPjSI_NS0_16reverse_iteratorISI_EEEEENSH_IJSG_SG_SG_EEES9_SI_JZNS1_25segmented_radix_sort_implINS0_14default_configELb0EPKlPlSQ_SR_N2at6native12_GLOBAL__N_18offset_tEEE10hipError_tPvRmT1_PNSt15iterator_traitsISZ_E10value_typeET2_T3_PNS10_IS15_E10value_typeET4_jRbjT5_S1B_jjP12ihipStream_tbEUljE_ZNSN_ISO_Lb0ESQ_SR_SQ_SR_SV_EESW_SX_SY_SZ_S13_S14_S15_S18_S19_jS1A_jS1B_S1B_jjS1D_bEUljE0_EEESW_SX_SY_S15_S19_S1B_T6_T7_T9_mT8_S1D_bDpT10_ENKUlT_T0_E_clISt17integral_constantIbLb1EES1R_EEDaS1M_S1N_EUlS1M_E_NS1_11comp_targetILNS1_3genE0ELNS1_11target_archE4294967295ELNS1_3gpuE0ELNS1_3repE0EEENS1_30default_config_static_selectorELNS0_4arch9wavefront6targetE0EEEvSZ_
    .private_segment_fixed_size: 0
    .sgpr_count:     0
    .sgpr_spill_count: 0
    .symbol:         _ZN7rocprim17ROCPRIM_400000_NS6detail17trampoline_kernelINS0_13select_configILj256ELj13ELNS0_17block_load_methodE3ELS4_3ELS4_3ELNS0_20block_scan_algorithmE0ELj4294967295EEENS1_25partition_config_selectorILNS1_17partition_subalgoE4EjNS0_10empty_typeEbEEZZNS1_14partition_implILS8_4ELb0ES6_15HIP_vector_typeIjLj2EENS0_17counting_iteratorIjlEEPS9_SG_NS0_5tupleIJPjSI_NS0_16reverse_iteratorISI_EEEEENSH_IJSG_SG_SG_EEES9_SI_JZNS1_25segmented_radix_sort_implINS0_14default_configELb0EPKlPlSQ_SR_N2at6native12_GLOBAL__N_18offset_tEEE10hipError_tPvRmT1_PNSt15iterator_traitsISZ_E10value_typeET2_T3_PNS10_IS15_E10value_typeET4_jRbjT5_S1B_jjP12ihipStream_tbEUljE_ZNSN_ISO_Lb0ESQ_SR_SQ_SR_SV_EESW_SX_SY_SZ_S13_S14_S15_S18_S19_jS1A_jS1B_S1B_jjS1D_bEUljE0_EEESW_SX_SY_S15_S19_S1B_T6_T7_T9_mT8_S1D_bDpT10_ENKUlT_T0_E_clISt17integral_constantIbLb1EES1R_EEDaS1M_S1N_EUlS1M_E_NS1_11comp_targetILNS1_3genE0ELNS1_11target_archE4294967295ELNS1_3gpuE0ELNS1_3repE0EEENS1_30default_config_static_selectorELNS0_4arch9wavefront6targetE0EEEvSZ_.kd
    .uniform_work_group_size: 1
    .uses_dynamic_stack: false
    .vgpr_count:     0
    .vgpr_spill_count: 0
    .wavefront_size: 32
  - .args:
      - .offset:         0
        .size:           184
        .value_kind:     by_value
    .group_segment_fixed_size: 0
    .kernarg_segment_align: 8
    .kernarg_segment_size: 184
    .language:       OpenCL C
    .language_version:
      - 2
      - 0
    .max_flat_workgroup_size: 256
    .name:           _ZN7rocprim17ROCPRIM_400000_NS6detail17trampoline_kernelINS0_13select_configILj256ELj13ELNS0_17block_load_methodE3ELS4_3ELS4_3ELNS0_20block_scan_algorithmE0ELj4294967295EEENS1_25partition_config_selectorILNS1_17partition_subalgoE4EjNS0_10empty_typeEbEEZZNS1_14partition_implILS8_4ELb0ES6_15HIP_vector_typeIjLj2EENS0_17counting_iteratorIjlEEPS9_SG_NS0_5tupleIJPjSI_NS0_16reverse_iteratorISI_EEEEENSH_IJSG_SG_SG_EEES9_SI_JZNS1_25segmented_radix_sort_implINS0_14default_configELb0EPKlPlSQ_SR_N2at6native12_GLOBAL__N_18offset_tEEE10hipError_tPvRmT1_PNSt15iterator_traitsISZ_E10value_typeET2_T3_PNS10_IS15_E10value_typeET4_jRbjT5_S1B_jjP12ihipStream_tbEUljE_ZNSN_ISO_Lb0ESQ_SR_SQ_SR_SV_EESW_SX_SY_SZ_S13_S14_S15_S18_S19_jS1A_jS1B_S1B_jjS1D_bEUljE0_EEESW_SX_SY_S15_S19_S1B_T6_T7_T9_mT8_S1D_bDpT10_ENKUlT_T0_E_clISt17integral_constantIbLb1EES1R_EEDaS1M_S1N_EUlS1M_E_NS1_11comp_targetILNS1_3genE5ELNS1_11target_archE942ELNS1_3gpuE9ELNS1_3repE0EEENS1_30default_config_static_selectorELNS0_4arch9wavefront6targetE0EEEvSZ_
    .private_segment_fixed_size: 0
    .sgpr_count:     0
    .sgpr_spill_count: 0
    .symbol:         _ZN7rocprim17ROCPRIM_400000_NS6detail17trampoline_kernelINS0_13select_configILj256ELj13ELNS0_17block_load_methodE3ELS4_3ELS4_3ELNS0_20block_scan_algorithmE0ELj4294967295EEENS1_25partition_config_selectorILNS1_17partition_subalgoE4EjNS0_10empty_typeEbEEZZNS1_14partition_implILS8_4ELb0ES6_15HIP_vector_typeIjLj2EENS0_17counting_iteratorIjlEEPS9_SG_NS0_5tupleIJPjSI_NS0_16reverse_iteratorISI_EEEEENSH_IJSG_SG_SG_EEES9_SI_JZNS1_25segmented_radix_sort_implINS0_14default_configELb0EPKlPlSQ_SR_N2at6native12_GLOBAL__N_18offset_tEEE10hipError_tPvRmT1_PNSt15iterator_traitsISZ_E10value_typeET2_T3_PNS10_IS15_E10value_typeET4_jRbjT5_S1B_jjP12ihipStream_tbEUljE_ZNSN_ISO_Lb0ESQ_SR_SQ_SR_SV_EESW_SX_SY_SZ_S13_S14_S15_S18_S19_jS1A_jS1B_S1B_jjS1D_bEUljE0_EEESW_SX_SY_S15_S19_S1B_T6_T7_T9_mT8_S1D_bDpT10_ENKUlT_T0_E_clISt17integral_constantIbLb1EES1R_EEDaS1M_S1N_EUlS1M_E_NS1_11comp_targetILNS1_3genE5ELNS1_11target_archE942ELNS1_3gpuE9ELNS1_3repE0EEENS1_30default_config_static_selectorELNS0_4arch9wavefront6targetE0EEEvSZ_.kd
    .uniform_work_group_size: 1
    .uses_dynamic_stack: false
    .vgpr_count:     0
    .vgpr_spill_count: 0
    .wavefront_size: 32
  - .args:
      - .offset:         0
        .size:           184
        .value_kind:     by_value
    .group_segment_fixed_size: 0
    .kernarg_segment_align: 8
    .kernarg_segment_size: 184
    .language:       OpenCL C
    .language_version:
      - 2
      - 0
    .max_flat_workgroup_size: 256
    .name:           _ZN7rocprim17ROCPRIM_400000_NS6detail17trampoline_kernelINS0_13select_configILj256ELj13ELNS0_17block_load_methodE3ELS4_3ELS4_3ELNS0_20block_scan_algorithmE0ELj4294967295EEENS1_25partition_config_selectorILNS1_17partition_subalgoE4EjNS0_10empty_typeEbEEZZNS1_14partition_implILS8_4ELb0ES6_15HIP_vector_typeIjLj2EENS0_17counting_iteratorIjlEEPS9_SG_NS0_5tupleIJPjSI_NS0_16reverse_iteratorISI_EEEEENSH_IJSG_SG_SG_EEES9_SI_JZNS1_25segmented_radix_sort_implINS0_14default_configELb0EPKlPlSQ_SR_N2at6native12_GLOBAL__N_18offset_tEEE10hipError_tPvRmT1_PNSt15iterator_traitsISZ_E10value_typeET2_T3_PNS10_IS15_E10value_typeET4_jRbjT5_S1B_jjP12ihipStream_tbEUljE_ZNSN_ISO_Lb0ESQ_SR_SQ_SR_SV_EESW_SX_SY_SZ_S13_S14_S15_S18_S19_jS1A_jS1B_S1B_jjS1D_bEUljE0_EEESW_SX_SY_S15_S19_S1B_T6_T7_T9_mT8_S1D_bDpT10_ENKUlT_T0_E_clISt17integral_constantIbLb1EES1R_EEDaS1M_S1N_EUlS1M_E_NS1_11comp_targetILNS1_3genE4ELNS1_11target_archE910ELNS1_3gpuE8ELNS1_3repE0EEENS1_30default_config_static_selectorELNS0_4arch9wavefront6targetE0EEEvSZ_
    .private_segment_fixed_size: 0
    .sgpr_count:     0
    .sgpr_spill_count: 0
    .symbol:         _ZN7rocprim17ROCPRIM_400000_NS6detail17trampoline_kernelINS0_13select_configILj256ELj13ELNS0_17block_load_methodE3ELS4_3ELS4_3ELNS0_20block_scan_algorithmE0ELj4294967295EEENS1_25partition_config_selectorILNS1_17partition_subalgoE4EjNS0_10empty_typeEbEEZZNS1_14partition_implILS8_4ELb0ES6_15HIP_vector_typeIjLj2EENS0_17counting_iteratorIjlEEPS9_SG_NS0_5tupleIJPjSI_NS0_16reverse_iteratorISI_EEEEENSH_IJSG_SG_SG_EEES9_SI_JZNS1_25segmented_radix_sort_implINS0_14default_configELb0EPKlPlSQ_SR_N2at6native12_GLOBAL__N_18offset_tEEE10hipError_tPvRmT1_PNSt15iterator_traitsISZ_E10value_typeET2_T3_PNS10_IS15_E10value_typeET4_jRbjT5_S1B_jjP12ihipStream_tbEUljE_ZNSN_ISO_Lb0ESQ_SR_SQ_SR_SV_EESW_SX_SY_SZ_S13_S14_S15_S18_S19_jS1A_jS1B_S1B_jjS1D_bEUljE0_EEESW_SX_SY_S15_S19_S1B_T6_T7_T9_mT8_S1D_bDpT10_ENKUlT_T0_E_clISt17integral_constantIbLb1EES1R_EEDaS1M_S1N_EUlS1M_E_NS1_11comp_targetILNS1_3genE4ELNS1_11target_archE910ELNS1_3gpuE8ELNS1_3repE0EEENS1_30default_config_static_selectorELNS0_4arch9wavefront6targetE0EEEvSZ_.kd
    .uniform_work_group_size: 1
    .uses_dynamic_stack: false
    .vgpr_count:     0
    .vgpr_spill_count: 0
    .wavefront_size: 32
  - .args:
      - .offset:         0
        .size:           184
        .value_kind:     by_value
    .group_segment_fixed_size: 0
    .kernarg_segment_align: 8
    .kernarg_segment_size: 184
    .language:       OpenCL C
    .language_version:
      - 2
      - 0
    .max_flat_workgroup_size: 256
    .name:           _ZN7rocprim17ROCPRIM_400000_NS6detail17trampoline_kernelINS0_13select_configILj256ELj13ELNS0_17block_load_methodE3ELS4_3ELS4_3ELNS0_20block_scan_algorithmE0ELj4294967295EEENS1_25partition_config_selectorILNS1_17partition_subalgoE4EjNS0_10empty_typeEbEEZZNS1_14partition_implILS8_4ELb0ES6_15HIP_vector_typeIjLj2EENS0_17counting_iteratorIjlEEPS9_SG_NS0_5tupleIJPjSI_NS0_16reverse_iteratorISI_EEEEENSH_IJSG_SG_SG_EEES9_SI_JZNS1_25segmented_radix_sort_implINS0_14default_configELb0EPKlPlSQ_SR_N2at6native12_GLOBAL__N_18offset_tEEE10hipError_tPvRmT1_PNSt15iterator_traitsISZ_E10value_typeET2_T3_PNS10_IS15_E10value_typeET4_jRbjT5_S1B_jjP12ihipStream_tbEUljE_ZNSN_ISO_Lb0ESQ_SR_SQ_SR_SV_EESW_SX_SY_SZ_S13_S14_S15_S18_S19_jS1A_jS1B_S1B_jjS1D_bEUljE0_EEESW_SX_SY_S15_S19_S1B_T6_T7_T9_mT8_S1D_bDpT10_ENKUlT_T0_E_clISt17integral_constantIbLb1EES1R_EEDaS1M_S1N_EUlS1M_E_NS1_11comp_targetILNS1_3genE3ELNS1_11target_archE908ELNS1_3gpuE7ELNS1_3repE0EEENS1_30default_config_static_selectorELNS0_4arch9wavefront6targetE0EEEvSZ_
    .private_segment_fixed_size: 0
    .sgpr_count:     0
    .sgpr_spill_count: 0
    .symbol:         _ZN7rocprim17ROCPRIM_400000_NS6detail17trampoline_kernelINS0_13select_configILj256ELj13ELNS0_17block_load_methodE3ELS4_3ELS4_3ELNS0_20block_scan_algorithmE0ELj4294967295EEENS1_25partition_config_selectorILNS1_17partition_subalgoE4EjNS0_10empty_typeEbEEZZNS1_14partition_implILS8_4ELb0ES6_15HIP_vector_typeIjLj2EENS0_17counting_iteratorIjlEEPS9_SG_NS0_5tupleIJPjSI_NS0_16reverse_iteratorISI_EEEEENSH_IJSG_SG_SG_EEES9_SI_JZNS1_25segmented_radix_sort_implINS0_14default_configELb0EPKlPlSQ_SR_N2at6native12_GLOBAL__N_18offset_tEEE10hipError_tPvRmT1_PNSt15iterator_traitsISZ_E10value_typeET2_T3_PNS10_IS15_E10value_typeET4_jRbjT5_S1B_jjP12ihipStream_tbEUljE_ZNSN_ISO_Lb0ESQ_SR_SQ_SR_SV_EESW_SX_SY_SZ_S13_S14_S15_S18_S19_jS1A_jS1B_S1B_jjS1D_bEUljE0_EEESW_SX_SY_S15_S19_S1B_T6_T7_T9_mT8_S1D_bDpT10_ENKUlT_T0_E_clISt17integral_constantIbLb1EES1R_EEDaS1M_S1N_EUlS1M_E_NS1_11comp_targetILNS1_3genE3ELNS1_11target_archE908ELNS1_3gpuE7ELNS1_3repE0EEENS1_30default_config_static_selectorELNS0_4arch9wavefront6targetE0EEEvSZ_.kd
    .uniform_work_group_size: 1
    .uses_dynamic_stack: false
    .vgpr_count:     0
    .vgpr_spill_count: 0
    .wavefront_size: 32
  - .args:
      - .offset:         0
        .size:           184
        .value_kind:     by_value
    .group_segment_fixed_size: 0
    .kernarg_segment_align: 8
    .kernarg_segment_size: 184
    .language:       OpenCL C
    .language_version:
      - 2
      - 0
    .max_flat_workgroup_size: 256
    .name:           _ZN7rocprim17ROCPRIM_400000_NS6detail17trampoline_kernelINS0_13select_configILj256ELj13ELNS0_17block_load_methodE3ELS4_3ELS4_3ELNS0_20block_scan_algorithmE0ELj4294967295EEENS1_25partition_config_selectorILNS1_17partition_subalgoE4EjNS0_10empty_typeEbEEZZNS1_14partition_implILS8_4ELb0ES6_15HIP_vector_typeIjLj2EENS0_17counting_iteratorIjlEEPS9_SG_NS0_5tupleIJPjSI_NS0_16reverse_iteratorISI_EEEEENSH_IJSG_SG_SG_EEES9_SI_JZNS1_25segmented_radix_sort_implINS0_14default_configELb0EPKlPlSQ_SR_N2at6native12_GLOBAL__N_18offset_tEEE10hipError_tPvRmT1_PNSt15iterator_traitsISZ_E10value_typeET2_T3_PNS10_IS15_E10value_typeET4_jRbjT5_S1B_jjP12ihipStream_tbEUljE_ZNSN_ISO_Lb0ESQ_SR_SQ_SR_SV_EESW_SX_SY_SZ_S13_S14_S15_S18_S19_jS1A_jS1B_S1B_jjS1D_bEUljE0_EEESW_SX_SY_S15_S19_S1B_T6_T7_T9_mT8_S1D_bDpT10_ENKUlT_T0_E_clISt17integral_constantIbLb1EES1R_EEDaS1M_S1N_EUlS1M_E_NS1_11comp_targetILNS1_3genE2ELNS1_11target_archE906ELNS1_3gpuE6ELNS1_3repE0EEENS1_30default_config_static_selectorELNS0_4arch9wavefront6targetE0EEEvSZ_
    .private_segment_fixed_size: 0
    .sgpr_count:     0
    .sgpr_spill_count: 0
    .symbol:         _ZN7rocprim17ROCPRIM_400000_NS6detail17trampoline_kernelINS0_13select_configILj256ELj13ELNS0_17block_load_methodE3ELS4_3ELS4_3ELNS0_20block_scan_algorithmE0ELj4294967295EEENS1_25partition_config_selectorILNS1_17partition_subalgoE4EjNS0_10empty_typeEbEEZZNS1_14partition_implILS8_4ELb0ES6_15HIP_vector_typeIjLj2EENS0_17counting_iteratorIjlEEPS9_SG_NS0_5tupleIJPjSI_NS0_16reverse_iteratorISI_EEEEENSH_IJSG_SG_SG_EEES9_SI_JZNS1_25segmented_radix_sort_implINS0_14default_configELb0EPKlPlSQ_SR_N2at6native12_GLOBAL__N_18offset_tEEE10hipError_tPvRmT1_PNSt15iterator_traitsISZ_E10value_typeET2_T3_PNS10_IS15_E10value_typeET4_jRbjT5_S1B_jjP12ihipStream_tbEUljE_ZNSN_ISO_Lb0ESQ_SR_SQ_SR_SV_EESW_SX_SY_SZ_S13_S14_S15_S18_S19_jS1A_jS1B_S1B_jjS1D_bEUljE0_EEESW_SX_SY_S15_S19_S1B_T6_T7_T9_mT8_S1D_bDpT10_ENKUlT_T0_E_clISt17integral_constantIbLb1EES1R_EEDaS1M_S1N_EUlS1M_E_NS1_11comp_targetILNS1_3genE2ELNS1_11target_archE906ELNS1_3gpuE6ELNS1_3repE0EEENS1_30default_config_static_selectorELNS0_4arch9wavefront6targetE0EEEvSZ_.kd
    .uniform_work_group_size: 1
    .uses_dynamic_stack: false
    .vgpr_count:     0
    .vgpr_spill_count: 0
    .wavefront_size: 32
  - .args:
      - .offset:         0
        .size:           184
        .value_kind:     by_value
    .group_segment_fixed_size: 0
    .kernarg_segment_align: 8
    .kernarg_segment_size: 184
    .language:       OpenCL C
    .language_version:
      - 2
      - 0
    .max_flat_workgroup_size: 256
    .name:           _ZN7rocprim17ROCPRIM_400000_NS6detail17trampoline_kernelINS0_13select_configILj256ELj13ELNS0_17block_load_methodE3ELS4_3ELS4_3ELNS0_20block_scan_algorithmE0ELj4294967295EEENS1_25partition_config_selectorILNS1_17partition_subalgoE4EjNS0_10empty_typeEbEEZZNS1_14partition_implILS8_4ELb0ES6_15HIP_vector_typeIjLj2EENS0_17counting_iteratorIjlEEPS9_SG_NS0_5tupleIJPjSI_NS0_16reverse_iteratorISI_EEEEENSH_IJSG_SG_SG_EEES9_SI_JZNS1_25segmented_radix_sort_implINS0_14default_configELb0EPKlPlSQ_SR_N2at6native12_GLOBAL__N_18offset_tEEE10hipError_tPvRmT1_PNSt15iterator_traitsISZ_E10value_typeET2_T3_PNS10_IS15_E10value_typeET4_jRbjT5_S1B_jjP12ihipStream_tbEUljE_ZNSN_ISO_Lb0ESQ_SR_SQ_SR_SV_EESW_SX_SY_SZ_S13_S14_S15_S18_S19_jS1A_jS1B_S1B_jjS1D_bEUljE0_EEESW_SX_SY_S15_S19_S1B_T6_T7_T9_mT8_S1D_bDpT10_ENKUlT_T0_E_clISt17integral_constantIbLb1EES1R_EEDaS1M_S1N_EUlS1M_E_NS1_11comp_targetILNS1_3genE10ELNS1_11target_archE1200ELNS1_3gpuE4ELNS1_3repE0EEENS1_30default_config_static_selectorELNS0_4arch9wavefront6targetE0EEEvSZ_
    .private_segment_fixed_size: 0
    .sgpr_count:     0
    .sgpr_spill_count: 0
    .symbol:         _ZN7rocprim17ROCPRIM_400000_NS6detail17trampoline_kernelINS0_13select_configILj256ELj13ELNS0_17block_load_methodE3ELS4_3ELS4_3ELNS0_20block_scan_algorithmE0ELj4294967295EEENS1_25partition_config_selectorILNS1_17partition_subalgoE4EjNS0_10empty_typeEbEEZZNS1_14partition_implILS8_4ELb0ES6_15HIP_vector_typeIjLj2EENS0_17counting_iteratorIjlEEPS9_SG_NS0_5tupleIJPjSI_NS0_16reverse_iteratorISI_EEEEENSH_IJSG_SG_SG_EEES9_SI_JZNS1_25segmented_radix_sort_implINS0_14default_configELb0EPKlPlSQ_SR_N2at6native12_GLOBAL__N_18offset_tEEE10hipError_tPvRmT1_PNSt15iterator_traitsISZ_E10value_typeET2_T3_PNS10_IS15_E10value_typeET4_jRbjT5_S1B_jjP12ihipStream_tbEUljE_ZNSN_ISO_Lb0ESQ_SR_SQ_SR_SV_EESW_SX_SY_SZ_S13_S14_S15_S18_S19_jS1A_jS1B_S1B_jjS1D_bEUljE0_EEESW_SX_SY_S15_S19_S1B_T6_T7_T9_mT8_S1D_bDpT10_ENKUlT_T0_E_clISt17integral_constantIbLb1EES1R_EEDaS1M_S1N_EUlS1M_E_NS1_11comp_targetILNS1_3genE10ELNS1_11target_archE1200ELNS1_3gpuE4ELNS1_3repE0EEENS1_30default_config_static_selectorELNS0_4arch9wavefront6targetE0EEEvSZ_.kd
    .uniform_work_group_size: 1
    .uses_dynamic_stack: false
    .vgpr_count:     0
    .vgpr_spill_count: 0
    .wavefront_size: 32
  - .args:
      - .offset:         0
        .size:           184
        .value_kind:     by_value
    .group_segment_fixed_size: 0
    .kernarg_segment_align: 8
    .kernarg_segment_size: 184
    .language:       OpenCL C
    .language_version:
      - 2
      - 0
    .max_flat_workgroup_size: 256
    .name:           _ZN7rocprim17ROCPRIM_400000_NS6detail17trampoline_kernelINS0_13select_configILj256ELj13ELNS0_17block_load_methodE3ELS4_3ELS4_3ELNS0_20block_scan_algorithmE0ELj4294967295EEENS1_25partition_config_selectorILNS1_17partition_subalgoE4EjNS0_10empty_typeEbEEZZNS1_14partition_implILS8_4ELb0ES6_15HIP_vector_typeIjLj2EENS0_17counting_iteratorIjlEEPS9_SG_NS0_5tupleIJPjSI_NS0_16reverse_iteratorISI_EEEEENSH_IJSG_SG_SG_EEES9_SI_JZNS1_25segmented_radix_sort_implINS0_14default_configELb0EPKlPlSQ_SR_N2at6native12_GLOBAL__N_18offset_tEEE10hipError_tPvRmT1_PNSt15iterator_traitsISZ_E10value_typeET2_T3_PNS10_IS15_E10value_typeET4_jRbjT5_S1B_jjP12ihipStream_tbEUljE_ZNSN_ISO_Lb0ESQ_SR_SQ_SR_SV_EESW_SX_SY_SZ_S13_S14_S15_S18_S19_jS1A_jS1B_S1B_jjS1D_bEUljE0_EEESW_SX_SY_S15_S19_S1B_T6_T7_T9_mT8_S1D_bDpT10_ENKUlT_T0_E_clISt17integral_constantIbLb1EES1R_EEDaS1M_S1N_EUlS1M_E_NS1_11comp_targetILNS1_3genE9ELNS1_11target_archE1100ELNS1_3gpuE3ELNS1_3repE0EEENS1_30default_config_static_selectorELNS0_4arch9wavefront6targetE0EEEvSZ_
    .private_segment_fixed_size: 0
    .sgpr_count:     0
    .sgpr_spill_count: 0
    .symbol:         _ZN7rocprim17ROCPRIM_400000_NS6detail17trampoline_kernelINS0_13select_configILj256ELj13ELNS0_17block_load_methodE3ELS4_3ELS4_3ELNS0_20block_scan_algorithmE0ELj4294967295EEENS1_25partition_config_selectorILNS1_17partition_subalgoE4EjNS0_10empty_typeEbEEZZNS1_14partition_implILS8_4ELb0ES6_15HIP_vector_typeIjLj2EENS0_17counting_iteratorIjlEEPS9_SG_NS0_5tupleIJPjSI_NS0_16reverse_iteratorISI_EEEEENSH_IJSG_SG_SG_EEES9_SI_JZNS1_25segmented_radix_sort_implINS0_14default_configELb0EPKlPlSQ_SR_N2at6native12_GLOBAL__N_18offset_tEEE10hipError_tPvRmT1_PNSt15iterator_traitsISZ_E10value_typeET2_T3_PNS10_IS15_E10value_typeET4_jRbjT5_S1B_jjP12ihipStream_tbEUljE_ZNSN_ISO_Lb0ESQ_SR_SQ_SR_SV_EESW_SX_SY_SZ_S13_S14_S15_S18_S19_jS1A_jS1B_S1B_jjS1D_bEUljE0_EEESW_SX_SY_S15_S19_S1B_T6_T7_T9_mT8_S1D_bDpT10_ENKUlT_T0_E_clISt17integral_constantIbLb1EES1R_EEDaS1M_S1N_EUlS1M_E_NS1_11comp_targetILNS1_3genE9ELNS1_11target_archE1100ELNS1_3gpuE3ELNS1_3repE0EEENS1_30default_config_static_selectorELNS0_4arch9wavefront6targetE0EEEvSZ_.kd
    .uniform_work_group_size: 1
    .uses_dynamic_stack: false
    .vgpr_count:     0
    .vgpr_spill_count: 0
    .wavefront_size: 32
  - .args:
      - .offset:         0
        .size:           184
        .value_kind:     by_value
    .group_segment_fixed_size: 0
    .kernarg_segment_align: 8
    .kernarg_segment_size: 184
    .language:       OpenCL C
    .language_version:
      - 2
      - 0
    .max_flat_workgroup_size: 256
    .name:           _ZN7rocprim17ROCPRIM_400000_NS6detail17trampoline_kernelINS0_13select_configILj256ELj13ELNS0_17block_load_methodE3ELS4_3ELS4_3ELNS0_20block_scan_algorithmE0ELj4294967295EEENS1_25partition_config_selectorILNS1_17partition_subalgoE4EjNS0_10empty_typeEbEEZZNS1_14partition_implILS8_4ELb0ES6_15HIP_vector_typeIjLj2EENS0_17counting_iteratorIjlEEPS9_SG_NS0_5tupleIJPjSI_NS0_16reverse_iteratorISI_EEEEENSH_IJSG_SG_SG_EEES9_SI_JZNS1_25segmented_radix_sort_implINS0_14default_configELb0EPKlPlSQ_SR_N2at6native12_GLOBAL__N_18offset_tEEE10hipError_tPvRmT1_PNSt15iterator_traitsISZ_E10value_typeET2_T3_PNS10_IS15_E10value_typeET4_jRbjT5_S1B_jjP12ihipStream_tbEUljE_ZNSN_ISO_Lb0ESQ_SR_SQ_SR_SV_EESW_SX_SY_SZ_S13_S14_S15_S18_S19_jS1A_jS1B_S1B_jjS1D_bEUljE0_EEESW_SX_SY_S15_S19_S1B_T6_T7_T9_mT8_S1D_bDpT10_ENKUlT_T0_E_clISt17integral_constantIbLb1EES1R_EEDaS1M_S1N_EUlS1M_E_NS1_11comp_targetILNS1_3genE8ELNS1_11target_archE1030ELNS1_3gpuE2ELNS1_3repE0EEENS1_30default_config_static_selectorELNS0_4arch9wavefront6targetE0EEEvSZ_
    .private_segment_fixed_size: 0
    .sgpr_count:     0
    .sgpr_spill_count: 0
    .symbol:         _ZN7rocprim17ROCPRIM_400000_NS6detail17trampoline_kernelINS0_13select_configILj256ELj13ELNS0_17block_load_methodE3ELS4_3ELS4_3ELNS0_20block_scan_algorithmE0ELj4294967295EEENS1_25partition_config_selectorILNS1_17partition_subalgoE4EjNS0_10empty_typeEbEEZZNS1_14partition_implILS8_4ELb0ES6_15HIP_vector_typeIjLj2EENS0_17counting_iteratorIjlEEPS9_SG_NS0_5tupleIJPjSI_NS0_16reverse_iteratorISI_EEEEENSH_IJSG_SG_SG_EEES9_SI_JZNS1_25segmented_radix_sort_implINS0_14default_configELb0EPKlPlSQ_SR_N2at6native12_GLOBAL__N_18offset_tEEE10hipError_tPvRmT1_PNSt15iterator_traitsISZ_E10value_typeET2_T3_PNS10_IS15_E10value_typeET4_jRbjT5_S1B_jjP12ihipStream_tbEUljE_ZNSN_ISO_Lb0ESQ_SR_SQ_SR_SV_EESW_SX_SY_SZ_S13_S14_S15_S18_S19_jS1A_jS1B_S1B_jjS1D_bEUljE0_EEESW_SX_SY_S15_S19_S1B_T6_T7_T9_mT8_S1D_bDpT10_ENKUlT_T0_E_clISt17integral_constantIbLb1EES1R_EEDaS1M_S1N_EUlS1M_E_NS1_11comp_targetILNS1_3genE8ELNS1_11target_archE1030ELNS1_3gpuE2ELNS1_3repE0EEENS1_30default_config_static_selectorELNS0_4arch9wavefront6targetE0EEEvSZ_.kd
    .uniform_work_group_size: 1
    .uses_dynamic_stack: false
    .vgpr_count:     0
    .vgpr_spill_count: 0
    .wavefront_size: 32
  - .args:
      - .offset:         0
        .size:           176
        .value_kind:     by_value
    .group_segment_fixed_size: 0
    .kernarg_segment_align: 8
    .kernarg_segment_size: 176
    .language:       OpenCL C
    .language_version:
      - 2
      - 0
    .max_flat_workgroup_size: 256
    .name:           _ZN7rocprim17ROCPRIM_400000_NS6detail17trampoline_kernelINS0_13select_configILj256ELj13ELNS0_17block_load_methodE3ELS4_3ELS4_3ELNS0_20block_scan_algorithmE0ELj4294967295EEENS1_25partition_config_selectorILNS1_17partition_subalgoE4EjNS0_10empty_typeEbEEZZNS1_14partition_implILS8_4ELb0ES6_15HIP_vector_typeIjLj2EENS0_17counting_iteratorIjlEEPS9_SG_NS0_5tupleIJPjSI_NS0_16reverse_iteratorISI_EEEEENSH_IJSG_SG_SG_EEES9_SI_JZNS1_25segmented_radix_sort_implINS0_14default_configELb0EPKlPlSQ_SR_N2at6native12_GLOBAL__N_18offset_tEEE10hipError_tPvRmT1_PNSt15iterator_traitsISZ_E10value_typeET2_T3_PNS10_IS15_E10value_typeET4_jRbjT5_S1B_jjP12ihipStream_tbEUljE_ZNSN_ISO_Lb0ESQ_SR_SQ_SR_SV_EESW_SX_SY_SZ_S13_S14_S15_S18_S19_jS1A_jS1B_S1B_jjS1D_bEUljE0_EEESW_SX_SY_S15_S19_S1B_T6_T7_T9_mT8_S1D_bDpT10_ENKUlT_T0_E_clISt17integral_constantIbLb1EES1Q_IbLb0EEEEDaS1M_S1N_EUlS1M_E_NS1_11comp_targetILNS1_3genE0ELNS1_11target_archE4294967295ELNS1_3gpuE0ELNS1_3repE0EEENS1_30default_config_static_selectorELNS0_4arch9wavefront6targetE0EEEvSZ_
    .private_segment_fixed_size: 0
    .sgpr_count:     0
    .sgpr_spill_count: 0
    .symbol:         _ZN7rocprim17ROCPRIM_400000_NS6detail17trampoline_kernelINS0_13select_configILj256ELj13ELNS0_17block_load_methodE3ELS4_3ELS4_3ELNS0_20block_scan_algorithmE0ELj4294967295EEENS1_25partition_config_selectorILNS1_17partition_subalgoE4EjNS0_10empty_typeEbEEZZNS1_14partition_implILS8_4ELb0ES6_15HIP_vector_typeIjLj2EENS0_17counting_iteratorIjlEEPS9_SG_NS0_5tupleIJPjSI_NS0_16reverse_iteratorISI_EEEEENSH_IJSG_SG_SG_EEES9_SI_JZNS1_25segmented_radix_sort_implINS0_14default_configELb0EPKlPlSQ_SR_N2at6native12_GLOBAL__N_18offset_tEEE10hipError_tPvRmT1_PNSt15iterator_traitsISZ_E10value_typeET2_T3_PNS10_IS15_E10value_typeET4_jRbjT5_S1B_jjP12ihipStream_tbEUljE_ZNSN_ISO_Lb0ESQ_SR_SQ_SR_SV_EESW_SX_SY_SZ_S13_S14_S15_S18_S19_jS1A_jS1B_S1B_jjS1D_bEUljE0_EEESW_SX_SY_S15_S19_S1B_T6_T7_T9_mT8_S1D_bDpT10_ENKUlT_T0_E_clISt17integral_constantIbLb1EES1Q_IbLb0EEEEDaS1M_S1N_EUlS1M_E_NS1_11comp_targetILNS1_3genE0ELNS1_11target_archE4294967295ELNS1_3gpuE0ELNS1_3repE0EEENS1_30default_config_static_selectorELNS0_4arch9wavefront6targetE0EEEvSZ_.kd
    .uniform_work_group_size: 1
    .uses_dynamic_stack: false
    .vgpr_count:     0
    .vgpr_spill_count: 0
    .wavefront_size: 32
  - .args:
      - .offset:         0
        .size:           176
        .value_kind:     by_value
    .group_segment_fixed_size: 0
    .kernarg_segment_align: 8
    .kernarg_segment_size: 176
    .language:       OpenCL C
    .language_version:
      - 2
      - 0
    .max_flat_workgroup_size: 256
    .name:           _ZN7rocprim17ROCPRIM_400000_NS6detail17trampoline_kernelINS0_13select_configILj256ELj13ELNS0_17block_load_methodE3ELS4_3ELS4_3ELNS0_20block_scan_algorithmE0ELj4294967295EEENS1_25partition_config_selectorILNS1_17partition_subalgoE4EjNS0_10empty_typeEbEEZZNS1_14partition_implILS8_4ELb0ES6_15HIP_vector_typeIjLj2EENS0_17counting_iteratorIjlEEPS9_SG_NS0_5tupleIJPjSI_NS0_16reverse_iteratorISI_EEEEENSH_IJSG_SG_SG_EEES9_SI_JZNS1_25segmented_radix_sort_implINS0_14default_configELb0EPKlPlSQ_SR_N2at6native12_GLOBAL__N_18offset_tEEE10hipError_tPvRmT1_PNSt15iterator_traitsISZ_E10value_typeET2_T3_PNS10_IS15_E10value_typeET4_jRbjT5_S1B_jjP12ihipStream_tbEUljE_ZNSN_ISO_Lb0ESQ_SR_SQ_SR_SV_EESW_SX_SY_SZ_S13_S14_S15_S18_S19_jS1A_jS1B_S1B_jjS1D_bEUljE0_EEESW_SX_SY_S15_S19_S1B_T6_T7_T9_mT8_S1D_bDpT10_ENKUlT_T0_E_clISt17integral_constantIbLb1EES1Q_IbLb0EEEEDaS1M_S1N_EUlS1M_E_NS1_11comp_targetILNS1_3genE5ELNS1_11target_archE942ELNS1_3gpuE9ELNS1_3repE0EEENS1_30default_config_static_selectorELNS0_4arch9wavefront6targetE0EEEvSZ_
    .private_segment_fixed_size: 0
    .sgpr_count:     0
    .sgpr_spill_count: 0
    .symbol:         _ZN7rocprim17ROCPRIM_400000_NS6detail17trampoline_kernelINS0_13select_configILj256ELj13ELNS0_17block_load_methodE3ELS4_3ELS4_3ELNS0_20block_scan_algorithmE0ELj4294967295EEENS1_25partition_config_selectorILNS1_17partition_subalgoE4EjNS0_10empty_typeEbEEZZNS1_14partition_implILS8_4ELb0ES6_15HIP_vector_typeIjLj2EENS0_17counting_iteratorIjlEEPS9_SG_NS0_5tupleIJPjSI_NS0_16reverse_iteratorISI_EEEEENSH_IJSG_SG_SG_EEES9_SI_JZNS1_25segmented_radix_sort_implINS0_14default_configELb0EPKlPlSQ_SR_N2at6native12_GLOBAL__N_18offset_tEEE10hipError_tPvRmT1_PNSt15iterator_traitsISZ_E10value_typeET2_T3_PNS10_IS15_E10value_typeET4_jRbjT5_S1B_jjP12ihipStream_tbEUljE_ZNSN_ISO_Lb0ESQ_SR_SQ_SR_SV_EESW_SX_SY_SZ_S13_S14_S15_S18_S19_jS1A_jS1B_S1B_jjS1D_bEUljE0_EEESW_SX_SY_S15_S19_S1B_T6_T7_T9_mT8_S1D_bDpT10_ENKUlT_T0_E_clISt17integral_constantIbLb1EES1Q_IbLb0EEEEDaS1M_S1N_EUlS1M_E_NS1_11comp_targetILNS1_3genE5ELNS1_11target_archE942ELNS1_3gpuE9ELNS1_3repE0EEENS1_30default_config_static_selectorELNS0_4arch9wavefront6targetE0EEEvSZ_.kd
    .uniform_work_group_size: 1
    .uses_dynamic_stack: false
    .vgpr_count:     0
    .vgpr_spill_count: 0
    .wavefront_size: 32
  - .args:
      - .offset:         0
        .size:           176
        .value_kind:     by_value
    .group_segment_fixed_size: 0
    .kernarg_segment_align: 8
    .kernarg_segment_size: 176
    .language:       OpenCL C
    .language_version:
      - 2
      - 0
    .max_flat_workgroup_size: 256
    .name:           _ZN7rocprim17ROCPRIM_400000_NS6detail17trampoline_kernelINS0_13select_configILj256ELj13ELNS0_17block_load_methodE3ELS4_3ELS4_3ELNS0_20block_scan_algorithmE0ELj4294967295EEENS1_25partition_config_selectorILNS1_17partition_subalgoE4EjNS0_10empty_typeEbEEZZNS1_14partition_implILS8_4ELb0ES6_15HIP_vector_typeIjLj2EENS0_17counting_iteratorIjlEEPS9_SG_NS0_5tupleIJPjSI_NS0_16reverse_iteratorISI_EEEEENSH_IJSG_SG_SG_EEES9_SI_JZNS1_25segmented_radix_sort_implINS0_14default_configELb0EPKlPlSQ_SR_N2at6native12_GLOBAL__N_18offset_tEEE10hipError_tPvRmT1_PNSt15iterator_traitsISZ_E10value_typeET2_T3_PNS10_IS15_E10value_typeET4_jRbjT5_S1B_jjP12ihipStream_tbEUljE_ZNSN_ISO_Lb0ESQ_SR_SQ_SR_SV_EESW_SX_SY_SZ_S13_S14_S15_S18_S19_jS1A_jS1B_S1B_jjS1D_bEUljE0_EEESW_SX_SY_S15_S19_S1B_T6_T7_T9_mT8_S1D_bDpT10_ENKUlT_T0_E_clISt17integral_constantIbLb1EES1Q_IbLb0EEEEDaS1M_S1N_EUlS1M_E_NS1_11comp_targetILNS1_3genE4ELNS1_11target_archE910ELNS1_3gpuE8ELNS1_3repE0EEENS1_30default_config_static_selectorELNS0_4arch9wavefront6targetE0EEEvSZ_
    .private_segment_fixed_size: 0
    .sgpr_count:     0
    .sgpr_spill_count: 0
    .symbol:         _ZN7rocprim17ROCPRIM_400000_NS6detail17trampoline_kernelINS0_13select_configILj256ELj13ELNS0_17block_load_methodE3ELS4_3ELS4_3ELNS0_20block_scan_algorithmE0ELj4294967295EEENS1_25partition_config_selectorILNS1_17partition_subalgoE4EjNS0_10empty_typeEbEEZZNS1_14partition_implILS8_4ELb0ES6_15HIP_vector_typeIjLj2EENS0_17counting_iteratorIjlEEPS9_SG_NS0_5tupleIJPjSI_NS0_16reverse_iteratorISI_EEEEENSH_IJSG_SG_SG_EEES9_SI_JZNS1_25segmented_radix_sort_implINS0_14default_configELb0EPKlPlSQ_SR_N2at6native12_GLOBAL__N_18offset_tEEE10hipError_tPvRmT1_PNSt15iterator_traitsISZ_E10value_typeET2_T3_PNS10_IS15_E10value_typeET4_jRbjT5_S1B_jjP12ihipStream_tbEUljE_ZNSN_ISO_Lb0ESQ_SR_SQ_SR_SV_EESW_SX_SY_SZ_S13_S14_S15_S18_S19_jS1A_jS1B_S1B_jjS1D_bEUljE0_EEESW_SX_SY_S15_S19_S1B_T6_T7_T9_mT8_S1D_bDpT10_ENKUlT_T0_E_clISt17integral_constantIbLb1EES1Q_IbLb0EEEEDaS1M_S1N_EUlS1M_E_NS1_11comp_targetILNS1_3genE4ELNS1_11target_archE910ELNS1_3gpuE8ELNS1_3repE0EEENS1_30default_config_static_selectorELNS0_4arch9wavefront6targetE0EEEvSZ_.kd
    .uniform_work_group_size: 1
    .uses_dynamic_stack: false
    .vgpr_count:     0
    .vgpr_spill_count: 0
    .wavefront_size: 32
  - .args:
      - .offset:         0
        .size:           176
        .value_kind:     by_value
    .group_segment_fixed_size: 0
    .kernarg_segment_align: 8
    .kernarg_segment_size: 176
    .language:       OpenCL C
    .language_version:
      - 2
      - 0
    .max_flat_workgroup_size: 256
    .name:           _ZN7rocprim17ROCPRIM_400000_NS6detail17trampoline_kernelINS0_13select_configILj256ELj13ELNS0_17block_load_methodE3ELS4_3ELS4_3ELNS0_20block_scan_algorithmE0ELj4294967295EEENS1_25partition_config_selectorILNS1_17partition_subalgoE4EjNS0_10empty_typeEbEEZZNS1_14partition_implILS8_4ELb0ES6_15HIP_vector_typeIjLj2EENS0_17counting_iteratorIjlEEPS9_SG_NS0_5tupleIJPjSI_NS0_16reverse_iteratorISI_EEEEENSH_IJSG_SG_SG_EEES9_SI_JZNS1_25segmented_radix_sort_implINS0_14default_configELb0EPKlPlSQ_SR_N2at6native12_GLOBAL__N_18offset_tEEE10hipError_tPvRmT1_PNSt15iterator_traitsISZ_E10value_typeET2_T3_PNS10_IS15_E10value_typeET4_jRbjT5_S1B_jjP12ihipStream_tbEUljE_ZNSN_ISO_Lb0ESQ_SR_SQ_SR_SV_EESW_SX_SY_SZ_S13_S14_S15_S18_S19_jS1A_jS1B_S1B_jjS1D_bEUljE0_EEESW_SX_SY_S15_S19_S1B_T6_T7_T9_mT8_S1D_bDpT10_ENKUlT_T0_E_clISt17integral_constantIbLb1EES1Q_IbLb0EEEEDaS1M_S1N_EUlS1M_E_NS1_11comp_targetILNS1_3genE3ELNS1_11target_archE908ELNS1_3gpuE7ELNS1_3repE0EEENS1_30default_config_static_selectorELNS0_4arch9wavefront6targetE0EEEvSZ_
    .private_segment_fixed_size: 0
    .sgpr_count:     0
    .sgpr_spill_count: 0
    .symbol:         _ZN7rocprim17ROCPRIM_400000_NS6detail17trampoline_kernelINS0_13select_configILj256ELj13ELNS0_17block_load_methodE3ELS4_3ELS4_3ELNS0_20block_scan_algorithmE0ELj4294967295EEENS1_25partition_config_selectorILNS1_17partition_subalgoE4EjNS0_10empty_typeEbEEZZNS1_14partition_implILS8_4ELb0ES6_15HIP_vector_typeIjLj2EENS0_17counting_iteratorIjlEEPS9_SG_NS0_5tupleIJPjSI_NS0_16reverse_iteratorISI_EEEEENSH_IJSG_SG_SG_EEES9_SI_JZNS1_25segmented_radix_sort_implINS0_14default_configELb0EPKlPlSQ_SR_N2at6native12_GLOBAL__N_18offset_tEEE10hipError_tPvRmT1_PNSt15iterator_traitsISZ_E10value_typeET2_T3_PNS10_IS15_E10value_typeET4_jRbjT5_S1B_jjP12ihipStream_tbEUljE_ZNSN_ISO_Lb0ESQ_SR_SQ_SR_SV_EESW_SX_SY_SZ_S13_S14_S15_S18_S19_jS1A_jS1B_S1B_jjS1D_bEUljE0_EEESW_SX_SY_S15_S19_S1B_T6_T7_T9_mT8_S1D_bDpT10_ENKUlT_T0_E_clISt17integral_constantIbLb1EES1Q_IbLb0EEEEDaS1M_S1N_EUlS1M_E_NS1_11comp_targetILNS1_3genE3ELNS1_11target_archE908ELNS1_3gpuE7ELNS1_3repE0EEENS1_30default_config_static_selectorELNS0_4arch9wavefront6targetE0EEEvSZ_.kd
    .uniform_work_group_size: 1
    .uses_dynamic_stack: false
    .vgpr_count:     0
    .vgpr_spill_count: 0
    .wavefront_size: 32
  - .args:
      - .offset:         0
        .size:           176
        .value_kind:     by_value
    .group_segment_fixed_size: 0
    .kernarg_segment_align: 8
    .kernarg_segment_size: 176
    .language:       OpenCL C
    .language_version:
      - 2
      - 0
    .max_flat_workgroup_size: 256
    .name:           _ZN7rocprim17ROCPRIM_400000_NS6detail17trampoline_kernelINS0_13select_configILj256ELj13ELNS0_17block_load_methodE3ELS4_3ELS4_3ELNS0_20block_scan_algorithmE0ELj4294967295EEENS1_25partition_config_selectorILNS1_17partition_subalgoE4EjNS0_10empty_typeEbEEZZNS1_14partition_implILS8_4ELb0ES6_15HIP_vector_typeIjLj2EENS0_17counting_iteratorIjlEEPS9_SG_NS0_5tupleIJPjSI_NS0_16reverse_iteratorISI_EEEEENSH_IJSG_SG_SG_EEES9_SI_JZNS1_25segmented_radix_sort_implINS0_14default_configELb0EPKlPlSQ_SR_N2at6native12_GLOBAL__N_18offset_tEEE10hipError_tPvRmT1_PNSt15iterator_traitsISZ_E10value_typeET2_T3_PNS10_IS15_E10value_typeET4_jRbjT5_S1B_jjP12ihipStream_tbEUljE_ZNSN_ISO_Lb0ESQ_SR_SQ_SR_SV_EESW_SX_SY_SZ_S13_S14_S15_S18_S19_jS1A_jS1B_S1B_jjS1D_bEUljE0_EEESW_SX_SY_S15_S19_S1B_T6_T7_T9_mT8_S1D_bDpT10_ENKUlT_T0_E_clISt17integral_constantIbLb1EES1Q_IbLb0EEEEDaS1M_S1N_EUlS1M_E_NS1_11comp_targetILNS1_3genE2ELNS1_11target_archE906ELNS1_3gpuE6ELNS1_3repE0EEENS1_30default_config_static_selectorELNS0_4arch9wavefront6targetE0EEEvSZ_
    .private_segment_fixed_size: 0
    .sgpr_count:     0
    .sgpr_spill_count: 0
    .symbol:         _ZN7rocprim17ROCPRIM_400000_NS6detail17trampoline_kernelINS0_13select_configILj256ELj13ELNS0_17block_load_methodE3ELS4_3ELS4_3ELNS0_20block_scan_algorithmE0ELj4294967295EEENS1_25partition_config_selectorILNS1_17partition_subalgoE4EjNS0_10empty_typeEbEEZZNS1_14partition_implILS8_4ELb0ES6_15HIP_vector_typeIjLj2EENS0_17counting_iteratorIjlEEPS9_SG_NS0_5tupleIJPjSI_NS0_16reverse_iteratorISI_EEEEENSH_IJSG_SG_SG_EEES9_SI_JZNS1_25segmented_radix_sort_implINS0_14default_configELb0EPKlPlSQ_SR_N2at6native12_GLOBAL__N_18offset_tEEE10hipError_tPvRmT1_PNSt15iterator_traitsISZ_E10value_typeET2_T3_PNS10_IS15_E10value_typeET4_jRbjT5_S1B_jjP12ihipStream_tbEUljE_ZNSN_ISO_Lb0ESQ_SR_SQ_SR_SV_EESW_SX_SY_SZ_S13_S14_S15_S18_S19_jS1A_jS1B_S1B_jjS1D_bEUljE0_EEESW_SX_SY_S15_S19_S1B_T6_T7_T9_mT8_S1D_bDpT10_ENKUlT_T0_E_clISt17integral_constantIbLb1EES1Q_IbLb0EEEEDaS1M_S1N_EUlS1M_E_NS1_11comp_targetILNS1_3genE2ELNS1_11target_archE906ELNS1_3gpuE6ELNS1_3repE0EEENS1_30default_config_static_selectorELNS0_4arch9wavefront6targetE0EEEvSZ_.kd
    .uniform_work_group_size: 1
    .uses_dynamic_stack: false
    .vgpr_count:     0
    .vgpr_spill_count: 0
    .wavefront_size: 32
  - .args:
      - .offset:         0
        .size:           176
        .value_kind:     by_value
    .group_segment_fixed_size: 0
    .kernarg_segment_align: 8
    .kernarg_segment_size: 176
    .language:       OpenCL C
    .language_version:
      - 2
      - 0
    .max_flat_workgroup_size: 256
    .name:           _ZN7rocprim17ROCPRIM_400000_NS6detail17trampoline_kernelINS0_13select_configILj256ELj13ELNS0_17block_load_methodE3ELS4_3ELS4_3ELNS0_20block_scan_algorithmE0ELj4294967295EEENS1_25partition_config_selectorILNS1_17partition_subalgoE4EjNS0_10empty_typeEbEEZZNS1_14partition_implILS8_4ELb0ES6_15HIP_vector_typeIjLj2EENS0_17counting_iteratorIjlEEPS9_SG_NS0_5tupleIJPjSI_NS0_16reverse_iteratorISI_EEEEENSH_IJSG_SG_SG_EEES9_SI_JZNS1_25segmented_radix_sort_implINS0_14default_configELb0EPKlPlSQ_SR_N2at6native12_GLOBAL__N_18offset_tEEE10hipError_tPvRmT1_PNSt15iterator_traitsISZ_E10value_typeET2_T3_PNS10_IS15_E10value_typeET4_jRbjT5_S1B_jjP12ihipStream_tbEUljE_ZNSN_ISO_Lb0ESQ_SR_SQ_SR_SV_EESW_SX_SY_SZ_S13_S14_S15_S18_S19_jS1A_jS1B_S1B_jjS1D_bEUljE0_EEESW_SX_SY_S15_S19_S1B_T6_T7_T9_mT8_S1D_bDpT10_ENKUlT_T0_E_clISt17integral_constantIbLb1EES1Q_IbLb0EEEEDaS1M_S1N_EUlS1M_E_NS1_11comp_targetILNS1_3genE10ELNS1_11target_archE1200ELNS1_3gpuE4ELNS1_3repE0EEENS1_30default_config_static_selectorELNS0_4arch9wavefront6targetE0EEEvSZ_
    .private_segment_fixed_size: 0
    .sgpr_count:     0
    .sgpr_spill_count: 0
    .symbol:         _ZN7rocprim17ROCPRIM_400000_NS6detail17trampoline_kernelINS0_13select_configILj256ELj13ELNS0_17block_load_methodE3ELS4_3ELS4_3ELNS0_20block_scan_algorithmE0ELj4294967295EEENS1_25partition_config_selectorILNS1_17partition_subalgoE4EjNS0_10empty_typeEbEEZZNS1_14partition_implILS8_4ELb0ES6_15HIP_vector_typeIjLj2EENS0_17counting_iteratorIjlEEPS9_SG_NS0_5tupleIJPjSI_NS0_16reverse_iteratorISI_EEEEENSH_IJSG_SG_SG_EEES9_SI_JZNS1_25segmented_radix_sort_implINS0_14default_configELb0EPKlPlSQ_SR_N2at6native12_GLOBAL__N_18offset_tEEE10hipError_tPvRmT1_PNSt15iterator_traitsISZ_E10value_typeET2_T3_PNS10_IS15_E10value_typeET4_jRbjT5_S1B_jjP12ihipStream_tbEUljE_ZNSN_ISO_Lb0ESQ_SR_SQ_SR_SV_EESW_SX_SY_SZ_S13_S14_S15_S18_S19_jS1A_jS1B_S1B_jjS1D_bEUljE0_EEESW_SX_SY_S15_S19_S1B_T6_T7_T9_mT8_S1D_bDpT10_ENKUlT_T0_E_clISt17integral_constantIbLb1EES1Q_IbLb0EEEEDaS1M_S1N_EUlS1M_E_NS1_11comp_targetILNS1_3genE10ELNS1_11target_archE1200ELNS1_3gpuE4ELNS1_3repE0EEENS1_30default_config_static_selectorELNS0_4arch9wavefront6targetE0EEEvSZ_.kd
    .uniform_work_group_size: 1
    .uses_dynamic_stack: false
    .vgpr_count:     0
    .vgpr_spill_count: 0
    .wavefront_size: 32
  - .args:
      - .offset:         0
        .size:           176
        .value_kind:     by_value
    .group_segment_fixed_size: 0
    .kernarg_segment_align: 8
    .kernarg_segment_size: 176
    .language:       OpenCL C
    .language_version:
      - 2
      - 0
    .max_flat_workgroup_size: 256
    .name:           _ZN7rocprim17ROCPRIM_400000_NS6detail17trampoline_kernelINS0_13select_configILj256ELj13ELNS0_17block_load_methodE3ELS4_3ELS4_3ELNS0_20block_scan_algorithmE0ELj4294967295EEENS1_25partition_config_selectorILNS1_17partition_subalgoE4EjNS0_10empty_typeEbEEZZNS1_14partition_implILS8_4ELb0ES6_15HIP_vector_typeIjLj2EENS0_17counting_iteratorIjlEEPS9_SG_NS0_5tupleIJPjSI_NS0_16reverse_iteratorISI_EEEEENSH_IJSG_SG_SG_EEES9_SI_JZNS1_25segmented_radix_sort_implINS0_14default_configELb0EPKlPlSQ_SR_N2at6native12_GLOBAL__N_18offset_tEEE10hipError_tPvRmT1_PNSt15iterator_traitsISZ_E10value_typeET2_T3_PNS10_IS15_E10value_typeET4_jRbjT5_S1B_jjP12ihipStream_tbEUljE_ZNSN_ISO_Lb0ESQ_SR_SQ_SR_SV_EESW_SX_SY_SZ_S13_S14_S15_S18_S19_jS1A_jS1B_S1B_jjS1D_bEUljE0_EEESW_SX_SY_S15_S19_S1B_T6_T7_T9_mT8_S1D_bDpT10_ENKUlT_T0_E_clISt17integral_constantIbLb1EES1Q_IbLb0EEEEDaS1M_S1N_EUlS1M_E_NS1_11comp_targetILNS1_3genE9ELNS1_11target_archE1100ELNS1_3gpuE3ELNS1_3repE0EEENS1_30default_config_static_selectorELNS0_4arch9wavefront6targetE0EEEvSZ_
    .private_segment_fixed_size: 0
    .sgpr_count:     0
    .sgpr_spill_count: 0
    .symbol:         _ZN7rocprim17ROCPRIM_400000_NS6detail17trampoline_kernelINS0_13select_configILj256ELj13ELNS0_17block_load_methodE3ELS4_3ELS4_3ELNS0_20block_scan_algorithmE0ELj4294967295EEENS1_25partition_config_selectorILNS1_17partition_subalgoE4EjNS0_10empty_typeEbEEZZNS1_14partition_implILS8_4ELb0ES6_15HIP_vector_typeIjLj2EENS0_17counting_iteratorIjlEEPS9_SG_NS0_5tupleIJPjSI_NS0_16reverse_iteratorISI_EEEEENSH_IJSG_SG_SG_EEES9_SI_JZNS1_25segmented_radix_sort_implINS0_14default_configELb0EPKlPlSQ_SR_N2at6native12_GLOBAL__N_18offset_tEEE10hipError_tPvRmT1_PNSt15iterator_traitsISZ_E10value_typeET2_T3_PNS10_IS15_E10value_typeET4_jRbjT5_S1B_jjP12ihipStream_tbEUljE_ZNSN_ISO_Lb0ESQ_SR_SQ_SR_SV_EESW_SX_SY_SZ_S13_S14_S15_S18_S19_jS1A_jS1B_S1B_jjS1D_bEUljE0_EEESW_SX_SY_S15_S19_S1B_T6_T7_T9_mT8_S1D_bDpT10_ENKUlT_T0_E_clISt17integral_constantIbLb1EES1Q_IbLb0EEEEDaS1M_S1N_EUlS1M_E_NS1_11comp_targetILNS1_3genE9ELNS1_11target_archE1100ELNS1_3gpuE3ELNS1_3repE0EEENS1_30default_config_static_selectorELNS0_4arch9wavefront6targetE0EEEvSZ_.kd
    .uniform_work_group_size: 1
    .uses_dynamic_stack: false
    .vgpr_count:     0
    .vgpr_spill_count: 0
    .wavefront_size: 32
  - .args:
      - .offset:         0
        .size:           176
        .value_kind:     by_value
    .group_segment_fixed_size: 0
    .kernarg_segment_align: 8
    .kernarg_segment_size: 176
    .language:       OpenCL C
    .language_version:
      - 2
      - 0
    .max_flat_workgroup_size: 256
    .name:           _ZN7rocprim17ROCPRIM_400000_NS6detail17trampoline_kernelINS0_13select_configILj256ELj13ELNS0_17block_load_methodE3ELS4_3ELS4_3ELNS0_20block_scan_algorithmE0ELj4294967295EEENS1_25partition_config_selectorILNS1_17partition_subalgoE4EjNS0_10empty_typeEbEEZZNS1_14partition_implILS8_4ELb0ES6_15HIP_vector_typeIjLj2EENS0_17counting_iteratorIjlEEPS9_SG_NS0_5tupleIJPjSI_NS0_16reverse_iteratorISI_EEEEENSH_IJSG_SG_SG_EEES9_SI_JZNS1_25segmented_radix_sort_implINS0_14default_configELb0EPKlPlSQ_SR_N2at6native12_GLOBAL__N_18offset_tEEE10hipError_tPvRmT1_PNSt15iterator_traitsISZ_E10value_typeET2_T3_PNS10_IS15_E10value_typeET4_jRbjT5_S1B_jjP12ihipStream_tbEUljE_ZNSN_ISO_Lb0ESQ_SR_SQ_SR_SV_EESW_SX_SY_SZ_S13_S14_S15_S18_S19_jS1A_jS1B_S1B_jjS1D_bEUljE0_EEESW_SX_SY_S15_S19_S1B_T6_T7_T9_mT8_S1D_bDpT10_ENKUlT_T0_E_clISt17integral_constantIbLb1EES1Q_IbLb0EEEEDaS1M_S1N_EUlS1M_E_NS1_11comp_targetILNS1_3genE8ELNS1_11target_archE1030ELNS1_3gpuE2ELNS1_3repE0EEENS1_30default_config_static_selectorELNS0_4arch9wavefront6targetE0EEEvSZ_
    .private_segment_fixed_size: 0
    .sgpr_count:     0
    .sgpr_spill_count: 0
    .symbol:         _ZN7rocprim17ROCPRIM_400000_NS6detail17trampoline_kernelINS0_13select_configILj256ELj13ELNS0_17block_load_methodE3ELS4_3ELS4_3ELNS0_20block_scan_algorithmE0ELj4294967295EEENS1_25partition_config_selectorILNS1_17partition_subalgoE4EjNS0_10empty_typeEbEEZZNS1_14partition_implILS8_4ELb0ES6_15HIP_vector_typeIjLj2EENS0_17counting_iteratorIjlEEPS9_SG_NS0_5tupleIJPjSI_NS0_16reverse_iteratorISI_EEEEENSH_IJSG_SG_SG_EEES9_SI_JZNS1_25segmented_radix_sort_implINS0_14default_configELb0EPKlPlSQ_SR_N2at6native12_GLOBAL__N_18offset_tEEE10hipError_tPvRmT1_PNSt15iterator_traitsISZ_E10value_typeET2_T3_PNS10_IS15_E10value_typeET4_jRbjT5_S1B_jjP12ihipStream_tbEUljE_ZNSN_ISO_Lb0ESQ_SR_SQ_SR_SV_EESW_SX_SY_SZ_S13_S14_S15_S18_S19_jS1A_jS1B_S1B_jjS1D_bEUljE0_EEESW_SX_SY_S15_S19_S1B_T6_T7_T9_mT8_S1D_bDpT10_ENKUlT_T0_E_clISt17integral_constantIbLb1EES1Q_IbLb0EEEEDaS1M_S1N_EUlS1M_E_NS1_11comp_targetILNS1_3genE8ELNS1_11target_archE1030ELNS1_3gpuE2ELNS1_3repE0EEENS1_30default_config_static_selectorELNS0_4arch9wavefront6targetE0EEEvSZ_.kd
    .uniform_work_group_size: 1
    .uses_dynamic_stack: false
    .vgpr_count:     0
    .vgpr_spill_count: 0
    .wavefront_size: 32
  - .args:
      - .offset:         0
        .size:           184
        .value_kind:     by_value
    .group_segment_fixed_size: 13328
    .kernarg_segment_align: 8
    .kernarg_segment_size: 184
    .language:       OpenCL C
    .language_version:
      - 2
      - 0
    .max_flat_workgroup_size: 256
    .name:           _ZN7rocprim17ROCPRIM_400000_NS6detail17trampoline_kernelINS0_13select_configILj256ELj13ELNS0_17block_load_methodE3ELS4_3ELS4_3ELNS0_20block_scan_algorithmE0ELj4294967295EEENS1_25partition_config_selectorILNS1_17partition_subalgoE4EjNS0_10empty_typeEbEEZZNS1_14partition_implILS8_4ELb0ES6_15HIP_vector_typeIjLj2EENS0_17counting_iteratorIjlEEPS9_SG_NS0_5tupleIJPjSI_NS0_16reverse_iteratorISI_EEEEENSH_IJSG_SG_SG_EEES9_SI_JZNS1_25segmented_radix_sort_implINS0_14default_configELb0EPKlPlSQ_SR_N2at6native12_GLOBAL__N_18offset_tEEE10hipError_tPvRmT1_PNSt15iterator_traitsISZ_E10value_typeET2_T3_PNS10_IS15_E10value_typeET4_jRbjT5_S1B_jjP12ihipStream_tbEUljE_ZNSN_ISO_Lb0ESQ_SR_SQ_SR_SV_EESW_SX_SY_SZ_S13_S14_S15_S18_S19_jS1A_jS1B_S1B_jjS1D_bEUljE0_EEESW_SX_SY_S15_S19_S1B_T6_T7_T9_mT8_S1D_bDpT10_ENKUlT_T0_E_clISt17integral_constantIbLb0EES1Q_IbLb1EEEEDaS1M_S1N_EUlS1M_E_NS1_11comp_targetILNS1_3genE0ELNS1_11target_archE4294967295ELNS1_3gpuE0ELNS1_3repE0EEENS1_30default_config_static_selectorELNS0_4arch9wavefront6targetE0EEEvSZ_
    .private_segment_fixed_size: 0
    .sgpr_count:     57
    .sgpr_spill_count: 0
    .symbol:         _ZN7rocprim17ROCPRIM_400000_NS6detail17trampoline_kernelINS0_13select_configILj256ELj13ELNS0_17block_load_methodE3ELS4_3ELS4_3ELNS0_20block_scan_algorithmE0ELj4294967295EEENS1_25partition_config_selectorILNS1_17partition_subalgoE4EjNS0_10empty_typeEbEEZZNS1_14partition_implILS8_4ELb0ES6_15HIP_vector_typeIjLj2EENS0_17counting_iteratorIjlEEPS9_SG_NS0_5tupleIJPjSI_NS0_16reverse_iteratorISI_EEEEENSH_IJSG_SG_SG_EEES9_SI_JZNS1_25segmented_radix_sort_implINS0_14default_configELb0EPKlPlSQ_SR_N2at6native12_GLOBAL__N_18offset_tEEE10hipError_tPvRmT1_PNSt15iterator_traitsISZ_E10value_typeET2_T3_PNS10_IS15_E10value_typeET4_jRbjT5_S1B_jjP12ihipStream_tbEUljE_ZNSN_ISO_Lb0ESQ_SR_SQ_SR_SV_EESW_SX_SY_SZ_S13_S14_S15_S18_S19_jS1A_jS1B_S1B_jjS1D_bEUljE0_EEESW_SX_SY_S15_S19_S1B_T6_T7_T9_mT8_S1D_bDpT10_ENKUlT_T0_E_clISt17integral_constantIbLb0EES1Q_IbLb1EEEEDaS1M_S1N_EUlS1M_E_NS1_11comp_targetILNS1_3genE0ELNS1_11target_archE4294967295ELNS1_3gpuE0ELNS1_3repE0EEENS1_30default_config_static_selectorELNS0_4arch9wavefront6targetE0EEEvSZ_.kd
    .uniform_work_group_size: 1
    .uses_dynamic_stack: false
    .vgpr_count:     86
    .vgpr_spill_count: 0
    .wavefront_size: 32
  - .args:
      - .offset:         0
        .size:           184
        .value_kind:     by_value
    .group_segment_fixed_size: 0
    .kernarg_segment_align: 8
    .kernarg_segment_size: 184
    .language:       OpenCL C
    .language_version:
      - 2
      - 0
    .max_flat_workgroup_size: 256
    .name:           _ZN7rocprim17ROCPRIM_400000_NS6detail17trampoline_kernelINS0_13select_configILj256ELj13ELNS0_17block_load_methodE3ELS4_3ELS4_3ELNS0_20block_scan_algorithmE0ELj4294967295EEENS1_25partition_config_selectorILNS1_17partition_subalgoE4EjNS0_10empty_typeEbEEZZNS1_14partition_implILS8_4ELb0ES6_15HIP_vector_typeIjLj2EENS0_17counting_iteratorIjlEEPS9_SG_NS0_5tupleIJPjSI_NS0_16reverse_iteratorISI_EEEEENSH_IJSG_SG_SG_EEES9_SI_JZNS1_25segmented_radix_sort_implINS0_14default_configELb0EPKlPlSQ_SR_N2at6native12_GLOBAL__N_18offset_tEEE10hipError_tPvRmT1_PNSt15iterator_traitsISZ_E10value_typeET2_T3_PNS10_IS15_E10value_typeET4_jRbjT5_S1B_jjP12ihipStream_tbEUljE_ZNSN_ISO_Lb0ESQ_SR_SQ_SR_SV_EESW_SX_SY_SZ_S13_S14_S15_S18_S19_jS1A_jS1B_S1B_jjS1D_bEUljE0_EEESW_SX_SY_S15_S19_S1B_T6_T7_T9_mT8_S1D_bDpT10_ENKUlT_T0_E_clISt17integral_constantIbLb0EES1Q_IbLb1EEEEDaS1M_S1N_EUlS1M_E_NS1_11comp_targetILNS1_3genE5ELNS1_11target_archE942ELNS1_3gpuE9ELNS1_3repE0EEENS1_30default_config_static_selectorELNS0_4arch9wavefront6targetE0EEEvSZ_
    .private_segment_fixed_size: 0
    .sgpr_count:     0
    .sgpr_spill_count: 0
    .symbol:         _ZN7rocprim17ROCPRIM_400000_NS6detail17trampoline_kernelINS0_13select_configILj256ELj13ELNS0_17block_load_methodE3ELS4_3ELS4_3ELNS0_20block_scan_algorithmE0ELj4294967295EEENS1_25partition_config_selectorILNS1_17partition_subalgoE4EjNS0_10empty_typeEbEEZZNS1_14partition_implILS8_4ELb0ES6_15HIP_vector_typeIjLj2EENS0_17counting_iteratorIjlEEPS9_SG_NS0_5tupleIJPjSI_NS0_16reverse_iteratorISI_EEEEENSH_IJSG_SG_SG_EEES9_SI_JZNS1_25segmented_radix_sort_implINS0_14default_configELb0EPKlPlSQ_SR_N2at6native12_GLOBAL__N_18offset_tEEE10hipError_tPvRmT1_PNSt15iterator_traitsISZ_E10value_typeET2_T3_PNS10_IS15_E10value_typeET4_jRbjT5_S1B_jjP12ihipStream_tbEUljE_ZNSN_ISO_Lb0ESQ_SR_SQ_SR_SV_EESW_SX_SY_SZ_S13_S14_S15_S18_S19_jS1A_jS1B_S1B_jjS1D_bEUljE0_EEESW_SX_SY_S15_S19_S1B_T6_T7_T9_mT8_S1D_bDpT10_ENKUlT_T0_E_clISt17integral_constantIbLb0EES1Q_IbLb1EEEEDaS1M_S1N_EUlS1M_E_NS1_11comp_targetILNS1_3genE5ELNS1_11target_archE942ELNS1_3gpuE9ELNS1_3repE0EEENS1_30default_config_static_selectorELNS0_4arch9wavefront6targetE0EEEvSZ_.kd
    .uniform_work_group_size: 1
    .uses_dynamic_stack: false
    .vgpr_count:     0
    .vgpr_spill_count: 0
    .wavefront_size: 32
  - .args:
      - .offset:         0
        .size:           184
        .value_kind:     by_value
    .group_segment_fixed_size: 0
    .kernarg_segment_align: 8
    .kernarg_segment_size: 184
    .language:       OpenCL C
    .language_version:
      - 2
      - 0
    .max_flat_workgroup_size: 256
    .name:           _ZN7rocprim17ROCPRIM_400000_NS6detail17trampoline_kernelINS0_13select_configILj256ELj13ELNS0_17block_load_methodE3ELS4_3ELS4_3ELNS0_20block_scan_algorithmE0ELj4294967295EEENS1_25partition_config_selectorILNS1_17partition_subalgoE4EjNS0_10empty_typeEbEEZZNS1_14partition_implILS8_4ELb0ES6_15HIP_vector_typeIjLj2EENS0_17counting_iteratorIjlEEPS9_SG_NS0_5tupleIJPjSI_NS0_16reverse_iteratorISI_EEEEENSH_IJSG_SG_SG_EEES9_SI_JZNS1_25segmented_radix_sort_implINS0_14default_configELb0EPKlPlSQ_SR_N2at6native12_GLOBAL__N_18offset_tEEE10hipError_tPvRmT1_PNSt15iterator_traitsISZ_E10value_typeET2_T3_PNS10_IS15_E10value_typeET4_jRbjT5_S1B_jjP12ihipStream_tbEUljE_ZNSN_ISO_Lb0ESQ_SR_SQ_SR_SV_EESW_SX_SY_SZ_S13_S14_S15_S18_S19_jS1A_jS1B_S1B_jjS1D_bEUljE0_EEESW_SX_SY_S15_S19_S1B_T6_T7_T9_mT8_S1D_bDpT10_ENKUlT_T0_E_clISt17integral_constantIbLb0EES1Q_IbLb1EEEEDaS1M_S1N_EUlS1M_E_NS1_11comp_targetILNS1_3genE4ELNS1_11target_archE910ELNS1_3gpuE8ELNS1_3repE0EEENS1_30default_config_static_selectorELNS0_4arch9wavefront6targetE0EEEvSZ_
    .private_segment_fixed_size: 0
    .sgpr_count:     0
    .sgpr_spill_count: 0
    .symbol:         _ZN7rocprim17ROCPRIM_400000_NS6detail17trampoline_kernelINS0_13select_configILj256ELj13ELNS0_17block_load_methodE3ELS4_3ELS4_3ELNS0_20block_scan_algorithmE0ELj4294967295EEENS1_25partition_config_selectorILNS1_17partition_subalgoE4EjNS0_10empty_typeEbEEZZNS1_14partition_implILS8_4ELb0ES6_15HIP_vector_typeIjLj2EENS0_17counting_iteratorIjlEEPS9_SG_NS0_5tupleIJPjSI_NS0_16reverse_iteratorISI_EEEEENSH_IJSG_SG_SG_EEES9_SI_JZNS1_25segmented_radix_sort_implINS0_14default_configELb0EPKlPlSQ_SR_N2at6native12_GLOBAL__N_18offset_tEEE10hipError_tPvRmT1_PNSt15iterator_traitsISZ_E10value_typeET2_T3_PNS10_IS15_E10value_typeET4_jRbjT5_S1B_jjP12ihipStream_tbEUljE_ZNSN_ISO_Lb0ESQ_SR_SQ_SR_SV_EESW_SX_SY_SZ_S13_S14_S15_S18_S19_jS1A_jS1B_S1B_jjS1D_bEUljE0_EEESW_SX_SY_S15_S19_S1B_T6_T7_T9_mT8_S1D_bDpT10_ENKUlT_T0_E_clISt17integral_constantIbLb0EES1Q_IbLb1EEEEDaS1M_S1N_EUlS1M_E_NS1_11comp_targetILNS1_3genE4ELNS1_11target_archE910ELNS1_3gpuE8ELNS1_3repE0EEENS1_30default_config_static_selectorELNS0_4arch9wavefront6targetE0EEEvSZ_.kd
    .uniform_work_group_size: 1
    .uses_dynamic_stack: false
    .vgpr_count:     0
    .vgpr_spill_count: 0
    .wavefront_size: 32
  - .args:
      - .offset:         0
        .size:           184
        .value_kind:     by_value
    .group_segment_fixed_size: 0
    .kernarg_segment_align: 8
    .kernarg_segment_size: 184
    .language:       OpenCL C
    .language_version:
      - 2
      - 0
    .max_flat_workgroup_size: 256
    .name:           _ZN7rocprim17ROCPRIM_400000_NS6detail17trampoline_kernelINS0_13select_configILj256ELj13ELNS0_17block_load_methodE3ELS4_3ELS4_3ELNS0_20block_scan_algorithmE0ELj4294967295EEENS1_25partition_config_selectorILNS1_17partition_subalgoE4EjNS0_10empty_typeEbEEZZNS1_14partition_implILS8_4ELb0ES6_15HIP_vector_typeIjLj2EENS0_17counting_iteratorIjlEEPS9_SG_NS0_5tupleIJPjSI_NS0_16reverse_iteratorISI_EEEEENSH_IJSG_SG_SG_EEES9_SI_JZNS1_25segmented_radix_sort_implINS0_14default_configELb0EPKlPlSQ_SR_N2at6native12_GLOBAL__N_18offset_tEEE10hipError_tPvRmT1_PNSt15iterator_traitsISZ_E10value_typeET2_T3_PNS10_IS15_E10value_typeET4_jRbjT5_S1B_jjP12ihipStream_tbEUljE_ZNSN_ISO_Lb0ESQ_SR_SQ_SR_SV_EESW_SX_SY_SZ_S13_S14_S15_S18_S19_jS1A_jS1B_S1B_jjS1D_bEUljE0_EEESW_SX_SY_S15_S19_S1B_T6_T7_T9_mT8_S1D_bDpT10_ENKUlT_T0_E_clISt17integral_constantIbLb0EES1Q_IbLb1EEEEDaS1M_S1N_EUlS1M_E_NS1_11comp_targetILNS1_3genE3ELNS1_11target_archE908ELNS1_3gpuE7ELNS1_3repE0EEENS1_30default_config_static_selectorELNS0_4arch9wavefront6targetE0EEEvSZ_
    .private_segment_fixed_size: 0
    .sgpr_count:     0
    .sgpr_spill_count: 0
    .symbol:         _ZN7rocprim17ROCPRIM_400000_NS6detail17trampoline_kernelINS0_13select_configILj256ELj13ELNS0_17block_load_methodE3ELS4_3ELS4_3ELNS0_20block_scan_algorithmE0ELj4294967295EEENS1_25partition_config_selectorILNS1_17partition_subalgoE4EjNS0_10empty_typeEbEEZZNS1_14partition_implILS8_4ELb0ES6_15HIP_vector_typeIjLj2EENS0_17counting_iteratorIjlEEPS9_SG_NS0_5tupleIJPjSI_NS0_16reverse_iteratorISI_EEEEENSH_IJSG_SG_SG_EEES9_SI_JZNS1_25segmented_radix_sort_implINS0_14default_configELb0EPKlPlSQ_SR_N2at6native12_GLOBAL__N_18offset_tEEE10hipError_tPvRmT1_PNSt15iterator_traitsISZ_E10value_typeET2_T3_PNS10_IS15_E10value_typeET4_jRbjT5_S1B_jjP12ihipStream_tbEUljE_ZNSN_ISO_Lb0ESQ_SR_SQ_SR_SV_EESW_SX_SY_SZ_S13_S14_S15_S18_S19_jS1A_jS1B_S1B_jjS1D_bEUljE0_EEESW_SX_SY_S15_S19_S1B_T6_T7_T9_mT8_S1D_bDpT10_ENKUlT_T0_E_clISt17integral_constantIbLb0EES1Q_IbLb1EEEEDaS1M_S1N_EUlS1M_E_NS1_11comp_targetILNS1_3genE3ELNS1_11target_archE908ELNS1_3gpuE7ELNS1_3repE0EEENS1_30default_config_static_selectorELNS0_4arch9wavefront6targetE0EEEvSZ_.kd
    .uniform_work_group_size: 1
    .uses_dynamic_stack: false
    .vgpr_count:     0
    .vgpr_spill_count: 0
    .wavefront_size: 32
  - .args:
      - .offset:         0
        .size:           184
        .value_kind:     by_value
    .group_segment_fixed_size: 0
    .kernarg_segment_align: 8
    .kernarg_segment_size: 184
    .language:       OpenCL C
    .language_version:
      - 2
      - 0
    .max_flat_workgroup_size: 256
    .name:           _ZN7rocprim17ROCPRIM_400000_NS6detail17trampoline_kernelINS0_13select_configILj256ELj13ELNS0_17block_load_methodE3ELS4_3ELS4_3ELNS0_20block_scan_algorithmE0ELj4294967295EEENS1_25partition_config_selectorILNS1_17partition_subalgoE4EjNS0_10empty_typeEbEEZZNS1_14partition_implILS8_4ELb0ES6_15HIP_vector_typeIjLj2EENS0_17counting_iteratorIjlEEPS9_SG_NS0_5tupleIJPjSI_NS0_16reverse_iteratorISI_EEEEENSH_IJSG_SG_SG_EEES9_SI_JZNS1_25segmented_radix_sort_implINS0_14default_configELb0EPKlPlSQ_SR_N2at6native12_GLOBAL__N_18offset_tEEE10hipError_tPvRmT1_PNSt15iterator_traitsISZ_E10value_typeET2_T3_PNS10_IS15_E10value_typeET4_jRbjT5_S1B_jjP12ihipStream_tbEUljE_ZNSN_ISO_Lb0ESQ_SR_SQ_SR_SV_EESW_SX_SY_SZ_S13_S14_S15_S18_S19_jS1A_jS1B_S1B_jjS1D_bEUljE0_EEESW_SX_SY_S15_S19_S1B_T6_T7_T9_mT8_S1D_bDpT10_ENKUlT_T0_E_clISt17integral_constantIbLb0EES1Q_IbLb1EEEEDaS1M_S1N_EUlS1M_E_NS1_11comp_targetILNS1_3genE2ELNS1_11target_archE906ELNS1_3gpuE6ELNS1_3repE0EEENS1_30default_config_static_selectorELNS0_4arch9wavefront6targetE0EEEvSZ_
    .private_segment_fixed_size: 0
    .sgpr_count:     0
    .sgpr_spill_count: 0
    .symbol:         _ZN7rocprim17ROCPRIM_400000_NS6detail17trampoline_kernelINS0_13select_configILj256ELj13ELNS0_17block_load_methodE3ELS4_3ELS4_3ELNS0_20block_scan_algorithmE0ELj4294967295EEENS1_25partition_config_selectorILNS1_17partition_subalgoE4EjNS0_10empty_typeEbEEZZNS1_14partition_implILS8_4ELb0ES6_15HIP_vector_typeIjLj2EENS0_17counting_iteratorIjlEEPS9_SG_NS0_5tupleIJPjSI_NS0_16reverse_iteratorISI_EEEEENSH_IJSG_SG_SG_EEES9_SI_JZNS1_25segmented_radix_sort_implINS0_14default_configELb0EPKlPlSQ_SR_N2at6native12_GLOBAL__N_18offset_tEEE10hipError_tPvRmT1_PNSt15iterator_traitsISZ_E10value_typeET2_T3_PNS10_IS15_E10value_typeET4_jRbjT5_S1B_jjP12ihipStream_tbEUljE_ZNSN_ISO_Lb0ESQ_SR_SQ_SR_SV_EESW_SX_SY_SZ_S13_S14_S15_S18_S19_jS1A_jS1B_S1B_jjS1D_bEUljE0_EEESW_SX_SY_S15_S19_S1B_T6_T7_T9_mT8_S1D_bDpT10_ENKUlT_T0_E_clISt17integral_constantIbLb0EES1Q_IbLb1EEEEDaS1M_S1N_EUlS1M_E_NS1_11comp_targetILNS1_3genE2ELNS1_11target_archE906ELNS1_3gpuE6ELNS1_3repE0EEENS1_30default_config_static_selectorELNS0_4arch9wavefront6targetE0EEEvSZ_.kd
    .uniform_work_group_size: 1
    .uses_dynamic_stack: false
    .vgpr_count:     0
    .vgpr_spill_count: 0
    .wavefront_size: 32
  - .args:
      - .offset:         0
        .size:           184
        .value_kind:     by_value
    .group_segment_fixed_size: 0
    .kernarg_segment_align: 8
    .kernarg_segment_size: 184
    .language:       OpenCL C
    .language_version:
      - 2
      - 0
    .max_flat_workgroup_size: 256
    .name:           _ZN7rocprim17ROCPRIM_400000_NS6detail17trampoline_kernelINS0_13select_configILj256ELj13ELNS0_17block_load_methodE3ELS4_3ELS4_3ELNS0_20block_scan_algorithmE0ELj4294967295EEENS1_25partition_config_selectorILNS1_17partition_subalgoE4EjNS0_10empty_typeEbEEZZNS1_14partition_implILS8_4ELb0ES6_15HIP_vector_typeIjLj2EENS0_17counting_iteratorIjlEEPS9_SG_NS0_5tupleIJPjSI_NS0_16reverse_iteratorISI_EEEEENSH_IJSG_SG_SG_EEES9_SI_JZNS1_25segmented_radix_sort_implINS0_14default_configELb0EPKlPlSQ_SR_N2at6native12_GLOBAL__N_18offset_tEEE10hipError_tPvRmT1_PNSt15iterator_traitsISZ_E10value_typeET2_T3_PNS10_IS15_E10value_typeET4_jRbjT5_S1B_jjP12ihipStream_tbEUljE_ZNSN_ISO_Lb0ESQ_SR_SQ_SR_SV_EESW_SX_SY_SZ_S13_S14_S15_S18_S19_jS1A_jS1B_S1B_jjS1D_bEUljE0_EEESW_SX_SY_S15_S19_S1B_T6_T7_T9_mT8_S1D_bDpT10_ENKUlT_T0_E_clISt17integral_constantIbLb0EES1Q_IbLb1EEEEDaS1M_S1N_EUlS1M_E_NS1_11comp_targetILNS1_3genE10ELNS1_11target_archE1200ELNS1_3gpuE4ELNS1_3repE0EEENS1_30default_config_static_selectorELNS0_4arch9wavefront6targetE0EEEvSZ_
    .private_segment_fixed_size: 0
    .sgpr_count:     0
    .sgpr_spill_count: 0
    .symbol:         _ZN7rocprim17ROCPRIM_400000_NS6detail17trampoline_kernelINS0_13select_configILj256ELj13ELNS0_17block_load_methodE3ELS4_3ELS4_3ELNS0_20block_scan_algorithmE0ELj4294967295EEENS1_25partition_config_selectorILNS1_17partition_subalgoE4EjNS0_10empty_typeEbEEZZNS1_14partition_implILS8_4ELb0ES6_15HIP_vector_typeIjLj2EENS0_17counting_iteratorIjlEEPS9_SG_NS0_5tupleIJPjSI_NS0_16reverse_iteratorISI_EEEEENSH_IJSG_SG_SG_EEES9_SI_JZNS1_25segmented_radix_sort_implINS0_14default_configELb0EPKlPlSQ_SR_N2at6native12_GLOBAL__N_18offset_tEEE10hipError_tPvRmT1_PNSt15iterator_traitsISZ_E10value_typeET2_T3_PNS10_IS15_E10value_typeET4_jRbjT5_S1B_jjP12ihipStream_tbEUljE_ZNSN_ISO_Lb0ESQ_SR_SQ_SR_SV_EESW_SX_SY_SZ_S13_S14_S15_S18_S19_jS1A_jS1B_S1B_jjS1D_bEUljE0_EEESW_SX_SY_S15_S19_S1B_T6_T7_T9_mT8_S1D_bDpT10_ENKUlT_T0_E_clISt17integral_constantIbLb0EES1Q_IbLb1EEEEDaS1M_S1N_EUlS1M_E_NS1_11comp_targetILNS1_3genE10ELNS1_11target_archE1200ELNS1_3gpuE4ELNS1_3repE0EEENS1_30default_config_static_selectorELNS0_4arch9wavefront6targetE0EEEvSZ_.kd
    .uniform_work_group_size: 1
    .uses_dynamic_stack: false
    .vgpr_count:     0
    .vgpr_spill_count: 0
    .wavefront_size: 32
  - .args:
      - .offset:         0
        .size:           184
        .value_kind:     by_value
    .group_segment_fixed_size: 0
    .kernarg_segment_align: 8
    .kernarg_segment_size: 184
    .language:       OpenCL C
    .language_version:
      - 2
      - 0
    .max_flat_workgroup_size: 256
    .name:           _ZN7rocprim17ROCPRIM_400000_NS6detail17trampoline_kernelINS0_13select_configILj256ELj13ELNS0_17block_load_methodE3ELS4_3ELS4_3ELNS0_20block_scan_algorithmE0ELj4294967295EEENS1_25partition_config_selectorILNS1_17partition_subalgoE4EjNS0_10empty_typeEbEEZZNS1_14partition_implILS8_4ELb0ES6_15HIP_vector_typeIjLj2EENS0_17counting_iteratorIjlEEPS9_SG_NS0_5tupleIJPjSI_NS0_16reverse_iteratorISI_EEEEENSH_IJSG_SG_SG_EEES9_SI_JZNS1_25segmented_radix_sort_implINS0_14default_configELb0EPKlPlSQ_SR_N2at6native12_GLOBAL__N_18offset_tEEE10hipError_tPvRmT1_PNSt15iterator_traitsISZ_E10value_typeET2_T3_PNS10_IS15_E10value_typeET4_jRbjT5_S1B_jjP12ihipStream_tbEUljE_ZNSN_ISO_Lb0ESQ_SR_SQ_SR_SV_EESW_SX_SY_SZ_S13_S14_S15_S18_S19_jS1A_jS1B_S1B_jjS1D_bEUljE0_EEESW_SX_SY_S15_S19_S1B_T6_T7_T9_mT8_S1D_bDpT10_ENKUlT_T0_E_clISt17integral_constantIbLb0EES1Q_IbLb1EEEEDaS1M_S1N_EUlS1M_E_NS1_11comp_targetILNS1_3genE9ELNS1_11target_archE1100ELNS1_3gpuE3ELNS1_3repE0EEENS1_30default_config_static_selectorELNS0_4arch9wavefront6targetE0EEEvSZ_
    .private_segment_fixed_size: 0
    .sgpr_count:     0
    .sgpr_spill_count: 0
    .symbol:         _ZN7rocprim17ROCPRIM_400000_NS6detail17trampoline_kernelINS0_13select_configILj256ELj13ELNS0_17block_load_methodE3ELS4_3ELS4_3ELNS0_20block_scan_algorithmE0ELj4294967295EEENS1_25partition_config_selectorILNS1_17partition_subalgoE4EjNS0_10empty_typeEbEEZZNS1_14partition_implILS8_4ELb0ES6_15HIP_vector_typeIjLj2EENS0_17counting_iteratorIjlEEPS9_SG_NS0_5tupleIJPjSI_NS0_16reverse_iteratorISI_EEEEENSH_IJSG_SG_SG_EEES9_SI_JZNS1_25segmented_radix_sort_implINS0_14default_configELb0EPKlPlSQ_SR_N2at6native12_GLOBAL__N_18offset_tEEE10hipError_tPvRmT1_PNSt15iterator_traitsISZ_E10value_typeET2_T3_PNS10_IS15_E10value_typeET4_jRbjT5_S1B_jjP12ihipStream_tbEUljE_ZNSN_ISO_Lb0ESQ_SR_SQ_SR_SV_EESW_SX_SY_SZ_S13_S14_S15_S18_S19_jS1A_jS1B_S1B_jjS1D_bEUljE0_EEESW_SX_SY_S15_S19_S1B_T6_T7_T9_mT8_S1D_bDpT10_ENKUlT_T0_E_clISt17integral_constantIbLb0EES1Q_IbLb1EEEEDaS1M_S1N_EUlS1M_E_NS1_11comp_targetILNS1_3genE9ELNS1_11target_archE1100ELNS1_3gpuE3ELNS1_3repE0EEENS1_30default_config_static_selectorELNS0_4arch9wavefront6targetE0EEEvSZ_.kd
    .uniform_work_group_size: 1
    .uses_dynamic_stack: false
    .vgpr_count:     0
    .vgpr_spill_count: 0
    .wavefront_size: 32
  - .args:
      - .offset:         0
        .size:           184
        .value_kind:     by_value
    .group_segment_fixed_size: 0
    .kernarg_segment_align: 8
    .kernarg_segment_size: 184
    .language:       OpenCL C
    .language_version:
      - 2
      - 0
    .max_flat_workgroup_size: 256
    .name:           _ZN7rocprim17ROCPRIM_400000_NS6detail17trampoline_kernelINS0_13select_configILj256ELj13ELNS0_17block_load_methodE3ELS4_3ELS4_3ELNS0_20block_scan_algorithmE0ELj4294967295EEENS1_25partition_config_selectorILNS1_17partition_subalgoE4EjNS0_10empty_typeEbEEZZNS1_14partition_implILS8_4ELb0ES6_15HIP_vector_typeIjLj2EENS0_17counting_iteratorIjlEEPS9_SG_NS0_5tupleIJPjSI_NS0_16reverse_iteratorISI_EEEEENSH_IJSG_SG_SG_EEES9_SI_JZNS1_25segmented_radix_sort_implINS0_14default_configELb0EPKlPlSQ_SR_N2at6native12_GLOBAL__N_18offset_tEEE10hipError_tPvRmT1_PNSt15iterator_traitsISZ_E10value_typeET2_T3_PNS10_IS15_E10value_typeET4_jRbjT5_S1B_jjP12ihipStream_tbEUljE_ZNSN_ISO_Lb0ESQ_SR_SQ_SR_SV_EESW_SX_SY_SZ_S13_S14_S15_S18_S19_jS1A_jS1B_S1B_jjS1D_bEUljE0_EEESW_SX_SY_S15_S19_S1B_T6_T7_T9_mT8_S1D_bDpT10_ENKUlT_T0_E_clISt17integral_constantIbLb0EES1Q_IbLb1EEEEDaS1M_S1N_EUlS1M_E_NS1_11comp_targetILNS1_3genE8ELNS1_11target_archE1030ELNS1_3gpuE2ELNS1_3repE0EEENS1_30default_config_static_selectorELNS0_4arch9wavefront6targetE0EEEvSZ_
    .private_segment_fixed_size: 0
    .sgpr_count:     0
    .sgpr_spill_count: 0
    .symbol:         _ZN7rocprim17ROCPRIM_400000_NS6detail17trampoline_kernelINS0_13select_configILj256ELj13ELNS0_17block_load_methodE3ELS4_3ELS4_3ELNS0_20block_scan_algorithmE0ELj4294967295EEENS1_25partition_config_selectorILNS1_17partition_subalgoE4EjNS0_10empty_typeEbEEZZNS1_14partition_implILS8_4ELb0ES6_15HIP_vector_typeIjLj2EENS0_17counting_iteratorIjlEEPS9_SG_NS0_5tupleIJPjSI_NS0_16reverse_iteratorISI_EEEEENSH_IJSG_SG_SG_EEES9_SI_JZNS1_25segmented_radix_sort_implINS0_14default_configELb0EPKlPlSQ_SR_N2at6native12_GLOBAL__N_18offset_tEEE10hipError_tPvRmT1_PNSt15iterator_traitsISZ_E10value_typeET2_T3_PNS10_IS15_E10value_typeET4_jRbjT5_S1B_jjP12ihipStream_tbEUljE_ZNSN_ISO_Lb0ESQ_SR_SQ_SR_SV_EESW_SX_SY_SZ_S13_S14_S15_S18_S19_jS1A_jS1B_S1B_jjS1D_bEUljE0_EEESW_SX_SY_S15_S19_S1B_T6_T7_T9_mT8_S1D_bDpT10_ENKUlT_T0_E_clISt17integral_constantIbLb0EES1Q_IbLb1EEEEDaS1M_S1N_EUlS1M_E_NS1_11comp_targetILNS1_3genE8ELNS1_11target_archE1030ELNS1_3gpuE2ELNS1_3repE0EEENS1_30default_config_static_selectorELNS0_4arch9wavefront6targetE0EEEvSZ_.kd
    .uniform_work_group_size: 1
    .uses_dynamic_stack: false
    .vgpr_count:     0
    .vgpr_spill_count: 0
    .wavefront_size: 32
  - .args:
      - .offset:         0
        .size:           144
        .value_kind:     by_value
    .group_segment_fixed_size: 13320
    .kernarg_segment_align: 8
    .kernarg_segment_size: 144
    .language:       OpenCL C
    .language_version:
      - 2
      - 0
    .max_flat_workgroup_size: 256
    .name:           _ZN7rocprim17ROCPRIM_400000_NS6detail17trampoline_kernelINS0_13select_configILj256ELj13ELNS0_17block_load_methodE3ELS4_3ELS4_3ELNS0_20block_scan_algorithmE0ELj4294967295EEENS1_25partition_config_selectorILNS1_17partition_subalgoE3EjNS0_10empty_typeEbEEZZNS1_14partition_implILS8_3ELb0ES6_jNS0_17counting_iteratorIjlEEPS9_SE_NS0_5tupleIJPjSE_EEENSF_IJSE_SE_EEES9_SG_JZNS1_25segmented_radix_sort_implINS0_14default_configELb0EPKlPlSM_SN_N2at6native12_GLOBAL__N_18offset_tEEE10hipError_tPvRmT1_PNSt15iterator_traitsISV_E10value_typeET2_T3_PNSW_IS11_E10value_typeET4_jRbjT5_S17_jjP12ihipStream_tbEUljE_EEESS_ST_SU_S11_S15_S17_T6_T7_T9_mT8_S19_bDpT10_ENKUlT_T0_E_clISt17integral_constantIbLb0EES1M_EEDaS1H_S1I_EUlS1H_E_NS1_11comp_targetILNS1_3genE0ELNS1_11target_archE4294967295ELNS1_3gpuE0ELNS1_3repE0EEENS1_30default_config_static_selectorELNS0_4arch9wavefront6targetE0EEEvSV_
    .private_segment_fixed_size: 0
    .sgpr_count:     28
    .sgpr_spill_count: 0
    .symbol:         _ZN7rocprim17ROCPRIM_400000_NS6detail17trampoline_kernelINS0_13select_configILj256ELj13ELNS0_17block_load_methodE3ELS4_3ELS4_3ELNS0_20block_scan_algorithmE0ELj4294967295EEENS1_25partition_config_selectorILNS1_17partition_subalgoE3EjNS0_10empty_typeEbEEZZNS1_14partition_implILS8_3ELb0ES6_jNS0_17counting_iteratorIjlEEPS9_SE_NS0_5tupleIJPjSE_EEENSF_IJSE_SE_EEES9_SG_JZNS1_25segmented_radix_sort_implINS0_14default_configELb0EPKlPlSM_SN_N2at6native12_GLOBAL__N_18offset_tEEE10hipError_tPvRmT1_PNSt15iterator_traitsISV_E10value_typeET2_T3_PNSW_IS11_E10value_typeET4_jRbjT5_S17_jjP12ihipStream_tbEUljE_EEESS_ST_SU_S11_S15_S17_T6_T7_T9_mT8_S19_bDpT10_ENKUlT_T0_E_clISt17integral_constantIbLb0EES1M_EEDaS1H_S1I_EUlS1H_E_NS1_11comp_targetILNS1_3genE0ELNS1_11target_archE4294967295ELNS1_3gpuE0ELNS1_3repE0EEENS1_30default_config_static_selectorELNS0_4arch9wavefront6targetE0EEEvSV_.kd
    .uniform_work_group_size: 1
    .uses_dynamic_stack: false
    .vgpr_count:     69
    .vgpr_spill_count: 0
    .wavefront_size: 32
  - .args:
      - .offset:         0
        .size:           144
        .value_kind:     by_value
    .group_segment_fixed_size: 0
    .kernarg_segment_align: 8
    .kernarg_segment_size: 144
    .language:       OpenCL C
    .language_version:
      - 2
      - 0
    .max_flat_workgroup_size: 256
    .name:           _ZN7rocprim17ROCPRIM_400000_NS6detail17trampoline_kernelINS0_13select_configILj256ELj13ELNS0_17block_load_methodE3ELS4_3ELS4_3ELNS0_20block_scan_algorithmE0ELj4294967295EEENS1_25partition_config_selectorILNS1_17partition_subalgoE3EjNS0_10empty_typeEbEEZZNS1_14partition_implILS8_3ELb0ES6_jNS0_17counting_iteratorIjlEEPS9_SE_NS0_5tupleIJPjSE_EEENSF_IJSE_SE_EEES9_SG_JZNS1_25segmented_radix_sort_implINS0_14default_configELb0EPKlPlSM_SN_N2at6native12_GLOBAL__N_18offset_tEEE10hipError_tPvRmT1_PNSt15iterator_traitsISV_E10value_typeET2_T3_PNSW_IS11_E10value_typeET4_jRbjT5_S17_jjP12ihipStream_tbEUljE_EEESS_ST_SU_S11_S15_S17_T6_T7_T9_mT8_S19_bDpT10_ENKUlT_T0_E_clISt17integral_constantIbLb0EES1M_EEDaS1H_S1I_EUlS1H_E_NS1_11comp_targetILNS1_3genE5ELNS1_11target_archE942ELNS1_3gpuE9ELNS1_3repE0EEENS1_30default_config_static_selectorELNS0_4arch9wavefront6targetE0EEEvSV_
    .private_segment_fixed_size: 0
    .sgpr_count:     0
    .sgpr_spill_count: 0
    .symbol:         _ZN7rocprim17ROCPRIM_400000_NS6detail17trampoline_kernelINS0_13select_configILj256ELj13ELNS0_17block_load_methodE3ELS4_3ELS4_3ELNS0_20block_scan_algorithmE0ELj4294967295EEENS1_25partition_config_selectorILNS1_17partition_subalgoE3EjNS0_10empty_typeEbEEZZNS1_14partition_implILS8_3ELb0ES6_jNS0_17counting_iteratorIjlEEPS9_SE_NS0_5tupleIJPjSE_EEENSF_IJSE_SE_EEES9_SG_JZNS1_25segmented_radix_sort_implINS0_14default_configELb0EPKlPlSM_SN_N2at6native12_GLOBAL__N_18offset_tEEE10hipError_tPvRmT1_PNSt15iterator_traitsISV_E10value_typeET2_T3_PNSW_IS11_E10value_typeET4_jRbjT5_S17_jjP12ihipStream_tbEUljE_EEESS_ST_SU_S11_S15_S17_T6_T7_T9_mT8_S19_bDpT10_ENKUlT_T0_E_clISt17integral_constantIbLb0EES1M_EEDaS1H_S1I_EUlS1H_E_NS1_11comp_targetILNS1_3genE5ELNS1_11target_archE942ELNS1_3gpuE9ELNS1_3repE0EEENS1_30default_config_static_selectorELNS0_4arch9wavefront6targetE0EEEvSV_.kd
    .uniform_work_group_size: 1
    .uses_dynamic_stack: false
    .vgpr_count:     0
    .vgpr_spill_count: 0
    .wavefront_size: 32
  - .args:
      - .offset:         0
        .size:           144
        .value_kind:     by_value
    .group_segment_fixed_size: 0
    .kernarg_segment_align: 8
    .kernarg_segment_size: 144
    .language:       OpenCL C
    .language_version:
      - 2
      - 0
    .max_flat_workgroup_size: 256
    .name:           _ZN7rocprim17ROCPRIM_400000_NS6detail17trampoline_kernelINS0_13select_configILj256ELj13ELNS0_17block_load_methodE3ELS4_3ELS4_3ELNS0_20block_scan_algorithmE0ELj4294967295EEENS1_25partition_config_selectorILNS1_17partition_subalgoE3EjNS0_10empty_typeEbEEZZNS1_14partition_implILS8_3ELb0ES6_jNS0_17counting_iteratorIjlEEPS9_SE_NS0_5tupleIJPjSE_EEENSF_IJSE_SE_EEES9_SG_JZNS1_25segmented_radix_sort_implINS0_14default_configELb0EPKlPlSM_SN_N2at6native12_GLOBAL__N_18offset_tEEE10hipError_tPvRmT1_PNSt15iterator_traitsISV_E10value_typeET2_T3_PNSW_IS11_E10value_typeET4_jRbjT5_S17_jjP12ihipStream_tbEUljE_EEESS_ST_SU_S11_S15_S17_T6_T7_T9_mT8_S19_bDpT10_ENKUlT_T0_E_clISt17integral_constantIbLb0EES1M_EEDaS1H_S1I_EUlS1H_E_NS1_11comp_targetILNS1_3genE4ELNS1_11target_archE910ELNS1_3gpuE8ELNS1_3repE0EEENS1_30default_config_static_selectorELNS0_4arch9wavefront6targetE0EEEvSV_
    .private_segment_fixed_size: 0
    .sgpr_count:     0
    .sgpr_spill_count: 0
    .symbol:         _ZN7rocprim17ROCPRIM_400000_NS6detail17trampoline_kernelINS0_13select_configILj256ELj13ELNS0_17block_load_methodE3ELS4_3ELS4_3ELNS0_20block_scan_algorithmE0ELj4294967295EEENS1_25partition_config_selectorILNS1_17partition_subalgoE3EjNS0_10empty_typeEbEEZZNS1_14partition_implILS8_3ELb0ES6_jNS0_17counting_iteratorIjlEEPS9_SE_NS0_5tupleIJPjSE_EEENSF_IJSE_SE_EEES9_SG_JZNS1_25segmented_radix_sort_implINS0_14default_configELb0EPKlPlSM_SN_N2at6native12_GLOBAL__N_18offset_tEEE10hipError_tPvRmT1_PNSt15iterator_traitsISV_E10value_typeET2_T3_PNSW_IS11_E10value_typeET4_jRbjT5_S17_jjP12ihipStream_tbEUljE_EEESS_ST_SU_S11_S15_S17_T6_T7_T9_mT8_S19_bDpT10_ENKUlT_T0_E_clISt17integral_constantIbLb0EES1M_EEDaS1H_S1I_EUlS1H_E_NS1_11comp_targetILNS1_3genE4ELNS1_11target_archE910ELNS1_3gpuE8ELNS1_3repE0EEENS1_30default_config_static_selectorELNS0_4arch9wavefront6targetE0EEEvSV_.kd
    .uniform_work_group_size: 1
    .uses_dynamic_stack: false
    .vgpr_count:     0
    .vgpr_spill_count: 0
    .wavefront_size: 32
  - .args:
      - .offset:         0
        .size:           144
        .value_kind:     by_value
    .group_segment_fixed_size: 0
    .kernarg_segment_align: 8
    .kernarg_segment_size: 144
    .language:       OpenCL C
    .language_version:
      - 2
      - 0
    .max_flat_workgroup_size: 256
    .name:           _ZN7rocprim17ROCPRIM_400000_NS6detail17trampoline_kernelINS0_13select_configILj256ELj13ELNS0_17block_load_methodE3ELS4_3ELS4_3ELNS0_20block_scan_algorithmE0ELj4294967295EEENS1_25partition_config_selectorILNS1_17partition_subalgoE3EjNS0_10empty_typeEbEEZZNS1_14partition_implILS8_3ELb0ES6_jNS0_17counting_iteratorIjlEEPS9_SE_NS0_5tupleIJPjSE_EEENSF_IJSE_SE_EEES9_SG_JZNS1_25segmented_radix_sort_implINS0_14default_configELb0EPKlPlSM_SN_N2at6native12_GLOBAL__N_18offset_tEEE10hipError_tPvRmT1_PNSt15iterator_traitsISV_E10value_typeET2_T3_PNSW_IS11_E10value_typeET4_jRbjT5_S17_jjP12ihipStream_tbEUljE_EEESS_ST_SU_S11_S15_S17_T6_T7_T9_mT8_S19_bDpT10_ENKUlT_T0_E_clISt17integral_constantIbLb0EES1M_EEDaS1H_S1I_EUlS1H_E_NS1_11comp_targetILNS1_3genE3ELNS1_11target_archE908ELNS1_3gpuE7ELNS1_3repE0EEENS1_30default_config_static_selectorELNS0_4arch9wavefront6targetE0EEEvSV_
    .private_segment_fixed_size: 0
    .sgpr_count:     0
    .sgpr_spill_count: 0
    .symbol:         _ZN7rocprim17ROCPRIM_400000_NS6detail17trampoline_kernelINS0_13select_configILj256ELj13ELNS0_17block_load_methodE3ELS4_3ELS4_3ELNS0_20block_scan_algorithmE0ELj4294967295EEENS1_25partition_config_selectorILNS1_17partition_subalgoE3EjNS0_10empty_typeEbEEZZNS1_14partition_implILS8_3ELb0ES6_jNS0_17counting_iteratorIjlEEPS9_SE_NS0_5tupleIJPjSE_EEENSF_IJSE_SE_EEES9_SG_JZNS1_25segmented_radix_sort_implINS0_14default_configELb0EPKlPlSM_SN_N2at6native12_GLOBAL__N_18offset_tEEE10hipError_tPvRmT1_PNSt15iterator_traitsISV_E10value_typeET2_T3_PNSW_IS11_E10value_typeET4_jRbjT5_S17_jjP12ihipStream_tbEUljE_EEESS_ST_SU_S11_S15_S17_T6_T7_T9_mT8_S19_bDpT10_ENKUlT_T0_E_clISt17integral_constantIbLb0EES1M_EEDaS1H_S1I_EUlS1H_E_NS1_11comp_targetILNS1_3genE3ELNS1_11target_archE908ELNS1_3gpuE7ELNS1_3repE0EEENS1_30default_config_static_selectorELNS0_4arch9wavefront6targetE0EEEvSV_.kd
    .uniform_work_group_size: 1
    .uses_dynamic_stack: false
    .vgpr_count:     0
    .vgpr_spill_count: 0
    .wavefront_size: 32
  - .args:
      - .offset:         0
        .size:           144
        .value_kind:     by_value
    .group_segment_fixed_size: 0
    .kernarg_segment_align: 8
    .kernarg_segment_size: 144
    .language:       OpenCL C
    .language_version:
      - 2
      - 0
    .max_flat_workgroup_size: 256
    .name:           _ZN7rocprim17ROCPRIM_400000_NS6detail17trampoline_kernelINS0_13select_configILj256ELj13ELNS0_17block_load_methodE3ELS4_3ELS4_3ELNS0_20block_scan_algorithmE0ELj4294967295EEENS1_25partition_config_selectorILNS1_17partition_subalgoE3EjNS0_10empty_typeEbEEZZNS1_14partition_implILS8_3ELb0ES6_jNS0_17counting_iteratorIjlEEPS9_SE_NS0_5tupleIJPjSE_EEENSF_IJSE_SE_EEES9_SG_JZNS1_25segmented_radix_sort_implINS0_14default_configELb0EPKlPlSM_SN_N2at6native12_GLOBAL__N_18offset_tEEE10hipError_tPvRmT1_PNSt15iterator_traitsISV_E10value_typeET2_T3_PNSW_IS11_E10value_typeET4_jRbjT5_S17_jjP12ihipStream_tbEUljE_EEESS_ST_SU_S11_S15_S17_T6_T7_T9_mT8_S19_bDpT10_ENKUlT_T0_E_clISt17integral_constantIbLb0EES1M_EEDaS1H_S1I_EUlS1H_E_NS1_11comp_targetILNS1_3genE2ELNS1_11target_archE906ELNS1_3gpuE6ELNS1_3repE0EEENS1_30default_config_static_selectorELNS0_4arch9wavefront6targetE0EEEvSV_
    .private_segment_fixed_size: 0
    .sgpr_count:     0
    .sgpr_spill_count: 0
    .symbol:         _ZN7rocprim17ROCPRIM_400000_NS6detail17trampoline_kernelINS0_13select_configILj256ELj13ELNS0_17block_load_methodE3ELS4_3ELS4_3ELNS0_20block_scan_algorithmE0ELj4294967295EEENS1_25partition_config_selectorILNS1_17partition_subalgoE3EjNS0_10empty_typeEbEEZZNS1_14partition_implILS8_3ELb0ES6_jNS0_17counting_iteratorIjlEEPS9_SE_NS0_5tupleIJPjSE_EEENSF_IJSE_SE_EEES9_SG_JZNS1_25segmented_radix_sort_implINS0_14default_configELb0EPKlPlSM_SN_N2at6native12_GLOBAL__N_18offset_tEEE10hipError_tPvRmT1_PNSt15iterator_traitsISV_E10value_typeET2_T3_PNSW_IS11_E10value_typeET4_jRbjT5_S17_jjP12ihipStream_tbEUljE_EEESS_ST_SU_S11_S15_S17_T6_T7_T9_mT8_S19_bDpT10_ENKUlT_T0_E_clISt17integral_constantIbLb0EES1M_EEDaS1H_S1I_EUlS1H_E_NS1_11comp_targetILNS1_3genE2ELNS1_11target_archE906ELNS1_3gpuE6ELNS1_3repE0EEENS1_30default_config_static_selectorELNS0_4arch9wavefront6targetE0EEEvSV_.kd
    .uniform_work_group_size: 1
    .uses_dynamic_stack: false
    .vgpr_count:     0
    .vgpr_spill_count: 0
    .wavefront_size: 32
  - .args:
      - .offset:         0
        .size:           144
        .value_kind:     by_value
    .group_segment_fixed_size: 0
    .kernarg_segment_align: 8
    .kernarg_segment_size: 144
    .language:       OpenCL C
    .language_version:
      - 2
      - 0
    .max_flat_workgroup_size: 256
    .name:           _ZN7rocprim17ROCPRIM_400000_NS6detail17trampoline_kernelINS0_13select_configILj256ELj13ELNS0_17block_load_methodE3ELS4_3ELS4_3ELNS0_20block_scan_algorithmE0ELj4294967295EEENS1_25partition_config_selectorILNS1_17partition_subalgoE3EjNS0_10empty_typeEbEEZZNS1_14partition_implILS8_3ELb0ES6_jNS0_17counting_iteratorIjlEEPS9_SE_NS0_5tupleIJPjSE_EEENSF_IJSE_SE_EEES9_SG_JZNS1_25segmented_radix_sort_implINS0_14default_configELb0EPKlPlSM_SN_N2at6native12_GLOBAL__N_18offset_tEEE10hipError_tPvRmT1_PNSt15iterator_traitsISV_E10value_typeET2_T3_PNSW_IS11_E10value_typeET4_jRbjT5_S17_jjP12ihipStream_tbEUljE_EEESS_ST_SU_S11_S15_S17_T6_T7_T9_mT8_S19_bDpT10_ENKUlT_T0_E_clISt17integral_constantIbLb0EES1M_EEDaS1H_S1I_EUlS1H_E_NS1_11comp_targetILNS1_3genE10ELNS1_11target_archE1200ELNS1_3gpuE4ELNS1_3repE0EEENS1_30default_config_static_selectorELNS0_4arch9wavefront6targetE0EEEvSV_
    .private_segment_fixed_size: 0
    .sgpr_count:     0
    .sgpr_spill_count: 0
    .symbol:         _ZN7rocprim17ROCPRIM_400000_NS6detail17trampoline_kernelINS0_13select_configILj256ELj13ELNS0_17block_load_methodE3ELS4_3ELS4_3ELNS0_20block_scan_algorithmE0ELj4294967295EEENS1_25partition_config_selectorILNS1_17partition_subalgoE3EjNS0_10empty_typeEbEEZZNS1_14partition_implILS8_3ELb0ES6_jNS0_17counting_iteratorIjlEEPS9_SE_NS0_5tupleIJPjSE_EEENSF_IJSE_SE_EEES9_SG_JZNS1_25segmented_radix_sort_implINS0_14default_configELb0EPKlPlSM_SN_N2at6native12_GLOBAL__N_18offset_tEEE10hipError_tPvRmT1_PNSt15iterator_traitsISV_E10value_typeET2_T3_PNSW_IS11_E10value_typeET4_jRbjT5_S17_jjP12ihipStream_tbEUljE_EEESS_ST_SU_S11_S15_S17_T6_T7_T9_mT8_S19_bDpT10_ENKUlT_T0_E_clISt17integral_constantIbLb0EES1M_EEDaS1H_S1I_EUlS1H_E_NS1_11comp_targetILNS1_3genE10ELNS1_11target_archE1200ELNS1_3gpuE4ELNS1_3repE0EEENS1_30default_config_static_selectorELNS0_4arch9wavefront6targetE0EEEvSV_.kd
    .uniform_work_group_size: 1
    .uses_dynamic_stack: false
    .vgpr_count:     0
    .vgpr_spill_count: 0
    .wavefront_size: 32
  - .args:
      - .offset:         0
        .size:           144
        .value_kind:     by_value
    .group_segment_fixed_size: 0
    .kernarg_segment_align: 8
    .kernarg_segment_size: 144
    .language:       OpenCL C
    .language_version:
      - 2
      - 0
    .max_flat_workgroup_size: 256
    .name:           _ZN7rocprim17ROCPRIM_400000_NS6detail17trampoline_kernelINS0_13select_configILj256ELj13ELNS0_17block_load_methodE3ELS4_3ELS4_3ELNS0_20block_scan_algorithmE0ELj4294967295EEENS1_25partition_config_selectorILNS1_17partition_subalgoE3EjNS0_10empty_typeEbEEZZNS1_14partition_implILS8_3ELb0ES6_jNS0_17counting_iteratorIjlEEPS9_SE_NS0_5tupleIJPjSE_EEENSF_IJSE_SE_EEES9_SG_JZNS1_25segmented_radix_sort_implINS0_14default_configELb0EPKlPlSM_SN_N2at6native12_GLOBAL__N_18offset_tEEE10hipError_tPvRmT1_PNSt15iterator_traitsISV_E10value_typeET2_T3_PNSW_IS11_E10value_typeET4_jRbjT5_S17_jjP12ihipStream_tbEUljE_EEESS_ST_SU_S11_S15_S17_T6_T7_T9_mT8_S19_bDpT10_ENKUlT_T0_E_clISt17integral_constantIbLb0EES1M_EEDaS1H_S1I_EUlS1H_E_NS1_11comp_targetILNS1_3genE9ELNS1_11target_archE1100ELNS1_3gpuE3ELNS1_3repE0EEENS1_30default_config_static_selectorELNS0_4arch9wavefront6targetE0EEEvSV_
    .private_segment_fixed_size: 0
    .sgpr_count:     0
    .sgpr_spill_count: 0
    .symbol:         _ZN7rocprim17ROCPRIM_400000_NS6detail17trampoline_kernelINS0_13select_configILj256ELj13ELNS0_17block_load_methodE3ELS4_3ELS4_3ELNS0_20block_scan_algorithmE0ELj4294967295EEENS1_25partition_config_selectorILNS1_17partition_subalgoE3EjNS0_10empty_typeEbEEZZNS1_14partition_implILS8_3ELb0ES6_jNS0_17counting_iteratorIjlEEPS9_SE_NS0_5tupleIJPjSE_EEENSF_IJSE_SE_EEES9_SG_JZNS1_25segmented_radix_sort_implINS0_14default_configELb0EPKlPlSM_SN_N2at6native12_GLOBAL__N_18offset_tEEE10hipError_tPvRmT1_PNSt15iterator_traitsISV_E10value_typeET2_T3_PNSW_IS11_E10value_typeET4_jRbjT5_S17_jjP12ihipStream_tbEUljE_EEESS_ST_SU_S11_S15_S17_T6_T7_T9_mT8_S19_bDpT10_ENKUlT_T0_E_clISt17integral_constantIbLb0EES1M_EEDaS1H_S1I_EUlS1H_E_NS1_11comp_targetILNS1_3genE9ELNS1_11target_archE1100ELNS1_3gpuE3ELNS1_3repE0EEENS1_30default_config_static_selectorELNS0_4arch9wavefront6targetE0EEEvSV_.kd
    .uniform_work_group_size: 1
    .uses_dynamic_stack: false
    .vgpr_count:     0
    .vgpr_spill_count: 0
    .wavefront_size: 32
  - .args:
      - .offset:         0
        .size:           144
        .value_kind:     by_value
    .group_segment_fixed_size: 0
    .kernarg_segment_align: 8
    .kernarg_segment_size: 144
    .language:       OpenCL C
    .language_version:
      - 2
      - 0
    .max_flat_workgroup_size: 256
    .name:           _ZN7rocprim17ROCPRIM_400000_NS6detail17trampoline_kernelINS0_13select_configILj256ELj13ELNS0_17block_load_methodE3ELS4_3ELS4_3ELNS0_20block_scan_algorithmE0ELj4294967295EEENS1_25partition_config_selectorILNS1_17partition_subalgoE3EjNS0_10empty_typeEbEEZZNS1_14partition_implILS8_3ELb0ES6_jNS0_17counting_iteratorIjlEEPS9_SE_NS0_5tupleIJPjSE_EEENSF_IJSE_SE_EEES9_SG_JZNS1_25segmented_radix_sort_implINS0_14default_configELb0EPKlPlSM_SN_N2at6native12_GLOBAL__N_18offset_tEEE10hipError_tPvRmT1_PNSt15iterator_traitsISV_E10value_typeET2_T3_PNSW_IS11_E10value_typeET4_jRbjT5_S17_jjP12ihipStream_tbEUljE_EEESS_ST_SU_S11_S15_S17_T6_T7_T9_mT8_S19_bDpT10_ENKUlT_T0_E_clISt17integral_constantIbLb0EES1M_EEDaS1H_S1I_EUlS1H_E_NS1_11comp_targetILNS1_3genE8ELNS1_11target_archE1030ELNS1_3gpuE2ELNS1_3repE0EEENS1_30default_config_static_selectorELNS0_4arch9wavefront6targetE0EEEvSV_
    .private_segment_fixed_size: 0
    .sgpr_count:     0
    .sgpr_spill_count: 0
    .symbol:         _ZN7rocprim17ROCPRIM_400000_NS6detail17trampoline_kernelINS0_13select_configILj256ELj13ELNS0_17block_load_methodE3ELS4_3ELS4_3ELNS0_20block_scan_algorithmE0ELj4294967295EEENS1_25partition_config_selectorILNS1_17partition_subalgoE3EjNS0_10empty_typeEbEEZZNS1_14partition_implILS8_3ELb0ES6_jNS0_17counting_iteratorIjlEEPS9_SE_NS0_5tupleIJPjSE_EEENSF_IJSE_SE_EEES9_SG_JZNS1_25segmented_radix_sort_implINS0_14default_configELb0EPKlPlSM_SN_N2at6native12_GLOBAL__N_18offset_tEEE10hipError_tPvRmT1_PNSt15iterator_traitsISV_E10value_typeET2_T3_PNSW_IS11_E10value_typeET4_jRbjT5_S17_jjP12ihipStream_tbEUljE_EEESS_ST_SU_S11_S15_S17_T6_T7_T9_mT8_S19_bDpT10_ENKUlT_T0_E_clISt17integral_constantIbLb0EES1M_EEDaS1H_S1I_EUlS1H_E_NS1_11comp_targetILNS1_3genE8ELNS1_11target_archE1030ELNS1_3gpuE2ELNS1_3repE0EEENS1_30default_config_static_selectorELNS0_4arch9wavefront6targetE0EEEvSV_.kd
    .uniform_work_group_size: 1
    .uses_dynamic_stack: false
    .vgpr_count:     0
    .vgpr_spill_count: 0
    .wavefront_size: 32
  - .args:
      - .offset:         0
        .size:           152
        .value_kind:     by_value
    .group_segment_fixed_size: 0
    .kernarg_segment_align: 8
    .kernarg_segment_size: 152
    .language:       OpenCL C
    .language_version:
      - 2
      - 0
    .max_flat_workgroup_size: 256
    .name:           _ZN7rocprim17ROCPRIM_400000_NS6detail17trampoline_kernelINS0_13select_configILj256ELj13ELNS0_17block_load_methodE3ELS4_3ELS4_3ELNS0_20block_scan_algorithmE0ELj4294967295EEENS1_25partition_config_selectorILNS1_17partition_subalgoE3EjNS0_10empty_typeEbEEZZNS1_14partition_implILS8_3ELb0ES6_jNS0_17counting_iteratorIjlEEPS9_SE_NS0_5tupleIJPjSE_EEENSF_IJSE_SE_EEES9_SG_JZNS1_25segmented_radix_sort_implINS0_14default_configELb0EPKlPlSM_SN_N2at6native12_GLOBAL__N_18offset_tEEE10hipError_tPvRmT1_PNSt15iterator_traitsISV_E10value_typeET2_T3_PNSW_IS11_E10value_typeET4_jRbjT5_S17_jjP12ihipStream_tbEUljE_EEESS_ST_SU_S11_S15_S17_T6_T7_T9_mT8_S19_bDpT10_ENKUlT_T0_E_clISt17integral_constantIbLb1EES1M_EEDaS1H_S1I_EUlS1H_E_NS1_11comp_targetILNS1_3genE0ELNS1_11target_archE4294967295ELNS1_3gpuE0ELNS1_3repE0EEENS1_30default_config_static_selectorELNS0_4arch9wavefront6targetE0EEEvSV_
    .private_segment_fixed_size: 0
    .sgpr_count:     0
    .sgpr_spill_count: 0
    .symbol:         _ZN7rocprim17ROCPRIM_400000_NS6detail17trampoline_kernelINS0_13select_configILj256ELj13ELNS0_17block_load_methodE3ELS4_3ELS4_3ELNS0_20block_scan_algorithmE0ELj4294967295EEENS1_25partition_config_selectorILNS1_17partition_subalgoE3EjNS0_10empty_typeEbEEZZNS1_14partition_implILS8_3ELb0ES6_jNS0_17counting_iteratorIjlEEPS9_SE_NS0_5tupleIJPjSE_EEENSF_IJSE_SE_EEES9_SG_JZNS1_25segmented_radix_sort_implINS0_14default_configELb0EPKlPlSM_SN_N2at6native12_GLOBAL__N_18offset_tEEE10hipError_tPvRmT1_PNSt15iterator_traitsISV_E10value_typeET2_T3_PNSW_IS11_E10value_typeET4_jRbjT5_S17_jjP12ihipStream_tbEUljE_EEESS_ST_SU_S11_S15_S17_T6_T7_T9_mT8_S19_bDpT10_ENKUlT_T0_E_clISt17integral_constantIbLb1EES1M_EEDaS1H_S1I_EUlS1H_E_NS1_11comp_targetILNS1_3genE0ELNS1_11target_archE4294967295ELNS1_3gpuE0ELNS1_3repE0EEENS1_30default_config_static_selectorELNS0_4arch9wavefront6targetE0EEEvSV_.kd
    .uniform_work_group_size: 1
    .uses_dynamic_stack: false
    .vgpr_count:     0
    .vgpr_spill_count: 0
    .wavefront_size: 32
  - .args:
      - .offset:         0
        .size:           152
        .value_kind:     by_value
    .group_segment_fixed_size: 0
    .kernarg_segment_align: 8
    .kernarg_segment_size: 152
    .language:       OpenCL C
    .language_version:
      - 2
      - 0
    .max_flat_workgroup_size: 256
    .name:           _ZN7rocprim17ROCPRIM_400000_NS6detail17trampoline_kernelINS0_13select_configILj256ELj13ELNS0_17block_load_methodE3ELS4_3ELS4_3ELNS0_20block_scan_algorithmE0ELj4294967295EEENS1_25partition_config_selectorILNS1_17partition_subalgoE3EjNS0_10empty_typeEbEEZZNS1_14partition_implILS8_3ELb0ES6_jNS0_17counting_iteratorIjlEEPS9_SE_NS0_5tupleIJPjSE_EEENSF_IJSE_SE_EEES9_SG_JZNS1_25segmented_radix_sort_implINS0_14default_configELb0EPKlPlSM_SN_N2at6native12_GLOBAL__N_18offset_tEEE10hipError_tPvRmT1_PNSt15iterator_traitsISV_E10value_typeET2_T3_PNSW_IS11_E10value_typeET4_jRbjT5_S17_jjP12ihipStream_tbEUljE_EEESS_ST_SU_S11_S15_S17_T6_T7_T9_mT8_S19_bDpT10_ENKUlT_T0_E_clISt17integral_constantIbLb1EES1M_EEDaS1H_S1I_EUlS1H_E_NS1_11comp_targetILNS1_3genE5ELNS1_11target_archE942ELNS1_3gpuE9ELNS1_3repE0EEENS1_30default_config_static_selectorELNS0_4arch9wavefront6targetE0EEEvSV_
    .private_segment_fixed_size: 0
    .sgpr_count:     0
    .sgpr_spill_count: 0
    .symbol:         _ZN7rocprim17ROCPRIM_400000_NS6detail17trampoline_kernelINS0_13select_configILj256ELj13ELNS0_17block_load_methodE3ELS4_3ELS4_3ELNS0_20block_scan_algorithmE0ELj4294967295EEENS1_25partition_config_selectorILNS1_17partition_subalgoE3EjNS0_10empty_typeEbEEZZNS1_14partition_implILS8_3ELb0ES6_jNS0_17counting_iteratorIjlEEPS9_SE_NS0_5tupleIJPjSE_EEENSF_IJSE_SE_EEES9_SG_JZNS1_25segmented_radix_sort_implINS0_14default_configELb0EPKlPlSM_SN_N2at6native12_GLOBAL__N_18offset_tEEE10hipError_tPvRmT1_PNSt15iterator_traitsISV_E10value_typeET2_T3_PNSW_IS11_E10value_typeET4_jRbjT5_S17_jjP12ihipStream_tbEUljE_EEESS_ST_SU_S11_S15_S17_T6_T7_T9_mT8_S19_bDpT10_ENKUlT_T0_E_clISt17integral_constantIbLb1EES1M_EEDaS1H_S1I_EUlS1H_E_NS1_11comp_targetILNS1_3genE5ELNS1_11target_archE942ELNS1_3gpuE9ELNS1_3repE0EEENS1_30default_config_static_selectorELNS0_4arch9wavefront6targetE0EEEvSV_.kd
    .uniform_work_group_size: 1
    .uses_dynamic_stack: false
    .vgpr_count:     0
    .vgpr_spill_count: 0
    .wavefront_size: 32
  - .args:
      - .offset:         0
        .size:           152
        .value_kind:     by_value
    .group_segment_fixed_size: 0
    .kernarg_segment_align: 8
    .kernarg_segment_size: 152
    .language:       OpenCL C
    .language_version:
      - 2
      - 0
    .max_flat_workgroup_size: 256
    .name:           _ZN7rocprim17ROCPRIM_400000_NS6detail17trampoline_kernelINS0_13select_configILj256ELj13ELNS0_17block_load_methodE3ELS4_3ELS4_3ELNS0_20block_scan_algorithmE0ELj4294967295EEENS1_25partition_config_selectorILNS1_17partition_subalgoE3EjNS0_10empty_typeEbEEZZNS1_14partition_implILS8_3ELb0ES6_jNS0_17counting_iteratorIjlEEPS9_SE_NS0_5tupleIJPjSE_EEENSF_IJSE_SE_EEES9_SG_JZNS1_25segmented_radix_sort_implINS0_14default_configELb0EPKlPlSM_SN_N2at6native12_GLOBAL__N_18offset_tEEE10hipError_tPvRmT1_PNSt15iterator_traitsISV_E10value_typeET2_T3_PNSW_IS11_E10value_typeET4_jRbjT5_S17_jjP12ihipStream_tbEUljE_EEESS_ST_SU_S11_S15_S17_T6_T7_T9_mT8_S19_bDpT10_ENKUlT_T0_E_clISt17integral_constantIbLb1EES1M_EEDaS1H_S1I_EUlS1H_E_NS1_11comp_targetILNS1_3genE4ELNS1_11target_archE910ELNS1_3gpuE8ELNS1_3repE0EEENS1_30default_config_static_selectorELNS0_4arch9wavefront6targetE0EEEvSV_
    .private_segment_fixed_size: 0
    .sgpr_count:     0
    .sgpr_spill_count: 0
    .symbol:         _ZN7rocprim17ROCPRIM_400000_NS6detail17trampoline_kernelINS0_13select_configILj256ELj13ELNS0_17block_load_methodE3ELS4_3ELS4_3ELNS0_20block_scan_algorithmE0ELj4294967295EEENS1_25partition_config_selectorILNS1_17partition_subalgoE3EjNS0_10empty_typeEbEEZZNS1_14partition_implILS8_3ELb0ES6_jNS0_17counting_iteratorIjlEEPS9_SE_NS0_5tupleIJPjSE_EEENSF_IJSE_SE_EEES9_SG_JZNS1_25segmented_radix_sort_implINS0_14default_configELb0EPKlPlSM_SN_N2at6native12_GLOBAL__N_18offset_tEEE10hipError_tPvRmT1_PNSt15iterator_traitsISV_E10value_typeET2_T3_PNSW_IS11_E10value_typeET4_jRbjT5_S17_jjP12ihipStream_tbEUljE_EEESS_ST_SU_S11_S15_S17_T6_T7_T9_mT8_S19_bDpT10_ENKUlT_T0_E_clISt17integral_constantIbLb1EES1M_EEDaS1H_S1I_EUlS1H_E_NS1_11comp_targetILNS1_3genE4ELNS1_11target_archE910ELNS1_3gpuE8ELNS1_3repE0EEENS1_30default_config_static_selectorELNS0_4arch9wavefront6targetE0EEEvSV_.kd
    .uniform_work_group_size: 1
    .uses_dynamic_stack: false
    .vgpr_count:     0
    .vgpr_spill_count: 0
    .wavefront_size: 32
  - .args:
      - .offset:         0
        .size:           152
        .value_kind:     by_value
    .group_segment_fixed_size: 0
    .kernarg_segment_align: 8
    .kernarg_segment_size: 152
    .language:       OpenCL C
    .language_version:
      - 2
      - 0
    .max_flat_workgroup_size: 256
    .name:           _ZN7rocprim17ROCPRIM_400000_NS6detail17trampoline_kernelINS0_13select_configILj256ELj13ELNS0_17block_load_methodE3ELS4_3ELS4_3ELNS0_20block_scan_algorithmE0ELj4294967295EEENS1_25partition_config_selectorILNS1_17partition_subalgoE3EjNS0_10empty_typeEbEEZZNS1_14partition_implILS8_3ELb0ES6_jNS0_17counting_iteratorIjlEEPS9_SE_NS0_5tupleIJPjSE_EEENSF_IJSE_SE_EEES9_SG_JZNS1_25segmented_radix_sort_implINS0_14default_configELb0EPKlPlSM_SN_N2at6native12_GLOBAL__N_18offset_tEEE10hipError_tPvRmT1_PNSt15iterator_traitsISV_E10value_typeET2_T3_PNSW_IS11_E10value_typeET4_jRbjT5_S17_jjP12ihipStream_tbEUljE_EEESS_ST_SU_S11_S15_S17_T6_T7_T9_mT8_S19_bDpT10_ENKUlT_T0_E_clISt17integral_constantIbLb1EES1M_EEDaS1H_S1I_EUlS1H_E_NS1_11comp_targetILNS1_3genE3ELNS1_11target_archE908ELNS1_3gpuE7ELNS1_3repE0EEENS1_30default_config_static_selectorELNS0_4arch9wavefront6targetE0EEEvSV_
    .private_segment_fixed_size: 0
    .sgpr_count:     0
    .sgpr_spill_count: 0
    .symbol:         _ZN7rocprim17ROCPRIM_400000_NS6detail17trampoline_kernelINS0_13select_configILj256ELj13ELNS0_17block_load_methodE3ELS4_3ELS4_3ELNS0_20block_scan_algorithmE0ELj4294967295EEENS1_25partition_config_selectorILNS1_17partition_subalgoE3EjNS0_10empty_typeEbEEZZNS1_14partition_implILS8_3ELb0ES6_jNS0_17counting_iteratorIjlEEPS9_SE_NS0_5tupleIJPjSE_EEENSF_IJSE_SE_EEES9_SG_JZNS1_25segmented_radix_sort_implINS0_14default_configELb0EPKlPlSM_SN_N2at6native12_GLOBAL__N_18offset_tEEE10hipError_tPvRmT1_PNSt15iterator_traitsISV_E10value_typeET2_T3_PNSW_IS11_E10value_typeET4_jRbjT5_S17_jjP12ihipStream_tbEUljE_EEESS_ST_SU_S11_S15_S17_T6_T7_T9_mT8_S19_bDpT10_ENKUlT_T0_E_clISt17integral_constantIbLb1EES1M_EEDaS1H_S1I_EUlS1H_E_NS1_11comp_targetILNS1_3genE3ELNS1_11target_archE908ELNS1_3gpuE7ELNS1_3repE0EEENS1_30default_config_static_selectorELNS0_4arch9wavefront6targetE0EEEvSV_.kd
    .uniform_work_group_size: 1
    .uses_dynamic_stack: false
    .vgpr_count:     0
    .vgpr_spill_count: 0
    .wavefront_size: 32
  - .args:
      - .offset:         0
        .size:           152
        .value_kind:     by_value
    .group_segment_fixed_size: 0
    .kernarg_segment_align: 8
    .kernarg_segment_size: 152
    .language:       OpenCL C
    .language_version:
      - 2
      - 0
    .max_flat_workgroup_size: 256
    .name:           _ZN7rocprim17ROCPRIM_400000_NS6detail17trampoline_kernelINS0_13select_configILj256ELj13ELNS0_17block_load_methodE3ELS4_3ELS4_3ELNS0_20block_scan_algorithmE0ELj4294967295EEENS1_25partition_config_selectorILNS1_17partition_subalgoE3EjNS0_10empty_typeEbEEZZNS1_14partition_implILS8_3ELb0ES6_jNS0_17counting_iteratorIjlEEPS9_SE_NS0_5tupleIJPjSE_EEENSF_IJSE_SE_EEES9_SG_JZNS1_25segmented_radix_sort_implINS0_14default_configELb0EPKlPlSM_SN_N2at6native12_GLOBAL__N_18offset_tEEE10hipError_tPvRmT1_PNSt15iterator_traitsISV_E10value_typeET2_T3_PNSW_IS11_E10value_typeET4_jRbjT5_S17_jjP12ihipStream_tbEUljE_EEESS_ST_SU_S11_S15_S17_T6_T7_T9_mT8_S19_bDpT10_ENKUlT_T0_E_clISt17integral_constantIbLb1EES1M_EEDaS1H_S1I_EUlS1H_E_NS1_11comp_targetILNS1_3genE2ELNS1_11target_archE906ELNS1_3gpuE6ELNS1_3repE0EEENS1_30default_config_static_selectorELNS0_4arch9wavefront6targetE0EEEvSV_
    .private_segment_fixed_size: 0
    .sgpr_count:     0
    .sgpr_spill_count: 0
    .symbol:         _ZN7rocprim17ROCPRIM_400000_NS6detail17trampoline_kernelINS0_13select_configILj256ELj13ELNS0_17block_load_methodE3ELS4_3ELS4_3ELNS0_20block_scan_algorithmE0ELj4294967295EEENS1_25partition_config_selectorILNS1_17partition_subalgoE3EjNS0_10empty_typeEbEEZZNS1_14partition_implILS8_3ELb0ES6_jNS0_17counting_iteratorIjlEEPS9_SE_NS0_5tupleIJPjSE_EEENSF_IJSE_SE_EEES9_SG_JZNS1_25segmented_radix_sort_implINS0_14default_configELb0EPKlPlSM_SN_N2at6native12_GLOBAL__N_18offset_tEEE10hipError_tPvRmT1_PNSt15iterator_traitsISV_E10value_typeET2_T3_PNSW_IS11_E10value_typeET4_jRbjT5_S17_jjP12ihipStream_tbEUljE_EEESS_ST_SU_S11_S15_S17_T6_T7_T9_mT8_S19_bDpT10_ENKUlT_T0_E_clISt17integral_constantIbLb1EES1M_EEDaS1H_S1I_EUlS1H_E_NS1_11comp_targetILNS1_3genE2ELNS1_11target_archE906ELNS1_3gpuE6ELNS1_3repE0EEENS1_30default_config_static_selectorELNS0_4arch9wavefront6targetE0EEEvSV_.kd
    .uniform_work_group_size: 1
    .uses_dynamic_stack: false
    .vgpr_count:     0
    .vgpr_spill_count: 0
    .wavefront_size: 32
  - .args:
      - .offset:         0
        .size:           152
        .value_kind:     by_value
    .group_segment_fixed_size: 0
    .kernarg_segment_align: 8
    .kernarg_segment_size: 152
    .language:       OpenCL C
    .language_version:
      - 2
      - 0
    .max_flat_workgroup_size: 256
    .name:           _ZN7rocprim17ROCPRIM_400000_NS6detail17trampoline_kernelINS0_13select_configILj256ELj13ELNS0_17block_load_methodE3ELS4_3ELS4_3ELNS0_20block_scan_algorithmE0ELj4294967295EEENS1_25partition_config_selectorILNS1_17partition_subalgoE3EjNS0_10empty_typeEbEEZZNS1_14partition_implILS8_3ELb0ES6_jNS0_17counting_iteratorIjlEEPS9_SE_NS0_5tupleIJPjSE_EEENSF_IJSE_SE_EEES9_SG_JZNS1_25segmented_radix_sort_implINS0_14default_configELb0EPKlPlSM_SN_N2at6native12_GLOBAL__N_18offset_tEEE10hipError_tPvRmT1_PNSt15iterator_traitsISV_E10value_typeET2_T3_PNSW_IS11_E10value_typeET4_jRbjT5_S17_jjP12ihipStream_tbEUljE_EEESS_ST_SU_S11_S15_S17_T6_T7_T9_mT8_S19_bDpT10_ENKUlT_T0_E_clISt17integral_constantIbLb1EES1M_EEDaS1H_S1I_EUlS1H_E_NS1_11comp_targetILNS1_3genE10ELNS1_11target_archE1200ELNS1_3gpuE4ELNS1_3repE0EEENS1_30default_config_static_selectorELNS0_4arch9wavefront6targetE0EEEvSV_
    .private_segment_fixed_size: 0
    .sgpr_count:     0
    .sgpr_spill_count: 0
    .symbol:         _ZN7rocprim17ROCPRIM_400000_NS6detail17trampoline_kernelINS0_13select_configILj256ELj13ELNS0_17block_load_methodE3ELS4_3ELS4_3ELNS0_20block_scan_algorithmE0ELj4294967295EEENS1_25partition_config_selectorILNS1_17partition_subalgoE3EjNS0_10empty_typeEbEEZZNS1_14partition_implILS8_3ELb0ES6_jNS0_17counting_iteratorIjlEEPS9_SE_NS0_5tupleIJPjSE_EEENSF_IJSE_SE_EEES9_SG_JZNS1_25segmented_radix_sort_implINS0_14default_configELb0EPKlPlSM_SN_N2at6native12_GLOBAL__N_18offset_tEEE10hipError_tPvRmT1_PNSt15iterator_traitsISV_E10value_typeET2_T3_PNSW_IS11_E10value_typeET4_jRbjT5_S17_jjP12ihipStream_tbEUljE_EEESS_ST_SU_S11_S15_S17_T6_T7_T9_mT8_S19_bDpT10_ENKUlT_T0_E_clISt17integral_constantIbLb1EES1M_EEDaS1H_S1I_EUlS1H_E_NS1_11comp_targetILNS1_3genE10ELNS1_11target_archE1200ELNS1_3gpuE4ELNS1_3repE0EEENS1_30default_config_static_selectorELNS0_4arch9wavefront6targetE0EEEvSV_.kd
    .uniform_work_group_size: 1
    .uses_dynamic_stack: false
    .vgpr_count:     0
    .vgpr_spill_count: 0
    .wavefront_size: 32
  - .args:
      - .offset:         0
        .size:           152
        .value_kind:     by_value
    .group_segment_fixed_size: 0
    .kernarg_segment_align: 8
    .kernarg_segment_size: 152
    .language:       OpenCL C
    .language_version:
      - 2
      - 0
    .max_flat_workgroup_size: 256
    .name:           _ZN7rocprim17ROCPRIM_400000_NS6detail17trampoline_kernelINS0_13select_configILj256ELj13ELNS0_17block_load_methodE3ELS4_3ELS4_3ELNS0_20block_scan_algorithmE0ELj4294967295EEENS1_25partition_config_selectorILNS1_17partition_subalgoE3EjNS0_10empty_typeEbEEZZNS1_14partition_implILS8_3ELb0ES6_jNS0_17counting_iteratorIjlEEPS9_SE_NS0_5tupleIJPjSE_EEENSF_IJSE_SE_EEES9_SG_JZNS1_25segmented_radix_sort_implINS0_14default_configELb0EPKlPlSM_SN_N2at6native12_GLOBAL__N_18offset_tEEE10hipError_tPvRmT1_PNSt15iterator_traitsISV_E10value_typeET2_T3_PNSW_IS11_E10value_typeET4_jRbjT5_S17_jjP12ihipStream_tbEUljE_EEESS_ST_SU_S11_S15_S17_T6_T7_T9_mT8_S19_bDpT10_ENKUlT_T0_E_clISt17integral_constantIbLb1EES1M_EEDaS1H_S1I_EUlS1H_E_NS1_11comp_targetILNS1_3genE9ELNS1_11target_archE1100ELNS1_3gpuE3ELNS1_3repE0EEENS1_30default_config_static_selectorELNS0_4arch9wavefront6targetE0EEEvSV_
    .private_segment_fixed_size: 0
    .sgpr_count:     0
    .sgpr_spill_count: 0
    .symbol:         _ZN7rocprim17ROCPRIM_400000_NS6detail17trampoline_kernelINS0_13select_configILj256ELj13ELNS0_17block_load_methodE3ELS4_3ELS4_3ELNS0_20block_scan_algorithmE0ELj4294967295EEENS1_25partition_config_selectorILNS1_17partition_subalgoE3EjNS0_10empty_typeEbEEZZNS1_14partition_implILS8_3ELb0ES6_jNS0_17counting_iteratorIjlEEPS9_SE_NS0_5tupleIJPjSE_EEENSF_IJSE_SE_EEES9_SG_JZNS1_25segmented_radix_sort_implINS0_14default_configELb0EPKlPlSM_SN_N2at6native12_GLOBAL__N_18offset_tEEE10hipError_tPvRmT1_PNSt15iterator_traitsISV_E10value_typeET2_T3_PNSW_IS11_E10value_typeET4_jRbjT5_S17_jjP12ihipStream_tbEUljE_EEESS_ST_SU_S11_S15_S17_T6_T7_T9_mT8_S19_bDpT10_ENKUlT_T0_E_clISt17integral_constantIbLb1EES1M_EEDaS1H_S1I_EUlS1H_E_NS1_11comp_targetILNS1_3genE9ELNS1_11target_archE1100ELNS1_3gpuE3ELNS1_3repE0EEENS1_30default_config_static_selectorELNS0_4arch9wavefront6targetE0EEEvSV_.kd
    .uniform_work_group_size: 1
    .uses_dynamic_stack: false
    .vgpr_count:     0
    .vgpr_spill_count: 0
    .wavefront_size: 32
  - .args:
      - .offset:         0
        .size:           152
        .value_kind:     by_value
    .group_segment_fixed_size: 0
    .kernarg_segment_align: 8
    .kernarg_segment_size: 152
    .language:       OpenCL C
    .language_version:
      - 2
      - 0
    .max_flat_workgroup_size: 256
    .name:           _ZN7rocprim17ROCPRIM_400000_NS6detail17trampoline_kernelINS0_13select_configILj256ELj13ELNS0_17block_load_methodE3ELS4_3ELS4_3ELNS0_20block_scan_algorithmE0ELj4294967295EEENS1_25partition_config_selectorILNS1_17partition_subalgoE3EjNS0_10empty_typeEbEEZZNS1_14partition_implILS8_3ELb0ES6_jNS0_17counting_iteratorIjlEEPS9_SE_NS0_5tupleIJPjSE_EEENSF_IJSE_SE_EEES9_SG_JZNS1_25segmented_radix_sort_implINS0_14default_configELb0EPKlPlSM_SN_N2at6native12_GLOBAL__N_18offset_tEEE10hipError_tPvRmT1_PNSt15iterator_traitsISV_E10value_typeET2_T3_PNSW_IS11_E10value_typeET4_jRbjT5_S17_jjP12ihipStream_tbEUljE_EEESS_ST_SU_S11_S15_S17_T6_T7_T9_mT8_S19_bDpT10_ENKUlT_T0_E_clISt17integral_constantIbLb1EES1M_EEDaS1H_S1I_EUlS1H_E_NS1_11comp_targetILNS1_3genE8ELNS1_11target_archE1030ELNS1_3gpuE2ELNS1_3repE0EEENS1_30default_config_static_selectorELNS0_4arch9wavefront6targetE0EEEvSV_
    .private_segment_fixed_size: 0
    .sgpr_count:     0
    .sgpr_spill_count: 0
    .symbol:         _ZN7rocprim17ROCPRIM_400000_NS6detail17trampoline_kernelINS0_13select_configILj256ELj13ELNS0_17block_load_methodE3ELS4_3ELS4_3ELNS0_20block_scan_algorithmE0ELj4294967295EEENS1_25partition_config_selectorILNS1_17partition_subalgoE3EjNS0_10empty_typeEbEEZZNS1_14partition_implILS8_3ELb0ES6_jNS0_17counting_iteratorIjlEEPS9_SE_NS0_5tupleIJPjSE_EEENSF_IJSE_SE_EEES9_SG_JZNS1_25segmented_radix_sort_implINS0_14default_configELb0EPKlPlSM_SN_N2at6native12_GLOBAL__N_18offset_tEEE10hipError_tPvRmT1_PNSt15iterator_traitsISV_E10value_typeET2_T3_PNSW_IS11_E10value_typeET4_jRbjT5_S17_jjP12ihipStream_tbEUljE_EEESS_ST_SU_S11_S15_S17_T6_T7_T9_mT8_S19_bDpT10_ENKUlT_T0_E_clISt17integral_constantIbLb1EES1M_EEDaS1H_S1I_EUlS1H_E_NS1_11comp_targetILNS1_3genE8ELNS1_11target_archE1030ELNS1_3gpuE2ELNS1_3repE0EEENS1_30default_config_static_selectorELNS0_4arch9wavefront6targetE0EEEvSV_.kd
    .uniform_work_group_size: 1
    .uses_dynamic_stack: false
    .vgpr_count:     0
    .vgpr_spill_count: 0
    .wavefront_size: 32
  - .args:
      - .offset:         0
        .size:           144
        .value_kind:     by_value
    .group_segment_fixed_size: 0
    .kernarg_segment_align: 8
    .kernarg_segment_size: 144
    .language:       OpenCL C
    .language_version:
      - 2
      - 0
    .max_flat_workgroup_size: 256
    .name:           _ZN7rocprim17ROCPRIM_400000_NS6detail17trampoline_kernelINS0_13select_configILj256ELj13ELNS0_17block_load_methodE3ELS4_3ELS4_3ELNS0_20block_scan_algorithmE0ELj4294967295EEENS1_25partition_config_selectorILNS1_17partition_subalgoE3EjNS0_10empty_typeEbEEZZNS1_14partition_implILS8_3ELb0ES6_jNS0_17counting_iteratorIjlEEPS9_SE_NS0_5tupleIJPjSE_EEENSF_IJSE_SE_EEES9_SG_JZNS1_25segmented_radix_sort_implINS0_14default_configELb0EPKlPlSM_SN_N2at6native12_GLOBAL__N_18offset_tEEE10hipError_tPvRmT1_PNSt15iterator_traitsISV_E10value_typeET2_T3_PNSW_IS11_E10value_typeET4_jRbjT5_S17_jjP12ihipStream_tbEUljE_EEESS_ST_SU_S11_S15_S17_T6_T7_T9_mT8_S19_bDpT10_ENKUlT_T0_E_clISt17integral_constantIbLb1EES1L_IbLb0EEEEDaS1H_S1I_EUlS1H_E_NS1_11comp_targetILNS1_3genE0ELNS1_11target_archE4294967295ELNS1_3gpuE0ELNS1_3repE0EEENS1_30default_config_static_selectorELNS0_4arch9wavefront6targetE0EEEvSV_
    .private_segment_fixed_size: 0
    .sgpr_count:     0
    .sgpr_spill_count: 0
    .symbol:         _ZN7rocprim17ROCPRIM_400000_NS6detail17trampoline_kernelINS0_13select_configILj256ELj13ELNS0_17block_load_methodE3ELS4_3ELS4_3ELNS0_20block_scan_algorithmE0ELj4294967295EEENS1_25partition_config_selectorILNS1_17partition_subalgoE3EjNS0_10empty_typeEbEEZZNS1_14partition_implILS8_3ELb0ES6_jNS0_17counting_iteratorIjlEEPS9_SE_NS0_5tupleIJPjSE_EEENSF_IJSE_SE_EEES9_SG_JZNS1_25segmented_radix_sort_implINS0_14default_configELb0EPKlPlSM_SN_N2at6native12_GLOBAL__N_18offset_tEEE10hipError_tPvRmT1_PNSt15iterator_traitsISV_E10value_typeET2_T3_PNSW_IS11_E10value_typeET4_jRbjT5_S17_jjP12ihipStream_tbEUljE_EEESS_ST_SU_S11_S15_S17_T6_T7_T9_mT8_S19_bDpT10_ENKUlT_T0_E_clISt17integral_constantIbLb1EES1L_IbLb0EEEEDaS1H_S1I_EUlS1H_E_NS1_11comp_targetILNS1_3genE0ELNS1_11target_archE4294967295ELNS1_3gpuE0ELNS1_3repE0EEENS1_30default_config_static_selectorELNS0_4arch9wavefront6targetE0EEEvSV_.kd
    .uniform_work_group_size: 1
    .uses_dynamic_stack: false
    .vgpr_count:     0
    .vgpr_spill_count: 0
    .wavefront_size: 32
  - .args:
      - .offset:         0
        .size:           144
        .value_kind:     by_value
    .group_segment_fixed_size: 0
    .kernarg_segment_align: 8
    .kernarg_segment_size: 144
    .language:       OpenCL C
    .language_version:
      - 2
      - 0
    .max_flat_workgroup_size: 256
    .name:           _ZN7rocprim17ROCPRIM_400000_NS6detail17trampoline_kernelINS0_13select_configILj256ELj13ELNS0_17block_load_methodE3ELS4_3ELS4_3ELNS0_20block_scan_algorithmE0ELj4294967295EEENS1_25partition_config_selectorILNS1_17partition_subalgoE3EjNS0_10empty_typeEbEEZZNS1_14partition_implILS8_3ELb0ES6_jNS0_17counting_iteratorIjlEEPS9_SE_NS0_5tupleIJPjSE_EEENSF_IJSE_SE_EEES9_SG_JZNS1_25segmented_radix_sort_implINS0_14default_configELb0EPKlPlSM_SN_N2at6native12_GLOBAL__N_18offset_tEEE10hipError_tPvRmT1_PNSt15iterator_traitsISV_E10value_typeET2_T3_PNSW_IS11_E10value_typeET4_jRbjT5_S17_jjP12ihipStream_tbEUljE_EEESS_ST_SU_S11_S15_S17_T6_T7_T9_mT8_S19_bDpT10_ENKUlT_T0_E_clISt17integral_constantIbLb1EES1L_IbLb0EEEEDaS1H_S1I_EUlS1H_E_NS1_11comp_targetILNS1_3genE5ELNS1_11target_archE942ELNS1_3gpuE9ELNS1_3repE0EEENS1_30default_config_static_selectorELNS0_4arch9wavefront6targetE0EEEvSV_
    .private_segment_fixed_size: 0
    .sgpr_count:     0
    .sgpr_spill_count: 0
    .symbol:         _ZN7rocprim17ROCPRIM_400000_NS6detail17trampoline_kernelINS0_13select_configILj256ELj13ELNS0_17block_load_methodE3ELS4_3ELS4_3ELNS0_20block_scan_algorithmE0ELj4294967295EEENS1_25partition_config_selectorILNS1_17partition_subalgoE3EjNS0_10empty_typeEbEEZZNS1_14partition_implILS8_3ELb0ES6_jNS0_17counting_iteratorIjlEEPS9_SE_NS0_5tupleIJPjSE_EEENSF_IJSE_SE_EEES9_SG_JZNS1_25segmented_radix_sort_implINS0_14default_configELb0EPKlPlSM_SN_N2at6native12_GLOBAL__N_18offset_tEEE10hipError_tPvRmT1_PNSt15iterator_traitsISV_E10value_typeET2_T3_PNSW_IS11_E10value_typeET4_jRbjT5_S17_jjP12ihipStream_tbEUljE_EEESS_ST_SU_S11_S15_S17_T6_T7_T9_mT8_S19_bDpT10_ENKUlT_T0_E_clISt17integral_constantIbLb1EES1L_IbLb0EEEEDaS1H_S1I_EUlS1H_E_NS1_11comp_targetILNS1_3genE5ELNS1_11target_archE942ELNS1_3gpuE9ELNS1_3repE0EEENS1_30default_config_static_selectorELNS0_4arch9wavefront6targetE0EEEvSV_.kd
    .uniform_work_group_size: 1
    .uses_dynamic_stack: false
    .vgpr_count:     0
    .vgpr_spill_count: 0
    .wavefront_size: 32
  - .args:
      - .offset:         0
        .size:           144
        .value_kind:     by_value
    .group_segment_fixed_size: 0
    .kernarg_segment_align: 8
    .kernarg_segment_size: 144
    .language:       OpenCL C
    .language_version:
      - 2
      - 0
    .max_flat_workgroup_size: 256
    .name:           _ZN7rocprim17ROCPRIM_400000_NS6detail17trampoline_kernelINS0_13select_configILj256ELj13ELNS0_17block_load_methodE3ELS4_3ELS4_3ELNS0_20block_scan_algorithmE0ELj4294967295EEENS1_25partition_config_selectorILNS1_17partition_subalgoE3EjNS0_10empty_typeEbEEZZNS1_14partition_implILS8_3ELb0ES6_jNS0_17counting_iteratorIjlEEPS9_SE_NS0_5tupleIJPjSE_EEENSF_IJSE_SE_EEES9_SG_JZNS1_25segmented_radix_sort_implINS0_14default_configELb0EPKlPlSM_SN_N2at6native12_GLOBAL__N_18offset_tEEE10hipError_tPvRmT1_PNSt15iterator_traitsISV_E10value_typeET2_T3_PNSW_IS11_E10value_typeET4_jRbjT5_S17_jjP12ihipStream_tbEUljE_EEESS_ST_SU_S11_S15_S17_T6_T7_T9_mT8_S19_bDpT10_ENKUlT_T0_E_clISt17integral_constantIbLb1EES1L_IbLb0EEEEDaS1H_S1I_EUlS1H_E_NS1_11comp_targetILNS1_3genE4ELNS1_11target_archE910ELNS1_3gpuE8ELNS1_3repE0EEENS1_30default_config_static_selectorELNS0_4arch9wavefront6targetE0EEEvSV_
    .private_segment_fixed_size: 0
    .sgpr_count:     0
    .sgpr_spill_count: 0
    .symbol:         _ZN7rocprim17ROCPRIM_400000_NS6detail17trampoline_kernelINS0_13select_configILj256ELj13ELNS0_17block_load_methodE3ELS4_3ELS4_3ELNS0_20block_scan_algorithmE0ELj4294967295EEENS1_25partition_config_selectorILNS1_17partition_subalgoE3EjNS0_10empty_typeEbEEZZNS1_14partition_implILS8_3ELb0ES6_jNS0_17counting_iteratorIjlEEPS9_SE_NS0_5tupleIJPjSE_EEENSF_IJSE_SE_EEES9_SG_JZNS1_25segmented_radix_sort_implINS0_14default_configELb0EPKlPlSM_SN_N2at6native12_GLOBAL__N_18offset_tEEE10hipError_tPvRmT1_PNSt15iterator_traitsISV_E10value_typeET2_T3_PNSW_IS11_E10value_typeET4_jRbjT5_S17_jjP12ihipStream_tbEUljE_EEESS_ST_SU_S11_S15_S17_T6_T7_T9_mT8_S19_bDpT10_ENKUlT_T0_E_clISt17integral_constantIbLb1EES1L_IbLb0EEEEDaS1H_S1I_EUlS1H_E_NS1_11comp_targetILNS1_3genE4ELNS1_11target_archE910ELNS1_3gpuE8ELNS1_3repE0EEENS1_30default_config_static_selectorELNS0_4arch9wavefront6targetE0EEEvSV_.kd
    .uniform_work_group_size: 1
    .uses_dynamic_stack: false
    .vgpr_count:     0
    .vgpr_spill_count: 0
    .wavefront_size: 32
  - .args:
      - .offset:         0
        .size:           144
        .value_kind:     by_value
    .group_segment_fixed_size: 0
    .kernarg_segment_align: 8
    .kernarg_segment_size: 144
    .language:       OpenCL C
    .language_version:
      - 2
      - 0
    .max_flat_workgroup_size: 256
    .name:           _ZN7rocprim17ROCPRIM_400000_NS6detail17trampoline_kernelINS0_13select_configILj256ELj13ELNS0_17block_load_methodE3ELS4_3ELS4_3ELNS0_20block_scan_algorithmE0ELj4294967295EEENS1_25partition_config_selectorILNS1_17partition_subalgoE3EjNS0_10empty_typeEbEEZZNS1_14partition_implILS8_3ELb0ES6_jNS0_17counting_iteratorIjlEEPS9_SE_NS0_5tupleIJPjSE_EEENSF_IJSE_SE_EEES9_SG_JZNS1_25segmented_radix_sort_implINS0_14default_configELb0EPKlPlSM_SN_N2at6native12_GLOBAL__N_18offset_tEEE10hipError_tPvRmT1_PNSt15iterator_traitsISV_E10value_typeET2_T3_PNSW_IS11_E10value_typeET4_jRbjT5_S17_jjP12ihipStream_tbEUljE_EEESS_ST_SU_S11_S15_S17_T6_T7_T9_mT8_S19_bDpT10_ENKUlT_T0_E_clISt17integral_constantIbLb1EES1L_IbLb0EEEEDaS1H_S1I_EUlS1H_E_NS1_11comp_targetILNS1_3genE3ELNS1_11target_archE908ELNS1_3gpuE7ELNS1_3repE0EEENS1_30default_config_static_selectorELNS0_4arch9wavefront6targetE0EEEvSV_
    .private_segment_fixed_size: 0
    .sgpr_count:     0
    .sgpr_spill_count: 0
    .symbol:         _ZN7rocprim17ROCPRIM_400000_NS6detail17trampoline_kernelINS0_13select_configILj256ELj13ELNS0_17block_load_methodE3ELS4_3ELS4_3ELNS0_20block_scan_algorithmE0ELj4294967295EEENS1_25partition_config_selectorILNS1_17partition_subalgoE3EjNS0_10empty_typeEbEEZZNS1_14partition_implILS8_3ELb0ES6_jNS0_17counting_iteratorIjlEEPS9_SE_NS0_5tupleIJPjSE_EEENSF_IJSE_SE_EEES9_SG_JZNS1_25segmented_radix_sort_implINS0_14default_configELb0EPKlPlSM_SN_N2at6native12_GLOBAL__N_18offset_tEEE10hipError_tPvRmT1_PNSt15iterator_traitsISV_E10value_typeET2_T3_PNSW_IS11_E10value_typeET4_jRbjT5_S17_jjP12ihipStream_tbEUljE_EEESS_ST_SU_S11_S15_S17_T6_T7_T9_mT8_S19_bDpT10_ENKUlT_T0_E_clISt17integral_constantIbLb1EES1L_IbLb0EEEEDaS1H_S1I_EUlS1H_E_NS1_11comp_targetILNS1_3genE3ELNS1_11target_archE908ELNS1_3gpuE7ELNS1_3repE0EEENS1_30default_config_static_selectorELNS0_4arch9wavefront6targetE0EEEvSV_.kd
    .uniform_work_group_size: 1
    .uses_dynamic_stack: false
    .vgpr_count:     0
    .vgpr_spill_count: 0
    .wavefront_size: 32
  - .args:
      - .offset:         0
        .size:           144
        .value_kind:     by_value
    .group_segment_fixed_size: 0
    .kernarg_segment_align: 8
    .kernarg_segment_size: 144
    .language:       OpenCL C
    .language_version:
      - 2
      - 0
    .max_flat_workgroup_size: 256
    .name:           _ZN7rocprim17ROCPRIM_400000_NS6detail17trampoline_kernelINS0_13select_configILj256ELj13ELNS0_17block_load_methodE3ELS4_3ELS4_3ELNS0_20block_scan_algorithmE0ELj4294967295EEENS1_25partition_config_selectorILNS1_17partition_subalgoE3EjNS0_10empty_typeEbEEZZNS1_14partition_implILS8_3ELb0ES6_jNS0_17counting_iteratorIjlEEPS9_SE_NS0_5tupleIJPjSE_EEENSF_IJSE_SE_EEES9_SG_JZNS1_25segmented_radix_sort_implINS0_14default_configELb0EPKlPlSM_SN_N2at6native12_GLOBAL__N_18offset_tEEE10hipError_tPvRmT1_PNSt15iterator_traitsISV_E10value_typeET2_T3_PNSW_IS11_E10value_typeET4_jRbjT5_S17_jjP12ihipStream_tbEUljE_EEESS_ST_SU_S11_S15_S17_T6_T7_T9_mT8_S19_bDpT10_ENKUlT_T0_E_clISt17integral_constantIbLb1EES1L_IbLb0EEEEDaS1H_S1I_EUlS1H_E_NS1_11comp_targetILNS1_3genE2ELNS1_11target_archE906ELNS1_3gpuE6ELNS1_3repE0EEENS1_30default_config_static_selectorELNS0_4arch9wavefront6targetE0EEEvSV_
    .private_segment_fixed_size: 0
    .sgpr_count:     0
    .sgpr_spill_count: 0
    .symbol:         _ZN7rocprim17ROCPRIM_400000_NS6detail17trampoline_kernelINS0_13select_configILj256ELj13ELNS0_17block_load_methodE3ELS4_3ELS4_3ELNS0_20block_scan_algorithmE0ELj4294967295EEENS1_25partition_config_selectorILNS1_17partition_subalgoE3EjNS0_10empty_typeEbEEZZNS1_14partition_implILS8_3ELb0ES6_jNS0_17counting_iteratorIjlEEPS9_SE_NS0_5tupleIJPjSE_EEENSF_IJSE_SE_EEES9_SG_JZNS1_25segmented_radix_sort_implINS0_14default_configELb0EPKlPlSM_SN_N2at6native12_GLOBAL__N_18offset_tEEE10hipError_tPvRmT1_PNSt15iterator_traitsISV_E10value_typeET2_T3_PNSW_IS11_E10value_typeET4_jRbjT5_S17_jjP12ihipStream_tbEUljE_EEESS_ST_SU_S11_S15_S17_T6_T7_T9_mT8_S19_bDpT10_ENKUlT_T0_E_clISt17integral_constantIbLb1EES1L_IbLb0EEEEDaS1H_S1I_EUlS1H_E_NS1_11comp_targetILNS1_3genE2ELNS1_11target_archE906ELNS1_3gpuE6ELNS1_3repE0EEENS1_30default_config_static_selectorELNS0_4arch9wavefront6targetE0EEEvSV_.kd
    .uniform_work_group_size: 1
    .uses_dynamic_stack: false
    .vgpr_count:     0
    .vgpr_spill_count: 0
    .wavefront_size: 32
  - .args:
      - .offset:         0
        .size:           144
        .value_kind:     by_value
    .group_segment_fixed_size: 0
    .kernarg_segment_align: 8
    .kernarg_segment_size: 144
    .language:       OpenCL C
    .language_version:
      - 2
      - 0
    .max_flat_workgroup_size: 256
    .name:           _ZN7rocprim17ROCPRIM_400000_NS6detail17trampoline_kernelINS0_13select_configILj256ELj13ELNS0_17block_load_methodE3ELS4_3ELS4_3ELNS0_20block_scan_algorithmE0ELj4294967295EEENS1_25partition_config_selectorILNS1_17partition_subalgoE3EjNS0_10empty_typeEbEEZZNS1_14partition_implILS8_3ELb0ES6_jNS0_17counting_iteratorIjlEEPS9_SE_NS0_5tupleIJPjSE_EEENSF_IJSE_SE_EEES9_SG_JZNS1_25segmented_radix_sort_implINS0_14default_configELb0EPKlPlSM_SN_N2at6native12_GLOBAL__N_18offset_tEEE10hipError_tPvRmT1_PNSt15iterator_traitsISV_E10value_typeET2_T3_PNSW_IS11_E10value_typeET4_jRbjT5_S17_jjP12ihipStream_tbEUljE_EEESS_ST_SU_S11_S15_S17_T6_T7_T9_mT8_S19_bDpT10_ENKUlT_T0_E_clISt17integral_constantIbLb1EES1L_IbLb0EEEEDaS1H_S1I_EUlS1H_E_NS1_11comp_targetILNS1_3genE10ELNS1_11target_archE1200ELNS1_3gpuE4ELNS1_3repE0EEENS1_30default_config_static_selectorELNS0_4arch9wavefront6targetE0EEEvSV_
    .private_segment_fixed_size: 0
    .sgpr_count:     0
    .sgpr_spill_count: 0
    .symbol:         _ZN7rocprim17ROCPRIM_400000_NS6detail17trampoline_kernelINS0_13select_configILj256ELj13ELNS0_17block_load_methodE3ELS4_3ELS4_3ELNS0_20block_scan_algorithmE0ELj4294967295EEENS1_25partition_config_selectorILNS1_17partition_subalgoE3EjNS0_10empty_typeEbEEZZNS1_14partition_implILS8_3ELb0ES6_jNS0_17counting_iteratorIjlEEPS9_SE_NS0_5tupleIJPjSE_EEENSF_IJSE_SE_EEES9_SG_JZNS1_25segmented_radix_sort_implINS0_14default_configELb0EPKlPlSM_SN_N2at6native12_GLOBAL__N_18offset_tEEE10hipError_tPvRmT1_PNSt15iterator_traitsISV_E10value_typeET2_T3_PNSW_IS11_E10value_typeET4_jRbjT5_S17_jjP12ihipStream_tbEUljE_EEESS_ST_SU_S11_S15_S17_T6_T7_T9_mT8_S19_bDpT10_ENKUlT_T0_E_clISt17integral_constantIbLb1EES1L_IbLb0EEEEDaS1H_S1I_EUlS1H_E_NS1_11comp_targetILNS1_3genE10ELNS1_11target_archE1200ELNS1_3gpuE4ELNS1_3repE0EEENS1_30default_config_static_selectorELNS0_4arch9wavefront6targetE0EEEvSV_.kd
    .uniform_work_group_size: 1
    .uses_dynamic_stack: false
    .vgpr_count:     0
    .vgpr_spill_count: 0
    .wavefront_size: 32
  - .args:
      - .offset:         0
        .size:           144
        .value_kind:     by_value
    .group_segment_fixed_size: 0
    .kernarg_segment_align: 8
    .kernarg_segment_size: 144
    .language:       OpenCL C
    .language_version:
      - 2
      - 0
    .max_flat_workgroup_size: 256
    .name:           _ZN7rocprim17ROCPRIM_400000_NS6detail17trampoline_kernelINS0_13select_configILj256ELj13ELNS0_17block_load_methodE3ELS4_3ELS4_3ELNS0_20block_scan_algorithmE0ELj4294967295EEENS1_25partition_config_selectorILNS1_17partition_subalgoE3EjNS0_10empty_typeEbEEZZNS1_14partition_implILS8_3ELb0ES6_jNS0_17counting_iteratorIjlEEPS9_SE_NS0_5tupleIJPjSE_EEENSF_IJSE_SE_EEES9_SG_JZNS1_25segmented_radix_sort_implINS0_14default_configELb0EPKlPlSM_SN_N2at6native12_GLOBAL__N_18offset_tEEE10hipError_tPvRmT1_PNSt15iterator_traitsISV_E10value_typeET2_T3_PNSW_IS11_E10value_typeET4_jRbjT5_S17_jjP12ihipStream_tbEUljE_EEESS_ST_SU_S11_S15_S17_T6_T7_T9_mT8_S19_bDpT10_ENKUlT_T0_E_clISt17integral_constantIbLb1EES1L_IbLb0EEEEDaS1H_S1I_EUlS1H_E_NS1_11comp_targetILNS1_3genE9ELNS1_11target_archE1100ELNS1_3gpuE3ELNS1_3repE0EEENS1_30default_config_static_selectorELNS0_4arch9wavefront6targetE0EEEvSV_
    .private_segment_fixed_size: 0
    .sgpr_count:     0
    .sgpr_spill_count: 0
    .symbol:         _ZN7rocprim17ROCPRIM_400000_NS6detail17trampoline_kernelINS0_13select_configILj256ELj13ELNS0_17block_load_methodE3ELS4_3ELS4_3ELNS0_20block_scan_algorithmE0ELj4294967295EEENS1_25partition_config_selectorILNS1_17partition_subalgoE3EjNS0_10empty_typeEbEEZZNS1_14partition_implILS8_3ELb0ES6_jNS0_17counting_iteratorIjlEEPS9_SE_NS0_5tupleIJPjSE_EEENSF_IJSE_SE_EEES9_SG_JZNS1_25segmented_radix_sort_implINS0_14default_configELb0EPKlPlSM_SN_N2at6native12_GLOBAL__N_18offset_tEEE10hipError_tPvRmT1_PNSt15iterator_traitsISV_E10value_typeET2_T3_PNSW_IS11_E10value_typeET4_jRbjT5_S17_jjP12ihipStream_tbEUljE_EEESS_ST_SU_S11_S15_S17_T6_T7_T9_mT8_S19_bDpT10_ENKUlT_T0_E_clISt17integral_constantIbLb1EES1L_IbLb0EEEEDaS1H_S1I_EUlS1H_E_NS1_11comp_targetILNS1_3genE9ELNS1_11target_archE1100ELNS1_3gpuE3ELNS1_3repE0EEENS1_30default_config_static_selectorELNS0_4arch9wavefront6targetE0EEEvSV_.kd
    .uniform_work_group_size: 1
    .uses_dynamic_stack: false
    .vgpr_count:     0
    .vgpr_spill_count: 0
    .wavefront_size: 32
  - .args:
      - .offset:         0
        .size:           144
        .value_kind:     by_value
    .group_segment_fixed_size: 0
    .kernarg_segment_align: 8
    .kernarg_segment_size: 144
    .language:       OpenCL C
    .language_version:
      - 2
      - 0
    .max_flat_workgroup_size: 256
    .name:           _ZN7rocprim17ROCPRIM_400000_NS6detail17trampoline_kernelINS0_13select_configILj256ELj13ELNS0_17block_load_methodE3ELS4_3ELS4_3ELNS0_20block_scan_algorithmE0ELj4294967295EEENS1_25partition_config_selectorILNS1_17partition_subalgoE3EjNS0_10empty_typeEbEEZZNS1_14partition_implILS8_3ELb0ES6_jNS0_17counting_iteratorIjlEEPS9_SE_NS0_5tupleIJPjSE_EEENSF_IJSE_SE_EEES9_SG_JZNS1_25segmented_radix_sort_implINS0_14default_configELb0EPKlPlSM_SN_N2at6native12_GLOBAL__N_18offset_tEEE10hipError_tPvRmT1_PNSt15iterator_traitsISV_E10value_typeET2_T3_PNSW_IS11_E10value_typeET4_jRbjT5_S17_jjP12ihipStream_tbEUljE_EEESS_ST_SU_S11_S15_S17_T6_T7_T9_mT8_S19_bDpT10_ENKUlT_T0_E_clISt17integral_constantIbLb1EES1L_IbLb0EEEEDaS1H_S1I_EUlS1H_E_NS1_11comp_targetILNS1_3genE8ELNS1_11target_archE1030ELNS1_3gpuE2ELNS1_3repE0EEENS1_30default_config_static_selectorELNS0_4arch9wavefront6targetE0EEEvSV_
    .private_segment_fixed_size: 0
    .sgpr_count:     0
    .sgpr_spill_count: 0
    .symbol:         _ZN7rocprim17ROCPRIM_400000_NS6detail17trampoline_kernelINS0_13select_configILj256ELj13ELNS0_17block_load_methodE3ELS4_3ELS4_3ELNS0_20block_scan_algorithmE0ELj4294967295EEENS1_25partition_config_selectorILNS1_17partition_subalgoE3EjNS0_10empty_typeEbEEZZNS1_14partition_implILS8_3ELb0ES6_jNS0_17counting_iteratorIjlEEPS9_SE_NS0_5tupleIJPjSE_EEENSF_IJSE_SE_EEES9_SG_JZNS1_25segmented_radix_sort_implINS0_14default_configELb0EPKlPlSM_SN_N2at6native12_GLOBAL__N_18offset_tEEE10hipError_tPvRmT1_PNSt15iterator_traitsISV_E10value_typeET2_T3_PNSW_IS11_E10value_typeET4_jRbjT5_S17_jjP12ihipStream_tbEUljE_EEESS_ST_SU_S11_S15_S17_T6_T7_T9_mT8_S19_bDpT10_ENKUlT_T0_E_clISt17integral_constantIbLb1EES1L_IbLb0EEEEDaS1H_S1I_EUlS1H_E_NS1_11comp_targetILNS1_3genE8ELNS1_11target_archE1030ELNS1_3gpuE2ELNS1_3repE0EEENS1_30default_config_static_selectorELNS0_4arch9wavefront6targetE0EEEvSV_.kd
    .uniform_work_group_size: 1
    .uses_dynamic_stack: false
    .vgpr_count:     0
    .vgpr_spill_count: 0
    .wavefront_size: 32
  - .args:
      - .offset:         0
        .size:           152
        .value_kind:     by_value
    .group_segment_fixed_size: 13320
    .kernarg_segment_align: 8
    .kernarg_segment_size: 152
    .language:       OpenCL C
    .language_version:
      - 2
      - 0
    .max_flat_workgroup_size: 256
    .name:           _ZN7rocprim17ROCPRIM_400000_NS6detail17trampoline_kernelINS0_13select_configILj256ELj13ELNS0_17block_load_methodE3ELS4_3ELS4_3ELNS0_20block_scan_algorithmE0ELj4294967295EEENS1_25partition_config_selectorILNS1_17partition_subalgoE3EjNS0_10empty_typeEbEEZZNS1_14partition_implILS8_3ELb0ES6_jNS0_17counting_iteratorIjlEEPS9_SE_NS0_5tupleIJPjSE_EEENSF_IJSE_SE_EEES9_SG_JZNS1_25segmented_radix_sort_implINS0_14default_configELb0EPKlPlSM_SN_N2at6native12_GLOBAL__N_18offset_tEEE10hipError_tPvRmT1_PNSt15iterator_traitsISV_E10value_typeET2_T3_PNSW_IS11_E10value_typeET4_jRbjT5_S17_jjP12ihipStream_tbEUljE_EEESS_ST_SU_S11_S15_S17_T6_T7_T9_mT8_S19_bDpT10_ENKUlT_T0_E_clISt17integral_constantIbLb0EES1L_IbLb1EEEEDaS1H_S1I_EUlS1H_E_NS1_11comp_targetILNS1_3genE0ELNS1_11target_archE4294967295ELNS1_3gpuE0ELNS1_3repE0EEENS1_30default_config_static_selectorELNS0_4arch9wavefront6targetE0EEEvSV_
    .private_segment_fixed_size: 0
    .sgpr_count:     26
    .sgpr_spill_count: 0
    .symbol:         _ZN7rocprim17ROCPRIM_400000_NS6detail17trampoline_kernelINS0_13select_configILj256ELj13ELNS0_17block_load_methodE3ELS4_3ELS4_3ELNS0_20block_scan_algorithmE0ELj4294967295EEENS1_25partition_config_selectorILNS1_17partition_subalgoE3EjNS0_10empty_typeEbEEZZNS1_14partition_implILS8_3ELb0ES6_jNS0_17counting_iteratorIjlEEPS9_SE_NS0_5tupleIJPjSE_EEENSF_IJSE_SE_EEES9_SG_JZNS1_25segmented_radix_sort_implINS0_14default_configELb0EPKlPlSM_SN_N2at6native12_GLOBAL__N_18offset_tEEE10hipError_tPvRmT1_PNSt15iterator_traitsISV_E10value_typeET2_T3_PNSW_IS11_E10value_typeET4_jRbjT5_S17_jjP12ihipStream_tbEUljE_EEESS_ST_SU_S11_S15_S17_T6_T7_T9_mT8_S19_bDpT10_ENKUlT_T0_E_clISt17integral_constantIbLb0EES1L_IbLb1EEEEDaS1H_S1I_EUlS1H_E_NS1_11comp_targetILNS1_3genE0ELNS1_11target_archE4294967295ELNS1_3gpuE0ELNS1_3repE0EEENS1_30default_config_static_selectorELNS0_4arch9wavefront6targetE0EEEvSV_.kd
    .uniform_work_group_size: 1
    .uses_dynamic_stack: false
    .vgpr_count:     72
    .vgpr_spill_count: 0
    .wavefront_size: 32
  - .args:
      - .offset:         0
        .size:           152
        .value_kind:     by_value
    .group_segment_fixed_size: 0
    .kernarg_segment_align: 8
    .kernarg_segment_size: 152
    .language:       OpenCL C
    .language_version:
      - 2
      - 0
    .max_flat_workgroup_size: 256
    .name:           _ZN7rocprim17ROCPRIM_400000_NS6detail17trampoline_kernelINS0_13select_configILj256ELj13ELNS0_17block_load_methodE3ELS4_3ELS4_3ELNS0_20block_scan_algorithmE0ELj4294967295EEENS1_25partition_config_selectorILNS1_17partition_subalgoE3EjNS0_10empty_typeEbEEZZNS1_14partition_implILS8_3ELb0ES6_jNS0_17counting_iteratorIjlEEPS9_SE_NS0_5tupleIJPjSE_EEENSF_IJSE_SE_EEES9_SG_JZNS1_25segmented_radix_sort_implINS0_14default_configELb0EPKlPlSM_SN_N2at6native12_GLOBAL__N_18offset_tEEE10hipError_tPvRmT1_PNSt15iterator_traitsISV_E10value_typeET2_T3_PNSW_IS11_E10value_typeET4_jRbjT5_S17_jjP12ihipStream_tbEUljE_EEESS_ST_SU_S11_S15_S17_T6_T7_T9_mT8_S19_bDpT10_ENKUlT_T0_E_clISt17integral_constantIbLb0EES1L_IbLb1EEEEDaS1H_S1I_EUlS1H_E_NS1_11comp_targetILNS1_3genE5ELNS1_11target_archE942ELNS1_3gpuE9ELNS1_3repE0EEENS1_30default_config_static_selectorELNS0_4arch9wavefront6targetE0EEEvSV_
    .private_segment_fixed_size: 0
    .sgpr_count:     0
    .sgpr_spill_count: 0
    .symbol:         _ZN7rocprim17ROCPRIM_400000_NS6detail17trampoline_kernelINS0_13select_configILj256ELj13ELNS0_17block_load_methodE3ELS4_3ELS4_3ELNS0_20block_scan_algorithmE0ELj4294967295EEENS1_25partition_config_selectorILNS1_17partition_subalgoE3EjNS0_10empty_typeEbEEZZNS1_14partition_implILS8_3ELb0ES6_jNS0_17counting_iteratorIjlEEPS9_SE_NS0_5tupleIJPjSE_EEENSF_IJSE_SE_EEES9_SG_JZNS1_25segmented_radix_sort_implINS0_14default_configELb0EPKlPlSM_SN_N2at6native12_GLOBAL__N_18offset_tEEE10hipError_tPvRmT1_PNSt15iterator_traitsISV_E10value_typeET2_T3_PNSW_IS11_E10value_typeET4_jRbjT5_S17_jjP12ihipStream_tbEUljE_EEESS_ST_SU_S11_S15_S17_T6_T7_T9_mT8_S19_bDpT10_ENKUlT_T0_E_clISt17integral_constantIbLb0EES1L_IbLb1EEEEDaS1H_S1I_EUlS1H_E_NS1_11comp_targetILNS1_3genE5ELNS1_11target_archE942ELNS1_3gpuE9ELNS1_3repE0EEENS1_30default_config_static_selectorELNS0_4arch9wavefront6targetE0EEEvSV_.kd
    .uniform_work_group_size: 1
    .uses_dynamic_stack: false
    .vgpr_count:     0
    .vgpr_spill_count: 0
    .wavefront_size: 32
  - .args:
      - .offset:         0
        .size:           152
        .value_kind:     by_value
    .group_segment_fixed_size: 0
    .kernarg_segment_align: 8
    .kernarg_segment_size: 152
    .language:       OpenCL C
    .language_version:
      - 2
      - 0
    .max_flat_workgroup_size: 256
    .name:           _ZN7rocprim17ROCPRIM_400000_NS6detail17trampoline_kernelINS0_13select_configILj256ELj13ELNS0_17block_load_methodE3ELS4_3ELS4_3ELNS0_20block_scan_algorithmE0ELj4294967295EEENS1_25partition_config_selectorILNS1_17partition_subalgoE3EjNS0_10empty_typeEbEEZZNS1_14partition_implILS8_3ELb0ES6_jNS0_17counting_iteratorIjlEEPS9_SE_NS0_5tupleIJPjSE_EEENSF_IJSE_SE_EEES9_SG_JZNS1_25segmented_radix_sort_implINS0_14default_configELb0EPKlPlSM_SN_N2at6native12_GLOBAL__N_18offset_tEEE10hipError_tPvRmT1_PNSt15iterator_traitsISV_E10value_typeET2_T3_PNSW_IS11_E10value_typeET4_jRbjT5_S17_jjP12ihipStream_tbEUljE_EEESS_ST_SU_S11_S15_S17_T6_T7_T9_mT8_S19_bDpT10_ENKUlT_T0_E_clISt17integral_constantIbLb0EES1L_IbLb1EEEEDaS1H_S1I_EUlS1H_E_NS1_11comp_targetILNS1_3genE4ELNS1_11target_archE910ELNS1_3gpuE8ELNS1_3repE0EEENS1_30default_config_static_selectorELNS0_4arch9wavefront6targetE0EEEvSV_
    .private_segment_fixed_size: 0
    .sgpr_count:     0
    .sgpr_spill_count: 0
    .symbol:         _ZN7rocprim17ROCPRIM_400000_NS6detail17trampoline_kernelINS0_13select_configILj256ELj13ELNS0_17block_load_methodE3ELS4_3ELS4_3ELNS0_20block_scan_algorithmE0ELj4294967295EEENS1_25partition_config_selectorILNS1_17partition_subalgoE3EjNS0_10empty_typeEbEEZZNS1_14partition_implILS8_3ELb0ES6_jNS0_17counting_iteratorIjlEEPS9_SE_NS0_5tupleIJPjSE_EEENSF_IJSE_SE_EEES9_SG_JZNS1_25segmented_radix_sort_implINS0_14default_configELb0EPKlPlSM_SN_N2at6native12_GLOBAL__N_18offset_tEEE10hipError_tPvRmT1_PNSt15iterator_traitsISV_E10value_typeET2_T3_PNSW_IS11_E10value_typeET4_jRbjT5_S17_jjP12ihipStream_tbEUljE_EEESS_ST_SU_S11_S15_S17_T6_T7_T9_mT8_S19_bDpT10_ENKUlT_T0_E_clISt17integral_constantIbLb0EES1L_IbLb1EEEEDaS1H_S1I_EUlS1H_E_NS1_11comp_targetILNS1_3genE4ELNS1_11target_archE910ELNS1_3gpuE8ELNS1_3repE0EEENS1_30default_config_static_selectorELNS0_4arch9wavefront6targetE0EEEvSV_.kd
    .uniform_work_group_size: 1
    .uses_dynamic_stack: false
    .vgpr_count:     0
    .vgpr_spill_count: 0
    .wavefront_size: 32
  - .args:
      - .offset:         0
        .size:           152
        .value_kind:     by_value
    .group_segment_fixed_size: 0
    .kernarg_segment_align: 8
    .kernarg_segment_size: 152
    .language:       OpenCL C
    .language_version:
      - 2
      - 0
    .max_flat_workgroup_size: 256
    .name:           _ZN7rocprim17ROCPRIM_400000_NS6detail17trampoline_kernelINS0_13select_configILj256ELj13ELNS0_17block_load_methodE3ELS4_3ELS4_3ELNS0_20block_scan_algorithmE0ELj4294967295EEENS1_25partition_config_selectorILNS1_17partition_subalgoE3EjNS0_10empty_typeEbEEZZNS1_14partition_implILS8_3ELb0ES6_jNS0_17counting_iteratorIjlEEPS9_SE_NS0_5tupleIJPjSE_EEENSF_IJSE_SE_EEES9_SG_JZNS1_25segmented_radix_sort_implINS0_14default_configELb0EPKlPlSM_SN_N2at6native12_GLOBAL__N_18offset_tEEE10hipError_tPvRmT1_PNSt15iterator_traitsISV_E10value_typeET2_T3_PNSW_IS11_E10value_typeET4_jRbjT5_S17_jjP12ihipStream_tbEUljE_EEESS_ST_SU_S11_S15_S17_T6_T7_T9_mT8_S19_bDpT10_ENKUlT_T0_E_clISt17integral_constantIbLb0EES1L_IbLb1EEEEDaS1H_S1I_EUlS1H_E_NS1_11comp_targetILNS1_3genE3ELNS1_11target_archE908ELNS1_3gpuE7ELNS1_3repE0EEENS1_30default_config_static_selectorELNS0_4arch9wavefront6targetE0EEEvSV_
    .private_segment_fixed_size: 0
    .sgpr_count:     0
    .sgpr_spill_count: 0
    .symbol:         _ZN7rocprim17ROCPRIM_400000_NS6detail17trampoline_kernelINS0_13select_configILj256ELj13ELNS0_17block_load_methodE3ELS4_3ELS4_3ELNS0_20block_scan_algorithmE0ELj4294967295EEENS1_25partition_config_selectorILNS1_17partition_subalgoE3EjNS0_10empty_typeEbEEZZNS1_14partition_implILS8_3ELb0ES6_jNS0_17counting_iteratorIjlEEPS9_SE_NS0_5tupleIJPjSE_EEENSF_IJSE_SE_EEES9_SG_JZNS1_25segmented_radix_sort_implINS0_14default_configELb0EPKlPlSM_SN_N2at6native12_GLOBAL__N_18offset_tEEE10hipError_tPvRmT1_PNSt15iterator_traitsISV_E10value_typeET2_T3_PNSW_IS11_E10value_typeET4_jRbjT5_S17_jjP12ihipStream_tbEUljE_EEESS_ST_SU_S11_S15_S17_T6_T7_T9_mT8_S19_bDpT10_ENKUlT_T0_E_clISt17integral_constantIbLb0EES1L_IbLb1EEEEDaS1H_S1I_EUlS1H_E_NS1_11comp_targetILNS1_3genE3ELNS1_11target_archE908ELNS1_3gpuE7ELNS1_3repE0EEENS1_30default_config_static_selectorELNS0_4arch9wavefront6targetE0EEEvSV_.kd
    .uniform_work_group_size: 1
    .uses_dynamic_stack: false
    .vgpr_count:     0
    .vgpr_spill_count: 0
    .wavefront_size: 32
  - .args:
      - .offset:         0
        .size:           152
        .value_kind:     by_value
    .group_segment_fixed_size: 0
    .kernarg_segment_align: 8
    .kernarg_segment_size: 152
    .language:       OpenCL C
    .language_version:
      - 2
      - 0
    .max_flat_workgroup_size: 256
    .name:           _ZN7rocprim17ROCPRIM_400000_NS6detail17trampoline_kernelINS0_13select_configILj256ELj13ELNS0_17block_load_methodE3ELS4_3ELS4_3ELNS0_20block_scan_algorithmE0ELj4294967295EEENS1_25partition_config_selectorILNS1_17partition_subalgoE3EjNS0_10empty_typeEbEEZZNS1_14partition_implILS8_3ELb0ES6_jNS0_17counting_iteratorIjlEEPS9_SE_NS0_5tupleIJPjSE_EEENSF_IJSE_SE_EEES9_SG_JZNS1_25segmented_radix_sort_implINS0_14default_configELb0EPKlPlSM_SN_N2at6native12_GLOBAL__N_18offset_tEEE10hipError_tPvRmT1_PNSt15iterator_traitsISV_E10value_typeET2_T3_PNSW_IS11_E10value_typeET4_jRbjT5_S17_jjP12ihipStream_tbEUljE_EEESS_ST_SU_S11_S15_S17_T6_T7_T9_mT8_S19_bDpT10_ENKUlT_T0_E_clISt17integral_constantIbLb0EES1L_IbLb1EEEEDaS1H_S1I_EUlS1H_E_NS1_11comp_targetILNS1_3genE2ELNS1_11target_archE906ELNS1_3gpuE6ELNS1_3repE0EEENS1_30default_config_static_selectorELNS0_4arch9wavefront6targetE0EEEvSV_
    .private_segment_fixed_size: 0
    .sgpr_count:     0
    .sgpr_spill_count: 0
    .symbol:         _ZN7rocprim17ROCPRIM_400000_NS6detail17trampoline_kernelINS0_13select_configILj256ELj13ELNS0_17block_load_methodE3ELS4_3ELS4_3ELNS0_20block_scan_algorithmE0ELj4294967295EEENS1_25partition_config_selectorILNS1_17partition_subalgoE3EjNS0_10empty_typeEbEEZZNS1_14partition_implILS8_3ELb0ES6_jNS0_17counting_iteratorIjlEEPS9_SE_NS0_5tupleIJPjSE_EEENSF_IJSE_SE_EEES9_SG_JZNS1_25segmented_radix_sort_implINS0_14default_configELb0EPKlPlSM_SN_N2at6native12_GLOBAL__N_18offset_tEEE10hipError_tPvRmT1_PNSt15iterator_traitsISV_E10value_typeET2_T3_PNSW_IS11_E10value_typeET4_jRbjT5_S17_jjP12ihipStream_tbEUljE_EEESS_ST_SU_S11_S15_S17_T6_T7_T9_mT8_S19_bDpT10_ENKUlT_T0_E_clISt17integral_constantIbLb0EES1L_IbLb1EEEEDaS1H_S1I_EUlS1H_E_NS1_11comp_targetILNS1_3genE2ELNS1_11target_archE906ELNS1_3gpuE6ELNS1_3repE0EEENS1_30default_config_static_selectorELNS0_4arch9wavefront6targetE0EEEvSV_.kd
    .uniform_work_group_size: 1
    .uses_dynamic_stack: false
    .vgpr_count:     0
    .vgpr_spill_count: 0
    .wavefront_size: 32
  - .args:
      - .offset:         0
        .size:           152
        .value_kind:     by_value
    .group_segment_fixed_size: 0
    .kernarg_segment_align: 8
    .kernarg_segment_size: 152
    .language:       OpenCL C
    .language_version:
      - 2
      - 0
    .max_flat_workgroup_size: 256
    .name:           _ZN7rocprim17ROCPRIM_400000_NS6detail17trampoline_kernelINS0_13select_configILj256ELj13ELNS0_17block_load_methodE3ELS4_3ELS4_3ELNS0_20block_scan_algorithmE0ELj4294967295EEENS1_25partition_config_selectorILNS1_17partition_subalgoE3EjNS0_10empty_typeEbEEZZNS1_14partition_implILS8_3ELb0ES6_jNS0_17counting_iteratorIjlEEPS9_SE_NS0_5tupleIJPjSE_EEENSF_IJSE_SE_EEES9_SG_JZNS1_25segmented_radix_sort_implINS0_14default_configELb0EPKlPlSM_SN_N2at6native12_GLOBAL__N_18offset_tEEE10hipError_tPvRmT1_PNSt15iterator_traitsISV_E10value_typeET2_T3_PNSW_IS11_E10value_typeET4_jRbjT5_S17_jjP12ihipStream_tbEUljE_EEESS_ST_SU_S11_S15_S17_T6_T7_T9_mT8_S19_bDpT10_ENKUlT_T0_E_clISt17integral_constantIbLb0EES1L_IbLb1EEEEDaS1H_S1I_EUlS1H_E_NS1_11comp_targetILNS1_3genE10ELNS1_11target_archE1200ELNS1_3gpuE4ELNS1_3repE0EEENS1_30default_config_static_selectorELNS0_4arch9wavefront6targetE0EEEvSV_
    .private_segment_fixed_size: 0
    .sgpr_count:     0
    .sgpr_spill_count: 0
    .symbol:         _ZN7rocprim17ROCPRIM_400000_NS6detail17trampoline_kernelINS0_13select_configILj256ELj13ELNS0_17block_load_methodE3ELS4_3ELS4_3ELNS0_20block_scan_algorithmE0ELj4294967295EEENS1_25partition_config_selectorILNS1_17partition_subalgoE3EjNS0_10empty_typeEbEEZZNS1_14partition_implILS8_3ELb0ES6_jNS0_17counting_iteratorIjlEEPS9_SE_NS0_5tupleIJPjSE_EEENSF_IJSE_SE_EEES9_SG_JZNS1_25segmented_radix_sort_implINS0_14default_configELb0EPKlPlSM_SN_N2at6native12_GLOBAL__N_18offset_tEEE10hipError_tPvRmT1_PNSt15iterator_traitsISV_E10value_typeET2_T3_PNSW_IS11_E10value_typeET4_jRbjT5_S17_jjP12ihipStream_tbEUljE_EEESS_ST_SU_S11_S15_S17_T6_T7_T9_mT8_S19_bDpT10_ENKUlT_T0_E_clISt17integral_constantIbLb0EES1L_IbLb1EEEEDaS1H_S1I_EUlS1H_E_NS1_11comp_targetILNS1_3genE10ELNS1_11target_archE1200ELNS1_3gpuE4ELNS1_3repE0EEENS1_30default_config_static_selectorELNS0_4arch9wavefront6targetE0EEEvSV_.kd
    .uniform_work_group_size: 1
    .uses_dynamic_stack: false
    .vgpr_count:     0
    .vgpr_spill_count: 0
    .wavefront_size: 32
  - .args:
      - .offset:         0
        .size:           152
        .value_kind:     by_value
    .group_segment_fixed_size: 0
    .kernarg_segment_align: 8
    .kernarg_segment_size: 152
    .language:       OpenCL C
    .language_version:
      - 2
      - 0
    .max_flat_workgroup_size: 256
    .name:           _ZN7rocprim17ROCPRIM_400000_NS6detail17trampoline_kernelINS0_13select_configILj256ELj13ELNS0_17block_load_methodE3ELS4_3ELS4_3ELNS0_20block_scan_algorithmE0ELj4294967295EEENS1_25partition_config_selectorILNS1_17partition_subalgoE3EjNS0_10empty_typeEbEEZZNS1_14partition_implILS8_3ELb0ES6_jNS0_17counting_iteratorIjlEEPS9_SE_NS0_5tupleIJPjSE_EEENSF_IJSE_SE_EEES9_SG_JZNS1_25segmented_radix_sort_implINS0_14default_configELb0EPKlPlSM_SN_N2at6native12_GLOBAL__N_18offset_tEEE10hipError_tPvRmT1_PNSt15iterator_traitsISV_E10value_typeET2_T3_PNSW_IS11_E10value_typeET4_jRbjT5_S17_jjP12ihipStream_tbEUljE_EEESS_ST_SU_S11_S15_S17_T6_T7_T9_mT8_S19_bDpT10_ENKUlT_T0_E_clISt17integral_constantIbLb0EES1L_IbLb1EEEEDaS1H_S1I_EUlS1H_E_NS1_11comp_targetILNS1_3genE9ELNS1_11target_archE1100ELNS1_3gpuE3ELNS1_3repE0EEENS1_30default_config_static_selectorELNS0_4arch9wavefront6targetE0EEEvSV_
    .private_segment_fixed_size: 0
    .sgpr_count:     0
    .sgpr_spill_count: 0
    .symbol:         _ZN7rocprim17ROCPRIM_400000_NS6detail17trampoline_kernelINS0_13select_configILj256ELj13ELNS0_17block_load_methodE3ELS4_3ELS4_3ELNS0_20block_scan_algorithmE0ELj4294967295EEENS1_25partition_config_selectorILNS1_17partition_subalgoE3EjNS0_10empty_typeEbEEZZNS1_14partition_implILS8_3ELb0ES6_jNS0_17counting_iteratorIjlEEPS9_SE_NS0_5tupleIJPjSE_EEENSF_IJSE_SE_EEES9_SG_JZNS1_25segmented_radix_sort_implINS0_14default_configELb0EPKlPlSM_SN_N2at6native12_GLOBAL__N_18offset_tEEE10hipError_tPvRmT1_PNSt15iterator_traitsISV_E10value_typeET2_T3_PNSW_IS11_E10value_typeET4_jRbjT5_S17_jjP12ihipStream_tbEUljE_EEESS_ST_SU_S11_S15_S17_T6_T7_T9_mT8_S19_bDpT10_ENKUlT_T0_E_clISt17integral_constantIbLb0EES1L_IbLb1EEEEDaS1H_S1I_EUlS1H_E_NS1_11comp_targetILNS1_3genE9ELNS1_11target_archE1100ELNS1_3gpuE3ELNS1_3repE0EEENS1_30default_config_static_selectorELNS0_4arch9wavefront6targetE0EEEvSV_.kd
    .uniform_work_group_size: 1
    .uses_dynamic_stack: false
    .vgpr_count:     0
    .vgpr_spill_count: 0
    .wavefront_size: 32
  - .args:
      - .offset:         0
        .size:           152
        .value_kind:     by_value
    .group_segment_fixed_size: 0
    .kernarg_segment_align: 8
    .kernarg_segment_size: 152
    .language:       OpenCL C
    .language_version:
      - 2
      - 0
    .max_flat_workgroup_size: 256
    .name:           _ZN7rocprim17ROCPRIM_400000_NS6detail17trampoline_kernelINS0_13select_configILj256ELj13ELNS0_17block_load_methodE3ELS4_3ELS4_3ELNS0_20block_scan_algorithmE0ELj4294967295EEENS1_25partition_config_selectorILNS1_17partition_subalgoE3EjNS0_10empty_typeEbEEZZNS1_14partition_implILS8_3ELb0ES6_jNS0_17counting_iteratorIjlEEPS9_SE_NS0_5tupleIJPjSE_EEENSF_IJSE_SE_EEES9_SG_JZNS1_25segmented_radix_sort_implINS0_14default_configELb0EPKlPlSM_SN_N2at6native12_GLOBAL__N_18offset_tEEE10hipError_tPvRmT1_PNSt15iterator_traitsISV_E10value_typeET2_T3_PNSW_IS11_E10value_typeET4_jRbjT5_S17_jjP12ihipStream_tbEUljE_EEESS_ST_SU_S11_S15_S17_T6_T7_T9_mT8_S19_bDpT10_ENKUlT_T0_E_clISt17integral_constantIbLb0EES1L_IbLb1EEEEDaS1H_S1I_EUlS1H_E_NS1_11comp_targetILNS1_3genE8ELNS1_11target_archE1030ELNS1_3gpuE2ELNS1_3repE0EEENS1_30default_config_static_selectorELNS0_4arch9wavefront6targetE0EEEvSV_
    .private_segment_fixed_size: 0
    .sgpr_count:     0
    .sgpr_spill_count: 0
    .symbol:         _ZN7rocprim17ROCPRIM_400000_NS6detail17trampoline_kernelINS0_13select_configILj256ELj13ELNS0_17block_load_methodE3ELS4_3ELS4_3ELNS0_20block_scan_algorithmE0ELj4294967295EEENS1_25partition_config_selectorILNS1_17partition_subalgoE3EjNS0_10empty_typeEbEEZZNS1_14partition_implILS8_3ELb0ES6_jNS0_17counting_iteratorIjlEEPS9_SE_NS0_5tupleIJPjSE_EEENSF_IJSE_SE_EEES9_SG_JZNS1_25segmented_radix_sort_implINS0_14default_configELb0EPKlPlSM_SN_N2at6native12_GLOBAL__N_18offset_tEEE10hipError_tPvRmT1_PNSt15iterator_traitsISV_E10value_typeET2_T3_PNSW_IS11_E10value_typeET4_jRbjT5_S17_jjP12ihipStream_tbEUljE_EEESS_ST_SU_S11_S15_S17_T6_T7_T9_mT8_S19_bDpT10_ENKUlT_T0_E_clISt17integral_constantIbLb0EES1L_IbLb1EEEEDaS1H_S1I_EUlS1H_E_NS1_11comp_targetILNS1_3genE8ELNS1_11target_archE1030ELNS1_3gpuE2ELNS1_3repE0EEENS1_30default_config_static_selectorELNS0_4arch9wavefront6targetE0EEEvSV_.kd
    .uniform_work_group_size: 1
    .uses_dynamic_stack: false
    .vgpr_count:     0
    .vgpr_spill_count: 0
    .wavefront_size: 32
  - .args:
      - .offset:         0
        .size:           96
        .value_kind:     by_value
      - .offset:         96
        .size:           4
        .value_kind:     hidden_block_count_x
      - .offset:         100
        .size:           4
        .value_kind:     hidden_block_count_y
      - .offset:         104
        .size:           4
        .value_kind:     hidden_block_count_z
      - .offset:         108
        .size:           2
        .value_kind:     hidden_group_size_x
      - .offset:         110
        .size:           2
        .value_kind:     hidden_group_size_y
      - .offset:         112
        .size:           2
        .value_kind:     hidden_group_size_z
      - .offset:         114
        .size:           2
        .value_kind:     hidden_remainder_x
      - .offset:         116
        .size:           2
        .value_kind:     hidden_remainder_y
      - .offset:         118
        .size:           2
        .value_kind:     hidden_remainder_z
      - .offset:         136
        .size:           8
        .value_kind:     hidden_global_offset_x
      - .offset:         144
        .size:           8
        .value_kind:     hidden_global_offset_y
      - .offset:         152
        .size:           8
        .value_kind:     hidden_global_offset_z
      - .offset:         160
        .size:           2
        .value_kind:     hidden_grid_dims
      - .offset:         176
        .size:           8
        .value_kind:     hidden_hostcall_buffer
      - .offset:         184
        .size:           8
        .value_kind:     hidden_multigrid_sync_arg
      - .offset:         192
        .size:           8
        .value_kind:     hidden_heap_v1
      - .offset:         200
        .size:           8
        .value_kind:     hidden_default_queue
      - .offset:         208
        .size:           8
        .value_kind:     hidden_completion_action
      - .offset:         296
        .size:           8
        .value_kind:     hidden_queue_ptr
    .group_segment_fixed_size: 33824
    .kernarg_segment_align: 8
    .kernarg_segment_size: 352
    .language:       OpenCL C
    .language_version:
      - 2
      - 0
    .max_flat_workgroup_size: 256
    .name:           _ZN7rocprim17ROCPRIM_400000_NS6detail17trampoline_kernelINS0_14default_configENS1_36segmented_radix_sort_config_selectorIllEEZNS1_25segmented_radix_sort_implIS3_Lb0EPKlPlS8_S9_N2at6native12_GLOBAL__N_18offset_tEEE10hipError_tPvRmT1_PNSt15iterator_traitsISH_E10value_typeET2_T3_PNSI_ISN_E10value_typeET4_jRbjT5_ST_jjP12ihipStream_tbEUlT_E_NS1_11comp_targetILNS1_3genE0ELNS1_11target_archE4294967295ELNS1_3gpuE0ELNS1_3repE0EEENS1_30default_config_static_selectorELNS0_4arch9wavefront6targetE0EEEvSH_
    .private_segment_fixed_size: 0
    .sgpr_count:     62
    .sgpr_spill_count: 0
    .symbol:         _ZN7rocprim17ROCPRIM_400000_NS6detail17trampoline_kernelINS0_14default_configENS1_36segmented_radix_sort_config_selectorIllEEZNS1_25segmented_radix_sort_implIS3_Lb0EPKlPlS8_S9_N2at6native12_GLOBAL__N_18offset_tEEE10hipError_tPvRmT1_PNSt15iterator_traitsISH_E10value_typeET2_T3_PNSI_ISN_E10value_typeET4_jRbjT5_ST_jjP12ihipStream_tbEUlT_E_NS1_11comp_targetILNS1_3genE0ELNS1_11target_archE4294967295ELNS1_3gpuE0ELNS1_3repE0EEENS1_30default_config_static_selectorELNS0_4arch9wavefront6targetE0EEEvSH_.kd
    .uniform_work_group_size: 1
    .uses_dynamic_stack: false
    .vgpr_count:     319
    .vgpr_spill_count: 0
    .wavefront_size: 32
  - .args:
      - .offset:         0
        .size:           96
        .value_kind:     by_value
    .group_segment_fixed_size: 0
    .kernarg_segment_align: 8
    .kernarg_segment_size: 96
    .language:       OpenCL C
    .language_version:
      - 2
      - 0
    .max_flat_workgroup_size: 256
    .name:           _ZN7rocprim17ROCPRIM_400000_NS6detail17trampoline_kernelINS0_14default_configENS1_36segmented_radix_sort_config_selectorIllEEZNS1_25segmented_radix_sort_implIS3_Lb0EPKlPlS8_S9_N2at6native12_GLOBAL__N_18offset_tEEE10hipError_tPvRmT1_PNSt15iterator_traitsISH_E10value_typeET2_T3_PNSI_ISN_E10value_typeET4_jRbjT5_ST_jjP12ihipStream_tbEUlT_E_NS1_11comp_targetILNS1_3genE5ELNS1_11target_archE942ELNS1_3gpuE9ELNS1_3repE0EEENS1_30default_config_static_selectorELNS0_4arch9wavefront6targetE0EEEvSH_
    .private_segment_fixed_size: 0
    .sgpr_count:     0
    .sgpr_spill_count: 0
    .symbol:         _ZN7rocprim17ROCPRIM_400000_NS6detail17trampoline_kernelINS0_14default_configENS1_36segmented_radix_sort_config_selectorIllEEZNS1_25segmented_radix_sort_implIS3_Lb0EPKlPlS8_S9_N2at6native12_GLOBAL__N_18offset_tEEE10hipError_tPvRmT1_PNSt15iterator_traitsISH_E10value_typeET2_T3_PNSI_ISN_E10value_typeET4_jRbjT5_ST_jjP12ihipStream_tbEUlT_E_NS1_11comp_targetILNS1_3genE5ELNS1_11target_archE942ELNS1_3gpuE9ELNS1_3repE0EEENS1_30default_config_static_selectorELNS0_4arch9wavefront6targetE0EEEvSH_.kd
    .uniform_work_group_size: 1
    .uses_dynamic_stack: false
    .vgpr_count:     0
    .vgpr_spill_count: 0
    .wavefront_size: 32
  - .args:
      - .offset:         0
        .size:           96
        .value_kind:     by_value
    .group_segment_fixed_size: 0
    .kernarg_segment_align: 8
    .kernarg_segment_size: 96
    .language:       OpenCL C
    .language_version:
      - 2
      - 0
    .max_flat_workgroup_size: 256
    .name:           _ZN7rocprim17ROCPRIM_400000_NS6detail17trampoline_kernelINS0_14default_configENS1_36segmented_radix_sort_config_selectorIllEEZNS1_25segmented_radix_sort_implIS3_Lb0EPKlPlS8_S9_N2at6native12_GLOBAL__N_18offset_tEEE10hipError_tPvRmT1_PNSt15iterator_traitsISH_E10value_typeET2_T3_PNSI_ISN_E10value_typeET4_jRbjT5_ST_jjP12ihipStream_tbEUlT_E_NS1_11comp_targetILNS1_3genE4ELNS1_11target_archE910ELNS1_3gpuE8ELNS1_3repE0EEENS1_30default_config_static_selectorELNS0_4arch9wavefront6targetE0EEEvSH_
    .private_segment_fixed_size: 0
    .sgpr_count:     0
    .sgpr_spill_count: 0
    .symbol:         _ZN7rocprim17ROCPRIM_400000_NS6detail17trampoline_kernelINS0_14default_configENS1_36segmented_radix_sort_config_selectorIllEEZNS1_25segmented_radix_sort_implIS3_Lb0EPKlPlS8_S9_N2at6native12_GLOBAL__N_18offset_tEEE10hipError_tPvRmT1_PNSt15iterator_traitsISH_E10value_typeET2_T3_PNSI_ISN_E10value_typeET4_jRbjT5_ST_jjP12ihipStream_tbEUlT_E_NS1_11comp_targetILNS1_3genE4ELNS1_11target_archE910ELNS1_3gpuE8ELNS1_3repE0EEENS1_30default_config_static_selectorELNS0_4arch9wavefront6targetE0EEEvSH_.kd
    .uniform_work_group_size: 1
    .uses_dynamic_stack: false
    .vgpr_count:     0
    .vgpr_spill_count: 0
    .wavefront_size: 32
  - .args:
      - .offset:         0
        .size:           96
        .value_kind:     by_value
    .group_segment_fixed_size: 0
    .kernarg_segment_align: 8
    .kernarg_segment_size: 96
    .language:       OpenCL C
    .language_version:
      - 2
      - 0
    .max_flat_workgroup_size: 256
    .name:           _ZN7rocprim17ROCPRIM_400000_NS6detail17trampoline_kernelINS0_14default_configENS1_36segmented_radix_sort_config_selectorIllEEZNS1_25segmented_radix_sort_implIS3_Lb0EPKlPlS8_S9_N2at6native12_GLOBAL__N_18offset_tEEE10hipError_tPvRmT1_PNSt15iterator_traitsISH_E10value_typeET2_T3_PNSI_ISN_E10value_typeET4_jRbjT5_ST_jjP12ihipStream_tbEUlT_E_NS1_11comp_targetILNS1_3genE3ELNS1_11target_archE908ELNS1_3gpuE7ELNS1_3repE0EEENS1_30default_config_static_selectorELNS0_4arch9wavefront6targetE0EEEvSH_
    .private_segment_fixed_size: 0
    .sgpr_count:     0
    .sgpr_spill_count: 0
    .symbol:         _ZN7rocprim17ROCPRIM_400000_NS6detail17trampoline_kernelINS0_14default_configENS1_36segmented_radix_sort_config_selectorIllEEZNS1_25segmented_radix_sort_implIS3_Lb0EPKlPlS8_S9_N2at6native12_GLOBAL__N_18offset_tEEE10hipError_tPvRmT1_PNSt15iterator_traitsISH_E10value_typeET2_T3_PNSI_ISN_E10value_typeET4_jRbjT5_ST_jjP12ihipStream_tbEUlT_E_NS1_11comp_targetILNS1_3genE3ELNS1_11target_archE908ELNS1_3gpuE7ELNS1_3repE0EEENS1_30default_config_static_selectorELNS0_4arch9wavefront6targetE0EEEvSH_.kd
    .uniform_work_group_size: 1
    .uses_dynamic_stack: false
    .vgpr_count:     0
    .vgpr_spill_count: 0
    .wavefront_size: 32
  - .args:
      - .offset:         0
        .size:           96
        .value_kind:     by_value
    .group_segment_fixed_size: 0
    .kernarg_segment_align: 8
    .kernarg_segment_size: 96
    .language:       OpenCL C
    .language_version:
      - 2
      - 0
    .max_flat_workgroup_size: 256
    .name:           _ZN7rocprim17ROCPRIM_400000_NS6detail17trampoline_kernelINS0_14default_configENS1_36segmented_radix_sort_config_selectorIllEEZNS1_25segmented_radix_sort_implIS3_Lb0EPKlPlS8_S9_N2at6native12_GLOBAL__N_18offset_tEEE10hipError_tPvRmT1_PNSt15iterator_traitsISH_E10value_typeET2_T3_PNSI_ISN_E10value_typeET4_jRbjT5_ST_jjP12ihipStream_tbEUlT_E_NS1_11comp_targetILNS1_3genE2ELNS1_11target_archE906ELNS1_3gpuE6ELNS1_3repE0EEENS1_30default_config_static_selectorELNS0_4arch9wavefront6targetE0EEEvSH_
    .private_segment_fixed_size: 0
    .sgpr_count:     0
    .sgpr_spill_count: 0
    .symbol:         _ZN7rocprim17ROCPRIM_400000_NS6detail17trampoline_kernelINS0_14default_configENS1_36segmented_radix_sort_config_selectorIllEEZNS1_25segmented_radix_sort_implIS3_Lb0EPKlPlS8_S9_N2at6native12_GLOBAL__N_18offset_tEEE10hipError_tPvRmT1_PNSt15iterator_traitsISH_E10value_typeET2_T3_PNSI_ISN_E10value_typeET4_jRbjT5_ST_jjP12ihipStream_tbEUlT_E_NS1_11comp_targetILNS1_3genE2ELNS1_11target_archE906ELNS1_3gpuE6ELNS1_3repE0EEENS1_30default_config_static_selectorELNS0_4arch9wavefront6targetE0EEEvSH_.kd
    .uniform_work_group_size: 1
    .uses_dynamic_stack: false
    .vgpr_count:     0
    .vgpr_spill_count: 0
    .wavefront_size: 32
  - .args:
      - .offset:         0
        .size:           96
        .value_kind:     by_value
    .group_segment_fixed_size: 0
    .kernarg_segment_align: 8
    .kernarg_segment_size: 96
    .language:       OpenCL C
    .language_version:
      - 2
      - 0
    .max_flat_workgroup_size: 256
    .name:           _ZN7rocprim17ROCPRIM_400000_NS6detail17trampoline_kernelINS0_14default_configENS1_36segmented_radix_sort_config_selectorIllEEZNS1_25segmented_radix_sort_implIS3_Lb0EPKlPlS8_S9_N2at6native12_GLOBAL__N_18offset_tEEE10hipError_tPvRmT1_PNSt15iterator_traitsISH_E10value_typeET2_T3_PNSI_ISN_E10value_typeET4_jRbjT5_ST_jjP12ihipStream_tbEUlT_E_NS1_11comp_targetILNS1_3genE10ELNS1_11target_archE1201ELNS1_3gpuE5ELNS1_3repE0EEENS1_30default_config_static_selectorELNS0_4arch9wavefront6targetE0EEEvSH_
    .private_segment_fixed_size: 0
    .sgpr_count:     0
    .sgpr_spill_count: 0
    .symbol:         _ZN7rocprim17ROCPRIM_400000_NS6detail17trampoline_kernelINS0_14default_configENS1_36segmented_radix_sort_config_selectorIllEEZNS1_25segmented_radix_sort_implIS3_Lb0EPKlPlS8_S9_N2at6native12_GLOBAL__N_18offset_tEEE10hipError_tPvRmT1_PNSt15iterator_traitsISH_E10value_typeET2_T3_PNSI_ISN_E10value_typeET4_jRbjT5_ST_jjP12ihipStream_tbEUlT_E_NS1_11comp_targetILNS1_3genE10ELNS1_11target_archE1201ELNS1_3gpuE5ELNS1_3repE0EEENS1_30default_config_static_selectorELNS0_4arch9wavefront6targetE0EEEvSH_.kd
    .uniform_work_group_size: 1
    .uses_dynamic_stack: false
    .vgpr_count:     0
    .vgpr_spill_count: 0
    .wavefront_size: 32
  - .args:
      - .offset:         0
        .size:           96
        .value_kind:     by_value
    .group_segment_fixed_size: 0
    .kernarg_segment_align: 8
    .kernarg_segment_size: 96
    .language:       OpenCL C
    .language_version:
      - 2
      - 0
    .max_flat_workgroup_size: 128
    .name:           _ZN7rocprim17ROCPRIM_400000_NS6detail17trampoline_kernelINS0_14default_configENS1_36segmented_radix_sort_config_selectorIllEEZNS1_25segmented_radix_sort_implIS3_Lb0EPKlPlS8_S9_N2at6native12_GLOBAL__N_18offset_tEEE10hipError_tPvRmT1_PNSt15iterator_traitsISH_E10value_typeET2_T3_PNSI_ISN_E10value_typeET4_jRbjT5_ST_jjP12ihipStream_tbEUlT_E_NS1_11comp_targetILNS1_3genE10ELNS1_11target_archE1200ELNS1_3gpuE4ELNS1_3repE0EEENS1_30default_config_static_selectorELNS0_4arch9wavefront6targetE0EEEvSH_
    .private_segment_fixed_size: 0
    .sgpr_count:     0
    .sgpr_spill_count: 0
    .symbol:         _ZN7rocprim17ROCPRIM_400000_NS6detail17trampoline_kernelINS0_14default_configENS1_36segmented_radix_sort_config_selectorIllEEZNS1_25segmented_radix_sort_implIS3_Lb0EPKlPlS8_S9_N2at6native12_GLOBAL__N_18offset_tEEE10hipError_tPvRmT1_PNSt15iterator_traitsISH_E10value_typeET2_T3_PNSI_ISN_E10value_typeET4_jRbjT5_ST_jjP12ihipStream_tbEUlT_E_NS1_11comp_targetILNS1_3genE10ELNS1_11target_archE1200ELNS1_3gpuE4ELNS1_3repE0EEENS1_30default_config_static_selectorELNS0_4arch9wavefront6targetE0EEEvSH_.kd
    .uniform_work_group_size: 1
    .uses_dynamic_stack: false
    .vgpr_count:     0
    .vgpr_spill_count: 0
    .wavefront_size: 32
  - .args:
      - .offset:         0
        .size:           96
        .value_kind:     by_value
    .group_segment_fixed_size: 0
    .kernarg_segment_align: 8
    .kernarg_segment_size: 96
    .language:       OpenCL C
    .language_version:
      - 2
      - 0
    .max_flat_workgroup_size: 256
    .name:           _ZN7rocprim17ROCPRIM_400000_NS6detail17trampoline_kernelINS0_14default_configENS1_36segmented_radix_sort_config_selectorIllEEZNS1_25segmented_radix_sort_implIS3_Lb0EPKlPlS8_S9_N2at6native12_GLOBAL__N_18offset_tEEE10hipError_tPvRmT1_PNSt15iterator_traitsISH_E10value_typeET2_T3_PNSI_ISN_E10value_typeET4_jRbjT5_ST_jjP12ihipStream_tbEUlT_E_NS1_11comp_targetILNS1_3genE9ELNS1_11target_archE1100ELNS1_3gpuE3ELNS1_3repE0EEENS1_30default_config_static_selectorELNS0_4arch9wavefront6targetE0EEEvSH_
    .private_segment_fixed_size: 0
    .sgpr_count:     0
    .sgpr_spill_count: 0
    .symbol:         _ZN7rocprim17ROCPRIM_400000_NS6detail17trampoline_kernelINS0_14default_configENS1_36segmented_radix_sort_config_selectorIllEEZNS1_25segmented_radix_sort_implIS3_Lb0EPKlPlS8_S9_N2at6native12_GLOBAL__N_18offset_tEEE10hipError_tPvRmT1_PNSt15iterator_traitsISH_E10value_typeET2_T3_PNSI_ISN_E10value_typeET4_jRbjT5_ST_jjP12ihipStream_tbEUlT_E_NS1_11comp_targetILNS1_3genE9ELNS1_11target_archE1100ELNS1_3gpuE3ELNS1_3repE0EEENS1_30default_config_static_selectorELNS0_4arch9wavefront6targetE0EEEvSH_.kd
    .uniform_work_group_size: 1
    .uses_dynamic_stack: false
    .vgpr_count:     0
    .vgpr_spill_count: 0
    .wavefront_size: 32
  - .args:
      - .offset:         0
        .size:           96
        .value_kind:     by_value
    .group_segment_fixed_size: 0
    .kernarg_segment_align: 8
    .kernarg_segment_size: 96
    .language:       OpenCL C
    .language_version:
      - 2
      - 0
    .max_flat_workgroup_size: 256
    .name:           _ZN7rocprim17ROCPRIM_400000_NS6detail17trampoline_kernelINS0_14default_configENS1_36segmented_radix_sort_config_selectorIllEEZNS1_25segmented_radix_sort_implIS3_Lb0EPKlPlS8_S9_N2at6native12_GLOBAL__N_18offset_tEEE10hipError_tPvRmT1_PNSt15iterator_traitsISH_E10value_typeET2_T3_PNSI_ISN_E10value_typeET4_jRbjT5_ST_jjP12ihipStream_tbEUlT_E_NS1_11comp_targetILNS1_3genE8ELNS1_11target_archE1030ELNS1_3gpuE2ELNS1_3repE0EEENS1_30default_config_static_selectorELNS0_4arch9wavefront6targetE0EEEvSH_
    .private_segment_fixed_size: 0
    .sgpr_count:     0
    .sgpr_spill_count: 0
    .symbol:         _ZN7rocprim17ROCPRIM_400000_NS6detail17trampoline_kernelINS0_14default_configENS1_36segmented_radix_sort_config_selectorIllEEZNS1_25segmented_radix_sort_implIS3_Lb0EPKlPlS8_S9_N2at6native12_GLOBAL__N_18offset_tEEE10hipError_tPvRmT1_PNSt15iterator_traitsISH_E10value_typeET2_T3_PNSI_ISN_E10value_typeET4_jRbjT5_ST_jjP12ihipStream_tbEUlT_E_NS1_11comp_targetILNS1_3genE8ELNS1_11target_archE1030ELNS1_3gpuE2ELNS1_3repE0EEENS1_30default_config_static_selectorELNS0_4arch9wavefront6targetE0EEEvSH_.kd
    .uniform_work_group_size: 1
    .uses_dynamic_stack: false
    .vgpr_count:     0
    .vgpr_spill_count: 0
    .wavefront_size: 32
  - .args:
      - .offset:         0
        .size:           88
        .value_kind:     by_value
      - .offset:         88
        .size:           4
        .value_kind:     hidden_block_count_x
      - .offset:         92
        .size:           4
        .value_kind:     hidden_block_count_y
      - .offset:         96
        .size:           4
        .value_kind:     hidden_block_count_z
      - .offset:         100
        .size:           2
        .value_kind:     hidden_group_size_x
      - .offset:         102
        .size:           2
        .value_kind:     hidden_group_size_y
      - .offset:         104
        .size:           2
        .value_kind:     hidden_group_size_z
      - .offset:         106
        .size:           2
        .value_kind:     hidden_remainder_x
      - .offset:         108
        .size:           2
        .value_kind:     hidden_remainder_y
      - .offset:         110
        .size:           2
        .value_kind:     hidden_remainder_z
      - .offset:         128
        .size:           8
        .value_kind:     hidden_global_offset_x
      - .offset:         136
        .size:           8
        .value_kind:     hidden_global_offset_y
      - .offset:         144
        .size:           8
        .value_kind:     hidden_global_offset_z
      - .offset:         152
        .size:           2
        .value_kind:     hidden_grid_dims
      - .offset:         168
        .size:           8
        .value_kind:     hidden_hostcall_buffer
      - .offset:         176
        .size:           8
        .value_kind:     hidden_multigrid_sync_arg
      - .offset:         184
        .size:           8
        .value_kind:     hidden_heap_v1
      - .offset:         192
        .size:           8
        .value_kind:     hidden_default_queue
      - .offset:         200
        .size:           8
        .value_kind:     hidden_completion_action
      - .offset:         288
        .size:           8
        .value_kind:     hidden_queue_ptr
    .group_segment_fixed_size: 32768
    .kernarg_segment_align: 8
    .kernarg_segment_size: 344
    .language:       OpenCL C
    .language_version:
      - 2
      - 0
    .max_flat_workgroup_size: 256
    .name:           _ZN7rocprim17ROCPRIM_400000_NS6detail17trampoline_kernelINS0_14default_configENS1_36segmented_radix_sort_config_selectorIllEEZNS1_25segmented_radix_sort_implIS3_Lb0EPKlPlS8_S9_N2at6native12_GLOBAL__N_18offset_tEEE10hipError_tPvRmT1_PNSt15iterator_traitsISH_E10value_typeET2_T3_PNSI_ISN_E10value_typeET4_jRbjT5_ST_jjP12ihipStream_tbEUlT_E0_NS1_11comp_targetILNS1_3genE0ELNS1_11target_archE4294967295ELNS1_3gpuE0ELNS1_3repE0EEENS1_60segmented_radix_sort_warp_sort_medium_config_static_selectorELNS0_4arch9wavefront6targetE0EEEvSH_
    .private_segment_fixed_size: 0
    .sgpr_count:     46
    .sgpr_spill_count: 0
    .symbol:         _ZN7rocprim17ROCPRIM_400000_NS6detail17trampoline_kernelINS0_14default_configENS1_36segmented_radix_sort_config_selectorIllEEZNS1_25segmented_radix_sort_implIS3_Lb0EPKlPlS8_S9_N2at6native12_GLOBAL__N_18offset_tEEE10hipError_tPvRmT1_PNSt15iterator_traitsISH_E10value_typeET2_T3_PNSI_ISN_E10value_typeET4_jRbjT5_ST_jjP12ihipStream_tbEUlT_E0_NS1_11comp_targetILNS1_3genE0ELNS1_11target_archE4294967295ELNS1_3gpuE0ELNS1_3repE0EEENS1_60segmented_radix_sort_warp_sort_medium_config_static_selectorELNS0_4arch9wavefront6targetE0EEEvSH_.kd
    .uniform_work_group_size: 1
    .uses_dynamic_stack: false
    .vgpr_count:     98
    .vgpr_spill_count: 0
    .wavefront_size: 32
  - .args:
      - .offset:         0
        .size:           88
        .value_kind:     by_value
    .group_segment_fixed_size: 0
    .kernarg_segment_align: 8
    .kernarg_segment_size: 88
    .language:       OpenCL C
    .language_version:
      - 2
      - 0
    .max_flat_workgroup_size: 256
    .name:           _ZN7rocprim17ROCPRIM_400000_NS6detail17trampoline_kernelINS0_14default_configENS1_36segmented_radix_sort_config_selectorIllEEZNS1_25segmented_radix_sort_implIS3_Lb0EPKlPlS8_S9_N2at6native12_GLOBAL__N_18offset_tEEE10hipError_tPvRmT1_PNSt15iterator_traitsISH_E10value_typeET2_T3_PNSI_ISN_E10value_typeET4_jRbjT5_ST_jjP12ihipStream_tbEUlT_E0_NS1_11comp_targetILNS1_3genE5ELNS1_11target_archE942ELNS1_3gpuE9ELNS1_3repE0EEENS1_60segmented_radix_sort_warp_sort_medium_config_static_selectorELNS0_4arch9wavefront6targetE0EEEvSH_
    .private_segment_fixed_size: 0
    .sgpr_count:     0
    .sgpr_spill_count: 0
    .symbol:         _ZN7rocprim17ROCPRIM_400000_NS6detail17trampoline_kernelINS0_14default_configENS1_36segmented_radix_sort_config_selectorIllEEZNS1_25segmented_radix_sort_implIS3_Lb0EPKlPlS8_S9_N2at6native12_GLOBAL__N_18offset_tEEE10hipError_tPvRmT1_PNSt15iterator_traitsISH_E10value_typeET2_T3_PNSI_ISN_E10value_typeET4_jRbjT5_ST_jjP12ihipStream_tbEUlT_E0_NS1_11comp_targetILNS1_3genE5ELNS1_11target_archE942ELNS1_3gpuE9ELNS1_3repE0EEENS1_60segmented_radix_sort_warp_sort_medium_config_static_selectorELNS0_4arch9wavefront6targetE0EEEvSH_.kd
    .uniform_work_group_size: 1
    .uses_dynamic_stack: false
    .vgpr_count:     0
    .vgpr_spill_count: 0
    .wavefront_size: 32
  - .args:
      - .offset:         0
        .size:           88
        .value_kind:     by_value
    .group_segment_fixed_size: 0
    .kernarg_segment_align: 8
    .kernarg_segment_size: 88
    .language:       OpenCL C
    .language_version:
      - 2
      - 0
    .max_flat_workgroup_size: 256
    .name:           _ZN7rocprim17ROCPRIM_400000_NS6detail17trampoline_kernelINS0_14default_configENS1_36segmented_radix_sort_config_selectorIllEEZNS1_25segmented_radix_sort_implIS3_Lb0EPKlPlS8_S9_N2at6native12_GLOBAL__N_18offset_tEEE10hipError_tPvRmT1_PNSt15iterator_traitsISH_E10value_typeET2_T3_PNSI_ISN_E10value_typeET4_jRbjT5_ST_jjP12ihipStream_tbEUlT_E0_NS1_11comp_targetILNS1_3genE4ELNS1_11target_archE910ELNS1_3gpuE8ELNS1_3repE0EEENS1_60segmented_radix_sort_warp_sort_medium_config_static_selectorELNS0_4arch9wavefront6targetE0EEEvSH_
    .private_segment_fixed_size: 0
    .sgpr_count:     0
    .sgpr_spill_count: 0
    .symbol:         _ZN7rocprim17ROCPRIM_400000_NS6detail17trampoline_kernelINS0_14default_configENS1_36segmented_radix_sort_config_selectorIllEEZNS1_25segmented_radix_sort_implIS3_Lb0EPKlPlS8_S9_N2at6native12_GLOBAL__N_18offset_tEEE10hipError_tPvRmT1_PNSt15iterator_traitsISH_E10value_typeET2_T3_PNSI_ISN_E10value_typeET4_jRbjT5_ST_jjP12ihipStream_tbEUlT_E0_NS1_11comp_targetILNS1_3genE4ELNS1_11target_archE910ELNS1_3gpuE8ELNS1_3repE0EEENS1_60segmented_radix_sort_warp_sort_medium_config_static_selectorELNS0_4arch9wavefront6targetE0EEEvSH_.kd
    .uniform_work_group_size: 1
    .uses_dynamic_stack: false
    .vgpr_count:     0
    .vgpr_spill_count: 0
    .wavefront_size: 32
  - .args:
      - .offset:         0
        .size:           88
        .value_kind:     by_value
    .group_segment_fixed_size: 0
    .kernarg_segment_align: 8
    .kernarg_segment_size: 88
    .language:       OpenCL C
    .language_version:
      - 2
      - 0
    .max_flat_workgroup_size: 256
    .name:           _ZN7rocprim17ROCPRIM_400000_NS6detail17trampoline_kernelINS0_14default_configENS1_36segmented_radix_sort_config_selectorIllEEZNS1_25segmented_radix_sort_implIS3_Lb0EPKlPlS8_S9_N2at6native12_GLOBAL__N_18offset_tEEE10hipError_tPvRmT1_PNSt15iterator_traitsISH_E10value_typeET2_T3_PNSI_ISN_E10value_typeET4_jRbjT5_ST_jjP12ihipStream_tbEUlT_E0_NS1_11comp_targetILNS1_3genE3ELNS1_11target_archE908ELNS1_3gpuE7ELNS1_3repE0EEENS1_60segmented_radix_sort_warp_sort_medium_config_static_selectorELNS0_4arch9wavefront6targetE0EEEvSH_
    .private_segment_fixed_size: 0
    .sgpr_count:     0
    .sgpr_spill_count: 0
    .symbol:         _ZN7rocprim17ROCPRIM_400000_NS6detail17trampoline_kernelINS0_14default_configENS1_36segmented_radix_sort_config_selectorIllEEZNS1_25segmented_radix_sort_implIS3_Lb0EPKlPlS8_S9_N2at6native12_GLOBAL__N_18offset_tEEE10hipError_tPvRmT1_PNSt15iterator_traitsISH_E10value_typeET2_T3_PNSI_ISN_E10value_typeET4_jRbjT5_ST_jjP12ihipStream_tbEUlT_E0_NS1_11comp_targetILNS1_3genE3ELNS1_11target_archE908ELNS1_3gpuE7ELNS1_3repE0EEENS1_60segmented_radix_sort_warp_sort_medium_config_static_selectorELNS0_4arch9wavefront6targetE0EEEvSH_.kd
    .uniform_work_group_size: 1
    .uses_dynamic_stack: false
    .vgpr_count:     0
    .vgpr_spill_count: 0
    .wavefront_size: 32
  - .args:
      - .offset:         0
        .size:           88
        .value_kind:     by_value
    .group_segment_fixed_size: 0
    .kernarg_segment_align: 8
    .kernarg_segment_size: 88
    .language:       OpenCL C
    .language_version:
      - 2
      - 0
    .max_flat_workgroup_size: 256
    .name:           _ZN7rocprim17ROCPRIM_400000_NS6detail17trampoline_kernelINS0_14default_configENS1_36segmented_radix_sort_config_selectorIllEEZNS1_25segmented_radix_sort_implIS3_Lb0EPKlPlS8_S9_N2at6native12_GLOBAL__N_18offset_tEEE10hipError_tPvRmT1_PNSt15iterator_traitsISH_E10value_typeET2_T3_PNSI_ISN_E10value_typeET4_jRbjT5_ST_jjP12ihipStream_tbEUlT_E0_NS1_11comp_targetILNS1_3genE2ELNS1_11target_archE906ELNS1_3gpuE6ELNS1_3repE0EEENS1_60segmented_radix_sort_warp_sort_medium_config_static_selectorELNS0_4arch9wavefront6targetE0EEEvSH_
    .private_segment_fixed_size: 0
    .sgpr_count:     0
    .sgpr_spill_count: 0
    .symbol:         _ZN7rocprim17ROCPRIM_400000_NS6detail17trampoline_kernelINS0_14default_configENS1_36segmented_radix_sort_config_selectorIllEEZNS1_25segmented_radix_sort_implIS3_Lb0EPKlPlS8_S9_N2at6native12_GLOBAL__N_18offset_tEEE10hipError_tPvRmT1_PNSt15iterator_traitsISH_E10value_typeET2_T3_PNSI_ISN_E10value_typeET4_jRbjT5_ST_jjP12ihipStream_tbEUlT_E0_NS1_11comp_targetILNS1_3genE2ELNS1_11target_archE906ELNS1_3gpuE6ELNS1_3repE0EEENS1_60segmented_radix_sort_warp_sort_medium_config_static_selectorELNS0_4arch9wavefront6targetE0EEEvSH_.kd
    .uniform_work_group_size: 1
    .uses_dynamic_stack: false
    .vgpr_count:     0
    .vgpr_spill_count: 0
    .wavefront_size: 32
  - .args:
      - .offset:         0
        .size:           88
        .value_kind:     by_value
    .group_segment_fixed_size: 0
    .kernarg_segment_align: 8
    .kernarg_segment_size: 88
    .language:       OpenCL C
    .language_version:
      - 2
      - 0
    .max_flat_workgroup_size: 256
    .name:           _ZN7rocprim17ROCPRIM_400000_NS6detail17trampoline_kernelINS0_14default_configENS1_36segmented_radix_sort_config_selectorIllEEZNS1_25segmented_radix_sort_implIS3_Lb0EPKlPlS8_S9_N2at6native12_GLOBAL__N_18offset_tEEE10hipError_tPvRmT1_PNSt15iterator_traitsISH_E10value_typeET2_T3_PNSI_ISN_E10value_typeET4_jRbjT5_ST_jjP12ihipStream_tbEUlT_E0_NS1_11comp_targetILNS1_3genE10ELNS1_11target_archE1201ELNS1_3gpuE5ELNS1_3repE0EEENS1_60segmented_radix_sort_warp_sort_medium_config_static_selectorELNS0_4arch9wavefront6targetE0EEEvSH_
    .private_segment_fixed_size: 0
    .sgpr_count:     0
    .sgpr_spill_count: 0
    .symbol:         _ZN7rocprim17ROCPRIM_400000_NS6detail17trampoline_kernelINS0_14default_configENS1_36segmented_radix_sort_config_selectorIllEEZNS1_25segmented_radix_sort_implIS3_Lb0EPKlPlS8_S9_N2at6native12_GLOBAL__N_18offset_tEEE10hipError_tPvRmT1_PNSt15iterator_traitsISH_E10value_typeET2_T3_PNSI_ISN_E10value_typeET4_jRbjT5_ST_jjP12ihipStream_tbEUlT_E0_NS1_11comp_targetILNS1_3genE10ELNS1_11target_archE1201ELNS1_3gpuE5ELNS1_3repE0EEENS1_60segmented_radix_sort_warp_sort_medium_config_static_selectorELNS0_4arch9wavefront6targetE0EEEvSH_.kd
    .uniform_work_group_size: 1
    .uses_dynamic_stack: false
    .vgpr_count:     0
    .vgpr_spill_count: 0
    .wavefront_size: 32
  - .args:
      - .offset:         0
        .size:           88
        .value_kind:     by_value
    .group_segment_fixed_size: 0
    .kernarg_segment_align: 8
    .kernarg_segment_size: 88
    .language:       OpenCL C
    .language_version:
      - 2
      - 0
    .max_flat_workgroup_size: 256
    .name:           _ZN7rocprim17ROCPRIM_400000_NS6detail17trampoline_kernelINS0_14default_configENS1_36segmented_radix_sort_config_selectorIllEEZNS1_25segmented_radix_sort_implIS3_Lb0EPKlPlS8_S9_N2at6native12_GLOBAL__N_18offset_tEEE10hipError_tPvRmT1_PNSt15iterator_traitsISH_E10value_typeET2_T3_PNSI_ISN_E10value_typeET4_jRbjT5_ST_jjP12ihipStream_tbEUlT_E0_NS1_11comp_targetILNS1_3genE10ELNS1_11target_archE1200ELNS1_3gpuE4ELNS1_3repE0EEENS1_60segmented_radix_sort_warp_sort_medium_config_static_selectorELNS0_4arch9wavefront6targetE0EEEvSH_
    .private_segment_fixed_size: 0
    .sgpr_count:     0
    .sgpr_spill_count: 0
    .symbol:         _ZN7rocprim17ROCPRIM_400000_NS6detail17trampoline_kernelINS0_14default_configENS1_36segmented_radix_sort_config_selectorIllEEZNS1_25segmented_radix_sort_implIS3_Lb0EPKlPlS8_S9_N2at6native12_GLOBAL__N_18offset_tEEE10hipError_tPvRmT1_PNSt15iterator_traitsISH_E10value_typeET2_T3_PNSI_ISN_E10value_typeET4_jRbjT5_ST_jjP12ihipStream_tbEUlT_E0_NS1_11comp_targetILNS1_3genE10ELNS1_11target_archE1200ELNS1_3gpuE4ELNS1_3repE0EEENS1_60segmented_radix_sort_warp_sort_medium_config_static_selectorELNS0_4arch9wavefront6targetE0EEEvSH_.kd
    .uniform_work_group_size: 1
    .uses_dynamic_stack: false
    .vgpr_count:     0
    .vgpr_spill_count: 0
    .wavefront_size: 32
  - .args:
      - .offset:         0
        .size:           88
        .value_kind:     by_value
    .group_segment_fixed_size: 0
    .kernarg_segment_align: 8
    .kernarg_segment_size: 88
    .language:       OpenCL C
    .language_version:
      - 2
      - 0
    .max_flat_workgroup_size: 256
    .name:           _ZN7rocprim17ROCPRIM_400000_NS6detail17trampoline_kernelINS0_14default_configENS1_36segmented_radix_sort_config_selectorIllEEZNS1_25segmented_radix_sort_implIS3_Lb0EPKlPlS8_S9_N2at6native12_GLOBAL__N_18offset_tEEE10hipError_tPvRmT1_PNSt15iterator_traitsISH_E10value_typeET2_T3_PNSI_ISN_E10value_typeET4_jRbjT5_ST_jjP12ihipStream_tbEUlT_E0_NS1_11comp_targetILNS1_3genE9ELNS1_11target_archE1100ELNS1_3gpuE3ELNS1_3repE0EEENS1_60segmented_radix_sort_warp_sort_medium_config_static_selectorELNS0_4arch9wavefront6targetE0EEEvSH_
    .private_segment_fixed_size: 0
    .sgpr_count:     0
    .sgpr_spill_count: 0
    .symbol:         _ZN7rocprim17ROCPRIM_400000_NS6detail17trampoline_kernelINS0_14default_configENS1_36segmented_radix_sort_config_selectorIllEEZNS1_25segmented_radix_sort_implIS3_Lb0EPKlPlS8_S9_N2at6native12_GLOBAL__N_18offset_tEEE10hipError_tPvRmT1_PNSt15iterator_traitsISH_E10value_typeET2_T3_PNSI_ISN_E10value_typeET4_jRbjT5_ST_jjP12ihipStream_tbEUlT_E0_NS1_11comp_targetILNS1_3genE9ELNS1_11target_archE1100ELNS1_3gpuE3ELNS1_3repE0EEENS1_60segmented_radix_sort_warp_sort_medium_config_static_selectorELNS0_4arch9wavefront6targetE0EEEvSH_.kd
    .uniform_work_group_size: 1
    .uses_dynamic_stack: false
    .vgpr_count:     0
    .vgpr_spill_count: 0
    .wavefront_size: 32
  - .args:
      - .offset:         0
        .size:           88
        .value_kind:     by_value
    .group_segment_fixed_size: 0
    .kernarg_segment_align: 8
    .kernarg_segment_size: 88
    .language:       OpenCL C
    .language_version:
      - 2
      - 0
    .max_flat_workgroup_size: 256
    .name:           _ZN7rocprim17ROCPRIM_400000_NS6detail17trampoline_kernelINS0_14default_configENS1_36segmented_radix_sort_config_selectorIllEEZNS1_25segmented_radix_sort_implIS3_Lb0EPKlPlS8_S9_N2at6native12_GLOBAL__N_18offset_tEEE10hipError_tPvRmT1_PNSt15iterator_traitsISH_E10value_typeET2_T3_PNSI_ISN_E10value_typeET4_jRbjT5_ST_jjP12ihipStream_tbEUlT_E0_NS1_11comp_targetILNS1_3genE8ELNS1_11target_archE1030ELNS1_3gpuE2ELNS1_3repE0EEENS1_60segmented_radix_sort_warp_sort_medium_config_static_selectorELNS0_4arch9wavefront6targetE0EEEvSH_
    .private_segment_fixed_size: 0
    .sgpr_count:     0
    .sgpr_spill_count: 0
    .symbol:         _ZN7rocprim17ROCPRIM_400000_NS6detail17trampoline_kernelINS0_14default_configENS1_36segmented_radix_sort_config_selectorIllEEZNS1_25segmented_radix_sort_implIS3_Lb0EPKlPlS8_S9_N2at6native12_GLOBAL__N_18offset_tEEE10hipError_tPvRmT1_PNSt15iterator_traitsISH_E10value_typeET2_T3_PNSI_ISN_E10value_typeET4_jRbjT5_ST_jjP12ihipStream_tbEUlT_E0_NS1_11comp_targetILNS1_3genE8ELNS1_11target_archE1030ELNS1_3gpuE2ELNS1_3repE0EEENS1_60segmented_radix_sort_warp_sort_medium_config_static_selectorELNS0_4arch9wavefront6targetE0EEEvSH_.kd
    .uniform_work_group_size: 1
    .uses_dynamic_stack: false
    .vgpr_count:     0
    .vgpr_spill_count: 0
    .wavefront_size: 32
  - .args:
      - .offset:         0
        .size:           88
        .value_kind:     by_value
      - .offset:         88
        .size:           4
        .value_kind:     hidden_block_count_x
      - .offset:         92
        .size:           4
        .value_kind:     hidden_block_count_y
      - .offset:         96
        .size:           4
        .value_kind:     hidden_block_count_z
      - .offset:         100
        .size:           2
        .value_kind:     hidden_group_size_x
      - .offset:         102
        .size:           2
        .value_kind:     hidden_group_size_y
      - .offset:         104
        .size:           2
        .value_kind:     hidden_group_size_z
      - .offset:         106
        .size:           2
        .value_kind:     hidden_remainder_x
      - .offset:         108
        .size:           2
        .value_kind:     hidden_remainder_y
      - .offset:         110
        .size:           2
        .value_kind:     hidden_remainder_z
      - .offset:         128
        .size:           8
        .value_kind:     hidden_global_offset_x
      - .offset:         136
        .size:           8
        .value_kind:     hidden_global_offset_y
      - .offset:         144
        .size:           8
        .value_kind:     hidden_global_offset_z
      - .offset:         152
        .size:           2
        .value_kind:     hidden_grid_dims
      - .offset:         168
        .size:           8
        .value_kind:     hidden_hostcall_buffer
      - .offset:         176
        .size:           8
        .value_kind:     hidden_multigrid_sync_arg
      - .offset:         184
        .size:           8
        .value_kind:     hidden_heap_v1
      - .offset:         192
        .size:           8
        .value_kind:     hidden_default_queue
      - .offset:         200
        .size:           8
        .value_kind:     hidden_completion_action
      - .offset:         288
        .size:           8
        .value_kind:     hidden_queue_ptr
    .group_segment_fixed_size: 16384
    .kernarg_segment_align: 8
    .kernarg_segment_size: 344
    .language:       OpenCL C
    .language_version:
      - 2
      - 0
    .max_flat_workgroup_size: 256
    .name:           _ZN7rocprim17ROCPRIM_400000_NS6detail17trampoline_kernelINS0_14default_configENS1_36segmented_radix_sort_config_selectorIllEEZNS1_25segmented_radix_sort_implIS3_Lb0EPKlPlS8_S9_N2at6native12_GLOBAL__N_18offset_tEEE10hipError_tPvRmT1_PNSt15iterator_traitsISH_E10value_typeET2_T3_PNSI_ISN_E10value_typeET4_jRbjT5_ST_jjP12ihipStream_tbEUlT_E1_NS1_11comp_targetILNS1_3genE0ELNS1_11target_archE4294967295ELNS1_3gpuE0ELNS1_3repE0EEENS1_59segmented_radix_sort_warp_sort_small_config_static_selectorELNS0_4arch9wavefront6targetE0EEEvSH_
    .private_segment_fixed_size: 0
    .sgpr_count:     42
    .sgpr_spill_count: 0
    .symbol:         _ZN7rocprim17ROCPRIM_400000_NS6detail17trampoline_kernelINS0_14default_configENS1_36segmented_radix_sort_config_selectorIllEEZNS1_25segmented_radix_sort_implIS3_Lb0EPKlPlS8_S9_N2at6native12_GLOBAL__N_18offset_tEEE10hipError_tPvRmT1_PNSt15iterator_traitsISH_E10value_typeET2_T3_PNSI_ISN_E10value_typeET4_jRbjT5_ST_jjP12ihipStream_tbEUlT_E1_NS1_11comp_targetILNS1_3genE0ELNS1_11target_archE4294967295ELNS1_3gpuE0ELNS1_3repE0EEENS1_59segmented_radix_sort_warp_sort_small_config_static_selectorELNS0_4arch9wavefront6targetE0EEEvSH_.kd
    .uniform_work_group_size: 1
    .uses_dynamic_stack: false
    .vgpr_count:     70
    .vgpr_spill_count: 0
    .wavefront_size: 32
  - .args:
      - .offset:         0
        .size:           88
        .value_kind:     by_value
    .group_segment_fixed_size: 0
    .kernarg_segment_align: 8
    .kernarg_segment_size: 88
    .language:       OpenCL C
    .language_version:
      - 2
      - 0
    .max_flat_workgroup_size: 256
    .name:           _ZN7rocprim17ROCPRIM_400000_NS6detail17trampoline_kernelINS0_14default_configENS1_36segmented_radix_sort_config_selectorIllEEZNS1_25segmented_radix_sort_implIS3_Lb0EPKlPlS8_S9_N2at6native12_GLOBAL__N_18offset_tEEE10hipError_tPvRmT1_PNSt15iterator_traitsISH_E10value_typeET2_T3_PNSI_ISN_E10value_typeET4_jRbjT5_ST_jjP12ihipStream_tbEUlT_E1_NS1_11comp_targetILNS1_3genE5ELNS1_11target_archE942ELNS1_3gpuE9ELNS1_3repE0EEENS1_59segmented_radix_sort_warp_sort_small_config_static_selectorELNS0_4arch9wavefront6targetE0EEEvSH_
    .private_segment_fixed_size: 0
    .sgpr_count:     0
    .sgpr_spill_count: 0
    .symbol:         _ZN7rocprim17ROCPRIM_400000_NS6detail17trampoline_kernelINS0_14default_configENS1_36segmented_radix_sort_config_selectorIllEEZNS1_25segmented_radix_sort_implIS3_Lb0EPKlPlS8_S9_N2at6native12_GLOBAL__N_18offset_tEEE10hipError_tPvRmT1_PNSt15iterator_traitsISH_E10value_typeET2_T3_PNSI_ISN_E10value_typeET4_jRbjT5_ST_jjP12ihipStream_tbEUlT_E1_NS1_11comp_targetILNS1_3genE5ELNS1_11target_archE942ELNS1_3gpuE9ELNS1_3repE0EEENS1_59segmented_radix_sort_warp_sort_small_config_static_selectorELNS0_4arch9wavefront6targetE0EEEvSH_.kd
    .uniform_work_group_size: 1
    .uses_dynamic_stack: false
    .vgpr_count:     0
    .vgpr_spill_count: 0
    .wavefront_size: 32
  - .args:
      - .offset:         0
        .size:           88
        .value_kind:     by_value
    .group_segment_fixed_size: 0
    .kernarg_segment_align: 8
    .kernarg_segment_size: 88
    .language:       OpenCL C
    .language_version:
      - 2
      - 0
    .max_flat_workgroup_size: 256
    .name:           _ZN7rocprim17ROCPRIM_400000_NS6detail17trampoline_kernelINS0_14default_configENS1_36segmented_radix_sort_config_selectorIllEEZNS1_25segmented_radix_sort_implIS3_Lb0EPKlPlS8_S9_N2at6native12_GLOBAL__N_18offset_tEEE10hipError_tPvRmT1_PNSt15iterator_traitsISH_E10value_typeET2_T3_PNSI_ISN_E10value_typeET4_jRbjT5_ST_jjP12ihipStream_tbEUlT_E1_NS1_11comp_targetILNS1_3genE4ELNS1_11target_archE910ELNS1_3gpuE8ELNS1_3repE0EEENS1_59segmented_radix_sort_warp_sort_small_config_static_selectorELNS0_4arch9wavefront6targetE0EEEvSH_
    .private_segment_fixed_size: 0
    .sgpr_count:     0
    .sgpr_spill_count: 0
    .symbol:         _ZN7rocprim17ROCPRIM_400000_NS6detail17trampoline_kernelINS0_14default_configENS1_36segmented_radix_sort_config_selectorIllEEZNS1_25segmented_radix_sort_implIS3_Lb0EPKlPlS8_S9_N2at6native12_GLOBAL__N_18offset_tEEE10hipError_tPvRmT1_PNSt15iterator_traitsISH_E10value_typeET2_T3_PNSI_ISN_E10value_typeET4_jRbjT5_ST_jjP12ihipStream_tbEUlT_E1_NS1_11comp_targetILNS1_3genE4ELNS1_11target_archE910ELNS1_3gpuE8ELNS1_3repE0EEENS1_59segmented_radix_sort_warp_sort_small_config_static_selectorELNS0_4arch9wavefront6targetE0EEEvSH_.kd
    .uniform_work_group_size: 1
    .uses_dynamic_stack: false
    .vgpr_count:     0
    .vgpr_spill_count: 0
    .wavefront_size: 32
  - .args:
      - .offset:         0
        .size:           88
        .value_kind:     by_value
    .group_segment_fixed_size: 0
    .kernarg_segment_align: 8
    .kernarg_segment_size: 88
    .language:       OpenCL C
    .language_version:
      - 2
      - 0
    .max_flat_workgroup_size: 256
    .name:           _ZN7rocprim17ROCPRIM_400000_NS6detail17trampoline_kernelINS0_14default_configENS1_36segmented_radix_sort_config_selectorIllEEZNS1_25segmented_radix_sort_implIS3_Lb0EPKlPlS8_S9_N2at6native12_GLOBAL__N_18offset_tEEE10hipError_tPvRmT1_PNSt15iterator_traitsISH_E10value_typeET2_T3_PNSI_ISN_E10value_typeET4_jRbjT5_ST_jjP12ihipStream_tbEUlT_E1_NS1_11comp_targetILNS1_3genE3ELNS1_11target_archE908ELNS1_3gpuE7ELNS1_3repE0EEENS1_59segmented_radix_sort_warp_sort_small_config_static_selectorELNS0_4arch9wavefront6targetE0EEEvSH_
    .private_segment_fixed_size: 0
    .sgpr_count:     0
    .sgpr_spill_count: 0
    .symbol:         _ZN7rocprim17ROCPRIM_400000_NS6detail17trampoline_kernelINS0_14default_configENS1_36segmented_radix_sort_config_selectorIllEEZNS1_25segmented_radix_sort_implIS3_Lb0EPKlPlS8_S9_N2at6native12_GLOBAL__N_18offset_tEEE10hipError_tPvRmT1_PNSt15iterator_traitsISH_E10value_typeET2_T3_PNSI_ISN_E10value_typeET4_jRbjT5_ST_jjP12ihipStream_tbEUlT_E1_NS1_11comp_targetILNS1_3genE3ELNS1_11target_archE908ELNS1_3gpuE7ELNS1_3repE0EEENS1_59segmented_radix_sort_warp_sort_small_config_static_selectorELNS0_4arch9wavefront6targetE0EEEvSH_.kd
    .uniform_work_group_size: 1
    .uses_dynamic_stack: false
    .vgpr_count:     0
    .vgpr_spill_count: 0
    .wavefront_size: 32
  - .args:
      - .offset:         0
        .size:           88
        .value_kind:     by_value
    .group_segment_fixed_size: 0
    .kernarg_segment_align: 8
    .kernarg_segment_size: 88
    .language:       OpenCL C
    .language_version:
      - 2
      - 0
    .max_flat_workgroup_size: 256
    .name:           _ZN7rocprim17ROCPRIM_400000_NS6detail17trampoline_kernelINS0_14default_configENS1_36segmented_radix_sort_config_selectorIllEEZNS1_25segmented_radix_sort_implIS3_Lb0EPKlPlS8_S9_N2at6native12_GLOBAL__N_18offset_tEEE10hipError_tPvRmT1_PNSt15iterator_traitsISH_E10value_typeET2_T3_PNSI_ISN_E10value_typeET4_jRbjT5_ST_jjP12ihipStream_tbEUlT_E1_NS1_11comp_targetILNS1_3genE2ELNS1_11target_archE906ELNS1_3gpuE6ELNS1_3repE0EEENS1_59segmented_radix_sort_warp_sort_small_config_static_selectorELNS0_4arch9wavefront6targetE0EEEvSH_
    .private_segment_fixed_size: 0
    .sgpr_count:     0
    .sgpr_spill_count: 0
    .symbol:         _ZN7rocprim17ROCPRIM_400000_NS6detail17trampoline_kernelINS0_14default_configENS1_36segmented_radix_sort_config_selectorIllEEZNS1_25segmented_radix_sort_implIS3_Lb0EPKlPlS8_S9_N2at6native12_GLOBAL__N_18offset_tEEE10hipError_tPvRmT1_PNSt15iterator_traitsISH_E10value_typeET2_T3_PNSI_ISN_E10value_typeET4_jRbjT5_ST_jjP12ihipStream_tbEUlT_E1_NS1_11comp_targetILNS1_3genE2ELNS1_11target_archE906ELNS1_3gpuE6ELNS1_3repE0EEENS1_59segmented_radix_sort_warp_sort_small_config_static_selectorELNS0_4arch9wavefront6targetE0EEEvSH_.kd
    .uniform_work_group_size: 1
    .uses_dynamic_stack: false
    .vgpr_count:     0
    .vgpr_spill_count: 0
    .wavefront_size: 32
  - .args:
      - .offset:         0
        .size:           88
        .value_kind:     by_value
    .group_segment_fixed_size: 0
    .kernarg_segment_align: 8
    .kernarg_segment_size: 88
    .language:       OpenCL C
    .language_version:
      - 2
      - 0
    .max_flat_workgroup_size: 256
    .name:           _ZN7rocprim17ROCPRIM_400000_NS6detail17trampoline_kernelINS0_14default_configENS1_36segmented_radix_sort_config_selectorIllEEZNS1_25segmented_radix_sort_implIS3_Lb0EPKlPlS8_S9_N2at6native12_GLOBAL__N_18offset_tEEE10hipError_tPvRmT1_PNSt15iterator_traitsISH_E10value_typeET2_T3_PNSI_ISN_E10value_typeET4_jRbjT5_ST_jjP12ihipStream_tbEUlT_E1_NS1_11comp_targetILNS1_3genE10ELNS1_11target_archE1201ELNS1_3gpuE5ELNS1_3repE0EEENS1_59segmented_radix_sort_warp_sort_small_config_static_selectorELNS0_4arch9wavefront6targetE0EEEvSH_
    .private_segment_fixed_size: 0
    .sgpr_count:     0
    .sgpr_spill_count: 0
    .symbol:         _ZN7rocprim17ROCPRIM_400000_NS6detail17trampoline_kernelINS0_14default_configENS1_36segmented_radix_sort_config_selectorIllEEZNS1_25segmented_radix_sort_implIS3_Lb0EPKlPlS8_S9_N2at6native12_GLOBAL__N_18offset_tEEE10hipError_tPvRmT1_PNSt15iterator_traitsISH_E10value_typeET2_T3_PNSI_ISN_E10value_typeET4_jRbjT5_ST_jjP12ihipStream_tbEUlT_E1_NS1_11comp_targetILNS1_3genE10ELNS1_11target_archE1201ELNS1_3gpuE5ELNS1_3repE0EEENS1_59segmented_radix_sort_warp_sort_small_config_static_selectorELNS0_4arch9wavefront6targetE0EEEvSH_.kd
    .uniform_work_group_size: 1
    .uses_dynamic_stack: false
    .vgpr_count:     0
    .vgpr_spill_count: 0
    .wavefront_size: 32
  - .args:
      - .offset:         0
        .size:           88
        .value_kind:     by_value
    .group_segment_fixed_size: 0
    .kernarg_segment_align: 8
    .kernarg_segment_size: 88
    .language:       OpenCL C
    .language_version:
      - 2
      - 0
    .max_flat_workgroup_size: 256
    .name:           _ZN7rocprim17ROCPRIM_400000_NS6detail17trampoline_kernelINS0_14default_configENS1_36segmented_radix_sort_config_selectorIllEEZNS1_25segmented_radix_sort_implIS3_Lb0EPKlPlS8_S9_N2at6native12_GLOBAL__N_18offset_tEEE10hipError_tPvRmT1_PNSt15iterator_traitsISH_E10value_typeET2_T3_PNSI_ISN_E10value_typeET4_jRbjT5_ST_jjP12ihipStream_tbEUlT_E1_NS1_11comp_targetILNS1_3genE10ELNS1_11target_archE1200ELNS1_3gpuE4ELNS1_3repE0EEENS1_59segmented_radix_sort_warp_sort_small_config_static_selectorELNS0_4arch9wavefront6targetE0EEEvSH_
    .private_segment_fixed_size: 0
    .sgpr_count:     0
    .sgpr_spill_count: 0
    .symbol:         _ZN7rocprim17ROCPRIM_400000_NS6detail17trampoline_kernelINS0_14default_configENS1_36segmented_radix_sort_config_selectorIllEEZNS1_25segmented_radix_sort_implIS3_Lb0EPKlPlS8_S9_N2at6native12_GLOBAL__N_18offset_tEEE10hipError_tPvRmT1_PNSt15iterator_traitsISH_E10value_typeET2_T3_PNSI_ISN_E10value_typeET4_jRbjT5_ST_jjP12ihipStream_tbEUlT_E1_NS1_11comp_targetILNS1_3genE10ELNS1_11target_archE1200ELNS1_3gpuE4ELNS1_3repE0EEENS1_59segmented_radix_sort_warp_sort_small_config_static_selectorELNS0_4arch9wavefront6targetE0EEEvSH_.kd
    .uniform_work_group_size: 1
    .uses_dynamic_stack: false
    .vgpr_count:     0
    .vgpr_spill_count: 0
    .wavefront_size: 32
  - .args:
      - .offset:         0
        .size:           88
        .value_kind:     by_value
    .group_segment_fixed_size: 0
    .kernarg_segment_align: 8
    .kernarg_segment_size: 88
    .language:       OpenCL C
    .language_version:
      - 2
      - 0
    .max_flat_workgroup_size: 256
    .name:           _ZN7rocprim17ROCPRIM_400000_NS6detail17trampoline_kernelINS0_14default_configENS1_36segmented_radix_sort_config_selectorIllEEZNS1_25segmented_radix_sort_implIS3_Lb0EPKlPlS8_S9_N2at6native12_GLOBAL__N_18offset_tEEE10hipError_tPvRmT1_PNSt15iterator_traitsISH_E10value_typeET2_T3_PNSI_ISN_E10value_typeET4_jRbjT5_ST_jjP12ihipStream_tbEUlT_E1_NS1_11comp_targetILNS1_3genE9ELNS1_11target_archE1100ELNS1_3gpuE3ELNS1_3repE0EEENS1_59segmented_radix_sort_warp_sort_small_config_static_selectorELNS0_4arch9wavefront6targetE0EEEvSH_
    .private_segment_fixed_size: 0
    .sgpr_count:     0
    .sgpr_spill_count: 0
    .symbol:         _ZN7rocprim17ROCPRIM_400000_NS6detail17trampoline_kernelINS0_14default_configENS1_36segmented_radix_sort_config_selectorIllEEZNS1_25segmented_radix_sort_implIS3_Lb0EPKlPlS8_S9_N2at6native12_GLOBAL__N_18offset_tEEE10hipError_tPvRmT1_PNSt15iterator_traitsISH_E10value_typeET2_T3_PNSI_ISN_E10value_typeET4_jRbjT5_ST_jjP12ihipStream_tbEUlT_E1_NS1_11comp_targetILNS1_3genE9ELNS1_11target_archE1100ELNS1_3gpuE3ELNS1_3repE0EEENS1_59segmented_radix_sort_warp_sort_small_config_static_selectorELNS0_4arch9wavefront6targetE0EEEvSH_.kd
    .uniform_work_group_size: 1
    .uses_dynamic_stack: false
    .vgpr_count:     0
    .vgpr_spill_count: 0
    .wavefront_size: 32
  - .args:
      - .offset:         0
        .size:           88
        .value_kind:     by_value
    .group_segment_fixed_size: 0
    .kernarg_segment_align: 8
    .kernarg_segment_size: 88
    .language:       OpenCL C
    .language_version:
      - 2
      - 0
    .max_flat_workgroup_size: 256
    .name:           _ZN7rocprim17ROCPRIM_400000_NS6detail17trampoline_kernelINS0_14default_configENS1_36segmented_radix_sort_config_selectorIllEEZNS1_25segmented_radix_sort_implIS3_Lb0EPKlPlS8_S9_N2at6native12_GLOBAL__N_18offset_tEEE10hipError_tPvRmT1_PNSt15iterator_traitsISH_E10value_typeET2_T3_PNSI_ISN_E10value_typeET4_jRbjT5_ST_jjP12ihipStream_tbEUlT_E1_NS1_11comp_targetILNS1_3genE8ELNS1_11target_archE1030ELNS1_3gpuE2ELNS1_3repE0EEENS1_59segmented_radix_sort_warp_sort_small_config_static_selectorELNS0_4arch9wavefront6targetE0EEEvSH_
    .private_segment_fixed_size: 0
    .sgpr_count:     0
    .sgpr_spill_count: 0
    .symbol:         _ZN7rocprim17ROCPRIM_400000_NS6detail17trampoline_kernelINS0_14default_configENS1_36segmented_radix_sort_config_selectorIllEEZNS1_25segmented_radix_sort_implIS3_Lb0EPKlPlS8_S9_N2at6native12_GLOBAL__N_18offset_tEEE10hipError_tPvRmT1_PNSt15iterator_traitsISH_E10value_typeET2_T3_PNSI_ISN_E10value_typeET4_jRbjT5_ST_jjP12ihipStream_tbEUlT_E1_NS1_11comp_targetILNS1_3genE8ELNS1_11target_archE1030ELNS1_3gpuE2ELNS1_3repE0EEENS1_59segmented_radix_sort_warp_sort_small_config_static_selectorELNS0_4arch9wavefront6targetE0EEEvSH_.kd
    .uniform_work_group_size: 1
    .uses_dynamic_stack: false
    .vgpr_count:     0
    .vgpr_spill_count: 0
    .wavefront_size: 32
  - .args:
      - .offset:         0
        .size:           80
        .value_kind:     by_value
      - .offset:         80
        .size:           4
        .value_kind:     hidden_block_count_x
      - .offset:         84
        .size:           4
        .value_kind:     hidden_block_count_y
      - .offset:         88
        .size:           4
        .value_kind:     hidden_block_count_z
      - .offset:         92
        .size:           2
        .value_kind:     hidden_group_size_x
      - .offset:         94
        .size:           2
        .value_kind:     hidden_group_size_y
      - .offset:         96
        .size:           2
        .value_kind:     hidden_group_size_z
      - .offset:         98
        .size:           2
        .value_kind:     hidden_remainder_x
      - .offset:         100
        .size:           2
        .value_kind:     hidden_remainder_y
      - .offset:         102
        .size:           2
        .value_kind:     hidden_remainder_z
      - .offset:         120
        .size:           8
        .value_kind:     hidden_global_offset_x
      - .offset:         128
        .size:           8
        .value_kind:     hidden_global_offset_y
      - .offset:         136
        .size:           8
        .value_kind:     hidden_global_offset_z
      - .offset:         144
        .size:           2
        .value_kind:     hidden_grid_dims
      - .offset:         160
        .size:           8
        .value_kind:     hidden_hostcall_buffer
      - .offset:         168
        .size:           8
        .value_kind:     hidden_multigrid_sync_arg
      - .offset:         176
        .size:           8
        .value_kind:     hidden_heap_v1
      - .offset:         184
        .size:           8
        .value_kind:     hidden_default_queue
      - .offset:         192
        .size:           8
        .value_kind:     hidden_completion_action
      - .offset:         280
        .size:           8
        .value_kind:     hidden_queue_ptr
    .group_segment_fixed_size: 33824
    .kernarg_segment_align: 8
    .kernarg_segment_size: 336
    .language:       OpenCL C
    .language_version:
      - 2
      - 0
    .max_flat_workgroup_size: 256
    .name:           _ZN7rocprim17ROCPRIM_400000_NS6detail17trampoline_kernelINS0_14default_configENS1_36segmented_radix_sort_config_selectorIllEEZNS1_25segmented_radix_sort_implIS3_Lb0EPKlPlS8_S9_N2at6native12_GLOBAL__N_18offset_tEEE10hipError_tPvRmT1_PNSt15iterator_traitsISH_E10value_typeET2_T3_PNSI_ISN_E10value_typeET4_jRbjT5_ST_jjP12ihipStream_tbEUlT_E2_NS1_11comp_targetILNS1_3genE0ELNS1_11target_archE4294967295ELNS1_3gpuE0ELNS1_3repE0EEENS1_30default_config_static_selectorELNS0_4arch9wavefront6targetE0EEEvSH_
    .private_segment_fixed_size: 0
    .sgpr_count:     62
    .sgpr_spill_count: 0
    .symbol:         _ZN7rocprim17ROCPRIM_400000_NS6detail17trampoline_kernelINS0_14default_configENS1_36segmented_radix_sort_config_selectorIllEEZNS1_25segmented_radix_sort_implIS3_Lb0EPKlPlS8_S9_N2at6native12_GLOBAL__N_18offset_tEEE10hipError_tPvRmT1_PNSt15iterator_traitsISH_E10value_typeET2_T3_PNSI_ISN_E10value_typeET4_jRbjT5_ST_jjP12ihipStream_tbEUlT_E2_NS1_11comp_targetILNS1_3genE0ELNS1_11target_archE4294967295ELNS1_3gpuE0ELNS1_3repE0EEENS1_30default_config_static_selectorELNS0_4arch9wavefront6targetE0EEEvSH_.kd
    .uniform_work_group_size: 1
    .uses_dynamic_stack: false
    .vgpr_count:     319
    .vgpr_spill_count: 0
    .wavefront_size: 32
  - .args:
      - .offset:         0
        .size:           80
        .value_kind:     by_value
    .group_segment_fixed_size: 0
    .kernarg_segment_align: 8
    .kernarg_segment_size: 80
    .language:       OpenCL C
    .language_version:
      - 2
      - 0
    .max_flat_workgroup_size: 256
    .name:           _ZN7rocprim17ROCPRIM_400000_NS6detail17trampoline_kernelINS0_14default_configENS1_36segmented_radix_sort_config_selectorIllEEZNS1_25segmented_radix_sort_implIS3_Lb0EPKlPlS8_S9_N2at6native12_GLOBAL__N_18offset_tEEE10hipError_tPvRmT1_PNSt15iterator_traitsISH_E10value_typeET2_T3_PNSI_ISN_E10value_typeET4_jRbjT5_ST_jjP12ihipStream_tbEUlT_E2_NS1_11comp_targetILNS1_3genE5ELNS1_11target_archE942ELNS1_3gpuE9ELNS1_3repE0EEENS1_30default_config_static_selectorELNS0_4arch9wavefront6targetE0EEEvSH_
    .private_segment_fixed_size: 0
    .sgpr_count:     0
    .sgpr_spill_count: 0
    .symbol:         _ZN7rocprim17ROCPRIM_400000_NS6detail17trampoline_kernelINS0_14default_configENS1_36segmented_radix_sort_config_selectorIllEEZNS1_25segmented_radix_sort_implIS3_Lb0EPKlPlS8_S9_N2at6native12_GLOBAL__N_18offset_tEEE10hipError_tPvRmT1_PNSt15iterator_traitsISH_E10value_typeET2_T3_PNSI_ISN_E10value_typeET4_jRbjT5_ST_jjP12ihipStream_tbEUlT_E2_NS1_11comp_targetILNS1_3genE5ELNS1_11target_archE942ELNS1_3gpuE9ELNS1_3repE0EEENS1_30default_config_static_selectorELNS0_4arch9wavefront6targetE0EEEvSH_.kd
    .uniform_work_group_size: 1
    .uses_dynamic_stack: false
    .vgpr_count:     0
    .vgpr_spill_count: 0
    .wavefront_size: 32
  - .args:
      - .offset:         0
        .size:           80
        .value_kind:     by_value
    .group_segment_fixed_size: 0
    .kernarg_segment_align: 8
    .kernarg_segment_size: 80
    .language:       OpenCL C
    .language_version:
      - 2
      - 0
    .max_flat_workgroup_size: 256
    .name:           _ZN7rocprim17ROCPRIM_400000_NS6detail17trampoline_kernelINS0_14default_configENS1_36segmented_radix_sort_config_selectorIllEEZNS1_25segmented_radix_sort_implIS3_Lb0EPKlPlS8_S9_N2at6native12_GLOBAL__N_18offset_tEEE10hipError_tPvRmT1_PNSt15iterator_traitsISH_E10value_typeET2_T3_PNSI_ISN_E10value_typeET4_jRbjT5_ST_jjP12ihipStream_tbEUlT_E2_NS1_11comp_targetILNS1_3genE4ELNS1_11target_archE910ELNS1_3gpuE8ELNS1_3repE0EEENS1_30default_config_static_selectorELNS0_4arch9wavefront6targetE0EEEvSH_
    .private_segment_fixed_size: 0
    .sgpr_count:     0
    .sgpr_spill_count: 0
    .symbol:         _ZN7rocprim17ROCPRIM_400000_NS6detail17trampoline_kernelINS0_14default_configENS1_36segmented_radix_sort_config_selectorIllEEZNS1_25segmented_radix_sort_implIS3_Lb0EPKlPlS8_S9_N2at6native12_GLOBAL__N_18offset_tEEE10hipError_tPvRmT1_PNSt15iterator_traitsISH_E10value_typeET2_T3_PNSI_ISN_E10value_typeET4_jRbjT5_ST_jjP12ihipStream_tbEUlT_E2_NS1_11comp_targetILNS1_3genE4ELNS1_11target_archE910ELNS1_3gpuE8ELNS1_3repE0EEENS1_30default_config_static_selectorELNS0_4arch9wavefront6targetE0EEEvSH_.kd
    .uniform_work_group_size: 1
    .uses_dynamic_stack: false
    .vgpr_count:     0
    .vgpr_spill_count: 0
    .wavefront_size: 32
  - .args:
      - .offset:         0
        .size:           80
        .value_kind:     by_value
    .group_segment_fixed_size: 0
    .kernarg_segment_align: 8
    .kernarg_segment_size: 80
    .language:       OpenCL C
    .language_version:
      - 2
      - 0
    .max_flat_workgroup_size: 256
    .name:           _ZN7rocprim17ROCPRIM_400000_NS6detail17trampoline_kernelINS0_14default_configENS1_36segmented_radix_sort_config_selectorIllEEZNS1_25segmented_radix_sort_implIS3_Lb0EPKlPlS8_S9_N2at6native12_GLOBAL__N_18offset_tEEE10hipError_tPvRmT1_PNSt15iterator_traitsISH_E10value_typeET2_T3_PNSI_ISN_E10value_typeET4_jRbjT5_ST_jjP12ihipStream_tbEUlT_E2_NS1_11comp_targetILNS1_3genE3ELNS1_11target_archE908ELNS1_3gpuE7ELNS1_3repE0EEENS1_30default_config_static_selectorELNS0_4arch9wavefront6targetE0EEEvSH_
    .private_segment_fixed_size: 0
    .sgpr_count:     0
    .sgpr_spill_count: 0
    .symbol:         _ZN7rocprim17ROCPRIM_400000_NS6detail17trampoline_kernelINS0_14default_configENS1_36segmented_radix_sort_config_selectorIllEEZNS1_25segmented_radix_sort_implIS3_Lb0EPKlPlS8_S9_N2at6native12_GLOBAL__N_18offset_tEEE10hipError_tPvRmT1_PNSt15iterator_traitsISH_E10value_typeET2_T3_PNSI_ISN_E10value_typeET4_jRbjT5_ST_jjP12ihipStream_tbEUlT_E2_NS1_11comp_targetILNS1_3genE3ELNS1_11target_archE908ELNS1_3gpuE7ELNS1_3repE0EEENS1_30default_config_static_selectorELNS0_4arch9wavefront6targetE0EEEvSH_.kd
    .uniform_work_group_size: 1
    .uses_dynamic_stack: false
    .vgpr_count:     0
    .vgpr_spill_count: 0
    .wavefront_size: 32
  - .args:
      - .offset:         0
        .size:           80
        .value_kind:     by_value
    .group_segment_fixed_size: 0
    .kernarg_segment_align: 8
    .kernarg_segment_size: 80
    .language:       OpenCL C
    .language_version:
      - 2
      - 0
    .max_flat_workgroup_size: 256
    .name:           _ZN7rocprim17ROCPRIM_400000_NS6detail17trampoline_kernelINS0_14default_configENS1_36segmented_radix_sort_config_selectorIllEEZNS1_25segmented_radix_sort_implIS3_Lb0EPKlPlS8_S9_N2at6native12_GLOBAL__N_18offset_tEEE10hipError_tPvRmT1_PNSt15iterator_traitsISH_E10value_typeET2_T3_PNSI_ISN_E10value_typeET4_jRbjT5_ST_jjP12ihipStream_tbEUlT_E2_NS1_11comp_targetILNS1_3genE2ELNS1_11target_archE906ELNS1_3gpuE6ELNS1_3repE0EEENS1_30default_config_static_selectorELNS0_4arch9wavefront6targetE0EEEvSH_
    .private_segment_fixed_size: 0
    .sgpr_count:     0
    .sgpr_spill_count: 0
    .symbol:         _ZN7rocprim17ROCPRIM_400000_NS6detail17trampoline_kernelINS0_14default_configENS1_36segmented_radix_sort_config_selectorIllEEZNS1_25segmented_radix_sort_implIS3_Lb0EPKlPlS8_S9_N2at6native12_GLOBAL__N_18offset_tEEE10hipError_tPvRmT1_PNSt15iterator_traitsISH_E10value_typeET2_T3_PNSI_ISN_E10value_typeET4_jRbjT5_ST_jjP12ihipStream_tbEUlT_E2_NS1_11comp_targetILNS1_3genE2ELNS1_11target_archE906ELNS1_3gpuE6ELNS1_3repE0EEENS1_30default_config_static_selectorELNS0_4arch9wavefront6targetE0EEEvSH_.kd
    .uniform_work_group_size: 1
    .uses_dynamic_stack: false
    .vgpr_count:     0
    .vgpr_spill_count: 0
    .wavefront_size: 32
  - .args:
      - .offset:         0
        .size:           80
        .value_kind:     by_value
    .group_segment_fixed_size: 0
    .kernarg_segment_align: 8
    .kernarg_segment_size: 80
    .language:       OpenCL C
    .language_version:
      - 2
      - 0
    .max_flat_workgroup_size: 256
    .name:           _ZN7rocprim17ROCPRIM_400000_NS6detail17trampoline_kernelINS0_14default_configENS1_36segmented_radix_sort_config_selectorIllEEZNS1_25segmented_radix_sort_implIS3_Lb0EPKlPlS8_S9_N2at6native12_GLOBAL__N_18offset_tEEE10hipError_tPvRmT1_PNSt15iterator_traitsISH_E10value_typeET2_T3_PNSI_ISN_E10value_typeET4_jRbjT5_ST_jjP12ihipStream_tbEUlT_E2_NS1_11comp_targetILNS1_3genE10ELNS1_11target_archE1201ELNS1_3gpuE5ELNS1_3repE0EEENS1_30default_config_static_selectorELNS0_4arch9wavefront6targetE0EEEvSH_
    .private_segment_fixed_size: 0
    .sgpr_count:     0
    .sgpr_spill_count: 0
    .symbol:         _ZN7rocprim17ROCPRIM_400000_NS6detail17trampoline_kernelINS0_14default_configENS1_36segmented_radix_sort_config_selectorIllEEZNS1_25segmented_radix_sort_implIS3_Lb0EPKlPlS8_S9_N2at6native12_GLOBAL__N_18offset_tEEE10hipError_tPvRmT1_PNSt15iterator_traitsISH_E10value_typeET2_T3_PNSI_ISN_E10value_typeET4_jRbjT5_ST_jjP12ihipStream_tbEUlT_E2_NS1_11comp_targetILNS1_3genE10ELNS1_11target_archE1201ELNS1_3gpuE5ELNS1_3repE0EEENS1_30default_config_static_selectorELNS0_4arch9wavefront6targetE0EEEvSH_.kd
    .uniform_work_group_size: 1
    .uses_dynamic_stack: false
    .vgpr_count:     0
    .vgpr_spill_count: 0
    .wavefront_size: 32
  - .args:
      - .offset:         0
        .size:           80
        .value_kind:     by_value
    .group_segment_fixed_size: 0
    .kernarg_segment_align: 8
    .kernarg_segment_size: 80
    .language:       OpenCL C
    .language_version:
      - 2
      - 0
    .max_flat_workgroup_size: 128
    .name:           _ZN7rocprim17ROCPRIM_400000_NS6detail17trampoline_kernelINS0_14default_configENS1_36segmented_radix_sort_config_selectorIllEEZNS1_25segmented_radix_sort_implIS3_Lb0EPKlPlS8_S9_N2at6native12_GLOBAL__N_18offset_tEEE10hipError_tPvRmT1_PNSt15iterator_traitsISH_E10value_typeET2_T3_PNSI_ISN_E10value_typeET4_jRbjT5_ST_jjP12ihipStream_tbEUlT_E2_NS1_11comp_targetILNS1_3genE10ELNS1_11target_archE1200ELNS1_3gpuE4ELNS1_3repE0EEENS1_30default_config_static_selectorELNS0_4arch9wavefront6targetE0EEEvSH_
    .private_segment_fixed_size: 0
    .sgpr_count:     0
    .sgpr_spill_count: 0
    .symbol:         _ZN7rocprim17ROCPRIM_400000_NS6detail17trampoline_kernelINS0_14default_configENS1_36segmented_radix_sort_config_selectorIllEEZNS1_25segmented_radix_sort_implIS3_Lb0EPKlPlS8_S9_N2at6native12_GLOBAL__N_18offset_tEEE10hipError_tPvRmT1_PNSt15iterator_traitsISH_E10value_typeET2_T3_PNSI_ISN_E10value_typeET4_jRbjT5_ST_jjP12ihipStream_tbEUlT_E2_NS1_11comp_targetILNS1_3genE10ELNS1_11target_archE1200ELNS1_3gpuE4ELNS1_3repE0EEENS1_30default_config_static_selectorELNS0_4arch9wavefront6targetE0EEEvSH_.kd
    .uniform_work_group_size: 1
    .uses_dynamic_stack: false
    .vgpr_count:     0
    .vgpr_spill_count: 0
    .wavefront_size: 32
  - .args:
      - .offset:         0
        .size:           80
        .value_kind:     by_value
    .group_segment_fixed_size: 0
    .kernarg_segment_align: 8
    .kernarg_segment_size: 80
    .language:       OpenCL C
    .language_version:
      - 2
      - 0
    .max_flat_workgroup_size: 256
    .name:           _ZN7rocprim17ROCPRIM_400000_NS6detail17trampoline_kernelINS0_14default_configENS1_36segmented_radix_sort_config_selectorIllEEZNS1_25segmented_radix_sort_implIS3_Lb0EPKlPlS8_S9_N2at6native12_GLOBAL__N_18offset_tEEE10hipError_tPvRmT1_PNSt15iterator_traitsISH_E10value_typeET2_T3_PNSI_ISN_E10value_typeET4_jRbjT5_ST_jjP12ihipStream_tbEUlT_E2_NS1_11comp_targetILNS1_3genE9ELNS1_11target_archE1100ELNS1_3gpuE3ELNS1_3repE0EEENS1_30default_config_static_selectorELNS0_4arch9wavefront6targetE0EEEvSH_
    .private_segment_fixed_size: 0
    .sgpr_count:     0
    .sgpr_spill_count: 0
    .symbol:         _ZN7rocprim17ROCPRIM_400000_NS6detail17trampoline_kernelINS0_14default_configENS1_36segmented_radix_sort_config_selectorIllEEZNS1_25segmented_radix_sort_implIS3_Lb0EPKlPlS8_S9_N2at6native12_GLOBAL__N_18offset_tEEE10hipError_tPvRmT1_PNSt15iterator_traitsISH_E10value_typeET2_T3_PNSI_ISN_E10value_typeET4_jRbjT5_ST_jjP12ihipStream_tbEUlT_E2_NS1_11comp_targetILNS1_3genE9ELNS1_11target_archE1100ELNS1_3gpuE3ELNS1_3repE0EEENS1_30default_config_static_selectorELNS0_4arch9wavefront6targetE0EEEvSH_.kd
    .uniform_work_group_size: 1
    .uses_dynamic_stack: false
    .vgpr_count:     0
    .vgpr_spill_count: 0
    .wavefront_size: 32
  - .args:
      - .offset:         0
        .size:           80
        .value_kind:     by_value
    .group_segment_fixed_size: 0
    .kernarg_segment_align: 8
    .kernarg_segment_size: 80
    .language:       OpenCL C
    .language_version:
      - 2
      - 0
    .max_flat_workgroup_size: 256
    .name:           _ZN7rocprim17ROCPRIM_400000_NS6detail17trampoline_kernelINS0_14default_configENS1_36segmented_radix_sort_config_selectorIllEEZNS1_25segmented_radix_sort_implIS3_Lb0EPKlPlS8_S9_N2at6native12_GLOBAL__N_18offset_tEEE10hipError_tPvRmT1_PNSt15iterator_traitsISH_E10value_typeET2_T3_PNSI_ISN_E10value_typeET4_jRbjT5_ST_jjP12ihipStream_tbEUlT_E2_NS1_11comp_targetILNS1_3genE8ELNS1_11target_archE1030ELNS1_3gpuE2ELNS1_3repE0EEENS1_30default_config_static_selectorELNS0_4arch9wavefront6targetE0EEEvSH_
    .private_segment_fixed_size: 0
    .sgpr_count:     0
    .sgpr_spill_count: 0
    .symbol:         _ZN7rocprim17ROCPRIM_400000_NS6detail17trampoline_kernelINS0_14default_configENS1_36segmented_radix_sort_config_selectorIllEEZNS1_25segmented_radix_sort_implIS3_Lb0EPKlPlS8_S9_N2at6native12_GLOBAL__N_18offset_tEEE10hipError_tPvRmT1_PNSt15iterator_traitsISH_E10value_typeET2_T3_PNSI_ISN_E10value_typeET4_jRbjT5_ST_jjP12ihipStream_tbEUlT_E2_NS1_11comp_targetILNS1_3genE8ELNS1_11target_archE1030ELNS1_3gpuE2ELNS1_3repE0EEENS1_30default_config_static_selectorELNS0_4arch9wavefront6targetE0EEEvSH_.kd
    .uniform_work_group_size: 1
    .uses_dynamic_stack: false
    .vgpr_count:     0
    .vgpr_spill_count: 0
    .wavefront_size: 32
  - .args:
      - .address_space:  global
        .offset:         0
        .size:           8
        .value_kind:     global_buffer
      - .address_space:  global
        .offset:         8
        .size:           8
        .value_kind:     global_buffer
      - .address_space:  global
        .offset:         16
        .size:           8
        .value_kind:     global_buffer
      - .address_space:  global
        .offset:         24
        .size:           8
        .value_kind:     global_buffer
      - .offset:         32
        .size:           4
        .value_kind:     by_value
      - .offset:         36
        .size:           4
        .value_kind:     by_value
      - .offset:         40
        .size:           4
        .value_kind:     hidden_block_count_x
      - .offset:         44
        .size:           4
        .value_kind:     hidden_block_count_y
      - .offset:         48
        .size:           4
        .value_kind:     hidden_block_count_z
      - .offset:         52
        .size:           2
        .value_kind:     hidden_group_size_x
      - .offset:         54
        .size:           2
        .value_kind:     hidden_group_size_y
      - .offset:         56
        .size:           2
        .value_kind:     hidden_group_size_z
      - .offset:         58
        .size:           2
        .value_kind:     hidden_remainder_x
      - .offset:         60
        .size:           2
        .value_kind:     hidden_remainder_y
      - .offset:         62
        .size:           2
        .value_kind:     hidden_remainder_z
      - .offset:         80
        .size:           8
        .value_kind:     hidden_global_offset_x
      - .offset:         88
        .size:           8
        .value_kind:     hidden_global_offset_y
      - .offset:         96
        .size:           8
        .value_kind:     hidden_global_offset_z
      - .offset:         104
        .size:           2
        .value_kind:     hidden_grid_dims
    .group_segment_fixed_size: 0
    .kernarg_segment_align: 8
    .kernarg_segment_size: 296
    .language:       OpenCL C
    .language_version:
      - 2
      - 0
    .max_flat_workgroup_size: 1024
    .name:           _ZN2at6native12_GLOBAL__N_123sort_postprocess_kernelIsEEvPKT_PS3_PlPK15HIP_vector_typeIiLj2EEii
    .private_segment_fixed_size: 0
    .sgpr_count:     24
    .sgpr_spill_count: 0
    .symbol:         _ZN2at6native12_GLOBAL__N_123sort_postprocess_kernelIsEEvPKT_PS3_PlPK15HIP_vector_typeIiLj2EEii.kd
    .uniform_work_group_size: 1
    .uses_dynamic_stack: false
    .vgpr_count:     16
    .vgpr_spill_count: 0
    .wavefront_size: 32
  - .args:
      - .offset:         0
        .size:           176
        .value_kind:     by_value
    .group_segment_fixed_size: 13328
    .kernarg_segment_align: 8
    .kernarg_segment_size: 176
    .language:       OpenCL C
    .language_version:
      - 2
      - 0
    .max_flat_workgroup_size: 256
    .name:           _ZN7rocprim17ROCPRIM_400000_NS6detail17trampoline_kernelINS0_13select_configILj256ELj13ELNS0_17block_load_methodE3ELS4_3ELS4_3ELNS0_20block_scan_algorithmE0ELj4294967295EEENS1_25partition_config_selectorILNS1_17partition_subalgoE4EjNS0_10empty_typeEbEEZZNS1_14partition_implILS8_4ELb0ES6_15HIP_vector_typeIjLj2EENS0_17counting_iteratorIjlEEPS9_SG_NS0_5tupleIJPjSI_NS0_16reverse_iteratorISI_EEEEENSH_IJSG_SG_SG_EEES9_SI_JZNS1_25segmented_radix_sort_implINS0_14default_configELb1EPKsPsPKlPlN2at6native12_GLOBAL__N_18offset_tEEE10hipError_tPvRmT1_PNSt15iterator_traitsIS12_E10value_typeET2_T3_PNS13_IS18_E10value_typeET4_jRbjT5_S1E_jjP12ihipStream_tbEUljE_ZNSN_ISO_Lb1ESQ_SR_ST_SU_SY_EESZ_S10_S11_S12_S16_S17_S18_S1B_S1C_jS1D_jS1E_S1E_jjS1G_bEUljE0_EEESZ_S10_S11_S18_S1C_S1E_T6_T7_T9_mT8_S1G_bDpT10_ENKUlT_T0_E_clISt17integral_constantIbLb0EES1U_EEDaS1P_S1Q_EUlS1P_E_NS1_11comp_targetILNS1_3genE0ELNS1_11target_archE4294967295ELNS1_3gpuE0ELNS1_3repE0EEENS1_30default_config_static_selectorELNS0_4arch9wavefront6targetE0EEEvS12_
    .private_segment_fixed_size: 0
    .sgpr_count:     61
    .sgpr_spill_count: 0
    .symbol:         _ZN7rocprim17ROCPRIM_400000_NS6detail17trampoline_kernelINS0_13select_configILj256ELj13ELNS0_17block_load_methodE3ELS4_3ELS4_3ELNS0_20block_scan_algorithmE0ELj4294967295EEENS1_25partition_config_selectorILNS1_17partition_subalgoE4EjNS0_10empty_typeEbEEZZNS1_14partition_implILS8_4ELb0ES6_15HIP_vector_typeIjLj2EENS0_17counting_iteratorIjlEEPS9_SG_NS0_5tupleIJPjSI_NS0_16reverse_iteratorISI_EEEEENSH_IJSG_SG_SG_EEES9_SI_JZNS1_25segmented_radix_sort_implINS0_14default_configELb1EPKsPsPKlPlN2at6native12_GLOBAL__N_18offset_tEEE10hipError_tPvRmT1_PNSt15iterator_traitsIS12_E10value_typeET2_T3_PNS13_IS18_E10value_typeET4_jRbjT5_S1E_jjP12ihipStream_tbEUljE_ZNSN_ISO_Lb1ESQ_SR_ST_SU_SY_EESZ_S10_S11_S12_S16_S17_S18_S1B_S1C_jS1D_jS1E_S1E_jjS1G_bEUljE0_EEESZ_S10_S11_S18_S1C_S1E_T6_T7_T9_mT8_S1G_bDpT10_ENKUlT_T0_E_clISt17integral_constantIbLb0EES1U_EEDaS1P_S1Q_EUlS1P_E_NS1_11comp_targetILNS1_3genE0ELNS1_11target_archE4294967295ELNS1_3gpuE0ELNS1_3repE0EEENS1_30default_config_static_selectorELNS0_4arch9wavefront6targetE0EEEvS12_.kd
    .uniform_work_group_size: 1
    .uses_dynamic_stack: false
    .vgpr_count:     81
    .vgpr_spill_count: 0
    .wavefront_size: 32
  - .args:
      - .offset:         0
        .size:           176
        .value_kind:     by_value
    .group_segment_fixed_size: 0
    .kernarg_segment_align: 8
    .kernarg_segment_size: 176
    .language:       OpenCL C
    .language_version:
      - 2
      - 0
    .max_flat_workgroup_size: 256
    .name:           _ZN7rocprim17ROCPRIM_400000_NS6detail17trampoline_kernelINS0_13select_configILj256ELj13ELNS0_17block_load_methodE3ELS4_3ELS4_3ELNS0_20block_scan_algorithmE0ELj4294967295EEENS1_25partition_config_selectorILNS1_17partition_subalgoE4EjNS0_10empty_typeEbEEZZNS1_14partition_implILS8_4ELb0ES6_15HIP_vector_typeIjLj2EENS0_17counting_iteratorIjlEEPS9_SG_NS0_5tupleIJPjSI_NS0_16reverse_iteratorISI_EEEEENSH_IJSG_SG_SG_EEES9_SI_JZNS1_25segmented_radix_sort_implINS0_14default_configELb1EPKsPsPKlPlN2at6native12_GLOBAL__N_18offset_tEEE10hipError_tPvRmT1_PNSt15iterator_traitsIS12_E10value_typeET2_T3_PNS13_IS18_E10value_typeET4_jRbjT5_S1E_jjP12ihipStream_tbEUljE_ZNSN_ISO_Lb1ESQ_SR_ST_SU_SY_EESZ_S10_S11_S12_S16_S17_S18_S1B_S1C_jS1D_jS1E_S1E_jjS1G_bEUljE0_EEESZ_S10_S11_S18_S1C_S1E_T6_T7_T9_mT8_S1G_bDpT10_ENKUlT_T0_E_clISt17integral_constantIbLb0EES1U_EEDaS1P_S1Q_EUlS1P_E_NS1_11comp_targetILNS1_3genE5ELNS1_11target_archE942ELNS1_3gpuE9ELNS1_3repE0EEENS1_30default_config_static_selectorELNS0_4arch9wavefront6targetE0EEEvS12_
    .private_segment_fixed_size: 0
    .sgpr_count:     0
    .sgpr_spill_count: 0
    .symbol:         _ZN7rocprim17ROCPRIM_400000_NS6detail17trampoline_kernelINS0_13select_configILj256ELj13ELNS0_17block_load_methodE3ELS4_3ELS4_3ELNS0_20block_scan_algorithmE0ELj4294967295EEENS1_25partition_config_selectorILNS1_17partition_subalgoE4EjNS0_10empty_typeEbEEZZNS1_14partition_implILS8_4ELb0ES6_15HIP_vector_typeIjLj2EENS0_17counting_iteratorIjlEEPS9_SG_NS0_5tupleIJPjSI_NS0_16reverse_iteratorISI_EEEEENSH_IJSG_SG_SG_EEES9_SI_JZNS1_25segmented_radix_sort_implINS0_14default_configELb1EPKsPsPKlPlN2at6native12_GLOBAL__N_18offset_tEEE10hipError_tPvRmT1_PNSt15iterator_traitsIS12_E10value_typeET2_T3_PNS13_IS18_E10value_typeET4_jRbjT5_S1E_jjP12ihipStream_tbEUljE_ZNSN_ISO_Lb1ESQ_SR_ST_SU_SY_EESZ_S10_S11_S12_S16_S17_S18_S1B_S1C_jS1D_jS1E_S1E_jjS1G_bEUljE0_EEESZ_S10_S11_S18_S1C_S1E_T6_T7_T9_mT8_S1G_bDpT10_ENKUlT_T0_E_clISt17integral_constantIbLb0EES1U_EEDaS1P_S1Q_EUlS1P_E_NS1_11comp_targetILNS1_3genE5ELNS1_11target_archE942ELNS1_3gpuE9ELNS1_3repE0EEENS1_30default_config_static_selectorELNS0_4arch9wavefront6targetE0EEEvS12_.kd
    .uniform_work_group_size: 1
    .uses_dynamic_stack: false
    .vgpr_count:     0
    .vgpr_spill_count: 0
    .wavefront_size: 32
  - .args:
      - .offset:         0
        .size:           176
        .value_kind:     by_value
    .group_segment_fixed_size: 0
    .kernarg_segment_align: 8
    .kernarg_segment_size: 176
    .language:       OpenCL C
    .language_version:
      - 2
      - 0
    .max_flat_workgroup_size: 256
    .name:           _ZN7rocprim17ROCPRIM_400000_NS6detail17trampoline_kernelINS0_13select_configILj256ELj13ELNS0_17block_load_methodE3ELS4_3ELS4_3ELNS0_20block_scan_algorithmE0ELj4294967295EEENS1_25partition_config_selectorILNS1_17partition_subalgoE4EjNS0_10empty_typeEbEEZZNS1_14partition_implILS8_4ELb0ES6_15HIP_vector_typeIjLj2EENS0_17counting_iteratorIjlEEPS9_SG_NS0_5tupleIJPjSI_NS0_16reverse_iteratorISI_EEEEENSH_IJSG_SG_SG_EEES9_SI_JZNS1_25segmented_radix_sort_implINS0_14default_configELb1EPKsPsPKlPlN2at6native12_GLOBAL__N_18offset_tEEE10hipError_tPvRmT1_PNSt15iterator_traitsIS12_E10value_typeET2_T3_PNS13_IS18_E10value_typeET4_jRbjT5_S1E_jjP12ihipStream_tbEUljE_ZNSN_ISO_Lb1ESQ_SR_ST_SU_SY_EESZ_S10_S11_S12_S16_S17_S18_S1B_S1C_jS1D_jS1E_S1E_jjS1G_bEUljE0_EEESZ_S10_S11_S18_S1C_S1E_T6_T7_T9_mT8_S1G_bDpT10_ENKUlT_T0_E_clISt17integral_constantIbLb0EES1U_EEDaS1P_S1Q_EUlS1P_E_NS1_11comp_targetILNS1_3genE4ELNS1_11target_archE910ELNS1_3gpuE8ELNS1_3repE0EEENS1_30default_config_static_selectorELNS0_4arch9wavefront6targetE0EEEvS12_
    .private_segment_fixed_size: 0
    .sgpr_count:     0
    .sgpr_spill_count: 0
    .symbol:         _ZN7rocprim17ROCPRIM_400000_NS6detail17trampoline_kernelINS0_13select_configILj256ELj13ELNS0_17block_load_methodE3ELS4_3ELS4_3ELNS0_20block_scan_algorithmE0ELj4294967295EEENS1_25partition_config_selectorILNS1_17partition_subalgoE4EjNS0_10empty_typeEbEEZZNS1_14partition_implILS8_4ELb0ES6_15HIP_vector_typeIjLj2EENS0_17counting_iteratorIjlEEPS9_SG_NS0_5tupleIJPjSI_NS0_16reverse_iteratorISI_EEEEENSH_IJSG_SG_SG_EEES9_SI_JZNS1_25segmented_radix_sort_implINS0_14default_configELb1EPKsPsPKlPlN2at6native12_GLOBAL__N_18offset_tEEE10hipError_tPvRmT1_PNSt15iterator_traitsIS12_E10value_typeET2_T3_PNS13_IS18_E10value_typeET4_jRbjT5_S1E_jjP12ihipStream_tbEUljE_ZNSN_ISO_Lb1ESQ_SR_ST_SU_SY_EESZ_S10_S11_S12_S16_S17_S18_S1B_S1C_jS1D_jS1E_S1E_jjS1G_bEUljE0_EEESZ_S10_S11_S18_S1C_S1E_T6_T7_T9_mT8_S1G_bDpT10_ENKUlT_T0_E_clISt17integral_constantIbLb0EES1U_EEDaS1P_S1Q_EUlS1P_E_NS1_11comp_targetILNS1_3genE4ELNS1_11target_archE910ELNS1_3gpuE8ELNS1_3repE0EEENS1_30default_config_static_selectorELNS0_4arch9wavefront6targetE0EEEvS12_.kd
    .uniform_work_group_size: 1
    .uses_dynamic_stack: false
    .vgpr_count:     0
    .vgpr_spill_count: 0
    .wavefront_size: 32
  - .args:
      - .offset:         0
        .size:           176
        .value_kind:     by_value
    .group_segment_fixed_size: 0
    .kernarg_segment_align: 8
    .kernarg_segment_size: 176
    .language:       OpenCL C
    .language_version:
      - 2
      - 0
    .max_flat_workgroup_size: 256
    .name:           _ZN7rocprim17ROCPRIM_400000_NS6detail17trampoline_kernelINS0_13select_configILj256ELj13ELNS0_17block_load_methodE3ELS4_3ELS4_3ELNS0_20block_scan_algorithmE0ELj4294967295EEENS1_25partition_config_selectorILNS1_17partition_subalgoE4EjNS0_10empty_typeEbEEZZNS1_14partition_implILS8_4ELb0ES6_15HIP_vector_typeIjLj2EENS0_17counting_iteratorIjlEEPS9_SG_NS0_5tupleIJPjSI_NS0_16reverse_iteratorISI_EEEEENSH_IJSG_SG_SG_EEES9_SI_JZNS1_25segmented_radix_sort_implINS0_14default_configELb1EPKsPsPKlPlN2at6native12_GLOBAL__N_18offset_tEEE10hipError_tPvRmT1_PNSt15iterator_traitsIS12_E10value_typeET2_T3_PNS13_IS18_E10value_typeET4_jRbjT5_S1E_jjP12ihipStream_tbEUljE_ZNSN_ISO_Lb1ESQ_SR_ST_SU_SY_EESZ_S10_S11_S12_S16_S17_S18_S1B_S1C_jS1D_jS1E_S1E_jjS1G_bEUljE0_EEESZ_S10_S11_S18_S1C_S1E_T6_T7_T9_mT8_S1G_bDpT10_ENKUlT_T0_E_clISt17integral_constantIbLb0EES1U_EEDaS1P_S1Q_EUlS1P_E_NS1_11comp_targetILNS1_3genE3ELNS1_11target_archE908ELNS1_3gpuE7ELNS1_3repE0EEENS1_30default_config_static_selectorELNS0_4arch9wavefront6targetE0EEEvS12_
    .private_segment_fixed_size: 0
    .sgpr_count:     0
    .sgpr_spill_count: 0
    .symbol:         _ZN7rocprim17ROCPRIM_400000_NS6detail17trampoline_kernelINS0_13select_configILj256ELj13ELNS0_17block_load_methodE3ELS4_3ELS4_3ELNS0_20block_scan_algorithmE0ELj4294967295EEENS1_25partition_config_selectorILNS1_17partition_subalgoE4EjNS0_10empty_typeEbEEZZNS1_14partition_implILS8_4ELb0ES6_15HIP_vector_typeIjLj2EENS0_17counting_iteratorIjlEEPS9_SG_NS0_5tupleIJPjSI_NS0_16reverse_iteratorISI_EEEEENSH_IJSG_SG_SG_EEES9_SI_JZNS1_25segmented_radix_sort_implINS0_14default_configELb1EPKsPsPKlPlN2at6native12_GLOBAL__N_18offset_tEEE10hipError_tPvRmT1_PNSt15iterator_traitsIS12_E10value_typeET2_T3_PNS13_IS18_E10value_typeET4_jRbjT5_S1E_jjP12ihipStream_tbEUljE_ZNSN_ISO_Lb1ESQ_SR_ST_SU_SY_EESZ_S10_S11_S12_S16_S17_S18_S1B_S1C_jS1D_jS1E_S1E_jjS1G_bEUljE0_EEESZ_S10_S11_S18_S1C_S1E_T6_T7_T9_mT8_S1G_bDpT10_ENKUlT_T0_E_clISt17integral_constantIbLb0EES1U_EEDaS1P_S1Q_EUlS1P_E_NS1_11comp_targetILNS1_3genE3ELNS1_11target_archE908ELNS1_3gpuE7ELNS1_3repE0EEENS1_30default_config_static_selectorELNS0_4arch9wavefront6targetE0EEEvS12_.kd
    .uniform_work_group_size: 1
    .uses_dynamic_stack: false
    .vgpr_count:     0
    .vgpr_spill_count: 0
    .wavefront_size: 32
  - .args:
      - .offset:         0
        .size:           176
        .value_kind:     by_value
    .group_segment_fixed_size: 0
    .kernarg_segment_align: 8
    .kernarg_segment_size: 176
    .language:       OpenCL C
    .language_version:
      - 2
      - 0
    .max_flat_workgroup_size: 256
    .name:           _ZN7rocprim17ROCPRIM_400000_NS6detail17trampoline_kernelINS0_13select_configILj256ELj13ELNS0_17block_load_methodE3ELS4_3ELS4_3ELNS0_20block_scan_algorithmE0ELj4294967295EEENS1_25partition_config_selectorILNS1_17partition_subalgoE4EjNS0_10empty_typeEbEEZZNS1_14partition_implILS8_4ELb0ES6_15HIP_vector_typeIjLj2EENS0_17counting_iteratorIjlEEPS9_SG_NS0_5tupleIJPjSI_NS0_16reverse_iteratorISI_EEEEENSH_IJSG_SG_SG_EEES9_SI_JZNS1_25segmented_radix_sort_implINS0_14default_configELb1EPKsPsPKlPlN2at6native12_GLOBAL__N_18offset_tEEE10hipError_tPvRmT1_PNSt15iterator_traitsIS12_E10value_typeET2_T3_PNS13_IS18_E10value_typeET4_jRbjT5_S1E_jjP12ihipStream_tbEUljE_ZNSN_ISO_Lb1ESQ_SR_ST_SU_SY_EESZ_S10_S11_S12_S16_S17_S18_S1B_S1C_jS1D_jS1E_S1E_jjS1G_bEUljE0_EEESZ_S10_S11_S18_S1C_S1E_T6_T7_T9_mT8_S1G_bDpT10_ENKUlT_T0_E_clISt17integral_constantIbLb0EES1U_EEDaS1P_S1Q_EUlS1P_E_NS1_11comp_targetILNS1_3genE2ELNS1_11target_archE906ELNS1_3gpuE6ELNS1_3repE0EEENS1_30default_config_static_selectorELNS0_4arch9wavefront6targetE0EEEvS12_
    .private_segment_fixed_size: 0
    .sgpr_count:     0
    .sgpr_spill_count: 0
    .symbol:         _ZN7rocprim17ROCPRIM_400000_NS6detail17trampoline_kernelINS0_13select_configILj256ELj13ELNS0_17block_load_methodE3ELS4_3ELS4_3ELNS0_20block_scan_algorithmE0ELj4294967295EEENS1_25partition_config_selectorILNS1_17partition_subalgoE4EjNS0_10empty_typeEbEEZZNS1_14partition_implILS8_4ELb0ES6_15HIP_vector_typeIjLj2EENS0_17counting_iteratorIjlEEPS9_SG_NS0_5tupleIJPjSI_NS0_16reverse_iteratorISI_EEEEENSH_IJSG_SG_SG_EEES9_SI_JZNS1_25segmented_radix_sort_implINS0_14default_configELb1EPKsPsPKlPlN2at6native12_GLOBAL__N_18offset_tEEE10hipError_tPvRmT1_PNSt15iterator_traitsIS12_E10value_typeET2_T3_PNS13_IS18_E10value_typeET4_jRbjT5_S1E_jjP12ihipStream_tbEUljE_ZNSN_ISO_Lb1ESQ_SR_ST_SU_SY_EESZ_S10_S11_S12_S16_S17_S18_S1B_S1C_jS1D_jS1E_S1E_jjS1G_bEUljE0_EEESZ_S10_S11_S18_S1C_S1E_T6_T7_T9_mT8_S1G_bDpT10_ENKUlT_T0_E_clISt17integral_constantIbLb0EES1U_EEDaS1P_S1Q_EUlS1P_E_NS1_11comp_targetILNS1_3genE2ELNS1_11target_archE906ELNS1_3gpuE6ELNS1_3repE0EEENS1_30default_config_static_selectorELNS0_4arch9wavefront6targetE0EEEvS12_.kd
    .uniform_work_group_size: 1
    .uses_dynamic_stack: false
    .vgpr_count:     0
    .vgpr_spill_count: 0
    .wavefront_size: 32
  - .args:
      - .offset:         0
        .size:           176
        .value_kind:     by_value
    .group_segment_fixed_size: 0
    .kernarg_segment_align: 8
    .kernarg_segment_size: 176
    .language:       OpenCL C
    .language_version:
      - 2
      - 0
    .max_flat_workgroup_size: 256
    .name:           _ZN7rocprim17ROCPRIM_400000_NS6detail17trampoline_kernelINS0_13select_configILj256ELj13ELNS0_17block_load_methodE3ELS4_3ELS4_3ELNS0_20block_scan_algorithmE0ELj4294967295EEENS1_25partition_config_selectorILNS1_17partition_subalgoE4EjNS0_10empty_typeEbEEZZNS1_14partition_implILS8_4ELb0ES6_15HIP_vector_typeIjLj2EENS0_17counting_iteratorIjlEEPS9_SG_NS0_5tupleIJPjSI_NS0_16reverse_iteratorISI_EEEEENSH_IJSG_SG_SG_EEES9_SI_JZNS1_25segmented_radix_sort_implINS0_14default_configELb1EPKsPsPKlPlN2at6native12_GLOBAL__N_18offset_tEEE10hipError_tPvRmT1_PNSt15iterator_traitsIS12_E10value_typeET2_T3_PNS13_IS18_E10value_typeET4_jRbjT5_S1E_jjP12ihipStream_tbEUljE_ZNSN_ISO_Lb1ESQ_SR_ST_SU_SY_EESZ_S10_S11_S12_S16_S17_S18_S1B_S1C_jS1D_jS1E_S1E_jjS1G_bEUljE0_EEESZ_S10_S11_S18_S1C_S1E_T6_T7_T9_mT8_S1G_bDpT10_ENKUlT_T0_E_clISt17integral_constantIbLb0EES1U_EEDaS1P_S1Q_EUlS1P_E_NS1_11comp_targetILNS1_3genE10ELNS1_11target_archE1200ELNS1_3gpuE4ELNS1_3repE0EEENS1_30default_config_static_selectorELNS0_4arch9wavefront6targetE0EEEvS12_
    .private_segment_fixed_size: 0
    .sgpr_count:     0
    .sgpr_spill_count: 0
    .symbol:         _ZN7rocprim17ROCPRIM_400000_NS6detail17trampoline_kernelINS0_13select_configILj256ELj13ELNS0_17block_load_methodE3ELS4_3ELS4_3ELNS0_20block_scan_algorithmE0ELj4294967295EEENS1_25partition_config_selectorILNS1_17partition_subalgoE4EjNS0_10empty_typeEbEEZZNS1_14partition_implILS8_4ELb0ES6_15HIP_vector_typeIjLj2EENS0_17counting_iteratorIjlEEPS9_SG_NS0_5tupleIJPjSI_NS0_16reverse_iteratorISI_EEEEENSH_IJSG_SG_SG_EEES9_SI_JZNS1_25segmented_radix_sort_implINS0_14default_configELb1EPKsPsPKlPlN2at6native12_GLOBAL__N_18offset_tEEE10hipError_tPvRmT1_PNSt15iterator_traitsIS12_E10value_typeET2_T3_PNS13_IS18_E10value_typeET4_jRbjT5_S1E_jjP12ihipStream_tbEUljE_ZNSN_ISO_Lb1ESQ_SR_ST_SU_SY_EESZ_S10_S11_S12_S16_S17_S18_S1B_S1C_jS1D_jS1E_S1E_jjS1G_bEUljE0_EEESZ_S10_S11_S18_S1C_S1E_T6_T7_T9_mT8_S1G_bDpT10_ENKUlT_T0_E_clISt17integral_constantIbLb0EES1U_EEDaS1P_S1Q_EUlS1P_E_NS1_11comp_targetILNS1_3genE10ELNS1_11target_archE1200ELNS1_3gpuE4ELNS1_3repE0EEENS1_30default_config_static_selectorELNS0_4arch9wavefront6targetE0EEEvS12_.kd
    .uniform_work_group_size: 1
    .uses_dynamic_stack: false
    .vgpr_count:     0
    .vgpr_spill_count: 0
    .wavefront_size: 32
  - .args:
      - .offset:         0
        .size:           176
        .value_kind:     by_value
    .group_segment_fixed_size: 0
    .kernarg_segment_align: 8
    .kernarg_segment_size: 176
    .language:       OpenCL C
    .language_version:
      - 2
      - 0
    .max_flat_workgroup_size: 256
    .name:           _ZN7rocprim17ROCPRIM_400000_NS6detail17trampoline_kernelINS0_13select_configILj256ELj13ELNS0_17block_load_methodE3ELS4_3ELS4_3ELNS0_20block_scan_algorithmE0ELj4294967295EEENS1_25partition_config_selectorILNS1_17partition_subalgoE4EjNS0_10empty_typeEbEEZZNS1_14partition_implILS8_4ELb0ES6_15HIP_vector_typeIjLj2EENS0_17counting_iteratorIjlEEPS9_SG_NS0_5tupleIJPjSI_NS0_16reverse_iteratorISI_EEEEENSH_IJSG_SG_SG_EEES9_SI_JZNS1_25segmented_radix_sort_implINS0_14default_configELb1EPKsPsPKlPlN2at6native12_GLOBAL__N_18offset_tEEE10hipError_tPvRmT1_PNSt15iterator_traitsIS12_E10value_typeET2_T3_PNS13_IS18_E10value_typeET4_jRbjT5_S1E_jjP12ihipStream_tbEUljE_ZNSN_ISO_Lb1ESQ_SR_ST_SU_SY_EESZ_S10_S11_S12_S16_S17_S18_S1B_S1C_jS1D_jS1E_S1E_jjS1G_bEUljE0_EEESZ_S10_S11_S18_S1C_S1E_T6_T7_T9_mT8_S1G_bDpT10_ENKUlT_T0_E_clISt17integral_constantIbLb0EES1U_EEDaS1P_S1Q_EUlS1P_E_NS1_11comp_targetILNS1_3genE9ELNS1_11target_archE1100ELNS1_3gpuE3ELNS1_3repE0EEENS1_30default_config_static_selectorELNS0_4arch9wavefront6targetE0EEEvS12_
    .private_segment_fixed_size: 0
    .sgpr_count:     0
    .sgpr_spill_count: 0
    .symbol:         _ZN7rocprim17ROCPRIM_400000_NS6detail17trampoline_kernelINS0_13select_configILj256ELj13ELNS0_17block_load_methodE3ELS4_3ELS4_3ELNS0_20block_scan_algorithmE0ELj4294967295EEENS1_25partition_config_selectorILNS1_17partition_subalgoE4EjNS0_10empty_typeEbEEZZNS1_14partition_implILS8_4ELb0ES6_15HIP_vector_typeIjLj2EENS0_17counting_iteratorIjlEEPS9_SG_NS0_5tupleIJPjSI_NS0_16reverse_iteratorISI_EEEEENSH_IJSG_SG_SG_EEES9_SI_JZNS1_25segmented_radix_sort_implINS0_14default_configELb1EPKsPsPKlPlN2at6native12_GLOBAL__N_18offset_tEEE10hipError_tPvRmT1_PNSt15iterator_traitsIS12_E10value_typeET2_T3_PNS13_IS18_E10value_typeET4_jRbjT5_S1E_jjP12ihipStream_tbEUljE_ZNSN_ISO_Lb1ESQ_SR_ST_SU_SY_EESZ_S10_S11_S12_S16_S17_S18_S1B_S1C_jS1D_jS1E_S1E_jjS1G_bEUljE0_EEESZ_S10_S11_S18_S1C_S1E_T6_T7_T9_mT8_S1G_bDpT10_ENKUlT_T0_E_clISt17integral_constantIbLb0EES1U_EEDaS1P_S1Q_EUlS1P_E_NS1_11comp_targetILNS1_3genE9ELNS1_11target_archE1100ELNS1_3gpuE3ELNS1_3repE0EEENS1_30default_config_static_selectorELNS0_4arch9wavefront6targetE0EEEvS12_.kd
    .uniform_work_group_size: 1
    .uses_dynamic_stack: false
    .vgpr_count:     0
    .vgpr_spill_count: 0
    .wavefront_size: 32
  - .args:
      - .offset:         0
        .size:           176
        .value_kind:     by_value
    .group_segment_fixed_size: 0
    .kernarg_segment_align: 8
    .kernarg_segment_size: 176
    .language:       OpenCL C
    .language_version:
      - 2
      - 0
    .max_flat_workgroup_size: 256
    .name:           _ZN7rocprim17ROCPRIM_400000_NS6detail17trampoline_kernelINS0_13select_configILj256ELj13ELNS0_17block_load_methodE3ELS4_3ELS4_3ELNS0_20block_scan_algorithmE0ELj4294967295EEENS1_25partition_config_selectorILNS1_17partition_subalgoE4EjNS0_10empty_typeEbEEZZNS1_14partition_implILS8_4ELb0ES6_15HIP_vector_typeIjLj2EENS0_17counting_iteratorIjlEEPS9_SG_NS0_5tupleIJPjSI_NS0_16reverse_iteratorISI_EEEEENSH_IJSG_SG_SG_EEES9_SI_JZNS1_25segmented_radix_sort_implINS0_14default_configELb1EPKsPsPKlPlN2at6native12_GLOBAL__N_18offset_tEEE10hipError_tPvRmT1_PNSt15iterator_traitsIS12_E10value_typeET2_T3_PNS13_IS18_E10value_typeET4_jRbjT5_S1E_jjP12ihipStream_tbEUljE_ZNSN_ISO_Lb1ESQ_SR_ST_SU_SY_EESZ_S10_S11_S12_S16_S17_S18_S1B_S1C_jS1D_jS1E_S1E_jjS1G_bEUljE0_EEESZ_S10_S11_S18_S1C_S1E_T6_T7_T9_mT8_S1G_bDpT10_ENKUlT_T0_E_clISt17integral_constantIbLb0EES1U_EEDaS1P_S1Q_EUlS1P_E_NS1_11comp_targetILNS1_3genE8ELNS1_11target_archE1030ELNS1_3gpuE2ELNS1_3repE0EEENS1_30default_config_static_selectorELNS0_4arch9wavefront6targetE0EEEvS12_
    .private_segment_fixed_size: 0
    .sgpr_count:     0
    .sgpr_spill_count: 0
    .symbol:         _ZN7rocprim17ROCPRIM_400000_NS6detail17trampoline_kernelINS0_13select_configILj256ELj13ELNS0_17block_load_methodE3ELS4_3ELS4_3ELNS0_20block_scan_algorithmE0ELj4294967295EEENS1_25partition_config_selectorILNS1_17partition_subalgoE4EjNS0_10empty_typeEbEEZZNS1_14partition_implILS8_4ELb0ES6_15HIP_vector_typeIjLj2EENS0_17counting_iteratorIjlEEPS9_SG_NS0_5tupleIJPjSI_NS0_16reverse_iteratorISI_EEEEENSH_IJSG_SG_SG_EEES9_SI_JZNS1_25segmented_radix_sort_implINS0_14default_configELb1EPKsPsPKlPlN2at6native12_GLOBAL__N_18offset_tEEE10hipError_tPvRmT1_PNSt15iterator_traitsIS12_E10value_typeET2_T3_PNS13_IS18_E10value_typeET4_jRbjT5_S1E_jjP12ihipStream_tbEUljE_ZNSN_ISO_Lb1ESQ_SR_ST_SU_SY_EESZ_S10_S11_S12_S16_S17_S18_S1B_S1C_jS1D_jS1E_S1E_jjS1G_bEUljE0_EEESZ_S10_S11_S18_S1C_S1E_T6_T7_T9_mT8_S1G_bDpT10_ENKUlT_T0_E_clISt17integral_constantIbLb0EES1U_EEDaS1P_S1Q_EUlS1P_E_NS1_11comp_targetILNS1_3genE8ELNS1_11target_archE1030ELNS1_3gpuE2ELNS1_3repE0EEENS1_30default_config_static_selectorELNS0_4arch9wavefront6targetE0EEEvS12_.kd
    .uniform_work_group_size: 1
    .uses_dynamic_stack: false
    .vgpr_count:     0
    .vgpr_spill_count: 0
    .wavefront_size: 32
  - .args:
      - .offset:         0
        .size:           184
        .value_kind:     by_value
    .group_segment_fixed_size: 0
    .kernarg_segment_align: 8
    .kernarg_segment_size: 184
    .language:       OpenCL C
    .language_version:
      - 2
      - 0
    .max_flat_workgroup_size: 256
    .name:           _ZN7rocprim17ROCPRIM_400000_NS6detail17trampoline_kernelINS0_13select_configILj256ELj13ELNS0_17block_load_methodE3ELS4_3ELS4_3ELNS0_20block_scan_algorithmE0ELj4294967295EEENS1_25partition_config_selectorILNS1_17partition_subalgoE4EjNS0_10empty_typeEbEEZZNS1_14partition_implILS8_4ELb0ES6_15HIP_vector_typeIjLj2EENS0_17counting_iteratorIjlEEPS9_SG_NS0_5tupleIJPjSI_NS0_16reverse_iteratorISI_EEEEENSH_IJSG_SG_SG_EEES9_SI_JZNS1_25segmented_radix_sort_implINS0_14default_configELb1EPKsPsPKlPlN2at6native12_GLOBAL__N_18offset_tEEE10hipError_tPvRmT1_PNSt15iterator_traitsIS12_E10value_typeET2_T3_PNS13_IS18_E10value_typeET4_jRbjT5_S1E_jjP12ihipStream_tbEUljE_ZNSN_ISO_Lb1ESQ_SR_ST_SU_SY_EESZ_S10_S11_S12_S16_S17_S18_S1B_S1C_jS1D_jS1E_S1E_jjS1G_bEUljE0_EEESZ_S10_S11_S18_S1C_S1E_T6_T7_T9_mT8_S1G_bDpT10_ENKUlT_T0_E_clISt17integral_constantIbLb1EES1U_EEDaS1P_S1Q_EUlS1P_E_NS1_11comp_targetILNS1_3genE0ELNS1_11target_archE4294967295ELNS1_3gpuE0ELNS1_3repE0EEENS1_30default_config_static_selectorELNS0_4arch9wavefront6targetE0EEEvS12_
    .private_segment_fixed_size: 0
    .sgpr_count:     0
    .sgpr_spill_count: 0
    .symbol:         _ZN7rocprim17ROCPRIM_400000_NS6detail17trampoline_kernelINS0_13select_configILj256ELj13ELNS0_17block_load_methodE3ELS4_3ELS4_3ELNS0_20block_scan_algorithmE0ELj4294967295EEENS1_25partition_config_selectorILNS1_17partition_subalgoE4EjNS0_10empty_typeEbEEZZNS1_14partition_implILS8_4ELb0ES6_15HIP_vector_typeIjLj2EENS0_17counting_iteratorIjlEEPS9_SG_NS0_5tupleIJPjSI_NS0_16reverse_iteratorISI_EEEEENSH_IJSG_SG_SG_EEES9_SI_JZNS1_25segmented_radix_sort_implINS0_14default_configELb1EPKsPsPKlPlN2at6native12_GLOBAL__N_18offset_tEEE10hipError_tPvRmT1_PNSt15iterator_traitsIS12_E10value_typeET2_T3_PNS13_IS18_E10value_typeET4_jRbjT5_S1E_jjP12ihipStream_tbEUljE_ZNSN_ISO_Lb1ESQ_SR_ST_SU_SY_EESZ_S10_S11_S12_S16_S17_S18_S1B_S1C_jS1D_jS1E_S1E_jjS1G_bEUljE0_EEESZ_S10_S11_S18_S1C_S1E_T6_T7_T9_mT8_S1G_bDpT10_ENKUlT_T0_E_clISt17integral_constantIbLb1EES1U_EEDaS1P_S1Q_EUlS1P_E_NS1_11comp_targetILNS1_3genE0ELNS1_11target_archE4294967295ELNS1_3gpuE0ELNS1_3repE0EEENS1_30default_config_static_selectorELNS0_4arch9wavefront6targetE0EEEvS12_.kd
    .uniform_work_group_size: 1
    .uses_dynamic_stack: false
    .vgpr_count:     0
    .vgpr_spill_count: 0
    .wavefront_size: 32
  - .args:
      - .offset:         0
        .size:           184
        .value_kind:     by_value
    .group_segment_fixed_size: 0
    .kernarg_segment_align: 8
    .kernarg_segment_size: 184
    .language:       OpenCL C
    .language_version:
      - 2
      - 0
    .max_flat_workgroup_size: 256
    .name:           _ZN7rocprim17ROCPRIM_400000_NS6detail17trampoline_kernelINS0_13select_configILj256ELj13ELNS0_17block_load_methodE3ELS4_3ELS4_3ELNS0_20block_scan_algorithmE0ELj4294967295EEENS1_25partition_config_selectorILNS1_17partition_subalgoE4EjNS0_10empty_typeEbEEZZNS1_14partition_implILS8_4ELb0ES6_15HIP_vector_typeIjLj2EENS0_17counting_iteratorIjlEEPS9_SG_NS0_5tupleIJPjSI_NS0_16reverse_iteratorISI_EEEEENSH_IJSG_SG_SG_EEES9_SI_JZNS1_25segmented_radix_sort_implINS0_14default_configELb1EPKsPsPKlPlN2at6native12_GLOBAL__N_18offset_tEEE10hipError_tPvRmT1_PNSt15iterator_traitsIS12_E10value_typeET2_T3_PNS13_IS18_E10value_typeET4_jRbjT5_S1E_jjP12ihipStream_tbEUljE_ZNSN_ISO_Lb1ESQ_SR_ST_SU_SY_EESZ_S10_S11_S12_S16_S17_S18_S1B_S1C_jS1D_jS1E_S1E_jjS1G_bEUljE0_EEESZ_S10_S11_S18_S1C_S1E_T6_T7_T9_mT8_S1G_bDpT10_ENKUlT_T0_E_clISt17integral_constantIbLb1EES1U_EEDaS1P_S1Q_EUlS1P_E_NS1_11comp_targetILNS1_3genE5ELNS1_11target_archE942ELNS1_3gpuE9ELNS1_3repE0EEENS1_30default_config_static_selectorELNS0_4arch9wavefront6targetE0EEEvS12_
    .private_segment_fixed_size: 0
    .sgpr_count:     0
    .sgpr_spill_count: 0
    .symbol:         _ZN7rocprim17ROCPRIM_400000_NS6detail17trampoline_kernelINS0_13select_configILj256ELj13ELNS0_17block_load_methodE3ELS4_3ELS4_3ELNS0_20block_scan_algorithmE0ELj4294967295EEENS1_25partition_config_selectorILNS1_17partition_subalgoE4EjNS0_10empty_typeEbEEZZNS1_14partition_implILS8_4ELb0ES6_15HIP_vector_typeIjLj2EENS0_17counting_iteratorIjlEEPS9_SG_NS0_5tupleIJPjSI_NS0_16reverse_iteratorISI_EEEEENSH_IJSG_SG_SG_EEES9_SI_JZNS1_25segmented_radix_sort_implINS0_14default_configELb1EPKsPsPKlPlN2at6native12_GLOBAL__N_18offset_tEEE10hipError_tPvRmT1_PNSt15iterator_traitsIS12_E10value_typeET2_T3_PNS13_IS18_E10value_typeET4_jRbjT5_S1E_jjP12ihipStream_tbEUljE_ZNSN_ISO_Lb1ESQ_SR_ST_SU_SY_EESZ_S10_S11_S12_S16_S17_S18_S1B_S1C_jS1D_jS1E_S1E_jjS1G_bEUljE0_EEESZ_S10_S11_S18_S1C_S1E_T6_T7_T9_mT8_S1G_bDpT10_ENKUlT_T0_E_clISt17integral_constantIbLb1EES1U_EEDaS1P_S1Q_EUlS1P_E_NS1_11comp_targetILNS1_3genE5ELNS1_11target_archE942ELNS1_3gpuE9ELNS1_3repE0EEENS1_30default_config_static_selectorELNS0_4arch9wavefront6targetE0EEEvS12_.kd
    .uniform_work_group_size: 1
    .uses_dynamic_stack: false
    .vgpr_count:     0
    .vgpr_spill_count: 0
    .wavefront_size: 32
  - .args:
      - .offset:         0
        .size:           184
        .value_kind:     by_value
    .group_segment_fixed_size: 0
    .kernarg_segment_align: 8
    .kernarg_segment_size: 184
    .language:       OpenCL C
    .language_version:
      - 2
      - 0
    .max_flat_workgroup_size: 256
    .name:           _ZN7rocprim17ROCPRIM_400000_NS6detail17trampoline_kernelINS0_13select_configILj256ELj13ELNS0_17block_load_methodE3ELS4_3ELS4_3ELNS0_20block_scan_algorithmE0ELj4294967295EEENS1_25partition_config_selectorILNS1_17partition_subalgoE4EjNS0_10empty_typeEbEEZZNS1_14partition_implILS8_4ELb0ES6_15HIP_vector_typeIjLj2EENS0_17counting_iteratorIjlEEPS9_SG_NS0_5tupleIJPjSI_NS0_16reverse_iteratorISI_EEEEENSH_IJSG_SG_SG_EEES9_SI_JZNS1_25segmented_radix_sort_implINS0_14default_configELb1EPKsPsPKlPlN2at6native12_GLOBAL__N_18offset_tEEE10hipError_tPvRmT1_PNSt15iterator_traitsIS12_E10value_typeET2_T3_PNS13_IS18_E10value_typeET4_jRbjT5_S1E_jjP12ihipStream_tbEUljE_ZNSN_ISO_Lb1ESQ_SR_ST_SU_SY_EESZ_S10_S11_S12_S16_S17_S18_S1B_S1C_jS1D_jS1E_S1E_jjS1G_bEUljE0_EEESZ_S10_S11_S18_S1C_S1E_T6_T7_T9_mT8_S1G_bDpT10_ENKUlT_T0_E_clISt17integral_constantIbLb1EES1U_EEDaS1P_S1Q_EUlS1P_E_NS1_11comp_targetILNS1_3genE4ELNS1_11target_archE910ELNS1_3gpuE8ELNS1_3repE0EEENS1_30default_config_static_selectorELNS0_4arch9wavefront6targetE0EEEvS12_
    .private_segment_fixed_size: 0
    .sgpr_count:     0
    .sgpr_spill_count: 0
    .symbol:         _ZN7rocprim17ROCPRIM_400000_NS6detail17trampoline_kernelINS0_13select_configILj256ELj13ELNS0_17block_load_methodE3ELS4_3ELS4_3ELNS0_20block_scan_algorithmE0ELj4294967295EEENS1_25partition_config_selectorILNS1_17partition_subalgoE4EjNS0_10empty_typeEbEEZZNS1_14partition_implILS8_4ELb0ES6_15HIP_vector_typeIjLj2EENS0_17counting_iteratorIjlEEPS9_SG_NS0_5tupleIJPjSI_NS0_16reverse_iteratorISI_EEEEENSH_IJSG_SG_SG_EEES9_SI_JZNS1_25segmented_radix_sort_implINS0_14default_configELb1EPKsPsPKlPlN2at6native12_GLOBAL__N_18offset_tEEE10hipError_tPvRmT1_PNSt15iterator_traitsIS12_E10value_typeET2_T3_PNS13_IS18_E10value_typeET4_jRbjT5_S1E_jjP12ihipStream_tbEUljE_ZNSN_ISO_Lb1ESQ_SR_ST_SU_SY_EESZ_S10_S11_S12_S16_S17_S18_S1B_S1C_jS1D_jS1E_S1E_jjS1G_bEUljE0_EEESZ_S10_S11_S18_S1C_S1E_T6_T7_T9_mT8_S1G_bDpT10_ENKUlT_T0_E_clISt17integral_constantIbLb1EES1U_EEDaS1P_S1Q_EUlS1P_E_NS1_11comp_targetILNS1_3genE4ELNS1_11target_archE910ELNS1_3gpuE8ELNS1_3repE0EEENS1_30default_config_static_selectorELNS0_4arch9wavefront6targetE0EEEvS12_.kd
    .uniform_work_group_size: 1
    .uses_dynamic_stack: false
    .vgpr_count:     0
    .vgpr_spill_count: 0
    .wavefront_size: 32
  - .args:
      - .offset:         0
        .size:           184
        .value_kind:     by_value
    .group_segment_fixed_size: 0
    .kernarg_segment_align: 8
    .kernarg_segment_size: 184
    .language:       OpenCL C
    .language_version:
      - 2
      - 0
    .max_flat_workgroup_size: 256
    .name:           _ZN7rocprim17ROCPRIM_400000_NS6detail17trampoline_kernelINS0_13select_configILj256ELj13ELNS0_17block_load_methodE3ELS4_3ELS4_3ELNS0_20block_scan_algorithmE0ELj4294967295EEENS1_25partition_config_selectorILNS1_17partition_subalgoE4EjNS0_10empty_typeEbEEZZNS1_14partition_implILS8_4ELb0ES6_15HIP_vector_typeIjLj2EENS0_17counting_iteratorIjlEEPS9_SG_NS0_5tupleIJPjSI_NS0_16reverse_iteratorISI_EEEEENSH_IJSG_SG_SG_EEES9_SI_JZNS1_25segmented_radix_sort_implINS0_14default_configELb1EPKsPsPKlPlN2at6native12_GLOBAL__N_18offset_tEEE10hipError_tPvRmT1_PNSt15iterator_traitsIS12_E10value_typeET2_T3_PNS13_IS18_E10value_typeET4_jRbjT5_S1E_jjP12ihipStream_tbEUljE_ZNSN_ISO_Lb1ESQ_SR_ST_SU_SY_EESZ_S10_S11_S12_S16_S17_S18_S1B_S1C_jS1D_jS1E_S1E_jjS1G_bEUljE0_EEESZ_S10_S11_S18_S1C_S1E_T6_T7_T9_mT8_S1G_bDpT10_ENKUlT_T0_E_clISt17integral_constantIbLb1EES1U_EEDaS1P_S1Q_EUlS1P_E_NS1_11comp_targetILNS1_3genE3ELNS1_11target_archE908ELNS1_3gpuE7ELNS1_3repE0EEENS1_30default_config_static_selectorELNS0_4arch9wavefront6targetE0EEEvS12_
    .private_segment_fixed_size: 0
    .sgpr_count:     0
    .sgpr_spill_count: 0
    .symbol:         _ZN7rocprim17ROCPRIM_400000_NS6detail17trampoline_kernelINS0_13select_configILj256ELj13ELNS0_17block_load_methodE3ELS4_3ELS4_3ELNS0_20block_scan_algorithmE0ELj4294967295EEENS1_25partition_config_selectorILNS1_17partition_subalgoE4EjNS0_10empty_typeEbEEZZNS1_14partition_implILS8_4ELb0ES6_15HIP_vector_typeIjLj2EENS0_17counting_iteratorIjlEEPS9_SG_NS0_5tupleIJPjSI_NS0_16reverse_iteratorISI_EEEEENSH_IJSG_SG_SG_EEES9_SI_JZNS1_25segmented_radix_sort_implINS0_14default_configELb1EPKsPsPKlPlN2at6native12_GLOBAL__N_18offset_tEEE10hipError_tPvRmT1_PNSt15iterator_traitsIS12_E10value_typeET2_T3_PNS13_IS18_E10value_typeET4_jRbjT5_S1E_jjP12ihipStream_tbEUljE_ZNSN_ISO_Lb1ESQ_SR_ST_SU_SY_EESZ_S10_S11_S12_S16_S17_S18_S1B_S1C_jS1D_jS1E_S1E_jjS1G_bEUljE0_EEESZ_S10_S11_S18_S1C_S1E_T6_T7_T9_mT8_S1G_bDpT10_ENKUlT_T0_E_clISt17integral_constantIbLb1EES1U_EEDaS1P_S1Q_EUlS1P_E_NS1_11comp_targetILNS1_3genE3ELNS1_11target_archE908ELNS1_3gpuE7ELNS1_3repE0EEENS1_30default_config_static_selectorELNS0_4arch9wavefront6targetE0EEEvS12_.kd
    .uniform_work_group_size: 1
    .uses_dynamic_stack: false
    .vgpr_count:     0
    .vgpr_spill_count: 0
    .wavefront_size: 32
  - .args:
      - .offset:         0
        .size:           184
        .value_kind:     by_value
    .group_segment_fixed_size: 0
    .kernarg_segment_align: 8
    .kernarg_segment_size: 184
    .language:       OpenCL C
    .language_version:
      - 2
      - 0
    .max_flat_workgroup_size: 256
    .name:           _ZN7rocprim17ROCPRIM_400000_NS6detail17trampoline_kernelINS0_13select_configILj256ELj13ELNS0_17block_load_methodE3ELS4_3ELS4_3ELNS0_20block_scan_algorithmE0ELj4294967295EEENS1_25partition_config_selectorILNS1_17partition_subalgoE4EjNS0_10empty_typeEbEEZZNS1_14partition_implILS8_4ELb0ES6_15HIP_vector_typeIjLj2EENS0_17counting_iteratorIjlEEPS9_SG_NS0_5tupleIJPjSI_NS0_16reverse_iteratorISI_EEEEENSH_IJSG_SG_SG_EEES9_SI_JZNS1_25segmented_radix_sort_implINS0_14default_configELb1EPKsPsPKlPlN2at6native12_GLOBAL__N_18offset_tEEE10hipError_tPvRmT1_PNSt15iterator_traitsIS12_E10value_typeET2_T3_PNS13_IS18_E10value_typeET4_jRbjT5_S1E_jjP12ihipStream_tbEUljE_ZNSN_ISO_Lb1ESQ_SR_ST_SU_SY_EESZ_S10_S11_S12_S16_S17_S18_S1B_S1C_jS1D_jS1E_S1E_jjS1G_bEUljE0_EEESZ_S10_S11_S18_S1C_S1E_T6_T7_T9_mT8_S1G_bDpT10_ENKUlT_T0_E_clISt17integral_constantIbLb1EES1U_EEDaS1P_S1Q_EUlS1P_E_NS1_11comp_targetILNS1_3genE2ELNS1_11target_archE906ELNS1_3gpuE6ELNS1_3repE0EEENS1_30default_config_static_selectorELNS0_4arch9wavefront6targetE0EEEvS12_
    .private_segment_fixed_size: 0
    .sgpr_count:     0
    .sgpr_spill_count: 0
    .symbol:         _ZN7rocprim17ROCPRIM_400000_NS6detail17trampoline_kernelINS0_13select_configILj256ELj13ELNS0_17block_load_methodE3ELS4_3ELS4_3ELNS0_20block_scan_algorithmE0ELj4294967295EEENS1_25partition_config_selectorILNS1_17partition_subalgoE4EjNS0_10empty_typeEbEEZZNS1_14partition_implILS8_4ELb0ES6_15HIP_vector_typeIjLj2EENS0_17counting_iteratorIjlEEPS9_SG_NS0_5tupleIJPjSI_NS0_16reverse_iteratorISI_EEEEENSH_IJSG_SG_SG_EEES9_SI_JZNS1_25segmented_radix_sort_implINS0_14default_configELb1EPKsPsPKlPlN2at6native12_GLOBAL__N_18offset_tEEE10hipError_tPvRmT1_PNSt15iterator_traitsIS12_E10value_typeET2_T3_PNS13_IS18_E10value_typeET4_jRbjT5_S1E_jjP12ihipStream_tbEUljE_ZNSN_ISO_Lb1ESQ_SR_ST_SU_SY_EESZ_S10_S11_S12_S16_S17_S18_S1B_S1C_jS1D_jS1E_S1E_jjS1G_bEUljE0_EEESZ_S10_S11_S18_S1C_S1E_T6_T7_T9_mT8_S1G_bDpT10_ENKUlT_T0_E_clISt17integral_constantIbLb1EES1U_EEDaS1P_S1Q_EUlS1P_E_NS1_11comp_targetILNS1_3genE2ELNS1_11target_archE906ELNS1_3gpuE6ELNS1_3repE0EEENS1_30default_config_static_selectorELNS0_4arch9wavefront6targetE0EEEvS12_.kd
    .uniform_work_group_size: 1
    .uses_dynamic_stack: false
    .vgpr_count:     0
    .vgpr_spill_count: 0
    .wavefront_size: 32
  - .args:
      - .offset:         0
        .size:           184
        .value_kind:     by_value
    .group_segment_fixed_size: 0
    .kernarg_segment_align: 8
    .kernarg_segment_size: 184
    .language:       OpenCL C
    .language_version:
      - 2
      - 0
    .max_flat_workgroup_size: 256
    .name:           _ZN7rocprim17ROCPRIM_400000_NS6detail17trampoline_kernelINS0_13select_configILj256ELj13ELNS0_17block_load_methodE3ELS4_3ELS4_3ELNS0_20block_scan_algorithmE0ELj4294967295EEENS1_25partition_config_selectorILNS1_17partition_subalgoE4EjNS0_10empty_typeEbEEZZNS1_14partition_implILS8_4ELb0ES6_15HIP_vector_typeIjLj2EENS0_17counting_iteratorIjlEEPS9_SG_NS0_5tupleIJPjSI_NS0_16reverse_iteratorISI_EEEEENSH_IJSG_SG_SG_EEES9_SI_JZNS1_25segmented_radix_sort_implINS0_14default_configELb1EPKsPsPKlPlN2at6native12_GLOBAL__N_18offset_tEEE10hipError_tPvRmT1_PNSt15iterator_traitsIS12_E10value_typeET2_T3_PNS13_IS18_E10value_typeET4_jRbjT5_S1E_jjP12ihipStream_tbEUljE_ZNSN_ISO_Lb1ESQ_SR_ST_SU_SY_EESZ_S10_S11_S12_S16_S17_S18_S1B_S1C_jS1D_jS1E_S1E_jjS1G_bEUljE0_EEESZ_S10_S11_S18_S1C_S1E_T6_T7_T9_mT8_S1G_bDpT10_ENKUlT_T0_E_clISt17integral_constantIbLb1EES1U_EEDaS1P_S1Q_EUlS1P_E_NS1_11comp_targetILNS1_3genE10ELNS1_11target_archE1200ELNS1_3gpuE4ELNS1_3repE0EEENS1_30default_config_static_selectorELNS0_4arch9wavefront6targetE0EEEvS12_
    .private_segment_fixed_size: 0
    .sgpr_count:     0
    .sgpr_spill_count: 0
    .symbol:         _ZN7rocprim17ROCPRIM_400000_NS6detail17trampoline_kernelINS0_13select_configILj256ELj13ELNS0_17block_load_methodE3ELS4_3ELS4_3ELNS0_20block_scan_algorithmE0ELj4294967295EEENS1_25partition_config_selectorILNS1_17partition_subalgoE4EjNS0_10empty_typeEbEEZZNS1_14partition_implILS8_4ELb0ES6_15HIP_vector_typeIjLj2EENS0_17counting_iteratorIjlEEPS9_SG_NS0_5tupleIJPjSI_NS0_16reverse_iteratorISI_EEEEENSH_IJSG_SG_SG_EEES9_SI_JZNS1_25segmented_radix_sort_implINS0_14default_configELb1EPKsPsPKlPlN2at6native12_GLOBAL__N_18offset_tEEE10hipError_tPvRmT1_PNSt15iterator_traitsIS12_E10value_typeET2_T3_PNS13_IS18_E10value_typeET4_jRbjT5_S1E_jjP12ihipStream_tbEUljE_ZNSN_ISO_Lb1ESQ_SR_ST_SU_SY_EESZ_S10_S11_S12_S16_S17_S18_S1B_S1C_jS1D_jS1E_S1E_jjS1G_bEUljE0_EEESZ_S10_S11_S18_S1C_S1E_T6_T7_T9_mT8_S1G_bDpT10_ENKUlT_T0_E_clISt17integral_constantIbLb1EES1U_EEDaS1P_S1Q_EUlS1P_E_NS1_11comp_targetILNS1_3genE10ELNS1_11target_archE1200ELNS1_3gpuE4ELNS1_3repE0EEENS1_30default_config_static_selectorELNS0_4arch9wavefront6targetE0EEEvS12_.kd
    .uniform_work_group_size: 1
    .uses_dynamic_stack: false
    .vgpr_count:     0
    .vgpr_spill_count: 0
    .wavefront_size: 32
  - .args:
      - .offset:         0
        .size:           184
        .value_kind:     by_value
    .group_segment_fixed_size: 0
    .kernarg_segment_align: 8
    .kernarg_segment_size: 184
    .language:       OpenCL C
    .language_version:
      - 2
      - 0
    .max_flat_workgroup_size: 256
    .name:           _ZN7rocprim17ROCPRIM_400000_NS6detail17trampoline_kernelINS0_13select_configILj256ELj13ELNS0_17block_load_methodE3ELS4_3ELS4_3ELNS0_20block_scan_algorithmE0ELj4294967295EEENS1_25partition_config_selectorILNS1_17partition_subalgoE4EjNS0_10empty_typeEbEEZZNS1_14partition_implILS8_4ELb0ES6_15HIP_vector_typeIjLj2EENS0_17counting_iteratorIjlEEPS9_SG_NS0_5tupleIJPjSI_NS0_16reverse_iteratorISI_EEEEENSH_IJSG_SG_SG_EEES9_SI_JZNS1_25segmented_radix_sort_implINS0_14default_configELb1EPKsPsPKlPlN2at6native12_GLOBAL__N_18offset_tEEE10hipError_tPvRmT1_PNSt15iterator_traitsIS12_E10value_typeET2_T3_PNS13_IS18_E10value_typeET4_jRbjT5_S1E_jjP12ihipStream_tbEUljE_ZNSN_ISO_Lb1ESQ_SR_ST_SU_SY_EESZ_S10_S11_S12_S16_S17_S18_S1B_S1C_jS1D_jS1E_S1E_jjS1G_bEUljE0_EEESZ_S10_S11_S18_S1C_S1E_T6_T7_T9_mT8_S1G_bDpT10_ENKUlT_T0_E_clISt17integral_constantIbLb1EES1U_EEDaS1P_S1Q_EUlS1P_E_NS1_11comp_targetILNS1_3genE9ELNS1_11target_archE1100ELNS1_3gpuE3ELNS1_3repE0EEENS1_30default_config_static_selectorELNS0_4arch9wavefront6targetE0EEEvS12_
    .private_segment_fixed_size: 0
    .sgpr_count:     0
    .sgpr_spill_count: 0
    .symbol:         _ZN7rocprim17ROCPRIM_400000_NS6detail17trampoline_kernelINS0_13select_configILj256ELj13ELNS0_17block_load_methodE3ELS4_3ELS4_3ELNS0_20block_scan_algorithmE0ELj4294967295EEENS1_25partition_config_selectorILNS1_17partition_subalgoE4EjNS0_10empty_typeEbEEZZNS1_14partition_implILS8_4ELb0ES6_15HIP_vector_typeIjLj2EENS0_17counting_iteratorIjlEEPS9_SG_NS0_5tupleIJPjSI_NS0_16reverse_iteratorISI_EEEEENSH_IJSG_SG_SG_EEES9_SI_JZNS1_25segmented_radix_sort_implINS0_14default_configELb1EPKsPsPKlPlN2at6native12_GLOBAL__N_18offset_tEEE10hipError_tPvRmT1_PNSt15iterator_traitsIS12_E10value_typeET2_T3_PNS13_IS18_E10value_typeET4_jRbjT5_S1E_jjP12ihipStream_tbEUljE_ZNSN_ISO_Lb1ESQ_SR_ST_SU_SY_EESZ_S10_S11_S12_S16_S17_S18_S1B_S1C_jS1D_jS1E_S1E_jjS1G_bEUljE0_EEESZ_S10_S11_S18_S1C_S1E_T6_T7_T9_mT8_S1G_bDpT10_ENKUlT_T0_E_clISt17integral_constantIbLb1EES1U_EEDaS1P_S1Q_EUlS1P_E_NS1_11comp_targetILNS1_3genE9ELNS1_11target_archE1100ELNS1_3gpuE3ELNS1_3repE0EEENS1_30default_config_static_selectorELNS0_4arch9wavefront6targetE0EEEvS12_.kd
    .uniform_work_group_size: 1
    .uses_dynamic_stack: false
    .vgpr_count:     0
    .vgpr_spill_count: 0
    .wavefront_size: 32
  - .args:
      - .offset:         0
        .size:           184
        .value_kind:     by_value
    .group_segment_fixed_size: 0
    .kernarg_segment_align: 8
    .kernarg_segment_size: 184
    .language:       OpenCL C
    .language_version:
      - 2
      - 0
    .max_flat_workgroup_size: 256
    .name:           _ZN7rocprim17ROCPRIM_400000_NS6detail17trampoline_kernelINS0_13select_configILj256ELj13ELNS0_17block_load_methodE3ELS4_3ELS4_3ELNS0_20block_scan_algorithmE0ELj4294967295EEENS1_25partition_config_selectorILNS1_17partition_subalgoE4EjNS0_10empty_typeEbEEZZNS1_14partition_implILS8_4ELb0ES6_15HIP_vector_typeIjLj2EENS0_17counting_iteratorIjlEEPS9_SG_NS0_5tupleIJPjSI_NS0_16reverse_iteratorISI_EEEEENSH_IJSG_SG_SG_EEES9_SI_JZNS1_25segmented_radix_sort_implINS0_14default_configELb1EPKsPsPKlPlN2at6native12_GLOBAL__N_18offset_tEEE10hipError_tPvRmT1_PNSt15iterator_traitsIS12_E10value_typeET2_T3_PNS13_IS18_E10value_typeET4_jRbjT5_S1E_jjP12ihipStream_tbEUljE_ZNSN_ISO_Lb1ESQ_SR_ST_SU_SY_EESZ_S10_S11_S12_S16_S17_S18_S1B_S1C_jS1D_jS1E_S1E_jjS1G_bEUljE0_EEESZ_S10_S11_S18_S1C_S1E_T6_T7_T9_mT8_S1G_bDpT10_ENKUlT_T0_E_clISt17integral_constantIbLb1EES1U_EEDaS1P_S1Q_EUlS1P_E_NS1_11comp_targetILNS1_3genE8ELNS1_11target_archE1030ELNS1_3gpuE2ELNS1_3repE0EEENS1_30default_config_static_selectorELNS0_4arch9wavefront6targetE0EEEvS12_
    .private_segment_fixed_size: 0
    .sgpr_count:     0
    .sgpr_spill_count: 0
    .symbol:         _ZN7rocprim17ROCPRIM_400000_NS6detail17trampoline_kernelINS0_13select_configILj256ELj13ELNS0_17block_load_methodE3ELS4_3ELS4_3ELNS0_20block_scan_algorithmE0ELj4294967295EEENS1_25partition_config_selectorILNS1_17partition_subalgoE4EjNS0_10empty_typeEbEEZZNS1_14partition_implILS8_4ELb0ES6_15HIP_vector_typeIjLj2EENS0_17counting_iteratorIjlEEPS9_SG_NS0_5tupleIJPjSI_NS0_16reverse_iteratorISI_EEEEENSH_IJSG_SG_SG_EEES9_SI_JZNS1_25segmented_radix_sort_implINS0_14default_configELb1EPKsPsPKlPlN2at6native12_GLOBAL__N_18offset_tEEE10hipError_tPvRmT1_PNSt15iterator_traitsIS12_E10value_typeET2_T3_PNS13_IS18_E10value_typeET4_jRbjT5_S1E_jjP12ihipStream_tbEUljE_ZNSN_ISO_Lb1ESQ_SR_ST_SU_SY_EESZ_S10_S11_S12_S16_S17_S18_S1B_S1C_jS1D_jS1E_S1E_jjS1G_bEUljE0_EEESZ_S10_S11_S18_S1C_S1E_T6_T7_T9_mT8_S1G_bDpT10_ENKUlT_T0_E_clISt17integral_constantIbLb1EES1U_EEDaS1P_S1Q_EUlS1P_E_NS1_11comp_targetILNS1_3genE8ELNS1_11target_archE1030ELNS1_3gpuE2ELNS1_3repE0EEENS1_30default_config_static_selectorELNS0_4arch9wavefront6targetE0EEEvS12_.kd
    .uniform_work_group_size: 1
    .uses_dynamic_stack: false
    .vgpr_count:     0
    .vgpr_spill_count: 0
    .wavefront_size: 32
  - .args:
      - .offset:         0
        .size:           176
        .value_kind:     by_value
    .group_segment_fixed_size: 0
    .kernarg_segment_align: 8
    .kernarg_segment_size: 176
    .language:       OpenCL C
    .language_version:
      - 2
      - 0
    .max_flat_workgroup_size: 256
    .name:           _ZN7rocprim17ROCPRIM_400000_NS6detail17trampoline_kernelINS0_13select_configILj256ELj13ELNS0_17block_load_methodE3ELS4_3ELS4_3ELNS0_20block_scan_algorithmE0ELj4294967295EEENS1_25partition_config_selectorILNS1_17partition_subalgoE4EjNS0_10empty_typeEbEEZZNS1_14partition_implILS8_4ELb0ES6_15HIP_vector_typeIjLj2EENS0_17counting_iteratorIjlEEPS9_SG_NS0_5tupleIJPjSI_NS0_16reverse_iteratorISI_EEEEENSH_IJSG_SG_SG_EEES9_SI_JZNS1_25segmented_radix_sort_implINS0_14default_configELb1EPKsPsPKlPlN2at6native12_GLOBAL__N_18offset_tEEE10hipError_tPvRmT1_PNSt15iterator_traitsIS12_E10value_typeET2_T3_PNS13_IS18_E10value_typeET4_jRbjT5_S1E_jjP12ihipStream_tbEUljE_ZNSN_ISO_Lb1ESQ_SR_ST_SU_SY_EESZ_S10_S11_S12_S16_S17_S18_S1B_S1C_jS1D_jS1E_S1E_jjS1G_bEUljE0_EEESZ_S10_S11_S18_S1C_S1E_T6_T7_T9_mT8_S1G_bDpT10_ENKUlT_T0_E_clISt17integral_constantIbLb1EES1T_IbLb0EEEEDaS1P_S1Q_EUlS1P_E_NS1_11comp_targetILNS1_3genE0ELNS1_11target_archE4294967295ELNS1_3gpuE0ELNS1_3repE0EEENS1_30default_config_static_selectorELNS0_4arch9wavefront6targetE0EEEvS12_
    .private_segment_fixed_size: 0
    .sgpr_count:     0
    .sgpr_spill_count: 0
    .symbol:         _ZN7rocprim17ROCPRIM_400000_NS6detail17trampoline_kernelINS0_13select_configILj256ELj13ELNS0_17block_load_methodE3ELS4_3ELS4_3ELNS0_20block_scan_algorithmE0ELj4294967295EEENS1_25partition_config_selectorILNS1_17partition_subalgoE4EjNS0_10empty_typeEbEEZZNS1_14partition_implILS8_4ELb0ES6_15HIP_vector_typeIjLj2EENS0_17counting_iteratorIjlEEPS9_SG_NS0_5tupleIJPjSI_NS0_16reverse_iteratorISI_EEEEENSH_IJSG_SG_SG_EEES9_SI_JZNS1_25segmented_radix_sort_implINS0_14default_configELb1EPKsPsPKlPlN2at6native12_GLOBAL__N_18offset_tEEE10hipError_tPvRmT1_PNSt15iterator_traitsIS12_E10value_typeET2_T3_PNS13_IS18_E10value_typeET4_jRbjT5_S1E_jjP12ihipStream_tbEUljE_ZNSN_ISO_Lb1ESQ_SR_ST_SU_SY_EESZ_S10_S11_S12_S16_S17_S18_S1B_S1C_jS1D_jS1E_S1E_jjS1G_bEUljE0_EEESZ_S10_S11_S18_S1C_S1E_T6_T7_T9_mT8_S1G_bDpT10_ENKUlT_T0_E_clISt17integral_constantIbLb1EES1T_IbLb0EEEEDaS1P_S1Q_EUlS1P_E_NS1_11comp_targetILNS1_3genE0ELNS1_11target_archE4294967295ELNS1_3gpuE0ELNS1_3repE0EEENS1_30default_config_static_selectorELNS0_4arch9wavefront6targetE0EEEvS12_.kd
    .uniform_work_group_size: 1
    .uses_dynamic_stack: false
    .vgpr_count:     0
    .vgpr_spill_count: 0
    .wavefront_size: 32
  - .args:
      - .offset:         0
        .size:           176
        .value_kind:     by_value
    .group_segment_fixed_size: 0
    .kernarg_segment_align: 8
    .kernarg_segment_size: 176
    .language:       OpenCL C
    .language_version:
      - 2
      - 0
    .max_flat_workgroup_size: 256
    .name:           _ZN7rocprim17ROCPRIM_400000_NS6detail17trampoline_kernelINS0_13select_configILj256ELj13ELNS0_17block_load_methodE3ELS4_3ELS4_3ELNS0_20block_scan_algorithmE0ELj4294967295EEENS1_25partition_config_selectorILNS1_17partition_subalgoE4EjNS0_10empty_typeEbEEZZNS1_14partition_implILS8_4ELb0ES6_15HIP_vector_typeIjLj2EENS0_17counting_iteratorIjlEEPS9_SG_NS0_5tupleIJPjSI_NS0_16reverse_iteratorISI_EEEEENSH_IJSG_SG_SG_EEES9_SI_JZNS1_25segmented_radix_sort_implINS0_14default_configELb1EPKsPsPKlPlN2at6native12_GLOBAL__N_18offset_tEEE10hipError_tPvRmT1_PNSt15iterator_traitsIS12_E10value_typeET2_T3_PNS13_IS18_E10value_typeET4_jRbjT5_S1E_jjP12ihipStream_tbEUljE_ZNSN_ISO_Lb1ESQ_SR_ST_SU_SY_EESZ_S10_S11_S12_S16_S17_S18_S1B_S1C_jS1D_jS1E_S1E_jjS1G_bEUljE0_EEESZ_S10_S11_S18_S1C_S1E_T6_T7_T9_mT8_S1G_bDpT10_ENKUlT_T0_E_clISt17integral_constantIbLb1EES1T_IbLb0EEEEDaS1P_S1Q_EUlS1P_E_NS1_11comp_targetILNS1_3genE5ELNS1_11target_archE942ELNS1_3gpuE9ELNS1_3repE0EEENS1_30default_config_static_selectorELNS0_4arch9wavefront6targetE0EEEvS12_
    .private_segment_fixed_size: 0
    .sgpr_count:     0
    .sgpr_spill_count: 0
    .symbol:         _ZN7rocprim17ROCPRIM_400000_NS6detail17trampoline_kernelINS0_13select_configILj256ELj13ELNS0_17block_load_methodE3ELS4_3ELS4_3ELNS0_20block_scan_algorithmE0ELj4294967295EEENS1_25partition_config_selectorILNS1_17partition_subalgoE4EjNS0_10empty_typeEbEEZZNS1_14partition_implILS8_4ELb0ES6_15HIP_vector_typeIjLj2EENS0_17counting_iteratorIjlEEPS9_SG_NS0_5tupleIJPjSI_NS0_16reverse_iteratorISI_EEEEENSH_IJSG_SG_SG_EEES9_SI_JZNS1_25segmented_radix_sort_implINS0_14default_configELb1EPKsPsPKlPlN2at6native12_GLOBAL__N_18offset_tEEE10hipError_tPvRmT1_PNSt15iterator_traitsIS12_E10value_typeET2_T3_PNS13_IS18_E10value_typeET4_jRbjT5_S1E_jjP12ihipStream_tbEUljE_ZNSN_ISO_Lb1ESQ_SR_ST_SU_SY_EESZ_S10_S11_S12_S16_S17_S18_S1B_S1C_jS1D_jS1E_S1E_jjS1G_bEUljE0_EEESZ_S10_S11_S18_S1C_S1E_T6_T7_T9_mT8_S1G_bDpT10_ENKUlT_T0_E_clISt17integral_constantIbLb1EES1T_IbLb0EEEEDaS1P_S1Q_EUlS1P_E_NS1_11comp_targetILNS1_3genE5ELNS1_11target_archE942ELNS1_3gpuE9ELNS1_3repE0EEENS1_30default_config_static_selectorELNS0_4arch9wavefront6targetE0EEEvS12_.kd
    .uniform_work_group_size: 1
    .uses_dynamic_stack: false
    .vgpr_count:     0
    .vgpr_spill_count: 0
    .wavefront_size: 32
  - .args:
      - .offset:         0
        .size:           176
        .value_kind:     by_value
    .group_segment_fixed_size: 0
    .kernarg_segment_align: 8
    .kernarg_segment_size: 176
    .language:       OpenCL C
    .language_version:
      - 2
      - 0
    .max_flat_workgroup_size: 256
    .name:           _ZN7rocprim17ROCPRIM_400000_NS6detail17trampoline_kernelINS0_13select_configILj256ELj13ELNS0_17block_load_methodE3ELS4_3ELS4_3ELNS0_20block_scan_algorithmE0ELj4294967295EEENS1_25partition_config_selectorILNS1_17partition_subalgoE4EjNS0_10empty_typeEbEEZZNS1_14partition_implILS8_4ELb0ES6_15HIP_vector_typeIjLj2EENS0_17counting_iteratorIjlEEPS9_SG_NS0_5tupleIJPjSI_NS0_16reverse_iteratorISI_EEEEENSH_IJSG_SG_SG_EEES9_SI_JZNS1_25segmented_radix_sort_implINS0_14default_configELb1EPKsPsPKlPlN2at6native12_GLOBAL__N_18offset_tEEE10hipError_tPvRmT1_PNSt15iterator_traitsIS12_E10value_typeET2_T3_PNS13_IS18_E10value_typeET4_jRbjT5_S1E_jjP12ihipStream_tbEUljE_ZNSN_ISO_Lb1ESQ_SR_ST_SU_SY_EESZ_S10_S11_S12_S16_S17_S18_S1B_S1C_jS1D_jS1E_S1E_jjS1G_bEUljE0_EEESZ_S10_S11_S18_S1C_S1E_T6_T7_T9_mT8_S1G_bDpT10_ENKUlT_T0_E_clISt17integral_constantIbLb1EES1T_IbLb0EEEEDaS1P_S1Q_EUlS1P_E_NS1_11comp_targetILNS1_3genE4ELNS1_11target_archE910ELNS1_3gpuE8ELNS1_3repE0EEENS1_30default_config_static_selectorELNS0_4arch9wavefront6targetE0EEEvS12_
    .private_segment_fixed_size: 0
    .sgpr_count:     0
    .sgpr_spill_count: 0
    .symbol:         _ZN7rocprim17ROCPRIM_400000_NS6detail17trampoline_kernelINS0_13select_configILj256ELj13ELNS0_17block_load_methodE3ELS4_3ELS4_3ELNS0_20block_scan_algorithmE0ELj4294967295EEENS1_25partition_config_selectorILNS1_17partition_subalgoE4EjNS0_10empty_typeEbEEZZNS1_14partition_implILS8_4ELb0ES6_15HIP_vector_typeIjLj2EENS0_17counting_iteratorIjlEEPS9_SG_NS0_5tupleIJPjSI_NS0_16reverse_iteratorISI_EEEEENSH_IJSG_SG_SG_EEES9_SI_JZNS1_25segmented_radix_sort_implINS0_14default_configELb1EPKsPsPKlPlN2at6native12_GLOBAL__N_18offset_tEEE10hipError_tPvRmT1_PNSt15iterator_traitsIS12_E10value_typeET2_T3_PNS13_IS18_E10value_typeET4_jRbjT5_S1E_jjP12ihipStream_tbEUljE_ZNSN_ISO_Lb1ESQ_SR_ST_SU_SY_EESZ_S10_S11_S12_S16_S17_S18_S1B_S1C_jS1D_jS1E_S1E_jjS1G_bEUljE0_EEESZ_S10_S11_S18_S1C_S1E_T6_T7_T9_mT8_S1G_bDpT10_ENKUlT_T0_E_clISt17integral_constantIbLb1EES1T_IbLb0EEEEDaS1P_S1Q_EUlS1P_E_NS1_11comp_targetILNS1_3genE4ELNS1_11target_archE910ELNS1_3gpuE8ELNS1_3repE0EEENS1_30default_config_static_selectorELNS0_4arch9wavefront6targetE0EEEvS12_.kd
    .uniform_work_group_size: 1
    .uses_dynamic_stack: false
    .vgpr_count:     0
    .vgpr_spill_count: 0
    .wavefront_size: 32
  - .args:
      - .offset:         0
        .size:           176
        .value_kind:     by_value
    .group_segment_fixed_size: 0
    .kernarg_segment_align: 8
    .kernarg_segment_size: 176
    .language:       OpenCL C
    .language_version:
      - 2
      - 0
    .max_flat_workgroup_size: 256
    .name:           _ZN7rocprim17ROCPRIM_400000_NS6detail17trampoline_kernelINS0_13select_configILj256ELj13ELNS0_17block_load_methodE3ELS4_3ELS4_3ELNS0_20block_scan_algorithmE0ELj4294967295EEENS1_25partition_config_selectorILNS1_17partition_subalgoE4EjNS0_10empty_typeEbEEZZNS1_14partition_implILS8_4ELb0ES6_15HIP_vector_typeIjLj2EENS0_17counting_iteratorIjlEEPS9_SG_NS0_5tupleIJPjSI_NS0_16reverse_iteratorISI_EEEEENSH_IJSG_SG_SG_EEES9_SI_JZNS1_25segmented_radix_sort_implINS0_14default_configELb1EPKsPsPKlPlN2at6native12_GLOBAL__N_18offset_tEEE10hipError_tPvRmT1_PNSt15iterator_traitsIS12_E10value_typeET2_T3_PNS13_IS18_E10value_typeET4_jRbjT5_S1E_jjP12ihipStream_tbEUljE_ZNSN_ISO_Lb1ESQ_SR_ST_SU_SY_EESZ_S10_S11_S12_S16_S17_S18_S1B_S1C_jS1D_jS1E_S1E_jjS1G_bEUljE0_EEESZ_S10_S11_S18_S1C_S1E_T6_T7_T9_mT8_S1G_bDpT10_ENKUlT_T0_E_clISt17integral_constantIbLb1EES1T_IbLb0EEEEDaS1P_S1Q_EUlS1P_E_NS1_11comp_targetILNS1_3genE3ELNS1_11target_archE908ELNS1_3gpuE7ELNS1_3repE0EEENS1_30default_config_static_selectorELNS0_4arch9wavefront6targetE0EEEvS12_
    .private_segment_fixed_size: 0
    .sgpr_count:     0
    .sgpr_spill_count: 0
    .symbol:         _ZN7rocprim17ROCPRIM_400000_NS6detail17trampoline_kernelINS0_13select_configILj256ELj13ELNS0_17block_load_methodE3ELS4_3ELS4_3ELNS0_20block_scan_algorithmE0ELj4294967295EEENS1_25partition_config_selectorILNS1_17partition_subalgoE4EjNS0_10empty_typeEbEEZZNS1_14partition_implILS8_4ELb0ES6_15HIP_vector_typeIjLj2EENS0_17counting_iteratorIjlEEPS9_SG_NS0_5tupleIJPjSI_NS0_16reverse_iteratorISI_EEEEENSH_IJSG_SG_SG_EEES9_SI_JZNS1_25segmented_radix_sort_implINS0_14default_configELb1EPKsPsPKlPlN2at6native12_GLOBAL__N_18offset_tEEE10hipError_tPvRmT1_PNSt15iterator_traitsIS12_E10value_typeET2_T3_PNS13_IS18_E10value_typeET4_jRbjT5_S1E_jjP12ihipStream_tbEUljE_ZNSN_ISO_Lb1ESQ_SR_ST_SU_SY_EESZ_S10_S11_S12_S16_S17_S18_S1B_S1C_jS1D_jS1E_S1E_jjS1G_bEUljE0_EEESZ_S10_S11_S18_S1C_S1E_T6_T7_T9_mT8_S1G_bDpT10_ENKUlT_T0_E_clISt17integral_constantIbLb1EES1T_IbLb0EEEEDaS1P_S1Q_EUlS1P_E_NS1_11comp_targetILNS1_3genE3ELNS1_11target_archE908ELNS1_3gpuE7ELNS1_3repE0EEENS1_30default_config_static_selectorELNS0_4arch9wavefront6targetE0EEEvS12_.kd
    .uniform_work_group_size: 1
    .uses_dynamic_stack: false
    .vgpr_count:     0
    .vgpr_spill_count: 0
    .wavefront_size: 32
  - .args:
      - .offset:         0
        .size:           176
        .value_kind:     by_value
    .group_segment_fixed_size: 0
    .kernarg_segment_align: 8
    .kernarg_segment_size: 176
    .language:       OpenCL C
    .language_version:
      - 2
      - 0
    .max_flat_workgroup_size: 256
    .name:           _ZN7rocprim17ROCPRIM_400000_NS6detail17trampoline_kernelINS0_13select_configILj256ELj13ELNS0_17block_load_methodE3ELS4_3ELS4_3ELNS0_20block_scan_algorithmE0ELj4294967295EEENS1_25partition_config_selectorILNS1_17partition_subalgoE4EjNS0_10empty_typeEbEEZZNS1_14partition_implILS8_4ELb0ES6_15HIP_vector_typeIjLj2EENS0_17counting_iteratorIjlEEPS9_SG_NS0_5tupleIJPjSI_NS0_16reverse_iteratorISI_EEEEENSH_IJSG_SG_SG_EEES9_SI_JZNS1_25segmented_radix_sort_implINS0_14default_configELb1EPKsPsPKlPlN2at6native12_GLOBAL__N_18offset_tEEE10hipError_tPvRmT1_PNSt15iterator_traitsIS12_E10value_typeET2_T3_PNS13_IS18_E10value_typeET4_jRbjT5_S1E_jjP12ihipStream_tbEUljE_ZNSN_ISO_Lb1ESQ_SR_ST_SU_SY_EESZ_S10_S11_S12_S16_S17_S18_S1B_S1C_jS1D_jS1E_S1E_jjS1G_bEUljE0_EEESZ_S10_S11_S18_S1C_S1E_T6_T7_T9_mT8_S1G_bDpT10_ENKUlT_T0_E_clISt17integral_constantIbLb1EES1T_IbLb0EEEEDaS1P_S1Q_EUlS1P_E_NS1_11comp_targetILNS1_3genE2ELNS1_11target_archE906ELNS1_3gpuE6ELNS1_3repE0EEENS1_30default_config_static_selectorELNS0_4arch9wavefront6targetE0EEEvS12_
    .private_segment_fixed_size: 0
    .sgpr_count:     0
    .sgpr_spill_count: 0
    .symbol:         _ZN7rocprim17ROCPRIM_400000_NS6detail17trampoline_kernelINS0_13select_configILj256ELj13ELNS0_17block_load_methodE3ELS4_3ELS4_3ELNS0_20block_scan_algorithmE0ELj4294967295EEENS1_25partition_config_selectorILNS1_17partition_subalgoE4EjNS0_10empty_typeEbEEZZNS1_14partition_implILS8_4ELb0ES6_15HIP_vector_typeIjLj2EENS0_17counting_iteratorIjlEEPS9_SG_NS0_5tupleIJPjSI_NS0_16reverse_iteratorISI_EEEEENSH_IJSG_SG_SG_EEES9_SI_JZNS1_25segmented_radix_sort_implINS0_14default_configELb1EPKsPsPKlPlN2at6native12_GLOBAL__N_18offset_tEEE10hipError_tPvRmT1_PNSt15iterator_traitsIS12_E10value_typeET2_T3_PNS13_IS18_E10value_typeET4_jRbjT5_S1E_jjP12ihipStream_tbEUljE_ZNSN_ISO_Lb1ESQ_SR_ST_SU_SY_EESZ_S10_S11_S12_S16_S17_S18_S1B_S1C_jS1D_jS1E_S1E_jjS1G_bEUljE0_EEESZ_S10_S11_S18_S1C_S1E_T6_T7_T9_mT8_S1G_bDpT10_ENKUlT_T0_E_clISt17integral_constantIbLb1EES1T_IbLb0EEEEDaS1P_S1Q_EUlS1P_E_NS1_11comp_targetILNS1_3genE2ELNS1_11target_archE906ELNS1_3gpuE6ELNS1_3repE0EEENS1_30default_config_static_selectorELNS0_4arch9wavefront6targetE0EEEvS12_.kd
    .uniform_work_group_size: 1
    .uses_dynamic_stack: false
    .vgpr_count:     0
    .vgpr_spill_count: 0
    .wavefront_size: 32
  - .args:
      - .offset:         0
        .size:           176
        .value_kind:     by_value
    .group_segment_fixed_size: 0
    .kernarg_segment_align: 8
    .kernarg_segment_size: 176
    .language:       OpenCL C
    .language_version:
      - 2
      - 0
    .max_flat_workgroup_size: 256
    .name:           _ZN7rocprim17ROCPRIM_400000_NS6detail17trampoline_kernelINS0_13select_configILj256ELj13ELNS0_17block_load_methodE3ELS4_3ELS4_3ELNS0_20block_scan_algorithmE0ELj4294967295EEENS1_25partition_config_selectorILNS1_17partition_subalgoE4EjNS0_10empty_typeEbEEZZNS1_14partition_implILS8_4ELb0ES6_15HIP_vector_typeIjLj2EENS0_17counting_iteratorIjlEEPS9_SG_NS0_5tupleIJPjSI_NS0_16reverse_iteratorISI_EEEEENSH_IJSG_SG_SG_EEES9_SI_JZNS1_25segmented_radix_sort_implINS0_14default_configELb1EPKsPsPKlPlN2at6native12_GLOBAL__N_18offset_tEEE10hipError_tPvRmT1_PNSt15iterator_traitsIS12_E10value_typeET2_T3_PNS13_IS18_E10value_typeET4_jRbjT5_S1E_jjP12ihipStream_tbEUljE_ZNSN_ISO_Lb1ESQ_SR_ST_SU_SY_EESZ_S10_S11_S12_S16_S17_S18_S1B_S1C_jS1D_jS1E_S1E_jjS1G_bEUljE0_EEESZ_S10_S11_S18_S1C_S1E_T6_T7_T9_mT8_S1G_bDpT10_ENKUlT_T0_E_clISt17integral_constantIbLb1EES1T_IbLb0EEEEDaS1P_S1Q_EUlS1P_E_NS1_11comp_targetILNS1_3genE10ELNS1_11target_archE1200ELNS1_3gpuE4ELNS1_3repE0EEENS1_30default_config_static_selectorELNS0_4arch9wavefront6targetE0EEEvS12_
    .private_segment_fixed_size: 0
    .sgpr_count:     0
    .sgpr_spill_count: 0
    .symbol:         _ZN7rocprim17ROCPRIM_400000_NS6detail17trampoline_kernelINS0_13select_configILj256ELj13ELNS0_17block_load_methodE3ELS4_3ELS4_3ELNS0_20block_scan_algorithmE0ELj4294967295EEENS1_25partition_config_selectorILNS1_17partition_subalgoE4EjNS0_10empty_typeEbEEZZNS1_14partition_implILS8_4ELb0ES6_15HIP_vector_typeIjLj2EENS0_17counting_iteratorIjlEEPS9_SG_NS0_5tupleIJPjSI_NS0_16reverse_iteratorISI_EEEEENSH_IJSG_SG_SG_EEES9_SI_JZNS1_25segmented_radix_sort_implINS0_14default_configELb1EPKsPsPKlPlN2at6native12_GLOBAL__N_18offset_tEEE10hipError_tPvRmT1_PNSt15iterator_traitsIS12_E10value_typeET2_T3_PNS13_IS18_E10value_typeET4_jRbjT5_S1E_jjP12ihipStream_tbEUljE_ZNSN_ISO_Lb1ESQ_SR_ST_SU_SY_EESZ_S10_S11_S12_S16_S17_S18_S1B_S1C_jS1D_jS1E_S1E_jjS1G_bEUljE0_EEESZ_S10_S11_S18_S1C_S1E_T6_T7_T9_mT8_S1G_bDpT10_ENKUlT_T0_E_clISt17integral_constantIbLb1EES1T_IbLb0EEEEDaS1P_S1Q_EUlS1P_E_NS1_11comp_targetILNS1_3genE10ELNS1_11target_archE1200ELNS1_3gpuE4ELNS1_3repE0EEENS1_30default_config_static_selectorELNS0_4arch9wavefront6targetE0EEEvS12_.kd
    .uniform_work_group_size: 1
    .uses_dynamic_stack: false
    .vgpr_count:     0
    .vgpr_spill_count: 0
    .wavefront_size: 32
  - .args:
      - .offset:         0
        .size:           176
        .value_kind:     by_value
    .group_segment_fixed_size: 0
    .kernarg_segment_align: 8
    .kernarg_segment_size: 176
    .language:       OpenCL C
    .language_version:
      - 2
      - 0
    .max_flat_workgroup_size: 256
    .name:           _ZN7rocprim17ROCPRIM_400000_NS6detail17trampoline_kernelINS0_13select_configILj256ELj13ELNS0_17block_load_methodE3ELS4_3ELS4_3ELNS0_20block_scan_algorithmE0ELj4294967295EEENS1_25partition_config_selectorILNS1_17partition_subalgoE4EjNS0_10empty_typeEbEEZZNS1_14partition_implILS8_4ELb0ES6_15HIP_vector_typeIjLj2EENS0_17counting_iteratorIjlEEPS9_SG_NS0_5tupleIJPjSI_NS0_16reverse_iteratorISI_EEEEENSH_IJSG_SG_SG_EEES9_SI_JZNS1_25segmented_radix_sort_implINS0_14default_configELb1EPKsPsPKlPlN2at6native12_GLOBAL__N_18offset_tEEE10hipError_tPvRmT1_PNSt15iterator_traitsIS12_E10value_typeET2_T3_PNS13_IS18_E10value_typeET4_jRbjT5_S1E_jjP12ihipStream_tbEUljE_ZNSN_ISO_Lb1ESQ_SR_ST_SU_SY_EESZ_S10_S11_S12_S16_S17_S18_S1B_S1C_jS1D_jS1E_S1E_jjS1G_bEUljE0_EEESZ_S10_S11_S18_S1C_S1E_T6_T7_T9_mT8_S1G_bDpT10_ENKUlT_T0_E_clISt17integral_constantIbLb1EES1T_IbLb0EEEEDaS1P_S1Q_EUlS1P_E_NS1_11comp_targetILNS1_3genE9ELNS1_11target_archE1100ELNS1_3gpuE3ELNS1_3repE0EEENS1_30default_config_static_selectorELNS0_4arch9wavefront6targetE0EEEvS12_
    .private_segment_fixed_size: 0
    .sgpr_count:     0
    .sgpr_spill_count: 0
    .symbol:         _ZN7rocprim17ROCPRIM_400000_NS6detail17trampoline_kernelINS0_13select_configILj256ELj13ELNS0_17block_load_methodE3ELS4_3ELS4_3ELNS0_20block_scan_algorithmE0ELj4294967295EEENS1_25partition_config_selectorILNS1_17partition_subalgoE4EjNS0_10empty_typeEbEEZZNS1_14partition_implILS8_4ELb0ES6_15HIP_vector_typeIjLj2EENS0_17counting_iteratorIjlEEPS9_SG_NS0_5tupleIJPjSI_NS0_16reverse_iteratorISI_EEEEENSH_IJSG_SG_SG_EEES9_SI_JZNS1_25segmented_radix_sort_implINS0_14default_configELb1EPKsPsPKlPlN2at6native12_GLOBAL__N_18offset_tEEE10hipError_tPvRmT1_PNSt15iterator_traitsIS12_E10value_typeET2_T3_PNS13_IS18_E10value_typeET4_jRbjT5_S1E_jjP12ihipStream_tbEUljE_ZNSN_ISO_Lb1ESQ_SR_ST_SU_SY_EESZ_S10_S11_S12_S16_S17_S18_S1B_S1C_jS1D_jS1E_S1E_jjS1G_bEUljE0_EEESZ_S10_S11_S18_S1C_S1E_T6_T7_T9_mT8_S1G_bDpT10_ENKUlT_T0_E_clISt17integral_constantIbLb1EES1T_IbLb0EEEEDaS1P_S1Q_EUlS1P_E_NS1_11comp_targetILNS1_3genE9ELNS1_11target_archE1100ELNS1_3gpuE3ELNS1_3repE0EEENS1_30default_config_static_selectorELNS0_4arch9wavefront6targetE0EEEvS12_.kd
    .uniform_work_group_size: 1
    .uses_dynamic_stack: false
    .vgpr_count:     0
    .vgpr_spill_count: 0
    .wavefront_size: 32
  - .args:
      - .offset:         0
        .size:           176
        .value_kind:     by_value
    .group_segment_fixed_size: 0
    .kernarg_segment_align: 8
    .kernarg_segment_size: 176
    .language:       OpenCL C
    .language_version:
      - 2
      - 0
    .max_flat_workgroup_size: 256
    .name:           _ZN7rocprim17ROCPRIM_400000_NS6detail17trampoline_kernelINS0_13select_configILj256ELj13ELNS0_17block_load_methodE3ELS4_3ELS4_3ELNS0_20block_scan_algorithmE0ELj4294967295EEENS1_25partition_config_selectorILNS1_17partition_subalgoE4EjNS0_10empty_typeEbEEZZNS1_14partition_implILS8_4ELb0ES6_15HIP_vector_typeIjLj2EENS0_17counting_iteratorIjlEEPS9_SG_NS0_5tupleIJPjSI_NS0_16reverse_iteratorISI_EEEEENSH_IJSG_SG_SG_EEES9_SI_JZNS1_25segmented_radix_sort_implINS0_14default_configELb1EPKsPsPKlPlN2at6native12_GLOBAL__N_18offset_tEEE10hipError_tPvRmT1_PNSt15iterator_traitsIS12_E10value_typeET2_T3_PNS13_IS18_E10value_typeET4_jRbjT5_S1E_jjP12ihipStream_tbEUljE_ZNSN_ISO_Lb1ESQ_SR_ST_SU_SY_EESZ_S10_S11_S12_S16_S17_S18_S1B_S1C_jS1D_jS1E_S1E_jjS1G_bEUljE0_EEESZ_S10_S11_S18_S1C_S1E_T6_T7_T9_mT8_S1G_bDpT10_ENKUlT_T0_E_clISt17integral_constantIbLb1EES1T_IbLb0EEEEDaS1P_S1Q_EUlS1P_E_NS1_11comp_targetILNS1_3genE8ELNS1_11target_archE1030ELNS1_3gpuE2ELNS1_3repE0EEENS1_30default_config_static_selectorELNS0_4arch9wavefront6targetE0EEEvS12_
    .private_segment_fixed_size: 0
    .sgpr_count:     0
    .sgpr_spill_count: 0
    .symbol:         _ZN7rocprim17ROCPRIM_400000_NS6detail17trampoline_kernelINS0_13select_configILj256ELj13ELNS0_17block_load_methodE3ELS4_3ELS4_3ELNS0_20block_scan_algorithmE0ELj4294967295EEENS1_25partition_config_selectorILNS1_17partition_subalgoE4EjNS0_10empty_typeEbEEZZNS1_14partition_implILS8_4ELb0ES6_15HIP_vector_typeIjLj2EENS0_17counting_iteratorIjlEEPS9_SG_NS0_5tupleIJPjSI_NS0_16reverse_iteratorISI_EEEEENSH_IJSG_SG_SG_EEES9_SI_JZNS1_25segmented_radix_sort_implINS0_14default_configELb1EPKsPsPKlPlN2at6native12_GLOBAL__N_18offset_tEEE10hipError_tPvRmT1_PNSt15iterator_traitsIS12_E10value_typeET2_T3_PNS13_IS18_E10value_typeET4_jRbjT5_S1E_jjP12ihipStream_tbEUljE_ZNSN_ISO_Lb1ESQ_SR_ST_SU_SY_EESZ_S10_S11_S12_S16_S17_S18_S1B_S1C_jS1D_jS1E_S1E_jjS1G_bEUljE0_EEESZ_S10_S11_S18_S1C_S1E_T6_T7_T9_mT8_S1G_bDpT10_ENKUlT_T0_E_clISt17integral_constantIbLb1EES1T_IbLb0EEEEDaS1P_S1Q_EUlS1P_E_NS1_11comp_targetILNS1_3genE8ELNS1_11target_archE1030ELNS1_3gpuE2ELNS1_3repE0EEENS1_30default_config_static_selectorELNS0_4arch9wavefront6targetE0EEEvS12_.kd
    .uniform_work_group_size: 1
    .uses_dynamic_stack: false
    .vgpr_count:     0
    .vgpr_spill_count: 0
    .wavefront_size: 32
  - .args:
      - .offset:         0
        .size:           184
        .value_kind:     by_value
    .group_segment_fixed_size: 13328
    .kernarg_segment_align: 8
    .kernarg_segment_size: 184
    .language:       OpenCL C
    .language_version:
      - 2
      - 0
    .max_flat_workgroup_size: 256
    .name:           _ZN7rocprim17ROCPRIM_400000_NS6detail17trampoline_kernelINS0_13select_configILj256ELj13ELNS0_17block_load_methodE3ELS4_3ELS4_3ELNS0_20block_scan_algorithmE0ELj4294967295EEENS1_25partition_config_selectorILNS1_17partition_subalgoE4EjNS0_10empty_typeEbEEZZNS1_14partition_implILS8_4ELb0ES6_15HIP_vector_typeIjLj2EENS0_17counting_iteratorIjlEEPS9_SG_NS0_5tupleIJPjSI_NS0_16reverse_iteratorISI_EEEEENSH_IJSG_SG_SG_EEES9_SI_JZNS1_25segmented_radix_sort_implINS0_14default_configELb1EPKsPsPKlPlN2at6native12_GLOBAL__N_18offset_tEEE10hipError_tPvRmT1_PNSt15iterator_traitsIS12_E10value_typeET2_T3_PNS13_IS18_E10value_typeET4_jRbjT5_S1E_jjP12ihipStream_tbEUljE_ZNSN_ISO_Lb1ESQ_SR_ST_SU_SY_EESZ_S10_S11_S12_S16_S17_S18_S1B_S1C_jS1D_jS1E_S1E_jjS1G_bEUljE0_EEESZ_S10_S11_S18_S1C_S1E_T6_T7_T9_mT8_S1G_bDpT10_ENKUlT_T0_E_clISt17integral_constantIbLb0EES1T_IbLb1EEEEDaS1P_S1Q_EUlS1P_E_NS1_11comp_targetILNS1_3genE0ELNS1_11target_archE4294967295ELNS1_3gpuE0ELNS1_3repE0EEENS1_30default_config_static_selectorELNS0_4arch9wavefront6targetE0EEEvS12_
    .private_segment_fixed_size: 0
    .sgpr_count:     57
    .sgpr_spill_count: 0
    .symbol:         _ZN7rocprim17ROCPRIM_400000_NS6detail17trampoline_kernelINS0_13select_configILj256ELj13ELNS0_17block_load_methodE3ELS4_3ELS4_3ELNS0_20block_scan_algorithmE0ELj4294967295EEENS1_25partition_config_selectorILNS1_17partition_subalgoE4EjNS0_10empty_typeEbEEZZNS1_14partition_implILS8_4ELb0ES6_15HIP_vector_typeIjLj2EENS0_17counting_iteratorIjlEEPS9_SG_NS0_5tupleIJPjSI_NS0_16reverse_iteratorISI_EEEEENSH_IJSG_SG_SG_EEES9_SI_JZNS1_25segmented_radix_sort_implINS0_14default_configELb1EPKsPsPKlPlN2at6native12_GLOBAL__N_18offset_tEEE10hipError_tPvRmT1_PNSt15iterator_traitsIS12_E10value_typeET2_T3_PNS13_IS18_E10value_typeET4_jRbjT5_S1E_jjP12ihipStream_tbEUljE_ZNSN_ISO_Lb1ESQ_SR_ST_SU_SY_EESZ_S10_S11_S12_S16_S17_S18_S1B_S1C_jS1D_jS1E_S1E_jjS1G_bEUljE0_EEESZ_S10_S11_S18_S1C_S1E_T6_T7_T9_mT8_S1G_bDpT10_ENKUlT_T0_E_clISt17integral_constantIbLb0EES1T_IbLb1EEEEDaS1P_S1Q_EUlS1P_E_NS1_11comp_targetILNS1_3genE0ELNS1_11target_archE4294967295ELNS1_3gpuE0ELNS1_3repE0EEENS1_30default_config_static_selectorELNS0_4arch9wavefront6targetE0EEEvS12_.kd
    .uniform_work_group_size: 1
    .uses_dynamic_stack: false
    .vgpr_count:     86
    .vgpr_spill_count: 0
    .wavefront_size: 32
  - .args:
      - .offset:         0
        .size:           184
        .value_kind:     by_value
    .group_segment_fixed_size: 0
    .kernarg_segment_align: 8
    .kernarg_segment_size: 184
    .language:       OpenCL C
    .language_version:
      - 2
      - 0
    .max_flat_workgroup_size: 256
    .name:           _ZN7rocprim17ROCPRIM_400000_NS6detail17trampoline_kernelINS0_13select_configILj256ELj13ELNS0_17block_load_methodE3ELS4_3ELS4_3ELNS0_20block_scan_algorithmE0ELj4294967295EEENS1_25partition_config_selectorILNS1_17partition_subalgoE4EjNS0_10empty_typeEbEEZZNS1_14partition_implILS8_4ELb0ES6_15HIP_vector_typeIjLj2EENS0_17counting_iteratorIjlEEPS9_SG_NS0_5tupleIJPjSI_NS0_16reverse_iteratorISI_EEEEENSH_IJSG_SG_SG_EEES9_SI_JZNS1_25segmented_radix_sort_implINS0_14default_configELb1EPKsPsPKlPlN2at6native12_GLOBAL__N_18offset_tEEE10hipError_tPvRmT1_PNSt15iterator_traitsIS12_E10value_typeET2_T3_PNS13_IS18_E10value_typeET4_jRbjT5_S1E_jjP12ihipStream_tbEUljE_ZNSN_ISO_Lb1ESQ_SR_ST_SU_SY_EESZ_S10_S11_S12_S16_S17_S18_S1B_S1C_jS1D_jS1E_S1E_jjS1G_bEUljE0_EEESZ_S10_S11_S18_S1C_S1E_T6_T7_T9_mT8_S1G_bDpT10_ENKUlT_T0_E_clISt17integral_constantIbLb0EES1T_IbLb1EEEEDaS1P_S1Q_EUlS1P_E_NS1_11comp_targetILNS1_3genE5ELNS1_11target_archE942ELNS1_3gpuE9ELNS1_3repE0EEENS1_30default_config_static_selectorELNS0_4arch9wavefront6targetE0EEEvS12_
    .private_segment_fixed_size: 0
    .sgpr_count:     0
    .sgpr_spill_count: 0
    .symbol:         _ZN7rocprim17ROCPRIM_400000_NS6detail17trampoline_kernelINS0_13select_configILj256ELj13ELNS0_17block_load_methodE3ELS4_3ELS4_3ELNS0_20block_scan_algorithmE0ELj4294967295EEENS1_25partition_config_selectorILNS1_17partition_subalgoE4EjNS0_10empty_typeEbEEZZNS1_14partition_implILS8_4ELb0ES6_15HIP_vector_typeIjLj2EENS0_17counting_iteratorIjlEEPS9_SG_NS0_5tupleIJPjSI_NS0_16reverse_iteratorISI_EEEEENSH_IJSG_SG_SG_EEES9_SI_JZNS1_25segmented_radix_sort_implINS0_14default_configELb1EPKsPsPKlPlN2at6native12_GLOBAL__N_18offset_tEEE10hipError_tPvRmT1_PNSt15iterator_traitsIS12_E10value_typeET2_T3_PNS13_IS18_E10value_typeET4_jRbjT5_S1E_jjP12ihipStream_tbEUljE_ZNSN_ISO_Lb1ESQ_SR_ST_SU_SY_EESZ_S10_S11_S12_S16_S17_S18_S1B_S1C_jS1D_jS1E_S1E_jjS1G_bEUljE0_EEESZ_S10_S11_S18_S1C_S1E_T6_T7_T9_mT8_S1G_bDpT10_ENKUlT_T0_E_clISt17integral_constantIbLb0EES1T_IbLb1EEEEDaS1P_S1Q_EUlS1P_E_NS1_11comp_targetILNS1_3genE5ELNS1_11target_archE942ELNS1_3gpuE9ELNS1_3repE0EEENS1_30default_config_static_selectorELNS0_4arch9wavefront6targetE0EEEvS12_.kd
    .uniform_work_group_size: 1
    .uses_dynamic_stack: false
    .vgpr_count:     0
    .vgpr_spill_count: 0
    .wavefront_size: 32
  - .args:
      - .offset:         0
        .size:           184
        .value_kind:     by_value
    .group_segment_fixed_size: 0
    .kernarg_segment_align: 8
    .kernarg_segment_size: 184
    .language:       OpenCL C
    .language_version:
      - 2
      - 0
    .max_flat_workgroup_size: 256
    .name:           _ZN7rocprim17ROCPRIM_400000_NS6detail17trampoline_kernelINS0_13select_configILj256ELj13ELNS0_17block_load_methodE3ELS4_3ELS4_3ELNS0_20block_scan_algorithmE0ELj4294967295EEENS1_25partition_config_selectorILNS1_17partition_subalgoE4EjNS0_10empty_typeEbEEZZNS1_14partition_implILS8_4ELb0ES6_15HIP_vector_typeIjLj2EENS0_17counting_iteratorIjlEEPS9_SG_NS0_5tupleIJPjSI_NS0_16reverse_iteratorISI_EEEEENSH_IJSG_SG_SG_EEES9_SI_JZNS1_25segmented_radix_sort_implINS0_14default_configELb1EPKsPsPKlPlN2at6native12_GLOBAL__N_18offset_tEEE10hipError_tPvRmT1_PNSt15iterator_traitsIS12_E10value_typeET2_T3_PNS13_IS18_E10value_typeET4_jRbjT5_S1E_jjP12ihipStream_tbEUljE_ZNSN_ISO_Lb1ESQ_SR_ST_SU_SY_EESZ_S10_S11_S12_S16_S17_S18_S1B_S1C_jS1D_jS1E_S1E_jjS1G_bEUljE0_EEESZ_S10_S11_S18_S1C_S1E_T6_T7_T9_mT8_S1G_bDpT10_ENKUlT_T0_E_clISt17integral_constantIbLb0EES1T_IbLb1EEEEDaS1P_S1Q_EUlS1P_E_NS1_11comp_targetILNS1_3genE4ELNS1_11target_archE910ELNS1_3gpuE8ELNS1_3repE0EEENS1_30default_config_static_selectorELNS0_4arch9wavefront6targetE0EEEvS12_
    .private_segment_fixed_size: 0
    .sgpr_count:     0
    .sgpr_spill_count: 0
    .symbol:         _ZN7rocprim17ROCPRIM_400000_NS6detail17trampoline_kernelINS0_13select_configILj256ELj13ELNS0_17block_load_methodE3ELS4_3ELS4_3ELNS0_20block_scan_algorithmE0ELj4294967295EEENS1_25partition_config_selectorILNS1_17partition_subalgoE4EjNS0_10empty_typeEbEEZZNS1_14partition_implILS8_4ELb0ES6_15HIP_vector_typeIjLj2EENS0_17counting_iteratorIjlEEPS9_SG_NS0_5tupleIJPjSI_NS0_16reverse_iteratorISI_EEEEENSH_IJSG_SG_SG_EEES9_SI_JZNS1_25segmented_radix_sort_implINS0_14default_configELb1EPKsPsPKlPlN2at6native12_GLOBAL__N_18offset_tEEE10hipError_tPvRmT1_PNSt15iterator_traitsIS12_E10value_typeET2_T3_PNS13_IS18_E10value_typeET4_jRbjT5_S1E_jjP12ihipStream_tbEUljE_ZNSN_ISO_Lb1ESQ_SR_ST_SU_SY_EESZ_S10_S11_S12_S16_S17_S18_S1B_S1C_jS1D_jS1E_S1E_jjS1G_bEUljE0_EEESZ_S10_S11_S18_S1C_S1E_T6_T7_T9_mT8_S1G_bDpT10_ENKUlT_T0_E_clISt17integral_constantIbLb0EES1T_IbLb1EEEEDaS1P_S1Q_EUlS1P_E_NS1_11comp_targetILNS1_3genE4ELNS1_11target_archE910ELNS1_3gpuE8ELNS1_3repE0EEENS1_30default_config_static_selectorELNS0_4arch9wavefront6targetE0EEEvS12_.kd
    .uniform_work_group_size: 1
    .uses_dynamic_stack: false
    .vgpr_count:     0
    .vgpr_spill_count: 0
    .wavefront_size: 32
  - .args:
      - .offset:         0
        .size:           184
        .value_kind:     by_value
    .group_segment_fixed_size: 0
    .kernarg_segment_align: 8
    .kernarg_segment_size: 184
    .language:       OpenCL C
    .language_version:
      - 2
      - 0
    .max_flat_workgroup_size: 256
    .name:           _ZN7rocprim17ROCPRIM_400000_NS6detail17trampoline_kernelINS0_13select_configILj256ELj13ELNS0_17block_load_methodE3ELS4_3ELS4_3ELNS0_20block_scan_algorithmE0ELj4294967295EEENS1_25partition_config_selectorILNS1_17partition_subalgoE4EjNS0_10empty_typeEbEEZZNS1_14partition_implILS8_4ELb0ES6_15HIP_vector_typeIjLj2EENS0_17counting_iteratorIjlEEPS9_SG_NS0_5tupleIJPjSI_NS0_16reverse_iteratorISI_EEEEENSH_IJSG_SG_SG_EEES9_SI_JZNS1_25segmented_radix_sort_implINS0_14default_configELb1EPKsPsPKlPlN2at6native12_GLOBAL__N_18offset_tEEE10hipError_tPvRmT1_PNSt15iterator_traitsIS12_E10value_typeET2_T3_PNS13_IS18_E10value_typeET4_jRbjT5_S1E_jjP12ihipStream_tbEUljE_ZNSN_ISO_Lb1ESQ_SR_ST_SU_SY_EESZ_S10_S11_S12_S16_S17_S18_S1B_S1C_jS1D_jS1E_S1E_jjS1G_bEUljE0_EEESZ_S10_S11_S18_S1C_S1E_T6_T7_T9_mT8_S1G_bDpT10_ENKUlT_T0_E_clISt17integral_constantIbLb0EES1T_IbLb1EEEEDaS1P_S1Q_EUlS1P_E_NS1_11comp_targetILNS1_3genE3ELNS1_11target_archE908ELNS1_3gpuE7ELNS1_3repE0EEENS1_30default_config_static_selectorELNS0_4arch9wavefront6targetE0EEEvS12_
    .private_segment_fixed_size: 0
    .sgpr_count:     0
    .sgpr_spill_count: 0
    .symbol:         _ZN7rocprim17ROCPRIM_400000_NS6detail17trampoline_kernelINS0_13select_configILj256ELj13ELNS0_17block_load_methodE3ELS4_3ELS4_3ELNS0_20block_scan_algorithmE0ELj4294967295EEENS1_25partition_config_selectorILNS1_17partition_subalgoE4EjNS0_10empty_typeEbEEZZNS1_14partition_implILS8_4ELb0ES6_15HIP_vector_typeIjLj2EENS0_17counting_iteratorIjlEEPS9_SG_NS0_5tupleIJPjSI_NS0_16reverse_iteratorISI_EEEEENSH_IJSG_SG_SG_EEES9_SI_JZNS1_25segmented_radix_sort_implINS0_14default_configELb1EPKsPsPKlPlN2at6native12_GLOBAL__N_18offset_tEEE10hipError_tPvRmT1_PNSt15iterator_traitsIS12_E10value_typeET2_T3_PNS13_IS18_E10value_typeET4_jRbjT5_S1E_jjP12ihipStream_tbEUljE_ZNSN_ISO_Lb1ESQ_SR_ST_SU_SY_EESZ_S10_S11_S12_S16_S17_S18_S1B_S1C_jS1D_jS1E_S1E_jjS1G_bEUljE0_EEESZ_S10_S11_S18_S1C_S1E_T6_T7_T9_mT8_S1G_bDpT10_ENKUlT_T0_E_clISt17integral_constantIbLb0EES1T_IbLb1EEEEDaS1P_S1Q_EUlS1P_E_NS1_11comp_targetILNS1_3genE3ELNS1_11target_archE908ELNS1_3gpuE7ELNS1_3repE0EEENS1_30default_config_static_selectorELNS0_4arch9wavefront6targetE0EEEvS12_.kd
    .uniform_work_group_size: 1
    .uses_dynamic_stack: false
    .vgpr_count:     0
    .vgpr_spill_count: 0
    .wavefront_size: 32
  - .args:
      - .offset:         0
        .size:           184
        .value_kind:     by_value
    .group_segment_fixed_size: 0
    .kernarg_segment_align: 8
    .kernarg_segment_size: 184
    .language:       OpenCL C
    .language_version:
      - 2
      - 0
    .max_flat_workgroup_size: 256
    .name:           _ZN7rocprim17ROCPRIM_400000_NS6detail17trampoline_kernelINS0_13select_configILj256ELj13ELNS0_17block_load_methodE3ELS4_3ELS4_3ELNS0_20block_scan_algorithmE0ELj4294967295EEENS1_25partition_config_selectorILNS1_17partition_subalgoE4EjNS0_10empty_typeEbEEZZNS1_14partition_implILS8_4ELb0ES6_15HIP_vector_typeIjLj2EENS0_17counting_iteratorIjlEEPS9_SG_NS0_5tupleIJPjSI_NS0_16reverse_iteratorISI_EEEEENSH_IJSG_SG_SG_EEES9_SI_JZNS1_25segmented_radix_sort_implINS0_14default_configELb1EPKsPsPKlPlN2at6native12_GLOBAL__N_18offset_tEEE10hipError_tPvRmT1_PNSt15iterator_traitsIS12_E10value_typeET2_T3_PNS13_IS18_E10value_typeET4_jRbjT5_S1E_jjP12ihipStream_tbEUljE_ZNSN_ISO_Lb1ESQ_SR_ST_SU_SY_EESZ_S10_S11_S12_S16_S17_S18_S1B_S1C_jS1D_jS1E_S1E_jjS1G_bEUljE0_EEESZ_S10_S11_S18_S1C_S1E_T6_T7_T9_mT8_S1G_bDpT10_ENKUlT_T0_E_clISt17integral_constantIbLb0EES1T_IbLb1EEEEDaS1P_S1Q_EUlS1P_E_NS1_11comp_targetILNS1_3genE2ELNS1_11target_archE906ELNS1_3gpuE6ELNS1_3repE0EEENS1_30default_config_static_selectorELNS0_4arch9wavefront6targetE0EEEvS12_
    .private_segment_fixed_size: 0
    .sgpr_count:     0
    .sgpr_spill_count: 0
    .symbol:         _ZN7rocprim17ROCPRIM_400000_NS6detail17trampoline_kernelINS0_13select_configILj256ELj13ELNS0_17block_load_methodE3ELS4_3ELS4_3ELNS0_20block_scan_algorithmE0ELj4294967295EEENS1_25partition_config_selectorILNS1_17partition_subalgoE4EjNS0_10empty_typeEbEEZZNS1_14partition_implILS8_4ELb0ES6_15HIP_vector_typeIjLj2EENS0_17counting_iteratorIjlEEPS9_SG_NS0_5tupleIJPjSI_NS0_16reverse_iteratorISI_EEEEENSH_IJSG_SG_SG_EEES9_SI_JZNS1_25segmented_radix_sort_implINS0_14default_configELb1EPKsPsPKlPlN2at6native12_GLOBAL__N_18offset_tEEE10hipError_tPvRmT1_PNSt15iterator_traitsIS12_E10value_typeET2_T3_PNS13_IS18_E10value_typeET4_jRbjT5_S1E_jjP12ihipStream_tbEUljE_ZNSN_ISO_Lb1ESQ_SR_ST_SU_SY_EESZ_S10_S11_S12_S16_S17_S18_S1B_S1C_jS1D_jS1E_S1E_jjS1G_bEUljE0_EEESZ_S10_S11_S18_S1C_S1E_T6_T7_T9_mT8_S1G_bDpT10_ENKUlT_T0_E_clISt17integral_constantIbLb0EES1T_IbLb1EEEEDaS1P_S1Q_EUlS1P_E_NS1_11comp_targetILNS1_3genE2ELNS1_11target_archE906ELNS1_3gpuE6ELNS1_3repE0EEENS1_30default_config_static_selectorELNS0_4arch9wavefront6targetE0EEEvS12_.kd
    .uniform_work_group_size: 1
    .uses_dynamic_stack: false
    .vgpr_count:     0
    .vgpr_spill_count: 0
    .wavefront_size: 32
  - .args:
      - .offset:         0
        .size:           184
        .value_kind:     by_value
    .group_segment_fixed_size: 0
    .kernarg_segment_align: 8
    .kernarg_segment_size: 184
    .language:       OpenCL C
    .language_version:
      - 2
      - 0
    .max_flat_workgroup_size: 256
    .name:           _ZN7rocprim17ROCPRIM_400000_NS6detail17trampoline_kernelINS0_13select_configILj256ELj13ELNS0_17block_load_methodE3ELS4_3ELS4_3ELNS0_20block_scan_algorithmE0ELj4294967295EEENS1_25partition_config_selectorILNS1_17partition_subalgoE4EjNS0_10empty_typeEbEEZZNS1_14partition_implILS8_4ELb0ES6_15HIP_vector_typeIjLj2EENS0_17counting_iteratorIjlEEPS9_SG_NS0_5tupleIJPjSI_NS0_16reverse_iteratorISI_EEEEENSH_IJSG_SG_SG_EEES9_SI_JZNS1_25segmented_radix_sort_implINS0_14default_configELb1EPKsPsPKlPlN2at6native12_GLOBAL__N_18offset_tEEE10hipError_tPvRmT1_PNSt15iterator_traitsIS12_E10value_typeET2_T3_PNS13_IS18_E10value_typeET4_jRbjT5_S1E_jjP12ihipStream_tbEUljE_ZNSN_ISO_Lb1ESQ_SR_ST_SU_SY_EESZ_S10_S11_S12_S16_S17_S18_S1B_S1C_jS1D_jS1E_S1E_jjS1G_bEUljE0_EEESZ_S10_S11_S18_S1C_S1E_T6_T7_T9_mT8_S1G_bDpT10_ENKUlT_T0_E_clISt17integral_constantIbLb0EES1T_IbLb1EEEEDaS1P_S1Q_EUlS1P_E_NS1_11comp_targetILNS1_3genE10ELNS1_11target_archE1200ELNS1_3gpuE4ELNS1_3repE0EEENS1_30default_config_static_selectorELNS0_4arch9wavefront6targetE0EEEvS12_
    .private_segment_fixed_size: 0
    .sgpr_count:     0
    .sgpr_spill_count: 0
    .symbol:         _ZN7rocprim17ROCPRIM_400000_NS6detail17trampoline_kernelINS0_13select_configILj256ELj13ELNS0_17block_load_methodE3ELS4_3ELS4_3ELNS0_20block_scan_algorithmE0ELj4294967295EEENS1_25partition_config_selectorILNS1_17partition_subalgoE4EjNS0_10empty_typeEbEEZZNS1_14partition_implILS8_4ELb0ES6_15HIP_vector_typeIjLj2EENS0_17counting_iteratorIjlEEPS9_SG_NS0_5tupleIJPjSI_NS0_16reverse_iteratorISI_EEEEENSH_IJSG_SG_SG_EEES9_SI_JZNS1_25segmented_radix_sort_implINS0_14default_configELb1EPKsPsPKlPlN2at6native12_GLOBAL__N_18offset_tEEE10hipError_tPvRmT1_PNSt15iterator_traitsIS12_E10value_typeET2_T3_PNS13_IS18_E10value_typeET4_jRbjT5_S1E_jjP12ihipStream_tbEUljE_ZNSN_ISO_Lb1ESQ_SR_ST_SU_SY_EESZ_S10_S11_S12_S16_S17_S18_S1B_S1C_jS1D_jS1E_S1E_jjS1G_bEUljE0_EEESZ_S10_S11_S18_S1C_S1E_T6_T7_T9_mT8_S1G_bDpT10_ENKUlT_T0_E_clISt17integral_constantIbLb0EES1T_IbLb1EEEEDaS1P_S1Q_EUlS1P_E_NS1_11comp_targetILNS1_3genE10ELNS1_11target_archE1200ELNS1_3gpuE4ELNS1_3repE0EEENS1_30default_config_static_selectorELNS0_4arch9wavefront6targetE0EEEvS12_.kd
    .uniform_work_group_size: 1
    .uses_dynamic_stack: false
    .vgpr_count:     0
    .vgpr_spill_count: 0
    .wavefront_size: 32
  - .args:
      - .offset:         0
        .size:           184
        .value_kind:     by_value
    .group_segment_fixed_size: 0
    .kernarg_segment_align: 8
    .kernarg_segment_size: 184
    .language:       OpenCL C
    .language_version:
      - 2
      - 0
    .max_flat_workgroup_size: 256
    .name:           _ZN7rocprim17ROCPRIM_400000_NS6detail17trampoline_kernelINS0_13select_configILj256ELj13ELNS0_17block_load_methodE3ELS4_3ELS4_3ELNS0_20block_scan_algorithmE0ELj4294967295EEENS1_25partition_config_selectorILNS1_17partition_subalgoE4EjNS0_10empty_typeEbEEZZNS1_14partition_implILS8_4ELb0ES6_15HIP_vector_typeIjLj2EENS0_17counting_iteratorIjlEEPS9_SG_NS0_5tupleIJPjSI_NS0_16reverse_iteratorISI_EEEEENSH_IJSG_SG_SG_EEES9_SI_JZNS1_25segmented_radix_sort_implINS0_14default_configELb1EPKsPsPKlPlN2at6native12_GLOBAL__N_18offset_tEEE10hipError_tPvRmT1_PNSt15iterator_traitsIS12_E10value_typeET2_T3_PNS13_IS18_E10value_typeET4_jRbjT5_S1E_jjP12ihipStream_tbEUljE_ZNSN_ISO_Lb1ESQ_SR_ST_SU_SY_EESZ_S10_S11_S12_S16_S17_S18_S1B_S1C_jS1D_jS1E_S1E_jjS1G_bEUljE0_EEESZ_S10_S11_S18_S1C_S1E_T6_T7_T9_mT8_S1G_bDpT10_ENKUlT_T0_E_clISt17integral_constantIbLb0EES1T_IbLb1EEEEDaS1P_S1Q_EUlS1P_E_NS1_11comp_targetILNS1_3genE9ELNS1_11target_archE1100ELNS1_3gpuE3ELNS1_3repE0EEENS1_30default_config_static_selectorELNS0_4arch9wavefront6targetE0EEEvS12_
    .private_segment_fixed_size: 0
    .sgpr_count:     0
    .sgpr_spill_count: 0
    .symbol:         _ZN7rocprim17ROCPRIM_400000_NS6detail17trampoline_kernelINS0_13select_configILj256ELj13ELNS0_17block_load_methodE3ELS4_3ELS4_3ELNS0_20block_scan_algorithmE0ELj4294967295EEENS1_25partition_config_selectorILNS1_17partition_subalgoE4EjNS0_10empty_typeEbEEZZNS1_14partition_implILS8_4ELb0ES6_15HIP_vector_typeIjLj2EENS0_17counting_iteratorIjlEEPS9_SG_NS0_5tupleIJPjSI_NS0_16reverse_iteratorISI_EEEEENSH_IJSG_SG_SG_EEES9_SI_JZNS1_25segmented_radix_sort_implINS0_14default_configELb1EPKsPsPKlPlN2at6native12_GLOBAL__N_18offset_tEEE10hipError_tPvRmT1_PNSt15iterator_traitsIS12_E10value_typeET2_T3_PNS13_IS18_E10value_typeET4_jRbjT5_S1E_jjP12ihipStream_tbEUljE_ZNSN_ISO_Lb1ESQ_SR_ST_SU_SY_EESZ_S10_S11_S12_S16_S17_S18_S1B_S1C_jS1D_jS1E_S1E_jjS1G_bEUljE0_EEESZ_S10_S11_S18_S1C_S1E_T6_T7_T9_mT8_S1G_bDpT10_ENKUlT_T0_E_clISt17integral_constantIbLb0EES1T_IbLb1EEEEDaS1P_S1Q_EUlS1P_E_NS1_11comp_targetILNS1_3genE9ELNS1_11target_archE1100ELNS1_3gpuE3ELNS1_3repE0EEENS1_30default_config_static_selectorELNS0_4arch9wavefront6targetE0EEEvS12_.kd
    .uniform_work_group_size: 1
    .uses_dynamic_stack: false
    .vgpr_count:     0
    .vgpr_spill_count: 0
    .wavefront_size: 32
  - .args:
      - .offset:         0
        .size:           184
        .value_kind:     by_value
    .group_segment_fixed_size: 0
    .kernarg_segment_align: 8
    .kernarg_segment_size: 184
    .language:       OpenCL C
    .language_version:
      - 2
      - 0
    .max_flat_workgroup_size: 256
    .name:           _ZN7rocprim17ROCPRIM_400000_NS6detail17trampoline_kernelINS0_13select_configILj256ELj13ELNS0_17block_load_methodE3ELS4_3ELS4_3ELNS0_20block_scan_algorithmE0ELj4294967295EEENS1_25partition_config_selectorILNS1_17partition_subalgoE4EjNS0_10empty_typeEbEEZZNS1_14partition_implILS8_4ELb0ES6_15HIP_vector_typeIjLj2EENS0_17counting_iteratorIjlEEPS9_SG_NS0_5tupleIJPjSI_NS0_16reverse_iteratorISI_EEEEENSH_IJSG_SG_SG_EEES9_SI_JZNS1_25segmented_radix_sort_implINS0_14default_configELb1EPKsPsPKlPlN2at6native12_GLOBAL__N_18offset_tEEE10hipError_tPvRmT1_PNSt15iterator_traitsIS12_E10value_typeET2_T3_PNS13_IS18_E10value_typeET4_jRbjT5_S1E_jjP12ihipStream_tbEUljE_ZNSN_ISO_Lb1ESQ_SR_ST_SU_SY_EESZ_S10_S11_S12_S16_S17_S18_S1B_S1C_jS1D_jS1E_S1E_jjS1G_bEUljE0_EEESZ_S10_S11_S18_S1C_S1E_T6_T7_T9_mT8_S1G_bDpT10_ENKUlT_T0_E_clISt17integral_constantIbLb0EES1T_IbLb1EEEEDaS1P_S1Q_EUlS1P_E_NS1_11comp_targetILNS1_3genE8ELNS1_11target_archE1030ELNS1_3gpuE2ELNS1_3repE0EEENS1_30default_config_static_selectorELNS0_4arch9wavefront6targetE0EEEvS12_
    .private_segment_fixed_size: 0
    .sgpr_count:     0
    .sgpr_spill_count: 0
    .symbol:         _ZN7rocprim17ROCPRIM_400000_NS6detail17trampoline_kernelINS0_13select_configILj256ELj13ELNS0_17block_load_methodE3ELS4_3ELS4_3ELNS0_20block_scan_algorithmE0ELj4294967295EEENS1_25partition_config_selectorILNS1_17partition_subalgoE4EjNS0_10empty_typeEbEEZZNS1_14partition_implILS8_4ELb0ES6_15HIP_vector_typeIjLj2EENS0_17counting_iteratorIjlEEPS9_SG_NS0_5tupleIJPjSI_NS0_16reverse_iteratorISI_EEEEENSH_IJSG_SG_SG_EEES9_SI_JZNS1_25segmented_radix_sort_implINS0_14default_configELb1EPKsPsPKlPlN2at6native12_GLOBAL__N_18offset_tEEE10hipError_tPvRmT1_PNSt15iterator_traitsIS12_E10value_typeET2_T3_PNS13_IS18_E10value_typeET4_jRbjT5_S1E_jjP12ihipStream_tbEUljE_ZNSN_ISO_Lb1ESQ_SR_ST_SU_SY_EESZ_S10_S11_S12_S16_S17_S18_S1B_S1C_jS1D_jS1E_S1E_jjS1G_bEUljE0_EEESZ_S10_S11_S18_S1C_S1E_T6_T7_T9_mT8_S1G_bDpT10_ENKUlT_T0_E_clISt17integral_constantIbLb0EES1T_IbLb1EEEEDaS1P_S1Q_EUlS1P_E_NS1_11comp_targetILNS1_3genE8ELNS1_11target_archE1030ELNS1_3gpuE2ELNS1_3repE0EEENS1_30default_config_static_selectorELNS0_4arch9wavefront6targetE0EEEvS12_.kd
    .uniform_work_group_size: 1
    .uses_dynamic_stack: false
    .vgpr_count:     0
    .vgpr_spill_count: 0
    .wavefront_size: 32
  - .args:
      - .offset:         0
        .size:           144
        .value_kind:     by_value
    .group_segment_fixed_size: 13320
    .kernarg_segment_align: 8
    .kernarg_segment_size: 144
    .language:       OpenCL C
    .language_version:
      - 2
      - 0
    .max_flat_workgroup_size: 256
    .name:           _ZN7rocprim17ROCPRIM_400000_NS6detail17trampoline_kernelINS0_13select_configILj256ELj13ELNS0_17block_load_methodE3ELS4_3ELS4_3ELNS0_20block_scan_algorithmE0ELj4294967295EEENS1_25partition_config_selectorILNS1_17partition_subalgoE3EjNS0_10empty_typeEbEEZZNS1_14partition_implILS8_3ELb0ES6_jNS0_17counting_iteratorIjlEEPS9_SE_NS0_5tupleIJPjSE_EEENSF_IJSE_SE_EEES9_SG_JZNS1_25segmented_radix_sort_implINS0_14default_configELb1EPKsPsPKlPlN2at6native12_GLOBAL__N_18offset_tEEE10hipError_tPvRmT1_PNSt15iterator_traitsISY_E10value_typeET2_T3_PNSZ_IS14_E10value_typeET4_jRbjT5_S1A_jjP12ihipStream_tbEUljE_EEESV_SW_SX_S14_S18_S1A_T6_T7_T9_mT8_S1C_bDpT10_ENKUlT_T0_E_clISt17integral_constantIbLb0EES1P_EEDaS1K_S1L_EUlS1K_E_NS1_11comp_targetILNS1_3genE0ELNS1_11target_archE4294967295ELNS1_3gpuE0ELNS1_3repE0EEENS1_30default_config_static_selectorELNS0_4arch9wavefront6targetE0EEEvSY_
    .private_segment_fixed_size: 0
    .sgpr_count:     28
    .sgpr_spill_count: 0
    .symbol:         _ZN7rocprim17ROCPRIM_400000_NS6detail17trampoline_kernelINS0_13select_configILj256ELj13ELNS0_17block_load_methodE3ELS4_3ELS4_3ELNS0_20block_scan_algorithmE0ELj4294967295EEENS1_25partition_config_selectorILNS1_17partition_subalgoE3EjNS0_10empty_typeEbEEZZNS1_14partition_implILS8_3ELb0ES6_jNS0_17counting_iteratorIjlEEPS9_SE_NS0_5tupleIJPjSE_EEENSF_IJSE_SE_EEES9_SG_JZNS1_25segmented_radix_sort_implINS0_14default_configELb1EPKsPsPKlPlN2at6native12_GLOBAL__N_18offset_tEEE10hipError_tPvRmT1_PNSt15iterator_traitsISY_E10value_typeET2_T3_PNSZ_IS14_E10value_typeET4_jRbjT5_S1A_jjP12ihipStream_tbEUljE_EEESV_SW_SX_S14_S18_S1A_T6_T7_T9_mT8_S1C_bDpT10_ENKUlT_T0_E_clISt17integral_constantIbLb0EES1P_EEDaS1K_S1L_EUlS1K_E_NS1_11comp_targetILNS1_3genE0ELNS1_11target_archE4294967295ELNS1_3gpuE0ELNS1_3repE0EEENS1_30default_config_static_selectorELNS0_4arch9wavefront6targetE0EEEvSY_.kd
    .uniform_work_group_size: 1
    .uses_dynamic_stack: false
    .vgpr_count:     69
    .vgpr_spill_count: 0
    .wavefront_size: 32
  - .args:
      - .offset:         0
        .size:           144
        .value_kind:     by_value
    .group_segment_fixed_size: 0
    .kernarg_segment_align: 8
    .kernarg_segment_size: 144
    .language:       OpenCL C
    .language_version:
      - 2
      - 0
    .max_flat_workgroup_size: 256
    .name:           _ZN7rocprim17ROCPRIM_400000_NS6detail17trampoline_kernelINS0_13select_configILj256ELj13ELNS0_17block_load_methodE3ELS4_3ELS4_3ELNS0_20block_scan_algorithmE0ELj4294967295EEENS1_25partition_config_selectorILNS1_17partition_subalgoE3EjNS0_10empty_typeEbEEZZNS1_14partition_implILS8_3ELb0ES6_jNS0_17counting_iteratorIjlEEPS9_SE_NS0_5tupleIJPjSE_EEENSF_IJSE_SE_EEES9_SG_JZNS1_25segmented_radix_sort_implINS0_14default_configELb1EPKsPsPKlPlN2at6native12_GLOBAL__N_18offset_tEEE10hipError_tPvRmT1_PNSt15iterator_traitsISY_E10value_typeET2_T3_PNSZ_IS14_E10value_typeET4_jRbjT5_S1A_jjP12ihipStream_tbEUljE_EEESV_SW_SX_S14_S18_S1A_T6_T7_T9_mT8_S1C_bDpT10_ENKUlT_T0_E_clISt17integral_constantIbLb0EES1P_EEDaS1K_S1L_EUlS1K_E_NS1_11comp_targetILNS1_3genE5ELNS1_11target_archE942ELNS1_3gpuE9ELNS1_3repE0EEENS1_30default_config_static_selectorELNS0_4arch9wavefront6targetE0EEEvSY_
    .private_segment_fixed_size: 0
    .sgpr_count:     0
    .sgpr_spill_count: 0
    .symbol:         _ZN7rocprim17ROCPRIM_400000_NS6detail17trampoline_kernelINS0_13select_configILj256ELj13ELNS0_17block_load_methodE3ELS4_3ELS4_3ELNS0_20block_scan_algorithmE0ELj4294967295EEENS1_25partition_config_selectorILNS1_17partition_subalgoE3EjNS0_10empty_typeEbEEZZNS1_14partition_implILS8_3ELb0ES6_jNS0_17counting_iteratorIjlEEPS9_SE_NS0_5tupleIJPjSE_EEENSF_IJSE_SE_EEES9_SG_JZNS1_25segmented_radix_sort_implINS0_14default_configELb1EPKsPsPKlPlN2at6native12_GLOBAL__N_18offset_tEEE10hipError_tPvRmT1_PNSt15iterator_traitsISY_E10value_typeET2_T3_PNSZ_IS14_E10value_typeET4_jRbjT5_S1A_jjP12ihipStream_tbEUljE_EEESV_SW_SX_S14_S18_S1A_T6_T7_T9_mT8_S1C_bDpT10_ENKUlT_T0_E_clISt17integral_constantIbLb0EES1P_EEDaS1K_S1L_EUlS1K_E_NS1_11comp_targetILNS1_3genE5ELNS1_11target_archE942ELNS1_3gpuE9ELNS1_3repE0EEENS1_30default_config_static_selectorELNS0_4arch9wavefront6targetE0EEEvSY_.kd
    .uniform_work_group_size: 1
    .uses_dynamic_stack: false
    .vgpr_count:     0
    .vgpr_spill_count: 0
    .wavefront_size: 32
  - .args:
      - .offset:         0
        .size:           144
        .value_kind:     by_value
    .group_segment_fixed_size: 0
    .kernarg_segment_align: 8
    .kernarg_segment_size: 144
    .language:       OpenCL C
    .language_version:
      - 2
      - 0
    .max_flat_workgroup_size: 256
    .name:           _ZN7rocprim17ROCPRIM_400000_NS6detail17trampoline_kernelINS0_13select_configILj256ELj13ELNS0_17block_load_methodE3ELS4_3ELS4_3ELNS0_20block_scan_algorithmE0ELj4294967295EEENS1_25partition_config_selectorILNS1_17partition_subalgoE3EjNS0_10empty_typeEbEEZZNS1_14partition_implILS8_3ELb0ES6_jNS0_17counting_iteratorIjlEEPS9_SE_NS0_5tupleIJPjSE_EEENSF_IJSE_SE_EEES9_SG_JZNS1_25segmented_radix_sort_implINS0_14default_configELb1EPKsPsPKlPlN2at6native12_GLOBAL__N_18offset_tEEE10hipError_tPvRmT1_PNSt15iterator_traitsISY_E10value_typeET2_T3_PNSZ_IS14_E10value_typeET4_jRbjT5_S1A_jjP12ihipStream_tbEUljE_EEESV_SW_SX_S14_S18_S1A_T6_T7_T9_mT8_S1C_bDpT10_ENKUlT_T0_E_clISt17integral_constantIbLb0EES1P_EEDaS1K_S1L_EUlS1K_E_NS1_11comp_targetILNS1_3genE4ELNS1_11target_archE910ELNS1_3gpuE8ELNS1_3repE0EEENS1_30default_config_static_selectorELNS0_4arch9wavefront6targetE0EEEvSY_
    .private_segment_fixed_size: 0
    .sgpr_count:     0
    .sgpr_spill_count: 0
    .symbol:         _ZN7rocprim17ROCPRIM_400000_NS6detail17trampoline_kernelINS0_13select_configILj256ELj13ELNS0_17block_load_methodE3ELS4_3ELS4_3ELNS0_20block_scan_algorithmE0ELj4294967295EEENS1_25partition_config_selectorILNS1_17partition_subalgoE3EjNS0_10empty_typeEbEEZZNS1_14partition_implILS8_3ELb0ES6_jNS0_17counting_iteratorIjlEEPS9_SE_NS0_5tupleIJPjSE_EEENSF_IJSE_SE_EEES9_SG_JZNS1_25segmented_radix_sort_implINS0_14default_configELb1EPKsPsPKlPlN2at6native12_GLOBAL__N_18offset_tEEE10hipError_tPvRmT1_PNSt15iterator_traitsISY_E10value_typeET2_T3_PNSZ_IS14_E10value_typeET4_jRbjT5_S1A_jjP12ihipStream_tbEUljE_EEESV_SW_SX_S14_S18_S1A_T6_T7_T9_mT8_S1C_bDpT10_ENKUlT_T0_E_clISt17integral_constantIbLb0EES1P_EEDaS1K_S1L_EUlS1K_E_NS1_11comp_targetILNS1_3genE4ELNS1_11target_archE910ELNS1_3gpuE8ELNS1_3repE0EEENS1_30default_config_static_selectorELNS0_4arch9wavefront6targetE0EEEvSY_.kd
    .uniform_work_group_size: 1
    .uses_dynamic_stack: false
    .vgpr_count:     0
    .vgpr_spill_count: 0
    .wavefront_size: 32
  - .args:
      - .offset:         0
        .size:           144
        .value_kind:     by_value
    .group_segment_fixed_size: 0
    .kernarg_segment_align: 8
    .kernarg_segment_size: 144
    .language:       OpenCL C
    .language_version:
      - 2
      - 0
    .max_flat_workgroup_size: 256
    .name:           _ZN7rocprim17ROCPRIM_400000_NS6detail17trampoline_kernelINS0_13select_configILj256ELj13ELNS0_17block_load_methodE3ELS4_3ELS4_3ELNS0_20block_scan_algorithmE0ELj4294967295EEENS1_25partition_config_selectorILNS1_17partition_subalgoE3EjNS0_10empty_typeEbEEZZNS1_14partition_implILS8_3ELb0ES6_jNS0_17counting_iteratorIjlEEPS9_SE_NS0_5tupleIJPjSE_EEENSF_IJSE_SE_EEES9_SG_JZNS1_25segmented_radix_sort_implINS0_14default_configELb1EPKsPsPKlPlN2at6native12_GLOBAL__N_18offset_tEEE10hipError_tPvRmT1_PNSt15iterator_traitsISY_E10value_typeET2_T3_PNSZ_IS14_E10value_typeET4_jRbjT5_S1A_jjP12ihipStream_tbEUljE_EEESV_SW_SX_S14_S18_S1A_T6_T7_T9_mT8_S1C_bDpT10_ENKUlT_T0_E_clISt17integral_constantIbLb0EES1P_EEDaS1K_S1L_EUlS1K_E_NS1_11comp_targetILNS1_3genE3ELNS1_11target_archE908ELNS1_3gpuE7ELNS1_3repE0EEENS1_30default_config_static_selectorELNS0_4arch9wavefront6targetE0EEEvSY_
    .private_segment_fixed_size: 0
    .sgpr_count:     0
    .sgpr_spill_count: 0
    .symbol:         _ZN7rocprim17ROCPRIM_400000_NS6detail17trampoline_kernelINS0_13select_configILj256ELj13ELNS0_17block_load_methodE3ELS4_3ELS4_3ELNS0_20block_scan_algorithmE0ELj4294967295EEENS1_25partition_config_selectorILNS1_17partition_subalgoE3EjNS0_10empty_typeEbEEZZNS1_14partition_implILS8_3ELb0ES6_jNS0_17counting_iteratorIjlEEPS9_SE_NS0_5tupleIJPjSE_EEENSF_IJSE_SE_EEES9_SG_JZNS1_25segmented_radix_sort_implINS0_14default_configELb1EPKsPsPKlPlN2at6native12_GLOBAL__N_18offset_tEEE10hipError_tPvRmT1_PNSt15iterator_traitsISY_E10value_typeET2_T3_PNSZ_IS14_E10value_typeET4_jRbjT5_S1A_jjP12ihipStream_tbEUljE_EEESV_SW_SX_S14_S18_S1A_T6_T7_T9_mT8_S1C_bDpT10_ENKUlT_T0_E_clISt17integral_constantIbLb0EES1P_EEDaS1K_S1L_EUlS1K_E_NS1_11comp_targetILNS1_3genE3ELNS1_11target_archE908ELNS1_3gpuE7ELNS1_3repE0EEENS1_30default_config_static_selectorELNS0_4arch9wavefront6targetE0EEEvSY_.kd
    .uniform_work_group_size: 1
    .uses_dynamic_stack: false
    .vgpr_count:     0
    .vgpr_spill_count: 0
    .wavefront_size: 32
  - .args:
      - .offset:         0
        .size:           144
        .value_kind:     by_value
    .group_segment_fixed_size: 0
    .kernarg_segment_align: 8
    .kernarg_segment_size: 144
    .language:       OpenCL C
    .language_version:
      - 2
      - 0
    .max_flat_workgroup_size: 256
    .name:           _ZN7rocprim17ROCPRIM_400000_NS6detail17trampoline_kernelINS0_13select_configILj256ELj13ELNS0_17block_load_methodE3ELS4_3ELS4_3ELNS0_20block_scan_algorithmE0ELj4294967295EEENS1_25partition_config_selectorILNS1_17partition_subalgoE3EjNS0_10empty_typeEbEEZZNS1_14partition_implILS8_3ELb0ES6_jNS0_17counting_iteratorIjlEEPS9_SE_NS0_5tupleIJPjSE_EEENSF_IJSE_SE_EEES9_SG_JZNS1_25segmented_radix_sort_implINS0_14default_configELb1EPKsPsPKlPlN2at6native12_GLOBAL__N_18offset_tEEE10hipError_tPvRmT1_PNSt15iterator_traitsISY_E10value_typeET2_T3_PNSZ_IS14_E10value_typeET4_jRbjT5_S1A_jjP12ihipStream_tbEUljE_EEESV_SW_SX_S14_S18_S1A_T6_T7_T9_mT8_S1C_bDpT10_ENKUlT_T0_E_clISt17integral_constantIbLb0EES1P_EEDaS1K_S1L_EUlS1K_E_NS1_11comp_targetILNS1_3genE2ELNS1_11target_archE906ELNS1_3gpuE6ELNS1_3repE0EEENS1_30default_config_static_selectorELNS0_4arch9wavefront6targetE0EEEvSY_
    .private_segment_fixed_size: 0
    .sgpr_count:     0
    .sgpr_spill_count: 0
    .symbol:         _ZN7rocprim17ROCPRIM_400000_NS6detail17trampoline_kernelINS0_13select_configILj256ELj13ELNS0_17block_load_methodE3ELS4_3ELS4_3ELNS0_20block_scan_algorithmE0ELj4294967295EEENS1_25partition_config_selectorILNS1_17partition_subalgoE3EjNS0_10empty_typeEbEEZZNS1_14partition_implILS8_3ELb0ES6_jNS0_17counting_iteratorIjlEEPS9_SE_NS0_5tupleIJPjSE_EEENSF_IJSE_SE_EEES9_SG_JZNS1_25segmented_radix_sort_implINS0_14default_configELb1EPKsPsPKlPlN2at6native12_GLOBAL__N_18offset_tEEE10hipError_tPvRmT1_PNSt15iterator_traitsISY_E10value_typeET2_T3_PNSZ_IS14_E10value_typeET4_jRbjT5_S1A_jjP12ihipStream_tbEUljE_EEESV_SW_SX_S14_S18_S1A_T6_T7_T9_mT8_S1C_bDpT10_ENKUlT_T0_E_clISt17integral_constantIbLb0EES1P_EEDaS1K_S1L_EUlS1K_E_NS1_11comp_targetILNS1_3genE2ELNS1_11target_archE906ELNS1_3gpuE6ELNS1_3repE0EEENS1_30default_config_static_selectorELNS0_4arch9wavefront6targetE0EEEvSY_.kd
    .uniform_work_group_size: 1
    .uses_dynamic_stack: false
    .vgpr_count:     0
    .vgpr_spill_count: 0
    .wavefront_size: 32
  - .args:
      - .offset:         0
        .size:           144
        .value_kind:     by_value
    .group_segment_fixed_size: 0
    .kernarg_segment_align: 8
    .kernarg_segment_size: 144
    .language:       OpenCL C
    .language_version:
      - 2
      - 0
    .max_flat_workgroup_size: 256
    .name:           _ZN7rocprim17ROCPRIM_400000_NS6detail17trampoline_kernelINS0_13select_configILj256ELj13ELNS0_17block_load_methodE3ELS4_3ELS4_3ELNS0_20block_scan_algorithmE0ELj4294967295EEENS1_25partition_config_selectorILNS1_17partition_subalgoE3EjNS0_10empty_typeEbEEZZNS1_14partition_implILS8_3ELb0ES6_jNS0_17counting_iteratorIjlEEPS9_SE_NS0_5tupleIJPjSE_EEENSF_IJSE_SE_EEES9_SG_JZNS1_25segmented_radix_sort_implINS0_14default_configELb1EPKsPsPKlPlN2at6native12_GLOBAL__N_18offset_tEEE10hipError_tPvRmT1_PNSt15iterator_traitsISY_E10value_typeET2_T3_PNSZ_IS14_E10value_typeET4_jRbjT5_S1A_jjP12ihipStream_tbEUljE_EEESV_SW_SX_S14_S18_S1A_T6_T7_T9_mT8_S1C_bDpT10_ENKUlT_T0_E_clISt17integral_constantIbLb0EES1P_EEDaS1K_S1L_EUlS1K_E_NS1_11comp_targetILNS1_3genE10ELNS1_11target_archE1200ELNS1_3gpuE4ELNS1_3repE0EEENS1_30default_config_static_selectorELNS0_4arch9wavefront6targetE0EEEvSY_
    .private_segment_fixed_size: 0
    .sgpr_count:     0
    .sgpr_spill_count: 0
    .symbol:         _ZN7rocprim17ROCPRIM_400000_NS6detail17trampoline_kernelINS0_13select_configILj256ELj13ELNS0_17block_load_methodE3ELS4_3ELS4_3ELNS0_20block_scan_algorithmE0ELj4294967295EEENS1_25partition_config_selectorILNS1_17partition_subalgoE3EjNS0_10empty_typeEbEEZZNS1_14partition_implILS8_3ELb0ES6_jNS0_17counting_iteratorIjlEEPS9_SE_NS0_5tupleIJPjSE_EEENSF_IJSE_SE_EEES9_SG_JZNS1_25segmented_radix_sort_implINS0_14default_configELb1EPKsPsPKlPlN2at6native12_GLOBAL__N_18offset_tEEE10hipError_tPvRmT1_PNSt15iterator_traitsISY_E10value_typeET2_T3_PNSZ_IS14_E10value_typeET4_jRbjT5_S1A_jjP12ihipStream_tbEUljE_EEESV_SW_SX_S14_S18_S1A_T6_T7_T9_mT8_S1C_bDpT10_ENKUlT_T0_E_clISt17integral_constantIbLb0EES1P_EEDaS1K_S1L_EUlS1K_E_NS1_11comp_targetILNS1_3genE10ELNS1_11target_archE1200ELNS1_3gpuE4ELNS1_3repE0EEENS1_30default_config_static_selectorELNS0_4arch9wavefront6targetE0EEEvSY_.kd
    .uniform_work_group_size: 1
    .uses_dynamic_stack: false
    .vgpr_count:     0
    .vgpr_spill_count: 0
    .wavefront_size: 32
  - .args:
      - .offset:         0
        .size:           144
        .value_kind:     by_value
    .group_segment_fixed_size: 0
    .kernarg_segment_align: 8
    .kernarg_segment_size: 144
    .language:       OpenCL C
    .language_version:
      - 2
      - 0
    .max_flat_workgroup_size: 256
    .name:           _ZN7rocprim17ROCPRIM_400000_NS6detail17trampoline_kernelINS0_13select_configILj256ELj13ELNS0_17block_load_methodE3ELS4_3ELS4_3ELNS0_20block_scan_algorithmE0ELj4294967295EEENS1_25partition_config_selectorILNS1_17partition_subalgoE3EjNS0_10empty_typeEbEEZZNS1_14partition_implILS8_3ELb0ES6_jNS0_17counting_iteratorIjlEEPS9_SE_NS0_5tupleIJPjSE_EEENSF_IJSE_SE_EEES9_SG_JZNS1_25segmented_radix_sort_implINS0_14default_configELb1EPKsPsPKlPlN2at6native12_GLOBAL__N_18offset_tEEE10hipError_tPvRmT1_PNSt15iterator_traitsISY_E10value_typeET2_T3_PNSZ_IS14_E10value_typeET4_jRbjT5_S1A_jjP12ihipStream_tbEUljE_EEESV_SW_SX_S14_S18_S1A_T6_T7_T9_mT8_S1C_bDpT10_ENKUlT_T0_E_clISt17integral_constantIbLb0EES1P_EEDaS1K_S1L_EUlS1K_E_NS1_11comp_targetILNS1_3genE9ELNS1_11target_archE1100ELNS1_3gpuE3ELNS1_3repE0EEENS1_30default_config_static_selectorELNS0_4arch9wavefront6targetE0EEEvSY_
    .private_segment_fixed_size: 0
    .sgpr_count:     0
    .sgpr_spill_count: 0
    .symbol:         _ZN7rocprim17ROCPRIM_400000_NS6detail17trampoline_kernelINS0_13select_configILj256ELj13ELNS0_17block_load_methodE3ELS4_3ELS4_3ELNS0_20block_scan_algorithmE0ELj4294967295EEENS1_25partition_config_selectorILNS1_17partition_subalgoE3EjNS0_10empty_typeEbEEZZNS1_14partition_implILS8_3ELb0ES6_jNS0_17counting_iteratorIjlEEPS9_SE_NS0_5tupleIJPjSE_EEENSF_IJSE_SE_EEES9_SG_JZNS1_25segmented_radix_sort_implINS0_14default_configELb1EPKsPsPKlPlN2at6native12_GLOBAL__N_18offset_tEEE10hipError_tPvRmT1_PNSt15iterator_traitsISY_E10value_typeET2_T3_PNSZ_IS14_E10value_typeET4_jRbjT5_S1A_jjP12ihipStream_tbEUljE_EEESV_SW_SX_S14_S18_S1A_T6_T7_T9_mT8_S1C_bDpT10_ENKUlT_T0_E_clISt17integral_constantIbLb0EES1P_EEDaS1K_S1L_EUlS1K_E_NS1_11comp_targetILNS1_3genE9ELNS1_11target_archE1100ELNS1_3gpuE3ELNS1_3repE0EEENS1_30default_config_static_selectorELNS0_4arch9wavefront6targetE0EEEvSY_.kd
    .uniform_work_group_size: 1
    .uses_dynamic_stack: false
    .vgpr_count:     0
    .vgpr_spill_count: 0
    .wavefront_size: 32
  - .args:
      - .offset:         0
        .size:           144
        .value_kind:     by_value
    .group_segment_fixed_size: 0
    .kernarg_segment_align: 8
    .kernarg_segment_size: 144
    .language:       OpenCL C
    .language_version:
      - 2
      - 0
    .max_flat_workgroup_size: 256
    .name:           _ZN7rocprim17ROCPRIM_400000_NS6detail17trampoline_kernelINS0_13select_configILj256ELj13ELNS0_17block_load_methodE3ELS4_3ELS4_3ELNS0_20block_scan_algorithmE0ELj4294967295EEENS1_25partition_config_selectorILNS1_17partition_subalgoE3EjNS0_10empty_typeEbEEZZNS1_14partition_implILS8_3ELb0ES6_jNS0_17counting_iteratorIjlEEPS9_SE_NS0_5tupleIJPjSE_EEENSF_IJSE_SE_EEES9_SG_JZNS1_25segmented_radix_sort_implINS0_14default_configELb1EPKsPsPKlPlN2at6native12_GLOBAL__N_18offset_tEEE10hipError_tPvRmT1_PNSt15iterator_traitsISY_E10value_typeET2_T3_PNSZ_IS14_E10value_typeET4_jRbjT5_S1A_jjP12ihipStream_tbEUljE_EEESV_SW_SX_S14_S18_S1A_T6_T7_T9_mT8_S1C_bDpT10_ENKUlT_T0_E_clISt17integral_constantIbLb0EES1P_EEDaS1K_S1L_EUlS1K_E_NS1_11comp_targetILNS1_3genE8ELNS1_11target_archE1030ELNS1_3gpuE2ELNS1_3repE0EEENS1_30default_config_static_selectorELNS0_4arch9wavefront6targetE0EEEvSY_
    .private_segment_fixed_size: 0
    .sgpr_count:     0
    .sgpr_spill_count: 0
    .symbol:         _ZN7rocprim17ROCPRIM_400000_NS6detail17trampoline_kernelINS0_13select_configILj256ELj13ELNS0_17block_load_methodE3ELS4_3ELS4_3ELNS0_20block_scan_algorithmE0ELj4294967295EEENS1_25partition_config_selectorILNS1_17partition_subalgoE3EjNS0_10empty_typeEbEEZZNS1_14partition_implILS8_3ELb0ES6_jNS0_17counting_iteratorIjlEEPS9_SE_NS0_5tupleIJPjSE_EEENSF_IJSE_SE_EEES9_SG_JZNS1_25segmented_radix_sort_implINS0_14default_configELb1EPKsPsPKlPlN2at6native12_GLOBAL__N_18offset_tEEE10hipError_tPvRmT1_PNSt15iterator_traitsISY_E10value_typeET2_T3_PNSZ_IS14_E10value_typeET4_jRbjT5_S1A_jjP12ihipStream_tbEUljE_EEESV_SW_SX_S14_S18_S1A_T6_T7_T9_mT8_S1C_bDpT10_ENKUlT_T0_E_clISt17integral_constantIbLb0EES1P_EEDaS1K_S1L_EUlS1K_E_NS1_11comp_targetILNS1_3genE8ELNS1_11target_archE1030ELNS1_3gpuE2ELNS1_3repE0EEENS1_30default_config_static_selectorELNS0_4arch9wavefront6targetE0EEEvSY_.kd
    .uniform_work_group_size: 1
    .uses_dynamic_stack: false
    .vgpr_count:     0
    .vgpr_spill_count: 0
    .wavefront_size: 32
  - .args:
      - .offset:         0
        .size:           152
        .value_kind:     by_value
    .group_segment_fixed_size: 0
    .kernarg_segment_align: 8
    .kernarg_segment_size: 152
    .language:       OpenCL C
    .language_version:
      - 2
      - 0
    .max_flat_workgroup_size: 256
    .name:           _ZN7rocprim17ROCPRIM_400000_NS6detail17trampoline_kernelINS0_13select_configILj256ELj13ELNS0_17block_load_methodE3ELS4_3ELS4_3ELNS0_20block_scan_algorithmE0ELj4294967295EEENS1_25partition_config_selectorILNS1_17partition_subalgoE3EjNS0_10empty_typeEbEEZZNS1_14partition_implILS8_3ELb0ES6_jNS0_17counting_iteratorIjlEEPS9_SE_NS0_5tupleIJPjSE_EEENSF_IJSE_SE_EEES9_SG_JZNS1_25segmented_radix_sort_implINS0_14default_configELb1EPKsPsPKlPlN2at6native12_GLOBAL__N_18offset_tEEE10hipError_tPvRmT1_PNSt15iterator_traitsISY_E10value_typeET2_T3_PNSZ_IS14_E10value_typeET4_jRbjT5_S1A_jjP12ihipStream_tbEUljE_EEESV_SW_SX_S14_S18_S1A_T6_T7_T9_mT8_S1C_bDpT10_ENKUlT_T0_E_clISt17integral_constantIbLb1EES1P_EEDaS1K_S1L_EUlS1K_E_NS1_11comp_targetILNS1_3genE0ELNS1_11target_archE4294967295ELNS1_3gpuE0ELNS1_3repE0EEENS1_30default_config_static_selectorELNS0_4arch9wavefront6targetE0EEEvSY_
    .private_segment_fixed_size: 0
    .sgpr_count:     0
    .sgpr_spill_count: 0
    .symbol:         _ZN7rocprim17ROCPRIM_400000_NS6detail17trampoline_kernelINS0_13select_configILj256ELj13ELNS0_17block_load_methodE3ELS4_3ELS4_3ELNS0_20block_scan_algorithmE0ELj4294967295EEENS1_25partition_config_selectorILNS1_17partition_subalgoE3EjNS0_10empty_typeEbEEZZNS1_14partition_implILS8_3ELb0ES6_jNS0_17counting_iteratorIjlEEPS9_SE_NS0_5tupleIJPjSE_EEENSF_IJSE_SE_EEES9_SG_JZNS1_25segmented_radix_sort_implINS0_14default_configELb1EPKsPsPKlPlN2at6native12_GLOBAL__N_18offset_tEEE10hipError_tPvRmT1_PNSt15iterator_traitsISY_E10value_typeET2_T3_PNSZ_IS14_E10value_typeET4_jRbjT5_S1A_jjP12ihipStream_tbEUljE_EEESV_SW_SX_S14_S18_S1A_T6_T7_T9_mT8_S1C_bDpT10_ENKUlT_T0_E_clISt17integral_constantIbLb1EES1P_EEDaS1K_S1L_EUlS1K_E_NS1_11comp_targetILNS1_3genE0ELNS1_11target_archE4294967295ELNS1_3gpuE0ELNS1_3repE0EEENS1_30default_config_static_selectorELNS0_4arch9wavefront6targetE0EEEvSY_.kd
    .uniform_work_group_size: 1
    .uses_dynamic_stack: false
    .vgpr_count:     0
    .vgpr_spill_count: 0
    .wavefront_size: 32
  - .args:
      - .offset:         0
        .size:           152
        .value_kind:     by_value
    .group_segment_fixed_size: 0
    .kernarg_segment_align: 8
    .kernarg_segment_size: 152
    .language:       OpenCL C
    .language_version:
      - 2
      - 0
    .max_flat_workgroup_size: 256
    .name:           _ZN7rocprim17ROCPRIM_400000_NS6detail17trampoline_kernelINS0_13select_configILj256ELj13ELNS0_17block_load_methodE3ELS4_3ELS4_3ELNS0_20block_scan_algorithmE0ELj4294967295EEENS1_25partition_config_selectorILNS1_17partition_subalgoE3EjNS0_10empty_typeEbEEZZNS1_14partition_implILS8_3ELb0ES6_jNS0_17counting_iteratorIjlEEPS9_SE_NS0_5tupleIJPjSE_EEENSF_IJSE_SE_EEES9_SG_JZNS1_25segmented_radix_sort_implINS0_14default_configELb1EPKsPsPKlPlN2at6native12_GLOBAL__N_18offset_tEEE10hipError_tPvRmT1_PNSt15iterator_traitsISY_E10value_typeET2_T3_PNSZ_IS14_E10value_typeET4_jRbjT5_S1A_jjP12ihipStream_tbEUljE_EEESV_SW_SX_S14_S18_S1A_T6_T7_T9_mT8_S1C_bDpT10_ENKUlT_T0_E_clISt17integral_constantIbLb1EES1P_EEDaS1K_S1L_EUlS1K_E_NS1_11comp_targetILNS1_3genE5ELNS1_11target_archE942ELNS1_3gpuE9ELNS1_3repE0EEENS1_30default_config_static_selectorELNS0_4arch9wavefront6targetE0EEEvSY_
    .private_segment_fixed_size: 0
    .sgpr_count:     0
    .sgpr_spill_count: 0
    .symbol:         _ZN7rocprim17ROCPRIM_400000_NS6detail17trampoline_kernelINS0_13select_configILj256ELj13ELNS0_17block_load_methodE3ELS4_3ELS4_3ELNS0_20block_scan_algorithmE0ELj4294967295EEENS1_25partition_config_selectorILNS1_17partition_subalgoE3EjNS0_10empty_typeEbEEZZNS1_14partition_implILS8_3ELb0ES6_jNS0_17counting_iteratorIjlEEPS9_SE_NS0_5tupleIJPjSE_EEENSF_IJSE_SE_EEES9_SG_JZNS1_25segmented_radix_sort_implINS0_14default_configELb1EPKsPsPKlPlN2at6native12_GLOBAL__N_18offset_tEEE10hipError_tPvRmT1_PNSt15iterator_traitsISY_E10value_typeET2_T3_PNSZ_IS14_E10value_typeET4_jRbjT5_S1A_jjP12ihipStream_tbEUljE_EEESV_SW_SX_S14_S18_S1A_T6_T7_T9_mT8_S1C_bDpT10_ENKUlT_T0_E_clISt17integral_constantIbLb1EES1P_EEDaS1K_S1L_EUlS1K_E_NS1_11comp_targetILNS1_3genE5ELNS1_11target_archE942ELNS1_3gpuE9ELNS1_3repE0EEENS1_30default_config_static_selectorELNS0_4arch9wavefront6targetE0EEEvSY_.kd
    .uniform_work_group_size: 1
    .uses_dynamic_stack: false
    .vgpr_count:     0
    .vgpr_spill_count: 0
    .wavefront_size: 32
  - .args:
      - .offset:         0
        .size:           152
        .value_kind:     by_value
    .group_segment_fixed_size: 0
    .kernarg_segment_align: 8
    .kernarg_segment_size: 152
    .language:       OpenCL C
    .language_version:
      - 2
      - 0
    .max_flat_workgroup_size: 256
    .name:           _ZN7rocprim17ROCPRIM_400000_NS6detail17trampoline_kernelINS0_13select_configILj256ELj13ELNS0_17block_load_methodE3ELS4_3ELS4_3ELNS0_20block_scan_algorithmE0ELj4294967295EEENS1_25partition_config_selectorILNS1_17partition_subalgoE3EjNS0_10empty_typeEbEEZZNS1_14partition_implILS8_3ELb0ES6_jNS0_17counting_iteratorIjlEEPS9_SE_NS0_5tupleIJPjSE_EEENSF_IJSE_SE_EEES9_SG_JZNS1_25segmented_radix_sort_implINS0_14default_configELb1EPKsPsPKlPlN2at6native12_GLOBAL__N_18offset_tEEE10hipError_tPvRmT1_PNSt15iterator_traitsISY_E10value_typeET2_T3_PNSZ_IS14_E10value_typeET4_jRbjT5_S1A_jjP12ihipStream_tbEUljE_EEESV_SW_SX_S14_S18_S1A_T6_T7_T9_mT8_S1C_bDpT10_ENKUlT_T0_E_clISt17integral_constantIbLb1EES1P_EEDaS1K_S1L_EUlS1K_E_NS1_11comp_targetILNS1_3genE4ELNS1_11target_archE910ELNS1_3gpuE8ELNS1_3repE0EEENS1_30default_config_static_selectorELNS0_4arch9wavefront6targetE0EEEvSY_
    .private_segment_fixed_size: 0
    .sgpr_count:     0
    .sgpr_spill_count: 0
    .symbol:         _ZN7rocprim17ROCPRIM_400000_NS6detail17trampoline_kernelINS0_13select_configILj256ELj13ELNS0_17block_load_methodE3ELS4_3ELS4_3ELNS0_20block_scan_algorithmE0ELj4294967295EEENS1_25partition_config_selectorILNS1_17partition_subalgoE3EjNS0_10empty_typeEbEEZZNS1_14partition_implILS8_3ELb0ES6_jNS0_17counting_iteratorIjlEEPS9_SE_NS0_5tupleIJPjSE_EEENSF_IJSE_SE_EEES9_SG_JZNS1_25segmented_radix_sort_implINS0_14default_configELb1EPKsPsPKlPlN2at6native12_GLOBAL__N_18offset_tEEE10hipError_tPvRmT1_PNSt15iterator_traitsISY_E10value_typeET2_T3_PNSZ_IS14_E10value_typeET4_jRbjT5_S1A_jjP12ihipStream_tbEUljE_EEESV_SW_SX_S14_S18_S1A_T6_T7_T9_mT8_S1C_bDpT10_ENKUlT_T0_E_clISt17integral_constantIbLb1EES1P_EEDaS1K_S1L_EUlS1K_E_NS1_11comp_targetILNS1_3genE4ELNS1_11target_archE910ELNS1_3gpuE8ELNS1_3repE0EEENS1_30default_config_static_selectorELNS0_4arch9wavefront6targetE0EEEvSY_.kd
    .uniform_work_group_size: 1
    .uses_dynamic_stack: false
    .vgpr_count:     0
    .vgpr_spill_count: 0
    .wavefront_size: 32
  - .args:
      - .offset:         0
        .size:           152
        .value_kind:     by_value
    .group_segment_fixed_size: 0
    .kernarg_segment_align: 8
    .kernarg_segment_size: 152
    .language:       OpenCL C
    .language_version:
      - 2
      - 0
    .max_flat_workgroup_size: 256
    .name:           _ZN7rocprim17ROCPRIM_400000_NS6detail17trampoline_kernelINS0_13select_configILj256ELj13ELNS0_17block_load_methodE3ELS4_3ELS4_3ELNS0_20block_scan_algorithmE0ELj4294967295EEENS1_25partition_config_selectorILNS1_17partition_subalgoE3EjNS0_10empty_typeEbEEZZNS1_14partition_implILS8_3ELb0ES6_jNS0_17counting_iteratorIjlEEPS9_SE_NS0_5tupleIJPjSE_EEENSF_IJSE_SE_EEES9_SG_JZNS1_25segmented_radix_sort_implINS0_14default_configELb1EPKsPsPKlPlN2at6native12_GLOBAL__N_18offset_tEEE10hipError_tPvRmT1_PNSt15iterator_traitsISY_E10value_typeET2_T3_PNSZ_IS14_E10value_typeET4_jRbjT5_S1A_jjP12ihipStream_tbEUljE_EEESV_SW_SX_S14_S18_S1A_T6_T7_T9_mT8_S1C_bDpT10_ENKUlT_T0_E_clISt17integral_constantIbLb1EES1P_EEDaS1K_S1L_EUlS1K_E_NS1_11comp_targetILNS1_3genE3ELNS1_11target_archE908ELNS1_3gpuE7ELNS1_3repE0EEENS1_30default_config_static_selectorELNS0_4arch9wavefront6targetE0EEEvSY_
    .private_segment_fixed_size: 0
    .sgpr_count:     0
    .sgpr_spill_count: 0
    .symbol:         _ZN7rocprim17ROCPRIM_400000_NS6detail17trampoline_kernelINS0_13select_configILj256ELj13ELNS0_17block_load_methodE3ELS4_3ELS4_3ELNS0_20block_scan_algorithmE0ELj4294967295EEENS1_25partition_config_selectorILNS1_17partition_subalgoE3EjNS0_10empty_typeEbEEZZNS1_14partition_implILS8_3ELb0ES6_jNS0_17counting_iteratorIjlEEPS9_SE_NS0_5tupleIJPjSE_EEENSF_IJSE_SE_EEES9_SG_JZNS1_25segmented_radix_sort_implINS0_14default_configELb1EPKsPsPKlPlN2at6native12_GLOBAL__N_18offset_tEEE10hipError_tPvRmT1_PNSt15iterator_traitsISY_E10value_typeET2_T3_PNSZ_IS14_E10value_typeET4_jRbjT5_S1A_jjP12ihipStream_tbEUljE_EEESV_SW_SX_S14_S18_S1A_T6_T7_T9_mT8_S1C_bDpT10_ENKUlT_T0_E_clISt17integral_constantIbLb1EES1P_EEDaS1K_S1L_EUlS1K_E_NS1_11comp_targetILNS1_3genE3ELNS1_11target_archE908ELNS1_3gpuE7ELNS1_3repE0EEENS1_30default_config_static_selectorELNS0_4arch9wavefront6targetE0EEEvSY_.kd
    .uniform_work_group_size: 1
    .uses_dynamic_stack: false
    .vgpr_count:     0
    .vgpr_spill_count: 0
    .wavefront_size: 32
  - .args:
      - .offset:         0
        .size:           152
        .value_kind:     by_value
    .group_segment_fixed_size: 0
    .kernarg_segment_align: 8
    .kernarg_segment_size: 152
    .language:       OpenCL C
    .language_version:
      - 2
      - 0
    .max_flat_workgroup_size: 256
    .name:           _ZN7rocprim17ROCPRIM_400000_NS6detail17trampoline_kernelINS0_13select_configILj256ELj13ELNS0_17block_load_methodE3ELS4_3ELS4_3ELNS0_20block_scan_algorithmE0ELj4294967295EEENS1_25partition_config_selectorILNS1_17partition_subalgoE3EjNS0_10empty_typeEbEEZZNS1_14partition_implILS8_3ELb0ES6_jNS0_17counting_iteratorIjlEEPS9_SE_NS0_5tupleIJPjSE_EEENSF_IJSE_SE_EEES9_SG_JZNS1_25segmented_radix_sort_implINS0_14default_configELb1EPKsPsPKlPlN2at6native12_GLOBAL__N_18offset_tEEE10hipError_tPvRmT1_PNSt15iterator_traitsISY_E10value_typeET2_T3_PNSZ_IS14_E10value_typeET4_jRbjT5_S1A_jjP12ihipStream_tbEUljE_EEESV_SW_SX_S14_S18_S1A_T6_T7_T9_mT8_S1C_bDpT10_ENKUlT_T0_E_clISt17integral_constantIbLb1EES1P_EEDaS1K_S1L_EUlS1K_E_NS1_11comp_targetILNS1_3genE2ELNS1_11target_archE906ELNS1_3gpuE6ELNS1_3repE0EEENS1_30default_config_static_selectorELNS0_4arch9wavefront6targetE0EEEvSY_
    .private_segment_fixed_size: 0
    .sgpr_count:     0
    .sgpr_spill_count: 0
    .symbol:         _ZN7rocprim17ROCPRIM_400000_NS6detail17trampoline_kernelINS0_13select_configILj256ELj13ELNS0_17block_load_methodE3ELS4_3ELS4_3ELNS0_20block_scan_algorithmE0ELj4294967295EEENS1_25partition_config_selectorILNS1_17partition_subalgoE3EjNS0_10empty_typeEbEEZZNS1_14partition_implILS8_3ELb0ES6_jNS0_17counting_iteratorIjlEEPS9_SE_NS0_5tupleIJPjSE_EEENSF_IJSE_SE_EEES9_SG_JZNS1_25segmented_radix_sort_implINS0_14default_configELb1EPKsPsPKlPlN2at6native12_GLOBAL__N_18offset_tEEE10hipError_tPvRmT1_PNSt15iterator_traitsISY_E10value_typeET2_T3_PNSZ_IS14_E10value_typeET4_jRbjT5_S1A_jjP12ihipStream_tbEUljE_EEESV_SW_SX_S14_S18_S1A_T6_T7_T9_mT8_S1C_bDpT10_ENKUlT_T0_E_clISt17integral_constantIbLb1EES1P_EEDaS1K_S1L_EUlS1K_E_NS1_11comp_targetILNS1_3genE2ELNS1_11target_archE906ELNS1_3gpuE6ELNS1_3repE0EEENS1_30default_config_static_selectorELNS0_4arch9wavefront6targetE0EEEvSY_.kd
    .uniform_work_group_size: 1
    .uses_dynamic_stack: false
    .vgpr_count:     0
    .vgpr_spill_count: 0
    .wavefront_size: 32
  - .args:
      - .offset:         0
        .size:           152
        .value_kind:     by_value
    .group_segment_fixed_size: 0
    .kernarg_segment_align: 8
    .kernarg_segment_size: 152
    .language:       OpenCL C
    .language_version:
      - 2
      - 0
    .max_flat_workgroup_size: 256
    .name:           _ZN7rocprim17ROCPRIM_400000_NS6detail17trampoline_kernelINS0_13select_configILj256ELj13ELNS0_17block_load_methodE3ELS4_3ELS4_3ELNS0_20block_scan_algorithmE0ELj4294967295EEENS1_25partition_config_selectorILNS1_17partition_subalgoE3EjNS0_10empty_typeEbEEZZNS1_14partition_implILS8_3ELb0ES6_jNS0_17counting_iteratorIjlEEPS9_SE_NS0_5tupleIJPjSE_EEENSF_IJSE_SE_EEES9_SG_JZNS1_25segmented_radix_sort_implINS0_14default_configELb1EPKsPsPKlPlN2at6native12_GLOBAL__N_18offset_tEEE10hipError_tPvRmT1_PNSt15iterator_traitsISY_E10value_typeET2_T3_PNSZ_IS14_E10value_typeET4_jRbjT5_S1A_jjP12ihipStream_tbEUljE_EEESV_SW_SX_S14_S18_S1A_T6_T7_T9_mT8_S1C_bDpT10_ENKUlT_T0_E_clISt17integral_constantIbLb1EES1P_EEDaS1K_S1L_EUlS1K_E_NS1_11comp_targetILNS1_3genE10ELNS1_11target_archE1200ELNS1_3gpuE4ELNS1_3repE0EEENS1_30default_config_static_selectorELNS0_4arch9wavefront6targetE0EEEvSY_
    .private_segment_fixed_size: 0
    .sgpr_count:     0
    .sgpr_spill_count: 0
    .symbol:         _ZN7rocprim17ROCPRIM_400000_NS6detail17trampoline_kernelINS0_13select_configILj256ELj13ELNS0_17block_load_methodE3ELS4_3ELS4_3ELNS0_20block_scan_algorithmE0ELj4294967295EEENS1_25partition_config_selectorILNS1_17partition_subalgoE3EjNS0_10empty_typeEbEEZZNS1_14partition_implILS8_3ELb0ES6_jNS0_17counting_iteratorIjlEEPS9_SE_NS0_5tupleIJPjSE_EEENSF_IJSE_SE_EEES9_SG_JZNS1_25segmented_radix_sort_implINS0_14default_configELb1EPKsPsPKlPlN2at6native12_GLOBAL__N_18offset_tEEE10hipError_tPvRmT1_PNSt15iterator_traitsISY_E10value_typeET2_T3_PNSZ_IS14_E10value_typeET4_jRbjT5_S1A_jjP12ihipStream_tbEUljE_EEESV_SW_SX_S14_S18_S1A_T6_T7_T9_mT8_S1C_bDpT10_ENKUlT_T0_E_clISt17integral_constantIbLb1EES1P_EEDaS1K_S1L_EUlS1K_E_NS1_11comp_targetILNS1_3genE10ELNS1_11target_archE1200ELNS1_3gpuE4ELNS1_3repE0EEENS1_30default_config_static_selectorELNS0_4arch9wavefront6targetE0EEEvSY_.kd
    .uniform_work_group_size: 1
    .uses_dynamic_stack: false
    .vgpr_count:     0
    .vgpr_spill_count: 0
    .wavefront_size: 32
  - .args:
      - .offset:         0
        .size:           152
        .value_kind:     by_value
    .group_segment_fixed_size: 0
    .kernarg_segment_align: 8
    .kernarg_segment_size: 152
    .language:       OpenCL C
    .language_version:
      - 2
      - 0
    .max_flat_workgroup_size: 256
    .name:           _ZN7rocprim17ROCPRIM_400000_NS6detail17trampoline_kernelINS0_13select_configILj256ELj13ELNS0_17block_load_methodE3ELS4_3ELS4_3ELNS0_20block_scan_algorithmE0ELj4294967295EEENS1_25partition_config_selectorILNS1_17partition_subalgoE3EjNS0_10empty_typeEbEEZZNS1_14partition_implILS8_3ELb0ES6_jNS0_17counting_iteratorIjlEEPS9_SE_NS0_5tupleIJPjSE_EEENSF_IJSE_SE_EEES9_SG_JZNS1_25segmented_radix_sort_implINS0_14default_configELb1EPKsPsPKlPlN2at6native12_GLOBAL__N_18offset_tEEE10hipError_tPvRmT1_PNSt15iterator_traitsISY_E10value_typeET2_T3_PNSZ_IS14_E10value_typeET4_jRbjT5_S1A_jjP12ihipStream_tbEUljE_EEESV_SW_SX_S14_S18_S1A_T6_T7_T9_mT8_S1C_bDpT10_ENKUlT_T0_E_clISt17integral_constantIbLb1EES1P_EEDaS1K_S1L_EUlS1K_E_NS1_11comp_targetILNS1_3genE9ELNS1_11target_archE1100ELNS1_3gpuE3ELNS1_3repE0EEENS1_30default_config_static_selectorELNS0_4arch9wavefront6targetE0EEEvSY_
    .private_segment_fixed_size: 0
    .sgpr_count:     0
    .sgpr_spill_count: 0
    .symbol:         _ZN7rocprim17ROCPRIM_400000_NS6detail17trampoline_kernelINS0_13select_configILj256ELj13ELNS0_17block_load_methodE3ELS4_3ELS4_3ELNS0_20block_scan_algorithmE0ELj4294967295EEENS1_25partition_config_selectorILNS1_17partition_subalgoE3EjNS0_10empty_typeEbEEZZNS1_14partition_implILS8_3ELb0ES6_jNS0_17counting_iteratorIjlEEPS9_SE_NS0_5tupleIJPjSE_EEENSF_IJSE_SE_EEES9_SG_JZNS1_25segmented_radix_sort_implINS0_14default_configELb1EPKsPsPKlPlN2at6native12_GLOBAL__N_18offset_tEEE10hipError_tPvRmT1_PNSt15iterator_traitsISY_E10value_typeET2_T3_PNSZ_IS14_E10value_typeET4_jRbjT5_S1A_jjP12ihipStream_tbEUljE_EEESV_SW_SX_S14_S18_S1A_T6_T7_T9_mT8_S1C_bDpT10_ENKUlT_T0_E_clISt17integral_constantIbLb1EES1P_EEDaS1K_S1L_EUlS1K_E_NS1_11comp_targetILNS1_3genE9ELNS1_11target_archE1100ELNS1_3gpuE3ELNS1_3repE0EEENS1_30default_config_static_selectorELNS0_4arch9wavefront6targetE0EEEvSY_.kd
    .uniform_work_group_size: 1
    .uses_dynamic_stack: false
    .vgpr_count:     0
    .vgpr_spill_count: 0
    .wavefront_size: 32
  - .args:
      - .offset:         0
        .size:           152
        .value_kind:     by_value
    .group_segment_fixed_size: 0
    .kernarg_segment_align: 8
    .kernarg_segment_size: 152
    .language:       OpenCL C
    .language_version:
      - 2
      - 0
    .max_flat_workgroup_size: 256
    .name:           _ZN7rocprim17ROCPRIM_400000_NS6detail17trampoline_kernelINS0_13select_configILj256ELj13ELNS0_17block_load_methodE3ELS4_3ELS4_3ELNS0_20block_scan_algorithmE0ELj4294967295EEENS1_25partition_config_selectorILNS1_17partition_subalgoE3EjNS0_10empty_typeEbEEZZNS1_14partition_implILS8_3ELb0ES6_jNS0_17counting_iteratorIjlEEPS9_SE_NS0_5tupleIJPjSE_EEENSF_IJSE_SE_EEES9_SG_JZNS1_25segmented_radix_sort_implINS0_14default_configELb1EPKsPsPKlPlN2at6native12_GLOBAL__N_18offset_tEEE10hipError_tPvRmT1_PNSt15iterator_traitsISY_E10value_typeET2_T3_PNSZ_IS14_E10value_typeET4_jRbjT5_S1A_jjP12ihipStream_tbEUljE_EEESV_SW_SX_S14_S18_S1A_T6_T7_T9_mT8_S1C_bDpT10_ENKUlT_T0_E_clISt17integral_constantIbLb1EES1P_EEDaS1K_S1L_EUlS1K_E_NS1_11comp_targetILNS1_3genE8ELNS1_11target_archE1030ELNS1_3gpuE2ELNS1_3repE0EEENS1_30default_config_static_selectorELNS0_4arch9wavefront6targetE0EEEvSY_
    .private_segment_fixed_size: 0
    .sgpr_count:     0
    .sgpr_spill_count: 0
    .symbol:         _ZN7rocprim17ROCPRIM_400000_NS6detail17trampoline_kernelINS0_13select_configILj256ELj13ELNS0_17block_load_methodE3ELS4_3ELS4_3ELNS0_20block_scan_algorithmE0ELj4294967295EEENS1_25partition_config_selectorILNS1_17partition_subalgoE3EjNS0_10empty_typeEbEEZZNS1_14partition_implILS8_3ELb0ES6_jNS0_17counting_iteratorIjlEEPS9_SE_NS0_5tupleIJPjSE_EEENSF_IJSE_SE_EEES9_SG_JZNS1_25segmented_radix_sort_implINS0_14default_configELb1EPKsPsPKlPlN2at6native12_GLOBAL__N_18offset_tEEE10hipError_tPvRmT1_PNSt15iterator_traitsISY_E10value_typeET2_T3_PNSZ_IS14_E10value_typeET4_jRbjT5_S1A_jjP12ihipStream_tbEUljE_EEESV_SW_SX_S14_S18_S1A_T6_T7_T9_mT8_S1C_bDpT10_ENKUlT_T0_E_clISt17integral_constantIbLb1EES1P_EEDaS1K_S1L_EUlS1K_E_NS1_11comp_targetILNS1_3genE8ELNS1_11target_archE1030ELNS1_3gpuE2ELNS1_3repE0EEENS1_30default_config_static_selectorELNS0_4arch9wavefront6targetE0EEEvSY_.kd
    .uniform_work_group_size: 1
    .uses_dynamic_stack: false
    .vgpr_count:     0
    .vgpr_spill_count: 0
    .wavefront_size: 32
  - .args:
      - .offset:         0
        .size:           144
        .value_kind:     by_value
    .group_segment_fixed_size: 0
    .kernarg_segment_align: 8
    .kernarg_segment_size: 144
    .language:       OpenCL C
    .language_version:
      - 2
      - 0
    .max_flat_workgroup_size: 256
    .name:           _ZN7rocprim17ROCPRIM_400000_NS6detail17trampoline_kernelINS0_13select_configILj256ELj13ELNS0_17block_load_methodE3ELS4_3ELS4_3ELNS0_20block_scan_algorithmE0ELj4294967295EEENS1_25partition_config_selectorILNS1_17partition_subalgoE3EjNS0_10empty_typeEbEEZZNS1_14partition_implILS8_3ELb0ES6_jNS0_17counting_iteratorIjlEEPS9_SE_NS0_5tupleIJPjSE_EEENSF_IJSE_SE_EEES9_SG_JZNS1_25segmented_radix_sort_implINS0_14default_configELb1EPKsPsPKlPlN2at6native12_GLOBAL__N_18offset_tEEE10hipError_tPvRmT1_PNSt15iterator_traitsISY_E10value_typeET2_T3_PNSZ_IS14_E10value_typeET4_jRbjT5_S1A_jjP12ihipStream_tbEUljE_EEESV_SW_SX_S14_S18_S1A_T6_T7_T9_mT8_S1C_bDpT10_ENKUlT_T0_E_clISt17integral_constantIbLb1EES1O_IbLb0EEEEDaS1K_S1L_EUlS1K_E_NS1_11comp_targetILNS1_3genE0ELNS1_11target_archE4294967295ELNS1_3gpuE0ELNS1_3repE0EEENS1_30default_config_static_selectorELNS0_4arch9wavefront6targetE0EEEvSY_
    .private_segment_fixed_size: 0
    .sgpr_count:     0
    .sgpr_spill_count: 0
    .symbol:         _ZN7rocprim17ROCPRIM_400000_NS6detail17trampoline_kernelINS0_13select_configILj256ELj13ELNS0_17block_load_methodE3ELS4_3ELS4_3ELNS0_20block_scan_algorithmE0ELj4294967295EEENS1_25partition_config_selectorILNS1_17partition_subalgoE3EjNS0_10empty_typeEbEEZZNS1_14partition_implILS8_3ELb0ES6_jNS0_17counting_iteratorIjlEEPS9_SE_NS0_5tupleIJPjSE_EEENSF_IJSE_SE_EEES9_SG_JZNS1_25segmented_radix_sort_implINS0_14default_configELb1EPKsPsPKlPlN2at6native12_GLOBAL__N_18offset_tEEE10hipError_tPvRmT1_PNSt15iterator_traitsISY_E10value_typeET2_T3_PNSZ_IS14_E10value_typeET4_jRbjT5_S1A_jjP12ihipStream_tbEUljE_EEESV_SW_SX_S14_S18_S1A_T6_T7_T9_mT8_S1C_bDpT10_ENKUlT_T0_E_clISt17integral_constantIbLb1EES1O_IbLb0EEEEDaS1K_S1L_EUlS1K_E_NS1_11comp_targetILNS1_3genE0ELNS1_11target_archE4294967295ELNS1_3gpuE0ELNS1_3repE0EEENS1_30default_config_static_selectorELNS0_4arch9wavefront6targetE0EEEvSY_.kd
    .uniform_work_group_size: 1
    .uses_dynamic_stack: false
    .vgpr_count:     0
    .vgpr_spill_count: 0
    .wavefront_size: 32
  - .args:
      - .offset:         0
        .size:           144
        .value_kind:     by_value
    .group_segment_fixed_size: 0
    .kernarg_segment_align: 8
    .kernarg_segment_size: 144
    .language:       OpenCL C
    .language_version:
      - 2
      - 0
    .max_flat_workgroup_size: 256
    .name:           _ZN7rocprim17ROCPRIM_400000_NS6detail17trampoline_kernelINS0_13select_configILj256ELj13ELNS0_17block_load_methodE3ELS4_3ELS4_3ELNS0_20block_scan_algorithmE0ELj4294967295EEENS1_25partition_config_selectorILNS1_17partition_subalgoE3EjNS0_10empty_typeEbEEZZNS1_14partition_implILS8_3ELb0ES6_jNS0_17counting_iteratorIjlEEPS9_SE_NS0_5tupleIJPjSE_EEENSF_IJSE_SE_EEES9_SG_JZNS1_25segmented_radix_sort_implINS0_14default_configELb1EPKsPsPKlPlN2at6native12_GLOBAL__N_18offset_tEEE10hipError_tPvRmT1_PNSt15iterator_traitsISY_E10value_typeET2_T3_PNSZ_IS14_E10value_typeET4_jRbjT5_S1A_jjP12ihipStream_tbEUljE_EEESV_SW_SX_S14_S18_S1A_T6_T7_T9_mT8_S1C_bDpT10_ENKUlT_T0_E_clISt17integral_constantIbLb1EES1O_IbLb0EEEEDaS1K_S1L_EUlS1K_E_NS1_11comp_targetILNS1_3genE5ELNS1_11target_archE942ELNS1_3gpuE9ELNS1_3repE0EEENS1_30default_config_static_selectorELNS0_4arch9wavefront6targetE0EEEvSY_
    .private_segment_fixed_size: 0
    .sgpr_count:     0
    .sgpr_spill_count: 0
    .symbol:         _ZN7rocprim17ROCPRIM_400000_NS6detail17trampoline_kernelINS0_13select_configILj256ELj13ELNS0_17block_load_methodE3ELS4_3ELS4_3ELNS0_20block_scan_algorithmE0ELj4294967295EEENS1_25partition_config_selectorILNS1_17partition_subalgoE3EjNS0_10empty_typeEbEEZZNS1_14partition_implILS8_3ELb0ES6_jNS0_17counting_iteratorIjlEEPS9_SE_NS0_5tupleIJPjSE_EEENSF_IJSE_SE_EEES9_SG_JZNS1_25segmented_radix_sort_implINS0_14default_configELb1EPKsPsPKlPlN2at6native12_GLOBAL__N_18offset_tEEE10hipError_tPvRmT1_PNSt15iterator_traitsISY_E10value_typeET2_T3_PNSZ_IS14_E10value_typeET4_jRbjT5_S1A_jjP12ihipStream_tbEUljE_EEESV_SW_SX_S14_S18_S1A_T6_T7_T9_mT8_S1C_bDpT10_ENKUlT_T0_E_clISt17integral_constantIbLb1EES1O_IbLb0EEEEDaS1K_S1L_EUlS1K_E_NS1_11comp_targetILNS1_3genE5ELNS1_11target_archE942ELNS1_3gpuE9ELNS1_3repE0EEENS1_30default_config_static_selectorELNS0_4arch9wavefront6targetE0EEEvSY_.kd
    .uniform_work_group_size: 1
    .uses_dynamic_stack: false
    .vgpr_count:     0
    .vgpr_spill_count: 0
    .wavefront_size: 32
  - .args:
      - .offset:         0
        .size:           144
        .value_kind:     by_value
    .group_segment_fixed_size: 0
    .kernarg_segment_align: 8
    .kernarg_segment_size: 144
    .language:       OpenCL C
    .language_version:
      - 2
      - 0
    .max_flat_workgroup_size: 256
    .name:           _ZN7rocprim17ROCPRIM_400000_NS6detail17trampoline_kernelINS0_13select_configILj256ELj13ELNS0_17block_load_methodE3ELS4_3ELS4_3ELNS0_20block_scan_algorithmE0ELj4294967295EEENS1_25partition_config_selectorILNS1_17partition_subalgoE3EjNS0_10empty_typeEbEEZZNS1_14partition_implILS8_3ELb0ES6_jNS0_17counting_iteratorIjlEEPS9_SE_NS0_5tupleIJPjSE_EEENSF_IJSE_SE_EEES9_SG_JZNS1_25segmented_radix_sort_implINS0_14default_configELb1EPKsPsPKlPlN2at6native12_GLOBAL__N_18offset_tEEE10hipError_tPvRmT1_PNSt15iterator_traitsISY_E10value_typeET2_T3_PNSZ_IS14_E10value_typeET4_jRbjT5_S1A_jjP12ihipStream_tbEUljE_EEESV_SW_SX_S14_S18_S1A_T6_T7_T9_mT8_S1C_bDpT10_ENKUlT_T0_E_clISt17integral_constantIbLb1EES1O_IbLb0EEEEDaS1K_S1L_EUlS1K_E_NS1_11comp_targetILNS1_3genE4ELNS1_11target_archE910ELNS1_3gpuE8ELNS1_3repE0EEENS1_30default_config_static_selectorELNS0_4arch9wavefront6targetE0EEEvSY_
    .private_segment_fixed_size: 0
    .sgpr_count:     0
    .sgpr_spill_count: 0
    .symbol:         _ZN7rocprim17ROCPRIM_400000_NS6detail17trampoline_kernelINS0_13select_configILj256ELj13ELNS0_17block_load_methodE3ELS4_3ELS4_3ELNS0_20block_scan_algorithmE0ELj4294967295EEENS1_25partition_config_selectorILNS1_17partition_subalgoE3EjNS0_10empty_typeEbEEZZNS1_14partition_implILS8_3ELb0ES6_jNS0_17counting_iteratorIjlEEPS9_SE_NS0_5tupleIJPjSE_EEENSF_IJSE_SE_EEES9_SG_JZNS1_25segmented_radix_sort_implINS0_14default_configELb1EPKsPsPKlPlN2at6native12_GLOBAL__N_18offset_tEEE10hipError_tPvRmT1_PNSt15iterator_traitsISY_E10value_typeET2_T3_PNSZ_IS14_E10value_typeET4_jRbjT5_S1A_jjP12ihipStream_tbEUljE_EEESV_SW_SX_S14_S18_S1A_T6_T7_T9_mT8_S1C_bDpT10_ENKUlT_T0_E_clISt17integral_constantIbLb1EES1O_IbLb0EEEEDaS1K_S1L_EUlS1K_E_NS1_11comp_targetILNS1_3genE4ELNS1_11target_archE910ELNS1_3gpuE8ELNS1_3repE0EEENS1_30default_config_static_selectorELNS0_4arch9wavefront6targetE0EEEvSY_.kd
    .uniform_work_group_size: 1
    .uses_dynamic_stack: false
    .vgpr_count:     0
    .vgpr_spill_count: 0
    .wavefront_size: 32
  - .args:
      - .offset:         0
        .size:           144
        .value_kind:     by_value
    .group_segment_fixed_size: 0
    .kernarg_segment_align: 8
    .kernarg_segment_size: 144
    .language:       OpenCL C
    .language_version:
      - 2
      - 0
    .max_flat_workgroup_size: 256
    .name:           _ZN7rocprim17ROCPRIM_400000_NS6detail17trampoline_kernelINS0_13select_configILj256ELj13ELNS0_17block_load_methodE3ELS4_3ELS4_3ELNS0_20block_scan_algorithmE0ELj4294967295EEENS1_25partition_config_selectorILNS1_17partition_subalgoE3EjNS0_10empty_typeEbEEZZNS1_14partition_implILS8_3ELb0ES6_jNS0_17counting_iteratorIjlEEPS9_SE_NS0_5tupleIJPjSE_EEENSF_IJSE_SE_EEES9_SG_JZNS1_25segmented_radix_sort_implINS0_14default_configELb1EPKsPsPKlPlN2at6native12_GLOBAL__N_18offset_tEEE10hipError_tPvRmT1_PNSt15iterator_traitsISY_E10value_typeET2_T3_PNSZ_IS14_E10value_typeET4_jRbjT5_S1A_jjP12ihipStream_tbEUljE_EEESV_SW_SX_S14_S18_S1A_T6_T7_T9_mT8_S1C_bDpT10_ENKUlT_T0_E_clISt17integral_constantIbLb1EES1O_IbLb0EEEEDaS1K_S1L_EUlS1K_E_NS1_11comp_targetILNS1_3genE3ELNS1_11target_archE908ELNS1_3gpuE7ELNS1_3repE0EEENS1_30default_config_static_selectorELNS0_4arch9wavefront6targetE0EEEvSY_
    .private_segment_fixed_size: 0
    .sgpr_count:     0
    .sgpr_spill_count: 0
    .symbol:         _ZN7rocprim17ROCPRIM_400000_NS6detail17trampoline_kernelINS0_13select_configILj256ELj13ELNS0_17block_load_methodE3ELS4_3ELS4_3ELNS0_20block_scan_algorithmE0ELj4294967295EEENS1_25partition_config_selectorILNS1_17partition_subalgoE3EjNS0_10empty_typeEbEEZZNS1_14partition_implILS8_3ELb0ES6_jNS0_17counting_iteratorIjlEEPS9_SE_NS0_5tupleIJPjSE_EEENSF_IJSE_SE_EEES9_SG_JZNS1_25segmented_radix_sort_implINS0_14default_configELb1EPKsPsPKlPlN2at6native12_GLOBAL__N_18offset_tEEE10hipError_tPvRmT1_PNSt15iterator_traitsISY_E10value_typeET2_T3_PNSZ_IS14_E10value_typeET4_jRbjT5_S1A_jjP12ihipStream_tbEUljE_EEESV_SW_SX_S14_S18_S1A_T6_T7_T9_mT8_S1C_bDpT10_ENKUlT_T0_E_clISt17integral_constantIbLb1EES1O_IbLb0EEEEDaS1K_S1L_EUlS1K_E_NS1_11comp_targetILNS1_3genE3ELNS1_11target_archE908ELNS1_3gpuE7ELNS1_3repE0EEENS1_30default_config_static_selectorELNS0_4arch9wavefront6targetE0EEEvSY_.kd
    .uniform_work_group_size: 1
    .uses_dynamic_stack: false
    .vgpr_count:     0
    .vgpr_spill_count: 0
    .wavefront_size: 32
  - .args:
      - .offset:         0
        .size:           144
        .value_kind:     by_value
    .group_segment_fixed_size: 0
    .kernarg_segment_align: 8
    .kernarg_segment_size: 144
    .language:       OpenCL C
    .language_version:
      - 2
      - 0
    .max_flat_workgroup_size: 256
    .name:           _ZN7rocprim17ROCPRIM_400000_NS6detail17trampoline_kernelINS0_13select_configILj256ELj13ELNS0_17block_load_methodE3ELS4_3ELS4_3ELNS0_20block_scan_algorithmE0ELj4294967295EEENS1_25partition_config_selectorILNS1_17partition_subalgoE3EjNS0_10empty_typeEbEEZZNS1_14partition_implILS8_3ELb0ES6_jNS0_17counting_iteratorIjlEEPS9_SE_NS0_5tupleIJPjSE_EEENSF_IJSE_SE_EEES9_SG_JZNS1_25segmented_radix_sort_implINS0_14default_configELb1EPKsPsPKlPlN2at6native12_GLOBAL__N_18offset_tEEE10hipError_tPvRmT1_PNSt15iterator_traitsISY_E10value_typeET2_T3_PNSZ_IS14_E10value_typeET4_jRbjT5_S1A_jjP12ihipStream_tbEUljE_EEESV_SW_SX_S14_S18_S1A_T6_T7_T9_mT8_S1C_bDpT10_ENKUlT_T0_E_clISt17integral_constantIbLb1EES1O_IbLb0EEEEDaS1K_S1L_EUlS1K_E_NS1_11comp_targetILNS1_3genE2ELNS1_11target_archE906ELNS1_3gpuE6ELNS1_3repE0EEENS1_30default_config_static_selectorELNS0_4arch9wavefront6targetE0EEEvSY_
    .private_segment_fixed_size: 0
    .sgpr_count:     0
    .sgpr_spill_count: 0
    .symbol:         _ZN7rocprim17ROCPRIM_400000_NS6detail17trampoline_kernelINS0_13select_configILj256ELj13ELNS0_17block_load_methodE3ELS4_3ELS4_3ELNS0_20block_scan_algorithmE0ELj4294967295EEENS1_25partition_config_selectorILNS1_17partition_subalgoE3EjNS0_10empty_typeEbEEZZNS1_14partition_implILS8_3ELb0ES6_jNS0_17counting_iteratorIjlEEPS9_SE_NS0_5tupleIJPjSE_EEENSF_IJSE_SE_EEES9_SG_JZNS1_25segmented_radix_sort_implINS0_14default_configELb1EPKsPsPKlPlN2at6native12_GLOBAL__N_18offset_tEEE10hipError_tPvRmT1_PNSt15iterator_traitsISY_E10value_typeET2_T3_PNSZ_IS14_E10value_typeET4_jRbjT5_S1A_jjP12ihipStream_tbEUljE_EEESV_SW_SX_S14_S18_S1A_T6_T7_T9_mT8_S1C_bDpT10_ENKUlT_T0_E_clISt17integral_constantIbLb1EES1O_IbLb0EEEEDaS1K_S1L_EUlS1K_E_NS1_11comp_targetILNS1_3genE2ELNS1_11target_archE906ELNS1_3gpuE6ELNS1_3repE0EEENS1_30default_config_static_selectorELNS0_4arch9wavefront6targetE0EEEvSY_.kd
    .uniform_work_group_size: 1
    .uses_dynamic_stack: false
    .vgpr_count:     0
    .vgpr_spill_count: 0
    .wavefront_size: 32
  - .args:
      - .offset:         0
        .size:           144
        .value_kind:     by_value
    .group_segment_fixed_size: 0
    .kernarg_segment_align: 8
    .kernarg_segment_size: 144
    .language:       OpenCL C
    .language_version:
      - 2
      - 0
    .max_flat_workgroup_size: 256
    .name:           _ZN7rocprim17ROCPRIM_400000_NS6detail17trampoline_kernelINS0_13select_configILj256ELj13ELNS0_17block_load_methodE3ELS4_3ELS4_3ELNS0_20block_scan_algorithmE0ELj4294967295EEENS1_25partition_config_selectorILNS1_17partition_subalgoE3EjNS0_10empty_typeEbEEZZNS1_14partition_implILS8_3ELb0ES6_jNS0_17counting_iteratorIjlEEPS9_SE_NS0_5tupleIJPjSE_EEENSF_IJSE_SE_EEES9_SG_JZNS1_25segmented_radix_sort_implINS0_14default_configELb1EPKsPsPKlPlN2at6native12_GLOBAL__N_18offset_tEEE10hipError_tPvRmT1_PNSt15iterator_traitsISY_E10value_typeET2_T3_PNSZ_IS14_E10value_typeET4_jRbjT5_S1A_jjP12ihipStream_tbEUljE_EEESV_SW_SX_S14_S18_S1A_T6_T7_T9_mT8_S1C_bDpT10_ENKUlT_T0_E_clISt17integral_constantIbLb1EES1O_IbLb0EEEEDaS1K_S1L_EUlS1K_E_NS1_11comp_targetILNS1_3genE10ELNS1_11target_archE1200ELNS1_3gpuE4ELNS1_3repE0EEENS1_30default_config_static_selectorELNS0_4arch9wavefront6targetE0EEEvSY_
    .private_segment_fixed_size: 0
    .sgpr_count:     0
    .sgpr_spill_count: 0
    .symbol:         _ZN7rocprim17ROCPRIM_400000_NS6detail17trampoline_kernelINS0_13select_configILj256ELj13ELNS0_17block_load_methodE3ELS4_3ELS4_3ELNS0_20block_scan_algorithmE0ELj4294967295EEENS1_25partition_config_selectorILNS1_17partition_subalgoE3EjNS0_10empty_typeEbEEZZNS1_14partition_implILS8_3ELb0ES6_jNS0_17counting_iteratorIjlEEPS9_SE_NS0_5tupleIJPjSE_EEENSF_IJSE_SE_EEES9_SG_JZNS1_25segmented_radix_sort_implINS0_14default_configELb1EPKsPsPKlPlN2at6native12_GLOBAL__N_18offset_tEEE10hipError_tPvRmT1_PNSt15iterator_traitsISY_E10value_typeET2_T3_PNSZ_IS14_E10value_typeET4_jRbjT5_S1A_jjP12ihipStream_tbEUljE_EEESV_SW_SX_S14_S18_S1A_T6_T7_T9_mT8_S1C_bDpT10_ENKUlT_T0_E_clISt17integral_constantIbLb1EES1O_IbLb0EEEEDaS1K_S1L_EUlS1K_E_NS1_11comp_targetILNS1_3genE10ELNS1_11target_archE1200ELNS1_3gpuE4ELNS1_3repE0EEENS1_30default_config_static_selectorELNS0_4arch9wavefront6targetE0EEEvSY_.kd
    .uniform_work_group_size: 1
    .uses_dynamic_stack: false
    .vgpr_count:     0
    .vgpr_spill_count: 0
    .wavefront_size: 32
  - .args:
      - .offset:         0
        .size:           144
        .value_kind:     by_value
    .group_segment_fixed_size: 0
    .kernarg_segment_align: 8
    .kernarg_segment_size: 144
    .language:       OpenCL C
    .language_version:
      - 2
      - 0
    .max_flat_workgroup_size: 256
    .name:           _ZN7rocprim17ROCPRIM_400000_NS6detail17trampoline_kernelINS0_13select_configILj256ELj13ELNS0_17block_load_methodE3ELS4_3ELS4_3ELNS0_20block_scan_algorithmE0ELj4294967295EEENS1_25partition_config_selectorILNS1_17partition_subalgoE3EjNS0_10empty_typeEbEEZZNS1_14partition_implILS8_3ELb0ES6_jNS0_17counting_iteratorIjlEEPS9_SE_NS0_5tupleIJPjSE_EEENSF_IJSE_SE_EEES9_SG_JZNS1_25segmented_radix_sort_implINS0_14default_configELb1EPKsPsPKlPlN2at6native12_GLOBAL__N_18offset_tEEE10hipError_tPvRmT1_PNSt15iterator_traitsISY_E10value_typeET2_T3_PNSZ_IS14_E10value_typeET4_jRbjT5_S1A_jjP12ihipStream_tbEUljE_EEESV_SW_SX_S14_S18_S1A_T6_T7_T9_mT8_S1C_bDpT10_ENKUlT_T0_E_clISt17integral_constantIbLb1EES1O_IbLb0EEEEDaS1K_S1L_EUlS1K_E_NS1_11comp_targetILNS1_3genE9ELNS1_11target_archE1100ELNS1_3gpuE3ELNS1_3repE0EEENS1_30default_config_static_selectorELNS0_4arch9wavefront6targetE0EEEvSY_
    .private_segment_fixed_size: 0
    .sgpr_count:     0
    .sgpr_spill_count: 0
    .symbol:         _ZN7rocprim17ROCPRIM_400000_NS6detail17trampoline_kernelINS0_13select_configILj256ELj13ELNS0_17block_load_methodE3ELS4_3ELS4_3ELNS0_20block_scan_algorithmE0ELj4294967295EEENS1_25partition_config_selectorILNS1_17partition_subalgoE3EjNS0_10empty_typeEbEEZZNS1_14partition_implILS8_3ELb0ES6_jNS0_17counting_iteratorIjlEEPS9_SE_NS0_5tupleIJPjSE_EEENSF_IJSE_SE_EEES9_SG_JZNS1_25segmented_radix_sort_implINS0_14default_configELb1EPKsPsPKlPlN2at6native12_GLOBAL__N_18offset_tEEE10hipError_tPvRmT1_PNSt15iterator_traitsISY_E10value_typeET2_T3_PNSZ_IS14_E10value_typeET4_jRbjT5_S1A_jjP12ihipStream_tbEUljE_EEESV_SW_SX_S14_S18_S1A_T6_T7_T9_mT8_S1C_bDpT10_ENKUlT_T0_E_clISt17integral_constantIbLb1EES1O_IbLb0EEEEDaS1K_S1L_EUlS1K_E_NS1_11comp_targetILNS1_3genE9ELNS1_11target_archE1100ELNS1_3gpuE3ELNS1_3repE0EEENS1_30default_config_static_selectorELNS0_4arch9wavefront6targetE0EEEvSY_.kd
    .uniform_work_group_size: 1
    .uses_dynamic_stack: false
    .vgpr_count:     0
    .vgpr_spill_count: 0
    .wavefront_size: 32
  - .args:
      - .offset:         0
        .size:           144
        .value_kind:     by_value
    .group_segment_fixed_size: 0
    .kernarg_segment_align: 8
    .kernarg_segment_size: 144
    .language:       OpenCL C
    .language_version:
      - 2
      - 0
    .max_flat_workgroup_size: 256
    .name:           _ZN7rocprim17ROCPRIM_400000_NS6detail17trampoline_kernelINS0_13select_configILj256ELj13ELNS0_17block_load_methodE3ELS4_3ELS4_3ELNS0_20block_scan_algorithmE0ELj4294967295EEENS1_25partition_config_selectorILNS1_17partition_subalgoE3EjNS0_10empty_typeEbEEZZNS1_14partition_implILS8_3ELb0ES6_jNS0_17counting_iteratorIjlEEPS9_SE_NS0_5tupleIJPjSE_EEENSF_IJSE_SE_EEES9_SG_JZNS1_25segmented_radix_sort_implINS0_14default_configELb1EPKsPsPKlPlN2at6native12_GLOBAL__N_18offset_tEEE10hipError_tPvRmT1_PNSt15iterator_traitsISY_E10value_typeET2_T3_PNSZ_IS14_E10value_typeET4_jRbjT5_S1A_jjP12ihipStream_tbEUljE_EEESV_SW_SX_S14_S18_S1A_T6_T7_T9_mT8_S1C_bDpT10_ENKUlT_T0_E_clISt17integral_constantIbLb1EES1O_IbLb0EEEEDaS1K_S1L_EUlS1K_E_NS1_11comp_targetILNS1_3genE8ELNS1_11target_archE1030ELNS1_3gpuE2ELNS1_3repE0EEENS1_30default_config_static_selectorELNS0_4arch9wavefront6targetE0EEEvSY_
    .private_segment_fixed_size: 0
    .sgpr_count:     0
    .sgpr_spill_count: 0
    .symbol:         _ZN7rocprim17ROCPRIM_400000_NS6detail17trampoline_kernelINS0_13select_configILj256ELj13ELNS0_17block_load_methodE3ELS4_3ELS4_3ELNS0_20block_scan_algorithmE0ELj4294967295EEENS1_25partition_config_selectorILNS1_17partition_subalgoE3EjNS0_10empty_typeEbEEZZNS1_14partition_implILS8_3ELb0ES6_jNS0_17counting_iteratorIjlEEPS9_SE_NS0_5tupleIJPjSE_EEENSF_IJSE_SE_EEES9_SG_JZNS1_25segmented_radix_sort_implINS0_14default_configELb1EPKsPsPKlPlN2at6native12_GLOBAL__N_18offset_tEEE10hipError_tPvRmT1_PNSt15iterator_traitsISY_E10value_typeET2_T3_PNSZ_IS14_E10value_typeET4_jRbjT5_S1A_jjP12ihipStream_tbEUljE_EEESV_SW_SX_S14_S18_S1A_T6_T7_T9_mT8_S1C_bDpT10_ENKUlT_T0_E_clISt17integral_constantIbLb1EES1O_IbLb0EEEEDaS1K_S1L_EUlS1K_E_NS1_11comp_targetILNS1_3genE8ELNS1_11target_archE1030ELNS1_3gpuE2ELNS1_3repE0EEENS1_30default_config_static_selectorELNS0_4arch9wavefront6targetE0EEEvSY_.kd
    .uniform_work_group_size: 1
    .uses_dynamic_stack: false
    .vgpr_count:     0
    .vgpr_spill_count: 0
    .wavefront_size: 32
  - .args:
      - .offset:         0
        .size:           152
        .value_kind:     by_value
    .group_segment_fixed_size: 13320
    .kernarg_segment_align: 8
    .kernarg_segment_size: 152
    .language:       OpenCL C
    .language_version:
      - 2
      - 0
    .max_flat_workgroup_size: 256
    .name:           _ZN7rocprim17ROCPRIM_400000_NS6detail17trampoline_kernelINS0_13select_configILj256ELj13ELNS0_17block_load_methodE3ELS4_3ELS4_3ELNS0_20block_scan_algorithmE0ELj4294967295EEENS1_25partition_config_selectorILNS1_17partition_subalgoE3EjNS0_10empty_typeEbEEZZNS1_14partition_implILS8_3ELb0ES6_jNS0_17counting_iteratorIjlEEPS9_SE_NS0_5tupleIJPjSE_EEENSF_IJSE_SE_EEES9_SG_JZNS1_25segmented_radix_sort_implINS0_14default_configELb1EPKsPsPKlPlN2at6native12_GLOBAL__N_18offset_tEEE10hipError_tPvRmT1_PNSt15iterator_traitsISY_E10value_typeET2_T3_PNSZ_IS14_E10value_typeET4_jRbjT5_S1A_jjP12ihipStream_tbEUljE_EEESV_SW_SX_S14_S18_S1A_T6_T7_T9_mT8_S1C_bDpT10_ENKUlT_T0_E_clISt17integral_constantIbLb0EES1O_IbLb1EEEEDaS1K_S1L_EUlS1K_E_NS1_11comp_targetILNS1_3genE0ELNS1_11target_archE4294967295ELNS1_3gpuE0ELNS1_3repE0EEENS1_30default_config_static_selectorELNS0_4arch9wavefront6targetE0EEEvSY_
    .private_segment_fixed_size: 0
    .sgpr_count:     26
    .sgpr_spill_count: 0
    .symbol:         _ZN7rocprim17ROCPRIM_400000_NS6detail17trampoline_kernelINS0_13select_configILj256ELj13ELNS0_17block_load_methodE3ELS4_3ELS4_3ELNS0_20block_scan_algorithmE0ELj4294967295EEENS1_25partition_config_selectorILNS1_17partition_subalgoE3EjNS0_10empty_typeEbEEZZNS1_14partition_implILS8_3ELb0ES6_jNS0_17counting_iteratorIjlEEPS9_SE_NS0_5tupleIJPjSE_EEENSF_IJSE_SE_EEES9_SG_JZNS1_25segmented_radix_sort_implINS0_14default_configELb1EPKsPsPKlPlN2at6native12_GLOBAL__N_18offset_tEEE10hipError_tPvRmT1_PNSt15iterator_traitsISY_E10value_typeET2_T3_PNSZ_IS14_E10value_typeET4_jRbjT5_S1A_jjP12ihipStream_tbEUljE_EEESV_SW_SX_S14_S18_S1A_T6_T7_T9_mT8_S1C_bDpT10_ENKUlT_T0_E_clISt17integral_constantIbLb0EES1O_IbLb1EEEEDaS1K_S1L_EUlS1K_E_NS1_11comp_targetILNS1_3genE0ELNS1_11target_archE4294967295ELNS1_3gpuE0ELNS1_3repE0EEENS1_30default_config_static_selectorELNS0_4arch9wavefront6targetE0EEEvSY_.kd
    .uniform_work_group_size: 1
    .uses_dynamic_stack: false
    .vgpr_count:     72
    .vgpr_spill_count: 0
    .wavefront_size: 32
  - .args:
      - .offset:         0
        .size:           152
        .value_kind:     by_value
    .group_segment_fixed_size: 0
    .kernarg_segment_align: 8
    .kernarg_segment_size: 152
    .language:       OpenCL C
    .language_version:
      - 2
      - 0
    .max_flat_workgroup_size: 256
    .name:           _ZN7rocprim17ROCPRIM_400000_NS6detail17trampoline_kernelINS0_13select_configILj256ELj13ELNS0_17block_load_methodE3ELS4_3ELS4_3ELNS0_20block_scan_algorithmE0ELj4294967295EEENS1_25partition_config_selectorILNS1_17partition_subalgoE3EjNS0_10empty_typeEbEEZZNS1_14partition_implILS8_3ELb0ES6_jNS0_17counting_iteratorIjlEEPS9_SE_NS0_5tupleIJPjSE_EEENSF_IJSE_SE_EEES9_SG_JZNS1_25segmented_radix_sort_implINS0_14default_configELb1EPKsPsPKlPlN2at6native12_GLOBAL__N_18offset_tEEE10hipError_tPvRmT1_PNSt15iterator_traitsISY_E10value_typeET2_T3_PNSZ_IS14_E10value_typeET4_jRbjT5_S1A_jjP12ihipStream_tbEUljE_EEESV_SW_SX_S14_S18_S1A_T6_T7_T9_mT8_S1C_bDpT10_ENKUlT_T0_E_clISt17integral_constantIbLb0EES1O_IbLb1EEEEDaS1K_S1L_EUlS1K_E_NS1_11comp_targetILNS1_3genE5ELNS1_11target_archE942ELNS1_3gpuE9ELNS1_3repE0EEENS1_30default_config_static_selectorELNS0_4arch9wavefront6targetE0EEEvSY_
    .private_segment_fixed_size: 0
    .sgpr_count:     0
    .sgpr_spill_count: 0
    .symbol:         _ZN7rocprim17ROCPRIM_400000_NS6detail17trampoline_kernelINS0_13select_configILj256ELj13ELNS0_17block_load_methodE3ELS4_3ELS4_3ELNS0_20block_scan_algorithmE0ELj4294967295EEENS1_25partition_config_selectorILNS1_17partition_subalgoE3EjNS0_10empty_typeEbEEZZNS1_14partition_implILS8_3ELb0ES6_jNS0_17counting_iteratorIjlEEPS9_SE_NS0_5tupleIJPjSE_EEENSF_IJSE_SE_EEES9_SG_JZNS1_25segmented_radix_sort_implINS0_14default_configELb1EPKsPsPKlPlN2at6native12_GLOBAL__N_18offset_tEEE10hipError_tPvRmT1_PNSt15iterator_traitsISY_E10value_typeET2_T3_PNSZ_IS14_E10value_typeET4_jRbjT5_S1A_jjP12ihipStream_tbEUljE_EEESV_SW_SX_S14_S18_S1A_T6_T7_T9_mT8_S1C_bDpT10_ENKUlT_T0_E_clISt17integral_constantIbLb0EES1O_IbLb1EEEEDaS1K_S1L_EUlS1K_E_NS1_11comp_targetILNS1_3genE5ELNS1_11target_archE942ELNS1_3gpuE9ELNS1_3repE0EEENS1_30default_config_static_selectorELNS0_4arch9wavefront6targetE0EEEvSY_.kd
    .uniform_work_group_size: 1
    .uses_dynamic_stack: false
    .vgpr_count:     0
    .vgpr_spill_count: 0
    .wavefront_size: 32
  - .args:
      - .offset:         0
        .size:           152
        .value_kind:     by_value
    .group_segment_fixed_size: 0
    .kernarg_segment_align: 8
    .kernarg_segment_size: 152
    .language:       OpenCL C
    .language_version:
      - 2
      - 0
    .max_flat_workgroup_size: 256
    .name:           _ZN7rocprim17ROCPRIM_400000_NS6detail17trampoline_kernelINS0_13select_configILj256ELj13ELNS0_17block_load_methodE3ELS4_3ELS4_3ELNS0_20block_scan_algorithmE0ELj4294967295EEENS1_25partition_config_selectorILNS1_17partition_subalgoE3EjNS0_10empty_typeEbEEZZNS1_14partition_implILS8_3ELb0ES6_jNS0_17counting_iteratorIjlEEPS9_SE_NS0_5tupleIJPjSE_EEENSF_IJSE_SE_EEES9_SG_JZNS1_25segmented_radix_sort_implINS0_14default_configELb1EPKsPsPKlPlN2at6native12_GLOBAL__N_18offset_tEEE10hipError_tPvRmT1_PNSt15iterator_traitsISY_E10value_typeET2_T3_PNSZ_IS14_E10value_typeET4_jRbjT5_S1A_jjP12ihipStream_tbEUljE_EEESV_SW_SX_S14_S18_S1A_T6_T7_T9_mT8_S1C_bDpT10_ENKUlT_T0_E_clISt17integral_constantIbLb0EES1O_IbLb1EEEEDaS1K_S1L_EUlS1K_E_NS1_11comp_targetILNS1_3genE4ELNS1_11target_archE910ELNS1_3gpuE8ELNS1_3repE0EEENS1_30default_config_static_selectorELNS0_4arch9wavefront6targetE0EEEvSY_
    .private_segment_fixed_size: 0
    .sgpr_count:     0
    .sgpr_spill_count: 0
    .symbol:         _ZN7rocprim17ROCPRIM_400000_NS6detail17trampoline_kernelINS0_13select_configILj256ELj13ELNS0_17block_load_methodE3ELS4_3ELS4_3ELNS0_20block_scan_algorithmE0ELj4294967295EEENS1_25partition_config_selectorILNS1_17partition_subalgoE3EjNS0_10empty_typeEbEEZZNS1_14partition_implILS8_3ELb0ES6_jNS0_17counting_iteratorIjlEEPS9_SE_NS0_5tupleIJPjSE_EEENSF_IJSE_SE_EEES9_SG_JZNS1_25segmented_radix_sort_implINS0_14default_configELb1EPKsPsPKlPlN2at6native12_GLOBAL__N_18offset_tEEE10hipError_tPvRmT1_PNSt15iterator_traitsISY_E10value_typeET2_T3_PNSZ_IS14_E10value_typeET4_jRbjT5_S1A_jjP12ihipStream_tbEUljE_EEESV_SW_SX_S14_S18_S1A_T6_T7_T9_mT8_S1C_bDpT10_ENKUlT_T0_E_clISt17integral_constantIbLb0EES1O_IbLb1EEEEDaS1K_S1L_EUlS1K_E_NS1_11comp_targetILNS1_3genE4ELNS1_11target_archE910ELNS1_3gpuE8ELNS1_3repE0EEENS1_30default_config_static_selectorELNS0_4arch9wavefront6targetE0EEEvSY_.kd
    .uniform_work_group_size: 1
    .uses_dynamic_stack: false
    .vgpr_count:     0
    .vgpr_spill_count: 0
    .wavefront_size: 32
  - .args:
      - .offset:         0
        .size:           152
        .value_kind:     by_value
    .group_segment_fixed_size: 0
    .kernarg_segment_align: 8
    .kernarg_segment_size: 152
    .language:       OpenCL C
    .language_version:
      - 2
      - 0
    .max_flat_workgroup_size: 256
    .name:           _ZN7rocprim17ROCPRIM_400000_NS6detail17trampoline_kernelINS0_13select_configILj256ELj13ELNS0_17block_load_methodE3ELS4_3ELS4_3ELNS0_20block_scan_algorithmE0ELj4294967295EEENS1_25partition_config_selectorILNS1_17partition_subalgoE3EjNS0_10empty_typeEbEEZZNS1_14partition_implILS8_3ELb0ES6_jNS0_17counting_iteratorIjlEEPS9_SE_NS0_5tupleIJPjSE_EEENSF_IJSE_SE_EEES9_SG_JZNS1_25segmented_radix_sort_implINS0_14default_configELb1EPKsPsPKlPlN2at6native12_GLOBAL__N_18offset_tEEE10hipError_tPvRmT1_PNSt15iterator_traitsISY_E10value_typeET2_T3_PNSZ_IS14_E10value_typeET4_jRbjT5_S1A_jjP12ihipStream_tbEUljE_EEESV_SW_SX_S14_S18_S1A_T6_T7_T9_mT8_S1C_bDpT10_ENKUlT_T0_E_clISt17integral_constantIbLb0EES1O_IbLb1EEEEDaS1K_S1L_EUlS1K_E_NS1_11comp_targetILNS1_3genE3ELNS1_11target_archE908ELNS1_3gpuE7ELNS1_3repE0EEENS1_30default_config_static_selectorELNS0_4arch9wavefront6targetE0EEEvSY_
    .private_segment_fixed_size: 0
    .sgpr_count:     0
    .sgpr_spill_count: 0
    .symbol:         _ZN7rocprim17ROCPRIM_400000_NS6detail17trampoline_kernelINS0_13select_configILj256ELj13ELNS0_17block_load_methodE3ELS4_3ELS4_3ELNS0_20block_scan_algorithmE0ELj4294967295EEENS1_25partition_config_selectorILNS1_17partition_subalgoE3EjNS0_10empty_typeEbEEZZNS1_14partition_implILS8_3ELb0ES6_jNS0_17counting_iteratorIjlEEPS9_SE_NS0_5tupleIJPjSE_EEENSF_IJSE_SE_EEES9_SG_JZNS1_25segmented_radix_sort_implINS0_14default_configELb1EPKsPsPKlPlN2at6native12_GLOBAL__N_18offset_tEEE10hipError_tPvRmT1_PNSt15iterator_traitsISY_E10value_typeET2_T3_PNSZ_IS14_E10value_typeET4_jRbjT5_S1A_jjP12ihipStream_tbEUljE_EEESV_SW_SX_S14_S18_S1A_T6_T7_T9_mT8_S1C_bDpT10_ENKUlT_T0_E_clISt17integral_constantIbLb0EES1O_IbLb1EEEEDaS1K_S1L_EUlS1K_E_NS1_11comp_targetILNS1_3genE3ELNS1_11target_archE908ELNS1_3gpuE7ELNS1_3repE0EEENS1_30default_config_static_selectorELNS0_4arch9wavefront6targetE0EEEvSY_.kd
    .uniform_work_group_size: 1
    .uses_dynamic_stack: false
    .vgpr_count:     0
    .vgpr_spill_count: 0
    .wavefront_size: 32
  - .args:
      - .offset:         0
        .size:           152
        .value_kind:     by_value
    .group_segment_fixed_size: 0
    .kernarg_segment_align: 8
    .kernarg_segment_size: 152
    .language:       OpenCL C
    .language_version:
      - 2
      - 0
    .max_flat_workgroup_size: 256
    .name:           _ZN7rocprim17ROCPRIM_400000_NS6detail17trampoline_kernelINS0_13select_configILj256ELj13ELNS0_17block_load_methodE3ELS4_3ELS4_3ELNS0_20block_scan_algorithmE0ELj4294967295EEENS1_25partition_config_selectorILNS1_17partition_subalgoE3EjNS0_10empty_typeEbEEZZNS1_14partition_implILS8_3ELb0ES6_jNS0_17counting_iteratorIjlEEPS9_SE_NS0_5tupleIJPjSE_EEENSF_IJSE_SE_EEES9_SG_JZNS1_25segmented_radix_sort_implINS0_14default_configELb1EPKsPsPKlPlN2at6native12_GLOBAL__N_18offset_tEEE10hipError_tPvRmT1_PNSt15iterator_traitsISY_E10value_typeET2_T3_PNSZ_IS14_E10value_typeET4_jRbjT5_S1A_jjP12ihipStream_tbEUljE_EEESV_SW_SX_S14_S18_S1A_T6_T7_T9_mT8_S1C_bDpT10_ENKUlT_T0_E_clISt17integral_constantIbLb0EES1O_IbLb1EEEEDaS1K_S1L_EUlS1K_E_NS1_11comp_targetILNS1_3genE2ELNS1_11target_archE906ELNS1_3gpuE6ELNS1_3repE0EEENS1_30default_config_static_selectorELNS0_4arch9wavefront6targetE0EEEvSY_
    .private_segment_fixed_size: 0
    .sgpr_count:     0
    .sgpr_spill_count: 0
    .symbol:         _ZN7rocprim17ROCPRIM_400000_NS6detail17trampoline_kernelINS0_13select_configILj256ELj13ELNS0_17block_load_methodE3ELS4_3ELS4_3ELNS0_20block_scan_algorithmE0ELj4294967295EEENS1_25partition_config_selectorILNS1_17partition_subalgoE3EjNS0_10empty_typeEbEEZZNS1_14partition_implILS8_3ELb0ES6_jNS0_17counting_iteratorIjlEEPS9_SE_NS0_5tupleIJPjSE_EEENSF_IJSE_SE_EEES9_SG_JZNS1_25segmented_radix_sort_implINS0_14default_configELb1EPKsPsPKlPlN2at6native12_GLOBAL__N_18offset_tEEE10hipError_tPvRmT1_PNSt15iterator_traitsISY_E10value_typeET2_T3_PNSZ_IS14_E10value_typeET4_jRbjT5_S1A_jjP12ihipStream_tbEUljE_EEESV_SW_SX_S14_S18_S1A_T6_T7_T9_mT8_S1C_bDpT10_ENKUlT_T0_E_clISt17integral_constantIbLb0EES1O_IbLb1EEEEDaS1K_S1L_EUlS1K_E_NS1_11comp_targetILNS1_3genE2ELNS1_11target_archE906ELNS1_3gpuE6ELNS1_3repE0EEENS1_30default_config_static_selectorELNS0_4arch9wavefront6targetE0EEEvSY_.kd
    .uniform_work_group_size: 1
    .uses_dynamic_stack: false
    .vgpr_count:     0
    .vgpr_spill_count: 0
    .wavefront_size: 32
  - .args:
      - .offset:         0
        .size:           152
        .value_kind:     by_value
    .group_segment_fixed_size: 0
    .kernarg_segment_align: 8
    .kernarg_segment_size: 152
    .language:       OpenCL C
    .language_version:
      - 2
      - 0
    .max_flat_workgroup_size: 256
    .name:           _ZN7rocprim17ROCPRIM_400000_NS6detail17trampoline_kernelINS0_13select_configILj256ELj13ELNS0_17block_load_methodE3ELS4_3ELS4_3ELNS0_20block_scan_algorithmE0ELj4294967295EEENS1_25partition_config_selectorILNS1_17partition_subalgoE3EjNS0_10empty_typeEbEEZZNS1_14partition_implILS8_3ELb0ES6_jNS0_17counting_iteratorIjlEEPS9_SE_NS0_5tupleIJPjSE_EEENSF_IJSE_SE_EEES9_SG_JZNS1_25segmented_radix_sort_implINS0_14default_configELb1EPKsPsPKlPlN2at6native12_GLOBAL__N_18offset_tEEE10hipError_tPvRmT1_PNSt15iterator_traitsISY_E10value_typeET2_T3_PNSZ_IS14_E10value_typeET4_jRbjT5_S1A_jjP12ihipStream_tbEUljE_EEESV_SW_SX_S14_S18_S1A_T6_T7_T9_mT8_S1C_bDpT10_ENKUlT_T0_E_clISt17integral_constantIbLb0EES1O_IbLb1EEEEDaS1K_S1L_EUlS1K_E_NS1_11comp_targetILNS1_3genE10ELNS1_11target_archE1200ELNS1_3gpuE4ELNS1_3repE0EEENS1_30default_config_static_selectorELNS0_4arch9wavefront6targetE0EEEvSY_
    .private_segment_fixed_size: 0
    .sgpr_count:     0
    .sgpr_spill_count: 0
    .symbol:         _ZN7rocprim17ROCPRIM_400000_NS6detail17trampoline_kernelINS0_13select_configILj256ELj13ELNS0_17block_load_methodE3ELS4_3ELS4_3ELNS0_20block_scan_algorithmE0ELj4294967295EEENS1_25partition_config_selectorILNS1_17partition_subalgoE3EjNS0_10empty_typeEbEEZZNS1_14partition_implILS8_3ELb0ES6_jNS0_17counting_iteratorIjlEEPS9_SE_NS0_5tupleIJPjSE_EEENSF_IJSE_SE_EEES9_SG_JZNS1_25segmented_radix_sort_implINS0_14default_configELb1EPKsPsPKlPlN2at6native12_GLOBAL__N_18offset_tEEE10hipError_tPvRmT1_PNSt15iterator_traitsISY_E10value_typeET2_T3_PNSZ_IS14_E10value_typeET4_jRbjT5_S1A_jjP12ihipStream_tbEUljE_EEESV_SW_SX_S14_S18_S1A_T6_T7_T9_mT8_S1C_bDpT10_ENKUlT_T0_E_clISt17integral_constantIbLb0EES1O_IbLb1EEEEDaS1K_S1L_EUlS1K_E_NS1_11comp_targetILNS1_3genE10ELNS1_11target_archE1200ELNS1_3gpuE4ELNS1_3repE0EEENS1_30default_config_static_selectorELNS0_4arch9wavefront6targetE0EEEvSY_.kd
    .uniform_work_group_size: 1
    .uses_dynamic_stack: false
    .vgpr_count:     0
    .vgpr_spill_count: 0
    .wavefront_size: 32
  - .args:
      - .offset:         0
        .size:           152
        .value_kind:     by_value
    .group_segment_fixed_size: 0
    .kernarg_segment_align: 8
    .kernarg_segment_size: 152
    .language:       OpenCL C
    .language_version:
      - 2
      - 0
    .max_flat_workgroup_size: 256
    .name:           _ZN7rocprim17ROCPRIM_400000_NS6detail17trampoline_kernelINS0_13select_configILj256ELj13ELNS0_17block_load_methodE3ELS4_3ELS4_3ELNS0_20block_scan_algorithmE0ELj4294967295EEENS1_25partition_config_selectorILNS1_17partition_subalgoE3EjNS0_10empty_typeEbEEZZNS1_14partition_implILS8_3ELb0ES6_jNS0_17counting_iteratorIjlEEPS9_SE_NS0_5tupleIJPjSE_EEENSF_IJSE_SE_EEES9_SG_JZNS1_25segmented_radix_sort_implINS0_14default_configELb1EPKsPsPKlPlN2at6native12_GLOBAL__N_18offset_tEEE10hipError_tPvRmT1_PNSt15iterator_traitsISY_E10value_typeET2_T3_PNSZ_IS14_E10value_typeET4_jRbjT5_S1A_jjP12ihipStream_tbEUljE_EEESV_SW_SX_S14_S18_S1A_T6_T7_T9_mT8_S1C_bDpT10_ENKUlT_T0_E_clISt17integral_constantIbLb0EES1O_IbLb1EEEEDaS1K_S1L_EUlS1K_E_NS1_11comp_targetILNS1_3genE9ELNS1_11target_archE1100ELNS1_3gpuE3ELNS1_3repE0EEENS1_30default_config_static_selectorELNS0_4arch9wavefront6targetE0EEEvSY_
    .private_segment_fixed_size: 0
    .sgpr_count:     0
    .sgpr_spill_count: 0
    .symbol:         _ZN7rocprim17ROCPRIM_400000_NS6detail17trampoline_kernelINS0_13select_configILj256ELj13ELNS0_17block_load_methodE3ELS4_3ELS4_3ELNS0_20block_scan_algorithmE0ELj4294967295EEENS1_25partition_config_selectorILNS1_17partition_subalgoE3EjNS0_10empty_typeEbEEZZNS1_14partition_implILS8_3ELb0ES6_jNS0_17counting_iteratorIjlEEPS9_SE_NS0_5tupleIJPjSE_EEENSF_IJSE_SE_EEES9_SG_JZNS1_25segmented_radix_sort_implINS0_14default_configELb1EPKsPsPKlPlN2at6native12_GLOBAL__N_18offset_tEEE10hipError_tPvRmT1_PNSt15iterator_traitsISY_E10value_typeET2_T3_PNSZ_IS14_E10value_typeET4_jRbjT5_S1A_jjP12ihipStream_tbEUljE_EEESV_SW_SX_S14_S18_S1A_T6_T7_T9_mT8_S1C_bDpT10_ENKUlT_T0_E_clISt17integral_constantIbLb0EES1O_IbLb1EEEEDaS1K_S1L_EUlS1K_E_NS1_11comp_targetILNS1_3genE9ELNS1_11target_archE1100ELNS1_3gpuE3ELNS1_3repE0EEENS1_30default_config_static_selectorELNS0_4arch9wavefront6targetE0EEEvSY_.kd
    .uniform_work_group_size: 1
    .uses_dynamic_stack: false
    .vgpr_count:     0
    .vgpr_spill_count: 0
    .wavefront_size: 32
  - .args:
      - .offset:         0
        .size:           152
        .value_kind:     by_value
    .group_segment_fixed_size: 0
    .kernarg_segment_align: 8
    .kernarg_segment_size: 152
    .language:       OpenCL C
    .language_version:
      - 2
      - 0
    .max_flat_workgroup_size: 256
    .name:           _ZN7rocprim17ROCPRIM_400000_NS6detail17trampoline_kernelINS0_13select_configILj256ELj13ELNS0_17block_load_methodE3ELS4_3ELS4_3ELNS0_20block_scan_algorithmE0ELj4294967295EEENS1_25partition_config_selectorILNS1_17partition_subalgoE3EjNS0_10empty_typeEbEEZZNS1_14partition_implILS8_3ELb0ES6_jNS0_17counting_iteratorIjlEEPS9_SE_NS0_5tupleIJPjSE_EEENSF_IJSE_SE_EEES9_SG_JZNS1_25segmented_radix_sort_implINS0_14default_configELb1EPKsPsPKlPlN2at6native12_GLOBAL__N_18offset_tEEE10hipError_tPvRmT1_PNSt15iterator_traitsISY_E10value_typeET2_T3_PNSZ_IS14_E10value_typeET4_jRbjT5_S1A_jjP12ihipStream_tbEUljE_EEESV_SW_SX_S14_S18_S1A_T6_T7_T9_mT8_S1C_bDpT10_ENKUlT_T0_E_clISt17integral_constantIbLb0EES1O_IbLb1EEEEDaS1K_S1L_EUlS1K_E_NS1_11comp_targetILNS1_3genE8ELNS1_11target_archE1030ELNS1_3gpuE2ELNS1_3repE0EEENS1_30default_config_static_selectorELNS0_4arch9wavefront6targetE0EEEvSY_
    .private_segment_fixed_size: 0
    .sgpr_count:     0
    .sgpr_spill_count: 0
    .symbol:         _ZN7rocprim17ROCPRIM_400000_NS6detail17trampoline_kernelINS0_13select_configILj256ELj13ELNS0_17block_load_methodE3ELS4_3ELS4_3ELNS0_20block_scan_algorithmE0ELj4294967295EEENS1_25partition_config_selectorILNS1_17partition_subalgoE3EjNS0_10empty_typeEbEEZZNS1_14partition_implILS8_3ELb0ES6_jNS0_17counting_iteratorIjlEEPS9_SE_NS0_5tupleIJPjSE_EEENSF_IJSE_SE_EEES9_SG_JZNS1_25segmented_radix_sort_implINS0_14default_configELb1EPKsPsPKlPlN2at6native12_GLOBAL__N_18offset_tEEE10hipError_tPvRmT1_PNSt15iterator_traitsISY_E10value_typeET2_T3_PNSZ_IS14_E10value_typeET4_jRbjT5_S1A_jjP12ihipStream_tbEUljE_EEESV_SW_SX_S14_S18_S1A_T6_T7_T9_mT8_S1C_bDpT10_ENKUlT_T0_E_clISt17integral_constantIbLb0EES1O_IbLb1EEEEDaS1K_S1L_EUlS1K_E_NS1_11comp_targetILNS1_3genE8ELNS1_11target_archE1030ELNS1_3gpuE2ELNS1_3repE0EEENS1_30default_config_static_selectorELNS0_4arch9wavefront6targetE0EEEvSY_.kd
    .uniform_work_group_size: 1
    .uses_dynamic_stack: false
    .vgpr_count:     0
    .vgpr_spill_count: 0
    .wavefront_size: 32
  - .args:
      - .offset:         0
        .size:           96
        .value_kind:     by_value
      - .offset:         96
        .size:           4
        .value_kind:     hidden_block_count_x
      - .offset:         100
        .size:           4
        .value_kind:     hidden_block_count_y
      - .offset:         104
        .size:           4
        .value_kind:     hidden_block_count_z
      - .offset:         108
        .size:           2
        .value_kind:     hidden_group_size_x
      - .offset:         110
        .size:           2
        .value_kind:     hidden_group_size_y
      - .offset:         112
        .size:           2
        .value_kind:     hidden_group_size_z
      - .offset:         114
        .size:           2
        .value_kind:     hidden_remainder_x
      - .offset:         116
        .size:           2
        .value_kind:     hidden_remainder_y
      - .offset:         118
        .size:           2
        .value_kind:     hidden_remainder_z
      - .offset:         136
        .size:           8
        .value_kind:     hidden_global_offset_x
      - .offset:         144
        .size:           8
        .value_kind:     hidden_global_offset_y
      - .offset:         152
        .size:           8
        .value_kind:     hidden_global_offset_z
      - .offset:         160
        .size:           2
        .value_kind:     hidden_grid_dims
      - .offset:         176
        .size:           8
        .value_kind:     hidden_hostcall_buffer
      - .offset:         184
        .size:           8
        .value_kind:     hidden_multigrid_sync_arg
      - .offset:         192
        .size:           8
        .value_kind:     hidden_heap_v1
      - .offset:         200
        .size:           8
        .value_kind:     hidden_default_queue
      - .offset:         208
        .size:           8
        .value_kind:     hidden_completion_action
      - .offset:         296
        .size:           8
        .value_kind:     hidden_queue_ptr
    .group_segment_fixed_size: 35344
    .kernarg_segment_align: 8
    .kernarg_segment_size: 352
    .language:       OpenCL C
    .language_version:
      - 2
      - 0
    .max_flat_workgroup_size: 256
    .name:           _ZN7rocprim17ROCPRIM_400000_NS6detail17trampoline_kernelINS0_14default_configENS1_36segmented_radix_sort_config_selectorIslEEZNS1_25segmented_radix_sort_implIS3_Lb1EPKsPsPKlPlN2at6native12_GLOBAL__N_18offset_tEEE10hipError_tPvRmT1_PNSt15iterator_traitsISK_E10value_typeET2_T3_PNSL_ISQ_E10value_typeET4_jRbjT5_SW_jjP12ihipStream_tbEUlT_E_NS1_11comp_targetILNS1_3genE0ELNS1_11target_archE4294967295ELNS1_3gpuE0ELNS1_3repE0EEENS1_30default_config_static_selectorELNS0_4arch9wavefront6targetE0EEEvSK_
    .private_segment_fixed_size: 0
    .sgpr_count:     63
    .sgpr_spill_count: 0
    .symbol:         _ZN7rocprim17ROCPRIM_400000_NS6detail17trampoline_kernelINS0_14default_configENS1_36segmented_radix_sort_config_selectorIslEEZNS1_25segmented_radix_sort_implIS3_Lb1EPKsPsPKlPlN2at6native12_GLOBAL__N_18offset_tEEE10hipError_tPvRmT1_PNSt15iterator_traitsISK_E10value_typeET2_T3_PNSL_ISQ_E10value_typeET4_jRbjT5_SW_jjP12ihipStream_tbEUlT_E_NS1_11comp_targetILNS1_3genE0ELNS1_11target_archE4294967295ELNS1_3gpuE0ELNS1_3repE0EEENS1_30default_config_static_selectorELNS0_4arch9wavefront6targetE0EEEvSK_.kd
    .uniform_work_group_size: 1
    .uses_dynamic_stack: false
    .vgpr_count:     304
    .vgpr_spill_count: 0
    .wavefront_size: 32
  - .args:
      - .offset:         0
        .size:           96
        .value_kind:     by_value
    .group_segment_fixed_size: 0
    .kernarg_segment_align: 8
    .kernarg_segment_size: 96
    .language:       OpenCL C
    .language_version:
      - 2
      - 0
    .max_flat_workgroup_size: 256
    .name:           _ZN7rocprim17ROCPRIM_400000_NS6detail17trampoline_kernelINS0_14default_configENS1_36segmented_radix_sort_config_selectorIslEEZNS1_25segmented_radix_sort_implIS3_Lb1EPKsPsPKlPlN2at6native12_GLOBAL__N_18offset_tEEE10hipError_tPvRmT1_PNSt15iterator_traitsISK_E10value_typeET2_T3_PNSL_ISQ_E10value_typeET4_jRbjT5_SW_jjP12ihipStream_tbEUlT_E_NS1_11comp_targetILNS1_3genE5ELNS1_11target_archE942ELNS1_3gpuE9ELNS1_3repE0EEENS1_30default_config_static_selectorELNS0_4arch9wavefront6targetE0EEEvSK_
    .private_segment_fixed_size: 0
    .sgpr_count:     0
    .sgpr_spill_count: 0
    .symbol:         _ZN7rocprim17ROCPRIM_400000_NS6detail17trampoline_kernelINS0_14default_configENS1_36segmented_radix_sort_config_selectorIslEEZNS1_25segmented_radix_sort_implIS3_Lb1EPKsPsPKlPlN2at6native12_GLOBAL__N_18offset_tEEE10hipError_tPvRmT1_PNSt15iterator_traitsISK_E10value_typeET2_T3_PNSL_ISQ_E10value_typeET4_jRbjT5_SW_jjP12ihipStream_tbEUlT_E_NS1_11comp_targetILNS1_3genE5ELNS1_11target_archE942ELNS1_3gpuE9ELNS1_3repE0EEENS1_30default_config_static_selectorELNS0_4arch9wavefront6targetE0EEEvSK_.kd
    .uniform_work_group_size: 1
    .uses_dynamic_stack: false
    .vgpr_count:     0
    .vgpr_spill_count: 0
    .wavefront_size: 32
  - .args:
      - .offset:         0
        .size:           96
        .value_kind:     by_value
    .group_segment_fixed_size: 0
    .kernarg_segment_align: 8
    .kernarg_segment_size: 96
    .language:       OpenCL C
    .language_version:
      - 2
      - 0
    .max_flat_workgroup_size: 256
    .name:           _ZN7rocprim17ROCPRIM_400000_NS6detail17trampoline_kernelINS0_14default_configENS1_36segmented_radix_sort_config_selectorIslEEZNS1_25segmented_radix_sort_implIS3_Lb1EPKsPsPKlPlN2at6native12_GLOBAL__N_18offset_tEEE10hipError_tPvRmT1_PNSt15iterator_traitsISK_E10value_typeET2_T3_PNSL_ISQ_E10value_typeET4_jRbjT5_SW_jjP12ihipStream_tbEUlT_E_NS1_11comp_targetILNS1_3genE4ELNS1_11target_archE910ELNS1_3gpuE8ELNS1_3repE0EEENS1_30default_config_static_selectorELNS0_4arch9wavefront6targetE0EEEvSK_
    .private_segment_fixed_size: 0
    .sgpr_count:     0
    .sgpr_spill_count: 0
    .symbol:         _ZN7rocprim17ROCPRIM_400000_NS6detail17trampoline_kernelINS0_14default_configENS1_36segmented_radix_sort_config_selectorIslEEZNS1_25segmented_radix_sort_implIS3_Lb1EPKsPsPKlPlN2at6native12_GLOBAL__N_18offset_tEEE10hipError_tPvRmT1_PNSt15iterator_traitsISK_E10value_typeET2_T3_PNSL_ISQ_E10value_typeET4_jRbjT5_SW_jjP12ihipStream_tbEUlT_E_NS1_11comp_targetILNS1_3genE4ELNS1_11target_archE910ELNS1_3gpuE8ELNS1_3repE0EEENS1_30default_config_static_selectorELNS0_4arch9wavefront6targetE0EEEvSK_.kd
    .uniform_work_group_size: 1
    .uses_dynamic_stack: false
    .vgpr_count:     0
    .vgpr_spill_count: 0
    .wavefront_size: 32
  - .args:
      - .offset:         0
        .size:           96
        .value_kind:     by_value
    .group_segment_fixed_size: 0
    .kernarg_segment_align: 8
    .kernarg_segment_size: 96
    .language:       OpenCL C
    .language_version:
      - 2
      - 0
    .max_flat_workgroup_size: 256
    .name:           _ZN7rocprim17ROCPRIM_400000_NS6detail17trampoline_kernelINS0_14default_configENS1_36segmented_radix_sort_config_selectorIslEEZNS1_25segmented_radix_sort_implIS3_Lb1EPKsPsPKlPlN2at6native12_GLOBAL__N_18offset_tEEE10hipError_tPvRmT1_PNSt15iterator_traitsISK_E10value_typeET2_T3_PNSL_ISQ_E10value_typeET4_jRbjT5_SW_jjP12ihipStream_tbEUlT_E_NS1_11comp_targetILNS1_3genE3ELNS1_11target_archE908ELNS1_3gpuE7ELNS1_3repE0EEENS1_30default_config_static_selectorELNS0_4arch9wavefront6targetE0EEEvSK_
    .private_segment_fixed_size: 0
    .sgpr_count:     0
    .sgpr_spill_count: 0
    .symbol:         _ZN7rocprim17ROCPRIM_400000_NS6detail17trampoline_kernelINS0_14default_configENS1_36segmented_radix_sort_config_selectorIslEEZNS1_25segmented_radix_sort_implIS3_Lb1EPKsPsPKlPlN2at6native12_GLOBAL__N_18offset_tEEE10hipError_tPvRmT1_PNSt15iterator_traitsISK_E10value_typeET2_T3_PNSL_ISQ_E10value_typeET4_jRbjT5_SW_jjP12ihipStream_tbEUlT_E_NS1_11comp_targetILNS1_3genE3ELNS1_11target_archE908ELNS1_3gpuE7ELNS1_3repE0EEENS1_30default_config_static_selectorELNS0_4arch9wavefront6targetE0EEEvSK_.kd
    .uniform_work_group_size: 1
    .uses_dynamic_stack: false
    .vgpr_count:     0
    .vgpr_spill_count: 0
    .wavefront_size: 32
  - .args:
      - .offset:         0
        .size:           96
        .value_kind:     by_value
    .group_segment_fixed_size: 0
    .kernarg_segment_align: 8
    .kernarg_segment_size: 96
    .language:       OpenCL C
    .language_version:
      - 2
      - 0
    .max_flat_workgroup_size: 256
    .name:           _ZN7rocprim17ROCPRIM_400000_NS6detail17trampoline_kernelINS0_14default_configENS1_36segmented_radix_sort_config_selectorIslEEZNS1_25segmented_radix_sort_implIS3_Lb1EPKsPsPKlPlN2at6native12_GLOBAL__N_18offset_tEEE10hipError_tPvRmT1_PNSt15iterator_traitsISK_E10value_typeET2_T3_PNSL_ISQ_E10value_typeET4_jRbjT5_SW_jjP12ihipStream_tbEUlT_E_NS1_11comp_targetILNS1_3genE2ELNS1_11target_archE906ELNS1_3gpuE6ELNS1_3repE0EEENS1_30default_config_static_selectorELNS0_4arch9wavefront6targetE0EEEvSK_
    .private_segment_fixed_size: 0
    .sgpr_count:     0
    .sgpr_spill_count: 0
    .symbol:         _ZN7rocprim17ROCPRIM_400000_NS6detail17trampoline_kernelINS0_14default_configENS1_36segmented_radix_sort_config_selectorIslEEZNS1_25segmented_radix_sort_implIS3_Lb1EPKsPsPKlPlN2at6native12_GLOBAL__N_18offset_tEEE10hipError_tPvRmT1_PNSt15iterator_traitsISK_E10value_typeET2_T3_PNSL_ISQ_E10value_typeET4_jRbjT5_SW_jjP12ihipStream_tbEUlT_E_NS1_11comp_targetILNS1_3genE2ELNS1_11target_archE906ELNS1_3gpuE6ELNS1_3repE0EEENS1_30default_config_static_selectorELNS0_4arch9wavefront6targetE0EEEvSK_.kd
    .uniform_work_group_size: 1
    .uses_dynamic_stack: false
    .vgpr_count:     0
    .vgpr_spill_count: 0
    .wavefront_size: 32
  - .args:
      - .offset:         0
        .size:           96
        .value_kind:     by_value
    .group_segment_fixed_size: 0
    .kernarg_segment_align: 8
    .kernarg_segment_size: 96
    .language:       OpenCL C
    .language_version:
      - 2
      - 0
    .max_flat_workgroup_size: 256
    .name:           _ZN7rocprim17ROCPRIM_400000_NS6detail17trampoline_kernelINS0_14default_configENS1_36segmented_radix_sort_config_selectorIslEEZNS1_25segmented_radix_sort_implIS3_Lb1EPKsPsPKlPlN2at6native12_GLOBAL__N_18offset_tEEE10hipError_tPvRmT1_PNSt15iterator_traitsISK_E10value_typeET2_T3_PNSL_ISQ_E10value_typeET4_jRbjT5_SW_jjP12ihipStream_tbEUlT_E_NS1_11comp_targetILNS1_3genE10ELNS1_11target_archE1201ELNS1_3gpuE5ELNS1_3repE0EEENS1_30default_config_static_selectorELNS0_4arch9wavefront6targetE0EEEvSK_
    .private_segment_fixed_size: 0
    .sgpr_count:     0
    .sgpr_spill_count: 0
    .symbol:         _ZN7rocprim17ROCPRIM_400000_NS6detail17trampoline_kernelINS0_14default_configENS1_36segmented_radix_sort_config_selectorIslEEZNS1_25segmented_radix_sort_implIS3_Lb1EPKsPsPKlPlN2at6native12_GLOBAL__N_18offset_tEEE10hipError_tPvRmT1_PNSt15iterator_traitsISK_E10value_typeET2_T3_PNSL_ISQ_E10value_typeET4_jRbjT5_SW_jjP12ihipStream_tbEUlT_E_NS1_11comp_targetILNS1_3genE10ELNS1_11target_archE1201ELNS1_3gpuE5ELNS1_3repE0EEENS1_30default_config_static_selectorELNS0_4arch9wavefront6targetE0EEEvSK_.kd
    .uniform_work_group_size: 1
    .uses_dynamic_stack: false
    .vgpr_count:     0
    .vgpr_spill_count: 0
    .wavefront_size: 32
  - .args:
      - .offset:         0
        .size:           96
        .value_kind:     by_value
    .group_segment_fixed_size: 0
    .kernarg_segment_align: 8
    .kernarg_segment_size: 96
    .language:       OpenCL C
    .language_version:
      - 2
      - 0
    .max_flat_workgroup_size: 128
    .name:           _ZN7rocprim17ROCPRIM_400000_NS6detail17trampoline_kernelINS0_14default_configENS1_36segmented_radix_sort_config_selectorIslEEZNS1_25segmented_radix_sort_implIS3_Lb1EPKsPsPKlPlN2at6native12_GLOBAL__N_18offset_tEEE10hipError_tPvRmT1_PNSt15iterator_traitsISK_E10value_typeET2_T3_PNSL_ISQ_E10value_typeET4_jRbjT5_SW_jjP12ihipStream_tbEUlT_E_NS1_11comp_targetILNS1_3genE10ELNS1_11target_archE1200ELNS1_3gpuE4ELNS1_3repE0EEENS1_30default_config_static_selectorELNS0_4arch9wavefront6targetE0EEEvSK_
    .private_segment_fixed_size: 0
    .sgpr_count:     0
    .sgpr_spill_count: 0
    .symbol:         _ZN7rocprim17ROCPRIM_400000_NS6detail17trampoline_kernelINS0_14default_configENS1_36segmented_radix_sort_config_selectorIslEEZNS1_25segmented_radix_sort_implIS3_Lb1EPKsPsPKlPlN2at6native12_GLOBAL__N_18offset_tEEE10hipError_tPvRmT1_PNSt15iterator_traitsISK_E10value_typeET2_T3_PNSL_ISQ_E10value_typeET4_jRbjT5_SW_jjP12ihipStream_tbEUlT_E_NS1_11comp_targetILNS1_3genE10ELNS1_11target_archE1200ELNS1_3gpuE4ELNS1_3repE0EEENS1_30default_config_static_selectorELNS0_4arch9wavefront6targetE0EEEvSK_.kd
    .uniform_work_group_size: 1
    .uses_dynamic_stack: false
    .vgpr_count:     0
    .vgpr_spill_count: 0
    .wavefront_size: 32
  - .args:
      - .offset:         0
        .size:           96
        .value_kind:     by_value
    .group_segment_fixed_size: 0
    .kernarg_segment_align: 8
    .kernarg_segment_size: 96
    .language:       OpenCL C
    .language_version:
      - 2
      - 0
    .max_flat_workgroup_size: 256
    .name:           _ZN7rocprim17ROCPRIM_400000_NS6detail17trampoline_kernelINS0_14default_configENS1_36segmented_radix_sort_config_selectorIslEEZNS1_25segmented_radix_sort_implIS3_Lb1EPKsPsPKlPlN2at6native12_GLOBAL__N_18offset_tEEE10hipError_tPvRmT1_PNSt15iterator_traitsISK_E10value_typeET2_T3_PNSL_ISQ_E10value_typeET4_jRbjT5_SW_jjP12ihipStream_tbEUlT_E_NS1_11comp_targetILNS1_3genE9ELNS1_11target_archE1100ELNS1_3gpuE3ELNS1_3repE0EEENS1_30default_config_static_selectorELNS0_4arch9wavefront6targetE0EEEvSK_
    .private_segment_fixed_size: 0
    .sgpr_count:     0
    .sgpr_spill_count: 0
    .symbol:         _ZN7rocprim17ROCPRIM_400000_NS6detail17trampoline_kernelINS0_14default_configENS1_36segmented_radix_sort_config_selectorIslEEZNS1_25segmented_radix_sort_implIS3_Lb1EPKsPsPKlPlN2at6native12_GLOBAL__N_18offset_tEEE10hipError_tPvRmT1_PNSt15iterator_traitsISK_E10value_typeET2_T3_PNSL_ISQ_E10value_typeET4_jRbjT5_SW_jjP12ihipStream_tbEUlT_E_NS1_11comp_targetILNS1_3genE9ELNS1_11target_archE1100ELNS1_3gpuE3ELNS1_3repE0EEENS1_30default_config_static_selectorELNS0_4arch9wavefront6targetE0EEEvSK_.kd
    .uniform_work_group_size: 1
    .uses_dynamic_stack: false
    .vgpr_count:     0
    .vgpr_spill_count: 0
    .wavefront_size: 32
  - .args:
      - .offset:         0
        .size:           96
        .value_kind:     by_value
    .group_segment_fixed_size: 0
    .kernarg_segment_align: 8
    .kernarg_segment_size: 96
    .language:       OpenCL C
    .language_version:
      - 2
      - 0
    .max_flat_workgroup_size: 256
    .name:           _ZN7rocprim17ROCPRIM_400000_NS6detail17trampoline_kernelINS0_14default_configENS1_36segmented_radix_sort_config_selectorIslEEZNS1_25segmented_radix_sort_implIS3_Lb1EPKsPsPKlPlN2at6native12_GLOBAL__N_18offset_tEEE10hipError_tPvRmT1_PNSt15iterator_traitsISK_E10value_typeET2_T3_PNSL_ISQ_E10value_typeET4_jRbjT5_SW_jjP12ihipStream_tbEUlT_E_NS1_11comp_targetILNS1_3genE8ELNS1_11target_archE1030ELNS1_3gpuE2ELNS1_3repE0EEENS1_30default_config_static_selectorELNS0_4arch9wavefront6targetE0EEEvSK_
    .private_segment_fixed_size: 0
    .sgpr_count:     0
    .sgpr_spill_count: 0
    .symbol:         _ZN7rocprim17ROCPRIM_400000_NS6detail17trampoline_kernelINS0_14default_configENS1_36segmented_radix_sort_config_selectorIslEEZNS1_25segmented_radix_sort_implIS3_Lb1EPKsPsPKlPlN2at6native12_GLOBAL__N_18offset_tEEE10hipError_tPvRmT1_PNSt15iterator_traitsISK_E10value_typeET2_T3_PNSL_ISQ_E10value_typeET4_jRbjT5_SW_jjP12ihipStream_tbEUlT_E_NS1_11comp_targetILNS1_3genE8ELNS1_11target_archE1030ELNS1_3gpuE2ELNS1_3repE0EEENS1_30default_config_static_selectorELNS0_4arch9wavefront6targetE0EEEvSK_.kd
    .uniform_work_group_size: 1
    .uses_dynamic_stack: false
    .vgpr_count:     0
    .vgpr_spill_count: 0
    .wavefront_size: 32
  - .args:
      - .offset:         0
        .size:           88
        .value_kind:     by_value
      - .offset:         88
        .size:           4
        .value_kind:     hidden_block_count_x
      - .offset:         92
        .size:           4
        .value_kind:     hidden_block_count_y
      - .offset:         96
        .size:           4
        .value_kind:     hidden_block_count_z
      - .offset:         100
        .size:           2
        .value_kind:     hidden_group_size_x
      - .offset:         102
        .size:           2
        .value_kind:     hidden_group_size_y
      - .offset:         104
        .size:           2
        .value_kind:     hidden_group_size_z
      - .offset:         106
        .size:           2
        .value_kind:     hidden_remainder_x
      - .offset:         108
        .size:           2
        .value_kind:     hidden_remainder_y
      - .offset:         110
        .size:           2
        .value_kind:     hidden_remainder_z
      - .offset:         128
        .size:           8
        .value_kind:     hidden_global_offset_x
      - .offset:         136
        .size:           8
        .value_kind:     hidden_global_offset_y
      - .offset:         144
        .size:           8
        .value_kind:     hidden_global_offset_z
      - .offset:         152
        .size:           2
        .value_kind:     hidden_grid_dims
      - .offset:         168
        .size:           8
        .value_kind:     hidden_hostcall_buffer
      - .offset:         176
        .size:           8
        .value_kind:     hidden_multigrid_sync_arg
      - .offset:         184
        .size:           8
        .value_kind:     hidden_heap_v1
      - .offset:         192
        .size:           8
        .value_kind:     hidden_default_queue
      - .offset:         200
        .size:           8
        .value_kind:     hidden_completion_action
      - .offset:         288
        .size:           8
        .value_kind:     hidden_queue_ptr
    .group_segment_fixed_size: 10240
    .kernarg_segment_align: 8
    .kernarg_segment_size: 344
    .language:       OpenCL C
    .language_version:
      - 2
      - 0
    .max_flat_workgroup_size: 256
    .name:           _ZN7rocprim17ROCPRIM_400000_NS6detail17trampoline_kernelINS0_14default_configENS1_36segmented_radix_sort_config_selectorIslEEZNS1_25segmented_radix_sort_implIS3_Lb1EPKsPsPKlPlN2at6native12_GLOBAL__N_18offset_tEEE10hipError_tPvRmT1_PNSt15iterator_traitsISK_E10value_typeET2_T3_PNSL_ISQ_E10value_typeET4_jRbjT5_SW_jjP12ihipStream_tbEUlT_E0_NS1_11comp_targetILNS1_3genE0ELNS1_11target_archE4294967295ELNS1_3gpuE0ELNS1_3repE0EEENS1_60segmented_radix_sort_warp_sort_medium_config_static_selectorELNS0_4arch9wavefront6targetE0EEEvSK_
    .private_segment_fixed_size: 0
    .sgpr_count:     42
    .sgpr_spill_count: 0
    .symbol:         _ZN7rocprim17ROCPRIM_400000_NS6detail17trampoline_kernelINS0_14default_configENS1_36segmented_radix_sort_config_selectorIslEEZNS1_25segmented_radix_sort_implIS3_Lb1EPKsPsPKlPlN2at6native12_GLOBAL__N_18offset_tEEE10hipError_tPvRmT1_PNSt15iterator_traitsISK_E10value_typeET2_T3_PNSL_ISQ_E10value_typeET4_jRbjT5_SW_jjP12ihipStream_tbEUlT_E0_NS1_11comp_targetILNS1_3genE0ELNS1_11target_archE4294967295ELNS1_3gpuE0ELNS1_3repE0EEENS1_60segmented_radix_sort_warp_sort_medium_config_static_selectorELNS0_4arch9wavefront6targetE0EEEvSK_.kd
    .uniform_work_group_size: 1
    .uses_dynamic_stack: false
    .vgpr_count:     53
    .vgpr_spill_count: 0
    .wavefront_size: 32
  - .args:
      - .offset:         0
        .size:           88
        .value_kind:     by_value
    .group_segment_fixed_size: 0
    .kernarg_segment_align: 8
    .kernarg_segment_size: 88
    .language:       OpenCL C
    .language_version:
      - 2
      - 0
    .max_flat_workgroup_size: 256
    .name:           _ZN7rocprim17ROCPRIM_400000_NS6detail17trampoline_kernelINS0_14default_configENS1_36segmented_radix_sort_config_selectorIslEEZNS1_25segmented_radix_sort_implIS3_Lb1EPKsPsPKlPlN2at6native12_GLOBAL__N_18offset_tEEE10hipError_tPvRmT1_PNSt15iterator_traitsISK_E10value_typeET2_T3_PNSL_ISQ_E10value_typeET4_jRbjT5_SW_jjP12ihipStream_tbEUlT_E0_NS1_11comp_targetILNS1_3genE5ELNS1_11target_archE942ELNS1_3gpuE9ELNS1_3repE0EEENS1_60segmented_radix_sort_warp_sort_medium_config_static_selectorELNS0_4arch9wavefront6targetE0EEEvSK_
    .private_segment_fixed_size: 0
    .sgpr_count:     0
    .sgpr_spill_count: 0
    .symbol:         _ZN7rocprim17ROCPRIM_400000_NS6detail17trampoline_kernelINS0_14default_configENS1_36segmented_radix_sort_config_selectorIslEEZNS1_25segmented_radix_sort_implIS3_Lb1EPKsPsPKlPlN2at6native12_GLOBAL__N_18offset_tEEE10hipError_tPvRmT1_PNSt15iterator_traitsISK_E10value_typeET2_T3_PNSL_ISQ_E10value_typeET4_jRbjT5_SW_jjP12ihipStream_tbEUlT_E0_NS1_11comp_targetILNS1_3genE5ELNS1_11target_archE942ELNS1_3gpuE9ELNS1_3repE0EEENS1_60segmented_radix_sort_warp_sort_medium_config_static_selectorELNS0_4arch9wavefront6targetE0EEEvSK_.kd
    .uniform_work_group_size: 1
    .uses_dynamic_stack: false
    .vgpr_count:     0
    .vgpr_spill_count: 0
    .wavefront_size: 32
  - .args:
      - .offset:         0
        .size:           88
        .value_kind:     by_value
    .group_segment_fixed_size: 0
    .kernarg_segment_align: 8
    .kernarg_segment_size: 88
    .language:       OpenCL C
    .language_version:
      - 2
      - 0
    .max_flat_workgroup_size: 256
    .name:           _ZN7rocprim17ROCPRIM_400000_NS6detail17trampoline_kernelINS0_14default_configENS1_36segmented_radix_sort_config_selectorIslEEZNS1_25segmented_radix_sort_implIS3_Lb1EPKsPsPKlPlN2at6native12_GLOBAL__N_18offset_tEEE10hipError_tPvRmT1_PNSt15iterator_traitsISK_E10value_typeET2_T3_PNSL_ISQ_E10value_typeET4_jRbjT5_SW_jjP12ihipStream_tbEUlT_E0_NS1_11comp_targetILNS1_3genE4ELNS1_11target_archE910ELNS1_3gpuE8ELNS1_3repE0EEENS1_60segmented_radix_sort_warp_sort_medium_config_static_selectorELNS0_4arch9wavefront6targetE0EEEvSK_
    .private_segment_fixed_size: 0
    .sgpr_count:     0
    .sgpr_spill_count: 0
    .symbol:         _ZN7rocprim17ROCPRIM_400000_NS6detail17trampoline_kernelINS0_14default_configENS1_36segmented_radix_sort_config_selectorIslEEZNS1_25segmented_radix_sort_implIS3_Lb1EPKsPsPKlPlN2at6native12_GLOBAL__N_18offset_tEEE10hipError_tPvRmT1_PNSt15iterator_traitsISK_E10value_typeET2_T3_PNSL_ISQ_E10value_typeET4_jRbjT5_SW_jjP12ihipStream_tbEUlT_E0_NS1_11comp_targetILNS1_3genE4ELNS1_11target_archE910ELNS1_3gpuE8ELNS1_3repE0EEENS1_60segmented_radix_sort_warp_sort_medium_config_static_selectorELNS0_4arch9wavefront6targetE0EEEvSK_.kd
    .uniform_work_group_size: 1
    .uses_dynamic_stack: false
    .vgpr_count:     0
    .vgpr_spill_count: 0
    .wavefront_size: 32
  - .args:
      - .offset:         0
        .size:           88
        .value_kind:     by_value
    .group_segment_fixed_size: 0
    .kernarg_segment_align: 8
    .kernarg_segment_size: 88
    .language:       OpenCL C
    .language_version:
      - 2
      - 0
    .max_flat_workgroup_size: 256
    .name:           _ZN7rocprim17ROCPRIM_400000_NS6detail17trampoline_kernelINS0_14default_configENS1_36segmented_radix_sort_config_selectorIslEEZNS1_25segmented_radix_sort_implIS3_Lb1EPKsPsPKlPlN2at6native12_GLOBAL__N_18offset_tEEE10hipError_tPvRmT1_PNSt15iterator_traitsISK_E10value_typeET2_T3_PNSL_ISQ_E10value_typeET4_jRbjT5_SW_jjP12ihipStream_tbEUlT_E0_NS1_11comp_targetILNS1_3genE3ELNS1_11target_archE908ELNS1_3gpuE7ELNS1_3repE0EEENS1_60segmented_radix_sort_warp_sort_medium_config_static_selectorELNS0_4arch9wavefront6targetE0EEEvSK_
    .private_segment_fixed_size: 0
    .sgpr_count:     0
    .sgpr_spill_count: 0
    .symbol:         _ZN7rocprim17ROCPRIM_400000_NS6detail17trampoline_kernelINS0_14default_configENS1_36segmented_radix_sort_config_selectorIslEEZNS1_25segmented_radix_sort_implIS3_Lb1EPKsPsPKlPlN2at6native12_GLOBAL__N_18offset_tEEE10hipError_tPvRmT1_PNSt15iterator_traitsISK_E10value_typeET2_T3_PNSL_ISQ_E10value_typeET4_jRbjT5_SW_jjP12ihipStream_tbEUlT_E0_NS1_11comp_targetILNS1_3genE3ELNS1_11target_archE908ELNS1_3gpuE7ELNS1_3repE0EEENS1_60segmented_radix_sort_warp_sort_medium_config_static_selectorELNS0_4arch9wavefront6targetE0EEEvSK_.kd
    .uniform_work_group_size: 1
    .uses_dynamic_stack: false
    .vgpr_count:     0
    .vgpr_spill_count: 0
    .wavefront_size: 32
  - .args:
      - .offset:         0
        .size:           88
        .value_kind:     by_value
    .group_segment_fixed_size: 0
    .kernarg_segment_align: 8
    .kernarg_segment_size: 88
    .language:       OpenCL C
    .language_version:
      - 2
      - 0
    .max_flat_workgroup_size: 256
    .name:           _ZN7rocprim17ROCPRIM_400000_NS6detail17trampoline_kernelINS0_14default_configENS1_36segmented_radix_sort_config_selectorIslEEZNS1_25segmented_radix_sort_implIS3_Lb1EPKsPsPKlPlN2at6native12_GLOBAL__N_18offset_tEEE10hipError_tPvRmT1_PNSt15iterator_traitsISK_E10value_typeET2_T3_PNSL_ISQ_E10value_typeET4_jRbjT5_SW_jjP12ihipStream_tbEUlT_E0_NS1_11comp_targetILNS1_3genE2ELNS1_11target_archE906ELNS1_3gpuE6ELNS1_3repE0EEENS1_60segmented_radix_sort_warp_sort_medium_config_static_selectorELNS0_4arch9wavefront6targetE0EEEvSK_
    .private_segment_fixed_size: 0
    .sgpr_count:     0
    .sgpr_spill_count: 0
    .symbol:         _ZN7rocprim17ROCPRIM_400000_NS6detail17trampoline_kernelINS0_14default_configENS1_36segmented_radix_sort_config_selectorIslEEZNS1_25segmented_radix_sort_implIS3_Lb1EPKsPsPKlPlN2at6native12_GLOBAL__N_18offset_tEEE10hipError_tPvRmT1_PNSt15iterator_traitsISK_E10value_typeET2_T3_PNSL_ISQ_E10value_typeET4_jRbjT5_SW_jjP12ihipStream_tbEUlT_E0_NS1_11comp_targetILNS1_3genE2ELNS1_11target_archE906ELNS1_3gpuE6ELNS1_3repE0EEENS1_60segmented_radix_sort_warp_sort_medium_config_static_selectorELNS0_4arch9wavefront6targetE0EEEvSK_.kd
    .uniform_work_group_size: 1
    .uses_dynamic_stack: false
    .vgpr_count:     0
    .vgpr_spill_count: 0
    .wavefront_size: 32
  - .args:
      - .offset:         0
        .size:           88
        .value_kind:     by_value
    .group_segment_fixed_size: 0
    .kernarg_segment_align: 8
    .kernarg_segment_size: 88
    .language:       OpenCL C
    .language_version:
      - 2
      - 0
    .max_flat_workgroup_size: 256
    .name:           _ZN7rocprim17ROCPRIM_400000_NS6detail17trampoline_kernelINS0_14default_configENS1_36segmented_radix_sort_config_selectorIslEEZNS1_25segmented_radix_sort_implIS3_Lb1EPKsPsPKlPlN2at6native12_GLOBAL__N_18offset_tEEE10hipError_tPvRmT1_PNSt15iterator_traitsISK_E10value_typeET2_T3_PNSL_ISQ_E10value_typeET4_jRbjT5_SW_jjP12ihipStream_tbEUlT_E0_NS1_11comp_targetILNS1_3genE10ELNS1_11target_archE1201ELNS1_3gpuE5ELNS1_3repE0EEENS1_60segmented_radix_sort_warp_sort_medium_config_static_selectorELNS0_4arch9wavefront6targetE0EEEvSK_
    .private_segment_fixed_size: 0
    .sgpr_count:     0
    .sgpr_spill_count: 0
    .symbol:         _ZN7rocprim17ROCPRIM_400000_NS6detail17trampoline_kernelINS0_14default_configENS1_36segmented_radix_sort_config_selectorIslEEZNS1_25segmented_radix_sort_implIS3_Lb1EPKsPsPKlPlN2at6native12_GLOBAL__N_18offset_tEEE10hipError_tPvRmT1_PNSt15iterator_traitsISK_E10value_typeET2_T3_PNSL_ISQ_E10value_typeET4_jRbjT5_SW_jjP12ihipStream_tbEUlT_E0_NS1_11comp_targetILNS1_3genE10ELNS1_11target_archE1201ELNS1_3gpuE5ELNS1_3repE0EEENS1_60segmented_radix_sort_warp_sort_medium_config_static_selectorELNS0_4arch9wavefront6targetE0EEEvSK_.kd
    .uniform_work_group_size: 1
    .uses_dynamic_stack: false
    .vgpr_count:     0
    .vgpr_spill_count: 0
    .wavefront_size: 32
  - .args:
      - .offset:         0
        .size:           88
        .value_kind:     by_value
    .group_segment_fixed_size: 0
    .kernarg_segment_align: 8
    .kernarg_segment_size: 88
    .language:       OpenCL C
    .language_version:
      - 2
      - 0
    .max_flat_workgroup_size: 256
    .name:           _ZN7rocprim17ROCPRIM_400000_NS6detail17trampoline_kernelINS0_14default_configENS1_36segmented_radix_sort_config_selectorIslEEZNS1_25segmented_radix_sort_implIS3_Lb1EPKsPsPKlPlN2at6native12_GLOBAL__N_18offset_tEEE10hipError_tPvRmT1_PNSt15iterator_traitsISK_E10value_typeET2_T3_PNSL_ISQ_E10value_typeET4_jRbjT5_SW_jjP12ihipStream_tbEUlT_E0_NS1_11comp_targetILNS1_3genE10ELNS1_11target_archE1200ELNS1_3gpuE4ELNS1_3repE0EEENS1_60segmented_radix_sort_warp_sort_medium_config_static_selectorELNS0_4arch9wavefront6targetE0EEEvSK_
    .private_segment_fixed_size: 0
    .sgpr_count:     0
    .sgpr_spill_count: 0
    .symbol:         _ZN7rocprim17ROCPRIM_400000_NS6detail17trampoline_kernelINS0_14default_configENS1_36segmented_radix_sort_config_selectorIslEEZNS1_25segmented_radix_sort_implIS3_Lb1EPKsPsPKlPlN2at6native12_GLOBAL__N_18offset_tEEE10hipError_tPvRmT1_PNSt15iterator_traitsISK_E10value_typeET2_T3_PNSL_ISQ_E10value_typeET4_jRbjT5_SW_jjP12ihipStream_tbEUlT_E0_NS1_11comp_targetILNS1_3genE10ELNS1_11target_archE1200ELNS1_3gpuE4ELNS1_3repE0EEENS1_60segmented_radix_sort_warp_sort_medium_config_static_selectorELNS0_4arch9wavefront6targetE0EEEvSK_.kd
    .uniform_work_group_size: 1
    .uses_dynamic_stack: false
    .vgpr_count:     0
    .vgpr_spill_count: 0
    .wavefront_size: 32
  - .args:
      - .offset:         0
        .size:           88
        .value_kind:     by_value
    .group_segment_fixed_size: 0
    .kernarg_segment_align: 8
    .kernarg_segment_size: 88
    .language:       OpenCL C
    .language_version:
      - 2
      - 0
    .max_flat_workgroup_size: 256
    .name:           _ZN7rocprim17ROCPRIM_400000_NS6detail17trampoline_kernelINS0_14default_configENS1_36segmented_radix_sort_config_selectorIslEEZNS1_25segmented_radix_sort_implIS3_Lb1EPKsPsPKlPlN2at6native12_GLOBAL__N_18offset_tEEE10hipError_tPvRmT1_PNSt15iterator_traitsISK_E10value_typeET2_T3_PNSL_ISQ_E10value_typeET4_jRbjT5_SW_jjP12ihipStream_tbEUlT_E0_NS1_11comp_targetILNS1_3genE9ELNS1_11target_archE1100ELNS1_3gpuE3ELNS1_3repE0EEENS1_60segmented_radix_sort_warp_sort_medium_config_static_selectorELNS0_4arch9wavefront6targetE0EEEvSK_
    .private_segment_fixed_size: 0
    .sgpr_count:     0
    .sgpr_spill_count: 0
    .symbol:         _ZN7rocprim17ROCPRIM_400000_NS6detail17trampoline_kernelINS0_14default_configENS1_36segmented_radix_sort_config_selectorIslEEZNS1_25segmented_radix_sort_implIS3_Lb1EPKsPsPKlPlN2at6native12_GLOBAL__N_18offset_tEEE10hipError_tPvRmT1_PNSt15iterator_traitsISK_E10value_typeET2_T3_PNSL_ISQ_E10value_typeET4_jRbjT5_SW_jjP12ihipStream_tbEUlT_E0_NS1_11comp_targetILNS1_3genE9ELNS1_11target_archE1100ELNS1_3gpuE3ELNS1_3repE0EEENS1_60segmented_radix_sort_warp_sort_medium_config_static_selectorELNS0_4arch9wavefront6targetE0EEEvSK_.kd
    .uniform_work_group_size: 1
    .uses_dynamic_stack: false
    .vgpr_count:     0
    .vgpr_spill_count: 0
    .wavefront_size: 32
  - .args:
      - .offset:         0
        .size:           88
        .value_kind:     by_value
    .group_segment_fixed_size: 0
    .kernarg_segment_align: 8
    .kernarg_segment_size: 88
    .language:       OpenCL C
    .language_version:
      - 2
      - 0
    .max_flat_workgroup_size: 256
    .name:           _ZN7rocprim17ROCPRIM_400000_NS6detail17trampoline_kernelINS0_14default_configENS1_36segmented_radix_sort_config_selectorIslEEZNS1_25segmented_radix_sort_implIS3_Lb1EPKsPsPKlPlN2at6native12_GLOBAL__N_18offset_tEEE10hipError_tPvRmT1_PNSt15iterator_traitsISK_E10value_typeET2_T3_PNSL_ISQ_E10value_typeET4_jRbjT5_SW_jjP12ihipStream_tbEUlT_E0_NS1_11comp_targetILNS1_3genE8ELNS1_11target_archE1030ELNS1_3gpuE2ELNS1_3repE0EEENS1_60segmented_radix_sort_warp_sort_medium_config_static_selectorELNS0_4arch9wavefront6targetE0EEEvSK_
    .private_segment_fixed_size: 0
    .sgpr_count:     0
    .sgpr_spill_count: 0
    .symbol:         _ZN7rocprim17ROCPRIM_400000_NS6detail17trampoline_kernelINS0_14default_configENS1_36segmented_radix_sort_config_selectorIslEEZNS1_25segmented_radix_sort_implIS3_Lb1EPKsPsPKlPlN2at6native12_GLOBAL__N_18offset_tEEE10hipError_tPvRmT1_PNSt15iterator_traitsISK_E10value_typeET2_T3_PNSL_ISQ_E10value_typeET4_jRbjT5_SW_jjP12ihipStream_tbEUlT_E0_NS1_11comp_targetILNS1_3genE8ELNS1_11target_archE1030ELNS1_3gpuE2ELNS1_3repE0EEENS1_60segmented_radix_sort_warp_sort_medium_config_static_selectorELNS0_4arch9wavefront6targetE0EEEvSK_.kd
    .uniform_work_group_size: 1
    .uses_dynamic_stack: false
    .vgpr_count:     0
    .vgpr_spill_count: 0
    .wavefront_size: 32
  - .args:
      - .offset:         0
        .size:           88
        .value_kind:     by_value
      - .offset:         88
        .size:           4
        .value_kind:     hidden_block_count_x
      - .offset:         92
        .size:           4
        .value_kind:     hidden_block_count_y
      - .offset:         96
        .size:           4
        .value_kind:     hidden_block_count_z
      - .offset:         100
        .size:           2
        .value_kind:     hidden_group_size_x
      - .offset:         102
        .size:           2
        .value_kind:     hidden_group_size_y
      - .offset:         104
        .size:           2
        .value_kind:     hidden_group_size_z
      - .offset:         106
        .size:           2
        .value_kind:     hidden_remainder_x
      - .offset:         108
        .size:           2
        .value_kind:     hidden_remainder_y
      - .offset:         110
        .size:           2
        .value_kind:     hidden_remainder_z
      - .offset:         128
        .size:           8
        .value_kind:     hidden_global_offset_x
      - .offset:         136
        .size:           8
        .value_kind:     hidden_global_offset_y
      - .offset:         144
        .size:           8
        .value_kind:     hidden_global_offset_z
      - .offset:         152
        .size:           2
        .value_kind:     hidden_grid_dims
      - .offset:         168
        .size:           8
        .value_kind:     hidden_hostcall_buffer
      - .offset:         176
        .size:           8
        .value_kind:     hidden_multigrid_sync_arg
      - .offset:         184
        .size:           8
        .value_kind:     hidden_heap_v1
      - .offset:         192
        .size:           8
        .value_kind:     hidden_default_queue
      - .offset:         200
        .size:           8
        .value_kind:     hidden_completion_action
      - .offset:         288
        .size:           8
        .value_kind:     hidden_queue_ptr
    .group_segment_fixed_size: 10240
    .kernarg_segment_align: 8
    .kernarg_segment_size: 344
    .language:       OpenCL C
    .language_version:
      - 2
      - 0
    .max_flat_workgroup_size: 256
    .name:           _ZN7rocprim17ROCPRIM_400000_NS6detail17trampoline_kernelINS0_14default_configENS1_36segmented_radix_sort_config_selectorIslEEZNS1_25segmented_radix_sort_implIS3_Lb1EPKsPsPKlPlN2at6native12_GLOBAL__N_18offset_tEEE10hipError_tPvRmT1_PNSt15iterator_traitsISK_E10value_typeET2_T3_PNSL_ISQ_E10value_typeET4_jRbjT5_SW_jjP12ihipStream_tbEUlT_E1_NS1_11comp_targetILNS1_3genE0ELNS1_11target_archE4294967295ELNS1_3gpuE0ELNS1_3repE0EEENS1_59segmented_radix_sort_warp_sort_small_config_static_selectorELNS0_4arch9wavefront6targetE0EEEvSK_
    .private_segment_fixed_size: 0
    .sgpr_count:     42
    .sgpr_spill_count: 0
    .symbol:         _ZN7rocprim17ROCPRIM_400000_NS6detail17trampoline_kernelINS0_14default_configENS1_36segmented_radix_sort_config_selectorIslEEZNS1_25segmented_radix_sort_implIS3_Lb1EPKsPsPKlPlN2at6native12_GLOBAL__N_18offset_tEEE10hipError_tPvRmT1_PNSt15iterator_traitsISK_E10value_typeET2_T3_PNSL_ISQ_E10value_typeET4_jRbjT5_SW_jjP12ihipStream_tbEUlT_E1_NS1_11comp_targetILNS1_3genE0ELNS1_11target_archE4294967295ELNS1_3gpuE0ELNS1_3repE0EEENS1_59segmented_radix_sort_warp_sort_small_config_static_selectorELNS0_4arch9wavefront6targetE0EEEvSK_.kd
    .uniform_work_group_size: 1
    .uses_dynamic_stack: false
    .vgpr_count:     53
    .vgpr_spill_count: 0
    .wavefront_size: 32
  - .args:
      - .offset:         0
        .size:           88
        .value_kind:     by_value
    .group_segment_fixed_size: 0
    .kernarg_segment_align: 8
    .kernarg_segment_size: 88
    .language:       OpenCL C
    .language_version:
      - 2
      - 0
    .max_flat_workgroup_size: 256
    .name:           _ZN7rocprim17ROCPRIM_400000_NS6detail17trampoline_kernelINS0_14default_configENS1_36segmented_radix_sort_config_selectorIslEEZNS1_25segmented_radix_sort_implIS3_Lb1EPKsPsPKlPlN2at6native12_GLOBAL__N_18offset_tEEE10hipError_tPvRmT1_PNSt15iterator_traitsISK_E10value_typeET2_T3_PNSL_ISQ_E10value_typeET4_jRbjT5_SW_jjP12ihipStream_tbEUlT_E1_NS1_11comp_targetILNS1_3genE5ELNS1_11target_archE942ELNS1_3gpuE9ELNS1_3repE0EEENS1_59segmented_radix_sort_warp_sort_small_config_static_selectorELNS0_4arch9wavefront6targetE0EEEvSK_
    .private_segment_fixed_size: 0
    .sgpr_count:     0
    .sgpr_spill_count: 0
    .symbol:         _ZN7rocprim17ROCPRIM_400000_NS6detail17trampoline_kernelINS0_14default_configENS1_36segmented_radix_sort_config_selectorIslEEZNS1_25segmented_radix_sort_implIS3_Lb1EPKsPsPKlPlN2at6native12_GLOBAL__N_18offset_tEEE10hipError_tPvRmT1_PNSt15iterator_traitsISK_E10value_typeET2_T3_PNSL_ISQ_E10value_typeET4_jRbjT5_SW_jjP12ihipStream_tbEUlT_E1_NS1_11comp_targetILNS1_3genE5ELNS1_11target_archE942ELNS1_3gpuE9ELNS1_3repE0EEENS1_59segmented_radix_sort_warp_sort_small_config_static_selectorELNS0_4arch9wavefront6targetE0EEEvSK_.kd
    .uniform_work_group_size: 1
    .uses_dynamic_stack: false
    .vgpr_count:     0
    .vgpr_spill_count: 0
    .wavefront_size: 32
  - .args:
      - .offset:         0
        .size:           88
        .value_kind:     by_value
    .group_segment_fixed_size: 0
    .kernarg_segment_align: 8
    .kernarg_segment_size: 88
    .language:       OpenCL C
    .language_version:
      - 2
      - 0
    .max_flat_workgroup_size: 256
    .name:           _ZN7rocprim17ROCPRIM_400000_NS6detail17trampoline_kernelINS0_14default_configENS1_36segmented_radix_sort_config_selectorIslEEZNS1_25segmented_radix_sort_implIS3_Lb1EPKsPsPKlPlN2at6native12_GLOBAL__N_18offset_tEEE10hipError_tPvRmT1_PNSt15iterator_traitsISK_E10value_typeET2_T3_PNSL_ISQ_E10value_typeET4_jRbjT5_SW_jjP12ihipStream_tbEUlT_E1_NS1_11comp_targetILNS1_3genE4ELNS1_11target_archE910ELNS1_3gpuE8ELNS1_3repE0EEENS1_59segmented_radix_sort_warp_sort_small_config_static_selectorELNS0_4arch9wavefront6targetE0EEEvSK_
    .private_segment_fixed_size: 0
    .sgpr_count:     0
    .sgpr_spill_count: 0
    .symbol:         _ZN7rocprim17ROCPRIM_400000_NS6detail17trampoline_kernelINS0_14default_configENS1_36segmented_radix_sort_config_selectorIslEEZNS1_25segmented_radix_sort_implIS3_Lb1EPKsPsPKlPlN2at6native12_GLOBAL__N_18offset_tEEE10hipError_tPvRmT1_PNSt15iterator_traitsISK_E10value_typeET2_T3_PNSL_ISQ_E10value_typeET4_jRbjT5_SW_jjP12ihipStream_tbEUlT_E1_NS1_11comp_targetILNS1_3genE4ELNS1_11target_archE910ELNS1_3gpuE8ELNS1_3repE0EEENS1_59segmented_radix_sort_warp_sort_small_config_static_selectorELNS0_4arch9wavefront6targetE0EEEvSK_.kd
    .uniform_work_group_size: 1
    .uses_dynamic_stack: false
    .vgpr_count:     0
    .vgpr_spill_count: 0
    .wavefront_size: 32
  - .args:
      - .offset:         0
        .size:           88
        .value_kind:     by_value
    .group_segment_fixed_size: 0
    .kernarg_segment_align: 8
    .kernarg_segment_size: 88
    .language:       OpenCL C
    .language_version:
      - 2
      - 0
    .max_flat_workgroup_size: 256
    .name:           _ZN7rocprim17ROCPRIM_400000_NS6detail17trampoline_kernelINS0_14default_configENS1_36segmented_radix_sort_config_selectorIslEEZNS1_25segmented_radix_sort_implIS3_Lb1EPKsPsPKlPlN2at6native12_GLOBAL__N_18offset_tEEE10hipError_tPvRmT1_PNSt15iterator_traitsISK_E10value_typeET2_T3_PNSL_ISQ_E10value_typeET4_jRbjT5_SW_jjP12ihipStream_tbEUlT_E1_NS1_11comp_targetILNS1_3genE3ELNS1_11target_archE908ELNS1_3gpuE7ELNS1_3repE0EEENS1_59segmented_radix_sort_warp_sort_small_config_static_selectorELNS0_4arch9wavefront6targetE0EEEvSK_
    .private_segment_fixed_size: 0
    .sgpr_count:     0
    .sgpr_spill_count: 0
    .symbol:         _ZN7rocprim17ROCPRIM_400000_NS6detail17trampoline_kernelINS0_14default_configENS1_36segmented_radix_sort_config_selectorIslEEZNS1_25segmented_radix_sort_implIS3_Lb1EPKsPsPKlPlN2at6native12_GLOBAL__N_18offset_tEEE10hipError_tPvRmT1_PNSt15iterator_traitsISK_E10value_typeET2_T3_PNSL_ISQ_E10value_typeET4_jRbjT5_SW_jjP12ihipStream_tbEUlT_E1_NS1_11comp_targetILNS1_3genE3ELNS1_11target_archE908ELNS1_3gpuE7ELNS1_3repE0EEENS1_59segmented_radix_sort_warp_sort_small_config_static_selectorELNS0_4arch9wavefront6targetE0EEEvSK_.kd
    .uniform_work_group_size: 1
    .uses_dynamic_stack: false
    .vgpr_count:     0
    .vgpr_spill_count: 0
    .wavefront_size: 32
  - .args:
      - .offset:         0
        .size:           88
        .value_kind:     by_value
    .group_segment_fixed_size: 0
    .kernarg_segment_align: 8
    .kernarg_segment_size: 88
    .language:       OpenCL C
    .language_version:
      - 2
      - 0
    .max_flat_workgroup_size: 256
    .name:           _ZN7rocprim17ROCPRIM_400000_NS6detail17trampoline_kernelINS0_14default_configENS1_36segmented_radix_sort_config_selectorIslEEZNS1_25segmented_radix_sort_implIS3_Lb1EPKsPsPKlPlN2at6native12_GLOBAL__N_18offset_tEEE10hipError_tPvRmT1_PNSt15iterator_traitsISK_E10value_typeET2_T3_PNSL_ISQ_E10value_typeET4_jRbjT5_SW_jjP12ihipStream_tbEUlT_E1_NS1_11comp_targetILNS1_3genE2ELNS1_11target_archE906ELNS1_3gpuE6ELNS1_3repE0EEENS1_59segmented_radix_sort_warp_sort_small_config_static_selectorELNS0_4arch9wavefront6targetE0EEEvSK_
    .private_segment_fixed_size: 0
    .sgpr_count:     0
    .sgpr_spill_count: 0
    .symbol:         _ZN7rocprim17ROCPRIM_400000_NS6detail17trampoline_kernelINS0_14default_configENS1_36segmented_radix_sort_config_selectorIslEEZNS1_25segmented_radix_sort_implIS3_Lb1EPKsPsPKlPlN2at6native12_GLOBAL__N_18offset_tEEE10hipError_tPvRmT1_PNSt15iterator_traitsISK_E10value_typeET2_T3_PNSL_ISQ_E10value_typeET4_jRbjT5_SW_jjP12ihipStream_tbEUlT_E1_NS1_11comp_targetILNS1_3genE2ELNS1_11target_archE906ELNS1_3gpuE6ELNS1_3repE0EEENS1_59segmented_radix_sort_warp_sort_small_config_static_selectorELNS0_4arch9wavefront6targetE0EEEvSK_.kd
    .uniform_work_group_size: 1
    .uses_dynamic_stack: false
    .vgpr_count:     0
    .vgpr_spill_count: 0
    .wavefront_size: 32
  - .args:
      - .offset:         0
        .size:           88
        .value_kind:     by_value
    .group_segment_fixed_size: 0
    .kernarg_segment_align: 8
    .kernarg_segment_size: 88
    .language:       OpenCL C
    .language_version:
      - 2
      - 0
    .max_flat_workgroup_size: 256
    .name:           _ZN7rocprim17ROCPRIM_400000_NS6detail17trampoline_kernelINS0_14default_configENS1_36segmented_radix_sort_config_selectorIslEEZNS1_25segmented_radix_sort_implIS3_Lb1EPKsPsPKlPlN2at6native12_GLOBAL__N_18offset_tEEE10hipError_tPvRmT1_PNSt15iterator_traitsISK_E10value_typeET2_T3_PNSL_ISQ_E10value_typeET4_jRbjT5_SW_jjP12ihipStream_tbEUlT_E1_NS1_11comp_targetILNS1_3genE10ELNS1_11target_archE1201ELNS1_3gpuE5ELNS1_3repE0EEENS1_59segmented_radix_sort_warp_sort_small_config_static_selectorELNS0_4arch9wavefront6targetE0EEEvSK_
    .private_segment_fixed_size: 0
    .sgpr_count:     0
    .sgpr_spill_count: 0
    .symbol:         _ZN7rocprim17ROCPRIM_400000_NS6detail17trampoline_kernelINS0_14default_configENS1_36segmented_radix_sort_config_selectorIslEEZNS1_25segmented_radix_sort_implIS3_Lb1EPKsPsPKlPlN2at6native12_GLOBAL__N_18offset_tEEE10hipError_tPvRmT1_PNSt15iterator_traitsISK_E10value_typeET2_T3_PNSL_ISQ_E10value_typeET4_jRbjT5_SW_jjP12ihipStream_tbEUlT_E1_NS1_11comp_targetILNS1_3genE10ELNS1_11target_archE1201ELNS1_3gpuE5ELNS1_3repE0EEENS1_59segmented_radix_sort_warp_sort_small_config_static_selectorELNS0_4arch9wavefront6targetE0EEEvSK_.kd
    .uniform_work_group_size: 1
    .uses_dynamic_stack: false
    .vgpr_count:     0
    .vgpr_spill_count: 0
    .wavefront_size: 32
  - .args:
      - .offset:         0
        .size:           88
        .value_kind:     by_value
    .group_segment_fixed_size: 0
    .kernarg_segment_align: 8
    .kernarg_segment_size: 88
    .language:       OpenCL C
    .language_version:
      - 2
      - 0
    .max_flat_workgroup_size: 256
    .name:           _ZN7rocprim17ROCPRIM_400000_NS6detail17trampoline_kernelINS0_14default_configENS1_36segmented_radix_sort_config_selectorIslEEZNS1_25segmented_radix_sort_implIS3_Lb1EPKsPsPKlPlN2at6native12_GLOBAL__N_18offset_tEEE10hipError_tPvRmT1_PNSt15iterator_traitsISK_E10value_typeET2_T3_PNSL_ISQ_E10value_typeET4_jRbjT5_SW_jjP12ihipStream_tbEUlT_E1_NS1_11comp_targetILNS1_3genE10ELNS1_11target_archE1200ELNS1_3gpuE4ELNS1_3repE0EEENS1_59segmented_radix_sort_warp_sort_small_config_static_selectorELNS0_4arch9wavefront6targetE0EEEvSK_
    .private_segment_fixed_size: 0
    .sgpr_count:     0
    .sgpr_spill_count: 0
    .symbol:         _ZN7rocprim17ROCPRIM_400000_NS6detail17trampoline_kernelINS0_14default_configENS1_36segmented_radix_sort_config_selectorIslEEZNS1_25segmented_radix_sort_implIS3_Lb1EPKsPsPKlPlN2at6native12_GLOBAL__N_18offset_tEEE10hipError_tPvRmT1_PNSt15iterator_traitsISK_E10value_typeET2_T3_PNSL_ISQ_E10value_typeET4_jRbjT5_SW_jjP12ihipStream_tbEUlT_E1_NS1_11comp_targetILNS1_3genE10ELNS1_11target_archE1200ELNS1_3gpuE4ELNS1_3repE0EEENS1_59segmented_radix_sort_warp_sort_small_config_static_selectorELNS0_4arch9wavefront6targetE0EEEvSK_.kd
    .uniform_work_group_size: 1
    .uses_dynamic_stack: false
    .vgpr_count:     0
    .vgpr_spill_count: 0
    .wavefront_size: 32
  - .args:
      - .offset:         0
        .size:           88
        .value_kind:     by_value
    .group_segment_fixed_size: 0
    .kernarg_segment_align: 8
    .kernarg_segment_size: 88
    .language:       OpenCL C
    .language_version:
      - 2
      - 0
    .max_flat_workgroup_size: 256
    .name:           _ZN7rocprim17ROCPRIM_400000_NS6detail17trampoline_kernelINS0_14default_configENS1_36segmented_radix_sort_config_selectorIslEEZNS1_25segmented_radix_sort_implIS3_Lb1EPKsPsPKlPlN2at6native12_GLOBAL__N_18offset_tEEE10hipError_tPvRmT1_PNSt15iterator_traitsISK_E10value_typeET2_T3_PNSL_ISQ_E10value_typeET4_jRbjT5_SW_jjP12ihipStream_tbEUlT_E1_NS1_11comp_targetILNS1_3genE9ELNS1_11target_archE1100ELNS1_3gpuE3ELNS1_3repE0EEENS1_59segmented_radix_sort_warp_sort_small_config_static_selectorELNS0_4arch9wavefront6targetE0EEEvSK_
    .private_segment_fixed_size: 0
    .sgpr_count:     0
    .sgpr_spill_count: 0
    .symbol:         _ZN7rocprim17ROCPRIM_400000_NS6detail17trampoline_kernelINS0_14default_configENS1_36segmented_radix_sort_config_selectorIslEEZNS1_25segmented_radix_sort_implIS3_Lb1EPKsPsPKlPlN2at6native12_GLOBAL__N_18offset_tEEE10hipError_tPvRmT1_PNSt15iterator_traitsISK_E10value_typeET2_T3_PNSL_ISQ_E10value_typeET4_jRbjT5_SW_jjP12ihipStream_tbEUlT_E1_NS1_11comp_targetILNS1_3genE9ELNS1_11target_archE1100ELNS1_3gpuE3ELNS1_3repE0EEENS1_59segmented_radix_sort_warp_sort_small_config_static_selectorELNS0_4arch9wavefront6targetE0EEEvSK_.kd
    .uniform_work_group_size: 1
    .uses_dynamic_stack: false
    .vgpr_count:     0
    .vgpr_spill_count: 0
    .wavefront_size: 32
  - .args:
      - .offset:         0
        .size:           88
        .value_kind:     by_value
    .group_segment_fixed_size: 0
    .kernarg_segment_align: 8
    .kernarg_segment_size: 88
    .language:       OpenCL C
    .language_version:
      - 2
      - 0
    .max_flat_workgroup_size: 256
    .name:           _ZN7rocprim17ROCPRIM_400000_NS6detail17trampoline_kernelINS0_14default_configENS1_36segmented_radix_sort_config_selectorIslEEZNS1_25segmented_radix_sort_implIS3_Lb1EPKsPsPKlPlN2at6native12_GLOBAL__N_18offset_tEEE10hipError_tPvRmT1_PNSt15iterator_traitsISK_E10value_typeET2_T3_PNSL_ISQ_E10value_typeET4_jRbjT5_SW_jjP12ihipStream_tbEUlT_E1_NS1_11comp_targetILNS1_3genE8ELNS1_11target_archE1030ELNS1_3gpuE2ELNS1_3repE0EEENS1_59segmented_radix_sort_warp_sort_small_config_static_selectorELNS0_4arch9wavefront6targetE0EEEvSK_
    .private_segment_fixed_size: 0
    .sgpr_count:     0
    .sgpr_spill_count: 0
    .symbol:         _ZN7rocprim17ROCPRIM_400000_NS6detail17trampoline_kernelINS0_14default_configENS1_36segmented_radix_sort_config_selectorIslEEZNS1_25segmented_radix_sort_implIS3_Lb1EPKsPsPKlPlN2at6native12_GLOBAL__N_18offset_tEEE10hipError_tPvRmT1_PNSt15iterator_traitsISK_E10value_typeET2_T3_PNSL_ISQ_E10value_typeET4_jRbjT5_SW_jjP12ihipStream_tbEUlT_E1_NS1_11comp_targetILNS1_3genE8ELNS1_11target_archE1030ELNS1_3gpuE2ELNS1_3repE0EEENS1_59segmented_radix_sort_warp_sort_small_config_static_selectorELNS0_4arch9wavefront6targetE0EEEvSK_.kd
    .uniform_work_group_size: 1
    .uses_dynamic_stack: false
    .vgpr_count:     0
    .vgpr_spill_count: 0
    .wavefront_size: 32
  - .args:
      - .offset:         0
        .size:           80
        .value_kind:     by_value
      - .offset:         80
        .size:           4
        .value_kind:     hidden_block_count_x
      - .offset:         84
        .size:           4
        .value_kind:     hidden_block_count_y
      - .offset:         88
        .size:           4
        .value_kind:     hidden_block_count_z
      - .offset:         92
        .size:           2
        .value_kind:     hidden_group_size_x
      - .offset:         94
        .size:           2
        .value_kind:     hidden_group_size_y
      - .offset:         96
        .size:           2
        .value_kind:     hidden_group_size_z
      - .offset:         98
        .size:           2
        .value_kind:     hidden_remainder_x
      - .offset:         100
        .size:           2
        .value_kind:     hidden_remainder_y
      - .offset:         102
        .size:           2
        .value_kind:     hidden_remainder_z
      - .offset:         120
        .size:           8
        .value_kind:     hidden_global_offset_x
      - .offset:         128
        .size:           8
        .value_kind:     hidden_global_offset_y
      - .offset:         136
        .size:           8
        .value_kind:     hidden_global_offset_z
      - .offset:         144
        .size:           2
        .value_kind:     hidden_grid_dims
      - .offset:         160
        .size:           8
        .value_kind:     hidden_hostcall_buffer
      - .offset:         168
        .size:           8
        .value_kind:     hidden_multigrid_sync_arg
      - .offset:         176
        .size:           8
        .value_kind:     hidden_heap_v1
      - .offset:         184
        .size:           8
        .value_kind:     hidden_default_queue
      - .offset:         192
        .size:           8
        .value_kind:     hidden_completion_action
      - .offset:         280
        .size:           8
        .value_kind:     hidden_queue_ptr
    .group_segment_fixed_size: 35344
    .kernarg_segment_align: 8
    .kernarg_segment_size: 336
    .language:       OpenCL C
    .language_version:
      - 2
      - 0
    .max_flat_workgroup_size: 256
    .name:           _ZN7rocprim17ROCPRIM_400000_NS6detail17trampoline_kernelINS0_14default_configENS1_36segmented_radix_sort_config_selectorIslEEZNS1_25segmented_radix_sort_implIS3_Lb1EPKsPsPKlPlN2at6native12_GLOBAL__N_18offset_tEEE10hipError_tPvRmT1_PNSt15iterator_traitsISK_E10value_typeET2_T3_PNSL_ISQ_E10value_typeET4_jRbjT5_SW_jjP12ihipStream_tbEUlT_E2_NS1_11comp_targetILNS1_3genE0ELNS1_11target_archE4294967295ELNS1_3gpuE0ELNS1_3repE0EEENS1_30default_config_static_selectorELNS0_4arch9wavefront6targetE0EEEvSK_
    .private_segment_fixed_size: 0
    .sgpr_count:     63
    .sgpr_spill_count: 0
    .symbol:         _ZN7rocprim17ROCPRIM_400000_NS6detail17trampoline_kernelINS0_14default_configENS1_36segmented_radix_sort_config_selectorIslEEZNS1_25segmented_radix_sort_implIS3_Lb1EPKsPsPKlPlN2at6native12_GLOBAL__N_18offset_tEEE10hipError_tPvRmT1_PNSt15iterator_traitsISK_E10value_typeET2_T3_PNSL_ISQ_E10value_typeET4_jRbjT5_SW_jjP12ihipStream_tbEUlT_E2_NS1_11comp_targetILNS1_3genE0ELNS1_11target_archE4294967295ELNS1_3gpuE0ELNS1_3repE0EEENS1_30default_config_static_selectorELNS0_4arch9wavefront6targetE0EEEvSK_.kd
    .uniform_work_group_size: 1
    .uses_dynamic_stack: false
    .vgpr_count:     304
    .vgpr_spill_count: 0
    .wavefront_size: 32
  - .args:
      - .offset:         0
        .size:           80
        .value_kind:     by_value
    .group_segment_fixed_size: 0
    .kernarg_segment_align: 8
    .kernarg_segment_size: 80
    .language:       OpenCL C
    .language_version:
      - 2
      - 0
    .max_flat_workgroup_size: 256
    .name:           _ZN7rocprim17ROCPRIM_400000_NS6detail17trampoline_kernelINS0_14default_configENS1_36segmented_radix_sort_config_selectorIslEEZNS1_25segmented_radix_sort_implIS3_Lb1EPKsPsPKlPlN2at6native12_GLOBAL__N_18offset_tEEE10hipError_tPvRmT1_PNSt15iterator_traitsISK_E10value_typeET2_T3_PNSL_ISQ_E10value_typeET4_jRbjT5_SW_jjP12ihipStream_tbEUlT_E2_NS1_11comp_targetILNS1_3genE5ELNS1_11target_archE942ELNS1_3gpuE9ELNS1_3repE0EEENS1_30default_config_static_selectorELNS0_4arch9wavefront6targetE0EEEvSK_
    .private_segment_fixed_size: 0
    .sgpr_count:     0
    .sgpr_spill_count: 0
    .symbol:         _ZN7rocprim17ROCPRIM_400000_NS6detail17trampoline_kernelINS0_14default_configENS1_36segmented_radix_sort_config_selectorIslEEZNS1_25segmented_radix_sort_implIS3_Lb1EPKsPsPKlPlN2at6native12_GLOBAL__N_18offset_tEEE10hipError_tPvRmT1_PNSt15iterator_traitsISK_E10value_typeET2_T3_PNSL_ISQ_E10value_typeET4_jRbjT5_SW_jjP12ihipStream_tbEUlT_E2_NS1_11comp_targetILNS1_3genE5ELNS1_11target_archE942ELNS1_3gpuE9ELNS1_3repE0EEENS1_30default_config_static_selectorELNS0_4arch9wavefront6targetE0EEEvSK_.kd
    .uniform_work_group_size: 1
    .uses_dynamic_stack: false
    .vgpr_count:     0
    .vgpr_spill_count: 0
    .wavefront_size: 32
  - .args:
      - .offset:         0
        .size:           80
        .value_kind:     by_value
    .group_segment_fixed_size: 0
    .kernarg_segment_align: 8
    .kernarg_segment_size: 80
    .language:       OpenCL C
    .language_version:
      - 2
      - 0
    .max_flat_workgroup_size: 256
    .name:           _ZN7rocprim17ROCPRIM_400000_NS6detail17trampoline_kernelINS0_14default_configENS1_36segmented_radix_sort_config_selectorIslEEZNS1_25segmented_radix_sort_implIS3_Lb1EPKsPsPKlPlN2at6native12_GLOBAL__N_18offset_tEEE10hipError_tPvRmT1_PNSt15iterator_traitsISK_E10value_typeET2_T3_PNSL_ISQ_E10value_typeET4_jRbjT5_SW_jjP12ihipStream_tbEUlT_E2_NS1_11comp_targetILNS1_3genE4ELNS1_11target_archE910ELNS1_3gpuE8ELNS1_3repE0EEENS1_30default_config_static_selectorELNS0_4arch9wavefront6targetE0EEEvSK_
    .private_segment_fixed_size: 0
    .sgpr_count:     0
    .sgpr_spill_count: 0
    .symbol:         _ZN7rocprim17ROCPRIM_400000_NS6detail17trampoline_kernelINS0_14default_configENS1_36segmented_radix_sort_config_selectorIslEEZNS1_25segmented_radix_sort_implIS3_Lb1EPKsPsPKlPlN2at6native12_GLOBAL__N_18offset_tEEE10hipError_tPvRmT1_PNSt15iterator_traitsISK_E10value_typeET2_T3_PNSL_ISQ_E10value_typeET4_jRbjT5_SW_jjP12ihipStream_tbEUlT_E2_NS1_11comp_targetILNS1_3genE4ELNS1_11target_archE910ELNS1_3gpuE8ELNS1_3repE0EEENS1_30default_config_static_selectorELNS0_4arch9wavefront6targetE0EEEvSK_.kd
    .uniform_work_group_size: 1
    .uses_dynamic_stack: false
    .vgpr_count:     0
    .vgpr_spill_count: 0
    .wavefront_size: 32
  - .args:
      - .offset:         0
        .size:           80
        .value_kind:     by_value
    .group_segment_fixed_size: 0
    .kernarg_segment_align: 8
    .kernarg_segment_size: 80
    .language:       OpenCL C
    .language_version:
      - 2
      - 0
    .max_flat_workgroup_size: 256
    .name:           _ZN7rocprim17ROCPRIM_400000_NS6detail17trampoline_kernelINS0_14default_configENS1_36segmented_radix_sort_config_selectorIslEEZNS1_25segmented_radix_sort_implIS3_Lb1EPKsPsPKlPlN2at6native12_GLOBAL__N_18offset_tEEE10hipError_tPvRmT1_PNSt15iterator_traitsISK_E10value_typeET2_T3_PNSL_ISQ_E10value_typeET4_jRbjT5_SW_jjP12ihipStream_tbEUlT_E2_NS1_11comp_targetILNS1_3genE3ELNS1_11target_archE908ELNS1_3gpuE7ELNS1_3repE0EEENS1_30default_config_static_selectorELNS0_4arch9wavefront6targetE0EEEvSK_
    .private_segment_fixed_size: 0
    .sgpr_count:     0
    .sgpr_spill_count: 0
    .symbol:         _ZN7rocprim17ROCPRIM_400000_NS6detail17trampoline_kernelINS0_14default_configENS1_36segmented_radix_sort_config_selectorIslEEZNS1_25segmented_radix_sort_implIS3_Lb1EPKsPsPKlPlN2at6native12_GLOBAL__N_18offset_tEEE10hipError_tPvRmT1_PNSt15iterator_traitsISK_E10value_typeET2_T3_PNSL_ISQ_E10value_typeET4_jRbjT5_SW_jjP12ihipStream_tbEUlT_E2_NS1_11comp_targetILNS1_3genE3ELNS1_11target_archE908ELNS1_3gpuE7ELNS1_3repE0EEENS1_30default_config_static_selectorELNS0_4arch9wavefront6targetE0EEEvSK_.kd
    .uniform_work_group_size: 1
    .uses_dynamic_stack: false
    .vgpr_count:     0
    .vgpr_spill_count: 0
    .wavefront_size: 32
  - .args:
      - .offset:         0
        .size:           80
        .value_kind:     by_value
    .group_segment_fixed_size: 0
    .kernarg_segment_align: 8
    .kernarg_segment_size: 80
    .language:       OpenCL C
    .language_version:
      - 2
      - 0
    .max_flat_workgroup_size: 256
    .name:           _ZN7rocprim17ROCPRIM_400000_NS6detail17trampoline_kernelINS0_14default_configENS1_36segmented_radix_sort_config_selectorIslEEZNS1_25segmented_radix_sort_implIS3_Lb1EPKsPsPKlPlN2at6native12_GLOBAL__N_18offset_tEEE10hipError_tPvRmT1_PNSt15iterator_traitsISK_E10value_typeET2_T3_PNSL_ISQ_E10value_typeET4_jRbjT5_SW_jjP12ihipStream_tbEUlT_E2_NS1_11comp_targetILNS1_3genE2ELNS1_11target_archE906ELNS1_3gpuE6ELNS1_3repE0EEENS1_30default_config_static_selectorELNS0_4arch9wavefront6targetE0EEEvSK_
    .private_segment_fixed_size: 0
    .sgpr_count:     0
    .sgpr_spill_count: 0
    .symbol:         _ZN7rocprim17ROCPRIM_400000_NS6detail17trampoline_kernelINS0_14default_configENS1_36segmented_radix_sort_config_selectorIslEEZNS1_25segmented_radix_sort_implIS3_Lb1EPKsPsPKlPlN2at6native12_GLOBAL__N_18offset_tEEE10hipError_tPvRmT1_PNSt15iterator_traitsISK_E10value_typeET2_T3_PNSL_ISQ_E10value_typeET4_jRbjT5_SW_jjP12ihipStream_tbEUlT_E2_NS1_11comp_targetILNS1_3genE2ELNS1_11target_archE906ELNS1_3gpuE6ELNS1_3repE0EEENS1_30default_config_static_selectorELNS0_4arch9wavefront6targetE0EEEvSK_.kd
    .uniform_work_group_size: 1
    .uses_dynamic_stack: false
    .vgpr_count:     0
    .vgpr_spill_count: 0
    .wavefront_size: 32
  - .args:
      - .offset:         0
        .size:           80
        .value_kind:     by_value
    .group_segment_fixed_size: 0
    .kernarg_segment_align: 8
    .kernarg_segment_size: 80
    .language:       OpenCL C
    .language_version:
      - 2
      - 0
    .max_flat_workgroup_size: 256
    .name:           _ZN7rocprim17ROCPRIM_400000_NS6detail17trampoline_kernelINS0_14default_configENS1_36segmented_radix_sort_config_selectorIslEEZNS1_25segmented_radix_sort_implIS3_Lb1EPKsPsPKlPlN2at6native12_GLOBAL__N_18offset_tEEE10hipError_tPvRmT1_PNSt15iterator_traitsISK_E10value_typeET2_T3_PNSL_ISQ_E10value_typeET4_jRbjT5_SW_jjP12ihipStream_tbEUlT_E2_NS1_11comp_targetILNS1_3genE10ELNS1_11target_archE1201ELNS1_3gpuE5ELNS1_3repE0EEENS1_30default_config_static_selectorELNS0_4arch9wavefront6targetE0EEEvSK_
    .private_segment_fixed_size: 0
    .sgpr_count:     0
    .sgpr_spill_count: 0
    .symbol:         _ZN7rocprim17ROCPRIM_400000_NS6detail17trampoline_kernelINS0_14default_configENS1_36segmented_radix_sort_config_selectorIslEEZNS1_25segmented_radix_sort_implIS3_Lb1EPKsPsPKlPlN2at6native12_GLOBAL__N_18offset_tEEE10hipError_tPvRmT1_PNSt15iterator_traitsISK_E10value_typeET2_T3_PNSL_ISQ_E10value_typeET4_jRbjT5_SW_jjP12ihipStream_tbEUlT_E2_NS1_11comp_targetILNS1_3genE10ELNS1_11target_archE1201ELNS1_3gpuE5ELNS1_3repE0EEENS1_30default_config_static_selectorELNS0_4arch9wavefront6targetE0EEEvSK_.kd
    .uniform_work_group_size: 1
    .uses_dynamic_stack: false
    .vgpr_count:     0
    .vgpr_spill_count: 0
    .wavefront_size: 32
  - .args:
      - .offset:         0
        .size:           80
        .value_kind:     by_value
    .group_segment_fixed_size: 0
    .kernarg_segment_align: 8
    .kernarg_segment_size: 80
    .language:       OpenCL C
    .language_version:
      - 2
      - 0
    .max_flat_workgroup_size: 128
    .name:           _ZN7rocprim17ROCPRIM_400000_NS6detail17trampoline_kernelINS0_14default_configENS1_36segmented_radix_sort_config_selectorIslEEZNS1_25segmented_radix_sort_implIS3_Lb1EPKsPsPKlPlN2at6native12_GLOBAL__N_18offset_tEEE10hipError_tPvRmT1_PNSt15iterator_traitsISK_E10value_typeET2_T3_PNSL_ISQ_E10value_typeET4_jRbjT5_SW_jjP12ihipStream_tbEUlT_E2_NS1_11comp_targetILNS1_3genE10ELNS1_11target_archE1200ELNS1_3gpuE4ELNS1_3repE0EEENS1_30default_config_static_selectorELNS0_4arch9wavefront6targetE0EEEvSK_
    .private_segment_fixed_size: 0
    .sgpr_count:     0
    .sgpr_spill_count: 0
    .symbol:         _ZN7rocprim17ROCPRIM_400000_NS6detail17trampoline_kernelINS0_14default_configENS1_36segmented_radix_sort_config_selectorIslEEZNS1_25segmented_radix_sort_implIS3_Lb1EPKsPsPKlPlN2at6native12_GLOBAL__N_18offset_tEEE10hipError_tPvRmT1_PNSt15iterator_traitsISK_E10value_typeET2_T3_PNSL_ISQ_E10value_typeET4_jRbjT5_SW_jjP12ihipStream_tbEUlT_E2_NS1_11comp_targetILNS1_3genE10ELNS1_11target_archE1200ELNS1_3gpuE4ELNS1_3repE0EEENS1_30default_config_static_selectorELNS0_4arch9wavefront6targetE0EEEvSK_.kd
    .uniform_work_group_size: 1
    .uses_dynamic_stack: false
    .vgpr_count:     0
    .vgpr_spill_count: 0
    .wavefront_size: 32
  - .args:
      - .offset:         0
        .size:           80
        .value_kind:     by_value
    .group_segment_fixed_size: 0
    .kernarg_segment_align: 8
    .kernarg_segment_size: 80
    .language:       OpenCL C
    .language_version:
      - 2
      - 0
    .max_flat_workgroup_size: 256
    .name:           _ZN7rocprim17ROCPRIM_400000_NS6detail17trampoline_kernelINS0_14default_configENS1_36segmented_radix_sort_config_selectorIslEEZNS1_25segmented_radix_sort_implIS3_Lb1EPKsPsPKlPlN2at6native12_GLOBAL__N_18offset_tEEE10hipError_tPvRmT1_PNSt15iterator_traitsISK_E10value_typeET2_T3_PNSL_ISQ_E10value_typeET4_jRbjT5_SW_jjP12ihipStream_tbEUlT_E2_NS1_11comp_targetILNS1_3genE9ELNS1_11target_archE1100ELNS1_3gpuE3ELNS1_3repE0EEENS1_30default_config_static_selectorELNS0_4arch9wavefront6targetE0EEEvSK_
    .private_segment_fixed_size: 0
    .sgpr_count:     0
    .sgpr_spill_count: 0
    .symbol:         _ZN7rocprim17ROCPRIM_400000_NS6detail17trampoline_kernelINS0_14default_configENS1_36segmented_radix_sort_config_selectorIslEEZNS1_25segmented_radix_sort_implIS3_Lb1EPKsPsPKlPlN2at6native12_GLOBAL__N_18offset_tEEE10hipError_tPvRmT1_PNSt15iterator_traitsISK_E10value_typeET2_T3_PNSL_ISQ_E10value_typeET4_jRbjT5_SW_jjP12ihipStream_tbEUlT_E2_NS1_11comp_targetILNS1_3genE9ELNS1_11target_archE1100ELNS1_3gpuE3ELNS1_3repE0EEENS1_30default_config_static_selectorELNS0_4arch9wavefront6targetE0EEEvSK_.kd
    .uniform_work_group_size: 1
    .uses_dynamic_stack: false
    .vgpr_count:     0
    .vgpr_spill_count: 0
    .wavefront_size: 32
  - .args:
      - .offset:         0
        .size:           80
        .value_kind:     by_value
    .group_segment_fixed_size: 0
    .kernarg_segment_align: 8
    .kernarg_segment_size: 80
    .language:       OpenCL C
    .language_version:
      - 2
      - 0
    .max_flat_workgroup_size: 256
    .name:           _ZN7rocprim17ROCPRIM_400000_NS6detail17trampoline_kernelINS0_14default_configENS1_36segmented_radix_sort_config_selectorIslEEZNS1_25segmented_radix_sort_implIS3_Lb1EPKsPsPKlPlN2at6native12_GLOBAL__N_18offset_tEEE10hipError_tPvRmT1_PNSt15iterator_traitsISK_E10value_typeET2_T3_PNSL_ISQ_E10value_typeET4_jRbjT5_SW_jjP12ihipStream_tbEUlT_E2_NS1_11comp_targetILNS1_3genE8ELNS1_11target_archE1030ELNS1_3gpuE2ELNS1_3repE0EEENS1_30default_config_static_selectorELNS0_4arch9wavefront6targetE0EEEvSK_
    .private_segment_fixed_size: 0
    .sgpr_count:     0
    .sgpr_spill_count: 0
    .symbol:         _ZN7rocprim17ROCPRIM_400000_NS6detail17trampoline_kernelINS0_14default_configENS1_36segmented_radix_sort_config_selectorIslEEZNS1_25segmented_radix_sort_implIS3_Lb1EPKsPsPKlPlN2at6native12_GLOBAL__N_18offset_tEEE10hipError_tPvRmT1_PNSt15iterator_traitsISK_E10value_typeET2_T3_PNSL_ISQ_E10value_typeET4_jRbjT5_SW_jjP12ihipStream_tbEUlT_E2_NS1_11comp_targetILNS1_3genE8ELNS1_11target_archE1030ELNS1_3gpuE2ELNS1_3repE0EEENS1_30default_config_static_selectorELNS0_4arch9wavefront6targetE0EEEvSK_.kd
    .uniform_work_group_size: 1
    .uses_dynamic_stack: false
    .vgpr_count:     0
    .vgpr_spill_count: 0
    .wavefront_size: 32
  - .args:
      - .offset:         0
        .size:           176
        .value_kind:     by_value
    .group_segment_fixed_size: 13328
    .kernarg_segment_align: 8
    .kernarg_segment_size: 176
    .language:       OpenCL C
    .language_version:
      - 2
      - 0
    .max_flat_workgroup_size: 256
    .name:           _ZN7rocprim17ROCPRIM_400000_NS6detail17trampoline_kernelINS0_13select_configILj256ELj13ELNS0_17block_load_methodE3ELS4_3ELS4_3ELNS0_20block_scan_algorithmE0ELj4294967295EEENS1_25partition_config_selectorILNS1_17partition_subalgoE4EjNS0_10empty_typeEbEEZZNS1_14partition_implILS8_4ELb0ES6_15HIP_vector_typeIjLj2EENS0_17counting_iteratorIjlEEPS9_SG_NS0_5tupleIJPjSI_NS0_16reverse_iteratorISI_EEEEENSH_IJSG_SG_SG_EEES9_SI_JZNS1_25segmented_radix_sort_implINS0_14default_configELb0EPKsPsPKlPlN2at6native12_GLOBAL__N_18offset_tEEE10hipError_tPvRmT1_PNSt15iterator_traitsIS12_E10value_typeET2_T3_PNS13_IS18_E10value_typeET4_jRbjT5_S1E_jjP12ihipStream_tbEUljE_ZNSN_ISO_Lb0ESQ_SR_ST_SU_SY_EESZ_S10_S11_S12_S16_S17_S18_S1B_S1C_jS1D_jS1E_S1E_jjS1G_bEUljE0_EEESZ_S10_S11_S18_S1C_S1E_T6_T7_T9_mT8_S1G_bDpT10_ENKUlT_T0_E_clISt17integral_constantIbLb0EES1U_EEDaS1P_S1Q_EUlS1P_E_NS1_11comp_targetILNS1_3genE0ELNS1_11target_archE4294967295ELNS1_3gpuE0ELNS1_3repE0EEENS1_30default_config_static_selectorELNS0_4arch9wavefront6targetE0EEEvS12_
    .private_segment_fixed_size: 0
    .sgpr_count:     61
    .sgpr_spill_count: 0
    .symbol:         _ZN7rocprim17ROCPRIM_400000_NS6detail17trampoline_kernelINS0_13select_configILj256ELj13ELNS0_17block_load_methodE3ELS4_3ELS4_3ELNS0_20block_scan_algorithmE0ELj4294967295EEENS1_25partition_config_selectorILNS1_17partition_subalgoE4EjNS0_10empty_typeEbEEZZNS1_14partition_implILS8_4ELb0ES6_15HIP_vector_typeIjLj2EENS0_17counting_iteratorIjlEEPS9_SG_NS0_5tupleIJPjSI_NS0_16reverse_iteratorISI_EEEEENSH_IJSG_SG_SG_EEES9_SI_JZNS1_25segmented_radix_sort_implINS0_14default_configELb0EPKsPsPKlPlN2at6native12_GLOBAL__N_18offset_tEEE10hipError_tPvRmT1_PNSt15iterator_traitsIS12_E10value_typeET2_T3_PNS13_IS18_E10value_typeET4_jRbjT5_S1E_jjP12ihipStream_tbEUljE_ZNSN_ISO_Lb0ESQ_SR_ST_SU_SY_EESZ_S10_S11_S12_S16_S17_S18_S1B_S1C_jS1D_jS1E_S1E_jjS1G_bEUljE0_EEESZ_S10_S11_S18_S1C_S1E_T6_T7_T9_mT8_S1G_bDpT10_ENKUlT_T0_E_clISt17integral_constantIbLb0EES1U_EEDaS1P_S1Q_EUlS1P_E_NS1_11comp_targetILNS1_3genE0ELNS1_11target_archE4294967295ELNS1_3gpuE0ELNS1_3repE0EEENS1_30default_config_static_selectorELNS0_4arch9wavefront6targetE0EEEvS12_.kd
    .uniform_work_group_size: 1
    .uses_dynamic_stack: false
    .vgpr_count:     81
    .vgpr_spill_count: 0
    .wavefront_size: 32
  - .args:
      - .offset:         0
        .size:           176
        .value_kind:     by_value
    .group_segment_fixed_size: 0
    .kernarg_segment_align: 8
    .kernarg_segment_size: 176
    .language:       OpenCL C
    .language_version:
      - 2
      - 0
    .max_flat_workgroup_size: 256
    .name:           _ZN7rocprim17ROCPRIM_400000_NS6detail17trampoline_kernelINS0_13select_configILj256ELj13ELNS0_17block_load_methodE3ELS4_3ELS4_3ELNS0_20block_scan_algorithmE0ELj4294967295EEENS1_25partition_config_selectorILNS1_17partition_subalgoE4EjNS0_10empty_typeEbEEZZNS1_14partition_implILS8_4ELb0ES6_15HIP_vector_typeIjLj2EENS0_17counting_iteratorIjlEEPS9_SG_NS0_5tupleIJPjSI_NS0_16reverse_iteratorISI_EEEEENSH_IJSG_SG_SG_EEES9_SI_JZNS1_25segmented_radix_sort_implINS0_14default_configELb0EPKsPsPKlPlN2at6native12_GLOBAL__N_18offset_tEEE10hipError_tPvRmT1_PNSt15iterator_traitsIS12_E10value_typeET2_T3_PNS13_IS18_E10value_typeET4_jRbjT5_S1E_jjP12ihipStream_tbEUljE_ZNSN_ISO_Lb0ESQ_SR_ST_SU_SY_EESZ_S10_S11_S12_S16_S17_S18_S1B_S1C_jS1D_jS1E_S1E_jjS1G_bEUljE0_EEESZ_S10_S11_S18_S1C_S1E_T6_T7_T9_mT8_S1G_bDpT10_ENKUlT_T0_E_clISt17integral_constantIbLb0EES1U_EEDaS1P_S1Q_EUlS1P_E_NS1_11comp_targetILNS1_3genE5ELNS1_11target_archE942ELNS1_3gpuE9ELNS1_3repE0EEENS1_30default_config_static_selectorELNS0_4arch9wavefront6targetE0EEEvS12_
    .private_segment_fixed_size: 0
    .sgpr_count:     0
    .sgpr_spill_count: 0
    .symbol:         _ZN7rocprim17ROCPRIM_400000_NS6detail17trampoline_kernelINS0_13select_configILj256ELj13ELNS0_17block_load_methodE3ELS4_3ELS4_3ELNS0_20block_scan_algorithmE0ELj4294967295EEENS1_25partition_config_selectorILNS1_17partition_subalgoE4EjNS0_10empty_typeEbEEZZNS1_14partition_implILS8_4ELb0ES6_15HIP_vector_typeIjLj2EENS0_17counting_iteratorIjlEEPS9_SG_NS0_5tupleIJPjSI_NS0_16reverse_iteratorISI_EEEEENSH_IJSG_SG_SG_EEES9_SI_JZNS1_25segmented_radix_sort_implINS0_14default_configELb0EPKsPsPKlPlN2at6native12_GLOBAL__N_18offset_tEEE10hipError_tPvRmT1_PNSt15iterator_traitsIS12_E10value_typeET2_T3_PNS13_IS18_E10value_typeET4_jRbjT5_S1E_jjP12ihipStream_tbEUljE_ZNSN_ISO_Lb0ESQ_SR_ST_SU_SY_EESZ_S10_S11_S12_S16_S17_S18_S1B_S1C_jS1D_jS1E_S1E_jjS1G_bEUljE0_EEESZ_S10_S11_S18_S1C_S1E_T6_T7_T9_mT8_S1G_bDpT10_ENKUlT_T0_E_clISt17integral_constantIbLb0EES1U_EEDaS1P_S1Q_EUlS1P_E_NS1_11comp_targetILNS1_3genE5ELNS1_11target_archE942ELNS1_3gpuE9ELNS1_3repE0EEENS1_30default_config_static_selectorELNS0_4arch9wavefront6targetE0EEEvS12_.kd
    .uniform_work_group_size: 1
    .uses_dynamic_stack: false
    .vgpr_count:     0
    .vgpr_spill_count: 0
    .wavefront_size: 32
  - .args:
      - .offset:         0
        .size:           176
        .value_kind:     by_value
    .group_segment_fixed_size: 0
    .kernarg_segment_align: 8
    .kernarg_segment_size: 176
    .language:       OpenCL C
    .language_version:
      - 2
      - 0
    .max_flat_workgroup_size: 256
    .name:           _ZN7rocprim17ROCPRIM_400000_NS6detail17trampoline_kernelINS0_13select_configILj256ELj13ELNS0_17block_load_methodE3ELS4_3ELS4_3ELNS0_20block_scan_algorithmE0ELj4294967295EEENS1_25partition_config_selectorILNS1_17partition_subalgoE4EjNS0_10empty_typeEbEEZZNS1_14partition_implILS8_4ELb0ES6_15HIP_vector_typeIjLj2EENS0_17counting_iteratorIjlEEPS9_SG_NS0_5tupleIJPjSI_NS0_16reverse_iteratorISI_EEEEENSH_IJSG_SG_SG_EEES9_SI_JZNS1_25segmented_radix_sort_implINS0_14default_configELb0EPKsPsPKlPlN2at6native12_GLOBAL__N_18offset_tEEE10hipError_tPvRmT1_PNSt15iterator_traitsIS12_E10value_typeET2_T3_PNS13_IS18_E10value_typeET4_jRbjT5_S1E_jjP12ihipStream_tbEUljE_ZNSN_ISO_Lb0ESQ_SR_ST_SU_SY_EESZ_S10_S11_S12_S16_S17_S18_S1B_S1C_jS1D_jS1E_S1E_jjS1G_bEUljE0_EEESZ_S10_S11_S18_S1C_S1E_T6_T7_T9_mT8_S1G_bDpT10_ENKUlT_T0_E_clISt17integral_constantIbLb0EES1U_EEDaS1P_S1Q_EUlS1P_E_NS1_11comp_targetILNS1_3genE4ELNS1_11target_archE910ELNS1_3gpuE8ELNS1_3repE0EEENS1_30default_config_static_selectorELNS0_4arch9wavefront6targetE0EEEvS12_
    .private_segment_fixed_size: 0
    .sgpr_count:     0
    .sgpr_spill_count: 0
    .symbol:         _ZN7rocprim17ROCPRIM_400000_NS6detail17trampoline_kernelINS0_13select_configILj256ELj13ELNS0_17block_load_methodE3ELS4_3ELS4_3ELNS0_20block_scan_algorithmE0ELj4294967295EEENS1_25partition_config_selectorILNS1_17partition_subalgoE4EjNS0_10empty_typeEbEEZZNS1_14partition_implILS8_4ELb0ES6_15HIP_vector_typeIjLj2EENS0_17counting_iteratorIjlEEPS9_SG_NS0_5tupleIJPjSI_NS0_16reverse_iteratorISI_EEEEENSH_IJSG_SG_SG_EEES9_SI_JZNS1_25segmented_radix_sort_implINS0_14default_configELb0EPKsPsPKlPlN2at6native12_GLOBAL__N_18offset_tEEE10hipError_tPvRmT1_PNSt15iterator_traitsIS12_E10value_typeET2_T3_PNS13_IS18_E10value_typeET4_jRbjT5_S1E_jjP12ihipStream_tbEUljE_ZNSN_ISO_Lb0ESQ_SR_ST_SU_SY_EESZ_S10_S11_S12_S16_S17_S18_S1B_S1C_jS1D_jS1E_S1E_jjS1G_bEUljE0_EEESZ_S10_S11_S18_S1C_S1E_T6_T7_T9_mT8_S1G_bDpT10_ENKUlT_T0_E_clISt17integral_constantIbLb0EES1U_EEDaS1P_S1Q_EUlS1P_E_NS1_11comp_targetILNS1_3genE4ELNS1_11target_archE910ELNS1_3gpuE8ELNS1_3repE0EEENS1_30default_config_static_selectorELNS0_4arch9wavefront6targetE0EEEvS12_.kd
    .uniform_work_group_size: 1
    .uses_dynamic_stack: false
    .vgpr_count:     0
    .vgpr_spill_count: 0
    .wavefront_size: 32
  - .args:
      - .offset:         0
        .size:           176
        .value_kind:     by_value
    .group_segment_fixed_size: 0
    .kernarg_segment_align: 8
    .kernarg_segment_size: 176
    .language:       OpenCL C
    .language_version:
      - 2
      - 0
    .max_flat_workgroup_size: 256
    .name:           _ZN7rocprim17ROCPRIM_400000_NS6detail17trampoline_kernelINS0_13select_configILj256ELj13ELNS0_17block_load_methodE3ELS4_3ELS4_3ELNS0_20block_scan_algorithmE0ELj4294967295EEENS1_25partition_config_selectorILNS1_17partition_subalgoE4EjNS0_10empty_typeEbEEZZNS1_14partition_implILS8_4ELb0ES6_15HIP_vector_typeIjLj2EENS0_17counting_iteratorIjlEEPS9_SG_NS0_5tupleIJPjSI_NS0_16reverse_iteratorISI_EEEEENSH_IJSG_SG_SG_EEES9_SI_JZNS1_25segmented_radix_sort_implINS0_14default_configELb0EPKsPsPKlPlN2at6native12_GLOBAL__N_18offset_tEEE10hipError_tPvRmT1_PNSt15iterator_traitsIS12_E10value_typeET2_T3_PNS13_IS18_E10value_typeET4_jRbjT5_S1E_jjP12ihipStream_tbEUljE_ZNSN_ISO_Lb0ESQ_SR_ST_SU_SY_EESZ_S10_S11_S12_S16_S17_S18_S1B_S1C_jS1D_jS1E_S1E_jjS1G_bEUljE0_EEESZ_S10_S11_S18_S1C_S1E_T6_T7_T9_mT8_S1G_bDpT10_ENKUlT_T0_E_clISt17integral_constantIbLb0EES1U_EEDaS1P_S1Q_EUlS1P_E_NS1_11comp_targetILNS1_3genE3ELNS1_11target_archE908ELNS1_3gpuE7ELNS1_3repE0EEENS1_30default_config_static_selectorELNS0_4arch9wavefront6targetE0EEEvS12_
    .private_segment_fixed_size: 0
    .sgpr_count:     0
    .sgpr_spill_count: 0
    .symbol:         _ZN7rocprim17ROCPRIM_400000_NS6detail17trampoline_kernelINS0_13select_configILj256ELj13ELNS0_17block_load_methodE3ELS4_3ELS4_3ELNS0_20block_scan_algorithmE0ELj4294967295EEENS1_25partition_config_selectorILNS1_17partition_subalgoE4EjNS0_10empty_typeEbEEZZNS1_14partition_implILS8_4ELb0ES6_15HIP_vector_typeIjLj2EENS0_17counting_iteratorIjlEEPS9_SG_NS0_5tupleIJPjSI_NS0_16reverse_iteratorISI_EEEEENSH_IJSG_SG_SG_EEES9_SI_JZNS1_25segmented_radix_sort_implINS0_14default_configELb0EPKsPsPKlPlN2at6native12_GLOBAL__N_18offset_tEEE10hipError_tPvRmT1_PNSt15iterator_traitsIS12_E10value_typeET2_T3_PNS13_IS18_E10value_typeET4_jRbjT5_S1E_jjP12ihipStream_tbEUljE_ZNSN_ISO_Lb0ESQ_SR_ST_SU_SY_EESZ_S10_S11_S12_S16_S17_S18_S1B_S1C_jS1D_jS1E_S1E_jjS1G_bEUljE0_EEESZ_S10_S11_S18_S1C_S1E_T6_T7_T9_mT8_S1G_bDpT10_ENKUlT_T0_E_clISt17integral_constantIbLb0EES1U_EEDaS1P_S1Q_EUlS1P_E_NS1_11comp_targetILNS1_3genE3ELNS1_11target_archE908ELNS1_3gpuE7ELNS1_3repE0EEENS1_30default_config_static_selectorELNS0_4arch9wavefront6targetE0EEEvS12_.kd
    .uniform_work_group_size: 1
    .uses_dynamic_stack: false
    .vgpr_count:     0
    .vgpr_spill_count: 0
    .wavefront_size: 32
  - .args:
      - .offset:         0
        .size:           176
        .value_kind:     by_value
    .group_segment_fixed_size: 0
    .kernarg_segment_align: 8
    .kernarg_segment_size: 176
    .language:       OpenCL C
    .language_version:
      - 2
      - 0
    .max_flat_workgroup_size: 256
    .name:           _ZN7rocprim17ROCPRIM_400000_NS6detail17trampoline_kernelINS0_13select_configILj256ELj13ELNS0_17block_load_methodE3ELS4_3ELS4_3ELNS0_20block_scan_algorithmE0ELj4294967295EEENS1_25partition_config_selectorILNS1_17partition_subalgoE4EjNS0_10empty_typeEbEEZZNS1_14partition_implILS8_4ELb0ES6_15HIP_vector_typeIjLj2EENS0_17counting_iteratorIjlEEPS9_SG_NS0_5tupleIJPjSI_NS0_16reverse_iteratorISI_EEEEENSH_IJSG_SG_SG_EEES9_SI_JZNS1_25segmented_radix_sort_implINS0_14default_configELb0EPKsPsPKlPlN2at6native12_GLOBAL__N_18offset_tEEE10hipError_tPvRmT1_PNSt15iterator_traitsIS12_E10value_typeET2_T3_PNS13_IS18_E10value_typeET4_jRbjT5_S1E_jjP12ihipStream_tbEUljE_ZNSN_ISO_Lb0ESQ_SR_ST_SU_SY_EESZ_S10_S11_S12_S16_S17_S18_S1B_S1C_jS1D_jS1E_S1E_jjS1G_bEUljE0_EEESZ_S10_S11_S18_S1C_S1E_T6_T7_T9_mT8_S1G_bDpT10_ENKUlT_T0_E_clISt17integral_constantIbLb0EES1U_EEDaS1P_S1Q_EUlS1P_E_NS1_11comp_targetILNS1_3genE2ELNS1_11target_archE906ELNS1_3gpuE6ELNS1_3repE0EEENS1_30default_config_static_selectorELNS0_4arch9wavefront6targetE0EEEvS12_
    .private_segment_fixed_size: 0
    .sgpr_count:     0
    .sgpr_spill_count: 0
    .symbol:         _ZN7rocprim17ROCPRIM_400000_NS6detail17trampoline_kernelINS0_13select_configILj256ELj13ELNS0_17block_load_methodE3ELS4_3ELS4_3ELNS0_20block_scan_algorithmE0ELj4294967295EEENS1_25partition_config_selectorILNS1_17partition_subalgoE4EjNS0_10empty_typeEbEEZZNS1_14partition_implILS8_4ELb0ES6_15HIP_vector_typeIjLj2EENS0_17counting_iteratorIjlEEPS9_SG_NS0_5tupleIJPjSI_NS0_16reverse_iteratorISI_EEEEENSH_IJSG_SG_SG_EEES9_SI_JZNS1_25segmented_radix_sort_implINS0_14default_configELb0EPKsPsPKlPlN2at6native12_GLOBAL__N_18offset_tEEE10hipError_tPvRmT1_PNSt15iterator_traitsIS12_E10value_typeET2_T3_PNS13_IS18_E10value_typeET4_jRbjT5_S1E_jjP12ihipStream_tbEUljE_ZNSN_ISO_Lb0ESQ_SR_ST_SU_SY_EESZ_S10_S11_S12_S16_S17_S18_S1B_S1C_jS1D_jS1E_S1E_jjS1G_bEUljE0_EEESZ_S10_S11_S18_S1C_S1E_T6_T7_T9_mT8_S1G_bDpT10_ENKUlT_T0_E_clISt17integral_constantIbLb0EES1U_EEDaS1P_S1Q_EUlS1P_E_NS1_11comp_targetILNS1_3genE2ELNS1_11target_archE906ELNS1_3gpuE6ELNS1_3repE0EEENS1_30default_config_static_selectorELNS0_4arch9wavefront6targetE0EEEvS12_.kd
    .uniform_work_group_size: 1
    .uses_dynamic_stack: false
    .vgpr_count:     0
    .vgpr_spill_count: 0
    .wavefront_size: 32
  - .args:
      - .offset:         0
        .size:           176
        .value_kind:     by_value
    .group_segment_fixed_size: 0
    .kernarg_segment_align: 8
    .kernarg_segment_size: 176
    .language:       OpenCL C
    .language_version:
      - 2
      - 0
    .max_flat_workgroup_size: 256
    .name:           _ZN7rocprim17ROCPRIM_400000_NS6detail17trampoline_kernelINS0_13select_configILj256ELj13ELNS0_17block_load_methodE3ELS4_3ELS4_3ELNS0_20block_scan_algorithmE0ELj4294967295EEENS1_25partition_config_selectorILNS1_17partition_subalgoE4EjNS0_10empty_typeEbEEZZNS1_14partition_implILS8_4ELb0ES6_15HIP_vector_typeIjLj2EENS0_17counting_iteratorIjlEEPS9_SG_NS0_5tupleIJPjSI_NS0_16reverse_iteratorISI_EEEEENSH_IJSG_SG_SG_EEES9_SI_JZNS1_25segmented_radix_sort_implINS0_14default_configELb0EPKsPsPKlPlN2at6native12_GLOBAL__N_18offset_tEEE10hipError_tPvRmT1_PNSt15iterator_traitsIS12_E10value_typeET2_T3_PNS13_IS18_E10value_typeET4_jRbjT5_S1E_jjP12ihipStream_tbEUljE_ZNSN_ISO_Lb0ESQ_SR_ST_SU_SY_EESZ_S10_S11_S12_S16_S17_S18_S1B_S1C_jS1D_jS1E_S1E_jjS1G_bEUljE0_EEESZ_S10_S11_S18_S1C_S1E_T6_T7_T9_mT8_S1G_bDpT10_ENKUlT_T0_E_clISt17integral_constantIbLb0EES1U_EEDaS1P_S1Q_EUlS1P_E_NS1_11comp_targetILNS1_3genE10ELNS1_11target_archE1200ELNS1_3gpuE4ELNS1_3repE0EEENS1_30default_config_static_selectorELNS0_4arch9wavefront6targetE0EEEvS12_
    .private_segment_fixed_size: 0
    .sgpr_count:     0
    .sgpr_spill_count: 0
    .symbol:         _ZN7rocprim17ROCPRIM_400000_NS6detail17trampoline_kernelINS0_13select_configILj256ELj13ELNS0_17block_load_methodE3ELS4_3ELS4_3ELNS0_20block_scan_algorithmE0ELj4294967295EEENS1_25partition_config_selectorILNS1_17partition_subalgoE4EjNS0_10empty_typeEbEEZZNS1_14partition_implILS8_4ELb0ES6_15HIP_vector_typeIjLj2EENS0_17counting_iteratorIjlEEPS9_SG_NS0_5tupleIJPjSI_NS0_16reverse_iteratorISI_EEEEENSH_IJSG_SG_SG_EEES9_SI_JZNS1_25segmented_radix_sort_implINS0_14default_configELb0EPKsPsPKlPlN2at6native12_GLOBAL__N_18offset_tEEE10hipError_tPvRmT1_PNSt15iterator_traitsIS12_E10value_typeET2_T3_PNS13_IS18_E10value_typeET4_jRbjT5_S1E_jjP12ihipStream_tbEUljE_ZNSN_ISO_Lb0ESQ_SR_ST_SU_SY_EESZ_S10_S11_S12_S16_S17_S18_S1B_S1C_jS1D_jS1E_S1E_jjS1G_bEUljE0_EEESZ_S10_S11_S18_S1C_S1E_T6_T7_T9_mT8_S1G_bDpT10_ENKUlT_T0_E_clISt17integral_constantIbLb0EES1U_EEDaS1P_S1Q_EUlS1P_E_NS1_11comp_targetILNS1_3genE10ELNS1_11target_archE1200ELNS1_3gpuE4ELNS1_3repE0EEENS1_30default_config_static_selectorELNS0_4arch9wavefront6targetE0EEEvS12_.kd
    .uniform_work_group_size: 1
    .uses_dynamic_stack: false
    .vgpr_count:     0
    .vgpr_spill_count: 0
    .wavefront_size: 32
  - .args:
      - .offset:         0
        .size:           176
        .value_kind:     by_value
    .group_segment_fixed_size: 0
    .kernarg_segment_align: 8
    .kernarg_segment_size: 176
    .language:       OpenCL C
    .language_version:
      - 2
      - 0
    .max_flat_workgroup_size: 256
    .name:           _ZN7rocprim17ROCPRIM_400000_NS6detail17trampoline_kernelINS0_13select_configILj256ELj13ELNS0_17block_load_methodE3ELS4_3ELS4_3ELNS0_20block_scan_algorithmE0ELj4294967295EEENS1_25partition_config_selectorILNS1_17partition_subalgoE4EjNS0_10empty_typeEbEEZZNS1_14partition_implILS8_4ELb0ES6_15HIP_vector_typeIjLj2EENS0_17counting_iteratorIjlEEPS9_SG_NS0_5tupleIJPjSI_NS0_16reverse_iteratorISI_EEEEENSH_IJSG_SG_SG_EEES9_SI_JZNS1_25segmented_radix_sort_implINS0_14default_configELb0EPKsPsPKlPlN2at6native12_GLOBAL__N_18offset_tEEE10hipError_tPvRmT1_PNSt15iterator_traitsIS12_E10value_typeET2_T3_PNS13_IS18_E10value_typeET4_jRbjT5_S1E_jjP12ihipStream_tbEUljE_ZNSN_ISO_Lb0ESQ_SR_ST_SU_SY_EESZ_S10_S11_S12_S16_S17_S18_S1B_S1C_jS1D_jS1E_S1E_jjS1G_bEUljE0_EEESZ_S10_S11_S18_S1C_S1E_T6_T7_T9_mT8_S1G_bDpT10_ENKUlT_T0_E_clISt17integral_constantIbLb0EES1U_EEDaS1P_S1Q_EUlS1P_E_NS1_11comp_targetILNS1_3genE9ELNS1_11target_archE1100ELNS1_3gpuE3ELNS1_3repE0EEENS1_30default_config_static_selectorELNS0_4arch9wavefront6targetE0EEEvS12_
    .private_segment_fixed_size: 0
    .sgpr_count:     0
    .sgpr_spill_count: 0
    .symbol:         _ZN7rocprim17ROCPRIM_400000_NS6detail17trampoline_kernelINS0_13select_configILj256ELj13ELNS0_17block_load_methodE3ELS4_3ELS4_3ELNS0_20block_scan_algorithmE0ELj4294967295EEENS1_25partition_config_selectorILNS1_17partition_subalgoE4EjNS0_10empty_typeEbEEZZNS1_14partition_implILS8_4ELb0ES6_15HIP_vector_typeIjLj2EENS0_17counting_iteratorIjlEEPS9_SG_NS0_5tupleIJPjSI_NS0_16reverse_iteratorISI_EEEEENSH_IJSG_SG_SG_EEES9_SI_JZNS1_25segmented_radix_sort_implINS0_14default_configELb0EPKsPsPKlPlN2at6native12_GLOBAL__N_18offset_tEEE10hipError_tPvRmT1_PNSt15iterator_traitsIS12_E10value_typeET2_T3_PNS13_IS18_E10value_typeET4_jRbjT5_S1E_jjP12ihipStream_tbEUljE_ZNSN_ISO_Lb0ESQ_SR_ST_SU_SY_EESZ_S10_S11_S12_S16_S17_S18_S1B_S1C_jS1D_jS1E_S1E_jjS1G_bEUljE0_EEESZ_S10_S11_S18_S1C_S1E_T6_T7_T9_mT8_S1G_bDpT10_ENKUlT_T0_E_clISt17integral_constantIbLb0EES1U_EEDaS1P_S1Q_EUlS1P_E_NS1_11comp_targetILNS1_3genE9ELNS1_11target_archE1100ELNS1_3gpuE3ELNS1_3repE0EEENS1_30default_config_static_selectorELNS0_4arch9wavefront6targetE0EEEvS12_.kd
    .uniform_work_group_size: 1
    .uses_dynamic_stack: false
    .vgpr_count:     0
    .vgpr_spill_count: 0
    .wavefront_size: 32
  - .args:
      - .offset:         0
        .size:           176
        .value_kind:     by_value
    .group_segment_fixed_size: 0
    .kernarg_segment_align: 8
    .kernarg_segment_size: 176
    .language:       OpenCL C
    .language_version:
      - 2
      - 0
    .max_flat_workgroup_size: 256
    .name:           _ZN7rocprim17ROCPRIM_400000_NS6detail17trampoline_kernelINS0_13select_configILj256ELj13ELNS0_17block_load_methodE3ELS4_3ELS4_3ELNS0_20block_scan_algorithmE0ELj4294967295EEENS1_25partition_config_selectorILNS1_17partition_subalgoE4EjNS0_10empty_typeEbEEZZNS1_14partition_implILS8_4ELb0ES6_15HIP_vector_typeIjLj2EENS0_17counting_iteratorIjlEEPS9_SG_NS0_5tupleIJPjSI_NS0_16reverse_iteratorISI_EEEEENSH_IJSG_SG_SG_EEES9_SI_JZNS1_25segmented_radix_sort_implINS0_14default_configELb0EPKsPsPKlPlN2at6native12_GLOBAL__N_18offset_tEEE10hipError_tPvRmT1_PNSt15iterator_traitsIS12_E10value_typeET2_T3_PNS13_IS18_E10value_typeET4_jRbjT5_S1E_jjP12ihipStream_tbEUljE_ZNSN_ISO_Lb0ESQ_SR_ST_SU_SY_EESZ_S10_S11_S12_S16_S17_S18_S1B_S1C_jS1D_jS1E_S1E_jjS1G_bEUljE0_EEESZ_S10_S11_S18_S1C_S1E_T6_T7_T9_mT8_S1G_bDpT10_ENKUlT_T0_E_clISt17integral_constantIbLb0EES1U_EEDaS1P_S1Q_EUlS1P_E_NS1_11comp_targetILNS1_3genE8ELNS1_11target_archE1030ELNS1_3gpuE2ELNS1_3repE0EEENS1_30default_config_static_selectorELNS0_4arch9wavefront6targetE0EEEvS12_
    .private_segment_fixed_size: 0
    .sgpr_count:     0
    .sgpr_spill_count: 0
    .symbol:         _ZN7rocprim17ROCPRIM_400000_NS6detail17trampoline_kernelINS0_13select_configILj256ELj13ELNS0_17block_load_methodE3ELS4_3ELS4_3ELNS0_20block_scan_algorithmE0ELj4294967295EEENS1_25partition_config_selectorILNS1_17partition_subalgoE4EjNS0_10empty_typeEbEEZZNS1_14partition_implILS8_4ELb0ES6_15HIP_vector_typeIjLj2EENS0_17counting_iteratorIjlEEPS9_SG_NS0_5tupleIJPjSI_NS0_16reverse_iteratorISI_EEEEENSH_IJSG_SG_SG_EEES9_SI_JZNS1_25segmented_radix_sort_implINS0_14default_configELb0EPKsPsPKlPlN2at6native12_GLOBAL__N_18offset_tEEE10hipError_tPvRmT1_PNSt15iterator_traitsIS12_E10value_typeET2_T3_PNS13_IS18_E10value_typeET4_jRbjT5_S1E_jjP12ihipStream_tbEUljE_ZNSN_ISO_Lb0ESQ_SR_ST_SU_SY_EESZ_S10_S11_S12_S16_S17_S18_S1B_S1C_jS1D_jS1E_S1E_jjS1G_bEUljE0_EEESZ_S10_S11_S18_S1C_S1E_T6_T7_T9_mT8_S1G_bDpT10_ENKUlT_T0_E_clISt17integral_constantIbLb0EES1U_EEDaS1P_S1Q_EUlS1P_E_NS1_11comp_targetILNS1_3genE8ELNS1_11target_archE1030ELNS1_3gpuE2ELNS1_3repE0EEENS1_30default_config_static_selectorELNS0_4arch9wavefront6targetE0EEEvS12_.kd
    .uniform_work_group_size: 1
    .uses_dynamic_stack: false
    .vgpr_count:     0
    .vgpr_spill_count: 0
    .wavefront_size: 32
  - .args:
      - .offset:         0
        .size:           184
        .value_kind:     by_value
    .group_segment_fixed_size: 0
    .kernarg_segment_align: 8
    .kernarg_segment_size: 184
    .language:       OpenCL C
    .language_version:
      - 2
      - 0
    .max_flat_workgroup_size: 256
    .name:           _ZN7rocprim17ROCPRIM_400000_NS6detail17trampoline_kernelINS0_13select_configILj256ELj13ELNS0_17block_load_methodE3ELS4_3ELS4_3ELNS0_20block_scan_algorithmE0ELj4294967295EEENS1_25partition_config_selectorILNS1_17partition_subalgoE4EjNS0_10empty_typeEbEEZZNS1_14partition_implILS8_4ELb0ES6_15HIP_vector_typeIjLj2EENS0_17counting_iteratorIjlEEPS9_SG_NS0_5tupleIJPjSI_NS0_16reverse_iteratorISI_EEEEENSH_IJSG_SG_SG_EEES9_SI_JZNS1_25segmented_radix_sort_implINS0_14default_configELb0EPKsPsPKlPlN2at6native12_GLOBAL__N_18offset_tEEE10hipError_tPvRmT1_PNSt15iterator_traitsIS12_E10value_typeET2_T3_PNS13_IS18_E10value_typeET4_jRbjT5_S1E_jjP12ihipStream_tbEUljE_ZNSN_ISO_Lb0ESQ_SR_ST_SU_SY_EESZ_S10_S11_S12_S16_S17_S18_S1B_S1C_jS1D_jS1E_S1E_jjS1G_bEUljE0_EEESZ_S10_S11_S18_S1C_S1E_T6_T7_T9_mT8_S1G_bDpT10_ENKUlT_T0_E_clISt17integral_constantIbLb1EES1U_EEDaS1P_S1Q_EUlS1P_E_NS1_11comp_targetILNS1_3genE0ELNS1_11target_archE4294967295ELNS1_3gpuE0ELNS1_3repE0EEENS1_30default_config_static_selectorELNS0_4arch9wavefront6targetE0EEEvS12_
    .private_segment_fixed_size: 0
    .sgpr_count:     0
    .sgpr_spill_count: 0
    .symbol:         _ZN7rocprim17ROCPRIM_400000_NS6detail17trampoline_kernelINS0_13select_configILj256ELj13ELNS0_17block_load_methodE3ELS4_3ELS4_3ELNS0_20block_scan_algorithmE0ELj4294967295EEENS1_25partition_config_selectorILNS1_17partition_subalgoE4EjNS0_10empty_typeEbEEZZNS1_14partition_implILS8_4ELb0ES6_15HIP_vector_typeIjLj2EENS0_17counting_iteratorIjlEEPS9_SG_NS0_5tupleIJPjSI_NS0_16reverse_iteratorISI_EEEEENSH_IJSG_SG_SG_EEES9_SI_JZNS1_25segmented_radix_sort_implINS0_14default_configELb0EPKsPsPKlPlN2at6native12_GLOBAL__N_18offset_tEEE10hipError_tPvRmT1_PNSt15iterator_traitsIS12_E10value_typeET2_T3_PNS13_IS18_E10value_typeET4_jRbjT5_S1E_jjP12ihipStream_tbEUljE_ZNSN_ISO_Lb0ESQ_SR_ST_SU_SY_EESZ_S10_S11_S12_S16_S17_S18_S1B_S1C_jS1D_jS1E_S1E_jjS1G_bEUljE0_EEESZ_S10_S11_S18_S1C_S1E_T6_T7_T9_mT8_S1G_bDpT10_ENKUlT_T0_E_clISt17integral_constantIbLb1EES1U_EEDaS1P_S1Q_EUlS1P_E_NS1_11comp_targetILNS1_3genE0ELNS1_11target_archE4294967295ELNS1_3gpuE0ELNS1_3repE0EEENS1_30default_config_static_selectorELNS0_4arch9wavefront6targetE0EEEvS12_.kd
    .uniform_work_group_size: 1
    .uses_dynamic_stack: false
    .vgpr_count:     0
    .vgpr_spill_count: 0
    .wavefront_size: 32
  - .args:
      - .offset:         0
        .size:           184
        .value_kind:     by_value
    .group_segment_fixed_size: 0
    .kernarg_segment_align: 8
    .kernarg_segment_size: 184
    .language:       OpenCL C
    .language_version:
      - 2
      - 0
    .max_flat_workgroup_size: 256
    .name:           _ZN7rocprim17ROCPRIM_400000_NS6detail17trampoline_kernelINS0_13select_configILj256ELj13ELNS0_17block_load_methodE3ELS4_3ELS4_3ELNS0_20block_scan_algorithmE0ELj4294967295EEENS1_25partition_config_selectorILNS1_17partition_subalgoE4EjNS0_10empty_typeEbEEZZNS1_14partition_implILS8_4ELb0ES6_15HIP_vector_typeIjLj2EENS0_17counting_iteratorIjlEEPS9_SG_NS0_5tupleIJPjSI_NS0_16reverse_iteratorISI_EEEEENSH_IJSG_SG_SG_EEES9_SI_JZNS1_25segmented_radix_sort_implINS0_14default_configELb0EPKsPsPKlPlN2at6native12_GLOBAL__N_18offset_tEEE10hipError_tPvRmT1_PNSt15iterator_traitsIS12_E10value_typeET2_T3_PNS13_IS18_E10value_typeET4_jRbjT5_S1E_jjP12ihipStream_tbEUljE_ZNSN_ISO_Lb0ESQ_SR_ST_SU_SY_EESZ_S10_S11_S12_S16_S17_S18_S1B_S1C_jS1D_jS1E_S1E_jjS1G_bEUljE0_EEESZ_S10_S11_S18_S1C_S1E_T6_T7_T9_mT8_S1G_bDpT10_ENKUlT_T0_E_clISt17integral_constantIbLb1EES1U_EEDaS1P_S1Q_EUlS1P_E_NS1_11comp_targetILNS1_3genE5ELNS1_11target_archE942ELNS1_3gpuE9ELNS1_3repE0EEENS1_30default_config_static_selectorELNS0_4arch9wavefront6targetE0EEEvS12_
    .private_segment_fixed_size: 0
    .sgpr_count:     0
    .sgpr_spill_count: 0
    .symbol:         _ZN7rocprim17ROCPRIM_400000_NS6detail17trampoline_kernelINS0_13select_configILj256ELj13ELNS0_17block_load_methodE3ELS4_3ELS4_3ELNS0_20block_scan_algorithmE0ELj4294967295EEENS1_25partition_config_selectorILNS1_17partition_subalgoE4EjNS0_10empty_typeEbEEZZNS1_14partition_implILS8_4ELb0ES6_15HIP_vector_typeIjLj2EENS0_17counting_iteratorIjlEEPS9_SG_NS0_5tupleIJPjSI_NS0_16reverse_iteratorISI_EEEEENSH_IJSG_SG_SG_EEES9_SI_JZNS1_25segmented_radix_sort_implINS0_14default_configELb0EPKsPsPKlPlN2at6native12_GLOBAL__N_18offset_tEEE10hipError_tPvRmT1_PNSt15iterator_traitsIS12_E10value_typeET2_T3_PNS13_IS18_E10value_typeET4_jRbjT5_S1E_jjP12ihipStream_tbEUljE_ZNSN_ISO_Lb0ESQ_SR_ST_SU_SY_EESZ_S10_S11_S12_S16_S17_S18_S1B_S1C_jS1D_jS1E_S1E_jjS1G_bEUljE0_EEESZ_S10_S11_S18_S1C_S1E_T6_T7_T9_mT8_S1G_bDpT10_ENKUlT_T0_E_clISt17integral_constantIbLb1EES1U_EEDaS1P_S1Q_EUlS1P_E_NS1_11comp_targetILNS1_3genE5ELNS1_11target_archE942ELNS1_3gpuE9ELNS1_3repE0EEENS1_30default_config_static_selectorELNS0_4arch9wavefront6targetE0EEEvS12_.kd
    .uniform_work_group_size: 1
    .uses_dynamic_stack: false
    .vgpr_count:     0
    .vgpr_spill_count: 0
    .wavefront_size: 32
  - .args:
      - .offset:         0
        .size:           184
        .value_kind:     by_value
    .group_segment_fixed_size: 0
    .kernarg_segment_align: 8
    .kernarg_segment_size: 184
    .language:       OpenCL C
    .language_version:
      - 2
      - 0
    .max_flat_workgroup_size: 256
    .name:           _ZN7rocprim17ROCPRIM_400000_NS6detail17trampoline_kernelINS0_13select_configILj256ELj13ELNS0_17block_load_methodE3ELS4_3ELS4_3ELNS0_20block_scan_algorithmE0ELj4294967295EEENS1_25partition_config_selectorILNS1_17partition_subalgoE4EjNS0_10empty_typeEbEEZZNS1_14partition_implILS8_4ELb0ES6_15HIP_vector_typeIjLj2EENS0_17counting_iteratorIjlEEPS9_SG_NS0_5tupleIJPjSI_NS0_16reverse_iteratorISI_EEEEENSH_IJSG_SG_SG_EEES9_SI_JZNS1_25segmented_radix_sort_implINS0_14default_configELb0EPKsPsPKlPlN2at6native12_GLOBAL__N_18offset_tEEE10hipError_tPvRmT1_PNSt15iterator_traitsIS12_E10value_typeET2_T3_PNS13_IS18_E10value_typeET4_jRbjT5_S1E_jjP12ihipStream_tbEUljE_ZNSN_ISO_Lb0ESQ_SR_ST_SU_SY_EESZ_S10_S11_S12_S16_S17_S18_S1B_S1C_jS1D_jS1E_S1E_jjS1G_bEUljE0_EEESZ_S10_S11_S18_S1C_S1E_T6_T7_T9_mT8_S1G_bDpT10_ENKUlT_T0_E_clISt17integral_constantIbLb1EES1U_EEDaS1P_S1Q_EUlS1P_E_NS1_11comp_targetILNS1_3genE4ELNS1_11target_archE910ELNS1_3gpuE8ELNS1_3repE0EEENS1_30default_config_static_selectorELNS0_4arch9wavefront6targetE0EEEvS12_
    .private_segment_fixed_size: 0
    .sgpr_count:     0
    .sgpr_spill_count: 0
    .symbol:         _ZN7rocprim17ROCPRIM_400000_NS6detail17trampoline_kernelINS0_13select_configILj256ELj13ELNS0_17block_load_methodE3ELS4_3ELS4_3ELNS0_20block_scan_algorithmE0ELj4294967295EEENS1_25partition_config_selectorILNS1_17partition_subalgoE4EjNS0_10empty_typeEbEEZZNS1_14partition_implILS8_4ELb0ES6_15HIP_vector_typeIjLj2EENS0_17counting_iteratorIjlEEPS9_SG_NS0_5tupleIJPjSI_NS0_16reverse_iteratorISI_EEEEENSH_IJSG_SG_SG_EEES9_SI_JZNS1_25segmented_radix_sort_implINS0_14default_configELb0EPKsPsPKlPlN2at6native12_GLOBAL__N_18offset_tEEE10hipError_tPvRmT1_PNSt15iterator_traitsIS12_E10value_typeET2_T3_PNS13_IS18_E10value_typeET4_jRbjT5_S1E_jjP12ihipStream_tbEUljE_ZNSN_ISO_Lb0ESQ_SR_ST_SU_SY_EESZ_S10_S11_S12_S16_S17_S18_S1B_S1C_jS1D_jS1E_S1E_jjS1G_bEUljE0_EEESZ_S10_S11_S18_S1C_S1E_T6_T7_T9_mT8_S1G_bDpT10_ENKUlT_T0_E_clISt17integral_constantIbLb1EES1U_EEDaS1P_S1Q_EUlS1P_E_NS1_11comp_targetILNS1_3genE4ELNS1_11target_archE910ELNS1_3gpuE8ELNS1_3repE0EEENS1_30default_config_static_selectorELNS0_4arch9wavefront6targetE0EEEvS12_.kd
    .uniform_work_group_size: 1
    .uses_dynamic_stack: false
    .vgpr_count:     0
    .vgpr_spill_count: 0
    .wavefront_size: 32
  - .args:
      - .offset:         0
        .size:           184
        .value_kind:     by_value
    .group_segment_fixed_size: 0
    .kernarg_segment_align: 8
    .kernarg_segment_size: 184
    .language:       OpenCL C
    .language_version:
      - 2
      - 0
    .max_flat_workgroup_size: 256
    .name:           _ZN7rocprim17ROCPRIM_400000_NS6detail17trampoline_kernelINS0_13select_configILj256ELj13ELNS0_17block_load_methodE3ELS4_3ELS4_3ELNS0_20block_scan_algorithmE0ELj4294967295EEENS1_25partition_config_selectorILNS1_17partition_subalgoE4EjNS0_10empty_typeEbEEZZNS1_14partition_implILS8_4ELb0ES6_15HIP_vector_typeIjLj2EENS0_17counting_iteratorIjlEEPS9_SG_NS0_5tupleIJPjSI_NS0_16reverse_iteratorISI_EEEEENSH_IJSG_SG_SG_EEES9_SI_JZNS1_25segmented_radix_sort_implINS0_14default_configELb0EPKsPsPKlPlN2at6native12_GLOBAL__N_18offset_tEEE10hipError_tPvRmT1_PNSt15iterator_traitsIS12_E10value_typeET2_T3_PNS13_IS18_E10value_typeET4_jRbjT5_S1E_jjP12ihipStream_tbEUljE_ZNSN_ISO_Lb0ESQ_SR_ST_SU_SY_EESZ_S10_S11_S12_S16_S17_S18_S1B_S1C_jS1D_jS1E_S1E_jjS1G_bEUljE0_EEESZ_S10_S11_S18_S1C_S1E_T6_T7_T9_mT8_S1G_bDpT10_ENKUlT_T0_E_clISt17integral_constantIbLb1EES1U_EEDaS1P_S1Q_EUlS1P_E_NS1_11comp_targetILNS1_3genE3ELNS1_11target_archE908ELNS1_3gpuE7ELNS1_3repE0EEENS1_30default_config_static_selectorELNS0_4arch9wavefront6targetE0EEEvS12_
    .private_segment_fixed_size: 0
    .sgpr_count:     0
    .sgpr_spill_count: 0
    .symbol:         _ZN7rocprim17ROCPRIM_400000_NS6detail17trampoline_kernelINS0_13select_configILj256ELj13ELNS0_17block_load_methodE3ELS4_3ELS4_3ELNS0_20block_scan_algorithmE0ELj4294967295EEENS1_25partition_config_selectorILNS1_17partition_subalgoE4EjNS0_10empty_typeEbEEZZNS1_14partition_implILS8_4ELb0ES6_15HIP_vector_typeIjLj2EENS0_17counting_iteratorIjlEEPS9_SG_NS0_5tupleIJPjSI_NS0_16reverse_iteratorISI_EEEEENSH_IJSG_SG_SG_EEES9_SI_JZNS1_25segmented_radix_sort_implINS0_14default_configELb0EPKsPsPKlPlN2at6native12_GLOBAL__N_18offset_tEEE10hipError_tPvRmT1_PNSt15iterator_traitsIS12_E10value_typeET2_T3_PNS13_IS18_E10value_typeET4_jRbjT5_S1E_jjP12ihipStream_tbEUljE_ZNSN_ISO_Lb0ESQ_SR_ST_SU_SY_EESZ_S10_S11_S12_S16_S17_S18_S1B_S1C_jS1D_jS1E_S1E_jjS1G_bEUljE0_EEESZ_S10_S11_S18_S1C_S1E_T6_T7_T9_mT8_S1G_bDpT10_ENKUlT_T0_E_clISt17integral_constantIbLb1EES1U_EEDaS1P_S1Q_EUlS1P_E_NS1_11comp_targetILNS1_3genE3ELNS1_11target_archE908ELNS1_3gpuE7ELNS1_3repE0EEENS1_30default_config_static_selectorELNS0_4arch9wavefront6targetE0EEEvS12_.kd
    .uniform_work_group_size: 1
    .uses_dynamic_stack: false
    .vgpr_count:     0
    .vgpr_spill_count: 0
    .wavefront_size: 32
  - .args:
      - .offset:         0
        .size:           184
        .value_kind:     by_value
    .group_segment_fixed_size: 0
    .kernarg_segment_align: 8
    .kernarg_segment_size: 184
    .language:       OpenCL C
    .language_version:
      - 2
      - 0
    .max_flat_workgroup_size: 256
    .name:           _ZN7rocprim17ROCPRIM_400000_NS6detail17trampoline_kernelINS0_13select_configILj256ELj13ELNS0_17block_load_methodE3ELS4_3ELS4_3ELNS0_20block_scan_algorithmE0ELj4294967295EEENS1_25partition_config_selectorILNS1_17partition_subalgoE4EjNS0_10empty_typeEbEEZZNS1_14partition_implILS8_4ELb0ES6_15HIP_vector_typeIjLj2EENS0_17counting_iteratorIjlEEPS9_SG_NS0_5tupleIJPjSI_NS0_16reverse_iteratorISI_EEEEENSH_IJSG_SG_SG_EEES9_SI_JZNS1_25segmented_radix_sort_implINS0_14default_configELb0EPKsPsPKlPlN2at6native12_GLOBAL__N_18offset_tEEE10hipError_tPvRmT1_PNSt15iterator_traitsIS12_E10value_typeET2_T3_PNS13_IS18_E10value_typeET4_jRbjT5_S1E_jjP12ihipStream_tbEUljE_ZNSN_ISO_Lb0ESQ_SR_ST_SU_SY_EESZ_S10_S11_S12_S16_S17_S18_S1B_S1C_jS1D_jS1E_S1E_jjS1G_bEUljE0_EEESZ_S10_S11_S18_S1C_S1E_T6_T7_T9_mT8_S1G_bDpT10_ENKUlT_T0_E_clISt17integral_constantIbLb1EES1U_EEDaS1P_S1Q_EUlS1P_E_NS1_11comp_targetILNS1_3genE2ELNS1_11target_archE906ELNS1_3gpuE6ELNS1_3repE0EEENS1_30default_config_static_selectorELNS0_4arch9wavefront6targetE0EEEvS12_
    .private_segment_fixed_size: 0
    .sgpr_count:     0
    .sgpr_spill_count: 0
    .symbol:         _ZN7rocprim17ROCPRIM_400000_NS6detail17trampoline_kernelINS0_13select_configILj256ELj13ELNS0_17block_load_methodE3ELS4_3ELS4_3ELNS0_20block_scan_algorithmE0ELj4294967295EEENS1_25partition_config_selectorILNS1_17partition_subalgoE4EjNS0_10empty_typeEbEEZZNS1_14partition_implILS8_4ELb0ES6_15HIP_vector_typeIjLj2EENS0_17counting_iteratorIjlEEPS9_SG_NS0_5tupleIJPjSI_NS0_16reverse_iteratorISI_EEEEENSH_IJSG_SG_SG_EEES9_SI_JZNS1_25segmented_radix_sort_implINS0_14default_configELb0EPKsPsPKlPlN2at6native12_GLOBAL__N_18offset_tEEE10hipError_tPvRmT1_PNSt15iterator_traitsIS12_E10value_typeET2_T3_PNS13_IS18_E10value_typeET4_jRbjT5_S1E_jjP12ihipStream_tbEUljE_ZNSN_ISO_Lb0ESQ_SR_ST_SU_SY_EESZ_S10_S11_S12_S16_S17_S18_S1B_S1C_jS1D_jS1E_S1E_jjS1G_bEUljE0_EEESZ_S10_S11_S18_S1C_S1E_T6_T7_T9_mT8_S1G_bDpT10_ENKUlT_T0_E_clISt17integral_constantIbLb1EES1U_EEDaS1P_S1Q_EUlS1P_E_NS1_11comp_targetILNS1_3genE2ELNS1_11target_archE906ELNS1_3gpuE6ELNS1_3repE0EEENS1_30default_config_static_selectorELNS0_4arch9wavefront6targetE0EEEvS12_.kd
    .uniform_work_group_size: 1
    .uses_dynamic_stack: false
    .vgpr_count:     0
    .vgpr_spill_count: 0
    .wavefront_size: 32
  - .args:
      - .offset:         0
        .size:           184
        .value_kind:     by_value
    .group_segment_fixed_size: 0
    .kernarg_segment_align: 8
    .kernarg_segment_size: 184
    .language:       OpenCL C
    .language_version:
      - 2
      - 0
    .max_flat_workgroup_size: 256
    .name:           _ZN7rocprim17ROCPRIM_400000_NS6detail17trampoline_kernelINS0_13select_configILj256ELj13ELNS0_17block_load_methodE3ELS4_3ELS4_3ELNS0_20block_scan_algorithmE0ELj4294967295EEENS1_25partition_config_selectorILNS1_17partition_subalgoE4EjNS0_10empty_typeEbEEZZNS1_14partition_implILS8_4ELb0ES6_15HIP_vector_typeIjLj2EENS0_17counting_iteratorIjlEEPS9_SG_NS0_5tupleIJPjSI_NS0_16reverse_iteratorISI_EEEEENSH_IJSG_SG_SG_EEES9_SI_JZNS1_25segmented_radix_sort_implINS0_14default_configELb0EPKsPsPKlPlN2at6native12_GLOBAL__N_18offset_tEEE10hipError_tPvRmT1_PNSt15iterator_traitsIS12_E10value_typeET2_T3_PNS13_IS18_E10value_typeET4_jRbjT5_S1E_jjP12ihipStream_tbEUljE_ZNSN_ISO_Lb0ESQ_SR_ST_SU_SY_EESZ_S10_S11_S12_S16_S17_S18_S1B_S1C_jS1D_jS1E_S1E_jjS1G_bEUljE0_EEESZ_S10_S11_S18_S1C_S1E_T6_T7_T9_mT8_S1G_bDpT10_ENKUlT_T0_E_clISt17integral_constantIbLb1EES1U_EEDaS1P_S1Q_EUlS1P_E_NS1_11comp_targetILNS1_3genE10ELNS1_11target_archE1200ELNS1_3gpuE4ELNS1_3repE0EEENS1_30default_config_static_selectorELNS0_4arch9wavefront6targetE0EEEvS12_
    .private_segment_fixed_size: 0
    .sgpr_count:     0
    .sgpr_spill_count: 0
    .symbol:         _ZN7rocprim17ROCPRIM_400000_NS6detail17trampoline_kernelINS0_13select_configILj256ELj13ELNS0_17block_load_methodE3ELS4_3ELS4_3ELNS0_20block_scan_algorithmE0ELj4294967295EEENS1_25partition_config_selectorILNS1_17partition_subalgoE4EjNS0_10empty_typeEbEEZZNS1_14partition_implILS8_4ELb0ES6_15HIP_vector_typeIjLj2EENS0_17counting_iteratorIjlEEPS9_SG_NS0_5tupleIJPjSI_NS0_16reverse_iteratorISI_EEEEENSH_IJSG_SG_SG_EEES9_SI_JZNS1_25segmented_radix_sort_implINS0_14default_configELb0EPKsPsPKlPlN2at6native12_GLOBAL__N_18offset_tEEE10hipError_tPvRmT1_PNSt15iterator_traitsIS12_E10value_typeET2_T3_PNS13_IS18_E10value_typeET4_jRbjT5_S1E_jjP12ihipStream_tbEUljE_ZNSN_ISO_Lb0ESQ_SR_ST_SU_SY_EESZ_S10_S11_S12_S16_S17_S18_S1B_S1C_jS1D_jS1E_S1E_jjS1G_bEUljE0_EEESZ_S10_S11_S18_S1C_S1E_T6_T7_T9_mT8_S1G_bDpT10_ENKUlT_T0_E_clISt17integral_constantIbLb1EES1U_EEDaS1P_S1Q_EUlS1P_E_NS1_11comp_targetILNS1_3genE10ELNS1_11target_archE1200ELNS1_3gpuE4ELNS1_3repE0EEENS1_30default_config_static_selectorELNS0_4arch9wavefront6targetE0EEEvS12_.kd
    .uniform_work_group_size: 1
    .uses_dynamic_stack: false
    .vgpr_count:     0
    .vgpr_spill_count: 0
    .wavefront_size: 32
  - .args:
      - .offset:         0
        .size:           184
        .value_kind:     by_value
    .group_segment_fixed_size: 0
    .kernarg_segment_align: 8
    .kernarg_segment_size: 184
    .language:       OpenCL C
    .language_version:
      - 2
      - 0
    .max_flat_workgroup_size: 256
    .name:           _ZN7rocprim17ROCPRIM_400000_NS6detail17trampoline_kernelINS0_13select_configILj256ELj13ELNS0_17block_load_methodE3ELS4_3ELS4_3ELNS0_20block_scan_algorithmE0ELj4294967295EEENS1_25partition_config_selectorILNS1_17partition_subalgoE4EjNS0_10empty_typeEbEEZZNS1_14partition_implILS8_4ELb0ES6_15HIP_vector_typeIjLj2EENS0_17counting_iteratorIjlEEPS9_SG_NS0_5tupleIJPjSI_NS0_16reverse_iteratorISI_EEEEENSH_IJSG_SG_SG_EEES9_SI_JZNS1_25segmented_radix_sort_implINS0_14default_configELb0EPKsPsPKlPlN2at6native12_GLOBAL__N_18offset_tEEE10hipError_tPvRmT1_PNSt15iterator_traitsIS12_E10value_typeET2_T3_PNS13_IS18_E10value_typeET4_jRbjT5_S1E_jjP12ihipStream_tbEUljE_ZNSN_ISO_Lb0ESQ_SR_ST_SU_SY_EESZ_S10_S11_S12_S16_S17_S18_S1B_S1C_jS1D_jS1E_S1E_jjS1G_bEUljE0_EEESZ_S10_S11_S18_S1C_S1E_T6_T7_T9_mT8_S1G_bDpT10_ENKUlT_T0_E_clISt17integral_constantIbLb1EES1U_EEDaS1P_S1Q_EUlS1P_E_NS1_11comp_targetILNS1_3genE9ELNS1_11target_archE1100ELNS1_3gpuE3ELNS1_3repE0EEENS1_30default_config_static_selectorELNS0_4arch9wavefront6targetE0EEEvS12_
    .private_segment_fixed_size: 0
    .sgpr_count:     0
    .sgpr_spill_count: 0
    .symbol:         _ZN7rocprim17ROCPRIM_400000_NS6detail17trampoline_kernelINS0_13select_configILj256ELj13ELNS0_17block_load_methodE3ELS4_3ELS4_3ELNS0_20block_scan_algorithmE0ELj4294967295EEENS1_25partition_config_selectorILNS1_17partition_subalgoE4EjNS0_10empty_typeEbEEZZNS1_14partition_implILS8_4ELb0ES6_15HIP_vector_typeIjLj2EENS0_17counting_iteratorIjlEEPS9_SG_NS0_5tupleIJPjSI_NS0_16reverse_iteratorISI_EEEEENSH_IJSG_SG_SG_EEES9_SI_JZNS1_25segmented_radix_sort_implINS0_14default_configELb0EPKsPsPKlPlN2at6native12_GLOBAL__N_18offset_tEEE10hipError_tPvRmT1_PNSt15iterator_traitsIS12_E10value_typeET2_T3_PNS13_IS18_E10value_typeET4_jRbjT5_S1E_jjP12ihipStream_tbEUljE_ZNSN_ISO_Lb0ESQ_SR_ST_SU_SY_EESZ_S10_S11_S12_S16_S17_S18_S1B_S1C_jS1D_jS1E_S1E_jjS1G_bEUljE0_EEESZ_S10_S11_S18_S1C_S1E_T6_T7_T9_mT8_S1G_bDpT10_ENKUlT_T0_E_clISt17integral_constantIbLb1EES1U_EEDaS1P_S1Q_EUlS1P_E_NS1_11comp_targetILNS1_3genE9ELNS1_11target_archE1100ELNS1_3gpuE3ELNS1_3repE0EEENS1_30default_config_static_selectorELNS0_4arch9wavefront6targetE0EEEvS12_.kd
    .uniform_work_group_size: 1
    .uses_dynamic_stack: false
    .vgpr_count:     0
    .vgpr_spill_count: 0
    .wavefront_size: 32
  - .args:
      - .offset:         0
        .size:           184
        .value_kind:     by_value
    .group_segment_fixed_size: 0
    .kernarg_segment_align: 8
    .kernarg_segment_size: 184
    .language:       OpenCL C
    .language_version:
      - 2
      - 0
    .max_flat_workgroup_size: 256
    .name:           _ZN7rocprim17ROCPRIM_400000_NS6detail17trampoline_kernelINS0_13select_configILj256ELj13ELNS0_17block_load_methodE3ELS4_3ELS4_3ELNS0_20block_scan_algorithmE0ELj4294967295EEENS1_25partition_config_selectorILNS1_17partition_subalgoE4EjNS0_10empty_typeEbEEZZNS1_14partition_implILS8_4ELb0ES6_15HIP_vector_typeIjLj2EENS0_17counting_iteratorIjlEEPS9_SG_NS0_5tupleIJPjSI_NS0_16reverse_iteratorISI_EEEEENSH_IJSG_SG_SG_EEES9_SI_JZNS1_25segmented_radix_sort_implINS0_14default_configELb0EPKsPsPKlPlN2at6native12_GLOBAL__N_18offset_tEEE10hipError_tPvRmT1_PNSt15iterator_traitsIS12_E10value_typeET2_T3_PNS13_IS18_E10value_typeET4_jRbjT5_S1E_jjP12ihipStream_tbEUljE_ZNSN_ISO_Lb0ESQ_SR_ST_SU_SY_EESZ_S10_S11_S12_S16_S17_S18_S1B_S1C_jS1D_jS1E_S1E_jjS1G_bEUljE0_EEESZ_S10_S11_S18_S1C_S1E_T6_T7_T9_mT8_S1G_bDpT10_ENKUlT_T0_E_clISt17integral_constantIbLb1EES1U_EEDaS1P_S1Q_EUlS1P_E_NS1_11comp_targetILNS1_3genE8ELNS1_11target_archE1030ELNS1_3gpuE2ELNS1_3repE0EEENS1_30default_config_static_selectorELNS0_4arch9wavefront6targetE0EEEvS12_
    .private_segment_fixed_size: 0
    .sgpr_count:     0
    .sgpr_spill_count: 0
    .symbol:         _ZN7rocprim17ROCPRIM_400000_NS6detail17trampoline_kernelINS0_13select_configILj256ELj13ELNS0_17block_load_methodE3ELS4_3ELS4_3ELNS0_20block_scan_algorithmE0ELj4294967295EEENS1_25partition_config_selectorILNS1_17partition_subalgoE4EjNS0_10empty_typeEbEEZZNS1_14partition_implILS8_4ELb0ES6_15HIP_vector_typeIjLj2EENS0_17counting_iteratorIjlEEPS9_SG_NS0_5tupleIJPjSI_NS0_16reverse_iteratorISI_EEEEENSH_IJSG_SG_SG_EEES9_SI_JZNS1_25segmented_radix_sort_implINS0_14default_configELb0EPKsPsPKlPlN2at6native12_GLOBAL__N_18offset_tEEE10hipError_tPvRmT1_PNSt15iterator_traitsIS12_E10value_typeET2_T3_PNS13_IS18_E10value_typeET4_jRbjT5_S1E_jjP12ihipStream_tbEUljE_ZNSN_ISO_Lb0ESQ_SR_ST_SU_SY_EESZ_S10_S11_S12_S16_S17_S18_S1B_S1C_jS1D_jS1E_S1E_jjS1G_bEUljE0_EEESZ_S10_S11_S18_S1C_S1E_T6_T7_T9_mT8_S1G_bDpT10_ENKUlT_T0_E_clISt17integral_constantIbLb1EES1U_EEDaS1P_S1Q_EUlS1P_E_NS1_11comp_targetILNS1_3genE8ELNS1_11target_archE1030ELNS1_3gpuE2ELNS1_3repE0EEENS1_30default_config_static_selectorELNS0_4arch9wavefront6targetE0EEEvS12_.kd
    .uniform_work_group_size: 1
    .uses_dynamic_stack: false
    .vgpr_count:     0
    .vgpr_spill_count: 0
    .wavefront_size: 32
  - .args:
      - .offset:         0
        .size:           176
        .value_kind:     by_value
    .group_segment_fixed_size: 0
    .kernarg_segment_align: 8
    .kernarg_segment_size: 176
    .language:       OpenCL C
    .language_version:
      - 2
      - 0
    .max_flat_workgroup_size: 256
    .name:           _ZN7rocprim17ROCPRIM_400000_NS6detail17trampoline_kernelINS0_13select_configILj256ELj13ELNS0_17block_load_methodE3ELS4_3ELS4_3ELNS0_20block_scan_algorithmE0ELj4294967295EEENS1_25partition_config_selectorILNS1_17partition_subalgoE4EjNS0_10empty_typeEbEEZZNS1_14partition_implILS8_4ELb0ES6_15HIP_vector_typeIjLj2EENS0_17counting_iteratorIjlEEPS9_SG_NS0_5tupleIJPjSI_NS0_16reverse_iteratorISI_EEEEENSH_IJSG_SG_SG_EEES9_SI_JZNS1_25segmented_radix_sort_implINS0_14default_configELb0EPKsPsPKlPlN2at6native12_GLOBAL__N_18offset_tEEE10hipError_tPvRmT1_PNSt15iterator_traitsIS12_E10value_typeET2_T3_PNS13_IS18_E10value_typeET4_jRbjT5_S1E_jjP12ihipStream_tbEUljE_ZNSN_ISO_Lb0ESQ_SR_ST_SU_SY_EESZ_S10_S11_S12_S16_S17_S18_S1B_S1C_jS1D_jS1E_S1E_jjS1G_bEUljE0_EEESZ_S10_S11_S18_S1C_S1E_T6_T7_T9_mT8_S1G_bDpT10_ENKUlT_T0_E_clISt17integral_constantIbLb1EES1T_IbLb0EEEEDaS1P_S1Q_EUlS1P_E_NS1_11comp_targetILNS1_3genE0ELNS1_11target_archE4294967295ELNS1_3gpuE0ELNS1_3repE0EEENS1_30default_config_static_selectorELNS0_4arch9wavefront6targetE0EEEvS12_
    .private_segment_fixed_size: 0
    .sgpr_count:     0
    .sgpr_spill_count: 0
    .symbol:         _ZN7rocprim17ROCPRIM_400000_NS6detail17trampoline_kernelINS0_13select_configILj256ELj13ELNS0_17block_load_methodE3ELS4_3ELS4_3ELNS0_20block_scan_algorithmE0ELj4294967295EEENS1_25partition_config_selectorILNS1_17partition_subalgoE4EjNS0_10empty_typeEbEEZZNS1_14partition_implILS8_4ELb0ES6_15HIP_vector_typeIjLj2EENS0_17counting_iteratorIjlEEPS9_SG_NS0_5tupleIJPjSI_NS0_16reverse_iteratorISI_EEEEENSH_IJSG_SG_SG_EEES9_SI_JZNS1_25segmented_radix_sort_implINS0_14default_configELb0EPKsPsPKlPlN2at6native12_GLOBAL__N_18offset_tEEE10hipError_tPvRmT1_PNSt15iterator_traitsIS12_E10value_typeET2_T3_PNS13_IS18_E10value_typeET4_jRbjT5_S1E_jjP12ihipStream_tbEUljE_ZNSN_ISO_Lb0ESQ_SR_ST_SU_SY_EESZ_S10_S11_S12_S16_S17_S18_S1B_S1C_jS1D_jS1E_S1E_jjS1G_bEUljE0_EEESZ_S10_S11_S18_S1C_S1E_T6_T7_T9_mT8_S1G_bDpT10_ENKUlT_T0_E_clISt17integral_constantIbLb1EES1T_IbLb0EEEEDaS1P_S1Q_EUlS1P_E_NS1_11comp_targetILNS1_3genE0ELNS1_11target_archE4294967295ELNS1_3gpuE0ELNS1_3repE0EEENS1_30default_config_static_selectorELNS0_4arch9wavefront6targetE0EEEvS12_.kd
    .uniform_work_group_size: 1
    .uses_dynamic_stack: false
    .vgpr_count:     0
    .vgpr_spill_count: 0
    .wavefront_size: 32
  - .args:
      - .offset:         0
        .size:           176
        .value_kind:     by_value
    .group_segment_fixed_size: 0
    .kernarg_segment_align: 8
    .kernarg_segment_size: 176
    .language:       OpenCL C
    .language_version:
      - 2
      - 0
    .max_flat_workgroup_size: 256
    .name:           _ZN7rocprim17ROCPRIM_400000_NS6detail17trampoline_kernelINS0_13select_configILj256ELj13ELNS0_17block_load_methodE3ELS4_3ELS4_3ELNS0_20block_scan_algorithmE0ELj4294967295EEENS1_25partition_config_selectorILNS1_17partition_subalgoE4EjNS0_10empty_typeEbEEZZNS1_14partition_implILS8_4ELb0ES6_15HIP_vector_typeIjLj2EENS0_17counting_iteratorIjlEEPS9_SG_NS0_5tupleIJPjSI_NS0_16reverse_iteratorISI_EEEEENSH_IJSG_SG_SG_EEES9_SI_JZNS1_25segmented_radix_sort_implINS0_14default_configELb0EPKsPsPKlPlN2at6native12_GLOBAL__N_18offset_tEEE10hipError_tPvRmT1_PNSt15iterator_traitsIS12_E10value_typeET2_T3_PNS13_IS18_E10value_typeET4_jRbjT5_S1E_jjP12ihipStream_tbEUljE_ZNSN_ISO_Lb0ESQ_SR_ST_SU_SY_EESZ_S10_S11_S12_S16_S17_S18_S1B_S1C_jS1D_jS1E_S1E_jjS1G_bEUljE0_EEESZ_S10_S11_S18_S1C_S1E_T6_T7_T9_mT8_S1G_bDpT10_ENKUlT_T0_E_clISt17integral_constantIbLb1EES1T_IbLb0EEEEDaS1P_S1Q_EUlS1P_E_NS1_11comp_targetILNS1_3genE5ELNS1_11target_archE942ELNS1_3gpuE9ELNS1_3repE0EEENS1_30default_config_static_selectorELNS0_4arch9wavefront6targetE0EEEvS12_
    .private_segment_fixed_size: 0
    .sgpr_count:     0
    .sgpr_spill_count: 0
    .symbol:         _ZN7rocprim17ROCPRIM_400000_NS6detail17trampoline_kernelINS0_13select_configILj256ELj13ELNS0_17block_load_methodE3ELS4_3ELS4_3ELNS0_20block_scan_algorithmE0ELj4294967295EEENS1_25partition_config_selectorILNS1_17partition_subalgoE4EjNS0_10empty_typeEbEEZZNS1_14partition_implILS8_4ELb0ES6_15HIP_vector_typeIjLj2EENS0_17counting_iteratorIjlEEPS9_SG_NS0_5tupleIJPjSI_NS0_16reverse_iteratorISI_EEEEENSH_IJSG_SG_SG_EEES9_SI_JZNS1_25segmented_radix_sort_implINS0_14default_configELb0EPKsPsPKlPlN2at6native12_GLOBAL__N_18offset_tEEE10hipError_tPvRmT1_PNSt15iterator_traitsIS12_E10value_typeET2_T3_PNS13_IS18_E10value_typeET4_jRbjT5_S1E_jjP12ihipStream_tbEUljE_ZNSN_ISO_Lb0ESQ_SR_ST_SU_SY_EESZ_S10_S11_S12_S16_S17_S18_S1B_S1C_jS1D_jS1E_S1E_jjS1G_bEUljE0_EEESZ_S10_S11_S18_S1C_S1E_T6_T7_T9_mT8_S1G_bDpT10_ENKUlT_T0_E_clISt17integral_constantIbLb1EES1T_IbLb0EEEEDaS1P_S1Q_EUlS1P_E_NS1_11comp_targetILNS1_3genE5ELNS1_11target_archE942ELNS1_3gpuE9ELNS1_3repE0EEENS1_30default_config_static_selectorELNS0_4arch9wavefront6targetE0EEEvS12_.kd
    .uniform_work_group_size: 1
    .uses_dynamic_stack: false
    .vgpr_count:     0
    .vgpr_spill_count: 0
    .wavefront_size: 32
  - .args:
      - .offset:         0
        .size:           176
        .value_kind:     by_value
    .group_segment_fixed_size: 0
    .kernarg_segment_align: 8
    .kernarg_segment_size: 176
    .language:       OpenCL C
    .language_version:
      - 2
      - 0
    .max_flat_workgroup_size: 256
    .name:           _ZN7rocprim17ROCPRIM_400000_NS6detail17trampoline_kernelINS0_13select_configILj256ELj13ELNS0_17block_load_methodE3ELS4_3ELS4_3ELNS0_20block_scan_algorithmE0ELj4294967295EEENS1_25partition_config_selectorILNS1_17partition_subalgoE4EjNS0_10empty_typeEbEEZZNS1_14partition_implILS8_4ELb0ES6_15HIP_vector_typeIjLj2EENS0_17counting_iteratorIjlEEPS9_SG_NS0_5tupleIJPjSI_NS0_16reverse_iteratorISI_EEEEENSH_IJSG_SG_SG_EEES9_SI_JZNS1_25segmented_radix_sort_implINS0_14default_configELb0EPKsPsPKlPlN2at6native12_GLOBAL__N_18offset_tEEE10hipError_tPvRmT1_PNSt15iterator_traitsIS12_E10value_typeET2_T3_PNS13_IS18_E10value_typeET4_jRbjT5_S1E_jjP12ihipStream_tbEUljE_ZNSN_ISO_Lb0ESQ_SR_ST_SU_SY_EESZ_S10_S11_S12_S16_S17_S18_S1B_S1C_jS1D_jS1E_S1E_jjS1G_bEUljE0_EEESZ_S10_S11_S18_S1C_S1E_T6_T7_T9_mT8_S1G_bDpT10_ENKUlT_T0_E_clISt17integral_constantIbLb1EES1T_IbLb0EEEEDaS1P_S1Q_EUlS1P_E_NS1_11comp_targetILNS1_3genE4ELNS1_11target_archE910ELNS1_3gpuE8ELNS1_3repE0EEENS1_30default_config_static_selectorELNS0_4arch9wavefront6targetE0EEEvS12_
    .private_segment_fixed_size: 0
    .sgpr_count:     0
    .sgpr_spill_count: 0
    .symbol:         _ZN7rocprim17ROCPRIM_400000_NS6detail17trampoline_kernelINS0_13select_configILj256ELj13ELNS0_17block_load_methodE3ELS4_3ELS4_3ELNS0_20block_scan_algorithmE0ELj4294967295EEENS1_25partition_config_selectorILNS1_17partition_subalgoE4EjNS0_10empty_typeEbEEZZNS1_14partition_implILS8_4ELb0ES6_15HIP_vector_typeIjLj2EENS0_17counting_iteratorIjlEEPS9_SG_NS0_5tupleIJPjSI_NS0_16reverse_iteratorISI_EEEEENSH_IJSG_SG_SG_EEES9_SI_JZNS1_25segmented_radix_sort_implINS0_14default_configELb0EPKsPsPKlPlN2at6native12_GLOBAL__N_18offset_tEEE10hipError_tPvRmT1_PNSt15iterator_traitsIS12_E10value_typeET2_T3_PNS13_IS18_E10value_typeET4_jRbjT5_S1E_jjP12ihipStream_tbEUljE_ZNSN_ISO_Lb0ESQ_SR_ST_SU_SY_EESZ_S10_S11_S12_S16_S17_S18_S1B_S1C_jS1D_jS1E_S1E_jjS1G_bEUljE0_EEESZ_S10_S11_S18_S1C_S1E_T6_T7_T9_mT8_S1G_bDpT10_ENKUlT_T0_E_clISt17integral_constantIbLb1EES1T_IbLb0EEEEDaS1P_S1Q_EUlS1P_E_NS1_11comp_targetILNS1_3genE4ELNS1_11target_archE910ELNS1_3gpuE8ELNS1_3repE0EEENS1_30default_config_static_selectorELNS0_4arch9wavefront6targetE0EEEvS12_.kd
    .uniform_work_group_size: 1
    .uses_dynamic_stack: false
    .vgpr_count:     0
    .vgpr_spill_count: 0
    .wavefront_size: 32
  - .args:
      - .offset:         0
        .size:           176
        .value_kind:     by_value
    .group_segment_fixed_size: 0
    .kernarg_segment_align: 8
    .kernarg_segment_size: 176
    .language:       OpenCL C
    .language_version:
      - 2
      - 0
    .max_flat_workgroup_size: 256
    .name:           _ZN7rocprim17ROCPRIM_400000_NS6detail17trampoline_kernelINS0_13select_configILj256ELj13ELNS0_17block_load_methodE3ELS4_3ELS4_3ELNS0_20block_scan_algorithmE0ELj4294967295EEENS1_25partition_config_selectorILNS1_17partition_subalgoE4EjNS0_10empty_typeEbEEZZNS1_14partition_implILS8_4ELb0ES6_15HIP_vector_typeIjLj2EENS0_17counting_iteratorIjlEEPS9_SG_NS0_5tupleIJPjSI_NS0_16reverse_iteratorISI_EEEEENSH_IJSG_SG_SG_EEES9_SI_JZNS1_25segmented_radix_sort_implINS0_14default_configELb0EPKsPsPKlPlN2at6native12_GLOBAL__N_18offset_tEEE10hipError_tPvRmT1_PNSt15iterator_traitsIS12_E10value_typeET2_T3_PNS13_IS18_E10value_typeET4_jRbjT5_S1E_jjP12ihipStream_tbEUljE_ZNSN_ISO_Lb0ESQ_SR_ST_SU_SY_EESZ_S10_S11_S12_S16_S17_S18_S1B_S1C_jS1D_jS1E_S1E_jjS1G_bEUljE0_EEESZ_S10_S11_S18_S1C_S1E_T6_T7_T9_mT8_S1G_bDpT10_ENKUlT_T0_E_clISt17integral_constantIbLb1EES1T_IbLb0EEEEDaS1P_S1Q_EUlS1P_E_NS1_11comp_targetILNS1_3genE3ELNS1_11target_archE908ELNS1_3gpuE7ELNS1_3repE0EEENS1_30default_config_static_selectorELNS0_4arch9wavefront6targetE0EEEvS12_
    .private_segment_fixed_size: 0
    .sgpr_count:     0
    .sgpr_spill_count: 0
    .symbol:         _ZN7rocprim17ROCPRIM_400000_NS6detail17trampoline_kernelINS0_13select_configILj256ELj13ELNS0_17block_load_methodE3ELS4_3ELS4_3ELNS0_20block_scan_algorithmE0ELj4294967295EEENS1_25partition_config_selectorILNS1_17partition_subalgoE4EjNS0_10empty_typeEbEEZZNS1_14partition_implILS8_4ELb0ES6_15HIP_vector_typeIjLj2EENS0_17counting_iteratorIjlEEPS9_SG_NS0_5tupleIJPjSI_NS0_16reverse_iteratorISI_EEEEENSH_IJSG_SG_SG_EEES9_SI_JZNS1_25segmented_radix_sort_implINS0_14default_configELb0EPKsPsPKlPlN2at6native12_GLOBAL__N_18offset_tEEE10hipError_tPvRmT1_PNSt15iterator_traitsIS12_E10value_typeET2_T3_PNS13_IS18_E10value_typeET4_jRbjT5_S1E_jjP12ihipStream_tbEUljE_ZNSN_ISO_Lb0ESQ_SR_ST_SU_SY_EESZ_S10_S11_S12_S16_S17_S18_S1B_S1C_jS1D_jS1E_S1E_jjS1G_bEUljE0_EEESZ_S10_S11_S18_S1C_S1E_T6_T7_T9_mT8_S1G_bDpT10_ENKUlT_T0_E_clISt17integral_constantIbLb1EES1T_IbLb0EEEEDaS1P_S1Q_EUlS1P_E_NS1_11comp_targetILNS1_3genE3ELNS1_11target_archE908ELNS1_3gpuE7ELNS1_3repE0EEENS1_30default_config_static_selectorELNS0_4arch9wavefront6targetE0EEEvS12_.kd
    .uniform_work_group_size: 1
    .uses_dynamic_stack: false
    .vgpr_count:     0
    .vgpr_spill_count: 0
    .wavefront_size: 32
  - .args:
      - .offset:         0
        .size:           176
        .value_kind:     by_value
    .group_segment_fixed_size: 0
    .kernarg_segment_align: 8
    .kernarg_segment_size: 176
    .language:       OpenCL C
    .language_version:
      - 2
      - 0
    .max_flat_workgroup_size: 256
    .name:           _ZN7rocprim17ROCPRIM_400000_NS6detail17trampoline_kernelINS0_13select_configILj256ELj13ELNS0_17block_load_methodE3ELS4_3ELS4_3ELNS0_20block_scan_algorithmE0ELj4294967295EEENS1_25partition_config_selectorILNS1_17partition_subalgoE4EjNS0_10empty_typeEbEEZZNS1_14partition_implILS8_4ELb0ES6_15HIP_vector_typeIjLj2EENS0_17counting_iteratorIjlEEPS9_SG_NS0_5tupleIJPjSI_NS0_16reverse_iteratorISI_EEEEENSH_IJSG_SG_SG_EEES9_SI_JZNS1_25segmented_radix_sort_implINS0_14default_configELb0EPKsPsPKlPlN2at6native12_GLOBAL__N_18offset_tEEE10hipError_tPvRmT1_PNSt15iterator_traitsIS12_E10value_typeET2_T3_PNS13_IS18_E10value_typeET4_jRbjT5_S1E_jjP12ihipStream_tbEUljE_ZNSN_ISO_Lb0ESQ_SR_ST_SU_SY_EESZ_S10_S11_S12_S16_S17_S18_S1B_S1C_jS1D_jS1E_S1E_jjS1G_bEUljE0_EEESZ_S10_S11_S18_S1C_S1E_T6_T7_T9_mT8_S1G_bDpT10_ENKUlT_T0_E_clISt17integral_constantIbLb1EES1T_IbLb0EEEEDaS1P_S1Q_EUlS1P_E_NS1_11comp_targetILNS1_3genE2ELNS1_11target_archE906ELNS1_3gpuE6ELNS1_3repE0EEENS1_30default_config_static_selectorELNS0_4arch9wavefront6targetE0EEEvS12_
    .private_segment_fixed_size: 0
    .sgpr_count:     0
    .sgpr_spill_count: 0
    .symbol:         _ZN7rocprim17ROCPRIM_400000_NS6detail17trampoline_kernelINS0_13select_configILj256ELj13ELNS0_17block_load_methodE3ELS4_3ELS4_3ELNS0_20block_scan_algorithmE0ELj4294967295EEENS1_25partition_config_selectorILNS1_17partition_subalgoE4EjNS0_10empty_typeEbEEZZNS1_14partition_implILS8_4ELb0ES6_15HIP_vector_typeIjLj2EENS0_17counting_iteratorIjlEEPS9_SG_NS0_5tupleIJPjSI_NS0_16reverse_iteratorISI_EEEEENSH_IJSG_SG_SG_EEES9_SI_JZNS1_25segmented_radix_sort_implINS0_14default_configELb0EPKsPsPKlPlN2at6native12_GLOBAL__N_18offset_tEEE10hipError_tPvRmT1_PNSt15iterator_traitsIS12_E10value_typeET2_T3_PNS13_IS18_E10value_typeET4_jRbjT5_S1E_jjP12ihipStream_tbEUljE_ZNSN_ISO_Lb0ESQ_SR_ST_SU_SY_EESZ_S10_S11_S12_S16_S17_S18_S1B_S1C_jS1D_jS1E_S1E_jjS1G_bEUljE0_EEESZ_S10_S11_S18_S1C_S1E_T6_T7_T9_mT8_S1G_bDpT10_ENKUlT_T0_E_clISt17integral_constantIbLb1EES1T_IbLb0EEEEDaS1P_S1Q_EUlS1P_E_NS1_11comp_targetILNS1_3genE2ELNS1_11target_archE906ELNS1_3gpuE6ELNS1_3repE0EEENS1_30default_config_static_selectorELNS0_4arch9wavefront6targetE0EEEvS12_.kd
    .uniform_work_group_size: 1
    .uses_dynamic_stack: false
    .vgpr_count:     0
    .vgpr_spill_count: 0
    .wavefront_size: 32
  - .args:
      - .offset:         0
        .size:           176
        .value_kind:     by_value
    .group_segment_fixed_size: 0
    .kernarg_segment_align: 8
    .kernarg_segment_size: 176
    .language:       OpenCL C
    .language_version:
      - 2
      - 0
    .max_flat_workgroup_size: 256
    .name:           _ZN7rocprim17ROCPRIM_400000_NS6detail17trampoline_kernelINS0_13select_configILj256ELj13ELNS0_17block_load_methodE3ELS4_3ELS4_3ELNS0_20block_scan_algorithmE0ELj4294967295EEENS1_25partition_config_selectorILNS1_17partition_subalgoE4EjNS0_10empty_typeEbEEZZNS1_14partition_implILS8_4ELb0ES6_15HIP_vector_typeIjLj2EENS0_17counting_iteratorIjlEEPS9_SG_NS0_5tupleIJPjSI_NS0_16reverse_iteratorISI_EEEEENSH_IJSG_SG_SG_EEES9_SI_JZNS1_25segmented_radix_sort_implINS0_14default_configELb0EPKsPsPKlPlN2at6native12_GLOBAL__N_18offset_tEEE10hipError_tPvRmT1_PNSt15iterator_traitsIS12_E10value_typeET2_T3_PNS13_IS18_E10value_typeET4_jRbjT5_S1E_jjP12ihipStream_tbEUljE_ZNSN_ISO_Lb0ESQ_SR_ST_SU_SY_EESZ_S10_S11_S12_S16_S17_S18_S1B_S1C_jS1D_jS1E_S1E_jjS1G_bEUljE0_EEESZ_S10_S11_S18_S1C_S1E_T6_T7_T9_mT8_S1G_bDpT10_ENKUlT_T0_E_clISt17integral_constantIbLb1EES1T_IbLb0EEEEDaS1P_S1Q_EUlS1P_E_NS1_11comp_targetILNS1_3genE10ELNS1_11target_archE1200ELNS1_3gpuE4ELNS1_3repE0EEENS1_30default_config_static_selectorELNS0_4arch9wavefront6targetE0EEEvS12_
    .private_segment_fixed_size: 0
    .sgpr_count:     0
    .sgpr_spill_count: 0
    .symbol:         _ZN7rocprim17ROCPRIM_400000_NS6detail17trampoline_kernelINS0_13select_configILj256ELj13ELNS0_17block_load_methodE3ELS4_3ELS4_3ELNS0_20block_scan_algorithmE0ELj4294967295EEENS1_25partition_config_selectorILNS1_17partition_subalgoE4EjNS0_10empty_typeEbEEZZNS1_14partition_implILS8_4ELb0ES6_15HIP_vector_typeIjLj2EENS0_17counting_iteratorIjlEEPS9_SG_NS0_5tupleIJPjSI_NS0_16reverse_iteratorISI_EEEEENSH_IJSG_SG_SG_EEES9_SI_JZNS1_25segmented_radix_sort_implINS0_14default_configELb0EPKsPsPKlPlN2at6native12_GLOBAL__N_18offset_tEEE10hipError_tPvRmT1_PNSt15iterator_traitsIS12_E10value_typeET2_T3_PNS13_IS18_E10value_typeET4_jRbjT5_S1E_jjP12ihipStream_tbEUljE_ZNSN_ISO_Lb0ESQ_SR_ST_SU_SY_EESZ_S10_S11_S12_S16_S17_S18_S1B_S1C_jS1D_jS1E_S1E_jjS1G_bEUljE0_EEESZ_S10_S11_S18_S1C_S1E_T6_T7_T9_mT8_S1G_bDpT10_ENKUlT_T0_E_clISt17integral_constantIbLb1EES1T_IbLb0EEEEDaS1P_S1Q_EUlS1P_E_NS1_11comp_targetILNS1_3genE10ELNS1_11target_archE1200ELNS1_3gpuE4ELNS1_3repE0EEENS1_30default_config_static_selectorELNS0_4arch9wavefront6targetE0EEEvS12_.kd
    .uniform_work_group_size: 1
    .uses_dynamic_stack: false
    .vgpr_count:     0
    .vgpr_spill_count: 0
    .wavefront_size: 32
  - .args:
      - .offset:         0
        .size:           176
        .value_kind:     by_value
    .group_segment_fixed_size: 0
    .kernarg_segment_align: 8
    .kernarg_segment_size: 176
    .language:       OpenCL C
    .language_version:
      - 2
      - 0
    .max_flat_workgroup_size: 256
    .name:           _ZN7rocprim17ROCPRIM_400000_NS6detail17trampoline_kernelINS0_13select_configILj256ELj13ELNS0_17block_load_methodE3ELS4_3ELS4_3ELNS0_20block_scan_algorithmE0ELj4294967295EEENS1_25partition_config_selectorILNS1_17partition_subalgoE4EjNS0_10empty_typeEbEEZZNS1_14partition_implILS8_4ELb0ES6_15HIP_vector_typeIjLj2EENS0_17counting_iteratorIjlEEPS9_SG_NS0_5tupleIJPjSI_NS0_16reverse_iteratorISI_EEEEENSH_IJSG_SG_SG_EEES9_SI_JZNS1_25segmented_radix_sort_implINS0_14default_configELb0EPKsPsPKlPlN2at6native12_GLOBAL__N_18offset_tEEE10hipError_tPvRmT1_PNSt15iterator_traitsIS12_E10value_typeET2_T3_PNS13_IS18_E10value_typeET4_jRbjT5_S1E_jjP12ihipStream_tbEUljE_ZNSN_ISO_Lb0ESQ_SR_ST_SU_SY_EESZ_S10_S11_S12_S16_S17_S18_S1B_S1C_jS1D_jS1E_S1E_jjS1G_bEUljE0_EEESZ_S10_S11_S18_S1C_S1E_T6_T7_T9_mT8_S1G_bDpT10_ENKUlT_T0_E_clISt17integral_constantIbLb1EES1T_IbLb0EEEEDaS1P_S1Q_EUlS1P_E_NS1_11comp_targetILNS1_3genE9ELNS1_11target_archE1100ELNS1_3gpuE3ELNS1_3repE0EEENS1_30default_config_static_selectorELNS0_4arch9wavefront6targetE0EEEvS12_
    .private_segment_fixed_size: 0
    .sgpr_count:     0
    .sgpr_spill_count: 0
    .symbol:         _ZN7rocprim17ROCPRIM_400000_NS6detail17trampoline_kernelINS0_13select_configILj256ELj13ELNS0_17block_load_methodE3ELS4_3ELS4_3ELNS0_20block_scan_algorithmE0ELj4294967295EEENS1_25partition_config_selectorILNS1_17partition_subalgoE4EjNS0_10empty_typeEbEEZZNS1_14partition_implILS8_4ELb0ES6_15HIP_vector_typeIjLj2EENS0_17counting_iteratorIjlEEPS9_SG_NS0_5tupleIJPjSI_NS0_16reverse_iteratorISI_EEEEENSH_IJSG_SG_SG_EEES9_SI_JZNS1_25segmented_radix_sort_implINS0_14default_configELb0EPKsPsPKlPlN2at6native12_GLOBAL__N_18offset_tEEE10hipError_tPvRmT1_PNSt15iterator_traitsIS12_E10value_typeET2_T3_PNS13_IS18_E10value_typeET4_jRbjT5_S1E_jjP12ihipStream_tbEUljE_ZNSN_ISO_Lb0ESQ_SR_ST_SU_SY_EESZ_S10_S11_S12_S16_S17_S18_S1B_S1C_jS1D_jS1E_S1E_jjS1G_bEUljE0_EEESZ_S10_S11_S18_S1C_S1E_T6_T7_T9_mT8_S1G_bDpT10_ENKUlT_T0_E_clISt17integral_constantIbLb1EES1T_IbLb0EEEEDaS1P_S1Q_EUlS1P_E_NS1_11comp_targetILNS1_3genE9ELNS1_11target_archE1100ELNS1_3gpuE3ELNS1_3repE0EEENS1_30default_config_static_selectorELNS0_4arch9wavefront6targetE0EEEvS12_.kd
    .uniform_work_group_size: 1
    .uses_dynamic_stack: false
    .vgpr_count:     0
    .vgpr_spill_count: 0
    .wavefront_size: 32
  - .args:
      - .offset:         0
        .size:           176
        .value_kind:     by_value
    .group_segment_fixed_size: 0
    .kernarg_segment_align: 8
    .kernarg_segment_size: 176
    .language:       OpenCL C
    .language_version:
      - 2
      - 0
    .max_flat_workgroup_size: 256
    .name:           _ZN7rocprim17ROCPRIM_400000_NS6detail17trampoline_kernelINS0_13select_configILj256ELj13ELNS0_17block_load_methodE3ELS4_3ELS4_3ELNS0_20block_scan_algorithmE0ELj4294967295EEENS1_25partition_config_selectorILNS1_17partition_subalgoE4EjNS0_10empty_typeEbEEZZNS1_14partition_implILS8_4ELb0ES6_15HIP_vector_typeIjLj2EENS0_17counting_iteratorIjlEEPS9_SG_NS0_5tupleIJPjSI_NS0_16reverse_iteratorISI_EEEEENSH_IJSG_SG_SG_EEES9_SI_JZNS1_25segmented_radix_sort_implINS0_14default_configELb0EPKsPsPKlPlN2at6native12_GLOBAL__N_18offset_tEEE10hipError_tPvRmT1_PNSt15iterator_traitsIS12_E10value_typeET2_T3_PNS13_IS18_E10value_typeET4_jRbjT5_S1E_jjP12ihipStream_tbEUljE_ZNSN_ISO_Lb0ESQ_SR_ST_SU_SY_EESZ_S10_S11_S12_S16_S17_S18_S1B_S1C_jS1D_jS1E_S1E_jjS1G_bEUljE0_EEESZ_S10_S11_S18_S1C_S1E_T6_T7_T9_mT8_S1G_bDpT10_ENKUlT_T0_E_clISt17integral_constantIbLb1EES1T_IbLb0EEEEDaS1P_S1Q_EUlS1P_E_NS1_11comp_targetILNS1_3genE8ELNS1_11target_archE1030ELNS1_3gpuE2ELNS1_3repE0EEENS1_30default_config_static_selectorELNS0_4arch9wavefront6targetE0EEEvS12_
    .private_segment_fixed_size: 0
    .sgpr_count:     0
    .sgpr_spill_count: 0
    .symbol:         _ZN7rocprim17ROCPRIM_400000_NS6detail17trampoline_kernelINS0_13select_configILj256ELj13ELNS0_17block_load_methodE3ELS4_3ELS4_3ELNS0_20block_scan_algorithmE0ELj4294967295EEENS1_25partition_config_selectorILNS1_17partition_subalgoE4EjNS0_10empty_typeEbEEZZNS1_14partition_implILS8_4ELb0ES6_15HIP_vector_typeIjLj2EENS0_17counting_iteratorIjlEEPS9_SG_NS0_5tupleIJPjSI_NS0_16reverse_iteratorISI_EEEEENSH_IJSG_SG_SG_EEES9_SI_JZNS1_25segmented_radix_sort_implINS0_14default_configELb0EPKsPsPKlPlN2at6native12_GLOBAL__N_18offset_tEEE10hipError_tPvRmT1_PNSt15iterator_traitsIS12_E10value_typeET2_T3_PNS13_IS18_E10value_typeET4_jRbjT5_S1E_jjP12ihipStream_tbEUljE_ZNSN_ISO_Lb0ESQ_SR_ST_SU_SY_EESZ_S10_S11_S12_S16_S17_S18_S1B_S1C_jS1D_jS1E_S1E_jjS1G_bEUljE0_EEESZ_S10_S11_S18_S1C_S1E_T6_T7_T9_mT8_S1G_bDpT10_ENKUlT_T0_E_clISt17integral_constantIbLb1EES1T_IbLb0EEEEDaS1P_S1Q_EUlS1P_E_NS1_11comp_targetILNS1_3genE8ELNS1_11target_archE1030ELNS1_3gpuE2ELNS1_3repE0EEENS1_30default_config_static_selectorELNS0_4arch9wavefront6targetE0EEEvS12_.kd
    .uniform_work_group_size: 1
    .uses_dynamic_stack: false
    .vgpr_count:     0
    .vgpr_spill_count: 0
    .wavefront_size: 32
  - .args:
      - .offset:         0
        .size:           184
        .value_kind:     by_value
    .group_segment_fixed_size: 13328
    .kernarg_segment_align: 8
    .kernarg_segment_size: 184
    .language:       OpenCL C
    .language_version:
      - 2
      - 0
    .max_flat_workgroup_size: 256
    .name:           _ZN7rocprim17ROCPRIM_400000_NS6detail17trampoline_kernelINS0_13select_configILj256ELj13ELNS0_17block_load_methodE3ELS4_3ELS4_3ELNS0_20block_scan_algorithmE0ELj4294967295EEENS1_25partition_config_selectorILNS1_17partition_subalgoE4EjNS0_10empty_typeEbEEZZNS1_14partition_implILS8_4ELb0ES6_15HIP_vector_typeIjLj2EENS0_17counting_iteratorIjlEEPS9_SG_NS0_5tupleIJPjSI_NS0_16reverse_iteratorISI_EEEEENSH_IJSG_SG_SG_EEES9_SI_JZNS1_25segmented_radix_sort_implINS0_14default_configELb0EPKsPsPKlPlN2at6native12_GLOBAL__N_18offset_tEEE10hipError_tPvRmT1_PNSt15iterator_traitsIS12_E10value_typeET2_T3_PNS13_IS18_E10value_typeET4_jRbjT5_S1E_jjP12ihipStream_tbEUljE_ZNSN_ISO_Lb0ESQ_SR_ST_SU_SY_EESZ_S10_S11_S12_S16_S17_S18_S1B_S1C_jS1D_jS1E_S1E_jjS1G_bEUljE0_EEESZ_S10_S11_S18_S1C_S1E_T6_T7_T9_mT8_S1G_bDpT10_ENKUlT_T0_E_clISt17integral_constantIbLb0EES1T_IbLb1EEEEDaS1P_S1Q_EUlS1P_E_NS1_11comp_targetILNS1_3genE0ELNS1_11target_archE4294967295ELNS1_3gpuE0ELNS1_3repE0EEENS1_30default_config_static_selectorELNS0_4arch9wavefront6targetE0EEEvS12_
    .private_segment_fixed_size: 0
    .sgpr_count:     57
    .sgpr_spill_count: 0
    .symbol:         _ZN7rocprim17ROCPRIM_400000_NS6detail17trampoline_kernelINS0_13select_configILj256ELj13ELNS0_17block_load_methodE3ELS4_3ELS4_3ELNS0_20block_scan_algorithmE0ELj4294967295EEENS1_25partition_config_selectorILNS1_17partition_subalgoE4EjNS0_10empty_typeEbEEZZNS1_14partition_implILS8_4ELb0ES6_15HIP_vector_typeIjLj2EENS0_17counting_iteratorIjlEEPS9_SG_NS0_5tupleIJPjSI_NS0_16reverse_iteratorISI_EEEEENSH_IJSG_SG_SG_EEES9_SI_JZNS1_25segmented_radix_sort_implINS0_14default_configELb0EPKsPsPKlPlN2at6native12_GLOBAL__N_18offset_tEEE10hipError_tPvRmT1_PNSt15iterator_traitsIS12_E10value_typeET2_T3_PNS13_IS18_E10value_typeET4_jRbjT5_S1E_jjP12ihipStream_tbEUljE_ZNSN_ISO_Lb0ESQ_SR_ST_SU_SY_EESZ_S10_S11_S12_S16_S17_S18_S1B_S1C_jS1D_jS1E_S1E_jjS1G_bEUljE0_EEESZ_S10_S11_S18_S1C_S1E_T6_T7_T9_mT8_S1G_bDpT10_ENKUlT_T0_E_clISt17integral_constantIbLb0EES1T_IbLb1EEEEDaS1P_S1Q_EUlS1P_E_NS1_11comp_targetILNS1_3genE0ELNS1_11target_archE4294967295ELNS1_3gpuE0ELNS1_3repE0EEENS1_30default_config_static_selectorELNS0_4arch9wavefront6targetE0EEEvS12_.kd
    .uniform_work_group_size: 1
    .uses_dynamic_stack: false
    .vgpr_count:     86
    .vgpr_spill_count: 0
    .wavefront_size: 32
  - .args:
      - .offset:         0
        .size:           184
        .value_kind:     by_value
    .group_segment_fixed_size: 0
    .kernarg_segment_align: 8
    .kernarg_segment_size: 184
    .language:       OpenCL C
    .language_version:
      - 2
      - 0
    .max_flat_workgroup_size: 256
    .name:           _ZN7rocprim17ROCPRIM_400000_NS6detail17trampoline_kernelINS0_13select_configILj256ELj13ELNS0_17block_load_methodE3ELS4_3ELS4_3ELNS0_20block_scan_algorithmE0ELj4294967295EEENS1_25partition_config_selectorILNS1_17partition_subalgoE4EjNS0_10empty_typeEbEEZZNS1_14partition_implILS8_4ELb0ES6_15HIP_vector_typeIjLj2EENS0_17counting_iteratorIjlEEPS9_SG_NS0_5tupleIJPjSI_NS0_16reverse_iteratorISI_EEEEENSH_IJSG_SG_SG_EEES9_SI_JZNS1_25segmented_radix_sort_implINS0_14default_configELb0EPKsPsPKlPlN2at6native12_GLOBAL__N_18offset_tEEE10hipError_tPvRmT1_PNSt15iterator_traitsIS12_E10value_typeET2_T3_PNS13_IS18_E10value_typeET4_jRbjT5_S1E_jjP12ihipStream_tbEUljE_ZNSN_ISO_Lb0ESQ_SR_ST_SU_SY_EESZ_S10_S11_S12_S16_S17_S18_S1B_S1C_jS1D_jS1E_S1E_jjS1G_bEUljE0_EEESZ_S10_S11_S18_S1C_S1E_T6_T7_T9_mT8_S1G_bDpT10_ENKUlT_T0_E_clISt17integral_constantIbLb0EES1T_IbLb1EEEEDaS1P_S1Q_EUlS1P_E_NS1_11comp_targetILNS1_3genE5ELNS1_11target_archE942ELNS1_3gpuE9ELNS1_3repE0EEENS1_30default_config_static_selectorELNS0_4arch9wavefront6targetE0EEEvS12_
    .private_segment_fixed_size: 0
    .sgpr_count:     0
    .sgpr_spill_count: 0
    .symbol:         _ZN7rocprim17ROCPRIM_400000_NS6detail17trampoline_kernelINS0_13select_configILj256ELj13ELNS0_17block_load_methodE3ELS4_3ELS4_3ELNS0_20block_scan_algorithmE0ELj4294967295EEENS1_25partition_config_selectorILNS1_17partition_subalgoE4EjNS0_10empty_typeEbEEZZNS1_14partition_implILS8_4ELb0ES6_15HIP_vector_typeIjLj2EENS0_17counting_iteratorIjlEEPS9_SG_NS0_5tupleIJPjSI_NS0_16reverse_iteratorISI_EEEEENSH_IJSG_SG_SG_EEES9_SI_JZNS1_25segmented_radix_sort_implINS0_14default_configELb0EPKsPsPKlPlN2at6native12_GLOBAL__N_18offset_tEEE10hipError_tPvRmT1_PNSt15iterator_traitsIS12_E10value_typeET2_T3_PNS13_IS18_E10value_typeET4_jRbjT5_S1E_jjP12ihipStream_tbEUljE_ZNSN_ISO_Lb0ESQ_SR_ST_SU_SY_EESZ_S10_S11_S12_S16_S17_S18_S1B_S1C_jS1D_jS1E_S1E_jjS1G_bEUljE0_EEESZ_S10_S11_S18_S1C_S1E_T6_T7_T9_mT8_S1G_bDpT10_ENKUlT_T0_E_clISt17integral_constantIbLb0EES1T_IbLb1EEEEDaS1P_S1Q_EUlS1P_E_NS1_11comp_targetILNS1_3genE5ELNS1_11target_archE942ELNS1_3gpuE9ELNS1_3repE0EEENS1_30default_config_static_selectorELNS0_4arch9wavefront6targetE0EEEvS12_.kd
    .uniform_work_group_size: 1
    .uses_dynamic_stack: false
    .vgpr_count:     0
    .vgpr_spill_count: 0
    .wavefront_size: 32
  - .args:
      - .offset:         0
        .size:           184
        .value_kind:     by_value
    .group_segment_fixed_size: 0
    .kernarg_segment_align: 8
    .kernarg_segment_size: 184
    .language:       OpenCL C
    .language_version:
      - 2
      - 0
    .max_flat_workgroup_size: 256
    .name:           _ZN7rocprim17ROCPRIM_400000_NS6detail17trampoline_kernelINS0_13select_configILj256ELj13ELNS0_17block_load_methodE3ELS4_3ELS4_3ELNS0_20block_scan_algorithmE0ELj4294967295EEENS1_25partition_config_selectorILNS1_17partition_subalgoE4EjNS0_10empty_typeEbEEZZNS1_14partition_implILS8_4ELb0ES6_15HIP_vector_typeIjLj2EENS0_17counting_iteratorIjlEEPS9_SG_NS0_5tupleIJPjSI_NS0_16reverse_iteratorISI_EEEEENSH_IJSG_SG_SG_EEES9_SI_JZNS1_25segmented_radix_sort_implINS0_14default_configELb0EPKsPsPKlPlN2at6native12_GLOBAL__N_18offset_tEEE10hipError_tPvRmT1_PNSt15iterator_traitsIS12_E10value_typeET2_T3_PNS13_IS18_E10value_typeET4_jRbjT5_S1E_jjP12ihipStream_tbEUljE_ZNSN_ISO_Lb0ESQ_SR_ST_SU_SY_EESZ_S10_S11_S12_S16_S17_S18_S1B_S1C_jS1D_jS1E_S1E_jjS1G_bEUljE0_EEESZ_S10_S11_S18_S1C_S1E_T6_T7_T9_mT8_S1G_bDpT10_ENKUlT_T0_E_clISt17integral_constantIbLb0EES1T_IbLb1EEEEDaS1P_S1Q_EUlS1P_E_NS1_11comp_targetILNS1_3genE4ELNS1_11target_archE910ELNS1_3gpuE8ELNS1_3repE0EEENS1_30default_config_static_selectorELNS0_4arch9wavefront6targetE0EEEvS12_
    .private_segment_fixed_size: 0
    .sgpr_count:     0
    .sgpr_spill_count: 0
    .symbol:         _ZN7rocprim17ROCPRIM_400000_NS6detail17trampoline_kernelINS0_13select_configILj256ELj13ELNS0_17block_load_methodE3ELS4_3ELS4_3ELNS0_20block_scan_algorithmE0ELj4294967295EEENS1_25partition_config_selectorILNS1_17partition_subalgoE4EjNS0_10empty_typeEbEEZZNS1_14partition_implILS8_4ELb0ES6_15HIP_vector_typeIjLj2EENS0_17counting_iteratorIjlEEPS9_SG_NS0_5tupleIJPjSI_NS0_16reverse_iteratorISI_EEEEENSH_IJSG_SG_SG_EEES9_SI_JZNS1_25segmented_radix_sort_implINS0_14default_configELb0EPKsPsPKlPlN2at6native12_GLOBAL__N_18offset_tEEE10hipError_tPvRmT1_PNSt15iterator_traitsIS12_E10value_typeET2_T3_PNS13_IS18_E10value_typeET4_jRbjT5_S1E_jjP12ihipStream_tbEUljE_ZNSN_ISO_Lb0ESQ_SR_ST_SU_SY_EESZ_S10_S11_S12_S16_S17_S18_S1B_S1C_jS1D_jS1E_S1E_jjS1G_bEUljE0_EEESZ_S10_S11_S18_S1C_S1E_T6_T7_T9_mT8_S1G_bDpT10_ENKUlT_T0_E_clISt17integral_constantIbLb0EES1T_IbLb1EEEEDaS1P_S1Q_EUlS1P_E_NS1_11comp_targetILNS1_3genE4ELNS1_11target_archE910ELNS1_3gpuE8ELNS1_3repE0EEENS1_30default_config_static_selectorELNS0_4arch9wavefront6targetE0EEEvS12_.kd
    .uniform_work_group_size: 1
    .uses_dynamic_stack: false
    .vgpr_count:     0
    .vgpr_spill_count: 0
    .wavefront_size: 32
  - .args:
      - .offset:         0
        .size:           184
        .value_kind:     by_value
    .group_segment_fixed_size: 0
    .kernarg_segment_align: 8
    .kernarg_segment_size: 184
    .language:       OpenCL C
    .language_version:
      - 2
      - 0
    .max_flat_workgroup_size: 256
    .name:           _ZN7rocprim17ROCPRIM_400000_NS6detail17trampoline_kernelINS0_13select_configILj256ELj13ELNS0_17block_load_methodE3ELS4_3ELS4_3ELNS0_20block_scan_algorithmE0ELj4294967295EEENS1_25partition_config_selectorILNS1_17partition_subalgoE4EjNS0_10empty_typeEbEEZZNS1_14partition_implILS8_4ELb0ES6_15HIP_vector_typeIjLj2EENS0_17counting_iteratorIjlEEPS9_SG_NS0_5tupleIJPjSI_NS0_16reverse_iteratorISI_EEEEENSH_IJSG_SG_SG_EEES9_SI_JZNS1_25segmented_radix_sort_implINS0_14default_configELb0EPKsPsPKlPlN2at6native12_GLOBAL__N_18offset_tEEE10hipError_tPvRmT1_PNSt15iterator_traitsIS12_E10value_typeET2_T3_PNS13_IS18_E10value_typeET4_jRbjT5_S1E_jjP12ihipStream_tbEUljE_ZNSN_ISO_Lb0ESQ_SR_ST_SU_SY_EESZ_S10_S11_S12_S16_S17_S18_S1B_S1C_jS1D_jS1E_S1E_jjS1G_bEUljE0_EEESZ_S10_S11_S18_S1C_S1E_T6_T7_T9_mT8_S1G_bDpT10_ENKUlT_T0_E_clISt17integral_constantIbLb0EES1T_IbLb1EEEEDaS1P_S1Q_EUlS1P_E_NS1_11comp_targetILNS1_3genE3ELNS1_11target_archE908ELNS1_3gpuE7ELNS1_3repE0EEENS1_30default_config_static_selectorELNS0_4arch9wavefront6targetE0EEEvS12_
    .private_segment_fixed_size: 0
    .sgpr_count:     0
    .sgpr_spill_count: 0
    .symbol:         _ZN7rocprim17ROCPRIM_400000_NS6detail17trampoline_kernelINS0_13select_configILj256ELj13ELNS0_17block_load_methodE3ELS4_3ELS4_3ELNS0_20block_scan_algorithmE0ELj4294967295EEENS1_25partition_config_selectorILNS1_17partition_subalgoE4EjNS0_10empty_typeEbEEZZNS1_14partition_implILS8_4ELb0ES6_15HIP_vector_typeIjLj2EENS0_17counting_iteratorIjlEEPS9_SG_NS0_5tupleIJPjSI_NS0_16reverse_iteratorISI_EEEEENSH_IJSG_SG_SG_EEES9_SI_JZNS1_25segmented_radix_sort_implINS0_14default_configELb0EPKsPsPKlPlN2at6native12_GLOBAL__N_18offset_tEEE10hipError_tPvRmT1_PNSt15iterator_traitsIS12_E10value_typeET2_T3_PNS13_IS18_E10value_typeET4_jRbjT5_S1E_jjP12ihipStream_tbEUljE_ZNSN_ISO_Lb0ESQ_SR_ST_SU_SY_EESZ_S10_S11_S12_S16_S17_S18_S1B_S1C_jS1D_jS1E_S1E_jjS1G_bEUljE0_EEESZ_S10_S11_S18_S1C_S1E_T6_T7_T9_mT8_S1G_bDpT10_ENKUlT_T0_E_clISt17integral_constantIbLb0EES1T_IbLb1EEEEDaS1P_S1Q_EUlS1P_E_NS1_11comp_targetILNS1_3genE3ELNS1_11target_archE908ELNS1_3gpuE7ELNS1_3repE0EEENS1_30default_config_static_selectorELNS0_4arch9wavefront6targetE0EEEvS12_.kd
    .uniform_work_group_size: 1
    .uses_dynamic_stack: false
    .vgpr_count:     0
    .vgpr_spill_count: 0
    .wavefront_size: 32
  - .args:
      - .offset:         0
        .size:           184
        .value_kind:     by_value
    .group_segment_fixed_size: 0
    .kernarg_segment_align: 8
    .kernarg_segment_size: 184
    .language:       OpenCL C
    .language_version:
      - 2
      - 0
    .max_flat_workgroup_size: 256
    .name:           _ZN7rocprim17ROCPRIM_400000_NS6detail17trampoline_kernelINS0_13select_configILj256ELj13ELNS0_17block_load_methodE3ELS4_3ELS4_3ELNS0_20block_scan_algorithmE0ELj4294967295EEENS1_25partition_config_selectorILNS1_17partition_subalgoE4EjNS0_10empty_typeEbEEZZNS1_14partition_implILS8_4ELb0ES6_15HIP_vector_typeIjLj2EENS0_17counting_iteratorIjlEEPS9_SG_NS0_5tupleIJPjSI_NS0_16reverse_iteratorISI_EEEEENSH_IJSG_SG_SG_EEES9_SI_JZNS1_25segmented_radix_sort_implINS0_14default_configELb0EPKsPsPKlPlN2at6native12_GLOBAL__N_18offset_tEEE10hipError_tPvRmT1_PNSt15iterator_traitsIS12_E10value_typeET2_T3_PNS13_IS18_E10value_typeET4_jRbjT5_S1E_jjP12ihipStream_tbEUljE_ZNSN_ISO_Lb0ESQ_SR_ST_SU_SY_EESZ_S10_S11_S12_S16_S17_S18_S1B_S1C_jS1D_jS1E_S1E_jjS1G_bEUljE0_EEESZ_S10_S11_S18_S1C_S1E_T6_T7_T9_mT8_S1G_bDpT10_ENKUlT_T0_E_clISt17integral_constantIbLb0EES1T_IbLb1EEEEDaS1P_S1Q_EUlS1P_E_NS1_11comp_targetILNS1_3genE2ELNS1_11target_archE906ELNS1_3gpuE6ELNS1_3repE0EEENS1_30default_config_static_selectorELNS0_4arch9wavefront6targetE0EEEvS12_
    .private_segment_fixed_size: 0
    .sgpr_count:     0
    .sgpr_spill_count: 0
    .symbol:         _ZN7rocprim17ROCPRIM_400000_NS6detail17trampoline_kernelINS0_13select_configILj256ELj13ELNS0_17block_load_methodE3ELS4_3ELS4_3ELNS0_20block_scan_algorithmE0ELj4294967295EEENS1_25partition_config_selectorILNS1_17partition_subalgoE4EjNS0_10empty_typeEbEEZZNS1_14partition_implILS8_4ELb0ES6_15HIP_vector_typeIjLj2EENS0_17counting_iteratorIjlEEPS9_SG_NS0_5tupleIJPjSI_NS0_16reverse_iteratorISI_EEEEENSH_IJSG_SG_SG_EEES9_SI_JZNS1_25segmented_radix_sort_implINS0_14default_configELb0EPKsPsPKlPlN2at6native12_GLOBAL__N_18offset_tEEE10hipError_tPvRmT1_PNSt15iterator_traitsIS12_E10value_typeET2_T3_PNS13_IS18_E10value_typeET4_jRbjT5_S1E_jjP12ihipStream_tbEUljE_ZNSN_ISO_Lb0ESQ_SR_ST_SU_SY_EESZ_S10_S11_S12_S16_S17_S18_S1B_S1C_jS1D_jS1E_S1E_jjS1G_bEUljE0_EEESZ_S10_S11_S18_S1C_S1E_T6_T7_T9_mT8_S1G_bDpT10_ENKUlT_T0_E_clISt17integral_constantIbLb0EES1T_IbLb1EEEEDaS1P_S1Q_EUlS1P_E_NS1_11comp_targetILNS1_3genE2ELNS1_11target_archE906ELNS1_3gpuE6ELNS1_3repE0EEENS1_30default_config_static_selectorELNS0_4arch9wavefront6targetE0EEEvS12_.kd
    .uniform_work_group_size: 1
    .uses_dynamic_stack: false
    .vgpr_count:     0
    .vgpr_spill_count: 0
    .wavefront_size: 32
  - .args:
      - .offset:         0
        .size:           184
        .value_kind:     by_value
    .group_segment_fixed_size: 0
    .kernarg_segment_align: 8
    .kernarg_segment_size: 184
    .language:       OpenCL C
    .language_version:
      - 2
      - 0
    .max_flat_workgroup_size: 256
    .name:           _ZN7rocprim17ROCPRIM_400000_NS6detail17trampoline_kernelINS0_13select_configILj256ELj13ELNS0_17block_load_methodE3ELS4_3ELS4_3ELNS0_20block_scan_algorithmE0ELj4294967295EEENS1_25partition_config_selectorILNS1_17partition_subalgoE4EjNS0_10empty_typeEbEEZZNS1_14partition_implILS8_4ELb0ES6_15HIP_vector_typeIjLj2EENS0_17counting_iteratorIjlEEPS9_SG_NS0_5tupleIJPjSI_NS0_16reverse_iteratorISI_EEEEENSH_IJSG_SG_SG_EEES9_SI_JZNS1_25segmented_radix_sort_implINS0_14default_configELb0EPKsPsPKlPlN2at6native12_GLOBAL__N_18offset_tEEE10hipError_tPvRmT1_PNSt15iterator_traitsIS12_E10value_typeET2_T3_PNS13_IS18_E10value_typeET4_jRbjT5_S1E_jjP12ihipStream_tbEUljE_ZNSN_ISO_Lb0ESQ_SR_ST_SU_SY_EESZ_S10_S11_S12_S16_S17_S18_S1B_S1C_jS1D_jS1E_S1E_jjS1G_bEUljE0_EEESZ_S10_S11_S18_S1C_S1E_T6_T7_T9_mT8_S1G_bDpT10_ENKUlT_T0_E_clISt17integral_constantIbLb0EES1T_IbLb1EEEEDaS1P_S1Q_EUlS1P_E_NS1_11comp_targetILNS1_3genE10ELNS1_11target_archE1200ELNS1_3gpuE4ELNS1_3repE0EEENS1_30default_config_static_selectorELNS0_4arch9wavefront6targetE0EEEvS12_
    .private_segment_fixed_size: 0
    .sgpr_count:     0
    .sgpr_spill_count: 0
    .symbol:         _ZN7rocprim17ROCPRIM_400000_NS6detail17trampoline_kernelINS0_13select_configILj256ELj13ELNS0_17block_load_methodE3ELS4_3ELS4_3ELNS0_20block_scan_algorithmE0ELj4294967295EEENS1_25partition_config_selectorILNS1_17partition_subalgoE4EjNS0_10empty_typeEbEEZZNS1_14partition_implILS8_4ELb0ES6_15HIP_vector_typeIjLj2EENS0_17counting_iteratorIjlEEPS9_SG_NS0_5tupleIJPjSI_NS0_16reverse_iteratorISI_EEEEENSH_IJSG_SG_SG_EEES9_SI_JZNS1_25segmented_radix_sort_implINS0_14default_configELb0EPKsPsPKlPlN2at6native12_GLOBAL__N_18offset_tEEE10hipError_tPvRmT1_PNSt15iterator_traitsIS12_E10value_typeET2_T3_PNS13_IS18_E10value_typeET4_jRbjT5_S1E_jjP12ihipStream_tbEUljE_ZNSN_ISO_Lb0ESQ_SR_ST_SU_SY_EESZ_S10_S11_S12_S16_S17_S18_S1B_S1C_jS1D_jS1E_S1E_jjS1G_bEUljE0_EEESZ_S10_S11_S18_S1C_S1E_T6_T7_T9_mT8_S1G_bDpT10_ENKUlT_T0_E_clISt17integral_constantIbLb0EES1T_IbLb1EEEEDaS1P_S1Q_EUlS1P_E_NS1_11comp_targetILNS1_3genE10ELNS1_11target_archE1200ELNS1_3gpuE4ELNS1_3repE0EEENS1_30default_config_static_selectorELNS0_4arch9wavefront6targetE0EEEvS12_.kd
    .uniform_work_group_size: 1
    .uses_dynamic_stack: false
    .vgpr_count:     0
    .vgpr_spill_count: 0
    .wavefront_size: 32
  - .args:
      - .offset:         0
        .size:           184
        .value_kind:     by_value
    .group_segment_fixed_size: 0
    .kernarg_segment_align: 8
    .kernarg_segment_size: 184
    .language:       OpenCL C
    .language_version:
      - 2
      - 0
    .max_flat_workgroup_size: 256
    .name:           _ZN7rocprim17ROCPRIM_400000_NS6detail17trampoline_kernelINS0_13select_configILj256ELj13ELNS0_17block_load_methodE3ELS4_3ELS4_3ELNS0_20block_scan_algorithmE0ELj4294967295EEENS1_25partition_config_selectorILNS1_17partition_subalgoE4EjNS0_10empty_typeEbEEZZNS1_14partition_implILS8_4ELb0ES6_15HIP_vector_typeIjLj2EENS0_17counting_iteratorIjlEEPS9_SG_NS0_5tupleIJPjSI_NS0_16reverse_iteratorISI_EEEEENSH_IJSG_SG_SG_EEES9_SI_JZNS1_25segmented_radix_sort_implINS0_14default_configELb0EPKsPsPKlPlN2at6native12_GLOBAL__N_18offset_tEEE10hipError_tPvRmT1_PNSt15iterator_traitsIS12_E10value_typeET2_T3_PNS13_IS18_E10value_typeET4_jRbjT5_S1E_jjP12ihipStream_tbEUljE_ZNSN_ISO_Lb0ESQ_SR_ST_SU_SY_EESZ_S10_S11_S12_S16_S17_S18_S1B_S1C_jS1D_jS1E_S1E_jjS1G_bEUljE0_EEESZ_S10_S11_S18_S1C_S1E_T6_T7_T9_mT8_S1G_bDpT10_ENKUlT_T0_E_clISt17integral_constantIbLb0EES1T_IbLb1EEEEDaS1P_S1Q_EUlS1P_E_NS1_11comp_targetILNS1_3genE9ELNS1_11target_archE1100ELNS1_3gpuE3ELNS1_3repE0EEENS1_30default_config_static_selectorELNS0_4arch9wavefront6targetE0EEEvS12_
    .private_segment_fixed_size: 0
    .sgpr_count:     0
    .sgpr_spill_count: 0
    .symbol:         _ZN7rocprim17ROCPRIM_400000_NS6detail17trampoline_kernelINS0_13select_configILj256ELj13ELNS0_17block_load_methodE3ELS4_3ELS4_3ELNS0_20block_scan_algorithmE0ELj4294967295EEENS1_25partition_config_selectorILNS1_17partition_subalgoE4EjNS0_10empty_typeEbEEZZNS1_14partition_implILS8_4ELb0ES6_15HIP_vector_typeIjLj2EENS0_17counting_iteratorIjlEEPS9_SG_NS0_5tupleIJPjSI_NS0_16reverse_iteratorISI_EEEEENSH_IJSG_SG_SG_EEES9_SI_JZNS1_25segmented_radix_sort_implINS0_14default_configELb0EPKsPsPKlPlN2at6native12_GLOBAL__N_18offset_tEEE10hipError_tPvRmT1_PNSt15iterator_traitsIS12_E10value_typeET2_T3_PNS13_IS18_E10value_typeET4_jRbjT5_S1E_jjP12ihipStream_tbEUljE_ZNSN_ISO_Lb0ESQ_SR_ST_SU_SY_EESZ_S10_S11_S12_S16_S17_S18_S1B_S1C_jS1D_jS1E_S1E_jjS1G_bEUljE0_EEESZ_S10_S11_S18_S1C_S1E_T6_T7_T9_mT8_S1G_bDpT10_ENKUlT_T0_E_clISt17integral_constantIbLb0EES1T_IbLb1EEEEDaS1P_S1Q_EUlS1P_E_NS1_11comp_targetILNS1_3genE9ELNS1_11target_archE1100ELNS1_3gpuE3ELNS1_3repE0EEENS1_30default_config_static_selectorELNS0_4arch9wavefront6targetE0EEEvS12_.kd
    .uniform_work_group_size: 1
    .uses_dynamic_stack: false
    .vgpr_count:     0
    .vgpr_spill_count: 0
    .wavefront_size: 32
  - .args:
      - .offset:         0
        .size:           184
        .value_kind:     by_value
    .group_segment_fixed_size: 0
    .kernarg_segment_align: 8
    .kernarg_segment_size: 184
    .language:       OpenCL C
    .language_version:
      - 2
      - 0
    .max_flat_workgroup_size: 256
    .name:           _ZN7rocprim17ROCPRIM_400000_NS6detail17trampoline_kernelINS0_13select_configILj256ELj13ELNS0_17block_load_methodE3ELS4_3ELS4_3ELNS0_20block_scan_algorithmE0ELj4294967295EEENS1_25partition_config_selectorILNS1_17partition_subalgoE4EjNS0_10empty_typeEbEEZZNS1_14partition_implILS8_4ELb0ES6_15HIP_vector_typeIjLj2EENS0_17counting_iteratorIjlEEPS9_SG_NS0_5tupleIJPjSI_NS0_16reverse_iteratorISI_EEEEENSH_IJSG_SG_SG_EEES9_SI_JZNS1_25segmented_radix_sort_implINS0_14default_configELb0EPKsPsPKlPlN2at6native12_GLOBAL__N_18offset_tEEE10hipError_tPvRmT1_PNSt15iterator_traitsIS12_E10value_typeET2_T3_PNS13_IS18_E10value_typeET4_jRbjT5_S1E_jjP12ihipStream_tbEUljE_ZNSN_ISO_Lb0ESQ_SR_ST_SU_SY_EESZ_S10_S11_S12_S16_S17_S18_S1B_S1C_jS1D_jS1E_S1E_jjS1G_bEUljE0_EEESZ_S10_S11_S18_S1C_S1E_T6_T7_T9_mT8_S1G_bDpT10_ENKUlT_T0_E_clISt17integral_constantIbLb0EES1T_IbLb1EEEEDaS1P_S1Q_EUlS1P_E_NS1_11comp_targetILNS1_3genE8ELNS1_11target_archE1030ELNS1_3gpuE2ELNS1_3repE0EEENS1_30default_config_static_selectorELNS0_4arch9wavefront6targetE0EEEvS12_
    .private_segment_fixed_size: 0
    .sgpr_count:     0
    .sgpr_spill_count: 0
    .symbol:         _ZN7rocprim17ROCPRIM_400000_NS6detail17trampoline_kernelINS0_13select_configILj256ELj13ELNS0_17block_load_methodE3ELS4_3ELS4_3ELNS0_20block_scan_algorithmE0ELj4294967295EEENS1_25partition_config_selectorILNS1_17partition_subalgoE4EjNS0_10empty_typeEbEEZZNS1_14partition_implILS8_4ELb0ES6_15HIP_vector_typeIjLj2EENS0_17counting_iteratorIjlEEPS9_SG_NS0_5tupleIJPjSI_NS0_16reverse_iteratorISI_EEEEENSH_IJSG_SG_SG_EEES9_SI_JZNS1_25segmented_radix_sort_implINS0_14default_configELb0EPKsPsPKlPlN2at6native12_GLOBAL__N_18offset_tEEE10hipError_tPvRmT1_PNSt15iterator_traitsIS12_E10value_typeET2_T3_PNS13_IS18_E10value_typeET4_jRbjT5_S1E_jjP12ihipStream_tbEUljE_ZNSN_ISO_Lb0ESQ_SR_ST_SU_SY_EESZ_S10_S11_S12_S16_S17_S18_S1B_S1C_jS1D_jS1E_S1E_jjS1G_bEUljE0_EEESZ_S10_S11_S18_S1C_S1E_T6_T7_T9_mT8_S1G_bDpT10_ENKUlT_T0_E_clISt17integral_constantIbLb0EES1T_IbLb1EEEEDaS1P_S1Q_EUlS1P_E_NS1_11comp_targetILNS1_3genE8ELNS1_11target_archE1030ELNS1_3gpuE2ELNS1_3repE0EEENS1_30default_config_static_selectorELNS0_4arch9wavefront6targetE0EEEvS12_.kd
    .uniform_work_group_size: 1
    .uses_dynamic_stack: false
    .vgpr_count:     0
    .vgpr_spill_count: 0
    .wavefront_size: 32
  - .args:
      - .offset:         0
        .size:           144
        .value_kind:     by_value
    .group_segment_fixed_size: 13320
    .kernarg_segment_align: 8
    .kernarg_segment_size: 144
    .language:       OpenCL C
    .language_version:
      - 2
      - 0
    .max_flat_workgroup_size: 256
    .name:           _ZN7rocprim17ROCPRIM_400000_NS6detail17trampoline_kernelINS0_13select_configILj256ELj13ELNS0_17block_load_methodE3ELS4_3ELS4_3ELNS0_20block_scan_algorithmE0ELj4294967295EEENS1_25partition_config_selectorILNS1_17partition_subalgoE3EjNS0_10empty_typeEbEEZZNS1_14partition_implILS8_3ELb0ES6_jNS0_17counting_iteratorIjlEEPS9_SE_NS0_5tupleIJPjSE_EEENSF_IJSE_SE_EEES9_SG_JZNS1_25segmented_radix_sort_implINS0_14default_configELb0EPKsPsPKlPlN2at6native12_GLOBAL__N_18offset_tEEE10hipError_tPvRmT1_PNSt15iterator_traitsISY_E10value_typeET2_T3_PNSZ_IS14_E10value_typeET4_jRbjT5_S1A_jjP12ihipStream_tbEUljE_EEESV_SW_SX_S14_S18_S1A_T6_T7_T9_mT8_S1C_bDpT10_ENKUlT_T0_E_clISt17integral_constantIbLb0EES1P_EEDaS1K_S1L_EUlS1K_E_NS1_11comp_targetILNS1_3genE0ELNS1_11target_archE4294967295ELNS1_3gpuE0ELNS1_3repE0EEENS1_30default_config_static_selectorELNS0_4arch9wavefront6targetE0EEEvSY_
    .private_segment_fixed_size: 0
    .sgpr_count:     28
    .sgpr_spill_count: 0
    .symbol:         _ZN7rocprim17ROCPRIM_400000_NS6detail17trampoline_kernelINS0_13select_configILj256ELj13ELNS0_17block_load_methodE3ELS4_3ELS4_3ELNS0_20block_scan_algorithmE0ELj4294967295EEENS1_25partition_config_selectorILNS1_17partition_subalgoE3EjNS0_10empty_typeEbEEZZNS1_14partition_implILS8_3ELb0ES6_jNS0_17counting_iteratorIjlEEPS9_SE_NS0_5tupleIJPjSE_EEENSF_IJSE_SE_EEES9_SG_JZNS1_25segmented_radix_sort_implINS0_14default_configELb0EPKsPsPKlPlN2at6native12_GLOBAL__N_18offset_tEEE10hipError_tPvRmT1_PNSt15iterator_traitsISY_E10value_typeET2_T3_PNSZ_IS14_E10value_typeET4_jRbjT5_S1A_jjP12ihipStream_tbEUljE_EEESV_SW_SX_S14_S18_S1A_T6_T7_T9_mT8_S1C_bDpT10_ENKUlT_T0_E_clISt17integral_constantIbLb0EES1P_EEDaS1K_S1L_EUlS1K_E_NS1_11comp_targetILNS1_3genE0ELNS1_11target_archE4294967295ELNS1_3gpuE0ELNS1_3repE0EEENS1_30default_config_static_selectorELNS0_4arch9wavefront6targetE0EEEvSY_.kd
    .uniform_work_group_size: 1
    .uses_dynamic_stack: false
    .vgpr_count:     69
    .vgpr_spill_count: 0
    .wavefront_size: 32
  - .args:
      - .offset:         0
        .size:           144
        .value_kind:     by_value
    .group_segment_fixed_size: 0
    .kernarg_segment_align: 8
    .kernarg_segment_size: 144
    .language:       OpenCL C
    .language_version:
      - 2
      - 0
    .max_flat_workgroup_size: 256
    .name:           _ZN7rocprim17ROCPRIM_400000_NS6detail17trampoline_kernelINS0_13select_configILj256ELj13ELNS0_17block_load_methodE3ELS4_3ELS4_3ELNS0_20block_scan_algorithmE0ELj4294967295EEENS1_25partition_config_selectorILNS1_17partition_subalgoE3EjNS0_10empty_typeEbEEZZNS1_14partition_implILS8_3ELb0ES6_jNS0_17counting_iteratorIjlEEPS9_SE_NS0_5tupleIJPjSE_EEENSF_IJSE_SE_EEES9_SG_JZNS1_25segmented_radix_sort_implINS0_14default_configELb0EPKsPsPKlPlN2at6native12_GLOBAL__N_18offset_tEEE10hipError_tPvRmT1_PNSt15iterator_traitsISY_E10value_typeET2_T3_PNSZ_IS14_E10value_typeET4_jRbjT5_S1A_jjP12ihipStream_tbEUljE_EEESV_SW_SX_S14_S18_S1A_T6_T7_T9_mT8_S1C_bDpT10_ENKUlT_T0_E_clISt17integral_constantIbLb0EES1P_EEDaS1K_S1L_EUlS1K_E_NS1_11comp_targetILNS1_3genE5ELNS1_11target_archE942ELNS1_3gpuE9ELNS1_3repE0EEENS1_30default_config_static_selectorELNS0_4arch9wavefront6targetE0EEEvSY_
    .private_segment_fixed_size: 0
    .sgpr_count:     0
    .sgpr_spill_count: 0
    .symbol:         _ZN7rocprim17ROCPRIM_400000_NS6detail17trampoline_kernelINS0_13select_configILj256ELj13ELNS0_17block_load_methodE3ELS4_3ELS4_3ELNS0_20block_scan_algorithmE0ELj4294967295EEENS1_25partition_config_selectorILNS1_17partition_subalgoE3EjNS0_10empty_typeEbEEZZNS1_14partition_implILS8_3ELb0ES6_jNS0_17counting_iteratorIjlEEPS9_SE_NS0_5tupleIJPjSE_EEENSF_IJSE_SE_EEES9_SG_JZNS1_25segmented_radix_sort_implINS0_14default_configELb0EPKsPsPKlPlN2at6native12_GLOBAL__N_18offset_tEEE10hipError_tPvRmT1_PNSt15iterator_traitsISY_E10value_typeET2_T3_PNSZ_IS14_E10value_typeET4_jRbjT5_S1A_jjP12ihipStream_tbEUljE_EEESV_SW_SX_S14_S18_S1A_T6_T7_T9_mT8_S1C_bDpT10_ENKUlT_T0_E_clISt17integral_constantIbLb0EES1P_EEDaS1K_S1L_EUlS1K_E_NS1_11comp_targetILNS1_3genE5ELNS1_11target_archE942ELNS1_3gpuE9ELNS1_3repE0EEENS1_30default_config_static_selectorELNS0_4arch9wavefront6targetE0EEEvSY_.kd
    .uniform_work_group_size: 1
    .uses_dynamic_stack: false
    .vgpr_count:     0
    .vgpr_spill_count: 0
    .wavefront_size: 32
  - .args:
      - .offset:         0
        .size:           144
        .value_kind:     by_value
    .group_segment_fixed_size: 0
    .kernarg_segment_align: 8
    .kernarg_segment_size: 144
    .language:       OpenCL C
    .language_version:
      - 2
      - 0
    .max_flat_workgroup_size: 256
    .name:           _ZN7rocprim17ROCPRIM_400000_NS6detail17trampoline_kernelINS0_13select_configILj256ELj13ELNS0_17block_load_methodE3ELS4_3ELS4_3ELNS0_20block_scan_algorithmE0ELj4294967295EEENS1_25partition_config_selectorILNS1_17partition_subalgoE3EjNS0_10empty_typeEbEEZZNS1_14partition_implILS8_3ELb0ES6_jNS0_17counting_iteratorIjlEEPS9_SE_NS0_5tupleIJPjSE_EEENSF_IJSE_SE_EEES9_SG_JZNS1_25segmented_radix_sort_implINS0_14default_configELb0EPKsPsPKlPlN2at6native12_GLOBAL__N_18offset_tEEE10hipError_tPvRmT1_PNSt15iterator_traitsISY_E10value_typeET2_T3_PNSZ_IS14_E10value_typeET4_jRbjT5_S1A_jjP12ihipStream_tbEUljE_EEESV_SW_SX_S14_S18_S1A_T6_T7_T9_mT8_S1C_bDpT10_ENKUlT_T0_E_clISt17integral_constantIbLb0EES1P_EEDaS1K_S1L_EUlS1K_E_NS1_11comp_targetILNS1_3genE4ELNS1_11target_archE910ELNS1_3gpuE8ELNS1_3repE0EEENS1_30default_config_static_selectorELNS0_4arch9wavefront6targetE0EEEvSY_
    .private_segment_fixed_size: 0
    .sgpr_count:     0
    .sgpr_spill_count: 0
    .symbol:         _ZN7rocprim17ROCPRIM_400000_NS6detail17trampoline_kernelINS0_13select_configILj256ELj13ELNS0_17block_load_methodE3ELS4_3ELS4_3ELNS0_20block_scan_algorithmE0ELj4294967295EEENS1_25partition_config_selectorILNS1_17partition_subalgoE3EjNS0_10empty_typeEbEEZZNS1_14partition_implILS8_3ELb0ES6_jNS0_17counting_iteratorIjlEEPS9_SE_NS0_5tupleIJPjSE_EEENSF_IJSE_SE_EEES9_SG_JZNS1_25segmented_radix_sort_implINS0_14default_configELb0EPKsPsPKlPlN2at6native12_GLOBAL__N_18offset_tEEE10hipError_tPvRmT1_PNSt15iterator_traitsISY_E10value_typeET2_T3_PNSZ_IS14_E10value_typeET4_jRbjT5_S1A_jjP12ihipStream_tbEUljE_EEESV_SW_SX_S14_S18_S1A_T6_T7_T9_mT8_S1C_bDpT10_ENKUlT_T0_E_clISt17integral_constantIbLb0EES1P_EEDaS1K_S1L_EUlS1K_E_NS1_11comp_targetILNS1_3genE4ELNS1_11target_archE910ELNS1_3gpuE8ELNS1_3repE0EEENS1_30default_config_static_selectorELNS0_4arch9wavefront6targetE0EEEvSY_.kd
    .uniform_work_group_size: 1
    .uses_dynamic_stack: false
    .vgpr_count:     0
    .vgpr_spill_count: 0
    .wavefront_size: 32
  - .args:
      - .offset:         0
        .size:           144
        .value_kind:     by_value
    .group_segment_fixed_size: 0
    .kernarg_segment_align: 8
    .kernarg_segment_size: 144
    .language:       OpenCL C
    .language_version:
      - 2
      - 0
    .max_flat_workgroup_size: 256
    .name:           _ZN7rocprim17ROCPRIM_400000_NS6detail17trampoline_kernelINS0_13select_configILj256ELj13ELNS0_17block_load_methodE3ELS4_3ELS4_3ELNS0_20block_scan_algorithmE0ELj4294967295EEENS1_25partition_config_selectorILNS1_17partition_subalgoE3EjNS0_10empty_typeEbEEZZNS1_14partition_implILS8_3ELb0ES6_jNS0_17counting_iteratorIjlEEPS9_SE_NS0_5tupleIJPjSE_EEENSF_IJSE_SE_EEES9_SG_JZNS1_25segmented_radix_sort_implINS0_14default_configELb0EPKsPsPKlPlN2at6native12_GLOBAL__N_18offset_tEEE10hipError_tPvRmT1_PNSt15iterator_traitsISY_E10value_typeET2_T3_PNSZ_IS14_E10value_typeET4_jRbjT5_S1A_jjP12ihipStream_tbEUljE_EEESV_SW_SX_S14_S18_S1A_T6_T7_T9_mT8_S1C_bDpT10_ENKUlT_T0_E_clISt17integral_constantIbLb0EES1P_EEDaS1K_S1L_EUlS1K_E_NS1_11comp_targetILNS1_3genE3ELNS1_11target_archE908ELNS1_3gpuE7ELNS1_3repE0EEENS1_30default_config_static_selectorELNS0_4arch9wavefront6targetE0EEEvSY_
    .private_segment_fixed_size: 0
    .sgpr_count:     0
    .sgpr_spill_count: 0
    .symbol:         _ZN7rocprim17ROCPRIM_400000_NS6detail17trampoline_kernelINS0_13select_configILj256ELj13ELNS0_17block_load_methodE3ELS4_3ELS4_3ELNS0_20block_scan_algorithmE0ELj4294967295EEENS1_25partition_config_selectorILNS1_17partition_subalgoE3EjNS0_10empty_typeEbEEZZNS1_14partition_implILS8_3ELb0ES6_jNS0_17counting_iteratorIjlEEPS9_SE_NS0_5tupleIJPjSE_EEENSF_IJSE_SE_EEES9_SG_JZNS1_25segmented_radix_sort_implINS0_14default_configELb0EPKsPsPKlPlN2at6native12_GLOBAL__N_18offset_tEEE10hipError_tPvRmT1_PNSt15iterator_traitsISY_E10value_typeET2_T3_PNSZ_IS14_E10value_typeET4_jRbjT5_S1A_jjP12ihipStream_tbEUljE_EEESV_SW_SX_S14_S18_S1A_T6_T7_T9_mT8_S1C_bDpT10_ENKUlT_T0_E_clISt17integral_constantIbLb0EES1P_EEDaS1K_S1L_EUlS1K_E_NS1_11comp_targetILNS1_3genE3ELNS1_11target_archE908ELNS1_3gpuE7ELNS1_3repE0EEENS1_30default_config_static_selectorELNS0_4arch9wavefront6targetE0EEEvSY_.kd
    .uniform_work_group_size: 1
    .uses_dynamic_stack: false
    .vgpr_count:     0
    .vgpr_spill_count: 0
    .wavefront_size: 32
  - .args:
      - .offset:         0
        .size:           144
        .value_kind:     by_value
    .group_segment_fixed_size: 0
    .kernarg_segment_align: 8
    .kernarg_segment_size: 144
    .language:       OpenCL C
    .language_version:
      - 2
      - 0
    .max_flat_workgroup_size: 256
    .name:           _ZN7rocprim17ROCPRIM_400000_NS6detail17trampoline_kernelINS0_13select_configILj256ELj13ELNS0_17block_load_methodE3ELS4_3ELS4_3ELNS0_20block_scan_algorithmE0ELj4294967295EEENS1_25partition_config_selectorILNS1_17partition_subalgoE3EjNS0_10empty_typeEbEEZZNS1_14partition_implILS8_3ELb0ES6_jNS0_17counting_iteratorIjlEEPS9_SE_NS0_5tupleIJPjSE_EEENSF_IJSE_SE_EEES9_SG_JZNS1_25segmented_radix_sort_implINS0_14default_configELb0EPKsPsPKlPlN2at6native12_GLOBAL__N_18offset_tEEE10hipError_tPvRmT1_PNSt15iterator_traitsISY_E10value_typeET2_T3_PNSZ_IS14_E10value_typeET4_jRbjT5_S1A_jjP12ihipStream_tbEUljE_EEESV_SW_SX_S14_S18_S1A_T6_T7_T9_mT8_S1C_bDpT10_ENKUlT_T0_E_clISt17integral_constantIbLb0EES1P_EEDaS1K_S1L_EUlS1K_E_NS1_11comp_targetILNS1_3genE2ELNS1_11target_archE906ELNS1_3gpuE6ELNS1_3repE0EEENS1_30default_config_static_selectorELNS0_4arch9wavefront6targetE0EEEvSY_
    .private_segment_fixed_size: 0
    .sgpr_count:     0
    .sgpr_spill_count: 0
    .symbol:         _ZN7rocprim17ROCPRIM_400000_NS6detail17trampoline_kernelINS0_13select_configILj256ELj13ELNS0_17block_load_methodE3ELS4_3ELS4_3ELNS0_20block_scan_algorithmE0ELj4294967295EEENS1_25partition_config_selectorILNS1_17partition_subalgoE3EjNS0_10empty_typeEbEEZZNS1_14partition_implILS8_3ELb0ES6_jNS0_17counting_iteratorIjlEEPS9_SE_NS0_5tupleIJPjSE_EEENSF_IJSE_SE_EEES9_SG_JZNS1_25segmented_radix_sort_implINS0_14default_configELb0EPKsPsPKlPlN2at6native12_GLOBAL__N_18offset_tEEE10hipError_tPvRmT1_PNSt15iterator_traitsISY_E10value_typeET2_T3_PNSZ_IS14_E10value_typeET4_jRbjT5_S1A_jjP12ihipStream_tbEUljE_EEESV_SW_SX_S14_S18_S1A_T6_T7_T9_mT8_S1C_bDpT10_ENKUlT_T0_E_clISt17integral_constantIbLb0EES1P_EEDaS1K_S1L_EUlS1K_E_NS1_11comp_targetILNS1_3genE2ELNS1_11target_archE906ELNS1_3gpuE6ELNS1_3repE0EEENS1_30default_config_static_selectorELNS0_4arch9wavefront6targetE0EEEvSY_.kd
    .uniform_work_group_size: 1
    .uses_dynamic_stack: false
    .vgpr_count:     0
    .vgpr_spill_count: 0
    .wavefront_size: 32
  - .args:
      - .offset:         0
        .size:           144
        .value_kind:     by_value
    .group_segment_fixed_size: 0
    .kernarg_segment_align: 8
    .kernarg_segment_size: 144
    .language:       OpenCL C
    .language_version:
      - 2
      - 0
    .max_flat_workgroup_size: 256
    .name:           _ZN7rocprim17ROCPRIM_400000_NS6detail17trampoline_kernelINS0_13select_configILj256ELj13ELNS0_17block_load_methodE3ELS4_3ELS4_3ELNS0_20block_scan_algorithmE0ELj4294967295EEENS1_25partition_config_selectorILNS1_17partition_subalgoE3EjNS0_10empty_typeEbEEZZNS1_14partition_implILS8_3ELb0ES6_jNS0_17counting_iteratorIjlEEPS9_SE_NS0_5tupleIJPjSE_EEENSF_IJSE_SE_EEES9_SG_JZNS1_25segmented_radix_sort_implINS0_14default_configELb0EPKsPsPKlPlN2at6native12_GLOBAL__N_18offset_tEEE10hipError_tPvRmT1_PNSt15iterator_traitsISY_E10value_typeET2_T3_PNSZ_IS14_E10value_typeET4_jRbjT5_S1A_jjP12ihipStream_tbEUljE_EEESV_SW_SX_S14_S18_S1A_T6_T7_T9_mT8_S1C_bDpT10_ENKUlT_T0_E_clISt17integral_constantIbLb0EES1P_EEDaS1K_S1L_EUlS1K_E_NS1_11comp_targetILNS1_3genE10ELNS1_11target_archE1200ELNS1_3gpuE4ELNS1_3repE0EEENS1_30default_config_static_selectorELNS0_4arch9wavefront6targetE0EEEvSY_
    .private_segment_fixed_size: 0
    .sgpr_count:     0
    .sgpr_spill_count: 0
    .symbol:         _ZN7rocprim17ROCPRIM_400000_NS6detail17trampoline_kernelINS0_13select_configILj256ELj13ELNS0_17block_load_methodE3ELS4_3ELS4_3ELNS0_20block_scan_algorithmE0ELj4294967295EEENS1_25partition_config_selectorILNS1_17partition_subalgoE3EjNS0_10empty_typeEbEEZZNS1_14partition_implILS8_3ELb0ES6_jNS0_17counting_iteratorIjlEEPS9_SE_NS0_5tupleIJPjSE_EEENSF_IJSE_SE_EEES9_SG_JZNS1_25segmented_radix_sort_implINS0_14default_configELb0EPKsPsPKlPlN2at6native12_GLOBAL__N_18offset_tEEE10hipError_tPvRmT1_PNSt15iterator_traitsISY_E10value_typeET2_T3_PNSZ_IS14_E10value_typeET4_jRbjT5_S1A_jjP12ihipStream_tbEUljE_EEESV_SW_SX_S14_S18_S1A_T6_T7_T9_mT8_S1C_bDpT10_ENKUlT_T0_E_clISt17integral_constantIbLb0EES1P_EEDaS1K_S1L_EUlS1K_E_NS1_11comp_targetILNS1_3genE10ELNS1_11target_archE1200ELNS1_3gpuE4ELNS1_3repE0EEENS1_30default_config_static_selectorELNS0_4arch9wavefront6targetE0EEEvSY_.kd
    .uniform_work_group_size: 1
    .uses_dynamic_stack: false
    .vgpr_count:     0
    .vgpr_spill_count: 0
    .wavefront_size: 32
  - .args:
      - .offset:         0
        .size:           144
        .value_kind:     by_value
    .group_segment_fixed_size: 0
    .kernarg_segment_align: 8
    .kernarg_segment_size: 144
    .language:       OpenCL C
    .language_version:
      - 2
      - 0
    .max_flat_workgroup_size: 256
    .name:           _ZN7rocprim17ROCPRIM_400000_NS6detail17trampoline_kernelINS0_13select_configILj256ELj13ELNS0_17block_load_methodE3ELS4_3ELS4_3ELNS0_20block_scan_algorithmE0ELj4294967295EEENS1_25partition_config_selectorILNS1_17partition_subalgoE3EjNS0_10empty_typeEbEEZZNS1_14partition_implILS8_3ELb0ES6_jNS0_17counting_iteratorIjlEEPS9_SE_NS0_5tupleIJPjSE_EEENSF_IJSE_SE_EEES9_SG_JZNS1_25segmented_radix_sort_implINS0_14default_configELb0EPKsPsPKlPlN2at6native12_GLOBAL__N_18offset_tEEE10hipError_tPvRmT1_PNSt15iterator_traitsISY_E10value_typeET2_T3_PNSZ_IS14_E10value_typeET4_jRbjT5_S1A_jjP12ihipStream_tbEUljE_EEESV_SW_SX_S14_S18_S1A_T6_T7_T9_mT8_S1C_bDpT10_ENKUlT_T0_E_clISt17integral_constantIbLb0EES1P_EEDaS1K_S1L_EUlS1K_E_NS1_11comp_targetILNS1_3genE9ELNS1_11target_archE1100ELNS1_3gpuE3ELNS1_3repE0EEENS1_30default_config_static_selectorELNS0_4arch9wavefront6targetE0EEEvSY_
    .private_segment_fixed_size: 0
    .sgpr_count:     0
    .sgpr_spill_count: 0
    .symbol:         _ZN7rocprim17ROCPRIM_400000_NS6detail17trampoline_kernelINS0_13select_configILj256ELj13ELNS0_17block_load_methodE3ELS4_3ELS4_3ELNS0_20block_scan_algorithmE0ELj4294967295EEENS1_25partition_config_selectorILNS1_17partition_subalgoE3EjNS0_10empty_typeEbEEZZNS1_14partition_implILS8_3ELb0ES6_jNS0_17counting_iteratorIjlEEPS9_SE_NS0_5tupleIJPjSE_EEENSF_IJSE_SE_EEES9_SG_JZNS1_25segmented_radix_sort_implINS0_14default_configELb0EPKsPsPKlPlN2at6native12_GLOBAL__N_18offset_tEEE10hipError_tPvRmT1_PNSt15iterator_traitsISY_E10value_typeET2_T3_PNSZ_IS14_E10value_typeET4_jRbjT5_S1A_jjP12ihipStream_tbEUljE_EEESV_SW_SX_S14_S18_S1A_T6_T7_T9_mT8_S1C_bDpT10_ENKUlT_T0_E_clISt17integral_constantIbLb0EES1P_EEDaS1K_S1L_EUlS1K_E_NS1_11comp_targetILNS1_3genE9ELNS1_11target_archE1100ELNS1_3gpuE3ELNS1_3repE0EEENS1_30default_config_static_selectorELNS0_4arch9wavefront6targetE0EEEvSY_.kd
    .uniform_work_group_size: 1
    .uses_dynamic_stack: false
    .vgpr_count:     0
    .vgpr_spill_count: 0
    .wavefront_size: 32
  - .args:
      - .offset:         0
        .size:           144
        .value_kind:     by_value
    .group_segment_fixed_size: 0
    .kernarg_segment_align: 8
    .kernarg_segment_size: 144
    .language:       OpenCL C
    .language_version:
      - 2
      - 0
    .max_flat_workgroup_size: 256
    .name:           _ZN7rocprim17ROCPRIM_400000_NS6detail17trampoline_kernelINS0_13select_configILj256ELj13ELNS0_17block_load_methodE3ELS4_3ELS4_3ELNS0_20block_scan_algorithmE0ELj4294967295EEENS1_25partition_config_selectorILNS1_17partition_subalgoE3EjNS0_10empty_typeEbEEZZNS1_14partition_implILS8_3ELb0ES6_jNS0_17counting_iteratorIjlEEPS9_SE_NS0_5tupleIJPjSE_EEENSF_IJSE_SE_EEES9_SG_JZNS1_25segmented_radix_sort_implINS0_14default_configELb0EPKsPsPKlPlN2at6native12_GLOBAL__N_18offset_tEEE10hipError_tPvRmT1_PNSt15iterator_traitsISY_E10value_typeET2_T3_PNSZ_IS14_E10value_typeET4_jRbjT5_S1A_jjP12ihipStream_tbEUljE_EEESV_SW_SX_S14_S18_S1A_T6_T7_T9_mT8_S1C_bDpT10_ENKUlT_T0_E_clISt17integral_constantIbLb0EES1P_EEDaS1K_S1L_EUlS1K_E_NS1_11comp_targetILNS1_3genE8ELNS1_11target_archE1030ELNS1_3gpuE2ELNS1_3repE0EEENS1_30default_config_static_selectorELNS0_4arch9wavefront6targetE0EEEvSY_
    .private_segment_fixed_size: 0
    .sgpr_count:     0
    .sgpr_spill_count: 0
    .symbol:         _ZN7rocprim17ROCPRIM_400000_NS6detail17trampoline_kernelINS0_13select_configILj256ELj13ELNS0_17block_load_methodE3ELS4_3ELS4_3ELNS0_20block_scan_algorithmE0ELj4294967295EEENS1_25partition_config_selectorILNS1_17partition_subalgoE3EjNS0_10empty_typeEbEEZZNS1_14partition_implILS8_3ELb0ES6_jNS0_17counting_iteratorIjlEEPS9_SE_NS0_5tupleIJPjSE_EEENSF_IJSE_SE_EEES9_SG_JZNS1_25segmented_radix_sort_implINS0_14default_configELb0EPKsPsPKlPlN2at6native12_GLOBAL__N_18offset_tEEE10hipError_tPvRmT1_PNSt15iterator_traitsISY_E10value_typeET2_T3_PNSZ_IS14_E10value_typeET4_jRbjT5_S1A_jjP12ihipStream_tbEUljE_EEESV_SW_SX_S14_S18_S1A_T6_T7_T9_mT8_S1C_bDpT10_ENKUlT_T0_E_clISt17integral_constantIbLb0EES1P_EEDaS1K_S1L_EUlS1K_E_NS1_11comp_targetILNS1_3genE8ELNS1_11target_archE1030ELNS1_3gpuE2ELNS1_3repE0EEENS1_30default_config_static_selectorELNS0_4arch9wavefront6targetE0EEEvSY_.kd
    .uniform_work_group_size: 1
    .uses_dynamic_stack: false
    .vgpr_count:     0
    .vgpr_spill_count: 0
    .wavefront_size: 32
  - .args:
      - .offset:         0
        .size:           152
        .value_kind:     by_value
    .group_segment_fixed_size: 0
    .kernarg_segment_align: 8
    .kernarg_segment_size: 152
    .language:       OpenCL C
    .language_version:
      - 2
      - 0
    .max_flat_workgroup_size: 256
    .name:           _ZN7rocprim17ROCPRIM_400000_NS6detail17trampoline_kernelINS0_13select_configILj256ELj13ELNS0_17block_load_methodE3ELS4_3ELS4_3ELNS0_20block_scan_algorithmE0ELj4294967295EEENS1_25partition_config_selectorILNS1_17partition_subalgoE3EjNS0_10empty_typeEbEEZZNS1_14partition_implILS8_3ELb0ES6_jNS0_17counting_iteratorIjlEEPS9_SE_NS0_5tupleIJPjSE_EEENSF_IJSE_SE_EEES9_SG_JZNS1_25segmented_radix_sort_implINS0_14default_configELb0EPKsPsPKlPlN2at6native12_GLOBAL__N_18offset_tEEE10hipError_tPvRmT1_PNSt15iterator_traitsISY_E10value_typeET2_T3_PNSZ_IS14_E10value_typeET4_jRbjT5_S1A_jjP12ihipStream_tbEUljE_EEESV_SW_SX_S14_S18_S1A_T6_T7_T9_mT8_S1C_bDpT10_ENKUlT_T0_E_clISt17integral_constantIbLb1EES1P_EEDaS1K_S1L_EUlS1K_E_NS1_11comp_targetILNS1_3genE0ELNS1_11target_archE4294967295ELNS1_3gpuE0ELNS1_3repE0EEENS1_30default_config_static_selectorELNS0_4arch9wavefront6targetE0EEEvSY_
    .private_segment_fixed_size: 0
    .sgpr_count:     0
    .sgpr_spill_count: 0
    .symbol:         _ZN7rocprim17ROCPRIM_400000_NS6detail17trampoline_kernelINS0_13select_configILj256ELj13ELNS0_17block_load_methodE3ELS4_3ELS4_3ELNS0_20block_scan_algorithmE0ELj4294967295EEENS1_25partition_config_selectorILNS1_17partition_subalgoE3EjNS0_10empty_typeEbEEZZNS1_14partition_implILS8_3ELb0ES6_jNS0_17counting_iteratorIjlEEPS9_SE_NS0_5tupleIJPjSE_EEENSF_IJSE_SE_EEES9_SG_JZNS1_25segmented_radix_sort_implINS0_14default_configELb0EPKsPsPKlPlN2at6native12_GLOBAL__N_18offset_tEEE10hipError_tPvRmT1_PNSt15iterator_traitsISY_E10value_typeET2_T3_PNSZ_IS14_E10value_typeET4_jRbjT5_S1A_jjP12ihipStream_tbEUljE_EEESV_SW_SX_S14_S18_S1A_T6_T7_T9_mT8_S1C_bDpT10_ENKUlT_T0_E_clISt17integral_constantIbLb1EES1P_EEDaS1K_S1L_EUlS1K_E_NS1_11comp_targetILNS1_3genE0ELNS1_11target_archE4294967295ELNS1_3gpuE0ELNS1_3repE0EEENS1_30default_config_static_selectorELNS0_4arch9wavefront6targetE0EEEvSY_.kd
    .uniform_work_group_size: 1
    .uses_dynamic_stack: false
    .vgpr_count:     0
    .vgpr_spill_count: 0
    .wavefront_size: 32
  - .args:
      - .offset:         0
        .size:           152
        .value_kind:     by_value
    .group_segment_fixed_size: 0
    .kernarg_segment_align: 8
    .kernarg_segment_size: 152
    .language:       OpenCL C
    .language_version:
      - 2
      - 0
    .max_flat_workgroup_size: 256
    .name:           _ZN7rocprim17ROCPRIM_400000_NS6detail17trampoline_kernelINS0_13select_configILj256ELj13ELNS0_17block_load_methodE3ELS4_3ELS4_3ELNS0_20block_scan_algorithmE0ELj4294967295EEENS1_25partition_config_selectorILNS1_17partition_subalgoE3EjNS0_10empty_typeEbEEZZNS1_14partition_implILS8_3ELb0ES6_jNS0_17counting_iteratorIjlEEPS9_SE_NS0_5tupleIJPjSE_EEENSF_IJSE_SE_EEES9_SG_JZNS1_25segmented_radix_sort_implINS0_14default_configELb0EPKsPsPKlPlN2at6native12_GLOBAL__N_18offset_tEEE10hipError_tPvRmT1_PNSt15iterator_traitsISY_E10value_typeET2_T3_PNSZ_IS14_E10value_typeET4_jRbjT5_S1A_jjP12ihipStream_tbEUljE_EEESV_SW_SX_S14_S18_S1A_T6_T7_T9_mT8_S1C_bDpT10_ENKUlT_T0_E_clISt17integral_constantIbLb1EES1P_EEDaS1K_S1L_EUlS1K_E_NS1_11comp_targetILNS1_3genE5ELNS1_11target_archE942ELNS1_3gpuE9ELNS1_3repE0EEENS1_30default_config_static_selectorELNS0_4arch9wavefront6targetE0EEEvSY_
    .private_segment_fixed_size: 0
    .sgpr_count:     0
    .sgpr_spill_count: 0
    .symbol:         _ZN7rocprim17ROCPRIM_400000_NS6detail17trampoline_kernelINS0_13select_configILj256ELj13ELNS0_17block_load_methodE3ELS4_3ELS4_3ELNS0_20block_scan_algorithmE0ELj4294967295EEENS1_25partition_config_selectorILNS1_17partition_subalgoE3EjNS0_10empty_typeEbEEZZNS1_14partition_implILS8_3ELb0ES6_jNS0_17counting_iteratorIjlEEPS9_SE_NS0_5tupleIJPjSE_EEENSF_IJSE_SE_EEES9_SG_JZNS1_25segmented_radix_sort_implINS0_14default_configELb0EPKsPsPKlPlN2at6native12_GLOBAL__N_18offset_tEEE10hipError_tPvRmT1_PNSt15iterator_traitsISY_E10value_typeET2_T3_PNSZ_IS14_E10value_typeET4_jRbjT5_S1A_jjP12ihipStream_tbEUljE_EEESV_SW_SX_S14_S18_S1A_T6_T7_T9_mT8_S1C_bDpT10_ENKUlT_T0_E_clISt17integral_constantIbLb1EES1P_EEDaS1K_S1L_EUlS1K_E_NS1_11comp_targetILNS1_3genE5ELNS1_11target_archE942ELNS1_3gpuE9ELNS1_3repE0EEENS1_30default_config_static_selectorELNS0_4arch9wavefront6targetE0EEEvSY_.kd
    .uniform_work_group_size: 1
    .uses_dynamic_stack: false
    .vgpr_count:     0
    .vgpr_spill_count: 0
    .wavefront_size: 32
  - .args:
      - .offset:         0
        .size:           152
        .value_kind:     by_value
    .group_segment_fixed_size: 0
    .kernarg_segment_align: 8
    .kernarg_segment_size: 152
    .language:       OpenCL C
    .language_version:
      - 2
      - 0
    .max_flat_workgroup_size: 256
    .name:           _ZN7rocprim17ROCPRIM_400000_NS6detail17trampoline_kernelINS0_13select_configILj256ELj13ELNS0_17block_load_methodE3ELS4_3ELS4_3ELNS0_20block_scan_algorithmE0ELj4294967295EEENS1_25partition_config_selectorILNS1_17partition_subalgoE3EjNS0_10empty_typeEbEEZZNS1_14partition_implILS8_3ELb0ES6_jNS0_17counting_iteratorIjlEEPS9_SE_NS0_5tupleIJPjSE_EEENSF_IJSE_SE_EEES9_SG_JZNS1_25segmented_radix_sort_implINS0_14default_configELb0EPKsPsPKlPlN2at6native12_GLOBAL__N_18offset_tEEE10hipError_tPvRmT1_PNSt15iterator_traitsISY_E10value_typeET2_T3_PNSZ_IS14_E10value_typeET4_jRbjT5_S1A_jjP12ihipStream_tbEUljE_EEESV_SW_SX_S14_S18_S1A_T6_T7_T9_mT8_S1C_bDpT10_ENKUlT_T0_E_clISt17integral_constantIbLb1EES1P_EEDaS1K_S1L_EUlS1K_E_NS1_11comp_targetILNS1_3genE4ELNS1_11target_archE910ELNS1_3gpuE8ELNS1_3repE0EEENS1_30default_config_static_selectorELNS0_4arch9wavefront6targetE0EEEvSY_
    .private_segment_fixed_size: 0
    .sgpr_count:     0
    .sgpr_spill_count: 0
    .symbol:         _ZN7rocprim17ROCPRIM_400000_NS6detail17trampoline_kernelINS0_13select_configILj256ELj13ELNS0_17block_load_methodE3ELS4_3ELS4_3ELNS0_20block_scan_algorithmE0ELj4294967295EEENS1_25partition_config_selectorILNS1_17partition_subalgoE3EjNS0_10empty_typeEbEEZZNS1_14partition_implILS8_3ELb0ES6_jNS0_17counting_iteratorIjlEEPS9_SE_NS0_5tupleIJPjSE_EEENSF_IJSE_SE_EEES9_SG_JZNS1_25segmented_radix_sort_implINS0_14default_configELb0EPKsPsPKlPlN2at6native12_GLOBAL__N_18offset_tEEE10hipError_tPvRmT1_PNSt15iterator_traitsISY_E10value_typeET2_T3_PNSZ_IS14_E10value_typeET4_jRbjT5_S1A_jjP12ihipStream_tbEUljE_EEESV_SW_SX_S14_S18_S1A_T6_T7_T9_mT8_S1C_bDpT10_ENKUlT_T0_E_clISt17integral_constantIbLb1EES1P_EEDaS1K_S1L_EUlS1K_E_NS1_11comp_targetILNS1_3genE4ELNS1_11target_archE910ELNS1_3gpuE8ELNS1_3repE0EEENS1_30default_config_static_selectorELNS0_4arch9wavefront6targetE0EEEvSY_.kd
    .uniform_work_group_size: 1
    .uses_dynamic_stack: false
    .vgpr_count:     0
    .vgpr_spill_count: 0
    .wavefront_size: 32
  - .args:
      - .offset:         0
        .size:           152
        .value_kind:     by_value
    .group_segment_fixed_size: 0
    .kernarg_segment_align: 8
    .kernarg_segment_size: 152
    .language:       OpenCL C
    .language_version:
      - 2
      - 0
    .max_flat_workgroup_size: 256
    .name:           _ZN7rocprim17ROCPRIM_400000_NS6detail17trampoline_kernelINS0_13select_configILj256ELj13ELNS0_17block_load_methodE3ELS4_3ELS4_3ELNS0_20block_scan_algorithmE0ELj4294967295EEENS1_25partition_config_selectorILNS1_17partition_subalgoE3EjNS0_10empty_typeEbEEZZNS1_14partition_implILS8_3ELb0ES6_jNS0_17counting_iteratorIjlEEPS9_SE_NS0_5tupleIJPjSE_EEENSF_IJSE_SE_EEES9_SG_JZNS1_25segmented_radix_sort_implINS0_14default_configELb0EPKsPsPKlPlN2at6native12_GLOBAL__N_18offset_tEEE10hipError_tPvRmT1_PNSt15iterator_traitsISY_E10value_typeET2_T3_PNSZ_IS14_E10value_typeET4_jRbjT5_S1A_jjP12ihipStream_tbEUljE_EEESV_SW_SX_S14_S18_S1A_T6_T7_T9_mT8_S1C_bDpT10_ENKUlT_T0_E_clISt17integral_constantIbLb1EES1P_EEDaS1K_S1L_EUlS1K_E_NS1_11comp_targetILNS1_3genE3ELNS1_11target_archE908ELNS1_3gpuE7ELNS1_3repE0EEENS1_30default_config_static_selectorELNS0_4arch9wavefront6targetE0EEEvSY_
    .private_segment_fixed_size: 0
    .sgpr_count:     0
    .sgpr_spill_count: 0
    .symbol:         _ZN7rocprim17ROCPRIM_400000_NS6detail17trampoline_kernelINS0_13select_configILj256ELj13ELNS0_17block_load_methodE3ELS4_3ELS4_3ELNS0_20block_scan_algorithmE0ELj4294967295EEENS1_25partition_config_selectorILNS1_17partition_subalgoE3EjNS0_10empty_typeEbEEZZNS1_14partition_implILS8_3ELb0ES6_jNS0_17counting_iteratorIjlEEPS9_SE_NS0_5tupleIJPjSE_EEENSF_IJSE_SE_EEES9_SG_JZNS1_25segmented_radix_sort_implINS0_14default_configELb0EPKsPsPKlPlN2at6native12_GLOBAL__N_18offset_tEEE10hipError_tPvRmT1_PNSt15iterator_traitsISY_E10value_typeET2_T3_PNSZ_IS14_E10value_typeET4_jRbjT5_S1A_jjP12ihipStream_tbEUljE_EEESV_SW_SX_S14_S18_S1A_T6_T7_T9_mT8_S1C_bDpT10_ENKUlT_T0_E_clISt17integral_constantIbLb1EES1P_EEDaS1K_S1L_EUlS1K_E_NS1_11comp_targetILNS1_3genE3ELNS1_11target_archE908ELNS1_3gpuE7ELNS1_3repE0EEENS1_30default_config_static_selectorELNS0_4arch9wavefront6targetE0EEEvSY_.kd
    .uniform_work_group_size: 1
    .uses_dynamic_stack: false
    .vgpr_count:     0
    .vgpr_spill_count: 0
    .wavefront_size: 32
  - .args:
      - .offset:         0
        .size:           152
        .value_kind:     by_value
    .group_segment_fixed_size: 0
    .kernarg_segment_align: 8
    .kernarg_segment_size: 152
    .language:       OpenCL C
    .language_version:
      - 2
      - 0
    .max_flat_workgroup_size: 256
    .name:           _ZN7rocprim17ROCPRIM_400000_NS6detail17trampoline_kernelINS0_13select_configILj256ELj13ELNS0_17block_load_methodE3ELS4_3ELS4_3ELNS0_20block_scan_algorithmE0ELj4294967295EEENS1_25partition_config_selectorILNS1_17partition_subalgoE3EjNS0_10empty_typeEbEEZZNS1_14partition_implILS8_3ELb0ES6_jNS0_17counting_iteratorIjlEEPS9_SE_NS0_5tupleIJPjSE_EEENSF_IJSE_SE_EEES9_SG_JZNS1_25segmented_radix_sort_implINS0_14default_configELb0EPKsPsPKlPlN2at6native12_GLOBAL__N_18offset_tEEE10hipError_tPvRmT1_PNSt15iterator_traitsISY_E10value_typeET2_T3_PNSZ_IS14_E10value_typeET4_jRbjT5_S1A_jjP12ihipStream_tbEUljE_EEESV_SW_SX_S14_S18_S1A_T6_T7_T9_mT8_S1C_bDpT10_ENKUlT_T0_E_clISt17integral_constantIbLb1EES1P_EEDaS1K_S1L_EUlS1K_E_NS1_11comp_targetILNS1_3genE2ELNS1_11target_archE906ELNS1_3gpuE6ELNS1_3repE0EEENS1_30default_config_static_selectorELNS0_4arch9wavefront6targetE0EEEvSY_
    .private_segment_fixed_size: 0
    .sgpr_count:     0
    .sgpr_spill_count: 0
    .symbol:         _ZN7rocprim17ROCPRIM_400000_NS6detail17trampoline_kernelINS0_13select_configILj256ELj13ELNS0_17block_load_methodE3ELS4_3ELS4_3ELNS0_20block_scan_algorithmE0ELj4294967295EEENS1_25partition_config_selectorILNS1_17partition_subalgoE3EjNS0_10empty_typeEbEEZZNS1_14partition_implILS8_3ELb0ES6_jNS0_17counting_iteratorIjlEEPS9_SE_NS0_5tupleIJPjSE_EEENSF_IJSE_SE_EEES9_SG_JZNS1_25segmented_radix_sort_implINS0_14default_configELb0EPKsPsPKlPlN2at6native12_GLOBAL__N_18offset_tEEE10hipError_tPvRmT1_PNSt15iterator_traitsISY_E10value_typeET2_T3_PNSZ_IS14_E10value_typeET4_jRbjT5_S1A_jjP12ihipStream_tbEUljE_EEESV_SW_SX_S14_S18_S1A_T6_T7_T9_mT8_S1C_bDpT10_ENKUlT_T0_E_clISt17integral_constantIbLb1EES1P_EEDaS1K_S1L_EUlS1K_E_NS1_11comp_targetILNS1_3genE2ELNS1_11target_archE906ELNS1_3gpuE6ELNS1_3repE0EEENS1_30default_config_static_selectorELNS0_4arch9wavefront6targetE0EEEvSY_.kd
    .uniform_work_group_size: 1
    .uses_dynamic_stack: false
    .vgpr_count:     0
    .vgpr_spill_count: 0
    .wavefront_size: 32
  - .args:
      - .offset:         0
        .size:           152
        .value_kind:     by_value
    .group_segment_fixed_size: 0
    .kernarg_segment_align: 8
    .kernarg_segment_size: 152
    .language:       OpenCL C
    .language_version:
      - 2
      - 0
    .max_flat_workgroup_size: 256
    .name:           _ZN7rocprim17ROCPRIM_400000_NS6detail17trampoline_kernelINS0_13select_configILj256ELj13ELNS0_17block_load_methodE3ELS4_3ELS4_3ELNS0_20block_scan_algorithmE0ELj4294967295EEENS1_25partition_config_selectorILNS1_17partition_subalgoE3EjNS0_10empty_typeEbEEZZNS1_14partition_implILS8_3ELb0ES6_jNS0_17counting_iteratorIjlEEPS9_SE_NS0_5tupleIJPjSE_EEENSF_IJSE_SE_EEES9_SG_JZNS1_25segmented_radix_sort_implINS0_14default_configELb0EPKsPsPKlPlN2at6native12_GLOBAL__N_18offset_tEEE10hipError_tPvRmT1_PNSt15iterator_traitsISY_E10value_typeET2_T3_PNSZ_IS14_E10value_typeET4_jRbjT5_S1A_jjP12ihipStream_tbEUljE_EEESV_SW_SX_S14_S18_S1A_T6_T7_T9_mT8_S1C_bDpT10_ENKUlT_T0_E_clISt17integral_constantIbLb1EES1P_EEDaS1K_S1L_EUlS1K_E_NS1_11comp_targetILNS1_3genE10ELNS1_11target_archE1200ELNS1_3gpuE4ELNS1_3repE0EEENS1_30default_config_static_selectorELNS0_4arch9wavefront6targetE0EEEvSY_
    .private_segment_fixed_size: 0
    .sgpr_count:     0
    .sgpr_spill_count: 0
    .symbol:         _ZN7rocprim17ROCPRIM_400000_NS6detail17trampoline_kernelINS0_13select_configILj256ELj13ELNS0_17block_load_methodE3ELS4_3ELS4_3ELNS0_20block_scan_algorithmE0ELj4294967295EEENS1_25partition_config_selectorILNS1_17partition_subalgoE3EjNS0_10empty_typeEbEEZZNS1_14partition_implILS8_3ELb0ES6_jNS0_17counting_iteratorIjlEEPS9_SE_NS0_5tupleIJPjSE_EEENSF_IJSE_SE_EEES9_SG_JZNS1_25segmented_radix_sort_implINS0_14default_configELb0EPKsPsPKlPlN2at6native12_GLOBAL__N_18offset_tEEE10hipError_tPvRmT1_PNSt15iterator_traitsISY_E10value_typeET2_T3_PNSZ_IS14_E10value_typeET4_jRbjT5_S1A_jjP12ihipStream_tbEUljE_EEESV_SW_SX_S14_S18_S1A_T6_T7_T9_mT8_S1C_bDpT10_ENKUlT_T0_E_clISt17integral_constantIbLb1EES1P_EEDaS1K_S1L_EUlS1K_E_NS1_11comp_targetILNS1_3genE10ELNS1_11target_archE1200ELNS1_3gpuE4ELNS1_3repE0EEENS1_30default_config_static_selectorELNS0_4arch9wavefront6targetE0EEEvSY_.kd
    .uniform_work_group_size: 1
    .uses_dynamic_stack: false
    .vgpr_count:     0
    .vgpr_spill_count: 0
    .wavefront_size: 32
  - .args:
      - .offset:         0
        .size:           152
        .value_kind:     by_value
    .group_segment_fixed_size: 0
    .kernarg_segment_align: 8
    .kernarg_segment_size: 152
    .language:       OpenCL C
    .language_version:
      - 2
      - 0
    .max_flat_workgroup_size: 256
    .name:           _ZN7rocprim17ROCPRIM_400000_NS6detail17trampoline_kernelINS0_13select_configILj256ELj13ELNS0_17block_load_methodE3ELS4_3ELS4_3ELNS0_20block_scan_algorithmE0ELj4294967295EEENS1_25partition_config_selectorILNS1_17partition_subalgoE3EjNS0_10empty_typeEbEEZZNS1_14partition_implILS8_3ELb0ES6_jNS0_17counting_iteratorIjlEEPS9_SE_NS0_5tupleIJPjSE_EEENSF_IJSE_SE_EEES9_SG_JZNS1_25segmented_radix_sort_implINS0_14default_configELb0EPKsPsPKlPlN2at6native12_GLOBAL__N_18offset_tEEE10hipError_tPvRmT1_PNSt15iterator_traitsISY_E10value_typeET2_T3_PNSZ_IS14_E10value_typeET4_jRbjT5_S1A_jjP12ihipStream_tbEUljE_EEESV_SW_SX_S14_S18_S1A_T6_T7_T9_mT8_S1C_bDpT10_ENKUlT_T0_E_clISt17integral_constantIbLb1EES1P_EEDaS1K_S1L_EUlS1K_E_NS1_11comp_targetILNS1_3genE9ELNS1_11target_archE1100ELNS1_3gpuE3ELNS1_3repE0EEENS1_30default_config_static_selectorELNS0_4arch9wavefront6targetE0EEEvSY_
    .private_segment_fixed_size: 0
    .sgpr_count:     0
    .sgpr_spill_count: 0
    .symbol:         _ZN7rocprim17ROCPRIM_400000_NS6detail17trampoline_kernelINS0_13select_configILj256ELj13ELNS0_17block_load_methodE3ELS4_3ELS4_3ELNS0_20block_scan_algorithmE0ELj4294967295EEENS1_25partition_config_selectorILNS1_17partition_subalgoE3EjNS0_10empty_typeEbEEZZNS1_14partition_implILS8_3ELb0ES6_jNS0_17counting_iteratorIjlEEPS9_SE_NS0_5tupleIJPjSE_EEENSF_IJSE_SE_EEES9_SG_JZNS1_25segmented_radix_sort_implINS0_14default_configELb0EPKsPsPKlPlN2at6native12_GLOBAL__N_18offset_tEEE10hipError_tPvRmT1_PNSt15iterator_traitsISY_E10value_typeET2_T3_PNSZ_IS14_E10value_typeET4_jRbjT5_S1A_jjP12ihipStream_tbEUljE_EEESV_SW_SX_S14_S18_S1A_T6_T7_T9_mT8_S1C_bDpT10_ENKUlT_T0_E_clISt17integral_constantIbLb1EES1P_EEDaS1K_S1L_EUlS1K_E_NS1_11comp_targetILNS1_3genE9ELNS1_11target_archE1100ELNS1_3gpuE3ELNS1_3repE0EEENS1_30default_config_static_selectorELNS0_4arch9wavefront6targetE0EEEvSY_.kd
    .uniform_work_group_size: 1
    .uses_dynamic_stack: false
    .vgpr_count:     0
    .vgpr_spill_count: 0
    .wavefront_size: 32
  - .args:
      - .offset:         0
        .size:           152
        .value_kind:     by_value
    .group_segment_fixed_size: 0
    .kernarg_segment_align: 8
    .kernarg_segment_size: 152
    .language:       OpenCL C
    .language_version:
      - 2
      - 0
    .max_flat_workgroup_size: 256
    .name:           _ZN7rocprim17ROCPRIM_400000_NS6detail17trampoline_kernelINS0_13select_configILj256ELj13ELNS0_17block_load_methodE3ELS4_3ELS4_3ELNS0_20block_scan_algorithmE0ELj4294967295EEENS1_25partition_config_selectorILNS1_17partition_subalgoE3EjNS0_10empty_typeEbEEZZNS1_14partition_implILS8_3ELb0ES6_jNS0_17counting_iteratorIjlEEPS9_SE_NS0_5tupleIJPjSE_EEENSF_IJSE_SE_EEES9_SG_JZNS1_25segmented_radix_sort_implINS0_14default_configELb0EPKsPsPKlPlN2at6native12_GLOBAL__N_18offset_tEEE10hipError_tPvRmT1_PNSt15iterator_traitsISY_E10value_typeET2_T3_PNSZ_IS14_E10value_typeET4_jRbjT5_S1A_jjP12ihipStream_tbEUljE_EEESV_SW_SX_S14_S18_S1A_T6_T7_T9_mT8_S1C_bDpT10_ENKUlT_T0_E_clISt17integral_constantIbLb1EES1P_EEDaS1K_S1L_EUlS1K_E_NS1_11comp_targetILNS1_3genE8ELNS1_11target_archE1030ELNS1_3gpuE2ELNS1_3repE0EEENS1_30default_config_static_selectorELNS0_4arch9wavefront6targetE0EEEvSY_
    .private_segment_fixed_size: 0
    .sgpr_count:     0
    .sgpr_spill_count: 0
    .symbol:         _ZN7rocprim17ROCPRIM_400000_NS6detail17trampoline_kernelINS0_13select_configILj256ELj13ELNS0_17block_load_methodE3ELS4_3ELS4_3ELNS0_20block_scan_algorithmE0ELj4294967295EEENS1_25partition_config_selectorILNS1_17partition_subalgoE3EjNS0_10empty_typeEbEEZZNS1_14partition_implILS8_3ELb0ES6_jNS0_17counting_iteratorIjlEEPS9_SE_NS0_5tupleIJPjSE_EEENSF_IJSE_SE_EEES9_SG_JZNS1_25segmented_radix_sort_implINS0_14default_configELb0EPKsPsPKlPlN2at6native12_GLOBAL__N_18offset_tEEE10hipError_tPvRmT1_PNSt15iterator_traitsISY_E10value_typeET2_T3_PNSZ_IS14_E10value_typeET4_jRbjT5_S1A_jjP12ihipStream_tbEUljE_EEESV_SW_SX_S14_S18_S1A_T6_T7_T9_mT8_S1C_bDpT10_ENKUlT_T0_E_clISt17integral_constantIbLb1EES1P_EEDaS1K_S1L_EUlS1K_E_NS1_11comp_targetILNS1_3genE8ELNS1_11target_archE1030ELNS1_3gpuE2ELNS1_3repE0EEENS1_30default_config_static_selectorELNS0_4arch9wavefront6targetE0EEEvSY_.kd
    .uniform_work_group_size: 1
    .uses_dynamic_stack: false
    .vgpr_count:     0
    .vgpr_spill_count: 0
    .wavefront_size: 32
  - .args:
      - .offset:         0
        .size:           144
        .value_kind:     by_value
    .group_segment_fixed_size: 0
    .kernarg_segment_align: 8
    .kernarg_segment_size: 144
    .language:       OpenCL C
    .language_version:
      - 2
      - 0
    .max_flat_workgroup_size: 256
    .name:           _ZN7rocprim17ROCPRIM_400000_NS6detail17trampoline_kernelINS0_13select_configILj256ELj13ELNS0_17block_load_methodE3ELS4_3ELS4_3ELNS0_20block_scan_algorithmE0ELj4294967295EEENS1_25partition_config_selectorILNS1_17partition_subalgoE3EjNS0_10empty_typeEbEEZZNS1_14partition_implILS8_3ELb0ES6_jNS0_17counting_iteratorIjlEEPS9_SE_NS0_5tupleIJPjSE_EEENSF_IJSE_SE_EEES9_SG_JZNS1_25segmented_radix_sort_implINS0_14default_configELb0EPKsPsPKlPlN2at6native12_GLOBAL__N_18offset_tEEE10hipError_tPvRmT1_PNSt15iterator_traitsISY_E10value_typeET2_T3_PNSZ_IS14_E10value_typeET4_jRbjT5_S1A_jjP12ihipStream_tbEUljE_EEESV_SW_SX_S14_S18_S1A_T6_T7_T9_mT8_S1C_bDpT10_ENKUlT_T0_E_clISt17integral_constantIbLb1EES1O_IbLb0EEEEDaS1K_S1L_EUlS1K_E_NS1_11comp_targetILNS1_3genE0ELNS1_11target_archE4294967295ELNS1_3gpuE0ELNS1_3repE0EEENS1_30default_config_static_selectorELNS0_4arch9wavefront6targetE0EEEvSY_
    .private_segment_fixed_size: 0
    .sgpr_count:     0
    .sgpr_spill_count: 0
    .symbol:         _ZN7rocprim17ROCPRIM_400000_NS6detail17trampoline_kernelINS0_13select_configILj256ELj13ELNS0_17block_load_methodE3ELS4_3ELS4_3ELNS0_20block_scan_algorithmE0ELj4294967295EEENS1_25partition_config_selectorILNS1_17partition_subalgoE3EjNS0_10empty_typeEbEEZZNS1_14partition_implILS8_3ELb0ES6_jNS0_17counting_iteratorIjlEEPS9_SE_NS0_5tupleIJPjSE_EEENSF_IJSE_SE_EEES9_SG_JZNS1_25segmented_radix_sort_implINS0_14default_configELb0EPKsPsPKlPlN2at6native12_GLOBAL__N_18offset_tEEE10hipError_tPvRmT1_PNSt15iterator_traitsISY_E10value_typeET2_T3_PNSZ_IS14_E10value_typeET4_jRbjT5_S1A_jjP12ihipStream_tbEUljE_EEESV_SW_SX_S14_S18_S1A_T6_T7_T9_mT8_S1C_bDpT10_ENKUlT_T0_E_clISt17integral_constantIbLb1EES1O_IbLb0EEEEDaS1K_S1L_EUlS1K_E_NS1_11comp_targetILNS1_3genE0ELNS1_11target_archE4294967295ELNS1_3gpuE0ELNS1_3repE0EEENS1_30default_config_static_selectorELNS0_4arch9wavefront6targetE0EEEvSY_.kd
    .uniform_work_group_size: 1
    .uses_dynamic_stack: false
    .vgpr_count:     0
    .vgpr_spill_count: 0
    .wavefront_size: 32
  - .args:
      - .offset:         0
        .size:           144
        .value_kind:     by_value
    .group_segment_fixed_size: 0
    .kernarg_segment_align: 8
    .kernarg_segment_size: 144
    .language:       OpenCL C
    .language_version:
      - 2
      - 0
    .max_flat_workgroup_size: 256
    .name:           _ZN7rocprim17ROCPRIM_400000_NS6detail17trampoline_kernelINS0_13select_configILj256ELj13ELNS0_17block_load_methodE3ELS4_3ELS4_3ELNS0_20block_scan_algorithmE0ELj4294967295EEENS1_25partition_config_selectorILNS1_17partition_subalgoE3EjNS0_10empty_typeEbEEZZNS1_14partition_implILS8_3ELb0ES6_jNS0_17counting_iteratorIjlEEPS9_SE_NS0_5tupleIJPjSE_EEENSF_IJSE_SE_EEES9_SG_JZNS1_25segmented_radix_sort_implINS0_14default_configELb0EPKsPsPKlPlN2at6native12_GLOBAL__N_18offset_tEEE10hipError_tPvRmT1_PNSt15iterator_traitsISY_E10value_typeET2_T3_PNSZ_IS14_E10value_typeET4_jRbjT5_S1A_jjP12ihipStream_tbEUljE_EEESV_SW_SX_S14_S18_S1A_T6_T7_T9_mT8_S1C_bDpT10_ENKUlT_T0_E_clISt17integral_constantIbLb1EES1O_IbLb0EEEEDaS1K_S1L_EUlS1K_E_NS1_11comp_targetILNS1_3genE5ELNS1_11target_archE942ELNS1_3gpuE9ELNS1_3repE0EEENS1_30default_config_static_selectorELNS0_4arch9wavefront6targetE0EEEvSY_
    .private_segment_fixed_size: 0
    .sgpr_count:     0
    .sgpr_spill_count: 0
    .symbol:         _ZN7rocprim17ROCPRIM_400000_NS6detail17trampoline_kernelINS0_13select_configILj256ELj13ELNS0_17block_load_methodE3ELS4_3ELS4_3ELNS0_20block_scan_algorithmE0ELj4294967295EEENS1_25partition_config_selectorILNS1_17partition_subalgoE3EjNS0_10empty_typeEbEEZZNS1_14partition_implILS8_3ELb0ES6_jNS0_17counting_iteratorIjlEEPS9_SE_NS0_5tupleIJPjSE_EEENSF_IJSE_SE_EEES9_SG_JZNS1_25segmented_radix_sort_implINS0_14default_configELb0EPKsPsPKlPlN2at6native12_GLOBAL__N_18offset_tEEE10hipError_tPvRmT1_PNSt15iterator_traitsISY_E10value_typeET2_T3_PNSZ_IS14_E10value_typeET4_jRbjT5_S1A_jjP12ihipStream_tbEUljE_EEESV_SW_SX_S14_S18_S1A_T6_T7_T9_mT8_S1C_bDpT10_ENKUlT_T0_E_clISt17integral_constantIbLb1EES1O_IbLb0EEEEDaS1K_S1L_EUlS1K_E_NS1_11comp_targetILNS1_3genE5ELNS1_11target_archE942ELNS1_3gpuE9ELNS1_3repE0EEENS1_30default_config_static_selectorELNS0_4arch9wavefront6targetE0EEEvSY_.kd
    .uniform_work_group_size: 1
    .uses_dynamic_stack: false
    .vgpr_count:     0
    .vgpr_spill_count: 0
    .wavefront_size: 32
  - .args:
      - .offset:         0
        .size:           144
        .value_kind:     by_value
    .group_segment_fixed_size: 0
    .kernarg_segment_align: 8
    .kernarg_segment_size: 144
    .language:       OpenCL C
    .language_version:
      - 2
      - 0
    .max_flat_workgroup_size: 256
    .name:           _ZN7rocprim17ROCPRIM_400000_NS6detail17trampoline_kernelINS0_13select_configILj256ELj13ELNS0_17block_load_methodE3ELS4_3ELS4_3ELNS0_20block_scan_algorithmE0ELj4294967295EEENS1_25partition_config_selectorILNS1_17partition_subalgoE3EjNS0_10empty_typeEbEEZZNS1_14partition_implILS8_3ELb0ES6_jNS0_17counting_iteratorIjlEEPS9_SE_NS0_5tupleIJPjSE_EEENSF_IJSE_SE_EEES9_SG_JZNS1_25segmented_radix_sort_implINS0_14default_configELb0EPKsPsPKlPlN2at6native12_GLOBAL__N_18offset_tEEE10hipError_tPvRmT1_PNSt15iterator_traitsISY_E10value_typeET2_T3_PNSZ_IS14_E10value_typeET4_jRbjT5_S1A_jjP12ihipStream_tbEUljE_EEESV_SW_SX_S14_S18_S1A_T6_T7_T9_mT8_S1C_bDpT10_ENKUlT_T0_E_clISt17integral_constantIbLb1EES1O_IbLb0EEEEDaS1K_S1L_EUlS1K_E_NS1_11comp_targetILNS1_3genE4ELNS1_11target_archE910ELNS1_3gpuE8ELNS1_3repE0EEENS1_30default_config_static_selectorELNS0_4arch9wavefront6targetE0EEEvSY_
    .private_segment_fixed_size: 0
    .sgpr_count:     0
    .sgpr_spill_count: 0
    .symbol:         _ZN7rocprim17ROCPRIM_400000_NS6detail17trampoline_kernelINS0_13select_configILj256ELj13ELNS0_17block_load_methodE3ELS4_3ELS4_3ELNS0_20block_scan_algorithmE0ELj4294967295EEENS1_25partition_config_selectorILNS1_17partition_subalgoE3EjNS0_10empty_typeEbEEZZNS1_14partition_implILS8_3ELb0ES6_jNS0_17counting_iteratorIjlEEPS9_SE_NS0_5tupleIJPjSE_EEENSF_IJSE_SE_EEES9_SG_JZNS1_25segmented_radix_sort_implINS0_14default_configELb0EPKsPsPKlPlN2at6native12_GLOBAL__N_18offset_tEEE10hipError_tPvRmT1_PNSt15iterator_traitsISY_E10value_typeET2_T3_PNSZ_IS14_E10value_typeET4_jRbjT5_S1A_jjP12ihipStream_tbEUljE_EEESV_SW_SX_S14_S18_S1A_T6_T7_T9_mT8_S1C_bDpT10_ENKUlT_T0_E_clISt17integral_constantIbLb1EES1O_IbLb0EEEEDaS1K_S1L_EUlS1K_E_NS1_11comp_targetILNS1_3genE4ELNS1_11target_archE910ELNS1_3gpuE8ELNS1_3repE0EEENS1_30default_config_static_selectorELNS0_4arch9wavefront6targetE0EEEvSY_.kd
    .uniform_work_group_size: 1
    .uses_dynamic_stack: false
    .vgpr_count:     0
    .vgpr_spill_count: 0
    .wavefront_size: 32
  - .args:
      - .offset:         0
        .size:           144
        .value_kind:     by_value
    .group_segment_fixed_size: 0
    .kernarg_segment_align: 8
    .kernarg_segment_size: 144
    .language:       OpenCL C
    .language_version:
      - 2
      - 0
    .max_flat_workgroup_size: 256
    .name:           _ZN7rocprim17ROCPRIM_400000_NS6detail17trampoline_kernelINS0_13select_configILj256ELj13ELNS0_17block_load_methodE3ELS4_3ELS4_3ELNS0_20block_scan_algorithmE0ELj4294967295EEENS1_25partition_config_selectorILNS1_17partition_subalgoE3EjNS0_10empty_typeEbEEZZNS1_14partition_implILS8_3ELb0ES6_jNS0_17counting_iteratorIjlEEPS9_SE_NS0_5tupleIJPjSE_EEENSF_IJSE_SE_EEES9_SG_JZNS1_25segmented_radix_sort_implINS0_14default_configELb0EPKsPsPKlPlN2at6native12_GLOBAL__N_18offset_tEEE10hipError_tPvRmT1_PNSt15iterator_traitsISY_E10value_typeET2_T3_PNSZ_IS14_E10value_typeET4_jRbjT5_S1A_jjP12ihipStream_tbEUljE_EEESV_SW_SX_S14_S18_S1A_T6_T7_T9_mT8_S1C_bDpT10_ENKUlT_T0_E_clISt17integral_constantIbLb1EES1O_IbLb0EEEEDaS1K_S1L_EUlS1K_E_NS1_11comp_targetILNS1_3genE3ELNS1_11target_archE908ELNS1_3gpuE7ELNS1_3repE0EEENS1_30default_config_static_selectorELNS0_4arch9wavefront6targetE0EEEvSY_
    .private_segment_fixed_size: 0
    .sgpr_count:     0
    .sgpr_spill_count: 0
    .symbol:         _ZN7rocprim17ROCPRIM_400000_NS6detail17trampoline_kernelINS0_13select_configILj256ELj13ELNS0_17block_load_methodE3ELS4_3ELS4_3ELNS0_20block_scan_algorithmE0ELj4294967295EEENS1_25partition_config_selectorILNS1_17partition_subalgoE3EjNS0_10empty_typeEbEEZZNS1_14partition_implILS8_3ELb0ES6_jNS0_17counting_iteratorIjlEEPS9_SE_NS0_5tupleIJPjSE_EEENSF_IJSE_SE_EEES9_SG_JZNS1_25segmented_radix_sort_implINS0_14default_configELb0EPKsPsPKlPlN2at6native12_GLOBAL__N_18offset_tEEE10hipError_tPvRmT1_PNSt15iterator_traitsISY_E10value_typeET2_T3_PNSZ_IS14_E10value_typeET4_jRbjT5_S1A_jjP12ihipStream_tbEUljE_EEESV_SW_SX_S14_S18_S1A_T6_T7_T9_mT8_S1C_bDpT10_ENKUlT_T0_E_clISt17integral_constantIbLb1EES1O_IbLb0EEEEDaS1K_S1L_EUlS1K_E_NS1_11comp_targetILNS1_3genE3ELNS1_11target_archE908ELNS1_3gpuE7ELNS1_3repE0EEENS1_30default_config_static_selectorELNS0_4arch9wavefront6targetE0EEEvSY_.kd
    .uniform_work_group_size: 1
    .uses_dynamic_stack: false
    .vgpr_count:     0
    .vgpr_spill_count: 0
    .wavefront_size: 32
  - .args:
      - .offset:         0
        .size:           144
        .value_kind:     by_value
    .group_segment_fixed_size: 0
    .kernarg_segment_align: 8
    .kernarg_segment_size: 144
    .language:       OpenCL C
    .language_version:
      - 2
      - 0
    .max_flat_workgroup_size: 256
    .name:           _ZN7rocprim17ROCPRIM_400000_NS6detail17trampoline_kernelINS0_13select_configILj256ELj13ELNS0_17block_load_methodE3ELS4_3ELS4_3ELNS0_20block_scan_algorithmE0ELj4294967295EEENS1_25partition_config_selectorILNS1_17partition_subalgoE3EjNS0_10empty_typeEbEEZZNS1_14partition_implILS8_3ELb0ES6_jNS0_17counting_iteratorIjlEEPS9_SE_NS0_5tupleIJPjSE_EEENSF_IJSE_SE_EEES9_SG_JZNS1_25segmented_radix_sort_implINS0_14default_configELb0EPKsPsPKlPlN2at6native12_GLOBAL__N_18offset_tEEE10hipError_tPvRmT1_PNSt15iterator_traitsISY_E10value_typeET2_T3_PNSZ_IS14_E10value_typeET4_jRbjT5_S1A_jjP12ihipStream_tbEUljE_EEESV_SW_SX_S14_S18_S1A_T6_T7_T9_mT8_S1C_bDpT10_ENKUlT_T0_E_clISt17integral_constantIbLb1EES1O_IbLb0EEEEDaS1K_S1L_EUlS1K_E_NS1_11comp_targetILNS1_3genE2ELNS1_11target_archE906ELNS1_3gpuE6ELNS1_3repE0EEENS1_30default_config_static_selectorELNS0_4arch9wavefront6targetE0EEEvSY_
    .private_segment_fixed_size: 0
    .sgpr_count:     0
    .sgpr_spill_count: 0
    .symbol:         _ZN7rocprim17ROCPRIM_400000_NS6detail17trampoline_kernelINS0_13select_configILj256ELj13ELNS0_17block_load_methodE3ELS4_3ELS4_3ELNS0_20block_scan_algorithmE0ELj4294967295EEENS1_25partition_config_selectorILNS1_17partition_subalgoE3EjNS0_10empty_typeEbEEZZNS1_14partition_implILS8_3ELb0ES6_jNS0_17counting_iteratorIjlEEPS9_SE_NS0_5tupleIJPjSE_EEENSF_IJSE_SE_EEES9_SG_JZNS1_25segmented_radix_sort_implINS0_14default_configELb0EPKsPsPKlPlN2at6native12_GLOBAL__N_18offset_tEEE10hipError_tPvRmT1_PNSt15iterator_traitsISY_E10value_typeET2_T3_PNSZ_IS14_E10value_typeET4_jRbjT5_S1A_jjP12ihipStream_tbEUljE_EEESV_SW_SX_S14_S18_S1A_T6_T7_T9_mT8_S1C_bDpT10_ENKUlT_T0_E_clISt17integral_constantIbLb1EES1O_IbLb0EEEEDaS1K_S1L_EUlS1K_E_NS1_11comp_targetILNS1_3genE2ELNS1_11target_archE906ELNS1_3gpuE6ELNS1_3repE0EEENS1_30default_config_static_selectorELNS0_4arch9wavefront6targetE0EEEvSY_.kd
    .uniform_work_group_size: 1
    .uses_dynamic_stack: false
    .vgpr_count:     0
    .vgpr_spill_count: 0
    .wavefront_size: 32
  - .args:
      - .offset:         0
        .size:           144
        .value_kind:     by_value
    .group_segment_fixed_size: 0
    .kernarg_segment_align: 8
    .kernarg_segment_size: 144
    .language:       OpenCL C
    .language_version:
      - 2
      - 0
    .max_flat_workgroup_size: 256
    .name:           _ZN7rocprim17ROCPRIM_400000_NS6detail17trampoline_kernelINS0_13select_configILj256ELj13ELNS0_17block_load_methodE3ELS4_3ELS4_3ELNS0_20block_scan_algorithmE0ELj4294967295EEENS1_25partition_config_selectorILNS1_17partition_subalgoE3EjNS0_10empty_typeEbEEZZNS1_14partition_implILS8_3ELb0ES6_jNS0_17counting_iteratorIjlEEPS9_SE_NS0_5tupleIJPjSE_EEENSF_IJSE_SE_EEES9_SG_JZNS1_25segmented_radix_sort_implINS0_14default_configELb0EPKsPsPKlPlN2at6native12_GLOBAL__N_18offset_tEEE10hipError_tPvRmT1_PNSt15iterator_traitsISY_E10value_typeET2_T3_PNSZ_IS14_E10value_typeET4_jRbjT5_S1A_jjP12ihipStream_tbEUljE_EEESV_SW_SX_S14_S18_S1A_T6_T7_T9_mT8_S1C_bDpT10_ENKUlT_T0_E_clISt17integral_constantIbLb1EES1O_IbLb0EEEEDaS1K_S1L_EUlS1K_E_NS1_11comp_targetILNS1_3genE10ELNS1_11target_archE1200ELNS1_3gpuE4ELNS1_3repE0EEENS1_30default_config_static_selectorELNS0_4arch9wavefront6targetE0EEEvSY_
    .private_segment_fixed_size: 0
    .sgpr_count:     0
    .sgpr_spill_count: 0
    .symbol:         _ZN7rocprim17ROCPRIM_400000_NS6detail17trampoline_kernelINS0_13select_configILj256ELj13ELNS0_17block_load_methodE3ELS4_3ELS4_3ELNS0_20block_scan_algorithmE0ELj4294967295EEENS1_25partition_config_selectorILNS1_17partition_subalgoE3EjNS0_10empty_typeEbEEZZNS1_14partition_implILS8_3ELb0ES6_jNS0_17counting_iteratorIjlEEPS9_SE_NS0_5tupleIJPjSE_EEENSF_IJSE_SE_EEES9_SG_JZNS1_25segmented_radix_sort_implINS0_14default_configELb0EPKsPsPKlPlN2at6native12_GLOBAL__N_18offset_tEEE10hipError_tPvRmT1_PNSt15iterator_traitsISY_E10value_typeET2_T3_PNSZ_IS14_E10value_typeET4_jRbjT5_S1A_jjP12ihipStream_tbEUljE_EEESV_SW_SX_S14_S18_S1A_T6_T7_T9_mT8_S1C_bDpT10_ENKUlT_T0_E_clISt17integral_constantIbLb1EES1O_IbLb0EEEEDaS1K_S1L_EUlS1K_E_NS1_11comp_targetILNS1_3genE10ELNS1_11target_archE1200ELNS1_3gpuE4ELNS1_3repE0EEENS1_30default_config_static_selectorELNS0_4arch9wavefront6targetE0EEEvSY_.kd
    .uniform_work_group_size: 1
    .uses_dynamic_stack: false
    .vgpr_count:     0
    .vgpr_spill_count: 0
    .wavefront_size: 32
  - .args:
      - .offset:         0
        .size:           144
        .value_kind:     by_value
    .group_segment_fixed_size: 0
    .kernarg_segment_align: 8
    .kernarg_segment_size: 144
    .language:       OpenCL C
    .language_version:
      - 2
      - 0
    .max_flat_workgroup_size: 256
    .name:           _ZN7rocprim17ROCPRIM_400000_NS6detail17trampoline_kernelINS0_13select_configILj256ELj13ELNS0_17block_load_methodE3ELS4_3ELS4_3ELNS0_20block_scan_algorithmE0ELj4294967295EEENS1_25partition_config_selectorILNS1_17partition_subalgoE3EjNS0_10empty_typeEbEEZZNS1_14partition_implILS8_3ELb0ES6_jNS0_17counting_iteratorIjlEEPS9_SE_NS0_5tupleIJPjSE_EEENSF_IJSE_SE_EEES9_SG_JZNS1_25segmented_radix_sort_implINS0_14default_configELb0EPKsPsPKlPlN2at6native12_GLOBAL__N_18offset_tEEE10hipError_tPvRmT1_PNSt15iterator_traitsISY_E10value_typeET2_T3_PNSZ_IS14_E10value_typeET4_jRbjT5_S1A_jjP12ihipStream_tbEUljE_EEESV_SW_SX_S14_S18_S1A_T6_T7_T9_mT8_S1C_bDpT10_ENKUlT_T0_E_clISt17integral_constantIbLb1EES1O_IbLb0EEEEDaS1K_S1L_EUlS1K_E_NS1_11comp_targetILNS1_3genE9ELNS1_11target_archE1100ELNS1_3gpuE3ELNS1_3repE0EEENS1_30default_config_static_selectorELNS0_4arch9wavefront6targetE0EEEvSY_
    .private_segment_fixed_size: 0
    .sgpr_count:     0
    .sgpr_spill_count: 0
    .symbol:         _ZN7rocprim17ROCPRIM_400000_NS6detail17trampoline_kernelINS0_13select_configILj256ELj13ELNS0_17block_load_methodE3ELS4_3ELS4_3ELNS0_20block_scan_algorithmE0ELj4294967295EEENS1_25partition_config_selectorILNS1_17partition_subalgoE3EjNS0_10empty_typeEbEEZZNS1_14partition_implILS8_3ELb0ES6_jNS0_17counting_iteratorIjlEEPS9_SE_NS0_5tupleIJPjSE_EEENSF_IJSE_SE_EEES9_SG_JZNS1_25segmented_radix_sort_implINS0_14default_configELb0EPKsPsPKlPlN2at6native12_GLOBAL__N_18offset_tEEE10hipError_tPvRmT1_PNSt15iterator_traitsISY_E10value_typeET2_T3_PNSZ_IS14_E10value_typeET4_jRbjT5_S1A_jjP12ihipStream_tbEUljE_EEESV_SW_SX_S14_S18_S1A_T6_T7_T9_mT8_S1C_bDpT10_ENKUlT_T0_E_clISt17integral_constantIbLb1EES1O_IbLb0EEEEDaS1K_S1L_EUlS1K_E_NS1_11comp_targetILNS1_3genE9ELNS1_11target_archE1100ELNS1_3gpuE3ELNS1_3repE0EEENS1_30default_config_static_selectorELNS0_4arch9wavefront6targetE0EEEvSY_.kd
    .uniform_work_group_size: 1
    .uses_dynamic_stack: false
    .vgpr_count:     0
    .vgpr_spill_count: 0
    .wavefront_size: 32
  - .args:
      - .offset:         0
        .size:           144
        .value_kind:     by_value
    .group_segment_fixed_size: 0
    .kernarg_segment_align: 8
    .kernarg_segment_size: 144
    .language:       OpenCL C
    .language_version:
      - 2
      - 0
    .max_flat_workgroup_size: 256
    .name:           _ZN7rocprim17ROCPRIM_400000_NS6detail17trampoline_kernelINS0_13select_configILj256ELj13ELNS0_17block_load_methodE3ELS4_3ELS4_3ELNS0_20block_scan_algorithmE0ELj4294967295EEENS1_25partition_config_selectorILNS1_17partition_subalgoE3EjNS0_10empty_typeEbEEZZNS1_14partition_implILS8_3ELb0ES6_jNS0_17counting_iteratorIjlEEPS9_SE_NS0_5tupleIJPjSE_EEENSF_IJSE_SE_EEES9_SG_JZNS1_25segmented_radix_sort_implINS0_14default_configELb0EPKsPsPKlPlN2at6native12_GLOBAL__N_18offset_tEEE10hipError_tPvRmT1_PNSt15iterator_traitsISY_E10value_typeET2_T3_PNSZ_IS14_E10value_typeET4_jRbjT5_S1A_jjP12ihipStream_tbEUljE_EEESV_SW_SX_S14_S18_S1A_T6_T7_T9_mT8_S1C_bDpT10_ENKUlT_T0_E_clISt17integral_constantIbLb1EES1O_IbLb0EEEEDaS1K_S1L_EUlS1K_E_NS1_11comp_targetILNS1_3genE8ELNS1_11target_archE1030ELNS1_3gpuE2ELNS1_3repE0EEENS1_30default_config_static_selectorELNS0_4arch9wavefront6targetE0EEEvSY_
    .private_segment_fixed_size: 0
    .sgpr_count:     0
    .sgpr_spill_count: 0
    .symbol:         _ZN7rocprim17ROCPRIM_400000_NS6detail17trampoline_kernelINS0_13select_configILj256ELj13ELNS0_17block_load_methodE3ELS4_3ELS4_3ELNS0_20block_scan_algorithmE0ELj4294967295EEENS1_25partition_config_selectorILNS1_17partition_subalgoE3EjNS0_10empty_typeEbEEZZNS1_14partition_implILS8_3ELb0ES6_jNS0_17counting_iteratorIjlEEPS9_SE_NS0_5tupleIJPjSE_EEENSF_IJSE_SE_EEES9_SG_JZNS1_25segmented_radix_sort_implINS0_14default_configELb0EPKsPsPKlPlN2at6native12_GLOBAL__N_18offset_tEEE10hipError_tPvRmT1_PNSt15iterator_traitsISY_E10value_typeET2_T3_PNSZ_IS14_E10value_typeET4_jRbjT5_S1A_jjP12ihipStream_tbEUljE_EEESV_SW_SX_S14_S18_S1A_T6_T7_T9_mT8_S1C_bDpT10_ENKUlT_T0_E_clISt17integral_constantIbLb1EES1O_IbLb0EEEEDaS1K_S1L_EUlS1K_E_NS1_11comp_targetILNS1_3genE8ELNS1_11target_archE1030ELNS1_3gpuE2ELNS1_3repE0EEENS1_30default_config_static_selectorELNS0_4arch9wavefront6targetE0EEEvSY_.kd
    .uniform_work_group_size: 1
    .uses_dynamic_stack: false
    .vgpr_count:     0
    .vgpr_spill_count: 0
    .wavefront_size: 32
  - .args:
      - .offset:         0
        .size:           152
        .value_kind:     by_value
    .group_segment_fixed_size: 13320
    .kernarg_segment_align: 8
    .kernarg_segment_size: 152
    .language:       OpenCL C
    .language_version:
      - 2
      - 0
    .max_flat_workgroup_size: 256
    .name:           _ZN7rocprim17ROCPRIM_400000_NS6detail17trampoline_kernelINS0_13select_configILj256ELj13ELNS0_17block_load_methodE3ELS4_3ELS4_3ELNS0_20block_scan_algorithmE0ELj4294967295EEENS1_25partition_config_selectorILNS1_17partition_subalgoE3EjNS0_10empty_typeEbEEZZNS1_14partition_implILS8_3ELb0ES6_jNS0_17counting_iteratorIjlEEPS9_SE_NS0_5tupleIJPjSE_EEENSF_IJSE_SE_EEES9_SG_JZNS1_25segmented_radix_sort_implINS0_14default_configELb0EPKsPsPKlPlN2at6native12_GLOBAL__N_18offset_tEEE10hipError_tPvRmT1_PNSt15iterator_traitsISY_E10value_typeET2_T3_PNSZ_IS14_E10value_typeET4_jRbjT5_S1A_jjP12ihipStream_tbEUljE_EEESV_SW_SX_S14_S18_S1A_T6_T7_T9_mT8_S1C_bDpT10_ENKUlT_T0_E_clISt17integral_constantIbLb0EES1O_IbLb1EEEEDaS1K_S1L_EUlS1K_E_NS1_11comp_targetILNS1_3genE0ELNS1_11target_archE4294967295ELNS1_3gpuE0ELNS1_3repE0EEENS1_30default_config_static_selectorELNS0_4arch9wavefront6targetE0EEEvSY_
    .private_segment_fixed_size: 0
    .sgpr_count:     26
    .sgpr_spill_count: 0
    .symbol:         _ZN7rocprim17ROCPRIM_400000_NS6detail17trampoline_kernelINS0_13select_configILj256ELj13ELNS0_17block_load_methodE3ELS4_3ELS4_3ELNS0_20block_scan_algorithmE0ELj4294967295EEENS1_25partition_config_selectorILNS1_17partition_subalgoE3EjNS0_10empty_typeEbEEZZNS1_14partition_implILS8_3ELb0ES6_jNS0_17counting_iteratorIjlEEPS9_SE_NS0_5tupleIJPjSE_EEENSF_IJSE_SE_EEES9_SG_JZNS1_25segmented_radix_sort_implINS0_14default_configELb0EPKsPsPKlPlN2at6native12_GLOBAL__N_18offset_tEEE10hipError_tPvRmT1_PNSt15iterator_traitsISY_E10value_typeET2_T3_PNSZ_IS14_E10value_typeET4_jRbjT5_S1A_jjP12ihipStream_tbEUljE_EEESV_SW_SX_S14_S18_S1A_T6_T7_T9_mT8_S1C_bDpT10_ENKUlT_T0_E_clISt17integral_constantIbLb0EES1O_IbLb1EEEEDaS1K_S1L_EUlS1K_E_NS1_11comp_targetILNS1_3genE0ELNS1_11target_archE4294967295ELNS1_3gpuE0ELNS1_3repE0EEENS1_30default_config_static_selectorELNS0_4arch9wavefront6targetE0EEEvSY_.kd
    .uniform_work_group_size: 1
    .uses_dynamic_stack: false
    .vgpr_count:     72
    .vgpr_spill_count: 0
    .wavefront_size: 32
  - .args:
      - .offset:         0
        .size:           152
        .value_kind:     by_value
    .group_segment_fixed_size: 0
    .kernarg_segment_align: 8
    .kernarg_segment_size: 152
    .language:       OpenCL C
    .language_version:
      - 2
      - 0
    .max_flat_workgroup_size: 256
    .name:           _ZN7rocprim17ROCPRIM_400000_NS6detail17trampoline_kernelINS0_13select_configILj256ELj13ELNS0_17block_load_methodE3ELS4_3ELS4_3ELNS0_20block_scan_algorithmE0ELj4294967295EEENS1_25partition_config_selectorILNS1_17partition_subalgoE3EjNS0_10empty_typeEbEEZZNS1_14partition_implILS8_3ELb0ES6_jNS0_17counting_iteratorIjlEEPS9_SE_NS0_5tupleIJPjSE_EEENSF_IJSE_SE_EEES9_SG_JZNS1_25segmented_radix_sort_implINS0_14default_configELb0EPKsPsPKlPlN2at6native12_GLOBAL__N_18offset_tEEE10hipError_tPvRmT1_PNSt15iterator_traitsISY_E10value_typeET2_T3_PNSZ_IS14_E10value_typeET4_jRbjT5_S1A_jjP12ihipStream_tbEUljE_EEESV_SW_SX_S14_S18_S1A_T6_T7_T9_mT8_S1C_bDpT10_ENKUlT_T0_E_clISt17integral_constantIbLb0EES1O_IbLb1EEEEDaS1K_S1L_EUlS1K_E_NS1_11comp_targetILNS1_3genE5ELNS1_11target_archE942ELNS1_3gpuE9ELNS1_3repE0EEENS1_30default_config_static_selectorELNS0_4arch9wavefront6targetE0EEEvSY_
    .private_segment_fixed_size: 0
    .sgpr_count:     0
    .sgpr_spill_count: 0
    .symbol:         _ZN7rocprim17ROCPRIM_400000_NS6detail17trampoline_kernelINS0_13select_configILj256ELj13ELNS0_17block_load_methodE3ELS4_3ELS4_3ELNS0_20block_scan_algorithmE0ELj4294967295EEENS1_25partition_config_selectorILNS1_17partition_subalgoE3EjNS0_10empty_typeEbEEZZNS1_14partition_implILS8_3ELb0ES6_jNS0_17counting_iteratorIjlEEPS9_SE_NS0_5tupleIJPjSE_EEENSF_IJSE_SE_EEES9_SG_JZNS1_25segmented_radix_sort_implINS0_14default_configELb0EPKsPsPKlPlN2at6native12_GLOBAL__N_18offset_tEEE10hipError_tPvRmT1_PNSt15iterator_traitsISY_E10value_typeET2_T3_PNSZ_IS14_E10value_typeET4_jRbjT5_S1A_jjP12ihipStream_tbEUljE_EEESV_SW_SX_S14_S18_S1A_T6_T7_T9_mT8_S1C_bDpT10_ENKUlT_T0_E_clISt17integral_constantIbLb0EES1O_IbLb1EEEEDaS1K_S1L_EUlS1K_E_NS1_11comp_targetILNS1_3genE5ELNS1_11target_archE942ELNS1_3gpuE9ELNS1_3repE0EEENS1_30default_config_static_selectorELNS0_4arch9wavefront6targetE0EEEvSY_.kd
    .uniform_work_group_size: 1
    .uses_dynamic_stack: false
    .vgpr_count:     0
    .vgpr_spill_count: 0
    .wavefront_size: 32
  - .args:
      - .offset:         0
        .size:           152
        .value_kind:     by_value
    .group_segment_fixed_size: 0
    .kernarg_segment_align: 8
    .kernarg_segment_size: 152
    .language:       OpenCL C
    .language_version:
      - 2
      - 0
    .max_flat_workgroup_size: 256
    .name:           _ZN7rocprim17ROCPRIM_400000_NS6detail17trampoline_kernelINS0_13select_configILj256ELj13ELNS0_17block_load_methodE3ELS4_3ELS4_3ELNS0_20block_scan_algorithmE0ELj4294967295EEENS1_25partition_config_selectorILNS1_17partition_subalgoE3EjNS0_10empty_typeEbEEZZNS1_14partition_implILS8_3ELb0ES6_jNS0_17counting_iteratorIjlEEPS9_SE_NS0_5tupleIJPjSE_EEENSF_IJSE_SE_EEES9_SG_JZNS1_25segmented_radix_sort_implINS0_14default_configELb0EPKsPsPKlPlN2at6native12_GLOBAL__N_18offset_tEEE10hipError_tPvRmT1_PNSt15iterator_traitsISY_E10value_typeET2_T3_PNSZ_IS14_E10value_typeET4_jRbjT5_S1A_jjP12ihipStream_tbEUljE_EEESV_SW_SX_S14_S18_S1A_T6_T7_T9_mT8_S1C_bDpT10_ENKUlT_T0_E_clISt17integral_constantIbLb0EES1O_IbLb1EEEEDaS1K_S1L_EUlS1K_E_NS1_11comp_targetILNS1_3genE4ELNS1_11target_archE910ELNS1_3gpuE8ELNS1_3repE0EEENS1_30default_config_static_selectorELNS0_4arch9wavefront6targetE0EEEvSY_
    .private_segment_fixed_size: 0
    .sgpr_count:     0
    .sgpr_spill_count: 0
    .symbol:         _ZN7rocprim17ROCPRIM_400000_NS6detail17trampoline_kernelINS0_13select_configILj256ELj13ELNS0_17block_load_methodE3ELS4_3ELS4_3ELNS0_20block_scan_algorithmE0ELj4294967295EEENS1_25partition_config_selectorILNS1_17partition_subalgoE3EjNS0_10empty_typeEbEEZZNS1_14partition_implILS8_3ELb0ES6_jNS0_17counting_iteratorIjlEEPS9_SE_NS0_5tupleIJPjSE_EEENSF_IJSE_SE_EEES9_SG_JZNS1_25segmented_radix_sort_implINS0_14default_configELb0EPKsPsPKlPlN2at6native12_GLOBAL__N_18offset_tEEE10hipError_tPvRmT1_PNSt15iterator_traitsISY_E10value_typeET2_T3_PNSZ_IS14_E10value_typeET4_jRbjT5_S1A_jjP12ihipStream_tbEUljE_EEESV_SW_SX_S14_S18_S1A_T6_T7_T9_mT8_S1C_bDpT10_ENKUlT_T0_E_clISt17integral_constantIbLb0EES1O_IbLb1EEEEDaS1K_S1L_EUlS1K_E_NS1_11comp_targetILNS1_3genE4ELNS1_11target_archE910ELNS1_3gpuE8ELNS1_3repE0EEENS1_30default_config_static_selectorELNS0_4arch9wavefront6targetE0EEEvSY_.kd
    .uniform_work_group_size: 1
    .uses_dynamic_stack: false
    .vgpr_count:     0
    .vgpr_spill_count: 0
    .wavefront_size: 32
  - .args:
      - .offset:         0
        .size:           152
        .value_kind:     by_value
    .group_segment_fixed_size: 0
    .kernarg_segment_align: 8
    .kernarg_segment_size: 152
    .language:       OpenCL C
    .language_version:
      - 2
      - 0
    .max_flat_workgroup_size: 256
    .name:           _ZN7rocprim17ROCPRIM_400000_NS6detail17trampoline_kernelINS0_13select_configILj256ELj13ELNS0_17block_load_methodE3ELS4_3ELS4_3ELNS0_20block_scan_algorithmE0ELj4294967295EEENS1_25partition_config_selectorILNS1_17partition_subalgoE3EjNS0_10empty_typeEbEEZZNS1_14partition_implILS8_3ELb0ES6_jNS0_17counting_iteratorIjlEEPS9_SE_NS0_5tupleIJPjSE_EEENSF_IJSE_SE_EEES9_SG_JZNS1_25segmented_radix_sort_implINS0_14default_configELb0EPKsPsPKlPlN2at6native12_GLOBAL__N_18offset_tEEE10hipError_tPvRmT1_PNSt15iterator_traitsISY_E10value_typeET2_T3_PNSZ_IS14_E10value_typeET4_jRbjT5_S1A_jjP12ihipStream_tbEUljE_EEESV_SW_SX_S14_S18_S1A_T6_T7_T9_mT8_S1C_bDpT10_ENKUlT_T0_E_clISt17integral_constantIbLb0EES1O_IbLb1EEEEDaS1K_S1L_EUlS1K_E_NS1_11comp_targetILNS1_3genE3ELNS1_11target_archE908ELNS1_3gpuE7ELNS1_3repE0EEENS1_30default_config_static_selectorELNS0_4arch9wavefront6targetE0EEEvSY_
    .private_segment_fixed_size: 0
    .sgpr_count:     0
    .sgpr_spill_count: 0
    .symbol:         _ZN7rocprim17ROCPRIM_400000_NS6detail17trampoline_kernelINS0_13select_configILj256ELj13ELNS0_17block_load_methodE3ELS4_3ELS4_3ELNS0_20block_scan_algorithmE0ELj4294967295EEENS1_25partition_config_selectorILNS1_17partition_subalgoE3EjNS0_10empty_typeEbEEZZNS1_14partition_implILS8_3ELb0ES6_jNS0_17counting_iteratorIjlEEPS9_SE_NS0_5tupleIJPjSE_EEENSF_IJSE_SE_EEES9_SG_JZNS1_25segmented_radix_sort_implINS0_14default_configELb0EPKsPsPKlPlN2at6native12_GLOBAL__N_18offset_tEEE10hipError_tPvRmT1_PNSt15iterator_traitsISY_E10value_typeET2_T3_PNSZ_IS14_E10value_typeET4_jRbjT5_S1A_jjP12ihipStream_tbEUljE_EEESV_SW_SX_S14_S18_S1A_T6_T7_T9_mT8_S1C_bDpT10_ENKUlT_T0_E_clISt17integral_constantIbLb0EES1O_IbLb1EEEEDaS1K_S1L_EUlS1K_E_NS1_11comp_targetILNS1_3genE3ELNS1_11target_archE908ELNS1_3gpuE7ELNS1_3repE0EEENS1_30default_config_static_selectorELNS0_4arch9wavefront6targetE0EEEvSY_.kd
    .uniform_work_group_size: 1
    .uses_dynamic_stack: false
    .vgpr_count:     0
    .vgpr_spill_count: 0
    .wavefront_size: 32
  - .args:
      - .offset:         0
        .size:           152
        .value_kind:     by_value
    .group_segment_fixed_size: 0
    .kernarg_segment_align: 8
    .kernarg_segment_size: 152
    .language:       OpenCL C
    .language_version:
      - 2
      - 0
    .max_flat_workgroup_size: 256
    .name:           _ZN7rocprim17ROCPRIM_400000_NS6detail17trampoline_kernelINS0_13select_configILj256ELj13ELNS0_17block_load_methodE3ELS4_3ELS4_3ELNS0_20block_scan_algorithmE0ELj4294967295EEENS1_25partition_config_selectorILNS1_17partition_subalgoE3EjNS0_10empty_typeEbEEZZNS1_14partition_implILS8_3ELb0ES6_jNS0_17counting_iteratorIjlEEPS9_SE_NS0_5tupleIJPjSE_EEENSF_IJSE_SE_EEES9_SG_JZNS1_25segmented_radix_sort_implINS0_14default_configELb0EPKsPsPKlPlN2at6native12_GLOBAL__N_18offset_tEEE10hipError_tPvRmT1_PNSt15iterator_traitsISY_E10value_typeET2_T3_PNSZ_IS14_E10value_typeET4_jRbjT5_S1A_jjP12ihipStream_tbEUljE_EEESV_SW_SX_S14_S18_S1A_T6_T7_T9_mT8_S1C_bDpT10_ENKUlT_T0_E_clISt17integral_constantIbLb0EES1O_IbLb1EEEEDaS1K_S1L_EUlS1K_E_NS1_11comp_targetILNS1_3genE2ELNS1_11target_archE906ELNS1_3gpuE6ELNS1_3repE0EEENS1_30default_config_static_selectorELNS0_4arch9wavefront6targetE0EEEvSY_
    .private_segment_fixed_size: 0
    .sgpr_count:     0
    .sgpr_spill_count: 0
    .symbol:         _ZN7rocprim17ROCPRIM_400000_NS6detail17trampoline_kernelINS0_13select_configILj256ELj13ELNS0_17block_load_methodE3ELS4_3ELS4_3ELNS0_20block_scan_algorithmE0ELj4294967295EEENS1_25partition_config_selectorILNS1_17partition_subalgoE3EjNS0_10empty_typeEbEEZZNS1_14partition_implILS8_3ELb0ES6_jNS0_17counting_iteratorIjlEEPS9_SE_NS0_5tupleIJPjSE_EEENSF_IJSE_SE_EEES9_SG_JZNS1_25segmented_radix_sort_implINS0_14default_configELb0EPKsPsPKlPlN2at6native12_GLOBAL__N_18offset_tEEE10hipError_tPvRmT1_PNSt15iterator_traitsISY_E10value_typeET2_T3_PNSZ_IS14_E10value_typeET4_jRbjT5_S1A_jjP12ihipStream_tbEUljE_EEESV_SW_SX_S14_S18_S1A_T6_T7_T9_mT8_S1C_bDpT10_ENKUlT_T0_E_clISt17integral_constantIbLb0EES1O_IbLb1EEEEDaS1K_S1L_EUlS1K_E_NS1_11comp_targetILNS1_3genE2ELNS1_11target_archE906ELNS1_3gpuE6ELNS1_3repE0EEENS1_30default_config_static_selectorELNS0_4arch9wavefront6targetE0EEEvSY_.kd
    .uniform_work_group_size: 1
    .uses_dynamic_stack: false
    .vgpr_count:     0
    .vgpr_spill_count: 0
    .wavefront_size: 32
  - .args:
      - .offset:         0
        .size:           152
        .value_kind:     by_value
    .group_segment_fixed_size: 0
    .kernarg_segment_align: 8
    .kernarg_segment_size: 152
    .language:       OpenCL C
    .language_version:
      - 2
      - 0
    .max_flat_workgroup_size: 256
    .name:           _ZN7rocprim17ROCPRIM_400000_NS6detail17trampoline_kernelINS0_13select_configILj256ELj13ELNS0_17block_load_methodE3ELS4_3ELS4_3ELNS0_20block_scan_algorithmE0ELj4294967295EEENS1_25partition_config_selectorILNS1_17partition_subalgoE3EjNS0_10empty_typeEbEEZZNS1_14partition_implILS8_3ELb0ES6_jNS0_17counting_iteratorIjlEEPS9_SE_NS0_5tupleIJPjSE_EEENSF_IJSE_SE_EEES9_SG_JZNS1_25segmented_radix_sort_implINS0_14default_configELb0EPKsPsPKlPlN2at6native12_GLOBAL__N_18offset_tEEE10hipError_tPvRmT1_PNSt15iterator_traitsISY_E10value_typeET2_T3_PNSZ_IS14_E10value_typeET4_jRbjT5_S1A_jjP12ihipStream_tbEUljE_EEESV_SW_SX_S14_S18_S1A_T6_T7_T9_mT8_S1C_bDpT10_ENKUlT_T0_E_clISt17integral_constantIbLb0EES1O_IbLb1EEEEDaS1K_S1L_EUlS1K_E_NS1_11comp_targetILNS1_3genE10ELNS1_11target_archE1200ELNS1_3gpuE4ELNS1_3repE0EEENS1_30default_config_static_selectorELNS0_4arch9wavefront6targetE0EEEvSY_
    .private_segment_fixed_size: 0
    .sgpr_count:     0
    .sgpr_spill_count: 0
    .symbol:         _ZN7rocprim17ROCPRIM_400000_NS6detail17trampoline_kernelINS0_13select_configILj256ELj13ELNS0_17block_load_methodE3ELS4_3ELS4_3ELNS0_20block_scan_algorithmE0ELj4294967295EEENS1_25partition_config_selectorILNS1_17partition_subalgoE3EjNS0_10empty_typeEbEEZZNS1_14partition_implILS8_3ELb0ES6_jNS0_17counting_iteratorIjlEEPS9_SE_NS0_5tupleIJPjSE_EEENSF_IJSE_SE_EEES9_SG_JZNS1_25segmented_radix_sort_implINS0_14default_configELb0EPKsPsPKlPlN2at6native12_GLOBAL__N_18offset_tEEE10hipError_tPvRmT1_PNSt15iterator_traitsISY_E10value_typeET2_T3_PNSZ_IS14_E10value_typeET4_jRbjT5_S1A_jjP12ihipStream_tbEUljE_EEESV_SW_SX_S14_S18_S1A_T6_T7_T9_mT8_S1C_bDpT10_ENKUlT_T0_E_clISt17integral_constantIbLb0EES1O_IbLb1EEEEDaS1K_S1L_EUlS1K_E_NS1_11comp_targetILNS1_3genE10ELNS1_11target_archE1200ELNS1_3gpuE4ELNS1_3repE0EEENS1_30default_config_static_selectorELNS0_4arch9wavefront6targetE0EEEvSY_.kd
    .uniform_work_group_size: 1
    .uses_dynamic_stack: false
    .vgpr_count:     0
    .vgpr_spill_count: 0
    .wavefront_size: 32
  - .args:
      - .offset:         0
        .size:           152
        .value_kind:     by_value
    .group_segment_fixed_size: 0
    .kernarg_segment_align: 8
    .kernarg_segment_size: 152
    .language:       OpenCL C
    .language_version:
      - 2
      - 0
    .max_flat_workgroup_size: 256
    .name:           _ZN7rocprim17ROCPRIM_400000_NS6detail17trampoline_kernelINS0_13select_configILj256ELj13ELNS0_17block_load_methodE3ELS4_3ELS4_3ELNS0_20block_scan_algorithmE0ELj4294967295EEENS1_25partition_config_selectorILNS1_17partition_subalgoE3EjNS0_10empty_typeEbEEZZNS1_14partition_implILS8_3ELb0ES6_jNS0_17counting_iteratorIjlEEPS9_SE_NS0_5tupleIJPjSE_EEENSF_IJSE_SE_EEES9_SG_JZNS1_25segmented_radix_sort_implINS0_14default_configELb0EPKsPsPKlPlN2at6native12_GLOBAL__N_18offset_tEEE10hipError_tPvRmT1_PNSt15iterator_traitsISY_E10value_typeET2_T3_PNSZ_IS14_E10value_typeET4_jRbjT5_S1A_jjP12ihipStream_tbEUljE_EEESV_SW_SX_S14_S18_S1A_T6_T7_T9_mT8_S1C_bDpT10_ENKUlT_T0_E_clISt17integral_constantIbLb0EES1O_IbLb1EEEEDaS1K_S1L_EUlS1K_E_NS1_11comp_targetILNS1_3genE9ELNS1_11target_archE1100ELNS1_3gpuE3ELNS1_3repE0EEENS1_30default_config_static_selectorELNS0_4arch9wavefront6targetE0EEEvSY_
    .private_segment_fixed_size: 0
    .sgpr_count:     0
    .sgpr_spill_count: 0
    .symbol:         _ZN7rocprim17ROCPRIM_400000_NS6detail17trampoline_kernelINS0_13select_configILj256ELj13ELNS0_17block_load_methodE3ELS4_3ELS4_3ELNS0_20block_scan_algorithmE0ELj4294967295EEENS1_25partition_config_selectorILNS1_17partition_subalgoE3EjNS0_10empty_typeEbEEZZNS1_14partition_implILS8_3ELb0ES6_jNS0_17counting_iteratorIjlEEPS9_SE_NS0_5tupleIJPjSE_EEENSF_IJSE_SE_EEES9_SG_JZNS1_25segmented_radix_sort_implINS0_14default_configELb0EPKsPsPKlPlN2at6native12_GLOBAL__N_18offset_tEEE10hipError_tPvRmT1_PNSt15iterator_traitsISY_E10value_typeET2_T3_PNSZ_IS14_E10value_typeET4_jRbjT5_S1A_jjP12ihipStream_tbEUljE_EEESV_SW_SX_S14_S18_S1A_T6_T7_T9_mT8_S1C_bDpT10_ENKUlT_T0_E_clISt17integral_constantIbLb0EES1O_IbLb1EEEEDaS1K_S1L_EUlS1K_E_NS1_11comp_targetILNS1_3genE9ELNS1_11target_archE1100ELNS1_3gpuE3ELNS1_3repE0EEENS1_30default_config_static_selectorELNS0_4arch9wavefront6targetE0EEEvSY_.kd
    .uniform_work_group_size: 1
    .uses_dynamic_stack: false
    .vgpr_count:     0
    .vgpr_spill_count: 0
    .wavefront_size: 32
  - .args:
      - .offset:         0
        .size:           152
        .value_kind:     by_value
    .group_segment_fixed_size: 0
    .kernarg_segment_align: 8
    .kernarg_segment_size: 152
    .language:       OpenCL C
    .language_version:
      - 2
      - 0
    .max_flat_workgroup_size: 256
    .name:           _ZN7rocprim17ROCPRIM_400000_NS6detail17trampoline_kernelINS0_13select_configILj256ELj13ELNS0_17block_load_methodE3ELS4_3ELS4_3ELNS0_20block_scan_algorithmE0ELj4294967295EEENS1_25partition_config_selectorILNS1_17partition_subalgoE3EjNS0_10empty_typeEbEEZZNS1_14partition_implILS8_3ELb0ES6_jNS0_17counting_iteratorIjlEEPS9_SE_NS0_5tupleIJPjSE_EEENSF_IJSE_SE_EEES9_SG_JZNS1_25segmented_radix_sort_implINS0_14default_configELb0EPKsPsPKlPlN2at6native12_GLOBAL__N_18offset_tEEE10hipError_tPvRmT1_PNSt15iterator_traitsISY_E10value_typeET2_T3_PNSZ_IS14_E10value_typeET4_jRbjT5_S1A_jjP12ihipStream_tbEUljE_EEESV_SW_SX_S14_S18_S1A_T6_T7_T9_mT8_S1C_bDpT10_ENKUlT_T0_E_clISt17integral_constantIbLb0EES1O_IbLb1EEEEDaS1K_S1L_EUlS1K_E_NS1_11comp_targetILNS1_3genE8ELNS1_11target_archE1030ELNS1_3gpuE2ELNS1_3repE0EEENS1_30default_config_static_selectorELNS0_4arch9wavefront6targetE0EEEvSY_
    .private_segment_fixed_size: 0
    .sgpr_count:     0
    .sgpr_spill_count: 0
    .symbol:         _ZN7rocprim17ROCPRIM_400000_NS6detail17trampoline_kernelINS0_13select_configILj256ELj13ELNS0_17block_load_methodE3ELS4_3ELS4_3ELNS0_20block_scan_algorithmE0ELj4294967295EEENS1_25partition_config_selectorILNS1_17partition_subalgoE3EjNS0_10empty_typeEbEEZZNS1_14partition_implILS8_3ELb0ES6_jNS0_17counting_iteratorIjlEEPS9_SE_NS0_5tupleIJPjSE_EEENSF_IJSE_SE_EEES9_SG_JZNS1_25segmented_radix_sort_implINS0_14default_configELb0EPKsPsPKlPlN2at6native12_GLOBAL__N_18offset_tEEE10hipError_tPvRmT1_PNSt15iterator_traitsISY_E10value_typeET2_T3_PNSZ_IS14_E10value_typeET4_jRbjT5_S1A_jjP12ihipStream_tbEUljE_EEESV_SW_SX_S14_S18_S1A_T6_T7_T9_mT8_S1C_bDpT10_ENKUlT_T0_E_clISt17integral_constantIbLb0EES1O_IbLb1EEEEDaS1K_S1L_EUlS1K_E_NS1_11comp_targetILNS1_3genE8ELNS1_11target_archE1030ELNS1_3gpuE2ELNS1_3repE0EEENS1_30default_config_static_selectorELNS0_4arch9wavefront6targetE0EEEvSY_.kd
    .uniform_work_group_size: 1
    .uses_dynamic_stack: false
    .vgpr_count:     0
    .vgpr_spill_count: 0
    .wavefront_size: 32
  - .args:
      - .offset:         0
        .size:           96
        .value_kind:     by_value
      - .offset:         96
        .size:           4
        .value_kind:     hidden_block_count_x
      - .offset:         100
        .size:           4
        .value_kind:     hidden_block_count_y
      - .offset:         104
        .size:           4
        .value_kind:     hidden_block_count_z
      - .offset:         108
        .size:           2
        .value_kind:     hidden_group_size_x
      - .offset:         110
        .size:           2
        .value_kind:     hidden_group_size_y
      - .offset:         112
        .size:           2
        .value_kind:     hidden_group_size_z
      - .offset:         114
        .size:           2
        .value_kind:     hidden_remainder_x
      - .offset:         116
        .size:           2
        .value_kind:     hidden_remainder_y
      - .offset:         118
        .size:           2
        .value_kind:     hidden_remainder_z
      - .offset:         136
        .size:           8
        .value_kind:     hidden_global_offset_x
      - .offset:         144
        .size:           8
        .value_kind:     hidden_global_offset_y
      - .offset:         152
        .size:           8
        .value_kind:     hidden_global_offset_z
      - .offset:         160
        .size:           2
        .value_kind:     hidden_grid_dims
      - .offset:         176
        .size:           8
        .value_kind:     hidden_hostcall_buffer
      - .offset:         184
        .size:           8
        .value_kind:     hidden_multigrid_sync_arg
      - .offset:         192
        .size:           8
        .value_kind:     hidden_heap_v1
      - .offset:         200
        .size:           8
        .value_kind:     hidden_default_queue
      - .offset:         208
        .size:           8
        .value_kind:     hidden_completion_action
      - .offset:         296
        .size:           8
        .value_kind:     hidden_queue_ptr
    .group_segment_fixed_size: 35344
    .kernarg_segment_align: 8
    .kernarg_segment_size: 352
    .language:       OpenCL C
    .language_version:
      - 2
      - 0
    .max_flat_workgroup_size: 256
    .name:           _ZN7rocprim17ROCPRIM_400000_NS6detail17trampoline_kernelINS0_14default_configENS1_36segmented_radix_sort_config_selectorIslEEZNS1_25segmented_radix_sort_implIS3_Lb0EPKsPsPKlPlN2at6native12_GLOBAL__N_18offset_tEEE10hipError_tPvRmT1_PNSt15iterator_traitsISK_E10value_typeET2_T3_PNSL_ISQ_E10value_typeET4_jRbjT5_SW_jjP12ihipStream_tbEUlT_E_NS1_11comp_targetILNS1_3genE0ELNS1_11target_archE4294967295ELNS1_3gpuE0ELNS1_3repE0EEENS1_30default_config_static_selectorELNS0_4arch9wavefront6targetE0EEEvSK_
    .private_segment_fixed_size: 0
    .sgpr_count:     63
    .sgpr_spill_count: 0
    .symbol:         _ZN7rocprim17ROCPRIM_400000_NS6detail17trampoline_kernelINS0_14default_configENS1_36segmented_radix_sort_config_selectorIslEEZNS1_25segmented_radix_sort_implIS3_Lb0EPKsPsPKlPlN2at6native12_GLOBAL__N_18offset_tEEE10hipError_tPvRmT1_PNSt15iterator_traitsISK_E10value_typeET2_T3_PNSL_ISQ_E10value_typeET4_jRbjT5_SW_jjP12ihipStream_tbEUlT_E_NS1_11comp_targetILNS1_3genE0ELNS1_11target_archE4294967295ELNS1_3gpuE0ELNS1_3repE0EEENS1_30default_config_static_selectorELNS0_4arch9wavefront6targetE0EEEvSK_.kd
    .uniform_work_group_size: 1
    .uses_dynamic_stack: false
    .vgpr_count:     304
    .vgpr_spill_count: 0
    .wavefront_size: 32
  - .args:
      - .offset:         0
        .size:           96
        .value_kind:     by_value
    .group_segment_fixed_size: 0
    .kernarg_segment_align: 8
    .kernarg_segment_size: 96
    .language:       OpenCL C
    .language_version:
      - 2
      - 0
    .max_flat_workgroup_size: 256
    .name:           _ZN7rocprim17ROCPRIM_400000_NS6detail17trampoline_kernelINS0_14default_configENS1_36segmented_radix_sort_config_selectorIslEEZNS1_25segmented_radix_sort_implIS3_Lb0EPKsPsPKlPlN2at6native12_GLOBAL__N_18offset_tEEE10hipError_tPvRmT1_PNSt15iterator_traitsISK_E10value_typeET2_T3_PNSL_ISQ_E10value_typeET4_jRbjT5_SW_jjP12ihipStream_tbEUlT_E_NS1_11comp_targetILNS1_3genE5ELNS1_11target_archE942ELNS1_3gpuE9ELNS1_3repE0EEENS1_30default_config_static_selectorELNS0_4arch9wavefront6targetE0EEEvSK_
    .private_segment_fixed_size: 0
    .sgpr_count:     0
    .sgpr_spill_count: 0
    .symbol:         _ZN7rocprim17ROCPRIM_400000_NS6detail17trampoline_kernelINS0_14default_configENS1_36segmented_radix_sort_config_selectorIslEEZNS1_25segmented_radix_sort_implIS3_Lb0EPKsPsPKlPlN2at6native12_GLOBAL__N_18offset_tEEE10hipError_tPvRmT1_PNSt15iterator_traitsISK_E10value_typeET2_T3_PNSL_ISQ_E10value_typeET4_jRbjT5_SW_jjP12ihipStream_tbEUlT_E_NS1_11comp_targetILNS1_3genE5ELNS1_11target_archE942ELNS1_3gpuE9ELNS1_3repE0EEENS1_30default_config_static_selectorELNS0_4arch9wavefront6targetE0EEEvSK_.kd
    .uniform_work_group_size: 1
    .uses_dynamic_stack: false
    .vgpr_count:     0
    .vgpr_spill_count: 0
    .wavefront_size: 32
  - .args:
      - .offset:         0
        .size:           96
        .value_kind:     by_value
    .group_segment_fixed_size: 0
    .kernarg_segment_align: 8
    .kernarg_segment_size: 96
    .language:       OpenCL C
    .language_version:
      - 2
      - 0
    .max_flat_workgroup_size: 256
    .name:           _ZN7rocprim17ROCPRIM_400000_NS6detail17trampoline_kernelINS0_14default_configENS1_36segmented_radix_sort_config_selectorIslEEZNS1_25segmented_radix_sort_implIS3_Lb0EPKsPsPKlPlN2at6native12_GLOBAL__N_18offset_tEEE10hipError_tPvRmT1_PNSt15iterator_traitsISK_E10value_typeET2_T3_PNSL_ISQ_E10value_typeET4_jRbjT5_SW_jjP12ihipStream_tbEUlT_E_NS1_11comp_targetILNS1_3genE4ELNS1_11target_archE910ELNS1_3gpuE8ELNS1_3repE0EEENS1_30default_config_static_selectorELNS0_4arch9wavefront6targetE0EEEvSK_
    .private_segment_fixed_size: 0
    .sgpr_count:     0
    .sgpr_spill_count: 0
    .symbol:         _ZN7rocprim17ROCPRIM_400000_NS6detail17trampoline_kernelINS0_14default_configENS1_36segmented_radix_sort_config_selectorIslEEZNS1_25segmented_radix_sort_implIS3_Lb0EPKsPsPKlPlN2at6native12_GLOBAL__N_18offset_tEEE10hipError_tPvRmT1_PNSt15iterator_traitsISK_E10value_typeET2_T3_PNSL_ISQ_E10value_typeET4_jRbjT5_SW_jjP12ihipStream_tbEUlT_E_NS1_11comp_targetILNS1_3genE4ELNS1_11target_archE910ELNS1_3gpuE8ELNS1_3repE0EEENS1_30default_config_static_selectorELNS0_4arch9wavefront6targetE0EEEvSK_.kd
    .uniform_work_group_size: 1
    .uses_dynamic_stack: false
    .vgpr_count:     0
    .vgpr_spill_count: 0
    .wavefront_size: 32
  - .args:
      - .offset:         0
        .size:           96
        .value_kind:     by_value
    .group_segment_fixed_size: 0
    .kernarg_segment_align: 8
    .kernarg_segment_size: 96
    .language:       OpenCL C
    .language_version:
      - 2
      - 0
    .max_flat_workgroup_size: 256
    .name:           _ZN7rocprim17ROCPRIM_400000_NS6detail17trampoline_kernelINS0_14default_configENS1_36segmented_radix_sort_config_selectorIslEEZNS1_25segmented_radix_sort_implIS3_Lb0EPKsPsPKlPlN2at6native12_GLOBAL__N_18offset_tEEE10hipError_tPvRmT1_PNSt15iterator_traitsISK_E10value_typeET2_T3_PNSL_ISQ_E10value_typeET4_jRbjT5_SW_jjP12ihipStream_tbEUlT_E_NS1_11comp_targetILNS1_3genE3ELNS1_11target_archE908ELNS1_3gpuE7ELNS1_3repE0EEENS1_30default_config_static_selectorELNS0_4arch9wavefront6targetE0EEEvSK_
    .private_segment_fixed_size: 0
    .sgpr_count:     0
    .sgpr_spill_count: 0
    .symbol:         _ZN7rocprim17ROCPRIM_400000_NS6detail17trampoline_kernelINS0_14default_configENS1_36segmented_radix_sort_config_selectorIslEEZNS1_25segmented_radix_sort_implIS3_Lb0EPKsPsPKlPlN2at6native12_GLOBAL__N_18offset_tEEE10hipError_tPvRmT1_PNSt15iterator_traitsISK_E10value_typeET2_T3_PNSL_ISQ_E10value_typeET4_jRbjT5_SW_jjP12ihipStream_tbEUlT_E_NS1_11comp_targetILNS1_3genE3ELNS1_11target_archE908ELNS1_3gpuE7ELNS1_3repE0EEENS1_30default_config_static_selectorELNS0_4arch9wavefront6targetE0EEEvSK_.kd
    .uniform_work_group_size: 1
    .uses_dynamic_stack: false
    .vgpr_count:     0
    .vgpr_spill_count: 0
    .wavefront_size: 32
  - .args:
      - .offset:         0
        .size:           96
        .value_kind:     by_value
    .group_segment_fixed_size: 0
    .kernarg_segment_align: 8
    .kernarg_segment_size: 96
    .language:       OpenCL C
    .language_version:
      - 2
      - 0
    .max_flat_workgroup_size: 256
    .name:           _ZN7rocprim17ROCPRIM_400000_NS6detail17trampoline_kernelINS0_14default_configENS1_36segmented_radix_sort_config_selectorIslEEZNS1_25segmented_radix_sort_implIS3_Lb0EPKsPsPKlPlN2at6native12_GLOBAL__N_18offset_tEEE10hipError_tPvRmT1_PNSt15iterator_traitsISK_E10value_typeET2_T3_PNSL_ISQ_E10value_typeET4_jRbjT5_SW_jjP12ihipStream_tbEUlT_E_NS1_11comp_targetILNS1_3genE2ELNS1_11target_archE906ELNS1_3gpuE6ELNS1_3repE0EEENS1_30default_config_static_selectorELNS0_4arch9wavefront6targetE0EEEvSK_
    .private_segment_fixed_size: 0
    .sgpr_count:     0
    .sgpr_spill_count: 0
    .symbol:         _ZN7rocprim17ROCPRIM_400000_NS6detail17trampoline_kernelINS0_14default_configENS1_36segmented_radix_sort_config_selectorIslEEZNS1_25segmented_radix_sort_implIS3_Lb0EPKsPsPKlPlN2at6native12_GLOBAL__N_18offset_tEEE10hipError_tPvRmT1_PNSt15iterator_traitsISK_E10value_typeET2_T3_PNSL_ISQ_E10value_typeET4_jRbjT5_SW_jjP12ihipStream_tbEUlT_E_NS1_11comp_targetILNS1_3genE2ELNS1_11target_archE906ELNS1_3gpuE6ELNS1_3repE0EEENS1_30default_config_static_selectorELNS0_4arch9wavefront6targetE0EEEvSK_.kd
    .uniform_work_group_size: 1
    .uses_dynamic_stack: false
    .vgpr_count:     0
    .vgpr_spill_count: 0
    .wavefront_size: 32
  - .args:
      - .offset:         0
        .size:           96
        .value_kind:     by_value
    .group_segment_fixed_size: 0
    .kernarg_segment_align: 8
    .kernarg_segment_size: 96
    .language:       OpenCL C
    .language_version:
      - 2
      - 0
    .max_flat_workgroup_size: 256
    .name:           _ZN7rocprim17ROCPRIM_400000_NS6detail17trampoline_kernelINS0_14default_configENS1_36segmented_radix_sort_config_selectorIslEEZNS1_25segmented_radix_sort_implIS3_Lb0EPKsPsPKlPlN2at6native12_GLOBAL__N_18offset_tEEE10hipError_tPvRmT1_PNSt15iterator_traitsISK_E10value_typeET2_T3_PNSL_ISQ_E10value_typeET4_jRbjT5_SW_jjP12ihipStream_tbEUlT_E_NS1_11comp_targetILNS1_3genE10ELNS1_11target_archE1201ELNS1_3gpuE5ELNS1_3repE0EEENS1_30default_config_static_selectorELNS0_4arch9wavefront6targetE0EEEvSK_
    .private_segment_fixed_size: 0
    .sgpr_count:     0
    .sgpr_spill_count: 0
    .symbol:         _ZN7rocprim17ROCPRIM_400000_NS6detail17trampoline_kernelINS0_14default_configENS1_36segmented_radix_sort_config_selectorIslEEZNS1_25segmented_radix_sort_implIS3_Lb0EPKsPsPKlPlN2at6native12_GLOBAL__N_18offset_tEEE10hipError_tPvRmT1_PNSt15iterator_traitsISK_E10value_typeET2_T3_PNSL_ISQ_E10value_typeET4_jRbjT5_SW_jjP12ihipStream_tbEUlT_E_NS1_11comp_targetILNS1_3genE10ELNS1_11target_archE1201ELNS1_3gpuE5ELNS1_3repE0EEENS1_30default_config_static_selectorELNS0_4arch9wavefront6targetE0EEEvSK_.kd
    .uniform_work_group_size: 1
    .uses_dynamic_stack: false
    .vgpr_count:     0
    .vgpr_spill_count: 0
    .wavefront_size: 32
  - .args:
      - .offset:         0
        .size:           96
        .value_kind:     by_value
    .group_segment_fixed_size: 0
    .kernarg_segment_align: 8
    .kernarg_segment_size: 96
    .language:       OpenCL C
    .language_version:
      - 2
      - 0
    .max_flat_workgroup_size: 128
    .name:           _ZN7rocprim17ROCPRIM_400000_NS6detail17trampoline_kernelINS0_14default_configENS1_36segmented_radix_sort_config_selectorIslEEZNS1_25segmented_radix_sort_implIS3_Lb0EPKsPsPKlPlN2at6native12_GLOBAL__N_18offset_tEEE10hipError_tPvRmT1_PNSt15iterator_traitsISK_E10value_typeET2_T3_PNSL_ISQ_E10value_typeET4_jRbjT5_SW_jjP12ihipStream_tbEUlT_E_NS1_11comp_targetILNS1_3genE10ELNS1_11target_archE1200ELNS1_3gpuE4ELNS1_3repE0EEENS1_30default_config_static_selectorELNS0_4arch9wavefront6targetE0EEEvSK_
    .private_segment_fixed_size: 0
    .sgpr_count:     0
    .sgpr_spill_count: 0
    .symbol:         _ZN7rocprim17ROCPRIM_400000_NS6detail17trampoline_kernelINS0_14default_configENS1_36segmented_radix_sort_config_selectorIslEEZNS1_25segmented_radix_sort_implIS3_Lb0EPKsPsPKlPlN2at6native12_GLOBAL__N_18offset_tEEE10hipError_tPvRmT1_PNSt15iterator_traitsISK_E10value_typeET2_T3_PNSL_ISQ_E10value_typeET4_jRbjT5_SW_jjP12ihipStream_tbEUlT_E_NS1_11comp_targetILNS1_3genE10ELNS1_11target_archE1200ELNS1_3gpuE4ELNS1_3repE0EEENS1_30default_config_static_selectorELNS0_4arch9wavefront6targetE0EEEvSK_.kd
    .uniform_work_group_size: 1
    .uses_dynamic_stack: false
    .vgpr_count:     0
    .vgpr_spill_count: 0
    .wavefront_size: 32
  - .args:
      - .offset:         0
        .size:           96
        .value_kind:     by_value
    .group_segment_fixed_size: 0
    .kernarg_segment_align: 8
    .kernarg_segment_size: 96
    .language:       OpenCL C
    .language_version:
      - 2
      - 0
    .max_flat_workgroup_size: 256
    .name:           _ZN7rocprim17ROCPRIM_400000_NS6detail17trampoline_kernelINS0_14default_configENS1_36segmented_radix_sort_config_selectorIslEEZNS1_25segmented_radix_sort_implIS3_Lb0EPKsPsPKlPlN2at6native12_GLOBAL__N_18offset_tEEE10hipError_tPvRmT1_PNSt15iterator_traitsISK_E10value_typeET2_T3_PNSL_ISQ_E10value_typeET4_jRbjT5_SW_jjP12ihipStream_tbEUlT_E_NS1_11comp_targetILNS1_3genE9ELNS1_11target_archE1100ELNS1_3gpuE3ELNS1_3repE0EEENS1_30default_config_static_selectorELNS0_4arch9wavefront6targetE0EEEvSK_
    .private_segment_fixed_size: 0
    .sgpr_count:     0
    .sgpr_spill_count: 0
    .symbol:         _ZN7rocprim17ROCPRIM_400000_NS6detail17trampoline_kernelINS0_14default_configENS1_36segmented_radix_sort_config_selectorIslEEZNS1_25segmented_radix_sort_implIS3_Lb0EPKsPsPKlPlN2at6native12_GLOBAL__N_18offset_tEEE10hipError_tPvRmT1_PNSt15iterator_traitsISK_E10value_typeET2_T3_PNSL_ISQ_E10value_typeET4_jRbjT5_SW_jjP12ihipStream_tbEUlT_E_NS1_11comp_targetILNS1_3genE9ELNS1_11target_archE1100ELNS1_3gpuE3ELNS1_3repE0EEENS1_30default_config_static_selectorELNS0_4arch9wavefront6targetE0EEEvSK_.kd
    .uniform_work_group_size: 1
    .uses_dynamic_stack: false
    .vgpr_count:     0
    .vgpr_spill_count: 0
    .wavefront_size: 32
  - .args:
      - .offset:         0
        .size:           96
        .value_kind:     by_value
    .group_segment_fixed_size: 0
    .kernarg_segment_align: 8
    .kernarg_segment_size: 96
    .language:       OpenCL C
    .language_version:
      - 2
      - 0
    .max_flat_workgroup_size: 256
    .name:           _ZN7rocprim17ROCPRIM_400000_NS6detail17trampoline_kernelINS0_14default_configENS1_36segmented_radix_sort_config_selectorIslEEZNS1_25segmented_radix_sort_implIS3_Lb0EPKsPsPKlPlN2at6native12_GLOBAL__N_18offset_tEEE10hipError_tPvRmT1_PNSt15iterator_traitsISK_E10value_typeET2_T3_PNSL_ISQ_E10value_typeET4_jRbjT5_SW_jjP12ihipStream_tbEUlT_E_NS1_11comp_targetILNS1_3genE8ELNS1_11target_archE1030ELNS1_3gpuE2ELNS1_3repE0EEENS1_30default_config_static_selectorELNS0_4arch9wavefront6targetE0EEEvSK_
    .private_segment_fixed_size: 0
    .sgpr_count:     0
    .sgpr_spill_count: 0
    .symbol:         _ZN7rocprim17ROCPRIM_400000_NS6detail17trampoline_kernelINS0_14default_configENS1_36segmented_radix_sort_config_selectorIslEEZNS1_25segmented_radix_sort_implIS3_Lb0EPKsPsPKlPlN2at6native12_GLOBAL__N_18offset_tEEE10hipError_tPvRmT1_PNSt15iterator_traitsISK_E10value_typeET2_T3_PNSL_ISQ_E10value_typeET4_jRbjT5_SW_jjP12ihipStream_tbEUlT_E_NS1_11comp_targetILNS1_3genE8ELNS1_11target_archE1030ELNS1_3gpuE2ELNS1_3repE0EEENS1_30default_config_static_selectorELNS0_4arch9wavefront6targetE0EEEvSK_.kd
    .uniform_work_group_size: 1
    .uses_dynamic_stack: false
    .vgpr_count:     0
    .vgpr_spill_count: 0
    .wavefront_size: 32
  - .args:
      - .offset:         0
        .size:           88
        .value_kind:     by_value
      - .offset:         88
        .size:           4
        .value_kind:     hidden_block_count_x
      - .offset:         92
        .size:           4
        .value_kind:     hidden_block_count_y
      - .offset:         96
        .size:           4
        .value_kind:     hidden_block_count_z
      - .offset:         100
        .size:           2
        .value_kind:     hidden_group_size_x
      - .offset:         102
        .size:           2
        .value_kind:     hidden_group_size_y
      - .offset:         104
        .size:           2
        .value_kind:     hidden_group_size_z
      - .offset:         106
        .size:           2
        .value_kind:     hidden_remainder_x
      - .offset:         108
        .size:           2
        .value_kind:     hidden_remainder_y
      - .offset:         110
        .size:           2
        .value_kind:     hidden_remainder_z
      - .offset:         128
        .size:           8
        .value_kind:     hidden_global_offset_x
      - .offset:         136
        .size:           8
        .value_kind:     hidden_global_offset_y
      - .offset:         144
        .size:           8
        .value_kind:     hidden_global_offset_z
      - .offset:         152
        .size:           2
        .value_kind:     hidden_grid_dims
      - .offset:         168
        .size:           8
        .value_kind:     hidden_hostcall_buffer
      - .offset:         176
        .size:           8
        .value_kind:     hidden_multigrid_sync_arg
      - .offset:         184
        .size:           8
        .value_kind:     hidden_heap_v1
      - .offset:         192
        .size:           8
        .value_kind:     hidden_default_queue
      - .offset:         200
        .size:           8
        .value_kind:     hidden_completion_action
      - .offset:         288
        .size:           8
        .value_kind:     hidden_queue_ptr
    .group_segment_fixed_size: 10240
    .kernarg_segment_align: 8
    .kernarg_segment_size: 344
    .language:       OpenCL C
    .language_version:
      - 2
      - 0
    .max_flat_workgroup_size: 256
    .name:           _ZN7rocprim17ROCPRIM_400000_NS6detail17trampoline_kernelINS0_14default_configENS1_36segmented_radix_sort_config_selectorIslEEZNS1_25segmented_radix_sort_implIS3_Lb0EPKsPsPKlPlN2at6native12_GLOBAL__N_18offset_tEEE10hipError_tPvRmT1_PNSt15iterator_traitsISK_E10value_typeET2_T3_PNSL_ISQ_E10value_typeET4_jRbjT5_SW_jjP12ihipStream_tbEUlT_E0_NS1_11comp_targetILNS1_3genE0ELNS1_11target_archE4294967295ELNS1_3gpuE0ELNS1_3repE0EEENS1_60segmented_radix_sort_warp_sort_medium_config_static_selectorELNS0_4arch9wavefront6targetE0EEEvSK_
    .private_segment_fixed_size: 0
    .sgpr_count:     42
    .sgpr_spill_count: 0
    .symbol:         _ZN7rocprim17ROCPRIM_400000_NS6detail17trampoline_kernelINS0_14default_configENS1_36segmented_radix_sort_config_selectorIslEEZNS1_25segmented_radix_sort_implIS3_Lb0EPKsPsPKlPlN2at6native12_GLOBAL__N_18offset_tEEE10hipError_tPvRmT1_PNSt15iterator_traitsISK_E10value_typeET2_T3_PNSL_ISQ_E10value_typeET4_jRbjT5_SW_jjP12ihipStream_tbEUlT_E0_NS1_11comp_targetILNS1_3genE0ELNS1_11target_archE4294967295ELNS1_3gpuE0ELNS1_3repE0EEENS1_60segmented_radix_sort_warp_sort_medium_config_static_selectorELNS0_4arch9wavefront6targetE0EEEvSK_.kd
    .uniform_work_group_size: 1
    .uses_dynamic_stack: false
    .vgpr_count:     53
    .vgpr_spill_count: 0
    .wavefront_size: 32
  - .args:
      - .offset:         0
        .size:           88
        .value_kind:     by_value
    .group_segment_fixed_size: 0
    .kernarg_segment_align: 8
    .kernarg_segment_size: 88
    .language:       OpenCL C
    .language_version:
      - 2
      - 0
    .max_flat_workgroup_size: 256
    .name:           _ZN7rocprim17ROCPRIM_400000_NS6detail17trampoline_kernelINS0_14default_configENS1_36segmented_radix_sort_config_selectorIslEEZNS1_25segmented_radix_sort_implIS3_Lb0EPKsPsPKlPlN2at6native12_GLOBAL__N_18offset_tEEE10hipError_tPvRmT1_PNSt15iterator_traitsISK_E10value_typeET2_T3_PNSL_ISQ_E10value_typeET4_jRbjT5_SW_jjP12ihipStream_tbEUlT_E0_NS1_11comp_targetILNS1_3genE5ELNS1_11target_archE942ELNS1_3gpuE9ELNS1_3repE0EEENS1_60segmented_radix_sort_warp_sort_medium_config_static_selectorELNS0_4arch9wavefront6targetE0EEEvSK_
    .private_segment_fixed_size: 0
    .sgpr_count:     0
    .sgpr_spill_count: 0
    .symbol:         _ZN7rocprim17ROCPRIM_400000_NS6detail17trampoline_kernelINS0_14default_configENS1_36segmented_radix_sort_config_selectorIslEEZNS1_25segmented_radix_sort_implIS3_Lb0EPKsPsPKlPlN2at6native12_GLOBAL__N_18offset_tEEE10hipError_tPvRmT1_PNSt15iterator_traitsISK_E10value_typeET2_T3_PNSL_ISQ_E10value_typeET4_jRbjT5_SW_jjP12ihipStream_tbEUlT_E0_NS1_11comp_targetILNS1_3genE5ELNS1_11target_archE942ELNS1_3gpuE9ELNS1_3repE0EEENS1_60segmented_radix_sort_warp_sort_medium_config_static_selectorELNS0_4arch9wavefront6targetE0EEEvSK_.kd
    .uniform_work_group_size: 1
    .uses_dynamic_stack: false
    .vgpr_count:     0
    .vgpr_spill_count: 0
    .wavefront_size: 32
  - .args:
      - .offset:         0
        .size:           88
        .value_kind:     by_value
    .group_segment_fixed_size: 0
    .kernarg_segment_align: 8
    .kernarg_segment_size: 88
    .language:       OpenCL C
    .language_version:
      - 2
      - 0
    .max_flat_workgroup_size: 256
    .name:           _ZN7rocprim17ROCPRIM_400000_NS6detail17trampoline_kernelINS0_14default_configENS1_36segmented_radix_sort_config_selectorIslEEZNS1_25segmented_radix_sort_implIS3_Lb0EPKsPsPKlPlN2at6native12_GLOBAL__N_18offset_tEEE10hipError_tPvRmT1_PNSt15iterator_traitsISK_E10value_typeET2_T3_PNSL_ISQ_E10value_typeET4_jRbjT5_SW_jjP12ihipStream_tbEUlT_E0_NS1_11comp_targetILNS1_3genE4ELNS1_11target_archE910ELNS1_3gpuE8ELNS1_3repE0EEENS1_60segmented_radix_sort_warp_sort_medium_config_static_selectorELNS0_4arch9wavefront6targetE0EEEvSK_
    .private_segment_fixed_size: 0
    .sgpr_count:     0
    .sgpr_spill_count: 0
    .symbol:         _ZN7rocprim17ROCPRIM_400000_NS6detail17trampoline_kernelINS0_14default_configENS1_36segmented_radix_sort_config_selectorIslEEZNS1_25segmented_radix_sort_implIS3_Lb0EPKsPsPKlPlN2at6native12_GLOBAL__N_18offset_tEEE10hipError_tPvRmT1_PNSt15iterator_traitsISK_E10value_typeET2_T3_PNSL_ISQ_E10value_typeET4_jRbjT5_SW_jjP12ihipStream_tbEUlT_E0_NS1_11comp_targetILNS1_3genE4ELNS1_11target_archE910ELNS1_3gpuE8ELNS1_3repE0EEENS1_60segmented_radix_sort_warp_sort_medium_config_static_selectorELNS0_4arch9wavefront6targetE0EEEvSK_.kd
    .uniform_work_group_size: 1
    .uses_dynamic_stack: false
    .vgpr_count:     0
    .vgpr_spill_count: 0
    .wavefront_size: 32
  - .args:
      - .offset:         0
        .size:           88
        .value_kind:     by_value
    .group_segment_fixed_size: 0
    .kernarg_segment_align: 8
    .kernarg_segment_size: 88
    .language:       OpenCL C
    .language_version:
      - 2
      - 0
    .max_flat_workgroup_size: 256
    .name:           _ZN7rocprim17ROCPRIM_400000_NS6detail17trampoline_kernelINS0_14default_configENS1_36segmented_radix_sort_config_selectorIslEEZNS1_25segmented_radix_sort_implIS3_Lb0EPKsPsPKlPlN2at6native12_GLOBAL__N_18offset_tEEE10hipError_tPvRmT1_PNSt15iterator_traitsISK_E10value_typeET2_T3_PNSL_ISQ_E10value_typeET4_jRbjT5_SW_jjP12ihipStream_tbEUlT_E0_NS1_11comp_targetILNS1_3genE3ELNS1_11target_archE908ELNS1_3gpuE7ELNS1_3repE0EEENS1_60segmented_radix_sort_warp_sort_medium_config_static_selectorELNS0_4arch9wavefront6targetE0EEEvSK_
    .private_segment_fixed_size: 0
    .sgpr_count:     0
    .sgpr_spill_count: 0
    .symbol:         _ZN7rocprim17ROCPRIM_400000_NS6detail17trampoline_kernelINS0_14default_configENS1_36segmented_radix_sort_config_selectorIslEEZNS1_25segmented_radix_sort_implIS3_Lb0EPKsPsPKlPlN2at6native12_GLOBAL__N_18offset_tEEE10hipError_tPvRmT1_PNSt15iterator_traitsISK_E10value_typeET2_T3_PNSL_ISQ_E10value_typeET4_jRbjT5_SW_jjP12ihipStream_tbEUlT_E0_NS1_11comp_targetILNS1_3genE3ELNS1_11target_archE908ELNS1_3gpuE7ELNS1_3repE0EEENS1_60segmented_radix_sort_warp_sort_medium_config_static_selectorELNS0_4arch9wavefront6targetE0EEEvSK_.kd
    .uniform_work_group_size: 1
    .uses_dynamic_stack: false
    .vgpr_count:     0
    .vgpr_spill_count: 0
    .wavefront_size: 32
  - .args:
      - .offset:         0
        .size:           88
        .value_kind:     by_value
    .group_segment_fixed_size: 0
    .kernarg_segment_align: 8
    .kernarg_segment_size: 88
    .language:       OpenCL C
    .language_version:
      - 2
      - 0
    .max_flat_workgroup_size: 256
    .name:           _ZN7rocprim17ROCPRIM_400000_NS6detail17trampoline_kernelINS0_14default_configENS1_36segmented_radix_sort_config_selectorIslEEZNS1_25segmented_radix_sort_implIS3_Lb0EPKsPsPKlPlN2at6native12_GLOBAL__N_18offset_tEEE10hipError_tPvRmT1_PNSt15iterator_traitsISK_E10value_typeET2_T3_PNSL_ISQ_E10value_typeET4_jRbjT5_SW_jjP12ihipStream_tbEUlT_E0_NS1_11comp_targetILNS1_3genE2ELNS1_11target_archE906ELNS1_3gpuE6ELNS1_3repE0EEENS1_60segmented_radix_sort_warp_sort_medium_config_static_selectorELNS0_4arch9wavefront6targetE0EEEvSK_
    .private_segment_fixed_size: 0
    .sgpr_count:     0
    .sgpr_spill_count: 0
    .symbol:         _ZN7rocprim17ROCPRIM_400000_NS6detail17trampoline_kernelINS0_14default_configENS1_36segmented_radix_sort_config_selectorIslEEZNS1_25segmented_radix_sort_implIS3_Lb0EPKsPsPKlPlN2at6native12_GLOBAL__N_18offset_tEEE10hipError_tPvRmT1_PNSt15iterator_traitsISK_E10value_typeET2_T3_PNSL_ISQ_E10value_typeET4_jRbjT5_SW_jjP12ihipStream_tbEUlT_E0_NS1_11comp_targetILNS1_3genE2ELNS1_11target_archE906ELNS1_3gpuE6ELNS1_3repE0EEENS1_60segmented_radix_sort_warp_sort_medium_config_static_selectorELNS0_4arch9wavefront6targetE0EEEvSK_.kd
    .uniform_work_group_size: 1
    .uses_dynamic_stack: false
    .vgpr_count:     0
    .vgpr_spill_count: 0
    .wavefront_size: 32
  - .args:
      - .offset:         0
        .size:           88
        .value_kind:     by_value
    .group_segment_fixed_size: 0
    .kernarg_segment_align: 8
    .kernarg_segment_size: 88
    .language:       OpenCL C
    .language_version:
      - 2
      - 0
    .max_flat_workgroup_size: 256
    .name:           _ZN7rocprim17ROCPRIM_400000_NS6detail17trampoline_kernelINS0_14default_configENS1_36segmented_radix_sort_config_selectorIslEEZNS1_25segmented_radix_sort_implIS3_Lb0EPKsPsPKlPlN2at6native12_GLOBAL__N_18offset_tEEE10hipError_tPvRmT1_PNSt15iterator_traitsISK_E10value_typeET2_T3_PNSL_ISQ_E10value_typeET4_jRbjT5_SW_jjP12ihipStream_tbEUlT_E0_NS1_11comp_targetILNS1_3genE10ELNS1_11target_archE1201ELNS1_3gpuE5ELNS1_3repE0EEENS1_60segmented_radix_sort_warp_sort_medium_config_static_selectorELNS0_4arch9wavefront6targetE0EEEvSK_
    .private_segment_fixed_size: 0
    .sgpr_count:     0
    .sgpr_spill_count: 0
    .symbol:         _ZN7rocprim17ROCPRIM_400000_NS6detail17trampoline_kernelINS0_14default_configENS1_36segmented_radix_sort_config_selectorIslEEZNS1_25segmented_radix_sort_implIS3_Lb0EPKsPsPKlPlN2at6native12_GLOBAL__N_18offset_tEEE10hipError_tPvRmT1_PNSt15iterator_traitsISK_E10value_typeET2_T3_PNSL_ISQ_E10value_typeET4_jRbjT5_SW_jjP12ihipStream_tbEUlT_E0_NS1_11comp_targetILNS1_3genE10ELNS1_11target_archE1201ELNS1_3gpuE5ELNS1_3repE0EEENS1_60segmented_radix_sort_warp_sort_medium_config_static_selectorELNS0_4arch9wavefront6targetE0EEEvSK_.kd
    .uniform_work_group_size: 1
    .uses_dynamic_stack: false
    .vgpr_count:     0
    .vgpr_spill_count: 0
    .wavefront_size: 32
  - .args:
      - .offset:         0
        .size:           88
        .value_kind:     by_value
    .group_segment_fixed_size: 0
    .kernarg_segment_align: 8
    .kernarg_segment_size: 88
    .language:       OpenCL C
    .language_version:
      - 2
      - 0
    .max_flat_workgroup_size: 256
    .name:           _ZN7rocprim17ROCPRIM_400000_NS6detail17trampoline_kernelINS0_14default_configENS1_36segmented_radix_sort_config_selectorIslEEZNS1_25segmented_radix_sort_implIS3_Lb0EPKsPsPKlPlN2at6native12_GLOBAL__N_18offset_tEEE10hipError_tPvRmT1_PNSt15iterator_traitsISK_E10value_typeET2_T3_PNSL_ISQ_E10value_typeET4_jRbjT5_SW_jjP12ihipStream_tbEUlT_E0_NS1_11comp_targetILNS1_3genE10ELNS1_11target_archE1200ELNS1_3gpuE4ELNS1_3repE0EEENS1_60segmented_radix_sort_warp_sort_medium_config_static_selectorELNS0_4arch9wavefront6targetE0EEEvSK_
    .private_segment_fixed_size: 0
    .sgpr_count:     0
    .sgpr_spill_count: 0
    .symbol:         _ZN7rocprim17ROCPRIM_400000_NS6detail17trampoline_kernelINS0_14default_configENS1_36segmented_radix_sort_config_selectorIslEEZNS1_25segmented_radix_sort_implIS3_Lb0EPKsPsPKlPlN2at6native12_GLOBAL__N_18offset_tEEE10hipError_tPvRmT1_PNSt15iterator_traitsISK_E10value_typeET2_T3_PNSL_ISQ_E10value_typeET4_jRbjT5_SW_jjP12ihipStream_tbEUlT_E0_NS1_11comp_targetILNS1_3genE10ELNS1_11target_archE1200ELNS1_3gpuE4ELNS1_3repE0EEENS1_60segmented_radix_sort_warp_sort_medium_config_static_selectorELNS0_4arch9wavefront6targetE0EEEvSK_.kd
    .uniform_work_group_size: 1
    .uses_dynamic_stack: false
    .vgpr_count:     0
    .vgpr_spill_count: 0
    .wavefront_size: 32
  - .args:
      - .offset:         0
        .size:           88
        .value_kind:     by_value
    .group_segment_fixed_size: 0
    .kernarg_segment_align: 8
    .kernarg_segment_size: 88
    .language:       OpenCL C
    .language_version:
      - 2
      - 0
    .max_flat_workgroup_size: 256
    .name:           _ZN7rocprim17ROCPRIM_400000_NS6detail17trampoline_kernelINS0_14default_configENS1_36segmented_radix_sort_config_selectorIslEEZNS1_25segmented_radix_sort_implIS3_Lb0EPKsPsPKlPlN2at6native12_GLOBAL__N_18offset_tEEE10hipError_tPvRmT1_PNSt15iterator_traitsISK_E10value_typeET2_T3_PNSL_ISQ_E10value_typeET4_jRbjT5_SW_jjP12ihipStream_tbEUlT_E0_NS1_11comp_targetILNS1_3genE9ELNS1_11target_archE1100ELNS1_3gpuE3ELNS1_3repE0EEENS1_60segmented_radix_sort_warp_sort_medium_config_static_selectorELNS0_4arch9wavefront6targetE0EEEvSK_
    .private_segment_fixed_size: 0
    .sgpr_count:     0
    .sgpr_spill_count: 0
    .symbol:         _ZN7rocprim17ROCPRIM_400000_NS6detail17trampoline_kernelINS0_14default_configENS1_36segmented_radix_sort_config_selectorIslEEZNS1_25segmented_radix_sort_implIS3_Lb0EPKsPsPKlPlN2at6native12_GLOBAL__N_18offset_tEEE10hipError_tPvRmT1_PNSt15iterator_traitsISK_E10value_typeET2_T3_PNSL_ISQ_E10value_typeET4_jRbjT5_SW_jjP12ihipStream_tbEUlT_E0_NS1_11comp_targetILNS1_3genE9ELNS1_11target_archE1100ELNS1_3gpuE3ELNS1_3repE0EEENS1_60segmented_radix_sort_warp_sort_medium_config_static_selectorELNS0_4arch9wavefront6targetE0EEEvSK_.kd
    .uniform_work_group_size: 1
    .uses_dynamic_stack: false
    .vgpr_count:     0
    .vgpr_spill_count: 0
    .wavefront_size: 32
  - .args:
      - .offset:         0
        .size:           88
        .value_kind:     by_value
    .group_segment_fixed_size: 0
    .kernarg_segment_align: 8
    .kernarg_segment_size: 88
    .language:       OpenCL C
    .language_version:
      - 2
      - 0
    .max_flat_workgroup_size: 256
    .name:           _ZN7rocprim17ROCPRIM_400000_NS6detail17trampoline_kernelINS0_14default_configENS1_36segmented_radix_sort_config_selectorIslEEZNS1_25segmented_radix_sort_implIS3_Lb0EPKsPsPKlPlN2at6native12_GLOBAL__N_18offset_tEEE10hipError_tPvRmT1_PNSt15iterator_traitsISK_E10value_typeET2_T3_PNSL_ISQ_E10value_typeET4_jRbjT5_SW_jjP12ihipStream_tbEUlT_E0_NS1_11comp_targetILNS1_3genE8ELNS1_11target_archE1030ELNS1_3gpuE2ELNS1_3repE0EEENS1_60segmented_radix_sort_warp_sort_medium_config_static_selectorELNS0_4arch9wavefront6targetE0EEEvSK_
    .private_segment_fixed_size: 0
    .sgpr_count:     0
    .sgpr_spill_count: 0
    .symbol:         _ZN7rocprim17ROCPRIM_400000_NS6detail17trampoline_kernelINS0_14default_configENS1_36segmented_radix_sort_config_selectorIslEEZNS1_25segmented_radix_sort_implIS3_Lb0EPKsPsPKlPlN2at6native12_GLOBAL__N_18offset_tEEE10hipError_tPvRmT1_PNSt15iterator_traitsISK_E10value_typeET2_T3_PNSL_ISQ_E10value_typeET4_jRbjT5_SW_jjP12ihipStream_tbEUlT_E0_NS1_11comp_targetILNS1_3genE8ELNS1_11target_archE1030ELNS1_3gpuE2ELNS1_3repE0EEENS1_60segmented_radix_sort_warp_sort_medium_config_static_selectorELNS0_4arch9wavefront6targetE0EEEvSK_.kd
    .uniform_work_group_size: 1
    .uses_dynamic_stack: false
    .vgpr_count:     0
    .vgpr_spill_count: 0
    .wavefront_size: 32
  - .args:
      - .offset:         0
        .size:           88
        .value_kind:     by_value
      - .offset:         88
        .size:           4
        .value_kind:     hidden_block_count_x
      - .offset:         92
        .size:           4
        .value_kind:     hidden_block_count_y
      - .offset:         96
        .size:           4
        .value_kind:     hidden_block_count_z
      - .offset:         100
        .size:           2
        .value_kind:     hidden_group_size_x
      - .offset:         102
        .size:           2
        .value_kind:     hidden_group_size_y
      - .offset:         104
        .size:           2
        .value_kind:     hidden_group_size_z
      - .offset:         106
        .size:           2
        .value_kind:     hidden_remainder_x
      - .offset:         108
        .size:           2
        .value_kind:     hidden_remainder_y
      - .offset:         110
        .size:           2
        .value_kind:     hidden_remainder_z
      - .offset:         128
        .size:           8
        .value_kind:     hidden_global_offset_x
      - .offset:         136
        .size:           8
        .value_kind:     hidden_global_offset_y
      - .offset:         144
        .size:           8
        .value_kind:     hidden_global_offset_z
      - .offset:         152
        .size:           2
        .value_kind:     hidden_grid_dims
      - .offset:         168
        .size:           8
        .value_kind:     hidden_hostcall_buffer
      - .offset:         176
        .size:           8
        .value_kind:     hidden_multigrid_sync_arg
      - .offset:         184
        .size:           8
        .value_kind:     hidden_heap_v1
      - .offset:         192
        .size:           8
        .value_kind:     hidden_default_queue
      - .offset:         200
        .size:           8
        .value_kind:     hidden_completion_action
      - .offset:         288
        .size:           8
        .value_kind:     hidden_queue_ptr
    .group_segment_fixed_size: 10240
    .kernarg_segment_align: 8
    .kernarg_segment_size: 344
    .language:       OpenCL C
    .language_version:
      - 2
      - 0
    .max_flat_workgroup_size: 256
    .name:           _ZN7rocprim17ROCPRIM_400000_NS6detail17trampoline_kernelINS0_14default_configENS1_36segmented_radix_sort_config_selectorIslEEZNS1_25segmented_radix_sort_implIS3_Lb0EPKsPsPKlPlN2at6native12_GLOBAL__N_18offset_tEEE10hipError_tPvRmT1_PNSt15iterator_traitsISK_E10value_typeET2_T3_PNSL_ISQ_E10value_typeET4_jRbjT5_SW_jjP12ihipStream_tbEUlT_E1_NS1_11comp_targetILNS1_3genE0ELNS1_11target_archE4294967295ELNS1_3gpuE0ELNS1_3repE0EEENS1_59segmented_radix_sort_warp_sort_small_config_static_selectorELNS0_4arch9wavefront6targetE0EEEvSK_
    .private_segment_fixed_size: 0
    .sgpr_count:     42
    .sgpr_spill_count: 0
    .symbol:         _ZN7rocprim17ROCPRIM_400000_NS6detail17trampoline_kernelINS0_14default_configENS1_36segmented_radix_sort_config_selectorIslEEZNS1_25segmented_radix_sort_implIS3_Lb0EPKsPsPKlPlN2at6native12_GLOBAL__N_18offset_tEEE10hipError_tPvRmT1_PNSt15iterator_traitsISK_E10value_typeET2_T3_PNSL_ISQ_E10value_typeET4_jRbjT5_SW_jjP12ihipStream_tbEUlT_E1_NS1_11comp_targetILNS1_3genE0ELNS1_11target_archE4294967295ELNS1_3gpuE0ELNS1_3repE0EEENS1_59segmented_radix_sort_warp_sort_small_config_static_selectorELNS0_4arch9wavefront6targetE0EEEvSK_.kd
    .uniform_work_group_size: 1
    .uses_dynamic_stack: false
    .vgpr_count:     53
    .vgpr_spill_count: 0
    .wavefront_size: 32
  - .args:
      - .offset:         0
        .size:           88
        .value_kind:     by_value
    .group_segment_fixed_size: 0
    .kernarg_segment_align: 8
    .kernarg_segment_size: 88
    .language:       OpenCL C
    .language_version:
      - 2
      - 0
    .max_flat_workgroup_size: 256
    .name:           _ZN7rocprim17ROCPRIM_400000_NS6detail17trampoline_kernelINS0_14default_configENS1_36segmented_radix_sort_config_selectorIslEEZNS1_25segmented_radix_sort_implIS3_Lb0EPKsPsPKlPlN2at6native12_GLOBAL__N_18offset_tEEE10hipError_tPvRmT1_PNSt15iterator_traitsISK_E10value_typeET2_T3_PNSL_ISQ_E10value_typeET4_jRbjT5_SW_jjP12ihipStream_tbEUlT_E1_NS1_11comp_targetILNS1_3genE5ELNS1_11target_archE942ELNS1_3gpuE9ELNS1_3repE0EEENS1_59segmented_radix_sort_warp_sort_small_config_static_selectorELNS0_4arch9wavefront6targetE0EEEvSK_
    .private_segment_fixed_size: 0
    .sgpr_count:     0
    .sgpr_spill_count: 0
    .symbol:         _ZN7rocprim17ROCPRIM_400000_NS6detail17trampoline_kernelINS0_14default_configENS1_36segmented_radix_sort_config_selectorIslEEZNS1_25segmented_radix_sort_implIS3_Lb0EPKsPsPKlPlN2at6native12_GLOBAL__N_18offset_tEEE10hipError_tPvRmT1_PNSt15iterator_traitsISK_E10value_typeET2_T3_PNSL_ISQ_E10value_typeET4_jRbjT5_SW_jjP12ihipStream_tbEUlT_E1_NS1_11comp_targetILNS1_3genE5ELNS1_11target_archE942ELNS1_3gpuE9ELNS1_3repE0EEENS1_59segmented_radix_sort_warp_sort_small_config_static_selectorELNS0_4arch9wavefront6targetE0EEEvSK_.kd
    .uniform_work_group_size: 1
    .uses_dynamic_stack: false
    .vgpr_count:     0
    .vgpr_spill_count: 0
    .wavefront_size: 32
  - .args:
      - .offset:         0
        .size:           88
        .value_kind:     by_value
    .group_segment_fixed_size: 0
    .kernarg_segment_align: 8
    .kernarg_segment_size: 88
    .language:       OpenCL C
    .language_version:
      - 2
      - 0
    .max_flat_workgroup_size: 256
    .name:           _ZN7rocprim17ROCPRIM_400000_NS6detail17trampoline_kernelINS0_14default_configENS1_36segmented_radix_sort_config_selectorIslEEZNS1_25segmented_radix_sort_implIS3_Lb0EPKsPsPKlPlN2at6native12_GLOBAL__N_18offset_tEEE10hipError_tPvRmT1_PNSt15iterator_traitsISK_E10value_typeET2_T3_PNSL_ISQ_E10value_typeET4_jRbjT5_SW_jjP12ihipStream_tbEUlT_E1_NS1_11comp_targetILNS1_3genE4ELNS1_11target_archE910ELNS1_3gpuE8ELNS1_3repE0EEENS1_59segmented_radix_sort_warp_sort_small_config_static_selectorELNS0_4arch9wavefront6targetE0EEEvSK_
    .private_segment_fixed_size: 0
    .sgpr_count:     0
    .sgpr_spill_count: 0
    .symbol:         _ZN7rocprim17ROCPRIM_400000_NS6detail17trampoline_kernelINS0_14default_configENS1_36segmented_radix_sort_config_selectorIslEEZNS1_25segmented_radix_sort_implIS3_Lb0EPKsPsPKlPlN2at6native12_GLOBAL__N_18offset_tEEE10hipError_tPvRmT1_PNSt15iterator_traitsISK_E10value_typeET2_T3_PNSL_ISQ_E10value_typeET4_jRbjT5_SW_jjP12ihipStream_tbEUlT_E1_NS1_11comp_targetILNS1_3genE4ELNS1_11target_archE910ELNS1_3gpuE8ELNS1_3repE0EEENS1_59segmented_radix_sort_warp_sort_small_config_static_selectorELNS0_4arch9wavefront6targetE0EEEvSK_.kd
    .uniform_work_group_size: 1
    .uses_dynamic_stack: false
    .vgpr_count:     0
    .vgpr_spill_count: 0
    .wavefront_size: 32
  - .args:
      - .offset:         0
        .size:           88
        .value_kind:     by_value
    .group_segment_fixed_size: 0
    .kernarg_segment_align: 8
    .kernarg_segment_size: 88
    .language:       OpenCL C
    .language_version:
      - 2
      - 0
    .max_flat_workgroup_size: 256
    .name:           _ZN7rocprim17ROCPRIM_400000_NS6detail17trampoline_kernelINS0_14default_configENS1_36segmented_radix_sort_config_selectorIslEEZNS1_25segmented_radix_sort_implIS3_Lb0EPKsPsPKlPlN2at6native12_GLOBAL__N_18offset_tEEE10hipError_tPvRmT1_PNSt15iterator_traitsISK_E10value_typeET2_T3_PNSL_ISQ_E10value_typeET4_jRbjT5_SW_jjP12ihipStream_tbEUlT_E1_NS1_11comp_targetILNS1_3genE3ELNS1_11target_archE908ELNS1_3gpuE7ELNS1_3repE0EEENS1_59segmented_radix_sort_warp_sort_small_config_static_selectorELNS0_4arch9wavefront6targetE0EEEvSK_
    .private_segment_fixed_size: 0
    .sgpr_count:     0
    .sgpr_spill_count: 0
    .symbol:         _ZN7rocprim17ROCPRIM_400000_NS6detail17trampoline_kernelINS0_14default_configENS1_36segmented_radix_sort_config_selectorIslEEZNS1_25segmented_radix_sort_implIS3_Lb0EPKsPsPKlPlN2at6native12_GLOBAL__N_18offset_tEEE10hipError_tPvRmT1_PNSt15iterator_traitsISK_E10value_typeET2_T3_PNSL_ISQ_E10value_typeET4_jRbjT5_SW_jjP12ihipStream_tbEUlT_E1_NS1_11comp_targetILNS1_3genE3ELNS1_11target_archE908ELNS1_3gpuE7ELNS1_3repE0EEENS1_59segmented_radix_sort_warp_sort_small_config_static_selectorELNS0_4arch9wavefront6targetE0EEEvSK_.kd
    .uniform_work_group_size: 1
    .uses_dynamic_stack: false
    .vgpr_count:     0
    .vgpr_spill_count: 0
    .wavefront_size: 32
  - .args:
      - .offset:         0
        .size:           88
        .value_kind:     by_value
    .group_segment_fixed_size: 0
    .kernarg_segment_align: 8
    .kernarg_segment_size: 88
    .language:       OpenCL C
    .language_version:
      - 2
      - 0
    .max_flat_workgroup_size: 256
    .name:           _ZN7rocprim17ROCPRIM_400000_NS6detail17trampoline_kernelINS0_14default_configENS1_36segmented_radix_sort_config_selectorIslEEZNS1_25segmented_radix_sort_implIS3_Lb0EPKsPsPKlPlN2at6native12_GLOBAL__N_18offset_tEEE10hipError_tPvRmT1_PNSt15iterator_traitsISK_E10value_typeET2_T3_PNSL_ISQ_E10value_typeET4_jRbjT5_SW_jjP12ihipStream_tbEUlT_E1_NS1_11comp_targetILNS1_3genE2ELNS1_11target_archE906ELNS1_3gpuE6ELNS1_3repE0EEENS1_59segmented_radix_sort_warp_sort_small_config_static_selectorELNS0_4arch9wavefront6targetE0EEEvSK_
    .private_segment_fixed_size: 0
    .sgpr_count:     0
    .sgpr_spill_count: 0
    .symbol:         _ZN7rocprim17ROCPRIM_400000_NS6detail17trampoline_kernelINS0_14default_configENS1_36segmented_radix_sort_config_selectorIslEEZNS1_25segmented_radix_sort_implIS3_Lb0EPKsPsPKlPlN2at6native12_GLOBAL__N_18offset_tEEE10hipError_tPvRmT1_PNSt15iterator_traitsISK_E10value_typeET2_T3_PNSL_ISQ_E10value_typeET4_jRbjT5_SW_jjP12ihipStream_tbEUlT_E1_NS1_11comp_targetILNS1_3genE2ELNS1_11target_archE906ELNS1_3gpuE6ELNS1_3repE0EEENS1_59segmented_radix_sort_warp_sort_small_config_static_selectorELNS0_4arch9wavefront6targetE0EEEvSK_.kd
    .uniform_work_group_size: 1
    .uses_dynamic_stack: false
    .vgpr_count:     0
    .vgpr_spill_count: 0
    .wavefront_size: 32
  - .args:
      - .offset:         0
        .size:           88
        .value_kind:     by_value
    .group_segment_fixed_size: 0
    .kernarg_segment_align: 8
    .kernarg_segment_size: 88
    .language:       OpenCL C
    .language_version:
      - 2
      - 0
    .max_flat_workgroup_size: 256
    .name:           _ZN7rocprim17ROCPRIM_400000_NS6detail17trampoline_kernelINS0_14default_configENS1_36segmented_radix_sort_config_selectorIslEEZNS1_25segmented_radix_sort_implIS3_Lb0EPKsPsPKlPlN2at6native12_GLOBAL__N_18offset_tEEE10hipError_tPvRmT1_PNSt15iterator_traitsISK_E10value_typeET2_T3_PNSL_ISQ_E10value_typeET4_jRbjT5_SW_jjP12ihipStream_tbEUlT_E1_NS1_11comp_targetILNS1_3genE10ELNS1_11target_archE1201ELNS1_3gpuE5ELNS1_3repE0EEENS1_59segmented_radix_sort_warp_sort_small_config_static_selectorELNS0_4arch9wavefront6targetE0EEEvSK_
    .private_segment_fixed_size: 0
    .sgpr_count:     0
    .sgpr_spill_count: 0
    .symbol:         _ZN7rocprim17ROCPRIM_400000_NS6detail17trampoline_kernelINS0_14default_configENS1_36segmented_radix_sort_config_selectorIslEEZNS1_25segmented_radix_sort_implIS3_Lb0EPKsPsPKlPlN2at6native12_GLOBAL__N_18offset_tEEE10hipError_tPvRmT1_PNSt15iterator_traitsISK_E10value_typeET2_T3_PNSL_ISQ_E10value_typeET4_jRbjT5_SW_jjP12ihipStream_tbEUlT_E1_NS1_11comp_targetILNS1_3genE10ELNS1_11target_archE1201ELNS1_3gpuE5ELNS1_3repE0EEENS1_59segmented_radix_sort_warp_sort_small_config_static_selectorELNS0_4arch9wavefront6targetE0EEEvSK_.kd
    .uniform_work_group_size: 1
    .uses_dynamic_stack: false
    .vgpr_count:     0
    .vgpr_spill_count: 0
    .wavefront_size: 32
  - .args:
      - .offset:         0
        .size:           88
        .value_kind:     by_value
    .group_segment_fixed_size: 0
    .kernarg_segment_align: 8
    .kernarg_segment_size: 88
    .language:       OpenCL C
    .language_version:
      - 2
      - 0
    .max_flat_workgroup_size: 256
    .name:           _ZN7rocprim17ROCPRIM_400000_NS6detail17trampoline_kernelINS0_14default_configENS1_36segmented_radix_sort_config_selectorIslEEZNS1_25segmented_radix_sort_implIS3_Lb0EPKsPsPKlPlN2at6native12_GLOBAL__N_18offset_tEEE10hipError_tPvRmT1_PNSt15iterator_traitsISK_E10value_typeET2_T3_PNSL_ISQ_E10value_typeET4_jRbjT5_SW_jjP12ihipStream_tbEUlT_E1_NS1_11comp_targetILNS1_3genE10ELNS1_11target_archE1200ELNS1_3gpuE4ELNS1_3repE0EEENS1_59segmented_radix_sort_warp_sort_small_config_static_selectorELNS0_4arch9wavefront6targetE0EEEvSK_
    .private_segment_fixed_size: 0
    .sgpr_count:     0
    .sgpr_spill_count: 0
    .symbol:         _ZN7rocprim17ROCPRIM_400000_NS6detail17trampoline_kernelINS0_14default_configENS1_36segmented_radix_sort_config_selectorIslEEZNS1_25segmented_radix_sort_implIS3_Lb0EPKsPsPKlPlN2at6native12_GLOBAL__N_18offset_tEEE10hipError_tPvRmT1_PNSt15iterator_traitsISK_E10value_typeET2_T3_PNSL_ISQ_E10value_typeET4_jRbjT5_SW_jjP12ihipStream_tbEUlT_E1_NS1_11comp_targetILNS1_3genE10ELNS1_11target_archE1200ELNS1_3gpuE4ELNS1_3repE0EEENS1_59segmented_radix_sort_warp_sort_small_config_static_selectorELNS0_4arch9wavefront6targetE0EEEvSK_.kd
    .uniform_work_group_size: 1
    .uses_dynamic_stack: false
    .vgpr_count:     0
    .vgpr_spill_count: 0
    .wavefront_size: 32
  - .args:
      - .offset:         0
        .size:           88
        .value_kind:     by_value
    .group_segment_fixed_size: 0
    .kernarg_segment_align: 8
    .kernarg_segment_size: 88
    .language:       OpenCL C
    .language_version:
      - 2
      - 0
    .max_flat_workgroup_size: 256
    .name:           _ZN7rocprim17ROCPRIM_400000_NS6detail17trampoline_kernelINS0_14default_configENS1_36segmented_radix_sort_config_selectorIslEEZNS1_25segmented_radix_sort_implIS3_Lb0EPKsPsPKlPlN2at6native12_GLOBAL__N_18offset_tEEE10hipError_tPvRmT1_PNSt15iterator_traitsISK_E10value_typeET2_T3_PNSL_ISQ_E10value_typeET4_jRbjT5_SW_jjP12ihipStream_tbEUlT_E1_NS1_11comp_targetILNS1_3genE9ELNS1_11target_archE1100ELNS1_3gpuE3ELNS1_3repE0EEENS1_59segmented_radix_sort_warp_sort_small_config_static_selectorELNS0_4arch9wavefront6targetE0EEEvSK_
    .private_segment_fixed_size: 0
    .sgpr_count:     0
    .sgpr_spill_count: 0
    .symbol:         _ZN7rocprim17ROCPRIM_400000_NS6detail17trampoline_kernelINS0_14default_configENS1_36segmented_radix_sort_config_selectorIslEEZNS1_25segmented_radix_sort_implIS3_Lb0EPKsPsPKlPlN2at6native12_GLOBAL__N_18offset_tEEE10hipError_tPvRmT1_PNSt15iterator_traitsISK_E10value_typeET2_T3_PNSL_ISQ_E10value_typeET4_jRbjT5_SW_jjP12ihipStream_tbEUlT_E1_NS1_11comp_targetILNS1_3genE9ELNS1_11target_archE1100ELNS1_3gpuE3ELNS1_3repE0EEENS1_59segmented_radix_sort_warp_sort_small_config_static_selectorELNS0_4arch9wavefront6targetE0EEEvSK_.kd
    .uniform_work_group_size: 1
    .uses_dynamic_stack: false
    .vgpr_count:     0
    .vgpr_spill_count: 0
    .wavefront_size: 32
  - .args:
      - .offset:         0
        .size:           88
        .value_kind:     by_value
    .group_segment_fixed_size: 0
    .kernarg_segment_align: 8
    .kernarg_segment_size: 88
    .language:       OpenCL C
    .language_version:
      - 2
      - 0
    .max_flat_workgroup_size: 256
    .name:           _ZN7rocprim17ROCPRIM_400000_NS6detail17trampoline_kernelINS0_14default_configENS1_36segmented_radix_sort_config_selectorIslEEZNS1_25segmented_radix_sort_implIS3_Lb0EPKsPsPKlPlN2at6native12_GLOBAL__N_18offset_tEEE10hipError_tPvRmT1_PNSt15iterator_traitsISK_E10value_typeET2_T3_PNSL_ISQ_E10value_typeET4_jRbjT5_SW_jjP12ihipStream_tbEUlT_E1_NS1_11comp_targetILNS1_3genE8ELNS1_11target_archE1030ELNS1_3gpuE2ELNS1_3repE0EEENS1_59segmented_radix_sort_warp_sort_small_config_static_selectorELNS0_4arch9wavefront6targetE0EEEvSK_
    .private_segment_fixed_size: 0
    .sgpr_count:     0
    .sgpr_spill_count: 0
    .symbol:         _ZN7rocprim17ROCPRIM_400000_NS6detail17trampoline_kernelINS0_14default_configENS1_36segmented_radix_sort_config_selectorIslEEZNS1_25segmented_radix_sort_implIS3_Lb0EPKsPsPKlPlN2at6native12_GLOBAL__N_18offset_tEEE10hipError_tPvRmT1_PNSt15iterator_traitsISK_E10value_typeET2_T3_PNSL_ISQ_E10value_typeET4_jRbjT5_SW_jjP12ihipStream_tbEUlT_E1_NS1_11comp_targetILNS1_3genE8ELNS1_11target_archE1030ELNS1_3gpuE2ELNS1_3repE0EEENS1_59segmented_radix_sort_warp_sort_small_config_static_selectorELNS0_4arch9wavefront6targetE0EEEvSK_.kd
    .uniform_work_group_size: 1
    .uses_dynamic_stack: false
    .vgpr_count:     0
    .vgpr_spill_count: 0
    .wavefront_size: 32
  - .args:
      - .offset:         0
        .size:           80
        .value_kind:     by_value
      - .offset:         80
        .size:           4
        .value_kind:     hidden_block_count_x
      - .offset:         84
        .size:           4
        .value_kind:     hidden_block_count_y
      - .offset:         88
        .size:           4
        .value_kind:     hidden_block_count_z
      - .offset:         92
        .size:           2
        .value_kind:     hidden_group_size_x
      - .offset:         94
        .size:           2
        .value_kind:     hidden_group_size_y
      - .offset:         96
        .size:           2
        .value_kind:     hidden_group_size_z
      - .offset:         98
        .size:           2
        .value_kind:     hidden_remainder_x
      - .offset:         100
        .size:           2
        .value_kind:     hidden_remainder_y
      - .offset:         102
        .size:           2
        .value_kind:     hidden_remainder_z
      - .offset:         120
        .size:           8
        .value_kind:     hidden_global_offset_x
      - .offset:         128
        .size:           8
        .value_kind:     hidden_global_offset_y
      - .offset:         136
        .size:           8
        .value_kind:     hidden_global_offset_z
      - .offset:         144
        .size:           2
        .value_kind:     hidden_grid_dims
      - .offset:         160
        .size:           8
        .value_kind:     hidden_hostcall_buffer
      - .offset:         168
        .size:           8
        .value_kind:     hidden_multigrid_sync_arg
      - .offset:         176
        .size:           8
        .value_kind:     hidden_heap_v1
      - .offset:         184
        .size:           8
        .value_kind:     hidden_default_queue
      - .offset:         192
        .size:           8
        .value_kind:     hidden_completion_action
      - .offset:         280
        .size:           8
        .value_kind:     hidden_queue_ptr
    .group_segment_fixed_size: 35344
    .kernarg_segment_align: 8
    .kernarg_segment_size: 336
    .language:       OpenCL C
    .language_version:
      - 2
      - 0
    .max_flat_workgroup_size: 256
    .name:           _ZN7rocprim17ROCPRIM_400000_NS6detail17trampoline_kernelINS0_14default_configENS1_36segmented_radix_sort_config_selectorIslEEZNS1_25segmented_radix_sort_implIS3_Lb0EPKsPsPKlPlN2at6native12_GLOBAL__N_18offset_tEEE10hipError_tPvRmT1_PNSt15iterator_traitsISK_E10value_typeET2_T3_PNSL_ISQ_E10value_typeET4_jRbjT5_SW_jjP12ihipStream_tbEUlT_E2_NS1_11comp_targetILNS1_3genE0ELNS1_11target_archE4294967295ELNS1_3gpuE0ELNS1_3repE0EEENS1_30default_config_static_selectorELNS0_4arch9wavefront6targetE0EEEvSK_
    .private_segment_fixed_size: 0
    .sgpr_count:     63
    .sgpr_spill_count: 0
    .symbol:         _ZN7rocprim17ROCPRIM_400000_NS6detail17trampoline_kernelINS0_14default_configENS1_36segmented_radix_sort_config_selectorIslEEZNS1_25segmented_radix_sort_implIS3_Lb0EPKsPsPKlPlN2at6native12_GLOBAL__N_18offset_tEEE10hipError_tPvRmT1_PNSt15iterator_traitsISK_E10value_typeET2_T3_PNSL_ISQ_E10value_typeET4_jRbjT5_SW_jjP12ihipStream_tbEUlT_E2_NS1_11comp_targetILNS1_3genE0ELNS1_11target_archE4294967295ELNS1_3gpuE0ELNS1_3repE0EEENS1_30default_config_static_selectorELNS0_4arch9wavefront6targetE0EEEvSK_.kd
    .uniform_work_group_size: 1
    .uses_dynamic_stack: false
    .vgpr_count:     304
    .vgpr_spill_count: 0
    .wavefront_size: 32
  - .args:
      - .offset:         0
        .size:           80
        .value_kind:     by_value
    .group_segment_fixed_size: 0
    .kernarg_segment_align: 8
    .kernarg_segment_size: 80
    .language:       OpenCL C
    .language_version:
      - 2
      - 0
    .max_flat_workgroup_size: 256
    .name:           _ZN7rocprim17ROCPRIM_400000_NS6detail17trampoline_kernelINS0_14default_configENS1_36segmented_radix_sort_config_selectorIslEEZNS1_25segmented_radix_sort_implIS3_Lb0EPKsPsPKlPlN2at6native12_GLOBAL__N_18offset_tEEE10hipError_tPvRmT1_PNSt15iterator_traitsISK_E10value_typeET2_T3_PNSL_ISQ_E10value_typeET4_jRbjT5_SW_jjP12ihipStream_tbEUlT_E2_NS1_11comp_targetILNS1_3genE5ELNS1_11target_archE942ELNS1_3gpuE9ELNS1_3repE0EEENS1_30default_config_static_selectorELNS0_4arch9wavefront6targetE0EEEvSK_
    .private_segment_fixed_size: 0
    .sgpr_count:     0
    .sgpr_spill_count: 0
    .symbol:         _ZN7rocprim17ROCPRIM_400000_NS6detail17trampoline_kernelINS0_14default_configENS1_36segmented_radix_sort_config_selectorIslEEZNS1_25segmented_radix_sort_implIS3_Lb0EPKsPsPKlPlN2at6native12_GLOBAL__N_18offset_tEEE10hipError_tPvRmT1_PNSt15iterator_traitsISK_E10value_typeET2_T3_PNSL_ISQ_E10value_typeET4_jRbjT5_SW_jjP12ihipStream_tbEUlT_E2_NS1_11comp_targetILNS1_3genE5ELNS1_11target_archE942ELNS1_3gpuE9ELNS1_3repE0EEENS1_30default_config_static_selectorELNS0_4arch9wavefront6targetE0EEEvSK_.kd
    .uniform_work_group_size: 1
    .uses_dynamic_stack: false
    .vgpr_count:     0
    .vgpr_spill_count: 0
    .wavefront_size: 32
  - .args:
      - .offset:         0
        .size:           80
        .value_kind:     by_value
    .group_segment_fixed_size: 0
    .kernarg_segment_align: 8
    .kernarg_segment_size: 80
    .language:       OpenCL C
    .language_version:
      - 2
      - 0
    .max_flat_workgroup_size: 256
    .name:           _ZN7rocprim17ROCPRIM_400000_NS6detail17trampoline_kernelINS0_14default_configENS1_36segmented_radix_sort_config_selectorIslEEZNS1_25segmented_radix_sort_implIS3_Lb0EPKsPsPKlPlN2at6native12_GLOBAL__N_18offset_tEEE10hipError_tPvRmT1_PNSt15iterator_traitsISK_E10value_typeET2_T3_PNSL_ISQ_E10value_typeET4_jRbjT5_SW_jjP12ihipStream_tbEUlT_E2_NS1_11comp_targetILNS1_3genE4ELNS1_11target_archE910ELNS1_3gpuE8ELNS1_3repE0EEENS1_30default_config_static_selectorELNS0_4arch9wavefront6targetE0EEEvSK_
    .private_segment_fixed_size: 0
    .sgpr_count:     0
    .sgpr_spill_count: 0
    .symbol:         _ZN7rocprim17ROCPRIM_400000_NS6detail17trampoline_kernelINS0_14default_configENS1_36segmented_radix_sort_config_selectorIslEEZNS1_25segmented_radix_sort_implIS3_Lb0EPKsPsPKlPlN2at6native12_GLOBAL__N_18offset_tEEE10hipError_tPvRmT1_PNSt15iterator_traitsISK_E10value_typeET2_T3_PNSL_ISQ_E10value_typeET4_jRbjT5_SW_jjP12ihipStream_tbEUlT_E2_NS1_11comp_targetILNS1_3genE4ELNS1_11target_archE910ELNS1_3gpuE8ELNS1_3repE0EEENS1_30default_config_static_selectorELNS0_4arch9wavefront6targetE0EEEvSK_.kd
    .uniform_work_group_size: 1
    .uses_dynamic_stack: false
    .vgpr_count:     0
    .vgpr_spill_count: 0
    .wavefront_size: 32
  - .args:
      - .offset:         0
        .size:           80
        .value_kind:     by_value
    .group_segment_fixed_size: 0
    .kernarg_segment_align: 8
    .kernarg_segment_size: 80
    .language:       OpenCL C
    .language_version:
      - 2
      - 0
    .max_flat_workgroup_size: 256
    .name:           _ZN7rocprim17ROCPRIM_400000_NS6detail17trampoline_kernelINS0_14default_configENS1_36segmented_radix_sort_config_selectorIslEEZNS1_25segmented_radix_sort_implIS3_Lb0EPKsPsPKlPlN2at6native12_GLOBAL__N_18offset_tEEE10hipError_tPvRmT1_PNSt15iterator_traitsISK_E10value_typeET2_T3_PNSL_ISQ_E10value_typeET4_jRbjT5_SW_jjP12ihipStream_tbEUlT_E2_NS1_11comp_targetILNS1_3genE3ELNS1_11target_archE908ELNS1_3gpuE7ELNS1_3repE0EEENS1_30default_config_static_selectorELNS0_4arch9wavefront6targetE0EEEvSK_
    .private_segment_fixed_size: 0
    .sgpr_count:     0
    .sgpr_spill_count: 0
    .symbol:         _ZN7rocprim17ROCPRIM_400000_NS6detail17trampoline_kernelINS0_14default_configENS1_36segmented_radix_sort_config_selectorIslEEZNS1_25segmented_radix_sort_implIS3_Lb0EPKsPsPKlPlN2at6native12_GLOBAL__N_18offset_tEEE10hipError_tPvRmT1_PNSt15iterator_traitsISK_E10value_typeET2_T3_PNSL_ISQ_E10value_typeET4_jRbjT5_SW_jjP12ihipStream_tbEUlT_E2_NS1_11comp_targetILNS1_3genE3ELNS1_11target_archE908ELNS1_3gpuE7ELNS1_3repE0EEENS1_30default_config_static_selectorELNS0_4arch9wavefront6targetE0EEEvSK_.kd
    .uniform_work_group_size: 1
    .uses_dynamic_stack: false
    .vgpr_count:     0
    .vgpr_spill_count: 0
    .wavefront_size: 32
  - .args:
      - .offset:         0
        .size:           80
        .value_kind:     by_value
    .group_segment_fixed_size: 0
    .kernarg_segment_align: 8
    .kernarg_segment_size: 80
    .language:       OpenCL C
    .language_version:
      - 2
      - 0
    .max_flat_workgroup_size: 256
    .name:           _ZN7rocprim17ROCPRIM_400000_NS6detail17trampoline_kernelINS0_14default_configENS1_36segmented_radix_sort_config_selectorIslEEZNS1_25segmented_radix_sort_implIS3_Lb0EPKsPsPKlPlN2at6native12_GLOBAL__N_18offset_tEEE10hipError_tPvRmT1_PNSt15iterator_traitsISK_E10value_typeET2_T3_PNSL_ISQ_E10value_typeET4_jRbjT5_SW_jjP12ihipStream_tbEUlT_E2_NS1_11comp_targetILNS1_3genE2ELNS1_11target_archE906ELNS1_3gpuE6ELNS1_3repE0EEENS1_30default_config_static_selectorELNS0_4arch9wavefront6targetE0EEEvSK_
    .private_segment_fixed_size: 0
    .sgpr_count:     0
    .sgpr_spill_count: 0
    .symbol:         _ZN7rocprim17ROCPRIM_400000_NS6detail17trampoline_kernelINS0_14default_configENS1_36segmented_radix_sort_config_selectorIslEEZNS1_25segmented_radix_sort_implIS3_Lb0EPKsPsPKlPlN2at6native12_GLOBAL__N_18offset_tEEE10hipError_tPvRmT1_PNSt15iterator_traitsISK_E10value_typeET2_T3_PNSL_ISQ_E10value_typeET4_jRbjT5_SW_jjP12ihipStream_tbEUlT_E2_NS1_11comp_targetILNS1_3genE2ELNS1_11target_archE906ELNS1_3gpuE6ELNS1_3repE0EEENS1_30default_config_static_selectorELNS0_4arch9wavefront6targetE0EEEvSK_.kd
    .uniform_work_group_size: 1
    .uses_dynamic_stack: false
    .vgpr_count:     0
    .vgpr_spill_count: 0
    .wavefront_size: 32
  - .args:
      - .offset:         0
        .size:           80
        .value_kind:     by_value
    .group_segment_fixed_size: 0
    .kernarg_segment_align: 8
    .kernarg_segment_size: 80
    .language:       OpenCL C
    .language_version:
      - 2
      - 0
    .max_flat_workgroup_size: 256
    .name:           _ZN7rocprim17ROCPRIM_400000_NS6detail17trampoline_kernelINS0_14default_configENS1_36segmented_radix_sort_config_selectorIslEEZNS1_25segmented_radix_sort_implIS3_Lb0EPKsPsPKlPlN2at6native12_GLOBAL__N_18offset_tEEE10hipError_tPvRmT1_PNSt15iterator_traitsISK_E10value_typeET2_T3_PNSL_ISQ_E10value_typeET4_jRbjT5_SW_jjP12ihipStream_tbEUlT_E2_NS1_11comp_targetILNS1_3genE10ELNS1_11target_archE1201ELNS1_3gpuE5ELNS1_3repE0EEENS1_30default_config_static_selectorELNS0_4arch9wavefront6targetE0EEEvSK_
    .private_segment_fixed_size: 0
    .sgpr_count:     0
    .sgpr_spill_count: 0
    .symbol:         _ZN7rocprim17ROCPRIM_400000_NS6detail17trampoline_kernelINS0_14default_configENS1_36segmented_radix_sort_config_selectorIslEEZNS1_25segmented_radix_sort_implIS3_Lb0EPKsPsPKlPlN2at6native12_GLOBAL__N_18offset_tEEE10hipError_tPvRmT1_PNSt15iterator_traitsISK_E10value_typeET2_T3_PNSL_ISQ_E10value_typeET4_jRbjT5_SW_jjP12ihipStream_tbEUlT_E2_NS1_11comp_targetILNS1_3genE10ELNS1_11target_archE1201ELNS1_3gpuE5ELNS1_3repE0EEENS1_30default_config_static_selectorELNS0_4arch9wavefront6targetE0EEEvSK_.kd
    .uniform_work_group_size: 1
    .uses_dynamic_stack: false
    .vgpr_count:     0
    .vgpr_spill_count: 0
    .wavefront_size: 32
  - .args:
      - .offset:         0
        .size:           80
        .value_kind:     by_value
    .group_segment_fixed_size: 0
    .kernarg_segment_align: 8
    .kernarg_segment_size: 80
    .language:       OpenCL C
    .language_version:
      - 2
      - 0
    .max_flat_workgroup_size: 128
    .name:           _ZN7rocprim17ROCPRIM_400000_NS6detail17trampoline_kernelINS0_14default_configENS1_36segmented_radix_sort_config_selectorIslEEZNS1_25segmented_radix_sort_implIS3_Lb0EPKsPsPKlPlN2at6native12_GLOBAL__N_18offset_tEEE10hipError_tPvRmT1_PNSt15iterator_traitsISK_E10value_typeET2_T3_PNSL_ISQ_E10value_typeET4_jRbjT5_SW_jjP12ihipStream_tbEUlT_E2_NS1_11comp_targetILNS1_3genE10ELNS1_11target_archE1200ELNS1_3gpuE4ELNS1_3repE0EEENS1_30default_config_static_selectorELNS0_4arch9wavefront6targetE0EEEvSK_
    .private_segment_fixed_size: 0
    .sgpr_count:     0
    .sgpr_spill_count: 0
    .symbol:         _ZN7rocprim17ROCPRIM_400000_NS6detail17trampoline_kernelINS0_14default_configENS1_36segmented_radix_sort_config_selectorIslEEZNS1_25segmented_radix_sort_implIS3_Lb0EPKsPsPKlPlN2at6native12_GLOBAL__N_18offset_tEEE10hipError_tPvRmT1_PNSt15iterator_traitsISK_E10value_typeET2_T3_PNSL_ISQ_E10value_typeET4_jRbjT5_SW_jjP12ihipStream_tbEUlT_E2_NS1_11comp_targetILNS1_3genE10ELNS1_11target_archE1200ELNS1_3gpuE4ELNS1_3repE0EEENS1_30default_config_static_selectorELNS0_4arch9wavefront6targetE0EEEvSK_.kd
    .uniform_work_group_size: 1
    .uses_dynamic_stack: false
    .vgpr_count:     0
    .vgpr_spill_count: 0
    .wavefront_size: 32
  - .args:
      - .offset:         0
        .size:           80
        .value_kind:     by_value
    .group_segment_fixed_size: 0
    .kernarg_segment_align: 8
    .kernarg_segment_size: 80
    .language:       OpenCL C
    .language_version:
      - 2
      - 0
    .max_flat_workgroup_size: 256
    .name:           _ZN7rocprim17ROCPRIM_400000_NS6detail17trampoline_kernelINS0_14default_configENS1_36segmented_radix_sort_config_selectorIslEEZNS1_25segmented_radix_sort_implIS3_Lb0EPKsPsPKlPlN2at6native12_GLOBAL__N_18offset_tEEE10hipError_tPvRmT1_PNSt15iterator_traitsISK_E10value_typeET2_T3_PNSL_ISQ_E10value_typeET4_jRbjT5_SW_jjP12ihipStream_tbEUlT_E2_NS1_11comp_targetILNS1_3genE9ELNS1_11target_archE1100ELNS1_3gpuE3ELNS1_3repE0EEENS1_30default_config_static_selectorELNS0_4arch9wavefront6targetE0EEEvSK_
    .private_segment_fixed_size: 0
    .sgpr_count:     0
    .sgpr_spill_count: 0
    .symbol:         _ZN7rocprim17ROCPRIM_400000_NS6detail17trampoline_kernelINS0_14default_configENS1_36segmented_radix_sort_config_selectorIslEEZNS1_25segmented_radix_sort_implIS3_Lb0EPKsPsPKlPlN2at6native12_GLOBAL__N_18offset_tEEE10hipError_tPvRmT1_PNSt15iterator_traitsISK_E10value_typeET2_T3_PNSL_ISQ_E10value_typeET4_jRbjT5_SW_jjP12ihipStream_tbEUlT_E2_NS1_11comp_targetILNS1_3genE9ELNS1_11target_archE1100ELNS1_3gpuE3ELNS1_3repE0EEENS1_30default_config_static_selectorELNS0_4arch9wavefront6targetE0EEEvSK_.kd
    .uniform_work_group_size: 1
    .uses_dynamic_stack: false
    .vgpr_count:     0
    .vgpr_spill_count: 0
    .wavefront_size: 32
  - .args:
      - .offset:         0
        .size:           80
        .value_kind:     by_value
    .group_segment_fixed_size: 0
    .kernarg_segment_align: 8
    .kernarg_segment_size: 80
    .language:       OpenCL C
    .language_version:
      - 2
      - 0
    .max_flat_workgroup_size: 256
    .name:           _ZN7rocprim17ROCPRIM_400000_NS6detail17trampoline_kernelINS0_14default_configENS1_36segmented_radix_sort_config_selectorIslEEZNS1_25segmented_radix_sort_implIS3_Lb0EPKsPsPKlPlN2at6native12_GLOBAL__N_18offset_tEEE10hipError_tPvRmT1_PNSt15iterator_traitsISK_E10value_typeET2_T3_PNSL_ISQ_E10value_typeET4_jRbjT5_SW_jjP12ihipStream_tbEUlT_E2_NS1_11comp_targetILNS1_3genE8ELNS1_11target_archE1030ELNS1_3gpuE2ELNS1_3repE0EEENS1_30default_config_static_selectorELNS0_4arch9wavefront6targetE0EEEvSK_
    .private_segment_fixed_size: 0
    .sgpr_count:     0
    .sgpr_spill_count: 0
    .symbol:         _ZN7rocprim17ROCPRIM_400000_NS6detail17trampoline_kernelINS0_14default_configENS1_36segmented_radix_sort_config_selectorIslEEZNS1_25segmented_radix_sort_implIS3_Lb0EPKsPsPKlPlN2at6native12_GLOBAL__N_18offset_tEEE10hipError_tPvRmT1_PNSt15iterator_traitsISK_E10value_typeET2_T3_PNSL_ISQ_E10value_typeET4_jRbjT5_SW_jjP12ihipStream_tbEUlT_E2_NS1_11comp_targetILNS1_3genE8ELNS1_11target_archE1030ELNS1_3gpuE2ELNS1_3repE0EEENS1_30default_config_static_selectorELNS0_4arch9wavefront6targetE0EEEvSK_.kd
    .uniform_work_group_size: 1
    .uses_dynamic_stack: false
    .vgpr_count:     0
    .vgpr_spill_count: 0
    .wavefront_size: 32
  - .args:
      - .address_space:  global
        .offset:         0
        .size:           8
        .value_kind:     global_buffer
      - .address_space:  global
        .offset:         8
        .size:           8
        .value_kind:     global_buffer
      - .address_space:  global
        .offset:         16
        .size:           8
        .value_kind:     global_buffer
      - .address_space:  global
        .offset:         24
        .size:           8
        .value_kind:     global_buffer
      - .offset:         32
        .size:           4
        .value_kind:     by_value
      - .offset:         36
        .size:           4
        .value_kind:     by_value
      - .offset:         40
        .size:           4
        .value_kind:     hidden_block_count_x
      - .offset:         44
        .size:           4
        .value_kind:     hidden_block_count_y
      - .offset:         48
        .size:           4
        .value_kind:     hidden_block_count_z
      - .offset:         52
        .size:           2
        .value_kind:     hidden_group_size_x
      - .offset:         54
        .size:           2
        .value_kind:     hidden_group_size_y
      - .offset:         56
        .size:           2
        .value_kind:     hidden_group_size_z
      - .offset:         58
        .size:           2
        .value_kind:     hidden_remainder_x
      - .offset:         60
        .size:           2
        .value_kind:     hidden_remainder_y
      - .offset:         62
        .size:           2
        .value_kind:     hidden_remainder_z
      - .offset:         80
        .size:           8
        .value_kind:     hidden_global_offset_x
      - .offset:         88
        .size:           8
        .value_kind:     hidden_global_offset_y
      - .offset:         96
        .size:           8
        .value_kind:     hidden_global_offset_z
      - .offset:         104
        .size:           2
        .value_kind:     hidden_grid_dims
    .group_segment_fixed_size: 0
    .kernarg_segment_align: 8
    .kernarg_segment_size: 296
    .language:       OpenCL C
    .language_version:
      - 2
      - 0
    .max_flat_workgroup_size: 1024
    .name:           _ZN2at6native12_GLOBAL__N_123sort_postprocess_kernelIdEEvPKT_PS3_PlPK15HIP_vector_typeIiLj2EEii
    .private_segment_fixed_size: 0
    .sgpr_count:     24
    .sgpr_spill_count: 0
    .symbol:         _ZN2at6native12_GLOBAL__N_123sort_postprocess_kernelIdEEvPKT_PS3_PlPK15HIP_vector_typeIiLj2EEii.kd
    .uniform_work_group_size: 1
    .uses_dynamic_stack: false
    .vgpr_count:     16
    .vgpr_spill_count: 0
    .wavefront_size: 32
  - .args:
      - .offset:         0
        .size:           176
        .value_kind:     by_value
    .group_segment_fixed_size: 13328
    .kernarg_segment_align: 8
    .kernarg_segment_size: 176
    .language:       OpenCL C
    .language_version:
      - 2
      - 0
    .max_flat_workgroup_size: 256
    .name:           _ZN7rocprim17ROCPRIM_400000_NS6detail17trampoline_kernelINS0_13select_configILj256ELj13ELNS0_17block_load_methodE3ELS4_3ELS4_3ELNS0_20block_scan_algorithmE0ELj4294967295EEENS1_25partition_config_selectorILNS1_17partition_subalgoE4EjNS0_10empty_typeEbEEZZNS1_14partition_implILS8_4ELb0ES6_15HIP_vector_typeIjLj2EENS0_17counting_iteratorIjlEEPS9_SG_NS0_5tupleIJPjSI_NS0_16reverse_iteratorISI_EEEEENSH_IJSG_SG_SG_EEES9_SI_JZNS1_25segmented_radix_sort_implINS0_14default_configELb1EPKdPdPKlPlN2at6native12_GLOBAL__N_18offset_tEEE10hipError_tPvRmT1_PNSt15iterator_traitsIS12_E10value_typeET2_T3_PNS13_IS18_E10value_typeET4_jRbjT5_S1E_jjP12ihipStream_tbEUljE_ZNSN_ISO_Lb1ESQ_SR_ST_SU_SY_EESZ_S10_S11_S12_S16_S17_S18_S1B_S1C_jS1D_jS1E_S1E_jjS1G_bEUljE0_EEESZ_S10_S11_S18_S1C_S1E_T6_T7_T9_mT8_S1G_bDpT10_ENKUlT_T0_E_clISt17integral_constantIbLb0EES1U_EEDaS1P_S1Q_EUlS1P_E_NS1_11comp_targetILNS1_3genE0ELNS1_11target_archE4294967295ELNS1_3gpuE0ELNS1_3repE0EEENS1_30default_config_static_selectorELNS0_4arch9wavefront6targetE0EEEvS12_
    .private_segment_fixed_size: 0
    .sgpr_count:     61
    .sgpr_spill_count: 0
    .symbol:         _ZN7rocprim17ROCPRIM_400000_NS6detail17trampoline_kernelINS0_13select_configILj256ELj13ELNS0_17block_load_methodE3ELS4_3ELS4_3ELNS0_20block_scan_algorithmE0ELj4294967295EEENS1_25partition_config_selectorILNS1_17partition_subalgoE4EjNS0_10empty_typeEbEEZZNS1_14partition_implILS8_4ELb0ES6_15HIP_vector_typeIjLj2EENS0_17counting_iteratorIjlEEPS9_SG_NS0_5tupleIJPjSI_NS0_16reverse_iteratorISI_EEEEENSH_IJSG_SG_SG_EEES9_SI_JZNS1_25segmented_radix_sort_implINS0_14default_configELb1EPKdPdPKlPlN2at6native12_GLOBAL__N_18offset_tEEE10hipError_tPvRmT1_PNSt15iterator_traitsIS12_E10value_typeET2_T3_PNS13_IS18_E10value_typeET4_jRbjT5_S1E_jjP12ihipStream_tbEUljE_ZNSN_ISO_Lb1ESQ_SR_ST_SU_SY_EESZ_S10_S11_S12_S16_S17_S18_S1B_S1C_jS1D_jS1E_S1E_jjS1G_bEUljE0_EEESZ_S10_S11_S18_S1C_S1E_T6_T7_T9_mT8_S1G_bDpT10_ENKUlT_T0_E_clISt17integral_constantIbLb0EES1U_EEDaS1P_S1Q_EUlS1P_E_NS1_11comp_targetILNS1_3genE0ELNS1_11target_archE4294967295ELNS1_3gpuE0ELNS1_3repE0EEENS1_30default_config_static_selectorELNS0_4arch9wavefront6targetE0EEEvS12_.kd
    .uniform_work_group_size: 1
    .uses_dynamic_stack: false
    .vgpr_count:     81
    .vgpr_spill_count: 0
    .wavefront_size: 32
  - .args:
      - .offset:         0
        .size:           176
        .value_kind:     by_value
    .group_segment_fixed_size: 0
    .kernarg_segment_align: 8
    .kernarg_segment_size: 176
    .language:       OpenCL C
    .language_version:
      - 2
      - 0
    .max_flat_workgroup_size: 256
    .name:           _ZN7rocprim17ROCPRIM_400000_NS6detail17trampoline_kernelINS0_13select_configILj256ELj13ELNS0_17block_load_methodE3ELS4_3ELS4_3ELNS0_20block_scan_algorithmE0ELj4294967295EEENS1_25partition_config_selectorILNS1_17partition_subalgoE4EjNS0_10empty_typeEbEEZZNS1_14partition_implILS8_4ELb0ES6_15HIP_vector_typeIjLj2EENS0_17counting_iteratorIjlEEPS9_SG_NS0_5tupleIJPjSI_NS0_16reverse_iteratorISI_EEEEENSH_IJSG_SG_SG_EEES9_SI_JZNS1_25segmented_radix_sort_implINS0_14default_configELb1EPKdPdPKlPlN2at6native12_GLOBAL__N_18offset_tEEE10hipError_tPvRmT1_PNSt15iterator_traitsIS12_E10value_typeET2_T3_PNS13_IS18_E10value_typeET4_jRbjT5_S1E_jjP12ihipStream_tbEUljE_ZNSN_ISO_Lb1ESQ_SR_ST_SU_SY_EESZ_S10_S11_S12_S16_S17_S18_S1B_S1C_jS1D_jS1E_S1E_jjS1G_bEUljE0_EEESZ_S10_S11_S18_S1C_S1E_T6_T7_T9_mT8_S1G_bDpT10_ENKUlT_T0_E_clISt17integral_constantIbLb0EES1U_EEDaS1P_S1Q_EUlS1P_E_NS1_11comp_targetILNS1_3genE5ELNS1_11target_archE942ELNS1_3gpuE9ELNS1_3repE0EEENS1_30default_config_static_selectorELNS0_4arch9wavefront6targetE0EEEvS12_
    .private_segment_fixed_size: 0
    .sgpr_count:     0
    .sgpr_spill_count: 0
    .symbol:         _ZN7rocprim17ROCPRIM_400000_NS6detail17trampoline_kernelINS0_13select_configILj256ELj13ELNS0_17block_load_methodE3ELS4_3ELS4_3ELNS0_20block_scan_algorithmE0ELj4294967295EEENS1_25partition_config_selectorILNS1_17partition_subalgoE4EjNS0_10empty_typeEbEEZZNS1_14partition_implILS8_4ELb0ES6_15HIP_vector_typeIjLj2EENS0_17counting_iteratorIjlEEPS9_SG_NS0_5tupleIJPjSI_NS0_16reverse_iteratorISI_EEEEENSH_IJSG_SG_SG_EEES9_SI_JZNS1_25segmented_radix_sort_implINS0_14default_configELb1EPKdPdPKlPlN2at6native12_GLOBAL__N_18offset_tEEE10hipError_tPvRmT1_PNSt15iterator_traitsIS12_E10value_typeET2_T3_PNS13_IS18_E10value_typeET4_jRbjT5_S1E_jjP12ihipStream_tbEUljE_ZNSN_ISO_Lb1ESQ_SR_ST_SU_SY_EESZ_S10_S11_S12_S16_S17_S18_S1B_S1C_jS1D_jS1E_S1E_jjS1G_bEUljE0_EEESZ_S10_S11_S18_S1C_S1E_T6_T7_T9_mT8_S1G_bDpT10_ENKUlT_T0_E_clISt17integral_constantIbLb0EES1U_EEDaS1P_S1Q_EUlS1P_E_NS1_11comp_targetILNS1_3genE5ELNS1_11target_archE942ELNS1_3gpuE9ELNS1_3repE0EEENS1_30default_config_static_selectorELNS0_4arch9wavefront6targetE0EEEvS12_.kd
    .uniform_work_group_size: 1
    .uses_dynamic_stack: false
    .vgpr_count:     0
    .vgpr_spill_count: 0
    .wavefront_size: 32
  - .args:
      - .offset:         0
        .size:           176
        .value_kind:     by_value
    .group_segment_fixed_size: 0
    .kernarg_segment_align: 8
    .kernarg_segment_size: 176
    .language:       OpenCL C
    .language_version:
      - 2
      - 0
    .max_flat_workgroup_size: 256
    .name:           _ZN7rocprim17ROCPRIM_400000_NS6detail17trampoline_kernelINS0_13select_configILj256ELj13ELNS0_17block_load_methodE3ELS4_3ELS4_3ELNS0_20block_scan_algorithmE0ELj4294967295EEENS1_25partition_config_selectorILNS1_17partition_subalgoE4EjNS0_10empty_typeEbEEZZNS1_14partition_implILS8_4ELb0ES6_15HIP_vector_typeIjLj2EENS0_17counting_iteratorIjlEEPS9_SG_NS0_5tupleIJPjSI_NS0_16reverse_iteratorISI_EEEEENSH_IJSG_SG_SG_EEES9_SI_JZNS1_25segmented_radix_sort_implINS0_14default_configELb1EPKdPdPKlPlN2at6native12_GLOBAL__N_18offset_tEEE10hipError_tPvRmT1_PNSt15iterator_traitsIS12_E10value_typeET2_T3_PNS13_IS18_E10value_typeET4_jRbjT5_S1E_jjP12ihipStream_tbEUljE_ZNSN_ISO_Lb1ESQ_SR_ST_SU_SY_EESZ_S10_S11_S12_S16_S17_S18_S1B_S1C_jS1D_jS1E_S1E_jjS1G_bEUljE0_EEESZ_S10_S11_S18_S1C_S1E_T6_T7_T9_mT8_S1G_bDpT10_ENKUlT_T0_E_clISt17integral_constantIbLb0EES1U_EEDaS1P_S1Q_EUlS1P_E_NS1_11comp_targetILNS1_3genE4ELNS1_11target_archE910ELNS1_3gpuE8ELNS1_3repE0EEENS1_30default_config_static_selectorELNS0_4arch9wavefront6targetE0EEEvS12_
    .private_segment_fixed_size: 0
    .sgpr_count:     0
    .sgpr_spill_count: 0
    .symbol:         _ZN7rocprim17ROCPRIM_400000_NS6detail17trampoline_kernelINS0_13select_configILj256ELj13ELNS0_17block_load_methodE3ELS4_3ELS4_3ELNS0_20block_scan_algorithmE0ELj4294967295EEENS1_25partition_config_selectorILNS1_17partition_subalgoE4EjNS0_10empty_typeEbEEZZNS1_14partition_implILS8_4ELb0ES6_15HIP_vector_typeIjLj2EENS0_17counting_iteratorIjlEEPS9_SG_NS0_5tupleIJPjSI_NS0_16reverse_iteratorISI_EEEEENSH_IJSG_SG_SG_EEES9_SI_JZNS1_25segmented_radix_sort_implINS0_14default_configELb1EPKdPdPKlPlN2at6native12_GLOBAL__N_18offset_tEEE10hipError_tPvRmT1_PNSt15iterator_traitsIS12_E10value_typeET2_T3_PNS13_IS18_E10value_typeET4_jRbjT5_S1E_jjP12ihipStream_tbEUljE_ZNSN_ISO_Lb1ESQ_SR_ST_SU_SY_EESZ_S10_S11_S12_S16_S17_S18_S1B_S1C_jS1D_jS1E_S1E_jjS1G_bEUljE0_EEESZ_S10_S11_S18_S1C_S1E_T6_T7_T9_mT8_S1G_bDpT10_ENKUlT_T0_E_clISt17integral_constantIbLb0EES1U_EEDaS1P_S1Q_EUlS1P_E_NS1_11comp_targetILNS1_3genE4ELNS1_11target_archE910ELNS1_3gpuE8ELNS1_3repE0EEENS1_30default_config_static_selectorELNS0_4arch9wavefront6targetE0EEEvS12_.kd
    .uniform_work_group_size: 1
    .uses_dynamic_stack: false
    .vgpr_count:     0
    .vgpr_spill_count: 0
    .wavefront_size: 32
  - .args:
      - .offset:         0
        .size:           176
        .value_kind:     by_value
    .group_segment_fixed_size: 0
    .kernarg_segment_align: 8
    .kernarg_segment_size: 176
    .language:       OpenCL C
    .language_version:
      - 2
      - 0
    .max_flat_workgroup_size: 256
    .name:           _ZN7rocprim17ROCPRIM_400000_NS6detail17trampoline_kernelINS0_13select_configILj256ELj13ELNS0_17block_load_methodE3ELS4_3ELS4_3ELNS0_20block_scan_algorithmE0ELj4294967295EEENS1_25partition_config_selectorILNS1_17partition_subalgoE4EjNS0_10empty_typeEbEEZZNS1_14partition_implILS8_4ELb0ES6_15HIP_vector_typeIjLj2EENS0_17counting_iteratorIjlEEPS9_SG_NS0_5tupleIJPjSI_NS0_16reverse_iteratorISI_EEEEENSH_IJSG_SG_SG_EEES9_SI_JZNS1_25segmented_radix_sort_implINS0_14default_configELb1EPKdPdPKlPlN2at6native12_GLOBAL__N_18offset_tEEE10hipError_tPvRmT1_PNSt15iterator_traitsIS12_E10value_typeET2_T3_PNS13_IS18_E10value_typeET4_jRbjT5_S1E_jjP12ihipStream_tbEUljE_ZNSN_ISO_Lb1ESQ_SR_ST_SU_SY_EESZ_S10_S11_S12_S16_S17_S18_S1B_S1C_jS1D_jS1E_S1E_jjS1G_bEUljE0_EEESZ_S10_S11_S18_S1C_S1E_T6_T7_T9_mT8_S1G_bDpT10_ENKUlT_T0_E_clISt17integral_constantIbLb0EES1U_EEDaS1P_S1Q_EUlS1P_E_NS1_11comp_targetILNS1_3genE3ELNS1_11target_archE908ELNS1_3gpuE7ELNS1_3repE0EEENS1_30default_config_static_selectorELNS0_4arch9wavefront6targetE0EEEvS12_
    .private_segment_fixed_size: 0
    .sgpr_count:     0
    .sgpr_spill_count: 0
    .symbol:         _ZN7rocprim17ROCPRIM_400000_NS6detail17trampoline_kernelINS0_13select_configILj256ELj13ELNS0_17block_load_methodE3ELS4_3ELS4_3ELNS0_20block_scan_algorithmE0ELj4294967295EEENS1_25partition_config_selectorILNS1_17partition_subalgoE4EjNS0_10empty_typeEbEEZZNS1_14partition_implILS8_4ELb0ES6_15HIP_vector_typeIjLj2EENS0_17counting_iteratorIjlEEPS9_SG_NS0_5tupleIJPjSI_NS0_16reverse_iteratorISI_EEEEENSH_IJSG_SG_SG_EEES9_SI_JZNS1_25segmented_radix_sort_implINS0_14default_configELb1EPKdPdPKlPlN2at6native12_GLOBAL__N_18offset_tEEE10hipError_tPvRmT1_PNSt15iterator_traitsIS12_E10value_typeET2_T3_PNS13_IS18_E10value_typeET4_jRbjT5_S1E_jjP12ihipStream_tbEUljE_ZNSN_ISO_Lb1ESQ_SR_ST_SU_SY_EESZ_S10_S11_S12_S16_S17_S18_S1B_S1C_jS1D_jS1E_S1E_jjS1G_bEUljE0_EEESZ_S10_S11_S18_S1C_S1E_T6_T7_T9_mT8_S1G_bDpT10_ENKUlT_T0_E_clISt17integral_constantIbLb0EES1U_EEDaS1P_S1Q_EUlS1P_E_NS1_11comp_targetILNS1_3genE3ELNS1_11target_archE908ELNS1_3gpuE7ELNS1_3repE0EEENS1_30default_config_static_selectorELNS0_4arch9wavefront6targetE0EEEvS12_.kd
    .uniform_work_group_size: 1
    .uses_dynamic_stack: false
    .vgpr_count:     0
    .vgpr_spill_count: 0
    .wavefront_size: 32
  - .args:
      - .offset:         0
        .size:           176
        .value_kind:     by_value
    .group_segment_fixed_size: 0
    .kernarg_segment_align: 8
    .kernarg_segment_size: 176
    .language:       OpenCL C
    .language_version:
      - 2
      - 0
    .max_flat_workgroup_size: 256
    .name:           _ZN7rocprim17ROCPRIM_400000_NS6detail17trampoline_kernelINS0_13select_configILj256ELj13ELNS0_17block_load_methodE3ELS4_3ELS4_3ELNS0_20block_scan_algorithmE0ELj4294967295EEENS1_25partition_config_selectorILNS1_17partition_subalgoE4EjNS0_10empty_typeEbEEZZNS1_14partition_implILS8_4ELb0ES6_15HIP_vector_typeIjLj2EENS0_17counting_iteratorIjlEEPS9_SG_NS0_5tupleIJPjSI_NS0_16reverse_iteratorISI_EEEEENSH_IJSG_SG_SG_EEES9_SI_JZNS1_25segmented_radix_sort_implINS0_14default_configELb1EPKdPdPKlPlN2at6native12_GLOBAL__N_18offset_tEEE10hipError_tPvRmT1_PNSt15iterator_traitsIS12_E10value_typeET2_T3_PNS13_IS18_E10value_typeET4_jRbjT5_S1E_jjP12ihipStream_tbEUljE_ZNSN_ISO_Lb1ESQ_SR_ST_SU_SY_EESZ_S10_S11_S12_S16_S17_S18_S1B_S1C_jS1D_jS1E_S1E_jjS1G_bEUljE0_EEESZ_S10_S11_S18_S1C_S1E_T6_T7_T9_mT8_S1G_bDpT10_ENKUlT_T0_E_clISt17integral_constantIbLb0EES1U_EEDaS1P_S1Q_EUlS1P_E_NS1_11comp_targetILNS1_3genE2ELNS1_11target_archE906ELNS1_3gpuE6ELNS1_3repE0EEENS1_30default_config_static_selectorELNS0_4arch9wavefront6targetE0EEEvS12_
    .private_segment_fixed_size: 0
    .sgpr_count:     0
    .sgpr_spill_count: 0
    .symbol:         _ZN7rocprim17ROCPRIM_400000_NS6detail17trampoline_kernelINS0_13select_configILj256ELj13ELNS0_17block_load_methodE3ELS4_3ELS4_3ELNS0_20block_scan_algorithmE0ELj4294967295EEENS1_25partition_config_selectorILNS1_17partition_subalgoE4EjNS0_10empty_typeEbEEZZNS1_14partition_implILS8_4ELb0ES6_15HIP_vector_typeIjLj2EENS0_17counting_iteratorIjlEEPS9_SG_NS0_5tupleIJPjSI_NS0_16reverse_iteratorISI_EEEEENSH_IJSG_SG_SG_EEES9_SI_JZNS1_25segmented_radix_sort_implINS0_14default_configELb1EPKdPdPKlPlN2at6native12_GLOBAL__N_18offset_tEEE10hipError_tPvRmT1_PNSt15iterator_traitsIS12_E10value_typeET2_T3_PNS13_IS18_E10value_typeET4_jRbjT5_S1E_jjP12ihipStream_tbEUljE_ZNSN_ISO_Lb1ESQ_SR_ST_SU_SY_EESZ_S10_S11_S12_S16_S17_S18_S1B_S1C_jS1D_jS1E_S1E_jjS1G_bEUljE0_EEESZ_S10_S11_S18_S1C_S1E_T6_T7_T9_mT8_S1G_bDpT10_ENKUlT_T0_E_clISt17integral_constantIbLb0EES1U_EEDaS1P_S1Q_EUlS1P_E_NS1_11comp_targetILNS1_3genE2ELNS1_11target_archE906ELNS1_3gpuE6ELNS1_3repE0EEENS1_30default_config_static_selectorELNS0_4arch9wavefront6targetE0EEEvS12_.kd
    .uniform_work_group_size: 1
    .uses_dynamic_stack: false
    .vgpr_count:     0
    .vgpr_spill_count: 0
    .wavefront_size: 32
  - .args:
      - .offset:         0
        .size:           176
        .value_kind:     by_value
    .group_segment_fixed_size: 0
    .kernarg_segment_align: 8
    .kernarg_segment_size: 176
    .language:       OpenCL C
    .language_version:
      - 2
      - 0
    .max_flat_workgroup_size: 256
    .name:           _ZN7rocprim17ROCPRIM_400000_NS6detail17trampoline_kernelINS0_13select_configILj256ELj13ELNS0_17block_load_methodE3ELS4_3ELS4_3ELNS0_20block_scan_algorithmE0ELj4294967295EEENS1_25partition_config_selectorILNS1_17partition_subalgoE4EjNS0_10empty_typeEbEEZZNS1_14partition_implILS8_4ELb0ES6_15HIP_vector_typeIjLj2EENS0_17counting_iteratorIjlEEPS9_SG_NS0_5tupleIJPjSI_NS0_16reverse_iteratorISI_EEEEENSH_IJSG_SG_SG_EEES9_SI_JZNS1_25segmented_radix_sort_implINS0_14default_configELb1EPKdPdPKlPlN2at6native12_GLOBAL__N_18offset_tEEE10hipError_tPvRmT1_PNSt15iterator_traitsIS12_E10value_typeET2_T3_PNS13_IS18_E10value_typeET4_jRbjT5_S1E_jjP12ihipStream_tbEUljE_ZNSN_ISO_Lb1ESQ_SR_ST_SU_SY_EESZ_S10_S11_S12_S16_S17_S18_S1B_S1C_jS1D_jS1E_S1E_jjS1G_bEUljE0_EEESZ_S10_S11_S18_S1C_S1E_T6_T7_T9_mT8_S1G_bDpT10_ENKUlT_T0_E_clISt17integral_constantIbLb0EES1U_EEDaS1P_S1Q_EUlS1P_E_NS1_11comp_targetILNS1_3genE10ELNS1_11target_archE1200ELNS1_3gpuE4ELNS1_3repE0EEENS1_30default_config_static_selectorELNS0_4arch9wavefront6targetE0EEEvS12_
    .private_segment_fixed_size: 0
    .sgpr_count:     0
    .sgpr_spill_count: 0
    .symbol:         _ZN7rocprim17ROCPRIM_400000_NS6detail17trampoline_kernelINS0_13select_configILj256ELj13ELNS0_17block_load_methodE3ELS4_3ELS4_3ELNS0_20block_scan_algorithmE0ELj4294967295EEENS1_25partition_config_selectorILNS1_17partition_subalgoE4EjNS0_10empty_typeEbEEZZNS1_14partition_implILS8_4ELb0ES6_15HIP_vector_typeIjLj2EENS0_17counting_iteratorIjlEEPS9_SG_NS0_5tupleIJPjSI_NS0_16reverse_iteratorISI_EEEEENSH_IJSG_SG_SG_EEES9_SI_JZNS1_25segmented_radix_sort_implINS0_14default_configELb1EPKdPdPKlPlN2at6native12_GLOBAL__N_18offset_tEEE10hipError_tPvRmT1_PNSt15iterator_traitsIS12_E10value_typeET2_T3_PNS13_IS18_E10value_typeET4_jRbjT5_S1E_jjP12ihipStream_tbEUljE_ZNSN_ISO_Lb1ESQ_SR_ST_SU_SY_EESZ_S10_S11_S12_S16_S17_S18_S1B_S1C_jS1D_jS1E_S1E_jjS1G_bEUljE0_EEESZ_S10_S11_S18_S1C_S1E_T6_T7_T9_mT8_S1G_bDpT10_ENKUlT_T0_E_clISt17integral_constantIbLb0EES1U_EEDaS1P_S1Q_EUlS1P_E_NS1_11comp_targetILNS1_3genE10ELNS1_11target_archE1200ELNS1_3gpuE4ELNS1_3repE0EEENS1_30default_config_static_selectorELNS0_4arch9wavefront6targetE0EEEvS12_.kd
    .uniform_work_group_size: 1
    .uses_dynamic_stack: false
    .vgpr_count:     0
    .vgpr_spill_count: 0
    .wavefront_size: 32
  - .args:
      - .offset:         0
        .size:           176
        .value_kind:     by_value
    .group_segment_fixed_size: 0
    .kernarg_segment_align: 8
    .kernarg_segment_size: 176
    .language:       OpenCL C
    .language_version:
      - 2
      - 0
    .max_flat_workgroup_size: 256
    .name:           _ZN7rocprim17ROCPRIM_400000_NS6detail17trampoline_kernelINS0_13select_configILj256ELj13ELNS0_17block_load_methodE3ELS4_3ELS4_3ELNS0_20block_scan_algorithmE0ELj4294967295EEENS1_25partition_config_selectorILNS1_17partition_subalgoE4EjNS0_10empty_typeEbEEZZNS1_14partition_implILS8_4ELb0ES6_15HIP_vector_typeIjLj2EENS0_17counting_iteratorIjlEEPS9_SG_NS0_5tupleIJPjSI_NS0_16reverse_iteratorISI_EEEEENSH_IJSG_SG_SG_EEES9_SI_JZNS1_25segmented_radix_sort_implINS0_14default_configELb1EPKdPdPKlPlN2at6native12_GLOBAL__N_18offset_tEEE10hipError_tPvRmT1_PNSt15iterator_traitsIS12_E10value_typeET2_T3_PNS13_IS18_E10value_typeET4_jRbjT5_S1E_jjP12ihipStream_tbEUljE_ZNSN_ISO_Lb1ESQ_SR_ST_SU_SY_EESZ_S10_S11_S12_S16_S17_S18_S1B_S1C_jS1D_jS1E_S1E_jjS1G_bEUljE0_EEESZ_S10_S11_S18_S1C_S1E_T6_T7_T9_mT8_S1G_bDpT10_ENKUlT_T0_E_clISt17integral_constantIbLb0EES1U_EEDaS1P_S1Q_EUlS1P_E_NS1_11comp_targetILNS1_3genE9ELNS1_11target_archE1100ELNS1_3gpuE3ELNS1_3repE0EEENS1_30default_config_static_selectorELNS0_4arch9wavefront6targetE0EEEvS12_
    .private_segment_fixed_size: 0
    .sgpr_count:     0
    .sgpr_spill_count: 0
    .symbol:         _ZN7rocprim17ROCPRIM_400000_NS6detail17trampoline_kernelINS0_13select_configILj256ELj13ELNS0_17block_load_methodE3ELS4_3ELS4_3ELNS0_20block_scan_algorithmE0ELj4294967295EEENS1_25partition_config_selectorILNS1_17partition_subalgoE4EjNS0_10empty_typeEbEEZZNS1_14partition_implILS8_4ELb0ES6_15HIP_vector_typeIjLj2EENS0_17counting_iteratorIjlEEPS9_SG_NS0_5tupleIJPjSI_NS0_16reverse_iteratorISI_EEEEENSH_IJSG_SG_SG_EEES9_SI_JZNS1_25segmented_radix_sort_implINS0_14default_configELb1EPKdPdPKlPlN2at6native12_GLOBAL__N_18offset_tEEE10hipError_tPvRmT1_PNSt15iterator_traitsIS12_E10value_typeET2_T3_PNS13_IS18_E10value_typeET4_jRbjT5_S1E_jjP12ihipStream_tbEUljE_ZNSN_ISO_Lb1ESQ_SR_ST_SU_SY_EESZ_S10_S11_S12_S16_S17_S18_S1B_S1C_jS1D_jS1E_S1E_jjS1G_bEUljE0_EEESZ_S10_S11_S18_S1C_S1E_T6_T7_T9_mT8_S1G_bDpT10_ENKUlT_T0_E_clISt17integral_constantIbLb0EES1U_EEDaS1P_S1Q_EUlS1P_E_NS1_11comp_targetILNS1_3genE9ELNS1_11target_archE1100ELNS1_3gpuE3ELNS1_3repE0EEENS1_30default_config_static_selectorELNS0_4arch9wavefront6targetE0EEEvS12_.kd
    .uniform_work_group_size: 1
    .uses_dynamic_stack: false
    .vgpr_count:     0
    .vgpr_spill_count: 0
    .wavefront_size: 32
  - .args:
      - .offset:         0
        .size:           176
        .value_kind:     by_value
    .group_segment_fixed_size: 0
    .kernarg_segment_align: 8
    .kernarg_segment_size: 176
    .language:       OpenCL C
    .language_version:
      - 2
      - 0
    .max_flat_workgroup_size: 256
    .name:           _ZN7rocprim17ROCPRIM_400000_NS6detail17trampoline_kernelINS0_13select_configILj256ELj13ELNS0_17block_load_methodE3ELS4_3ELS4_3ELNS0_20block_scan_algorithmE0ELj4294967295EEENS1_25partition_config_selectorILNS1_17partition_subalgoE4EjNS0_10empty_typeEbEEZZNS1_14partition_implILS8_4ELb0ES6_15HIP_vector_typeIjLj2EENS0_17counting_iteratorIjlEEPS9_SG_NS0_5tupleIJPjSI_NS0_16reverse_iteratorISI_EEEEENSH_IJSG_SG_SG_EEES9_SI_JZNS1_25segmented_radix_sort_implINS0_14default_configELb1EPKdPdPKlPlN2at6native12_GLOBAL__N_18offset_tEEE10hipError_tPvRmT1_PNSt15iterator_traitsIS12_E10value_typeET2_T3_PNS13_IS18_E10value_typeET4_jRbjT5_S1E_jjP12ihipStream_tbEUljE_ZNSN_ISO_Lb1ESQ_SR_ST_SU_SY_EESZ_S10_S11_S12_S16_S17_S18_S1B_S1C_jS1D_jS1E_S1E_jjS1G_bEUljE0_EEESZ_S10_S11_S18_S1C_S1E_T6_T7_T9_mT8_S1G_bDpT10_ENKUlT_T0_E_clISt17integral_constantIbLb0EES1U_EEDaS1P_S1Q_EUlS1P_E_NS1_11comp_targetILNS1_3genE8ELNS1_11target_archE1030ELNS1_3gpuE2ELNS1_3repE0EEENS1_30default_config_static_selectorELNS0_4arch9wavefront6targetE0EEEvS12_
    .private_segment_fixed_size: 0
    .sgpr_count:     0
    .sgpr_spill_count: 0
    .symbol:         _ZN7rocprim17ROCPRIM_400000_NS6detail17trampoline_kernelINS0_13select_configILj256ELj13ELNS0_17block_load_methodE3ELS4_3ELS4_3ELNS0_20block_scan_algorithmE0ELj4294967295EEENS1_25partition_config_selectorILNS1_17partition_subalgoE4EjNS0_10empty_typeEbEEZZNS1_14partition_implILS8_4ELb0ES6_15HIP_vector_typeIjLj2EENS0_17counting_iteratorIjlEEPS9_SG_NS0_5tupleIJPjSI_NS0_16reverse_iteratorISI_EEEEENSH_IJSG_SG_SG_EEES9_SI_JZNS1_25segmented_radix_sort_implINS0_14default_configELb1EPKdPdPKlPlN2at6native12_GLOBAL__N_18offset_tEEE10hipError_tPvRmT1_PNSt15iterator_traitsIS12_E10value_typeET2_T3_PNS13_IS18_E10value_typeET4_jRbjT5_S1E_jjP12ihipStream_tbEUljE_ZNSN_ISO_Lb1ESQ_SR_ST_SU_SY_EESZ_S10_S11_S12_S16_S17_S18_S1B_S1C_jS1D_jS1E_S1E_jjS1G_bEUljE0_EEESZ_S10_S11_S18_S1C_S1E_T6_T7_T9_mT8_S1G_bDpT10_ENKUlT_T0_E_clISt17integral_constantIbLb0EES1U_EEDaS1P_S1Q_EUlS1P_E_NS1_11comp_targetILNS1_3genE8ELNS1_11target_archE1030ELNS1_3gpuE2ELNS1_3repE0EEENS1_30default_config_static_selectorELNS0_4arch9wavefront6targetE0EEEvS12_.kd
    .uniform_work_group_size: 1
    .uses_dynamic_stack: false
    .vgpr_count:     0
    .vgpr_spill_count: 0
    .wavefront_size: 32
  - .args:
      - .offset:         0
        .size:           184
        .value_kind:     by_value
    .group_segment_fixed_size: 0
    .kernarg_segment_align: 8
    .kernarg_segment_size: 184
    .language:       OpenCL C
    .language_version:
      - 2
      - 0
    .max_flat_workgroup_size: 256
    .name:           _ZN7rocprim17ROCPRIM_400000_NS6detail17trampoline_kernelINS0_13select_configILj256ELj13ELNS0_17block_load_methodE3ELS4_3ELS4_3ELNS0_20block_scan_algorithmE0ELj4294967295EEENS1_25partition_config_selectorILNS1_17partition_subalgoE4EjNS0_10empty_typeEbEEZZNS1_14partition_implILS8_4ELb0ES6_15HIP_vector_typeIjLj2EENS0_17counting_iteratorIjlEEPS9_SG_NS0_5tupleIJPjSI_NS0_16reverse_iteratorISI_EEEEENSH_IJSG_SG_SG_EEES9_SI_JZNS1_25segmented_radix_sort_implINS0_14default_configELb1EPKdPdPKlPlN2at6native12_GLOBAL__N_18offset_tEEE10hipError_tPvRmT1_PNSt15iterator_traitsIS12_E10value_typeET2_T3_PNS13_IS18_E10value_typeET4_jRbjT5_S1E_jjP12ihipStream_tbEUljE_ZNSN_ISO_Lb1ESQ_SR_ST_SU_SY_EESZ_S10_S11_S12_S16_S17_S18_S1B_S1C_jS1D_jS1E_S1E_jjS1G_bEUljE0_EEESZ_S10_S11_S18_S1C_S1E_T6_T7_T9_mT8_S1G_bDpT10_ENKUlT_T0_E_clISt17integral_constantIbLb1EES1U_EEDaS1P_S1Q_EUlS1P_E_NS1_11comp_targetILNS1_3genE0ELNS1_11target_archE4294967295ELNS1_3gpuE0ELNS1_3repE0EEENS1_30default_config_static_selectorELNS0_4arch9wavefront6targetE0EEEvS12_
    .private_segment_fixed_size: 0
    .sgpr_count:     0
    .sgpr_spill_count: 0
    .symbol:         _ZN7rocprim17ROCPRIM_400000_NS6detail17trampoline_kernelINS0_13select_configILj256ELj13ELNS0_17block_load_methodE3ELS4_3ELS4_3ELNS0_20block_scan_algorithmE0ELj4294967295EEENS1_25partition_config_selectorILNS1_17partition_subalgoE4EjNS0_10empty_typeEbEEZZNS1_14partition_implILS8_4ELb0ES6_15HIP_vector_typeIjLj2EENS0_17counting_iteratorIjlEEPS9_SG_NS0_5tupleIJPjSI_NS0_16reverse_iteratorISI_EEEEENSH_IJSG_SG_SG_EEES9_SI_JZNS1_25segmented_radix_sort_implINS0_14default_configELb1EPKdPdPKlPlN2at6native12_GLOBAL__N_18offset_tEEE10hipError_tPvRmT1_PNSt15iterator_traitsIS12_E10value_typeET2_T3_PNS13_IS18_E10value_typeET4_jRbjT5_S1E_jjP12ihipStream_tbEUljE_ZNSN_ISO_Lb1ESQ_SR_ST_SU_SY_EESZ_S10_S11_S12_S16_S17_S18_S1B_S1C_jS1D_jS1E_S1E_jjS1G_bEUljE0_EEESZ_S10_S11_S18_S1C_S1E_T6_T7_T9_mT8_S1G_bDpT10_ENKUlT_T0_E_clISt17integral_constantIbLb1EES1U_EEDaS1P_S1Q_EUlS1P_E_NS1_11comp_targetILNS1_3genE0ELNS1_11target_archE4294967295ELNS1_3gpuE0ELNS1_3repE0EEENS1_30default_config_static_selectorELNS0_4arch9wavefront6targetE0EEEvS12_.kd
    .uniform_work_group_size: 1
    .uses_dynamic_stack: false
    .vgpr_count:     0
    .vgpr_spill_count: 0
    .wavefront_size: 32
  - .args:
      - .offset:         0
        .size:           184
        .value_kind:     by_value
    .group_segment_fixed_size: 0
    .kernarg_segment_align: 8
    .kernarg_segment_size: 184
    .language:       OpenCL C
    .language_version:
      - 2
      - 0
    .max_flat_workgroup_size: 256
    .name:           _ZN7rocprim17ROCPRIM_400000_NS6detail17trampoline_kernelINS0_13select_configILj256ELj13ELNS0_17block_load_methodE3ELS4_3ELS4_3ELNS0_20block_scan_algorithmE0ELj4294967295EEENS1_25partition_config_selectorILNS1_17partition_subalgoE4EjNS0_10empty_typeEbEEZZNS1_14partition_implILS8_4ELb0ES6_15HIP_vector_typeIjLj2EENS0_17counting_iteratorIjlEEPS9_SG_NS0_5tupleIJPjSI_NS0_16reverse_iteratorISI_EEEEENSH_IJSG_SG_SG_EEES9_SI_JZNS1_25segmented_radix_sort_implINS0_14default_configELb1EPKdPdPKlPlN2at6native12_GLOBAL__N_18offset_tEEE10hipError_tPvRmT1_PNSt15iterator_traitsIS12_E10value_typeET2_T3_PNS13_IS18_E10value_typeET4_jRbjT5_S1E_jjP12ihipStream_tbEUljE_ZNSN_ISO_Lb1ESQ_SR_ST_SU_SY_EESZ_S10_S11_S12_S16_S17_S18_S1B_S1C_jS1D_jS1E_S1E_jjS1G_bEUljE0_EEESZ_S10_S11_S18_S1C_S1E_T6_T7_T9_mT8_S1G_bDpT10_ENKUlT_T0_E_clISt17integral_constantIbLb1EES1U_EEDaS1P_S1Q_EUlS1P_E_NS1_11comp_targetILNS1_3genE5ELNS1_11target_archE942ELNS1_3gpuE9ELNS1_3repE0EEENS1_30default_config_static_selectorELNS0_4arch9wavefront6targetE0EEEvS12_
    .private_segment_fixed_size: 0
    .sgpr_count:     0
    .sgpr_spill_count: 0
    .symbol:         _ZN7rocprim17ROCPRIM_400000_NS6detail17trampoline_kernelINS0_13select_configILj256ELj13ELNS0_17block_load_methodE3ELS4_3ELS4_3ELNS0_20block_scan_algorithmE0ELj4294967295EEENS1_25partition_config_selectorILNS1_17partition_subalgoE4EjNS0_10empty_typeEbEEZZNS1_14partition_implILS8_4ELb0ES6_15HIP_vector_typeIjLj2EENS0_17counting_iteratorIjlEEPS9_SG_NS0_5tupleIJPjSI_NS0_16reverse_iteratorISI_EEEEENSH_IJSG_SG_SG_EEES9_SI_JZNS1_25segmented_radix_sort_implINS0_14default_configELb1EPKdPdPKlPlN2at6native12_GLOBAL__N_18offset_tEEE10hipError_tPvRmT1_PNSt15iterator_traitsIS12_E10value_typeET2_T3_PNS13_IS18_E10value_typeET4_jRbjT5_S1E_jjP12ihipStream_tbEUljE_ZNSN_ISO_Lb1ESQ_SR_ST_SU_SY_EESZ_S10_S11_S12_S16_S17_S18_S1B_S1C_jS1D_jS1E_S1E_jjS1G_bEUljE0_EEESZ_S10_S11_S18_S1C_S1E_T6_T7_T9_mT8_S1G_bDpT10_ENKUlT_T0_E_clISt17integral_constantIbLb1EES1U_EEDaS1P_S1Q_EUlS1P_E_NS1_11comp_targetILNS1_3genE5ELNS1_11target_archE942ELNS1_3gpuE9ELNS1_3repE0EEENS1_30default_config_static_selectorELNS0_4arch9wavefront6targetE0EEEvS12_.kd
    .uniform_work_group_size: 1
    .uses_dynamic_stack: false
    .vgpr_count:     0
    .vgpr_spill_count: 0
    .wavefront_size: 32
  - .args:
      - .offset:         0
        .size:           184
        .value_kind:     by_value
    .group_segment_fixed_size: 0
    .kernarg_segment_align: 8
    .kernarg_segment_size: 184
    .language:       OpenCL C
    .language_version:
      - 2
      - 0
    .max_flat_workgroup_size: 256
    .name:           _ZN7rocprim17ROCPRIM_400000_NS6detail17trampoline_kernelINS0_13select_configILj256ELj13ELNS0_17block_load_methodE3ELS4_3ELS4_3ELNS0_20block_scan_algorithmE0ELj4294967295EEENS1_25partition_config_selectorILNS1_17partition_subalgoE4EjNS0_10empty_typeEbEEZZNS1_14partition_implILS8_4ELb0ES6_15HIP_vector_typeIjLj2EENS0_17counting_iteratorIjlEEPS9_SG_NS0_5tupleIJPjSI_NS0_16reverse_iteratorISI_EEEEENSH_IJSG_SG_SG_EEES9_SI_JZNS1_25segmented_radix_sort_implINS0_14default_configELb1EPKdPdPKlPlN2at6native12_GLOBAL__N_18offset_tEEE10hipError_tPvRmT1_PNSt15iterator_traitsIS12_E10value_typeET2_T3_PNS13_IS18_E10value_typeET4_jRbjT5_S1E_jjP12ihipStream_tbEUljE_ZNSN_ISO_Lb1ESQ_SR_ST_SU_SY_EESZ_S10_S11_S12_S16_S17_S18_S1B_S1C_jS1D_jS1E_S1E_jjS1G_bEUljE0_EEESZ_S10_S11_S18_S1C_S1E_T6_T7_T9_mT8_S1G_bDpT10_ENKUlT_T0_E_clISt17integral_constantIbLb1EES1U_EEDaS1P_S1Q_EUlS1P_E_NS1_11comp_targetILNS1_3genE4ELNS1_11target_archE910ELNS1_3gpuE8ELNS1_3repE0EEENS1_30default_config_static_selectorELNS0_4arch9wavefront6targetE0EEEvS12_
    .private_segment_fixed_size: 0
    .sgpr_count:     0
    .sgpr_spill_count: 0
    .symbol:         _ZN7rocprim17ROCPRIM_400000_NS6detail17trampoline_kernelINS0_13select_configILj256ELj13ELNS0_17block_load_methodE3ELS4_3ELS4_3ELNS0_20block_scan_algorithmE0ELj4294967295EEENS1_25partition_config_selectorILNS1_17partition_subalgoE4EjNS0_10empty_typeEbEEZZNS1_14partition_implILS8_4ELb0ES6_15HIP_vector_typeIjLj2EENS0_17counting_iteratorIjlEEPS9_SG_NS0_5tupleIJPjSI_NS0_16reverse_iteratorISI_EEEEENSH_IJSG_SG_SG_EEES9_SI_JZNS1_25segmented_radix_sort_implINS0_14default_configELb1EPKdPdPKlPlN2at6native12_GLOBAL__N_18offset_tEEE10hipError_tPvRmT1_PNSt15iterator_traitsIS12_E10value_typeET2_T3_PNS13_IS18_E10value_typeET4_jRbjT5_S1E_jjP12ihipStream_tbEUljE_ZNSN_ISO_Lb1ESQ_SR_ST_SU_SY_EESZ_S10_S11_S12_S16_S17_S18_S1B_S1C_jS1D_jS1E_S1E_jjS1G_bEUljE0_EEESZ_S10_S11_S18_S1C_S1E_T6_T7_T9_mT8_S1G_bDpT10_ENKUlT_T0_E_clISt17integral_constantIbLb1EES1U_EEDaS1P_S1Q_EUlS1P_E_NS1_11comp_targetILNS1_3genE4ELNS1_11target_archE910ELNS1_3gpuE8ELNS1_3repE0EEENS1_30default_config_static_selectorELNS0_4arch9wavefront6targetE0EEEvS12_.kd
    .uniform_work_group_size: 1
    .uses_dynamic_stack: false
    .vgpr_count:     0
    .vgpr_spill_count: 0
    .wavefront_size: 32
  - .args:
      - .offset:         0
        .size:           184
        .value_kind:     by_value
    .group_segment_fixed_size: 0
    .kernarg_segment_align: 8
    .kernarg_segment_size: 184
    .language:       OpenCL C
    .language_version:
      - 2
      - 0
    .max_flat_workgroup_size: 256
    .name:           _ZN7rocprim17ROCPRIM_400000_NS6detail17trampoline_kernelINS0_13select_configILj256ELj13ELNS0_17block_load_methodE3ELS4_3ELS4_3ELNS0_20block_scan_algorithmE0ELj4294967295EEENS1_25partition_config_selectorILNS1_17partition_subalgoE4EjNS0_10empty_typeEbEEZZNS1_14partition_implILS8_4ELb0ES6_15HIP_vector_typeIjLj2EENS0_17counting_iteratorIjlEEPS9_SG_NS0_5tupleIJPjSI_NS0_16reverse_iteratorISI_EEEEENSH_IJSG_SG_SG_EEES9_SI_JZNS1_25segmented_radix_sort_implINS0_14default_configELb1EPKdPdPKlPlN2at6native12_GLOBAL__N_18offset_tEEE10hipError_tPvRmT1_PNSt15iterator_traitsIS12_E10value_typeET2_T3_PNS13_IS18_E10value_typeET4_jRbjT5_S1E_jjP12ihipStream_tbEUljE_ZNSN_ISO_Lb1ESQ_SR_ST_SU_SY_EESZ_S10_S11_S12_S16_S17_S18_S1B_S1C_jS1D_jS1E_S1E_jjS1G_bEUljE0_EEESZ_S10_S11_S18_S1C_S1E_T6_T7_T9_mT8_S1G_bDpT10_ENKUlT_T0_E_clISt17integral_constantIbLb1EES1U_EEDaS1P_S1Q_EUlS1P_E_NS1_11comp_targetILNS1_3genE3ELNS1_11target_archE908ELNS1_3gpuE7ELNS1_3repE0EEENS1_30default_config_static_selectorELNS0_4arch9wavefront6targetE0EEEvS12_
    .private_segment_fixed_size: 0
    .sgpr_count:     0
    .sgpr_spill_count: 0
    .symbol:         _ZN7rocprim17ROCPRIM_400000_NS6detail17trampoline_kernelINS0_13select_configILj256ELj13ELNS0_17block_load_methodE3ELS4_3ELS4_3ELNS0_20block_scan_algorithmE0ELj4294967295EEENS1_25partition_config_selectorILNS1_17partition_subalgoE4EjNS0_10empty_typeEbEEZZNS1_14partition_implILS8_4ELb0ES6_15HIP_vector_typeIjLj2EENS0_17counting_iteratorIjlEEPS9_SG_NS0_5tupleIJPjSI_NS0_16reverse_iteratorISI_EEEEENSH_IJSG_SG_SG_EEES9_SI_JZNS1_25segmented_radix_sort_implINS0_14default_configELb1EPKdPdPKlPlN2at6native12_GLOBAL__N_18offset_tEEE10hipError_tPvRmT1_PNSt15iterator_traitsIS12_E10value_typeET2_T3_PNS13_IS18_E10value_typeET4_jRbjT5_S1E_jjP12ihipStream_tbEUljE_ZNSN_ISO_Lb1ESQ_SR_ST_SU_SY_EESZ_S10_S11_S12_S16_S17_S18_S1B_S1C_jS1D_jS1E_S1E_jjS1G_bEUljE0_EEESZ_S10_S11_S18_S1C_S1E_T6_T7_T9_mT8_S1G_bDpT10_ENKUlT_T0_E_clISt17integral_constantIbLb1EES1U_EEDaS1P_S1Q_EUlS1P_E_NS1_11comp_targetILNS1_3genE3ELNS1_11target_archE908ELNS1_3gpuE7ELNS1_3repE0EEENS1_30default_config_static_selectorELNS0_4arch9wavefront6targetE0EEEvS12_.kd
    .uniform_work_group_size: 1
    .uses_dynamic_stack: false
    .vgpr_count:     0
    .vgpr_spill_count: 0
    .wavefront_size: 32
  - .args:
      - .offset:         0
        .size:           184
        .value_kind:     by_value
    .group_segment_fixed_size: 0
    .kernarg_segment_align: 8
    .kernarg_segment_size: 184
    .language:       OpenCL C
    .language_version:
      - 2
      - 0
    .max_flat_workgroup_size: 256
    .name:           _ZN7rocprim17ROCPRIM_400000_NS6detail17trampoline_kernelINS0_13select_configILj256ELj13ELNS0_17block_load_methodE3ELS4_3ELS4_3ELNS0_20block_scan_algorithmE0ELj4294967295EEENS1_25partition_config_selectorILNS1_17partition_subalgoE4EjNS0_10empty_typeEbEEZZNS1_14partition_implILS8_4ELb0ES6_15HIP_vector_typeIjLj2EENS0_17counting_iteratorIjlEEPS9_SG_NS0_5tupleIJPjSI_NS0_16reverse_iteratorISI_EEEEENSH_IJSG_SG_SG_EEES9_SI_JZNS1_25segmented_radix_sort_implINS0_14default_configELb1EPKdPdPKlPlN2at6native12_GLOBAL__N_18offset_tEEE10hipError_tPvRmT1_PNSt15iterator_traitsIS12_E10value_typeET2_T3_PNS13_IS18_E10value_typeET4_jRbjT5_S1E_jjP12ihipStream_tbEUljE_ZNSN_ISO_Lb1ESQ_SR_ST_SU_SY_EESZ_S10_S11_S12_S16_S17_S18_S1B_S1C_jS1D_jS1E_S1E_jjS1G_bEUljE0_EEESZ_S10_S11_S18_S1C_S1E_T6_T7_T9_mT8_S1G_bDpT10_ENKUlT_T0_E_clISt17integral_constantIbLb1EES1U_EEDaS1P_S1Q_EUlS1P_E_NS1_11comp_targetILNS1_3genE2ELNS1_11target_archE906ELNS1_3gpuE6ELNS1_3repE0EEENS1_30default_config_static_selectorELNS0_4arch9wavefront6targetE0EEEvS12_
    .private_segment_fixed_size: 0
    .sgpr_count:     0
    .sgpr_spill_count: 0
    .symbol:         _ZN7rocprim17ROCPRIM_400000_NS6detail17trampoline_kernelINS0_13select_configILj256ELj13ELNS0_17block_load_methodE3ELS4_3ELS4_3ELNS0_20block_scan_algorithmE0ELj4294967295EEENS1_25partition_config_selectorILNS1_17partition_subalgoE4EjNS0_10empty_typeEbEEZZNS1_14partition_implILS8_4ELb0ES6_15HIP_vector_typeIjLj2EENS0_17counting_iteratorIjlEEPS9_SG_NS0_5tupleIJPjSI_NS0_16reverse_iteratorISI_EEEEENSH_IJSG_SG_SG_EEES9_SI_JZNS1_25segmented_radix_sort_implINS0_14default_configELb1EPKdPdPKlPlN2at6native12_GLOBAL__N_18offset_tEEE10hipError_tPvRmT1_PNSt15iterator_traitsIS12_E10value_typeET2_T3_PNS13_IS18_E10value_typeET4_jRbjT5_S1E_jjP12ihipStream_tbEUljE_ZNSN_ISO_Lb1ESQ_SR_ST_SU_SY_EESZ_S10_S11_S12_S16_S17_S18_S1B_S1C_jS1D_jS1E_S1E_jjS1G_bEUljE0_EEESZ_S10_S11_S18_S1C_S1E_T6_T7_T9_mT8_S1G_bDpT10_ENKUlT_T0_E_clISt17integral_constantIbLb1EES1U_EEDaS1P_S1Q_EUlS1P_E_NS1_11comp_targetILNS1_3genE2ELNS1_11target_archE906ELNS1_3gpuE6ELNS1_3repE0EEENS1_30default_config_static_selectorELNS0_4arch9wavefront6targetE0EEEvS12_.kd
    .uniform_work_group_size: 1
    .uses_dynamic_stack: false
    .vgpr_count:     0
    .vgpr_spill_count: 0
    .wavefront_size: 32
  - .args:
      - .offset:         0
        .size:           184
        .value_kind:     by_value
    .group_segment_fixed_size: 0
    .kernarg_segment_align: 8
    .kernarg_segment_size: 184
    .language:       OpenCL C
    .language_version:
      - 2
      - 0
    .max_flat_workgroup_size: 256
    .name:           _ZN7rocprim17ROCPRIM_400000_NS6detail17trampoline_kernelINS0_13select_configILj256ELj13ELNS0_17block_load_methodE3ELS4_3ELS4_3ELNS0_20block_scan_algorithmE0ELj4294967295EEENS1_25partition_config_selectorILNS1_17partition_subalgoE4EjNS0_10empty_typeEbEEZZNS1_14partition_implILS8_4ELb0ES6_15HIP_vector_typeIjLj2EENS0_17counting_iteratorIjlEEPS9_SG_NS0_5tupleIJPjSI_NS0_16reverse_iteratorISI_EEEEENSH_IJSG_SG_SG_EEES9_SI_JZNS1_25segmented_radix_sort_implINS0_14default_configELb1EPKdPdPKlPlN2at6native12_GLOBAL__N_18offset_tEEE10hipError_tPvRmT1_PNSt15iterator_traitsIS12_E10value_typeET2_T3_PNS13_IS18_E10value_typeET4_jRbjT5_S1E_jjP12ihipStream_tbEUljE_ZNSN_ISO_Lb1ESQ_SR_ST_SU_SY_EESZ_S10_S11_S12_S16_S17_S18_S1B_S1C_jS1D_jS1E_S1E_jjS1G_bEUljE0_EEESZ_S10_S11_S18_S1C_S1E_T6_T7_T9_mT8_S1G_bDpT10_ENKUlT_T0_E_clISt17integral_constantIbLb1EES1U_EEDaS1P_S1Q_EUlS1P_E_NS1_11comp_targetILNS1_3genE10ELNS1_11target_archE1200ELNS1_3gpuE4ELNS1_3repE0EEENS1_30default_config_static_selectorELNS0_4arch9wavefront6targetE0EEEvS12_
    .private_segment_fixed_size: 0
    .sgpr_count:     0
    .sgpr_spill_count: 0
    .symbol:         _ZN7rocprim17ROCPRIM_400000_NS6detail17trampoline_kernelINS0_13select_configILj256ELj13ELNS0_17block_load_methodE3ELS4_3ELS4_3ELNS0_20block_scan_algorithmE0ELj4294967295EEENS1_25partition_config_selectorILNS1_17partition_subalgoE4EjNS0_10empty_typeEbEEZZNS1_14partition_implILS8_4ELb0ES6_15HIP_vector_typeIjLj2EENS0_17counting_iteratorIjlEEPS9_SG_NS0_5tupleIJPjSI_NS0_16reverse_iteratorISI_EEEEENSH_IJSG_SG_SG_EEES9_SI_JZNS1_25segmented_radix_sort_implINS0_14default_configELb1EPKdPdPKlPlN2at6native12_GLOBAL__N_18offset_tEEE10hipError_tPvRmT1_PNSt15iterator_traitsIS12_E10value_typeET2_T3_PNS13_IS18_E10value_typeET4_jRbjT5_S1E_jjP12ihipStream_tbEUljE_ZNSN_ISO_Lb1ESQ_SR_ST_SU_SY_EESZ_S10_S11_S12_S16_S17_S18_S1B_S1C_jS1D_jS1E_S1E_jjS1G_bEUljE0_EEESZ_S10_S11_S18_S1C_S1E_T6_T7_T9_mT8_S1G_bDpT10_ENKUlT_T0_E_clISt17integral_constantIbLb1EES1U_EEDaS1P_S1Q_EUlS1P_E_NS1_11comp_targetILNS1_3genE10ELNS1_11target_archE1200ELNS1_3gpuE4ELNS1_3repE0EEENS1_30default_config_static_selectorELNS0_4arch9wavefront6targetE0EEEvS12_.kd
    .uniform_work_group_size: 1
    .uses_dynamic_stack: false
    .vgpr_count:     0
    .vgpr_spill_count: 0
    .wavefront_size: 32
  - .args:
      - .offset:         0
        .size:           184
        .value_kind:     by_value
    .group_segment_fixed_size: 0
    .kernarg_segment_align: 8
    .kernarg_segment_size: 184
    .language:       OpenCL C
    .language_version:
      - 2
      - 0
    .max_flat_workgroup_size: 256
    .name:           _ZN7rocprim17ROCPRIM_400000_NS6detail17trampoline_kernelINS0_13select_configILj256ELj13ELNS0_17block_load_methodE3ELS4_3ELS4_3ELNS0_20block_scan_algorithmE0ELj4294967295EEENS1_25partition_config_selectorILNS1_17partition_subalgoE4EjNS0_10empty_typeEbEEZZNS1_14partition_implILS8_4ELb0ES6_15HIP_vector_typeIjLj2EENS0_17counting_iteratorIjlEEPS9_SG_NS0_5tupleIJPjSI_NS0_16reverse_iteratorISI_EEEEENSH_IJSG_SG_SG_EEES9_SI_JZNS1_25segmented_radix_sort_implINS0_14default_configELb1EPKdPdPKlPlN2at6native12_GLOBAL__N_18offset_tEEE10hipError_tPvRmT1_PNSt15iterator_traitsIS12_E10value_typeET2_T3_PNS13_IS18_E10value_typeET4_jRbjT5_S1E_jjP12ihipStream_tbEUljE_ZNSN_ISO_Lb1ESQ_SR_ST_SU_SY_EESZ_S10_S11_S12_S16_S17_S18_S1B_S1C_jS1D_jS1E_S1E_jjS1G_bEUljE0_EEESZ_S10_S11_S18_S1C_S1E_T6_T7_T9_mT8_S1G_bDpT10_ENKUlT_T0_E_clISt17integral_constantIbLb1EES1U_EEDaS1P_S1Q_EUlS1P_E_NS1_11comp_targetILNS1_3genE9ELNS1_11target_archE1100ELNS1_3gpuE3ELNS1_3repE0EEENS1_30default_config_static_selectorELNS0_4arch9wavefront6targetE0EEEvS12_
    .private_segment_fixed_size: 0
    .sgpr_count:     0
    .sgpr_spill_count: 0
    .symbol:         _ZN7rocprim17ROCPRIM_400000_NS6detail17trampoline_kernelINS0_13select_configILj256ELj13ELNS0_17block_load_methodE3ELS4_3ELS4_3ELNS0_20block_scan_algorithmE0ELj4294967295EEENS1_25partition_config_selectorILNS1_17partition_subalgoE4EjNS0_10empty_typeEbEEZZNS1_14partition_implILS8_4ELb0ES6_15HIP_vector_typeIjLj2EENS0_17counting_iteratorIjlEEPS9_SG_NS0_5tupleIJPjSI_NS0_16reverse_iteratorISI_EEEEENSH_IJSG_SG_SG_EEES9_SI_JZNS1_25segmented_radix_sort_implINS0_14default_configELb1EPKdPdPKlPlN2at6native12_GLOBAL__N_18offset_tEEE10hipError_tPvRmT1_PNSt15iterator_traitsIS12_E10value_typeET2_T3_PNS13_IS18_E10value_typeET4_jRbjT5_S1E_jjP12ihipStream_tbEUljE_ZNSN_ISO_Lb1ESQ_SR_ST_SU_SY_EESZ_S10_S11_S12_S16_S17_S18_S1B_S1C_jS1D_jS1E_S1E_jjS1G_bEUljE0_EEESZ_S10_S11_S18_S1C_S1E_T6_T7_T9_mT8_S1G_bDpT10_ENKUlT_T0_E_clISt17integral_constantIbLb1EES1U_EEDaS1P_S1Q_EUlS1P_E_NS1_11comp_targetILNS1_3genE9ELNS1_11target_archE1100ELNS1_3gpuE3ELNS1_3repE0EEENS1_30default_config_static_selectorELNS0_4arch9wavefront6targetE0EEEvS12_.kd
    .uniform_work_group_size: 1
    .uses_dynamic_stack: false
    .vgpr_count:     0
    .vgpr_spill_count: 0
    .wavefront_size: 32
  - .args:
      - .offset:         0
        .size:           184
        .value_kind:     by_value
    .group_segment_fixed_size: 0
    .kernarg_segment_align: 8
    .kernarg_segment_size: 184
    .language:       OpenCL C
    .language_version:
      - 2
      - 0
    .max_flat_workgroup_size: 256
    .name:           _ZN7rocprim17ROCPRIM_400000_NS6detail17trampoline_kernelINS0_13select_configILj256ELj13ELNS0_17block_load_methodE3ELS4_3ELS4_3ELNS0_20block_scan_algorithmE0ELj4294967295EEENS1_25partition_config_selectorILNS1_17partition_subalgoE4EjNS0_10empty_typeEbEEZZNS1_14partition_implILS8_4ELb0ES6_15HIP_vector_typeIjLj2EENS0_17counting_iteratorIjlEEPS9_SG_NS0_5tupleIJPjSI_NS0_16reverse_iteratorISI_EEEEENSH_IJSG_SG_SG_EEES9_SI_JZNS1_25segmented_radix_sort_implINS0_14default_configELb1EPKdPdPKlPlN2at6native12_GLOBAL__N_18offset_tEEE10hipError_tPvRmT1_PNSt15iterator_traitsIS12_E10value_typeET2_T3_PNS13_IS18_E10value_typeET4_jRbjT5_S1E_jjP12ihipStream_tbEUljE_ZNSN_ISO_Lb1ESQ_SR_ST_SU_SY_EESZ_S10_S11_S12_S16_S17_S18_S1B_S1C_jS1D_jS1E_S1E_jjS1G_bEUljE0_EEESZ_S10_S11_S18_S1C_S1E_T6_T7_T9_mT8_S1G_bDpT10_ENKUlT_T0_E_clISt17integral_constantIbLb1EES1U_EEDaS1P_S1Q_EUlS1P_E_NS1_11comp_targetILNS1_3genE8ELNS1_11target_archE1030ELNS1_3gpuE2ELNS1_3repE0EEENS1_30default_config_static_selectorELNS0_4arch9wavefront6targetE0EEEvS12_
    .private_segment_fixed_size: 0
    .sgpr_count:     0
    .sgpr_spill_count: 0
    .symbol:         _ZN7rocprim17ROCPRIM_400000_NS6detail17trampoline_kernelINS0_13select_configILj256ELj13ELNS0_17block_load_methodE3ELS4_3ELS4_3ELNS0_20block_scan_algorithmE0ELj4294967295EEENS1_25partition_config_selectorILNS1_17partition_subalgoE4EjNS0_10empty_typeEbEEZZNS1_14partition_implILS8_4ELb0ES6_15HIP_vector_typeIjLj2EENS0_17counting_iteratorIjlEEPS9_SG_NS0_5tupleIJPjSI_NS0_16reverse_iteratorISI_EEEEENSH_IJSG_SG_SG_EEES9_SI_JZNS1_25segmented_radix_sort_implINS0_14default_configELb1EPKdPdPKlPlN2at6native12_GLOBAL__N_18offset_tEEE10hipError_tPvRmT1_PNSt15iterator_traitsIS12_E10value_typeET2_T3_PNS13_IS18_E10value_typeET4_jRbjT5_S1E_jjP12ihipStream_tbEUljE_ZNSN_ISO_Lb1ESQ_SR_ST_SU_SY_EESZ_S10_S11_S12_S16_S17_S18_S1B_S1C_jS1D_jS1E_S1E_jjS1G_bEUljE0_EEESZ_S10_S11_S18_S1C_S1E_T6_T7_T9_mT8_S1G_bDpT10_ENKUlT_T0_E_clISt17integral_constantIbLb1EES1U_EEDaS1P_S1Q_EUlS1P_E_NS1_11comp_targetILNS1_3genE8ELNS1_11target_archE1030ELNS1_3gpuE2ELNS1_3repE0EEENS1_30default_config_static_selectorELNS0_4arch9wavefront6targetE0EEEvS12_.kd
    .uniform_work_group_size: 1
    .uses_dynamic_stack: false
    .vgpr_count:     0
    .vgpr_spill_count: 0
    .wavefront_size: 32
  - .args:
      - .offset:         0
        .size:           176
        .value_kind:     by_value
    .group_segment_fixed_size: 0
    .kernarg_segment_align: 8
    .kernarg_segment_size: 176
    .language:       OpenCL C
    .language_version:
      - 2
      - 0
    .max_flat_workgroup_size: 256
    .name:           _ZN7rocprim17ROCPRIM_400000_NS6detail17trampoline_kernelINS0_13select_configILj256ELj13ELNS0_17block_load_methodE3ELS4_3ELS4_3ELNS0_20block_scan_algorithmE0ELj4294967295EEENS1_25partition_config_selectorILNS1_17partition_subalgoE4EjNS0_10empty_typeEbEEZZNS1_14partition_implILS8_4ELb0ES6_15HIP_vector_typeIjLj2EENS0_17counting_iteratorIjlEEPS9_SG_NS0_5tupleIJPjSI_NS0_16reverse_iteratorISI_EEEEENSH_IJSG_SG_SG_EEES9_SI_JZNS1_25segmented_radix_sort_implINS0_14default_configELb1EPKdPdPKlPlN2at6native12_GLOBAL__N_18offset_tEEE10hipError_tPvRmT1_PNSt15iterator_traitsIS12_E10value_typeET2_T3_PNS13_IS18_E10value_typeET4_jRbjT5_S1E_jjP12ihipStream_tbEUljE_ZNSN_ISO_Lb1ESQ_SR_ST_SU_SY_EESZ_S10_S11_S12_S16_S17_S18_S1B_S1C_jS1D_jS1E_S1E_jjS1G_bEUljE0_EEESZ_S10_S11_S18_S1C_S1E_T6_T7_T9_mT8_S1G_bDpT10_ENKUlT_T0_E_clISt17integral_constantIbLb1EES1T_IbLb0EEEEDaS1P_S1Q_EUlS1P_E_NS1_11comp_targetILNS1_3genE0ELNS1_11target_archE4294967295ELNS1_3gpuE0ELNS1_3repE0EEENS1_30default_config_static_selectorELNS0_4arch9wavefront6targetE0EEEvS12_
    .private_segment_fixed_size: 0
    .sgpr_count:     0
    .sgpr_spill_count: 0
    .symbol:         _ZN7rocprim17ROCPRIM_400000_NS6detail17trampoline_kernelINS0_13select_configILj256ELj13ELNS0_17block_load_methodE3ELS4_3ELS4_3ELNS0_20block_scan_algorithmE0ELj4294967295EEENS1_25partition_config_selectorILNS1_17partition_subalgoE4EjNS0_10empty_typeEbEEZZNS1_14partition_implILS8_4ELb0ES6_15HIP_vector_typeIjLj2EENS0_17counting_iteratorIjlEEPS9_SG_NS0_5tupleIJPjSI_NS0_16reverse_iteratorISI_EEEEENSH_IJSG_SG_SG_EEES9_SI_JZNS1_25segmented_radix_sort_implINS0_14default_configELb1EPKdPdPKlPlN2at6native12_GLOBAL__N_18offset_tEEE10hipError_tPvRmT1_PNSt15iterator_traitsIS12_E10value_typeET2_T3_PNS13_IS18_E10value_typeET4_jRbjT5_S1E_jjP12ihipStream_tbEUljE_ZNSN_ISO_Lb1ESQ_SR_ST_SU_SY_EESZ_S10_S11_S12_S16_S17_S18_S1B_S1C_jS1D_jS1E_S1E_jjS1G_bEUljE0_EEESZ_S10_S11_S18_S1C_S1E_T6_T7_T9_mT8_S1G_bDpT10_ENKUlT_T0_E_clISt17integral_constantIbLb1EES1T_IbLb0EEEEDaS1P_S1Q_EUlS1P_E_NS1_11comp_targetILNS1_3genE0ELNS1_11target_archE4294967295ELNS1_3gpuE0ELNS1_3repE0EEENS1_30default_config_static_selectorELNS0_4arch9wavefront6targetE0EEEvS12_.kd
    .uniform_work_group_size: 1
    .uses_dynamic_stack: false
    .vgpr_count:     0
    .vgpr_spill_count: 0
    .wavefront_size: 32
  - .args:
      - .offset:         0
        .size:           176
        .value_kind:     by_value
    .group_segment_fixed_size: 0
    .kernarg_segment_align: 8
    .kernarg_segment_size: 176
    .language:       OpenCL C
    .language_version:
      - 2
      - 0
    .max_flat_workgroup_size: 256
    .name:           _ZN7rocprim17ROCPRIM_400000_NS6detail17trampoline_kernelINS0_13select_configILj256ELj13ELNS0_17block_load_methodE3ELS4_3ELS4_3ELNS0_20block_scan_algorithmE0ELj4294967295EEENS1_25partition_config_selectorILNS1_17partition_subalgoE4EjNS0_10empty_typeEbEEZZNS1_14partition_implILS8_4ELb0ES6_15HIP_vector_typeIjLj2EENS0_17counting_iteratorIjlEEPS9_SG_NS0_5tupleIJPjSI_NS0_16reverse_iteratorISI_EEEEENSH_IJSG_SG_SG_EEES9_SI_JZNS1_25segmented_radix_sort_implINS0_14default_configELb1EPKdPdPKlPlN2at6native12_GLOBAL__N_18offset_tEEE10hipError_tPvRmT1_PNSt15iterator_traitsIS12_E10value_typeET2_T3_PNS13_IS18_E10value_typeET4_jRbjT5_S1E_jjP12ihipStream_tbEUljE_ZNSN_ISO_Lb1ESQ_SR_ST_SU_SY_EESZ_S10_S11_S12_S16_S17_S18_S1B_S1C_jS1D_jS1E_S1E_jjS1G_bEUljE0_EEESZ_S10_S11_S18_S1C_S1E_T6_T7_T9_mT8_S1G_bDpT10_ENKUlT_T0_E_clISt17integral_constantIbLb1EES1T_IbLb0EEEEDaS1P_S1Q_EUlS1P_E_NS1_11comp_targetILNS1_3genE5ELNS1_11target_archE942ELNS1_3gpuE9ELNS1_3repE0EEENS1_30default_config_static_selectorELNS0_4arch9wavefront6targetE0EEEvS12_
    .private_segment_fixed_size: 0
    .sgpr_count:     0
    .sgpr_spill_count: 0
    .symbol:         _ZN7rocprim17ROCPRIM_400000_NS6detail17trampoline_kernelINS0_13select_configILj256ELj13ELNS0_17block_load_methodE3ELS4_3ELS4_3ELNS0_20block_scan_algorithmE0ELj4294967295EEENS1_25partition_config_selectorILNS1_17partition_subalgoE4EjNS0_10empty_typeEbEEZZNS1_14partition_implILS8_4ELb0ES6_15HIP_vector_typeIjLj2EENS0_17counting_iteratorIjlEEPS9_SG_NS0_5tupleIJPjSI_NS0_16reverse_iteratorISI_EEEEENSH_IJSG_SG_SG_EEES9_SI_JZNS1_25segmented_radix_sort_implINS0_14default_configELb1EPKdPdPKlPlN2at6native12_GLOBAL__N_18offset_tEEE10hipError_tPvRmT1_PNSt15iterator_traitsIS12_E10value_typeET2_T3_PNS13_IS18_E10value_typeET4_jRbjT5_S1E_jjP12ihipStream_tbEUljE_ZNSN_ISO_Lb1ESQ_SR_ST_SU_SY_EESZ_S10_S11_S12_S16_S17_S18_S1B_S1C_jS1D_jS1E_S1E_jjS1G_bEUljE0_EEESZ_S10_S11_S18_S1C_S1E_T6_T7_T9_mT8_S1G_bDpT10_ENKUlT_T0_E_clISt17integral_constantIbLb1EES1T_IbLb0EEEEDaS1P_S1Q_EUlS1P_E_NS1_11comp_targetILNS1_3genE5ELNS1_11target_archE942ELNS1_3gpuE9ELNS1_3repE0EEENS1_30default_config_static_selectorELNS0_4arch9wavefront6targetE0EEEvS12_.kd
    .uniform_work_group_size: 1
    .uses_dynamic_stack: false
    .vgpr_count:     0
    .vgpr_spill_count: 0
    .wavefront_size: 32
  - .args:
      - .offset:         0
        .size:           176
        .value_kind:     by_value
    .group_segment_fixed_size: 0
    .kernarg_segment_align: 8
    .kernarg_segment_size: 176
    .language:       OpenCL C
    .language_version:
      - 2
      - 0
    .max_flat_workgroup_size: 256
    .name:           _ZN7rocprim17ROCPRIM_400000_NS6detail17trampoline_kernelINS0_13select_configILj256ELj13ELNS0_17block_load_methodE3ELS4_3ELS4_3ELNS0_20block_scan_algorithmE0ELj4294967295EEENS1_25partition_config_selectorILNS1_17partition_subalgoE4EjNS0_10empty_typeEbEEZZNS1_14partition_implILS8_4ELb0ES6_15HIP_vector_typeIjLj2EENS0_17counting_iteratorIjlEEPS9_SG_NS0_5tupleIJPjSI_NS0_16reverse_iteratorISI_EEEEENSH_IJSG_SG_SG_EEES9_SI_JZNS1_25segmented_radix_sort_implINS0_14default_configELb1EPKdPdPKlPlN2at6native12_GLOBAL__N_18offset_tEEE10hipError_tPvRmT1_PNSt15iterator_traitsIS12_E10value_typeET2_T3_PNS13_IS18_E10value_typeET4_jRbjT5_S1E_jjP12ihipStream_tbEUljE_ZNSN_ISO_Lb1ESQ_SR_ST_SU_SY_EESZ_S10_S11_S12_S16_S17_S18_S1B_S1C_jS1D_jS1E_S1E_jjS1G_bEUljE0_EEESZ_S10_S11_S18_S1C_S1E_T6_T7_T9_mT8_S1G_bDpT10_ENKUlT_T0_E_clISt17integral_constantIbLb1EES1T_IbLb0EEEEDaS1P_S1Q_EUlS1P_E_NS1_11comp_targetILNS1_3genE4ELNS1_11target_archE910ELNS1_3gpuE8ELNS1_3repE0EEENS1_30default_config_static_selectorELNS0_4arch9wavefront6targetE0EEEvS12_
    .private_segment_fixed_size: 0
    .sgpr_count:     0
    .sgpr_spill_count: 0
    .symbol:         _ZN7rocprim17ROCPRIM_400000_NS6detail17trampoline_kernelINS0_13select_configILj256ELj13ELNS0_17block_load_methodE3ELS4_3ELS4_3ELNS0_20block_scan_algorithmE0ELj4294967295EEENS1_25partition_config_selectorILNS1_17partition_subalgoE4EjNS0_10empty_typeEbEEZZNS1_14partition_implILS8_4ELb0ES6_15HIP_vector_typeIjLj2EENS0_17counting_iteratorIjlEEPS9_SG_NS0_5tupleIJPjSI_NS0_16reverse_iteratorISI_EEEEENSH_IJSG_SG_SG_EEES9_SI_JZNS1_25segmented_radix_sort_implINS0_14default_configELb1EPKdPdPKlPlN2at6native12_GLOBAL__N_18offset_tEEE10hipError_tPvRmT1_PNSt15iterator_traitsIS12_E10value_typeET2_T3_PNS13_IS18_E10value_typeET4_jRbjT5_S1E_jjP12ihipStream_tbEUljE_ZNSN_ISO_Lb1ESQ_SR_ST_SU_SY_EESZ_S10_S11_S12_S16_S17_S18_S1B_S1C_jS1D_jS1E_S1E_jjS1G_bEUljE0_EEESZ_S10_S11_S18_S1C_S1E_T6_T7_T9_mT8_S1G_bDpT10_ENKUlT_T0_E_clISt17integral_constantIbLb1EES1T_IbLb0EEEEDaS1P_S1Q_EUlS1P_E_NS1_11comp_targetILNS1_3genE4ELNS1_11target_archE910ELNS1_3gpuE8ELNS1_3repE0EEENS1_30default_config_static_selectorELNS0_4arch9wavefront6targetE0EEEvS12_.kd
    .uniform_work_group_size: 1
    .uses_dynamic_stack: false
    .vgpr_count:     0
    .vgpr_spill_count: 0
    .wavefront_size: 32
  - .args:
      - .offset:         0
        .size:           176
        .value_kind:     by_value
    .group_segment_fixed_size: 0
    .kernarg_segment_align: 8
    .kernarg_segment_size: 176
    .language:       OpenCL C
    .language_version:
      - 2
      - 0
    .max_flat_workgroup_size: 256
    .name:           _ZN7rocprim17ROCPRIM_400000_NS6detail17trampoline_kernelINS0_13select_configILj256ELj13ELNS0_17block_load_methodE3ELS4_3ELS4_3ELNS0_20block_scan_algorithmE0ELj4294967295EEENS1_25partition_config_selectorILNS1_17partition_subalgoE4EjNS0_10empty_typeEbEEZZNS1_14partition_implILS8_4ELb0ES6_15HIP_vector_typeIjLj2EENS0_17counting_iteratorIjlEEPS9_SG_NS0_5tupleIJPjSI_NS0_16reverse_iteratorISI_EEEEENSH_IJSG_SG_SG_EEES9_SI_JZNS1_25segmented_radix_sort_implINS0_14default_configELb1EPKdPdPKlPlN2at6native12_GLOBAL__N_18offset_tEEE10hipError_tPvRmT1_PNSt15iterator_traitsIS12_E10value_typeET2_T3_PNS13_IS18_E10value_typeET4_jRbjT5_S1E_jjP12ihipStream_tbEUljE_ZNSN_ISO_Lb1ESQ_SR_ST_SU_SY_EESZ_S10_S11_S12_S16_S17_S18_S1B_S1C_jS1D_jS1E_S1E_jjS1G_bEUljE0_EEESZ_S10_S11_S18_S1C_S1E_T6_T7_T9_mT8_S1G_bDpT10_ENKUlT_T0_E_clISt17integral_constantIbLb1EES1T_IbLb0EEEEDaS1P_S1Q_EUlS1P_E_NS1_11comp_targetILNS1_3genE3ELNS1_11target_archE908ELNS1_3gpuE7ELNS1_3repE0EEENS1_30default_config_static_selectorELNS0_4arch9wavefront6targetE0EEEvS12_
    .private_segment_fixed_size: 0
    .sgpr_count:     0
    .sgpr_spill_count: 0
    .symbol:         _ZN7rocprim17ROCPRIM_400000_NS6detail17trampoline_kernelINS0_13select_configILj256ELj13ELNS0_17block_load_methodE3ELS4_3ELS4_3ELNS0_20block_scan_algorithmE0ELj4294967295EEENS1_25partition_config_selectorILNS1_17partition_subalgoE4EjNS0_10empty_typeEbEEZZNS1_14partition_implILS8_4ELb0ES6_15HIP_vector_typeIjLj2EENS0_17counting_iteratorIjlEEPS9_SG_NS0_5tupleIJPjSI_NS0_16reverse_iteratorISI_EEEEENSH_IJSG_SG_SG_EEES9_SI_JZNS1_25segmented_radix_sort_implINS0_14default_configELb1EPKdPdPKlPlN2at6native12_GLOBAL__N_18offset_tEEE10hipError_tPvRmT1_PNSt15iterator_traitsIS12_E10value_typeET2_T3_PNS13_IS18_E10value_typeET4_jRbjT5_S1E_jjP12ihipStream_tbEUljE_ZNSN_ISO_Lb1ESQ_SR_ST_SU_SY_EESZ_S10_S11_S12_S16_S17_S18_S1B_S1C_jS1D_jS1E_S1E_jjS1G_bEUljE0_EEESZ_S10_S11_S18_S1C_S1E_T6_T7_T9_mT8_S1G_bDpT10_ENKUlT_T0_E_clISt17integral_constantIbLb1EES1T_IbLb0EEEEDaS1P_S1Q_EUlS1P_E_NS1_11comp_targetILNS1_3genE3ELNS1_11target_archE908ELNS1_3gpuE7ELNS1_3repE0EEENS1_30default_config_static_selectorELNS0_4arch9wavefront6targetE0EEEvS12_.kd
    .uniform_work_group_size: 1
    .uses_dynamic_stack: false
    .vgpr_count:     0
    .vgpr_spill_count: 0
    .wavefront_size: 32
  - .args:
      - .offset:         0
        .size:           176
        .value_kind:     by_value
    .group_segment_fixed_size: 0
    .kernarg_segment_align: 8
    .kernarg_segment_size: 176
    .language:       OpenCL C
    .language_version:
      - 2
      - 0
    .max_flat_workgroup_size: 256
    .name:           _ZN7rocprim17ROCPRIM_400000_NS6detail17trampoline_kernelINS0_13select_configILj256ELj13ELNS0_17block_load_methodE3ELS4_3ELS4_3ELNS0_20block_scan_algorithmE0ELj4294967295EEENS1_25partition_config_selectorILNS1_17partition_subalgoE4EjNS0_10empty_typeEbEEZZNS1_14partition_implILS8_4ELb0ES6_15HIP_vector_typeIjLj2EENS0_17counting_iteratorIjlEEPS9_SG_NS0_5tupleIJPjSI_NS0_16reverse_iteratorISI_EEEEENSH_IJSG_SG_SG_EEES9_SI_JZNS1_25segmented_radix_sort_implINS0_14default_configELb1EPKdPdPKlPlN2at6native12_GLOBAL__N_18offset_tEEE10hipError_tPvRmT1_PNSt15iterator_traitsIS12_E10value_typeET2_T3_PNS13_IS18_E10value_typeET4_jRbjT5_S1E_jjP12ihipStream_tbEUljE_ZNSN_ISO_Lb1ESQ_SR_ST_SU_SY_EESZ_S10_S11_S12_S16_S17_S18_S1B_S1C_jS1D_jS1E_S1E_jjS1G_bEUljE0_EEESZ_S10_S11_S18_S1C_S1E_T6_T7_T9_mT8_S1G_bDpT10_ENKUlT_T0_E_clISt17integral_constantIbLb1EES1T_IbLb0EEEEDaS1P_S1Q_EUlS1P_E_NS1_11comp_targetILNS1_3genE2ELNS1_11target_archE906ELNS1_3gpuE6ELNS1_3repE0EEENS1_30default_config_static_selectorELNS0_4arch9wavefront6targetE0EEEvS12_
    .private_segment_fixed_size: 0
    .sgpr_count:     0
    .sgpr_spill_count: 0
    .symbol:         _ZN7rocprim17ROCPRIM_400000_NS6detail17trampoline_kernelINS0_13select_configILj256ELj13ELNS0_17block_load_methodE3ELS4_3ELS4_3ELNS0_20block_scan_algorithmE0ELj4294967295EEENS1_25partition_config_selectorILNS1_17partition_subalgoE4EjNS0_10empty_typeEbEEZZNS1_14partition_implILS8_4ELb0ES6_15HIP_vector_typeIjLj2EENS0_17counting_iteratorIjlEEPS9_SG_NS0_5tupleIJPjSI_NS0_16reverse_iteratorISI_EEEEENSH_IJSG_SG_SG_EEES9_SI_JZNS1_25segmented_radix_sort_implINS0_14default_configELb1EPKdPdPKlPlN2at6native12_GLOBAL__N_18offset_tEEE10hipError_tPvRmT1_PNSt15iterator_traitsIS12_E10value_typeET2_T3_PNS13_IS18_E10value_typeET4_jRbjT5_S1E_jjP12ihipStream_tbEUljE_ZNSN_ISO_Lb1ESQ_SR_ST_SU_SY_EESZ_S10_S11_S12_S16_S17_S18_S1B_S1C_jS1D_jS1E_S1E_jjS1G_bEUljE0_EEESZ_S10_S11_S18_S1C_S1E_T6_T7_T9_mT8_S1G_bDpT10_ENKUlT_T0_E_clISt17integral_constantIbLb1EES1T_IbLb0EEEEDaS1P_S1Q_EUlS1P_E_NS1_11comp_targetILNS1_3genE2ELNS1_11target_archE906ELNS1_3gpuE6ELNS1_3repE0EEENS1_30default_config_static_selectorELNS0_4arch9wavefront6targetE0EEEvS12_.kd
    .uniform_work_group_size: 1
    .uses_dynamic_stack: false
    .vgpr_count:     0
    .vgpr_spill_count: 0
    .wavefront_size: 32
  - .args:
      - .offset:         0
        .size:           176
        .value_kind:     by_value
    .group_segment_fixed_size: 0
    .kernarg_segment_align: 8
    .kernarg_segment_size: 176
    .language:       OpenCL C
    .language_version:
      - 2
      - 0
    .max_flat_workgroup_size: 256
    .name:           _ZN7rocprim17ROCPRIM_400000_NS6detail17trampoline_kernelINS0_13select_configILj256ELj13ELNS0_17block_load_methodE3ELS4_3ELS4_3ELNS0_20block_scan_algorithmE0ELj4294967295EEENS1_25partition_config_selectorILNS1_17partition_subalgoE4EjNS0_10empty_typeEbEEZZNS1_14partition_implILS8_4ELb0ES6_15HIP_vector_typeIjLj2EENS0_17counting_iteratorIjlEEPS9_SG_NS0_5tupleIJPjSI_NS0_16reverse_iteratorISI_EEEEENSH_IJSG_SG_SG_EEES9_SI_JZNS1_25segmented_radix_sort_implINS0_14default_configELb1EPKdPdPKlPlN2at6native12_GLOBAL__N_18offset_tEEE10hipError_tPvRmT1_PNSt15iterator_traitsIS12_E10value_typeET2_T3_PNS13_IS18_E10value_typeET4_jRbjT5_S1E_jjP12ihipStream_tbEUljE_ZNSN_ISO_Lb1ESQ_SR_ST_SU_SY_EESZ_S10_S11_S12_S16_S17_S18_S1B_S1C_jS1D_jS1E_S1E_jjS1G_bEUljE0_EEESZ_S10_S11_S18_S1C_S1E_T6_T7_T9_mT8_S1G_bDpT10_ENKUlT_T0_E_clISt17integral_constantIbLb1EES1T_IbLb0EEEEDaS1P_S1Q_EUlS1P_E_NS1_11comp_targetILNS1_3genE10ELNS1_11target_archE1200ELNS1_3gpuE4ELNS1_3repE0EEENS1_30default_config_static_selectorELNS0_4arch9wavefront6targetE0EEEvS12_
    .private_segment_fixed_size: 0
    .sgpr_count:     0
    .sgpr_spill_count: 0
    .symbol:         _ZN7rocprim17ROCPRIM_400000_NS6detail17trampoline_kernelINS0_13select_configILj256ELj13ELNS0_17block_load_methodE3ELS4_3ELS4_3ELNS0_20block_scan_algorithmE0ELj4294967295EEENS1_25partition_config_selectorILNS1_17partition_subalgoE4EjNS0_10empty_typeEbEEZZNS1_14partition_implILS8_4ELb0ES6_15HIP_vector_typeIjLj2EENS0_17counting_iteratorIjlEEPS9_SG_NS0_5tupleIJPjSI_NS0_16reverse_iteratorISI_EEEEENSH_IJSG_SG_SG_EEES9_SI_JZNS1_25segmented_radix_sort_implINS0_14default_configELb1EPKdPdPKlPlN2at6native12_GLOBAL__N_18offset_tEEE10hipError_tPvRmT1_PNSt15iterator_traitsIS12_E10value_typeET2_T3_PNS13_IS18_E10value_typeET4_jRbjT5_S1E_jjP12ihipStream_tbEUljE_ZNSN_ISO_Lb1ESQ_SR_ST_SU_SY_EESZ_S10_S11_S12_S16_S17_S18_S1B_S1C_jS1D_jS1E_S1E_jjS1G_bEUljE0_EEESZ_S10_S11_S18_S1C_S1E_T6_T7_T9_mT8_S1G_bDpT10_ENKUlT_T0_E_clISt17integral_constantIbLb1EES1T_IbLb0EEEEDaS1P_S1Q_EUlS1P_E_NS1_11comp_targetILNS1_3genE10ELNS1_11target_archE1200ELNS1_3gpuE4ELNS1_3repE0EEENS1_30default_config_static_selectorELNS0_4arch9wavefront6targetE0EEEvS12_.kd
    .uniform_work_group_size: 1
    .uses_dynamic_stack: false
    .vgpr_count:     0
    .vgpr_spill_count: 0
    .wavefront_size: 32
  - .args:
      - .offset:         0
        .size:           176
        .value_kind:     by_value
    .group_segment_fixed_size: 0
    .kernarg_segment_align: 8
    .kernarg_segment_size: 176
    .language:       OpenCL C
    .language_version:
      - 2
      - 0
    .max_flat_workgroup_size: 256
    .name:           _ZN7rocprim17ROCPRIM_400000_NS6detail17trampoline_kernelINS0_13select_configILj256ELj13ELNS0_17block_load_methodE3ELS4_3ELS4_3ELNS0_20block_scan_algorithmE0ELj4294967295EEENS1_25partition_config_selectorILNS1_17partition_subalgoE4EjNS0_10empty_typeEbEEZZNS1_14partition_implILS8_4ELb0ES6_15HIP_vector_typeIjLj2EENS0_17counting_iteratorIjlEEPS9_SG_NS0_5tupleIJPjSI_NS0_16reverse_iteratorISI_EEEEENSH_IJSG_SG_SG_EEES9_SI_JZNS1_25segmented_radix_sort_implINS0_14default_configELb1EPKdPdPKlPlN2at6native12_GLOBAL__N_18offset_tEEE10hipError_tPvRmT1_PNSt15iterator_traitsIS12_E10value_typeET2_T3_PNS13_IS18_E10value_typeET4_jRbjT5_S1E_jjP12ihipStream_tbEUljE_ZNSN_ISO_Lb1ESQ_SR_ST_SU_SY_EESZ_S10_S11_S12_S16_S17_S18_S1B_S1C_jS1D_jS1E_S1E_jjS1G_bEUljE0_EEESZ_S10_S11_S18_S1C_S1E_T6_T7_T9_mT8_S1G_bDpT10_ENKUlT_T0_E_clISt17integral_constantIbLb1EES1T_IbLb0EEEEDaS1P_S1Q_EUlS1P_E_NS1_11comp_targetILNS1_3genE9ELNS1_11target_archE1100ELNS1_3gpuE3ELNS1_3repE0EEENS1_30default_config_static_selectorELNS0_4arch9wavefront6targetE0EEEvS12_
    .private_segment_fixed_size: 0
    .sgpr_count:     0
    .sgpr_spill_count: 0
    .symbol:         _ZN7rocprim17ROCPRIM_400000_NS6detail17trampoline_kernelINS0_13select_configILj256ELj13ELNS0_17block_load_methodE3ELS4_3ELS4_3ELNS0_20block_scan_algorithmE0ELj4294967295EEENS1_25partition_config_selectorILNS1_17partition_subalgoE4EjNS0_10empty_typeEbEEZZNS1_14partition_implILS8_4ELb0ES6_15HIP_vector_typeIjLj2EENS0_17counting_iteratorIjlEEPS9_SG_NS0_5tupleIJPjSI_NS0_16reverse_iteratorISI_EEEEENSH_IJSG_SG_SG_EEES9_SI_JZNS1_25segmented_radix_sort_implINS0_14default_configELb1EPKdPdPKlPlN2at6native12_GLOBAL__N_18offset_tEEE10hipError_tPvRmT1_PNSt15iterator_traitsIS12_E10value_typeET2_T3_PNS13_IS18_E10value_typeET4_jRbjT5_S1E_jjP12ihipStream_tbEUljE_ZNSN_ISO_Lb1ESQ_SR_ST_SU_SY_EESZ_S10_S11_S12_S16_S17_S18_S1B_S1C_jS1D_jS1E_S1E_jjS1G_bEUljE0_EEESZ_S10_S11_S18_S1C_S1E_T6_T7_T9_mT8_S1G_bDpT10_ENKUlT_T0_E_clISt17integral_constantIbLb1EES1T_IbLb0EEEEDaS1P_S1Q_EUlS1P_E_NS1_11comp_targetILNS1_3genE9ELNS1_11target_archE1100ELNS1_3gpuE3ELNS1_3repE0EEENS1_30default_config_static_selectorELNS0_4arch9wavefront6targetE0EEEvS12_.kd
    .uniform_work_group_size: 1
    .uses_dynamic_stack: false
    .vgpr_count:     0
    .vgpr_spill_count: 0
    .wavefront_size: 32
  - .args:
      - .offset:         0
        .size:           176
        .value_kind:     by_value
    .group_segment_fixed_size: 0
    .kernarg_segment_align: 8
    .kernarg_segment_size: 176
    .language:       OpenCL C
    .language_version:
      - 2
      - 0
    .max_flat_workgroup_size: 256
    .name:           _ZN7rocprim17ROCPRIM_400000_NS6detail17trampoline_kernelINS0_13select_configILj256ELj13ELNS0_17block_load_methodE3ELS4_3ELS4_3ELNS0_20block_scan_algorithmE0ELj4294967295EEENS1_25partition_config_selectorILNS1_17partition_subalgoE4EjNS0_10empty_typeEbEEZZNS1_14partition_implILS8_4ELb0ES6_15HIP_vector_typeIjLj2EENS0_17counting_iteratorIjlEEPS9_SG_NS0_5tupleIJPjSI_NS0_16reverse_iteratorISI_EEEEENSH_IJSG_SG_SG_EEES9_SI_JZNS1_25segmented_radix_sort_implINS0_14default_configELb1EPKdPdPKlPlN2at6native12_GLOBAL__N_18offset_tEEE10hipError_tPvRmT1_PNSt15iterator_traitsIS12_E10value_typeET2_T3_PNS13_IS18_E10value_typeET4_jRbjT5_S1E_jjP12ihipStream_tbEUljE_ZNSN_ISO_Lb1ESQ_SR_ST_SU_SY_EESZ_S10_S11_S12_S16_S17_S18_S1B_S1C_jS1D_jS1E_S1E_jjS1G_bEUljE0_EEESZ_S10_S11_S18_S1C_S1E_T6_T7_T9_mT8_S1G_bDpT10_ENKUlT_T0_E_clISt17integral_constantIbLb1EES1T_IbLb0EEEEDaS1P_S1Q_EUlS1P_E_NS1_11comp_targetILNS1_3genE8ELNS1_11target_archE1030ELNS1_3gpuE2ELNS1_3repE0EEENS1_30default_config_static_selectorELNS0_4arch9wavefront6targetE0EEEvS12_
    .private_segment_fixed_size: 0
    .sgpr_count:     0
    .sgpr_spill_count: 0
    .symbol:         _ZN7rocprim17ROCPRIM_400000_NS6detail17trampoline_kernelINS0_13select_configILj256ELj13ELNS0_17block_load_methodE3ELS4_3ELS4_3ELNS0_20block_scan_algorithmE0ELj4294967295EEENS1_25partition_config_selectorILNS1_17partition_subalgoE4EjNS0_10empty_typeEbEEZZNS1_14partition_implILS8_4ELb0ES6_15HIP_vector_typeIjLj2EENS0_17counting_iteratorIjlEEPS9_SG_NS0_5tupleIJPjSI_NS0_16reverse_iteratorISI_EEEEENSH_IJSG_SG_SG_EEES9_SI_JZNS1_25segmented_radix_sort_implINS0_14default_configELb1EPKdPdPKlPlN2at6native12_GLOBAL__N_18offset_tEEE10hipError_tPvRmT1_PNSt15iterator_traitsIS12_E10value_typeET2_T3_PNS13_IS18_E10value_typeET4_jRbjT5_S1E_jjP12ihipStream_tbEUljE_ZNSN_ISO_Lb1ESQ_SR_ST_SU_SY_EESZ_S10_S11_S12_S16_S17_S18_S1B_S1C_jS1D_jS1E_S1E_jjS1G_bEUljE0_EEESZ_S10_S11_S18_S1C_S1E_T6_T7_T9_mT8_S1G_bDpT10_ENKUlT_T0_E_clISt17integral_constantIbLb1EES1T_IbLb0EEEEDaS1P_S1Q_EUlS1P_E_NS1_11comp_targetILNS1_3genE8ELNS1_11target_archE1030ELNS1_3gpuE2ELNS1_3repE0EEENS1_30default_config_static_selectorELNS0_4arch9wavefront6targetE0EEEvS12_.kd
    .uniform_work_group_size: 1
    .uses_dynamic_stack: false
    .vgpr_count:     0
    .vgpr_spill_count: 0
    .wavefront_size: 32
  - .args:
      - .offset:         0
        .size:           184
        .value_kind:     by_value
    .group_segment_fixed_size: 13328
    .kernarg_segment_align: 8
    .kernarg_segment_size: 184
    .language:       OpenCL C
    .language_version:
      - 2
      - 0
    .max_flat_workgroup_size: 256
    .name:           _ZN7rocprim17ROCPRIM_400000_NS6detail17trampoline_kernelINS0_13select_configILj256ELj13ELNS0_17block_load_methodE3ELS4_3ELS4_3ELNS0_20block_scan_algorithmE0ELj4294967295EEENS1_25partition_config_selectorILNS1_17partition_subalgoE4EjNS0_10empty_typeEbEEZZNS1_14partition_implILS8_4ELb0ES6_15HIP_vector_typeIjLj2EENS0_17counting_iteratorIjlEEPS9_SG_NS0_5tupleIJPjSI_NS0_16reverse_iteratorISI_EEEEENSH_IJSG_SG_SG_EEES9_SI_JZNS1_25segmented_radix_sort_implINS0_14default_configELb1EPKdPdPKlPlN2at6native12_GLOBAL__N_18offset_tEEE10hipError_tPvRmT1_PNSt15iterator_traitsIS12_E10value_typeET2_T3_PNS13_IS18_E10value_typeET4_jRbjT5_S1E_jjP12ihipStream_tbEUljE_ZNSN_ISO_Lb1ESQ_SR_ST_SU_SY_EESZ_S10_S11_S12_S16_S17_S18_S1B_S1C_jS1D_jS1E_S1E_jjS1G_bEUljE0_EEESZ_S10_S11_S18_S1C_S1E_T6_T7_T9_mT8_S1G_bDpT10_ENKUlT_T0_E_clISt17integral_constantIbLb0EES1T_IbLb1EEEEDaS1P_S1Q_EUlS1P_E_NS1_11comp_targetILNS1_3genE0ELNS1_11target_archE4294967295ELNS1_3gpuE0ELNS1_3repE0EEENS1_30default_config_static_selectorELNS0_4arch9wavefront6targetE0EEEvS12_
    .private_segment_fixed_size: 0
    .sgpr_count:     57
    .sgpr_spill_count: 0
    .symbol:         _ZN7rocprim17ROCPRIM_400000_NS6detail17trampoline_kernelINS0_13select_configILj256ELj13ELNS0_17block_load_methodE3ELS4_3ELS4_3ELNS0_20block_scan_algorithmE0ELj4294967295EEENS1_25partition_config_selectorILNS1_17partition_subalgoE4EjNS0_10empty_typeEbEEZZNS1_14partition_implILS8_4ELb0ES6_15HIP_vector_typeIjLj2EENS0_17counting_iteratorIjlEEPS9_SG_NS0_5tupleIJPjSI_NS0_16reverse_iteratorISI_EEEEENSH_IJSG_SG_SG_EEES9_SI_JZNS1_25segmented_radix_sort_implINS0_14default_configELb1EPKdPdPKlPlN2at6native12_GLOBAL__N_18offset_tEEE10hipError_tPvRmT1_PNSt15iterator_traitsIS12_E10value_typeET2_T3_PNS13_IS18_E10value_typeET4_jRbjT5_S1E_jjP12ihipStream_tbEUljE_ZNSN_ISO_Lb1ESQ_SR_ST_SU_SY_EESZ_S10_S11_S12_S16_S17_S18_S1B_S1C_jS1D_jS1E_S1E_jjS1G_bEUljE0_EEESZ_S10_S11_S18_S1C_S1E_T6_T7_T9_mT8_S1G_bDpT10_ENKUlT_T0_E_clISt17integral_constantIbLb0EES1T_IbLb1EEEEDaS1P_S1Q_EUlS1P_E_NS1_11comp_targetILNS1_3genE0ELNS1_11target_archE4294967295ELNS1_3gpuE0ELNS1_3repE0EEENS1_30default_config_static_selectorELNS0_4arch9wavefront6targetE0EEEvS12_.kd
    .uniform_work_group_size: 1
    .uses_dynamic_stack: false
    .vgpr_count:     86
    .vgpr_spill_count: 0
    .wavefront_size: 32
  - .args:
      - .offset:         0
        .size:           184
        .value_kind:     by_value
    .group_segment_fixed_size: 0
    .kernarg_segment_align: 8
    .kernarg_segment_size: 184
    .language:       OpenCL C
    .language_version:
      - 2
      - 0
    .max_flat_workgroup_size: 256
    .name:           _ZN7rocprim17ROCPRIM_400000_NS6detail17trampoline_kernelINS0_13select_configILj256ELj13ELNS0_17block_load_methodE3ELS4_3ELS4_3ELNS0_20block_scan_algorithmE0ELj4294967295EEENS1_25partition_config_selectorILNS1_17partition_subalgoE4EjNS0_10empty_typeEbEEZZNS1_14partition_implILS8_4ELb0ES6_15HIP_vector_typeIjLj2EENS0_17counting_iteratorIjlEEPS9_SG_NS0_5tupleIJPjSI_NS0_16reverse_iteratorISI_EEEEENSH_IJSG_SG_SG_EEES9_SI_JZNS1_25segmented_radix_sort_implINS0_14default_configELb1EPKdPdPKlPlN2at6native12_GLOBAL__N_18offset_tEEE10hipError_tPvRmT1_PNSt15iterator_traitsIS12_E10value_typeET2_T3_PNS13_IS18_E10value_typeET4_jRbjT5_S1E_jjP12ihipStream_tbEUljE_ZNSN_ISO_Lb1ESQ_SR_ST_SU_SY_EESZ_S10_S11_S12_S16_S17_S18_S1B_S1C_jS1D_jS1E_S1E_jjS1G_bEUljE0_EEESZ_S10_S11_S18_S1C_S1E_T6_T7_T9_mT8_S1G_bDpT10_ENKUlT_T0_E_clISt17integral_constantIbLb0EES1T_IbLb1EEEEDaS1P_S1Q_EUlS1P_E_NS1_11comp_targetILNS1_3genE5ELNS1_11target_archE942ELNS1_3gpuE9ELNS1_3repE0EEENS1_30default_config_static_selectorELNS0_4arch9wavefront6targetE0EEEvS12_
    .private_segment_fixed_size: 0
    .sgpr_count:     0
    .sgpr_spill_count: 0
    .symbol:         _ZN7rocprim17ROCPRIM_400000_NS6detail17trampoline_kernelINS0_13select_configILj256ELj13ELNS0_17block_load_methodE3ELS4_3ELS4_3ELNS0_20block_scan_algorithmE0ELj4294967295EEENS1_25partition_config_selectorILNS1_17partition_subalgoE4EjNS0_10empty_typeEbEEZZNS1_14partition_implILS8_4ELb0ES6_15HIP_vector_typeIjLj2EENS0_17counting_iteratorIjlEEPS9_SG_NS0_5tupleIJPjSI_NS0_16reverse_iteratorISI_EEEEENSH_IJSG_SG_SG_EEES9_SI_JZNS1_25segmented_radix_sort_implINS0_14default_configELb1EPKdPdPKlPlN2at6native12_GLOBAL__N_18offset_tEEE10hipError_tPvRmT1_PNSt15iterator_traitsIS12_E10value_typeET2_T3_PNS13_IS18_E10value_typeET4_jRbjT5_S1E_jjP12ihipStream_tbEUljE_ZNSN_ISO_Lb1ESQ_SR_ST_SU_SY_EESZ_S10_S11_S12_S16_S17_S18_S1B_S1C_jS1D_jS1E_S1E_jjS1G_bEUljE0_EEESZ_S10_S11_S18_S1C_S1E_T6_T7_T9_mT8_S1G_bDpT10_ENKUlT_T0_E_clISt17integral_constantIbLb0EES1T_IbLb1EEEEDaS1P_S1Q_EUlS1P_E_NS1_11comp_targetILNS1_3genE5ELNS1_11target_archE942ELNS1_3gpuE9ELNS1_3repE0EEENS1_30default_config_static_selectorELNS0_4arch9wavefront6targetE0EEEvS12_.kd
    .uniform_work_group_size: 1
    .uses_dynamic_stack: false
    .vgpr_count:     0
    .vgpr_spill_count: 0
    .wavefront_size: 32
  - .args:
      - .offset:         0
        .size:           184
        .value_kind:     by_value
    .group_segment_fixed_size: 0
    .kernarg_segment_align: 8
    .kernarg_segment_size: 184
    .language:       OpenCL C
    .language_version:
      - 2
      - 0
    .max_flat_workgroup_size: 256
    .name:           _ZN7rocprim17ROCPRIM_400000_NS6detail17trampoline_kernelINS0_13select_configILj256ELj13ELNS0_17block_load_methodE3ELS4_3ELS4_3ELNS0_20block_scan_algorithmE0ELj4294967295EEENS1_25partition_config_selectorILNS1_17partition_subalgoE4EjNS0_10empty_typeEbEEZZNS1_14partition_implILS8_4ELb0ES6_15HIP_vector_typeIjLj2EENS0_17counting_iteratorIjlEEPS9_SG_NS0_5tupleIJPjSI_NS0_16reverse_iteratorISI_EEEEENSH_IJSG_SG_SG_EEES9_SI_JZNS1_25segmented_radix_sort_implINS0_14default_configELb1EPKdPdPKlPlN2at6native12_GLOBAL__N_18offset_tEEE10hipError_tPvRmT1_PNSt15iterator_traitsIS12_E10value_typeET2_T3_PNS13_IS18_E10value_typeET4_jRbjT5_S1E_jjP12ihipStream_tbEUljE_ZNSN_ISO_Lb1ESQ_SR_ST_SU_SY_EESZ_S10_S11_S12_S16_S17_S18_S1B_S1C_jS1D_jS1E_S1E_jjS1G_bEUljE0_EEESZ_S10_S11_S18_S1C_S1E_T6_T7_T9_mT8_S1G_bDpT10_ENKUlT_T0_E_clISt17integral_constantIbLb0EES1T_IbLb1EEEEDaS1P_S1Q_EUlS1P_E_NS1_11comp_targetILNS1_3genE4ELNS1_11target_archE910ELNS1_3gpuE8ELNS1_3repE0EEENS1_30default_config_static_selectorELNS0_4arch9wavefront6targetE0EEEvS12_
    .private_segment_fixed_size: 0
    .sgpr_count:     0
    .sgpr_spill_count: 0
    .symbol:         _ZN7rocprim17ROCPRIM_400000_NS6detail17trampoline_kernelINS0_13select_configILj256ELj13ELNS0_17block_load_methodE3ELS4_3ELS4_3ELNS0_20block_scan_algorithmE0ELj4294967295EEENS1_25partition_config_selectorILNS1_17partition_subalgoE4EjNS0_10empty_typeEbEEZZNS1_14partition_implILS8_4ELb0ES6_15HIP_vector_typeIjLj2EENS0_17counting_iteratorIjlEEPS9_SG_NS0_5tupleIJPjSI_NS0_16reverse_iteratorISI_EEEEENSH_IJSG_SG_SG_EEES9_SI_JZNS1_25segmented_radix_sort_implINS0_14default_configELb1EPKdPdPKlPlN2at6native12_GLOBAL__N_18offset_tEEE10hipError_tPvRmT1_PNSt15iterator_traitsIS12_E10value_typeET2_T3_PNS13_IS18_E10value_typeET4_jRbjT5_S1E_jjP12ihipStream_tbEUljE_ZNSN_ISO_Lb1ESQ_SR_ST_SU_SY_EESZ_S10_S11_S12_S16_S17_S18_S1B_S1C_jS1D_jS1E_S1E_jjS1G_bEUljE0_EEESZ_S10_S11_S18_S1C_S1E_T6_T7_T9_mT8_S1G_bDpT10_ENKUlT_T0_E_clISt17integral_constantIbLb0EES1T_IbLb1EEEEDaS1P_S1Q_EUlS1P_E_NS1_11comp_targetILNS1_3genE4ELNS1_11target_archE910ELNS1_3gpuE8ELNS1_3repE0EEENS1_30default_config_static_selectorELNS0_4arch9wavefront6targetE0EEEvS12_.kd
    .uniform_work_group_size: 1
    .uses_dynamic_stack: false
    .vgpr_count:     0
    .vgpr_spill_count: 0
    .wavefront_size: 32
  - .args:
      - .offset:         0
        .size:           184
        .value_kind:     by_value
    .group_segment_fixed_size: 0
    .kernarg_segment_align: 8
    .kernarg_segment_size: 184
    .language:       OpenCL C
    .language_version:
      - 2
      - 0
    .max_flat_workgroup_size: 256
    .name:           _ZN7rocprim17ROCPRIM_400000_NS6detail17trampoline_kernelINS0_13select_configILj256ELj13ELNS0_17block_load_methodE3ELS4_3ELS4_3ELNS0_20block_scan_algorithmE0ELj4294967295EEENS1_25partition_config_selectorILNS1_17partition_subalgoE4EjNS0_10empty_typeEbEEZZNS1_14partition_implILS8_4ELb0ES6_15HIP_vector_typeIjLj2EENS0_17counting_iteratorIjlEEPS9_SG_NS0_5tupleIJPjSI_NS0_16reverse_iteratorISI_EEEEENSH_IJSG_SG_SG_EEES9_SI_JZNS1_25segmented_radix_sort_implINS0_14default_configELb1EPKdPdPKlPlN2at6native12_GLOBAL__N_18offset_tEEE10hipError_tPvRmT1_PNSt15iterator_traitsIS12_E10value_typeET2_T3_PNS13_IS18_E10value_typeET4_jRbjT5_S1E_jjP12ihipStream_tbEUljE_ZNSN_ISO_Lb1ESQ_SR_ST_SU_SY_EESZ_S10_S11_S12_S16_S17_S18_S1B_S1C_jS1D_jS1E_S1E_jjS1G_bEUljE0_EEESZ_S10_S11_S18_S1C_S1E_T6_T7_T9_mT8_S1G_bDpT10_ENKUlT_T0_E_clISt17integral_constantIbLb0EES1T_IbLb1EEEEDaS1P_S1Q_EUlS1P_E_NS1_11comp_targetILNS1_3genE3ELNS1_11target_archE908ELNS1_3gpuE7ELNS1_3repE0EEENS1_30default_config_static_selectorELNS0_4arch9wavefront6targetE0EEEvS12_
    .private_segment_fixed_size: 0
    .sgpr_count:     0
    .sgpr_spill_count: 0
    .symbol:         _ZN7rocprim17ROCPRIM_400000_NS6detail17trampoline_kernelINS0_13select_configILj256ELj13ELNS0_17block_load_methodE3ELS4_3ELS4_3ELNS0_20block_scan_algorithmE0ELj4294967295EEENS1_25partition_config_selectorILNS1_17partition_subalgoE4EjNS0_10empty_typeEbEEZZNS1_14partition_implILS8_4ELb0ES6_15HIP_vector_typeIjLj2EENS0_17counting_iteratorIjlEEPS9_SG_NS0_5tupleIJPjSI_NS0_16reverse_iteratorISI_EEEEENSH_IJSG_SG_SG_EEES9_SI_JZNS1_25segmented_radix_sort_implINS0_14default_configELb1EPKdPdPKlPlN2at6native12_GLOBAL__N_18offset_tEEE10hipError_tPvRmT1_PNSt15iterator_traitsIS12_E10value_typeET2_T3_PNS13_IS18_E10value_typeET4_jRbjT5_S1E_jjP12ihipStream_tbEUljE_ZNSN_ISO_Lb1ESQ_SR_ST_SU_SY_EESZ_S10_S11_S12_S16_S17_S18_S1B_S1C_jS1D_jS1E_S1E_jjS1G_bEUljE0_EEESZ_S10_S11_S18_S1C_S1E_T6_T7_T9_mT8_S1G_bDpT10_ENKUlT_T0_E_clISt17integral_constantIbLb0EES1T_IbLb1EEEEDaS1P_S1Q_EUlS1P_E_NS1_11comp_targetILNS1_3genE3ELNS1_11target_archE908ELNS1_3gpuE7ELNS1_3repE0EEENS1_30default_config_static_selectorELNS0_4arch9wavefront6targetE0EEEvS12_.kd
    .uniform_work_group_size: 1
    .uses_dynamic_stack: false
    .vgpr_count:     0
    .vgpr_spill_count: 0
    .wavefront_size: 32
  - .args:
      - .offset:         0
        .size:           184
        .value_kind:     by_value
    .group_segment_fixed_size: 0
    .kernarg_segment_align: 8
    .kernarg_segment_size: 184
    .language:       OpenCL C
    .language_version:
      - 2
      - 0
    .max_flat_workgroup_size: 256
    .name:           _ZN7rocprim17ROCPRIM_400000_NS6detail17trampoline_kernelINS0_13select_configILj256ELj13ELNS0_17block_load_methodE3ELS4_3ELS4_3ELNS0_20block_scan_algorithmE0ELj4294967295EEENS1_25partition_config_selectorILNS1_17partition_subalgoE4EjNS0_10empty_typeEbEEZZNS1_14partition_implILS8_4ELb0ES6_15HIP_vector_typeIjLj2EENS0_17counting_iteratorIjlEEPS9_SG_NS0_5tupleIJPjSI_NS0_16reverse_iteratorISI_EEEEENSH_IJSG_SG_SG_EEES9_SI_JZNS1_25segmented_radix_sort_implINS0_14default_configELb1EPKdPdPKlPlN2at6native12_GLOBAL__N_18offset_tEEE10hipError_tPvRmT1_PNSt15iterator_traitsIS12_E10value_typeET2_T3_PNS13_IS18_E10value_typeET4_jRbjT5_S1E_jjP12ihipStream_tbEUljE_ZNSN_ISO_Lb1ESQ_SR_ST_SU_SY_EESZ_S10_S11_S12_S16_S17_S18_S1B_S1C_jS1D_jS1E_S1E_jjS1G_bEUljE0_EEESZ_S10_S11_S18_S1C_S1E_T6_T7_T9_mT8_S1G_bDpT10_ENKUlT_T0_E_clISt17integral_constantIbLb0EES1T_IbLb1EEEEDaS1P_S1Q_EUlS1P_E_NS1_11comp_targetILNS1_3genE2ELNS1_11target_archE906ELNS1_3gpuE6ELNS1_3repE0EEENS1_30default_config_static_selectorELNS0_4arch9wavefront6targetE0EEEvS12_
    .private_segment_fixed_size: 0
    .sgpr_count:     0
    .sgpr_spill_count: 0
    .symbol:         _ZN7rocprim17ROCPRIM_400000_NS6detail17trampoline_kernelINS0_13select_configILj256ELj13ELNS0_17block_load_methodE3ELS4_3ELS4_3ELNS0_20block_scan_algorithmE0ELj4294967295EEENS1_25partition_config_selectorILNS1_17partition_subalgoE4EjNS0_10empty_typeEbEEZZNS1_14partition_implILS8_4ELb0ES6_15HIP_vector_typeIjLj2EENS0_17counting_iteratorIjlEEPS9_SG_NS0_5tupleIJPjSI_NS0_16reverse_iteratorISI_EEEEENSH_IJSG_SG_SG_EEES9_SI_JZNS1_25segmented_radix_sort_implINS0_14default_configELb1EPKdPdPKlPlN2at6native12_GLOBAL__N_18offset_tEEE10hipError_tPvRmT1_PNSt15iterator_traitsIS12_E10value_typeET2_T3_PNS13_IS18_E10value_typeET4_jRbjT5_S1E_jjP12ihipStream_tbEUljE_ZNSN_ISO_Lb1ESQ_SR_ST_SU_SY_EESZ_S10_S11_S12_S16_S17_S18_S1B_S1C_jS1D_jS1E_S1E_jjS1G_bEUljE0_EEESZ_S10_S11_S18_S1C_S1E_T6_T7_T9_mT8_S1G_bDpT10_ENKUlT_T0_E_clISt17integral_constantIbLb0EES1T_IbLb1EEEEDaS1P_S1Q_EUlS1P_E_NS1_11comp_targetILNS1_3genE2ELNS1_11target_archE906ELNS1_3gpuE6ELNS1_3repE0EEENS1_30default_config_static_selectorELNS0_4arch9wavefront6targetE0EEEvS12_.kd
    .uniform_work_group_size: 1
    .uses_dynamic_stack: false
    .vgpr_count:     0
    .vgpr_spill_count: 0
    .wavefront_size: 32
  - .args:
      - .offset:         0
        .size:           184
        .value_kind:     by_value
    .group_segment_fixed_size: 0
    .kernarg_segment_align: 8
    .kernarg_segment_size: 184
    .language:       OpenCL C
    .language_version:
      - 2
      - 0
    .max_flat_workgroup_size: 256
    .name:           _ZN7rocprim17ROCPRIM_400000_NS6detail17trampoline_kernelINS0_13select_configILj256ELj13ELNS0_17block_load_methodE3ELS4_3ELS4_3ELNS0_20block_scan_algorithmE0ELj4294967295EEENS1_25partition_config_selectorILNS1_17partition_subalgoE4EjNS0_10empty_typeEbEEZZNS1_14partition_implILS8_4ELb0ES6_15HIP_vector_typeIjLj2EENS0_17counting_iteratorIjlEEPS9_SG_NS0_5tupleIJPjSI_NS0_16reverse_iteratorISI_EEEEENSH_IJSG_SG_SG_EEES9_SI_JZNS1_25segmented_radix_sort_implINS0_14default_configELb1EPKdPdPKlPlN2at6native12_GLOBAL__N_18offset_tEEE10hipError_tPvRmT1_PNSt15iterator_traitsIS12_E10value_typeET2_T3_PNS13_IS18_E10value_typeET4_jRbjT5_S1E_jjP12ihipStream_tbEUljE_ZNSN_ISO_Lb1ESQ_SR_ST_SU_SY_EESZ_S10_S11_S12_S16_S17_S18_S1B_S1C_jS1D_jS1E_S1E_jjS1G_bEUljE0_EEESZ_S10_S11_S18_S1C_S1E_T6_T7_T9_mT8_S1G_bDpT10_ENKUlT_T0_E_clISt17integral_constantIbLb0EES1T_IbLb1EEEEDaS1P_S1Q_EUlS1P_E_NS1_11comp_targetILNS1_3genE10ELNS1_11target_archE1200ELNS1_3gpuE4ELNS1_3repE0EEENS1_30default_config_static_selectorELNS0_4arch9wavefront6targetE0EEEvS12_
    .private_segment_fixed_size: 0
    .sgpr_count:     0
    .sgpr_spill_count: 0
    .symbol:         _ZN7rocprim17ROCPRIM_400000_NS6detail17trampoline_kernelINS0_13select_configILj256ELj13ELNS0_17block_load_methodE3ELS4_3ELS4_3ELNS0_20block_scan_algorithmE0ELj4294967295EEENS1_25partition_config_selectorILNS1_17partition_subalgoE4EjNS0_10empty_typeEbEEZZNS1_14partition_implILS8_4ELb0ES6_15HIP_vector_typeIjLj2EENS0_17counting_iteratorIjlEEPS9_SG_NS0_5tupleIJPjSI_NS0_16reverse_iteratorISI_EEEEENSH_IJSG_SG_SG_EEES9_SI_JZNS1_25segmented_radix_sort_implINS0_14default_configELb1EPKdPdPKlPlN2at6native12_GLOBAL__N_18offset_tEEE10hipError_tPvRmT1_PNSt15iterator_traitsIS12_E10value_typeET2_T3_PNS13_IS18_E10value_typeET4_jRbjT5_S1E_jjP12ihipStream_tbEUljE_ZNSN_ISO_Lb1ESQ_SR_ST_SU_SY_EESZ_S10_S11_S12_S16_S17_S18_S1B_S1C_jS1D_jS1E_S1E_jjS1G_bEUljE0_EEESZ_S10_S11_S18_S1C_S1E_T6_T7_T9_mT8_S1G_bDpT10_ENKUlT_T0_E_clISt17integral_constantIbLb0EES1T_IbLb1EEEEDaS1P_S1Q_EUlS1P_E_NS1_11comp_targetILNS1_3genE10ELNS1_11target_archE1200ELNS1_3gpuE4ELNS1_3repE0EEENS1_30default_config_static_selectorELNS0_4arch9wavefront6targetE0EEEvS12_.kd
    .uniform_work_group_size: 1
    .uses_dynamic_stack: false
    .vgpr_count:     0
    .vgpr_spill_count: 0
    .wavefront_size: 32
  - .args:
      - .offset:         0
        .size:           184
        .value_kind:     by_value
    .group_segment_fixed_size: 0
    .kernarg_segment_align: 8
    .kernarg_segment_size: 184
    .language:       OpenCL C
    .language_version:
      - 2
      - 0
    .max_flat_workgroup_size: 256
    .name:           _ZN7rocprim17ROCPRIM_400000_NS6detail17trampoline_kernelINS0_13select_configILj256ELj13ELNS0_17block_load_methodE3ELS4_3ELS4_3ELNS0_20block_scan_algorithmE0ELj4294967295EEENS1_25partition_config_selectorILNS1_17partition_subalgoE4EjNS0_10empty_typeEbEEZZNS1_14partition_implILS8_4ELb0ES6_15HIP_vector_typeIjLj2EENS0_17counting_iteratorIjlEEPS9_SG_NS0_5tupleIJPjSI_NS0_16reverse_iteratorISI_EEEEENSH_IJSG_SG_SG_EEES9_SI_JZNS1_25segmented_radix_sort_implINS0_14default_configELb1EPKdPdPKlPlN2at6native12_GLOBAL__N_18offset_tEEE10hipError_tPvRmT1_PNSt15iterator_traitsIS12_E10value_typeET2_T3_PNS13_IS18_E10value_typeET4_jRbjT5_S1E_jjP12ihipStream_tbEUljE_ZNSN_ISO_Lb1ESQ_SR_ST_SU_SY_EESZ_S10_S11_S12_S16_S17_S18_S1B_S1C_jS1D_jS1E_S1E_jjS1G_bEUljE0_EEESZ_S10_S11_S18_S1C_S1E_T6_T7_T9_mT8_S1G_bDpT10_ENKUlT_T0_E_clISt17integral_constantIbLb0EES1T_IbLb1EEEEDaS1P_S1Q_EUlS1P_E_NS1_11comp_targetILNS1_3genE9ELNS1_11target_archE1100ELNS1_3gpuE3ELNS1_3repE0EEENS1_30default_config_static_selectorELNS0_4arch9wavefront6targetE0EEEvS12_
    .private_segment_fixed_size: 0
    .sgpr_count:     0
    .sgpr_spill_count: 0
    .symbol:         _ZN7rocprim17ROCPRIM_400000_NS6detail17trampoline_kernelINS0_13select_configILj256ELj13ELNS0_17block_load_methodE3ELS4_3ELS4_3ELNS0_20block_scan_algorithmE0ELj4294967295EEENS1_25partition_config_selectorILNS1_17partition_subalgoE4EjNS0_10empty_typeEbEEZZNS1_14partition_implILS8_4ELb0ES6_15HIP_vector_typeIjLj2EENS0_17counting_iteratorIjlEEPS9_SG_NS0_5tupleIJPjSI_NS0_16reverse_iteratorISI_EEEEENSH_IJSG_SG_SG_EEES9_SI_JZNS1_25segmented_radix_sort_implINS0_14default_configELb1EPKdPdPKlPlN2at6native12_GLOBAL__N_18offset_tEEE10hipError_tPvRmT1_PNSt15iterator_traitsIS12_E10value_typeET2_T3_PNS13_IS18_E10value_typeET4_jRbjT5_S1E_jjP12ihipStream_tbEUljE_ZNSN_ISO_Lb1ESQ_SR_ST_SU_SY_EESZ_S10_S11_S12_S16_S17_S18_S1B_S1C_jS1D_jS1E_S1E_jjS1G_bEUljE0_EEESZ_S10_S11_S18_S1C_S1E_T6_T7_T9_mT8_S1G_bDpT10_ENKUlT_T0_E_clISt17integral_constantIbLb0EES1T_IbLb1EEEEDaS1P_S1Q_EUlS1P_E_NS1_11comp_targetILNS1_3genE9ELNS1_11target_archE1100ELNS1_3gpuE3ELNS1_3repE0EEENS1_30default_config_static_selectorELNS0_4arch9wavefront6targetE0EEEvS12_.kd
    .uniform_work_group_size: 1
    .uses_dynamic_stack: false
    .vgpr_count:     0
    .vgpr_spill_count: 0
    .wavefront_size: 32
  - .args:
      - .offset:         0
        .size:           184
        .value_kind:     by_value
    .group_segment_fixed_size: 0
    .kernarg_segment_align: 8
    .kernarg_segment_size: 184
    .language:       OpenCL C
    .language_version:
      - 2
      - 0
    .max_flat_workgroup_size: 256
    .name:           _ZN7rocprim17ROCPRIM_400000_NS6detail17trampoline_kernelINS0_13select_configILj256ELj13ELNS0_17block_load_methodE3ELS4_3ELS4_3ELNS0_20block_scan_algorithmE0ELj4294967295EEENS1_25partition_config_selectorILNS1_17partition_subalgoE4EjNS0_10empty_typeEbEEZZNS1_14partition_implILS8_4ELb0ES6_15HIP_vector_typeIjLj2EENS0_17counting_iteratorIjlEEPS9_SG_NS0_5tupleIJPjSI_NS0_16reverse_iteratorISI_EEEEENSH_IJSG_SG_SG_EEES9_SI_JZNS1_25segmented_radix_sort_implINS0_14default_configELb1EPKdPdPKlPlN2at6native12_GLOBAL__N_18offset_tEEE10hipError_tPvRmT1_PNSt15iterator_traitsIS12_E10value_typeET2_T3_PNS13_IS18_E10value_typeET4_jRbjT5_S1E_jjP12ihipStream_tbEUljE_ZNSN_ISO_Lb1ESQ_SR_ST_SU_SY_EESZ_S10_S11_S12_S16_S17_S18_S1B_S1C_jS1D_jS1E_S1E_jjS1G_bEUljE0_EEESZ_S10_S11_S18_S1C_S1E_T6_T7_T9_mT8_S1G_bDpT10_ENKUlT_T0_E_clISt17integral_constantIbLb0EES1T_IbLb1EEEEDaS1P_S1Q_EUlS1P_E_NS1_11comp_targetILNS1_3genE8ELNS1_11target_archE1030ELNS1_3gpuE2ELNS1_3repE0EEENS1_30default_config_static_selectorELNS0_4arch9wavefront6targetE0EEEvS12_
    .private_segment_fixed_size: 0
    .sgpr_count:     0
    .sgpr_spill_count: 0
    .symbol:         _ZN7rocprim17ROCPRIM_400000_NS6detail17trampoline_kernelINS0_13select_configILj256ELj13ELNS0_17block_load_methodE3ELS4_3ELS4_3ELNS0_20block_scan_algorithmE0ELj4294967295EEENS1_25partition_config_selectorILNS1_17partition_subalgoE4EjNS0_10empty_typeEbEEZZNS1_14partition_implILS8_4ELb0ES6_15HIP_vector_typeIjLj2EENS0_17counting_iteratorIjlEEPS9_SG_NS0_5tupleIJPjSI_NS0_16reverse_iteratorISI_EEEEENSH_IJSG_SG_SG_EEES9_SI_JZNS1_25segmented_radix_sort_implINS0_14default_configELb1EPKdPdPKlPlN2at6native12_GLOBAL__N_18offset_tEEE10hipError_tPvRmT1_PNSt15iterator_traitsIS12_E10value_typeET2_T3_PNS13_IS18_E10value_typeET4_jRbjT5_S1E_jjP12ihipStream_tbEUljE_ZNSN_ISO_Lb1ESQ_SR_ST_SU_SY_EESZ_S10_S11_S12_S16_S17_S18_S1B_S1C_jS1D_jS1E_S1E_jjS1G_bEUljE0_EEESZ_S10_S11_S18_S1C_S1E_T6_T7_T9_mT8_S1G_bDpT10_ENKUlT_T0_E_clISt17integral_constantIbLb0EES1T_IbLb1EEEEDaS1P_S1Q_EUlS1P_E_NS1_11comp_targetILNS1_3genE8ELNS1_11target_archE1030ELNS1_3gpuE2ELNS1_3repE0EEENS1_30default_config_static_selectorELNS0_4arch9wavefront6targetE0EEEvS12_.kd
    .uniform_work_group_size: 1
    .uses_dynamic_stack: false
    .vgpr_count:     0
    .vgpr_spill_count: 0
    .wavefront_size: 32
  - .args:
      - .offset:         0
        .size:           144
        .value_kind:     by_value
    .group_segment_fixed_size: 13320
    .kernarg_segment_align: 8
    .kernarg_segment_size: 144
    .language:       OpenCL C
    .language_version:
      - 2
      - 0
    .max_flat_workgroup_size: 256
    .name:           _ZN7rocprim17ROCPRIM_400000_NS6detail17trampoline_kernelINS0_13select_configILj256ELj13ELNS0_17block_load_methodE3ELS4_3ELS4_3ELNS0_20block_scan_algorithmE0ELj4294967295EEENS1_25partition_config_selectorILNS1_17partition_subalgoE3EjNS0_10empty_typeEbEEZZNS1_14partition_implILS8_3ELb0ES6_jNS0_17counting_iteratorIjlEEPS9_SE_NS0_5tupleIJPjSE_EEENSF_IJSE_SE_EEES9_SG_JZNS1_25segmented_radix_sort_implINS0_14default_configELb1EPKdPdPKlPlN2at6native12_GLOBAL__N_18offset_tEEE10hipError_tPvRmT1_PNSt15iterator_traitsISY_E10value_typeET2_T3_PNSZ_IS14_E10value_typeET4_jRbjT5_S1A_jjP12ihipStream_tbEUljE_EEESV_SW_SX_S14_S18_S1A_T6_T7_T9_mT8_S1C_bDpT10_ENKUlT_T0_E_clISt17integral_constantIbLb0EES1P_EEDaS1K_S1L_EUlS1K_E_NS1_11comp_targetILNS1_3genE0ELNS1_11target_archE4294967295ELNS1_3gpuE0ELNS1_3repE0EEENS1_30default_config_static_selectorELNS0_4arch9wavefront6targetE0EEEvSY_
    .private_segment_fixed_size: 0
    .sgpr_count:     28
    .sgpr_spill_count: 0
    .symbol:         _ZN7rocprim17ROCPRIM_400000_NS6detail17trampoline_kernelINS0_13select_configILj256ELj13ELNS0_17block_load_methodE3ELS4_3ELS4_3ELNS0_20block_scan_algorithmE0ELj4294967295EEENS1_25partition_config_selectorILNS1_17partition_subalgoE3EjNS0_10empty_typeEbEEZZNS1_14partition_implILS8_3ELb0ES6_jNS0_17counting_iteratorIjlEEPS9_SE_NS0_5tupleIJPjSE_EEENSF_IJSE_SE_EEES9_SG_JZNS1_25segmented_radix_sort_implINS0_14default_configELb1EPKdPdPKlPlN2at6native12_GLOBAL__N_18offset_tEEE10hipError_tPvRmT1_PNSt15iterator_traitsISY_E10value_typeET2_T3_PNSZ_IS14_E10value_typeET4_jRbjT5_S1A_jjP12ihipStream_tbEUljE_EEESV_SW_SX_S14_S18_S1A_T6_T7_T9_mT8_S1C_bDpT10_ENKUlT_T0_E_clISt17integral_constantIbLb0EES1P_EEDaS1K_S1L_EUlS1K_E_NS1_11comp_targetILNS1_3genE0ELNS1_11target_archE4294967295ELNS1_3gpuE0ELNS1_3repE0EEENS1_30default_config_static_selectorELNS0_4arch9wavefront6targetE0EEEvSY_.kd
    .uniform_work_group_size: 1
    .uses_dynamic_stack: false
    .vgpr_count:     69
    .vgpr_spill_count: 0
    .wavefront_size: 32
  - .args:
      - .offset:         0
        .size:           144
        .value_kind:     by_value
    .group_segment_fixed_size: 0
    .kernarg_segment_align: 8
    .kernarg_segment_size: 144
    .language:       OpenCL C
    .language_version:
      - 2
      - 0
    .max_flat_workgroup_size: 256
    .name:           _ZN7rocprim17ROCPRIM_400000_NS6detail17trampoline_kernelINS0_13select_configILj256ELj13ELNS0_17block_load_methodE3ELS4_3ELS4_3ELNS0_20block_scan_algorithmE0ELj4294967295EEENS1_25partition_config_selectorILNS1_17partition_subalgoE3EjNS0_10empty_typeEbEEZZNS1_14partition_implILS8_3ELb0ES6_jNS0_17counting_iteratorIjlEEPS9_SE_NS0_5tupleIJPjSE_EEENSF_IJSE_SE_EEES9_SG_JZNS1_25segmented_radix_sort_implINS0_14default_configELb1EPKdPdPKlPlN2at6native12_GLOBAL__N_18offset_tEEE10hipError_tPvRmT1_PNSt15iterator_traitsISY_E10value_typeET2_T3_PNSZ_IS14_E10value_typeET4_jRbjT5_S1A_jjP12ihipStream_tbEUljE_EEESV_SW_SX_S14_S18_S1A_T6_T7_T9_mT8_S1C_bDpT10_ENKUlT_T0_E_clISt17integral_constantIbLb0EES1P_EEDaS1K_S1L_EUlS1K_E_NS1_11comp_targetILNS1_3genE5ELNS1_11target_archE942ELNS1_3gpuE9ELNS1_3repE0EEENS1_30default_config_static_selectorELNS0_4arch9wavefront6targetE0EEEvSY_
    .private_segment_fixed_size: 0
    .sgpr_count:     0
    .sgpr_spill_count: 0
    .symbol:         _ZN7rocprim17ROCPRIM_400000_NS6detail17trampoline_kernelINS0_13select_configILj256ELj13ELNS0_17block_load_methodE3ELS4_3ELS4_3ELNS0_20block_scan_algorithmE0ELj4294967295EEENS1_25partition_config_selectorILNS1_17partition_subalgoE3EjNS0_10empty_typeEbEEZZNS1_14partition_implILS8_3ELb0ES6_jNS0_17counting_iteratorIjlEEPS9_SE_NS0_5tupleIJPjSE_EEENSF_IJSE_SE_EEES9_SG_JZNS1_25segmented_radix_sort_implINS0_14default_configELb1EPKdPdPKlPlN2at6native12_GLOBAL__N_18offset_tEEE10hipError_tPvRmT1_PNSt15iterator_traitsISY_E10value_typeET2_T3_PNSZ_IS14_E10value_typeET4_jRbjT5_S1A_jjP12ihipStream_tbEUljE_EEESV_SW_SX_S14_S18_S1A_T6_T7_T9_mT8_S1C_bDpT10_ENKUlT_T0_E_clISt17integral_constantIbLb0EES1P_EEDaS1K_S1L_EUlS1K_E_NS1_11comp_targetILNS1_3genE5ELNS1_11target_archE942ELNS1_3gpuE9ELNS1_3repE0EEENS1_30default_config_static_selectorELNS0_4arch9wavefront6targetE0EEEvSY_.kd
    .uniform_work_group_size: 1
    .uses_dynamic_stack: false
    .vgpr_count:     0
    .vgpr_spill_count: 0
    .wavefront_size: 32
  - .args:
      - .offset:         0
        .size:           144
        .value_kind:     by_value
    .group_segment_fixed_size: 0
    .kernarg_segment_align: 8
    .kernarg_segment_size: 144
    .language:       OpenCL C
    .language_version:
      - 2
      - 0
    .max_flat_workgroup_size: 256
    .name:           _ZN7rocprim17ROCPRIM_400000_NS6detail17trampoline_kernelINS0_13select_configILj256ELj13ELNS0_17block_load_methodE3ELS4_3ELS4_3ELNS0_20block_scan_algorithmE0ELj4294967295EEENS1_25partition_config_selectorILNS1_17partition_subalgoE3EjNS0_10empty_typeEbEEZZNS1_14partition_implILS8_3ELb0ES6_jNS0_17counting_iteratorIjlEEPS9_SE_NS0_5tupleIJPjSE_EEENSF_IJSE_SE_EEES9_SG_JZNS1_25segmented_radix_sort_implINS0_14default_configELb1EPKdPdPKlPlN2at6native12_GLOBAL__N_18offset_tEEE10hipError_tPvRmT1_PNSt15iterator_traitsISY_E10value_typeET2_T3_PNSZ_IS14_E10value_typeET4_jRbjT5_S1A_jjP12ihipStream_tbEUljE_EEESV_SW_SX_S14_S18_S1A_T6_T7_T9_mT8_S1C_bDpT10_ENKUlT_T0_E_clISt17integral_constantIbLb0EES1P_EEDaS1K_S1L_EUlS1K_E_NS1_11comp_targetILNS1_3genE4ELNS1_11target_archE910ELNS1_3gpuE8ELNS1_3repE0EEENS1_30default_config_static_selectorELNS0_4arch9wavefront6targetE0EEEvSY_
    .private_segment_fixed_size: 0
    .sgpr_count:     0
    .sgpr_spill_count: 0
    .symbol:         _ZN7rocprim17ROCPRIM_400000_NS6detail17trampoline_kernelINS0_13select_configILj256ELj13ELNS0_17block_load_methodE3ELS4_3ELS4_3ELNS0_20block_scan_algorithmE0ELj4294967295EEENS1_25partition_config_selectorILNS1_17partition_subalgoE3EjNS0_10empty_typeEbEEZZNS1_14partition_implILS8_3ELb0ES6_jNS0_17counting_iteratorIjlEEPS9_SE_NS0_5tupleIJPjSE_EEENSF_IJSE_SE_EEES9_SG_JZNS1_25segmented_radix_sort_implINS0_14default_configELb1EPKdPdPKlPlN2at6native12_GLOBAL__N_18offset_tEEE10hipError_tPvRmT1_PNSt15iterator_traitsISY_E10value_typeET2_T3_PNSZ_IS14_E10value_typeET4_jRbjT5_S1A_jjP12ihipStream_tbEUljE_EEESV_SW_SX_S14_S18_S1A_T6_T7_T9_mT8_S1C_bDpT10_ENKUlT_T0_E_clISt17integral_constantIbLb0EES1P_EEDaS1K_S1L_EUlS1K_E_NS1_11comp_targetILNS1_3genE4ELNS1_11target_archE910ELNS1_3gpuE8ELNS1_3repE0EEENS1_30default_config_static_selectorELNS0_4arch9wavefront6targetE0EEEvSY_.kd
    .uniform_work_group_size: 1
    .uses_dynamic_stack: false
    .vgpr_count:     0
    .vgpr_spill_count: 0
    .wavefront_size: 32
  - .args:
      - .offset:         0
        .size:           144
        .value_kind:     by_value
    .group_segment_fixed_size: 0
    .kernarg_segment_align: 8
    .kernarg_segment_size: 144
    .language:       OpenCL C
    .language_version:
      - 2
      - 0
    .max_flat_workgroup_size: 256
    .name:           _ZN7rocprim17ROCPRIM_400000_NS6detail17trampoline_kernelINS0_13select_configILj256ELj13ELNS0_17block_load_methodE3ELS4_3ELS4_3ELNS0_20block_scan_algorithmE0ELj4294967295EEENS1_25partition_config_selectorILNS1_17partition_subalgoE3EjNS0_10empty_typeEbEEZZNS1_14partition_implILS8_3ELb0ES6_jNS0_17counting_iteratorIjlEEPS9_SE_NS0_5tupleIJPjSE_EEENSF_IJSE_SE_EEES9_SG_JZNS1_25segmented_radix_sort_implINS0_14default_configELb1EPKdPdPKlPlN2at6native12_GLOBAL__N_18offset_tEEE10hipError_tPvRmT1_PNSt15iterator_traitsISY_E10value_typeET2_T3_PNSZ_IS14_E10value_typeET4_jRbjT5_S1A_jjP12ihipStream_tbEUljE_EEESV_SW_SX_S14_S18_S1A_T6_T7_T9_mT8_S1C_bDpT10_ENKUlT_T0_E_clISt17integral_constantIbLb0EES1P_EEDaS1K_S1L_EUlS1K_E_NS1_11comp_targetILNS1_3genE3ELNS1_11target_archE908ELNS1_3gpuE7ELNS1_3repE0EEENS1_30default_config_static_selectorELNS0_4arch9wavefront6targetE0EEEvSY_
    .private_segment_fixed_size: 0
    .sgpr_count:     0
    .sgpr_spill_count: 0
    .symbol:         _ZN7rocprim17ROCPRIM_400000_NS6detail17trampoline_kernelINS0_13select_configILj256ELj13ELNS0_17block_load_methodE3ELS4_3ELS4_3ELNS0_20block_scan_algorithmE0ELj4294967295EEENS1_25partition_config_selectorILNS1_17partition_subalgoE3EjNS0_10empty_typeEbEEZZNS1_14partition_implILS8_3ELb0ES6_jNS0_17counting_iteratorIjlEEPS9_SE_NS0_5tupleIJPjSE_EEENSF_IJSE_SE_EEES9_SG_JZNS1_25segmented_radix_sort_implINS0_14default_configELb1EPKdPdPKlPlN2at6native12_GLOBAL__N_18offset_tEEE10hipError_tPvRmT1_PNSt15iterator_traitsISY_E10value_typeET2_T3_PNSZ_IS14_E10value_typeET4_jRbjT5_S1A_jjP12ihipStream_tbEUljE_EEESV_SW_SX_S14_S18_S1A_T6_T7_T9_mT8_S1C_bDpT10_ENKUlT_T0_E_clISt17integral_constantIbLb0EES1P_EEDaS1K_S1L_EUlS1K_E_NS1_11comp_targetILNS1_3genE3ELNS1_11target_archE908ELNS1_3gpuE7ELNS1_3repE0EEENS1_30default_config_static_selectorELNS0_4arch9wavefront6targetE0EEEvSY_.kd
    .uniform_work_group_size: 1
    .uses_dynamic_stack: false
    .vgpr_count:     0
    .vgpr_spill_count: 0
    .wavefront_size: 32
  - .args:
      - .offset:         0
        .size:           144
        .value_kind:     by_value
    .group_segment_fixed_size: 0
    .kernarg_segment_align: 8
    .kernarg_segment_size: 144
    .language:       OpenCL C
    .language_version:
      - 2
      - 0
    .max_flat_workgroup_size: 256
    .name:           _ZN7rocprim17ROCPRIM_400000_NS6detail17trampoline_kernelINS0_13select_configILj256ELj13ELNS0_17block_load_methodE3ELS4_3ELS4_3ELNS0_20block_scan_algorithmE0ELj4294967295EEENS1_25partition_config_selectorILNS1_17partition_subalgoE3EjNS0_10empty_typeEbEEZZNS1_14partition_implILS8_3ELb0ES6_jNS0_17counting_iteratorIjlEEPS9_SE_NS0_5tupleIJPjSE_EEENSF_IJSE_SE_EEES9_SG_JZNS1_25segmented_radix_sort_implINS0_14default_configELb1EPKdPdPKlPlN2at6native12_GLOBAL__N_18offset_tEEE10hipError_tPvRmT1_PNSt15iterator_traitsISY_E10value_typeET2_T3_PNSZ_IS14_E10value_typeET4_jRbjT5_S1A_jjP12ihipStream_tbEUljE_EEESV_SW_SX_S14_S18_S1A_T6_T7_T9_mT8_S1C_bDpT10_ENKUlT_T0_E_clISt17integral_constantIbLb0EES1P_EEDaS1K_S1L_EUlS1K_E_NS1_11comp_targetILNS1_3genE2ELNS1_11target_archE906ELNS1_3gpuE6ELNS1_3repE0EEENS1_30default_config_static_selectorELNS0_4arch9wavefront6targetE0EEEvSY_
    .private_segment_fixed_size: 0
    .sgpr_count:     0
    .sgpr_spill_count: 0
    .symbol:         _ZN7rocprim17ROCPRIM_400000_NS6detail17trampoline_kernelINS0_13select_configILj256ELj13ELNS0_17block_load_methodE3ELS4_3ELS4_3ELNS0_20block_scan_algorithmE0ELj4294967295EEENS1_25partition_config_selectorILNS1_17partition_subalgoE3EjNS0_10empty_typeEbEEZZNS1_14partition_implILS8_3ELb0ES6_jNS0_17counting_iteratorIjlEEPS9_SE_NS0_5tupleIJPjSE_EEENSF_IJSE_SE_EEES9_SG_JZNS1_25segmented_radix_sort_implINS0_14default_configELb1EPKdPdPKlPlN2at6native12_GLOBAL__N_18offset_tEEE10hipError_tPvRmT1_PNSt15iterator_traitsISY_E10value_typeET2_T3_PNSZ_IS14_E10value_typeET4_jRbjT5_S1A_jjP12ihipStream_tbEUljE_EEESV_SW_SX_S14_S18_S1A_T6_T7_T9_mT8_S1C_bDpT10_ENKUlT_T0_E_clISt17integral_constantIbLb0EES1P_EEDaS1K_S1L_EUlS1K_E_NS1_11comp_targetILNS1_3genE2ELNS1_11target_archE906ELNS1_3gpuE6ELNS1_3repE0EEENS1_30default_config_static_selectorELNS0_4arch9wavefront6targetE0EEEvSY_.kd
    .uniform_work_group_size: 1
    .uses_dynamic_stack: false
    .vgpr_count:     0
    .vgpr_spill_count: 0
    .wavefront_size: 32
  - .args:
      - .offset:         0
        .size:           144
        .value_kind:     by_value
    .group_segment_fixed_size: 0
    .kernarg_segment_align: 8
    .kernarg_segment_size: 144
    .language:       OpenCL C
    .language_version:
      - 2
      - 0
    .max_flat_workgroup_size: 256
    .name:           _ZN7rocprim17ROCPRIM_400000_NS6detail17trampoline_kernelINS0_13select_configILj256ELj13ELNS0_17block_load_methodE3ELS4_3ELS4_3ELNS0_20block_scan_algorithmE0ELj4294967295EEENS1_25partition_config_selectorILNS1_17partition_subalgoE3EjNS0_10empty_typeEbEEZZNS1_14partition_implILS8_3ELb0ES6_jNS0_17counting_iteratorIjlEEPS9_SE_NS0_5tupleIJPjSE_EEENSF_IJSE_SE_EEES9_SG_JZNS1_25segmented_radix_sort_implINS0_14default_configELb1EPKdPdPKlPlN2at6native12_GLOBAL__N_18offset_tEEE10hipError_tPvRmT1_PNSt15iterator_traitsISY_E10value_typeET2_T3_PNSZ_IS14_E10value_typeET4_jRbjT5_S1A_jjP12ihipStream_tbEUljE_EEESV_SW_SX_S14_S18_S1A_T6_T7_T9_mT8_S1C_bDpT10_ENKUlT_T0_E_clISt17integral_constantIbLb0EES1P_EEDaS1K_S1L_EUlS1K_E_NS1_11comp_targetILNS1_3genE10ELNS1_11target_archE1200ELNS1_3gpuE4ELNS1_3repE0EEENS1_30default_config_static_selectorELNS0_4arch9wavefront6targetE0EEEvSY_
    .private_segment_fixed_size: 0
    .sgpr_count:     0
    .sgpr_spill_count: 0
    .symbol:         _ZN7rocprim17ROCPRIM_400000_NS6detail17trampoline_kernelINS0_13select_configILj256ELj13ELNS0_17block_load_methodE3ELS4_3ELS4_3ELNS0_20block_scan_algorithmE0ELj4294967295EEENS1_25partition_config_selectorILNS1_17partition_subalgoE3EjNS0_10empty_typeEbEEZZNS1_14partition_implILS8_3ELb0ES6_jNS0_17counting_iteratorIjlEEPS9_SE_NS0_5tupleIJPjSE_EEENSF_IJSE_SE_EEES9_SG_JZNS1_25segmented_radix_sort_implINS0_14default_configELb1EPKdPdPKlPlN2at6native12_GLOBAL__N_18offset_tEEE10hipError_tPvRmT1_PNSt15iterator_traitsISY_E10value_typeET2_T3_PNSZ_IS14_E10value_typeET4_jRbjT5_S1A_jjP12ihipStream_tbEUljE_EEESV_SW_SX_S14_S18_S1A_T6_T7_T9_mT8_S1C_bDpT10_ENKUlT_T0_E_clISt17integral_constantIbLb0EES1P_EEDaS1K_S1L_EUlS1K_E_NS1_11comp_targetILNS1_3genE10ELNS1_11target_archE1200ELNS1_3gpuE4ELNS1_3repE0EEENS1_30default_config_static_selectorELNS0_4arch9wavefront6targetE0EEEvSY_.kd
    .uniform_work_group_size: 1
    .uses_dynamic_stack: false
    .vgpr_count:     0
    .vgpr_spill_count: 0
    .wavefront_size: 32
  - .args:
      - .offset:         0
        .size:           144
        .value_kind:     by_value
    .group_segment_fixed_size: 0
    .kernarg_segment_align: 8
    .kernarg_segment_size: 144
    .language:       OpenCL C
    .language_version:
      - 2
      - 0
    .max_flat_workgroup_size: 256
    .name:           _ZN7rocprim17ROCPRIM_400000_NS6detail17trampoline_kernelINS0_13select_configILj256ELj13ELNS0_17block_load_methodE3ELS4_3ELS4_3ELNS0_20block_scan_algorithmE0ELj4294967295EEENS1_25partition_config_selectorILNS1_17partition_subalgoE3EjNS0_10empty_typeEbEEZZNS1_14partition_implILS8_3ELb0ES6_jNS0_17counting_iteratorIjlEEPS9_SE_NS0_5tupleIJPjSE_EEENSF_IJSE_SE_EEES9_SG_JZNS1_25segmented_radix_sort_implINS0_14default_configELb1EPKdPdPKlPlN2at6native12_GLOBAL__N_18offset_tEEE10hipError_tPvRmT1_PNSt15iterator_traitsISY_E10value_typeET2_T3_PNSZ_IS14_E10value_typeET4_jRbjT5_S1A_jjP12ihipStream_tbEUljE_EEESV_SW_SX_S14_S18_S1A_T6_T7_T9_mT8_S1C_bDpT10_ENKUlT_T0_E_clISt17integral_constantIbLb0EES1P_EEDaS1K_S1L_EUlS1K_E_NS1_11comp_targetILNS1_3genE9ELNS1_11target_archE1100ELNS1_3gpuE3ELNS1_3repE0EEENS1_30default_config_static_selectorELNS0_4arch9wavefront6targetE0EEEvSY_
    .private_segment_fixed_size: 0
    .sgpr_count:     0
    .sgpr_spill_count: 0
    .symbol:         _ZN7rocprim17ROCPRIM_400000_NS6detail17trampoline_kernelINS0_13select_configILj256ELj13ELNS0_17block_load_methodE3ELS4_3ELS4_3ELNS0_20block_scan_algorithmE0ELj4294967295EEENS1_25partition_config_selectorILNS1_17partition_subalgoE3EjNS0_10empty_typeEbEEZZNS1_14partition_implILS8_3ELb0ES6_jNS0_17counting_iteratorIjlEEPS9_SE_NS0_5tupleIJPjSE_EEENSF_IJSE_SE_EEES9_SG_JZNS1_25segmented_radix_sort_implINS0_14default_configELb1EPKdPdPKlPlN2at6native12_GLOBAL__N_18offset_tEEE10hipError_tPvRmT1_PNSt15iterator_traitsISY_E10value_typeET2_T3_PNSZ_IS14_E10value_typeET4_jRbjT5_S1A_jjP12ihipStream_tbEUljE_EEESV_SW_SX_S14_S18_S1A_T6_T7_T9_mT8_S1C_bDpT10_ENKUlT_T0_E_clISt17integral_constantIbLb0EES1P_EEDaS1K_S1L_EUlS1K_E_NS1_11comp_targetILNS1_3genE9ELNS1_11target_archE1100ELNS1_3gpuE3ELNS1_3repE0EEENS1_30default_config_static_selectorELNS0_4arch9wavefront6targetE0EEEvSY_.kd
    .uniform_work_group_size: 1
    .uses_dynamic_stack: false
    .vgpr_count:     0
    .vgpr_spill_count: 0
    .wavefront_size: 32
  - .args:
      - .offset:         0
        .size:           144
        .value_kind:     by_value
    .group_segment_fixed_size: 0
    .kernarg_segment_align: 8
    .kernarg_segment_size: 144
    .language:       OpenCL C
    .language_version:
      - 2
      - 0
    .max_flat_workgroup_size: 256
    .name:           _ZN7rocprim17ROCPRIM_400000_NS6detail17trampoline_kernelINS0_13select_configILj256ELj13ELNS0_17block_load_methodE3ELS4_3ELS4_3ELNS0_20block_scan_algorithmE0ELj4294967295EEENS1_25partition_config_selectorILNS1_17partition_subalgoE3EjNS0_10empty_typeEbEEZZNS1_14partition_implILS8_3ELb0ES6_jNS0_17counting_iteratorIjlEEPS9_SE_NS0_5tupleIJPjSE_EEENSF_IJSE_SE_EEES9_SG_JZNS1_25segmented_radix_sort_implINS0_14default_configELb1EPKdPdPKlPlN2at6native12_GLOBAL__N_18offset_tEEE10hipError_tPvRmT1_PNSt15iterator_traitsISY_E10value_typeET2_T3_PNSZ_IS14_E10value_typeET4_jRbjT5_S1A_jjP12ihipStream_tbEUljE_EEESV_SW_SX_S14_S18_S1A_T6_T7_T9_mT8_S1C_bDpT10_ENKUlT_T0_E_clISt17integral_constantIbLb0EES1P_EEDaS1K_S1L_EUlS1K_E_NS1_11comp_targetILNS1_3genE8ELNS1_11target_archE1030ELNS1_3gpuE2ELNS1_3repE0EEENS1_30default_config_static_selectorELNS0_4arch9wavefront6targetE0EEEvSY_
    .private_segment_fixed_size: 0
    .sgpr_count:     0
    .sgpr_spill_count: 0
    .symbol:         _ZN7rocprim17ROCPRIM_400000_NS6detail17trampoline_kernelINS0_13select_configILj256ELj13ELNS0_17block_load_methodE3ELS4_3ELS4_3ELNS0_20block_scan_algorithmE0ELj4294967295EEENS1_25partition_config_selectorILNS1_17partition_subalgoE3EjNS0_10empty_typeEbEEZZNS1_14partition_implILS8_3ELb0ES6_jNS0_17counting_iteratorIjlEEPS9_SE_NS0_5tupleIJPjSE_EEENSF_IJSE_SE_EEES9_SG_JZNS1_25segmented_radix_sort_implINS0_14default_configELb1EPKdPdPKlPlN2at6native12_GLOBAL__N_18offset_tEEE10hipError_tPvRmT1_PNSt15iterator_traitsISY_E10value_typeET2_T3_PNSZ_IS14_E10value_typeET4_jRbjT5_S1A_jjP12ihipStream_tbEUljE_EEESV_SW_SX_S14_S18_S1A_T6_T7_T9_mT8_S1C_bDpT10_ENKUlT_T0_E_clISt17integral_constantIbLb0EES1P_EEDaS1K_S1L_EUlS1K_E_NS1_11comp_targetILNS1_3genE8ELNS1_11target_archE1030ELNS1_3gpuE2ELNS1_3repE0EEENS1_30default_config_static_selectorELNS0_4arch9wavefront6targetE0EEEvSY_.kd
    .uniform_work_group_size: 1
    .uses_dynamic_stack: false
    .vgpr_count:     0
    .vgpr_spill_count: 0
    .wavefront_size: 32
  - .args:
      - .offset:         0
        .size:           152
        .value_kind:     by_value
    .group_segment_fixed_size: 0
    .kernarg_segment_align: 8
    .kernarg_segment_size: 152
    .language:       OpenCL C
    .language_version:
      - 2
      - 0
    .max_flat_workgroup_size: 256
    .name:           _ZN7rocprim17ROCPRIM_400000_NS6detail17trampoline_kernelINS0_13select_configILj256ELj13ELNS0_17block_load_methodE3ELS4_3ELS4_3ELNS0_20block_scan_algorithmE0ELj4294967295EEENS1_25partition_config_selectorILNS1_17partition_subalgoE3EjNS0_10empty_typeEbEEZZNS1_14partition_implILS8_3ELb0ES6_jNS0_17counting_iteratorIjlEEPS9_SE_NS0_5tupleIJPjSE_EEENSF_IJSE_SE_EEES9_SG_JZNS1_25segmented_radix_sort_implINS0_14default_configELb1EPKdPdPKlPlN2at6native12_GLOBAL__N_18offset_tEEE10hipError_tPvRmT1_PNSt15iterator_traitsISY_E10value_typeET2_T3_PNSZ_IS14_E10value_typeET4_jRbjT5_S1A_jjP12ihipStream_tbEUljE_EEESV_SW_SX_S14_S18_S1A_T6_T7_T9_mT8_S1C_bDpT10_ENKUlT_T0_E_clISt17integral_constantIbLb1EES1P_EEDaS1K_S1L_EUlS1K_E_NS1_11comp_targetILNS1_3genE0ELNS1_11target_archE4294967295ELNS1_3gpuE0ELNS1_3repE0EEENS1_30default_config_static_selectorELNS0_4arch9wavefront6targetE0EEEvSY_
    .private_segment_fixed_size: 0
    .sgpr_count:     0
    .sgpr_spill_count: 0
    .symbol:         _ZN7rocprim17ROCPRIM_400000_NS6detail17trampoline_kernelINS0_13select_configILj256ELj13ELNS0_17block_load_methodE3ELS4_3ELS4_3ELNS0_20block_scan_algorithmE0ELj4294967295EEENS1_25partition_config_selectorILNS1_17partition_subalgoE3EjNS0_10empty_typeEbEEZZNS1_14partition_implILS8_3ELb0ES6_jNS0_17counting_iteratorIjlEEPS9_SE_NS0_5tupleIJPjSE_EEENSF_IJSE_SE_EEES9_SG_JZNS1_25segmented_radix_sort_implINS0_14default_configELb1EPKdPdPKlPlN2at6native12_GLOBAL__N_18offset_tEEE10hipError_tPvRmT1_PNSt15iterator_traitsISY_E10value_typeET2_T3_PNSZ_IS14_E10value_typeET4_jRbjT5_S1A_jjP12ihipStream_tbEUljE_EEESV_SW_SX_S14_S18_S1A_T6_T7_T9_mT8_S1C_bDpT10_ENKUlT_T0_E_clISt17integral_constantIbLb1EES1P_EEDaS1K_S1L_EUlS1K_E_NS1_11comp_targetILNS1_3genE0ELNS1_11target_archE4294967295ELNS1_3gpuE0ELNS1_3repE0EEENS1_30default_config_static_selectorELNS0_4arch9wavefront6targetE0EEEvSY_.kd
    .uniform_work_group_size: 1
    .uses_dynamic_stack: false
    .vgpr_count:     0
    .vgpr_spill_count: 0
    .wavefront_size: 32
  - .args:
      - .offset:         0
        .size:           152
        .value_kind:     by_value
    .group_segment_fixed_size: 0
    .kernarg_segment_align: 8
    .kernarg_segment_size: 152
    .language:       OpenCL C
    .language_version:
      - 2
      - 0
    .max_flat_workgroup_size: 256
    .name:           _ZN7rocprim17ROCPRIM_400000_NS6detail17trampoline_kernelINS0_13select_configILj256ELj13ELNS0_17block_load_methodE3ELS4_3ELS4_3ELNS0_20block_scan_algorithmE0ELj4294967295EEENS1_25partition_config_selectorILNS1_17partition_subalgoE3EjNS0_10empty_typeEbEEZZNS1_14partition_implILS8_3ELb0ES6_jNS0_17counting_iteratorIjlEEPS9_SE_NS0_5tupleIJPjSE_EEENSF_IJSE_SE_EEES9_SG_JZNS1_25segmented_radix_sort_implINS0_14default_configELb1EPKdPdPKlPlN2at6native12_GLOBAL__N_18offset_tEEE10hipError_tPvRmT1_PNSt15iterator_traitsISY_E10value_typeET2_T3_PNSZ_IS14_E10value_typeET4_jRbjT5_S1A_jjP12ihipStream_tbEUljE_EEESV_SW_SX_S14_S18_S1A_T6_T7_T9_mT8_S1C_bDpT10_ENKUlT_T0_E_clISt17integral_constantIbLb1EES1P_EEDaS1K_S1L_EUlS1K_E_NS1_11comp_targetILNS1_3genE5ELNS1_11target_archE942ELNS1_3gpuE9ELNS1_3repE0EEENS1_30default_config_static_selectorELNS0_4arch9wavefront6targetE0EEEvSY_
    .private_segment_fixed_size: 0
    .sgpr_count:     0
    .sgpr_spill_count: 0
    .symbol:         _ZN7rocprim17ROCPRIM_400000_NS6detail17trampoline_kernelINS0_13select_configILj256ELj13ELNS0_17block_load_methodE3ELS4_3ELS4_3ELNS0_20block_scan_algorithmE0ELj4294967295EEENS1_25partition_config_selectorILNS1_17partition_subalgoE3EjNS0_10empty_typeEbEEZZNS1_14partition_implILS8_3ELb0ES6_jNS0_17counting_iteratorIjlEEPS9_SE_NS0_5tupleIJPjSE_EEENSF_IJSE_SE_EEES9_SG_JZNS1_25segmented_radix_sort_implINS0_14default_configELb1EPKdPdPKlPlN2at6native12_GLOBAL__N_18offset_tEEE10hipError_tPvRmT1_PNSt15iterator_traitsISY_E10value_typeET2_T3_PNSZ_IS14_E10value_typeET4_jRbjT5_S1A_jjP12ihipStream_tbEUljE_EEESV_SW_SX_S14_S18_S1A_T6_T7_T9_mT8_S1C_bDpT10_ENKUlT_T0_E_clISt17integral_constantIbLb1EES1P_EEDaS1K_S1L_EUlS1K_E_NS1_11comp_targetILNS1_3genE5ELNS1_11target_archE942ELNS1_3gpuE9ELNS1_3repE0EEENS1_30default_config_static_selectorELNS0_4arch9wavefront6targetE0EEEvSY_.kd
    .uniform_work_group_size: 1
    .uses_dynamic_stack: false
    .vgpr_count:     0
    .vgpr_spill_count: 0
    .wavefront_size: 32
  - .args:
      - .offset:         0
        .size:           152
        .value_kind:     by_value
    .group_segment_fixed_size: 0
    .kernarg_segment_align: 8
    .kernarg_segment_size: 152
    .language:       OpenCL C
    .language_version:
      - 2
      - 0
    .max_flat_workgroup_size: 256
    .name:           _ZN7rocprim17ROCPRIM_400000_NS6detail17trampoline_kernelINS0_13select_configILj256ELj13ELNS0_17block_load_methodE3ELS4_3ELS4_3ELNS0_20block_scan_algorithmE0ELj4294967295EEENS1_25partition_config_selectorILNS1_17partition_subalgoE3EjNS0_10empty_typeEbEEZZNS1_14partition_implILS8_3ELb0ES6_jNS0_17counting_iteratorIjlEEPS9_SE_NS0_5tupleIJPjSE_EEENSF_IJSE_SE_EEES9_SG_JZNS1_25segmented_radix_sort_implINS0_14default_configELb1EPKdPdPKlPlN2at6native12_GLOBAL__N_18offset_tEEE10hipError_tPvRmT1_PNSt15iterator_traitsISY_E10value_typeET2_T3_PNSZ_IS14_E10value_typeET4_jRbjT5_S1A_jjP12ihipStream_tbEUljE_EEESV_SW_SX_S14_S18_S1A_T6_T7_T9_mT8_S1C_bDpT10_ENKUlT_T0_E_clISt17integral_constantIbLb1EES1P_EEDaS1K_S1L_EUlS1K_E_NS1_11comp_targetILNS1_3genE4ELNS1_11target_archE910ELNS1_3gpuE8ELNS1_3repE0EEENS1_30default_config_static_selectorELNS0_4arch9wavefront6targetE0EEEvSY_
    .private_segment_fixed_size: 0
    .sgpr_count:     0
    .sgpr_spill_count: 0
    .symbol:         _ZN7rocprim17ROCPRIM_400000_NS6detail17trampoline_kernelINS0_13select_configILj256ELj13ELNS0_17block_load_methodE3ELS4_3ELS4_3ELNS0_20block_scan_algorithmE0ELj4294967295EEENS1_25partition_config_selectorILNS1_17partition_subalgoE3EjNS0_10empty_typeEbEEZZNS1_14partition_implILS8_3ELb0ES6_jNS0_17counting_iteratorIjlEEPS9_SE_NS0_5tupleIJPjSE_EEENSF_IJSE_SE_EEES9_SG_JZNS1_25segmented_radix_sort_implINS0_14default_configELb1EPKdPdPKlPlN2at6native12_GLOBAL__N_18offset_tEEE10hipError_tPvRmT1_PNSt15iterator_traitsISY_E10value_typeET2_T3_PNSZ_IS14_E10value_typeET4_jRbjT5_S1A_jjP12ihipStream_tbEUljE_EEESV_SW_SX_S14_S18_S1A_T6_T7_T9_mT8_S1C_bDpT10_ENKUlT_T0_E_clISt17integral_constantIbLb1EES1P_EEDaS1K_S1L_EUlS1K_E_NS1_11comp_targetILNS1_3genE4ELNS1_11target_archE910ELNS1_3gpuE8ELNS1_3repE0EEENS1_30default_config_static_selectorELNS0_4arch9wavefront6targetE0EEEvSY_.kd
    .uniform_work_group_size: 1
    .uses_dynamic_stack: false
    .vgpr_count:     0
    .vgpr_spill_count: 0
    .wavefront_size: 32
  - .args:
      - .offset:         0
        .size:           152
        .value_kind:     by_value
    .group_segment_fixed_size: 0
    .kernarg_segment_align: 8
    .kernarg_segment_size: 152
    .language:       OpenCL C
    .language_version:
      - 2
      - 0
    .max_flat_workgroup_size: 256
    .name:           _ZN7rocprim17ROCPRIM_400000_NS6detail17trampoline_kernelINS0_13select_configILj256ELj13ELNS0_17block_load_methodE3ELS4_3ELS4_3ELNS0_20block_scan_algorithmE0ELj4294967295EEENS1_25partition_config_selectorILNS1_17partition_subalgoE3EjNS0_10empty_typeEbEEZZNS1_14partition_implILS8_3ELb0ES6_jNS0_17counting_iteratorIjlEEPS9_SE_NS0_5tupleIJPjSE_EEENSF_IJSE_SE_EEES9_SG_JZNS1_25segmented_radix_sort_implINS0_14default_configELb1EPKdPdPKlPlN2at6native12_GLOBAL__N_18offset_tEEE10hipError_tPvRmT1_PNSt15iterator_traitsISY_E10value_typeET2_T3_PNSZ_IS14_E10value_typeET4_jRbjT5_S1A_jjP12ihipStream_tbEUljE_EEESV_SW_SX_S14_S18_S1A_T6_T7_T9_mT8_S1C_bDpT10_ENKUlT_T0_E_clISt17integral_constantIbLb1EES1P_EEDaS1K_S1L_EUlS1K_E_NS1_11comp_targetILNS1_3genE3ELNS1_11target_archE908ELNS1_3gpuE7ELNS1_3repE0EEENS1_30default_config_static_selectorELNS0_4arch9wavefront6targetE0EEEvSY_
    .private_segment_fixed_size: 0
    .sgpr_count:     0
    .sgpr_spill_count: 0
    .symbol:         _ZN7rocprim17ROCPRIM_400000_NS6detail17trampoline_kernelINS0_13select_configILj256ELj13ELNS0_17block_load_methodE3ELS4_3ELS4_3ELNS0_20block_scan_algorithmE0ELj4294967295EEENS1_25partition_config_selectorILNS1_17partition_subalgoE3EjNS0_10empty_typeEbEEZZNS1_14partition_implILS8_3ELb0ES6_jNS0_17counting_iteratorIjlEEPS9_SE_NS0_5tupleIJPjSE_EEENSF_IJSE_SE_EEES9_SG_JZNS1_25segmented_radix_sort_implINS0_14default_configELb1EPKdPdPKlPlN2at6native12_GLOBAL__N_18offset_tEEE10hipError_tPvRmT1_PNSt15iterator_traitsISY_E10value_typeET2_T3_PNSZ_IS14_E10value_typeET4_jRbjT5_S1A_jjP12ihipStream_tbEUljE_EEESV_SW_SX_S14_S18_S1A_T6_T7_T9_mT8_S1C_bDpT10_ENKUlT_T0_E_clISt17integral_constantIbLb1EES1P_EEDaS1K_S1L_EUlS1K_E_NS1_11comp_targetILNS1_3genE3ELNS1_11target_archE908ELNS1_3gpuE7ELNS1_3repE0EEENS1_30default_config_static_selectorELNS0_4arch9wavefront6targetE0EEEvSY_.kd
    .uniform_work_group_size: 1
    .uses_dynamic_stack: false
    .vgpr_count:     0
    .vgpr_spill_count: 0
    .wavefront_size: 32
  - .args:
      - .offset:         0
        .size:           152
        .value_kind:     by_value
    .group_segment_fixed_size: 0
    .kernarg_segment_align: 8
    .kernarg_segment_size: 152
    .language:       OpenCL C
    .language_version:
      - 2
      - 0
    .max_flat_workgroup_size: 256
    .name:           _ZN7rocprim17ROCPRIM_400000_NS6detail17trampoline_kernelINS0_13select_configILj256ELj13ELNS0_17block_load_methodE3ELS4_3ELS4_3ELNS0_20block_scan_algorithmE0ELj4294967295EEENS1_25partition_config_selectorILNS1_17partition_subalgoE3EjNS0_10empty_typeEbEEZZNS1_14partition_implILS8_3ELb0ES6_jNS0_17counting_iteratorIjlEEPS9_SE_NS0_5tupleIJPjSE_EEENSF_IJSE_SE_EEES9_SG_JZNS1_25segmented_radix_sort_implINS0_14default_configELb1EPKdPdPKlPlN2at6native12_GLOBAL__N_18offset_tEEE10hipError_tPvRmT1_PNSt15iterator_traitsISY_E10value_typeET2_T3_PNSZ_IS14_E10value_typeET4_jRbjT5_S1A_jjP12ihipStream_tbEUljE_EEESV_SW_SX_S14_S18_S1A_T6_T7_T9_mT8_S1C_bDpT10_ENKUlT_T0_E_clISt17integral_constantIbLb1EES1P_EEDaS1K_S1L_EUlS1K_E_NS1_11comp_targetILNS1_3genE2ELNS1_11target_archE906ELNS1_3gpuE6ELNS1_3repE0EEENS1_30default_config_static_selectorELNS0_4arch9wavefront6targetE0EEEvSY_
    .private_segment_fixed_size: 0
    .sgpr_count:     0
    .sgpr_spill_count: 0
    .symbol:         _ZN7rocprim17ROCPRIM_400000_NS6detail17trampoline_kernelINS0_13select_configILj256ELj13ELNS0_17block_load_methodE3ELS4_3ELS4_3ELNS0_20block_scan_algorithmE0ELj4294967295EEENS1_25partition_config_selectorILNS1_17partition_subalgoE3EjNS0_10empty_typeEbEEZZNS1_14partition_implILS8_3ELb0ES6_jNS0_17counting_iteratorIjlEEPS9_SE_NS0_5tupleIJPjSE_EEENSF_IJSE_SE_EEES9_SG_JZNS1_25segmented_radix_sort_implINS0_14default_configELb1EPKdPdPKlPlN2at6native12_GLOBAL__N_18offset_tEEE10hipError_tPvRmT1_PNSt15iterator_traitsISY_E10value_typeET2_T3_PNSZ_IS14_E10value_typeET4_jRbjT5_S1A_jjP12ihipStream_tbEUljE_EEESV_SW_SX_S14_S18_S1A_T6_T7_T9_mT8_S1C_bDpT10_ENKUlT_T0_E_clISt17integral_constantIbLb1EES1P_EEDaS1K_S1L_EUlS1K_E_NS1_11comp_targetILNS1_3genE2ELNS1_11target_archE906ELNS1_3gpuE6ELNS1_3repE0EEENS1_30default_config_static_selectorELNS0_4arch9wavefront6targetE0EEEvSY_.kd
    .uniform_work_group_size: 1
    .uses_dynamic_stack: false
    .vgpr_count:     0
    .vgpr_spill_count: 0
    .wavefront_size: 32
  - .args:
      - .offset:         0
        .size:           152
        .value_kind:     by_value
    .group_segment_fixed_size: 0
    .kernarg_segment_align: 8
    .kernarg_segment_size: 152
    .language:       OpenCL C
    .language_version:
      - 2
      - 0
    .max_flat_workgroup_size: 256
    .name:           _ZN7rocprim17ROCPRIM_400000_NS6detail17trampoline_kernelINS0_13select_configILj256ELj13ELNS0_17block_load_methodE3ELS4_3ELS4_3ELNS0_20block_scan_algorithmE0ELj4294967295EEENS1_25partition_config_selectorILNS1_17partition_subalgoE3EjNS0_10empty_typeEbEEZZNS1_14partition_implILS8_3ELb0ES6_jNS0_17counting_iteratorIjlEEPS9_SE_NS0_5tupleIJPjSE_EEENSF_IJSE_SE_EEES9_SG_JZNS1_25segmented_radix_sort_implINS0_14default_configELb1EPKdPdPKlPlN2at6native12_GLOBAL__N_18offset_tEEE10hipError_tPvRmT1_PNSt15iterator_traitsISY_E10value_typeET2_T3_PNSZ_IS14_E10value_typeET4_jRbjT5_S1A_jjP12ihipStream_tbEUljE_EEESV_SW_SX_S14_S18_S1A_T6_T7_T9_mT8_S1C_bDpT10_ENKUlT_T0_E_clISt17integral_constantIbLb1EES1P_EEDaS1K_S1L_EUlS1K_E_NS1_11comp_targetILNS1_3genE10ELNS1_11target_archE1200ELNS1_3gpuE4ELNS1_3repE0EEENS1_30default_config_static_selectorELNS0_4arch9wavefront6targetE0EEEvSY_
    .private_segment_fixed_size: 0
    .sgpr_count:     0
    .sgpr_spill_count: 0
    .symbol:         _ZN7rocprim17ROCPRIM_400000_NS6detail17trampoline_kernelINS0_13select_configILj256ELj13ELNS0_17block_load_methodE3ELS4_3ELS4_3ELNS0_20block_scan_algorithmE0ELj4294967295EEENS1_25partition_config_selectorILNS1_17partition_subalgoE3EjNS0_10empty_typeEbEEZZNS1_14partition_implILS8_3ELb0ES6_jNS0_17counting_iteratorIjlEEPS9_SE_NS0_5tupleIJPjSE_EEENSF_IJSE_SE_EEES9_SG_JZNS1_25segmented_radix_sort_implINS0_14default_configELb1EPKdPdPKlPlN2at6native12_GLOBAL__N_18offset_tEEE10hipError_tPvRmT1_PNSt15iterator_traitsISY_E10value_typeET2_T3_PNSZ_IS14_E10value_typeET4_jRbjT5_S1A_jjP12ihipStream_tbEUljE_EEESV_SW_SX_S14_S18_S1A_T6_T7_T9_mT8_S1C_bDpT10_ENKUlT_T0_E_clISt17integral_constantIbLb1EES1P_EEDaS1K_S1L_EUlS1K_E_NS1_11comp_targetILNS1_3genE10ELNS1_11target_archE1200ELNS1_3gpuE4ELNS1_3repE0EEENS1_30default_config_static_selectorELNS0_4arch9wavefront6targetE0EEEvSY_.kd
    .uniform_work_group_size: 1
    .uses_dynamic_stack: false
    .vgpr_count:     0
    .vgpr_spill_count: 0
    .wavefront_size: 32
  - .args:
      - .offset:         0
        .size:           152
        .value_kind:     by_value
    .group_segment_fixed_size: 0
    .kernarg_segment_align: 8
    .kernarg_segment_size: 152
    .language:       OpenCL C
    .language_version:
      - 2
      - 0
    .max_flat_workgroup_size: 256
    .name:           _ZN7rocprim17ROCPRIM_400000_NS6detail17trampoline_kernelINS0_13select_configILj256ELj13ELNS0_17block_load_methodE3ELS4_3ELS4_3ELNS0_20block_scan_algorithmE0ELj4294967295EEENS1_25partition_config_selectorILNS1_17partition_subalgoE3EjNS0_10empty_typeEbEEZZNS1_14partition_implILS8_3ELb0ES6_jNS0_17counting_iteratorIjlEEPS9_SE_NS0_5tupleIJPjSE_EEENSF_IJSE_SE_EEES9_SG_JZNS1_25segmented_radix_sort_implINS0_14default_configELb1EPKdPdPKlPlN2at6native12_GLOBAL__N_18offset_tEEE10hipError_tPvRmT1_PNSt15iterator_traitsISY_E10value_typeET2_T3_PNSZ_IS14_E10value_typeET4_jRbjT5_S1A_jjP12ihipStream_tbEUljE_EEESV_SW_SX_S14_S18_S1A_T6_T7_T9_mT8_S1C_bDpT10_ENKUlT_T0_E_clISt17integral_constantIbLb1EES1P_EEDaS1K_S1L_EUlS1K_E_NS1_11comp_targetILNS1_3genE9ELNS1_11target_archE1100ELNS1_3gpuE3ELNS1_3repE0EEENS1_30default_config_static_selectorELNS0_4arch9wavefront6targetE0EEEvSY_
    .private_segment_fixed_size: 0
    .sgpr_count:     0
    .sgpr_spill_count: 0
    .symbol:         _ZN7rocprim17ROCPRIM_400000_NS6detail17trampoline_kernelINS0_13select_configILj256ELj13ELNS0_17block_load_methodE3ELS4_3ELS4_3ELNS0_20block_scan_algorithmE0ELj4294967295EEENS1_25partition_config_selectorILNS1_17partition_subalgoE3EjNS0_10empty_typeEbEEZZNS1_14partition_implILS8_3ELb0ES6_jNS0_17counting_iteratorIjlEEPS9_SE_NS0_5tupleIJPjSE_EEENSF_IJSE_SE_EEES9_SG_JZNS1_25segmented_radix_sort_implINS0_14default_configELb1EPKdPdPKlPlN2at6native12_GLOBAL__N_18offset_tEEE10hipError_tPvRmT1_PNSt15iterator_traitsISY_E10value_typeET2_T3_PNSZ_IS14_E10value_typeET4_jRbjT5_S1A_jjP12ihipStream_tbEUljE_EEESV_SW_SX_S14_S18_S1A_T6_T7_T9_mT8_S1C_bDpT10_ENKUlT_T0_E_clISt17integral_constantIbLb1EES1P_EEDaS1K_S1L_EUlS1K_E_NS1_11comp_targetILNS1_3genE9ELNS1_11target_archE1100ELNS1_3gpuE3ELNS1_3repE0EEENS1_30default_config_static_selectorELNS0_4arch9wavefront6targetE0EEEvSY_.kd
    .uniform_work_group_size: 1
    .uses_dynamic_stack: false
    .vgpr_count:     0
    .vgpr_spill_count: 0
    .wavefront_size: 32
  - .args:
      - .offset:         0
        .size:           152
        .value_kind:     by_value
    .group_segment_fixed_size: 0
    .kernarg_segment_align: 8
    .kernarg_segment_size: 152
    .language:       OpenCL C
    .language_version:
      - 2
      - 0
    .max_flat_workgroup_size: 256
    .name:           _ZN7rocprim17ROCPRIM_400000_NS6detail17trampoline_kernelINS0_13select_configILj256ELj13ELNS0_17block_load_methodE3ELS4_3ELS4_3ELNS0_20block_scan_algorithmE0ELj4294967295EEENS1_25partition_config_selectorILNS1_17partition_subalgoE3EjNS0_10empty_typeEbEEZZNS1_14partition_implILS8_3ELb0ES6_jNS0_17counting_iteratorIjlEEPS9_SE_NS0_5tupleIJPjSE_EEENSF_IJSE_SE_EEES9_SG_JZNS1_25segmented_radix_sort_implINS0_14default_configELb1EPKdPdPKlPlN2at6native12_GLOBAL__N_18offset_tEEE10hipError_tPvRmT1_PNSt15iterator_traitsISY_E10value_typeET2_T3_PNSZ_IS14_E10value_typeET4_jRbjT5_S1A_jjP12ihipStream_tbEUljE_EEESV_SW_SX_S14_S18_S1A_T6_T7_T9_mT8_S1C_bDpT10_ENKUlT_T0_E_clISt17integral_constantIbLb1EES1P_EEDaS1K_S1L_EUlS1K_E_NS1_11comp_targetILNS1_3genE8ELNS1_11target_archE1030ELNS1_3gpuE2ELNS1_3repE0EEENS1_30default_config_static_selectorELNS0_4arch9wavefront6targetE0EEEvSY_
    .private_segment_fixed_size: 0
    .sgpr_count:     0
    .sgpr_spill_count: 0
    .symbol:         _ZN7rocprim17ROCPRIM_400000_NS6detail17trampoline_kernelINS0_13select_configILj256ELj13ELNS0_17block_load_methodE3ELS4_3ELS4_3ELNS0_20block_scan_algorithmE0ELj4294967295EEENS1_25partition_config_selectorILNS1_17partition_subalgoE3EjNS0_10empty_typeEbEEZZNS1_14partition_implILS8_3ELb0ES6_jNS0_17counting_iteratorIjlEEPS9_SE_NS0_5tupleIJPjSE_EEENSF_IJSE_SE_EEES9_SG_JZNS1_25segmented_radix_sort_implINS0_14default_configELb1EPKdPdPKlPlN2at6native12_GLOBAL__N_18offset_tEEE10hipError_tPvRmT1_PNSt15iterator_traitsISY_E10value_typeET2_T3_PNSZ_IS14_E10value_typeET4_jRbjT5_S1A_jjP12ihipStream_tbEUljE_EEESV_SW_SX_S14_S18_S1A_T6_T7_T9_mT8_S1C_bDpT10_ENKUlT_T0_E_clISt17integral_constantIbLb1EES1P_EEDaS1K_S1L_EUlS1K_E_NS1_11comp_targetILNS1_3genE8ELNS1_11target_archE1030ELNS1_3gpuE2ELNS1_3repE0EEENS1_30default_config_static_selectorELNS0_4arch9wavefront6targetE0EEEvSY_.kd
    .uniform_work_group_size: 1
    .uses_dynamic_stack: false
    .vgpr_count:     0
    .vgpr_spill_count: 0
    .wavefront_size: 32
  - .args:
      - .offset:         0
        .size:           144
        .value_kind:     by_value
    .group_segment_fixed_size: 0
    .kernarg_segment_align: 8
    .kernarg_segment_size: 144
    .language:       OpenCL C
    .language_version:
      - 2
      - 0
    .max_flat_workgroup_size: 256
    .name:           _ZN7rocprim17ROCPRIM_400000_NS6detail17trampoline_kernelINS0_13select_configILj256ELj13ELNS0_17block_load_methodE3ELS4_3ELS4_3ELNS0_20block_scan_algorithmE0ELj4294967295EEENS1_25partition_config_selectorILNS1_17partition_subalgoE3EjNS0_10empty_typeEbEEZZNS1_14partition_implILS8_3ELb0ES6_jNS0_17counting_iteratorIjlEEPS9_SE_NS0_5tupleIJPjSE_EEENSF_IJSE_SE_EEES9_SG_JZNS1_25segmented_radix_sort_implINS0_14default_configELb1EPKdPdPKlPlN2at6native12_GLOBAL__N_18offset_tEEE10hipError_tPvRmT1_PNSt15iterator_traitsISY_E10value_typeET2_T3_PNSZ_IS14_E10value_typeET4_jRbjT5_S1A_jjP12ihipStream_tbEUljE_EEESV_SW_SX_S14_S18_S1A_T6_T7_T9_mT8_S1C_bDpT10_ENKUlT_T0_E_clISt17integral_constantIbLb1EES1O_IbLb0EEEEDaS1K_S1L_EUlS1K_E_NS1_11comp_targetILNS1_3genE0ELNS1_11target_archE4294967295ELNS1_3gpuE0ELNS1_3repE0EEENS1_30default_config_static_selectorELNS0_4arch9wavefront6targetE0EEEvSY_
    .private_segment_fixed_size: 0
    .sgpr_count:     0
    .sgpr_spill_count: 0
    .symbol:         _ZN7rocprim17ROCPRIM_400000_NS6detail17trampoline_kernelINS0_13select_configILj256ELj13ELNS0_17block_load_methodE3ELS4_3ELS4_3ELNS0_20block_scan_algorithmE0ELj4294967295EEENS1_25partition_config_selectorILNS1_17partition_subalgoE3EjNS0_10empty_typeEbEEZZNS1_14partition_implILS8_3ELb0ES6_jNS0_17counting_iteratorIjlEEPS9_SE_NS0_5tupleIJPjSE_EEENSF_IJSE_SE_EEES9_SG_JZNS1_25segmented_radix_sort_implINS0_14default_configELb1EPKdPdPKlPlN2at6native12_GLOBAL__N_18offset_tEEE10hipError_tPvRmT1_PNSt15iterator_traitsISY_E10value_typeET2_T3_PNSZ_IS14_E10value_typeET4_jRbjT5_S1A_jjP12ihipStream_tbEUljE_EEESV_SW_SX_S14_S18_S1A_T6_T7_T9_mT8_S1C_bDpT10_ENKUlT_T0_E_clISt17integral_constantIbLb1EES1O_IbLb0EEEEDaS1K_S1L_EUlS1K_E_NS1_11comp_targetILNS1_3genE0ELNS1_11target_archE4294967295ELNS1_3gpuE0ELNS1_3repE0EEENS1_30default_config_static_selectorELNS0_4arch9wavefront6targetE0EEEvSY_.kd
    .uniform_work_group_size: 1
    .uses_dynamic_stack: false
    .vgpr_count:     0
    .vgpr_spill_count: 0
    .wavefront_size: 32
  - .args:
      - .offset:         0
        .size:           144
        .value_kind:     by_value
    .group_segment_fixed_size: 0
    .kernarg_segment_align: 8
    .kernarg_segment_size: 144
    .language:       OpenCL C
    .language_version:
      - 2
      - 0
    .max_flat_workgroup_size: 256
    .name:           _ZN7rocprim17ROCPRIM_400000_NS6detail17trampoline_kernelINS0_13select_configILj256ELj13ELNS0_17block_load_methodE3ELS4_3ELS4_3ELNS0_20block_scan_algorithmE0ELj4294967295EEENS1_25partition_config_selectorILNS1_17partition_subalgoE3EjNS0_10empty_typeEbEEZZNS1_14partition_implILS8_3ELb0ES6_jNS0_17counting_iteratorIjlEEPS9_SE_NS0_5tupleIJPjSE_EEENSF_IJSE_SE_EEES9_SG_JZNS1_25segmented_radix_sort_implINS0_14default_configELb1EPKdPdPKlPlN2at6native12_GLOBAL__N_18offset_tEEE10hipError_tPvRmT1_PNSt15iterator_traitsISY_E10value_typeET2_T3_PNSZ_IS14_E10value_typeET4_jRbjT5_S1A_jjP12ihipStream_tbEUljE_EEESV_SW_SX_S14_S18_S1A_T6_T7_T9_mT8_S1C_bDpT10_ENKUlT_T0_E_clISt17integral_constantIbLb1EES1O_IbLb0EEEEDaS1K_S1L_EUlS1K_E_NS1_11comp_targetILNS1_3genE5ELNS1_11target_archE942ELNS1_3gpuE9ELNS1_3repE0EEENS1_30default_config_static_selectorELNS0_4arch9wavefront6targetE0EEEvSY_
    .private_segment_fixed_size: 0
    .sgpr_count:     0
    .sgpr_spill_count: 0
    .symbol:         _ZN7rocprim17ROCPRIM_400000_NS6detail17trampoline_kernelINS0_13select_configILj256ELj13ELNS0_17block_load_methodE3ELS4_3ELS4_3ELNS0_20block_scan_algorithmE0ELj4294967295EEENS1_25partition_config_selectorILNS1_17partition_subalgoE3EjNS0_10empty_typeEbEEZZNS1_14partition_implILS8_3ELb0ES6_jNS0_17counting_iteratorIjlEEPS9_SE_NS0_5tupleIJPjSE_EEENSF_IJSE_SE_EEES9_SG_JZNS1_25segmented_radix_sort_implINS0_14default_configELb1EPKdPdPKlPlN2at6native12_GLOBAL__N_18offset_tEEE10hipError_tPvRmT1_PNSt15iterator_traitsISY_E10value_typeET2_T3_PNSZ_IS14_E10value_typeET4_jRbjT5_S1A_jjP12ihipStream_tbEUljE_EEESV_SW_SX_S14_S18_S1A_T6_T7_T9_mT8_S1C_bDpT10_ENKUlT_T0_E_clISt17integral_constantIbLb1EES1O_IbLb0EEEEDaS1K_S1L_EUlS1K_E_NS1_11comp_targetILNS1_3genE5ELNS1_11target_archE942ELNS1_3gpuE9ELNS1_3repE0EEENS1_30default_config_static_selectorELNS0_4arch9wavefront6targetE0EEEvSY_.kd
    .uniform_work_group_size: 1
    .uses_dynamic_stack: false
    .vgpr_count:     0
    .vgpr_spill_count: 0
    .wavefront_size: 32
  - .args:
      - .offset:         0
        .size:           144
        .value_kind:     by_value
    .group_segment_fixed_size: 0
    .kernarg_segment_align: 8
    .kernarg_segment_size: 144
    .language:       OpenCL C
    .language_version:
      - 2
      - 0
    .max_flat_workgroup_size: 256
    .name:           _ZN7rocprim17ROCPRIM_400000_NS6detail17trampoline_kernelINS0_13select_configILj256ELj13ELNS0_17block_load_methodE3ELS4_3ELS4_3ELNS0_20block_scan_algorithmE0ELj4294967295EEENS1_25partition_config_selectorILNS1_17partition_subalgoE3EjNS0_10empty_typeEbEEZZNS1_14partition_implILS8_3ELb0ES6_jNS0_17counting_iteratorIjlEEPS9_SE_NS0_5tupleIJPjSE_EEENSF_IJSE_SE_EEES9_SG_JZNS1_25segmented_radix_sort_implINS0_14default_configELb1EPKdPdPKlPlN2at6native12_GLOBAL__N_18offset_tEEE10hipError_tPvRmT1_PNSt15iterator_traitsISY_E10value_typeET2_T3_PNSZ_IS14_E10value_typeET4_jRbjT5_S1A_jjP12ihipStream_tbEUljE_EEESV_SW_SX_S14_S18_S1A_T6_T7_T9_mT8_S1C_bDpT10_ENKUlT_T0_E_clISt17integral_constantIbLb1EES1O_IbLb0EEEEDaS1K_S1L_EUlS1K_E_NS1_11comp_targetILNS1_3genE4ELNS1_11target_archE910ELNS1_3gpuE8ELNS1_3repE0EEENS1_30default_config_static_selectorELNS0_4arch9wavefront6targetE0EEEvSY_
    .private_segment_fixed_size: 0
    .sgpr_count:     0
    .sgpr_spill_count: 0
    .symbol:         _ZN7rocprim17ROCPRIM_400000_NS6detail17trampoline_kernelINS0_13select_configILj256ELj13ELNS0_17block_load_methodE3ELS4_3ELS4_3ELNS0_20block_scan_algorithmE0ELj4294967295EEENS1_25partition_config_selectorILNS1_17partition_subalgoE3EjNS0_10empty_typeEbEEZZNS1_14partition_implILS8_3ELb0ES6_jNS0_17counting_iteratorIjlEEPS9_SE_NS0_5tupleIJPjSE_EEENSF_IJSE_SE_EEES9_SG_JZNS1_25segmented_radix_sort_implINS0_14default_configELb1EPKdPdPKlPlN2at6native12_GLOBAL__N_18offset_tEEE10hipError_tPvRmT1_PNSt15iterator_traitsISY_E10value_typeET2_T3_PNSZ_IS14_E10value_typeET4_jRbjT5_S1A_jjP12ihipStream_tbEUljE_EEESV_SW_SX_S14_S18_S1A_T6_T7_T9_mT8_S1C_bDpT10_ENKUlT_T0_E_clISt17integral_constantIbLb1EES1O_IbLb0EEEEDaS1K_S1L_EUlS1K_E_NS1_11comp_targetILNS1_3genE4ELNS1_11target_archE910ELNS1_3gpuE8ELNS1_3repE0EEENS1_30default_config_static_selectorELNS0_4arch9wavefront6targetE0EEEvSY_.kd
    .uniform_work_group_size: 1
    .uses_dynamic_stack: false
    .vgpr_count:     0
    .vgpr_spill_count: 0
    .wavefront_size: 32
  - .args:
      - .offset:         0
        .size:           144
        .value_kind:     by_value
    .group_segment_fixed_size: 0
    .kernarg_segment_align: 8
    .kernarg_segment_size: 144
    .language:       OpenCL C
    .language_version:
      - 2
      - 0
    .max_flat_workgroup_size: 256
    .name:           _ZN7rocprim17ROCPRIM_400000_NS6detail17trampoline_kernelINS0_13select_configILj256ELj13ELNS0_17block_load_methodE3ELS4_3ELS4_3ELNS0_20block_scan_algorithmE0ELj4294967295EEENS1_25partition_config_selectorILNS1_17partition_subalgoE3EjNS0_10empty_typeEbEEZZNS1_14partition_implILS8_3ELb0ES6_jNS0_17counting_iteratorIjlEEPS9_SE_NS0_5tupleIJPjSE_EEENSF_IJSE_SE_EEES9_SG_JZNS1_25segmented_radix_sort_implINS0_14default_configELb1EPKdPdPKlPlN2at6native12_GLOBAL__N_18offset_tEEE10hipError_tPvRmT1_PNSt15iterator_traitsISY_E10value_typeET2_T3_PNSZ_IS14_E10value_typeET4_jRbjT5_S1A_jjP12ihipStream_tbEUljE_EEESV_SW_SX_S14_S18_S1A_T6_T7_T9_mT8_S1C_bDpT10_ENKUlT_T0_E_clISt17integral_constantIbLb1EES1O_IbLb0EEEEDaS1K_S1L_EUlS1K_E_NS1_11comp_targetILNS1_3genE3ELNS1_11target_archE908ELNS1_3gpuE7ELNS1_3repE0EEENS1_30default_config_static_selectorELNS0_4arch9wavefront6targetE0EEEvSY_
    .private_segment_fixed_size: 0
    .sgpr_count:     0
    .sgpr_spill_count: 0
    .symbol:         _ZN7rocprim17ROCPRIM_400000_NS6detail17trampoline_kernelINS0_13select_configILj256ELj13ELNS0_17block_load_methodE3ELS4_3ELS4_3ELNS0_20block_scan_algorithmE0ELj4294967295EEENS1_25partition_config_selectorILNS1_17partition_subalgoE3EjNS0_10empty_typeEbEEZZNS1_14partition_implILS8_3ELb0ES6_jNS0_17counting_iteratorIjlEEPS9_SE_NS0_5tupleIJPjSE_EEENSF_IJSE_SE_EEES9_SG_JZNS1_25segmented_radix_sort_implINS0_14default_configELb1EPKdPdPKlPlN2at6native12_GLOBAL__N_18offset_tEEE10hipError_tPvRmT1_PNSt15iterator_traitsISY_E10value_typeET2_T3_PNSZ_IS14_E10value_typeET4_jRbjT5_S1A_jjP12ihipStream_tbEUljE_EEESV_SW_SX_S14_S18_S1A_T6_T7_T9_mT8_S1C_bDpT10_ENKUlT_T0_E_clISt17integral_constantIbLb1EES1O_IbLb0EEEEDaS1K_S1L_EUlS1K_E_NS1_11comp_targetILNS1_3genE3ELNS1_11target_archE908ELNS1_3gpuE7ELNS1_3repE0EEENS1_30default_config_static_selectorELNS0_4arch9wavefront6targetE0EEEvSY_.kd
    .uniform_work_group_size: 1
    .uses_dynamic_stack: false
    .vgpr_count:     0
    .vgpr_spill_count: 0
    .wavefront_size: 32
  - .args:
      - .offset:         0
        .size:           144
        .value_kind:     by_value
    .group_segment_fixed_size: 0
    .kernarg_segment_align: 8
    .kernarg_segment_size: 144
    .language:       OpenCL C
    .language_version:
      - 2
      - 0
    .max_flat_workgroup_size: 256
    .name:           _ZN7rocprim17ROCPRIM_400000_NS6detail17trampoline_kernelINS0_13select_configILj256ELj13ELNS0_17block_load_methodE3ELS4_3ELS4_3ELNS0_20block_scan_algorithmE0ELj4294967295EEENS1_25partition_config_selectorILNS1_17partition_subalgoE3EjNS0_10empty_typeEbEEZZNS1_14partition_implILS8_3ELb0ES6_jNS0_17counting_iteratorIjlEEPS9_SE_NS0_5tupleIJPjSE_EEENSF_IJSE_SE_EEES9_SG_JZNS1_25segmented_radix_sort_implINS0_14default_configELb1EPKdPdPKlPlN2at6native12_GLOBAL__N_18offset_tEEE10hipError_tPvRmT1_PNSt15iterator_traitsISY_E10value_typeET2_T3_PNSZ_IS14_E10value_typeET4_jRbjT5_S1A_jjP12ihipStream_tbEUljE_EEESV_SW_SX_S14_S18_S1A_T6_T7_T9_mT8_S1C_bDpT10_ENKUlT_T0_E_clISt17integral_constantIbLb1EES1O_IbLb0EEEEDaS1K_S1L_EUlS1K_E_NS1_11comp_targetILNS1_3genE2ELNS1_11target_archE906ELNS1_3gpuE6ELNS1_3repE0EEENS1_30default_config_static_selectorELNS0_4arch9wavefront6targetE0EEEvSY_
    .private_segment_fixed_size: 0
    .sgpr_count:     0
    .sgpr_spill_count: 0
    .symbol:         _ZN7rocprim17ROCPRIM_400000_NS6detail17trampoline_kernelINS0_13select_configILj256ELj13ELNS0_17block_load_methodE3ELS4_3ELS4_3ELNS0_20block_scan_algorithmE0ELj4294967295EEENS1_25partition_config_selectorILNS1_17partition_subalgoE3EjNS0_10empty_typeEbEEZZNS1_14partition_implILS8_3ELb0ES6_jNS0_17counting_iteratorIjlEEPS9_SE_NS0_5tupleIJPjSE_EEENSF_IJSE_SE_EEES9_SG_JZNS1_25segmented_radix_sort_implINS0_14default_configELb1EPKdPdPKlPlN2at6native12_GLOBAL__N_18offset_tEEE10hipError_tPvRmT1_PNSt15iterator_traitsISY_E10value_typeET2_T3_PNSZ_IS14_E10value_typeET4_jRbjT5_S1A_jjP12ihipStream_tbEUljE_EEESV_SW_SX_S14_S18_S1A_T6_T7_T9_mT8_S1C_bDpT10_ENKUlT_T0_E_clISt17integral_constantIbLb1EES1O_IbLb0EEEEDaS1K_S1L_EUlS1K_E_NS1_11comp_targetILNS1_3genE2ELNS1_11target_archE906ELNS1_3gpuE6ELNS1_3repE0EEENS1_30default_config_static_selectorELNS0_4arch9wavefront6targetE0EEEvSY_.kd
    .uniform_work_group_size: 1
    .uses_dynamic_stack: false
    .vgpr_count:     0
    .vgpr_spill_count: 0
    .wavefront_size: 32
  - .args:
      - .offset:         0
        .size:           144
        .value_kind:     by_value
    .group_segment_fixed_size: 0
    .kernarg_segment_align: 8
    .kernarg_segment_size: 144
    .language:       OpenCL C
    .language_version:
      - 2
      - 0
    .max_flat_workgroup_size: 256
    .name:           _ZN7rocprim17ROCPRIM_400000_NS6detail17trampoline_kernelINS0_13select_configILj256ELj13ELNS0_17block_load_methodE3ELS4_3ELS4_3ELNS0_20block_scan_algorithmE0ELj4294967295EEENS1_25partition_config_selectorILNS1_17partition_subalgoE3EjNS0_10empty_typeEbEEZZNS1_14partition_implILS8_3ELb0ES6_jNS0_17counting_iteratorIjlEEPS9_SE_NS0_5tupleIJPjSE_EEENSF_IJSE_SE_EEES9_SG_JZNS1_25segmented_radix_sort_implINS0_14default_configELb1EPKdPdPKlPlN2at6native12_GLOBAL__N_18offset_tEEE10hipError_tPvRmT1_PNSt15iterator_traitsISY_E10value_typeET2_T3_PNSZ_IS14_E10value_typeET4_jRbjT5_S1A_jjP12ihipStream_tbEUljE_EEESV_SW_SX_S14_S18_S1A_T6_T7_T9_mT8_S1C_bDpT10_ENKUlT_T0_E_clISt17integral_constantIbLb1EES1O_IbLb0EEEEDaS1K_S1L_EUlS1K_E_NS1_11comp_targetILNS1_3genE10ELNS1_11target_archE1200ELNS1_3gpuE4ELNS1_3repE0EEENS1_30default_config_static_selectorELNS0_4arch9wavefront6targetE0EEEvSY_
    .private_segment_fixed_size: 0
    .sgpr_count:     0
    .sgpr_spill_count: 0
    .symbol:         _ZN7rocprim17ROCPRIM_400000_NS6detail17trampoline_kernelINS0_13select_configILj256ELj13ELNS0_17block_load_methodE3ELS4_3ELS4_3ELNS0_20block_scan_algorithmE0ELj4294967295EEENS1_25partition_config_selectorILNS1_17partition_subalgoE3EjNS0_10empty_typeEbEEZZNS1_14partition_implILS8_3ELb0ES6_jNS0_17counting_iteratorIjlEEPS9_SE_NS0_5tupleIJPjSE_EEENSF_IJSE_SE_EEES9_SG_JZNS1_25segmented_radix_sort_implINS0_14default_configELb1EPKdPdPKlPlN2at6native12_GLOBAL__N_18offset_tEEE10hipError_tPvRmT1_PNSt15iterator_traitsISY_E10value_typeET2_T3_PNSZ_IS14_E10value_typeET4_jRbjT5_S1A_jjP12ihipStream_tbEUljE_EEESV_SW_SX_S14_S18_S1A_T6_T7_T9_mT8_S1C_bDpT10_ENKUlT_T0_E_clISt17integral_constantIbLb1EES1O_IbLb0EEEEDaS1K_S1L_EUlS1K_E_NS1_11comp_targetILNS1_3genE10ELNS1_11target_archE1200ELNS1_3gpuE4ELNS1_3repE0EEENS1_30default_config_static_selectorELNS0_4arch9wavefront6targetE0EEEvSY_.kd
    .uniform_work_group_size: 1
    .uses_dynamic_stack: false
    .vgpr_count:     0
    .vgpr_spill_count: 0
    .wavefront_size: 32
  - .args:
      - .offset:         0
        .size:           144
        .value_kind:     by_value
    .group_segment_fixed_size: 0
    .kernarg_segment_align: 8
    .kernarg_segment_size: 144
    .language:       OpenCL C
    .language_version:
      - 2
      - 0
    .max_flat_workgroup_size: 256
    .name:           _ZN7rocprim17ROCPRIM_400000_NS6detail17trampoline_kernelINS0_13select_configILj256ELj13ELNS0_17block_load_methodE3ELS4_3ELS4_3ELNS0_20block_scan_algorithmE0ELj4294967295EEENS1_25partition_config_selectorILNS1_17partition_subalgoE3EjNS0_10empty_typeEbEEZZNS1_14partition_implILS8_3ELb0ES6_jNS0_17counting_iteratorIjlEEPS9_SE_NS0_5tupleIJPjSE_EEENSF_IJSE_SE_EEES9_SG_JZNS1_25segmented_radix_sort_implINS0_14default_configELb1EPKdPdPKlPlN2at6native12_GLOBAL__N_18offset_tEEE10hipError_tPvRmT1_PNSt15iterator_traitsISY_E10value_typeET2_T3_PNSZ_IS14_E10value_typeET4_jRbjT5_S1A_jjP12ihipStream_tbEUljE_EEESV_SW_SX_S14_S18_S1A_T6_T7_T9_mT8_S1C_bDpT10_ENKUlT_T0_E_clISt17integral_constantIbLb1EES1O_IbLb0EEEEDaS1K_S1L_EUlS1K_E_NS1_11comp_targetILNS1_3genE9ELNS1_11target_archE1100ELNS1_3gpuE3ELNS1_3repE0EEENS1_30default_config_static_selectorELNS0_4arch9wavefront6targetE0EEEvSY_
    .private_segment_fixed_size: 0
    .sgpr_count:     0
    .sgpr_spill_count: 0
    .symbol:         _ZN7rocprim17ROCPRIM_400000_NS6detail17trampoline_kernelINS0_13select_configILj256ELj13ELNS0_17block_load_methodE3ELS4_3ELS4_3ELNS0_20block_scan_algorithmE0ELj4294967295EEENS1_25partition_config_selectorILNS1_17partition_subalgoE3EjNS0_10empty_typeEbEEZZNS1_14partition_implILS8_3ELb0ES6_jNS0_17counting_iteratorIjlEEPS9_SE_NS0_5tupleIJPjSE_EEENSF_IJSE_SE_EEES9_SG_JZNS1_25segmented_radix_sort_implINS0_14default_configELb1EPKdPdPKlPlN2at6native12_GLOBAL__N_18offset_tEEE10hipError_tPvRmT1_PNSt15iterator_traitsISY_E10value_typeET2_T3_PNSZ_IS14_E10value_typeET4_jRbjT5_S1A_jjP12ihipStream_tbEUljE_EEESV_SW_SX_S14_S18_S1A_T6_T7_T9_mT8_S1C_bDpT10_ENKUlT_T0_E_clISt17integral_constantIbLb1EES1O_IbLb0EEEEDaS1K_S1L_EUlS1K_E_NS1_11comp_targetILNS1_3genE9ELNS1_11target_archE1100ELNS1_3gpuE3ELNS1_3repE0EEENS1_30default_config_static_selectorELNS0_4arch9wavefront6targetE0EEEvSY_.kd
    .uniform_work_group_size: 1
    .uses_dynamic_stack: false
    .vgpr_count:     0
    .vgpr_spill_count: 0
    .wavefront_size: 32
  - .args:
      - .offset:         0
        .size:           144
        .value_kind:     by_value
    .group_segment_fixed_size: 0
    .kernarg_segment_align: 8
    .kernarg_segment_size: 144
    .language:       OpenCL C
    .language_version:
      - 2
      - 0
    .max_flat_workgroup_size: 256
    .name:           _ZN7rocprim17ROCPRIM_400000_NS6detail17trampoline_kernelINS0_13select_configILj256ELj13ELNS0_17block_load_methodE3ELS4_3ELS4_3ELNS0_20block_scan_algorithmE0ELj4294967295EEENS1_25partition_config_selectorILNS1_17partition_subalgoE3EjNS0_10empty_typeEbEEZZNS1_14partition_implILS8_3ELb0ES6_jNS0_17counting_iteratorIjlEEPS9_SE_NS0_5tupleIJPjSE_EEENSF_IJSE_SE_EEES9_SG_JZNS1_25segmented_radix_sort_implINS0_14default_configELb1EPKdPdPKlPlN2at6native12_GLOBAL__N_18offset_tEEE10hipError_tPvRmT1_PNSt15iterator_traitsISY_E10value_typeET2_T3_PNSZ_IS14_E10value_typeET4_jRbjT5_S1A_jjP12ihipStream_tbEUljE_EEESV_SW_SX_S14_S18_S1A_T6_T7_T9_mT8_S1C_bDpT10_ENKUlT_T0_E_clISt17integral_constantIbLb1EES1O_IbLb0EEEEDaS1K_S1L_EUlS1K_E_NS1_11comp_targetILNS1_3genE8ELNS1_11target_archE1030ELNS1_3gpuE2ELNS1_3repE0EEENS1_30default_config_static_selectorELNS0_4arch9wavefront6targetE0EEEvSY_
    .private_segment_fixed_size: 0
    .sgpr_count:     0
    .sgpr_spill_count: 0
    .symbol:         _ZN7rocprim17ROCPRIM_400000_NS6detail17trampoline_kernelINS0_13select_configILj256ELj13ELNS0_17block_load_methodE3ELS4_3ELS4_3ELNS0_20block_scan_algorithmE0ELj4294967295EEENS1_25partition_config_selectorILNS1_17partition_subalgoE3EjNS0_10empty_typeEbEEZZNS1_14partition_implILS8_3ELb0ES6_jNS0_17counting_iteratorIjlEEPS9_SE_NS0_5tupleIJPjSE_EEENSF_IJSE_SE_EEES9_SG_JZNS1_25segmented_radix_sort_implINS0_14default_configELb1EPKdPdPKlPlN2at6native12_GLOBAL__N_18offset_tEEE10hipError_tPvRmT1_PNSt15iterator_traitsISY_E10value_typeET2_T3_PNSZ_IS14_E10value_typeET4_jRbjT5_S1A_jjP12ihipStream_tbEUljE_EEESV_SW_SX_S14_S18_S1A_T6_T7_T9_mT8_S1C_bDpT10_ENKUlT_T0_E_clISt17integral_constantIbLb1EES1O_IbLb0EEEEDaS1K_S1L_EUlS1K_E_NS1_11comp_targetILNS1_3genE8ELNS1_11target_archE1030ELNS1_3gpuE2ELNS1_3repE0EEENS1_30default_config_static_selectorELNS0_4arch9wavefront6targetE0EEEvSY_.kd
    .uniform_work_group_size: 1
    .uses_dynamic_stack: false
    .vgpr_count:     0
    .vgpr_spill_count: 0
    .wavefront_size: 32
  - .args:
      - .offset:         0
        .size:           152
        .value_kind:     by_value
    .group_segment_fixed_size: 13320
    .kernarg_segment_align: 8
    .kernarg_segment_size: 152
    .language:       OpenCL C
    .language_version:
      - 2
      - 0
    .max_flat_workgroup_size: 256
    .name:           _ZN7rocprim17ROCPRIM_400000_NS6detail17trampoline_kernelINS0_13select_configILj256ELj13ELNS0_17block_load_methodE3ELS4_3ELS4_3ELNS0_20block_scan_algorithmE0ELj4294967295EEENS1_25partition_config_selectorILNS1_17partition_subalgoE3EjNS0_10empty_typeEbEEZZNS1_14partition_implILS8_3ELb0ES6_jNS0_17counting_iteratorIjlEEPS9_SE_NS0_5tupleIJPjSE_EEENSF_IJSE_SE_EEES9_SG_JZNS1_25segmented_radix_sort_implINS0_14default_configELb1EPKdPdPKlPlN2at6native12_GLOBAL__N_18offset_tEEE10hipError_tPvRmT1_PNSt15iterator_traitsISY_E10value_typeET2_T3_PNSZ_IS14_E10value_typeET4_jRbjT5_S1A_jjP12ihipStream_tbEUljE_EEESV_SW_SX_S14_S18_S1A_T6_T7_T9_mT8_S1C_bDpT10_ENKUlT_T0_E_clISt17integral_constantIbLb0EES1O_IbLb1EEEEDaS1K_S1L_EUlS1K_E_NS1_11comp_targetILNS1_3genE0ELNS1_11target_archE4294967295ELNS1_3gpuE0ELNS1_3repE0EEENS1_30default_config_static_selectorELNS0_4arch9wavefront6targetE0EEEvSY_
    .private_segment_fixed_size: 0
    .sgpr_count:     26
    .sgpr_spill_count: 0
    .symbol:         _ZN7rocprim17ROCPRIM_400000_NS6detail17trampoline_kernelINS0_13select_configILj256ELj13ELNS0_17block_load_methodE3ELS4_3ELS4_3ELNS0_20block_scan_algorithmE0ELj4294967295EEENS1_25partition_config_selectorILNS1_17partition_subalgoE3EjNS0_10empty_typeEbEEZZNS1_14partition_implILS8_3ELb0ES6_jNS0_17counting_iteratorIjlEEPS9_SE_NS0_5tupleIJPjSE_EEENSF_IJSE_SE_EEES9_SG_JZNS1_25segmented_radix_sort_implINS0_14default_configELb1EPKdPdPKlPlN2at6native12_GLOBAL__N_18offset_tEEE10hipError_tPvRmT1_PNSt15iterator_traitsISY_E10value_typeET2_T3_PNSZ_IS14_E10value_typeET4_jRbjT5_S1A_jjP12ihipStream_tbEUljE_EEESV_SW_SX_S14_S18_S1A_T6_T7_T9_mT8_S1C_bDpT10_ENKUlT_T0_E_clISt17integral_constantIbLb0EES1O_IbLb1EEEEDaS1K_S1L_EUlS1K_E_NS1_11comp_targetILNS1_3genE0ELNS1_11target_archE4294967295ELNS1_3gpuE0ELNS1_3repE0EEENS1_30default_config_static_selectorELNS0_4arch9wavefront6targetE0EEEvSY_.kd
    .uniform_work_group_size: 1
    .uses_dynamic_stack: false
    .vgpr_count:     72
    .vgpr_spill_count: 0
    .wavefront_size: 32
  - .args:
      - .offset:         0
        .size:           152
        .value_kind:     by_value
    .group_segment_fixed_size: 0
    .kernarg_segment_align: 8
    .kernarg_segment_size: 152
    .language:       OpenCL C
    .language_version:
      - 2
      - 0
    .max_flat_workgroup_size: 256
    .name:           _ZN7rocprim17ROCPRIM_400000_NS6detail17trampoline_kernelINS0_13select_configILj256ELj13ELNS0_17block_load_methodE3ELS4_3ELS4_3ELNS0_20block_scan_algorithmE0ELj4294967295EEENS1_25partition_config_selectorILNS1_17partition_subalgoE3EjNS0_10empty_typeEbEEZZNS1_14partition_implILS8_3ELb0ES6_jNS0_17counting_iteratorIjlEEPS9_SE_NS0_5tupleIJPjSE_EEENSF_IJSE_SE_EEES9_SG_JZNS1_25segmented_radix_sort_implINS0_14default_configELb1EPKdPdPKlPlN2at6native12_GLOBAL__N_18offset_tEEE10hipError_tPvRmT1_PNSt15iterator_traitsISY_E10value_typeET2_T3_PNSZ_IS14_E10value_typeET4_jRbjT5_S1A_jjP12ihipStream_tbEUljE_EEESV_SW_SX_S14_S18_S1A_T6_T7_T9_mT8_S1C_bDpT10_ENKUlT_T0_E_clISt17integral_constantIbLb0EES1O_IbLb1EEEEDaS1K_S1L_EUlS1K_E_NS1_11comp_targetILNS1_3genE5ELNS1_11target_archE942ELNS1_3gpuE9ELNS1_3repE0EEENS1_30default_config_static_selectorELNS0_4arch9wavefront6targetE0EEEvSY_
    .private_segment_fixed_size: 0
    .sgpr_count:     0
    .sgpr_spill_count: 0
    .symbol:         _ZN7rocprim17ROCPRIM_400000_NS6detail17trampoline_kernelINS0_13select_configILj256ELj13ELNS0_17block_load_methodE3ELS4_3ELS4_3ELNS0_20block_scan_algorithmE0ELj4294967295EEENS1_25partition_config_selectorILNS1_17partition_subalgoE3EjNS0_10empty_typeEbEEZZNS1_14partition_implILS8_3ELb0ES6_jNS0_17counting_iteratorIjlEEPS9_SE_NS0_5tupleIJPjSE_EEENSF_IJSE_SE_EEES9_SG_JZNS1_25segmented_radix_sort_implINS0_14default_configELb1EPKdPdPKlPlN2at6native12_GLOBAL__N_18offset_tEEE10hipError_tPvRmT1_PNSt15iterator_traitsISY_E10value_typeET2_T3_PNSZ_IS14_E10value_typeET4_jRbjT5_S1A_jjP12ihipStream_tbEUljE_EEESV_SW_SX_S14_S18_S1A_T6_T7_T9_mT8_S1C_bDpT10_ENKUlT_T0_E_clISt17integral_constantIbLb0EES1O_IbLb1EEEEDaS1K_S1L_EUlS1K_E_NS1_11comp_targetILNS1_3genE5ELNS1_11target_archE942ELNS1_3gpuE9ELNS1_3repE0EEENS1_30default_config_static_selectorELNS0_4arch9wavefront6targetE0EEEvSY_.kd
    .uniform_work_group_size: 1
    .uses_dynamic_stack: false
    .vgpr_count:     0
    .vgpr_spill_count: 0
    .wavefront_size: 32
  - .args:
      - .offset:         0
        .size:           152
        .value_kind:     by_value
    .group_segment_fixed_size: 0
    .kernarg_segment_align: 8
    .kernarg_segment_size: 152
    .language:       OpenCL C
    .language_version:
      - 2
      - 0
    .max_flat_workgroup_size: 256
    .name:           _ZN7rocprim17ROCPRIM_400000_NS6detail17trampoline_kernelINS0_13select_configILj256ELj13ELNS0_17block_load_methodE3ELS4_3ELS4_3ELNS0_20block_scan_algorithmE0ELj4294967295EEENS1_25partition_config_selectorILNS1_17partition_subalgoE3EjNS0_10empty_typeEbEEZZNS1_14partition_implILS8_3ELb0ES6_jNS0_17counting_iteratorIjlEEPS9_SE_NS0_5tupleIJPjSE_EEENSF_IJSE_SE_EEES9_SG_JZNS1_25segmented_radix_sort_implINS0_14default_configELb1EPKdPdPKlPlN2at6native12_GLOBAL__N_18offset_tEEE10hipError_tPvRmT1_PNSt15iterator_traitsISY_E10value_typeET2_T3_PNSZ_IS14_E10value_typeET4_jRbjT5_S1A_jjP12ihipStream_tbEUljE_EEESV_SW_SX_S14_S18_S1A_T6_T7_T9_mT8_S1C_bDpT10_ENKUlT_T0_E_clISt17integral_constantIbLb0EES1O_IbLb1EEEEDaS1K_S1L_EUlS1K_E_NS1_11comp_targetILNS1_3genE4ELNS1_11target_archE910ELNS1_3gpuE8ELNS1_3repE0EEENS1_30default_config_static_selectorELNS0_4arch9wavefront6targetE0EEEvSY_
    .private_segment_fixed_size: 0
    .sgpr_count:     0
    .sgpr_spill_count: 0
    .symbol:         _ZN7rocprim17ROCPRIM_400000_NS6detail17trampoline_kernelINS0_13select_configILj256ELj13ELNS0_17block_load_methodE3ELS4_3ELS4_3ELNS0_20block_scan_algorithmE0ELj4294967295EEENS1_25partition_config_selectorILNS1_17partition_subalgoE3EjNS0_10empty_typeEbEEZZNS1_14partition_implILS8_3ELb0ES6_jNS0_17counting_iteratorIjlEEPS9_SE_NS0_5tupleIJPjSE_EEENSF_IJSE_SE_EEES9_SG_JZNS1_25segmented_radix_sort_implINS0_14default_configELb1EPKdPdPKlPlN2at6native12_GLOBAL__N_18offset_tEEE10hipError_tPvRmT1_PNSt15iterator_traitsISY_E10value_typeET2_T3_PNSZ_IS14_E10value_typeET4_jRbjT5_S1A_jjP12ihipStream_tbEUljE_EEESV_SW_SX_S14_S18_S1A_T6_T7_T9_mT8_S1C_bDpT10_ENKUlT_T0_E_clISt17integral_constantIbLb0EES1O_IbLb1EEEEDaS1K_S1L_EUlS1K_E_NS1_11comp_targetILNS1_3genE4ELNS1_11target_archE910ELNS1_3gpuE8ELNS1_3repE0EEENS1_30default_config_static_selectorELNS0_4arch9wavefront6targetE0EEEvSY_.kd
    .uniform_work_group_size: 1
    .uses_dynamic_stack: false
    .vgpr_count:     0
    .vgpr_spill_count: 0
    .wavefront_size: 32
  - .args:
      - .offset:         0
        .size:           152
        .value_kind:     by_value
    .group_segment_fixed_size: 0
    .kernarg_segment_align: 8
    .kernarg_segment_size: 152
    .language:       OpenCL C
    .language_version:
      - 2
      - 0
    .max_flat_workgroup_size: 256
    .name:           _ZN7rocprim17ROCPRIM_400000_NS6detail17trampoline_kernelINS0_13select_configILj256ELj13ELNS0_17block_load_methodE3ELS4_3ELS4_3ELNS0_20block_scan_algorithmE0ELj4294967295EEENS1_25partition_config_selectorILNS1_17partition_subalgoE3EjNS0_10empty_typeEbEEZZNS1_14partition_implILS8_3ELb0ES6_jNS0_17counting_iteratorIjlEEPS9_SE_NS0_5tupleIJPjSE_EEENSF_IJSE_SE_EEES9_SG_JZNS1_25segmented_radix_sort_implINS0_14default_configELb1EPKdPdPKlPlN2at6native12_GLOBAL__N_18offset_tEEE10hipError_tPvRmT1_PNSt15iterator_traitsISY_E10value_typeET2_T3_PNSZ_IS14_E10value_typeET4_jRbjT5_S1A_jjP12ihipStream_tbEUljE_EEESV_SW_SX_S14_S18_S1A_T6_T7_T9_mT8_S1C_bDpT10_ENKUlT_T0_E_clISt17integral_constantIbLb0EES1O_IbLb1EEEEDaS1K_S1L_EUlS1K_E_NS1_11comp_targetILNS1_3genE3ELNS1_11target_archE908ELNS1_3gpuE7ELNS1_3repE0EEENS1_30default_config_static_selectorELNS0_4arch9wavefront6targetE0EEEvSY_
    .private_segment_fixed_size: 0
    .sgpr_count:     0
    .sgpr_spill_count: 0
    .symbol:         _ZN7rocprim17ROCPRIM_400000_NS6detail17trampoline_kernelINS0_13select_configILj256ELj13ELNS0_17block_load_methodE3ELS4_3ELS4_3ELNS0_20block_scan_algorithmE0ELj4294967295EEENS1_25partition_config_selectorILNS1_17partition_subalgoE3EjNS0_10empty_typeEbEEZZNS1_14partition_implILS8_3ELb0ES6_jNS0_17counting_iteratorIjlEEPS9_SE_NS0_5tupleIJPjSE_EEENSF_IJSE_SE_EEES9_SG_JZNS1_25segmented_radix_sort_implINS0_14default_configELb1EPKdPdPKlPlN2at6native12_GLOBAL__N_18offset_tEEE10hipError_tPvRmT1_PNSt15iterator_traitsISY_E10value_typeET2_T3_PNSZ_IS14_E10value_typeET4_jRbjT5_S1A_jjP12ihipStream_tbEUljE_EEESV_SW_SX_S14_S18_S1A_T6_T7_T9_mT8_S1C_bDpT10_ENKUlT_T0_E_clISt17integral_constantIbLb0EES1O_IbLb1EEEEDaS1K_S1L_EUlS1K_E_NS1_11comp_targetILNS1_3genE3ELNS1_11target_archE908ELNS1_3gpuE7ELNS1_3repE0EEENS1_30default_config_static_selectorELNS0_4arch9wavefront6targetE0EEEvSY_.kd
    .uniform_work_group_size: 1
    .uses_dynamic_stack: false
    .vgpr_count:     0
    .vgpr_spill_count: 0
    .wavefront_size: 32
  - .args:
      - .offset:         0
        .size:           152
        .value_kind:     by_value
    .group_segment_fixed_size: 0
    .kernarg_segment_align: 8
    .kernarg_segment_size: 152
    .language:       OpenCL C
    .language_version:
      - 2
      - 0
    .max_flat_workgroup_size: 256
    .name:           _ZN7rocprim17ROCPRIM_400000_NS6detail17trampoline_kernelINS0_13select_configILj256ELj13ELNS0_17block_load_methodE3ELS4_3ELS4_3ELNS0_20block_scan_algorithmE0ELj4294967295EEENS1_25partition_config_selectorILNS1_17partition_subalgoE3EjNS0_10empty_typeEbEEZZNS1_14partition_implILS8_3ELb0ES6_jNS0_17counting_iteratorIjlEEPS9_SE_NS0_5tupleIJPjSE_EEENSF_IJSE_SE_EEES9_SG_JZNS1_25segmented_radix_sort_implINS0_14default_configELb1EPKdPdPKlPlN2at6native12_GLOBAL__N_18offset_tEEE10hipError_tPvRmT1_PNSt15iterator_traitsISY_E10value_typeET2_T3_PNSZ_IS14_E10value_typeET4_jRbjT5_S1A_jjP12ihipStream_tbEUljE_EEESV_SW_SX_S14_S18_S1A_T6_T7_T9_mT8_S1C_bDpT10_ENKUlT_T0_E_clISt17integral_constantIbLb0EES1O_IbLb1EEEEDaS1K_S1L_EUlS1K_E_NS1_11comp_targetILNS1_3genE2ELNS1_11target_archE906ELNS1_3gpuE6ELNS1_3repE0EEENS1_30default_config_static_selectorELNS0_4arch9wavefront6targetE0EEEvSY_
    .private_segment_fixed_size: 0
    .sgpr_count:     0
    .sgpr_spill_count: 0
    .symbol:         _ZN7rocprim17ROCPRIM_400000_NS6detail17trampoline_kernelINS0_13select_configILj256ELj13ELNS0_17block_load_methodE3ELS4_3ELS4_3ELNS0_20block_scan_algorithmE0ELj4294967295EEENS1_25partition_config_selectorILNS1_17partition_subalgoE3EjNS0_10empty_typeEbEEZZNS1_14partition_implILS8_3ELb0ES6_jNS0_17counting_iteratorIjlEEPS9_SE_NS0_5tupleIJPjSE_EEENSF_IJSE_SE_EEES9_SG_JZNS1_25segmented_radix_sort_implINS0_14default_configELb1EPKdPdPKlPlN2at6native12_GLOBAL__N_18offset_tEEE10hipError_tPvRmT1_PNSt15iterator_traitsISY_E10value_typeET2_T3_PNSZ_IS14_E10value_typeET4_jRbjT5_S1A_jjP12ihipStream_tbEUljE_EEESV_SW_SX_S14_S18_S1A_T6_T7_T9_mT8_S1C_bDpT10_ENKUlT_T0_E_clISt17integral_constantIbLb0EES1O_IbLb1EEEEDaS1K_S1L_EUlS1K_E_NS1_11comp_targetILNS1_3genE2ELNS1_11target_archE906ELNS1_3gpuE6ELNS1_3repE0EEENS1_30default_config_static_selectorELNS0_4arch9wavefront6targetE0EEEvSY_.kd
    .uniform_work_group_size: 1
    .uses_dynamic_stack: false
    .vgpr_count:     0
    .vgpr_spill_count: 0
    .wavefront_size: 32
  - .args:
      - .offset:         0
        .size:           152
        .value_kind:     by_value
    .group_segment_fixed_size: 0
    .kernarg_segment_align: 8
    .kernarg_segment_size: 152
    .language:       OpenCL C
    .language_version:
      - 2
      - 0
    .max_flat_workgroup_size: 256
    .name:           _ZN7rocprim17ROCPRIM_400000_NS6detail17trampoline_kernelINS0_13select_configILj256ELj13ELNS0_17block_load_methodE3ELS4_3ELS4_3ELNS0_20block_scan_algorithmE0ELj4294967295EEENS1_25partition_config_selectorILNS1_17partition_subalgoE3EjNS0_10empty_typeEbEEZZNS1_14partition_implILS8_3ELb0ES6_jNS0_17counting_iteratorIjlEEPS9_SE_NS0_5tupleIJPjSE_EEENSF_IJSE_SE_EEES9_SG_JZNS1_25segmented_radix_sort_implINS0_14default_configELb1EPKdPdPKlPlN2at6native12_GLOBAL__N_18offset_tEEE10hipError_tPvRmT1_PNSt15iterator_traitsISY_E10value_typeET2_T3_PNSZ_IS14_E10value_typeET4_jRbjT5_S1A_jjP12ihipStream_tbEUljE_EEESV_SW_SX_S14_S18_S1A_T6_T7_T9_mT8_S1C_bDpT10_ENKUlT_T0_E_clISt17integral_constantIbLb0EES1O_IbLb1EEEEDaS1K_S1L_EUlS1K_E_NS1_11comp_targetILNS1_3genE10ELNS1_11target_archE1200ELNS1_3gpuE4ELNS1_3repE0EEENS1_30default_config_static_selectorELNS0_4arch9wavefront6targetE0EEEvSY_
    .private_segment_fixed_size: 0
    .sgpr_count:     0
    .sgpr_spill_count: 0
    .symbol:         _ZN7rocprim17ROCPRIM_400000_NS6detail17trampoline_kernelINS0_13select_configILj256ELj13ELNS0_17block_load_methodE3ELS4_3ELS4_3ELNS0_20block_scan_algorithmE0ELj4294967295EEENS1_25partition_config_selectorILNS1_17partition_subalgoE3EjNS0_10empty_typeEbEEZZNS1_14partition_implILS8_3ELb0ES6_jNS0_17counting_iteratorIjlEEPS9_SE_NS0_5tupleIJPjSE_EEENSF_IJSE_SE_EEES9_SG_JZNS1_25segmented_radix_sort_implINS0_14default_configELb1EPKdPdPKlPlN2at6native12_GLOBAL__N_18offset_tEEE10hipError_tPvRmT1_PNSt15iterator_traitsISY_E10value_typeET2_T3_PNSZ_IS14_E10value_typeET4_jRbjT5_S1A_jjP12ihipStream_tbEUljE_EEESV_SW_SX_S14_S18_S1A_T6_T7_T9_mT8_S1C_bDpT10_ENKUlT_T0_E_clISt17integral_constantIbLb0EES1O_IbLb1EEEEDaS1K_S1L_EUlS1K_E_NS1_11comp_targetILNS1_3genE10ELNS1_11target_archE1200ELNS1_3gpuE4ELNS1_3repE0EEENS1_30default_config_static_selectorELNS0_4arch9wavefront6targetE0EEEvSY_.kd
    .uniform_work_group_size: 1
    .uses_dynamic_stack: false
    .vgpr_count:     0
    .vgpr_spill_count: 0
    .wavefront_size: 32
  - .args:
      - .offset:         0
        .size:           152
        .value_kind:     by_value
    .group_segment_fixed_size: 0
    .kernarg_segment_align: 8
    .kernarg_segment_size: 152
    .language:       OpenCL C
    .language_version:
      - 2
      - 0
    .max_flat_workgroup_size: 256
    .name:           _ZN7rocprim17ROCPRIM_400000_NS6detail17trampoline_kernelINS0_13select_configILj256ELj13ELNS0_17block_load_methodE3ELS4_3ELS4_3ELNS0_20block_scan_algorithmE0ELj4294967295EEENS1_25partition_config_selectorILNS1_17partition_subalgoE3EjNS0_10empty_typeEbEEZZNS1_14partition_implILS8_3ELb0ES6_jNS0_17counting_iteratorIjlEEPS9_SE_NS0_5tupleIJPjSE_EEENSF_IJSE_SE_EEES9_SG_JZNS1_25segmented_radix_sort_implINS0_14default_configELb1EPKdPdPKlPlN2at6native12_GLOBAL__N_18offset_tEEE10hipError_tPvRmT1_PNSt15iterator_traitsISY_E10value_typeET2_T3_PNSZ_IS14_E10value_typeET4_jRbjT5_S1A_jjP12ihipStream_tbEUljE_EEESV_SW_SX_S14_S18_S1A_T6_T7_T9_mT8_S1C_bDpT10_ENKUlT_T0_E_clISt17integral_constantIbLb0EES1O_IbLb1EEEEDaS1K_S1L_EUlS1K_E_NS1_11comp_targetILNS1_3genE9ELNS1_11target_archE1100ELNS1_3gpuE3ELNS1_3repE0EEENS1_30default_config_static_selectorELNS0_4arch9wavefront6targetE0EEEvSY_
    .private_segment_fixed_size: 0
    .sgpr_count:     0
    .sgpr_spill_count: 0
    .symbol:         _ZN7rocprim17ROCPRIM_400000_NS6detail17trampoline_kernelINS0_13select_configILj256ELj13ELNS0_17block_load_methodE3ELS4_3ELS4_3ELNS0_20block_scan_algorithmE0ELj4294967295EEENS1_25partition_config_selectorILNS1_17partition_subalgoE3EjNS0_10empty_typeEbEEZZNS1_14partition_implILS8_3ELb0ES6_jNS0_17counting_iteratorIjlEEPS9_SE_NS0_5tupleIJPjSE_EEENSF_IJSE_SE_EEES9_SG_JZNS1_25segmented_radix_sort_implINS0_14default_configELb1EPKdPdPKlPlN2at6native12_GLOBAL__N_18offset_tEEE10hipError_tPvRmT1_PNSt15iterator_traitsISY_E10value_typeET2_T3_PNSZ_IS14_E10value_typeET4_jRbjT5_S1A_jjP12ihipStream_tbEUljE_EEESV_SW_SX_S14_S18_S1A_T6_T7_T9_mT8_S1C_bDpT10_ENKUlT_T0_E_clISt17integral_constantIbLb0EES1O_IbLb1EEEEDaS1K_S1L_EUlS1K_E_NS1_11comp_targetILNS1_3genE9ELNS1_11target_archE1100ELNS1_3gpuE3ELNS1_3repE0EEENS1_30default_config_static_selectorELNS0_4arch9wavefront6targetE0EEEvSY_.kd
    .uniform_work_group_size: 1
    .uses_dynamic_stack: false
    .vgpr_count:     0
    .vgpr_spill_count: 0
    .wavefront_size: 32
  - .args:
      - .offset:         0
        .size:           152
        .value_kind:     by_value
    .group_segment_fixed_size: 0
    .kernarg_segment_align: 8
    .kernarg_segment_size: 152
    .language:       OpenCL C
    .language_version:
      - 2
      - 0
    .max_flat_workgroup_size: 256
    .name:           _ZN7rocprim17ROCPRIM_400000_NS6detail17trampoline_kernelINS0_13select_configILj256ELj13ELNS0_17block_load_methodE3ELS4_3ELS4_3ELNS0_20block_scan_algorithmE0ELj4294967295EEENS1_25partition_config_selectorILNS1_17partition_subalgoE3EjNS0_10empty_typeEbEEZZNS1_14partition_implILS8_3ELb0ES6_jNS0_17counting_iteratorIjlEEPS9_SE_NS0_5tupleIJPjSE_EEENSF_IJSE_SE_EEES9_SG_JZNS1_25segmented_radix_sort_implINS0_14default_configELb1EPKdPdPKlPlN2at6native12_GLOBAL__N_18offset_tEEE10hipError_tPvRmT1_PNSt15iterator_traitsISY_E10value_typeET2_T3_PNSZ_IS14_E10value_typeET4_jRbjT5_S1A_jjP12ihipStream_tbEUljE_EEESV_SW_SX_S14_S18_S1A_T6_T7_T9_mT8_S1C_bDpT10_ENKUlT_T0_E_clISt17integral_constantIbLb0EES1O_IbLb1EEEEDaS1K_S1L_EUlS1K_E_NS1_11comp_targetILNS1_3genE8ELNS1_11target_archE1030ELNS1_3gpuE2ELNS1_3repE0EEENS1_30default_config_static_selectorELNS0_4arch9wavefront6targetE0EEEvSY_
    .private_segment_fixed_size: 0
    .sgpr_count:     0
    .sgpr_spill_count: 0
    .symbol:         _ZN7rocprim17ROCPRIM_400000_NS6detail17trampoline_kernelINS0_13select_configILj256ELj13ELNS0_17block_load_methodE3ELS4_3ELS4_3ELNS0_20block_scan_algorithmE0ELj4294967295EEENS1_25partition_config_selectorILNS1_17partition_subalgoE3EjNS0_10empty_typeEbEEZZNS1_14partition_implILS8_3ELb0ES6_jNS0_17counting_iteratorIjlEEPS9_SE_NS0_5tupleIJPjSE_EEENSF_IJSE_SE_EEES9_SG_JZNS1_25segmented_radix_sort_implINS0_14default_configELb1EPKdPdPKlPlN2at6native12_GLOBAL__N_18offset_tEEE10hipError_tPvRmT1_PNSt15iterator_traitsISY_E10value_typeET2_T3_PNSZ_IS14_E10value_typeET4_jRbjT5_S1A_jjP12ihipStream_tbEUljE_EEESV_SW_SX_S14_S18_S1A_T6_T7_T9_mT8_S1C_bDpT10_ENKUlT_T0_E_clISt17integral_constantIbLb0EES1O_IbLb1EEEEDaS1K_S1L_EUlS1K_E_NS1_11comp_targetILNS1_3genE8ELNS1_11target_archE1030ELNS1_3gpuE2ELNS1_3repE0EEENS1_30default_config_static_selectorELNS0_4arch9wavefront6targetE0EEEvSY_.kd
    .uniform_work_group_size: 1
    .uses_dynamic_stack: false
    .vgpr_count:     0
    .vgpr_spill_count: 0
    .wavefront_size: 32
  - .args:
      - .offset:         0
        .size:           96
        .value_kind:     by_value
      - .offset:         96
        .size:           4
        .value_kind:     hidden_block_count_x
      - .offset:         100
        .size:           4
        .value_kind:     hidden_block_count_y
      - .offset:         104
        .size:           4
        .value_kind:     hidden_block_count_z
      - .offset:         108
        .size:           2
        .value_kind:     hidden_group_size_x
      - .offset:         110
        .size:           2
        .value_kind:     hidden_group_size_y
      - .offset:         112
        .size:           2
        .value_kind:     hidden_group_size_z
      - .offset:         114
        .size:           2
        .value_kind:     hidden_remainder_x
      - .offset:         116
        .size:           2
        .value_kind:     hidden_remainder_y
      - .offset:         118
        .size:           2
        .value_kind:     hidden_remainder_z
      - .offset:         136
        .size:           8
        .value_kind:     hidden_global_offset_x
      - .offset:         144
        .size:           8
        .value_kind:     hidden_global_offset_y
      - .offset:         152
        .size:           8
        .value_kind:     hidden_global_offset_z
      - .offset:         160
        .size:           2
        .value_kind:     hidden_grid_dims
      - .offset:         176
        .size:           8
        .value_kind:     hidden_hostcall_buffer
      - .offset:         184
        .size:           8
        .value_kind:     hidden_multigrid_sync_arg
      - .offset:         192
        .size:           8
        .value_kind:     hidden_heap_v1
      - .offset:         200
        .size:           8
        .value_kind:     hidden_default_queue
      - .offset:         208
        .size:           8
        .value_kind:     hidden_completion_action
      - .offset:         296
        .size:           8
        .value_kind:     hidden_queue_ptr
    .group_segment_fixed_size: 33824
    .kernarg_segment_align: 8
    .kernarg_segment_size: 352
    .language:       OpenCL C
    .language_version:
      - 2
      - 0
    .max_flat_workgroup_size: 256
    .name:           _ZN7rocprim17ROCPRIM_400000_NS6detail17trampoline_kernelINS0_14default_configENS1_36segmented_radix_sort_config_selectorIdlEEZNS1_25segmented_radix_sort_implIS3_Lb1EPKdPdPKlPlN2at6native12_GLOBAL__N_18offset_tEEE10hipError_tPvRmT1_PNSt15iterator_traitsISK_E10value_typeET2_T3_PNSL_ISQ_E10value_typeET4_jRbjT5_SW_jjP12ihipStream_tbEUlT_E_NS1_11comp_targetILNS1_3genE0ELNS1_11target_archE4294967295ELNS1_3gpuE0ELNS1_3repE0EEENS1_30default_config_static_selectorELNS0_4arch9wavefront6targetE0EEEvSK_
    .private_segment_fixed_size: 0
    .sgpr_count:     65
    .sgpr_spill_count: 0
    .symbol:         _ZN7rocprim17ROCPRIM_400000_NS6detail17trampoline_kernelINS0_14default_configENS1_36segmented_radix_sort_config_selectorIdlEEZNS1_25segmented_radix_sort_implIS3_Lb1EPKdPdPKlPlN2at6native12_GLOBAL__N_18offset_tEEE10hipError_tPvRmT1_PNSt15iterator_traitsISK_E10value_typeET2_T3_PNSL_ISQ_E10value_typeET4_jRbjT5_SW_jjP12ihipStream_tbEUlT_E_NS1_11comp_targetILNS1_3genE0ELNS1_11target_archE4294967295ELNS1_3gpuE0ELNS1_3repE0EEENS1_30default_config_static_selectorELNS0_4arch9wavefront6targetE0EEEvSK_.kd
    .uniform_work_group_size: 1
    .uses_dynamic_stack: false
    .vgpr_count:     319
    .vgpr_spill_count: 0
    .wavefront_size: 32
  - .args:
      - .offset:         0
        .size:           96
        .value_kind:     by_value
    .group_segment_fixed_size: 0
    .kernarg_segment_align: 8
    .kernarg_segment_size: 96
    .language:       OpenCL C
    .language_version:
      - 2
      - 0
    .max_flat_workgroup_size: 256
    .name:           _ZN7rocprim17ROCPRIM_400000_NS6detail17trampoline_kernelINS0_14default_configENS1_36segmented_radix_sort_config_selectorIdlEEZNS1_25segmented_radix_sort_implIS3_Lb1EPKdPdPKlPlN2at6native12_GLOBAL__N_18offset_tEEE10hipError_tPvRmT1_PNSt15iterator_traitsISK_E10value_typeET2_T3_PNSL_ISQ_E10value_typeET4_jRbjT5_SW_jjP12ihipStream_tbEUlT_E_NS1_11comp_targetILNS1_3genE5ELNS1_11target_archE942ELNS1_3gpuE9ELNS1_3repE0EEENS1_30default_config_static_selectorELNS0_4arch9wavefront6targetE0EEEvSK_
    .private_segment_fixed_size: 0
    .sgpr_count:     0
    .sgpr_spill_count: 0
    .symbol:         _ZN7rocprim17ROCPRIM_400000_NS6detail17trampoline_kernelINS0_14default_configENS1_36segmented_radix_sort_config_selectorIdlEEZNS1_25segmented_radix_sort_implIS3_Lb1EPKdPdPKlPlN2at6native12_GLOBAL__N_18offset_tEEE10hipError_tPvRmT1_PNSt15iterator_traitsISK_E10value_typeET2_T3_PNSL_ISQ_E10value_typeET4_jRbjT5_SW_jjP12ihipStream_tbEUlT_E_NS1_11comp_targetILNS1_3genE5ELNS1_11target_archE942ELNS1_3gpuE9ELNS1_3repE0EEENS1_30default_config_static_selectorELNS0_4arch9wavefront6targetE0EEEvSK_.kd
    .uniform_work_group_size: 1
    .uses_dynamic_stack: false
    .vgpr_count:     0
    .vgpr_spill_count: 0
    .wavefront_size: 32
  - .args:
      - .offset:         0
        .size:           96
        .value_kind:     by_value
    .group_segment_fixed_size: 0
    .kernarg_segment_align: 8
    .kernarg_segment_size: 96
    .language:       OpenCL C
    .language_version:
      - 2
      - 0
    .max_flat_workgroup_size: 256
    .name:           _ZN7rocprim17ROCPRIM_400000_NS6detail17trampoline_kernelINS0_14default_configENS1_36segmented_radix_sort_config_selectorIdlEEZNS1_25segmented_radix_sort_implIS3_Lb1EPKdPdPKlPlN2at6native12_GLOBAL__N_18offset_tEEE10hipError_tPvRmT1_PNSt15iterator_traitsISK_E10value_typeET2_T3_PNSL_ISQ_E10value_typeET4_jRbjT5_SW_jjP12ihipStream_tbEUlT_E_NS1_11comp_targetILNS1_3genE4ELNS1_11target_archE910ELNS1_3gpuE8ELNS1_3repE0EEENS1_30default_config_static_selectorELNS0_4arch9wavefront6targetE0EEEvSK_
    .private_segment_fixed_size: 0
    .sgpr_count:     0
    .sgpr_spill_count: 0
    .symbol:         _ZN7rocprim17ROCPRIM_400000_NS6detail17trampoline_kernelINS0_14default_configENS1_36segmented_radix_sort_config_selectorIdlEEZNS1_25segmented_radix_sort_implIS3_Lb1EPKdPdPKlPlN2at6native12_GLOBAL__N_18offset_tEEE10hipError_tPvRmT1_PNSt15iterator_traitsISK_E10value_typeET2_T3_PNSL_ISQ_E10value_typeET4_jRbjT5_SW_jjP12ihipStream_tbEUlT_E_NS1_11comp_targetILNS1_3genE4ELNS1_11target_archE910ELNS1_3gpuE8ELNS1_3repE0EEENS1_30default_config_static_selectorELNS0_4arch9wavefront6targetE0EEEvSK_.kd
    .uniform_work_group_size: 1
    .uses_dynamic_stack: false
    .vgpr_count:     0
    .vgpr_spill_count: 0
    .wavefront_size: 32
  - .args:
      - .offset:         0
        .size:           96
        .value_kind:     by_value
    .group_segment_fixed_size: 0
    .kernarg_segment_align: 8
    .kernarg_segment_size: 96
    .language:       OpenCL C
    .language_version:
      - 2
      - 0
    .max_flat_workgroup_size: 256
    .name:           _ZN7rocprim17ROCPRIM_400000_NS6detail17trampoline_kernelINS0_14default_configENS1_36segmented_radix_sort_config_selectorIdlEEZNS1_25segmented_radix_sort_implIS3_Lb1EPKdPdPKlPlN2at6native12_GLOBAL__N_18offset_tEEE10hipError_tPvRmT1_PNSt15iterator_traitsISK_E10value_typeET2_T3_PNSL_ISQ_E10value_typeET4_jRbjT5_SW_jjP12ihipStream_tbEUlT_E_NS1_11comp_targetILNS1_3genE3ELNS1_11target_archE908ELNS1_3gpuE7ELNS1_3repE0EEENS1_30default_config_static_selectorELNS0_4arch9wavefront6targetE0EEEvSK_
    .private_segment_fixed_size: 0
    .sgpr_count:     0
    .sgpr_spill_count: 0
    .symbol:         _ZN7rocprim17ROCPRIM_400000_NS6detail17trampoline_kernelINS0_14default_configENS1_36segmented_radix_sort_config_selectorIdlEEZNS1_25segmented_radix_sort_implIS3_Lb1EPKdPdPKlPlN2at6native12_GLOBAL__N_18offset_tEEE10hipError_tPvRmT1_PNSt15iterator_traitsISK_E10value_typeET2_T3_PNSL_ISQ_E10value_typeET4_jRbjT5_SW_jjP12ihipStream_tbEUlT_E_NS1_11comp_targetILNS1_3genE3ELNS1_11target_archE908ELNS1_3gpuE7ELNS1_3repE0EEENS1_30default_config_static_selectorELNS0_4arch9wavefront6targetE0EEEvSK_.kd
    .uniform_work_group_size: 1
    .uses_dynamic_stack: false
    .vgpr_count:     0
    .vgpr_spill_count: 0
    .wavefront_size: 32
  - .args:
      - .offset:         0
        .size:           96
        .value_kind:     by_value
    .group_segment_fixed_size: 0
    .kernarg_segment_align: 8
    .kernarg_segment_size: 96
    .language:       OpenCL C
    .language_version:
      - 2
      - 0
    .max_flat_workgroup_size: 256
    .name:           _ZN7rocprim17ROCPRIM_400000_NS6detail17trampoline_kernelINS0_14default_configENS1_36segmented_radix_sort_config_selectorIdlEEZNS1_25segmented_radix_sort_implIS3_Lb1EPKdPdPKlPlN2at6native12_GLOBAL__N_18offset_tEEE10hipError_tPvRmT1_PNSt15iterator_traitsISK_E10value_typeET2_T3_PNSL_ISQ_E10value_typeET4_jRbjT5_SW_jjP12ihipStream_tbEUlT_E_NS1_11comp_targetILNS1_3genE2ELNS1_11target_archE906ELNS1_3gpuE6ELNS1_3repE0EEENS1_30default_config_static_selectorELNS0_4arch9wavefront6targetE0EEEvSK_
    .private_segment_fixed_size: 0
    .sgpr_count:     0
    .sgpr_spill_count: 0
    .symbol:         _ZN7rocprim17ROCPRIM_400000_NS6detail17trampoline_kernelINS0_14default_configENS1_36segmented_radix_sort_config_selectorIdlEEZNS1_25segmented_radix_sort_implIS3_Lb1EPKdPdPKlPlN2at6native12_GLOBAL__N_18offset_tEEE10hipError_tPvRmT1_PNSt15iterator_traitsISK_E10value_typeET2_T3_PNSL_ISQ_E10value_typeET4_jRbjT5_SW_jjP12ihipStream_tbEUlT_E_NS1_11comp_targetILNS1_3genE2ELNS1_11target_archE906ELNS1_3gpuE6ELNS1_3repE0EEENS1_30default_config_static_selectorELNS0_4arch9wavefront6targetE0EEEvSK_.kd
    .uniform_work_group_size: 1
    .uses_dynamic_stack: false
    .vgpr_count:     0
    .vgpr_spill_count: 0
    .wavefront_size: 32
  - .args:
      - .offset:         0
        .size:           96
        .value_kind:     by_value
    .group_segment_fixed_size: 0
    .kernarg_segment_align: 8
    .kernarg_segment_size: 96
    .language:       OpenCL C
    .language_version:
      - 2
      - 0
    .max_flat_workgroup_size: 256
    .name:           _ZN7rocprim17ROCPRIM_400000_NS6detail17trampoline_kernelINS0_14default_configENS1_36segmented_radix_sort_config_selectorIdlEEZNS1_25segmented_radix_sort_implIS3_Lb1EPKdPdPKlPlN2at6native12_GLOBAL__N_18offset_tEEE10hipError_tPvRmT1_PNSt15iterator_traitsISK_E10value_typeET2_T3_PNSL_ISQ_E10value_typeET4_jRbjT5_SW_jjP12ihipStream_tbEUlT_E_NS1_11comp_targetILNS1_3genE10ELNS1_11target_archE1201ELNS1_3gpuE5ELNS1_3repE0EEENS1_30default_config_static_selectorELNS0_4arch9wavefront6targetE0EEEvSK_
    .private_segment_fixed_size: 0
    .sgpr_count:     0
    .sgpr_spill_count: 0
    .symbol:         _ZN7rocprim17ROCPRIM_400000_NS6detail17trampoline_kernelINS0_14default_configENS1_36segmented_radix_sort_config_selectorIdlEEZNS1_25segmented_radix_sort_implIS3_Lb1EPKdPdPKlPlN2at6native12_GLOBAL__N_18offset_tEEE10hipError_tPvRmT1_PNSt15iterator_traitsISK_E10value_typeET2_T3_PNSL_ISQ_E10value_typeET4_jRbjT5_SW_jjP12ihipStream_tbEUlT_E_NS1_11comp_targetILNS1_3genE10ELNS1_11target_archE1201ELNS1_3gpuE5ELNS1_3repE0EEENS1_30default_config_static_selectorELNS0_4arch9wavefront6targetE0EEEvSK_.kd
    .uniform_work_group_size: 1
    .uses_dynamic_stack: false
    .vgpr_count:     0
    .vgpr_spill_count: 0
    .wavefront_size: 32
  - .args:
      - .offset:         0
        .size:           96
        .value_kind:     by_value
    .group_segment_fixed_size: 0
    .kernarg_segment_align: 8
    .kernarg_segment_size: 96
    .language:       OpenCL C
    .language_version:
      - 2
      - 0
    .max_flat_workgroup_size: 128
    .name:           _ZN7rocprim17ROCPRIM_400000_NS6detail17trampoline_kernelINS0_14default_configENS1_36segmented_radix_sort_config_selectorIdlEEZNS1_25segmented_radix_sort_implIS3_Lb1EPKdPdPKlPlN2at6native12_GLOBAL__N_18offset_tEEE10hipError_tPvRmT1_PNSt15iterator_traitsISK_E10value_typeET2_T3_PNSL_ISQ_E10value_typeET4_jRbjT5_SW_jjP12ihipStream_tbEUlT_E_NS1_11comp_targetILNS1_3genE10ELNS1_11target_archE1200ELNS1_3gpuE4ELNS1_3repE0EEENS1_30default_config_static_selectorELNS0_4arch9wavefront6targetE0EEEvSK_
    .private_segment_fixed_size: 0
    .sgpr_count:     0
    .sgpr_spill_count: 0
    .symbol:         _ZN7rocprim17ROCPRIM_400000_NS6detail17trampoline_kernelINS0_14default_configENS1_36segmented_radix_sort_config_selectorIdlEEZNS1_25segmented_radix_sort_implIS3_Lb1EPKdPdPKlPlN2at6native12_GLOBAL__N_18offset_tEEE10hipError_tPvRmT1_PNSt15iterator_traitsISK_E10value_typeET2_T3_PNSL_ISQ_E10value_typeET4_jRbjT5_SW_jjP12ihipStream_tbEUlT_E_NS1_11comp_targetILNS1_3genE10ELNS1_11target_archE1200ELNS1_3gpuE4ELNS1_3repE0EEENS1_30default_config_static_selectorELNS0_4arch9wavefront6targetE0EEEvSK_.kd
    .uniform_work_group_size: 1
    .uses_dynamic_stack: false
    .vgpr_count:     0
    .vgpr_spill_count: 0
    .wavefront_size: 32
  - .args:
      - .offset:         0
        .size:           96
        .value_kind:     by_value
    .group_segment_fixed_size: 0
    .kernarg_segment_align: 8
    .kernarg_segment_size: 96
    .language:       OpenCL C
    .language_version:
      - 2
      - 0
    .max_flat_workgroup_size: 256
    .name:           _ZN7rocprim17ROCPRIM_400000_NS6detail17trampoline_kernelINS0_14default_configENS1_36segmented_radix_sort_config_selectorIdlEEZNS1_25segmented_radix_sort_implIS3_Lb1EPKdPdPKlPlN2at6native12_GLOBAL__N_18offset_tEEE10hipError_tPvRmT1_PNSt15iterator_traitsISK_E10value_typeET2_T3_PNSL_ISQ_E10value_typeET4_jRbjT5_SW_jjP12ihipStream_tbEUlT_E_NS1_11comp_targetILNS1_3genE9ELNS1_11target_archE1100ELNS1_3gpuE3ELNS1_3repE0EEENS1_30default_config_static_selectorELNS0_4arch9wavefront6targetE0EEEvSK_
    .private_segment_fixed_size: 0
    .sgpr_count:     0
    .sgpr_spill_count: 0
    .symbol:         _ZN7rocprim17ROCPRIM_400000_NS6detail17trampoline_kernelINS0_14default_configENS1_36segmented_radix_sort_config_selectorIdlEEZNS1_25segmented_radix_sort_implIS3_Lb1EPKdPdPKlPlN2at6native12_GLOBAL__N_18offset_tEEE10hipError_tPvRmT1_PNSt15iterator_traitsISK_E10value_typeET2_T3_PNSL_ISQ_E10value_typeET4_jRbjT5_SW_jjP12ihipStream_tbEUlT_E_NS1_11comp_targetILNS1_3genE9ELNS1_11target_archE1100ELNS1_3gpuE3ELNS1_3repE0EEENS1_30default_config_static_selectorELNS0_4arch9wavefront6targetE0EEEvSK_.kd
    .uniform_work_group_size: 1
    .uses_dynamic_stack: false
    .vgpr_count:     0
    .vgpr_spill_count: 0
    .wavefront_size: 32
  - .args:
      - .offset:         0
        .size:           96
        .value_kind:     by_value
    .group_segment_fixed_size: 0
    .kernarg_segment_align: 8
    .kernarg_segment_size: 96
    .language:       OpenCL C
    .language_version:
      - 2
      - 0
    .max_flat_workgroup_size: 256
    .name:           _ZN7rocprim17ROCPRIM_400000_NS6detail17trampoline_kernelINS0_14default_configENS1_36segmented_radix_sort_config_selectorIdlEEZNS1_25segmented_radix_sort_implIS3_Lb1EPKdPdPKlPlN2at6native12_GLOBAL__N_18offset_tEEE10hipError_tPvRmT1_PNSt15iterator_traitsISK_E10value_typeET2_T3_PNSL_ISQ_E10value_typeET4_jRbjT5_SW_jjP12ihipStream_tbEUlT_E_NS1_11comp_targetILNS1_3genE8ELNS1_11target_archE1030ELNS1_3gpuE2ELNS1_3repE0EEENS1_30default_config_static_selectorELNS0_4arch9wavefront6targetE0EEEvSK_
    .private_segment_fixed_size: 0
    .sgpr_count:     0
    .sgpr_spill_count: 0
    .symbol:         _ZN7rocprim17ROCPRIM_400000_NS6detail17trampoline_kernelINS0_14default_configENS1_36segmented_radix_sort_config_selectorIdlEEZNS1_25segmented_radix_sort_implIS3_Lb1EPKdPdPKlPlN2at6native12_GLOBAL__N_18offset_tEEE10hipError_tPvRmT1_PNSt15iterator_traitsISK_E10value_typeET2_T3_PNSL_ISQ_E10value_typeET4_jRbjT5_SW_jjP12ihipStream_tbEUlT_E_NS1_11comp_targetILNS1_3genE8ELNS1_11target_archE1030ELNS1_3gpuE2ELNS1_3repE0EEENS1_30default_config_static_selectorELNS0_4arch9wavefront6targetE0EEEvSK_.kd
    .uniform_work_group_size: 1
    .uses_dynamic_stack: false
    .vgpr_count:     0
    .vgpr_spill_count: 0
    .wavefront_size: 32
  - .args:
      - .offset:         0
        .size:           88
        .value_kind:     by_value
      - .offset:         88
        .size:           4
        .value_kind:     hidden_block_count_x
      - .offset:         92
        .size:           4
        .value_kind:     hidden_block_count_y
      - .offset:         96
        .size:           4
        .value_kind:     hidden_block_count_z
      - .offset:         100
        .size:           2
        .value_kind:     hidden_group_size_x
      - .offset:         102
        .size:           2
        .value_kind:     hidden_group_size_y
      - .offset:         104
        .size:           2
        .value_kind:     hidden_group_size_z
      - .offset:         106
        .size:           2
        .value_kind:     hidden_remainder_x
      - .offset:         108
        .size:           2
        .value_kind:     hidden_remainder_y
      - .offset:         110
        .size:           2
        .value_kind:     hidden_remainder_z
      - .offset:         128
        .size:           8
        .value_kind:     hidden_global_offset_x
      - .offset:         136
        .size:           8
        .value_kind:     hidden_global_offset_y
      - .offset:         144
        .size:           8
        .value_kind:     hidden_global_offset_z
      - .offset:         152
        .size:           2
        .value_kind:     hidden_grid_dims
      - .offset:         168
        .size:           8
        .value_kind:     hidden_hostcall_buffer
      - .offset:         176
        .size:           8
        .value_kind:     hidden_multigrid_sync_arg
      - .offset:         184
        .size:           8
        .value_kind:     hidden_heap_v1
      - .offset:         192
        .size:           8
        .value_kind:     hidden_default_queue
      - .offset:         200
        .size:           8
        .value_kind:     hidden_completion_action
      - .offset:         288
        .size:           8
        .value_kind:     hidden_queue_ptr
    .group_segment_fixed_size: 32768
    .kernarg_segment_align: 8
    .kernarg_segment_size: 344
    .language:       OpenCL C
    .language_version:
      - 2
      - 0
    .max_flat_workgroup_size: 256
    .name:           _ZN7rocprim17ROCPRIM_400000_NS6detail17trampoline_kernelINS0_14default_configENS1_36segmented_radix_sort_config_selectorIdlEEZNS1_25segmented_radix_sort_implIS3_Lb1EPKdPdPKlPlN2at6native12_GLOBAL__N_18offset_tEEE10hipError_tPvRmT1_PNSt15iterator_traitsISK_E10value_typeET2_T3_PNSL_ISQ_E10value_typeET4_jRbjT5_SW_jjP12ihipStream_tbEUlT_E0_NS1_11comp_targetILNS1_3genE0ELNS1_11target_archE4294967295ELNS1_3gpuE0ELNS1_3repE0EEENS1_60segmented_radix_sort_warp_sort_medium_config_static_selectorELNS0_4arch9wavefront6targetE0EEEvSK_
    .private_segment_fixed_size: 0
    .sgpr_count:     46
    .sgpr_spill_count: 0
    .symbol:         _ZN7rocprim17ROCPRIM_400000_NS6detail17trampoline_kernelINS0_14default_configENS1_36segmented_radix_sort_config_selectorIdlEEZNS1_25segmented_radix_sort_implIS3_Lb1EPKdPdPKlPlN2at6native12_GLOBAL__N_18offset_tEEE10hipError_tPvRmT1_PNSt15iterator_traitsISK_E10value_typeET2_T3_PNSL_ISQ_E10value_typeET4_jRbjT5_SW_jjP12ihipStream_tbEUlT_E0_NS1_11comp_targetILNS1_3genE0ELNS1_11target_archE4294967295ELNS1_3gpuE0ELNS1_3repE0EEENS1_60segmented_radix_sort_warp_sort_medium_config_static_selectorELNS0_4arch9wavefront6targetE0EEEvSK_.kd
    .uniform_work_group_size: 1
    .uses_dynamic_stack: false
    .vgpr_count:     104
    .vgpr_spill_count: 0
    .wavefront_size: 32
  - .args:
      - .offset:         0
        .size:           88
        .value_kind:     by_value
    .group_segment_fixed_size: 0
    .kernarg_segment_align: 8
    .kernarg_segment_size: 88
    .language:       OpenCL C
    .language_version:
      - 2
      - 0
    .max_flat_workgroup_size: 256
    .name:           _ZN7rocprim17ROCPRIM_400000_NS6detail17trampoline_kernelINS0_14default_configENS1_36segmented_radix_sort_config_selectorIdlEEZNS1_25segmented_radix_sort_implIS3_Lb1EPKdPdPKlPlN2at6native12_GLOBAL__N_18offset_tEEE10hipError_tPvRmT1_PNSt15iterator_traitsISK_E10value_typeET2_T3_PNSL_ISQ_E10value_typeET4_jRbjT5_SW_jjP12ihipStream_tbEUlT_E0_NS1_11comp_targetILNS1_3genE5ELNS1_11target_archE942ELNS1_3gpuE9ELNS1_3repE0EEENS1_60segmented_radix_sort_warp_sort_medium_config_static_selectorELNS0_4arch9wavefront6targetE0EEEvSK_
    .private_segment_fixed_size: 0
    .sgpr_count:     0
    .sgpr_spill_count: 0
    .symbol:         _ZN7rocprim17ROCPRIM_400000_NS6detail17trampoline_kernelINS0_14default_configENS1_36segmented_radix_sort_config_selectorIdlEEZNS1_25segmented_radix_sort_implIS3_Lb1EPKdPdPKlPlN2at6native12_GLOBAL__N_18offset_tEEE10hipError_tPvRmT1_PNSt15iterator_traitsISK_E10value_typeET2_T3_PNSL_ISQ_E10value_typeET4_jRbjT5_SW_jjP12ihipStream_tbEUlT_E0_NS1_11comp_targetILNS1_3genE5ELNS1_11target_archE942ELNS1_3gpuE9ELNS1_3repE0EEENS1_60segmented_radix_sort_warp_sort_medium_config_static_selectorELNS0_4arch9wavefront6targetE0EEEvSK_.kd
    .uniform_work_group_size: 1
    .uses_dynamic_stack: false
    .vgpr_count:     0
    .vgpr_spill_count: 0
    .wavefront_size: 32
  - .args:
      - .offset:         0
        .size:           88
        .value_kind:     by_value
    .group_segment_fixed_size: 0
    .kernarg_segment_align: 8
    .kernarg_segment_size: 88
    .language:       OpenCL C
    .language_version:
      - 2
      - 0
    .max_flat_workgroup_size: 256
    .name:           _ZN7rocprim17ROCPRIM_400000_NS6detail17trampoline_kernelINS0_14default_configENS1_36segmented_radix_sort_config_selectorIdlEEZNS1_25segmented_radix_sort_implIS3_Lb1EPKdPdPKlPlN2at6native12_GLOBAL__N_18offset_tEEE10hipError_tPvRmT1_PNSt15iterator_traitsISK_E10value_typeET2_T3_PNSL_ISQ_E10value_typeET4_jRbjT5_SW_jjP12ihipStream_tbEUlT_E0_NS1_11comp_targetILNS1_3genE4ELNS1_11target_archE910ELNS1_3gpuE8ELNS1_3repE0EEENS1_60segmented_radix_sort_warp_sort_medium_config_static_selectorELNS0_4arch9wavefront6targetE0EEEvSK_
    .private_segment_fixed_size: 0
    .sgpr_count:     0
    .sgpr_spill_count: 0
    .symbol:         _ZN7rocprim17ROCPRIM_400000_NS6detail17trampoline_kernelINS0_14default_configENS1_36segmented_radix_sort_config_selectorIdlEEZNS1_25segmented_radix_sort_implIS3_Lb1EPKdPdPKlPlN2at6native12_GLOBAL__N_18offset_tEEE10hipError_tPvRmT1_PNSt15iterator_traitsISK_E10value_typeET2_T3_PNSL_ISQ_E10value_typeET4_jRbjT5_SW_jjP12ihipStream_tbEUlT_E0_NS1_11comp_targetILNS1_3genE4ELNS1_11target_archE910ELNS1_3gpuE8ELNS1_3repE0EEENS1_60segmented_radix_sort_warp_sort_medium_config_static_selectorELNS0_4arch9wavefront6targetE0EEEvSK_.kd
    .uniform_work_group_size: 1
    .uses_dynamic_stack: false
    .vgpr_count:     0
    .vgpr_spill_count: 0
    .wavefront_size: 32
  - .args:
      - .offset:         0
        .size:           88
        .value_kind:     by_value
    .group_segment_fixed_size: 0
    .kernarg_segment_align: 8
    .kernarg_segment_size: 88
    .language:       OpenCL C
    .language_version:
      - 2
      - 0
    .max_flat_workgroup_size: 256
    .name:           _ZN7rocprim17ROCPRIM_400000_NS6detail17trampoline_kernelINS0_14default_configENS1_36segmented_radix_sort_config_selectorIdlEEZNS1_25segmented_radix_sort_implIS3_Lb1EPKdPdPKlPlN2at6native12_GLOBAL__N_18offset_tEEE10hipError_tPvRmT1_PNSt15iterator_traitsISK_E10value_typeET2_T3_PNSL_ISQ_E10value_typeET4_jRbjT5_SW_jjP12ihipStream_tbEUlT_E0_NS1_11comp_targetILNS1_3genE3ELNS1_11target_archE908ELNS1_3gpuE7ELNS1_3repE0EEENS1_60segmented_radix_sort_warp_sort_medium_config_static_selectorELNS0_4arch9wavefront6targetE0EEEvSK_
    .private_segment_fixed_size: 0
    .sgpr_count:     0
    .sgpr_spill_count: 0
    .symbol:         _ZN7rocprim17ROCPRIM_400000_NS6detail17trampoline_kernelINS0_14default_configENS1_36segmented_radix_sort_config_selectorIdlEEZNS1_25segmented_radix_sort_implIS3_Lb1EPKdPdPKlPlN2at6native12_GLOBAL__N_18offset_tEEE10hipError_tPvRmT1_PNSt15iterator_traitsISK_E10value_typeET2_T3_PNSL_ISQ_E10value_typeET4_jRbjT5_SW_jjP12ihipStream_tbEUlT_E0_NS1_11comp_targetILNS1_3genE3ELNS1_11target_archE908ELNS1_3gpuE7ELNS1_3repE0EEENS1_60segmented_radix_sort_warp_sort_medium_config_static_selectorELNS0_4arch9wavefront6targetE0EEEvSK_.kd
    .uniform_work_group_size: 1
    .uses_dynamic_stack: false
    .vgpr_count:     0
    .vgpr_spill_count: 0
    .wavefront_size: 32
  - .args:
      - .offset:         0
        .size:           88
        .value_kind:     by_value
    .group_segment_fixed_size: 0
    .kernarg_segment_align: 8
    .kernarg_segment_size: 88
    .language:       OpenCL C
    .language_version:
      - 2
      - 0
    .max_flat_workgroup_size: 256
    .name:           _ZN7rocprim17ROCPRIM_400000_NS6detail17trampoline_kernelINS0_14default_configENS1_36segmented_radix_sort_config_selectorIdlEEZNS1_25segmented_radix_sort_implIS3_Lb1EPKdPdPKlPlN2at6native12_GLOBAL__N_18offset_tEEE10hipError_tPvRmT1_PNSt15iterator_traitsISK_E10value_typeET2_T3_PNSL_ISQ_E10value_typeET4_jRbjT5_SW_jjP12ihipStream_tbEUlT_E0_NS1_11comp_targetILNS1_3genE2ELNS1_11target_archE906ELNS1_3gpuE6ELNS1_3repE0EEENS1_60segmented_radix_sort_warp_sort_medium_config_static_selectorELNS0_4arch9wavefront6targetE0EEEvSK_
    .private_segment_fixed_size: 0
    .sgpr_count:     0
    .sgpr_spill_count: 0
    .symbol:         _ZN7rocprim17ROCPRIM_400000_NS6detail17trampoline_kernelINS0_14default_configENS1_36segmented_radix_sort_config_selectorIdlEEZNS1_25segmented_radix_sort_implIS3_Lb1EPKdPdPKlPlN2at6native12_GLOBAL__N_18offset_tEEE10hipError_tPvRmT1_PNSt15iterator_traitsISK_E10value_typeET2_T3_PNSL_ISQ_E10value_typeET4_jRbjT5_SW_jjP12ihipStream_tbEUlT_E0_NS1_11comp_targetILNS1_3genE2ELNS1_11target_archE906ELNS1_3gpuE6ELNS1_3repE0EEENS1_60segmented_radix_sort_warp_sort_medium_config_static_selectorELNS0_4arch9wavefront6targetE0EEEvSK_.kd
    .uniform_work_group_size: 1
    .uses_dynamic_stack: false
    .vgpr_count:     0
    .vgpr_spill_count: 0
    .wavefront_size: 32
  - .args:
      - .offset:         0
        .size:           88
        .value_kind:     by_value
    .group_segment_fixed_size: 0
    .kernarg_segment_align: 8
    .kernarg_segment_size: 88
    .language:       OpenCL C
    .language_version:
      - 2
      - 0
    .max_flat_workgroup_size: 256
    .name:           _ZN7rocprim17ROCPRIM_400000_NS6detail17trampoline_kernelINS0_14default_configENS1_36segmented_radix_sort_config_selectorIdlEEZNS1_25segmented_radix_sort_implIS3_Lb1EPKdPdPKlPlN2at6native12_GLOBAL__N_18offset_tEEE10hipError_tPvRmT1_PNSt15iterator_traitsISK_E10value_typeET2_T3_PNSL_ISQ_E10value_typeET4_jRbjT5_SW_jjP12ihipStream_tbEUlT_E0_NS1_11comp_targetILNS1_3genE10ELNS1_11target_archE1201ELNS1_3gpuE5ELNS1_3repE0EEENS1_60segmented_radix_sort_warp_sort_medium_config_static_selectorELNS0_4arch9wavefront6targetE0EEEvSK_
    .private_segment_fixed_size: 0
    .sgpr_count:     0
    .sgpr_spill_count: 0
    .symbol:         _ZN7rocprim17ROCPRIM_400000_NS6detail17trampoline_kernelINS0_14default_configENS1_36segmented_radix_sort_config_selectorIdlEEZNS1_25segmented_radix_sort_implIS3_Lb1EPKdPdPKlPlN2at6native12_GLOBAL__N_18offset_tEEE10hipError_tPvRmT1_PNSt15iterator_traitsISK_E10value_typeET2_T3_PNSL_ISQ_E10value_typeET4_jRbjT5_SW_jjP12ihipStream_tbEUlT_E0_NS1_11comp_targetILNS1_3genE10ELNS1_11target_archE1201ELNS1_3gpuE5ELNS1_3repE0EEENS1_60segmented_radix_sort_warp_sort_medium_config_static_selectorELNS0_4arch9wavefront6targetE0EEEvSK_.kd
    .uniform_work_group_size: 1
    .uses_dynamic_stack: false
    .vgpr_count:     0
    .vgpr_spill_count: 0
    .wavefront_size: 32
  - .args:
      - .offset:         0
        .size:           88
        .value_kind:     by_value
    .group_segment_fixed_size: 0
    .kernarg_segment_align: 8
    .kernarg_segment_size: 88
    .language:       OpenCL C
    .language_version:
      - 2
      - 0
    .max_flat_workgroup_size: 256
    .name:           _ZN7rocprim17ROCPRIM_400000_NS6detail17trampoline_kernelINS0_14default_configENS1_36segmented_radix_sort_config_selectorIdlEEZNS1_25segmented_radix_sort_implIS3_Lb1EPKdPdPKlPlN2at6native12_GLOBAL__N_18offset_tEEE10hipError_tPvRmT1_PNSt15iterator_traitsISK_E10value_typeET2_T3_PNSL_ISQ_E10value_typeET4_jRbjT5_SW_jjP12ihipStream_tbEUlT_E0_NS1_11comp_targetILNS1_3genE10ELNS1_11target_archE1200ELNS1_3gpuE4ELNS1_3repE0EEENS1_60segmented_radix_sort_warp_sort_medium_config_static_selectorELNS0_4arch9wavefront6targetE0EEEvSK_
    .private_segment_fixed_size: 0
    .sgpr_count:     0
    .sgpr_spill_count: 0
    .symbol:         _ZN7rocprim17ROCPRIM_400000_NS6detail17trampoline_kernelINS0_14default_configENS1_36segmented_radix_sort_config_selectorIdlEEZNS1_25segmented_radix_sort_implIS3_Lb1EPKdPdPKlPlN2at6native12_GLOBAL__N_18offset_tEEE10hipError_tPvRmT1_PNSt15iterator_traitsISK_E10value_typeET2_T3_PNSL_ISQ_E10value_typeET4_jRbjT5_SW_jjP12ihipStream_tbEUlT_E0_NS1_11comp_targetILNS1_3genE10ELNS1_11target_archE1200ELNS1_3gpuE4ELNS1_3repE0EEENS1_60segmented_radix_sort_warp_sort_medium_config_static_selectorELNS0_4arch9wavefront6targetE0EEEvSK_.kd
    .uniform_work_group_size: 1
    .uses_dynamic_stack: false
    .vgpr_count:     0
    .vgpr_spill_count: 0
    .wavefront_size: 32
  - .args:
      - .offset:         0
        .size:           88
        .value_kind:     by_value
    .group_segment_fixed_size: 0
    .kernarg_segment_align: 8
    .kernarg_segment_size: 88
    .language:       OpenCL C
    .language_version:
      - 2
      - 0
    .max_flat_workgroup_size: 256
    .name:           _ZN7rocprim17ROCPRIM_400000_NS6detail17trampoline_kernelINS0_14default_configENS1_36segmented_radix_sort_config_selectorIdlEEZNS1_25segmented_radix_sort_implIS3_Lb1EPKdPdPKlPlN2at6native12_GLOBAL__N_18offset_tEEE10hipError_tPvRmT1_PNSt15iterator_traitsISK_E10value_typeET2_T3_PNSL_ISQ_E10value_typeET4_jRbjT5_SW_jjP12ihipStream_tbEUlT_E0_NS1_11comp_targetILNS1_3genE9ELNS1_11target_archE1100ELNS1_3gpuE3ELNS1_3repE0EEENS1_60segmented_radix_sort_warp_sort_medium_config_static_selectorELNS0_4arch9wavefront6targetE0EEEvSK_
    .private_segment_fixed_size: 0
    .sgpr_count:     0
    .sgpr_spill_count: 0
    .symbol:         _ZN7rocprim17ROCPRIM_400000_NS6detail17trampoline_kernelINS0_14default_configENS1_36segmented_radix_sort_config_selectorIdlEEZNS1_25segmented_radix_sort_implIS3_Lb1EPKdPdPKlPlN2at6native12_GLOBAL__N_18offset_tEEE10hipError_tPvRmT1_PNSt15iterator_traitsISK_E10value_typeET2_T3_PNSL_ISQ_E10value_typeET4_jRbjT5_SW_jjP12ihipStream_tbEUlT_E0_NS1_11comp_targetILNS1_3genE9ELNS1_11target_archE1100ELNS1_3gpuE3ELNS1_3repE0EEENS1_60segmented_radix_sort_warp_sort_medium_config_static_selectorELNS0_4arch9wavefront6targetE0EEEvSK_.kd
    .uniform_work_group_size: 1
    .uses_dynamic_stack: false
    .vgpr_count:     0
    .vgpr_spill_count: 0
    .wavefront_size: 32
  - .args:
      - .offset:         0
        .size:           88
        .value_kind:     by_value
    .group_segment_fixed_size: 0
    .kernarg_segment_align: 8
    .kernarg_segment_size: 88
    .language:       OpenCL C
    .language_version:
      - 2
      - 0
    .max_flat_workgroup_size: 256
    .name:           _ZN7rocprim17ROCPRIM_400000_NS6detail17trampoline_kernelINS0_14default_configENS1_36segmented_radix_sort_config_selectorIdlEEZNS1_25segmented_radix_sort_implIS3_Lb1EPKdPdPKlPlN2at6native12_GLOBAL__N_18offset_tEEE10hipError_tPvRmT1_PNSt15iterator_traitsISK_E10value_typeET2_T3_PNSL_ISQ_E10value_typeET4_jRbjT5_SW_jjP12ihipStream_tbEUlT_E0_NS1_11comp_targetILNS1_3genE8ELNS1_11target_archE1030ELNS1_3gpuE2ELNS1_3repE0EEENS1_60segmented_radix_sort_warp_sort_medium_config_static_selectorELNS0_4arch9wavefront6targetE0EEEvSK_
    .private_segment_fixed_size: 0
    .sgpr_count:     0
    .sgpr_spill_count: 0
    .symbol:         _ZN7rocprim17ROCPRIM_400000_NS6detail17trampoline_kernelINS0_14default_configENS1_36segmented_radix_sort_config_selectorIdlEEZNS1_25segmented_radix_sort_implIS3_Lb1EPKdPdPKlPlN2at6native12_GLOBAL__N_18offset_tEEE10hipError_tPvRmT1_PNSt15iterator_traitsISK_E10value_typeET2_T3_PNSL_ISQ_E10value_typeET4_jRbjT5_SW_jjP12ihipStream_tbEUlT_E0_NS1_11comp_targetILNS1_3genE8ELNS1_11target_archE1030ELNS1_3gpuE2ELNS1_3repE0EEENS1_60segmented_radix_sort_warp_sort_medium_config_static_selectorELNS0_4arch9wavefront6targetE0EEEvSK_.kd
    .uniform_work_group_size: 1
    .uses_dynamic_stack: false
    .vgpr_count:     0
    .vgpr_spill_count: 0
    .wavefront_size: 32
  - .args:
      - .offset:         0
        .size:           88
        .value_kind:     by_value
      - .offset:         88
        .size:           4
        .value_kind:     hidden_block_count_x
      - .offset:         92
        .size:           4
        .value_kind:     hidden_block_count_y
      - .offset:         96
        .size:           4
        .value_kind:     hidden_block_count_z
      - .offset:         100
        .size:           2
        .value_kind:     hidden_group_size_x
      - .offset:         102
        .size:           2
        .value_kind:     hidden_group_size_y
      - .offset:         104
        .size:           2
        .value_kind:     hidden_group_size_z
      - .offset:         106
        .size:           2
        .value_kind:     hidden_remainder_x
      - .offset:         108
        .size:           2
        .value_kind:     hidden_remainder_y
      - .offset:         110
        .size:           2
        .value_kind:     hidden_remainder_z
      - .offset:         128
        .size:           8
        .value_kind:     hidden_global_offset_x
      - .offset:         136
        .size:           8
        .value_kind:     hidden_global_offset_y
      - .offset:         144
        .size:           8
        .value_kind:     hidden_global_offset_z
      - .offset:         152
        .size:           2
        .value_kind:     hidden_grid_dims
      - .offset:         168
        .size:           8
        .value_kind:     hidden_hostcall_buffer
      - .offset:         176
        .size:           8
        .value_kind:     hidden_multigrid_sync_arg
      - .offset:         184
        .size:           8
        .value_kind:     hidden_heap_v1
      - .offset:         192
        .size:           8
        .value_kind:     hidden_default_queue
      - .offset:         200
        .size:           8
        .value_kind:     hidden_completion_action
      - .offset:         288
        .size:           8
        .value_kind:     hidden_queue_ptr
    .group_segment_fixed_size: 16384
    .kernarg_segment_align: 8
    .kernarg_segment_size: 344
    .language:       OpenCL C
    .language_version:
      - 2
      - 0
    .max_flat_workgroup_size: 256
    .name:           _ZN7rocprim17ROCPRIM_400000_NS6detail17trampoline_kernelINS0_14default_configENS1_36segmented_radix_sort_config_selectorIdlEEZNS1_25segmented_radix_sort_implIS3_Lb1EPKdPdPKlPlN2at6native12_GLOBAL__N_18offset_tEEE10hipError_tPvRmT1_PNSt15iterator_traitsISK_E10value_typeET2_T3_PNSL_ISQ_E10value_typeET4_jRbjT5_SW_jjP12ihipStream_tbEUlT_E1_NS1_11comp_targetILNS1_3genE0ELNS1_11target_archE4294967295ELNS1_3gpuE0ELNS1_3repE0EEENS1_59segmented_radix_sort_warp_sort_small_config_static_selectorELNS0_4arch9wavefront6targetE0EEEvSK_
    .private_segment_fixed_size: 0
    .sgpr_count:     35
    .sgpr_spill_count: 0
    .symbol:         _ZN7rocprim17ROCPRIM_400000_NS6detail17trampoline_kernelINS0_14default_configENS1_36segmented_radix_sort_config_selectorIdlEEZNS1_25segmented_radix_sort_implIS3_Lb1EPKdPdPKlPlN2at6native12_GLOBAL__N_18offset_tEEE10hipError_tPvRmT1_PNSt15iterator_traitsISK_E10value_typeET2_T3_PNSL_ISQ_E10value_typeET4_jRbjT5_SW_jjP12ihipStream_tbEUlT_E1_NS1_11comp_targetILNS1_3genE0ELNS1_11target_archE4294967295ELNS1_3gpuE0ELNS1_3repE0EEENS1_59segmented_radix_sort_warp_sort_small_config_static_selectorELNS0_4arch9wavefront6targetE0EEEvSK_.kd
    .uniform_work_group_size: 1
    .uses_dynamic_stack: false
    .vgpr_count:     69
    .vgpr_spill_count: 0
    .wavefront_size: 32
  - .args:
      - .offset:         0
        .size:           88
        .value_kind:     by_value
    .group_segment_fixed_size: 0
    .kernarg_segment_align: 8
    .kernarg_segment_size: 88
    .language:       OpenCL C
    .language_version:
      - 2
      - 0
    .max_flat_workgroup_size: 256
    .name:           _ZN7rocprim17ROCPRIM_400000_NS6detail17trampoline_kernelINS0_14default_configENS1_36segmented_radix_sort_config_selectorIdlEEZNS1_25segmented_radix_sort_implIS3_Lb1EPKdPdPKlPlN2at6native12_GLOBAL__N_18offset_tEEE10hipError_tPvRmT1_PNSt15iterator_traitsISK_E10value_typeET2_T3_PNSL_ISQ_E10value_typeET4_jRbjT5_SW_jjP12ihipStream_tbEUlT_E1_NS1_11comp_targetILNS1_3genE5ELNS1_11target_archE942ELNS1_3gpuE9ELNS1_3repE0EEENS1_59segmented_radix_sort_warp_sort_small_config_static_selectorELNS0_4arch9wavefront6targetE0EEEvSK_
    .private_segment_fixed_size: 0
    .sgpr_count:     0
    .sgpr_spill_count: 0
    .symbol:         _ZN7rocprim17ROCPRIM_400000_NS6detail17trampoline_kernelINS0_14default_configENS1_36segmented_radix_sort_config_selectorIdlEEZNS1_25segmented_radix_sort_implIS3_Lb1EPKdPdPKlPlN2at6native12_GLOBAL__N_18offset_tEEE10hipError_tPvRmT1_PNSt15iterator_traitsISK_E10value_typeET2_T3_PNSL_ISQ_E10value_typeET4_jRbjT5_SW_jjP12ihipStream_tbEUlT_E1_NS1_11comp_targetILNS1_3genE5ELNS1_11target_archE942ELNS1_3gpuE9ELNS1_3repE0EEENS1_59segmented_radix_sort_warp_sort_small_config_static_selectorELNS0_4arch9wavefront6targetE0EEEvSK_.kd
    .uniform_work_group_size: 1
    .uses_dynamic_stack: false
    .vgpr_count:     0
    .vgpr_spill_count: 0
    .wavefront_size: 32
  - .args:
      - .offset:         0
        .size:           88
        .value_kind:     by_value
    .group_segment_fixed_size: 0
    .kernarg_segment_align: 8
    .kernarg_segment_size: 88
    .language:       OpenCL C
    .language_version:
      - 2
      - 0
    .max_flat_workgroup_size: 256
    .name:           _ZN7rocprim17ROCPRIM_400000_NS6detail17trampoline_kernelINS0_14default_configENS1_36segmented_radix_sort_config_selectorIdlEEZNS1_25segmented_radix_sort_implIS3_Lb1EPKdPdPKlPlN2at6native12_GLOBAL__N_18offset_tEEE10hipError_tPvRmT1_PNSt15iterator_traitsISK_E10value_typeET2_T3_PNSL_ISQ_E10value_typeET4_jRbjT5_SW_jjP12ihipStream_tbEUlT_E1_NS1_11comp_targetILNS1_3genE4ELNS1_11target_archE910ELNS1_3gpuE8ELNS1_3repE0EEENS1_59segmented_radix_sort_warp_sort_small_config_static_selectorELNS0_4arch9wavefront6targetE0EEEvSK_
    .private_segment_fixed_size: 0
    .sgpr_count:     0
    .sgpr_spill_count: 0
    .symbol:         _ZN7rocprim17ROCPRIM_400000_NS6detail17trampoline_kernelINS0_14default_configENS1_36segmented_radix_sort_config_selectorIdlEEZNS1_25segmented_radix_sort_implIS3_Lb1EPKdPdPKlPlN2at6native12_GLOBAL__N_18offset_tEEE10hipError_tPvRmT1_PNSt15iterator_traitsISK_E10value_typeET2_T3_PNSL_ISQ_E10value_typeET4_jRbjT5_SW_jjP12ihipStream_tbEUlT_E1_NS1_11comp_targetILNS1_3genE4ELNS1_11target_archE910ELNS1_3gpuE8ELNS1_3repE0EEENS1_59segmented_radix_sort_warp_sort_small_config_static_selectorELNS0_4arch9wavefront6targetE0EEEvSK_.kd
    .uniform_work_group_size: 1
    .uses_dynamic_stack: false
    .vgpr_count:     0
    .vgpr_spill_count: 0
    .wavefront_size: 32
  - .args:
      - .offset:         0
        .size:           88
        .value_kind:     by_value
    .group_segment_fixed_size: 0
    .kernarg_segment_align: 8
    .kernarg_segment_size: 88
    .language:       OpenCL C
    .language_version:
      - 2
      - 0
    .max_flat_workgroup_size: 256
    .name:           _ZN7rocprim17ROCPRIM_400000_NS6detail17trampoline_kernelINS0_14default_configENS1_36segmented_radix_sort_config_selectorIdlEEZNS1_25segmented_radix_sort_implIS3_Lb1EPKdPdPKlPlN2at6native12_GLOBAL__N_18offset_tEEE10hipError_tPvRmT1_PNSt15iterator_traitsISK_E10value_typeET2_T3_PNSL_ISQ_E10value_typeET4_jRbjT5_SW_jjP12ihipStream_tbEUlT_E1_NS1_11comp_targetILNS1_3genE3ELNS1_11target_archE908ELNS1_3gpuE7ELNS1_3repE0EEENS1_59segmented_radix_sort_warp_sort_small_config_static_selectorELNS0_4arch9wavefront6targetE0EEEvSK_
    .private_segment_fixed_size: 0
    .sgpr_count:     0
    .sgpr_spill_count: 0
    .symbol:         _ZN7rocprim17ROCPRIM_400000_NS6detail17trampoline_kernelINS0_14default_configENS1_36segmented_radix_sort_config_selectorIdlEEZNS1_25segmented_radix_sort_implIS3_Lb1EPKdPdPKlPlN2at6native12_GLOBAL__N_18offset_tEEE10hipError_tPvRmT1_PNSt15iterator_traitsISK_E10value_typeET2_T3_PNSL_ISQ_E10value_typeET4_jRbjT5_SW_jjP12ihipStream_tbEUlT_E1_NS1_11comp_targetILNS1_3genE3ELNS1_11target_archE908ELNS1_3gpuE7ELNS1_3repE0EEENS1_59segmented_radix_sort_warp_sort_small_config_static_selectorELNS0_4arch9wavefront6targetE0EEEvSK_.kd
    .uniform_work_group_size: 1
    .uses_dynamic_stack: false
    .vgpr_count:     0
    .vgpr_spill_count: 0
    .wavefront_size: 32
  - .args:
      - .offset:         0
        .size:           88
        .value_kind:     by_value
    .group_segment_fixed_size: 0
    .kernarg_segment_align: 8
    .kernarg_segment_size: 88
    .language:       OpenCL C
    .language_version:
      - 2
      - 0
    .max_flat_workgroup_size: 256
    .name:           _ZN7rocprim17ROCPRIM_400000_NS6detail17trampoline_kernelINS0_14default_configENS1_36segmented_radix_sort_config_selectorIdlEEZNS1_25segmented_radix_sort_implIS3_Lb1EPKdPdPKlPlN2at6native12_GLOBAL__N_18offset_tEEE10hipError_tPvRmT1_PNSt15iterator_traitsISK_E10value_typeET2_T3_PNSL_ISQ_E10value_typeET4_jRbjT5_SW_jjP12ihipStream_tbEUlT_E1_NS1_11comp_targetILNS1_3genE2ELNS1_11target_archE906ELNS1_3gpuE6ELNS1_3repE0EEENS1_59segmented_radix_sort_warp_sort_small_config_static_selectorELNS0_4arch9wavefront6targetE0EEEvSK_
    .private_segment_fixed_size: 0
    .sgpr_count:     0
    .sgpr_spill_count: 0
    .symbol:         _ZN7rocprim17ROCPRIM_400000_NS6detail17trampoline_kernelINS0_14default_configENS1_36segmented_radix_sort_config_selectorIdlEEZNS1_25segmented_radix_sort_implIS3_Lb1EPKdPdPKlPlN2at6native12_GLOBAL__N_18offset_tEEE10hipError_tPvRmT1_PNSt15iterator_traitsISK_E10value_typeET2_T3_PNSL_ISQ_E10value_typeET4_jRbjT5_SW_jjP12ihipStream_tbEUlT_E1_NS1_11comp_targetILNS1_3genE2ELNS1_11target_archE906ELNS1_3gpuE6ELNS1_3repE0EEENS1_59segmented_radix_sort_warp_sort_small_config_static_selectorELNS0_4arch9wavefront6targetE0EEEvSK_.kd
    .uniform_work_group_size: 1
    .uses_dynamic_stack: false
    .vgpr_count:     0
    .vgpr_spill_count: 0
    .wavefront_size: 32
  - .args:
      - .offset:         0
        .size:           88
        .value_kind:     by_value
    .group_segment_fixed_size: 0
    .kernarg_segment_align: 8
    .kernarg_segment_size: 88
    .language:       OpenCL C
    .language_version:
      - 2
      - 0
    .max_flat_workgroup_size: 256
    .name:           _ZN7rocprim17ROCPRIM_400000_NS6detail17trampoline_kernelINS0_14default_configENS1_36segmented_radix_sort_config_selectorIdlEEZNS1_25segmented_radix_sort_implIS3_Lb1EPKdPdPKlPlN2at6native12_GLOBAL__N_18offset_tEEE10hipError_tPvRmT1_PNSt15iterator_traitsISK_E10value_typeET2_T3_PNSL_ISQ_E10value_typeET4_jRbjT5_SW_jjP12ihipStream_tbEUlT_E1_NS1_11comp_targetILNS1_3genE10ELNS1_11target_archE1201ELNS1_3gpuE5ELNS1_3repE0EEENS1_59segmented_radix_sort_warp_sort_small_config_static_selectorELNS0_4arch9wavefront6targetE0EEEvSK_
    .private_segment_fixed_size: 0
    .sgpr_count:     0
    .sgpr_spill_count: 0
    .symbol:         _ZN7rocprim17ROCPRIM_400000_NS6detail17trampoline_kernelINS0_14default_configENS1_36segmented_radix_sort_config_selectorIdlEEZNS1_25segmented_radix_sort_implIS3_Lb1EPKdPdPKlPlN2at6native12_GLOBAL__N_18offset_tEEE10hipError_tPvRmT1_PNSt15iterator_traitsISK_E10value_typeET2_T3_PNSL_ISQ_E10value_typeET4_jRbjT5_SW_jjP12ihipStream_tbEUlT_E1_NS1_11comp_targetILNS1_3genE10ELNS1_11target_archE1201ELNS1_3gpuE5ELNS1_3repE0EEENS1_59segmented_radix_sort_warp_sort_small_config_static_selectorELNS0_4arch9wavefront6targetE0EEEvSK_.kd
    .uniform_work_group_size: 1
    .uses_dynamic_stack: false
    .vgpr_count:     0
    .vgpr_spill_count: 0
    .wavefront_size: 32
  - .args:
      - .offset:         0
        .size:           88
        .value_kind:     by_value
    .group_segment_fixed_size: 0
    .kernarg_segment_align: 8
    .kernarg_segment_size: 88
    .language:       OpenCL C
    .language_version:
      - 2
      - 0
    .max_flat_workgroup_size: 256
    .name:           _ZN7rocprim17ROCPRIM_400000_NS6detail17trampoline_kernelINS0_14default_configENS1_36segmented_radix_sort_config_selectorIdlEEZNS1_25segmented_radix_sort_implIS3_Lb1EPKdPdPKlPlN2at6native12_GLOBAL__N_18offset_tEEE10hipError_tPvRmT1_PNSt15iterator_traitsISK_E10value_typeET2_T3_PNSL_ISQ_E10value_typeET4_jRbjT5_SW_jjP12ihipStream_tbEUlT_E1_NS1_11comp_targetILNS1_3genE10ELNS1_11target_archE1200ELNS1_3gpuE4ELNS1_3repE0EEENS1_59segmented_radix_sort_warp_sort_small_config_static_selectorELNS0_4arch9wavefront6targetE0EEEvSK_
    .private_segment_fixed_size: 0
    .sgpr_count:     0
    .sgpr_spill_count: 0
    .symbol:         _ZN7rocprim17ROCPRIM_400000_NS6detail17trampoline_kernelINS0_14default_configENS1_36segmented_radix_sort_config_selectorIdlEEZNS1_25segmented_radix_sort_implIS3_Lb1EPKdPdPKlPlN2at6native12_GLOBAL__N_18offset_tEEE10hipError_tPvRmT1_PNSt15iterator_traitsISK_E10value_typeET2_T3_PNSL_ISQ_E10value_typeET4_jRbjT5_SW_jjP12ihipStream_tbEUlT_E1_NS1_11comp_targetILNS1_3genE10ELNS1_11target_archE1200ELNS1_3gpuE4ELNS1_3repE0EEENS1_59segmented_radix_sort_warp_sort_small_config_static_selectorELNS0_4arch9wavefront6targetE0EEEvSK_.kd
    .uniform_work_group_size: 1
    .uses_dynamic_stack: false
    .vgpr_count:     0
    .vgpr_spill_count: 0
    .wavefront_size: 32
  - .args:
      - .offset:         0
        .size:           88
        .value_kind:     by_value
    .group_segment_fixed_size: 0
    .kernarg_segment_align: 8
    .kernarg_segment_size: 88
    .language:       OpenCL C
    .language_version:
      - 2
      - 0
    .max_flat_workgroup_size: 256
    .name:           _ZN7rocprim17ROCPRIM_400000_NS6detail17trampoline_kernelINS0_14default_configENS1_36segmented_radix_sort_config_selectorIdlEEZNS1_25segmented_radix_sort_implIS3_Lb1EPKdPdPKlPlN2at6native12_GLOBAL__N_18offset_tEEE10hipError_tPvRmT1_PNSt15iterator_traitsISK_E10value_typeET2_T3_PNSL_ISQ_E10value_typeET4_jRbjT5_SW_jjP12ihipStream_tbEUlT_E1_NS1_11comp_targetILNS1_3genE9ELNS1_11target_archE1100ELNS1_3gpuE3ELNS1_3repE0EEENS1_59segmented_radix_sort_warp_sort_small_config_static_selectorELNS0_4arch9wavefront6targetE0EEEvSK_
    .private_segment_fixed_size: 0
    .sgpr_count:     0
    .sgpr_spill_count: 0
    .symbol:         _ZN7rocprim17ROCPRIM_400000_NS6detail17trampoline_kernelINS0_14default_configENS1_36segmented_radix_sort_config_selectorIdlEEZNS1_25segmented_radix_sort_implIS3_Lb1EPKdPdPKlPlN2at6native12_GLOBAL__N_18offset_tEEE10hipError_tPvRmT1_PNSt15iterator_traitsISK_E10value_typeET2_T3_PNSL_ISQ_E10value_typeET4_jRbjT5_SW_jjP12ihipStream_tbEUlT_E1_NS1_11comp_targetILNS1_3genE9ELNS1_11target_archE1100ELNS1_3gpuE3ELNS1_3repE0EEENS1_59segmented_radix_sort_warp_sort_small_config_static_selectorELNS0_4arch9wavefront6targetE0EEEvSK_.kd
    .uniform_work_group_size: 1
    .uses_dynamic_stack: false
    .vgpr_count:     0
    .vgpr_spill_count: 0
    .wavefront_size: 32
  - .args:
      - .offset:         0
        .size:           88
        .value_kind:     by_value
    .group_segment_fixed_size: 0
    .kernarg_segment_align: 8
    .kernarg_segment_size: 88
    .language:       OpenCL C
    .language_version:
      - 2
      - 0
    .max_flat_workgroup_size: 256
    .name:           _ZN7rocprim17ROCPRIM_400000_NS6detail17trampoline_kernelINS0_14default_configENS1_36segmented_radix_sort_config_selectorIdlEEZNS1_25segmented_radix_sort_implIS3_Lb1EPKdPdPKlPlN2at6native12_GLOBAL__N_18offset_tEEE10hipError_tPvRmT1_PNSt15iterator_traitsISK_E10value_typeET2_T3_PNSL_ISQ_E10value_typeET4_jRbjT5_SW_jjP12ihipStream_tbEUlT_E1_NS1_11comp_targetILNS1_3genE8ELNS1_11target_archE1030ELNS1_3gpuE2ELNS1_3repE0EEENS1_59segmented_radix_sort_warp_sort_small_config_static_selectorELNS0_4arch9wavefront6targetE0EEEvSK_
    .private_segment_fixed_size: 0
    .sgpr_count:     0
    .sgpr_spill_count: 0
    .symbol:         _ZN7rocprim17ROCPRIM_400000_NS6detail17trampoline_kernelINS0_14default_configENS1_36segmented_radix_sort_config_selectorIdlEEZNS1_25segmented_radix_sort_implIS3_Lb1EPKdPdPKlPlN2at6native12_GLOBAL__N_18offset_tEEE10hipError_tPvRmT1_PNSt15iterator_traitsISK_E10value_typeET2_T3_PNSL_ISQ_E10value_typeET4_jRbjT5_SW_jjP12ihipStream_tbEUlT_E1_NS1_11comp_targetILNS1_3genE8ELNS1_11target_archE1030ELNS1_3gpuE2ELNS1_3repE0EEENS1_59segmented_radix_sort_warp_sort_small_config_static_selectorELNS0_4arch9wavefront6targetE0EEEvSK_.kd
    .uniform_work_group_size: 1
    .uses_dynamic_stack: false
    .vgpr_count:     0
    .vgpr_spill_count: 0
    .wavefront_size: 32
  - .args:
      - .offset:         0
        .size:           80
        .value_kind:     by_value
      - .offset:         80
        .size:           4
        .value_kind:     hidden_block_count_x
      - .offset:         84
        .size:           4
        .value_kind:     hidden_block_count_y
      - .offset:         88
        .size:           4
        .value_kind:     hidden_block_count_z
      - .offset:         92
        .size:           2
        .value_kind:     hidden_group_size_x
      - .offset:         94
        .size:           2
        .value_kind:     hidden_group_size_y
      - .offset:         96
        .size:           2
        .value_kind:     hidden_group_size_z
      - .offset:         98
        .size:           2
        .value_kind:     hidden_remainder_x
      - .offset:         100
        .size:           2
        .value_kind:     hidden_remainder_y
      - .offset:         102
        .size:           2
        .value_kind:     hidden_remainder_z
      - .offset:         120
        .size:           8
        .value_kind:     hidden_global_offset_x
      - .offset:         128
        .size:           8
        .value_kind:     hidden_global_offset_y
      - .offset:         136
        .size:           8
        .value_kind:     hidden_global_offset_z
      - .offset:         144
        .size:           2
        .value_kind:     hidden_grid_dims
      - .offset:         160
        .size:           8
        .value_kind:     hidden_hostcall_buffer
      - .offset:         168
        .size:           8
        .value_kind:     hidden_multigrid_sync_arg
      - .offset:         176
        .size:           8
        .value_kind:     hidden_heap_v1
      - .offset:         184
        .size:           8
        .value_kind:     hidden_default_queue
      - .offset:         192
        .size:           8
        .value_kind:     hidden_completion_action
      - .offset:         280
        .size:           8
        .value_kind:     hidden_queue_ptr
    .group_segment_fixed_size: 33824
    .kernarg_segment_align: 8
    .kernarg_segment_size: 336
    .language:       OpenCL C
    .language_version:
      - 2
      - 0
    .max_flat_workgroup_size: 256
    .name:           _ZN7rocprim17ROCPRIM_400000_NS6detail17trampoline_kernelINS0_14default_configENS1_36segmented_radix_sort_config_selectorIdlEEZNS1_25segmented_radix_sort_implIS3_Lb1EPKdPdPKlPlN2at6native12_GLOBAL__N_18offset_tEEE10hipError_tPvRmT1_PNSt15iterator_traitsISK_E10value_typeET2_T3_PNSL_ISQ_E10value_typeET4_jRbjT5_SW_jjP12ihipStream_tbEUlT_E2_NS1_11comp_targetILNS1_3genE0ELNS1_11target_archE4294967295ELNS1_3gpuE0ELNS1_3repE0EEENS1_30default_config_static_selectorELNS0_4arch9wavefront6targetE0EEEvSK_
    .private_segment_fixed_size: 0
    .sgpr_count:     65
    .sgpr_spill_count: 0
    .symbol:         _ZN7rocprim17ROCPRIM_400000_NS6detail17trampoline_kernelINS0_14default_configENS1_36segmented_radix_sort_config_selectorIdlEEZNS1_25segmented_radix_sort_implIS3_Lb1EPKdPdPKlPlN2at6native12_GLOBAL__N_18offset_tEEE10hipError_tPvRmT1_PNSt15iterator_traitsISK_E10value_typeET2_T3_PNSL_ISQ_E10value_typeET4_jRbjT5_SW_jjP12ihipStream_tbEUlT_E2_NS1_11comp_targetILNS1_3genE0ELNS1_11target_archE4294967295ELNS1_3gpuE0ELNS1_3repE0EEENS1_30default_config_static_selectorELNS0_4arch9wavefront6targetE0EEEvSK_.kd
    .uniform_work_group_size: 1
    .uses_dynamic_stack: false
    .vgpr_count:     319
    .vgpr_spill_count: 0
    .wavefront_size: 32
  - .args:
      - .offset:         0
        .size:           80
        .value_kind:     by_value
    .group_segment_fixed_size: 0
    .kernarg_segment_align: 8
    .kernarg_segment_size: 80
    .language:       OpenCL C
    .language_version:
      - 2
      - 0
    .max_flat_workgroup_size: 256
    .name:           _ZN7rocprim17ROCPRIM_400000_NS6detail17trampoline_kernelINS0_14default_configENS1_36segmented_radix_sort_config_selectorIdlEEZNS1_25segmented_radix_sort_implIS3_Lb1EPKdPdPKlPlN2at6native12_GLOBAL__N_18offset_tEEE10hipError_tPvRmT1_PNSt15iterator_traitsISK_E10value_typeET2_T3_PNSL_ISQ_E10value_typeET4_jRbjT5_SW_jjP12ihipStream_tbEUlT_E2_NS1_11comp_targetILNS1_3genE5ELNS1_11target_archE942ELNS1_3gpuE9ELNS1_3repE0EEENS1_30default_config_static_selectorELNS0_4arch9wavefront6targetE0EEEvSK_
    .private_segment_fixed_size: 0
    .sgpr_count:     0
    .sgpr_spill_count: 0
    .symbol:         _ZN7rocprim17ROCPRIM_400000_NS6detail17trampoline_kernelINS0_14default_configENS1_36segmented_radix_sort_config_selectorIdlEEZNS1_25segmented_radix_sort_implIS3_Lb1EPKdPdPKlPlN2at6native12_GLOBAL__N_18offset_tEEE10hipError_tPvRmT1_PNSt15iterator_traitsISK_E10value_typeET2_T3_PNSL_ISQ_E10value_typeET4_jRbjT5_SW_jjP12ihipStream_tbEUlT_E2_NS1_11comp_targetILNS1_3genE5ELNS1_11target_archE942ELNS1_3gpuE9ELNS1_3repE0EEENS1_30default_config_static_selectorELNS0_4arch9wavefront6targetE0EEEvSK_.kd
    .uniform_work_group_size: 1
    .uses_dynamic_stack: false
    .vgpr_count:     0
    .vgpr_spill_count: 0
    .wavefront_size: 32
  - .args:
      - .offset:         0
        .size:           80
        .value_kind:     by_value
    .group_segment_fixed_size: 0
    .kernarg_segment_align: 8
    .kernarg_segment_size: 80
    .language:       OpenCL C
    .language_version:
      - 2
      - 0
    .max_flat_workgroup_size: 256
    .name:           _ZN7rocprim17ROCPRIM_400000_NS6detail17trampoline_kernelINS0_14default_configENS1_36segmented_radix_sort_config_selectorIdlEEZNS1_25segmented_radix_sort_implIS3_Lb1EPKdPdPKlPlN2at6native12_GLOBAL__N_18offset_tEEE10hipError_tPvRmT1_PNSt15iterator_traitsISK_E10value_typeET2_T3_PNSL_ISQ_E10value_typeET4_jRbjT5_SW_jjP12ihipStream_tbEUlT_E2_NS1_11comp_targetILNS1_3genE4ELNS1_11target_archE910ELNS1_3gpuE8ELNS1_3repE0EEENS1_30default_config_static_selectorELNS0_4arch9wavefront6targetE0EEEvSK_
    .private_segment_fixed_size: 0
    .sgpr_count:     0
    .sgpr_spill_count: 0
    .symbol:         _ZN7rocprim17ROCPRIM_400000_NS6detail17trampoline_kernelINS0_14default_configENS1_36segmented_radix_sort_config_selectorIdlEEZNS1_25segmented_radix_sort_implIS3_Lb1EPKdPdPKlPlN2at6native12_GLOBAL__N_18offset_tEEE10hipError_tPvRmT1_PNSt15iterator_traitsISK_E10value_typeET2_T3_PNSL_ISQ_E10value_typeET4_jRbjT5_SW_jjP12ihipStream_tbEUlT_E2_NS1_11comp_targetILNS1_3genE4ELNS1_11target_archE910ELNS1_3gpuE8ELNS1_3repE0EEENS1_30default_config_static_selectorELNS0_4arch9wavefront6targetE0EEEvSK_.kd
    .uniform_work_group_size: 1
    .uses_dynamic_stack: false
    .vgpr_count:     0
    .vgpr_spill_count: 0
    .wavefront_size: 32
  - .args:
      - .offset:         0
        .size:           80
        .value_kind:     by_value
    .group_segment_fixed_size: 0
    .kernarg_segment_align: 8
    .kernarg_segment_size: 80
    .language:       OpenCL C
    .language_version:
      - 2
      - 0
    .max_flat_workgroup_size: 256
    .name:           _ZN7rocprim17ROCPRIM_400000_NS6detail17trampoline_kernelINS0_14default_configENS1_36segmented_radix_sort_config_selectorIdlEEZNS1_25segmented_radix_sort_implIS3_Lb1EPKdPdPKlPlN2at6native12_GLOBAL__N_18offset_tEEE10hipError_tPvRmT1_PNSt15iterator_traitsISK_E10value_typeET2_T3_PNSL_ISQ_E10value_typeET4_jRbjT5_SW_jjP12ihipStream_tbEUlT_E2_NS1_11comp_targetILNS1_3genE3ELNS1_11target_archE908ELNS1_3gpuE7ELNS1_3repE0EEENS1_30default_config_static_selectorELNS0_4arch9wavefront6targetE0EEEvSK_
    .private_segment_fixed_size: 0
    .sgpr_count:     0
    .sgpr_spill_count: 0
    .symbol:         _ZN7rocprim17ROCPRIM_400000_NS6detail17trampoline_kernelINS0_14default_configENS1_36segmented_radix_sort_config_selectorIdlEEZNS1_25segmented_radix_sort_implIS3_Lb1EPKdPdPKlPlN2at6native12_GLOBAL__N_18offset_tEEE10hipError_tPvRmT1_PNSt15iterator_traitsISK_E10value_typeET2_T3_PNSL_ISQ_E10value_typeET4_jRbjT5_SW_jjP12ihipStream_tbEUlT_E2_NS1_11comp_targetILNS1_3genE3ELNS1_11target_archE908ELNS1_3gpuE7ELNS1_3repE0EEENS1_30default_config_static_selectorELNS0_4arch9wavefront6targetE0EEEvSK_.kd
    .uniform_work_group_size: 1
    .uses_dynamic_stack: false
    .vgpr_count:     0
    .vgpr_spill_count: 0
    .wavefront_size: 32
  - .args:
      - .offset:         0
        .size:           80
        .value_kind:     by_value
    .group_segment_fixed_size: 0
    .kernarg_segment_align: 8
    .kernarg_segment_size: 80
    .language:       OpenCL C
    .language_version:
      - 2
      - 0
    .max_flat_workgroup_size: 256
    .name:           _ZN7rocprim17ROCPRIM_400000_NS6detail17trampoline_kernelINS0_14default_configENS1_36segmented_radix_sort_config_selectorIdlEEZNS1_25segmented_radix_sort_implIS3_Lb1EPKdPdPKlPlN2at6native12_GLOBAL__N_18offset_tEEE10hipError_tPvRmT1_PNSt15iterator_traitsISK_E10value_typeET2_T3_PNSL_ISQ_E10value_typeET4_jRbjT5_SW_jjP12ihipStream_tbEUlT_E2_NS1_11comp_targetILNS1_3genE2ELNS1_11target_archE906ELNS1_3gpuE6ELNS1_3repE0EEENS1_30default_config_static_selectorELNS0_4arch9wavefront6targetE0EEEvSK_
    .private_segment_fixed_size: 0
    .sgpr_count:     0
    .sgpr_spill_count: 0
    .symbol:         _ZN7rocprim17ROCPRIM_400000_NS6detail17trampoline_kernelINS0_14default_configENS1_36segmented_radix_sort_config_selectorIdlEEZNS1_25segmented_radix_sort_implIS3_Lb1EPKdPdPKlPlN2at6native12_GLOBAL__N_18offset_tEEE10hipError_tPvRmT1_PNSt15iterator_traitsISK_E10value_typeET2_T3_PNSL_ISQ_E10value_typeET4_jRbjT5_SW_jjP12ihipStream_tbEUlT_E2_NS1_11comp_targetILNS1_3genE2ELNS1_11target_archE906ELNS1_3gpuE6ELNS1_3repE0EEENS1_30default_config_static_selectorELNS0_4arch9wavefront6targetE0EEEvSK_.kd
    .uniform_work_group_size: 1
    .uses_dynamic_stack: false
    .vgpr_count:     0
    .vgpr_spill_count: 0
    .wavefront_size: 32
  - .args:
      - .offset:         0
        .size:           80
        .value_kind:     by_value
    .group_segment_fixed_size: 0
    .kernarg_segment_align: 8
    .kernarg_segment_size: 80
    .language:       OpenCL C
    .language_version:
      - 2
      - 0
    .max_flat_workgroup_size: 256
    .name:           _ZN7rocprim17ROCPRIM_400000_NS6detail17trampoline_kernelINS0_14default_configENS1_36segmented_radix_sort_config_selectorIdlEEZNS1_25segmented_radix_sort_implIS3_Lb1EPKdPdPKlPlN2at6native12_GLOBAL__N_18offset_tEEE10hipError_tPvRmT1_PNSt15iterator_traitsISK_E10value_typeET2_T3_PNSL_ISQ_E10value_typeET4_jRbjT5_SW_jjP12ihipStream_tbEUlT_E2_NS1_11comp_targetILNS1_3genE10ELNS1_11target_archE1201ELNS1_3gpuE5ELNS1_3repE0EEENS1_30default_config_static_selectorELNS0_4arch9wavefront6targetE0EEEvSK_
    .private_segment_fixed_size: 0
    .sgpr_count:     0
    .sgpr_spill_count: 0
    .symbol:         _ZN7rocprim17ROCPRIM_400000_NS6detail17trampoline_kernelINS0_14default_configENS1_36segmented_radix_sort_config_selectorIdlEEZNS1_25segmented_radix_sort_implIS3_Lb1EPKdPdPKlPlN2at6native12_GLOBAL__N_18offset_tEEE10hipError_tPvRmT1_PNSt15iterator_traitsISK_E10value_typeET2_T3_PNSL_ISQ_E10value_typeET4_jRbjT5_SW_jjP12ihipStream_tbEUlT_E2_NS1_11comp_targetILNS1_3genE10ELNS1_11target_archE1201ELNS1_3gpuE5ELNS1_3repE0EEENS1_30default_config_static_selectorELNS0_4arch9wavefront6targetE0EEEvSK_.kd
    .uniform_work_group_size: 1
    .uses_dynamic_stack: false
    .vgpr_count:     0
    .vgpr_spill_count: 0
    .wavefront_size: 32
  - .args:
      - .offset:         0
        .size:           80
        .value_kind:     by_value
    .group_segment_fixed_size: 0
    .kernarg_segment_align: 8
    .kernarg_segment_size: 80
    .language:       OpenCL C
    .language_version:
      - 2
      - 0
    .max_flat_workgroup_size: 128
    .name:           _ZN7rocprim17ROCPRIM_400000_NS6detail17trampoline_kernelINS0_14default_configENS1_36segmented_radix_sort_config_selectorIdlEEZNS1_25segmented_radix_sort_implIS3_Lb1EPKdPdPKlPlN2at6native12_GLOBAL__N_18offset_tEEE10hipError_tPvRmT1_PNSt15iterator_traitsISK_E10value_typeET2_T3_PNSL_ISQ_E10value_typeET4_jRbjT5_SW_jjP12ihipStream_tbEUlT_E2_NS1_11comp_targetILNS1_3genE10ELNS1_11target_archE1200ELNS1_3gpuE4ELNS1_3repE0EEENS1_30default_config_static_selectorELNS0_4arch9wavefront6targetE0EEEvSK_
    .private_segment_fixed_size: 0
    .sgpr_count:     0
    .sgpr_spill_count: 0
    .symbol:         _ZN7rocprim17ROCPRIM_400000_NS6detail17trampoline_kernelINS0_14default_configENS1_36segmented_radix_sort_config_selectorIdlEEZNS1_25segmented_radix_sort_implIS3_Lb1EPKdPdPKlPlN2at6native12_GLOBAL__N_18offset_tEEE10hipError_tPvRmT1_PNSt15iterator_traitsISK_E10value_typeET2_T3_PNSL_ISQ_E10value_typeET4_jRbjT5_SW_jjP12ihipStream_tbEUlT_E2_NS1_11comp_targetILNS1_3genE10ELNS1_11target_archE1200ELNS1_3gpuE4ELNS1_3repE0EEENS1_30default_config_static_selectorELNS0_4arch9wavefront6targetE0EEEvSK_.kd
    .uniform_work_group_size: 1
    .uses_dynamic_stack: false
    .vgpr_count:     0
    .vgpr_spill_count: 0
    .wavefront_size: 32
  - .args:
      - .offset:         0
        .size:           80
        .value_kind:     by_value
    .group_segment_fixed_size: 0
    .kernarg_segment_align: 8
    .kernarg_segment_size: 80
    .language:       OpenCL C
    .language_version:
      - 2
      - 0
    .max_flat_workgroup_size: 256
    .name:           _ZN7rocprim17ROCPRIM_400000_NS6detail17trampoline_kernelINS0_14default_configENS1_36segmented_radix_sort_config_selectorIdlEEZNS1_25segmented_radix_sort_implIS3_Lb1EPKdPdPKlPlN2at6native12_GLOBAL__N_18offset_tEEE10hipError_tPvRmT1_PNSt15iterator_traitsISK_E10value_typeET2_T3_PNSL_ISQ_E10value_typeET4_jRbjT5_SW_jjP12ihipStream_tbEUlT_E2_NS1_11comp_targetILNS1_3genE9ELNS1_11target_archE1100ELNS1_3gpuE3ELNS1_3repE0EEENS1_30default_config_static_selectorELNS0_4arch9wavefront6targetE0EEEvSK_
    .private_segment_fixed_size: 0
    .sgpr_count:     0
    .sgpr_spill_count: 0
    .symbol:         _ZN7rocprim17ROCPRIM_400000_NS6detail17trampoline_kernelINS0_14default_configENS1_36segmented_radix_sort_config_selectorIdlEEZNS1_25segmented_radix_sort_implIS3_Lb1EPKdPdPKlPlN2at6native12_GLOBAL__N_18offset_tEEE10hipError_tPvRmT1_PNSt15iterator_traitsISK_E10value_typeET2_T3_PNSL_ISQ_E10value_typeET4_jRbjT5_SW_jjP12ihipStream_tbEUlT_E2_NS1_11comp_targetILNS1_3genE9ELNS1_11target_archE1100ELNS1_3gpuE3ELNS1_3repE0EEENS1_30default_config_static_selectorELNS0_4arch9wavefront6targetE0EEEvSK_.kd
    .uniform_work_group_size: 1
    .uses_dynamic_stack: false
    .vgpr_count:     0
    .vgpr_spill_count: 0
    .wavefront_size: 32
  - .args:
      - .offset:         0
        .size:           80
        .value_kind:     by_value
    .group_segment_fixed_size: 0
    .kernarg_segment_align: 8
    .kernarg_segment_size: 80
    .language:       OpenCL C
    .language_version:
      - 2
      - 0
    .max_flat_workgroup_size: 256
    .name:           _ZN7rocprim17ROCPRIM_400000_NS6detail17trampoline_kernelINS0_14default_configENS1_36segmented_radix_sort_config_selectorIdlEEZNS1_25segmented_radix_sort_implIS3_Lb1EPKdPdPKlPlN2at6native12_GLOBAL__N_18offset_tEEE10hipError_tPvRmT1_PNSt15iterator_traitsISK_E10value_typeET2_T3_PNSL_ISQ_E10value_typeET4_jRbjT5_SW_jjP12ihipStream_tbEUlT_E2_NS1_11comp_targetILNS1_3genE8ELNS1_11target_archE1030ELNS1_3gpuE2ELNS1_3repE0EEENS1_30default_config_static_selectorELNS0_4arch9wavefront6targetE0EEEvSK_
    .private_segment_fixed_size: 0
    .sgpr_count:     0
    .sgpr_spill_count: 0
    .symbol:         _ZN7rocprim17ROCPRIM_400000_NS6detail17trampoline_kernelINS0_14default_configENS1_36segmented_radix_sort_config_selectorIdlEEZNS1_25segmented_radix_sort_implIS3_Lb1EPKdPdPKlPlN2at6native12_GLOBAL__N_18offset_tEEE10hipError_tPvRmT1_PNSt15iterator_traitsISK_E10value_typeET2_T3_PNSL_ISQ_E10value_typeET4_jRbjT5_SW_jjP12ihipStream_tbEUlT_E2_NS1_11comp_targetILNS1_3genE8ELNS1_11target_archE1030ELNS1_3gpuE2ELNS1_3repE0EEENS1_30default_config_static_selectorELNS0_4arch9wavefront6targetE0EEEvSK_.kd
    .uniform_work_group_size: 1
    .uses_dynamic_stack: false
    .vgpr_count:     0
    .vgpr_spill_count: 0
    .wavefront_size: 32
  - .args:
      - .offset:         0
        .size:           176
        .value_kind:     by_value
    .group_segment_fixed_size: 13328
    .kernarg_segment_align: 8
    .kernarg_segment_size: 176
    .language:       OpenCL C
    .language_version:
      - 2
      - 0
    .max_flat_workgroup_size: 256
    .name:           _ZN7rocprim17ROCPRIM_400000_NS6detail17trampoline_kernelINS0_13select_configILj256ELj13ELNS0_17block_load_methodE3ELS4_3ELS4_3ELNS0_20block_scan_algorithmE0ELj4294967295EEENS1_25partition_config_selectorILNS1_17partition_subalgoE4EjNS0_10empty_typeEbEEZZNS1_14partition_implILS8_4ELb0ES6_15HIP_vector_typeIjLj2EENS0_17counting_iteratorIjlEEPS9_SG_NS0_5tupleIJPjSI_NS0_16reverse_iteratorISI_EEEEENSH_IJSG_SG_SG_EEES9_SI_JZNS1_25segmented_radix_sort_implINS0_14default_configELb0EPKdPdPKlPlN2at6native12_GLOBAL__N_18offset_tEEE10hipError_tPvRmT1_PNSt15iterator_traitsIS12_E10value_typeET2_T3_PNS13_IS18_E10value_typeET4_jRbjT5_S1E_jjP12ihipStream_tbEUljE_ZNSN_ISO_Lb0ESQ_SR_ST_SU_SY_EESZ_S10_S11_S12_S16_S17_S18_S1B_S1C_jS1D_jS1E_S1E_jjS1G_bEUljE0_EEESZ_S10_S11_S18_S1C_S1E_T6_T7_T9_mT8_S1G_bDpT10_ENKUlT_T0_E_clISt17integral_constantIbLb0EES1U_EEDaS1P_S1Q_EUlS1P_E_NS1_11comp_targetILNS1_3genE0ELNS1_11target_archE4294967295ELNS1_3gpuE0ELNS1_3repE0EEENS1_30default_config_static_selectorELNS0_4arch9wavefront6targetE0EEEvS12_
    .private_segment_fixed_size: 0
    .sgpr_count:     61
    .sgpr_spill_count: 0
    .symbol:         _ZN7rocprim17ROCPRIM_400000_NS6detail17trampoline_kernelINS0_13select_configILj256ELj13ELNS0_17block_load_methodE3ELS4_3ELS4_3ELNS0_20block_scan_algorithmE0ELj4294967295EEENS1_25partition_config_selectorILNS1_17partition_subalgoE4EjNS0_10empty_typeEbEEZZNS1_14partition_implILS8_4ELb0ES6_15HIP_vector_typeIjLj2EENS0_17counting_iteratorIjlEEPS9_SG_NS0_5tupleIJPjSI_NS0_16reverse_iteratorISI_EEEEENSH_IJSG_SG_SG_EEES9_SI_JZNS1_25segmented_radix_sort_implINS0_14default_configELb0EPKdPdPKlPlN2at6native12_GLOBAL__N_18offset_tEEE10hipError_tPvRmT1_PNSt15iterator_traitsIS12_E10value_typeET2_T3_PNS13_IS18_E10value_typeET4_jRbjT5_S1E_jjP12ihipStream_tbEUljE_ZNSN_ISO_Lb0ESQ_SR_ST_SU_SY_EESZ_S10_S11_S12_S16_S17_S18_S1B_S1C_jS1D_jS1E_S1E_jjS1G_bEUljE0_EEESZ_S10_S11_S18_S1C_S1E_T6_T7_T9_mT8_S1G_bDpT10_ENKUlT_T0_E_clISt17integral_constantIbLb0EES1U_EEDaS1P_S1Q_EUlS1P_E_NS1_11comp_targetILNS1_3genE0ELNS1_11target_archE4294967295ELNS1_3gpuE0ELNS1_3repE0EEENS1_30default_config_static_selectorELNS0_4arch9wavefront6targetE0EEEvS12_.kd
    .uniform_work_group_size: 1
    .uses_dynamic_stack: false
    .vgpr_count:     81
    .vgpr_spill_count: 0
    .wavefront_size: 32
  - .args:
      - .offset:         0
        .size:           176
        .value_kind:     by_value
    .group_segment_fixed_size: 0
    .kernarg_segment_align: 8
    .kernarg_segment_size: 176
    .language:       OpenCL C
    .language_version:
      - 2
      - 0
    .max_flat_workgroup_size: 256
    .name:           _ZN7rocprim17ROCPRIM_400000_NS6detail17trampoline_kernelINS0_13select_configILj256ELj13ELNS0_17block_load_methodE3ELS4_3ELS4_3ELNS0_20block_scan_algorithmE0ELj4294967295EEENS1_25partition_config_selectorILNS1_17partition_subalgoE4EjNS0_10empty_typeEbEEZZNS1_14partition_implILS8_4ELb0ES6_15HIP_vector_typeIjLj2EENS0_17counting_iteratorIjlEEPS9_SG_NS0_5tupleIJPjSI_NS0_16reverse_iteratorISI_EEEEENSH_IJSG_SG_SG_EEES9_SI_JZNS1_25segmented_radix_sort_implINS0_14default_configELb0EPKdPdPKlPlN2at6native12_GLOBAL__N_18offset_tEEE10hipError_tPvRmT1_PNSt15iterator_traitsIS12_E10value_typeET2_T3_PNS13_IS18_E10value_typeET4_jRbjT5_S1E_jjP12ihipStream_tbEUljE_ZNSN_ISO_Lb0ESQ_SR_ST_SU_SY_EESZ_S10_S11_S12_S16_S17_S18_S1B_S1C_jS1D_jS1E_S1E_jjS1G_bEUljE0_EEESZ_S10_S11_S18_S1C_S1E_T6_T7_T9_mT8_S1G_bDpT10_ENKUlT_T0_E_clISt17integral_constantIbLb0EES1U_EEDaS1P_S1Q_EUlS1P_E_NS1_11comp_targetILNS1_3genE5ELNS1_11target_archE942ELNS1_3gpuE9ELNS1_3repE0EEENS1_30default_config_static_selectorELNS0_4arch9wavefront6targetE0EEEvS12_
    .private_segment_fixed_size: 0
    .sgpr_count:     0
    .sgpr_spill_count: 0
    .symbol:         _ZN7rocprim17ROCPRIM_400000_NS6detail17trampoline_kernelINS0_13select_configILj256ELj13ELNS0_17block_load_methodE3ELS4_3ELS4_3ELNS0_20block_scan_algorithmE0ELj4294967295EEENS1_25partition_config_selectorILNS1_17partition_subalgoE4EjNS0_10empty_typeEbEEZZNS1_14partition_implILS8_4ELb0ES6_15HIP_vector_typeIjLj2EENS0_17counting_iteratorIjlEEPS9_SG_NS0_5tupleIJPjSI_NS0_16reverse_iteratorISI_EEEEENSH_IJSG_SG_SG_EEES9_SI_JZNS1_25segmented_radix_sort_implINS0_14default_configELb0EPKdPdPKlPlN2at6native12_GLOBAL__N_18offset_tEEE10hipError_tPvRmT1_PNSt15iterator_traitsIS12_E10value_typeET2_T3_PNS13_IS18_E10value_typeET4_jRbjT5_S1E_jjP12ihipStream_tbEUljE_ZNSN_ISO_Lb0ESQ_SR_ST_SU_SY_EESZ_S10_S11_S12_S16_S17_S18_S1B_S1C_jS1D_jS1E_S1E_jjS1G_bEUljE0_EEESZ_S10_S11_S18_S1C_S1E_T6_T7_T9_mT8_S1G_bDpT10_ENKUlT_T0_E_clISt17integral_constantIbLb0EES1U_EEDaS1P_S1Q_EUlS1P_E_NS1_11comp_targetILNS1_3genE5ELNS1_11target_archE942ELNS1_3gpuE9ELNS1_3repE0EEENS1_30default_config_static_selectorELNS0_4arch9wavefront6targetE0EEEvS12_.kd
    .uniform_work_group_size: 1
    .uses_dynamic_stack: false
    .vgpr_count:     0
    .vgpr_spill_count: 0
    .wavefront_size: 32
  - .args:
      - .offset:         0
        .size:           176
        .value_kind:     by_value
    .group_segment_fixed_size: 0
    .kernarg_segment_align: 8
    .kernarg_segment_size: 176
    .language:       OpenCL C
    .language_version:
      - 2
      - 0
    .max_flat_workgroup_size: 256
    .name:           _ZN7rocprim17ROCPRIM_400000_NS6detail17trampoline_kernelINS0_13select_configILj256ELj13ELNS0_17block_load_methodE3ELS4_3ELS4_3ELNS0_20block_scan_algorithmE0ELj4294967295EEENS1_25partition_config_selectorILNS1_17partition_subalgoE4EjNS0_10empty_typeEbEEZZNS1_14partition_implILS8_4ELb0ES6_15HIP_vector_typeIjLj2EENS0_17counting_iteratorIjlEEPS9_SG_NS0_5tupleIJPjSI_NS0_16reverse_iteratorISI_EEEEENSH_IJSG_SG_SG_EEES9_SI_JZNS1_25segmented_radix_sort_implINS0_14default_configELb0EPKdPdPKlPlN2at6native12_GLOBAL__N_18offset_tEEE10hipError_tPvRmT1_PNSt15iterator_traitsIS12_E10value_typeET2_T3_PNS13_IS18_E10value_typeET4_jRbjT5_S1E_jjP12ihipStream_tbEUljE_ZNSN_ISO_Lb0ESQ_SR_ST_SU_SY_EESZ_S10_S11_S12_S16_S17_S18_S1B_S1C_jS1D_jS1E_S1E_jjS1G_bEUljE0_EEESZ_S10_S11_S18_S1C_S1E_T6_T7_T9_mT8_S1G_bDpT10_ENKUlT_T0_E_clISt17integral_constantIbLb0EES1U_EEDaS1P_S1Q_EUlS1P_E_NS1_11comp_targetILNS1_3genE4ELNS1_11target_archE910ELNS1_3gpuE8ELNS1_3repE0EEENS1_30default_config_static_selectorELNS0_4arch9wavefront6targetE0EEEvS12_
    .private_segment_fixed_size: 0
    .sgpr_count:     0
    .sgpr_spill_count: 0
    .symbol:         _ZN7rocprim17ROCPRIM_400000_NS6detail17trampoline_kernelINS0_13select_configILj256ELj13ELNS0_17block_load_methodE3ELS4_3ELS4_3ELNS0_20block_scan_algorithmE0ELj4294967295EEENS1_25partition_config_selectorILNS1_17partition_subalgoE4EjNS0_10empty_typeEbEEZZNS1_14partition_implILS8_4ELb0ES6_15HIP_vector_typeIjLj2EENS0_17counting_iteratorIjlEEPS9_SG_NS0_5tupleIJPjSI_NS0_16reverse_iteratorISI_EEEEENSH_IJSG_SG_SG_EEES9_SI_JZNS1_25segmented_radix_sort_implINS0_14default_configELb0EPKdPdPKlPlN2at6native12_GLOBAL__N_18offset_tEEE10hipError_tPvRmT1_PNSt15iterator_traitsIS12_E10value_typeET2_T3_PNS13_IS18_E10value_typeET4_jRbjT5_S1E_jjP12ihipStream_tbEUljE_ZNSN_ISO_Lb0ESQ_SR_ST_SU_SY_EESZ_S10_S11_S12_S16_S17_S18_S1B_S1C_jS1D_jS1E_S1E_jjS1G_bEUljE0_EEESZ_S10_S11_S18_S1C_S1E_T6_T7_T9_mT8_S1G_bDpT10_ENKUlT_T0_E_clISt17integral_constantIbLb0EES1U_EEDaS1P_S1Q_EUlS1P_E_NS1_11comp_targetILNS1_3genE4ELNS1_11target_archE910ELNS1_3gpuE8ELNS1_3repE0EEENS1_30default_config_static_selectorELNS0_4arch9wavefront6targetE0EEEvS12_.kd
    .uniform_work_group_size: 1
    .uses_dynamic_stack: false
    .vgpr_count:     0
    .vgpr_spill_count: 0
    .wavefront_size: 32
  - .args:
      - .offset:         0
        .size:           176
        .value_kind:     by_value
    .group_segment_fixed_size: 0
    .kernarg_segment_align: 8
    .kernarg_segment_size: 176
    .language:       OpenCL C
    .language_version:
      - 2
      - 0
    .max_flat_workgroup_size: 256
    .name:           _ZN7rocprim17ROCPRIM_400000_NS6detail17trampoline_kernelINS0_13select_configILj256ELj13ELNS0_17block_load_methodE3ELS4_3ELS4_3ELNS0_20block_scan_algorithmE0ELj4294967295EEENS1_25partition_config_selectorILNS1_17partition_subalgoE4EjNS0_10empty_typeEbEEZZNS1_14partition_implILS8_4ELb0ES6_15HIP_vector_typeIjLj2EENS0_17counting_iteratorIjlEEPS9_SG_NS0_5tupleIJPjSI_NS0_16reverse_iteratorISI_EEEEENSH_IJSG_SG_SG_EEES9_SI_JZNS1_25segmented_radix_sort_implINS0_14default_configELb0EPKdPdPKlPlN2at6native12_GLOBAL__N_18offset_tEEE10hipError_tPvRmT1_PNSt15iterator_traitsIS12_E10value_typeET2_T3_PNS13_IS18_E10value_typeET4_jRbjT5_S1E_jjP12ihipStream_tbEUljE_ZNSN_ISO_Lb0ESQ_SR_ST_SU_SY_EESZ_S10_S11_S12_S16_S17_S18_S1B_S1C_jS1D_jS1E_S1E_jjS1G_bEUljE0_EEESZ_S10_S11_S18_S1C_S1E_T6_T7_T9_mT8_S1G_bDpT10_ENKUlT_T0_E_clISt17integral_constantIbLb0EES1U_EEDaS1P_S1Q_EUlS1P_E_NS1_11comp_targetILNS1_3genE3ELNS1_11target_archE908ELNS1_3gpuE7ELNS1_3repE0EEENS1_30default_config_static_selectorELNS0_4arch9wavefront6targetE0EEEvS12_
    .private_segment_fixed_size: 0
    .sgpr_count:     0
    .sgpr_spill_count: 0
    .symbol:         _ZN7rocprim17ROCPRIM_400000_NS6detail17trampoline_kernelINS0_13select_configILj256ELj13ELNS0_17block_load_methodE3ELS4_3ELS4_3ELNS0_20block_scan_algorithmE0ELj4294967295EEENS1_25partition_config_selectorILNS1_17partition_subalgoE4EjNS0_10empty_typeEbEEZZNS1_14partition_implILS8_4ELb0ES6_15HIP_vector_typeIjLj2EENS0_17counting_iteratorIjlEEPS9_SG_NS0_5tupleIJPjSI_NS0_16reverse_iteratorISI_EEEEENSH_IJSG_SG_SG_EEES9_SI_JZNS1_25segmented_radix_sort_implINS0_14default_configELb0EPKdPdPKlPlN2at6native12_GLOBAL__N_18offset_tEEE10hipError_tPvRmT1_PNSt15iterator_traitsIS12_E10value_typeET2_T3_PNS13_IS18_E10value_typeET4_jRbjT5_S1E_jjP12ihipStream_tbEUljE_ZNSN_ISO_Lb0ESQ_SR_ST_SU_SY_EESZ_S10_S11_S12_S16_S17_S18_S1B_S1C_jS1D_jS1E_S1E_jjS1G_bEUljE0_EEESZ_S10_S11_S18_S1C_S1E_T6_T7_T9_mT8_S1G_bDpT10_ENKUlT_T0_E_clISt17integral_constantIbLb0EES1U_EEDaS1P_S1Q_EUlS1P_E_NS1_11comp_targetILNS1_3genE3ELNS1_11target_archE908ELNS1_3gpuE7ELNS1_3repE0EEENS1_30default_config_static_selectorELNS0_4arch9wavefront6targetE0EEEvS12_.kd
    .uniform_work_group_size: 1
    .uses_dynamic_stack: false
    .vgpr_count:     0
    .vgpr_spill_count: 0
    .wavefront_size: 32
  - .args:
      - .offset:         0
        .size:           176
        .value_kind:     by_value
    .group_segment_fixed_size: 0
    .kernarg_segment_align: 8
    .kernarg_segment_size: 176
    .language:       OpenCL C
    .language_version:
      - 2
      - 0
    .max_flat_workgroup_size: 256
    .name:           _ZN7rocprim17ROCPRIM_400000_NS6detail17trampoline_kernelINS0_13select_configILj256ELj13ELNS0_17block_load_methodE3ELS4_3ELS4_3ELNS0_20block_scan_algorithmE0ELj4294967295EEENS1_25partition_config_selectorILNS1_17partition_subalgoE4EjNS0_10empty_typeEbEEZZNS1_14partition_implILS8_4ELb0ES6_15HIP_vector_typeIjLj2EENS0_17counting_iteratorIjlEEPS9_SG_NS0_5tupleIJPjSI_NS0_16reverse_iteratorISI_EEEEENSH_IJSG_SG_SG_EEES9_SI_JZNS1_25segmented_radix_sort_implINS0_14default_configELb0EPKdPdPKlPlN2at6native12_GLOBAL__N_18offset_tEEE10hipError_tPvRmT1_PNSt15iterator_traitsIS12_E10value_typeET2_T3_PNS13_IS18_E10value_typeET4_jRbjT5_S1E_jjP12ihipStream_tbEUljE_ZNSN_ISO_Lb0ESQ_SR_ST_SU_SY_EESZ_S10_S11_S12_S16_S17_S18_S1B_S1C_jS1D_jS1E_S1E_jjS1G_bEUljE0_EEESZ_S10_S11_S18_S1C_S1E_T6_T7_T9_mT8_S1G_bDpT10_ENKUlT_T0_E_clISt17integral_constantIbLb0EES1U_EEDaS1P_S1Q_EUlS1P_E_NS1_11comp_targetILNS1_3genE2ELNS1_11target_archE906ELNS1_3gpuE6ELNS1_3repE0EEENS1_30default_config_static_selectorELNS0_4arch9wavefront6targetE0EEEvS12_
    .private_segment_fixed_size: 0
    .sgpr_count:     0
    .sgpr_spill_count: 0
    .symbol:         _ZN7rocprim17ROCPRIM_400000_NS6detail17trampoline_kernelINS0_13select_configILj256ELj13ELNS0_17block_load_methodE3ELS4_3ELS4_3ELNS0_20block_scan_algorithmE0ELj4294967295EEENS1_25partition_config_selectorILNS1_17partition_subalgoE4EjNS0_10empty_typeEbEEZZNS1_14partition_implILS8_4ELb0ES6_15HIP_vector_typeIjLj2EENS0_17counting_iteratorIjlEEPS9_SG_NS0_5tupleIJPjSI_NS0_16reverse_iteratorISI_EEEEENSH_IJSG_SG_SG_EEES9_SI_JZNS1_25segmented_radix_sort_implINS0_14default_configELb0EPKdPdPKlPlN2at6native12_GLOBAL__N_18offset_tEEE10hipError_tPvRmT1_PNSt15iterator_traitsIS12_E10value_typeET2_T3_PNS13_IS18_E10value_typeET4_jRbjT5_S1E_jjP12ihipStream_tbEUljE_ZNSN_ISO_Lb0ESQ_SR_ST_SU_SY_EESZ_S10_S11_S12_S16_S17_S18_S1B_S1C_jS1D_jS1E_S1E_jjS1G_bEUljE0_EEESZ_S10_S11_S18_S1C_S1E_T6_T7_T9_mT8_S1G_bDpT10_ENKUlT_T0_E_clISt17integral_constantIbLb0EES1U_EEDaS1P_S1Q_EUlS1P_E_NS1_11comp_targetILNS1_3genE2ELNS1_11target_archE906ELNS1_3gpuE6ELNS1_3repE0EEENS1_30default_config_static_selectorELNS0_4arch9wavefront6targetE0EEEvS12_.kd
    .uniform_work_group_size: 1
    .uses_dynamic_stack: false
    .vgpr_count:     0
    .vgpr_spill_count: 0
    .wavefront_size: 32
  - .args:
      - .offset:         0
        .size:           176
        .value_kind:     by_value
    .group_segment_fixed_size: 0
    .kernarg_segment_align: 8
    .kernarg_segment_size: 176
    .language:       OpenCL C
    .language_version:
      - 2
      - 0
    .max_flat_workgroup_size: 256
    .name:           _ZN7rocprim17ROCPRIM_400000_NS6detail17trampoline_kernelINS0_13select_configILj256ELj13ELNS0_17block_load_methodE3ELS4_3ELS4_3ELNS0_20block_scan_algorithmE0ELj4294967295EEENS1_25partition_config_selectorILNS1_17partition_subalgoE4EjNS0_10empty_typeEbEEZZNS1_14partition_implILS8_4ELb0ES6_15HIP_vector_typeIjLj2EENS0_17counting_iteratorIjlEEPS9_SG_NS0_5tupleIJPjSI_NS0_16reverse_iteratorISI_EEEEENSH_IJSG_SG_SG_EEES9_SI_JZNS1_25segmented_radix_sort_implINS0_14default_configELb0EPKdPdPKlPlN2at6native12_GLOBAL__N_18offset_tEEE10hipError_tPvRmT1_PNSt15iterator_traitsIS12_E10value_typeET2_T3_PNS13_IS18_E10value_typeET4_jRbjT5_S1E_jjP12ihipStream_tbEUljE_ZNSN_ISO_Lb0ESQ_SR_ST_SU_SY_EESZ_S10_S11_S12_S16_S17_S18_S1B_S1C_jS1D_jS1E_S1E_jjS1G_bEUljE0_EEESZ_S10_S11_S18_S1C_S1E_T6_T7_T9_mT8_S1G_bDpT10_ENKUlT_T0_E_clISt17integral_constantIbLb0EES1U_EEDaS1P_S1Q_EUlS1P_E_NS1_11comp_targetILNS1_3genE10ELNS1_11target_archE1200ELNS1_3gpuE4ELNS1_3repE0EEENS1_30default_config_static_selectorELNS0_4arch9wavefront6targetE0EEEvS12_
    .private_segment_fixed_size: 0
    .sgpr_count:     0
    .sgpr_spill_count: 0
    .symbol:         _ZN7rocprim17ROCPRIM_400000_NS6detail17trampoline_kernelINS0_13select_configILj256ELj13ELNS0_17block_load_methodE3ELS4_3ELS4_3ELNS0_20block_scan_algorithmE0ELj4294967295EEENS1_25partition_config_selectorILNS1_17partition_subalgoE4EjNS0_10empty_typeEbEEZZNS1_14partition_implILS8_4ELb0ES6_15HIP_vector_typeIjLj2EENS0_17counting_iteratorIjlEEPS9_SG_NS0_5tupleIJPjSI_NS0_16reverse_iteratorISI_EEEEENSH_IJSG_SG_SG_EEES9_SI_JZNS1_25segmented_radix_sort_implINS0_14default_configELb0EPKdPdPKlPlN2at6native12_GLOBAL__N_18offset_tEEE10hipError_tPvRmT1_PNSt15iterator_traitsIS12_E10value_typeET2_T3_PNS13_IS18_E10value_typeET4_jRbjT5_S1E_jjP12ihipStream_tbEUljE_ZNSN_ISO_Lb0ESQ_SR_ST_SU_SY_EESZ_S10_S11_S12_S16_S17_S18_S1B_S1C_jS1D_jS1E_S1E_jjS1G_bEUljE0_EEESZ_S10_S11_S18_S1C_S1E_T6_T7_T9_mT8_S1G_bDpT10_ENKUlT_T0_E_clISt17integral_constantIbLb0EES1U_EEDaS1P_S1Q_EUlS1P_E_NS1_11comp_targetILNS1_3genE10ELNS1_11target_archE1200ELNS1_3gpuE4ELNS1_3repE0EEENS1_30default_config_static_selectorELNS0_4arch9wavefront6targetE0EEEvS12_.kd
    .uniform_work_group_size: 1
    .uses_dynamic_stack: false
    .vgpr_count:     0
    .vgpr_spill_count: 0
    .wavefront_size: 32
  - .args:
      - .offset:         0
        .size:           176
        .value_kind:     by_value
    .group_segment_fixed_size: 0
    .kernarg_segment_align: 8
    .kernarg_segment_size: 176
    .language:       OpenCL C
    .language_version:
      - 2
      - 0
    .max_flat_workgroup_size: 256
    .name:           _ZN7rocprim17ROCPRIM_400000_NS6detail17trampoline_kernelINS0_13select_configILj256ELj13ELNS0_17block_load_methodE3ELS4_3ELS4_3ELNS0_20block_scan_algorithmE0ELj4294967295EEENS1_25partition_config_selectorILNS1_17partition_subalgoE4EjNS0_10empty_typeEbEEZZNS1_14partition_implILS8_4ELb0ES6_15HIP_vector_typeIjLj2EENS0_17counting_iteratorIjlEEPS9_SG_NS0_5tupleIJPjSI_NS0_16reverse_iteratorISI_EEEEENSH_IJSG_SG_SG_EEES9_SI_JZNS1_25segmented_radix_sort_implINS0_14default_configELb0EPKdPdPKlPlN2at6native12_GLOBAL__N_18offset_tEEE10hipError_tPvRmT1_PNSt15iterator_traitsIS12_E10value_typeET2_T3_PNS13_IS18_E10value_typeET4_jRbjT5_S1E_jjP12ihipStream_tbEUljE_ZNSN_ISO_Lb0ESQ_SR_ST_SU_SY_EESZ_S10_S11_S12_S16_S17_S18_S1B_S1C_jS1D_jS1E_S1E_jjS1G_bEUljE0_EEESZ_S10_S11_S18_S1C_S1E_T6_T7_T9_mT8_S1G_bDpT10_ENKUlT_T0_E_clISt17integral_constantIbLb0EES1U_EEDaS1P_S1Q_EUlS1P_E_NS1_11comp_targetILNS1_3genE9ELNS1_11target_archE1100ELNS1_3gpuE3ELNS1_3repE0EEENS1_30default_config_static_selectorELNS0_4arch9wavefront6targetE0EEEvS12_
    .private_segment_fixed_size: 0
    .sgpr_count:     0
    .sgpr_spill_count: 0
    .symbol:         _ZN7rocprim17ROCPRIM_400000_NS6detail17trampoline_kernelINS0_13select_configILj256ELj13ELNS0_17block_load_methodE3ELS4_3ELS4_3ELNS0_20block_scan_algorithmE0ELj4294967295EEENS1_25partition_config_selectorILNS1_17partition_subalgoE4EjNS0_10empty_typeEbEEZZNS1_14partition_implILS8_4ELb0ES6_15HIP_vector_typeIjLj2EENS0_17counting_iteratorIjlEEPS9_SG_NS0_5tupleIJPjSI_NS0_16reverse_iteratorISI_EEEEENSH_IJSG_SG_SG_EEES9_SI_JZNS1_25segmented_radix_sort_implINS0_14default_configELb0EPKdPdPKlPlN2at6native12_GLOBAL__N_18offset_tEEE10hipError_tPvRmT1_PNSt15iterator_traitsIS12_E10value_typeET2_T3_PNS13_IS18_E10value_typeET4_jRbjT5_S1E_jjP12ihipStream_tbEUljE_ZNSN_ISO_Lb0ESQ_SR_ST_SU_SY_EESZ_S10_S11_S12_S16_S17_S18_S1B_S1C_jS1D_jS1E_S1E_jjS1G_bEUljE0_EEESZ_S10_S11_S18_S1C_S1E_T6_T7_T9_mT8_S1G_bDpT10_ENKUlT_T0_E_clISt17integral_constantIbLb0EES1U_EEDaS1P_S1Q_EUlS1P_E_NS1_11comp_targetILNS1_3genE9ELNS1_11target_archE1100ELNS1_3gpuE3ELNS1_3repE0EEENS1_30default_config_static_selectorELNS0_4arch9wavefront6targetE0EEEvS12_.kd
    .uniform_work_group_size: 1
    .uses_dynamic_stack: false
    .vgpr_count:     0
    .vgpr_spill_count: 0
    .wavefront_size: 32
  - .args:
      - .offset:         0
        .size:           176
        .value_kind:     by_value
    .group_segment_fixed_size: 0
    .kernarg_segment_align: 8
    .kernarg_segment_size: 176
    .language:       OpenCL C
    .language_version:
      - 2
      - 0
    .max_flat_workgroup_size: 256
    .name:           _ZN7rocprim17ROCPRIM_400000_NS6detail17trampoline_kernelINS0_13select_configILj256ELj13ELNS0_17block_load_methodE3ELS4_3ELS4_3ELNS0_20block_scan_algorithmE0ELj4294967295EEENS1_25partition_config_selectorILNS1_17partition_subalgoE4EjNS0_10empty_typeEbEEZZNS1_14partition_implILS8_4ELb0ES6_15HIP_vector_typeIjLj2EENS0_17counting_iteratorIjlEEPS9_SG_NS0_5tupleIJPjSI_NS0_16reverse_iteratorISI_EEEEENSH_IJSG_SG_SG_EEES9_SI_JZNS1_25segmented_radix_sort_implINS0_14default_configELb0EPKdPdPKlPlN2at6native12_GLOBAL__N_18offset_tEEE10hipError_tPvRmT1_PNSt15iterator_traitsIS12_E10value_typeET2_T3_PNS13_IS18_E10value_typeET4_jRbjT5_S1E_jjP12ihipStream_tbEUljE_ZNSN_ISO_Lb0ESQ_SR_ST_SU_SY_EESZ_S10_S11_S12_S16_S17_S18_S1B_S1C_jS1D_jS1E_S1E_jjS1G_bEUljE0_EEESZ_S10_S11_S18_S1C_S1E_T6_T7_T9_mT8_S1G_bDpT10_ENKUlT_T0_E_clISt17integral_constantIbLb0EES1U_EEDaS1P_S1Q_EUlS1P_E_NS1_11comp_targetILNS1_3genE8ELNS1_11target_archE1030ELNS1_3gpuE2ELNS1_3repE0EEENS1_30default_config_static_selectorELNS0_4arch9wavefront6targetE0EEEvS12_
    .private_segment_fixed_size: 0
    .sgpr_count:     0
    .sgpr_spill_count: 0
    .symbol:         _ZN7rocprim17ROCPRIM_400000_NS6detail17trampoline_kernelINS0_13select_configILj256ELj13ELNS0_17block_load_methodE3ELS4_3ELS4_3ELNS0_20block_scan_algorithmE0ELj4294967295EEENS1_25partition_config_selectorILNS1_17partition_subalgoE4EjNS0_10empty_typeEbEEZZNS1_14partition_implILS8_4ELb0ES6_15HIP_vector_typeIjLj2EENS0_17counting_iteratorIjlEEPS9_SG_NS0_5tupleIJPjSI_NS0_16reverse_iteratorISI_EEEEENSH_IJSG_SG_SG_EEES9_SI_JZNS1_25segmented_radix_sort_implINS0_14default_configELb0EPKdPdPKlPlN2at6native12_GLOBAL__N_18offset_tEEE10hipError_tPvRmT1_PNSt15iterator_traitsIS12_E10value_typeET2_T3_PNS13_IS18_E10value_typeET4_jRbjT5_S1E_jjP12ihipStream_tbEUljE_ZNSN_ISO_Lb0ESQ_SR_ST_SU_SY_EESZ_S10_S11_S12_S16_S17_S18_S1B_S1C_jS1D_jS1E_S1E_jjS1G_bEUljE0_EEESZ_S10_S11_S18_S1C_S1E_T6_T7_T9_mT8_S1G_bDpT10_ENKUlT_T0_E_clISt17integral_constantIbLb0EES1U_EEDaS1P_S1Q_EUlS1P_E_NS1_11comp_targetILNS1_3genE8ELNS1_11target_archE1030ELNS1_3gpuE2ELNS1_3repE0EEENS1_30default_config_static_selectorELNS0_4arch9wavefront6targetE0EEEvS12_.kd
    .uniform_work_group_size: 1
    .uses_dynamic_stack: false
    .vgpr_count:     0
    .vgpr_spill_count: 0
    .wavefront_size: 32
  - .args:
      - .offset:         0
        .size:           184
        .value_kind:     by_value
    .group_segment_fixed_size: 0
    .kernarg_segment_align: 8
    .kernarg_segment_size: 184
    .language:       OpenCL C
    .language_version:
      - 2
      - 0
    .max_flat_workgroup_size: 256
    .name:           _ZN7rocprim17ROCPRIM_400000_NS6detail17trampoline_kernelINS0_13select_configILj256ELj13ELNS0_17block_load_methodE3ELS4_3ELS4_3ELNS0_20block_scan_algorithmE0ELj4294967295EEENS1_25partition_config_selectorILNS1_17partition_subalgoE4EjNS0_10empty_typeEbEEZZNS1_14partition_implILS8_4ELb0ES6_15HIP_vector_typeIjLj2EENS0_17counting_iteratorIjlEEPS9_SG_NS0_5tupleIJPjSI_NS0_16reverse_iteratorISI_EEEEENSH_IJSG_SG_SG_EEES9_SI_JZNS1_25segmented_radix_sort_implINS0_14default_configELb0EPKdPdPKlPlN2at6native12_GLOBAL__N_18offset_tEEE10hipError_tPvRmT1_PNSt15iterator_traitsIS12_E10value_typeET2_T3_PNS13_IS18_E10value_typeET4_jRbjT5_S1E_jjP12ihipStream_tbEUljE_ZNSN_ISO_Lb0ESQ_SR_ST_SU_SY_EESZ_S10_S11_S12_S16_S17_S18_S1B_S1C_jS1D_jS1E_S1E_jjS1G_bEUljE0_EEESZ_S10_S11_S18_S1C_S1E_T6_T7_T9_mT8_S1G_bDpT10_ENKUlT_T0_E_clISt17integral_constantIbLb1EES1U_EEDaS1P_S1Q_EUlS1P_E_NS1_11comp_targetILNS1_3genE0ELNS1_11target_archE4294967295ELNS1_3gpuE0ELNS1_3repE0EEENS1_30default_config_static_selectorELNS0_4arch9wavefront6targetE0EEEvS12_
    .private_segment_fixed_size: 0
    .sgpr_count:     0
    .sgpr_spill_count: 0
    .symbol:         _ZN7rocprim17ROCPRIM_400000_NS6detail17trampoline_kernelINS0_13select_configILj256ELj13ELNS0_17block_load_methodE3ELS4_3ELS4_3ELNS0_20block_scan_algorithmE0ELj4294967295EEENS1_25partition_config_selectorILNS1_17partition_subalgoE4EjNS0_10empty_typeEbEEZZNS1_14partition_implILS8_4ELb0ES6_15HIP_vector_typeIjLj2EENS0_17counting_iteratorIjlEEPS9_SG_NS0_5tupleIJPjSI_NS0_16reverse_iteratorISI_EEEEENSH_IJSG_SG_SG_EEES9_SI_JZNS1_25segmented_radix_sort_implINS0_14default_configELb0EPKdPdPKlPlN2at6native12_GLOBAL__N_18offset_tEEE10hipError_tPvRmT1_PNSt15iterator_traitsIS12_E10value_typeET2_T3_PNS13_IS18_E10value_typeET4_jRbjT5_S1E_jjP12ihipStream_tbEUljE_ZNSN_ISO_Lb0ESQ_SR_ST_SU_SY_EESZ_S10_S11_S12_S16_S17_S18_S1B_S1C_jS1D_jS1E_S1E_jjS1G_bEUljE0_EEESZ_S10_S11_S18_S1C_S1E_T6_T7_T9_mT8_S1G_bDpT10_ENKUlT_T0_E_clISt17integral_constantIbLb1EES1U_EEDaS1P_S1Q_EUlS1P_E_NS1_11comp_targetILNS1_3genE0ELNS1_11target_archE4294967295ELNS1_3gpuE0ELNS1_3repE0EEENS1_30default_config_static_selectorELNS0_4arch9wavefront6targetE0EEEvS12_.kd
    .uniform_work_group_size: 1
    .uses_dynamic_stack: false
    .vgpr_count:     0
    .vgpr_spill_count: 0
    .wavefront_size: 32
  - .args:
      - .offset:         0
        .size:           184
        .value_kind:     by_value
    .group_segment_fixed_size: 0
    .kernarg_segment_align: 8
    .kernarg_segment_size: 184
    .language:       OpenCL C
    .language_version:
      - 2
      - 0
    .max_flat_workgroup_size: 256
    .name:           _ZN7rocprim17ROCPRIM_400000_NS6detail17trampoline_kernelINS0_13select_configILj256ELj13ELNS0_17block_load_methodE3ELS4_3ELS4_3ELNS0_20block_scan_algorithmE0ELj4294967295EEENS1_25partition_config_selectorILNS1_17partition_subalgoE4EjNS0_10empty_typeEbEEZZNS1_14partition_implILS8_4ELb0ES6_15HIP_vector_typeIjLj2EENS0_17counting_iteratorIjlEEPS9_SG_NS0_5tupleIJPjSI_NS0_16reverse_iteratorISI_EEEEENSH_IJSG_SG_SG_EEES9_SI_JZNS1_25segmented_radix_sort_implINS0_14default_configELb0EPKdPdPKlPlN2at6native12_GLOBAL__N_18offset_tEEE10hipError_tPvRmT1_PNSt15iterator_traitsIS12_E10value_typeET2_T3_PNS13_IS18_E10value_typeET4_jRbjT5_S1E_jjP12ihipStream_tbEUljE_ZNSN_ISO_Lb0ESQ_SR_ST_SU_SY_EESZ_S10_S11_S12_S16_S17_S18_S1B_S1C_jS1D_jS1E_S1E_jjS1G_bEUljE0_EEESZ_S10_S11_S18_S1C_S1E_T6_T7_T9_mT8_S1G_bDpT10_ENKUlT_T0_E_clISt17integral_constantIbLb1EES1U_EEDaS1P_S1Q_EUlS1P_E_NS1_11comp_targetILNS1_3genE5ELNS1_11target_archE942ELNS1_3gpuE9ELNS1_3repE0EEENS1_30default_config_static_selectorELNS0_4arch9wavefront6targetE0EEEvS12_
    .private_segment_fixed_size: 0
    .sgpr_count:     0
    .sgpr_spill_count: 0
    .symbol:         _ZN7rocprim17ROCPRIM_400000_NS6detail17trampoline_kernelINS0_13select_configILj256ELj13ELNS0_17block_load_methodE3ELS4_3ELS4_3ELNS0_20block_scan_algorithmE0ELj4294967295EEENS1_25partition_config_selectorILNS1_17partition_subalgoE4EjNS0_10empty_typeEbEEZZNS1_14partition_implILS8_4ELb0ES6_15HIP_vector_typeIjLj2EENS0_17counting_iteratorIjlEEPS9_SG_NS0_5tupleIJPjSI_NS0_16reverse_iteratorISI_EEEEENSH_IJSG_SG_SG_EEES9_SI_JZNS1_25segmented_radix_sort_implINS0_14default_configELb0EPKdPdPKlPlN2at6native12_GLOBAL__N_18offset_tEEE10hipError_tPvRmT1_PNSt15iterator_traitsIS12_E10value_typeET2_T3_PNS13_IS18_E10value_typeET4_jRbjT5_S1E_jjP12ihipStream_tbEUljE_ZNSN_ISO_Lb0ESQ_SR_ST_SU_SY_EESZ_S10_S11_S12_S16_S17_S18_S1B_S1C_jS1D_jS1E_S1E_jjS1G_bEUljE0_EEESZ_S10_S11_S18_S1C_S1E_T6_T7_T9_mT8_S1G_bDpT10_ENKUlT_T0_E_clISt17integral_constantIbLb1EES1U_EEDaS1P_S1Q_EUlS1P_E_NS1_11comp_targetILNS1_3genE5ELNS1_11target_archE942ELNS1_3gpuE9ELNS1_3repE0EEENS1_30default_config_static_selectorELNS0_4arch9wavefront6targetE0EEEvS12_.kd
    .uniform_work_group_size: 1
    .uses_dynamic_stack: false
    .vgpr_count:     0
    .vgpr_spill_count: 0
    .wavefront_size: 32
  - .args:
      - .offset:         0
        .size:           184
        .value_kind:     by_value
    .group_segment_fixed_size: 0
    .kernarg_segment_align: 8
    .kernarg_segment_size: 184
    .language:       OpenCL C
    .language_version:
      - 2
      - 0
    .max_flat_workgroup_size: 256
    .name:           _ZN7rocprim17ROCPRIM_400000_NS6detail17trampoline_kernelINS0_13select_configILj256ELj13ELNS0_17block_load_methodE3ELS4_3ELS4_3ELNS0_20block_scan_algorithmE0ELj4294967295EEENS1_25partition_config_selectorILNS1_17partition_subalgoE4EjNS0_10empty_typeEbEEZZNS1_14partition_implILS8_4ELb0ES6_15HIP_vector_typeIjLj2EENS0_17counting_iteratorIjlEEPS9_SG_NS0_5tupleIJPjSI_NS0_16reverse_iteratorISI_EEEEENSH_IJSG_SG_SG_EEES9_SI_JZNS1_25segmented_radix_sort_implINS0_14default_configELb0EPKdPdPKlPlN2at6native12_GLOBAL__N_18offset_tEEE10hipError_tPvRmT1_PNSt15iterator_traitsIS12_E10value_typeET2_T3_PNS13_IS18_E10value_typeET4_jRbjT5_S1E_jjP12ihipStream_tbEUljE_ZNSN_ISO_Lb0ESQ_SR_ST_SU_SY_EESZ_S10_S11_S12_S16_S17_S18_S1B_S1C_jS1D_jS1E_S1E_jjS1G_bEUljE0_EEESZ_S10_S11_S18_S1C_S1E_T6_T7_T9_mT8_S1G_bDpT10_ENKUlT_T0_E_clISt17integral_constantIbLb1EES1U_EEDaS1P_S1Q_EUlS1P_E_NS1_11comp_targetILNS1_3genE4ELNS1_11target_archE910ELNS1_3gpuE8ELNS1_3repE0EEENS1_30default_config_static_selectorELNS0_4arch9wavefront6targetE0EEEvS12_
    .private_segment_fixed_size: 0
    .sgpr_count:     0
    .sgpr_spill_count: 0
    .symbol:         _ZN7rocprim17ROCPRIM_400000_NS6detail17trampoline_kernelINS0_13select_configILj256ELj13ELNS0_17block_load_methodE3ELS4_3ELS4_3ELNS0_20block_scan_algorithmE0ELj4294967295EEENS1_25partition_config_selectorILNS1_17partition_subalgoE4EjNS0_10empty_typeEbEEZZNS1_14partition_implILS8_4ELb0ES6_15HIP_vector_typeIjLj2EENS0_17counting_iteratorIjlEEPS9_SG_NS0_5tupleIJPjSI_NS0_16reverse_iteratorISI_EEEEENSH_IJSG_SG_SG_EEES9_SI_JZNS1_25segmented_radix_sort_implINS0_14default_configELb0EPKdPdPKlPlN2at6native12_GLOBAL__N_18offset_tEEE10hipError_tPvRmT1_PNSt15iterator_traitsIS12_E10value_typeET2_T3_PNS13_IS18_E10value_typeET4_jRbjT5_S1E_jjP12ihipStream_tbEUljE_ZNSN_ISO_Lb0ESQ_SR_ST_SU_SY_EESZ_S10_S11_S12_S16_S17_S18_S1B_S1C_jS1D_jS1E_S1E_jjS1G_bEUljE0_EEESZ_S10_S11_S18_S1C_S1E_T6_T7_T9_mT8_S1G_bDpT10_ENKUlT_T0_E_clISt17integral_constantIbLb1EES1U_EEDaS1P_S1Q_EUlS1P_E_NS1_11comp_targetILNS1_3genE4ELNS1_11target_archE910ELNS1_3gpuE8ELNS1_3repE0EEENS1_30default_config_static_selectorELNS0_4arch9wavefront6targetE0EEEvS12_.kd
    .uniform_work_group_size: 1
    .uses_dynamic_stack: false
    .vgpr_count:     0
    .vgpr_spill_count: 0
    .wavefront_size: 32
  - .args:
      - .offset:         0
        .size:           184
        .value_kind:     by_value
    .group_segment_fixed_size: 0
    .kernarg_segment_align: 8
    .kernarg_segment_size: 184
    .language:       OpenCL C
    .language_version:
      - 2
      - 0
    .max_flat_workgroup_size: 256
    .name:           _ZN7rocprim17ROCPRIM_400000_NS6detail17trampoline_kernelINS0_13select_configILj256ELj13ELNS0_17block_load_methodE3ELS4_3ELS4_3ELNS0_20block_scan_algorithmE0ELj4294967295EEENS1_25partition_config_selectorILNS1_17partition_subalgoE4EjNS0_10empty_typeEbEEZZNS1_14partition_implILS8_4ELb0ES6_15HIP_vector_typeIjLj2EENS0_17counting_iteratorIjlEEPS9_SG_NS0_5tupleIJPjSI_NS0_16reverse_iteratorISI_EEEEENSH_IJSG_SG_SG_EEES9_SI_JZNS1_25segmented_radix_sort_implINS0_14default_configELb0EPKdPdPKlPlN2at6native12_GLOBAL__N_18offset_tEEE10hipError_tPvRmT1_PNSt15iterator_traitsIS12_E10value_typeET2_T3_PNS13_IS18_E10value_typeET4_jRbjT5_S1E_jjP12ihipStream_tbEUljE_ZNSN_ISO_Lb0ESQ_SR_ST_SU_SY_EESZ_S10_S11_S12_S16_S17_S18_S1B_S1C_jS1D_jS1E_S1E_jjS1G_bEUljE0_EEESZ_S10_S11_S18_S1C_S1E_T6_T7_T9_mT8_S1G_bDpT10_ENKUlT_T0_E_clISt17integral_constantIbLb1EES1U_EEDaS1P_S1Q_EUlS1P_E_NS1_11comp_targetILNS1_3genE3ELNS1_11target_archE908ELNS1_3gpuE7ELNS1_3repE0EEENS1_30default_config_static_selectorELNS0_4arch9wavefront6targetE0EEEvS12_
    .private_segment_fixed_size: 0
    .sgpr_count:     0
    .sgpr_spill_count: 0
    .symbol:         _ZN7rocprim17ROCPRIM_400000_NS6detail17trampoline_kernelINS0_13select_configILj256ELj13ELNS0_17block_load_methodE3ELS4_3ELS4_3ELNS0_20block_scan_algorithmE0ELj4294967295EEENS1_25partition_config_selectorILNS1_17partition_subalgoE4EjNS0_10empty_typeEbEEZZNS1_14partition_implILS8_4ELb0ES6_15HIP_vector_typeIjLj2EENS0_17counting_iteratorIjlEEPS9_SG_NS0_5tupleIJPjSI_NS0_16reverse_iteratorISI_EEEEENSH_IJSG_SG_SG_EEES9_SI_JZNS1_25segmented_radix_sort_implINS0_14default_configELb0EPKdPdPKlPlN2at6native12_GLOBAL__N_18offset_tEEE10hipError_tPvRmT1_PNSt15iterator_traitsIS12_E10value_typeET2_T3_PNS13_IS18_E10value_typeET4_jRbjT5_S1E_jjP12ihipStream_tbEUljE_ZNSN_ISO_Lb0ESQ_SR_ST_SU_SY_EESZ_S10_S11_S12_S16_S17_S18_S1B_S1C_jS1D_jS1E_S1E_jjS1G_bEUljE0_EEESZ_S10_S11_S18_S1C_S1E_T6_T7_T9_mT8_S1G_bDpT10_ENKUlT_T0_E_clISt17integral_constantIbLb1EES1U_EEDaS1P_S1Q_EUlS1P_E_NS1_11comp_targetILNS1_3genE3ELNS1_11target_archE908ELNS1_3gpuE7ELNS1_3repE0EEENS1_30default_config_static_selectorELNS0_4arch9wavefront6targetE0EEEvS12_.kd
    .uniform_work_group_size: 1
    .uses_dynamic_stack: false
    .vgpr_count:     0
    .vgpr_spill_count: 0
    .wavefront_size: 32
  - .args:
      - .offset:         0
        .size:           184
        .value_kind:     by_value
    .group_segment_fixed_size: 0
    .kernarg_segment_align: 8
    .kernarg_segment_size: 184
    .language:       OpenCL C
    .language_version:
      - 2
      - 0
    .max_flat_workgroup_size: 256
    .name:           _ZN7rocprim17ROCPRIM_400000_NS6detail17trampoline_kernelINS0_13select_configILj256ELj13ELNS0_17block_load_methodE3ELS4_3ELS4_3ELNS0_20block_scan_algorithmE0ELj4294967295EEENS1_25partition_config_selectorILNS1_17partition_subalgoE4EjNS0_10empty_typeEbEEZZNS1_14partition_implILS8_4ELb0ES6_15HIP_vector_typeIjLj2EENS0_17counting_iteratorIjlEEPS9_SG_NS0_5tupleIJPjSI_NS0_16reverse_iteratorISI_EEEEENSH_IJSG_SG_SG_EEES9_SI_JZNS1_25segmented_radix_sort_implINS0_14default_configELb0EPKdPdPKlPlN2at6native12_GLOBAL__N_18offset_tEEE10hipError_tPvRmT1_PNSt15iterator_traitsIS12_E10value_typeET2_T3_PNS13_IS18_E10value_typeET4_jRbjT5_S1E_jjP12ihipStream_tbEUljE_ZNSN_ISO_Lb0ESQ_SR_ST_SU_SY_EESZ_S10_S11_S12_S16_S17_S18_S1B_S1C_jS1D_jS1E_S1E_jjS1G_bEUljE0_EEESZ_S10_S11_S18_S1C_S1E_T6_T7_T9_mT8_S1G_bDpT10_ENKUlT_T0_E_clISt17integral_constantIbLb1EES1U_EEDaS1P_S1Q_EUlS1P_E_NS1_11comp_targetILNS1_3genE2ELNS1_11target_archE906ELNS1_3gpuE6ELNS1_3repE0EEENS1_30default_config_static_selectorELNS0_4arch9wavefront6targetE0EEEvS12_
    .private_segment_fixed_size: 0
    .sgpr_count:     0
    .sgpr_spill_count: 0
    .symbol:         _ZN7rocprim17ROCPRIM_400000_NS6detail17trampoline_kernelINS0_13select_configILj256ELj13ELNS0_17block_load_methodE3ELS4_3ELS4_3ELNS0_20block_scan_algorithmE0ELj4294967295EEENS1_25partition_config_selectorILNS1_17partition_subalgoE4EjNS0_10empty_typeEbEEZZNS1_14partition_implILS8_4ELb0ES6_15HIP_vector_typeIjLj2EENS0_17counting_iteratorIjlEEPS9_SG_NS0_5tupleIJPjSI_NS0_16reverse_iteratorISI_EEEEENSH_IJSG_SG_SG_EEES9_SI_JZNS1_25segmented_radix_sort_implINS0_14default_configELb0EPKdPdPKlPlN2at6native12_GLOBAL__N_18offset_tEEE10hipError_tPvRmT1_PNSt15iterator_traitsIS12_E10value_typeET2_T3_PNS13_IS18_E10value_typeET4_jRbjT5_S1E_jjP12ihipStream_tbEUljE_ZNSN_ISO_Lb0ESQ_SR_ST_SU_SY_EESZ_S10_S11_S12_S16_S17_S18_S1B_S1C_jS1D_jS1E_S1E_jjS1G_bEUljE0_EEESZ_S10_S11_S18_S1C_S1E_T6_T7_T9_mT8_S1G_bDpT10_ENKUlT_T0_E_clISt17integral_constantIbLb1EES1U_EEDaS1P_S1Q_EUlS1P_E_NS1_11comp_targetILNS1_3genE2ELNS1_11target_archE906ELNS1_3gpuE6ELNS1_3repE0EEENS1_30default_config_static_selectorELNS0_4arch9wavefront6targetE0EEEvS12_.kd
    .uniform_work_group_size: 1
    .uses_dynamic_stack: false
    .vgpr_count:     0
    .vgpr_spill_count: 0
    .wavefront_size: 32
  - .args:
      - .offset:         0
        .size:           184
        .value_kind:     by_value
    .group_segment_fixed_size: 0
    .kernarg_segment_align: 8
    .kernarg_segment_size: 184
    .language:       OpenCL C
    .language_version:
      - 2
      - 0
    .max_flat_workgroup_size: 256
    .name:           _ZN7rocprim17ROCPRIM_400000_NS6detail17trampoline_kernelINS0_13select_configILj256ELj13ELNS0_17block_load_methodE3ELS4_3ELS4_3ELNS0_20block_scan_algorithmE0ELj4294967295EEENS1_25partition_config_selectorILNS1_17partition_subalgoE4EjNS0_10empty_typeEbEEZZNS1_14partition_implILS8_4ELb0ES6_15HIP_vector_typeIjLj2EENS0_17counting_iteratorIjlEEPS9_SG_NS0_5tupleIJPjSI_NS0_16reverse_iteratorISI_EEEEENSH_IJSG_SG_SG_EEES9_SI_JZNS1_25segmented_radix_sort_implINS0_14default_configELb0EPKdPdPKlPlN2at6native12_GLOBAL__N_18offset_tEEE10hipError_tPvRmT1_PNSt15iterator_traitsIS12_E10value_typeET2_T3_PNS13_IS18_E10value_typeET4_jRbjT5_S1E_jjP12ihipStream_tbEUljE_ZNSN_ISO_Lb0ESQ_SR_ST_SU_SY_EESZ_S10_S11_S12_S16_S17_S18_S1B_S1C_jS1D_jS1E_S1E_jjS1G_bEUljE0_EEESZ_S10_S11_S18_S1C_S1E_T6_T7_T9_mT8_S1G_bDpT10_ENKUlT_T0_E_clISt17integral_constantIbLb1EES1U_EEDaS1P_S1Q_EUlS1P_E_NS1_11comp_targetILNS1_3genE10ELNS1_11target_archE1200ELNS1_3gpuE4ELNS1_3repE0EEENS1_30default_config_static_selectorELNS0_4arch9wavefront6targetE0EEEvS12_
    .private_segment_fixed_size: 0
    .sgpr_count:     0
    .sgpr_spill_count: 0
    .symbol:         _ZN7rocprim17ROCPRIM_400000_NS6detail17trampoline_kernelINS0_13select_configILj256ELj13ELNS0_17block_load_methodE3ELS4_3ELS4_3ELNS0_20block_scan_algorithmE0ELj4294967295EEENS1_25partition_config_selectorILNS1_17partition_subalgoE4EjNS0_10empty_typeEbEEZZNS1_14partition_implILS8_4ELb0ES6_15HIP_vector_typeIjLj2EENS0_17counting_iteratorIjlEEPS9_SG_NS0_5tupleIJPjSI_NS0_16reverse_iteratorISI_EEEEENSH_IJSG_SG_SG_EEES9_SI_JZNS1_25segmented_radix_sort_implINS0_14default_configELb0EPKdPdPKlPlN2at6native12_GLOBAL__N_18offset_tEEE10hipError_tPvRmT1_PNSt15iterator_traitsIS12_E10value_typeET2_T3_PNS13_IS18_E10value_typeET4_jRbjT5_S1E_jjP12ihipStream_tbEUljE_ZNSN_ISO_Lb0ESQ_SR_ST_SU_SY_EESZ_S10_S11_S12_S16_S17_S18_S1B_S1C_jS1D_jS1E_S1E_jjS1G_bEUljE0_EEESZ_S10_S11_S18_S1C_S1E_T6_T7_T9_mT8_S1G_bDpT10_ENKUlT_T0_E_clISt17integral_constantIbLb1EES1U_EEDaS1P_S1Q_EUlS1P_E_NS1_11comp_targetILNS1_3genE10ELNS1_11target_archE1200ELNS1_3gpuE4ELNS1_3repE0EEENS1_30default_config_static_selectorELNS0_4arch9wavefront6targetE0EEEvS12_.kd
    .uniform_work_group_size: 1
    .uses_dynamic_stack: false
    .vgpr_count:     0
    .vgpr_spill_count: 0
    .wavefront_size: 32
  - .args:
      - .offset:         0
        .size:           184
        .value_kind:     by_value
    .group_segment_fixed_size: 0
    .kernarg_segment_align: 8
    .kernarg_segment_size: 184
    .language:       OpenCL C
    .language_version:
      - 2
      - 0
    .max_flat_workgroup_size: 256
    .name:           _ZN7rocprim17ROCPRIM_400000_NS6detail17trampoline_kernelINS0_13select_configILj256ELj13ELNS0_17block_load_methodE3ELS4_3ELS4_3ELNS0_20block_scan_algorithmE0ELj4294967295EEENS1_25partition_config_selectorILNS1_17partition_subalgoE4EjNS0_10empty_typeEbEEZZNS1_14partition_implILS8_4ELb0ES6_15HIP_vector_typeIjLj2EENS0_17counting_iteratorIjlEEPS9_SG_NS0_5tupleIJPjSI_NS0_16reverse_iteratorISI_EEEEENSH_IJSG_SG_SG_EEES9_SI_JZNS1_25segmented_radix_sort_implINS0_14default_configELb0EPKdPdPKlPlN2at6native12_GLOBAL__N_18offset_tEEE10hipError_tPvRmT1_PNSt15iterator_traitsIS12_E10value_typeET2_T3_PNS13_IS18_E10value_typeET4_jRbjT5_S1E_jjP12ihipStream_tbEUljE_ZNSN_ISO_Lb0ESQ_SR_ST_SU_SY_EESZ_S10_S11_S12_S16_S17_S18_S1B_S1C_jS1D_jS1E_S1E_jjS1G_bEUljE0_EEESZ_S10_S11_S18_S1C_S1E_T6_T7_T9_mT8_S1G_bDpT10_ENKUlT_T0_E_clISt17integral_constantIbLb1EES1U_EEDaS1P_S1Q_EUlS1P_E_NS1_11comp_targetILNS1_3genE9ELNS1_11target_archE1100ELNS1_3gpuE3ELNS1_3repE0EEENS1_30default_config_static_selectorELNS0_4arch9wavefront6targetE0EEEvS12_
    .private_segment_fixed_size: 0
    .sgpr_count:     0
    .sgpr_spill_count: 0
    .symbol:         _ZN7rocprim17ROCPRIM_400000_NS6detail17trampoline_kernelINS0_13select_configILj256ELj13ELNS0_17block_load_methodE3ELS4_3ELS4_3ELNS0_20block_scan_algorithmE0ELj4294967295EEENS1_25partition_config_selectorILNS1_17partition_subalgoE4EjNS0_10empty_typeEbEEZZNS1_14partition_implILS8_4ELb0ES6_15HIP_vector_typeIjLj2EENS0_17counting_iteratorIjlEEPS9_SG_NS0_5tupleIJPjSI_NS0_16reverse_iteratorISI_EEEEENSH_IJSG_SG_SG_EEES9_SI_JZNS1_25segmented_radix_sort_implINS0_14default_configELb0EPKdPdPKlPlN2at6native12_GLOBAL__N_18offset_tEEE10hipError_tPvRmT1_PNSt15iterator_traitsIS12_E10value_typeET2_T3_PNS13_IS18_E10value_typeET4_jRbjT5_S1E_jjP12ihipStream_tbEUljE_ZNSN_ISO_Lb0ESQ_SR_ST_SU_SY_EESZ_S10_S11_S12_S16_S17_S18_S1B_S1C_jS1D_jS1E_S1E_jjS1G_bEUljE0_EEESZ_S10_S11_S18_S1C_S1E_T6_T7_T9_mT8_S1G_bDpT10_ENKUlT_T0_E_clISt17integral_constantIbLb1EES1U_EEDaS1P_S1Q_EUlS1P_E_NS1_11comp_targetILNS1_3genE9ELNS1_11target_archE1100ELNS1_3gpuE3ELNS1_3repE0EEENS1_30default_config_static_selectorELNS0_4arch9wavefront6targetE0EEEvS12_.kd
    .uniform_work_group_size: 1
    .uses_dynamic_stack: false
    .vgpr_count:     0
    .vgpr_spill_count: 0
    .wavefront_size: 32
  - .args:
      - .offset:         0
        .size:           184
        .value_kind:     by_value
    .group_segment_fixed_size: 0
    .kernarg_segment_align: 8
    .kernarg_segment_size: 184
    .language:       OpenCL C
    .language_version:
      - 2
      - 0
    .max_flat_workgroup_size: 256
    .name:           _ZN7rocprim17ROCPRIM_400000_NS6detail17trampoline_kernelINS0_13select_configILj256ELj13ELNS0_17block_load_methodE3ELS4_3ELS4_3ELNS0_20block_scan_algorithmE0ELj4294967295EEENS1_25partition_config_selectorILNS1_17partition_subalgoE4EjNS0_10empty_typeEbEEZZNS1_14partition_implILS8_4ELb0ES6_15HIP_vector_typeIjLj2EENS0_17counting_iteratorIjlEEPS9_SG_NS0_5tupleIJPjSI_NS0_16reverse_iteratorISI_EEEEENSH_IJSG_SG_SG_EEES9_SI_JZNS1_25segmented_radix_sort_implINS0_14default_configELb0EPKdPdPKlPlN2at6native12_GLOBAL__N_18offset_tEEE10hipError_tPvRmT1_PNSt15iterator_traitsIS12_E10value_typeET2_T3_PNS13_IS18_E10value_typeET4_jRbjT5_S1E_jjP12ihipStream_tbEUljE_ZNSN_ISO_Lb0ESQ_SR_ST_SU_SY_EESZ_S10_S11_S12_S16_S17_S18_S1B_S1C_jS1D_jS1E_S1E_jjS1G_bEUljE0_EEESZ_S10_S11_S18_S1C_S1E_T6_T7_T9_mT8_S1G_bDpT10_ENKUlT_T0_E_clISt17integral_constantIbLb1EES1U_EEDaS1P_S1Q_EUlS1P_E_NS1_11comp_targetILNS1_3genE8ELNS1_11target_archE1030ELNS1_3gpuE2ELNS1_3repE0EEENS1_30default_config_static_selectorELNS0_4arch9wavefront6targetE0EEEvS12_
    .private_segment_fixed_size: 0
    .sgpr_count:     0
    .sgpr_spill_count: 0
    .symbol:         _ZN7rocprim17ROCPRIM_400000_NS6detail17trampoline_kernelINS0_13select_configILj256ELj13ELNS0_17block_load_methodE3ELS4_3ELS4_3ELNS0_20block_scan_algorithmE0ELj4294967295EEENS1_25partition_config_selectorILNS1_17partition_subalgoE4EjNS0_10empty_typeEbEEZZNS1_14partition_implILS8_4ELb0ES6_15HIP_vector_typeIjLj2EENS0_17counting_iteratorIjlEEPS9_SG_NS0_5tupleIJPjSI_NS0_16reverse_iteratorISI_EEEEENSH_IJSG_SG_SG_EEES9_SI_JZNS1_25segmented_radix_sort_implINS0_14default_configELb0EPKdPdPKlPlN2at6native12_GLOBAL__N_18offset_tEEE10hipError_tPvRmT1_PNSt15iterator_traitsIS12_E10value_typeET2_T3_PNS13_IS18_E10value_typeET4_jRbjT5_S1E_jjP12ihipStream_tbEUljE_ZNSN_ISO_Lb0ESQ_SR_ST_SU_SY_EESZ_S10_S11_S12_S16_S17_S18_S1B_S1C_jS1D_jS1E_S1E_jjS1G_bEUljE0_EEESZ_S10_S11_S18_S1C_S1E_T6_T7_T9_mT8_S1G_bDpT10_ENKUlT_T0_E_clISt17integral_constantIbLb1EES1U_EEDaS1P_S1Q_EUlS1P_E_NS1_11comp_targetILNS1_3genE8ELNS1_11target_archE1030ELNS1_3gpuE2ELNS1_3repE0EEENS1_30default_config_static_selectorELNS0_4arch9wavefront6targetE0EEEvS12_.kd
    .uniform_work_group_size: 1
    .uses_dynamic_stack: false
    .vgpr_count:     0
    .vgpr_spill_count: 0
    .wavefront_size: 32
  - .args:
      - .offset:         0
        .size:           176
        .value_kind:     by_value
    .group_segment_fixed_size: 0
    .kernarg_segment_align: 8
    .kernarg_segment_size: 176
    .language:       OpenCL C
    .language_version:
      - 2
      - 0
    .max_flat_workgroup_size: 256
    .name:           _ZN7rocprim17ROCPRIM_400000_NS6detail17trampoline_kernelINS0_13select_configILj256ELj13ELNS0_17block_load_methodE3ELS4_3ELS4_3ELNS0_20block_scan_algorithmE0ELj4294967295EEENS1_25partition_config_selectorILNS1_17partition_subalgoE4EjNS0_10empty_typeEbEEZZNS1_14partition_implILS8_4ELb0ES6_15HIP_vector_typeIjLj2EENS0_17counting_iteratorIjlEEPS9_SG_NS0_5tupleIJPjSI_NS0_16reverse_iteratorISI_EEEEENSH_IJSG_SG_SG_EEES9_SI_JZNS1_25segmented_radix_sort_implINS0_14default_configELb0EPKdPdPKlPlN2at6native12_GLOBAL__N_18offset_tEEE10hipError_tPvRmT1_PNSt15iterator_traitsIS12_E10value_typeET2_T3_PNS13_IS18_E10value_typeET4_jRbjT5_S1E_jjP12ihipStream_tbEUljE_ZNSN_ISO_Lb0ESQ_SR_ST_SU_SY_EESZ_S10_S11_S12_S16_S17_S18_S1B_S1C_jS1D_jS1E_S1E_jjS1G_bEUljE0_EEESZ_S10_S11_S18_S1C_S1E_T6_T7_T9_mT8_S1G_bDpT10_ENKUlT_T0_E_clISt17integral_constantIbLb1EES1T_IbLb0EEEEDaS1P_S1Q_EUlS1P_E_NS1_11comp_targetILNS1_3genE0ELNS1_11target_archE4294967295ELNS1_3gpuE0ELNS1_3repE0EEENS1_30default_config_static_selectorELNS0_4arch9wavefront6targetE0EEEvS12_
    .private_segment_fixed_size: 0
    .sgpr_count:     0
    .sgpr_spill_count: 0
    .symbol:         _ZN7rocprim17ROCPRIM_400000_NS6detail17trampoline_kernelINS0_13select_configILj256ELj13ELNS0_17block_load_methodE3ELS4_3ELS4_3ELNS0_20block_scan_algorithmE0ELj4294967295EEENS1_25partition_config_selectorILNS1_17partition_subalgoE4EjNS0_10empty_typeEbEEZZNS1_14partition_implILS8_4ELb0ES6_15HIP_vector_typeIjLj2EENS0_17counting_iteratorIjlEEPS9_SG_NS0_5tupleIJPjSI_NS0_16reverse_iteratorISI_EEEEENSH_IJSG_SG_SG_EEES9_SI_JZNS1_25segmented_radix_sort_implINS0_14default_configELb0EPKdPdPKlPlN2at6native12_GLOBAL__N_18offset_tEEE10hipError_tPvRmT1_PNSt15iterator_traitsIS12_E10value_typeET2_T3_PNS13_IS18_E10value_typeET4_jRbjT5_S1E_jjP12ihipStream_tbEUljE_ZNSN_ISO_Lb0ESQ_SR_ST_SU_SY_EESZ_S10_S11_S12_S16_S17_S18_S1B_S1C_jS1D_jS1E_S1E_jjS1G_bEUljE0_EEESZ_S10_S11_S18_S1C_S1E_T6_T7_T9_mT8_S1G_bDpT10_ENKUlT_T0_E_clISt17integral_constantIbLb1EES1T_IbLb0EEEEDaS1P_S1Q_EUlS1P_E_NS1_11comp_targetILNS1_3genE0ELNS1_11target_archE4294967295ELNS1_3gpuE0ELNS1_3repE0EEENS1_30default_config_static_selectorELNS0_4arch9wavefront6targetE0EEEvS12_.kd
    .uniform_work_group_size: 1
    .uses_dynamic_stack: false
    .vgpr_count:     0
    .vgpr_spill_count: 0
    .wavefront_size: 32
  - .args:
      - .offset:         0
        .size:           176
        .value_kind:     by_value
    .group_segment_fixed_size: 0
    .kernarg_segment_align: 8
    .kernarg_segment_size: 176
    .language:       OpenCL C
    .language_version:
      - 2
      - 0
    .max_flat_workgroup_size: 256
    .name:           _ZN7rocprim17ROCPRIM_400000_NS6detail17trampoline_kernelINS0_13select_configILj256ELj13ELNS0_17block_load_methodE3ELS4_3ELS4_3ELNS0_20block_scan_algorithmE0ELj4294967295EEENS1_25partition_config_selectorILNS1_17partition_subalgoE4EjNS0_10empty_typeEbEEZZNS1_14partition_implILS8_4ELb0ES6_15HIP_vector_typeIjLj2EENS0_17counting_iteratorIjlEEPS9_SG_NS0_5tupleIJPjSI_NS0_16reverse_iteratorISI_EEEEENSH_IJSG_SG_SG_EEES9_SI_JZNS1_25segmented_radix_sort_implINS0_14default_configELb0EPKdPdPKlPlN2at6native12_GLOBAL__N_18offset_tEEE10hipError_tPvRmT1_PNSt15iterator_traitsIS12_E10value_typeET2_T3_PNS13_IS18_E10value_typeET4_jRbjT5_S1E_jjP12ihipStream_tbEUljE_ZNSN_ISO_Lb0ESQ_SR_ST_SU_SY_EESZ_S10_S11_S12_S16_S17_S18_S1B_S1C_jS1D_jS1E_S1E_jjS1G_bEUljE0_EEESZ_S10_S11_S18_S1C_S1E_T6_T7_T9_mT8_S1G_bDpT10_ENKUlT_T0_E_clISt17integral_constantIbLb1EES1T_IbLb0EEEEDaS1P_S1Q_EUlS1P_E_NS1_11comp_targetILNS1_3genE5ELNS1_11target_archE942ELNS1_3gpuE9ELNS1_3repE0EEENS1_30default_config_static_selectorELNS0_4arch9wavefront6targetE0EEEvS12_
    .private_segment_fixed_size: 0
    .sgpr_count:     0
    .sgpr_spill_count: 0
    .symbol:         _ZN7rocprim17ROCPRIM_400000_NS6detail17trampoline_kernelINS0_13select_configILj256ELj13ELNS0_17block_load_methodE3ELS4_3ELS4_3ELNS0_20block_scan_algorithmE0ELj4294967295EEENS1_25partition_config_selectorILNS1_17partition_subalgoE4EjNS0_10empty_typeEbEEZZNS1_14partition_implILS8_4ELb0ES6_15HIP_vector_typeIjLj2EENS0_17counting_iteratorIjlEEPS9_SG_NS0_5tupleIJPjSI_NS0_16reverse_iteratorISI_EEEEENSH_IJSG_SG_SG_EEES9_SI_JZNS1_25segmented_radix_sort_implINS0_14default_configELb0EPKdPdPKlPlN2at6native12_GLOBAL__N_18offset_tEEE10hipError_tPvRmT1_PNSt15iterator_traitsIS12_E10value_typeET2_T3_PNS13_IS18_E10value_typeET4_jRbjT5_S1E_jjP12ihipStream_tbEUljE_ZNSN_ISO_Lb0ESQ_SR_ST_SU_SY_EESZ_S10_S11_S12_S16_S17_S18_S1B_S1C_jS1D_jS1E_S1E_jjS1G_bEUljE0_EEESZ_S10_S11_S18_S1C_S1E_T6_T7_T9_mT8_S1G_bDpT10_ENKUlT_T0_E_clISt17integral_constantIbLb1EES1T_IbLb0EEEEDaS1P_S1Q_EUlS1P_E_NS1_11comp_targetILNS1_3genE5ELNS1_11target_archE942ELNS1_3gpuE9ELNS1_3repE0EEENS1_30default_config_static_selectorELNS0_4arch9wavefront6targetE0EEEvS12_.kd
    .uniform_work_group_size: 1
    .uses_dynamic_stack: false
    .vgpr_count:     0
    .vgpr_spill_count: 0
    .wavefront_size: 32
  - .args:
      - .offset:         0
        .size:           176
        .value_kind:     by_value
    .group_segment_fixed_size: 0
    .kernarg_segment_align: 8
    .kernarg_segment_size: 176
    .language:       OpenCL C
    .language_version:
      - 2
      - 0
    .max_flat_workgroup_size: 256
    .name:           _ZN7rocprim17ROCPRIM_400000_NS6detail17trampoline_kernelINS0_13select_configILj256ELj13ELNS0_17block_load_methodE3ELS4_3ELS4_3ELNS0_20block_scan_algorithmE0ELj4294967295EEENS1_25partition_config_selectorILNS1_17partition_subalgoE4EjNS0_10empty_typeEbEEZZNS1_14partition_implILS8_4ELb0ES6_15HIP_vector_typeIjLj2EENS0_17counting_iteratorIjlEEPS9_SG_NS0_5tupleIJPjSI_NS0_16reverse_iteratorISI_EEEEENSH_IJSG_SG_SG_EEES9_SI_JZNS1_25segmented_radix_sort_implINS0_14default_configELb0EPKdPdPKlPlN2at6native12_GLOBAL__N_18offset_tEEE10hipError_tPvRmT1_PNSt15iterator_traitsIS12_E10value_typeET2_T3_PNS13_IS18_E10value_typeET4_jRbjT5_S1E_jjP12ihipStream_tbEUljE_ZNSN_ISO_Lb0ESQ_SR_ST_SU_SY_EESZ_S10_S11_S12_S16_S17_S18_S1B_S1C_jS1D_jS1E_S1E_jjS1G_bEUljE0_EEESZ_S10_S11_S18_S1C_S1E_T6_T7_T9_mT8_S1G_bDpT10_ENKUlT_T0_E_clISt17integral_constantIbLb1EES1T_IbLb0EEEEDaS1P_S1Q_EUlS1P_E_NS1_11comp_targetILNS1_3genE4ELNS1_11target_archE910ELNS1_3gpuE8ELNS1_3repE0EEENS1_30default_config_static_selectorELNS0_4arch9wavefront6targetE0EEEvS12_
    .private_segment_fixed_size: 0
    .sgpr_count:     0
    .sgpr_spill_count: 0
    .symbol:         _ZN7rocprim17ROCPRIM_400000_NS6detail17trampoline_kernelINS0_13select_configILj256ELj13ELNS0_17block_load_methodE3ELS4_3ELS4_3ELNS0_20block_scan_algorithmE0ELj4294967295EEENS1_25partition_config_selectorILNS1_17partition_subalgoE4EjNS0_10empty_typeEbEEZZNS1_14partition_implILS8_4ELb0ES6_15HIP_vector_typeIjLj2EENS0_17counting_iteratorIjlEEPS9_SG_NS0_5tupleIJPjSI_NS0_16reverse_iteratorISI_EEEEENSH_IJSG_SG_SG_EEES9_SI_JZNS1_25segmented_radix_sort_implINS0_14default_configELb0EPKdPdPKlPlN2at6native12_GLOBAL__N_18offset_tEEE10hipError_tPvRmT1_PNSt15iterator_traitsIS12_E10value_typeET2_T3_PNS13_IS18_E10value_typeET4_jRbjT5_S1E_jjP12ihipStream_tbEUljE_ZNSN_ISO_Lb0ESQ_SR_ST_SU_SY_EESZ_S10_S11_S12_S16_S17_S18_S1B_S1C_jS1D_jS1E_S1E_jjS1G_bEUljE0_EEESZ_S10_S11_S18_S1C_S1E_T6_T7_T9_mT8_S1G_bDpT10_ENKUlT_T0_E_clISt17integral_constantIbLb1EES1T_IbLb0EEEEDaS1P_S1Q_EUlS1P_E_NS1_11comp_targetILNS1_3genE4ELNS1_11target_archE910ELNS1_3gpuE8ELNS1_3repE0EEENS1_30default_config_static_selectorELNS0_4arch9wavefront6targetE0EEEvS12_.kd
    .uniform_work_group_size: 1
    .uses_dynamic_stack: false
    .vgpr_count:     0
    .vgpr_spill_count: 0
    .wavefront_size: 32
  - .args:
      - .offset:         0
        .size:           176
        .value_kind:     by_value
    .group_segment_fixed_size: 0
    .kernarg_segment_align: 8
    .kernarg_segment_size: 176
    .language:       OpenCL C
    .language_version:
      - 2
      - 0
    .max_flat_workgroup_size: 256
    .name:           _ZN7rocprim17ROCPRIM_400000_NS6detail17trampoline_kernelINS0_13select_configILj256ELj13ELNS0_17block_load_methodE3ELS4_3ELS4_3ELNS0_20block_scan_algorithmE0ELj4294967295EEENS1_25partition_config_selectorILNS1_17partition_subalgoE4EjNS0_10empty_typeEbEEZZNS1_14partition_implILS8_4ELb0ES6_15HIP_vector_typeIjLj2EENS0_17counting_iteratorIjlEEPS9_SG_NS0_5tupleIJPjSI_NS0_16reverse_iteratorISI_EEEEENSH_IJSG_SG_SG_EEES9_SI_JZNS1_25segmented_radix_sort_implINS0_14default_configELb0EPKdPdPKlPlN2at6native12_GLOBAL__N_18offset_tEEE10hipError_tPvRmT1_PNSt15iterator_traitsIS12_E10value_typeET2_T3_PNS13_IS18_E10value_typeET4_jRbjT5_S1E_jjP12ihipStream_tbEUljE_ZNSN_ISO_Lb0ESQ_SR_ST_SU_SY_EESZ_S10_S11_S12_S16_S17_S18_S1B_S1C_jS1D_jS1E_S1E_jjS1G_bEUljE0_EEESZ_S10_S11_S18_S1C_S1E_T6_T7_T9_mT8_S1G_bDpT10_ENKUlT_T0_E_clISt17integral_constantIbLb1EES1T_IbLb0EEEEDaS1P_S1Q_EUlS1P_E_NS1_11comp_targetILNS1_3genE3ELNS1_11target_archE908ELNS1_3gpuE7ELNS1_3repE0EEENS1_30default_config_static_selectorELNS0_4arch9wavefront6targetE0EEEvS12_
    .private_segment_fixed_size: 0
    .sgpr_count:     0
    .sgpr_spill_count: 0
    .symbol:         _ZN7rocprim17ROCPRIM_400000_NS6detail17trampoline_kernelINS0_13select_configILj256ELj13ELNS0_17block_load_methodE3ELS4_3ELS4_3ELNS0_20block_scan_algorithmE0ELj4294967295EEENS1_25partition_config_selectorILNS1_17partition_subalgoE4EjNS0_10empty_typeEbEEZZNS1_14partition_implILS8_4ELb0ES6_15HIP_vector_typeIjLj2EENS0_17counting_iteratorIjlEEPS9_SG_NS0_5tupleIJPjSI_NS0_16reverse_iteratorISI_EEEEENSH_IJSG_SG_SG_EEES9_SI_JZNS1_25segmented_radix_sort_implINS0_14default_configELb0EPKdPdPKlPlN2at6native12_GLOBAL__N_18offset_tEEE10hipError_tPvRmT1_PNSt15iterator_traitsIS12_E10value_typeET2_T3_PNS13_IS18_E10value_typeET4_jRbjT5_S1E_jjP12ihipStream_tbEUljE_ZNSN_ISO_Lb0ESQ_SR_ST_SU_SY_EESZ_S10_S11_S12_S16_S17_S18_S1B_S1C_jS1D_jS1E_S1E_jjS1G_bEUljE0_EEESZ_S10_S11_S18_S1C_S1E_T6_T7_T9_mT8_S1G_bDpT10_ENKUlT_T0_E_clISt17integral_constantIbLb1EES1T_IbLb0EEEEDaS1P_S1Q_EUlS1P_E_NS1_11comp_targetILNS1_3genE3ELNS1_11target_archE908ELNS1_3gpuE7ELNS1_3repE0EEENS1_30default_config_static_selectorELNS0_4arch9wavefront6targetE0EEEvS12_.kd
    .uniform_work_group_size: 1
    .uses_dynamic_stack: false
    .vgpr_count:     0
    .vgpr_spill_count: 0
    .wavefront_size: 32
  - .args:
      - .offset:         0
        .size:           176
        .value_kind:     by_value
    .group_segment_fixed_size: 0
    .kernarg_segment_align: 8
    .kernarg_segment_size: 176
    .language:       OpenCL C
    .language_version:
      - 2
      - 0
    .max_flat_workgroup_size: 256
    .name:           _ZN7rocprim17ROCPRIM_400000_NS6detail17trampoline_kernelINS0_13select_configILj256ELj13ELNS0_17block_load_methodE3ELS4_3ELS4_3ELNS0_20block_scan_algorithmE0ELj4294967295EEENS1_25partition_config_selectorILNS1_17partition_subalgoE4EjNS0_10empty_typeEbEEZZNS1_14partition_implILS8_4ELb0ES6_15HIP_vector_typeIjLj2EENS0_17counting_iteratorIjlEEPS9_SG_NS0_5tupleIJPjSI_NS0_16reverse_iteratorISI_EEEEENSH_IJSG_SG_SG_EEES9_SI_JZNS1_25segmented_radix_sort_implINS0_14default_configELb0EPKdPdPKlPlN2at6native12_GLOBAL__N_18offset_tEEE10hipError_tPvRmT1_PNSt15iterator_traitsIS12_E10value_typeET2_T3_PNS13_IS18_E10value_typeET4_jRbjT5_S1E_jjP12ihipStream_tbEUljE_ZNSN_ISO_Lb0ESQ_SR_ST_SU_SY_EESZ_S10_S11_S12_S16_S17_S18_S1B_S1C_jS1D_jS1E_S1E_jjS1G_bEUljE0_EEESZ_S10_S11_S18_S1C_S1E_T6_T7_T9_mT8_S1G_bDpT10_ENKUlT_T0_E_clISt17integral_constantIbLb1EES1T_IbLb0EEEEDaS1P_S1Q_EUlS1P_E_NS1_11comp_targetILNS1_3genE2ELNS1_11target_archE906ELNS1_3gpuE6ELNS1_3repE0EEENS1_30default_config_static_selectorELNS0_4arch9wavefront6targetE0EEEvS12_
    .private_segment_fixed_size: 0
    .sgpr_count:     0
    .sgpr_spill_count: 0
    .symbol:         _ZN7rocprim17ROCPRIM_400000_NS6detail17trampoline_kernelINS0_13select_configILj256ELj13ELNS0_17block_load_methodE3ELS4_3ELS4_3ELNS0_20block_scan_algorithmE0ELj4294967295EEENS1_25partition_config_selectorILNS1_17partition_subalgoE4EjNS0_10empty_typeEbEEZZNS1_14partition_implILS8_4ELb0ES6_15HIP_vector_typeIjLj2EENS0_17counting_iteratorIjlEEPS9_SG_NS0_5tupleIJPjSI_NS0_16reverse_iteratorISI_EEEEENSH_IJSG_SG_SG_EEES9_SI_JZNS1_25segmented_radix_sort_implINS0_14default_configELb0EPKdPdPKlPlN2at6native12_GLOBAL__N_18offset_tEEE10hipError_tPvRmT1_PNSt15iterator_traitsIS12_E10value_typeET2_T3_PNS13_IS18_E10value_typeET4_jRbjT5_S1E_jjP12ihipStream_tbEUljE_ZNSN_ISO_Lb0ESQ_SR_ST_SU_SY_EESZ_S10_S11_S12_S16_S17_S18_S1B_S1C_jS1D_jS1E_S1E_jjS1G_bEUljE0_EEESZ_S10_S11_S18_S1C_S1E_T6_T7_T9_mT8_S1G_bDpT10_ENKUlT_T0_E_clISt17integral_constantIbLb1EES1T_IbLb0EEEEDaS1P_S1Q_EUlS1P_E_NS1_11comp_targetILNS1_3genE2ELNS1_11target_archE906ELNS1_3gpuE6ELNS1_3repE0EEENS1_30default_config_static_selectorELNS0_4arch9wavefront6targetE0EEEvS12_.kd
    .uniform_work_group_size: 1
    .uses_dynamic_stack: false
    .vgpr_count:     0
    .vgpr_spill_count: 0
    .wavefront_size: 32
  - .args:
      - .offset:         0
        .size:           176
        .value_kind:     by_value
    .group_segment_fixed_size: 0
    .kernarg_segment_align: 8
    .kernarg_segment_size: 176
    .language:       OpenCL C
    .language_version:
      - 2
      - 0
    .max_flat_workgroup_size: 256
    .name:           _ZN7rocprim17ROCPRIM_400000_NS6detail17trampoline_kernelINS0_13select_configILj256ELj13ELNS0_17block_load_methodE3ELS4_3ELS4_3ELNS0_20block_scan_algorithmE0ELj4294967295EEENS1_25partition_config_selectorILNS1_17partition_subalgoE4EjNS0_10empty_typeEbEEZZNS1_14partition_implILS8_4ELb0ES6_15HIP_vector_typeIjLj2EENS0_17counting_iteratorIjlEEPS9_SG_NS0_5tupleIJPjSI_NS0_16reverse_iteratorISI_EEEEENSH_IJSG_SG_SG_EEES9_SI_JZNS1_25segmented_radix_sort_implINS0_14default_configELb0EPKdPdPKlPlN2at6native12_GLOBAL__N_18offset_tEEE10hipError_tPvRmT1_PNSt15iterator_traitsIS12_E10value_typeET2_T3_PNS13_IS18_E10value_typeET4_jRbjT5_S1E_jjP12ihipStream_tbEUljE_ZNSN_ISO_Lb0ESQ_SR_ST_SU_SY_EESZ_S10_S11_S12_S16_S17_S18_S1B_S1C_jS1D_jS1E_S1E_jjS1G_bEUljE0_EEESZ_S10_S11_S18_S1C_S1E_T6_T7_T9_mT8_S1G_bDpT10_ENKUlT_T0_E_clISt17integral_constantIbLb1EES1T_IbLb0EEEEDaS1P_S1Q_EUlS1P_E_NS1_11comp_targetILNS1_3genE10ELNS1_11target_archE1200ELNS1_3gpuE4ELNS1_3repE0EEENS1_30default_config_static_selectorELNS0_4arch9wavefront6targetE0EEEvS12_
    .private_segment_fixed_size: 0
    .sgpr_count:     0
    .sgpr_spill_count: 0
    .symbol:         _ZN7rocprim17ROCPRIM_400000_NS6detail17trampoline_kernelINS0_13select_configILj256ELj13ELNS0_17block_load_methodE3ELS4_3ELS4_3ELNS0_20block_scan_algorithmE0ELj4294967295EEENS1_25partition_config_selectorILNS1_17partition_subalgoE4EjNS0_10empty_typeEbEEZZNS1_14partition_implILS8_4ELb0ES6_15HIP_vector_typeIjLj2EENS0_17counting_iteratorIjlEEPS9_SG_NS0_5tupleIJPjSI_NS0_16reverse_iteratorISI_EEEEENSH_IJSG_SG_SG_EEES9_SI_JZNS1_25segmented_radix_sort_implINS0_14default_configELb0EPKdPdPKlPlN2at6native12_GLOBAL__N_18offset_tEEE10hipError_tPvRmT1_PNSt15iterator_traitsIS12_E10value_typeET2_T3_PNS13_IS18_E10value_typeET4_jRbjT5_S1E_jjP12ihipStream_tbEUljE_ZNSN_ISO_Lb0ESQ_SR_ST_SU_SY_EESZ_S10_S11_S12_S16_S17_S18_S1B_S1C_jS1D_jS1E_S1E_jjS1G_bEUljE0_EEESZ_S10_S11_S18_S1C_S1E_T6_T7_T9_mT8_S1G_bDpT10_ENKUlT_T0_E_clISt17integral_constantIbLb1EES1T_IbLb0EEEEDaS1P_S1Q_EUlS1P_E_NS1_11comp_targetILNS1_3genE10ELNS1_11target_archE1200ELNS1_3gpuE4ELNS1_3repE0EEENS1_30default_config_static_selectorELNS0_4arch9wavefront6targetE0EEEvS12_.kd
    .uniform_work_group_size: 1
    .uses_dynamic_stack: false
    .vgpr_count:     0
    .vgpr_spill_count: 0
    .wavefront_size: 32
  - .args:
      - .offset:         0
        .size:           176
        .value_kind:     by_value
    .group_segment_fixed_size: 0
    .kernarg_segment_align: 8
    .kernarg_segment_size: 176
    .language:       OpenCL C
    .language_version:
      - 2
      - 0
    .max_flat_workgroup_size: 256
    .name:           _ZN7rocprim17ROCPRIM_400000_NS6detail17trampoline_kernelINS0_13select_configILj256ELj13ELNS0_17block_load_methodE3ELS4_3ELS4_3ELNS0_20block_scan_algorithmE0ELj4294967295EEENS1_25partition_config_selectorILNS1_17partition_subalgoE4EjNS0_10empty_typeEbEEZZNS1_14partition_implILS8_4ELb0ES6_15HIP_vector_typeIjLj2EENS0_17counting_iteratorIjlEEPS9_SG_NS0_5tupleIJPjSI_NS0_16reverse_iteratorISI_EEEEENSH_IJSG_SG_SG_EEES9_SI_JZNS1_25segmented_radix_sort_implINS0_14default_configELb0EPKdPdPKlPlN2at6native12_GLOBAL__N_18offset_tEEE10hipError_tPvRmT1_PNSt15iterator_traitsIS12_E10value_typeET2_T3_PNS13_IS18_E10value_typeET4_jRbjT5_S1E_jjP12ihipStream_tbEUljE_ZNSN_ISO_Lb0ESQ_SR_ST_SU_SY_EESZ_S10_S11_S12_S16_S17_S18_S1B_S1C_jS1D_jS1E_S1E_jjS1G_bEUljE0_EEESZ_S10_S11_S18_S1C_S1E_T6_T7_T9_mT8_S1G_bDpT10_ENKUlT_T0_E_clISt17integral_constantIbLb1EES1T_IbLb0EEEEDaS1P_S1Q_EUlS1P_E_NS1_11comp_targetILNS1_3genE9ELNS1_11target_archE1100ELNS1_3gpuE3ELNS1_3repE0EEENS1_30default_config_static_selectorELNS0_4arch9wavefront6targetE0EEEvS12_
    .private_segment_fixed_size: 0
    .sgpr_count:     0
    .sgpr_spill_count: 0
    .symbol:         _ZN7rocprim17ROCPRIM_400000_NS6detail17trampoline_kernelINS0_13select_configILj256ELj13ELNS0_17block_load_methodE3ELS4_3ELS4_3ELNS0_20block_scan_algorithmE0ELj4294967295EEENS1_25partition_config_selectorILNS1_17partition_subalgoE4EjNS0_10empty_typeEbEEZZNS1_14partition_implILS8_4ELb0ES6_15HIP_vector_typeIjLj2EENS0_17counting_iteratorIjlEEPS9_SG_NS0_5tupleIJPjSI_NS0_16reverse_iteratorISI_EEEEENSH_IJSG_SG_SG_EEES9_SI_JZNS1_25segmented_radix_sort_implINS0_14default_configELb0EPKdPdPKlPlN2at6native12_GLOBAL__N_18offset_tEEE10hipError_tPvRmT1_PNSt15iterator_traitsIS12_E10value_typeET2_T3_PNS13_IS18_E10value_typeET4_jRbjT5_S1E_jjP12ihipStream_tbEUljE_ZNSN_ISO_Lb0ESQ_SR_ST_SU_SY_EESZ_S10_S11_S12_S16_S17_S18_S1B_S1C_jS1D_jS1E_S1E_jjS1G_bEUljE0_EEESZ_S10_S11_S18_S1C_S1E_T6_T7_T9_mT8_S1G_bDpT10_ENKUlT_T0_E_clISt17integral_constantIbLb1EES1T_IbLb0EEEEDaS1P_S1Q_EUlS1P_E_NS1_11comp_targetILNS1_3genE9ELNS1_11target_archE1100ELNS1_3gpuE3ELNS1_3repE0EEENS1_30default_config_static_selectorELNS0_4arch9wavefront6targetE0EEEvS12_.kd
    .uniform_work_group_size: 1
    .uses_dynamic_stack: false
    .vgpr_count:     0
    .vgpr_spill_count: 0
    .wavefront_size: 32
  - .args:
      - .offset:         0
        .size:           176
        .value_kind:     by_value
    .group_segment_fixed_size: 0
    .kernarg_segment_align: 8
    .kernarg_segment_size: 176
    .language:       OpenCL C
    .language_version:
      - 2
      - 0
    .max_flat_workgroup_size: 256
    .name:           _ZN7rocprim17ROCPRIM_400000_NS6detail17trampoline_kernelINS0_13select_configILj256ELj13ELNS0_17block_load_methodE3ELS4_3ELS4_3ELNS0_20block_scan_algorithmE0ELj4294967295EEENS1_25partition_config_selectorILNS1_17partition_subalgoE4EjNS0_10empty_typeEbEEZZNS1_14partition_implILS8_4ELb0ES6_15HIP_vector_typeIjLj2EENS0_17counting_iteratorIjlEEPS9_SG_NS0_5tupleIJPjSI_NS0_16reverse_iteratorISI_EEEEENSH_IJSG_SG_SG_EEES9_SI_JZNS1_25segmented_radix_sort_implINS0_14default_configELb0EPKdPdPKlPlN2at6native12_GLOBAL__N_18offset_tEEE10hipError_tPvRmT1_PNSt15iterator_traitsIS12_E10value_typeET2_T3_PNS13_IS18_E10value_typeET4_jRbjT5_S1E_jjP12ihipStream_tbEUljE_ZNSN_ISO_Lb0ESQ_SR_ST_SU_SY_EESZ_S10_S11_S12_S16_S17_S18_S1B_S1C_jS1D_jS1E_S1E_jjS1G_bEUljE0_EEESZ_S10_S11_S18_S1C_S1E_T6_T7_T9_mT8_S1G_bDpT10_ENKUlT_T0_E_clISt17integral_constantIbLb1EES1T_IbLb0EEEEDaS1P_S1Q_EUlS1P_E_NS1_11comp_targetILNS1_3genE8ELNS1_11target_archE1030ELNS1_3gpuE2ELNS1_3repE0EEENS1_30default_config_static_selectorELNS0_4arch9wavefront6targetE0EEEvS12_
    .private_segment_fixed_size: 0
    .sgpr_count:     0
    .sgpr_spill_count: 0
    .symbol:         _ZN7rocprim17ROCPRIM_400000_NS6detail17trampoline_kernelINS0_13select_configILj256ELj13ELNS0_17block_load_methodE3ELS4_3ELS4_3ELNS0_20block_scan_algorithmE0ELj4294967295EEENS1_25partition_config_selectorILNS1_17partition_subalgoE4EjNS0_10empty_typeEbEEZZNS1_14partition_implILS8_4ELb0ES6_15HIP_vector_typeIjLj2EENS0_17counting_iteratorIjlEEPS9_SG_NS0_5tupleIJPjSI_NS0_16reverse_iteratorISI_EEEEENSH_IJSG_SG_SG_EEES9_SI_JZNS1_25segmented_radix_sort_implINS0_14default_configELb0EPKdPdPKlPlN2at6native12_GLOBAL__N_18offset_tEEE10hipError_tPvRmT1_PNSt15iterator_traitsIS12_E10value_typeET2_T3_PNS13_IS18_E10value_typeET4_jRbjT5_S1E_jjP12ihipStream_tbEUljE_ZNSN_ISO_Lb0ESQ_SR_ST_SU_SY_EESZ_S10_S11_S12_S16_S17_S18_S1B_S1C_jS1D_jS1E_S1E_jjS1G_bEUljE0_EEESZ_S10_S11_S18_S1C_S1E_T6_T7_T9_mT8_S1G_bDpT10_ENKUlT_T0_E_clISt17integral_constantIbLb1EES1T_IbLb0EEEEDaS1P_S1Q_EUlS1P_E_NS1_11comp_targetILNS1_3genE8ELNS1_11target_archE1030ELNS1_3gpuE2ELNS1_3repE0EEENS1_30default_config_static_selectorELNS0_4arch9wavefront6targetE0EEEvS12_.kd
    .uniform_work_group_size: 1
    .uses_dynamic_stack: false
    .vgpr_count:     0
    .vgpr_spill_count: 0
    .wavefront_size: 32
  - .args:
      - .offset:         0
        .size:           184
        .value_kind:     by_value
    .group_segment_fixed_size: 13328
    .kernarg_segment_align: 8
    .kernarg_segment_size: 184
    .language:       OpenCL C
    .language_version:
      - 2
      - 0
    .max_flat_workgroup_size: 256
    .name:           _ZN7rocprim17ROCPRIM_400000_NS6detail17trampoline_kernelINS0_13select_configILj256ELj13ELNS0_17block_load_methodE3ELS4_3ELS4_3ELNS0_20block_scan_algorithmE0ELj4294967295EEENS1_25partition_config_selectorILNS1_17partition_subalgoE4EjNS0_10empty_typeEbEEZZNS1_14partition_implILS8_4ELb0ES6_15HIP_vector_typeIjLj2EENS0_17counting_iteratorIjlEEPS9_SG_NS0_5tupleIJPjSI_NS0_16reverse_iteratorISI_EEEEENSH_IJSG_SG_SG_EEES9_SI_JZNS1_25segmented_radix_sort_implINS0_14default_configELb0EPKdPdPKlPlN2at6native12_GLOBAL__N_18offset_tEEE10hipError_tPvRmT1_PNSt15iterator_traitsIS12_E10value_typeET2_T3_PNS13_IS18_E10value_typeET4_jRbjT5_S1E_jjP12ihipStream_tbEUljE_ZNSN_ISO_Lb0ESQ_SR_ST_SU_SY_EESZ_S10_S11_S12_S16_S17_S18_S1B_S1C_jS1D_jS1E_S1E_jjS1G_bEUljE0_EEESZ_S10_S11_S18_S1C_S1E_T6_T7_T9_mT8_S1G_bDpT10_ENKUlT_T0_E_clISt17integral_constantIbLb0EES1T_IbLb1EEEEDaS1P_S1Q_EUlS1P_E_NS1_11comp_targetILNS1_3genE0ELNS1_11target_archE4294967295ELNS1_3gpuE0ELNS1_3repE0EEENS1_30default_config_static_selectorELNS0_4arch9wavefront6targetE0EEEvS12_
    .private_segment_fixed_size: 0
    .sgpr_count:     57
    .sgpr_spill_count: 0
    .symbol:         _ZN7rocprim17ROCPRIM_400000_NS6detail17trampoline_kernelINS0_13select_configILj256ELj13ELNS0_17block_load_methodE3ELS4_3ELS4_3ELNS0_20block_scan_algorithmE0ELj4294967295EEENS1_25partition_config_selectorILNS1_17partition_subalgoE4EjNS0_10empty_typeEbEEZZNS1_14partition_implILS8_4ELb0ES6_15HIP_vector_typeIjLj2EENS0_17counting_iteratorIjlEEPS9_SG_NS0_5tupleIJPjSI_NS0_16reverse_iteratorISI_EEEEENSH_IJSG_SG_SG_EEES9_SI_JZNS1_25segmented_radix_sort_implINS0_14default_configELb0EPKdPdPKlPlN2at6native12_GLOBAL__N_18offset_tEEE10hipError_tPvRmT1_PNSt15iterator_traitsIS12_E10value_typeET2_T3_PNS13_IS18_E10value_typeET4_jRbjT5_S1E_jjP12ihipStream_tbEUljE_ZNSN_ISO_Lb0ESQ_SR_ST_SU_SY_EESZ_S10_S11_S12_S16_S17_S18_S1B_S1C_jS1D_jS1E_S1E_jjS1G_bEUljE0_EEESZ_S10_S11_S18_S1C_S1E_T6_T7_T9_mT8_S1G_bDpT10_ENKUlT_T0_E_clISt17integral_constantIbLb0EES1T_IbLb1EEEEDaS1P_S1Q_EUlS1P_E_NS1_11comp_targetILNS1_3genE0ELNS1_11target_archE4294967295ELNS1_3gpuE0ELNS1_3repE0EEENS1_30default_config_static_selectorELNS0_4arch9wavefront6targetE0EEEvS12_.kd
    .uniform_work_group_size: 1
    .uses_dynamic_stack: false
    .vgpr_count:     86
    .vgpr_spill_count: 0
    .wavefront_size: 32
  - .args:
      - .offset:         0
        .size:           184
        .value_kind:     by_value
    .group_segment_fixed_size: 0
    .kernarg_segment_align: 8
    .kernarg_segment_size: 184
    .language:       OpenCL C
    .language_version:
      - 2
      - 0
    .max_flat_workgroup_size: 256
    .name:           _ZN7rocprim17ROCPRIM_400000_NS6detail17trampoline_kernelINS0_13select_configILj256ELj13ELNS0_17block_load_methodE3ELS4_3ELS4_3ELNS0_20block_scan_algorithmE0ELj4294967295EEENS1_25partition_config_selectorILNS1_17partition_subalgoE4EjNS0_10empty_typeEbEEZZNS1_14partition_implILS8_4ELb0ES6_15HIP_vector_typeIjLj2EENS0_17counting_iteratorIjlEEPS9_SG_NS0_5tupleIJPjSI_NS0_16reverse_iteratorISI_EEEEENSH_IJSG_SG_SG_EEES9_SI_JZNS1_25segmented_radix_sort_implINS0_14default_configELb0EPKdPdPKlPlN2at6native12_GLOBAL__N_18offset_tEEE10hipError_tPvRmT1_PNSt15iterator_traitsIS12_E10value_typeET2_T3_PNS13_IS18_E10value_typeET4_jRbjT5_S1E_jjP12ihipStream_tbEUljE_ZNSN_ISO_Lb0ESQ_SR_ST_SU_SY_EESZ_S10_S11_S12_S16_S17_S18_S1B_S1C_jS1D_jS1E_S1E_jjS1G_bEUljE0_EEESZ_S10_S11_S18_S1C_S1E_T6_T7_T9_mT8_S1G_bDpT10_ENKUlT_T0_E_clISt17integral_constantIbLb0EES1T_IbLb1EEEEDaS1P_S1Q_EUlS1P_E_NS1_11comp_targetILNS1_3genE5ELNS1_11target_archE942ELNS1_3gpuE9ELNS1_3repE0EEENS1_30default_config_static_selectorELNS0_4arch9wavefront6targetE0EEEvS12_
    .private_segment_fixed_size: 0
    .sgpr_count:     0
    .sgpr_spill_count: 0
    .symbol:         _ZN7rocprim17ROCPRIM_400000_NS6detail17trampoline_kernelINS0_13select_configILj256ELj13ELNS0_17block_load_methodE3ELS4_3ELS4_3ELNS0_20block_scan_algorithmE0ELj4294967295EEENS1_25partition_config_selectorILNS1_17partition_subalgoE4EjNS0_10empty_typeEbEEZZNS1_14partition_implILS8_4ELb0ES6_15HIP_vector_typeIjLj2EENS0_17counting_iteratorIjlEEPS9_SG_NS0_5tupleIJPjSI_NS0_16reverse_iteratorISI_EEEEENSH_IJSG_SG_SG_EEES9_SI_JZNS1_25segmented_radix_sort_implINS0_14default_configELb0EPKdPdPKlPlN2at6native12_GLOBAL__N_18offset_tEEE10hipError_tPvRmT1_PNSt15iterator_traitsIS12_E10value_typeET2_T3_PNS13_IS18_E10value_typeET4_jRbjT5_S1E_jjP12ihipStream_tbEUljE_ZNSN_ISO_Lb0ESQ_SR_ST_SU_SY_EESZ_S10_S11_S12_S16_S17_S18_S1B_S1C_jS1D_jS1E_S1E_jjS1G_bEUljE0_EEESZ_S10_S11_S18_S1C_S1E_T6_T7_T9_mT8_S1G_bDpT10_ENKUlT_T0_E_clISt17integral_constantIbLb0EES1T_IbLb1EEEEDaS1P_S1Q_EUlS1P_E_NS1_11comp_targetILNS1_3genE5ELNS1_11target_archE942ELNS1_3gpuE9ELNS1_3repE0EEENS1_30default_config_static_selectorELNS0_4arch9wavefront6targetE0EEEvS12_.kd
    .uniform_work_group_size: 1
    .uses_dynamic_stack: false
    .vgpr_count:     0
    .vgpr_spill_count: 0
    .wavefront_size: 32
  - .args:
      - .offset:         0
        .size:           184
        .value_kind:     by_value
    .group_segment_fixed_size: 0
    .kernarg_segment_align: 8
    .kernarg_segment_size: 184
    .language:       OpenCL C
    .language_version:
      - 2
      - 0
    .max_flat_workgroup_size: 256
    .name:           _ZN7rocprim17ROCPRIM_400000_NS6detail17trampoline_kernelINS0_13select_configILj256ELj13ELNS0_17block_load_methodE3ELS4_3ELS4_3ELNS0_20block_scan_algorithmE0ELj4294967295EEENS1_25partition_config_selectorILNS1_17partition_subalgoE4EjNS0_10empty_typeEbEEZZNS1_14partition_implILS8_4ELb0ES6_15HIP_vector_typeIjLj2EENS0_17counting_iteratorIjlEEPS9_SG_NS0_5tupleIJPjSI_NS0_16reverse_iteratorISI_EEEEENSH_IJSG_SG_SG_EEES9_SI_JZNS1_25segmented_radix_sort_implINS0_14default_configELb0EPKdPdPKlPlN2at6native12_GLOBAL__N_18offset_tEEE10hipError_tPvRmT1_PNSt15iterator_traitsIS12_E10value_typeET2_T3_PNS13_IS18_E10value_typeET4_jRbjT5_S1E_jjP12ihipStream_tbEUljE_ZNSN_ISO_Lb0ESQ_SR_ST_SU_SY_EESZ_S10_S11_S12_S16_S17_S18_S1B_S1C_jS1D_jS1E_S1E_jjS1G_bEUljE0_EEESZ_S10_S11_S18_S1C_S1E_T6_T7_T9_mT8_S1G_bDpT10_ENKUlT_T0_E_clISt17integral_constantIbLb0EES1T_IbLb1EEEEDaS1P_S1Q_EUlS1P_E_NS1_11comp_targetILNS1_3genE4ELNS1_11target_archE910ELNS1_3gpuE8ELNS1_3repE0EEENS1_30default_config_static_selectorELNS0_4arch9wavefront6targetE0EEEvS12_
    .private_segment_fixed_size: 0
    .sgpr_count:     0
    .sgpr_spill_count: 0
    .symbol:         _ZN7rocprim17ROCPRIM_400000_NS6detail17trampoline_kernelINS0_13select_configILj256ELj13ELNS0_17block_load_methodE3ELS4_3ELS4_3ELNS0_20block_scan_algorithmE0ELj4294967295EEENS1_25partition_config_selectorILNS1_17partition_subalgoE4EjNS0_10empty_typeEbEEZZNS1_14partition_implILS8_4ELb0ES6_15HIP_vector_typeIjLj2EENS0_17counting_iteratorIjlEEPS9_SG_NS0_5tupleIJPjSI_NS0_16reverse_iteratorISI_EEEEENSH_IJSG_SG_SG_EEES9_SI_JZNS1_25segmented_radix_sort_implINS0_14default_configELb0EPKdPdPKlPlN2at6native12_GLOBAL__N_18offset_tEEE10hipError_tPvRmT1_PNSt15iterator_traitsIS12_E10value_typeET2_T3_PNS13_IS18_E10value_typeET4_jRbjT5_S1E_jjP12ihipStream_tbEUljE_ZNSN_ISO_Lb0ESQ_SR_ST_SU_SY_EESZ_S10_S11_S12_S16_S17_S18_S1B_S1C_jS1D_jS1E_S1E_jjS1G_bEUljE0_EEESZ_S10_S11_S18_S1C_S1E_T6_T7_T9_mT8_S1G_bDpT10_ENKUlT_T0_E_clISt17integral_constantIbLb0EES1T_IbLb1EEEEDaS1P_S1Q_EUlS1P_E_NS1_11comp_targetILNS1_3genE4ELNS1_11target_archE910ELNS1_3gpuE8ELNS1_3repE0EEENS1_30default_config_static_selectorELNS0_4arch9wavefront6targetE0EEEvS12_.kd
    .uniform_work_group_size: 1
    .uses_dynamic_stack: false
    .vgpr_count:     0
    .vgpr_spill_count: 0
    .wavefront_size: 32
  - .args:
      - .offset:         0
        .size:           184
        .value_kind:     by_value
    .group_segment_fixed_size: 0
    .kernarg_segment_align: 8
    .kernarg_segment_size: 184
    .language:       OpenCL C
    .language_version:
      - 2
      - 0
    .max_flat_workgroup_size: 256
    .name:           _ZN7rocprim17ROCPRIM_400000_NS6detail17trampoline_kernelINS0_13select_configILj256ELj13ELNS0_17block_load_methodE3ELS4_3ELS4_3ELNS0_20block_scan_algorithmE0ELj4294967295EEENS1_25partition_config_selectorILNS1_17partition_subalgoE4EjNS0_10empty_typeEbEEZZNS1_14partition_implILS8_4ELb0ES6_15HIP_vector_typeIjLj2EENS0_17counting_iteratorIjlEEPS9_SG_NS0_5tupleIJPjSI_NS0_16reverse_iteratorISI_EEEEENSH_IJSG_SG_SG_EEES9_SI_JZNS1_25segmented_radix_sort_implINS0_14default_configELb0EPKdPdPKlPlN2at6native12_GLOBAL__N_18offset_tEEE10hipError_tPvRmT1_PNSt15iterator_traitsIS12_E10value_typeET2_T3_PNS13_IS18_E10value_typeET4_jRbjT5_S1E_jjP12ihipStream_tbEUljE_ZNSN_ISO_Lb0ESQ_SR_ST_SU_SY_EESZ_S10_S11_S12_S16_S17_S18_S1B_S1C_jS1D_jS1E_S1E_jjS1G_bEUljE0_EEESZ_S10_S11_S18_S1C_S1E_T6_T7_T9_mT8_S1G_bDpT10_ENKUlT_T0_E_clISt17integral_constantIbLb0EES1T_IbLb1EEEEDaS1P_S1Q_EUlS1P_E_NS1_11comp_targetILNS1_3genE3ELNS1_11target_archE908ELNS1_3gpuE7ELNS1_3repE0EEENS1_30default_config_static_selectorELNS0_4arch9wavefront6targetE0EEEvS12_
    .private_segment_fixed_size: 0
    .sgpr_count:     0
    .sgpr_spill_count: 0
    .symbol:         _ZN7rocprim17ROCPRIM_400000_NS6detail17trampoline_kernelINS0_13select_configILj256ELj13ELNS0_17block_load_methodE3ELS4_3ELS4_3ELNS0_20block_scan_algorithmE0ELj4294967295EEENS1_25partition_config_selectorILNS1_17partition_subalgoE4EjNS0_10empty_typeEbEEZZNS1_14partition_implILS8_4ELb0ES6_15HIP_vector_typeIjLj2EENS0_17counting_iteratorIjlEEPS9_SG_NS0_5tupleIJPjSI_NS0_16reverse_iteratorISI_EEEEENSH_IJSG_SG_SG_EEES9_SI_JZNS1_25segmented_radix_sort_implINS0_14default_configELb0EPKdPdPKlPlN2at6native12_GLOBAL__N_18offset_tEEE10hipError_tPvRmT1_PNSt15iterator_traitsIS12_E10value_typeET2_T3_PNS13_IS18_E10value_typeET4_jRbjT5_S1E_jjP12ihipStream_tbEUljE_ZNSN_ISO_Lb0ESQ_SR_ST_SU_SY_EESZ_S10_S11_S12_S16_S17_S18_S1B_S1C_jS1D_jS1E_S1E_jjS1G_bEUljE0_EEESZ_S10_S11_S18_S1C_S1E_T6_T7_T9_mT8_S1G_bDpT10_ENKUlT_T0_E_clISt17integral_constantIbLb0EES1T_IbLb1EEEEDaS1P_S1Q_EUlS1P_E_NS1_11comp_targetILNS1_3genE3ELNS1_11target_archE908ELNS1_3gpuE7ELNS1_3repE0EEENS1_30default_config_static_selectorELNS0_4arch9wavefront6targetE0EEEvS12_.kd
    .uniform_work_group_size: 1
    .uses_dynamic_stack: false
    .vgpr_count:     0
    .vgpr_spill_count: 0
    .wavefront_size: 32
  - .args:
      - .offset:         0
        .size:           184
        .value_kind:     by_value
    .group_segment_fixed_size: 0
    .kernarg_segment_align: 8
    .kernarg_segment_size: 184
    .language:       OpenCL C
    .language_version:
      - 2
      - 0
    .max_flat_workgroup_size: 256
    .name:           _ZN7rocprim17ROCPRIM_400000_NS6detail17trampoline_kernelINS0_13select_configILj256ELj13ELNS0_17block_load_methodE3ELS4_3ELS4_3ELNS0_20block_scan_algorithmE0ELj4294967295EEENS1_25partition_config_selectorILNS1_17partition_subalgoE4EjNS0_10empty_typeEbEEZZNS1_14partition_implILS8_4ELb0ES6_15HIP_vector_typeIjLj2EENS0_17counting_iteratorIjlEEPS9_SG_NS0_5tupleIJPjSI_NS0_16reverse_iteratorISI_EEEEENSH_IJSG_SG_SG_EEES9_SI_JZNS1_25segmented_radix_sort_implINS0_14default_configELb0EPKdPdPKlPlN2at6native12_GLOBAL__N_18offset_tEEE10hipError_tPvRmT1_PNSt15iterator_traitsIS12_E10value_typeET2_T3_PNS13_IS18_E10value_typeET4_jRbjT5_S1E_jjP12ihipStream_tbEUljE_ZNSN_ISO_Lb0ESQ_SR_ST_SU_SY_EESZ_S10_S11_S12_S16_S17_S18_S1B_S1C_jS1D_jS1E_S1E_jjS1G_bEUljE0_EEESZ_S10_S11_S18_S1C_S1E_T6_T7_T9_mT8_S1G_bDpT10_ENKUlT_T0_E_clISt17integral_constantIbLb0EES1T_IbLb1EEEEDaS1P_S1Q_EUlS1P_E_NS1_11comp_targetILNS1_3genE2ELNS1_11target_archE906ELNS1_3gpuE6ELNS1_3repE0EEENS1_30default_config_static_selectorELNS0_4arch9wavefront6targetE0EEEvS12_
    .private_segment_fixed_size: 0
    .sgpr_count:     0
    .sgpr_spill_count: 0
    .symbol:         _ZN7rocprim17ROCPRIM_400000_NS6detail17trampoline_kernelINS0_13select_configILj256ELj13ELNS0_17block_load_methodE3ELS4_3ELS4_3ELNS0_20block_scan_algorithmE0ELj4294967295EEENS1_25partition_config_selectorILNS1_17partition_subalgoE4EjNS0_10empty_typeEbEEZZNS1_14partition_implILS8_4ELb0ES6_15HIP_vector_typeIjLj2EENS0_17counting_iteratorIjlEEPS9_SG_NS0_5tupleIJPjSI_NS0_16reverse_iteratorISI_EEEEENSH_IJSG_SG_SG_EEES9_SI_JZNS1_25segmented_radix_sort_implINS0_14default_configELb0EPKdPdPKlPlN2at6native12_GLOBAL__N_18offset_tEEE10hipError_tPvRmT1_PNSt15iterator_traitsIS12_E10value_typeET2_T3_PNS13_IS18_E10value_typeET4_jRbjT5_S1E_jjP12ihipStream_tbEUljE_ZNSN_ISO_Lb0ESQ_SR_ST_SU_SY_EESZ_S10_S11_S12_S16_S17_S18_S1B_S1C_jS1D_jS1E_S1E_jjS1G_bEUljE0_EEESZ_S10_S11_S18_S1C_S1E_T6_T7_T9_mT8_S1G_bDpT10_ENKUlT_T0_E_clISt17integral_constantIbLb0EES1T_IbLb1EEEEDaS1P_S1Q_EUlS1P_E_NS1_11comp_targetILNS1_3genE2ELNS1_11target_archE906ELNS1_3gpuE6ELNS1_3repE0EEENS1_30default_config_static_selectorELNS0_4arch9wavefront6targetE0EEEvS12_.kd
    .uniform_work_group_size: 1
    .uses_dynamic_stack: false
    .vgpr_count:     0
    .vgpr_spill_count: 0
    .wavefront_size: 32
  - .args:
      - .offset:         0
        .size:           184
        .value_kind:     by_value
    .group_segment_fixed_size: 0
    .kernarg_segment_align: 8
    .kernarg_segment_size: 184
    .language:       OpenCL C
    .language_version:
      - 2
      - 0
    .max_flat_workgroup_size: 256
    .name:           _ZN7rocprim17ROCPRIM_400000_NS6detail17trampoline_kernelINS0_13select_configILj256ELj13ELNS0_17block_load_methodE3ELS4_3ELS4_3ELNS0_20block_scan_algorithmE0ELj4294967295EEENS1_25partition_config_selectorILNS1_17partition_subalgoE4EjNS0_10empty_typeEbEEZZNS1_14partition_implILS8_4ELb0ES6_15HIP_vector_typeIjLj2EENS0_17counting_iteratorIjlEEPS9_SG_NS0_5tupleIJPjSI_NS0_16reverse_iteratorISI_EEEEENSH_IJSG_SG_SG_EEES9_SI_JZNS1_25segmented_radix_sort_implINS0_14default_configELb0EPKdPdPKlPlN2at6native12_GLOBAL__N_18offset_tEEE10hipError_tPvRmT1_PNSt15iterator_traitsIS12_E10value_typeET2_T3_PNS13_IS18_E10value_typeET4_jRbjT5_S1E_jjP12ihipStream_tbEUljE_ZNSN_ISO_Lb0ESQ_SR_ST_SU_SY_EESZ_S10_S11_S12_S16_S17_S18_S1B_S1C_jS1D_jS1E_S1E_jjS1G_bEUljE0_EEESZ_S10_S11_S18_S1C_S1E_T6_T7_T9_mT8_S1G_bDpT10_ENKUlT_T0_E_clISt17integral_constantIbLb0EES1T_IbLb1EEEEDaS1P_S1Q_EUlS1P_E_NS1_11comp_targetILNS1_3genE10ELNS1_11target_archE1200ELNS1_3gpuE4ELNS1_3repE0EEENS1_30default_config_static_selectorELNS0_4arch9wavefront6targetE0EEEvS12_
    .private_segment_fixed_size: 0
    .sgpr_count:     0
    .sgpr_spill_count: 0
    .symbol:         _ZN7rocprim17ROCPRIM_400000_NS6detail17trampoline_kernelINS0_13select_configILj256ELj13ELNS0_17block_load_methodE3ELS4_3ELS4_3ELNS0_20block_scan_algorithmE0ELj4294967295EEENS1_25partition_config_selectorILNS1_17partition_subalgoE4EjNS0_10empty_typeEbEEZZNS1_14partition_implILS8_4ELb0ES6_15HIP_vector_typeIjLj2EENS0_17counting_iteratorIjlEEPS9_SG_NS0_5tupleIJPjSI_NS0_16reverse_iteratorISI_EEEEENSH_IJSG_SG_SG_EEES9_SI_JZNS1_25segmented_radix_sort_implINS0_14default_configELb0EPKdPdPKlPlN2at6native12_GLOBAL__N_18offset_tEEE10hipError_tPvRmT1_PNSt15iterator_traitsIS12_E10value_typeET2_T3_PNS13_IS18_E10value_typeET4_jRbjT5_S1E_jjP12ihipStream_tbEUljE_ZNSN_ISO_Lb0ESQ_SR_ST_SU_SY_EESZ_S10_S11_S12_S16_S17_S18_S1B_S1C_jS1D_jS1E_S1E_jjS1G_bEUljE0_EEESZ_S10_S11_S18_S1C_S1E_T6_T7_T9_mT8_S1G_bDpT10_ENKUlT_T0_E_clISt17integral_constantIbLb0EES1T_IbLb1EEEEDaS1P_S1Q_EUlS1P_E_NS1_11comp_targetILNS1_3genE10ELNS1_11target_archE1200ELNS1_3gpuE4ELNS1_3repE0EEENS1_30default_config_static_selectorELNS0_4arch9wavefront6targetE0EEEvS12_.kd
    .uniform_work_group_size: 1
    .uses_dynamic_stack: false
    .vgpr_count:     0
    .vgpr_spill_count: 0
    .wavefront_size: 32
  - .args:
      - .offset:         0
        .size:           184
        .value_kind:     by_value
    .group_segment_fixed_size: 0
    .kernarg_segment_align: 8
    .kernarg_segment_size: 184
    .language:       OpenCL C
    .language_version:
      - 2
      - 0
    .max_flat_workgroup_size: 256
    .name:           _ZN7rocprim17ROCPRIM_400000_NS6detail17trampoline_kernelINS0_13select_configILj256ELj13ELNS0_17block_load_methodE3ELS4_3ELS4_3ELNS0_20block_scan_algorithmE0ELj4294967295EEENS1_25partition_config_selectorILNS1_17partition_subalgoE4EjNS0_10empty_typeEbEEZZNS1_14partition_implILS8_4ELb0ES6_15HIP_vector_typeIjLj2EENS0_17counting_iteratorIjlEEPS9_SG_NS0_5tupleIJPjSI_NS0_16reverse_iteratorISI_EEEEENSH_IJSG_SG_SG_EEES9_SI_JZNS1_25segmented_radix_sort_implINS0_14default_configELb0EPKdPdPKlPlN2at6native12_GLOBAL__N_18offset_tEEE10hipError_tPvRmT1_PNSt15iterator_traitsIS12_E10value_typeET2_T3_PNS13_IS18_E10value_typeET4_jRbjT5_S1E_jjP12ihipStream_tbEUljE_ZNSN_ISO_Lb0ESQ_SR_ST_SU_SY_EESZ_S10_S11_S12_S16_S17_S18_S1B_S1C_jS1D_jS1E_S1E_jjS1G_bEUljE0_EEESZ_S10_S11_S18_S1C_S1E_T6_T7_T9_mT8_S1G_bDpT10_ENKUlT_T0_E_clISt17integral_constantIbLb0EES1T_IbLb1EEEEDaS1P_S1Q_EUlS1P_E_NS1_11comp_targetILNS1_3genE9ELNS1_11target_archE1100ELNS1_3gpuE3ELNS1_3repE0EEENS1_30default_config_static_selectorELNS0_4arch9wavefront6targetE0EEEvS12_
    .private_segment_fixed_size: 0
    .sgpr_count:     0
    .sgpr_spill_count: 0
    .symbol:         _ZN7rocprim17ROCPRIM_400000_NS6detail17trampoline_kernelINS0_13select_configILj256ELj13ELNS0_17block_load_methodE3ELS4_3ELS4_3ELNS0_20block_scan_algorithmE0ELj4294967295EEENS1_25partition_config_selectorILNS1_17partition_subalgoE4EjNS0_10empty_typeEbEEZZNS1_14partition_implILS8_4ELb0ES6_15HIP_vector_typeIjLj2EENS0_17counting_iteratorIjlEEPS9_SG_NS0_5tupleIJPjSI_NS0_16reverse_iteratorISI_EEEEENSH_IJSG_SG_SG_EEES9_SI_JZNS1_25segmented_radix_sort_implINS0_14default_configELb0EPKdPdPKlPlN2at6native12_GLOBAL__N_18offset_tEEE10hipError_tPvRmT1_PNSt15iterator_traitsIS12_E10value_typeET2_T3_PNS13_IS18_E10value_typeET4_jRbjT5_S1E_jjP12ihipStream_tbEUljE_ZNSN_ISO_Lb0ESQ_SR_ST_SU_SY_EESZ_S10_S11_S12_S16_S17_S18_S1B_S1C_jS1D_jS1E_S1E_jjS1G_bEUljE0_EEESZ_S10_S11_S18_S1C_S1E_T6_T7_T9_mT8_S1G_bDpT10_ENKUlT_T0_E_clISt17integral_constantIbLb0EES1T_IbLb1EEEEDaS1P_S1Q_EUlS1P_E_NS1_11comp_targetILNS1_3genE9ELNS1_11target_archE1100ELNS1_3gpuE3ELNS1_3repE0EEENS1_30default_config_static_selectorELNS0_4arch9wavefront6targetE0EEEvS12_.kd
    .uniform_work_group_size: 1
    .uses_dynamic_stack: false
    .vgpr_count:     0
    .vgpr_spill_count: 0
    .wavefront_size: 32
  - .args:
      - .offset:         0
        .size:           184
        .value_kind:     by_value
    .group_segment_fixed_size: 0
    .kernarg_segment_align: 8
    .kernarg_segment_size: 184
    .language:       OpenCL C
    .language_version:
      - 2
      - 0
    .max_flat_workgroup_size: 256
    .name:           _ZN7rocprim17ROCPRIM_400000_NS6detail17trampoline_kernelINS0_13select_configILj256ELj13ELNS0_17block_load_methodE3ELS4_3ELS4_3ELNS0_20block_scan_algorithmE0ELj4294967295EEENS1_25partition_config_selectorILNS1_17partition_subalgoE4EjNS0_10empty_typeEbEEZZNS1_14partition_implILS8_4ELb0ES6_15HIP_vector_typeIjLj2EENS0_17counting_iteratorIjlEEPS9_SG_NS0_5tupleIJPjSI_NS0_16reverse_iteratorISI_EEEEENSH_IJSG_SG_SG_EEES9_SI_JZNS1_25segmented_radix_sort_implINS0_14default_configELb0EPKdPdPKlPlN2at6native12_GLOBAL__N_18offset_tEEE10hipError_tPvRmT1_PNSt15iterator_traitsIS12_E10value_typeET2_T3_PNS13_IS18_E10value_typeET4_jRbjT5_S1E_jjP12ihipStream_tbEUljE_ZNSN_ISO_Lb0ESQ_SR_ST_SU_SY_EESZ_S10_S11_S12_S16_S17_S18_S1B_S1C_jS1D_jS1E_S1E_jjS1G_bEUljE0_EEESZ_S10_S11_S18_S1C_S1E_T6_T7_T9_mT8_S1G_bDpT10_ENKUlT_T0_E_clISt17integral_constantIbLb0EES1T_IbLb1EEEEDaS1P_S1Q_EUlS1P_E_NS1_11comp_targetILNS1_3genE8ELNS1_11target_archE1030ELNS1_3gpuE2ELNS1_3repE0EEENS1_30default_config_static_selectorELNS0_4arch9wavefront6targetE0EEEvS12_
    .private_segment_fixed_size: 0
    .sgpr_count:     0
    .sgpr_spill_count: 0
    .symbol:         _ZN7rocprim17ROCPRIM_400000_NS6detail17trampoline_kernelINS0_13select_configILj256ELj13ELNS0_17block_load_methodE3ELS4_3ELS4_3ELNS0_20block_scan_algorithmE0ELj4294967295EEENS1_25partition_config_selectorILNS1_17partition_subalgoE4EjNS0_10empty_typeEbEEZZNS1_14partition_implILS8_4ELb0ES6_15HIP_vector_typeIjLj2EENS0_17counting_iteratorIjlEEPS9_SG_NS0_5tupleIJPjSI_NS0_16reverse_iteratorISI_EEEEENSH_IJSG_SG_SG_EEES9_SI_JZNS1_25segmented_radix_sort_implINS0_14default_configELb0EPKdPdPKlPlN2at6native12_GLOBAL__N_18offset_tEEE10hipError_tPvRmT1_PNSt15iterator_traitsIS12_E10value_typeET2_T3_PNS13_IS18_E10value_typeET4_jRbjT5_S1E_jjP12ihipStream_tbEUljE_ZNSN_ISO_Lb0ESQ_SR_ST_SU_SY_EESZ_S10_S11_S12_S16_S17_S18_S1B_S1C_jS1D_jS1E_S1E_jjS1G_bEUljE0_EEESZ_S10_S11_S18_S1C_S1E_T6_T7_T9_mT8_S1G_bDpT10_ENKUlT_T0_E_clISt17integral_constantIbLb0EES1T_IbLb1EEEEDaS1P_S1Q_EUlS1P_E_NS1_11comp_targetILNS1_3genE8ELNS1_11target_archE1030ELNS1_3gpuE2ELNS1_3repE0EEENS1_30default_config_static_selectorELNS0_4arch9wavefront6targetE0EEEvS12_.kd
    .uniform_work_group_size: 1
    .uses_dynamic_stack: false
    .vgpr_count:     0
    .vgpr_spill_count: 0
    .wavefront_size: 32
  - .args:
      - .offset:         0
        .size:           144
        .value_kind:     by_value
    .group_segment_fixed_size: 13320
    .kernarg_segment_align: 8
    .kernarg_segment_size: 144
    .language:       OpenCL C
    .language_version:
      - 2
      - 0
    .max_flat_workgroup_size: 256
    .name:           _ZN7rocprim17ROCPRIM_400000_NS6detail17trampoline_kernelINS0_13select_configILj256ELj13ELNS0_17block_load_methodE3ELS4_3ELS4_3ELNS0_20block_scan_algorithmE0ELj4294967295EEENS1_25partition_config_selectorILNS1_17partition_subalgoE3EjNS0_10empty_typeEbEEZZNS1_14partition_implILS8_3ELb0ES6_jNS0_17counting_iteratorIjlEEPS9_SE_NS0_5tupleIJPjSE_EEENSF_IJSE_SE_EEES9_SG_JZNS1_25segmented_radix_sort_implINS0_14default_configELb0EPKdPdPKlPlN2at6native12_GLOBAL__N_18offset_tEEE10hipError_tPvRmT1_PNSt15iterator_traitsISY_E10value_typeET2_T3_PNSZ_IS14_E10value_typeET4_jRbjT5_S1A_jjP12ihipStream_tbEUljE_EEESV_SW_SX_S14_S18_S1A_T6_T7_T9_mT8_S1C_bDpT10_ENKUlT_T0_E_clISt17integral_constantIbLb0EES1P_EEDaS1K_S1L_EUlS1K_E_NS1_11comp_targetILNS1_3genE0ELNS1_11target_archE4294967295ELNS1_3gpuE0ELNS1_3repE0EEENS1_30default_config_static_selectorELNS0_4arch9wavefront6targetE0EEEvSY_
    .private_segment_fixed_size: 0
    .sgpr_count:     28
    .sgpr_spill_count: 0
    .symbol:         _ZN7rocprim17ROCPRIM_400000_NS6detail17trampoline_kernelINS0_13select_configILj256ELj13ELNS0_17block_load_methodE3ELS4_3ELS4_3ELNS0_20block_scan_algorithmE0ELj4294967295EEENS1_25partition_config_selectorILNS1_17partition_subalgoE3EjNS0_10empty_typeEbEEZZNS1_14partition_implILS8_3ELb0ES6_jNS0_17counting_iteratorIjlEEPS9_SE_NS0_5tupleIJPjSE_EEENSF_IJSE_SE_EEES9_SG_JZNS1_25segmented_radix_sort_implINS0_14default_configELb0EPKdPdPKlPlN2at6native12_GLOBAL__N_18offset_tEEE10hipError_tPvRmT1_PNSt15iterator_traitsISY_E10value_typeET2_T3_PNSZ_IS14_E10value_typeET4_jRbjT5_S1A_jjP12ihipStream_tbEUljE_EEESV_SW_SX_S14_S18_S1A_T6_T7_T9_mT8_S1C_bDpT10_ENKUlT_T0_E_clISt17integral_constantIbLb0EES1P_EEDaS1K_S1L_EUlS1K_E_NS1_11comp_targetILNS1_3genE0ELNS1_11target_archE4294967295ELNS1_3gpuE0ELNS1_3repE0EEENS1_30default_config_static_selectorELNS0_4arch9wavefront6targetE0EEEvSY_.kd
    .uniform_work_group_size: 1
    .uses_dynamic_stack: false
    .vgpr_count:     69
    .vgpr_spill_count: 0
    .wavefront_size: 32
  - .args:
      - .offset:         0
        .size:           144
        .value_kind:     by_value
    .group_segment_fixed_size: 0
    .kernarg_segment_align: 8
    .kernarg_segment_size: 144
    .language:       OpenCL C
    .language_version:
      - 2
      - 0
    .max_flat_workgroup_size: 256
    .name:           _ZN7rocprim17ROCPRIM_400000_NS6detail17trampoline_kernelINS0_13select_configILj256ELj13ELNS0_17block_load_methodE3ELS4_3ELS4_3ELNS0_20block_scan_algorithmE0ELj4294967295EEENS1_25partition_config_selectorILNS1_17partition_subalgoE3EjNS0_10empty_typeEbEEZZNS1_14partition_implILS8_3ELb0ES6_jNS0_17counting_iteratorIjlEEPS9_SE_NS0_5tupleIJPjSE_EEENSF_IJSE_SE_EEES9_SG_JZNS1_25segmented_radix_sort_implINS0_14default_configELb0EPKdPdPKlPlN2at6native12_GLOBAL__N_18offset_tEEE10hipError_tPvRmT1_PNSt15iterator_traitsISY_E10value_typeET2_T3_PNSZ_IS14_E10value_typeET4_jRbjT5_S1A_jjP12ihipStream_tbEUljE_EEESV_SW_SX_S14_S18_S1A_T6_T7_T9_mT8_S1C_bDpT10_ENKUlT_T0_E_clISt17integral_constantIbLb0EES1P_EEDaS1K_S1L_EUlS1K_E_NS1_11comp_targetILNS1_3genE5ELNS1_11target_archE942ELNS1_3gpuE9ELNS1_3repE0EEENS1_30default_config_static_selectorELNS0_4arch9wavefront6targetE0EEEvSY_
    .private_segment_fixed_size: 0
    .sgpr_count:     0
    .sgpr_spill_count: 0
    .symbol:         _ZN7rocprim17ROCPRIM_400000_NS6detail17trampoline_kernelINS0_13select_configILj256ELj13ELNS0_17block_load_methodE3ELS4_3ELS4_3ELNS0_20block_scan_algorithmE0ELj4294967295EEENS1_25partition_config_selectorILNS1_17partition_subalgoE3EjNS0_10empty_typeEbEEZZNS1_14partition_implILS8_3ELb0ES6_jNS0_17counting_iteratorIjlEEPS9_SE_NS0_5tupleIJPjSE_EEENSF_IJSE_SE_EEES9_SG_JZNS1_25segmented_radix_sort_implINS0_14default_configELb0EPKdPdPKlPlN2at6native12_GLOBAL__N_18offset_tEEE10hipError_tPvRmT1_PNSt15iterator_traitsISY_E10value_typeET2_T3_PNSZ_IS14_E10value_typeET4_jRbjT5_S1A_jjP12ihipStream_tbEUljE_EEESV_SW_SX_S14_S18_S1A_T6_T7_T9_mT8_S1C_bDpT10_ENKUlT_T0_E_clISt17integral_constantIbLb0EES1P_EEDaS1K_S1L_EUlS1K_E_NS1_11comp_targetILNS1_3genE5ELNS1_11target_archE942ELNS1_3gpuE9ELNS1_3repE0EEENS1_30default_config_static_selectorELNS0_4arch9wavefront6targetE0EEEvSY_.kd
    .uniform_work_group_size: 1
    .uses_dynamic_stack: false
    .vgpr_count:     0
    .vgpr_spill_count: 0
    .wavefront_size: 32
  - .args:
      - .offset:         0
        .size:           144
        .value_kind:     by_value
    .group_segment_fixed_size: 0
    .kernarg_segment_align: 8
    .kernarg_segment_size: 144
    .language:       OpenCL C
    .language_version:
      - 2
      - 0
    .max_flat_workgroup_size: 256
    .name:           _ZN7rocprim17ROCPRIM_400000_NS6detail17trampoline_kernelINS0_13select_configILj256ELj13ELNS0_17block_load_methodE3ELS4_3ELS4_3ELNS0_20block_scan_algorithmE0ELj4294967295EEENS1_25partition_config_selectorILNS1_17partition_subalgoE3EjNS0_10empty_typeEbEEZZNS1_14partition_implILS8_3ELb0ES6_jNS0_17counting_iteratorIjlEEPS9_SE_NS0_5tupleIJPjSE_EEENSF_IJSE_SE_EEES9_SG_JZNS1_25segmented_radix_sort_implINS0_14default_configELb0EPKdPdPKlPlN2at6native12_GLOBAL__N_18offset_tEEE10hipError_tPvRmT1_PNSt15iterator_traitsISY_E10value_typeET2_T3_PNSZ_IS14_E10value_typeET4_jRbjT5_S1A_jjP12ihipStream_tbEUljE_EEESV_SW_SX_S14_S18_S1A_T6_T7_T9_mT8_S1C_bDpT10_ENKUlT_T0_E_clISt17integral_constantIbLb0EES1P_EEDaS1K_S1L_EUlS1K_E_NS1_11comp_targetILNS1_3genE4ELNS1_11target_archE910ELNS1_3gpuE8ELNS1_3repE0EEENS1_30default_config_static_selectorELNS0_4arch9wavefront6targetE0EEEvSY_
    .private_segment_fixed_size: 0
    .sgpr_count:     0
    .sgpr_spill_count: 0
    .symbol:         _ZN7rocprim17ROCPRIM_400000_NS6detail17trampoline_kernelINS0_13select_configILj256ELj13ELNS0_17block_load_methodE3ELS4_3ELS4_3ELNS0_20block_scan_algorithmE0ELj4294967295EEENS1_25partition_config_selectorILNS1_17partition_subalgoE3EjNS0_10empty_typeEbEEZZNS1_14partition_implILS8_3ELb0ES6_jNS0_17counting_iteratorIjlEEPS9_SE_NS0_5tupleIJPjSE_EEENSF_IJSE_SE_EEES9_SG_JZNS1_25segmented_radix_sort_implINS0_14default_configELb0EPKdPdPKlPlN2at6native12_GLOBAL__N_18offset_tEEE10hipError_tPvRmT1_PNSt15iterator_traitsISY_E10value_typeET2_T3_PNSZ_IS14_E10value_typeET4_jRbjT5_S1A_jjP12ihipStream_tbEUljE_EEESV_SW_SX_S14_S18_S1A_T6_T7_T9_mT8_S1C_bDpT10_ENKUlT_T0_E_clISt17integral_constantIbLb0EES1P_EEDaS1K_S1L_EUlS1K_E_NS1_11comp_targetILNS1_3genE4ELNS1_11target_archE910ELNS1_3gpuE8ELNS1_3repE0EEENS1_30default_config_static_selectorELNS0_4arch9wavefront6targetE0EEEvSY_.kd
    .uniform_work_group_size: 1
    .uses_dynamic_stack: false
    .vgpr_count:     0
    .vgpr_spill_count: 0
    .wavefront_size: 32
  - .args:
      - .offset:         0
        .size:           144
        .value_kind:     by_value
    .group_segment_fixed_size: 0
    .kernarg_segment_align: 8
    .kernarg_segment_size: 144
    .language:       OpenCL C
    .language_version:
      - 2
      - 0
    .max_flat_workgroup_size: 256
    .name:           _ZN7rocprim17ROCPRIM_400000_NS6detail17trampoline_kernelINS0_13select_configILj256ELj13ELNS0_17block_load_methodE3ELS4_3ELS4_3ELNS0_20block_scan_algorithmE0ELj4294967295EEENS1_25partition_config_selectorILNS1_17partition_subalgoE3EjNS0_10empty_typeEbEEZZNS1_14partition_implILS8_3ELb0ES6_jNS0_17counting_iteratorIjlEEPS9_SE_NS0_5tupleIJPjSE_EEENSF_IJSE_SE_EEES9_SG_JZNS1_25segmented_radix_sort_implINS0_14default_configELb0EPKdPdPKlPlN2at6native12_GLOBAL__N_18offset_tEEE10hipError_tPvRmT1_PNSt15iterator_traitsISY_E10value_typeET2_T3_PNSZ_IS14_E10value_typeET4_jRbjT5_S1A_jjP12ihipStream_tbEUljE_EEESV_SW_SX_S14_S18_S1A_T6_T7_T9_mT8_S1C_bDpT10_ENKUlT_T0_E_clISt17integral_constantIbLb0EES1P_EEDaS1K_S1L_EUlS1K_E_NS1_11comp_targetILNS1_3genE3ELNS1_11target_archE908ELNS1_3gpuE7ELNS1_3repE0EEENS1_30default_config_static_selectorELNS0_4arch9wavefront6targetE0EEEvSY_
    .private_segment_fixed_size: 0
    .sgpr_count:     0
    .sgpr_spill_count: 0
    .symbol:         _ZN7rocprim17ROCPRIM_400000_NS6detail17trampoline_kernelINS0_13select_configILj256ELj13ELNS0_17block_load_methodE3ELS4_3ELS4_3ELNS0_20block_scan_algorithmE0ELj4294967295EEENS1_25partition_config_selectorILNS1_17partition_subalgoE3EjNS0_10empty_typeEbEEZZNS1_14partition_implILS8_3ELb0ES6_jNS0_17counting_iteratorIjlEEPS9_SE_NS0_5tupleIJPjSE_EEENSF_IJSE_SE_EEES9_SG_JZNS1_25segmented_radix_sort_implINS0_14default_configELb0EPKdPdPKlPlN2at6native12_GLOBAL__N_18offset_tEEE10hipError_tPvRmT1_PNSt15iterator_traitsISY_E10value_typeET2_T3_PNSZ_IS14_E10value_typeET4_jRbjT5_S1A_jjP12ihipStream_tbEUljE_EEESV_SW_SX_S14_S18_S1A_T6_T7_T9_mT8_S1C_bDpT10_ENKUlT_T0_E_clISt17integral_constantIbLb0EES1P_EEDaS1K_S1L_EUlS1K_E_NS1_11comp_targetILNS1_3genE3ELNS1_11target_archE908ELNS1_3gpuE7ELNS1_3repE0EEENS1_30default_config_static_selectorELNS0_4arch9wavefront6targetE0EEEvSY_.kd
    .uniform_work_group_size: 1
    .uses_dynamic_stack: false
    .vgpr_count:     0
    .vgpr_spill_count: 0
    .wavefront_size: 32
  - .args:
      - .offset:         0
        .size:           144
        .value_kind:     by_value
    .group_segment_fixed_size: 0
    .kernarg_segment_align: 8
    .kernarg_segment_size: 144
    .language:       OpenCL C
    .language_version:
      - 2
      - 0
    .max_flat_workgroup_size: 256
    .name:           _ZN7rocprim17ROCPRIM_400000_NS6detail17trampoline_kernelINS0_13select_configILj256ELj13ELNS0_17block_load_methodE3ELS4_3ELS4_3ELNS0_20block_scan_algorithmE0ELj4294967295EEENS1_25partition_config_selectorILNS1_17partition_subalgoE3EjNS0_10empty_typeEbEEZZNS1_14partition_implILS8_3ELb0ES6_jNS0_17counting_iteratorIjlEEPS9_SE_NS0_5tupleIJPjSE_EEENSF_IJSE_SE_EEES9_SG_JZNS1_25segmented_radix_sort_implINS0_14default_configELb0EPKdPdPKlPlN2at6native12_GLOBAL__N_18offset_tEEE10hipError_tPvRmT1_PNSt15iterator_traitsISY_E10value_typeET2_T3_PNSZ_IS14_E10value_typeET4_jRbjT5_S1A_jjP12ihipStream_tbEUljE_EEESV_SW_SX_S14_S18_S1A_T6_T7_T9_mT8_S1C_bDpT10_ENKUlT_T0_E_clISt17integral_constantIbLb0EES1P_EEDaS1K_S1L_EUlS1K_E_NS1_11comp_targetILNS1_3genE2ELNS1_11target_archE906ELNS1_3gpuE6ELNS1_3repE0EEENS1_30default_config_static_selectorELNS0_4arch9wavefront6targetE0EEEvSY_
    .private_segment_fixed_size: 0
    .sgpr_count:     0
    .sgpr_spill_count: 0
    .symbol:         _ZN7rocprim17ROCPRIM_400000_NS6detail17trampoline_kernelINS0_13select_configILj256ELj13ELNS0_17block_load_methodE3ELS4_3ELS4_3ELNS0_20block_scan_algorithmE0ELj4294967295EEENS1_25partition_config_selectorILNS1_17partition_subalgoE3EjNS0_10empty_typeEbEEZZNS1_14partition_implILS8_3ELb0ES6_jNS0_17counting_iteratorIjlEEPS9_SE_NS0_5tupleIJPjSE_EEENSF_IJSE_SE_EEES9_SG_JZNS1_25segmented_radix_sort_implINS0_14default_configELb0EPKdPdPKlPlN2at6native12_GLOBAL__N_18offset_tEEE10hipError_tPvRmT1_PNSt15iterator_traitsISY_E10value_typeET2_T3_PNSZ_IS14_E10value_typeET4_jRbjT5_S1A_jjP12ihipStream_tbEUljE_EEESV_SW_SX_S14_S18_S1A_T6_T7_T9_mT8_S1C_bDpT10_ENKUlT_T0_E_clISt17integral_constantIbLb0EES1P_EEDaS1K_S1L_EUlS1K_E_NS1_11comp_targetILNS1_3genE2ELNS1_11target_archE906ELNS1_3gpuE6ELNS1_3repE0EEENS1_30default_config_static_selectorELNS0_4arch9wavefront6targetE0EEEvSY_.kd
    .uniform_work_group_size: 1
    .uses_dynamic_stack: false
    .vgpr_count:     0
    .vgpr_spill_count: 0
    .wavefront_size: 32
  - .args:
      - .offset:         0
        .size:           144
        .value_kind:     by_value
    .group_segment_fixed_size: 0
    .kernarg_segment_align: 8
    .kernarg_segment_size: 144
    .language:       OpenCL C
    .language_version:
      - 2
      - 0
    .max_flat_workgroup_size: 256
    .name:           _ZN7rocprim17ROCPRIM_400000_NS6detail17trampoline_kernelINS0_13select_configILj256ELj13ELNS0_17block_load_methodE3ELS4_3ELS4_3ELNS0_20block_scan_algorithmE0ELj4294967295EEENS1_25partition_config_selectorILNS1_17partition_subalgoE3EjNS0_10empty_typeEbEEZZNS1_14partition_implILS8_3ELb0ES6_jNS0_17counting_iteratorIjlEEPS9_SE_NS0_5tupleIJPjSE_EEENSF_IJSE_SE_EEES9_SG_JZNS1_25segmented_radix_sort_implINS0_14default_configELb0EPKdPdPKlPlN2at6native12_GLOBAL__N_18offset_tEEE10hipError_tPvRmT1_PNSt15iterator_traitsISY_E10value_typeET2_T3_PNSZ_IS14_E10value_typeET4_jRbjT5_S1A_jjP12ihipStream_tbEUljE_EEESV_SW_SX_S14_S18_S1A_T6_T7_T9_mT8_S1C_bDpT10_ENKUlT_T0_E_clISt17integral_constantIbLb0EES1P_EEDaS1K_S1L_EUlS1K_E_NS1_11comp_targetILNS1_3genE10ELNS1_11target_archE1200ELNS1_3gpuE4ELNS1_3repE0EEENS1_30default_config_static_selectorELNS0_4arch9wavefront6targetE0EEEvSY_
    .private_segment_fixed_size: 0
    .sgpr_count:     0
    .sgpr_spill_count: 0
    .symbol:         _ZN7rocprim17ROCPRIM_400000_NS6detail17trampoline_kernelINS0_13select_configILj256ELj13ELNS0_17block_load_methodE3ELS4_3ELS4_3ELNS0_20block_scan_algorithmE0ELj4294967295EEENS1_25partition_config_selectorILNS1_17partition_subalgoE3EjNS0_10empty_typeEbEEZZNS1_14partition_implILS8_3ELb0ES6_jNS0_17counting_iteratorIjlEEPS9_SE_NS0_5tupleIJPjSE_EEENSF_IJSE_SE_EEES9_SG_JZNS1_25segmented_radix_sort_implINS0_14default_configELb0EPKdPdPKlPlN2at6native12_GLOBAL__N_18offset_tEEE10hipError_tPvRmT1_PNSt15iterator_traitsISY_E10value_typeET2_T3_PNSZ_IS14_E10value_typeET4_jRbjT5_S1A_jjP12ihipStream_tbEUljE_EEESV_SW_SX_S14_S18_S1A_T6_T7_T9_mT8_S1C_bDpT10_ENKUlT_T0_E_clISt17integral_constantIbLb0EES1P_EEDaS1K_S1L_EUlS1K_E_NS1_11comp_targetILNS1_3genE10ELNS1_11target_archE1200ELNS1_3gpuE4ELNS1_3repE0EEENS1_30default_config_static_selectorELNS0_4arch9wavefront6targetE0EEEvSY_.kd
    .uniform_work_group_size: 1
    .uses_dynamic_stack: false
    .vgpr_count:     0
    .vgpr_spill_count: 0
    .wavefront_size: 32
  - .args:
      - .offset:         0
        .size:           144
        .value_kind:     by_value
    .group_segment_fixed_size: 0
    .kernarg_segment_align: 8
    .kernarg_segment_size: 144
    .language:       OpenCL C
    .language_version:
      - 2
      - 0
    .max_flat_workgroup_size: 256
    .name:           _ZN7rocprim17ROCPRIM_400000_NS6detail17trampoline_kernelINS0_13select_configILj256ELj13ELNS0_17block_load_methodE3ELS4_3ELS4_3ELNS0_20block_scan_algorithmE0ELj4294967295EEENS1_25partition_config_selectorILNS1_17partition_subalgoE3EjNS0_10empty_typeEbEEZZNS1_14partition_implILS8_3ELb0ES6_jNS0_17counting_iteratorIjlEEPS9_SE_NS0_5tupleIJPjSE_EEENSF_IJSE_SE_EEES9_SG_JZNS1_25segmented_radix_sort_implINS0_14default_configELb0EPKdPdPKlPlN2at6native12_GLOBAL__N_18offset_tEEE10hipError_tPvRmT1_PNSt15iterator_traitsISY_E10value_typeET2_T3_PNSZ_IS14_E10value_typeET4_jRbjT5_S1A_jjP12ihipStream_tbEUljE_EEESV_SW_SX_S14_S18_S1A_T6_T7_T9_mT8_S1C_bDpT10_ENKUlT_T0_E_clISt17integral_constantIbLb0EES1P_EEDaS1K_S1L_EUlS1K_E_NS1_11comp_targetILNS1_3genE9ELNS1_11target_archE1100ELNS1_3gpuE3ELNS1_3repE0EEENS1_30default_config_static_selectorELNS0_4arch9wavefront6targetE0EEEvSY_
    .private_segment_fixed_size: 0
    .sgpr_count:     0
    .sgpr_spill_count: 0
    .symbol:         _ZN7rocprim17ROCPRIM_400000_NS6detail17trampoline_kernelINS0_13select_configILj256ELj13ELNS0_17block_load_methodE3ELS4_3ELS4_3ELNS0_20block_scan_algorithmE0ELj4294967295EEENS1_25partition_config_selectorILNS1_17partition_subalgoE3EjNS0_10empty_typeEbEEZZNS1_14partition_implILS8_3ELb0ES6_jNS0_17counting_iteratorIjlEEPS9_SE_NS0_5tupleIJPjSE_EEENSF_IJSE_SE_EEES9_SG_JZNS1_25segmented_radix_sort_implINS0_14default_configELb0EPKdPdPKlPlN2at6native12_GLOBAL__N_18offset_tEEE10hipError_tPvRmT1_PNSt15iterator_traitsISY_E10value_typeET2_T3_PNSZ_IS14_E10value_typeET4_jRbjT5_S1A_jjP12ihipStream_tbEUljE_EEESV_SW_SX_S14_S18_S1A_T6_T7_T9_mT8_S1C_bDpT10_ENKUlT_T0_E_clISt17integral_constantIbLb0EES1P_EEDaS1K_S1L_EUlS1K_E_NS1_11comp_targetILNS1_3genE9ELNS1_11target_archE1100ELNS1_3gpuE3ELNS1_3repE0EEENS1_30default_config_static_selectorELNS0_4arch9wavefront6targetE0EEEvSY_.kd
    .uniform_work_group_size: 1
    .uses_dynamic_stack: false
    .vgpr_count:     0
    .vgpr_spill_count: 0
    .wavefront_size: 32
  - .args:
      - .offset:         0
        .size:           144
        .value_kind:     by_value
    .group_segment_fixed_size: 0
    .kernarg_segment_align: 8
    .kernarg_segment_size: 144
    .language:       OpenCL C
    .language_version:
      - 2
      - 0
    .max_flat_workgroup_size: 256
    .name:           _ZN7rocprim17ROCPRIM_400000_NS6detail17trampoline_kernelINS0_13select_configILj256ELj13ELNS0_17block_load_methodE3ELS4_3ELS4_3ELNS0_20block_scan_algorithmE0ELj4294967295EEENS1_25partition_config_selectorILNS1_17partition_subalgoE3EjNS0_10empty_typeEbEEZZNS1_14partition_implILS8_3ELb0ES6_jNS0_17counting_iteratorIjlEEPS9_SE_NS0_5tupleIJPjSE_EEENSF_IJSE_SE_EEES9_SG_JZNS1_25segmented_radix_sort_implINS0_14default_configELb0EPKdPdPKlPlN2at6native12_GLOBAL__N_18offset_tEEE10hipError_tPvRmT1_PNSt15iterator_traitsISY_E10value_typeET2_T3_PNSZ_IS14_E10value_typeET4_jRbjT5_S1A_jjP12ihipStream_tbEUljE_EEESV_SW_SX_S14_S18_S1A_T6_T7_T9_mT8_S1C_bDpT10_ENKUlT_T0_E_clISt17integral_constantIbLb0EES1P_EEDaS1K_S1L_EUlS1K_E_NS1_11comp_targetILNS1_3genE8ELNS1_11target_archE1030ELNS1_3gpuE2ELNS1_3repE0EEENS1_30default_config_static_selectorELNS0_4arch9wavefront6targetE0EEEvSY_
    .private_segment_fixed_size: 0
    .sgpr_count:     0
    .sgpr_spill_count: 0
    .symbol:         _ZN7rocprim17ROCPRIM_400000_NS6detail17trampoline_kernelINS0_13select_configILj256ELj13ELNS0_17block_load_methodE3ELS4_3ELS4_3ELNS0_20block_scan_algorithmE0ELj4294967295EEENS1_25partition_config_selectorILNS1_17partition_subalgoE3EjNS0_10empty_typeEbEEZZNS1_14partition_implILS8_3ELb0ES6_jNS0_17counting_iteratorIjlEEPS9_SE_NS0_5tupleIJPjSE_EEENSF_IJSE_SE_EEES9_SG_JZNS1_25segmented_radix_sort_implINS0_14default_configELb0EPKdPdPKlPlN2at6native12_GLOBAL__N_18offset_tEEE10hipError_tPvRmT1_PNSt15iterator_traitsISY_E10value_typeET2_T3_PNSZ_IS14_E10value_typeET4_jRbjT5_S1A_jjP12ihipStream_tbEUljE_EEESV_SW_SX_S14_S18_S1A_T6_T7_T9_mT8_S1C_bDpT10_ENKUlT_T0_E_clISt17integral_constantIbLb0EES1P_EEDaS1K_S1L_EUlS1K_E_NS1_11comp_targetILNS1_3genE8ELNS1_11target_archE1030ELNS1_3gpuE2ELNS1_3repE0EEENS1_30default_config_static_selectorELNS0_4arch9wavefront6targetE0EEEvSY_.kd
    .uniform_work_group_size: 1
    .uses_dynamic_stack: false
    .vgpr_count:     0
    .vgpr_spill_count: 0
    .wavefront_size: 32
  - .args:
      - .offset:         0
        .size:           152
        .value_kind:     by_value
    .group_segment_fixed_size: 0
    .kernarg_segment_align: 8
    .kernarg_segment_size: 152
    .language:       OpenCL C
    .language_version:
      - 2
      - 0
    .max_flat_workgroup_size: 256
    .name:           _ZN7rocprim17ROCPRIM_400000_NS6detail17trampoline_kernelINS0_13select_configILj256ELj13ELNS0_17block_load_methodE3ELS4_3ELS4_3ELNS0_20block_scan_algorithmE0ELj4294967295EEENS1_25partition_config_selectorILNS1_17partition_subalgoE3EjNS0_10empty_typeEbEEZZNS1_14partition_implILS8_3ELb0ES6_jNS0_17counting_iteratorIjlEEPS9_SE_NS0_5tupleIJPjSE_EEENSF_IJSE_SE_EEES9_SG_JZNS1_25segmented_radix_sort_implINS0_14default_configELb0EPKdPdPKlPlN2at6native12_GLOBAL__N_18offset_tEEE10hipError_tPvRmT1_PNSt15iterator_traitsISY_E10value_typeET2_T3_PNSZ_IS14_E10value_typeET4_jRbjT5_S1A_jjP12ihipStream_tbEUljE_EEESV_SW_SX_S14_S18_S1A_T6_T7_T9_mT8_S1C_bDpT10_ENKUlT_T0_E_clISt17integral_constantIbLb1EES1P_EEDaS1K_S1L_EUlS1K_E_NS1_11comp_targetILNS1_3genE0ELNS1_11target_archE4294967295ELNS1_3gpuE0ELNS1_3repE0EEENS1_30default_config_static_selectorELNS0_4arch9wavefront6targetE0EEEvSY_
    .private_segment_fixed_size: 0
    .sgpr_count:     0
    .sgpr_spill_count: 0
    .symbol:         _ZN7rocprim17ROCPRIM_400000_NS6detail17trampoline_kernelINS0_13select_configILj256ELj13ELNS0_17block_load_methodE3ELS4_3ELS4_3ELNS0_20block_scan_algorithmE0ELj4294967295EEENS1_25partition_config_selectorILNS1_17partition_subalgoE3EjNS0_10empty_typeEbEEZZNS1_14partition_implILS8_3ELb0ES6_jNS0_17counting_iteratorIjlEEPS9_SE_NS0_5tupleIJPjSE_EEENSF_IJSE_SE_EEES9_SG_JZNS1_25segmented_radix_sort_implINS0_14default_configELb0EPKdPdPKlPlN2at6native12_GLOBAL__N_18offset_tEEE10hipError_tPvRmT1_PNSt15iterator_traitsISY_E10value_typeET2_T3_PNSZ_IS14_E10value_typeET4_jRbjT5_S1A_jjP12ihipStream_tbEUljE_EEESV_SW_SX_S14_S18_S1A_T6_T7_T9_mT8_S1C_bDpT10_ENKUlT_T0_E_clISt17integral_constantIbLb1EES1P_EEDaS1K_S1L_EUlS1K_E_NS1_11comp_targetILNS1_3genE0ELNS1_11target_archE4294967295ELNS1_3gpuE0ELNS1_3repE0EEENS1_30default_config_static_selectorELNS0_4arch9wavefront6targetE0EEEvSY_.kd
    .uniform_work_group_size: 1
    .uses_dynamic_stack: false
    .vgpr_count:     0
    .vgpr_spill_count: 0
    .wavefront_size: 32
  - .args:
      - .offset:         0
        .size:           152
        .value_kind:     by_value
    .group_segment_fixed_size: 0
    .kernarg_segment_align: 8
    .kernarg_segment_size: 152
    .language:       OpenCL C
    .language_version:
      - 2
      - 0
    .max_flat_workgroup_size: 256
    .name:           _ZN7rocprim17ROCPRIM_400000_NS6detail17trampoline_kernelINS0_13select_configILj256ELj13ELNS0_17block_load_methodE3ELS4_3ELS4_3ELNS0_20block_scan_algorithmE0ELj4294967295EEENS1_25partition_config_selectorILNS1_17partition_subalgoE3EjNS0_10empty_typeEbEEZZNS1_14partition_implILS8_3ELb0ES6_jNS0_17counting_iteratorIjlEEPS9_SE_NS0_5tupleIJPjSE_EEENSF_IJSE_SE_EEES9_SG_JZNS1_25segmented_radix_sort_implINS0_14default_configELb0EPKdPdPKlPlN2at6native12_GLOBAL__N_18offset_tEEE10hipError_tPvRmT1_PNSt15iterator_traitsISY_E10value_typeET2_T3_PNSZ_IS14_E10value_typeET4_jRbjT5_S1A_jjP12ihipStream_tbEUljE_EEESV_SW_SX_S14_S18_S1A_T6_T7_T9_mT8_S1C_bDpT10_ENKUlT_T0_E_clISt17integral_constantIbLb1EES1P_EEDaS1K_S1L_EUlS1K_E_NS1_11comp_targetILNS1_3genE5ELNS1_11target_archE942ELNS1_3gpuE9ELNS1_3repE0EEENS1_30default_config_static_selectorELNS0_4arch9wavefront6targetE0EEEvSY_
    .private_segment_fixed_size: 0
    .sgpr_count:     0
    .sgpr_spill_count: 0
    .symbol:         _ZN7rocprim17ROCPRIM_400000_NS6detail17trampoline_kernelINS0_13select_configILj256ELj13ELNS0_17block_load_methodE3ELS4_3ELS4_3ELNS0_20block_scan_algorithmE0ELj4294967295EEENS1_25partition_config_selectorILNS1_17partition_subalgoE3EjNS0_10empty_typeEbEEZZNS1_14partition_implILS8_3ELb0ES6_jNS0_17counting_iteratorIjlEEPS9_SE_NS0_5tupleIJPjSE_EEENSF_IJSE_SE_EEES9_SG_JZNS1_25segmented_radix_sort_implINS0_14default_configELb0EPKdPdPKlPlN2at6native12_GLOBAL__N_18offset_tEEE10hipError_tPvRmT1_PNSt15iterator_traitsISY_E10value_typeET2_T3_PNSZ_IS14_E10value_typeET4_jRbjT5_S1A_jjP12ihipStream_tbEUljE_EEESV_SW_SX_S14_S18_S1A_T6_T7_T9_mT8_S1C_bDpT10_ENKUlT_T0_E_clISt17integral_constantIbLb1EES1P_EEDaS1K_S1L_EUlS1K_E_NS1_11comp_targetILNS1_3genE5ELNS1_11target_archE942ELNS1_3gpuE9ELNS1_3repE0EEENS1_30default_config_static_selectorELNS0_4arch9wavefront6targetE0EEEvSY_.kd
    .uniform_work_group_size: 1
    .uses_dynamic_stack: false
    .vgpr_count:     0
    .vgpr_spill_count: 0
    .wavefront_size: 32
  - .args:
      - .offset:         0
        .size:           152
        .value_kind:     by_value
    .group_segment_fixed_size: 0
    .kernarg_segment_align: 8
    .kernarg_segment_size: 152
    .language:       OpenCL C
    .language_version:
      - 2
      - 0
    .max_flat_workgroup_size: 256
    .name:           _ZN7rocprim17ROCPRIM_400000_NS6detail17trampoline_kernelINS0_13select_configILj256ELj13ELNS0_17block_load_methodE3ELS4_3ELS4_3ELNS0_20block_scan_algorithmE0ELj4294967295EEENS1_25partition_config_selectorILNS1_17partition_subalgoE3EjNS0_10empty_typeEbEEZZNS1_14partition_implILS8_3ELb0ES6_jNS0_17counting_iteratorIjlEEPS9_SE_NS0_5tupleIJPjSE_EEENSF_IJSE_SE_EEES9_SG_JZNS1_25segmented_radix_sort_implINS0_14default_configELb0EPKdPdPKlPlN2at6native12_GLOBAL__N_18offset_tEEE10hipError_tPvRmT1_PNSt15iterator_traitsISY_E10value_typeET2_T3_PNSZ_IS14_E10value_typeET4_jRbjT5_S1A_jjP12ihipStream_tbEUljE_EEESV_SW_SX_S14_S18_S1A_T6_T7_T9_mT8_S1C_bDpT10_ENKUlT_T0_E_clISt17integral_constantIbLb1EES1P_EEDaS1K_S1L_EUlS1K_E_NS1_11comp_targetILNS1_3genE4ELNS1_11target_archE910ELNS1_3gpuE8ELNS1_3repE0EEENS1_30default_config_static_selectorELNS0_4arch9wavefront6targetE0EEEvSY_
    .private_segment_fixed_size: 0
    .sgpr_count:     0
    .sgpr_spill_count: 0
    .symbol:         _ZN7rocprim17ROCPRIM_400000_NS6detail17trampoline_kernelINS0_13select_configILj256ELj13ELNS0_17block_load_methodE3ELS4_3ELS4_3ELNS0_20block_scan_algorithmE0ELj4294967295EEENS1_25partition_config_selectorILNS1_17partition_subalgoE3EjNS0_10empty_typeEbEEZZNS1_14partition_implILS8_3ELb0ES6_jNS0_17counting_iteratorIjlEEPS9_SE_NS0_5tupleIJPjSE_EEENSF_IJSE_SE_EEES9_SG_JZNS1_25segmented_radix_sort_implINS0_14default_configELb0EPKdPdPKlPlN2at6native12_GLOBAL__N_18offset_tEEE10hipError_tPvRmT1_PNSt15iterator_traitsISY_E10value_typeET2_T3_PNSZ_IS14_E10value_typeET4_jRbjT5_S1A_jjP12ihipStream_tbEUljE_EEESV_SW_SX_S14_S18_S1A_T6_T7_T9_mT8_S1C_bDpT10_ENKUlT_T0_E_clISt17integral_constantIbLb1EES1P_EEDaS1K_S1L_EUlS1K_E_NS1_11comp_targetILNS1_3genE4ELNS1_11target_archE910ELNS1_3gpuE8ELNS1_3repE0EEENS1_30default_config_static_selectorELNS0_4arch9wavefront6targetE0EEEvSY_.kd
    .uniform_work_group_size: 1
    .uses_dynamic_stack: false
    .vgpr_count:     0
    .vgpr_spill_count: 0
    .wavefront_size: 32
  - .args:
      - .offset:         0
        .size:           152
        .value_kind:     by_value
    .group_segment_fixed_size: 0
    .kernarg_segment_align: 8
    .kernarg_segment_size: 152
    .language:       OpenCL C
    .language_version:
      - 2
      - 0
    .max_flat_workgroup_size: 256
    .name:           _ZN7rocprim17ROCPRIM_400000_NS6detail17trampoline_kernelINS0_13select_configILj256ELj13ELNS0_17block_load_methodE3ELS4_3ELS4_3ELNS0_20block_scan_algorithmE0ELj4294967295EEENS1_25partition_config_selectorILNS1_17partition_subalgoE3EjNS0_10empty_typeEbEEZZNS1_14partition_implILS8_3ELb0ES6_jNS0_17counting_iteratorIjlEEPS9_SE_NS0_5tupleIJPjSE_EEENSF_IJSE_SE_EEES9_SG_JZNS1_25segmented_radix_sort_implINS0_14default_configELb0EPKdPdPKlPlN2at6native12_GLOBAL__N_18offset_tEEE10hipError_tPvRmT1_PNSt15iterator_traitsISY_E10value_typeET2_T3_PNSZ_IS14_E10value_typeET4_jRbjT5_S1A_jjP12ihipStream_tbEUljE_EEESV_SW_SX_S14_S18_S1A_T6_T7_T9_mT8_S1C_bDpT10_ENKUlT_T0_E_clISt17integral_constantIbLb1EES1P_EEDaS1K_S1L_EUlS1K_E_NS1_11comp_targetILNS1_3genE3ELNS1_11target_archE908ELNS1_3gpuE7ELNS1_3repE0EEENS1_30default_config_static_selectorELNS0_4arch9wavefront6targetE0EEEvSY_
    .private_segment_fixed_size: 0
    .sgpr_count:     0
    .sgpr_spill_count: 0
    .symbol:         _ZN7rocprim17ROCPRIM_400000_NS6detail17trampoline_kernelINS0_13select_configILj256ELj13ELNS0_17block_load_methodE3ELS4_3ELS4_3ELNS0_20block_scan_algorithmE0ELj4294967295EEENS1_25partition_config_selectorILNS1_17partition_subalgoE3EjNS0_10empty_typeEbEEZZNS1_14partition_implILS8_3ELb0ES6_jNS0_17counting_iteratorIjlEEPS9_SE_NS0_5tupleIJPjSE_EEENSF_IJSE_SE_EEES9_SG_JZNS1_25segmented_radix_sort_implINS0_14default_configELb0EPKdPdPKlPlN2at6native12_GLOBAL__N_18offset_tEEE10hipError_tPvRmT1_PNSt15iterator_traitsISY_E10value_typeET2_T3_PNSZ_IS14_E10value_typeET4_jRbjT5_S1A_jjP12ihipStream_tbEUljE_EEESV_SW_SX_S14_S18_S1A_T6_T7_T9_mT8_S1C_bDpT10_ENKUlT_T0_E_clISt17integral_constantIbLb1EES1P_EEDaS1K_S1L_EUlS1K_E_NS1_11comp_targetILNS1_3genE3ELNS1_11target_archE908ELNS1_3gpuE7ELNS1_3repE0EEENS1_30default_config_static_selectorELNS0_4arch9wavefront6targetE0EEEvSY_.kd
    .uniform_work_group_size: 1
    .uses_dynamic_stack: false
    .vgpr_count:     0
    .vgpr_spill_count: 0
    .wavefront_size: 32
  - .args:
      - .offset:         0
        .size:           152
        .value_kind:     by_value
    .group_segment_fixed_size: 0
    .kernarg_segment_align: 8
    .kernarg_segment_size: 152
    .language:       OpenCL C
    .language_version:
      - 2
      - 0
    .max_flat_workgroup_size: 256
    .name:           _ZN7rocprim17ROCPRIM_400000_NS6detail17trampoline_kernelINS0_13select_configILj256ELj13ELNS0_17block_load_methodE3ELS4_3ELS4_3ELNS0_20block_scan_algorithmE0ELj4294967295EEENS1_25partition_config_selectorILNS1_17partition_subalgoE3EjNS0_10empty_typeEbEEZZNS1_14partition_implILS8_3ELb0ES6_jNS0_17counting_iteratorIjlEEPS9_SE_NS0_5tupleIJPjSE_EEENSF_IJSE_SE_EEES9_SG_JZNS1_25segmented_radix_sort_implINS0_14default_configELb0EPKdPdPKlPlN2at6native12_GLOBAL__N_18offset_tEEE10hipError_tPvRmT1_PNSt15iterator_traitsISY_E10value_typeET2_T3_PNSZ_IS14_E10value_typeET4_jRbjT5_S1A_jjP12ihipStream_tbEUljE_EEESV_SW_SX_S14_S18_S1A_T6_T7_T9_mT8_S1C_bDpT10_ENKUlT_T0_E_clISt17integral_constantIbLb1EES1P_EEDaS1K_S1L_EUlS1K_E_NS1_11comp_targetILNS1_3genE2ELNS1_11target_archE906ELNS1_3gpuE6ELNS1_3repE0EEENS1_30default_config_static_selectorELNS0_4arch9wavefront6targetE0EEEvSY_
    .private_segment_fixed_size: 0
    .sgpr_count:     0
    .sgpr_spill_count: 0
    .symbol:         _ZN7rocprim17ROCPRIM_400000_NS6detail17trampoline_kernelINS0_13select_configILj256ELj13ELNS0_17block_load_methodE3ELS4_3ELS4_3ELNS0_20block_scan_algorithmE0ELj4294967295EEENS1_25partition_config_selectorILNS1_17partition_subalgoE3EjNS0_10empty_typeEbEEZZNS1_14partition_implILS8_3ELb0ES6_jNS0_17counting_iteratorIjlEEPS9_SE_NS0_5tupleIJPjSE_EEENSF_IJSE_SE_EEES9_SG_JZNS1_25segmented_radix_sort_implINS0_14default_configELb0EPKdPdPKlPlN2at6native12_GLOBAL__N_18offset_tEEE10hipError_tPvRmT1_PNSt15iterator_traitsISY_E10value_typeET2_T3_PNSZ_IS14_E10value_typeET4_jRbjT5_S1A_jjP12ihipStream_tbEUljE_EEESV_SW_SX_S14_S18_S1A_T6_T7_T9_mT8_S1C_bDpT10_ENKUlT_T0_E_clISt17integral_constantIbLb1EES1P_EEDaS1K_S1L_EUlS1K_E_NS1_11comp_targetILNS1_3genE2ELNS1_11target_archE906ELNS1_3gpuE6ELNS1_3repE0EEENS1_30default_config_static_selectorELNS0_4arch9wavefront6targetE0EEEvSY_.kd
    .uniform_work_group_size: 1
    .uses_dynamic_stack: false
    .vgpr_count:     0
    .vgpr_spill_count: 0
    .wavefront_size: 32
  - .args:
      - .offset:         0
        .size:           152
        .value_kind:     by_value
    .group_segment_fixed_size: 0
    .kernarg_segment_align: 8
    .kernarg_segment_size: 152
    .language:       OpenCL C
    .language_version:
      - 2
      - 0
    .max_flat_workgroup_size: 256
    .name:           _ZN7rocprim17ROCPRIM_400000_NS6detail17trampoline_kernelINS0_13select_configILj256ELj13ELNS0_17block_load_methodE3ELS4_3ELS4_3ELNS0_20block_scan_algorithmE0ELj4294967295EEENS1_25partition_config_selectorILNS1_17partition_subalgoE3EjNS0_10empty_typeEbEEZZNS1_14partition_implILS8_3ELb0ES6_jNS0_17counting_iteratorIjlEEPS9_SE_NS0_5tupleIJPjSE_EEENSF_IJSE_SE_EEES9_SG_JZNS1_25segmented_radix_sort_implINS0_14default_configELb0EPKdPdPKlPlN2at6native12_GLOBAL__N_18offset_tEEE10hipError_tPvRmT1_PNSt15iterator_traitsISY_E10value_typeET2_T3_PNSZ_IS14_E10value_typeET4_jRbjT5_S1A_jjP12ihipStream_tbEUljE_EEESV_SW_SX_S14_S18_S1A_T6_T7_T9_mT8_S1C_bDpT10_ENKUlT_T0_E_clISt17integral_constantIbLb1EES1P_EEDaS1K_S1L_EUlS1K_E_NS1_11comp_targetILNS1_3genE10ELNS1_11target_archE1200ELNS1_3gpuE4ELNS1_3repE0EEENS1_30default_config_static_selectorELNS0_4arch9wavefront6targetE0EEEvSY_
    .private_segment_fixed_size: 0
    .sgpr_count:     0
    .sgpr_spill_count: 0
    .symbol:         _ZN7rocprim17ROCPRIM_400000_NS6detail17trampoline_kernelINS0_13select_configILj256ELj13ELNS0_17block_load_methodE3ELS4_3ELS4_3ELNS0_20block_scan_algorithmE0ELj4294967295EEENS1_25partition_config_selectorILNS1_17partition_subalgoE3EjNS0_10empty_typeEbEEZZNS1_14partition_implILS8_3ELb0ES6_jNS0_17counting_iteratorIjlEEPS9_SE_NS0_5tupleIJPjSE_EEENSF_IJSE_SE_EEES9_SG_JZNS1_25segmented_radix_sort_implINS0_14default_configELb0EPKdPdPKlPlN2at6native12_GLOBAL__N_18offset_tEEE10hipError_tPvRmT1_PNSt15iterator_traitsISY_E10value_typeET2_T3_PNSZ_IS14_E10value_typeET4_jRbjT5_S1A_jjP12ihipStream_tbEUljE_EEESV_SW_SX_S14_S18_S1A_T6_T7_T9_mT8_S1C_bDpT10_ENKUlT_T0_E_clISt17integral_constantIbLb1EES1P_EEDaS1K_S1L_EUlS1K_E_NS1_11comp_targetILNS1_3genE10ELNS1_11target_archE1200ELNS1_3gpuE4ELNS1_3repE0EEENS1_30default_config_static_selectorELNS0_4arch9wavefront6targetE0EEEvSY_.kd
    .uniform_work_group_size: 1
    .uses_dynamic_stack: false
    .vgpr_count:     0
    .vgpr_spill_count: 0
    .wavefront_size: 32
  - .args:
      - .offset:         0
        .size:           152
        .value_kind:     by_value
    .group_segment_fixed_size: 0
    .kernarg_segment_align: 8
    .kernarg_segment_size: 152
    .language:       OpenCL C
    .language_version:
      - 2
      - 0
    .max_flat_workgroup_size: 256
    .name:           _ZN7rocprim17ROCPRIM_400000_NS6detail17trampoline_kernelINS0_13select_configILj256ELj13ELNS0_17block_load_methodE3ELS4_3ELS4_3ELNS0_20block_scan_algorithmE0ELj4294967295EEENS1_25partition_config_selectorILNS1_17partition_subalgoE3EjNS0_10empty_typeEbEEZZNS1_14partition_implILS8_3ELb0ES6_jNS0_17counting_iteratorIjlEEPS9_SE_NS0_5tupleIJPjSE_EEENSF_IJSE_SE_EEES9_SG_JZNS1_25segmented_radix_sort_implINS0_14default_configELb0EPKdPdPKlPlN2at6native12_GLOBAL__N_18offset_tEEE10hipError_tPvRmT1_PNSt15iterator_traitsISY_E10value_typeET2_T3_PNSZ_IS14_E10value_typeET4_jRbjT5_S1A_jjP12ihipStream_tbEUljE_EEESV_SW_SX_S14_S18_S1A_T6_T7_T9_mT8_S1C_bDpT10_ENKUlT_T0_E_clISt17integral_constantIbLb1EES1P_EEDaS1K_S1L_EUlS1K_E_NS1_11comp_targetILNS1_3genE9ELNS1_11target_archE1100ELNS1_3gpuE3ELNS1_3repE0EEENS1_30default_config_static_selectorELNS0_4arch9wavefront6targetE0EEEvSY_
    .private_segment_fixed_size: 0
    .sgpr_count:     0
    .sgpr_spill_count: 0
    .symbol:         _ZN7rocprim17ROCPRIM_400000_NS6detail17trampoline_kernelINS0_13select_configILj256ELj13ELNS0_17block_load_methodE3ELS4_3ELS4_3ELNS0_20block_scan_algorithmE0ELj4294967295EEENS1_25partition_config_selectorILNS1_17partition_subalgoE3EjNS0_10empty_typeEbEEZZNS1_14partition_implILS8_3ELb0ES6_jNS0_17counting_iteratorIjlEEPS9_SE_NS0_5tupleIJPjSE_EEENSF_IJSE_SE_EEES9_SG_JZNS1_25segmented_radix_sort_implINS0_14default_configELb0EPKdPdPKlPlN2at6native12_GLOBAL__N_18offset_tEEE10hipError_tPvRmT1_PNSt15iterator_traitsISY_E10value_typeET2_T3_PNSZ_IS14_E10value_typeET4_jRbjT5_S1A_jjP12ihipStream_tbEUljE_EEESV_SW_SX_S14_S18_S1A_T6_T7_T9_mT8_S1C_bDpT10_ENKUlT_T0_E_clISt17integral_constantIbLb1EES1P_EEDaS1K_S1L_EUlS1K_E_NS1_11comp_targetILNS1_3genE9ELNS1_11target_archE1100ELNS1_3gpuE3ELNS1_3repE0EEENS1_30default_config_static_selectorELNS0_4arch9wavefront6targetE0EEEvSY_.kd
    .uniform_work_group_size: 1
    .uses_dynamic_stack: false
    .vgpr_count:     0
    .vgpr_spill_count: 0
    .wavefront_size: 32
  - .args:
      - .offset:         0
        .size:           152
        .value_kind:     by_value
    .group_segment_fixed_size: 0
    .kernarg_segment_align: 8
    .kernarg_segment_size: 152
    .language:       OpenCL C
    .language_version:
      - 2
      - 0
    .max_flat_workgroup_size: 256
    .name:           _ZN7rocprim17ROCPRIM_400000_NS6detail17trampoline_kernelINS0_13select_configILj256ELj13ELNS0_17block_load_methodE3ELS4_3ELS4_3ELNS0_20block_scan_algorithmE0ELj4294967295EEENS1_25partition_config_selectorILNS1_17partition_subalgoE3EjNS0_10empty_typeEbEEZZNS1_14partition_implILS8_3ELb0ES6_jNS0_17counting_iteratorIjlEEPS9_SE_NS0_5tupleIJPjSE_EEENSF_IJSE_SE_EEES9_SG_JZNS1_25segmented_radix_sort_implINS0_14default_configELb0EPKdPdPKlPlN2at6native12_GLOBAL__N_18offset_tEEE10hipError_tPvRmT1_PNSt15iterator_traitsISY_E10value_typeET2_T3_PNSZ_IS14_E10value_typeET4_jRbjT5_S1A_jjP12ihipStream_tbEUljE_EEESV_SW_SX_S14_S18_S1A_T6_T7_T9_mT8_S1C_bDpT10_ENKUlT_T0_E_clISt17integral_constantIbLb1EES1P_EEDaS1K_S1L_EUlS1K_E_NS1_11comp_targetILNS1_3genE8ELNS1_11target_archE1030ELNS1_3gpuE2ELNS1_3repE0EEENS1_30default_config_static_selectorELNS0_4arch9wavefront6targetE0EEEvSY_
    .private_segment_fixed_size: 0
    .sgpr_count:     0
    .sgpr_spill_count: 0
    .symbol:         _ZN7rocprim17ROCPRIM_400000_NS6detail17trampoline_kernelINS0_13select_configILj256ELj13ELNS0_17block_load_methodE3ELS4_3ELS4_3ELNS0_20block_scan_algorithmE0ELj4294967295EEENS1_25partition_config_selectorILNS1_17partition_subalgoE3EjNS0_10empty_typeEbEEZZNS1_14partition_implILS8_3ELb0ES6_jNS0_17counting_iteratorIjlEEPS9_SE_NS0_5tupleIJPjSE_EEENSF_IJSE_SE_EEES9_SG_JZNS1_25segmented_radix_sort_implINS0_14default_configELb0EPKdPdPKlPlN2at6native12_GLOBAL__N_18offset_tEEE10hipError_tPvRmT1_PNSt15iterator_traitsISY_E10value_typeET2_T3_PNSZ_IS14_E10value_typeET4_jRbjT5_S1A_jjP12ihipStream_tbEUljE_EEESV_SW_SX_S14_S18_S1A_T6_T7_T9_mT8_S1C_bDpT10_ENKUlT_T0_E_clISt17integral_constantIbLb1EES1P_EEDaS1K_S1L_EUlS1K_E_NS1_11comp_targetILNS1_3genE8ELNS1_11target_archE1030ELNS1_3gpuE2ELNS1_3repE0EEENS1_30default_config_static_selectorELNS0_4arch9wavefront6targetE0EEEvSY_.kd
    .uniform_work_group_size: 1
    .uses_dynamic_stack: false
    .vgpr_count:     0
    .vgpr_spill_count: 0
    .wavefront_size: 32
  - .args:
      - .offset:         0
        .size:           144
        .value_kind:     by_value
    .group_segment_fixed_size: 0
    .kernarg_segment_align: 8
    .kernarg_segment_size: 144
    .language:       OpenCL C
    .language_version:
      - 2
      - 0
    .max_flat_workgroup_size: 256
    .name:           _ZN7rocprim17ROCPRIM_400000_NS6detail17trampoline_kernelINS0_13select_configILj256ELj13ELNS0_17block_load_methodE3ELS4_3ELS4_3ELNS0_20block_scan_algorithmE0ELj4294967295EEENS1_25partition_config_selectorILNS1_17partition_subalgoE3EjNS0_10empty_typeEbEEZZNS1_14partition_implILS8_3ELb0ES6_jNS0_17counting_iteratorIjlEEPS9_SE_NS0_5tupleIJPjSE_EEENSF_IJSE_SE_EEES9_SG_JZNS1_25segmented_radix_sort_implINS0_14default_configELb0EPKdPdPKlPlN2at6native12_GLOBAL__N_18offset_tEEE10hipError_tPvRmT1_PNSt15iterator_traitsISY_E10value_typeET2_T3_PNSZ_IS14_E10value_typeET4_jRbjT5_S1A_jjP12ihipStream_tbEUljE_EEESV_SW_SX_S14_S18_S1A_T6_T7_T9_mT8_S1C_bDpT10_ENKUlT_T0_E_clISt17integral_constantIbLb1EES1O_IbLb0EEEEDaS1K_S1L_EUlS1K_E_NS1_11comp_targetILNS1_3genE0ELNS1_11target_archE4294967295ELNS1_3gpuE0ELNS1_3repE0EEENS1_30default_config_static_selectorELNS0_4arch9wavefront6targetE0EEEvSY_
    .private_segment_fixed_size: 0
    .sgpr_count:     0
    .sgpr_spill_count: 0
    .symbol:         _ZN7rocprim17ROCPRIM_400000_NS6detail17trampoline_kernelINS0_13select_configILj256ELj13ELNS0_17block_load_methodE3ELS4_3ELS4_3ELNS0_20block_scan_algorithmE0ELj4294967295EEENS1_25partition_config_selectorILNS1_17partition_subalgoE3EjNS0_10empty_typeEbEEZZNS1_14partition_implILS8_3ELb0ES6_jNS0_17counting_iteratorIjlEEPS9_SE_NS0_5tupleIJPjSE_EEENSF_IJSE_SE_EEES9_SG_JZNS1_25segmented_radix_sort_implINS0_14default_configELb0EPKdPdPKlPlN2at6native12_GLOBAL__N_18offset_tEEE10hipError_tPvRmT1_PNSt15iterator_traitsISY_E10value_typeET2_T3_PNSZ_IS14_E10value_typeET4_jRbjT5_S1A_jjP12ihipStream_tbEUljE_EEESV_SW_SX_S14_S18_S1A_T6_T7_T9_mT8_S1C_bDpT10_ENKUlT_T0_E_clISt17integral_constantIbLb1EES1O_IbLb0EEEEDaS1K_S1L_EUlS1K_E_NS1_11comp_targetILNS1_3genE0ELNS1_11target_archE4294967295ELNS1_3gpuE0ELNS1_3repE0EEENS1_30default_config_static_selectorELNS0_4arch9wavefront6targetE0EEEvSY_.kd
    .uniform_work_group_size: 1
    .uses_dynamic_stack: false
    .vgpr_count:     0
    .vgpr_spill_count: 0
    .wavefront_size: 32
  - .args:
      - .offset:         0
        .size:           144
        .value_kind:     by_value
    .group_segment_fixed_size: 0
    .kernarg_segment_align: 8
    .kernarg_segment_size: 144
    .language:       OpenCL C
    .language_version:
      - 2
      - 0
    .max_flat_workgroup_size: 256
    .name:           _ZN7rocprim17ROCPRIM_400000_NS6detail17trampoline_kernelINS0_13select_configILj256ELj13ELNS0_17block_load_methodE3ELS4_3ELS4_3ELNS0_20block_scan_algorithmE0ELj4294967295EEENS1_25partition_config_selectorILNS1_17partition_subalgoE3EjNS0_10empty_typeEbEEZZNS1_14partition_implILS8_3ELb0ES6_jNS0_17counting_iteratorIjlEEPS9_SE_NS0_5tupleIJPjSE_EEENSF_IJSE_SE_EEES9_SG_JZNS1_25segmented_radix_sort_implINS0_14default_configELb0EPKdPdPKlPlN2at6native12_GLOBAL__N_18offset_tEEE10hipError_tPvRmT1_PNSt15iterator_traitsISY_E10value_typeET2_T3_PNSZ_IS14_E10value_typeET4_jRbjT5_S1A_jjP12ihipStream_tbEUljE_EEESV_SW_SX_S14_S18_S1A_T6_T7_T9_mT8_S1C_bDpT10_ENKUlT_T0_E_clISt17integral_constantIbLb1EES1O_IbLb0EEEEDaS1K_S1L_EUlS1K_E_NS1_11comp_targetILNS1_3genE5ELNS1_11target_archE942ELNS1_3gpuE9ELNS1_3repE0EEENS1_30default_config_static_selectorELNS0_4arch9wavefront6targetE0EEEvSY_
    .private_segment_fixed_size: 0
    .sgpr_count:     0
    .sgpr_spill_count: 0
    .symbol:         _ZN7rocprim17ROCPRIM_400000_NS6detail17trampoline_kernelINS0_13select_configILj256ELj13ELNS0_17block_load_methodE3ELS4_3ELS4_3ELNS0_20block_scan_algorithmE0ELj4294967295EEENS1_25partition_config_selectorILNS1_17partition_subalgoE3EjNS0_10empty_typeEbEEZZNS1_14partition_implILS8_3ELb0ES6_jNS0_17counting_iteratorIjlEEPS9_SE_NS0_5tupleIJPjSE_EEENSF_IJSE_SE_EEES9_SG_JZNS1_25segmented_radix_sort_implINS0_14default_configELb0EPKdPdPKlPlN2at6native12_GLOBAL__N_18offset_tEEE10hipError_tPvRmT1_PNSt15iterator_traitsISY_E10value_typeET2_T3_PNSZ_IS14_E10value_typeET4_jRbjT5_S1A_jjP12ihipStream_tbEUljE_EEESV_SW_SX_S14_S18_S1A_T6_T7_T9_mT8_S1C_bDpT10_ENKUlT_T0_E_clISt17integral_constantIbLb1EES1O_IbLb0EEEEDaS1K_S1L_EUlS1K_E_NS1_11comp_targetILNS1_3genE5ELNS1_11target_archE942ELNS1_3gpuE9ELNS1_3repE0EEENS1_30default_config_static_selectorELNS0_4arch9wavefront6targetE0EEEvSY_.kd
    .uniform_work_group_size: 1
    .uses_dynamic_stack: false
    .vgpr_count:     0
    .vgpr_spill_count: 0
    .wavefront_size: 32
  - .args:
      - .offset:         0
        .size:           144
        .value_kind:     by_value
    .group_segment_fixed_size: 0
    .kernarg_segment_align: 8
    .kernarg_segment_size: 144
    .language:       OpenCL C
    .language_version:
      - 2
      - 0
    .max_flat_workgroup_size: 256
    .name:           _ZN7rocprim17ROCPRIM_400000_NS6detail17trampoline_kernelINS0_13select_configILj256ELj13ELNS0_17block_load_methodE3ELS4_3ELS4_3ELNS0_20block_scan_algorithmE0ELj4294967295EEENS1_25partition_config_selectorILNS1_17partition_subalgoE3EjNS0_10empty_typeEbEEZZNS1_14partition_implILS8_3ELb0ES6_jNS0_17counting_iteratorIjlEEPS9_SE_NS0_5tupleIJPjSE_EEENSF_IJSE_SE_EEES9_SG_JZNS1_25segmented_radix_sort_implINS0_14default_configELb0EPKdPdPKlPlN2at6native12_GLOBAL__N_18offset_tEEE10hipError_tPvRmT1_PNSt15iterator_traitsISY_E10value_typeET2_T3_PNSZ_IS14_E10value_typeET4_jRbjT5_S1A_jjP12ihipStream_tbEUljE_EEESV_SW_SX_S14_S18_S1A_T6_T7_T9_mT8_S1C_bDpT10_ENKUlT_T0_E_clISt17integral_constantIbLb1EES1O_IbLb0EEEEDaS1K_S1L_EUlS1K_E_NS1_11comp_targetILNS1_3genE4ELNS1_11target_archE910ELNS1_3gpuE8ELNS1_3repE0EEENS1_30default_config_static_selectorELNS0_4arch9wavefront6targetE0EEEvSY_
    .private_segment_fixed_size: 0
    .sgpr_count:     0
    .sgpr_spill_count: 0
    .symbol:         _ZN7rocprim17ROCPRIM_400000_NS6detail17trampoline_kernelINS0_13select_configILj256ELj13ELNS0_17block_load_methodE3ELS4_3ELS4_3ELNS0_20block_scan_algorithmE0ELj4294967295EEENS1_25partition_config_selectorILNS1_17partition_subalgoE3EjNS0_10empty_typeEbEEZZNS1_14partition_implILS8_3ELb0ES6_jNS0_17counting_iteratorIjlEEPS9_SE_NS0_5tupleIJPjSE_EEENSF_IJSE_SE_EEES9_SG_JZNS1_25segmented_radix_sort_implINS0_14default_configELb0EPKdPdPKlPlN2at6native12_GLOBAL__N_18offset_tEEE10hipError_tPvRmT1_PNSt15iterator_traitsISY_E10value_typeET2_T3_PNSZ_IS14_E10value_typeET4_jRbjT5_S1A_jjP12ihipStream_tbEUljE_EEESV_SW_SX_S14_S18_S1A_T6_T7_T9_mT8_S1C_bDpT10_ENKUlT_T0_E_clISt17integral_constantIbLb1EES1O_IbLb0EEEEDaS1K_S1L_EUlS1K_E_NS1_11comp_targetILNS1_3genE4ELNS1_11target_archE910ELNS1_3gpuE8ELNS1_3repE0EEENS1_30default_config_static_selectorELNS0_4arch9wavefront6targetE0EEEvSY_.kd
    .uniform_work_group_size: 1
    .uses_dynamic_stack: false
    .vgpr_count:     0
    .vgpr_spill_count: 0
    .wavefront_size: 32
  - .args:
      - .offset:         0
        .size:           144
        .value_kind:     by_value
    .group_segment_fixed_size: 0
    .kernarg_segment_align: 8
    .kernarg_segment_size: 144
    .language:       OpenCL C
    .language_version:
      - 2
      - 0
    .max_flat_workgroup_size: 256
    .name:           _ZN7rocprim17ROCPRIM_400000_NS6detail17trampoline_kernelINS0_13select_configILj256ELj13ELNS0_17block_load_methodE3ELS4_3ELS4_3ELNS0_20block_scan_algorithmE0ELj4294967295EEENS1_25partition_config_selectorILNS1_17partition_subalgoE3EjNS0_10empty_typeEbEEZZNS1_14partition_implILS8_3ELb0ES6_jNS0_17counting_iteratorIjlEEPS9_SE_NS0_5tupleIJPjSE_EEENSF_IJSE_SE_EEES9_SG_JZNS1_25segmented_radix_sort_implINS0_14default_configELb0EPKdPdPKlPlN2at6native12_GLOBAL__N_18offset_tEEE10hipError_tPvRmT1_PNSt15iterator_traitsISY_E10value_typeET2_T3_PNSZ_IS14_E10value_typeET4_jRbjT5_S1A_jjP12ihipStream_tbEUljE_EEESV_SW_SX_S14_S18_S1A_T6_T7_T9_mT8_S1C_bDpT10_ENKUlT_T0_E_clISt17integral_constantIbLb1EES1O_IbLb0EEEEDaS1K_S1L_EUlS1K_E_NS1_11comp_targetILNS1_3genE3ELNS1_11target_archE908ELNS1_3gpuE7ELNS1_3repE0EEENS1_30default_config_static_selectorELNS0_4arch9wavefront6targetE0EEEvSY_
    .private_segment_fixed_size: 0
    .sgpr_count:     0
    .sgpr_spill_count: 0
    .symbol:         _ZN7rocprim17ROCPRIM_400000_NS6detail17trampoline_kernelINS0_13select_configILj256ELj13ELNS0_17block_load_methodE3ELS4_3ELS4_3ELNS0_20block_scan_algorithmE0ELj4294967295EEENS1_25partition_config_selectorILNS1_17partition_subalgoE3EjNS0_10empty_typeEbEEZZNS1_14partition_implILS8_3ELb0ES6_jNS0_17counting_iteratorIjlEEPS9_SE_NS0_5tupleIJPjSE_EEENSF_IJSE_SE_EEES9_SG_JZNS1_25segmented_radix_sort_implINS0_14default_configELb0EPKdPdPKlPlN2at6native12_GLOBAL__N_18offset_tEEE10hipError_tPvRmT1_PNSt15iterator_traitsISY_E10value_typeET2_T3_PNSZ_IS14_E10value_typeET4_jRbjT5_S1A_jjP12ihipStream_tbEUljE_EEESV_SW_SX_S14_S18_S1A_T6_T7_T9_mT8_S1C_bDpT10_ENKUlT_T0_E_clISt17integral_constantIbLb1EES1O_IbLb0EEEEDaS1K_S1L_EUlS1K_E_NS1_11comp_targetILNS1_3genE3ELNS1_11target_archE908ELNS1_3gpuE7ELNS1_3repE0EEENS1_30default_config_static_selectorELNS0_4arch9wavefront6targetE0EEEvSY_.kd
    .uniform_work_group_size: 1
    .uses_dynamic_stack: false
    .vgpr_count:     0
    .vgpr_spill_count: 0
    .wavefront_size: 32
  - .args:
      - .offset:         0
        .size:           144
        .value_kind:     by_value
    .group_segment_fixed_size: 0
    .kernarg_segment_align: 8
    .kernarg_segment_size: 144
    .language:       OpenCL C
    .language_version:
      - 2
      - 0
    .max_flat_workgroup_size: 256
    .name:           _ZN7rocprim17ROCPRIM_400000_NS6detail17trampoline_kernelINS0_13select_configILj256ELj13ELNS0_17block_load_methodE3ELS4_3ELS4_3ELNS0_20block_scan_algorithmE0ELj4294967295EEENS1_25partition_config_selectorILNS1_17partition_subalgoE3EjNS0_10empty_typeEbEEZZNS1_14partition_implILS8_3ELb0ES6_jNS0_17counting_iteratorIjlEEPS9_SE_NS0_5tupleIJPjSE_EEENSF_IJSE_SE_EEES9_SG_JZNS1_25segmented_radix_sort_implINS0_14default_configELb0EPKdPdPKlPlN2at6native12_GLOBAL__N_18offset_tEEE10hipError_tPvRmT1_PNSt15iterator_traitsISY_E10value_typeET2_T3_PNSZ_IS14_E10value_typeET4_jRbjT5_S1A_jjP12ihipStream_tbEUljE_EEESV_SW_SX_S14_S18_S1A_T6_T7_T9_mT8_S1C_bDpT10_ENKUlT_T0_E_clISt17integral_constantIbLb1EES1O_IbLb0EEEEDaS1K_S1L_EUlS1K_E_NS1_11comp_targetILNS1_3genE2ELNS1_11target_archE906ELNS1_3gpuE6ELNS1_3repE0EEENS1_30default_config_static_selectorELNS0_4arch9wavefront6targetE0EEEvSY_
    .private_segment_fixed_size: 0
    .sgpr_count:     0
    .sgpr_spill_count: 0
    .symbol:         _ZN7rocprim17ROCPRIM_400000_NS6detail17trampoline_kernelINS0_13select_configILj256ELj13ELNS0_17block_load_methodE3ELS4_3ELS4_3ELNS0_20block_scan_algorithmE0ELj4294967295EEENS1_25partition_config_selectorILNS1_17partition_subalgoE3EjNS0_10empty_typeEbEEZZNS1_14partition_implILS8_3ELb0ES6_jNS0_17counting_iteratorIjlEEPS9_SE_NS0_5tupleIJPjSE_EEENSF_IJSE_SE_EEES9_SG_JZNS1_25segmented_radix_sort_implINS0_14default_configELb0EPKdPdPKlPlN2at6native12_GLOBAL__N_18offset_tEEE10hipError_tPvRmT1_PNSt15iterator_traitsISY_E10value_typeET2_T3_PNSZ_IS14_E10value_typeET4_jRbjT5_S1A_jjP12ihipStream_tbEUljE_EEESV_SW_SX_S14_S18_S1A_T6_T7_T9_mT8_S1C_bDpT10_ENKUlT_T0_E_clISt17integral_constantIbLb1EES1O_IbLb0EEEEDaS1K_S1L_EUlS1K_E_NS1_11comp_targetILNS1_3genE2ELNS1_11target_archE906ELNS1_3gpuE6ELNS1_3repE0EEENS1_30default_config_static_selectorELNS0_4arch9wavefront6targetE0EEEvSY_.kd
    .uniform_work_group_size: 1
    .uses_dynamic_stack: false
    .vgpr_count:     0
    .vgpr_spill_count: 0
    .wavefront_size: 32
  - .args:
      - .offset:         0
        .size:           144
        .value_kind:     by_value
    .group_segment_fixed_size: 0
    .kernarg_segment_align: 8
    .kernarg_segment_size: 144
    .language:       OpenCL C
    .language_version:
      - 2
      - 0
    .max_flat_workgroup_size: 256
    .name:           _ZN7rocprim17ROCPRIM_400000_NS6detail17trampoline_kernelINS0_13select_configILj256ELj13ELNS0_17block_load_methodE3ELS4_3ELS4_3ELNS0_20block_scan_algorithmE0ELj4294967295EEENS1_25partition_config_selectorILNS1_17partition_subalgoE3EjNS0_10empty_typeEbEEZZNS1_14partition_implILS8_3ELb0ES6_jNS0_17counting_iteratorIjlEEPS9_SE_NS0_5tupleIJPjSE_EEENSF_IJSE_SE_EEES9_SG_JZNS1_25segmented_radix_sort_implINS0_14default_configELb0EPKdPdPKlPlN2at6native12_GLOBAL__N_18offset_tEEE10hipError_tPvRmT1_PNSt15iterator_traitsISY_E10value_typeET2_T3_PNSZ_IS14_E10value_typeET4_jRbjT5_S1A_jjP12ihipStream_tbEUljE_EEESV_SW_SX_S14_S18_S1A_T6_T7_T9_mT8_S1C_bDpT10_ENKUlT_T0_E_clISt17integral_constantIbLb1EES1O_IbLb0EEEEDaS1K_S1L_EUlS1K_E_NS1_11comp_targetILNS1_3genE10ELNS1_11target_archE1200ELNS1_3gpuE4ELNS1_3repE0EEENS1_30default_config_static_selectorELNS0_4arch9wavefront6targetE0EEEvSY_
    .private_segment_fixed_size: 0
    .sgpr_count:     0
    .sgpr_spill_count: 0
    .symbol:         _ZN7rocprim17ROCPRIM_400000_NS6detail17trampoline_kernelINS0_13select_configILj256ELj13ELNS0_17block_load_methodE3ELS4_3ELS4_3ELNS0_20block_scan_algorithmE0ELj4294967295EEENS1_25partition_config_selectorILNS1_17partition_subalgoE3EjNS0_10empty_typeEbEEZZNS1_14partition_implILS8_3ELb0ES6_jNS0_17counting_iteratorIjlEEPS9_SE_NS0_5tupleIJPjSE_EEENSF_IJSE_SE_EEES9_SG_JZNS1_25segmented_radix_sort_implINS0_14default_configELb0EPKdPdPKlPlN2at6native12_GLOBAL__N_18offset_tEEE10hipError_tPvRmT1_PNSt15iterator_traitsISY_E10value_typeET2_T3_PNSZ_IS14_E10value_typeET4_jRbjT5_S1A_jjP12ihipStream_tbEUljE_EEESV_SW_SX_S14_S18_S1A_T6_T7_T9_mT8_S1C_bDpT10_ENKUlT_T0_E_clISt17integral_constantIbLb1EES1O_IbLb0EEEEDaS1K_S1L_EUlS1K_E_NS1_11comp_targetILNS1_3genE10ELNS1_11target_archE1200ELNS1_3gpuE4ELNS1_3repE0EEENS1_30default_config_static_selectorELNS0_4arch9wavefront6targetE0EEEvSY_.kd
    .uniform_work_group_size: 1
    .uses_dynamic_stack: false
    .vgpr_count:     0
    .vgpr_spill_count: 0
    .wavefront_size: 32
  - .args:
      - .offset:         0
        .size:           144
        .value_kind:     by_value
    .group_segment_fixed_size: 0
    .kernarg_segment_align: 8
    .kernarg_segment_size: 144
    .language:       OpenCL C
    .language_version:
      - 2
      - 0
    .max_flat_workgroup_size: 256
    .name:           _ZN7rocprim17ROCPRIM_400000_NS6detail17trampoline_kernelINS0_13select_configILj256ELj13ELNS0_17block_load_methodE3ELS4_3ELS4_3ELNS0_20block_scan_algorithmE0ELj4294967295EEENS1_25partition_config_selectorILNS1_17partition_subalgoE3EjNS0_10empty_typeEbEEZZNS1_14partition_implILS8_3ELb0ES6_jNS0_17counting_iteratorIjlEEPS9_SE_NS0_5tupleIJPjSE_EEENSF_IJSE_SE_EEES9_SG_JZNS1_25segmented_radix_sort_implINS0_14default_configELb0EPKdPdPKlPlN2at6native12_GLOBAL__N_18offset_tEEE10hipError_tPvRmT1_PNSt15iterator_traitsISY_E10value_typeET2_T3_PNSZ_IS14_E10value_typeET4_jRbjT5_S1A_jjP12ihipStream_tbEUljE_EEESV_SW_SX_S14_S18_S1A_T6_T7_T9_mT8_S1C_bDpT10_ENKUlT_T0_E_clISt17integral_constantIbLb1EES1O_IbLb0EEEEDaS1K_S1L_EUlS1K_E_NS1_11comp_targetILNS1_3genE9ELNS1_11target_archE1100ELNS1_3gpuE3ELNS1_3repE0EEENS1_30default_config_static_selectorELNS0_4arch9wavefront6targetE0EEEvSY_
    .private_segment_fixed_size: 0
    .sgpr_count:     0
    .sgpr_spill_count: 0
    .symbol:         _ZN7rocprim17ROCPRIM_400000_NS6detail17trampoline_kernelINS0_13select_configILj256ELj13ELNS0_17block_load_methodE3ELS4_3ELS4_3ELNS0_20block_scan_algorithmE0ELj4294967295EEENS1_25partition_config_selectorILNS1_17partition_subalgoE3EjNS0_10empty_typeEbEEZZNS1_14partition_implILS8_3ELb0ES6_jNS0_17counting_iteratorIjlEEPS9_SE_NS0_5tupleIJPjSE_EEENSF_IJSE_SE_EEES9_SG_JZNS1_25segmented_radix_sort_implINS0_14default_configELb0EPKdPdPKlPlN2at6native12_GLOBAL__N_18offset_tEEE10hipError_tPvRmT1_PNSt15iterator_traitsISY_E10value_typeET2_T3_PNSZ_IS14_E10value_typeET4_jRbjT5_S1A_jjP12ihipStream_tbEUljE_EEESV_SW_SX_S14_S18_S1A_T6_T7_T9_mT8_S1C_bDpT10_ENKUlT_T0_E_clISt17integral_constantIbLb1EES1O_IbLb0EEEEDaS1K_S1L_EUlS1K_E_NS1_11comp_targetILNS1_3genE9ELNS1_11target_archE1100ELNS1_3gpuE3ELNS1_3repE0EEENS1_30default_config_static_selectorELNS0_4arch9wavefront6targetE0EEEvSY_.kd
    .uniform_work_group_size: 1
    .uses_dynamic_stack: false
    .vgpr_count:     0
    .vgpr_spill_count: 0
    .wavefront_size: 32
  - .args:
      - .offset:         0
        .size:           144
        .value_kind:     by_value
    .group_segment_fixed_size: 0
    .kernarg_segment_align: 8
    .kernarg_segment_size: 144
    .language:       OpenCL C
    .language_version:
      - 2
      - 0
    .max_flat_workgroup_size: 256
    .name:           _ZN7rocprim17ROCPRIM_400000_NS6detail17trampoline_kernelINS0_13select_configILj256ELj13ELNS0_17block_load_methodE3ELS4_3ELS4_3ELNS0_20block_scan_algorithmE0ELj4294967295EEENS1_25partition_config_selectorILNS1_17partition_subalgoE3EjNS0_10empty_typeEbEEZZNS1_14partition_implILS8_3ELb0ES6_jNS0_17counting_iteratorIjlEEPS9_SE_NS0_5tupleIJPjSE_EEENSF_IJSE_SE_EEES9_SG_JZNS1_25segmented_radix_sort_implINS0_14default_configELb0EPKdPdPKlPlN2at6native12_GLOBAL__N_18offset_tEEE10hipError_tPvRmT1_PNSt15iterator_traitsISY_E10value_typeET2_T3_PNSZ_IS14_E10value_typeET4_jRbjT5_S1A_jjP12ihipStream_tbEUljE_EEESV_SW_SX_S14_S18_S1A_T6_T7_T9_mT8_S1C_bDpT10_ENKUlT_T0_E_clISt17integral_constantIbLb1EES1O_IbLb0EEEEDaS1K_S1L_EUlS1K_E_NS1_11comp_targetILNS1_3genE8ELNS1_11target_archE1030ELNS1_3gpuE2ELNS1_3repE0EEENS1_30default_config_static_selectorELNS0_4arch9wavefront6targetE0EEEvSY_
    .private_segment_fixed_size: 0
    .sgpr_count:     0
    .sgpr_spill_count: 0
    .symbol:         _ZN7rocprim17ROCPRIM_400000_NS6detail17trampoline_kernelINS0_13select_configILj256ELj13ELNS0_17block_load_methodE3ELS4_3ELS4_3ELNS0_20block_scan_algorithmE0ELj4294967295EEENS1_25partition_config_selectorILNS1_17partition_subalgoE3EjNS0_10empty_typeEbEEZZNS1_14partition_implILS8_3ELb0ES6_jNS0_17counting_iteratorIjlEEPS9_SE_NS0_5tupleIJPjSE_EEENSF_IJSE_SE_EEES9_SG_JZNS1_25segmented_radix_sort_implINS0_14default_configELb0EPKdPdPKlPlN2at6native12_GLOBAL__N_18offset_tEEE10hipError_tPvRmT1_PNSt15iterator_traitsISY_E10value_typeET2_T3_PNSZ_IS14_E10value_typeET4_jRbjT5_S1A_jjP12ihipStream_tbEUljE_EEESV_SW_SX_S14_S18_S1A_T6_T7_T9_mT8_S1C_bDpT10_ENKUlT_T0_E_clISt17integral_constantIbLb1EES1O_IbLb0EEEEDaS1K_S1L_EUlS1K_E_NS1_11comp_targetILNS1_3genE8ELNS1_11target_archE1030ELNS1_3gpuE2ELNS1_3repE0EEENS1_30default_config_static_selectorELNS0_4arch9wavefront6targetE0EEEvSY_.kd
    .uniform_work_group_size: 1
    .uses_dynamic_stack: false
    .vgpr_count:     0
    .vgpr_spill_count: 0
    .wavefront_size: 32
  - .args:
      - .offset:         0
        .size:           152
        .value_kind:     by_value
    .group_segment_fixed_size: 13320
    .kernarg_segment_align: 8
    .kernarg_segment_size: 152
    .language:       OpenCL C
    .language_version:
      - 2
      - 0
    .max_flat_workgroup_size: 256
    .name:           _ZN7rocprim17ROCPRIM_400000_NS6detail17trampoline_kernelINS0_13select_configILj256ELj13ELNS0_17block_load_methodE3ELS4_3ELS4_3ELNS0_20block_scan_algorithmE0ELj4294967295EEENS1_25partition_config_selectorILNS1_17partition_subalgoE3EjNS0_10empty_typeEbEEZZNS1_14partition_implILS8_3ELb0ES6_jNS0_17counting_iteratorIjlEEPS9_SE_NS0_5tupleIJPjSE_EEENSF_IJSE_SE_EEES9_SG_JZNS1_25segmented_radix_sort_implINS0_14default_configELb0EPKdPdPKlPlN2at6native12_GLOBAL__N_18offset_tEEE10hipError_tPvRmT1_PNSt15iterator_traitsISY_E10value_typeET2_T3_PNSZ_IS14_E10value_typeET4_jRbjT5_S1A_jjP12ihipStream_tbEUljE_EEESV_SW_SX_S14_S18_S1A_T6_T7_T9_mT8_S1C_bDpT10_ENKUlT_T0_E_clISt17integral_constantIbLb0EES1O_IbLb1EEEEDaS1K_S1L_EUlS1K_E_NS1_11comp_targetILNS1_3genE0ELNS1_11target_archE4294967295ELNS1_3gpuE0ELNS1_3repE0EEENS1_30default_config_static_selectorELNS0_4arch9wavefront6targetE0EEEvSY_
    .private_segment_fixed_size: 0
    .sgpr_count:     26
    .sgpr_spill_count: 0
    .symbol:         _ZN7rocprim17ROCPRIM_400000_NS6detail17trampoline_kernelINS0_13select_configILj256ELj13ELNS0_17block_load_methodE3ELS4_3ELS4_3ELNS0_20block_scan_algorithmE0ELj4294967295EEENS1_25partition_config_selectorILNS1_17partition_subalgoE3EjNS0_10empty_typeEbEEZZNS1_14partition_implILS8_3ELb0ES6_jNS0_17counting_iteratorIjlEEPS9_SE_NS0_5tupleIJPjSE_EEENSF_IJSE_SE_EEES9_SG_JZNS1_25segmented_radix_sort_implINS0_14default_configELb0EPKdPdPKlPlN2at6native12_GLOBAL__N_18offset_tEEE10hipError_tPvRmT1_PNSt15iterator_traitsISY_E10value_typeET2_T3_PNSZ_IS14_E10value_typeET4_jRbjT5_S1A_jjP12ihipStream_tbEUljE_EEESV_SW_SX_S14_S18_S1A_T6_T7_T9_mT8_S1C_bDpT10_ENKUlT_T0_E_clISt17integral_constantIbLb0EES1O_IbLb1EEEEDaS1K_S1L_EUlS1K_E_NS1_11comp_targetILNS1_3genE0ELNS1_11target_archE4294967295ELNS1_3gpuE0ELNS1_3repE0EEENS1_30default_config_static_selectorELNS0_4arch9wavefront6targetE0EEEvSY_.kd
    .uniform_work_group_size: 1
    .uses_dynamic_stack: false
    .vgpr_count:     72
    .vgpr_spill_count: 0
    .wavefront_size: 32
  - .args:
      - .offset:         0
        .size:           152
        .value_kind:     by_value
    .group_segment_fixed_size: 0
    .kernarg_segment_align: 8
    .kernarg_segment_size: 152
    .language:       OpenCL C
    .language_version:
      - 2
      - 0
    .max_flat_workgroup_size: 256
    .name:           _ZN7rocprim17ROCPRIM_400000_NS6detail17trampoline_kernelINS0_13select_configILj256ELj13ELNS0_17block_load_methodE3ELS4_3ELS4_3ELNS0_20block_scan_algorithmE0ELj4294967295EEENS1_25partition_config_selectorILNS1_17partition_subalgoE3EjNS0_10empty_typeEbEEZZNS1_14partition_implILS8_3ELb0ES6_jNS0_17counting_iteratorIjlEEPS9_SE_NS0_5tupleIJPjSE_EEENSF_IJSE_SE_EEES9_SG_JZNS1_25segmented_radix_sort_implINS0_14default_configELb0EPKdPdPKlPlN2at6native12_GLOBAL__N_18offset_tEEE10hipError_tPvRmT1_PNSt15iterator_traitsISY_E10value_typeET2_T3_PNSZ_IS14_E10value_typeET4_jRbjT5_S1A_jjP12ihipStream_tbEUljE_EEESV_SW_SX_S14_S18_S1A_T6_T7_T9_mT8_S1C_bDpT10_ENKUlT_T0_E_clISt17integral_constantIbLb0EES1O_IbLb1EEEEDaS1K_S1L_EUlS1K_E_NS1_11comp_targetILNS1_3genE5ELNS1_11target_archE942ELNS1_3gpuE9ELNS1_3repE0EEENS1_30default_config_static_selectorELNS0_4arch9wavefront6targetE0EEEvSY_
    .private_segment_fixed_size: 0
    .sgpr_count:     0
    .sgpr_spill_count: 0
    .symbol:         _ZN7rocprim17ROCPRIM_400000_NS6detail17trampoline_kernelINS0_13select_configILj256ELj13ELNS0_17block_load_methodE3ELS4_3ELS4_3ELNS0_20block_scan_algorithmE0ELj4294967295EEENS1_25partition_config_selectorILNS1_17partition_subalgoE3EjNS0_10empty_typeEbEEZZNS1_14partition_implILS8_3ELb0ES6_jNS0_17counting_iteratorIjlEEPS9_SE_NS0_5tupleIJPjSE_EEENSF_IJSE_SE_EEES9_SG_JZNS1_25segmented_radix_sort_implINS0_14default_configELb0EPKdPdPKlPlN2at6native12_GLOBAL__N_18offset_tEEE10hipError_tPvRmT1_PNSt15iterator_traitsISY_E10value_typeET2_T3_PNSZ_IS14_E10value_typeET4_jRbjT5_S1A_jjP12ihipStream_tbEUljE_EEESV_SW_SX_S14_S18_S1A_T6_T7_T9_mT8_S1C_bDpT10_ENKUlT_T0_E_clISt17integral_constantIbLb0EES1O_IbLb1EEEEDaS1K_S1L_EUlS1K_E_NS1_11comp_targetILNS1_3genE5ELNS1_11target_archE942ELNS1_3gpuE9ELNS1_3repE0EEENS1_30default_config_static_selectorELNS0_4arch9wavefront6targetE0EEEvSY_.kd
    .uniform_work_group_size: 1
    .uses_dynamic_stack: false
    .vgpr_count:     0
    .vgpr_spill_count: 0
    .wavefront_size: 32
  - .args:
      - .offset:         0
        .size:           152
        .value_kind:     by_value
    .group_segment_fixed_size: 0
    .kernarg_segment_align: 8
    .kernarg_segment_size: 152
    .language:       OpenCL C
    .language_version:
      - 2
      - 0
    .max_flat_workgroup_size: 256
    .name:           _ZN7rocprim17ROCPRIM_400000_NS6detail17trampoline_kernelINS0_13select_configILj256ELj13ELNS0_17block_load_methodE3ELS4_3ELS4_3ELNS0_20block_scan_algorithmE0ELj4294967295EEENS1_25partition_config_selectorILNS1_17partition_subalgoE3EjNS0_10empty_typeEbEEZZNS1_14partition_implILS8_3ELb0ES6_jNS0_17counting_iteratorIjlEEPS9_SE_NS0_5tupleIJPjSE_EEENSF_IJSE_SE_EEES9_SG_JZNS1_25segmented_radix_sort_implINS0_14default_configELb0EPKdPdPKlPlN2at6native12_GLOBAL__N_18offset_tEEE10hipError_tPvRmT1_PNSt15iterator_traitsISY_E10value_typeET2_T3_PNSZ_IS14_E10value_typeET4_jRbjT5_S1A_jjP12ihipStream_tbEUljE_EEESV_SW_SX_S14_S18_S1A_T6_T7_T9_mT8_S1C_bDpT10_ENKUlT_T0_E_clISt17integral_constantIbLb0EES1O_IbLb1EEEEDaS1K_S1L_EUlS1K_E_NS1_11comp_targetILNS1_3genE4ELNS1_11target_archE910ELNS1_3gpuE8ELNS1_3repE0EEENS1_30default_config_static_selectorELNS0_4arch9wavefront6targetE0EEEvSY_
    .private_segment_fixed_size: 0
    .sgpr_count:     0
    .sgpr_spill_count: 0
    .symbol:         _ZN7rocprim17ROCPRIM_400000_NS6detail17trampoline_kernelINS0_13select_configILj256ELj13ELNS0_17block_load_methodE3ELS4_3ELS4_3ELNS0_20block_scan_algorithmE0ELj4294967295EEENS1_25partition_config_selectorILNS1_17partition_subalgoE3EjNS0_10empty_typeEbEEZZNS1_14partition_implILS8_3ELb0ES6_jNS0_17counting_iteratorIjlEEPS9_SE_NS0_5tupleIJPjSE_EEENSF_IJSE_SE_EEES9_SG_JZNS1_25segmented_radix_sort_implINS0_14default_configELb0EPKdPdPKlPlN2at6native12_GLOBAL__N_18offset_tEEE10hipError_tPvRmT1_PNSt15iterator_traitsISY_E10value_typeET2_T3_PNSZ_IS14_E10value_typeET4_jRbjT5_S1A_jjP12ihipStream_tbEUljE_EEESV_SW_SX_S14_S18_S1A_T6_T7_T9_mT8_S1C_bDpT10_ENKUlT_T0_E_clISt17integral_constantIbLb0EES1O_IbLb1EEEEDaS1K_S1L_EUlS1K_E_NS1_11comp_targetILNS1_3genE4ELNS1_11target_archE910ELNS1_3gpuE8ELNS1_3repE0EEENS1_30default_config_static_selectorELNS0_4arch9wavefront6targetE0EEEvSY_.kd
    .uniform_work_group_size: 1
    .uses_dynamic_stack: false
    .vgpr_count:     0
    .vgpr_spill_count: 0
    .wavefront_size: 32
  - .args:
      - .offset:         0
        .size:           152
        .value_kind:     by_value
    .group_segment_fixed_size: 0
    .kernarg_segment_align: 8
    .kernarg_segment_size: 152
    .language:       OpenCL C
    .language_version:
      - 2
      - 0
    .max_flat_workgroup_size: 256
    .name:           _ZN7rocprim17ROCPRIM_400000_NS6detail17trampoline_kernelINS0_13select_configILj256ELj13ELNS0_17block_load_methodE3ELS4_3ELS4_3ELNS0_20block_scan_algorithmE0ELj4294967295EEENS1_25partition_config_selectorILNS1_17partition_subalgoE3EjNS0_10empty_typeEbEEZZNS1_14partition_implILS8_3ELb0ES6_jNS0_17counting_iteratorIjlEEPS9_SE_NS0_5tupleIJPjSE_EEENSF_IJSE_SE_EEES9_SG_JZNS1_25segmented_radix_sort_implINS0_14default_configELb0EPKdPdPKlPlN2at6native12_GLOBAL__N_18offset_tEEE10hipError_tPvRmT1_PNSt15iterator_traitsISY_E10value_typeET2_T3_PNSZ_IS14_E10value_typeET4_jRbjT5_S1A_jjP12ihipStream_tbEUljE_EEESV_SW_SX_S14_S18_S1A_T6_T7_T9_mT8_S1C_bDpT10_ENKUlT_T0_E_clISt17integral_constantIbLb0EES1O_IbLb1EEEEDaS1K_S1L_EUlS1K_E_NS1_11comp_targetILNS1_3genE3ELNS1_11target_archE908ELNS1_3gpuE7ELNS1_3repE0EEENS1_30default_config_static_selectorELNS0_4arch9wavefront6targetE0EEEvSY_
    .private_segment_fixed_size: 0
    .sgpr_count:     0
    .sgpr_spill_count: 0
    .symbol:         _ZN7rocprim17ROCPRIM_400000_NS6detail17trampoline_kernelINS0_13select_configILj256ELj13ELNS0_17block_load_methodE3ELS4_3ELS4_3ELNS0_20block_scan_algorithmE0ELj4294967295EEENS1_25partition_config_selectorILNS1_17partition_subalgoE3EjNS0_10empty_typeEbEEZZNS1_14partition_implILS8_3ELb0ES6_jNS0_17counting_iteratorIjlEEPS9_SE_NS0_5tupleIJPjSE_EEENSF_IJSE_SE_EEES9_SG_JZNS1_25segmented_radix_sort_implINS0_14default_configELb0EPKdPdPKlPlN2at6native12_GLOBAL__N_18offset_tEEE10hipError_tPvRmT1_PNSt15iterator_traitsISY_E10value_typeET2_T3_PNSZ_IS14_E10value_typeET4_jRbjT5_S1A_jjP12ihipStream_tbEUljE_EEESV_SW_SX_S14_S18_S1A_T6_T7_T9_mT8_S1C_bDpT10_ENKUlT_T0_E_clISt17integral_constantIbLb0EES1O_IbLb1EEEEDaS1K_S1L_EUlS1K_E_NS1_11comp_targetILNS1_3genE3ELNS1_11target_archE908ELNS1_3gpuE7ELNS1_3repE0EEENS1_30default_config_static_selectorELNS0_4arch9wavefront6targetE0EEEvSY_.kd
    .uniform_work_group_size: 1
    .uses_dynamic_stack: false
    .vgpr_count:     0
    .vgpr_spill_count: 0
    .wavefront_size: 32
  - .args:
      - .offset:         0
        .size:           152
        .value_kind:     by_value
    .group_segment_fixed_size: 0
    .kernarg_segment_align: 8
    .kernarg_segment_size: 152
    .language:       OpenCL C
    .language_version:
      - 2
      - 0
    .max_flat_workgroup_size: 256
    .name:           _ZN7rocprim17ROCPRIM_400000_NS6detail17trampoline_kernelINS0_13select_configILj256ELj13ELNS0_17block_load_methodE3ELS4_3ELS4_3ELNS0_20block_scan_algorithmE0ELj4294967295EEENS1_25partition_config_selectorILNS1_17partition_subalgoE3EjNS0_10empty_typeEbEEZZNS1_14partition_implILS8_3ELb0ES6_jNS0_17counting_iteratorIjlEEPS9_SE_NS0_5tupleIJPjSE_EEENSF_IJSE_SE_EEES9_SG_JZNS1_25segmented_radix_sort_implINS0_14default_configELb0EPKdPdPKlPlN2at6native12_GLOBAL__N_18offset_tEEE10hipError_tPvRmT1_PNSt15iterator_traitsISY_E10value_typeET2_T3_PNSZ_IS14_E10value_typeET4_jRbjT5_S1A_jjP12ihipStream_tbEUljE_EEESV_SW_SX_S14_S18_S1A_T6_T7_T9_mT8_S1C_bDpT10_ENKUlT_T0_E_clISt17integral_constantIbLb0EES1O_IbLb1EEEEDaS1K_S1L_EUlS1K_E_NS1_11comp_targetILNS1_3genE2ELNS1_11target_archE906ELNS1_3gpuE6ELNS1_3repE0EEENS1_30default_config_static_selectorELNS0_4arch9wavefront6targetE0EEEvSY_
    .private_segment_fixed_size: 0
    .sgpr_count:     0
    .sgpr_spill_count: 0
    .symbol:         _ZN7rocprim17ROCPRIM_400000_NS6detail17trampoline_kernelINS0_13select_configILj256ELj13ELNS0_17block_load_methodE3ELS4_3ELS4_3ELNS0_20block_scan_algorithmE0ELj4294967295EEENS1_25partition_config_selectorILNS1_17partition_subalgoE3EjNS0_10empty_typeEbEEZZNS1_14partition_implILS8_3ELb0ES6_jNS0_17counting_iteratorIjlEEPS9_SE_NS0_5tupleIJPjSE_EEENSF_IJSE_SE_EEES9_SG_JZNS1_25segmented_radix_sort_implINS0_14default_configELb0EPKdPdPKlPlN2at6native12_GLOBAL__N_18offset_tEEE10hipError_tPvRmT1_PNSt15iterator_traitsISY_E10value_typeET2_T3_PNSZ_IS14_E10value_typeET4_jRbjT5_S1A_jjP12ihipStream_tbEUljE_EEESV_SW_SX_S14_S18_S1A_T6_T7_T9_mT8_S1C_bDpT10_ENKUlT_T0_E_clISt17integral_constantIbLb0EES1O_IbLb1EEEEDaS1K_S1L_EUlS1K_E_NS1_11comp_targetILNS1_3genE2ELNS1_11target_archE906ELNS1_3gpuE6ELNS1_3repE0EEENS1_30default_config_static_selectorELNS0_4arch9wavefront6targetE0EEEvSY_.kd
    .uniform_work_group_size: 1
    .uses_dynamic_stack: false
    .vgpr_count:     0
    .vgpr_spill_count: 0
    .wavefront_size: 32
  - .args:
      - .offset:         0
        .size:           152
        .value_kind:     by_value
    .group_segment_fixed_size: 0
    .kernarg_segment_align: 8
    .kernarg_segment_size: 152
    .language:       OpenCL C
    .language_version:
      - 2
      - 0
    .max_flat_workgroup_size: 256
    .name:           _ZN7rocprim17ROCPRIM_400000_NS6detail17trampoline_kernelINS0_13select_configILj256ELj13ELNS0_17block_load_methodE3ELS4_3ELS4_3ELNS0_20block_scan_algorithmE0ELj4294967295EEENS1_25partition_config_selectorILNS1_17partition_subalgoE3EjNS0_10empty_typeEbEEZZNS1_14partition_implILS8_3ELb0ES6_jNS0_17counting_iteratorIjlEEPS9_SE_NS0_5tupleIJPjSE_EEENSF_IJSE_SE_EEES9_SG_JZNS1_25segmented_radix_sort_implINS0_14default_configELb0EPKdPdPKlPlN2at6native12_GLOBAL__N_18offset_tEEE10hipError_tPvRmT1_PNSt15iterator_traitsISY_E10value_typeET2_T3_PNSZ_IS14_E10value_typeET4_jRbjT5_S1A_jjP12ihipStream_tbEUljE_EEESV_SW_SX_S14_S18_S1A_T6_T7_T9_mT8_S1C_bDpT10_ENKUlT_T0_E_clISt17integral_constantIbLb0EES1O_IbLb1EEEEDaS1K_S1L_EUlS1K_E_NS1_11comp_targetILNS1_3genE10ELNS1_11target_archE1200ELNS1_3gpuE4ELNS1_3repE0EEENS1_30default_config_static_selectorELNS0_4arch9wavefront6targetE0EEEvSY_
    .private_segment_fixed_size: 0
    .sgpr_count:     0
    .sgpr_spill_count: 0
    .symbol:         _ZN7rocprim17ROCPRIM_400000_NS6detail17trampoline_kernelINS0_13select_configILj256ELj13ELNS0_17block_load_methodE3ELS4_3ELS4_3ELNS0_20block_scan_algorithmE0ELj4294967295EEENS1_25partition_config_selectorILNS1_17partition_subalgoE3EjNS0_10empty_typeEbEEZZNS1_14partition_implILS8_3ELb0ES6_jNS0_17counting_iteratorIjlEEPS9_SE_NS0_5tupleIJPjSE_EEENSF_IJSE_SE_EEES9_SG_JZNS1_25segmented_radix_sort_implINS0_14default_configELb0EPKdPdPKlPlN2at6native12_GLOBAL__N_18offset_tEEE10hipError_tPvRmT1_PNSt15iterator_traitsISY_E10value_typeET2_T3_PNSZ_IS14_E10value_typeET4_jRbjT5_S1A_jjP12ihipStream_tbEUljE_EEESV_SW_SX_S14_S18_S1A_T6_T7_T9_mT8_S1C_bDpT10_ENKUlT_T0_E_clISt17integral_constantIbLb0EES1O_IbLb1EEEEDaS1K_S1L_EUlS1K_E_NS1_11comp_targetILNS1_3genE10ELNS1_11target_archE1200ELNS1_3gpuE4ELNS1_3repE0EEENS1_30default_config_static_selectorELNS0_4arch9wavefront6targetE0EEEvSY_.kd
    .uniform_work_group_size: 1
    .uses_dynamic_stack: false
    .vgpr_count:     0
    .vgpr_spill_count: 0
    .wavefront_size: 32
  - .args:
      - .offset:         0
        .size:           152
        .value_kind:     by_value
    .group_segment_fixed_size: 0
    .kernarg_segment_align: 8
    .kernarg_segment_size: 152
    .language:       OpenCL C
    .language_version:
      - 2
      - 0
    .max_flat_workgroup_size: 256
    .name:           _ZN7rocprim17ROCPRIM_400000_NS6detail17trampoline_kernelINS0_13select_configILj256ELj13ELNS0_17block_load_methodE3ELS4_3ELS4_3ELNS0_20block_scan_algorithmE0ELj4294967295EEENS1_25partition_config_selectorILNS1_17partition_subalgoE3EjNS0_10empty_typeEbEEZZNS1_14partition_implILS8_3ELb0ES6_jNS0_17counting_iteratorIjlEEPS9_SE_NS0_5tupleIJPjSE_EEENSF_IJSE_SE_EEES9_SG_JZNS1_25segmented_radix_sort_implINS0_14default_configELb0EPKdPdPKlPlN2at6native12_GLOBAL__N_18offset_tEEE10hipError_tPvRmT1_PNSt15iterator_traitsISY_E10value_typeET2_T3_PNSZ_IS14_E10value_typeET4_jRbjT5_S1A_jjP12ihipStream_tbEUljE_EEESV_SW_SX_S14_S18_S1A_T6_T7_T9_mT8_S1C_bDpT10_ENKUlT_T0_E_clISt17integral_constantIbLb0EES1O_IbLb1EEEEDaS1K_S1L_EUlS1K_E_NS1_11comp_targetILNS1_3genE9ELNS1_11target_archE1100ELNS1_3gpuE3ELNS1_3repE0EEENS1_30default_config_static_selectorELNS0_4arch9wavefront6targetE0EEEvSY_
    .private_segment_fixed_size: 0
    .sgpr_count:     0
    .sgpr_spill_count: 0
    .symbol:         _ZN7rocprim17ROCPRIM_400000_NS6detail17trampoline_kernelINS0_13select_configILj256ELj13ELNS0_17block_load_methodE3ELS4_3ELS4_3ELNS0_20block_scan_algorithmE0ELj4294967295EEENS1_25partition_config_selectorILNS1_17partition_subalgoE3EjNS0_10empty_typeEbEEZZNS1_14partition_implILS8_3ELb0ES6_jNS0_17counting_iteratorIjlEEPS9_SE_NS0_5tupleIJPjSE_EEENSF_IJSE_SE_EEES9_SG_JZNS1_25segmented_radix_sort_implINS0_14default_configELb0EPKdPdPKlPlN2at6native12_GLOBAL__N_18offset_tEEE10hipError_tPvRmT1_PNSt15iterator_traitsISY_E10value_typeET2_T3_PNSZ_IS14_E10value_typeET4_jRbjT5_S1A_jjP12ihipStream_tbEUljE_EEESV_SW_SX_S14_S18_S1A_T6_T7_T9_mT8_S1C_bDpT10_ENKUlT_T0_E_clISt17integral_constantIbLb0EES1O_IbLb1EEEEDaS1K_S1L_EUlS1K_E_NS1_11comp_targetILNS1_3genE9ELNS1_11target_archE1100ELNS1_3gpuE3ELNS1_3repE0EEENS1_30default_config_static_selectorELNS0_4arch9wavefront6targetE0EEEvSY_.kd
    .uniform_work_group_size: 1
    .uses_dynamic_stack: false
    .vgpr_count:     0
    .vgpr_spill_count: 0
    .wavefront_size: 32
  - .args:
      - .offset:         0
        .size:           152
        .value_kind:     by_value
    .group_segment_fixed_size: 0
    .kernarg_segment_align: 8
    .kernarg_segment_size: 152
    .language:       OpenCL C
    .language_version:
      - 2
      - 0
    .max_flat_workgroup_size: 256
    .name:           _ZN7rocprim17ROCPRIM_400000_NS6detail17trampoline_kernelINS0_13select_configILj256ELj13ELNS0_17block_load_methodE3ELS4_3ELS4_3ELNS0_20block_scan_algorithmE0ELj4294967295EEENS1_25partition_config_selectorILNS1_17partition_subalgoE3EjNS0_10empty_typeEbEEZZNS1_14partition_implILS8_3ELb0ES6_jNS0_17counting_iteratorIjlEEPS9_SE_NS0_5tupleIJPjSE_EEENSF_IJSE_SE_EEES9_SG_JZNS1_25segmented_radix_sort_implINS0_14default_configELb0EPKdPdPKlPlN2at6native12_GLOBAL__N_18offset_tEEE10hipError_tPvRmT1_PNSt15iterator_traitsISY_E10value_typeET2_T3_PNSZ_IS14_E10value_typeET4_jRbjT5_S1A_jjP12ihipStream_tbEUljE_EEESV_SW_SX_S14_S18_S1A_T6_T7_T9_mT8_S1C_bDpT10_ENKUlT_T0_E_clISt17integral_constantIbLb0EES1O_IbLb1EEEEDaS1K_S1L_EUlS1K_E_NS1_11comp_targetILNS1_3genE8ELNS1_11target_archE1030ELNS1_3gpuE2ELNS1_3repE0EEENS1_30default_config_static_selectorELNS0_4arch9wavefront6targetE0EEEvSY_
    .private_segment_fixed_size: 0
    .sgpr_count:     0
    .sgpr_spill_count: 0
    .symbol:         _ZN7rocprim17ROCPRIM_400000_NS6detail17trampoline_kernelINS0_13select_configILj256ELj13ELNS0_17block_load_methodE3ELS4_3ELS4_3ELNS0_20block_scan_algorithmE0ELj4294967295EEENS1_25partition_config_selectorILNS1_17partition_subalgoE3EjNS0_10empty_typeEbEEZZNS1_14partition_implILS8_3ELb0ES6_jNS0_17counting_iteratorIjlEEPS9_SE_NS0_5tupleIJPjSE_EEENSF_IJSE_SE_EEES9_SG_JZNS1_25segmented_radix_sort_implINS0_14default_configELb0EPKdPdPKlPlN2at6native12_GLOBAL__N_18offset_tEEE10hipError_tPvRmT1_PNSt15iterator_traitsISY_E10value_typeET2_T3_PNSZ_IS14_E10value_typeET4_jRbjT5_S1A_jjP12ihipStream_tbEUljE_EEESV_SW_SX_S14_S18_S1A_T6_T7_T9_mT8_S1C_bDpT10_ENKUlT_T0_E_clISt17integral_constantIbLb0EES1O_IbLb1EEEEDaS1K_S1L_EUlS1K_E_NS1_11comp_targetILNS1_3genE8ELNS1_11target_archE1030ELNS1_3gpuE2ELNS1_3repE0EEENS1_30default_config_static_selectorELNS0_4arch9wavefront6targetE0EEEvSY_.kd
    .uniform_work_group_size: 1
    .uses_dynamic_stack: false
    .vgpr_count:     0
    .vgpr_spill_count: 0
    .wavefront_size: 32
  - .args:
      - .offset:         0
        .size:           96
        .value_kind:     by_value
      - .offset:         96
        .size:           4
        .value_kind:     hidden_block_count_x
      - .offset:         100
        .size:           4
        .value_kind:     hidden_block_count_y
      - .offset:         104
        .size:           4
        .value_kind:     hidden_block_count_z
      - .offset:         108
        .size:           2
        .value_kind:     hidden_group_size_x
      - .offset:         110
        .size:           2
        .value_kind:     hidden_group_size_y
      - .offset:         112
        .size:           2
        .value_kind:     hidden_group_size_z
      - .offset:         114
        .size:           2
        .value_kind:     hidden_remainder_x
      - .offset:         116
        .size:           2
        .value_kind:     hidden_remainder_y
      - .offset:         118
        .size:           2
        .value_kind:     hidden_remainder_z
      - .offset:         136
        .size:           8
        .value_kind:     hidden_global_offset_x
      - .offset:         144
        .size:           8
        .value_kind:     hidden_global_offset_y
      - .offset:         152
        .size:           8
        .value_kind:     hidden_global_offset_z
      - .offset:         160
        .size:           2
        .value_kind:     hidden_grid_dims
      - .offset:         176
        .size:           8
        .value_kind:     hidden_hostcall_buffer
      - .offset:         184
        .size:           8
        .value_kind:     hidden_multigrid_sync_arg
      - .offset:         192
        .size:           8
        .value_kind:     hidden_heap_v1
      - .offset:         200
        .size:           8
        .value_kind:     hidden_default_queue
      - .offset:         208
        .size:           8
        .value_kind:     hidden_completion_action
      - .offset:         296
        .size:           8
        .value_kind:     hidden_queue_ptr
    .group_segment_fixed_size: 33824
    .kernarg_segment_align: 8
    .kernarg_segment_size: 352
    .language:       OpenCL C
    .language_version:
      - 2
      - 0
    .max_flat_workgroup_size: 256
    .name:           _ZN7rocprim17ROCPRIM_400000_NS6detail17trampoline_kernelINS0_14default_configENS1_36segmented_radix_sort_config_selectorIdlEEZNS1_25segmented_radix_sort_implIS3_Lb0EPKdPdPKlPlN2at6native12_GLOBAL__N_18offset_tEEE10hipError_tPvRmT1_PNSt15iterator_traitsISK_E10value_typeET2_T3_PNSL_ISQ_E10value_typeET4_jRbjT5_SW_jjP12ihipStream_tbEUlT_E_NS1_11comp_targetILNS1_3genE0ELNS1_11target_archE4294967295ELNS1_3gpuE0ELNS1_3repE0EEENS1_30default_config_static_selectorELNS0_4arch9wavefront6targetE0EEEvSK_
    .private_segment_fixed_size: 0
    .sgpr_count:     65
    .sgpr_spill_count: 0
    .symbol:         _ZN7rocprim17ROCPRIM_400000_NS6detail17trampoline_kernelINS0_14default_configENS1_36segmented_radix_sort_config_selectorIdlEEZNS1_25segmented_radix_sort_implIS3_Lb0EPKdPdPKlPlN2at6native12_GLOBAL__N_18offset_tEEE10hipError_tPvRmT1_PNSt15iterator_traitsISK_E10value_typeET2_T3_PNSL_ISQ_E10value_typeET4_jRbjT5_SW_jjP12ihipStream_tbEUlT_E_NS1_11comp_targetILNS1_3genE0ELNS1_11target_archE4294967295ELNS1_3gpuE0ELNS1_3repE0EEENS1_30default_config_static_selectorELNS0_4arch9wavefront6targetE0EEEvSK_.kd
    .uniform_work_group_size: 1
    .uses_dynamic_stack: false
    .vgpr_count:     319
    .vgpr_spill_count: 0
    .wavefront_size: 32
  - .args:
      - .offset:         0
        .size:           96
        .value_kind:     by_value
    .group_segment_fixed_size: 0
    .kernarg_segment_align: 8
    .kernarg_segment_size: 96
    .language:       OpenCL C
    .language_version:
      - 2
      - 0
    .max_flat_workgroup_size: 256
    .name:           _ZN7rocprim17ROCPRIM_400000_NS6detail17trampoline_kernelINS0_14default_configENS1_36segmented_radix_sort_config_selectorIdlEEZNS1_25segmented_radix_sort_implIS3_Lb0EPKdPdPKlPlN2at6native12_GLOBAL__N_18offset_tEEE10hipError_tPvRmT1_PNSt15iterator_traitsISK_E10value_typeET2_T3_PNSL_ISQ_E10value_typeET4_jRbjT5_SW_jjP12ihipStream_tbEUlT_E_NS1_11comp_targetILNS1_3genE5ELNS1_11target_archE942ELNS1_3gpuE9ELNS1_3repE0EEENS1_30default_config_static_selectorELNS0_4arch9wavefront6targetE0EEEvSK_
    .private_segment_fixed_size: 0
    .sgpr_count:     0
    .sgpr_spill_count: 0
    .symbol:         _ZN7rocprim17ROCPRIM_400000_NS6detail17trampoline_kernelINS0_14default_configENS1_36segmented_radix_sort_config_selectorIdlEEZNS1_25segmented_radix_sort_implIS3_Lb0EPKdPdPKlPlN2at6native12_GLOBAL__N_18offset_tEEE10hipError_tPvRmT1_PNSt15iterator_traitsISK_E10value_typeET2_T3_PNSL_ISQ_E10value_typeET4_jRbjT5_SW_jjP12ihipStream_tbEUlT_E_NS1_11comp_targetILNS1_3genE5ELNS1_11target_archE942ELNS1_3gpuE9ELNS1_3repE0EEENS1_30default_config_static_selectorELNS0_4arch9wavefront6targetE0EEEvSK_.kd
    .uniform_work_group_size: 1
    .uses_dynamic_stack: false
    .vgpr_count:     0
    .vgpr_spill_count: 0
    .wavefront_size: 32
  - .args:
      - .offset:         0
        .size:           96
        .value_kind:     by_value
    .group_segment_fixed_size: 0
    .kernarg_segment_align: 8
    .kernarg_segment_size: 96
    .language:       OpenCL C
    .language_version:
      - 2
      - 0
    .max_flat_workgroup_size: 256
    .name:           _ZN7rocprim17ROCPRIM_400000_NS6detail17trampoline_kernelINS0_14default_configENS1_36segmented_radix_sort_config_selectorIdlEEZNS1_25segmented_radix_sort_implIS3_Lb0EPKdPdPKlPlN2at6native12_GLOBAL__N_18offset_tEEE10hipError_tPvRmT1_PNSt15iterator_traitsISK_E10value_typeET2_T3_PNSL_ISQ_E10value_typeET4_jRbjT5_SW_jjP12ihipStream_tbEUlT_E_NS1_11comp_targetILNS1_3genE4ELNS1_11target_archE910ELNS1_3gpuE8ELNS1_3repE0EEENS1_30default_config_static_selectorELNS0_4arch9wavefront6targetE0EEEvSK_
    .private_segment_fixed_size: 0
    .sgpr_count:     0
    .sgpr_spill_count: 0
    .symbol:         _ZN7rocprim17ROCPRIM_400000_NS6detail17trampoline_kernelINS0_14default_configENS1_36segmented_radix_sort_config_selectorIdlEEZNS1_25segmented_radix_sort_implIS3_Lb0EPKdPdPKlPlN2at6native12_GLOBAL__N_18offset_tEEE10hipError_tPvRmT1_PNSt15iterator_traitsISK_E10value_typeET2_T3_PNSL_ISQ_E10value_typeET4_jRbjT5_SW_jjP12ihipStream_tbEUlT_E_NS1_11comp_targetILNS1_3genE4ELNS1_11target_archE910ELNS1_3gpuE8ELNS1_3repE0EEENS1_30default_config_static_selectorELNS0_4arch9wavefront6targetE0EEEvSK_.kd
    .uniform_work_group_size: 1
    .uses_dynamic_stack: false
    .vgpr_count:     0
    .vgpr_spill_count: 0
    .wavefront_size: 32
  - .args:
      - .offset:         0
        .size:           96
        .value_kind:     by_value
    .group_segment_fixed_size: 0
    .kernarg_segment_align: 8
    .kernarg_segment_size: 96
    .language:       OpenCL C
    .language_version:
      - 2
      - 0
    .max_flat_workgroup_size: 256
    .name:           _ZN7rocprim17ROCPRIM_400000_NS6detail17trampoline_kernelINS0_14default_configENS1_36segmented_radix_sort_config_selectorIdlEEZNS1_25segmented_radix_sort_implIS3_Lb0EPKdPdPKlPlN2at6native12_GLOBAL__N_18offset_tEEE10hipError_tPvRmT1_PNSt15iterator_traitsISK_E10value_typeET2_T3_PNSL_ISQ_E10value_typeET4_jRbjT5_SW_jjP12ihipStream_tbEUlT_E_NS1_11comp_targetILNS1_3genE3ELNS1_11target_archE908ELNS1_3gpuE7ELNS1_3repE0EEENS1_30default_config_static_selectorELNS0_4arch9wavefront6targetE0EEEvSK_
    .private_segment_fixed_size: 0
    .sgpr_count:     0
    .sgpr_spill_count: 0
    .symbol:         _ZN7rocprim17ROCPRIM_400000_NS6detail17trampoline_kernelINS0_14default_configENS1_36segmented_radix_sort_config_selectorIdlEEZNS1_25segmented_radix_sort_implIS3_Lb0EPKdPdPKlPlN2at6native12_GLOBAL__N_18offset_tEEE10hipError_tPvRmT1_PNSt15iterator_traitsISK_E10value_typeET2_T3_PNSL_ISQ_E10value_typeET4_jRbjT5_SW_jjP12ihipStream_tbEUlT_E_NS1_11comp_targetILNS1_3genE3ELNS1_11target_archE908ELNS1_3gpuE7ELNS1_3repE0EEENS1_30default_config_static_selectorELNS0_4arch9wavefront6targetE0EEEvSK_.kd
    .uniform_work_group_size: 1
    .uses_dynamic_stack: false
    .vgpr_count:     0
    .vgpr_spill_count: 0
    .wavefront_size: 32
  - .args:
      - .offset:         0
        .size:           96
        .value_kind:     by_value
    .group_segment_fixed_size: 0
    .kernarg_segment_align: 8
    .kernarg_segment_size: 96
    .language:       OpenCL C
    .language_version:
      - 2
      - 0
    .max_flat_workgroup_size: 256
    .name:           _ZN7rocprim17ROCPRIM_400000_NS6detail17trampoline_kernelINS0_14default_configENS1_36segmented_radix_sort_config_selectorIdlEEZNS1_25segmented_radix_sort_implIS3_Lb0EPKdPdPKlPlN2at6native12_GLOBAL__N_18offset_tEEE10hipError_tPvRmT1_PNSt15iterator_traitsISK_E10value_typeET2_T3_PNSL_ISQ_E10value_typeET4_jRbjT5_SW_jjP12ihipStream_tbEUlT_E_NS1_11comp_targetILNS1_3genE2ELNS1_11target_archE906ELNS1_3gpuE6ELNS1_3repE0EEENS1_30default_config_static_selectorELNS0_4arch9wavefront6targetE0EEEvSK_
    .private_segment_fixed_size: 0
    .sgpr_count:     0
    .sgpr_spill_count: 0
    .symbol:         _ZN7rocprim17ROCPRIM_400000_NS6detail17trampoline_kernelINS0_14default_configENS1_36segmented_radix_sort_config_selectorIdlEEZNS1_25segmented_radix_sort_implIS3_Lb0EPKdPdPKlPlN2at6native12_GLOBAL__N_18offset_tEEE10hipError_tPvRmT1_PNSt15iterator_traitsISK_E10value_typeET2_T3_PNSL_ISQ_E10value_typeET4_jRbjT5_SW_jjP12ihipStream_tbEUlT_E_NS1_11comp_targetILNS1_3genE2ELNS1_11target_archE906ELNS1_3gpuE6ELNS1_3repE0EEENS1_30default_config_static_selectorELNS0_4arch9wavefront6targetE0EEEvSK_.kd
    .uniform_work_group_size: 1
    .uses_dynamic_stack: false
    .vgpr_count:     0
    .vgpr_spill_count: 0
    .wavefront_size: 32
  - .args:
      - .offset:         0
        .size:           96
        .value_kind:     by_value
    .group_segment_fixed_size: 0
    .kernarg_segment_align: 8
    .kernarg_segment_size: 96
    .language:       OpenCL C
    .language_version:
      - 2
      - 0
    .max_flat_workgroup_size: 256
    .name:           _ZN7rocprim17ROCPRIM_400000_NS6detail17trampoline_kernelINS0_14default_configENS1_36segmented_radix_sort_config_selectorIdlEEZNS1_25segmented_radix_sort_implIS3_Lb0EPKdPdPKlPlN2at6native12_GLOBAL__N_18offset_tEEE10hipError_tPvRmT1_PNSt15iterator_traitsISK_E10value_typeET2_T3_PNSL_ISQ_E10value_typeET4_jRbjT5_SW_jjP12ihipStream_tbEUlT_E_NS1_11comp_targetILNS1_3genE10ELNS1_11target_archE1201ELNS1_3gpuE5ELNS1_3repE0EEENS1_30default_config_static_selectorELNS0_4arch9wavefront6targetE0EEEvSK_
    .private_segment_fixed_size: 0
    .sgpr_count:     0
    .sgpr_spill_count: 0
    .symbol:         _ZN7rocprim17ROCPRIM_400000_NS6detail17trampoline_kernelINS0_14default_configENS1_36segmented_radix_sort_config_selectorIdlEEZNS1_25segmented_radix_sort_implIS3_Lb0EPKdPdPKlPlN2at6native12_GLOBAL__N_18offset_tEEE10hipError_tPvRmT1_PNSt15iterator_traitsISK_E10value_typeET2_T3_PNSL_ISQ_E10value_typeET4_jRbjT5_SW_jjP12ihipStream_tbEUlT_E_NS1_11comp_targetILNS1_3genE10ELNS1_11target_archE1201ELNS1_3gpuE5ELNS1_3repE0EEENS1_30default_config_static_selectorELNS0_4arch9wavefront6targetE0EEEvSK_.kd
    .uniform_work_group_size: 1
    .uses_dynamic_stack: false
    .vgpr_count:     0
    .vgpr_spill_count: 0
    .wavefront_size: 32
  - .args:
      - .offset:         0
        .size:           96
        .value_kind:     by_value
    .group_segment_fixed_size: 0
    .kernarg_segment_align: 8
    .kernarg_segment_size: 96
    .language:       OpenCL C
    .language_version:
      - 2
      - 0
    .max_flat_workgroup_size: 128
    .name:           _ZN7rocprim17ROCPRIM_400000_NS6detail17trampoline_kernelINS0_14default_configENS1_36segmented_radix_sort_config_selectorIdlEEZNS1_25segmented_radix_sort_implIS3_Lb0EPKdPdPKlPlN2at6native12_GLOBAL__N_18offset_tEEE10hipError_tPvRmT1_PNSt15iterator_traitsISK_E10value_typeET2_T3_PNSL_ISQ_E10value_typeET4_jRbjT5_SW_jjP12ihipStream_tbEUlT_E_NS1_11comp_targetILNS1_3genE10ELNS1_11target_archE1200ELNS1_3gpuE4ELNS1_3repE0EEENS1_30default_config_static_selectorELNS0_4arch9wavefront6targetE0EEEvSK_
    .private_segment_fixed_size: 0
    .sgpr_count:     0
    .sgpr_spill_count: 0
    .symbol:         _ZN7rocprim17ROCPRIM_400000_NS6detail17trampoline_kernelINS0_14default_configENS1_36segmented_radix_sort_config_selectorIdlEEZNS1_25segmented_radix_sort_implIS3_Lb0EPKdPdPKlPlN2at6native12_GLOBAL__N_18offset_tEEE10hipError_tPvRmT1_PNSt15iterator_traitsISK_E10value_typeET2_T3_PNSL_ISQ_E10value_typeET4_jRbjT5_SW_jjP12ihipStream_tbEUlT_E_NS1_11comp_targetILNS1_3genE10ELNS1_11target_archE1200ELNS1_3gpuE4ELNS1_3repE0EEENS1_30default_config_static_selectorELNS0_4arch9wavefront6targetE0EEEvSK_.kd
    .uniform_work_group_size: 1
    .uses_dynamic_stack: false
    .vgpr_count:     0
    .vgpr_spill_count: 0
    .wavefront_size: 32
  - .args:
      - .offset:         0
        .size:           96
        .value_kind:     by_value
    .group_segment_fixed_size: 0
    .kernarg_segment_align: 8
    .kernarg_segment_size: 96
    .language:       OpenCL C
    .language_version:
      - 2
      - 0
    .max_flat_workgroup_size: 256
    .name:           _ZN7rocprim17ROCPRIM_400000_NS6detail17trampoline_kernelINS0_14default_configENS1_36segmented_radix_sort_config_selectorIdlEEZNS1_25segmented_radix_sort_implIS3_Lb0EPKdPdPKlPlN2at6native12_GLOBAL__N_18offset_tEEE10hipError_tPvRmT1_PNSt15iterator_traitsISK_E10value_typeET2_T3_PNSL_ISQ_E10value_typeET4_jRbjT5_SW_jjP12ihipStream_tbEUlT_E_NS1_11comp_targetILNS1_3genE9ELNS1_11target_archE1100ELNS1_3gpuE3ELNS1_3repE0EEENS1_30default_config_static_selectorELNS0_4arch9wavefront6targetE0EEEvSK_
    .private_segment_fixed_size: 0
    .sgpr_count:     0
    .sgpr_spill_count: 0
    .symbol:         _ZN7rocprim17ROCPRIM_400000_NS6detail17trampoline_kernelINS0_14default_configENS1_36segmented_radix_sort_config_selectorIdlEEZNS1_25segmented_radix_sort_implIS3_Lb0EPKdPdPKlPlN2at6native12_GLOBAL__N_18offset_tEEE10hipError_tPvRmT1_PNSt15iterator_traitsISK_E10value_typeET2_T3_PNSL_ISQ_E10value_typeET4_jRbjT5_SW_jjP12ihipStream_tbEUlT_E_NS1_11comp_targetILNS1_3genE9ELNS1_11target_archE1100ELNS1_3gpuE3ELNS1_3repE0EEENS1_30default_config_static_selectorELNS0_4arch9wavefront6targetE0EEEvSK_.kd
    .uniform_work_group_size: 1
    .uses_dynamic_stack: false
    .vgpr_count:     0
    .vgpr_spill_count: 0
    .wavefront_size: 32
  - .args:
      - .offset:         0
        .size:           96
        .value_kind:     by_value
    .group_segment_fixed_size: 0
    .kernarg_segment_align: 8
    .kernarg_segment_size: 96
    .language:       OpenCL C
    .language_version:
      - 2
      - 0
    .max_flat_workgroup_size: 256
    .name:           _ZN7rocprim17ROCPRIM_400000_NS6detail17trampoline_kernelINS0_14default_configENS1_36segmented_radix_sort_config_selectorIdlEEZNS1_25segmented_radix_sort_implIS3_Lb0EPKdPdPKlPlN2at6native12_GLOBAL__N_18offset_tEEE10hipError_tPvRmT1_PNSt15iterator_traitsISK_E10value_typeET2_T3_PNSL_ISQ_E10value_typeET4_jRbjT5_SW_jjP12ihipStream_tbEUlT_E_NS1_11comp_targetILNS1_3genE8ELNS1_11target_archE1030ELNS1_3gpuE2ELNS1_3repE0EEENS1_30default_config_static_selectorELNS0_4arch9wavefront6targetE0EEEvSK_
    .private_segment_fixed_size: 0
    .sgpr_count:     0
    .sgpr_spill_count: 0
    .symbol:         _ZN7rocprim17ROCPRIM_400000_NS6detail17trampoline_kernelINS0_14default_configENS1_36segmented_radix_sort_config_selectorIdlEEZNS1_25segmented_radix_sort_implIS3_Lb0EPKdPdPKlPlN2at6native12_GLOBAL__N_18offset_tEEE10hipError_tPvRmT1_PNSt15iterator_traitsISK_E10value_typeET2_T3_PNSL_ISQ_E10value_typeET4_jRbjT5_SW_jjP12ihipStream_tbEUlT_E_NS1_11comp_targetILNS1_3genE8ELNS1_11target_archE1030ELNS1_3gpuE2ELNS1_3repE0EEENS1_30default_config_static_selectorELNS0_4arch9wavefront6targetE0EEEvSK_.kd
    .uniform_work_group_size: 1
    .uses_dynamic_stack: false
    .vgpr_count:     0
    .vgpr_spill_count: 0
    .wavefront_size: 32
  - .args:
      - .offset:         0
        .size:           88
        .value_kind:     by_value
      - .offset:         88
        .size:           4
        .value_kind:     hidden_block_count_x
      - .offset:         92
        .size:           4
        .value_kind:     hidden_block_count_y
      - .offset:         96
        .size:           4
        .value_kind:     hidden_block_count_z
      - .offset:         100
        .size:           2
        .value_kind:     hidden_group_size_x
      - .offset:         102
        .size:           2
        .value_kind:     hidden_group_size_y
      - .offset:         104
        .size:           2
        .value_kind:     hidden_group_size_z
      - .offset:         106
        .size:           2
        .value_kind:     hidden_remainder_x
      - .offset:         108
        .size:           2
        .value_kind:     hidden_remainder_y
      - .offset:         110
        .size:           2
        .value_kind:     hidden_remainder_z
      - .offset:         128
        .size:           8
        .value_kind:     hidden_global_offset_x
      - .offset:         136
        .size:           8
        .value_kind:     hidden_global_offset_y
      - .offset:         144
        .size:           8
        .value_kind:     hidden_global_offset_z
      - .offset:         152
        .size:           2
        .value_kind:     hidden_grid_dims
      - .offset:         168
        .size:           8
        .value_kind:     hidden_hostcall_buffer
      - .offset:         176
        .size:           8
        .value_kind:     hidden_multigrid_sync_arg
      - .offset:         184
        .size:           8
        .value_kind:     hidden_heap_v1
      - .offset:         192
        .size:           8
        .value_kind:     hidden_default_queue
      - .offset:         200
        .size:           8
        .value_kind:     hidden_completion_action
      - .offset:         288
        .size:           8
        .value_kind:     hidden_queue_ptr
    .group_segment_fixed_size: 32768
    .kernarg_segment_align: 8
    .kernarg_segment_size: 344
    .language:       OpenCL C
    .language_version:
      - 2
      - 0
    .max_flat_workgroup_size: 256
    .name:           _ZN7rocprim17ROCPRIM_400000_NS6detail17trampoline_kernelINS0_14default_configENS1_36segmented_radix_sort_config_selectorIdlEEZNS1_25segmented_radix_sort_implIS3_Lb0EPKdPdPKlPlN2at6native12_GLOBAL__N_18offset_tEEE10hipError_tPvRmT1_PNSt15iterator_traitsISK_E10value_typeET2_T3_PNSL_ISQ_E10value_typeET4_jRbjT5_SW_jjP12ihipStream_tbEUlT_E0_NS1_11comp_targetILNS1_3genE0ELNS1_11target_archE4294967295ELNS1_3gpuE0ELNS1_3repE0EEENS1_60segmented_radix_sort_warp_sort_medium_config_static_selectorELNS0_4arch9wavefront6targetE0EEEvSK_
    .private_segment_fixed_size: 0
    .sgpr_count:     46
    .sgpr_spill_count: 0
    .symbol:         _ZN7rocprim17ROCPRIM_400000_NS6detail17trampoline_kernelINS0_14default_configENS1_36segmented_radix_sort_config_selectorIdlEEZNS1_25segmented_radix_sort_implIS3_Lb0EPKdPdPKlPlN2at6native12_GLOBAL__N_18offset_tEEE10hipError_tPvRmT1_PNSt15iterator_traitsISK_E10value_typeET2_T3_PNSL_ISQ_E10value_typeET4_jRbjT5_SW_jjP12ihipStream_tbEUlT_E0_NS1_11comp_targetILNS1_3genE0ELNS1_11target_archE4294967295ELNS1_3gpuE0ELNS1_3repE0EEENS1_60segmented_radix_sort_warp_sort_medium_config_static_selectorELNS0_4arch9wavefront6targetE0EEEvSK_.kd
    .uniform_work_group_size: 1
    .uses_dynamic_stack: false
    .vgpr_count:     104
    .vgpr_spill_count: 0
    .wavefront_size: 32
  - .args:
      - .offset:         0
        .size:           88
        .value_kind:     by_value
    .group_segment_fixed_size: 0
    .kernarg_segment_align: 8
    .kernarg_segment_size: 88
    .language:       OpenCL C
    .language_version:
      - 2
      - 0
    .max_flat_workgroup_size: 256
    .name:           _ZN7rocprim17ROCPRIM_400000_NS6detail17trampoline_kernelINS0_14default_configENS1_36segmented_radix_sort_config_selectorIdlEEZNS1_25segmented_radix_sort_implIS3_Lb0EPKdPdPKlPlN2at6native12_GLOBAL__N_18offset_tEEE10hipError_tPvRmT1_PNSt15iterator_traitsISK_E10value_typeET2_T3_PNSL_ISQ_E10value_typeET4_jRbjT5_SW_jjP12ihipStream_tbEUlT_E0_NS1_11comp_targetILNS1_3genE5ELNS1_11target_archE942ELNS1_3gpuE9ELNS1_3repE0EEENS1_60segmented_radix_sort_warp_sort_medium_config_static_selectorELNS0_4arch9wavefront6targetE0EEEvSK_
    .private_segment_fixed_size: 0
    .sgpr_count:     0
    .sgpr_spill_count: 0
    .symbol:         _ZN7rocprim17ROCPRIM_400000_NS6detail17trampoline_kernelINS0_14default_configENS1_36segmented_radix_sort_config_selectorIdlEEZNS1_25segmented_radix_sort_implIS3_Lb0EPKdPdPKlPlN2at6native12_GLOBAL__N_18offset_tEEE10hipError_tPvRmT1_PNSt15iterator_traitsISK_E10value_typeET2_T3_PNSL_ISQ_E10value_typeET4_jRbjT5_SW_jjP12ihipStream_tbEUlT_E0_NS1_11comp_targetILNS1_3genE5ELNS1_11target_archE942ELNS1_3gpuE9ELNS1_3repE0EEENS1_60segmented_radix_sort_warp_sort_medium_config_static_selectorELNS0_4arch9wavefront6targetE0EEEvSK_.kd
    .uniform_work_group_size: 1
    .uses_dynamic_stack: false
    .vgpr_count:     0
    .vgpr_spill_count: 0
    .wavefront_size: 32
  - .args:
      - .offset:         0
        .size:           88
        .value_kind:     by_value
    .group_segment_fixed_size: 0
    .kernarg_segment_align: 8
    .kernarg_segment_size: 88
    .language:       OpenCL C
    .language_version:
      - 2
      - 0
    .max_flat_workgroup_size: 256
    .name:           _ZN7rocprim17ROCPRIM_400000_NS6detail17trampoline_kernelINS0_14default_configENS1_36segmented_radix_sort_config_selectorIdlEEZNS1_25segmented_radix_sort_implIS3_Lb0EPKdPdPKlPlN2at6native12_GLOBAL__N_18offset_tEEE10hipError_tPvRmT1_PNSt15iterator_traitsISK_E10value_typeET2_T3_PNSL_ISQ_E10value_typeET4_jRbjT5_SW_jjP12ihipStream_tbEUlT_E0_NS1_11comp_targetILNS1_3genE4ELNS1_11target_archE910ELNS1_3gpuE8ELNS1_3repE0EEENS1_60segmented_radix_sort_warp_sort_medium_config_static_selectorELNS0_4arch9wavefront6targetE0EEEvSK_
    .private_segment_fixed_size: 0
    .sgpr_count:     0
    .sgpr_spill_count: 0
    .symbol:         _ZN7rocprim17ROCPRIM_400000_NS6detail17trampoline_kernelINS0_14default_configENS1_36segmented_radix_sort_config_selectorIdlEEZNS1_25segmented_radix_sort_implIS3_Lb0EPKdPdPKlPlN2at6native12_GLOBAL__N_18offset_tEEE10hipError_tPvRmT1_PNSt15iterator_traitsISK_E10value_typeET2_T3_PNSL_ISQ_E10value_typeET4_jRbjT5_SW_jjP12ihipStream_tbEUlT_E0_NS1_11comp_targetILNS1_3genE4ELNS1_11target_archE910ELNS1_3gpuE8ELNS1_3repE0EEENS1_60segmented_radix_sort_warp_sort_medium_config_static_selectorELNS0_4arch9wavefront6targetE0EEEvSK_.kd
    .uniform_work_group_size: 1
    .uses_dynamic_stack: false
    .vgpr_count:     0
    .vgpr_spill_count: 0
    .wavefront_size: 32
  - .args:
      - .offset:         0
        .size:           88
        .value_kind:     by_value
    .group_segment_fixed_size: 0
    .kernarg_segment_align: 8
    .kernarg_segment_size: 88
    .language:       OpenCL C
    .language_version:
      - 2
      - 0
    .max_flat_workgroup_size: 256
    .name:           _ZN7rocprim17ROCPRIM_400000_NS6detail17trampoline_kernelINS0_14default_configENS1_36segmented_radix_sort_config_selectorIdlEEZNS1_25segmented_radix_sort_implIS3_Lb0EPKdPdPKlPlN2at6native12_GLOBAL__N_18offset_tEEE10hipError_tPvRmT1_PNSt15iterator_traitsISK_E10value_typeET2_T3_PNSL_ISQ_E10value_typeET4_jRbjT5_SW_jjP12ihipStream_tbEUlT_E0_NS1_11comp_targetILNS1_3genE3ELNS1_11target_archE908ELNS1_3gpuE7ELNS1_3repE0EEENS1_60segmented_radix_sort_warp_sort_medium_config_static_selectorELNS0_4arch9wavefront6targetE0EEEvSK_
    .private_segment_fixed_size: 0
    .sgpr_count:     0
    .sgpr_spill_count: 0
    .symbol:         _ZN7rocprim17ROCPRIM_400000_NS6detail17trampoline_kernelINS0_14default_configENS1_36segmented_radix_sort_config_selectorIdlEEZNS1_25segmented_radix_sort_implIS3_Lb0EPKdPdPKlPlN2at6native12_GLOBAL__N_18offset_tEEE10hipError_tPvRmT1_PNSt15iterator_traitsISK_E10value_typeET2_T3_PNSL_ISQ_E10value_typeET4_jRbjT5_SW_jjP12ihipStream_tbEUlT_E0_NS1_11comp_targetILNS1_3genE3ELNS1_11target_archE908ELNS1_3gpuE7ELNS1_3repE0EEENS1_60segmented_radix_sort_warp_sort_medium_config_static_selectorELNS0_4arch9wavefront6targetE0EEEvSK_.kd
    .uniform_work_group_size: 1
    .uses_dynamic_stack: false
    .vgpr_count:     0
    .vgpr_spill_count: 0
    .wavefront_size: 32
  - .args:
      - .offset:         0
        .size:           88
        .value_kind:     by_value
    .group_segment_fixed_size: 0
    .kernarg_segment_align: 8
    .kernarg_segment_size: 88
    .language:       OpenCL C
    .language_version:
      - 2
      - 0
    .max_flat_workgroup_size: 256
    .name:           _ZN7rocprim17ROCPRIM_400000_NS6detail17trampoline_kernelINS0_14default_configENS1_36segmented_radix_sort_config_selectorIdlEEZNS1_25segmented_radix_sort_implIS3_Lb0EPKdPdPKlPlN2at6native12_GLOBAL__N_18offset_tEEE10hipError_tPvRmT1_PNSt15iterator_traitsISK_E10value_typeET2_T3_PNSL_ISQ_E10value_typeET4_jRbjT5_SW_jjP12ihipStream_tbEUlT_E0_NS1_11comp_targetILNS1_3genE2ELNS1_11target_archE906ELNS1_3gpuE6ELNS1_3repE0EEENS1_60segmented_radix_sort_warp_sort_medium_config_static_selectorELNS0_4arch9wavefront6targetE0EEEvSK_
    .private_segment_fixed_size: 0
    .sgpr_count:     0
    .sgpr_spill_count: 0
    .symbol:         _ZN7rocprim17ROCPRIM_400000_NS6detail17trampoline_kernelINS0_14default_configENS1_36segmented_radix_sort_config_selectorIdlEEZNS1_25segmented_radix_sort_implIS3_Lb0EPKdPdPKlPlN2at6native12_GLOBAL__N_18offset_tEEE10hipError_tPvRmT1_PNSt15iterator_traitsISK_E10value_typeET2_T3_PNSL_ISQ_E10value_typeET4_jRbjT5_SW_jjP12ihipStream_tbEUlT_E0_NS1_11comp_targetILNS1_3genE2ELNS1_11target_archE906ELNS1_3gpuE6ELNS1_3repE0EEENS1_60segmented_radix_sort_warp_sort_medium_config_static_selectorELNS0_4arch9wavefront6targetE0EEEvSK_.kd
    .uniform_work_group_size: 1
    .uses_dynamic_stack: false
    .vgpr_count:     0
    .vgpr_spill_count: 0
    .wavefront_size: 32
  - .args:
      - .offset:         0
        .size:           88
        .value_kind:     by_value
    .group_segment_fixed_size: 0
    .kernarg_segment_align: 8
    .kernarg_segment_size: 88
    .language:       OpenCL C
    .language_version:
      - 2
      - 0
    .max_flat_workgroup_size: 256
    .name:           _ZN7rocprim17ROCPRIM_400000_NS6detail17trampoline_kernelINS0_14default_configENS1_36segmented_radix_sort_config_selectorIdlEEZNS1_25segmented_radix_sort_implIS3_Lb0EPKdPdPKlPlN2at6native12_GLOBAL__N_18offset_tEEE10hipError_tPvRmT1_PNSt15iterator_traitsISK_E10value_typeET2_T3_PNSL_ISQ_E10value_typeET4_jRbjT5_SW_jjP12ihipStream_tbEUlT_E0_NS1_11comp_targetILNS1_3genE10ELNS1_11target_archE1201ELNS1_3gpuE5ELNS1_3repE0EEENS1_60segmented_radix_sort_warp_sort_medium_config_static_selectorELNS0_4arch9wavefront6targetE0EEEvSK_
    .private_segment_fixed_size: 0
    .sgpr_count:     0
    .sgpr_spill_count: 0
    .symbol:         _ZN7rocprim17ROCPRIM_400000_NS6detail17trampoline_kernelINS0_14default_configENS1_36segmented_radix_sort_config_selectorIdlEEZNS1_25segmented_radix_sort_implIS3_Lb0EPKdPdPKlPlN2at6native12_GLOBAL__N_18offset_tEEE10hipError_tPvRmT1_PNSt15iterator_traitsISK_E10value_typeET2_T3_PNSL_ISQ_E10value_typeET4_jRbjT5_SW_jjP12ihipStream_tbEUlT_E0_NS1_11comp_targetILNS1_3genE10ELNS1_11target_archE1201ELNS1_3gpuE5ELNS1_3repE0EEENS1_60segmented_radix_sort_warp_sort_medium_config_static_selectorELNS0_4arch9wavefront6targetE0EEEvSK_.kd
    .uniform_work_group_size: 1
    .uses_dynamic_stack: false
    .vgpr_count:     0
    .vgpr_spill_count: 0
    .wavefront_size: 32
  - .args:
      - .offset:         0
        .size:           88
        .value_kind:     by_value
    .group_segment_fixed_size: 0
    .kernarg_segment_align: 8
    .kernarg_segment_size: 88
    .language:       OpenCL C
    .language_version:
      - 2
      - 0
    .max_flat_workgroup_size: 256
    .name:           _ZN7rocprim17ROCPRIM_400000_NS6detail17trampoline_kernelINS0_14default_configENS1_36segmented_radix_sort_config_selectorIdlEEZNS1_25segmented_radix_sort_implIS3_Lb0EPKdPdPKlPlN2at6native12_GLOBAL__N_18offset_tEEE10hipError_tPvRmT1_PNSt15iterator_traitsISK_E10value_typeET2_T3_PNSL_ISQ_E10value_typeET4_jRbjT5_SW_jjP12ihipStream_tbEUlT_E0_NS1_11comp_targetILNS1_3genE10ELNS1_11target_archE1200ELNS1_3gpuE4ELNS1_3repE0EEENS1_60segmented_radix_sort_warp_sort_medium_config_static_selectorELNS0_4arch9wavefront6targetE0EEEvSK_
    .private_segment_fixed_size: 0
    .sgpr_count:     0
    .sgpr_spill_count: 0
    .symbol:         _ZN7rocprim17ROCPRIM_400000_NS6detail17trampoline_kernelINS0_14default_configENS1_36segmented_radix_sort_config_selectorIdlEEZNS1_25segmented_radix_sort_implIS3_Lb0EPKdPdPKlPlN2at6native12_GLOBAL__N_18offset_tEEE10hipError_tPvRmT1_PNSt15iterator_traitsISK_E10value_typeET2_T3_PNSL_ISQ_E10value_typeET4_jRbjT5_SW_jjP12ihipStream_tbEUlT_E0_NS1_11comp_targetILNS1_3genE10ELNS1_11target_archE1200ELNS1_3gpuE4ELNS1_3repE0EEENS1_60segmented_radix_sort_warp_sort_medium_config_static_selectorELNS0_4arch9wavefront6targetE0EEEvSK_.kd
    .uniform_work_group_size: 1
    .uses_dynamic_stack: false
    .vgpr_count:     0
    .vgpr_spill_count: 0
    .wavefront_size: 32
  - .args:
      - .offset:         0
        .size:           88
        .value_kind:     by_value
    .group_segment_fixed_size: 0
    .kernarg_segment_align: 8
    .kernarg_segment_size: 88
    .language:       OpenCL C
    .language_version:
      - 2
      - 0
    .max_flat_workgroup_size: 256
    .name:           _ZN7rocprim17ROCPRIM_400000_NS6detail17trampoline_kernelINS0_14default_configENS1_36segmented_radix_sort_config_selectorIdlEEZNS1_25segmented_radix_sort_implIS3_Lb0EPKdPdPKlPlN2at6native12_GLOBAL__N_18offset_tEEE10hipError_tPvRmT1_PNSt15iterator_traitsISK_E10value_typeET2_T3_PNSL_ISQ_E10value_typeET4_jRbjT5_SW_jjP12ihipStream_tbEUlT_E0_NS1_11comp_targetILNS1_3genE9ELNS1_11target_archE1100ELNS1_3gpuE3ELNS1_3repE0EEENS1_60segmented_radix_sort_warp_sort_medium_config_static_selectorELNS0_4arch9wavefront6targetE0EEEvSK_
    .private_segment_fixed_size: 0
    .sgpr_count:     0
    .sgpr_spill_count: 0
    .symbol:         _ZN7rocprim17ROCPRIM_400000_NS6detail17trampoline_kernelINS0_14default_configENS1_36segmented_radix_sort_config_selectorIdlEEZNS1_25segmented_radix_sort_implIS3_Lb0EPKdPdPKlPlN2at6native12_GLOBAL__N_18offset_tEEE10hipError_tPvRmT1_PNSt15iterator_traitsISK_E10value_typeET2_T3_PNSL_ISQ_E10value_typeET4_jRbjT5_SW_jjP12ihipStream_tbEUlT_E0_NS1_11comp_targetILNS1_3genE9ELNS1_11target_archE1100ELNS1_3gpuE3ELNS1_3repE0EEENS1_60segmented_radix_sort_warp_sort_medium_config_static_selectorELNS0_4arch9wavefront6targetE0EEEvSK_.kd
    .uniform_work_group_size: 1
    .uses_dynamic_stack: false
    .vgpr_count:     0
    .vgpr_spill_count: 0
    .wavefront_size: 32
  - .args:
      - .offset:         0
        .size:           88
        .value_kind:     by_value
    .group_segment_fixed_size: 0
    .kernarg_segment_align: 8
    .kernarg_segment_size: 88
    .language:       OpenCL C
    .language_version:
      - 2
      - 0
    .max_flat_workgroup_size: 256
    .name:           _ZN7rocprim17ROCPRIM_400000_NS6detail17trampoline_kernelINS0_14default_configENS1_36segmented_radix_sort_config_selectorIdlEEZNS1_25segmented_radix_sort_implIS3_Lb0EPKdPdPKlPlN2at6native12_GLOBAL__N_18offset_tEEE10hipError_tPvRmT1_PNSt15iterator_traitsISK_E10value_typeET2_T3_PNSL_ISQ_E10value_typeET4_jRbjT5_SW_jjP12ihipStream_tbEUlT_E0_NS1_11comp_targetILNS1_3genE8ELNS1_11target_archE1030ELNS1_3gpuE2ELNS1_3repE0EEENS1_60segmented_radix_sort_warp_sort_medium_config_static_selectorELNS0_4arch9wavefront6targetE0EEEvSK_
    .private_segment_fixed_size: 0
    .sgpr_count:     0
    .sgpr_spill_count: 0
    .symbol:         _ZN7rocprim17ROCPRIM_400000_NS6detail17trampoline_kernelINS0_14default_configENS1_36segmented_radix_sort_config_selectorIdlEEZNS1_25segmented_radix_sort_implIS3_Lb0EPKdPdPKlPlN2at6native12_GLOBAL__N_18offset_tEEE10hipError_tPvRmT1_PNSt15iterator_traitsISK_E10value_typeET2_T3_PNSL_ISQ_E10value_typeET4_jRbjT5_SW_jjP12ihipStream_tbEUlT_E0_NS1_11comp_targetILNS1_3genE8ELNS1_11target_archE1030ELNS1_3gpuE2ELNS1_3repE0EEENS1_60segmented_radix_sort_warp_sort_medium_config_static_selectorELNS0_4arch9wavefront6targetE0EEEvSK_.kd
    .uniform_work_group_size: 1
    .uses_dynamic_stack: false
    .vgpr_count:     0
    .vgpr_spill_count: 0
    .wavefront_size: 32
  - .args:
      - .offset:         0
        .size:           88
        .value_kind:     by_value
      - .offset:         88
        .size:           4
        .value_kind:     hidden_block_count_x
      - .offset:         92
        .size:           4
        .value_kind:     hidden_block_count_y
      - .offset:         96
        .size:           4
        .value_kind:     hidden_block_count_z
      - .offset:         100
        .size:           2
        .value_kind:     hidden_group_size_x
      - .offset:         102
        .size:           2
        .value_kind:     hidden_group_size_y
      - .offset:         104
        .size:           2
        .value_kind:     hidden_group_size_z
      - .offset:         106
        .size:           2
        .value_kind:     hidden_remainder_x
      - .offset:         108
        .size:           2
        .value_kind:     hidden_remainder_y
      - .offset:         110
        .size:           2
        .value_kind:     hidden_remainder_z
      - .offset:         128
        .size:           8
        .value_kind:     hidden_global_offset_x
      - .offset:         136
        .size:           8
        .value_kind:     hidden_global_offset_y
      - .offset:         144
        .size:           8
        .value_kind:     hidden_global_offset_z
      - .offset:         152
        .size:           2
        .value_kind:     hidden_grid_dims
      - .offset:         168
        .size:           8
        .value_kind:     hidden_hostcall_buffer
      - .offset:         176
        .size:           8
        .value_kind:     hidden_multigrid_sync_arg
      - .offset:         184
        .size:           8
        .value_kind:     hidden_heap_v1
      - .offset:         192
        .size:           8
        .value_kind:     hidden_default_queue
      - .offset:         200
        .size:           8
        .value_kind:     hidden_completion_action
      - .offset:         288
        .size:           8
        .value_kind:     hidden_queue_ptr
    .group_segment_fixed_size: 16384
    .kernarg_segment_align: 8
    .kernarg_segment_size: 344
    .language:       OpenCL C
    .language_version:
      - 2
      - 0
    .max_flat_workgroup_size: 256
    .name:           _ZN7rocprim17ROCPRIM_400000_NS6detail17trampoline_kernelINS0_14default_configENS1_36segmented_radix_sort_config_selectorIdlEEZNS1_25segmented_radix_sort_implIS3_Lb0EPKdPdPKlPlN2at6native12_GLOBAL__N_18offset_tEEE10hipError_tPvRmT1_PNSt15iterator_traitsISK_E10value_typeET2_T3_PNSL_ISQ_E10value_typeET4_jRbjT5_SW_jjP12ihipStream_tbEUlT_E1_NS1_11comp_targetILNS1_3genE0ELNS1_11target_archE4294967295ELNS1_3gpuE0ELNS1_3repE0EEENS1_59segmented_radix_sort_warp_sort_small_config_static_selectorELNS0_4arch9wavefront6targetE0EEEvSK_
    .private_segment_fixed_size: 0
    .sgpr_count:     35
    .sgpr_spill_count: 0
    .symbol:         _ZN7rocprim17ROCPRIM_400000_NS6detail17trampoline_kernelINS0_14default_configENS1_36segmented_radix_sort_config_selectorIdlEEZNS1_25segmented_radix_sort_implIS3_Lb0EPKdPdPKlPlN2at6native12_GLOBAL__N_18offset_tEEE10hipError_tPvRmT1_PNSt15iterator_traitsISK_E10value_typeET2_T3_PNSL_ISQ_E10value_typeET4_jRbjT5_SW_jjP12ihipStream_tbEUlT_E1_NS1_11comp_targetILNS1_3genE0ELNS1_11target_archE4294967295ELNS1_3gpuE0ELNS1_3repE0EEENS1_59segmented_radix_sort_warp_sort_small_config_static_selectorELNS0_4arch9wavefront6targetE0EEEvSK_.kd
    .uniform_work_group_size: 1
    .uses_dynamic_stack: false
    .vgpr_count:     69
    .vgpr_spill_count: 0
    .wavefront_size: 32
  - .args:
      - .offset:         0
        .size:           88
        .value_kind:     by_value
    .group_segment_fixed_size: 0
    .kernarg_segment_align: 8
    .kernarg_segment_size: 88
    .language:       OpenCL C
    .language_version:
      - 2
      - 0
    .max_flat_workgroup_size: 256
    .name:           _ZN7rocprim17ROCPRIM_400000_NS6detail17trampoline_kernelINS0_14default_configENS1_36segmented_radix_sort_config_selectorIdlEEZNS1_25segmented_radix_sort_implIS3_Lb0EPKdPdPKlPlN2at6native12_GLOBAL__N_18offset_tEEE10hipError_tPvRmT1_PNSt15iterator_traitsISK_E10value_typeET2_T3_PNSL_ISQ_E10value_typeET4_jRbjT5_SW_jjP12ihipStream_tbEUlT_E1_NS1_11comp_targetILNS1_3genE5ELNS1_11target_archE942ELNS1_3gpuE9ELNS1_3repE0EEENS1_59segmented_radix_sort_warp_sort_small_config_static_selectorELNS0_4arch9wavefront6targetE0EEEvSK_
    .private_segment_fixed_size: 0
    .sgpr_count:     0
    .sgpr_spill_count: 0
    .symbol:         _ZN7rocprim17ROCPRIM_400000_NS6detail17trampoline_kernelINS0_14default_configENS1_36segmented_radix_sort_config_selectorIdlEEZNS1_25segmented_radix_sort_implIS3_Lb0EPKdPdPKlPlN2at6native12_GLOBAL__N_18offset_tEEE10hipError_tPvRmT1_PNSt15iterator_traitsISK_E10value_typeET2_T3_PNSL_ISQ_E10value_typeET4_jRbjT5_SW_jjP12ihipStream_tbEUlT_E1_NS1_11comp_targetILNS1_3genE5ELNS1_11target_archE942ELNS1_3gpuE9ELNS1_3repE0EEENS1_59segmented_radix_sort_warp_sort_small_config_static_selectorELNS0_4arch9wavefront6targetE0EEEvSK_.kd
    .uniform_work_group_size: 1
    .uses_dynamic_stack: false
    .vgpr_count:     0
    .vgpr_spill_count: 0
    .wavefront_size: 32
  - .args:
      - .offset:         0
        .size:           88
        .value_kind:     by_value
    .group_segment_fixed_size: 0
    .kernarg_segment_align: 8
    .kernarg_segment_size: 88
    .language:       OpenCL C
    .language_version:
      - 2
      - 0
    .max_flat_workgroup_size: 256
    .name:           _ZN7rocprim17ROCPRIM_400000_NS6detail17trampoline_kernelINS0_14default_configENS1_36segmented_radix_sort_config_selectorIdlEEZNS1_25segmented_radix_sort_implIS3_Lb0EPKdPdPKlPlN2at6native12_GLOBAL__N_18offset_tEEE10hipError_tPvRmT1_PNSt15iterator_traitsISK_E10value_typeET2_T3_PNSL_ISQ_E10value_typeET4_jRbjT5_SW_jjP12ihipStream_tbEUlT_E1_NS1_11comp_targetILNS1_3genE4ELNS1_11target_archE910ELNS1_3gpuE8ELNS1_3repE0EEENS1_59segmented_radix_sort_warp_sort_small_config_static_selectorELNS0_4arch9wavefront6targetE0EEEvSK_
    .private_segment_fixed_size: 0
    .sgpr_count:     0
    .sgpr_spill_count: 0
    .symbol:         _ZN7rocprim17ROCPRIM_400000_NS6detail17trampoline_kernelINS0_14default_configENS1_36segmented_radix_sort_config_selectorIdlEEZNS1_25segmented_radix_sort_implIS3_Lb0EPKdPdPKlPlN2at6native12_GLOBAL__N_18offset_tEEE10hipError_tPvRmT1_PNSt15iterator_traitsISK_E10value_typeET2_T3_PNSL_ISQ_E10value_typeET4_jRbjT5_SW_jjP12ihipStream_tbEUlT_E1_NS1_11comp_targetILNS1_3genE4ELNS1_11target_archE910ELNS1_3gpuE8ELNS1_3repE0EEENS1_59segmented_radix_sort_warp_sort_small_config_static_selectorELNS0_4arch9wavefront6targetE0EEEvSK_.kd
    .uniform_work_group_size: 1
    .uses_dynamic_stack: false
    .vgpr_count:     0
    .vgpr_spill_count: 0
    .wavefront_size: 32
  - .args:
      - .offset:         0
        .size:           88
        .value_kind:     by_value
    .group_segment_fixed_size: 0
    .kernarg_segment_align: 8
    .kernarg_segment_size: 88
    .language:       OpenCL C
    .language_version:
      - 2
      - 0
    .max_flat_workgroup_size: 256
    .name:           _ZN7rocprim17ROCPRIM_400000_NS6detail17trampoline_kernelINS0_14default_configENS1_36segmented_radix_sort_config_selectorIdlEEZNS1_25segmented_radix_sort_implIS3_Lb0EPKdPdPKlPlN2at6native12_GLOBAL__N_18offset_tEEE10hipError_tPvRmT1_PNSt15iterator_traitsISK_E10value_typeET2_T3_PNSL_ISQ_E10value_typeET4_jRbjT5_SW_jjP12ihipStream_tbEUlT_E1_NS1_11comp_targetILNS1_3genE3ELNS1_11target_archE908ELNS1_3gpuE7ELNS1_3repE0EEENS1_59segmented_radix_sort_warp_sort_small_config_static_selectorELNS0_4arch9wavefront6targetE0EEEvSK_
    .private_segment_fixed_size: 0
    .sgpr_count:     0
    .sgpr_spill_count: 0
    .symbol:         _ZN7rocprim17ROCPRIM_400000_NS6detail17trampoline_kernelINS0_14default_configENS1_36segmented_radix_sort_config_selectorIdlEEZNS1_25segmented_radix_sort_implIS3_Lb0EPKdPdPKlPlN2at6native12_GLOBAL__N_18offset_tEEE10hipError_tPvRmT1_PNSt15iterator_traitsISK_E10value_typeET2_T3_PNSL_ISQ_E10value_typeET4_jRbjT5_SW_jjP12ihipStream_tbEUlT_E1_NS1_11comp_targetILNS1_3genE3ELNS1_11target_archE908ELNS1_3gpuE7ELNS1_3repE0EEENS1_59segmented_radix_sort_warp_sort_small_config_static_selectorELNS0_4arch9wavefront6targetE0EEEvSK_.kd
    .uniform_work_group_size: 1
    .uses_dynamic_stack: false
    .vgpr_count:     0
    .vgpr_spill_count: 0
    .wavefront_size: 32
  - .args:
      - .offset:         0
        .size:           88
        .value_kind:     by_value
    .group_segment_fixed_size: 0
    .kernarg_segment_align: 8
    .kernarg_segment_size: 88
    .language:       OpenCL C
    .language_version:
      - 2
      - 0
    .max_flat_workgroup_size: 256
    .name:           _ZN7rocprim17ROCPRIM_400000_NS6detail17trampoline_kernelINS0_14default_configENS1_36segmented_radix_sort_config_selectorIdlEEZNS1_25segmented_radix_sort_implIS3_Lb0EPKdPdPKlPlN2at6native12_GLOBAL__N_18offset_tEEE10hipError_tPvRmT1_PNSt15iterator_traitsISK_E10value_typeET2_T3_PNSL_ISQ_E10value_typeET4_jRbjT5_SW_jjP12ihipStream_tbEUlT_E1_NS1_11comp_targetILNS1_3genE2ELNS1_11target_archE906ELNS1_3gpuE6ELNS1_3repE0EEENS1_59segmented_radix_sort_warp_sort_small_config_static_selectorELNS0_4arch9wavefront6targetE0EEEvSK_
    .private_segment_fixed_size: 0
    .sgpr_count:     0
    .sgpr_spill_count: 0
    .symbol:         _ZN7rocprim17ROCPRIM_400000_NS6detail17trampoline_kernelINS0_14default_configENS1_36segmented_radix_sort_config_selectorIdlEEZNS1_25segmented_radix_sort_implIS3_Lb0EPKdPdPKlPlN2at6native12_GLOBAL__N_18offset_tEEE10hipError_tPvRmT1_PNSt15iterator_traitsISK_E10value_typeET2_T3_PNSL_ISQ_E10value_typeET4_jRbjT5_SW_jjP12ihipStream_tbEUlT_E1_NS1_11comp_targetILNS1_3genE2ELNS1_11target_archE906ELNS1_3gpuE6ELNS1_3repE0EEENS1_59segmented_radix_sort_warp_sort_small_config_static_selectorELNS0_4arch9wavefront6targetE0EEEvSK_.kd
    .uniform_work_group_size: 1
    .uses_dynamic_stack: false
    .vgpr_count:     0
    .vgpr_spill_count: 0
    .wavefront_size: 32
  - .args:
      - .offset:         0
        .size:           88
        .value_kind:     by_value
    .group_segment_fixed_size: 0
    .kernarg_segment_align: 8
    .kernarg_segment_size: 88
    .language:       OpenCL C
    .language_version:
      - 2
      - 0
    .max_flat_workgroup_size: 256
    .name:           _ZN7rocprim17ROCPRIM_400000_NS6detail17trampoline_kernelINS0_14default_configENS1_36segmented_radix_sort_config_selectorIdlEEZNS1_25segmented_radix_sort_implIS3_Lb0EPKdPdPKlPlN2at6native12_GLOBAL__N_18offset_tEEE10hipError_tPvRmT1_PNSt15iterator_traitsISK_E10value_typeET2_T3_PNSL_ISQ_E10value_typeET4_jRbjT5_SW_jjP12ihipStream_tbEUlT_E1_NS1_11comp_targetILNS1_3genE10ELNS1_11target_archE1201ELNS1_3gpuE5ELNS1_3repE0EEENS1_59segmented_radix_sort_warp_sort_small_config_static_selectorELNS0_4arch9wavefront6targetE0EEEvSK_
    .private_segment_fixed_size: 0
    .sgpr_count:     0
    .sgpr_spill_count: 0
    .symbol:         _ZN7rocprim17ROCPRIM_400000_NS6detail17trampoline_kernelINS0_14default_configENS1_36segmented_radix_sort_config_selectorIdlEEZNS1_25segmented_radix_sort_implIS3_Lb0EPKdPdPKlPlN2at6native12_GLOBAL__N_18offset_tEEE10hipError_tPvRmT1_PNSt15iterator_traitsISK_E10value_typeET2_T3_PNSL_ISQ_E10value_typeET4_jRbjT5_SW_jjP12ihipStream_tbEUlT_E1_NS1_11comp_targetILNS1_3genE10ELNS1_11target_archE1201ELNS1_3gpuE5ELNS1_3repE0EEENS1_59segmented_radix_sort_warp_sort_small_config_static_selectorELNS0_4arch9wavefront6targetE0EEEvSK_.kd
    .uniform_work_group_size: 1
    .uses_dynamic_stack: false
    .vgpr_count:     0
    .vgpr_spill_count: 0
    .wavefront_size: 32
  - .args:
      - .offset:         0
        .size:           88
        .value_kind:     by_value
    .group_segment_fixed_size: 0
    .kernarg_segment_align: 8
    .kernarg_segment_size: 88
    .language:       OpenCL C
    .language_version:
      - 2
      - 0
    .max_flat_workgroup_size: 256
    .name:           _ZN7rocprim17ROCPRIM_400000_NS6detail17trampoline_kernelINS0_14default_configENS1_36segmented_radix_sort_config_selectorIdlEEZNS1_25segmented_radix_sort_implIS3_Lb0EPKdPdPKlPlN2at6native12_GLOBAL__N_18offset_tEEE10hipError_tPvRmT1_PNSt15iterator_traitsISK_E10value_typeET2_T3_PNSL_ISQ_E10value_typeET4_jRbjT5_SW_jjP12ihipStream_tbEUlT_E1_NS1_11comp_targetILNS1_3genE10ELNS1_11target_archE1200ELNS1_3gpuE4ELNS1_3repE0EEENS1_59segmented_radix_sort_warp_sort_small_config_static_selectorELNS0_4arch9wavefront6targetE0EEEvSK_
    .private_segment_fixed_size: 0
    .sgpr_count:     0
    .sgpr_spill_count: 0
    .symbol:         _ZN7rocprim17ROCPRIM_400000_NS6detail17trampoline_kernelINS0_14default_configENS1_36segmented_radix_sort_config_selectorIdlEEZNS1_25segmented_radix_sort_implIS3_Lb0EPKdPdPKlPlN2at6native12_GLOBAL__N_18offset_tEEE10hipError_tPvRmT1_PNSt15iterator_traitsISK_E10value_typeET2_T3_PNSL_ISQ_E10value_typeET4_jRbjT5_SW_jjP12ihipStream_tbEUlT_E1_NS1_11comp_targetILNS1_3genE10ELNS1_11target_archE1200ELNS1_3gpuE4ELNS1_3repE0EEENS1_59segmented_radix_sort_warp_sort_small_config_static_selectorELNS0_4arch9wavefront6targetE0EEEvSK_.kd
    .uniform_work_group_size: 1
    .uses_dynamic_stack: false
    .vgpr_count:     0
    .vgpr_spill_count: 0
    .wavefront_size: 32
  - .args:
      - .offset:         0
        .size:           88
        .value_kind:     by_value
    .group_segment_fixed_size: 0
    .kernarg_segment_align: 8
    .kernarg_segment_size: 88
    .language:       OpenCL C
    .language_version:
      - 2
      - 0
    .max_flat_workgroup_size: 256
    .name:           _ZN7rocprim17ROCPRIM_400000_NS6detail17trampoline_kernelINS0_14default_configENS1_36segmented_radix_sort_config_selectorIdlEEZNS1_25segmented_radix_sort_implIS3_Lb0EPKdPdPKlPlN2at6native12_GLOBAL__N_18offset_tEEE10hipError_tPvRmT1_PNSt15iterator_traitsISK_E10value_typeET2_T3_PNSL_ISQ_E10value_typeET4_jRbjT5_SW_jjP12ihipStream_tbEUlT_E1_NS1_11comp_targetILNS1_3genE9ELNS1_11target_archE1100ELNS1_3gpuE3ELNS1_3repE0EEENS1_59segmented_radix_sort_warp_sort_small_config_static_selectorELNS0_4arch9wavefront6targetE0EEEvSK_
    .private_segment_fixed_size: 0
    .sgpr_count:     0
    .sgpr_spill_count: 0
    .symbol:         _ZN7rocprim17ROCPRIM_400000_NS6detail17trampoline_kernelINS0_14default_configENS1_36segmented_radix_sort_config_selectorIdlEEZNS1_25segmented_radix_sort_implIS3_Lb0EPKdPdPKlPlN2at6native12_GLOBAL__N_18offset_tEEE10hipError_tPvRmT1_PNSt15iterator_traitsISK_E10value_typeET2_T3_PNSL_ISQ_E10value_typeET4_jRbjT5_SW_jjP12ihipStream_tbEUlT_E1_NS1_11comp_targetILNS1_3genE9ELNS1_11target_archE1100ELNS1_3gpuE3ELNS1_3repE0EEENS1_59segmented_radix_sort_warp_sort_small_config_static_selectorELNS0_4arch9wavefront6targetE0EEEvSK_.kd
    .uniform_work_group_size: 1
    .uses_dynamic_stack: false
    .vgpr_count:     0
    .vgpr_spill_count: 0
    .wavefront_size: 32
  - .args:
      - .offset:         0
        .size:           88
        .value_kind:     by_value
    .group_segment_fixed_size: 0
    .kernarg_segment_align: 8
    .kernarg_segment_size: 88
    .language:       OpenCL C
    .language_version:
      - 2
      - 0
    .max_flat_workgroup_size: 256
    .name:           _ZN7rocprim17ROCPRIM_400000_NS6detail17trampoline_kernelINS0_14default_configENS1_36segmented_radix_sort_config_selectorIdlEEZNS1_25segmented_radix_sort_implIS3_Lb0EPKdPdPKlPlN2at6native12_GLOBAL__N_18offset_tEEE10hipError_tPvRmT1_PNSt15iterator_traitsISK_E10value_typeET2_T3_PNSL_ISQ_E10value_typeET4_jRbjT5_SW_jjP12ihipStream_tbEUlT_E1_NS1_11comp_targetILNS1_3genE8ELNS1_11target_archE1030ELNS1_3gpuE2ELNS1_3repE0EEENS1_59segmented_radix_sort_warp_sort_small_config_static_selectorELNS0_4arch9wavefront6targetE0EEEvSK_
    .private_segment_fixed_size: 0
    .sgpr_count:     0
    .sgpr_spill_count: 0
    .symbol:         _ZN7rocprim17ROCPRIM_400000_NS6detail17trampoline_kernelINS0_14default_configENS1_36segmented_radix_sort_config_selectorIdlEEZNS1_25segmented_radix_sort_implIS3_Lb0EPKdPdPKlPlN2at6native12_GLOBAL__N_18offset_tEEE10hipError_tPvRmT1_PNSt15iterator_traitsISK_E10value_typeET2_T3_PNSL_ISQ_E10value_typeET4_jRbjT5_SW_jjP12ihipStream_tbEUlT_E1_NS1_11comp_targetILNS1_3genE8ELNS1_11target_archE1030ELNS1_3gpuE2ELNS1_3repE0EEENS1_59segmented_radix_sort_warp_sort_small_config_static_selectorELNS0_4arch9wavefront6targetE0EEEvSK_.kd
    .uniform_work_group_size: 1
    .uses_dynamic_stack: false
    .vgpr_count:     0
    .vgpr_spill_count: 0
    .wavefront_size: 32
  - .args:
      - .offset:         0
        .size:           80
        .value_kind:     by_value
      - .offset:         80
        .size:           4
        .value_kind:     hidden_block_count_x
      - .offset:         84
        .size:           4
        .value_kind:     hidden_block_count_y
      - .offset:         88
        .size:           4
        .value_kind:     hidden_block_count_z
      - .offset:         92
        .size:           2
        .value_kind:     hidden_group_size_x
      - .offset:         94
        .size:           2
        .value_kind:     hidden_group_size_y
      - .offset:         96
        .size:           2
        .value_kind:     hidden_group_size_z
      - .offset:         98
        .size:           2
        .value_kind:     hidden_remainder_x
      - .offset:         100
        .size:           2
        .value_kind:     hidden_remainder_y
      - .offset:         102
        .size:           2
        .value_kind:     hidden_remainder_z
      - .offset:         120
        .size:           8
        .value_kind:     hidden_global_offset_x
      - .offset:         128
        .size:           8
        .value_kind:     hidden_global_offset_y
      - .offset:         136
        .size:           8
        .value_kind:     hidden_global_offset_z
      - .offset:         144
        .size:           2
        .value_kind:     hidden_grid_dims
      - .offset:         160
        .size:           8
        .value_kind:     hidden_hostcall_buffer
      - .offset:         168
        .size:           8
        .value_kind:     hidden_multigrid_sync_arg
      - .offset:         176
        .size:           8
        .value_kind:     hidden_heap_v1
      - .offset:         184
        .size:           8
        .value_kind:     hidden_default_queue
      - .offset:         192
        .size:           8
        .value_kind:     hidden_completion_action
      - .offset:         280
        .size:           8
        .value_kind:     hidden_queue_ptr
    .group_segment_fixed_size: 33824
    .kernarg_segment_align: 8
    .kernarg_segment_size: 336
    .language:       OpenCL C
    .language_version:
      - 2
      - 0
    .max_flat_workgroup_size: 256
    .name:           _ZN7rocprim17ROCPRIM_400000_NS6detail17trampoline_kernelINS0_14default_configENS1_36segmented_radix_sort_config_selectorIdlEEZNS1_25segmented_radix_sort_implIS3_Lb0EPKdPdPKlPlN2at6native12_GLOBAL__N_18offset_tEEE10hipError_tPvRmT1_PNSt15iterator_traitsISK_E10value_typeET2_T3_PNSL_ISQ_E10value_typeET4_jRbjT5_SW_jjP12ihipStream_tbEUlT_E2_NS1_11comp_targetILNS1_3genE0ELNS1_11target_archE4294967295ELNS1_3gpuE0ELNS1_3repE0EEENS1_30default_config_static_selectorELNS0_4arch9wavefront6targetE0EEEvSK_
    .private_segment_fixed_size: 0
    .sgpr_count:     65
    .sgpr_spill_count: 0
    .symbol:         _ZN7rocprim17ROCPRIM_400000_NS6detail17trampoline_kernelINS0_14default_configENS1_36segmented_radix_sort_config_selectorIdlEEZNS1_25segmented_radix_sort_implIS3_Lb0EPKdPdPKlPlN2at6native12_GLOBAL__N_18offset_tEEE10hipError_tPvRmT1_PNSt15iterator_traitsISK_E10value_typeET2_T3_PNSL_ISQ_E10value_typeET4_jRbjT5_SW_jjP12ihipStream_tbEUlT_E2_NS1_11comp_targetILNS1_3genE0ELNS1_11target_archE4294967295ELNS1_3gpuE0ELNS1_3repE0EEENS1_30default_config_static_selectorELNS0_4arch9wavefront6targetE0EEEvSK_.kd
    .uniform_work_group_size: 1
    .uses_dynamic_stack: false
    .vgpr_count:     319
    .vgpr_spill_count: 0
    .wavefront_size: 32
  - .args:
      - .offset:         0
        .size:           80
        .value_kind:     by_value
    .group_segment_fixed_size: 0
    .kernarg_segment_align: 8
    .kernarg_segment_size: 80
    .language:       OpenCL C
    .language_version:
      - 2
      - 0
    .max_flat_workgroup_size: 256
    .name:           _ZN7rocprim17ROCPRIM_400000_NS6detail17trampoline_kernelINS0_14default_configENS1_36segmented_radix_sort_config_selectorIdlEEZNS1_25segmented_radix_sort_implIS3_Lb0EPKdPdPKlPlN2at6native12_GLOBAL__N_18offset_tEEE10hipError_tPvRmT1_PNSt15iterator_traitsISK_E10value_typeET2_T3_PNSL_ISQ_E10value_typeET4_jRbjT5_SW_jjP12ihipStream_tbEUlT_E2_NS1_11comp_targetILNS1_3genE5ELNS1_11target_archE942ELNS1_3gpuE9ELNS1_3repE0EEENS1_30default_config_static_selectorELNS0_4arch9wavefront6targetE0EEEvSK_
    .private_segment_fixed_size: 0
    .sgpr_count:     0
    .sgpr_spill_count: 0
    .symbol:         _ZN7rocprim17ROCPRIM_400000_NS6detail17trampoline_kernelINS0_14default_configENS1_36segmented_radix_sort_config_selectorIdlEEZNS1_25segmented_radix_sort_implIS3_Lb0EPKdPdPKlPlN2at6native12_GLOBAL__N_18offset_tEEE10hipError_tPvRmT1_PNSt15iterator_traitsISK_E10value_typeET2_T3_PNSL_ISQ_E10value_typeET4_jRbjT5_SW_jjP12ihipStream_tbEUlT_E2_NS1_11comp_targetILNS1_3genE5ELNS1_11target_archE942ELNS1_3gpuE9ELNS1_3repE0EEENS1_30default_config_static_selectorELNS0_4arch9wavefront6targetE0EEEvSK_.kd
    .uniform_work_group_size: 1
    .uses_dynamic_stack: false
    .vgpr_count:     0
    .vgpr_spill_count: 0
    .wavefront_size: 32
  - .args:
      - .offset:         0
        .size:           80
        .value_kind:     by_value
    .group_segment_fixed_size: 0
    .kernarg_segment_align: 8
    .kernarg_segment_size: 80
    .language:       OpenCL C
    .language_version:
      - 2
      - 0
    .max_flat_workgroup_size: 256
    .name:           _ZN7rocprim17ROCPRIM_400000_NS6detail17trampoline_kernelINS0_14default_configENS1_36segmented_radix_sort_config_selectorIdlEEZNS1_25segmented_radix_sort_implIS3_Lb0EPKdPdPKlPlN2at6native12_GLOBAL__N_18offset_tEEE10hipError_tPvRmT1_PNSt15iterator_traitsISK_E10value_typeET2_T3_PNSL_ISQ_E10value_typeET4_jRbjT5_SW_jjP12ihipStream_tbEUlT_E2_NS1_11comp_targetILNS1_3genE4ELNS1_11target_archE910ELNS1_3gpuE8ELNS1_3repE0EEENS1_30default_config_static_selectorELNS0_4arch9wavefront6targetE0EEEvSK_
    .private_segment_fixed_size: 0
    .sgpr_count:     0
    .sgpr_spill_count: 0
    .symbol:         _ZN7rocprim17ROCPRIM_400000_NS6detail17trampoline_kernelINS0_14default_configENS1_36segmented_radix_sort_config_selectorIdlEEZNS1_25segmented_radix_sort_implIS3_Lb0EPKdPdPKlPlN2at6native12_GLOBAL__N_18offset_tEEE10hipError_tPvRmT1_PNSt15iterator_traitsISK_E10value_typeET2_T3_PNSL_ISQ_E10value_typeET4_jRbjT5_SW_jjP12ihipStream_tbEUlT_E2_NS1_11comp_targetILNS1_3genE4ELNS1_11target_archE910ELNS1_3gpuE8ELNS1_3repE0EEENS1_30default_config_static_selectorELNS0_4arch9wavefront6targetE0EEEvSK_.kd
    .uniform_work_group_size: 1
    .uses_dynamic_stack: false
    .vgpr_count:     0
    .vgpr_spill_count: 0
    .wavefront_size: 32
  - .args:
      - .offset:         0
        .size:           80
        .value_kind:     by_value
    .group_segment_fixed_size: 0
    .kernarg_segment_align: 8
    .kernarg_segment_size: 80
    .language:       OpenCL C
    .language_version:
      - 2
      - 0
    .max_flat_workgroup_size: 256
    .name:           _ZN7rocprim17ROCPRIM_400000_NS6detail17trampoline_kernelINS0_14default_configENS1_36segmented_radix_sort_config_selectorIdlEEZNS1_25segmented_radix_sort_implIS3_Lb0EPKdPdPKlPlN2at6native12_GLOBAL__N_18offset_tEEE10hipError_tPvRmT1_PNSt15iterator_traitsISK_E10value_typeET2_T3_PNSL_ISQ_E10value_typeET4_jRbjT5_SW_jjP12ihipStream_tbEUlT_E2_NS1_11comp_targetILNS1_3genE3ELNS1_11target_archE908ELNS1_3gpuE7ELNS1_3repE0EEENS1_30default_config_static_selectorELNS0_4arch9wavefront6targetE0EEEvSK_
    .private_segment_fixed_size: 0
    .sgpr_count:     0
    .sgpr_spill_count: 0
    .symbol:         _ZN7rocprim17ROCPRIM_400000_NS6detail17trampoline_kernelINS0_14default_configENS1_36segmented_radix_sort_config_selectorIdlEEZNS1_25segmented_radix_sort_implIS3_Lb0EPKdPdPKlPlN2at6native12_GLOBAL__N_18offset_tEEE10hipError_tPvRmT1_PNSt15iterator_traitsISK_E10value_typeET2_T3_PNSL_ISQ_E10value_typeET4_jRbjT5_SW_jjP12ihipStream_tbEUlT_E2_NS1_11comp_targetILNS1_3genE3ELNS1_11target_archE908ELNS1_3gpuE7ELNS1_3repE0EEENS1_30default_config_static_selectorELNS0_4arch9wavefront6targetE0EEEvSK_.kd
    .uniform_work_group_size: 1
    .uses_dynamic_stack: false
    .vgpr_count:     0
    .vgpr_spill_count: 0
    .wavefront_size: 32
  - .args:
      - .offset:         0
        .size:           80
        .value_kind:     by_value
    .group_segment_fixed_size: 0
    .kernarg_segment_align: 8
    .kernarg_segment_size: 80
    .language:       OpenCL C
    .language_version:
      - 2
      - 0
    .max_flat_workgroup_size: 256
    .name:           _ZN7rocprim17ROCPRIM_400000_NS6detail17trampoline_kernelINS0_14default_configENS1_36segmented_radix_sort_config_selectorIdlEEZNS1_25segmented_radix_sort_implIS3_Lb0EPKdPdPKlPlN2at6native12_GLOBAL__N_18offset_tEEE10hipError_tPvRmT1_PNSt15iterator_traitsISK_E10value_typeET2_T3_PNSL_ISQ_E10value_typeET4_jRbjT5_SW_jjP12ihipStream_tbEUlT_E2_NS1_11comp_targetILNS1_3genE2ELNS1_11target_archE906ELNS1_3gpuE6ELNS1_3repE0EEENS1_30default_config_static_selectorELNS0_4arch9wavefront6targetE0EEEvSK_
    .private_segment_fixed_size: 0
    .sgpr_count:     0
    .sgpr_spill_count: 0
    .symbol:         _ZN7rocprim17ROCPRIM_400000_NS6detail17trampoline_kernelINS0_14default_configENS1_36segmented_radix_sort_config_selectorIdlEEZNS1_25segmented_radix_sort_implIS3_Lb0EPKdPdPKlPlN2at6native12_GLOBAL__N_18offset_tEEE10hipError_tPvRmT1_PNSt15iterator_traitsISK_E10value_typeET2_T3_PNSL_ISQ_E10value_typeET4_jRbjT5_SW_jjP12ihipStream_tbEUlT_E2_NS1_11comp_targetILNS1_3genE2ELNS1_11target_archE906ELNS1_3gpuE6ELNS1_3repE0EEENS1_30default_config_static_selectorELNS0_4arch9wavefront6targetE0EEEvSK_.kd
    .uniform_work_group_size: 1
    .uses_dynamic_stack: false
    .vgpr_count:     0
    .vgpr_spill_count: 0
    .wavefront_size: 32
  - .args:
      - .offset:         0
        .size:           80
        .value_kind:     by_value
    .group_segment_fixed_size: 0
    .kernarg_segment_align: 8
    .kernarg_segment_size: 80
    .language:       OpenCL C
    .language_version:
      - 2
      - 0
    .max_flat_workgroup_size: 256
    .name:           _ZN7rocprim17ROCPRIM_400000_NS6detail17trampoline_kernelINS0_14default_configENS1_36segmented_radix_sort_config_selectorIdlEEZNS1_25segmented_radix_sort_implIS3_Lb0EPKdPdPKlPlN2at6native12_GLOBAL__N_18offset_tEEE10hipError_tPvRmT1_PNSt15iterator_traitsISK_E10value_typeET2_T3_PNSL_ISQ_E10value_typeET4_jRbjT5_SW_jjP12ihipStream_tbEUlT_E2_NS1_11comp_targetILNS1_3genE10ELNS1_11target_archE1201ELNS1_3gpuE5ELNS1_3repE0EEENS1_30default_config_static_selectorELNS0_4arch9wavefront6targetE0EEEvSK_
    .private_segment_fixed_size: 0
    .sgpr_count:     0
    .sgpr_spill_count: 0
    .symbol:         _ZN7rocprim17ROCPRIM_400000_NS6detail17trampoline_kernelINS0_14default_configENS1_36segmented_radix_sort_config_selectorIdlEEZNS1_25segmented_radix_sort_implIS3_Lb0EPKdPdPKlPlN2at6native12_GLOBAL__N_18offset_tEEE10hipError_tPvRmT1_PNSt15iterator_traitsISK_E10value_typeET2_T3_PNSL_ISQ_E10value_typeET4_jRbjT5_SW_jjP12ihipStream_tbEUlT_E2_NS1_11comp_targetILNS1_3genE10ELNS1_11target_archE1201ELNS1_3gpuE5ELNS1_3repE0EEENS1_30default_config_static_selectorELNS0_4arch9wavefront6targetE0EEEvSK_.kd
    .uniform_work_group_size: 1
    .uses_dynamic_stack: false
    .vgpr_count:     0
    .vgpr_spill_count: 0
    .wavefront_size: 32
  - .args:
      - .offset:         0
        .size:           80
        .value_kind:     by_value
    .group_segment_fixed_size: 0
    .kernarg_segment_align: 8
    .kernarg_segment_size: 80
    .language:       OpenCL C
    .language_version:
      - 2
      - 0
    .max_flat_workgroup_size: 128
    .name:           _ZN7rocprim17ROCPRIM_400000_NS6detail17trampoline_kernelINS0_14default_configENS1_36segmented_radix_sort_config_selectorIdlEEZNS1_25segmented_radix_sort_implIS3_Lb0EPKdPdPKlPlN2at6native12_GLOBAL__N_18offset_tEEE10hipError_tPvRmT1_PNSt15iterator_traitsISK_E10value_typeET2_T3_PNSL_ISQ_E10value_typeET4_jRbjT5_SW_jjP12ihipStream_tbEUlT_E2_NS1_11comp_targetILNS1_3genE10ELNS1_11target_archE1200ELNS1_3gpuE4ELNS1_3repE0EEENS1_30default_config_static_selectorELNS0_4arch9wavefront6targetE0EEEvSK_
    .private_segment_fixed_size: 0
    .sgpr_count:     0
    .sgpr_spill_count: 0
    .symbol:         _ZN7rocprim17ROCPRIM_400000_NS6detail17trampoline_kernelINS0_14default_configENS1_36segmented_radix_sort_config_selectorIdlEEZNS1_25segmented_radix_sort_implIS3_Lb0EPKdPdPKlPlN2at6native12_GLOBAL__N_18offset_tEEE10hipError_tPvRmT1_PNSt15iterator_traitsISK_E10value_typeET2_T3_PNSL_ISQ_E10value_typeET4_jRbjT5_SW_jjP12ihipStream_tbEUlT_E2_NS1_11comp_targetILNS1_3genE10ELNS1_11target_archE1200ELNS1_3gpuE4ELNS1_3repE0EEENS1_30default_config_static_selectorELNS0_4arch9wavefront6targetE0EEEvSK_.kd
    .uniform_work_group_size: 1
    .uses_dynamic_stack: false
    .vgpr_count:     0
    .vgpr_spill_count: 0
    .wavefront_size: 32
  - .args:
      - .offset:         0
        .size:           80
        .value_kind:     by_value
    .group_segment_fixed_size: 0
    .kernarg_segment_align: 8
    .kernarg_segment_size: 80
    .language:       OpenCL C
    .language_version:
      - 2
      - 0
    .max_flat_workgroup_size: 256
    .name:           _ZN7rocprim17ROCPRIM_400000_NS6detail17trampoline_kernelINS0_14default_configENS1_36segmented_radix_sort_config_selectorIdlEEZNS1_25segmented_radix_sort_implIS3_Lb0EPKdPdPKlPlN2at6native12_GLOBAL__N_18offset_tEEE10hipError_tPvRmT1_PNSt15iterator_traitsISK_E10value_typeET2_T3_PNSL_ISQ_E10value_typeET4_jRbjT5_SW_jjP12ihipStream_tbEUlT_E2_NS1_11comp_targetILNS1_3genE9ELNS1_11target_archE1100ELNS1_3gpuE3ELNS1_3repE0EEENS1_30default_config_static_selectorELNS0_4arch9wavefront6targetE0EEEvSK_
    .private_segment_fixed_size: 0
    .sgpr_count:     0
    .sgpr_spill_count: 0
    .symbol:         _ZN7rocprim17ROCPRIM_400000_NS6detail17trampoline_kernelINS0_14default_configENS1_36segmented_radix_sort_config_selectorIdlEEZNS1_25segmented_radix_sort_implIS3_Lb0EPKdPdPKlPlN2at6native12_GLOBAL__N_18offset_tEEE10hipError_tPvRmT1_PNSt15iterator_traitsISK_E10value_typeET2_T3_PNSL_ISQ_E10value_typeET4_jRbjT5_SW_jjP12ihipStream_tbEUlT_E2_NS1_11comp_targetILNS1_3genE9ELNS1_11target_archE1100ELNS1_3gpuE3ELNS1_3repE0EEENS1_30default_config_static_selectorELNS0_4arch9wavefront6targetE0EEEvSK_.kd
    .uniform_work_group_size: 1
    .uses_dynamic_stack: false
    .vgpr_count:     0
    .vgpr_spill_count: 0
    .wavefront_size: 32
  - .args:
      - .offset:         0
        .size:           80
        .value_kind:     by_value
    .group_segment_fixed_size: 0
    .kernarg_segment_align: 8
    .kernarg_segment_size: 80
    .language:       OpenCL C
    .language_version:
      - 2
      - 0
    .max_flat_workgroup_size: 256
    .name:           _ZN7rocprim17ROCPRIM_400000_NS6detail17trampoline_kernelINS0_14default_configENS1_36segmented_radix_sort_config_selectorIdlEEZNS1_25segmented_radix_sort_implIS3_Lb0EPKdPdPKlPlN2at6native12_GLOBAL__N_18offset_tEEE10hipError_tPvRmT1_PNSt15iterator_traitsISK_E10value_typeET2_T3_PNSL_ISQ_E10value_typeET4_jRbjT5_SW_jjP12ihipStream_tbEUlT_E2_NS1_11comp_targetILNS1_3genE8ELNS1_11target_archE1030ELNS1_3gpuE2ELNS1_3repE0EEENS1_30default_config_static_selectorELNS0_4arch9wavefront6targetE0EEEvSK_
    .private_segment_fixed_size: 0
    .sgpr_count:     0
    .sgpr_spill_count: 0
    .symbol:         _ZN7rocprim17ROCPRIM_400000_NS6detail17trampoline_kernelINS0_14default_configENS1_36segmented_radix_sort_config_selectorIdlEEZNS1_25segmented_radix_sort_implIS3_Lb0EPKdPdPKlPlN2at6native12_GLOBAL__N_18offset_tEEE10hipError_tPvRmT1_PNSt15iterator_traitsISK_E10value_typeET2_T3_PNSL_ISQ_E10value_typeET4_jRbjT5_SW_jjP12ihipStream_tbEUlT_E2_NS1_11comp_targetILNS1_3genE8ELNS1_11target_archE1030ELNS1_3gpuE2ELNS1_3repE0EEENS1_30default_config_static_selectorELNS0_4arch9wavefront6targetE0EEEvSK_.kd
    .uniform_work_group_size: 1
    .uses_dynamic_stack: false
    .vgpr_count:     0
    .vgpr_spill_count: 0
    .wavefront_size: 32
  - .args:
      - .address_space:  global
        .offset:         0
        .size:           8
        .value_kind:     global_buffer
      - .address_space:  global
        .offset:         8
        .size:           8
        .value_kind:     global_buffer
      - .address_space:  global
        .offset:         16
        .size:           8
        .value_kind:     global_buffer
      - .address_space:  global
        .offset:         24
        .size:           8
        .value_kind:     global_buffer
      - .offset:         32
        .size:           4
        .value_kind:     by_value
      - .offset:         36
        .size:           4
        .value_kind:     by_value
      - .offset:         40
        .size:           4
        .value_kind:     hidden_block_count_x
      - .offset:         44
        .size:           4
        .value_kind:     hidden_block_count_y
      - .offset:         48
        .size:           4
        .value_kind:     hidden_block_count_z
      - .offset:         52
        .size:           2
        .value_kind:     hidden_group_size_x
      - .offset:         54
        .size:           2
        .value_kind:     hidden_group_size_y
      - .offset:         56
        .size:           2
        .value_kind:     hidden_group_size_z
      - .offset:         58
        .size:           2
        .value_kind:     hidden_remainder_x
      - .offset:         60
        .size:           2
        .value_kind:     hidden_remainder_y
      - .offset:         62
        .size:           2
        .value_kind:     hidden_remainder_z
      - .offset:         80
        .size:           8
        .value_kind:     hidden_global_offset_x
      - .offset:         88
        .size:           8
        .value_kind:     hidden_global_offset_y
      - .offset:         96
        .size:           8
        .value_kind:     hidden_global_offset_z
      - .offset:         104
        .size:           2
        .value_kind:     hidden_grid_dims
    .group_segment_fixed_size: 0
    .kernarg_segment_align: 8
    .kernarg_segment_size: 296
    .language:       OpenCL C
    .language_version:
      - 2
      - 0
    .max_flat_workgroup_size: 1024
    .name:           _ZN2at6native12_GLOBAL__N_123sort_postprocess_kernelIfEEvPKT_PS3_PlPK15HIP_vector_typeIiLj2EEii
    .private_segment_fixed_size: 0
    .sgpr_count:     24
    .sgpr_spill_count: 0
    .symbol:         _ZN2at6native12_GLOBAL__N_123sort_postprocess_kernelIfEEvPKT_PS3_PlPK15HIP_vector_typeIiLj2EEii.kd
    .uniform_work_group_size: 1
    .uses_dynamic_stack: false
    .vgpr_count:     16
    .vgpr_spill_count: 0
    .wavefront_size: 32
  - .args:
      - .offset:         0
        .size:           176
        .value_kind:     by_value
    .group_segment_fixed_size: 13328
    .kernarg_segment_align: 8
    .kernarg_segment_size: 176
    .language:       OpenCL C
    .language_version:
      - 2
      - 0
    .max_flat_workgroup_size: 256
    .name:           _ZN7rocprim17ROCPRIM_400000_NS6detail17trampoline_kernelINS0_13select_configILj256ELj13ELNS0_17block_load_methodE3ELS4_3ELS4_3ELNS0_20block_scan_algorithmE0ELj4294967295EEENS1_25partition_config_selectorILNS1_17partition_subalgoE4EjNS0_10empty_typeEbEEZZNS1_14partition_implILS8_4ELb0ES6_15HIP_vector_typeIjLj2EENS0_17counting_iteratorIjlEEPS9_SG_NS0_5tupleIJPjSI_NS0_16reverse_iteratorISI_EEEEENSH_IJSG_SG_SG_EEES9_SI_JZNS1_25segmented_radix_sort_implINS0_14default_configELb1EPKfPfPKlPlN2at6native12_GLOBAL__N_18offset_tEEE10hipError_tPvRmT1_PNSt15iterator_traitsIS12_E10value_typeET2_T3_PNS13_IS18_E10value_typeET4_jRbjT5_S1E_jjP12ihipStream_tbEUljE_ZNSN_ISO_Lb1ESQ_SR_ST_SU_SY_EESZ_S10_S11_S12_S16_S17_S18_S1B_S1C_jS1D_jS1E_S1E_jjS1G_bEUljE0_EEESZ_S10_S11_S18_S1C_S1E_T6_T7_T9_mT8_S1G_bDpT10_ENKUlT_T0_E_clISt17integral_constantIbLb0EES1U_EEDaS1P_S1Q_EUlS1P_E_NS1_11comp_targetILNS1_3genE0ELNS1_11target_archE4294967295ELNS1_3gpuE0ELNS1_3repE0EEENS1_30default_config_static_selectorELNS0_4arch9wavefront6targetE0EEEvS12_
    .private_segment_fixed_size: 0
    .sgpr_count:     61
    .sgpr_spill_count: 0
    .symbol:         _ZN7rocprim17ROCPRIM_400000_NS6detail17trampoline_kernelINS0_13select_configILj256ELj13ELNS0_17block_load_methodE3ELS4_3ELS4_3ELNS0_20block_scan_algorithmE0ELj4294967295EEENS1_25partition_config_selectorILNS1_17partition_subalgoE4EjNS0_10empty_typeEbEEZZNS1_14partition_implILS8_4ELb0ES6_15HIP_vector_typeIjLj2EENS0_17counting_iteratorIjlEEPS9_SG_NS0_5tupleIJPjSI_NS0_16reverse_iteratorISI_EEEEENSH_IJSG_SG_SG_EEES9_SI_JZNS1_25segmented_radix_sort_implINS0_14default_configELb1EPKfPfPKlPlN2at6native12_GLOBAL__N_18offset_tEEE10hipError_tPvRmT1_PNSt15iterator_traitsIS12_E10value_typeET2_T3_PNS13_IS18_E10value_typeET4_jRbjT5_S1E_jjP12ihipStream_tbEUljE_ZNSN_ISO_Lb1ESQ_SR_ST_SU_SY_EESZ_S10_S11_S12_S16_S17_S18_S1B_S1C_jS1D_jS1E_S1E_jjS1G_bEUljE0_EEESZ_S10_S11_S18_S1C_S1E_T6_T7_T9_mT8_S1G_bDpT10_ENKUlT_T0_E_clISt17integral_constantIbLb0EES1U_EEDaS1P_S1Q_EUlS1P_E_NS1_11comp_targetILNS1_3genE0ELNS1_11target_archE4294967295ELNS1_3gpuE0ELNS1_3repE0EEENS1_30default_config_static_selectorELNS0_4arch9wavefront6targetE0EEEvS12_.kd
    .uniform_work_group_size: 1
    .uses_dynamic_stack: false
    .vgpr_count:     81
    .vgpr_spill_count: 0
    .wavefront_size: 32
  - .args:
      - .offset:         0
        .size:           176
        .value_kind:     by_value
    .group_segment_fixed_size: 0
    .kernarg_segment_align: 8
    .kernarg_segment_size: 176
    .language:       OpenCL C
    .language_version:
      - 2
      - 0
    .max_flat_workgroup_size: 256
    .name:           _ZN7rocprim17ROCPRIM_400000_NS6detail17trampoline_kernelINS0_13select_configILj256ELj13ELNS0_17block_load_methodE3ELS4_3ELS4_3ELNS0_20block_scan_algorithmE0ELj4294967295EEENS1_25partition_config_selectorILNS1_17partition_subalgoE4EjNS0_10empty_typeEbEEZZNS1_14partition_implILS8_4ELb0ES6_15HIP_vector_typeIjLj2EENS0_17counting_iteratorIjlEEPS9_SG_NS0_5tupleIJPjSI_NS0_16reverse_iteratorISI_EEEEENSH_IJSG_SG_SG_EEES9_SI_JZNS1_25segmented_radix_sort_implINS0_14default_configELb1EPKfPfPKlPlN2at6native12_GLOBAL__N_18offset_tEEE10hipError_tPvRmT1_PNSt15iterator_traitsIS12_E10value_typeET2_T3_PNS13_IS18_E10value_typeET4_jRbjT5_S1E_jjP12ihipStream_tbEUljE_ZNSN_ISO_Lb1ESQ_SR_ST_SU_SY_EESZ_S10_S11_S12_S16_S17_S18_S1B_S1C_jS1D_jS1E_S1E_jjS1G_bEUljE0_EEESZ_S10_S11_S18_S1C_S1E_T6_T7_T9_mT8_S1G_bDpT10_ENKUlT_T0_E_clISt17integral_constantIbLb0EES1U_EEDaS1P_S1Q_EUlS1P_E_NS1_11comp_targetILNS1_3genE5ELNS1_11target_archE942ELNS1_3gpuE9ELNS1_3repE0EEENS1_30default_config_static_selectorELNS0_4arch9wavefront6targetE0EEEvS12_
    .private_segment_fixed_size: 0
    .sgpr_count:     0
    .sgpr_spill_count: 0
    .symbol:         _ZN7rocprim17ROCPRIM_400000_NS6detail17trampoline_kernelINS0_13select_configILj256ELj13ELNS0_17block_load_methodE3ELS4_3ELS4_3ELNS0_20block_scan_algorithmE0ELj4294967295EEENS1_25partition_config_selectorILNS1_17partition_subalgoE4EjNS0_10empty_typeEbEEZZNS1_14partition_implILS8_4ELb0ES6_15HIP_vector_typeIjLj2EENS0_17counting_iteratorIjlEEPS9_SG_NS0_5tupleIJPjSI_NS0_16reverse_iteratorISI_EEEEENSH_IJSG_SG_SG_EEES9_SI_JZNS1_25segmented_radix_sort_implINS0_14default_configELb1EPKfPfPKlPlN2at6native12_GLOBAL__N_18offset_tEEE10hipError_tPvRmT1_PNSt15iterator_traitsIS12_E10value_typeET2_T3_PNS13_IS18_E10value_typeET4_jRbjT5_S1E_jjP12ihipStream_tbEUljE_ZNSN_ISO_Lb1ESQ_SR_ST_SU_SY_EESZ_S10_S11_S12_S16_S17_S18_S1B_S1C_jS1D_jS1E_S1E_jjS1G_bEUljE0_EEESZ_S10_S11_S18_S1C_S1E_T6_T7_T9_mT8_S1G_bDpT10_ENKUlT_T0_E_clISt17integral_constantIbLb0EES1U_EEDaS1P_S1Q_EUlS1P_E_NS1_11comp_targetILNS1_3genE5ELNS1_11target_archE942ELNS1_3gpuE9ELNS1_3repE0EEENS1_30default_config_static_selectorELNS0_4arch9wavefront6targetE0EEEvS12_.kd
    .uniform_work_group_size: 1
    .uses_dynamic_stack: false
    .vgpr_count:     0
    .vgpr_spill_count: 0
    .wavefront_size: 32
  - .args:
      - .offset:         0
        .size:           176
        .value_kind:     by_value
    .group_segment_fixed_size: 0
    .kernarg_segment_align: 8
    .kernarg_segment_size: 176
    .language:       OpenCL C
    .language_version:
      - 2
      - 0
    .max_flat_workgroup_size: 256
    .name:           _ZN7rocprim17ROCPRIM_400000_NS6detail17trampoline_kernelINS0_13select_configILj256ELj13ELNS0_17block_load_methodE3ELS4_3ELS4_3ELNS0_20block_scan_algorithmE0ELj4294967295EEENS1_25partition_config_selectorILNS1_17partition_subalgoE4EjNS0_10empty_typeEbEEZZNS1_14partition_implILS8_4ELb0ES6_15HIP_vector_typeIjLj2EENS0_17counting_iteratorIjlEEPS9_SG_NS0_5tupleIJPjSI_NS0_16reverse_iteratorISI_EEEEENSH_IJSG_SG_SG_EEES9_SI_JZNS1_25segmented_radix_sort_implINS0_14default_configELb1EPKfPfPKlPlN2at6native12_GLOBAL__N_18offset_tEEE10hipError_tPvRmT1_PNSt15iterator_traitsIS12_E10value_typeET2_T3_PNS13_IS18_E10value_typeET4_jRbjT5_S1E_jjP12ihipStream_tbEUljE_ZNSN_ISO_Lb1ESQ_SR_ST_SU_SY_EESZ_S10_S11_S12_S16_S17_S18_S1B_S1C_jS1D_jS1E_S1E_jjS1G_bEUljE0_EEESZ_S10_S11_S18_S1C_S1E_T6_T7_T9_mT8_S1G_bDpT10_ENKUlT_T0_E_clISt17integral_constantIbLb0EES1U_EEDaS1P_S1Q_EUlS1P_E_NS1_11comp_targetILNS1_3genE4ELNS1_11target_archE910ELNS1_3gpuE8ELNS1_3repE0EEENS1_30default_config_static_selectorELNS0_4arch9wavefront6targetE0EEEvS12_
    .private_segment_fixed_size: 0
    .sgpr_count:     0
    .sgpr_spill_count: 0
    .symbol:         _ZN7rocprim17ROCPRIM_400000_NS6detail17trampoline_kernelINS0_13select_configILj256ELj13ELNS0_17block_load_methodE3ELS4_3ELS4_3ELNS0_20block_scan_algorithmE0ELj4294967295EEENS1_25partition_config_selectorILNS1_17partition_subalgoE4EjNS0_10empty_typeEbEEZZNS1_14partition_implILS8_4ELb0ES6_15HIP_vector_typeIjLj2EENS0_17counting_iteratorIjlEEPS9_SG_NS0_5tupleIJPjSI_NS0_16reverse_iteratorISI_EEEEENSH_IJSG_SG_SG_EEES9_SI_JZNS1_25segmented_radix_sort_implINS0_14default_configELb1EPKfPfPKlPlN2at6native12_GLOBAL__N_18offset_tEEE10hipError_tPvRmT1_PNSt15iterator_traitsIS12_E10value_typeET2_T3_PNS13_IS18_E10value_typeET4_jRbjT5_S1E_jjP12ihipStream_tbEUljE_ZNSN_ISO_Lb1ESQ_SR_ST_SU_SY_EESZ_S10_S11_S12_S16_S17_S18_S1B_S1C_jS1D_jS1E_S1E_jjS1G_bEUljE0_EEESZ_S10_S11_S18_S1C_S1E_T6_T7_T9_mT8_S1G_bDpT10_ENKUlT_T0_E_clISt17integral_constantIbLb0EES1U_EEDaS1P_S1Q_EUlS1P_E_NS1_11comp_targetILNS1_3genE4ELNS1_11target_archE910ELNS1_3gpuE8ELNS1_3repE0EEENS1_30default_config_static_selectorELNS0_4arch9wavefront6targetE0EEEvS12_.kd
    .uniform_work_group_size: 1
    .uses_dynamic_stack: false
    .vgpr_count:     0
    .vgpr_spill_count: 0
    .wavefront_size: 32
  - .args:
      - .offset:         0
        .size:           176
        .value_kind:     by_value
    .group_segment_fixed_size: 0
    .kernarg_segment_align: 8
    .kernarg_segment_size: 176
    .language:       OpenCL C
    .language_version:
      - 2
      - 0
    .max_flat_workgroup_size: 256
    .name:           _ZN7rocprim17ROCPRIM_400000_NS6detail17trampoline_kernelINS0_13select_configILj256ELj13ELNS0_17block_load_methodE3ELS4_3ELS4_3ELNS0_20block_scan_algorithmE0ELj4294967295EEENS1_25partition_config_selectorILNS1_17partition_subalgoE4EjNS0_10empty_typeEbEEZZNS1_14partition_implILS8_4ELb0ES6_15HIP_vector_typeIjLj2EENS0_17counting_iteratorIjlEEPS9_SG_NS0_5tupleIJPjSI_NS0_16reverse_iteratorISI_EEEEENSH_IJSG_SG_SG_EEES9_SI_JZNS1_25segmented_radix_sort_implINS0_14default_configELb1EPKfPfPKlPlN2at6native12_GLOBAL__N_18offset_tEEE10hipError_tPvRmT1_PNSt15iterator_traitsIS12_E10value_typeET2_T3_PNS13_IS18_E10value_typeET4_jRbjT5_S1E_jjP12ihipStream_tbEUljE_ZNSN_ISO_Lb1ESQ_SR_ST_SU_SY_EESZ_S10_S11_S12_S16_S17_S18_S1B_S1C_jS1D_jS1E_S1E_jjS1G_bEUljE0_EEESZ_S10_S11_S18_S1C_S1E_T6_T7_T9_mT8_S1G_bDpT10_ENKUlT_T0_E_clISt17integral_constantIbLb0EES1U_EEDaS1P_S1Q_EUlS1P_E_NS1_11comp_targetILNS1_3genE3ELNS1_11target_archE908ELNS1_3gpuE7ELNS1_3repE0EEENS1_30default_config_static_selectorELNS0_4arch9wavefront6targetE0EEEvS12_
    .private_segment_fixed_size: 0
    .sgpr_count:     0
    .sgpr_spill_count: 0
    .symbol:         _ZN7rocprim17ROCPRIM_400000_NS6detail17trampoline_kernelINS0_13select_configILj256ELj13ELNS0_17block_load_methodE3ELS4_3ELS4_3ELNS0_20block_scan_algorithmE0ELj4294967295EEENS1_25partition_config_selectorILNS1_17partition_subalgoE4EjNS0_10empty_typeEbEEZZNS1_14partition_implILS8_4ELb0ES6_15HIP_vector_typeIjLj2EENS0_17counting_iteratorIjlEEPS9_SG_NS0_5tupleIJPjSI_NS0_16reverse_iteratorISI_EEEEENSH_IJSG_SG_SG_EEES9_SI_JZNS1_25segmented_radix_sort_implINS0_14default_configELb1EPKfPfPKlPlN2at6native12_GLOBAL__N_18offset_tEEE10hipError_tPvRmT1_PNSt15iterator_traitsIS12_E10value_typeET2_T3_PNS13_IS18_E10value_typeET4_jRbjT5_S1E_jjP12ihipStream_tbEUljE_ZNSN_ISO_Lb1ESQ_SR_ST_SU_SY_EESZ_S10_S11_S12_S16_S17_S18_S1B_S1C_jS1D_jS1E_S1E_jjS1G_bEUljE0_EEESZ_S10_S11_S18_S1C_S1E_T6_T7_T9_mT8_S1G_bDpT10_ENKUlT_T0_E_clISt17integral_constantIbLb0EES1U_EEDaS1P_S1Q_EUlS1P_E_NS1_11comp_targetILNS1_3genE3ELNS1_11target_archE908ELNS1_3gpuE7ELNS1_3repE0EEENS1_30default_config_static_selectorELNS0_4arch9wavefront6targetE0EEEvS12_.kd
    .uniform_work_group_size: 1
    .uses_dynamic_stack: false
    .vgpr_count:     0
    .vgpr_spill_count: 0
    .wavefront_size: 32
  - .args:
      - .offset:         0
        .size:           176
        .value_kind:     by_value
    .group_segment_fixed_size: 0
    .kernarg_segment_align: 8
    .kernarg_segment_size: 176
    .language:       OpenCL C
    .language_version:
      - 2
      - 0
    .max_flat_workgroup_size: 256
    .name:           _ZN7rocprim17ROCPRIM_400000_NS6detail17trampoline_kernelINS0_13select_configILj256ELj13ELNS0_17block_load_methodE3ELS4_3ELS4_3ELNS0_20block_scan_algorithmE0ELj4294967295EEENS1_25partition_config_selectorILNS1_17partition_subalgoE4EjNS0_10empty_typeEbEEZZNS1_14partition_implILS8_4ELb0ES6_15HIP_vector_typeIjLj2EENS0_17counting_iteratorIjlEEPS9_SG_NS0_5tupleIJPjSI_NS0_16reverse_iteratorISI_EEEEENSH_IJSG_SG_SG_EEES9_SI_JZNS1_25segmented_radix_sort_implINS0_14default_configELb1EPKfPfPKlPlN2at6native12_GLOBAL__N_18offset_tEEE10hipError_tPvRmT1_PNSt15iterator_traitsIS12_E10value_typeET2_T3_PNS13_IS18_E10value_typeET4_jRbjT5_S1E_jjP12ihipStream_tbEUljE_ZNSN_ISO_Lb1ESQ_SR_ST_SU_SY_EESZ_S10_S11_S12_S16_S17_S18_S1B_S1C_jS1D_jS1E_S1E_jjS1G_bEUljE0_EEESZ_S10_S11_S18_S1C_S1E_T6_T7_T9_mT8_S1G_bDpT10_ENKUlT_T0_E_clISt17integral_constantIbLb0EES1U_EEDaS1P_S1Q_EUlS1P_E_NS1_11comp_targetILNS1_3genE2ELNS1_11target_archE906ELNS1_3gpuE6ELNS1_3repE0EEENS1_30default_config_static_selectorELNS0_4arch9wavefront6targetE0EEEvS12_
    .private_segment_fixed_size: 0
    .sgpr_count:     0
    .sgpr_spill_count: 0
    .symbol:         _ZN7rocprim17ROCPRIM_400000_NS6detail17trampoline_kernelINS0_13select_configILj256ELj13ELNS0_17block_load_methodE3ELS4_3ELS4_3ELNS0_20block_scan_algorithmE0ELj4294967295EEENS1_25partition_config_selectorILNS1_17partition_subalgoE4EjNS0_10empty_typeEbEEZZNS1_14partition_implILS8_4ELb0ES6_15HIP_vector_typeIjLj2EENS0_17counting_iteratorIjlEEPS9_SG_NS0_5tupleIJPjSI_NS0_16reverse_iteratorISI_EEEEENSH_IJSG_SG_SG_EEES9_SI_JZNS1_25segmented_radix_sort_implINS0_14default_configELb1EPKfPfPKlPlN2at6native12_GLOBAL__N_18offset_tEEE10hipError_tPvRmT1_PNSt15iterator_traitsIS12_E10value_typeET2_T3_PNS13_IS18_E10value_typeET4_jRbjT5_S1E_jjP12ihipStream_tbEUljE_ZNSN_ISO_Lb1ESQ_SR_ST_SU_SY_EESZ_S10_S11_S12_S16_S17_S18_S1B_S1C_jS1D_jS1E_S1E_jjS1G_bEUljE0_EEESZ_S10_S11_S18_S1C_S1E_T6_T7_T9_mT8_S1G_bDpT10_ENKUlT_T0_E_clISt17integral_constantIbLb0EES1U_EEDaS1P_S1Q_EUlS1P_E_NS1_11comp_targetILNS1_3genE2ELNS1_11target_archE906ELNS1_3gpuE6ELNS1_3repE0EEENS1_30default_config_static_selectorELNS0_4arch9wavefront6targetE0EEEvS12_.kd
    .uniform_work_group_size: 1
    .uses_dynamic_stack: false
    .vgpr_count:     0
    .vgpr_spill_count: 0
    .wavefront_size: 32
  - .args:
      - .offset:         0
        .size:           176
        .value_kind:     by_value
    .group_segment_fixed_size: 0
    .kernarg_segment_align: 8
    .kernarg_segment_size: 176
    .language:       OpenCL C
    .language_version:
      - 2
      - 0
    .max_flat_workgroup_size: 256
    .name:           _ZN7rocprim17ROCPRIM_400000_NS6detail17trampoline_kernelINS0_13select_configILj256ELj13ELNS0_17block_load_methodE3ELS4_3ELS4_3ELNS0_20block_scan_algorithmE0ELj4294967295EEENS1_25partition_config_selectorILNS1_17partition_subalgoE4EjNS0_10empty_typeEbEEZZNS1_14partition_implILS8_4ELb0ES6_15HIP_vector_typeIjLj2EENS0_17counting_iteratorIjlEEPS9_SG_NS0_5tupleIJPjSI_NS0_16reverse_iteratorISI_EEEEENSH_IJSG_SG_SG_EEES9_SI_JZNS1_25segmented_radix_sort_implINS0_14default_configELb1EPKfPfPKlPlN2at6native12_GLOBAL__N_18offset_tEEE10hipError_tPvRmT1_PNSt15iterator_traitsIS12_E10value_typeET2_T3_PNS13_IS18_E10value_typeET4_jRbjT5_S1E_jjP12ihipStream_tbEUljE_ZNSN_ISO_Lb1ESQ_SR_ST_SU_SY_EESZ_S10_S11_S12_S16_S17_S18_S1B_S1C_jS1D_jS1E_S1E_jjS1G_bEUljE0_EEESZ_S10_S11_S18_S1C_S1E_T6_T7_T9_mT8_S1G_bDpT10_ENKUlT_T0_E_clISt17integral_constantIbLb0EES1U_EEDaS1P_S1Q_EUlS1P_E_NS1_11comp_targetILNS1_3genE10ELNS1_11target_archE1200ELNS1_3gpuE4ELNS1_3repE0EEENS1_30default_config_static_selectorELNS0_4arch9wavefront6targetE0EEEvS12_
    .private_segment_fixed_size: 0
    .sgpr_count:     0
    .sgpr_spill_count: 0
    .symbol:         _ZN7rocprim17ROCPRIM_400000_NS6detail17trampoline_kernelINS0_13select_configILj256ELj13ELNS0_17block_load_methodE3ELS4_3ELS4_3ELNS0_20block_scan_algorithmE0ELj4294967295EEENS1_25partition_config_selectorILNS1_17partition_subalgoE4EjNS0_10empty_typeEbEEZZNS1_14partition_implILS8_4ELb0ES6_15HIP_vector_typeIjLj2EENS0_17counting_iteratorIjlEEPS9_SG_NS0_5tupleIJPjSI_NS0_16reverse_iteratorISI_EEEEENSH_IJSG_SG_SG_EEES9_SI_JZNS1_25segmented_radix_sort_implINS0_14default_configELb1EPKfPfPKlPlN2at6native12_GLOBAL__N_18offset_tEEE10hipError_tPvRmT1_PNSt15iterator_traitsIS12_E10value_typeET2_T3_PNS13_IS18_E10value_typeET4_jRbjT5_S1E_jjP12ihipStream_tbEUljE_ZNSN_ISO_Lb1ESQ_SR_ST_SU_SY_EESZ_S10_S11_S12_S16_S17_S18_S1B_S1C_jS1D_jS1E_S1E_jjS1G_bEUljE0_EEESZ_S10_S11_S18_S1C_S1E_T6_T7_T9_mT8_S1G_bDpT10_ENKUlT_T0_E_clISt17integral_constantIbLb0EES1U_EEDaS1P_S1Q_EUlS1P_E_NS1_11comp_targetILNS1_3genE10ELNS1_11target_archE1200ELNS1_3gpuE4ELNS1_3repE0EEENS1_30default_config_static_selectorELNS0_4arch9wavefront6targetE0EEEvS12_.kd
    .uniform_work_group_size: 1
    .uses_dynamic_stack: false
    .vgpr_count:     0
    .vgpr_spill_count: 0
    .wavefront_size: 32
  - .args:
      - .offset:         0
        .size:           176
        .value_kind:     by_value
    .group_segment_fixed_size: 0
    .kernarg_segment_align: 8
    .kernarg_segment_size: 176
    .language:       OpenCL C
    .language_version:
      - 2
      - 0
    .max_flat_workgroup_size: 256
    .name:           _ZN7rocprim17ROCPRIM_400000_NS6detail17trampoline_kernelINS0_13select_configILj256ELj13ELNS0_17block_load_methodE3ELS4_3ELS4_3ELNS0_20block_scan_algorithmE0ELj4294967295EEENS1_25partition_config_selectorILNS1_17partition_subalgoE4EjNS0_10empty_typeEbEEZZNS1_14partition_implILS8_4ELb0ES6_15HIP_vector_typeIjLj2EENS0_17counting_iteratorIjlEEPS9_SG_NS0_5tupleIJPjSI_NS0_16reverse_iteratorISI_EEEEENSH_IJSG_SG_SG_EEES9_SI_JZNS1_25segmented_radix_sort_implINS0_14default_configELb1EPKfPfPKlPlN2at6native12_GLOBAL__N_18offset_tEEE10hipError_tPvRmT1_PNSt15iterator_traitsIS12_E10value_typeET2_T3_PNS13_IS18_E10value_typeET4_jRbjT5_S1E_jjP12ihipStream_tbEUljE_ZNSN_ISO_Lb1ESQ_SR_ST_SU_SY_EESZ_S10_S11_S12_S16_S17_S18_S1B_S1C_jS1D_jS1E_S1E_jjS1G_bEUljE0_EEESZ_S10_S11_S18_S1C_S1E_T6_T7_T9_mT8_S1G_bDpT10_ENKUlT_T0_E_clISt17integral_constantIbLb0EES1U_EEDaS1P_S1Q_EUlS1P_E_NS1_11comp_targetILNS1_3genE9ELNS1_11target_archE1100ELNS1_3gpuE3ELNS1_3repE0EEENS1_30default_config_static_selectorELNS0_4arch9wavefront6targetE0EEEvS12_
    .private_segment_fixed_size: 0
    .sgpr_count:     0
    .sgpr_spill_count: 0
    .symbol:         _ZN7rocprim17ROCPRIM_400000_NS6detail17trampoline_kernelINS0_13select_configILj256ELj13ELNS0_17block_load_methodE3ELS4_3ELS4_3ELNS0_20block_scan_algorithmE0ELj4294967295EEENS1_25partition_config_selectorILNS1_17partition_subalgoE4EjNS0_10empty_typeEbEEZZNS1_14partition_implILS8_4ELb0ES6_15HIP_vector_typeIjLj2EENS0_17counting_iteratorIjlEEPS9_SG_NS0_5tupleIJPjSI_NS0_16reverse_iteratorISI_EEEEENSH_IJSG_SG_SG_EEES9_SI_JZNS1_25segmented_radix_sort_implINS0_14default_configELb1EPKfPfPKlPlN2at6native12_GLOBAL__N_18offset_tEEE10hipError_tPvRmT1_PNSt15iterator_traitsIS12_E10value_typeET2_T3_PNS13_IS18_E10value_typeET4_jRbjT5_S1E_jjP12ihipStream_tbEUljE_ZNSN_ISO_Lb1ESQ_SR_ST_SU_SY_EESZ_S10_S11_S12_S16_S17_S18_S1B_S1C_jS1D_jS1E_S1E_jjS1G_bEUljE0_EEESZ_S10_S11_S18_S1C_S1E_T6_T7_T9_mT8_S1G_bDpT10_ENKUlT_T0_E_clISt17integral_constantIbLb0EES1U_EEDaS1P_S1Q_EUlS1P_E_NS1_11comp_targetILNS1_3genE9ELNS1_11target_archE1100ELNS1_3gpuE3ELNS1_3repE0EEENS1_30default_config_static_selectorELNS0_4arch9wavefront6targetE0EEEvS12_.kd
    .uniform_work_group_size: 1
    .uses_dynamic_stack: false
    .vgpr_count:     0
    .vgpr_spill_count: 0
    .wavefront_size: 32
  - .args:
      - .offset:         0
        .size:           176
        .value_kind:     by_value
    .group_segment_fixed_size: 0
    .kernarg_segment_align: 8
    .kernarg_segment_size: 176
    .language:       OpenCL C
    .language_version:
      - 2
      - 0
    .max_flat_workgroup_size: 256
    .name:           _ZN7rocprim17ROCPRIM_400000_NS6detail17trampoline_kernelINS0_13select_configILj256ELj13ELNS0_17block_load_methodE3ELS4_3ELS4_3ELNS0_20block_scan_algorithmE0ELj4294967295EEENS1_25partition_config_selectorILNS1_17partition_subalgoE4EjNS0_10empty_typeEbEEZZNS1_14partition_implILS8_4ELb0ES6_15HIP_vector_typeIjLj2EENS0_17counting_iteratorIjlEEPS9_SG_NS0_5tupleIJPjSI_NS0_16reverse_iteratorISI_EEEEENSH_IJSG_SG_SG_EEES9_SI_JZNS1_25segmented_radix_sort_implINS0_14default_configELb1EPKfPfPKlPlN2at6native12_GLOBAL__N_18offset_tEEE10hipError_tPvRmT1_PNSt15iterator_traitsIS12_E10value_typeET2_T3_PNS13_IS18_E10value_typeET4_jRbjT5_S1E_jjP12ihipStream_tbEUljE_ZNSN_ISO_Lb1ESQ_SR_ST_SU_SY_EESZ_S10_S11_S12_S16_S17_S18_S1B_S1C_jS1D_jS1E_S1E_jjS1G_bEUljE0_EEESZ_S10_S11_S18_S1C_S1E_T6_T7_T9_mT8_S1G_bDpT10_ENKUlT_T0_E_clISt17integral_constantIbLb0EES1U_EEDaS1P_S1Q_EUlS1P_E_NS1_11comp_targetILNS1_3genE8ELNS1_11target_archE1030ELNS1_3gpuE2ELNS1_3repE0EEENS1_30default_config_static_selectorELNS0_4arch9wavefront6targetE0EEEvS12_
    .private_segment_fixed_size: 0
    .sgpr_count:     0
    .sgpr_spill_count: 0
    .symbol:         _ZN7rocprim17ROCPRIM_400000_NS6detail17trampoline_kernelINS0_13select_configILj256ELj13ELNS0_17block_load_methodE3ELS4_3ELS4_3ELNS0_20block_scan_algorithmE0ELj4294967295EEENS1_25partition_config_selectorILNS1_17partition_subalgoE4EjNS0_10empty_typeEbEEZZNS1_14partition_implILS8_4ELb0ES6_15HIP_vector_typeIjLj2EENS0_17counting_iteratorIjlEEPS9_SG_NS0_5tupleIJPjSI_NS0_16reverse_iteratorISI_EEEEENSH_IJSG_SG_SG_EEES9_SI_JZNS1_25segmented_radix_sort_implINS0_14default_configELb1EPKfPfPKlPlN2at6native12_GLOBAL__N_18offset_tEEE10hipError_tPvRmT1_PNSt15iterator_traitsIS12_E10value_typeET2_T3_PNS13_IS18_E10value_typeET4_jRbjT5_S1E_jjP12ihipStream_tbEUljE_ZNSN_ISO_Lb1ESQ_SR_ST_SU_SY_EESZ_S10_S11_S12_S16_S17_S18_S1B_S1C_jS1D_jS1E_S1E_jjS1G_bEUljE0_EEESZ_S10_S11_S18_S1C_S1E_T6_T7_T9_mT8_S1G_bDpT10_ENKUlT_T0_E_clISt17integral_constantIbLb0EES1U_EEDaS1P_S1Q_EUlS1P_E_NS1_11comp_targetILNS1_3genE8ELNS1_11target_archE1030ELNS1_3gpuE2ELNS1_3repE0EEENS1_30default_config_static_selectorELNS0_4arch9wavefront6targetE0EEEvS12_.kd
    .uniform_work_group_size: 1
    .uses_dynamic_stack: false
    .vgpr_count:     0
    .vgpr_spill_count: 0
    .wavefront_size: 32
  - .args:
      - .offset:         0
        .size:           184
        .value_kind:     by_value
    .group_segment_fixed_size: 0
    .kernarg_segment_align: 8
    .kernarg_segment_size: 184
    .language:       OpenCL C
    .language_version:
      - 2
      - 0
    .max_flat_workgroup_size: 256
    .name:           _ZN7rocprim17ROCPRIM_400000_NS6detail17trampoline_kernelINS0_13select_configILj256ELj13ELNS0_17block_load_methodE3ELS4_3ELS4_3ELNS0_20block_scan_algorithmE0ELj4294967295EEENS1_25partition_config_selectorILNS1_17partition_subalgoE4EjNS0_10empty_typeEbEEZZNS1_14partition_implILS8_4ELb0ES6_15HIP_vector_typeIjLj2EENS0_17counting_iteratorIjlEEPS9_SG_NS0_5tupleIJPjSI_NS0_16reverse_iteratorISI_EEEEENSH_IJSG_SG_SG_EEES9_SI_JZNS1_25segmented_radix_sort_implINS0_14default_configELb1EPKfPfPKlPlN2at6native12_GLOBAL__N_18offset_tEEE10hipError_tPvRmT1_PNSt15iterator_traitsIS12_E10value_typeET2_T3_PNS13_IS18_E10value_typeET4_jRbjT5_S1E_jjP12ihipStream_tbEUljE_ZNSN_ISO_Lb1ESQ_SR_ST_SU_SY_EESZ_S10_S11_S12_S16_S17_S18_S1B_S1C_jS1D_jS1E_S1E_jjS1G_bEUljE0_EEESZ_S10_S11_S18_S1C_S1E_T6_T7_T9_mT8_S1G_bDpT10_ENKUlT_T0_E_clISt17integral_constantIbLb1EES1U_EEDaS1P_S1Q_EUlS1P_E_NS1_11comp_targetILNS1_3genE0ELNS1_11target_archE4294967295ELNS1_3gpuE0ELNS1_3repE0EEENS1_30default_config_static_selectorELNS0_4arch9wavefront6targetE0EEEvS12_
    .private_segment_fixed_size: 0
    .sgpr_count:     0
    .sgpr_spill_count: 0
    .symbol:         _ZN7rocprim17ROCPRIM_400000_NS6detail17trampoline_kernelINS0_13select_configILj256ELj13ELNS0_17block_load_methodE3ELS4_3ELS4_3ELNS0_20block_scan_algorithmE0ELj4294967295EEENS1_25partition_config_selectorILNS1_17partition_subalgoE4EjNS0_10empty_typeEbEEZZNS1_14partition_implILS8_4ELb0ES6_15HIP_vector_typeIjLj2EENS0_17counting_iteratorIjlEEPS9_SG_NS0_5tupleIJPjSI_NS0_16reverse_iteratorISI_EEEEENSH_IJSG_SG_SG_EEES9_SI_JZNS1_25segmented_radix_sort_implINS0_14default_configELb1EPKfPfPKlPlN2at6native12_GLOBAL__N_18offset_tEEE10hipError_tPvRmT1_PNSt15iterator_traitsIS12_E10value_typeET2_T3_PNS13_IS18_E10value_typeET4_jRbjT5_S1E_jjP12ihipStream_tbEUljE_ZNSN_ISO_Lb1ESQ_SR_ST_SU_SY_EESZ_S10_S11_S12_S16_S17_S18_S1B_S1C_jS1D_jS1E_S1E_jjS1G_bEUljE0_EEESZ_S10_S11_S18_S1C_S1E_T6_T7_T9_mT8_S1G_bDpT10_ENKUlT_T0_E_clISt17integral_constantIbLb1EES1U_EEDaS1P_S1Q_EUlS1P_E_NS1_11comp_targetILNS1_3genE0ELNS1_11target_archE4294967295ELNS1_3gpuE0ELNS1_3repE0EEENS1_30default_config_static_selectorELNS0_4arch9wavefront6targetE0EEEvS12_.kd
    .uniform_work_group_size: 1
    .uses_dynamic_stack: false
    .vgpr_count:     0
    .vgpr_spill_count: 0
    .wavefront_size: 32
  - .args:
      - .offset:         0
        .size:           184
        .value_kind:     by_value
    .group_segment_fixed_size: 0
    .kernarg_segment_align: 8
    .kernarg_segment_size: 184
    .language:       OpenCL C
    .language_version:
      - 2
      - 0
    .max_flat_workgroup_size: 256
    .name:           _ZN7rocprim17ROCPRIM_400000_NS6detail17trampoline_kernelINS0_13select_configILj256ELj13ELNS0_17block_load_methodE3ELS4_3ELS4_3ELNS0_20block_scan_algorithmE0ELj4294967295EEENS1_25partition_config_selectorILNS1_17partition_subalgoE4EjNS0_10empty_typeEbEEZZNS1_14partition_implILS8_4ELb0ES6_15HIP_vector_typeIjLj2EENS0_17counting_iteratorIjlEEPS9_SG_NS0_5tupleIJPjSI_NS0_16reverse_iteratorISI_EEEEENSH_IJSG_SG_SG_EEES9_SI_JZNS1_25segmented_radix_sort_implINS0_14default_configELb1EPKfPfPKlPlN2at6native12_GLOBAL__N_18offset_tEEE10hipError_tPvRmT1_PNSt15iterator_traitsIS12_E10value_typeET2_T3_PNS13_IS18_E10value_typeET4_jRbjT5_S1E_jjP12ihipStream_tbEUljE_ZNSN_ISO_Lb1ESQ_SR_ST_SU_SY_EESZ_S10_S11_S12_S16_S17_S18_S1B_S1C_jS1D_jS1E_S1E_jjS1G_bEUljE0_EEESZ_S10_S11_S18_S1C_S1E_T6_T7_T9_mT8_S1G_bDpT10_ENKUlT_T0_E_clISt17integral_constantIbLb1EES1U_EEDaS1P_S1Q_EUlS1P_E_NS1_11comp_targetILNS1_3genE5ELNS1_11target_archE942ELNS1_3gpuE9ELNS1_3repE0EEENS1_30default_config_static_selectorELNS0_4arch9wavefront6targetE0EEEvS12_
    .private_segment_fixed_size: 0
    .sgpr_count:     0
    .sgpr_spill_count: 0
    .symbol:         _ZN7rocprim17ROCPRIM_400000_NS6detail17trampoline_kernelINS0_13select_configILj256ELj13ELNS0_17block_load_methodE3ELS4_3ELS4_3ELNS0_20block_scan_algorithmE0ELj4294967295EEENS1_25partition_config_selectorILNS1_17partition_subalgoE4EjNS0_10empty_typeEbEEZZNS1_14partition_implILS8_4ELb0ES6_15HIP_vector_typeIjLj2EENS0_17counting_iteratorIjlEEPS9_SG_NS0_5tupleIJPjSI_NS0_16reverse_iteratorISI_EEEEENSH_IJSG_SG_SG_EEES9_SI_JZNS1_25segmented_radix_sort_implINS0_14default_configELb1EPKfPfPKlPlN2at6native12_GLOBAL__N_18offset_tEEE10hipError_tPvRmT1_PNSt15iterator_traitsIS12_E10value_typeET2_T3_PNS13_IS18_E10value_typeET4_jRbjT5_S1E_jjP12ihipStream_tbEUljE_ZNSN_ISO_Lb1ESQ_SR_ST_SU_SY_EESZ_S10_S11_S12_S16_S17_S18_S1B_S1C_jS1D_jS1E_S1E_jjS1G_bEUljE0_EEESZ_S10_S11_S18_S1C_S1E_T6_T7_T9_mT8_S1G_bDpT10_ENKUlT_T0_E_clISt17integral_constantIbLb1EES1U_EEDaS1P_S1Q_EUlS1P_E_NS1_11comp_targetILNS1_3genE5ELNS1_11target_archE942ELNS1_3gpuE9ELNS1_3repE0EEENS1_30default_config_static_selectorELNS0_4arch9wavefront6targetE0EEEvS12_.kd
    .uniform_work_group_size: 1
    .uses_dynamic_stack: false
    .vgpr_count:     0
    .vgpr_spill_count: 0
    .wavefront_size: 32
  - .args:
      - .offset:         0
        .size:           184
        .value_kind:     by_value
    .group_segment_fixed_size: 0
    .kernarg_segment_align: 8
    .kernarg_segment_size: 184
    .language:       OpenCL C
    .language_version:
      - 2
      - 0
    .max_flat_workgroup_size: 256
    .name:           _ZN7rocprim17ROCPRIM_400000_NS6detail17trampoline_kernelINS0_13select_configILj256ELj13ELNS0_17block_load_methodE3ELS4_3ELS4_3ELNS0_20block_scan_algorithmE0ELj4294967295EEENS1_25partition_config_selectorILNS1_17partition_subalgoE4EjNS0_10empty_typeEbEEZZNS1_14partition_implILS8_4ELb0ES6_15HIP_vector_typeIjLj2EENS0_17counting_iteratorIjlEEPS9_SG_NS0_5tupleIJPjSI_NS0_16reverse_iteratorISI_EEEEENSH_IJSG_SG_SG_EEES9_SI_JZNS1_25segmented_radix_sort_implINS0_14default_configELb1EPKfPfPKlPlN2at6native12_GLOBAL__N_18offset_tEEE10hipError_tPvRmT1_PNSt15iterator_traitsIS12_E10value_typeET2_T3_PNS13_IS18_E10value_typeET4_jRbjT5_S1E_jjP12ihipStream_tbEUljE_ZNSN_ISO_Lb1ESQ_SR_ST_SU_SY_EESZ_S10_S11_S12_S16_S17_S18_S1B_S1C_jS1D_jS1E_S1E_jjS1G_bEUljE0_EEESZ_S10_S11_S18_S1C_S1E_T6_T7_T9_mT8_S1G_bDpT10_ENKUlT_T0_E_clISt17integral_constantIbLb1EES1U_EEDaS1P_S1Q_EUlS1P_E_NS1_11comp_targetILNS1_3genE4ELNS1_11target_archE910ELNS1_3gpuE8ELNS1_3repE0EEENS1_30default_config_static_selectorELNS0_4arch9wavefront6targetE0EEEvS12_
    .private_segment_fixed_size: 0
    .sgpr_count:     0
    .sgpr_spill_count: 0
    .symbol:         _ZN7rocprim17ROCPRIM_400000_NS6detail17trampoline_kernelINS0_13select_configILj256ELj13ELNS0_17block_load_methodE3ELS4_3ELS4_3ELNS0_20block_scan_algorithmE0ELj4294967295EEENS1_25partition_config_selectorILNS1_17partition_subalgoE4EjNS0_10empty_typeEbEEZZNS1_14partition_implILS8_4ELb0ES6_15HIP_vector_typeIjLj2EENS0_17counting_iteratorIjlEEPS9_SG_NS0_5tupleIJPjSI_NS0_16reverse_iteratorISI_EEEEENSH_IJSG_SG_SG_EEES9_SI_JZNS1_25segmented_radix_sort_implINS0_14default_configELb1EPKfPfPKlPlN2at6native12_GLOBAL__N_18offset_tEEE10hipError_tPvRmT1_PNSt15iterator_traitsIS12_E10value_typeET2_T3_PNS13_IS18_E10value_typeET4_jRbjT5_S1E_jjP12ihipStream_tbEUljE_ZNSN_ISO_Lb1ESQ_SR_ST_SU_SY_EESZ_S10_S11_S12_S16_S17_S18_S1B_S1C_jS1D_jS1E_S1E_jjS1G_bEUljE0_EEESZ_S10_S11_S18_S1C_S1E_T6_T7_T9_mT8_S1G_bDpT10_ENKUlT_T0_E_clISt17integral_constantIbLb1EES1U_EEDaS1P_S1Q_EUlS1P_E_NS1_11comp_targetILNS1_3genE4ELNS1_11target_archE910ELNS1_3gpuE8ELNS1_3repE0EEENS1_30default_config_static_selectorELNS0_4arch9wavefront6targetE0EEEvS12_.kd
    .uniform_work_group_size: 1
    .uses_dynamic_stack: false
    .vgpr_count:     0
    .vgpr_spill_count: 0
    .wavefront_size: 32
  - .args:
      - .offset:         0
        .size:           184
        .value_kind:     by_value
    .group_segment_fixed_size: 0
    .kernarg_segment_align: 8
    .kernarg_segment_size: 184
    .language:       OpenCL C
    .language_version:
      - 2
      - 0
    .max_flat_workgroup_size: 256
    .name:           _ZN7rocprim17ROCPRIM_400000_NS6detail17trampoline_kernelINS0_13select_configILj256ELj13ELNS0_17block_load_methodE3ELS4_3ELS4_3ELNS0_20block_scan_algorithmE0ELj4294967295EEENS1_25partition_config_selectorILNS1_17partition_subalgoE4EjNS0_10empty_typeEbEEZZNS1_14partition_implILS8_4ELb0ES6_15HIP_vector_typeIjLj2EENS0_17counting_iteratorIjlEEPS9_SG_NS0_5tupleIJPjSI_NS0_16reverse_iteratorISI_EEEEENSH_IJSG_SG_SG_EEES9_SI_JZNS1_25segmented_radix_sort_implINS0_14default_configELb1EPKfPfPKlPlN2at6native12_GLOBAL__N_18offset_tEEE10hipError_tPvRmT1_PNSt15iterator_traitsIS12_E10value_typeET2_T3_PNS13_IS18_E10value_typeET4_jRbjT5_S1E_jjP12ihipStream_tbEUljE_ZNSN_ISO_Lb1ESQ_SR_ST_SU_SY_EESZ_S10_S11_S12_S16_S17_S18_S1B_S1C_jS1D_jS1E_S1E_jjS1G_bEUljE0_EEESZ_S10_S11_S18_S1C_S1E_T6_T7_T9_mT8_S1G_bDpT10_ENKUlT_T0_E_clISt17integral_constantIbLb1EES1U_EEDaS1P_S1Q_EUlS1P_E_NS1_11comp_targetILNS1_3genE3ELNS1_11target_archE908ELNS1_3gpuE7ELNS1_3repE0EEENS1_30default_config_static_selectorELNS0_4arch9wavefront6targetE0EEEvS12_
    .private_segment_fixed_size: 0
    .sgpr_count:     0
    .sgpr_spill_count: 0
    .symbol:         _ZN7rocprim17ROCPRIM_400000_NS6detail17trampoline_kernelINS0_13select_configILj256ELj13ELNS0_17block_load_methodE3ELS4_3ELS4_3ELNS0_20block_scan_algorithmE0ELj4294967295EEENS1_25partition_config_selectorILNS1_17partition_subalgoE4EjNS0_10empty_typeEbEEZZNS1_14partition_implILS8_4ELb0ES6_15HIP_vector_typeIjLj2EENS0_17counting_iteratorIjlEEPS9_SG_NS0_5tupleIJPjSI_NS0_16reverse_iteratorISI_EEEEENSH_IJSG_SG_SG_EEES9_SI_JZNS1_25segmented_radix_sort_implINS0_14default_configELb1EPKfPfPKlPlN2at6native12_GLOBAL__N_18offset_tEEE10hipError_tPvRmT1_PNSt15iterator_traitsIS12_E10value_typeET2_T3_PNS13_IS18_E10value_typeET4_jRbjT5_S1E_jjP12ihipStream_tbEUljE_ZNSN_ISO_Lb1ESQ_SR_ST_SU_SY_EESZ_S10_S11_S12_S16_S17_S18_S1B_S1C_jS1D_jS1E_S1E_jjS1G_bEUljE0_EEESZ_S10_S11_S18_S1C_S1E_T6_T7_T9_mT8_S1G_bDpT10_ENKUlT_T0_E_clISt17integral_constantIbLb1EES1U_EEDaS1P_S1Q_EUlS1P_E_NS1_11comp_targetILNS1_3genE3ELNS1_11target_archE908ELNS1_3gpuE7ELNS1_3repE0EEENS1_30default_config_static_selectorELNS0_4arch9wavefront6targetE0EEEvS12_.kd
    .uniform_work_group_size: 1
    .uses_dynamic_stack: false
    .vgpr_count:     0
    .vgpr_spill_count: 0
    .wavefront_size: 32
  - .args:
      - .offset:         0
        .size:           184
        .value_kind:     by_value
    .group_segment_fixed_size: 0
    .kernarg_segment_align: 8
    .kernarg_segment_size: 184
    .language:       OpenCL C
    .language_version:
      - 2
      - 0
    .max_flat_workgroup_size: 256
    .name:           _ZN7rocprim17ROCPRIM_400000_NS6detail17trampoline_kernelINS0_13select_configILj256ELj13ELNS0_17block_load_methodE3ELS4_3ELS4_3ELNS0_20block_scan_algorithmE0ELj4294967295EEENS1_25partition_config_selectorILNS1_17partition_subalgoE4EjNS0_10empty_typeEbEEZZNS1_14partition_implILS8_4ELb0ES6_15HIP_vector_typeIjLj2EENS0_17counting_iteratorIjlEEPS9_SG_NS0_5tupleIJPjSI_NS0_16reverse_iteratorISI_EEEEENSH_IJSG_SG_SG_EEES9_SI_JZNS1_25segmented_radix_sort_implINS0_14default_configELb1EPKfPfPKlPlN2at6native12_GLOBAL__N_18offset_tEEE10hipError_tPvRmT1_PNSt15iterator_traitsIS12_E10value_typeET2_T3_PNS13_IS18_E10value_typeET4_jRbjT5_S1E_jjP12ihipStream_tbEUljE_ZNSN_ISO_Lb1ESQ_SR_ST_SU_SY_EESZ_S10_S11_S12_S16_S17_S18_S1B_S1C_jS1D_jS1E_S1E_jjS1G_bEUljE0_EEESZ_S10_S11_S18_S1C_S1E_T6_T7_T9_mT8_S1G_bDpT10_ENKUlT_T0_E_clISt17integral_constantIbLb1EES1U_EEDaS1P_S1Q_EUlS1P_E_NS1_11comp_targetILNS1_3genE2ELNS1_11target_archE906ELNS1_3gpuE6ELNS1_3repE0EEENS1_30default_config_static_selectorELNS0_4arch9wavefront6targetE0EEEvS12_
    .private_segment_fixed_size: 0
    .sgpr_count:     0
    .sgpr_spill_count: 0
    .symbol:         _ZN7rocprim17ROCPRIM_400000_NS6detail17trampoline_kernelINS0_13select_configILj256ELj13ELNS0_17block_load_methodE3ELS4_3ELS4_3ELNS0_20block_scan_algorithmE0ELj4294967295EEENS1_25partition_config_selectorILNS1_17partition_subalgoE4EjNS0_10empty_typeEbEEZZNS1_14partition_implILS8_4ELb0ES6_15HIP_vector_typeIjLj2EENS0_17counting_iteratorIjlEEPS9_SG_NS0_5tupleIJPjSI_NS0_16reverse_iteratorISI_EEEEENSH_IJSG_SG_SG_EEES9_SI_JZNS1_25segmented_radix_sort_implINS0_14default_configELb1EPKfPfPKlPlN2at6native12_GLOBAL__N_18offset_tEEE10hipError_tPvRmT1_PNSt15iterator_traitsIS12_E10value_typeET2_T3_PNS13_IS18_E10value_typeET4_jRbjT5_S1E_jjP12ihipStream_tbEUljE_ZNSN_ISO_Lb1ESQ_SR_ST_SU_SY_EESZ_S10_S11_S12_S16_S17_S18_S1B_S1C_jS1D_jS1E_S1E_jjS1G_bEUljE0_EEESZ_S10_S11_S18_S1C_S1E_T6_T7_T9_mT8_S1G_bDpT10_ENKUlT_T0_E_clISt17integral_constantIbLb1EES1U_EEDaS1P_S1Q_EUlS1P_E_NS1_11comp_targetILNS1_3genE2ELNS1_11target_archE906ELNS1_3gpuE6ELNS1_3repE0EEENS1_30default_config_static_selectorELNS0_4arch9wavefront6targetE0EEEvS12_.kd
    .uniform_work_group_size: 1
    .uses_dynamic_stack: false
    .vgpr_count:     0
    .vgpr_spill_count: 0
    .wavefront_size: 32
  - .args:
      - .offset:         0
        .size:           184
        .value_kind:     by_value
    .group_segment_fixed_size: 0
    .kernarg_segment_align: 8
    .kernarg_segment_size: 184
    .language:       OpenCL C
    .language_version:
      - 2
      - 0
    .max_flat_workgroup_size: 256
    .name:           _ZN7rocprim17ROCPRIM_400000_NS6detail17trampoline_kernelINS0_13select_configILj256ELj13ELNS0_17block_load_methodE3ELS4_3ELS4_3ELNS0_20block_scan_algorithmE0ELj4294967295EEENS1_25partition_config_selectorILNS1_17partition_subalgoE4EjNS0_10empty_typeEbEEZZNS1_14partition_implILS8_4ELb0ES6_15HIP_vector_typeIjLj2EENS0_17counting_iteratorIjlEEPS9_SG_NS0_5tupleIJPjSI_NS0_16reverse_iteratorISI_EEEEENSH_IJSG_SG_SG_EEES9_SI_JZNS1_25segmented_radix_sort_implINS0_14default_configELb1EPKfPfPKlPlN2at6native12_GLOBAL__N_18offset_tEEE10hipError_tPvRmT1_PNSt15iterator_traitsIS12_E10value_typeET2_T3_PNS13_IS18_E10value_typeET4_jRbjT5_S1E_jjP12ihipStream_tbEUljE_ZNSN_ISO_Lb1ESQ_SR_ST_SU_SY_EESZ_S10_S11_S12_S16_S17_S18_S1B_S1C_jS1D_jS1E_S1E_jjS1G_bEUljE0_EEESZ_S10_S11_S18_S1C_S1E_T6_T7_T9_mT8_S1G_bDpT10_ENKUlT_T0_E_clISt17integral_constantIbLb1EES1U_EEDaS1P_S1Q_EUlS1P_E_NS1_11comp_targetILNS1_3genE10ELNS1_11target_archE1200ELNS1_3gpuE4ELNS1_3repE0EEENS1_30default_config_static_selectorELNS0_4arch9wavefront6targetE0EEEvS12_
    .private_segment_fixed_size: 0
    .sgpr_count:     0
    .sgpr_spill_count: 0
    .symbol:         _ZN7rocprim17ROCPRIM_400000_NS6detail17trampoline_kernelINS0_13select_configILj256ELj13ELNS0_17block_load_methodE3ELS4_3ELS4_3ELNS0_20block_scan_algorithmE0ELj4294967295EEENS1_25partition_config_selectorILNS1_17partition_subalgoE4EjNS0_10empty_typeEbEEZZNS1_14partition_implILS8_4ELb0ES6_15HIP_vector_typeIjLj2EENS0_17counting_iteratorIjlEEPS9_SG_NS0_5tupleIJPjSI_NS0_16reverse_iteratorISI_EEEEENSH_IJSG_SG_SG_EEES9_SI_JZNS1_25segmented_radix_sort_implINS0_14default_configELb1EPKfPfPKlPlN2at6native12_GLOBAL__N_18offset_tEEE10hipError_tPvRmT1_PNSt15iterator_traitsIS12_E10value_typeET2_T3_PNS13_IS18_E10value_typeET4_jRbjT5_S1E_jjP12ihipStream_tbEUljE_ZNSN_ISO_Lb1ESQ_SR_ST_SU_SY_EESZ_S10_S11_S12_S16_S17_S18_S1B_S1C_jS1D_jS1E_S1E_jjS1G_bEUljE0_EEESZ_S10_S11_S18_S1C_S1E_T6_T7_T9_mT8_S1G_bDpT10_ENKUlT_T0_E_clISt17integral_constantIbLb1EES1U_EEDaS1P_S1Q_EUlS1P_E_NS1_11comp_targetILNS1_3genE10ELNS1_11target_archE1200ELNS1_3gpuE4ELNS1_3repE0EEENS1_30default_config_static_selectorELNS0_4arch9wavefront6targetE0EEEvS12_.kd
    .uniform_work_group_size: 1
    .uses_dynamic_stack: false
    .vgpr_count:     0
    .vgpr_spill_count: 0
    .wavefront_size: 32
  - .args:
      - .offset:         0
        .size:           184
        .value_kind:     by_value
    .group_segment_fixed_size: 0
    .kernarg_segment_align: 8
    .kernarg_segment_size: 184
    .language:       OpenCL C
    .language_version:
      - 2
      - 0
    .max_flat_workgroup_size: 256
    .name:           _ZN7rocprim17ROCPRIM_400000_NS6detail17trampoline_kernelINS0_13select_configILj256ELj13ELNS0_17block_load_methodE3ELS4_3ELS4_3ELNS0_20block_scan_algorithmE0ELj4294967295EEENS1_25partition_config_selectorILNS1_17partition_subalgoE4EjNS0_10empty_typeEbEEZZNS1_14partition_implILS8_4ELb0ES6_15HIP_vector_typeIjLj2EENS0_17counting_iteratorIjlEEPS9_SG_NS0_5tupleIJPjSI_NS0_16reverse_iteratorISI_EEEEENSH_IJSG_SG_SG_EEES9_SI_JZNS1_25segmented_radix_sort_implINS0_14default_configELb1EPKfPfPKlPlN2at6native12_GLOBAL__N_18offset_tEEE10hipError_tPvRmT1_PNSt15iterator_traitsIS12_E10value_typeET2_T3_PNS13_IS18_E10value_typeET4_jRbjT5_S1E_jjP12ihipStream_tbEUljE_ZNSN_ISO_Lb1ESQ_SR_ST_SU_SY_EESZ_S10_S11_S12_S16_S17_S18_S1B_S1C_jS1D_jS1E_S1E_jjS1G_bEUljE0_EEESZ_S10_S11_S18_S1C_S1E_T6_T7_T9_mT8_S1G_bDpT10_ENKUlT_T0_E_clISt17integral_constantIbLb1EES1U_EEDaS1P_S1Q_EUlS1P_E_NS1_11comp_targetILNS1_3genE9ELNS1_11target_archE1100ELNS1_3gpuE3ELNS1_3repE0EEENS1_30default_config_static_selectorELNS0_4arch9wavefront6targetE0EEEvS12_
    .private_segment_fixed_size: 0
    .sgpr_count:     0
    .sgpr_spill_count: 0
    .symbol:         _ZN7rocprim17ROCPRIM_400000_NS6detail17trampoline_kernelINS0_13select_configILj256ELj13ELNS0_17block_load_methodE3ELS4_3ELS4_3ELNS0_20block_scan_algorithmE0ELj4294967295EEENS1_25partition_config_selectorILNS1_17partition_subalgoE4EjNS0_10empty_typeEbEEZZNS1_14partition_implILS8_4ELb0ES6_15HIP_vector_typeIjLj2EENS0_17counting_iteratorIjlEEPS9_SG_NS0_5tupleIJPjSI_NS0_16reverse_iteratorISI_EEEEENSH_IJSG_SG_SG_EEES9_SI_JZNS1_25segmented_radix_sort_implINS0_14default_configELb1EPKfPfPKlPlN2at6native12_GLOBAL__N_18offset_tEEE10hipError_tPvRmT1_PNSt15iterator_traitsIS12_E10value_typeET2_T3_PNS13_IS18_E10value_typeET4_jRbjT5_S1E_jjP12ihipStream_tbEUljE_ZNSN_ISO_Lb1ESQ_SR_ST_SU_SY_EESZ_S10_S11_S12_S16_S17_S18_S1B_S1C_jS1D_jS1E_S1E_jjS1G_bEUljE0_EEESZ_S10_S11_S18_S1C_S1E_T6_T7_T9_mT8_S1G_bDpT10_ENKUlT_T0_E_clISt17integral_constantIbLb1EES1U_EEDaS1P_S1Q_EUlS1P_E_NS1_11comp_targetILNS1_3genE9ELNS1_11target_archE1100ELNS1_3gpuE3ELNS1_3repE0EEENS1_30default_config_static_selectorELNS0_4arch9wavefront6targetE0EEEvS12_.kd
    .uniform_work_group_size: 1
    .uses_dynamic_stack: false
    .vgpr_count:     0
    .vgpr_spill_count: 0
    .wavefront_size: 32
  - .args:
      - .offset:         0
        .size:           184
        .value_kind:     by_value
    .group_segment_fixed_size: 0
    .kernarg_segment_align: 8
    .kernarg_segment_size: 184
    .language:       OpenCL C
    .language_version:
      - 2
      - 0
    .max_flat_workgroup_size: 256
    .name:           _ZN7rocprim17ROCPRIM_400000_NS6detail17trampoline_kernelINS0_13select_configILj256ELj13ELNS0_17block_load_methodE3ELS4_3ELS4_3ELNS0_20block_scan_algorithmE0ELj4294967295EEENS1_25partition_config_selectorILNS1_17partition_subalgoE4EjNS0_10empty_typeEbEEZZNS1_14partition_implILS8_4ELb0ES6_15HIP_vector_typeIjLj2EENS0_17counting_iteratorIjlEEPS9_SG_NS0_5tupleIJPjSI_NS0_16reverse_iteratorISI_EEEEENSH_IJSG_SG_SG_EEES9_SI_JZNS1_25segmented_radix_sort_implINS0_14default_configELb1EPKfPfPKlPlN2at6native12_GLOBAL__N_18offset_tEEE10hipError_tPvRmT1_PNSt15iterator_traitsIS12_E10value_typeET2_T3_PNS13_IS18_E10value_typeET4_jRbjT5_S1E_jjP12ihipStream_tbEUljE_ZNSN_ISO_Lb1ESQ_SR_ST_SU_SY_EESZ_S10_S11_S12_S16_S17_S18_S1B_S1C_jS1D_jS1E_S1E_jjS1G_bEUljE0_EEESZ_S10_S11_S18_S1C_S1E_T6_T7_T9_mT8_S1G_bDpT10_ENKUlT_T0_E_clISt17integral_constantIbLb1EES1U_EEDaS1P_S1Q_EUlS1P_E_NS1_11comp_targetILNS1_3genE8ELNS1_11target_archE1030ELNS1_3gpuE2ELNS1_3repE0EEENS1_30default_config_static_selectorELNS0_4arch9wavefront6targetE0EEEvS12_
    .private_segment_fixed_size: 0
    .sgpr_count:     0
    .sgpr_spill_count: 0
    .symbol:         _ZN7rocprim17ROCPRIM_400000_NS6detail17trampoline_kernelINS0_13select_configILj256ELj13ELNS0_17block_load_methodE3ELS4_3ELS4_3ELNS0_20block_scan_algorithmE0ELj4294967295EEENS1_25partition_config_selectorILNS1_17partition_subalgoE4EjNS0_10empty_typeEbEEZZNS1_14partition_implILS8_4ELb0ES6_15HIP_vector_typeIjLj2EENS0_17counting_iteratorIjlEEPS9_SG_NS0_5tupleIJPjSI_NS0_16reverse_iteratorISI_EEEEENSH_IJSG_SG_SG_EEES9_SI_JZNS1_25segmented_radix_sort_implINS0_14default_configELb1EPKfPfPKlPlN2at6native12_GLOBAL__N_18offset_tEEE10hipError_tPvRmT1_PNSt15iterator_traitsIS12_E10value_typeET2_T3_PNS13_IS18_E10value_typeET4_jRbjT5_S1E_jjP12ihipStream_tbEUljE_ZNSN_ISO_Lb1ESQ_SR_ST_SU_SY_EESZ_S10_S11_S12_S16_S17_S18_S1B_S1C_jS1D_jS1E_S1E_jjS1G_bEUljE0_EEESZ_S10_S11_S18_S1C_S1E_T6_T7_T9_mT8_S1G_bDpT10_ENKUlT_T0_E_clISt17integral_constantIbLb1EES1U_EEDaS1P_S1Q_EUlS1P_E_NS1_11comp_targetILNS1_3genE8ELNS1_11target_archE1030ELNS1_3gpuE2ELNS1_3repE0EEENS1_30default_config_static_selectorELNS0_4arch9wavefront6targetE0EEEvS12_.kd
    .uniform_work_group_size: 1
    .uses_dynamic_stack: false
    .vgpr_count:     0
    .vgpr_spill_count: 0
    .wavefront_size: 32
  - .args:
      - .offset:         0
        .size:           176
        .value_kind:     by_value
    .group_segment_fixed_size: 0
    .kernarg_segment_align: 8
    .kernarg_segment_size: 176
    .language:       OpenCL C
    .language_version:
      - 2
      - 0
    .max_flat_workgroup_size: 256
    .name:           _ZN7rocprim17ROCPRIM_400000_NS6detail17trampoline_kernelINS0_13select_configILj256ELj13ELNS0_17block_load_methodE3ELS4_3ELS4_3ELNS0_20block_scan_algorithmE0ELj4294967295EEENS1_25partition_config_selectorILNS1_17partition_subalgoE4EjNS0_10empty_typeEbEEZZNS1_14partition_implILS8_4ELb0ES6_15HIP_vector_typeIjLj2EENS0_17counting_iteratorIjlEEPS9_SG_NS0_5tupleIJPjSI_NS0_16reverse_iteratorISI_EEEEENSH_IJSG_SG_SG_EEES9_SI_JZNS1_25segmented_radix_sort_implINS0_14default_configELb1EPKfPfPKlPlN2at6native12_GLOBAL__N_18offset_tEEE10hipError_tPvRmT1_PNSt15iterator_traitsIS12_E10value_typeET2_T3_PNS13_IS18_E10value_typeET4_jRbjT5_S1E_jjP12ihipStream_tbEUljE_ZNSN_ISO_Lb1ESQ_SR_ST_SU_SY_EESZ_S10_S11_S12_S16_S17_S18_S1B_S1C_jS1D_jS1E_S1E_jjS1G_bEUljE0_EEESZ_S10_S11_S18_S1C_S1E_T6_T7_T9_mT8_S1G_bDpT10_ENKUlT_T0_E_clISt17integral_constantIbLb1EES1T_IbLb0EEEEDaS1P_S1Q_EUlS1P_E_NS1_11comp_targetILNS1_3genE0ELNS1_11target_archE4294967295ELNS1_3gpuE0ELNS1_3repE0EEENS1_30default_config_static_selectorELNS0_4arch9wavefront6targetE0EEEvS12_
    .private_segment_fixed_size: 0
    .sgpr_count:     0
    .sgpr_spill_count: 0
    .symbol:         _ZN7rocprim17ROCPRIM_400000_NS6detail17trampoline_kernelINS0_13select_configILj256ELj13ELNS0_17block_load_methodE3ELS4_3ELS4_3ELNS0_20block_scan_algorithmE0ELj4294967295EEENS1_25partition_config_selectorILNS1_17partition_subalgoE4EjNS0_10empty_typeEbEEZZNS1_14partition_implILS8_4ELb0ES6_15HIP_vector_typeIjLj2EENS0_17counting_iteratorIjlEEPS9_SG_NS0_5tupleIJPjSI_NS0_16reverse_iteratorISI_EEEEENSH_IJSG_SG_SG_EEES9_SI_JZNS1_25segmented_radix_sort_implINS0_14default_configELb1EPKfPfPKlPlN2at6native12_GLOBAL__N_18offset_tEEE10hipError_tPvRmT1_PNSt15iterator_traitsIS12_E10value_typeET2_T3_PNS13_IS18_E10value_typeET4_jRbjT5_S1E_jjP12ihipStream_tbEUljE_ZNSN_ISO_Lb1ESQ_SR_ST_SU_SY_EESZ_S10_S11_S12_S16_S17_S18_S1B_S1C_jS1D_jS1E_S1E_jjS1G_bEUljE0_EEESZ_S10_S11_S18_S1C_S1E_T6_T7_T9_mT8_S1G_bDpT10_ENKUlT_T0_E_clISt17integral_constantIbLb1EES1T_IbLb0EEEEDaS1P_S1Q_EUlS1P_E_NS1_11comp_targetILNS1_3genE0ELNS1_11target_archE4294967295ELNS1_3gpuE0ELNS1_3repE0EEENS1_30default_config_static_selectorELNS0_4arch9wavefront6targetE0EEEvS12_.kd
    .uniform_work_group_size: 1
    .uses_dynamic_stack: false
    .vgpr_count:     0
    .vgpr_spill_count: 0
    .wavefront_size: 32
  - .args:
      - .offset:         0
        .size:           176
        .value_kind:     by_value
    .group_segment_fixed_size: 0
    .kernarg_segment_align: 8
    .kernarg_segment_size: 176
    .language:       OpenCL C
    .language_version:
      - 2
      - 0
    .max_flat_workgroup_size: 256
    .name:           _ZN7rocprim17ROCPRIM_400000_NS6detail17trampoline_kernelINS0_13select_configILj256ELj13ELNS0_17block_load_methodE3ELS4_3ELS4_3ELNS0_20block_scan_algorithmE0ELj4294967295EEENS1_25partition_config_selectorILNS1_17partition_subalgoE4EjNS0_10empty_typeEbEEZZNS1_14partition_implILS8_4ELb0ES6_15HIP_vector_typeIjLj2EENS0_17counting_iteratorIjlEEPS9_SG_NS0_5tupleIJPjSI_NS0_16reverse_iteratorISI_EEEEENSH_IJSG_SG_SG_EEES9_SI_JZNS1_25segmented_radix_sort_implINS0_14default_configELb1EPKfPfPKlPlN2at6native12_GLOBAL__N_18offset_tEEE10hipError_tPvRmT1_PNSt15iterator_traitsIS12_E10value_typeET2_T3_PNS13_IS18_E10value_typeET4_jRbjT5_S1E_jjP12ihipStream_tbEUljE_ZNSN_ISO_Lb1ESQ_SR_ST_SU_SY_EESZ_S10_S11_S12_S16_S17_S18_S1B_S1C_jS1D_jS1E_S1E_jjS1G_bEUljE0_EEESZ_S10_S11_S18_S1C_S1E_T6_T7_T9_mT8_S1G_bDpT10_ENKUlT_T0_E_clISt17integral_constantIbLb1EES1T_IbLb0EEEEDaS1P_S1Q_EUlS1P_E_NS1_11comp_targetILNS1_3genE5ELNS1_11target_archE942ELNS1_3gpuE9ELNS1_3repE0EEENS1_30default_config_static_selectorELNS0_4arch9wavefront6targetE0EEEvS12_
    .private_segment_fixed_size: 0
    .sgpr_count:     0
    .sgpr_spill_count: 0
    .symbol:         _ZN7rocprim17ROCPRIM_400000_NS6detail17trampoline_kernelINS0_13select_configILj256ELj13ELNS0_17block_load_methodE3ELS4_3ELS4_3ELNS0_20block_scan_algorithmE0ELj4294967295EEENS1_25partition_config_selectorILNS1_17partition_subalgoE4EjNS0_10empty_typeEbEEZZNS1_14partition_implILS8_4ELb0ES6_15HIP_vector_typeIjLj2EENS0_17counting_iteratorIjlEEPS9_SG_NS0_5tupleIJPjSI_NS0_16reverse_iteratorISI_EEEEENSH_IJSG_SG_SG_EEES9_SI_JZNS1_25segmented_radix_sort_implINS0_14default_configELb1EPKfPfPKlPlN2at6native12_GLOBAL__N_18offset_tEEE10hipError_tPvRmT1_PNSt15iterator_traitsIS12_E10value_typeET2_T3_PNS13_IS18_E10value_typeET4_jRbjT5_S1E_jjP12ihipStream_tbEUljE_ZNSN_ISO_Lb1ESQ_SR_ST_SU_SY_EESZ_S10_S11_S12_S16_S17_S18_S1B_S1C_jS1D_jS1E_S1E_jjS1G_bEUljE0_EEESZ_S10_S11_S18_S1C_S1E_T6_T7_T9_mT8_S1G_bDpT10_ENKUlT_T0_E_clISt17integral_constantIbLb1EES1T_IbLb0EEEEDaS1P_S1Q_EUlS1P_E_NS1_11comp_targetILNS1_3genE5ELNS1_11target_archE942ELNS1_3gpuE9ELNS1_3repE0EEENS1_30default_config_static_selectorELNS0_4arch9wavefront6targetE0EEEvS12_.kd
    .uniform_work_group_size: 1
    .uses_dynamic_stack: false
    .vgpr_count:     0
    .vgpr_spill_count: 0
    .wavefront_size: 32
  - .args:
      - .offset:         0
        .size:           176
        .value_kind:     by_value
    .group_segment_fixed_size: 0
    .kernarg_segment_align: 8
    .kernarg_segment_size: 176
    .language:       OpenCL C
    .language_version:
      - 2
      - 0
    .max_flat_workgroup_size: 256
    .name:           _ZN7rocprim17ROCPRIM_400000_NS6detail17trampoline_kernelINS0_13select_configILj256ELj13ELNS0_17block_load_methodE3ELS4_3ELS4_3ELNS0_20block_scan_algorithmE0ELj4294967295EEENS1_25partition_config_selectorILNS1_17partition_subalgoE4EjNS0_10empty_typeEbEEZZNS1_14partition_implILS8_4ELb0ES6_15HIP_vector_typeIjLj2EENS0_17counting_iteratorIjlEEPS9_SG_NS0_5tupleIJPjSI_NS0_16reverse_iteratorISI_EEEEENSH_IJSG_SG_SG_EEES9_SI_JZNS1_25segmented_radix_sort_implINS0_14default_configELb1EPKfPfPKlPlN2at6native12_GLOBAL__N_18offset_tEEE10hipError_tPvRmT1_PNSt15iterator_traitsIS12_E10value_typeET2_T3_PNS13_IS18_E10value_typeET4_jRbjT5_S1E_jjP12ihipStream_tbEUljE_ZNSN_ISO_Lb1ESQ_SR_ST_SU_SY_EESZ_S10_S11_S12_S16_S17_S18_S1B_S1C_jS1D_jS1E_S1E_jjS1G_bEUljE0_EEESZ_S10_S11_S18_S1C_S1E_T6_T7_T9_mT8_S1G_bDpT10_ENKUlT_T0_E_clISt17integral_constantIbLb1EES1T_IbLb0EEEEDaS1P_S1Q_EUlS1P_E_NS1_11comp_targetILNS1_3genE4ELNS1_11target_archE910ELNS1_3gpuE8ELNS1_3repE0EEENS1_30default_config_static_selectorELNS0_4arch9wavefront6targetE0EEEvS12_
    .private_segment_fixed_size: 0
    .sgpr_count:     0
    .sgpr_spill_count: 0
    .symbol:         _ZN7rocprim17ROCPRIM_400000_NS6detail17trampoline_kernelINS0_13select_configILj256ELj13ELNS0_17block_load_methodE3ELS4_3ELS4_3ELNS0_20block_scan_algorithmE0ELj4294967295EEENS1_25partition_config_selectorILNS1_17partition_subalgoE4EjNS0_10empty_typeEbEEZZNS1_14partition_implILS8_4ELb0ES6_15HIP_vector_typeIjLj2EENS0_17counting_iteratorIjlEEPS9_SG_NS0_5tupleIJPjSI_NS0_16reverse_iteratorISI_EEEEENSH_IJSG_SG_SG_EEES9_SI_JZNS1_25segmented_radix_sort_implINS0_14default_configELb1EPKfPfPKlPlN2at6native12_GLOBAL__N_18offset_tEEE10hipError_tPvRmT1_PNSt15iterator_traitsIS12_E10value_typeET2_T3_PNS13_IS18_E10value_typeET4_jRbjT5_S1E_jjP12ihipStream_tbEUljE_ZNSN_ISO_Lb1ESQ_SR_ST_SU_SY_EESZ_S10_S11_S12_S16_S17_S18_S1B_S1C_jS1D_jS1E_S1E_jjS1G_bEUljE0_EEESZ_S10_S11_S18_S1C_S1E_T6_T7_T9_mT8_S1G_bDpT10_ENKUlT_T0_E_clISt17integral_constantIbLb1EES1T_IbLb0EEEEDaS1P_S1Q_EUlS1P_E_NS1_11comp_targetILNS1_3genE4ELNS1_11target_archE910ELNS1_3gpuE8ELNS1_3repE0EEENS1_30default_config_static_selectorELNS0_4arch9wavefront6targetE0EEEvS12_.kd
    .uniform_work_group_size: 1
    .uses_dynamic_stack: false
    .vgpr_count:     0
    .vgpr_spill_count: 0
    .wavefront_size: 32
  - .args:
      - .offset:         0
        .size:           176
        .value_kind:     by_value
    .group_segment_fixed_size: 0
    .kernarg_segment_align: 8
    .kernarg_segment_size: 176
    .language:       OpenCL C
    .language_version:
      - 2
      - 0
    .max_flat_workgroup_size: 256
    .name:           _ZN7rocprim17ROCPRIM_400000_NS6detail17trampoline_kernelINS0_13select_configILj256ELj13ELNS0_17block_load_methodE3ELS4_3ELS4_3ELNS0_20block_scan_algorithmE0ELj4294967295EEENS1_25partition_config_selectorILNS1_17partition_subalgoE4EjNS0_10empty_typeEbEEZZNS1_14partition_implILS8_4ELb0ES6_15HIP_vector_typeIjLj2EENS0_17counting_iteratorIjlEEPS9_SG_NS0_5tupleIJPjSI_NS0_16reverse_iteratorISI_EEEEENSH_IJSG_SG_SG_EEES9_SI_JZNS1_25segmented_radix_sort_implINS0_14default_configELb1EPKfPfPKlPlN2at6native12_GLOBAL__N_18offset_tEEE10hipError_tPvRmT1_PNSt15iterator_traitsIS12_E10value_typeET2_T3_PNS13_IS18_E10value_typeET4_jRbjT5_S1E_jjP12ihipStream_tbEUljE_ZNSN_ISO_Lb1ESQ_SR_ST_SU_SY_EESZ_S10_S11_S12_S16_S17_S18_S1B_S1C_jS1D_jS1E_S1E_jjS1G_bEUljE0_EEESZ_S10_S11_S18_S1C_S1E_T6_T7_T9_mT8_S1G_bDpT10_ENKUlT_T0_E_clISt17integral_constantIbLb1EES1T_IbLb0EEEEDaS1P_S1Q_EUlS1P_E_NS1_11comp_targetILNS1_3genE3ELNS1_11target_archE908ELNS1_3gpuE7ELNS1_3repE0EEENS1_30default_config_static_selectorELNS0_4arch9wavefront6targetE0EEEvS12_
    .private_segment_fixed_size: 0
    .sgpr_count:     0
    .sgpr_spill_count: 0
    .symbol:         _ZN7rocprim17ROCPRIM_400000_NS6detail17trampoline_kernelINS0_13select_configILj256ELj13ELNS0_17block_load_methodE3ELS4_3ELS4_3ELNS0_20block_scan_algorithmE0ELj4294967295EEENS1_25partition_config_selectorILNS1_17partition_subalgoE4EjNS0_10empty_typeEbEEZZNS1_14partition_implILS8_4ELb0ES6_15HIP_vector_typeIjLj2EENS0_17counting_iteratorIjlEEPS9_SG_NS0_5tupleIJPjSI_NS0_16reverse_iteratorISI_EEEEENSH_IJSG_SG_SG_EEES9_SI_JZNS1_25segmented_radix_sort_implINS0_14default_configELb1EPKfPfPKlPlN2at6native12_GLOBAL__N_18offset_tEEE10hipError_tPvRmT1_PNSt15iterator_traitsIS12_E10value_typeET2_T3_PNS13_IS18_E10value_typeET4_jRbjT5_S1E_jjP12ihipStream_tbEUljE_ZNSN_ISO_Lb1ESQ_SR_ST_SU_SY_EESZ_S10_S11_S12_S16_S17_S18_S1B_S1C_jS1D_jS1E_S1E_jjS1G_bEUljE0_EEESZ_S10_S11_S18_S1C_S1E_T6_T7_T9_mT8_S1G_bDpT10_ENKUlT_T0_E_clISt17integral_constantIbLb1EES1T_IbLb0EEEEDaS1P_S1Q_EUlS1P_E_NS1_11comp_targetILNS1_3genE3ELNS1_11target_archE908ELNS1_3gpuE7ELNS1_3repE0EEENS1_30default_config_static_selectorELNS0_4arch9wavefront6targetE0EEEvS12_.kd
    .uniform_work_group_size: 1
    .uses_dynamic_stack: false
    .vgpr_count:     0
    .vgpr_spill_count: 0
    .wavefront_size: 32
  - .args:
      - .offset:         0
        .size:           176
        .value_kind:     by_value
    .group_segment_fixed_size: 0
    .kernarg_segment_align: 8
    .kernarg_segment_size: 176
    .language:       OpenCL C
    .language_version:
      - 2
      - 0
    .max_flat_workgroup_size: 256
    .name:           _ZN7rocprim17ROCPRIM_400000_NS6detail17trampoline_kernelINS0_13select_configILj256ELj13ELNS0_17block_load_methodE3ELS4_3ELS4_3ELNS0_20block_scan_algorithmE0ELj4294967295EEENS1_25partition_config_selectorILNS1_17partition_subalgoE4EjNS0_10empty_typeEbEEZZNS1_14partition_implILS8_4ELb0ES6_15HIP_vector_typeIjLj2EENS0_17counting_iteratorIjlEEPS9_SG_NS0_5tupleIJPjSI_NS0_16reverse_iteratorISI_EEEEENSH_IJSG_SG_SG_EEES9_SI_JZNS1_25segmented_radix_sort_implINS0_14default_configELb1EPKfPfPKlPlN2at6native12_GLOBAL__N_18offset_tEEE10hipError_tPvRmT1_PNSt15iterator_traitsIS12_E10value_typeET2_T3_PNS13_IS18_E10value_typeET4_jRbjT5_S1E_jjP12ihipStream_tbEUljE_ZNSN_ISO_Lb1ESQ_SR_ST_SU_SY_EESZ_S10_S11_S12_S16_S17_S18_S1B_S1C_jS1D_jS1E_S1E_jjS1G_bEUljE0_EEESZ_S10_S11_S18_S1C_S1E_T6_T7_T9_mT8_S1G_bDpT10_ENKUlT_T0_E_clISt17integral_constantIbLb1EES1T_IbLb0EEEEDaS1P_S1Q_EUlS1P_E_NS1_11comp_targetILNS1_3genE2ELNS1_11target_archE906ELNS1_3gpuE6ELNS1_3repE0EEENS1_30default_config_static_selectorELNS0_4arch9wavefront6targetE0EEEvS12_
    .private_segment_fixed_size: 0
    .sgpr_count:     0
    .sgpr_spill_count: 0
    .symbol:         _ZN7rocprim17ROCPRIM_400000_NS6detail17trampoline_kernelINS0_13select_configILj256ELj13ELNS0_17block_load_methodE3ELS4_3ELS4_3ELNS0_20block_scan_algorithmE0ELj4294967295EEENS1_25partition_config_selectorILNS1_17partition_subalgoE4EjNS0_10empty_typeEbEEZZNS1_14partition_implILS8_4ELb0ES6_15HIP_vector_typeIjLj2EENS0_17counting_iteratorIjlEEPS9_SG_NS0_5tupleIJPjSI_NS0_16reverse_iteratorISI_EEEEENSH_IJSG_SG_SG_EEES9_SI_JZNS1_25segmented_radix_sort_implINS0_14default_configELb1EPKfPfPKlPlN2at6native12_GLOBAL__N_18offset_tEEE10hipError_tPvRmT1_PNSt15iterator_traitsIS12_E10value_typeET2_T3_PNS13_IS18_E10value_typeET4_jRbjT5_S1E_jjP12ihipStream_tbEUljE_ZNSN_ISO_Lb1ESQ_SR_ST_SU_SY_EESZ_S10_S11_S12_S16_S17_S18_S1B_S1C_jS1D_jS1E_S1E_jjS1G_bEUljE0_EEESZ_S10_S11_S18_S1C_S1E_T6_T7_T9_mT8_S1G_bDpT10_ENKUlT_T0_E_clISt17integral_constantIbLb1EES1T_IbLb0EEEEDaS1P_S1Q_EUlS1P_E_NS1_11comp_targetILNS1_3genE2ELNS1_11target_archE906ELNS1_3gpuE6ELNS1_3repE0EEENS1_30default_config_static_selectorELNS0_4arch9wavefront6targetE0EEEvS12_.kd
    .uniform_work_group_size: 1
    .uses_dynamic_stack: false
    .vgpr_count:     0
    .vgpr_spill_count: 0
    .wavefront_size: 32
  - .args:
      - .offset:         0
        .size:           176
        .value_kind:     by_value
    .group_segment_fixed_size: 0
    .kernarg_segment_align: 8
    .kernarg_segment_size: 176
    .language:       OpenCL C
    .language_version:
      - 2
      - 0
    .max_flat_workgroup_size: 256
    .name:           _ZN7rocprim17ROCPRIM_400000_NS6detail17trampoline_kernelINS0_13select_configILj256ELj13ELNS0_17block_load_methodE3ELS4_3ELS4_3ELNS0_20block_scan_algorithmE0ELj4294967295EEENS1_25partition_config_selectorILNS1_17partition_subalgoE4EjNS0_10empty_typeEbEEZZNS1_14partition_implILS8_4ELb0ES6_15HIP_vector_typeIjLj2EENS0_17counting_iteratorIjlEEPS9_SG_NS0_5tupleIJPjSI_NS0_16reverse_iteratorISI_EEEEENSH_IJSG_SG_SG_EEES9_SI_JZNS1_25segmented_radix_sort_implINS0_14default_configELb1EPKfPfPKlPlN2at6native12_GLOBAL__N_18offset_tEEE10hipError_tPvRmT1_PNSt15iterator_traitsIS12_E10value_typeET2_T3_PNS13_IS18_E10value_typeET4_jRbjT5_S1E_jjP12ihipStream_tbEUljE_ZNSN_ISO_Lb1ESQ_SR_ST_SU_SY_EESZ_S10_S11_S12_S16_S17_S18_S1B_S1C_jS1D_jS1E_S1E_jjS1G_bEUljE0_EEESZ_S10_S11_S18_S1C_S1E_T6_T7_T9_mT8_S1G_bDpT10_ENKUlT_T0_E_clISt17integral_constantIbLb1EES1T_IbLb0EEEEDaS1P_S1Q_EUlS1P_E_NS1_11comp_targetILNS1_3genE10ELNS1_11target_archE1200ELNS1_3gpuE4ELNS1_3repE0EEENS1_30default_config_static_selectorELNS0_4arch9wavefront6targetE0EEEvS12_
    .private_segment_fixed_size: 0
    .sgpr_count:     0
    .sgpr_spill_count: 0
    .symbol:         _ZN7rocprim17ROCPRIM_400000_NS6detail17trampoline_kernelINS0_13select_configILj256ELj13ELNS0_17block_load_methodE3ELS4_3ELS4_3ELNS0_20block_scan_algorithmE0ELj4294967295EEENS1_25partition_config_selectorILNS1_17partition_subalgoE4EjNS0_10empty_typeEbEEZZNS1_14partition_implILS8_4ELb0ES6_15HIP_vector_typeIjLj2EENS0_17counting_iteratorIjlEEPS9_SG_NS0_5tupleIJPjSI_NS0_16reverse_iteratorISI_EEEEENSH_IJSG_SG_SG_EEES9_SI_JZNS1_25segmented_radix_sort_implINS0_14default_configELb1EPKfPfPKlPlN2at6native12_GLOBAL__N_18offset_tEEE10hipError_tPvRmT1_PNSt15iterator_traitsIS12_E10value_typeET2_T3_PNS13_IS18_E10value_typeET4_jRbjT5_S1E_jjP12ihipStream_tbEUljE_ZNSN_ISO_Lb1ESQ_SR_ST_SU_SY_EESZ_S10_S11_S12_S16_S17_S18_S1B_S1C_jS1D_jS1E_S1E_jjS1G_bEUljE0_EEESZ_S10_S11_S18_S1C_S1E_T6_T7_T9_mT8_S1G_bDpT10_ENKUlT_T0_E_clISt17integral_constantIbLb1EES1T_IbLb0EEEEDaS1P_S1Q_EUlS1P_E_NS1_11comp_targetILNS1_3genE10ELNS1_11target_archE1200ELNS1_3gpuE4ELNS1_3repE0EEENS1_30default_config_static_selectorELNS0_4arch9wavefront6targetE0EEEvS12_.kd
    .uniform_work_group_size: 1
    .uses_dynamic_stack: false
    .vgpr_count:     0
    .vgpr_spill_count: 0
    .wavefront_size: 32
  - .args:
      - .offset:         0
        .size:           176
        .value_kind:     by_value
    .group_segment_fixed_size: 0
    .kernarg_segment_align: 8
    .kernarg_segment_size: 176
    .language:       OpenCL C
    .language_version:
      - 2
      - 0
    .max_flat_workgroup_size: 256
    .name:           _ZN7rocprim17ROCPRIM_400000_NS6detail17trampoline_kernelINS0_13select_configILj256ELj13ELNS0_17block_load_methodE3ELS4_3ELS4_3ELNS0_20block_scan_algorithmE0ELj4294967295EEENS1_25partition_config_selectorILNS1_17partition_subalgoE4EjNS0_10empty_typeEbEEZZNS1_14partition_implILS8_4ELb0ES6_15HIP_vector_typeIjLj2EENS0_17counting_iteratorIjlEEPS9_SG_NS0_5tupleIJPjSI_NS0_16reverse_iteratorISI_EEEEENSH_IJSG_SG_SG_EEES9_SI_JZNS1_25segmented_radix_sort_implINS0_14default_configELb1EPKfPfPKlPlN2at6native12_GLOBAL__N_18offset_tEEE10hipError_tPvRmT1_PNSt15iterator_traitsIS12_E10value_typeET2_T3_PNS13_IS18_E10value_typeET4_jRbjT5_S1E_jjP12ihipStream_tbEUljE_ZNSN_ISO_Lb1ESQ_SR_ST_SU_SY_EESZ_S10_S11_S12_S16_S17_S18_S1B_S1C_jS1D_jS1E_S1E_jjS1G_bEUljE0_EEESZ_S10_S11_S18_S1C_S1E_T6_T7_T9_mT8_S1G_bDpT10_ENKUlT_T0_E_clISt17integral_constantIbLb1EES1T_IbLb0EEEEDaS1P_S1Q_EUlS1P_E_NS1_11comp_targetILNS1_3genE9ELNS1_11target_archE1100ELNS1_3gpuE3ELNS1_3repE0EEENS1_30default_config_static_selectorELNS0_4arch9wavefront6targetE0EEEvS12_
    .private_segment_fixed_size: 0
    .sgpr_count:     0
    .sgpr_spill_count: 0
    .symbol:         _ZN7rocprim17ROCPRIM_400000_NS6detail17trampoline_kernelINS0_13select_configILj256ELj13ELNS0_17block_load_methodE3ELS4_3ELS4_3ELNS0_20block_scan_algorithmE0ELj4294967295EEENS1_25partition_config_selectorILNS1_17partition_subalgoE4EjNS0_10empty_typeEbEEZZNS1_14partition_implILS8_4ELb0ES6_15HIP_vector_typeIjLj2EENS0_17counting_iteratorIjlEEPS9_SG_NS0_5tupleIJPjSI_NS0_16reverse_iteratorISI_EEEEENSH_IJSG_SG_SG_EEES9_SI_JZNS1_25segmented_radix_sort_implINS0_14default_configELb1EPKfPfPKlPlN2at6native12_GLOBAL__N_18offset_tEEE10hipError_tPvRmT1_PNSt15iterator_traitsIS12_E10value_typeET2_T3_PNS13_IS18_E10value_typeET4_jRbjT5_S1E_jjP12ihipStream_tbEUljE_ZNSN_ISO_Lb1ESQ_SR_ST_SU_SY_EESZ_S10_S11_S12_S16_S17_S18_S1B_S1C_jS1D_jS1E_S1E_jjS1G_bEUljE0_EEESZ_S10_S11_S18_S1C_S1E_T6_T7_T9_mT8_S1G_bDpT10_ENKUlT_T0_E_clISt17integral_constantIbLb1EES1T_IbLb0EEEEDaS1P_S1Q_EUlS1P_E_NS1_11comp_targetILNS1_3genE9ELNS1_11target_archE1100ELNS1_3gpuE3ELNS1_3repE0EEENS1_30default_config_static_selectorELNS0_4arch9wavefront6targetE0EEEvS12_.kd
    .uniform_work_group_size: 1
    .uses_dynamic_stack: false
    .vgpr_count:     0
    .vgpr_spill_count: 0
    .wavefront_size: 32
  - .args:
      - .offset:         0
        .size:           176
        .value_kind:     by_value
    .group_segment_fixed_size: 0
    .kernarg_segment_align: 8
    .kernarg_segment_size: 176
    .language:       OpenCL C
    .language_version:
      - 2
      - 0
    .max_flat_workgroup_size: 256
    .name:           _ZN7rocprim17ROCPRIM_400000_NS6detail17trampoline_kernelINS0_13select_configILj256ELj13ELNS0_17block_load_methodE3ELS4_3ELS4_3ELNS0_20block_scan_algorithmE0ELj4294967295EEENS1_25partition_config_selectorILNS1_17partition_subalgoE4EjNS0_10empty_typeEbEEZZNS1_14partition_implILS8_4ELb0ES6_15HIP_vector_typeIjLj2EENS0_17counting_iteratorIjlEEPS9_SG_NS0_5tupleIJPjSI_NS0_16reverse_iteratorISI_EEEEENSH_IJSG_SG_SG_EEES9_SI_JZNS1_25segmented_radix_sort_implINS0_14default_configELb1EPKfPfPKlPlN2at6native12_GLOBAL__N_18offset_tEEE10hipError_tPvRmT1_PNSt15iterator_traitsIS12_E10value_typeET2_T3_PNS13_IS18_E10value_typeET4_jRbjT5_S1E_jjP12ihipStream_tbEUljE_ZNSN_ISO_Lb1ESQ_SR_ST_SU_SY_EESZ_S10_S11_S12_S16_S17_S18_S1B_S1C_jS1D_jS1E_S1E_jjS1G_bEUljE0_EEESZ_S10_S11_S18_S1C_S1E_T6_T7_T9_mT8_S1G_bDpT10_ENKUlT_T0_E_clISt17integral_constantIbLb1EES1T_IbLb0EEEEDaS1P_S1Q_EUlS1P_E_NS1_11comp_targetILNS1_3genE8ELNS1_11target_archE1030ELNS1_3gpuE2ELNS1_3repE0EEENS1_30default_config_static_selectorELNS0_4arch9wavefront6targetE0EEEvS12_
    .private_segment_fixed_size: 0
    .sgpr_count:     0
    .sgpr_spill_count: 0
    .symbol:         _ZN7rocprim17ROCPRIM_400000_NS6detail17trampoline_kernelINS0_13select_configILj256ELj13ELNS0_17block_load_methodE3ELS4_3ELS4_3ELNS0_20block_scan_algorithmE0ELj4294967295EEENS1_25partition_config_selectorILNS1_17partition_subalgoE4EjNS0_10empty_typeEbEEZZNS1_14partition_implILS8_4ELb0ES6_15HIP_vector_typeIjLj2EENS0_17counting_iteratorIjlEEPS9_SG_NS0_5tupleIJPjSI_NS0_16reverse_iteratorISI_EEEEENSH_IJSG_SG_SG_EEES9_SI_JZNS1_25segmented_radix_sort_implINS0_14default_configELb1EPKfPfPKlPlN2at6native12_GLOBAL__N_18offset_tEEE10hipError_tPvRmT1_PNSt15iterator_traitsIS12_E10value_typeET2_T3_PNS13_IS18_E10value_typeET4_jRbjT5_S1E_jjP12ihipStream_tbEUljE_ZNSN_ISO_Lb1ESQ_SR_ST_SU_SY_EESZ_S10_S11_S12_S16_S17_S18_S1B_S1C_jS1D_jS1E_S1E_jjS1G_bEUljE0_EEESZ_S10_S11_S18_S1C_S1E_T6_T7_T9_mT8_S1G_bDpT10_ENKUlT_T0_E_clISt17integral_constantIbLb1EES1T_IbLb0EEEEDaS1P_S1Q_EUlS1P_E_NS1_11comp_targetILNS1_3genE8ELNS1_11target_archE1030ELNS1_3gpuE2ELNS1_3repE0EEENS1_30default_config_static_selectorELNS0_4arch9wavefront6targetE0EEEvS12_.kd
    .uniform_work_group_size: 1
    .uses_dynamic_stack: false
    .vgpr_count:     0
    .vgpr_spill_count: 0
    .wavefront_size: 32
  - .args:
      - .offset:         0
        .size:           184
        .value_kind:     by_value
    .group_segment_fixed_size: 13328
    .kernarg_segment_align: 8
    .kernarg_segment_size: 184
    .language:       OpenCL C
    .language_version:
      - 2
      - 0
    .max_flat_workgroup_size: 256
    .name:           _ZN7rocprim17ROCPRIM_400000_NS6detail17trampoline_kernelINS0_13select_configILj256ELj13ELNS0_17block_load_methodE3ELS4_3ELS4_3ELNS0_20block_scan_algorithmE0ELj4294967295EEENS1_25partition_config_selectorILNS1_17partition_subalgoE4EjNS0_10empty_typeEbEEZZNS1_14partition_implILS8_4ELb0ES6_15HIP_vector_typeIjLj2EENS0_17counting_iteratorIjlEEPS9_SG_NS0_5tupleIJPjSI_NS0_16reverse_iteratorISI_EEEEENSH_IJSG_SG_SG_EEES9_SI_JZNS1_25segmented_radix_sort_implINS0_14default_configELb1EPKfPfPKlPlN2at6native12_GLOBAL__N_18offset_tEEE10hipError_tPvRmT1_PNSt15iterator_traitsIS12_E10value_typeET2_T3_PNS13_IS18_E10value_typeET4_jRbjT5_S1E_jjP12ihipStream_tbEUljE_ZNSN_ISO_Lb1ESQ_SR_ST_SU_SY_EESZ_S10_S11_S12_S16_S17_S18_S1B_S1C_jS1D_jS1E_S1E_jjS1G_bEUljE0_EEESZ_S10_S11_S18_S1C_S1E_T6_T7_T9_mT8_S1G_bDpT10_ENKUlT_T0_E_clISt17integral_constantIbLb0EES1T_IbLb1EEEEDaS1P_S1Q_EUlS1P_E_NS1_11comp_targetILNS1_3genE0ELNS1_11target_archE4294967295ELNS1_3gpuE0ELNS1_3repE0EEENS1_30default_config_static_selectorELNS0_4arch9wavefront6targetE0EEEvS12_
    .private_segment_fixed_size: 0
    .sgpr_count:     57
    .sgpr_spill_count: 0
    .symbol:         _ZN7rocprim17ROCPRIM_400000_NS6detail17trampoline_kernelINS0_13select_configILj256ELj13ELNS0_17block_load_methodE3ELS4_3ELS4_3ELNS0_20block_scan_algorithmE0ELj4294967295EEENS1_25partition_config_selectorILNS1_17partition_subalgoE4EjNS0_10empty_typeEbEEZZNS1_14partition_implILS8_4ELb0ES6_15HIP_vector_typeIjLj2EENS0_17counting_iteratorIjlEEPS9_SG_NS0_5tupleIJPjSI_NS0_16reverse_iteratorISI_EEEEENSH_IJSG_SG_SG_EEES9_SI_JZNS1_25segmented_radix_sort_implINS0_14default_configELb1EPKfPfPKlPlN2at6native12_GLOBAL__N_18offset_tEEE10hipError_tPvRmT1_PNSt15iterator_traitsIS12_E10value_typeET2_T3_PNS13_IS18_E10value_typeET4_jRbjT5_S1E_jjP12ihipStream_tbEUljE_ZNSN_ISO_Lb1ESQ_SR_ST_SU_SY_EESZ_S10_S11_S12_S16_S17_S18_S1B_S1C_jS1D_jS1E_S1E_jjS1G_bEUljE0_EEESZ_S10_S11_S18_S1C_S1E_T6_T7_T9_mT8_S1G_bDpT10_ENKUlT_T0_E_clISt17integral_constantIbLb0EES1T_IbLb1EEEEDaS1P_S1Q_EUlS1P_E_NS1_11comp_targetILNS1_3genE0ELNS1_11target_archE4294967295ELNS1_3gpuE0ELNS1_3repE0EEENS1_30default_config_static_selectorELNS0_4arch9wavefront6targetE0EEEvS12_.kd
    .uniform_work_group_size: 1
    .uses_dynamic_stack: false
    .vgpr_count:     86
    .vgpr_spill_count: 0
    .wavefront_size: 32
  - .args:
      - .offset:         0
        .size:           184
        .value_kind:     by_value
    .group_segment_fixed_size: 0
    .kernarg_segment_align: 8
    .kernarg_segment_size: 184
    .language:       OpenCL C
    .language_version:
      - 2
      - 0
    .max_flat_workgroup_size: 256
    .name:           _ZN7rocprim17ROCPRIM_400000_NS6detail17trampoline_kernelINS0_13select_configILj256ELj13ELNS0_17block_load_methodE3ELS4_3ELS4_3ELNS0_20block_scan_algorithmE0ELj4294967295EEENS1_25partition_config_selectorILNS1_17partition_subalgoE4EjNS0_10empty_typeEbEEZZNS1_14partition_implILS8_4ELb0ES6_15HIP_vector_typeIjLj2EENS0_17counting_iteratorIjlEEPS9_SG_NS0_5tupleIJPjSI_NS0_16reverse_iteratorISI_EEEEENSH_IJSG_SG_SG_EEES9_SI_JZNS1_25segmented_radix_sort_implINS0_14default_configELb1EPKfPfPKlPlN2at6native12_GLOBAL__N_18offset_tEEE10hipError_tPvRmT1_PNSt15iterator_traitsIS12_E10value_typeET2_T3_PNS13_IS18_E10value_typeET4_jRbjT5_S1E_jjP12ihipStream_tbEUljE_ZNSN_ISO_Lb1ESQ_SR_ST_SU_SY_EESZ_S10_S11_S12_S16_S17_S18_S1B_S1C_jS1D_jS1E_S1E_jjS1G_bEUljE0_EEESZ_S10_S11_S18_S1C_S1E_T6_T7_T9_mT8_S1G_bDpT10_ENKUlT_T0_E_clISt17integral_constantIbLb0EES1T_IbLb1EEEEDaS1P_S1Q_EUlS1P_E_NS1_11comp_targetILNS1_3genE5ELNS1_11target_archE942ELNS1_3gpuE9ELNS1_3repE0EEENS1_30default_config_static_selectorELNS0_4arch9wavefront6targetE0EEEvS12_
    .private_segment_fixed_size: 0
    .sgpr_count:     0
    .sgpr_spill_count: 0
    .symbol:         _ZN7rocprim17ROCPRIM_400000_NS6detail17trampoline_kernelINS0_13select_configILj256ELj13ELNS0_17block_load_methodE3ELS4_3ELS4_3ELNS0_20block_scan_algorithmE0ELj4294967295EEENS1_25partition_config_selectorILNS1_17partition_subalgoE4EjNS0_10empty_typeEbEEZZNS1_14partition_implILS8_4ELb0ES6_15HIP_vector_typeIjLj2EENS0_17counting_iteratorIjlEEPS9_SG_NS0_5tupleIJPjSI_NS0_16reverse_iteratorISI_EEEEENSH_IJSG_SG_SG_EEES9_SI_JZNS1_25segmented_radix_sort_implINS0_14default_configELb1EPKfPfPKlPlN2at6native12_GLOBAL__N_18offset_tEEE10hipError_tPvRmT1_PNSt15iterator_traitsIS12_E10value_typeET2_T3_PNS13_IS18_E10value_typeET4_jRbjT5_S1E_jjP12ihipStream_tbEUljE_ZNSN_ISO_Lb1ESQ_SR_ST_SU_SY_EESZ_S10_S11_S12_S16_S17_S18_S1B_S1C_jS1D_jS1E_S1E_jjS1G_bEUljE0_EEESZ_S10_S11_S18_S1C_S1E_T6_T7_T9_mT8_S1G_bDpT10_ENKUlT_T0_E_clISt17integral_constantIbLb0EES1T_IbLb1EEEEDaS1P_S1Q_EUlS1P_E_NS1_11comp_targetILNS1_3genE5ELNS1_11target_archE942ELNS1_3gpuE9ELNS1_3repE0EEENS1_30default_config_static_selectorELNS0_4arch9wavefront6targetE0EEEvS12_.kd
    .uniform_work_group_size: 1
    .uses_dynamic_stack: false
    .vgpr_count:     0
    .vgpr_spill_count: 0
    .wavefront_size: 32
  - .args:
      - .offset:         0
        .size:           184
        .value_kind:     by_value
    .group_segment_fixed_size: 0
    .kernarg_segment_align: 8
    .kernarg_segment_size: 184
    .language:       OpenCL C
    .language_version:
      - 2
      - 0
    .max_flat_workgroup_size: 256
    .name:           _ZN7rocprim17ROCPRIM_400000_NS6detail17trampoline_kernelINS0_13select_configILj256ELj13ELNS0_17block_load_methodE3ELS4_3ELS4_3ELNS0_20block_scan_algorithmE0ELj4294967295EEENS1_25partition_config_selectorILNS1_17partition_subalgoE4EjNS0_10empty_typeEbEEZZNS1_14partition_implILS8_4ELb0ES6_15HIP_vector_typeIjLj2EENS0_17counting_iteratorIjlEEPS9_SG_NS0_5tupleIJPjSI_NS0_16reverse_iteratorISI_EEEEENSH_IJSG_SG_SG_EEES9_SI_JZNS1_25segmented_radix_sort_implINS0_14default_configELb1EPKfPfPKlPlN2at6native12_GLOBAL__N_18offset_tEEE10hipError_tPvRmT1_PNSt15iterator_traitsIS12_E10value_typeET2_T3_PNS13_IS18_E10value_typeET4_jRbjT5_S1E_jjP12ihipStream_tbEUljE_ZNSN_ISO_Lb1ESQ_SR_ST_SU_SY_EESZ_S10_S11_S12_S16_S17_S18_S1B_S1C_jS1D_jS1E_S1E_jjS1G_bEUljE0_EEESZ_S10_S11_S18_S1C_S1E_T6_T7_T9_mT8_S1G_bDpT10_ENKUlT_T0_E_clISt17integral_constantIbLb0EES1T_IbLb1EEEEDaS1P_S1Q_EUlS1P_E_NS1_11comp_targetILNS1_3genE4ELNS1_11target_archE910ELNS1_3gpuE8ELNS1_3repE0EEENS1_30default_config_static_selectorELNS0_4arch9wavefront6targetE0EEEvS12_
    .private_segment_fixed_size: 0
    .sgpr_count:     0
    .sgpr_spill_count: 0
    .symbol:         _ZN7rocprim17ROCPRIM_400000_NS6detail17trampoline_kernelINS0_13select_configILj256ELj13ELNS0_17block_load_methodE3ELS4_3ELS4_3ELNS0_20block_scan_algorithmE0ELj4294967295EEENS1_25partition_config_selectorILNS1_17partition_subalgoE4EjNS0_10empty_typeEbEEZZNS1_14partition_implILS8_4ELb0ES6_15HIP_vector_typeIjLj2EENS0_17counting_iteratorIjlEEPS9_SG_NS0_5tupleIJPjSI_NS0_16reverse_iteratorISI_EEEEENSH_IJSG_SG_SG_EEES9_SI_JZNS1_25segmented_radix_sort_implINS0_14default_configELb1EPKfPfPKlPlN2at6native12_GLOBAL__N_18offset_tEEE10hipError_tPvRmT1_PNSt15iterator_traitsIS12_E10value_typeET2_T3_PNS13_IS18_E10value_typeET4_jRbjT5_S1E_jjP12ihipStream_tbEUljE_ZNSN_ISO_Lb1ESQ_SR_ST_SU_SY_EESZ_S10_S11_S12_S16_S17_S18_S1B_S1C_jS1D_jS1E_S1E_jjS1G_bEUljE0_EEESZ_S10_S11_S18_S1C_S1E_T6_T7_T9_mT8_S1G_bDpT10_ENKUlT_T0_E_clISt17integral_constantIbLb0EES1T_IbLb1EEEEDaS1P_S1Q_EUlS1P_E_NS1_11comp_targetILNS1_3genE4ELNS1_11target_archE910ELNS1_3gpuE8ELNS1_3repE0EEENS1_30default_config_static_selectorELNS0_4arch9wavefront6targetE0EEEvS12_.kd
    .uniform_work_group_size: 1
    .uses_dynamic_stack: false
    .vgpr_count:     0
    .vgpr_spill_count: 0
    .wavefront_size: 32
  - .args:
      - .offset:         0
        .size:           184
        .value_kind:     by_value
    .group_segment_fixed_size: 0
    .kernarg_segment_align: 8
    .kernarg_segment_size: 184
    .language:       OpenCL C
    .language_version:
      - 2
      - 0
    .max_flat_workgroup_size: 256
    .name:           _ZN7rocprim17ROCPRIM_400000_NS6detail17trampoline_kernelINS0_13select_configILj256ELj13ELNS0_17block_load_methodE3ELS4_3ELS4_3ELNS0_20block_scan_algorithmE0ELj4294967295EEENS1_25partition_config_selectorILNS1_17partition_subalgoE4EjNS0_10empty_typeEbEEZZNS1_14partition_implILS8_4ELb0ES6_15HIP_vector_typeIjLj2EENS0_17counting_iteratorIjlEEPS9_SG_NS0_5tupleIJPjSI_NS0_16reverse_iteratorISI_EEEEENSH_IJSG_SG_SG_EEES9_SI_JZNS1_25segmented_radix_sort_implINS0_14default_configELb1EPKfPfPKlPlN2at6native12_GLOBAL__N_18offset_tEEE10hipError_tPvRmT1_PNSt15iterator_traitsIS12_E10value_typeET2_T3_PNS13_IS18_E10value_typeET4_jRbjT5_S1E_jjP12ihipStream_tbEUljE_ZNSN_ISO_Lb1ESQ_SR_ST_SU_SY_EESZ_S10_S11_S12_S16_S17_S18_S1B_S1C_jS1D_jS1E_S1E_jjS1G_bEUljE0_EEESZ_S10_S11_S18_S1C_S1E_T6_T7_T9_mT8_S1G_bDpT10_ENKUlT_T0_E_clISt17integral_constantIbLb0EES1T_IbLb1EEEEDaS1P_S1Q_EUlS1P_E_NS1_11comp_targetILNS1_3genE3ELNS1_11target_archE908ELNS1_3gpuE7ELNS1_3repE0EEENS1_30default_config_static_selectorELNS0_4arch9wavefront6targetE0EEEvS12_
    .private_segment_fixed_size: 0
    .sgpr_count:     0
    .sgpr_spill_count: 0
    .symbol:         _ZN7rocprim17ROCPRIM_400000_NS6detail17trampoline_kernelINS0_13select_configILj256ELj13ELNS0_17block_load_methodE3ELS4_3ELS4_3ELNS0_20block_scan_algorithmE0ELj4294967295EEENS1_25partition_config_selectorILNS1_17partition_subalgoE4EjNS0_10empty_typeEbEEZZNS1_14partition_implILS8_4ELb0ES6_15HIP_vector_typeIjLj2EENS0_17counting_iteratorIjlEEPS9_SG_NS0_5tupleIJPjSI_NS0_16reverse_iteratorISI_EEEEENSH_IJSG_SG_SG_EEES9_SI_JZNS1_25segmented_radix_sort_implINS0_14default_configELb1EPKfPfPKlPlN2at6native12_GLOBAL__N_18offset_tEEE10hipError_tPvRmT1_PNSt15iterator_traitsIS12_E10value_typeET2_T3_PNS13_IS18_E10value_typeET4_jRbjT5_S1E_jjP12ihipStream_tbEUljE_ZNSN_ISO_Lb1ESQ_SR_ST_SU_SY_EESZ_S10_S11_S12_S16_S17_S18_S1B_S1C_jS1D_jS1E_S1E_jjS1G_bEUljE0_EEESZ_S10_S11_S18_S1C_S1E_T6_T7_T9_mT8_S1G_bDpT10_ENKUlT_T0_E_clISt17integral_constantIbLb0EES1T_IbLb1EEEEDaS1P_S1Q_EUlS1P_E_NS1_11comp_targetILNS1_3genE3ELNS1_11target_archE908ELNS1_3gpuE7ELNS1_3repE0EEENS1_30default_config_static_selectorELNS0_4arch9wavefront6targetE0EEEvS12_.kd
    .uniform_work_group_size: 1
    .uses_dynamic_stack: false
    .vgpr_count:     0
    .vgpr_spill_count: 0
    .wavefront_size: 32
  - .args:
      - .offset:         0
        .size:           184
        .value_kind:     by_value
    .group_segment_fixed_size: 0
    .kernarg_segment_align: 8
    .kernarg_segment_size: 184
    .language:       OpenCL C
    .language_version:
      - 2
      - 0
    .max_flat_workgroup_size: 256
    .name:           _ZN7rocprim17ROCPRIM_400000_NS6detail17trampoline_kernelINS0_13select_configILj256ELj13ELNS0_17block_load_methodE3ELS4_3ELS4_3ELNS0_20block_scan_algorithmE0ELj4294967295EEENS1_25partition_config_selectorILNS1_17partition_subalgoE4EjNS0_10empty_typeEbEEZZNS1_14partition_implILS8_4ELb0ES6_15HIP_vector_typeIjLj2EENS0_17counting_iteratorIjlEEPS9_SG_NS0_5tupleIJPjSI_NS0_16reverse_iteratorISI_EEEEENSH_IJSG_SG_SG_EEES9_SI_JZNS1_25segmented_radix_sort_implINS0_14default_configELb1EPKfPfPKlPlN2at6native12_GLOBAL__N_18offset_tEEE10hipError_tPvRmT1_PNSt15iterator_traitsIS12_E10value_typeET2_T3_PNS13_IS18_E10value_typeET4_jRbjT5_S1E_jjP12ihipStream_tbEUljE_ZNSN_ISO_Lb1ESQ_SR_ST_SU_SY_EESZ_S10_S11_S12_S16_S17_S18_S1B_S1C_jS1D_jS1E_S1E_jjS1G_bEUljE0_EEESZ_S10_S11_S18_S1C_S1E_T6_T7_T9_mT8_S1G_bDpT10_ENKUlT_T0_E_clISt17integral_constantIbLb0EES1T_IbLb1EEEEDaS1P_S1Q_EUlS1P_E_NS1_11comp_targetILNS1_3genE2ELNS1_11target_archE906ELNS1_3gpuE6ELNS1_3repE0EEENS1_30default_config_static_selectorELNS0_4arch9wavefront6targetE0EEEvS12_
    .private_segment_fixed_size: 0
    .sgpr_count:     0
    .sgpr_spill_count: 0
    .symbol:         _ZN7rocprim17ROCPRIM_400000_NS6detail17trampoline_kernelINS0_13select_configILj256ELj13ELNS0_17block_load_methodE3ELS4_3ELS4_3ELNS0_20block_scan_algorithmE0ELj4294967295EEENS1_25partition_config_selectorILNS1_17partition_subalgoE4EjNS0_10empty_typeEbEEZZNS1_14partition_implILS8_4ELb0ES6_15HIP_vector_typeIjLj2EENS0_17counting_iteratorIjlEEPS9_SG_NS0_5tupleIJPjSI_NS0_16reverse_iteratorISI_EEEEENSH_IJSG_SG_SG_EEES9_SI_JZNS1_25segmented_radix_sort_implINS0_14default_configELb1EPKfPfPKlPlN2at6native12_GLOBAL__N_18offset_tEEE10hipError_tPvRmT1_PNSt15iterator_traitsIS12_E10value_typeET2_T3_PNS13_IS18_E10value_typeET4_jRbjT5_S1E_jjP12ihipStream_tbEUljE_ZNSN_ISO_Lb1ESQ_SR_ST_SU_SY_EESZ_S10_S11_S12_S16_S17_S18_S1B_S1C_jS1D_jS1E_S1E_jjS1G_bEUljE0_EEESZ_S10_S11_S18_S1C_S1E_T6_T7_T9_mT8_S1G_bDpT10_ENKUlT_T0_E_clISt17integral_constantIbLb0EES1T_IbLb1EEEEDaS1P_S1Q_EUlS1P_E_NS1_11comp_targetILNS1_3genE2ELNS1_11target_archE906ELNS1_3gpuE6ELNS1_3repE0EEENS1_30default_config_static_selectorELNS0_4arch9wavefront6targetE0EEEvS12_.kd
    .uniform_work_group_size: 1
    .uses_dynamic_stack: false
    .vgpr_count:     0
    .vgpr_spill_count: 0
    .wavefront_size: 32
  - .args:
      - .offset:         0
        .size:           184
        .value_kind:     by_value
    .group_segment_fixed_size: 0
    .kernarg_segment_align: 8
    .kernarg_segment_size: 184
    .language:       OpenCL C
    .language_version:
      - 2
      - 0
    .max_flat_workgroup_size: 256
    .name:           _ZN7rocprim17ROCPRIM_400000_NS6detail17trampoline_kernelINS0_13select_configILj256ELj13ELNS0_17block_load_methodE3ELS4_3ELS4_3ELNS0_20block_scan_algorithmE0ELj4294967295EEENS1_25partition_config_selectorILNS1_17partition_subalgoE4EjNS0_10empty_typeEbEEZZNS1_14partition_implILS8_4ELb0ES6_15HIP_vector_typeIjLj2EENS0_17counting_iteratorIjlEEPS9_SG_NS0_5tupleIJPjSI_NS0_16reverse_iteratorISI_EEEEENSH_IJSG_SG_SG_EEES9_SI_JZNS1_25segmented_radix_sort_implINS0_14default_configELb1EPKfPfPKlPlN2at6native12_GLOBAL__N_18offset_tEEE10hipError_tPvRmT1_PNSt15iterator_traitsIS12_E10value_typeET2_T3_PNS13_IS18_E10value_typeET4_jRbjT5_S1E_jjP12ihipStream_tbEUljE_ZNSN_ISO_Lb1ESQ_SR_ST_SU_SY_EESZ_S10_S11_S12_S16_S17_S18_S1B_S1C_jS1D_jS1E_S1E_jjS1G_bEUljE0_EEESZ_S10_S11_S18_S1C_S1E_T6_T7_T9_mT8_S1G_bDpT10_ENKUlT_T0_E_clISt17integral_constantIbLb0EES1T_IbLb1EEEEDaS1P_S1Q_EUlS1P_E_NS1_11comp_targetILNS1_3genE10ELNS1_11target_archE1200ELNS1_3gpuE4ELNS1_3repE0EEENS1_30default_config_static_selectorELNS0_4arch9wavefront6targetE0EEEvS12_
    .private_segment_fixed_size: 0
    .sgpr_count:     0
    .sgpr_spill_count: 0
    .symbol:         _ZN7rocprim17ROCPRIM_400000_NS6detail17trampoline_kernelINS0_13select_configILj256ELj13ELNS0_17block_load_methodE3ELS4_3ELS4_3ELNS0_20block_scan_algorithmE0ELj4294967295EEENS1_25partition_config_selectorILNS1_17partition_subalgoE4EjNS0_10empty_typeEbEEZZNS1_14partition_implILS8_4ELb0ES6_15HIP_vector_typeIjLj2EENS0_17counting_iteratorIjlEEPS9_SG_NS0_5tupleIJPjSI_NS0_16reverse_iteratorISI_EEEEENSH_IJSG_SG_SG_EEES9_SI_JZNS1_25segmented_radix_sort_implINS0_14default_configELb1EPKfPfPKlPlN2at6native12_GLOBAL__N_18offset_tEEE10hipError_tPvRmT1_PNSt15iterator_traitsIS12_E10value_typeET2_T3_PNS13_IS18_E10value_typeET4_jRbjT5_S1E_jjP12ihipStream_tbEUljE_ZNSN_ISO_Lb1ESQ_SR_ST_SU_SY_EESZ_S10_S11_S12_S16_S17_S18_S1B_S1C_jS1D_jS1E_S1E_jjS1G_bEUljE0_EEESZ_S10_S11_S18_S1C_S1E_T6_T7_T9_mT8_S1G_bDpT10_ENKUlT_T0_E_clISt17integral_constantIbLb0EES1T_IbLb1EEEEDaS1P_S1Q_EUlS1P_E_NS1_11comp_targetILNS1_3genE10ELNS1_11target_archE1200ELNS1_3gpuE4ELNS1_3repE0EEENS1_30default_config_static_selectorELNS0_4arch9wavefront6targetE0EEEvS12_.kd
    .uniform_work_group_size: 1
    .uses_dynamic_stack: false
    .vgpr_count:     0
    .vgpr_spill_count: 0
    .wavefront_size: 32
  - .args:
      - .offset:         0
        .size:           184
        .value_kind:     by_value
    .group_segment_fixed_size: 0
    .kernarg_segment_align: 8
    .kernarg_segment_size: 184
    .language:       OpenCL C
    .language_version:
      - 2
      - 0
    .max_flat_workgroup_size: 256
    .name:           _ZN7rocprim17ROCPRIM_400000_NS6detail17trampoline_kernelINS0_13select_configILj256ELj13ELNS0_17block_load_methodE3ELS4_3ELS4_3ELNS0_20block_scan_algorithmE0ELj4294967295EEENS1_25partition_config_selectorILNS1_17partition_subalgoE4EjNS0_10empty_typeEbEEZZNS1_14partition_implILS8_4ELb0ES6_15HIP_vector_typeIjLj2EENS0_17counting_iteratorIjlEEPS9_SG_NS0_5tupleIJPjSI_NS0_16reverse_iteratorISI_EEEEENSH_IJSG_SG_SG_EEES9_SI_JZNS1_25segmented_radix_sort_implINS0_14default_configELb1EPKfPfPKlPlN2at6native12_GLOBAL__N_18offset_tEEE10hipError_tPvRmT1_PNSt15iterator_traitsIS12_E10value_typeET2_T3_PNS13_IS18_E10value_typeET4_jRbjT5_S1E_jjP12ihipStream_tbEUljE_ZNSN_ISO_Lb1ESQ_SR_ST_SU_SY_EESZ_S10_S11_S12_S16_S17_S18_S1B_S1C_jS1D_jS1E_S1E_jjS1G_bEUljE0_EEESZ_S10_S11_S18_S1C_S1E_T6_T7_T9_mT8_S1G_bDpT10_ENKUlT_T0_E_clISt17integral_constantIbLb0EES1T_IbLb1EEEEDaS1P_S1Q_EUlS1P_E_NS1_11comp_targetILNS1_3genE9ELNS1_11target_archE1100ELNS1_3gpuE3ELNS1_3repE0EEENS1_30default_config_static_selectorELNS0_4arch9wavefront6targetE0EEEvS12_
    .private_segment_fixed_size: 0
    .sgpr_count:     0
    .sgpr_spill_count: 0
    .symbol:         _ZN7rocprim17ROCPRIM_400000_NS6detail17trampoline_kernelINS0_13select_configILj256ELj13ELNS0_17block_load_methodE3ELS4_3ELS4_3ELNS0_20block_scan_algorithmE0ELj4294967295EEENS1_25partition_config_selectorILNS1_17partition_subalgoE4EjNS0_10empty_typeEbEEZZNS1_14partition_implILS8_4ELb0ES6_15HIP_vector_typeIjLj2EENS0_17counting_iteratorIjlEEPS9_SG_NS0_5tupleIJPjSI_NS0_16reverse_iteratorISI_EEEEENSH_IJSG_SG_SG_EEES9_SI_JZNS1_25segmented_radix_sort_implINS0_14default_configELb1EPKfPfPKlPlN2at6native12_GLOBAL__N_18offset_tEEE10hipError_tPvRmT1_PNSt15iterator_traitsIS12_E10value_typeET2_T3_PNS13_IS18_E10value_typeET4_jRbjT5_S1E_jjP12ihipStream_tbEUljE_ZNSN_ISO_Lb1ESQ_SR_ST_SU_SY_EESZ_S10_S11_S12_S16_S17_S18_S1B_S1C_jS1D_jS1E_S1E_jjS1G_bEUljE0_EEESZ_S10_S11_S18_S1C_S1E_T6_T7_T9_mT8_S1G_bDpT10_ENKUlT_T0_E_clISt17integral_constantIbLb0EES1T_IbLb1EEEEDaS1P_S1Q_EUlS1P_E_NS1_11comp_targetILNS1_3genE9ELNS1_11target_archE1100ELNS1_3gpuE3ELNS1_3repE0EEENS1_30default_config_static_selectorELNS0_4arch9wavefront6targetE0EEEvS12_.kd
    .uniform_work_group_size: 1
    .uses_dynamic_stack: false
    .vgpr_count:     0
    .vgpr_spill_count: 0
    .wavefront_size: 32
  - .args:
      - .offset:         0
        .size:           184
        .value_kind:     by_value
    .group_segment_fixed_size: 0
    .kernarg_segment_align: 8
    .kernarg_segment_size: 184
    .language:       OpenCL C
    .language_version:
      - 2
      - 0
    .max_flat_workgroup_size: 256
    .name:           _ZN7rocprim17ROCPRIM_400000_NS6detail17trampoline_kernelINS0_13select_configILj256ELj13ELNS0_17block_load_methodE3ELS4_3ELS4_3ELNS0_20block_scan_algorithmE0ELj4294967295EEENS1_25partition_config_selectorILNS1_17partition_subalgoE4EjNS0_10empty_typeEbEEZZNS1_14partition_implILS8_4ELb0ES6_15HIP_vector_typeIjLj2EENS0_17counting_iteratorIjlEEPS9_SG_NS0_5tupleIJPjSI_NS0_16reverse_iteratorISI_EEEEENSH_IJSG_SG_SG_EEES9_SI_JZNS1_25segmented_radix_sort_implINS0_14default_configELb1EPKfPfPKlPlN2at6native12_GLOBAL__N_18offset_tEEE10hipError_tPvRmT1_PNSt15iterator_traitsIS12_E10value_typeET2_T3_PNS13_IS18_E10value_typeET4_jRbjT5_S1E_jjP12ihipStream_tbEUljE_ZNSN_ISO_Lb1ESQ_SR_ST_SU_SY_EESZ_S10_S11_S12_S16_S17_S18_S1B_S1C_jS1D_jS1E_S1E_jjS1G_bEUljE0_EEESZ_S10_S11_S18_S1C_S1E_T6_T7_T9_mT8_S1G_bDpT10_ENKUlT_T0_E_clISt17integral_constantIbLb0EES1T_IbLb1EEEEDaS1P_S1Q_EUlS1P_E_NS1_11comp_targetILNS1_3genE8ELNS1_11target_archE1030ELNS1_3gpuE2ELNS1_3repE0EEENS1_30default_config_static_selectorELNS0_4arch9wavefront6targetE0EEEvS12_
    .private_segment_fixed_size: 0
    .sgpr_count:     0
    .sgpr_spill_count: 0
    .symbol:         _ZN7rocprim17ROCPRIM_400000_NS6detail17trampoline_kernelINS0_13select_configILj256ELj13ELNS0_17block_load_methodE3ELS4_3ELS4_3ELNS0_20block_scan_algorithmE0ELj4294967295EEENS1_25partition_config_selectorILNS1_17partition_subalgoE4EjNS0_10empty_typeEbEEZZNS1_14partition_implILS8_4ELb0ES6_15HIP_vector_typeIjLj2EENS0_17counting_iteratorIjlEEPS9_SG_NS0_5tupleIJPjSI_NS0_16reverse_iteratorISI_EEEEENSH_IJSG_SG_SG_EEES9_SI_JZNS1_25segmented_radix_sort_implINS0_14default_configELb1EPKfPfPKlPlN2at6native12_GLOBAL__N_18offset_tEEE10hipError_tPvRmT1_PNSt15iterator_traitsIS12_E10value_typeET2_T3_PNS13_IS18_E10value_typeET4_jRbjT5_S1E_jjP12ihipStream_tbEUljE_ZNSN_ISO_Lb1ESQ_SR_ST_SU_SY_EESZ_S10_S11_S12_S16_S17_S18_S1B_S1C_jS1D_jS1E_S1E_jjS1G_bEUljE0_EEESZ_S10_S11_S18_S1C_S1E_T6_T7_T9_mT8_S1G_bDpT10_ENKUlT_T0_E_clISt17integral_constantIbLb0EES1T_IbLb1EEEEDaS1P_S1Q_EUlS1P_E_NS1_11comp_targetILNS1_3genE8ELNS1_11target_archE1030ELNS1_3gpuE2ELNS1_3repE0EEENS1_30default_config_static_selectorELNS0_4arch9wavefront6targetE0EEEvS12_.kd
    .uniform_work_group_size: 1
    .uses_dynamic_stack: false
    .vgpr_count:     0
    .vgpr_spill_count: 0
    .wavefront_size: 32
  - .args:
      - .offset:         0
        .size:           144
        .value_kind:     by_value
    .group_segment_fixed_size: 13320
    .kernarg_segment_align: 8
    .kernarg_segment_size: 144
    .language:       OpenCL C
    .language_version:
      - 2
      - 0
    .max_flat_workgroup_size: 256
    .name:           _ZN7rocprim17ROCPRIM_400000_NS6detail17trampoline_kernelINS0_13select_configILj256ELj13ELNS0_17block_load_methodE3ELS4_3ELS4_3ELNS0_20block_scan_algorithmE0ELj4294967295EEENS1_25partition_config_selectorILNS1_17partition_subalgoE3EjNS0_10empty_typeEbEEZZNS1_14partition_implILS8_3ELb0ES6_jNS0_17counting_iteratorIjlEEPS9_SE_NS0_5tupleIJPjSE_EEENSF_IJSE_SE_EEES9_SG_JZNS1_25segmented_radix_sort_implINS0_14default_configELb1EPKfPfPKlPlN2at6native12_GLOBAL__N_18offset_tEEE10hipError_tPvRmT1_PNSt15iterator_traitsISY_E10value_typeET2_T3_PNSZ_IS14_E10value_typeET4_jRbjT5_S1A_jjP12ihipStream_tbEUljE_EEESV_SW_SX_S14_S18_S1A_T6_T7_T9_mT8_S1C_bDpT10_ENKUlT_T0_E_clISt17integral_constantIbLb0EES1P_EEDaS1K_S1L_EUlS1K_E_NS1_11comp_targetILNS1_3genE0ELNS1_11target_archE4294967295ELNS1_3gpuE0ELNS1_3repE0EEENS1_30default_config_static_selectorELNS0_4arch9wavefront6targetE0EEEvSY_
    .private_segment_fixed_size: 0
    .sgpr_count:     28
    .sgpr_spill_count: 0
    .symbol:         _ZN7rocprim17ROCPRIM_400000_NS6detail17trampoline_kernelINS0_13select_configILj256ELj13ELNS0_17block_load_methodE3ELS4_3ELS4_3ELNS0_20block_scan_algorithmE0ELj4294967295EEENS1_25partition_config_selectorILNS1_17partition_subalgoE3EjNS0_10empty_typeEbEEZZNS1_14partition_implILS8_3ELb0ES6_jNS0_17counting_iteratorIjlEEPS9_SE_NS0_5tupleIJPjSE_EEENSF_IJSE_SE_EEES9_SG_JZNS1_25segmented_radix_sort_implINS0_14default_configELb1EPKfPfPKlPlN2at6native12_GLOBAL__N_18offset_tEEE10hipError_tPvRmT1_PNSt15iterator_traitsISY_E10value_typeET2_T3_PNSZ_IS14_E10value_typeET4_jRbjT5_S1A_jjP12ihipStream_tbEUljE_EEESV_SW_SX_S14_S18_S1A_T6_T7_T9_mT8_S1C_bDpT10_ENKUlT_T0_E_clISt17integral_constantIbLb0EES1P_EEDaS1K_S1L_EUlS1K_E_NS1_11comp_targetILNS1_3genE0ELNS1_11target_archE4294967295ELNS1_3gpuE0ELNS1_3repE0EEENS1_30default_config_static_selectorELNS0_4arch9wavefront6targetE0EEEvSY_.kd
    .uniform_work_group_size: 1
    .uses_dynamic_stack: false
    .vgpr_count:     69
    .vgpr_spill_count: 0
    .wavefront_size: 32
  - .args:
      - .offset:         0
        .size:           144
        .value_kind:     by_value
    .group_segment_fixed_size: 0
    .kernarg_segment_align: 8
    .kernarg_segment_size: 144
    .language:       OpenCL C
    .language_version:
      - 2
      - 0
    .max_flat_workgroup_size: 256
    .name:           _ZN7rocprim17ROCPRIM_400000_NS6detail17trampoline_kernelINS0_13select_configILj256ELj13ELNS0_17block_load_methodE3ELS4_3ELS4_3ELNS0_20block_scan_algorithmE0ELj4294967295EEENS1_25partition_config_selectorILNS1_17partition_subalgoE3EjNS0_10empty_typeEbEEZZNS1_14partition_implILS8_3ELb0ES6_jNS0_17counting_iteratorIjlEEPS9_SE_NS0_5tupleIJPjSE_EEENSF_IJSE_SE_EEES9_SG_JZNS1_25segmented_radix_sort_implINS0_14default_configELb1EPKfPfPKlPlN2at6native12_GLOBAL__N_18offset_tEEE10hipError_tPvRmT1_PNSt15iterator_traitsISY_E10value_typeET2_T3_PNSZ_IS14_E10value_typeET4_jRbjT5_S1A_jjP12ihipStream_tbEUljE_EEESV_SW_SX_S14_S18_S1A_T6_T7_T9_mT8_S1C_bDpT10_ENKUlT_T0_E_clISt17integral_constantIbLb0EES1P_EEDaS1K_S1L_EUlS1K_E_NS1_11comp_targetILNS1_3genE5ELNS1_11target_archE942ELNS1_3gpuE9ELNS1_3repE0EEENS1_30default_config_static_selectorELNS0_4arch9wavefront6targetE0EEEvSY_
    .private_segment_fixed_size: 0
    .sgpr_count:     0
    .sgpr_spill_count: 0
    .symbol:         _ZN7rocprim17ROCPRIM_400000_NS6detail17trampoline_kernelINS0_13select_configILj256ELj13ELNS0_17block_load_methodE3ELS4_3ELS4_3ELNS0_20block_scan_algorithmE0ELj4294967295EEENS1_25partition_config_selectorILNS1_17partition_subalgoE3EjNS0_10empty_typeEbEEZZNS1_14partition_implILS8_3ELb0ES6_jNS0_17counting_iteratorIjlEEPS9_SE_NS0_5tupleIJPjSE_EEENSF_IJSE_SE_EEES9_SG_JZNS1_25segmented_radix_sort_implINS0_14default_configELb1EPKfPfPKlPlN2at6native12_GLOBAL__N_18offset_tEEE10hipError_tPvRmT1_PNSt15iterator_traitsISY_E10value_typeET2_T3_PNSZ_IS14_E10value_typeET4_jRbjT5_S1A_jjP12ihipStream_tbEUljE_EEESV_SW_SX_S14_S18_S1A_T6_T7_T9_mT8_S1C_bDpT10_ENKUlT_T0_E_clISt17integral_constantIbLb0EES1P_EEDaS1K_S1L_EUlS1K_E_NS1_11comp_targetILNS1_3genE5ELNS1_11target_archE942ELNS1_3gpuE9ELNS1_3repE0EEENS1_30default_config_static_selectorELNS0_4arch9wavefront6targetE0EEEvSY_.kd
    .uniform_work_group_size: 1
    .uses_dynamic_stack: false
    .vgpr_count:     0
    .vgpr_spill_count: 0
    .wavefront_size: 32
  - .args:
      - .offset:         0
        .size:           144
        .value_kind:     by_value
    .group_segment_fixed_size: 0
    .kernarg_segment_align: 8
    .kernarg_segment_size: 144
    .language:       OpenCL C
    .language_version:
      - 2
      - 0
    .max_flat_workgroup_size: 256
    .name:           _ZN7rocprim17ROCPRIM_400000_NS6detail17trampoline_kernelINS0_13select_configILj256ELj13ELNS0_17block_load_methodE3ELS4_3ELS4_3ELNS0_20block_scan_algorithmE0ELj4294967295EEENS1_25partition_config_selectorILNS1_17partition_subalgoE3EjNS0_10empty_typeEbEEZZNS1_14partition_implILS8_3ELb0ES6_jNS0_17counting_iteratorIjlEEPS9_SE_NS0_5tupleIJPjSE_EEENSF_IJSE_SE_EEES9_SG_JZNS1_25segmented_radix_sort_implINS0_14default_configELb1EPKfPfPKlPlN2at6native12_GLOBAL__N_18offset_tEEE10hipError_tPvRmT1_PNSt15iterator_traitsISY_E10value_typeET2_T3_PNSZ_IS14_E10value_typeET4_jRbjT5_S1A_jjP12ihipStream_tbEUljE_EEESV_SW_SX_S14_S18_S1A_T6_T7_T9_mT8_S1C_bDpT10_ENKUlT_T0_E_clISt17integral_constantIbLb0EES1P_EEDaS1K_S1L_EUlS1K_E_NS1_11comp_targetILNS1_3genE4ELNS1_11target_archE910ELNS1_3gpuE8ELNS1_3repE0EEENS1_30default_config_static_selectorELNS0_4arch9wavefront6targetE0EEEvSY_
    .private_segment_fixed_size: 0
    .sgpr_count:     0
    .sgpr_spill_count: 0
    .symbol:         _ZN7rocprim17ROCPRIM_400000_NS6detail17trampoline_kernelINS0_13select_configILj256ELj13ELNS0_17block_load_methodE3ELS4_3ELS4_3ELNS0_20block_scan_algorithmE0ELj4294967295EEENS1_25partition_config_selectorILNS1_17partition_subalgoE3EjNS0_10empty_typeEbEEZZNS1_14partition_implILS8_3ELb0ES6_jNS0_17counting_iteratorIjlEEPS9_SE_NS0_5tupleIJPjSE_EEENSF_IJSE_SE_EEES9_SG_JZNS1_25segmented_radix_sort_implINS0_14default_configELb1EPKfPfPKlPlN2at6native12_GLOBAL__N_18offset_tEEE10hipError_tPvRmT1_PNSt15iterator_traitsISY_E10value_typeET2_T3_PNSZ_IS14_E10value_typeET4_jRbjT5_S1A_jjP12ihipStream_tbEUljE_EEESV_SW_SX_S14_S18_S1A_T6_T7_T9_mT8_S1C_bDpT10_ENKUlT_T0_E_clISt17integral_constantIbLb0EES1P_EEDaS1K_S1L_EUlS1K_E_NS1_11comp_targetILNS1_3genE4ELNS1_11target_archE910ELNS1_3gpuE8ELNS1_3repE0EEENS1_30default_config_static_selectorELNS0_4arch9wavefront6targetE0EEEvSY_.kd
    .uniform_work_group_size: 1
    .uses_dynamic_stack: false
    .vgpr_count:     0
    .vgpr_spill_count: 0
    .wavefront_size: 32
  - .args:
      - .offset:         0
        .size:           144
        .value_kind:     by_value
    .group_segment_fixed_size: 0
    .kernarg_segment_align: 8
    .kernarg_segment_size: 144
    .language:       OpenCL C
    .language_version:
      - 2
      - 0
    .max_flat_workgroup_size: 256
    .name:           _ZN7rocprim17ROCPRIM_400000_NS6detail17trampoline_kernelINS0_13select_configILj256ELj13ELNS0_17block_load_methodE3ELS4_3ELS4_3ELNS0_20block_scan_algorithmE0ELj4294967295EEENS1_25partition_config_selectorILNS1_17partition_subalgoE3EjNS0_10empty_typeEbEEZZNS1_14partition_implILS8_3ELb0ES6_jNS0_17counting_iteratorIjlEEPS9_SE_NS0_5tupleIJPjSE_EEENSF_IJSE_SE_EEES9_SG_JZNS1_25segmented_radix_sort_implINS0_14default_configELb1EPKfPfPKlPlN2at6native12_GLOBAL__N_18offset_tEEE10hipError_tPvRmT1_PNSt15iterator_traitsISY_E10value_typeET2_T3_PNSZ_IS14_E10value_typeET4_jRbjT5_S1A_jjP12ihipStream_tbEUljE_EEESV_SW_SX_S14_S18_S1A_T6_T7_T9_mT8_S1C_bDpT10_ENKUlT_T0_E_clISt17integral_constantIbLb0EES1P_EEDaS1K_S1L_EUlS1K_E_NS1_11comp_targetILNS1_3genE3ELNS1_11target_archE908ELNS1_3gpuE7ELNS1_3repE0EEENS1_30default_config_static_selectorELNS0_4arch9wavefront6targetE0EEEvSY_
    .private_segment_fixed_size: 0
    .sgpr_count:     0
    .sgpr_spill_count: 0
    .symbol:         _ZN7rocprim17ROCPRIM_400000_NS6detail17trampoline_kernelINS0_13select_configILj256ELj13ELNS0_17block_load_methodE3ELS4_3ELS4_3ELNS0_20block_scan_algorithmE0ELj4294967295EEENS1_25partition_config_selectorILNS1_17partition_subalgoE3EjNS0_10empty_typeEbEEZZNS1_14partition_implILS8_3ELb0ES6_jNS0_17counting_iteratorIjlEEPS9_SE_NS0_5tupleIJPjSE_EEENSF_IJSE_SE_EEES9_SG_JZNS1_25segmented_radix_sort_implINS0_14default_configELb1EPKfPfPKlPlN2at6native12_GLOBAL__N_18offset_tEEE10hipError_tPvRmT1_PNSt15iterator_traitsISY_E10value_typeET2_T3_PNSZ_IS14_E10value_typeET4_jRbjT5_S1A_jjP12ihipStream_tbEUljE_EEESV_SW_SX_S14_S18_S1A_T6_T7_T9_mT8_S1C_bDpT10_ENKUlT_T0_E_clISt17integral_constantIbLb0EES1P_EEDaS1K_S1L_EUlS1K_E_NS1_11comp_targetILNS1_3genE3ELNS1_11target_archE908ELNS1_3gpuE7ELNS1_3repE0EEENS1_30default_config_static_selectorELNS0_4arch9wavefront6targetE0EEEvSY_.kd
    .uniform_work_group_size: 1
    .uses_dynamic_stack: false
    .vgpr_count:     0
    .vgpr_spill_count: 0
    .wavefront_size: 32
  - .args:
      - .offset:         0
        .size:           144
        .value_kind:     by_value
    .group_segment_fixed_size: 0
    .kernarg_segment_align: 8
    .kernarg_segment_size: 144
    .language:       OpenCL C
    .language_version:
      - 2
      - 0
    .max_flat_workgroup_size: 256
    .name:           _ZN7rocprim17ROCPRIM_400000_NS6detail17trampoline_kernelINS0_13select_configILj256ELj13ELNS0_17block_load_methodE3ELS4_3ELS4_3ELNS0_20block_scan_algorithmE0ELj4294967295EEENS1_25partition_config_selectorILNS1_17partition_subalgoE3EjNS0_10empty_typeEbEEZZNS1_14partition_implILS8_3ELb0ES6_jNS0_17counting_iteratorIjlEEPS9_SE_NS0_5tupleIJPjSE_EEENSF_IJSE_SE_EEES9_SG_JZNS1_25segmented_radix_sort_implINS0_14default_configELb1EPKfPfPKlPlN2at6native12_GLOBAL__N_18offset_tEEE10hipError_tPvRmT1_PNSt15iterator_traitsISY_E10value_typeET2_T3_PNSZ_IS14_E10value_typeET4_jRbjT5_S1A_jjP12ihipStream_tbEUljE_EEESV_SW_SX_S14_S18_S1A_T6_T7_T9_mT8_S1C_bDpT10_ENKUlT_T0_E_clISt17integral_constantIbLb0EES1P_EEDaS1K_S1L_EUlS1K_E_NS1_11comp_targetILNS1_3genE2ELNS1_11target_archE906ELNS1_3gpuE6ELNS1_3repE0EEENS1_30default_config_static_selectorELNS0_4arch9wavefront6targetE0EEEvSY_
    .private_segment_fixed_size: 0
    .sgpr_count:     0
    .sgpr_spill_count: 0
    .symbol:         _ZN7rocprim17ROCPRIM_400000_NS6detail17trampoline_kernelINS0_13select_configILj256ELj13ELNS0_17block_load_methodE3ELS4_3ELS4_3ELNS0_20block_scan_algorithmE0ELj4294967295EEENS1_25partition_config_selectorILNS1_17partition_subalgoE3EjNS0_10empty_typeEbEEZZNS1_14partition_implILS8_3ELb0ES6_jNS0_17counting_iteratorIjlEEPS9_SE_NS0_5tupleIJPjSE_EEENSF_IJSE_SE_EEES9_SG_JZNS1_25segmented_radix_sort_implINS0_14default_configELb1EPKfPfPKlPlN2at6native12_GLOBAL__N_18offset_tEEE10hipError_tPvRmT1_PNSt15iterator_traitsISY_E10value_typeET2_T3_PNSZ_IS14_E10value_typeET4_jRbjT5_S1A_jjP12ihipStream_tbEUljE_EEESV_SW_SX_S14_S18_S1A_T6_T7_T9_mT8_S1C_bDpT10_ENKUlT_T0_E_clISt17integral_constantIbLb0EES1P_EEDaS1K_S1L_EUlS1K_E_NS1_11comp_targetILNS1_3genE2ELNS1_11target_archE906ELNS1_3gpuE6ELNS1_3repE0EEENS1_30default_config_static_selectorELNS0_4arch9wavefront6targetE0EEEvSY_.kd
    .uniform_work_group_size: 1
    .uses_dynamic_stack: false
    .vgpr_count:     0
    .vgpr_spill_count: 0
    .wavefront_size: 32
  - .args:
      - .offset:         0
        .size:           144
        .value_kind:     by_value
    .group_segment_fixed_size: 0
    .kernarg_segment_align: 8
    .kernarg_segment_size: 144
    .language:       OpenCL C
    .language_version:
      - 2
      - 0
    .max_flat_workgroup_size: 256
    .name:           _ZN7rocprim17ROCPRIM_400000_NS6detail17trampoline_kernelINS0_13select_configILj256ELj13ELNS0_17block_load_methodE3ELS4_3ELS4_3ELNS0_20block_scan_algorithmE0ELj4294967295EEENS1_25partition_config_selectorILNS1_17partition_subalgoE3EjNS0_10empty_typeEbEEZZNS1_14partition_implILS8_3ELb0ES6_jNS0_17counting_iteratorIjlEEPS9_SE_NS0_5tupleIJPjSE_EEENSF_IJSE_SE_EEES9_SG_JZNS1_25segmented_radix_sort_implINS0_14default_configELb1EPKfPfPKlPlN2at6native12_GLOBAL__N_18offset_tEEE10hipError_tPvRmT1_PNSt15iterator_traitsISY_E10value_typeET2_T3_PNSZ_IS14_E10value_typeET4_jRbjT5_S1A_jjP12ihipStream_tbEUljE_EEESV_SW_SX_S14_S18_S1A_T6_T7_T9_mT8_S1C_bDpT10_ENKUlT_T0_E_clISt17integral_constantIbLb0EES1P_EEDaS1K_S1L_EUlS1K_E_NS1_11comp_targetILNS1_3genE10ELNS1_11target_archE1200ELNS1_3gpuE4ELNS1_3repE0EEENS1_30default_config_static_selectorELNS0_4arch9wavefront6targetE0EEEvSY_
    .private_segment_fixed_size: 0
    .sgpr_count:     0
    .sgpr_spill_count: 0
    .symbol:         _ZN7rocprim17ROCPRIM_400000_NS6detail17trampoline_kernelINS0_13select_configILj256ELj13ELNS0_17block_load_methodE3ELS4_3ELS4_3ELNS0_20block_scan_algorithmE0ELj4294967295EEENS1_25partition_config_selectorILNS1_17partition_subalgoE3EjNS0_10empty_typeEbEEZZNS1_14partition_implILS8_3ELb0ES6_jNS0_17counting_iteratorIjlEEPS9_SE_NS0_5tupleIJPjSE_EEENSF_IJSE_SE_EEES9_SG_JZNS1_25segmented_radix_sort_implINS0_14default_configELb1EPKfPfPKlPlN2at6native12_GLOBAL__N_18offset_tEEE10hipError_tPvRmT1_PNSt15iterator_traitsISY_E10value_typeET2_T3_PNSZ_IS14_E10value_typeET4_jRbjT5_S1A_jjP12ihipStream_tbEUljE_EEESV_SW_SX_S14_S18_S1A_T6_T7_T9_mT8_S1C_bDpT10_ENKUlT_T0_E_clISt17integral_constantIbLb0EES1P_EEDaS1K_S1L_EUlS1K_E_NS1_11comp_targetILNS1_3genE10ELNS1_11target_archE1200ELNS1_3gpuE4ELNS1_3repE0EEENS1_30default_config_static_selectorELNS0_4arch9wavefront6targetE0EEEvSY_.kd
    .uniform_work_group_size: 1
    .uses_dynamic_stack: false
    .vgpr_count:     0
    .vgpr_spill_count: 0
    .wavefront_size: 32
  - .args:
      - .offset:         0
        .size:           144
        .value_kind:     by_value
    .group_segment_fixed_size: 0
    .kernarg_segment_align: 8
    .kernarg_segment_size: 144
    .language:       OpenCL C
    .language_version:
      - 2
      - 0
    .max_flat_workgroup_size: 256
    .name:           _ZN7rocprim17ROCPRIM_400000_NS6detail17trampoline_kernelINS0_13select_configILj256ELj13ELNS0_17block_load_methodE3ELS4_3ELS4_3ELNS0_20block_scan_algorithmE0ELj4294967295EEENS1_25partition_config_selectorILNS1_17partition_subalgoE3EjNS0_10empty_typeEbEEZZNS1_14partition_implILS8_3ELb0ES6_jNS0_17counting_iteratorIjlEEPS9_SE_NS0_5tupleIJPjSE_EEENSF_IJSE_SE_EEES9_SG_JZNS1_25segmented_radix_sort_implINS0_14default_configELb1EPKfPfPKlPlN2at6native12_GLOBAL__N_18offset_tEEE10hipError_tPvRmT1_PNSt15iterator_traitsISY_E10value_typeET2_T3_PNSZ_IS14_E10value_typeET4_jRbjT5_S1A_jjP12ihipStream_tbEUljE_EEESV_SW_SX_S14_S18_S1A_T6_T7_T9_mT8_S1C_bDpT10_ENKUlT_T0_E_clISt17integral_constantIbLb0EES1P_EEDaS1K_S1L_EUlS1K_E_NS1_11comp_targetILNS1_3genE9ELNS1_11target_archE1100ELNS1_3gpuE3ELNS1_3repE0EEENS1_30default_config_static_selectorELNS0_4arch9wavefront6targetE0EEEvSY_
    .private_segment_fixed_size: 0
    .sgpr_count:     0
    .sgpr_spill_count: 0
    .symbol:         _ZN7rocprim17ROCPRIM_400000_NS6detail17trampoline_kernelINS0_13select_configILj256ELj13ELNS0_17block_load_methodE3ELS4_3ELS4_3ELNS0_20block_scan_algorithmE0ELj4294967295EEENS1_25partition_config_selectorILNS1_17partition_subalgoE3EjNS0_10empty_typeEbEEZZNS1_14partition_implILS8_3ELb0ES6_jNS0_17counting_iteratorIjlEEPS9_SE_NS0_5tupleIJPjSE_EEENSF_IJSE_SE_EEES9_SG_JZNS1_25segmented_radix_sort_implINS0_14default_configELb1EPKfPfPKlPlN2at6native12_GLOBAL__N_18offset_tEEE10hipError_tPvRmT1_PNSt15iterator_traitsISY_E10value_typeET2_T3_PNSZ_IS14_E10value_typeET4_jRbjT5_S1A_jjP12ihipStream_tbEUljE_EEESV_SW_SX_S14_S18_S1A_T6_T7_T9_mT8_S1C_bDpT10_ENKUlT_T0_E_clISt17integral_constantIbLb0EES1P_EEDaS1K_S1L_EUlS1K_E_NS1_11comp_targetILNS1_3genE9ELNS1_11target_archE1100ELNS1_3gpuE3ELNS1_3repE0EEENS1_30default_config_static_selectorELNS0_4arch9wavefront6targetE0EEEvSY_.kd
    .uniform_work_group_size: 1
    .uses_dynamic_stack: false
    .vgpr_count:     0
    .vgpr_spill_count: 0
    .wavefront_size: 32
  - .args:
      - .offset:         0
        .size:           144
        .value_kind:     by_value
    .group_segment_fixed_size: 0
    .kernarg_segment_align: 8
    .kernarg_segment_size: 144
    .language:       OpenCL C
    .language_version:
      - 2
      - 0
    .max_flat_workgroup_size: 256
    .name:           _ZN7rocprim17ROCPRIM_400000_NS6detail17trampoline_kernelINS0_13select_configILj256ELj13ELNS0_17block_load_methodE3ELS4_3ELS4_3ELNS0_20block_scan_algorithmE0ELj4294967295EEENS1_25partition_config_selectorILNS1_17partition_subalgoE3EjNS0_10empty_typeEbEEZZNS1_14partition_implILS8_3ELb0ES6_jNS0_17counting_iteratorIjlEEPS9_SE_NS0_5tupleIJPjSE_EEENSF_IJSE_SE_EEES9_SG_JZNS1_25segmented_radix_sort_implINS0_14default_configELb1EPKfPfPKlPlN2at6native12_GLOBAL__N_18offset_tEEE10hipError_tPvRmT1_PNSt15iterator_traitsISY_E10value_typeET2_T3_PNSZ_IS14_E10value_typeET4_jRbjT5_S1A_jjP12ihipStream_tbEUljE_EEESV_SW_SX_S14_S18_S1A_T6_T7_T9_mT8_S1C_bDpT10_ENKUlT_T0_E_clISt17integral_constantIbLb0EES1P_EEDaS1K_S1L_EUlS1K_E_NS1_11comp_targetILNS1_3genE8ELNS1_11target_archE1030ELNS1_3gpuE2ELNS1_3repE0EEENS1_30default_config_static_selectorELNS0_4arch9wavefront6targetE0EEEvSY_
    .private_segment_fixed_size: 0
    .sgpr_count:     0
    .sgpr_spill_count: 0
    .symbol:         _ZN7rocprim17ROCPRIM_400000_NS6detail17trampoline_kernelINS0_13select_configILj256ELj13ELNS0_17block_load_methodE3ELS4_3ELS4_3ELNS0_20block_scan_algorithmE0ELj4294967295EEENS1_25partition_config_selectorILNS1_17partition_subalgoE3EjNS0_10empty_typeEbEEZZNS1_14partition_implILS8_3ELb0ES6_jNS0_17counting_iteratorIjlEEPS9_SE_NS0_5tupleIJPjSE_EEENSF_IJSE_SE_EEES9_SG_JZNS1_25segmented_radix_sort_implINS0_14default_configELb1EPKfPfPKlPlN2at6native12_GLOBAL__N_18offset_tEEE10hipError_tPvRmT1_PNSt15iterator_traitsISY_E10value_typeET2_T3_PNSZ_IS14_E10value_typeET4_jRbjT5_S1A_jjP12ihipStream_tbEUljE_EEESV_SW_SX_S14_S18_S1A_T6_T7_T9_mT8_S1C_bDpT10_ENKUlT_T0_E_clISt17integral_constantIbLb0EES1P_EEDaS1K_S1L_EUlS1K_E_NS1_11comp_targetILNS1_3genE8ELNS1_11target_archE1030ELNS1_3gpuE2ELNS1_3repE0EEENS1_30default_config_static_selectorELNS0_4arch9wavefront6targetE0EEEvSY_.kd
    .uniform_work_group_size: 1
    .uses_dynamic_stack: false
    .vgpr_count:     0
    .vgpr_spill_count: 0
    .wavefront_size: 32
  - .args:
      - .offset:         0
        .size:           152
        .value_kind:     by_value
    .group_segment_fixed_size: 0
    .kernarg_segment_align: 8
    .kernarg_segment_size: 152
    .language:       OpenCL C
    .language_version:
      - 2
      - 0
    .max_flat_workgroup_size: 256
    .name:           _ZN7rocprim17ROCPRIM_400000_NS6detail17trampoline_kernelINS0_13select_configILj256ELj13ELNS0_17block_load_methodE3ELS4_3ELS4_3ELNS0_20block_scan_algorithmE0ELj4294967295EEENS1_25partition_config_selectorILNS1_17partition_subalgoE3EjNS0_10empty_typeEbEEZZNS1_14partition_implILS8_3ELb0ES6_jNS0_17counting_iteratorIjlEEPS9_SE_NS0_5tupleIJPjSE_EEENSF_IJSE_SE_EEES9_SG_JZNS1_25segmented_radix_sort_implINS0_14default_configELb1EPKfPfPKlPlN2at6native12_GLOBAL__N_18offset_tEEE10hipError_tPvRmT1_PNSt15iterator_traitsISY_E10value_typeET2_T3_PNSZ_IS14_E10value_typeET4_jRbjT5_S1A_jjP12ihipStream_tbEUljE_EEESV_SW_SX_S14_S18_S1A_T6_T7_T9_mT8_S1C_bDpT10_ENKUlT_T0_E_clISt17integral_constantIbLb1EES1P_EEDaS1K_S1L_EUlS1K_E_NS1_11comp_targetILNS1_3genE0ELNS1_11target_archE4294967295ELNS1_3gpuE0ELNS1_3repE0EEENS1_30default_config_static_selectorELNS0_4arch9wavefront6targetE0EEEvSY_
    .private_segment_fixed_size: 0
    .sgpr_count:     0
    .sgpr_spill_count: 0
    .symbol:         _ZN7rocprim17ROCPRIM_400000_NS6detail17trampoline_kernelINS0_13select_configILj256ELj13ELNS0_17block_load_methodE3ELS4_3ELS4_3ELNS0_20block_scan_algorithmE0ELj4294967295EEENS1_25partition_config_selectorILNS1_17partition_subalgoE3EjNS0_10empty_typeEbEEZZNS1_14partition_implILS8_3ELb0ES6_jNS0_17counting_iteratorIjlEEPS9_SE_NS0_5tupleIJPjSE_EEENSF_IJSE_SE_EEES9_SG_JZNS1_25segmented_radix_sort_implINS0_14default_configELb1EPKfPfPKlPlN2at6native12_GLOBAL__N_18offset_tEEE10hipError_tPvRmT1_PNSt15iterator_traitsISY_E10value_typeET2_T3_PNSZ_IS14_E10value_typeET4_jRbjT5_S1A_jjP12ihipStream_tbEUljE_EEESV_SW_SX_S14_S18_S1A_T6_T7_T9_mT8_S1C_bDpT10_ENKUlT_T0_E_clISt17integral_constantIbLb1EES1P_EEDaS1K_S1L_EUlS1K_E_NS1_11comp_targetILNS1_3genE0ELNS1_11target_archE4294967295ELNS1_3gpuE0ELNS1_3repE0EEENS1_30default_config_static_selectorELNS0_4arch9wavefront6targetE0EEEvSY_.kd
    .uniform_work_group_size: 1
    .uses_dynamic_stack: false
    .vgpr_count:     0
    .vgpr_spill_count: 0
    .wavefront_size: 32
  - .args:
      - .offset:         0
        .size:           152
        .value_kind:     by_value
    .group_segment_fixed_size: 0
    .kernarg_segment_align: 8
    .kernarg_segment_size: 152
    .language:       OpenCL C
    .language_version:
      - 2
      - 0
    .max_flat_workgroup_size: 256
    .name:           _ZN7rocprim17ROCPRIM_400000_NS6detail17trampoline_kernelINS0_13select_configILj256ELj13ELNS0_17block_load_methodE3ELS4_3ELS4_3ELNS0_20block_scan_algorithmE0ELj4294967295EEENS1_25partition_config_selectorILNS1_17partition_subalgoE3EjNS0_10empty_typeEbEEZZNS1_14partition_implILS8_3ELb0ES6_jNS0_17counting_iteratorIjlEEPS9_SE_NS0_5tupleIJPjSE_EEENSF_IJSE_SE_EEES9_SG_JZNS1_25segmented_radix_sort_implINS0_14default_configELb1EPKfPfPKlPlN2at6native12_GLOBAL__N_18offset_tEEE10hipError_tPvRmT1_PNSt15iterator_traitsISY_E10value_typeET2_T3_PNSZ_IS14_E10value_typeET4_jRbjT5_S1A_jjP12ihipStream_tbEUljE_EEESV_SW_SX_S14_S18_S1A_T6_T7_T9_mT8_S1C_bDpT10_ENKUlT_T0_E_clISt17integral_constantIbLb1EES1P_EEDaS1K_S1L_EUlS1K_E_NS1_11comp_targetILNS1_3genE5ELNS1_11target_archE942ELNS1_3gpuE9ELNS1_3repE0EEENS1_30default_config_static_selectorELNS0_4arch9wavefront6targetE0EEEvSY_
    .private_segment_fixed_size: 0
    .sgpr_count:     0
    .sgpr_spill_count: 0
    .symbol:         _ZN7rocprim17ROCPRIM_400000_NS6detail17trampoline_kernelINS0_13select_configILj256ELj13ELNS0_17block_load_methodE3ELS4_3ELS4_3ELNS0_20block_scan_algorithmE0ELj4294967295EEENS1_25partition_config_selectorILNS1_17partition_subalgoE3EjNS0_10empty_typeEbEEZZNS1_14partition_implILS8_3ELb0ES6_jNS0_17counting_iteratorIjlEEPS9_SE_NS0_5tupleIJPjSE_EEENSF_IJSE_SE_EEES9_SG_JZNS1_25segmented_radix_sort_implINS0_14default_configELb1EPKfPfPKlPlN2at6native12_GLOBAL__N_18offset_tEEE10hipError_tPvRmT1_PNSt15iterator_traitsISY_E10value_typeET2_T3_PNSZ_IS14_E10value_typeET4_jRbjT5_S1A_jjP12ihipStream_tbEUljE_EEESV_SW_SX_S14_S18_S1A_T6_T7_T9_mT8_S1C_bDpT10_ENKUlT_T0_E_clISt17integral_constantIbLb1EES1P_EEDaS1K_S1L_EUlS1K_E_NS1_11comp_targetILNS1_3genE5ELNS1_11target_archE942ELNS1_3gpuE9ELNS1_3repE0EEENS1_30default_config_static_selectorELNS0_4arch9wavefront6targetE0EEEvSY_.kd
    .uniform_work_group_size: 1
    .uses_dynamic_stack: false
    .vgpr_count:     0
    .vgpr_spill_count: 0
    .wavefront_size: 32
  - .args:
      - .offset:         0
        .size:           152
        .value_kind:     by_value
    .group_segment_fixed_size: 0
    .kernarg_segment_align: 8
    .kernarg_segment_size: 152
    .language:       OpenCL C
    .language_version:
      - 2
      - 0
    .max_flat_workgroup_size: 256
    .name:           _ZN7rocprim17ROCPRIM_400000_NS6detail17trampoline_kernelINS0_13select_configILj256ELj13ELNS0_17block_load_methodE3ELS4_3ELS4_3ELNS0_20block_scan_algorithmE0ELj4294967295EEENS1_25partition_config_selectorILNS1_17partition_subalgoE3EjNS0_10empty_typeEbEEZZNS1_14partition_implILS8_3ELb0ES6_jNS0_17counting_iteratorIjlEEPS9_SE_NS0_5tupleIJPjSE_EEENSF_IJSE_SE_EEES9_SG_JZNS1_25segmented_radix_sort_implINS0_14default_configELb1EPKfPfPKlPlN2at6native12_GLOBAL__N_18offset_tEEE10hipError_tPvRmT1_PNSt15iterator_traitsISY_E10value_typeET2_T3_PNSZ_IS14_E10value_typeET4_jRbjT5_S1A_jjP12ihipStream_tbEUljE_EEESV_SW_SX_S14_S18_S1A_T6_T7_T9_mT8_S1C_bDpT10_ENKUlT_T0_E_clISt17integral_constantIbLb1EES1P_EEDaS1K_S1L_EUlS1K_E_NS1_11comp_targetILNS1_3genE4ELNS1_11target_archE910ELNS1_3gpuE8ELNS1_3repE0EEENS1_30default_config_static_selectorELNS0_4arch9wavefront6targetE0EEEvSY_
    .private_segment_fixed_size: 0
    .sgpr_count:     0
    .sgpr_spill_count: 0
    .symbol:         _ZN7rocprim17ROCPRIM_400000_NS6detail17trampoline_kernelINS0_13select_configILj256ELj13ELNS0_17block_load_methodE3ELS4_3ELS4_3ELNS0_20block_scan_algorithmE0ELj4294967295EEENS1_25partition_config_selectorILNS1_17partition_subalgoE3EjNS0_10empty_typeEbEEZZNS1_14partition_implILS8_3ELb0ES6_jNS0_17counting_iteratorIjlEEPS9_SE_NS0_5tupleIJPjSE_EEENSF_IJSE_SE_EEES9_SG_JZNS1_25segmented_radix_sort_implINS0_14default_configELb1EPKfPfPKlPlN2at6native12_GLOBAL__N_18offset_tEEE10hipError_tPvRmT1_PNSt15iterator_traitsISY_E10value_typeET2_T3_PNSZ_IS14_E10value_typeET4_jRbjT5_S1A_jjP12ihipStream_tbEUljE_EEESV_SW_SX_S14_S18_S1A_T6_T7_T9_mT8_S1C_bDpT10_ENKUlT_T0_E_clISt17integral_constantIbLb1EES1P_EEDaS1K_S1L_EUlS1K_E_NS1_11comp_targetILNS1_3genE4ELNS1_11target_archE910ELNS1_3gpuE8ELNS1_3repE0EEENS1_30default_config_static_selectorELNS0_4arch9wavefront6targetE0EEEvSY_.kd
    .uniform_work_group_size: 1
    .uses_dynamic_stack: false
    .vgpr_count:     0
    .vgpr_spill_count: 0
    .wavefront_size: 32
  - .args:
      - .offset:         0
        .size:           152
        .value_kind:     by_value
    .group_segment_fixed_size: 0
    .kernarg_segment_align: 8
    .kernarg_segment_size: 152
    .language:       OpenCL C
    .language_version:
      - 2
      - 0
    .max_flat_workgroup_size: 256
    .name:           _ZN7rocprim17ROCPRIM_400000_NS6detail17trampoline_kernelINS0_13select_configILj256ELj13ELNS0_17block_load_methodE3ELS4_3ELS4_3ELNS0_20block_scan_algorithmE0ELj4294967295EEENS1_25partition_config_selectorILNS1_17partition_subalgoE3EjNS0_10empty_typeEbEEZZNS1_14partition_implILS8_3ELb0ES6_jNS0_17counting_iteratorIjlEEPS9_SE_NS0_5tupleIJPjSE_EEENSF_IJSE_SE_EEES9_SG_JZNS1_25segmented_radix_sort_implINS0_14default_configELb1EPKfPfPKlPlN2at6native12_GLOBAL__N_18offset_tEEE10hipError_tPvRmT1_PNSt15iterator_traitsISY_E10value_typeET2_T3_PNSZ_IS14_E10value_typeET4_jRbjT5_S1A_jjP12ihipStream_tbEUljE_EEESV_SW_SX_S14_S18_S1A_T6_T7_T9_mT8_S1C_bDpT10_ENKUlT_T0_E_clISt17integral_constantIbLb1EES1P_EEDaS1K_S1L_EUlS1K_E_NS1_11comp_targetILNS1_3genE3ELNS1_11target_archE908ELNS1_3gpuE7ELNS1_3repE0EEENS1_30default_config_static_selectorELNS0_4arch9wavefront6targetE0EEEvSY_
    .private_segment_fixed_size: 0
    .sgpr_count:     0
    .sgpr_spill_count: 0
    .symbol:         _ZN7rocprim17ROCPRIM_400000_NS6detail17trampoline_kernelINS0_13select_configILj256ELj13ELNS0_17block_load_methodE3ELS4_3ELS4_3ELNS0_20block_scan_algorithmE0ELj4294967295EEENS1_25partition_config_selectorILNS1_17partition_subalgoE3EjNS0_10empty_typeEbEEZZNS1_14partition_implILS8_3ELb0ES6_jNS0_17counting_iteratorIjlEEPS9_SE_NS0_5tupleIJPjSE_EEENSF_IJSE_SE_EEES9_SG_JZNS1_25segmented_radix_sort_implINS0_14default_configELb1EPKfPfPKlPlN2at6native12_GLOBAL__N_18offset_tEEE10hipError_tPvRmT1_PNSt15iterator_traitsISY_E10value_typeET2_T3_PNSZ_IS14_E10value_typeET4_jRbjT5_S1A_jjP12ihipStream_tbEUljE_EEESV_SW_SX_S14_S18_S1A_T6_T7_T9_mT8_S1C_bDpT10_ENKUlT_T0_E_clISt17integral_constantIbLb1EES1P_EEDaS1K_S1L_EUlS1K_E_NS1_11comp_targetILNS1_3genE3ELNS1_11target_archE908ELNS1_3gpuE7ELNS1_3repE0EEENS1_30default_config_static_selectorELNS0_4arch9wavefront6targetE0EEEvSY_.kd
    .uniform_work_group_size: 1
    .uses_dynamic_stack: false
    .vgpr_count:     0
    .vgpr_spill_count: 0
    .wavefront_size: 32
  - .args:
      - .offset:         0
        .size:           152
        .value_kind:     by_value
    .group_segment_fixed_size: 0
    .kernarg_segment_align: 8
    .kernarg_segment_size: 152
    .language:       OpenCL C
    .language_version:
      - 2
      - 0
    .max_flat_workgroup_size: 256
    .name:           _ZN7rocprim17ROCPRIM_400000_NS6detail17trampoline_kernelINS0_13select_configILj256ELj13ELNS0_17block_load_methodE3ELS4_3ELS4_3ELNS0_20block_scan_algorithmE0ELj4294967295EEENS1_25partition_config_selectorILNS1_17partition_subalgoE3EjNS0_10empty_typeEbEEZZNS1_14partition_implILS8_3ELb0ES6_jNS0_17counting_iteratorIjlEEPS9_SE_NS0_5tupleIJPjSE_EEENSF_IJSE_SE_EEES9_SG_JZNS1_25segmented_radix_sort_implINS0_14default_configELb1EPKfPfPKlPlN2at6native12_GLOBAL__N_18offset_tEEE10hipError_tPvRmT1_PNSt15iterator_traitsISY_E10value_typeET2_T3_PNSZ_IS14_E10value_typeET4_jRbjT5_S1A_jjP12ihipStream_tbEUljE_EEESV_SW_SX_S14_S18_S1A_T6_T7_T9_mT8_S1C_bDpT10_ENKUlT_T0_E_clISt17integral_constantIbLb1EES1P_EEDaS1K_S1L_EUlS1K_E_NS1_11comp_targetILNS1_3genE2ELNS1_11target_archE906ELNS1_3gpuE6ELNS1_3repE0EEENS1_30default_config_static_selectorELNS0_4arch9wavefront6targetE0EEEvSY_
    .private_segment_fixed_size: 0
    .sgpr_count:     0
    .sgpr_spill_count: 0
    .symbol:         _ZN7rocprim17ROCPRIM_400000_NS6detail17trampoline_kernelINS0_13select_configILj256ELj13ELNS0_17block_load_methodE3ELS4_3ELS4_3ELNS0_20block_scan_algorithmE0ELj4294967295EEENS1_25partition_config_selectorILNS1_17partition_subalgoE3EjNS0_10empty_typeEbEEZZNS1_14partition_implILS8_3ELb0ES6_jNS0_17counting_iteratorIjlEEPS9_SE_NS0_5tupleIJPjSE_EEENSF_IJSE_SE_EEES9_SG_JZNS1_25segmented_radix_sort_implINS0_14default_configELb1EPKfPfPKlPlN2at6native12_GLOBAL__N_18offset_tEEE10hipError_tPvRmT1_PNSt15iterator_traitsISY_E10value_typeET2_T3_PNSZ_IS14_E10value_typeET4_jRbjT5_S1A_jjP12ihipStream_tbEUljE_EEESV_SW_SX_S14_S18_S1A_T6_T7_T9_mT8_S1C_bDpT10_ENKUlT_T0_E_clISt17integral_constantIbLb1EES1P_EEDaS1K_S1L_EUlS1K_E_NS1_11comp_targetILNS1_3genE2ELNS1_11target_archE906ELNS1_3gpuE6ELNS1_3repE0EEENS1_30default_config_static_selectorELNS0_4arch9wavefront6targetE0EEEvSY_.kd
    .uniform_work_group_size: 1
    .uses_dynamic_stack: false
    .vgpr_count:     0
    .vgpr_spill_count: 0
    .wavefront_size: 32
  - .args:
      - .offset:         0
        .size:           152
        .value_kind:     by_value
    .group_segment_fixed_size: 0
    .kernarg_segment_align: 8
    .kernarg_segment_size: 152
    .language:       OpenCL C
    .language_version:
      - 2
      - 0
    .max_flat_workgroup_size: 256
    .name:           _ZN7rocprim17ROCPRIM_400000_NS6detail17trampoline_kernelINS0_13select_configILj256ELj13ELNS0_17block_load_methodE3ELS4_3ELS4_3ELNS0_20block_scan_algorithmE0ELj4294967295EEENS1_25partition_config_selectorILNS1_17partition_subalgoE3EjNS0_10empty_typeEbEEZZNS1_14partition_implILS8_3ELb0ES6_jNS0_17counting_iteratorIjlEEPS9_SE_NS0_5tupleIJPjSE_EEENSF_IJSE_SE_EEES9_SG_JZNS1_25segmented_radix_sort_implINS0_14default_configELb1EPKfPfPKlPlN2at6native12_GLOBAL__N_18offset_tEEE10hipError_tPvRmT1_PNSt15iterator_traitsISY_E10value_typeET2_T3_PNSZ_IS14_E10value_typeET4_jRbjT5_S1A_jjP12ihipStream_tbEUljE_EEESV_SW_SX_S14_S18_S1A_T6_T7_T9_mT8_S1C_bDpT10_ENKUlT_T0_E_clISt17integral_constantIbLb1EES1P_EEDaS1K_S1L_EUlS1K_E_NS1_11comp_targetILNS1_3genE10ELNS1_11target_archE1200ELNS1_3gpuE4ELNS1_3repE0EEENS1_30default_config_static_selectorELNS0_4arch9wavefront6targetE0EEEvSY_
    .private_segment_fixed_size: 0
    .sgpr_count:     0
    .sgpr_spill_count: 0
    .symbol:         _ZN7rocprim17ROCPRIM_400000_NS6detail17trampoline_kernelINS0_13select_configILj256ELj13ELNS0_17block_load_methodE3ELS4_3ELS4_3ELNS0_20block_scan_algorithmE0ELj4294967295EEENS1_25partition_config_selectorILNS1_17partition_subalgoE3EjNS0_10empty_typeEbEEZZNS1_14partition_implILS8_3ELb0ES6_jNS0_17counting_iteratorIjlEEPS9_SE_NS0_5tupleIJPjSE_EEENSF_IJSE_SE_EEES9_SG_JZNS1_25segmented_radix_sort_implINS0_14default_configELb1EPKfPfPKlPlN2at6native12_GLOBAL__N_18offset_tEEE10hipError_tPvRmT1_PNSt15iterator_traitsISY_E10value_typeET2_T3_PNSZ_IS14_E10value_typeET4_jRbjT5_S1A_jjP12ihipStream_tbEUljE_EEESV_SW_SX_S14_S18_S1A_T6_T7_T9_mT8_S1C_bDpT10_ENKUlT_T0_E_clISt17integral_constantIbLb1EES1P_EEDaS1K_S1L_EUlS1K_E_NS1_11comp_targetILNS1_3genE10ELNS1_11target_archE1200ELNS1_3gpuE4ELNS1_3repE0EEENS1_30default_config_static_selectorELNS0_4arch9wavefront6targetE0EEEvSY_.kd
    .uniform_work_group_size: 1
    .uses_dynamic_stack: false
    .vgpr_count:     0
    .vgpr_spill_count: 0
    .wavefront_size: 32
  - .args:
      - .offset:         0
        .size:           152
        .value_kind:     by_value
    .group_segment_fixed_size: 0
    .kernarg_segment_align: 8
    .kernarg_segment_size: 152
    .language:       OpenCL C
    .language_version:
      - 2
      - 0
    .max_flat_workgroup_size: 256
    .name:           _ZN7rocprim17ROCPRIM_400000_NS6detail17trampoline_kernelINS0_13select_configILj256ELj13ELNS0_17block_load_methodE3ELS4_3ELS4_3ELNS0_20block_scan_algorithmE0ELj4294967295EEENS1_25partition_config_selectorILNS1_17partition_subalgoE3EjNS0_10empty_typeEbEEZZNS1_14partition_implILS8_3ELb0ES6_jNS0_17counting_iteratorIjlEEPS9_SE_NS0_5tupleIJPjSE_EEENSF_IJSE_SE_EEES9_SG_JZNS1_25segmented_radix_sort_implINS0_14default_configELb1EPKfPfPKlPlN2at6native12_GLOBAL__N_18offset_tEEE10hipError_tPvRmT1_PNSt15iterator_traitsISY_E10value_typeET2_T3_PNSZ_IS14_E10value_typeET4_jRbjT5_S1A_jjP12ihipStream_tbEUljE_EEESV_SW_SX_S14_S18_S1A_T6_T7_T9_mT8_S1C_bDpT10_ENKUlT_T0_E_clISt17integral_constantIbLb1EES1P_EEDaS1K_S1L_EUlS1K_E_NS1_11comp_targetILNS1_3genE9ELNS1_11target_archE1100ELNS1_3gpuE3ELNS1_3repE0EEENS1_30default_config_static_selectorELNS0_4arch9wavefront6targetE0EEEvSY_
    .private_segment_fixed_size: 0
    .sgpr_count:     0
    .sgpr_spill_count: 0
    .symbol:         _ZN7rocprim17ROCPRIM_400000_NS6detail17trampoline_kernelINS0_13select_configILj256ELj13ELNS0_17block_load_methodE3ELS4_3ELS4_3ELNS0_20block_scan_algorithmE0ELj4294967295EEENS1_25partition_config_selectorILNS1_17partition_subalgoE3EjNS0_10empty_typeEbEEZZNS1_14partition_implILS8_3ELb0ES6_jNS0_17counting_iteratorIjlEEPS9_SE_NS0_5tupleIJPjSE_EEENSF_IJSE_SE_EEES9_SG_JZNS1_25segmented_radix_sort_implINS0_14default_configELb1EPKfPfPKlPlN2at6native12_GLOBAL__N_18offset_tEEE10hipError_tPvRmT1_PNSt15iterator_traitsISY_E10value_typeET2_T3_PNSZ_IS14_E10value_typeET4_jRbjT5_S1A_jjP12ihipStream_tbEUljE_EEESV_SW_SX_S14_S18_S1A_T6_T7_T9_mT8_S1C_bDpT10_ENKUlT_T0_E_clISt17integral_constantIbLb1EES1P_EEDaS1K_S1L_EUlS1K_E_NS1_11comp_targetILNS1_3genE9ELNS1_11target_archE1100ELNS1_3gpuE3ELNS1_3repE0EEENS1_30default_config_static_selectorELNS0_4arch9wavefront6targetE0EEEvSY_.kd
    .uniform_work_group_size: 1
    .uses_dynamic_stack: false
    .vgpr_count:     0
    .vgpr_spill_count: 0
    .wavefront_size: 32
  - .args:
      - .offset:         0
        .size:           152
        .value_kind:     by_value
    .group_segment_fixed_size: 0
    .kernarg_segment_align: 8
    .kernarg_segment_size: 152
    .language:       OpenCL C
    .language_version:
      - 2
      - 0
    .max_flat_workgroup_size: 256
    .name:           _ZN7rocprim17ROCPRIM_400000_NS6detail17trampoline_kernelINS0_13select_configILj256ELj13ELNS0_17block_load_methodE3ELS4_3ELS4_3ELNS0_20block_scan_algorithmE0ELj4294967295EEENS1_25partition_config_selectorILNS1_17partition_subalgoE3EjNS0_10empty_typeEbEEZZNS1_14partition_implILS8_3ELb0ES6_jNS0_17counting_iteratorIjlEEPS9_SE_NS0_5tupleIJPjSE_EEENSF_IJSE_SE_EEES9_SG_JZNS1_25segmented_radix_sort_implINS0_14default_configELb1EPKfPfPKlPlN2at6native12_GLOBAL__N_18offset_tEEE10hipError_tPvRmT1_PNSt15iterator_traitsISY_E10value_typeET2_T3_PNSZ_IS14_E10value_typeET4_jRbjT5_S1A_jjP12ihipStream_tbEUljE_EEESV_SW_SX_S14_S18_S1A_T6_T7_T9_mT8_S1C_bDpT10_ENKUlT_T0_E_clISt17integral_constantIbLb1EES1P_EEDaS1K_S1L_EUlS1K_E_NS1_11comp_targetILNS1_3genE8ELNS1_11target_archE1030ELNS1_3gpuE2ELNS1_3repE0EEENS1_30default_config_static_selectorELNS0_4arch9wavefront6targetE0EEEvSY_
    .private_segment_fixed_size: 0
    .sgpr_count:     0
    .sgpr_spill_count: 0
    .symbol:         _ZN7rocprim17ROCPRIM_400000_NS6detail17trampoline_kernelINS0_13select_configILj256ELj13ELNS0_17block_load_methodE3ELS4_3ELS4_3ELNS0_20block_scan_algorithmE0ELj4294967295EEENS1_25partition_config_selectorILNS1_17partition_subalgoE3EjNS0_10empty_typeEbEEZZNS1_14partition_implILS8_3ELb0ES6_jNS0_17counting_iteratorIjlEEPS9_SE_NS0_5tupleIJPjSE_EEENSF_IJSE_SE_EEES9_SG_JZNS1_25segmented_radix_sort_implINS0_14default_configELb1EPKfPfPKlPlN2at6native12_GLOBAL__N_18offset_tEEE10hipError_tPvRmT1_PNSt15iterator_traitsISY_E10value_typeET2_T3_PNSZ_IS14_E10value_typeET4_jRbjT5_S1A_jjP12ihipStream_tbEUljE_EEESV_SW_SX_S14_S18_S1A_T6_T7_T9_mT8_S1C_bDpT10_ENKUlT_T0_E_clISt17integral_constantIbLb1EES1P_EEDaS1K_S1L_EUlS1K_E_NS1_11comp_targetILNS1_3genE8ELNS1_11target_archE1030ELNS1_3gpuE2ELNS1_3repE0EEENS1_30default_config_static_selectorELNS0_4arch9wavefront6targetE0EEEvSY_.kd
    .uniform_work_group_size: 1
    .uses_dynamic_stack: false
    .vgpr_count:     0
    .vgpr_spill_count: 0
    .wavefront_size: 32
  - .args:
      - .offset:         0
        .size:           144
        .value_kind:     by_value
    .group_segment_fixed_size: 0
    .kernarg_segment_align: 8
    .kernarg_segment_size: 144
    .language:       OpenCL C
    .language_version:
      - 2
      - 0
    .max_flat_workgroup_size: 256
    .name:           _ZN7rocprim17ROCPRIM_400000_NS6detail17trampoline_kernelINS0_13select_configILj256ELj13ELNS0_17block_load_methodE3ELS4_3ELS4_3ELNS0_20block_scan_algorithmE0ELj4294967295EEENS1_25partition_config_selectorILNS1_17partition_subalgoE3EjNS0_10empty_typeEbEEZZNS1_14partition_implILS8_3ELb0ES6_jNS0_17counting_iteratorIjlEEPS9_SE_NS0_5tupleIJPjSE_EEENSF_IJSE_SE_EEES9_SG_JZNS1_25segmented_radix_sort_implINS0_14default_configELb1EPKfPfPKlPlN2at6native12_GLOBAL__N_18offset_tEEE10hipError_tPvRmT1_PNSt15iterator_traitsISY_E10value_typeET2_T3_PNSZ_IS14_E10value_typeET4_jRbjT5_S1A_jjP12ihipStream_tbEUljE_EEESV_SW_SX_S14_S18_S1A_T6_T7_T9_mT8_S1C_bDpT10_ENKUlT_T0_E_clISt17integral_constantIbLb1EES1O_IbLb0EEEEDaS1K_S1L_EUlS1K_E_NS1_11comp_targetILNS1_3genE0ELNS1_11target_archE4294967295ELNS1_3gpuE0ELNS1_3repE0EEENS1_30default_config_static_selectorELNS0_4arch9wavefront6targetE0EEEvSY_
    .private_segment_fixed_size: 0
    .sgpr_count:     0
    .sgpr_spill_count: 0
    .symbol:         _ZN7rocprim17ROCPRIM_400000_NS6detail17trampoline_kernelINS0_13select_configILj256ELj13ELNS0_17block_load_methodE3ELS4_3ELS4_3ELNS0_20block_scan_algorithmE0ELj4294967295EEENS1_25partition_config_selectorILNS1_17partition_subalgoE3EjNS0_10empty_typeEbEEZZNS1_14partition_implILS8_3ELb0ES6_jNS0_17counting_iteratorIjlEEPS9_SE_NS0_5tupleIJPjSE_EEENSF_IJSE_SE_EEES9_SG_JZNS1_25segmented_radix_sort_implINS0_14default_configELb1EPKfPfPKlPlN2at6native12_GLOBAL__N_18offset_tEEE10hipError_tPvRmT1_PNSt15iterator_traitsISY_E10value_typeET2_T3_PNSZ_IS14_E10value_typeET4_jRbjT5_S1A_jjP12ihipStream_tbEUljE_EEESV_SW_SX_S14_S18_S1A_T6_T7_T9_mT8_S1C_bDpT10_ENKUlT_T0_E_clISt17integral_constantIbLb1EES1O_IbLb0EEEEDaS1K_S1L_EUlS1K_E_NS1_11comp_targetILNS1_3genE0ELNS1_11target_archE4294967295ELNS1_3gpuE0ELNS1_3repE0EEENS1_30default_config_static_selectorELNS0_4arch9wavefront6targetE0EEEvSY_.kd
    .uniform_work_group_size: 1
    .uses_dynamic_stack: false
    .vgpr_count:     0
    .vgpr_spill_count: 0
    .wavefront_size: 32
  - .args:
      - .offset:         0
        .size:           144
        .value_kind:     by_value
    .group_segment_fixed_size: 0
    .kernarg_segment_align: 8
    .kernarg_segment_size: 144
    .language:       OpenCL C
    .language_version:
      - 2
      - 0
    .max_flat_workgroup_size: 256
    .name:           _ZN7rocprim17ROCPRIM_400000_NS6detail17trampoline_kernelINS0_13select_configILj256ELj13ELNS0_17block_load_methodE3ELS4_3ELS4_3ELNS0_20block_scan_algorithmE0ELj4294967295EEENS1_25partition_config_selectorILNS1_17partition_subalgoE3EjNS0_10empty_typeEbEEZZNS1_14partition_implILS8_3ELb0ES6_jNS0_17counting_iteratorIjlEEPS9_SE_NS0_5tupleIJPjSE_EEENSF_IJSE_SE_EEES9_SG_JZNS1_25segmented_radix_sort_implINS0_14default_configELb1EPKfPfPKlPlN2at6native12_GLOBAL__N_18offset_tEEE10hipError_tPvRmT1_PNSt15iterator_traitsISY_E10value_typeET2_T3_PNSZ_IS14_E10value_typeET4_jRbjT5_S1A_jjP12ihipStream_tbEUljE_EEESV_SW_SX_S14_S18_S1A_T6_T7_T9_mT8_S1C_bDpT10_ENKUlT_T0_E_clISt17integral_constantIbLb1EES1O_IbLb0EEEEDaS1K_S1L_EUlS1K_E_NS1_11comp_targetILNS1_3genE5ELNS1_11target_archE942ELNS1_3gpuE9ELNS1_3repE0EEENS1_30default_config_static_selectorELNS0_4arch9wavefront6targetE0EEEvSY_
    .private_segment_fixed_size: 0
    .sgpr_count:     0
    .sgpr_spill_count: 0
    .symbol:         _ZN7rocprim17ROCPRIM_400000_NS6detail17trampoline_kernelINS0_13select_configILj256ELj13ELNS0_17block_load_methodE3ELS4_3ELS4_3ELNS0_20block_scan_algorithmE0ELj4294967295EEENS1_25partition_config_selectorILNS1_17partition_subalgoE3EjNS0_10empty_typeEbEEZZNS1_14partition_implILS8_3ELb0ES6_jNS0_17counting_iteratorIjlEEPS9_SE_NS0_5tupleIJPjSE_EEENSF_IJSE_SE_EEES9_SG_JZNS1_25segmented_radix_sort_implINS0_14default_configELb1EPKfPfPKlPlN2at6native12_GLOBAL__N_18offset_tEEE10hipError_tPvRmT1_PNSt15iterator_traitsISY_E10value_typeET2_T3_PNSZ_IS14_E10value_typeET4_jRbjT5_S1A_jjP12ihipStream_tbEUljE_EEESV_SW_SX_S14_S18_S1A_T6_T7_T9_mT8_S1C_bDpT10_ENKUlT_T0_E_clISt17integral_constantIbLb1EES1O_IbLb0EEEEDaS1K_S1L_EUlS1K_E_NS1_11comp_targetILNS1_3genE5ELNS1_11target_archE942ELNS1_3gpuE9ELNS1_3repE0EEENS1_30default_config_static_selectorELNS0_4arch9wavefront6targetE0EEEvSY_.kd
    .uniform_work_group_size: 1
    .uses_dynamic_stack: false
    .vgpr_count:     0
    .vgpr_spill_count: 0
    .wavefront_size: 32
  - .args:
      - .offset:         0
        .size:           144
        .value_kind:     by_value
    .group_segment_fixed_size: 0
    .kernarg_segment_align: 8
    .kernarg_segment_size: 144
    .language:       OpenCL C
    .language_version:
      - 2
      - 0
    .max_flat_workgroup_size: 256
    .name:           _ZN7rocprim17ROCPRIM_400000_NS6detail17trampoline_kernelINS0_13select_configILj256ELj13ELNS0_17block_load_methodE3ELS4_3ELS4_3ELNS0_20block_scan_algorithmE0ELj4294967295EEENS1_25partition_config_selectorILNS1_17partition_subalgoE3EjNS0_10empty_typeEbEEZZNS1_14partition_implILS8_3ELb0ES6_jNS0_17counting_iteratorIjlEEPS9_SE_NS0_5tupleIJPjSE_EEENSF_IJSE_SE_EEES9_SG_JZNS1_25segmented_radix_sort_implINS0_14default_configELb1EPKfPfPKlPlN2at6native12_GLOBAL__N_18offset_tEEE10hipError_tPvRmT1_PNSt15iterator_traitsISY_E10value_typeET2_T3_PNSZ_IS14_E10value_typeET4_jRbjT5_S1A_jjP12ihipStream_tbEUljE_EEESV_SW_SX_S14_S18_S1A_T6_T7_T9_mT8_S1C_bDpT10_ENKUlT_T0_E_clISt17integral_constantIbLb1EES1O_IbLb0EEEEDaS1K_S1L_EUlS1K_E_NS1_11comp_targetILNS1_3genE4ELNS1_11target_archE910ELNS1_3gpuE8ELNS1_3repE0EEENS1_30default_config_static_selectorELNS0_4arch9wavefront6targetE0EEEvSY_
    .private_segment_fixed_size: 0
    .sgpr_count:     0
    .sgpr_spill_count: 0
    .symbol:         _ZN7rocprim17ROCPRIM_400000_NS6detail17trampoline_kernelINS0_13select_configILj256ELj13ELNS0_17block_load_methodE3ELS4_3ELS4_3ELNS0_20block_scan_algorithmE0ELj4294967295EEENS1_25partition_config_selectorILNS1_17partition_subalgoE3EjNS0_10empty_typeEbEEZZNS1_14partition_implILS8_3ELb0ES6_jNS0_17counting_iteratorIjlEEPS9_SE_NS0_5tupleIJPjSE_EEENSF_IJSE_SE_EEES9_SG_JZNS1_25segmented_radix_sort_implINS0_14default_configELb1EPKfPfPKlPlN2at6native12_GLOBAL__N_18offset_tEEE10hipError_tPvRmT1_PNSt15iterator_traitsISY_E10value_typeET2_T3_PNSZ_IS14_E10value_typeET4_jRbjT5_S1A_jjP12ihipStream_tbEUljE_EEESV_SW_SX_S14_S18_S1A_T6_T7_T9_mT8_S1C_bDpT10_ENKUlT_T0_E_clISt17integral_constantIbLb1EES1O_IbLb0EEEEDaS1K_S1L_EUlS1K_E_NS1_11comp_targetILNS1_3genE4ELNS1_11target_archE910ELNS1_3gpuE8ELNS1_3repE0EEENS1_30default_config_static_selectorELNS0_4arch9wavefront6targetE0EEEvSY_.kd
    .uniform_work_group_size: 1
    .uses_dynamic_stack: false
    .vgpr_count:     0
    .vgpr_spill_count: 0
    .wavefront_size: 32
  - .args:
      - .offset:         0
        .size:           144
        .value_kind:     by_value
    .group_segment_fixed_size: 0
    .kernarg_segment_align: 8
    .kernarg_segment_size: 144
    .language:       OpenCL C
    .language_version:
      - 2
      - 0
    .max_flat_workgroup_size: 256
    .name:           _ZN7rocprim17ROCPRIM_400000_NS6detail17trampoline_kernelINS0_13select_configILj256ELj13ELNS0_17block_load_methodE3ELS4_3ELS4_3ELNS0_20block_scan_algorithmE0ELj4294967295EEENS1_25partition_config_selectorILNS1_17partition_subalgoE3EjNS0_10empty_typeEbEEZZNS1_14partition_implILS8_3ELb0ES6_jNS0_17counting_iteratorIjlEEPS9_SE_NS0_5tupleIJPjSE_EEENSF_IJSE_SE_EEES9_SG_JZNS1_25segmented_radix_sort_implINS0_14default_configELb1EPKfPfPKlPlN2at6native12_GLOBAL__N_18offset_tEEE10hipError_tPvRmT1_PNSt15iterator_traitsISY_E10value_typeET2_T3_PNSZ_IS14_E10value_typeET4_jRbjT5_S1A_jjP12ihipStream_tbEUljE_EEESV_SW_SX_S14_S18_S1A_T6_T7_T9_mT8_S1C_bDpT10_ENKUlT_T0_E_clISt17integral_constantIbLb1EES1O_IbLb0EEEEDaS1K_S1L_EUlS1K_E_NS1_11comp_targetILNS1_3genE3ELNS1_11target_archE908ELNS1_3gpuE7ELNS1_3repE0EEENS1_30default_config_static_selectorELNS0_4arch9wavefront6targetE0EEEvSY_
    .private_segment_fixed_size: 0
    .sgpr_count:     0
    .sgpr_spill_count: 0
    .symbol:         _ZN7rocprim17ROCPRIM_400000_NS6detail17trampoline_kernelINS0_13select_configILj256ELj13ELNS0_17block_load_methodE3ELS4_3ELS4_3ELNS0_20block_scan_algorithmE0ELj4294967295EEENS1_25partition_config_selectorILNS1_17partition_subalgoE3EjNS0_10empty_typeEbEEZZNS1_14partition_implILS8_3ELb0ES6_jNS0_17counting_iteratorIjlEEPS9_SE_NS0_5tupleIJPjSE_EEENSF_IJSE_SE_EEES9_SG_JZNS1_25segmented_radix_sort_implINS0_14default_configELb1EPKfPfPKlPlN2at6native12_GLOBAL__N_18offset_tEEE10hipError_tPvRmT1_PNSt15iterator_traitsISY_E10value_typeET2_T3_PNSZ_IS14_E10value_typeET4_jRbjT5_S1A_jjP12ihipStream_tbEUljE_EEESV_SW_SX_S14_S18_S1A_T6_T7_T9_mT8_S1C_bDpT10_ENKUlT_T0_E_clISt17integral_constantIbLb1EES1O_IbLb0EEEEDaS1K_S1L_EUlS1K_E_NS1_11comp_targetILNS1_3genE3ELNS1_11target_archE908ELNS1_3gpuE7ELNS1_3repE0EEENS1_30default_config_static_selectorELNS0_4arch9wavefront6targetE0EEEvSY_.kd
    .uniform_work_group_size: 1
    .uses_dynamic_stack: false
    .vgpr_count:     0
    .vgpr_spill_count: 0
    .wavefront_size: 32
  - .args:
      - .offset:         0
        .size:           144
        .value_kind:     by_value
    .group_segment_fixed_size: 0
    .kernarg_segment_align: 8
    .kernarg_segment_size: 144
    .language:       OpenCL C
    .language_version:
      - 2
      - 0
    .max_flat_workgroup_size: 256
    .name:           _ZN7rocprim17ROCPRIM_400000_NS6detail17trampoline_kernelINS0_13select_configILj256ELj13ELNS0_17block_load_methodE3ELS4_3ELS4_3ELNS0_20block_scan_algorithmE0ELj4294967295EEENS1_25partition_config_selectorILNS1_17partition_subalgoE3EjNS0_10empty_typeEbEEZZNS1_14partition_implILS8_3ELb0ES6_jNS0_17counting_iteratorIjlEEPS9_SE_NS0_5tupleIJPjSE_EEENSF_IJSE_SE_EEES9_SG_JZNS1_25segmented_radix_sort_implINS0_14default_configELb1EPKfPfPKlPlN2at6native12_GLOBAL__N_18offset_tEEE10hipError_tPvRmT1_PNSt15iterator_traitsISY_E10value_typeET2_T3_PNSZ_IS14_E10value_typeET4_jRbjT5_S1A_jjP12ihipStream_tbEUljE_EEESV_SW_SX_S14_S18_S1A_T6_T7_T9_mT8_S1C_bDpT10_ENKUlT_T0_E_clISt17integral_constantIbLb1EES1O_IbLb0EEEEDaS1K_S1L_EUlS1K_E_NS1_11comp_targetILNS1_3genE2ELNS1_11target_archE906ELNS1_3gpuE6ELNS1_3repE0EEENS1_30default_config_static_selectorELNS0_4arch9wavefront6targetE0EEEvSY_
    .private_segment_fixed_size: 0
    .sgpr_count:     0
    .sgpr_spill_count: 0
    .symbol:         _ZN7rocprim17ROCPRIM_400000_NS6detail17trampoline_kernelINS0_13select_configILj256ELj13ELNS0_17block_load_methodE3ELS4_3ELS4_3ELNS0_20block_scan_algorithmE0ELj4294967295EEENS1_25partition_config_selectorILNS1_17partition_subalgoE3EjNS0_10empty_typeEbEEZZNS1_14partition_implILS8_3ELb0ES6_jNS0_17counting_iteratorIjlEEPS9_SE_NS0_5tupleIJPjSE_EEENSF_IJSE_SE_EEES9_SG_JZNS1_25segmented_radix_sort_implINS0_14default_configELb1EPKfPfPKlPlN2at6native12_GLOBAL__N_18offset_tEEE10hipError_tPvRmT1_PNSt15iterator_traitsISY_E10value_typeET2_T3_PNSZ_IS14_E10value_typeET4_jRbjT5_S1A_jjP12ihipStream_tbEUljE_EEESV_SW_SX_S14_S18_S1A_T6_T7_T9_mT8_S1C_bDpT10_ENKUlT_T0_E_clISt17integral_constantIbLb1EES1O_IbLb0EEEEDaS1K_S1L_EUlS1K_E_NS1_11comp_targetILNS1_3genE2ELNS1_11target_archE906ELNS1_3gpuE6ELNS1_3repE0EEENS1_30default_config_static_selectorELNS0_4arch9wavefront6targetE0EEEvSY_.kd
    .uniform_work_group_size: 1
    .uses_dynamic_stack: false
    .vgpr_count:     0
    .vgpr_spill_count: 0
    .wavefront_size: 32
  - .args:
      - .offset:         0
        .size:           144
        .value_kind:     by_value
    .group_segment_fixed_size: 0
    .kernarg_segment_align: 8
    .kernarg_segment_size: 144
    .language:       OpenCL C
    .language_version:
      - 2
      - 0
    .max_flat_workgroup_size: 256
    .name:           _ZN7rocprim17ROCPRIM_400000_NS6detail17trampoline_kernelINS0_13select_configILj256ELj13ELNS0_17block_load_methodE3ELS4_3ELS4_3ELNS0_20block_scan_algorithmE0ELj4294967295EEENS1_25partition_config_selectorILNS1_17partition_subalgoE3EjNS0_10empty_typeEbEEZZNS1_14partition_implILS8_3ELb0ES6_jNS0_17counting_iteratorIjlEEPS9_SE_NS0_5tupleIJPjSE_EEENSF_IJSE_SE_EEES9_SG_JZNS1_25segmented_radix_sort_implINS0_14default_configELb1EPKfPfPKlPlN2at6native12_GLOBAL__N_18offset_tEEE10hipError_tPvRmT1_PNSt15iterator_traitsISY_E10value_typeET2_T3_PNSZ_IS14_E10value_typeET4_jRbjT5_S1A_jjP12ihipStream_tbEUljE_EEESV_SW_SX_S14_S18_S1A_T6_T7_T9_mT8_S1C_bDpT10_ENKUlT_T0_E_clISt17integral_constantIbLb1EES1O_IbLb0EEEEDaS1K_S1L_EUlS1K_E_NS1_11comp_targetILNS1_3genE10ELNS1_11target_archE1200ELNS1_3gpuE4ELNS1_3repE0EEENS1_30default_config_static_selectorELNS0_4arch9wavefront6targetE0EEEvSY_
    .private_segment_fixed_size: 0
    .sgpr_count:     0
    .sgpr_spill_count: 0
    .symbol:         _ZN7rocprim17ROCPRIM_400000_NS6detail17trampoline_kernelINS0_13select_configILj256ELj13ELNS0_17block_load_methodE3ELS4_3ELS4_3ELNS0_20block_scan_algorithmE0ELj4294967295EEENS1_25partition_config_selectorILNS1_17partition_subalgoE3EjNS0_10empty_typeEbEEZZNS1_14partition_implILS8_3ELb0ES6_jNS0_17counting_iteratorIjlEEPS9_SE_NS0_5tupleIJPjSE_EEENSF_IJSE_SE_EEES9_SG_JZNS1_25segmented_radix_sort_implINS0_14default_configELb1EPKfPfPKlPlN2at6native12_GLOBAL__N_18offset_tEEE10hipError_tPvRmT1_PNSt15iterator_traitsISY_E10value_typeET2_T3_PNSZ_IS14_E10value_typeET4_jRbjT5_S1A_jjP12ihipStream_tbEUljE_EEESV_SW_SX_S14_S18_S1A_T6_T7_T9_mT8_S1C_bDpT10_ENKUlT_T0_E_clISt17integral_constantIbLb1EES1O_IbLb0EEEEDaS1K_S1L_EUlS1K_E_NS1_11comp_targetILNS1_3genE10ELNS1_11target_archE1200ELNS1_3gpuE4ELNS1_3repE0EEENS1_30default_config_static_selectorELNS0_4arch9wavefront6targetE0EEEvSY_.kd
    .uniform_work_group_size: 1
    .uses_dynamic_stack: false
    .vgpr_count:     0
    .vgpr_spill_count: 0
    .wavefront_size: 32
  - .args:
      - .offset:         0
        .size:           144
        .value_kind:     by_value
    .group_segment_fixed_size: 0
    .kernarg_segment_align: 8
    .kernarg_segment_size: 144
    .language:       OpenCL C
    .language_version:
      - 2
      - 0
    .max_flat_workgroup_size: 256
    .name:           _ZN7rocprim17ROCPRIM_400000_NS6detail17trampoline_kernelINS0_13select_configILj256ELj13ELNS0_17block_load_methodE3ELS4_3ELS4_3ELNS0_20block_scan_algorithmE0ELj4294967295EEENS1_25partition_config_selectorILNS1_17partition_subalgoE3EjNS0_10empty_typeEbEEZZNS1_14partition_implILS8_3ELb0ES6_jNS0_17counting_iteratorIjlEEPS9_SE_NS0_5tupleIJPjSE_EEENSF_IJSE_SE_EEES9_SG_JZNS1_25segmented_radix_sort_implINS0_14default_configELb1EPKfPfPKlPlN2at6native12_GLOBAL__N_18offset_tEEE10hipError_tPvRmT1_PNSt15iterator_traitsISY_E10value_typeET2_T3_PNSZ_IS14_E10value_typeET4_jRbjT5_S1A_jjP12ihipStream_tbEUljE_EEESV_SW_SX_S14_S18_S1A_T6_T7_T9_mT8_S1C_bDpT10_ENKUlT_T0_E_clISt17integral_constantIbLb1EES1O_IbLb0EEEEDaS1K_S1L_EUlS1K_E_NS1_11comp_targetILNS1_3genE9ELNS1_11target_archE1100ELNS1_3gpuE3ELNS1_3repE0EEENS1_30default_config_static_selectorELNS0_4arch9wavefront6targetE0EEEvSY_
    .private_segment_fixed_size: 0
    .sgpr_count:     0
    .sgpr_spill_count: 0
    .symbol:         _ZN7rocprim17ROCPRIM_400000_NS6detail17trampoline_kernelINS0_13select_configILj256ELj13ELNS0_17block_load_methodE3ELS4_3ELS4_3ELNS0_20block_scan_algorithmE0ELj4294967295EEENS1_25partition_config_selectorILNS1_17partition_subalgoE3EjNS0_10empty_typeEbEEZZNS1_14partition_implILS8_3ELb0ES6_jNS0_17counting_iteratorIjlEEPS9_SE_NS0_5tupleIJPjSE_EEENSF_IJSE_SE_EEES9_SG_JZNS1_25segmented_radix_sort_implINS0_14default_configELb1EPKfPfPKlPlN2at6native12_GLOBAL__N_18offset_tEEE10hipError_tPvRmT1_PNSt15iterator_traitsISY_E10value_typeET2_T3_PNSZ_IS14_E10value_typeET4_jRbjT5_S1A_jjP12ihipStream_tbEUljE_EEESV_SW_SX_S14_S18_S1A_T6_T7_T9_mT8_S1C_bDpT10_ENKUlT_T0_E_clISt17integral_constantIbLb1EES1O_IbLb0EEEEDaS1K_S1L_EUlS1K_E_NS1_11comp_targetILNS1_3genE9ELNS1_11target_archE1100ELNS1_3gpuE3ELNS1_3repE0EEENS1_30default_config_static_selectorELNS0_4arch9wavefront6targetE0EEEvSY_.kd
    .uniform_work_group_size: 1
    .uses_dynamic_stack: false
    .vgpr_count:     0
    .vgpr_spill_count: 0
    .wavefront_size: 32
  - .args:
      - .offset:         0
        .size:           144
        .value_kind:     by_value
    .group_segment_fixed_size: 0
    .kernarg_segment_align: 8
    .kernarg_segment_size: 144
    .language:       OpenCL C
    .language_version:
      - 2
      - 0
    .max_flat_workgroup_size: 256
    .name:           _ZN7rocprim17ROCPRIM_400000_NS6detail17trampoline_kernelINS0_13select_configILj256ELj13ELNS0_17block_load_methodE3ELS4_3ELS4_3ELNS0_20block_scan_algorithmE0ELj4294967295EEENS1_25partition_config_selectorILNS1_17partition_subalgoE3EjNS0_10empty_typeEbEEZZNS1_14partition_implILS8_3ELb0ES6_jNS0_17counting_iteratorIjlEEPS9_SE_NS0_5tupleIJPjSE_EEENSF_IJSE_SE_EEES9_SG_JZNS1_25segmented_radix_sort_implINS0_14default_configELb1EPKfPfPKlPlN2at6native12_GLOBAL__N_18offset_tEEE10hipError_tPvRmT1_PNSt15iterator_traitsISY_E10value_typeET2_T3_PNSZ_IS14_E10value_typeET4_jRbjT5_S1A_jjP12ihipStream_tbEUljE_EEESV_SW_SX_S14_S18_S1A_T6_T7_T9_mT8_S1C_bDpT10_ENKUlT_T0_E_clISt17integral_constantIbLb1EES1O_IbLb0EEEEDaS1K_S1L_EUlS1K_E_NS1_11comp_targetILNS1_3genE8ELNS1_11target_archE1030ELNS1_3gpuE2ELNS1_3repE0EEENS1_30default_config_static_selectorELNS0_4arch9wavefront6targetE0EEEvSY_
    .private_segment_fixed_size: 0
    .sgpr_count:     0
    .sgpr_spill_count: 0
    .symbol:         _ZN7rocprim17ROCPRIM_400000_NS6detail17trampoline_kernelINS0_13select_configILj256ELj13ELNS0_17block_load_methodE3ELS4_3ELS4_3ELNS0_20block_scan_algorithmE0ELj4294967295EEENS1_25partition_config_selectorILNS1_17partition_subalgoE3EjNS0_10empty_typeEbEEZZNS1_14partition_implILS8_3ELb0ES6_jNS0_17counting_iteratorIjlEEPS9_SE_NS0_5tupleIJPjSE_EEENSF_IJSE_SE_EEES9_SG_JZNS1_25segmented_radix_sort_implINS0_14default_configELb1EPKfPfPKlPlN2at6native12_GLOBAL__N_18offset_tEEE10hipError_tPvRmT1_PNSt15iterator_traitsISY_E10value_typeET2_T3_PNSZ_IS14_E10value_typeET4_jRbjT5_S1A_jjP12ihipStream_tbEUljE_EEESV_SW_SX_S14_S18_S1A_T6_T7_T9_mT8_S1C_bDpT10_ENKUlT_T0_E_clISt17integral_constantIbLb1EES1O_IbLb0EEEEDaS1K_S1L_EUlS1K_E_NS1_11comp_targetILNS1_3genE8ELNS1_11target_archE1030ELNS1_3gpuE2ELNS1_3repE0EEENS1_30default_config_static_selectorELNS0_4arch9wavefront6targetE0EEEvSY_.kd
    .uniform_work_group_size: 1
    .uses_dynamic_stack: false
    .vgpr_count:     0
    .vgpr_spill_count: 0
    .wavefront_size: 32
  - .args:
      - .offset:         0
        .size:           152
        .value_kind:     by_value
    .group_segment_fixed_size: 13320
    .kernarg_segment_align: 8
    .kernarg_segment_size: 152
    .language:       OpenCL C
    .language_version:
      - 2
      - 0
    .max_flat_workgroup_size: 256
    .name:           _ZN7rocprim17ROCPRIM_400000_NS6detail17trampoline_kernelINS0_13select_configILj256ELj13ELNS0_17block_load_methodE3ELS4_3ELS4_3ELNS0_20block_scan_algorithmE0ELj4294967295EEENS1_25partition_config_selectorILNS1_17partition_subalgoE3EjNS0_10empty_typeEbEEZZNS1_14partition_implILS8_3ELb0ES6_jNS0_17counting_iteratorIjlEEPS9_SE_NS0_5tupleIJPjSE_EEENSF_IJSE_SE_EEES9_SG_JZNS1_25segmented_radix_sort_implINS0_14default_configELb1EPKfPfPKlPlN2at6native12_GLOBAL__N_18offset_tEEE10hipError_tPvRmT1_PNSt15iterator_traitsISY_E10value_typeET2_T3_PNSZ_IS14_E10value_typeET4_jRbjT5_S1A_jjP12ihipStream_tbEUljE_EEESV_SW_SX_S14_S18_S1A_T6_T7_T9_mT8_S1C_bDpT10_ENKUlT_T0_E_clISt17integral_constantIbLb0EES1O_IbLb1EEEEDaS1K_S1L_EUlS1K_E_NS1_11comp_targetILNS1_3genE0ELNS1_11target_archE4294967295ELNS1_3gpuE0ELNS1_3repE0EEENS1_30default_config_static_selectorELNS0_4arch9wavefront6targetE0EEEvSY_
    .private_segment_fixed_size: 0
    .sgpr_count:     26
    .sgpr_spill_count: 0
    .symbol:         _ZN7rocprim17ROCPRIM_400000_NS6detail17trampoline_kernelINS0_13select_configILj256ELj13ELNS0_17block_load_methodE3ELS4_3ELS4_3ELNS0_20block_scan_algorithmE0ELj4294967295EEENS1_25partition_config_selectorILNS1_17partition_subalgoE3EjNS0_10empty_typeEbEEZZNS1_14partition_implILS8_3ELb0ES6_jNS0_17counting_iteratorIjlEEPS9_SE_NS0_5tupleIJPjSE_EEENSF_IJSE_SE_EEES9_SG_JZNS1_25segmented_radix_sort_implINS0_14default_configELb1EPKfPfPKlPlN2at6native12_GLOBAL__N_18offset_tEEE10hipError_tPvRmT1_PNSt15iterator_traitsISY_E10value_typeET2_T3_PNSZ_IS14_E10value_typeET4_jRbjT5_S1A_jjP12ihipStream_tbEUljE_EEESV_SW_SX_S14_S18_S1A_T6_T7_T9_mT8_S1C_bDpT10_ENKUlT_T0_E_clISt17integral_constantIbLb0EES1O_IbLb1EEEEDaS1K_S1L_EUlS1K_E_NS1_11comp_targetILNS1_3genE0ELNS1_11target_archE4294967295ELNS1_3gpuE0ELNS1_3repE0EEENS1_30default_config_static_selectorELNS0_4arch9wavefront6targetE0EEEvSY_.kd
    .uniform_work_group_size: 1
    .uses_dynamic_stack: false
    .vgpr_count:     72
    .vgpr_spill_count: 0
    .wavefront_size: 32
  - .args:
      - .offset:         0
        .size:           152
        .value_kind:     by_value
    .group_segment_fixed_size: 0
    .kernarg_segment_align: 8
    .kernarg_segment_size: 152
    .language:       OpenCL C
    .language_version:
      - 2
      - 0
    .max_flat_workgroup_size: 256
    .name:           _ZN7rocprim17ROCPRIM_400000_NS6detail17trampoline_kernelINS0_13select_configILj256ELj13ELNS0_17block_load_methodE3ELS4_3ELS4_3ELNS0_20block_scan_algorithmE0ELj4294967295EEENS1_25partition_config_selectorILNS1_17partition_subalgoE3EjNS0_10empty_typeEbEEZZNS1_14partition_implILS8_3ELb0ES6_jNS0_17counting_iteratorIjlEEPS9_SE_NS0_5tupleIJPjSE_EEENSF_IJSE_SE_EEES9_SG_JZNS1_25segmented_radix_sort_implINS0_14default_configELb1EPKfPfPKlPlN2at6native12_GLOBAL__N_18offset_tEEE10hipError_tPvRmT1_PNSt15iterator_traitsISY_E10value_typeET2_T3_PNSZ_IS14_E10value_typeET4_jRbjT5_S1A_jjP12ihipStream_tbEUljE_EEESV_SW_SX_S14_S18_S1A_T6_T7_T9_mT8_S1C_bDpT10_ENKUlT_T0_E_clISt17integral_constantIbLb0EES1O_IbLb1EEEEDaS1K_S1L_EUlS1K_E_NS1_11comp_targetILNS1_3genE5ELNS1_11target_archE942ELNS1_3gpuE9ELNS1_3repE0EEENS1_30default_config_static_selectorELNS0_4arch9wavefront6targetE0EEEvSY_
    .private_segment_fixed_size: 0
    .sgpr_count:     0
    .sgpr_spill_count: 0
    .symbol:         _ZN7rocprim17ROCPRIM_400000_NS6detail17trampoline_kernelINS0_13select_configILj256ELj13ELNS0_17block_load_methodE3ELS4_3ELS4_3ELNS0_20block_scan_algorithmE0ELj4294967295EEENS1_25partition_config_selectorILNS1_17partition_subalgoE3EjNS0_10empty_typeEbEEZZNS1_14partition_implILS8_3ELb0ES6_jNS0_17counting_iteratorIjlEEPS9_SE_NS0_5tupleIJPjSE_EEENSF_IJSE_SE_EEES9_SG_JZNS1_25segmented_radix_sort_implINS0_14default_configELb1EPKfPfPKlPlN2at6native12_GLOBAL__N_18offset_tEEE10hipError_tPvRmT1_PNSt15iterator_traitsISY_E10value_typeET2_T3_PNSZ_IS14_E10value_typeET4_jRbjT5_S1A_jjP12ihipStream_tbEUljE_EEESV_SW_SX_S14_S18_S1A_T6_T7_T9_mT8_S1C_bDpT10_ENKUlT_T0_E_clISt17integral_constantIbLb0EES1O_IbLb1EEEEDaS1K_S1L_EUlS1K_E_NS1_11comp_targetILNS1_3genE5ELNS1_11target_archE942ELNS1_3gpuE9ELNS1_3repE0EEENS1_30default_config_static_selectorELNS0_4arch9wavefront6targetE0EEEvSY_.kd
    .uniform_work_group_size: 1
    .uses_dynamic_stack: false
    .vgpr_count:     0
    .vgpr_spill_count: 0
    .wavefront_size: 32
  - .args:
      - .offset:         0
        .size:           152
        .value_kind:     by_value
    .group_segment_fixed_size: 0
    .kernarg_segment_align: 8
    .kernarg_segment_size: 152
    .language:       OpenCL C
    .language_version:
      - 2
      - 0
    .max_flat_workgroup_size: 256
    .name:           _ZN7rocprim17ROCPRIM_400000_NS6detail17trampoline_kernelINS0_13select_configILj256ELj13ELNS0_17block_load_methodE3ELS4_3ELS4_3ELNS0_20block_scan_algorithmE0ELj4294967295EEENS1_25partition_config_selectorILNS1_17partition_subalgoE3EjNS0_10empty_typeEbEEZZNS1_14partition_implILS8_3ELb0ES6_jNS0_17counting_iteratorIjlEEPS9_SE_NS0_5tupleIJPjSE_EEENSF_IJSE_SE_EEES9_SG_JZNS1_25segmented_radix_sort_implINS0_14default_configELb1EPKfPfPKlPlN2at6native12_GLOBAL__N_18offset_tEEE10hipError_tPvRmT1_PNSt15iterator_traitsISY_E10value_typeET2_T3_PNSZ_IS14_E10value_typeET4_jRbjT5_S1A_jjP12ihipStream_tbEUljE_EEESV_SW_SX_S14_S18_S1A_T6_T7_T9_mT8_S1C_bDpT10_ENKUlT_T0_E_clISt17integral_constantIbLb0EES1O_IbLb1EEEEDaS1K_S1L_EUlS1K_E_NS1_11comp_targetILNS1_3genE4ELNS1_11target_archE910ELNS1_3gpuE8ELNS1_3repE0EEENS1_30default_config_static_selectorELNS0_4arch9wavefront6targetE0EEEvSY_
    .private_segment_fixed_size: 0
    .sgpr_count:     0
    .sgpr_spill_count: 0
    .symbol:         _ZN7rocprim17ROCPRIM_400000_NS6detail17trampoline_kernelINS0_13select_configILj256ELj13ELNS0_17block_load_methodE3ELS4_3ELS4_3ELNS0_20block_scan_algorithmE0ELj4294967295EEENS1_25partition_config_selectorILNS1_17partition_subalgoE3EjNS0_10empty_typeEbEEZZNS1_14partition_implILS8_3ELb0ES6_jNS0_17counting_iteratorIjlEEPS9_SE_NS0_5tupleIJPjSE_EEENSF_IJSE_SE_EEES9_SG_JZNS1_25segmented_radix_sort_implINS0_14default_configELb1EPKfPfPKlPlN2at6native12_GLOBAL__N_18offset_tEEE10hipError_tPvRmT1_PNSt15iterator_traitsISY_E10value_typeET2_T3_PNSZ_IS14_E10value_typeET4_jRbjT5_S1A_jjP12ihipStream_tbEUljE_EEESV_SW_SX_S14_S18_S1A_T6_T7_T9_mT8_S1C_bDpT10_ENKUlT_T0_E_clISt17integral_constantIbLb0EES1O_IbLb1EEEEDaS1K_S1L_EUlS1K_E_NS1_11comp_targetILNS1_3genE4ELNS1_11target_archE910ELNS1_3gpuE8ELNS1_3repE0EEENS1_30default_config_static_selectorELNS0_4arch9wavefront6targetE0EEEvSY_.kd
    .uniform_work_group_size: 1
    .uses_dynamic_stack: false
    .vgpr_count:     0
    .vgpr_spill_count: 0
    .wavefront_size: 32
  - .args:
      - .offset:         0
        .size:           152
        .value_kind:     by_value
    .group_segment_fixed_size: 0
    .kernarg_segment_align: 8
    .kernarg_segment_size: 152
    .language:       OpenCL C
    .language_version:
      - 2
      - 0
    .max_flat_workgroup_size: 256
    .name:           _ZN7rocprim17ROCPRIM_400000_NS6detail17trampoline_kernelINS0_13select_configILj256ELj13ELNS0_17block_load_methodE3ELS4_3ELS4_3ELNS0_20block_scan_algorithmE0ELj4294967295EEENS1_25partition_config_selectorILNS1_17partition_subalgoE3EjNS0_10empty_typeEbEEZZNS1_14partition_implILS8_3ELb0ES6_jNS0_17counting_iteratorIjlEEPS9_SE_NS0_5tupleIJPjSE_EEENSF_IJSE_SE_EEES9_SG_JZNS1_25segmented_radix_sort_implINS0_14default_configELb1EPKfPfPKlPlN2at6native12_GLOBAL__N_18offset_tEEE10hipError_tPvRmT1_PNSt15iterator_traitsISY_E10value_typeET2_T3_PNSZ_IS14_E10value_typeET4_jRbjT5_S1A_jjP12ihipStream_tbEUljE_EEESV_SW_SX_S14_S18_S1A_T6_T7_T9_mT8_S1C_bDpT10_ENKUlT_T0_E_clISt17integral_constantIbLb0EES1O_IbLb1EEEEDaS1K_S1L_EUlS1K_E_NS1_11comp_targetILNS1_3genE3ELNS1_11target_archE908ELNS1_3gpuE7ELNS1_3repE0EEENS1_30default_config_static_selectorELNS0_4arch9wavefront6targetE0EEEvSY_
    .private_segment_fixed_size: 0
    .sgpr_count:     0
    .sgpr_spill_count: 0
    .symbol:         _ZN7rocprim17ROCPRIM_400000_NS6detail17trampoline_kernelINS0_13select_configILj256ELj13ELNS0_17block_load_methodE3ELS4_3ELS4_3ELNS0_20block_scan_algorithmE0ELj4294967295EEENS1_25partition_config_selectorILNS1_17partition_subalgoE3EjNS0_10empty_typeEbEEZZNS1_14partition_implILS8_3ELb0ES6_jNS0_17counting_iteratorIjlEEPS9_SE_NS0_5tupleIJPjSE_EEENSF_IJSE_SE_EEES9_SG_JZNS1_25segmented_radix_sort_implINS0_14default_configELb1EPKfPfPKlPlN2at6native12_GLOBAL__N_18offset_tEEE10hipError_tPvRmT1_PNSt15iterator_traitsISY_E10value_typeET2_T3_PNSZ_IS14_E10value_typeET4_jRbjT5_S1A_jjP12ihipStream_tbEUljE_EEESV_SW_SX_S14_S18_S1A_T6_T7_T9_mT8_S1C_bDpT10_ENKUlT_T0_E_clISt17integral_constantIbLb0EES1O_IbLb1EEEEDaS1K_S1L_EUlS1K_E_NS1_11comp_targetILNS1_3genE3ELNS1_11target_archE908ELNS1_3gpuE7ELNS1_3repE0EEENS1_30default_config_static_selectorELNS0_4arch9wavefront6targetE0EEEvSY_.kd
    .uniform_work_group_size: 1
    .uses_dynamic_stack: false
    .vgpr_count:     0
    .vgpr_spill_count: 0
    .wavefront_size: 32
  - .args:
      - .offset:         0
        .size:           152
        .value_kind:     by_value
    .group_segment_fixed_size: 0
    .kernarg_segment_align: 8
    .kernarg_segment_size: 152
    .language:       OpenCL C
    .language_version:
      - 2
      - 0
    .max_flat_workgroup_size: 256
    .name:           _ZN7rocprim17ROCPRIM_400000_NS6detail17trampoline_kernelINS0_13select_configILj256ELj13ELNS0_17block_load_methodE3ELS4_3ELS4_3ELNS0_20block_scan_algorithmE0ELj4294967295EEENS1_25partition_config_selectorILNS1_17partition_subalgoE3EjNS0_10empty_typeEbEEZZNS1_14partition_implILS8_3ELb0ES6_jNS0_17counting_iteratorIjlEEPS9_SE_NS0_5tupleIJPjSE_EEENSF_IJSE_SE_EEES9_SG_JZNS1_25segmented_radix_sort_implINS0_14default_configELb1EPKfPfPKlPlN2at6native12_GLOBAL__N_18offset_tEEE10hipError_tPvRmT1_PNSt15iterator_traitsISY_E10value_typeET2_T3_PNSZ_IS14_E10value_typeET4_jRbjT5_S1A_jjP12ihipStream_tbEUljE_EEESV_SW_SX_S14_S18_S1A_T6_T7_T9_mT8_S1C_bDpT10_ENKUlT_T0_E_clISt17integral_constantIbLb0EES1O_IbLb1EEEEDaS1K_S1L_EUlS1K_E_NS1_11comp_targetILNS1_3genE2ELNS1_11target_archE906ELNS1_3gpuE6ELNS1_3repE0EEENS1_30default_config_static_selectorELNS0_4arch9wavefront6targetE0EEEvSY_
    .private_segment_fixed_size: 0
    .sgpr_count:     0
    .sgpr_spill_count: 0
    .symbol:         _ZN7rocprim17ROCPRIM_400000_NS6detail17trampoline_kernelINS0_13select_configILj256ELj13ELNS0_17block_load_methodE3ELS4_3ELS4_3ELNS0_20block_scan_algorithmE0ELj4294967295EEENS1_25partition_config_selectorILNS1_17partition_subalgoE3EjNS0_10empty_typeEbEEZZNS1_14partition_implILS8_3ELb0ES6_jNS0_17counting_iteratorIjlEEPS9_SE_NS0_5tupleIJPjSE_EEENSF_IJSE_SE_EEES9_SG_JZNS1_25segmented_radix_sort_implINS0_14default_configELb1EPKfPfPKlPlN2at6native12_GLOBAL__N_18offset_tEEE10hipError_tPvRmT1_PNSt15iterator_traitsISY_E10value_typeET2_T3_PNSZ_IS14_E10value_typeET4_jRbjT5_S1A_jjP12ihipStream_tbEUljE_EEESV_SW_SX_S14_S18_S1A_T6_T7_T9_mT8_S1C_bDpT10_ENKUlT_T0_E_clISt17integral_constantIbLb0EES1O_IbLb1EEEEDaS1K_S1L_EUlS1K_E_NS1_11comp_targetILNS1_3genE2ELNS1_11target_archE906ELNS1_3gpuE6ELNS1_3repE0EEENS1_30default_config_static_selectorELNS0_4arch9wavefront6targetE0EEEvSY_.kd
    .uniform_work_group_size: 1
    .uses_dynamic_stack: false
    .vgpr_count:     0
    .vgpr_spill_count: 0
    .wavefront_size: 32
  - .args:
      - .offset:         0
        .size:           152
        .value_kind:     by_value
    .group_segment_fixed_size: 0
    .kernarg_segment_align: 8
    .kernarg_segment_size: 152
    .language:       OpenCL C
    .language_version:
      - 2
      - 0
    .max_flat_workgroup_size: 256
    .name:           _ZN7rocprim17ROCPRIM_400000_NS6detail17trampoline_kernelINS0_13select_configILj256ELj13ELNS0_17block_load_methodE3ELS4_3ELS4_3ELNS0_20block_scan_algorithmE0ELj4294967295EEENS1_25partition_config_selectorILNS1_17partition_subalgoE3EjNS0_10empty_typeEbEEZZNS1_14partition_implILS8_3ELb0ES6_jNS0_17counting_iteratorIjlEEPS9_SE_NS0_5tupleIJPjSE_EEENSF_IJSE_SE_EEES9_SG_JZNS1_25segmented_radix_sort_implINS0_14default_configELb1EPKfPfPKlPlN2at6native12_GLOBAL__N_18offset_tEEE10hipError_tPvRmT1_PNSt15iterator_traitsISY_E10value_typeET2_T3_PNSZ_IS14_E10value_typeET4_jRbjT5_S1A_jjP12ihipStream_tbEUljE_EEESV_SW_SX_S14_S18_S1A_T6_T7_T9_mT8_S1C_bDpT10_ENKUlT_T0_E_clISt17integral_constantIbLb0EES1O_IbLb1EEEEDaS1K_S1L_EUlS1K_E_NS1_11comp_targetILNS1_3genE10ELNS1_11target_archE1200ELNS1_3gpuE4ELNS1_3repE0EEENS1_30default_config_static_selectorELNS0_4arch9wavefront6targetE0EEEvSY_
    .private_segment_fixed_size: 0
    .sgpr_count:     0
    .sgpr_spill_count: 0
    .symbol:         _ZN7rocprim17ROCPRIM_400000_NS6detail17trampoline_kernelINS0_13select_configILj256ELj13ELNS0_17block_load_methodE3ELS4_3ELS4_3ELNS0_20block_scan_algorithmE0ELj4294967295EEENS1_25partition_config_selectorILNS1_17partition_subalgoE3EjNS0_10empty_typeEbEEZZNS1_14partition_implILS8_3ELb0ES6_jNS0_17counting_iteratorIjlEEPS9_SE_NS0_5tupleIJPjSE_EEENSF_IJSE_SE_EEES9_SG_JZNS1_25segmented_radix_sort_implINS0_14default_configELb1EPKfPfPKlPlN2at6native12_GLOBAL__N_18offset_tEEE10hipError_tPvRmT1_PNSt15iterator_traitsISY_E10value_typeET2_T3_PNSZ_IS14_E10value_typeET4_jRbjT5_S1A_jjP12ihipStream_tbEUljE_EEESV_SW_SX_S14_S18_S1A_T6_T7_T9_mT8_S1C_bDpT10_ENKUlT_T0_E_clISt17integral_constantIbLb0EES1O_IbLb1EEEEDaS1K_S1L_EUlS1K_E_NS1_11comp_targetILNS1_3genE10ELNS1_11target_archE1200ELNS1_3gpuE4ELNS1_3repE0EEENS1_30default_config_static_selectorELNS0_4arch9wavefront6targetE0EEEvSY_.kd
    .uniform_work_group_size: 1
    .uses_dynamic_stack: false
    .vgpr_count:     0
    .vgpr_spill_count: 0
    .wavefront_size: 32
  - .args:
      - .offset:         0
        .size:           152
        .value_kind:     by_value
    .group_segment_fixed_size: 0
    .kernarg_segment_align: 8
    .kernarg_segment_size: 152
    .language:       OpenCL C
    .language_version:
      - 2
      - 0
    .max_flat_workgroup_size: 256
    .name:           _ZN7rocprim17ROCPRIM_400000_NS6detail17trampoline_kernelINS0_13select_configILj256ELj13ELNS0_17block_load_methodE3ELS4_3ELS4_3ELNS0_20block_scan_algorithmE0ELj4294967295EEENS1_25partition_config_selectorILNS1_17partition_subalgoE3EjNS0_10empty_typeEbEEZZNS1_14partition_implILS8_3ELb0ES6_jNS0_17counting_iteratorIjlEEPS9_SE_NS0_5tupleIJPjSE_EEENSF_IJSE_SE_EEES9_SG_JZNS1_25segmented_radix_sort_implINS0_14default_configELb1EPKfPfPKlPlN2at6native12_GLOBAL__N_18offset_tEEE10hipError_tPvRmT1_PNSt15iterator_traitsISY_E10value_typeET2_T3_PNSZ_IS14_E10value_typeET4_jRbjT5_S1A_jjP12ihipStream_tbEUljE_EEESV_SW_SX_S14_S18_S1A_T6_T7_T9_mT8_S1C_bDpT10_ENKUlT_T0_E_clISt17integral_constantIbLb0EES1O_IbLb1EEEEDaS1K_S1L_EUlS1K_E_NS1_11comp_targetILNS1_3genE9ELNS1_11target_archE1100ELNS1_3gpuE3ELNS1_3repE0EEENS1_30default_config_static_selectorELNS0_4arch9wavefront6targetE0EEEvSY_
    .private_segment_fixed_size: 0
    .sgpr_count:     0
    .sgpr_spill_count: 0
    .symbol:         _ZN7rocprim17ROCPRIM_400000_NS6detail17trampoline_kernelINS0_13select_configILj256ELj13ELNS0_17block_load_methodE3ELS4_3ELS4_3ELNS0_20block_scan_algorithmE0ELj4294967295EEENS1_25partition_config_selectorILNS1_17partition_subalgoE3EjNS0_10empty_typeEbEEZZNS1_14partition_implILS8_3ELb0ES6_jNS0_17counting_iteratorIjlEEPS9_SE_NS0_5tupleIJPjSE_EEENSF_IJSE_SE_EEES9_SG_JZNS1_25segmented_radix_sort_implINS0_14default_configELb1EPKfPfPKlPlN2at6native12_GLOBAL__N_18offset_tEEE10hipError_tPvRmT1_PNSt15iterator_traitsISY_E10value_typeET2_T3_PNSZ_IS14_E10value_typeET4_jRbjT5_S1A_jjP12ihipStream_tbEUljE_EEESV_SW_SX_S14_S18_S1A_T6_T7_T9_mT8_S1C_bDpT10_ENKUlT_T0_E_clISt17integral_constantIbLb0EES1O_IbLb1EEEEDaS1K_S1L_EUlS1K_E_NS1_11comp_targetILNS1_3genE9ELNS1_11target_archE1100ELNS1_3gpuE3ELNS1_3repE0EEENS1_30default_config_static_selectorELNS0_4arch9wavefront6targetE0EEEvSY_.kd
    .uniform_work_group_size: 1
    .uses_dynamic_stack: false
    .vgpr_count:     0
    .vgpr_spill_count: 0
    .wavefront_size: 32
  - .args:
      - .offset:         0
        .size:           152
        .value_kind:     by_value
    .group_segment_fixed_size: 0
    .kernarg_segment_align: 8
    .kernarg_segment_size: 152
    .language:       OpenCL C
    .language_version:
      - 2
      - 0
    .max_flat_workgroup_size: 256
    .name:           _ZN7rocprim17ROCPRIM_400000_NS6detail17trampoline_kernelINS0_13select_configILj256ELj13ELNS0_17block_load_methodE3ELS4_3ELS4_3ELNS0_20block_scan_algorithmE0ELj4294967295EEENS1_25partition_config_selectorILNS1_17partition_subalgoE3EjNS0_10empty_typeEbEEZZNS1_14partition_implILS8_3ELb0ES6_jNS0_17counting_iteratorIjlEEPS9_SE_NS0_5tupleIJPjSE_EEENSF_IJSE_SE_EEES9_SG_JZNS1_25segmented_radix_sort_implINS0_14default_configELb1EPKfPfPKlPlN2at6native12_GLOBAL__N_18offset_tEEE10hipError_tPvRmT1_PNSt15iterator_traitsISY_E10value_typeET2_T3_PNSZ_IS14_E10value_typeET4_jRbjT5_S1A_jjP12ihipStream_tbEUljE_EEESV_SW_SX_S14_S18_S1A_T6_T7_T9_mT8_S1C_bDpT10_ENKUlT_T0_E_clISt17integral_constantIbLb0EES1O_IbLb1EEEEDaS1K_S1L_EUlS1K_E_NS1_11comp_targetILNS1_3genE8ELNS1_11target_archE1030ELNS1_3gpuE2ELNS1_3repE0EEENS1_30default_config_static_selectorELNS0_4arch9wavefront6targetE0EEEvSY_
    .private_segment_fixed_size: 0
    .sgpr_count:     0
    .sgpr_spill_count: 0
    .symbol:         _ZN7rocprim17ROCPRIM_400000_NS6detail17trampoline_kernelINS0_13select_configILj256ELj13ELNS0_17block_load_methodE3ELS4_3ELS4_3ELNS0_20block_scan_algorithmE0ELj4294967295EEENS1_25partition_config_selectorILNS1_17partition_subalgoE3EjNS0_10empty_typeEbEEZZNS1_14partition_implILS8_3ELb0ES6_jNS0_17counting_iteratorIjlEEPS9_SE_NS0_5tupleIJPjSE_EEENSF_IJSE_SE_EEES9_SG_JZNS1_25segmented_radix_sort_implINS0_14default_configELb1EPKfPfPKlPlN2at6native12_GLOBAL__N_18offset_tEEE10hipError_tPvRmT1_PNSt15iterator_traitsISY_E10value_typeET2_T3_PNSZ_IS14_E10value_typeET4_jRbjT5_S1A_jjP12ihipStream_tbEUljE_EEESV_SW_SX_S14_S18_S1A_T6_T7_T9_mT8_S1C_bDpT10_ENKUlT_T0_E_clISt17integral_constantIbLb0EES1O_IbLb1EEEEDaS1K_S1L_EUlS1K_E_NS1_11comp_targetILNS1_3genE8ELNS1_11target_archE1030ELNS1_3gpuE2ELNS1_3repE0EEENS1_30default_config_static_selectorELNS0_4arch9wavefront6targetE0EEEvSY_.kd
    .uniform_work_group_size: 1
    .uses_dynamic_stack: false
    .vgpr_count:     0
    .vgpr_spill_count: 0
    .wavefront_size: 32
  - .args:
      - .offset:         0
        .size:           96
        .value_kind:     by_value
      - .offset:         96
        .size:           4
        .value_kind:     hidden_block_count_x
      - .offset:         100
        .size:           4
        .value_kind:     hidden_block_count_y
      - .offset:         104
        .size:           4
        .value_kind:     hidden_block_count_z
      - .offset:         108
        .size:           2
        .value_kind:     hidden_group_size_x
      - .offset:         110
        .size:           2
        .value_kind:     hidden_group_size_y
      - .offset:         112
        .size:           2
        .value_kind:     hidden_group_size_z
      - .offset:         114
        .size:           2
        .value_kind:     hidden_remainder_x
      - .offset:         116
        .size:           2
        .value_kind:     hidden_remainder_y
      - .offset:         118
        .size:           2
        .value_kind:     hidden_remainder_z
      - .offset:         136
        .size:           8
        .value_kind:     hidden_global_offset_x
      - .offset:         144
        .size:           8
        .value_kind:     hidden_global_offset_y
      - .offset:         152
        .size:           8
        .value_kind:     hidden_global_offset_z
      - .offset:         160
        .size:           2
        .value_kind:     hidden_grid_dims
      - .offset:         176
        .size:           8
        .value_kind:     hidden_hostcall_buffer
      - .offset:         184
        .size:           8
        .value_kind:     hidden_multigrid_sync_arg
      - .offset:         192
        .size:           8
        .value_kind:     hidden_heap_v1
      - .offset:         200
        .size:           8
        .value_kind:     hidden_default_queue
      - .offset:         208
        .size:           8
        .value_kind:     hidden_completion_action
      - .offset:         296
        .size:           8
        .value_kind:     hidden_queue_ptr
    .group_segment_fixed_size: 35344
    .kernarg_segment_align: 8
    .kernarg_segment_size: 352
    .language:       OpenCL C
    .language_version:
      - 2
      - 0
    .max_flat_workgroup_size: 256
    .name:           _ZN7rocprim17ROCPRIM_400000_NS6detail17trampoline_kernelINS0_14default_configENS1_36segmented_radix_sort_config_selectorIflEEZNS1_25segmented_radix_sort_implIS3_Lb1EPKfPfPKlPlN2at6native12_GLOBAL__N_18offset_tEEE10hipError_tPvRmT1_PNSt15iterator_traitsISK_E10value_typeET2_T3_PNSL_ISQ_E10value_typeET4_jRbjT5_SW_jjP12ihipStream_tbEUlT_E_NS1_11comp_targetILNS1_3genE0ELNS1_11target_archE4294967295ELNS1_3gpuE0ELNS1_3repE0EEENS1_30default_config_static_selectorELNS0_4arch9wavefront6targetE0EEEvSK_
    .private_segment_fixed_size: 0
    .sgpr_count:     64
    .sgpr_spill_count: 0
    .symbol:         _ZN7rocprim17ROCPRIM_400000_NS6detail17trampoline_kernelINS0_14default_configENS1_36segmented_radix_sort_config_selectorIflEEZNS1_25segmented_radix_sort_implIS3_Lb1EPKfPfPKlPlN2at6native12_GLOBAL__N_18offset_tEEE10hipError_tPvRmT1_PNSt15iterator_traitsISK_E10value_typeET2_T3_PNSL_ISQ_E10value_typeET4_jRbjT5_SW_jjP12ihipStream_tbEUlT_E_NS1_11comp_targetILNS1_3genE0ELNS1_11target_archE4294967295ELNS1_3gpuE0ELNS1_3repE0EEENS1_30default_config_static_selectorELNS0_4arch9wavefront6targetE0EEEvSK_.kd
    .uniform_work_group_size: 1
    .uses_dynamic_stack: false
    .vgpr_count:     320
    .vgpr_spill_count: 0
    .wavefront_size: 32
  - .args:
      - .offset:         0
        .size:           96
        .value_kind:     by_value
    .group_segment_fixed_size: 0
    .kernarg_segment_align: 8
    .kernarg_segment_size: 96
    .language:       OpenCL C
    .language_version:
      - 2
      - 0
    .max_flat_workgroup_size: 256
    .name:           _ZN7rocprim17ROCPRIM_400000_NS6detail17trampoline_kernelINS0_14default_configENS1_36segmented_radix_sort_config_selectorIflEEZNS1_25segmented_radix_sort_implIS3_Lb1EPKfPfPKlPlN2at6native12_GLOBAL__N_18offset_tEEE10hipError_tPvRmT1_PNSt15iterator_traitsISK_E10value_typeET2_T3_PNSL_ISQ_E10value_typeET4_jRbjT5_SW_jjP12ihipStream_tbEUlT_E_NS1_11comp_targetILNS1_3genE5ELNS1_11target_archE942ELNS1_3gpuE9ELNS1_3repE0EEENS1_30default_config_static_selectorELNS0_4arch9wavefront6targetE0EEEvSK_
    .private_segment_fixed_size: 0
    .sgpr_count:     0
    .sgpr_spill_count: 0
    .symbol:         _ZN7rocprim17ROCPRIM_400000_NS6detail17trampoline_kernelINS0_14default_configENS1_36segmented_radix_sort_config_selectorIflEEZNS1_25segmented_radix_sort_implIS3_Lb1EPKfPfPKlPlN2at6native12_GLOBAL__N_18offset_tEEE10hipError_tPvRmT1_PNSt15iterator_traitsISK_E10value_typeET2_T3_PNSL_ISQ_E10value_typeET4_jRbjT5_SW_jjP12ihipStream_tbEUlT_E_NS1_11comp_targetILNS1_3genE5ELNS1_11target_archE942ELNS1_3gpuE9ELNS1_3repE0EEENS1_30default_config_static_selectorELNS0_4arch9wavefront6targetE0EEEvSK_.kd
    .uniform_work_group_size: 1
    .uses_dynamic_stack: false
    .vgpr_count:     0
    .vgpr_spill_count: 0
    .wavefront_size: 32
  - .args:
      - .offset:         0
        .size:           96
        .value_kind:     by_value
    .group_segment_fixed_size: 0
    .kernarg_segment_align: 8
    .kernarg_segment_size: 96
    .language:       OpenCL C
    .language_version:
      - 2
      - 0
    .max_flat_workgroup_size: 256
    .name:           _ZN7rocprim17ROCPRIM_400000_NS6detail17trampoline_kernelINS0_14default_configENS1_36segmented_radix_sort_config_selectorIflEEZNS1_25segmented_radix_sort_implIS3_Lb1EPKfPfPKlPlN2at6native12_GLOBAL__N_18offset_tEEE10hipError_tPvRmT1_PNSt15iterator_traitsISK_E10value_typeET2_T3_PNSL_ISQ_E10value_typeET4_jRbjT5_SW_jjP12ihipStream_tbEUlT_E_NS1_11comp_targetILNS1_3genE4ELNS1_11target_archE910ELNS1_3gpuE8ELNS1_3repE0EEENS1_30default_config_static_selectorELNS0_4arch9wavefront6targetE0EEEvSK_
    .private_segment_fixed_size: 0
    .sgpr_count:     0
    .sgpr_spill_count: 0
    .symbol:         _ZN7rocprim17ROCPRIM_400000_NS6detail17trampoline_kernelINS0_14default_configENS1_36segmented_radix_sort_config_selectorIflEEZNS1_25segmented_radix_sort_implIS3_Lb1EPKfPfPKlPlN2at6native12_GLOBAL__N_18offset_tEEE10hipError_tPvRmT1_PNSt15iterator_traitsISK_E10value_typeET2_T3_PNSL_ISQ_E10value_typeET4_jRbjT5_SW_jjP12ihipStream_tbEUlT_E_NS1_11comp_targetILNS1_3genE4ELNS1_11target_archE910ELNS1_3gpuE8ELNS1_3repE0EEENS1_30default_config_static_selectorELNS0_4arch9wavefront6targetE0EEEvSK_.kd
    .uniform_work_group_size: 1
    .uses_dynamic_stack: false
    .vgpr_count:     0
    .vgpr_spill_count: 0
    .wavefront_size: 32
  - .args:
      - .offset:         0
        .size:           96
        .value_kind:     by_value
    .group_segment_fixed_size: 0
    .kernarg_segment_align: 8
    .kernarg_segment_size: 96
    .language:       OpenCL C
    .language_version:
      - 2
      - 0
    .max_flat_workgroup_size: 256
    .name:           _ZN7rocprim17ROCPRIM_400000_NS6detail17trampoline_kernelINS0_14default_configENS1_36segmented_radix_sort_config_selectorIflEEZNS1_25segmented_radix_sort_implIS3_Lb1EPKfPfPKlPlN2at6native12_GLOBAL__N_18offset_tEEE10hipError_tPvRmT1_PNSt15iterator_traitsISK_E10value_typeET2_T3_PNSL_ISQ_E10value_typeET4_jRbjT5_SW_jjP12ihipStream_tbEUlT_E_NS1_11comp_targetILNS1_3genE3ELNS1_11target_archE908ELNS1_3gpuE7ELNS1_3repE0EEENS1_30default_config_static_selectorELNS0_4arch9wavefront6targetE0EEEvSK_
    .private_segment_fixed_size: 0
    .sgpr_count:     0
    .sgpr_spill_count: 0
    .symbol:         _ZN7rocprim17ROCPRIM_400000_NS6detail17trampoline_kernelINS0_14default_configENS1_36segmented_radix_sort_config_selectorIflEEZNS1_25segmented_radix_sort_implIS3_Lb1EPKfPfPKlPlN2at6native12_GLOBAL__N_18offset_tEEE10hipError_tPvRmT1_PNSt15iterator_traitsISK_E10value_typeET2_T3_PNSL_ISQ_E10value_typeET4_jRbjT5_SW_jjP12ihipStream_tbEUlT_E_NS1_11comp_targetILNS1_3genE3ELNS1_11target_archE908ELNS1_3gpuE7ELNS1_3repE0EEENS1_30default_config_static_selectorELNS0_4arch9wavefront6targetE0EEEvSK_.kd
    .uniform_work_group_size: 1
    .uses_dynamic_stack: false
    .vgpr_count:     0
    .vgpr_spill_count: 0
    .wavefront_size: 32
  - .args:
      - .offset:         0
        .size:           96
        .value_kind:     by_value
    .group_segment_fixed_size: 0
    .kernarg_segment_align: 8
    .kernarg_segment_size: 96
    .language:       OpenCL C
    .language_version:
      - 2
      - 0
    .max_flat_workgroup_size: 256
    .name:           _ZN7rocprim17ROCPRIM_400000_NS6detail17trampoline_kernelINS0_14default_configENS1_36segmented_radix_sort_config_selectorIflEEZNS1_25segmented_radix_sort_implIS3_Lb1EPKfPfPKlPlN2at6native12_GLOBAL__N_18offset_tEEE10hipError_tPvRmT1_PNSt15iterator_traitsISK_E10value_typeET2_T3_PNSL_ISQ_E10value_typeET4_jRbjT5_SW_jjP12ihipStream_tbEUlT_E_NS1_11comp_targetILNS1_3genE2ELNS1_11target_archE906ELNS1_3gpuE6ELNS1_3repE0EEENS1_30default_config_static_selectorELNS0_4arch9wavefront6targetE0EEEvSK_
    .private_segment_fixed_size: 0
    .sgpr_count:     0
    .sgpr_spill_count: 0
    .symbol:         _ZN7rocprim17ROCPRIM_400000_NS6detail17trampoline_kernelINS0_14default_configENS1_36segmented_radix_sort_config_selectorIflEEZNS1_25segmented_radix_sort_implIS3_Lb1EPKfPfPKlPlN2at6native12_GLOBAL__N_18offset_tEEE10hipError_tPvRmT1_PNSt15iterator_traitsISK_E10value_typeET2_T3_PNSL_ISQ_E10value_typeET4_jRbjT5_SW_jjP12ihipStream_tbEUlT_E_NS1_11comp_targetILNS1_3genE2ELNS1_11target_archE906ELNS1_3gpuE6ELNS1_3repE0EEENS1_30default_config_static_selectorELNS0_4arch9wavefront6targetE0EEEvSK_.kd
    .uniform_work_group_size: 1
    .uses_dynamic_stack: false
    .vgpr_count:     0
    .vgpr_spill_count: 0
    .wavefront_size: 32
  - .args:
      - .offset:         0
        .size:           96
        .value_kind:     by_value
    .group_segment_fixed_size: 0
    .kernarg_segment_align: 8
    .kernarg_segment_size: 96
    .language:       OpenCL C
    .language_version:
      - 2
      - 0
    .max_flat_workgroup_size: 256
    .name:           _ZN7rocprim17ROCPRIM_400000_NS6detail17trampoline_kernelINS0_14default_configENS1_36segmented_radix_sort_config_selectorIflEEZNS1_25segmented_radix_sort_implIS3_Lb1EPKfPfPKlPlN2at6native12_GLOBAL__N_18offset_tEEE10hipError_tPvRmT1_PNSt15iterator_traitsISK_E10value_typeET2_T3_PNSL_ISQ_E10value_typeET4_jRbjT5_SW_jjP12ihipStream_tbEUlT_E_NS1_11comp_targetILNS1_3genE10ELNS1_11target_archE1201ELNS1_3gpuE5ELNS1_3repE0EEENS1_30default_config_static_selectorELNS0_4arch9wavefront6targetE0EEEvSK_
    .private_segment_fixed_size: 0
    .sgpr_count:     0
    .sgpr_spill_count: 0
    .symbol:         _ZN7rocprim17ROCPRIM_400000_NS6detail17trampoline_kernelINS0_14default_configENS1_36segmented_radix_sort_config_selectorIflEEZNS1_25segmented_radix_sort_implIS3_Lb1EPKfPfPKlPlN2at6native12_GLOBAL__N_18offset_tEEE10hipError_tPvRmT1_PNSt15iterator_traitsISK_E10value_typeET2_T3_PNSL_ISQ_E10value_typeET4_jRbjT5_SW_jjP12ihipStream_tbEUlT_E_NS1_11comp_targetILNS1_3genE10ELNS1_11target_archE1201ELNS1_3gpuE5ELNS1_3repE0EEENS1_30default_config_static_selectorELNS0_4arch9wavefront6targetE0EEEvSK_.kd
    .uniform_work_group_size: 1
    .uses_dynamic_stack: false
    .vgpr_count:     0
    .vgpr_spill_count: 0
    .wavefront_size: 32
  - .args:
      - .offset:         0
        .size:           96
        .value_kind:     by_value
    .group_segment_fixed_size: 0
    .kernarg_segment_align: 8
    .kernarg_segment_size: 96
    .language:       OpenCL C
    .language_version:
      - 2
      - 0
    .max_flat_workgroup_size: 128
    .name:           _ZN7rocprim17ROCPRIM_400000_NS6detail17trampoline_kernelINS0_14default_configENS1_36segmented_radix_sort_config_selectorIflEEZNS1_25segmented_radix_sort_implIS3_Lb1EPKfPfPKlPlN2at6native12_GLOBAL__N_18offset_tEEE10hipError_tPvRmT1_PNSt15iterator_traitsISK_E10value_typeET2_T3_PNSL_ISQ_E10value_typeET4_jRbjT5_SW_jjP12ihipStream_tbEUlT_E_NS1_11comp_targetILNS1_3genE10ELNS1_11target_archE1200ELNS1_3gpuE4ELNS1_3repE0EEENS1_30default_config_static_selectorELNS0_4arch9wavefront6targetE0EEEvSK_
    .private_segment_fixed_size: 0
    .sgpr_count:     0
    .sgpr_spill_count: 0
    .symbol:         _ZN7rocprim17ROCPRIM_400000_NS6detail17trampoline_kernelINS0_14default_configENS1_36segmented_radix_sort_config_selectorIflEEZNS1_25segmented_radix_sort_implIS3_Lb1EPKfPfPKlPlN2at6native12_GLOBAL__N_18offset_tEEE10hipError_tPvRmT1_PNSt15iterator_traitsISK_E10value_typeET2_T3_PNSL_ISQ_E10value_typeET4_jRbjT5_SW_jjP12ihipStream_tbEUlT_E_NS1_11comp_targetILNS1_3genE10ELNS1_11target_archE1200ELNS1_3gpuE4ELNS1_3repE0EEENS1_30default_config_static_selectorELNS0_4arch9wavefront6targetE0EEEvSK_.kd
    .uniform_work_group_size: 1
    .uses_dynamic_stack: false
    .vgpr_count:     0
    .vgpr_spill_count: 0
    .wavefront_size: 32
  - .args:
      - .offset:         0
        .size:           96
        .value_kind:     by_value
    .group_segment_fixed_size: 0
    .kernarg_segment_align: 8
    .kernarg_segment_size: 96
    .language:       OpenCL C
    .language_version:
      - 2
      - 0
    .max_flat_workgroup_size: 256
    .name:           _ZN7rocprim17ROCPRIM_400000_NS6detail17trampoline_kernelINS0_14default_configENS1_36segmented_radix_sort_config_selectorIflEEZNS1_25segmented_radix_sort_implIS3_Lb1EPKfPfPKlPlN2at6native12_GLOBAL__N_18offset_tEEE10hipError_tPvRmT1_PNSt15iterator_traitsISK_E10value_typeET2_T3_PNSL_ISQ_E10value_typeET4_jRbjT5_SW_jjP12ihipStream_tbEUlT_E_NS1_11comp_targetILNS1_3genE9ELNS1_11target_archE1100ELNS1_3gpuE3ELNS1_3repE0EEENS1_30default_config_static_selectorELNS0_4arch9wavefront6targetE0EEEvSK_
    .private_segment_fixed_size: 0
    .sgpr_count:     0
    .sgpr_spill_count: 0
    .symbol:         _ZN7rocprim17ROCPRIM_400000_NS6detail17trampoline_kernelINS0_14default_configENS1_36segmented_radix_sort_config_selectorIflEEZNS1_25segmented_radix_sort_implIS3_Lb1EPKfPfPKlPlN2at6native12_GLOBAL__N_18offset_tEEE10hipError_tPvRmT1_PNSt15iterator_traitsISK_E10value_typeET2_T3_PNSL_ISQ_E10value_typeET4_jRbjT5_SW_jjP12ihipStream_tbEUlT_E_NS1_11comp_targetILNS1_3genE9ELNS1_11target_archE1100ELNS1_3gpuE3ELNS1_3repE0EEENS1_30default_config_static_selectorELNS0_4arch9wavefront6targetE0EEEvSK_.kd
    .uniform_work_group_size: 1
    .uses_dynamic_stack: false
    .vgpr_count:     0
    .vgpr_spill_count: 0
    .wavefront_size: 32
  - .args:
      - .offset:         0
        .size:           96
        .value_kind:     by_value
    .group_segment_fixed_size: 0
    .kernarg_segment_align: 8
    .kernarg_segment_size: 96
    .language:       OpenCL C
    .language_version:
      - 2
      - 0
    .max_flat_workgroup_size: 256
    .name:           _ZN7rocprim17ROCPRIM_400000_NS6detail17trampoline_kernelINS0_14default_configENS1_36segmented_radix_sort_config_selectorIflEEZNS1_25segmented_radix_sort_implIS3_Lb1EPKfPfPKlPlN2at6native12_GLOBAL__N_18offset_tEEE10hipError_tPvRmT1_PNSt15iterator_traitsISK_E10value_typeET2_T3_PNSL_ISQ_E10value_typeET4_jRbjT5_SW_jjP12ihipStream_tbEUlT_E_NS1_11comp_targetILNS1_3genE8ELNS1_11target_archE1030ELNS1_3gpuE2ELNS1_3repE0EEENS1_30default_config_static_selectorELNS0_4arch9wavefront6targetE0EEEvSK_
    .private_segment_fixed_size: 0
    .sgpr_count:     0
    .sgpr_spill_count: 0
    .symbol:         _ZN7rocprim17ROCPRIM_400000_NS6detail17trampoline_kernelINS0_14default_configENS1_36segmented_radix_sort_config_selectorIflEEZNS1_25segmented_radix_sort_implIS3_Lb1EPKfPfPKlPlN2at6native12_GLOBAL__N_18offset_tEEE10hipError_tPvRmT1_PNSt15iterator_traitsISK_E10value_typeET2_T3_PNSL_ISQ_E10value_typeET4_jRbjT5_SW_jjP12ihipStream_tbEUlT_E_NS1_11comp_targetILNS1_3genE8ELNS1_11target_archE1030ELNS1_3gpuE2ELNS1_3repE0EEENS1_30default_config_static_selectorELNS0_4arch9wavefront6targetE0EEEvSK_.kd
    .uniform_work_group_size: 1
    .uses_dynamic_stack: false
    .vgpr_count:     0
    .vgpr_spill_count: 0
    .wavefront_size: 32
  - .args:
      - .offset:         0
        .size:           88
        .value_kind:     by_value
      - .offset:         88
        .size:           4
        .value_kind:     hidden_block_count_x
      - .offset:         92
        .size:           4
        .value_kind:     hidden_block_count_y
      - .offset:         96
        .size:           4
        .value_kind:     hidden_block_count_z
      - .offset:         100
        .size:           2
        .value_kind:     hidden_group_size_x
      - .offset:         102
        .size:           2
        .value_kind:     hidden_group_size_y
      - .offset:         104
        .size:           2
        .value_kind:     hidden_group_size_z
      - .offset:         106
        .size:           2
        .value_kind:     hidden_remainder_x
      - .offset:         108
        .size:           2
        .value_kind:     hidden_remainder_y
      - .offset:         110
        .size:           2
        .value_kind:     hidden_remainder_z
      - .offset:         128
        .size:           8
        .value_kind:     hidden_global_offset_x
      - .offset:         136
        .size:           8
        .value_kind:     hidden_global_offset_y
      - .offset:         144
        .size:           8
        .value_kind:     hidden_global_offset_z
      - .offset:         152
        .size:           2
        .value_kind:     hidden_grid_dims
      - .offset:         168
        .size:           8
        .value_kind:     hidden_hostcall_buffer
      - .offset:         176
        .size:           8
        .value_kind:     hidden_multigrid_sync_arg
      - .offset:         184
        .size:           8
        .value_kind:     hidden_heap_v1
      - .offset:         192
        .size:           8
        .value_kind:     hidden_default_queue
      - .offset:         200
        .size:           8
        .value_kind:     hidden_completion_action
      - .offset:         288
        .size:           8
        .value_kind:     hidden_queue_ptr
    .group_segment_fixed_size: 12288
    .kernarg_segment_align: 8
    .kernarg_segment_size: 344
    .language:       OpenCL C
    .language_version:
      - 2
      - 0
    .max_flat_workgroup_size: 256
    .name:           _ZN7rocprim17ROCPRIM_400000_NS6detail17trampoline_kernelINS0_14default_configENS1_36segmented_radix_sort_config_selectorIflEEZNS1_25segmented_radix_sort_implIS3_Lb1EPKfPfPKlPlN2at6native12_GLOBAL__N_18offset_tEEE10hipError_tPvRmT1_PNSt15iterator_traitsISK_E10value_typeET2_T3_PNSL_ISQ_E10value_typeET4_jRbjT5_SW_jjP12ihipStream_tbEUlT_E0_NS1_11comp_targetILNS1_3genE0ELNS1_11target_archE4294967295ELNS1_3gpuE0ELNS1_3repE0EEENS1_60segmented_radix_sort_warp_sort_medium_config_static_selectorELNS0_4arch9wavefront6targetE0EEEvSK_
    .private_segment_fixed_size: 0
    .sgpr_count:     35
    .sgpr_spill_count: 0
    .symbol:         _ZN7rocprim17ROCPRIM_400000_NS6detail17trampoline_kernelINS0_14default_configENS1_36segmented_radix_sort_config_selectorIflEEZNS1_25segmented_radix_sort_implIS3_Lb1EPKfPfPKlPlN2at6native12_GLOBAL__N_18offset_tEEE10hipError_tPvRmT1_PNSt15iterator_traitsISK_E10value_typeET2_T3_PNSL_ISQ_E10value_typeET4_jRbjT5_SW_jjP12ihipStream_tbEUlT_E0_NS1_11comp_targetILNS1_3genE0ELNS1_11target_archE4294967295ELNS1_3gpuE0ELNS1_3repE0EEENS1_60segmented_radix_sort_warp_sort_medium_config_static_selectorELNS0_4arch9wavefront6targetE0EEEvSK_.kd
    .uniform_work_group_size: 1
    .uses_dynamic_stack: false
    .vgpr_count:     72
    .vgpr_spill_count: 0
    .wavefront_size: 32
  - .args:
      - .offset:         0
        .size:           88
        .value_kind:     by_value
    .group_segment_fixed_size: 0
    .kernarg_segment_align: 8
    .kernarg_segment_size: 88
    .language:       OpenCL C
    .language_version:
      - 2
      - 0
    .max_flat_workgroup_size: 256
    .name:           _ZN7rocprim17ROCPRIM_400000_NS6detail17trampoline_kernelINS0_14default_configENS1_36segmented_radix_sort_config_selectorIflEEZNS1_25segmented_radix_sort_implIS3_Lb1EPKfPfPKlPlN2at6native12_GLOBAL__N_18offset_tEEE10hipError_tPvRmT1_PNSt15iterator_traitsISK_E10value_typeET2_T3_PNSL_ISQ_E10value_typeET4_jRbjT5_SW_jjP12ihipStream_tbEUlT_E0_NS1_11comp_targetILNS1_3genE5ELNS1_11target_archE942ELNS1_3gpuE9ELNS1_3repE0EEENS1_60segmented_radix_sort_warp_sort_medium_config_static_selectorELNS0_4arch9wavefront6targetE0EEEvSK_
    .private_segment_fixed_size: 0
    .sgpr_count:     0
    .sgpr_spill_count: 0
    .symbol:         _ZN7rocprim17ROCPRIM_400000_NS6detail17trampoline_kernelINS0_14default_configENS1_36segmented_radix_sort_config_selectorIflEEZNS1_25segmented_radix_sort_implIS3_Lb1EPKfPfPKlPlN2at6native12_GLOBAL__N_18offset_tEEE10hipError_tPvRmT1_PNSt15iterator_traitsISK_E10value_typeET2_T3_PNSL_ISQ_E10value_typeET4_jRbjT5_SW_jjP12ihipStream_tbEUlT_E0_NS1_11comp_targetILNS1_3genE5ELNS1_11target_archE942ELNS1_3gpuE9ELNS1_3repE0EEENS1_60segmented_radix_sort_warp_sort_medium_config_static_selectorELNS0_4arch9wavefront6targetE0EEEvSK_.kd
    .uniform_work_group_size: 1
    .uses_dynamic_stack: false
    .vgpr_count:     0
    .vgpr_spill_count: 0
    .wavefront_size: 32
  - .args:
      - .offset:         0
        .size:           88
        .value_kind:     by_value
    .group_segment_fixed_size: 0
    .kernarg_segment_align: 8
    .kernarg_segment_size: 88
    .language:       OpenCL C
    .language_version:
      - 2
      - 0
    .max_flat_workgroup_size: 256
    .name:           _ZN7rocprim17ROCPRIM_400000_NS6detail17trampoline_kernelINS0_14default_configENS1_36segmented_radix_sort_config_selectorIflEEZNS1_25segmented_radix_sort_implIS3_Lb1EPKfPfPKlPlN2at6native12_GLOBAL__N_18offset_tEEE10hipError_tPvRmT1_PNSt15iterator_traitsISK_E10value_typeET2_T3_PNSL_ISQ_E10value_typeET4_jRbjT5_SW_jjP12ihipStream_tbEUlT_E0_NS1_11comp_targetILNS1_3genE4ELNS1_11target_archE910ELNS1_3gpuE8ELNS1_3repE0EEENS1_60segmented_radix_sort_warp_sort_medium_config_static_selectorELNS0_4arch9wavefront6targetE0EEEvSK_
    .private_segment_fixed_size: 0
    .sgpr_count:     0
    .sgpr_spill_count: 0
    .symbol:         _ZN7rocprim17ROCPRIM_400000_NS6detail17trampoline_kernelINS0_14default_configENS1_36segmented_radix_sort_config_selectorIflEEZNS1_25segmented_radix_sort_implIS3_Lb1EPKfPfPKlPlN2at6native12_GLOBAL__N_18offset_tEEE10hipError_tPvRmT1_PNSt15iterator_traitsISK_E10value_typeET2_T3_PNSL_ISQ_E10value_typeET4_jRbjT5_SW_jjP12ihipStream_tbEUlT_E0_NS1_11comp_targetILNS1_3genE4ELNS1_11target_archE910ELNS1_3gpuE8ELNS1_3repE0EEENS1_60segmented_radix_sort_warp_sort_medium_config_static_selectorELNS0_4arch9wavefront6targetE0EEEvSK_.kd
    .uniform_work_group_size: 1
    .uses_dynamic_stack: false
    .vgpr_count:     0
    .vgpr_spill_count: 0
    .wavefront_size: 32
  - .args:
      - .offset:         0
        .size:           88
        .value_kind:     by_value
    .group_segment_fixed_size: 0
    .kernarg_segment_align: 8
    .kernarg_segment_size: 88
    .language:       OpenCL C
    .language_version:
      - 2
      - 0
    .max_flat_workgroup_size: 256
    .name:           _ZN7rocprim17ROCPRIM_400000_NS6detail17trampoline_kernelINS0_14default_configENS1_36segmented_radix_sort_config_selectorIflEEZNS1_25segmented_radix_sort_implIS3_Lb1EPKfPfPKlPlN2at6native12_GLOBAL__N_18offset_tEEE10hipError_tPvRmT1_PNSt15iterator_traitsISK_E10value_typeET2_T3_PNSL_ISQ_E10value_typeET4_jRbjT5_SW_jjP12ihipStream_tbEUlT_E0_NS1_11comp_targetILNS1_3genE3ELNS1_11target_archE908ELNS1_3gpuE7ELNS1_3repE0EEENS1_60segmented_radix_sort_warp_sort_medium_config_static_selectorELNS0_4arch9wavefront6targetE0EEEvSK_
    .private_segment_fixed_size: 0
    .sgpr_count:     0
    .sgpr_spill_count: 0
    .symbol:         _ZN7rocprim17ROCPRIM_400000_NS6detail17trampoline_kernelINS0_14default_configENS1_36segmented_radix_sort_config_selectorIflEEZNS1_25segmented_radix_sort_implIS3_Lb1EPKfPfPKlPlN2at6native12_GLOBAL__N_18offset_tEEE10hipError_tPvRmT1_PNSt15iterator_traitsISK_E10value_typeET2_T3_PNSL_ISQ_E10value_typeET4_jRbjT5_SW_jjP12ihipStream_tbEUlT_E0_NS1_11comp_targetILNS1_3genE3ELNS1_11target_archE908ELNS1_3gpuE7ELNS1_3repE0EEENS1_60segmented_radix_sort_warp_sort_medium_config_static_selectorELNS0_4arch9wavefront6targetE0EEEvSK_.kd
    .uniform_work_group_size: 1
    .uses_dynamic_stack: false
    .vgpr_count:     0
    .vgpr_spill_count: 0
    .wavefront_size: 32
  - .args:
      - .offset:         0
        .size:           88
        .value_kind:     by_value
    .group_segment_fixed_size: 0
    .kernarg_segment_align: 8
    .kernarg_segment_size: 88
    .language:       OpenCL C
    .language_version:
      - 2
      - 0
    .max_flat_workgroup_size: 256
    .name:           _ZN7rocprim17ROCPRIM_400000_NS6detail17trampoline_kernelINS0_14default_configENS1_36segmented_radix_sort_config_selectorIflEEZNS1_25segmented_radix_sort_implIS3_Lb1EPKfPfPKlPlN2at6native12_GLOBAL__N_18offset_tEEE10hipError_tPvRmT1_PNSt15iterator_traitsISK_E10value_typeET2_T3_PNSL_ISQ_E10value_typeET4_jRbjT5_SW_jjP12ihipStream_tbEUlT_E0_NS1_11comp_targetILNS1_3genE2ELNS1_11target_archE906ELNS1_3gpuE6ELNS1_3repE0EEENS1_60segmented_radix_sort_warp_sort_medium_config_static_selectorELNS0_4arch9wavefront6targetE0EEEvSK_
    .private_segment_fixed_size: 0
    .sgpr_count:     0
    .sgpr_spill_count: 0
    .symbol:         _ZN7rocprim17ROCPRIM_400000_NS6detail17trampoline_kernelINS0_14default_configENS1_36segmented_radix_sort_config_selectorIflEEZNS1_25segmented_radix_sort_implIS3_Lb1EPKfPfPKlPlN2at6native12_GLOBAL__N_18offset_tEEE10hipError_tPvRmT1_PNSt15iterator_traitsISK_E10value_typeET2_T3_PNSL_ISQ_E10value_typeET4_jRbjT5_SW_jjP12ihipStream_tbEUlT_E0_NS1_11comp_targetILNS1_3genE2ELNS1_11target_archE906ELNS1_3gpuE6ELNS1_3repE0EEENS1_60segmented_radix_sort_warp_sort_medium_config_static_selectorELNS0_4arch9wavefront6targetE0EEEvSK_.kd
    .uniform_work_group_size: 1
    .uses_dynamic_stack: false
    .vgpr_count:     0
    .vgpr_spill_count: 0
    .wavefront_size: 32
  - .args:
      - .offset:         0
        .size:           88
        .value_kind:     by_value
    .group_segment_fixed_size: 0
    .kernarg_segment_align: 8
    .kernarg_segment_size: 88
    .language:       OpenCL C
    .language_version:
      - 2
      - 0
    .max_flat_workgroup_size: 256
    .name:           _ZN7rocprim17ROCPRIM_400000_NS6detail17trampoline_kernelINS0_14default_configENS1_36segmented_radix_sort_config_selectorIflEEZNS1_25segmented_radix_sort_implIS3_Lb1EPKfPfPKlPlN2at6native12_GLOBAL__N_18offset_tEEE10hipError_tPvRmT1_PNSt15iterator_traitsISK_E10value_typeET2_T3_PNSL_ISQ_E10value_typeET4_jRbjT5_SW_jjP12ihipStream_tbEUlT_E0_NS1_11comp_targetILNS1_3genE10ELNS1_11target_archE1201ELNS1_3gpuE5ELNS1_3repE0EEENS1_60segmented_radix_sort_warp_sort_medium_config_static_selectorELNS0_4arch9wavefront6targetE0EEEvSK_
    .private_segment_fixed_size: 0
    .sgpr_count:     0
    .sgpr_spill_count: 0
    .symbol:         _ZN7rocprim17ROCPRIM_400000_NS6detail17trampoline_kernelINS0_14default_configENS1_36segmented_radix_sort_config_selectorIflEEZNS1_25segmented_radix_sort_implIS3_Lb1EPKfPfPKlPlN2at6native12_GLOBAL__N_18offset_tEEE10hipError_tPvRmT1_PNSt15iterator_traitsISK_E10value_typeET2_T3_PNSL_ISQ_E10value_typeET4_jRbjT5_SW_jjP12ihipStream_tbEUlT_E0_NS1_11comp_targetILNS1_3genE10ELNS1_11target_archE1201ELNS1_3gpuE5ELNS1_3repE0EEENS1_60segmented_radix_sort_warp_sort_medium_config_static_selectorELNS0_4arch9wavefront6targetE0EEEvSK_.kd
    .uniform_work_group_size: 1
    .uses_dynamic_stack: false
    .vgpr_count:     0
    .vgpr_spill_count: 0
    .wavefront_size: 32
  - .args:
      - .offset:         0
        .size:           88
        .value_kind:     by_value
    .group_segment_fixed_size: 0
    .kernarg_segment_align: 8
    .kernarg_segment_size: 88
    .language:       OpenCL C
    .language_version:
      - 2
      - 0
    .max_flat_workgroup_size: 256
    .name:           _ZN7rocprim17ROCPRIM_400000_NS6detail17trampoline_kernelINS0_14default_configENS1_36segmented_radix_sort_config_selectorIflEEZNS1_25segmented_radix_sort_implIS3_Lb1EPKfPfPKlPlN2at6native12_GLOBAL__N_18offset_tEEE10hipError_tPvRmT1_PNSt15iterator_traitsISK_E10value_typeET2_T3_PNSL_ISQ_E10value_typeET4_jRbjT5_SW_jjP12ihipStream_tbEUlT_E0_NS1_11comp_targetILNS1_3genE10ELNS1_11target_archE1200ELNS1_3gpuE4ELNS1_3repE0EEENS1_60segmented_radix_sort_warp_sort_medium_config_static_selectorELNS0_4arch9wavefront6targetE0EEEvSK_
    .private_segment_fixed_size: 0
    .sgpr_count:     0
    .sgpr_spill_count: 0
    .symbol:         _ZN7rocprim17ROCPRIM_400000_NS6detail17trampoline_kernelINS0_14default_configENS1_36segmented_radix_sort_config_selectorIflEEZNS1_25segmented_radix_sort_implIS3_Lb1EPKfPfPKlPlN2at6native12_GLOBAL__N_18offset_tEEE10hipError_tPvRmT1_PNSt15iterator_traitsISK_E10value_typeET2_T3_PNSL_ISQ_E10value_typeET4_jRbjT5_SW_jjP12ihipStream_tbEUlT_E0_NS1_11comp_targetILNS1_3genE10ELNS1_11target_archE1200ELNS1_3gpuE4ELNS1_3repE0EEENS1_60segmented_radix_sort_warp_sort_medium_config_static_selectorELNS0_4arch9wavefront6targetE0EEEvSK_.kd
    .uniform_work_group_size: 1
    .uses_dynamic_stack: false
    .vgpr_count:     0
    .vgpr_spill_count: 0
    .wavefront_size: 32
  - .args:
      - .offset:         0
        .size:           88
        .value_kind:     by_value
    .group_segment_fixed_size: 0
    .kernarg_segment_align: 8
    .kernarg_segment_size: 88
    .language:       OpenCL C
    .language_version:
      - 2
      - 0
    .max_flat_workgroup_size: 256
    .name:           _ZN7rocprim17ROCPRIM_400000_NS6detail17trampoline_kernelINS0_14default_configENS1_36segmented_radix_sort_config_selectorIflEEZNS1_25segmented_radix_sort_implIS3_Lb1EPKfPfPKlPlN2at6native12_GLOBAL__N_18offset_tEEE10hipError_tPvRmT1_PNSt15iterator_traitsISK_E10value_typeET2_T3_PNSL_ISQ_E10value_typeET4_jRbjT5_SW_jjP12ihipStream_tbEUlT_E0_NS1_11comp_targetILNS1_3genE9ELNS1_11target_archE1100ELNS1_3gpuE3ELNS1_3repE0EEENS1_60segmented_radix_sort_warp_sort_medium_config_static_selectorELNS0_4arch9wavefront6targetE0EEEvSK_
    .private_segment_fixed_size: 0
    .sgpr_count:     0
    .sgpr_spill_count: 0
    .symbol:         _ZN7rocprim17ROCPRIM_400000_NS6detail17trampoline_kernelINS0_14default_configENS1_36segmented_radix_sort_config_selectorIflEEZNS1_25segmented_radix_sort_implIS3_Lb1EPKfPfPKlPlN2at6native12_GLOBAL__N_18offset_tEEE10hipError_tPvRmT1_PNSt15iterator_traitsISK_E10value_typeET2_T3_PNSL_ISQ_E10value_typeET4_jRbjT5_SW_jjP12ihipStream_tbEUlT_E0_NS1_11comp_targetILNS1_3genE9ELNS1_11target_archE1100ELNS1_3gpuE3ELNS1_3repE0EEENS1_60segmented_radix_sort_warp_sort_medium_config_static_selectorELNS0_4arch9wavefront6targetE0EEEvSK_.kd
    .uniform_work_group_size: 1
    .uses_dynamic_stack: false
    .vgpr_count:     0
    .vgpr_spill_count: 0
    .wavefront_size: 32
  - .args:
      - .offset:         0
        .size:           88
        .value_kind:     by_value
    .group_segment_fixed_size: 0
    .kernarg_segment_align: 8
    .kernarg_segment_size: 88
    .language:       OpenCL C
    .language_version:
      - 2
      - 0
    .max_flat_workgroup_size: 256
    .name:           _ZN7rocprim17ROCPRIM_400000_NS6detail17trampoline_kernelINS0_14default_configENS1_36segmented_radix_sort_config_selectorIflEEZNS1_25segmented_radix_sort_implIS3_Lb1EPKfPfPKlPlN2at6native12_GLOBAL__N_18offset_tEEE10hipError_tPvRmT1_PNSt15iterator_traitsISK_E10value_typeET2_T3_PNSL_ISQ_E10value_typeET4_jRbjT5_SW_jjP12ihipStream_tbEUlT_E0_NS1_11comp_targetILNS1_3genE8ELNS1_11target_archE1030ELNS1_3gpuE2ELNS1_3repE0EEENS1_60segmented_radix_sort_warp_sort_medium_config_static_selectorELNS0_4arch9wavefront6targetE0EEEvSK_
    .private_segment_fixed_size: 0
    .sgpr_count:     0
    .sgpr_spill_count: 0
    .symbol:         _ZN7rocprim17ROCPRIM_400000_NS6detail17trampoline_kernelINS0_14default_configENS1_36segmented_radix_sort_config_selectorIflEEZNS1_25segmented_radix_sort_implIS3_Lb1EPKfPfPKlPlN2at6native12_GLOBAL__N_18offset_tEEE10hipError_tPvRmT1_PNSt15iterator_traitsISK_E10value_typeET2_T3_PNSL_ISQ_E10value_typeET4_jRbjT5_SW_jjP12ihipStream_tbEUlT_E0_NS1_11comp_targetILNS1_3genE8ELNS1_11target_archE1030ELNS1_3gpuE2ELNS1_3repE0EEENS1_60segmented_radix_sort_warp_sort_medium_config_static_selectorELNS0_4arch9wavefront6targetE0EEEvSK_.kd
    .uniform_work_group_size: 1
    .uses_dynamic_stack: false
    .vgpr_count:     0
    .vgpr_spill_count: 0
    .wavefront_size: 32
  - .args:
      - .offset:         0
        .size:           88
        .value_kind:     by_value
      - .offset:         88
        .size:           4
        .value_kind:     hidden_block_count_x
      - .offset:         92
        .size:           4
        .value_kind:     hidden_block_count_y
      - .offset:         96
        .size:           4
        .value_kind:     hidden_block_count_z
      - .offset:         100
        .size:           2
        .value_kind:     hidden_group_size_x
      - .offset:         102
        .size:           2
        .value_kind:     hidden_group_size_y
      - .offset:         104
        .size:           2
        .value_kind:     hidden_group_size_z
      - .offset:         106
        .size:           2
        .value_kind:     hidden_remainder_x
      - .offset:         108
        .size:           2
        .value_kind:     hidden_remainder_y
      - .offset:         110
        .size:           2
        .value_kind:     hidden_remainder_z
      - .offset:         128
        .size:           8
        .value_kind:     hidden_global_offset_x
      - .offset:         136
        .size:           8
        .value_kind:     hidden_global_offset_y
      - .offset:         144
        .size:           8
        .value_kind:     hidden_global_offset_z
      - .offset:         152
        .size:           2
        .value_kind:     hidden_grid_dims
      - .offset:         168
        .size:           8
        .value_kind:     hidden_hostcall_buffer
      - .offset:         176
        .size:           8
        .value_kind:     hidden_multigrid_sync_arg
      - .offset:         184
        .size:           8
        .value_kind:     hidden_heap_v1
      - .offset:         192
        .size:           8
        .value_kind:     hidden_default_queue
      - .offset:         200
        .size:           8
        .value_kind:     hidden_completion_action
      - .offset:         288
        .size:           8
        .value_kind:     hidden_queue_ptr
    .group_segment_fixed_size: 12288
    .kernarg_segment_align: 8
    .kernarg_segment_size: 344
    .language:       OpenCL C
    .language_version:
      - 2
      - 0
    .max_flat_workgroup_size: 256
    .name:           _ZN7rocprim17ROCPRIM_400000_NS6detail17trampoline_kernelINS0_14default_configENS1_36segmented_radix_sort_config_selectorIflEEZNS1_25segmented_radix_sort_implIS3_Lb1EPKfPfPKlPlN2at6native12_GLOBAL__N_18offset_tEEE10hipError_tPvRmT1_PNSt15iterator_traitsISK_E10value_typeET2_T3_PNSL_ISQ_E10value_typeET4_jRbjT5_SW_jjP12ihipStream_tbEUlT_E1_NS1_11comp_targetILNS1_3genE0ELNS1_11target_archE4294967295ELNS1_3gpuE0ELNS1_3repE0EEENS1_59segmented_radix_sort_warp_sort_small_config_static_selectorELNS0_4arch9wavefront6targetE0EEEvSK_
    .private_segment_fixed_size: 0
    .sgpr_count:     35
    .sgpr_spill_count: 0
    .symbol:         _ZN7rocprim17ROCPRIM_400000_NS6detail17trampoline_kernelINS0_14default_configENS1_36segmented_radix_sort_config_selectorIflEEZNS1_25segmented_radix_sort_implIS3_Lb1EPKfPfPKlPlN2at6native12_GLOBAL__N_18offset_tEEE10hipError_tPvRmT1_PNSt15iterator_traitsISK_E10value_typeET2_T3_PNSL_ISQ_E10value_typeET4_jRbjT5_SW_jjP12ihipStream_tbEUlT_E1_NS1_11comp_targetILNS1_3genE0ELNS1_11target_archE4294967295ELNS1_3gpuE0ELNS1_3repE0EEENS1_59segmented_radix_sort_warp_sort_small_config_static_selectorELNS0_4arch9wavefront6targetE0EEEvSK_.kd
    .uniform_work_group_size: 1
    .uses_dynamic_stack: false
    .vgpr_count:     72
    .vgpr_spill_count: 0
    .wavefront_size: 32
  - .args:
      - .offset:         0
        .size:           88
        .value_kind:     by_value
    .group_segment_fixed_size: 0
    .kernarg_segment_align: 8
    .kernarg_segment_size: 88
    .language:       OpenCL C
    .language_version:
      - 2
      - 0
    .max_flat_workgroup_size: 256
    .name:           _ZN7rocprim17ROCPRIM_400000_NS6detail17trampoline_kernelINS0_14default_configENS1_36segmented_radix_sort_config_selectorIflEEZNS1_25segmented_radix_sort_implIS3_Lb1EPKfPfPKlPlN2at6native12_GLOBAL__N_18offset_tEEE10hipError_tPvRmT1_PNSt15iterator_traitsISK_E10value_typeET2_T3_PNSL_ISQ_E10value_typeET4_jRbjT5_SW_jjP12ihipStream_tbEUlT_E1_NS1_11comp_targetILNS1_3genE5ELNS1_11target_archE942ELNS1_3gpuE9ELNS1_3repE0EEENS1_59segmented_radix_sort_warp_sort_small_config_static_selectorELNS0_4arch9wavefront6targetE0EEEvSK_
    .private_segment_fixed_size: 0
    .sgpr_count:     0
    .sgpr_spill_count: 0
    .symbol:         _ZN7rocprim17ROCPRIM_400000_NS6detail17trampoline_kernelINS0_14default_configENS1_36segmented_radix_sort_config_selectorIflEEZNS1_25segmented_radix_sort_implIS3_Lb1EPKfPfPKlPlN2at6native12_GLOBAL__N_18offset_tEEE10hipError_tPvRmT1_PNSt15iterator_traitsISK_E10value_typeET2_T3_PNSL_ISQ_E10value_typeET4_jRbjT5_SW_jjP12ihipStream_tbEUlT_E1_NS1_11comp_targetILNS1_3genE5ELNS1_11target_archE942ELNS1_3gpuE9ELNS1_3repE0EEENS1_59segmented_radix_sort_warp_sort_small_config_static_selectorELNS0_4arch9wavefront6targetE0EEEvSK_.kd
    .uniform_work_group_size: 1
    .uses_dynamic_stack: false
    .vgpr_count:     0
    .vgpr_spill_count: 0
    .wavefront_size: 32
  - .args:
      - .offset:         0
        .size:           88
        .value_kind:     by_value
    .group_segment_fixed_size: 0
    .kernarg_segment_align: 8
    .kernarg_segment_size: 88
    .language:       OpenCL C
    .language_version:
      - 2
      - 0
    .max_flat_workgroup_size: 256
    .name:           _ZN7rocprim17ROCPRIM_400000_NS6detail17trampoline_kernelINS0_14default_configENS1_36segmented_radix_sort_config_selectorIflEEZNS1_25segmented_radix_sort_implIS3_Lb1EPKfPfPKlPlN2at6native12_GLOBAL__N_18offset_tEEE10hipError_tPvRmT1_PNSt15iterator_traitsISK_E10value_typeET2_T3_PNSL_ISQ_E10value_typeET4_jRbjT5_SW_jjP12ihipStream_tbEUlT_E1_NS1_11comp_targetILNS1_3genE4ELNS1_11target_archE910ELNS1_3gpuE8ELNS1_3repE0EEENS1_59segmented_radix_sort_warp_sort_small_config_static_selectorELNS0_4arch9wavefront6targetE0EEEvSK_
    .private_segment_fixed_size: 0
    .sgpr_count:     0
    .sgpr_spill_count: 0
    .symbol:         _ZN7rocprim17ROCPRIM_400000_NS6detail17trampoline_kernelINS0_14default_configENS1_36segmented_radix_sort_config_selectorIflEEZNS1_25segmented_radix_sort_implIS3_Lb1EPKfPfPKlPlN2at6native12_GLOBAL__N_18offset_tEEE10hipError_tPvRmT1_PNSt15iterator_traitsISK_E10value_typeET2_T3_PNSL_ISQ_E10value_typeET4_jRbjT5_SW_jjP12ihipStream_tbEUlT_E1_NS1_11comp_targetILNS1_3genE4ELNS1_11target_archE910ELNS1_3gpuE8ELNS1_3repE0EEENS1_59segmented_radix_sort_warp_sort_small_config_static_selectorELNS0_4arch9wavefront6targetE0EEEvSK_.kd
    .uniform_work_group_size: 1
    .uses_dynamic_stack: false
    .vgpr_count:     0
    .vgpr_spill_count: 0
    .wavefront_size: 32
  - .args:
      - .offset:         0
        .size:           88
        .value_kind:     by_value
    .group_segment_fixed_size: 0
    .kernarg_segment_align: 8
    .kernarg_segment_size: 88
    .language:       OpenCL C
    .language_version:
      - 2
      - 0
    .max_flat_workgroup_size: 256
    .name:           _ZN7rocprim17ROCPRIM_400000_NS6detail17trampoline_kernelINS0_14default_configENS1_36segmented_radix_sort_config_selectorIflEEZNS1_25segmented_radix_sort_implIS3_Lb1EPKfPfPKlPlN2at6native12_GLOBAL__N_18offset_tEEE10hipError_tPvRmT1_PNSt15iterator_traitsISK_E10value_typeET2_T3_PNSL_ISQ_E10value_typeET4_jRbjT5_SW_jjP12ihipStream_tbEUlT_E1_NS1_11comp_targetILNS1_3genE3ELNS1_11target_archE908ELNS1_3gpuE7ELNS1_3repE0EEENS1_59segmented_radix_sort_warp_sort_small_config_static_selectorELNS0_4arch9wavefront6targetE0EEEvSK_
    .private_segment_fixed_size: 0
    .sgpr_count:     0
    .sgpr_spill_count: 0
    .symbol:         _ZN7rocprim17ROCPRIM_400000_NS6detail17trampoline_kernelINS0_14default_configENS1_36segmented_radix_sort_config_selectorIflEEZNS1_25segmented_radix_sort_implIS3_Lb1EPKfPfPKlPlN2at6native12_GLOBAL__N_18offset_tEEE10hipError_tPvRmT1_PNSt15iterator_traitsISK_E10value_typeET2_T3_PNSL_ISQ_E10value_typeET4_jRbjT5_SW_jjP12ihipStream_tbEUlT_E1_NS1_11comp_targetILNS1_3genE3ELNS1_11target_archE908ELNS1_3gpuE7ELNS1_3repE0EEENS1_59segmented_radix_sort_warp_sort_small_config_static_selectorELNS0_4arch9wavefront6targetE0EEEvSK_.kd
    .uniform_work_group_size: 1
    .uses_dynamic_stack: false
    .vgpr_count:     0
    .vgpr_spill_count: 0
    .wavefront_size: 32
  - .args:
      - .offset:         0
        .size:           88
        .value_kind:     by_value
    .group_segment_fixed_size: 0
    .kernarg_segment_align: 8
    .kernarg_segment_size: 88
    .language:       OpenCL C
    .language_version:
      - 2
      - 0
    .max_flat_workgroup_size: 256
    .name:           _ZN7rocprim17ROCPRIM_400000_NS6detail17trampoline_kernelINS0_14default_configENS1_36segmented_radix_sort_config_selectorIflEEZNS1_25segmented_radix_sort_implIS3_Lb1EPKfPfPKlPlN2at6native12_GLOBAL__N_18offset_tEEE10hipError_tPvRmT1_PNSt15iterator_traitsISK_E10value_typeET2_T3_PNSL_ISQ_E10value_typeET4_jRbjT5_SW_jjP12ihipStream_tbEUlT_E1_NS1_11comp_targetILNS1_3genE2ELNS1_11target_archE906ELNS1_3gpuE6ELNS1_3repE0EEENS1_59segmented_radix_sort_warp_sort_small_config_static_selectorELNS0_4arch9wavefront6targetE0EEEvSK_
    .private_segment_fixed_size: 0
    .sgpr_count:     0
    .sgpr_spill_count: 0
    .symbol:         _ZN7rocprim17ROCPRIM_400000_NS6detail17trampoline_kernelINS0_14default_configENS1_36segmented_radix_sort_config_selectorIflEEZNS1_25segmented_radix_sort_implIS3_Lb1EPKfPfPKlPlN2at6native12_GLOBAL__N_18offset_tEEE10hipError_tPvRmT1_PNSt15iterator_traitsISK_E10value_typeET2_T3_PNSL_ISQ_E10value_typeET4_jRbjT5_SW_jjP12ihipStream_tbEUlT_E1_NS1_11comp_targetILNS1_3genE2ELNS1_11target_archE906ELNS1_3gpuE6ELNS1_3repE0EEENS1_59segmented_radix_sort_warp_sort_small_config_static_selectorELNS0_4arch9wavefront6targetE0EEEvSK_.kd
    .uniform_work_group_size: 1
    .uses_dynamic_stack: false
    .vgpr_count:     0
    .vgpr_spill_count: 0
    .wavefront_size: 32
  - .args:
      - .offset:         0
        .size:           88
        .value_kind:     by_value
    .group_segment_fixed_size: 0
    .kernarg_segment_align: 8
    .kernarg_segment_size: 88
    .language:       OpenCL C
    .language_version:
      - 2
      - 0
    .max_flat_workgroup_size: 256
    .name:           _ZN7rocprim17ROCPRIM_400000_NS6detail17trampoline_kernelINS0_14default_configENS1_36segmented_radix_sort_config_selectorIflEEZNS1_25segmented_radix_sort_implIS3_Lb1EPKfPfPKlPlN2at6native12_GLOBAL__N_18offset_tEEE10hipError_tPvRmT1_PNSt15iterator_traitsISK_E10value_typeET2_T3_PNSL_ISQ_E10value_typeET4_jRbjT5_SW_jjP12ihipStream_tbEUlT_E1_NS1_11comp_targetILNS1_3genE10ELNS1_11target_archE1201ELNS1_3gpuE5ELNS1_3repE0EEENS1_59segmented_radix_sort_warp_sort_small_config_static_selectorELNS0_4arch9wavefront6targetE0EEEvSK_
    .private_segment_fixed_size: 0
    .sgpr_count:     0
    .sgpr_spill_count: 0
    .symbol:         _ZN7rocprim17ROCPRIM_400000_NS6detail17trampoline_kernelINS0_14default_configENS1_36segmented_radix_sort_config_selectorIflEEZNS1_25segmented_radix_sort_implIS3_Lb1EPKfPfPKlPlN2at6native12_GLOBAL__N_18offset_tEEE10hipError_tPvRmT1_PNSt15iterator_traitsISK_E10value_typeET2_T3_PNSL_ISQ_E10value_typeET4_jRbjT5_SW_jjP12ihipStream_tbEUlT_E1_NS1_11comp_targetILNS1_3genE10ELNS1_11target_archE1201ELNS1_3gpuE5ELNS1_3repE0EEENS1_59segmented_radix_sort_warp_sort_small_config_static_selectorELNS0_4arch9wavefront6targetE0EEEvSK_.kd
    .uniform_work_group_size: 1
    .uses_dynamic_stack: false
    .vgpr_count:     0
    .vgpr_spill_count: 0
    .wavefront_size: 32
  - .args:
      - .offset:         0
        .size:           88
        .value_kind:     by_value
    .group_segment_fixed_size: 0
    .kernarg_segment_align: 8
    .kernarg_segment_size: 88
    .language:       OpenCL C
    .language_version:
      - 2
      - 0
    .max_flat_workgroup_size: 256
    .name:           _ZN7rocprim17ROCPRIM_400000_NS6detail17trampoline_kernelINS0_14default_configENS1_36segmented_radix_sort_config_selectorIflEEZNS1_25segmented_radix_sort_implIS3_Lb1EPKfPfPKlPlN2at6native12_GLOBAL__N_18offset_tEEE10hipError_tPvRmT1_PNSt15iterator_traitsISK_E10value_typeET2_T3_PNSL_ISQ_E10value_typeET4_jRbjT5_SW_jjP12ihipStream_tbEUlT_E1_NS1_11comp_targetILNS1_3genE10ELNS1_11target_archE1200ELNS1_3gpuE4ELNS1_3repE0EEENS1_59segmented_radix_sort_warp_sort_small_config_static_selectorELNS0_4arch9wavefront6targetE0EEEvSK_
    .private_segment_fixed_size: 0
    .sgpr_count:     0
    .sgpr_spill_count: 0
    .symbol:         _ZN7rocprim17ROCPRIM_400000_NS6detail17trampoline_kernelINS0_14default_configENS1_36segmented_radix_sort_config_selectorIflEEZNS1_25segmented_radix_sort_implIS3_Lb1EPKfPfPKlPlN2at6native12_GLOBAL__N_18offset_tEEE10hipError_tPvRmT1_PNSt15iterator_traitsISK_E10value_typeET2_T3_PNSL_ISQ_E10value_typeET4_jRbjT5_SW_jjP12ihipStream_tbEUlT_E1_NS1_11comp_targetILNS1_3genE10ELNS1_11target_archE1200ELNS1_3gpuE4ELNS1_3repE0EEENS1_59segmented_radix_sort_warp_sort_small_config_static_selectorELNS0_4arch9wavefront6targetE0EEEvSK_.kd
    .uniform_work_group_size: 1
    .uses_dynamic_stack: false
    .vgpr_count:     0
    .vgpr_spill_count: 0
    .wavefront_size: 32
  - .args:
      - .offset:         0
        .size:           88
        .value_kind:     by_value
    .group_segment_fixed_size: 0
    .kernarg_segment_align: 8
    .kernarg_segment_size: 88
    .language:       OpenCL C
    .language_version:
      - 2
      - 0
    .max_flat_workgroup_size: 256
    .name:           _ZN7rocprim17ROCPRIM_400000_NS6detail17trampoline_kernelINS0_14default_configENS1_36segmented_radix_sort_config_selectorIflEEZNS1_25segmented_radix_sort_implIS3_Lb1EPKfPfPKlPlN2at6native12_GLOBAL__N_18offset_tEEE10hipError_tPvRmT1_PNSt15iterator_traitsISK_E10value_typeET2_T3_PNSL_ISQ_E10value_typeET4_jRbjT5_SW_jjP12ihipStream_tbEUlT_E1_NS1_11comp_targetILNS1_3genE9ELNS1_11target_archE1100ELNS1_3gpuE3ELNS1_3repE0EEENS1_59segmented_radix_sort_warp_sort_small_config_static_selectorELNS0_4arch9wavefront6targetE0EEEvSK_
    .private_segment_fixed_size: 0
    .sgpr_count:     0
    .sgpr_spill_count: 0
    .symbol:         _ZN7rocprim17ROCPRIM_400000_NS6detail17trampoline_kernelINS0_14default_configENS1_36segmented_radix_sort_config_selectorIflEEZNS1_25segmented_radix_sort_implIS3_Lb1EPKfPfPKlPlN2at6native12_GLOBAL__N_18offset_tEEE10hipError_tPvRmT1_PNSt15iterator_traitsISK_E10value_typeET2_T3_PNSL_ISQ_E10value_typeET4_jRbjT5_SW_jjP12ihipStream_tbEUlT_E1_NS1_11comp_targetILNS1_3genE9ELNS1_11target_archE1100ELNS1_3gpuE3ELNS1_3repE0EEENS1_59segmented_radix_sort_warp_sort_small_config_static_selectorELNS0_4arch9wavefront6targetE0EEEvSK_.kd
    .uniform_work_group_size: 1
    .uses_dynamic_stack: false
    .vgpr_count:     0
    .vgpr_spill_count: 0
    .wavefront_size: 32
  - .args:
      - .offset:         0
        .size:           88
        .value_kind:     by_value
    .group_segment_fixed_size: 0
    .kernarg_segment_align: 8
    .kernarg_segment_size: 88
    .language:       OpenCL C
    .language_version:
      - 2
      - 0
    .max_flat_workgroup_size: 256
    .name:           _ZN7rocprim17ROCPRIM_400000_NS6detail17trampoline_kernelINS0_14default_configENS1_36segmented_radix_sort_config_selectorIflEEZNS1_25segmented_radix_sort_implIS3_Lb1EPKfPfPKlPlN2at6native12_GLOBAL__N_18offset_tEEE10hipError_tPvRmT1_PNSt15iterator_traitsISK_E10value_typeET2_T3_PNSL_ISQ_E10value_typeET4_jRbjT5_SW_jjP12ihipStream_tbEUlT_E1_NS1_11comp_targetILNS1_3genE8ELNS1_11target_archE1030ELNS1_3gpuE2ELNS1_3repE0EEENS1_59segmented_radix_sort_warp_sort_small_config_static_selectorELNS0_4arch9wavefront6targetE0EEEvSK_
    .private_segment_fixed_size: 0
    .sgpr_count:     0
    .sgpr_spill_count: 0
    .symbol:         _ZN7rocprim17ROCPRIM_400000_NS6detail17trampoline_kernelINS0_14default_configENS1_36segmented_radix_sort_config_selectorIflEEZNS1_25segmented_radix_sort_implIS3_Lb1EPKfPfPKlPlN2at6native12_GLOBAL__N_18offset_tEEE10hipError_tPvRmT1_PNSt15iterator_traitsISK_E10value_typeET2_T3_PNSL_ISQ_E10value_typeET4_jRbjT5_SW_jjP12ihipStream_tbEUlT_E1_NS1_11comp_targetILNS1_3genE8ELNS1_11target_archE1030ELNS1_3gpuE2ELNS1_3repE0EEENS1_59segmented_radix_sort_warp_sort_small_config_static_selectorELNS0_4arch9wavefront6targetE0EEEvSK_.kd
    .uniform_work_group_size: 1
    .uses_dynamic_stack: false
    .vgpr_count:     0
    .vgpr_spill_count: 0
    .wavefront_size: 32
  - .args:
      - .offset:         0
        .size:           80
        .value_kind:     by_value
      - .offset:         80
        .size:           4
        .value_kind:     hidden_block_count_x
      - .offset:         84
        .size:           4
        .value_kind:     hidden_block_count_y
      - .offset:         88
        .size:           4
        .value_kind:     hidden_block_count_z
      - .offset:         92
        .size:           2
        .value_kind:     hidden_group_size_x
      - .offset:         94
        .size:           2
        .value_kind:     hidden_group_size_y
      - .offset:         96
        .size:           2
        .value_kind:     hidden_group_size_z
      - .offset:         98
        .size:           2
        .value_kind:     hidden_remainder_x
      - .offset:         100
        .size:           2
        .value_kind:     hidden_remainder_y
      - .offset:         102
        .size:           2
        .value_kind:     hidden_remainder_z
      - .offset:         120
        .size:           8
        .value_kind:     hidden_global_offset_x
      - .offset:         128
        .size:           8
        .value_kind:     hidden_global_offset_y
      - .offset:         136
        .size:           8
        .value_kind:     hidden_global_offset_z
      - .offset:         144
        .size:           2
        .value_kind:     hidden_grid_dims
      - .offset:         160
        .size:           8
        .value_kind:     hidden_hostcall_buffer
      - .offset:         168
        .size:           8
        .value_kind:     hidden_multigrid_sync_arg
      - .offset:         176
        .size:           8
        .value_kind:     hidden_heap_v1
      - .offset:         184
        .size:           8
        .value_kind:     hidden_default_queue
      - .offset:         192
        .size:           8
        .value_kind:     hidden_completion_action
      - .offset:         280
        .size:           8
        .value_kind:     hidden_queue_ptr
    .group_segment_fixed_size: 35344
    .kernarg_segment_align: 8
    .kernarg_segment_size: 336
    .language:       OpenCL C
    .language_version:
      - 2
      - 0
    .max_flat_workgroup_size: 256
    .name:           _ZN7rocprim17ROCPRIM_400000_NS6detail17trampoline_kernelINS0_14default_configENS1_36segmented_radix_sort_config_selectorIflEEZNS1_25segmented_radix_sort_implIS3_Lb1EPKfPfPKlPlN2at6native12_GLOBAL__N_18offset_tEEE10hipError_tPvRmT1_PNSt15iterator_traitsISK_E10value_typeET2_T3_PNSL_ISQ_E10value_typeET4_jRbjT5_SW_jjP12ihipStream_tbEUlT_E2_NS1_11comp_targetILNS1_3genE0ELNS1_11target_archE4294967295ELNS1_3gpuE0ELNS1_3repE0EEENS1_30default_config_static_selectorELNS0_4arch9wavefront6targetE0EEEvSK_
    .private_segment_fixed_size: 0
    .sgpr_count:     64
    .sgpr_spill_count: 0
    .symbol:         _ZN7rocprim17ROCPRIM_400000_NS6detail17trampoline_kernelINS0_14default_configENS1_36segmented_radix_sort_config_selectorIflEEZNS1_25segmented_radix_sort_implIS3_Lb1EPKfPfPKlPlN2at6native12_GLOBAL__N_18offset_tEEE10hipError_tPvRmT1_PNSt15iterator_traitsISK_E10value_typeET2_T3_PNSL_ISQ_E10value_typeET4_jRbjT5_SW_jjP12ihipStream_tbEUlT_E2_NS1_11comp_targetILNS1_3genE0ELNS1_11target_archE4294967295ELNS1_3gpuE0ELNS1_3repE0EEENS1_30default_config_static_selectorELNS0_4arch9wavefront6targetE0EEEvSK_.kd
    .uniform_work_group_size: 1
    .uses_dynamic_stack: false
    .vgpr_count:     320
    .vgpr_spill_count: 0
    .wavefront_size: 32
  - .args:
      - .offset:         0
        .size:           80
        .value_kind:     by_value
    .group_segment_fixed_size: 0
    .kernarg_segment_align: 8
    .kernarg_segment_size: 80
    .language:       OpenCL C
    .language_version:
      - 2
      - 0
    .max_flat_workgroup_size: 256
    .name:           _ZN7rocprim17ROCPRIM_400000_NS6detail17trampoline_kernelINS0_14default_configENS1_36segmented_radix_sort_config_selectorIflEEZNS1_25segmented_radix_sort_implIS3_Lb1EPKfPfPKlPlN2at6native12_GLOBAL__N_18offset_tEEE10hipError_tPvRmT1_PNSt15iterator_traitsISK_E10value_typeET2_T3_PNSL_ISQ_E10value_typeET4_jRbjT5_SW_jjP12ihipStream_tbEUlT_E2_NS1_11comp_targetILNS1_3genE5ELNS1_11target_archE942ELNS1_3gpuE9ELNS1_3repE0EEENS1_30default_config_static_selectorELNS0_4arch9wavefront6targetE0EEEvSK_
    .private_segment_fixed_size: 0
    .sgpr_count:     0
    .sgpr_spill_count: 0
    .symbol:         _ZN7rocprim17ROCPRIM_400000_NS6detail17trampoline_kernelINS0_14default_configENS1_36segmented_radix_sort_config_selectorIflEEZNS1_25segmented_radix_sort_implIS3_Lb1EPKfPfPKlPlN2at6native12_GLOBAL__N_18offset_tEEE10hipError_tPvRmT1_PNSt15iterator_traitsISK_E10value_typeET2_T3_PNSL_ISQ_E10value_typeET4_jRbjT5_SW_jjP12ihipStream_tbEUlT_E2_NS1_11comp_targetILNS1_3genE5ELNS1_11target_archE942ELNS1_3gpuE9ELNS1_3repE0EEENS1_30default_config_static_selectorELNS0_4arch9wavefront6targetE0EEEvSK_.kd
    .uniform_work_group_size: 1
    .uses_dynamic_stack: false
    .vgpr_count:     0
    .vgpr_spill_count: 0
    .wavefront_size: 32
  - .args:
      - .offset:         0
        .size:           80
        .value_kind:     by_value
    .group_segment_fixed_size: 0
    .kernarg_segment_align: 8
    .kernarg_segment_size: 80
    .language:       OpenCL C
    .language_version:
      - 2
      - 0
    .max_flat_workgroup_size: 256
    .name:           _ZN7rocprim17ROCPRIM_400000_NS6detail17trampoline_kernelINS0_14default_configENS1_36segmented_radix_sort_config_selectorIflEEZNS1_25segmented_radix_sort_implIS3_Lb1EPKfPfPKlPlN2at6native12_GLOBAL__N_18offset_tEEE10hipError_tPvRmT1_PNSt15iterator_traitsISK_E10value_typeET2_T3_PNSL_ISQ_E10value_typeET4_jRbjT5_SW_jjP12ihipStream_tbEUlT_E2_NS1_11comp_targetILNS1_3genE4ELNS1_11target_archE910ELNS1_3gpuE8ELNS1_3repE0EEENS1_30default_config_static_selectorELNS0_4arch9wavefront6targetE0EEEvSK_
    .private_segment_fixed_size: 0
    .sgpr_count:     0
    .sgpr_spill_count: 0
    .symbol:         _ZN7rocprim17ROCPRIM_400000_NS6detail17trampoline_kernelINS0_14default_configENS1_36segmented_radix_sort_config_selectorIflEEZNS1_25segmented_radix_sort_implIS3_Lb1EPKfPfPKlPlN2at6native12_GLOBAL__N_18offset_tEEE10hipError_tPvRmT1_PNSt15iterator_traitsISK_E10value_typeET2_T3_PNSL_ISQ_E10value_typeET4_jRbjT5_SW_jjP12ihipStream_tbEUlT_E2_NS1_11comp_targetILNS1_3genE4ELNS1_11target_archE910ELNS1_3gpuE8ELNS1_3repE0EEENS1_30default_config_static_selectorELNS0_4arch9wavefront6targetE0EEEvSK_.kd
    .uniform_work_group_size: 1
    .uses_dynamic_stack: false
    .vgpr_count:     0
    .vgpr_spill_count: 0
    .wavefront_size: 32
  - .args:
      - .offset:         0
        .size:           80
        .value_kind:     by_value
    .group_segment_fixed_size: 0
    .kernarg_segment_align: 8
    .kernarg_segment_size: 80
    .language:       OpenCL C
    .language_version:
      - 2
      - 0
    .max_flat_workgroup_size: 256
    .name:           _ZN7rocprim17ROCPRIM_400000_NS6detail17trampoline_kernelINS0_14default_configENS1_36segmented_radix_sort_config_selectorIflEEZNS1_25segmented_radix_sort_implIS3_Lb1EPKfPfPKlPlN2at6native12_GLOBAL__N_18offset_tEEE10hipError_tPvRmT1_PNSt15iterator_traitsISK_E10value_typeET2_T3_PNSL_ISQ_E10value_typeET4_jRbjT5_SW_jjP12ihipStream_tbEUlT_E2_NS1_11comp_targetILNS1_3genE3ELNS1_11target_archE908ELNS1_3gpuE7ELNS1_3repE0EEENS1_30default_config_static_selectorELNS0_4arch9wavefront6targetE0EEEvSK_
    .private_segment_fixed_size: 0
    .sgpr_count:     0
    .sgpr_spill_count: 0
    .symbol:         _ZN7rocprim17ROCPRIM_400000_NS6detail17trampoline_kernelINS0_14default_configENS1_36segmented_radix_sort_config_selectorIflEEZNS1_25segmented_radix_sort_implIS3_Lb1EPKfPfPKlPlN2at6native12_GLOBAL__N_18offset_tEEE10hipError_tPvRmT1_PNSt15iterator_traitsISK_E10value_typeET2_T3_PNSL_ISQ_E10value_typeET4_jRbjT5_SW_jjP12ihipStream_tbEUlT_E2_NS1_11comp_targetILNS1_3genE3ELNS1_11target_archE908ELNS1_3gpuE7ELNS1_3repE0EEENS1_30default_config_static_selectorELNS0_4arch9wavefront6targetE0EEEvSK_.kd
    .uniform_work_group_size: 1
    .uses_dynamic_stack: false
    .vgpr_count:     0
    .vgpr_spill_count: 0
    .wavefront_size: 32
  - .args:
      - .offset:         0
        .size:           80
        .value_kind:     by_value
    .group_segment_fixed_size: 0
    .kernarg_segment_align: 8
    .kernarg_segment_size: 80
    .language:       OpenCL C
    .language_version:
      - 2
      - 0
    .max_flat_workgroup_size: 256
    .name:           _ZN7rocprim17ROCPRIM_400000_NS6detail17trampoline_kernelINS0_14default_configENS1_36segmented_radix_sort_config_selectorIflEEZNS1_25segmented_radix_sort_implIS3_Lb1EPKfPfPKlPlN2at6native12_GLOBAL__N_18offset_tEEE10hipError_tPvRmT1_PNSt15iterator_traitsISK_E10value_typeET2_T3_PNSL_ISQ_E10value_typeET4_jRbjT5_SW_jjP12ihipStream_tbEUlT_E2_NS1_11comp_targetILNS1_3genE2ELNS1_11target_archE906ELNS1_3gpuE6ELNS1_3repE0EEENS1_30default_config_static_selectorELNS0_4arch9wavefront6targetE0EEEvSK_
    .private_segment_fixed_size: 0
    .sgpr_count:     0
    .sgpr_spill_count: 0
    .symbol:         _ZN7rocprim17ROCPRIM_400000_NS6detail17trampoline_kernelINS0_14default_configENS1_36segmented_radix_sort_config_selectorIflEEZNS1_25segmented_radix_sort_implIS3_Lb1EPKfPfPKlPlN2at6native12_GLOBAL__N_18offset_tEEE10hipError_tPvRmT1_PNSt15iterator_traitsISK_E10value_typeET2_T3_PNSL_ISQ_E10value_typeET4_jRbjT5_SW_jjP12ihipStream_tbEUlT_E2_NS1_11comp_targetILNS1_3genE2ELNS1_11target_archE906ELNS1_3gpuE6ELNS1_3repE0EEENS1_30default_config_static_selectorELNS0_4arch9wavefront6targetE0EEEvSK_.kd
    .uniform_work_group_size: 1
    .uses_dynamic_stack: false
    .vgpr_count:     0
    .vgpr_spill_count: 0
    .wavefront_size: 32
  - .args:
      - .offset:         0
        .size:           80
        .value_kind:     by_value
    .group_segment_fixed_size: 0
    .kernarg_segment_align: 8
    .kernarg_segment_size: 80
    .language:       OpenCL C
    .language_version:
      - 2
      - 0
    .max_flat_workgroup_size: 256
    .name:           _ZN7rocprim17ROCPRIM_400000_NS6detail17trampoline_kernelINS0_14default_configENS1_36segmented_radix_sort_config_selectorIflEEZNS1_25segmented_radix_sort_implIS3_Lb1EPKfPfPKlPlN2at6native12_GLOBAL__N_18offset_tEEE10hipError_tPvRmT1_PNSt15iterator_traitsISK_E10value_typeET2_T3_PNSL_ISQ_E10value_typeET4_jRbjT5_SW_jjP12ihipStream_tbEUlT_E2_NS1_11comp_targetILNS1_3genE10ELNS1_11target_archE1201ELNS1_3gpuE5ELNS1_3repE0EEENS1_30default_config_static_selectorELNS0_4arch9wavefront6targetE0EEEvSK_
    .private_segment_fixed_size: 0
    .sgpr_count:     0
    .sgpr_spill_count: 0
    .symbol:         _ZN7rocprim17ROCPRIM_400000_NS6detail17trampoline_kernelINS0_14default_configENS1_36segmented_radix_sort_config_selectorIflEEZNS1_25segmented_radix_sort_implIS3_Lb1EPKfPfPKlPlN2at6native12_GLOBAL__N_18offset_tEEE10hipError_tPvRmT1_PNSt15iterator_traitsISK_E10value_typeET2_T3_PNSL_ISQ_E10value_typeET4_jRbjT5_SW_jjP12ihipStream_tbEUlT_E2_NS1_11comp_targetILNS1_3genE10ELNS1_11target_archE1201ELNS1_3gpuE5ELNS1_3repE0EEENS1_30default_config_static_selectorELNS0_4arch9wavefront6targetE0EEEvSK_.kd
    .uniform_work_group_size: 1
    .uses_dynamic_stack: false
    .vgpr_count:     0
    .vgpr_spill_count: 0
    .wavefront_size: 32
  - .args:
      - .offset:         0
        .size:           80
        .value_kind:     by_value
    .group_segment_fixed_size: 0
    .kernarg_segment_align: 8
    .kernarg_segment_size: 80
    .language:       OpenCL C
    .language_version:
      - 2
      - 0
    .max_flat_workgroup_size: 128
    .name:           _ZN7rocprim17ROCPRIM_400000_NS6detail17trampoline_kernelINS0_14default_configENS1_36segmented_radix_sort_config_selectorIflEEZNS1_25segmented_radix_sort_implIS3_Lb1EPKfPfPKlPlN2at6native12_GLOBAL__N_18offset_tEEE10hipError_tPvRmT1_PNSt15iterator_traitsISK_E10value_typeET2_T3_PNSL_ISQ_E10value_typeET4_jRbjT5_SW_jjP12ihipStream_tbEUlT_E2_NS1_11comp_targetILNS1_3genE10ELNS1_11target_archE1200ELNS1_3gpuE4ELNS1_3repE0EEENS1_30default_config_static_selectorELNS0_4arch9wavefront6targetE0EEEvSK_
    .private_segment_fixed_size: 0
    .sgpr_count:     0
    .sgpr_spill_count: 0
    .symbol:         _ZN7rocprim17ROCPRIM_400000_NS6detail17trampoline_kernelINS0_14default_configENS1_36segmented_radix_sort_config_selectorIflEEZNS1_25segmented_radix_sort_implIS3_Lb1EPKfPfPKlPlN2at6native12_GLOBAL__N_18offset_tEEE10hipError_tPvRmT1_PNSt15iterator_traitsISK_E10value_typeET2_T3_PNSL_ISQ_E10value_typeET4_jRbjT5_SW_jjP12ihipStream_tbEUlT_E2_NS1_11comp_targetILNS1_3genE10ELNS1_11target_archE1200ELNS1_3gpuE4ELNS1_3repE0EEENS1_30default_config_static_selectorELNS0_4arch9wavefront6targetE0EEEvSK_.kd
    .uniform_work_group_size: 1
    .uses_dynamic_stack: false
    .vgpr_count:     0
    .vgpr_spill_count: 0
    .wavefront_size: 32
  - .args:
      - .offset:         0
        .size:           80
        .value_kind:     by_value
    .group_segment_fixed_size: 0
    .kernarg_segment_align: 8
    .kernarg_segment_size: 80
    .language:       OpenCL C
    .language_version:
      - 2
      - 0
    .max_flat_workgroup_size: 256
    .name:           _ZN7rocprim17ROCPRIM_400000_NS6detail17trampoline_kernelINS0_14default_configENS1_36segmented_radix_sort_config_selectorIflEEZNS1_25segmented_radix_sort_implIS3_Lb1EPKfPfPKlPlN2at6native12_GLOBAL__N_18offset_tEEE10hipError_tPvRmT1_PNSt15iterator_traitsISK_E10value_typeET2_T3_PNSL_ISQ_E10value_typeET4_jRbjT5_SW_jjP12ihipStream_tbEUlT_E2_NS1_11comp_targetILNS1_3genE9ELNS1_11target_archE1100ELNS1_3gpuE3ELNS1_3repE0EEENS1_30default_config_static_selectorELNS0_4arch9wavefront6targetE0EEEvSK_
    .private_segment_fixed_size: 0
    .sgpr_count:     0
    .sgpr_spill_count: 0
    .symbol:         _ZN7rocprim17ROCPRIM_400000_NS6detail17trampoline_kernelINS0_14default_configENS1_36segmented_radix_sort_config_selectorIflEEZNS1_25segmented_radix_sort_implIS3_Lb1EPKfPfPKlPlN2at6native12_GLOBAL__N_18offset_tEEE10hipError_tPvRmT1_PNSt15iterator_traitsISK_E10value_typeET2_T3_PNSL_ISQ_E10value_typeET4_jRbjT5_SW_jjP12ihipStream_tbEUlT_E2_NS1_11comp_targetILNS1_3genE9ELNS1_11target_archE1100ELNS1_3gpuE3ELNS1_3repE0EEENS1_30default_config_static_selectorELNS0_4arch9wavefront6targetE0EEEvSK_.kd
    .uniform_work_group_size: 1
    .uses_dynamic_stack: false
    .vgpr_count:     0
    .vgpr_spill_count: 0
    .wavefront_size: 32
  - .args:
      - .offset:         0
        .size:           80
        .value_kind:     by_value
    .group_segment_fixed_size: 0
    .kernarg_segment_align: 8
    .kernarg_segment_size: 80
    .language:       OpenCL C
    .language_version:
      - 2
      - 0
    .max_flat_workgroup_size: 256
    .name:           _ZN7rocprim17ROCPRIM_400000_NS6detail17trampoline_kernelINS0_14default_configENS1_36segmented_radix_sort_config_selectorIflEEZNS1_25segmented_radix_sort_implIS3_Lb1EPKfPfPKlPlN2at6native12_GLOBAL__N_18offset_tEEE10hipError_tPvRmT1_PNSt15iterator_traitsISK_E10value_typeET2_T3_PNSL_ISQ_E10value_typeET4_jRbjT5_SW_jjP12ihipStream_tbEUlT_E2_NS1_11comp_targetILNS1_3genE8ELNS1_11target_archE1030ELNS1_3gpuE2ELNS1_3repE0EEENS1_30default_config_static_selectorELNS0_4arch9wavefront6targetE0EEEvSK_
    .private_segment_fixed_size: 0
    .sgpr_count:     0
    .sgpr_spill_count: 0
    .symbol:         _ZN7rocprim17ROCPRIM_400000_NS6detail17trampoline_kernelINS0_14default_configENS1_36segmented_radix_sort_config_selectorIflEEZNS1_25segmented_radix_sort_implIS3_Lb1EPKfPfPKlPlN2at6native12_GLOBAL__N_18offset_tEEE10hipError_tPvRmT1_PNSt15iterator_traitsISK_E10value_typeET2_T3_PNSL_ISQ_E10value_typeET4_jRbjT5_SW_jjP12ihipStream_tbEUlT_E2_NS1_11comp_targetILNS1_3genE8ELNS1_11target_archE1030ELNS1_3gpuE2ELNS1_3repE0EEENS1_30default_config_static_selectorELNS0_4arch9wavefront6targetE0EEEvSK_.kd
    .uniform_work_group_size: 1
    .uses_dynamic_stack: false
    .vgpr_count:     0
    .vgpr_spill_count: 0
    .wavefront_size: 32
  - .args:
      - .offset:         0
        .size:           176
        .value_kind:     by_value
    .group_segment_fixed_size: 13328
    .kernarg_segment_align: 8
    .kernarg_segment_size: 176
    .language:       OpenCL C
    .language_version:
      - 2
      - 0
    .max_flat_workgroup_size: 256
    .name:           _ZN7rocprim17ROCPRIM_400000_NS6detail17trampoline_kernelINS0_13select_configILj256ELj13ELNS0_17block_load_methodE3ELS4_3ELS4_3ELNS0_20block_scan_algorithmE0ELj4294967295EEENS1_25partition_config_selectorILNS1_17partition_subalgoE4EjNS0_10empty_typeEbEEZZNS1_14partition_implILS8_4ELb0ES6_15HIP_vector_typeIjLj2EENS0_17counting_iteratorIjlEEPS9_SG_NS0_5tupleIJPjSI_NS0_16reverse_iteratorISI_EEEEENSH_IJSG_SG_SG_EEES9_SI_JZNS1_25segmented_radix_sort_implINS0_14default_configELb0EPKfPfPKlPlN2at6native12_GLOBAL__N_18offset_tEEE10hipError_tPvRmT1_PNSt15iterator_traitsIS12_E10value_typeET2_T3_PNS13_IS18_E10value_typeET4_jRbjT5_S1E_jjP12ihipStream_tbEUljE_ZNSN_ISO_Lb0ESQ_SR_ST_SU_SY_EESZ_S10_S11_S12_S16_S17_S18_S1B_S1C_jS1D_jS1E_S1E_jjS1G_bEUljE0_EEESZ_S10_S11_S18_S1C_S1E_T6_T7_T9_mT8_S1G_bDpT10_ENKUlT_T0_E_clISt17integral_constantIbLb0EES1U_EEDaS1P_S1Q_EUlS1P_E_NS1_11comp_targetILNS1_3genE0ELNS1_11target_archE4294967295ELNS1_3gpuE0ELNS1_3repE0EEENS1_30default_config_static_selectorELNS0_4arch9wavefront6targetE0EEEvS12_
    .private_segment_fixed_size: 0
    .sgpr_count:     61
    .sgpr_spill_count: 0
    .symbol:         _ZN7rocprim17ROCPRIM_400000_NS6detail17trampoline_kernelINS0_13select_configILj256ELj13ELNS0_17block_load_methodE3ELS4_3ELS4_3ELNS0_20block_scan_algorithmE0ELj4294967295EEENS1_25partition_config_selectorILNS1_17partition_subalgoE4EjNS0_10empty_typeEbEEZZNS1_14partition_implILS8_4ELb0ES6_15HIP_vector_typeIjLj2EENS0_17counting_iteratorIjlEEPS9_SG_NS0_5tupleIJPjSI_NS0_16reverse_iteratorISI_EEEEENSH_IJSG_SG_SG_EEES9_SI_JZNS1_25segmented_radix_sort_implINS0_14default_configELb0EPKfPfPKlPlN2at6native12_GLOBAL__N_18offset_tEEE10hipError_tPvRmT1_PNSt15iterator_traitsIS12_E10value_typeET2_T3_PNS13_IS18_E10value_typeET4_jRbjT5_S1E_jjP12ihipStream_tbEUljE_ZNSN_ISO_Lb0ESQ_SR_ST_SU_SY_EESZ_S10_S11_S12_S16_S17_S18_S1B_S1C_jS1D_jS1E_S1E_jjS1G_bEUljE0_EEESZ_S10_S11_S18_S1C_S1E_T6_T7_T9_mT8_S1G_bDpT10_ENKUlT_T0_E_clISt17integral_constantIbLb0EES1U_EEDaS1P_S1Q_EUlS1P_E_NS1_11comp_targetILNS1_3genE0ELNS1_11target_archE4294967295ELNS1_3gpuE0ELNS1_3repE0EEENS1_30default_config_static_selectorELNS0_4arch9wavefront6targetE0EEEvS12_.kd
    .uniform_work_group_size: 1
    .uses_dynamic_stack: false
    .vgpr_count:     81
    .vgpr_spill_count: 0
    .wavefront_size: 32
  - .args:
      - .offset:         0
        .size:           176
        .value_kind:     by_value
    .group_segment_fixed_size: 0
    .kernarg_segment_align: 8
    .kernarg_segment_size: 176
    .language:       OpenCL C
    .language_version:
      - 2
      - 0
    .max_flat_workgroup_size: 256
    .name:           _ZN7rocprim17ROCPRIM_400000_NS6detail17trampoline_kernelINS0_13select_configILj256ELj13ELNS0_17block_load_methodE3ELS4_3ELS4_3ELNS0_20block_scan_algorithmE0ELj4294967295EEENS1_25partition_config_selectorILNS1_17partition_subalgoE4EjNS0_10empty_typeEbEEZZNS1_14partition_implILS8_4ELb0ES6_15HIP_vector_typeIjLj2EENS0_17counting_iteratorIjlEEPS9_SG_NS0_5tupleIJPjSI_NS0_16reverse_iteratorISI_EEEEENSH_IJSG_SG_SG_EEES9_SI_JZNS1_25segmented_radix_sort_implINS0_14default_configELb0EPKfPfPKlPlN2at6native12_GLOBAL__N_18offset_tEEE10hipError_tPvRmT1_PNSt15iterator_traitsIS12_E10value_typeET2_T3_PNS13_IS18_E10value_typeET4_jRbjT5_S1E_jjP12ihipStream_tbEUljE_ZNSN_ISO_Lb0ESQ_SR_ST_SU_SY_EESZ_S10_S11_S12_S16_S17_S18_S1B_S1C_jS1D_jS1E_S1E_jjS1G_bEUljE0_EEESZ_S10_S11_S18_S1C_S1E_T6_T7_T9_mT8_S1G_bDpT10_ENKUlT_T0_E_clISt17integral_constantIbLb0EES1U_EEDaS1P_S1Q_EUlS1P_E_NS1_11comp_targetILNS1_3genE5ELNS1_11target_archE942ELNS1_3gpuE9ELNS1_3repE0EEENS1_30default_config_static_selectorELNS0_4arch9wavefront6targetE0EEEvS12_
    .private_segment_fixed_size: 0
    .sgpr_count:     0
    .sgpr_spill_count: 0
    .symbol:         _ZN7rocprim17ROCPRIM_400000_NS6detail17trampoline_kernelINS0_13select_configILj256ELj13ELNS0_17block_load_methodE3ELS4_3ELS4_3ELNS0_20block_scan_algorithmE0ELj4294967295EEENS1_25partition_config_selectorILNS1_17partition_subalgoE4EjNS0_10empty_typeEbEEZZNS1_14partition_implILS8_4ELb0ES6_15HIP_vector_typeIjLj2EENS0_17counting_iteratorIjlEEPS9_SG_NS0_5tupleIJPjSI_NS0_16reverse_iteratorISI_EEEEENSH_IJSG_SG_SG_EEES9_SI_JZNS1_25segmented_radix_sort_implINS0_14default_configELb0EPKfPfPKlPlN2at6native12_GLOBAL__N_18offset_tEEE10hipError_tPvRmT1_PNSt15iterator_traitsIS12_E10value_typeET2_T3_PNS13_IS18_E10value_typeET4_jRbjT5_S1E_jjP12ihipStream_tbEUljE_ZNSN_ISO_Lb0ESQ_SR_ST_SU_SY_EESZ_S10_S11_S12_S16_S17_S18_S1B_S1C_jS1D_jS1E_S1E_jjS1G_bEUljE0_EEESZ_S10_S11_S18_S1C_S1E_T6_T7_T9_mT8_S1G_bDpT10_ENKUlT_T0_E_clISt17integral_constantIbLb0EES1U_EEDaS1P_S1Q_EUlS1P_E_NS1_11comp_targetILNS1_3genE5ELNS1_11target_archE942ELNS1_3gpuE9ELNS1_3repE0EEENS1_30default_config_static_selectorELNS0_4arch9wavefront6targetE0EEEvS12_.kd
    .uniform_work_group_size: 1
    .uses_dynamic_stack: false
    .vgpr_count:     0
    .vgpr_spill_count: 0
    .wavefront_size: 32
  - .args:
      - .offset:         0
        .size:           176
        .value_kind:     by_value
    .group_segment_fixed_size: 0
    .kernarg_segment_align: 8
    .kernarg_segment_size: 176
    .language:       OpenCL C
    .language_version:
      - 2
      - 0
    .max_flat_workgroup_size: 256
    .name:           _ZN7rocprim17ROCPRIM_400000_NS6detail17trampoline_kernelINS0_13select_configILj256ELj13ELNS0_17block_load_methodE3ELS4_3ELS4_3ELNS0_20block_scan_algorithmE0ELj4294967295EEENS1_25partition_config_selectorILNS1_17partition_subalgoE4EjNS0_10empty_typeEbEEZZNS1_14partition_implILS8_4ELb0ES6_15HIP_vector_typeIjLj2EENS0_17counting_iteratorIjlEEPS9_SG_NS0_5tupleIJPjSI_NS0_16reverse_iteratorISI_EEEEENSH_IJSG_SG_SG_EEES9_SI_JZNS1_25segmented_radix_sort_implINS0_14default_configELb0EPKfPfPKlPlN2at6native12_GLOBAL__N_18offset_tEEE10hipError_tPvRmT1_PNSt15iterator_traitsIS12_E10value_typeET2_T3_PNS13_IS18_E10value_typeET4_jRbjT5_S1E_jjP12ihipStream_tbEUljE_ZNSN_ISO_Lb0ESQ_SR_ST_SU_SY_EESZ_S10_S11_S12_S16_S17_S18_S1B_S1C_jS1D_jS1E_S1E_jjS1G_bEUljE0_EEESZ_S10_S11_S18_S1C_S1E_T6_T7_T9_mT8_S1G_bDpT10_ENKUlT_T0_E_clISt17integral_constantIbLb0EES1U_EEDaS1P_S1Q_EUlS1P_E_NS1_11comp_targetILNS1_3genE4ELNS1_11target_archE910ELNS1_3gpuE8ELNS1_3repE0EEENS1_30default_config_static_selectorELNS0_4arch9wavefront6targetE0EEEvS12_
    .private_segment_fixed_size: 0
    .sgpr_count:     0
    .sgpr_spill_count: 0
    .symbol:         _ZN7rocprim17ROCPRIM_400000_NS6detail17trampoline_kernelINS0_13select_configILj256ELj13ELNS0_17block_load_methodE3ELS4_3ELS4_3ELNS0_20block_scan_algorithmE0ELj4294967295EEENS1_25partition_config_selectorILNS1_17partition_subalgoE4EjNS0_10empty_typeEbEEZZNS1_14partition_implILS8_4ELb0ES6_15HIP_vector_typeIjLj2EENS0_17counting_iteratorIjlEEPS9_SG_NS0_5tupleIJPjSI_NS0_16reverse_iteratorISI_EEEEENSH_IJSG_SG_SG_EEES9_SI_JZNS1_25segmented_radix_sort_implINS0_14default_configELb0EPKfPfPKlPlN2at6native12_GLOBAL__N_18offset_tEEE10hipError_tPvRmT1_PNSt15iterator_traitsIS12_E10value_typeET2_T3_PNS13_IS18_E10value_typeET4_jRbjT5_S1E_jjP12ihipStream_tbEUljE_ZNSN_ISO_Lb0ESQ_SR_ST_SU_SY_EESZ_S10_S11_S12_S16_S17_S18_S1B_S1C_jS1D_jS1E_S1E_jjS1G_bEUljE0_EEESZ_S10_S11_S18_S1C_S1E_T6_T7_T9_mT8_S1G_bDpT10_ENKUlT_T0_E_clISt17integral_constantIbLb0EES1U_EEDaS1P_S1Q_EUlS1P_E_NS1_11comp_targetILNS1_3genE4ELNS1_11target_archE910ELNS1_3gpuE8ELNS1_3repE0EEENS1_30default_config_static_selectorELNS0_4arch9wavefront6targetE0EEEvS12_.kd
    .uniform_work_group_size: 1
    .uses_dynamic_stack: false
    .vgpr_count:     0
    .vgpr_spill_count: 0
    .wavefront_size: 32
  - .args:
      - .offset:         0
        .size:           176
        .value_kind:     by_value
    .group_segment_fixed_size: 0
    .kernarg_segment_align: 8
    .kernarg_segment_size: 176
    .language:       OpenCL C
    .language_version:
      - 2
      - 0
    .max_flat_workgroup_size: 256
    .name:           _ZN7rocprim17ROCPRIM_400000_NS6detail17trampoline_kernelINS0_13select_configILj256ELj13ELNS0_17block_load_methodE3ELS4_3ELS4_3ELNS0_20block_scan_algorithmE0ELj4294967295EEENS1_25partition_config_selectorILNS1_17partition_subalgoE4EjNS0_10empty_typeEbEEZZNS1_14partition_implILS8_4ELb0ES6_15HIP_vector_typeIjLj2EENS0_17counting_iteratorIjlEEPS9_SG_NS0_5tupleIJPjSI_NS0_16reverse_iteratorISI_EEEEENSH_IJSG_SG_SG_EEES9_SI_JZNS1_25segmented_radix_sort_implINS0_14default_configELb0EPKfPfPKlPlN2at6native12_GLOBAL__N_18offset_tEEE10hipError_tPvRmT1_PNSt15iterator_traitsIS12_E10value_typeET2_T3_PNS13_IS18_E10value_typeET4_jRbjT5_S1E_jjP12ihipStream_tbEUljE_ZNSN_ISO_Lb0ESQ_SR_ST_SU_SY_EESZ_S10_S11_S12_S16_S17_S18_S1B_S1C_jS1D_jS1E_S1E_jjS1G_bEUljE0_EEESZ_S10_S11_S18_S1C_S1E_T6_T7_T9_mT8_S1G_bDpT10_ENKUlT_T0_E_clISt17integral_constantIbLb0EES1U_EEDaS1P_S1Q_EUlS1P_E_NS1_11comp_targetILNS1_3genE3ELNS1_11target_archE908ELNS1_3gpuE7ELNS1_3repE0EEENS1_30default_config_static_selectorELNS0_4arch9wavefront6targetE0EEEvS12_
    .private_segment_fixed_size: 0
    .sgpr_count:     0
    .sgpr_spill_count: 0
    .symbol:         _ZN7rocprim17ROCPRIM_400000_NS6detail17trampoline_kernelINS0_13select_configILj256ELj13ELNS0_17block_load_methodE3ELS4_3ELS4_3ELNS0_20block_scan_algorithmE0ELj4294967295EEENS1_25partition_config_selectorILNS1_17partition_subalgoE4EjNS0_10empty_typeEbEEZZNS1_14partition_implILS8_4ELb0ES6_15HIP_vector_typeIjLj2EENS0_17counting_iteratorIjlEEPS9_SG_NS0_5tupleIJPjSI_NS0_16reverse_iteratorISI_EEEEENSH_IJSG_SG_SG_EEES9_SI_JZNS1_25segmented_radix_sort_implINS0_14default_configELb0EPKfPfPKlPlN2at6native12_GLOBAL__N_18offset_tEEE10hipError_tPvRmT1_PNSt15iterator_traitsIS12_E10value_typeET2_T3_PNS13_IS18_E10value_typeET4_jRbjT5_S1E_jjP12ihipStream_tbEUljE_ZNSN_ISO_Lb0ESQ_SR_ST_SU_SY_EESZ_S10_S11_S12_S16_S17_S18_S1B_S1C_jS1D_jS1E_S1E_jjS1G_bEUljE0_EEESZ_S10_S11_S18_S1C_S1E_T6_T7_T9_mT8_S1G_bDpT10_ENKUlT_T0_E_clISt17integral_constantIbLb0EES1U_EEDaS1P_S1Q_EUlS1P_E_NS1_11comp_targetILNS1_3genE3ELNS1_11target_archE908ELNS1_3gpuE7ELNS1_3repE0EEENS1_30default_config_static_selectorELNS0_4arch9wavefront6targetE0EEEvS12_.kd
    .uniform_work_group_size: 1
    .uses_dynamic_stack: false
    .vgpr_count:     0
    .vgpr_spill_count: 0
    .wavefront_size: 32
  - .args:
      - .offset:         0
        .size:           176
        .value_kind:     by_value
    .group_segment_fixed_size: 0
    .kernarg_segment_align: 8
    .kernarg_segment_size: 176
    .language:       OpenCL C
    .language_version:
      - 2
      - 0
    .max_flat_workgroup_size: 256
    .name:           _ZN7rocprim17ROCPRIM_400000_NS6detail17trampoline_kernelINS0_13select_configILj256ELj13ELNS0_17block_load_methodE3ELS4_3ELS4_3ELNS0_20block_scan_algorithmE0ELj4294967295EEENS1_25partition_config_selectorILNS1_17partition_subalgoE4EjNS0_10empty_typeEbEEZZNS1_14partition_implILS8_4ELb0ES6_15HIP_vector_typeIjLj2EENS0_17counting_iteratorIjlEEPS9_SG_NS0_5tupleIJPjSI_NS0_16reverse_iteratorISI_EEEEENSH_IJSG_SG_SG_EEES9_SI_JZNS1_25segmented_radix_sort_implINS0_14default_configELb0EPKfPfPKlPlN2at6native12_GLOBAL__N_18offset_tEEE10hipError_tPvRmT1_PNSt15iterator_traitsIS12_E10value_typeET2_T3_PNS13_IS18_E10value_typeET4_jRbjT5_S1E_jjP12ihipStream_tbEUljE_ZNSN_ISO_Lb0ESQ_SR_ST_SU_SY_EESZ_S10_S11_S12_S16_S17_S18_S1B_S1C_jS1D_jS1E_S1E_jjS1G_bEUljE0_EEESZ_S10_S11_S18_S1C_S1E_T6_T7_T9_mT8_S1G_bDpT10_ENKUlT_T0_E_clISt17integral_constantIbLb0EES1U_EEDaS1P_S1Q_EUlS1P_E_NS1_11comp_targetILNS1_3genE2ELNS1_11target_archE906ELNS1_3gpuE6ELNS1_3repE0EEENS1_30default_config_static_selectorELNS0_4arch9wavefront6targetE0EEEvS12_
    .private_segment_fixed_size: 0
    .sgpr_count:     0
    .sgpr_spill_count: 0
    .symbol:         _ZN7rocprim17ROCPRIM_400000_NS6detail17trampoline_kernelINS0_13select_configILj256ELj13ELNS0_17block_load_methodE3ELS4_3ELS4_3ELNS0_20block_scan_algorithmE0ELj4294967295EEENS1_25partition_config_selectorILNS1_17partition_subalgoE4EjNS0_10empty_typeEbEEZZNS1_14partition_implILS8_4ELb0ES6_15HIP_vector_typeIjLj2EENS0_17counting_iteratorIjlEEPS9_SG_NS0_5tupleIJPjSI_NS0_16reverse_iteratorISI_EEEEENSH_IJSG_SG_SG_EEES9_SI_JZNS1_25segmented_radix_sort_implINS0_14default_configELb0EPKfPfPKlPlN2at6native12_GLOBAL__N_18offset_tEEE10hipError_tPvRmT1_PNSt15iterator_traitsIS12_E10value_typeET2_T3_PNS13_IS18_E10value_typeET4_jRbjT5_S1E_jjP12ihipStream_tbEUljE_ZNSN_ISO_Lb0ESQ_SR_ST_SU_SY_EESZ_S10_S11_S12_S16_S17_S18_S1B_S1C_jS1D_jS1E_S1E_jjS1G_bEUljE0_EEESZ_S10_S11_S18_S1C_S1E_T6_T7_T9_mT8_S1G_bDpT10_ENKUlT_T0_E_clISt17integral_constantIbLb0EES1U_EEDaS1P_S1Q_EUlS1P_E_NS1_11comp_targetILNS1_3genE2ELNS1_11target_archE906ELNS1_3gpuE6ELNS1_3repE0EEENS1_30default_config_static_selectorELNS0_4arch9wavefront6targetE0EEEvS12_.kd
    .uniform_work_group_size: 1
    .uses_dynamic_stack: false
    .vgpr_count:     0
    .vgpr_spill_count: 0
    .wavefront_size: 32
  - .args:
      - .offset:         0
        .size:           176
        .value_kind:     by_value
    .group_segment_fixed_size: 0
    .kernarg_segment_align: 8
    .kernarg_segment_size: 176
    .language:       OpenCL C
    .language_version:
      - 2
      - 0
    .max_flat_workgroup_size: 256
    .name:           _ZN7rocprim17ROCPRIM_400000_NS6detail17trampoline_kernelINS0_13select_configILj256ELj13ELNS0_17block_load_methodE3ELS4_3ELS4_3ELNS0_20block_scan_algorithmE0ELj4294967295EEENS1_25partition_config_selectorILNS1_17partition_subalgoE4EjNS0_10empty_typeEbEEZZNS1_14partition_implILS8_4ELb0ES6_15HIP_vector_typeIjLj2EENS0_17counting_iteratorIjlEEPS9_SG_NS0_5tupleIJPjSI_NS0_16reverse_iteratorISI_EEEEENSH_IJSG_SG_SG_EEES9_SI_JZNS1_25segmented_radix_sort_implINS0_14default_configELb0EPKfPfPKlPlN2at6native12_GLOBAL__N_18offset_tEEE10hipError_tPvRmT1_PNSt15iterator_traitsIS12_E10value_typeET2_T3_PNS13_IS18_E10value_typeET4_jRbjT5_S1E_jjP12ihipStream_tbEUljE_ZNSN_ISO_Lb0ESQ_SR_ST_SU_SY_EESZ_S10_S11_S12_S16_S17_S18_S1B_S1C_jS1D_jS1E_S1E_jjS1G_bEUljE0_EEESZ_S10_S11_S18_S1C_S1E_T6_T7_T9_mT8_S1G_bDpT10_ENKUlT_T0_E_clISt17integral_constantIbLb0EES1U_EEDaS1P_S1Q_EUlS1P_E_NS1_11comp_targetILNS1_3genE10ELNS1_11target_archE1200ELNS1_3gpuE4ELNS1_3repE0EEENS1_30default_config_static_selectorELNS0_4arch9wavefront6targetE0EEEvS12_
    .private_segment_fixed_size: 0
    .sgpr_count:     0
    .sgpr_spill_count: 0
    .symbol:         _ZN7rocprim17ROCPRIM_400000_NS6detail17trampoline_kernelINS0_13select_configILj256ELj13ELNS0_17block_load_methodE3ELS4_3ELS4_3ELNS0_20block_scan_algorithmE0ELj4294967295EEENS1_25partition_config_selectorILNS1_17partition_subalgoE4EjNS0_10empty_typeEbEEZZNS1_14partition_implILS8_4ELb0ES6_15HIP_vector_typeIjLj2EENS0_17counting_iteratorIjlEEPS9_SG_NS0_5tupleIJPjSI_NS0_16reverse_iteratorISI_EEEEENSH_IJSG_SG_SG_EEES9_SI_JZNS1_25segmented_radix_sort_implINS0_14default_configELb0EPKfPfPKlPlN2at6native12_GLOBAL__N_18offset_tEEE10hipError_tPvRmT1_PNSt15iterator_traitsIS12_E10value_typeET2_T3_PNS13_IS18_E10value_typeET4_jRbjT5_S1E_jjP12ihipStream_tbEUljE_ZNSN_ISO_Lb0ESQ_SR_ST_SU_SY_EESZ_S10_S11_S12_S16_S17_S18_S1B_S1C_jS1D_jS1E_S1E_jjS1G_bEUljE0_EEESZ_S10_S11_S18_S1C_S1E_T6_T7_T9_mT8_S1G_bDpT10_ENKUlT_T0_E_clISt17integral_constantIbLb0EES1U_EEDaS1P_S1Q_EUlS1P_E_NS1_11comp_targetILNS1_3genE10ELNS1_11target_archE1200ELNS1_3gpuE4ELNS1_3repE0EEENS1_30default_config_static_selectorELNS0_4arch9wavefront6targetE0EEEvS12_.kd
    .uniform_work_group_size: 1
    .uses_dynamic_stack: false
    .vgpr_count:     0
    .vgpr_spill_count: 0
    .wavefront_size: 32
  - .args:
      - .offset:         0
        .size:           176
        .value_kind:     by_value
    .group_segment_fixed_size: 0
    .kernarg_segment_align: 8
    .kernarg_segment_size: 176
    .language:       OpenCL C
    .language_version:
      - 2
      - 0
    .max_flat_workgroup_size: 256
    .name:           _ZN7rocprim17ROCPRIM_400000_NS6detail17trampoline_kernelINS0_13select_configILj256ELj13ELNS0_17block_load_methodE3ELS4_3ELS4_3ELNS0_20block_scan_algorithmE0ELj4294967295EEENS1_25partition_config_selectorILNS1_17partition_subalgoE4EjNS0_10empty_typeEbEEZZNS1_14partition_implILS8_4ELb0ES6_15HIP_vector_typeIjLj2EENS0_17counting_iteratorIjlEEPS9_SG_NS0_5tupleIJPjSI_NS0_16reverse_iteratorISI_EEEEENSH_IJSG_SG_SG_EEES9_SI_JZNS1_25segmented_radix_sort_implINS0_14default_configELb0EPKfPfPKlPlN2at6native12_GLOBAL__N_18offset_tEEE10hipError_tPvRmT1_PNSt15iterator_traitsIS12_E10value_typeET2_T3_PNS13_IS18_E10value_typeET4_jRbjT5_S1E_jjP12ihipStream_tbEUljE_ZNSN_ISO_Lb0ESQ_SR_ST_SU_SY_EESZ_S10_S11_S12_S16_S17_S18_S1B_S1C_jS1D_jS1E_S1E_jjS1G_bEUljE0_EEESZ_S10_S11_S18_S1C_S1E_T6_T7_T9_mT8_S1G_bDpT10_ENKUlT_T0_E_clISt17integral_constantIbLb0EES1U_EEDaS1P_S1Q_EUlS1P_E_NS1_11comp_targetILNS1_3genE9ELNS1_11target_archE1100ELNS1_3gpuE3ELNS1_3repE0EEENS1_30default_config_static_selectorELNS0_4arch9wavefront6targetE0EEEvS12_
    .private_segment_fixed_size: 0
    .sgpr_count:     0
    .sgpr_spill_count: 0
    .symbol:         _ZN7rocprim17ROCPRIM_400000_NS6detail17trampoline_kernelINS0_13select_configILj256ELj13ELNS0_17block_load_methodE3ELS4_3ELS4_3ELNS0_20block_scan_algorithmE0ELj4294967295EEENS1_25partition_config_selectorILNS1_17partition_subalgoE4EjNS0_10empty_typeEbEEZZNS1_14partition_implILS8_4ELb0ES6_15HIP_vector_typeIjLj2EENS0_17counting_iteratorIjlEEPS9_SG_NS0_5tupleIJPjSI_NS0_16reverse_iteratorISI_EEEEENSH_IJSG_SG_SG_EEES9_SI_JZNS1_25segmented_radix_sort_implINS0_14default_configELb0EPKfPfPKlPlN2at6native12_GLOBAL__N_18offset_tEEE10hipError_tPvRmT1_PNSt15iterator_traitsIS12_E10value_typeET2_T3_PNS13_IS18_E10value_typeET4_jRbjT5_S1E_jjP12ihipStream_tbEUljE_ZNSN_ISO_Lb0ESQ_SR_ST_SU_SY_EESZ_S10_S11_S12_S16_S17_S18_S1B_S1C_jS1D_jS1E_S1E_jjS1G_bEUljE0_EEESZ_S10_S11_S18_S1C_S1E_T6_T7_T9_mT8_S1G_bDpT10_ENKUlT_T0_E_clISt17integral_constantIbLb0EES1U_EEDaS1P_S1Q_EUlS1P_E_NS1_11comp_targetILNS1_3genE9ELNS1_11target_archE1100ELNS1_3gpuE3ELNS1_3repE0EEENS1_30default_config_static_selectorELNS0_4arch9wavefront6targetE0EEEvS12_.kd
    .uniform_work_group_size: 1
    .uses_dynamic_stack: false
    .vgpr_count:     0
    .vgpr_spill_count: 0
    .wavefront_size: 32
  - .args:
      - .offset:         0
        .size:           176
        .value_kind:     by_value
    .group_segment_fixed_size: 0
    .kernarg_segment_align: 8
    .kernarg_segment_size: 176
    .language:       OpenCL C
    .language_version:
      - 2
      - 0
    .max_flat_workgroup_size: 256
    .name:           _ZN7rocprim17ROCPRIM_400000_NS6detail17trampoline_kernelINS0_13select_configILj256ELj13ELNS0_17block_load_methodE3ELS4_3ELS4_3ELNS0_20block_scan_algorithmE0ELj4294967295EEENS1_25partition_config_selectorILNS1_17partition_subalgoE4EjNS0_10empty_typeEbEEZZNS1_14partition_implILS8_4ELb0ES6_15HIP_vector_typeIjLj2EENS0_17counting_iteratorIjlEEPS9_SG_NS0_5tupleIJPjSI_NS0_16reverse_iteratorISI_EEEEENSH_IJSG_SG_SG_EEES9_SI_JZNS1_25segmented_radix_sort_implINS0_14default_configELb0EPKfPfPKlPlN2at6native12_GLOBAL__N_18offset_tEEE10hipError_tPvRmT1_PNSt15iterator_traitsIS12_E10value_typeET2_T3_PNS13_IS18_E10value_typeET4_jRbjT5_S1E_jjP12ihipStream_tbEUljE_ZNSN_ISO_Lb0ESQ_SR_ST_SU_SY_EESZ_S10_S11_S12_S16_S17_S18_S1B_S1C_jS1D_jS1E_S1E_jjS1G_bEUljE0_EEESZ_S10_S11_S18_S1C_S1E_T6_T7_T9_mT8_S1G_bDpT10_ENKUlT_T0_E_clISt17integral_constantIbLb0EES1U_EEDaS1P_S1Q_EUlS1P_E_NS1_11comp_targetILNS1_3genE8ELNS1_11target_archE1030ELNS1_3gpuE2ELNS1_3repE0EEENS1_30default_config_static_selectorELNS0_4arch9wavefront6targetE0EEEvS12_
    .private_segment_fixed_size: 0
    .sgpr_count:     0
    .sgpr_spill_count: 0
    .symbol:         _ZN7rocprim17ROCPRIM_400000_NS6detail17trampoline_kernelINS0_13select_configILj256ELj13ELNS0_17block_load_methodE3ELS4_3ELS4_3ELNS0_20block_scan_algorithmE0ELj4294967295EEENS1_25partition_config_selectorILNS1_17partition_subalgoE4EjNS0_10empty_typeEbEEZZNS1_14partition_implILS8_4ELb0ES6_15HIP_vector_typeIjLj2EENS0_17counting_iteratorIjlEEPS9_SG_NS0_5tupleIJPjSI_NS0_16reverse_iteratorISI_EEEEENSH_IJSG_SG_SG_EEES9_SI_JZNS1_25segmented_radix_sort_implINS0_14default_configELb0EPKfPfPKlPlN2at6native12_GLOBAL__N_18offset_tEEE10hipError_tPvRmT1_PNSt15iterator_traitsIS12_E10value_typeET2_T3_PNS13_IS18_E10value_typeET4_jRbjT5_S1E_jjP12ihipStream_tbEUljE_ZNSN_ISO_Lb0ESQ_SR_ST_SU_SY_EESZ_S10_S11_S12_S16_S17_S18_S1B_S1C_jS1D_jS1E_S1E_jjS1G_bEUljE0_EEESZ_S10_S11_S18_S1C_S1E_T6_T7_T9_mT8_S1G_bDpT10_ENKUlT_T0_E_clISt17integral_constantIbLb0EES1U_EEDaS1P_S1Q_EUlS1P_E_NS1_11comp_targetILNS1_3genE8ELNS1_11target_archE1030ELNS1_3gpuE2ELNS1_3repE0EEENS1_30default_config_static_selectorELNS0_4arch9wavefront6targetE0EEEvS12_.kd
    .uniform_work_group_size: 1
    .uses_dynamic_stack: false
    .vgpr_count:     0
    .vgpr_spill_count: 0
    .wavefront_size: 32
  - .args:
      - .offset:         0
        .size:           184
        .value_kind:     by_value
    .group_segment_fixed_size: 0
    .kernarg_segment_align: 8
    .kernarg_segment_size: 184
    .language:       OpenCL C
    .language_version:
      - 2
      - 0
    .max_flat_workgroup_size: 256
    .name:           _ZN7rocprim17ROCPRIM_400000_NS6detail17trampoline_kernelINS0_13select_configILj256ELj13ELNS0_17block_load_methodE3ELS4_3ELS4_3ELNS0_20block_scan_algorithmE0ELj4294967295EEENS1_25partition_config_selectorILNS1_17partition_subalgoE4EjNS0_10empty_typeEbEEZZNS1_14partition_implILS8_4ELb0ES6_15HIP_vector_typeIjLj2EENS0_17counting_iteratorIjlEEPS9_SG_NS0_5tupleIJPjSI_NS0_16reverse_iteratorISI_EEEEENSH_IJSG_SG_SG_EEES9_SI_JZNS1_25segmented_radix_sort_implINS0_14default_configELb0EPKfPfPKlPlN2at6native12_GLOBAL__N_18offset_tEEE10hipError_tPvRmT1_PNSt15iterator_traitsIS12_E10value_typeET2_T3_PNS13_IS18_E10value_typeET4_jRbjT5_S1E_jjP12ihipStream_tbEUljE_ZNSN_ISO_Lb0ESQ_SR_ST_SU_SY_EESZ_S10_S11_S12_S16_S17_S18_S1B_S1C_jS1D_jS1E_S1E_jjS1G_bEUljE0_EEESZ_S10_S11_S18_S1C_S1E_T6_T7_T9_mT8_S1G_bDpT10_ENKUlT_T0_E_clISt17integral_constantIbLb1EES1U_EEDaS1P_S1Q_EUlS1P_E_NS1_11comp_targetILNS1_3genE0ELNS1_11target_archE4294967295ELNS1_3gpuE0ELNS1_3repE0EEENS1_30default_config_static_selectorELNS0_4arch9wavefront6targetE0EEEvS12_
    .private_segment_fixed_size: 0
    .sgpr_count:     0
    .sgpr_spill_count: 0
    .symbol:         _ZN7rocprim17ROCPRIM_400000_NS6detail17trampoline_kernelINS0_13select_configILj256ELj13ELNS0_17block_load_methodE3ELS4_3ELS4_3ELNS0_20block_scan_algorithmE0ELj4294967295EEENS1_25partition_config_selectorILNS1_17partition_subalgoE4EjNS0_10empty_typeEbEEZZNS1_14partition_implILS8_4ELb0ES6_15HIP_vector_typeIjLj2EENS0_17counting_iteratorIjlEEPS9_SG_NS0_5tupleIJPjSI_NS0_16reverse_iteratorISI_EEEEENSH_IJSG_SG_SG_EEES9_SI_JZNS1_25segmented_radix_sort_implINS0_14default_configELb0EPKfPfPKlPlN2at6native12_GLOBAL__N_18offset_tEEE10hipError_tPvRmT1_PNSt15iterator_traitsIS12_E10value_typeET2_T3_PNS13_IS18_E10value_typeET4_jRbjT5_S1E_jjP12ihipStream_tbEUljE_ZNSN_ISO_Lb0ESQ_SR_ST_SU_SY_EESZ_S10_S11_S12_S16_S17_S18_S1B_S1C_jS1D_jS1E_S1E_jjS1G_bEUljE0_EEESZ_S10_S11_S18_S1C_S1E_T6_T7_T9_mT8_S1G_bDpT10_ENKUlT_T0_E_clISt17integral_constantIbLb1EES1U_EEDaS1P_S1Q_EUlS1P_E_NS1_11comp_targetILNS1_3genE0ELNS1_11target_archE4294967295ELNS1_3gpuE0ELNS1_3repE0EEENS1_30default_config_static_selectorELNS0_4arch9wavefront6targetE0EEEvS12_.kd
    .uniform_work_group_size: 1
    .uses_dynamic_stack: false
    .vgpr_count:     0
    .vgpr_spill_count: 0
    .wavefront_size: 32
  - .args:
      - .offset:         0
        .size:           184
        .value_kind:     by_value
    .group_segment_fixed_size: 0
    .kernarg_segment_align: 8
    .kernarg_segment_size: 184
    .language:       OpenCL C
    .language_version:
      - 2
      - 0
    .max_flat_workgroup_size: 256
    .name:           _ZN7rocprim17ROCPRIM_400000_NS6detail17trampoline_kernelINS0_13select_configILj256ELj13ELNS0_17block_load_methodE3ELS4_3ELS4_3ELNS0_20block_scan_algorithmE0ELj4294967295EEENS1_25partition_config_selectorILNS1_17partition_subalgoE4EjNS0_10empty_typeEbEEZZNS1_14partition_implILS8_4ELb0ES6_15HIP_vector_typeIjLj2EENS0_17counting_iteratorIjlEEPS9_SG_NS0_5tupleIJPjSI_NS0_16reverse_iteratorISI_EEEEENSH_IJSG_SG_SG_EEES9_SI_JZNS1_25segmented_radix_sort_implINS0_14default_configELb0EPKfPfPKlPlN2at6native12_GLOBAL__N_18offset_tEEE10hipError_tPvRmT1_PNSt15iterator_traitsIS12_E10value_typeET2_T3_PNS13_IS18_E10value_typeET4_jRbjT5_S1E_jjP12ihipStream_tbEUljE_ZNSN_ISO_Lb0ESQ_SR_ST_SU_SY_EESZ_S10_S11_S12_S16_S17_S18_S1B_S1C_jS1D_jS1E_S1E_jjS1G_bEUljE0_EEESZ_S10_S11_S18_S1C_S1E_T6_T7_T9_mT8_S1G_bDpT10_ENKUlT_T0_E_clISt17integral_constantIbLb1EES1U_EEDaS1P_S1Q_EUlS1P_E_NS1_11comp_targetILNS1_3genE5ELNS1_11target_archE942ELNS1_3gpuE9ELNS1_3repE0EEENS1_30default_config_static_selectorELNS0_4arch9wavefront6targetE0EEEvS12_
    .private_segment_fixed_size: 0
    .sgpr_count:     0
    .sgpr_spill_count: 0
    .symbol:         _ZN7rocprim17ROCPRIM_400000_NS6detail17trampoline_kernelINS0_13select_configILj256ELj13ELNS0_17block_load_methodE3ELS4_3ELS4_3ELNS0_20block_scan_algorithmE0ELj4294967295EEENS1_25partition_config_selectorILNS1_17partition_subalgoE4EjNS0_10empty_typeEbEEZZNS1_14partition_implILS8_4ELb0ES6_15HIP_vector_typeIjLj2EENS0_17counting_iteratorIjlEEPS9_SG_NS0_5tupleIJPjSI_NS0_16reverse_iteratorISI_EEEEENSH_IJSG_SG_SG_EEES9_SI_JZNS1_25segmented_radix_sort_implINS0_14default_configELb0EPKfPfPKlPlN2at6native12_GLOBAL__N_18offset_tEEE10hipError_tPvRmT1_PNSt15iterator_traitsIS12_E10value_typeET2_T3_PNS13_IS18_E10value_typeET4_jRbjT5_S1E_jjP12ihipStream_tbEUljE_ZNSN_ISO_Lb0ESQ_SR_ST_SU_SY_EESZ_S10_S11_S12_S16_S17_S18_S1B_S1C_jS1D_jS1E_S1E_jjS1G_bEUljE0_EEESZ_S10_S11_S18_S1C_S1E_T6_T7_T9_mT8_S1G_bDpT10_ENKUlT_T0_E_clISt17integral_constantIbLb1EES1U_EEDaS1P_S1Q_EUlS1P_E_NS1_11comp_targetILNS1_3genE5ELNS1_11target_archE942ELNS1_3gpuE9ELNS1_3repE0EEENS1_30default_config_static_selectorELNS0_4arch9wavefront6targetE0EEEvS12_.kd
    .uniform_work_group_size: 1
    .uses_dynamic_stack: false
    .vgpr_count:     0
    .vgpr_spill_count: 0
    .wavefront_size: 32
  - .args:
      - .offset:         0
        .size:           184
        .value_kind:     by_value
    .group_segment_fixed_size: 0
    .kernarg_segment_align: 8
    .kernarg_segment_size: 184
    .language:       OpenCL C
    .language_version:
      - 2
      - 0
    .max_flat_workgroup_size: 256
    .name:           _ZN7rocprim17ROCPRIM_400000_NS6detail17trampoline_kernelINS0_13select_configILj256ELj13ELNS0_17block_load_methodE3ELS4_3ELS4_3ELNS0_20block_scan_algorithmE0ELj4294967295EEENS1_25partition_config_selectorILNS1_17partition_subalgoE4EjNS0_10empty_typeEbEEZZNS1_14partition_implILS8_4ELb0ES6_15HIP_vector_typeIjLj2EENS0_17counting_iteratorIjlEEPS9_SG_NS0_5tupleIJPjSI_NS0_16reverse_iteratorISI_EEEEENSH_IJSG_SG_SG_EEES9_SI_JZNS1_25segmented_radix_sort_implINS0_14default_configELb0EPKfPfPKlPlN2at6native12_GLOBAL__N_18offset_tEEE10hipError_tPvRmT1_PNSt15iterator_traitsIS12_E10value_typeET2_T3_PNS13_IS18_E10value_typeET4_jRbjT5_S1E_jjP12ihipStream_tbEUljE_ZNSN_ISO_Lb0ESQ_SR_ST_SU_SY_EESZ_S10_S11_S12_S16_S17_S18_S1B_S1C_jS1D_jS1E_S1E_jjS1G_bEUljE0_EEESZ_S10_S11_S18_S1C_S1E_T6_T7_T9_mT8_S1G_bDpT10_ENKUlT_T0_E_clISt17integral_constantIbLb1EES1U_EEDaS1P_S1Q_EUlS1P_E_NS1_11comp_targetILNS1_3genE4ELNS1_11target_archE910ELNS1_3gpuE8ELNS1_3repE0EEENS1_30default_config_static_selectorELNS0_4arch9wavefront6targetE0EEEvS12_
    .private_segment_fixed_size: 0
    .sgpr_count:     0
    .sgpr_spill_count: 0
    .symbol:         _ZN7rocprim17ROCPRIM_400000_NS6detail17trampoline_kernelINS0_13select_configILj256ELj13ELNS0_17block_load_methodE3ELS4_3ELS4_3ELNS0_20block_scan_algorithmE0ELj4294967295EEENS1_25partition_config_selectorILNS1_17partition_subalgoE4EjNS0_10empty_typeEbEEZZNS1_14partition_implILS8_4ELb0ES6_15HIP_vector_typeIjLj2EENS0_17counting_iteratorIjlEEPS9_SG_NS0_5tupleIJPjSI_NS0_16reverse_iteratorISI_EEEEENSH_IJSG_SG_SG_EEES9_SI_JZNS1_25segmented_radix_sort_implINS0_14default_configELb0EPKfPfPKlPlN2at6native12_GLOBAL__N_18offset_tEEE10hipError_tPvRmT1_PNSt15iterator_traitsIS12_E10value_typeET2_T3_PNS13_IS18_E10value_typeET4_jRbjT5_S1E_jjP12ihipStream_tbEUljE_ZNSN_ISO_Lb0ESQ_SR_ST_SU_SY_EESZ_S10_S11_S12_S16_S17_S18_S1B_S1C_jS1D_jS1E_S1E_jjS1G_bEUljE0_EEESZ_S10_S11_S18_S1C_S1E_T6_T7_T9_mT8_S1G_bDpT10_ENKUlT_T0_E_clISt17integral_constantIbLb1EES1U_EEDaS1P_S1Q_EUlS1P_E_NS1_11comp_targetILNS1_3genE4ELNS1_11target_archE910ELNS1_3gpuE8ELNS1_3repE0EEENS1_30default_config_static_selectorELNS0_4arch9wavefront6targetE0EEEvS12_.kd
    .uniform_work_group_size: 1
    .uses_dynamic_stack: false
    .vgpr_count:     0
    .vgpr_spill_count: 0
    .wavefront_size: 32
  - .args:
      - .offset:         0
        .size:           184
        .value_kind:     by_value
    .group_segment_fixed_size: 0
    .kernarg_segment_align: 8
    .kernarg_segment_size: 184
    .language:       OpenCL C
    .language_version:
      - 2
      - 0
    .max_flat_workgroup_size: 256
    .name:           _ZN7rocprim17ROCPRIM_400000_NS6detail17trampoline_kernelINS0_13select_configILj256ELj13ELNS0_17block_load_methodE3ELS4_3ELS4_3ELNS0_20block_scan_algorithmE0ELj4294967295EEENS1_25partition_config_selectorILNS1_17partition_subalgoE4EjNS0_10empty_typeEbEEZZNS1_14partition_implILS8_4ELb0ES6_15HIP_vector_typeIjLj2EENS0_17counting_iteratorIjlEEPS9_SG_NS0_5tupleIJPjSI_NS0_16reverse_iteratorISI_EEEEENSH_IJSG_SG_SG_EEES9_SI_JZNS1_25segmented_radix_sort_implINS0_14default_configELb0EPKfPfPKlPlN2at6native12_GLOBAL__N_18offset_tEEE10hipError_tPvRmT1_PNSt15iterator_traitsIS12_E10value_typeET2_T3_PNS13_IS18_E10value_typeET4_jRbjT5_S1E_jjP12ihipStream_tbEUljE_ZNSN_ISO_Lb0ESQ_SR_ST_SU_SY_EESZ_S10_S11_S12_S16_S17_S18_S1B_S1C_jS1D_jS1E_S1E_jjS1G_bEUljE0_EEESZ_S10_S11_S18_S1C_S1E_T6_T7_T9_mT8_S1G_bDpT10_ENKUlT_T0_E_clISt17integral_constantIbLb1EES1U_EEDaS1P_S1Q_EUlS1P_E_NS1_11comp_targetILNS1_3genE3ELNS1_11target_archE908ELNS1_3gpuE7ELNS1_3repE0EEENS1_30default_config_static_selectorELNS0_4arch9wavefront6targetE0EEEvS12_
    .private_segment_fixed_size: 0
    .sgpr_count:     0
    .sgpr_spill_count: 0
    .symbol:         _ZN7rocprim17ROCPRIM_400000_NS6detail17trampoline_kernelINS0_13select_configILj256ELj13ELNS0_17block_load_methodE3ELS4_3ELS4_3ELNS0_20block_scan_algorithmE0ELj4294967295EEENS1_25partition_config_selectorILNS1_17partition_subalgoE4EjNS0_10empty_typeEbEEZZNS1_14partition_implILS8_4ELb0ES6_15HIP_vector_typeIjLj2EENS0_17counting_iteratorIjlEEPS9_SG_NS0_5tupleIJPjSI_NS0_16reverse_iteratorISI_EEEEENSH_IJSG_SG_SG_EEES9_SI_JZNS1_25segmented_radix_sort_implINS0_14default_configELb0EPKfPfPKlPlN2at6native12_GLOBAL__N_18offset_tEEE10hipError_tPvRmT1_PNSt15iterator_traitsIS12_E10value_typeET2_T3_PNS13_IS18_E10value_typeET4_jRbjT5_S1E_jjP12ihipStream_tbEUljE_ZNSN_ISO_Lb0ESQ_SR_ST_SU_SY_EESZ_S10_S11_S12_S16_S17_S18_S1B_S1C_jS1D_jS1E_S1E_jjS1G_bEUljE0_EEESZ_S10_S11_S18_S1C_S1E_T6_T7_T9_mT8_S1G_bDpT10_ENKUlT_T0_E_clISt17integral_constantIbLb1EES1U_EEDaS1P_S1Q_EUlS1P_E_NS1_11comp_targetILNS1_3genE3ELNS1_11target_archE908ELNS1_3gpuE7ELNS1_3repE0EEENS1_30default_config_static_selectorELNS0_4arch9wavefront6targetE0EEEvS12_.kd
    .uniform_work_group_size: 1
    .uses_dynamic_stack: false
    .vgpr_count:     0
    .vgpr_spill_count: 0
    .wavefront_size: 32
  - .args:
      - .offset:         0
        .size:           184
        .value_kind:     by_value
    .group_segment_fixed_size: 0
    .kernarg_segment_align: 8
    .kernarg_segment_size: 184
    .language:       OpenCL C
    .language_version:
      - 2
      - 0
    .max_flat_workgroup_size: 256
    .name:           _ZN7rocprim17ROCPRIM_400000_NS6detail17trampoline_kernelINS0_13select_configILj256ELj13ELNS0_17block_load_methodE3ELS4_3ELS4_3ELNS0_20block_scan_algorithmE0ELj4294967295EEENS1_25partition_config_selectorILNS1_17partition_subalgoE4EjNS0_10empty_typeEbEEZZNS1_14partition_implILS8_4ELb0ES6_15HIP_vector_typeIjLj2EENS0_17counting_iteratorIjlEEPS9_SG_NS0_5tupleIJPjSI_NS0_16reverse_iteratorISI_EEEEENSH_IJSG_SG_SG_EEES9_SI_JZNS1_25segmented_radix_sort_implINS0_14default_configELb0EPKfPfPKlPlN2at6native12_GLOBAL__N_18offset_tEEE10hipError_tPvRmT1_PNSt15iterator_traitsIS12_E10value_typeET2_T3_PNS13_IS18_E10value_typeET4_jRbjT5_S1E_jjP12ihipStream_tbEUljE_ZNSN_ISO_Lb0ESQ_SR_ST_SU_SY_EESZ_S10_S11_S12_S16_S17_S18_S1B_S1C_jS1D_jS1E_S1E_jjS1G_bEUljE0_EEESZ_S10_S11_S18_S1C_S1E_T6_T7_T9_mT8_S1G_bDpT10_ENKUlT_T0_E_clISt17integral_constantIbLb1EES1U_EEDaS1P_S1Q_EUlS1P_E_NS1_11comp_targetILNS1_3genE2ELNS1_11target_archE906ELNS1_3gpuE6ELNS1_3repE0EEENS1_30default_config_static_selectorELNS0_4arch9wavefront6targetE0EEEvS12_
    .private_segment_fixed_size: 0
    .sgpr_count:     0
    .sgpr_spill_count: 0
    .symbol:         _ZN7rocprim17ROCPRIM_400000_NS6detail17trampoline_kernelINS0_13select_configILj256ELj13ELNS0_17block_load_methodE3ELS4_3ELS4_3ELNS0_20block_scan_algorithmE0ELj4294967295EEENS1_25partition_config_selectorILNS1_17partition_subalgoE4EjNS0_10empty_typeEbEEZZNS1_14partition_implILS8_4ELb0ES6_15HIP_vector_typeIjLj2EENS0_17counting_iteratorIjlEEPS9_SG_NS0_5tupleIJPjSI_NS0_16reverse_iteratorISI_EEEEENSH_IJSG_SG_SG_EEES9_SI_JZNS1_25segmented_radix_sort_implINS0_14default_configELb0EPKfPfPKlPlN2at6native12_GLOBAL__N_18offset_tEEE10hipError_tPvRmT1_PNSt15iterator_traitsIS12_E10value_typeET2_T3_PNS13_IS18_E10value_typeET4_jRbjT5_S1E_jjP12ihipStream_tbEUljE_ZNSN_ISO_Lb0ESQ_SR_ST_SU_SY_EESZ_S10_S11_S12_S16_S17_S18_S1B_S1C_jS1D_jS1E_S1E_jjS1G_bEUljE0_EEESZ_S10_S11_S18_S1C_S1E_T6_T7_T9_mT8_S1G_bDpT10_ENKUlT_T0_E_clISt17integral_constantIbLb1EES1U_EEDaS1P_S1Q_EUlS1P_E_NS1_11comp_targetILNS1_3genE2ELNS1_11target_archE906ELNS1_3gpuE6ELNS1_3repE0EEENS1_30default_config_static_selectorELNS0_4arch9wavefront6targetE0EEEvS12_.kd
    .uniform_work_group_size: 1
    .uses_dynamic_stack: false
    .vgpr_count:     0
    .vgpr_spill_count: 0
    .wavefront_size: 32
  - .args:
      - .offset:         0
        .size:           184
        .value_kind:     by_value
    .group_segment_fixed_size: 0
    .kernarg_segment_align: 8
    .kernarg_segment_size: 184
    .language:       OpenCL C
    .language_version:
      - 2
      - 0
    .max_flat_workgroup_size: 256
    .name:           _ZN7rocprim17ROCPRIM_400000_NS6detail17trampoline_kernelINS0_13select_configILj256ELj13ELNS0_17block_load_methodE3ELS4_3ELS4_3ELNS0_20block_scan_algorithmE0ELj4294967295EEENS1_25partition_config_selectorILNS1_17partition_subalgoE4EjNS0_10empty_typeEbEEZZNS1_14partition_implILS8_4ELb0ES6_15HIP_vector_typeIjLj2EENS0_17counting_iteratorIjlEEPS9_SG_NS0_5tupleIJPjSI_NS0_16reverse_iteratorISI_EEEEENSH_IJSG_SG_SG_EEES9_SI_JZNS1_25segmented_radix_sort_implINS0_14default_configELb0EPKfPfPKlPlN2at6native12_GLOBAL__N_18offset_tEEE10hipError_tPvRmT1_PNSt15iterator_traitsIS12_E10value_typeET2_T3_PNS13_IS18_E10value_typeET4_jRbjT5_S1E_jjP12ihipStream_tbEUljE_ZNSN_ISO_Lb0ESQ_SR_ST_SU_SY_EESZ_S10_S11_S12_S16_S17_S18_S1B_S1C_jS1D_jS1E_S1E_jjS1G_bEUljE0_EEESZ_S10_S11_S18_S1C_S1E_T6_T7_T9_mT8_S1G_bDpT10_ENKUlT_T0_E_clISt17integral_constantIbLb1EES1U_EEDaS1P_S1Q_EUlS1P_E_NS1_11comp_targetILNS1_3genE10ELNS1_11target_archE1200ELNS1_3gpuE4ELNS1_3repE0EEENS1_30default_config_static_selectorELNS0_4arch9wavefront6targetE0EEEvS12_
    .private_segment_fixed_size: 0
    .sgpr_count:     0
    .sgpr_spill_count: 0
    .symbol:         _ZN7rocprim17ROCPRIM_400000_NS6detail17trampoline_kernelINS0_13select_configILj256ELj13ELNS0_17block_load_methodE3ELS4_3ELS4_3ELNS0_20block_scan_algorithmE0ELj4294967295EEENS1_25partition_config_selectorILNS1_17partition_subalgoE4EjNS0_10empty_typeEbEEZZNS1_14partition_implILS8_4ELb0ES6_15HIP_vector_typeIjLj2EENS0_17counting_iteratorIjlEEPS9_SG_NS0_5tupleIJPjSI_NS0_16reverse_iteratorISI_EEEEENSH_IJSG_SG_SG_EEES9_SI_JZNS1_25segmented_radix_sort_implINS0_14default_configELb0EPKfPfPKlPlN2at6native12_GLOBAL__N_18offset_tEEE10hipError_tPvRmT1_PNSt15iterator_traitsIS12_E10value_typeET2_T3_PNS13_IS18_E10value_typeET4_jRbjT5_S1E_jjP12ihipStream_tbEUljE_ZNSN_ISO_Lb0ESQ_SR_ST_SU_SY_EESZ_S10_S11_S12_S16_S17_S18_S1B_S1C_jS1D_jS1E_S1E_jjS1G_bEUljE0_EEESZ_S10_S11_S18_S1C_S1E_T6_T7_T9_mT8_S1G_bDpT10_ENKUlT_T0_E_clISt17integral_constantIbLb1EES1U_EEDaS1P_S1Q_EUlS1P_E_NS1_11comp_targetILNS1_3genE10ELNS1_11target_archE1200ELNS1_3gpuE4ELNS1_3repE0EEENS1_30default_config_static_selectorELNS0_4arch9wavefront6targetE0EEEvS12_.kd
    .uniform_work_group_size: 1
    .uses_dynamic_stack: false
    .vgpr_count:     0
    .vgpr_spill_count: 0
    .wavefront_size: 32
  - .args:
      - .offset:         0
        .size:           184
        .value_kind:     by_value
    .group_segment_fixed_size: 0
    .kernarg_segment_align: 8
    .kernarg_segment_size: 184
    .language:       OpenCL C
    .language_version:
      - 2
      - 0
    .max_flat_workgroup_size: 256
    .name:           _ZN7rocprim17ROCPRIM_400000_NS6detail17trampoline_kernelINS0_13select_configILj256ELj13ELNS0_17block_load_methodE3ELS4_3ELS4_3ELNS0_20block_scan_algorithmE0ELj4294967295EEENS1_25partition_config_selectorILNS1_17partition_subalgoE4EjNS0_10empty_typeEbEEZZNS1_14partition_implILS8_4ELb0ES6_15HIP_vector_typeIjLj2EENS0_17counting_iteratorIjlEEPS9_SG_NS0_5tupleIJPjSI_NS0_16reverse_iteratorISI_EEEEENSH_IJSG_SG_SG_EEES9_SI_JZNS1_25segmented_radix_sort_implINS0_14default_configELb0EPKfPfPKlPlN2at6native12_GLOBAL__N_18offset_tEEE10hipError_tPvRmT1_PNSt15iterator_traitsIS12_E10value_typeET2_T3_PNS13_IS18_E10value_typeET4_jRbjT5_S1E_jjP12ihipStream_tbEUljE_ZNSN_ISO_Lb0ESQ_SR_ST_SU_SY_EESZ_S10_S11_S12_S16_S17_S18_S1B_S1C_jS1D_jS1E_S1E_jjS1G_bEUljE0_EEESZ_S10_S11_S18_S1C_S1E_T6_T7_T9_mT8_S1G_bDpT10_ENKUlT_T0_E_clISt17integral_constantIbLb1EES1U_EEDaS1P_S1Q_EUlS1P_E_NS1_11comp_targetILNS1_3genE9ELNS1_11target_archE1100ELNS1_3gpuE3ELNS1_3repE0EEENS1_30default_config_static_selectorELNS0_4arch9wavefront6targetE0EEEvS12_
    .private_segment_fixed_size: 0
    .sgpr_count:     0
    .sgpr_spill_count: 0
    .symbol:         _ZN7rocprim17ROCPRIM_400000_NS6detail17trampoline_kernelINS0_13select_configILj256ELj13ELNS0_17block_load_methodE3ELS4_3ELS4_3ELNS0_20block_scan_algorithmE0ELj4294967295EEENS1_25partition_config_selectorILNS1_17partition_subalgoE4EjNS0_10empty_typeEbEEZZNS1_14partition_implILS8_4ELb0ES6_15HIP_vector_typeIjLj2EENS0_17counting_iteratorIjlEEPS9_SG_NS0_5tupleIJPjSI_NS0_16reverse_iteratorISI_EEEEENSH_IJSG_SG_SG_EEES9_SI_JZNS1_25segmented_radix_sort_implINS0_14default_configELb0EPKfPfPKlPlN2at6native12_GLOBAL__N_18offset_tEEE10hipError_tPvRmT1_PNSt15iterator_traitsIS12_E10value_typeET2_T3_PNS13_IS18_E10value_typeET4_jRbjT5_S1E_jjP12ihipStream_tbEUljE_ZNSN_ISO_Lb0ESQ_SR_ST_SU_SY_EESZ_S10_S11_S12_S16_S17_S18_S1B_S1C_jS1D_jS1E_S1E_jjS1G_bEUljE0_EEESZ_S10_S11_S18_S1C_S1E_T6_T7_T9_mT8_S1G_bDpT10_ENKUlT_T0_E_clISt17integral_constantIbLb1EES1U_EEDaS1P_S1Q_EUlS1P_E_NS1_11comp_targetILNS1_3genE9ELNS1_11target_archE1100ELNS1_3gpuE3ELNS1_3repE0EEENS1_30default_config_static_selectorELNS0_4arch9wavefront6targetE0EEEvS12_.kd
    .uniform_work_group_size: 1
    .uses_dynamic_stack: false
    .vgpr_count:     0
    .vgpr_spill_count: 0
    .wavefront_size: 32
  - .args:
      - .offset:         0
        .size:           184
        .value_kind:     by_value
    .group_segment_fixed_size: 0
    .kernarg_segment_align: 8
    .kernarg_segment_size: 184
    .language:       OpenCL C
    .language_version:
      - 2
      - 0
    .max_flat_workgroup_size: 256
    .name:           _ZN7rocprim17ROCPRIM_400000_NS6detail17trampoline_kernelINS0_13select_configILj256ELj13ELNS0_17block_load_methodE3ELS4_3ELS4_3ELNS0_20block_scan_algorithmE0ELj4294967295EEENS1_25partition_config_selectorILNS1_17partition_subalgoE4EjNS0_10empty_typeEbEEZZNS1_14partition_implILS8_4ELb0ES6_15HIP_vector_typeIjLj2EENS0_17counting_iteratorIjlEEPS9_SG_NS0_5tupleIJPjSI_NS0_16reverse_iteratorISI_EEEEENSH_IJSG_SG_SG_EEES9_SI_JZNS1_25segmented_radix_sort_implINS0_14default_configELb0EPKfPfPKlPlN2at6native12_GLOBAL__N_18offset_tEEE10hipError_tPvRmT1_PNSt15iterator_traitsIS12_E10value_typeET2_T3_PNS13_IS18_E10value_typeET4_jRbjT5_S1E_jjP12ihipStream_tbEUljE_ZNSN_ISO_Lb0ESQ_SR_ST_SU_SY_EESZ_S10_S11_S12_S16_S17_S18_S1B_S1C_jS1D_jS1E_S1E_jjS1G_bEUljE0_EEESZ_S10_S11_S18_S1C_S1E_T6_T7_T9_mT8_S1G_bDpT10_ENKUlT_T0_E_clISt17integral_constantIbLb1EES1U_EEDaS1P_S1Q_EUlS1P_E_NS1_11comp_targetILNS1_3genE8ELNS1_11target_archE1030ELNS1_3gpuE2ELNS1_3repE0EEENS1_30default_config_static_selectorELNS0_4arch9wavefront6targetE0EEEvS12_
    .private_segment_fixed_size: 0
    .sgpr_count:     0
    .sgpr_spill_count: 0
    .symbol:         _ZN7rocprim17ROCPRIM_400000_NS6detail17trampoline_kernelINS0_13select_configILj256ELj13ELNS0_17block_load_methodE3ELS4_3ELS4_3ELNS0_20block_scan_algorithmE0ELj4294967295EEENS1_25partition_config_selectorILNS1_17partition_subalgoE4EjNS0_10empty_typeEbEEZZNS1_14partition_implILS8_4ELb0ES6_15HIP_vector_typeIjLj2EENS0_17counting_iteratorIjlEEPS9_SG_NS0_5tupleIJPjSI_NS0_16reverse_iteratorISI_EEEEENSH_IJSG_SG_SG_EEES9_SI_JZNS1_25segmented_radix_sort_implINS0_14default_configELb0EPKfPfPKlPlN2at6native12_GLOBAL__N_18offset_tEEE10hipError_tPvRmT1_PNSt15iterator_traitsIS12_E10value_typeET2_T3_PNS13_IS18_E10value_typeET4_jRbjT5_S1E_jjP12ihipStream_tbEUljE_ZNSN_ISO_Lb0ESQ_SR_ST_SU_SY_EESZ_S10_S11_S12_S16_S17_S18_S1B_S1C_jS1D_jS1E_S1E_jjS1G_bEUljE0_EEESZ_S10_S11_S18_S1C_S1E_T6_T7_T9_mT8_S1G_bDpT10_ENKUlT_T0_E_clISt17integral_constantIbLb1EES1U_EEDaS1P_S1Q_EUlS1P_E_NS1_11comp_targetILNS1_3genE8ELNS1_11target_archE1030ELNS1_3gpuE2ELNS1_3repE0EEENS1_30default_config_static_selectorELNS0_4arch9wavefront6targetE0EEEvS12_.kd
    .uniform_work_group_size: 1
    .uses_dynamic_stack: false
    .vgpr_count:     0
    .vgpr_spill_count: 0
    .wavefront_size: 32
  - .args:
      - .offset:         0
        .size:           176
        .value_kind:     by_value
    .group_segment_fixed_size: 0
    .kernarg_segment_align: 8
    .kernarg_segment_size: 176
    .language:       OpenCL C
    .language_version:
      - 2
      - 0
    .max_flat_workgroup_size: 256
    .name:           _ZN7rocprim17ROCPRIM_400000_NS6detail17trampoline_kernelINS0_13select_configILj256ELj13ELNS0_17block_load_methodE3ELS4_3ELS4_3ELNS0_20block_scan_algorithmE0ELj4294967295EEENS1_25partition_config_selectorILNS1_17partition_subalgoE4EjNS0_10empty_typeEbEEZZNS1_14partition_implILS8_4ELb0ES6_15HIP_vector_typeIjLj2EENS0_17counting_iteratorIjlEEPS9_SG_NS0_5tupleIJPjSI_NS0_16reverse_iteratorISI_EEEEENSH_IJSG_SG_SG_EEES9_SI_JZNS1_25segmented_radix_sort_implINS0_14default_configELb0EPKfPfPKlPlN2at6native12_GLOBAL__N_18offset_tEEE10hipError_tPvRmT1_PNSt15iterator_traitsIS12_E10value_typeET2_T3_PNS13_IS18_E10value_typeET4_jRbjT5_S1E_jjP12ihipStream_tbEUljE_ZNSN_ISO_Lb0ESQ_SR_ST_SU_SY_EESZ_S10_S11_S12_S16_S17_S18_S1B_S1C_jS1D_jS1E_S1E_jjS1G_bEUljE0_EEESZ_S10_S11_S18_S1C_S1E_T6_T7_T9_mT8_S1G_bDpT10_ENKUlT_T0_E_clISt17integral_constantIbLb1EES1T_IbLb0EEEEDaS1P_S1Q_EUlS1P_E_NS1_11comp_targetILNS1_3genE0ELNS1_11target_archE4294967295ELNS1_3gpuE0ELNS1_3repE0EEENS1_30default_config_static_selectorELNS0_4arch9wavefront6targetE0EEEvS12_
    .private_segment_fixed_size: 0
    .sgpr_count:     0
    .sgpr_spill_count: 0
    .symbol:         _ZN7rocprim17ROCPRIM_400000_NS6detail17trampoline_kernelINS0_13select_configILj256ELj13ELNS0_17block_load_methodE3ELS4_3ELS4_3ELNS0_20block_scan_algorithmE0ELj4294967295EEENS1_25partition_config_selectorILNS1_17partition_subalgoE4EjNS0_10empty_typeEbEEZZNS1_14partition_implILS8_4ELb0ES6_15HIP_vector_typeIjLj2EENS0_17counting_iteratorIjlEEPS9_SG_NS0_5tupleIJPjSI_NS0_16reverse_iteratorISI_EEEEENSH_IJSG_SG_SG_EEES9_SI_JZNS1_25segmented_radix_sort_implINS0_14default_configELb0EPKfPfPKlPlN2at6native12_GLOBAL__N_18offset_tEEE10hipError_tPvRmT1_PNSt15iterator_traitsIS12_E10value_typeET2_T3_PNS13_IS18_E10value_typeET4_jRbjT5_S1E_jjP12ihipStream_tbEUljE_ZNSN_ISO_Lb0ESQ_SR_ST_SU_SY_EESZ_S10_S11_S12_S16_S17_S18_S1B_S1C_jS1D_jS1E_S1E_jjS1G_bEUljE0_EEESZ_S10_S11_S18_S1C_S1E_T6_T7_T9_mT8_S1G_bDpT10_ENKUlT_T0_E_clISt17integral_constantIbLb1EES1T_IbLb0EEEEDaS1P_S1Q_EUlS1P_E_NS1_11comp_targetILNS1_3genE0ELNS1_11target_archE4294967295ELNS1_3gpuE0ELNS1_3repE0EEENS1_30default_config_static_selectorELNS0_4arch9wavefront6targetE0EEEvS12_.kd
    .uniform_work_group_size: 1
    .uses_dynamic_stack: false
    .vgpr_count:     0
    .vgpr_spill_count: 0
    .wavefront_size: 32
  - .args:
      - .offset:         0
        .size:           176
        .value_kind:     by_value
    .group_segment_fixed_size: 0
    .kernarg_segment_align: 8
    .kernarg_segment_size: 176
    .language:       OpenCL C
    .language_version:
      - 2
      - 0
    .max_flat_workgroup_size: 256
    .name:           _ZN7rocprim17ROCPRIM_400000_NS6detail17trampoline_kernelINS0_13select_configILj256ELj13ELNS0_17block_load_methodE3ELS4_3ELS4_3ELNS0_20block_scan_algorithmE0ELj4294967295EEENS1_25partition_config_selectorILNS1_17partition_subalgoE4EjNS0_10empty_typeEbEEZZNS1_14partition_implILS8_4ELb0ES6_15HIP_vector_typeIjLj2EENS0_17counting_iteratorIjlEEPS9_SG_NS0_5tupleIJPjSI_NS0_16reverse_iteratorISI_EEEEENSH_IJSG_SG_SG_EEES9_SI_JZNS1_25segmented_radix_sort_implINS0_14default_configELb0EPKfPfPKlPlN2at6native12_GLOBAL__N_18offset_tEEE10hipError_tPvRmT1_PNSt15iterator_traitsIS12_E10value_typeET2_T3_PNS13_IS18_E10value_typeET4_jRbjT5_S1E_jjP12ihipStream_tbEUljE_ZNSN_ISO_Lb0ESQ_SR_ST_SU_SY_EESZ_S10_S11_S12_S16_S17_S18_S1B_S1C_jS1D_jS1E_S1E_jjS1G_bEUljE0_EEESZ_S10_S11_S18_S1C_S1E_T6_T7_T9_mT8_S1G_bDpT10_ENKUlT_T0_E_clISt17integral_constantIbLb1EES1T_IbLb0EEEEDaS1P_S1Q_EUlS1P_E_NS1_11comp_targetILNS1_3genE5ELNS1_11target_archE942ELNS1_3gpuE9ELNS1_3repE0EEENS1_30default_config_static_selectorELNS0_4arch9wavefront6targetE0EEEvS12_
    .private_segment_fixed_size: 0
    .sgpr_count:     0
    .sgpr_spill_count: 0
    .symbol:         _ZN7rocprim17ROCPRIM_400000_NS6detail17trampoline_kernelINS0_13select_configILj256ELj13ELNS0_17block_load_methodE3ELS4_3ELS4_3ELNS0_20block_scan_algorithmE0ELj4294967295EEENS1_25partition_config_selectorILNS1_17partition_subalgoE4EjNS0_10empty_typeEbEEZZNS1_14partition_implILS8_4ELb0ES6_15HIP_vector_typeIjLj2EENS0_17counting_iteratorIjlEEPS9_SG_NS0_5tupleIJPjSI_NS0_16reverse_iteratorISI_EEEEENSH_IJSG_SG_SG_EEES9_SI_JZNS1_25segmented_radix_sort_implINS0_14default_configELb0EPKfPfPKlPlN2at6native12_GLOBAL__N_18offset_tEEE10hipError_tPvRmT1_PNSt15iterator_traitsIS12_E10value_typeET2_T3_PNS13_IS18_E10value_typeET4_jRbjT5_S1E_jjP12ihipStream_tbEUljE_ZNSN_ISO_Lb0ESQ_SR_ST_SU_SY_EESZ_S10_S11_S12_S16_S17_S18_S1B_S1C_jS1D_jS1E_S1E_jjS1G_bEUljE0_EEESZ_S10_S11_S18_S1C_S1E_T6_T7_T9_mT8_S1G_bDpT10_ENKUlT_T0_E_clISt17integral_constantIbLb1EES1T_IbLb0EEEEDaS1P_S1Q_EUlS1P_E_NS1_11comp_targetILNS1_3genE5ELNS1_11target_archE942ELNS1_3gpuE9ELNS1_3repE0EEENS1_30default_config_static_selectorELNS0_4arch9wavefront6targetE0EEEvS12_.kd
    .uniform_work_group_size: 1
    .uses_dynamic_stack: false
    .vgpr_count:     0
    .vgpr_spill_count: 0
    .wavefront_size: 32
  - .args:
      - .offset:         0
        .size:           176
        .value_kind:     by_value
    .group_segment_fixed_size: 0
    .kernarg_segment_align: 8
    .kernarg_segment_size: 176
    .language:       OpenCL C
    .language_version:
      - 2
      - 0
    .max_flat_workgroup_size: 256
    .name:           _ZN7rocprim17ROCPRIM_400000_NS6detail17trampoline_kernelINS0_13select_configILj256ELj13ELNS0_17block_load_methodE3ELS4_3ELS4_3ELNS0_20block_scan_algorithmE0ELj4294967295EEENS1_25partition_config_selectorILNS1_17partition_subalgoE4EjNS0_10empty_typeEbEEZZNS1_14partition_implILS8_4ELb0ES6_15HIP_vector_typeIjLj2EENS0_17counting_iteratorIjlEEPS9_SG_NS0_5tupleIJPjSI_NS0_16reverse_iteratorISI_EEEEENSH_IJSG_SG_SG_EEES9_SI_JZNS1_25segmented_radix_sort_implINS0_14default_configELb0EPKfPfPKlPlN2at6native12_GLOBAL__N_18offset_tEEE10hipError_tPvRmT1_PNSt15iterator_traitsIS12_E10value_typeET2_T3_PNS13_IS18_E10value_typeET4_jRbjT5_S1E_jjP12ihipStream_tbEUljE_ZNSN_ISO_Lb0ESQ_SR_ST_SU_SY_EESZ_S10_S11_S12_S16_S17_S18_S1B_S1C_jS1D_jS1E_S1E_jjS1G_bEUljE0_EEESZ_S10_S11_S18_S1C_S1E_T6_T7_T9_mT8_S1G_bDpT10_ENKUlT_T0_E_clISt17integral_constantIbLb1EES1T_IbLb0EEEEDaS1P_S1Q_EUlS1P_E_NS1_11comp_targetILNS1_3genE4ELNS1_11target_archE910ELNS1_3gpuE8ELNS1_3repE0EEENS1_30default_config_static_selectorELNS0_4arch9wavefront6targetE0EEEvS12_
    .private_segment_fixed_size: 0
    .sgpr_count:     0
    .sgpr_spill_count: 0
    .symbol:         _ZN7rocprim17ROCPRIM_400000_NS6detail17trampoline_kernelINS0_13select_configILj256ELj13ELNS0_17block_load_methodE3ELS4_3ELS4_3ELNS0_20block_scan_algorithmE0ELj4294967295EEENS1_25partition_config_selectorILNS1_17partition_subalgoE4EjNS0_10empty_typeEbEEZZNS1_14partition_implILS8_4ELb0ES6_15HIP_vector_typeIjLj2EENS0_17counting_iteratorIjlEEPS9_SG_NS0_5tupleIJPjSI_NS0_16reverse_iteratorISI_EEEEENSH_IJSG_SG_SG_EEES9_SI_JZNS1_25segmented_radix_sort_implINS0_14default_configELb0EPKfPfPKlPlN2at6native12_GLOBAL__N_18offset_tEEE10hipError_tPvRmT1_PNSt15iterator_traitsIS12_E10value_typeET2_T3_PNS13_IS18_E10value_typeET4_jRbjT5_S1E_jjP12ihipStream_tbEUljE_ZNSN_ISO_Lb0ESQ_SR_ST_SU_SY_EESZ_S10_S11_S12_S16_S17_S18_S1B_S1C_jS1D_jS1E_S1E_jjS1G_bEUljE0_EEESZ_S10_S11_S18_S1C_S1E_T6_T7_T9_mT8_S1G_bDpT10_ENKUlT_T0_E_clISt17integral_constantIbLb1EES1T_IbLb0EEEEDaS1P_S1Q_EUlS1P_E_NS1_11comp_targetILNS1_3genE4ELNS1_11target_archE910ELNS1_3gpuE8ELNS1_3repE0EEENS1_30default_config_static_selectorELNS0_4arch9wavefront6targetE0EEEvS12_.kd
    .uniform_work_group_size: 1
    .uses_dynamic_stack: false
    .vgpr_count:     0
    .vgpr_spill_count: 0
    .wavefront_size: 32
  - .args:
      - .offset:         0
        .size:           176
        .value_kind:     by_value
    .group_segment_fixed_size: 0
    .kernarg_segment_align: 8
    .kernarg_segment_size: 176
    .language:       OpenCL C
    .language_version:
      - 2
      - 0
    .max_flat_workgroup_size: 256
    .name:           _ZN7rocprim17ROCPRIM_400000_NS6detail17trampoline_kernelINS0_13select_configILj256ELj13ELNS0_17block_load_methodE3ELS4_3ELS4_3ELNS0_20block_scan_algorithmE0ELj4294967295EEENS1_25partition_config_selectorILNS1_17partition_subalgoE4EjNS0_10empty_typeEbEEZZNS1_14partition_implILS8_4ELb0ES6_15HIP_vector_typeIjLj2EENS0_17counting_iteratorIjlEEPS9_SG_NS0_5tupleIJPjSI_NS0_16reverse_iteratorISI_EEEEENSH_IJSG_SG_SG_EEES9_SI_JZNS1_25segmented_radix_sort_implINS0_14default_configELb0EPKfPfPKlPlN2at6native12_GLOBAL__N_18offset_tEEE10hipError_tPvRmT1_PNSt15iterator_traitsIS12_E10value_typeET2_T3_PNS13_IS18_E10value_typeET4_jRbjT5_S1E_jjP12ihipStream_tbEUljE_ZNSN_ISO_Lb0ESQ_SR_ST_SU_SY_EESZ_S10_S11_S12_S16_S17_S18_S1B_S1C_jS1D_jS1E_S1E_jjS1G_bEUljE0_EEESZ_S10_S11_S18_S1C_S1E_T6_T7_T9_mT8_S1G_bDpT10_ENKUlT_T0_E_clISt17integral_constantIbLb1EES1T_IbLb0EEEEDaS1P_S1Q_EUlS1P_E_NS1_11comp_targetILNS1_3genE3ELNS1_11target_archE908ELNS1_3gpuE7ELNS1_3repE0EEENS1_30default_config_static_selectorELNS0_4arch9wavefront6targetE0EEEvS12_
    .private_segment_fixed_size: 0
    .sgpr_count:     0
    .sgpr_spill_count: 0
    .symbol:         _ZN7rocprim17ROCPRIM_400000_NS6detail17trampoline_kernelINS0_13select_configILj256ELj13ELNS0_17block_load_methodE3ELS4_3ELS4_3ELNS0_20block_scan_algorithmE0ELj4294967295EEENS1_25partition_config_selectorILNS1_17partition_subalgoE4EjNS0_10empty_typeEbEEZZNS1_14partition_implILS8_4ELb0ES6_15HIP_vector_typeIjLj2EENS0_17counting_iteratorIjlEEPS9_SG_NS0_5tupleIJPjSI_NS0_16reverse_iteratorISI_EEEEENSH_IJSG_SG_SG_EEES9_SI_JZNS1_25segmented_radix_sort_implINS0_14default_configELb0EPKfPfPKlPlN2at6native12_GLOBAL__N_18offset_tEEE10hipError_tPvRmT1_PNSt15iterator_traitsIS12_E10value_typeET2_T3_PNS13_IS18_E10value_typeET4_jRbjT5_S1E_jjP12ihipStream_tbEUljE_ZNSN_ISO_Lb0ESQ_SR_ST_SU_SY_EESZ_S10_S11_S12_S16_S17_S18_S1B_S1C_jS1D_jS1E_S1E_jjS1G_bEUljE0_EEESZ_S10_S11_S18_S1C_S1E_T6_T7_T9_mT8_S1G_bDpT10_ENKUlT_T0_E_clISt17integral_constantIbLb1EES1T_IbLb0EEEEDaS1P_S1Q_EUlS1P_E_NS1_11comp_targetILNS1_3genE3ELNS1_11target_archE908ELNS1_3gpuE7ELNS1_3repE0EEENS1_30default_config_static_selectorELNS0_4arch9wavefront6targetE0EEEvS12_.kd
    .uniform_work_group_size: 1
    .uses_dynamic_stack: false
    .vgpr_count:     0
    .vgpr_spill_count: 0
    .wavefront_size: 32
  - .args:
      - .offset:         0
        .size:           176
        .value_kind:     by_value
    .group_segment_fixed_size: 0
    .kernarg_segment_align: 8
    .kernarg_segment_size: 176
    .language:       OpenCL C
    .language_version:
      - 2
      - 0
    .max_flat_workgroup_size: 256
    .name:           _ZN7rocprim17ROCPRIM_400000_NS6detail17trampoline_kernelINS0_13select_configILj256ELj13ELNS0_17block_load_methodE3ELS4_3ELS4_3ELNS0_20block_scan_algorithmE0ELj4294967295EEENS1_25partition_config_selectorILNS1_17partition_subalgoE4EjNS0_10empty_typeEbEEZZNS1_14partition_implILS8_4ELb0ES6_15HIP_vector_typeIjLj2EENS0_17counting_iteratorIjlEEPS9_SG_NS0_5tupleIJPjSI_NS0_16reverse_iteratorISI_EEEEENSH_IJSG_SG_SG_EEES9_SI_JZNS1_25segmented_radix_sort_implINS0_14default_configELb0EPKfPfPKlPlN2at6native12_GLOBAL__N_18offset_tEEE10hipError_tPvRmT1_PNSt15iterator_traitsIS12_E10value_typeET2_T3_PNS13_IS18_E10value_typeET4_jRbjT5_S1E_jjP12ihipStream_tbEUljE_ZNSN_ISO_Lb0ESQ_SR_ST_SU_SY_EESZ_S10_S11_S12_S16_S17_S18_S1B_S1C_jS1D_jS1E_S1E_jjS1G_bEUljE0_EEESZ_S10_S11_S18_S1C_S1E_T6_T7_T9_mT8_S1G_bDpT10_ENKUlT_T0_E_clISt17integral_constantIbLb1EES1T_IbLb0EEEEDaS1P_S1Q_EUlS1P_E_NS1_11comp_targetILNS1_3genE2ELNS1_11target_archE906ELNS1_3gpuE6ELNS1_3repE0EEENS1_30default_config_static_selectorELNS0_4arch9wavefront6targetE0EEEvS12_
    .private_segment_fixed_size: 0
    .sgpr_count:     0
    .sgpr_spill_count: 0
    .symbol:         _ZN7rocprim17ROCPRIM_400000_NS6detail17trampoline_kernelINS0_13select_configILj256ELj13ELNS0_17block_load_methodE3ELS4_3ELS4_3ELNS0_20block_scan_algorithmE0ELj4294967295EEENS1_25partition_config_selectorILNS1_17partition_subalgoE4EjNS0_10empty_typeEbEEZZNS1_14partition_implILS8_4ELb0ES6_15HIP_vector_typeIjLj2EENS0_17counting_iteratorIjlEEPS9_SG_NS0_5tupleIJPjSI_NS0_16reverse_iteratorISI_EEEEENSH_IJSG_SG_SG_EEES9_SI_JZNS1_25segmented_radix_sort_implINS0_14default_configELb0EPKfPfPKlPlN2at6native12_GLOBAL__N_18offset_tEEE10hipError_tPvRmT1_PNSt15iterator_traitsIS12_E10value_typeET2_T3_PNS13_IS18_E10value_typeET4_jRbjT5_S1E_jjP12ihipStream_tbEUljE_ZNSN_ISO_Lb0ESQ_SR_ST_SU_SY_EESZ_S10_S11_S12_S16_S17_S18_S1B_S1C_jS1D_jS1E_S1E_jjS1G_bEUljE0_EEESZ_S10_S11_S18_S1C_S1E_T6_T7_T9_mT8_S1G_bDpT10_ENKUlT_T0_E_clISt17integral_constantIbLb1EES1T_IbLb0EEEEDaS1P_S1Q_EUlS1P_E_NS1_11comp_targetILNS1_3genE2ELNS1_11target_archE906ELNS1_3gpuE6ELNS1_3repE0EEENS1_30default_config_static_selectorELNS0_4arch9wavefront6targetE0EEEvS12_.kd
    .uniform_work_group_size: 1
    .uses_dynamic_stack: false
    .vgpr_count:     0
    .vgpr_spill_count: 0
    .wavefront_size: 32
  - .args:
      - .offset:         0
        .size:           176
        .value_kind:     by_value
    .group_segment_fixed_size: 0
    .kernarg_segment_align: 8
    .kernarg_segment_size: 176
    .language:       OpenCL C
    .language_version:
      - 2
      - 0
    .max_flat_workgroup_size: 256
    .name:           _ZN7rocprim17ROCPRIM_400000_NS6detail17trampoline_kernelINS0_13select_configILj256ELj13ELNS0_17block_load_methodE3ELS4_3ELS4_3ELNS0_20block_scan_algorithmE0ELj4294967295EEENS1_25partition_config_selectorILNS1_17partition_subalgoE4EjNS0_10empty_typeEbEEZZNS1_14partition_implILS8_4ELb0ES6_15HIP_vector_typeIjLj2EENS0_17counting_iteratorIjlEEPS9_SG_NS0_5tupleIJPjSI_NS0_16reverse_iteratorISI_EEEEENSH_IJSG_SG_SG_EEES9_SI_JZNS1_25segmented_radix_sort_implINS0_14default_configELb0EPKfPfPKlPlN2at6native12_GLOBAL__N_18offset_tEEE10hipError_tPvRmT1_PNSt15iterator_traitsIS12_E10value_typeET2_T3_PNS13_IS18_E10value_typeET4_jRbjT5_S1E_jjP12ihipStream_tbEUljE_ZNSN_ISO_Lb0ESQ_SR_ST_SU_SY_EESZ_S10_S11_S12_S16_S17_S18_S1B_S1C_jS1D_jS1E_S1E_jjS1G_bEUljE0_EEESZ_S10_S11_S18_S1C_S1E_T6_T7_T9_mT8_S1G_bDpT10_ENKUlT_T0_E_clISt17integral_constantIbLb1EES1T_IbLb0EEEEDaS1P_S1Q_EUlS1P_E_NS1_11comp_targetILNS1_3genE10ELNS1_11target_archE1200ELNS1_3gpuE4ELNS1_3repE0EEENS1_30default_config_static_selectorELNS0_4arch9wavefront6targetE0EEEvS12_
    .private_segment_fixed_size: 0
    .sgpr_count:     0
    .sgpr_spill_count: 0
    .symbol:         _ZN7rocprim17ROCPRIM_400000_NS6detail17trampoline_kernelINS0_13select_configILj256ELj13ELNS0_17block_load_methodE3ELS4_3ELS4_3ELNS0_20block_scan_algorithmE0ELj4294967295EEENS1_25partition_config_selectorILNS1_17partition_subalgoE4EjNS0_10empty_typeEbEEZZNS1_14partition_implILS8_4ELb0ES6_15HIP_vector_typeIjLj2EENS0_17counting_iteratorIjlEEPS9_SG_NS0_5tupleIJPjSI_NS0_16reverse_iteratorISI_EEEEENSH_IJSG_SG_SG_EEES9_SI_JZNS1_25segmented_radix_sort_implINS0_14default_configELb0EPKfPfPKlPlN2at6native12_GLOBAL__N_18offset_tEEE10hipError_tPvRmT1_PNSt15iterator_traitsIS12_E10value_typeET2_T3_PNS13_IS18_E10value_typeET4_jRbjT5_S1E_jjP12ihipStream_tbEUljE_ZNSN_ISO_Lb0ESQ_SR_ST_SU_SY_EESZ_S10_S11_S12_S16_S17_S18_S1B_S1C_jS1D_jS1E_S1E_jjS1G_bEUljE0_EEESZ_S10_S11_S18_S1C_S1E_T6_T7_T9_mT8_S1G_bDpT10_ENKUlT_T0_E_clISt17integral_constantIbLb1EES1T_IbLb0EEEEDaS1P_S1Q_EUlS1P_E_NS1_11comp_targetILNS1_3genE10ELNS1_11target_archE1200ELNS1_3gpuE4ELNS1_3repE0EEENS1_30default_config_static_selectorELNS0_4arch9wavefront6targetE0EEEvS12_.kd
    .uniform_work_group_size: 1
    .uses_dynamic_stack: false
    .vgpr_count:     0
    .vgpr_spill_count: 0
    .wavefront_size: 32
  - .args:
      - .offset:         0
        .size:           176
        .value_kind:     by_value
    .group_segment_fixed_size: 0
    .kernarg_segment_align: 8
    .kernarg_segment_size: 176
    .language:       OpenCL C
    .language_version:
      - 2
      - 0
    .max_flat_workgroup_size: 256
    .name:           _ZN7rocprim17ROCPRIM_400000_NS6detail17trampoline_kernelINS0_13select_configILj256ELj13ELNS0_17block_load_methodE3ELS4_3ELS4_3ELNS0_20block_scan_algorithmE0ELj4294967295EEENS1_25partition_config_selectorILNS1_17partition_subalgoE4EjNS0_10empty_typeEbEEZZNS1_14partition_implILS8_4ELb0ES6_15HIP_vector_typeIjLj2EENS0_17counting_iteratorIjlEEPS9_SG_NS0_5tupleIJPjSI_NS0_16reverse_iteratorISI_EEEEENSH_IJSG_SG_SG_EEES9_SI_JZNS1_25segmented_radix_sort_implINS0_14default_configELb0EPKfPfPKlPlN2at6native12_GLOBAL__N_18offset_tEEE10hipError_tPvRmT1_PNSt15iterator_traitsIS12_E10value_typeET2_T3_PNS13_IS18_E10value_typeET4_jRbjT5_S1E_jjP12ihipStream_tbEUljE_ZNSN_ISO_Lb0ESQ_SR_ST_SU_SY_EESZ_S10_S11_S12_S16_S17_S18_S1B_S1C_jS1D_jS1E_S1E_jjS1G_bEUljE0_EEESZ_S10_S11_S18_S1C_S1E_T6_T7_T9_mT8_S1G_bDpT10_ENKUlT_T0_E_clISt17integral_constantIbLb1EES1T_IbLb0EEEEDaS1P_S1Q_EUlS1P_E_NS1_11comp_targetILNS1_3genE9ELNS1_11target_archE1100ELNS1_3gpuE3ELNS1_3repE0EEENS1_30default_config_static_selectorELNS0_4arch9wavefront6targetE0EEEvS12_
    .private_segment_fixed_size: 0
    .sgpr_count:     0
    .sgpr_spill_count: 0
    .symbol:         _ZN7rocprim17ROCPRIM_400000_NS6detail17trampoline_kernelINS0_13select_configILj256ELj13ELNS0_17block_load_methodE3ELS4_3ELS4_3ELNS0_20block_scan_algorithmE0ELj4294967295EEENS1_25partition_config_selectorILNS1_17partition_subalgoE4EjNS0_10empty_typeEbEEZZNS1_14partition_implILS8_4ELb0ES6_15HIP_vector_typeIjLj2EENS0_17counting_iteratorIjlEEPS9_SG_NS0_5tupleIJPjSI_NS0_16reverse_iteratorISI_EEEEENSH_IJSG_SG_SG_EEES9_SI_JZNS1_25segmented_radix_sort_implINS0_14default_configELb0EPKfPfPKlPlN2at6native12_GLOBAL__N_18offset_tEEE10hipError_tPvRmT1_PNSt15iterator_traitsIS12_E10value_typeET2_T3_PNS13_IS18_E10value_typeET4_jRbjT5_S1E_jjP12ihipStream_tbEUljE_ZNSN_ISO_Lb0ESQ_SR_ST_SU_SY_EESZ_S10_S11_S12_S16_S17_S18_S1B_S1C_jS1D_jS1E_S1E_jjS1G_bEUljE0_EEESZ_S10_S11_S18_S1C_S1E_T6_T7_T9_mT8_S1G_bDpT10_ENKUlT_T0_E_clISt17integral_constantIbLb1EES1T_IbLb0EEEEDaS1P_S1Q_EUlS1P_E_NS1_11comp_targetILNS1_3genE9ELNS1_11target_archE1100ELNS1_3gpuE3ELNS1_3repE0EEENS1_30default_config_static_selectorELNS0_4arch9wavefront6targetE0EEEvS12_.kd
    .uniform_work_group_size: 1
    .uses_dynamic_stack: false
    .vgpr_count:     0
    .vgpr_spill_count: 0
    .wavefront_size: 32
  - .args:
      - .offset:         0
        .size:           176
        .value_kind:     by_value
    .group_segment_fixed_size: 0
    .kernarg_segment_align: 8
    .kernarg_segment_size: 176
    .language:       OpenCL C
    .language_version:
      - 2
      - 0
    .max_flat_workgroup_size: 256
    .name:           _ZN7rocprim17ROCPRIM_400000_NS6detail17trampoline_kernelINS0_13select_configILj256ELj13ELNS0_17block_load_methodE3ELS4_3ELS4_3ELNS0_20block_scan_algorithmE0ELj4294967295EEENS1_25partition_config_selectorILNS1_17partition_subalgoE4EjNS0_10empty_typeEbEEZZNS1_14partition_implILS8_4ELb0ES6_15HIP_vector_typeIjLj2EENS0_17counting_iteratorIjlEEPS9_SG_NS0_5tupleIJPjSI_NS0_16reverse_iteratorISI_EEEEENSH_IJSG_SG_SG_EEES9_SI_JZNS1_25segmented_radix_sort_implINS0_14default_configELb0EPKfPfPKlPlN2at6native12_GLOBAL__N_18offset_tEEE10hipError_tPvRmT1_PNSt15iterator_traitsIS12_E10value_typeET2_T3_PNS13_IS18_E10value_typeET4_jRbjT5_S1E_jjP12ihipStream_tbEUljE_ZNSN_ISO_Lb0ESQ_SR_ST_SU_SY_EESZ_S10_S11_S12_S16_S17_S18_S1B_S1C_jS1D_jS1E_S1E_jjS1G_bEUljE0_EEESZ_S10_S11_S18_S1C_S1E_T6_T7_T9_mT8_S1G_bDpT10_ENKUlT_T0_E_clISt17integral_constantIbLb1EES1T_IbLb0EEEEDaS1P_S1Q_EUlS1P_E_NS1_11comp_targetILNS1_3genE8ELNS1_11target_archE1030ELNS1_3gpuE2ELNS1_3repE0EEENS1_30default_config_static_selectorELNS0_4arch9wavefront6targetE0EEEvS12_
    .private_segment_fixed_size: 0
    .sgpr_count:     0
    .sgpr_spill_count: 0
    .symbol:         _ZN7rocprim17ROCPRIM_400000_NS6detail17trampoline_kernelINS0_13select_configILj256ELj13ELNS0_17block_load_methodE3ELS4_3ELS4_3ELNS0_20block_scan_algorithmE0ELj4294967295EEENS1_25partition_config_selectorILNS1_17partition_subalgoE4EjNS0_10empty_typeEbEEZZNS1_14partition_implILS8_4ELb0ES6_15HIP_vector_typeIjLj2EENS0_17counting_iteratorIjlEEPS9_SG_NS0_5tupleIJPjSI_NS0_16reverse_iteratorISI_EEEEENSH_IJSG_SG_SG_EEES9_SI_JZNS1_25segmented_radix_sort_implINS0_14default_configELb0EPKfPfPKlPlN2at6native12_GLOBAL__N_18offset_tEEE10hipError_tPvRmT1_PNSt15iterator_traitsIS12_E10value_typeET2_T3_PNS13_IS18_E10value_typeET4_jRbjT5_S1E_jjP12ihipStream_tbEUljE_ZNSN_ISO_Lb0ESQ_SR_ST_SU_SY_EESZ_S10_S11_S12_S16_S17_S18_S1B_S1C_jS1D_jS1E_S1E_jjS1G_bEUljE0_EEESZ_S10_S11_S18_S1C_S1E_T6_T7_T9_mT8_S1G_bDpT10_ENKUlT_T0_E_clISt17integral_constantIbLb1EES1T_IbLb0EEEEDaS1P_S1Q_EUlS1P_E_NS1_11comp_targetILNS1_3genE8ELNS1_11target_archE1030ELNS1_3gpuE2ELNS1_3repE0EEENS1_30default_config_static_selectorELNS0_4arch9wavefront6targetE0EEEvS12_.kd
    .uniform_work_group_size: 1
    .uses_dynamic_stack: false
    .vgpr_count:     0
    .vgpr_spill_count: 0
    .wavefront_size: 32
  - .args:
      - .offset:         0
        .size:           184
        .value_kind:     by_value
    .group_segment_fixed_size: 13328
    .kernarg_segment_align: 8
    .kernarg_segment_size: 184
    .language:       OpenCL C
    .language_version:
      - 2
      - 0
    .max_flat_workgroup_size: 256
    .name:           _ZN7rocprim17ROCPRIM_400000_NS6detail17trampoline_kernelINS0_13select_configILj256ELj13ELNS0_17block_load_methodE3ELS4_3ELS4_3ELNS0_20block_scan_algorithmE0ELj4294967295EEENS1_25partition_config_selectorILNS1_17partition_subalgoE4EjNS0_10empty_typeEbEEZZNS1_14partition_implILS8_4ELb0ES6_15HIP_vector_typeIjLj2EENS0_17counting_iteratorIjlEEPS9_SG_NS0_5tupleIJPjSI_NS0_16reverse_iteratorISI_EEEEENSH_IJSG_SG_SG_EEES9_SI_JZNS1_25segmented_radix_sort_implINS0_14default_configELb0EPKfPfPKlPlN2at6native12_GLOBAL__N_18offset_tEEE10hipError_tPvRmT1_PNSt15iterator_traitsIS12_E10value_typeET2_T3_PNS13_IS18_E10value_typeET4_jRbjT5_S1E_jjP12ihipStream_tbEUljE_ZNSN_ISO_Lb0ESQ_SR_ST_SU_SY_EESZ_S10_S11_S12_S16_S17_S18_S1B_S1C_jS1D_jS1E_S1E_jjS1G_bEUljE0_EEESZ_S10_S11_S18_S1C_S1E_T6_T7_T9_mT8_S1G_bDpT10_ENKUlT_T0_E_clISt17integral_constantIbLb0EES1T_IbLb1EEEEDaS1P_S1Q_EUlS1P_E_NS1_11comp_targetILNS1_3genE0ELNS1_11target_archE4294967295ELNS1_3gpuE0ELNS1_3repE0EEENS1_30default_config_static_selectorELNS0_4arch9wavefront6targetE0EEEvS12_
    .private_segment_fixed_size: 0
    .sgpr_count:     57
    .sgpr_spill_count: 0
    .symbol:         _ZN7rocprim17ROCPRIM_400000_NS6detail17trampoline_kernelINS0_13select_configILj256ELj13ELNS0_17block_load_methodE3ELS4_3ELS4_3ELNS0_20block_scan_algorithmE0ELj4294967295EEENS1_25partition_config_selectorILNS1_17partition_subalgoE4EjNS0_10empty_typeEbEEZZNS1_14partition_implILS8_4ELb0ES6_15HIP_vector_typeIjLj2EENS0_17counting_iteratorIjlEEPS9_SG_NS0_5tupleIJPjSI_NS0_16reverse_iteratorISI_EEEEENSH_IJSG_SG_SG_EEES9_SI_JZNS1_25segmented_radix_sort_implINS0_14default_configELb0EPKfPfPKlPlN2at6native12_GLOBAL__N_18offset_tEEE10hipError_tPvRmT1_PNSt15iterator_traitsIS12_E10value_typeET2_T3_PNS13_IS18_E10value_typeET4_jRbjT5_S1E_jjP12ihipStream_tbEUljE_ZNSN_ISO_Lb0ESQ_SR_ST_SU_SY_EESZ_S10_S11_S12_S16_S17_S18_S1B_S1C_jS1D_jS1E_S1E_jjS1G_bEUljE0_EEESZ_S10_S11_S18_S1C_S1E_T6_T7_T9_mT8_S1G_bDpT10_ENKUlT_T0_E_clISt17integral_constantIbLb0EES1T_IbLb1EEEEDaS1P_S1Q_EUlS1P_E_NS1_11comp_targetILNS1_3genE0ELNS1_11target_archE4294967295ELNS1_3gpuE0ELNS1_3repE0EEENS1_30default_config_static_selectorELNS0_4arch9wavefront6targetE0EEEvS12_.kd
    .uniform_work_group_size: 1
    .uses_dynamic_stack: false
    .vgpr_count:     86
    .vgpr_spill_count: 0
    .wavefront_size: 32
  - .args:
      - .offset:         0
        .size:           184
        .value_kind:     by_value
    .group_segment_fixed_size: 0
    .kernarg_segment_align: 8
    .kernarg_segment_size: 184
    .language:       OpenCL C
    .language_version:
      - 2
      - 0
    .max_flat_workgroup_size: 256
    .name:           _ZN7rocprim17ROCPRIM_400000_NS6detail17trampoline_kernelINS0_13select_configILj256ELj13ELNS0_17block_load_methodE3ELS4_3ELS4_3ELNS0_20block_scan_algorithmE0ELj4294967295EEENS1_25partition_config_selectorILNS1_17partition_subalgoE4EjNS0_10empty_typeEbEEZZNS1_14partition_implILS8_4ELb0ES6_15HIP_vector_typeIjLj2EENS0_17counting_iteratorIjlEEPS9_SG_NS0_5tupleIJPjSI_NS0_16reverse_iteratorISI_EEEEENSH_IJSG_SG_SG_EEES9_SI_JZNS1_25segmented_radix_sort_implINS0_14default_configELb0EPKfPfPKlPlN2at6native12_GLOBAL__N_18offset_tEEE10hipError_tPvRmT1_PNSt15iterator_traitsIS12_E10value_typeET2_T3_PNS13_IS18_E10value_typeET4_jRbjT5_S1E_jjP12ihipStream_tbEUljE_ZNSN_ISO_Lb0ESQ_SR_ST_SU_SY_EESZ_S10_S11_S12_S16_S17_S18_S1B_S1C_jS1D_jS1E_S1E_jjS1G_bEUljE0_EEESZ_S10_S11_S18_S1C_S1E_T6_T7_T9_mT8_S1G_bDpT10_ENKUlT_T0_E_clISt17integral_constantIbLb0EES1T_IbLb1EEEEDaS1P_S1Q_EUlS1P_E_NS1_11comp_targetILNS1_3genE5ELNS1_11target_archE942ELNS1_3gpuE9ELNS1_3repE0EEENS1_30default_config_static_selectorELNS0_4arch9wavefront6targetE0EEEvS12_
    .private_segment_fixed_size: 0
    .sgpr_count:     0
    .sgpr_spill_count: 0
    .symbol:         _ZN7rocprim17ROCPRIM_400000_NS6detail17trampoline_kernelINS0_13select_configILj256ELj13ELNS0_17block_load_methodE3ELS4_3ELS4_3ELNS0_20block_scan_algorithmE0ELj4294967295EEENS1_25partition_config_selectorILNS1_17partition_subalgoE4EjNS0_10empty_typeEbEEZZNS1_14partition_implILS8_4ELb0ES6_15HIP_vector_typeIjLj2EENS0_17counting_iteratorIjlEEPS9_SG_NS0_5tupleIJPjSI_NS0_16reverse_iteratorISI_EEEEENSH_IJSG_SG_SG_EEES9_SI_JZNS1_25segmented_radix_sort_implINS0_14default_configELb0EPKfPfPKlPlN2at6native12_GLOBAL__N_18offset_tEEE10hipError_tPvRmT1_PNSt15iterator_traitsIS12_E10value_typeET2_T3_PNS13_IS18_E10value_typeET4_jRbjT5_S1E_jjP12ihipStream_tbEUljE_ZNSN_ISO_Lb0ESQ_SR_ST_SU_SY_EESZ_S10_S11_S12_S16_S17_S18_S1B_S1C_jS1D_jS1E_S1E_jjS1G_bEUljE0_EEESZ_S10_S11_S18_S1C_S1E_T6_T7_T9_mT8_S1G_bDpT10_ENKUlT_T0_E_clISt17integral_constantIbLb0EES1T_IbLb1EEEEDaS1P_S1Q_EUlS1P_E_NS1_11comp_targetILNS1_3genE5ELNS1_11target_archE942ELNS1_3gpuE9ELNS1_3repE0EEENS1_30default_config_static_selectorELNS0_4arch9wavefront6targetE0EEEvS12_.kd
    .uniform_work_group_size: 1
    .uses_dynamic_stack: false
    .vgpr_count:     0
    .vgpr_spill_count: 0
    .wavefront_size: 32
  - .args:
      - .offset:         0
        .size:           184
        .value_kind:     by_value
    .group_segment_fixed_size: 0
    .kernarg_segment_align: 8
    .kernarg_segment_size: 184
    .language:       OpenCL C
    .language_version:
      - 2
      - 0
    .max_flat_workgroup_size: 256
    .name:           _ZN7rocprim17ROCPRIM_400000_NS6detail17trampoline_kernelINS0_13select_configILj256ELj13ELNS0_17block_load_methodE3ELS4_3ELS4_3ELNS0_20block_scan_algorithmE0ELj4294967295EEENS1_25partition_config_selectorILNS1_17partition_subalgoE4EjNS0_10empty_typeEbEEZZNS1_14partition_implILS8_4ELb0ES6_15HIP_vector_typeIjLj2EENS0_17counting_iteratorIjlEEPS9_SG_NS0_5tupleIJPjSI_NS0_16reverse_iteratorISI_EEEEENSH_IJSG_SG_SG_EEES9_SI_JZNS1_25segmented_radix_sort_implINS0_14default_configELb0EPKfPfPKlPlN2at6native12_GLOBAL__N_18offset_tEEE10hipError_tPvRmT1_PNSt15iterator_traitsIS12_E10value_typeET2_T3_PNS13_IS18_E10value_typeET4_jRbjT5_S1E_jjP12ihipStream_tbEUljE_ZNSN_ISO_Lb0ESQ_SR_ST_SU_SY_EESZ_S10_S11_S12_S16_S17_S18_S1B_S1C_jS1D_jS1E_S1E_jjS1G_bEUljE0_EEESZ_S10_S11_S18_S1C_S1E_T6_T7_T9_mT8_S1G_bDpT10_ENKUlT_T0_E_clISt17integral_constantIbLb0EES1T_IbLb1EEEEDaS1P_S1Q_EUlS1P_E_NS1_11comp_targetILNS1_3genE4ELNS1_11target_archE910ELNS1_3gpuE8ELNS1_3repE0EEENS1_30default_config_static_selectorELNS0_4arch9wavefront6targetE0EEEvS12_
    .private_segment_fixed_size: 0
    .sgpr_count:     0
    .sgpr_spill_count: 0
    .symbol:         _ZN7rocprim17ROCPRIM_400000_NS6detail17trampoline_kernelINS0_13select_configILj256ELj13ELNS0_17block_load_methodE3ELS4_3ELS4_3ELNS0_20block_scan_algorithmE0ELj4294967295EEENS1_25partition_config_selectorILNS1_17partition_subalgoE4EjNS0_10empty_typeEbEEZZNS1_14partition_implILS8_4ELb0ES6_15HIP_vector_typeIjLj2EENS0_17counting_iteratorIjlEEPS9_SG_NS0_5tupleIJPjSI_NS0_16reverse_iteratorISI_EEEEENSH_IJSG_SG_SG_EEES9_SI_JZNS1_25segmented_radix_sort_implINS0_14default_configELb0EPKfPfPKlPlN2at6native12_GLOBAL__N_18offset_tEEE10hipError_tPvRmT1_PNSt15iterator_traitsIS12_E10value_typeET2_T3_PNS13_IS18_E10value_typeET4_jRbjT5_S1E_jjP12ihipStream_tbEUljE_ZNSN_ISO_Lb0ESQ_SR_ST_SU_SY_EESZ_S10_S11_S12_S16_S17_S18_S1B_S1C_jS1D_jS1E_S1E_jjS1G_bEUljE0_EEESZ_S10_S11_S18_S1C_S1E_T6_T7_T9_mT8_S1G_bDpT10_ENKUlT_T0_E_clISt17integral_constantIbLb0EES1T_IbLb1EEEEDaS1P_S1Q_EUlS1P_E_NS1_11comp_targetILNS1_3genE4ELNS1_11target_archE910ELNS1_3gpuE8ELNS1_3repE0EEENS1_30default_config_static_selectorELNS0_4arch9wavefront6targetE0EEEvS12_.kd
    .uniform_work_group_size: 1
    .uses_dynamic_stack: false
    .vgpr_count:     0
    .vgpr_spill_count: 0
    .wavefront_size: 32
  - .args:
      - .offset:         0
        .size:           184
        .value_kind:     by_value
    .group_segment_fixed_size: 0
    .kernarg_segment_align: 8
    .kernarg_segment_size: 184
    .language:       OpenCL C
    .language_version:
      - 2
      - 0
    .max_flat_workgroup_size: 256
    .name:           _ZN7rocprim17ROCPRIM_400000_NS6detail17trampoline_kernelINS0_13select_configILj256ELj13ELNS0_17block_load_methodE3ELS4_3ELS4_3ELNS0_20block_scan_algorithmE0ELj4294967295EEENS1_25partition_config_selectorILNS1_17partition_subalgoE4EjNS0_10empty_typeEbEEZZNS1_14partition_implILS8_4ELb0ES6_15HIP_vector_typeIjLj2EENS0_17counting_iteratorIjlEEPS9_SG_NS0_5tupleIJPjSI_NS0_16reverse_iteratorISI_EEEEENSH_IJSG_SG_SG_EEES9_SI_JZNS1_25segmented_radix_sort_implINS0_14default_configELb0EPKfPfPKlPlN2at6native12_GLOBAL__N_18offset_tEEE10hipError_tPvRmT1_PNSt15iterator_traitsIS12_E10value_typeET2_T3_PNS13_IS18_E10value_typeET4_jRbjT5_S1E_jjP12ihipStream_tbEUljE_ZNSN_ISO_Lb0ESQ_SR_ST_SU_SY_EESZ_S10_S11_S12_S16_S17_S18_S1B_S1C_jS1D_jS1E_S1E_jjS1G_bEUljE0_EEESZ_S10_S11_S18_S1C_S1E_T6_T7_T9_mT8_S1G_bDpT10_ENKUlT_T0_E_clISt17integral_constantIbLb0EES1T_IbLb1EEEEDaS1P_S1Q_EUlS1P_E_NS1_11comp_targetILNS1_3genE3ELNS1_11target_archE908ELNS1_3gpuE7ELNS1_3repE0EEENS1_30default_config_static_selectorELNS0_4arch9wavefront6targetE0EEEvS12_
    .private_segment_fixed_size: 0
    .sgpr_count:     0
    .sgpr_spill_count: 0
    .symbol:         _ZN7rocprim17ROCPRIM_400000_NS6detail17trampoline_kernelINS0_13select_configILj256ELj13ELNS0_17block_load_methodE3ELS4_3ELS4_3ELNS0_20block_scan_algorithmE0ELj4294967295EEENS1_25partition_config_selectorILNS1_17partition_subalgoE4EjNS0_10empty_typeEbEEZZNS1_14partition_implILS8_4ELb0ES6_15HIP_vector_typeIjLj2EENS0_17counting_iteratorIjlEEPS9_SG_NS0_5tupleIJPjSI_NS0_16reverse_iteratorISI_EEEEENSH_IJSG_SG_SG_EEES9_SI_JZNS1_25segmented_radix_sort_implINS0_14default_configELb0EPKfPfPKlPlN2at6native12_GLOBAL__N_18offset_tEEE10hipError_tPvRmT1_PNSt15iterator_traitsIS12_E10value_typeET2_T3_PNS13_IS18_E10value_typeET4_jRbjT5_S1E_jjP12ihipStream_tbEUljE_ZNSN_ISO_Lb0ESQ_SR_ST_SU_SY_EESZ_S10_S11_S12_S16_S17_S18_S1B_S1C_jS1D_jS1E_S1E_jjS1G_bEUljE0_EEESZ_S10_S11_S18_S1C_S1E_T6_T7_T9_mT8_S1G_bDpT10_ENKUlT_T0_E_clISt17integral_constantIbLb0EES1T_IbLb1EEEEDaS1P_S1Q_EUlS1P_E_NS1_11comp_targetILNS1_3genE3ELNS1_11target_archE908ELNS1_3gpuE7ELNS1_3repE0EEENS1_30default_config_static_selectorELNS0_4arch9wavefront6targetE0EEEvS12_.kd
    .uniform_work_group_size: 1
    .uses_dynamic_stack: false
    .vgpr_count:     0
    .vgpr_spill_count: 0
    .wavefront_size: 32
  - .args:
      - .offset:         0
        .size:           184
        .value_kind:     by_value
    .group_segment_fixed_size: 0
    .kernarg_segment_align: 8
    .kernarg_segment_size: 184
    .language:       OpenCL C
    .language_version:
      - 2
      - 0
    .max_flat_workgroup_size: 256
    .name:           _ZN7rocprim17ROCPRIM_400000_NS6detail17trampoline_kernelINS0_13select_configILj256ELj13ELNS0_17block_load_methodE3ELS4_3ELS4_3ELNS0_20block_scan_algorithmE0ELj4294967295EEENS1_25partition_config_selectorILNS1_17partition_subalgoE4EjNS0_10empty_typeEbEEZZNS1_14partition_implILS8_4ELb0ES6_15HIP_vector_typeIjLj2EENS0_17counting_iteratorIjlEEPS9_SG_NS0_5tupleIJPjSI_NS0_16reverse_iteratorISI_EEEEENSH_IJSG_SG_SG_EEES9_SI_JZNS1_25segmented_radix_sort_implINS0_14default_configELb0EPKfPfPKlPlN2at6native12_GLOBAL__N_18offset_tEEE10hipError_tPvRmT1_PNSt15iterator_traitsIS12_E10value_typeET2_T3_PNS13_IS18_E10value_typeET4_jRbjT5_S1E_jjP12ihipStream_tbEUljE_ZNSN_ISO_Lb0ESQ_SR_ST_SU_SY_EESZ_S10_S11_S12_S16_S17_S18_S1B_S1C_jS1D_jS1E_S1E_jjS1G_bEUljE0_EEESZ_S10_S11_S18_S1C_S1E_T6_T7_T9_mT8_S1G_bDpT10_ENKUlT_T0_E_clISt17integral_constantIbLb0EES1T_IbLb1EEEEDaS1P_S1Q_EUlS1P_E_NS1_11comp_targetILNS1_3genE2ELNS1_11target_archE906ELNS1_3gpuE6ELNS1_3repE0EEENS1_30default_config_static_selectorELNS0_4arch9wavefront6targetE0EEEvS12_
    .private_segment_fixed_size: 0
    .sgpr_count:     0
    .sgpr_spill_count: 0
    .symbol:         _ZN7rocprim17ROCPRIM_400000_NS6detail17trampoline_kernelINS0_13select_configILj256ELj13ELNS0_17block_load_methodE3ELS4_3ELS4_3ELNS0_20block_scan_algorithmE0ELj4294967295EEENS1_25partition_config_selectorILNS1_17partition_subalgoE4EjNS0_10empty_typeEbEEZZNS1_14partition_implILS8_4ELb0ES6_15HIP_vector_typeIjLj2EENS0_17counting_iteratorIjlEEPS9_SG_NS0_5tupleIJPjSI_NS0_16reverse_iteratorISI_EEEEENSH_IJSG_SG_SG_EEES9_SI_JZNS1_25segmented_radix_sort_implINS0_14default_configELb0EPKfPfPKlPlN2at6native12_GLOBAL__N_18offset_tEEE10hipError_tPvRmT1_PNSt15iterator_traitsIS12_E10value_typeET2_T3_PNS13_IS18_E10value_typeET4_jRbjT5_S1E_jjP12ihipStream_tbEUljE_ZNSN_ISO_Lb0ESQ_SR_ST_SU_SY_EESZ_S10_S11_S12_S16_S17_S18_S1B_S1C_jS1D_jS1E_S1E_jjS1G_bEUljE0_EEESZ_S10_S11_S18_S1C_S1E_T6_T7_T9_mT8_S1G_bDpT10_ENKUlT_T0_E_clISt17integral_constantIbLb0EES1T_IbLb1EEEEDaS1P_S1Q_EUlS1P_E_NS1_11comp_targetILNS1_3genE2ELNS1_11target_archE906ELNS1_3gpuE6ELNS1_3repE0EEENS1_30default_config_static_selectorELNS0_4arch9wavefront6targetE0EEEvS12_.kd
    .uniform_work_group_size: 1
    .uses_dynamic_stack: false
    .vgpr_count:     0
    .vgpr_spill_count: 0
    .wavefront_size: 32
  - .args:
      - .offset:         0
        .size:           184
        .value_kind:     by_value
    .group_segment_fixed_size: 0
    .kernarg_segment_align: 8
    .kernarg_segment_size: 184
    .language:       OpenCL C
    .language_version:
      - 2
      - 0
    .max_flat_workgroup_size: 256
    .name:           _ZN7rocprim17ROCPRIM_400000_NS6detail17trampoline_kernelINS0_13select_configILj256ELj13ELNS0_17block_load_methodE3ELS4_3ELS4_3ELNS0_20block_scan_algorithmE0ELj4294967295EEENS1_25partition_config_selectorILNS1_17partition_subalgoE4EjNS0_10empty_typeEbEEZZNS1_14partition_implILS8_4ELb0ES6_15HIP_vector_typeIjLj2EENS0_17counting_iteratorIjlEEPS9_SG_NS0_5tupleIJPjSI_NS0_16reverse_iteratorISI_EEEEENSH_IJSG_SG_SG_EEES9_SI_JZNS1_25segmented_radix_sort_implINS0_14default_configELb0EPKfPfPKlPlN2at6native12_GLOBAL__N_18offset_tEEE10hipError_tPvRmT1_PNSt15iterator_traitsIS12_E10value_typeET2_T3_PNS13_IS18_E10value_typeET4_jRbjT5_S1E_jjP12ihipStream_tbEUljE_ZNSN_ISO_Lb0ESQ_SR_ST_SU_SY_EESZ_S10_S11_S12_S16_S17_S18_S1B_S1C_jS1D_jS1E_S1E_jjS1G_bEUljE0_EEESZ_S10_S11_S18_S1C_S1E_T6_T7_T9_mT8_S1G_bDpT10_ENKUlT_T0_E_clISt17integral_constantIbLb0EES1T_IbLb1EEEEDaS1P_S1Q_EUlS1P_E_NS1_11comp_targetILNS1_3genE10ELNS1_11target_archE1200ELNS1_3gpuE4ELNS1_3repE0EEENS1_30default_config_static_selectorELNS0_4arch9wavefront6targetE0EEEvS12_
    .private_segment_fixed_size: 0
    .sgpr_count:     0
    .sgpr_spill_count: 0
    .symbol:         _ZN7rocprim17ROCPRIM_400000_NS6detail17trampoline_kernelINS0_13select_configILj256ELj13ELNS0_17block_load_methodE3ELS4_3ELS4_3ELNS0_20block_scan_algorithmE0ELj4294967295EEENS1_25partition_config_selectorILNS1_17partition_subalgoE4EjNS0_10empty_typeEbEEZZNS1_14partition_implILS8_4ELb0ES6_15HIP_vector_typeIjLj2EENS0_17counting_iteratorIjlEEPS9_SG_NS0_5tupleIJPjSI_NS0_16reverse_iteratorISI_EEEEENSH_IJSG_SG_SG_EEES9_SI_JZNS1_25segmented_radix_sort_implINS0_14default_configELb0EPKfPfPKlPlN2at6native12_GLOBAL__N_18offset_tEEE10hipError_tPvRmT1_PNSt15iterator_traitsIS12_E10value_typeET2_T3_PNS13_IS18_E10value_typeET4_jRbjT5_S1E_jjP12ihipStream_tbEUljE_ZNSN_ISO_Lb0ESQ_SR_ST_SU_SY_EESZ_S10_S11_S12_S16_S17_S18_S1B_S1C_jS1D_jS1E_S1E_jjS1G_bEUljE0_EEESZ_S10_S11_S18_S1C_S1E_T6_T7_T9_mT8_S1G_bDpT10_ENKUlT_T0_E_clISt17integral_constantIbLb0EES1T_IbLb1EEEEDaS1P_S1Q_EUlS1P_E_NS1_11comp_targetILNS1_3genE10ELNS1_11target_archE1200ELNS1_3gpuE4ELNS1_3repE0EEENS1_30default_config_static_selectorELNS0_4arch9wavefront6targetE0EEEvS12_.kd
    .uniform_work_group_size: 1
    .uses_dynamic_stack: false
    .vgpr_count:     0
    .vgpr_spill_count: 0
    .wavefront_size: 32
  - .args:
      - .offset:         0
        .size:           184
        .value_kind:     by_value
    .group_segment_fixed_size: 0
    .kernarg_segment_align: 8
    .kernarg_segment_size: 184
    .language:       OpenCL C
    .language_version:
      - 2
      - 0
    .max_flat_workgroup_size: 256
    .name:           _ZN7rocprim17ROCPRIM_400000_NS6detail17trampoline_kernelINS0_13select_configILj256ELj13ELNS0_17block_load_methodE3ELS4_3ELS4_3ELNS0_20block_scan_algorithmE0ELj4294967295EEENS1_25partition_config_selectorILNS1_17partition_subalgoE4EjNS0_10empty_typeEbEEZZNS1_14partition_implILS8_4ELb0ES6_15HIP_vector_typeIjLj2EENS0_17counting_iteratorIjlEEPS9_SG_NS0_5tupleIJPjSI_NS0_16reverse_iteratorISI_EEEEENSH_IJSG_SG_SG_EEES9_SI_JZNS1_25segmented_radix_sort_implINS0_14default_configELb0EPKfPfPKlPlN2at6native12_GLOBAL__N_18offset_tEEE10hipError_tPvRmT1_PNSt15iterator_traitsIS12_E10value_typeET2_T3_PNS13_IS18_E10value_typeET4_jRbjT5_S1E_jjP12ihipStream_tbEUljE_ZNSN_ISO_Lb0ESQ_SR_ST_SU_SY_EESZ_S10_S11_S12_S16_S17_S18_S1B_S1C_jS1D_jS1E_S1E_jjS1G_bEUljE0_EEESZ_S10_S11_S18_S1C_S1E_T6_T7_T9_mT8_S1G_bDpT10_ENKUlT_T0_E_clISt17integral_constantIbLb0EES1T_IbLb1EEEEDaS1P_S1Q_EUlS1P_E_NS1_11comp_targetILNS1_3genE9ELNS1_11target_archE1100ELNS1_3gpuE3ELNS1_3repE0EEENS1_30default_config_static_selectorELNS0_4arch9wavefront6targetE0EEEvS12_
    .private_segment_fixed_size: 0
    .sgpr_count:     0
    .sgpr_spill_count: 0
    .symbol:         _ZN7rocprim17ROCPRIM_400000_NS6detail17trampoline_kernelINS0_13select_configILj256ELj13ELNS0_17block_load_methodE3ELS4_3ELS4_3ELNS0_20block_scan_algorithmE0ELj4294967295EEENS1_25partition_config_selectorILNS1_17partition_subalgoE4EjNS0_10empty_typeEbEEZZNS1_14partition_implILS8_4ELb0ES6_15HIP_vector_typeIjLj2EENS0_17counting_iteratorIjlEEPS9_SG_NS0_5tupleIJPjSI_NS0_16reverse_iteratorISI_EEEEENSH_IJSG_SG_SG_EEES9_SI_JZNS1_25segmented_radix_sort_implINS0_14default_configELb0EPKfPfPKlPlN2at6native12_GLOBAL__N_18offset_tEEE10hipError_tPvRmT1_PNSt15iterator_traitsIS12_E10value_typeET2_T3_PNS13_IS18_E10value_typeET4_jRbjT5_S1E_jjP12ihipStream_tbEUljE_ZNSN_ISO_Lb0ESQ_SR_ST_SU_SY_EESZ_S10_S11_S12_S16_S17_S18_S1B_S1C_jS1D_jS1E_S1E_jjS1G_bEUljE0_EEESZ_S10_S11_S18_S1C_S1E_T6_T7_T9_mT8_S1G_bDpT10_ENKUlT_T0_E_clISt17integral_constantIbLb0EES1T_IbLb1EEEEDaS1P_S1Q_EUlS1P_E_NS1_11comp_targetILNS1_3genE9ELNS1_11target_archE1100ELNS1_3gpuE3ELNS1_3repE0EEENS1_30default_config_static_selectorELNS0_4arch9wavefront6targetE0EEEvS12_.kd
    .uniform_work_group_size: 1
    .uses_dynamic_stack: false
    .vgpr_count:     0
    .vgpr_spill_count: 0
    .wavefront_size: 32
  - .args:
      - .offset:         0
        .size:           184
        .value_kind:     by_value
    .group_segment_fixed_size: 0
    .kernarg_segment_align: 8
    .kernarg_segment_size: 184
    .language:       OpenCL C
    .language_version:
      - 2
      - 0
    .max_flat_workgroup_size: 256
    .name:           _ZN7rocprim17ROCPRIM_400000_NS6detail17trampoline_kernelINS0_13select_configILj256ELj13ELNS0_17block_load_methodE3ELS4_3ELS4_3ELNS0_20block_scan_algorithmE0ELj4294967295EEENS1_25partition_config_selectorILNS1_17partition_subalgoE4EjNS0_10empty_typeEbEEZZNS1_14partition_implILS8_4ELb0ES6_15HIP_vector_typeIjLj2EENS0_17counting_iteratorIjlEEPS9_SG_NS0_5tupleIJPjSI_NS0_16reverse_iteratorISI_EEEEENSH_IJSG_SG_SG_EEES9_SI_JZNS1_25segmented_radix_sort_implINS0_14default_configELb0EPKfPfPKlPlN2at6native12_GLOBAL__N_18offset_tEEE10hipError_tPvRmT1_PNSt15iterator_traitsIS12_E10value_typeET2_T3_PNS13_IS18_E10value_typeET4_jRbjT5_S1E_jjP12ihipStream_tbEUljE_ZNSN_ISO_Lb0ESQ_SR_ST_SU_SY_EESZ_S10_S11_S12_S16_S17_S18_S1B_S1C_jS1D_jS1E_S1E_jjS1G_bEUljE0_EEESZ_S10_S11_S18_S1C_S1E_T6_T7_T9_mT8_S1G_bDpT10_ENKUlT_T0_E_clISt17integral_constantIbLb0EES1T_IbLb1EEEEDaS1P_S1Q_EUlS1P_E_NS1_11comp_targetILNS1_3genE8ELNS1_11target_archE1030ELNS1_3gpuE2ELNS1_3repE0EEENS1_30default_config_static_selectorELNS0_4arch9wavefront6targetE0EEEvS12_
    .private_segment_fixed_size: 0
    .sgpr_count:     0
    .sgpr_spill_count: 0
    .symbol:         _ZN7rocprim17ROCPRIM_400000_NS6detail17trampoline_kernelINS0_13select_configILj256ELj13ELNS0_17block_load_methodE3ELS4_3ELS4_3ELNS0_20block_scan_algorithmE0ELj4294967295EEENS1_25partition_config_selectorILNS1_17partition_subalgoE4EjNS0_10empty_typeEbEEZZNS1_14partition_implILS8_4ELb0ES6_15HIP_vector_typeIjLj2EENS0_17counting_iteratorIjlEEPS9_SG_NS0_5tupleIJPjSI_NS0_16reverse_iteratorISI_EEEEENSH_IJSG_SG_SG_EEES9_SI_JZNS1_25segmented_radix_sort_implINS0_14default_configELb0EPKfPfPKlPlN2at6native12_GLOBAL__N_18offset_tEEE10hipError_tPvRmT1_PNSt15iterator_traitsIS12_E10value_typeET2_T3_PNS13_IS18_E10value_typeET4_jRbjT5_S1E_jjP12ihipStream_tbEUljE_ZNSN_ISO_Lb0ESQ_SR_ST_SU_SY_EESZ_S10_S11_S12_S16_S17_S18_S1B_S1C_jS1D_jS1E_S1E_jjS1G_bEUljE0_EEESZ_S10_S11_S18_S1C_S1E_T6_T7_T9_mT8_S1G_bDpT10_ENKUlT_T0_E_clISt17integral_constantIbLb0EES1T_IbLb1EEEEDaS1P_S1Q_EUlS1P_E_NS1_11comp_targetILNS1_3genE8ELNS1_11target_archE1030ELNS1_3gpuE2ELNS1_3repE0EEENS1_30default_config_static_selectorELNS0_4arch9wavefront6targetE0EEEvS12_.kd
    .uniform_work_group_size: 1
    .uses_dynamic_stack: false
    .vgpr_count:     0
    .vgpr_spill_count: 0
    .wavefront_size: 32
  - .args:
      - .offset:         0
        .size:           144
        .value_kind:     by_value
    .group_segment_fixed_size: 13320
    .kernarg_segment_align: 8
    .kernarg_segment_size: 144
    .language:       OpenCL C
    .language_version:
      - 2
      - 0
    .max_flat_workgroup_size: 256
    .name:           _ZN7rocprim17ROCPRIM_400000_NS6detail17trampoline_kernelINS0_13select_configILj256ELj13ELNS0_17block_load_methodE3ELS4_3ELS4_3ELNS0_20block_scan_algorithmE0ELj4294967295EEENS1_25partition_config_selectorILNS1_17partition_subalgoE3EjNS0_10empty_typeEbEEZZNS1_14partition_implILS8_3ELb0ES6_jNS0_17counting_iteratorIjlEEPS9_SE_NS0_5tupleIJPjSE_EEENSF_IJSE_SE_EEES9_SG_JZNS1_25segmented_radix_sort_implINS0_14default_configELb0EPKfPfPKlPlN2at6native12_GLOBAL__N_18offset_tEEE10hipError_tPvRmT1_PNSt15iterator_traitsISY_E10value_typeET2_T3_PNSZ_IS14_E10value_typeET4_jRbjT5_S1A_jjP12ihipStream_tbEUljE_EEESV_SW_SX_S14_S18_S1A_T6_T7_T9_mT8_S1C_bDpT10_ENKUlT_T0_E_clISt17integral_constantIbLb0EES1P_EEDaS1K_S1L_EUlS1K_E_NS1_11comp_targetILNS1_3genE0ELNS1_11target_archE4294967295ELNS1_3gpuE0ELNS1_3repE0EEENS1_30default_config_static_selectorELNS0_4arch9wavefront6targetE0EEEvSY_
    .private_segment_fixed_size: 0
    .sgpr_count:     28
    .sgpr_spill_count: 0
    .symbol:         _ZN7rocprim17ROCPRIM_400000_NS6detail17trampoline_kernelINS0_13select_configILj256ELj13ELNS0_17block_load_methodE3ELS4_3ELS4_3ELNS0_20block_scan_algorithmE0ELj4294967295EEENS1_25partition_config_selectorILNS1_17partition_subalgoE3EjNS0_10empty_typeEbEEZZNS1_14partition_implILS8_3ELb0ES6_jNS0_17counting_iteratorIjlEEPS9_SE_NS0_5tupleIJPjSE_EEENSF_IJSE_SE_EEES9_SG_JZNS1_25segmented_radix_sort_implINS0_14default_configELb0EPKfPfPKlPlN2at6native12_GLOBAL__N_18offset_tEEE10hipError_tPvRmT1_PNSt15iterator_traitsISY_E10value_typeET2_T3_PNSZ_IS14_E10value_typeET4_jRbjT5_S1A_jjP12ihipStream_tbEUljE_EEESV_SW_SX_S14_S18_S1A_T6_T7_T9_mT8_S1C_bDpT10_ENKUlT_T0_E_clISt17integral_constantIbLb0EES1P_EEDaS1K_S1L_EUlS1K_E_NS1_11comp_targetILNS1_3genE0ELNS1_11target_archE4294967295ELNS1_3gpuE0ELNS1_3repE0EEENS1_30default_config_static_selectorELNS0_4arch9wavefront6targetE0EEEvSY_.kd
    .uniform_work_group_size: 1
    .uses_dynamic_stack: false
    .vgpr_count:     69
    .vgpr_spill_count: 0
    .wavefront_size: 32
  - .args:
      - .offset:         0
        .size:           144
        .value_kind:     by_value
    .group_segment_fixed_size: 0
    .kernarg_segment_align: 8
    .kernarg_segment_size: 144
    .language:       OpenCL C
    .language_version:
      - 2
      - 0
    .max_flat_workgroup_size: 256
    .name:           _ZN7rocprim17ROCPRIM_400000_NS6detail17trampoline_kernelINS0_13select_configILj256ELj13ELNS0_17block_load_methodE3ELS4_3ELS4_3ELNS0_20block_scan_algorithmE0ELj4294967295EEENS1_25partition_config_selectorILNS1_17partition_subalgoE3EjNS0_10empty_typeEbEEZZNS1_14partition_implILS8_3ELb0ES6_jNS0_17counting_iteratorIjlEEPS9_SE_NS0_5tupleIJPjSE_EEENSF_IJSE_SE_EEES9_SG_JZNS1_25segmented_radix_sort_implINS0_14default_configELb0EPKfPfPKlPlN2at6native12_GLOBAL__N_18offset_tEEE10hipError_tPvRmT1_PNSt15iterator_traitsISY_E10value_typeET2_T3_PNSZ_IS14_E10value_typeET4_jRbjT5_S1A_jjP12ihipStream_tbEUljE_EEESV_SW_SX_S14_S18_S1A_T6_T7_T9_mT8_S1C_bDpT10_ENKUlT_T0_E_clISt17integral_constantIbLb0EES1P_EEDaS1K_S1L_EUlS1K_E_NS1_11comp_targetILNS1_3genE5ELNS1_11target_archE942ELNS1_3gpuE9ELNS1_3repE0EEENS1_30default_config_static_selectorELNS0_4arch9wavefront6targetE0EEEvSY_
    .private_segment_fixed_size: 0
    .sgpr_count:     0
    .sgpr_spill_count: 0
    .symbol:         _ZN7rocprim17ROCPRIM_400000_NS6detail17trampoline_kernelINS0_13select_configILj256ELj13ELNS0_17block_load_methodE3ELS4_3ELS4_3ELNS0_20block_scan_algorithmE0ELj4294967295EEENS1_25partition_config_selectorILNS1_17partition_subalgoE3EjNS0_10empty_typeEbEEZZNS1_14partition_implILS8_3ELb0ES6_jNS0_17counting_iteratorIjlEEPS9_SE_NS0_5tupleIJPjSE_EEENSF_IJSE_SE_EEES9_SG_JZNS1_25segmented_radix_sort_implINS0_14default_configELb0EPKfPfPKlPlN2at6native12_GLOBAL__N_18offset_tEEE10hipError_tPvRmT1_PNSt15iterator_traitsISY_E10value_typeET2_T3_PNSZ_IS14_E10value_typeET4_jRbjT5_S1A_jjP12ihipStream_tbEUljE_EEESV_SW_SX_S14_S18_S1A_T6_T7_T9_mT8_S1C_bDpT10_ENKUlT_T0_E_clISt17integral_constantIbLb0EES1P_EEDaS1K_S1L_EUlS1K_E_NS1_11comp_targetILNS1_3genE5ELNS1_11target_archE942ELNS1_3gpuE9ELNS1_3repE0EEENS1_30default_config_static_selectorELNS0_4arch9wavefront6targetE0EEEvSY_.kd
    .uniform_work_group_size: 1
    .uses_dynamic_stack: false
    .vgpr_count:     0
    .vgpr_spill_count: 0
    .wavefront_size: 32
  - .args:
      - .offset:         0
        .size:           144
        .value_kind:     by_value
    .group_segment_fixed_size: 0
    .kernarg_segment_align: 8
    .kernarg_segment_size: 144
    .language:       OpenCL C
    .language_version:
      - 2
      - 0
    .max_flat_workgroup_size: 256
    .name:           _ZN7rocprim17ROCPRIM_400000_NS6detail17trampoline_kernelINS0_13select_configILj256ELj13ELNS0_17block_load_methodE3ELS4_3ELS4_3ELNS0_20block_scan_algorithmE0ELj4294967295EEENS1_25partition_config_selectorILNS1_17partition_subalgoE3EjNS0_10empty_typeEbEEZZNS1_14partition_implILS8_3ELb0ES6_jNS0_17counting_iteratorIjlEEPS9_SE_NS0_5tupleIJPjSE_EEENSF_IJSE_SE_EEES9_SG_JZNS1_25segmented_radix_sort_implINS0_14default_configELb0EPKfPfPKlPlN2at6native12_GLOBAL__N_18offset_tEEE10hipError_tPvRmT1_PNSt15iterator_traitsISY_E10value_typeET2_T3_PNSZ_IS14_E10value_typeET4_jRbjT5_S1A_jjP12ihipStream_tbEUljE_EEESV_SW_SX_S14_S18_S1A_T6_T7_T9_mT8_S1C_bDpT10_ENKUlT_T0_E_clISt17integral_constantIbLb0EES1P_EEDaS1K_S1L_EUlS1K_E_NS1_11comp_targetILNS1_3genE4ELNS1_11target_archE910ELNS1_3gpuE8ELNS1_3repE0EEENS1_30default_config_static_selectorELNS0_4arch9wavefront6targetE0EEEvSY_
    .private_segment_fixed_size: 0
    .sgpr_count:     0
    .sgpr_spill_count: 0
    .symbol:         _ZN7rocprim17ROCPRIM_400000_NS6detail17trampoline_kernelINS0_13select_configILj256ELj13ELNS0_17block_load_methodE3ELS4_3ELS4_3ELNS0_20block_scan_algorithmE0ELj4294967295EEENS1_25partition_config_selectorILNS1_17partition_subalgoE3EjNS0_10empty_typeEbEEZZNS1_14partition_implILS8_3ELb0ES6_jNS0_17counting_iteratorIjlEEPS9_SE_NS0_5tupleIJPjSE_EEENSF_IJSE_SE_EEES9_SG_JZNS1_25segmented_radix_sort_implINS0_14default_configELb0EPKfPfPKlPlN2at6native12_GLOBAL__N_18offset_tEEE10hipError_tPvRmT1_PNSt15iterator_traitsISY_E10value_typeET2_T3_PNSZ_IS14_E10value_typeET4_jRbjT5_S1A_jjP12ihipStream_tbEUljE_EEESV_SW_SX_S14_S18_S1A_T6_T7_T9_mT8_S1C_bDpT10_ENKUlT_T0_E_clISt17integral_constantIbLb0EES1P_EEDaS1K_S1L_EUlS1K_E_NS1_11comp_targetILNS1_3genE4ELNS1_11target_archE910ELNS1_3gpuE8ELNS1_3repE0EEENS1_30default_config_static_selectorELNS0_4arch9wavefront6targetE0EEEvSY_.kd
    .uniform_work_group_size: 1
    .uses_dynamic_stack: false
    .vgpr_count:     0
    .vgpr_spill_count: 0
    .wavefront_size: 32
  - .args:
      - .offset:         0
        .size:           144
        .value_kind:     by_value
    .group_segment_fixed_size: 0
    .kernarg_segment_align: 8
    .kernarg_segment_size: 144
    .language:       OpenCL C
    .language_version:
      - 2
      - 0
    .max_flat_workgroup_size: 256
    .name:           _ZN7rocprim17ROCPRIM_400000_NS6detail17trampoline_kernelINS0_13select_configILj256ELj13ELNS0_17block_load_methodE3ELS4_3ELS4_3ELNS0_20block_scan_algorithmE0ELj4294967295EEENS1_25partition_config_selectorILNS1_17partition_subalgoE3EjNS0_10empty_typeEbEEZZNS1_14partition_implILS8_3ELb0ES6_jNS0_17counting_iteratorIjlEEPS9_SE_NS0_5tupleIJPjSE_EEENSF_IJSE_SE_EEES9_SG_JZNS1_25segmented_radix_sort_implINS0_14default_configELb0EPKfPfPKlPlN2at6native12_GLOBAL__N_18offset_tEEE10hipError_tPvRmT1_PNSt15iterator_traitsISY_E10value_typeET2_T3_PNSZ_IS14_E10value_typeET4_jRbjT5_S1A_jjP12ihipStream_tbEUljE_EEESV_SW_SX_S14_S18_S1A_T6_T7_T9_mT8_S1C_bDpT10_ENKUlT_T0_E_clISt17integral_constantIbLb0EES1P_EEDaS1K_S1L_EUlS1K_E_NS1_11comp_targetILNS1_3genE3ELNS1_11target_archE908ELNS1_3gpuE7ELNS1_3repE0EEENS1_30default_config_static_selectorELNS0_4arch9wavefront6targetE0EEEvSY_
    .private_segment_fixed_size: 0
    .sgpr_count:     0
    .sgpr_spill_count: 0
    .symbol:         _ZN7rocprim17ROCPRIM_400000_NS6detail17trampoline_kernelINS0_13select_configILj256ELj13ELNS0_17block_load_methodE3ELS4_3ELS4_3ELNS0_20block_scan_algorithmE0ELj4294967295EEENS1_25partition_config_selectorILNS1_17partition_subalgoE3EjNS0_10empty_typeEbEEZZNS1_14partition_implILS8_3ELb0ES6_jNS0_17counting_iteratorIjlEEPS9_SE_NS0_5tupleIJPjSE_EEENSF_IJSE_SE_EEES9_SG_JZNS1_25segmented_radix_sort_implINS0_14default_configELb0EPKfPfPKlPlN2at6native12_GLOBAL__N_18offset_tEEE10hipError_tPvRmT1_PNSt15iterator_traitsISY_E10value_typeET2_T3_PNSZ_IS14_E10value_typeET4_jRbjT5_S1A_jjP12ihipStream_tbEUljE_EEESV_SW_SX_S14_S18_S1A_T6_T7_T9_mT8_S1C_bDpT10_ENKUlT_T0_E_clISt17integral_constantIbLb0EES1P_EEDaS1K_S1L_EUlS1K_E_NS1_11comp_targetILNS1_3genE3ELNS1_11target_archE908ELNS1_3gpuE7ELNS1_3repE0EEENS1_30default_config_static_selectorELNS0_4arch9wavefront6targetE0EEEvSY_.kd
    .uniform_work_group_size: 1
    .uses_dynamic_stack: false
    .vgpr_count:     0
    .vgpr_spill_count: 0
    .wavefront_size: 32
  - .args:
      - .offset:         0
        .size:           144
        .value_kind:     by_value
    .group_segment_fixed_size: 0
    .kernarg_segment_align: 8
    .kernarg_segment_size: 144
    .language:       OpenCL C
    .language_version:
      - 2
      - 0
    .max_flat_workgroup_size: 256
    .name:           _ZN7rocprim17ROCPRIM_400000_NS6detail17trampoline_kernelINS0_13select_configILj256ELj13ELNS0_17block_load_methodE3ELS4_3ELS4_3ELNS0_20block_scan_algorithmE0ELj4294967295EEENS1_25partition_config_selectorILNS1_17partition_subalgoE3EjNS0_10empty_typeEbEEZZNS1_14partition_implILS8_3ELb0ES6_jNS0_17counting_iteratorIjlEEPS9_SE_NS0_5tupleIJPjSE_EEENSF_IJSE_SE_EEES9_SG_JZNS1_25segmented_radix_sort_implINS0_14default_configELb0EPKfPfPKlPlN2at6native12_GLOBAL__N_18offset_tEEE10hipError_tPvRmT1_PNSt15iterator_traitsISY_E10value_typeET2_T3_PNSZ_IS14_E10value_typeET4_jRbjT5_S1A_jjP12ihipStream_tbEUljE_EEESV_SW_SX_S14_S18_S1A_T6_T7_T9_mT8_S1C_bDpT10_ENKUlT_T0_E_clISt17integral_constantIbLb0EES1P_EEDaS1K_S1L_EUlS1K_E_NS1_11comp_targetILNS1_3genE2ELNS1_11target_archE906ELNS1_3gpuE6ELNS1_3repE0EEENS1_30default_config_static_selectorELNS0_4arch9wavefront6targetE0EEEvSY_
    .private_segment_fixed_size: 0
    .sgpr_count:     0
    .sgpr_spill_count: 0
    .symbol:         _ZN7rocprim17ROCPRIM_400000_NS6detail17trampoline_kernelINS0_13select_configILj256ELj13ELNS0_17block_load_methodE3ELS4_3ELS4_3ELNS0_20block_scan_algorithmE0ELj4294967295EEENS1_25partition_config_selectorILNS1_17partition_subalgoE3EjNS0_10empty_typeEbEEZZNS1_14partition_implILS8_3ELb0ES6_jNS0_17counting_iteratorIjlEEPS9_SE_NS0_5tupleIJPjSE_EEENSF_IJSE_SE_EEES9_SG_JZNS1_25segmented_radix_sort_implINS0_14default_configELb0EPKfPfPKlPlN2at6native12_GLOBAL__N_18offset_tEEE10hipError_tPvRmT1_PNSt15iterator_traitsISY_E10value_typeET2_T3_PNSZ_IS14_E10value_typeET4_jRbjT5_S1A_jjP12ihipStream_tbEUljE_EEESV_SW_SX_S14_S18_S1A_T6_T7_T9_mT8_S1C_bDpT10_ENKUlT_T0_E_clISt17integral_constantIbLb0EES1P_EEDaS1K_S1L_EUlS1K_E_NS1_11comp_targetILNS1_3genE2ELNS1_11target_archE906ELNS1_3gpuE6ELNS1_3repE0EEENS1_30default_config_static_selectorELNS0_4arch9wavefront6targetE0EEEvSY_.kd
    .uniform_work_group_size: 1
    .uses_dynamic_stack: false
    .vgpr_count:     0
    .vgpr_spill_count: 0
    .wavefront_size: 32
  - .args:
      - .offset:         0
        .size:           144
        .value_kind:     by_value
    .group_segment_fixed_size: 0
    .kernarg_segment_align: 8
    .kernarg_segment_size: 144
    .language:       OpenCL C
    .language_version:
      - 2
      - 0
    .max_flat_workgroup_size: 256
    .name:           _ZN7rocprim17ROCPRIM_400000_NS6detail17trampoline_kernelINS0_13select_configILj256ELj13ELNS0_17block_load_methodE3ELS4_3ELS4_3ELNS0_20block_scan_algorithmE0ELj4294967295EEENS1_25partition_config_selectorILNS1_17partition_subalgoE3EjNS0_10empty_typeEbEEZZNS1_14partition_implILS8_3ELb0ES6_jNS0_17counting_iteratorIjlEEPS9_SE_NS0_5tupleIJPjSE_EEENSF_IJSE_SE_EEES9_SG_JZNS1_25segmented_radix_sort_implINS0_14default_configELb0EPKfPfPKlPlN2at6native12_GLOBAL__N_18offset_tEEE10hipError_tPvRmT1_PNSt15iterator_traitsISY_E10value_typeET2_T3_PNSZ_IS14_E10value_typeET4_jRbjT5_S1A_jjP12ihipStream_tbEUljE_EEESV_SW_SX_S14_S18_S1A_T6_T7_T9_mT8_S1C_bDpT10_ENKUlT_T0_E_clISt17integral_constantIbLb0EES1P_EEDaS1K_S1L_EUlS1K_E_NS1_11comp_targetILNS1_3genE10ELNS1_11target_archE1200ELNS1_3gpuE4ELNS1_3repE0EEENS1_30default_config_static_selectorELNS0_4arch9wavefront6targetE0EEEvSY_
    .private_segment_fixed_size: 0
    .sgpr_count:     0
    .sgpr_spill_count: 0
    .symbol:         _ZN7rocprim17ROCPRIM_400000_NS6detail17trampoline_kernelINS0_13select_configILj256ELj13ELNS0_17block_load_methodE3ELS4_3ELS4_3ELNS0_20block_scan_algorithmE0ELj4294967295EEENS1_25partition_config_selectorILNS1_17partition_subalgoE3EjNS0_10empty_typeEbEEZZNS1_14partition_implILS8_3ELb0ES6_jNS0_17counting_iteratorIjlEEPS9_SE_NS0_5tupleIJPjSE_EEENSF_IJSE_SE_EEES9_SG_JZNS1_25segmented_radix_sort_implINS0_14default_configELb0EPKfPfPKlPlN2at6native12_GLOBAL__N_18offset_tEEE10hipError_tPvRmT1_PNSt15iterator_traitsISY_E10value_typeET2_T3_PNSZ_IS14_E10value_typeET4_jRbjT5_S1A_jjP12ihipStream_tbEUljE_EEESV_SW_SX_S14_S18_S1A_T6_T7_T9_mT8_S1C_bDpT10_ENKUlT_T0_E_clISt17integral_constantIbLb0EES1P_EEDaS1K_S1L_EUlS1K_E_NS1_11comp_targetILNS1_3genE10ELNS1_11target_archE1200ELNS1_3gpuE4ELNS1_3repE0EEENS1_30default_config_static_selectorELNS0_4arch9wavefront6targetE0EEEvSY_.kd
    .uniform_work_group_size: 1
    .uses_dynamic_stack: false
    .vgpr_count:     0
    .vgpr_spill_count: 0
    .wavefront_size: 32
  - .args:
      - .offset:         0
        .size:           144
        .value_kind:     by_value
    .group_segment_fixed_size: 0
    .kernarg_segment_align: 8
    .kernarg_segment_size: 144
    .language:       OpenCL C
    .language_version:
      - 2
      - 0
    .max_flat_workgroup_size: 256
    .name:           _ZN7rocprim17ROCPRIM_400000_NS6detail17trampoline_kernelINS0_13select_configILj256ELj13ELNS0_17block_load_methodE3ELS4_3ELS4_3ELNS0_20block_scan_algorithmE0ELj4294967295EEENS1_25partition_config_selectorILNS1_17partition_subalgoE3EjNS0_10empty_typeEbEEZZNS1_14partition_implILS8_3ELb0ES6_jNS0_17counting_iteratorIjlEEPS9_SE_NS0_5tupleIJPjSE_EEENSF_IJSE_SE_EEES9_SG_JZNS1_25segmented_radix_sort_implINS0_14default_configELb0EPKfPfPKlPlN2at6native12_GLOBAL__N_18offset_tEEE10hipError_tPvRmT1_PNSt15iterator_traitsISY_E10value_typeET2_T3_PNSZ_IS14_E10value_typeET4_jRbjT5_S1A_jjP12ihipStream_tbEUljE_EEESV_SW_SX_S14_S18_S1A_T6_T7_T9_mT8_S1C_bDpT10_ENKUlT_T0_E_clISt17integral_constantIbLb0EES1P_EEDaS1K_S1L_EUlS1K_E_NS1_11comp_targetILNS1_3genE9ELNS1_11target_archE1100ELNS1_3gpuE3ELNS1_3repE0EEENS1_30default_config_static_selectorELNS0_4arch9wavefront6targetE0EEEvSY_
    .private_segment_fixed_size: 0
    .sgpr_count:     0
    .sgpr_spill_count: 0
    .symbol:         _ZN7rocprim17ROCPRIM_400000_NS6detail17trampoline_kernelINS0_13select_configILj256ELj13ELNS0_17block_load_methodE3ELS4_3ELS4_3ELNS0_20block_scan_algorithmE0ELj4294967295EEENS1_25partition_config_selectorILNS1_17partition_subalgoE3EjNS0_10empty_typeEbEEZZNS1_14partition_implILS8_3ELb0ES6_jNS0_17counting_iteratorIjlEEPS9_SE_NS0_5tupleIJPjSE_EEENSF_IJSE_SE_EEES9_SG_JZNS1_25segmented_radix_sort_implINS0_14default_configELb0EPKfPfPKlPlN2at6native12_GLOBAL__N_18offset_tEEE10hipError_tPvRmT1_PNSt15iterator_traitsISY_E10value_typeET2_T3_PNSZ_IS14_E10value_typeET4_jRbjT5_S1A_jjP12ihipStream_tbEUljE_EEESV_SW_SX_S14_S18_S1A_T6_T7_T9_mT8_S1C_bDpT10_ENKUlT_T0_E_clISt17integral_constantIbLb0EES1P_EEDaS1K_S1L_EUlS1K_E_NS1_11comp_targetILNS1_3genE9ELNS1_11target_archE1100ELNS1_3gpuE3ELNS1_3repE0EEENS1_30default_config_static_selectorELNS0_4arch9wavefront6targetE0EEEvSY_.kd
    .uniform_work_group_size: 1
    .uses_dynamic_stack: false
    .vgpr_count:     0
    .vgpr_spill_count: 0
    .wavefront_size: 32
  - .args:
      - .offset:         0
        .size:           144
        .value_kind:     by_value
    .group_segment_fixed_size: 0
    .kernarg_segment_align: 8
    .kernarg_segment_size: 144
    .language:       OpenCL C
    .language_version:
      - 2
      - 0
    .max_flat_workgroup_size: 256
    .name:           _ZN7rocprim17ROCPRIM_400000_NS6detail17trampoline_kernelINS0_13select_configILj256ELj13ELNS0_17block_load_methodE3ELS4_3ELS4_3ELNS0_20block_scan_algorithmE0ELj4294967295EEENS1_25partition_config_selectorILNS1_17partition_subalgoE3EjNS0_10empty_typeEbEEZZNS1_14partition_implILS8_3ELb0ES6_jNS0_17counting_iteratorIjlEEPS9_SE_NS0_5tupleIJPjSE_EEENSF_IJSE_SE_EEES9_SG_JZNS1_25segmented_radix_sort_implINS0_14default_configELb0EPKfPfPKlPlN2at6native12_GLOBAL__N_18offset_tEEE10hipError_tPvRmT1_PNSt15iterator_traitsISY_E10value_typeET2_T3_PNSZ_IS14_E10value_typeET4_jRbjT5_S1A_jjP12ihipStream_tbEUljE_EEESV_SW_SX_S14_S18_S1A_T6_T7_T9_mT8_S1C_bDpT10_ENKUlT_T0_E_clISt17integral_constantIbLb0EES1P_EEDaS1K_S1L_EUlS1K_E_NS1_11comp_targetILNS1_3genE8ELNS1_11target_archE1030ELNS1_3gpuE2ELNS1_3repE0EEENS1_30default_config_static_selectorELNS0_4arch9wavefront6targetE0EEEvSY_
    .private_segment_fixed_size: 0
    .sgpr_count:     0
    .sgpr_spill_count: 0
    .symbol:         _ZN7rocprim17ROCPRIM_400000_NS6detail17trampoline_kernelINS0_13select_configILj256ELj13ELNS0_17block_load_methodE3ELS4_3ELS4_3ELNS0_20block_scan_algorithmE0ELj4294967295EEENS1_25partition_config_selectorILNS1_17partition_subalgoE3EjNS0_10empty_typeEbEEZZNS1_14partition_implILS8_3ELb0ES6_jNS0_17counting_iteratorIjlEEPS9_SE_NS0_5tupleIJPjSE_EEENSF_IJSE_SE_EEES9_SG_JZNS1_25segmented_radix_sort_implINS0_14default_configELb0EPKfPfPKlPlN2at6native12_GLOBAL__N_18offset_tEEE10hipError_tPvRmT1_PNSt15iterator_traitsISY_E10value_typeET2_T3_PNSZ_IS14_E10value_typeET4_jRbjT5_S1A_jjP12ihipStream_tbEUljE_EEESV_SW_SX_S14_S18_S1A_T6_T7_T9_mT8_S1C_bDpT10_ENKUlT_T0_E_clISt17integral_constantIbLb0EES1P_EEDaS1K_S1L_EUlS1K_E_NS1_11comp_targetILNS1_3genE8ELNS1_11target_archE1030ELNS1_3gpuE2ELNS1_3repE0EEENS1_30default_config_static_selectorELNS0_4arch9wavefront6targetE0EEEvSY_.kd
    .uniform_work_group_size: 1
    .uses_dynamic_stack: false
    .vgpr_count:     0
    .vgpr_spill_count: 0
    .wavefront_size: 32
  - .args:
      - .offset:         0
        .size:           152
        .value_kind:     by_value
    .group_segment_fixed_size: 0
    .kernarg_segment_align: 8
    .kernarg_segment_size: 152
    .language:       OpenCL C
    .language_version:
      - 2
      - 0
    .max_flat_workgroup_size: 256
    .name:           _ZN7rocprim17ROCPRIM_400000_NS6detail17trampoline_kernelINS0_13select_configILj256ELj13ELNS0_17block_load_methodE3ELS4_3ELS4_3ELNS0_20block_scan_algorithmE0ELj4294967295EEENS1_25partition_config_selectorILNS1_17partition_subalgoE3EjNS0_10empty_typeEbEEZZNS1_14partition_implILS8_3ELb0ES6_jNS0_17counting_iteratorIjlEEPS9_SE_NS0_5tupleIJPjSE_EEENSF_IJSE_SE_EEES9_SG_JZNS1_25segmented_radix_sort_implINS0_14default_configELb0EPKfPfPKlPlN2at6native12_GLOBAL__N_18offset_tEEE10hipError_tPvRmT1_PNSt15iterator_traitsISY_E10value_typeET2_T3_PNSZ_IS14_E10value_typeET4_jRbjT5_S1A_jjP12ihipStream_tbEUljE_EEESV_SW_SX_S14_S18_S1A_T6_T7_T9_mT8_S1C_bDpT10_ENKUlT_T0_E_clISt17integral_constantIbLb1EES1P_EEDaS1K_S1L_EUlS1K_E_NS1_11comp_targetILNS1_3genE0ELNS1_11target_archE4294967295ELNS1_3gpuE0ELNS1_3repE0EEENS1_30default_config_static_selectorELNS0_4arch9wavefront6targetE0EEEvSY_
    .private_segment_fixed_size: 0
    .sgpr_count:     0
    .sgpr_spill_count: 0
    .symbol:         _ZN7rocprim17ROCPRIM_400000_NS6detail17trampoline_kernelINS0_13select_configILj256ELj13ELNS0_17block_load_methodE3ELS4_3ELS4_3ELNS0_20block_scan_algorithmE0ELj4294967295EEENS1_25partition_config_selectorILNS1_17partition_subalgoE3EjNS0_10empty_typeEbEEZZNS1_14partition_implILS8_3ELb0ES6_jNS0_17counting_iteratorIjlEEPS9_SE_NS0_5tupleIJPjSE_EEENSF_IJSE_SE_EEES9_SG_JZNS1_25segmented_radix_sort_implINS0_14default_configELb0EPKfPfPKlPlN2at6native12_GLOBAL__N_18offset_tEEE10hipError_tPvRmT1_PNSt15iterator_traitsISY_E10value_typeET2_T3_PNSZ_IS14_E10value_typeET4_jRbjT5_S1A_jjP12ihipStream_tbEUljE_EEESV_SW_SX_S14_S18_S1A_T6_T7_T9_mT8_S1C_bDpT10_ENKUlT_T0_E_clISt17integral_constantIbLb1EES1P_EEDaS1K_S1L_EUlS1K_E_NS1_11comp_targetILNS1_3genE0ELNS1_11target_archE4294967295ELNS1_3gpuE0ELNS1_3repE0EEENS1_30default_config_static_selectorELNS0_4arch9wavefront6targetE0EEEvSY_.kd
    .uniform_work_group_size: 1
    .uses_dynamic_stack: false
    .vgpr_count:     0
    .vgpr_spill_count: 0
    .wavefront_size: 32
  - .args:
      - .offset:         0
        .size:           152
        .value_kind:     by_value
    .group_segment_fixed_size: 0
    .kernarg_segment_align: 8
    .kernarg_segment_size: 152
    .language:       OpenCL C
    .language_version:
      - 2
      - 0
    .max_flat_workgroup_size: 256
    .name:           _ZN7rocprim17ROCPRIM_400000_NS6detail17trampoline_kernelINS0_13select_configILj256ELj13ELNS0_17block_load_methodE3ELS4_3ELS4_3ELNS0_20block_scan_algorithmE0ELj4294967295EEENS1_25partition_config_selectorILNS1_17partition_subalgoE3EjNS0_10empty_typeEbEEZZNS1_14partition_implILS8_3ELb0ES6_jNS0_17counting_iteratorIjlEEPS9_SE_NS0_5tupleIJPjSE_EEENSF_IJSE_SE_EEES9_SG_JZNS1_25segmented_radix_sort_implINS0_14default_configELb0EPKfPfPKlPlN2at6native12_GLOBAL__N_18offset_tEEE10hipError_tPvRmT1_PNSt15iterator_traitsISY_E10value_typeET2_T3_PNSZ_IS14_E10value_typeET4_jRbjT5_S1A_jjP12ihipStream_tbEUljE_EEESV_SW_SX_S14_S18_S1A_T6_T7_T9_mT8_S1C_bDpT10_ENKUlT_T0_E_clISt17integral_constantIbLb1EES1P_EEDaS1K_S1L_EUlS1K_E_NS1_11comp_targetILNS1_3genE5ELNS1_11target_archE942ELNS1_3gpuE9ELNS1_3repE0EEENS1_30default_config_static_selectorELNS0_4arch9wavefront6targetE0EEEvSY_
    .private_segment_fixed_size: 0
    .sgpr_count:     0
    .sgpr_spill_count: 0
    .symbol:         _ZN7rocprim17ROCPRIM_400000_NS6detail17trampoline_kernelINS0_13select_configILj256ELj13ELNS0_17block_load_methodE3ELS4_3ELS4_3ELNS0_20block_scan_algorithmE0ELj4294967295EEENS1_25partition_config_selectorILNS1_17partition_subalgoE3EjNS0_10empty_typeEbEEZZNS1_14partition_implILS8_3ELb0ES6_jNS0_17counting_iteratorIjlEEPS9_SE_NS0_5tupleIJPjSE_EEENSF_IJSE_SE_EEES9_SG_JZNS1_25segmented_radix_sort_implINS0_14default_configELb0EPKfPfPKlPlN2at6native12_GLOBAL__N_18offset_tEEE10hipError_tPvRmT1_PNSt15iterator_traitsISY_E10value_typeET2_T3_PNSZ_IS14_E10value_typeET4_jRbjT5_S1A_jjP12ihipStream_tbEUljE_EEESV_SW_SX_S14_S18_S1A_T6_T7_T9_mT8_S1C_bDpT10_ENKUlT_T0_E_clISt17integral_constantIbLb1EES1P_EEDaS1K_S1L_EUlS1K_E_NS1_11comp_targetILNS1_3genE5ELNS1_11target_archE942ELNS1_3gpuE9ELNS1_3repE0EEENS1_30default_config_static_selectorELNS0_4arch9wavefront6targetE0EEEvSY_.kd
    .uniform_work_group_size: 1
    .uses_dynamic_stack: false
    .vgpr_count:     0
    .vgpr_spill_count: 0
    .wavefront_size: 32
  - .args:
      - .offset:         0
        .size:           152
        .value_kind:     by_value
    .group_segment_fixed_size: 0
    .kernarg_segment_align: 8
    .kernarg_segment_size: 152
    .language:       OpenCL C
    .language_version:
      - 2
      - 0
    .max_flat_workgroup_size: 256
    .name:           _ZN7rocprim17ROCPRIM_400000_NS6detail17trampoline_kernelINS0_13select_configILj256ELj13ELNS0_17block_load_methodE3ELS4_3ELS4_3ELNS0_20block_scan_algorithmE0ELj4294967295EEENS1_25partition_config_selectorILNS1_17partition_subalgoE3EjNS0_10empty_typeEbEEZZNS1_14partition_implILS8_3ELb0ES6_jNS0_17counting_iteratorIjlEEPS9_SE_NS0_5tupleIJPjSE_EEENSF_IJSE_SE_EEES9_SG_JZNS1_25segmented_radix_sort_implINS0_14default_configELb0EPKfPfPKlPlN2at6native12_GLOBAL__N_18offset_tEEE10hipError_tPvRmT1_PNSt15iterator_traitsISY_E10value_typeET2_T3_PNSZ_IS14_E10value_typeET4_jRbjT5_S1A_jjP12ihipStream_tbEUljE_EEESV_SW_SX_S14_S18_S1A_T6_T7_T9_mT8_S1C_bDpT10_ENKUlT_T0_E_clISt17integral_constantIbLb1EES1P_EEDaS1K_S1L_EUlS1K_E_NS1_11comp_targetILNS1_3genE4ELNS1_11target_archE910ELNS1_3gpuE8ELNS1_3repE0EEENS1_30default_config_static_selectorELNS0_4arch9wavefront6targetE0EEEvSY_
    .private_segment_fixed_size: 0
    .sgpr_count:     0
    .sgpr_spill_count: 0
    .symbol:         _ZN7rocprim17ROCPRIM_400000_NS6detail17trampoline_kernelINS0_13select_configILj256ELj13ELNS0_17block_load_methodE3ELS4_3ELS4_3ELNS0_20block_scan_algorithmE0ELj4294967295EEENS1_25partition_config_selectorILNS1_17partition_subalgoE3EjNS0_10empty_typeEbEEZZNS1_14partition_implILS8_3ELb0ES6_jNS0_17counting_iteratorIjlEEPS9_SE_NS0_5tupleIJPjSE_EEENSF_IJSE_SE_EEES9_SG_JZNS1_25segmented_radix_sort_implINS0_14default_configELb0EPKfPfPKlPlN2at6native12_GLOBAL__N_18offset_tEEE10hipError_tPvRmT1_PNSt15iterator_traitsISY_E10value_typeET2_T3_PNSZ_IS14_E10value_typeET4_jRbjT5_S1A_jjP12ihipStream_tbEUljE_EEESV_SW_SX_S14_S18_S1A_T6_T7_T9_mT8_S1C_bDpT10_ENKUlT_T0_E_clISt17integral_constantIbLb1EES1P_EEDaS1K_S1L_EUlS1K_E_NS1_11comp_targetILNS1_3genE4ELNS1_11target_archE910ELNS1_3gpuE8ELNS1_3repE0EEENS1_30default_config_static_selectorELNS0_4arch9wavefront6targetE0EEEvSY_.kd
    .uniform_work_group_size: 1
    .uses_dynamic_stack: false
    .vgpr_count:     0
    .vgpr_spill_count: 0
    .wavefront_size: 32
  - .args:
      - .offset:         0
        .size:           152
        .value_kind:     by_value
    .group_segment_fixed_size: 0
    .kernarg_segment_align: 8
    .kernarg_segment_size: 152
    .language:       OpenCL C
    .language_version:
      - 2
      - 0
    .max_flat_workgroup_size: 256
    .name:           _ZN7rocprim17ROCPRIM_400000_NS6detail17trampoline_kernelINS0_13select_configILj256ELj13ELNS0_17block_load_methodE3ELS4_3ELS4_3ELNS0_20block_scan_algorithmE0ELj4294967295EEENS1_25partition_config_selectorILNS1_17partition_subalgoE3EjNS0_10empty_typeEbEEZZNS1_14partition_implILS8_3ELb0ES6_jNS0_17counting_iteratorIjlEEPS9_SE_NS0_5tupleIJPjSE_EEENSF_IJSE_SE_EEES9_SG_JZNS1_25segmented_radix_sort_implINS0_14default_configELb0EPKfPfPKlPlN2at6native12_GLOBAL__N_18offset_tEEE10hipError_tPvRmT1_PNSt15iterator_traitsISY_E10value_typeET2_T3_PNSZ_IS14_E10value_typeET4_jRbjT5_S1A_jjP12ihipStream_tbEUljE_EEESV_SW_SX_S14_S18_S1A_T6_T7_T9_mT8_S1C_bDpT10_ENKUlT_T0_E_clISt17integral_constantIbLb1EES1P_EEDaS1K_S1L_EUlS1K_E_NS1_11comp_targetILNS1_3genE3ELNS1_11target_archE908ELNS1_3gpuE7ELNS1_3repE0EEENS1_30default_config_static_selectorELNS0_4arch9wavefront6targetE0EEEvSY_
    .private_segment_fixed_size: 0
    .sgpr_count:     0
    .sgpr_spill_count: 0
    .symbol:         _ZN7rocprim17ROCPRIM_400000_NS6detail17trampoline_kernelINS0_13select_configILj256ELj13ELNS0_17block_load_methodE3ELS4_3ELS4_3ELNS0_20block_scan_algorithmE0ELj4294967295EEENS1_25partition_config_selectorILNS1_17partition_subalgoE3EjNS0_10empty_typeEbEEZZNS1_14partition_implILS8_3ELb0ES6_jNS0_17counting_iteratorIjlEEPS9_SE_NS0_5tupleIJPjSE_EEENSF_IJSE_SE_EEES9_SG_JZNS1_25segmented_radix_sort_implINS0_14default_configELb0EPKfPfPKlPlN2at6native12_GLOBAL__N_18offset_tEEE10hipError_tPvRmT1_PNSt15iterator_traitsISY_E10value_typeET2_T3_PNSZ_IS14_E10value_typeET4_jRbjT5_S1A_jjP12ihipStream_tbEUljE_EEESV_SW_SX_S14_S18_S1A_T6_T7_T9_mT8_S1C_bDpT10_ENKUlT_T0_E_clISt17integral_constantIbLb1EES1P_EEDaS1K_S1L_EUlS1K_E_NS1_11comp_targetILNS1_3genE3ELNS1_11target_archE908ELNS1_3gpuE7ELNS1_3repE0EEENS1_30default_config_static_selectorELNS0_4arch9wavefront6targetE0EEEvSY_.kd
    .uniform_work_group_size: 1
    .uses_dynamic_stack: false
    .vgpr_count:     0
    .vgpr_spill_count: 0
    .wavefront_size: 32
  - .args:
      - .offset:         0
        .size:           152
        .value_kind:     by_value
    .group_segment_fixed_size: 0
    .kernarg_segment_align: 8
    .kernarg_segment_size: 152
    .language:       OpenCL C
    .language_version:
      - 2
      - 0
    .max_flat_workgroup_size: 256
    .name:           _ZN7rocprim17ROCPRIM_400000_NS6detail17trampoline_kernelINS0_13select_configILj256ELj13ELNS0_17block_load_methodE3ELS4_3ELS4_3ELNS0_20block_scan_algorithmE0ELj4294967295EEENS1_25partition_config_selectorILNS1_17partition_subalgoE3EjNS0_10empty_typeEbEEZZNS1_14partition_implILS8_3ELb0ES6_jNS0_17counting_iteratorIjlEEPS9_SE_NS0_5tupleIJPjSE_EEENSF_IJSE_SE_EEES9_SG_JZNS1_25segmented_radix_sort_implINS0_14default_configELb0EPKfPfPKlPlN2at6native12_GLOBAL__N_18offset_tEEE10hipError_tPvRmT1_PNSt15iterator_traitsISY_E10value_typeET2_T3_PNSZ_IS14_E10value_typeET4_jRbjT5_S1A_jjP12ihipStream_tbEUljE_EEESV_SW_SX_S14_S18_S1A_T6_T7_T9_mT8_S1C_bDpT10_ENKUlT_T0_E_clISt17integral_constantIbLb1EES1P_EEDaS1K_S1L_EUlS1K_E_NS1_11comp_targetILNS1_3genE2ELNS1_11target_archE906ELNS1_3gpuE6ELNS1_3repE0EEENS1_30default_config_static_selectorELNS0_4arch9wavefront6targetE0EEEvSY_
    .private_segment_fixed_size: 0
    .sgpr_count:     0
    .sgpr_spill_count: 0
    .symbol:         _ZN7rocprim17ROCPRIM_400000_NS6detail17trampoline_kernelINS0_13select_configILj256ELj13ELNS0_17block_load_methodE3ELS4_3ELS4_3ELNS0_20block_scan_algorithmE0ELj4294967295EEENS1_25partition_config_selectorILNS1_17partition_subalgoE3EjNS0_10empty_typeEbEEZZNS1_14partition_implILS8_3ELb0ES6_jNS0_17counting_iteratorIjlEEPS9_SE_NS0_5tupleIJPjSE_EEENSF_IJSE_SE_EEES9_SG_JZNS1_25segmented_radix_sort_implINS0_14default_configELb0EPKfPfPKlPlN2at6native12_GLOBAL__N_18offset_tEEE10hipError_tPvRmT1_PNSt15iterator_traitsISY_E10value_typeET2_T3_PNSZ_IS14_E10value_typeET4_jRbjT5_S1A_jjP12ihipStream_tbEUljE_EEESV_SW_SX_S14_S18_S1A_T6_T7_T9_mT8_S1C_bDpT10_ENKUlT_T0_E_clISt17integral_constantIbLb1EES1P_EEDaS1K_S1L_EUlS1K_E_NS1_11comp_targetILNS1_3genE2ELNS1_11target_archE906ELNS1_3gpuE6ELNS1_3repE0EEENS1_30default_config_static_selectorELNS0_4arch9wavefront6targetE0EEEvSY_.kd
    .uniform_work_group_size: 1
    .uses_dynamic_stack: false
    .vgpr_count:     0
    .vgpr_spill_count: 0
    .wavefront_size: 32
  - .args:
      - .offset:         0
        .size:           152
        .value_kind:     by_value
    .group_segment_fixed_size: 0
    .kernarg_segment_align: 8
    .kernarg_segment_size: 152
    .language:       OpenCL C
    .language_version:
      - 2
      - 0
    .max_flat_workgroup_size: 256
    .name:           _ZN7rocprim17ROCPRIM_400000_NS6detail17trampoline_kernelINS0_13select_configILj256ELj13ELNS0_17block_load_methodE3ELS4_3ELS4_3ELNS0_20block_scan_algorithmE0ELj4294967295EEENS1_25partition_config_selectorILNS1_17partition_subalgoE3EjNS0_10empty_typeEbEEZZNS1_14partition_implILS8_3ELb0ES6_jNS0_17counting_iteratorIjlEEPS9_SE_NS0_5tupleIJPjSE_EEENSF_IJSE_SE_EEES9_SG_JZNS1_25segmented_radix_sort_implINS0_14default_configELb0EPKfPfPKlPlN2at6native12_GLOBAL__N_18offset_tEEE10hipError_tPvRmT1_PNSt15iterator_traitsISY_E10value_typeET2_T3_PNSZ_IS14_E10value_typeET4_jRbjT5_S1A_jjP12ihipStream_tbEUljE_EEESV_SW_SX_S14_S18_S1A_T6_T7_T9_mT8_S1C_bDpT10_ENKUlT_T0_E_clISt17integral_constantIbLb1EES1P_EEDaS1K_S1L_EUlS1K_E_NS1_11comp_targetILNS1_3genE10ELNS1_11target_archE1200ELNS1_3gpuE4ELNS1_3repE0EEENS1_30default_config_static_selectorELNS0_4arch9wavefront6targetE0EEEvSY_
    .private_segment_fixed_size: 0
    .sgpr_count:     0
    .sgpr_spill_count: 0
    .symbol:         _ZN7rocprim17ROCPRIM_400000_NS6detail17trampoline_kernelINS0_13select_configILj256ELj13ELNS0_17block_load_methodE3ELS4_3ELS4_3ELNS0_20block_scan_algorithmE0ELj4294967295EEENS1_25partition_config_selectorILNS1_17partition_subalgoE3EjNS0_10empty_typeEbEEZZNS1_14partition_implILS8_3ELb0ES6_jNS0_17counting_iteratorIjlEEPS9_SE_NS0_5tupleIJPjSE_EEENSF_IJSE_SE_EEES9_SG_JZNS1_25segmented_radix_sort_implINS0_14default_configELb0EPKfPfPKlPlN2at6native12_GLOBAL__N_18offset_tEEE10hipError_tPvRmT1_PNSt15iterator_traitsISY_E10value_typeET2_T3_PNSZ_IS14_E10value_typeET4_jRbjT5_S1A_jjP12ihipStream_tbEUljE_EEESV_SW_SX_S14_S18_S1A_T6_T7_T9_mT8_S1C_bDpT10_ENKUlT_T0_E_clISt17integral_constantIbLb1EES1P_EEDaS1K_S1L_EUlS1K_E_NS1_11comp_targetILNS1_3genE10ELNS1_11target_archE1200ELNS1_3gpuE4ELNS1_3repE0EEENS1_30default_config_static_selectorELNS0_4arch9wavefront6targetE0EEEvSY_.kd
    .uniform_work_group_size: 1
    .uses_dynamic_stack: false
    .vgpr_count:     0
    .vgpr_spill_count: 0
    .wavefront_size: 32
  - .args:
      - .offset:         0
        .size:           152
        .value_kind:     by_value
    .group_segment_fixed_size: 0
    .kernarg_segment_align: 8
    .kernarg_segment_size: 152
    .language:       OpenCL C
    .language_version:
      - 2
      - 0
    .max_flat_workgroup_size: 256
    .name:           _ZN7rocprim17ROCPRIM_400000_NS6detail17trampoline_kernelINS0_13select_configILj256ELj13ELNS0_17block_load_methodE3ELS4_3ELS4_3ELNS0_20block_scan_algorithmE0ELj4294967295EEENS1_25partition_config_selectorILNS1_17partition_subalgoE3EjNS0_10empty_typeEbEEZZNS1_14partition_implILS8_3ELb0ES6_jNS0_17counting_iteratorIjlEEPS9_SE_NS0_5tupleIJPjSE_EEENSF_IJSE_SE_EEES9_SG_JZNS1_25segmented_radix_sort_implINS0_14default_configELb0EPKfPfPKlPlN2at6native12_GLOBAL__N_18offset_tEEE10hipError_tPvRmT1_PNSt15iterator_traitsISY_E10value_typeET2_T3_PNSZ_IS14_E10value_typeET4_jRbjT5_S1A_jjP12ihipStream_tbEUljE_EEESV_SW_SX_S14_S18_S1A_T6_T7_T9_mT8_S1C_bDpT10_ENKUlT_T0_E_clISt17integral_constantIbLb1EES1P_EEDaS1K_S1L_EUlS1K_E_NS1_11comp_targetILNS1_3genE9ELNS1_11target_archE1100ELNS1_3gpuE3ELNS1_3repE0EEENS1_30default_config_static_selectorELNS0_4arch9wavefront6targetE0EEEvSY_
    .private_segment_fixed_size: 0
    .sgpr_count:     0
    .sgpr_spill_count: 0
    .symbol:         _ZN7rocprim17ROCPRIM_400000_NS6detail17trampoline_kernelINS0_13select_configILj256ELj13ELNS0_17block_load_methodE3ELS4_3ELS4_3ELNS0_20block_scan_algorithmE0ELj4294967295EEENS1_25partition_config_selectorILNS1_17partition_subalgoE3EjNS0_10empty_typeEbEEZZNS1_14partition_implILS8_3ELb0ES6_jNS0_17counting_iteratorIjlEEPS9_SE_NS0_5tupleIJPjSE_EEENSF_IJSE_SE_EEES9_SG_JZNS1_25segmented_radix_sort_implINS0_14default_configELb0EPKfPfPKlPlN2at6native12_GLOBAL__N_18offset_tEEE10hipError_tPvRmT1_PNSt15iterator_traitsISY_E10value_typeET2_T3_PNSZ_IS14_E10value_typeET4_jRbjT5_S1A_jjP12ihipStream_tbEUljE_EEESV_SW_SX_S14_S18_S1A_T6_T7_T9_mT8_S1C_bDpT10_ENKUlT_T0_E_clISt17integral_constantIbLb1EES1P_EEDaS1K_S1L_EUlS1K_E_NS1_11comp_targetILNS1_3genE9ELNS1_11target_archE1100ELNS1_3gpuE3ELNS1_3repE0EEENS1_30default_config_static_selectorELNS0_4arch9wavefront6targetE0EEEvSY_.kd
    .uniform_work_group_size: 1
    .uses_dynamic_stack: false
    .vgpr_count:     0
    .vgpr_spill_count: 0
    .wavefront_size: 32
  - .args:
      - .offset:         0
        .size:           152
        .value_kind:     by_value
    .group_segment_fixed_size: 0
    .kernarg_segment_align: 8
    .kernarg_segment_size: 152
    .language:       OpenCL C
    .language_version:
      - 2
      - 0
    .max_flat_workgroup_size: 256
    .name:           _ZN7rocprim17ROCPRIM_400000_NS6detail17trampoline_kernelINS0_13select_configILj256ELj13ELNS0_17block_load_methodE3ELS4_3ELS4_3ELNS0_20block_scan_algorithmE0ELj4294967295EEENS1_25partition_config_selectorILNS1_17partition_subalgoE3EjNS0_10empty_typeEbEEZZNS1_14partition_implILS8_3ELb0ES6_jNS0_17counting_iteratorIjlEEPS9_SE_NS0_5tupleIJPjSE_EEENSF_IJSE_SE_EEES9_SG_JZNS1_25segmented_radix_sort_implINS0_14default_configELb0EPKfPfPKlPlN2at6native12_GLOBAL__N_18offset_tEEE10hipError_tPvRmT1_PNSt15iterator_traitsISY_E10value_typeET2_T3_PNSZ_IS14_E10value_typeET4_jRbjT5_S1A_jjP12ihipStream_tbEUljE_EEESV_SW_SX_S14_S18_S1A_T6_T7_T9_mT8_S1C_bDpT10_ENKUlT_T0_E_clISt17integral_constantIbLb1EES1P_EEDaS1K_S1L_EUlS1K_E_NS1_11comp_targetILNS1_3genE8ELNS1_11target_archE1030ELNS1_3gpuE2ELNS1_3repE0EEENS1_30default_config_static_selectorELNS0_4arch9wavefront6targetE0EEEvSY_
    .private_segment_fixed_size: 0
    .sgpr_count:     0
    .sgpr_spill_count: 0
    .symbol:         _ZN7rocprim17ROCPRIM_400000_NS6detail17trampoline_kernelINS0_13select_configILj256ELj13ELNS0_17block_load_methodE3ELS4_3ELS4_3ELNS0_20block_scan_algorithmE0ELj4294967295EEENS1_25partition_config_selectorILNS1_17partition_subalgoE3EjNS0_10empty_typeEbEEZZNS1_14partition_implILS8_3ELb0ES6_jNS0_17counting_iteratorIjlEEPS9_SE_NS0_5tupleIJPjSE_EEENSF_IJSE_SE_EEES9_SG_JZNS1_25segmented_radix_sort_implINS0_14default_configELb0EPKfPfPKlPlN2at6native12_GLOBAL__N_18offset_tEEE10hipError_tPvRmT1_PNSt15iterator_traitsISY_E10value_typeET2_T3_PNSZ_IS14_E10value_typeET4_jRbjT5_S1A_jjP12ihipStream_tbEUljE_EEESV_SW_SX_S14_S18_S1A_T6_T7_T9_mT8_S1C_bDpT10_ENKUlT_T0_E_clISt17integral_constantIbLb1EES1P_EEDaS1K_S1L_EUlS1K_E_NS1_11comp_targetILNS1_3genE8ELNS1_11target_archE1030ELNS1_3gpuE2ELNS1_3repE0EEENS1_30default_config_static_selectorELNS0_4arch9wavefront6targetE0EEEvSY_.kd
    .uniform_work_group_size: 1
    .uses_dynamic_stack: false
    .vgpr_count:     0
    .vgpr_spill_count: 0
    .wavefront_size: 32
  - .args:
      - .offset:         0
        .size:           144
        .value_kind:     by_value
    .group_segment_fixed_size: 0
    .kernarg_segment_align: 8
    .kernarg_segment_size: 144
    .language:       OpenCL C
    .language_version:
      - 2
      - 0
    .max_flat_workgroup_size: 256
    .name:           _ZN7rocprim17ROCPRIM_400000_NS6detail17trampoline_kernelINS0_13select_configILj256ELj13ELNS0_17block_load_methodE3ELS4_3ELS4_3ELNS0_20block_scan_algorithmE0ELj4294967295EEENS1_25partition_config_selectorILNS1_17partition_subalgoE3EjNS0_10empty_typeEbEEZZNS1_14partition_implILS8_3ELb0ES6_jNS0_17counting_iteratorIjlEEPS9_SE_NS0_5tupleIJPjSE_EEENSF_IJSE_SE_EEES9_SG_JZNS1_25segmented_radix_sort_implINS0_14default_configELb0EPKfPfPKlPlN2at6native12_GLOBAL__N_18offset_tEEE10hipError_tPvRmT1_PNSt15iterator_traitsISY_E10value_typeET2_T3_PNSZ_IS14_E10value_typeET4_jRbjT5_S1A_jjP12ihipStream_tbEUljE_EEESV_SW_SX_S14_S18_S1A_T6_T7_T9_mT8_S1C_bDpT10_ENKUlT_T0_E_clISt17integral_constantIbLb1EES1O_IbLb0EEEEDaS1K_S1L_EUlS1K_E_NS1_11comp_targetILNS1_3genE0ELNS1_11target_archE4294967295ELNS1_3gpuE0ELNS1_3repE0EEENS1_30default_config_static_selectorELNS0_4arch9wavefront6targetE0EEEvSY_
    .private_segment_fixed_size: 0
    .sgpr_count:     0
    .sgpr_spill_count: 0
    .symbol:         _ZN7rocprim17ROCPRIM_400000_NS6detail17trampoline_kernelINS0_13select_configILj256ELj13ELNS0_17block_load_methodE3ELS4_3ELS4_3ELNS0_20block_scan_algorithmE0ELj4294967295EEENS1_25partition_config_selectorILNS1_17partition_subalgoE3EjNS0_10empty_typeEbEEZZNS1_14partition_implILS8_3ELb0ES6_jNS0_17counting_iteratorIjlEEPS9_SE_NS0_5tupleIJPjSE_EEENSF_IJSE_SE_EEES9_SG_JZNS1_25segmented_radix_sort_implINS0_14default_configELb0EPKfPfPKlPlN2at6native12_GLOBAL__N_18offset_tEEE10hipError_tPvRmT1_PNSt15iterator_traitsISY_E10value_typeET2_T3_PNSZ_IS14_E10value_typeET4_jRbjT5_S1A_jjP12ihipStream_tbEUljE_EEESV_SW_SX_S14_S18_S1A_T6_T7_T9_mT8_S1C_bDpT10_ENKUlT_T0_E_clISt17integral_constantIbLb1EES1O_IbLb0EEEEDaS1K_S1L_EUlS1K_E_NS1_11comp_targetILNS1_3genE0ELNS1_11target_archE4294967295ELNS1_3gpuE0ELNS1_3repE0EEENS1_30default_config_static_selectorELNS0_4arch9wavefront6targetE0EEEvSY_.kd
    .uniform_work_group_size: 1
    .uses_dynamic_stack: false
    .vgpr_count:     0
    .vgpr_spill_count: 0
    .wavefront_size: 32
  - .args:
      - .offset:         0
        .size:           144
        .value_kind:     by_value
    .group_segment_fixed_size: 0
    .kernarg_segment_align: 8
    .kernarg_segment_size: 144
    .language:       OpenCL C
    .language_version:
      - 2
      - 0
    .max_flat_workgroup_size: 256
    .name:           _ZN7rocprim17ROCPRIM_400000_NS6detail17trampoline_kernelINS0_13select_configILj256ELj13ELNS0_17block_load_methodE3ELS4_3ELS4_3ELNS0_20block_scan_algorithmE0ELj4294967295EEENS1_25partition_config_selectorILNS1_17partition_subalgoE3EjNS0_10empty_typeEbEEZZNS1_14partition_implILS8_3ELb0ES6_jNS0_17counting_iteratorIjlEEPS9_SE_NS0_5tupleIJPjSE_EEENSF_IJSE_SE_EEES9_SG_JZNS1_25segmented_radix_sort_implINS0_14default_configELb0EPKfPfPKlPlN2at6native12_GLOBAL__N_18offset_tEEE10hipError_tPvRmT1_PNSt15iterator_traitsISY_E10value_typeET2_T3_PNSZ_IS14_E10value_typeET4_jRbjT5_S1A_jjP12ihipStream_tbEUljE_EEESV_SW_SX_S14_S18_S1A_T6_T7_T9_mT8_S1C_bDpT10_ENKUlT_T0_E_clISt17integral_constantIbLb1EES1O_IbLb0EEEEDaS1K_S1L_EUlS1K_E_NS1_11comp_targetILNS1_3genE5ELNS1_11target_archE942ELNS1_3gpuE9ELNS1_3repE0EEENS1_30default_config_static_selectorELNS0_4arch9wavefront6targetE0EEEvSY_
    .private_segment_fixed_size: 0
    .sgpr_count:     0
    .sgpr_spill_count: 0
    .symbol:         _ZN7rocprim17ROCPRIM_400000_NS6detail17trampoline_kernelINS0_13select_configILj256ELj13ELNS0_17block_load_methodE3ELS4_3ELS4_3ELNS0_20block_scan_algorithmE0ELj4294967295EEENS1_25partition_config_selectorILNS1_17partition_subalgoE3EjNS0_10empty_typeEbEEZZNS1_14partition_implILS8_3ELb0ES6_jNS0_17counting_iteratorIjlEEPS9_SE_NS0_5tupleIJPjSE_EEENSF_IJSE_SE_EEES9_SG_JZNS1_25segmented_radix_sort_implINS0_14default_configELb0EPKfPfPKlPlN2at6native12_GLOBAL__N_18offset_tEEE10hipError_tPvRmT1_PNSt15iterator_traitsISY_E10value_typeET2_T3_PNSZ_IS14_E10value_typeET4_jRbjT5_S1A_jjP12ihipStream_tbEUljE_EEESV_SW_SX_S14_S18_S1A_T6_T7_T9_mT8_S1C_bDpT10_ENKUlT_T0_E_clISt17integral_constantIbLb1EES1O_IbLb0EEEEDaS1K_S1L_EUlS1K_E_NS1_11comp_targetILNS1_3genE5ELNS1_11target_archE942ELNS1_3gpuE9ELNS1_3repE0EEENS1_30default_config_static_selectorELNS0_4arch9wavefront6targetE0EEEvSY_.kd
    .uniform_work_group_size: 1
    .uses_dynamic_stack: false
    .vgpr_count:     0
    .vgpr_spill_count: 0
    .wavefront_size: 32
  - .args:
      - .offset:         0
        .size:           144
        .value_kind:     by_value
    .group_segment_fixed_size: 0
    .kernarg_segment_align: 8
    .kernarg_segment_size: 144
    .language:       OpenCL C
    .language_version:
      - 2
      - 0
    .max_flat_workgroup_size: 256
    .name:           _ZN7rocprim17ROCPRIM_400000_NS6detail17trampoline_kernelINS0_13select_configILj256ELj13ELNS0_17block_load_methodE3ELS4_3ELS4_3ELNS0_20block_scan_algorithmE0ELj4294967295EEENS1_25partition_config_selectorILNS1_17partition_subalgoE3EjNS0_10empty_typeEbEEZZNS1_14partition_implILS8_3ELb0ES6_jNS0_17counting_iteratorIjlEEPS9_SE_NS0_5tupleIJPjSE_EEENSF_IJSE_SE_EEES9_SG_JZNS1_25segmented_radix_sort_implINS0_14default_configELb0EPKfPfPKlPlN2at6native12_GLOBAL__N_18offset_tEEE10hipError_tPvRmT1_PNSt15iterator_traitsISY_E10value_typeET2_T3_PNSZ_IS14_E10value_typeET4_jRbjT5_S1A_jjP12ihipStream_tbEUljE_EEESV_SW_SX_S14_S18_S1A_T6_T7_T9_mT8_S1C_bDpT10_ENKUlT_T0_E_clISt17integral_constantIbLb1EES1O_IbLb0EEEEDaS1K_S1L_EUlS1K_E_NS1_11comp_targetILNS1_3genE4ELNS1_11target_archE910ELNS1_3gpuE8ELNS1_3repE0EEENS1_30default_config_static_selectorELNS0_4arch9wavefront6targetE0EEEvSY_
    .private_segment_fixed_size: 0
    .sgpr_count:     0
    .sgpr_spill_count: 0
    .symbol:         _ZN7rocprim17ROCPRIM_400000_NS6detail17trampoline_kernelINS0_13select_configILj256ELj13ELNS0_17block_load_methodE3ELS4_3ELS4_3ELNS0_20block_scan_algorithmE0ELj4294967295EEENS1_25partition_config_selectorILNS1_17partition_subalgoE3EjNS0_10empty_typeEbEEZZNS1_14partition_implILS8_3ELb0ES6_jNS0_17counting_iteratorIjlEEPS9_SE_NS0_5tupleIJPjSE_EEENSF_IJSE_SE_EEES9_SG_JZNS1_25segmented_radix_sort_implINS0_14default_configELb0EPKfPfPKlPlN2at6native12_GLOBAL__N_18offset_tEEE10hipError_tPvRmT1_PNSt15iterator_traitsISY_E10value_typeET2_T3_PNSZ_IS14_E10value_typeET4_jRbjT5_S1A_jjP12ihipStream_tbEUljE_EEESV_SW_SX_S14_S18_S1A_T6_T7_T9_mT8_S1C_bDpT10_ENKUlT_T0_E_clISt17integral_constantIbLb1EES1O_IbLb0EEEEDaS1K_S1L_EUlS1K_E_NS1_11comp_targetILNS1_3genE4ELNS1_11target_archE910ELNS1_3gpuE8ELNS1_3repE0EEENS1_30default_config_static_selectorELNS0_4arch9wavefront6targetE0EEEvSY_.kd
    .uniform_work_group_size: 1
    .uses_dynamic_stack: false
    .vgpr_count:     0
    .vgpr_spill_count: 0
    .wavefront_size: 32
  - .args:
      - .offset:         0
        .size:           144
        .value_kind:     by_value
    .group_segment_fixed_size: 0
    .kernarg_segment_align: 8
    .kernarg_segment_size: 144
    .language:       OpenCL C
    .language_version:
      - 2
      - 0
    .max_flat_workgroup_size: 256
    .name:           _ZN7rocprim17ROCPRIM_400000_NS6detail17trampoline_kernelINS0_13select_configILj256ELj13ELNS0_17block_load_methodE3ELS4_3ELS4_3ELNS0_20block_scan_algorithmE0ELj4294967295EEENS1_25partition_config_selectorILNS1_17partition_subalgoE3EjNS0_10empty_typeEbEEZZNS1_14partition_implILS8_3ELb0ES6_jNS0_17counting_iteratorIjlEEPS9_SE_NS0_5tupleIJPjSE_EEENSF_IJSE_SE_EEES9_SG_JZNS1_25segmented_radix_sort_implINS0_14default_configELb0EPKfPfPKlPlN2at6native12_GLOBAL__N_18offset_tEEE10hipError_tPvRmT1_PNSt15iterator_traitsISY_E10value_typeET2_T3_PNSZ_IS14_E10value_typeET4_jRbjT5_S1A_jjP12ihipStream_tbEUljE_EEESV_SW_SX_S14_S18_S1A_T6_T7_T9_mT8_S1C_bDpT10_ENKUlT_T0_E_clISt17integral_constantIbLb1EES1O_IbLb0EEEEDaS1K_S1L_EUlS1K_E_NS1_11comp_targetILNS1_3genE3ELNS1_11target_archE908ELNS1_3gpuE7ELNS1_3repE0EEENS1_30default_config_static_selectorELNS0_4arch9wavefront6targetE0EEEvSY_
    .private_segment_fixed_size: 0
    .sgpr_count:     0
    .sgpr_spill_count: 0
    .symbol:         _ZN7rocprim17ROCPRIM_400000_NS6detail17trampoline_kernelINS0_13select_configILj256ELj13ELNS0_17block_load_methodE3ELS4_3ELS4_3ELNS0_20block_scan_algorithmE0ELj4294967295EEENS1_25partition_config_selectorILNS1_17partition_subalgoE3EjNS0_10empty_typeEbEEZZNS1_14partition_implILS8_3ELb0ES6_jNS0_17counting_iteratorIjlEEPS9_SE_NS0_5tupleIJPjSE_EEENSF_IJSE_SE_EEES9_SG_JZNS1_25segmented_radix_sort_implINS0_14default_configELb0EPKfPfPKlPlN2at6native12_GLOBAL__N_18offset_tEEE10hipError_tPvRmT1_PNSt15iterator_traitsISY_E10value_typeET2_T3_PNSZ_IS14_E10value_typeET4_jRbjT5_S1A_jjP12ihipStream_tbEUljE_EEESV_SW_SX_S14_S18_S1A_T6_T7_T9_mT8_S1C_bDpT10_ENKUlT_T0_E_clISt17integral_constantIbLb1EES1O_IbLb0EEEEDaS1K_S1L_EUlS1K_E_NS1_11comp_targetILNS1_3genE3ELNS1_11target_archE908ELNS1_3gpuE7ELNS1_3repE0EEENS1_30default_config_static_selectorELNS0_4arch9wavefront6targetE0EEEvSY_.kd
    .uniform_work_group_size: 1
    .uses_dynamic_stack: false
    .vgpr_count:     0
    .vgpr_spill_count: 0
    .wavefront_size: 32
  - .args:
      - .offset:         0
        .size:           144
        .value_kind:     by_value
    .group_segment_fixed_size: 0
    .kernarg_segment_align: 8
    .kernarg_segment_size: 144
    .language:       OpenCL C
    .language_version:
      - 2
      - 0
    .max_flat_workgroup_size: 256
    .name:           _ZN7rocprim17ROCPRIM_400000_NS6detail17trampoline_kernelINS0_13select_configILj256ELj13ELNS0_17block_load_methodE3ELS4_3ELS4_3ELNS0_20block_scan_algorithmE0ELj4294967295EEENS1_25partition_config_selectorILNS1_17partition_subalgoE3EjNS0_10empty_typeEbEEZZNS1_14partition_implILS8_3ELb0ES6_jNS0_17counting_iteratorIjlEEPS9_SE_NS0_5tupleIJPjSE_EEENSF_IJSE_SE_EEES9_SG_JZNS1_25segmented_radix_sort_implINS0_14default_configELb0EPKfPfPKlPlN2at6native12_GLOBAL__N_18offset_tEEE10hipError_tPvRmT1_PNSt15iterator_traitsISY_E10value_typeET2_T3_PNSZ_IS14_E10value_typeET4_jRbjT5_S1A_jjP12ihipStream_tbEUljE_EEESV_SW_SX_S14_S18_S1A_T6_T7_T9_mT8_S1C_bDpT10_ENKUlT_T0_E_clISt17integral_constantIbLb1EES1O_IbLb0EEEEDaS1K_S1L_EUlS1K_E_NS1_11comp_targetILNS1_3genE2ELNS1_11target_archE906ELNS1_3gpuE6ELNS1_3repE0EEENS1_30default_config_static_selectorELNS0_4arch9wavefront6targetE0EEEvSY_
    .private_segment_fixed_size: 0
    .sgpr_count:     0
    .sgpr_spill_count: 0
    .symbol:         _ZN7rocprim17ROCPRIM_400000_NS6detail17trampoline_kernelINS0_13select_configILj256ELj13ELNS0_17block_load_methodE3ELS4_3ELS4_3ELNS0_20block_scan_algorithmE0ELj4294967295EEENS1_25partition_config_selectorILNS1_17partition_subalgoE3EjNS0_10empty_typeEbEEZZNS1_14partition_implILS8_3ELb0ES6_jNS0_17counting_iteratorIjlEEPS9_SE_NS0_5tupleIJPjSE_EEENSF_IJSE_SE_EEES9_SG_JZNS1_25segmented_radix_sort_implINS0_14default_configELb0EPKfPfPKlPlN2at6native12_GLOBAL__N_18offset_tEEE10hipError_tPvRmT1_PNSt15iterator_traitsISY_E10value_typeET2_T3_PNSZ_IS14_E10value_typeET4_jRbjT5_S1A_jjP12ihipStream_tbEUljE_EEESV_SW_SX_S14_S18_S1A_T6_T7_T9_mT8_S1C_bDpT10_ENKUlT_T0_E_clISt17integral_constantIbLb1EES1O_IbLb0EEEEDaS1K_S1L_EUlS1K_E_NS1_11comp_targetILNS1_3genE2ELNS1_11target_archE906ELNS1_3gpuE6ELNS1_3repE0EEENS1_30default_config_static_selectorELNS0_4arch9wavefront6targetE0EEEvSY_.kd
    .uniform_work_group_size: 1
    .uses_dynamic_stack: false
    .vgpr_count:     0
    .vgpr_spill_count: 0
    .wavefront_size: 32
  - .args:
      - .offset:         0
        .size:           144
        .value_kind:     by_value
    .group_segment_fixed_size: 0
    .kernarg_segment_align: 8
    .kernarg_segment_size: 144
    .language:       OpenCL C
    .language_version:
      - 2
      - 0
    .max_flat_workgroup_size: 256
    .name:           _ZN7rocprim17ROCPRIM_400000_NS6detail17trampoline_kernelINS0_13select_configILj256ELj13ELNS0_17block_load_methodE3ELS4_3ELS4_3ELNS0_20block_scan_algorithmE0ELj4294967295EEENS1_25partition_config_selectorILNS1_17partition_subalgoE3EjNS0_10empty_typeEbEEZZNS1_14partition_implILS8_3ELb0ES6_jNS0_17counting_iteratorIjlEEPS9_SE_NS0_5tupleIJPjSE_EEENSF_IJSE_SE_EEES9_SG_JZNS1_25segmented_radix_sort_implINS0_14default_configELb0EPKfPfPKlPlN2at6native12_GLOBAL__N_18offset_tEEE10hipError_tPvRmT1_PNSt15iterator_traitsISY_E10value_typeET2_T3_PNSZ_IS14_E10value_typeET4_jRbjT5_S1A_jjP12ihipStream_tbEUljE_EEESV_SW_SX_S14_S18_S1A_T6_T7_T9_mT8_S1C_bDpT10_ENKUlT_T0_E_clISt17integral_constantIbLb1EES1O_IbLb0EEEEDaS1K_S1L_EUlS1K_E_NS1_11comp_targetILNS1_3genE10ELNS1_11target_archE1200ELNS1_3gpuE4ELNS1_3repE0EEENS1_30default_config_static_selectorELNS0_4arch9wavefront6targetE0EEEvSY_
    .private_segment_fixed_size: 0
    .sgpr_count:     0
    .sgpr_spill_count: 0
    .symbol:         _ZN7rocprim17ROCPRIM_400000_NS6detail17trampoline_kernelINS0_13select_configILj256ELj13ELNS0_17block_load_methodE3ELS4_3ELS4_3ELNS0_20block_scan_algorithmE0ELj4294967295EEENS1_25partition_config_selectorILNS1_17partition_subalgoE3EjNS0_10empty_typeEbEEZZNS1_14partition_implILS8_3ELb0ES6_jNS0_17counting_iteratorIjlEEPS9_SE_NS0_5tupleIJPjSE_EEENSF_IJSE_SE_EEES9_SG_JZNS1_25segmented_radix_sort_implINS0_14default_configELb0EPKfPfPKlPlN2at6native12_GLOBAL__N_18offset_tEEE10hipError_tPvRmT1_PNSt15iterator_traitsISY_E10value_typeET2_T3_PNSZ_IS14_E10value_typeET4_jRbjT5_S1A_jjP12ihipStream_tbEUljE_EEESV_SW_SX_S14_S18_S1A_T6_T7_T9_mT8_S1C_bDpT10_ENKUlT_T0_E_clISt17integral_constantIbLb1EES1O_IbLb0EEEEDaS1K_S1L_EUlS1K_E_NS1_11comp_targetILNS1_3genE10ELNS1_11target_archE1200ELNS1_3gpuE4ELNS1_3repE0EEENS1_30default_config_static_selectorELNS0_4arch9wavefront6targetE0EEEvSY_.kd
    .uniform_work_group_size: 1
    .uses_dynamic_stack: false
    .vgpr_count:     0
    .vgpr_spill_count: 0
    .wavefront_size: 32
  - .args:
      - .offset:         0
        .size:           144
        .value_kind:     by_value
    .group_segment_fixed_size: 0
    .kernarg_segment_align: 8
    .kernarg_segment_size: 144
    .language:       OpenCL C
    .language_version:
      - 2
      - 0
    .max_flat_workgroup_size: 256
    .name:           _ZN7rocprim17ROCPRIM_400000_NS6detail17trampoline_kernelINS0_13select_configILj256ELj13ELNS0_17block_load_methodE3ELS4_3ELS4_3ELNS0_20block_scan_algorithmE0ELj4294967295EEENS1_25partition_config_selectorILNS1_17partition_subalgoE3EjNS0_10empty_typeEbEEZZNS1_14partition_implILS8_3ELb0ES6_jNS0_17counting_iteratorIjlEEPS9_SE_NS0_5tupleIJPjSE_EEENSF_IJSE_SE_EEES9_SG_JZNS1_25segmented_radix_sort_implINS0_14default_configELb0EPKfPfPKlPlN2at6native12_GLOBAL__N_18offset_tEEE10hipError_tPvRmT1_PNSt15iterator_traitsISY_E10value_typeET2_T3_PNSZ_IS14_E10value_typeET4_jRbjT5_S1A_jjP12ihipStream_tbEUljE_EEESV_SW_SX_S14_S18_S1A_T6_T7_T9_mT8_S1C_bDpT10_ENKUlT_T0_E_clISt17integral_constantIbLb1EES1O_IbLb0EEEEDaS1K_S1L_EUlS1K_E_NS1_11comp_targetILNS1_3genE9ELNS1_11target_archE1100ELNS1_3gpuE3ELNS1_3repE0EEENS1_30default_config_static_selectorELNS0_4arch9wavefront6targetE0EEEvSY_
    .private_segment_fixed_size: 0
    .sgpr_count:     0
    .sgpr_spill_count: 0
    .symbol:         _ZN7rocprim17ROCPRIM_400000_NS6detail17trampoline_kernelINS0_13select_configILj256ELj13ELNS0_17block_load_methodE3ELS4_3ELS4_3ELNS0_20block_scan_algorithmE0ELj4294967295EEENS1_25partition_config_selectorILNS1_17partition_subalgoE3EjNS0_10empty_typeEbEEZZNS1_14partition_implILS8_3ELb0ES6_jNS0_17counting_iteratorIjlEEPS9_SE_NS0_5tupleIJPjSE_EEENSF_IJSE_SE_EEES9_SG_JZNS1_25segmented_radix_sort_implINS0_14default_configELb0EPKfPfPKlPlN2at6native12_GLOBAL__N_18offset_tEEE10hipError_tPvRmT1_PNSt15iterator_traitsISY_E10value_typeET2_T3_PNSZ_IS14_E10value_typeET4_jRbjT5_S1A_jjP12ihipStream_tbEUljE_EEESV_SW_SX_S14_S18_S1A_T6_T7_T9_mT8_S1C_bDpT10_ENKUlT_T0_E_clISt17integral_constantIbLb1EES1O_IbLb0EEEEDaS1K_S1L_EUlS1K_E_NS1_11comp_targetILNS1_3genE9ELNS1_11target_archE1100ELNS1_3gpuE3ELNS1_3repE0EEENS1_30default_config_static_selectorELNS0_4arch9wavefront6targetE0EEEvSY_.kd
    .uniform_work_group_size: 1
    .uses_dynamic_stack: false
    .vgpr_count:     0
    .vgpr_spill_count: 0
    .wavefront_size: 32
  - .args:
      - .offset:         0
        .size:           144
        .value_kind:     by_value
    .group_segment_fixed_size: 0
    .kernarg_segment_align: 8
    .kernarg_segment_size: 144
    .language:       OpenCL C
    .language_version:
      - 2
      - 0
    .max_flat_workgroup_size: 256
    .name:           _ZN7rocprim17ROCPRIM_400000_NS6detail17trampoline_kernelINS0_13select_configILj256ELj13ELNS0_17block_load_methodE3ELS4_3ELS4_3ELNS0_20block_scan_algorithmE0ELj4294967295EEENS1_25partition_config_selectorILNS1_17partition_subalgoE3EjNS0_10empty_typeEbEEZZNS1_14partition_implILS8_3ELb0ES6_jNS0_17counting_iteratorIjlEEPS9_SE_NS0_5tupleIJPjSE_EEENSF_IJSE_SE_EEES9_SG_JZNS1_25segmented_radix_sort_implINS0_14default_configELb0EPKfPfPKlPlN2at6native12_GLOBAL__N_18offset_tEEE10hipError_tPvRmT1_PNSt15iterator_traitsISY_E10value_typeET2_T3_PNSZ_IS14_E10value_typeET4_jRbjT5_S1A_jjP12ihipStream_tbEUljE_EEESV_SW_SX_S14_S18_S1A_T6_T7_T9_mT8_S1C_bDpT10_ENKUlT_T0_E_clISt17integral_constantIbLb1EES1O_IbLb0EEEEDaS1K_S1L_EUlS1K_E_NS1_11comp_targetILNS1_3genE8ELNS1_11target_archE1030ELNS1_3gpuE2ELNS1_3repE0EEENS1_30default_config_static_selectorELNS0_4arch9wavefront6targetE0EEEvSY_
    .private_segment_fixed_size: 0
    .sgpr_count:     0
    .sgpr_spill_count: 0
    .symbol:         _ZN7rocprim17ROCPRIM_400000_NS6detail17trampoline_kernelINS0_13select_configILj256ELj13ELNS0_17block_load_methodE3ELS4_3ELS4_3ELNS0_20block_scan_algorithmE0ELj4294967295EEENS1_25partition_config_selectorILNS1_17partition_subalgoE3EjNS0_10empty_typeEbEEZZNS1_14partition_implILS8_3ELb0ES6_jNS0_17counting_iteratorIjlEEPS9_SE_NS0_5tupleIJPjSE_EEENSF_IJSE_SE_EEES9_SG_JZNS1_25segmented_radix_sort_implINS0_14default_configELb0EPKfPfPKlPlN2at6native12_GLOBAL__N_18offset_tEEE10hipError_tPvRmT1_PNSt15iterator_traitsISY_E10value_typeET2_T3_PNSZ_IS14_E10value_typeET4_jRbjT5_S1A_jjP12ihipStream_tbEUljE_EEESV_SW_SX_S14_S18_S1A_T6_T7_T9_mT8_S1C_bDpT10_ENKUlT_T0_E_clISt17integral_constantIbLb1EES1O_IbLb0EEEEDaS1K_S1L_EUlS1K_E_NS1_11comp_targetILNS1_3genE8ELNS1_11target_archE1030ELNS1_3gpuE2ELNS1_3repE0EEENS1_30default_config_static_selectorELNS0_4arch9wavefront6targetE0EEEvSY_.kd
    .uniform_work_group_size: 1
    .uses_dynamic_stack: false
    .vgpr_count:     0
    .vgpr_spill_count: 0
    .wavefront_size: 32
  - .args:
      - .offset:         0
        .size:           152
        .value_kind:     by_value
    .group_segment_fixed_size: 13320
    .kernarg_segment_align: 8
    .kernarg_segment_size: 152
    .language:       OpenCL C
    .language_version:
      - 2
      - 0
    .max_flat_workgroup_size: 256
    .name:           _ZN7rocprim17ROCPRIM_400000_NS6detail17trampoline_kernelINS0_13select_configILj256ELj13ELNS0_17block_load_methodE3ELS4_3ELS4_3ELNS0_20block_scan_algorithmE0ELj4294967295EEENS1_25partition_config_selectorILNS1_17partition_subalgoE3EjNS0_10empty_typeEbEEZZNS1_14partition_implILS8_3ELb0ES6_jNS0_17counting_iteratorIjlEEPS9_SE_NS0_5tupleIJPjSE_EEENSF_IJSE_SE_EEES9_SG_JZNS1_25segmented_radix_sort_implINS0_14default_configELb0EPKfPfPKlPlN2at6native12_GLOBAL__N_18offset_tEEE10hipError_tPvRmT1_PNSt15iterator_traitsISY_E10value_typeET2_T3_PNSZ_IS14_E10value_typeET4_jRbjT5_S1A_jjP12ihipStream_tbEUljE_EEESV_SW_SX_S14_S18_S1A_T6_T7_T9_mT8_S1C_bDpT10_ENKUlT_T0_E_clISt17integral_constantIbLb0EES1O_IbLb1EEEEDaS1K_S1L_EUlS1K_E_NS1_11comp_targetILNS1_3genE0ELNS1_11target_archE4294967295ELNS1_3gpuE0ELNS1_3repE0EEENS1_30default_config_static_selectorELNS0_4arch9wavefront6targetE0EEEvSY_
    .private_segment_fixed_size: 0
    .sgpr_count:     26
    .sgpr_spill_count: 0
    .symbol:         _ZN7rocprim17ROCPRIM_400000_NS6detail17trampoline_kernelINS0_13select_configILj256ELj13ELNS0_17block_load_methodE3ELS4_3ELS4_3ELNS0_20block_scan_algorithmE0ELj4294967295EEENS1_25partition_config_selectorILNS1_17partition_subalgoE3EjNS0_10empty_typeEbEEZZNS1_14partition_implILS8_3ELb0ES6_jNS0_17counting_iteratorIjlEEPS9_SE_NS0_5tupleIJPjSE_EEENSF_IJSE_SE_EEES9_SG_JZNS1_25segmented_radix_sort_implINS0_14default_configELb0EPKfPfPKlPlN2at6native12_GLOBAL__N_18offset_tEEE10hipError_tPvRmT1_PNSt15iterator_traitsISY_E10value_typeET2_T3_PNSZ_IS14_E10value_typeET4_jRbjT5_S1A_jjP12ihipStream_tbEUljE_EEESV_SW_SX_S14_S18_S1A_T6_T7_T9_mT8_S1C_bDpT10_ENKUlT_T0_E_clISt17integral_constantIbLb0EES1O_IbLb1EEEEDaS1K_S1L_EUlS1K_E_NS1_11comp_targetILNS1_3genE0ELNS1_11target_archE4294967295ELNS1_3gpuE0ELNS1_3repE0EEENS1_30default_config_static_selectorELNS0_4arch9wavefront6targetE0EEEvSY_.kd
    .uniform_work_group_size: 1
    .uses_dynamic_stack: false
    .vgpr_count:     72
    .vgpr_spill_count: 0
    .wavefront_size: 32
  - .args:
      - .offset:         0
        .size:           152
        .value_kind:     by_value
    .group_segment_fixed_size: 0
    .kernarg_segment_align: 8
    .kernarg_segment_size: 152
    .language:       OpenCL C
    .language_version:
      - 2
      - 0
    .max_flat_workgroup_size: 256
    .name:           _ZN7rocprim17ROCPRIM_400000_NS6detail17trampoline_kernelINS0_13select_configILj256ELj13ELNS0_17block_load_methodE3ELS4_3ELS4_3ELNS0_20block_scan_algorithmE0ELj4294967295EEENS1_25partition_config_selectorILNS1_17partition_subalgoE3EjNS0_10empty_typeEbEEZZNS1_14partition_implILS8_3ELb0ES6_jNS0_17counting_iteratorIjlEEPS9_SE_NS0_5tupleIJPjSE_EEENSF_IJSE_SE_EEES9_SG_JZNS1_25segmented_radix_sort_implINS0_14default_configELb0EPKfPfPKlPlN2at6native12_GLOBAL__N_18offset_tEEE10hipError_tPvRmT1_PNSt15iterator_traitsISY_E10value_typeET2_T3_PNSZ_IS14_E10value_typeET4_jRbjT5_S1A_jjP12ihipStream_tbEUljE_EEESV_SW_SX_S14_S18_S1A_T6_T7_T9_mT8_S1C_bDpT10_ENKUlT_T0_E_clISt17integral_constantIbLb0EES1O_IbLb1EEEEDaS1K_S1L_EUlS1K_E_NS1_11comp_targetILNS1_3genE5ELNS1_11target_archE942ELNS1_3gpuE9ELNS1_3repE0EEENS1_30default_config_static_selectorELNS0_4arch9wavefront6targetE0EEEvSY_
    .private_segment_fixed_size: 0
    .sgpr_count:     0
    .sgpr_spill_count: 0
    .symbol:         _ZN7rocprim17ROCPRIM_400000_NS6detail17trampoline_kernelINS0_13select_configILj256ELj13ELNS0_17block_load_methodE3ELS4_3ELS4_3ELNS0_20block_scan_algorithmE0ELj4294967295EEENS1_25partition_config_selectorILNS1_17partition_subalgoE3EjNS0_10empty_typeEbEEZZNS1_14partition_implILS8_3ELb0ES6_jNS0_17counting_iteratorIjlEEPS9_SE_NS0_5tupleIJPjSE_EEENSF_IJSE_SE_EEES9_SG_JZNS1_25segmented_radix_sort_implINS0_14default_configELb0EPKfPfPKlPlN2at6native12_GLOBAL__N_18offset_tEEE10hipError_tPvRmT1_PNSt15iterator_traitsISY_E10value_typeET2_T3_PNSZ_IS14_E10value_typeET4_jRbjT5_S1A_jjP12ihipStream_tbEUljE_EEESV_SW_SX_S14_S18_S1A_T6_T7_T9_mT8_S1C_bDpT10_ENKUlT_T0_E_clISt17integral_constantIbLb0EES1O_IbLb1EEEEDaS1K_S1L_EUlS1K_E_NS1_11comp_targetILNS1_3genE5ELNS1_11target_archE942ELNS1_3gpuE9ELNS1_3repE0EEENS1_30default_config_static_selectorELNS0_4arch9wavefront6targetE0EEEvSY_.kd
    .uniform_work_group_size: 1
    .uses_dynamic_stack: false
    .vgpr_count:     0
    .vgpr_spill_count: 0
    .wavefront_size: 32
  - .args:
      - .offset:         0
        .size:           152
        .value_kind:     by_value
    .group_segment_fixed_size: 0
    .kernarg_segment_align: 8
    .kernarg_segment_size: 152
    .language:       OpenCL C
    .language_version:
      - 2
      - 0
    .max_flat_workgroup_size: 256
    .name:           _ZN7rocprim17ROCPRIM_400000_NS6detail17trampoline_kernelINS0_13select_configILj256ELj13ELNS0_17block_load_methodE3ELS4_3ELS4_3ELNS0_20block_scan_algorithmE0ELj4294967295EEENS1_25partition_config_selectorILNS1_17partition_subalgoE3EjNS0_10empty_typeEbEEZZNS1_14partition_implILS8_3ELb0ES6_jNS0_17counting_iteratorIjlEEPS9_SE_NS0_5tupleIJPjSE_EEENSF_IJSE_SE_EEES9_SG_JZNS1_25segmented_radix_sort_implINS0_14default_configELb0EPKfPfPKlPlN2at6native12_GLOBAL__N_18offset_tEEE10hipError_tPvRmT1_PNSt15iterator_traitsISY_E10value_typeET2_T3_PNSZ_IS14_E10value_typeET4_jRbjT5_S1A_jjP12ihipStream_tbEUljE_EEESV_SW_SX_S14_S18_S1A_T6_T7_T9_mT8_S1C_bDpT10_ENKUlT_T0_E_clISt17integral_constantIbLb0EES1O_IbLb1EEEEDaS1K_S1L_EUlS1K_E_NS1_11comp_targetILNS1_3genE4ELNS1_11target_archE910ELNS1_3gpuE8ELNS1_3repE0EEENS1_30default_config_static_selectorELNS0_4arch9wavefront6targetE0EEEvSY_
    .private_segment_fixed_size: 0
    .sgpr_count:     0
    .sgpr_spill_count: 0
    .symbol:         _ZN7rocprim17ROCPRIM_400000_NS6detail17trampoline_kernelINS0_13select_configILj256ELj13ELNS0_17block_load_methodE3ELS4_3ELS4_3ELNS0_20block_scan_algorithmE0ELj4294967295EEENS1_25partition_config_selectorILNS1_17partition_subalgoE3EjNS0_10empty_typeEbEEZZNS1_14partition_implILS8_3ELb0ES6_jNS0_17counting_iteratorIjlEEPS9_SE_NS0_5tupleIJPjSE_EEENSF_IJSE_SE_EEES9_SG_JZNS1_25segmented_radix_sort_implINS0_14default_configELb0EPKfPfPKlPlN2at6native12_GLOBAL__N_18offset_tEEE10hipError_tPvRmT1_PNSt15iterator_traitsISY_E10value_typeET2_T3_PNSZ_IS14_E10value_typeET4_jRbjT5_S1A_jjP12ihipStream_tbEUljE_EEESV_SW_SX_S14_S18_S1A_T6_T7_T9_mT8_S1C_bDpT10_ENKUlT_T0_E_clISt17integral_constantIbLb0EES1O_IbLb1EEEEDaS1K_S1L_EUlS1K_E_NS1_11comp_targetILNS1_3genE4ELNS1_11target_archE910ELNS1_3gpuE8ELNS1_3repE0EEENS1_30default_config_static_selectorELNS0_4arch9wavefront6targetE0EEEvSY_.kd
    .uniform_work_group_size: 1
    .uses_dynamic_stack: false
    .vgpr_count:     0
    .vgpr_spill_count: 0
    .wavefront_size: 32
  - .args:
      - .offset:         0
        .size:           152
        .value_kind:     by_value
    .group_segment_fixed_size: 0
    .kernarg_segment_align: 8
    .kernarg_segment_size: 152
    .language:       OpenCL C
    .language_version:
      - 2
      - 0
    .max_flat_workgroup_size: 256
    .name:           _ZN7rocprim17ROCPRIM_400000_NS6detail17trampoline_kernelINS0_13select_configILj256ELj13ELNS0_17block_load_methodE3ELS4_3ELS4_3ELNS0_20block_scan_algorithmE0ELj4294967295EEENS1_25partition_config_selectorILNS1_17partition_subalgoE3EjNS0_10empty_typeEbEEZZNS1_14partition_implILS8_3ELb0ES6_jNS0_17counting_iteratorIjlEEPS9_SE_NS0_5tupleIJPjSE_EEENSF_IJSE_SE_EEES9_SG_JZNS1_25segmented_radix_sort_implINS0_14default_configELb0EPKfPfPKlPlN2at6native12_GLOBAL__N_18offset_tEEE10hipError_tPvRmT1_PNSt15iterator_traitsISY_E10value_typeET2_T3_PNSZ_IS14_E10value_typeET4_jRbjT5_S1A_jjP12ihipStream_tbEUljE_EEESV_SW_SX_S14_S18_S1A_T6_T7_T9_mT8_S1C_bDpT10_ENKUlT_T0_E_clISt17integral_constantIbLb0EES1O_IbLb1EEEEDaS1K_S1L_EUlS1K_E_NS1_11comp_targetILNS1_3genE3ELNS1_11target_archE908ELNS1_3gpuE7ELNS1_3repE0EEENS1_30default_config_static_selectorELNS0_4arch9wavefront6targetE0EEEvSY_
    .private_segment_fixed_size: 0
    .sgpr_count:     0
    .sgpr_spill_count: 0
    .symbol:         _ZN7rocprim17ROCPRIM_400000_NS6detail17trampoline_kernelINS0_13select_configILj256ELj13ELNS0_17block_load_methodE3ELS4_3ELS4_3ELNS0_20block_scan_algorithmE0ELj4294967295EEENS1_25partition_config_selectorILNS1_17partition_subalgoE3EjNS0_10empty_typeEbEEZZNS1_14partition_implILS8_3ELb0ES6_jNS0_17counting_iteratorIjlEEPS9_SE_NS0_5tupleIJPjSE_EEENSF_IJSE_SE_EEES9_SG_JZNS1_25segmented_radix_sort_implINS0_14default_configELb0EPKfPfPKlPlN2at6native12_GLOBAL__N_18offset_tEEE10hipError_tPvRmT1_PNSt15iterator_traitsISY_E10value_typeET2_T3_PNSZ_IS14_E10value_typeET4_jRbjT5_S1A_jjP12ihipStream_tbEUljE_EEESV_SW_SX_S14_S18_S1A_T6_T7_T9_mT8_S1C_bDpT10_ENKUlT_T0_E_clISt17integral_constantIbLb0EES1O_IbLb1EEEEDaS1K_S1L_EUlS1K_E_NS1_11comp_targetILNS1_3genE3ELNS1_11target_archE908ELNS1_3gpuE7ELNS1_3repE0EEENS1_30default_config_static_selectorELNS0_4arch9wavefront6targetE0EEEvSY_.kd
    .uniform_work_group_size: 1
    .uses_dynamic_stack: false
    .vgpr_count:     0
    .vgpr_spill_count: 0
    .wavefront_size: 32
  - .args:
      - .offset:         0
        .size:           152
        .value_kind:     by_value
    .group_segment_fixed_size: 0
    .kernarg_segment_align: 8
    .kernarg_segment_size: 152
    .language:       OpenCL C
    .language_version:
      - 2
      - 0
    .max_flat_workgroup_size: 256
    .name:           _ZN7rocprim17ROCPRIM_400000_NS6detail17trampoline_kernelINS0_13select_configILj256ELj13ELNS0_17block_load_methodE3ELS4_3ELS4_3ELNS0_20block_scan_algorithmE0ELj4294967295EEENS1_25partition_config_selectorILNS1_17partition_subalgoE3EjNS0_10empty_typeEbEEZZNS1_14partition_implILS8_3ELb0ES6_jNS0_17counting_iteratorIjlEEPS9_SE_NS0_5tupleIJPjSE_EEENSF_IJSE_SE_EEES9_SG_JZNS1_25segmented_radix_sort_implINS0_14default_configELb0EPKfPfPKlPlN2at6native12_GLOBAL__N_18offset_tEEE10hipError_tPvRmT1_PNSt15iterator_traitsISY_E10value_typeET2_T3_PNSZ_IS14_E10value_typeET4_jRbjT5_S1A_jjP12ihipStream_tbEUljE_EEESV_SW_SX_S14_S18_S1A_T6_T7_T9_mT8_S1C_bDpT10_ENKUlT_T0_E_clISt17integral_constantIbLb0EES1O_IbLb1EEEEDaS1K_S1L_EUlS1K_E_NS1_11comp_targetILNS1_3genE2ELNS1_11target_archE906ELNS1_3gpuE6ELNS1_3repE0EEENS1_30default_config_static_selectorELNS0_4arch9wavefront6targetE0EEEvSY_
    .private_segment_fixed_size: 0
    .sgpr_count:     0
    .sgpr_spill_count: 0
    .symbol:         _ZN7rocprim17ROCPRIM_400000_NS6detail17trampoline_kernelINS0_13select_configILj256ELj13ELNS0_17block_load_methodE3ELS4_3ELS4_3ELNS0_20block_scan_algorithmE0ELj4294967295EEENS1_25partition_config_selectorILNS1_17partition_subalgoE3EjNS0_10empty_typeEbEEZZNS1_14partition_implILS8_3ELb0ES6_jNS0_17counting_iteratorIjlEEPS9_SE_NS0_5tupleIJPjSE_EEENSF_IJSE_SE_EEES9_SG_JZNS1_25segmented_radix_sort_implINS0_14default_configELb0EPKfPfPKlPlN2at6native12_GLOBAL__N_18offset_tEEE10hipError_tPvRmT1_PNSt15iterator_traitsISY_E10value_typeET2_T3_PNSZ_IS14_E10value_typeET4_jRbjT5_S1A_jjP12ihipStream_tbEUljE_EEESV_SW_SX_S14_S18_S1A_T6_T7_T9_mT8_S1C_bDpT10_ENKUlT_T0_E_clISt17integral_constantIbLb0EES1O_IbLb1EEEEDaS1K_S1L_EUlS1K_E_NS1_11comp_targetILNS1_3genE2ELNS1_11target_archE906ELNS1_3gpuE6ELNS1_3repE0EEENS1_30default_config_static_selectorELNS0_4arch9wavefront6targetE0EEEvSY_.kd
    .uniform_work_group_size: 1
    .uses_dynamic_stack: false
    .vgpr_count:     0
    .vgpr_spill_count: 0
    .wavefront_size: 32
  - .args:
      - .offset:         0
        .size:           152
        .value_kind:     by_value
    .group_segment_fixed_size: 0
    .kernarg_segment_align: 8
    .kernarg_segment_size: 152
    .language:       OpenCL C
    .language_version:
      - 2
      - 0
    .max_flat_workgroup_size: 256
    .name:           _ZN7rocprim17ROCPRIM_400000_NS6detail17trampoline_kernelINS0_13select_configILj256ELj13ELNS0_17block_load_methodE3ELS4_3ELS4_3ELNS0_20block_scan_algorithmE0ELj4294967295EEENS1_25partition_config_selectorILNS1_17partition_subalgoE3EjNS0_10empty_typeEbEEZZNS1_14partition_implILS8_3ELb0ES6_jNS0_17counting_iteratorIjlEEPS9_SE_NS0_5tupleIJPjSE_EEENSF_IJSE_SE_EEES9_SG_JZNS1_25segmented_radix_sort_implINS0_14default_configELb0EPKfPfPKlPlN2at6native12_GLOBAL__N_18offset_tEEE10hipError_tPvRmT1_PNSt15iterator_traitsISY_E10value_typeET2_T3_PNSZ_IS14_E10value_typeET4_jRbjT5_S1A_jjP12ihipStream_tbEUljE_EEESV_SW_SX_S14_S18_S1A_T6_T7_T9_mT8_S1C_bDpT10_ENKUlT_T0_E_clISt17integral_constantIbLb0EES1O_IbLb1EEEEDaS1K_S1L_EUlS1K_E_NS1_11comp_targetILNS1_3genE10ELNS1_11target_archE1200ELNS1_3gpuE4ELNS1_3repE0EEENS1_30default_config_static_selectorELNS0_4arch9wavefront6targetE0EEEvSY_
    .private_segment_fixed_size: 0
    .sgpr_count:     0
    .sgpr_spill_count: 0
    .symbol:         _ZN7rocprim17ROCPRIM_400000_NS6detail17trampoline_kernelINS0_13select_configILj256ELj13ELNS0_17block_load_methodE3ELS4_3ELS4_3ELNS0_20block_scan_algorithmE0ELj4294967295EEENS1_25partition_config_selectorILNS1_17partition_subalgoE3EjNS0_10empty_typeEbEEZZNS1_14partition_implILS8_3ELb0ES6_jNS0_17counting_iteratorIjlEEPS9_SE_NS0_5tupleIJPjSE_EEENSF_IJSE_SE_EEES9_SG_JZNS1_25segmented_radix_sort_implINS0_14default_configELb0EPKfPfPKlPlN2at6native12_GLOBAL__N_18offset_tEEE10hipError_tPvRmT1_PNSt15iterator_traitsISY_E10value_typeET2_T3_PNSZ_IS14_E10value_typeET4_jRbjT5_S1A_jjP12ihipStream_tbEUljE_EEESV_SW_SX_S14_S18_S1A_T6_T7_T9_mT8_S1C_bDpT10_ENKUlT_T0_E_clISt17integral_constantIbLb0EES1O_IbLb1EEEEDaS1K_S1L_EUlS1K_E_NS1_11comp_targetILNS1_3genE10ELNS1_11target_archE1200ELNS1_3gpuE4ELNS1_3repE0EEENS1_30default_config_static_selectorELNS0_4arch9wavefront6targetE0EEEvSY_.kd
    .uniform_work_group_size: 1
    .uses_dynamic_stack: false
    .vgpr_count:     0
    .vgpr_spill_count: 0
    .wavefront_size: 32
  - .args:
      - .offset:         0
        .size:           152
        .value_kind:     by_value
    .group_segment_fixed_size: 0
    .kernarg_segment_align: 8
    .kernarg_segment_size: 152
    .language:       OpenCL C
    .language_version:
      - 2
      - 0
    .max_flat_workgroup_size: 256
    .name:           _ZN7rocprim17ROCPRIM_400000_NS6detail17trampoline_kernelINS0_13select_configILj256ELj13ELNS0_17block_load_methodE3ELS4_3ELS4_3ELNS0_20block_scan_algorithmE0ELj4294967295EEENS1_25partition_config_selectorILNS1_17partition_subalgoE3EjNS0_10empty_typeEbEEZZNS1_14partition_implILS8_3ELb0ES6_jNS0_17counting_iteratorIjlEEPS9_SE_NS0_5tupleIJPjSE_EEENSF_IJSE_SE_EEES9_SG_JZNS1_25segmented_radix_sort_implINS0_14default_configELb0EPKfPfPKlPlN2at6native12_GLOBAL__N_18offset_tEEE10hipError_tPvRmT1_PNSt15iterator_traitsISY_E10value_typeET2_T3_PNSZ_IS14_E10value_typeET4_jRbjT5_S1A_jjP12ihipStream_tbEUljE_EEESV_SW_SX_S14_S18_S1A_T6_T7_T9_mT8_S1C_bDpT10_ENKUlT_T0_E_clISt17integral_constantIbLb0EES1O_IbLb1EEEEDaS1K_S1L_EUlS1K_E_NS1_11comp_targetILNS1_3genE9ELNS1_11target_archE1100ELNS1_3gpuE3ELNS1_3repE0EEENS1_30default_config_static_selectorELNS0_4arch9wavefront6targetE0EEEvSY_
    .private_segment_fixed_size: 0
    .sgpr_count:     0
    .sgpr_spill_count: 0
    .symbol:         _ZN7rocprim17ROCPRIM_400000_NS6detail17trampoline_kernelINS0_13select_configILj256ELj13ELNS0_17block_load_methodE3ELS4_3ELS4_3ELNS0_20block_scan_algorithmE0ELj4294967295EEENS1_25partition_config_selectorILNS1_17partition_subalgoE3EjNS0_10empty_typeEbEEZZNS1_14partition_implILS8_3ELb0ES6_jNS0_17counting_iteratorIjlEEPS9_SE_NS0_5tupleIJPjSE_EEENSF_IJSE_SE_EEES9_SG_JZNS1_25segmented_radix_sort_implINS0_14default_configELb0EPKfPfPKlPlN2at6native12_GLOBAL__N_18offset_tEEE10hipError_tPvRmT1_PNSt15iterator_traitsISY_E10value_typeET2_T3_PNSZ_IS14_E10value_typeET4_jRbjT5_S1A_jjP12ihipStream_tbEUljE_EEESV_SW_SX_S14_S18_S1A_T6_T7_T9_mT8_S1C_bDpT10_ENKUlT_T0_E_clISt17integral_constantIbLb0EES1O_IbLb1EEEEDaS1K_S1L_EUlS1K_E_NS1_11comp_targetILNS1_3genE9ELNS1_11target_archE1100ELNS1_3gpuE3ELNS1_3repE0EEENS1_30default_config_static_selectorELNS0_4arch9wavefront6targetE0EEEvSY_.kd
    .uniform_work_group_size: 1
    .uses_dynamic_stack: false
    .vgpr_count:     0
    .vgpr_spill_count: 0
    .wavefront_size: 32
  - .args:
      - .offset:         0
        .size:           152
        .value_kind:     by_value
    .group_segment_fixed_size: 0
    .kernarg_segment_align: 8
    .kernarg_segment_size: 152
    .language:       OpenCL C
    .language_version:
      - 2
      - 0
    .max_flat_workgroup_size: 256
    .name:           _ZN7rocprim17ROCPRIM_400000_NS6detail17trampoline_kernelINS0_13select_configILj256ELj13ELNS0_17block_load_methodE3ELS4_3ELS4_3ELNS0_20block_scan_algorithmE0ELj4294967295EEENS1_25partition_config_selectorILNS1_17partition_subalgoE3EjNS0_10empty_typeEbEEZZNS1_14partition_implILS8_3ELb0ES6_jNS0_17counting_iteratorIjlEEPS9_SE_NS0_5tupleIJPjSE_EEENSF_IJSE_SE_EEES9_SG_JZNS1_25segmented_radix_sort_implINS0_14default_configELb0EPKfPfPKlPlN2at6native12_GLOBAL__N_18offset_tEEE10hipError_tPvRmT1_PNSt15iterator_traitsISY_E10value_typeET2_T3_PNSZ_IS14_E10value_typeET4_jRbjT5_S1A_jjP12ihipStream_tbEUljE_EEESV_SW_SX_S14_S18_S1A_T6_T7_T9_mT8_S1C_bDpT10_ENKUlT_T0_E_clISt17integral_constantIbLb0EES1O_IbLb1EEEEDaS1K_S1L_EUlS1K_E_NS1_11comp_targetILNS1_3genE8ELNS1_11target_archE1030ELNS1_3gpuE2ELNS1_3repE0EEENS1_30default_config_static_selectorELNS0_4arch9wavefront6targetE0EEEvSY_
    .private_segment_fixed_size: 0
    .sgpr_count:     0
    .sgpr_spill_count: 0
    .symbol:         _ZN7rocprim17ROCPRIM_400000_NS6detail17trampoline_kernelINS0_13select_configILj256ELj13ELNS0_17block_load_methodE3ELS4_3ELS4_3ELNS0_20block_scan_algorithmE0ELj4294967295EEENS1_25partition_config_selectorILNS1_17partition_subalgoE3EjNS0_10empty_typeEbEEZZNS1_14partition_implILS8_3ELb0ES6_jNS0_17counting_iteratorIjlEEPS9_SE_NS0_5tupleIJPjSE_EEENSF_IJSE_SE_EEES9_SG_JZNS1_25segmented_radix_sort_implINS0_14default_configELb0EPKfPfPKlPlN2at6native12_GLOBAL__N_18offset_tEEE10hipError_tPvRmT1_PNSt15iterator_traitsISY_E10value_typeET2_T3_PNSZ_IS14_E10value_typeET4_jRbjT5_S1A_jjP12ihipStream_tbEUljE_EEESV_SW_SX_S14_S18_S1A_T6_T7_T9_mT8_S1C_bDpT10_ENKUlT_T0_E_clISt17integral_constantIbLb0EES1O_IbLb1EEEEDaS1K_S1L_EUlS1K_E_NS1_11comp_targetILNS1_3genE8ELNS1_11target_archE1030ELNS1_3gpuE2ELNS1_3repE0EEENS1_30default_config_static_selectorELNS0_4arch9wavefront6targetE0EEEvSY_.kd
    .uniform_work_group_size: 1
    .uses_dynamic_stack: false
    .vgpr_count:     0
    .vgpr_spill_count: 0
    .wavefront_size: 32
  - .args:
      - .offset:         0
        .size:           96
        .value_kind:     by_value
      - .offset:         96
        .size:           4
        .value_kind:     hidden_block_count_x
      - .offset:         100
        .size:           4
        .value_kind:     hidden_block_count_y
      - .offset:         104
        .size:           4
        .value_kind:     hidden_block_count_z
      - .offset:         108
        .size:           2
        .value_kind:     hidden_group_size_x
      - .offset:         110
        .size:           2
        .value_kind:     hidden_group_size_y
      - .offset:         112
        .size:           2
        .value_kind:     hidden_group_size_z
      - .offset:         114
        .size:           2
        .value_kind:     hidden_remainder_x
      - .offset:         116
        .size:           2
        .value_kind:     hidden_remainder_y
      - .offset:         118
        .size:           2
        .value_kind:     hidden_remainder_z
      - .offset:         136
        .size:           8
        .value_kind:     hidden_global_offset_x
      - .offset:         144
        .size:           8
        .value_kind:     hidden_global_offset_y
      - .offset:         152
        .size:           8
        .value_kind:     hidden_global_offset_z
      - .offset:         160
        .size:           2
        .value_kind:     hidden_grid_dims
      - .offset:         176
        .size:           8
        .value_kind:     hidden_hostcall_buffer
      - .offset:         184
        .size:           8
        .value_kind:     hidden_multigrid_sync_arg
      - .offset:         192
        .size:           8
        .value_kind:     hidden_heap_v1
      - .offset:         200
        .size:           8
        .value_kind:     hidden_default_queue
      - .offset:         208
        .size:           8
        .value_kind:     hidden_completion_action
      - .offset:         296
        .size:           8
        .value_kind:     hidden_queue_ptr
    .group_segment_fixed_size: 35344
    .kernarg_segment_align: 8
    .kernarg_segment_size: 352
    .language:       OpenCL C
    .language_version:
      - 2
      - 0
    .max_flat_workgroup_size: 256
    .name:           _ZN7rocprim17ROCPRIM_400000_NS6detail17trampoline_kernelINS0_14default_configENS1_36segmented_radix_sort_config_selectorIflEEZNS1_25segmented_radix_sort_implIS3_Lb0EPKfPfPKlPlN2at6native12_GLOBAL__N_18offset_tEEE10hipError_tPvRmT1_PNSt15iterator_traitsISK_E10value_typeET2_T3_PNSL_ISQ_E10value_typeET4_jRbjT5_SW_jjP12ihipStream_tbEUlT_E_NS1_11comp_targetILNS1_3genE0ELNS1_11target_archE4294967295ELNS1_3gpuE0ELNS1_3repE0EEENS1_30default_config_static_selectorELNS0_4arch9wavefront6targetE0EEEvSK_
    .private_segment_fixed_size: 0
    .sgpr_count:     64
    .sgpr_spill_count: 0
    .symbol:         _ZN7rocprim17ROCPRIM_400000_NS6detail17trampoline_kernelINS0_14default_configENS1_36segmented_radix_sort_config_selectorIflEEZNS1_25segmented_radix_sort_implIS3_Lb0EPKfPfPKlPlN2at6native12_GLOBAL__N_18offset_tEEE10hipError_tPvRmT1_PNSt15iterator_traitsISK_E10value_typeET2_T3_PNSL_ISQ_E10value_typeET4_jRbjT5_SW_jjP12ihipStream_tbEUlT_E_NS1_11comp_targetILNS1_3genE0ELNS1_11target_archE4294967295ELNS1_3gpuE0ELNS1_3repE0EEENS1_30default_config_static_selectorELNS0_4arch9wavefront6targetE0EEEvSK_.kd
    .uniform_work_group_size: 1
    .uses_dynamic_stack: false
    .vgpr_count:     320
    .vgpr_spill_count: 0
    .wavefront_size: 32
  - .args:
      - .offset:         0
        .size:           96
        .value_kind:     by_value
    .group_segment_fixed_size: 0
    .kernarg_segment_align: 8
    .kernarg_segment_size: 96
    .language:       OpenCL C
    .language_version:
      - 2
      - 0
    .max_flat_workgroup_size: 256
    .name:           _ZN7rocprim17ROCPRIM_400000_NS6detail17trampoline_kernelINS0_14default_configENS1_36segmented_radix_sort_config_selectorIflEEZNS1_25segmented_radix_sort_implIS3_Lb0EPKfPfPKlPlN2at6native12_GLOBAL__N_18offset_tEEE10hipError_tPvRmT1_PNSt15iterator_traitsISK_E10value_typeET2_T3_PNSL_ISQ_E10value_typeET4_jRbjT5_SW_jjP12ihipStream_tbEUlT_E_NS1_11comp_targetILNS1_3genE5ELNS1_11target_archE942ELNS1_3gpuE9ELNS1_3repE0EEENS1_30default_config_static_selectorELNS0_4arch9wavefront6targetE0EEEvSK_
    .private_segment_fixed_size: 0
    .sgpr_count:     0
    .sgpr_spill_count: 0
    .symbol:         _ZN7rocprim17ROCPRIM_400000_NS6detail17trampoline_kernelINS0_14default_configENS1_36segmented_radix_sort_config_selectorIflEEZNS1_25segmented_radix_sort_implIS3_Lb0EPKfPfPKlPlN2at6native12_GLOBAL__N_18offset_tEEE10hipError_tPvRmT1_PNSt15iterator_traitsISK_E10value_typeET2_T3_PNSL_ISQ_E10value_typeET4_jRbjT5_SW_jjP12ihipStream_tbEUlT_E_NS1_11comp_targetILNS1_3genE5ELNS1_11target_archE942ELNS1_3gpuE9ELNS1_3repE0EEENS1_30default_config_static_selectorELNS0_4arch9wavefront6targetE0EEEvSK_.kd
    .uniform_work_group_size: 1
    .uses_dynamic_stack: false
    .vgpr_count:     0
    .vgpr_spill_count: 0
    .wavefront_size: 32
  - .args:
      - .offset:         0
        .size:           96
        .value_kind:     by_value
    .group_segment_fixed_size: 0
    .kernarg_segment_align: 8
    .kernarg_segment_size: 96
    .language:       OpenCL C
    .language_version:
      - 2
      - 0
    .max_flat_workgroup_size: 256
    .name:           _ZN7rocprim17ROCPRIM_400000_NS6detail17trampoline_kernelINS0_14default_configENS1_36segmented_radix_sort_config_selectorIflEEZNS1_25segmented_radix_sort_implIS3_Lb0EPKfPfPKlPlN2at6native12_GLOBAL__N_18offset_tEEE10hipError_tPvRmT1_PNSt15iterator_traitsISK_E10value_typeET2_T3_PNSL_ISQ_E10value_typeET4_jRbjT5_SW_jjP12ihipStream_tbEUlT_E_NS1_11comp_targetILNS1_3genE4ELNS1_11target_archE910ELNS1_3gpuE8ELNS1_3repE0EEENS1_30default_config_static_selectorELNS0_4arch9wavefront6targetE0EEEvSK_
    .private_segment_fixed_size: 0
    .sgpr_count:     0
    .sgpr_spill_count: 0
    .symbol:         _ZN7rocprim17ROCPRIM_400000_NS6detail17trampoline_kernelINS0_14default_configENS1_36segmented_radix_sort_config_selectorIflEEZNS1_25segmented_radix_sort_implIS3_Lb0EPKfPfPKlPlN2at6native12_GLOBAL__N_18offset_tEEE10hipError_tPvRmT1_PNSt15iterator_traitsISK_E10value_typeET2_T3_PNSL_ISQ_E10value_typeET4_jRbjT5_SW_jjP12ihipStream_tbEUlT_E_NS1_11comp_targetILNS1_3genE4ELNS1_11target_archE910ELNS1_3gpuE8ELNS1_3repE0EEENS1_30default_config_static_selectorELNS0_4arch9wavefront6targetE0EEEvSK_.kd
    .uniform_work_group_size: 1
    .uses_dynamic_stack: false
    .vgpr_count:     0
    .vgpr_spill_count: 0
    .wavefront_size: 32
  - .args:
      - .offset:         0
        .size:           96
        .value_kind:     by_value
    .group_segment_fixed_size: 0
    .kernarg_segment_align: 8
    .kernarg_segment_size: 96
    .language:       OpenCL C
    .language_version:
      - 2
      - 0
    .max_flat_workgroup_size: 256
    .name:           _ZN7rocprim17ROCPRIM_400000_NS6detail17trampoline_kernelINS0_14default_configENS1_36segmented_radix_sort_config_selectorIflEEZNS1_25segmented_radix_sort_implIS3_Lb0EPKfPfPKlPlN2at6native12_GLOBAL__N_18offset_tEEE10hipError_tPvRmT1_PNSt15iterator_traitsISK_E10value_typeET2_T3_PNSL_ISQ_E10value_typeET4_jRbjT5_SW_jjP12ihipStream_tbEUlT_E_NS1_11comp_targetILNS1_3genE3ELNS1_11target_archE908ELNS1_3gpuE7ELNS1_3repE0EEENS1_30default_config_static_selectorELNS0_4arch9wavefront6targetE0EEEvSK_
    .private_segment_fixed_size: 0
    .sgpr_count:     0
    .sgpr_spill_count: 0
    .symbol:         _ZN7rocprim17ROCPRIM_400000_NS6detail17trampoline_kernelINS0_14default_configENS1_36segmented_radix_sort_config_selectorIflEEZNS1_25segmented_radix_sort_implIS3_Lb0EPKfPfPKlPlN2at6native12_GLOBAL__N_18offset_tEEE10hipError_tPvRmT1_PNSt15iterator_traitsISK_E10value_typeET2_T3_PNSL_ISQ_E10value_typeET4_jRbjT5_SW_jjP12ihipStream_tbEUlT_E_NS1_11comp_targetILNS1_3genE3ELNS1_11target_archE908ELNS1_3gpuE7ELNS1_3repE0EEENS1_30default_config_static_selectorELNS0_4arch9wavefront6targetE0EEEvSK_.kd
    .uniform_work_group_size: 1
    .uses_dynamic_stack: false
    .vgpr_count:     0
    .vgpr_spill_count: 0
    .wavefront_size: 32
  - .args:
      - .offset:         0
        .size:           96
        .value_kind:     by_value
    .group_segment_fixed_size: 0
    .kernarg_segment_align: 8
    .kernarg_segment_size: 96
    .language:       OpenCL C
    .language_version:
      - 2
      - 0
    .max_flat_workgroup_size: 256
    .name:           _ZN7rocprim17ROCPRIM_400000_NS6detail17trampoline_kernelINS0_14default_configENS1_36segmented_radix_sort_config_selectorIflEEZNS1_25segmented_radix_sort_implIS3_Lb0EPKfPfPKlPlN2at6native12_GLOBAL__N_18offset_tEEE10hipError_tPvRmT1_PNSt15iterator_traitsISK_E10value_typeET2_T3_PNSL_ISQ_E10value_typeET4_jRbjT5_SW_jjP12ihipStream_tbEUlT_E_NS1_11comp_targetILNS1_3genE2ELNS1_11target_archE906ELNS1_3gpuE6ELNS1_3repE0EEENS1_30default_config_static_selectorELNS0_4arch9wavefront6targetE0EEEvSK_
    .private_segment_fixed_size: 0
    .sgpr_count:     0
    .sgpr_spill_count: 0
    .symbol:         _ZN7rocprim17ROCPRIM_400000_NS6detail17trampoline_kernelINS0_14default_configENS1_36segmented_radix_sort_config_selectorIflEEZNS1_25segmented_radix_sort_implIS3_Lb0EPKfPfPKlPlN2at6native12_GLOBAL__N_18offset_tEEE10hipError_tPvRmT1_PNSt15iterator_traitsISK_E10value_typeET2_T3_PNSL_ISQ_E10value_typeET4_jRbjT5_SW_jjP12ihipStream_tbEUlT_E_NS1_11comp_targetILNS1_3genE2ELNS1_11target_archE906ELNS1_3gpuE6ELNS1_3repE0EEENS1_30default_config_static_selectorELNS0_4arch9wavefront6targetE0EEEvSK_.kd
    .uniform_work_group_size: 1
    .uses_dynamic_stack: false
    .vgpr_count:     0
    .vgpr_spill_count: 0
    .wavefront_size: 32
  - .args:
      - .offset:         0
        .size:           96
        .value_kind:     by_value
    .group_segment_fixed_size: 0
    .kernarg_segment_align: 8
    .kernarg_segment_size: 96
    .language:       OpenCL C
    .language_version:
      - 2
      - 0
    .max_flat_workgroup_size: 256
    .name:           _ZN7rocprim17ROCPRIM_400000_NS6detail17trampoline_kernelINS0_14default_configENS1_36segmented_radix_sort_config_selectorIflEEZNS1_25segmented_radix_sort_implIS3_Lb0EPKfPfPKlPlN2at6native12_GLOBAL__N_18offset_tEEE10hipError_tPvRmT1_PNSt15iterator_traitsISK_E10value_typeET2_T3_PNSL_ISQ_E10value_typeET4_jRbjT5_SW_jjP12ihipStream_tbEUlT_E_NS1_11comp_targetILNS1_3genE10ELNS1_11target_archE1201ELNS1_3gpuE5ELNS1_3repE0EEENS1_30default_config_static_selectorELNS0_4arch9wavefront6targetE0EEEvSK_
    .private_segment_fixed_size: 0
    .sgpr_count:     0
    .sgpr_spill_count: 0
    .symbol:         _ZN7rocprim17ROCPRIM_400000_NS6detail17trampoline_kernelINS0_14default_configENS1_36segmented_radix_sort_config_selectorIflEEZNS1_25segmented_radix_sort_implIS3_Lb0EPKfPfPKlPlN2at6native12_GLOBAL__N_18offset_tEEE10hipError_tPvRmT1_PNSt15iterator_traitsISK_E10value_typeET2_T3_PNSL_ISQ_E10value_typeET4_jRbjT5_SW_jjP12ihipStream_tbEUlT_E_NS1_11comp_targetILNS1_3genE10ELNS1_11target_archE1201ELNS1_3gpuE5ELNS1_3repE0EEENS1_30default_config_static_selectorELNS0_4arch9wavefront6targetE0EEEvSK_.kd
    .uniform_work_group_size: 1
    .uses_dynamic_stack: false
    .vgpr_count:     0
    .vgpr_spill_count: 0
    .wavefront_size: 32
  - .args:
      - .offset:         0
        .size:           96
        .value_kind:     by_value
    .group_segment_fixed_size: 0
    .kernarg_segment_align: 8
    .kernarg_segment_size: 96
    .language:       OpenCL C
    .language_version:
      - 2
      - 0
    .max_flat_workgroup_size: 128
    .name:           _ZN7rocprim17ROCPRIM_400000_NS6detail17trampoline_kernelINS0_14default_configENS1_36segmented_radix_sort_config_selectorIflEEZNS1_25segmented_radix_sort_implIS3_Lb0EPKfPfPKlPlN2at6native12_GLOBAL__N_18offset_tEEE10hipError_tPvRmT1_PNSt15iterator_traitsISK_E10value_typeET2_T3_PNSL_ISQ_E10value_typeET4_jRbjT5_SW_jjP12ihipStream_tbEUlT_E_NS1_11comp_targetILNS1_3genE10ELNS1_11target_archE1200ELNS1_3gpuE4ELNS1_3repE0EEENS1_30default_config_static_selectorELNS0_4arch9wavefront6targetE0EEEvSK_
    .private_segment_fixed_size: 0
    .sgpr_count:     0
    .sgpr_spill_count: 0
    .symbol:         _ZN7rocprim17ROCPRIM_400000_NS6detail17trampoline_kernelINS0_14default_configENS1_36segmented_radix_sort_config_selectorIflEEZNS1_25segmented_radix_sort_implIS3_Lb0EPKfPfPKlPlN2at6native12_GLOBAL__N_18offset_tEEE10hipError_tPvRmT1_PNSt15iterator_traitsISK_E10value_typeET2_T3_PNSL_ISQ_E10value_typeET4_jRbjT5_SW_jjP12ihipStream_tbEUlT_E_NS1_11comp_targetILNS1_3genE10ELNS1_11target_archE1200ELNS1_3gpuE4ELNS1_3repE0EEENS1_30default_config_static_selectorELNS0_4arch9wavefront6targetE0EEEvSK_.kd
    .uniform_work_group_size: 1
    .uses_dynamic_stack: false
    .vgpr_count:     0
    .vgpr_spill_count: 0
    .wavefront_size: 32
  - .args:
      - .offset:         0
        .size:           96
        .value_kind:     by_value
    .group_segment_fixed_size: 0
    .kernarg_segment_align: 8
    .kernarg_segment_size: 96
    .language:       OpenCL C
    .language_version:
      - 2
      - 0
    .max_flat_workgroup_size: 256
    .name:           _ZN7rocprim17ROCPRIM_400000_NS6detail17trampoline_kernelINS0_14default_configENS1_36segmented_radix_sort_config_selectorIflEEZNS1_25segmented_radix_sort_implIS3_Lb0EPKfPfPKlPlN2at6native12_GLOBAL__N_18offset_tEEE10hipError_tPvRmT1_PNSt15iterator_traitsISK_E10value_typeET2_T3_PNSL_ISQ_E10value_typeET4_jRbjT5_SW_jjP12ihipStream_tbEUlT_E_NS1_11comp_targetILNS1_3genE9ELNS1_11target_archE1100ELNS1_3gpuE3ELNS1_3repE0EEENS1_30default_config_static_selectorELNS0_4arch9wavefront6targetE0EEEvSK_
    .private_segment_fixed_size: 0
    .sgpr_count:     0
    .sgpr_spill_count: 0
    .symbol:         _ZN7rocprim17ROCPRIM_400000_NS6detail17trampoline_kernelINS0_14default_configENS1_36segmented_radix_sort_config_selectorIflEEZNS1_25segmented_radix_sort_implIS3_Lb0EPKfPfPKlPlN2at6native12_GLOBAL__N_18offset_tEEE10hipError_tPvRmT1_PNSt15iterator_traitsISK_E10value_typeET2_T3_PNSL_ISQ_E10value_typeET4_jRbjT5_SW_jjP12ihipStream_tbEUlT_E_NS1_11comp_targetILNS1_3genE9ELNS1_11target_archE1100ELNS1_3gpuE3ELNS1_3repE0EEENS1_30default_config_static_selectorELNS0_4arch9wavefront6targetE0EEEvSK_.kd
    .uniform_work_group_size: 1
    .uses_dynamic_stack: false
    .vgpr_count:     0
    .vgpr_spill_count: 0
    .wavefront_size: 32
  - .args:
      - .offset:         0
        .size:           96
        .value_kind:     by_value
    .group_segment_fixed_size: 0
    .kernarg_segment_align: 8
    .kernarg_segment_size: 96
    .language:       OpenCL C
    .language_version:
      - 2
      - 0
    .max_flat_workgroup_size: 256
    .name:           _ZN7rocprim17ROCPRIM_400000_NS6detail17trampoline_kernelINS0_14default_configENS1_36segmented_radix_sort_config_selectorIflEEZNS1_25segmented_radix_sort_implIS3_Lb0EPKfPfPKlPlN2at6native12_GLOBAL__N_18offset_tEEE10hipError_tPvRmT1_PNSt15iterator_traitsISK_E10value_typeET2_T3_PNSL_ISQ_E10value_typeET4_jRbjT5_SW_jjP12ihipStream_tbEUlT_E_NS1_11comp_targetILNS1_3genE8ELNS1_11target_archE1030ELNS1_3gpuE2ELNS1_3repE0EEENS1_30default_config_static_selectorELNS0_4arch9wavefront6targetE0EEEvSK_
    .private_segment_fixed_size: 0
    .sgpr_count:     0
    .sgpr_spill_count: 0
    .symbol:         _ZN7rocprim17ROCPRIM_400000_NS6detail17trampoline_kernelINS0_14default_configENS1_36segmented_radix_sort_config_selectorIflEEZNS1_25segmented_radix_sort_implIS3_Lb0EPKfPfPKlPlN2at6native12_GLOBAL__N_18offset_tEEE10hipError_tPvRmT1_PNSt15iterator_traitsISK_E10value_typeET2_T3_PNSL_ISQ_E10value_typeET4_jRbjT5_SW_jjP12ihipStream_tbEUlT_E_NS1_11comp_targetILNS1_3genE8ELNS1_11target_archE1030ELNS1_3gpuE2ELNS1_3repE0EEENS1_30default_config_static_selectorELNS0_4arch9wavefront6targetE0EEEvSK_.kd
    .uniform_work_group_size: 1
    .uses_dynamic_stack: false
    .vgpr_count:     0
    .vgpr_spill_count: 0
    .wavefront_size: 32
  - .args:
      - .offset:         0
        .size:           88
        .value_kind:     by_value
      - .offset:         88
        .size:           4
        .value_kind:     hidden_block_count_x
      - .offset:         92
        .size:           4
        .value_kind:     hidden_block_count_y
      - .offset:         96
        .size:           4
        .value_kind:     hidden_block_count_z
      - .offset:         100
        .size:           2
        .value_kind:     hidden_group_size_x
      - .offset:         102
        .size:           2
        .value_kind:     hidden_group_size_y
      - .offset:         104
        .size:           2
        .value_kind:     hidden_group_size_z
      - .offset:         106
        .size:           2
        .value_kind:     hidden_remainder_x
      - .offset:         108
        .size:           2
        .value_kind:     hidden_remainder_y
      - .offset:         110
        .size:           2
        .value_kind:     hidden_remainder_z
      - .offset:         128
        .size:           8
        .value_kind:     hidden_global_offset_x
      - .offset:         136
        .size:           8
        .value_kind:     hidden_global_offset_y
      - .offset:         144
        .size:           8
        .value_kind:     hidden_global_offset_z
      - .offset:         152
        .size:           2
        .value_kind:     hidden_grid_dims
      - .offset:         168
        .size:           8
        .value_kind:     hidden_hostcall_buffer
      - .offset:         176
        .size:           8
        .value_kind:     hidden_multigrid_sync_arg
      - .offset:         184
        .size:           8
        .value_kind:     hidden_heap_v1
      - .offset:         192
        .size:           8
        .value_kind:     hidden_default_queue
      - .offset:         200
        .size:           8
        .value_kind:     hidden_completion_action
      - .offset:         288
        .size:           8
        .value_kind:     hidden_queue_ptr
    .group_segment_fixed_size: 12288
    .kernarg_segment_align: 8
    .kernarg_segment_size: 344
    .language:       OpenCL C
    .language_version:
      - 2
      - 0
    .max_flat_workgroup_size: 256
    .name:           _ZN7rocprim17ROCPRIM_400000_NS6detail17trampoline_kernelINS0_14default_configENS1_36segmented_radix_sort_config_selectorIflEEZNS1_25segmented_radix_sort_implIS3_Lb0EPKfPfPKlPlN2at6native12_GLOBAL__N_18offset_tEEE10hipError_tPvRmT1_PNSt15iterator_traitsISK_E10value_typeET2_T3_PNSL_ISQ_E10value_typeET4_jRbjT5_SW_jjP12ihipStream_tbEUlT_E0_NS1_11comp_targetILNS1_3genE0ELNS1_11target_archE4294967295ELNS1_3gpuE0ELNS1_3repE0EEENS1_60segmented_radix_sort_warp_sort_medium_config_static_selectorELNS0_4arch9wavefront6targetE0EEEvSK_
    .private_segment_fixed_size: 0
    .sgpr_count:     35
    .sgpr_spill_count: 0
    .symbol:         _ZN7rocprim17ROCPRIM_400000_NS6detail17trampoline_kernelINS0_14default_configENS1_36segmented_radix_sort_config_selectorIflEEZNS1_25segmented_radix_sort_implIS3_Lb0EPKfPfPKlPlN2at6native12_GLOBAL__N_18offset_tEEE10hipError_tPvRmT1_PNSt15iterator_traitsISK_E10value_typeET2_T3_PNSL_ISQ_E10value_typeET4_jRbjT5_SW_jjP12ihipStream_tbEUlT_E0_NS1_11comp_targetILNS1_3genE0ELNS1_11target_archE4294967295ELNS1_3gpuE0ELNS1_3repE0EEENS1_60segmented_radix_sort_warp_sort_medium_config_static_selectorELNS0_4arch9wavefront6targetE0EEEvSK_.kd
    .uniform_work_group_size: 1
    .uses_dynamic_stack: false
    .vgpr_count:     72
    .vgpr_spill_count: 0
    .wavefront_size: 32
  - .args:
      - .offset:         0
        .size:           88
        .value_kind:     by_value
    .group_segment_fixed_size: 0
    .kernarg_segment_align: 8
    .kernarg_segment_size: 88
    .language:       OpenCL C
    .language_version:
      - 2
      - 0
    .max_flat_workgroup_size: 256
    .name:           _ZN7rocprim17ROCPRIM_400000_NS6detail17trampoline_kernelINS0_14default_configENS1_36segmented_radix_sort_config_selectorIflEEZNS1_25segmented_radix_sort_implIS3_Lb0EPKfPfPKlPlN2at6native12_GLOBAL__N_18offset_tEEE10hipError_tPvRmT1_PNSt15iterator_traitsISK_E10value_typeET2_T3_PNSL_ISQ_E10value_typeET4_jRbjT5_SW_jjP12ihipStream_tbEUlT_E0_NS1_11comp_targetILNS1_3genE5ELNS1_11target_archE942ELNS1_3gpuE9ELNS1_3repE0EEENS1_60segmented_radix_sort_warp_sort_medium_config_static_selectorELNS0_4arch9wavefront6targetE0EEEvSK_
    .private_segment_fixed_size: 0
    .sgpr_count:     0
    .sgpr_spill_count: 0
    .symbol:         _ZN7rocprim17ROCPRIM_400000_NS6detail17trampoline_kernelINS0_14default_configENS1_36segmented_radix_sort_config_selectorIflEEZNS1_25segmented_radix_sort_implIS3_Lb0EPKfPfPKlPlN2at6native12_GLOBAL__N_18offset_tEEE10hipError_tPvRmT1_PNSt15iterator_traitsISK_E10value_typeET2_T3_PNSL_ISQ_E10value_typeET4_jRbjT5_SW_jjP12ihipStream_tbEUlT_E0_NS1_11comp_targetILNS1_3genE5ELNS1_11target_archE942ELNS1_3gpuE9ELNS1_3repE0EEENS1_60segmented_radix_sort_warp_sort_medium_config_static_selectorELNS0_4arch9wavefront6targetE0EEEvSK_.kd
    .uniform_work_group_size: 1
    .uses_dynamic_stack: false
    .vgpr_count:     0
    .vgpr_spill_count: 0
    .wavefront_size: 32
  - .args:
      - .offset:         0
        .size:           88
        .value_kind:     by_value
    .group_segment_fixed_size: 0
    .kernarg_segment_align: 8
    .kernarg_segment_size: 88
    .language:       OpenCL C
    .language_version:
      - 2
      - 0
    .max_flat_workgroup_size: 256
    .name:           _ZN7rocprim17ROCPRIM_400000_NS6detail17trampoline_kernelINS0_14default_configENS1_36segmented_radix_sort_config_selectorIflEEZNS1_25segmented_radix_sort_implIS3_Lb0EPKfPfPKlPlN2at6native12_GLOBAL__N_18offset_tEEE10hipError_tPvRmT1_PNSt15iterator_traitsISK_E10value_typeET2_T3_PNSL_ISQ_E10value_typeET4_jRbjT5_SW_jjP12ihipStream_tbEUlT_E0_NS1_11comp_targetILNS1_3genE4ELNS1_11target_archE910ELNS1_3gpuE8ELNS1_3repE0EEENS1_60segmented_radix_sort_warp_sort_medium_config_static_selectorELNS0_4arch9wavefront6targetE0EEEvSK_
    .private_segment_fixed_size: 0
    .sgpr_count:     0
    .sgpr_spill_count: 0
    .symbol:         _ZN7rocprim17ROCPRIM_400000_NS6detail17trampoline_kernelINS0_14default_configENS1_36segmented_radix_sort_config_selectorIflEEZNS1_25segmented_radix_sort_implIS3_Lb0EPKfPfPKlPlN2at6native12_GLOBAL__N_18offset_tEEE10hipError_tPvRmT1_PNSt15iterator_traitsISK_E10value_typeET2_T3_PNSL_ISQ_E10value_typeET4_jRbjT5_SW_jjP12ihipStream_tbEUlT_E0_NS1_11comp_targetILNS1_3genE4ELNS1_11target_archE910ELNS1_3gpuE8ELNS1_3repE0EEENS1_60segmented_radix_sort_warp_sort_medium_config_static_selectorELNS0_4arch9wavefront6targetE0EEEvSK_.kd
    .uniform_work_group_size: 1
    .uses_dynamic_stack: false
    .vgpr_count:     0
    .vgpr_spill_count: 0
    .wavefront_size: 32
  - .args:
      - .offset:         0
        .size:           88
        .value_kind:     by_value
    .group_segment_fixed_size: 0
    .kernarg_segment_align: 8
    .kernarg_segment_size: 88
    .language:       OpenCL C
    .language_version:
      - 2
      - 0
    .max_flat_workgroup_size: 256
    .name:           _ZN7rocprim17ROCPRIM_400000_NS6detail17trampoline_kernelINS0_14default_configENS1_36segmented_radix_sort_config_selectorIflEEZNS1_25segmented_radix_sort_implIS3_Lb0EPKfPfPKlPlN2at6native12_GLOBAL__N_18offset_tEEE10hipError_tPvRmT1_PNSt15iterator_traitsISK_E10value_typeET2_T3_PNSL_ISQ_E10value_typeET4_jRbjT5_SW_jjP12ihipStream_tbEUlT_E0_NS1_11comp_targetILNS1_3genE3ELNS1_11target_archE908ELNS1_3gpuE7ELNS1_3repE0EEENS1_60segmented_radix_sort_warp_sort_medium_config_static_selectorELNS0_4arch9wavefront6targetE0EEEvSK_
    .private_segment_fixed_size: 0
    .sgpr_count:     0
    .sgpr_spill_count: 0
    .symbol:         _ZN7rocprim17ROCPRIM_400000_NS6detail17trampoline_kernelINS0_14default_configENS1_36segmented_radix_sort_config_selectorIflEEZNS1_25segmented_radix_sort_implIS3_Lb0EPKfPfPKlPlN2at6native12_GLOBAL__N_18offset_tEEE10hipError_tPvRmT1_PNSt15iterator_traitsISK_E10value_typeET2_T3_PNSL_ISQ_E10value_typeET4_jRbjT5_SW_jjP12ihipStream_tbEUlT_E0_NS1_11comp_targetILNS1_3genE3ELNS1_11target_archE908ELNS1_3gpuE7ELNS1_3repE0EEENS1_60segmented_radix_sort_warp_sort_medium_config_static_selectorELNS0_4arch9wavefront6targetE0EEEvSK_.kd
    .uniform_work_group_size: 1
    .uses_dynamic_stack: false
    .vgpr_count:     0
    .vgpr_spill_count: 0
    .wavefront_size: 32
  - .args:
      - .offset:         0
        .size:           88
        .value_kind:     by_value
    .group_segment_fixed_size: 0
    .kernarg_segment_align: 8
    .kernarg_segment_size: 88
    .language:       OpenCL C
    .language_version:
      - 2
      - 0
    .max_flat_workgroup_size: 256
    .name:           _ZN7rocprim17ROCPRIM_400000_NS6detail17trampoline_kernelINS0_14default_configENS1_36segmented_radix_sort_config_selectorIflEEZNS1_25segmented_radix_sort_implIS3_Lb0EPKfPfPKlPlN2at6native12_GLOBAL__N_18offset_tEEE10hipError_tPvRmT1_PNSt15iterator_traitsISK_E10value_typeET2_T3_PNSL_ISQ_E10value_typeET4_jRbjT5_SW_jjP12ihipStream_tbEUlT_E0_NS1_11comp_targetILNS1_3genE2ELNS1_11target_archE906ELNS1_3gpuE6ELNS1_3repE0EEENS1_60segmented_radix_sort_warp_sort_medium_config_static_selectorELNS0_4arch9wavefront6targetE0EEEvSK_
    .private_segment_fixed_size: 0
    .sgpr_count:     0
    .sgpr_spill_count: 0
    .symbol:         _ZN7rocprim17ROCPRIM_400000_NS6detail17trampoline_kernelINS0_14default_configENS1_36segmented_radix_sort_config_selectorIflEEZNS1_25segmented_radix_sort_implIS3_Lb0EPKfPfPKlPlN2at6native12_GLOBAL__N_18offset_tEEE10hipError_tPvRmT1_PNSt15iterator_traitsISK_E10value_typeET2_T3_PNSL_ISQ_E10value_typeET4_jRbjT5_SW_jjP12ihipStream_tbEUlT_E0_NS1_11comp_targetILNS1_3genE2ELNS1_11target_archE906ELNS1_3gpuE6ELNS1_3repE0EEENS1_60segmented_radix_sort_warp_sort_medium_config_static_selectorELNS0_4arch9wavefront6targetE0EEEvSK_.kd
    .uniform_work_group_size: 1
    .uses_dynamic_stack: false
    .vgpr_count:     0
    .vgpr_spill_count: 0
    .wavefront_size: 32
  - .args:
      - .offset:         0
        .size:           88
        .value_kind:     by_value
    .group_segment_fixed_size: 0
    .kernarg_segment_align: 8
    .kernarg_segment_size: 88
    .language:       OpenCL C
    .language_version:
      - 2
      - 0
    .max_flat_workgroup_size: 256
    .name:           _ZN7rocprim17ROCPRIM_400000_NS6detail17trampoline_kernelINS0_14default_configENS1_36segmented_radix_sort_config_selectorIflEEZNS1_25segmented_radix_sort_implIS3_Lb0EPKfPfPKlPlN2at6native12_GLOBAL__N_18offset_tEEE10hipError_tPvRmT1_PNSt15iterator_traitsISK_E10value_typeET2_T3_PNSL_ISQ_E10value_typeET4_jRbjT5_SW_jjP12ihipStream_tbEUlT_E0_NS1_11comp_targetILNS1_3genE10ELNS1_11target_archE1201ELNS1_3gpuE5ELNS1_3repE0EEENS1_60segmented_radix_sort_warp_sort_medium_config_static_selectorELNS0_4arch9wavefront6targetE0EEEvSK_
    .private_segment_fixed_size: 0
    .sgpr_count:     0
    .sgpr_spill_count: 0
    .symbol:         _ZN7rocprim17ROCPRIM_400000_NS6detail17trampoline_kernelINS0_14default_configENS1_36segmented_radix_sort_config_selectorIflEEZNS1_25segmented_radix_sort_implIS3_Lb0EPKfPfPKlPlN2at6native12_GLOBAL__N_18offset_tEEE10hipError_tPvRmT1_PNSt15iterator_traitsISK_E10value_typeET2_T3_PNSL_ISQ_E10value_typeET4_jRbjT5_SW_jjP12ihipStream_tbEUlT_E0_NS1_11comp_targetILNS1_3genE10ELNS1_11target_archE1201ELNS1_3gpuE5ELNS1_3repE0EEENS1_60segmented_radix_sort_warp_sort_medium_config_static_selectorELNS0_4arch9wavefront6targetE0EEEvSK_.kd
    .uniform_work_group_size: 1
    .uses_dynamic_stack: false
    .vgpr_count:     0
    .vgpr_spill_count: 0
    .wavefront_size: 32
  - .args:
      - .offset:         0
        .size:           88
        .value_kind:     by_value
    .group_segment_fixed_size: 0
    .kernarg_segment_align: 8
    .kernarg_segment_size: 88
    .language:       OpenCL C
    .language_version:
      - 2
      - 0
    .max_flat_workgroup_size: 256
    .name:           _ZN7rocprim17ROCPRIM_400000_NS6detail17trampoline_kernelINS0_14default_configENS1_36segmented_radix_sort_config_selectorIflEEZNS1_25segmented_radix_sort_implIS3_Lb0EPKfPfPKlPlN2at6native12_GLOBAL__N_18offset_tEEE10hipError_tPvRmT1_PNSt15iterator_traitsISK_E10value_typeET2_T3_PNSL_ISQ_E10value_typeET4_jRbjT5_SW_jjP12ihipStream_tbEUlT_E0_NS1_11comp_targetILNS1_3genE10ELNS1_11target_archE1200ELNS1_3gpuE4ELNS1_3repE0EEENS1_60segmented_radix_sort_warp_sort_medium_config_static_selectorELNS0_4arch9wavefront6targetE0EEEvSK_
    .private_segment_fixed_size: 0
    .sgpr_count:     0
    .sgpr_spill_count: 0
    .symbol:         _ZN7rocprim17ROCPRIM_400000_NS6detail17trampoline_kernelINS0_14default_configENS1_36segmented_radix_sort_config_selectorIflEEZNS1_25segmented_radix_sort_implIS3_Lb0EPKfPfPKlPlN2at6native12_GLOBAL__N_18offset_tEEE10hipError_tPvRmT1_PNSt15iterator_traitsISK_E10value_typeET2_T3_PNSL_ISQ_E10value_typeET4_jRbjT5_SW_jjP12ihipStream_tbEUlT_E0_NS1_11comp_targetILNS1_3genE10ELNS1_11target_archE1200ELNS1_3gpuE4ELNS1_3repE0EEENS1_60segmented_radix_sort_warp_sort_medium_config_static_selectorELNS0_4arch9wavefront6targetE0EEEvSK_.kd
    .uniform_work_group_size: 1
    .uses_dynamic_stack: false
    .vgpr_count:     0
    .vgpr_spill_count: 0
    .wavefront_size: 32
  - .args:
      - .offset:         0
        .size:           88
        .value_kind:     by_value
    .group_segment_fixed_size: 0
    .kernarg_segment_align: 8
    .kernarg_segment_size: 88
    .language:       OpenCL C
    .language_version:
      - 2
      - 0
    .max_flat_workgroup_size: 256
    .name:           _ZN7rocprim17ROCPRIM_400000_NS6detail17trampoline_kernelINS0_14default_configENS1_36segmented_radix_sort_config_selectorIflEEZNS1_25segmented_radix_sort_implIS3_Lb0EPKfPfPKlPlN2at6native12_GLOBAL__N_18offset_tEEE10hipError_tPvRmT1_PNSt15iterator_traitsISK_E10value_typeET2_T3_PNSL_ISQ_E10value_typeET4_jRbjT5_SW_jjP12ihipStream_tbEUlT_E0_NS1_11comp_targetILNS1_3genE9ELNS1_11target_archE1100ELNS1_3gpuE3ELNS1_3repE0EEENS1_60segmented_radix_sort_warp_sort_medium_config_static_selectorELNS0_4arch9wavefront6targetE0EEEvSK_
    .private_segment_fixed_size: 0
    .sgpr_count:     0
    .sgpr_spill_count: 0
    .symbol:         _ZN7rocprim17ROCPRIM_400000_NS6detail17trampoline_kernelINS0_14default_configENS1_36segmented_radix_sort_config_selectorIflEEZNS1_25segmented_radix_sort_implIS3_Lb0EPKfPfPKlPlN2at6native12_GLOBAL__N_18offset_tEEE10hipError_tPvRmT1_PNSt15iterator_traitsISK_E10value_typeET2_T3_PNSL_ISQ_E10value_typeET4_jRbjT5_SW_jjP12ihipStream_tbEUlT_E0_NS1_11comp_targetILNS1_3genE9ELNS1_11target_archE1100ELNS1_3gpuE3ELNS1_3repE0EEENS1_60segmented_radix_sort_warp_sort_medium_config_static_selectorELNS0_4arch9wavefront6targetE0EEEvSK_.kd
    .uniform_work_group_size: 1
    .uses_dynamic_stack: false
    .vgpr_count:     0
    .vgpr_spill_count: 0
    .wavefront_size: 32
  - .args:
      - .offset:         0
        .size:           88
        .value_kind:     by_value
    .group_segment_fixed_size: 0
    .kernarg_segment_align: 8
    .kernarg_segment_size: 88
    .language:       OpenCL C
    .language_version:
      - 2
      - 0
    .max_flat_workgroup_size: 256
    .name:           _ZN7rocprim17ROCPRIM_400000_NS6detail17trampoline_kernelINS0_14default_configENS1_36segmented_radix_sort_config_selectorIflEEZNS1_25segmented_radix_sort_implIS3_Lb0EPKfPfPKlPlN2at6native12_GLOBAL__N_18offset_tEEE10hipError_tPvRmT1_PNSt15iterator_traitsISK_E10value_typeET2_T3_PNSL_ISQ_E10value_typeET4_jRbjT5_SW_jjP12ihipStream_tbEUlT_E0_NS1_11comp_targetILNS1_3genE8ELNS1_11target_archE1030ELNS1_3gpuE2ELNS1_3repE0EEENS1_60segmented_radix_sort_warp_sort_medium_config_static_selectorELNS0_4arch9wavefront6targetE0EEEvSK_
    .private_segment_fixed_size: 0
    .sgpr_count:     0
    .sgpr_spill_count: 0
    .symbol:         _ZN7rocprim17ROCPRIM_400000_NS6detail17trampoline_kernelINS0_14default_configENS1_36segmented_radix_sort_config_selectorIflEEZNS1_25segmented_radix_sort_implIS3_Lb0EPKfPfPKlPlN2at6native12_GLOBAL__N_18offset_tEEE10hipError_tPvRmT1_PNSt15iterator_traitsISK_E10value_typeET2_T3_PNSL_ISQ_E10value_typeET4_jRbjT5_SW_jjP12ihipStream_tbEUlT_E0_NS1_11comp_targetILNS1_3genE8ELNS1_11target_archE1030ELNS1_3gpuE2ELNS1_3repE0EEENS1_60segmented_radix_sort_warp_sort_medium_config_static_selectorELNS0_4arch9wavefront6targetE0EEEvSK_.kd
    .uniform_work_group_size: 1
    .uses_dynamic_stack: false
    .vgpr_count:     0
    .vgpr_spill_count: 0
    .wavefront_size: 32
  - .args:
      - .offset:         0
        .size:           88
        .value_kind:     by_value
      - .offset:         88
        .size:           4
        .value_kind:     hidden_block_count_x
      - .offset:         92
        .size:           4
        .value_kind:     hidden_block_count_y
      - .offset:         96
        .size:           4
        .value_kind:     hidden_block_count_z
      - .offset:         100
        .size:           2
        .value_kind:     hidden_group_size_x
      - .offset:         102
        .size:           2
        .value_kind:     hidden_group_size_y
      - .offset:         104
        .size:           2
        .value_kind:     hidden_group_size_z
      - .offset:         106
        .size:           2
        .value_kind:     hidden_remainder_x
      - .offset:         108
        .size:           2
        .value_kind:     hidden_remainder_y
      - .offset:         110
        .size:           2
        .value_kind:     hidden_remainder_z
      - .offset:         128
        .size:           8
        .value_kind:     hidden_global_offset_x
      - .offset:         136
        .size:           8
        .value_kind:     hidden_global_offset_y
      - .offset:         144
        .size:           8
        .value_kind:     hidden_global_offset_z
      - .offset:         152
        .size:           2
        .value_kind:     hidden_grid_dims
      - .offset:         168
        .size:           8
        .value_kind:     hidden_hostcall_buffer
      - .offset:         176
        .size:           8
        .value_kind:     hidden_multigrid_sync_arg
      - .offset:         184
        .size:           8
        .value_kind:     hidden_heap_v1
      - .offset:         192
        .size:           8
        .value_kind:     hidden_default_queue
      - .offset:         200
        .size:           8
        .value_kind:     hidden_completion_action
      - .offset:         288
        .size:           8
        .value_kind:     hidden_queue_ptr
    .group_segment_fixed_size: 12288
    .kernarg_segment_align: 8
    .kernarg_segment_size: 344
    .language:       OpenCL C
    .language_version:
      - 2
      - 0
    .max_flat_workgroup_size: 256
    .name:           _ZN7rocprim17ROCPRIM_400000_NS6detail17trampoline_kernelINS0_14default_configENS1_36segmented_radix_sort_config_selectorIflEEZNS1_25segmented_radix_sort_implIS3_Lb0EPKfPfPKlPlN2at6native12_GLOBAL__N_18offset_tEEE10hipError_tPvRmT1_PNSt15iterator_traitsISK_E10value_typeET2_T3_PNSL_ISQ_E10value_typeET4_jRbjT5_SW_jjP12ihipStream_tbEUlT_E1_NS1_11comp_targetILNS1_3genE0ELNS1_11target_archE4294967295ELNS1_3gpuE0ELNS1_3repE0EEENS1_59segmented_radix_sort_warp_sort_small_config_static_selectorELNS0_4arch9wavefront6targetE0EEEvSK_
    .private_segment_fixed_size: 0
    .sgpr_count:     35
    .sgpr_spill_count: 0
    .symbol:         _ZN7rocprim17ROCPRIM_400000_NS6detail17trampoline_kernelINS0_14default_configENS1_36segmented_radix_sort_config_selectorIflEEZNS1_25segmented_radix_sort_implIS3_Lb0EPKfPfPKlPlN2at6native12_GLOBAL__N_18offset_tEEE10hipError_tPvRmT1_PNSt15iterator_traitsISK_E10value_typeET2_T3_PNSL_ISQ_E10value_typeET4_jRbjT5_SW_jjP12ihipStream_tbEUlT_E1_NS1_11comp_targetILNS1_3genE0ELNS1_11target_archE4294967295ELNS1_3gpuE0ELNS1_3repE0EEENS1_59segmented_radix_sort_warp_sort_small_config_static_selectorELNS0_4arch9wavefront6targetE0EEEvSK_.kd
    .uniform_work_group_size: 1
    .uses_dynamic_stack: false
    .vgpr_count:     72
    .vgpr_spill_count: 0
    .wavefront_size: 32
  - .args:
      - .offset:         0
        .size:           88
        .value_kind:     by_value
    .group_segment_fixed_size: 0
    .kernarg_segment_align: 8
    .kernarg_segment_size: 88
    .language:       OpenCL C
    .language_version:
      - 2
      - 0
    .max_flat_workgroup_size: 256
    .name:           _ZN7rocprim17ROCPRIM_400000_NS6detail17trampoline_kernelINS0_14default_configENS1_36segmented_radix_sort_config_selectorIflEEZNS1_25segmented_radix_sort_implIS3_Lb0EPKfPfPKlPlN2at6native12_GLOBAL__N_18offset_tEEE10hipError_tPvRmT1_PNSt15iterator_traitsISK_E10value_typeET2_T3_PNSL_ISQ_E10value_typeET4_jRbjT5_SW_jjP12ihipStream_tbEUlT_E1_NS1_11comp_targetILNS1_3genE5ELNS1_11target_archE942ELNS1_3gpuE9ELNS1_3repE0EEENS1_59segmented_radix_sort_warp_sort_small_config_static_selectorELNS0_4arch9wavefront6targetE0EEEvSK_
    .private_segment_fixed_size: 0
    .sgpr_count:     0
    .sgpr_spill_count: 0
    .symbol:         _ZN7rocprim17ROCPRIM_400000_NS6detail17trampoline_kernelINS0_14default_configENS1_36segmented_radix_sort_config_selectorIflEEZNS1_25segmented_radix_sort_implIS3_Lb0EPKfPfPKlPlN2at6native12_GLOBAL__N_18offset_tEEE10hipError_tPvRmT1_PNSt15iterator_traitsISK_E10value_typeET2_T3_PNSL_ISQ_E10value_typeET4_jRbjT5_SW_jjP12ihipStream_tbEUlT_E1_NS1_11comp_targetILNS1_3genE5ELNS1_11target_archE942ELNS1_3gpuE9ELNS1_3repE0EEENS1_59segmented_radix_sort_warp_sort_small_config_static_selectorELNS0_4arch9wavefront6targetE0EEEvSK_.kd
    .uniform_work_group_size: 1
    .uses_dynamic_stack: false
    .vgpr_count:     0
    .vgpr_spill_count: 0
    .wavefront_size: 32
  - .args:
      - .offset:         0
        .size:           88
        .value_kind:     by_value
    .group_segment_fixed_size: 0
    .kernarg_segment_align: 8
    .kernarg_segment_size: 88
    .language:       OpenCL C
    .language_version:
      - 2
      - 0
    .max_flat_workgroup_size: 256
    .name:           _ZN7rocprim17ROCPRIM_400000_NS6detail17trampoline_kernelINS0_14default_configENS1_36segmented_radix_sort_config_selectorIflEEZNS1_25segmented_radix_sort_implIS3_Lb0EPKfPfPKlPlN2at6native12_GLOBAL__N_18offset_tEEE10hipError_tPvRmT1_PNSt15iterator_traitsISK_E10value_typeET2_T3_PNSL_ISQ_E10value_typeET4_jRbjT5_SW_jjP12ihipStream_tbEUlT_E1_NS1_11comp_targetILNS1_3genE4ELNS1_11target_archE910ELNS1_3gpuE8ELNS1_3repE0EEENS1_59segmented_radix_sort_warp_sort_small_config_static_selectorELNS0_4arch9wavefront6targetE0EEEvSK_
    .private_segment_fixed_size: 0
    .sgpr_count:     0
    .sgpr_spill_count: 0
    .symbol:         _ZN7rocprim17ROCPRIM_400000_NS6detail17trampoline_kernelINS0_14default_configENS1_36segmented_radix_sort_config_selectorIflEEZNS1_25segmented_radix_sort_implIS3_Lb0EPKfPfPKlPlN2at6native12_GLOBAL__N_18offset_tEEE10hipError_tPvRmT1_PNSt15iterator_traitsISK_E10value_typeET2_T3_PNSL_ISQ_E10value_typeET4_jRbjT5_SW_jjP12ihipStream_tbEUlT_E1_NS1_11comp_targetILNS1_3genE4ELNS1_11target_archE910ELNS1_3gpuE8ELNS1_3repE0EEENS1_59segmented_radix_sort_warp_sort_small_config_static_selectorELNS0_4arch9wavefront6targetE0EEEvSK_.kd
    .uniform_work_group_size: 1
    .uses_dynamic_stack: false
    .vgpr_count:     0
    .vgpr_spill_count: 0
    .wavefront_size: 32
  - .args:
      - .offset:         0
        .size:           88
        .value_kind:     by_value
    .group_segment_fixed_size: 0
    .kernarg_segment_align: 8
    .kernarg_segment_size: 88
    .language:       OpenCL C
    .language_version:
      - 2
      - 0
    .max_flat_workgroup_size: 256
    .name:           _ZN7rocprim17ROCPRIM_400000_NS6detail17trampoline_kernelINS0_14default_configENS1_36segmented_radix_sort_config_selectorIflEEZNS1_25segmented_radix_sort_implIS3_Lb0EPKfPfPKlPlN2at6native12_GLOBAL__N_18offset_tEEE10hipError_tPvRmT1_PNSt15iterator_traitsISK_E10value_typeET2_T3_PNSL_ISQ_E10value_typeET4_jRbjT5_SW_jjP12ihipStream_tbEUlT_E1_NS1_11comp_targetILNS1_3genE3ELNS1_11target_archE908ELNS1_3gpuE7ELNS1_3repE0EEENS1_59segmented_radix_sort_warp_sort_small_config_static_selectorELNS0_4arch9wavefront6targetE0EEEvSK_
    .private_segment_fixed_size: 0
    .sgpr_count:     0
    .sgpr_spill_count: 0
    .symbol:         _ZN7rocprim17ROCPRIM_400000_NS6detail17trampoline_kernelINS0_14default_configENS1_36segmented_radix_sort_config_selectorIflEEZNS1_25segmented_radix_sort_implIS3_Lb0EPKfPfPKlPlN2at6native12_GLOBAL__N_18offset_tEEE10hipError_tPvRmT1_PNSt15iterator_traitsISK_E10value_typeET2_T3_PNSL_ISQ_E10value_typeET4_jRbjT5_SW_jjP12ihipStream_tbEUlT_E1_NS1_11comp_targetILNS1_3genE3ELNS1_11target_archE908ELNS1_3gpuE7ELNS1_3repE0EEENS1_59segmented_radix_sort_warp_sort_small_config_static_selectorELNS0_4arch9wavefront6targetE0EEEvSK_.kd
    .uniform_work_group_size: 1
    .uses_dynamic_stack: false
    .vgpr_count:     0
    .vgpr_spill_count: 0
    .wavefront_size: 32
  - .args:
      - .offset:         0
        .size:           88
        .value_kind:     by_value
    .group_segment_fixed_size: 0
    .kernarg_segment_align: 8
    .kernarg_segment_size: 88
    .language:       OpenCL C
    .language_version:
      - 2
      - 0
    .max_flat_workgroup_size: 256
    .name:           _ZN7rocprim17ROCPRIM_400000_NS6detail17trampoline_kernelINS0_14default_configENS1_36segmented_radix_sort_config_selectorIflEEZNS1_25segmented_radix_sort_implIS3_Lb0EPKfPfPKlPlN2at6native12_GLOBAL__N_18offset_tEEE10hipError_tPvRmT1_PNSt15iterator_traitsISK_E10value_typeET2_T3_PNSL_ISQ_E10value_typeET4_jRbjT5_SW_jjP12ihipStream_tbEUlT_E1_NS1_11comp_targetILNS1_3genE2ELNS1_11target_archE906ELNS1_3gpuE6ELNS1_3repE0EEENS1_59segmented_radix_sort_warp_sort_small_config_static_selectorELNS0_4arch9wavefront6targetE0EEEvSK_
    .private_segment_fixed_size: 0
    .sgpr_count:     0
    .sgpr_spill_count: 0
    .symbol:         _ZN7rocprim17ROCPRIM_400000_NS6detail17trampoline_kernelINS0_14default_configENS1_36segmented_radix_sort_config_selectorIflEEZNS1_25segmented_radix_sort_implIS3_Lb0EPKfPfPKlPlN2at6native12_GLOBAL__N_18offset_tEEE10hipError_tPvRmT1_PNSt15iterator_traitsISK_E10value_typeET2_T3_PNSL_ISQ_E10value_typeET4_jRbjT5_SW_jjP12ihipStream_tbEUlT_E1_NS1_11comp_targetILNS1_3genE2ELNS1_11target_archE906ELNS1_3gpuE6ELNS1_3repE0EEENS1_59segmented_radix_sort_warp_sort_small_config_static_selectorELNS0_4arch9wavefront6targetE0EEEvSK_.kd
    .uniform_work_group_size: 1
    .uses_dynamic_stack: false
    .vgpr_count:     0
    .vgpr_spill_count: 0
    .wavefront_size: 32
  - .args:
      - .offset:         0
        .size:           88
        .value_kind:     by_value
    .group_segment_fixed_size: 0
    .kernarg_segment_align: 8
    .kernarg_segment_size: 88
    .language:       OpenCL C
    .language_version:
      - 2
      - 0
    .max_flat_workgroup_size: 256
    .name:           _ZN7rocprim17ROCPRIM_400000_NS6detail17trampoline_kernelINS0_14default_configENS1_36segmented_radix_sort_config_selectorIflEEZNS1_25segmented_radix_sort_implIS3_Lb0EPKfPfPKlPlN2at6native12_GLOBAL__N_18offset_tEEE10hipError_tPvRmT1_PNSt15iterator_traitsISK_E10value_typeET2_T3_PNSL_ISQ_E10value_typeET4_jRbjT5_SW_jjP12ihipStream_tbEUlT_E1_NS1_11comp_targetILNS1_3genE10ELNS1_11target_archE1201ELNS1_3gpuE5ELNS1_3repE0EEENS1_59segmented_radix_sort_warp_sort_small_config_static_selectorELNS0_4arch9wavefront6targetE0EEEvSK_
    .private_segment_fixed_size: 0
    .sgpr_count:     0
    .sgpr_spill_count: 0
    .symbol:         _ZN7rocprim17ROCPRIM_400000_NS6detail17trampoline_kernelINS0_14default_configENS1_36segmented_radix_sort_config_selectorIflEEZNS1_25segmented_radix_sort_implIS3_Lb0EPKfPfPKlPlN2at6native12_GLOBAL__N_18offset_tEEE10hipError_tPvRmT1_PNSt15iterator_traitsISK_E10value_typeET2_T3_PNSL_ISQ_E10value_typeET4_jRbjT5_SW_jjP12ihipStream_tbEUlT_E1_NS1_11comp_targetILNS1_3genE10ELNS1_11target_archE1201ELNS1_3gpuE5ELNS1_3repE0EEENS1_59segmented_radix_sort_warp_sort_small_config_static_selectorELNS0_4arch9wavefront6targetE0EEEvSK_.kd
    .uniform_work_group_size: 1
    .uses_dynamic_stack: false
    .vgpr_count:     0
    .vgpr_spill_count: 0
    .wavefront_size: 32
  - .args:
      - .offset:         0
        .size:           88
        .value_kind:     by_value
    .group_segment_fixed_size: 0
    .kernarg_segment_align: 8
    .kernarg_segment_size: 88
    .language:       OpenCL C
    .language_version:
      - 2
      - 0
    .max_flat_workgroup_size: 256
    .name:           _ZN7rocprim17ROCPRIM_400000_NS6detail17trampoline_kernelINS0_14default_configENS1_36segmented_radix_sort_config_selectorIflEEZNS1_25segmented_radix_sort_implIS3_Lb0EPKfPfPKlPlN2at6native12_GLOBAL__N_18offset_tEEE10hipError_tPvRmT1_PNSt15iterator_traitsISK_E10value_typeET2_T3_PNSL_ISQ_E10value_typeET4_jRbjT5_SW_jjP12ihipStream_tbEUlT_E1_NS1_11comp_targetILNS1_3genE10ELNS1_11target_archE1200ELNS1_3gpuE4ELNS1_3repE0EEENS1_59segmented_radix_sort_warp_sort_small_config_static_selectorELNS0_4arch9wavefront6targetE0EEEvSK_
    .private_segment_fixed_size: 0
    .sgpr_count:     0
    .sgpr_spill_count: 0
    .symbol:         _ZN7rocprim17ROCPRIM_400000_NS6detail17trampoline_kernelINS0_14default_configENS1_36segmented_radix_sort_config_selectorIflEEZNS1_25segmented_radix_sort_implIS3_Lb0EPKfPfPKlPlN2at6native12_GLOBAL__N_18offset_tEEE10hipError_tPvRmT1_PNSt15iterator_traitsISK_E10value_typeET2_T3_PNSL_ISQ_E10value_typeET4_jRbjT5_SW_jjP12ihipStream_tbEUlT_E1_NS1_11comp_targetILNS1_3genE10ELNS1_11target_archE1200ELNS1_3gpuE4ELNS1_3repE0EEENS1_59segmented_radix_sort_warp_sort_small_config_static_selectorELNS0_4arch9wavefront6targetE0EEEvSK_.kd
    .uniform_work_group_size: 1
    .uses_dynamic_stack: false
    .vgpr_count:     0
    .vgpr_spill_count: 0
    .wavefront_size: 32
  - .args:
      - .offset:         0
        .size:           88
        .value_kind:     by_value
    .group_segment_fixed_size: 0
    .kernarg_segment_align: 8
    .kernarg_segment_size: 88
    .language:       OpenCL C
    .language_version:
      - 2
      - 0
    .max_flat_workgroup_size: 256
    .name:           _ZN7rocprim17ROCPRIM_400000_NS6detail17trampoline_kernelINS0_14default_configENS1_36segmented_radix_sort_config_selectorIflEEZNS1_25segmented_radix_sort_implIS3_Lb0EPKfPfPKlPlN2at6native12_GLOBAL__N_18offset_tEEE10hipError_tPvRmT1_PNSt15iterator_traitsISK_E10value_typeET2_T3_PNSL_ISQ_E10value_typeET4_jRbjT5_SW_jjP12ihipStream_tbEUlT_E1_NS1_11comp_targetILNS1_3genE9ELNS1_11target_archE1100ELNS1_3gpuE3ELNS1_3repE0EEENS1_59segmented_radix_sort_warp_sort_small_config_static_selectorELNS0_4arch9wavefront6targetE0EEEvSK_
    .private_segment_fixed_size: 0
    .sgpr_count:     0
    .sgpr_spill_count: 0
    .symbol:         _ZN7rocprim17ROCPRIM_400000_NS6detail17trampoline_kernelINS0_14default_configENS1_36segmented_radix_sort_config_selectorIflEEZNS1_25segmented_radix_sort_implIS3_Lb0EPKfPfPKlPlN2at6native12_GLOBAL__N_18offset_tEEE10hipError_tPvRmT1_PNSt15iterator_traitsISK_E10value_typeET2_T3_PNSL_ISQ_E10value_typeET4_jRbjT5_SW_jjP12ihipStream_tbEUlT_E1_NS1_11comp_targetILNS1_3genE9ELNS1_11target_archE1100ELNS1_3gpuE3ELNS1_3repE0EEENS1_59segmented_radix_sort_warp_sort_small_config_static_selectorELNS0_4arch9wavefront6targetE0EEEvSK_.kd
    .uniform_work_group_size: 1
    .uses_dynamic_stack: false
    .vgpr_count:     0
    .vgpr_spill_count: 0
    .wavefront_size: 32
  - .args:
      - .offset:         0
        .size:           88
        .value_kind:     by_value
    .group_segment_fixed_size: 0
    .kernarg_segment_align: 8
    .kernarg_segment_size: 88
    .language:       OpenCL C
    .language_version:
      - 2
      - 0
    .max_flat_workgroup_size: 256
    .name:           _ZN7rocprim17ROCPRIM_400000_NS6detail17trampoline_kernelINS0_14default_configENS1_36segmented_radix_sort_config_selectorIflEEZNS1_25segmented_radix_sort_implIS3_Lb0EPKfPfPKlPlN2at6native12_GLOBAL__N_18offset_tEEE10hipError_tPvRmT1_PNSt15iterator_traitsISK_E10value_typeET2_T3_PNSL_ISQ_E10value_typeET4_jRbjT5_SW_jjP12ihipStream_tbEUlT_E1_NS1_11comp_targetILNS1_3genE8ELNS1_11target_archE1030ELNS1_3gpuE2ELNS1_3repE0EEENS1_59segmented_radix_sort_warp_sort_small_config_static_selectorELNS0_4arch9wavefront6targetE0EEEvSK_
    .private_segment_fixed_size: 0
    .sgpr_count:     0
    .sgpr_spill_count: 0
    .symbol:         _ZN7rocprim17ROCPRIM_400000_NS6detail17trampoline_kernelINS0_14default_configENS1_36segmented_radix_sort_config_selectorIflEEZNS1_25segmented_radix_sort_implIS3_Lb0EPKfPfPKlPlN2at6native12_GLOBAL__N_18offset_tEEE10hipError_tPvRmT1_PNSt15iterator_traitsISK_E10value_typeET2_T3_PNSL_ISQ_E10value_typeET4_jRbjT5_SW_jjP12ihipStream_tbEUlT_E1_NS1_11comp_targetILNS1_3genE8ELNS1_11target_archE1030ELNS1_3gpuE2ELNS1_3repE0EEENS1_59segmented_radix_sort_warp_sort_small_config_static_selectorELNS0_4arch9wavefront6targetE0EEEvSK_.kd
    .uniform_work_group_size: 1
    .uses_dynamic_stack: false
    .vgpr_count:     0
    .vgpr_spill_count: 0
    .wavefront_size: 32
  - .args:
      - .offset:         0
        .size:           80
        .value_kind:     by_value
      - .offset:         80
        .size:           4
        .value_kind:     hidden_block_count_x
      - .offset:         84
        .size:           4
        .value_kind:     hidden_block_count_y
      - .offset:         88
        .size:           4
        .value_kind:     hidden_block_count_z
      - .offset:         92
        .size:           2
        .value_kind:     hidden_group_size_x
      - .offset:         94
        .size:           2
        .value_kind:     hidden_group_size_y
      - .offset:         96
        .size:           2
        .value_kind:     hidden_group_size_z
      - .offset:         98
        .size:           2
        .value_kind:     hidden_remainder_x
      - .offset:         100
        .size:           2
        .value_kind:     hidden_remainder_y
      - .offset:         102
        .size:           2
        .value_kind:     hidden_remainder_z
      - .offset:         120
        .size:           8
        .value_kind:     hidden_global_offset_x
      - .offset:         128
        .size:           8
        .value_kind:     hidden_global_offset_y
      - .offset:         136
        .size:           8
        .value_kind:     hidden_global_offset_z
      - .offset:         144
        .size:           2
        .value_kind:     hidden_grid_dims
      - .offset:         160
        .size:           8
        .value_kind:     hidden_hostcall_buffer
      - .offset:         168
        .size:           8
        .value_kind:     hidden_multigrid_sync_arg
      - .offset:         176
        .size:           8
        .value_kind:     hidden_heap_v1
      - .offset:         184
        .size:           8
        .value_kind:     hidden_default_queue
      - .offset:         192
        .size:           8
        .value_kind:     hidden_completion_action
      - .offset:         280
        .size:           8
        .value_kind:     hidden_queue_ptr
    .group_segment_fixed_size: 35344
    .kernarg_segment_align: 8
    .kernarg_segment_size: 336
    .language:       OpenCL C
    .language_version:
      - 2
      - 0
    .max_flat_workgroup_size: 256
    .name:           _ZN7rocprim17ROCPRIM_400000_NS6detail17trampoline_kernelINS0_14default_configENS1_36segmented_radix_sort_config_selectorIflEEZNS1_25segmented_radix_sort_implIS3_Lb0EPKfPfPKlPlN2at6native12_GLOBAL__N_18offset_tEEE10hipError_tPvRmT1_PNSt15iterator_traitsISK_E10value_typeET2_T3_PNSL_ISQ_E10value_typeET4_jRbjT5_SW_jjP12ihipStream_tbEUlT_E2_NS1_11comp_targetILNS1_3genE0ELNS1_11target_archE4294967295ELNS1_3gpuE0ELNS1_3repE0EEENS1_30default_config_static_selectorELNS0_4arch9wavefront6targetE0EEEvSK_
    .private_segment_fixed_size: 0
    .sgpr_count:     64
    .sgpr_spill_count: 0
    .symbol:         _ZN7rocprim17ROCPRIM_400000_NS6detail17trampoline_kernelINS0_14default_configENS1_36segmented_radix_sort_config_selectorIflEEZNS1_25segmented_radix_sort_implIS3_Lb0EPKfPfPKlPlN2at6native12_GLOBAL__N_18offset_tEEE10hipError_tPvRmT1_PNSt15iterator_traitsISK_E10value_typeET2_T3_PNSL_ISQ_E10value_typeET4_jRbjT5_SW_jjP12ihipStream_tbEUlT_E2_NS1_11comp_targetILNS1_3genE0ELNS1_11target_archE4294967295ELNS1_3gpuE0ELNS1_3repE0EEENS1_30default_config_static_selectorELNS0_4arch9wavefront6targetE0EEEvSK_.kd
    .uniform_work_group_size: 1
    .uses_dynamic_stack: false
    .vgpr_count:     320
    .vgpr_spill_count: 0
    .wavefront_size: 32
  - .args:
      - .offset:         0
        .size:           80
        .value_kind:     by_value
    .group_segment_fixed_size: 0
    .kernarg_segment_align: 8
    .kernarg_segment_size: 80
    .language:       OpenCL C
    .language_version:
      - 2
      - 0
    .max_flat_workgroup_size: 256
    .name:           _ZN7rocprim17ROCPRIM_400000_NS6detail17trampoline_kernelINS0_14default_configENS1_36segmented_radix_sort_config_selectorIflEEZNS1_25segmented_radix_sort_implIS3_Lb0EPKfPfPKlPlN2at6native12_GLOBAL__N_18offset_tEEE10hipError_tPvRmT1_PNSt15iterator_traitsISK_E10value_typeET2_T3_PNSL_ISQ_E10value_typeET4_jRbjT5_SW_jjP12ihipStream_tbEUlT_E2_NS1_11comp_targetILNS1_3genE5ELNS1_11target_archE942ELNS1_3gpuE9ELNS1_3repE0EEENS1_30default_config_static_selectorELNS0_4arch9wavefront6targetE0EEEvSK_
    .private_segment_fixed_size: 0
    .sgpr_count:     0
    .sgpr_spill_count: 0
    .symbol:         _ZN7rocprim17ROCPRIM_400000_NS6detail17trampoline_kernelINS0_14default_configENS1_36segmented_radix_sort_config_selectorIflEEZNS1_25segmented_radix_sort_implIS3_Lb0EPKfPfPKlPlN2at6native12_GLOBAL__N_18offset_tEEE10hipError_tPvRmT1_PNSt15iterator_traitsISK_E10value_typeET2_T3_PNSL_ISQ_E10value_typeET4_jRbjT5_SW_jjP12ihipStream_tbEUlT_E2_NS1_11comp_targetILNS1_3genE5ELNS1_11target_archE942ELNS1_3gpuE9ELNS1_3repE0EEENS1_30default_config_static_selectorELNS0_4arch9wavefront6targetE0EEEvSK_.kd
    .uniform_work_group_size: 1
    .uses_dynamic_stack: false
    .vgpr_count:     0
    .vgpr_spill_count: 0
    .wavefront_size: 32
  - .args:
      - .offset:         0
        .size:           80
        .value_kind:     by_value
    .group_segment_fixed_size: 0
    .kernarg_segment_align: 8
    .kernarg_segment_size: 80
    .language:       OpenCL C
    .language_version:
      - 2
      - 0
    .max_flat_workgroup_size: 256
    .name:           _ZN7rocprim17ROCPRIM_400000_NS6detail17trampoline_kernelINS0_14default_configENS1_36segmented_radix_sort_config_selectorIflEEZNS1_25segmented_radix_sort_implIS3_Lb0EPKfPfPKlPlN2at6native12_GLOBAL__N_18offset_tEEE10hipError_tPvRmT1_PNSt15iterator_traitsISK_E10value_typeET2_T3_PNSL_ISQ_E10value_typeET4_jRbjT5_SW_jjP12ihipStream_tbEUlT_E2_NS1_11comp_targetILNS1_3genE4ELNS1_11target_archE910ELNS1_3gpuE8ELNS1_3repE0EEENS1_30default_config_static_selectorELNS0_4arch9wavefront6targetE0EEEvSK_
    .private_segment_fixed_size: 0
    .sgpr_count:     0
    .sgpr_spill_count: 0
    .symbol:         _ZN7rocprim17ROCPRIM_400000_NS6detail17trampoline_kernelINS0_14default_configENS1_36segmented_radix_sort_config_selectorIflEEZNS1_25segmented_radix_sort_implIS3_Lb0EPKfPfPKlPlN2at6native12_GLOBAL__N_18offset_tEEE10hipError_tPvRmT1_PNSt15iterator_traitsISK_E10value_typeET2_T3_PNSL_ISQ_E10value_typeET4_jRbjT5_SW_jjP12ihipStream_tbEUlT_E2_NS1_11comp_targetILNS1_3genE4ELNS1_11target_archE910ELNS1_3gpuE8ELNS1_3repE0EEENS1_30default_config_static_selectorELNS0_4arch9wavefront6targetE0EEEvSK_.kd
    .uniform_work_group_size: 1
    .uses_dynamic_stack: false
    .vgpr_count:     0
    .vgpr_spill_count: 0
    .wavefront_size: 32
  - .args:
      - .offset:         0
        .size:           80
        .value_kind:     by_value
    .group_segment_fixed_size: 0
    .kernarg_segment_align: 8
    .kernarg_segment_size: 80
    .language:       OpenCL C
    .language_version:
      - 2
      - 0
    .max_flat_workgroup_size: 256
    .name:           _ZN7rocprim17ROCPRIM_400000_NS6detail17trampoline_kernelINS0_14default_configENS1_36segmented_radix_sort_config_selectorIflEEZNS1_25segmented_radix_sort_implIS3_Lb0EPKfPfPKlPlN2at6native12_GLOBAL__N_18offset_tEEE10hipError_tPvRmT1_PNSt15iterator_traitsISK_E10value_typeET2_T3_PNSL_ISQ_E10value_typeET4_jRbjT5_SW_jjP12ihipStream_tbEUlT_E2_NS1_11comp_targetILNS1_3genE3ELNS1_11target_archE908ELNS1_3gpuE7ELNS1_3repE0EEENS1_30default_config_static_selectorELNS0_4arch9wavefront6targetE0EEEvSK_
    .private_segment_fixed_size: 0
    .sgpr_count:     0
    .sgpr_spill_count: 0
    .symbol:         _ZN7rocprim17ROCPRIM_400000_NS6detail17trampoline_kernelINS0_14default_configENS1_36segmented_radix_sort_config_selectorIflEEZNS1_25segmented_radix_sort_implIS3_Lb0EPKfPfPKlPlN2at6native12_GLOBAL__N_18offset_tEEE10hipError_tPvRmT1_PNSt15iterator_traitsISK_E10value_typeET2_T3_PNSL_ISQ_E10value_typeET4_jRbjT5_SW_jjP12ihipStream_tbEUlT_E2_NS1_11comp_targetILNS1_3genE3ELNS1_11target_archE908ELNS1_3gpuE7ELNS1_3repE0EEENS1_30default_config_static_selectorELNS0_4arch9wavefront6targetE0EEEvSK_.kd
    .uniform_work_group_size: 1
    .uses_dynamic_stack: false
    .vgpr_count:     0
    .vgpr_spill_count: 0
    .wavefront_size: 32
  - .args:
      - .offset:         0
        .size:           80
        .value_kind:     by_value
    .group_segment_fixed_size: 0
    .kernarg_segment_align: 8
    .kernarg_segment_size: 80
    .language:       OpenCL C
    .language_version:
      - 2
      - 0
    .max_flat_workgroup_size: 256
    .name:           _ZN7rocprim17ROCPRIM_400000_NS6detail17trampoline_kernelINS0_14default_configENS1_36segmented_radix_sort_config_selectorIflEEZNS1_25segmented_radix_sort_implIS3_Lb0EPKfPfPKlPlN2at6native12_GLOBAL__N_18offset_tEEE10hipError_tPvRmT1_PNSt15iterator_traitsISK_E10value_typeET2_T3_PNSL_ISQ_E10value_typeET4_jRbjT5_SW_jjP12ihipStream_tbEUlT_E2_NS1_11comp_targetILNS1_3genE2ELNS1_11target_archE906ELNS1_3gpuE6ELNS1_3repE0EEENS1_30default_config_static_selectorELNS0_4arch9wavefront6targetE0EEEvSK_
    .private_segment_fixed_size: 0
    .sgpr_count:     0
    .sgpr_spill_count: 0
    .symbol:         _ZN7rocprim17ROCPRIM_400000_NS6detail17trampoline_kernelINS0_14default_configENS1_36segmented_radix_sort_config_selectorIflEEZNS1_25segmented_radix_sort_implIS3_Lb0EPKfPfPKlPlN2at6native12_GLOBAL__N_18offset_tEEE10hipError_tPvRmT1_PNSt15iterator_traitsISK_E10value_typeET2_T3_PNSL_ISQ_E10value_typeET4_jRbjT5_SW_jjP12ihipStream_tbEUlT_E2_NS1_11comp_targetILNS1_3genE2ELNS1_11target_archE906ELNS1_3gpuE6ELNS1_3repE0EEENS1_30default_config_static_selectorELNS0_4arch9wavefront6targetE0EEEvSK_.kd
    .uniform_work_group_size: 1
    .uses_dynamic_stack: false
    .vgpr_count:     0
    .vgpr_spill_count: 0
    .wavefront_size: 32
  - .args:
      - .offset:         0
        .size:           80
        .value_kind:     by_value
    .group_segment_fixed_size: 0
    .kernarg_segment_align: 8
    .kernarg_segment_size: 80
    .language:       OpenCL C
    .language_version:
      - 2
      - 0
    .max_flat_workgroup_size: 256
    .name:           _ZN7rocprim17ROCPRIM_400000_NS6detail17trampoline_kernelINS0_14default_configENS1_36segmented_radix_sort_config_selectorIflEEZNS1_25segmented_radix_sort_implIS3_Lb0EPKfPfPKlPlN2at6native12_GLOBAL__N_18offset_tEEE10hipError_tPvRmT1_PNSt15iterator_traitsISK_E10value_typeET2_T3_PNSL_ISQ_E10value_typeET4_jRbjT5_SW_jjP12ihipStream_tbEUlT_E2_NS1_11comp_targetILNS1_3genE10ELNS1_11target_archE1201ELNS1_3gpuE5ELNS1_3repE0EEENS1_30default_config_static_selectorELNS0_4arch9wavefront6targetE0EEEvSK_
    .private_segment_fixed_size: 0
    .sgpr_count:     0
    .sgpr_spill_count: 0
    .symbol:         _ZN7rocprim17ROCPRIM_400000_NS6detail17trampoline_kernelINS0_14default_configENS1_36segmented_radix_sort_config_selectorIflEEZNS1_25segmented_radix_sort_implIS3_Lb0EPKfPfPKlPlN2at6native12_GLOBAL__N_18offset_tEEE10hipError_tPvRmT1_PNSt15iterator_traitsISK_E10value_typeET2_T3_PNSL_ISQ_E10value_typeET4_jRbjT5_SW_jjP12ihipStream_tbEUlT_E2_NS1_11comp_targetILNS1_3genE10ELNS1_11target_archE1201ELNS1_3gpuE5ELNS1_3repE0EEENS1_30default_config_static_selectorELNS0_4arch9wavefront6targetE0EEEvSK_.kd
    .uniform_work_group_size: 1
    .uses_dynamic_stack: false
    .vgpr_count:     0
    .vgpr_spill_count: 0
    .wavefront_size: 32
  - .args:
      - .offset:         0
        .size:           80
        .value_kind:     by_value
    .group_segment_fixed_size: 0
    .kernarg_segment_align: 8
    .kernarg_segment_size: 80
    .language:       OpenCL C
    .language_version:
      - 2
      - 0
    .max_flat_workgroup_size: 128
    .name:           _ZN7rocprim17ROCPRIM_400000_NS6detail17trampoline_kernelINS0_14default_configENS1_36segmented_radix_sort_config_selectorIflEEZNS1_25segmented_radix_sort_implIS3_Lb0EPKfPfPKlPlN2at6native12_GLOBAL__N_18offset_tEEE10hipError_tPvRmT1_PNSt15iterator_traitsISK_E10value_typeET2_T3_PNSL_ISQ_E10value_typeET4_jRbjT5_SW_jjP12ihipStream_tbEUlT_E2_NS1_11comp_targetILNS1_3genE10ELNS1_11target_archE1200ELNS1_3gpuE4ELNS1_3repE0EEENS1_30default_config_static_selectorELNS0_4arch9wavefront6targetE0EEEvSK_
    .private_segment_fixed_size: 0
    .sgpr_count:     0
    .sgpr_spill_count: 0
    .symbol:         _ZN7rocprim17ROCPRIM_400000_NS6detail17trampoline_kernelINS0_14default_configENS1_36segmented_radix_sort_config_selectorIflEEZNS1_25segmented_radix_sort_implIS3_Lb0EPKfPfPKlPlN2at6native12_GLOBAL__N_18offset_tEEE10hipError_tPvRmT1_PNSt15iterator_traitsISK_E10value_typeET2_T3_PNSL_ISQ_E10value_typeET4_jRbjT5_SW_jjP12ihipStream_tbEUlT_E2_NS1_11comp_targetILNS1_3genE10ELNS1_11target_archE1200ELNS1_3gpuE4ELNS1_3repE0EEENS1_30default_config_static_selectorELNS0_4arch9wavefront6targetE0EEEvSK_.kd
    .uniform_work_group_size: 1
    .uses_dynamic_stack: false
    .vgpr_count:     0
    .vgpr_spill_count: 0
    .wavefront_size: 32
  - .args:
      - .offset:         0
        .size:           80
        .value_kind:     by_value
    .group_segment_fixed_size: 0
    .kernarg_segment_align: 8
    .kernarg_segment_size: 80
    .language:       OpenCL C
    .language_version:
      - 2
      - 0
    .max_flat_workgroup_size: 256
    .name:           _ZN7rocprim17ROCPRIM_400000_NS6detail17trampoline_kernelINS0_14default_configENS1_36segmented_radix_sort_config_selectorIflEEZNS1_25segmented_radix_sort_implIS3_Lb0EPKfPfPKlPlN2at6native12_GLOBAL__N_18offset_tEEE10hipError_tPvRmT1_PNSt15iterator_traitsISK_E10value_typeET2_T3_PNSL_ISQ_E10value_typeET4_jRbjT5_SW_jjP12ihipStream_tbEUlT_E2_NS1_11comp_targetILNS1_3genE9ELNS1_11target_archE1100ELNS1_3gpuE3ELNS1_3repE0EEENS1_30default_config_static_selectorELNS0_4arch9wavefront6targetE0EEEvSK_
    .private_segment_fixed_size: 0
    .sgpr_count:     0
    .sgpr_spill_count: 0
    .symbol:         _ZN7rocprim17ROCPRIM_400000_NS6detail17trampoline_kernelINS0_14default_configENS1_36segmented_radix_sort_config_selectorIflEEZNS1_25segmented_radix_sort_implIS3_Lb0EPKfPfPKlPlN2at6native12_GLOBAL__N_18offset_tEEE10hipError_tPvRmT1_PNSt15iterator_traitsISK_E10value_typeET2_T3_PNSL_ISQ_E10value_typeET4_jRbjT5_SW_jjP12ihipStream_tbEUlT_E2_NS1_11comp_targetILNS1_3genE9ELNS1_11target_archE1100ELNS1_3gpuE3ELNS1_3repE0EEENS1_30default_config_static_selectorELNS0_4arch9wavefront6targetE0EEEvSK_.kd
    .uniform_work_group_size: 1
    .uses_dynamic_stack: false
    .vgpr_count:     0
    .vgpr_spill_count: 0
    .wavefront_size: 32
  - .args:
      - .offset:         0
        .size:           80
        .value_kind:     by_value
    .group_segment_fixed_size: 0
    .kernarg_segment_align: 8
    .kernarg_segment_size: 80
    .language:       OpenCL C
    .language_version:
      - 2
      - 0
    .max_flat_workgroup_size: 256
    .name:           _ZN7rocprim17ROCPRIM_400000_NS6detail17trampoline_kernelINS0_14default_configENS1_36segmented_radix_sort_config_selectorIflEEZNS1_25segmented_radix_sort_implIS3_Lb0EPKfPfPKlPlN2at6native12_GLOBAL__N_18offset_tEEE10hipError_tPvRmT1_PNSt15iterator_traitsISK_E10value_typeET2_T3_PNSL_ISQ_E10value_typeET4_jRbjT5_SW_jjP12ihipStream_tbEUlT_E2_NS1_11comp_targetILNS1_3genE8ELNS1_11target_archE1030ELNS1_3gpuE2ELNS1_3repE0EEENS1_30default_config_static_selectorELNS0_4arch9wavefront6targetE0EEEvSK_
    .private_segment_fixed_size: 0
    .sgpr_count:     0
    .sgpr_spill_count: 0
    .symbol:         _ZN7rocprim17ROCPRIM_400000_NS6detail17trampoline_kernelINS0_14default_configENS1_36segmented_radix_sort_config_selectorIflEEZNS1_25segmented_radix_sort_implIS3_Lb0EPKfPfPKlPlN2at6native12_GLOBAL__N_18offset_tEEE10hipError_tPvRmT1_PNSt15iterator_traitsISK_E10value_typeET2_T3_PNSL_ISQ_E10value_typeET4_jRbjT5_SW_jjP12ihipStream_tbEUlT_E2_NS1_11comp_targetILNS1_3genE8ELNS1_11target_archE1030ELNS1_3gpuE2ELNS1_3repE0EEENS1_30default_config_static_selectorELNS0_4arch9wavefront6targetE0EEEvSK_.kd
    .uniform_work_group_size: 1
    .uses_dynamic_stack: false
    .vgpr_count:     0
    .vgpr_spill_count: 0
    .wavefront_size: 32
  - .args:
      - .address_space:  global
        .offset:         0
        .size:           8
        .value_kind:     global_buffer
      - .address_space:  global
        .offset:         8
        .size:           8
        .value_kind:     global_buffer
      - .address_space:  global
        .offset:         16
        .size:           8
        .value_kind:     global_buffer
      - .address_space:  global
        .offset:         24
        .size:           8
        .value_kind:     global_buffer
      - .offset:         32
        .size:           4
        .value_kind:     by_value
      - .offset:         36
        .size:           4
        .value_kind:     by_value
      - .offset:         40
        .size:           4
        .value_kind:     hidden_block_count_x
      - .offset:         44
        .size:           4
        .value_kind:     hidden_block_count_y
      - .offset:         48
        .size:           4
        .value_kind:     hidden_block_count_z
      - .offset:         52
        .size:           2
        .value_kind:     hidden_group_size_x
      - .offset:         54
        .size:           2
        .value_kind:     hidden_group_size_y
      - .offset:         56
        .size:           2
        .value_kind:     hidden_group_size_z
      - .offset:         58
        .size:           2
        .value_kind:     hidden_remainder_x
      - .offset:         60
        .size:           2
        .value_kind:     hidden_remainder_y
      - .offset:         62
        .size:           2
        .value_kind:     hidden_remainder_z
      - .offset:         80
        .size:           8
        .value_kind:     hidden_global_offset_x
      - .offset:         88
        .size:           8
        .value_kind:     hidden_global_offset_y
      - .offset:         96
        .size:           8
        .value_kind:     hidden_global_offset_z
      - .offset:         104
        .size:           2
        .value_kind:     hidden_grid_dims
    .group_segment_fixed_size: 0
    .kernarg_segment_align: 8
    .kernarg_segment_size: 296
    .language:       OpenCL C
    .language_version:
      - 2
      - 0
    .max_flat_workgroup_size: 1024
    .name:           _ZN2at6native12_GLOBAL__N_123sort_postprocess_kernelIbEEvPKT_PS3_PlPK15HIP_vector_typeIiLj2EEii
    .private_segment_fixed_size: 0
    .sgpr_count:     24
    .sgpr_spill_count: 0
    .symbol:         _ZN2at6native12_GLOBAL__N_123sort_postprocess_kernelIbEEvPKT_PS3_PlPK15HIP_vector_typeIiLj2EEii.kd
    .uniform_work_group_size: 1
    .uses_dynamic_stack: false
    .vgpr_count:     16
    .vgpr_spill_count: 0
    .wavefront_size: 32
  - .args:
      - .offset:         0
        .size:           176
        .value_kind:     by_value
    .group_segment_fixed_size: 13328
    .kernarg_segment_align: 8
    .kernarg_segment_size: 176
    .language:       OpenCL C
    .language_version:
      - 2
      - 0
    .max_flat_workgroup_size: 256
    .name:           _ZN7rocprim17ROCPRIM_400000_NS6detail17trampoline_kernelINS0_13select_configILj256ELj13ELNS0_17block_load_methodE3ELS4_3ELS4_3ELNS0_20block_scan_algorithmE0ELj4294967295EEENS1_25partition_config_selectorILNS1_17partition_subalgoE4EjNS0_10empty_typeEbEEZZNS1_14partition_implILS8_4ELb0ES6_15HIP_vector_typeIjLj2EENS0_17counting_iteratorIjlEEPS9_SG_NS0_5tupleIJPjSI_NS0_16reverse_iteratorISI_EEEEENSH_IJSG_SG_SG_EEES9_SI_JZNS1_25segmented_radix_sort_implINS0_14default_configELb1EPKbPbPKlPlN2at6native12_GLOBAL__N_18offset_tEEE10hipError_tPvRmT1_PNSt15iterator_traitsIS12_E10value_typeET2_T3_PNS13_IS18_E10value_typeET4_jRbjT5_S1E_jjP12ihipStream_tbEUljE_ZNSN_ISO_Lb1ESQ_SR_ST_SU_SY_EESZ_S10_S11_S12_S16_S17_S18_S1B_S1C_jS1D_jS1E_S1E_jjS1G_bEUljE0_EEESZ_S10_S11_S18_S1C_S1E_T6_T7_T9_mT8_S1G_bDpT10_ENKUlT_T0_E_clISt17integral_constantIbLb0EES1U_EEDaS1P_S1Q_EUlS1P_E_NS1_11comp_targetILNS1_3genE0ELNS1_11target_archE4294967295ELNS1_3gpuE0ELNS1_3repE0EEENS1_30default_config_static_selectorELNS0_4arch9wavefront6targetE0EEEvS12_
    .private_segment_fixed_size: 0
    .sgpr_count:     61
    .sgpr_spill_count: 0
    .symbol:         _ZN7rocprim17ROCPRIM_400000_NS6detail17trampoline_kernelINS0_13select_configILj256ELj13ELNS0_17block_load_methodE3ELS4_3ELS4_3ELNS0_20block_scan_algorithmE0ELj4294967295EEENS1_25partition_config_selectorILNS1_17partition_subalgoE4EjNS0_10empty_typeEbEEZZNS1_14partition_implILS8_4ELb0ES6_15HIP_vector_typeIjLj2EENS0_17counting_iteratorIjlEEPS9_SG_NS0_5tupleIJPjSI_NS0_16reverse_iteratorISI_EEEEENSH_IJSG_SG_SG_EEES9_SI_JZNS1_25segmented_radix_sort_implINS0_14default_configELb1EPKbPbPKlPlN2at6native12_GLOBAL__N_18offset_tEEE10hipError_tPvRmT1_PNSt15iterator_traitsIS12_E10value_typeET2_T3_PNS13_IS18_E10value_typeET4_jRbjT5_S1E_jjP12ihipStream_tbEUljE_ZNSN_ISO_Lb1ESQ_SR_ST_SU_SY_EESZ_S10_S11_S12_S16_S17_S18_S1B_S1C_jS1D_jS1E_S1E_jjS1G_bEUljE0_EEESZ_S10_S11_S18_S1C_S1E_T6_T7_T9_mT8_S1G_bDpT10_ENKUlT_T0_E_clISt17integral_constantIbLb0EES1U_EEDaS1P_S1Q_EUlS1P_E_NS1_11comp_targetILNS1_3genE0ELNS1_11target_archE4294967295ELNS1_3gpuE0ELNS1_3repE0EEENS1_30default_config_static_selectorELNS0_4arch9wavefront6targetE0EEEvS12_.kd
    .uniform_work_group_size: 1
    .uses_dynamic_stack: false
    .vgpr_count:     81
    .vgpr_spill_count: 0
    .wavefront_size: 32
  - .args:
      - .offset:         0
        .size:           176
        .value_kind:     by_value
    .group_segment_fixed_size: 0
    .kernarg_segment_align: 8
    .kernarg_segment_size: 176
    .language:       OpenCL C
    .language_version:
      - 2
      - 0
    .max_flat_workgroup_size: 256
    .name:           _ZN7rocprim17ROCPRIM_400000_NS6detail17trampoline_kernelINS0_13select_configILj256ELj13ELNS0_17block_load_methodE3ELS4_3ELS4_3ELNS0_20block_scan_algorithmE0ELj4294967295EEENS1_25partition_config_selectorILNS1_17partition_subalgoE4EjNS0_10empty_typeEbEEZZNS1_14partition_implILS8_4ELb0ES6_15HIP_vector_typeIjLj2EENS0_17counting_iteratorIjlEEPS9_SG_NS0_5tupleIJPjSI_NS0_16reverse_iteratorISI_EEEEENSH_IJSG_SG_SG_EEES9_SI_JZNS1_25segmented_radix_sort_implINS0_14default_configELb1EPKbPbPKlPlN2at6native12_GLOBAL__N_18offset_tEEE10hipError_tPvRmT1_PNSt15iterator_traitsIS12_E10value_typeET2_T3_PNS13_IS18_E10value_typeET4_jRbjT5_S1E_jjP12ihipStream_tbEUljE_ZNSN_ISO_Lb1ESQ_SR_ST_SU_SY_EESZ_S10_S11_S12_S16_S17_S18_S1B_S1C_jS1D_jS1E_S1E_jjS1G_bEUljE0_EEESZ_S10_S11_S18_S1C_S1E_T6_T7_T9_mT8_S1G_bDpT10_ENKUlT_T0_E_clISt17integral_constantIbLb0EES1U_EEDaS1P_S1Q_EUlS1P_E_NS1_11comp_targetILNS1_3genE5ELNS1_11target_archE942ELNS1_3gpuE9ELNS1_3repE0EEENS1_30default_config_static_selectorELNS0_4arch9wavefront6targetE0EEEvS12_
    .private_segment_fixed_size: 0
    .sgpr_count:     0
    .sgpr_spill_count: 0
    .symbol:         _ZN7rocprim17ROCPRIM_400000_NS6detail17trampoline_kernelINS0_13select_configILj256ELj13ELNS0_17block_load_methodE3ELS4_3ELS4_3ELNS0_20block_scan_algorithmE0ELj4294967295EEENS1_25partition_config_selectorILNS1_17partition_subalgoE4EjNS0_10empty_typeEbEEZZNS1_14partition_implILS8_4ELb0ES6_15HIP_vector_typeIjLj2EENS0_17counting_iteratorIjlEEPS9_SG_NS0_5tupleIJPjSI_NS0_16reverse_iteratorISI_EEEEENSH_IJSG_SG_SG_EEES9_SI_JZNS1_25segmented_radix_sort_implINS0_14default_configELb1EPKbPbPKlPlN2at6native12_GLOBAL__N_18offset_tEEE10hipError_tPvRmT1_PNSt15iterator_traitsIS12_E10value_typeET2_T3_PNS13_IS18_E10value_typeET4_jRbjT5_S1E_jjP12ihipStream_tbEUljE_ZNSN_ISO_Lb1ESQ_SR_ST_SU_SY_EESZ_S10_S11_S12_S16_S17_S18_S1B_S1C_jS1D_jS1E_S1E_jjS1G_bEUljE0_EEESZ_S10_S11_S18_S1C_S1E_T6_T7_T9_mT8_S1G_bDpT10_ENKUlT_T0_E_clISt17integral_constantIbLb0EES1U_EEDaS1P_S1Q_EUlS1P_E_NS1_11comp_targetILNS1_3genE5ELNS1_11target_archE942ELNS1_3gpuE9ELNS1_3repE0EEENS1_30default_config_static_selectorELNS0_4arch9wavefront6targetE0EEEvS12_.kd
    .uniform_work_group_size: 1
    .uses_dynamic_stack: false
    .vgpr_count:     0
    .vgpr_spill_count: 0
    .wavefront_size: 32
  - .args:
      - .offset:         0
        .size:           176
        .value_kind:     by_value
    .group_segment_fixed_size: 0
    .kernarg_segment_align: 8
    .kernarg_segment_size: 176
    .language:       OpenCL C
    .language_version:
      - 2
      - 0
    .max_flat_workgroup_size: 256
    .name:           _ZN7rocprim17ROCPRIM_400000_NS6detail17trampoline_kernelINS0_13select_configILj256ELj13ELNS0_17block_load_methodE3ELS4_3ELS4_3ELNS0_20block_scan_algorithmE0ELj4294967295EEENS1_25partition_config_selectorILNS1_17partition_subalgoE4EjNS0_10empty_typeEbEEZZNS1_14partition_implILS8_4ELb0ES6_15HIP_vector_typeIjLj2EENS0_17counting_iteratorIjlEEPS9_SG_NS0_5tupleIJPjSI_NS0_16reverse_iteratorISI_EEEEENSH_IJSG_SG_SG_EEES9_SI_JZNS1_25segmented_radix_sort_implINS0_14default_configELb1EPKbPbPKlPlN2at6native12_GLOBAL__N_18offset_tEEE10hipError_tPvRmT1_PNSt15iterator_traitsIS12_E10value_typeET2_T3_PNS13_IS18_E10value_typeET4_jRbjT5_S1E_jjP12ihipStream_tbEUljE_ZNSN_ISO_Lb1ESQ_SR_ST_SU_SY_EESZ_S10_S11_S12_S16_S17_S18_S1B_S1C_jS1D_jS1E_S1E_jjS1G_bEUljE0_EEESZ_S10_S11_S18_S1C_S1E_T6_T7_T9_mT8_S1G_bDpT10_ENKUlT_T0_E_clISt17integral_constantIbLb0EES1U_EEDaS1P_S1Q_EUlS1P_E_NS1_11comp_targetILNS1_3genE4ELNS1_11target_archE910ELNS1_3gpuE8ELNS1_3repE0EEENS1_30default_config_static_selectorELNS0_4arch9wavefront6targetE0EEEvS12_
    .private_segment_fixed_size: 0
    .sgpr_count:     0
    .sgpr_spill_count: 0
    .symbol:         _ZN7rocprim17ROCPRIM_400000_NS6detail17trampoline_kernelINS0_13select_configILj256ELj13ELNS0_17block_load_methodE3ELS4_3ELS4_3ELNS0_20block_scan_algorithmE0ELj4294967295EEENS1_25partition_config_selectorILNS1_17partition_subalgoE4EjNS0_10empty_typeEbEEZZNS1_14partition_implILS8_4ELb0ES6_15HIP_vector_typeIjLj2EENS0_17counting_iteratorIjlEEPS9_SG_NS0_5tupleIJPjSI_NS0_16reverse_iteratorISI_EEEEENSH_IJSG_SG_SG_EEES9_SI_JZNS1_25segmented_radix_sort_implINS0_14default_configELb1EPKbPbPKlPlN2at6native12_GLOBAL__N_18offset_tEEE10hipError_tPvRmT1_PNSt15iterator_traitsIS12_E10value_typeET2_T3_PNS13_IS18_E10value_typeET4_jRbjT5_S1E_jjP12ihipStream_tbEUljE_ZNSN_ISO_Lb1ESQ_SR_ST_SU_SY_EESZ_S10_S11_S12_S16_S17_S18_S1B_S1C_jS1D_jS1E_S1E_jjS1G_bEUljE0_EEESZ_S10_S11_S18_S1C_S1E_T6_T7_T9_mT8_S1G_bDpT10_ENKUlT_T0_E_clISt17integral_constantIbLb0EES1U_EEDaS1P_S1Q_EUlS1P_E_NS1_11comp_targetILNS1_3genE4ELNS1_11target_archE910ELNS1_3gpuE8ELNS1_3repE0EEENS1_30default_config_static_selectorELNS0_4arch9wavefront6targetE0EEEvS12_.kd
    .uniform_work_group_size: 1
    .uses_dynamic_stack: false
    .vgpr_count:     0
    .vgpr_spill_count: 0
    .wavefront_size: 32
  - .args:
      - .offset:         0
        .size:           176
        .value_kind:     by_value
    .group_segment_fixed_size: 0
    .kernarg_segment_align: 8
    .kernarg_segment_size: 176
    .language:       OpenCL C
    .language_version:
      - 2
      - 0
    .max_flat_workgroup_size: 256
    .name:           _ZN7rocprim17ROCPRIM_400000_NS6detail17trampoline_kernelINS0_13select_configILj256ELj13ELNS0_17block_load_methodE3ELS4_3ELS4_3ELNS0_20block_scan_algorithmE0ELj4294967295EEENS1_25partition_config_selectorILNS1_17partition_subalgoE4EjNS0_10empty_typeEbEEZZNS1_14partition_implILS8_4ELb0ES6_15HIP_vector_typeIjLj2EENS0_17counting_iteratorIjlEEPS9_SG_NS0_5tupleIJPjSI_NS0_16reverse_iteratorISI_EEEEENSH_IJSG_SG_SG_EEES9_SI_JZNS1_25segmented_radix_sort_implINS0_14default_configELb1EPKbPbPKlPlN2at6native12_GLOBAL__N_18offset_tEEE10hipError_tPvRmT1_PNSt15iterator_traitsIS12_E10value_typeET2_T3_PNS13_IS18_E10value_typeET4_jRbjT5_S1E_jjP12ihipStream_tbEUljE_ZNSN_ISO_Lb1ESQ_SR_ST_SU_SY_EESZ_S10_S11_S12_S16_S17_S18_S1B_S1C_jS1D_jS1E_S1E_jjS1G_bEUljE0_EEESZ_S10_S11_S18_S1C_S1E_T6_T7_T9_mT8_S1G_bDpT10_ENKUlT_T0_E_clISt17integral_constantIbLb0EES1U_EEDaS1P_S1Q_EUlS1P_E_NS1_11comp_targetILNS1_3genE3ELNS1_11target_archE908ELNS1_3gpuE7ELNS1_3repE0EEENS1_30default_config_static_selectorELNS0_4arch9wavefront6targetE0EEEvS12_
    .private_segment_fixed_size: 0
    .sgpr_count:     0
    .sgpr_spill_count: 0
    .symbol:         _ZN7rocprim17ROCPRIM_400000_NS6detail17trampoline_kernelINS0_13select_configILj256ELj13ELNS0_17block_load_methodE3ELS4_3ELS4_3ELNS0_20block_scan_algorithmE0ELj4294967295EEENS1_25partition_config_selectorILNS1_17partition_subalgoE4EjNS0_10empty_typeEbEEZZNS1_14partition_implILS8_4ELb0ES6_15HIP_vector_typeIjLj2EENS0_17counting_iteratorIjlEEPS9_SG_NS0_5tupleIJPjSI_NS0_16reverse_iteratorISI_EEEEENSH_IJSG_SG_SG_EEES9_SI_JZNS1_25segmented_radix_sort_implINS0_14default_configELb1EPKbPbPKlPlN2at6native12_GLOBAL__N_18offset_tEEE10hipError_tPvRmT1_PNSt15iterator_traitsIS12_E10value_typeET2_T3_PNS13_IS18_E10value_typeET4_jRbjT5_S1E_jjP12ihipStream_tbEUljE_ZNSN_ISO_Lb1ESQ_SR_ST_SU_SY_EESZ_S10_S11_S12_S16_S17_S18_S1B_S1C_jS1D_jS1E_S1E_jjS1G_bEUljE0_EEESZ_S10_S11_S18_S1C_S1E_T6_T7_T9_mT8_S1G_bDpT10_ENKUlT_T0_E_clISt17integral_constantIbLb0EES1U_EEDaS1P_S1Q_EUlS1P_E_NS1_11comp_targetILNS1_3genE3ELNS1_11target_archE908ELNS1_3gpuE7ELNS1_3repE0EEENS1_30default_config_static_selectorELNS0_4arch9wavefront6targetE0EEEvS12_.kd
    .uniform_work_group_size: 1
    .uses_dynamic_stack: false
    .vgpr_count:     0
    .vgpr_spill_count: 0
    .wavefront_size: 32
  - .args:
      - .offset:         0
        .size:           176
        .value_kind:     by_value
    .group_segment_fixed_size: 0
    .kernarg_segment_align: 8
    .kernarg_segment_size: 176
    .language:       OpenCL C
    .language_version:
      - 2
      - 0
    .max_flat_workgroup_size: 256
    .name:           _ZN7rocprim17ROCPRIM_400000_NS6detail17trampoline_kernelINS0_13select_configILj256ELj13ELNS0_17block_load_methodE3ELS4_3ELS4_3ELNS0_20block_scan_algorithmE0ELj4294967295EEENS1_25partition_config_selectorILNS1_17partition_subalgoE4EjNS0_10empty_typeEbEEZZNS1_14partition_implILS8_4ELb0ES6_15HIP_vector_typeIjLj2EENS0_17counting_iteratorIjlEEPS9_SG_NS0_5tupleIJPjSI_NS0_16reverse_iteratorISI_EEEEENSH_IJSG_SG_SG_EEES9_SI_JZNS1_25segmented_radix_sort_implINS0_14default_configELb1EPKbPbPKlPlN2at6native12_GLOBAL__N_18offset_tEEE10hipError_tPvRmT1_PNSt15iterator_traitsIS12_E10value_typeET2_T3_PNS13_IS18_E10value_typeET4_jRbjT5_S1E_jjP12ihipStream_tbEUljE_ZNSN_ISO_Lb1ESQ_SR_ST_SU_SY_EESZ_S10_S11_S12_S16_S17_S18_S1B_S1C_jS1D_jS1E_S1E_jjS1G_bEUljE0_EEESZ_S10_S11_S18_S1C_S1E_T6_T7_T9_mT8_S1G_bDpT10_ENKUlT_T0_E_clISt17integral_constantIbLb0EES1U_EEDaS1P_S1Q_EUlS1P_E_NS1_11comp_targetILNS1_3genE2ELNS1_11target_archE906ELNS1_3gpuE6ELNS1_3repE0EEENS1_30default_config_static_selectorELNS0_4arch9wavefront6targetE0EEEvS12_
    .private_segment_fixed_size: 0
    .sgpr_count:     0
    .sgpr_spill_count: 0
    .symbol:         _ZN7rocprim17ROCPRIM_400000_NS6detail17trampoline_kernelINS0_13select_configILj256ELj13ELNS0_17block_load_methodE3ELS4_3ELS4_3ELNS0_20block_scan_algorithmE0ELj4294967295EEENS1_25partition_config_selectorILNS1_17partition_subalgoE4EjNS0_10empty_typeEbEEZZNS1_14partition_implILS8_4ELb0ES6_15HIP_vector_typeIjLj2EENS0_17counting_iteratorIjlEEPS9_SG_NS0_5tupleIJPjSI_NS0_16reverse_iteratorISI_EEEEENSH_IJSG_SG_SG_EEES9_SI_JZNS1_25segmented_radix_sort_implINS0_14default_configELb1EPKbPbPKlPlN2at6native12_GLOBAL__N_18offset_tEEE10hipError_tPvRmT1_PNSt15iterator_traitsIS12_E10value_typeET2_T3_PNS13_IS18_E10value_typeET4_jRbjT5_S1E_jjP12ihipStream_tbEUljE_ZNSN_ISO_Lb1ESQ_SR_ST_SU_SY_EESZ_S10_S11_S12_S16_S17_S18_S1B_S1C_jS1D_jS1E_S1E_jjS1G_bEUljE0_EEESZ_S10_S11_S18_S1C_S1E_T6_T7_T9_mT8_S1G_bDpT10_ENKUlT_T0_E_clISt17integral_constantIbLb0EES1U_EEDaS1P_S1Q_EUlS1P_E_NS1_11comp_targetILNS1_3genE2ELNS1_11target_archE906ELNS1_3gpuE6ELNS1_3repE0EEENS1_30default_config_static_selectorELNS0_4arch9wavefront6targetE0EEEvS12_.kd
    .uniform_work_group_size: 1
    .uses_dynamic_stack: false
    .vgpr_count:     0
    .vgpr_spill_count: 0
    .wavefront_size: 32
  - .args:
      - .offset:         0
        .size:           176
        .value_kind:     by_value
    .group_segment_fixed_size: 0
    .kernarg_segment_align: 8
    .kernarg_segment_size: 176
    .language:       OpenCL C
    .language_version:
      - 2
      - 0
    .max_flat_workgroup_size: 256
    .name:           _ZN7rocprim17ROCPRIM_400000_NS6detail17trampoline_kernelINS0_13select_configILj256ELj13ELNS0_17block_load_methodE3ELS4_3ELS4_3ELNS0_20block_scan_algorithmE0ELj4294967295EEENS1_25partition_config_selectorILNS1_17partition_subalgoE4EjNS0_10empty_typeEbEEZZNS1_14partition_implILS8_4ELb0ES6_15HIP_vector_typeIjLj2EENS0_17counting_iteratorIjlEEPS9_SG_NS0_5tupleIJPjSI_NS0_16reverse_iteratorISI_EEEEENSH_IJSG_SG_SG_EEES9_SI_JZNS1_25segmented_radix_sort_implINS0_14default_configELb1EPKbPbPKlPlN2at6native12_GLOBAL__N_18offset_tEEE10hipError_tPvRmT1_PNSt15iterator_traitsIS12_E10value_typeET2_T3_PNS13_IS18_E10value_typeET4_jRbjT5_S1E_jjP12ihipStream_tbEUljE_ZNSN_ISO_Lb1ESQ_SR_ST_SU_SY_EESZ_S10_S11_S12_S16_S17_S18_S1B_S1C_jS1D_jS1E_S1E_jjS1G_bEUljE0_EEESZ_S10_S11_S18_S1C_S1E_T6_T7_T9_mT8_S1G_bDpT10_ENKUlT_T0_E_clISt17integral_constantIbLb0EES1U_EEDaS1P_S1Q_EUlS1P_E_NS1_11comp_targetILNS1_3genE10ELNS1_11target_archE1200ELNS1_3gpuE4ELNS1_3repE0EEENS1_30default_config_static_selectorELNS0_4arch9wavefront6targetE0EEEvS12_
    .private_segment_fixed_size: 0
    .sgpr_count:     0
    .sgpr_spill_count: 0
    .symbol:         _ZN7rocprim17ROCPRIM_400000_NS6detail17trampoline_kernelINS0_13select_configILj256ELj13ELNS0_17block_load_methodE3ELS4_3ELS4_3ELNS0_20block_scan_algorithmE0ELj4294967295EEENS1_25partition_config_selectorILNS1_17partition_subalgoE4EjNS0_10empty_typeEbEEZZNS1_14partition_implILS8_4ELb0ES6_15HIP_vector_typeIjLj2EENS0_17counting_iteratorIjlEEPS9_SG_NS0_5tupleIJPjSI_NS0_16reverse_iteratorISI_EEEEENSH_IJSG_SG_SG_EEES9_SI_JZNS1_25segmented_radix_sort_implINS0_14default_configELb1EPKbPbPKlPlN2at6native12_GLOBAL__N_18offset_tEEE10hipError_tPvRmT1_PNSt15iterator_traitsIS12_E10value_typeET2_T3_PNS13_IS18_E10value_typeET4_jRbjT5_S1E_jjP12ihipStream_tbEUljE_ZNSN_ISO_Lb1ESQ_SR_ST_SU_SY_EESZ_S10_S11_S12_S16_S17_S18_S1B_S1C_jS1D_jS1E_S1E_jjS1G_bEUljE0_EEESZ_S10_S11_S18_S1C_S1E_T6_T7_T9_mT8_S1G_bDpT10_ENKUlT_T0_E_clISt17integral_constantIbLb0EES1U_EEDaS1P_S1Q_EUlS1P_E_NS1_11comp_targetILNS1_3genE10ELNS1_11target_archE1200ELNS1_3gpuE4ELNS1_3repE0EEENS1_30default_config_static_selectorELNS0_4arch9wavefront6targetE0EEEvS12_.kd
    .uniform_work_group_size: 1
    .uses_dynamic_stack: false
    .vgpr_count:     0
    .vgpr_spill_count: 0
    .wavefront_size: 32
  - .args:
      - .offset:         0
        .size:           176
        .value_kind:     by_value
    .group_segment_fixed_size: 0
    .kernarg_segment_align: 8
    .kernarg_segment_size: 176
    .language:       OpenCL C
    .language_version:
      - 2
      - 0
    .max_flat_workgroup_size: 256
    .name:           _ZN7rocprim17ROCPRIM_400000_NS6detail17trampoline_kernelINS0_13select_configILj256ELj13ELNS0_17block_load_methodE3ELS4_3ELS4_3ELNS0_20block_scan_algorithmE0ELj4294967295EEENS1_25partition_config_selectorILNS1_17partition_subalgoE4EjNS0_10empty_typeEbEEZZNS1_14partition_implILS8_4ELb0ES6_15HIP_vector_typeIjLj2EENS0_17counting_iteratorIjlEEPS9_SG_NS0_5tupleIJPjSI_NS0_16reverse_iteratorISI_EEEEENSH_IJSG_SG_SG_EEES9_SI_JZNS1_25segmented_radix_sort_implINS0_14default_configELb1EPKbPbPKlPlN2at6native12_GLOBAL__N_18offset_tEEE10hipError_tPvRmT1_PNSt15iterator_traitsIS12_E10value_typeET2_T3_PNS13_IS18_E10value_typeET4_jRbjT5_S1E_jjP12ihipStream_tbEUljE_ZNSN_ISO_Lb1ESQ_SR_ST_SU_SY_EESZ_S10_S11_S12_S16_S17_S18_S1B_S1C_jS1D_jS1E_S1E_jjS1G_bEUljE0_EEESZ_S10_S11_S18_S1C_S1E_T6_T7_T9_mT8_S1G_bDpT10_ENKUlT_T0_E_clISt17integral_constantIbLb0EES1U_EEDaS1P_S1Q_EUlS1P_E_NS1_11comp_targetILNS1_3genE9ELNS1_11target_archE1100ELNS1_3gpuE3ELNS1_3repE0EEENS1_30default_config_static_selectorELNS0_4arch9wavefront6targetE0EEEvS12_
    .private_segment_fixed_size: 0
    .sgpr_count:     0
    .sgpr_spill_count: 0
    .symbol:         _ZN7rocprim17ROCPRIM_400000_NS6detail17trampoline_kernelINS0_13select_configILj256ELj13ELNS0_17block_load_methodE3ELS4_3ELS4_3ELNS0_20block_scan_algorithmE0ELj4294967295EEENS1_25partition_config_selectorILNS1_17partition_subalgoE4EjNS0_10empty_typeEbEEZZNS1_14partition_implILS8_4ELb0ES6_15HIP_vector_typeIjLj2EENS0_17counting_iteratorIjlEEPS9_SG_NS0_5tupleIJPjSI_NS0_16reverse_iteratorISI_EEEEENSH_IJSG_SG_SG_EEES9_SI_JZNS1_25segmented_radix_sort_implINS0_14default_configELb1EPKbPbPKlPlN2at6native12_GLOBAL__N_18offset_tEEE10hipError_tPvRmT1_PNSt15iterator_traitsIS12_E10value_typeET2_T3_PNS13_IS18_E10value_typeET4_jRbjT5_S1E_jjP12ihipStream_tbEUljE_ZNSN_ISO_Lb1ESQ_SR_ST_SU_SY_EESZ_S10_S11_S12_S16_S17_S18_S1B_S1C_jS1D_jS1E_S1E_jjS1G_bEUljE0_EEESZ_S10_S11_S18_S1C_S1E_T6_T7_T9_mT8_S1G_bDpT10_ENKUlT_T0_E_clISt17integral_constantIbLb0EES1U_EEDaS1P_S1Q_EUlS1P_E_NS1_11comp_targetILNS1_3genE9ELNS1_11target_archE1100ELNS1_3gpuE3ELNS1_3repE0EEENS1_30default_config_static_selectorELNS0_4arch9wavefront6targetE0EEEvS12_.kd
    .uniform_work_group_size: 1
    .uses_dynamic_stack: false
    .vgpr_count:     0
    .vgpr_spill_count: 0
    .wavefront_size: 32
  - .args:
      - .offset:         0
        .size:           176
        .value_kind:     by_value
    .group_segment_fixed_size: 0
    .kernarg_segment_align: 8
    .kernarg_segment_size: 176
    .language:       OpenCL C
    .language_version:
      - 2
      - 0
    .max_flat_workgroup_size: 256
    .name:           _ZN7rocprim17ROCPRIM_400000_NS6detail17trampoline_kernelINS0_13select_configILj256ELj13ELNS0_17block_load_methodE3ELS4_3ELS4_3ELNS0_20block_scan_algorithmE0ELj4294967295EEENS1_25partition_config_selectorILNS1_17partition_subalgoE4EjNS0_10empty_typeEbEEZZNS1_14partition_implILS8_4ELb0ES6_15HIP_vector_typeIjLj2EENS0_17counting_iteratorIjlEEPS9_SG_NS0_5tupleIJPjSI_NS0_16reverse_iteratorISI_EEEEENSH_IJSG_SG_SG_EEES9_SI_JZNS1_25segmented_radix_sort_implINS0_14default_configELb1EPKbPbPKlPlN2at6native12_GLOBAL__N_18offset_tEEE10hipError_tPvRmT1_PNSt15iterator_traitsIS12_E10value_typeET2_T3_PNS13_IS18_E10value_typeET4_jRbjT5_S1E_jjP12ihipStream_tbEUljE_ZNSN_ISO_Lb1ESQ_SR_ST_SU_SY_EESZ_S10_S11_S12_S16_S17_S18_S1B_S1C_jS1D_jS1E_S1E_jjS1G_bEUljE0_EEESZ_S10_S11_S18_S1C_S1E_T6_T7_T9_mT8_S1G_bDpT10_ENKUlT_T0_E_clISt17integral_constantIbLb0EES1U_EEDaS1P_S1Q_EUlS1P_E_NS1_11comp_targetILNS1_3genE8ELNS1_11target_archE1030ELNS1_3gpuE2ELNS1_3repE0EEENS1_30default_config_static_selectorELNS0_4arch9wavefront6targetE0EEEvS12_
    .private_segment_fixed_size: 0
    .sgpr_count:     0
    .sgpr_spill_count: 0
    .symbol:         _ZN7rocprim17ROCPRIM_400000_NS6detail17trampoline_kernelINS0_13select_configILj256ELj13ELNS0_17block_load_methodE3ELS4_3ELS4_3ELNS0_20block_scan_algorithmE0ELj4294967295EEENS1_25partition_config_selectorILNS1_17partition_subalgoE4EjNS0_10empty_typeEbEEZZNS1_14partition_implILS8_4ELb0ES6_15HIP_vector_typeIjLj2EENS0_17counting_iteratorIjlEEPS9_SG_NS0_5tupleIJPjSI_NS0_16reverse_iteratorISI_EEEEENSH_IJSG_SG_SG_EEES9_SI_JZNS1_25segmented_radix_sort_implINS0_14default_configELb1EPKbPbPKlPlN2at6native12_GLOBAL__N_18offset_tEEE10hipError_tPvRmT1_PNSt15iterator_traitsIS12_E10value_typeET2_T3_PNS13_IS18_E10value_typeET4_jRbjT5_S1E_jjP12ihipStream_tbEUljE_ZNSN_ISO_Lb1ESQ_SR_ST_SU_SY_EESZ_S10_S11_S12_S16_S17_S18_S1B_S1C_jS1D_jS1E_S1E_jjS1G_bEUljE0_EEESZ_S10_S11_S18_S1C_S1E_T6_T7_T9_mT8_S1G_bDpT10_ENKUlT_T0_E_clISt17integral_constantIbLb0EES1U_EEDaS1P_S1Q_EUlS1P_E_NS1_11comp_targetILNS1_3genE8ELNS1_11target_archE1030ELNS1_3gpuE2ELNS1_3repE0EEENS1_30default_config_static_selectorELNS0_4arch9wavefront6targetE0EEEvS12_.kd
    .uniform_work_group_size: 1
    .uses_dynamic_stack: false
    .vgpr_count:     0
    .vgpr_spill_count: 0
    .wavefront_size: 32
  - .args:
      - .offset:         0
        .size:           184
        .value_kind:     by_value
    .group_segment_fixed_size: 0
    .kernarg_segment_align: 8
    .kernarg_segment_size: 184
    .language:       OpenCL C
    .language_version:
      - 2
      - 0
    .max_flat_workgroup_size: 256
    .name:           _ZN7rocprim17ROCPRIM_400000_NS6detail17trampoline_kernelINS0_13select_configILj256ELj13ELNS0_17block_load_methodE3ELS4_3ELS4_3ELNS0_20block_scan_algorithmE0ELj4294967295EEENS1_25partition_config_selectorILNS1_17partition_subalgoE4EjNS0_10empty_typeEbEEZZNS1_14partition_implILS8_4ELb0ES6_15HIP_vector_typeIjLj2EENS0_17counting_iteratorIjlEEPS9_SG_NS0_5tupleIJPjSI_NS0_16reverse_iteratorISI_EEEEENSH_IJSG_SG_SG_EEES9_SI_JZNS1_25segmented_radix_sort_implINS0_14default_configELb1EPKbPbPKlPlN2at6native12_GLOBAL__N_18offset_tEEE10hipError_tPvRmT1_PNSt15iterator_traitsIS12_E10value_typeET2_T3_PNS13_IS18_E10value_typeET4_jRbjT5_S1E_jjP12ihipStream_tbEUljE_ZNSN_ISO_Lb1ESQ_SR_ST_SU_SY_EESZ_S10_S11_S12_S16_S17_S18_S1B_S1C_jS1D_jS1E_S1E_jjS1G_bEUljE0_EEESZ_S10_S11_S18_S1C_S1E_T6_T7_T9_mT8_S1G_bDpT10_ENKUlT_T0_E_clISt17integral_constantIbLb1EES1U_EEDaS1P_S1Q_EUlS1P_E_NS1_11comp_targetILNS1_3genE0ELNS1_11target_archE4294967295ELNS1_3gpuE0ELNS1_3repE0EEENS1_30default_config_static_selectorELNS0_4arch9wavefront6targetE0EEEvS12_
    .private_segment_fixed_size: 0
    .sgpr_count:     0
    .sgpr_spill_count: 0
    .symbol:         _ZN7rocprim17ROCPRIM_400000_NS6detail17trampoline_kernelINS0_13select_configILj256ELj13ELNS0_17block_load_methodE3ELS4_3ELS4_3ELNS0_20block_scan_algorithmE0ELj4294967295EEENS1_25partition_config_selectorILNS1_17partition_subalgoE4EjNS0_10empty_typeEbEEZZNS1_14partition_implILS8_4ELb0ES6_15HIP_vector_typeIjLj2EENS0_17counting_iteratorIjlEEPS9_SG_NS0_5tupleIJPjSI_NS0_16reverse_iteratorISI_EEEEENSH_IJSG_SG_SG_EEES9_SI_JZNS1_25segmented_radix_sort_implINS0_14default_configELb1EPKbPbPKlPlN2at6native12_GLOBAL__N_18offset_tEEE10hipError_tPvRmT1_PNSt15iterator_traitsIS12_E10value_typeET2_T3_PNS13_IS18_E10value_typeET4_jRbjT5_S1E_jjP12ihipStream_tbEUljE_ZNSN_ISO_Lb1ESQ_SR_ST_SU_SY_EESZ_S10_S11_S12_S16_S17_S18_S1B_S1C_jS1D_jS1E_S1E_jjS1G_bEUljE0_EEESZ_S10_S11_S18_S1C_S1E_T6_T7_T9_mT8_S1G_bDpT10_ENKUlT_T0_E_clISt17integral_constantIbLb1EES1U_EEDaS1P_S1Q_EUlS1P_E_NS1_11comp_targetILNS1_3genE0ELNS1_11target_archE4294967295ELNS1_3gpuE0ELNS1_3repE0EEENS1_30default_config_static_selectorELNS0_4arch9wavefront6targetE0EEEvS12_.kd
    .uniform_work_group_size: 1
    .uses_dynamic_stack: false
    .vgpr_count:     0
    .vgpr_spill_count: 0
    .wavefront_size: 32
  - .args:
      - .offset:         0
        .size:           184
        .value_kind:     by_value
    .group_segment_fixed_size: 0
    .kernarg_segment_align: 8
    .kernarg_segment_size: 184
    .language:       OpenCL C
    .language_version:
      - 2
      - 0
    .max_flat_workgroup_size: 256
    .name:           _ZN7rocprim17ROCPRIM_400000_NS6detail17trampoline_kernelINS0_13select_configILj256ELj13ELNS0_17block_load_methodE3ELS4_3ELS4_3ELNS0_20block_scan_algorithmE0ELj4294967295EEENS1_25partition_config_selectorILNS1_17partition_subalgoE4EjNS0_10empty_typeEbEEZZNS1_14partition_implILS8_4ELb0ES6_15HIP_vector_typeIjLj2EENS0_17counting_iteratorIjlEEPS9_SG_NS0_5tupleIJPjSI_NS0_16reverse_iteratorISI_EEEEENSH_IJSG_SG_SG_EEES9_SI_JZNS1_25segmented_radix_sort_implINS0_14default_configELb1EPKbPbPKlPlN2at6native12_GLOBAL__N_18offset_tEEE10hipError_tPvRmT1_PNSt15iterator_traitsIS12_E10value_typeET2_T3_PNS13_IS18_E10value_typeET4_jRbjT5_S1E_jjP12ihipStream_tbEUljE_ZNSN_ISO_Lb1ESQ_SR_ST_SU_SY_EESZ_S10_S11_S12_S16_S17_S18_S1B_S1C_jS1D_jS1E_S1E_jjS1G_bEUljE0_EEESZ_S10_S11_S18_S1C_S1E_T6_T7_T9_mT8_S1G_bDpT10_ENKUlT_T0_E_clISt17integral_constantIbLb1EES1U_EEDaS1P_S1Q_EUlS1P_E_NS1_11comp_targetILNS1_3genE5ELNS1_11target_archE942ELNS1_3gpuE9ELNS1_3repE0EEENS1_30default_config_static_selectorELNS0_4arch9wavefront6targetE0EEEvS12_
    .private_segment_fixed_size: 0
    .sgpr_count:     0
    .sgpr_spill_count: 0
    .symbol:         _ZN7rocprim17ROCPRIM_400000_NS6detail17trampoline_kernelINS0_13select_configILj256ELj13ELNS0_17block_load_methodE3ELS4_3ELS4_3ELNS0_20block_scan_algorithmE0ELj4294967295EEENS1_25partition_config_selectorILNS1_17partition_subalgoE4EjNS0_10empty_typeEbEEZZNS1_14partition_implILS8_4ELb0ES6_15HIP_vector_typeIjLj2EENS0_17counting_iteratorIjlEEPS9_SG_NS0_5tupleIJPjSI_NS0_16reverse_iteratorISI_EEEEENSH_IJSG_SG_SG_EEES9_SI_JZNS1_25segmented_radix_sort_implINS0_14default_configELb1EPKbPbPKlPlN2at6native12_GLOBAL__N_18offset_tEEE10hipError_tPvRmT1_PNSt15iterator_traitsIS12_E10value_typeET2_T3_PNS13_IS18_E10value_typeET4_jRbjT5_S1E_jjP12ihipStream_tbEUljE_ZNSN_ISO_Lb1ESQ_SR_ST_SU_SY_EESZ_S10_S11_S12_S16_S17_S18_S1B_S1C_jS1D_jS1E_S1E_jjS1G_bEUljE0_EEESZ_S10_S11_S18_S1C_S1E_T6_T7_T9_mT8_S1G_bDpT10_ENKUlT_T0_E_clISt17integral_constantIbLb1EES1U_EEDaS1P_S1Q_EUlS1P_E_NS1_11comp_targetILNS1_3genE5ELNS1_11target_archE942ELNS1_3gpuE9ELNS1_3repE0EEENS1_30default_config_static_selectorELNS0_4arch9wavefront6targetE0EEEvS12_.kd
    .uniform_work_group_size: 1
    .uses_dynamic_stack: false
    .vgpr_count:     0
    .vgpr_spill_count: 0
    .wavefront_size: 32
  - .args:
      - .offset:         0
        .size:           184
        .value_kind:     by_value
    .group_segment_fixed_size: 0
    .kernarg_segment_align: 8
    .kernarg_segment_size: 184
    .language:       OpenCL C
    .language_version:
      - 2
      - 0
    .max_flat_workgroup_size: 256
    .name:           _ZN7rocprim17ROCPRIM_400000_NS6detail17trampoline_kernelINS0_13select_configILj256ELj13ELNS0_17block_load_methodE3ELS4_3ELS4_3ELNS0_20block_scan_algorithmE0ELj4294967295EEENS1_25partition_config_selectorILNS1_17partition_subalgoE4EjNS0_10empty_typeEbEEZZNS1_14partition_implILS8_4ELb0ES6_15HIP_vector_typeIjLj2EENS0_17counting_iteratorIjlEEPS9_SG_NS0_5tupleIJPjSI_NS0_16reverse_iteratorISI_EEEEENSH_IJSG_SG_SG_EEES9_SI_JZNS1_25segmented_radix_sort_implINS0_14default_configELb1EPKbPbPKlPlN2at6native12_GLOBAL__N_18offset_tEEE10hipError_tPvRmT1_PNSt15iterator_traitsIS12_E10value_typeET2_T3_PNS13_IS18_E10value_typeET4_jRbjT5_S1E_jjP12ihipStream_tbEUljE_ZNSN_ISO_Lb1ESQ_SR_ST_SU_SY_EESZ_S10_S11_S12_S16_S17_S18_S1B_S1C_jS1D_jS1E_S1E_jjS1G_bEUljE0_EEESZ_S10_S11_S18_S1C_S1E_T6_T7_T9_mT8_S1G_bDpT10_ENKUlT_T0_E_clISt17integral_constantIbLb1EES1U_EEDaS1P_S1Q_EUlS1P_E_NS1_11comp_targetILNS1_3genE4ELNS1_11target_archE910ELNS1_3gpuE8ELNS1_3repE0EEENS1_30default_config_static_selectorELNS0_4arch9wavefront6targetE0EEEvS12_
    .private_segment_fixed_size: 0
    .sgpr_count:     0
    .sgpr_spill_count: 0
    .symbol:         _ZN7rocprim17ROCPRIM_400000_NS6detail17trampoline_kernelINS0_13select_configILj256ELj13ELNS0_17block_load_methodE3ELS4_3ELS4_3ELNS0_20block_scan_algorithmE0ELj4294967295EEENS1_25partition_config_selectorILNS1_17partition_subalgoE4EjNS0_10empty_typeEbEEZZNS1_14partition_implILS8_4ELb0ES6_15HIP_vector_typeIjLj2EENS0_17counting_iteratorIjlEEPS9_SG_NS0_5tupleIJPjSI_NS0_16reverse_iteratorISI_EEEEENSH_IJSG_SG_SG_EEES9_SI_JZNS1_25segmented_radix_sort_implINS0_14default_configELb1EPKbPbPKlPlN2at6native12_GLOBAL__N_18offset_tEEE10hipError_tPvRmT1_PNSt15iterator_traitsIS12_E10value_typeET2_T3_PNS13_IS18_E10value_typeET4_jRbjT5_S1E_jjP12ihipStream_tbEUljE_ZNSN_ISO_Lb1ESQ_SR_ST_SU_SY_EESZ_S10_S11_S12_S16_S17_S18_S1B_S1C_jS1D_jS1E_S1E_jjS1G_bEUljE0_EEESZ_S10_S11_S18_S1C_S1E_T6_T7_T9_mT8_S1G_bDpT10_ENKUlT_T0_E_clISt17integral_constantIbLb1EES1U_EEDaS1P_S1Q_EUlS1P_E_NS1_11comp_targetILNS1_3genE4ELNS1_11target_archE910ELNS1_3gpuE8ELNS1_3repE0EEENS1_30default_config_static_selectorELNS0_4arch9wavefront6targetE0EEEvS12_.kd
    .uniform_work_group_size: 1
    .uses_dynamic_stack: false
    .vgpr_count:     0
    .vgpr_spill_count: 0
    .wavefront_size: 32
  - .args:
      - .offset:         0
        .size:           184
        .value_kind:     by_value
    .group_segment_fixed_size: 0
    .kernarg_segment_align: 8
    .kernarg_segment_size: 184
    .language:       OpenCL C
    .language_version:
      - 2
      - 0
    .max_flat_workgroup_size: 256
    .name:           _ZN7rocprim17ROCPRIM_400000_NS6detail17trampoline_kernelINS0_13select_configILj256ELj13ELNS0_17block_load_methodE3ELS4_3ELS4_3ELNS0_20block_scan_algorithmE0ELj4294967295EEENS1_25partition_config_selectorILNS1_17partition_subalgoE4EjNS0_10empty_typeEbEEZZNS1_14partition_implILS8_4ELb0ES6_15HIP_vector_typeIjLj2EENS0_17counting_iteratorIjlEEPS9_SG_NS0_5tupleIJPjSI_NS0_16reverse_iteratorISI_EEEEENSH_IJSG_SG_SG_EEES9_SI_JZNS1_25segmented_radix_sort_implINS0_14default_configELb1EPKbPbPKlPlN2at6native12_GLOBAL__N_18offset_tEEE10hipError_tPvRmT1_PNSt15iterator_traitsIS12_E10value_typeET2_T3_PNS13_IS18_E10value_typeET4_jRbjT5_S1E_jjP12ihipStream_tbEUljE_ZNSN_ISO_Lb1ESQ_SR_ST_SU_SY_EESZ_S10_S11_S12_S16_S17_S18_S1B_S1C_jS1D_jS1E_S1E_jjS1G_bEUljE0_EEESZ_S10_S11_S18_S1C_S1E_T6_T7_T9_mT8_S1G_bDpT10_ENKUlT_T0_E_clISt17integral_constantIbLb1EES1U_EEDaS1P_S1Q_EUlS1P_E_NS1_11comp_targetILNS1_3genE3ELNS1_11target_archE908ELNS1_3gpuE7ELNS1_3repE0EEENS1_30default_config_static_selectorELNS0_4arch9wavefront6targetE0EEEvS12_
    .private_segment_fixed_size: 0
    .sgpr_count:     0
    .sgpr_spill_count: 0
    .symbol:         _ZN7rocprim17ROCPRIM_400000_NS6detail17trampoline_kernelINS0_13select_configILj256ELj13ELNS0_17block_load_methodE3ELS4_3ELS4_3ELNS0_20block_scan_algorithmE0ELj4294967295EEENS1_25partition_config_selectorILNS1_17partition_subalgoE4EjNS0_10empty_typeEbEEZZNS1_14partition_implILS8_4ELb0ES6_15HIP_vector_typeIjLj2EENS0_17counting_iteratorIjlEEPS9_SG_NS0_5tupleIJPjSI_NS0_16reverse_iteratorISI_EEEEENSH_IJSG_SG_SG_EEES9_SI_JZNS1_25segmented_radix_sort_implINS0_14default_configELb1EPKbPbPKlPlN2at6native12_GLOBAL__N_18offset_tEEE10hipError_tPvRmT1_PNSt15iterator_traitsIS12_E10value_typeET2_T3_PNS13_IS18_E10value_typeET4_jRbjT5_S1E_jjP12ihipStream_tbEUljE_ZNSN_ISO_Lb1ESQ_SR_ST_SU_SY_EESZ_S10_S11_S12_S16_S17_S18_S1B_S1C_jS1D_jS1E_S1E_jjS1G_bEUljE0_EEESZ_S10_S11_S18_S1C_S1E_T6_T7_T9_mT8_S1G_bDpT10_ENKUlT_T0_E_clISt17integral_constantIbLb1EES1U_EEDaS1P_S1Q_EUlS1P_E_NS1_11comp_targetILNS1_3genE3ELNS1_11target_archE908ELNS1_3gpuE7ELNS1_3repE0EEENS1_30default_config_static_selectorELNS0_4arch9wavefront6targetE0EEEvS12_.kd
    .uniform_work_group_size: 1
    .uses_dynamic_stack: false
    .vgpr_count:     0
    .vgpr_spill_count: 0
    .wavefront_size: 32
  - .args:
      - .offset:         0
        .size:           184
        .value_kind:     by_value
    .group_segment_fixed_size: 0
    .kernarg_segment_align: 8
    .kernarg_segment_size: 184
    .language:       OpenCL C
    .language_version:
      - 2
      - 0
    .max_flat_workgroup_size: 256
    .name:           _ZN7rocprim17ROCPRIM_400000_NS6detail17trampoline_kernelINS0_13select_configILj256ELj13ELNS0_17block_load_methodE3ELS4_3ELS4_3ELNS0_20block_scan_algorithmE0ELj4294967295EEENS1_25partition_config_selectorILNS1_17partition_subalgoE4EjNS0_10empty_typeEbEEZZNS1_14partition_implILS8_4ELb0ES6_15HIP_vector_typeIjLj2EENS0_17counting_iteratorIjlEEPS9_SG_NS0_5tupleIJPjSI_NS0_16reverse_iteratorISI_EEEEENSH_IJSG_SG_SG_EEES9_SI_JZNS1_25segmented_radix_sort_implINS0_14default_configELb1EPKbPbPKlPlN2at6native12_GLOBAL__N_18offset_tEEE10hipError_tPvRmT1_PNSt15iterator_traitsIS12_E10value_typeET2_T3_PNS13_IS18_E10value_typeET4_jRbjT5_S1E_jjP12ihipStream_tbEUljE_ZNSN_ISO_Lb1ESQ_SR_ST_SU_SY_EESZ_S10_S11_S12_S16_S17_S18_S1B_S1C_jS1D_jS1E_S1E_jjS1G_bEUljE0_EEESZ_S10_S11_S18_S1C_S1E_T6_T7_T9_mT8_S1G_bDpT10_ENKUlT_T0_E_clISt17integral_constantIbLb1EES1U_EEDaS1P_S1Q_EUlS1P_E_NS1_11comp_targetILNS1_3genE2ELNS1_11target_archE906ELNS1_3gpuE6ELNS1_3repE0EEENS1_30default_config_static_selectorELNS0_4arch9wavefront6targetE0EEEvS12_
    .private_segment_fixed_size: 0
    .sgpr_count:     0
    .sgpr_spill_count: 0
    .symbol:         _ZN7rocprim17ROCPRIM_400000_NS6detail17trampoline_kernelINS0_13select_configILj256ELj13ELNS0_17block_load_methodE3ELS4_3ELS4_3ELNS0_20block_scan_algorithmE0ELj4294967295EEENS1_25partition_config_selectorILNS1_17partition_subalgoE4EjNS0_10empty_typeEbEEZZNS1_14partition_implILS8_4ELb0ES6_15HIP_vector_typeIjLj2EENS0_17counting_iteratorIjlEEPS9_SG_NS0_5tupleIJPjSI_NS0_16reverse_iteratorISI_EEEEENSH_IJSG_SG_SG_EEES9_SI_JZNS1_25segmented_radix_sort_implINS0_14default_configELb1EPKbPbPKlPlN2at6native12_GLOBAL__N_18offset_tEEE10hipError_tPvRmT1_PNSt15iterator_traitsIS12_E10value_typeET2_T3_PNS13_IS18_E10value_typeET4_jRbjT5_S1E_jjP12ihipStream_tbEUljE_ZNSN_ISO_Lb1ESQ_SR_ST_SU_SY_EESZ_S10_S11_S12_S16_S17_S18_S1B_S1C_jS1D_jS1E_S1E_jjS1G_bEUljE0_EEESZ_S10_S11_S18_S1C_S1E_T6_T7_T9_mT8_S1G_bDpT10_ENKUlT_T0_E_clISt17integral_constantIbLb1EES1U_EEDaS1P_S1Q_EUlS1P_E_NS1_11comp_targetILNS1_3genE2ELNS1_11target_archE906ELNS1_3gpuE6ELNS1_3repE0EEENS1_30default_config_static_selectorELNS0_4arch9wavefront6targetE0EEEvS12_.kd
    .uniform_work_group_size: 1
    .uses_dynamic_stack: false
    .vgpr_count:     0
    .vgpr_spill_count: 0
    .wavefront_size: 32
  - .args:
      - .offset:         0
        .size:           184
        .value_kind:     by_value
    .group_segment_fixed_size: 0
    .kernarg_segment_align: 8
    .kernarg_segment_size: 184
    .language:       OpenCL C
    .language_version:
      - 2
      - 0
    .max_flat_workgroup_size: 256
    .name:           _ZN7rocprim17ROCPRIM_400000_NS6detail17trampoline_kernelINS0_13select_configILj256ELj13ELNS0_17block_load_methodE3ELS4_3ELS4_3ELNS0_20block_scan_algorithmE0ELj4294967295EEENS1_25partition_config_selectorILNS1_17partition_subalgoE4EjNS0_10empty_typeEbEEZZNS1_14partition_implILS8_4ELb0ES6_15HIP_vector_typeIjLj2EENS0_17counting_iteratorIjlEEPS9_SG_NS0_5tupleIJPjSI_NS0_16reverse_iteratorISI_EEEEENSH_IJSG_SG_SG_EEES9_SI_JZNS1_25segmented_radix_sort_implINS0_14default_configELb1EPKbPbPKlPlN2at6native12_GLOBAL__N_18offset_tEEE10hipError_tPvRmT1_PNSt15iterator_traitsIS12_E10value_typeET2_T3_PNS13_IS18_E10value_typeET4_jRbjT5_S1E_jjP12ihipStream_tbEUljE_ZNSN_ISO_Lb1ESQ_SR_ST_SU_SY_EESZ_S10_S11_S12_S16_S17_S18_S1B_S1C_jS1D_jS1E_S1E_jjS1G_bEUljE0_EEESZ_S10_S11_S18_S1C_S1E_T6_T7_T9_mT8_S1G_bDpT10_ENKUlT_T0_E_clISt17integral_constantIbLb1EES1U_EEDaS1P_S1Q_EUlS1P_E_NS1_11comp_targetILNS1_3genE10ELNS1_11target_archE1200ELNS1_3gpuE4ELNS1_3repE0EEENS1_30default_config_static_selectorELNS0_4arch9wavefront6targetE0EEEvS12_
    .private_segment_fixed_size: 0
    .sgpr_count:     0
    .sgpr_spill_count: 0
    .symbol:         _ZN7rocprim17ROCPRIM_400000_NS6detail17trampoline_kernelINS0_13select_configILj256ELj13ELNS0_17block_load_methodE3ELS4_3ELS4_3ELNS0_20block_scan_algorithmE0ELj4294967295EEENS1_25partition_config_selectorILNS1_17partition_subalgoE4EjNS0_10empty_typeEbEEZZNS1_14partition_implILS8_4ELb0ES6_15HIP_vector_typeIjLj2EENS0_17counting_iteratorIjlEEPS9_SG_NS0_5tupleIJPjSI_NS0_16reverse_iteratorISI_EEEEENSH_IJSG_SG_SG_EEES9_SI_JZNS1_25segmented_radix_sort_implINS0_14default_configELb1EPKbPbPKlPlN2at6native12_GLOBAL__N_18offset_tEEE10hipError_tPvRmT1_PNSt15iterator_traitsIS12_E10value_typeET2_T3_PNS13_IS18_E10value_typeET4_jRbjT5_S1E_jjP12ihipStream_tbEUljE_ZNSN_ISO_Lb1ESQ_SR_ST_SU_SY_EESZ_S10_S11_S12_S16_S17_S18_S1B_S1C_jS1D_jS1E_S1E_jjS1G_bEUljE0_EEESZ_S10_S11_S18_S1C_S1E_T6_T7_T9_mT8_S1G_bDpT10_ENKUlT_T0_E_clISt17integral_constantIbLb1EES1U_EEDaS1P_S1Q_EUlS1P_E_NS1_11comp_targetILNS1_3genE10ELNS1_11target_archE1200ELNS1_3gpuE4ELNS1_3repE0EEENS1_30default_config_static_selectorELNS0_4arch9wavefront6targetE0EEEvS12_.kd
    .uniform_work_group_size: 1
    .uses_dynamic_stack: false
    .vgpr_count:     0
    .vgpr_spill_count: 0
    .wavefront_size: 32
  - .args:
      - .offset:         0
        .size:           184
        .value_kind:     by_value
    .group_segment_fixed_size: 0
    .kernarg_segment_align: 8
    .kernarg_segment_size: 184
    .language:       OpenCL C
    .language_version:
      - 2
      - 0
    .max_flat_workgroup_size: 256
    .name:           _ZN7rocprim17ROCPRIM_400000_NS6detail17trampoline_kernelINS0_13select_configILj256ELj13ELNS0_17block_load_methodE3ELS4_3ELS4_3ELNS0_20block_scan_algorithmE0ELj4294967295EEENS1_25partition_config_selectorILNS1_17partition_subalgoE4EjNS0_10empty_typeEbEEZZNS1_14partition_implILS8_4ELb0ES6_15HIP_vector_typeIjLj2EENS0_17counting_iteratorIjlEEPS9_SG_NS0_5tupleIJPjSI_NS0_16reverse_iteratorISI_EEEEENSH_IJSG_SG_SG_EEES9_SI_JZNS1_25segmented_radix_sort_implINS0_14default_configELb1EPKbPbPKlPlN2at6native12_GLOBAL__N_18offset_tEEE10hipError_tPvRmT1_PNSt15iterator_traitsIS12_E10value_typeET2_T3_PNS13_IS18_E10value_typeET4_jRbjT5_S1E_jjP12ihipStream_tbEUljE_ZNSN_ISO_Lb1ESQ_SR_ST_SU_SY_EESZ_S10_S11_S12_S16_S17_S18_S1B_S1C_jS1D_jS1E_S1E_jjS1G_bEUljE0_EEESZ_S10_S11_S18_S1C_S1E_T6_T7_T9_mT8_S1G_bDpT10_ENKUlT_T0_E_clISt17integral_constantIbLb1EES1U_EEDaS1P_S1Q_EUlS1P_E_NS1_11comp_targetILNS1_3genE9ELNS1_11target_archE1100ELNS1_3gpuE3ELNS1_3repE0EEENS1_30default_config_static_selectorELNS0_4arch9wavefront6targetE0EEEvS12_
    .private_segment_fixed_size: 0
    .sgpr_count:     0
    .sgpr_spill_count: 0
    .symbol:         _ZN7rocprim17ROCPRIM_400000_NS6detail17trampoline_kernelINS0_13select_configILj256ELj13ELNS0_17block_load_methodE3ELS4_3ELS4_3ELNS0_20block_scan_algorithmE0ELj4294967295EEENS1_25partition_config_selectorILNS1_17partition_subalgoE4EjNS0_10empty_typeEbEEZZNS1_14partition_implILS8_4ELb0ES6_15HIP_vector_typeIjLj2EENS0_17counting_iteratorIjlEEPS9_SG_NS0_5tupleIJPjSI_NS0_16reverse_iteratorISI_EEEEENSH_IJSG_SG_SG_EEES9_SI_JZNS1_25segmented_radix_sort_implINS0_14default_configELb1EPKbPbPKlPlN2at6native12_GLOBAL__N_18offset_tEEE10hipError_tPvRmT1_PNSt15iterator_traitsIS12_E10value_typeET2_T3_PNS13_IS18_E10value_typeET4_jRbjT5_S1E_jjP12ihipStream_tbEUljE_ZNSN_ISO_Lb1ESQ_SR_ST_SU_SY_EESZ_S10_S11_S12_S16_S17_S18_S1B_S1C_jS1D_jS1E_S1E_jjS1G_bEUljE0_EEESZ_S10_S11_S18_S1C_S1E_T6_T7_T9_mT8_S1G_bDpT10_ENKUlT_T0_E_clISt17integral_constantIbLb1EES1U_EEDaS1P_S1Q_EUlS1P_E_NS1_11comp_targetILNS1_3genE9ELNS1_11target_archE1100ELNS1_3gpuE3ELNS1_3repE0EEENS1_30default_config_static_selectorELNS0_4arch9wavefront6targetE0EEEvS12_.kd
    .uniform_work_group_size: 1
    .uses_dynamic_stack: false
    .vgpr_count:     0
    .vgpr_spill_count: 0
    .wavefront_size: 32
  - .args:
      - .offset:         0
        .size:           184
        .value_kind:     by_value
    .group_segment_fixed_size: 0
    .kernarg_segment_align: 8
    .kernarg_segment_size: 184
    .language:       OpenCL C
    .language_version:
      - 2
      - 0
    .max_flat_workgroup_size: 256
    .name:           _ZN7rocprim17ROCPRIM_400000_NS6detail17trampoline_kernelINS0_13select_configILj256ELj13ELNS0_17block_load_methodE3ELS4_3ELS4_3ELNS0_20block_scan_algorithmE0ELj4294967295EEENS1_25partition_config_selectorILNS1_17partition_subalgoE4EjNS0_10empty_typeEbEEZZNS1_14partition_implILS8_4ELb0ES6_15HIP_vector_typeIjLj2EENS0_17counting_iteratorIjlEEPS9_SG_NS0_5tupleIJPjSI_NS0_16reverse_iteratorISI_EEEEENSH_IJSG_SG_SG_EEES9_SI_JZNS1_25segmented_radix_sort_implINS0_14default_configELb1EPKbPbPKlPlN2at6native12_GLOBAL__N_18offset_tEEE10hipError_tPvRmT1_PNSt15iterator_traitsIS12_E10value_typeET2_T3_PNS13_IS18_E10value_typeET4_jRbjT5_S1E_jjP12ihipStream_tbEUljE_ZNSN_ISO_Lb1ESQ_SR_ST_SU_SY_EESZ_S10_S11_S12_S16_S17_S18_S1B_S1C_jS1D_jS1E_S1E_jjS1G_bEUljE0_EEESZ_S10_S11_S18_S1C_S1E_T6_T7_T9_mT8_S1G_bDpT10_ENKUlT_T0_E_clISt17integral_constantIbLb1EES1U_EEDaS1P_S1Q_EUlS1P_E_NS1_11comp_targetILNS1_3genE8ELNS1_11target_archE1030ELNS1_3gpuE2ELNS1_3repE0EEENS1_30default_config_static_selectorELNS0_4arch9wavefront6targetE0EEEvS12_
    .private_segment_fixed_size: 0
    .sgpr_count:     0
    .sgpr_spill_count: 0
    .symbol:         _ZN7rocprim17ROCPRIM_400000_NS6detail17trampoline_kernelINS0_13select_configILj256ELj13ELNS0_17block_load_methodE3ELS4_3ELS4_3ELNS0_20block_scan_algorithmE0ELj4294967295EEENS1_25partition_config_selectorILNS1_17partition_subalgoE4EjNS0_10empty_typeEbEEZZNS1_14partition_implILS8_4ELb0ES6_15HIP_vector_typeIjLj2EENS0_17counting_iteratorIjlEEPS9_SG_NS0_5tupleIJPjSI_NS0_16reverse_iteratorISI_EEEEENSH_IJSG_SG_SG_EEES9_SI_JZNS1_25segmented_radix_sort_implINS0_14default_configELb1EPKbPbPKlPlN2at6native12_GLOBAL__N_18offset_tEEE10hipError_tPvRmT1_PNSt15iterator_traitsIS12_E10value_typeET2_T3_PNS13_IS18_E10value_typeET4_jRbjT5_S1E_jjP12ihipStream_tbEUljE_ZNSN_ISO_Lb1ESQ_SR_ST_SU_SY_EESZ_S10_S11_S12_S16_S17_S18_S1B_S1C_jS1D_jS1E_S1E_jjS1G_bEUljE0_EEESZ_S10_S11_S18_S1C_S1E_T6_T7_T9_mT8_S1G_bDpT10_ENKUlT_T0_E_clISt17integral_constantIbLb1EES1U_EEDaS1P_S1Q_EUlS1P_E_NS1_11comp_targetILNS1_3genE8ELNS1_11target_archE1030ELNS1_3gpuE2ELNS1_3repE0EEENS1_30default_config_static_selectorELNS0_4arch9wavefront6targetE0EEEvS12_.kd
    .uniform_work_group_size: 1
    .uses_dynamic_stack: false
    .vgpr_count:     0
    .vgpr_spill_count: 0
    .wavefront_size: 32
  - .args:
      - .offset:         0
        .size:           176
        .value_kind:     by_value
    .group_segment_fixed_size: 0
    .kernarg_segment_align: 8
    .kernarg_segment_size: 176
    .language:       OpenCL C
    .language_version:
      - 2
      - 0
    .max_flat_workgroup_size: 256
    .name:           _ZN7rocprim17ROCPRIM_400000_NS6detail17trampoline_kernelINS0_13select_configILj256ELj13ELNS0_17block_load_methodE3ELS4_3ELS4_3ELNS0_20block_scan_algorithmE0ELj4294967295EEENS1_25partition_config_selectorILNS1_17partition_subalgoE4EjNS0_10empty_typeEbEEZZNS1_14partition_implILS8_4ELb0ES6_15HIP_vector_typeIjLj2EENS0_17counting_iteratorIjlEEPS9_SG_NS0_5tupleIJPjSI_NS0_16reverse_iteratorISI_EEEEENSH_IJSG_SG_SG_EEES9_SI_JZNS1_25segmented_radix_sort_implINS0_14default_configELb1EPKbPbPKlPlN2at6native12_GLOBAL__N_18offset_tEEE10hipError_tPvRmT1_PNSt15iterator_traitsIS12_E10value_typeET2_T3_PNS13_IS18_E10value_typeET4_jRbjT5_S1E_jjP12ihipStream_tbEUljE_ZNSN_ISO_Lb1ESQ_SR_ST_SU_SY_EESZ_S10_S11_S12_S16_S17_S18_S1B_S1C_jS1D_jS1E_S1E_jjS1G_bEUljE0_EEESZ_S10_S11_S18_S1C_S1E_T6_T7_T9_mT8_S1G_bDpT10_ENKUlT_T0_E_clISt17integral_constantIbLb1EES1T_IbLb0EEEEDaS1P_S1Q_EUlS1P_E_NS1_11comp_targetILNS1_3genE0ELNS1_11target_archE4294967295ELNS1_3gpuE0ELNS1_3repE0EEENS1_30default_config_static_selectorELNS0_4arch9wavefront6targetE0EEEvS12_
    .private_segment_fixed_size: 0
    .sgpr_count:     0
    .sgpr_spill_count: 0
    .symbol:         _ZN7rocprim17ROCPRIM_400000_NS6detail17trampoline_kernelINS0_13select_configILj256ELj13ELNS0_17block_load_methodE3ELS4_3ELS4_3ELNS0_20block_scan_algorithmE0ELj4294967295EEENS1_25partition_config_selectorILNS1_17partition_subalgoE4EjNS0_10empty_typeEbEEZZNS1_14partition_implILS8_4ELb0ES6_15HIP_vector_typeIjLj2EENS0_17counting_iteratorIjlEEPS9_SG_NS0_5tupleIJPjSI_NS0_16reverse_iteratorISI_EEEEENSH_IJSG_SG_SG_EEES9_SI_JZNS1_25segmented_radix_sort_implINS0_14default_configELb1EPKbPbPKlPlN2at6native12_GLOBAL__N_18offset_tEEE10hipError_tPvRmT1_PNSt15iterator_traitsIS12_E10value_typeET2_T3_PNS13_IS18_E10value_typeET4_jRbjT5_S1E_jjP12ihipStream_tbEUljE_ZNSN_ISO_Lb1ESQ_SR_ST_SU_SY_EESZ_S10_S11_S12_S16_S17_S18_S1B_S1C_jS1D_jS1E_S1E_jjS1G_bEUljE0_EEESZ_S10_S11_S18_S1C_S1E_T6_T7_T9_mT8_S1G_bDpT10_ENKUlT_T0_E_clISt17integral_constantIbLb1EES1T_IbLb0EEEEDaS1P_S1Q_EUlS1P_E_NS1_11comp_targetILNS1_3genE0ELNS1_11target_archE4294967295ELNS1_3gpuE0ELNS1_3repE0EEENS1_30default_config_static_selectorELNS0_4arch9wavefront6targetE0EEEvS12_.kd
    .uniform_work_group_size: 1
    .uses_dynamic_stack: false
    .vgpr_count:     0
    .vgpr_spill_count: 0
    .wavefront_size: 32
  - .args:
      - .offset:         0
        .size:           176
        .value_kind:     by_value
    .group_segment_fixed_size: 0
    .kernarg_segment_align: 8
    .kernarg_segment_size: 176
    .language:       OpenCL C
    .language_version:
      - 2
      - 0
    .max_flat_workgroup_size: 256
    .name:           _ZN7rocprim17ROCPRIM_400000_NS6detail17trampoline_kernelINS0_13select_configILj256ELj13ELNS0_17block_load_methodE3ELS4_3ELS4_3ELNS0_20block_scan_algorithmE0ELj4294967295EEENS1_25partition_config_selectorILNS1_17partition_subalgoE4EjNS0_10empty_typeEbEEZZNS1_14partition_implILS8_4ELb0ES6_15HIP_vector_typeIjLj2EENS0_17counting_iteratorIjlEEPS9_SG_NS0_5tupleIJPjSI_NS0_16reverse_iteratorISI_EEEEENSH_IJSG_SG_SG_EEES9_SI_JZNS1_25segmented_radix_sort_implINS0_14default_configELb1EPKbPbPKlPlN2at6native12_GLOBAL__N_18offset_tEEE10hipError_tPvRmT1_PNSt15iterator_traitsIS12_E10value_typeET2_T3_PNS13_IS18_E10value_typeET4_jRbjT5_S1E_jjP12ihipStream_tbEUljE_ZNSN_ISO_Lb1ESQ_SR_ST_SU_SY_EESZ_S10_S11_S12_S16_S17_S18_S1B_S1C_jS1D_jS1E_S1E_jjS1G_bEUljE0_EEESZ_S10_S11_S18_S1C_S1E_T6_T7_T9_mT8_S1G_bDpT10_ENKUlT_T0_E_clISt17integral_constantIbLb1EES1T_IbLb0EEEEDaS1P_S1Q_EUlS1P_E_NS1_11comp_targetILNS1_3genE5ELNS1_11target_archE942ELNS1_3gpuE9ELNS1_3repE0EEENS1_30default_config_static_selectorELNS0_4arch9wavefront6targetE0EEEvS12_
    .private_segment_fixed_size: 0
    .sgpr_count:     0
    .sgpr_spill_count: 0
    .symbol:         _ZN7rocprim17ROCPRIM_400000_NS6detail17trampoline_kernelINS0_13select_configILj256ELj13ELNS0_17block_load_methodE3ELS4_3ELS4_3ELNS0_20block_scan_algorithmE0ELj4294967295EEENS1_25partition_config_selectorILNS1_17partition_subalgoE4EjNS0_10empty_typeEbEEZZNS1_14partition_implILS8_4ELb0ES6_15HIP_vector_typeIjLj2EENS0_17counting_iteratorIjlEEPS9_SG_NS0_5tupleIJPjSI_NS0_16reverse_iteratorISI_EEEEENSH_IJSG_SG_SG_EEES9_SI_JZNS1_25segmented_radix_sort_implINS0_14default_configELb1EPKbPbPKlPlN2at6native12_GLOBAL__N_18offset_tEEE10hipError_tPvRmT1_PNSt15iterator_traitsIS12_E10value_typeET2_T3_PNS13_IS18_E10value_typeET4_jRbjT5_S1E_jjP12ihipStream_tbEUljE_ZNSN_ISO_Lb1ESQ_SR_ST_SU_SY_EESZ_S10_S11_S12_S16_S17_S18_S1B_S1C_jS1D_jS1E_S1E_jjS1G_bEUljE0_EEESZ_S10_S11_S18_S1C_S1E_T6_T7_T9_mT8_S1G_bDpT10_ENKUlT_T0_E_clISt17integral_constantIbLb1EES1T_IbLb0EEEEDaS1P_S1Q_EUlS1P_E_NS1_11comp_targetILNS1_3genE5ELNS1_11target_archE942ELNS1_3gpuE9ELNS1_3repE0EEENS1_30default_config_static_selectorELNS0_4arch9wavefront6targetE0EEEvS12_.kd
    .uniform_work_group_size: 1
    .uses_dynamic_stack: false
    .vgpr_count:     0
    .vgpr_spill_count: 0
    .wavefront_size: 32
  - .args:
      - .offset:         0
        .size:           176
        .value_kind:     by_value
    .group_segment_fixed_size: 0
    .kernarg_segment_align: 8
    .kernarg_segment_size: 176
    .language:       OpenCL C
    .language_version:
      - 2
      - 0
    .max_flat_workgroup_size: 256
    .name:           _ZN7rocprim17ROCPRIM_400000_NS6detail17trampoline_kernelINS0_13select_configILj256ELj13ELNS0_17block_load_methodE3ELS4_3ELS4_3ELNS0_20block_scan_algorithmE0ELj4294967295EEENS1_25partition_config_selectorILNS1_17partition_subalgoE4EjNS0_10empty_typeEbEEZZNS1_14partition_implILS8_4ELb0ES6_15HIP_vector_typeIjLj2EENS0_17counting_iteratorIjlEEPS9_SG_NS0_5tupleIJPjSI_NS0_16reverse_iteratorISI_EEEEENSH_IJSG_SG_SG_EEES9_SI_JZNS1_25segmented_radix_sort_implINS0_14default_configELb1EPKbPbPKlPlN2at6native12_GLOBAL__N_18offset_tEEE10hipError_tPvRmT1_PNSt15iterator_traitsIS12_E10value_typeET2_T3_PNS13_IS18_E10value_typeET4_jRbjT5_S1E_jjP12ihipStream_tbEUljE_ZNSN_ISO_Lb1ESQ_SR_ST_SU_SY_EESZ_S10_S11_S12_S16_S17_S18_S1B_S1C_jS1D_jS1E_S1E_jjS1G_bEUljE0_EEESZ_S10_S11_S18_S1C_S1E_T6_T7_T9_mT8_S1G_bDpT10_ENKUlT_T0_E_clISt17integral_constantIbLb1EES1T_IbLb0EEEEDaS1P_S1Q_EUlS1P_E_NS1_11comp_targetILNS1_3genE4ELNS1_11target_archE910ELNS1_3gpuE8ELNS1_3repE0EEENS1_30default_config_static_selectorELNS0_4arch9wavefront6targetE0EEEvS12_
    .private_segment_fixed_size: 0
    .sgpr_count:     0
    .sgpr_spill_count: 0
    .symbol:         _ZN7rocprim17ROCPRIM_400000_NS6detail17trampoline_kernelINS0_13select_configILj256ELj13ELNS0_17block_load_methodE3ELS4_3ELS4_3ELNS0_20block_scan_algorithmE0ELj4294967295EEENS1_25partition_config_selectorILNS1_17partition_subalgoE4EjNS0_10empty_typeEbEEZZNS1_14partition_implILS8_4ELb0ES6_15HIP_vector_typeIjLj2EENS0_17counting_iteratorIjlEEPS9_SG_NS0_5tupleIJPjSI_NS0_16reverse_iteratorISI_EEEEENSH_IJSG_SG_SG_EEES9_SI_JZNS1_25segmented_radix_sort_implINS0_14default_configELb1EPKbPbPKlPlN2at6native12_GLOBAL__N_18offset_tEEE10hipError_tPvRmT1_PNSt15iterator_traitsIS12_E10value_typeET2_T3_PNS13_IS18_E10value_typeET4_jRbjT5_S1E_jjP12ihipStream_tbEUljE_ZNSN_ISO_Lb1ESQ_SR_ST_SU_SY_EESZ_S10_S11_S12_S16_S17_S18_S1B_S1C_jS1D_jS1E_S1E_jjS1G_bEUljE0_EEESZ_S10_S11_S18_S1C_S1E_T6_T7_T9_mT8_S1G_bDpT10_ENKUlT_T0_E_clISt17integral_constantIbLb1EES1T_IbLb0EEEEDaS1P_S1Q_EUlS1P_E_NS1_11comp_targetILNS1_3genE4ELNS1_11target_archE910ELNS1_3gpuE8ELNS1_3repE0EEENS1_30default_config_static_selectorELNS0_4arch9wavefront6targetE0EEEvS12_.kd
    .uniform_work_group_size: 1
    .uses_dynamic_stack: false
    .vgpr_count:     0
    .vgpr_spill_count: 0
    .wavefront_size: 32
  - .args:
      - .offset:         0
        .size:           176
        .value_kind:     by_value
    .group_segment_fixed_size: 0
    .kernarg_segment_align: 8
    .kernarg_segment_size: 176
    .language:       OpenCL C
    .language_version:
      - 2
      - 0
    .max_flat_workgroup_size: 256
    .name:           _ZN7rocprim17ROCPRIM_400000_NS6detail17trampoline_kernelINS0_13select_configILj256ELj13ELNS0_17block_load_methodE3ELS4_3ELS4_3ELNS0_20block_scan_algorithmE0ELj4294967295EEENS1_25partition_config_selectorILNS1_17partition_subalgoE4EjNS0_10empty_typeEbEEZZNS1_14partition_implILS8_4ELb0ES6_15HIP_vector_typeIjLj2EENS0_17counting_iteratorIjlEEPS9_SG_NS0_5tupleIJPjSI_NS0_16reverse_iteratorISI_EEEEENSH_IJSG_SG_SG_EEES9_SI_JZNS1_25segmented_radix_sort_implINS0_14default_configELb1EPKbPbPKlPlN2at6native12_GLOBAL__N_18offset_tEEE10hipError_tPvRmT1_PNSt15iterator_traitsIS12_E10value_typeET2_T3_PNS13_IS18_E10value_typeET4_jRbjT5_S1E_jjP12ihipStream_tbEUljE_ZNSN_ISO_Lb1ESQ_SR_ST_SU_SY_EESZ_S10_S11_S12_S16_S17_S18_S1B_S1C_jS1D_jS1E_S1E_jjS1G_bEUljE0_EEESZ_S10_S11_S18_S1C_S1E_T6_T7_T9_mT8_S1G_bDpT10_ENKUlT_T0_E_clISt17integral_constantIbLb1EES1T_IbLb0EEEEDaS1P_S1Q_EUlS1P_E_NS1_11comp_targetILNS1_3genE3ELNS1_11target_archE908ELNS1_3gpuE7ELNS1_3repE0EEENS1_30default_config_static_selectorELNS0_4arch9wavefront6targetE0EEEvS12_
    .private_segment_fixed_size: 0
    .sgpr_count:     0
    .sgpr_spill_count: 0
    .symbol:         _ZN7rocprim17ROCPRIM_400000_NS6detail17trampoline_kernelINS0_13select_configILj256ELj13ELNS0_17block_load_methodE3ELS4_3ELS4_3ELNS0_20block_scan_algorithmE0ELj4294967295EEENS1_25partition_config_selectorILNS1_17partition_subalgoE4EjNS0_10empty_typeEbEEZZNS1_14partition_implILS8_4ELb0ES6_15HIP_vector_typeIjLj2EENS0_17counting_iteratorIjlEEPS9_SG_NS0_5tupleIJPjSI_NS0_16reverse_iteratorISI_EEEEENSH_IJSG_SG_SG_EEES9_SI_JZNS1_25segmented_radix_sort_implINS0_14default_configELb1EPKbPbPKlPlN2at6native12_GLOBAL__N_18offset_tEEE10hipError_tPvRmT1_PNSt15iterator_traitsIS12_E10value_typeET2_T3_PNS13_IS18_E10value_typeET4_jRbjT5_S1E_jjP12ihipStream_tbEUljE_ZNSN_ISO_Lb1ESQ_SR_ST_SU_SY_EESZ_S10_S11_S12_S16_S17_S18_S1B_S1C_jS1D_jS1E_S1E_jjS1G_bEUljE0_EEESZ_S10_S11_S18_S1C_S1E_T6_T7_T9_mT8_S1G_bDpT10_ENKUlT_T0_E_clISt17integral_constantIbLb1EES1T_IbLb0EEEEDaS1P_S1Q_EUlS1P_E_NS1_11comp_targetILNS1_3genE3ELNS1_11target_archE908ELNS1_3gpuE7ELNS1_3repE0EEENS1_30default_config_static_selectorELNS0_4arch9wavefront6targetE0EEEvS12_.kd
    .uniform_work_group_size: 1
    .uses_dynamic_stack: false
    .vgpr_count:     0
    .vgpr_spill_count: 0
    .wavefront_size: 32
  - .args:
      - .offset:         0
        .size:           176
        .value_kind:     by_value
    .group_segment_fixed_size: 0
    .kernarg_segment_align: 8
    .kernarg_segment_size: 176
    .language:       OpenCL C
    .language_version:
      - 2
      - 0
    .max_flat_workgroup_size: 256
    .name:           _ZN7rocprim17ROCPRIM_400000_NS6detail17trampoline_kernelINS0_13select_configILj256ELj13ELNS0_17block_load_methodE3ELS4_3ELS4_3ELNS0_20block_scan_algorithmE0ELj4294967295EEENS1_25partition_config_selectorILNS1_17partition_subalgoE4EjNS0_10empty_typeEbEEZZNS1_14partition_implILS8_4ELb0ES6_15HIP_vector_typeIjLj2EENS0_17counting_iteratorIjlEEPS9_SG_NS0_5tupleIJPjSI_NS0_16reverse_iteratorISI_EEEEENSH_IJSG_SG_SG_EEES9_SI_JZNS1_25segmented_radix_sort_implINS0_14default_configELb1EPKbPbPKlPlN2at6native12_GLOBAL__N_18offset_tEEE10hipError_tPvRmT1_PNSt15iterator_traitsIS12_E10value_typeET2_T3_PNS13_IS18_E10value_typeET4_jRbjT5_S1E_jjP12ihipStream_tbEUljE_ZNSN_ISO_Lb1ESQ_SR_ST_SU_SY_EESZ_S10_S11_S12_S16_S17_S18_S1B_S1C_jS1D_jS1E_S1E_jjS1G_bEUljE0_EEESZ_S10_S11_S18_S1C_S1E_T6_T7_T9_mT8_S1G_bDpT10_ENKUlT_T0_E_clISt17integral_constantIbLb1EES1T_IbLb0EEEEDaS1P_S1Q_EUlS1P_E_NS1_11comp_targetILNS1_3genE2ELNS1_11target_archE906ELNS1_3gpuE6ELNS1_3repE0EEENS1_30default_config_static_selectorELNS0_4arch9wavefront6targetE0EEEvS12_
    .private_segment_fixed_size: 0
    .sgpr_count:     0
    .sgpr_spill_count: 0
    .symbol:         _ZN7rocprim17ROCPRIM_400000_NS6detail17trampoline_kernelINS0_13select_configILj256ELj13ELNS0_17block_load_methodE3ELS4_3ELS4_3ELNS0_20block_scan_algorithmE0ELj4294967295EEENS1_25partition_config_selectorILNS1_17partition_subalgoE4EjNS0_10empty_typeEbEEZZNS1_14partition_implILS8_4ELb0ES6_15HIP_vector_typeIjLj2EENS0_17counting_iteratorIjlEEPS9_SG_NS0_5tupleIJPjSI_NS0_16reverse_iteratorISI_EEEEENSH_IJSG_SG_SG_EEES9_SI_JZNS1_25segmented_radix_sort_implINS0_14default_configELb1EPKbPbPKlPlN2at6native12_GLOBAL__N_18offset_tEEE10hipError_tPvRmT1_PNSt15iterator_traitsIS12_E10value_typeET2_T3_PNS13_IS18_E10value_typeET4_jRbjT5_S1E_jjP12ihipStream_tbEUljE_ZNSN_ISO_Lb1ESQ_SR_ST_SU_SY_EESZ_S10_S11_S12_S16_S17_S18_S1B_S1C_jS1D_jS1E_S1E_jjS1G_bEUljE0_EEESZ_S10_S11_S18_S1C_S1E_T6_T7_T9_mT8_S1G_bDpT10_ENKUlT_T0_E_clISt17integral_constantIbLb1EES1T_IbLb0EEEEDaS1P_S1Q_EUlS1P_E_NS1_11comp_targetILNS1_3genE2ELNS1_11target_archE906ELNS1_3gpuE6ELNS1_3repE0EEENS1_30default_config_static_selectorELNS0_4arch9wavefront6targetE0EEEvS12_.kd
    .uniform_work_group_size: 1
    .uses_dynamic_stack: false
    .vgpr_count:     0
    .vgpr_spill_count: 0
    .wavefront_size: 32
  - .args:
      - .offset:         0
        .size:           176
        .value_kind:     by_value
    .group_segment_fixed_size: 0
    .kernarg_segment_align: 8
    .kernarg_segment_size: 176
    .language:       OpenCL C
    .language_version:
      - 2
      - 0
    .max_flat_workgroup_size: 256
    .name:           _ZN7rocprim17ROCPRIM_400000_NS6detail17trampoline_kernelINS0_13select_configILj256ELj13ELNS0_17block_load_methodE3ELS4_3ELS4_3ELNS0_20block_scan_algorithmE0ELj4294967295EEENS1_25partition_config_selectorILNS1_17partition_subalgoE4EjNS0_10empty_typeEbEEZZNS1_14partition_implILS8_4ELb0ES6_15HIP_vector_typeIjLj2EENS0_17counting_iteratorIjlEEPS9_SG_NS0_5tupleIJPjSI_NS0_16reverse_iteratorISI_EEEEENSH_IJSG_SG_SG_EEES9_SI_JZNS1_25segmented_radix_sort_implINS0_14default_configELb1EPKbPbPKlPlN2at6native12_GLOBAL__N_18offset_tEEE10hipError_tPvRmT1_PNSt15iterator_traitsIS12_E10value_typeET2_T3_PNS13_IS18_E10value_typeET4_jRbjT5_S1E_jjP12ihipStream_tbEUljE_ZNSN_ISO_Lb1ESQ_SR_ST_SU_SY_EESZ_S10_S11_S12_S16_S17_S18_S1B_S1C_jS1D_jS1E_S1E_jjS1G_bEUljE0_EEESZ_S10_S11_S18_S1C_S1E_T6_T7_T9_mT8_S1G_bDpT10_ENKUlT_T0_E_clISt17integral_constantIbLb1EES1T_IbLb0EEEEDaS1P_S1Q_EUlS1P_E_NS1_11comp_targetILNS1_3genE10ELNS1_11target_archE1200ELNS1_3gpuE4ELNS1_3repE0EEENS1_30default_config_static_selectorELNS0_4arch9wavefront6targetE0EEEvS12_
    .private_segment_fixed_size: 0
    .sgpr_count:     0
    .sgpr_spill_count: 0
    .symbol:         _ZN7rocprim17ROCPRIM_400000_NS6detail17trampoline_kernelINS0_13select_configILj256ELj13ELNS0_17block_load_methodE3ELS4_3ELS4_3ELNS0_20block_scan_algorithmE0ELj4294967295EEENS1_25partition_config_selectorILNS1_17partition_subalgoE4EjNS0_10empty_typeEbEEZZNS1_14partition_implILS8_4ELb0ES6_15HIP_vector_typeIjLj2EENS0_17counting_iteratorIjlEEPS9_SG_NS0_5tupleIJPjSI_NS0_16reverse_iteratorISI_EEEEENSH_IJSG_SG_SG_EEES9_SI_JZNS1_25segmented_radix_sort_implINS0_14default_configELb1EPKbPbPKlPlN2at6native12_GLOBAL__N_18offset_tEEE10hipError_tPvRmT1_PNSt15iterator_traitsIS12_E10value_typeET2_T3_PNS13_IS18_E10value_typeET4_jRbjT5_S1E_jjP12ihipStream_tbEUljE_ZNSN_ISO_Lb1ESQ_SR_ST_SU_SY_EESZ_S10_S11_S12_S16_S17_S18_S1B_S1C_jS1D_jS1E_S1E_jjS1G_bEUljE0_EEESZ_S10_S11_S18_S1C_S1E_T6_T7_T9_mT8_S1G_bDpT10_ENKUlT_T0_E_clISt17integral_constantIbLb1EES1T_IbLb0EEEEDaS1P_S1Q_EUlS1P_E_NS1_11comp_targetILNS1_3genE10ELNS1_11target_archE1200ELNS1_3gpuE4ELNS1_3repE0EEENS1_30default_config_static_selectorELNS0_4arch9wavefront6targetE0EEEvS12_.kd
    .uniform_work_group_size: 1
    .uses_dynamic_stack: false
    .vgpr_count:     0
    .vgpr_spill_count: 0
    .wavefront_size: 32
  - .args:
      - .offset:         0
        .size:           176
        .value_kind:     by_value
    .group_segment_fixed_size: 0
    .kernarg_segment_align: 8
    .kernarg_segment_size: 176
    .language:       OpenCL C
    .language_version:
      - 2
      - 0
    .max_flat_workgroup_size: 256
    .name:           _ZN7rocprim17ROCPRIM_400000_NS6detail17trampoline_kernelINS0_13select_configILj256ELj13ELNS0_17block_load_methodE3ELS4_3ELS4_3ELNS0_20block_scan_algorithmE0ELj4294967295EEENS1_25partition_config_selectorILNS1_17partition_subalgoE4EjNS0_10empty_typeEbEEZZNS1_14partition_implILS8_4ELb0ES6_15HIP_vector_typeIjLj2EENS0_17counting_iteratorIjlEEPS9_SG_NS0_5tupleIJPjSI_NS0_16reverse_iteratorISI_EEEEENSH_IJSG_SG_SG_EEES9_SI_JZNS1_25segmented_radix_sort_implINS0_14default_configELb1EPKbPbPKlPlN2at6native12_GLOBAL__N_18offset_tEEE10hipError_tPvRmT1_PNSt15iterator_traitsIS12_E10value_typeET2_T3_PNS13_IS18_E10value_typeET4_jRbjT5_S1E_jjP12ihipStream_tbEUljE_ZNSN_ISO_Lb1ESQ_SR_ST_SU_SY_EESZ_S10_S11_S12_S16_S17_S18_S1B_S1C_jS1D_jS1E_S1E_jjS1G_bEUljE0_EEESZ_S10_S11_S18_S1C_S1E_T6_T7_T9_mT8_S1G_bDpT10_ENKUlT_T0_E_clISt17integral_constantIbLb1EES1T_IbLb0EEEEDaS1P_S1Q_EUlS1P_E_NS1_11comp_targetILNS1_3genE9ELNS1_11target_archE1100ELNS1_3gpuE3ELNS1_3repE0EEENS1_30default_config_static_selectorELNS0_4arch9wavefront6targetE0EEEvS12_
    .private_segment_fixed_size: 0
    .sgpr_count:     0
    .sgpr_spill_count: 0
    .symbol:         _ZN7rocprim17ROCPRIM_400000_NS6detail17trampoline_kernelINS0_13select_configILj256ELj13ELNS0_17block_load_methodE3ELS4_3ELS4_3ELNS0_20block_scan_algorithmE0ELj4294967295EEENS1_25partition_config_selectorILNS1_17partition_subalgoE4EjNS0_10empty_typeEbEEZZNS1_14partition_implILS8_4ELb0ES6_15HIP_vector_typeIjLj2EENS0_17counting_iteratorIjlEEPS9_SG_NS0_5tupleIJPjSI_NS0_16reverse_iteratorISI_EEEEENSH_IJSG_SG_SG_EEES9_SI_JZNS1_25segmented_radix_sort_implINS0_14default_configELb1EPKbPbPKlPlN2at6native12_GLOBAL__N_18offset_tEEE10hipError_tPvRmT1_PNSt15iterator_traitsIS12_E10value_typeET2_T3_PNS13_IS18_E10value_typeET4_jRbjT5_S1E_jjP12ihipStream_tbEUljE_ZNSN_ISO_Lb1ESQ_SR_ST_SU_SY_EESZ_S10_S11_S12_S16_S17_S18_S1B_S1C_jS1D_jS1E_S1E_jjS1G_bEUljE0_EEESZ_S10_S11_S18_S1C_S1E_T6_T7_T9_mT8_S1G_bDpT10_ENKUlT_T0_E_clISt17integral_constantIbLb1EES1T_IbLb0EEEEDaS1P_S1Q_EUlS1P_E_NS1_11comp_targetILNS1_3genE9ELNS1_11target_archE1100ELNS1_3gpuE3ELNS1_3repE0EEENS1_30default_config_static_selectorELNS0_4arch9wavefront6targetE0EEEvS12_.kd
    .uniform_work_group_size: 1
    .uses_dynamic_stack: false
    .vgpr_count:     0
    .vgpr_spill_count: 0
    .wavefront_size: 32
  - .args:
      - .offset:         0
        .size:           176
        .value_kind:     by_value
    .group_segment_fixed_size: 0
    .kernarg_segment_align: 8
    .kernarg_segment_size: 176
    .language:       OpenCL C
    .language_version:
      - 2
      - 0
    .max_flat_workgroup_size: 256
    .name:           _ZN7rocprim17ROCPRIM_400000_NS6detail17trampoline_kernelINS0_13select_configILj256ELj13ELNS0_17block_load_methodE3ELS4_3ELS4_3ELNS0_20block_scan_algorithmE0ELj4294967295EEENS1_25partition_config_selectorILNS1_17partition_subalgoE4EjNS0_10empty_typeEbEEZZNS1_14partition_implILS8_4ELb0ES6_15HIP_vector_typeIjLj2EENS0_17counting_iteratorIjlEEPS9_SG_NS0_5tupleIJPjSI_NS0_16reverse_iteratorISI_EEEEENSH_IJSG_SG_SG_EEES9_SI_JZNS1_25segmented_radix_sort_implINS0_14default_configELb1EPKbPbPKlPlN2at6native12_GLOBAL__N_18offset_tEEE10hipError_tPvRmT1_PNSt15iterator_traitsIS12_E10value_typeET2_T3_PNS13_IS18_E10value_typeET4_jRbjT5_S1E_jjP12ihipStream_tbEUljE_ZNSN_ISO_Lb1ESQ_SR_ST_SU_SY_EESZ_S10_S11_S12_S16_S17_S18_S1B_S1C_jS1D_jS1E_S1E_jjS1G_bEUljE0_EEESZ_S10_S11_S18_S1C_S1E_T6_T7_T9_mT8_S1G_bDpT10_ENKUlT_T0_E_clISt17integral_constantIbLb1EES1T_IbLb0EEEEDaS1P_S1Q_EUlS1P_E_NS1_11comp_targetILNS1_3genE8ELNS1_11target_archE1030ELNS1_3gpuE2ELNS1_3repE0EEENS1_30default_config_static_selectorELNS0_4arch9wavefront6targetE0EEEvS12_
    .private_segment_fixed_size: 0
    .sgpr_count:     0
    .sgpr_spill_count: 0
    .symbol:         _ZN7rocprim17ROCPRIM_400000_NS6detail17trampoline_kernelINS0_13select_configILj256ELj13ELNS0_17block_load_methodE3ELS4_3ELS4_3ELNS0_20block_scan_algorithmE0ELj4294967295EEENS1_25partition_config_selectorILNS1_17partition_subalgoE4EjNS0_10empty_typeEbEEZZNS1_14partition_implILS8_4ELb0ES6_15HIP_vector_typeIjLj2EENS0_17counting_iteratorIjlEEPS9_SG_NS0_5tupleIJPjSI_NS0_16reverse_iteratorISI_EEEEENSH_IJSG_SG_SG_EEES9_SI_JZNS1_25segmented_radix_sort_implINS0_14default_configELb1EPKbPbPKlPlN2at6native12_GLOBAL__N_18offset_tEEE10hipError_tPvRmT1_PNSt15iterator_traitsIS12_E10value_typeET2_T3_PNS13_IS18_E10value_typeET4_jRbjT5_S1E_jjP12ihipStream_tbEUljE_ZNSN_ISO_Lb1ESQ_SR_ST_SU_SY_EESZ_S10_S11_S12_S16_S17_S18_S1B_S1C_jS1D_jS1E_S1E_jjS1G_bEUljE0_EEESZ_S10_S11_S18_S1C_S1E_T6_T7_T9_mT8_S1G_bDpT10_ENKUlT_T0_E_clISt17integral_constantIbLb1EES1T_IbLb0EEEEDaS1P_S1Q_EUlS1P_E_NS1_11comp_targetILNS1_3genE8ELNS1_11target_archE1030ELNS1_3gpuE2ELNS1_3repE0EEENS1_30default_config_static_selectorELNS0_4arch9wavefront6targetE0EEEvS12_.kd
    .uniform_work_group_size: 1
    .uses_dynamic_stack: false
    .vgpr_count:     0
    .vgpr_spill_count: 0
    .wavefront_size: 32
  - .args:
      - .offset:         0
        .size:           184
        .value_kind:     by_value
    .group_segment_fixed_size: 13328
    .kernarg_segment_align: 8
    .kernarg_segment_size: 184
    .language:       OpenCL C
    .language_version:
      - 2
      - 0
    .max_flat_workgroup_size: 256
    .name:           _ZN7rocprim17ROCPRIM_400000_NS6detail17trampoline_kernelINS0_13select_configILj256ELj13ELNS0_17block_load_methodE3ELS4_3ELS4_3ELNS0_20block_scan_algorithmE0ELj4294967295EEENS1_25partition_config_selectorILNS1_17partition_subalgoE4EjNS0_10empty_typeEbEEZZNS1_14partition_implILS8_4ELb0ES6_15HIP_vector_typeIjLj2EENS0_17counting_iteratorIjlEEPS9_SG_NS0_5tupleIJPjSI_NS0_16reverse_iteratorISI_EEEEENSH_IJSG_SG_SG_EEES9_SI_JZNS1_25segmented_radix_sort_implINS0_14default_configELb1EPKbPbPKlPlN2at6native12_GLOBAL__N_18offset_tEEE10hipError_tPvRmT1_PNSt15iterator_traitsIS12_E10value_typeET2_T3_PNS13_IS18_E10value_typeET4_jRbjT5_S1E_jjP12ihipStream_tbEUljE_ZNSN_ISO_Lb1ESQ_SR_ST_SU_SY_EESZ_S10_S11_S12_S16_S17_S18_S1B_S1C_jS1D_jS1E_S1E_jjS1G_bEUljE0_EEESZ_S10_S11_S18_S1C_S1E_T6_T7_T9_mT8_S1G_bDpT10_ENKUlT_T0_E_clISt17integral_constantIbLb0EES1T_IbLb1EEEEDaS1P_S1Q_EUlS1P_E_NS1_11comp_targetILNS1_3genE0ELNS1_11target_archE4294967295ELNS1_3gpuE0ELNS1_3repE0EEENS1_30default_config_static_selectorELNS0_4arch9wavefront6targetE0EEEvS12_
    .private_segment_fixed_size: 0
    .sgpr_count:     57
    .sgpr_spill_count: 0
    .symbol:         _ZN7rocprim17ROCPRIM_400000_NS6detail17trampoline_kernelINS0_13select_configILj256ELj13ELNS0_17block_load_methodE3ELS4_3ELS4_3ELNS0_20block_scan_algorithmE0ELj4294967295EEENS1_25partition_config_selectorILNS1_17partition_subalgoE4EjNS0_10empty_typeEbEEZZNS1_14partition_implILS8_4ELb0ES6_15HIP_vector_typeIjLj2EENS0_17counting_iteratorIjlEEPS9_SG_NS0_5tupleIJPjSI_NS0_16reverse_iteratorISI_EEEEENSH_IJSG_SG_SG_EEES9_SI_JZNS1_25segmented_radix_sort_implINS0_14default_configELb1EPKbPbPKlPlN2at6native12_GLOBAL__N_18offset_tEEE10hipError_tPvRmT1_PNSt15iterator_traitsIS12_E10value_typeET2_T3_PNS13_IS18_E10value_typeET4_jRbjT5_S1E_jjP12ihipStream_tbEUljE_ZNSN_ISO_Lb1ESQ_SR_ST_SU_SY_EESZ_S10_S11_S12_S16_S17_S18_S1B_S1C_jS1D_jS1E_S1E_jjS1G_bEUljE0_EEESZ_S10_S11_S18_S1C_S1E_T6_T7_T9_mT8_S1G_bDpT10_ENKUlT_T0_E_clISt17integral_constantIbLb0EES1T_IbLb1EEEEDaS1P_S1Q_EUlS1P_E_NS1_11comp_targetILNS1_3genE0ELNS1_11target_archE4294967295ELNS1_3gpuE0ELNS1_3repE0EEENS1_30default_config_static_selectorELNS0_4arch9wavefront6targetE0EEEvS12_.kd
    .uniform_work_group_size: 1
    .uses_dynamic_stack: false
    .vgpr_count:     86
    .vgpr_spill_count: 0
    .wavefront_size: 32
  - .args:
      - .offset:         0
        .size:           184
        .value_kind:     by_value
    .group_segment_fixed_size: 0
    .kernarg_segment_align: 8
    .kernarg_segment_size: 184
    .language:       OpenCL C
    .language_version:
      - 2
      - 0
    .max_flat_workgroup_size: 256
    .name:           _ZN7rocprim17ROCPRIM_400000_NS6detail17trampoline_kernelINS0_13select_configILj256ELj13ELNS0_17block_load_methodE3ELS4_3ELS4_3ELNS0_20block_scan_algorithmE0ELj4294967295EEENS1_25partition_config_selectorILNS1_17partition_subalgoE4EjNS0_10empty_typeEbEEZZNS1_14partition_implILS8_4ELb0ES6_15HIP_vector_typeIjLj2EENS0_17counting_iteratorIjlEEPS9_SG_NS0_5tupleIJPjSI_NS0_16reverse_iteratorISI_EEEEENSH_IJSG_SG_SG_EEES9_SI_JZNS1_25segmented_radix_sort_implINS0_14default_configELb1EPKbPbPKlPlN2at6native12_GLOBAL__N_18offset_tEEE10hipError_tPvRmT1_PNSt15iterator_traitsIS12_E10value_typeET2_T3_PNS13_IS18_E10value_typeET4_jRbjT5_S1E_jjP12ihipStream_tbEUljE_ZNSN_ISO_Lb1ESQ_SR_ST_SU_SY_EESZ_S10_S11_S12_S16_S17_S18_S1B_S1C_jS1D_jS1E_S1E_jjS1G_bEUljE0_EEESZ_S10_S11_S18_S1C_S1E_T6_T7_T9_mT8_S1G_bDpT10_ENKUlT_T0_E_clISt17integral_constantIbLb0EES1T_IbLb1EEEEDaS1P_S1Q_EUlS1P_E_NS1_11comp_targetILNS1_3genE5ELNS1_11target_archE942ELNS1_3gpuE9ELNS1_3repE0EEENS1_30default_config_static_selectorELNS0_4arch9wavefront6targetE0EEEvS12_
    .private_segment_fixed_size: 0
    .sgpr_count:     0
    .sgpr_spill_count: 0
    .symbol:         _ZN7rocprim17ROCPRIM_400000_NS6detail17trampoline_kernelINS0_13select_configILj256ELj13ELNS0_17block_load_methodE3ELS4_3ELS4_3ELNS0_20block_scan_algorithmE0ELj4294967295EEENS1_25partition_config_selectorILNS1_17partition_subalgoE4EjNS0_10empty_typeEbEEZZNS1_14partition_implILS8_4ELb0ES6_15HIP_vector_typeIjLj2EENS0_17counting_iteratorIjlEEPS9_SG_NS0_5tupleIJPjSI_NS0_16reverse_iteratorISI_EEEEENSH_IJSG_SG_SG_EEES9_SI_JZNS1_25segmented_radix_sort_implINS0_14default_configELb1EPKbPbPKlPlN2at6native12_GLOBAL__N_18offset_tEEE10hipError_tPvRmT1_PNSt15iterator_traitsIS12_E10value_typeET2_T3_PNS13_IS18_E10value_typeET4_jRbjT5_S1E_jjP12ihipStream_tbEUljE_ZNSN_ISO_Lb1ESQ_SR_ST_SU_SY_EESZ_S10_S11_S12_S16_S17_S18_S1B_S1C_jS1D_jS1E_S1E_jjS1G_bEUljE0_EEESZ_S10_S11_S18_S1C_S1E_T6_T7_T9_mT8_S1G_bDpT10_ENKUlT_T0_E_clISt17integral_constantIbLb0EES1T_IbLb1EEEEDaS1P_S1Q_EUlS1P_E_NS1_11comp_targetILNS1_3genE5ELNS1_11target_archE942ELNS1_3gpuE9ELNS1_3repE0EEENS1_30default_config_static_selectorELNS0_4arch9wavefront6targetE0EEEvS12_.kd
    .uniform_work_group_size: 1
    .uses_dynamic_stack: false
    .vgpr_count:     0
    .vgpr_spill_count: 0
    .wavefront_size: 32
  - .args:
      - .offset:         0
        .size:           184
        .value_kind:     by_value
    .group_segment_fixed_size: 0
    .kernarg_segment_align: 8
    .kernarg_segment_size: 184
    .language:       OpenCL C
    .language_version:
      - 2
      - 0
    .max_flat_workgroup_size: 256
    .name:           _ZN7rocprim17ROCPRIM_400000_NS6detail17trampoline_kernelINS0_13select_configILj256ELj13ELNS0_17block_load_methodE3ELS4_3ELS4_3ELNS0_20block_scan_algorithmE0ELj4294967295EEENS1_25partition_config_selectorILNS1_17partition_subalgoE4EjNS0_10empty_typeEbEEZZNS1_14partition_implILS8_4ELb0ES6_15HIP_vector_typeIjLj2EENS0_17counting_iteratorIjlEEPS9_SG_NS0_5tupleIJPjSI_NS0_16reverse_iteratorISI_EEEEENSH_IJSG_SG_SG_EEES9_SI_JZNS1_25segmented_radix_sort_implINS0_14default_configELb1EPKbPbPKlPlN2at6native12_GLOBAL__N_18offset_tEEE10hipError_tPvRmT1_PNSt15iterator_traitsIS12_E10value_typeET2_T3_PNS13_IS18_E10value_typeET4_jRbjT5_S1E_jjP12ihipStream_tbEUljE_ZNSN_ISO_Lb1ESQ_SR_ST_SU_SY_EESZ_S10_S11_S12_S16_S17_S18_S1B_S1C_jS1D_jS1E_S1E_jjS1G_bEUljE0_EEESZ_S10_S11_S18_S1C_S1E_T6_T7_T9_mT8_S1G_bDpT10_ENKUlT_T0_E_clISt17integral_constantIbLb0EES1T_IbLb1EEEEDaS1P_S1Q_EUlS1P_E_NS1_11comp_targetILNS1_3genE4ELNS1_11target_archE910ELNS1_3gpuE8ELNS1_3repE0EEENS1_30default_config_static_selectorELNS0_4arch9wavefront6targetE0EEEvS12_
    .private_segment_fixed_size: 0
    .sgpr_count:     0
    .sgpr_spill_count: 0
    .symbol:         _ZN7rocprim17ROCPRIM_400000_NS6detail17trampoline_kernelINS0_13select_configILj256ELj13ELNS0_17block_load_methodE3ELS4_3ELS4_3ELNS0_20block_scan_algorithmE0ELj4294967295EEENS1_25partition_config_selectorILNS1_17partition_subalgoE4EjNS0_10empty_typeEbEEZZNS1_14partition_implILS8_4ELb0ES6_15HIP_vector_typeIjLj2EENS0_17counting_iteratorIjlEEPS9_SG_NS0_5tupleIJPjSI_NS0_16reverse_iteratorISI_EEEEENSH_IJSG_SG_SG_EEES9_SI_JZNS1_25segmented_radix_sort_implINS0_14default_configELb1EPKbPbPKlPlN2at6native12_GLOBAL__N_18offset_tEEE10hipError_tPvRmT1_PNSt15iterator_traitsIS12_E10value_typeET2_T3_PNS13_IS18_E10value_typeET4_jRbjT5_S1E_jjP12ihipStream_tbEUljE_ZNSN_ISO_Lb1ESQ_SR_ST_SU_SY_EESZ_S10_S11_S12_S16_S17_S18_S1B_S1C_jS1D_jS1E_S1E_jjS1G_bEUljE0_EEESZ_S10_S11_S18_S1C_S1E_T6_T7_T9_mT8_S1G_bDpT10_ENKUlT_T0_E_clISt17integral_constantIbLb0EES1T_IbLb1EEEEDaS1P_S1Q_EUlS1P_E_NS1_11comp_targetILNS1_3genE4ELNS1_11target_archE910ELNS1_3gpuE8ELNS1_3repE0EEENS1_30default_config_static_selectorELNS0_4arch9wavefront6targetE0EEEvS12_.kd
    .uniform_work_group_size: 1
    .uses_dynamic_stack: false
    .vgpr_count:     0
    .vgpr_spill_count: 0
    .wavefront_size: 32
  - .args:
      - .offset:         0
        .size:           184
        .value_kind:     by_value
    .group_segment_fixed_size: 0
    .kernarg_segment_align: 8
    .kernarg_segment_size: 184
    .language:       OpenCL C
    .language_version:
      - 2
      - 0
    .max_flat_workgroup_size: 256
    .name:           _ZN7rocprim17ROCPRIM_400000_NS6detail17trampoline_kernelINS0_13select_configILj256ELj13ELNS0_17block_load_methodE3ELS4_3ELS4_3ELNS0_20block_scan_algorithmE0ELj4294967295EEENS1_25partition_config_selectorILNS1_17partition_subalgoE4EjNS0_10empty_typeEbEEZZNS1_14partition_implILS8_4ELb0ES6_15HIP_vector_typeIjLj2EENS0_17counting_iteratorIjlEEPS9_SG_NS0_5tupleIJPjSI_NS0_16reverse_iteratorISI_EEEEENSH_IJSG_SG_SG_EEES9_SI_JZNS1_25segmented_radix_sort_implINS0_14default_configELb1EPKbPbPKlPlN2at6native12_GLOBAL__N_18offset_tEEE10hipError_tPvRmT1_PNSt15iterator_traitsIS12_E10value_typeET2_T3_PNS13_IS18_E10value_typeET4_jRbjT5_S1E_jjP12ihipStream_tbEUljE_ZNSN_ISO_Lb1ESQ_SR_ST_SU_SY_EESZ_S10_S11_S12_S16_S17_S18_S1B_S1C_jS1D_jS1E_S1E_jjS1G_bEUljE0_EEESZ_S10_S11_S18_S1C_S1E_T6_T7_T9_mT8_S1G_bDpT10_ENKUlT_T0_E_clISt17integral_constantIbLb0EES1T_IbLb1EEEEDaS1P_S1Q_EUlS1P_E_NS1_11comp_targetILNS1_3genE3ELNS1_11target_archE908ELNS1_3gpuE7ELNS1_3repE0EEENS1_30default_config_static_selectorELNS0_4arch9wavefront6targetE0EEEvS12_
    .private_segment_fixed_size: 0
    .sgpr_count:     0
    .sgpr_spill_count: 0
    .symbol:         _ZN7rocprim17ROCPRIM_400000_NS6detail17trampoline_kernelINS0_13select_configILj256ELj13ELNS0_17block_load_methodE3ELS4_3ELS4_3ELNS0_20block_scan_algorithmE0ELj4294967295EEENS1_25partition_config_selectorILNS1_17partition_subalgoE4EjNS0_10empty_typeEbEEZZNS1_14partition_implILS8_4ELb0ES6_15HIP_vector_typeIjLj2EENS0_17counting_iteratorIjlEEPS9_SG_NS0_5tupleIJPjSI_NS0_16reverse_iteratorISI_EEEEENSH_IJSG_SG_SG_EEES9_SI_JZNS1_25segmented_radix_sort_implINS0_14default_configELb1EPKbPbPKlPlN2at6native12_GLOBAL__N_18offset_tEEE10hipError_tPvRmT1_PNSt15iterator_traitsIS12_E10value_typeET2_T3_PNS13_IS18_E10value_typeET4_jRbjT5_S1E_jjP12ihipStream_tbEUljE_ZNSN_ISO_Lb1ESQ_SR_ST_SU_SY_EESZ_S10_S11_S12_S16_S17_S18_S1B_S1C_jS1D_jS1E_S1E_jjS1G_bEUljE0_EEESZ_S10_S11_S18_S1C_S1E_T6_T7_T9_mT8_S1G_bDpT10_ENKUlT_T0_E_clISt17integral_constantIbLb0EES1T_IbLb1EEEEDaS1P_S1Q_EUlS1P_E_NS1_11comp_targetILNS1_3genE3ELNS1_11target_archE908ELNS1_3gpuE7ELNS1_3repE0EEENS1_30default_config_static_selectorELNS0_4arch9wavefront6targetE0EEEvS12_.kd
    .uniform_work_group_size: 1
    .uses_dynamic_stack: false
    .vgpr_count:     0
    .vgpr_spill_count: 0
    .wavefront_size: 32
  - .args:
      - .offset:         0
        .size:           184
        .value_kind:     by_value
    .group_segment_fixed_size: 0
    .kernarg_segment_align: 8
    .kernarg_segment_size: 184
    .language:       OpenCL C
    .language_version:
      - 2
      - 0
    .max_flat_workgroup_size: 256
    .name:           _ZN7rocprim17ROCPRIM_400000_NS6detail17trampoline_kernelINS0_13select_configILj256ELj13ELNS0_17block_load_methodE3ELS4_3ELS4_3ELNS0_20block_scan_algorithmE0ELj4294967295EEENS1_25partition_config_selectorILNS1_17partition_subalgoE4EjNS0_10empty_typeEbEEZZNS1_14partition_implILS8_4ELb0ES6_15HIP_vector_typeIjLj2EENS0_17counting_iteratorIjlEEPS9_SG_NS0_5tupleIJPjSI_NS0_16reverse_iteratorISI_EEEEENSH_IJSG_SG_SG_EEES9_SI_JZNS1_25segmented_radix_sort_implINS0_14default_configELb1EPKbPbPKlPlN2at6native12_GLOBAL__N_18offset_tEEE10hipError_tPvRmT1_PNSt15iterator_traitsIS12_E10value_typeET2_T3_PNS13_IS18_E10value_typeET4_jRbjT5_S1E_jjP12ihipStream_tbEUljE_ZNSN_ISO_Lb1ESQ_SR_ST_SU_SY_EESZ_S10_S11_S12_S16_S17_S18_S1B_S1C_jS1D_jS1E_S1E_jjS1G_bEUljE0_EEESZ_S10_S11_S18_S1C_S1E_T6_T7_T9_mT8_S1G_bDpT10_ENKUlT_T0_E_clISt17integral_constantIbLb0EES1T_IbLb1EEEEDaS1P_S1Q_EUlS1P_E_NS1_11comp_targetILNS1_3genE2ELNS1_11target_archE906ELNS1_3gpuE6ELNS1_3repE0EEENS1_30default_config_static_selectorELNS0_4arch9wavefront6targetE0EEEvS12_
    .private_segment_fixed_size: 0
    .sgpr_count:     0
    .sgpr_spill_count: 0
    .symbol:         _ZN7rocprim17ROCPRIM_400000_NS6detail17trampoline_kernelINS0_13select_configILj256ELj13ELNS0_17block_load_methodE3ELS4_3ELS4_3ELNS0_20block_scan_algorithmE0ELj4294967295EEENS1_25partition_config_selectorILNS1_17partition_subalgoE4EjNS0_10empty_typeEbEEZZNS1_14partition_implILS8_4ELb0ES6_15HIP_vector_typeIjLj2EENS0_17counting_iteratorIjlEEPS9_SG_NS0_5tupleIJPjSI_NS0_16reverse_iteratorISI_EEEEENSH_IJSG_SG_SG_EEES9_SI_JZNS1_25segmented_radix_sort_implINS0_14default_configELb1EPKbPbPKlPlN2at6native12_GLOBAL__N_18offset_tEEE10hipError_tPvRmT1_PNSt15iterator_traitsIS12_E10value_typeET2_T3_PNS13_IS18_E10value_typeET4_jRbjT5_S1E_jjP12ihipStream_tbEUljE_ZNSN_ISO_Lb1ESQ_SR_ST_SU_SY_EESZ_S10_S11_S12_S16_S17_S18_S1B_S1C_jS1D_jS1E_S1E_jjS1G_bEUljE0_EEESZ_S10_S11_S18_S1C_S1E_T6_T7_T9_mT8_S1G_bDpT10_ENKUlT_T0_E_clISt17integral_constantIbLb0EES1T_IbLb1EEEEDaS1P_S1Q_EUlS1P_E_NS1_11comp_targetILNS1_3genE2ELNS1_11target_archE906ELNS1_3gpuE6ELNS1_3repE0EEENS1_30default_config_static_selectorELNS0_4arch9wavefront6targetE0EEEvS12_.kd
    .uniform_work_group_size: 1
    .uses_dynamic_stack: false
    .vgpr_count:     0
    .vgpr_spill_count: 0
    .wavefront_size: 32
  - .args:
      - .offset:         0
        .size:           184
        .value_kind:     by_value
    .group_segment_fixed_size: 0
    .kernarg_segment_align: 8
    .kernarg_segment_size: 184
    .language:       OpenCL C
    .language_version:
      - 2
      - 0
    .max_flat_workgroup_size: 256
    .name:           _ZN7rocprim17ROCPRIM_400000_NS6detail17trampoline_kernelINS0_13select_configILj256ELj13ELNS0_17block_load_methodE3ELS4_3ELS4_3ELNS0_20block_scan_algorithmE0ELj4294967295EEENS1_25partition_config_selectorILNS1_17partition_subalgoE4EjNS0_10empty_typeEbEEZZNS1_14partition_implILS8_4ELb0ES6_15HIP_vector_typeIjLj2EENS0_17counting_iteratorIjlEEPS9_SG_NS0_5tupleIJPjSI_NS0_16reverse_iteratorISI_EEEEENSH_IJSG_SG_SG_EEES9_SI_JZNS1_25segmented_radix_sort_implINS0_14default_configELb1EPKbPbPKlPlN2at6native12_GLOBAL__N_18offset_tEEE10hipError_tPvRmT1_PNSt15iterator_traitsIS12_E10value_typeET2_T3_PNS13_IS18_E10value_typeET4_jRbjT5_S1E_jjP12ihipStream_tbEUljE_ZNSN_ISO_Lb1ESQ_SR_ST_SU_SY_EESZ_S10_S11_S12_S16_S17_S18_S1B_S1C_jS1D_jS1E_S1E_jjS1G_bEUljE0_EEESZ_S10_S11_S18_S1C_S1E_T6_T7_T9_mT8_S1G_bDpT10_ENKUlT_T0_E_clISt17integral_constantIbLb0EES1T_IbLb1EEEEDaS1P_S1Q_EUlS1P_E_NS1_11comp_targetILNS1_3genE10ELNS1_11target_archE1200ELNS1_3gpuE4ELNS1_3repE0EEENS1_30default_config_static_selectorELNS0_4arch9wavefront6targetE0EEEvS12_
    .private_segment_fixed_size: 0
    .sgpr_count:     0
    .sgpr_spill_count: 0
    .symbol:         _ZN7rocprim17ROCPRIM_400000_NS6detail17trampoline_kernelINS0_13select_configILj256ELj13ELNS0_17block_load_methodE3ELS4_3ELS4_3ELNS0_20block_scan_algorithmE0ELj4294967295EEENS1_25partition_config_selectorILNS1_17partition_subalgoE4EjNS0_10empty_typeEbEEZZNS1_14partition_implILS8_4ELb0ES6_15HIP_vector_typeIjLj2EENS0_17counting_iteratorIjlEEPS9_SG_NS0_5tupleIJPjSI_NS0_16reverse_iteratorISI_EEEEENSH_IJSG_SG_SG_EEES9_SI_JZNS1_25segmented_radix_sort_implINS0_14default_configELb1EPKbPbPKlPlN2at6native12_GLOBAL__N_18offset_tEEE10hipError_tPvRmT1_PNSt15iterator_traitsIS12_E10value_typeET2_T3_PNS13_IS18_E10value_typeET4_jRbjT5_S1E_jjP12ihipStream_tbEUljE_ZNSN_ISO_Lb1ESQ_SR_ST_SU_SY_EESZ_S10_S11_S12_S16_S17_S18_S1B_S1C_jS1D_jS1E_S1E_jjS1G_bEUljE0_EEESZ_S10_S11_S18_S1C_S1E_T6_T7_T9_mT8_S1G_bDpT10_ENKUlT_T0_E_clISt17integral_constantIbLb0EES1T_IbLb1EEEEDaS1P_S1Q_EUlS1P_E_NS1_11comp_targetILNS1_3genE10ELNS1_11target_archE1200ELNS1_3gpuE4ELNS1_3repE0EEENS1_30default_config_static_selectorELNS0_4arch9wavefront6targetE0EEEvS12_.kd
    .uniform_work_group_size: 1
    .uses_dynamic_stack: false
    .vgpr_count:     0
    .vgpr_spill_count: 0
    .wavefront_size: 32
  - .args:
      - .offset:         0
        .size:           184
        .value_kind:     by_value
    .group_segment_fixed_size: 0
    .kernarg_segment_align: 8
    .kernarg_segment_size: 184
    .language:       OpenCL C
    .language_version:
      - 2
      - 0
    .max_flat_workgroup_size: 256
    .name:           _ZN7rocprim17ROCPRIM_400000_NS6detail17trampoline_kernelINS0_13select_configILj256ELj13ELNS0_17block_load_methodE3ELS4_3ELS4_3ELNS0_20block_scan_algorithmE0ELj4294967295EEENS1_25partition_config_selectorILNS1_17partition_subalgoE4EjNS0_10empty_typeEbEEZZNS1_14partition_implILS8_4ELb0ES6_15HIP_vector_typeIjLj2EENS0_17counting_iteratorIjlEEPS9_SG_NS0_5tupleIJPjSI_NS0_16reverse_iteratorISI_EEEEENSH_IJSG_SG_SG_EEES9_SI_JZNS1_25segmented_radix_sort_implINS0_14default_configELb1EPKbPbPKlPlN2at6native12_GLOBAL__N_18offset_tEEE10hipError_tPvRmT1_PNSt15iterator_traitsIS12_E10value_typeET2_T3_PNS13_IS18_E10value_typeET4_jRbjT5_S1E_jjP12ihipStream_tbEUljE_ZNSN_ISO_Lb1ESQ_SR_ST_SU_SY_EESZ_S10_S11_S12_S16_S17_S18_S1B_S1C_jS1D_jS1E_S1E_jjS1G_bEUljE0_EEESZ_S10_S11_S18_S1C_S1E_T6_T7_T9_mT8_S1G_bDpT10_ENKUlT_T0_E_clISt17integral_constantIbLb0EES1T_IbLb1EEEEDaS1P_S1Q_EUlS1P_E_NS1_11comp_targetILNS1_3genE9ELNS1_11target_archE1100ELNS1_3gpuE3ELNS1_3repE0EEENS1_30default_config_static_selectorELNS0_4arch9wavefront6targetE0EEEvS12_
    .private_segment_fixed_size: 0
    .sgpr_count:     0
    .sgpr_spill_count: 0
    .symbol:         _ZN7rocprim17ROCPRIM_400000_NS6detail17trampoline_kernelINS0_13select_configILj256ELj13ELNS0_17block_load_methodE3ELS4_3ELS4_3ELNS0_20block_scan_algorithmE0ELj4294967295EEENS1_25partition_config_selectorILNS1_17partition_subalgoE4EjNS0_10empty_typeEbEEZZNS1_14partition_implILS8_4ELb0ES6_15HIP_vector_typeIjLj2EENS0_17counting_iteratorIjlEEPS9_SG_NS0_5tupleIJPjSI_NS0_16reverse_iteratorISI_EEEEENSH_IJSG_SG_SG_EEES9_SI_JZNS1_25segmented_radix_sort_implINS0_14default_configELb1EPKbPbPKlPlN2at6native12_GLOBAL__N_18offset_tEEE10hipError_tPvRmT1_PNSt15iterator_traitsIS12_E10value_typeET2_T3_PNS13_IS18_E10value_typeET4_jRbjT5_S1E_jjP12ihipStream_tbEUljE_ZNSN_ISO_Lb1ESQ_SR_ST_SU_SY_EESZ_S10_S11_S12_S16_S17_S18_S1B_S1C_jS1D_jS1E_S1E_jjS1G_bEUljE0_EEESZ_S10_S11_S18_S1C_S1E_T6_T7_T9_mT8_S1G_bDpT10_ENKUlT_T0_E_clISt17integral_constantIbLb0EES1T_IbLb1EEEEDaS1P_S1Q_EUlS1P_E_NS1_11comp_targetILNS1_3genE9ELNS1_11target_archE1100ELNS1_3gpuE3ELNS1_3repE0EEENS1_30default_config_static_selectorELNS0_4arch9wavefront6targetE0EEEvS12_.kd
    .uniform_work_group_size: 1
    .uses_dynamic_stack: false
    .vgpr_count:     0
    .vgpr_spill_count: 0
    .wavefront_size: 32
  - .args:
      - .offset:         0
        .size:           184
        .value_kind:     by_value
    .group_segment_fixed_size: 0
    .kernarg_segment_align: 8
    .kernarg_segment_size: 184
    .language:       OpenCL C
    .language_version:
      - 2
      - 0
    .max_flat_workgroup_size: 256
    .name:           _ZN7rocprim17ROCPRIM_400000_NS6detail17trampoline_kernelINS0_13select_configILj256ELj13ELNS0_17block_load_methodE3ELS4_3ELS4_3ELNS0_20block_scan_algorithmE0ELj4294967295EEENS1_25partition_config_selectorILNS1_17partition_subalgoE4EjNS0_10empty_typeEbEEZZNS1_14partition_implILS8_4ELb0ES6_15HIP_vector_typeIjLj2EENS0_17counting_iteratorIjlEEPS9_SG_NS0_5tupleIJPjSI_NS0_16reverse_iteratorISI_EEEEENSH_IJSG_SG_SG_EEES9_SI_JZNS1_25segmented_radix_sort_implINS0_14default_configELb1EPKbPbPKlPlN2at6native12_GLOBAL__N_18offset_tEEE10hipError_tPvRmT1_PNSt15iterator_traitsIS12_E10value_typeET2_T3_PNS13_IS18_E10value_typeET4_jRbjT5_S1E_jjP12ihipStream_tbEUljE_ZNSN_ISO_Lb1ESQ_SR_ST_SU_SY_EESZ_S10_S11_S12_S16_S17_S18_S1B_S1C_jS1D_jS1E_S1E_jjS1G_bEUljE0_EEESZ_S10_S11_S18_S1C_S1E_T6_T7_T9_mT8_S1G_bDpT10_ENKUlT_T0_E_clISt17integral_constantIbLb0EES1T_IbLb1EEEEDaS1P_S1Q_EUlS1P_E_NS1_11comp_targetILNS1_3genE8ELNS1_11target_archE1030ELNS1_3gpuE2ELNS1_3repE0EEENS1_30default_config_static_selectorELNS0_4arch9wavefront6targetE0EEEvS12_
    .private_segment_fixed_size: 0
    .sgpr_count:     0
    .sgpr_spill_count: 0
    .symbol:         _ZN7rocprim17ROCPRIM_400000_NS6detail17trampoline_kernelINS0_13select_configILj256ELj13ELNS0_17block_load_methodE3ELS4_3ELS4_3ELNS0_20block_scan_algorithmE0ELj4294967295EEENS1_25partition_config_selectorILNS1_17partition_subalgoE4EjNS0_10empty_typeEbEEZZNS1_14partition_implILS8_4ELb0ES6_15HIP_vector_typeIjLj2EENS0_17counting_iteratorIjlEEPS9_SG_NS0_5tupleIJPjSI_NS0_16reverse_iteratorISI_EEEEENSH_IJSG_SG_SG_EEES9_SI_JZNS1_25segmented_radix_sort_implINS0_14default_configELb1EPKbPbPKlPlN2at6native12_GLOBAL__N_18offset_tEEE10hipError_tPvRmT1_PNSt15iterator_traitsIS12_E10value_typeET2_T3_PNS13_IS18_E10value_typeET4_jRbjT5_S1E_jjP12ihipStream_tbEUljE_ZNSN_ISO_Lb1ESQ_SR_ST_SU_SY_EESZ_S10_S11_S12_S16_S17_S18_S1B_S1C_jS1D_jS1E_S1E_jjS1G_bEUljE0_EEESZ_S10_S11_S18_S1C_S1E_T6_T7_T9_mT8_S1G_bDpT10_ENKUlT_T0_E_clISt17integral_constantIbLb0EES1T_IbLb1EEEEDaS1P_S1Q_EUlS1P_E_NS1_11comp_targetILNS1_3genE8ELNS1_11target_archE1030ELNS1_3gpuE2ELNS1_3repE0EEENS1_30default_config_static_selectorELNS0_4arch9wavefront6targetE0EEEvS12_.kd
    .uniform_work_group_size: 1
    .uses_dynamic_stack: false
    .vgpr_count:     0
    .vgpr_spill_count: 0
    .wavefront_size: 32
  - .args:
      - .offset:         0
        .size:           144
        .value_kind:     by_value
    .group_segment_fixed_size: 13320
    .kernarg_segment_align: 8
    .kernarg_segment_size: 144
    .language:       OpenCL C
    .language_version:
      - 2
      - 0
    .max_flat_workgroup_size: 256
    .name:           _ZN7rocprim17ROCPRIM_400000_NS6detail17trampoline_kernelINS0_13select_configILj256ELj13ELNS0_17block_load_methodE3ELS4_3ELS4_3ELNS0_20block_scan_algorithmE0ELj4294967295EEENS1_25partition_config_selectorILNS1_17partition_subalgoE3EjNS0_10empty_typeEbEEZZNS1_14partition_implILS8_3ELb0ES6_jNS0_17counting_iteratorIjlEEPS9_SE_NS0_5tupleIJPjSE_EEENSF_IJSE_SE_EEES9_SG_JZNS1_25segmented_radix_sort_implINS0_14default_configELb1EPKbPbPKlPlN2at6native12_GLOBAL__N_18offset_tEEE10hipError_tPvRmT1_PNSt15iterator_traitsISY_E10value_typeET2_T3_PNSZ_IS14_E10value_typeET4_jRbjT5_S1A_jjP12ihipStream_tbEUljE_EEESV_SW_SX_S14_S18_S1A_T6_T7_T9_mT8_S1C_bDpT10_ENKUlT_T0_E_clISt17integral_constantIbLb0EES1P_EEDaS1K_S1L_EUlS1K_E_NS1_11comp_targetILNS1_3genE0ELNS1_11target_archE4294967295ELNS1_3gpuE0ELNS1_3repE0EEENS1_30default_config_static_selectorELNS0_4arch9wavefront6targetE0EEEvSY_
    .private_segment_fixed_size: 0
    .sgpr_count:     28
    .sgpr_spill_count: 0
    .symbol:         _ZN7rocprim17ROCPRIM_400000_NS6detail17trampoline_kernelINS0_13select_configILj256ELj13ELNS0_17block_load_methodE3ELS4_3ELS4_3ELNS0_20block_scan_algorithmE0ELj4294967295EEENS1_25partition_config_selectorILNS1_17partition_subalgoE3EjNS0_10empty_typeEbEEZZNS1_14partition_implILS8_3ELb0ES6_jNS0_17counting_iteratorIjlEEPS9_SE_NS0_5tupleIJPjSE_EEENSF_IJSE_SE_EEES9_SG_JZNS1_25segmented_radix_sort_implINS0_14default_configELb1EPKbPbPKlPlN2at6native12_GLOBAL__N_18offset_tEEE10hipError_tPvRmT1_PNSt15iterator_traitsISY_E10value_typeET2_T3_PNSZ_IS14_E10value_typeET4_jRbjT5_S1A_jjP12ihipStream_tbEUljE_EEESV_SW_SX_S14_S18_S1A_T6_T7_T9_mT8_S1C_bDpT10_ENKUlT_T0_E_clISt17integral_constantIbLb0EES1P_EEDaS1K_S1L_EUlS1K_E_NS1_11comp_targetILNS1_3genE0ELNS1_11target_archE4294967295ELNS1_3gpuE0ELNS1_3repE0EEENS1_30default_config_static_selectorELNS0_4arch9wavefront6targetE0EEEvSY_.kd
    .uniform_work_group_size: 1
    .uses_dynamic_stack: false
    .vgpr_count:     69
    .vgpr_spill_count: 0
    .wavefront_size: 32
  - .args:
      - .offset:         0
        .size:           144
        .value_kind:     by_value
    .group_segment_fixed_size: 0
    .kernarg_segment_align: 8
    .kernarg_segment_size: 144
    .language:       OpenCL C
    .language_version:
      - 2
      - 0
    .max_flat_workgroup_size: 256
    .name:           _ZN7rocprim17ROCPRIM_400000_NS6detail17trampoline_kernelINS0_13select_configILj256ELj13ELNS0_17block_load_methodE3ELS4_3ELS4_3ELNS0_20block_scan_algorithmE0ELj4294967295EEENS1_25partition_config_selectorILNS1_17partition_subalgoE3EjNS0_10empty_typeEbEEZZNS1_14partition_implILS8_3ELb0ES6_jNS0_17counting_iteratorIjlEEPS9_SE_NS0_5tupleIJPjSE_EEENSF_IJSE_SE_EEES9_SG_JZNS1_25segmented_radix_sort_implINS0_14default_configELb1EPKbPbPKlPlN2at6native12_GLOBAL__N_18offset_tEEE10hipError_tPvRmT1_PNSt15iterator_traitsISY_E10value_typeET2_T3_PNSZ_IS14_E10value_typeET4_jRbjT5_S1A_jjP12ihipStream_tbEUljE_EEESV_SW_SX_S14_S18_S1A_T6_T7_T9_mT8_S1C_bDpT10_ENKUlT_T0_E_clISt17integral_constantIbLb0EES1P_EEDaS1K_S1L_EUlS1K_E_NS1_11comp_targetILNS1_3genE5ELNS1_11target_archE942ELNS1_3gpuE9ELNS1_3repE0EEENS1_30default_config_static_selectorELNS0_4arch9wavefront6targetE0EEEvSY_
    .private_segment_fixed_size: 0
    .sgpr_count:     0
    .sgpr_spill_count: 0
    .symbol:         _ZN7rocprim17ROCPRIM_400000_NS6detail17trampoline_kernelINS0_13select_configILj256ELj13ELNS0_17block_load_methodE3ELS4_3ELS4_3ELNS0_20block_scan_algorithmE0ELj4294967295EEENS1_25partition_config_selectorILNS1_17partition_subalgoE3EjNS0_10empty_typeEbEEZZNS1_14partition_implILS8_3ELb0ES6_jNS0_17counting_iteratorIjlEEPS9_SE_NS0_5tupleIJPjSE_EEENSF_IJSE_SE_EEES9_SG_JZNS1_25segmented_radix_sort_implINS0_14default_configELb1EPKbPbPKlPlN2at6native12_GLOBAL__N_18offset_tEEE10hipError_tPvRmT1_PNSt15iterator_traitsISY_E10value_typeET2_T3_PNSZ_IS14_E10value_typeET4_jRbjT5_S1A_jjP12ihipStream_tbEUljE_EEESV_SW_SX_S14_S18_S1A_T6_T7_T9_mT8_S1C_bDpT10_ENKUlT_T0_E_clISt17integral_constantIbLb0EES1P_EEDaS1K_S1L_EUlS1K_E_NS1_11comp_targetILNS1_3genE5ELNS1_11target_archE942ELNS1_3gpuE9ELNS1_3repE0EEENS1_30default_config_static_selectorELNS0_4arch9wavefront6targetE0EEEvSY_.kd
    .uniform_work_group_size: 1
    .uses_dynamic_stack: false
    .vgpr_count:     0
    .vgpr_spill_count: 0
    .wavefront_size: 32
  - .args:
      - .offset:         0
        .size:           144
        .value_kind:     by_value
    .group_segment_fixed_size: 0
    .kernarg_segment_align: 8
    .kernarg_segment_size: 144
    .language:       OpenCL C
    .language_version:
      - 2
      - 0
    .max_flat_workgroup_size: 256
    .name:           _ZN7rocprim17ROCPRIM_400000_NS6detail17trampoline_kernelINS0_13select_configILj256ELj13ELNS0_17block_load_methodE3ELS4_3ELS4_3ELNS0_20block_scan_algorithmE0ELj4294967295EEENS1_25partition_config_selectorILNS1_17partition_subalgoE3EjNS0_10empty_typeEbEEZZNS1_14partition_implILS8_3ELb0ES6_jNS0_17counting_iteratorIjlEEPS9_SE_NS0_5tupleIJPjSE_EEENSF_IJSE_SE_EEES9_SG_JZNS1_25segmented_radix_sort_implINS0_14default_configELb1EPKbPbPKlPlN2at6native12_GLOBAL__N_18offset_tEEE10hipError_tPvRmT1_PNSt15iterator_traitsISY_E10value_typeET2_T3_PNSZ_IS14_E10value_typeET4_jRbjT5_S1A_jjP12ihipStream_tbEUljE_EEESV_SW_SX_S14_S18_S1A_T6_T7_T9_mT8_S1C_bDpT10_ENKUlT_T0_E_clISt17integral_constantIbLb0EES1P_EEDaS1K_S1L_EUlS1K_E_NS1_11comp_targetILNS1_3genE4ELNS1_11target_archE910ELNS1_3gpuE8ELNS1_3repE0EEENS1_30default_config_static_selectorELNS0_4arch9wavefront6targetE0EEEvSY_
    .private_segment_fixed_size: 0
    .sgpr_count:     0
    .sgpr_spill_count: 0
    .symbol:         _ZN7rocprim17ROCPRIM_400000_NS6detail17trampoline_kernelINS0_13select_configILj256ELj13ELNS0_17block_load_methodE3ELS4_3ELS4_3ELNS0_20block_scan_algorithmE0ELj4294967295EEENS1_25partition_config_selectorILNS1_17partition_subalgoE3EjNS0_10empty_typeEbEEZZNS1_14partition_implILS8_3ELb0ES6_jNS0_17counting_iteratorIjlEEPS9_SE_NS0_5tupleIJPjSE_EEENSF_IJSE_SE_EEES9_SG_JZNS1_25segmented_radix_sort_implINS0_14default_configELb1EPKbPbPKlPlN2at6native12_GLOBAL__N_18offset_tEEE10hipError_tPvRmT1_PNSt15iterator_traitsISY_E10value_typeET2_T3_PNSZ_IS14_E10value_typeET4_jRbjT5_S1A_jjP12ihipStream_tbEUljE_EEESV_SW_SX_S14_S18_S1A_T6_T7_T9_mT8_S1C_bDpT10_ENKUlT_T0_E_clISt17integral_constantIbLb0EES1P_EEDaS1K_S1L_EUlS1K_E_NS1_11comp_targetILNS1_3genE4ELNS1_11target_archE910ELNS1_3gpuE8ELNS1_3repE0EEENS1_30default_config_static_selectorELNS0_4arch9wavefront6targetE0EEEvSY_.kd
    .uniform_work_group_size: 1
    .uses_dynamic_stack: false
    .vgpr_count:     0
    .vgpr_spill_count: 0
    .wavefront_size: 32
  - .args:
      - .offset:         0
        .size:           144
        .value_kind:     by_value
    .group_segment_fixed_size: 0
    .kernarg_segment_align: 8
    .kernarg_segment_size: 144
    .language:       OpenCL C
    .language_version:
      - 2
      - 0
    .max_flat_workgroup_size: 256
    .name:           _ZN7rocprim17ROCPRIM_400000_NS6detail17trampoline_kernelINS0_13select_configILj256ELj13ELNS0_17block_load_methodE3ELS4_3ELS4_3ELNS0_20block_scan_algorithmE0ELj4294967295EEENS1_25partition_config_selectorILNS1_17partition_subalgoE3EjNS0_10empty_typeEbEEZZNS1_14partition_implILS8_3ELb0ES6_jNS0_17counting_iteratorIjlEEPS9_SE_NS0_5tupleIJPjSE_EEENSF_IJSE_SE_EEES9_SG_JZNS1_25segmented_radix_sort_implINS0_14default_configELb1EPKbPbPKlPlN2at6native12_GLOBAL__N_18offset_tEEE10hipError_tPvRmT1_PNSt15iterator_traitsISY_E10value_typeET2_T3_PNSZ_IS14_E10value_typeET4_jRbjT5_S1A_jjP12ihipStream_tbEUljE_EEESV_SW_SX_S14_S18_S1A_T6_T7_T9_mT8_S1C_bDpT10_ENKUlT_T0_E_clISt17integral_constantIbLb0EES1P_EEDaS1K_S1L_EUlS1K_E_NS1_11comp_targetILNS1_3genE3ELNS1_11target_archE908ELNS1_3gpuE7ELNS1_3repE0EEENS1_30default_config_static_selectorELNS0_4arch9wavefront6targetE0EEEvSY_
    .private_segment_fixed_size: 0
    .sgpr_count:     0
    .sgpr_spill_count: 0
    .symbol:         _ZN7rocprim17ROCPRIM_400000_NS6detail17trampoline_kernelINS0_13select_configILj256ELj13ELNS0_17block_load_methodE3ELS4_3ELS4_3ELNS0_20block_scan_algorithmE0ELj4294967295EEENS1_25partition_config_selectorILNS1_17partition_subalgoE3EjNS0_10empty_typeEbEEZZNS1_14partition_implILS8_3ELb0ES6_jNS0_17counting_iteratorIjlEEPS9_SE_NS0_5tupleIJPjSE_EEENSF_IJSE_SE_EEES9_SG_JZNS1_25segmented_radix_sort_implINS0_14default_configELb1EPKbPbPKlPlN2at6native12_GLOBAL__N_18offset_tEEE10hipError_tPvRmT1_PNSt15iterator_traitsISY_E10value_typeET2_T3_PNSZ_IS14_E10value_typeET4_jRbjT5_S1A_jjP12ihipStream_tbEUljE_EEESV_SW_SX_S14_S18_S1A_T6_T7_T9_mT8_S1C_bDpT10_ENKUlT_T0_E_clISt17integral_constantIbLb0EES1P_EEDaS1K_S1L_EUlS1K_E_NS1_11comp_targetILNS1_3genE3ELNS1_11target_archE908ELNS1_3gpuE7ELNS1_3repE0EEENS1_30default_config_static_selectorELNS0_4arch9wavefront6targetE0EEEvSY_.kd
    .uniform_work_group_size: 1
    .uses_dynamic_stack: false
    .vgpr_count:     0
    .vgpr_spill_count: 0
    .wavefront_size: 32
  - .args:
      - .offset:         0
        .size:           144
        .value_kind:     by_value
    .group_segment_fixed_size: 0
    .kernarg_segment_align: 8
    .kernarg_segment_size: 144
    .language:       OpenCL C
    .language_version:
      - 2
      - 0
    .max_flat_workgroup_size: 256
    .name:           _ZN7rocprim17ROCPRIM_400000_NS6detail17trampoline_kernelINS0_13select_configILj256ELj13ELNS0_17block_load_methodE3ELS4_3ELS4_3ELNS0_20block_scan_algorithmE0ELj4294967295EEENS1_25partition_config_selectorILNS1_17partition_subalgoE3EjNS0_10empty_typeEbEEZZNS1_14partition_implILS8_3ELb0ES6_jNS0_17counting_iteratorIjlEEPS9_SE_NS0_5tupleIJPjSE_EEENSF_IJSE_SE_EEES9_SG_JZNS1_25segmented_radix_sort_implINS0_14default_configELb1EPKbPbPKlPlN2at6native12_GLOBAL__N_18offset_tEEE10hipError_tPvRmT1_PNSt15iterator_traitsISY_E10value_typeET2_T3_PNSZ_IS14_E10value_typeET4_jRbjT5_S1A_jjP12ihipStream_tbEUljE_EEESV_SW_SX_S14_S18_S1A_T6_T7_T9_mT8_S1C_bDpT10_ENKUlT_T0_E_clISt17integral_constantIbLb0EES1P_EEDaS1K_S1L_EUlS1K_E_NS1_11comp_targetILNS1_3genE2ELNS1_11target_archE906ELNS1_3gpuE6ELNS1_3repE0EEENS1_30default_config_static_selectorELNS0_4arch9wavefront6targetE0EEEvSY_
    .private_segment_fixed_size: 0
    .sgpr_count:     0
    .sgpr_spill_count: 0
    .symbol:         _ZN7rocprim17ROCPRIM_400000_NS6detail17trampoline_kernelINS0_13select_configILj256ELj13ELNS0_17block_load_methodE3ELS4_3ELS4_3ELNS0_20block_scan_algorithmE0ELj4294967295EEENS1_25partition_config_selectorILNS1_17partition_subalgoE3EjNS0_10empty_typeEbEEZZNS1_14partition_implILS8_3ELb0ES6_jNS0_17counting_iteratorIjlEEPS9_SE_NS0_5tupleIJPjSE_EEENSF_IJSE_SE_EEES9_SG_JZNS1_25segmented_radix_sort_implINS0_14default_configELb1EPKbPbPKlPlN2at6native12_GLOBAL__N_18offset_tEEE10hipError_tPvRmT1_PNSt15iterator_traitsISY_E10value_typeET2_T3_PNSZ_IS14_E10value_typeET4_jRbjT5_S1A_jjP12ihipStream_tbEUljE_EEESV_SW_SX_S14_S18_S1A_T6_T7_T9_mT8_S1C_bDpT10_ENKUlT_T0_E_clISt17integral_constantIbLb0EES1P_EEDaS1K_S1L_EUlS1K_E_NS1_11comp_targetILNS1_3genE2ELNS1_11target_archE906ELNS1_3gpuE6ELNS1_3repE0EEENS1_30default_config_static_selectorELNS0_4arch9wavefront6targetE0EEEvSY_.kd
    .uniform_work_group_size: 1
    .uses_dynamic_stack: false
    .vgpr_count:     0
    .vgpr_spill_count: 0
    .wavefront_size: 32
  - .args:
      - .offset:         0
        .size:           144
        .value_kind:     by_value
    .group_segment_fixed_size: 0
    .kernarg_segment_align: 8
    .kernarg_segment_size: 144
    .language:       OpenCL C
    .language_version:
      - 2
      - 0
    .max_flat_workgroup_size: 256
    .name:           _ZN7rocprim17ROCPRIM_400000_NS6detail17trampoline_kernelINS0_13select_configILj256ELj13ELNS0_17block_load_methodE3ELS4_3ELS4_3ELNS0_20block_scan_algorithmE0ELj4294967295EEENS1_25partition_config_selectorILNS1_17partition_subalgoE3EjNS0_10empty_typeEbEEZZNS1_14partition_implILS8_3ELb0ES6_jNS0_17counting_iteratorIjlEEPS9_SE_NS0_5tupleIJPjSE_EEENSF_IJSE_SE_EEES9_SG_JZNS1_25segmented_radix_sort_implINS0_14default_configELb1EPKbPbPKlPlN2at6native12_GLOBAL__N_18offset_tEEE10hipError_tPvRmT1_PNSt15iterator_traitsISY_E10value_typeET2_T3_PNSZ_IS14_E10value_typeET4_jRbjT5_S1A_jjP12ihipStream_tbEUljE_EEESV_SW_SX_S14_S18_S1A_T6_T7_T9_mT8_S1C_bDpT10_ENKUlT_T0_E_clISt17integral_constantIbLb0EES1P_EEDaS1K_S1L_EUlS1K_E_NS1_11comp_targetILNS1_3genE10ELNS1_11target_archE1200ELNS1_3gpuE4ELNS1_3repE0EEENS1_30default_config_static_selectorELNS0_4arch9wavefront6targetE0EEEvSY_
    .private_segment_fixed_size: 0
    .sgpr_count:     0
    .sgpr_spill_count: 0
    .symbol:         _ZN7rocprim17ROCPRIM_400000_NS6detail17trampoline_kernelINS0_13select_configILj256ELj13ELNS0_17block_load_methodE3ELS4_3ELS4_3ELNS0_20block_scan_algorithmE0ELj4294967295EEENS1_25partition_config_selectorILNS1_17partition_subalgoE3EjNS0_10empty_typeEbEEZZNS1_14partition_implILS8_3ELb0ES6_jNS0_17counting_iteratorIjlEEPS9_SE_NS0_5tupleIJPjSE_EEENSF_IJSE_SE_EEES9_SG_JZNS1_25segmented_radix_sort_implINS0_14default_configELb1EPKbPbPKlPlN2at6native12_GLOBAL__N_18offset_tEEE10hipError_tPvRmT1_PNSt15iterator_traitsISY_E10value_typeET2_T3_PNSZ_IS14_E10value_typeET4_jRbjT5_S1A_jjP12ihipStream_tbEUljE_EEESV_SW_SX_S14_S18_S1A_T6_T7_T9_mT8_S1C_bDpT10_ENKUlT_T0_E_clISt17integral_constantIbLb0EES1P_EEDaS1K_S1L_EUlS1K_E_NS1_11comp_targetILNS1_3genE10ELNS1_11target_archE1200ELNS1_3gpuE4ELNS1_3repE0EEENS1_30default_config_static_selectorELNS0_4arch9wavefront6targetE0EEEvSY_.kd
    .uniform_work_group_size: 1
    .uses_dynamic_stack: false
    .vgpr_count:     0
    .vgpr_spill_count: 0
    .wavefront_size: 32
  - .args:
      - .offset:         0
        .size:           144
        .value_kind:     by_value
    .group_segment_fixed_size: 0
    .kernarg_segment_align: 8
    .kernarg_segment_size: 144
    .language:       OpenCL C
    .language_version:
      - 2
      - 0
    .max_flat_workgroup_size: 256
    .name:           _ZN7rocprim17ROCPRIM_400000_NS6detail17trampoline_kernelINS0_13select_configILj256ELj13ELNS0_17block_load_methodE3ELS4_3ELS4_3ELNS0_20block_scan_algorithmE0ELj4294967295EEENS1_25partition_config_selectorILNS1_17partition_subalgoE3EjNS0_10empty_typeEbEEZZNS1_14partition_implILS8_3ELb0ES6_jNS0_17counting_iteratorIjlEEPS9_SE_NS0_5tupleIJPjSE_EEENSF_IJSE_SE_EEES9_SG_JZNS1_25segmented_radix_sort_implINS0_14default_configELb1EPKbPbPKlPlN2at6native12_GLOBAL__N_18offset_tEEE10hipError_tPvRmT1_PNSt15iterator_traitsISY_E10value_typeET2_T3_PNSZ_IS14_E10value_typeET4_jRbjT5_S1A_jjP12ihipStream_tbEUljE_EEESV_SW_SX_S14_S18_S1A_T6_T7_T9_mT8_S1C_bDpT10_ENKUlT_T0_E_clISt17integral_constantIbLb0EES1P_EEDaS1K_S1L_EUlS1K_E_NS1_11comp_targetILNS1_3genE9ELNS1_11target_archE1100ELNS1_3gpuE3ELNS1_3repE0EEENS1_30default_config_static_selectorELNS0_4arch9wavefront6targetE0EEEvSY_
    .private_segment_fixed_size: 0
    .sgpr_count:     0
    .sgpr_spill_count: 0
    .symbol:         _ZN7rocprim17ROCPRIM_400000_NS6detail17trampoline_kernelINS0_13select_configILj256ELj13ELNS0_17block_load_methodE3ELS4_3ELS4_3ELNS0_20block_scan_algorithmE0ELj4294967295EEENS1_25partition_config_selectorILNS1_17partition_subalgoE3EjNS0_10empty_typeEbEEZZNS1_14partition_implILS8_3ELb0ES6_jNS0_17counting_iteratorIjlEEPS9_SE_NS0_5tupleIJPjSE_EEENSF_IJSE_SE_EEES9_SG_JZNS1_25segmented_radix_sort_implINS0_14default_configELb1EPKbPbPKlPlN2at6native12_GLOBAL__N_18offset_tEEE10hipError_tPvRmT1_PNSt15iterator_traitsISY_E10value_typeET2_T3_PNSZ_IS14_E10value_typeET4_jRbjT5_S1A_jjP12ihipStream_tbEUljE_EEESV_SW_SX_S14_S18_S1A_T6_T7_T9_mT8_S1C_bDpT10_ENKUlT_T0_E_clISt17integral_constantIbLb0EES1P_EEDaS1K_S1L_EUlS1K_E_NS1_11comp_targetILNS1_3genE9ELNS1_11target_archE1100ELNS1_3gpuE3ELNS1_3repE0EEENS1_30default_config_static_selectorELNS0_4arch9wavefront6targetE0EEEvSY_.kd
    .uniform_work_group_size: 1
    .uses_dynamic_stack: false
    .vgpr_count:     0
    .vgpr_spill_count: 0
    .wavefront_size: 32
  - .args:
      - .offset:         0
        .size:           144
        .value_kind:     by_value
    .group_segment_fixed_size: 0
    .kernarg_segment_align: 8
    .kernarg_segment_size: 144
    .language:       OpenCL C
    .language_version:
      - 2
      - 0
    .max_flat_workgroup_size: 256
    .name:           _ZN7rocprim17ROCPRIM_400000_NS6detail17trampoline_kernelINS0_13select_configILj256ELj13ELNS0_17block_load_methodE3ELS4_3ELS4_3ELNS0_20block_scan_algorithmE0ELj4294967295EEENS1_25partition_config_selectorILNS1_17partition_subalgoE3EjNS0_10empty_typeEbEEZZNS1_14partition_implILS8_3ELb0ES6_jNS0_17counting_iteratorIjlEEPS9_SE_NS0_5tupleIJPjSE_EEENSF_IJSE_SE_EEES9_SG_JZNS1_25segmented_radix_sort_implINS0_14default_configELb1EPKbPbPKlPlN2at6native12_GLOBAL__N_18offset_tEEE10hipError_tPvRmT1_PNSt15iterator_traitsISY_E10value_typeET2_T3_PNSZ_IS14_E10value_typeET4_jRbjT5_S1A_jjP12ihipStream_tbEUljE_EEESV_SW_SX_S14_S18_S1A_T6_T7_T9_mT8_S1C_bDpT10_ENKUlT_T0_E_clISt17integral_constantIbLb0EES1P_EEDaS1K_S1L_EUlS1K_E_NS1_11comp_targetILNS1_3genE8ELNS1_11target_archE1030ELNS1_3gpuE2ELNS1_3repE0EEENS1_30default_config_static_selectorELNS0_4arch9wavefront6targetE0EEEvSY_
    .private_segment_fixed_size: 0
    .sgpr_count:     0
    .sgpr_spill_count: 0
    .symbol:         _ZN7rocprim17ROCPRIM_400000_NS6detail17trampoline_kernelINS0_13select_configILj256ELj13ELNS0_17block_load_methodE3ELS4_3ELS4_3ELNS0_20block_scan_algorithmE0ELj4294967295EEENS1_25partition_config_selectorILNS1_17partition_subalgoE3EjNS0_10empty_typeEbEEZZNS1_14partition_implILS8_3ELb0ES6_jNS0_17counting_iteratorIjlEEPS9_SE_NS0_5tupleIJPjSE_EEENSF_IJSE_SE_EEES9_SG_JZNS1_25segmented_radix_sort_implINS0_14default_configELb1EPKbPbPKlPlN2at6native12_GLOBAL__N_18offset_tEEE10hipError_tPvRmT1_PNSt15iterator_traitsISY_E10value_typeET2_T3_PNSZ_IS14_E10value_typeET4_jRbjT5_S1A_jjP12ihipStream_tbEUljE_EEESV_SW_SX_S14_S18_S1A_T6_T7_T9_mT8_S1C_bDpT10_ENKUlT_T0_E_clISt17integral_constantIbLb0EES1P_EEDaS1K_S1L_EUlS1K_E_NS1_11comp_targetILNS1_3genE8ELNS1_11target_archE1030ELNS1_3gpuE2ELNS1_3repE0EEENS1_30default_config_static_selectorELNS0_4arch9wavefront6targetE0EEEvSY_.kd
    .uniform_work_group_size: 1
    .uses_dynamic_stack: false
    .vgpr_count:     0
    .vgpr_spill_count: 0
    .wavefront_size: 32
  - .args:
      - .offset:         0
        .size:           152
        .value_kind:     by_value
    .group_segment_fixed_size: 0
    .kernarg_segment_align: 8
    .kernarg_segment_size: 152
    .language:       OpenCL C
    .language_version:
      - 2
      - 0
    .max_flat_workgroup_size: 256
    .name:           _ZN7rocprim17ROCPRIM_400000_NS6detail17trampoline_kernelINS0_13select_configILj256ELj13ELNS0_17block_load_methodE3ELS4_3ELS4_3ELNS0_20block_scan_algorithmE0ELj4294967295EEENS1_25partition_config_selectorILNS1_17partition_subalgoE3EjNS0_10empty_typeEbEEZZNS1_14partition_implILS8_3ELb0ES6_jNS0_17counting_iteratorIjlEEPS9_SE_NS0_5tupleIJPjSE_EEENSF_IJSE_SE_EEES9_SG_JZNS1_25segmented_radix_sort_implINS0_14default_configELb1EPKbPbPKlPlN2at6native12_GLOBAL__N_18offset_tEEE10hipError_tPvRmT1_PNSt15iterator_traitsISY_E10value_typeET2_T3_PNSZ_IS14_E10value_typeET4_jRbjT5_S1A_jjP12ihipStream_tbEUljE_EEESV_SW_SX_S14_S18_S1A_T6_T7_T9_mT8_S1C_bDpT10_ENKUlT_T0_E_clISt17integral_constantIbLb1EES1P_EEDaS1K_S1L_EUlS1K_E_NS1_11comp_targetILNS1_3genE0ELNS1_11target_archE4294967295ELNS1_3gpuE0ELNS1_3repE0EEENS1_30default_config_static_selectorELNS0_4arch9wavefront6targetE0EEEvSY_
    .private_segment_fixed_size: 0
    .sgpr_count:     0
    .sgpr_spill_count: 0
    .symbol:         _ZN7rocprim17ROCPRIM_400000_NS6detail17trampoline_kernelINS0_13select_configILj256ELj13ELNS0_17block_load_methodE3ELS4_3ELS4_3ELNS0_20block_scan_algorithmE0ELj4294967295EEENS1_25partition_config_selectorILNS1_17partition_subalgoE3EjNS0_10empty_typeEbEEZZNS1_14partition_implILS8_3ELb0ES6_jNS0_17counting_iteratorIjlEEPS9_SE_NS0_5tupleIJPjSE_EEENSF_IJSE_SE_EEES9_SG_JZNS1_25segmented_radix_sort_implINS0_14default_configELb1EPKbPbPKlPlN2at6native12_GLOBAL__N_18offset_tEEE10hipError_tPvRmT1_PNSt15iterator_traitsISY_E10value_typeET2_T3_PNSZ_IS14_E10value_typeET4_jRbjT5_S1A_jjP12ihipStream_tbEUljE_EEESV_SW_SX_S14_S18_S1A_T6_T7_T9_mT8_S1C_bDpT10_ENKUlT_T0_E_clISt17integral_constantIbLb1EES1P_EEDaS1K_S1L_EUlS1K_E_NS1_11comp_targetILNS1_3genE0ELNS1_11target_archE4294967295ELNS1_3gpuE0ELNS1_3repE0EEENS1_30default_config_static_selectorELNS0_4arch9wavefront6targetE0EEEvSY_.kd
    .uniform_work_group_size: 1
    .uses_dynamic_stack: false
    .vgpr_count:     0
    .vgpr_spill_count: 0
    .wavefront_size: 32
  - .args:
      - .offset:         0
        .size:           152
        .value_kind:     by_value
    .group_segment_fixed_size: 0
    .kernarg_segment_align: 8
    .kernarg_segment_size: 152
    .language:       OpenCL C
    .language_version:
      - 2
      - 0
    .max_flat_workgroup_size: 256
    .name:           _ZN7rocprim17ROCPRIM_400000_NS6detail17trampoline_kernelINS0_13select_configILj256ELj13ELNS0_17block_load_methodE3ELS4_3ELS4_3ELNS0_20block_scan_algorithmE0ELj4294967295EEENS1_25partition_config_selectorILNS1_17partition_subalgoE3EjNS0_10empty_typeEbEEZZNS1_14partition_implILS8_3ELb0ES6_jNS0_17counting_iteratorIjlEEPS9_SE_NS0_5tupleIJPjSE_EEENSF_IJSE_SE_EEES9_SG_JZNS1_25segmented_radix_sort_implINS0_14default_configELb1EPKbPbPKlPlN2at6native12_GLOBAL__N_18offset_tEEE10hipError_tPvRmT1_PNSt15iterator_traitsISY_E10value_typeET2_T3_PNSZ_IS14_E10value_typeET4_jRbjT5_S1A_jjP12ihipStream_tbEUljE_EEESV_SW_SX_S14_S18_S1A_T6_T7_T9_mT8_S1C_bDpT10_ENKUlT_T0_E_clISt17integral_constantIbLb1EES1P_EEDaS1K_S1L_EUlS1K_E_NS1_11comp_targetILNS1_3genE5ELNS1_11target_archE942ELNS1_3gpuE9ELNS1_3repE0EEENS1_30default_config_static_selectorELNS0_4arch9wavefront6targetE0EEEvSY_
    .private_segment_fixed_size: 0
    .sgpr_count:     0
    .sgpr_spill_count: 0
    .symbol:         _ZN7rocprim17ROCPRIM_400000_NS6detail17trampoline_kernelINS0_13select_configILj256ELj13ELNS0_17block_load_methodE3ELS4_3ELS4_3ELNS0_20block_scan_algorithmE0ELj4294967295EEENS1_25partition_config_selectorILNS1_17partition_subalgoE3EjNS0_10empty_typeEbEEZZNS1_14partition_implILS8_3ELb0ES6_jNS0_17counting_iteratorIjlEEPS9_SE_NS0_5tupleIJPjSE_EEENSF_IJSE_SE_EEES9_SG_JZNS1_25segmented_radix_sort_implINS0_14default_configELb1EPKbPbPKlPlN2at6native12_GLOBAL__N_18offset_tEEE10hipError_tPvRmT1_PNSt15iterator_traitsISY_E10value_typeET2_T3_PNSZ_IS14_E10value_typeET4_jRbjT5_S1A_jjP12ihipStream_tbEUljE_EEESV_SW_SX_S14_S18_S1A_T6_T7_T9_mT8_S1C_bDpT10_ENKUlT_T0_E_clISt17integral_constantIbLb1EES1P_EEDaS1K_S1L_EUlS1K_E_NS1_11comp_targetILNS1_3genE5ELNS1_11target_archE942ELNS1_3gpuE9ELNS1_3repE0EEENS1_30default_config_static_selectorELNS0_4arch9wavefront6targetE0EEEvSY_.kd
    .uniform_work_group_size: 1
    .uses_dynamic_stack: false
    .vgpr_count:     0
    .vgpr_spill_count: 0
    .wavefront_size: 32
  - .args:
      - .offset:         0
        .size:           152
        .value_kind:     by_value
    .group_segment_fixed_size: 0
    .kernarg_segment_align: 8
    .kernarg_segment_size: 152
    .language:       OpenCL C
    .language_version:
      - 2
      - 0
    .max_flat_workgroup_size: 256
    .name:           _ZN7rocprim17ROCPRIM_400000_NS6detail17trampoline_kernelINS0_13select_configILj256ELj13ELNS0_17block_load_methodE3ELS4_3ELS4_3ELNS0_20block_scan_algorithmE0ELj4294967295EEENS1_25partition_config_selectorILNS1_17partition_subalgoE3EjNS0_10empty_typeEbEEZZNS1_14partition_implILS8_3ELb0ES6_jNS0_17counting_iteratorIjlEEPS9_SE_NS0_5tupleIJPjSE_EEENSF_IJSE_SE_EEES9_SG_JZNS1_25segmented_radix_sort_implINS0_14default_configELb1EPKbPbPKlPlN2at6native12_GLOBAL__N_18offset_tEEE10hipError_tPvRmT1_PNSt15iterator_traitsISY_E10value_typeET2_T3_PNSZ_IS14_E10value_typeET4_jRbjT5_S1A_jjP12ihipStream_tbEUljE_EEESV_SW_SX_S14_S18_S1A_T6_T7_T9_mT8_S1C_bDpT10_ENKUlT_T0_E_clISt17integral_constantIbLb1EES1P_EEDaS1K_S1L_EUlS1K_E_NS1_11comp_targetILNS1_3genE4ELNS1_11target_archE910ELNS1_3gpuE8ELNS1_3repE0EEENS1_30default_config_static_selectorELNS0_4arch9wavefront6targetE0EEEvSY_
    .private_segment_fixed_size: 0
    .sgpr_count:     0
    .sgpr_spill_count: 0
    .symbol:         _ZN7rocprim17ROCPRIM_400000_NS6detail17trampoline_kernelINS0_13select_configILj256ELj13ELNS0_17block_load_methodE3ELS4_3ELS4_3ELNS0_20block_scan_algorithmE0ELj4294967295EEENS1_25partition_config_selectorILNS1_17partition_subalgoE3EjNS0_10empty_typeEbEEZZNS1_14partition_implILS8_3ELb0ES6_jNS0_17counting_iteratorIjlEEPS9_SE_NS0_5tupleIJPjSE_EEENSF_IJSE_SE_EEES9_SG_JZNS1_25segmented_radix_sort_implINS0_14default_configELb1EPKbPbPKlPlN2at6native12_GLOBAL__N_18offset_tEEE10hipError_tPvRmT1_PNSt15iterator_traitsISY_E10value_typeET2_T3_PNSZ_IS14_E10value_typeET4_jRbjT5_S1A_jjP12ihipStream_tbEUljE_EEESV_SW_SX_S14_S18_S1A_T6_T7_T9_mT8_S1C_bDpT10_ENKUlT_T0_E_clISt17integral_constantIbLb1EES1P_EEDaS1K_S1L_EUlS1K_E_NS1_11comp_targetILNS1_3genE4ELNS1_11target_archE910ELNS1_3gpuE8ELNS1_3repE0EEENS1_30default_config_static_selectorELNS0_4arch9wavefront6targetE0EEEvSY_.kd
    .uniform_work_group_size: 1
    .uses_dynamic_stack: false
    .vgpr_count:     0
    .vgpr_spill_count: 0
    .wavefront_size: 32
  - .args:
      - .offset:         0
        .size:           152
        .value_kind:     by_value
    .group_segment_fixed_size: 0
    .kernarg_segment_align: 8
    .kernarg_segment_size: 152
    .language:       OpenCL C
    .language_version:
      - 2
      - 0
    .max_flat_workgroup_size: 256
    .name:           _ZN7rocprim17ROCPRIM_400000_NS6detail17trampoline_kernelINS0_13select_configILj256ELj13ELNS0_17block_load_methodE3ELS4_3ELS4_3ELNS0_20block_scan_algorithmE0ELj4294967295EEENS1_25partition_config_selectorILNS1_17partition_subalgoE3EjNS0_10empty_typeEbEEZZNS1_14partition_implILS8_3ELb0ES6_jNS0_17counting_iteratorIjlEEPS9_SE_NS0_5tupleIJPjSE_EEENSF_IJSE_SE_EEES9_SG_JZNS1_25segmented_radix_sort_implINS0_14default_configELb1EPKbPbPKlPlN2at6native12_GLOBAL__N_18offset_tEEE10hipError_tPvRmT1_PNSt15iterator_traitsISY_E10value_typeET2_T3_PNSZ_IS14_E10value_typeET4_jRbjT5_S1A_jjP12ihipStream_tbEUljE_EEESV_SW_SX_S14_S18_S1A_T6_T7_T9_mT8_S1C_bDpT10_ENKUlT_T0_E_clISt17integral_constantIbLb1EES1P_EEDaS1K_S1L_EUlS1K_E_NS1_11comp_targetILNS1_3genE3ELNS1_11target_archE908ELNS1_3gpuE7ELNS1_3repE0EEENS1_30default_config_static_selectorELNS0_4arch9wavefront6targetE0EEEvSY_
    .private_segment_fixed_size: 0
    .sgpr_count:     0
    .sgpr_spill_count: 0
    .symbol:         _ZN7rocprim17ROCPRIM_400000_NS6detail17trampoline_kernelINS0_13select_configILj256ELj13ELNS0_17block_load_methodE3ELS4_3ELS4_3ELNS0_20block_scan_algorithmE0ELj4294967295EEENS1_25partition_config_selectorILNS1_17partition_subalgoE3EjNS0_10empty_typeEbEEZZNS1_14partition_implILS8_3ELb0ES6_jNS0_17counting_iteratorIjlEEPS9_SE_NS0_5tupleIJPjSE_EEENSF_IJSE_SE_EEES9_SG_JZNS1_25segmented_radix_sort_implINS0_14default_configELb1EPKbPbPKlPlN2at6native12_GLOBAL__N_18offset_tEEE10hipError_tPvRmT1_PNSt15iterator_traitsISY_E10value_typeET2_T3_PNSZ_IS14_E10value_typeET4_jRbjT5_S1A_jjP12ihipStream_tbEUljE_EEESV_SW_SX_S14_S18_S1A_T6_T7_T9_mT8_S1C_bDpT10_ENKUlT_T0_E_clISt17integral_constantIbLb1EES1P_EEDaS1K_S1L_EUlS1K_E_NS1_11comp_targetILNS1_3genE3ELNS1_11target_archE908ELNS1_3gpuE7ELNS1_3repE0EEENS1_30default_config_static_selectorELNS0_4arch9wavefront6targetE0EEEvSY_.kd
    .uniform_work_group_size: 1
    .uses_dynamic_stack: false
    .vgpr_count:     0
    .vgpr_spill_count: 0
    .wavefront_size: 32
  - .args:
      - .offset:         0
        .size:           152
        .value_kind:     by_value
    .group_segment_fixed_size: 0
    .kernarg_segment_align: 8
    .kernarg_segment_size: 152
    .language:       OpenCL C
    .language_version:
      - 2
      - 0
    .max_flat_workgroup_size: 256
    .name:           _ZN7rocprim17ROCPRIM_400000_NS6detail17trampoline_kernelINS0_13select_configILj256ELj13ELNS0_17block_load_methodE3ELS4_3ELS4_3ELNS0_20block_scan_algorithmE0ELj4294967295EEENS1_25partition_config_selectorILNS1_17partition_subalgoE3EjNS0_10empty_typeEbEEZZNS1_14partition_implILS8_3ELb0ES6_jNS0_17counting_iteratorIjlEEPS9_SE_NS0_5tupleIJPjSE_EEENSF_IJSE_SE_EEES9_SG_JZNS1_25segmented_radix_sort_implINS0_14default_configELb1EPKbPbPKlPlN2at6native12_GLOBAL__N_18offset_tEEE10hipError_tPvRmT1_PNSt15iterator_traitsISY_E10value_typeET2_T3_PNSZ_IS14_E10value_typeET4_jRbjT5_S1A_jjP12ihipStream_tbEUljE_EEESV_SW_SX_S14_S18_S1A_T6_T7_T9_mT8_S1C_bDpT10_ENKUlT_T0_E_clISt17integral_constantIbLb1EES1P_EEDaS1K_S1L_EUlS1K_E_NS1_11comp_targetILNS1_3genE2ELNS1_11target_archE906ELNS1_3gpuE6ELNS1_3repE0EEENS1_30default_config_static_selectorELNS0_4arch9wavefront6targetE0EEEvSY_
    .private_segment_fixed_size: 0
    .sgpr_count:     0
    .sgpr_spill_count: 0
    .symbol:         _ZN7rocprim17ROCPRIM_400000_NS6detail17trampoline_kernelINS0_13select_configILj256ELj13ELNS0_17block_load_methodE3ELS4_3ELS4_3ELNS0_20block_scan_algorithmE0ELj4294967295EEENS1_25partition_config_selectorILNS1_17partition_subalgoE3EjNS0_10empty_typeEbEEZZNS1_14partition_implILS8_3ELb0ES6_jNS0_17counting_iteratorIjlEEPS9_SE_NS0_5tupleIJPjSE_EEENSF_IJSE_SE_EEES9_SG_JZNS1_25segmented_radix_sort_implINS0_14default_configELb1EPKbPbPKlPlN2at6native12_GLOBAL__N_18offset_tEEE10hipError_tPvRmT1_PNSt15iterator_traitsISY_E10value_typeET2_T3_PNSZ_IS14_E10value_typeET4_jRbjT5_S1A_jjP12ihipStream_tbEUljE_EEESV_SW_SX_S14_S18_S1A_T6_T7_T9_mT8_S1C_bDpT10_ENKUlT_T0_E_clISt17integral_constantIbLb1EES1P_EEDaS1K_S1L_EUlS1K_E_NS1_11comp_targetILNS1_3genE2ELNS1_11target_archE906ELNS1_3gpuE6ELNS1_3repE0EEENS1_30default_config_static_selectorELNS0_4arch9wavefront6targetE0EEEvSY_.kd
    .uniform_work_group_size: 1
    .uses_dynamic_stack: false
    .vgpr_count:     0
    .vgpr_spill_count: 0
    .wavefront_size: 32
  - .args:
      - .offset:         0
        .size:           152
        .value_kind:     by_value
    .group_segment_fixed_size: 0
    .kernarg_segment_align: 8
    .kernarg_segment_size: 152
    .language:       OpenCL C
    .language_version:
      - 2
      - 0
    .max_flat_workgroup_size: 256
    .name:           _ZN7rocprim17ROCPRIM_400000_NS6detail17trampoline_kernelINS0_13select_configILj256ELj13ELNS0_17block_load_methodE3ELS4_3ELS4_3ELNS0_20block_scan_algorithmE0ELj4294967295EEENS1_25partition_config_selectorILNS1_17partition_subalgoE3EjNS0_10empty_typeEbEEZZNS1_14partition_implILS8_3ELb0ES6_jNS0_17counting_iteratorIjlEEPS9_SE_NS0_5tupleIJPjSE_EEENSF_IJSE_SE_EEES9_SG_JZNS1_25segmented_radix_sort_implINS0_14default_configELb1EPKbPbPKlPlN2at6native12_GLOBAL__N_18offset_tEEE10hipError_tPvRmT1_PNSt15iterator_traitsISY_E10value_typeET2_T3_PNSZ_IS14_E10value_typeET4_jRbjT5_S1A_jjP12ihipStream_tbEUljE_EEESV_SW_SX_S14_S18_S1A_T6_T7_T9_mT8_S1C_bDpT10_ENKUlT_T0_E_clISt17integral_constantIbLb1EES1P_EEDaS1K_S1L_EUlS1K_E_NS1_11comp_targetILNS1_3genE10ELNS1_11target_archE1200ELNS1_3gpuE4ELNS1_3repE0EEENS1_30default_config_static_selectorELNS0_4arch9wavefront6targetE0EEEvSY_
    .private_segment_fixed_size: 0
    .sgpr_count:     0
    .sgpr_spill_count: 0
    .symbol:         _ZN7rocprim17ROCPRIM_400000_NS6detail17trampoline_kernelINS0_13select_configILj256ELj13ELNS0_17block_load_methodE3ELS4_3ELS4_3ELNS0_20block_scan_algorithmE0ELj4294967295EEENS1_25partition_config_selectorILNS1_17partition_subalgoE3EjNS0_10empty_typeEbEEZZNS1_14partition_implILS8_3ELb0ES6_jNS0_17counting_iteratorIjlEEPS9_SE_NS0_5tupleIJPjSE_EEENSF_IJSE_SE_EEES9_SG_JZNS1_25segmented_radix_sort_implINS0_14default_configELb1EPKbPbPKlPlN2at6native12_GLOBAL__N_18offset_tEEE10hipError_tPvRmT1_PNSt15iterator_traitsISY_E10value_typeET2_T3_PNSZ_IS14_E10value_typeET4_jRbjT5_S1A_jjP12ihipStream_tbEUljE_EEESV_SW_SX_S14_S18_S1A_T6_T7_T9_mT8_S1C_bDpT10_ENKUlT_T0_E_clISt17integral_constantIbLb1EES1P_EEDaS1K_S1L_EUlS1K_E_NS1_11comp_targetILNS1_3genE10ELNS1_11target_archE1200ELNS1_3gpuE4ELNS1_3repE0EEENS1_30default_config_static_selectorELNS0_4arch9wavefront6targetE0EEEvSY_.kd
    .uniform_work_group_size: 1
    .uses_dynamic_stack: false
    .vgpr_count:     0
    .vgpr_spill_count: 0
    .wavefront_size: 32
  - .args:
      - .offset:         0
        .size:           152
        .value_kind:     by_value
    .group_segment_fixed_size: 0
    .kernarg_segment_align: 8
    .kernarg_segment_size: 152
    .language:       OpenCL C
    .language_version:
      - 2
      - 0
    .max_flat_workgroup_size: 256
    .name:           _ZN7rocprim17ROCPRIM_400000_NS6detail17trampoline_kernelINS0_13select_configILj256ELj13ELNS0_17block_load_methodE3ELS4_3ELS4_3ELNS0_20block_scan_algorithmE0ELj4294967295EEENS1_25partition_config_selectorILNS1_17partition_subalgoE3EjNS0_10empty_typeEbEEZZNS1_14partition_implILS8_3ELb0ES6_jNS0_17counting_iteratorIjlEEPS9_SE_NS0_5tupleIJPjSE_EEENSF_IJSE_SE_EEES9_SG_JZNS1_25segmented_radix_sort_implINS0_14default_configELb1EPKbPbPKlPlN2at6native12_GLOBAL__N_18offset_tEEE10hipError_tPvRmT1_PNSt15iterator_traitsISY_E10value_typeET2_T3_PNSZ_IS14_E10value_typeET4_jRbjT5_S1A_jjP12ihipStream_tbEUljE_EEESV_SW_SX_S14_S18_S1A_T6_T7_T9_mT8_S1C_bDpT10_ENKUlT_T0_E_clISt17integral_constantIbLb1EES1P_EEDaS1K_S1L_EUlS1K_E_NS1_11comp_targetILNS1_3genE9ELNS1_11target_archE1100ELNS1_3gpuE3ELNS1_3repE0EEENS1_30default_config_static_selectorELNS0_4arch9wavefront6targetE0EEEvSY_
    .private_segment_fixed_size: 0
    .sgpr_count:     0
    .sgpr_spill_count: 0
    .symbol:         _ZN7rocprim17ROCPRIM_400000_NS6detail17trampoline_kernelINS0_13select_configILj256ELj13ELNS0_17block_load_methodE3ELS4_3ELS4_3ELNS0_20block_scan_algorithmE0ELj4294967295EEENS1_25partition_config_selectorILNS1_17partition_subalgoE3EjNS0_10empty_typeEbEEZZNS1_14partition_implILS8_3ELb0ES6_jNS0_17counting_iteratorIjlEEPS9_SE_NS0_5tupleIJPjSE_EEENSF_IJSE_SE_EEES9_SG_JZNS1_25segmented_radix_sort_implINS0_14default_configELb1EPKbPbPKlPlN2at6native12_GLOBAL__N_18offset_tEEE10hipError_tPvRmT1_PNSt15iterator_traitsISY_E10value_typeET2_T3_PNSZ_IS14_E10value_typeET4_jRbjT5_S1A_jjP12ihipStream_tbEUljE_EEESV_SW_SX_S14_S18_S1A_T6_T7_T9_mT8_S1C_bDpT10_ENKUlT_T0_E_clISt17integral_constantIbLb1EES1P_EEDaS1K_S1L_EUlS1K_E_NS1_11comp_targetILNS1_3genE9ELNS1_11target_archE1100ELNS1_3gpuE3ELNS1_3repE0EEENS1_30default_config_static_selectorELNS0_4arch9wavefront6targetE0EEEvSY_.kd
    .uniform_work_group_size: 1
    .uses_dynamic_stack: false
    .vgpr_count:     0
    .vgpr_spill_count: 0
    .wavefront_size: 32
  - .args:
      - .offset:         0
        .size:           152
        .value_kind:     by_value
    .group_segment_fixed_size: 0
    .kernarg_segment_align: 8
    .kernarg_segment_size: 152
    .language:       OpenCL C
    .language_version:
      - 2
      - 0
    .max_flat_workgroup_size: 256
    .name:           _ZN7rocprim17ROCPRIM_400000_NS6detail17trampoline_kernelINS0_13select_configILj256ELj13ELNS0_17block_load_methodE3ELS4_3ELS4_3ELNS0_20block_scan_algorithmE0ELj4294967295EEENS1_25partition_config_selectorILNS1_17partition_subalgoE3EjNS0_10empty_typeEbEEZZNS1_14partition_implILS8_3ELb0ES6_jNS0_17counting_iteratorIjlEEPS9_SE_NS0_5tupleIJPjSE_EEENSF_IJSE_SE_EEES9_SG_JZNS1_25segmented_radix_sort_implINS0_14default_configELb1EPKbPbPKlPlN2at6native12_GLOBAL__N_18offset_tEEE10hipError_tPvRmT1_PNSt15iterator_traitsISY_E10value_typeET2_T3_PNSZ_IS14_E10value_typeET4_jRbjT5_S1A_jjP12ihipStream_tbEUljE_EEESV_SW_SX_S14_S18_S1A_T6_T7_T9_mT8_S1C_bDpT10_ENKUlT_T0_E_clISt17integral_constantIbLb1EES1P_EEDaS1K_S1L_EUlS1K_E_NS1_11comp_targetILNS1_3genE8ELNS1_11target_archE1030ELNS1_3gpuE2ELNS1_3repE0EEENS1_30default_config_static_selectorELNS0_4arch9wavefront6targetE0EEEvSY_
    .private_segment_fixed_size: 0
    .sgpr_count:     0
    .sgpr_spill_count: 0
    .symbol:         _ZN7rocprim17ROCPRIM_400000_NS6detail17trampoline_kernelINS0_13select_configILj256ELj13ELNS0_17block_load_methodE3ELS4_3ELS4_3ELNS0_20block_scan_algorithmE0ELj4294967295EEENS1_25partition_config_selectorILNS1_17partition_subalgoE3EjNS0_10empty_typeEbEEZZNS1_14partition_implILS8_3ELb0ES6_jNS0_17counting_iteratorIjlEEPS9_SE_NS0_5tupleIJPjSE_EEENSF_IJSE_SE_EEES9_SG_JZNS1_25segmented_radix_sort_implINS0_14default_configELb1EPKbPbPKlPlN2at6native12_GLOBAL__N_18offset_tEEE10hipError_tPvRmT1_PNSt15iterator_traitsISY_E10value_typeET2_T3_PNSZ_IS14_E10value_typeET4_jRbjT5_S1A_jjP12ihipStream_tbEUljE_EEESV_SW_SX_S14_S18_S1A_T6_T7_T9_mT8_S1C_bDpT10_ENKUlT_T0_E_clISt17integral_constantIbLb1EES1P_EEDaS1K_S1L_EUlS1K_E_NS1_11comp_targetILNS1_3genE8ELNS1_11target_archE1030ELNS1_3gpuE2ELNS1_3repE0EEENS1_30default_config_static_selectorELNS0_4arch9wavefront6targetE0EEEvSY_.kd
    .uniform_work_group_size: 1
    .uses_dynamic_stack: false
    .vgpr_count:     0
    .vgpr_spill_count: 0
    .wavefront_size: 32
  - .args:
      - .offset:         0
        .size:           144
        .value_kind:     by_value
    .group_segment_fixed_size: 0
    .kernarg_segment_align: 8
    .kernarg_segment_size: 144
    .language:       OpenCL C
    .language_version:
      - 2
      - 0
    .max_flat_workgroup_size: 256
    .name:           _ZN7rocprim17ROCPRIM_400000_NS6detail17trampoline_kernelINS0_13select_configILj256ELj13ELNS0_17block_load_methodE3ELS4_3ELS4_3ELNS0_20block_scan_algorithmE0ELj4294967295EEENS1_25partition_config_selectorILNS1_17partition_subalgoE3EjNS0_10empty_typeEbEEZZNS1_14partition_implILS8_3ELb0ES6_jNS0_17counting_iteratorIjlEEPS9_SE_NS0_5tupleIJPjSE_EEENSF_IJSE_SE_EEES9_SG_JZNS1_25segmented_radix_sort_implINS0_14default_configELb1EPKbPbPKlPlN2at6native12_GLOBAL__N_18offset_tEEE10hipError_tPvRmT1_PNSt15iterator_traitsISY_E10value_typeET2_T3_PNSZ_IS14_E10value_typeET4_jRbjT5_S1A_jjP12ihipStream_tbEUljE_EEESV_SW_SX_S14_S18_S1A_T6_T7_T9_mT8_S1C_bDpT10_ENKUlT_T0_E_clISt17integral_constantIbLb1EES1O_IbLb0EEEEDaS1K_S1L_EUlS1K_E_NS1_11comp_targetILNS1_3genE0ELNS1_11target_archE4294967295ELNS1_3gpuE0ELNS1_3repE0EEENS1_30default_config_static_selectorELNS0_4arch9wavefront6targetE0EEEvSY_
    .private_segment_fixed_size: 0
    .sgpr_count:     0
    .sgpr_spill_count: 0
    .symbol:         _ZN7rocprim17ROCPRIM_400000_NS6detail17trampoline_kernelINS0_13select_configILj256ELj13ELNS0_17block_load_methodE3ELS4_3ELS4_3ELNS0_20block_scan_algorithmE0ELj4294967295EEENS1_25partition_config_selectorILNS1_17partition_subalgoE3EjNS0_10empty_typeEbEEZZNS1_14partition_implILS8_3ELb0ES6_jNS0_17counting_iteratorIjlEEPS9_SE_NS0_5tupleIJPjSE_EEENSF_IJSE_SE_EEES9_SG_JZNS1_25segmented_radix_sort_implINS0_14default_configELb1EPKbPbPKlPlN2at6native12_GLOBAL__N_18offset_tEEE10hipError_tPvRmT1_PNSt15iterator_traitsISY_E10value_typeET2_T3_PNSZ_IS14_E10value_typeET4_jRbjT5_S1A_jjP12ihipStream_tbEUljE_EEESV_SW_SX_S14_S18_S1A_T6_T7_T9_mT8_S1C_bDpT10_ENKUlT_T0_E_clISt17integral_constantIbLb1EES1O_IbLb0EEEEDaS1K_S1L_EUlS1K_E_NS1_11comp_targetILNS1_3genE0ELNS1_11target_archE4294967295ELNS1_3gpuE0ELNS1_3repE0EEENS1_30default_config_static_selectorELNS0_4arch9wavefront6targetE0EEEvSY_.kd
    .uniform_work_group_size: 1
    .uses_dynamic_stack: false
    .vgpr_count:     0
    .vgpr_spill_count: 0
    .wavefront_size: 32
  - .args:
      - .offset:         0
        .size:           144
        .value_kind:     by_value
    .group_segment_fixed_size: 0
    .kernarg_segment_align: 8
    .kernarg_segment_size: 144
    .language:       OpenCL C
    .language_version:
      - 2
      - 0
    .max_flat_workgroup_size: 256
    .name:           _ZN7rocprim17ROCPRIM_400000_NS6detail17trampoline_kernelINS0_13select_configILj256ELj13ELNS0_17block_load_methodE3ELS4_3ELS4_3ELNS0_20block_scan_algorithmE0ELj4294967295EEENS1_25partition_config_selectorILNS1_17partition_subalgoE3EjNS0_10empty_typeEbEEZZNS1_14partition_implILS8_3ELb0ES6_jNS0_17counting_iteratorIjlEEPS9_SE_NS0_5tupleIJPjSE_EEENSF_IJSE_SE_EEES9_SG_JZNS1_25segmented_radix_sort_implINS0_14default_configELb1EPKbPbPKlPlN2at6native12_GLOBAL__N_18offset_tEEE10hipError_tPvRmT1_PNSt15iterator_traitsISY_E10value_typeET2_T3_PNSZ_IS14_E10value_typeET4_jRbjT5_S1A_jjP12ihipStream_tbEUljE_EEESV_SW_SX_S14_S18_S1A_T6_T7_T9_mT8_S1C_bDpT10_ENKUlT_T0_E_clISt17integral_constantIbLb1EES1O_IbLb0EEEEDaS1K_S1L_EUlS1K_E_NS1_11comp_targetILNS1_3genE5ELNS1_11target_archE942ELNS1_3gpuE9ELNS1_3repE0EEENS1_30default_config_static_selectorELNS0_4arch9wavefront6targetE0EEEvSY_
    .private_segment_fixed_size: 0
    .sgpr_count:     0
    .sgpr_spill_count: 0
    .symbol:         _ZN7rocprim17ROCPRIM_400000_NS6detail17trampoline_kernelINS0_13select_configILj256ELj13ELNS0_17block_load_methodE3ELS4_3ELS4_3ELNS0_20block_scan_algorithmE0ELj4294967295EEENS1_25partition_config_selectorILNS1_17partition_subalgoE3EjNS0_10empty_typeEbEEZZNS1_14partition_implILS8_3ELb0ES6_jNS0_17counting_iteratorIjlEEPS9_SE_NS0_5tupleIJPjSE_EEENSF_IJSE_SE_EEES9_SG_JZNS1_25segmented_radix_sort_implINS0_14default_configELb1EPKbPbPKlPlN2at6native12_GLOBAL__N_18offset_tEEE10hipError_tPvRmT1_PNSt15iterator_traitsISY_E10value_typeET2_T3_PNSZ_IS14_E10value_typeET4_jRbjT5_S1A_jjP12ihipStream_tbEUljE_EEESV_SW_SX_S14_S18_S1A_T6_T7_T9_mT8_S1C_bDpT10_ENKUlT_T0_E_clISt17integral_constantIbLb1EES1O_IbLb0EEEEDaS1K_S1L_EUlS1K_E_NS1_11comp_targetILNS1_3genE5ELNS1_11target_archE942ELNS1_3gpuE9ELNS1_3repE0EEENS1_30default_config_static_selectorELNS0_4arch9wavefront6targetE0EEEvSY_.kd
    .uniform_work_group_size: 1
    .uses_dynamic_stack: false
    .vgpr_count:     0
    .vgpr_spill_count: 0
    .wavefront_size: 32
  - .args:
      - .offset:         0
        .size:           144
        .value_kind:     by_value
    .group_segment_fixed_size: 0
    .kernarg_segment_align: 8
    .kernarg_segment_size: 144
    .language:       OpenCL C
    .language_version:
      - 2
      - 0
    .max_flat_workgroup_size: 256
    .name:           _ZN7rocprim17ROCPRIM_400000_NS6detail17trampoline_kernelINS0_13select_configILj256ELj13ELNS0_17block_load_methodE3ELS4_3ELS4_3ELNS0_20block_scan_algorithmE0ELj4294967295EEENS1_25partition_config_selectorILNS1_17partition_subalgoE3EjNS0_10empty_typeEbEEZZNS1_14partition_implILS8_3ELb0ES6_jNS0_17counting_iteratorIjlEEPS9_SE_NS0_5tupleIJPjSE_EEENSF_IJSE_SE_EEES9_SG_JZNS1_25segmented_radix_sort_implINS0_14default_configELb1EPKbPbPKlPlN2at6native12_GLOBAL__N_18offset_tEEE10hipError_tPvRmT1_PNSt15iterator_traitsISY_E10value_typeET2_T3_PNSZ_IS14_E10value_typeET4_jRbjT5_S1A_jjP12ihipStream_tbEUljE_EEESV_SW_SX_S14_S18_S1A_T6_T7_T9_mT8_S1C_bDpT10_ENKUlT_T0_E_clISt17integral_constantIbLb1EES1O_IbLb0EEEEDaS1K_S1L_EUlS1K_E_NS1_11comp_targetILNS1_3genE4ELNS1_11target_archE910ELNS1_3gpuE8ELNS1_3repE0EEENS1_30default_config_static_selectorELNS0_4arch9wavefront6targetE0EEEvSY_
    .private_segment_fixed_size: 0
    .sgpr_count:     0
    .sgpr_spill_count: 0
    .symbol:         _ZN7rocprim17ROCPRIM_400000_NS6detail17trampoline_kernelINS0_13select_configILj256ELj13ELNS0_17block_load_methodE3ELS4_3ELS4_3ELNS0_20block_scan_algorithmE0ELj4294967295EEENS1_25partition_config_selectorILNS1_17partition_subalgoE3EjNS0_10empty_typeEbEEZZNS1_14partition_implILS8_3ELb0ES6_jNS0_17counting_iteratorIjlEEPS9_SE_NS0_5tupleIJPjSE_EEENSF_IJSE_SE_EEES9_SG_JZNS1_25segmented_radix_sort_implINS0_14default_configELb1EPKbPbPKlPlN2at6native12_GLOBAL__N_18offset_tEEE10hipError_tPvRmT1_PNSt15iterator_traitsISY_E10value_typeET2_T3_PNSZ_IS14_E10value_typeET4_jRbjT5_S1A_jjP12ihipStream_tbEUljE_EEESV_SW_SX_S14_S18_S1A_T6_T7_T9_mT8_S1C_bDpT10_ENKUlT_T0_E_clISt17integral_constantIbLb1EES1O_IbLb0EEEEDaS1K_S1L_EUlS1K_E_NS1_11comp_targetILNS1_3genE4ELNS1_11target_archE910ELNS1_3gpuE8ELNS1_3repE0EEENS1_30default_config_static_selectorELNS0_4arch9wavefront6targetE0EEEvSY_.kd
    .uniform_work_group_size: 1
    .uses_dynamic_stack: false
    .vgpr_count:     0
    .vgpr_spill_count: 0
    .wavefront_size: 32
  - .args:
      - .offset:         0
        .size:           144
        .value_kind:     by_value
    .group_segment_fixed_size: 0
    .kernarg_segment_align: 8
    .kernarg_segment_size: 144
    .language:       OpenCL C
    .language_version:
      - 2
      - 0
    .max_flat_workgroup_size: 256
    .name:           _ZN7rocprim17ROCPRIM_400000_NS6detail17trampoline_kernelINS0_13select_configILj256ELj13ELNS0_17block_load_methodE3ELS4_3ELS4_3ELNS0_20block_scan_algorithmE0ELj4294967295EEENS1_25partition_config_selectorILNS1_17partition_subalgoE3EjNS0_10empty_typeEbEEZZNS1_14partition_implILS8_3ELb0ES6_jNS0_17counting_iteratorIjlEEPS9_SE_NS0_5tupleIJPjSE_EEENSF_IJSE_SE_EEES9_SG_JZNS1_25segmented_radix_sort_implINS0_14default_configELb1EPKbPbPKlPlN2at6native12_GLOBAL__N_18offset_tEEE10hipError_tPvRmT1_PNSt15iterator_traitsISY_E10value_typeET2_T3_PNSZ_IS14_E10value_typeET4_jRbjT5_S1A_jjP12ihipStream_tbEUljE_EEESV_SW_SX_S14_S18_S1A_T6_T7_T9_mT8_S1C_bDpT10_ENKUlT_T0_E_clISt17integral_constantIbLb1EES1O_IbLb0EEEEDaS1K_S1L_EUlS1K_E_NS1_11comp_targetILNS1_3genE3ELNS1_11target_archE908ELNS1_3gpuE7ELNS1_3repE0EEENS1_30default_config_static_selectorELNS0_4arch9wavefront6targetE0EEEvSY_
    .private_segment_fixed_size: 0
    .sgpr_count:     0
    .sgpr_spill_count: 0
    .symbol:         _ZN7rocprim17ROCPRIM_400000_NS6detail17trampoline_kernelINS0_13select_configILj256ELj13ELNS0_17block_load_methodE3ELS4_3ELS4_3ELNS0_20block_scan_algorithmE0ELj4294967295EEENS1_25partition_config_selectorILNS1_17partition_subalgoE3EjNS0_10empty_typeEbEEZZNS1_14partition_implILS8_3ELb0ES6_jNS0_17counting_iteratorIjlEEPS9_SE_NS0_5tupleIJPjSE_EEENSF_IJSE_SE_EEES9_SG_JZNS1_25segmented_radix_sort_implINS0_14default_configELb1EPKbPbPKlPlN2at6native12_GLOBAL__N_18offset_tEEE10hipError_tPvRmT1_PNSt15iterator_traitsISY_E10value_typeET2_T3_PNSZ_IS14_E10value_typeET4_jRbjT5_S1A_jjP12ihipStream_tbEUljE_EEESV_SW_SX_S14_S18_S1A_T6_T7_T9_mT8_S1C_bDpT10_ENKUlT_T0_E_clISt17integral_constantIbLb1EES1O_IbLb0EEEEDaS1K_S1L_EUlS1K_E_NS1_11comp_targetILNS1_3genE3ELNS1_11target_archE908ELNS1_3gpuE7ELNS1_3repE0EEENS1_30default_config_static_selectorELNS0_4arch9wavefront6targetE0EEEvSY_.kd
    .uniform_work_group_size: 1
    .uses_dynamic_stack: false
    .vgpr_count:     0
    .vgpr_spill_count: 0
    .wavefront_size: 32
  - .args:
      - .offset:         0
        .size:           144
        .value_kind:     by_value
    .group_segment_fixed_size: 0
    .kernarg_segment_align: 8
    .kernarg_segment_size: 144
    .language:       OpenCL C
    .language_version:
      - 2
      - 0
    .max_flat_workgroup_size: 256
    .name:           _ZN7rocprim17ROCPRIM_400000_NS6detail17trampoline_kernelINS0_13select_configILj256ELj13ELNS0_17block_load_methodE3ELS4_3ELS4_3ELNS0_20block_scan_algorithmE0ELj4294967295EEENS1_25partition_config_selectorILNS1_17partition_subalgoE3EjNS0_10empty_typeEbEEZZNS1_14partition_implILS8_3ELb0ES6_jNS0_17counting_iteratorIjlEEPS9_SE_NS0_5tupleIJPjSE_EEENSF_IJSE_SE_EEES9_SG_JZNS1_25segmented_radix_sort_implINS0_14default_configELb1EPKbPbPKlPlN2at6native12_GLOBAL__N_18offset_tEEE10hipError_tPvRmT1_PNSt15iterator_traitsISY_E10value_typeET2_T3_PNSZ_IS14_E10value_typeET4_jRbjT5_S1A_jjP12ihipStream_tbEUljE_EEESV_SW_SX_S14_S18_S1A_T6_T7_T9_mT8_S1C_bDpT10_ENKUlT_T0_E_clISt17integral_constantIbLb1EES1O_IbLb0EEEEDaS1K_S1L_EUlS1K_E_NS1_11comp_targetILNS1_3genE2ELNS1_11target_archE906ELNS1_3gpuE6ELNS1_3repE0EEENS1_30default_config_static_selectorELNS0_4arch9wavefront6targetE0EEEvSY_
    .private_segment_fixed_size: 0
    .sgpr_count:     0
    .sgpr_spill_count: 0
    .symbol:         _ZN7rocprim17ROCPRIM_400000_NS6detail17trampoline_kernelINS0_13select_configILj256ELj13ELNS0_17block_load_methodE3ELS4_3ELS4_3ELNS0_20block_scan_algorithmE0ELj4294967295EEENS1_25partition_config_selectorILNS1_17partition_subalgoE3EjNS0_10empty_typeEbEEZZNS1_14partition_implILS8_3ELb0ES6_jNS0_17counting_iteratorIjlEEPS9_SE_NS0_5tupleIJPjSE_EEENSF_IJSE_SE_EEES9_SG_JZNS1_25segmented_radix_sort_implINS0_14default_configELb1EPKbPbPKlPlN2at6native12_GLOBAL__N_18offset_tEEE10hipError_tPvRmT1_PNSt15iterator_traitsISY_E10value_typeET2_T3_PNSZ_IS14_E10value_typeET4_jRbjT5_S1A_jjP12ihipStream_tbEUljE_EEESV_SW_SX_S14_S18_S1A_T6_T7_T9_mT8_S1C_bDpT10_ENKUlT_T0_E_clISt17integral_constantIbLb1EES1O_IbLb0EEEEDaS1K_S1L_EUlS1K_E_NS1_11comp_targetILNS1_3genE2ELNS1_11target_archE906ELNS1_3gpuE6ELNS1_3repE0EEENS1_30default_config_static_selectorELNS0_4arch9wavefront6targetE0EEEvSY_.kd
    .uniform_work_group_size: 1
    .uses_dynamic_stack: false
    .vgpr_count:     0
    .vgpr_spill_count: 0
    .wavefront_size: 32
  - .args:
      - .offset:         0
        .size:           144
        .value_kind:     by_value
    .group_segment_fixed_size: 0
    .kernarg_segment_align: 8
    .kernarg_segment_size: 144
    .language:       OpenCL C
    .language_version:
      - 2
      - 0
    .max_flat_workgroup_size: 256
    .name:           _ZN7rocprim17ROCPRIM_400000_NS6detail17trampoline_kernelINS0_13select_configILj256ELj13ELNS0_17block_load_methodE3ELS4_3ELS4_3ELNS0_20block_scan_algorithmE0ELj4294967295EEENS1_25partition_config_selectorILNS1_17partition_subalgoE3EjNS0_10empty_typeEbEEZZNS1_14partition_implILS8_3ELb0ES6_jNS0_17counting_iteratorIjlEEPS9_SE_NS0_5tupleIJPjSE_EEENSF_IJSE_SE_EEES9_SG_JZNS1_25segmented_radix_sort_implINS0_14default_configELb1EPKbPbPKlPlN2at6native12_GLOBAL__N_18offset_tEEE10hipError_tPvRmT1_PNSt15iterator_traitsISY_E10value_typeET2_T3_PNSZ_IS14_E10value_typeET4_jRbjT5_S1A_jjP12ihipStream_tbEUljE_EEESV_SW_SX_S14_S18_S1A_T6_T7_T9_mT8_S1C_bDpT10_ENKUlT_T0_E_clISt17integral_constantIbLb1EES1O_IbLb0EEEEDaS1K_S1L_EUlS1K_E_NS1_11comp_targetILNS1_3genE10ELNS1_11target_archE1200ELNS1_3gpuE4ELNS1_3repE0EEENS1_30default_config_static_selectorELNS0_4arch9wavefront6targetE0EEEvSY_
    .private_segment_fixed_size: 0
    .sgpr_count:     0
    .sgpr_spill_count: 0
    .symbol:         _ZN7rocprim17ROCPRIM_400000_NS6detail17trampoline_kernelINS0_13select_configILj256ELj13ELNS0_17block_load_methodE3ELS4_3ELS4_3ELNS0_20block_scan_algorithmE0ELj4294967295EEENS1_25partition_config_selectorILNS1_17partition_subalgoE3EjNS0_10empty_typeEbEEZZNS1_14partition_implILS8_3ELb0ES6_jNS0_17counting_iteratorIjlEEPS9_SE_NS0_5tupleIJPjSE_EEENSF_IJSE_SE_EEES9_SG_JZNS1_25segmented_radix_sort_implINS0_14default_configELb1EPKbPbPKlPlN2at6native12_GLOBAL__N_18offset_tEEE10hipError_tPvRmT1_PNSt15iterator_traitsISY_E10value_typeET2_T3_PNSZ_IS14_E10value_typeET4_jRbjT5_S1A_jjP12ihipStream_tbEUljE_EEESV_SW_SX_S14_S18_S1A_T6_T7_T9_mT8_S1C_bDpT10_ENKUlT_T0_E_clISt17integral_constantIbLb1EES1O_IbLb0EEEEDaS1K_S1L_EUlS1K_E_NS1_11comp_targetILNS1_3genE10ELNS1_11target_archE1200ELNS1_3gpuE4ELNS1_3repE0EEENS1_30default_config_static_selectorELNS0_4arch9wavefront6targetE0EEEvSY_.kd
    .uniform_work_group_size: 1
    .uses_dynamic_stack: false
    .vgpr_count:     0
    .vgpr_spill_count: 0
    .wavefront_size: 32
  - .args:
      - .offset:         0
        .size:           144
        .value_kind:     by_value
    .group_segment_fixed_size: 0
    .kernarg_segment_align: 8
    .kernarg_segment_size: 144
    .language:       OpenCL C
    .language_version:
      - 2
      - 0
    .max_flat_workgroup_size: 256
    .name:           _ZN7rocprim17ROCPRIM_400000_NS6detail17trampoline_kernelINS0_13select_configILj256ELj13ELNS0_17block_load_methodE3ELS4_3ELS4_3ELNS0_20block_scan_algorithmE0ELj4294967295EEENS1_25partition_config_selectorILNS1_17partition_subalgoE3EjNS0_10empty_typeEbEEZZNS1_14partition_implILS8_3ELb0ES6_jNS0_17counting_iteratorIjlEEPS9_SE_NS0_5tupleIJPjSE_EEENSF_IJSE_SE_EEES9_SG_JZNS1_25segmented_radix_sort_implINS0_14default_configELb1EPKbPbPKlPlN2at6native12_GLOBAL__N_18offset_tEEE10hipError_tPvRmT1_PNSt15iterator_traitsISY_E10value_typeET2_T3_PNSZ_IS14_E10value_typeET4_jRbjT5_S1A_jjP12ihipStream_tbEUljE_EEESV_SW_SX_S14_S18_S1A_T6_T7_T9_mT8_S1C_bDpT10_ENKUlT_T0_E_clISt17integral_constantIbLb1EES1O_IbLb0EEEEDaS1K_S1L_EUlS1K_E_NS1_11comp_targetILNS1_3genE9ELNS1_11target_archE1100ELNS1_3gpuE3ELNS1_3repE0EEENS1_30default_config_static_selectorELNS0_4arch9wavefront6targetE0EEEvSY_
    .private_segment_fixed_size: 0
    .sgpr_count:     0
    .sgpr_spill_count: 0
    .symbol:         _ZN7rocprim17ROCPRIM_400000_NS6detail17trampoline_kernelINS0_13select_configILj256ELj13ELNS0_17block_load_methodE3ELS4_3ELS4_3ELNS0_20block_scan_algorithmE0ELj4294967295EEENS1_25partition_config_selectorILNS1_17partition_subalgoE3EjNS0_10empty_typeEbEEZZNS1_14partition_implILS8_3ELb0ES6_jNS0_17counting_iteratorIjlEEPS9_SE_NS0_5tupleIJPjSE_EEENSF_IJSE_SE_EEES9_SG_JZNS1_25segmented_radix_sort_implINS0_14default_configELb1EPKbPbPKlPlN2at6native12_GLOBAL__N_18offset_tEEE10hipError_tPvRmT1_PNSt15iterator_traitsISY_E10value_typeET2_T3_PNSZ_IS14_E10value_typeET4_jRbjT5_S1A_jjP12ihipStream_tbEUljE_EEESV_SW_SX_S14_S18_S1A_T6_T7_T9_mT8_S1C_bDpT10_ENKUlT_T0_E_clISt17integral_constantIbLb1EES1O_IbLb0EEEEDaS1K_S1L_EUlS1K_E_NS1_11comp_targetILNS1_3genE9ELNS1_11target_archE1100ELNS1_3gpuE3ELNS1_3repE0EEENS1_30default_config_static_selectorELNS0_4arch9wavefront6targetE0EEEvSY_.kd
    .uniform_work_group_size: 1
    .uses_dynamic_stack: false
    .vgpr_count:     0
    .vgpr_spill_count: 0
    .wavefront_size: 32
  - .args:
      - .offset:         0
        .size:           144
        .value_kind:     by_value
    .group_segment_fixed_size: 0
    .kernarg_segment_align: 8
    .kernarg_segment_size: 144
    .language:       OpenCL C
    .language_version:
      - 2
      - 0
    .max_flat_workgroup_size: 256
    .name:           _ZN7rocprim17ROCPRIM_400000_NS6detail17trampoline_kernelINS0_13select_configILj256ELj13ELNS0_17block_load_methodE3ELS4_3ELS4_3ELNS0_20block_scan_algorithmE0ELj4294967295EEENS1_25partition_config_selectorILNS1_17partition_subalgoE3EjNS0_10empty_typeEbEEZZNS1_14partition_implILS8_3ELb0ES6_jNS0_17counting_iteratorIjlEEPS9_SE_NS0_5tupleIJPjSE_EEENSF_IJSE_SE_EEES9_SG_JZNS1_25segmented_radix_sort_implINS0_14default_configELb1EPKbPbPKlPlN2at6native12_GLOBAL__N_18offset_tEEE10hipError_tPvRmT1_PNSt15iterator_traitsISY_E10value_typeET2_T3_PNSZ_IS14_E10value_typeET4_jRbjT5_S1A_jjP12ihipStream_tbEUljE_EEESV_SW_SX_S14_S18_S1A_T6_T7_T9_mT8_S1C_bDpT10_ENKUlT_T0_E_clISt17integral_constantIbLb1EES1O_IbLb0EEEEDaS1K_S1L_EUlS1K_E_NS1_11comp_targetILNS1_3genE8ELNS1_11target_archE1030ELNS1_3gpuE2ELNS1_3repE0EEENS1_30default_config_static_selectorELNS0_4arch9wavefront6targetE0EEEvSY_
    .private_segment_fixed_size: 0
    .sgpr_count:     0
    .sgpr_spill_count: 0
    .symbol:         _ZN7rocprim17ROCPRIM_400000_NS6detail17trampoline_kernelINS0_13select_configILj256ELj13ELNS0_17block_load_methodE3ELS4_3ELS4_3ELNS0_20block_scan_algorithmE0ELj4294967295EEENS1_25partition_config_selectorILNS1_17partition_subalgoE3EjNS0_10empty_typeEbEEZZNS1_14partition_implILS8_3ELb0ES6_jNS0_17counting_iteratorIjlEEPS9_SE_NS0_5tupleIJPjSE_EEENSF_IJSE_SE_EEES9_SG_JZNS1_25segmented_radix_sort_implINS0_14default_configELb1EPKbPbPKlPlN2at6native12_GLOBAL__N_18offset_tEEE10hipError_tPvRmT1_PNSt15iterator_traitsISY_E10value_typeET2_T3_PNSZ_IS14_E10value_typeET4_jRbjT5_S1A_jjP12ihipStream_tbEUljE_EEESV_SW_SX_S14_S18_S1A_T6_T7_T9_mT8_S1C_bDpT10_ENKUlT_T0_E_clISt17integral_constantIbLb1EES1O_IbLb0EEEEDaS1K_S1L_EUlS1K_E_NS1_11comp_targetILNS1_3genE8ELNS1_11target_archE1030ELNS1_3gpuE2ELNS1_3repE0EEENS1_30default_config_static_selectorELNS0_4arch9wavefront6targetE0EEEvSY_.kd
    .uniform_work_group_size: 1
    .uses_dynamic_stack: false
    .vgpr_count:     0
    .vgpr_spill_count: 0
    .wavefront_size: 32
  - .args:
      - .offset:         0
        .size:           152
        .value_kind:     by_value
    .group_segment_fixed_size: 13320
    .kernarg_segment_align: 8
    .kernarg_segment_size: 152
    .language:       OpenCL C
    .language_version:
      - 2
      - 0
    .max_flat_workgroup_size: 256
    .name:           _ZN7rocprim17ROCPRIM_400000_NS6detail17trampoline_kernelINS0_13select_configILj256ELj13ELNS0_17block_load_methodE3ELS4_3ELS4_3ELNS0_20block_scan_algorithmE0ELj4294967295EEENS1_25partition_config_selectorILNS1_17partition_subalgoE3EjNS0_10empty_typeEbEEZZNS1_14partition_implILS8_3ELb0ES6_jNS0_17counting_iteratorIjlEEPS9_SE_NS0_5tupleIJPjSE_EEENSF_IJSE_SE_EEES9_SG_JZNS1_25segmented_radix_sort_implINS0_14default_configELb1EPKbPbPKlPlN2at6native12_GLOBAL__N_18offset_tEEE10hipError_tPvRmT1_PNSt15iterator_traitsISY_E10value_typeET2_T3_PNSZ_IS14_E10value_typeET4_jRbjT5_S1A_jjP12ihipStream_tbEUljE_EEESV_SW_SX_S14_S18_S1A_T6_T7_T9_mT8_S1C_bDpT10_ENKUlT_T0_E_clISt17integral_constantIbLb0EES1O_IbLb1EEEEDaS1K_S1L_EUlS1K_E_NS1_11comp_targetILNS1_3genE0ELNS1_11target_archE4294967295ELNS1_3gpuE0ELNS1_3repE0EEENS1_30default_config_static_selectorELNS0_4arch9wavefront6targetE0EEEvSY_
    .private_segment_fixed_size: 0
    .sgpr_count:     26
    .sgpr_spill_count: 0
    .symbol:         _ZN7rocprim17ROCPRIM_400000_NS6detail17trampoline_kernelINS0_13select_configILj256ELj13ELNS0_17block_load_methodE3ELS4_3ELS4_3ELNS0_20block_scan_algorithmE0ELj4294967295EEENS1_25partition_config_selectorILNS1_17partition_subalgoE3EjNS0_10empty_typeEbEEZZNS1_14partition_implILS8_3ELb0ES6_jNS0_17counting_iteratorIjlEEPS9_SE_NS0_5tupleIJPjSE_EEENSF_IJSE_SE_EEES9_SG_JZNS1_25segmented_radix_sort_implINS0_14default_configELb1EPKbPbPKlPlN2at6native12_GLOBAL__N_18offset_tEEE10hipError_tPvRmT1_PNSt15iterator_traitsISY_E10value_typeET2_T3_PNSZ_IS14_E10value_typeET4_jRbjT5_S1A_jjP12ihipStream_tbEUljE_EEESV_SW_SX_S14_S18_S1A_T6_T7_T9_mT8_S1C_bDpT10_ENKUlT_T0_E_clISt17integral_constantIbLb0EES1O_IbLb1EEEEDaS1K_S1L_EUlS1K_E_NS1_11comp_targetILNS1_3genE0ELNS1_11target_archE4294967295ELNS1_3gpuE0ELNS1_3repE0EEENS1_30default_config_static_selectorELNS0_4arch9wavefront6targetE0EEEvSY_.kd
    .uniform_work_group_size: 1
    .uses_dynamic_stack: false
    .vgpr_count:     72
    .vgpr_spill_count: 0
    .wavefront_size: 32
  - .args:
      - .offset:         0
        .size:           152
        .value_kind:     by_value
    .group_segment_fixed_size: 0
    .kernarg_segment_align: 8
    .kernarg_segment_size: 152
    .language:       OpenCL C
    .language_version:
      - 2
      - 0
    .max_flat_workgroup_size: 256
    .name:           _ZN7rocprim17ROCPRIM_400000_NS6detail17trampoline_kernelINS0_13select_configILj256ELj13ELNS0_17block_load_methodE3ELS4_3ELS4_3ELNS0_20block_scan_algorithmE0ELj4294967295EEENS1_25partition_config_selectorILNS1_17partition_subalgoE3EjNS0_10empty_typeEbEEZZNS1_14partition_implILS8_3ELb0ES6_jNS0_17counting_iteratorIjlEEPS9_SE_NS0_5tupleIJPjSE_EEENSF_IJSE_SE_EEES9_SG_JZNS1_25segmented_radix_sort_implINS0_14default_configELb1EPKbPbPKlPlN2at6native12_GLOBAL__N_18offset_tEEE10hipError_tPvRmT1_PNSt15iterator_traitsISY_E10value_typeET2_T3_PNSZ_IS14_E10value_typeET4_jRbjT5_S1A_jjP12ihipStream_tbEUljE_EEESV_SW_SX_S14_S18_S1A_T6_T7_T9_mT8_S1C_bDpT10_ENKUlT_T0_E_clISt17integral_constantIbLb0EES1O_IbLb1EEEEDaS1K_S1L_EUlS1K_E_NS1_11comp_targetILNS1_3genE5ELNS1_11target_archE942ELNS1_3gpuE9ELNS1_3repE0EEENS1_30default_config_static_selectorELNS0_4arch9wavefront6targetE0EEEvSY_
    .private_segment_fixed_size: 0
    .sgpr_count:     0
    .sgpr_spill_count: 0
    .symbol:         _ZN7rocprim17ROCPRIM_400000_NS6detail17trampoline_kernelINS0_13select_configILj256ELj13ELNS0_17block_load_methodE3ELS4_3ELS4_3ELNS0_20block_scan_algorithmE0ELj4294967295EEENS1_25partition_config_selectorILNS1_17partition_subalgoE3EjNS0_10empty_typeEbEEZZNS1_14partition_implILS8_3ELb0ES6_jNS0_17counting_iteratorIjlEEPS9_SE_NS0_5tupleIJPjSE_EEENSF_IJSE_SE_EEES9_SG_JZNS1_25segmented_radix_sort_implINS0_14default_configELb1EPKbPbPKlPlN2at6native12_GLOBAL__N_18offset_tEEE10hipError_tPvRmT1_PNSt15iterator_traitsISY_E10value_typeET2_T3_PNSZ_IS14_E10value_typeET4_jRbjT5_S1A_jjP12ihipStream_tbEUljE_EEESV_SW_SX_S14_S18_S1A_T6_T7_T9_mT8_S1C_bDpT10_ENKUlT_T0_E_clISt17integral_constantIbLb0EES1O_IbLb1EEEEDaS1K_S1L_EUlS1K_E_NS1_11comp_targetILNS1_3genE5ELNS1_11target_archE942ELNS1_3gpuE9ELNS1_3repE0EEENS1_30default_config_static_selectorELNS0_4arch9wavefront6targetE0EEEvSY_.kd
    .uniform_work_group_size: 1
    .uses_dynamic_stack: false
    .vgpr_count:     0
    .vgpr_spill_count: 0
    .wavefront_size: 32
  - .args:
      - .offset:         0
        .size:           152
        .value_kind:     by_value
    .group_segment_fixed_size: 0
    .kernarg_segment_align: 8
    .kernarg_segment_size: 152
    .language:       OpenCL C
    .language_version:
      - 2
      - 0
    .max_flat_workgroup_size: 256
    .name:           _ZN7rocprim17ROCPRIM_400000_NS6detail17trampoline_kernelINS0_13select_configILj256ELj13ELNS0_17block_load_methodE3ELS4_3ELS4_3ELNS0_20block_scan_algorithmE0ELj4294967295EEENS1_25partition_config_selectorILNS1_17partition_subalgoE3EjNS0_10empty_typeEbEEZZNS1_14partition_implILS8_3ELb0ES6_jNS0_17counting_iteratorIjlEEPS9_SE_NS0_5tupleIJPjSE_EEENSF_IJSE_SE_EEES9_SG_JZNS1_25segmented_radix_sort_implINS0_14default_configELb1EPKbPbPKlPlN2at6native12_GLOBAL__N_18offset_tEEE10hipError_tPvRmT1_PNSt15iterator_traitsISY_E10value_typeET2_T3_PNSZ_IS14_E10value_typeET4_jRbjT5_S1A_jjP12ihipStream_tbEUljE_EEESV_SW_SX_S14_S18_S1A_T6_T7_T9_mT8_S1C_bDpT10_ENKUlT_T0_E_clISt17integral_constantIbLb0EES1O_IbLb1EEEEDaS1K_S1L_EUlS1K_E_NS1_11comp_targetILNS1_3genE4ELNS1_11target_archE910ELNS1_3gpuE8ELNS1_3repE0EEENS1_30default_config_static_selectorELNS0_4arch9wavefront6targetE0EEEvSY_
    .private_segment_fixed_size: 0
    .sgpr_count:     0
    .sgpr_spill_count: 0
    .symbol:         _ZN7rocprim17ROCPRIM_400000_NS6detail17trampoline_kernelINS0_13select_configILj256ELj13ELNS0_17block_load_methodE3ELS4_3ELS4_3ELNS0_20block_scan_algorithmE0ELj4294967295EEENS1_25partition_config_selectorILNS1_17partition_subalgoE3EjNS0_10empty_typeEbEEZZNS1_14partition_implILS8_3ELb0ES6_jNS0_17counting_iteratorIjlEEPS9_SE_NS0_5tupleIJPjSE_EEENSF_IJSE_SE_EEES9_SG_JZNS1_25segmented_radix_sort_implINS0_14default_configELb1EPKbPbPKlPlN2at6native12_GLOBAL__N_18offset_tEEE10hipError_tPvRmT1_PNSt15iterator_traitsISY_E10value_typeET2_T3_PNSZ_IS14_E10value_typeET4_jRbjT5_S1A_jjP12ihipStream_tbEUljE_EEESV_SW_SX_S14_S18_S1A_T6_T7_T9_mT8_S1C_bDpT10_ENKUlT_T0_E_clISt17integral_constantIbLb0EES1O_IbLb1EEEEDaS1K_S1L_EUlS1K_E_NS1_11comp_targetILNS1_3genE4ELNS1_11target_archE910ELNS1_3gpuE8ELNS1_3repE0EEENS1_30default_config_static_selectorELNS0_4arch9wavefront6targetE0EEEvSY_.kd
    .uniform_work_group_size: 1
    .uses_dynamic_stack: false
    .vgpr_count:     0
    .vgpr_spill_count: 0
    .wavefront_size: 32
  - .args:
      - .offset:         0
        .size:           152
        .value_kind:     by_value
    .group_segment_fixed_size: 0
    .kernarg_segment_align: 8
    .kernarg_segment_size: 152
    .language:       OpenCL C
    .language_version:
      - 2
      - 0
    .max_flat_workgroup_size: 256
    .name:           _ZN7rocprim17ROCPRIM_400000_NS6detail17trampoline_kernelINS0_13select_configILj256ELj13ELNS0_17block_load_methodE3ELS4_3ELS4_3ELNS0_20block_scan_algorithmE0ELj4294967295EEENS1_25partition_config_selectorILNS1_17partition_subalgoE3EjNS0_10empty_typeEbEEZZNS1_14partition_implILS8_3ELb0ES6_jNS0_17counting_iteratorIjlEEPS9_SE_NS0_5tupleIJPjSE_EEENSF_IJSE_SE_EEES9_SG_JZNS1_25segmented_radix_sort_implINS0_14default_configELb1EPKbPbPKlPlN2at6native12_GLOBAL__N_18offset_tEEE10hipError_tPvRmT1_PNSt15iterator_traitsISY_E10value_typeET2_T3_PNSZ_IS14_E10value_typeET4_jRbjT5_S1A_jjP12ihipStream_tbEUljE_EEESV_SW_SX_S14_S18_S1A_T6_T7_T9_mT8_S1C_bDpT10_ENKUlT_T0_E_clISt17integral_constantIbLb0EES1O_IbLb1EEEEDaS1K_S1L_EUlS1K_E_NS1_11comp_targetILNS1_3genE3ELNS1_11target_archE908ELNS1_3gpuE7ELNS1_3repE0EEENS1_30default_config_static_selectorELNS0_4arch9wavefront6targetE0EEEvSY_
    .private_segment_fixed_size: 0
    .sgpr_count:     0
    .sgpr_spill_count: 0
    .symbol:         _ZN7rocprim17ROCPRIM_400000_NS6detail17trampoline_kernelINS0_13select_configILj256ELj13ELNS0_17block_load_methodE3ELS4_3ELS4_3ELNS0_20block_scan_algorithmE0ELj4294967295EEENS1_25partition_config_selectorILNS1_17partition_subalgoE3EjNS0_10empty_typeEbEEZZNS1_14partition_implILS8_3ELb0ES6_jNS0_17counting_iteratorIjlEEPS9_SE_NS0_5tupleIJPjSE_EEENSF_IJSE_SE_EEES9_SG_JZNS1_25segmented_radix_sort_implINS0_14default_configELb1EPKbPbPKlPlN2at6native12_GLOBAL__N_18offset_tEEE10hipError_tPvRmT1_PNSt15iterator_traitsISY_E10value_typeET2_T3_PNSZ_IS14_E10value_typeET4_jRbjT5_S1A_jjP12ihipStream_tbEUljE_EEESV_SW_SX_S14_S18_S1A_T6_T7_T9_mT8_S1C_bDpT10_ENKUlT_T0_E_clISt17integral_constantIbLb0EES1O_IbLb1EEEEDaS1K_S1L_EUlS1K_E_NS1_11comp_targetILNS1_3genE3ELNS1_11target_archE908ELNS1_3gpuE7ELNS1_3repE0EEENS1_30default_config_static_selectorELNS0_4arch9wavefront6targetE0EEEvSY_.kd
    .uniform_work_group_size: 1
    .uses_dynamic_stack: false
    .vgpr_count:     0
    .vgpr_spill_count: 0
    .wavefront_size: 32
  - .args:
      - .offset:         0
        .size:           152
        .value_kind:     by_value
    .group_segment_fixed_size: 0
    .kernarg_segment_align: 8
    .kernarg_segment_size: 152
    .language:       OpenCL C
    .language_version:
      - 2
      - 0
    .max_flat_workgroup_size: 256
    .name:           _ZN7rocprim17ROCPRIM_400000_NS6detail17trampoline_kernelINS0_13select_configILj256ELj13ELNS0_17block_load_methodE3ELS4_3ELS4_3ELNS0_20block_scan_algorithmE0ELj4294967295EEENS1_25partition_config_selectorILNS1_17partition_subalgoE3EjNS0_10empty_typeEbEEZZNS1_14partition_implILS8_3ELb0ES6_jNS0_17counting_iteratorIjlEEPS9_SE_NS0_5tupleIJPjSE_EEENSF_IJSE_SE_EEES9_SG_JZNS1_25segmented_radix_sort_implINS0_14default_configELb1EPKbPbPKlPlN2at6native12_GLOBAL__N_18offset_tEEE10hipError_tPvRmT1_PNSt15iterator_traitsISY_E10value_typeET2_T3_PNSZ_IS14_E10value_typeET4_jRbjT5_S1A_jjP12ihipStream_tbEUljE_EEESV_SW_SX_S14_S18_S1A_T6_T7_T9_mT8_S1C_bDpT10_ENKUlT_T0_E_clISt17integral_constantIbLb0EES1O_IbLb1EEEEDaS1K_S1L_EUlS1K_E_NS1_11comp_targetILNS1_3genE2ELNS1_11target_archE906ELNS1_3gpuE6ELNS1_3repE0EEENS1_30default_config_static_selectorELNS0_4arch9wavefront6targetE0EEEvSY_
    .private_segment_fixed_size: 0
    .sgpr_count:     0
    .sgpr_spill_count: 0
    .symbol:         _ZN7rocprim17ROCPRIM_400000_NS6detail17trampoline_kernelINS0_13select_configILj256ELj13ELNS0_17block_load_methodE3ELS4_3ELS4_3ELNS0_20block_scan_algorithmE0ELj4294967295EEENS1_25partition_config_selectorILNS1_17partition_subalgoE3EjNS0_10empty_typeEbEEZZNS1_14partition_implILS8_3ELb0ES6_jNS0_17counting_iteratorIjlEEPS9_SE_NS0_5tupleIJPjSE_EEENSF_IJSE_SE_EEES9_SG_JZNS1_25segmented_radix_sort_implINS0_14default_configELb1EPKbPbPKlPlN2at6native12_GLOBAL__N_18offset_tEEE10hipError_tPvRmT1_PNSt15iterator_traitsISY_E10value_typeET2_T3_PNSZ_IS14_E10value_typeET4_jRbjT5_S1A_jjP12ihipStream_tbEUljE_EEESV_SW_SX_S14_S18_S1A_T6_T7_T9_mT8_S1C_bDpT10_ENKUlT_T0_E_clISt17integral_constantIbLb0EES1O_IbLb1EEEEDaS1K_S1L_EUlS1K_E_NS1_11comp_targetILNS1_3genE2ELNS1_11target_archE906ELNS1_3gpuE6ELNS1_3repE0EEENS1_30default_config_static_selectorELNS0_4arch9wavefront6targetE0EEEvSY_.kd
    .uniform_work_group_size: 1
    .uses_dynamic_stack: false
    .vgpr_count:     0
    .vgpr_spill_count: 0
    .wavefront_size: 32
  - .args:
      - .offset:         0
        .size:           152
        .value_kind:     by_value
    .group_segment_fixed_size: 0
    .kernarg_segment_align: 8
    .kernarg_segment_size: 152
    .language:       OpenCL C
    .language_version:
      - 2
      - 0
    .max_flat_workgroup_size: 256
    .name:           _ZN7rocprim17ROCPRIM_400000_NS6detail17trampoline_kernelINS0_13select_configILj256ELj13ELNS0_17block_load_methodE3ELS4_3ELS4_3ELNS0_20block_scan_algorithmE0ELj4294967295EEENS1_25partition_config_selectorILNS1_17partition_subalgoE3EjNS0_10empty_typeEbEEZZNS1_14partition_implILS8_3ELb0ES6_jNS0_17counting_iteratorIjlEEPS9_SE_NS0_5tupleIJPjSE_EEENSF_IJSE_SE_EEES9_SG_JZNS1_25segmented_radix_sort_implINS0_14default_configELb1EPKbPbPKlPlN2at6native12_GLOBAL__N_18offset_tEEE10hipError_tPvRmT1_PNSt15iterator_traitsISY_E10value_typeET2_T3_PNSZ_IS14_E10value_typeET4_jRbjT5_S1A_jjP12ihipStream_tbEUljE_EEESV_SW_SX_S14_S18_S1A_T6_T7_T9_mT8_S1C_bDpT10_ENKUlT_T0_E_clISt17integral_constantIbLb0EES1O_IbLb1EEEEDaS1K_S1L_EUlS1K_E_NS1_11comp_targetILNS1_3genE10ELNS1_11target_archE1200ELNS1_3gpuE4ELNS1_3repE0EEENS1_30default_config_static_selectorELNS0_4arch9wavefront6targetE0EEEvSY_
    .private_segment_fixed_size: 0
    .sgpr_count:     0
    .sgpr_spill_count: 0
    .symbol:         _ZN7rocprim17ROCPRIM_400000_NS6detail17trampoline_kernelINS0_13select_configILj256ELj13ELNS0_17block_load_methodE3ELS4_3ELS4_3ELNS0_20block_scan_algorithmE0ELj4294967295EEENS1_25partition_config_selectorILNS1_17partition_subalgoE3EjNS0_10empty_typeEbEEZZNS1_14partition_implILS8_3ELb0ES6_jNS0_17counting_iteratorIjlEEPS9_SE_NS0_5tupleIJPjSE_EEENSF_IJSE_SE_EEES9_SG_JZNS1_25segmented_radix_sort_implINS0_14default_configELb1EPKbPbPKlPlN2at6native12_GLOBAL__N_18offset_tEEE10hipError_tPvRmT1_PNSt15iterator_traitsISY_E10value_typeET2_T3_PNSZ_IS14_E10value_typeET4_jRbjT5_S1A_jjP12ihipStream_tbEUljE_EEESV_SW_SX_S14_S18_S1A_T6_T7_T9_mT8_S1C_bDpT10_ENKUlT_T0_E_clISt17integral_constantIbLb0EES1O_IbLb1EEEEDaS1K_S1L_EUlS1K_E_NS1_11comp_targetILNS1_3genE10ELNS1_11target_archE1200ELNS1_3gpuE4ELNS1_3repE0EEENS1_30default_config_static_selectorELNS0_4arch9wavefront6targetE0EEEvSY_.kd
    .uniform_work_group_size: 1
    .uses_dynamic_stack: false
    .vgpr_count:     0
    .vgpr_spill_count: 0
    .wavefront_size: 32
  - .args:
      - .offset:         0
        .size:           152
        .value_kind:     by_value
    .group_segment_fixed_size: 0
    .kernarg_segment_align: 8
    .kernarg_segment_size: 152
    .language:       OpenCL C
    .language_version:
      - 2
      - 0
    .max_flat_workgroup_size: 256
    .name:           _ZN7rocprim17ROCPRIM_400000_NS6detail17trampoline_kernelINS0_13select_configILj256ELj13ELNS0_17block_load_methodE3ELS4_3ELS4_3ELNS0_20block_scan_algorithmE0ELj4294967295EEENS1_25partition_config_selectorILNS1_17partition_subalgoE3EjNS0_10empty_typeEbEEZZNS1_14partition_implILS8_3ELb0ES6_jNS0_17counting_iteratorIjlEEPS9_SE_NS0_5tupleIJPjSE_EEENSF_IJSE_SE_EEES9_SG_JZNS1_25segmented_radix_sort_implINS0_14default_configELb1EPKbPbPKlPlN2at6native12_GLOBAL__N_18offset_tEEE10hipError_tPvRmT1_PNSt15iterator_traitsISY_E10value_typeET2_T3_PNSZ_IS14_E10value_typeET4_jRbjT5_S1A_jjP12ihipStream_tbEUljE_EEESV_SW_SX_S14_S18_S1A_T6_T7_T9_mT8_S1C_bDpT10_ENKUlT_T0_E_clISt17integral_constantIbLb0EES1O_IbLb1EEEEDaS1K_S1L_EUlS1K_E_NS1_11comp_targetILNS1_3genE9ELNS1_11target_archE1100ELNS1_3gpuE3ELNS1_3repE0EEENS1_30default_config_static_selectorELNS0_4arch9wavefront6targetE0EEEvSY_
    .private_segment_fixed_size: 0
    .sgpr_count:     0
    .sgpr_spill_count: 0
    .symbol:         _ZN7rocprim17ROCPRIM_400000_NS6detail17trampoline_kernelINS0_13select_configILj256ELj13ELNS0_17block_load_methodE3ELS4_3ELS4_3ELNS0_20block_scan_algorithmE0ELj4294967295EEENS1_25partition_config_selectorILNS1_17partition_subalgoE3EjNS0_10empty_typeEbEEZZNS1_14partition_implILS8_3ELb0ES6_jNS0_17counting_iteratorIjlEEPS9_SE_NS0_5tupleIJPjSE_EEENSF_IJSE_SE_EEES9_SG_JZNS1_25segmented_radix_sort_implINS0_14default_configELb1EPKbPbPKlPlN2at6native12_GLOBAL__N_18offset_tEEE10hipError_tPvRmT1_PNSt15iterator_traitsISY_E10value_typeET2_T3_PNSZ_IS14_E10value_typeET4_jRbjT5_S1A_jjP12ihipStream_tbEUljE_EEESV_SW_SX_S14_S18_S1A_T6_T7_T9_mT8_S1C_bDpT10_ENKUlT_T0_E_clISt17integral_constantIbLb0EES1O_IbLb1EEEEDaS1K_S1L_EUlS1K_E_NS1_11comp_targetILNS1_3genE9ELNS1_11target_archE1100ELNS1_3gpuE3ELNS1_3repE0EEENS1_30default_config_static_selectorELNS0_4arch9wavefront6targetE0EEEvSY_.kd
    .uniform_work_group_size: 1
    .uses_dynamic_stack: false
    .vgpr_count:     0
    .vgpr_spill_count: 0
    .wavefront_size: 32
  - .args:
      - .offset:         0
        .size:           152
        .value_kind:     by_value
    .group_segment_fixed_size: 0
    .kernarg_segment_align: 8
    .kernarg_segment_size: 152
    .language:       OpenCL C
    .language_version:
      - 2
      - 0
    .max_flat_workgroup_size: 256
    .name:           _ZN7rocprim17ROCPRIM_400000_NS6detail17trampoline_kernelINS0_13select_configILj256ELj13ELNS0_17block_load_methodE3ELS4_3ELS4_3ELNS0_20block_scan_algorithmE0ELj4294967295EEENS1_25partition_config_selectorILNS1_17partition_subalgoE3EjNS0_10empty_typeEbEEZZNS1_14partition_implILS8_3ELb0ES6_jNS0_17counting_iteratorIjlEEPS9_SE_NS0_5tupleIJPjSE_EEENSF_IJSE_SE_EEES9_SG_JZNS1_25segmented_radix_sort_implINS0_14default_configELb1EPKbPbPKlPlN2at6native12_GLOBAL__N_18offset_tEEE10hipError_tPvRmT1_PNSt15iterator_traitsISY_E10value_typeET2_T3_PNSZ_IS14_E10value_typeET4_jRbjT5_S1A_jjP12ihipStream_tbEUljE_EEESV_SW_SX_S14_S18_S1A_T6_T7_T9_mT8_S1C_bDpT10_ENKUlT_T0_E_clISt17integral_constantIbLb0EES1O_IbLb1EEEEDaS1K_S1L_EUlS1K_E_NS1_11comp_targetILNS1_3genE8ELNS1_11target_archE1030ELNS1_3gpuE2ELNS1_3repE0EEENS1_30default_config_static_selectorELNS0_4arch9wavefront6targetE0EEEvSY_
    .private_segment_fixed_size: 0
    .sgpr_count:     0
    .sgpr_spill_count: 0
    .symbol:         _ZN7rocprim17ROCPRIM_400000_NS6detail17trampoline_kernelINS0_13select_configILj256ELj13ELNS0_17block_load_methodE3ELS4_3ELS4_3ELNS0_20block_scan_algorithmE0ELj4294967295EEENS1_25partition_config_selectorILNS1_17partition_subalgoE3EjNS0_10empty_typeEbEEZZNS1_14partition_implILS8_3ELb0ES6_jNS0_17counting_iteratorIjlEEPS9_SE_NS0_5tupleIJPjSE_EEENSF_IJSE_SE_EEES9_SG_JZNS1_25segmented_radix_sort_implINS0_14default_configELb1EPKbPbPKlPlN2at6native12_GLOBAL__N_18offset_tEEE10hipError_tPvRmT1_PNSt15iterator_traitsISY_E10value_typeET2_T3_PNSZ_IS14_E10value_typeET4_jRbjT5_S1A_jjP12ihipStream_tbEUljE_EEESV_SW_SX_S14_S18_S1A_T6_T7_T9_mT8_S1C_bDpT10_ENKUlT_T0_E_clISt17integral_constantIbLb0EES1O_IbLb1EEEEDaS1K_S1L_EUlS1K_E_NS1_11comp_targetILNS1_3genE8ELNS1_11target_archE1030ELNS1_3gpuE2ELNS1_3repE0EEENS1_30default_config_static_selectorELNS0_4arch9wavefront6targetE0EEEvSY_.kd
    .uniform_work_group_size: 1
    .uses_dynamic_stack: false
    .vgpr_count:     0
    .vgpr_spill_count: 0
    .wavefront_size: 32
  - .args:
      - .offset:         0
        .size:           96
        .value_kind:     by_value
      - .offset:         96
        .size:           4
        .value_kind:     hidden_block_count_x
      - .offset:         100
        .size:           4
        .value_kind:     hidden_block_count_y
      - .offset:         104
        .size:           4
        .value_kind:     hidden_block_count_z
      - .offset:         108
        .size:           2
        .value_kind:     hidden_group_size_x
      - .offset:         110
        .size:           2
        .value_kind:     hidden_group_size_y
      - .offset:         112
        .size:           2
        .value_kind:     hidden_group_size_z
      - .offset:         114
        .size:           2
        .value_kind:     hidden_remainder_x
      - .offset:         116
        .size:           2
        .value_kind:     hidden_remainder_y
      - .offset:         118
        .size:           2
        .value_kind:     hidden_remainder_z
      - .offset:         136
        .size:           8
        .value_kind:     hidden_global_offset_x
      - .offset:         144
        .size:           8
        .value_kind:     hidden_global_offset_y
      - .offset:         152
        .size:           8
        .value_kind:     hidden_global_offset_z
      - .offset:         160
        .size:           2
        .value_kind:     hidden_grid_dims
      - .offset:         176
        .size:           8
        .value_kind:     hidden_hostcall_buffer
      - .offset:         184
        .size:           8
        .value_kind:     hidden_multigrid_sync_arg
      - .offset:         192
        .size:           8
        .value_kind:     hidden_heap_v1
      - .offset:         200
        .size:           8
        .value_kind:     hidden_default_queue
      - .offset:         208
        .size:           8
        .value_kind:     hidden_completion_action
      - .offset:         296
        .size:           8
        .value_kind:     hidden_queue_ptr
    .group_segment_fixed_size: 35344
    .kernarg_segment_align: 8
    .kernarg_segment_size: 352
    .language:       OpenCL C
    .language_version:
      - 2
      - 0
    .max_flat_workgroup_size: 256
    .name:           _ZN7rocprim17ROCPRIM_400000_NS6detail17trampoline_kernelINS0_14default_configENS1_36segmented_radix_sort_config_selectorIblEEZNS1_25segmented_radix_sort_implIS3_Lb1EPKbPbPKlPlN2at6native12_GLOBAL__N_18offset_tEEE10hipError_tPvRmT1_PNSt15iterator_traitsISK_E10value_typeET2_T3_PNSL_ISQ_E10value_typeET4_jRbjT5_SW_jjP12ihipStream_tbEUlT_E_NS1_11comp_targetILNS1_3genE0ELNS1_11target_archE4294967295ELNS1_3gpuE0ELNS1_3repE0EEENS1_30default_config_static_selectorELNS0_4arch9wavefront6targetE0EEEvSK_
    .private_segment_fixed_size: 0
    .sgpr_count:     63
    .sgpr_spill_count: 0
    .symbol:         _ZN7rocprim17ROCPRIM_400000_NS6detail17trampoline_kernelINS0_14default_configENS1_36segmented_radix_sort_config_selectorIblEEZNS1_25segmented_radix_sort_implIS3_Lb1EPKbPbPKlPlN2at6native12_GLOBAL__N_18offset_tEEE10hipError_tPvRmT1_PNSt15iterator_traitsISK_E10value_typeET2_T3_PNSL_ISQ_E10value_typeET4_jRbjT5_SW_jjP12ihipStream_tbEUlT_E_NS1_11comp_targetILNS1_3genE0ELNS1_11target_archE4294967295ELNS1_3gpuE0ELNS1_3repE0EEENS1_30default_config_static_selectorELNS0_4arch9wavefront6targetE0EEEvSK_.kd
    .uniform_work_group_size: 1
    .uses_dynamic_stack: false
    .vgpr_count:     319
    .vgpr_spill_count: 0
    .wavefront_size: 32
  - .args:
      - .offset:         0
        .size:           96
        .value_kind:     by_value
    .group_segment_fixed_size: 0
    .kernarg_segment_align: 8
    .kernarg_segment_size: 96
    .language:       OpenCL C
    .language_version:
      - 2
      - 0
    .max_flat_workgroup_size: 256
    .name:           _ZN7rocprim17ROCPRIM_400000_NS6detail17trampoline_kernelINS0_14default_configENS1_36segmented_radix_sort_config_selectorIblEEZNS1_25segmented_radix_sort_implIS3_Lb1EPKbPbPKlPlN2at6native12_GLOBAL__N_18offset_tEEE10hipError_tPvRmT1_PNSt15iterator_traitsISK_E10value_typeET2_T3_PNSL_ISQ_E10value_typeET4_jRbjT5_SW_jjP12ihipStream_tbEUlT_E_NS1_11comp_targetILNS1_3genE5ELNS1_11target_archE942ELNS1_3gpuE9ELNS1_3repE0EEENS1_30default_config_static_selectorELNS0_4arch9wavefront6targetE0EEEvSK_
    .private_segment_fixed_size: 0
    .sgpr_count:     0
    .sgpr_spill_count: 0
    .symbol:         _ZN7rocprim17ROCPRIM_400000_NS6detail17trampoline_kernelINS0_14default_configENS1_36segmented_radix_sort_config_selectorIblEEZNS1_25segmented_radix_sort_implIS3_Lb1EPKbPbPKlPlN2at6native12_GLOBAL__N_18offset_tEEE10hipError_tPvRmT1_PNSt15iterator_traitsISK_E10value_typeET2_T3_PNSL_ISQ_E10value_typeET4_jRbjT5_SW_jjP12ihipStream_tbEUlT_E_NS1_11comp_targetILNS1_3genE5ELNS1_11target_archE942ELNS1_3gpuE9ELNS1_3repE0EEENS1_30default_config_static_selectorELNS0_4arch9wavefront6targetE0EEEvSK_.kd
    .uniform_work_group_size: 1
    .uses_dynamic_stack: false
    .vgpr_count:     0
    .vgpr_spill_count: 0
    .wavefront_size: 32
  - .args:
      - .offset:         0
        .size:           96
        .value_kind:     by_value
    .group_segment_fixed_size: 0
    .kernarg_segment_align: 8
    .kernarg_segment_size: 96
    .language:       OpenCL C
    .language_version:
      - 2
      - 0
    .max_flat_workgroup_size: 256
    .name:           _ZN7rocprim17ROCPRIM_400000_NS6detail17trampoline_kernelINS0_14default_configENS1_36segmented_radix_sort_config_selectorIblEEZNS1_25segmented_radix_sort_implIS3_Lb1EPKbPbPKlPlN2at6native12_GLOBAL__N_18offset_tEEE10hipError_tPvRmT1_PNSt15iterator_traitsISK_E10value_typeET2_T3_PNSL_ISQ_E10value_typeET4_jRbjT5_SW_jjP12ihipStream_tbEUlT_E_NS1_11comp_targetILNS1_3genE4ELNS1_11target_archE910ELNS1_3gpuE8ELNS1_3repE0EEENS1_30default_config_static_selectorELNS0_4arch9wavefront6targetE0EEEvSK_
    .private_segment_fixed_size: 0
    .sgpr_count:     0
    .sgpr_spill_count: 0
    .symbol:         _ZN7rocprim17ROCPRIM_400000_NS6detail17trampoline_kernelINS0_14default_configENS1_36segmented_radix_sort_config_selectorIblEEZNS1_25segmented_radix_sort_implIS3_Lb1EPKbPbPKlPlN2at6native12_GLOBAL__N_18offset_tEEE10hipError_tPvRmT1_PNSt15iterator_traitsISK_E10value_typeET2_T3_PNSL_ISQ_E10value_typeET4_jRbjT5_SW_jjP12ihipStream_tbEUlT_E_NS1_11comp_targetILNS1_3genE4ELNS1_11target_archE910ELNS1_3gpuE8ELNS1_3repE0EEENS1_30default_config_static_selectorELNS0_4arch9wavefront6targetE0EEEvSK_.kd
    .uniform_work_group_size: 1
    .uses_dynamic_stack: false
    .vgpr_count:     0
    .vgpr_spill_count: 0
    .wavefront_size: 32
  - .args:
      - .offset:         0
        .size:           96
        .value_kind:     by_value
    .group_segment_fixed_size: 0
    .kernarg_segment_align: 8
    .kernarg_segment_size: 96
    .language:       OpenCL C
    .language_version:
      - 2
      - 0
    .max_flat_workgroup_size: 256
    .name:           _ZN7rocprim17ROCPRIM_400000_NS6detail17trampoline_kernelINS0_14default_configENS1_36segmented_radix_sort_config_selectorIblEEZNS1_25segmented_radix_sort_implIS3_Lb1EPKbPbPKlPlN2at6native12_GLOBAL__N_18offset_tEEE10hipError_tPvRmT1_PNSt15iterator_traitsISK_E10value_typeET2_T3_PNSL_ISQ_E10value_typeET4_jRbjT5_SW_jjP12ihipStream_tbEUlT_E_NS1_11comp_targetILNS1_3genE3ELNS1_11target_archE908ELNS1_3gpuE7ELNS1_3repE0EEENS1_30default_config_static_selectorELNS0_4arch9wavefront6targetE0EEEvSK_
    .private_segment_fixed_size: 0
    .sgpr_count:     0
    .sgpr_spill_count: 0
    .symbol:         _ZN7rocprim17ROCPRIM_400000_NS6detail17trampoline_kernelINS0_14default_configENS1_36segmented_radix_sort_config_selectorIblEEZNS1_25segmented_radix_sort_implIS3_Lb1EPKbPbPKlPlN2at6native12_GLOBAL__N_18offset_tEEE10hipError_tPvRmT1_PNSt15iterator_traitsISK_E10value_typeET2_T3_PNSL_ISQ_E10value_typeET4_jRbjT5_SW_jjP12ihipStream_tbEUlT_E_NS1_11comp_targetILNS1_3genE3ELNS1_11target_archE908ELNS1_3gpuE7ELNS1_3repE0EEENS1_30default_config_static_selectorELNS0_4arch9wavefront6targetE0EEEvSK_.kd
    .uniform_work_group_size: 1
    .uses_dynamic_stack: false
    .vgpr_count:     0
    .vgpr_spill_count: 0
    .wavefront_size: 32
  - .args:
      - .offset:         0
        .size:           96
        .value_kind:     by_value
    .group_segment_fixed_size: 0
    .kernarg_segment_align: 8
    .kernarg_segment_size: 96
    .language:       OpenCL C
    .language_version:
      - 2
      - 0
    .max_flat_workgroup_size: 256
    .name:           _ZN7rocprim17ROCPRIM_400000_NS6detail17trampoline_kernelINS0_14default_configENS1_36segmented_radix_sort_config_selectorIblEEZNS1_25segmented_radix_sort_implIS3_Lb1EPKbPbPKlPlN2at6native12_GLOBAL__N_18offset_tEEE10hipError_tPvRmT1_PNSt15iterator_traitsISK_E10value_typeET2_T3_PNSL_ISQ_E10value_typeET4_jRbjT5_SW_jjP12ihipStream_tbEUlT_E_NS1_11comp_targetILNS1_3genE2ELNS1_11target_archE906ELNS1_3gpuE6ELNS1_3repE0EEENS1_30default_config_static_selectorELNS0_4arch9wavefront6targetE0EEEvSK_
    .private_segment_fixed_size: 0
    .sgpr_count:     0
    .sgpr_spill_count: 0
    .symbol:         _ZN7rocprim17ROCPRIM_400000_NS6detail17trampoline_kernelINS0_14default_configENS1_36segmented_radix_sort_config_selectorIblEEZNS1_25segmented_radix_sort_implIS3_Lb1EPKbPbPKlPlN2at6native12_GLOBAL__N_18offset_tEEE10hipError_tPvRmT1_PNSt15iterator_traitsISK_E10value_typeET2_T3_PNSL_ISQ_E10value_typeET4_jRbjT5_SW_jjP12ihipStream_tbEUlT_E_NS1_11comp_targetILNS1_3genE2ELNS1_11target_archE906ELNS1_3gpuE6ELNS1_3repE0EEENS1_30default_config_static_selectorELNS0_4arch9wavefront6targetE0EEEvSK_.kd
    .uniform_work_group_size: 1
    .uses_dynamic_stack: false
    .vgpr_count:     0
    .vgpr_spill_count: 0
    .wavefront_size: 32
  - .args:
      - .offset:         0
        .size:           96
        .value_kind:     by_value
    .group_segment_fixed_size: 0
    .kernarg_segment_align: 8
    .kernarg_segment_size: 96
    .language:       OpenCL C
    .language_version:
      - 2
      - 0
    .max_flat_workgroup_size: 256
    .name:           _ZN7rocprim17ROCPRIM_400000_NS6detail17trampoline_kernelINS0_14default_configENS1_36segmented_radix_sort_config_selectorIblEEZNS1_25segmented_radix_sort_implIS3_Lb1EPKbPbPKlPlN2at6native12_GLOBAL__N_18offset_tEEE10hipError_tPvRmT1_PNSt15iterator_traitsISK_E10value_typeET2_T3_PNSL_ISQ_E10value_typeET4_jRbjT5_SW_jjP12ihipStream_tbEUlT_E_NS1_11comp_targetILNS1_3genE10ELNS1_11target_archE1201ELNS1_3gpuE5ELNS1_3repE0EEENS1_30default_config_static_selectorELNS0_4arch9wavefront6targetE0EEEvSK_
    .private_segment_fixed_size: 0
    .sgpr_count:     0
    .sgpr_spill_count: 0
    .symbol:         _ZN7rocprim17ROCPRIM_400000_NS6detail17trampoline_kernelINS0_14default_configENS1_36segmented_radix_sort_config_selectorIblEEZNS1_25segmented_radix_sort_implIS3_Lb1EPKbPbPKlPlN2at6native12_GLOBAL__N_18offset_tEEE10hipError_tPvRmT1_PNSt15iterator_traitsISK_E10value_typeET2_T3_PNSL_ISQ_E10value_typeET4_jRbjT5_SW_jjP12ihipStream_tbEUlT_E_NS1_11comp_targetILNS1_3genE10ELNS1_11target_archE1201ELNS1_3gpuE5ELNS1_3repE0EEENS1_30default_config_static_selectorELNS0_4arch9wavefront6targetE0EEEvSK_.kd
    .uniform_work_group_size: 1
    .uses_dynamic_stack: false
    .vgpr_count:     0
    .vgpr_spill_count: 0
    .wavefront_size: 32
  - .args:
      - .offset:         0
        .size:           96
        .value_kind:     by_value
    .group_segment_fixed_size: 0
    .kernarg_segment_align: 8
    .kernarg_segment_size: 96
    .language:       OpenCL C
    .language_version:
      - 2
      - 0
    .max_flat_workgroup_size: 128
    .name:           _ZN7rocprim17ROCPRIM_400000_NS6detail17trampoline_kernelINS0_14default_configENS1_36segmented_radix_sort_config_selectorIblEEZNS1_25segmented_radix_sort_implIS3_Lb1EPKbPbPKlPlN2at6native12_GLOBAL__N_18offset_tEEE10hipError_tPvRmT1_PNSt15iterator_traitsISK_E10value_typeET2_T3_PNSL_ISQ_E10value_typeET4_jRbjT5_SW_jjP12ihipStream_tbEUlT_E_NS1_11comp_targetILNS1_3genE10ELNS1_11target_archE1200ELNS1_3gpuE4ELNS1_3repE0EEENS1_30default_config_static_selectorELNS0_4arch9wavefront6targetE0EEEvSK_
    .private_segment_fixed_size: 0
    .sgpr_count:     0
    .sgpr_spill_count: 0
    .symbol:         _ZN7rocprim17ROCPRIM_400000_NS6detail17trampoline_kernelINS0_14default_configENS1_36segmented_radix_sort_config_selectorIblEEZNS1_25segmented_radix_sort_implIS3_Lb1EPKbPbPKlPlN2at6native12_GLOBAL__N_18offset_tEEE10hipError_tPvRmT1_PNSt15iterator_traitsISK_E10value_typeET2_T3_PNSL_ISQ_E10value_typeET4_jRbjT5_SW_jjP12ihipStream_tbEUlT_E_NS1_11comp_targetILNS1_3genE10ELNS1_11target_archE1200ELNS1_3gpuE4ELNS1_3repE0EEENS1_30default_config_static_selectorELNS0_4arch9wavefront6targetE0EEEvSK_.kd
    .uniform_work_group_size: 1
    .uses_dynamic_stack: false
    .vgpr_count:     0
    .vgpr_spill_count: 0
    .wavefront_size: 32
  - .args:
      - .offset:         0
        .size:           96
        .value_kind:     by_value
    .group_segment_fixed_size: 0
    .kernarg_segment_align: 8
    .kernarg_segment_size: 96
    .language:       OpenCL C
    .language_version:
      - 2
      - 0
    .max_flat_workgroup_size: 256
    .name:           _ZN7rocprim17ROCPRIM_400000_NS6detail17trampoline_kernelINS0_14default_configENS1_36segmented_radix_sort_config_selectorIblEEZNS1_25segmented_radix_sort_implIS3_Lb1EPKbPbPKlPlN2at6native12_GLOBAL__N_18offset_tEEE10hipError_tPvRmT1_PNSt15iterator_traitsISK_E10value_typeET2_T3_PNSL_ISQ_E10value_typeET4_jRbjT5_SW_jjP12ihipStream_tbEUlT_E_NS1_11comp_targetILNS1_3genE9ELNS1_11target_archE1100ELNS1_3gpuE3ELNS1_3repE0EEENS1_30default_config_static_selectorELNS0_4arch9wavefront6targetE0EEEvSK_
    .private_segment_fixed_size: 0
    .sgpr_count:     0
    .sgpr_spill_count: 0
    .symbol:         _ZN7rocprim17ROCPRIM_400000_NS6detail17trampoline_kernelINS0_14default_configENS1_36segmented_radix_sort_config_selectorIblEEZNS1_25segmented_radix_sort_implIS3_Lb1EPKbPbPKlPlN2at6native12_GLOBAL__N_18offset_tEEE10hipError_tPvRmT1_PNSt15iterator_traitsISK_E10value_typeET2_T3_PNSL_ISQ_E10value_typeET4_jRbjT5_SW_jjP12ihipStream_tbEUlT_E_NS1_11comp_targetILNS1_3genE9ELNS1_11target_archE1100ELNS1_3gpuE3ELNS1_3repE0EEENS1_30default_config_static_selectorELNS0_4arch9wavefront6targetE0EEEvSK_.kd
    .uniform_work_group_size: 1
    .uses_dynamic_stack: false
    .vgpr_count:     0
    .vgpr_spill_count: 0
    .wavefront_size: 32
  - .args:
      - .offset:         0
        .size:           96
        .value_kind:     by_value
    .group_segment_fixed_size: 0
    .kernarg_segment_align: 8
    .kernarg_segment_size: 96
    .language:       OpenCL C
    .language_version:
      - 2
      - 0
    .max_flat_workgroup_size: 256
    .name:           _ZN7rocprim17ROCPRIM_400000_NS6detail17trampoline_kernelINS0_14default_configENS1_36segmented_radix_sort_config_selectorIblEEZNS1_25segmented_radix_sort_implIS3_Lb1EPKbPbPKlPlN2at6native12_GLOBAL__N_18offset_tEEE10hipError_tPvRmT1_PNSt15iterator_traitsISK_E10value_typeET2_T3_PNSL_ISQ_E10value_typeET4_jRbjT5_SW_jjP12ihipStream_tbEUlT_E_NS1_11comp_targetILNS1_3genE8ELNS1_11target_archE1030ELNS1_3gpuE2ELNS1_3repE0EEENS1_30default_config_static_selectorELNS0_4arch9wavefront6targetE0EEEvSK_
    .private_segment_fixed_size: 0
    .sgpr_count:     0
    .sgpr_spill_count: 0
    .symbol:         _ZN7rocprim17ROCPRIM_400000_NS6detail17trampoline_kernelINS0_14default_configENS1_36segmented_radix_sort_config_selectorIblEEZNS1_25segmented_radix_sort_implIS3_Lb1EPKbPbPKlPlN2at6native12_GLOBAL__N_18offset_tEEE10hipError_tPvRmT1_PNSt15iterator_traitsISK_E10value_typeET2_T3_PNSL_ISQ_E10value_typeET4_jRbjT5_SW_jjP12ihipStream_tbEUlT_E_NS1_11comp_targetILNS1_3genE8ELNS1_11target_archE1030ELNS1_3gpuE2ELNS1_3repE0EEENS1_30default_config_static_selectorELNS0_4arch9wavefront6targetE0EEEvSK_.kd
    .uniform_work_group_size: 1
    .uses_dynamic_stack: false
    .vgpr_count:     0
    .vgpr_spill_count: 0
    .wavefront_size: 32
  - .args:
      - .offset:         0
        .size:           88
        .value_kind:     by_value
      - .offset:         88
        .size:           4
        .value_kind:     hidden_block_count_x
      - .offset:         92
        .size:           4
        .value_kind:     hidden_block_count_y
      - .offset:         96
        .size:           4
        .value_kind:     hidden_block_count_z
      - .offset:         100
        .size:           2
        .value_kind:     hidden_group_size_x
      - .offset:         102
        .size:           2
        .value_kind:     hidden_group_size_y
      - .offset:         104
        .size:           2
        .value_kind:     hidden_group_size_z
      - .offset:         106
        .size:           2
        .value_kind:     hidden_remainder_x
      - .offset:         108
        .size:           2
        .value_kind:     hidden_remainder_y
      - .offset:         110
        .size:           2
        .value_kind:     hidden_remainder_z
      - .offset:         128
        .size:           8
        .value_kind:     hidden_global_offset_x
      - .offset:         136
        .size:           8
        .value_kind:     hidden_global_offset_y
      - .offset:         144
        .size:           8
        .value_kind:     hidden_global_offset_z
      - .offset:         152
        .size:           2
        .value_kind:     hidden_grid_dims
      - .offset:         168
        .size:           8
        .value_kind:     hidden_hostcall_buffer
      - .offset:         176
        .size:           8
        .value_kind:     hidden_multigrid_sync_arg
      - .offset:         184
        .size:           8
        .value_kind:     hidden_heap_v1
      - .offset:         192
        .size:           8
        .value_kind:     hidden_default_queue
      - .offset:         200
        .size:           8
        .value_kind:     hidden_completion_action
      - .offset:         288
        .size:           8
        .value_kind:     hidden_queue_ptr
    .group_segment_fixed_size: 9216
    .kernarg_segment_align: 8
    .kernarg_segment_size: 344
    .language:       OpenCL C
    .language_version:
      - 2
      - 0
    .max_flat_workgroup_size: 256
    .name:           _ZN7rocprim17ROCPRIM_400000_NS6detail17trampoline_kernelINS0_14default_configENS1_36segmented_radix_sort_config_selectorIblEEZNS1_25segmented_radix_sort_implIS3_Lb1EPKbPbPKlPlN2at6native12_GLOBAL__N_18offset_tEEE10hipError_tPvRmT1_PNSt15iterator_traitsISK_E10value_typeET2_T3_PNSL_ISQ_E10value_typeET4_jRbjT5_SW_jjP12ihipStream_tbEUlT_E0_NS1_11comp_targetILNS1_3genE0ELNS1_11target_archE4294967295ELNS1_3gpuE0ELNS1_3repE0EEENS1_60segmented_radix_sort_warp_sort_medium_config_static_selectorELNS0_4arch9wavefront6targetE0EEEvSK_
    .private_segment_fixed_size: 12
    .sgpr_count:     42
    .sgpr_spill_count: 0
    .symbol:         _ZN7rocprim17ROCPRIM_400000_NS6detail17trampoline_kernelINS0_14default_configENS1_36segmented_radix_sort_config_selectorIblEEZNS1_25segmented_radix_sort_implIS3_Lb1EPKbPbPKlPlN2at6native12_GLOBAL__N_18offset_tEEE10hipError_tPvRmT1_PNSt15iterator_traitsISK_E10value_typeET2_T3_PNSL_ISQ_E10value_typeET4_jRbjT5_SW_jjP12ihipStream_tbEUlT_E0_NS1_11comp_targetILNS1_3genE0ELNS1_11target_archE4294967295ELNS1_3gpuE0ELNS1_3repE0EEENS1_60segmented_radix_sort_warp_sort_medium_config_static_selectorELNS0_4arch9wavefront6targetE0EEEvSK_.kd
    .uniform_work_group_size: 1
    .uses_dynamic_stack: false
    .vgpr_count:     54
    .vgpr_spill_count: 0
    .wavefront_size: 32
  - .args:
      - .offset:         0
        .size:           88
        .value_kind:     by_value
    .group_segment_fixed_size: 0
    .kernarg_segment_align: 8
    .kernarg_segment_size: 88
    .language:       OpenCL C
    .language_version:
      - 2
      - 0
    .max_flat_workgroup_size: 256
    .name:           _ZN7rocprim17ROCPRIM_400000_NS6detail17trampoline_kernelINS0_14default_configENS1_36segmented_radix_sort_config_selectorIblEEZNS1_25segmented_radix_sort_implIS3_Lb1EPKbPbPKlPlN2at6native12_GLOBAL__N_18offset_tEEE10hipError_tPvRmT1_PNSt15iterator_traitsISK_E10value_typeET2_T3_PNSL_ISQ_E10value_typeET4_jRbjT5_SW_jjP12ihipStream_tbEUlT_E0_NS1_11comp_targetILNS1_3genE5ELNS1_11target_archE942ELNS1_3gpuE9ELNS1_3repE0EEENS1_60segmented_radix_sort_warp_sort_medium_config_static_selectorELNS0_4arch9wavefront6targetE0EEEvSK_
    .private_segment_fixed_size: 0
    .sgpr_count:     0
    .sgpr_spill_count: 0
    .symbol:         _ZN7rocprim17ROCPRIM_400000_NS6detail17trampoline_kernelINS0_14default_configENS1_36segmented_radix_sort_config_selectorIblEEZNS1_25segmented_radix_sort_implIS3_Lb1EPKbPbPKlPlN2at6native12_GLOBAL__N_18offset_tEEE10hipError_tPvRmT1_PNSt15iterator_traitsISK_E10value_typeET2_T3_PNSL_ISQ_E10value_typeET4_jRbjT5_SW_jjP12ihipStream_tbEUlT_E0_NS1_11comp_targetILNS1_3genE5ELNS1_11target_archE942ELNS1_3gpuE9ELNS1_3repE0EEENS1_60segmented_radix_sort_warp_sort_medium_config_static_selectorELNS0_4arch9wavefront6targetE0EEEvSK_.kd
    .uniform_work_group_size: 1
    .uses_dynamic_stack: false
    .vgpr_count:     0
    .vgpr_spill_count: 0
    .wavefront_size: 32
  - .args:
      - .offset:         0
        .size:           88
        .value_kind:     by_value
    .group_segment_fixed_size: 0
    .kernarg_segment_align: 8
    .kernarg_segment_size: 88
    .language:       OpenCL C
    .language_version:
      - 2
      - 0
    .max_flat_workgroup_size: 256
    .name:           _ZN7rocprim17ROCPRIM_400000_NS6detail17trampoline_kernelINS0_14default_configENS1_36segmented_radix_sort_config_selectorIblEEZNS1_25segmented_radix_sort_implIS3_Lb1EPKbPbPKlPlN2at6native12_GLOBAL__N_18offset_tEEE10hipError_tPvRmT1_PNSt15iterator_traitsISK_E10value_typeET2_T3_PNSL_ISQ_E10value_typeET4_jRbjT5_SW_jjP12ihipStream_tbEUlT_E0_NS1_11comp_targetILNS1_3genE4ELNS1_11target_archE910ELNS1_3gpuE8ELNS1_3repE0EEENS1_60segmented_radix_sort_warp_sort_medium_config_static_selectorELNS0_4arch9wavefront6targetE0EEEvSK_
    .private_segment_fixed_size: 0
    .sgpr_count:     0
    .sgpr_spill_count: 0
    .symbol:         _ZN7rocprim17ROCPRIM_400000_NS6detail17trampoline_kernelINS0_14default_configENS1_36segmented_radix_sort_config_selectorIblEEZNS1_25segmented_radix_sort_implIS3_Lb1EPKbPbPKlPlN2at6native12_GLOBAL__N_18offset_tEEE10hipError_tPvRmT1_PNSt15iterator_traitsISK_E10value_typeET2_T3_PNSL_ISQ_E10value_typeET4_jRbjT5_SW_jjP12ihipStream_tbEUlT_E0_NS1_11comp_targetILNS1_3genE4ELNS1_11target_archE910ELNS1_3gpuE8ELNS1_3repE0EEENS1_60segmented_radix_sort_warp_sort_medium_config_static_selectorELNS0_4arch9wavefront6targetE0EEEvSK_.kd
    .uniform_work_group_size: 1
    .uses_dynamic_stack: false
    .vgpr_count:     0
    .vgpr_spill_count: 0
    .wavefront_size: 32
  - .args:
      - .offset:         0
        .size:           88
        .value_kind:     by_value
    .group_segment_fixed_size: 0
    .kernarg_segment_align: 8
    .kernarg_segment_size: 88
    .language:       OpenCL C
    .language_version:
      - 2
      - 0
    .max_flat_workgroup_size: 256
    .name:           _ZN7rocprim17ROCPRIM_400000_NS6detail17trampoline_kernelINS0_14default_configENS1_36segmented_radix_sort_config_selectorIblEEZNS1_25segmented_radix_sort_implIS3_Lb1EPKbPbPKlPlN2at6native12_GLOBAL__N_18offset_tEEE10hipError_tPvRmT1_PNSt15iterator_traitsISK_E10value_typeET2_T3_PNSL_ISQ_E10value_typeET4_jRbjT5_SW_jjP12ihipStream_tbEUlT_E0_NS1_11comp_targetILNS1_3genE3ELNS1_11target_archE908ELNS1_3gpuE7ELNS1_3repE0EEENS1_60segmented_radix_sort_warp_sort_medium_config_static_selectorELNS0_4arch9wavefront6targetE0EEEvSK_
    .private_segment_fixed_size: 0
    .sgpr_count:     0
    .sgpr_spill_count: 0
    .symbol:         _ZN7rocprim17ROCPRIM_400000_NS6detail17trampoline_kernelINS0_14default_configENS1_36segmented_radix_sort_config_selectorIblEEZNS1_25segmented_radix_sort_implIS3_Lb1EPKbPbPKlPlN2at6native12_GLOBAL__N_18offset_tEEE10hipError_tPvRmT1_PNSt15iterator_traitsISK_E10value_typeET2_T3_PNSL_ISQ_E10value_typeET4_jRbjT5_SW_jjP12ihipStream_tbEUlT_E0_NS1_11comp_targetILNS1_3genE3ELNS1_11target_archE908ELNS1_3gpuE7ELNS1_3repE0EEENS1_60segmented_radix_sort_warp_sort_medium_config_static_selectorELNS0_4arch9wavefront6targetE0EEEvSK_.kd
    .uniform_work_group_size: 1
    .uses_dynamic_stack: false
    .vgpr_count:     0
    .vgpr_spill_count: 0
    .wavefront_size: 32
  - .args:
      - .offset:         0
        .size:           88
        .value_kind:     by_value
    .group_segment_fixed_size: 0
    .kernarg_segment_align: 8
    .kernarg_segment_size: 88
    .language:       OpenCL C
    .language_version:
      - 2
      - 0
    .max_flat_workgroup_size: 256
    .name:           _ZN7rocprim17ROCPRIM_400000_NS6detail17trampoline_kernelINS0_14default_configENS1_36segmented_radix_sort_config_selectorIblEEZNS1_25segmented_radix_sort_implIS3_Lb1EPKbPbPKlPlN2at6native12_GLOBAL__N_18offset_tEEE10hipError_tPvRmT1_PNSt15iterator_traitsISK_E10value_typeET2_T3_PNSL_ISQ_E10value_typeET4_jRbjT5_SW_jjP12ihipStream_tbEUlT_E0_NS1_11comp_targetILNS1_3genE2ELNS1_11target_archE906ELNS1_3gpuE6ELNS1_3repE0EEENS1_60segmented_radix_sort_warp_sort_medium_config_static_selectorELNS0_4arch9wavefront6targetE0EEEvSK_
    .private_segment_fixed_size: 0
    .sgpr_count:     0
    .sgpr_spill_count: 0
    .symbol:         _ZN7rocprim17ROCPRIM_400000_NS6detail17trampoline_kernelINS0_14default_configENS1_36segmented_radix_sort_config_selectorIblEEZNS1_25segmented_radix_sort_implIS3_Lb1EPKbPbPKlPlN2at6native12_GLOBAL__N_18offset_tEEE10hipError_tPvRmT1_PNSt15iterator_traitsISK_E10value_typeET2_T3_PNSL_ISQ_E10value_typeET4_jRbjT5_SW_jjP12ihipStream_tbEUlT_E0_NS1_11comp_targetILNS1_3genE2ELNS1_11target_archE906ELNS1_3gpuE6ELNS1_3repE0EEENS1_60segmented_radix_sort_warp_sort_medium_config_static_selectorELNS0_4arch9wavefront6targetE0EEEvSK_.kd
    .uniform_work_group_size: 1
    .uses_dynamic_stack: false
    .vgpr_count:     0
    .vgpr_spill_count: 0
    .wavefront_size: 32
  - .args:
      - .offset:         0
        .size:           88
        .value_kind:     by_value
    .group_segment_fixed_size: 0
    .kernarg_segment_align: 8
    .kernarg_segment_size: 88
    .language:       OpenCL C
    .language_version:
      - 2
      - 0
    .max_flat_workgroup_size: 256
    .name:           _ZN7rocprim17ROCPRIM_400000_NS6detail17trampoline_kernelINS0_14default_configENS1_36segmented_radix_sort_config_selectorIblEEZNS1_25segmented_radix_sort_implIS3_Lb1EPKbPbPKlPlN2at6native12_GLOBAL__N_18offset_tEEE10hipError_tPvRmT1_PNSt15iterator_traitsISK_E10value_typeET2_T3_PNSL_ISQ_E10value_typeET4_jRbjT5_SW_jjP12ihipStream_tbEUlT_E0_NS1_11comp_targetILNS1_3genE10ELNS1_11target_archE1201ELNS1_3gpuE5ELNS1_3repE0EEENS1_60segmented_radix_sort_warp_sort_medium_config_static_selectorELNS0_4arch9wavefront6targetE0EEEvSK_
    .private_segment_fixed_size: 0
    .sgpr_count:     0
    .sgpr_spill_count: 0
    .symbol:         _ZN7rocprim17ROCPRIM_400000_NS6detail17trampoline_kernelINS0_14default_configENS1_36segmented_radix_sort_config_selectorIblEEZNS1_25segmented_radix_sort_implIS3_Lb1EPKbPbPKlPlN2at6native12_GLOBAL__N_18offset_tEEE10hipError_tPvRmT1_PNSt15iterator_traitsISK_E10value_typeET2_T3_PNSL_ISQ_E10value_typeET4_jRbjT5_SW_jjP12ihipStream_tbEUlT_E0_NS1_11comp_targetILNS1_3genE10ELNS1_11target_archE1201ELNS1_3gpuE5ELNS1_3repE0EEENS1_60segmented_radix_sort_warp_sort_medium_config_static_selectorELNS0_4arch9wavefront6targetE0EEEvSK_.kd
    .uniform_work_group_size: 1
    .uses_dynamic_stack: false
    .vgpr_count:     0
    .vgpr_spill_count: 0
    .wavefront_size: 32
  - .args:
      - .offset:         0
        .size:           88
        .value_kind:     by_value
    .group_segment_fixed_size: 0
    .kernarg_segment_align: 8
    .kernarg_segment_size: 88
    .language:       OpenCL C
    .language_version:
      - 2
      - 0
    .max_flat_workgroup_size: 256
    .name:           _ZN7rocprim17ROCPRIM_400000_NS6detail17trampoline_kernelINS0_14default_configENS1_36segmented_radix_sort_config_selectorIblEEZNS1_25segmented_radix_sort_implIS3_Lb1EPKbPbPKlPlN2at6native12_GLOBAL__N_18offset_tEEE10hipError_tPvRmT1_PNSt15iterator_traitsISK_E10value_typeET2_T3_PNSL_ISQ_E10value_typeET4_jRbjT5_SW_jjP12ihipStream_tbEUlT_E0_NS1_11comp_targetILNS1_3genE10ELNS1_11target_archE1200ELNS1_3gpuE4ELNS1_3repE0EEENS1_60segmented_radix_sort_warp_sort_medium_config_static_selectorELNS0_4arch9wavefront6targetE0EEEvSK_
    .private_segment_fixed_size: 0
    .sgpr_count:     0
    .sgpr_spill_count: 0
    .symbol:         _ZN7rocprim17ROCPRIM_400000_NS6detail17trampoline_kernelINS0_14default_configENS1_36segmented_radix_sort_config_selectorIblEEZNS1_25segmented_radix_sort_implIS3_Lb1EPKbPbPKlPlN2at6native12_GLOBAL__N_18offset_tEEE10hipError_tPvRmT1_PNSt15iterator_traitsISK_E10value_typeET2_T3_PNSL_ISQ_E10value_typeET4_jRbjT5_SW_jjP12ihipStream_tbEUlT_E0_NS1_11comp_targetILNS1_3genE10ELNS1_11target_archE1200ELNS1_3gpuE4ELNS1_3repE0EEENS1_60segmented_radix_sort_warp_sort_medium_config_static_selectorELNS0_4arch9wavefront6targetE0EEEvSK_.kd
    .uniform_work_group_size: 1
    .uses_dynamic_stack: false
    .vgpr_count:     0
    .vgpr_spill_count: 0
    .wavefront_size: 32
  - .args:
      - .offset:         0
        .size:           88
        .value_kind:     by_value
    .group_segment_fixed_size: 0
    .kernarg_segment_align: 8
    .kernarg_segment_size: 88
    .language:       OpenCL C
    .language_version:
      - 2
      - 0
    .max_flat_workgroup_size: 256
    .name:           _ZN7rocprim17ROCPRIM_400000_NS6detail17trampoline_kernelINS0_14default_configENS1_36segmented_radix_sort_config_selectorIblEEZNS1_25segmented_radix_sort_implIS3_Lb1EPKbPbPKlPlN2at6native12_GLOBAL__N_18offset_tEEE10hipError_tPvRmT1_PNSt15iterator_traitsISK_E10value_typeET2_T3_PNSL_ISQ_E10value_typeET4_jRbjT5_SW_jjP12ihipStream_tbEUlT_E0_NS1_11comp_targetILNS1_3genE9ELNS1_11target_archE1100ELNS1_3gpuE3ELNS1_3repE0EEENS1_60segmented_radix_sort_warp_sort_medium_config_static_selectorELNS0_4arch9wavefront6targetE0EEEvSK_
    .private_segment_fixed_size: 0
    .sgpr_count:     0
    .sgpr_spill_count: 0
    .symbol:         _ZN7rocprim17ROCPRIM_400000_NS6detail17trampoline_kernelINS0_14default_configENS1_36segmented_radix_sort_config_selectorIblEEZNS1_25segmented_radix_sort_implIS3_Lb1EPKbPbPKlPlN2at6native12_GLOBAL__N_18offset_tEEE10hipError_tPvRmT1_PNSt15iterator_traitsISK_E10value_typeET2_T3_PNSL_ISQ_E10value_typeET4_jRbjT5_SW_jjP12ihipStream_tbEUlT_E0_NS1_11comp_targetILNS1_3genE9ELNS1_11target_archE1100ELNS1_3gpuE3ELNS1_3repE0EEENS1_60segmented_radix_sort_warp_sort_medium_config_static_selectorELNS0_4arch9wavefront6targetE0EEEvSK_.kd
    .uniform_work_group_size: 1
    .uses_dynamic_stack: false
    .vgpr_count:     0
    .vgpr_spill_count: 0
    .wavefront_size: 32
  - .args:
      - .offset:         0
        .size:           88
        .value_kind:     by_value
    .group_segment_fixed_size: 0
    .kernarg_segment_align: 8
    .kernarg_segment_size: 88
    .language:       OpenCL C
    .language_version:
      - 2
      - 0
    .max_flat_workgroup_size: 256
    .name:           _ZN7rocprim17ROCPRIM_400000_NS6detail17trampoline_kernelINS0_14default_configENS1_36segmented_radix_sort_config_selectorIblEEZNS1_25segmented_radix_sort_implIS3_Lb1EPKbPbPKlPlN2at6native12_GLOBAL__N_18offset_tEEE10hipError_tPvRmT1_PNSt15iterator_traitsISK_E10value_typeET2_T3_PNSL_ISQ_E10value_typeET4_jRbjT5_SW_jjP12ihipStream_tbEUlT_E0_NS1_11comp_targetILNS1_3genE8ELNS1_11target_archE1030ELNS1_3gpuE2ELNS1_3repE0EEENS1_60segmented_radix_sort_warp_sort_medium_config_static_selectorELNS0_4arch9wavefront6targetE0EEEvSK_
    .private_segment_fixed_size: 0
    .sgpr_count:     0
    .sgpr_spill_count: 0
    .symbol:         _ZN7rocprim17ROCPRIM_400000_NS6detail17trampoline_kernelINS0_14default_configENS1_36segmented_radix_sort_config_selectorIblEEZNS1_25segmented_radix_sort_implIS3_Lb1EPKbPbPKlPlN2at6native12_GLOBAL__N_18offset_tEEE10hipError_tPvRmT1_PNSt15iterator_traitsISK_E10value_typeET2_T3_PNSL_ISQ_E10value_typeET4_jRbjT5_SW_jjP12ihipStream_tbEUlT_E0_NS1_11comp_targetILNS1_3genE8ELNS1_11target_archE1030ELNS1_3gpuE2ELNS1_3repE0EEENS1_60segmented_radix_sort_warp_sort_medium_config_static_selectorELNS0_4arch9wavefront6targetE0EEEvSK_.kd
    .uniform_work_group_size: 1
    .uses_dynamic_stack: false
    .vgpr_count:     0
    .vgpr_spill_count: 0
    .wavefront_size: 32
  - .args:
      - .offset:         0
        .size:           88
        .value_kind:     by_value
      - .offset:         88
        .size:           4
        .value_kind:     hidden_block_count_x
      - .offset:         92
        .size:           4
        .value_kind:     hidden_block_count_y
      - .offset:         96
        .size:           4
        .value_kind:     hidden_block_count_z
      - .offset:         100
        .size:           2
        .value_kind:     hidden_group_size_x
      - .offset:         102
        .size:           2
        .value_kind:     hidden_group_size_y
      - .offset:         104
        .size:           2
        .value_kind:     hidden_group_size_z
      - .offset:         106
        .size:           2
        .value_kind:     hidden_remainder_x
      - .offset:         108
        .size:           2
        .value_kind:     hidden_remainder_y
      - .offset:         110
        .size:           2
        .value_kind:     hidden_remainder_z
      - .offset:         128
        .size:           8
        .value_kind:     hidden_global_offset_x
      - .offset:         136
        .size:           8
        .value_kind:     hidden_global_offset_y
      - .offset:         144
        .size:           8
        .value_kind:     hidden_global_offset_z
      - .offset:         152
        .size:           2
        .value_kind:     hidden_grid_dims
      - .offset:         168
        .size:           8
        .value_kind:     hidden_hostcall_buffer
      - .offset:         176
        .size:           8
        .value_kind:     hidden_multigrid_sync_arg
      - .offset:         184
        .size:           8
        .value_kind:     hidden_heap_v1
      - .offset:         192
        .size:           8
        .value_kind:     hidden_default_queue
      - .offset:         200
        .size:           8
        .value_kind:     hidden_completion_action
      - .offset:         288
        .size:           8
        .value_kind:     hidden_queue_ptr
    .group_segment_fixed_size: 9216
    .kernarg_segment_align: 8
    .kernarg_segment_size: 344
    .language:       OpenCL C
    .language_version:
      - 2
      - 0
    .max_flat_workgroup_size: 256
    .name:           _ZN7rocprim17ROCPRIM_400000_NS6detail17trampoline_kernelINS0_14default_configENS1_36segmented_radix_sort_config_selectorIblEEZNS1_25segmented_radix_sort_implIS3_Lb1EPKbPbPKlPlN2at6native12_GLOBAL__N_18offset_tEEE10hipError_tPvRmT1_PNSt15iterator_traitsISK_E10value_typeET2_T3_PNSL_ISQ_E10value_typeET4_jRbjT5_SW_jjP12ihipStream_tbEUlT_E1_NS1_11comp_targetILNS1_3genE0ELNS1_11target_archE4294967295ELNS1_3gpuE0ELNS1_3repE0EEENS1_59segmented_radix_sort_warp_sort_small_config_static_selectorELNS0_4arch9wavefront6targetE0EEEvSK_
    .private_segment_fixed_size: 12
    .sgpr_count:     42
    .sgpr_spill_count: 0
    .symbol:         _ZN7rocprim17ROCPRIM_400000_NS6detail17trampoline_kernelINS0_14default_configENS1_36segmented_radix_sort_config_selectorIblEEZNS1_25segmented_radix_sort_implIS3_Lb1EPKbPbPKlPlN2at6native12_GLOBAL__N_18offset_tEEE10hipError_tPvRmT1_PNSt15iterator_traitsISK_E10value_typeET2_T3_PNSL_ISQ_E10value_typeET4_jRbjT5_SW_jjP12ihipStream_tbEUlT_E1_NS1_11comp_targetILNS1_3genE0ELNS1_11target_archE4294967295ELNS1_3gpuE0ELNS1_3repE0EEENS1_59segmented_radix_sort_warp_sort_small_config_static_selectorELNS0_4arch9wavefront6targetE0EEEvSK_.kd
    .uniform_work_group_size: 1
    .uses_dynamic_stack: false
    .vgpr_count:     54
    .vgpr_spill_count: 0
    .wavefront_size: 32
  - .args:
      - .offset:         0
        .size:           88
        .value_kind:     by_value
    .group_segment_fixed_size: 0
    .kernarg_segment_align: 8
    .kernarg_segment_size: 88
    .language:       OpenCL C
    .language_version:
      - 2
      - 0
    .max_flat_workgroup_size: 256
    .name:           _ZN7rocprim17ROCPRIM_400000_NS6detail17trampoline_kernelINS0_14default_configENS1_36segmented_radix_sort_config_selectorIblEEZNS1_25segmented_radix_sort_implIS3_Lb1EPKbPbPKlPlN2at6native12_GLOBAL__N_18offset_tEEE10hipError_tPvRmT1_PNSt15iterator_traitsISK_E10value_typeET2_T3_PNSL_ISQ_E10value_typeET4_jRbjT5_SW_jjP12ihipStream_tbEUlT_E1_NS1_11comp_targetILNS1_3genE5ELNS1_11target_archE942ELNS1_3gpuE9ELNS1_3repE0EEENS1_59segmented_radix_sort_warp_sort_small_config_static_selectorELNS0_4arch9wavefront6targetE0EEEvSK_
    .private_segment_fixed_size: 0
    .sgpr_count:     0
    .sgpr_spill_count: 0
    .symbol:         _ZN7rocprim17ROCPRIM_400000_NS6detail17trampoline_kernelINS0_14default_configENS1_36segmented_radix_sort_config_selectorIblEEZNS1_25segmented_radix_sort_implIS3_Lb1EPKbPbPKlPlN2at6native12_GLOBAL__N_18offset_tEEE10hipError_tPvRmT1_PNSt15iterator_traitsISK_E10value_typeET2_T3_PNSL_ISQ_E10value_typeET4_jRbjT5_SW_jjP12ihipStream_tbEUlT_E1_NS1_11comp_targetILNS1_3genE5ELNS1_11target_archE942ELNS1_3gpuE9ELNS1_3repE0EEENS1_59segmented_radix_sort_warp_sort_small_config_static_selectorELNS0_4arch9wavefront6targetE0EEEvSK_.kd
    .uniform_work_group_size: 1
    .uses_dynamic_stack: false
    .vgpr_count:     0
    .vgpr_spill_count: 0
    .wavefront_size: 32
  - .args:
      - .offset:         0
        .size:           88
        .value_kind:     by_value
    .group_segment_fixed_size: 0
    .kernarg_segment_align: 8
    .kernarg_segment_size: 88
    .language:       OpenCL C
    .language_version:
      - 2
      - 0
    .max_flat_workgroup_size: 256
    .name:           _ZN7rocprim17ROCPRIM_400000_NS6detail17trampoline_kernelINS0_14default_configENS1_36segmented_radix_sort_config_selectorIblEEZNS1_25segmented_radix_sort_implIS3_Lb1EPKbPbPKlPlN2at6native12_GLOBAL__N_18offset_tEEE10hipError_tPvRmT1_PNSt15iterator_traitsISK_E10value_typeET2_T3_PNSL_ISQ_E10value_typeET4_jRbjT5_SW_jjP12ihipStream_tbEUlT_E1_NS1_11comp_targetILNS1_3genE4ELNS1_11target_archE910ELNS1_3gpuE8ELNS1_3repE0EEENS1_59segmented_radix_sort_warp_sort_small_config_static_selectorELNS0_4arch9wavefront6targetE0EEEvSK_
    .private_segment_fixed_size: 0
    .sgpr_count:     0
    .sgpr_spill_count: 0
    .symbol:         _ZN7rocprim17ROCPRIM_400000_NS6detail17trampoline_kernelINS0_14default_configENS1_36segmented_radix_sort_config_selectorIblEEZNS1_25segmented_radix_sort_implIS3_Lb1EPKbPbPKlPlN2at6native12_GLOBAL__N_18offset_tEEE10hipError_tPvRmT1_PNSt15iterator_traitsISK_E10value_typeET2_T3_PNSL_ISQ_E10value_typeET4_jRbjT5_SW_jjP12ihipStream_tbEUlT_E1_NS1_11comp_targetILNS1_3genE4ELNS1_11target_archE910ELNS1_3gpuE8ELNS1_3repE0EEENS1_59segmented_radix_sort_warp_sort_small_config_static_selectorELNS0_4arch9wavefront6targetE0EEEvSK_.kd
    .uniform_work_group_size: 1
    .uses_dynamic_stack: false
    .vgpr_count:     0
    .vgpr_spill_count: 0
    .wavefront_size: 32
  - .args:
      - .offset:         0
        .size:           88
        .value_kind:     by_value
    .group_segment_fixed_size: 0
    .kernarg_segment_align: 8
    .kernarg_segment_size: 88
    .language:       OpenCL C
    .language_version:
      - 2
      - 0
    .max_flat_workgroup_size: 256
    .name:           _ZN7rocprim17ROCPRIM_400000_NS6detail17trampoline_kernelINS0_14default_configENS1_36segmented_radix_sort_config_selectorIblEEZNS1_25segmented_radix_sort_implIS3_Lb1EPKbPbPKlPlN2at6native12_GLOBAL__N_18offset_tEEE10hipError_tPvRmT1_PNSt15iterator_traitsISK_E10value_typeET2_T3_PNSL_ISQ_E10value_typeET4_jRbjT5_SW_jjP12ihipStream_tbEUlT_E1_NS1_11comp_targetILNS1_3genE3ELNS1_11target_archE908ELNS1_3gpuE7ELNS1_3repE0EEENS1_59segmented_radix_sort_warp_sort_small_config_static_selectorELNS0_4arch9wavefront6targetE0EEEvSK_
    .private_segment_fixed_size: 0
    .sgpr_count:     0
    .sgpr_spill_count: 0
    .symbol:         _ZN7rocprim17ROCPRIM_400000_NS6detail17trampoline_kernelINS0_14default_configENS1_36segmented_radix_sort_config_selectorIblEEZNS1_25segmented_radix_sort_implIS3_Lb1EPKbPbPKlPlN2at6native12_GLOBAL__N_18offset_tEEE10hipError_tPvRmT1_PNSt15iterator_traitsISK_E10value_typeET2_T3_PNSL_ISQ_E10value_typeET4_jRbjT5_SW_jjP12ihipStream_tbEUlT_E1_NS1_11comp_targetILNS1_3genE3ELNS1_11target_archE908ELNS1_3gpuE7ELNS1_3repE0EEENS1_59segmented_radix_sort_warp_sort_small_config_static_selectorELNS0_4arch9wavefront6targetE0EEEvSK_.kd
    .uniform_work_group_size: 1
    .uses_dynamic_stack: false
    .vgpr_count:     0
    .vgpr_spill_count: 0
    .wavefront_size: 32
  - .args:
      - .offset:         0
        .size:           88
        .value_kind:     by_value
    .group_segment_fixed_size: 0
    .kernarg_segment_align: 8
    .kernarg_segment_size: 88
    .language:       OpenCL C
    .language_version:
      - 2
      - 0
    .max_flat_workgroup_size: 256
    .name:           _ZN7rocprim17ROCPRIM_400000_NS6detail17trampoline_kernelINS0_14default_configENS1_36segmented_radix_sort_config_selectorIblEEZNS1_25segmented_radix_sort_implIS3_Lb1EPKbPbPKlPlN2at6native12_GLOBAL__N_18offset_tEEE10hipError_tPvRmT1_PNSt15iterator_traitsISK_E10value_typeET2_T3_PNSL_ISQ_E10value_typeET4_jRbjT5_SW_jjP12ihipStream_tbEUlT_E1_NS1_11comp_targetILNS1_3genE2ELNS1_11target_archE906ELNS1_3gpuE6ELNS1_3repE0EEENS1_59segmented_radix_sort_warp_sort_small_config_static_selectorELNS0_4arch9wavefront6targetE0EEEvSK_
    .private_segment_fixed_size: 0
    .sgpr_count:     0
    .sgpr_spill_count: 0
    .symbol:         _ZN7rocprim17ROCPRIM_400000_NS6detail17trampoline_kernelINS0_14default_configENS1_36segmented_radix_sort_config_selectorIblEEZNS1_25segmented_radix_sort_implIS3_Lb1EPKbPbPKlPlN2at6native12_GLOBAL__N_18offset_tEEE10hipError_tPvRmT1_PNSt15iterator_traitsISK_E10value_typeET2_T3_PNSL_ISQ_E10value_typeET4_jRbjT5_SW_jjP12ihipStream_tbEUlT_E1_NS1_11comp_targetILNS1_3genE2ELNS1_11target_archE906ELNS1_3gpuE6ELNS1_3repE0EEENS1_59segmented_radix_sort_warp_sort_small_config_static_selectorELNS0_4arch9wavefront6targetE0EEEvSK_.kd
    .uniform_work_group_size: 1
    .uses_dynamic_stack: false
    .vgpr_count:     0
    .vgpr_spill_count: 0
    .wavefront_size: 32
  - .args:
      - .offset:         0
        .size:           88
        .value_kind:     by_value
    .group_segment_fixed_size: 0
    .kernarg_segment_align: 8
    .kernarg_segment_size: 88
    .language:       OpenCL C
    .language_version:
      - 2
      - 0
    .max_flat_workgroup_size: 256
    .name:           _ZN7rocprim17ROCPRIM_400000_NS6detail17trampoline_kernelINS0_14default_configENS1_36segmented_radix_sort_config_selectorIblEEZNS1_25segmented_radix_sort_implIS3_Lb1EPKbPbPKlPlN2at6native12_GLOBAL__N_18offset_tEEE10hipError_tPvRmT1_PNSt15iterator_traitsISK_E10value_typeET2_T3_PNSL_ISQ_E10value_typeET4_jRbjT5_SW_jjP12ihipStream_tbEUlT_E1_NS1_11comp_targetILNS1_3genE10ELNS1_11target_archE1201ELNS1_3gpuE5ELNS1_3repE0EEENS1_59segmented_radix_sort_warp_sort_small_config_static_selectorELNS0_4arch9wavefront6targetE0EEEvSK_
    .private_segment_fixed_size: 0
    .sgpr_count:     0
    .sgpr_spill_count: 0
    .symbol:         _ZN7rocprim17ROCPRIM_400000_NS6detail17trampoline_kernelINS0_14default_configENS1_36segmented_radix_sort_config_selectorIblEEZNS1_25segmented_radix_sort_implIS3_Lb1EPKbPbPKlPlN2at6native12_GLOBAL__N_18offset_tEEE10hipError_tPvRmT1_PNSt15iterator_traitsISK_E10value_typeET2_T3_PNSL_ISQ_E10value_typeET4_jRbjT5_SW_jjP12ihipStream_tbEUlT_E1_NS1_11comp_targetILNS1_3genE10ELNS1_11target_archE1201ELNS1_3gpuE5ELNS1_3repE0EEENS1_59segmented_radix_sort_warp_sort_small_config_static_selectorELNS0_4arch9wavefront6targetE0EEEvSK_.kd
    .uniform_work_group_size: 1
    .uses_dynamic_stack: false
    .vgpr_count:     0
    .vgpr_spill_count: 0
    .wavefront_size: 32
  - .args:
      - .offset:         0
        .size:           88
        .value_kind:     by_value
    .group_segment_fixed_size: 0
    .kernarg_segment_align: 8
    .kernarg_segment_size: 88
    .language:       OpenCL C
    .language_version:
      - 2
      - 0
    .max_flat_workgroup_size: 256
    .name:           _ZN7rocprim17ROCPRIM_400000_NS6detail17trampoline_kernelINS0_14default_configENS1_36segmented_radix_sort_config_selectorIblEEZNS1_25segmented_radix_sort_implIS3_Lb1EPKbPbPKlPlN2at6native12_GLOBAL__N_18offset_tEEE10hipError_tPvRmT1_PNSt15iterator_traitsISK_E10value_typeET2_T3_PNSL_ISQ_E10value_typeET4_jRbjT5_SW_jjP12ihipStream_tbEUlT_E1_NS1_11comp_targetILNS1_3genE10ELNS1_11target_archE1200ELNS1_3gpuE4ELNS1_3repE0EEENS1_59segmented_radix_sort_warp_sort_small_config_static_selectorELNS0_4arch9wavefront6targetE0EEEvSK_
    .private_segment_fixed_size: 0
    .sgpr_count:     0
    .sgpr_spill_count: 0
    .symbol:         _ZN7rocprim17ROCPRIM_400000_NS6detail17trampoline_kernelINS0_14default_configENS1_36segmented_radix_sort_config_selectorIblEEZNS1_25segmented_radix_sort_implIS3_Lb1EPKbPbPKlPlN2at6native12_GLOBAL__N_18offset_tEEE10hipError_tPvRmT1_PNSt15iterator_traitsISK_E10value_typeET2_T3_PNSL_ISQ_E10value_typeET4_jRbjT5_SW_jjP12ihipStream_tbEUlT_E1_NS1_11comp_targetILNS1_3genE10ELNS1_11target_archE1200ELNS1_3gpuE4ELNS1_3repE0EEENS1_59segmented_radix_sort_warp_sort_small_config_static_selectorELNS0_4arch9wavefront6targetE0EEEvSK_.kd
    .uniform_work_group_size: 1
    .uses_dynamic_stack: false
    .vgpr_count:     0
    .vgpr_spill_count: 0
    .wavefront_size: 32
  - .args:
      - .offset:         0
        .size:           88
        .value_kind:     by_value
    .group_segment_fixed_size: 0
    .kernarg_segment_align: 8
    .kernarg_segment_size: 88
    .language:       OpenCL C
    .language_version:
      - 2
      - 0
    .max_flat_workgroup_size: 256
    .name:           _ZN7rocprim17ROCPRIM_400000_NS6detail17trampoline_kernelINS0_14default_configENS1_36segmented_radix_sort_config_selectorIblEEZNS1_25segmented_radix_sort_implIS3_Lb1EPKbPbPKlPlN2at6native12_GLOBAL__N_18offset_tEEE10hipError_tPvRmT1_PNSt15iterator_traitsISK_E10value_typeET2_T3_PNSL_ISQ_E10value_typeET4_jRbjT5_SW_jjP12ihipStream_tbEUlT_E1_NS1_11comp_targetILNS1_3genE9ELNS1_11target_archE1100ELNS1_3gpuE3ELNS1_3repE0EEENS1_59segmented_radix_sort_warp_sort_small_config_static_selectorELNS0_4arch9wavefront6targetE0EEEvSK_
    .private_segment_fixed_size: 0
    .sgpr_count:     0
    .sgpr_spill_count: 0
    .symbol:         _ZN7rocprim17ROCPRIM_400000_NS6detail17trampoline_kernelINS0_14default_configENS1_36segmented_radix_sort_config_selectorIblEEZNS1_25segmented_radix_sort_implIS3_Lb1EPKbPbPKlPlN2at6native12_GLOBAL__N_18offset_tEEE10hipError_tPvRmT1_PNSt15iterator_traitsISK_E10value_typeET2_T3_PNSL_ISQ_E10value_typeET4_jRbjT5_SW_jjP12ihipStream_tbEUlT_E1_NS1_11comp_targetILNS1_3genE9ELNS1_11target_archE1100ELNS1_3gpuE3ELNS1_3repE0EEENS1_59segmented_radix_sort_warp_sort_small_config_static_selectorELNS0_4arch9wavefront6targetE0EEEvSK_.kd
    .uniform_work_group_size: 1
    .uses_dynamic_stack: false
    .vgpr_count:     0
    .vgpr_spill_count: 0
    .wavefront_size: 32
  - .args:
      - .offset:         0
        .size:           88
        .value_kind:     by_value
    .group_segment_fixed_size: 0
    .kernarg_segment_align: 8
    .kernarg_segment_size: 88
    .language:       OpenCL C
    .language_version:
      - 2
      - 0
    .max_flat_workgroup_size: 256
    .name:           _ZN7rocprim17ROCPRIM_400000_NS6detail17trampoline_kernelINS0_14default_configENS1_36segmented_radix_sort_config_selectorIblEEZNS1_25segmented_radix_sort_implIS3_Lb1EPKbPbPKlPlN2at6native12_GLOBAL__N_18offset_tEEE10hipError_tPvRmT1_PNSt15iterator_traitsISK_E10value_typeET2_T3_PNSL_ISQ_E10value_typeET4_jRbjT5_SW_jjP12ihipStream_tbEUlT_E1_NS1_11comp_targetILNS1_3genE8ELNS1_11target_archE1030ELNS1_3gpuE2ELNS1_3repE0EEENS1_59segmented_radix_sort_warp_sort_small_config_static_selectorELNS0_4arch9wavefront6targetE0EEEvSK_
    .private_segment_fixed_size: 0
    .sgpr_count:     0
    .sgpr_spill_count: 0
    .symbol:         _ZN7rocprim17ROCPRIM_400000_NS6detail17trampoline_kernelINS0_14default_configENS1_36segmented_radix_sort_config_selectorIblEEZNS1_25segmented_radix_sort_implIS3_Lb1EPKbPbPKlPlN2at6native12_GLOBAL__N_18offset_tEEE10hipError_tPvRmT1_PNSt15iterator_traitsISK_E10value_typeET2_T3_PNSL_ISQ_E10value_typeET4_jRbjT5_SW_jjP12ihipStream_tbEUlT_E1_NS1_11comp_targetILNS1_3genE8ELNS1_11target_archE1030ELNS1_3gpuE2ELNS1_3repE0EEENS1_59segmented_radix_sort_warp_sort_small_config_static_selectorELNS0_4arch9wavefront6targetE0EEEvSK_.kd
    .uniform_work_group_size: 1
    .uses_dynamic_stack: false
    .vgpr_count:     0
    .vgpr_spill_count: 0
    .wavefront_size: 32
  - .args:
      - .offset:         0
        .size:           80
        .value_kind:     by_value
      - .offset:         80
        .size:           4
        .value_kind:     hidden_block_count_x
      - .offset:         84
        .size:           4
        .value_kind:     hidden_block_count_y
      - .offset:         88
        .size:           4
        .value_kind:     hidden_block_count_z
      - .offset:         92
        .size:           2
        .value_kind:     hidden_group_size_x
      - .offset:         94
        .size:           2
        .value_kind:     hidden_group_size_y
      - .offset:         96
        .size:           2
        .value_kind:     hidden_group_size_z
      - .offset:         98
        .size:           2
        .value_kind:     hidden_remainder_x
      - .offset:         100
        .size:           2
        .value_kind:     hidden_remainder_y
      - .offset:         102
        .size:           2
        .value_kind:     hidden_remainder_z
      - .offset:         120
        .size:           8
        .value_kind:     hidden_global_offset_x
      - .offset:         128
        .size:           8
        .value_kind:     hidden_global_offset_y
      - .offset:         136
        .size:           8
        .value_kind:     hidden_global_offset_z
      - .offset:         144
        .size:           2
        .value_kind:     hidden_grid_dims
      - .offset:         160
        .size:           8
        .value_kind:     hidden_hostcall_buffer
      - .offset:         168
        .size:           8
        .value_kind:     hidden_multigrid_sync_arg
      - .offset:         176
        .size:           8
        .value_kind:     hidden_heap_v1
      - .offset:         184
        .size:           8
        .value_kind:     hidden_default_queue
      - .offset:         192
        .size:           8
        .value_kind:     hidden_completion_action
      - .offset:         280
        .size:           8
        .value_kind:     hidden_queue_ptr
    .group_segment_fixed_size: 35344
    .kernarg_segment_align: 8
    .kernarg_segment_size: 336
    .language:       OpenCL C
    .language_version:
      - 2
      - 0
    .max_flat_workgroup_size: 256
    .name:           _ZN7rocprim17ROCPRIM_400000_NS6detail17trampoline_kernelINS0_14default_configENS1_36segmented_radix_sort_config_selectorIblEEZNS1_25segmented_radix_sort_implIS3_Lb1EPKbPbPKlPlN2at6native12_GLOBAL__N_18offset_tEEE10hipError_tPvRmT1_PNSt15iterator_traitsISK_E10value_typeET2_T3_PNSL_ISQ_E10value_typeET4_jRbjT5_SW_jjP12ihipStream_tbEUlT_E2_NS1_11comp_targetILNS1_3genE0ELNS1_11target_archE4294967295ELNS1_3gpuE0ELNS1_3repE0EEENS1_30default_config_static_selectorELNS0_4arch9wavefront6targetE0EEEvSK_
    .private_segment_fixed_size: 12
    .sgpr_count:     63
    .sgpr_spill_count: 0
    .symbol:         _ZN7rocprim17ROCPRIM_400000_NS6detail17trampoline_kernelINS0_14default_configENS1_36segmented_radix_sort_config_selectorIblEEZNS1_25segmented_radix_sort_implIS3_Lb1EPKbPbPKlPlN2at6native12_GLOBAL__N_18offset_tEEE10hipError_tPvRmT1_PNSt15iterator_traitsISK_E10value_typeET2_T3_PNSL_ISQ_E10value_typeET4_jRbjT5_SW_jjP12ihipStream_tbEUlT_E2_NS1_11comp_targetILNS1_3genE0ELNS1_11target_archE4294967295ELNS1_3gpuE0ELNS1_3repE0EEENS1_30default_config_static_selectorELNS0_4arch9wavefront6targetE0EEEvSK_.kd
    .uniform_work_group_size: 1
    .uses_dynamic_stack: false
    .vgpr_count:     319
    .vgpr_spill_count: 0
    .wavefront_size: 32
  - .args:
      - .offset:         0
        .size:           80
        .value_kind:     by_value
    .group_segment_fixed_size: 0
    .kernarg_segment_align: 8
    .kernarg_segment_size: 80
    .language:       OpenCL C
    .language_version:
      - 2
      - 0
    .max_flat_workgroup_size: 256
    .name:           _ZN7rocprim17ROCPRIM_400000_NS6detail17trampoline_kernelINS0_14default_configENS1_36segmented_radix_sort_config_selectorIblEEZNS1_25segmented_radix_sort_implIS3_Lb1EPKbPbPKlPlN2at6native12_GLOBAL__N_18offset_tEEE10hipError_tPvRmT1_PNSt15iterator_traitsISK_E10value_typeET2_T3_PNSL_ISQ_E10value_typeET4_jRbjT5_SW_jjP12ihipStream_tbEUlT_E2_NS1_11comp_targetILNS1_3genE5ELNS1_11target_archE942ELNS1_3gpuE9ELNS1_3repE0EEENS1_30default_config_static_selectorELNS0_4arch9wavefront6targetE0EEEvSK_
    .private_segment_fixed_size: 0
    .sgpr_count:     0
    .sgpr_spill_count: 0
    .symbol:         _ZN7rocprim17ROCPRIM_400000_NS6detail17trampoline_kernelINS0_14default_configENS1_36segmented_radix_sort_config_selectorIblEEZNS1_25segmented_radix_sort_implIS3_Lb1EPKbPbPKlPlN2at6native12_GLOBAL__N_18offset_tEEE10hipError_tPvRmT1_PNSt15iterator_traitsISK_E10value_typeET2_T3_PNSL_ISQ_E10value_typeET4_jRbjT5_SW_jjP12ihipStream_tbEUlT_E2_NS1_11comp_targetILNS1_3genE5ELNS1_11target_archE942ELNS1_3gpuE9ELNS1_3repE0EEENS1_30default_config_static_selectorELNS0_4arch9wavefront6targetE0EEEvSK_.kd
    .uniform_work_group_size: 1
    .uses_dynamic_stack: false
    .vgpr_count:     0
    .vgpr_spill_count: 0
    .wavefront_size: 32
  - .args:
      - .offset:         0
        .size:           80
        .value_kind:     by_value
    .group_segment_fixed_size: 0
    .kernarg_segment_align: 8
    .kernarg_segment_size: 80
    .language:       OpenCL C
    .language_version:
      - 2
      - 0
    .max_flat_workgroup_size: 256
    .name:           _ZN7rocprim17ROCPRIM_400000_NS6detail17trampoline_kernelINS0_14default_configENS1_36segmented_radix_sort_config_selectorIblEEZNS1_25segmented_radix_sort_implIS3_Lb1EPKbPbPKlPlN2at6native12_GLOBAL__N_18offset_tEEE10hipError_tPvRmT1_PNSt15iterator_traitsISK_E10value_typeET2_T3_PNSL_ISQ_E10value_typeET4_jRbjT5_SW_jjP12ihipStream_tbEUlT_E2_NS1_11comp_targetILNS1_3genE4ELNS1_11target_archE910ELNS1_3gpuE8ELNS1_3repE0EEENS1_30default_config_static_selectorELNS0_4arch9wavefront6targetE0EEEvSK_
    .private_segment_fixed_size: 0
    .sgpr_count:     0
    .sgpr_spill_count: 0
    .symbol:         _ZN7rocprim17ROCPRIM_400000_NS6detail17trampoline_kernelINS0_14default_configENS1_36segmented_radix_sort_config_selectorIblEEZNS1_25segmented_radix_sort_implIS3_Lb1EPKbPbPKlPlN2at6native12_GLOBAL__N_18offset_tEEE10hipError_tPvRmT1_PNSt15iterator_traitsISK_E10value_typeET2_T3_PNSL_ISQ_E10value_typeET4_jRbjT5_SW_jjP12ihipStream_tbEUlT_E2_NS1_11comp_targetILNS1_3genE4ELNS1_11target_archE910ELNS1_3gpuE8ELNS1_3repE0EEENS1_30default_config_static_selectorELNS0_4arch9wavefront6targetE0EEEvSK_.kd
    .uniform_work_group_size: 1
    .uses_dynamic_stack: false
    .vgpr_count:     0
    .vgpr_spill_count: 0
    .wavefront_size: 32
  - .args:
      - .offset:         0
        .size:           80
        .value_kind:     by_value
    .group_segment_fixed_size: 0
    .kernarg_segment_align: 8
    .kernarg_segment_size: 80
    .language:       OpenCL C
    .language_version:
      - 2
      - 0
    .max_flat_workgroup_size: 256
    .name:           _ZN7rocprim17ROCPRIM_400000_NS6detail17trampoline_kernelINS0_14default_configENS1_36segmented_radix_sort_config_selectorIblEEZNS1_25segmented_radix_sort_implIS3_Lb1EPKbPbPKlPlN2at6native12_GLOBAL__N_18offset_tEEE10hipError_tPvRmT1_PNSt15iterator_traitsISK_E10value_typeET2_T3_PNSL_ISQ_E10value_typeET4_jRbjT5_SW_jjP12ihipStream_tbEUlT_E2_NS1_11comp_targetILNS1_3genE3ELNS1_11target_archE908ELNS1_3gpuE7ELNS1_3repE0EEENS1_30default_config_static_selectorELNS0_4arch9wavefront6targetE0EEEvSK_
    .private_segment_fixed_size: 0
    .sgpr_count:     0
    .sgpr_spill_count: 0
    .symbol:         _ZN7rocprim17ROCPRIM_400000_NS6detail17trampoline_kernelINS0_14default_configENS1_36segmented_radix_sort_config_selectorIblEEZNS1_25segmented_radix_sort_implIS3_Lb1EPKbPbPKlPlN2at6native12_GLOBAL__N_18offset_tEEE10hipError_tPvRmT1_PNSt15iterator_traitsISK_E10value_typeET2_T3_PNSL_ISQ_E10value_typeET4_jRbjT5_SW_jjP12ihipStream_tbEUlT_E2_NS1_11comp_targetILNS1_3genE3ELNS1_11target_archE908ELNS1_3gpuE7ELNS1_3repE0EEENS1_30default_config_static_selectorELNS0_4arch9wavefront6targetE0EEEvSK_.kd
    .uniform_work_group_size: 1
    .uses_dynamic_stack: false
    .vgpr_count:     0
    .vgpr_spill_count: 0
    .wavefront_size: 32
  - .args:
      - .offset:         0
        .size:           80
        .value_kind:     by_value
    .group_segment_fixed_size: 0
    .kernarg_segment_align: 8
    .kernarg_segment_size: 80
    .language:       OpenCL C
    .language_version:
      - 2
      - 0
    .max_flat_workgroup_size: 256
    .name:           _ZN7rocprim17ROCPRIM_400000_NS6detail17trampoline_kernelINS0_14default_configENS1_36segmented_radix_sort_config_selectorIblEEZNS1_25segmented_radix_sort_implIS3_Lb1EPKbPbPKlPlN2at6native12_GLOBAL__N_18offset_tEEE10hipError_tPvRmT1_PNSt15iterator_traitsISK_E10value_typeET2_T3_PNSL_ISQ_E10value_typeET4_jRbjT5_SW_jjP12ihipStream_tbEUlT_E2_NS1_11comp_targetILNS1_3genE2ELNS1_11target_archE906ELNS1_3gpuE6ELNS1_3repE0EEENS1_30default_config_static_selectorELNS0_4arch9wavefront6targetE0EEEvSK_
    .private_segment_fixed_size: 0
    .sgpr_count:     0
    .sgpr_spill_count: 0
    .symbol:         _ZN7rocprim17ROCPRIM_400000_NS6detail17trampoline_kernelINS0_14default_configENS1_36segmented_radix_sort_config_selectorIblEEZNS1_25segmented_radix_sort_implIS3_Lb1EPKbPbPKlPlN2at6native12_GLOBAL__N_18offset_tEEE10hipError_tPvRmT1_PNSt15iterator_traitsISK_E10value_typeET2_T3_PNSL_ISQ_E10value_typeET4_jRbjT5_SW_jjP12ihipStream_tbEUlT_E2_NS1_11comp_targetILNS1_3genE2ELNS1_11target_archE906ELNS1_3gpuE6ELNS1_3repE0EEENS1_30default_config_static_selectorELNS0_4arch9wavefront6targetE0EEEvSK_.kd
    .uniform_work_group_size: 1
    .uses_dynamic_stack: false
    .vgpr_count:     0
    .vgpr_spill_count: 0
    .wavefront_size: 32
  - .args:
      - .offset:         0
        .size:           80
        .value_kind:     by_value
    .group_segment_fixed_size: 0
    .kernarg_segment_align: 8
    .kernarg_segment_size: 80
    .language:       OpenCL C
    .language_version:
      - 2
      - 0
    .max_flat_workgroup_size: 256
    .name:           _ZN7rocprim17ROCPRIM_400000_NS6detail17trampoline_kernelINS0_14default_configENS1_36segmented_radix_sort_config_selectorIblEEZNS1_25segmented_radix_sort_implIS3_Lb1EPKbPbPKlPlN2at6native12_GLOBAL__N_18offset_tEEE10hipError_tPvRmT1_PNSt15iterator_traitsISK_E10value_typeET2_T3_PNSL_ISQ_E10value_typeET4_jRbjT5_SW_jjP12ihipStream_tbEUlT_E2_NS1_11comp_targetILNS1_3genE10ELNS1_11target_archE1201ELNS1_3gpuE5ELNS1_3repE0EEENS1_30default_config_static_selectorELNS0_4arch9wavefront6targetE0EEEvSK_
    .private_segment_fixed_size: 0
    .sgpr_count:     0
    .sgpr_spill_count: 0
    .symbol:         _ZN7rocprim17ROCPRIM_400000_NS6detail17trampoline_kernelINS0_14default_configENS1_36segmented_radix_sort_config_selectorIblEEZNS1_25segmented_radix_sort_implIS3_Lb1EPKbPbPKlPlN2at6native12_GLOBAL__N_18offset_tEEE10hipError_tPvRmT1_PNSt15iterator_traitsISK_E10value_typeET2_T3_PNSL_ISQ_E10value_typeET4_jRbjT5_SW_jjP12ihipStream_tbEUlT_E2_NS1_11comp_targetILNS1_3genE10ELNS1_11target_archE1201ELNS1_3gpuE5ELNS1_3repE0EEENS1_30default_config_static_selectorELNS0_4arch9wavefront6targetE0EEEvSK_.kd
    .uniform_work_group_size: 1
    .uses_dynamic_stack: false
    .vgpr_count:     0
    .vgpr_spill_count: 0
    .wavefront_size: 32
  - .args:
      - .offset:         0
        .size:           80
        .value_kind:     by_value
    .group_segment_fixed_size: 0
    .kernarg_segment_align: 8
    .kernarg_segment_size: 80
    .language:       OpenCL C
    .language_version:
      - 2
      - 0
    .max_flat_workgroup_size: 128
    .name:           _ZN7rocprim17ROCPRIM_400000_NS6detail17trampoline_kernelINS0_14default_configENS1_36segmented_radix_sort_config_selectorIblEEZNS1_25segmented_radix_sort_implIS3_Lb1EPKbPbPKlPlN2at6native12_GLOBAL__N_18offset_tEEE10hipError_tPvRmT1_PNSt15iterator_traitsISK_E10value_typeET2_T3_PNSL_ISQ_E10value_typeET4_jRbjT5_SW_jjP12ihipStream_tbEUlT_E2_NS1_11comp_targetILNS1_3genE10ELNS1_11target_archE1200ELNS1_3gpuE4ELNS1_3repE0EEENS1_30default_config_static_selectorELNS0_4arch9wavefront6targetE0EEEvSK_
    .private_segment_fixed_size: 0
    .sgpr_count:     0
    .sgpr_spill_count: 0
    .symbol:         _ZN7rocprim17ROCPRIM_400000_NS6detail17trampoline_kernelINS0_14default_configENS1_36segmented_radix_sort_config_selectorIblEEZNS1_25segmented_radix_sort_implIS3_Lb1EPKbPbPKlPlN2at6native12_GLOBAL__N_18offset_tEEE10hipError_tPvRmT1_PNSt15iterator_traitsISK_E10value_typeET2_T3_PNSL_ISQ_E10value_typeET4_jRbjT5_SW_jjP12ihipStream_tbEUlT_E2_NS1_11comp_targetILNS1_3genE10ELNS1_11target_archE1200ELNS1_3gpuE4ELNS1_3repE0EEENS1_30default_config_static_selectorELNS0_4arch9wavefront6targetE0EEEvSK_.kd
    .uniform_work_group_size: 1
    .uses_dynamic_stack: false
    .vgpr_count:     0
    .vgpr_spill_count: 0
    .wavefront_size: 32
  - .args:
      - .offset:         0
        .size:           80
        .value_kind:     by_value
    .group_segment_fixed_size: 0
    .kernarg_segment_align: 8
    .kernarg_segment_size: 80
    .language:       OpenCL C
    .language_version:
      - 2
      - 0
    .max_flat_workgroup_size: 256
    .name:           _ZN7rocprim17ROCPRIM_400000_NS6detail17trampoline_kernelINS0_14default_configENS1_36segmented_radix_sort_config_selectorIblEEZNS1_25segmented_radix_sort_implIS3_Lb1EPKbPbPKlPlN2at6native12_GLOBAL__N_18offset_tEEE10hipError_tPvRmT1_PNSt15iterator_traitsISK_E10value_typeET2_T3_PNSL_ISQ_E10value_typeET4_jRbjT5_SW_jjP12ihipStream_tbEUlT_E2_NS1_11comp_targetILNS1_3genE9ELNS1_11target_archE1100ELNS1_3gpuE3ELNS1_3repE0EEENS1_30default_config_static_selectorELNS0_4arch9wavefront6targetE0EEEvSK_
    .private_segment_fixed_size: 0
    .sgpr_count:     0
    .sgpr_spill_count: 0
    .symbol:         _ZN7rocprim17ROCPRIM_400000_NS6detail17trampoline_kernelINS0_14default_configENS1_36segmented_radix_sort_config_selectorIblEEZNS1_25segmented_radix_sort_implIS3_Lb1EPKbPbPKlPlN2at6native12_GLOBAL__N_18offset_tEEE10hipError_tPvRmT1_PNSt15iterator_traitsISK_E10value_typeET2_T3_PNSL_ISQ_E10value_typeET4_jRbjT5_SW_jjP12ihipStream_tbEUlT_E2_NS1_11comp_targetILNS1_3genE9ELNS1_11target_archE1100ELNS1_3gpuE3ELNS1_3repE0EEENS1_30default_config_static_selectorELNS0_4arch9wavefront6targetE0EEEvSK_.kd
    .uniform_work_group_size: 1
    .uses_dynamic_stack: false
    .vgpr_count:     0
    .vgpr_spill_count: 0
    .wavefront_size: 32
  - .args:
      - .offset:         0
        .size:           80
        .value_kind:     by_value
    .group_segment_fixed_size: 0
    .kernarg_segment_align: 8
    .kernarg_segment_size: 80
    .language:       OpenCL C
    .language_version:
      - 2
      - 0
    .max_flat_workgroup_size: 256
    .name:           _ZN7rocprim17ROCPRIM_400000_NS6detail17trampoline_kernelINS0_14default_configENS1_36segmented_radix_sort_config_selectorIblEEZNS1_25segmented_radix_sort_implIS3_Lb1EPKbPbPKlPlN2at6native12_GLOBAL__N_18offset_tEEE10hipError_tPvRmT1_PNSt15iterator_traitsISK_E10value_typeET2_T3_PNSL_ISQ_E10value_typeET4_jRbjT5_SW_jjP12ihipStream_tbEUlT_E2_NS1_11comp_targetILNS1_3genE8ELNS1_11target_archE1030ELNS1_3gpuE2ELNS1_3repE0EEENS1_30default_config_static_selectorELNS0_4arch9wavefront6targetE0EEEvSK_
    .private_segment_fixed_size: 0
    .sgpr_count:     0
    .sgpr_spill_count: 0
    .symbol:         _ZN7rocprim17ROCPRIM_400000_NS6detail17trampoline_kernelINS0_14default_configENS1_36segmented_radix_sort_config_selectorIblEEZNS1_25segmented_radix_sort_implIS3_Lb1EPKbPbPKlPlN2at6native12_GLOBAL__N_18offset_tEEE10hipError_tPvRmT1_PNSt15iterator_traitsISK_E10value_typeET2_T3_PNSL_ISQ_E10value_typeET4_jRbjT5_SW_jjP12ihipStream_tbEUlT_E2_NS1_11comp_targetILNS1_3genE8ELNS1_11target_archE1030ELNS1_3gpuE2ELNS1_3repE0EEENS1_30default_config_static_selectorELNS0_4arch9wavefront6targetE0EEEvSK_.kd
    .uniform_work_group_size: 1
    .uses_dynamic_stack: false
    .vgpr_count:     0
    .vgpr_spill_count: 0
    .wavefront_size: 32
  - .args:
      - .offset:         0
        .size:           176
        .value_kind:     by_value
    .group_segment_fixed_size: 13328
    .kernarg_segment_align: 8
    .kernarg_segment_size: 176
    .language:       OpenCL C
    .language_version:
      - 2
      - 0
    .max_flat_workgroup_size: 256
    .name:           _ZN7rocprim17ROCPRIM_400000_NS6detail17trampoline_kernelINS0_13select_configILj256ELj13ELNS0_17block_load_methodE3ELS4_3ELS4_3ELNS0_20block_scan_algorithmE0ELj4294967295EEENS1_25partition_config_selectorILNS1_17partition_subalgoE4EjNS0_10empty_typeEbEEZZNS1_14partition_implILS8_4ELb0ES6_15HIP_vector_typeIjLj2EENS0_17counting_iteratorIjlEEPS9_SG_NS0_5tupleIJPjSI_NS0_16reverse_iteratorISI_EEEEENSH_IJSG_SG_SG_EEES9_SI_JZNS1_25segmented_radix_sort_implINS0_14default_configELb0EPKbPbPKlPlN2at6native12_GLOBAL__N_18offset_tEEE10hipError_tPvRmT1_PNSt15iterator_traitsIS12_E10value_typeET2_T3_PNS13_IS18_E10value_typeET4_jRbjT5_S1E_jjP12ihipStream_tbEUljE_ZNSN_ISO_Lb0ESQ_SR_ST_SU_SY_EESZ_S10_S11_S12_S16_S17_S18_S1B_S1C_jS1D_jS1E_S1E_jjS1G_bEUljE0_EEESZ_S10_S11_S18_S1C_S1E_T6_T7_T9_mT8_S1G_bDpT10_ENKUlT_T0_E_clISt17integral_constantIbLb0EES1U_EEDaS1P_S1Q_EUlS1P_E_NS1_11comp_targetILNS1_3genE0ELNS1_11target_archE4294967295ELNS1_3gpuE0ELNS1_3repE0EEENS1_30default_config_static_selectorELNS0_4arch9wavefront6targetE0EEEvS12_
    .private_segment_fixed_size: 0
    .sgpr_count:     61
    .sgpr_spill_count: 0
    .symbol:         _ZN7rocprim17ROCPRIM_400000_NS6detail17trampoline_kernelINS0_13select_configILj256ELj13ELNS0_17block_load_methodE3ELS4_3ELS4_3ELNS0_20block_scan_algorithmE0ELj4294967295EEENS1_25partition_config_selectorILNS1_17partition_subalgoE4EjNS0_10empty_typeEbEEZZNS1_14partition_implILS8_4ELb0ES6_15HIP_vector_typeIjLj2EENS0_17counting_iteratorIjlEEPS9_SG_NS0_5tupleIJPjSI_NS0_16reverse_iteratorISI_EEEEENSH_IJSG_SG_SG_EEES9_SI_JZNS1_25segmented_radix_sort_implINS0_14default_configELb0EPKbPbPKlPlN2at6native12_GLOBAL__N_18offset_tEEE10hipError_tPvRmT1_PNSt15iterator_traitsIS12_E10value_typeET2_T3_PNS13_IS18_E10value_typeET4_jRbjT5_S1E_jjP12ihipStream_tbEUljE_ZNSN_ISO_Lb0ESQ_SR_ST_SU_SY_EESZ_S10_S11_S12_S16_S17_S18_S1B_S1C_jS1D_jS1E_S1E_jjS1G_bEUljE0_EEESZ_S10_S11_S18_S1C_S1E_T6_T7_T9_mT8_S1G_bDpT10_ENKUlT_T0_E_clISt17integral_constantIbLb0EES1U_EEDaS1P_S1Q_EUlS1P_E_NS1_11comp_targetILNS1_3genE0ELNS1_11target_archE4294967295ELNS1_3gpuE0ELNS1_3repE0EEENS1_30default_config_static_selectorELNS0_4arch9wavefront6targetE0EEEvS12_.kd
    .uniform_work_group_size: 1
    .uses_dynamic_stack: false
    .vgpr_count:     81
    .vgpr_spill_count: 0
    .wavefront_size: 32
  - .args:
      - .offset:         0
        .size:           176
        .value_kind:     by_value
    .group_segment_fixed_size: 0
    .kernarg_segment_align: 8
    .kernarg_segment_size: 176
    .language:       OpenCL C
    .language_version:
      - 2
      - 0
    .max_flat_workgroup_size: 256
    .name:           _ZN7rocprim17ROCPRIM_400000_NS6detail17trampoline_kernelINS0_13select_configILj256ELj13ELNS0_17block_load_methodE3ELS4_3ELS4_3ELNS0_20block_scan_algorithmE0ELj4294967295EEENS1_25partition_config_selectorILNS1_17partition_subalgoE4EjNS0_10empty_typeEbEEZZNS1_14partition_implILS8_4ELb0ES6_15HIP_vector_typeIjLj2EENS0_17counting_iteratorIjlEEPS9_SG_NS0_5tupleIJPjSI_NS0_16reverse_iteratorISI_EEEEENSH_IJSG_SG_SG_EEES9_SI_JZNS1_25segmented_radix_sort_implINS0_14default_configELb0EPKbPbPKlPlN2at6native12_GLOBAL__N_18offset_tEEE10hipError_tPvRmT1_PNSt15iterator_traitsIS12_E10value_typeET2_T3_PNS13_IS18_E10value_typeET4_jRbjT5_S1E_jjP12ihipStream_tbEUljE_ZNSN_ISO_Lb0ESQ_SR_ST_SU_SY_EESZ_S10_S11_S12_S16_S17_S18_S1B_S1C_jS1D_jS1E_S1E_jjS1G_bEUljE0_EEESZ_S10_S11_S18_S1C_S1E_T6_T7_T9_mT8_S1G_bDpT10_ENKUlT_T0_E_clISt17integral_constantIbLb0EES1U_EEDaS1P_S1Q_EUlS1P_E_NS1_11comp_targetILNS1_3genE5ELNS1_11target_archE942ELNS1_3gpuE9ELNS1_3repE0EEENS1_30default_config_static_selectorELNS0_4arch9wavefront6targetE0EEEvS12_
    .private_segment_fixed_size: 0
    .sgpr_count:     0
    .sgpr_spill_count: 0
    .symbol:         _ZN7rocprim17ROCPRIM_400000_NS6detail17trampoline_kernelINS0_13select_configILj256ELj13ELNS0_17block_load_methodE3ELS4_3ELS4_3ELNS0_20block_scan_algorithmE0ELj4294967295EEENS1_25partition_config_selectorILNS1_17partition_subalgoE4EjNS0_10empty_typeEbEEZZNS1_14partition_implILS8_4ELb0ES6_15HIP_vector_typeIjLj2EENS0_17counting_iteratorIjlEEPS9_SG_NS0_5tupleIJPjSI_NS0_16reverse_iteratorISI_EEEEENSH_IJSG_SG_SG_EEES9_SI_JZNS1_25segmented_radix_sort_implINS0_14default_configELb0EPKbPbPKlPlN2at6native12_GLOBAL__N_18offset_tEEE10hipError_tPvRmT1_PNSt15iterator_traitsIS12_E10value_typeET2_T3_PNS13_IS18_E10value_typeET4_jRbjT5_S1E_jjP12ihipStream_tbEUljE_ZNSN_ISO_Lb0ESQ_SR_ST_SU_SY_EESZ_S10_S11_S12_S16_S17_S18_S1B_S1C_jS1D_jS1E_S1E_jjS1G_bEUljE0_EEESZ_S10_S11_S18_S1C_S1E_T6_T7_T9_mT8_S1G_bDpT10_ENKUlT_T0_E_clISt17integral_constantIbLb0EES1U_EEDaS1P_S1Q_EUlS1P_E_NS1_11comp_targetILNS1_3genE5ELNS1_11target_archE942ELNS1_3gpuE9ELNS1_3repE0EEENS1_30default_config_static_selectorELNS0_4arch9wavefront6targetE0EEEvS12_.kd
    .uniform_work_group_size: 1
    .uses_dynamic_stack: false
    .vgpr_count:     0
    .vgpr_spill_count: 0
    .wavefront_size: 32
  - .args:
      - .offset:         0
        .size:           176
        .value_kind:     by_value
    .group_segment_fixed_size: 0
    .kernarg_segment_align: 8
    .kernarg_segment_size: 176
    .language:       OpenCL C
    .language_version:
      - 2
      - 0
    .max_flat_workgroup_size: 256
    .name:           _ZN7rocprim17ROCPRIM_400000_NS6detail17trampoline_kernelINS0_13select_configILj256ELj13ELNS0_17block_load_methodE3ELS4_3ELS4_3ELNS0_20block_scan_algorithmE0ELj4294967295EEENS1_25partition_config_selectorILNS1_17partition_subalgoE4EjNS0_10empty_typeEbEEZZNS1_14partition_implILS8_4ELb0ES6_15HIP_vector_typeIjLj2EENS0_17counting_iteratorIjlEEPS9_SG_NS0_5tupleIJPjSI_NS0_16reverse_iteratorISI_EEEEENSH_IJSG_SG_SG_EEES9_SI_JZNS1_25segmented_radix_sort_implINS0_14default_configELb0EPKbPbPKlPlN2at6native12_GLOBAL__N_18offset_tEEE10hipError_tPvRmT1_PNSt15iterator_traitsIS12_E10value_typeET2_T3_PNS13_IS18_E10value_typeET4_jRbjT5_S1E_jjP12ihipStream_tbEUljE_ZNSN_ISO_Lb0ESQ_SR_ST_SU_SY_EESZ_S10_S11_S12_S16_S17_S18_S1B_S1C_jS1D_jS1E_S1E_jjS1G_bEUljE0_EEESZ_S10_S11_S18_S1C_S1E_T6_T7_T9_mT8_S1G_bDpT10_ENKUlT_T0_E_clISt17integral_constantIbLb0EES1U_EEDaS1P_S1Q_EUlS1P_E_NS1_11comp_targetILNS1_3genE4ELNS1_11target_archE910ELNS1_3gpuE8ELNS1_3repE0EEENS1_30default_config_static_selectorELNS0_4arch9wavefront6targetE0EEEvS12_
    .private_segment_fixed_size: 0
    .sgpr_count:     0
    .sgpr_spill_count: 0
    .symbol:         _ZN7rocprim17ROCPRIM_400000_NS6detail17trampoline_kernelINS0_13select_configILj256ELj13ELNS0_17block_load_methodE3ELS4_3ELS4_3ELNS0_20block_scan_algorithmE0ELj4294967295EEENS1_25partition_config_selectorILNS1_17partition_subalgoE4EjNS0_10empty_typeEbEEZZNS1_14partition_implILS8_4ELb0ES6_15HIP_vector_typeIjLj2EENS0_17counting_iteratorIjlEEPS9_SG_NS0_5tupleIJPjSI_NS0_16reverse_iteratorISI_EEEEENSH_IJSG_SG_SG_EEES9_SI_JZNS1_25segmented_radix_sort_implINS0_14default_configELb0EPKbPbPKlPlN2at6native12_GLOBAL__N_18offset_tEEE10hipError_tPvRmT1_PNSt15iterator_traitsIS12_E10value_typeET2_T3_PNS13_IS18_E10value_typeET4_jRbjT5_S1E_jjP12ihipStream_tbEUljE_ZNSN_ISO_Lb0ESQ_SR_ST_SU_SY_EESZ_S10_S11_S12_S16_S17_S18_S1B_S1C_jS1D_jS1E_S1E_jjS1G_bEUljE0_EEESZ_S10_S11_S18_S1C_S1E_T6_T7_T9_mT8_S1G_bDpT10_ENKUlT_T0_E_clISt17integral_constantIbLb0EES1U_EEDaS1P_S1Q_EUlS1P_E_NS1_11comp_targetILNS1_3genE4ELNS1_11target_archE910ELNS1_3gpuE8ELNS1_3repE0EEENS1_30default_config_static_selectorELNS0_4arch9wavefront6targetE0EEEvS12_.kd
    .uniform_work_group_size: 1
    .uses_dynamic_stack: false
    .vgpr_count:     0
    .vgpr_spill_count: 0
    .wavefront_size: 32
  - .args:
      - .offset:         0
        .size:           176
        .value_kind:     by_value
    .group_segment_fixed_size: 0
    .kernarg_segment_align: 8
    .kernarg_segment_size: 176
    .language:       OpenCL C
    .language_version:
      - 2
      - 0
    .max_flat_workgroup_size: 256
    .name:           _ZN7rocprim17ROCPRIM_400000_NS6detail17trampoline_kernelINS0_13select_configILj256ELj13ELNS0_17block_load_methodE3ELS4_3ELS4_3ELNS0_20block_scan_algorithmE0ELj4294967295EEENS1_25partition_config_selectorILNS1_17partition_subalgoE4EjNS0_10empty_typeEbEEZZNS1_14partition_implILS8_4ELb0ES6_15HIP_vector_typeIjLj2EENS0_17counting_iteratorIjlEEPS9_SG_NS0_5tupleIJPjSI_NS0_16reverse_iteratorISI_EEEEENSH_IJSG_SG_SG_EEES9_SI_JZNS1_25segmented_radix_sort_implINS0_14default_configELb0EPKbPbPKlPlN2at6native12_GLOBAL__N_18offset_tEEE10hipError_tPvRmT1_PNSt15iterator_traitsIS12_E10value_typeET2_T3_PNS13_IS18_E10value_typeET4_jRbjT5_S1E_jjP12ihipStream_tbEUljE_ZNSN_ISO_Lb0ESQ_SR_ST_SU_SY_EESZ_S10_S11_S12_S16_S17_S18_S1B_S1C_jS1D_jS1E_S1E_jjS1G_bEUljE0_EEESZ_S10_S11_S18_S1C_S1E_T6_T7_T9_mT8_S1G_bDpT10_ENKUlT_T0_E_clISt17integral_constantIbLb0EES1U_EEDaS1P_S1Q_EUlS1P_E_NS1_11comp_targetILNS1_3genE3ELNS1_11target_archE908ELNS1_3gpuE7ELNS1_3repE0EEENS1_30default_config_static_selectorELNS0_4arch9wavefront6targetE0EEEvS12_
    .private_segment_fixed_size: 0
    .sgpr_count:     0
    .sgpr_spill_count: 0
    .symbol:         _ZN7rocprim17ROCPRIM_400000_NS6detail17trampoline_kernelINS0_13select_configILj256ELj13ELNS0_17block_load_methodE3ELS4_3ELS4_3ELNS0_20block_scan_algorithmE0ELj4294967295EEENS1_25partition_config_selectorILNS1_17partition_subalgoE4EjNS0_10empty_typeEbEEZZNS1_14partition_implILS8_4ELb0ES6_15HIP_vector_typeIjLj2EENS0_17counting_iteratorIjlEEPS9_SG_NS0_5tupleIJPjSI_NS0_16reverse_iteratorISI_EEEEENSH_IJSG_SG_SG_EEES9_SI_JZNS1_25segmented_radix_sort_implINS0_14default_configELb0EPKbPbPKlPlN2at6native12_GLOBAL__N_18offset_tEEE10hipError_tPvRmT1_PNSt15iterator_traitsIS12_E10value_typeET2_T3_PNS13_IS18_E10value_typeET4_jRbjT5_S1E_jjP12ihipStream_tbEUljE_ZNSN_ISO_Lb0ESQ_SR_ST_SU_SY_EESZ_S10_S11_S12_S16_S17_S18_S1B_S1C_jS1D_jS1E_S1E_jjS1G_bEUljE0_EEESZ_S10_S11_S18_S1C_S1E_T6_T7_T9_mT8_S1G_bDpT10_ENKUlT_T0_E_clISt17integral_constantIbLb0EES1U_EEDaS1P_S1Q_EUlS1P_E_NS1_11comp_targetILNS1_3genE3ELNS1_11target_archE908ELNS1_3gpuE7ELNS1_3repE0EEENS1_30default_config_static_selectorELNS0_4arch9wavefront6targetE0EEEvS12_.kd
    .uniform_work_group_size: 1
    .uses_dynamic_stack: false
    .vgpr_count:     0
    .vgpr_spill_count: 0
    .wavefront_size: 32
  - .args:
      - .offset:         0
        .size:           176
        .value_kind:     by_value
    .group_segment_fixed_size: 0
    .kernarg_segment_align: 8
    .kernarg_segment_size: 176
    .language:       OpenCL C
    .language_version:
      - 2
      - 0
    .max_flat_workgroup_size: 256
    .name:           _ZN7rocprim17ROCPRIM_400000_NS6detail17trampoline_kernelINS0_13select_configILj256ELj13ELNS0_17block_load_methodE3ELS4_3ELS4_3ELNS0_20block_scan_algorithmE0ELj4294967295EEENS1_25partition_config_selectorILNS1_17partition_subalgoE4EjNS0_10empty_typeEbEEZZNS1_14partition_implILS8_4ELb0ES6_15HIP_vector_typeIjLj2EENS0_17counting_iteratorIjlEEPS9_SG_NS0_5tupleIJPjSI_NS0_16reverse_iteratorISI_EEEEENSH_IJSG_SG_SG_EEES9_SI_JZNS1_25segmented_radix_sort_implINS0_14default_configELb0EPKbPbPKlPlN2at6native12_GLOBAL__N_18offset_tEEE10hipError_tPvRmT1_PNSt15iterator_traitsIS12_E10value_typeET2_T3_PNS13_IS18_E10value_typeET4_jRbjT5_S1E_jjP12ihipStream_tbEUljE_ZNSN_ISO_Lb0ESQ_SR_ST_SU_SY_EESZ_S10_S11_S12_S16_S17_S18_S1B_S1C_jS1D_jS1E_S1E_jjS1G_bEUljE0_EEESZ_S10_S11_S18_S1C_S1E_T6_T7_T9_mT8_S1G_bDpT10_ENKUlT_T0_E_clISt17integral_constantIbLb0EES1U_EEDaS1P_S1Q_EUlS1P_E_NS1_11comp_targetILNS1_3genE2ELNS1_11target_archE906ELNS1_3gpuE6ELNS1_3repE0EEENS1_30default_config_static_selectorELNS0_4arch9wavefront6targetE0EEEvS12_
    .private_segment_fixed_size: 0
    .sgpr_count:     0
    .sgpr_spill_count: 0
    .symbol:         _ZN7rocprim17ROCPRIM_400000_NS6detail17trampoline_kernelINS0_13select_configILj256ELj13ELNS0_17block_load_methodE3ELS4_3ELS4_3ELNS0_20block_scan_algorithmE0ELj4294967295EEENS1_25partition_config_selectorILNS1_17partition_subalgoE4EjNS0_10empty_typeEbEEZZNS1_14partition_implILS8_4ELb0ES6_15HIP_vector_typeIjLj2EENS0_17counting_iteratorIjlEEPS9_SG_NS0_5tupleIJPjSI_NS0_16reverse_iteratorISI_EEEEENSH_IJSG_SG_SG_EEES9_SI_JZNS1_25segmented_radix_sort_implINS0_14default_configELb0EPKbPbPKlPlN2at6native12_GLOBAL__N_18offset_tEEE10hipError_tPvRmT1_PNSt15iterator_traitsIS12_E10value_typeET2_T3_PNS13_IS18_E10value_typeET4_jRbjT5_S1E_jjP12ihipStream_tbEUljE_ZNSN_ISO_Lb0ESQ_SR_ST_SU_SY_EESZ_S10_S11_S12_S16_S17_S18_S1B_S1C_jS1D_jS1E_S1E_jjS1G_bEUljE0_EEESZ_S10_S11_S18_S1C_S1E_T6_T7_T9_mT8_S1G_bDpT10_ENKUlT_T0_E_clISt17integral_constantIbLb0EES1U_EEDaS1P_S1Q_EUlS1P_E_NS1_11comp_targetILNS1_3genE2ELNS1_11target_archE906ELNS1_3gpuE6ELNS1_3repE0EEENS1_30default_config_static_selectorELNS0_4arch9wavefront6targetE0EEEvS12_.kd
    .uniform_work_group_size: 1
    .uses_dynamic_stack: false
    .vgpr_count:     0
    .vgpr_spill_count: 0
    .wavefront_size: 32
  - .args:
      - .offset:         0
        .size:           176
        .value_kind:     by_value
    .group_segment_fixed_size: 0
    .kernarg_segment_align: 8
    .kernarg_segment_size: 176
    .language:       OpenCL C
    .language_version:
      - 2
      - 0
    .max_flat_workgroup_size: 256
    .name:           _ZN7rocprim17ROCPRIM_400000_NS6detail17trampoline_kernelINS0_13select_configILj256ELj13ELNS0_17block_load_methodE3ELS4_3ELS4_3ELNS0_20block_scan_algorithmE0ELj4294967295EEENS1_25partition_config_selectorILNS1_17partition_subalgoE4EjNS0_10empty_typeEbEEZZNS1_14partition_implILS8_4ELb0ES6_15HIP_vector_typeIjLj2EENS0_17counting_iteratorIjlEEPS9_SG_NS0_5tupleIJPjSI_NS0_16reverse_iteratorISI_EEEEENSH_IJSG_SG_SG_EEES9_SI_JZNS1_25segmented_radix_sort_implINS0_14default_configELb0EPKbPbPKlPlN2at6native12_GLOBAL__N_18offset_tEEE10hipError_tPvRmT1_PNSt15iterator_traitsIS12_E10value_typeET2_T3_PNS13_IS18_E10value_typeET4_jRbjT5_S1E_jjP12ihipStream_tbEUljE_ZNSN_ISO_Lb0ESQ_SR_ST_SU_SY_EESZ_S10_S11_S12_S16_S17_S18_S1B_S1C_jS1D_jS1E_S1E_jjS1G_bEUljE0_EEESZ_S10_S11_S18_S1C_S1E_T6_T7_T9_mT8_S1G_bDpT10_ENKUlT_T0_E_clISt17integral_constantIbLb0EES1U_EEDaS1P_S1Q_EUlS1P_E_NS1_11comp_targetILNS1_3genE10ELNS1_11target_archE1200ELNS1_3gpuE4ELNS1_3repE0EEENS1_30default_config_static_selectorELNS0_4arch9wavefront6targetE0EEEvS12_
    .private_segment_fixed_size: 0
    .sgpr_count:     0
    .sgpr_spill_count: 0
    .symbol:         _ZN7rocprim17ROCPRIM_400000_NS6detail17trampoline_kernelINS0_13select_configILj256ELj13ELNS0_17block_load_methodE3ELS4_3ELS4_3ELNS0_20block_scan_algorithmE0ELj4294967295EEENS1_25partition_config_selectorILNS1_17partition_subalgoE4EjNS0_10empty_typeEbEEZZNS1_14partition_implILS8_4ELb0ES6_15HIP_vector_typeIjLj2EENS0_17counting_iteratorIjlEEPS9_SG_NS0_5tupleIJPjSI_NS0_16reverse_iteratorISI_EEEEENSH_IJSG_SG_SG_EEES9_SI_JZNS1_25segmented_radix_sort_implINS0_14default_configELb0EPKbPbPKlPlN2at6native12_GLOBAL__N_18offset_tEEE10hipError_tPvRmT1_PNSt15iterator_traitsIS12_E10value_typeET2_T3_PNS13_IS18_E10value_typeET4_jRbjT5_S1E_jjP12ihipStream_tbEUljE_ZNSN_ISO_Lb0ESQ_SR_ST_SU_SY_EESZ_S10_S11_S12_S16_S17_S18_S1B_S1C_jS1D_jS1E_S1E_jjS1G_bEUljE0_EEESZ_S10_S11_S18_S1C_S1E_T6_T7_T9_mT8_S1G_bDpT10_ENKUlT_T0_E_clISt17integral_constantIbLb0EES1U_EEDaS1P_S1Q_EUlS1P_E_NS1_11comp_targetILNS1_3genE10ELNS1_11target_archE1200ELNS1_3gpuE4ELNS1_3repE0EEENS1_30default_config_static_selectorELNS0_4arch9wavefront6targetE0EEEvS12_.kd
    .uniform_work_group_size: 1
    .uses_dynamic_stack: false
    .vgpr_count:     0
    .vgpr_spill_count: 0
    .wavefront_size: 32
  - .args:
      - .offset:         0
        .size:           176
        .value_kind:     by_value
    .group_segment_fixed_size: 0
    .kernarg_segment_align: 8
    .kernarg_segment_size: 176
    .language:       OpenCL C
    .language_version:
      - 2
      - 0
    .max_flat_workgroup_size: 256
    .name:           _ZN7rocprim17ROCPRIM_400000_NS6detail17trampoline_kernelINS0_13select_configILj256ELj13ELNS0_17block_load_methodE3ELS4_3ELS4_3ELNS0_20block_scan_algorithmE0ELj4294967295EEENS1_25partition_config_selectorILNS1_17partition_subalgoE4EjNS0_10empty_typeEbEEZZNS1_14partition_implILS8_4ELb0ES6_15HIP_vector_typeIjLj2EENS0_17counting_iteratorIjlEEPS9_SG_NS0_5tupleIJPjSI_NS0_16reverse_iteratorISI_EEEEENSH_IJSG_SG_SG_EEES9_SI_JZNS1_25segmented_radix_sort_implINS0_14default_configELb0EPKbPbPKlPlN2at6native12_GLOBAL__N_18offset_tEEE10hipError_tPvRmT1_PNSt15iterator_traitsIS12_E10value_typeET2_T3_PNS13_IS18_E10value_typeET4_jRbjT5_S1E_jjP12ihipStream_tbEUljE_ZNSN_ISO_Lb0ESQ_SR_ST_SU_SY_EESZ_S10_S11_S12_S16_S17_S18_S1B_S1C_jS1D_jS1E_S1E_jjS1G_bEUljE0_EEESZ_S10_S11_S18_S1C_S1E_T6_T7_T9_mT8_S1G_bDpT10_ENKUlT_T0_E_clISt17integral_constantIbLb0EES1U_EEDaS1P_S1Q_EUlS1P_E_NS1_11comp_targetILNS1_3genE9ELNS1_11target_archE1100ELNS1_3gpuE3ELNS1_3repE0EEENS1_30default_config_static_selectorELNS0_4arch9wavefront6targetE0EEEvS12_
    .private_segment_fixed_size: 0
    .sgpr_count:     0
    .sgpr_spill_count: 0
    .symbol:         _ZN7rocprim17ROCPRIM_400000_NS6detail17trampoline_kernelINS0_13select_configILj256ELj13ELNS0_17block_load_methodE3ELS4_3ELS4_3ELNS0_20block_scan_algorithmE0ELj4294967295EEENS1_25partition_config_selectorILNS1_17partition_subalgoE4EjNS0_10empty_typeEbEEZZNS1_14partition_implILS8_4ELb0ES6_15HIP_vector_typeIjLj2EENS0_17counting_iteratorIjlEEPS9_SG_NS0_5tupleIJPjSI_NS0_16reverse_iteratorISI_EEEEENSH_IJSG_SG_SG_EEES9_SI_JZNS1_25segmented_radix_sort_implINS0_14default_configELb0EPKbPbPKlPlN2at6native12_GLOBAL__N_18offset_tEEE10hipError_tPvRmT1_PNSt15iterator_traitsIS12_E10value_typeET2_T3_PNS13_IS18_E10value_typeET4_jRbjT5_S1E_jjP12ihipStream_tbEUljE_ZNSN_ISO_Lb0ESQ_SR_ST_SU_SY_EESZ_S10_S11_S12_S16_S17_S18_S1B_S1C_jS1D_jS1E_S1E_jjS1G_bEUljE0_EEESZ_S10_S11_S18_S1C_S1E_T6_T7_T9_mT8_S1G_bDpT10_ENKUlT_T0_E_clISt17integral_constantIbLb0EES1U_EEDaS1P_S1Q_EUlS1P_E_NS1_11comp_targetILNS1_3genE9ELNS1_11target_archE1100ELNS1_3gpuE3ELNS1_3repE0EEENS1_30default_config_static_selectorELNS0_4arch9wavefront6targetE0EEEvS12_.kd
    .uniform_work_group_size: 1
    .uses_dynamic_stack: false
    .vgpr_count:     0
    .vgpr_spill_count: 0
    .wavefront_size: 32
  - .args:
      - .offset:         0
        .size:           176
        .value_kind:     by_value
    .group_segment_fixed_size: 0
    .kernarg_segment_align: 8
    .kernarg_segment_size: 176
    .language:       OpenCL C
    .language_version:
      - 2
      - 0
    .max_flat_workgroup_size: 256
    .name:           _ZN7rocprim17ROCPRIM_400000_NS6detail17trampoline_kernelINS0_13select_configILj256ELj13ELNS0_17block_load_methodE3ELS4_3ELS4_3ELNS0_20block_scan_algorithmE0ELj4294967295EEENS1_25partition_config_selectorILNS1_17partition_subalgoE4EjNS0_10empty_typeEbEEZZNS1_14partition_implILS8_4ELb0ES6_15HIP_vector_typeIjLj2EENS0_17counting_iteratorIjlEEPS9_SG_NS0_5tupleIJPjSI_NS0_16reverse_iteratorISI_EEEEENSH_IJSG_SG_SG_EEES9_SI_JZNS1_25segmented_radix_sort_implINS0_14default_configELb0EPKbPbPKlPlN2at6native12_GLOBAL__N_18offset_tEEE10hipError_tPvRmT1_PNSt15iterator_traitsIS12_E10value_typeET2_T3_PNS13_IS18_E10value_typeET4_jRbjT5_S1E_jjP12ihipStream_tbEUljE_ZNSN_ISO_Lb0ESQ_SR_ST_SU_SY_EESZ_S10_S11_S12_S16_S17_S18_S1B_S1C_jS1D_jS1E_S1E_jjS1G_bEUljE0_EEESZ_S10_S11_S18_S1C_S1E_T6_T7_T9_mT8_S1G_bDpT10_ENKUlT_T0_E_clISt17integral_constantIbLb0EES1U_EEDaS1P_S1Q_EUlS1P_E_NS1_11comp_targetILNS1_3genE8ELNS1_11target_archE1030ELNS1_3gpuE2ELNS1_3repE0EEENS1_30default_config_static_selectorELNS0_4arch9wavefront6targetE0EEEvS12_
    .private_segment_fixed_size: 0
    .sgpr_count:     0
    .sgpr_spill_count: 0
    .symbol:         _ZN7rocprim17ROCPRIM_400000_NS6detail17trampoline_kernelINS0_13select_configILj256ELj13ELNS0_17block_load_methodE3ELS4_3ELS4_3ELNS0_20block_scan_algorithmE0ELj4294967295EEENS1_25partition_config_selectorILNS1_17partition_subalgoE4EjNS0_10empty_typeEbEEZZNS1_14partition_implILS8_4ELb0ES6_15HIP_vector_typeIjLj2EENS0_17counting_iteratorIjlEEPS9_SG_NS0_5tupleIJPjSI_NS0_16reverse_iteratorISI_EEEEENSH_IJSG_SG_SG_EEES9_SI_JZNS1_25segmented_radix_sort_implINS0_14default_configELb0EPKbPbPKlPlN2at6native12_GLOBAL__N_18offset_tEEE10hipError_tPvRmT1_PNSt15iterator_traitsIS12_E10value_typeET2_T3_PNS13_IS18_E10value_typeET4_jRbjT5_S1E_jjP12ihipStream_tbEUljE_ZNSN_ISO_Lb0ESQ_SR_ST_SU_SY_EESZ_S10_S11_S12_S16_S17_S18_S1B_S1C_jS1D_jS1E_S1E_jjS1G_bEUljE0_EEESZ_S10_S11_S18_S1C_S1E_T6_T7_T9_mT8_S1G_bDpT10_ENKUlT_T0_E_clISt17integral_constantIbLb0EES1U_EEDaS1P_S1Q_EUlS1P_E_NS1_11comp_targetILNS1_3genE8ELNS1_11target_archE1030ELNS1_3gpuE2ELNS1_3repE0EEENS1_30default_config_static_selectorELNS0_4arch9wavefront6targetE0EEEvS12_.kd
    .uniform_work_group_size: 1
    .uses_dynamic_stack: false
    .vgpr_count:     0
    .vgpr_spill_count: 0
    .wavefront_size: 32
  - .args:
      - .offset:         0
        .size:           184
        .value_kind:     by_value
    .group_segment_fixed_size: 0
    .kernarg_segment_align: 8
    .kernarg_segment_size: 184
    .language:       OpenCL C
    .language_version:
      - 2
      - 0
    .max_flat_workgroup_size: 256
    .name:           _ZN7rocprim17ROCPRIM_400000_NS6detail17trampoline_kernelINS0_13select_configILj256ELj13ELNS0_17block_load_methodE3ELS4_3ELS4_3ELNS0_20block_scan_algorithmE0ELj4294967295EEENS1_25partition_config_selectorILNS1_17partition_subalgoE4EjNS0_10empty_typeEbEEZZNS1_14partition_implILS8_4ELb0ES6_15HIP_vector_typeIjLj2EENS0_17counting_iteratorIjlEEPS9_SG_NS0_5tupleIJPjSI_NS0_16reverse_iteratorISI_EEEEENSH_IJSG_SG_SG_EEES9_SI_JZNS1_25segmented_radix_sort_implINS0_14default_configELb0EPKbPbPKlPlN2at6native12_GLOBAL__N_18offset_tEEE10hipError_tPvRmT1_PNSt15iterator_traitsIS12_E10value_typeET2_T3_PNS13_IS18_E10value_typeET4_jRbjT5_S1E_jjP12ihipStream_tbEUljE_ZNSN_ISO_Lb0ESQ_SR_ST_SU_SY_EESZ_S10_S11_S12_S16_S17_S18_S1B_S1C_jS1D_jS1E_S1E_jjS1G_bEUljE0_EEESZ_S10_S11_S18_S1C_S1E_T6_T7_T9_mT8_S1G_bDpT10_ENKUlT_T0_E_clISt17integral_constantIbLb1EES1U_EEDaS1P_S1Q_EUlS1P_E_NS1_11comp_targetILNS1_3genE0ELNS1_11target_archE4294967295ELNS1_3gpuE0ELNS1_3repE0EEENS1_30default_config_static_selectorELNS0_4arch9wavefront6targetE0EEEvS12_
    .private_segment_fixed_size: 0
    .sgpr_count:     0
    .sgpr_spill_count: 0
    .symbol:         _ZN7rocprim17ROCPRIM_400000_NS6detail17trampoline_kernelINS0_13select_configILj256ELj13ELNS0_17block_load_methodE3ELS4_3ELS4_3ELNS0_20block_scan_algorithmE0ELj4294967295EEENS1_25partition_config_selectorILNS1_17partition_subalgoE4EjNS0_10empty_typeEbEEZZNS1_14partition_implILS8_4ELb0ES6_15HIP_vector_typeIjLj2EENS0_17counting_iteratorIjlEEPS9_SG_NS0_5tupleIJPjSI_NS0_16reverse_iteratorISI_EEEEENSH_IJSG_SG_SG_EEES9_SI_JZNS1_25segmented_radix_sort_implINS0_14default_configELb0EPKbPbPKlPlN2at6native12_GLOBAL__N_18offset_tEEE10hipError_tPvRmT1_PNSt15iterator_traitsIS12_E10value_typeET2_T3_PNS13_IS18_E10value_typeET4_jRbjT5_S1E_jjP12ihipStream_tbEUljE_ZNSN_ISO_Lb0ESQ_SR_ST_SU_SY_EESZ_S10_S11_S12_S16_S17_S18_S1B_S1C_jS1D_jS1E_S1E_jjS1G_bEUljE0_EEESZ_S10_S11_S18_S1C_S1E_T6_T7_T9_mT8_S1G_bDpT10_ENKUlT_T0_E_clISt17integral_constantIbLb1EES1U_EEDaS1P_S1Q_EUlS1P_E_NS1_11comp_targetILNS1_3genE0ELNS1_11target_archE4294967295ELNS1_3gpuE0ELNS1_3repE0EEENS1_30default_config_static_selectorELNS0_4arch9wavefront6targetE0EEEvS12_.kd
    .uniform_work_group_size: 1
    .uses_dynamic_stack: false
    .vgpr_count:     0
    .vgpr_spill_count: 0
    .wavefront_size: 32
  - .args:
      - .offset:         0
        .size:           184
        .value_kind:     by_value
    .group_segment_fixed_size: 0
    .kernarg_segment_align: 8
    .kernarg_segment_size: 184
    .language:       OpenCL C
    .language_version:
      - 2
      - 0
    .max_flat_workgroup_size: 256
    .name:           _ZN7rocprim17ROCPRIM_400000_NS6detail17trampoline_kernelINS0_13select_configILj256ELj13ELNS0_17block_load_methodE3ELS4_3ELS4_3ELNS0_20block_scan_algorithmE0ELj4294967295EEENS1_25partition_config_selectorILNS1_17partition_subalgoE4EjNS0_10empty_typeEbEEZZNS1_14partition_implILS8_4ELb0ES6_15HIP_vector_typeIjLj2EENS0_17counting_iteratorIjlEEPS9_SG_NS0_5tupleIJPjSI_NS0_16reverse_iteratorISI_EEEEENSH_IJSG_SG_SG_EEES9_SI_JZNS1_25segmented_radix_sort_implINS0_14default_configELb0EPKbPbPKlPlN2at6native12_GLOBAL__N_18offset_tEEE10hipError_tPvRmT1_PNSt15iterator_traitsIS12_E10value_typeET2_T3_PNS13_IS18_E10value_typeET4_jRbjT5_S1E_jjP12ihipStream_tbEUljE_ZNSN_ISO_Lb0ESQ_SR_ST_SU_SY_EESZ_S10_S11_S12_S16_S17_S18_S1B_S1C_jS1D_jS1E_S1E_jjS1G_bEUljE0_EEESZ_S10_S11_S18_S1C_S1E_T6_T7_T9_mT8_S1G_bDpT10_ENKUlT_T0_E_clISt17integral_constantIbLb1EES1U_EEDaS1P_S1Q_EUlS1P_E_NS1_11comp_targetILNS1_3genE5ELNS1_11target_archE942ELNS1_3gpuE9ELNS1_3repE0EEENS1_30default_config_static_selectorELNS0_4arch9wavefront6targetE0EEEvS12_
    .private_segment_fixed_size: 0
    .sgpr_count:     0
    .sgpr_spill_count: 0
    .symbol:         _ZN7rocprim17ROCPRIM_400000_NS6detail17trampoline_kernelINS0_13select_configILj256ELj13ELNS0_17block_load_methodE3ELS4_3ELS4_3ELNS0_20block_scan_algorithmE0ELj4294967295EEENS1_25partition_config_selectorILNS1_17partition_subalgoE4EjNS0_10empty_typeEbEEZZNS1_14partition_implILS8_4ELb0ES6_15HIP_vector_typeIjLj2EENS0_17counting_iteratorIjlEEPS9_SG_NS0_5tupleIJPjSI_NS0_16reverse_iteratorISI_EEEEENSH_IJSG_SG_SG_EEES9_SI_JZNS1_25segmented_radix_sort_implINS0_14default_configELb0EPKbPbPKlPlN2at6native12_GLOBAL__N_18offset_tEEE10hipError_tPvRmT1_PNSt15iterator_traitsIS12_E10value_typeET2_T3_PNS13_IS18_E10value_typeET4_jRbjT5_S1E_jjP12ihipStream_tbEUljE_ZNSN_ISO_Lb0ESQ_SR_ST_SU_SY_EESZ_S10_S11_S12_S16_S17_S18_S1B_S1C_jS1D_jS1E_S1E_jjS1G_bEUljE0_EEESZ_S10_S11_S18_S1C_S1E_T6_T7_T9_mT8_S1G_bDpT10_ENKUlT_T0_E_clISt17integral_constantIbLb1EES1U_EEDaS1P_S1Q_EUlS1P_E_NS1_11comp_targetILNS1_3genE5ELNS1_11target_archE942ELNS1_3gpuE9ELNS1_3repE0EEENS1_30default_config_static_selectorELNS0_4arch9wavefront6targetE0EEEvS12_.kd
    .uniform_work_group_size: 1
    .uses_dynamic_stack: false
    .vgpr_count:     0
    .vgpr_spill_count: 0
    .wavefront_size: 32
  - .args:
      - .offset:         0
        .size:           184
        .value_kind:     by_value
    .group_segment_fixed_size: 0
    .kernarg_segment_align: 8
    .kernarg_segment_size: 184
    .language:       OpenCL C
    .language_version:
      - 2
      - 0
    .max_flat_workgroup_size: 256
    .name:           _ZN7rocprim17ROCPRIM_400000_NS6detail17trampoline_kernelINS0_13select_configILj256ELj13ELNS0_17block_load_methodE3ELS4_3ELS4_3ELNS0_20block_scan_algorithmE0ELj4294967295EEENS1_25partition_config_selectorILNS1_17partition_subalgoE4EjNS0_10empty_typeEbEEZZNS1_14partition_implILS8_4ELb0ES6_15HIP_vector_typeIjLj2EENS0_17counting_iteratorIjlEEPS9_SG_NS0_5tupleIJPjSI_NS0_16reverse_iteratorISI_EEEEENSH_IJSG_SG_SG_EEES9_SI_JZNS1_25segmented_radix_sort_implINS0_14default_configELb0EPKbPbPKlPlN2at6native12_GLOBAL__N_18offset_tEEE10hipError_tPvRmT1_PNSt15iterator_traitsIS12_E10value_typeET2_T3_PNS13_IS18_E10value_typeET4_jRbjT5_S1E_jjP12ihipStream_tbEUljE_ZNSN_ISO_Lb0ESQ_SR_ST_SU_SY_EESZ_S10_S11_S12_S16_S17_S18_S1B_S1C_jS1D_jS1E_S1E_jjS1G_bEUljE0_EEESZ_S10_S11_S18_S1C_S1E_T6_T7_T9_mT8_S1G_bDpT10_ENKUlT_T0_E_clISt17integral_constantIbLb1EES1U_EEDaS1P_S1Q_EUlS1P_E_NS1_11comp_targetILNS1_3genE4ELNS1_11target_archE910ELNS1_3gpuE8ELNS1_3repE0EEENS1_30default_config_static_selectorELNS0_4arch9wavefront6targetE0EEEvS12_
    .private_segment_fixed_size: 0
    .sgpr_count:     0
    .sgpr_spill_count: 0
    .symbol:         _ZN7rocprim17ROCPRIM_400000_NS6detail17trampoline_kernelINS0_13select_configILj256ELj13ELNS0_17block_load_methodE3ELS4_3ELS4_3ELNS0_20block_scan_algorithmE0ELj4294967295EEENS1_25partition_config_selectorILNS1_17partition_subalgoE4EjNS0_10empty_typeEbEEZZNS1_14partition_implILS8_4ELb0ES6_15HIP_vector_typeIjLj2EENS0_17counting_iteratorIjlEEPS9_SG_NS0_5tupleIJPjSI_NS0_16reverse_iteratorISI_EEEEENSH_IJSG_SG_SG_EEES9_SI_JZNS1_25segmented_radix_sort_implINS0_14default_configELb0EPKbPbPKlPlN2at6native12_GLOBAL__N_18offset_tEEE10hipError_tPvRmT1_PNSt15iterator_traitsIS12_E10value_typeET2_T3_PNS13_IS18_E10value_typeET4_jRbjT5_S1E_jjP12ihipStream_tbEUljE_ZNSN_ISO_Lb0ESQ_SR_ST_SU_SY_EESZ_S10_S11_S12_S16_S17_S18_S1B_S1C_jS1D_jS1E_S1E_jjS1G_bEUljE0_EEESZ_S10_S11_S18_S1C_S1E_T6_T7_T9_mT8_S1G_bDpT10_ENKUlT_T0_E_clISt17integral_constantIbLb1EES1U_EEDaS1P_S1Q_EUlS1P_E_NS1_11comp_targetILNS1_3genE4ELNS1_11target_archE910ELNS1_3gpuE8ELNS1_3repE0EEENS1_30default_config_static_selectorELNS0_4arch9wavefront6targetE0EEEvS12_.kd
    .uniform_work_group_size: 1
    .uses_dynamic_stack: false
    .vgpr_count:     0
    .vgpr_spill_count: 0
    .wavefront_size: 32
  - .args:
      - .offset:         0
        .size:           184
        .value_kind:     by_value
    .group_segment_fixed_size: 0
    .kernarg_segment_align: 8
    .kernarg_segment_size: 184
    .language:       OpenCL C
    .language_version:
      - 2
      - 0
    .max_flat_workgroup_size: 256
    .name:           _ZN7rocprim17ROCPRIM_400000_NS6detail17trampoline_kernelINS0_13select_configILj256ELj13ELNS0_17block_load_methodE3ELS4_3ELS4_3ELNS0_20block_scan_algorithmE0ELj4294967295EEENS1_25partition_config_selectorILNS1_17partition_subalgoE4EjNS0_10empty_typeEbEEZZNS1_14partition_implILS8_4ELb0ES6_15HIP_vector_typeIjLj2EENS0_17counting_iteratorIjlEEPS9_SG_NS0_5tupleIJPjSI_NS0_16reverse_iteratorISI_EEEEENSH_IJSG_SG_SG_EEES9_SI_JZNS1_25segmented_radix_sort_implINS0_14default_configELb0EPKbPbPKlPlN2at6native12_GLOBAL__N_18offset_tEEE10hipError_tPvRmT1_PNSt15iterator_traitsIS12_E10value_typeET2_T3_PNS13_IS18_E10value_typeET4_jRbjT5_S1E_jjP12ihipStream_tbEUljE_ZNSN_ISO_Lb0ESQ_SR_ST_SU_SY_EESZ_S10_S11_S12_S16_S17_S18_S1B_S1C_jS1D_jS1E_S1E_jjS1G_bEUljE0_EEESZ_S10_S11_S18_S1C_S1E_T6_T7_T9_mT8_S1G_bDpT10_ENKUlT_T0_E_clISt17integral_constantIbLb1EES1U_EEDaS1P_S1Q_EUlS1P_E_NS1_11comp_targetILNS1_3genE3ELNS1_11target_archE908ELNS1_3gpuE7ELNS1_3repE0EEENS1_30default_config_static_selectorELNS0_4arch9wavefront6targetE0EEEvS12_
    .private_segment_fixed_size: 0
    .sgpr_count:     0
    .sgpr_spill_count: 0
    .symbol:         _ZN7rocprim17ROCPRIM_400000_NS6detail17trampoline_kernelINS0_13select_configILj256ELj13ELNS0_17block_load_methodE3ELS4_3ELS4_3ELNS0_20block_scan_algorithmE0ELj4294967295EEENS1_25partition_config_selectorILNS1_17partition_subalgoE4EjNS0_10empty_typeEbEEZZNS1_14partition_implILS8_4ELb0ES6_15HIP_vector_typeIjLj2EENS0_17counting_iteratorIjlEEPS9_SG_NS0_5tupleIJPjSI_NS0_16reverse_iteratorISI_EEEEENSH_IJSG_SG_SG_EEES9_SI_JZNS1_25segmented_radix_sort_implINS0_14default_configELb0EPKbPbPKlPlN2at6native12_GLOBAL__N_18offset_tEEE10hipError_tPvRmT1_PNSt15iterator_traitsIS12_E10value_typeET2_T3_PNS13_IS18_E10value_typeET4_jRbjT5_S1E_jjP12ihipStream_tbEUljE_ZNSN_ISO_Lb0ESQ_SR_ST_SU_SY_EESZ_S10_S11_S12_S16_S17_S18_S1B_S1C_jS1D_jS1E_S1E_jjS1G_bEUljE0_EEESZ_S10_S11_S18_S1C_S1E_T6_T7_T9_mT8_S1G_bDpT10_ENKUlT_T0_E_clISt17integral_constantIbLb1EES1U_EEDaS1P_S1Q_EUlS1P_E_NS1_11comp_targetILNS1_3genE3ELNS1_11target_archE908ELNS1_3gpuE7ELNS1_3repE0EEENS1_30default_config_static_selectorELNS0_4arch9wavefront6targetE0EEEvS12_.kd
    .uniform_work_group_size: 1
    .uses_dynamic_stack: false
    .vgpr_count:     0
    .vgpr_spill_count: 0
    .wavefront_size: 32
  - .args:
      - .offset:         0
        .size:           184
        .value_kind:     by_value
    .group_segment_fixed_size: 0
    .kernarg_segment_align: 8
    .kernarg_segment_size: 184
    .language:       OpenCL C
    .language_version:
      - 2
      - 0
    .max_flat_workgroup_size: 256
    .name:           _ZN7rocprim17ROCPRIM_400000_NS6detail17trampoline_kernelINS0_13select_configILj256ELj13ELNS0_17block_load_methodE3ELS4_3ELS4_3ELNS0_20block_scan_algorithmE0ELj4294967295EEENS1_25partition_config_selectorILNS1_17partition_subalgoE4EjNS0_10empty_typeEbEEZZNS1_14partition_implILS8_4ELb0ES6_15HIP_vector_typeIjLj2EENS0_17counting_iteratorIjlEEPS9_SG_NS0_5tupleIJPjSI_NS0_16reverse_iteratorISI_EEEEENSH_IJSG_SG_SG_EEES9_SI_JZNS1_25segmented_radix_sort_implINS0_14default_configELb0EPKbPbPKlPlN2at6native12_GLOBAL__N_18offset_tEEE10hipError_tPvRmT1_PNSt15iterator_traitsIS12_E10value_typeET2_T3_PNS13_IS18_E10value_typeET4_jRbjT5_S1E_jjP12ihipStream_tbEUljE_ZNSN_ISO_Lb0ESQ_SR_ST_SU_SY_EESZ_S10_S11_S12_S16_S17_S18_S1B_S1C_jS1D_jS1E_S1E_jjS1G_bEUljE0_EEESZ_S10_S11_S18_S1C_S1E_T6_T7_T9_mT8_S1G_bDpT10_ENKUlT_T0_E_clISt17integral_constantIbLb1EES1U_EEDaS1P_S1Q_EUlS1P_E_NS1_11comp_targetILNS1_3genE2ELNS1_11target_archE906ELNS1_3gpuE6ELNS1_3repE0EEENS1_30default_config_static_selectorELNS0_4arch9wavefront6targetE0EEEvS12_
    .private_segment_fixed_size: 0
    .sgpr_count:     0
    .sgpr_spill_count: 0
    .symbol:         _ZN7rocprim17ROCPRIM_400000_NS6detail17trampoline_kernelINS0_13select_configILj256ELj13ELNS0_17block_load_methodE3ELS4_3ELS4_3ELNS0_20block_scan_algorithmE0ELj4294967295EEENS1_25partition_config_selectorILNS1_17partition_subalgoE4EjNS0_10empty_typeEbEEZZNS1_14partition_implILS8_4ELb0ES6_15HIP_vector_typeIjLj2EENS0_17counting_iteratorIjlEEPS9_SG_NS0_5tupleIJPjSI_NS0_16reverse_iteratorISI_EEEEENSH_IJSG_SG_SG_EEES9_SI_JZNS1_25segmented_radix_sort_implINS0_14default_configELb0EPKbPbPKlPlN2at6native12_GLOBAL__N_18offset_tEEE10hipError_tPvRmT1_PNSt15iterator_traitsIS12_E10value_typeET2_T3_PNS13_IS18_E10value_typeET4_jRbjT5_S1E_jjP12ihipStream_tbEUljE_ZNSN_ISO_Lb0ESQ_SR_ST_SU_SY_EESZ_S10_S11_S12_S16_S17_S18_S1B_S1C_jS1D_jS1E_S1E_jjS1G_bEUljE0_EEESZ_S10_S11_S18_S1C_S1E_T6_T7_T9_mT8_S1G_bDpT10_ENKUlT_T0_E_clISt17integral_constantIbLb1EES1U_EEDaS1P_S1Q_EUlS1P_E_NS1_11comp_targetILNS1_3genE2ELNS1_11target_archE906ELNS1_3gpuE6ELNS1_3repE0EEENS1_30default_config_static_selectorELNS0_4arch9wavefront6targetE0EEEvS12_.kd
    .uniform_work_group_size: 1
    .uses_dynamic_stack: false
    .vgpr_count:     0
    .vgpr_spill_count: 0
    .wavefront_size: 32
  - .args:
      - .offset:         0
        .size:           184
        .value_kind:     by_value
    .group_segment_fixed_size: 0
    .kernarg_segment_align: 8
    .kernarg_segment_size: 184
    .language:       OpenCL C
    .language_version:
      - 2
      - 0
    .max_flat_workgroup_size: 256
    .name:           _ZN7rocprim17ROCPRIM_400000_NS6detail17trampoline_kernelINS0_13select_configILj256ELj13ELNS0_17block_load_methodE3ELS4_3ELS4_3ELNS0_20block_scan_algorithmE0ELj4294967295EEENS1_25partition_config_selectorILNS1_17partition_subalgoE4EjNS0_10empty_typeEbEEZZNS1_14partition_implILS8_4ELb0ES6_15HIP_vector_typeIjLj2EENS0_17counting_iteratorIjlEEPS9_SG_NS0_5tupleIJPjSI_NS0_16reverse_iteratorISI_EEEEENSH_IJSG_SG_SG_EEES9_SI_JZNS1_25segmented_radix_sort_implINS0_14default_configELb0EPKbPbPKlPlN2at6native12_GLOBAL__N_18offset_tEEE10hipError_tPvRmT1_PNSt15iterator_traitsIS12_E10value_typeET2_T3_PNS13_IS18_E10value_typeET4_jRbjT5_S1E_jjP12ihipStream_tbEUljE_ZNSN_ISO_Lb0ESQ_SR_ST_SU_SY_EESZ_S10_S11_S12_S16_S17_S18_S1B_S1C_jS1D_jS1E_S1E_jjS1G_bEUljE0_EEESZ_S10_S11_S18_S1C_S1E_T6_T7_T9_mT8_S1G_bDpT10_ENKUlT_T0_E_clISt17integral_constantIbLb1EES1U_EEDaS1P_S1Q_EUlS1P_E_NS1_11comp_targetILNS1_3genE10ELNS1_11target_archE1200ELNS1_3gpuE4ELNS1_3repE0EEENS1_30default_config_static_selectorELNS0_4arch9wavefront6targetE0EEEvS12_
    .private_segment_fixed_size: 0
    .sgpr_count:     0
    .sgpr_spill_count: 0
    .symbol:         _ZN7rocprim17ROCPRIM_400000_NS6detail17trampoline_kernelINS0_13select_configILj256ELj13ELNS0_17block_load_methodE3ELS4_3ELS4_3ELNS0_20block_scan_algorithmE0ELj4294967295EEENS1_25partition_config_selectorILNS1_17partition_subalgoE4EjNS0_10empty_typeEbEEZZNS1_14partition_implILS8_4ELb0ES6_15HIP_vector_typeIjLj2EENS0_17counting_iteratorIjlEEPS9_SG_NS0_5tupleIJPjSI_NS0_16reverse_iteratorISI_EEEEENSH_IJSG_SG_SG_EEES9_SI_JZNS1_25segmented_radix_sort_implINS0_14default_configELb0EPKbPbPKlPlN2at6native12_GLOBAL__N_18offset_tEEE10hipError_tPvRmT1_PNSt15iterator_traitsIS12_E10value_typeET2_T3_PNS13_IS18_E10value_typeET4_jRbjT5_S1E_jjP12ihipStream_tbEUljE_ZNSN_ISO_Lb0ESQ_SR_ST_SU_SY_EESZ_S10_S11_S12_S16_S17_S18_S1B_S1C_jS1D_jS1E_S1E_jjS1G_bEUljE0_EEESZ_S10_S11_S18_S1C_S1E_T6_T7_T9_mT8_S1G_bDpT10_ENKUlT_T0_E_clISt17integral_constantIbLb1EES1U_EEDaS1P_S1Q_EUlS1P_E_NS1_11comp_targetILNS1_3genE10ELNS1_11target_archE1200ELNS1_3gpuE4ELNS1_3repE0EEENS1_30default_config_static_selectorELNS0_4arch9wavefront6targetE0EEEvS12_.kd
    .uniform_work_group_size: 1
    .uses_dynamic_stack: false
    .vgpr_count:     0
    .vgpr_spill_count: 0
    .wavefront_size: 32
  - .args:
      - .offset:         0
        .size:           184
        .value_kind:     by_value
    .group_segment_fixed_size: 0
    .kernarg_segment_align: 8
    .kernarg_segment_size: 184
    .language:       OpenCL C
    .language_version:
      - 2
      - 0
    .max_flat_workgroup_size: 256
    .name:           _ZN7rocprim17ROCPRIM_400000_NS6detail17trampoline_kernelINS0_13select_configILj256ELj13ELNS0_17block_load_methodE3ELS4_3ELS4_3ELNS0_20block_scan_algorithmE0ELj4294967295EEENS1_25partition_config_selectorILNS1_17partition_subalgoE4EjNS0_10empty_typeEbEEZZNS1_14partition_implILS8_4ELb0ES6_15HIP_vector_typeIjLj2EENS0_17counting_iteratorIjlEEPS9_SG_NS0_5tupleIJPjSI_NS0_16reverse_iteratorISI_EEEEENSH_IJSG_SG_SG_EEES9_SI_JZNS1_25segmented_radix_sort_implINS0_14default_configELb0EPKbPbPKlPlN2at6native12_GLOBAL__N_18offset_tEEE10hipError_tPvRmT1_PNSt15iterator_traitsIS12_E10value_typeET2_T3_PNS13_IS18_E10value_typeET4_jRbjT5_S1E_jjP12ihipStream_tbEUljE_ZNSN_ISO_Lb0ESQ_SR_ST_SU_SY_EESZ_S10_S11_S12_S16_S17_S18_S1B_S1C_jS1D_jS1E_S1E_jjS1G_bEUljE0_EEESZ_S10_S11_S18_S1C_S1E_T6_T7_T9_mT8_S1G_bDpT10_ENKUlT_T0_E_clISt17integral_constantIbLb1EES1U_EEDaS1P_S1Q_EUlS1P_E_NS1_11comp_targetILNS1_3genE9ELNS1_11target_archE1100ELNS1_3gpuE3ELNS1_3repE0EEENS1_30default_config_static_selectorELNS0_4arch9wavefront6targetE0EEEvS12_
    .private_segment_fixed_size: 0
    .sgpr_count:     0
    .sgpr_spill_count: 0
    .symbol:         _ZN7rocprim17ROCPRIM_400000_NS6detail17trampoline_kernelINS0_13select_configILj256ELj13ELNS0_17block_load_methodE3ELS4_3ELS4_3ELNS0_20block_scan_algorithmE0ELj4294967295EEENS1_25partition_config_selectorILNS1_17partition_subalgoE4EjNS0_10empty_typeEbEEZZNS1_14partition_implILS8_4ELb0ES6_15HIP_vector_typeIjLj2EENS0_17counting_iteratorIjlEEPS9_SG_NS0_5tupleIJPjSI_NS0_16reverse_iteratorISI_EEEEENSH_IJSG_SG_SG_EEES9_SI_JZNS1_25segmented_radix_sort_implINS0_14default_configELb0EPKbPbPKlPlN2at6native12_GLOBAL__N_18offset_tEEE10hipError_tPvRmT1_PNSt15iterator_traitsIS12_E10value_typeET2_T3_PNS13_IS18_E10value_typeET4_jRbjT5_S1E_jjP12ihipStream_tbEUljE_ZNSN_ISO_Lb0ESQ_SR_ST_SU_SY_EESZ_S10_S11_S12_S16_S17_S18_S1B_S1C_jS1D_jS1E_S1E_jjS1G_bEUljE0_EEESZ_S10_S11_S18_S1C_S1E_T6_T7_T9_mT8_S1G_bDpT10_ENKUlT_T0_E_clISt17integral_constantIbLb1EES1U_EEDaS1P_S1Q_EUlS1P_E_NS1_11comp_targetILNS1_3genE9ELNS1_11target_archE1100ELNS1_3gpuE3ELNS1_3repE0EEENS1_30default_config_static_selectorELNS0_4arch9wavefront6targetE0EEEvS12_.kd
    .uniform_work_group_size: 1
    .uses_dynamic_stack: false
    .vgpr_count:     0
    .vgpr_spill_count: 0
    .wavefront_size: 32
  - .args:
      - .offset:         0
        .size:           184
        .value_kind:     by_value
    .group_segment_fixed_size: 0
    .kernarg_segment_align: 8
    .kernarg_segment_size: 184
    .language:       OpenCL C
    .language_version:
      - 2
      - 0
    .max_flat_workgroup_size: 256
    .name:           _ZN7rocprim17ROCPRIM_400000_NS6detail17trampoline_kernelINS0_13select_configILj256ELj13ELNS0_17block_load_methodE3ELS4_3ELS4_3ELNS0_20block_scan_algorithmE0ELj4294967295EEENS1_25partition_config_selectorILNS1_17partition_subalgoE4EjNS0_10empty_typeEbEEZZNS1_14partition_implILS8_4ELb0ES6_15HIP_vector_typeIjLj2EENS0_17counting_iteratorIjlEEPS9_SG_NS0_5tupleIJPjSI_NS0_16reverse_iteratorISI_EEEEENSH_IJSG_SG_SG_EEES9_SI_JZNS1_25segmented_radix_sort_implINS0_14default_configELb0EPKbPbPKlPlN2at6native12_GLOBAL__N_18offset_tEEE10hipError_tPvRmT1_PNSt15iterator_traitsIS12_E10value_typeET2_T3_PNS13_IS18_E10value_typeET4_jRbjT5_S1E_jjP12ihipStream_tbEUljE_ZNSN_ISO_Lb0ESQ_SR_ST_SU_SY_EESZ_S10_S11_S12_S16_S17_S18_S1B_S1C_jS1D_jS1E_S1E_jjS1G_bEUljE0_EEESZ_S10_S11_S18_S1C_S1E_T6_T7_T9_mT8_S1G_bDpT10_ENKUlT_T0_E_clISt17integral_constantIbLb1EES1U_EEDaS1P_S1Q_EUlS1P_E_NS1_11comp_targetILNS1_3genE8ELNS1_11target_archE1030ELNS1_3gpuE2ELNS1_3repE0EEENS1_30default_config_static_selectorELNS0_4arch9wavefront6targetE0EEEvS12_
    .private_segment_fixed_size: 0
    .sgpr_count:     0
    .sgpr_spill_count: 0
    .symbol:         _ZN7rocprim17ROCPRIM_400000_NS6detail17trampoline_kernelINS0_13select_configILj256ELj13ELNS0_17block_load_methodE3ELS4_3ELS4_3ELNS0_20block_scan_algorithmE0ELj4294967295EEENS1_25partition_config_selectorILNS1_17partition_subalgoE4EjNS0_10empty_typeEbEEZZNS1_14partition_implILS8_4ELb0ES6_15HIP_vector_typeIjLj2EENS0_17counting_iteratorIjlEEPS9_SG_NS0_5tupleIJPjSI_NS0_16reverse_iteratorISI_EEEEENSH_IJSG_SG_SG_EEES9_SI_JZNS1_25segmented_radix_sort_implINS0_14default_configELb0EPKbPbPKlPlN2at6native12_GLOBAL__N_18offset_tEEE10hipError_tPvRmT1_PNSt15iterator_traitsIS12_E10value_typeET2_T3_PNS13_IS18_E10value_typeET4_jRbjT5_S1E_jjP12ihipStream_tbEUljE_ZNSN_ISO_Lb0ESQ_SR_ST_SU_SY_EESZ_S10_S11_S12_S16_S17_S18_S1B_S1C_jS1D_jS1E_S1E_jjS1G_bEUljE0_EEESZ_S10_S11_S18_S1C_S1E_T6_T7_T9_mT8_S1G_bDpT10_ENKUlT_T0_E_clISt17integral_constantIbLb1EES1U_EEDaS1P_S1Q_EUlS1P_E_NS1_11comp_targetILNS1_3genE8ELNS1_11target_archE1030ELNS1_3gpuE2ELNS1_3repE0EEENS1_30default_config_static_selectorELNS0_4arch9wavefront6targetE0EEEvS12_.kd
    .uniform_work_group_size: 1
    .uses_dynamic_stack: false
    .vgpr_count:     0
    .vgpr_spill_count: 0
    .wavefront_size: 32
  - .args:
      - .offset:         0
        .size:           176
        .value_kind:     by_value
    .group_segment_fixed_size: 0
    .kernarg_segment_align: 8
    .kernarg_segment_size: 176
    .language:       OpenCL C
    .language_version:
      - 2
      - 0
    .max_flat_workgroup_size: 256
    .name:           _ZN7rocprim17ROCPRIM_400000_NS6detail17trampoline_kernelINS0_13select_configILj256ELj13ELNS0_17block_load_methodE3ELS4_3ELS4_3ELNS0_20block_scan_algorithmE0ELj4294967295EEENS1_25partition_config_selectorILNS1_17partition_subalgoE4EjNS0_10empty_typeEbEEZZNS1_14partition_implILS8_4ELb0ES6_15HIP_vector_typeIjLj2EENS0_17counting_iteratorIjlEEPS9_SG_NS0_5tupleIJPjSI_NS0_16reverse_iteratorISI_EEEEENSH_IJSG_SG_SG_EEES9_SI_JZNS1_25segmented_radix_sort_implINS0_14default_configELb0EPKbPbPKlPlN2at6native12_GLOBAL__N_18offset_tEEE10hipError_tPvRmT1_PNSt15iterator_traitsIS12_E10value_typeET2_T3_PNS13_IS18_E10value_typeET4_jRbjT5_S1E_jjP12ihipStream_tbEUljE_ZNSN_ISO_Lb0ESQ_SR_ST_SU_SY_EESZ_S10_S11_S12_S16_S17_S18_S1B_S1C_jS1D_jS1E_S1E_jjS1G_bEUljE0_EEESZ_S10_S11_S18_S1C_S1E_T6_T7_T9_mT8_S1G_bDpT10_ENKUlT_T0_E_clISt17integral_constantIbLb1EES1T_IbLb0EEEEDaS1P_S1Q_EUlS1P_E_NS1_11comp_targetILNS1_3genE0ELNS1_11target_archE4294967295ELNS1_3gpuE0ELNS1_3repE0EEENS1_30default_config_static_selectorELNS0_4arch9wavefront6targetE0EEEvS12_
    .private_segment_fixed_size: 0
    .sgpr_count:     0
    .sgpr_spill_count: 0
    .symbol:         _ZN7rocprim17ROCPRIM_400000_NS6detail17trampoline_kernelINS0_13select_configILj256ELj13ELNS0_17block_load_methodE3ELS4_3ELS4_3ELNS0_20block_scan_algorithmE0ELj4294967295EEENS1_25partition_config_selectorILNS1_17partition_subalgoE4EjNS0_10empty_typeEbEEZZNS1_14partition_implILS8_4ELb0ES6_15HIP_vector_typeIjLj2EENS0_17counting_iteratorIjlEEPS9_SG_NS0_5tupleIJPjSI_NS0_16reverse_iteratorISI_EEEEENSH_IJSG_SG_SG_EEES9_SI_JZNS1_25segmented_radix_sort_implINS0_14default_configELb0EPKbPbPKlPlN2at6native12_GLOBAL__N_18offset_tEEE10hipError_tPvRmT1_PNSt15iterator_traitsIS12_E10value_typeET2_T3_PNS13_IS18_E10value_typeET4_jRbjT5_S1E_jjP12ihipStream_tbEUljE_ZNSN_ISO_Lb0ESQ_SR_ST_SU_SY_EESZ_S10_S11_S12_S16_S17_S18_S1B_S1C_jS1D_jS1E_S1E_jjS1G_bEUljE0_EEESZ_S10_S11_S18_S1C_S1E_T6_T7_T9_mT8_S1G_bDpT10_ENKUlT_T0_E_clISt17integral_constantIbLb1EES1T_IbLb0EEEEDaS1P_S1Q_EUlS1P_E_NS1_11comp_targetILNS1_3genE0ELNS1_11target_archE4294967295ELNS1_3gpuE0ELNS1_3repE0EEENS1_30default_config_static_selectorELNS0_4arch9wavefront6targetE0EEEvS12_.kd
    .uniform_work_group_size: 1
    .uses_dynamic_stack: false
    .vgpr_count:     0
    .vgpr_spill_count: 0
    .wavefront_size: 32
  - .args:
      - .offset:         0
        .size:           176
        .value_kind:     by_value
    .group_segment_fixed_size: 0
    .kernarg_segment_align: 8
    .kernarg_segment_size: 176
    .language:       OpenCL C
    .language_version:
      - 2
      - 0
    .max_flat_workgroup_size: 256
    .name:           _ZN7rocprim17ROCPRIM_400000_NS6detail17trampoline_kernelINS0_13select_configILj256ELj13ELNS0_17block_load_methodE3ELS4_3ELS4_3ELNS0_20block_scan_algorithmE0ELj4294967295EEENS1_25partition_config_selectorILNS1_17partition_subalgoE4EjNS0_10empty_typeEbEEZZNS1_14partition_implILS8_4ELb0ES6_15HIP_vector_typeIjLj2EENS0_17counting_iteratorIjlEEPS9_SG_NS0_5tupleIJPjSI_NS0_16reverse_iteratorISI_EEEEENSH_IJSG_SG_SG_EEES9_SI_JZNS1_25segmented_radix_sort_implINS0_14default_configELb0EPKbPbPKlPlN2at6native12_GLOBAL__N_18offset_tEEE10hipError_tPvRmT1_PNSt15iterator_traitsIS12_E10value_typeET2_T3_PNS13_IS18_E10value_typeET4_jRbjT5_S1E_jjP12ihipStream_tbEUljE_ZNSN_ISO_Lb0ESQ_SR_ST_SU_SY_EESZ_S10_S11_S12_S16_S17_S18_S1B_S1C_jS1D_jS1E_S1E_jjS1G_bEUljE0_EEESZ_S10_S11_S18_S1C_S1E_T6_T7_T9_mT8_S1G_bDpT10_ENKUlT_T0_E_clISt17integral_constantIbLb1EES1T_IbLb0EEEEDaS1P_S1Q_EUlS1P_E_NS1_11comp_targetILNS1_3genE5ELNS1_11target_archE942ELNS1_3gpuE9ELNS1_3repE0EEENS1_30default_config_static_selectorELNS0_4arch9wavefront6targetE0EEEvS12_
    .private_segment_fixed_size: 0
    .sgpr_count:     0
    .sgpr_spill_count: 0
    .symbol:         _ZN7rocprim17ROCPRIM_400000_NS6detail17trampoline_kernelINS0_13select_configILj256ELj13ELNS0_17block_load_methodE3ELS4_3ELS4_3ELNS0_20block_scan_algorithmE0ELj4294967295EEENS1_25partition_config_selectorILNS1_17partition_subalgoE4EjNS0_10empty_typeEbEEZZNS1_14partition_implILS8_4ELb0ES6_15HIP_vector_typeIjLj2EENS0_17counting_iteratorIjlEEPS9_SG_NS0_5tupleIJPjSI_NS0_16reverse_iteratorISI_EEEEENSH_IJSG_SG_SG_EEES9_SI_JZNS1_25segmented_radix_sort_implINS0_14default_configELb0EPKbPbPKlPlN2at6native12_GLOBAL__N_18offset_tEEE10hipError_tPvRmT1_PNSt15iterator_traitsIS12_E10value_typeET2_T3_PNS13_IS18_E10value_typeET4_jRbjT5_S1E_jjP12ihipStream_tbEUljE_ZNSN_ISO_Lb0ESQ_SR_ST_SU_SY_EESZ_S10_S11_S12_S16_S17_S18_S1B_S1C_jS1D_jS1E_S1E_jjS1G_bEUljE0_EEESZ_S10_S11_S18_S1C_S1E_T6_T7_T9_mT8_S1G_bDpT10_ENKUlT_T0_E_clISt17integral_constantIbLb1EES1T_IbLb0EEEEDaS1P_S1Q_EUlS1P_E_NS1_11comp_targetILNS1_3genE5ELNS1_11target_archE942ELNS1_3gpuE9ELNS1_3repE0EEENS1_30default_config_static_selectorELNS0_4arch9wavefront6targetE0EEEvS12_.kd
    .uniform_work_group_size: 1
    .uses_dynamic_stack: false
    .vgpr_count:     0
    .vgpr_spill_count: 0
    .wavefront_size: 32
  - .args:
      - .offset:         0
        .size:           176
        .value_kind:     by_value
    .group_segment_fixed_size: 0
    .kernarg_segment_align: 8
    .kernarg_segment_size: 176
    .language:       OpenCL C
    .language_version:
      - 2
      - 0
    .max_flat_workgroup_size: 256
    .name:           _ZN7rocprim17ROCPRIM_400000_NS6detail17trampoline_kernelINS0_13select_configILj256ELj13ELNS0_17block_load_methodE3ELS4_3ELS4_3ELNS0_20block_scan_algorithmE0ELj4294967295EEENS1_25partition_config_selectorILNS1_17partition_subalgoE4EjNS0_10empty_typeEbEEZZNS1_14partition_implILS8_4ELb0ES6_15HIP_vector_typeIjLj2EENS0_17counting_iteratorIjlEEPS9_SG_NS0_5tupleIJPjSI_NS0_16reverse_iteratorISI_EEEEENSH_IJSG_SG_SG_EEES9_SI_JZNS1_25segmented_radix_sort_implINS0_14default_configELb0EPKbPbPKlPlN2at6native12_GLOBAL__N_18offset_tEEE10hipError_tPvRmT1_PNSt15iterator_traitsIS12_E10value_typeET2_T3_PNS13_IS18_E10value_typeET4_jRbjT5_S1E_jjP12ihipStream_tbEUljE_ZNSN_ISO_Lb0ESQ_SR_ST_SU_SY_EESZ_S10_S11_S12_S16_S17_S18_S1B_S1C_jS1D_jS1E_S1E_jjS1G_bEUljE0_EEESZ_S10_S11_S18_S1C_S1E_T6_T7_T9_mT8_S1G_bDpT10_ENKUlT_T0_E_clISt17integral_constantIbLb1EES1T_IbLb0EEEEDaS1P_S1Q_EUlS1P_E_NS1_11comp_targetILNS1_3genE4ELNS1_11target_archE910ELNS1_3gpuE8ELNS1_3repE0EEENS1_30default_config_static_selectorELNS0_4arch9wavefront6targetE0EEEvS12_
    .private_segment_fixed_size: 0
    .sgpr_count:     0
    .sgpr_spill_count: 0
    .symbol:         _ZN7rocprim17ROCPRIM_400000_NS6detail17trampoline_kernelINS0_13select_configILj256ELj13ELNS0_17block_load_methodE3ELS4_3ELS4_3ELNS0_20block_scan_algorithmE0ELj4294967295EEENS1_25partition_config_selectorILNS1_17partition_subalgoE4EjNS0_10empty_typeEbEEZZNS1_14partition_implILS8_4ELb0ES6_15HIP_vector_typeIjLj2EENS0_17counting_iteratorIjlEEPS9_SG_NS0_5tupleIJPjSI_NS0_16reverse_iteratorISI_EEEEENSH_IJSG_SG_SG_EEES9_SI_JZNS1_25segmented_radix_sort_implINS0_14default_configELb0EPKbPbPKlPlN2at6native12_GLOBAL__N_18offset_tEEE10hipError_tPvRmT1_PNSt15iterator_traitsIS12_E10value_typeET2_T3_PNS13_IS18_E10value_typeET4_jRbjT5_S1E_jjP12ihipStream_tbEUljE_ZNSN_ISO_Lb0ESQ_SR_ST_SU_SY_EESZ_S10_S11_S12_S16_S17_S18_S1B_S1C_jS1D_jS1E_S1E_jjS1G_bEUljE0_EEESZ_S10_S11_S18_S1C_S1E_T6_T7_T9_mT8_S1G_bDpT10_ENKUlT_T0_E_clISt17integral_constantIbLb1EES1T_IbLb0EEEEDaS1P_S1Q_EUlS1P_E_NS1_11comp_targetILNS1_3genE4ELNS1_11target_archE910ELNS1_3gpuE8ELNS1_3repE0EEENS1_30default_config_static_selectorELNS0_4arch9wavefront6targetE0EEEvS12_.kd
    .uniform_work_group_size: 1
    .uses_dynamic_stack: false
    .vgpr_count:     0
    .vgpr_spill_count: 0
    .wavefront_size: 32
  - .args:
      - .offset:         0
        .size:           176
        .value_kind:     by_value
    .group_segment_fixed_size: 0
    .kernarg_segment_align: 8
    .kernarg_segment_size: 176
    .language:       OpenCL C
    .language_version:
      - 2
      - 0
    .max_flat_workgroup_size: 256
    .name:           _ZN7rocprim17ROCPRIM_400000_NS6detail17trampoline_kernelINS0_13select_configILj256ELj13ELNS0_17block_load_methodE3ELS4_3ELS4_3ELNS0_20block_scan_algorithmE0ELj4294967295EEENS1_25partition_config_selectorILNS1_17partition_subalgoE4EjNS0_10empty_typeEbEEZZNS1_14partition_implILS8_4ELb0ES6_15HIP_vector_typeIjLj2EENS0_17counting_iteratorIjlEEPS9_SG_NS0_5tupleIJPjSI_NS0_16reverse_iteratorISI_EEEEENSH_IJSG_SG_SG_EEES9_SI_JZNS1_25segmented_radix_sort_implINS0_14default_configELb0EPKbPbPKlPlN2at6native12_GLOBAL__N_18offset_tEEE10hipError_tPvRmT1_PNSt15iterator_traitsIS12_E10value_typeET2_T3_PNS13_IS18_E10value_typeET4_jRbjT5_S1E_jjP12ihipStream_tbEUljE_ZNSN_ISO_Lb0ESQ_SR_ST_SU_SY_EESZ_S10_S11_S12_S16_S17_S18_S1B_S1C_jS1D_jS1E_S1E_jjS1G_bEUljE0_EEESZ_S10_S11_S18_S1C_S1E_T6_T7_T9_mT8_S1G_bDpT10_ENKUlT_T0_E_clISt17integral_constantIbLb1EES1T_IbLb0EEEEDaS1P_S1Q_EUlS1P_E_NS1_11comp_targetILNS1_3genE3ELNS1_11target_archE908ELNS1_3gpuE7ELNS1_3repE0EEENS1_30default_config_static_selectorELNS0_4arch9wavefront6targetE0EEEvS12_
    .private_segment_fixed_size: 0
    .sgpr_count:     0
    .sgpr_spill_count: 0
    .symbol:         _ZN7rocprim17ROCPRIM_400000_NS6detail17trampoline_kernelINS0_13select_configILj256ELj13ELNS0_17block_load_methodE3ELS4_3ELS4_3ELNS0_20block_scan_algorithmE0ELj4294967295EEENS1_25partition_config_selectorILNS1_17partition_subalgoE4EjNS0_10empty_typeEbEEZZNS1_14partition_implILS8_4ELb0ES6_15HIP_vector_typeIjLj2EENS0_17counting_iteratorIjlEEPS9_SG_NS0_5tupleIJPjSI_NS0_16reverse_iteratorISI_EEEEENSH_IJSG_SG_SG_EEES9_SI_JZNS1_25segmented_radix_sort_implINS0_14default_configELb0EPKbPbPKlPlN2at6native12_GLOBAL__N_18offset_tEEE10hipError_tPvRmT1_PNSt15iterator_traitsIS12_E10value_typeET2_T3_PNS13_IS18_E10value_typeET4_jRbjT5_S1E_jjP12ihipStream_tbEUljE_ZNSN_ISO_Lb0ESQ_SR_ST_SU_SY_EESZ_S10_S11_S12_S16_S17_S18_S1B_S1C_jS1D_jS1E_S1E_jjS1G_bEUljE0_EEESZ_S10_S11_S18_S1C_S1E_T6_T7_T9_mT8_S1G_bDpT10_ENKUlT_T0_E_clISt17integral_constantIbLb1EES1T_IbLb0EEEEDaS1P_S1Q_EUlS1P_E_NS1_11comp_targetILNS1_3genE3ELNS1_11target_archE908ELNS1_3gpuE7ELNS1_3repE0EEENS1_30default_config_static_selectorELNS0_4arch9wavefront6targetE0EEEvS12_.kd
    .uniform_work_group_size: 1
    .uses_dynamic_stack: false
    .vgpr_count:     0
    .vgpr_spill_count: 0
    .wavefront_size: 32
  - .args:
      - .offset:         0
        .size:           176
        .value_kind:     by_value
    .group_segment_fixed_size: 0
    .kernarg_segment_align: 8
    .kernarg_segment_size: 176
    .language:       OpenCL C
    .language_version:
      - 2
      - 0
    .max_flat_workgroup_size: 256
    .name:           _ZN7rocprim17ROCPRIM_400000_NS6detail17trampoline_kernelINS0_13select_configILj256ELj13ELNS0_17block_load_methodE3ELS4_3ELS4_3ELNS0_20block_scan_algorithmE0ELj4294967295EEENS1_25partition_config_selectorILNS1_17partition_subalgoE4EjNS0_10empty_typeEbEEZZNS1_14partition_implILS8_4ELb0ES6_15HIP_vector_typeIjLj2EENS0_17counting_iteratorIjlEEPS9_SG_NS0_5tupleIJPjSI_NS0_16reverse_iteratorISI_EEEEENSH_IJSG_SG_SG_EEES9_SI_JZNS1_25segmented_radix_sort_implINS0_14default_configELb0EPKbPbPKlPlN2at6native12_GLOBAL__N_18offset_tEEE10hipError_tPvRmT1_PNSt15iterator_traitsIS12_E10value_typeET2_T3_PNS13_IS18_E10value_typeET4_jRbjT5_S1E_jjP12ihipStream_tbEUljE_ZNSN_ISO_Lb0ESQ_SR_ST_SU_SY_EESZ_S10_S11_S12_S16_S17_S18_S1B_S1C_jS1D_jS1E_S1E_jjS1G_bEUljE0_EEESZ_S10_S11_S18_S1C_S1E_T6_T7_T9_mT8_S1G_bDpT10_ENKUlT_T0_E_clISt17integral_constantIbLb1EES1T_IbLb0EEEEDaS1P_S1Q_EUlS1P_E_NS1_11comp_targetILNS1_3genE2ELNS1_11target_archE906ELNS1_3gpuE6ELNS1_3repE0EEENS1_30default_config_static_selectorELNS0_4arch9wavefront6targetE0EEEvS12_
    .private_segment_fixed_size: 0
    .sgpr_count:     0
    .sgpr_spill_count: 0
    .symbol:         _ZN7rocprim17ROCPRIM_400000_NS6detail17trampoline_kernelINS0_13select_configILj256ELj13ELNS0_17block_load_methodE3ELS4_3ELS4_3ELNS0_20block_scan_algorithmE0ELj4294967295EEENS1_25partition_config_selectorILNS1_17partition_subalgoE4EjNS0_10empty_typeEbEEZZNS1_14partition_implILS8_4ELb0ES6_15HIP_vector_typeIjLj2EENS0_17counting_iteratorIjlEEPS9_SG_NS0_5tupleIJPjSI_NS0_16reverse_iteratorISI_EEEEENSH_IJSG_SG_SG_EEES9_SI_JZNS1_25segmented_radix_sort_implINS0_14default_configELb0EPKbPbPKlPlN2at6native12_GLOBAL__N_18offset_tEEE10hipError_tPvRmT1_PNSt15iterator_traitsIS12_E10value_typeET2_T3_PNS13_IS18_E10value_typeET4_jRbjT5_S1E_jjP12ihipStream_tbEUljE_ZNSN_ISO_Lb0ESQ_SR_ST_SU_SY_EESZ_S10_S11_S12_S16_S17_S18_S1B_S1C_jS1D_jS1E_S1E_jjS1G_bEUljE0_EEESZ_S10_S11_S18_S1C_S1E_T6_T7_T9_mT8_S1G_bDpT10_ENKUlT_T0_E_clISt17integral_constantIbLb1EES1T_IbLb0EEEEDaS1P_S1Q_EUlS1P_E_NS1_11comp_targetILNS1_3genE2ELNS1_11target_archE906ELNS1_3gpuE6ELNS1_3repE0EEENS1_30default_config_static_selectorELNS0_4arch9wavefront6targetE0EEEvS12_.kd
    .uniform_work_group_size: 1
    .uses_dynamic_stack: false
    .vgpr_count:     0
    .vgpr_spill_count: 0
    .wavefront_size: 32
  - .args:
      - .offset:         0
        .size:           176
        .value_kind:     by_value
    .group_segment_fixed_size: 0
    .kernarg_segment_align: 8
    .kernarg_segment_size: 176
    .language:       OpenCL C
    .language_version:
      - 2
      - 0
    .max_flat_workgroup_size: 256
    .name:           _ZN7rocprim17ROCPRIM_400000_NS6detail17trampoline_kernelINS0_13select_configILj256ELj13ELNS0_17block_load_methodE3ELS4_3ELS4_3ELNS0_20block_scan_algorithmE0ELj4294967295EEENS1_25partition_config_selectorILNS1_17partition_subalgoE4EjNS0_10empty_typeEbEEZZNS1_14partition_implILS8_4ELb0ES6_15HIP_vector_typeIjLj2EENS0_17counting_iteratorIjlEEPS9_SG_NS0_5tupleIJPjSI_NS0_16reverse_iteratorISI_EEEEENSH_IJSG_SG_SG_EEES9_SI_JZNS1_25segmented_radix_sort_implINS0_14default_configELb0EPKbPbPKlPlN2at6native12_GLOBAL__N_18offset_tEEE10hipError_tPvRmT1_PNSt15iterator_traitsIS12_E10value_typeET2_T3_PNS13_IS18_E10value_typeET4_jRbjT5_S1E_jjP12ihipStream_tbEUljE_ZNSN_ISO_Lb0ESQ_SR_ST_SU_SY_EESZ_S10_S11_S12_S16_S17_S18_S1B_S1C_jS1D_jS1E_S1E_jjS1G_bEUljE0_EEESZ_S10_S11_S18_S1C_S1E_T6_T7_T9_mT8_S1G_bDpT10_ENKUlT_T0_E_clISt17integral_constantIbLb1EES1T_IbLb0EEEEDaS1P_S1Q_EUlS1P_E_NS1_11comp_targetILNS1_3genE10ELNS1_11target_archE1200ELNS1_3gpuE4ELNS1_3repE0EEENS1_30default_config_static_selectorELNS0_4arch9wavefront6targetE0EEEvS12_
    .private_segment_fixed_size: 0
    .sgpr_count:     0
    .sgpr_spill_count: 0
    .symbol:         _ZN7rocprim17ROCPRIM_400000_NS6detail17trampoline_kernelINS0_13select_configILj256ELj13ELNS0_17block_load_methodE3ELS4_3ELS4_3ELNS0_20block_scan_algorithmE0ELj4294967295EEENS1_25partition_config_selectorILNS1_17partition_subalgoE4EjNS0_10empty_typeEbEEZZNS1_14partition_implILS8_4ELb0ES6_15HIP_vector_typeIjLj2EENS0_17counting_iteratorIjlEEPS9_SG_NS0_5tupleIJPjSI_NS0_16reverse_iteratorISI_EEEEENSH_IJSG_SG_SG_EEES9_SI_JZNS1_25segmented_radix_sort_implINS0_14default_configELb0EPKbPbPKlPlN2at6native12_GLOBAL__N_18offset_tEEE10hipError_tPvRmT1_PNSt15iterator_traitsIS12_E10value_typeET2_T3_PNS13_IS18_E10value_typeET4_jRbjT5_S1E_jjP12ihipStream_tbEUljE_ZNSN_ISO_Lb0ESQ_SR_ST_SU_SY_EESZ_S10_S11_S12_S16_S17_S18_S1B_S1C_jS1D_jS1E_S1E_jjS1G_bEUljE0_EEESZ_S10_S11_S18_S1C_S1E_T6_T7_T9_mT8_S1G_bDpT10_ENKUlT_T0_E_clISt17integral_constantIbLb1EES1T_IbLb0EEEEDaS1P_S1Q_EUlS1P_E_NS1_11comp_targetILNS1_3genE10ELNS1_11target_archE1200ELNS1_3gpuE4ELNS1_3repE0EEENS1_30default_config_static_selectorELNS0_4arch9wavefront6targetE0EEEvS12_.kd
    .uniform_work_group_size: 1
    .uses_dynamic_stack: false
    .vgpr_count:     0
    .vgpr_spill_count: 0
    .wavefront_size: 32
  - .args:
      - .offset:         0
        .size:           176
        .value_kind:     by_value
    .group_segment_fixed_size: 0
    .kernarg_segment_align: 8
    .kernarg_segment_size: 176
    .language:       OpenCL C
    .language_version:
      - 2
      - 0
    .max_flat_workgroup_size: 256
    .name:           _ZN7rocprim17ROCPRIM_400000_NS6detail17trampoline_kernelINS0_13select_configILj256ELj13ELNS0_17block_load_methodE3ELS4_3ELS4_3ELNS0_20block_scan_algorithmE0ELj4294967295EEENS1_25partition_config_selectorILNS1_17partition_subalgoE4EjNS0_10empty_typeEbEEZZNS1_14partition_implILS8_4ELb0ES6_15HIP_vector_typeIjLj2EENS0_17counting_iteratorIjlEEPS9_SG_NS0_5tupleIJPjSI_NS0_16reverse_iteratorISI_EEEEENSH_IJSG_SG_SG_EEES9_SI_JZNS1_25segmented_radix_sort_implINS0_14default_configELb0EPKbPbPKlPlN2at6native12_GLOBAL__N_18offset_tEEE10hipError_tPvRmT1_PNSt15iterator_traitsIS12_E10value_typeET2_T3_PNS13_IS18_E10value_typeET4_jRbjT5_S1E_jjP12ihipStream_tbEUljE_ZNSN_ISO_Lb0ESQ_SR_ST_SU_SY_EESZ_S10_S11_S12_S16_S17_S18_S1B_S1C_jS1D_jS1E_S1E_jjS1G_bEUljE0_EEESZ_S10_S11_S18_S1C_S1E_T6_T7_T9_mT8_S1G_bDpT10_ENKUlT_T0_E_clISt17integral_constantIbLb1EES1T_IbLb0EEEEDaS1P_S1Q_EUlS1P_E_NS1_11comp_targetILNS1_3genE9ELNS1_11target_archE1100ELNS1_3gpuE3ELNS1_3repE0EEENS1_30default_config_static_selectorELNS0_4arch9wavefront6targetE0EEEvS12_
    .private_segment_fixed_size: 0
    .sgpr_count:     0
    .sgpr_spill_count: 0
    .symbol:         _ZN7rocprim17ROCPRIM_400000_NS6detail17trampoline_kernelINS0_13select_configILj256ELj13ELNS0_17block_load_methodE3ELS4_3ELS4_3ELNS0_20block_scan_algorithmE0ELj4294967295EEENS1_25partition_config_selectorILNS1_17partition_subalgoE4EjNS0_10empty_typeEbEEZZNS1_14partition_implILS8_4ELb0ES6_15HIP_vector_typeIjLj2EENS0_17counting_iteratorIjlEEPS9_SG_NS0_5tupleIJPjSI_NS0_16reverse_iteratorISI_EEEEENSH_IJSG_SG_SG_EEES9_SI_JZNS1_25segmented_radix_sort_implINS0_14default_configELb0EPKbPbPKlPlN2at6native12_GLOBAL__N_18offset_tEEE10hipError_tPvRmT1_PNSt15iterator_traitsIS12_E10value_typeET2_T3_PNS13_IS18_E10value_typeET4_jRbjT5_S1E_jjP12ihipStream_tbEUljE_ZNSN_ISO_Lb0ESQ_SR_ST_SU_SY_EESZ_S10_S11_S12_S16_S17_S18_S1B_S1C_jS1D_jS1E_S1E_jjS1G_bEUljE0_EEESZ_S10_S11_S18_S1C_S1E_T6_T7_T9_mT8_S1G_bDpT10_ENKUlT_T0_E_clISt17integral_constantIbLb1EES1T_IbLb0EEEEDaS1P_S1Q_EUlS1P_E_NS1_11comp_targetILNS1_3genE9ELNS1_11target_archE1100ELNS1_3gpuE3ELNS1_3repE0EEENS1_30default_config_static_selectorELNS0_4arch9wavefront6targetE0EEEvS12_.kd
    .uniform_work_group_size: 1
    .uses_dynamic_stack: false
    .vgpr_count:     0
    .vgpr_spill_count: 0
    .wavefront_size: 32
  - .args:
      - .offset:         0
        .size:           176
        .value_kind:     by_value
    .group_segment_fixed_size: 0
    .kernarg_segment_align: 8
    .kernarg_segment_size: 176
    .language:       OpenCL C
    .language_version:
      - 2
      - 0
    .max_flat_workgroup_size: 256
    .name:           _ZN7rocprim17ROCPRIM_400000_NS6detail17trampoline_kernelINS0_13select_configILj256ELj13ELNS0_17block_load_methodE3ELS4_3ELS4_3ELNS0_20block_scan_algorithmE0ELj4294967295EEENS1_25partition_config_selectorILNS1_17partition_subalgoE4EjNS0_10empty_typeEbEEZZNS1_14partition_implILS8_4ELb0ES6_15HIP_vector_typeIjLj2EENS0_17counting_iteratorIjlEEPS9_SG_NS0_5tupleIJPjSI_NS0_16reverse_iteratorISI_EEEEENSH_IJSG_SG_SG_EEES9_SI_JZNS1_25segmented_radix_sort_implINS0_14default_configELb0EPKbPbPKlPlN2at6native12_GLOBAL__N_18offset_tEEE10hipError_tPvRmT1_PNSt15iterator_traitsIS12_E10value_typeET2_T3_PNS13_IS18_E10value_typeET4_jRbjT5_S1E_jjP12ihipStream_tbEUljE_ZNSN_ISO_Lb0ESQ_SR_ST_SU_SY_EESZ_S10_S11_S12_S16_S17_S18_S1B_S1C_jS1D_jS1E_S1E_jjS1G_bEUljE0_EEESZ_S10_S11_S18_S1C_S1E_T6_T7_T9_mT8_S1G_bDpT10_ENKUlT_T0_E_clISt17integral_constantIbLb1EES1T_IbLb0EEEEDaS1P_S1Q_EUlS1P_E_NS1_11comp_targetILNS1_3genE8ELNS1_11target_archE1030ELNS1_3gpuE2ELNS1_3repE0EEENS1_30default_config_static_selectorELNS0_4arch9wavefront6targetE0EEEvS12_
    .private_segment_fixed_size: 0
    .sgpr_count:     0
    .sgpr_spill_count: 0
    .symbol:         _ZN7rocprim17ROCPRIM_400000_NS6detail17trampoline_kernelINS0_13select_configILj256ELj13ELNS0_17block_load_methodE3ELS4_3ELS4_3ELNS0_20block_scan_algorithmE0ELj4294967295EEENS1_25partition_config_selectorILNS1_17partition_subalgoE4EjNS0_10empty_typeEbEEZZNS1_14partition_implILS8_4ELb0ES6_15HIP_vector_typeIjLj2EENS0_17counting_iteratorIjlEEPS9_SG_NS0_5tupleIJPjSI_NS0_16reverse_iteratorISI_EEEEENSH_IJSG_SG_SG_EEES9_SI_JZNS1_25segmented_radix_sort_implINS0_14default_configELb0EPKbPbPKlPlN2at6native12_GLOBAL__N_18offset_tEEE10hipError_tPvRmT1_PNSt15iterator_traitsIS12_E10value_typeET2_T3_PNS13_IS18_E10value_typeET4_jRbjT5_S1E_jjP12ihipStream_tbEUljE_ZNSN_ISO_Lb0ESQ_SR_ST_SU_SY_EESZ_S10_S11_S12_S16_S17_S18_S1B_S1C_jS1D_jS1E_S1E_jjS1G_bEUljE0_EEESZ_S10_S11_S18_S1C_S1E_T6_T7_T9_mT8_S1G_bDpT10_ENKUlT_T0_E_clISt17integral_constantIbLb1EES1T_IbLb0EEEEDaS1P_S1Q_EUlS1P_E_NS1_11comp_targetILNS1_3genE8ELNS1_11target_archE1030ELNS1_3gpuE2ELNS1_3repE0EEENS1_30default_config_static_selectorELNS0_4arch9wavefront6targetE0EEEvS12_.kd
    .uniform_work_group_size: 1
    .uses_dynamic_stack: false
    .vgpr_count:     0
    .vgpr_spill_count: 0
    .wavefront_size: 32
  - .args:
      - .offset:         0
        .size:           184
        .value_kind:     by_value
    .group_segment_fixed_size: 13328
    .kernarg_segment_align: 8
    .kernarg_segment_size: 184
    .language:       OpenCL C
    .language_version:
      - 2
      - 0
    .max_flat_workgroup_size: 256
    .name:           _ZN7rocprim17ROCPRIM_400000_NS6detail17trampoline_kernelINS0_13select_configILj256ELj13ELNS0_17block_load_methodE3ELS4_3ELS4_3ELNS0_20block_scan_algorithmE0ELj4294967295EEENS1_25partition_config_selectorILNS1_17partition_subalgoE4EjNS0_10empty_typeEbEEZZNS1_14partition_implILS8_4ELb0ES6_15HIP_vector_typeIjLj2EENS0_17counting_iteratorIjlEEPS9_SG_NS0_5tupleIJPjSI_NS0_16reverse_iteratorISI_EEEEENSH_IJSG_SG_SG_EEES9_SI_JZNS1_25segmented_radix_sort_implINS0_14default_configELb0EPKbPbPKlPlN2at6native12_GLOBAL__N_18offset_tEEE10hipError_tPvRmT1_PNSt15iterator_traitsIS12_E10value_typeET2_T3_PNS13_IS18_E10value_typeET4_jRbjT5_S1E_jjP12ihipStream_tbEUljE_ZNSN_ISO_Lb0ESQ_SR_ST_SU_SY_EESZ_S10_S11_S12_S16_S17_S18_S1B_S1C_jS1D_jS1E_S1E_jjS1G_bEUljE0_EEESZ_S10_S11_S18_S1C_S1E_T6_T7_T9_mT8_S1G_bDpT10_ENKUlT_T0_E_clISt17integral_constantIbLb0EES1T_IbLb1EEEEDaS1P_S1Q_EUlS1P_E_NS1_11comp_targetILNS1_3genE0ELNS1_11target_archE4294967295ELNS1_3gpuE0ELNS1_3repE0EEENS1_30default_config_static_selectorELNS0_4arch9wavefront6targetE0EEEvS12_
    .private_segment_fixed_size: 0
    .sgpr_count:     57
    .sgpr_spill_count: 0
    .symbol:         _ZN7rocprim17ROCPRIM_400000_NS6detail17trampoline_kernelINS0_13select_configILj256ELj13ELNS0_17block_load_methodE3ELS4_3ELS4_3ELNS0_20block_scan_algorithmE0ELj4294967295EEENS1_25partition_config_selectorILNS1_17partition_subalgoE4EjNS0_10empty_typeEbEEZZNS1_14partition_implILS8_4ELb0ES6_15HIP_vector_typeIjLj2EENS0_17counting_iteratorIjlEEPS9_SG_NS0_5tupleIJPjSI_NS0_16reverse_iteratorISI_EEEEENSH_IJSG_SG_SG_EEES9_SI_JZNS1_25segmented_radix_sort_implINS0_14default_configELb0EPKbPbPKlPlN2at6native12_GLOBAL__N_18offset_tEEE10hipError_tPvRmT1_PNSt15iterator_traitsIS12_E10value_typeET2_T3_PNS13_IS18_E10value_typeET4_jRbjT5_S1E_jjP12ihipStream_tbEUljE_ZNSN_ISO_Lb0ESQ_SR_ST_SU_SY_EESZ_S10_S11_S12_S16_S17_S18_S1B_S1C_jS1D_jS1E_S1E_jjS1G_bEUljE0_EEESZ_S10_S11_S18_S1C_S1E_T6_T7_T9_mT8_S1G_bDpT10_ENKUlT_T0_E_clISt17integral_constantIbLb0EES1T_IbLb1EEEEDaS1P_S1Q_EUlS1P_E_NS1_11comp_targetILNS1_3genE0ELNS1_11target_archE4294967295ELNS1_3gpuE0ELNS1_3repE0EEENS1_30default_config_static_selectorELNS0_4arch9wavefront6targetE0EEEvS12_.kd
    .uniform_work_group_size: 1
    .uses_dynamic_stack: false
    .vgpr_count:     86
    .vgpr_spill_count: 0
    .wavefront_size: 32
  - .args:
      - .offset:         0
        .size:           184
        .value_kind:     by_value
    .group_segment_fixed_size: 0
    .kernarg_segment_align: 8
    .kernarg_segment_size: 184
    .language:       OpenCL C
    .language_version:
      - 2
      - 0
    .max_flat_workgroup_size: 256
    .name:           _ZN7rocprim17ROCPRIM_400000_NS6detail17trampoline_kernelINS0_13select_configILj256ELj13ELNS0_17block_load_methodE3ELS4_3ELS4_3ELNS0_20block_scan_algorithmE0ELj4294967295EEENS1_25partition_config_selectorILNS1_17partition_subalgoE4EjNS0_10empty_typeEbEEZZNS1_14partition_implILS8_4ELb0ES6_15HIP_vector_typeIjLj2EENS0_17counting_iteratorIjlEEPS9_SG_NS0_5tupleIJPjSI_NS0_16reverse_iteratorISI_EEEEENSH_IJSG_SG_SG_EEES9_SI_JZNS1_25segmented_radix_sort_implINS0_14default_configELb0EPKbPbPKlPlN2at6native12_GLOBAL__N_18offset_tEEE10hipError_tPvRmT1_PNSt15iterator_traitsIS12_E10value_typeET2_T3_PNS13_IS18_E10value_typeET4_jRbjT5_S1E_jjP12ihipStream_tbEUljE_ZNSN_ISO_Lb0ESQ_SR_ST_SU_SY_EESZ_S10_S11_S12_S16_S17_S18_S1B_S1C_jS1D_jS1E_S1E_jjS1G_bEUljE0_EEESZ_S10_S11_S18_S1C_S1E_T6_T7_T9_mT8_S1G_bDpT10_ENKUlT_T0_E_clISt17integral_constantIbLb0EES1T_IbLb1EEEEDaS1P_S1Q_EUlS1P_E_NS1_11comp_targetILNS1_3genE5ELNS1_11target_archE942ELNS1_3gpuE9ELNS1_3repE0EEENS1_30default_config_static_selectorELNS0_4arch9wavefront6targetE0EEEvS12_
    .private_segment_fixed_size: 0
    .sgpr_count:     0
    .sgpr_spill_count: 0
    .symbol:         _ZN7rocprim17ROCPRIM_400000_NS6detail17trampoline_kernelINS0_13select_configILj256ELj13ELNS0_17block_load_methodE3ELS4_3ELS4_3ELNS0_20block_scan_algorithmE0ELj4294967295EEENS1_25partition_config_selectorILNS1_17partition_subalgoE4EjNS0_10empty_typeEbEEZZNS1_14partition_implILS8_4ELb0ES6_15HIP_vector_typeIjLj2EENS0_17counting_iteratorIjlEEPS9_SG_NS0_5tupleIJPjSI_NS0_16reverse_iteratorISI_EEEEENSH_IJSG_SG_SG_EEES9_SI_JZNS1_25segmented_radix_sort_implINS0_14default_configELb0EPKbPbPKlPlN2at6native12_GLOBAL__N_18offset_tEEE10hipError_tPvRmT1_PNSt15iterator_traitsIS12_E10value_typeET2_T3_PNS13_IS18_E10value_typeET4_jRbjT5_S1E_jjP12ihipStream_tbEUljE_ZNSN_ISO_Lb0ESQ_SR_ST_SU_SY_EESZ_S10_S11_S12_S16_S17_S18_S1B_S1C_jS1D_jS1E_S1E_jjS1G_bEUljE0_EEESZ_S10_S11_S18_S1C_S1E_T6_T7_T9_mT8_S1G_bDpT10_ENKUlT_T0_E_clISt17integral_constantIbLb0EES1T_IbLb1EEEEDaS1P_S1Q_EUlS1P_E_NS1_11comp_targetILNS1_3genE5ELNS1_11target_archE942ELNS1_3gpuE9ELNS1_3repE0EEENS1_30default_config_static_selectorELNS0_4arch9wavefront6targetE0EEEvS12_.kd
    .uniform_work_group_size: 1
    .uses_dynamic_stack: false
    .vgpr_count:     0
    .vgpr_spill_count: 0
    .wavefront_size: 32
  - .args:
      - .offset:         0
        .size:           184
        .value_kind:     by_value
    .group_segment_fixed_size: 0
    .kernarg_segment_align: 8
    .kernarg_segment_size: 184
    .language:       OpenCL C
    .language_version:
      - 2
      - 0
    .max_flat_workgroup_size: 256
    .name:           _ZN7rocprim17ROCPRIM_400000_NS6detail17trampoline_kernelINS0_13select_configILj256ELj13ELNS0_17block_load_methodE3ELS4_3ELS4_3ELNS0_20block_scan_algorithmE0ELj4294967295EEENS1_25partition_config_selectorILNS1_17partition_subalgoE4EjNS0_10empty_typeEbEEZZNS1_14partition_implILS8_4ELb0ES6_15HIP_vector_typeIjLj2EENS0_17counting_iteratorIjlEEPS9_SG_NS0_5tupleIJPjSI_NS0_16reverse_iteratorISI_EEEEENSH_IJSG_SG_SG_EEES9_SI_JZNS1_25segmented_radix_sort_implINS0_14default_configELb0EPKbPbPKlPlN2at6native12_GLOBAL__N_18offset_tEEE10hipError_tPvRmT1_PNSt15iterator_traitsIS12_E10value_typeET2_T3_PNS13_IS18_E10value_typeET4_jRbjT5_S1E_jjP12ihipStream_tbEUljE_ZNSN_ISO_Lb0ESQ_SR_ST_SU_SY_EESZ_S10_S11_S12_S16_S17_S18_S1B_S1C_jS1D_jS1E_S1E_jjS1G_bEUljE0_EEESZ_S10_S11_S18_S1C_S1E_T6_T7_T9_mT8_S1G_bDpT10_ENKUlT_T0_E_clISt17integral_constantIbLb0EES1T_IbLb1EEEEDaS1P_S1Q_EUlS1P_E_NS1_11comp_targetILNS1_3genE4ELNS1_11target_archE910ELNS1_3gpuE8ELNS1_3repE0EEENS1_30default_config_static_selectorELNS0_4arch9wavefront6targetE0EEEvS12_
    .private_segment_fixed_size: 0
    .sgpr_count:     0
    .sgpr_spill_count: 0
    .symbol:         _ZN7rocprim17ROCPRIM_400000_NS6detail17trampoline_kernelINS0_13select_configILj256ELj13ELNS0_17block_load_methodE3ELS4_3ELS4_3ELNS0_20block_scan_algorithmE0ELj4294967295EEENS1_25partition_config_selectorILNS1_17partition_subalgoE4EjNS0_10empty_typeEbEEZZNS1_14partition_implILS8_4ELb0ES6_15HIP_vector_typeIjLj2EENS0_17counting_iteratorIjlEEPS9_SG_NS0_5tupleIJPjSI_NS0_16reverse_iteratorISI_EEEEENSH_IJSG_SG_SG_EEES9_SI_JZNS1_25segmented_radix_sort_implINS0_14default_configELb0EPKbPbPKlPlN2at6native12_GLOBAL__N_18offset_tEEE10hipError_tPvRmT1_PNSt15iterator_traitsIS12_E10value_typeET2_T3_PNS13_IS18_E10value_typeET4_jRbjT5_S1E_jjP12ihipStream_tbEUljE_ZNSN_ISO_Lb0ESQ_SR_ST_SU_SY_EESZ_S10_S11_S12_S16_S17_S18_S1B_S1C_jS1D_jS1E_S1E_jjS1G_bEUljE0_EEESZ_S10_S11_S18_S1C_S1E_T6_T7_T9_mT8_S1G_bDpT10_ENKUlT_T0_E_clISt17integral_constantIbLb0EES1T_IbLb1EEEEDaS1P_S1Q_EUlS1P_E_NS1_11comp_targetILNS1_3genE4ELNS1_11target_archE910ELNS1_3gpuE8ELNS1_3repE0EEENS1_30default_config_static_selectorELNS0_4arch9wavefront6targetE0EEEvS12_.kd
    .uniform_work_group_size: 1
    .uses_dynamic_stack: false
    .vgpr_count:     0
    .vgpr_spill_count: 0
    .wavefront_size: 32
  - .args:
      - .offset:         0
        .size:           184
        .value_kind:     by_value
    .group_segment_fixed_size: 0
    .kernarg_segment_align: 8
    .kernarg_segment_size: 184
    .language:       OpenCL C
    .language_version:
      - 2
      - 0
    .max_flat_workgroup_size: 256
    .name:           _ZN7rocprim17ROCPRIM_400000_NS6detail17trampoline_kernelINS0_13select_configILj256ELj13ELNS0_17block_load_methodE3ELS4_3ELS4_3ELNS0_20block_scan_algorithmE0ELj4294967295EEENS1_25partition_config_selectorILNS1_17partition_subalgoE4EjNS0_10empty_typeEbEEZZNS1_14partition_implILS8_4ELb0ES6_15HIP_vector_typeIjLj2EENS0_17counting_iteratorIjlEEPS9_SG_NS0_5tupleIJPjSI_NS0_16reverse_iteratorISI_EEEEENSH_IJSG_SG_SG_EEES9_SI_JZNS1_25segmented_radix_sort_implINS0_14default_configELb0EPKbPbPKlPlN2at6native12_GLOBAL__N_18offset_tEEE10hipError_tPvRmT1_PNSt15iterator_traitsIS12_E10value_typeET2_T3_PNS13_IS18_E10value_typeET4_jRbjT5_S1E_jjP12ihipStream_tbEUljE_ZNSN_ISO_Lb0ESQ_SR_ST_SU_SY_EESZ_S10_S11_S12_S16_S17_S18_S1B_S1C_jS1D_jS1E_S1E_jjS1G_bEUljE0_EEESZ_S10_S11_S18_S1C_S1E_T6_T7_T9_mT8_S1G_bDpT10_ENKUlT_T0_E_clISt17integral_constantIbLb0EES1T_IbLb1EEEEDaS1P_S1Q_EUlS1P_E_NS1_11comp_targetILNS1_3genE3ELNS1_11target_archE908ELNS1_3gpuE7ELNS1_3repE0EEENS1_30default_config_static_selectorELNS0_4arch9wavefront6targetE0EEEvS12_
    .private_segment_fixed_size: 0
    .sgpr_count:     0
    .sgpr_spill_count: 0
    .symbol:         _ZN7rocprim17ROCPRIM_400000_NS6detail17trampoline_kernelINS0_13select_configILj256ELj13ELNS0_17block_load_methodE3ELS4_3ELS4_3ELNS0_20block_scan_algorithmE0ELj4294967295EEENS1_25partition_config_selectorILNS1_17partition_subalgoE4EjNS0_10empty_typeEbEEZZNS1_14partition_implILS8_4ELb0ES6_15HIP_vector_typeIjLj2EENS0_17counting_iteratorIjlEEPS9_SG_NS0_5tupleIJPjSI_NS0_16reverse_iteratorISI_EEEEENSH_IJSG_SG_SG_EEES9_SI_JZNS1_25segmented_radix_sort_implINS0_14default_configELb0EPKbPbPKlPlN2at6native12_GLOBAL__N_18offset_tEEE10hipError_tPvRmT1_PNSt15iterator_traitsIS12_E10value_typeET2_T3_PNS13_IS18_E10value_typeET4_jRbjT5_S1E_jjP12ihipStream_tbEUljE_ZNSN_ISO_Lb0ESQ_SR_ST_SU_SY_EESZ_S10_S11_S12_S16_S17_S18_S1B_S1C_jS1D_jS1E_S1E_jjS1G_bEUljE0_EEESZ_S10_S11_S18_S1C_S1E_T6_T7_T9_mT8_S1G_bDpT10_ENKUlT_T0_E_clISt17integral_constantIbLb0EES1T_IbLb1EEEEDaS1P_S1Q_EUlS1P_E_NS1_11comp_targetILNS1_3genE3ELNS1_11target_archE908ELNS1_3gpuE7ELNS1_3repE0EEENS1_30default_config_static_selectorELNS0_4arch9wavefront6targetE0EEEvS12_.kd
    .uniform_work_group_size: 1
    .uses_dynamic_stack: false
    .vgpr_count:     0
    .vgpr_spill_count: 0
    .wavefront_size: 32
  - .args:
      - .offset:         0
        .size:           184
        .value_kind:     by_value
    .group_segment_fixed_size: 0
    .kernarg_segment_align: 8
    .kernarg_segment_size: 184
    .language:       OpenCL C
    .language_version:
      - 2
      - 0
    .max_flat_workgroup_size: 256
    .name:           _ZN7rocprim17ROCPRIM_400000_NS6detail17trampoline_kernelINS0_13select_configILj256ELj13ELNS0_17block_load_methodE3ELS4_3ELS4_3ELNS0_20block_scan_algorithmE0ELj4294967295EEENS1_25partition_config_selectorILNS1_17partition_subalgoE4EjNS0_10empty_typeEbEEZZNS1_14partition_implILS8_4ELb0ES6_15HIP_vector_typeIjLj2EENS0_17counting_iteratorIjlEEPS9_SG_NS0_5tupleIJPjSI_NS0_16reverse_iteratorISI_EEEEENSH_IJSG_SG_SG_EEES9_SI_JZNS1_25segmented_radix_sort_implINS0_14default_configELb0EPKbPbPKlPlN2at6native12_GLOBAL__N_18offset_tEEE10hipError_tPvRmT1_PNSt15iterator_traitsIS12_E10value_typeET2_T3_PNS13_IS18_E10value_typeET4_jRbjT5_S1E_jjP12ihipStream_tbEUljE_ZNSN_ISO_Lb0ESQ_SR_ST_SU_SY_EESZ_S10_S11_S12_S16_S17_S18_S1B_S1C_jS1D_jS1E_S1E_jjS1G_bEUljE0_EEESZ_S10_S11_S18_S1C_S1E_T6_T7_T9_mT8_S1G_bDpT10_ENKUlT_T0_E_clISt17integral_constantIbLb0EES1T_IbLb1EEEEDaS1P_S1Q_EUlS1P_E_NS1_11comp_targetILNS1_3genE2ELNS1_11target_archE906ELNS1_3gpuE6ELNS1_3repE0EEENS1_30default_config_static_selectorELNS0_4arch9wavefront6targetE0EEEvS12_
    .private_segment_fixed_size: 0
    .sgpr_count:     0
    .sgpr_spill_count: 0
    .symbol:         _ZN7rocprim17ROCPRIM_400000_NS6detail17trampoline_kernelINS0_13select_configILj256ELj13ELNS0_17block_load_methodE3ELS4_3ELS4_3ELNS0_20block_scan_algorithmE0ELj4294967295EEENS1_25partition_config_selectorILNS1_17partition_subalgoE4EjNS0_10empty_typeEbEEZZNS1_14partition_implILS8_4ELb0ES6_15HIP_vector_typeIjLj2EENS0_17counting_iteratorIjlEEPS9_SG_NS0_5tupleIJPjSI_NS0_16reverse_iteratorISI_EEEEENSH_IJSG_SG_SG_EEES9_SI_JZNS1_25segmented_radix_sort_implINS0_14default_configELb0EPKbPbPKlPlN2at6native12_GLOBAL__N_18offset_tEEE10hipError_tPvRmT1_PNSt15iterator_traitsIS12_E10value_typeET2_T3_PNS13_IS18_E10value_typeET4_jRbjT5_S1E_jjP12ihipStream_tbEUljE_ZNSN_ISO_Lb0ESQ_SR_ST_SU_SY_EESZ_S10_S11_S12_S16_S17_S18_S1B_S1C_jS1D_jS1E_S1E_jjS1G_bEUljE0_EEESZ_S10_S11_S18_S1C_S1E_T6_T7_T9_mT8_S1G_bDpT10_ENKUlT_T0_E_clISt17integral_constantIbLb0EES1T_IbLb1EEEEDaS1P_S1Q_EUlS1P_E_NS1_11comp_targetILNS1_3genE2ELNS1_11target_archE906ELNS1_3gpuE6ELNS1_3repE0EEENS1_30default_config_static_selectorELNS0_4arch9wavefront6targetE0EEEvS12_.kd
    .uniform_work_group_size: 1
    .uses_dynamic_stack: false
    .vgpr_count:     0
    .vgpr_spill_count: 0
    .wavefront_size: 32
  - .args:
      - .offset:         0
        .size:           184
        .value_kind:     by_value
    .group_segment_fixed_size: 0
    .kernarg_segment_align: 8
    .kernarg_segment_size: 184
    .language:       OpenCL C
    .language_version:
      - 2
      - 0
    .max_flat_workgroup_size: 256
    .name:           _ZN7rocprim17ROCPRIM_400000_NS6detail17trampoline_kernelINS0_13select_configILj256ELj13ELNS0_17block_load_methodE3ELS4_3ELS4_3ELNS0_20block_scan_algorithmE0ELj4294967295EEENS1_25partition_config_selectorILNS1_17partition_subalgoE4EjNS0_10empty_typeEbEEZZNS1_14partition_implILS8_4ELb0ES6_15HIP_vector_typeIjLj2EENS0_17counting_iteratorIjlEEPS9_SG_NS0_5tupleIJPjSI_NS0_16reverse_iteratorISI_EEEEENSH_IJSG_SG_SG_EEES9_SI_JZNS1_25segmented_radix_sort_implINS0_14default_configELb0EPKbPbPKlPlN2at6native12_GLOBAL__N_18offset_tEEE10hipError_tPvRmT1_PNSt15iterator_traitsIS12_E10value_typeET2_T3_PNS13_IS18_E10value_typeET4_jRbjT5_S1E_jjP12ihipStream_tbEUljE_ZNSN_ISO_Lb0ESQ_SR_ST_SU_SY_EESZ_S10_S11_S12_S16_S17_S18_S1B_S1C_jS1D_jS1E_S1E_jjS1G_bEUljE0_EEESZ_S10_S11_S18_S1C_S1E_T6_T7_T9_mT8_S1G_bDpT10_ENKUlT_T0_E_clISt17integral_constantIbLb0EES1T_IbLb1EEEEDaS1P_S1Q_EUlS1P_E_NS1_11comp_targetILNS1_3genE10ELNS1_11target_archE1200ELNS1_3gpuE4ELNS1_3repE0EEENS1_30default_config_static_selectorELNS0_4arch9wavefront6targetE0EEEvS12_
    .private_segment_fixed_size: 0
    .sgpr_count:     0
    .sgpr_spill_count: 0
    .symbol:         _ZN7rocprim17ROCPRIM_400000_NS6detail17trampoline_kernelINS0_13select_configILj256ELj13ELNS0_17block_load_methodE3ELS4_3ELS4_3ELNS0_20block_scan_algorithmE0ELj4294967295EEENS1_25partition_config_selectorILNS1_17partition_subalgoE4EjNS0_10empty_typeEbEEZZNS1_14partition_implILS8_4ELb0ES6_15HIP_vector_typeIjLj2EENS0_17counting_iteratorIjlEEPS9_SG_NS0_5tupleIJPjSI_NS0_16reverse_iteratorISI_EEEEENSH_IJSG_SG_SG_EEES9_SI_JZNS1_25segmented_radix_sort_implINS0_14default_configELb0EPKbPbPKlPlN2at6native12_GLOBAL__N_18offset_tEEE10hipError_tPvRmT1_PNSt15iterator_traitsIS12_E10value_typeET2_T3_PNS13_IS18_E10value_typeET4_jRbjT5_S1E_jjP12ihipStream_tbEUljE_ZNSN_ISO_Lb0ESQ_SR_ST_SU_SY_EESZ_S10_S11_S12_S16_S17_S18_S1B_S1C_jS1D_jS1E_S1E_jjS1G_bEUljE0_EEESZ_S10_S11_S18_S1C_S1E_T6_T7_T9_mT8_S1G_bDpT10_ENKUlT_T0_E_clISt17integral_constantIbLb0EES1T_IbLb1EEEEDaS1P_S1Q_EUlS1P_E_NS1_11comp_targetILNS1_3genE10ELNS1_11target_archE1200ELNS1_3gpuE4ELNS1_3repE0EEENS1_30default_config_static_selectorELNS0_4arch9wavefront6targetE0EEEvS12_.kd
    .uniform_work_group_size: 1
    .uses_dynamic_stack: false
    .vgpr_count:     0
    .vgpr_spill_count: 0
    .wavefront_size: 32
  - .args:
      - .offset:         0
        .size:           184
        .value_kind:     by_value
    .group_segment_fixed_size: 0
    .kernarg_segment_align: 8
    .kernarg_segment_size: 184
    .language:       OpenCL C
    .language_version:
      - 2
      - 0
    .max_flat_workgroup_size: 256
    .name:           _ZN7rocprim17ROCPRIM_400000_NS6detail17trampoline_kernelINS0_13select_configILj256ELj13ELNS0_17block_load_methodE3ELS4_3ELS4_3ELNS0_20block_scan_algorithmE0ELj4294967295EEENS1_25partition_config_selectorILNS1_17partition_subalgoE4EjNS0_10empty_typeEbEEZZNS1_14partition_implILS8_4ELb0ES6_15HIP_vector_typeIjLj2EENS0_17counting_iteratorIjlEEPS9_SG_NS0_5tupleIJPjSI_NS0_16reverse_iteratorISI_EEEEENSH_IJSG_SG_SG_EEES9_SI_JZNS1_25segmented_radix_sort_implINS0_14default_configELb0EPKbPbPKlPlN2at6native12_GLOBAL__N_18offset_tEEE10hipError_tPvRmT1_PNSt15iterator_traitsIS12_E10value_typeET2_T3_PNS13_IS18_E10value_typeET4_jRbjT5_S1E_jjP12ihipStream_tbEUljE_ZNSN_ISO_Lb0ESQ_SR_ST_SU_SY_EESZ_S10_S11_S12_S16_S17_S18_S1B_S1C_jS1D_jS1E_S1E_jjS1G_bEUljE0_EEESZ_S10_S11_S18_S1C_S1E_T6_T7_T9_mT8_S1G_bDpT10_ENKUlT_T0_E_clISt17integral_constantIbLb0EES1T_IbLb1EEEEDaS1P_S1Q_EUlS1P_E_NS1_11comp_targetILNS1_3genE9ELNS1_11target_archE1100ELNS1_3gpuE3ELNS1_3repE0EEENS1_30default_config_static_selectorELNS0_4arch9wavefront6targetE0EEEvS12_
    .private_segment_fixed_size: 0
    .sgpr_count:     0
    .sgpr_spill_count: 0
    .symbol:         _ZN7rocprim17ROCPRIM_400000_NS6detail17trampoline_kernelINS0_13select_configILj256ELj13ELNS0_17block_load_methodE3ELS4_3ELS4_3ELNS0_20block_scan_algorithmE0ELj4294967295EEENS1_25partition_config_selectorILNS1_17partition_subalgoE4EjNS0_10empty_typeEbEEZZNS1_14partition_implILS8_4ELb0ES6_15HIP_vector_typeIjLj2EENS0_17counting_iteratorIjlEEPS9_SG_NS0_5tupleIJPjSI_NS0_16reverse_iteratorISI_EEEEENSH_IJSG_SG_SG_EEES9_SI_JZNS1_25segmented_radix_sort_implINS0_14default_configELb0EPKbPbPKlPlN2at6native12_GLOBAL__N_18offset_tEEE10hipError_tPvRmT1_PNSt15iterator_traitsIS12_E10value_typeET2_T3_PNS13_IS18_E10value_typeET4_jRbjT5_S1E_jjP12ihipStream_tbEUljE_ZNSN_ISO_Lb0ESQ_SR_ST_SU_SY_EESZ_S10_S11_S12_S16_S17_S18_S1B_S1C_jS1D_jS1E_S1E_jjS1G_bEUljE0_EEESZ_S10_S11_S18_S1C_S1E_T6_T7_T9_mT8_S1G_bDpT10_ENKUlT_T0_E_clISt17integral_constantIbLb0EES1T_IbLb1EEEEDaS1P_S1Q_EUlS1P_E_NS1_11comp_targetILNS1_3genE9ELNS1_11target_archE1100ELNS1_3gpuE3ELNS1_3repE0EEENS1_30default_config_static_selectorELNS0_4arch9wavefront6targetE0EEEvS12_.kd
    .uniform_work_group_size: 1
    .uses_dynamic_stack: false
    .vgpr_count:     0
    .vgpr_spill_count: 0
    .wavefront_size: 32
  - .args:
      - .offset:         0
        .size:           184
        .value_kind:     by_value
    .group_segment_fixed_size: 0
    .kernarg_segment_align: 8
    .kernarg_segment_size: 184
    .language:       OpenCL C
    .language_version:
      - 2
      - 0
    .max_flat_workgroup_size: 256
    .name:           _ZN7rocprim17ROCPRIM_400000_NS6detail17trampoline_kernelINS0_13select_configILj256ELj13ELNS0_17block_load_methodE3ELS4_3ELS4_3ELNS0_20block_scan_algorithmE0ELj4294967295EEENS1_25partition_config_selectorILNS1_17partition_subalgoE4EjNS0_10empty_typeEbEEZZNS1_14partition_implILS8_4ELb0ES6_15HIP_vector_typeIjLj2EENS0_17counting_iteratorIjlEEPS9_SG_NS0_5tupleIJPjSI_NS0_16reverse_iteratorISI_EEEEENSH_IJSG_SG_SG_EEES9_SI_JZNS1_25segmented_radix_sort_implINS0_14default_configELb0EPKbPbPKlPlN2at6native12_GLOBAL__N_18offset_tEEE10hipError_tPvRmT1_PNSt15iterator_traitsIS12_E10value_typeET2_T3_PNS13_IS18_E10value_typeET4_jRbjT5_S1E_jjP12ihipStream_tbEUljE_ZNSN_ISO_Lb0ESQ_SR_ST_SU_SY_EESZ_S10_S11_S12_S16_S17_S18_S1B_S1C_jS1D_jS1E_S1E_jjS1G_bEUljE0_EEESZ_S10_S11_S18_S1C_S1E_T6_T7_T9_mT8_S1G_bDpT10_ENKUlT_T0_E_clISt17integral_constantIbLb0EES1T_IbLb1EEEEDaS1P_S1Q_EUlS1P_E_NS1_11comp_targetILNS1_3genE8ELNS1_11target_archE1030ELNS1_3gpuE2ELNS1_3repE0EEENS1_30default_config_static_selectorELNS0_4arch9wavefront6targetE0EEEvS12_
    .private_segment_fixed_size: 0
    .sgpr_count:     0
    .sgpr_spill_count: 0
    .symbol:         _ZN7rocprim17ROCPRIM_400000_NS6detail17trampoline_kernelINS0_13select_configILj256ELj13ELNS0_17block_load_methodE3ELS4_3ELS4_3ELNS0_20block_scan_algorithmE0ELj4294967295EEENS1_25partition_config_selectorILNS1_17partition_subalgoE4EjNS0_10empty_typeEbEEZZNS1_14partition_implILS8_4ELb0ES6_15HIP_vector_typeIjLj2EENS0_17counting_iteratorIjlEEPS9_SG_NS0_5tupleIJPjSI_NS0_16reverse_iteratorISI_EEEEENSH_IJSG_SG_SG_EEES9_SI_JZNS1_25segmented_radix_sort_implINS0_14default_configELb0EPKbPbPKlPlN2at6native12_GLOBAL__N_18offset_tEEE10hipError_tPvRmT1_PNSt15iterator_traitsIS12_E10value_typeET2_T3_PNS13_IS18_E10value_typeET4_jRbjT5_S1E_jjP12ihipStream_tbEUljE_ZNSN_ISO_Lb0ESQ_SR_ST_SU_SY_EESZ_S10_S11_S12_S16_S17_S18_S1B_S1C_jS1D_jS1E_S1E_jjS1G_bEUljE0_EEESZ_S10_S11_S18_S1C_S1E_T6_T7_T9_mT8_S1G_bDpT10_ENKUlT_T0_E_clISt17integral_constantIbLb0EES1T_IbLb1EEEEDaS1P_S1Q_EUlS1P_E_NS1_11comp_targetILNS1_3genE8ELNS1_11target_archE1030ELNS1_3gpuE2ELNS1_3repE0EEENS1_30default_config_static_selectorELNS0_4arch9wavefront6targetE0EEEvS12_.kd
    .uniform_work_group_size: 1
    .uses_dynamic_stack: false
    .vgpr_count:     0
    .vgpr_spill_count: 0
    .wavefront_size: 32
  - .args:
      - .offset:         0
        .size:           144
        .value_kind:     by_value
    .group_segment_fixed_size: 13320
    .kernarg_segment_align: 8
    .kernarg_segment_size: 144
    .language:       OpenCL C
    .language_version:
      - 2
      - 0
    .max_flat_workgroup_size: 256
    .name:           _ZN7rocprim17ROCPRIM_400000_NS6detail17trampoline_kernelINS0_13select_configILj256ELj13ELNS0_17block_load_methodE3ELS4_3ELS4_3ELNS0_20block_scan_algorithmE0ELj4294967295EEENS1_25partition_config_selectorILNS1_17partition_subalgoE3EjNS0_10empty_typeEbEEZZNS1_14partition_implILS8_3ELb0ES6_jNS0_17counting_iteratorIjlEEPS9_SE_NS0_5tupleIJPjSE_EEENSF_IJSE_SE_EEES9_SG_JZNS1_25segmented_radix_sort_implINS0_14default_configELb0EPKbPbPKlPlN2at6native12_GLOBAL__N_18offset_tEEE10hipError_tPvRmT1_PNSt15iterator_traitsISY_E10value_typeET2_T3_PNSZ_IS14_E10value_typeET4_jRbjT5_S1A_jjP12ihipStream_tbEUljE_EEESV_SW_SX_S14_S18_S1A_T6_T7_T9_mT8_S1C_bDpT10_ENKUlT_T0_E_clISt17integral_constantIbLb0EES1P_EEDaS1K_S1L_EUlS1K_E_NS1_11comp_targetILNS1_3genE0ELNS1_11target_archE4294967295ELNS1_3gpuE0ELNS1_3repE0EEENS1_30default_config_static_selectorELNS0_4arch9wavefront6targetE0EEEvSY_
    .private_segment_fixed_size: 0
    .sgpr_count:     28
    .sgpr_spill_count: 0
    .symbol:         _ZN7rocprim17ROCPRIM_400000_NS6detail17trampoline_kernelINS0_13select_configILj256ELj13ELNS0_17block_load_methodE3ELS4_3ELS4_3ELNS0_20block_scan_algorithmE0ELj4294967295EEENS1_25partition_config_selectorILNS1_17partition_subalgoE3EjNS0_10empty_typeEbEEZZNS1_14partition_implILS8_3ELb0ES6_jNS0_17counting_iteratorIjlEEPS9_SE_NS0_5tupleIJPjSE_EEENSF_IJSE_SE_EEES9_SG_JZNS1_25segmented_radix_sort_implINS0_14default_configELb0EPKbPbPKlPlN2at6native12_GLOBAL__N_18offset_tEEE10hipError_tPvRmT1_PNSt15iterator_traitsISY_E10value_typeET2_T3_PNSZ_IS14_E10value_typeET4_jRbjT5_S1A_jjP12ihipStream_tbEUljE_EEESV_SW_SX_S14_S18_S1A_T6_T7_T9_mT8_S1C_bDpT10_ENKUlT_T0_E_clISt17integral_constantIbLb0EES1P_EEDaS1K_S1L_EUlS1K_E_NS1_11comp_targetILNS1_3genE0ELNS1_11target_archE4294967295ELNS1_3gpuE0ELNS1_3repE0EEENS1_30default_config_static_selectorELNS0_4arch9wavefront6targetE0EEEvSY_.kd
    .uniform_work_group_size: 1
    .uses_dynamic_stack: false
    .vgpr_count:     69
    .vgpr_spill_count: 0
    .wavefront_size: 32
  - .args:
      - .offset:         0
        .size:           144
        .value_kind:     by_value
    .group_segment_fixed_size: 0
    .kernarg_segment_align: 8
    .kernarg_segment_size: 144
    .language:       OpenCL C
    .language_version:
      - 2
      - 0
    .max_flat_workgroup_size: 256
    .name:           _ZN7rocprim17ROCPRIM_400000_NS6detail17trampoline_kernelINS0_13select_configILj256ELj13ELNS0_17block_load_methodE3ELS4_3ELS4_3ELNS0_20block_scan_algorithmE0ELj4294967295EEENS1_25partition_config_selectorILNS1_17partition_subalgoE3EjNS0_10empty_typeEbEEZZNS1_14partition_implILS8_3ELb0ES6_jNS0_17counting_iteratorIjlEEPS9_SE_NS0_5tupleIJPjSE_EEENSF_IJSE_SE_EEES9_SG_JZNS1_25segmented_radix_sort_implINS0_14default_configELb0EPKbPbPKlPlN2at6native12_GLOBAL__N_18offset_tEEE10hipError_tPvRmT1_PNSt15iterator_traitsISY_E10value_typeET2_T3_PNSZ_IS14_E10value_typeET4_jRbjT5_S1A_jjP12ihipStream_tbEUljE_EEESV_SW_SX_S14_S18_S1A_T6_T7_T9_mT8_S1C_bDpT10_ENKUlT_T0_E_clISt17integral_constantIbLb0EES1P_EEDaS1K_S1L_EUlS1K_E_NS1_11comp_targetILNS1_3genE5ELNS1_11target_archE942ELNS1_3gpuE9ELNS1_3repE0EEENS1_30default_config_static_selectorELNS0_4arch9wavefront6targetE0EEEvSY_
    .private_segment_fixed_size: 0
    .sgpr_count:     0
    .sgpr_spill_count: 0
    .symbol:         _ZN7rocprim17ROCPRIM_400000_NS6detail17trampoline_kernelINS0_13select_configILj256ELj13ELNS0_17block_load_methodE3ELS4_3ELS4_3ELNS0_20block_scan_algorithmE0ELj4294967295EEENS1_25partition_config_selectorILNS1_17partition_subalgoE3EjNS0_10empty_typeEbEEZZNS1_14partition_implILS8_3ELb0ES6_jNS0_17counting_iteratorIjlEEPS9_SE_NS0_5tupleIJPjSE_EEENSF_IJSE_SE_EEES9_SG_JZNS1_25segmented_radix_sort_implINS0_14default_configELb0EPKbPbPKlPlN2at6native12_GLOBAL__N_18offset_tEEE10hipError_tPvRmT1_PNSt15iterator_traitsISY_E10value_typeET2_T3_PNSZ_IS14_E10value_typeET4_jRbjT5_S1A_jjP12ihipStream_tbEUljE_EEESV_SW_SX_S14_S18_S1A_T6_T7_T9_mT8_S1C_bDpT10_ENKUlT_T0_E_clISt17integral_constantIbLb0EES1P_EEDaS1K_S1L_EUlS1K_E_NS1_11comp_targetILNS1_3genE5ELNS1_11target_archE942ELNS1_3gpuE9ELNS1_3repE0EEENS1_30default_config_static_selectorELNS0_4arch9wavefront6targetE0EEEvSY_.kd
    .uniform_work_group_size: 1
    .uses_dynamic_stack: false
    .vgpr_count:     0
    .vgpr_spill_count: 0
    .wavefront_size: 32
  - .args:
      - .offset:         0
        .size:           144
        .value_kind:     by_value
    .group_segment_fixed_size: 0
    .kernarg_segment_align: 8
    .kernarg_segment_size: 144
    .language:       OpenCL C
    .language_version:
      - 2
      - 0
    .max_flat_workgroup_size: 256
    .name:           _ZN7rocprim17ROCPRIM_400000_NS6detail17trampoline_kernelINS0_13select_configILj256ELj13ELNS0_17block_load_methodE3ELS4_3ELS4_3ELNS0_20block_scan_algorithmE0ELj4294967295EEENS1_25partition_config_selectorILNS1_17partition_subalgoE3EjNS0_10empty_typeEbEEZZNS1_14partition_implILS8_3ELb0ES6_jNS0_17counting_iteratorIjlEEPS9_SE_NS0_5tupleIJPjSE_EEENSF_IJSE_SE_EEES9_SG_JZNS1_25segmented_radix_sort_implINS0_14default_configELb0EPKbPbPKlPlN2at6native12_GLOBAL__N_18offset_tEEE10hipError_tPvRmT1_PNSt15iterator_traitsISY_E10value_typeET2_T3_PNSZ_IS14_E10value_typeET4_jRbjT5_S1A_jjP12ihipStream_tbEUljE_EEESV_SW_SX_S14_S18_S1A_T6_T7_T9_mT8_S1C_bDpT10_ENKUlT_T0_E_clISt17integral_constantIbLb0EES1P_EEDaS1K_S1L_EUlS1K_E_NS1_11comp_targetILNS1_3genE4ELNS1_11target_archE910ELNS1_3gpuE8ELNS1_3repE0EEENS1_30default_config_static_selectorELNS0_4arch9wavefront6targetE0EEEvSY_
    .private_segment_fixed_size: 0
    .sgpr_count:     0
    .sgpr_spill_count: 0
    .symbol:         _ZN7rocprim17ROCPRIM_400000_NS6detail17trampoline_kernelINS0_13select_configILj256ELj13ELNS0_17block_load_methodE3ELS4_3ELS4_3ELNS0_20block_scan_algorithmE0ELj4294967295EEENS1_25partition_config_selectorILNS1_17partition_subalgoE3EjNS0_10empty_typeEbEEZZNS1_14partition_implILS8_3ELb0ES6_jNS0_17counting_iteratorIjlEEPS9_SE_NS0_5tupleIJPjSE_EEENSF_IJSE_SE_EEES9_SG_JZNS1_25segmented_radix_sort_implINS0_14default_configELb0EPKbPbPKlPlN2at6native12_GLOBAL__N_18offset_tEEE10hipError_tPvRmT1_PNSt15iterator_traitsISY_E10value_typeET2_T3_PNSZ_IS14_E10value_typeET4_jRbjT5_S1A_jjP12ihipStream_tbEUljE_EEESV_SW_SX_S14_S18_S1A_T6_T7_T9_mT8_S1C_bDpT10_ENKUlT_T0_E_clISt17integral_constantIbLb0EES1P_EEDaS1K_S1L_EUlS1K_E_NS1_11comp_targetILNS1_3genE4ELNS1_11target_archE910ELNS1_3gpuE8ELNS1_3repE0EEENS1_30default_config_static_selectorELNS0_4arch9wavefront6targetE0EEEvSY_.kd
    .uniform_work_group_size: 1
    .uses_dynamic_stack: false
    .vgpr_count:     0
    .vgpr_spill_count: 0
    .wavefront_size: 32
  - .args:
      - .offset:         0
        .size:           144
        .value_kind:     by_value
    .group_segment_fixed_size: 0
    .kernarg_segment_align: 8
    .kernarg_segment_size: 144
    .language:       OpenCL C
    .language_version:
      - 2
      - 0
    .max_flat_workgroup_size: 256
    .name:           _ZN7rocprim17ROCPRIM_400000_NS6detail17trampoline_kernelINS0_13select_configILj256ELj13ELNS0_17block_load_methodE3ELS4_3ELS4_3ELNS0_20block_scan_algorithmE0ELj4294967295EEENS1_25partition_config_selectorILNS1_17partition_subalgoE3EjNS0_10empty_typeEbEEZZNS1_14partition_implILS8_3ELb0ES6_jNS0_17counting_iteratorIjlEEPS9_SE_NS0_5tupleIJPjSE_EEENSF_IJSE_SE_EEES9_SG_JZNS1_25segmented_radix_sort_implINS0_14default_configELb0EPKbPbPKlPlN2at6native12_GLOBAL__N_18offset_tEEE10hipError_tPvRmT1_PNSt15iterator_traitsISY_E10value_typeET2_T3_PNSZ_IS14_E10value_typeET4_jRbjT5_S1A_jjP12ihipStream_tbEUljE_EEESV_SW_SX_S14_S18_S1A_T6_T7_T9_mT8_S1C_bDpT10_ENKUlT_T0_E_clISt17integral_constantIbLb0EES1P_EEDaS1K_S1L_EUlS1K_E_NS1_11comp_targetILNS1_3genE3ELNS1_11target_archE908ELNS1_3gpuE7ELNS1_3repE0EEENS1_30default_config_static_selectorELNS0_4arch9wavefront6targetE0EEEvSY_
    .private_segment_fixed_size: 0
    .sgpr_count:     0
    .sgpr_spill_count: 0
    .symbol:         _ZN7rocprim17ROCPRIM_400000_NS6detail17trampoline_kernelINS0_13select_configILj256ELj13ELNS0_17block_load_methodE3ELS4_3ELS4_3ELNS0_20block_scan_algorithmE0ELj4294967295EEENS1_25partition_config_selectorILNS1_17partition_subalgoE3EjNS0_10empty_typeEbEEZZNS1_14partition_implILS8_3ELb0ES6_jNS0_17counting_iteratorIjlEEPS9_SE_NS0_5tupleIJPjSE_EEENSF_IJSE_SE_EEES9_SG_JZNS1_25segmented_radix_sort_implINS0_14default_configELb0EPKbPbPKlPlN2at6native12_GLOBAL__N_18offset_tEEE10hipError_tPvRmT1_PNSt15iterator_traitsISY_E10value_typeET2_T3_PNSZ_IS14_E10value_typeET4_jRbjT5_S1A_jjP12ihipStream_tbEUljE_EEESV_SW_SX_S14_S18_S1A_T6_T7_T9_mT8_S1C_bDpT10_ENKUlT_T0_E_clISt17integral_constantIbLb0EES1P_EEDaS1K_S1L_EUlS1K_E_NS1_11comp_targetILNS1_3genE3ELNS1_11target_archE908ELNS1_3gpuE7ELNS1_3repE0EEENS1_30default_config_static_selectorELNS0_4arch9wavefront6targetE0EEEvSY_.kd
    .uniform_work_group_size: 1
    .uses_dynamic_stack: false
    .vgpr_count:     0
    .vgpr_spill_count: 0
    .wavefront_size: 32
  - .args:
      - .offset:         0
        .size:           144
        .value_kind:     by_value
    .group_segment_fixed_size: 0
    .kernarg_segment_align: 8
    .kernarg_segment_size: 144
    .language:       OpenCL C
    .language_version:
      - 2
      - 0
    .max_flat_workgroup_size: 256
    .name:           _ZN7rocprim17ROCPRIM_400000_NS6detail17trampoline_kernelINS0_13select_configILj256ELj13ELNS0_17block_load_methodE3ELS4_3ELS4_3ELNS0_20block_scan_algorithmE0ELj4294967295EEENS1_25partition_config_selectorILNS1_17partition_subalgoE3EjNS0_10empty_typeEbEEZZNS1_14partition_implILS8_3ELb0ES6_jNS0_17counting_iteratorIjlEEPS9_SE_NS0_5tupleIJPjSE_EEENSF_IJSE_SE_EEES9_SG_JZNS1_25segmented_radix_sort_implINS0_14default_configELb0EPKbPbPKlPlN2at6native12_GLOBAL__N_18offset_tEEE10hipError_tPvRmT1_PNSt15iterator_traitsISY_E10value_typeET2_T3_PNSZ_IS14_E10value_typeET4_jRbjT5_S1A_jjP12ihipStream_tbEUljE_EEESV_SW_SX_S14_S18_S1A_T6_T7_T9_mT8_S1C_bDpT10_ENKUlT_T0_E_clISt17integral_constantIbLb0EES1P_EEDaS1K_S1L_EUlS1K_E_NS1_11comp_targetILNS1_3genE2ELNS1_11target_archE906ELNS1_3gpuE6ELNS1_3repE0EEENS1_30default_config_static_selectorELNS0_4arch9wavefront6targetE0EEEvSY_
    .private_segment_fixed_size: 0
    .sgpr_count:     0
    .sgpr_spill_count: 0
    .symbol:         _ZN7rocprim17ROCPRIM_400000_NS6detail17trampoline_kernelINS0_13select_configILj256ELj13ELNS0_17block_load_methodE3ELS4_3ELS4_3ELNS0_20block_scan_algorithmE0ELj4294967295EEENS1_25partition_config_selectorILNS1_17partition_subalgoE3EjNS0_10empty_typeEbEEZZNS1_14partition_implILS8_3ELb0ES6_jNS0_17counting_iteratorIjlEEPS9_SE_NS0_5tupleIJPjSE_EEENSF_IJSE_SE_EEES9_SG_JZNS1_25segmented_radix_sort_implINS0_14default_configELb0EPKbPbPKlPlN2at6native12_GLOBAL__N_18offset_tEEE10hipError_tPvRmT1_PNSt15iterator_traitsISY_E10value_typeET2_T3_PNSZ_IS14_E10value_typeET4_jRbjT5_S1A_jjP12ihipStream_tbEUljE_EEESV_SW_SX_S14_S18_S1A_T6_T7_T9_mT8_S1C_bDpT10_ENKUlT_T0_E_clISt17integral_constantIbLb0EES1P_EEDaS1K_S1L_EUlS1K_E_NS1_11comp_targetILNS1_3genE2ELNS1_11target_archE906ELNS1_3gpuE6ELNS1_3repE0EEENS1_30default_config_static_selectorELNS0_4arch9wavefront6targetE0EEEvSY_.kd
    .uniform_work_group_size: 1
    .uses_dynamic_stack: false
    .vgpr_count:     0
    .vgpr_spill_count: 0
    .wavefront_size: 32
  - .args:
      - .offset:         0
        .size:           144
        .value_kind:     by_value
    .group_segment_fixed_size: 0
    .kernarg_segment_align: 8
    .kernarg_segment_size: 144
    .language:       OpenCL C
    .language_version:
      - 2
      - 0
    .max_flat_workgroup_size: 256
    .name:           _ZN7rocprim17ROCPRIM_400000_NS6detail17trampoline_kernelINS0_13select_configILj256ELj13ELNS0_17block_load_methodE3ELS4_3ELS4_3ELNS0_20block_scan_algorithmE0ELj4294967295EEENS1_25partition_config_selectorILNS1_17partition_subalgoE3EjNS0_10empty_typeEbEEZZNS1_14partition_implILS8_3ELb0ES6_jNS0_17counting_iteratorIjlEEPS9_SE_NS0_5tupleIJPjSE_EEENSF_IJSE_SE_EEES9_SG_JZNS1_25segmented_radix_sort_implINS0_14default_configELb0EPKbPbPKlPlN2at6native12_GLOBAL__N_18offset_tEEE10hipError_tPvRmT1_PNSt15iterator_traitsISY_E10value_typeET2_T3_PNSZ_IS14_E10value_typeET4_jRbjT5_S1A_jjP12ihipStream_tbEUljE_EEESV_SW_SX_S14_S18_S1A_T6_T7_T9_mT8_S1C_bDpT10_ENKUlT_T0_E_clISt17integral_constantIbLb0EES1P_EEDaS1K_S1L_EUlS1K_E_NS1_11comp_targetILNS1_3genE10ELNS1_11target_archE1200ELNS1_3gpuE4ELNS1_3repE0EEENS1_30default_config_static_selectorELNS0_4arch9wavefront6targetE0EEEvSY_
    .private_segment_fixed_size: 0
    .sgpr_count:     0
    .sgpr_spill_count: 0
    .symbol:         _ZN7rocprim17ROCPRIM_400000_NS6detail17trampoline_kernelINS0_13select_configILj256ELj13ELNS0_17block_load_methodE3ELS4_3ELS4_3ELNS0_20block_scan_algorithmE0ELj4294967295EEENS1_25partition_config_selectorILNS1_17partition_subalgoE3EjNS0_10empty_typeEbEEZZNS1_14partition_implILS8_3ELb0ES6_jNS0_17counting_iteratorIjlEEPS9_SE_NS0_5tupleIJPjSE_EEENSF_IJSE_SE_EEES9_SG_JZNS1_25segmented_radix_sort_implINS0_14default_configELb0EPKbPbPKlPlN2at6native12_GLOBAL__N_18offset_tEEE10hipError_tPvRmT1_PNSt15iterator_traitsISY_E10value_typeET2_T3_PNSZ_IS14_E10value_typeET4_jRbjT5_S1A_jjP12ihipStream_tbEUljE_EEESV_SW_SX_S14_S18_S1A_T6_T7_T9_mT8_S1C_bDpT10_ENKUlT_T0_E_clISt17integral_constantIbLb0EES1P_EEDaS1K_S1L_EUlS1K_E_NS1_11comp_targetILNS1_3genE10ELNS1_11target_archE1200ELNS1_3gpuE4ELNS1_3repE0EEENS1_30default_config_static_selectorELNS0_4arch9wavefront6targetE0EEEvSY_.kd
    .uniform_work_group_size: 1
    .uses_dynamic_stack: false
    .vgpr_count:     0
    .vgpr_spill_count: 0
    .wavefront_size: 32
  - .args:
      - .offset:         0
        .size:           144
        .value_kind:     by_value
    .group_segment_fixed_size: 0
    .kernarg_segment_align: 8
    .kernarg_segment_size: 144
    .language:       OpenCL C
    .language_version:
      - 2
      - 0
    .max_flat_workgroup_size: 256
    .name:           _ZN7rocprim17ROCPRIM_400000_NS6detail17trampoline_kernelINS0_13select_configILj256ELj13ELNS0_17block_load_methodE3ELS4_3ELS4_3ELNS0_20block_scan_algorithmE0ELj4294967295EEENS1_25partition_config_selectorILNS1_17partition_subalgoE3EjNS0_10empty_typeEbEEZZNS1_14partition_implILS8_3ELb0ES6_jNS0_17counting_iteratorIjlEEPS9_SE_NS0_5tupleIJPjSE_EEENSF_IJSE_SE_EEES9_SG_JZNS1_25segmented_radix_sort_implINS0_14default_configELb0EPKbPbPKlPlN2at6native12_GLOBAL__N_18offset_tEEE10hipError_tPvRmT1_PNSt15iterator_traitsISY_E10value_typeET2_T3_PNSZ_IS14_E10value_typeET4_jRbjT5_S1A_jjP12ihipStream_tbEUljE_EEESV_SW_SX_S14_S18_S1A_T6_T7_T9_mT8_S1C_bDpT10_ENKUlT_T0_E_clISt17integral_constantIbLb0EES1P_EEDaS1K_S1L_EUlS1K_E_NS1_11comp_targetILNS1_3genE9ELNS1_11target_archE1100ELNS1_3gpuE3ELNS1_3repE0EEENS1_30default_config_static_selectorELNS0_4arch9wavefront6targetE0EEEvSY_
    .private_segment_fixed_size: 0
    .sgpr_count:     0
    .sgpr_spill_count: 0
    .symbol:         _ZN7rocprim17ROCPRIM_400000_NS6detail17trampoline_kernelINS0_13select_configILj256ELj13ELNS0_17block_load_methodE3ELS4_3ELS4_3ELNS0_20block_scan_algorithmE0ELj4294967295EEENS1_25partition_config_selectorILNS1_17partition_subalgoE3EjNS0_10empty_typeEbEEZZNS1_14partition_implILS8_3ELb0ES6_jNS0_17counting_iteratorIjlEEPS9_SE_NS0_5tupleIJPjSE_EEENSF_IJSE_SE_EEES9_SG_JZNS1_25segmented_radix_sort_implINS0_14default_configELb0EPKbPbPKlPlN2at6native12_GLOBAL__N_18offset_tEEE10hipError_tPvRmT1_PNSt15iterator_traitsISY_E10value_typeET2_T3_PNSZ_IS14_E10value_typeET4_jRbjT5_S1A_jjP12ihipStream_tbEUljE_EEESV_SW_SX_S14_S18_S1A_T6_T7_T9_mT8_S1C_bDpT10_ENKUlT_T0_E_clISt17integral_constantIbLb0EES1P_EEDaS1K_S1L_EUlS1K_E_NS1_11comp_targetILNS1_3genE9ELNS1_11target_archE1100ELNS1_3gpuE3ELNS1_3repE0EEENS1_30default_config_static_selectorELNS0_4arch9wavefront6targetE0EEEvSY_.kd
    .uniform_work_group_size: 1
    .uses_dynamic_stack: false
    .vgpr_count:     0
    .vgpr_spill_count: 0
    .wavefront_size: 32
  - .args:
      - .offset:         0
        .size:           144
        .value_kind:     by_value
    .group_segment_fixed_size: 0
    .kernarg_segment_align: 8
    .kernarg_segment_size: 144
    .language:       OpenCL C
    .language_version:
      - 2
      - 0
    .max_flat_workgroup_size: 256
    .name:           _ZN7rocprim17ROCPRIM_400000_NS6detail17trampoline_kernelINS0_13select_configILj256ELj13ELNS0_17block_load_methodE3ELS4_3ELS4_3ELNS0_20block_scan_algorithmE0ELj4294967295EEENS1_25partition_config_selectorILNS1_17partition_subalgoE3EjNS0_10empty_typeEbEEZZNS1_14partition_implILS8_3ELb0ES6_jNS0_17counting_iteratorIjlEEPS9_SE_NS0_5tupleIJPjSE_EEENSF_IJSE_SE_EEES9_SG_JZNS1_25segmented_radix_sort_implINS0_14default_configELb0EPKbPbPKlPlN2at6native12_GLOBAL__N_18offset_tEEE10hipError_tPvRmT1_PNSt15iterator_traitsISY_E10value_typeET2_T3_PNSZ_IS14_E10value_typeET4_jRbjT5_S1A_jjP12ihipStream_tbEUljE_EEESV_SW_SX_S14_S18_S1A_T6_T7_T9_mT8_S1C_bDpT10_ENKUlT_T0_E_clISt17integral_constantIbLb0EES1P_EEDaS1K_S1L_EUlS1K_E_NS1_11comp_targetILNS1_3genE8ELNS1_11target_archE1030ELNS1_3gpuE2ELNS1_3repE0EEENS1_30default_config_static_selectorELNS0_4arch9wavefront6targetE0EEEvSY_
    .private_segment_fixed_size: 0
    .sgpr_count:     0
    .sgpr_spill_count: 0
    .symbol:         _ZN7rocprim17ROCPRIM_400000_NS6detail17trampoline_kernelINS0_13select_configILj256ELj13ELNS0_17block_load_methodE3ELS4_3ELS4_3ELNS0_20block_scan_algorithmE0ELj4294967295EEENS1_25partition_config_selectorILNS1_17partition_subalgoE3EjNS0_10empty_typeEbEEZZNS1_14partition_implILS8_3ELb0ES6_jNS0_17counting_iteratorIjlEEPS9_SE_NS0_5tupleIJPjSE_EEENSF_IJSE_SE_EEES9_SG_JZNS1_25segmented_radix_sort_implINS0_14default_configELb0EPKbPbPKlPlN2at6native12_GLOBAL__N_18offset_tEEE10hipError_tPvRmT1_PNSt15iterator_traitsISY_E10value_typeET2_T3_PNSZ_IS14_E10value_typeET4_jRbjT5_S1A_jjP12ihipStream_tbEUljE_EEESV_SW_SX_S14_S18_S1A_T6_T7_T9_mT8_S1C_bDpT10_ENKUlT_T0_E_clISt17integral_constantIbLb0EES1P_EEDaS1K_S1L_EUlS1K_E_NS1_11comp_targetILNS1_3genE8ELNS1_11target_archE1030ELNS1_3gpuE2ELNS1_3repE0EEENS1_30default_config_static_selectorELNS0_4arch9wavefront6targetE0EEEvSY_.kd
    .uniform_work_group_size: 1
    .uses_dynamic_stack: false
    .vgpr_count:     0
    .vgpr_spill_count: 0
    .wavefront_size: 32
  - .args:
      - .offset:         0
        .size:           152
        .value_kind:     by_value
    .group_segment_fixed_size: 0
    .kernarg_segment_align: 8
    .kernarg_segment_size: 152
    .language:       OpenCL C
    .language_version:
      - 2
      - 0
    .max_flat_workgroup_size: 256
    .name:           _ZN7rocprim17ROCPRIM_400000_NS6detail17trampoline_kernelINS0_13select_configILj256ELj13ELNS0_17block_load_methodE3ELS4_3ELS4_3ELNS0_20block_scan_algorithmE0ELj4294967295EEENS1_25partition_config_selectorILNS1_17partition_subalgoE3EjNS0_10empty_typeEbEEZZNS1_14partition_implILS8_3ELb0ES6_jNS0_17counting_iteratorIjlEEPS9_SE_NS0_5tupleIJPjSE_EEENSF_IJSE_SE_EEES9_SG_JZNS1_25segmented_radix_sort_implINS0_14default_configELb0EPKbPbPKlPlN2at6native12_GLOBAL__N_18offset_tEEE10hipError_tPvRmT1_PNSt15iterator_traitsISY_E10value_typeET2_T3_PNSZ_IS14_E10value_typeET4_jRbjT5_S1A_jjP12ihipStream_tbEUljE_EEESV_SW_SX_S14_S18_S1A_T6_T7_T9_mT8_S1C_bDpT10_ENKUlT_T0_E_clISt17integral_constantIbLb1EES1P_EEDaS1K_S1L_EUlS1K_E_NS1_11comp_targetILNS1_3genE0ELNS1_11target_archE4294967295ELNS1_3gpuE0ELNS1_3repE0EEENS1_30default_config_static_selectorELNS0_4arch9wavefront6targetE0EEEvSY_
    .private_segment_fixed_size: 0
    .sgpr_count:     0
    .sgpr_spill_count: 0
    .symbol:         _ZN7rocprim17ROCPRIM_400000_NS6detail17trampoline_kernelINS0_13select_configILj256ELj13ELNS0_17block_load_methodE3ELS4_3ELS4_3ELNS0_20block_scan_algorithmE0ELj4294967295EEENS1_25partition_config_selectorILNS1_17partition_subalgoE3EjNS0_10empty_typeEbEEZZNS1_14partition_implILS8_3ELb0ES6_jNS0_17counting_iteratorIjlEEPS9_SE_NS0_5tupleIJPjSE_EEENSF_IJSE_SE_EEES9_SG_JZNS1_25segmented_radix_sort_implINS0_14default_configELb0EPKbPbPKlPlN2at6native12_GLOBAL__N_18offset_tEEE10hipError_tPvRmT1_PNSt15iterator_traitsISY_E10value_typeET2_T3_PNSZ_IS14_E10value_typeET4_jRbjT5_S1A_jjP12ihipStream_tbEUljE_EEESV_SW_SX_S14_S18_S1A_T6_T7_T9_mT8_S1C_bDpT10_ENKUlT_T0_E_clISt17integral_constantIbLb1EES1P_EEDaS1K_S1L_EUlS1K_E_NS1_11comp_targetILNS1_3genE0ELNS1_11target_archE4294967295ELNS1_3gpuE0ELNS1_3repE0EEENS1_30default_config_static_selectorELNS0_4arch9wavefront6targetE0EEEvSY_.kd
    .uniform_work_group_size: 1
    .uses_dynamic_stack: false
    .vgpr_count:     0
    .vgpr_spill_count: 0
    .wavefront_size: 32
  - .args:
      - .offset:         0
        .size:           152
        .value_kind:     by_value
    .group_segment_fixed_size: 0
    .kernarg_segment_align: 8
    .kernarg_segment_size: 152
    .language:       OpenCL C
    .language_version:
      - 2
      - 0
    .max_flat_workgroup_size: 256
    .name:           _ZN7rocprim17ROCPRIM_400000_NS6detail17trampoline_kernelINS0_13select_configILj256ELj13ELNS0_17block_load_methodE3ELS4_3ELS4_3ELNS0_20block_scan_algorithmE0ELj4294967295EEENS1_25partition_config_selectorILNS1_17partition_subalgoE3EjNS0_10empty_typeEbEEZZNS1_14partition_implILS8_3ELb0ES6_jNS0_17counting_iteratorIjlEEPS9_SE_NS0_5tupleIJPjSE_EEENSF_IJSE_SE_EEES9_SG_JZNS1_25segmented_radix_sort_implINS0_14default_configELb0EPKbPbPKlPlN2at6native12_GLOBAL__N_18offset_tEEE10hipError_tPvRmT1_PNSt15iterator_traitsISY_E10value_typeET2_T3_PNSZ_IS14_E10value_typeET4_jRbjT5_S1A_jjP12ihipStream_tbEUljE_EEESV_SW_SX_S14_S18_S1A_T6_T7_T9_mT8_S1C_bDpT10_ENKUlT_T0_E_clISt17integral_constantIbLb1EES1P_EEDaS1K_S1L_EUlS1K_E_NS1_11comp_targetILNS1_3genE5ELNS1_11target_archE942ELNS1_3gpuE9ELNS1_3repE0EEENS1_30default_config_static_selectorELNS0_4arch9wavefront6targetE0EEEvSY_
    .private_segment_fixed_size: 0
    .sgpr_count:     0
    .sgpr_spill_count: 0
    .symbol:         _ZN7rocprim17ROCPRIM_400000_NS6detail17trampoline_kernelINS0_13select_configILj256ELj13ELNS0_17block_load_methodE3ELS4_3ELS4_3ELNS0_20block_scan_algorithmE0ELj4294967295EEENS1_25partition_config_selectorILNS1_17partition_subalgoE3EjNS0_10empty_typeEbEEZZNS1_14partition_implILS8_3ELb0ES6_jNS0_17counting_iteratorIjlEEPS9_SE_NS0_5tupleIJPjSE_EEENSF_IJSE_SE_EEES9_SG_JZNS1_25segmented_radix_sort_implINS0_14default_configELb0EPKbPbPKlPlN2at6native12_GLOBAL__N_18offset_tEEE10hipError_tPvRmT1_PNSt15iterator_traitsISY_E10value_typeET2_T3_PNSZ_IS14_E10value_typeET4_jRbjT5_S1A_jjP12ihipStream_tbEUljE_EEESV_SW_SX_S14_S18_S1A_T6_T7_T9_mT8_S1C_bDpT10_ENKUlT_T0_E_clISt17integral_constantIbLb1EES1P_EEDaS1K_S1L_EUlS1K_E_NS1_11comp_targetILNS1_3genE5ELNS1_11target_archE942ELNS1_3gpuE9ELNS1_3repE0EEENS1_30default_config_static_selectorELNS0_4arch9wavefront6targetE0EEEvSY_.kd
    .uniform_work_group_size: 1
    .uses_dynamic_stack: false
    .vgpr_count:     0
    .vgpr_spill_count: 0
    .wavefront_size: 32
  - .args:
      - .offset:         0
        .size:           152
        .value_kind:     by_value
    .group_segment_fixed_size: 0
    .kernarg_segment_align: 8
    .kernarg_segment_size: 152
    .language:       OpenCL C
    .language_version:
      - 2
      - 0
    .max_flat_workgroup_size: 256
    .name:           _ZN7rocprim17ROCPRIM_400000_NS6detail17trampoline_kernelINS0_13select_configILj256ELj13ELNS0_17block_load_methodE3ELS4_3ELS4_3ELNS0_20block_scan_algorithmE0ELj4294967295EEENS1_25partition_config_selectorILNS1_17partition_subalgoE3EjNS0_10empty_typeEbEEZZNS1_14partition_implILS8_3ELb0ES6_jNS0_17counting_iteratorIjlEEPS9_SE_NS0_5tupleIJPjSE_EEENSF_IJSE_SE_EEES9_SG_JZNS1_25segmented_radix_sort_implINS0_14default_configELb0EPKbPbPKlPlN2at6native12_GLOBAL__N_18offset_tEEE10hipError_tPvRmT1_PNSt15iterator_traitsISY_E10value_typeET2_T3_PNSZ_IS14_E10value_typeET4_jRbjT5_S1A_jjP12ihipStream_tbEUljE_EEESV_SW_SX_S14_S18_S1A_T6_T7_T9_mT8_S1C_bDpT10_ENKUlT_T0_E_clISt17integral_constantIbLb1EES1P_EEDaS1K_S1L_EUlS1K_E_NS1_11comp_targetILNS1_3genE4ELNS1_11target_archE910ELNS1_3gpuE8ELNS1_3repE0EEENS1_30default_config_static_selectorELNS0_4arch9wavefront6targetE0EEEvSY_
    .private_segment_fixed_size: 0
    .sgpr_count:     0
    .sgpr_spill_count: 0
    .symbol:         _ZN7rocprim17ROCPRIM_400000_NS6detail17trampoline_kernelINS0_13select_configILj256ELj13ELNS0_17block_load_methodE3ELS4_3ELS4_3ELNS0_20block_scan_algorithmE0ELj4294967295EEENS1_25partition_config_selectorILNS1_17partition_subalgoE3EjNS0_10empty_typeEbEEZZNS1_14partition_implILS8_3ELb0ES6_jNS0_17counting_iteratorIjlEEPS9_SE_NS0_5tupleIJPjSE_EEENSF_IJSE_SE_EEES9_SG_JZNS1_25segmented_radix_sort_implINS0_14default_configELb0EPKbPbPKlPlN2at6native12_GLOBAL__N_18offset_tEEE10hipError_tPvRmT1_PNSt15iterator_traitsISY_E10value_typeET2_T3_PNSZ_IS14_E10value_typeET4_jRbjT5_S1A_jjP12ihipStream_tbEUljE_EEESV_SW_SX_S14_S18_S1A_T6_T7_T9_mT8_S1C_bDpT10_ENKUlT_T0_E_clISt17integral_constantIbLb1EES1P_EEDaS1K_S1L_EUlS1K_E_NS1_11comp_targetILNS1_3genE4ELNS1_11target_archE910ELNS1_3gpuE8ELNS1_3repE0EEENS1_30default_config_static_selectorELNS0_4arch9wavefront6targetE0EEEvSY_.kd
    .uniform_work_group_size: 1
    .uses_dynamic_stack: false
    .vgpr_count:     0
    .vgpr_spill_count: 0
    .wavefront_size: 32
  - .args:
      - .offset:         0
        .size:           152
        .value_kind:     by_value
    .group_segment_fixed_size: 0
    .kernarg_segment_align: 8
    .kernarg_segment_size: 152
    .language:       OpenCL C
    .language_version:
      - 2
      - 0
    .max_flat_workgroup_size: 256
    .name:           _ZN7rocprim17ROCPRIM_400000_NS6detail17trampoline_kernelINS0_13select_configILj256ELj13ELNS0_17block_load_methodE3ELS4_3ELS4_3ELNS0_20block_scan_algorithmE0ELj4294967295EEENS1_25partition_config_selectorILNS1_17partition_subalgoE3EjNS0_10empty_typeEbEEZZNS1_14partition_implILS8_3ELb0ES6_jNS0_17counting_iteratorIjlEEPS9_SE_NS0_5tupleIJPjSE_EEENSF_IJSE_SE_EEES9_SG_JZNS1_25segmented_radix_sort_implINS0_14default_configELb0EPKbPbPKlPlN2at6native12_GLOBAL__N_18offset_tEEE10hipError_tPvRmT1_PNSt15iterator_traitsISY_E10value_typeET2_T3_PNSZ_IS14_E10value_typeET4_jRbjT5_S1A_jjP12ihipStream_tbEUljE_EEESV_SW_SX_S14_S18_S1A_T6_T7_T9_mT8_S1C_bDpT10_ENKUlT_T0_E_clISt17integral_constantIbLb1EES1P_EEDaS1K_S1L_EUlS1K_E_NS1_11comp_targetILNS1_3genE3ELNS1_11target_archE908ELNS1_3gpuE7ELNS1_3repE0EEENS1_30default_config_static_selectorELNS0_4arch9wavefront6targetE0EEEvSY_
    .private_segment_fixed_size: 0
    .sgpr_count:     0
    .sgpr_spill_count: 0
    .symbol:         _ZN7rocprim17ROCPRIM_400000_NS6detail17trampoline_kernelINS0_13select_configILj256ELj13ELNS0_17block_load_methodE3ELS4_3ELS4_3ELNS0_20block_scan_algorithmE0ELj4294967295EEENS1_25partition_config_selectorILNS1_17partition_subalgoE3EjNS0_10empty_typeEbEEZZNS1_14partition_implILS8_3ELb0ES6_jNS0_17counting_iteratorIjlEEPS9_SE_NS0_5tupleIJPjSE_EEENSF_IJSE_SE_EEES9_SG_JZNS1_25segmented_radix_sort_implINS0_14default_configELb0EPKbPbPKlPlN2at6native12_GLOBAL__N_18offset_tEEE10hipError_tPvRmT1_PNSt15iterator_traitsISY_E10value_typeET2_T3_PNSZ_IS14_E10value_typeET4_jRbjT5_S1A_jjP12ihipStream_tbEUljE_EEESV_SW_SX_S14_S18_S1A_T6_T7_T9_mT8_S1C_bDpT10_ENKUlT_T0_E_clISt17integral_constantIbLb1EES1P_EEDaS1K_S1L_EUlS1K_E_NS1_11comp_targetILNS1_3genE3ELNS1_11target_archE908ELNS1_3gpuE7ELNS1_3repE0EEENS1_30default_config_static_selectorELNS0_4arch9wavefront6targetE0EEEvSY_.kd
    .uniform_work_group_size: 1
    .uses_dynamic_stack: false
    .vgpr_count:     0
    .vgpr_spill_count: 0
    .wavefront_size: 32
  - .args:
      - .offset:         0
        .size:           152
        .value_kind:     by_value
    .group_segment_fixed_size: 0
    .kernarg_segment_align: 8
    .kernarg_segment_size: 152
    .language:       OpenCL C
    .language_version:
      - 2
      - 0
    .max_flat_workgroup_size: 256
    .name:           _ZN7rocprim17ROCPRIM_400000_NS6detail17trampoline_kernelINS0_13select_configILj256ELj13ELNS0_17block_load_methodE3ELS4_3ELS4_3ELNS0_20block_scan_algorithmE0ELj4294967295EEENS1_25partition_config_selectorILNS1_17partition_subalgoE3EjNS0_10empty_typeEbEEZZNS1_14partition_implILS8_3ELb0ES6_jNS0_17counting_iteratorIjlEEPS9_SE_NS0_5tupleIJPjSE_EEENSF_IJSE_SE_EEES9_SG_JZNS1_25segmented_radix_sort_implINS0_14default_configELb0EPKbPbPKlPlN2at6native12_GLOBAL__N_18offset_tEEE10hipError_tPvRmT1_PNSt15iterator_traitsISY_E10value_typeET2_T3_PNSZ_IS14_E10value_typeET4_jRbjT5_S1A_jjP12ihipStream_tbEUljE_EEESV_SW_SX_S14_S18_S1A_T6_T7_T9_mT8_S1C_bDpT10_ENKUlT_T0_E_clISt17integral_constantIbLb1EES1P_EEDaS1K_S1L_EUlS1K_E_NS1_11comp_targetILNS1_3genE2ELNS1_11target_archE906ELNS1_3gpuE6ELNS1_3repE0EEENS1_30default_config_static_selectorELNS0_4arch9wavefront6targetE0EEEvSY_
    .private_segment_fixed_size: 0
    .sgpr_count:     0
    .sgpr_spill_count: 0
    .symbol:         _ZN7rocprim17ROCPRIM_400000_NS6detail17trampoline_kernelINS0_13select_configILj256ELj13ELNS0_17block_load_methodE3ELS4_3ELS4_3ELNS0_20block_scan_algorithmE0ELj4294967295EEENS1_25partition_config_selectorILNS1_17partition_subalgoE3EjNS0_10empty_typeEbEEZZNS1_14partition_implILS8_3ELb0ES6_jNS0_17counting_iteratorIjlEEPS9_SE_NS0_5tupleIJPjSE_EEENSF_IJSE_SE_EEES9_SG_JZNS1_25segmented_radix_sort_implINS0_14default_configELb0EPKbPbPKlPlN2at6native12_GLOBAL__N_18offset_tEEE10hipError_tPvRmT1_PNSt15iterator_traitsISY_E10value_typeET2_T3_PNSZ_IS14_E10value_typeET4_jRbjT5_S1A_jjP12ihipStream_tbEUljE_EEESV_SW_SX_S14_S18_S1A_T6_T7_T9_mT8_S1C_bDpT10_ENKUlT_T0_E_clISt17integral_constantIbLb1EES1P_EEDaS1K_S1L_EUlS1K_E_NS1_11comp_targetILNS1_3genE2ELNS1_11target_archE906ELNS1_3gpuE6ELNS1_3repE0EEENS1_30default_config_static_selectorELNS0_4arch9wavefront6targetE0EEEvSY_.kd
    .uniform_work_group_size: 1
    .uses_dynamic_stack: false
    .vgpr_count:     0
    .vgpr_spill_count: 0
    .wavefront_size: 32
  - .args:
      - .offset:         0
        .size:           152
        .value_kind:     by_value
    .group_segment_fixed_size: 0
    .kernarg_segment_align: 8
    .kernarg_segment_size: 152
    .language:       OpenCL C
    .language_version:
      - 2
      - 0
    .max_flat_workgroup_size: 256
    .name:           _ZN7rocprim17ROCPRIM_400000_NS6detail17trampoline_kernelINS0_13select_configILj256ELj13ELNS0_17block_load_methodE3ELS4_3ELS4_3ELNS0_20block_scan_algorithmE0ELj4294967295EEENS1_25partition_config_selectorILNS1_17partition_subalgoE3EjNS0_10empty_typeEbEEZZNS1_14partition_implILS8_3ELb0ES6_jNS0_17counting_iteratorIjlEEPS9_SE_NS0_5tupleIJPjSE_EEENSF_IJSE_SE_EEES9_SG_JZNS1_25segmented_radix_sort_implINS0_14default_configELb0EPKbPbPKlPlN2at6native12_GLOBAL__N_18offset_tEEE10hipError_tPvRmT1_PNSt15iterator_traitsISY_E10value_typeET2_T3_PNSZ_IS14_E10value_typeET4_jRbjT5_S1A_jjP12ihipStream_tbEUljE_EEESV_SW_SX_S14_S18_S1A_T6_T7_T9_mT8_S1C_bDpT10_ENKUlT_T0_E_clISt17integral_constantIbLb1EES1P_EEDaS1K_S1L_EUlS1K_E_NS1_11comp_targetILNS1_3genE10ELNS1_11target_archE1200ELNS1_3gpuE4ELNS1_3repE0EEENS1_30default_config_static_selectorELNS0_4arch9wavefront6targetE0EEEvSY_
    .private_segment_fixed_size: 0
    .sgpr_count:     0
    .sgpr_spill_count: 0
    .symbol:         _ZN7rocprim17ROCPRIM_400000_NS6detail17trampoline_kernelINS0_13select_configILj256ELj13ELNS0_17block_load_methodE3ELS4_3ELS4_3ELNS0_20block_scan_algorithmE0ELj4294967295EEENS1_25partition_config_selectorILNS1_17partition_subalgoE3EjNS0_10empty_typeEbEEZZNS1_14partition_implILS8_3ELb0ES6_jNS0_17counting_iteratorIjlEEPS9_SE_NS0_5tupleIJPjSE_EEENSF_IJSE_SE_EEES9_SG_JZNS1_25segmented_radix_sort_implINS0_14default_configELb0EPKbPbPKlPlN2at6native12_GLOBAL__N_18offset_tEEE10hipError_tPvRmT1_PNSt15iterator_traitsISY_E10value_typeET2_T3_PNSZ_IS14_E10value_typeET4_jRbjT5_S1A_jjP12ihipStream_tbEUljE_EEESV_SW_SX_S14_S18_S1A_T6_T7_T9_mT8_S1C_bDpT10_ENKUlT_T0_E_clISt17integral_constantIbLb1EES1P_EEDaS1K_S1L_EUlS1K_E_NS1_11comp_targetILNS1_3genE10ELNS1_11target_archE1200ELNS1_3gpuE4ELNS1_3repE0EEENS1_30default_config_static_selectorELNS0_4arch9wavefront6targetE0EEEvSY_.kd
    .uniform_work_group_size: 1
    .uses_dynamic_stack: false
    .vgpr_count:     0
    .vgpr_spill_count: 0
    .wavefront_size: 32
  - .args:
      - .offset:         0
        .size:           152
        .value_kind:     by_value
    .group_segment_fixed_size: 0
    .kernarg_segment_align: 8
    .kernarg_segment_size: 152
    .language:       OpenCL C
    .language_version:
      - 2
      - 0
    .max_flat_workgroup_size: 256
    .name:           _ZN7rocprim17ROCPRIM_400000_NS6detail17trampoline_kernelINS0_13select_configILj256ELj13ELNS0_17block_load_methodE3ELS4_3ELS4_3ELNS0_20block_scan_algorithmE0ELj4294967295EEENS1_25partition_config_selectorILNS1_17partition_subalgoE3EjNS0_10empty_typeEbEEZZNS1_14partition_implILS8_3ELb0ES6_jNS0_17counting_iteratorIjlEEPS9_SE_NS0_5tupleIJPjSE_EEENSF_IJSE_SE_EEES9_SG_JZNS1_25segmented_radix_sort_implINS0_14default_configELb0EPKbPbPKlPlN2at6native12_GLOBAL__N_18offset_tEEE10hipError_tPvRmT1_PNSt15iterator_traitsISY_E10value_typeET2_T3_PNSZ_IS14_E10value_typeET4_jRbjT5_S1A_jjP12ihipStream_tbEUljE_EEESV_SW_SX_S14_S18_S1A_T6_T7_T9_mT8_S1C_bDpT10_ENKUlT_T0_E_clISt17integral_constantIbLb1EES1P_EEDaS1K_S1L_EUlS1K_E_NS1_11comp_targetILNS1_3genE9ELNS1_11target_archE1100ELNS1_3gpuE3ELNS1_3repE0EEENS1_30default_config_static_selectorELNS0_4arch9wavefront6targetE0EEEvSY_
    .private_segment_fixed_size: 0
    .sgpr_count:     0
    .sgpr_spill_count: 0
    .symbol:         _ZN7rocprim17ROCPRIM_400000_NS6detail17trampoline_kernelINS0_13select_configILj256ELj13ELNS0_17block_load_methodE3ELS4_3ELS4_3ELNS0_20block_scan_algorithmE0ELj4294967295EEENS1_25partition_config_selectorILNS1_17partition_subalgoE3EjNS0_10empty_typeEbEEZZNS1_14partition_implILS8_3ELb0ES6_jNS0_17counting_iteratorIjlEEPS9_SE_NS0_5tupleIJPjSE_EEENSF_IJSE_SE_EEES9_SG_JZNS1_25segmented_radix_sort_implINS0_14default_configELb0EPKbPbPKlPlN2at6native12_GLOBAL__N_18offset_tEEE10hipError_tPvRmT1_PNSt15iterator_traitsISY_E10value_typeET2_T3_PNSZ_IS14_E10value_typeET4_jRbjT5_S1A_jjP12ihipStream_tbEUljE_EEESV_SW_SX_S14_S18_S1A_T6_T7_T9_mT8_S1C_bDpT10_ENKUlT_T0_E_clISt17integral_constantIbLb1EES1P_EEDaS1K_S1L_EUlS1K_E_NS1_11comp_targetILNS1_3genE9ELNS1_11target_archE1100ELNS1_3gpuE3ELNS1_3repE0EEENS1_30default_config_static_selectorELNS0_4arch9wavefront6targetE0EEEvSY_.kd
    .uniform_work_group_size: 1
    .uses_dynamic_stack: false
    .vgpr_count:     0
    .vgpr_spill_count: 0
    .wavefront_size: 32
  - .args:
      - .offset:         0
        .size:           152
        .value_kind:     by_value
    .group_segment_fixed_size: 0
    .kernarg_segment_align: 8
    .kernarg_segment_size: 152
    .language:       OpenCL C
    .language_version:
      - 2
      - 0
    .max_flat_workgroup_size: 256
    .name:           _ZN7rocprim17ROCPRIM_400000_NS6detail17trampoline_kernelINS0_13select_configILj256ELj13ELNS0_17block_load_methodE3ELS4_3ELS4_3ELNS0_20block_scan_algorithmE0ELj4294967295EEENS1_25partition_config_selectorILNS1_17partition_subalgoE3EjNS0_10empty_typeEbEEZZNS1_14partition_implILS8_3ELb0ES6_jNS0_17counting_iteratorIjlEEPS9_SE_NS0_5tupleIJPjSE_EEENSF_IJSE_SE_EEES9_SG_JZNS1_25segmented_radix_sort_implINS0_14default_configELb0EPKbPbPKlPlN2at6native12_GLOBAL__N_18offset_tEEE10hipError_tPvRmT1_PNSt15iterator_traitsISY_E10value_typeET2_T3_PNSZ_IS14_E10value_typeET4_jRbjT5_S1A_jjP12ihipStream_tbEUljE_EEESV_SW_SX_S14_S18_S1A_T6_T7_T9_mT8_S1C_bDpT10_ENKUlT_T0_E_clISt17integral_constantIbLb1EES1P_EEDaS1K_S1L_EUlS1K_E_NS1_11comp_targetILNS1_3genE8ELNS1_11target_archE1030ELNS1_3gpuE2ELNS1_3repE0EEENS1_30default_config_static_selectorELNS0_4arch9wavefront6targetE0EEEvSY_
    .private_segment_fixed_size: 0
    .sgpr_count:     0
    .sgpr_spill_count: 0
    .symbol:         _ZN7rocprim17ROCPRIM_400000_NS6detail17trampoline_kernelINS0_13select_configILj256ELj13ELNS0_17block_load_methodE3ELS4_3ELS4_3ELNS0_20block_scan_algorithmE0ELj4294967295EEENS1_25partition_config_selectorILNS1_17partition_subalgoE3EjNS0_10empty_typeEbEEZZNS1_14partition_implILS8_3ELb0ES6_jNS0_17counting_iteratorIjlEEPS9_SE_NS0_5tupleIJPjSE_EEENSF_IJSE_SE_EEES9_SG_JZNS1_25segmented_radix_sort_implINS0_14default_configELb0EPKbPbPKlPlN2at6native12_GLOBAL__N_18offset_tEEE10hipError_tPvRmT1_PNSt15iterator_traitsISY_E10value_typeET2_T3_PNSZ_IS14_E10value_typeET4_jRbjT5_S1A_jjP12ihipStream_tbEUljE_EEESV_SW_SX_S14_S18_S1A_T6_T7_T9_mT8_S1C_bDpT10_ENKUlT_T0_E_clISt17integral_constantIbLb1EES1P_EEDaS1K_S1L_EUlS1K_E_NS1_11comp_targetILNS1_3genE8ELNS1_11target_archE1030ELNS1_3gpuE2ELNS1_3repE0EEENS1_30default_config_static_selectorELNS0_4arch9wavefront6targetE0EEEvSY_.kd
    .uniform_work_group_size: 1
    .uses_dynamic_stack: false
    .vgpr_count:     0
    .vgpr_spill_count: 0
    .wavefront_size: 32
  - .args:
      - .offset:         0
        .size:           144
        .value_kind:     by_value
    .group_segment_fixed_size: 0
    .kernarg_segment_align: 8
    .kernarg_segment_size: 144
    .language:       OpenCL C
    .language_version:
      - 2
      - 0
    .max_flat_workgroup_size: 256
    .name:           _ZN7rocprim17ROCPRIM_400000_NS6detail17trampoline_kernelINS0_13select_configILj256ELj13ELNS0_17block_load_methodE3ELS4_3ELS4_3ELNS0_20block_scan_algorithmE0ELj4294967295EEENS1_25partition_config_selectorILNS1_17partition_subalgoE3EjNS0_10empty_typeEbEEZZNS1_14partition_implILS8_3ELb0ES6_jNS0_17counting_iteratorIjlEEPS9_SE_NS0_5tupleIJPjSE_EEENSF_IJSE_SE_EEES9_SG_JZNS1_25segmented_radix_sort_implINS0_14default_configELb0EPKbPbPKlPlN2at6native12_GLOBAL__N_18offset_tEEE10hipError_tPvRmT1_PNSt15iterator_traitsISY_E10value_typeET2_T3_PNSZ_IS14_E10value_typeET4_jRbjT5_S1A_jjP12ihipStream_tbEUljE_EEESV_SW_SX_S14_S18_S1A_T6_T7_T9_mT8_S1C_bDpT10_ENKUlT_T0_E_clISt17integral_constantIbLb1EES1O_IbLb0EEEEDaS1K_S1L_EUlS1K_E_NS1_11comp_targetILNS1_3genE0ELNS1_11target_archE4294967295ELNS1_3gpuE0ELNS1_3repE0EEENS1_30default_config_static_selectorELNS0_4arch9wavefront6targetE0EEEvSY_
    .private_segment_fixed_size: 0
    .sgpr_count:     0
    .sgpr_spill_count: 0
    .symbol:         _ZN7rocprim17ROCPRIM_400000_NS6detail17trampoline_kernelINS0_13select_configILj256ELj13ELNS0_17block_load_methodE3ELS4_3ELS4_3ELNS0_20block_scan_algorithmE0ELj4294967295EEENS1_25partition_config_selectorILNS1_17partition_subalgoE3EjNS0_10empty_typeEbEEZZNS1_14partition_implILS8_3ELb0ES6_jNS0_17counting_iteratorIjlEEPS9_SE_NS0_5tupleIJPjSE_EEENSF_IJSE_SE_EEES9_SG_JZNS1_25segmented_radix_sort_implINS0_14default_configELb0EPKbPbPKlPlN2at6native12_GLOBAL__N_18offset_tEEE10hipError_tPvRmT1_PNSt15iterator_traitsISY_E10value_typeET2_T3_PNSZ_IS14_E10value_typeET4_jRbjT5_S1A_jjP12ihipStream_tbEUljE_EEESV_SW_SX_S14_S18_S1A_T6_T7_T9_mT8_S1C_bDpT10_ENKUlT_T0_E_clISt17integral_constantIbLb1EES1O_IbLb0EEEEDaS1K_S1L_EUlS1K_E_NS1_11comp_targetILNS1_3genE0ELNS1_11target_archE4294967295ELNS1_3gpuE0ELNS1_3repE0EEENS1_30default_config_static_selectorELNS0_4arch9wavefront6targetE0EEEvSY_.kd
    .uniform_work_group_size: 1
    .uses_dynamic_stack: false
    .vgpr_count:     0
    .vgpr_spill_count: 0
    .wavefront_size: 32
  - .args:
      - .offset:         0
        .size:           144
        .value_kind:     by_value
    .group_segment_fixed_size: 0
    .kernarg_segment_align: 8
    .kernarg_segment_size: 144
    .language:       OpenCL C
    .language_version:
      - 2
      - 0
    .max_flat_workgroup_size: 256
    .name:           _ZN7rocprim17ROCPRIM_400000_NS6detail17trampoline_kernelINS0_13select_configILj256ELj13ELNS0_17block_load_methodE3ELS4_3ELS4_3ELNS0_20block_scan_algorithmE0ELj4294967295EEENS1_25partition_config_selectorILNS1_17partition_subalgoE3EjNS0_10empty_typeEbEEZZNS1_14partition_implILS8_3ELb0ES6_jNS0_17counting_iteratorIjlEEPS9_SE_NS0_5tupleIJPjSE_EEENSF_IJSE_SE_EEES9_SG_JZNS1_25segmented_radix_sort_implINS0_14default_configELb0EPKbPbPKlPlN2at6native12_GLOBAL__N_18offset_tEEE10hipError_tPvRmT1_PNSt15iterator_traitsISY_E10value_typeET2_T3_PNSZ_IS14_E10value_typeET4_jRbjT5_S1A_jjP12ihipStream_tbEUljE_EEESV_SW_SX_S14_S18_S1A_T6_T7_T9_mT8_S1C_bDpT10_ENKUlT_T0_E_clISt17integral_constantIbLb1EES1O_IbLb0EEEEDaS1K_S1L_EUlS1K_E_NS1_11comp_targetILNS1_3genE5ELNS1_11target_archE942ELNS1_3gpuE9ELNS1_3repE0EEENS1_30default_config_static_selectorELNS0_4arch9wavefront6targetE0EEEvSY_
    .private_segment_fixed_size: 0
    .sgpr_count:     0
    .sgpr_spill_count: 0
    .symbol:         _ZN7rocprim17ROCPRIM_400000_NS6detail17trampoline_kernelINS0_13select_configILj256ELj13ELNS0_17block_load_methodE3ELS4_3ELS4_3ELNS0_20block_scan_algorithmE0ELj4294967295EEENS1_25partition_config_selectorILNS1_17partition_subalgoE3EjNS0_10empty_typeEbEEZZNS1_14partition_implILS8_3ELb0ES6_jNS0_17counting_iteratorIjlEEPS9_SE_NS0_5tupleIJPjSE_EEENSF_IJSE_SE_EEES9_SG_JZNS1_25segmented_radix_sort_implINS0_14default_configELb0EPKbPbPKlPlN2at6native12_GLOBAL__N_18offset_tEEE10hipError_tPvRmT1_PNSt15iterator_traitsISY_E10value_typeET2_T3_PNSZ_IS14_E10value_typeET4_jRbjT5_S1A_jjP12ihipStream_tbEUljE_EEESV_SW_SX_S14_S18_S1A_T6_T7_T9_mT8_S1C_bDpT10_ENKUlT_T0_E_clISt17integral_constantIbLb1EES1O_IbLb0EEEEDaS1K_S1L_EUlS1K_E_NS1_11comp_targetILNS1_3genE5ELNS1_11target_archE942ELNS1_3gpuE9ELNS1_3repE0EEENS1_30default_config_static_selectorELNS0_4arch9wavefront6targetE0EEEvSY_.kd
    .uniform_work_group_size: 1
    .uses_dynamic_stack: false
    .vgpr_count:     0
    .vgpr_spill_count: 0
    .wavefront_size: 32
  - .args:
      - .offset:         0
        .size:           144
        .value_kind:     by_value
    .group_segment_fixed_size: 0
    .kernarg_segment_align: 8
    .kernarg_segment_size: 144
    .language:       OpenCL C
    .language_version:
      - 2
      - 0
    .max_flat_workgroup_size: 256
    .name:           _ZN7rocprim17ROCPRIM_400000_NS6detail17trampoline_kernelINS0_13select_configILj256ELj13ELNS0_17block_load_methodE3ELS4_3ELS4_3ELNS0_20block_scan_algorithmE0ELj4294967295EEENS1_25partition_config_selectorILNS1_17partition_subalgoE3EjNS0_10empty_typeEbEEZZNS1_14partition_implILS8_3ELb0ES6_jNS0_17counting_iteratorIjlEEPS9_SE_NS0_5tupleIJPjSE_EEENSF_IJSE_SE_EEES9_SG_JZNS1_25segmented_radix_sort_implINS0_14default_configELb0EPKbPbPKlPlN2at6native12_GLOBAL__N_18offset_tEEE10hipError_tPvRmT1_PNSt15iterator_traitsISY_E10value_typeET2_T3_PNSZ_IS14_E10value_typeET4_jRbjT5_S1A_jjP12ihipStream_tbEUljE_EEESV_SW_SX_S14_S18_S1A_T6_T7_T9_mT8_S1C_bDpT10_ENKUlT_T0_E_clISt17integral_constantIbLb1EES1O_IbLb0EEEEDaS1K_S1L_EUlS1K_E_NS1_11comp_targetILNS1_3genE4ELNS1_11target_archE910ELNS1_3gpuE8ELNS1_3repE0EEENS1_30default_config_static_selectorELNS0_4arch9wavefront6targetE0EEEvSY_
    .private_segment_fixed_size: 0
    .sgpr_count:     0
    .sgpr_spill_count: 0
    .symbol:         _ZN7rocprim17ROCPRIM_400000_NS6detail17trampoline_kernelINS0_13select_configILj256ELj13ELNS0_17block_load_methodE3ELS4_3ELS4_3ELNS0_20block_scan_algorithmE0ELj4294967295EEENS1_25partition_config_selectorILNS1_17partition_subalgoE3EjNS0_10empty_typeEbEEZZNS1_14partition_implILS8_3ELb0ES6_jNS0_17counting_iteratorIjlEEPS9_SE_NS0_5tupleIJPjSE_EEENSF_IJSE_SE_EEES9_SG_JZNS1_25segmented_radix_sort_implINS0_14default_configELb0EPKbPbPKlPlN2at6native12_GLOBAL__N_18offset_tEEE10hipError_tPvRmT1_PNSt15iterator_traitsISY_E10value_typeET2_T3_PNSZ_IS14_E10value_typeET4_jRbjT5_S1A_jjP12ihipStream_tbEUljE_EEESV_SW_SX_S14_S18_S1A_T6_T7_T9_mT8_S1C_bDpT10_ENKUlT_T0_E_clISt17integral_constantIbLb1EES1O_IbLb0EEEEDaS1K_S1L_EUlS1K_E_NS1_11comp_targetILNS1_3genE4ELNS1_11target_archE910ELNS1_3gpuE8ELNS1_3repE0EEENS1_30default_config_static_selectorELNS0_4arch9wavefront6targetE0EEEvSY_.kd
    .uniform_work_group_size: 1
    .uses_dynamic_stack: false
    .vgpr_count:     0
    .vgpr_spill_count: 0
    .wavefront_size: 32
  - .args:
      - .offset:         0
        .size:           144
        .value_kind:     by_value
    .group_segment_fixed_size: 0
    .kernarg_segment_align: 8
    .kernarg_segment_size: 144
    .language:       OpenCL C
    .language_version:
      - 2
      - 0
    .max_flat_workgroup_size: 256
    .name:           _ZN7rocprim17ROCPRIM_400000_NS6detail17trampoline_kernelINS0_13select_configILj256ELj13ELNS0_17block_load_methodE3ELS4_3ELS4_3ELNS0_20block_scan_algorithmE0ELj4294967295EEENS1_25partition_config_selectorILNS1_17partition_subalgoE3EjNS0_10empty_typeEbEEZZNS1_14partition_implILS8_3ELb0ES6_jNS0_17counting_iteratorIjlEEPS9_SE_NS0_5tupleIJPjSE_EEENSF_IJSE_SE_EEES9_SG_JZNS1_25segmented_radix_sort_implINS0_14default_configELb0EPKbPbPKlPlN2at6native12_GLOBAL__N_18offset_tEEE10hipError_tPvRmT1_PNSt15iterator_traitsISY_E10value_typeET2_T3_PNSZ_IS14_E10value_typeET4_jRbjT5_S1A_jjP12ihipStream_tbEUljE_EEESV_SW_SX_S14_S18_S1A_T6_T7_T9_mT8_S1C_bDpT10_ENKUlT_T0_E_clISt17integral_constantIbLb1EES1O_IbLb0EEEEDaS1K_S1L_EUlS1K_E_NS1_11comp_targetILNS1_3genE3ELNS1_11target_archE908ELNS1_3gpuE7ELNS1_3repE0EEENS1_30default_config_static_selectorELNS0_4arch9wavefront6targetE0EEEvSY_
    .private_segment_fixed_size: 0
    .sgpr_count:     0
    .sgpr_spill_count: 0
    .symbol:         _ZN7rocprim17ROCPRIM_400000_NS6detail17trampoline_kernelINS0_13select_configILj256ELj13ELNS0_17block_load_methodE3ELS4_3ELS4_3ELNS0_20block_scan_algorithmE0ELj4294967295EEENS1_25partition_config_selectorILNS1_17partition_subalgoE3EjNS0_10empty_typeEbEEZZNS1_14partition_implILS8_3ELb0ES6_jNS0_17counting_iteratorIjlEEPS9_SE_NS0_5tupleIJPjSE_EEENSF_IJSE_SE_EEES9_SG_JZNS1_25segmented_radix_sort_implINS0_14default_configELb0EPKbPbPKlPlN2at6native12_GLOBAL__N_18offset_tEEE10hipError_tPvRmT1_PNSt15iterator_traitsISY_E10value_typeET2_T3_PNSZ_IS14_E10value_typeET4_jRbjT5_S1A_jjP12ihipStream_tbEUljE_EEESV_SW_SX_S14_S18_S1A_T6_T7_T9_mT8_S1C_bDpT10_ENKUlT_T0_E_clISt17integral_constantIbLb1EES1O_IbLb0EEEEDaS1K_S1L_EUlS1K_E_NS1_11comp_targetILNS1_3genE3ELNS1_11target_archE908ELNS1_3gpuE7ELNS1_3repE0EEENS1_30default_config_static_selectorELNS0_4arch9wavefront6targetE0EEEvSY_.kd
    .uniform_work_group_size: 1
    .uses_dynamic_stack: false
    .vgpr_count:     0
    .vgpr_spill_count: 0
    .wavefront_size: 32
  - .args:
      - .offset:         0
        .size:           144
        .value_kind:     by_value
    .group_segment_fixed_size: 0
    .kernarg_segment_align: 8
    .kernarg_segment_size: 144
    .language:       OpenCL C
    .language_version:
      - 2
      - 0
    .max_flat_workgroup_size: 256
    .name:           _ZN7rocprim17ROCPRIM_400000_NS6detail17trampoline_kernelINS0_13select_configILj256ELj13ELNS0_17block_load_methodE3ELS4_3ELS4_3ELNS0_20block_scan_algorithmE0ELj4294967295EEENS1_25partition_config_selectorILNS1_17partition_subalgoE3EjNS0_10empty_typeEbEEZZNS1_14partition_implILS8_3ELb0ES6_jNS0_17counting_iteratorIjlEEPS9_SE_NS0_5tupleIJPjSE_EEENSF_IJSE_SE_EEES9_SG_JZNS1_25segmented_radix_sort_implINS0_14default_configELb0EPKbPbPKlPlN2at6native12_GLOBAL__N_18offset_tEEE10hipError_tPvRmT1_PNSt15iterator_traitsISY_E10value_typeET2_T3_PNSZ_IS14_E10value_typeET4_jRbjT5_S1A_jjP12ihipStream_tbEUljE_EEESV_SW_SX_S14_S18_S1A_T6_T7_T9_mT8_S1C_bDpT10_ENKUlT_T0_E_clISt17integral_constantIbLb1EES1O_IbLb0EEEEDaS1K_S1L_EUlS1K_E_NS1_11comp_targetILNS1_3genE2ELNS1_11target_archE906ELNS1_3gpuE6ELNS1_3repE0EEENS1_30default_config_static_selectorELNS0_4arch9wavefront6targetE0EEEvSY_
    .private_segment_fixed_size: 0
    .sgpr_count:     0
    .sgpr_spill_count: 0
    .symbol:         _ZN7rocprim17ROCPRIM_400000_NS6detail17trampoline_kernelINS0_13select_configILj256ELj13ELNS0_17block_load_methodE3ELS4_3ELS4_3ELNS0_20block_scan_algorithmE0ELj4294967295EEENS1_25partition_config_selectorILNS1_17partition_subalgoE3EjNS0_10empty_typeEbEEZZNS1_14partition_implILS8_3ELb0ES6_jNS0_17counting_iteratorIjlEEPS9_SE_NS0_5tupleIJPjSE_EEENSF_IJSE_SE_EEES9_SG_JZNS1_25segmented_radix_sort_implINS0_14default_configELb0EPKbPbPKlPlN2at6native12_GLOBAL__N_18offset_tEEE10hipError_tPvRmT1_PNSt15iterator_traitsISY_E10value_typeET2_T3_PNSZ_IS14_E10value_typeET4_jRbjT5_S1A_jjP12ihipStream_tbEUljE_EEESV_SW_SX_S14_S18_S1A_T6_T7_T9_mT8_S1C_bDpT10_ENKUlT_T0_E_clISt17integral_constantIbLb1EES1O_IbLb0EEEEDaS1K_S1L_EUlS1K_E_NS1_11comp_targetILNS1_3genE2ELNS1_11target_archE906ELNS1_3gpuE6ELNS1_3repE0EEENS1_30default_config_static_selectorELNS0_4arch9wavefront6targetE0EEEvSY_.kd
    .uniform_work_group_size: 1
    .uses_dynamic_stack: false
    .vgpr_count:     0
    .vgpr_spill_count: 0
    .wavefront_size: 32
  - .args:
      - .offset:         0
        .size:           144
        .value_kind:     by_value
    .group_segment_fixed_size: 0
    .kernarg_segment_align: 8
    .kernarg_segment_size: 144
    .language:       OpenCL C
    .language_version:
      - 2
      - 0
    .max_flat_workgroup_size: 256
    .name:           _ZN7rocprim17ROCPRIM_400000_NS6detail17trampoline_kernelINS0_13select_configILj256ELj13ELNS0_17block_load_methodE3ELS4_3ELS4_3ELNS0_20block_scan_algorithmE0ELj4294967295EEENS1_25partition_config_selectorILNS1_17partition_subalgoE3EjNS0_10empty_typeEbEEZZNS1_14partition_implILS8_3ELb0ES6_jNS0_17counting_iteratorIjlEEPS9_SE_NS0_5tupleIJPjSE_EEENSF_IJSE_SE_EEES9_SG_JZNS1_25segmented_radix_sort_implINS0_14default_configELb0EPKbPbPKlPlN2at6native12_GLOBAL__N_18offset_tEEE10hipError_tPvRmT1_PNSt15iterator_traitsISY_E10value_typeET2_T3_PNSZ_IS14_E10value_typeET4_jRbjT5_S1A_jjP12ihipStream_tbEUljE_EEESV_SW_SX_S14_S18_S1A_T6_T7_T9_mT8_S1C_bDpT10_ENKUlT_T0_E_clISt17integral_constantIbLb1EES1O_IbLb0EEEEDaS1K_S1L_EUlS1K_E_NS1_11comp_targetILNS1_3genE10ELNS1_11target_archE1200ELNS1_3gpuE4ELNS1_3repE0EEENS1_30default_config_static_selectorELNS0_4arch9wavefront6targetE0EEEvSY_
    .private_segment_fixed_size: 0
    .sgpr_count:     0
    .sgpr_spill_count: 0
    .symbol:         _ZN7rocprim17ROCPRIM_400000_NS6detail17trampoline_kernelINS0_13select_configILj256ELj13ELNS0_17block_load_methodE3ELS4_3ELS4_3ELNS0_20block_scan_algorithmE0ELj4294967295EEENS1_25partition_config_selectorILNS1_17partition_subalgoE3EjNS0_10empty_typeEbEEZZNS1_14partition_implILS8_3ELb0ES6_jNS0_17counting_iteratorIjlEEPS9_SE_NS0_5tupleIJPjSE_EEENSF_IJSE_SE_EEES9_SG_JZNS1_25segmented_radix_sort_implINS0_14default_configELb0EPKbPbPKlPlN2at6native12_GLOBAL__N_18offset_tEEE10hipError_tPvRmT1_PNSt15iterator_traitsISY_E10value_typeET2_T3_PNSZ_IS14_E10value_typeET4_jRbjT5_S1A_jjP12ihipStream_tbEUljE_EEESV_SW_SX_S14_S18_S1A_T6_T7_T9_mT8_S1C_bDpT10_ENKUlT_T0_E_clISt17integral_constantIbLb1EES1O_IbLb0EEEEDaS1K_S1L_EUlS1K_E_NS1_11comp_targetILNS1_3genE10ELNS1_11target_archE1200ELNS1_3gpuE4ELNS1_3repE0EEENS1_30default_config_static_selectorELNS0_4arch9wavefront6targetE0EEEvSY_.kd
    .uniform_work_group_size: 1
    .uses_dynamic_stack: false
    .vgpr_count:     0
    .vgpr_spill_count: 0
    .wavefront_size: 32
  - .args:
      - .offset:         0
        .size:           144
        .value_kind:     by_value
    .group_segment_fixed_size: 0
    .kernarg_segment_align: 8
    .kernarg_segment_size: 144
    .language:       OpenCL C
    .language_version:
      - 2
      - 0
    .max_flat_workgroup_size: 256
    .name:           _ZN7rocprim17ROCPRIM_400000_NS6detail17trampoline_kernelINS0_13select_configILj256ELj13ELNS0_17block_load_methodE3ELS4_3ELS4_3ELNS0_20block_scan_algorithmE0ELj4294967295EEENS1_25partition_config_selectorILNS1_17partition_subalgoE3EjNS0_10empty_typeEbEEZZNS1_14partition_implILS8_3ELb0ES6_jNS0_17counting_iteratorIjlEEPS9_SE_NS0_5tupleIJPjSE_EEENSF_IJSE_SE_EEES9_SG_JZNS1_25segmented_radix_sort_implINS0_14default_configELb0EPKbPbPKlPlN2at6native12_GLOBAL__N_18offset_tEEE10hipError_tPvRmT1_PNSt15iterator_traitsISY_E10value_typeET2_T3_PNSZ_IS14_E10value_typeET4_jRbjT5_S1A_jjP12ihipStream_tbEUljE_EEESV_SW_SX_S14_S18_S1A_T6_T7_T9_mT8_S1C_bDpT10_ENKUlT_T0_E_clISt17integral_constantIbLb1EES1O_IbLb0EEEEDaS1K_S1L_EUlS1K_E_NS1_11comp_targetILNS1_3genE9ELNS1_11target_archE1100ELNS1_3gpuE3ELNS1_3repE0EEENS1_30default_config_static_selectorELNS0_4arch9wavefront6targetE0EEEvSY_
    .private_segment_fixed_size: 0
    .sgpr_count:     0
    .sgpr_spill_count: 0
    .symbol:         _ZN7rocprim17ROCPRIM_400000_NS6detail17trampoline_kernelINS0_13select_configILj256ELj13ELNS0_17block_load_methodE3ELS4_3ELS4_3ELNS0_20block_scan_algorithmE0ELj4294967295EEENS1_25partition_config_selectorILNS1_17partition_subalgoE3EjNS0_10empty_typeEbEEZZNS1_14partition_implILS8_3ELb0ES6_jNS0_17counting_iteratorIjlEEPS9_SE_NS0_5tupleIJPjSE_EEENSF_IJSE_SE_EEES9_SG_JZNS1_25segmented_radix_sort_implINS0_14default_configELb0EPKbPbPKlPlN2at6native12_GLOBAL__N_18offset_tEEE10hipError_tPvRmT1_PNSt15iterator_traitsISY_E10value_typeET2_T3_PNSZ_IS14_E10value_typeET4_jRbjT5_S1A_jjP12ihipStream_tbEUljE_EEESV_SW_SX_S14_S18_S1A_T6_T7_T9_mT8_S1C_bDpT10_ENKUlT_T0_E_clISt17integral_constantIbLb1EES1O_IbLb0EEEEDaS1K_S1L_EUlS1K_E_NS1_11comp_targetILNS1_3genE9ELNS1_11target_archE1100ELNS1_3gpuE3ELNS1_3repE0EEENS1_30default_config_static_selectorELNS0_4arch9wavefront6targetE0EEEvSY_.kd
    .uniform_work_group_size: 1
    .uses_dynamic_stack: false
    .vgpr_count:     0
    .vgpr_spill_count: 0
    .wavefront_size: 32
  - .args:
      - .offset:         0
        .size:           144
        .value_kind:     by_value
    .group_segment_fixed_size: 0
    .kernarg_segment_align: 8
    .kernarg_segment_size: 144
    .language:       OpenCL C
    .language_version:
      - 2
      - 0
    .max_flat_workgroup_size: 256
    .name:           _ZN7rocprim17ROCPRIM_400000_NS6detail17trampoline_kernelINS0_13select_configILj256ELj13ELNS0_17block_load_methodE3ELS4_3ELS4_3ELNS0_20block_scan_algorithmE0ELj4294967295EEENS1_25partition_config_selectorILNS1_17partition_subalgoE3EjNS0_10empty_typeEbEEZZNS1_14partition_implILS8_3ELb0ES6_jNS0_17counting_iteratorIjlEEPS9_SE_NS0_5tupleIJPjSE_EEENSF_IJSE_SE_EEES9_SG_JZNS1_25segmented_radix_sort_implINS0_14default_configELb0EPKbPbPKlPlN2at6native12_GLOBAL__N_18offset_tEEE10hipError_tPvRmT1_PNSt15iterator_traitsISY_E10value_typeET2_T3_PNSZ_IS14_E10value_typeET4_jRbjT5_S1A_jjP12ihipStream_tbEUljE_EEESV_SW_SX_S14_S18_S1A_T6_T7_T9_mT8_S1C_bDpT10_ENKUlT_T0_E_clISt17integral_constantIbLb1EES1O_IbLb0EEEEDaS1K_S1L_EUlS1K_E_NS1_11comp_targetILNS1_3genE8ELNS1_11target_archE1030ELNS1_3gpuE2ELNS1_3repE0EEENS1_30default_config_static_selectorELNS0_4arch9wavefront6targetE0EEEvSY_
    .private_segment_fixed_size: 0
    .sgpr_count:     0
    .sgpr_spill_count: 0
    .symbol:         _ZN7rocprim17ROCPRIM_400000_NS6detail17trampoline_kernelINS0_13select_configILj256ELj13ELNS0_17block_load_methodE3ELS4_3ELS4_3ELNS0_20block_scan_algorithmE0ELj4294967295EEENS1_25partition_config_selectorILNS1_17partition_subalgoE3EjNS0_10empty_typeEbEEZZNS1_14partition_implILS8_3ELb0ES6_jNS0_17counting_iteratorIjlEEPS9_SE_NS0_5tupleIJPjSE_EEENSF_IJSE_SE_EEES9_SG_JZNS1_25segmented_radix_sort_implINS0_14default_configELb0EPKbPbPKlPlN2at6native12_GLOBAL__N_18offset_tEEE10hipError_tPvRmT1_PNSt15iterator_traitsISY_E10value_typeET2_T3_PNSZ_IS14_E10value_typeET4_jRbjT5_S1A_jjP12ihipStream_tbEUljE_EEESV_SW_SX_S14_S18_S1A_T6_T7_T9_mT8_S1C_bDpT10_ENKUlT_T0_E_clISt17integral_constantIbLb1EES1O_IbLb0EEEEDaS1K_S1L_EUlS1K_E_NS1_11comp_targetILNS1_3genE8ELNS1_11target_archE1030ELNS1_3gpuE2ELNS1_3repE0EEENS1_30default_config_static_selectorELNS0_4arch9wavefront6targetE0EEEvSY_.kd
    .uniform_work_group_size: 1
    .uses_dynamic_stack: false
    .vgpr_count:     0
    .vgpr_spill_count: 0
    .wavefront_size: 32
  - .args:
      - .offset:         0
        .size:           152
        .value_kind:     by_value
    .group_segment_fixed_size: 13320
    .kernarg_segment_align: 8
    .kernarg_segment_size: 152
    .language:       OpenCL C
    .language_version:
      - 2
      - 0
    .max_flat_workgroup_size: 256
    .name:           _ZN7rocprim17ROCPRIM_400000_NS6detail17trampoline_kernelINS0_13select_configILj256ELj13ELNS0_17block_load_methodE3ELS4_3ELS4_3ELNS0_20block_scan_algorithmE0ELj4294967295EEENS1_25partition_config_selectorILNS1_17partition_subalgoE3EjNS0_10empty_typeEbEEZZNS1_14partition_implILS8_3ELb0ES6_jNS0_17counting_iteratorIjlEEPS9_SE_NS0_5tupleIJPjSE_EEENSF_IJSE_SE_EEES9_SG_JZNS1_25segmented_radix_sort_implINS0_14default_configELb0EPKbPbPKlPlN2at6native12_GLOBAL__N_18offset_tEEE10hipError_tPvRmT1_PNSt15iterator_traitsISY_E10value_typeET2_T3_PNSZ_IS14_E10value_typeET4_jRbjT5_S1A_jjP12ihipStream_tbEUljE_EEESV_SW_SX_S14_S18_S1A_T6_T7_T9_mT8_S1C_bDpT10_ENKUlT_T0_E_clISt17integral_constantIbLb0EES1O_IbLb1EEEEDaS1K_S1L_EUlS1K_E_NS1_11comp_targetILNS1_3genE0ELNS1_11target_archE4294967295ELNS1_3gpuE0ELNS1_3repE0EEENS1_30default_config_static_selectorELNS0_4arch9wavefront6targetE0EEEvSY_
    .private_segment_fixed_size: 0
    .sgpr_count:     26
    .sgpr_spill_count: 0
    .symbol:         _ZN7rocprim17ROCPRIM_400000_NS6detail17trampoline_kernelINS0_13select_configILj256ELj13ELNS0_17block_load_methodE3ELS4_3ELS4_3ELNS0_20block_scan_algorithmE0ELj4294967295EEENS1_25partition_config_selectorILNS1_17partition_subalgoE3EjNS0_10empty_typeEbEEZZNS1_14partition_implILS8_3ELb0ES6_jNS0_17counting_iteratorIjlEEPS9_SE_NS0_5tupleIJPjSE_EEENSF_IJSE_SE_EEES9_SG_JZNS1_25segmented_radix_sort_implINS0_14default_configELb0EPKbPbPKlPlN2at6native12_GLOBAL__N_18offset_tEEE10hipError_tPvRmT1_PNSt15iterator_traitsISY_E10value_typeET2_T3_PNSZ_IS14_E10value_typeET4_jRbjT5_S1A_jjP12ihipStream_tbEUljE_EEESV_SW_SX_S14_S18_S1A_T6_T7_T9_mT8_S1C_bDpT10_ENKUlT_T0_E_clISt17integral_constantIbLb0EES1O_IbLb1EEEEDaS1K_S1L_EUlS1K_E_NS1_11comp_targetILNS1_3genE0ELNS1_11target_archE4294967295ELNS1_3gpuE0ELNS1_3repE0EEENS1_30default_config_static_selectorELNS0_4arch9wavefront6targetE0EEEvSY_.kd
    .uniform_work_group_size: 1
    .uses_dynamic_stack: false
    .vgpr_count:     72
    .vgpr_spill_count: 0
    .wavefront_size: 32
  - .args:
      - .offset:         0
        .size:           152
        .value_kind:     by_value
    .group_segment_fixed_size: 0
    .kernarg_segment_align: 8
    .kernarg_segment_size: 152
    .language:       OpenCL C
    .language_version:
      - 2
      - 0
    .max_flat_workgroup_size: 256
    .name:           _ZN7rocprim17ROCPRIM_400000_NS6detail17trampoline_kernelINS0_13select_configILj256ELj13ELNS0_17block_load_methodE3ELS4_3ELS4_3ELNS0_20block_scan_algorithmE0ELj4294967295EEENS1_25partition_config_selectorILNS1_17partition_subalgoE3EjNS0_10empty_typeEbEEZZNS1_14partition_implILS8_3ELb0ES6_jNS0_17counting_iteratorIjlEEPS9_SE_NS0_5tupleIJPjSE_EEENSF_IJSE_SE_EEES9_SG_JZNS1_25segmented_radix_sort_implINS0_14default_configELb0EPKbPbPKlPlN2at6native12_GLOBAL__N_18offset_tEEE10hipError_tPvRmT1_PNSt15iterator_traitsISY_E10value_typeET2_T3_PNSZ_IS14_E10value_typeET4_jRbjT5_S1A_jjP12ihipStream_tbEUljE_EEESV_SW_SX_S14_S18_S1A_T6_T7_T9_mT8_S1C_bDpT10_ENKUlT_T0_E_clISt17integral_constantIbLb0EES1O_IbLb1EEEEDaS1K_S1L_EUlS1K_E_NS1_11comp_targetILNS1_3genE5ELNS1_11target_archE942ELNS1_3gpuE9ELNS1_3repE0EEENS1_30default_config_static_selectorELNS0_4arch9wavefront6targetE0EEEvSY_
    .private_segment_fixed_size: 0
    .sgpr_count:     0
    .sgpr_spill_count: 0
    .symbol:         _ZN7rocprim17ROCPRIM_400000_NS6detail17trampoline_kernelINS0_13select_configILj256ELj13ELNS0_17block_load_methodE3ELS4_3ELS4_3ELNS0_20block_scan_algorithmE0ELj4294967295EEENS1_25partition_config_selectorILNS1_17partition_subalgoE3EjNS0_10empty_typeEbEEZZNS1_14partition_implILS8_3ELb0ES6_jNS0_17counting_iteratorIjlEEPS9_SE_NS0_5tupleIJPjSE_EEENSF_IJSE_SE_EEES9_SG_JZNS1_25segmented_radix_sort_implINS0_14default_configELb0EPKbPbPKlPlN2at6native12_GLOBAL__N_18offset_tEEE10hipError_tPvRmT1_PNSt15iterator_traitsISY_E10value_typeET2_T3_PNSZ_IS14_E10value_typeET4_jRbjT5_S1A_jjP12ihipStream_tbEUljE_EEESV_SW_SX_S14_S18_S1A_T6_T7_T9_mT8_S1C_bDpT10_ENKUlT_T0_E_clISt17integral_constantIbLb0EES1O_IbLb1EEEEDaS1K_S1L_EUlS1K_E_NS1_11comp_targetILNS1_3genE5ELNS1_11target_archE942ELNS1_3gpuE9ELNS1_3repE0EEENS1_30default_config_static_selectorELNS0_4arch9wavefront6targetE0EEEvSY_.kd
    .uniform_work_group_size: 1
    .uses_dynamic_stack: false
    .vgpr_count:     0
    .vgpr_spill_count: 0
    .wavefront_size: 32
  - .args:
      - .offset:         0
        .size:           152
        .value_kind:     by_value
    .group_segment_fixed_size: 0
    .kernarg_segment_align: 8
    .kernarg_segment_size: 152
    .language:       OpenCL C
    .language_version:
      - 2
      - 0
    .max_flat_workgroup_size: 256
    .name:           _ZN7rocprim17ROCPRIM_400000_NS6detail17trampoline_kernelINS0_13select_configILj256ELj13ELNS0_17block_load_methodE3ELS4_3ELS4_3ELNS0_20block_scan_algorithmE0ELj4294967295EEENS1_25partition_config_selectorILNS1_17partition_subalgoE3EjNS0_10empty_typeEbEEZZNS1_14partition_implILS8_3ELb0ES6_jNS0_17counting_iteratorIjlEEPS9_SE_NS0_5tupleIJPjSE_EEENSF_IJSE_SE_EEES9_SG_JZNS1_25segmented_radix_sort_implINS0_14default_configELb0EPKbPbPKlPlN2at6native12_GLOBAL__N_18offset_tEEE10hipError_tPvRmT1_PNSt15iterator_traitsISY_E10value_typeET2_T3_PNSZ_IS14_E10value_typeET4_jRbjT5_S1A_jjP12ihipStream_tbEUljE_EEESV_SW_SX_S14_S18_S1A_T6_T7_T9_mT8_S1C_bDpT10_ENKUlT_T0_E_clISt17integral_constantIbLb0EES1O_IbLb1EEEEDaS1K_S1L_EUlS1K_E_NS1_11comp_targetILNS1_3genE4ELNS1_11target_archE910ELNS1_3gpuE8ELNS1_3repE0EEENS1_30default_config_static_selectorELNS0_4arch9wavefront6targetE0EEEvSY_
    .private_segment_fixed_size: 0
    .sgpr_count:     0
    .sgpr_spill_count: 0
    .symbol:         _ZN7rocprim17ROCPRIM_400000_NS6detail17trampoline_kernelINS0_13select_configILj256ELj13ELNS0_17block_load_methodE3ELS4_3ELS4_3ELNS0_20block_scan_algorithmE0ELj4294967295EEENS1_25partition_config_selectorILNS1_17partition_subalgoE3EjNS0_10empty_typeEbEEZZNS1_14partition_implILS8_3ELb0ES6_jNS0_17counting_iteratorIjlEEPS9_SE_NS0_5tupleIJPjSE_EEENSF_IJSE_SE_EEES9_SG_JZNS1_25segmented_radix_sort_implINS0_14default_configELb0EPKbPbPKlPlN2at6native12_GLOBAL__N_18offset_tEEE10hipError_tPvRmT1_PNSt15iterator_traitsISY_E10value_typeET2_T3_PNSZ_IS14_E10value_typeET4_jRbjT5_S1A_jjP12ihipStream_tbEUljE_EEESV_SW_SX_S14_S18_S1A_T6_T7_T9_mT8_S1C_bDpT10_ENKUlT_T0_E_clISt17integral_constantIbLb0EES1O_IbLb1EEEEDaS1K_S1L_EUlS1K_E_NS1_11comp_targetILNS1_3genE4ELNS1_11target_archE910ELNS1_3gpuE8ELNS1_3repE0EEENS1_30default_config_static_selectorELNS0_4arch9wavefront6targetE0EEEvSY_.kd
    .uniform_work_group_size: 1
    .uses_dynamic_stack: false
    .vgpr_count:     0
    .vgpr_spill_count: 0
    .wavefront_size: 32
  - .args:
      - .offset:         0
        .size:           152
        .value_kind:     by_value
    .group_segment_fixed_size: 0
    .kernarg_segment_align: 8
    .kernarg_segment_size: 152
    .language:       OpenCL C
    .language_version:
      - 2
      - 0
    .max_flat_workgroup_size: 256
    .name:           _ZN7rocprim17ROCPRIM_400000_NS6detail17trampoline_kernelINS0_13select_configILj256ELj13ELNS0_17block_load_methodE3ELS4_3ELS4_3ELNS0_20block_scan_algorithmE0ELj4294967295EEENS1_25partition_config_selectorILNS1_17partition_subalgoE3EjNS0_10empty_typeEbEEZZNS1_14partition_implILS8_3ELb0ES6_jNS0_17counting_iteratorIjlEEPS9_SE_NS0_5tupleIJPjSE_EEENSF_IJSE_SE_EEES9_SG_JZNS1_25segmented_radix_sort_implINS0_14default_configELb0EPKbPbPKlPlN2at6native12_GLOBAL__N_18offset_tEEE10hipError_tPvRmT1_PNSt15iterator_traitsISY_E10value_typeET2_T3_PNSZ_IS14_E10value_typeET4_jRbjT5_S1A_jjP12ihipStream_tbEUljE_EEESV_SW_SX_S14_S18_S1A_T6_T7_T9_mT8_S1C_bDpT10_ENKUlT_T0_E_clISt17integral_constantIbLb0EES1O_IbLb1EEEEDaS1K_S1L_EUlS1K_E_NS1_11comp_targetILNS1_3genE3ELNS1_11target_archE908ELNS1_3gpuE7ELNS1_3repE0EEENS1_30default_config_static_selectorELNS0_4arch9wavefront6targetE0EEEvSY_
    .private_segment_fixed_size: 0
    .sgpr_count:     0
    .sgpr_spill_count: 0
    .symbol:         _ZN7rocprim17ROCPRIM_400000_NS6detail17trampoline_kernelINS0_13select_configILj256ELj13ELNS0_17block_load_methodE3ELS4_3ELS4_3ELNS0_20block_scan_algorithmE0ELj4294967295EEENS1_25partition_config_selectorILNS1_17partition_subalgoE3EjNS0_10empty_typeEbEEZZNS1_14partition_implILS8_3ELb0ES6_jNS0_17counting_iteratorIjlEEPS9_SE_NS0_5tupleIJPjSE_EEENSF_IJSE_SE_EEES9_SG_JZNS1_25segmented_radix_sort_implINS0_14default_configELb0EPKbPbPKlPlN2at6native12_GLOBAL__N_18offset_tEEE10hipError_tPvRmT1_PNSt15iterator_traitsISY_E10value_typeET2_T3_PNSZ_IS14_E10value_typeET4_jRbjT5_S1A_jjP12ihipStream_tbEUljE_EEESV_SW_SX_S14_S18_S1A_T6_T7_T9_mT8_S1C_bDpT10_ENKUlT_T0_E_clISt17integral_constantIbLb0EES1O_IbLb1EEEEDaS1K_S1L_EUlS1K_E_NS1_11comp_targetILNS1_3genE3ELNS1_11target_archE908ELNS1_3gpuE7ELNS1_3repE0EEENS1_30default_config_static_selectorELNS0_4arch9wavefront6targetE0EEEvSY_.kd
    .uniform_work_group_size: 1
    .uses_dynamic_stack: false
    .vgpr_count:     0
    .vgpr_spill_count: 0
    .wavefront_size: 32
  - .args:
      - .offset:         0
        .size:           152
        .value_kind:     by_value
    .group_segment_fixed_size: 0
    .kernarg_segment_align: 8
    .kernarg_segment_size: 152
    .language:       OpenCL C
    .language_version:
      - 2
      - 0
    .max_flat_workgroup_size: 256
    .name:           _ZN7rocprim17ROCPRIM_400000_NS6detail17trampoline_kernelINS0_13select_configILj256ELj13ELNS0_17block_load_methodE3ELS4_3ELS4_3ELNS0_20block_scan_algorithmE0ELj4294967295EEENS1_25partition_config_selectorILNS1_17partition_subalgoE3EjNS0_10empty_typeEbEEZZNS1_14partition_implILS8_3ELb0ES6_jNS0_17counting_iteratorIjlEEPS9_SE_NS0_5tupleIJPjSE_EEENSF_IJSE_SE_EEES9_SG_JZNS1_25segmented_radix_sort_implINS0_14default_configELb0EPKbPbPKlPlN2at6native12_GLOBAL__N_18offset_tEEE10hipError_tPvRmT1_PNSt15iterator_traitsISY_E10value_typeET2_T3_PNSZ_IS14_E10value_typeET4_jRbjT5_S1A_jjP12ihipStream_tbEUljE_EEESV_SW_SX_S14_S18_S1A_T6_T7_T9_mT8_S1C_bDpT10_ENKUlT_T0_E_clISt17integral_constantIbLb0EES1O_IbLb1EEEEDaS1K_S1L_EUlS1K_E_NS1_11comp_targetILNS1_3genE2ELNS1_11target_archE906ELNS1_3gpuE6ELNS1_3repE0EEENS1_30default_config_static_selectorELNS0_4arch9wavefront6targetE0EEEvSY_
    .private_segment_fixed_size: 0
    .sgpr_count:     0
    .sgpr_spill_count: 0
    .symbol:         _ZN7rocprim17ROCPRIM_400000_NS6detail17trampoline_kernelINS0_13select_configILj256ELj13ELNS0_17block_load_methodE3ELS4_3ELS4_3ELNS0_20block_scan_algorithmE0ELj4294967295EEENS1_25partition_config_selectorILNS1_17partition_subalgoE3EjNS0_10empty_typeEbEEZZNS1_14partition_implILS8_3ELb0ES6_jNS0_17counting_iteratorIjlEEPS9_SE_NS0_5tupleIJPjSE_EEENSF_IJSE_SE_EEES9_SG_JZNS1_25segmented_radix_sort_implINS0_14default_configELb0EPKbPbPKlPlN2at6native12_GLOBAL__N_18offset_tEEE10hipError_tPvRmT1_PNSt15iterator_traitsISY_E10value_typeET2_T3_PNSZ_IS14_E10value_typeET4_jRbjT5_S1A_jjP12ihipStream_tbEUljE_EEESV_SW_SX_S14_S18_S1A_T6_T7_T9_mT8_S1C_bDpT10_ENKUlT_T0_E_clISt17integral_constantIbLb0EES1O_IbLb1EEEEDaS1K_S1L_EUlS1K_E_NS1_11comp_targetILNS1_3genE2ELNS1_11target_archE906ELNS1_3gpuE6ELNS1_3repE0EEENS1_30default_config_static_selectorELNS0_4arch9wavefront6targetE0EEEvSY_.kd
    .uniform_work_group_size: 1
    .uses_dynamic_stack: false
    .vgpr_count:     0
    .vgpr_spill_count: 0
    .wavefront_size: 32
  - .args:
      - .offset:         0
        .size:           152
        .value_kind:     by_value
    .group_segment_fixed_size: 0
    .kernarg_segment_align: 8
    .kernarg_segment_size: 152
    .language:       OpenCL C
    .language_version:
      - 2
      - 0
    .max_flat_workgroup_size: 256
    .name:           _ZN7rocprim17ROCPRIM_400000_NS6detail17trampoline_kernelINS0_13select_configILj256ELj13ELNS0_17block_load_methodE3ELS4_3ELS4_3ELNS0_20block_scan_algorithmE0ELj4294967295EEENS1_25partition_config_selectorILNS1_17partition_subalgoE3EjNS0_10empty_typeEbEEZZNS1_14partition_implILS8_3ELb0ES6_jNS0_17counting_iteratorIjlEEPS9_SE_NS0_5tupleIJPjSE_EEENSF_IJSE_SE_EEES9_SG_JZNS1_25segmented_radix_sort_implINS0_14default_configELb0EPKbPbPKlPlN2at6native12_GLOBAL__N_18offset_tEEE10hipError_tPvRmT1_PNSt15iterator_traitsISY_E10value_typeET2_T3_PNSZ_IS14_E10value_typeET4_jRbjT5_S1A_jjP12ihipStream_tbEUljE_EEESV_SW_SX_S14_S18_S1A_T6_T7_T9_mT8_S1C_bDpT10_ENKUlT_T0_E_clISt17integral_constantIbLb0EES1O_IbLb1EEEEDaS1K_S1L_EUlS1K_E_NS1_11comp_targetILNS1_3genE10ELNS1_11target_archE1200ELNS1_3gpuE4ELNS1_3repE0EEENS1_30default_config_static_selectorELNS0_4arch9wavefront6targetE0EEEvSY_
    .private_segment_fixed_size: 0
    .sgpr_count:     0
    .sgpr_spill_count: 0
    .symbol:         _ZN7rocprim17ROCPRIM_400000_NS6detail17trampoline_kernelINS0_13select_configILj256ELj13ELNS0_17block_load_methodE3ELS4_3ELS4_3ELNS0_20block_scan_algorithmE0ELj4294967295EEENS1_25partition_config_selectorILNS1_17partition_subalgoE3EjNS0_10empty_typeEbEEZZNS1_14partition_implILS8_3ELb0ES6_jNS0_17counting_iteratorIjlEEPS9_SE_NS0_5tupleIJPjSE_EEENSF_IJSE_SE_EEES9_SG_JZNS1_25segmented_radix_sort_implINS0_14default_configELb0EPKbPbPKlPlN2at6native12_GLOBAL__N_18offset_tEEE10hipError_tPvRmT1_PNSt15iterator_traitsISY_E10value_typeET2_T3_PNSZ_IS14_E10value_typeET4_jRbjT5_S1A_jjP12ihipStream_tbEUljE_EEESV_SW_SX_S14_S18_S1A_T6_T7_T9_mT8_S1C_bDpT10_ENKUlT_T0_E_clISt17integral_constantIbLb0EES1O_IbLb1EEEEDaS1K_S1L_EUlS1K_E_NS1_11comp_targetILNS1_3genE10ELNS1_11target_archE1200ELNS1_3gpuE4ELNS1_3repE0EEENS1_30default_config_static_selectorELNS0_4arch9wavefront6targetE0EEEvSY_.kd
    .uniform_work_group_size: 1
    .uses_dynamic_stack: false
    .vgpr_count:     0
    .vgpr_spill_count: 0
    .wavefront_size: 32
  - .args:
      - .offset:         0
        .size:           152
        .value_kind:     by_value
    .group_segment_fixed_size: 0
    .kernarg_segment_align: 8
    .kernarg_segment_size: 152
    .language:       OpenCL C
    .language_version:
      - 2
      - 0
    .max_flat_workgroup_size: 256
    .name:           _ZN7rocprim17ROCPRIM_400000_NS6detail17trampoline_kernelINS0_13select_configILj256ELj13ELNS0_17block_load_methodE3ELS4_3ELS4_3ELNS0_20block_scan_algorithmE0ELj4294967295EEENS1_25partition_config_selectorILNS1_17partition_subalgoE3EjNS0_10empty_typeEbEEZZNS1_14partition_implILS8_3ELb0ES6_jNS0_17counting_iteratorIjlEEPS9_SE_NS0_5tupleIJPjSE_EEENSF_IJSE_SE_EEES9_SG_JZNS1_25segmented_radix_sort_implINS0_14default_configELb0EPKbPbPKlPlN2at6native12_GLOBAL__N_18offset_tEEE10hipError_tPvRmT1_PNSt15iterator_traitsISY_E10value_typeET2_T3_PNSZ_IS14_E10value_typeET4_jRbjT5_S1A_jjP12ihipStream_tbEUljE_EEESV_SW_SX_S14_S18_S1A_T6_T7_T9_mT8_S1C_bDpT10_ENKUlT_T0_E_clISt17integral_constantIbLb0EES1O_IbLb1EEEEDaS1K_S1L_EUlS1K_E_NS1_11comp_targetILNS1_3genE9ELNS1_11target_archE1100ELNS1_3gpuE3ELNS1_3repE0EEENS1_30default_config_static_selectorELNS0_4arch9wavefront6targetE0EEEvSY_
    .private_segment_fixed_size: 0
    .sgpr_count:     0
    .sgpr_spill_count: 0
    .symbol:         _ZN7rocprim17ROCPRIM_400000_NS6detail17trampoline_kernelINS0_13select_configILj256ELj13ELNS0_17block_load_methodE3ELS4_3ELS4_3ELNS0_20block_scan_algorithmE0ELj4294967295EEENS1_25partition_config_selectorILNS1_17partition_subalgoE3EjNS0_10empty_typeEbEEZZNS1_14partition_implILS8_3ELb0ES6_jNS0_17counting_iteratorIjlEEPS9_SE_NS0_5tupleIJPjSE_EEENSF_IJSE_SE_EEES9_SG_JZNS1_25segmented_radix_sort_implINS0_14default_configELb0EPKbPbPKlPlN2at6native12_GLOBAL__N_18offset_tEEE10hipError_tPvRmT1_PNSt15iterator_traitsISY_E10value_typeET2_T3_PNSZ_IS14_E10value_typeET4_jRbjT5_S1A_jjP12ihipStream_tbEUljE_EEESV_SW_SX_S14_S18_S1A_T6_T7_T9_mT8_S1C_bDpT10_ENKUlT_T0_E_clISt17integral_constantIbLb0EES1O_IbLb1EEEEDaS1K_S1L_EUlS1K_E_NS1_11comp_targetILNS1_3genE9ELNS1_11target_archE1100ELNS1_3gpuE3ELNS1_3repE0EEENS1_30default_config_static_selectorELNS0_4arch9wavefront6targetE0EEEvSY_.kd
    .uniform_work_group_size: 1
    .uses_dynamic_stack: false
    .vgpr_count:     0
    .vgpr_spill_count: 0
    .wavefront_size: 32
  - .args:
      - .offset:         0
        .size:           152
        .value_kind:     by_value
    .group_segment_fixed_size: 0
    .kernarg_segment_align: 8
    .kernarg_segment_size: 152
    .language:       OpenCL C
    .language_version:
      - 2
      - 0
    .max_flat_workgroup_size: 256
    .name:           _ZN7rocprim17ROCPRIM_400000_NS6detail17trampoline_kernelINS0_13select_configILj256ELj13ELNS0_17block_load_methodE3ELS4_3ELS4_3ELNS0_20block_scan_algorithmE0ELj4294967295EEENS1_25partition_config_selectorILNS1_17partition_subalgoE3EjNS0_10empty_typeEbEEZZNS1_14partition_implILS8_3ELb0ES6_jNS0_17counting_iteratorIjlEEPS9_SE_NS0_5tupleIJPjSE_EEENSF_IJSE_SE_EEES9_SG_JZNS1_25segmented_radix_sort_implINS0_14default_configELb0EPKbPbPKlPlN2at6native12_GLOBAL__N_18offset_tEEE10hipError_tPvRmT1_PNSt15iterator_traitsISY_E10value_typeET2_T3_PNSZ_IS14_E10value_typeET4_jRbjT5_S1A_jjP12ihipStream_tbEUljE_EEESV_SW_SX_S14_S18_S1A_T6_T7_T9_mT8_S1C_bDpT10_ENKUlT_T0_E_clISt17integral_constantIbLb0EES1O_IbLb1EEEEDaS1K_S1L_EUlS1K_E_NS1_11comp_targetILNS1_3genE8ELNS1_11target_archE1030ELNS1_3gpuE2ELNS1_3repE0EEENS1_30default_config_static_selectorELNS0_4arch9wavefront6targetE0EEEvSY_
    .private_segment_fixed_size: 0
    .sgpr_count:     0
    .sgpr_spill_count: 0
    .symbol:         _ZN7rocprim17ROCPRIM_400000_NS6detail17trampoline_kernelINS0_13select_configILj256ELj13ELNS0_17block_load_methodE3ELS4_3ELS4_3ELNS0_20block_scan_algorithmE0ELj4294967295EEENS1_25partition_config_selectorILNS1_17partition_subalgoE3EjNS0_10empty_typeEbEEZZNS1_14partition_implILS8_3ELb0ES6_jNS0_17counting_iteratorIjlEEPS9_SE_NS0_5tupleIJPjSE_EEENSF_IJSE_SE_EEES9_SG_JZNS1_25segmented_radix_sort_implINS0_14default_configELb0EPKbPbPKlPlN2at6native12_GLOBAL__N_18offset_tEEE10hipError_tPvRmT1_PNSt15iterator_traitsISY_E10value_typeET2_T3_PNSZ_IS14_E10value_typeET4_jRbjT5_S1A_jjP12ihipStream_tbEUljE_EEESV_SW_SX_S14_S18_S1A_T6_T7_T9_mT8_S1C_bDpT10_ENKUlT_T0_E_clISt17integral_constantIbLb0EES1O_IbLb1EEEEDaS1K_S1L_EUlS1K_E_NS1_11comp_targetILNS1_3genE8ELNS1_11target_archE1030ELNS1_3gpuE2ELNS1_3repE0EEENS1_30default_config_static_selectorELNS0_4arch9wavefront6targetE0EEEvSY_.kd
    .uniform_work_group_size: 1
    .uses_dynamic_stack: false
    .vgpr_count:     0
    .vgpr_spill_count: 0
    .wavefront_size: 32
  - .args:
      - .offset:         0
        .size:           96
        .value_kind:     by_value
      - .offset:         96
        .size:           4
        .value_kind:     hidden_block_count_x
      - .offset:         100
        .size:           4
        .value_kind:     hidden_block_count_y
      - .offset:         104
        .size:           4
        .value_kind:     hidden_block_count_z
      - .offset:         108
        .size:           2
        .value_kind:     hidden_group_size_x
      - .offset:         110
        .size:           2
        .value_kind:     hidden_group_size_y
      - .offset:         112
        .size:           2
        .value_kind:     hidden_group_size_z
      - .offset:         114
        .size:           2
        .value_kind:     hidden_remainder_x
      - .offset:         116
        .size:           2
        .value_kind:     hidden_remainder_y
      - .offset:         118
        .size:           2
        .value_kind:     hidden_remainder_z
      - .offset:         136
        .size:           8
        .value_kind:     hidden_global_offset_x
      - .offset:         144
        .size:           8
        .value_kind:     hidden_global_offset_y
      - .offset:         152
        .size:           8
        .value_kind:     hidden_global_offset_z
      - .offset:         160
        .size:           2
        .value_kind:     hidden_grid_dims
      - .offset:         176
        .size:           8
        .value_kind:     hidden_hostcall_buffer
      - .offset:         184
        .size:           8
        .value_kind:     hidden_multigrid_sync_arg
      - .offset:         192
        .size:           8
        .value_kind:     hidden_heap_v1
      - .offset:         200
        .size:           8
        .value_kind:     hidden_default_queue
      - .offset:         208
        .size:           8
        .value_kind:     hidden_completion_action
      - .offset:         296
        .size:           8
        .value_kind:     hidden_queue_ptr
    .group_segment_fixed_size: 35344
    .kernarg_segment_align: 8
    .kernarg_segment_size: 352
    .language:       OpenCL C
    .language_version:
      - 2
      - 0
    .max_flat_workgroup_size: 256
    .name:           _ZN7rocprim17ROCPRIM_400000_NS6detail17trampoline_kernelINS0_14default_configENS1_36segmented_radix_sort_config_selectorIblEEZNS1_25segmented_radix_sort_implIS3_Lb0EPKbPbPKlPlN2at6native12_GLOBAL__N_18offset_tEEE10hipError_tPvRmT1_PNSt15iterator_traitsISK_E10value_typeET2_T3_PNSL_ISQ_E10value_typeET4_jRbjT5_SW_jjP12ihipStream_tbEUlT_E_NS1_11comp_targetILNS1_3genE0ELNS1_11target_archE4294967295ELNS1_3gpuE0ELNS1_3repE0EEENS1_30default_config_static_selectorELNS0_4arch9wavefront6targetE0EEEvSK_
    .private_segment_fixed_size: 0
    .sgpr_count:     63
    .sgpr_spill_count: 0
    .symbol:         _ZN7rocprim17ROCPRIM_400000_NS6detail17trampoline_kernelINS0_14default_configENS1_36segmented_radix_sort_config_selectorIblEEZNS1_25segmented_radix_sort_implIS3_Lb0EPKbPbPKlPlN2at6native12_GLOBAL__N_18offset_tEEE10hipError_tPvRmT1_PNSt15iterator_traitsISK_E10value_typeET2_T3_PNSL_ISQ_E10value_typeET4_jRbjT5_SW_jjP12ihipStream_tbEUlT_E_NS1_11comp_targetILNS1_3genE0ELNS1_11target_archE4294967295ELNS1_3gpuE0ELNS1_3repE0EEENS1_30default_config_static_selectorELNS0_4arch9wavefront6targetE0EEEvSK_.kd
    .uniform_work_group_size: 1
    .uses_dynamic_stack: false
    .vgpr_count:     319
    .vgpr_spill_count: 0
    .wavefront_size: 32
  - .args:
      - .offset:         0
        .size:           96
        .value_kind:     by_value
    .group_segment_fixed_size: 0
    .kernarg_segment_align: 8
    .kernarg_segment_size: 96
    .language:       OpenCL C
    .language_version:
      - 2
      - 0
    .max_flat_workgroup_size: 256
    .name:           _ZN7rocprim17ROCPRIM_400000_NS6detail17trampoline_kernelINS0_14default_configENS1_36segmented_radix_sort_config_selectorIblEEZNS1_25segmented_radix_sort_implIS3_Lb0EPKbPbPKlPlN2at6native12_GLOBAL__N_18offset_tEEE10hipError_tPvRmT1_PNSt15iterator_traitsISK_E10value_typeET2_T3_PNSL_ISQ_E10value_typeET4_jRbjT5_SW_jjP12ihipStream_tbEUlT_E_NS1_11comp_targetILNS1_3genE5ELNS1_11target_archE942ELNS1_3gpuE9ELNS1_3repE0EEENS1_30default_config_static_selectorELNS0_4arch9wavefront6targetE0EEEvSK_
    .private_segment_fixed_size: 0
    .sgpr_count:     0
    .sgpr_spill_count: 0
    .symbol:         _ZN7rocprim17ROCPRIM_400000_NS6detail17trampoline_kernelINS0_14default_configENS1_36segmented_radix_sort_config_selectorIblEEZNS1_25segmented_radix_sort_implIS3_Lb0EPKbPbPKlPlN2at6native12_GLOBAL__N_18offset_tEEE10hipError_tPvRmT1_PNSt15iterator_traitsISK_E10value_typeET2_T3_PNSL_ISQ_E10value_typeET4_jRbjT5_SW_jjP12ihipStream_tbEUlT_E_NS1_11comp_targetILNS1_3genE5ELNS1_11target_archE942ELNS1_3gpuE9ELNS1_3repE0EEENS1_30default_config_static_selectorELNS0_4arch9wavefront6targetE0EEEvSK_.kd
    .uniform_work_group_size: 1
    .uses_dynamic_stack: false
    .vgpr_count:     0
    .vgpr_spill_count: 0
    .wavefront_size: 32
  - .args:
      - .offset:         0
        .size:           96
        .value_kind:     by_value
    .group_segment_fixed_size: 0
    .kernarg_segment_align: 8
    .kernarg_segment_size: 96
    .language:       OpenCL C
    .language_version:
      - 2
      - 0
    .max_flat_workgroup_size: 256
    .name:           _ZN7rocprim17ROCPRIM_400000_NS6detail17trampoline_kernelINS0_14default_configENS1_36segmented_radix_sort_config_selectorIblEEZNS1_25segmented_radix_sort_implIS3_Lb0EPKbPbPKlPlN2at6native12_GLOBAL__N_18offset_tEEE10hipError_tPvRmT1_PNSt15iterator_traitsISK_E10value_typeET2_T3_PNSL_ISQ_E10value_typeET4_jRbjT5_SW_jjP12ihipStream_tbEUlT_E_NS1_11comp_targetILNS1_3genE4ELNS1_11target_archE910ELNS1_3gpuE8ELNS1_3repE0EEENS1_30default_config_static_selectorELNS0_4arch9wavefront6targetE0EEEvSK_
    .private_segment_fixed_size: 0
    .sgpr_count:     0
    .sgpr_spill_count: 0
    .symbol:         _ZN7rocprim17ROCPRIM_400000_NS6detail17trampoline_kernelINS0_14default_configENS1_36segmented_radix_sort_config_selectorIblEEZNS1_25segmented_radix_sort_implIS3_Lb0EPKbPbPKlPlN2at6native12_GLOBAL__N_18offset_tEEE10hipError_tPvRmT1_PNSt15iterator_traitsISK_E10value_typeET2_T3_PNSL_ISQ_E10value_typeET4_jRbjT5_SW_jjP12ihipStream_tbEUlT_E_NS1_11comp_targetILNS1_3genE4ELNS1_11target_archE910ELNS1_3gpuE8ELNS1_3repE0EEENS1_30default_config_static_selectorELNS0_4arch9wavefront6targetE0EEEvSK_.kd
    .uniform_work_group_size: 1
    .uses_dynamic_stack: false
    .vgpr_count:     0
    .vgpr_spill_count: 0
    .wavefront_size: 32
  - .args:
      - .offset:         0
        .size:           96
        .value_kind:     by_value
    .group_segment_fixed_size: 0
    .kernarg_segment_align: 8
    .kernarg_segment_size: 96
    .language:       OpenCL C
    .language_version:
      - 2
      - 0
    .max_flat_workgroup_size: 256
    .name:           _ZN7rocprim17ROCPRIM_400000_NS6detail17trampoline_kernelINS0_14default_configENS1_36segmented_radix_sort_config_selectorIblEEZNS1_25segmented_radix_sort_implIS3_Lb0EPKbPbPKlPlN2at6native12_GLOBAL__N_18offset_tEEE10hipError_tPvRmT1_PNSt15iterator_traitsISK_E10value_typeET2_T3_PNSL_ISQ_E10value_typeET4_jRbjT5_SW_jjP12ihipStream_tbEUlT_E_NS1_11comp_targetILNS1_3genE3ELNS1_11target_archE908ELNS1_3gpuE7ELNS1_3repE0EEENS1_30default_config_static_selectorELNS0_4arch9wavefront6targetE0EEEvSK_
    .private_segment_fixed_size: 0
    .sgpr_count:     0
    .sgpr_spill_count: 0
    .symbol:         _ZN7rocprim17ROCPRIM_400000_NS6detail17trampoline_kernelINS0_14default_configENS1_36segmented_radix_sort_config_selectorIblEEZNS1_25segmented_radix_sort_implIS3_Lb0EPKbPbPKlPlN2at6native12_GLOBAL__N_18offset_tEEE10hipError_tPvRmT1_PNSt15iterator_traitsISK_E10value_typeET2_T3_PNSL_ISQ_E10value_typeET4_jRbjT5_SW_jjP12ihipStream_tbEUlT_E_NS1_11comp_targetILNS1_3genE3ELNS1_11target_archE908ELNS1_3gpuE7ELNS1_3repE0EEENS1_30default_config_static_selectorELNS0_4arch9wavefront6targetE0EEEvSK_.kd
    .uniform_work_group_size: 1
    .uses_dynamic_stack: false
    .vgpr_count:     0
    .vgpr_spill_count: 0
    .wavefront_size: 32
  - .args:
      - .offset:         0
        .size:           96
        .value_kind:     by_value
    .group_segment_fixed_size: 0
    .kernarg_segment_align: 8
    .kernarg_segment_size: 96
    .language:       OpenCL C
    .language_version:
      - 2
      - 0
    .max_flat_workgroup_size: 256
    .name:           _ZN7rocprim17ROCPRIM_400000_NS6detail17trampoline_kernelINS0_14default_configENS1_36segmented_radix_sort_config_selectorIblEEZNS1_25segmented_radix_sort_implIS3_Lb0EPKbPbPKlPlN2at6native12_GLOBAL__N_18offset_tEEE10hipError_tPvRmT1_PNSt15iterator_traitsISK_E10value_typeET2_T3_PNSL_ISQ_E10value_typeET4_jRbjT5_SW_jjP12ihipStream_tbEUlT_E_NS1_11comp_targetILNS1_3genE2ELNS1_11target_archE906ELNS1_3gpuE6ELNS1_3repE0EEENS1_30default_config_static_selectorELNS0_4arch9wavefront6targetE0EEEvSK_
    .private_segment_fixed_size: 0
    .sgpr_count:     0
    .sgpr_spill_count: 0
    .symbol:         _ZN7rocprim17ROCPRIM_400000_NS6detail17trampoline_kernelINS0_14default_configENS1_36segmented_radix_sort_config_selectorIblEEZNS1_25segmented_radix_sort_implIS3_Lb0EPKbPbPKlPlN2at6native12_GLOBAL__N_18offset_tEEE10hipError_tPvRmT1_PNSt15iterator_traitsISK_E10value_typeET2_T3_PNSL_ISQ_E10value_typeET4_jRbjT5_SW_jjP12ihipStream_tbEUlT_E_NS1_11comp_targetILNS1_3genE2ELNS1_11target_archE906ELNS1_3gpuE6ELNS1_3repE0EEENS1_30default_config_static_selectorELNS0_4arch9wavefront6targetE0EEEvSK_.kd
    .uniform_work_group_size: 1
    .uses_dynamic_stack: false
    .vgpr_count:     0
    .vgpr_spill_count: 0
    .wavefront_size: 32
  - .args:
      - .offset:         0
        .size:           96
        .value_kind:     by_value
    .group_segment_fixed_size: 0
    .kernarg_segment_align: 8
    .kernarg_segment_size: 96
    .language:       OpenCL C
    .language_version:
      - 2
      - 0
    .max_flat_workgroup_size: 256
    .name:           _ZN7rocprim17ROCPRIM_400000_NS6detail17trampoline_kernelINS0_14default_configENS1_36segmented_radix_sort_config_selectorIblEEZNS1_25segmented_radix_sort_implIS3_Lb0EPKbPbPKlPlN2at6native12_GLOBAL__N_18offset_tEEE10hipError_tPvRmT1_PNSt15iterator_traitsISK_E10value_typeET2_T3_PNSL_ISQ_E10value_typeET4_jRbjT5_SW_jjP12ihipStream_tbEUlT_E_NS1_11comp_targetILNS1_3genE10ELNS1_11target_archE1201ELNS1_3gpuE5ELNS1_3repE0EEENS1_30default_config_static_selectorELNS0_4arch9wavefront6targetE0EEEvSK_
    .private_segment_fixed_size: 0
    .sgpr_count:     0
    .sgpr_spill_count: 0
    .symbol:         _ZN7rocprim17ROCPRIM_400000_NS6detail17trampoline_kernelINS0_14default_configENS1_36segmented_radix_sort_config_selectorIblEEZNS1_25segmented_radix_sort_implIS3_Lb0EPKbPbPKlPlN2at6native12_GLOBAL__N_18offset_tEEE10hipError_tPvRmT1_PNSt15iterator_traitsISK_E10value_typeET2_T3_PNSL_ISQ_E10value_typeET4_jRbjT5_SW_jjP12ihipStream_tbEUlT_E_NS1_11comp_targetILNS1_3genE10ELNS1_11target_archE1201ELNS1_3gpuE5ELNS1_3repE0EEENS1_30default_config_static_selectorELNS0_4arch9wavefront6targetE0EEEvSK_.kd
    .uniform_work_group_size: 1
    .uses_dynamic_stack: false
    .vgpr_count:     0
    .vgpr_spill_count: 0
    .wavefront_size: 32
  - .args:
      - .offset:         0
        .size:           96
        .value_kind:     by_value
    .group_segment_fixed_size: 0
    .kernarg_segment_align: 8
    .kernarg_segment_size: 96
    .language:       OpenCL C
    .language_version:
      - 2
      - 0
    .max_flat_workgroup_size: 128
    .name:           _ZN7rocprim17ROCPRIM_400000_NS6detail17trampoline_kernelINS0_14default_configENS1_36segmented_radix_sort_config_selectorIblEEZNS1_25segmented_radix_sort_implIS3_Lb0EPKbPbPKlPlN2at6native12_GLOBAL__N_18offset_tEEE10hipError_tPvRmT1_PNSt15iterator_traitsISK_E10value_typeET2_T3_PNSL_ISQ_E10value_typeET4_jRbjT5_SW_jjP12ihipStream_tbEUlT_E_NS1_11comp_targetILNS1_3genE10ELNS1_11target_archE1200ELNS1_3gpuE4ELNS1_3repE0EEENS1_30default_config_static_selectorELNS0_4arch9wavefront6targetE0EEEvSK_
    .private_segment_fixed_size: 0
    .sgpr_count:     0
    .sgpr_spill_count: 0
    .symbol:         _ZN7rocprim17ROCPRIM_400000_NS6detail17trampoline_kernelINS0_14default_configENS1_36segmented_radix_sort_config_selectorIblEEZNS1_25segmented_radix_sort_implIS3_Lb0EPKbPbPKlPlN2at6native12_GLOBAL__N_18offset_tEEE10hipError_tPvRmT1_PNSt15iterator_traitsISK_E10value_typeET2_T3_PNSL_ISQ_E10value_typeET4_jRbjT5_SW_jjP12ihipStream_tbEUlT_E_NS1_11comp_targetILNS1_3genE10ELNS1_11target_archE1200ELNS1_3gpuE4ELNS1_3repE0EEENS1_30default_config_static_selectorELNS0_4arch9wavefront6targetE0EEEvSK_.kd
    .uniform_work_group_size: 1
    .uses_dynamic_stack: false
    .vgpr_count:     0
    .vgpr_spill_count: 0
    .wavefront_size: 32
  - .args:
      - .offset:         0
        .size:           96
        .value_kind:     by_value
    .group_segment_fixed_size: 0
    .kernarg_segment_align: 8
    .kernarg_segment_size: 96
    .language:       OpenCL C
    .language_version:
      - 2
      - 0
    .max_flat_workgroup_size: 256
    .name:           _ZN7rocprim17ROCPRIM_400000_NS6detail17trampoline_kernelINS0_14default_configENS1_36segmented_radix_sort_config_selectorIblEEZNS1_25segmented_radix_sort_implIS3_Lb0EPKbPbPKlPlN2at6native12_GLOBAL__N_18offset_tEEE10hipError_tPvRmT1_PNSt15iterator_traitsISK_E10value_typeET2_T3_PNSL_ISQ_E10value_typeET4_jRbjT5_SW_jjP12ihipStream_tbEUlT_E_NS1_11comp_targetILNS1_3genE9ELNS1_11target_archE1100ELNS1_3gpuE3ELNS1_3repE0EEENS1_30default_config_static_selectorELNS0_4arch9wavefront6targetE0EEEvSK_
    .private_segment_fixed_size: 0
    .sgpr_count:     0
    .sgpr_spill_count: 0
    .symbol:         _ZN7rocprim17ROCPRIM_400000_NS6detail17trampoline_kernelINS0_14default_configENS1_36segmented_radix_sort_config_selectorIblEEZNS1_25segmented_radix_sort_implIS3_Lb0EPKbPbPKlPlN2at6native12_GLOBAL__N_18offset_tEEE10hipError_tPvRmT1_PNSt15iterator_traitsISK_E10value_typeET2_T3_PNSL_ISQ_E10value_typeET4_jRbjT5_SW_jjP12ihipStream_tbEUlT_E_NS1_11comp_targetILNS1_3genE9ELNS1_11target_archE1100ELNS1_3gpuE3ELNS1_3repE0EEENS1_30default_config_static_selectorELNS0_4arch9wavefront6targetE0EEEvSK_.kd
    .uniform_work_group_size: 1
    .uses_dynamic_stack: false
    .vgpr_count:     0
    .vgpr_spill_count: 0
    .wavefront_size: 32
  - .args:
      - .offset:         0
        .size:           96
        .value_kind:     by_value
    .group_segment_fixed_size: 0
    .kernarg_segment_align: 8
    .kernarg_segment_size: 96
    .language:       OpenCL C
    .language_version:
      - 2
      - 0
    .max_flat_workgroup_size: 256
    .name:           _ZN7rocprim17ROCPRIM_400000_NS6detail17trampoline_kernelINS0_14default_configENS1_36segmented_radix_sort_config_selectorIblEEZNS1_25segmented_radix_sort_implIS3_Lb0EPKbPbPKlPlN2at6native12_GLOBAL__N_18offset_tEEE10hipError_tPvRmT1_PNSt15iterator_traitsISK_E10value_typeET2_T3_PNSL_ISQ_E10value_typeET4_jRbjT5_SW_jjP12ihipStream_tbEUlT_E_NS1_11comp_targetILNS1_3genE8ELNS1_11target_archE1030ELNS1_3gpuE2ELNS1_3repE0EEENS1_30default_config_static_selectorELNS0_4arch9wavefront6targetE0EEEvSK_
    .private_segment_fixed_size: 0
    .sgpr_count:     0
    .sgpr_spill_count: 0
    .symbol:         _ZN7rocprim17ROCPRIM_400000_NS6detail17trampoline_kernelINS0_14default_configENS1_36segmented_radix_sort_config_selectorIblEEZNS1_25segmented_radix_sort_implIS3_Lb0EPKbPbPKlPlN2at6native12_GLOBAL__N_18offset_tEEE10hipError_tPvRmT1_PNSt15iterator_traitsISK_E10value_typeET2_T3_PNSL_ISQ_E10value_typeET4_jRbjT5_SW_jjP12ihipStream_tbEUlT_E_NS1_11comp_targetILNS1_3genE8ELNS1_11target_archE1030ELNS1_3gpuE2ELNS1_3repE0EEENS1_30default_config_static_selectorELNS0_4arch9wavefront6targetE0EEEvSK_.kd
    .uniform_work_group_size: 1
    .uses_dynamic_stack: false
    .vgpr_count:     0
    .vgpr_spill_count: 0
    .wavefront_size: 32
  - .args:
      - .offset:         0
        .size:           88
        .value_kind:     by_value
      - .offset:         88
        .size:           4
        .value_kind:     hidden_block_count_x
      - .offset:         92
        .size:           4
        .value_kind:     hidden_block_count_y
      - .offset:         96
        .size:           4
        .value_kind:     hidden_block_count_z
      - .offset:         100
        .size:           2
        .value_kind:     hidden_group_size_x
      - .offset:         102
        .size:           2
        .value_kind:     hidden_group_size_y
      - .offset:         104
        .size:           2
        .value_kind:     hidden_group_size_z
      - .offset:         106
        .size:           2
        .value_kind:     hidden_remainder_x
      - .offset:         108
        .size:           2
        .value_kind:     hidden_remainder_y
      - .offset:         110
        .size:           2
        .value_kind:     hidden_remainder_z
      - .offset:         128
        .size:           8
        .value_kind:     hidden_global_offset_x
      - .offset:         136
        .size:           8
        .value_kind:     hidden_global_offset_y
      - .offset:         144
        .size:           8
        .value_kind:     hidden_global_offset_z
      - .offset:         152
        .size:           2
        .value_kind:     hidden_grid_dims
      - .offset:         168
        .size:           8
        .value_kind:     hidden_hostcall_buffer
      - .offset:         176
        .size:           8
        .value_kind:     hidden_multigrid_sync_arg
      - .offset:         184
        .size:           8
        .value_kind:     hidden_heap_v1
      - .offset:         192
        .size:           8
        .value_kind:     hidden_default_queue
      - .offset:         200
        .size:           8
        .value_kind:     hidden_completion_action
      - .offset:         288
        .size:           8
        .value_kind:     hidden_queue_ptr
    .group_segment_fixed_size: 9216
    .kernarg_segment_align: 8
    .kernarg_segment_size: 344
    .language:       OpenCL C
    .language_version:
      - 2
      - 0
    .max_flat_workgroup_size: 256
    .name:           _ZN7rocprim17ROCPRIM_400000_NS6detail17trampoline_kernelINS0_14default_configENS1_36segmented_radix_sort_config_selectorIblEEZNS1_25segmented_radix_sort_implIS3_Lb0EPKbPbPKlPlN2at6native12_GLOBAL__N_18offset_tEEE10hipError_tPvRmT1_PNSt15iterator_traitsISK_E10value_typeET2_T3_PNSL_ISQ_E10value_typeET4_jRbjT5_SW_jjP12ihipStream_tbEUlT_E0_NS1_11comp_targetILNS1_3genE0ELNS1_11target_archE4294967295ELNS1_3gpuE0ELNS1_3repE0EEENS1_60segmented_radix_sort_warp_sort_medium_config_static_selectorELNS0_4arch9wavefront6targetE0EEEvSK_
    .private_segment_fixed_size: 12
    .sgpr_count:     42
    .sgpr_spill_count: 0
    .symbol:         _ZN7rocprim17ROCPRIM_400000_NS6detail17trampoline_kernelINS0_14default_configENS1_36segmented_radix_sort_config_selectorIblEEZNS1_25segmented_radix_sort_implIS3_Lb0EPKbPbPKlPlN2at6native12_GLOBAL__N_18offset_tEEE10hipError_tPvRmT1_PNSt15iterator_traitsISK_E10value_typeET2_T3_PNSL_ISQ_E10value_typeET4_jRbjT5_SW_jjP12ihipStream_tbEUlT_E0_NS1_11comp_targetILNS1_3genE0ELNS1_11target_archE4294967295ELNS1_3gpuE0ELNS1_3repE0EEENS1_60segmented_radix_sort_warp_sort_medium_config_static_selectorELNS0_4arch9wavefront6targetE0EEEvSK_.kd
    .uniform_work_group_size: 1
    .uses_dynamic_stack: false
    .vgpr_count:     56
    .vgpr_spill_count: 0
    .wavefront_size: 32
  - .args:
      - .offset:         0
        .size:           88
        .value_kind:     by_value
    .group_segment_fixed_size: 0
    .kernarg_segment_align: 8
    .kernarg_segment_size: 88
    .language:       OpenCL C
    .language_version:
      - 2
      - 0
    .max_flat_workgroup_size: 256
    .name:           _ZN7rocprim17ROCPRIM_400000_NS6detail17trampoline_kernelINS0_14default_configENS1_36segmented_radix_sort_config_selectorIblEEZNS1_25segmented_radix_sort_implIS3_Lb0EPKbPbPKlPlN2at6native12_GLOBAL__N_18offset_tEEE10hipError_tPvRmT1_PNSt15iterator_traitsISK_E10value_typeET2_T3_PNSL_ISQ_E10value_typeET4_jRbjT5_SW_jjP12ihipStream_tbEUlT_E0_NS1_11comp_targetILNS1_3genE5ELNS1_11target_archE942ELNS1_3gpuE9ELNS1_3repE0EEENS1_60segmented_radix_sort_warp_sort_medium_config_static_selectorELNS0_4arch9wavefront6targetE0EEEvSK_
    .private_segment_fixed_size: 0
    .sgpr_count:     0
    .sgpr_spill_count: 0
    .symbol:         _ZN7rocprim17ROCPRIM_400000_NS6detail17trampoline_kernelINS0_14default_configENS1_36segmented_radix_sort_config_selectorIblEEZNS1_25segmented_radix_sort_implIS3_Lb0EPKbPbPKlPlN2at6native12_GLOBAL__N_18offset_tEEE10hipError_tPvRmT1_PNSt15iterator_traitsISK_E10value_typeET2_T3_PNSL_ISQ_E10value_typeET4_jRbjT5_SW_jjP12ihipStream_tbEUlT_E0_NS1_11comp_targetILNS1_3genE5ELNS1_11target_archE942ELNS1_3gpuE9ELNS1_3repE0EEENS1_60segmented_radix_sort_warp_sort_medium_config_static_selectorELNS0_4arch9wavefront6targetE0EEEvSK_.kd
    .uniform_work_group_size: 1
    .uses_dynamic_stack: false
    .vgpr_count:     0
    .vgpr_spill_count: 0
    .wavefront_size: 32
  - .args:
      - .offset:         0
        .size:           88
        .value_kind:     by_value
    .group_segment_fixed_size: 0
    .kernarg_segment_align: 8
    .kernarg_segment_size: 88
    .language:       OpenCL C
    .language_version:
      - 2
      - 0
    .max_flat_workgroup_size: 256
    .name:           _ZN7rocprim17ROCPRIM_400000_NS6detail17trampoline_kernelINS0_14default_configENS1_36segmented_radix_sort_config_selectorIblEEZNS1_25segmented_radix_sort_implIS3_Lb0EPKbPbPKlPlN2at6native12_GLOBAL__N_18offset_tEEE10hipError_tPvRmT1_PNSt15iterator_traitsISK_E10value_typeET2_T3_PNSL_ISQ_E10value_typeET4_jRbjT5_SW_jjP12ihipStream_tbEUlT_E0_NS1_11comp_targetILNS1_3genE4ELNS1_11target_archE910ELNS1_3gpuE8ELNS1_3repE0EEENS1_60segmented_radix_sort_warp_sort_medium_config_static_selectorELNS0_4arch9wavefront6targetE0EEEvSK_
    .private_segment_fixed_size: 0
    .sgpr_count:     0
    .sgpr_spill_count: 0
    .symbol:         _ZN7rocprim17ROCPRIM_400000_NS6detail17trampoline_kernelINS0_14default_configENS1_36segmented_radix_sort_config_selectorIblEEZNS1_25segmented_radix_sort_implIS3_Lb0EPKbPbPKlPlN2at6native12_GLOBAL__N_18offset_tEEE10hipError_tPvRmT1_PNSt15iterator_traitsISK_E10value_typeET2_T3_PNSL_ISQ_E10value_typeET4_jRbjT5_SW_jjP12ihipStream_tbEUlT_E0_NS1_11comp_targetILNS1_3genE4ELNS1_11target_archE910ELNS1_3gpuE8ELNS1_3repE0EEENS1_60segmented_radix_sort_warp_sort_medium_config_static_selectorELNS0_4arch9wavefront6targetE0EEEvSK_.kd
    .uniform_work_group_size: 1
    .uses_dynamic_stack: false
    .vgpr_count:     0
    .vgpr_spill_count: 0
    .wavefront_size: 32
  - .args:
      - .offset:         0
        .size:           88
        .value_kind:     by_value
    .group_segment_fixed_size: 0
    .kernarg_segment_align: 8
    .kernarg_segment_size: 88
    .language:       OpenCL C
    .language_version:
      - 2
      - 0
    .max_flat_workgroup_size: 256
    .name:           _ZN7rocprim17ROCPRIM_400000_NS6detail17trampoline_kernelINS0_14default_configENS1_36segmented_radix_sort_config_selectorIblEEZNS1_25segmented_radix_sort_implIS3_Lb0EPKbPbPKlPlN2at6native12_GLOBAL__N_18offset_tEEE10hipError_tPvRmT1_PNSt15iterator_traitsISK_E10value_typeET2_T3_PNSL_ISQ_E10value_typeET4_jRbjT5_SW_jjP12ihipStream_tbEUlT_E0_NS1_11comp_targetILNS1_3genE3ELNS1_11target_archE908ELNS1_3gpuE7ELNS1_3repE0EEENS1_60segmented_radix_sort_warp_sort_medium_config_static_selectorELNS0_4arch9wavefront6targetE0EEEvSK_
    .private_segment_fixed_size: 0
    .sgpr_count:     0
    .sgpr_spill_count: 0
    .symbol:         _ZN7rocprim17ROCPRIM_400000_NS6detail17trampoline_kernelINS0_14default_configENS1_36segmented_radix_sort_config_selectorIblEEZNS1_25segmented_radix_sort_implIS3_Lb0EPKbPbPKlPlN2at6native12_GLOBAL__N_18offset_tEEE10hipError_tPvRmT1_PNSt15iterator_traitsISK_E10value_typeET2_T3_PNSL_ISQ_E10value_typeET4_jRbjT5_SW_jjP12ihipStream_tbEUlT_E0_NS1_11comp_targetILNS1_3genE3ELNS1_11target_archE908ELNS1_3gpuE7ELNS1_3repE0EEENS1_60segmented_radix_sort_warp_sort_medium_config_static_selectorELNS0_4arch9wavefront6targetE0EEEvSK_.kd
    .uniform_work_group_size: 1
    .uses_dynamic_stack: false
    .vgpr_count:     0
    .vgpr_spill_count: 0
    .wavefront_size: 32
  - .args:
      - .offset:         0
        .size:           88
        .value_kind:     by_value
    .group_segment_fixed_size: 0
    .kernarg_segment_align: 8
    .kernarg_segment_size: 88
    .language:       OpenCL C
    .language_version:
      - 2
      - 0
    .max_flat_workgroup_size: 256
    .name:           _ZN7rocprim17ROCPRIM_400000_NS6detail17trampoline_kernelINS0_14default_configENS1_36segmented_radix_sort_config_selectorIblEEZNS1_25segmented_radix_sort_implIS3_Lb0EPKbPbPKlPlN2at6native12_GLOBAL__N_18offset_tEEE10hipError_tPvRmT1_PNSt15iterator_traitsISK_E10value_typeET2_T3_PNSL_ISQ_E10value_typeET4_jRbjT5_SW_jjP12ihipStream_tbEUlT_E0_NS1_11comp_targetILNS1_3genE2ELNS1_11target_archE906ELNS1_3gpuE6ELNS1_3repE0EEENS1_60segmented_radix_sort_warp_sort_medium_config_static_selectorELNS0_4arch9wavefront6targetE0EEEvSK_
    .private_segment_fixed_size: 0
    .sgpr_count:     0
    .sgpr_spill_count: 0
    .symbol:         _ZN7rocprim17ROCPRIM_400000_NS6detail17trampoline_kernelINS0_14default_configENS1_36segmented_radix_sort_config_selectorIblEEZNS1_25segmented_radix_sort_implIS3_Lb0EPKbPbPKlPlN2at6native12_GLOBAL__N_18offset_tEEE10hipError_tPvRmT1_PNSt15iterator_traitsISK_E10value_typeET2_T3_PNSL_ISQ_E10value_typeET4_jRbjT5_SW_jjP12ihipStream_tbEUlT_E0_NS1_11comp_targetILNS1_3genE2ELNS1_11target_archE906ELNS1_3gpuE6ELNS1_3repE0EEENS1_60segmented_radix_sort_warp_sort_medium_config_static_selectorELNS0_4arch9wavefront6targetE0EEEvSK_.kd
    .uniform_work_group_size: 1
    .uses_dynamic_stack: false
    .vgpr_count:     0
    .vgpr_spill_count: 0
    .wavefront_size: 32
  - .args:
      - .offset:         0
        .size:           88
        .value_kind:     by_value
    .group_segment_fixed_size: 0
    .kernarg_segment_align: 8
    .kernarg_segment_size: 88
    .language:       OpenCL C
    .language_version:
      - 2
      - 0
    .max_flat_workgroup_size: 256
    .name:           _ZN7rocprim17ROCPRIM_400000_NS6detail17trampoline_kernelINS0_14default_configENS1_36segmented_radix_sort_config_selectorIblEEZNS1_25segmented_radix_sort_implIS3_Lb0EPKbPbPKlPlN2at6native12_GLOBAL__N_18offset_tEEE10hipError_tPvRmT1_PNSt15iterator_traitsISK_E10value_typeET2_T3_PNSL_ISQ_E10value_typeET4_jRbjT5_SW_jjP12ihipStream_tbEUlT_E0_NS1_11comp_targetILNS1_3genE10ELNS1_11target_archE1201ELNS1_3gpuE5ELNS1_3repE0EEENS1_60segmented_radix_sort_warp_sort_medium_config_static_selectorELNS0_4arch9wavefront6targetE0EEEvSK_
    .private_segment_fixed_size: 0
    .sgpr_count:     0
    .sgpr_spill_count: 0
    .symbol:         _ZN7rocprim17ROCPRIM_400000_NS6detail17trampoline_kernelINS0_14default_configENS1_36segmented_radix_sort_config_selectorIblEEZNS1_25segmented_radix_sort_implIS3_Lb0EPKbPbPKlPlN2at6native12_GLOBAL__N_18offset_tEEE10hipError_tPvRmT1_PNSt15iterator_traitsISK_E10value_typeET2_T3_PNSL_ISQ_E10value_typeET4_jRbjT5_SW_jjP12ihipStream_tbEUlT_E0_NS1_11comp_targetILNS1_3genE10ELNS1_11target_archE1201ELNS1_3gpuE5ELNS1_3repE0EEENS1_60segmented_radix_sort_warp_sort_medium_config_static_selectorELNS0_4arch9wavefront6targetE0EEEvSK_.kd
    .uniform_work_group_size: 1
    .uses_dynamic_stack: false
    .vgpr_count:     0
    .vgpr_spill_count: 0
    .wavefront_size: 32
  - .args:
      - .offset:         0
        .size:           88
        .value_kind:     by_value
    .group_segment_fixed_size: 0
    .kernarg_segment_align: 8
    .kernarg_segment_size: 88
    .language:       OpenCL C
    .language_version:
      - 2
      - 0
    .max_flat_workgroup_size: 256
    .name:           _ZN7rocprim17ROCPRIM_400000_NS6detail17trampoline_kernelINS0_14default_configENS1_36segmented_radix_sort_config_selectorIblEEZNS1_25segmented_radix_sort_implIS3_Lb0EPKbPbPKlPlN2at6native12_GLOBAL__N_18offset_tEEE10hipError_tPvRmT1_PNSt15iterator_traitsISK_E10value_typeET2_T3_PNSL_ISQ_E10value_typeET4_jRbjT5_SW_jjP12ihipStream_tbEUlT_E0_NS1_11comp_targetILNS1_3genE10ELNS1_11target_archE1200ELNS1_3gpuE4ELNS1_3repE0EEENS1_60segmented_radix_sort_warp_sort_medium_config_static_selectorELNS0_4arch9wavefront6targetE0EEEvSK_
    .private_segment_fixed_size: 0
    .sgpr_count:     0
    .sgpr_spill_count: 0
    .symbol:         _ZN7rocprim17ROCPRIM_400000_NS6detail17trampoline_kernelINS0_14default_configENS1_36segmented_radix_sort_config_selectorIblEEZNS1_25segmented_radix_sort_implIS3_Lb0EPKbPbPKlPlN2at6native12_GLOBAL__N_18offset_tEEE10hipError_tPvRmT1_PNSt15iterator_traitsISK_E10value_typeET2_T3_PNSL_ISQ_E10value_typeET4_jRbjT5_SW_jjP12ihipStream_tbEUlT_E0_NS1_11comp_targetILNS1_3genE10ELNS1_11target_archE1200ELNS1_3gpuE4ELNS1_3repE0EEENS1_60segmented_radix_sort_warp_sort_medium_config_static_selectorELNS0_4arch9wavefront6targetE0EEEvSK_.kd
    .uniform_work_group_size: 1
    .uses_dynamic_stack: false
    .vgpr_count:     0
    .vgpr_spill_count: 0
    .wavefront_size: 32
  - .args:
      - .offset:         0
        .size:           88
        .value_kind:     by_value
    .group_segment_fixed_size: 0
    .kernarg_segment_align: 8
    .kernarg_segment_size: 88
    .language:       OpenCL C
    .language_version:
      - 2
      - 0
    .max_flat_workgroup_size: 256
    .name:           _ZN7rocprim17ROCPRIM_400000_NS6detail17trampoline_kernelINS0_14default_configENS1_36segmented_radix_sort_config_selectorIblEEZNS1_25segmented_radix_sort_implIS3_Lb0EPKbPbPKlPlN2at6native12_GLOBAL__N_18offset_tEEE10hipError_tPvRmT1_PNSt15iterator_traitsISK_E10value_typeET2_T3_PNSL_ISQ_E10value_typeET4_jRbjT5_SW_jjP12ihipStream_tbEUlT_E0_NS1_11comp_targetILNS1_3genE9ELNS1_11target_archE1100ELNS1_3gpuE3ELNS1_3repE0EEENS1_60segmented_radix_sort_warp_sort_medium_config_static_selectorELNS0_4arch9wavefront6targetE0EEEvSK_
    .private_segment_fixed_size: 0
    .sgpr_count:     0
    .sgpr_spill_count: 0
    .symbol:         _ZN7rocprim17ROCPRIM_400000_NS6detail17trampoline_kernelINS0_14default_configENS1_36segmented_radix_sort_config_selectorIblEEZNS1_25segmented_radix_sort_implIS3_Lb0EPKbPbPKlPlN2at6native12_GLOBAL__N_18offset_tEEE10hipError_tPvRmT1_PNSt15iterator_traitsISK_E10value_typeET2_T3_PNSL_ISQ_E10value_typeET4_jRbjT5_SW_jjP12ihipStream_tbEUlT_E0_NS1_11comp_targetILNS1_3genE9ELNS1_11target_archE1100ELNS1_3gpuE3ELNS1_3repE0EEENS1_60segmented_radix_sort_warp_sort_medium_config_static_selectorELNS0_4arch9wavefront6targetE0EEEvSK_.kd
    .uniform_work_group_size: 1
    .uses_dynamic_stack: false
    .vgpr_count:     0
    .vgpr_spill_count: 0
    .wavefront_size: 32
  - .args:
      - .offset:         0
        .size:           88
        .value_kind:     by_value
    .group_segment_fixed_size: 0
    .kernarg_segment_align: 8
    .kernarg_segment_size: 88
    .language:       OpenCL C
    .language_version:
      - 2
      - 0
    .max_flat_workgroup_size: 256
    .name:           _ZN7rocprim17ROCPRIM_400000_NS6detail17trampoline_kernelINS0_14default_configENS1_36segmented_radix_sort_config_selectorIblEEZNS1_25segmented_radix_sort_implIS3_Lb0EPKbPbPKlPlN2at6native12_GLOBAL__N_18offset_tEEE10hipError_tPvRmT1_PNSt15iterator_traitsISK_E10value_typeET2_T3_PNSL_ISQ_E10value_typeET4_jRbjT5_SW_jjP12ihipStream_tbEUlT_E0_NS1_11comp_targetILNS1_3genE8ELNS1_11target_archE1030ELNS1_3gpuE2ELNS1_3repE0EEENS1_60segmented_radix_sort_warp_sort_medium_config_static_selectorELNS0_4arch9wavefront6targetE0EEEvSK_
    .private_segment_fixed_size: 0
    .sgpr_count:     0
    .sgpr_spill_count: 0
    .symbol:         _ZN7rocprim17ROCPRIM_400000_NS6detail17trampoline_kernelINS0_14default_configENS1_36segmented_radix_sort_config_selectorIblEEZNS1_25segmented_radix_sort_implIS3_Lb0EPKbPbPKlPlN2at6native12_GLOBAL__N_18offset_tEEE10hipError_tPvRmT1_PNSt15iterator_traitsISK_E10value_typeET2_T3_PNSL_ISQ_E10value_typeET4_jRbjT5_SW_jjP12ihipStream_tbEUlT_E0_NS1_11comp_targetILNS1_3genE8ELNS1_11target_archE1030ELNS1_3gpuE2ELNS1_3repE0EEENS1_60segmented_radix_sort_warp_sort_medium_config_static_selectorELNS0_4arch9wavefront6targetE0EEEvSK_.kd
    .uniform_work_group_size: 1
    .uses_dynamic_stack: false
    .vgpr_count:     0
    .vgpr_spill_count: 0
    .wavefront_size: 32
  - .args:
      - .offset:         0
        .size:           88
        .value_kind:     by_value
      - .offset:         88
        .size:           4
        .value_kind:     hidden_block_count_x
      - .offset:         92
        .size:           4
        .value_kind:     hidden_block_count_y
      - .offset:         96
        .size:           4
        .value_kind:     hidden_block_count_z
      - .offset:         100
        .size:           2
        .value_kind:     hidden_group_size_x
      - .offset:         102
        .size:           2
        .value_kind:     hidden_group_size_y
      - .offset:         104
        .size:           2
        .value_kind:     hidden_group_size_z
      - .offset:         106
        .size:           2
        .value_kind:     hidden_remainder_x
      - .offset:         108
        .size:           2
        .value_kind:     hidden_remainder_y
      - .offset:         110
        .size:           2
        .value_kind:     hidden_remainder_z
      - .offset:         128
        .size:           8
        .value_kind:     hidden_global_offset_x
      - .offset:         136
        .size:           8
        .value_kind:     hidden_global_offset_y
      - .offset:         144
        .size:           8
        .value_kind:     hidden_global_offset_z
      - .offset:         152
        .size:           2
        .value_kind:     hidden_grid_dims
      - .offset:         168
        .size:           8
        .value_kind:     hidden_hostcall_buffer
      - .offset:         176
        .size:           8
        .value_kind:     hidden_multigrid_sync_arg
      - .offset:         184
        .size:           8
        .value_kind:     hidden_heap_v1
      - .offset:         192
        .size:           8
        .value_kind:     hidden_default_queue
      - .offset:         200
        .size:           8
        .value_kind:     hidden_completion_action
      - .offset:         288
        .size:           8
        .value_kind:     hidden_queue_ptr
    .group_segment_fixed_size: 9216
    .kernarg_segment_align: 8
    .kernarg_segment_size: 344
    .language:       OpenCL C
    .language_version:
      - 2
      - 0
    .max_flat_workgroup_size: 256
    .name:           _ZN7rocprim17ROCPRIM_400000_NS6detail17trampoline_kernelINS0_14default_configENS1_36segmented_radix_sort_config_selectorIblEEZNS1_25segmented_radix_sort_implIS3_Lb0EPKbPbPKlPlN2at6native12_GLOBAL__N_18offset_tEEE10hipError_tPvRmT1_PNSt15iterator_traitsISK_E10value_typeET2_T3_PNSL_ISQ_E10value_typeET4_jRbjT5_SW_jjP12ihipStream_tbEUlT_E1_NS1_11comp_targetILNS1_3genE0ELNS1_11target_archE4294967295ELNS1_3gpuE0ELNS1_3repE0EEENS1_59segmented_radix_sort_warp_sort_small_config_static_selectorELNS0_4arch9wavefront6targetE0EEEvSK_
    .private_segment_fixed_size: 12
    .sgpr_count:     42
    .sgpr_spill_count: 0
    .symbol:         _ZN7rocprim17ROCPRIM_400000_NS6detail17trampoline_kernelINS0_14default_configENS1_36segmented_radix_sort_config_selectorIblEEZNS1_25segmented_radix_sort_implIS3_Lb0EPKbPbPKlPlN2at6native12_GLOBAL__N_18offset_tEEE10hipError_tPvRmT1_PNSt15iterator_traitsISK_E10value_typeET2_T3_PNSL_ISQ_E10value_typeET4_jRbjT5_SW_jjP12ihipStream_tbEUlT_E1_NS1_11comp_targetILNS1_3genE0ELNS1_11target_archE4294967295ELNS1_3gpuE0ELNS1_3repE0EEENS1_59segmented_radix_sort_warp_sort_small_config_static_selectorELNS0_4arch9wavefront6targetE0EEEvSK_.kd
    .uniform_work_group_size: 1
    .uses_dynamic_stack: false
    .vgpr_count:     56
    .vgpr_spill_count: 0
    .wavefront_size: 32
  - .args:
      - .offset:         0
        .size:           88
        .value_kind:     by_value
    .group_segment_fixed_size: 0
    .kernarg_segment_align: 8
    .kernarg_segment_size: 88
    .language:       OpenCL C
    .language_version:
      - 2
      - 0
    .max_flat_workgroup_size: 256
    .name:           _ZN7rocprim17ROCPRIM_400000_NS6detail17trampoline_kernelINS0_14default_configENS1_36segmented_radix_sort_config_selectorIblEEZNS1_25segmented_radix_sort_implIS3_Lb0EPKbPbPKlPlN2at6native12_GLOBAL__N_18offset_tEEE10hipError_tPvRmT1_PNSt15iterator_traitsISK_E10value_typeET2_T3_PNSL_ISQ_E10value_typeET4_jRbjT5_SW_jjP12ihipStream_tbEUlT_E1_NS1_11comp_targetILNS1_3genE5ELNS1_11target_archE942ELNS1_3gpuE9ELNS1_3repE0EEENS1_59segmented_radix_sort_warp_sort_small_config_static_selectorELNS0_4arch9wavefront6targetE0EEEvSK_
    .private_segment_fixed_size: 0
    .sgpr_count:     0
    .sgpr_spill_count: 0
    .symbol:         _ZN7rocprim17ROCPRIM_400000_NS6detail17trampoline_kernelINS0_14default_configENS1_36segmented_radix_sort_config_selectorIblEEZNS1_25segmented_radix_sort_implIS3_Lb0EPKbPbPKlPlN2at6native12_GLOBAL__N_18offset_tEEE10hipError_tPvRmT1_PNSt15iterator_traitsISK_E10value_typeET2_T3_PNSL_ISQ_E10value_typeET4_jRbjT5_SW_jjP12ihipStream_tbEUlT_E1_NS1_11comp_targetILNS1_3genE5ELNS1_11target_archE942ELNS1_3gpuE9ELNS1_3repE0EEENS1_59segmented_radix_sort_warp_sort_small_config_static_selectorELNS0_4arch9wavefront6targetE0EEEvSK_.kd
    .uniform_work_group_size: 1
    .uses_dynamic_stack: false
    .vgpr_count:     0
    .vgpr_spill_count: 0
    .wavefront_size: 32
  - .args:
      - .offset:         0
        .size:           88
        .value_kind:     by_value
    .group_segment_fixed_size: 0
    .kernarg_segment_align: 8
    .kernarg_segment_size: 88
    .language:       OpenCL C
    .language_version:
      - 2
      - 0
    .max_flat_workgroup_size: 256
    .name:           _ZN7rocprim17ROCPRIM_400000_NS6detail17trampoline_kernelINS0_14default_configENS1_36segmented_radix_sort_config_selectorIblEEZNS1_25segmented_radix_sort_implIS3_Lb0EPKbPbPKlPlN2at6native12_GLOBAL__N_18offset_tEEE10hipError_tPvRmT1_PNSt15iterator_traitsISK_E10value_typeET2_T3_PNSL_ISQ_E10value_typeET4_jRbjT5_SW_jjP12ihipStream_tbEUlT_E1_NS1_11comp_targetILNS1_3genE4ELNS1_11target_archE910ELNS1_3gpuE8ELNS1_3repE0EEENS1_59segmented_radix_sort_warp_sort_small_config_static_selectorELNS0_4arch9wavefront6targetE0EEEvSK_
    .private_segment_fixed_size: 0
    .sgpr_count:     0
    .sgpr_spill_count: 0
    .symbol:         _ZN7rocprim17ROCPRIM_400000_NS6detail17trampoline_kernelINS0_14default_configENS1_36segmented_radix_sort_config_selectorIblEEZNS1_25segmented_radix_sort_implIS3_Lb0EPKbPbPKlPlN2at6native12_GLOBAL__N_18offset_tEEE10hipError_tPvRmT1_PNSt15iterator_traitsISK_E10value_typeET2_T3_PNSL_ISQ_E10value_typeET4_jRbjT5_SW_jjP12ihipStream_tbEUlT_E1_NS1_11comp_targetILNS1_3genE4ELNS1_11target_archE910ELNS1_3gpuE8ELNS1_3repE0EEENS1_59segmented_radix_sort_warp_sort_small_config_static_selectorELNS0_4arch9wavefront6targetE0EEEvSK_.kd
    .uniform_work_group_size: 1
    .uses_dynamic_stack: false
    .vgpr_count:     0
    .vgpr_spill_count: 0
    .wavefront_size: 32
  - .args:
      - .offset:         0
        .size:           88
        .value_kind:     by_value
    .group_segment_fixed_size: 0
    .kernarg_segment_align: 8
    .kernarg_segment_size: 88
    .language:       OpenCL C
    .language_version:
      - 2
      - 0
    .max_flat_workgroup_size: 256
    .name:           _ZN7rocprim17ROCPRIM_400000_NS6detail17trampoline_kernelINS0_14default_configENS1_36segmented_radix_sort_config_selectorIblEEZNS1_25segmented_radix_sort_implIS3_Lb0EPKbPbPKlPlN2at6native12_GLOBAL__N_18offset_tEEE10hipError_tPvRmT1_PNSt15iterator_traitsISK_E10value_typeET2_T3_PNSL_ISQ_E10value_typeET4_jRbjT5_SW_jjP12ihipStream_tbEUlT_E1_NS1_11comp_targetILNS1_3genE3ELNS1_11target_archE908ELNS1_3gpuE7ELNS1_3repE0EEENS1_59segmented_radix_sort_warp_sort_small_config_static_selectorELNS0_4arch9wavefront6targetE0EEEvSK_
    .private_segment_fixed_size: 0
    .sgpr_count:     0
    .sgpr_spill_count: 0
    .symbol:         _ZN7rocprim17ROCPRIM_400000_NS6detail17trampoline_kernelINS0_14default_configENS1_36segmented_radix_sort_config_selectorIblEEZNS1_25segmented_radix_sort_implIS3_Lb0EPKbPbPKlPlN2at6native12_GLOBAL__N_18offset_tEEE10hipError_tPvRmT1_PNSt15iterator_traitsISK_E10value_typeET2_T3_PNSL_ISQ_E10value_typeET4_jRbjT5_SW_jjP12ihipStream_tbEUlT_E1_NS1_11comp_targetILNS1_3genE3ELNS1_11target_archE908ELNS1_3gpuE7ELNS1_3repE0EEENS1_59segmented_radix_sort_warp_sort_small_config_static_selectorELNS0_4arch9wavefront6targetE0EEEvSK_.kd
    .uniform_work_group_size: 1
    .uses_dynamic_stack: false
    .vgpr_count:     0
    .vgpr_spill_count: 0
    .wavefront_size: 32
  - .args:
      - .offset:         0
        .size:           88
        .value_kind:     by_value
    .group_segment_fixed_size: 0
    .kernarg_segment_align: 8
    .kernarg_segment_size: 88
    .language:       OpenCL C
    .language_version:
      - 2
      - 0
    .max_flat_workgroup_size: 256
    .name:           _ZN7rocprim17ROCPRIM_400000_NS6detail17trampoline_kernelINS0_14default_configENS1_36segmented_radix_sort_config_selectorIblEEZNS1_25segmented_radix_sort_implIS3_Lb0EPKbPbPKlPlN2at6native12_GLOBAL__N_18offset_tEEE10hipError_tPvRmT1_PNSt15iterator_traitsISK_E10value_typeET2_T3_PNSL_ISQ_E10value_typeET4_jRbjT5_SW_jjP12ihipStream_tbEUlT_E1_NS1_11comp_targetILNS1_3genE2ELNS1_11target_archE906ELNS1_3gpuE6ELNS1_3repE0EEENS1_59segmented_radix_sort_warp_sort_small_config_static_selectorELNS0_4arch9wavefront6targetE0EEEvSK_
    .private_segment_fixed_size: 0
    .sgpr_count:     0
    .sgpr_spill_count: 0
    .symbol:         _ZN7rocprim17ROCPRIM_400000_NS6detail17trampoline_kernelINS0_14default_configENS1_36segmented_radix_sort_config_selectorIblEEZNS1_25segmented_radix_sort_implIS3_Lb0EPKbPbPKlPlN2at6native12_GLOBAL__N_18offset_tEEE10hipError_tPvRmT1_PNSt15iterator_traitsISK_E10value_typeET2_T3_PNSL_ISQ_E10value_typeET4_jRbjT5_SW_jjP12ihipStream_tbEUlT_E1_NS1_11comp_targetILNS1_3genE2ELNS1_11target_archE906ELNS1_3gpuE6ELNS1_3repE0EEENS1_59segmented_radix_sort_warp_sort_small_config_static_selectorELNS0_4arch9wavefront6targetE0EEEvSK_.kd
    .uniform_work_group_size: 1
    .uses_dynamic_stack: false
    .vgpr_count:     0
    .vgpr_spill_count: 0
    .wavefront_size: 32
  - .args:
      - .offset:         0
        .size:           88
        .value_kind:     by_value
    .group_segment_fixed_size: 0
    .kernarg_segment_align: 8
    .kernarg_segment_size: 88
    .language:       OpenCL C
    .language_version:
      - 2
      - 0
    .max_flat_workgroup_size: 256
    .name:           _ZN7rocprim17ROCPRIM_400000_NS6detail17trampoline_kernelINS0_14default_configENS1_36segmented_radix_sort_config_selectorIblEEZNS1_25segmented_radix_sort_implIS3_Lb0EPKbPbPKlPlN2at6native12_GLOBAL__N_18offset_tEEE10hipError_tPvRmT1_PNSt15iterator_traitsISK_E10value_typeET2_T3_PNSL_ISQ_E10value_typeET4_jRbjT5_SW_jjP12ihipStream_tbEUlT_E1_NS1_11comp_targetILNS1_3genE10ELNS1_11target_archE1201ELNS1_3gpuE5ELNS1_3repE0EEENS1_59segmented_radix_sort_warp_sort_small_config_static_selectorELNS0_4arch9wavefront6targetE0EEEvSK_
    .private_segment_fixed_size: 0
    .sgpr_count:     0
    .sgpr_spill_count: 0
    .symbol:         _ZN7rocprim17ROCPRIM_400000_NS6detail17trampoline_kernelINS0_14default_configENS1_36segmented_radix_sort_config_selectorIblEEZNS1_25segmented_radix_sort_implIS3_Lb0EPKbPbPKlPlN2at6native12_GLOBAL__N_18offset_tEEE10hipError_tPvRmT1_PNSt15iterator_traitsISK_E10value_typeET2_T3_PNSL_ISQ_E10value_typeET4_jRbjT5_SW_jjP12ihipStream_tbEUlT_E1_NS1_11comp_targetILNS1_3genE10ELNS1_11target_archE1201ELNS1_3gpuE5ELNS1_3repE0EEENS1_59segmented_radix_sort_warp_sort_small_config_static_selectorELNS0_4arch9wavefront6targetE0EEEvSK_.kd
    .uniform_work_group_size: 1
    .uses_dynamic_stack: false
    .vgpr_count:     0
    .vgpr_spill_count: 0
    .wavefront_size: 32
  - .args:
      - .offset:         0
        .size:           88
        .value_kind:     by_value
    .group_segment_fixed_size: 0
    .kernarg_segment_align: 8
    .kernarg_segment_size: 88
    .language:       OpenCL C
    .language_version:
      - 2
      - 0
    .max_flat_workgroup_size: 256
    .name:           _ZN7rocprim17ROCPRIM_400000_NS6detail17trampoline_kernelINS0_14default_configENS1_36segmented_radix_sort_config_selectorIblEEZNS1_25segmented_radix_sort_implIS3_Lb0EPKbPbPKlPlN2at6native12_GLOBAL__N_18offset_tEEE10hipError_tPvRmT1_PNSt15iterator_traitsISK_E10value_typeET2_T3_PNSL_ISQ_E10value_typeET4_jRbjT5_SW_jjP12ihipStream_tbEUlT_E1_NS1_11comp_targetILNS1_3genE10ELNS1_11target_archE1200ELNS1_3gpuE4ELNS1_3repE0EEENS1_59segmented_radix_sort_warp_sort_small_config_static_selectorELNS0_4arch9wavefront6targetE0EEEvSK_
    .private_segment_fixed_size: 0
    .sgpr_count:     0
    .sgpr_spill_count: 0
    .symbol:         _ZN7rocprim17ROCPRIM_400000_NS6detail17trampoline_kernelINS0_14default_configENS1_36segmented_radix_sort_config_selectorIblEEZNS1_25segmented_radix_sort_implIS3_Lb0EPKbPbPKlPlN2at6native12_GLOBAL__N_18offset_tEEE10hipError_tPvRmT1_PNSt15iterator_traitsISK_E10value_typeET2_T3_PNSL_ISQ_E10value_typeET4_jRbjT5_SW_jjP12ihipStream_tbEUlT_E1_NS1_11comp_targetILNS1_3genE10ELNS1_11target_archE1200ELNS1_3gpuE4ELNS1_3repE0EEENS1_59segmented_radix_sort_warp_sort_small_config_static_selectorELNS0_4arch9wavefront6targetE0EEEvSK_.kd
    .uniform_work_group_size: 1
    .uses_dynamic_stack: false
    .vgpr_count:     0
    .vgpr_spill_count: 0
    .wavefront_size: 32
  - .args:
      - .offset:         0
        .size:           88
        .value_kind:     by_value
    .group_segment_fixed_size: 0
    .kernarg_segment_align: 8
    .kernarg_segment_size: 88
    .language:       OpenCL C
    .language_version:
      - 2
      - 0
    .max_flat_workgroup_size: 256
    .name:           _ZN7rocprim17ROCPRIM_400000_NS6detail17trampoline_kernelINS0_14default_configENS1_36segmented_radix_sort_config_selectorIblEEZNS1_25segmented_radix_sort_implIS3_Lb0EPKbPbPKlPlN2at6native12_GLOBAL__N_18offset_tEEE10hipError_tPvRmT1_PNSt15iterator_traitsISK_E10value_typeET2_T3_PNSL_ISQ_E10value_typeET4_jRbjT5_SW_jjP12ihipStream_tbEUlT_E1_NS1_11comp_targetILNS1_3genE9ELNS1_11target_archE1100ELNS1_3gpuE3ELNS1_3repE0EEENS1_59segmented_radix_sort_warp_sort_small_config_static_selectorELNS0_4arch9wavefront6targetE0EEEvSK_
    .private_segment_fixed_size: 0
    .sgpr_count:     0
    .sgpr_spill_count: 0
    .symbol:         _ZN7rocprim17ROCPRIM_400000_NS6detail17trampoline_kernelINS0_14default_configENS1_36segmented_radix_sort_config_selectorIblEEZNS1_25segmented_radix_sort_implIS3_Lb0EPKbPbPKlPlN2at6native12_GLOBAL__N_18offset_tEEE10hipError_tPvRmT1_PNSt15iterator_traitsISK_E10value_typeET2_T3_PNSL_ISQ_E10value_typeET4_jRbjT5_SW_jjP12ihipStream_tbEUlT_E1_NS1_11comp_targetILNS1_3genE9ELNS1_11target_archE1100ELNS1_3gpuE3ELNS1_3repE0EEENS1_59segmented_radix_sort_warp_sort_small_config_static_selectorELNS0_4arch9wavefront6targetE0EEEvSK_.kd
    .uniform_work_group_size: 1
    .uses_dynamic_stack: false
    .vgpr_count:     0
    .vgpr_spill_count: 0
    .wavefront_size: 32
  - .args:
      - .offset:         0
        .size:           88
        .value_kind:     by_value
    .group_segment_fixed_size: 0
    .kernarg_segment_align: 8
    .kernarg_segment_size: 88
    .language:       OpenCL C
    .language_version:
      - 2
      - 0
    .max_flat_workgroup_size: 256
    .name:           _ZN7rocprim17ROCPRIM_400000_NS6detail17trampoline_kernelINS0_14default_configENS1_36segmented_radix_sort_config_selectorIblEEZNS1_25segmented_radix_sort_implIS3_Lb0EPKbPbPKlPlN2at6native12_GLOBAL__N_18offset_tEEE10hipError_tPvRmT1_PNSt15iterator_traitsISK_E10value_typeET2_T3_PNSL_ISQ_E10value_typeET4_jRbjT5_SW_jjP12ihipStream_tbEUlT_E1_NS1_11comp_targetILNS1_3genE8ELNS1_11target_archE1030ELNS1_3gpuE2ELNS1_3repE0EEENS1_59segmented_radix_sort_warp_sort_small_config_static_selectorELNS0_4arch9wavefront6targetE0EEEvSK_
    .private_segment_fixed_size: 0
    .sgpr_count:     0
    .sgpr_spill_count: 0
    .symbol:         _ZN7rocprim17ROCPRIM_400000_NS6detail17trampoline_kernelINS0_14default_configENS1_36segmented_radix_sort_config_selectorIblEEZNS1_25segmented_radix_sort_implIS3_Lb0EPKbPbPKlPlN2at6native12_GLOBAL__N_18offset_tEEE10hipError_tPvRmT1_PNSt15iterator_traitsISK_E10value_typeET2_T3_PNSL_ISQ_E10value_typeET4_jRbjT5_SW_jjP12ihipStream_tbEUlT_E1_NS1_11comp_targetILNS1_3genE8ELNS1_11target_archE1030ELNS1_3gpuE2ELNS1_3repE0EEENS1_59segmented_radix_sort_warp_sort_small_config_static_selectorELNS0_4arch9wavefront6targetE0EEEvSK_.kd
    .uniform_work_group_size: 1
    .uses_dynamic_stack: false
    .vgpr_count:     0
    .vgpr_spill_count: 0
    .wavefront_size: 32
  - .args:
      - .offset:         0
        .size:           80
        .value_kind:     by_value
      - .offset:         80
        .size:           4
        .value_kind:     hidden_block_count_x
      - .offset:         84
        .size:           4
        .value_kind:     hidden_block_count_y
      - .offset:         88
        .size:           4
        .value_kind:     hidden_block_count_z
      - .offset:         92
        .size:           2
        .value_kind:     hidden_group_size_x
      - .offset:         94
        .size:           2
        .value_kind:     hidden_group_size_y
      - .offset:         96
        .size:           2
        .value_kind:     hidden_group_size_z
      - .offset:         98
        .size:           2
        .value_kind:     hidden_remainder_x
      - .offset:         100
        .size:           2
        .value_kind:     hidden_remainder_y
      - .offset:         102
        .size:           2
        .value_kind:     hidden_remainder_z
      - .offset:         120
        .size:           8
        .value_kind:     hidden_global_offset_x
      - .offset:         128
        .size:           8
        .value_kind:     hidden_global_offset_y
      - .offset:         136
        .size:           8
        .value_kind:     hidden_global_offset_z
      - .offset:         144
        .size:           2
        .value_kind:     hidden_grid_dims
      - .offset:         160
        .size:           8
        .value_kind:     hidden_hostcall_buffer
      - .offset:         168
        .size:           8
        .value_kind:     hidden_multigrid_sync_arg
      - .offset:         176
        .size:           8
        .value_kind:     hidden_heap_v1
      - .offset:         184
        .size:           8
        .value_kind:     hidden_default_queue
      - .offset:         192
        .size:           8
        .value_kind:     hidden_completion_action
      - .offset:         280
        .size:           8
        .value_kind:     hidden_queue_ptr
    .group_segment_fixed_size: 35344
    .kernarg_segment_align: 8
    .kernarg_segment_size: 336
    .language:       OpenCL C
    .language_version:
      - 2
      - 0
    .max_flat_workgroup_size: 256
    .name:           _ZN7rocprim17ROCPRIM_400000_NS6detail17trampoline_kernelINS0_14default_configENS1_36segmented_radix_sort_config_selectorIblEEZNS1_25segmented_radix_sort_implIS3_Lb0EPKbPbPKlPlN2at6native12_GLOBAL__N_18offset_tEEE10hipError_tPvRmT1_PNSt15iterator_traitsISK_E10value_typeET2_T3_PNSL_ISQ_E10value_typeET4_jRbjT5_SW_jjP12ihipStream_tbEUlT_E2_NS1_11comp_targetILNS1_3genE0ELNS1_11target_archE4294967295ELNS1_3gpuE0ELNS1_3repE0EEENS1_30default_config_static_selectorELNS0_4arch9wavefront6targetE0EEEvSK_
    .private_segment_fixed_size: 12
    .sgpr_count:     63
    .sgpr_spill_count: 0
    .symbol:         _ZN7rocprim17ROCPRIM_400000_NS6detail17trampoline_kernelINS0_14default_configENS1_36segmented_radix_sort_config_selectorIblEEZNS1_25segmented_radix_sort_implIS3_Lb0EPKbPbPKlPlN2at6native12_GLOBAL__N_18offset_tEEE10hipError_tPvRmT1_PNSt15iterator_traitsISK_E10value_typeET2_T3_PNSL_ISQ_E10value_typeET4_jRbjT5_SW_jjP12ihipStream_tbEUlT_E2_NS1_11comp_targetILNS1_3genE0ELNS1_11target_archE4294967295ELNS1_3gpuE0ELNS1_3repE0EEENS1_30default_config_static_selectorELNS0_4arch9wavefront6targetE0EEEvSK_.kd
    .uniform_work_group_size: 1
    .uses_dynamic_stack: false
    .vgpr_count:     319
    .vgpr_spill_count: 0
    .wavefront_size: 32
  - .args:
      - .offset:         0
        .size:           80
        .value_kind:     by_value
    .group_segment_fixed_size: 0
    .kernarg_segment_align: 8
    .kernarg_segment_size: 80
    .language:       OpenCL C
    .language_version:
      - 2
      - 0
    .max_flat_workgroup_size: 256
    .name:           _ZN7rocprim17ROCPRIM_400000_NS6detail17trampoline_kernelINS0_14default_configENS1_36segmented_radix_sort_config_selectorIblEEZNS1_25segmented_radix_sort_implIS3_Lb0EPKbPbPKlPlN2at6native12_GLOBAL__N_18offset_tEEE10hipError_tPvRmT1_PNSt15iterator_traitsISK_E10value_typeET2_T3_PNSL_ISQ_E10value_typeET4_jRbjT5_SW_jjP12ihipStream_tbEUlT_E2_NS1_11comp_targetILNS1_3genE5ELNS1_11target_archE942ELNS1_3gpuE9ELNS1_3repE0EEENS1_30default_config_static_selectorELNS0_4arch9wavefront6targetE0EEEvSK_
    .private_segment_fixed_size: 0
    .sgpr_count:     0
    .sgpr_spill_count: 0
    .symbol:         _ZN7rocprim17ROCPRIM_400000_NS6detail17trampoline_kernelINS0_14default_configENS1_36segmented_radix_sort_config_selectorIblEEZNS1_25segmented_radix_sort_implIS3_Lb0EPKbPbPKlPlN2at6native12_GLOBAL__N_18offset_tEEE10hipError_tPvRmT1_PNSt15iterator_traitsISK_E10value_typeET2_T3_PNSL_ISQ_E10value_typeET4_jRbjT5_SW_jjP12ihipStream_tbEUlT_E2_NS1_11comp_targetILNS1_3genE5ELNS1_11target_archE942ELNS1_3gpuE9ELNS1_3repE0EEENS1_30default_config_static_selectorELNS0_4arch9wavefront6targetE0EEEvSK_.kd
    .uniform_work_group_size: 1
    .uses_dynamic_stack: false
    .vgpr_count:     0
    .vgpr_spill_count: 0
    .wavefront_size: 32
  - .args:
      - .offset:         0
        .size:           80
        .value_kind:     by_value
    .group_segment_fixed_size: 0
    .kernarg_segment_align: 8
    .kernarg_segment_size: 80
    .language:       OpenCL C
    .language_version:
      - 2
      - 0
    .max_flat_workgroup_size: 256
    .name:           _ZN7rocprim17ROCPRIM_400000_NS6detail17trampoline_kernelINS0_14default_configENS1_36segmented_radix_sort_config_selectorIblEEZNS1_25segmented_radix_sort_implIS3_Lb0EPKbPbPKlPlN2at6native12_GLOBAL__N_18offset_tEEE10hipError_tPvRmT1_PNSt15iterator_traitsISK_E10value_typeET2_T3_PNSL_ISQ_E10value_typeET4_jRbjT5_SW_jjP12ihipStream_tbEUlT_E2_NS1_11comp_targetILNS1_3genE4ELNS1_11target_archE910ELNS1_3gpuE8ELNS1_3repE0EEENS1_30default_config_static_selectorELNS0_4arch9wavefront6targetE0EEEvSK_
    .private_segment_fixed_size: 0
    .sgpr_count:     0
    .sgpr_spill_count: 0
    .symbol:         _ZN7rocprim17ROCPRIM_400000_NS6detail17trampoline_kernelINS0_14default_configENS1_36segmented_radix_sort_config_selectorIblEEZNS1_25segmented_radix_sort_implIS3_Lb0EPKbPbPKlPlN2at6native12_GLOBAL__N_18offset_tEEE10hipError_tPvRmT1_PNSt15iterator_traitsISK_E10value_typeET2_T3_PNSL_ISQ_E10value_typeET4_jRbjT5_SW_jjP12ihipStream_tbEUlT_E2_NS1_11comp_targetILNS1_3genE4ELNS1_11target_archE910ELNS1_3gpuE8ELNS1_3repE0EEENS1_30default_config_static_selectorELNS0_4arch9wavefront6targetE0EEEvSK_.kd
    .uniform_work_group_size: 1
    .uses_dynamic_stack: false
    .vgpr_count:     0
    .vgpr_spill_count: 0
    .wavefront_size: 32
  - .args:
      - .offset:         0
        .size:           80
        .value_kind:     by_value
    .group_segment_fixed_size: 0
    .kernarg_segment_align: 8
    .kernarg_segment_size: 80
    .language:       OpenCL C
    .language_version:
      - 2
      - 0
    .max_flat_workgroup_size: 256
    .name:           _ZN7rocprim17ROCPRIM_400000_NS6detail17trampoline_kernelINS0_14default_configENS1_36segmented_radix_sort_config_selectorIblEEZNS1_25segmented_radix_sort_implIS3_Lb0EPKbPbPKlPlN2at6native12_GLOBAL__N_18offset_tEEE10hipError_tPvRmT1_PNSt15iterator_traitsISK_E10value_typeET2_T3_PNSL_ISQ_E10value_typeET4_jRbjT5_SW_jjP12ihipStream_tbEUlT_E2_NS1_11comp_targetILNS1_3genE3ELNS1_11target_archE908ELNS1_3gpuE7ELNS1_3repE0EEENS1_30default_config_static_selectorELNS0_4arch9wavefront6targetE0EEEvSK_
    .private_segment_fixed_size: 0
    .sgpr_count:     0
    .sgpr_spill_count: 0
    .symbol:         _ZN7rocprim17ROCPRIM_400000_NS6detail17trampoline_kernelINS0_14default_configENS1_36segmented_radix_sort_config_selectorIblEEZNS1_25segmented_radix_sort_implIS3_Lb0EPKbPbPKlPlN2at6native12_GLOBAL__N_18offset_tEEE10hipError_tPvRmT1_PNSt15iterator_traitsISK_E10value_typeET2_T3_PNSL_ISQ_E10value_typeET4_jRbjT5_SW_jjP12ihipStream_tbEUlT_E2_NS1_11comp_targetILNS1_3genE3ELNS1_11target_archE908ELNS1_3gpuE7ELNS1_3repE0EEENS1_30default_config_static_selectorELNS0_4arch9wavefront6targetE0EEEvSK_.kd
    .uniform_work_group_size: 1
    .uses_dynamic_stack: false
    .vgpr_count:     0
    .vgpr_spill_count: 0
    .wavefront_size: 32
  - .args:
      - .offset:         0
        .size:           80
        .value_kind:     by_value
    .group_segment_fixed_size: 0
    .kernarg_segment_align: 8
    .kernarg_segment_size: 80
    .language:       OpenCL C
    .language_version:
      - 2
      - 0
    .max_flat_workgroup_size: 256
    .name:           _ZN7rocprim17ROCPRIM_400000_NS6detail17trampoline_kernelINS0_14default_configENS1_36segmented_radix_sort_config_selectorIblEEZNS1_25segmented_radix_sort_implIS3_Lb0EPKbPbPKlPlN2at6native12_GLOBAL__N_18offset_tEEE10hipError_tPvRmT1_PNSt15iterator_traitsISK_E10value_typeET2_T3_PNSL_ISQ_E10value_typeET4_jRbjT5_SW_jjP12ihipStream_tbEUlT_E2_NS1_11comp_targetILNS1_3genE2ELNS1_11target_archE906ELNS1_3gpuE6ELNS1_3repE0EEENS1_30default_config_static_selectorELNS0_4arch9wavefront6targetE0EEEvSK_
    .private_segment_fixed_size: 0
    .sgpr_count:     0
    .sgpr_spill_count: 0
    .symbol:         _ZN7rocprim17ROCPRIM_400000_NS6detail17trampoline_kernelINS0_14default_configENS1_36segmented_radix_sort_config_selectorIblEEZNS1_25segmented_radix_sort_implIS3_Lb0EPKbPbPKlPlN2at6native12_GLOBAL__N_18offset_tEEE10hipError_tPvRmT1_PNSt15iterator_traitsISK_E10value_typeET2_T3_PNSL_ISQ_E10value_typeET4_jRbjT5_SW_jjP12ihipStream_tbEUlT_E2_NS1_11comp_targetILNS1_3genE2ELNS1_11target_archE906ELNS1_3gpuE6ELNS1_3repE0EEENS1_30default_config_static_selectorELNS0_4arch9wavefront6targetE0EEEvSK_.kd
    .uniform_work_group_size: 1
    .uses_dynamic_stack: false
    .vgpr_count:     0
    .vgpr_spill_count: 0
    .wavefront_size: 32
  - .args:
      - .offset:         0
        .size:           80
        .value_kind:     by_value
    .group_segment_fixed_size: 0
    .kernarg_segment_align: 8
    .kernarg_segment_size: 80
    .language:       OpenCL C
    .language_version:
      - 2
      - 0
    .max_flat_workgroup_size: 256
    .name:           _ZN7rocprim17ROCPRIM_400000_NS6detail17trampoline_kernelINS0_14default_configENS1_36segmented_radix_sort_config_selectorIblEEZNS1_25segmented_radix_sort_implIS3_Lb0EPKbPbPKlPlN2at6native12_GLOBAL__N_18offset_tEEE10hipError_tPvRmT1_PNSt15iterator_traitsISK_E10value_typeET2_T3_PNSL_ISQ_E10value_typeET4_jRbjT5_SW_jjP12ihipStream_tbEUlT_E2_NS1_11comp_targetILNS1_3genE10ELNS1_11target_archE1201ELNS1_3gpuE5ELNS1_3repE0EEENS1_30default_config_static_selectorELNS0_4arch9wavefront6targetE0EEEvSK_
    .private_segment_fixed_size: 0
    .sgpr_count:     0
    .sgpr_spill_count: 0
    .symbol:         _ZN7rocprim17ROCPRIM_400000_NS6detail17trampoline_kernelINS0_14default_configENS1_36segmented_radix_sort_config_selectorIblEEZNS1_25segmented_radix_sort_implIS3_Lb0EPKbPbPKlPlN2at6native12_GLOBAL__N_18offset_tEEE10hipError_tPvRmT1_PNSt15iterator_traitsISK_E10value_typeET2_T3_PNSL_ISQ_E10value_typeET4_jRbjT5_SW_jjP12ihipStream_tbEUlT_E2_NS1_11comp_targetILNS1_3genE10ELNS1_11target_archE1201ELNS1_3gpuE5ELNS1_3repE0EEENS1_30default_config_static_selectorELNS0_4arch9wavefront6targetE0EEEvSK_.kd
    .uniform_work_group_size: 1
    .uses_dynamic_stack: false
    .vgpr_count:     0
    .vgpr_spill_count: 0
    .wavefront_size: 32
  - .args:
      - .offset:         0
        .size:           80
        .value_kind:     by_value
    .group_segment_fixed_size: 0
    .kernarg_segment_align: 8
    .kernarg_segment_size: 80
    .language:       OpenCL C
    .language_version:
      - 2
      - 0
    .max_flat_workgroup_size: 128
    .name:           _ZN7rocprim17ROCPRIM_400000_NS6detail17trampoline_kernelINS0_14default_configENS1_36segmented_radix_sort_config_selectorIblEEZNS1_25segmented_radix_sort_implIS3_Lb0EPKbPbPKlPlN2at6native12_GLOBAL__N_18offset_tEEE10hipError_tPvRmT1_PNSt15iterator_traitsISK_E10value_typeET2_T3_PNSL_ISQ_E10value_typeET4_jRbjT5_SW_jjP12ihipStream_tbEUlT_E2_NS1_11comp_targetILNS1_3genE10ELNS1_11target_archE1200ELNS1_3gpuE4ELNS1_3repE0EEENS1_30default_config_static_selectorELNS0_4arch9wavefront6targetE0EEEvSK_
    .private_segment_fixed_size: 0
    .sgpr_count:     0
    .sgpr_spill_count: 0
    .symbol:         _ZN7rocprim17ROCPRIM_400000_NS6detail17trampoline_kernelINS0_14default_configENS1_36segmented_radix_sort_config_selectorIblEEZNS1_25segmented_radix_sort_implIS3_Lb0EPKbPbPKlPlN2at6native12_GLOBAL__N_18offset_tEEE10hipError_tPvRmT1_PNSt15iterator_traitsISK_E10value_typeET2_T3_PNSL_ISQ_E10value_typeET4_jRbjT5_SW_jjP12ihipStream_tbEUlT_E2_NS1_11comp_targetILNS1_3genE10ELNS1_11target_archE1200ELNS1_3gpuE4ELNS1_3repE0EEENS1_30default_config_static_selectorELNS0_4arch9wavefront6targetE0EEEvSK_.kd
    .uniform_work_group_size: 1
    .uses_dynamic_stack: false
    .vgpr_count:     0
    .vgpr_spill_count: 0
    .wavefront_size: 32
  - .args:
      - .offset:         0
        .size:           80
        .value_kind:     by_value
    .group_segment_fixed_size: 0
    .kernarg_segment_align: 8
    .kernarg_segment_size: 80
    .language:       OpenCL C
    .language_version:
      - 2
      - 0
    .max_flat_workgroup_size: 256
    .name:           _ZN7rocprim17ROCPRIM_400000_NS6detail17trampoline_kernelINS0_14default_configENS1_36segmented_radix_sort_config_selectorIblEEZNS1_25segmented_radix_sort_implIS3_Lb0EPKbPbPKlPlN2at6native12_GLOBAL__N_18offset_tEEE10hipError_tPvRmT1_PNSt15iterator_traitsISK_E10value_typeET2_T3_PNSL_ISQ_E10value_typeET4_jRbjT5_SW_jjP12ihipStream_tbEUlT_E2_NS1_11comp_targetILNS1_3genE9ELNS1_11target_archE1100ELNS1_3gpuE3ELNS1_3repE0EEENS1_30default_config_static_selectorELNS0_4arch9wavefront6targetE0EEEvSK_
    .private_segment_fixed_size: 0
    .sgpr_count:     0
    .sgpr_spill_count: 0
    .symbol:         _ZN7rocprim17ROCPRIM_400000_NS6detail17trampoline_kernelINS0_14default_configENS1_36segmented_radix_sort_config_selectorIblEEZNS1_25segmented_radix_sort_implIS3_Lb0EPKbPbPKlPlN2at6native12_GLOBAL__N_18offset_tEEE10hipError_tPvRmT1_PNSt15iterator_traitsISK_E10value_typeET2_T3_PNSL_ISQ_E10value_typeET4_jRbjT5_SW_jjP12ihipStream_tbEUlT_E2_NS1_11comp_targetILNS1_3genE9ELNS1_11target_archE1100ELNS1_3gpuE3ELNS1_3repE0EEENS1_30default_config_static_selectorELNS0_4arch9wavefront6targetE0EEEvSK_.kd
    .uniform_work_group_size: 1
    .uses_dynamic_stack: false
    .vgpr_count:     0
    .vgpr_spill_count: 0
    .wavefront_size: 32
  - .args:
      - .offset:         0
        .size:           80
        .value_kind:     by_value
    .group_segment_fixed_size: 0
    .kernarg_segment_align: 8
    .kernarg_segment_size: 80
    .language:       OpenCL C
    .language_version:
      - 2
      - 0
    .max_flat_workgroup_size: 256
    .name:           _ZN7rocprim17ROCPRIM_400000_NS6detail17trampoline_kernelINS0_14default_configENS1_36segmented_radix_sort_config_selectorIblEEZNS1_25segmented_radix_sort_implIS3_Lb0EPKbPbPKlPlN2at6native12_GLOBAL__N_18offset_tEEE10hipError_tPvRmT1_PNSt15iterator_traitsISK_E10value_typeET2_T3_PNSL_ISQ_E10value_typeET4_jRbjT5_SW_jjP12ihipStream_tbEUlT_E2_NS1_11comp_targetILNS1_3genE8ELNS1_11target_archE1030ELNS1_3gpuE2ELNS1_3repE0EEENS1_30default_config_static_selectorELNS0_4arch9wavefront6targetE0EEEvSK_
    .private_segment_fixed_size: 0
    .sgpr_count:     0
    .sgpr_spill_count: 0
    .symbol:         _ZN7rocprim17ROCPRIM_400000_NS6detail17trampoline_kernelINS0_14default_configENS1_36segmented_radix_sort_config_selectorIblEEZNS1_25segmented_radix_sort_implIS3_Lb0EPKbPbPKlPlN2at6native12_GLOBAL__N_18offset_tEEE10hipError_tPvRmT1_PNSt15iterator_traitsISK_E10value_typeET2_T3_PNSL_ISQ_E10value_typeET4_jRbjT5_SW_jjP12ihipStream_tbEUlT_E2_NS1_11comp_targetILNS1_3genE8ELNS1_11target_archE1030ELNS1_3gpuE2ELNS1_3repE0EEENS1_30default_config_static_selectorELNS0_4arch9wavefront6targetE0EEEvSK_.kd
    .uniform_work_group_size: 1
    .uses_dynamic_stack: false
    .vgpr_count:     0
    .vgpr_spill_count: 0
    .wavefront_size: 32
  - .args:
      - .address_space:  global
        .offset:         0
        .size:           8
        .value_kind:     global_buffer
      - .address_space:  global
        .offset:         8
        .size:           8
        .value_kind:     global_buffer
      - .address_space:  global
        .offset:         16
        .size:           8
        .value_kind:     global_buffer
      - .address_space:  global
        .offset:         24
        .size:           8
        .value_kind:     global_buffer
      - .offset:         32
        .size:           4
        .value_kind:     by_value
      - .offset:         36
        .size:           4
        .value_kind:     by_value
      - .offset:         40
        .size:           4
        .value_kind:     hidden_block_count_x
      - .offset:         44
        .size:           4
        .value_kind:     hidden_block_count_y
      - .offset:         48
        .size:           4
        .value_kind:     hidden_block_count_z
      - .offset:         52
        .size:           2
        .value_kind:     hidden_group_size_x
      - .offset:         54
        .size:           2
        .value_kind:     hidden_group_size_y
      - .offset:         56
        .size:           2
        .value_kind:     hidden_group_size_z
      - .offset:         58
        .size:           2
        .value_kind:     hidden_remainder_x
      - .offset:         60
        .size:           2
        .value_kind:     hidden_remainder_y
      - .offset:         62
        .size:           2
        .value_kind:     hidden_remainder_z
      - .offset:         80
        .size:           8
        .value_kind:     hidden_global_offset_x
      - .offset:         88
        .size:           8
        .value_kind:     hidden_global_offset_y
      - .offset:         96
        .size:           8
        .value_kind:     hidden_global_offset_z
      - .offset:         104
        .size:           2
        .value_kind:     hidden_grid_dims
    .group_segment_fixed_size: 0
    .kernarg_segment_align: 8
    .kernarg_segment_size: 296
    .language:       OpenCL C
    .language_version:
      - 2
      - 0
    .max_flat_workgroup_size: 1024
    .name:           _ZN2at6native12_GLOBAL__N_123sort_postprocess_kernelIN3c104HalfEEEvPKT_PS5_PlPK15HIP_vector_typeIiLj2EEii
    .private_segment_fixed_size: 0
    .sgpr_count:     24
    .sgpr_spill_count: 0
    .symbol:         _ZN2at6native12_GLOBAL__N_123sort_postprocess_kernelIN3c104HalfEEEvPKT_PS5_PlPK15HIP_vector_typeIiLj2EEii.kd
    .uniform_work_group_size: 1
    .uses_dynamic_stack: false
    .vgpr_count:     16
    .vgpr_spill_count: 0
    .wavefront_size: 32
  - .args:
      - .offset:         0
        .size:           176
        .value_kind:     by_value
    .group_segment_fixed_size: 13328
    .kernarg_segment_align: 8
    .kernarg_segment_size: 176
    .language:       OpenCL C
    .language_version:
      - 2
      - 0
    .max_flat_workgroup_size: 256
    .name:           _ZN7rocprim17ROCPRIM_400000_NS6detail17trampoline_kernelINS0_13select_configILj256ELj13ELNS0_17block_load_methodE3ELS4_3ELS4_3ELNS0_20block_scan_algorithmE0ELj4294967295EEENS1_25partition_config_selectorILNS1_17partition_subalgoE4EjNS0_10empty_typeEbEEZZNS1_14partition_implILS8_4ELb0ES6_15HIP_vector_typeIjLj2EENS0_17counting_iteratorIjlEEPS9_SG_NS0_5tupleIJPjSI_NS0_16reverse_iteratorISI_EEEEENSH_IJSG_SG_SG_EEES9_SI_JZNS1_25segmented_radix_sort_implINS0_14default_configELb1EPK6__halfPSP_PKlPlN2at6native12_GLOBAL__N_18offset_tEEE10hipError_tPvRmT1_PNSt15iterator_traitsIS13_E10value_typeET2_T3_PNS14_IS19_E10value_typeET4_jRbjT5_S1F_jjP12ihipStream_tbEUljE_ZNSN_ISO_Lb1ESR_SS_SU_SV_SZ_EES10_S11_S12_S13_S17_S18_S19_S1C_S1D_jS1E_jS1F_S1F_jjS1H_bEUljE0_EEES10_S11_S12_S19_S1D_S1F_T6_T7_T9_mT8_S1H_bDpT10_ENKUlT_T0_E_clISt17integral_constantIbLb0EES1V_EEDaS1Q_S1R_EUlS1Q_E_NS1_11comp_targetILNS1_3genE0ELNS1_11target_archE4294967295ELNS1_3gpuE0ELNS1_3repE0EEENS1_30default_config_static_selectorELNS0_4arch9wavefront6targetE0EEEvS13_
    .private_segment_fixed_size: 0
    .sgpr_count:     61
    .sgpr_spill_count: 0
    .symbol:         _ZN7rocprim17ROCPRIM_400000_NS6detail17trampoline_kernelINS0_13select_configILj256ELj13ELNS0_17block_load_methodE3ELS4_3ELS4_3ELNS0_20block_scan_algorithmE0ELj4294967295EEENS1_25partition_config_selectorILNS1_17partition_subalgoE4EjNS0_10empty_typeEbEEZZNS1_14partition_implILS8_4ELb0ES6_15HIP_vector_typeIjLj2EENS0_17counting_iteratorIjlEEPS9_SG_NS0_5tupleIJPjSI_NS0_16reverse_iteratorISI_EEEEENSH_IJSG_SG_SG_EEES9_SI_JZNS1_25segmented_radix_sort_implINS0_14default_configELb1EPK6__halfPSP_PKlPlN2at6native12_GLOBAL__N_18offset_tEEE10hipError_tPvRmT1_PNSt15iterator_traitsIS13_E10value_typeET2_T3_PNS14_IS19_E10value_typeET4_jRbjT5_S1F_jjP12ihipStream_tbEUljE_ZNSN_ISO_Lb1ESR_SS_SU_SV_SZ_EES10_S11_S12_S13_S17_S18_S19_S1C_S1D_jS1E_jS1F_S1F_jjS1H_bEUljE0_EEES10_S11_S12_S19_S1D_S1F_T6_T7_T9_mT8_S1H_bDpT10_ENKUlT_T0_E_clISt17integral_constantIbLb0EES1V_EEDaS1Q_S1R_EUlS1Q_E_NS1_11comp_targetILNS1_3genE0ELNS1_11target_archE4294967295ELNS1_3gpuE0ELNS1_3repE0EEENS1_30default_config_static_selectorELNS0_4arch9wavefront6targetE0EEEvS13_.kd
    .uniform_work_group_size: 1
    .uses_dynamic_stack: false
    .vgpr_count:     81
    .vgpr_spill_count: 0
    .wavefront_size: 32
  - .args:
      - .offset:         0
        .size:           176
        .value_kind:     by_value
    .group_segment_fixed_size: 0
    .kernarg_segment_align: 8
    .kernarg_segment_size: 176
    .language:       OpenCL C
    .language_version:
      - 2
      - 0
    .max_flat_workgroup_size: 256
    .name:           _ZN7rocprim17ROCPRIM_400000_NS6detail17trampoline_kernelINS0_13select_configILj256ELj13ELNS0_17block_load_methodE3ELS4_3ELS4_3ELNS0_20block_scan_algorithmE0ELj4294967295EEENS1_25partition_config_selectorILNS1_17partition_subalgoE4EjNS0_10empty_typeEbEEZZNS1_14partition_implILS8_4ELb0ES6_15HIP_vector_typeIjLj2EENS0_17counting_iteratorIjlEEPS9_SG_NS0_5tupleIJPjSI_NS0_16reverse_iteratorISI_EEEEENSH_IJSG_SG_SG_EEES9_SI_JZNS1_25segmented_radix_sort_implINS0_14default_configELb1EPK6__halfPSP_PKlPlN2at6native12_GLOBAL__N_18offset_tEEE10hipError_tPvRmT1_PNSt15iterator_traitsIS13_E10value_typeET2_T3_PNS14_IS19_E10value_typeET4_jRbjT5_S1F_jjP12ihipStream_tbEUljE_ZNSN_ISO_Lb1ESR_SS_SU_SV_SZ_EES10_S11_S12_S13_S17_S18_S19_S1C_S1D_jS1E_jS1F_S1F_jjS1H_bEUljE0_EEES10_S11_S12_S19_S1D_S1F_T6_T7_T9_mT8_S1H_bDpT10_ENKUlT_T0_E_clISt17integral_constantIbLb0EES1V_EEDaS1Q_S1R_EUlS1Q_E_NS1_11comp_targetILNS1_3genE5ELNS1_11target_archE942ELNS1_3gpuE9ELNS1_3repE0EEENS1_30default_config_static_selectorELNS0_4arch9wavefront6targetE0EEEvS13_
    .private_segment_fixed_size: 0
    .sgpr_count:     0
    .sgpr_spill_count: 0
    .symbol:         _ZN7rocprim17ROCPRIM_400000_NS6detail17trampoline_kernelINS0_13select_configILj256ELj13ELNS0_17block_load_methodE3ELS4_3ELS4_3ELNS0_20block_scan_algorithmE0ELj4294967295EEENS1_25partition_config_selectorILNS1_17partition_subalgoE4EjNS0_10empty_typeEbEEZZNS1_14partition_implILS8_4ELb0ES6_15HIP_vector_typeIjLj2EENS0_17counting_iteratorIjlEEPS9_SG_NS0_5tupleIJPjSI_NS0_16reverse_iteratorISI_EEEEENSH_IJSG_SG_SG_EEES9_SI_JZNS1_25segmented_radix_sort_implINS0_14default_configELb1EPK6__halfPSP_PKlPlN2at6native12_GLOBAL__N_18offset_tEEE10hipError_tPvRmT1_PNSt15iterator_traitsIS13_E10value_typeET2_T3_PNS14_IS19_E10value_typeET4_jRbjT5_S1F_jjP12ihipStream_tbEUljE_ZNSN_ISO_Lb1ESR_SS_SU_SV_SZ_EES10_S11_S12_S13_S17_S18_S19_S1C_S1D_jS1E_jS1F_S1F_jjS1H_bEUljE0_EEES10_S11_S12_S19_S1D_S1F_T6_T7_T9_mT8_S1H_bDpT10_ENKUlT_T0_E_clISt17integral_constantIbLb0EES1V_EEDaS1Q_S1R_EUlS1Q_E_NS1_11comp_targetILNS1_3genE5ELNS1_11target_archE942ELNS1_3gpuE9ELNS1_3repE0EEENS1_30default_config_static_selectorELNS0_4arch9wavefront6targetE0EEEvS13_.kd
    .uniform_work_group_size: 1
    .uses_dynamic_stack: false
    .vgpr_count:     0
    .vgpr_spill_count: 0
    .wavefront_size: 32
  - .args:
      - .offset:         0
        .size:           176
        .value_kind:     by_value
    .group_segment_fixed_size: 0
    .kernarg_segment_align: 8
    .kernarg_segment_size: 176
    .language:       OpenCL C
    .language_version:
      - 2
      - 0
    .max_flat_workgroup_size: 256
    .name:           _ZN7rocprim17ROCPRIM_400000_NS6detail17trampoline_kernelINS0_13select_configILj256ELj13ELNS0_17block_load_methodE3ELS4_3ELS4_3ELNS0_20block_scan_algorithmE0ELj4294967295EEENS1_25partition_config_selectorILNS1_17partition_subalgoE4EjNS0_10empty_typeEbEEZZNS1_14partition_implILS8_4ELb0ES6_15HIP_vector_typeIjLj2EENS0_17counting_iteratorIjlEEPS9_SG_NS0_5tupleIJPjSI_NS0_16reverse_iteratorISI_EEEEENSH_IJSG_SG_SG_EEES9_SI_JZNS1_25segmented_radix_sort_implINS0_14default_configELb1EPK6__halfPSP_PKlPlN2at6native12_GLOBAL__N_18offset_tEEE10hipError_tPvRmT1_PNSt15iterator_traitsIS13_E10value_typeET2_T3_PNS14_IS19_E10value_typeET4_jRbjT5_S1F_jjP12ihipStream_tbEUljE_ZNSN_ISO_Lb1ESR_SS_SU_SV_SZ_EES10_S11_S12_S13_S17_S18_S19_S1C_S1D_jS1E_jS1F_S1F_jjS1H_bEUljE0_EEES10_S11_S12_S19_S1D_S1F_T6_T7_T9_mT8_S1H_bDpT10_ENKUlT_T0_E_clISt17integral_constantIbLb0EES1V_EEDaS1Q_S1R_EUlS1Q_E_NS1_11comp_targetILNS1_3genE4ELNS1_11target_archE910ELNS1_3gpuE8ELNS1_3repE0EEENS1_30default_config_static_selectorELNS0_4arch9wavefront6targetE0EEEvS13_
    .private_segment_fixed_size: 0
    .sgpr_count:     0
    .sgpr_spill_count: 0
    .symbol:         _ZN7rocprim17ROCPRIM_400000_NS6detail17trampoline_kernelINS0_13select_configILj256ELj13ELNS0_17block_load_methodE3ELS4_3ELS4_3ELNS0_20block_scan_algorithmE0ELj4294967295EEENS1_25partition_config_selectorILNS1_17partition_subalgoE4EjNS0_10empty_typeEbEEZZNS1_14partition_implILS8_4ELb0ES6_15HIP_vector_typeIjLj2EENS0_17counting_iteratorIjlEEPS9_SG_NS0_5tupleIJPjSI_NS0_16reverse_iteratorISI_EEEEENSH_IJSG_SG_SG_EEES9_SI_JZNS1_25segmented_radix_sort_implINS0_14default_configELb1EPK6__halfPSP_PKlPlN2at6native12_GLOBAL__N_18offset_tEEE10hipError_tPvRmT1_PNSt15iterator_traitsIS13_E10value_typeET2_T3_PNS14_IS19_E10value_typeET4_jRbjT5_S1F_jjP12ihipStream_tbEUljE_ZNSN_ISO_Lb1ESR_SS_SU_SV_SZ_EES10_S11_S12_S13_S17_S18_S19_S1C_S1D_jS1E_jS1F_S1F_jjS1H_bEUljE0_EEES10_S11_S12_S19_S1D_S1F_T6_T7_T9_mT8_S1H_bDpT10_ENKUlT_T0_E_clISt17integral_constantIbLb0EES1V_EEDaS1Q_S1R_EUlS1Q_E_NS1_11comp_targetILNS1_3genE4ELNS1_11target_archE910ELNS1_3gpuE8ELNS1_3repE0EEENS1_30default_config_static_selectorELNS0_4arch9wavefront6targetE0EEEvS13_.kd
    .uniform_work_group_size: 1
    .uses_dynamic_stack: false
    .vgpr_count:     0
    .vgpr_spill_count: 0
    .wavefront_size: 32
  - .args:
      - .offset:         0
        .size:           176
        .value_kind:     by_value
    .group_segment_fixed_size: 0
    .kernarg_segment_align: 8
    .kernarg_segment_size: 176
    .language:       OpenCL C
    .language_version:
      - 2
      - 0
    .max_flat_workgroup_size: 256
    .name:           _ZN7rocprim17ROCPRIM_400000_NS6detail17trampoline_kernelINS0_13select_configILj256ELj13ELNS0_17block_load_methodE3ELS4_3ELS4_3ELNS0_20block_scan_algorithmE0ELj4294967295EEENS1_25partition_config_selectorILNS1_17partition_subalgoE4EjNS0_10empty_typeEbEEZZNS1_14partition_implILS8_4ELb0ES6_15HIP_vector_typeIjLj2EENS0_17counting_iteratorIjlEEPS9_SG_NS0_5tupleIJPjSI_NS0_16reverse_iteratorISI_EEEEENSH_IJSG_SG_SG_EEES9_SI_JZNS1_25segmented_radix_sort_implINS0_14default_configELb1EPK6__halfPSP_PKlPlN2at6native12_GLOBAL__N_18offset_tEEE10hipError_tPvRmT1_PNSt15iterator_traitsIS13_E10value_typeET2_T3_PNS14_IS19_E10value_typeET4_jRbjT5_S1F_jjP12ihipStream_tbEUljE_ZNSN_ISO_Lb1ESR_SS_SU_SV_SZ_EES10_S11_S12_S13_S17_S18_S19_S1C_S1D_jS1E_jS1F_S1F_jjS1H_bEUljE0_EEES10_S11_S12_S19_S1D_S1F_T6_T7_T9_mT8_S1H_bDpT10_ENKUlT_T0_E_clISt17integral_constantIbLb0EES1V_EEDaS1Q_S1R_EUlS1Q_E_NS1_11comp_targetILNS1_3genE3ELNS1_11target_archE908ELNS1_3gpuE7ELNS1_3repE0EEENS1_30default_config_static_selectorELNS0_4arch9wavefront6targetE0EEEvS13_
    .private_segment_fixed_size: 0
    .sgpr_count:     0
    .sgpr_spill_count: 0
    .symbol:         _ZN7rocprim17ROCPRIM_400000_NS6detail17trampoline_kernelINS0_13select_configILj256ELj13ELNS0_17block_load_methodE3ELS4_3ELS4_3ELNS0_20block_scan_algorithmE0ELj4294967295EEENS1_25partition_config_selectorILNS1_17partition_subalgoE4EjNS0_10empty_typeEbEEZZNS1_14partition_implILS8_4ELb0ES6_15HIP_vector_typeIjLj2EENS0_17counting_iteratorIjlEEPS9_SG_NS0_5tupleIJPjSI_NS0_16reverse_iteratorISI_EEEEENSH_IJSG_SG_SG_EEES9_SI_JZNS1_25segmented_radix_sort_implINS0_14default_configELb1EPK6__halfPSP_PKlPlN2at6native12_GLOBAL__N_18offset_tEEE10hipError_tPvRmT1_PNSt15iterator_traitsIS13_E10value_typeET2_T3_PNS14_IS19_E10value_typeET4_jRbjT5_S1F_jjP12ihipStream_tbEUljE_ZNSN_ISO_Lb1ESR_SS_SU_SV_SZ_EES10_S11_S12_S13_S17_S18_S19_S1C_S1D_jS1E_jS1F_S1F_jjS1H_bEUljE0_EEES10_S11_S12_S19_S1D_S1F_T6_T7_T9_mT8_S1H_bDpT10_ENKUlT_T0_E_clISt17integral_constantIbLb0EES1V_EEDaS1Q_S1R_EUlS1Q_E_NS1_11comp_targetILNS1_3genE3ELNS1_11target_archE908ELNS1_3gpuE7ELNS1_3repE0EEENS1_30default_config_static_selectorELNS0_4arch9wavefront6targetE0EEEvS13_.kd
    .uniform_work_group_size: 1
    .uses_dynamic_stack: false
    .vgpr_count:     0
    .vgpr_spill_count: 0
    .wavefront_size: 32
  - .args:
      - .offset:         0
        .size:           176
        .value_kind:     by_value
    .group_segment_fixed_size: 0
    .kernarg_segment_align: 8
    .kernarg_segment_size: 176
    .language:       OpenCL C
    .language_version:
      - 2
      - 0
    .max_flat_workgroup_size: 256
    .name:           _ZN7rocprim17ROCPRIM_400000_NS6detail17trampoline_kernelINS0_13select_configILj256ELj13ELNS0_17block_load_methodE3ELS4_3ELS4_3ELNS0_20block_scan_algorithmE0ELj4294967295EEENS1_25partition_config_selectorILNS1_17partition_subalgoE4EjNS0_10empty_typeEbEEZZNS1_14partition_implILS8_4ELb0ES6_15HIP_vector_typeIjLj2EENS0_17counting_iteratorIjlEEPS9_SG_NS0_5tupleIJPjSI_NS0_16reverse_iteratorISI_EEEEENSH_IJSG_SG_SG_EEES9_SI_JZNS1_25segmented_radix_sort_implINS0_14default_configELb1EPK6__halfPSP_PKlPlN2at6native12_GLOBAL__N_18offset_tEEE10hipError_tPvRmT1_PNSt15iterator_traitsIS13_E10value_typeET2_T3_PNS14_IS19_E10value_typeET4_jRbjT5_S1F_jjP12ihipStream_tbEUljE_ZNSN_ISO_Lb1ESR_SS_SU_SV_SZ_EES10_S11_S12_S13_S17_S18_S19_S1C_S1D_jS1E_jS1F_S1F_jjS1H_bEUljE0_EEES10_S11_S12_S19_S1D_S1F_T6_T7_T9_mT8_S1H_bDpT10_ENKUlT_T0_E_clISt17integral_constantIbLb0EES1V_EEDaS1Q_S1R_EUlS1Q_E_NS1_11comp_targetILNS1_3genE2ELNS1_11target_archE906ELNS1_3gpuE6ELNS1_3repE0EEENS1_30default_config_static_selectorELNS0_4arch9wavefront6targetE0EEEvS13_
    .private_segment_fixed_size: 0
    .sgpr_count:     0
    .sgpr_spill_count: 0
    .symbol:         _ZN7rocprim17ROCPRIM_400000_NS6detail17trampoline_kernelINS0_13select_configILj256ELj13ELNS0_17block_load_methodE3ELS4_3ELS4_3ELNS0_20block_scan_algorithmE0ELj4294967295EEENS1_25partition_config_selectorILNS1_17partition_subalgoE4EjNS0_10empty_typeEbEEZZNS1_14partition_implILS8_4ELb0ES6_15HIP_vector_typeIjLj2EENS0_17counting_iteratorIjlEEPS9_SG_NS0_5tupleIJPjSI_NS0_16reverse_iteratorISI_EEEEENSH_IJSG_SG_SG_EEES9_SI_JZNS1_25segmented_radix_sort_implINS0_14default_configELb1EPK6__halfPSP_PKlPlN2at6native12_GLOBAL__N_18offset_tEEE10hipError_tPvRmT1_PNSt15iterator_traitsIS13_E10value_typeET2_T3_PNS14_IS19_E10value_typeET4_jRbjT5_S1F_jjP12ihipStream_tbEUljE_ZNSN_ISO_Lb1ESR_SS_SU_SV_SZ_EES10_S11_S12_S13_S17_S18_S19_S1C_S1D_jS1E_jS1F_S1F_jjS1H_bEUljE0_EEES10_S11_S12_S19_S1D_S1F_T6_T7_T9_mT8_S1H_bDpT10_ENKUlT_T0_E_clISt17integral_constantIbLb0EES1V_EEDaS1Q_S1R_EUlS1Q_E_NS1_11comp_targetILNS1_3genE2ELNS1_11target_archE906ELNS1_3gpuE6ELNS1_3repE0EEENS1_30default_config_static_selectorELNS0_4arch9wavefront6targetE0EEEvS13_.kd
    .uniform_work_group_size: 1
    .uses_dynamic_stack: false
    .vgpr_count:     0
    .vgpr_spill_count: 0
    .wavefront_size: 32
  - .args:
      - .offset:         0
        .size:           176
        .value_kind:     by_value
    .group_segment_fixed_size: 0
    .kernarg_segment_align: 8
    .kernarg_segment_size: 176
    .language:       OpenCL C
    .language_version:
      - 2
      - 0
    .max_flat_workgroup_size: 256
    .name:           _ZN7rocprim17ROCPRIM_400000_NS6detail17trampoline_kernelINS0_13select_configILj256ELj13ELNS0_17block_load_methodE3ELS4_3ELS4_3ELNS0_20block_scan_algorithmE0ELj4294967295EEENS1_25partition_config_selectorILNS1_17partition_subalgoE4EjNS0_10empty_typeEbEEZZNS1_14partition_implILS8_4ELb0ES6_15HIP_vector_typeIjLj2EENS0_17counting_iteratorIjlEEPS9_SG_NS0_5tupleIJPjSI_NS0_16reverse_iteratorISI_EEEEENSH_IJSG_SG_SG_EEES9_SI_JZNS1_25segmented_radix_sort_implINS0_14default_configELb1EPK6__halfPSP_PKlPlN2at6native12_GLOBAL__N_18offset_tEEE10hipError_tPvRmT1_PNSt15iterator_traitsIS13_E10value_typeET2_T3_PNS14_IS19_E10value_typeET4_jRbjT5_S1F_jjP12ihipStream_tbEUljE_ZNSN_ISO_Lb1ESR_SS_SU_SV_SZ_EES10_S11_S12_S13_S17_S18_S19_S1C_S1D_jS1E_jS1F_S1F_jjS1H_bEUljE0_EEES10_S11_S12_S19_S1D_S1F_T6_T7_T9_mT8_S1H_bDpT10_ENKUlT_T0_E_clISt17integral_constantIbLb0EES1V_EEDaS1Q_S1R_EUlS1Q_E_NS1_11comp_targetILNS1_3genE10ELNS1_11target_archE1200ELNS1_3gpuE4ELNS1_3repE0EEENS1_30default_config_static_selectorELNS0_4arch9wavefront6targetE0EEEvS13_
    .private_segment_fixed_size: 0
    .sgpr_count:     0
    .sgpr_spill_count: 0
    .symbol:         _ZN7rocprim17ROCPRIM_400000_NS6detail17trampoline_kernelINS0_13select_configILj256ELj13ELNS0_17block_load_methodE3ELS4_3ELS4_3ELNS0_20block_scan_algorithmE0ELj4294967295EEENS1_25partition_config_selectorILNS1_17partition_subalgoE4EjNS0_10empty_typeEbEEZZNS1_14partition_implILS8_4ELb0ES6_15HIP_vector_typeIjLj2EENS0_17counting_iteratorIjlEEPS9_SG_NS0_5tupleIJPjSI_NS0_16reverse_iteratorISI_EEEEENSH_IJSG_SG_SG_EEES9_SI_JZNS1_25segmented_radix_sort_implINS0_14default_configELb1EPK6__halfPSP_PKlPlN2at6native12_GLOBAL__N_18offset_tEEE10hipError_tPvRmT1_PNSt15iterator_traitsIS13_E10value_typeET2_T3_PNS14_IS19_E10value_typeET4_jRbjT5_S1F_jjP12ihipStream_tbEUljE_ZNSN_ISO_Lb1ESR_SS_SU_SV_SZ_EES10_S11_S12_S13_S17_S18_S19_S1C_S1D_jS1E_jS1F_S1F_jjS1H_bEUljE0_EEES10_S11_S12_S19_S1D_S1F_T6_T7_T9_mT8_S1H_bDpT10_ENKUlT_T0_E_clISt17integral_constantIbLb0EES1V_EEDaS1Q_S1R_EUlS1Q_E_NS1_11comp_targetILNS1_3genE10ELNS1_11target_archE1200ELNS1_3gpuE4ELNS1_3repE0EEENS1_30default_config_static_selectorELNS0_4arch9wavefront6targetE0EEEvS13_.kd
    .uniform_work_group_size: 1
    .uses_dynamic_stack: false
    .vgpr_count:     0
    .vgpr_spill_count: 0
    .wavefront_size: 32
  - .args:
      - .offset:         0
        .size:           176
        .value_kind:     by_value
    .group_segment_fixed_size: 0
    .kernarg_segment_align: 8
    .kernarg_segment_size: 176
    .language:       OpenCL C
    .language_version:
      - 2
      - 0
    .max_flat_workgroup_size: 256
    .name:           _ZN7rocprim17ROCPRIM_400000_NS6detail17trampoline_kernelINS0_13select_configILj256ELj13ELNS0_17block_load_methodE3ELS4_3ELS4_3ELNS0_20block_scan_algorithmE0ELj4294967295EEENS1_25partition_config_selectorILNS1_17partition_subalgoE4EjNS0_10empty_typeEbEEZZNS1_14partition_implILS8_4ELb0ES6_15HIP_vector_typeIjLj2EENS0_17counting_iteratorIjlEEPS9_SG_NS0_5tupleIJPjSI_NS0_16reverse_iteratorISI_EEEEENSH_IJSG_SG_SG_EEES9_SI_JZNS1_25segmented_radix_sort_implINS0_14default_configELb1EPK6__halfPSP_PKlPlN2at6native12_GLOBAL__N_18offset_tEEE10hipError_tPvRmT1_PNSt15iterator_traitsIS13_E10value_typeET2_T3_PNS14_IS19_E10value_typeET4_jRbjT5_S1F_jjP12ihipStream_tbEUljE_ZNSN_ISO_Lb1ESR_SS_SU_SV_SZ_EES10_S11_S12_S13_S17_S18_S19_S1C_S1D_jS1E_jS1F_S1F_jjS1H_bEUljE0_EEES10_S11_S12_S19_S1D_S1F_T6_T7_T9_mT8_S1H_bDpT10_ENKUlT_T0_E_clISt17integral_constantIbLb0EES1V_EEDaS1Q_S1R_EUlS1Q_E_NS1_11comp_targetILNS1_3genE9ELNS1_11target_archE1100ELNS1_3gpuE3ELNS1_3repE0EEENS1_30default_config_static_selectorELNS0_4arch9wavefront6targetE0EEEvS13_
    .private_segment_fixed_size: 0
    .sgpr_count:     0
    .sgpr_spill_count: 0
    .symbol:         _ZN7rocprim17ROCPRIM_400000_NS6detail17trampoline_kernelINS0_13select_configILj256ELj13ELNS0_17block_load_methodE3ELS4_3ELS4_3ELNS0_20block_scan_algorithmE0ELj4294967295EEENS1_25partition_config_selectorILNS1_17partition_subalgoE4EjNS0_10empty_typeEbEEZZNS1_14partition_implILS8_4ELb0ES6_15HIP_vector_typeIjLj2EENS0_17counting_iteratorIjlEEPS9_SG_NS0_5tupleIJPjSI_NS0_16reverse_iteratorISI_EEEEENSH_IJSG_SG_SG_EEES9_SI_JZNS1_25segmented_radix_sort_implINS0_14default_configELb1EPK6__halfPSP_PKlPlN2at6native12_GLOBAL__N_18offset_tEEE10hipError_tPvRmT1_PNSt15iterator_traitsIS13_E10value_typeET2_T3_PNS14_IS19_E10value_typeET4_jRbjT5_S1F_jjP12ihipStream_tbEUljE_ZNSN_ISO_Lb1ESR_SS_SU_SV_SZ_EES10_S11_S12_S13_S17_S18_S19_S1C_S1D_jS1E_jS1F_S1F_jjS1H_bEUljE0_EEES10_S11_S12_S19_S1D_S1F_T6_T7_T9_mT8_S1H_bDpT10_ENKUlT_T0_E_clISt17integral_constantIbLb0EES1V_EEDaS1Q_S1R_EUlS1Q_E_NS1_11comp_targetILNS1_3genE9ELNS1_11target_archE1100ELNS1_3gpuE3ELNS1_3repE0EEENS1_30default_config_static_selectorELNS0_4arch9wavefront6targetE0EEEvS13_.kd
    .uniform_work_group_size: 1
    .uses_dynamic_stack: false
    .vgpr_count:     0
    .vgpr_spill_count: 0
    .wavefront_size: 32
  - .args:
      - .offset:         0
        .size:           176
        .value_kind:     by_value
    .group_segment_fixed_size: 0
    .kernarg_segment_align: 8
    .kernarg_segment_size: 176
    .language:       OpenCL C
    .language_version:
      - 2
      - 0
    .max_flat_workgroup_size: 256
    .name:           _ZN7rocprim17ROCPRIM_400000_NS6detail17trampoline_kernelINS0_13select_configILj256ELj13ELNS0_17block_load_methodE3ELS4_3ELS4_3ELNS0_20block_scan_algorithmE0ELj4294967295EEENS1_25partition_config_selectorILNS1_17partition_subalgoE4EjNS0_10empty_typeEbEEZZNS1_14partition_implILS8_4ELb0ES6_15HIP_vector_typeIjLj2EENS0_17counting_iteratorIjlEEPS9_SG_NS0_5tupleIJPjSI_NS0_16reverse_iteratorISI_EEEEENSH_IJSG_SG_SG_EEES9_SI_JZNS1_25segmented_radix_sort_implINS0_14default_configELb1EPK6__halfPSP_PKlPlN2at6native12_GLOBAL__N_18offset_tEEE10hipError_tPvRmT1_PNSt15iterator_traitsIS13_E10value_typeET2_T3_PNS14_IS19_E10value_typeET4_jRbjT5_S1F_jjP12ihipStream_tbEUljE_ZNSN_ISO_Lb1ESR_SS_SU_SV_SZ_EES10_S11_S12_S13_S17_S18_S19_S1C_S1D_jS1E_jS1F_S1F_jjS1H_bEUljE0_EEES10_S11_S12_S19_S1D_S1F_T6_T7_T9_mT8_S1H_bDpT10_ENKUlT_T0_E_clISt17integral_constantIbLb0EES1V_EEDaS1Q_S1R_EUlS1Q_E_NS1_11comp_targetILNS1_3genE8ELNS1_11target_archE1030ELNS1_3gpuE2ELNS1_3repE0EEENS1_30default_config_static_selectorELNS0_4arch9wavefront6targetE0EEEvS13_
    .private_segment_fixed_size: 0
    .sgpr_count:     0
    .sgpr_spill_count: 0
    .symbol:         _ZN7rocprim17ROCPRIM_400000_NS6detail17trampoline_kernelINS0_13select_configILj256ELj13ELNS0_17block_load_methodE3ELS4_3ELS4_3ELNS0_20block_scan_algorithmE0ELj4294967295EEENS1_25partition_config_selectorILNS1_17partition_subalgoE4EjNS0_10empty_typeEbEEZZNS1_14partition_implILS8_4ELb0ES6_15HIP_vector_typeIjLj2EENS0_17counting_iteratorIjlEEPS9_SG_NS0_5tupleIJPjSI_NS0_16reverse_iteratorISI_EEEEENSH_IJSG_SG_SG_EEES9_SI_JZNS1_25segmented_radix_sort_implINS0_14default_configELb1EPK6__halfPSP_PKlPlN2at6native12_GLOBAL__N_18offset_tEEE10hipError_tPvRmT1_PNSt15iterator_traitsIS13_E10value_typeET2_T3_PNS14_IS19_E10value_typeET4_jRbjT5_S1F_jjP12ihipStream_tbEUljE_ZNSN_ISO_Lb1ESR_SS_SU_SV_SZ_EES10_S11_S12_S13_S17_S18_S19_S1C_S1D_jS1E_jS1F_S1F_jjS1H_bEUljE0_EEES10_S11_S12_S19_S1D_S1F_T6_T7_T9_mT8_S1H_bDpT10_ENKUlT_T0_E_clISt17integral_constantIbLb0EES1V_EEDaS1Q_S1R_EUlS1Q_E_NS1_11comp_targetILNS1_3genE8ELNS1_11target_archE1030ELNS1_3gpuE2ELNS1_3repE0EEENS1_30default_config_static_selectorELNS0_4arch9wavefront6targetE0EEEvS13_.kd
    .uniform_work_group_size: 1
    .uses_dynamic_stack: false
    .vgpr_count:     0
    .vgpr_spill_count: 0
    .wavefront_size: 32
  - .args:
      - .offset:         0
        .size:           184
        .value_kind:     by_value
    .group_segment_fixed_size: 0
    .kernarg_segment_align: 8
    .kernarg_segment_size: 184
    .language:       OpenCL C
    .language_version:
      - 2
      - 0
    .max_flat_workgroup_size: 256
    .name:           _ZN7rocprim17ROCPRIM_400000_NS6detail17trampoline_kernelINS0_13select_configILj256ELj13ELNS0_17block_load_methodE3ELS4_3ELS4_3ELNS0_20block_scan_algorithmE0ELj4294967295EEENS1_25partition_config_selectorILNS1_17partition_subalgoE4EjNS0_10empty_typeEbEEZZNS1_14partition_implILS8_4ELb0ES6_15HIP_vector_typeIjLj2EENS0_17counting_iteratorIjlEEPS9_SG_NS0_5tupleIJPjSI_NS0_16reverse_iteratorISI_EEEEENSH_IJSG_SG_SG_EEES9_SI_JZNS1_25segmented_radix_sort_implINS0_14default_configELb1EPK6__halfPSP_PKlPlN2at6native12_GLOBAL__N_18offset_tEEE10hipError_tPvRmT1_PNSt15iterator_traitsIS13_E10value_typeET2_T3_PNS14_IS19_E10value_typeET4_jRbjT5_S1F_jjP12ihipStream_tbEUljE_ZNSN_ISO_Lb1ESR_SS_SU_SV_SZ_EES10_S11_S12_S13_S17_S18_S19_S1C_S1D_jS1E_jS1F_S1F_jjS1H_bEUljE0_EEES10_S11_S12_S19_S1D_S1F_T6_T7_T9_mT8_S1H_bDpT10_ENKUlT_T0_E_clISt17integral_constantIbLb1EES1V_EEDaS1Q_S1R_EUlS1Q_E_NS1_11comp_targetILNS1_3genE0ELNS1_11target_archE4294967295ELNS1_3gpuE0ELNS1_3repE0EEENS1_30default_config_static_selectorELNS0_4arch9wavefront6targetE0EEEvS13_
    .private_segment_fixed_size: 0
    .sgpr_count:     0
    .sgpr_spill_count: 0
    .symbol:         _ZN7rocprim17ROCPRIM_400000_NS6detail17trampoline_kernelINS0_13select_configILj256ELj13ELNS0_17block_load_methodE3ELS4_3ELS4_3ELNS0_20block_scan_algorithmE0ELj4294967295EEENS1_25partition_config_selectorILNS1_17partition_subalgoE4EjNS0_10empty_typeEbEEZZNS1_14partition_implILS8_4ELb0ES6_15HIP_vector_typeIjLj2EENS0_17counting_iteratorIjlEEPS9_SG_NS0_5tupleIJPjSI_NS0_16reverse_iteratorISI_EEEEENSH_IJSG_SG_SG_EEES9_SI_JZNS1_25segmented_radix_sort_implINS0_14default_configELb1EPK6__halfPSP_PKlPlN2at6native12_GLOBAL__N_18offset_tEEE10hipError_tPvRmT1_PNSt15iterator_traitsIS13_E10value_typeET2_T3_PNS14_IS19_E10value_typeET4_jRbjT5_S1F_jjP12ihipStream_tbEUljE_ZNSN_ISO_Lb1ESR_SS_SU_SV_SZ_EES10_S11_S12_S13_S17_S18_S19_S1C_S1D_jS1E_jS1F_S1F_jjS1H_bEUljE0_EEES10_S11_S12_S19_S1D_S1F_T6_T7_T9_mT8_S1H_bDpT10_ENKUlT_T0_E_clISt17integral_constantIbLb1EES1V_EEDaS1Q_S1R_EUlS1Q_E_NS1_11comp_targetILNS1_3genE0ELNS1_11target_archE4294967295ELNS1_3gpuE0ELNS1_3repE0EEENS1_30default_config_static_selectorELNS0_4arch9wavefront6targetE0EEEvS13_.kd
    .uniform_work_group_size: 1
    .uses_dynamic_stack: false
    .vgpr_count:     0
    .vgpr_spill_count: 0
    .wavefront_size: 32
  - .args:
      - .offset:         0
        .size:           184
        .value_kind:     by_value
    .group_segment_fixed_size: 0
    .kernarg_segment_align: 8
    .kernarg_segment_size: 184
    .language:       OpenCL C
    .language_version:
      - 2
      - 0
    .max_flat_workgroup_size: 256
    .name:           _ZN7rocprim17ROCPRIM_400000_NS6detail17trampoline_kernelINS0_13select_configILj256ELj13ELNS0_17block_load_methodE3ELS4_3ELS4_3ELNS0_20block_scan_algorithmE0ELj4294967295EEENS1_25partition_config_selectorILNS1_17partition_subalgoE4EjNS0_10empty_typeEbEEZZNS1_14partition_implILS8_4ELb0ES6_15HIP_vector_typeIjLj2EENS0_17counting_iteratorIjlEEPS9_SG_NS0_5tupleIJPjSI_NS0_16reverse_iteratorISI_EEEEENSH_IJSG_SG_SG_EEES9_SI_JZNS1_25segmented_radix_sort_implINS0_14default_configELb1EPK6__halfPSP_PKlPlN2at6native12_GLOBAL__N_18offset_tEEE10hipError_tPvRmT1_PNSt15iterator_traitsIS13_E10value_typeET2_T3_PNS14_IS19_E10value_typeET4_jRbjT5_S1F_jjP12ihipStream_tbEUljE_ZNSN_ISO_Lb1ESR_SS_SU_SV_SZ_EES10_S11_S12_S13_S17_S18_S19_S1C_S1D_jS1E_jS1F_S1F_jjS1H_bEUljE0_EEES10_S11_S12_S19_S1D_S1F_T6_T7_T9_mT8_S1H_bDpT10_ENKUlT_T0_E_clISt17integral_constantIbLb1EES1V_EEDaS1Q_S1R_EUlS1Q_E_NS1_11comp_targetILNS1_3genE5ELNS1_11target_archE942ELNS1_3gpuE9ELNS1_3repE0EEENS1_30default_config_static_selectorELNS0_4arch9wavefront6targetE0EEEvS13_
    .private_segment_fixed_size: 0
    .sgpr_count:     0
    .sgpr_spill_count: 0
    .symbol:         _ZN7rocprim17ROCPRIM_400000_NS6detail17trampoline_kernelINS0_13select_configILj256ELj13ELNS0_17block_load_methodE3ELS4_3ELS4_3ELNS0_20block_scan_algorithmE0ELj4294967295EEENS1_25partition_config_selectorILNS1_17partition_subalgoE4EjNS0_10empty_typeEbEEZZNS1_14partition_implILS8_4ELb0ES6_15HIP_vector_typeIjLj2EENS0_17counting_iteratorIjlEEPS9_SG_NS0_5tupleIJPjSI_NS0_16reverse_iteratorISI_EEEEENSH_IJSG_SG_SG_EEES9_SI_JZNS1_25segmented_radix_sort_implINS0_14default_configELb1EPK6__halfPSP_PKlPlN2at6native12_GLOBAL__N_18offset_tEEE10hipError_tPvRmT1_PNSt15iterator_traitsIS13_E10value_typeET2_T3_PNS14_IS19_E10value_typeET4_jRbjT5_S1F_jjP12ihipStream_tbEUljE_ZNSN_ISO_Lb1ESR_SS_SU_SV_SZ_EES10_S11_S12_S13_S17_S18_S19_S1C_S1D_jS1E_jS1F_S1F_jjS1H_bEUljE0_EEES10_S11_S12_S19_S1D_S1F_T6_T7_T9_mT8_S1H_bDpT10_ENKUlT_T0_E_clISt17integral_constantIbLb1EES1V_EEDaS1Q_S1R_EUlS1Q_E_NS1_11comp_targetILNS1_3genE5ELNS1_11target_archE942ELNS1_3gpuE9ELNS1_3repE0EEENS1_30default_config_static_selectorELNS0_4arch9wavefront6targetE0EEEvS13_.kd
    .uniform_work_group_size: 1
    .uses_dynamic_stack: false
    .vgpr_count:     0
    .vgpr_spill_count: 0
    .wavefront_size: 32
  - .args:
      - .offset:         0
        .size:           184
        .value_kind:     by_value
    .group_segment_fixed_size: 0
    .kernarg_segment_align: 8
    .kernarg_segment_size: 184
    .language:       OpenCL C
    .language_version:
      - 2
      - 0
    .max_flat_workgroup_size: 256
    .name:           _ZN7rocprim17ROCPRIM_400000_NS6detail17trampoline_kernelINS0_13select_configILj256ELj13ELNS0_17block_load_methodE3ELS4_3ELS4_3ELNS0_20block_scan_algorithmE0ELj4294967295EEENS1_25partition_config_selectorILNS1_17partition_subalgoE4EjNS0_10empty_typeEbEEZZNS1_14partition_implILS8_4ELb0ES6_15HIP_vector_typeIjLj2EENS0_17counting_iteratorIjlEEPS9_SG_NS0_5tupleIJPjSI_NS0_16reverse_iteratorISI_EEEEENSH_IJSG_SG_SG_EEES9_SI_JZNS1_25segmented_radix_sort_implINS0_14default_configELb1EPK6__halfPSP_PKlPlN2at6native12_GLOBAL__N_18offset_tEEE10hipError_tPvRmT1_PNSt15iterator_traitsIS13_E10value_typeET2_T3_PNS14_IS19_E10value_typeET4_jRbjT5_S1F_jjP12ihipStream_tbEUljE_ZNSN_ISO_Lb1ESR_SS_SU_SV_SZ_EES10_S11_S12_S13_S17_S18_S19_S1C_S1D_jS1E_jS1F_S1F_jjS1H_bEUljE0_EEES10_S11_S12_S19_S1D_S1F_T6_T7_T9_mT8_S1H_bDpT10_ENKUlT_T0_E_clISt17integral_constantIbLb1EES1V_EEDaS1Q_S1R_EUlS1Q_E_NS1_11comp_targetILNS1_3genE4ELNS1_11target_archE910ELNS1_3gpuE8ELNS1_3repE0EEENS1_30default_config_static_selectorELNS0_4arch9wavefront6targetE0EEEvS13_
    .private_segment_fixed_size: 0
    .sgpr_count:     0
    .sgpr_spill_count: 0
    .symbol:         _ZN7rocprim17ROCPRIM_400000_NS6detail17trampoline_kernelINS0_13select_configILj256ELj13ELNS0_17block_load_methodE3ELS4_3ELS4_3ELNS0_20block_scan_algorithmE0ELj4294967295EEENS1_25partition_config_selectorILNS1_17partition_subalgoE4EjNS0_10empty_typeEbEEZZNS1_14partition_implILS8_4ELb0ES6_15HIP_vector_typeIjLj2EENS0_17counting_iteratorIjlEEPS9_SG_NS0_5tupleIJPjSI_NS0_16reverse_iteratorISI_EEEEENSH_IJSG_SG_SG_EEES9_SI_JZNS1_25segmented_radix_sort_implINS0_14default_configELb1EPK6__halfPSP_PKlPlN2at6native12_GLOBAL__N_18offset_tEEE10hipError_tPvRmT1_PNSt15iterator_traitsIS13_E10value_typeET2_T3_PNS14_IS19_E10value_typeET4_jRbjT5_S1F_jjP12ihipStream_tbEUljE_ZNSN_ISO_Lb1ESR_SS_SU_SV_SZ_EES10_S11_S12_S13_S17_S18_S19_S1C_S1D_jS1E_jS1F_S1F_jjS1H_bEUljE0_EEES10_S11_S12_S19_S1D_S1F_T6_T7_T9_mT8_S1H_bDpT10_ENKUlT_T0_E_clISt17integral_constantIbLb1EES1V_EEDaS1Q_S1R_EUlS1Q_E_NS1_11comp_targetILNS1_3genE4ELNS1_11target_archE910ELNS1_3gpuE8ELNS1_3repE0EEENS1_30default_config_static_selectorELNS0_4arch9wavefront6targetE0EEEvS13_.kd
    .uniform_work_group_size: 1
    .uses_dynamic_stack: false
    .vgpr_count:     0
    .vgpr_spill_count: 0
    .wavefront_size: 32
  - .args:
      - .offset:         0
        .size:           184
        .value_kind:     by_value
    .group_segment_fixed_size: 0
    .kernarg_segment_align: 8
    .kernarg_segment_size: 184
    .language:       OpenCL C
    .language_version:
      - 2
      - 0
    .max_flat_workgroup_size: 256
    .name:           _ZN7rocprim17ROCPRIM_400000_NS6detail17trampoline_kernelINS0_13select_configILj256ELj13ELNS0_17block_load_methodE3ELS4_3ELS4_3ELNS0_20block_scan_algorithmE0ELj4294967295EEENS1_25partition_config_selectorILNS1_17partition_subalgoE4EjNS0_10empty_typeEbEEZZNS1_14partition_implILS8_4ELb0ES6_15HIP_vector_typeIjLj2EENS0_17counting_iteratorIjlEEPS9_SG_NS0_5tupleIJPjSI_NS0_16reverse_iteratorISI_EEEEENSH_IJSG_SG_SG_EEES9_SI_JZNS1_25segmented_radix_sort_implINS0_14default_configELb1EPK6__halfPSP_PKlPlN2at6native12_GLOBAL__N_18offset_tEEE10hipError_tPvRmT1_PNSt15iterator_traitsIS13_E10value_typeET2_T3_PNS14_IS19_E10value_typeET4_jRbjT5_S1F_jjP12ihipStream_tbEUljE_ZNSN_ISO_Lb1ESR_SS_SU_SV_SZ_EES10_S11_S12_S13_S17_S18_S19_S1C_S1D_jS1E_jS1F_S1F_jjS1H_bEUljE0_EEES10_S11_S12_S19_S1D_S1F_T6_T7_T9_mT8_S1H_bDpT10_ENKUlT_T0_E_clISt17integral_constantIbLb1EES1V_EEDaS1Q_S1R_EUlS1Q_E_NS1_11comp_targetILNS1_3genE3ELNS1_11target_archE908ELNS1_3gpuE7ELNS1_3repE0EEENS1_30default_config_static_selectorELNS0_4arch9wavefront6targetE0EEEvS13_
    .private_segment_fixed_size: 0
    .sgpr_count:     0
    .sgpr_spill_count: 0
    .symbol:         _ZN7rocprim17ROCPRIM_400000_NS6detail17trampoline_kernelINS0_13select_configILj256ELj13ELNS0_17block_load_methodE3ELS4_3ELS4_3ELNS0_20block_scan_algorithmE0ELj4294967295EEENS1_25partition_config_selectorILNS1_17partition_subalgoE4EjNS0_10empty_typeEbEEZZNS1_14partition_implILS8_4ELb0ES6_15HIP_vector_typeIjLj2EENS0_17counting_iteratorIjlEEPS9_SG_NS0_5tupleIJPjSI_NS0_16reverse_iteratorISI_EEEEENSH_IJSG_SG_SG_EEES9_SI_JZNS1_25segmented_radix_sort_implINS0_14default_configELb1EPK6__halfPSP_PKlPlN2at6native12_GLOBAL__N_18offset_tEEE10hipError_tPvRmT1_PNSt15iterator_traitsIS13_E10value_typeET2_T3_PNS14_IS19_E10value_typeET4_jRbjT5_S1F_jjP12ihipStream_tbEUljE_ZNSN_ISO_Lb1ESR_SS_SU_SV_SZ_EES10_S11_S12_S13_S17_S18_S19_S1C_S1D_jS1E_jS1F_S1F_jjS1H_bEUljE0_EEES10_S11_S12_S19_S1D_S1F_T6_T7_T9_mT8_S1H_bDpT10_ENKUlT_T0_E_clISt17integral_constantIbLb1EES1V_EEDaS1Q_S1R_EUlS1Q_E_NS1_11comp_targetILNS1_3genE3ELNS1_11target_archE908ELNS1_3gpuE7ELNS1_3repE0EEENS1_30default_config_static_selectorELNS0_4arch9wavefront6targetE0EEEvS13_.kd
    .uniform_work_group_size: 1
    .uses_dynamic_stack: false
    .vgpr_count:     0
    .vgpr_spill_count: 0
    .wavefront_size: 32
  - .args:
      - .offset:         0
        .size:           184
        .value_kind:     by_value
    .group_segment_fixed_size: 0
    .kernarg_segment_align: 8
    .kernarg_segment_size: 184
    .language:       OpenCL C
    .language_version:
      - 2
      - 0
    .max_flat_workgroup_size: 256
    .name:           _ZN7rocprim17ROCPRIM_400000_NS6detail17trampoline_kernelINS0_13select_configILj256ELj13ELNS0_17block_load_methodE3ELS4_3ELS4_3ELNS0_20block_scan_algorithmE0ELj4294967295EEENS1_25partition_config_selectorILNS1_17partition_subalgoE4EjNS0_10empty_typeEbEEZZNS1_14partition_implILS8_4ELb0ES6_15HIP_vector_typeIjLj2EENS0_17counting_iteratorIjlEEPS9_SG_NS0_5tupleIJPjSI_NS0_16reverse_iteratorISI_EEEEENSH_IJSG_SG_SG_EEES9_SI_JZNS1_25segmented_radix_sort_implINS0_14default_configELb1EPK6__halfPSP_PKlPlN2at6native12_GLOBAL__N_18offset_tEEE10hipError_tPvRmT1_PNSt15iterator_traitsIS13_E10value_typeET2_T3_PNS14_IS19_E10value_typeET4_jRbjT5_S1F_jjP12ihipStream_tbEUljE_ZNSN_ISO_Lb1ESR_SS_SU_SV_SZ_EES10_S11_S12_S13_S17_S18_S19_S1C_S1D_jS1E_jS1F_S1F_jjS1H_bEUljE0_EEES10_S11_S12_S19_S1D_S1F_T6_T7_T9_mT8_S1H_bDpT10_ENKUlT_T0_E_clISt17integral_constantIbLb1EES1V_EEDaS1Q_S1R_EUlS1Q_E_NS1_11comp_targetILNS1_3genE2ELNS1_11target_archE906ELNS1_3gpuE6ELNS1_3repE0EEENS1_30default_config_static_selectorELNS0_4arch9wavefront6targetE0EEEvS13_
    .private_segment_fixed_size: 0
    .sgpr_count:     0
    .sgpr_spill_count: 0
    .symbol:         _ZN7rocprim17ROCPRIM_400000_NS6detail17trampoline_kernelINS0_13select_configILj256ELj13ELNS0_17block_load_methodE3ELS4_3ELS4_3ELNS0_20block_scan_algorithmE0ELj4294967295EEENS1_25partition_config_selectorILNS1_17partition_subalgoE4EjNS0_10empty_typeEbEEZZNS1_14partition_implILS8_4ELb0ES6_15HIP_vector_typeIjLj2EENS0_17counting_iteratorIjlEEPS9_SG_NS0_5tupleIJPjSI_NS0_16reverse_iteratorISI_EEEEENSH_IJSG_SG_SG_EEES9_SI_JZNS1_25segmented_radix_sort_implINS0_14default_configELb1EPK6__halfPSP_PKlPlN2at6native12_GLOBAL__N_18offset_tEEE10hipError_tPvRmT1_PNSt15iterator_traitsIS13_E10value_typeET2_T3_PNS14_IS19_E10value_typeET4_jRbjT5_S1F_jjP12ihipStream_tbEUljE_ZNSN_ISO_Lb1ESR_SS_SU_SV_SZ_EES10_S11_S12_S13_S17_S18_S19_S1C_S1D_jS1E_jS1F_S1F_jjS1H_bEUljE0_EEES10_S11_S12_S19_S1D_S1F_T6_T7_T9_mT8_S1H_bDpT10_ENKUlT_T0_E_clISt17integral_constantIbLb1EES1V_EEDaS1Q_S1R_EUlS1Q_E_NS1_11comp_targetILNS1_3genE2ELNS1_11target_archE906ELNS1_3gpuE6ELNS1_3repE0EEENS1_30default_config_static_selectorELNS0_4arch9wavefront6targetE0EEEvS13_.kd
    .uniform_work_group_size: 1
    .uses_dynamic_stack: false
    .vgpr_count:     0
    .vgpr_spill_count: 0
    .wavefront_size: 32
  - .args:
      - .offset:         0
        .size:           184
        .value_kind:     by_value
    .group_segment_fixed_size: 0
    .kernarg_segment_align: 8
    .kernarg_segment_size: 184
    .language:       OpenCL C
    .language_version:
      - 2
      - 0
    .max_flat_workgroup_size: 256
    .name:           _ZN7rocprim17ROCPRIM_400000_NS6detail17trampoline_kernelINS0_13select_configILj256ELj13ELNS0_17block_load_methodE3ELS4_3ELS4_3ELNS0_20block_scan_algorithmE0ELj4294967295EEENS1_25partition_config_selectorILNS1_17partition_subalgoE4EjNS0_10empty_typeEbEEZZNS1_14partition_implILS8_4ELb0ES6_15HIP_vector_typeIjLj2EENS0_17counting_iteratorIjlEEPS9_SG_NS0_5tupleIJPjSI_NS0_16reverse_iteratorISI_EEEEENSH_IJSG_SG_SG_EEES9_SI_JZNS1_25segmented_radix_sort_implINS0_14default_configELb1EPK6__halfPSP_PKlPlN2at6native12_GLOBAL__N_18offset_tEEE10hipError_tPvRmT1_PNSt15iterator_traitsIS13_E10value_typeET2_T3_PNS14_IS19_E10value_typeET4_jRbjT5_S1F_jjP12ihipStream_tbEUljE_ZNSN_ISO_Lb1ESR_SS_SU_SV_SZ_EES10_S11_S12_S13_S17_S18_S19_S1C_S1D_jS1E_jS1F_S1F_jjS1H_bEUljE0_EEES10_S11_S12_S19_S1D_S1F_T6_T7_T9_mT8_S1H_bDpT10_ENKUlT_T0_E_clISt17integral_constantIbLb1EES1V_EEDaS1Q_S1R_EUlS1Q_E_NS1_11comp_targetILNS1_3genE10ELNS1_11target_archE1200ELNS1_3gpuE4ELNS1_3repE0EEENS1_30default_config_static_selectorELNS0_4arch9wavefront6targetE0EEEvS13_
    .private_segment_fixed_size: 0
    .sgpr_count:     0
    .sgpr_spill_count: 0
    .symbol:         _ZN7rocprim17ROCPRIM_400000_NS6detail17trampoline_kernelINS0_13select_configILj256ELj13ELNS0_17block_load_methodE3ELS4_3ELS4_3ELNS0_20block_scan_algorithmE0ELj4294967295EEENS1_25partition_config_selectorILNS1_17partition_subalgoE4EjNS0_10empty_typeEbEEZZNS1_14partition_implILS8_4ELb0ES6_15HIP_vector_typeIjLj2EENS0_17counting_iteratorIjlEEPS9_SG_NS0_5tupleIJPjSI_NS0_16reverse_iteratorISI_EEEEENSH_IJSG_SG_SG_EEES9_SI_JZNS1_25segmented_radix_sort_implINS0_14default_configELb1EPK6__halfPSP_PKlPlN2at6native12_GLOBAL__N_18offset_tEEE10hipError_tPvRmT1_PNSt15iterator_traitsIS13_E10value_typeET2_T3_PNS14_IS19_E10value_typeET4_jRbjT5_S1F_jjP12ihipStream_tbEUljE_ZNSN_ISO_Lb1ESR_SS_SU_SV_SZ_EES10_S11_S12_S13_S17_S18_S19_S1C_S1D_jS1E_jS1F_S1F_jjS1H_bEUljE0_EEES10_S11_S12_S19_S1D_S1F_T6_T7_T9_mT8_S1H_bDpT10_ENKUlT_T0_E_clISt17integral_constantIbLb1EES1V_EEDaS1Q_S1R_EUlS1Q_E_NS1_11comp_targetILNS1_3genE10ELNS1_11target_archE1200ELNS1_3gpuE4ELNS1_3repE0EEENS1_30default_config_static_selectorELNS0_4arch9wavefront6targetE0EEEvS13_.kd
    .uniform_work_group_size: 1
    .uses_dynamic_stack: false
    .vgpr_count:     0
    .vgpr_spill_count: 0
    .wavefront_size: 32
  - .args:
      - .offset:         0
        .size:           184
        .value_kind:     by_value
    .group_segment_fixed_size: 0
    .kernarg_segment_align: 8
    .kernarg_segment_size: 184
    .language:       OpenCL C
    .language_version:
      - 2
      - 0
    .max_flat_workgroup_size: 256
    .name:           _ZN7rocprim17ROCPRIM_400000_NS6detail17trampoline_kernelINS0_13select_configILj256ELj13ELNS0_17block_load_methodE3ELS4_3ELS4_3ELNS0_20block_scan_algorithmE0ELj4294967295EEENS1_25partition_config_selectorILNS1_17partition_subalgoE4EjNS0_10empty_typeEbEEZZNS1_14partition_implILS8_4ELb0ES6_15HIP_vector_typeIjLj2EENS0_17counting_iteratorIjlEEPS9_SG_NS0_5tupleIJPjSI_NS0_16reverse_iteratorISI_EEEEENSH_IJSG_SG_SG_EEES9_SI_JZNS1_25segmented_radix_sort_implINS0_14default_configELb1EPK6__halfPSP_PKlPlN2at6native12_GLOBAL__N_18offset_tEEE10hipError_tPvRmT1_PNSt15iterator_traitsIS13_E10value_typeET2_T3_PNS14_IS19_E10value_typeET4_jRbjT5_S1F_jjP12ihipStream_tbEUljE_ZNSN_ISO_Lb1ESR_SS_SU_SV_SZ_EES10_S11_S12_S13_S17_S18_S19_S1C_S1D_jS1E_jS1F_S1F_jjS1H_bEUljE0_EEES10_S11_S12_S19_S1D_S1F_T6_T7_T9_mT8_S1H_bDpT10_ENKUlT_T0_E_clISt17integral_constantIbLb1EES1V_EEDaS1Q_S1R_EUlS1Q_E_NS1_11comp_targetILNS1_3genE9ELNS1_11target_archE1100ELNS1_3gpuE3ELNS1_3repE0EEENS1_30default_config_static_selectorELNS0_4arch9wavefront6targetE0EEEvS13_
    .private_segment_fixed_size: 0
    .sgpr_count:     0
    .sgpr_spill_count: 0
    .symbol:         _ZN7rocprim17ROCPRIM_400000_NS6detail17trampoline_kernelINS0_13select_configILj256ELj13ELNS0_17block_load_methodE3ELS4_3ELS4_3ELNS0_20block_scan_algorithmE0ELj4294967295EEENS1_25partition_config_selectorILNS1_17partition_subalgoE4EjNS0_10empty_typeEbEEZZNS1_14partition_implILS8_4ELb0ES6_15HIP_vector_typeIjLj2EENS0_17counting_iteratorIjlEEPS9_SG_NS0_5tupleIJPjSI_NS0_16reverse_iteratorISI_EEEEENSH_IJSG_SG_SG_EEES9_SI_JZNS1_25segmented_radix_sort_implINS0_14default_configELb1EPK6__halfPSP_PKlPlN2at6native12_GLOBAL__N_18offset_tEEE10hipError_tPvRmT1_PNSt15iterator_traitsIS13_E10value_typeET2_T3_PNS14_IS19_E10value_typeET4_jRbjT5_S1F_jjP12ihipStream_tbEUljE_ZNSN_ISO_Lb1ESR_SS_SU_SV_SZ_EES10_S11_S12_S13_S17_S18_S19_S1C_S1D_jS1E_jS1F_S1F_jjS1H_bEUljE0_EEES10_S11_S12_S19_S1D_S1F_T6_T7_T9_mT8_S1H_bDpT10_ENKUlT_T0_E_clISt17integral_constantIbLb1EES1V_EEDaS1Q_S1R_EUlS1Q_E_NS1_11comp_targetILNS1_3genE9ELNS1_11target_archE1100ELNS1_3gpuE3ELNS1_3repE0EEENS1_30default_config_static_selectorELNS0_4arch9wavefront6targetE0EEEvS13_.kd
    .uniform_work_group_size: 1
    .uses_dynamic_stack: false
    .vgpr_count:     0
    .vgpr_spill_count: 0
    .wavefront_size: 32
  - .args:
      - .offset:         0
        .size:           184
        .value_kind:     by_value
    .group_segment_fixed_size: 0
    .kernarg_segment_align: 8
    .kernarg_segment_size: 184
    .language:       OpenCL C
    .language_version:
      - 2
      - 0
    .max_flat_workgroup_size: 256
    .name:           _ZN7rocprim17ROCPRIM_400000_NS6detail17trampoline_kernelINS0_13select_configILj256ELj13ELNS0_17block_load_methodE3ELS4_3ELS4_3ELNS0_20block_scan_algorithmE0ELj4294967295EEENS1_25partition_config_selectorILNS1_17partition_subalgoE4EjNS0_10empty_typeEbEEZZNS1_14partition_implILS8_4ELb0ES6_15HIP_vector_typeIjLj2EENS0_17counting_iteratorIjlEEPS9_SG_NS0_5tupleIJPjSI_NS0_16reverse_iteratorISI_EEEEENSH_IJSG_SG_SG_EEES9_SI_JZNS1_25segmented_radix_sort_implINS0_14default_configELb1EPK6__halfPSP_PKlPlN2at6native12_GLOBAL__N_18offset_tEEE10hipError_tPvRmT1_PNSt15iterator_traitsIS13_E10value_typeET2_T3_PNS14_IS19_E10value_typeET4_jRbjT5_S1F_jjP12ihipStream_tbEUljE_ZNSN_ISO_Lb1ESR_SS_SU_SV_SZ_EES10_S11_S12_S13_S17_S18_S19_S1C_S1D_jS1E_jS1F_S1F_jjS1H_bEUljE0_EEES10_S11_S12_S19_S1D_S1F_T6_T7_T9_mT8_S1H_bDpT10_ENKUlT_T0_E_clISt17integral_constantIbLb1EES1V_EEDaS1Q_S1R_EUlS1Q_E_NS1_11comp_targetILNS1_3genE8ELNS1_11target_archE1030ELNS1_3gpuE2ELNS1_3repE0EEENS1_30default_config_static_selectorELNS0_4arch9wavefront6targetE0EEEvS13_
    .private_segment_fixed_size: 0
    .sgpr_count:     0
    .sgpr_spill_count: 0
    .symbol:         _ZN7rocprim17ROCPRIM_400000_NS6detail17trampoline_kernelINS0_13select_configILj256ELj13ELNS0_17block_load_methodE3ELS4_3ELS4_3ELNS0_20block_scan_algorithmE0ELj4294967295EEENS1_25partition_config_selectorILNS1_17partition_subalgoE4EjNS0_10empty_typeEbEEZZNS1_14partition_implILS8_4ELb0ES6_15HIP_vector_typeIjLj2EENS0_17counting_iteratorIjlEEPS9_SG_NS0_5tupleIJPjSI_NS0_16reverse_iteratorISI_EEEEENSH_IJSG_SG_SG_EEES9_SI_JZNS1_25segmented_radix_sort_implINS0_14default_configELb1EPK6__halfPSP_PKlPlN2at6native12_GLOBAL__N_18offset_tEEE10hipError_tPvRmT1_PNSt15iterator_traitsIS13_E10value_typeET2_T3_PNS14_IS19_E10value_typeET4_jRbjT5_S1F_jjP12ihipStream_tbEUljE_ZNSN_ISO_Lb1ESR_SS_SU_SV_SZ_EES10_S11_S12_S13_S17_S18_S19_S1C_S1D_jS1E_jS1F_S1F_jjS1H_bEUljE0_EEES10_S11_S12_S19_S1D_S1F_T6_T7_T9_mT8_S1H_bDpT10_ENKUlT_T0_E_clISt17integral_constantIbLb1EES1V_EEDaS1Q_S1R_EUlS1Q_E_NS1_11comp_targetILNS1_3genE8ELNS1_11target_archE1030ELNS1_3gpuE2ELNS1_3repE0EEENS1_30default_config_static_selectorELNS0_4arch9wavefront6targetE0EEEvS13_.kd
    .uniform_work_group_size: 1
    .uses_dynamic_stack: false
    .vgpr_count:     0
    .vgpr_spill_count: 0
    .wavefront_size: 32
  - .args:
      - .offset:         0
        .size:           176
        .value_kind:     by_value
    .group_segment_fixed_size: 0
    .kernarg_segment_align: 8
    .kernarg_segment_size: 176
    .language:       OpenCL C
    .language_version:
      - 2
      - 0
    .max_flat_workgroup_size: 256
    .name:           _ZN7rocprim17ROCPRIM_400000_NS6detail17trampoline_kernelINS0_13select_configILj256ELj13ELNS0_17block_load_methodE3ELS4_3ELS4_3ELNS0_20block_scan_algorithmE0ELj4294967295EEENS1_25partition_config_selectorILNS1_17partition_subalgoE4EjNS0_10empty_typeEbEEZZNS1_14partition_implILS8_4ELb0ES6_15HIP_vector_typeIjLj2EENS0_17counting_iteratorIjlEEPS9_SG_NS0_5tupleIJPjSI_NS0_16reverse_iteratorISI_EEEEENSH_IJSG_SG_SG_EEES9_SI_JZNS1_25segmented_radix_sort_implINS0_14default_configELb1EPK6__halfPSP_PKlPlN2at6native12_GLOBAL__N_18offset_tEEE10hipError_tPvRmT1_PNSt15iterator_traitsIS13_E10value_typeET2_T3_PNS14_IS19_E10value_typeET4_jRbjT5_S1F_jjP12ihipStream_tbEUljE_ZNSN_ISO_Lb1ESR_SS_SU_SV_SZ_EES10_S11_S12_S13_S17_S18_S19_S1C_S1D_jS1E_jS1F_S1F_jjS1H_bEUljE0_EEES10_S11_S12_S19_S1D_S1F_T6_T7_T9_mT8_S1H_bDpT10_ENKUlT_T0_E_clISt17integral_constantIbLb1EES1U_IbLb0EEEEDaS1Q_S1R_EUlS1Q_E_NS1_11comp_targetILNS1_3genE0ELNS1_11target_archE4294967295ELNS1_3gpuE0ELNS1_3repE0EEENS1_30default_config_static_selectorELNS0_4arch9wavefront6targetE0EEEvS13_
    .private_segment_fixed_size: 0
    .sgpr_count:     0
    .sgpr_spill_count: 0
    .symbol:         _ZN7rocprim17ROCPRIM_400000_NS6detail17trampoline_kernelINS0_13select_configILj256ELj13ELNS0_17block_load_methodE3ELS4_3ELS4_3ELNS0_20block_scan_algorithmE0ELj4294967295EEENS1_25partition_config_selectorILNS1_17partition_subalgoE4EjNS0_10empty_typeEbEEZZNS1_14partition_implILS8_4ELb0ES6_15HIP_vector_typeIjLj2EENS0_17counting_iteratorIjlEEPS9_SG_NS0_5tupleIJPjSI_NS0_16reverse_iteratorISI_EEEEENSH_IJSG_SG_SG_EEES9_SI_JZNS1_25segmented_radix_sort_implINS0_14default_configELb1EPK6__halfPSP_PKlPlN2at6native12_GLOBAL__N_18offset_tEEE10hipError_tPvRmT1_PNSt15iterator_traitsIS13_E10value_typeET2_T3_PNS14_IS19_E10value_typeET4_jRbjT5_S1F_jjP12ihipStream_tbEUljE_ZNSN_ISO_Lb1ESR_SS_SU_SV_SZ_EES10_S11_S12_S13_S17_S18_S19_S1C_S1D_jS1E_jS1F_S1F_jjS1H_bEUljE0_EEES10_S11_S12_S19_S1D_S1F_T6_T7_T9_mT8_S1H_bDpT10_ENKUlT_T0_E_clISt17integral_constantIbLb1EES1U_IbLb0EEEEDaS1Q_S1R_EUlS1Q_E_NS1_11comp_targetILNS1_3genE0ELNS1_11target_archE4294967295ELNS1_3gpuE0ELNS1_3repE0EEENS1_30default_config_static_selectorELNS0_4arch9wavefront6targetE0EEEvS13_.kd
    .uniform_work_group_size: 1
    .uses_dynamic_stack: false
    .vgpr_count:     0
    .vgpr_spill_count: 0
    .wavefront_size: 32
  - .args:
      - .offset:         0
        .size:           176
        .value_kind:     by_value
    .group_segment_fixed_size: 0
    .kernarg_segment_align: 8
    .kernarg_segment_size: 176
    .language:       OpenCL C
    .language_version:
      - 2
      - 0
    .max_flat_workgroup_size: 256
    .name:           _ZN7rocprim17ROCPRIM_400000_NS6detail17trampoline_kernelINS0_13select_configILj256ELj13ELNS0_17block_load_methodE3ELS4_3ELS4_3ELNS0_20block_scan_algorithmE0ELj4294967295EEENS1_25partition_config_selectorILNS1_17partition_subalgoE4EjNS0_10empty_typeEbEEZZNS1_14partition_implILS8_4ELb0ES6_15HIP_vector_typeIjLj2EENS0_17counting_iteratorIjlEEPS9_SG_NS0_5tupleIJPjSI_NS0_16reverse_iteratorISI_EEEEENSH_IJSG_SG_SG_EEES9_SI_JZNS1_25segmented_radix_sort_implINS0_14default_configELb1EPK6__halfPSP_PKlPlN2at6native12_GLOBAL__N_18offset_tEEE10hipError_tPvRmT1_PNSt15iterator_traitsIS13_E10value_typeET2_T3_PNS14_IS19_E10value_typeET4_jRbjT5_S1F_jjP12ihipStream_tbEUljE_ZNSN_ISO_Lb1ESR_SS_SU_SV_SZ_EES10_S11_S12_S13_S17_S18_S19_S1C_S1D_jS1E_jS1F_S1F_jjS1H_bEUljE0_EEES10_S11_S12_S19_S1D_S1F_T6_T7_T9_mT8_S1H_bDpT10_ENKUlT_T0_E_clISt17integral_constantIbLb1EES1U_IbLb0EEEEDaS1Q_S1R_EUlS1Q_E_NS1_11comp_targetILNS1_3genE5ELNS1_11target_archE942ELNS1_3gpuE9ELNS1_3repE0EEENS1_30default_config_static_selectorELNS0_4arch9wavefront6targetE0EEEvS13_
    .private_segment_fixed_size: 0
    .sgpr_count:     0
    .sgpr_spill_count: 0
    .symbol:         _ZN7rocprim17ROCPRIM_400000_NS6detail17trampoline_kernelINS0_13select_configILj256ELj13ELNS0_17block_load_methodE3ELS4_3ELS4_3ELNS0_20block_scan_algorithmE0ELj4294967295EEENS1_25partition_config_selectorILNS1_17partition_subalgoE4EjNS0_10empty_typeEbEEZZNS1_14partition_implILS8_4ELb0ES6_15HIP_vector_typeIjLj2EENS0_17counting_iteratorIjlEEPS9_SG_NS0_5tupleIJPjSI_NS0_16reverse_iteratorISI_EEEEENSH_IJSG_SG_SG_EEES9_SI_JZNS1_25segmented_radix_sort_implINS0_14default_configELb1EPK6__halfPSP_PKlPlN2at6native12_GLOBAL__N_18offset_tEEE10hipError_tPvRmT1_PNSt15iterator_traitsIS13_E10value_typeET2_T3_PNS14_IS19_E10value_typeET4_jRbjT5_S1F_jjP12ihipStream_tbEUljE_ZNSN_ISO_Lb1ESR_SS_SU_SV_SZ_EES10_S11_S12_S13_S17_S18_S19_S1C_S1D_jS1E_jS1F_S1F_jjS1H_bEUljE0_EEES10_S11_S12_S19_S1D_S1F_T6_T7_T9_mT8_S1H_bDpT10_ENKUlT_T0_E_clISt17integral_constantIbLb1EES1U_IbLb0EEEEDaS1Q_S1R_EUlS1Q_E_NS1_11comp_targetILNS1_3genE5ELNS1_11target_archE942ELNS1_3gpuE9ELNS1_3repE0EEENS1_30default_config_static_selectorELNS0_4arch9wavefront6targetE0EEEvS13_.kd
    .uniform_work_group_size: 1
    .uses_dynamic_stack: false
    .vgpr_count:     0
    .vgpr_spill_count: 0
    .wavefront_size: 32
  - .args:
      - .offset:         0
        .size:           176
        .value_kind:     by_value
    .group_segment_fixed_size: 0
    .kernarg_segment_align: 8
    .kernarg_segment_size: 176
    .language:       OpenCL C
    .language_version:
      - 2
      - 0
    .max_flat_workgroup_size: 256
    .name:           _ZN7rocprim17ROCPRIM_400000_NS6detail17trampoline_kernelINS0_13select_configILj256ELj13ELNS0_17block_load_methodE3ELS4_3ELS4_3ELNS0_20block_scan_algorithmE0ELj4294967295EEENS1_25partition_config_selectorILNS1_17partition_subalgoE4EjNS0_10empty_typeEbEEZZNS1_14partition_implILS8_4ELb0ES6_15HIP_vector_typeIjLj2EENS0_17counting_iteratorIjlEEPS9_SG_NS0_5tupleIJPjSI_NS0_16reverse_iteratorISI_EEEEENSH_IJSG_SG_SG_EEES9_SI_JZNS1_25segmented_radix_sort_implINS0_14default_configELb1EPK6__halfPSP_PKlPlN2at6native12_GLOBAL__N_18offset_tEEE10hipError_tPvRmT1_PNSt15iterator_traitsIS13_E10value_typeET2_T3_PNS14_IS19_E10value_typeET4_jRbjT5_S1F_jjP12ihipStream_tbEUljE_ZNSN_ISO_Lb1ESR_SS_SU_SV_SZ_EES10_S11_S12_S13_S17_S18_S19_S1C_S1D_jS1E_jS1F_S1F_jjS1H_bEUljE0_EEES10_S11_S12_S19_S1D_S1F_T6_T7_T9_mT8_S1H_bDpT10_ENKUlT_T0_E_clISt17integral_constantIbLb1EES1U_IbLb0EEEEDaS1Q_S1R_EUlS1Q_E_NS1_11comp_targetILNS1_3genE4ELNS1_11target_archE910ELNS1_3gpuE8ELNS1_3repE0EEENS1_30default_config_static_selectorELNS0_4arch9wavefront6targetE0EEEvS13_
    .private_segment_fixed_size: 0
    .sgpr_count:     0
    .sgpr_spill_count: 0
    .symbol:         _ZN7rocprim17ROCPRIM_400000_NS6detail17trampoline_kernelINS0_13select_configILj256ELj13ELNS0_17block_load_methodE3ELS4_3ELS4_3ELNS0_20block_scan_algorithmE0ELj4294967295EEENS1_25partition_config_selectorILNS1_17partition_subalgoE4EjNS0_10empty_typeEbEEZZNS1_14partition_implILS8_4ELb0ES6_15HIP_vector_typeIjLj2EENS0_17counting_iteratorIjlEEPS9_SG_NS0_5tupleIJPjSI_NS0_16reverse_iteratorISI_EEEEENSH_IJSG_SG_SG_EEES9_SI_JZNS1_25segmented_radix_sort_implINS0_14default_configELb1EPK6__halfPSP_PKlPlN2at6native12_GLOBAL__N_18offset_tEEE10hipError_tPvRmT1_PNSt15iterator_traitsIS13_E10value_typeET2_T3_PNS14_IS19_E10value_typeET4_jRbjT5_S1F_jjP12ihipStream_tbEUljE_ZNSN_ISO_Lb1ESR_SS_SU_SV_SZ_EES10_S11_S12_S13_S17_S18_S19_S1C_S1D_jS1E_jS1F_S1F_jjS1H_bEUljE0_EEES10_S11_S12_S19_S1D_S1F_T6_T7_T9_mT8_S1H_bDpT10_ENKUlT_T0_E_clISt17integral_constantIbLb1EES1U_IbLb0EEEEDaS1Q_S1R_EUlS1Q_E_NS1_11comp_targetILNS1_3genE4ELNS1_11target_archE910ELNS1_3gpuE8ELNS1_3repE0EEENS1_30default_config_static_selectorELNS0_4arch9wavefront6targetE0EEEvS13_.kd
    .uniform_work_group_size: 1
    .uses_dynamic_stack: false
    .vgpr_count:     0
    .vgpr_spill_count: 0
    .wavefront_size: 32
  - .args:
      - .offset:         0
        .size:           176
        .value_kind:     by_value
    .group_segment_fixed_size: 0
    .kernarg_segment_align: 8
    .kernarg_segment_size: 176
    .language:       OpenCL C
    .language_version:
      - 2
      - 0
    .max_flat_workgroup_size: 256
    .name:           _ZN7rocprim17ROCPRIM_400000_NS6detail17trampoline_kernelINS0_13select_configILj256ELj13ELNS0_17block_load_methodE3ELS4_3ELS4_3ELNS0_20block_scan_algorithmE0ELj4294967295EEENS1_25partition_config_selectorILNS1_17partition_subalgoE4EjNS0_10empty_typeEbEEZZNS1_14partition_implILS8_4ELb0ES6_15HIP_vector_typeIjLj2EENS0_17counting_iteratorIjlEEPS9_SG_NS0_5tupleIJPjSI_NS0_16reverse_iteratorISI_EEEEENSH_IJSG_SG_SG_EEES9_SI_JZNS1_25segmented_radix_sort_implINS0_14default_configELb1EPK6__halfPSP_PKlPlN2at6native12_GLOBAL__N_18offset_tEEE10hipError_tPvRmT1_PNSt15iterator_traitsIS13_E10value_typeET2_T3_PNS14_IS19_E10value_typeET4_jRbjT5_S1F_jjP12ihipStream_tbEUljE_ZNSN_ISO_Lb1ESR_SS_SU_SV_SZ_EES10_S11_S12_S13_S17_S18_S19_S1C_S1D_jS1E_jS1F_S1F_jjS1H_bEUljE0_EEES10_S11_S12_S19_S1D_S1F_T6_T7_T9_mT8_S1H_bDpT10_ENKUlT_T0_E_clISt17integral_constantIbLb1EES1U_IbLb0EEEEDaS1Q_S1R_EUlS1Q_E_NS1_11comp_targetILNS1_3genE3ELNS1_11target_archE908ELNS1_3gpuE7ELNS1_3repE0EEENS1_30default_config_static_selectorELNS0_4arch9wavefront6targetE0EEEvS13_
    .private_segment_fixed_size: 0
    .sgpr_count:     0
    .sgpr_spill_count: 0
    .symbol:         _ZN7rocprim17ROCPRIM_400000_NS6detail17trampoline_kernelINS0_13select_configILj256ELj13ELNS0_17block_load_methodE3ELS4_3ELS4_3ELNS0_20block_scan_algorithmE0ELj4294967295EEENS1_25partition_config_selectorILNS1_17partition_subalgoE4EjNS0_10empty_typeEbEEZZNS1_14partition_implILS8_4ELb0ES6_15HIP_vector_typeIjLj2EENS0_17counting_iteratorIjlEEPS9_SG_NS0_5tupleIJPjSI_NS0_16reverse_iteratorISI_EEEEENSH_IJSG_SG_SG_EEES9_SI_JZNS1_25segmented_radix_sort_implINS0_14default_configELb1EPK6__halfPSP_PKlPlN2at6native12_GLOBAL__N_18offset_tEEE10hipError_tPvRmT1_PNSt15iterator_traitsIS13_E10value_typeET2_T3_PNS14_IS19_E10value_typeET4_jRbjT5_S1F_jjP12ihipStream_tbEUljE_ZNSN_ISO_Lb1ESR_SS_SU_SV_SZ_EES10_S11_S12_S13_S17_S18_S19_S1C_S1D_jS1E_jS1F_S1F_jjS1H_bEUljE0_EEES10_S11_S12_S19_S1D_S1F_T6_T7_T9_mT8_S1H_bDpT10_ENKUlT_T0_E_clISt17integral_constantIbLb1EES1U_IbLb0EEEEDaS1Q_S1R_EUlS1Q_E_NS1_11comp_targetILNS1_3genE3ELNS1_11target_archE908ELNS1_3gpuE7ELNS1_3repE0EEENS1_30default_config_static_selectorELNS0_4arch9wavefront6targetE0EEEvS13_.kd
    .uniform_work_group_size: 1
    .uses_dynamic_stack: false
    .vgpr_count:     0
    .vgpr_spill_count: 0
    .wavefront_size: 32
  - .args:
      - .offset:         0
        .size:           176
        .value_kind:     by_value
    .group_segment_fixed_size: 0
    .kernarg_segment_align: 8
    .kernarg_segment_size: 176
    .language:       OpenCL C
    .language_version:
      - 2
      - 0
    .max_flat_workgroup_size: 256
    .name:           _ZN7rocprim17ROCPRIM_400000_NS6detail17trampoline_kernelINS0_13select_configILj256ELj13ELNS0_17block_load_methodE3ELS4_3ELS4_3ELNS0_20block_scan_algorithmE0ELj4294967295EEENS1_25partition_config_selectorILNS1_17partition_subalgoE4EjNS0_10empty_typeEbEEZZNS1_14partition_implILS8_4ELb0ES6_15HIP_vector_typeIjLj2EENS0_17counting_iteratorIjlEEPS9_SG_NS0_5tupleIJPjSI_NS0_16reverse_iteratorISI_EEEEENSH_IJSG_SG_SG_EEES9_SI_JZNS1_25segmented_radix_sort_implINS0_14default_configELb1EPK6__halfPSP_PKlPlN2at6native12_GLOBAL__N_18offset_tEEE10hipError_tPvRmT1_PNSt15iterator_traitsIS13_E10value_typeET2_T3_PNS14_IS19_E10value_typeET4_jRbjT5_S1F_jjP12ihipStream_tbEUljE_ZNSN_ISO_Lb1ESR_SS_SU_SV_SZ_EES10_S11_S12_S13_S17_S18_S19_S1C_S1D_jS1E_jS1F_S1F_jjS1H_bEUljE0_EEES10_S11_S12_S19_S1D_S1F_T6_T7_T9_mT8_S1H_bDpT10_ENKUlT_T0_E_clISt17integral_constantIbLb1EES1U_IbLb0EEEEDaS1Q_S1R_EUlS1Q_E_NS1_11comp_targetILNS1_3genE2ELNS1_11target_archE906ELNS1_3gpuE6ELNS1_3repE0EEENS1_30default_config_static_selectorELNS0_4arch9wavefront6targetE0EEEvS13_
    .private_segment_fixed_size: 0
    .sgpr_count:     0
    .sgpr_spill_count: 0
    .symbol:         _ZN7rocprim17ROCPRIM_400000_NS6detail17trampoline_kernelINS0_13select_configILj256ELj13ELNS0_17block_load_methodE3ELS4_3ELS4_3ELNS0_20block_scan_algorithmE0ELj4294967295EEENS1_25partition_config_selectorILNS1_17partition_subalgoE4EjNS0_10empty_typeEbEEZZNS1_14partition_implILS8_4ELb0ES6_15HIP_vector_typeIjLj2EENS0_17counting_iteratorIjlEEPS9_SG_NS0_5tupleIJPjSI_NS0_16reverse_iteratorISI_EEEEENSH_IJSG_SG_SG_EEES9_SI_JZNS1_25segmented_radix_sort_implINS0_14default_configELb1EPK6__halfPSP_PKlPlN2at6native12_GLOBAL__N_18offset_tEEE10hipError_tPvRmT1_PNSt15iterator_traitsIS13_E10value_typeET2_T3_PNS14_IS19_E10value_typeET4_jRbjT5_S1F_jjP12ihipStream_tbEUljE_ZNSN_ISO_Lb1ESR_SS_SU_SV_SZ_EES10_S11_S12_S13_S17_S18_S19_S1C_S1D_jS1E_jS1F_S1F_jjS1H_bEUljE0_EEES10_S11_S12_S19_S1D_S1F_T6_T7_T9_mT8_S1H_bDpT10_ENKUlT_T0_E_clISt17integral_constantIbLb1EES1U_IbLb0EEEEDaS1Q_S1R_EUlS1Q_E_NS1_11comp_targetILNS1_3genE2ELNS1_11target_archE906ELNS1_3gpuE6ELNS1_3repE0EEENS1_30default_config_static_selectorELNS0_4arch9wavefront6targetE0EEEvS13_.kd
    .uniform_work_group_size: 1
    .uses_dynamic_stack: false
    .vgpr_count:     0
    .vgpr_spill_count: 0
    .wavefront_size: 32
  - .args:
      - .offset:         0
        .size:           176
        .value_kind:     by_value
    .group_segment_fixed_size: 0
    .kernarg_segment_align: 8
    .kernarg_segment_size: 176
    .language:       OpenCL C
    .language_version:
      - 2
      - 0
    .max_flat_workgroup_size: 256
    .name:           _ZN7rocprim17ROCPRIM_400000_NS6detail17trampoline_kernelINS0_13select_configILj256ELj13ELNS0_17block_load_methodE3ELS4_3ELS4_3ELNS0_20block_scan_algorithmE0ELj4294967295EEENS1_25partition_config_selectorILNS1_17partition_subalgoE4EjNS0_10empty_typeEbEEZZNS1_14partition_implILS8_4ELb0ES6_15HIP_vector_typeIjLj2EENS0_17counting_iteratorIjlEEPS9_SG_NS0_5tupleIJPjSI_NS0_16reverse_iteratorISI_EEEEENSH_IJSG_SG_SG_EEES9_SI_JZNS1_25segmented_radix_sort_implINS0_14default_configELb1EPK6__halfPSP_PKlPlN2at6native12_GLOBAL__N_18offset_tEEE10hipError_tPvRmT1_PNSt15iterator_traitsIS13_E10value_typeET2_T3_PNS14_IS19_E10value_typeET4_jRbjT5_S1F_jjP12ihipStream_tbEUljE_ZNSN_ISO_Lb1ESR_SS_SU_SV_SZ_EES10_S11_S12_S13_S17_S18_S19_S1C_S1D_jS1E_jS1F_S1F_jjS1H_bEUljE0_EEES10_S11_S12_S19_S1D_S1F_T6_T7_T9_mT8_S1H_bDpT10_ENKUlT_T0_E_clISt17integral_constantIbLb1EES1U_IbLb0EEEEDaS1Q_S1R_EUlS1Q_E_NS1_11comp_targetILNS1_3genE10ELNS1_11target_archE1200ELNS1_3gpuE4ELNS1_3repE0EEENS1_30default_config_static_selectorELNS0_4arch9wavefront6targetE0EEEvS13_
    .private_segment_fixed_size: 0
    .sgpr_count:     0
    .sgpr_spill_count: 0
    .symbol:         _ZN7rocprim17ROCPRIM_400000_NS6detail17trampoline_kernelINS0_13select_configILj256ELj13ELNS0_17block_load_methodE3ELS4_3ELS4_3ELNS0_20block_scan_algorithmE0ELj4294967295EEENS1_25partition_config_selectorILNS1_17partition_subalgoE4EjNS0_10empty_typeEbEEZZNS1_14partition_implILS8_4ELb0ES6_15HIP_vector_typeIjLj2EENS0_17counting_iteratorIjlEEPS9_SG_NS0_5tupleIJPjSI_NS0_16reverse_iteratorISI_EEEEENSH_IJSG_SG_SG_EEES9_SI_JZNS1_25segmented_radix_sort_implINS0_14default_configELb1EPK6__halfPSP_PKlPlN2at6native12_GLOBAL__N_18offset_tEEE10hipError_tPvRmT1_PNSt15iterator_traitsIS13_E10value_typeET2_T3_PNS14_IS19_E10value_typeET4_jRbjT5_S1F_jjP12ihipStream_tbEUljE_ZNSN_ISO_Lb1ESR_SS_SU_SV_SZ_EES10_S11_S12_S13_S17_S18_S19_S1C_S1D_jS1E_jS1F_S1F_jjS1H_bEUljE0_EEES10_S11_S12_S19_S1D_S1F_T6_T7_T9_mT8_S1H_bDpT10_ENKUlT_T0_E_clISt17integral_constantIbLb1EES1U_IbLb0EEEEDaS1Q_S1R_EUlS1Q_E_NS1_11comp_targetILNS1_3genE10ELNS1_11target_archE1200ELNS1_3gpuE4ELNS1_3repE0EEENS1_30default_config_static_selectorELNS0_4arch9wavefront6targetE0EEEvS13_.kd
    .uniform_work_group_size: 1
    .uses_dynamic_stack: false
    .vgpr_count:     0
    .vgpr_spill_count: 0
    .wavefront_size: 32
  - .args:
      - .offset:         0
        .size:           176
        .value_kind:     by_value
    .group_segment_fixed_size: 0
    .kernarg_segment_align: 8
    .kernarg_segment_size: 176
    .language:       OpenCL C
    .language_version:
      - 2
      - 0
    .max_flat_workgroup_size: 256
    .name:           _ZN7rocprim17ROCPRIM_400000_NS6detail17trampoline_kernelINS0_13select_configILj256ELj13ELNS0_17block_load_methodE3ELS4_3ELS4_3ELNS0_20block_scan_algorithmE0ELj4294967295EEENS1_25partition_config_selectorILNS1_17partition_subalgoE4EjNS0_10empty_typeEbEEZZNS1_14partition_implILS8_4ELb0ES6_15HIP_vector_typeIjLj2EENS0_17counting_iteratorIjlEEPS9_SG_NS0_5tupleIJPjSI_NS0_16reverse_iteratorISI_EEEEENSH_IJSG_SG_SG_EEES9_SI_JZNS1_25segmented_radix_sort_implINS0_14default_configELb1EPK6__halfPSP_PKlPlN2at6native12_GLOBAL__N_18offset_tEEE10hipError_tPvRmT1_PNSt15iterator_traitsIS13_E10value_typeET2_T3_PNS14_IS19_E10value_typeET4_jRbjT5_S1F_jjP12ihipStream_tbEUljE_ZNSN_ISO_Lb1ESR_SS_SU_SV_SZ_EES10_S11_S12_S13_S17_S18_S19_S1C_S1D_jS1E_jS1F_S1F_jjS1H_bEUljE0_EEES10_S11_S12_S19_S1D_S1F_T6_T7_T9_mT8_S1H_bDpT10_ENKUlT_T0_E_clISt17integral_constantIbLb1EES1U_IbLb0EEEEDaS1Q_S1R_EUlS1Q_E_NS1_11comp_targetILNS1_3genE9ELNS1_11target_archE1100ELNS1_3gpuE3ELNS1_3repE0EEENS1_30default_config_static_selectorELNS0_4arch9wavefront6targetE0EEEvS13_
    .private_segment_fixed_size: 0
    .sgpr_count:     0
    .sgpr_spill_count: 0
    .symbol:         _ZN7rocprim17ROCPRIM_400000_NS6detail17trampoline_kernelINS0_13select_configILj256ELj13ELNS0_17block_load_methodE3ELS4_3ELS4_3ELNS0_20block_scan_algorithmE0ELj4294967295EEENS1_25partition_config_selectorILNS1_17partition_subalgoE4EjNS0_10empty_typeEbEEZZNS1_14partition_implILS8_4ELb0ES6_15HIP_vector_typeIjLj2EENS0_17counting_iteratorIjlEEPS9_SG_NS0_5tupleIJPjSI_NS0_16reverse_iteratorISI_EEEEENSH_IJSG_SG_SG_EEES9_SI_JZNS1_25segmented_radix_sort_implINS0_14default_configELb1EPK6__halfPSP_PKlPlN2at6native12_GLOBAL__N_18offset_tEEE10hipError_tPvRmT1_PNSt15iterator_traitsIS13_E10value_typeET2_T3_PNS14_IS19_E10value_typeET4_jRbjT5_S1F_jjP12ihipStream_tbEUljE_ZNSN_ISO_Lb1ESR_SS_SU_SV_SZ_EES10_S11_S12_S13_S17_S18_S19_S1C_S1D_jS1E_jS1F_S1F_jjS1H_bEUljE0_EEES10_S11_S12_S19_S1D_S1F_T6_T7_T9_mT8_S1H_bDpT10_ENKUlT_T0_E_clISt17integral_constantIbLb1EES1U_IbLb0EEEEDaS1Q_S1R_EUlS1Q_E_NS1_11comp_targetILNS1_3genE9ELNS1_11target_archE1100ELNS1_3gpuE3ELNS1_3repE0EEENS1_30default_config_static_selectorELNS0_4arch9wavefront6targetE0EEEvS13_.kd
    .uniform_work_group_size: 1
    .uses_dynamic_stack: false
    .vgpr_count:     0
    .vgpr_spill_count: 0
    .wavefront_size: 32
  - .args:
      - .offset:         0
        .size:           176
        .value_kind:     by_value
    .group_segment_fixed_size: 0
    .kernarg_segment_align: 8
    .kernarg_segment_size: 176
    .language:       OpenCL C
    .language_version:
      - 2
      - 0
    .max_flat_workgroup_size: 256
    .name:           _ZN7rocprim17ROCPRIM_400000_NS6detail17trampoline_kernelINS0_13select_configILj256ELj13ELNS0_17block_load_methodE3ELS4_3ELS4_3ELNS0_20block_scan_algorithmE0ELj4294967295EEENS1_25partition_config_selectorILNS1_17partition_subalgoE4EjNS0_10empty_typeEbEEZZNS1_14partition_implILS8_4ELb0ES6_15HIP_vector_typeIjLj2EENS0_17counting_iteratorIjlEEPS9_SG_NS0_5tupleIJPjSI_NS0_16reverse_iteratorISI_EEEEENSH_IJSG_SG_SG_EEES9_SI_JZNS1_25segmented_radix_sort_implINS0_14default_configELb1EPK6__halfPSP_PKlPlN2at6native12_GLOBAL__N_18offset_tEEE10hipError_tPvRmT1_PNSt15iterator_traitsIS13_E10value_typeET2_T3_PNS14_IS19_E10value_typeET4_jRbjT5_S1F_jjP12ihipStream_tbEUljE_ZNSN_ISO_Lb1ESR_SS_SU_SV_SZ_EES10_S11_S12_S13_S17_S18_S19_S1C_S1D_jS1E_jS1F_S1F_jjS1H_bEUljE0_EEES10_S11_S12_S19_S1D_S1F_T6_T7_T9_mT8_S1H_bDpT10_ENKUlT_T0_E_clISt17integral_constantIbLb1EES1U_IbLb0EEEEDaS1Q_S1R_EUlS1Q_E_NS1_11comp_targetILNS1_3genE8ELNS1_11target_archE1030ELNS1_3gpuE2ELNS1_3repE0EEENS1_30default_config_static_selectorELNS0_4arch9wavefront6targetE0EEEvS13_
    .private_segment_fixed_size: 0
    .sgpr_count:     0
    .sgpr_spill_count: 0
    .symbol:         _ZN7rocprim17ROCPRIM_400000_NS6detail17trampoline_kernelINS0_13select_configILj256ELj13ELNS0_17block_load_methodE3ELS4_3ELS4_3ELNS0_20block_scan_algorithmE0ELj4294967295EEENS1_25partition_config_selectorILNS1_17partition_subalgoE4EjNS0_10empty_typeEbEEZZNS1_14partition_implILS8_4ELb0ES6_15HIP_vector_typeIjLj2EENS0_17counting_iteratorIjlEEPS9_SG_NS0_5tupleIJPjSI_NS0_16reverse_iteratorISI_EEEEENSH_IJSG_SG_SG_EEES9_SI_JZNS1_25segmented_radix_sort_implINS0_14default_configELb1EPK6__halfPSP_PKlPlN2at6native12_GLOBAL__N_18offset_tEEE10hipError_tPvRmT1_PNSt15iterator_traitsIS13_E10value_typeET2_T3_PNS14_IS19_E10value_typeET4_jRbjT5_S1F_jjP12ihipStream_tbEUljE_ZNSN_ISO_Lb1ESR_SS_SU_SV_SZ_EES10_S11_S12_S13_S17_S18_S19_S1C_S1D_jS1E_jS1F_S1F_jjS1H_bEUljE0_EEES10_S11_S12_S19_S1D_S1F_T6_T7_T9_mT8_S1H_bDpT10_ENKUlT_T0_E_clISt17integral_constantIbLb1EES1U_IbLb0EEEEDaS1Q_S1R_EUlS1Q_E_NS1_11comp_targetILNS1_3genE8ELNS1_11target_archE1030ELNS1_3gpuE2ELNS1_3repE0EEENS1_30default_config_static_selectorELNS0_4arch9wavefront6targetE0EEEvS13_.kd
    .uniform_work_group_size: 1
    .uses_dynamic_stack: false
    .vgpr_count:     0
    .vgpr_spill_count: 0
    .wavefront_size: 32
  - .args:
      - .offset:         0
        .size:           184
        .value_kind:     by_value
    .group_segment_fixed_size: 13328
    .kernarg_segment_align: 8
    .kernarg_segment_size: 184
    .language:       OpenCL C
    .language_version:
      - 2
      - 0
    .max_flat_workgroup_size: 256
    .name:           _ZN7rocprim17ROCPRIM_400000_NS6detail17trampoline_kernelINS0_13select_configILj256ELj13ELNS0_17block_load_methodE3ELS4_3ELS4_3ELNS0_20block_scan_algorithmE0ELj4294967295EEENS1_25partition_config_selectorILNS1_17partition_subalgoE4EjNS0_10empty_typeEbEEZZNS1_14partition_implILS8_4ELb0ES6_15HIP_vector_typeIjLj2EENS0_17counting_iteratorIjlEEPS9_SG_NS0_5tupleIJPjSI_NS0_16reverse_iteratorISI_EEEEENSH_IJSG_SG_SG_EEES9_SI_JZNS1_25segmented_radix_sort_implINS0_14default_configELb1EPK6__halfPSP_PKlPlN2at6native12_GLOBAL__N_18offset_tEEE10hipError_tPvRmT1_PNSt15iterator_traitsIS13_E10value_typeET2_T3_PNS14_IS19_E10value_typeET4_jRbjT5_S1F_jjP12ihipStream_tbEUljE_ZNSN_ISO_Lb1ESR_SS_SU_SV_SZ_EES10_S11_S12_S13_S17_S18_S19_S1C_S1D_jS1E_jS1F_S1F_jjS1H_bEUljE0_EEES10_S11_S12_S19_S1D_S1F_T6_T7_T9_mT8_S1H_bDpT10_ENKUlT_T0_E_clISt17integral_constantIbLb0EES1U_IbLb1EEEEDaS1Q_S1R_EUlS1Q_E_NS1_11comp_targetILNS1_3genE0ELNS1_11target_archE4294967295ELNS1_3gpuE0ELNS1_3repE0EEENS1_30default_config_static_selectorELNS0_4arch9wavefront6targetE0EEEvS13_
    .private_segment_fixed_size: 0
    .sgpr_count:     57
    .sgpr_spill_count: 0
    .symbol:         _ZN7rocprim17ROCPRIM_400000_NS6detail17trampoline_kernelINS0_13select_configILj256ELj13ELNS0_17block_load_methodE3ELS4_3ELS4_3ELNS0_20block_scan_algorithmE0ELj4294967295EEENS1_25partition_config_selectorILNS1_17partition_subalgoE4EjNS0_10empty_typeEbEEZZNS1_14partition_implILS8_4ELb0ES6_15HIP_vector_typeIjLj2EENS0_17counting_iteratorIjlEEPS9_SG_NS0_5tupleIJPjSI_NS0_16reverse_iteratorISI_EEEEENSH_IJSG_SG_SG_EEES9_SI_JZNS1_25segmented_radix_sort_implINS0_14default_configELb1EPK6__halfPSP_PKlPlN2at6native12_GLOBAL__N_18offset_tEEE10hipError_tPvRmT1_PNSt15iterator_traitsIS13_E10value_typeET2_T3_PNS14_IS19_E10value_typeET4_jRbjT5_S1F_jjP12ihipStream_tbEUljE_ZNSN_ISO_Lb1ESR_SS_SU_SV_SZ_EES10_S11_S12_S13_S17_S18_S19_S1C_S1D_jS1E_jS1F_S1F_jjS1H_bEUljE0_EEES10_S11_S12_S19_S1D_S1F_T6_T7_T9_mT8_S1H_bDpT10_ENKUlT_T0_E_clISt17integral_constantIbLb0EES1U_IbLb1EEEEDaS1Q_S1R_EUlS1Q_E_NS1_11comp_targetILNS1_3genE0ELNS1_11target_archE4294967295ELNS1_3gpuE0ELNS1_3repE0EEENS1_30default_config_static_selectorELNS0_4arch9wavefront6targetE0EEEvS13_.kd
    .uniform_work_group_size: 1
    .uses_dynamic_stack: false
    .vgpr_count:     86
    .vgpr_spill_count: 0
    .wavefront_size: 32
  - .args:
      - .offset:         0
        .size:           184
        .value_kind:     by_value
    .group_segment_fixed_size: 0
    .kernarg_segment_align: 8
    .kernarg_segment_size: 184
    .language:       OpenCL C
    .language_version:
      - 2
      - 0
    .max_flat_workgroup_size: 256
    .name:           _ZN7rocprim17ROCPRIM_400000_NS6detail17trampoline_kernelINS0_13select_configILj256ELj13ELNS0_17block_load_methodE3ELS4_3ELS4_3ELNS0_20block_scan_algorithmE0ELj4294967295EEENS1_25partition_config_selectorILNS1_17partition_subalgoE4EjNS0_10empty_typeEbEEZZNS1_14partition_implILS8_4ELb0ES6_15HIP_vector_typeIjLj2EENS0_17counting_iteratorIjlEEPS9_SG_NS0_5tupleIJPjSI_NS0_16reverse_iteratorISI_EEEEENSH_IJSG_SG_SG_EEES9_SI_JZNS1_25segmented_radix_sort_implINS0_14default_configELb1EPK6__halfPSP_PKlPlN2at6native12_GLOBAL__N_18offset_tEEE10hipError_tPvRmT1_PNSt15iterator_traitsIS13_E10value_typeET2_T3_PNS14_IS19_E10value_typeET4_jRbjT5_S1F_jjP12ihipStream_tbEUljE_ZNSN_ISO_Lb1ESR_SS_SU_SV_SZ_EES10_S11_S12_S13_S17_S18_S19_S1C_S1D_jS1E_jS1F_S1F_jjS1H_bEUljE0_EEES10_S11_S12_S19_S1D_S1F_T6_T7_T9_mT8_S1H_bDpT10_ENKUlT_T0_E_clISt17integral_constantIbLb0EES1U_IbLb1EEEEDaS1Q_S1R_EUlS1Q_E_NS1_11comp_targetILNS1_3genE5ELNS1_11target_archE942ELNS1_3gpuE9ELNS1_3repE0EEENS1_30default_config_static_selectorELNS0_4arch9wavefront6targetE0EEEvS13_
    .private_segment_fixed_size: 0
    .sgpr_count:     0
    .sgpr_spill_count: 0
    .symbol:         _ZN7rocprim17ROCPRIM_400000_NS6detail17trampoline_kernelINS0_13select_configILj256ELj13ELNS0_17block_load_methodE3ELS4_3ELS4_3ELNS0_20block_scan_algorithmE0ELj4294967295EEENS1_25partition_config_selectorILNS1_17partition_subalgoE4EjNS0_10empty_typeEbEEZZNS1_14partition_implILS8_4ELb0ES6_15HIP_vector_typeIjLj2EENS0_17counting_iteratorIjlEEPS9_SG_NS0_5tupleIJPjSI_NS0_16reverse_iteratorISI_EEEEENSH_IJSG_SG_SG_EEES9_SI_JZNS1_25segmented_radix_sort_implINS0_14default_configELb1EPK6__halfPSP_PKlPlN2at6native12_GLOBAL__N_18offset_tEEE10hipError_tPvRmT1_PNSt15iterator_traitsIS13_E10value_typeET2_T3_PNS14_IS19_E10value_typeET4_jRbjT5_S1F_jjP12ihipStream_tbEUljE_ZNSN_ISO_Lb1ESR_SS_SU_SV_SZ_EES10_S11_S12_S13_S17_S18_S19_S1C_S1D_jS1E_jS1F_S1F_jjS1H_bEUljE0_EEES10_S11_S12_S19_S1D_S1F_T6_T7_T9_mT8_S1H_bDpT10_ENKUlT_T0_E_clISt17integral_constantIbLb0EES1U_IbLb1EEEEDaS1Q_S1R_EUlS1Q_E_NS1_11comp_targetILNS1_3genE5ELNS1_11target_archE942ELNS1_3gpuE9ELNS1_3repE0EEENS1_30default_config_static_selectorELNS0_4arch9wavefront6targetE0EEEvS13_.kd
    .uniform_work_group_size: 1
    .uses_dynamic_stack: false
    .vgpr_count:     0
    .vgpr_spill_count: 0
    .wavefront_size: 32
  - .args:
      - .offset:         0
        .size:           184
        .value_kind:     by_value
    .group_segment_fixed_size: 0
    .kernarg_segment_align: 8
    .kernarg_segment_size: 184
    .language:       OpenCL C
    .language_version:
      - 2
      - 0
    .max_flat_workgroup_size: 256
    .name:           _ZN7rocprim17ROCPRIM_400000_NS6detail17trampoline_kernelINS0_13select_configILj256ELj13ELNS0_17block_load_methodE3ELS4_3ELS4_3ELNS0_20block_scan_algorithmE0ELj4294967295EEENS1_25partition_config_selectorILNS1_17partition_subalgoE4EjNS0_10empty_typeEbEEZZNS1_14partition_implILS8_4ELb0ES6_15HIP_vector_typeIjLj2EENS0_17counting_iteratorIjlEEPS9_SG_NS0_5tupleIJPjSI_NS0_16reverse_iteratorISI_EEEEENSH_IJSG_SG_SG_EEES9_SI_JZNS1_25segmented_radix_sort_implINS0_14default_configELb1EPK6__halfPSP_PKlPlN2at6native12_GLOBAL__N_18offset_tEEE10hipError_tPvRmT1_PNSt15iterator_traitsIS13_E10value_typeET2_T3_PNS14_IS19_E10value_typeET4_jRbjT5_S1F_jjP12ihipStream_tbEUljE_ZNSN_ISO_Lb1ESR_SS_SU_SV_SZ_EES10_S11_S12_S13_S17_S18_S19_S1C_S1D_jS1E_jS1F_S1F_jjS1H_bEUljE0_EEES10_S11_S12_S19_S1D_S1F_T6_T7_T9_mT8_S1H_bDpT10_ENKUlT_T0_E_clISt17integral_constantIbLb0EES1U_IbLb1EEEEDaS1Q_S1R_EUlS1Q_E_NS1_11comp_targetILNS1_3genE4ELNS1_11target_archE910ELNS1_3gpuE8ELNS1_3repE0EEENS1_30default_config_static_selectorELNS0_4arch9wavefront6targetE0EEEvS13_
    .private_segment_fixed_size: 0
    .sgpr_count:     0
    .sgpr_spill_count: 0
    .symbol:         _ZN7rocprim17ROCPRIM_400000_NS6detail17trampoline_kernelINS0_13select_configILj256ELj13ELNS0_17block_load_methodE3ELS4_3ELS4_3ELNS0_20block_scan_algorithmE0ELj4294967295EEENS1_25partition_config_selectorILNS1_17partition_subalgoE4EjNS0_10empty_typeEbEEZZNS1_14partition_implILS8_4ELb0ES6_15HIP_vector_typeIjLj2EENS0_17counting_iteratorIjlEEPS9_SG_NS0_5tupleIJPjSI_NS0_16reverse_iteratorISI_EEEEENSH_IJSG_SG_SG_EEES9_SI_JZNS1_25segmented_radix_sort_implINS0_14default_configELb1EPK6__halfPSP_PKlPlN2at6native12_GLOBAL__N_18offset_tEEE10hipError_tPvRmT1_PNSt15iterator_traitsIS13_E10value_typeET2_T3_PNS14_IS19_E10value_typeET4_jRbjT5_S1F_jjP12ihipStream_tbEUljE_ZNSN_ISO_Lb1ESR_SS_SU_SV_SZ_EES10_S11_S12_S13_S17_S18_S19_S1C_S1D_jS1E_jS1F_S1F_jjS1H_bEUljE0_EEES10_S11_S12_S19_S1D_S1F_T6_T7_T9_mT8_S1H_bDpT10_ENKUlT_T0_E_clISt17integral_constantIbLb0EES1U_IbLb1EEEEDaS1Q_S1R_EUlS1Q_E_NS1_11comp_targetILNS1_3genE4ELNS1_11target_archE910ELNS1_3gpuE8ELNS1_3repE0EEENS1_30default_config_static_selectorELNS0_4arch9wavefront6targetE0EEEvS13_.kd
    .uniform_work_group_size: 1
    .uses_dynamic_stack: false
    .vgpr_count:     0
    .vgpr_spill_count: 0
    .wavefront_size: 32
  - .args:
      - .offset:         0
        .size:           184
        .value_kind:     by_value
    .group_segment_fixed_size: 0
    .kernarg_segment_align: 8
    .kernarg_segment_size: 184
    .language:       OpenCL C
    .language_version:
      - 2
      - 0
    .max_flat_workgroup_size: 256
    .name:           _ZN7rocprim17ROCPRIM_400000_NS6detail17trampoline_kernelINS0_13select_configILj256ELj13ELNS0_17block_load_methodE3ELS4_3ELS4_3ELNS0_20block_scan_algorithmE0ELj4294967295EEENS1_25partition_config_selectorILNS1_17partition_subalgoE4EjNS0_10empty_typeEbEEZZNS1_14partition_implILS8_4ELb0ES6_15HIP_vector_typeIjLj2EENS0_17counting_iteratorIjlEEPS9_SG_NS0_5tupleIJPjSI_NS0_16reverse_iteratorISI_EEEEENSH_IJSG_SG_SG_EEES9_SI_JZNS1_25segmented_radix_sort_implINS0_14default_configELb1EPK6__halfPSP_PKlPlN2at6native12_GLOBAL__N_18offset_tEEE10hipError_tPvRmT1_PNSt15iterator_traitsIS13_E10value_typeET2_T3_PNS14_IS19_E10value_typeET4_jRbjT5_S1F_jjP12ihipStream_tbEUljE_ZNSN_ISO_Lb1ESR_SS_SU_SV_SZ_EES10_S11_S12_S13_S17_S18_S19_S1C_S1D_jS1E_jS1F_S1F_jjS1H_bEUljE0_EEES10_S11_S12_S19_S1D_S1F_T6_T7_T9_mT8_S1H_bDpT10_ENKUlT_T0_E_clISt17integral_constantIbLb0EES1U_IbLb1EEEEDaS1Q_S1R_EUlS1Q_E_NS1_11comp_targetILNS1_3genE3ELNS1_11target_archE908ELNS1_3gpuE7ELNS1_3repE0EEENS1_30default_config_static_selectorELNS0_4arch9wavefront6targetE0EEEvS13_
    .private_segment_fixed_size: 0
    .sgpr_count:     0
    .sgpr_spill_count: 0
    .symbol:         _ZN7rocprim17ROCPRIM_400000_NS6detail17trampoline_kernelINS0_13select_configILj256ELj13ELNS0_17block_load_methodE3ELS4_3ELS4_3ELNS0_20block_scan_algorithmE0ELj4294967295EEENS1_25partition_config_selectorILNS1_17partition_subalgoE4EjNS0_10empty_typeEbEEZZNS1_14partition_implILS8_4ELb0ES6_15HIP_vector_typeIjLj2EENS0_17counting_iteratorIjlEEPS9_SG_NS0_5tupleIJPjSI_NS0_16reverse_iteratorISI_EEEEENSH_IJSG_SG_SG_EEES9_SI_JZNS1_25segmented_radix_sort_implINS0_14default_configELb1EPK6__halfPSP_PKlPlN2at6native12_GLOBAL__N_18offset_tEEE10hipError_tPvRmT1_PNSt15iterator_traitsIS13_E10value_typeET2_T3_PNS14_IS19_E10value_typeET4_jRbjT5_S1F_jjP12ihipStream_tbEUljE_ZNSN_ISO_Lb1ESR_SS_SU_SV_SZ_EES10_S11_S12_S13_S17_S18_S19_S1C_S1D_jS1E_jS1F_S1F_jjS1H_bEUljE0_EEES10_S11_S12_S19_S1D_S1F_T6_T7_T9_mT8_S1H_bDpT10_ENKUlT_T0_E_clISt17integral_constantIbLb0EES1U_IbLb1EEEEDaS1Q_S1R_EUlS1Q_E_NS1_11comp_targetILNS1_3genE3ELNS1_11target_archE908ELNS1_3gpuE7ELNS1_3repE0EEENS1_30default_config_static_selectorELNS0_4arch9wavefront6targetE0EEEvS13_.kd
    .uniform_work_group_size: 1
    .uses_dynamic_stack: false
    .vgpr_count:     0
    .vgpr_spill_count: 0
    .wavefront_size: 32
  - .args:
      - .offset:         0
        .size:           184
        .value_kind:     by_value
    .group_segment_fixed_size: 0
    .kernarg_segment_align: 8
    .kernarg_segment_size: 184
    .language:       OpenCL C
    .language_version:
      - 2
      - 0
    .max_flat_workgroup_size: 256
    .name:           _ZN7rocprim17ROCPRIM_400000_NS6detail17trampoline_kernelINS0_13select_configILj256ELj13ELNS0_17block_load_methodE3ELS4_3ELS4_3ELNS0_20block_scan_algorithmE0ELj4294967295EEENS1_25partition_config_selectorILNS1_17partition_subalgoE4EjNS0_10empty_typeEbEEZZNS1_14partition_implILS8_4ELb0ES6_15HIP_vector_typeIjLj2EENS0_17counting_iteratorIjlEEPS9_SG_NS0_5tupleIJPjSI_NS0_16reverse_iteratorISI_EEEEENSH_IJSG_SG_SG_EEES9_SI_JZNS1_25segmented_radix_sort_implINS0_14default_configELb1EPK6__halfPSP_PKlPlN2at6native12_GLOBAL__N_18offset_tEEE10hipError_tPvRmT1_PNSt15iterator_traitsIS13_E10value_typeET2_T3_PNS14_IS19_E10value_typeET4_jRbjT5_S1F_jjP12ihipStream_tbEUljE_ZNSN_ISO_Lb1ESR_SS_SU_SV_SZ_EES10_S11_S12_S13_S17_S18_S19_S1C_S1D_jS1E_jS1F_S1F_jjS1H_bEUljE0_EEES10_S11_S12_S19_S1D_S1F_T6_T7_T9_mT8_S1H_bDpT10_ENKUlT_T0_E_clISt17integral_constantIbLb0EES1U_IbLb1EEEEDaS1Q_S1R_EUlS1Q_E_NS1_11comp_targetILNS1_3genE2ELNS1_11target_archE906ELNS1_3gpuE6ELNS1_3repE0EEENS1_30default_config_static_selectorELNS0_4arch9wavefront6targetE0EEEvS13_
    .private_segment_fixed_size: 0
    .sgpr_count:     0
    .sgpr_spill_count: 0
    .symbol:         _ZN7rocprim17ROCPRIM_400000_NS6detail17trampoline_kernelINS0_13select_configILj256ELj13ELNS0_17block_load_methodE3ELS4_3ELS4_3ELNS0_20block_scan_algorithmE0ELj4294967295EEENS1_25partition_config_selectorILNS1_17partition_subalgoE4EjNS0_10empty_typeEbEEZZNS1_14partition_implILS8_4ELb0ES6_15HIP_vector_typeIjLj2EENS0_17counting_iteratorIjlEEPS9_SG_NS0_5tupleIJPjSI_NS0_16reverse_iteratorISI_EEEEENSH_IJSG_SG_SG_EEES9_SI_JZNS1_25segmented_radix_sort_implINS0_14default_configELb1EPK6__halfPSP_PKlPlN2at6native12_GLOBAL__N_18offset_tEEE10hipError_tPvRmT1_PNSt15iterator_traitsIS13_E10value_typeET2_T3_PNS14_IS19_E10value_typeET4_jRbjT5_S1F_jjP12ihipStream_tbEUljE_ZNSN_ISO_Lb1ESR_SS_SU_SV_SZ_EES10_S11_S12_S13_S17_S18_S19_S1C_S1D_jS1E_jS1F_S1F_jjS1H_bEUljE0_EEES10_S11_S12_S19_S1D_S1F_T6_T7_T9_mT8_S1H_bDpT10_ENKUlT_T0_E_clISt17integral_constantIbLb0EES1U_IbLb1EEEEDaS1Q_S1R_EUlS1Q_E_NS1_11comp_targetILNS1_3genE2ELNS1_11target_archE906ELNS1_3gpuE6ELNS1_3repE0EEENS1_30default_config_static_selectorELNS0_4arch9wavefront6targetE0EEEvS13_.kd
    .uniform_work_group_size: 1
    .uses_dynamic_stack: false
    .vgpr_count:     0
    .vgpr_spill_count: 0
    .wavefront_size: 32
  - .args:
      - .offset:         0
        .size:           184
        .value_kind:     by_value
    .group_segment_fixed_size: 0
    .kernarg_segment_align: 8
    .kernarg_segment_size: 184
    .language:       OpenCL C
    .language_version:
      - 2
      - 0
    .max_flat_workgroup_size: 256
    .name:           _ZN7rocprim17ROCPRIM_400000_NS6detail17trampoline_kernelINS0_13select_configILj256ELj13ELNS0_17block_load_methodE3ELS4_3ELS4_3ELNS0_20block_scan_algorithmE0ELj4294967295EEENS1_25partition_config_selectorILNS1_17partition_subalgoE4EjNS0_10empty_typeEbEEZZNS1_14partition_implILS8_4ELb0ES6_15HIP_vector_typeIjLj2EENS0_17counting_iteratorIjlEEPS9_SG_NS0_5tupleIJPjSI_NS0_16reverse_iteratorISI_EEEEENSH_IJSG_SG_SG_EEES9_SI_JZNS1_25segmented_radix_sort_implINS0_14default_configELb1EPK6__halfPSP_PKlPlN2at6native12_GLOBAL__N_18offset_tEEE10hipError_tPvRmT1_PNSt15iterator_traitsIS13_E10value_typeET2_T3_PNS14_IS19_E10value_typeET4_jRbjT5_S1F_jjP12ihipStream_tbEUljE_ZNSN_ISO_Lb1ESR_SS_SU_SV_SZ_EES10_S11_S12_S13_S17_S18_S19_S1C_S1D_jS1E_jS1F_S1F_jjS1H_bEUljE0_EEES10_S11_S12_S19_S1D_S1F_T6_T7_T9_mT8_S1H_bDpT10_ENKUlT_T0_E_clISt17integral_constantIbLb0EES1U_IbLb1EEEEDaS1Q_S1R_EUlS1Q_E_NS1_11comp_targetILNS1_3genE10ELNS1_11target_archE1200ELNS1_3gpuE4ELNS1_3repE0EEENS1_30default_config_static_selectorELNS0_4arch9wavefront6targetE0EEEvS13_
    .private_segment_fixed_size: 0
    .sgpr_count:     0
    .sgpr_spill_count: 0
    .symbol:         _ZN7rocprim17ROCPRIM_400000_NS6detail17trampoline_kernelINS0_13select_configILj256ELj13ELNS0_17block_load_methodE3ELS4_3ELS4_3ELNS0_20block_scan_algorithmE0ELj4294967295EEENS1_25partition_config_selectorILNS1_17partition_subalgoE4EjNS0_10empty_typeEbEEZZNS1_14partition_implILS8_4ELb0ES6_15HIP_vector_typeIjLj2EENS0_17counting_iteratorIjlEEPS9_SG_NS0_5tupleIJPjSI_NS0_16reverse_iteratorISI_EEEEENSH_IJSG_SG_SG_EEES9_SI_JZNS1_25segmented_radix_sort_implINS0_14default_configELb1EPK6__halfPSP_PKlPlN2at6native12_GLOBAL__N_18offset_tEEE10hipError_tPvRmT1_PNSt15iterator_traitsIS13_E10value_typeET2_T3_PNS14_IS19_E10value_typeET4_jRbjT5_S1F_jjP12ihipStream_tbEUljE_ZNSN_ISO_Lb1ESR_SS_SU_SV_SZ_EES10_S11_S12_S13_S17_S18_S19_S1C_S1D_jS1E_jS1F_S1F_jjS1H_bEUljE0_EEES10_S11_S12_S19_S1D_S1F_T6_T7_T9_mT8_S1H_bDpT10_ENKUlT_T0_E_clISt17integral_constantIbLb0EES1U_IbLb1EEEEDaS1Q_S1R_EUlS1Q_E_NS1_11comp_targetILNS1_3genE10ELNS1_11target_archE1200ELNS1_3gpuE4ELNS1_3repE0EEENS1_30default_config_static_selectorELNS0_4arch9wavefront6targetE0EEEvS13_.kd
    .uniform_work_group_size: 1
    .uses_dynamic_stack: false
    .vgpr_count:     0
    .vgpr_spill_count: 0
    .wavefront_size: 32
  - .args:
      - .offset:         0
        .size:           184
        .value_kind:     by_value
    .group_segment_fixed_size: 0
    .kernarg_segment_align: 8
    .kernarg_segment_size: 184
    .language:       OpenCL C
    .language_version:
      - 2
      - 0
    .max_flat_workgroup_size: 256
    .name:           _ZN7rocprim17ROCPRIM_400000_NS6detail17trampoline_kernelINS0_13select_configILj256ELj13ELNS0_17block_load_methodE3ELS4_3ELS4_3ELNS0_20block_scan_algorithmE0ELj4294967295EEENS1_25partition_config_selectorILNS1_17partition_subalgoE4EjNS0_10empty_typeEbEEZZNS1_14partition_implILS8_4ELb0ES6_15HIP_vector_typeIjLj2EENS0_17counting_iteratorIjlEEPS9_SG_NS0_5tupleIJPjSI_NS0_16reverse_iteratorISI_EEEEENSH_IJSG_SG_SG_EEES9_SI_JZNS1_25segmented_radix_sort_implINS0_14default_configELb1EPK6__halfPSP_PKlPlN2at6native12_GLOBAL__N_18offset_tEEE10hipError_tPvRmT1_PNSt15iterator_traitsIS13_E10value_typeET2_T3_PNS14_IS19_E10value_typeET4_jRbjT5_S1F_jjP12ihipStream_tbEUljE_ZNSN_ISO_Lb1ESR_SS_SU_SV_SZ_EES10_S11_S12_S13_S17_S18_S19_S1C_S1D_jS1E_jS1F_S1F_jjS1H_bEUljE0_EEES10_S11_S12_S19_S1D_S1F_T6_T7_T9_mT8_S1H_bDpT10_ENKUlT_T0_E_clISt17integral_constantIbLb0EES1U_IbLb1EEEEDaS1Q_S1R_EUlS1Q_E_NS1_11comp_targetILNS1_3genE9ELNS1_11target_archE1100ELNS1_3gpuE3ELNS1_3repE0EEENS1_30default_config_static_selectorELNS0_4arch9wavefront6targetE0EEEvS13_
    .private_segment_fixed_size: 0
    .sgpr_count:     0
    .sgpr_spill_count: 0
    .symbol:         _ZN7rocprim17ROCPRIM_400000_NS6detail17trampoline_kernelINS0_13select_configILj256ELj13ELNS0_17block_load_methodE3ELS4_3ELS4_3ELNS0_20block_scan_algorithmE0ELj4294967295EEENS1_25partition_config_selectorILNS1_17partition_subalgoE4EjNS0_10empty_typeEbEEZZNS1_14partition_implILS8_4ELb0ES6_15HIP_vector_typeIjLj2EENS0_17counting_iteratorIjlEEPS9_SG_NS0_5tupleIJPjSI_NS0_16reverse_iteratorISI_EEEEENSH_IJSG_SG_SG_EEES9_SI_JZNS1_25segmented_radix_sort_implINS0_14default_configELb1EPK6__halfPSP_PKlPlN2at6native12_GLOBAL__N_18offset_tEEE10hipError_tPvRmT1_PNSt15iterator_traitsIS13_E10value_typeET2_T3_PNS14_IS19_E10value_typeET4_jRbjT5_S1F_jjP12ihipStream_tbEUljE_ZNSN_ISO_Lb1ESR_SS_SU_SV_SZ_EES10_S11_S12_S13_S17_S18_S19_S1C_S1D_jS1E_jS1F_S1F_jjS1H_bEUljE0_EEES10_S11_S12_S19_S1D_S1F_T6_T7_T9_mT8_S1H_bDpT10_ENKUlT_T0_E_clISt17integral_constantIbLb0EES1U_IbLb1EEEEDaS1Q_S1R_EUlS1Q_E_NS1_11comp_targetILNS1_3genE9ELNS1_11target_archE1100ELNS1_3gpuE3ELNS1_3repE0EEENS1_30default_config_static_selectorELNS0_4arch9wavefront6targetE0EEEvS13_.kd
    .uniform_work_group_size: 1
    .uses_dynamic_stack: false
    .vgpr_count:     0
    .vgpr_spill_count: 0
    .wavefront_size: 32
  - .args:
      - .offset:         0
        .size:           184
        .value_kind:     by_value
    .group_segment_fixed_size: 0
    .kernarg_segment_align: 8
    .kernarg_segment_size: 184
    .language:       OpenCL C
    .language_version:
      - 2
      - 0
    .max_flat_workgroup_size: 256
    .name:           _ZN7rocprim17ROCPRIM_400000_NS6detail17trampoline_kernelINS0_13select_configILj256ELj13ELNS0_17block_load_methodE3ELS4_3ELS4_3ELNS0_20block_scan_algorithmE0ELj4294967295EEENS1_25partition_config_selectorILNS1_17partition_subalgoE4EjNS0_10empty_typeEbEEZZNS1_14partition_implILS8_4ELb0ES6_15HIP_vector_typeIjLj2EENS0_17counting_iteratorIjlEEPS9_SG_NS0_5tupleIJPjSI_NS0_16reverse_iteratorISI_EEEEENSH_IJSG_SG_SG_EEES9_SI_JZNS1_25segmented_radix_sort_implINS0_14default_configELb1EPK6__halfPSP_PKlPlN2at6native12_GLOBAL__N_18offset_tEEE10hipError_tPvRmT1_PNSt15iterator_traitsIS13_E10value_typeET2_T3_PNS14_IS19_E10value_typeET4_jRbjT5_S1F_jjP12ihipStream_tbEUljE_ZNSN_ISO_Lb1ESR_SS_SU_SV_SZ_EES10_S11_S12_S13_S17_S18_S19_S1C_S1D_jS1E_jS1F_S1F_jjS1H_bEUljE0_EEES10_S11_S12_S19_S1D_S1F_T6_T7_T9_mT8_S1H_bDpT10_ENKUlT_T0_E_clISt17integral_constantIbLb0EES1U_IbLb1EEEEDaS1Q_S1R_EUlS1Q_E_NS1_11comp_targetILNS1_3genE8ELNS1_11target_archE1030ELNS1_3gpuE2ELNS1_3repE0EEENS1_30default_config_static_selectorELNS0_4arch9wavefront6targetE0EEEvS13_
    .private_segment_fixed_size: 0
    .sgpr_count:     0
    .sgpr_spill_count: 0
    .symbol:         _ZN7rocprim17ROCPRIM_400000_NS6detail17trampoline_kernelINS0_13select_configILj256ELj13ELNS0_17block_load_methodE3ELS4_3ELS4_3ELNS0_20block_scan_algorithmE0ELj4294967295EEENS1_25partition_config_selectorILNS1_17partition_subalgoE4EjNS0_10empty_typeEbEEZZNS1_14partition_implILS8_4ELb0ES6_15HIP_vector_typeIjLj2EENS0_17counting_iteratorIjlEEPS9_SG_NS0_5tupleIJPjSI_NS0_16reverse_iteratorISI_EEEEENSH_IJSG_SG_SG_EEES9_SI_JZNS1_25segmented_radix_sort_implINS0_14default_configELb1EPK6__halfPSP_PKlPlN2at6native12_GLOBAL__N_18offset_tEEE10hipError_tPvRmT1_PNSt15iterator_traitsIS13_E10value_typeET2_T3_PNS14_IS19_E10value_typeET4_jRbjT5_S1F_jjP12ihipStream_tbEUljE_ZNSN_ISO_Lb1ESR_SS_SU_SV_SZ_EES10_S11_S12_S13_S17_S18_S19_S1C_S1D_jS1E_jS1F_S1F_jjS1H_bEUljE0_EEES10_S11_S12_S19_S1D_S1F_T6_T7_T9_mT8_S1H_bDpT10_ENKUlT_T0_E_clISt17integral_constantIbLb0EES1U_IbLb1EEEEDaS1Q_S1R_EUlS1Q_E_NS1_11comp_targetILNS1_3genE8ELNS1_11target_archE1030ELNS1_3gpuE2ELNS1_3repE0EEENS1_30default_config_static_selectorELNS0_4arch9wavefront6targetE0EEEvS13_.kd
    .uniform_work_group_size: 1
    .uses_dynamic_stack: false
    .vgpr_count:     0
    .vgpr_spill_count: 0
    .wavefront_size: 32
  - .args:
      - .offset:         0
        .size:           144
        .value_kind:     by_value
    .group_segment_fixed_size: 13320
    .kernarg_segment_align: 8
    .kernarg_segment_size: 144
    .language:       OpenCL C
    .language_version:
      - 2
      - 0
    .max_flat_workgroup_size: 256
    .name:           _ZN7rocprim17ROCPRIM_400000_NS6detail17trampoline_kernelINS0_13select_configILj256ELj13ELNS0_17block_load_methodE3ELS4_3ELS4_3ELNS0_20block_scan_algorithmE0ELj4294967295EEENS1_25partition_config_selectorILNS1_17partition_subalgoE3EjNS0_10empty_typeEbEEZZNS1_14partition_implILS8_3ELb0ES6_jNS0_17counting_iteratorIjlEEPS9_SE_NS0_5tupleIJPjSE_EEENSF_IJSE_SE_EEES9_SG_JZNS1_25segmented_radix_sort_implINS0_14default_configELb1EPK6__halfPSL_PKlPlN2at6native12_GLOBAL__N_18offset_tEEE10hipError_tPvRmT1_PNSt15iterator_traitsISZ_E10value_typeET2_T3_PNS10_IS15_E10value_typeET4_jRbjT5_S1B_jjP12ihipStream_tbEUljE_EEESW_SX_SY_S15_S19_S1B_T6_T7_T9_mT8_S1D_bDpT10_ENKUlT_T0_E_clISt17integral_constantIbLb0EES1Q_EEDaS1L_S1M_EUlS1L_E_NS1_11comp_targetILNS1_3genE0ELNS1_11target_archE4294967295ELNS1_3gpuE0ELNS1_3repE0EEENS1_30default_config_static_selectorELNS0_4arch9wavefront6targetE0EEEvSZ_
    .private_segment_fixed_size: 0
    .sgpr_count:     28
    .sgpr_spill_count: 0
    .symbol:         _ZN7rocprim17ROCPRIM_400000_NS6detail17trampoline_kernelINS0_13select_configILj256ELj13ELNS0_17block_load_methodE3ELS4_3ELS4_3ELNS0_20block_scan_algorithmE0ELj4294967295EEENS1_25partition_config_selectorILNS1_17partition_subalgoE3EjNS0_10empty_typeEbEEZZNS1_14partition_implILS8_3ELb0ES6_jNS0_17counting_iteratorIjlEEPS9_SE_NS0_5tupleIJPjSE_EEENSF_IJSE_SE_EEES9_SG_JZNS1_25segmented_radix_sort_implINS0_14default_configELb1EPK6__halfPSL_PKlPlN2at6native12_GLOBAL__N_18offset_tEEE10hipError_tPvRmT1_PNSt15iterator_traitsISZ_E10value_typeET2_T3_PNS10_IS15_E10value_typeET4_jRbjT5_S1B_jjP12ihipStream_tbEUljE_EEESW_SX_SY_S15_S19_S1B_T6_T7_T9_mT8_S1D_bDpT10_ENKUlT_T0_E_clISt17integral_constantIbLb0EES1Q_EEDaS1L_S1M_EUlS1L_E_NS1_11comp_targetILNS1_3genE0ELNS1_11target_archE4294967295ELNS1_3gpuE0ELNS1_3repE0EEENS1_30default_config_static_selectorELNS0_4arch9wavefront6targetE0EEEvSZ_.kd
    .uniform_work_group_size: 1
    .uses_dynamic_stack: false
    .vgpr_count:     69
    .vgpr_spill_count: 0
    .wavefront_size: 32
  - .args:
      - .offset:         0
        .size:           144
        .value_kind:     by_value
    .group_segment_fixed_size: 0
    .kernarg_segment_align: 8
    .kernarg_segment_size: 144
    .language:       OpenCL C
    .language_version:
      - 2
      - 0
    .max_flat_workgroup_size: 256
    .name:           _ZN7rocprim17ROCPRIM_400000_NS6detail17trampoline_kernelINS0_13select_configILj256ELj13ELNS0_17block_load_methodE3ELS4_3ELS4_3ELNS0_20block_scan_algorithmE0ELj4294967295EEENS1_25partition_config_selectorILNS1_17partition_subalgoE3EjNS0_10empty_typeEbEEZZNS1_14partition_implILS8_3ELb0ES6_jNS0_17counting_iteratorIjlEEPS9_SE_NS0_5tupleIJPjSE_EEENSF_IJSE_SE_EEES9_SG_JZNS1_25segmented_radix_sort_implINS0_14default_configELb1EPK6__halfPSL_PKlPlN2at6native12_GLOBAL__N_18offset_tEEE10hipError_tPvRmT1_PNSt15iterator_traitsISZ_E10value_typeET2_T3_PNS10_IS15_E10value_typeET4_jRbjT5_S1B_jjP12ihipStream_tbEUljE_EEESW_SX_SY_S15_S19_S1B_T6_T7_T9_mT8_S1D_bDpT10_ENKUlT_T0_E_clISt17integral_constantIbLb0EES1Q_EEDaS1L_S1M_EUlS1L_E_NS1_11comp_targetILNS1_3genE5ELNS1_11target_archE942ELNS1_3gpuE9ELNS1_3repE0EEENS1_30default_config_static_selectorELNS0_4arch9wavefront6targetE0EEEvSZ_
    .private_segment_fixed_size: 0
    .sgpr_count:     0
    .sgpr_spill_count: 0
    .symbol:         _ZN7rocprim17ROCPRIM_400000_NS6detail17trampoline_kernelINS0_13select_configILj256ELj13ELNS0_17block_load_methodE3ELS4_3ELS4_3ELNS0_20block_scan_algorithmE0ELj4294967295EEENS1_25partition_config_selectorILNS1_17partition_subalgoE3EjNS0_10empty_typeEbEEZZNS1_14partition_implILS8_3ELb0ES6_jNS0_17counting_iteratorIjlEEPS9_SE_NS0_5tupleIJPjSE_EEENSF_IJSE_SE_EEES9_SG_JZNS1_25segmented_radix_sort_implINS0_14default_configELb1EPK6__halfPSL_PKlPlN2at6native12_GLOBAL__N_18offset_tEEE10hipError_tPvRmT1_PNSt15iterator_traitsISZ_E10value_typeET2_T3_PNS10_IS15_E10value_typeET4_jRbjT5_S1B_jjP12ihipStream_tbEUljE_EEESW_SX_SY_S15_S19_S1B_T6_T7_T9_mT8_S1D_bDpT10_ENKUlT_T0_E_clISt17integral_constantIbLb0EES1Q_EEDaS1L_S1M_EUlS1L_E_NS1_11comp_targetILNS1_3genE5ELNS1_11target_archE942ELNS1_3gpuE9ELNS1_3repE0EEENS1_30default_config_static_selectorELNS0_4arch9wavefront6targetE0EEEvSZ_.kd
    .uniform_work_group_size: 1
    .uses_dynamic_stack: false
    .vgpr_count:     0
    .vgpr_spill_count: 0
    .wavefront_size: 32
  - .args:
      - .offset:         0
        .size:           144
        .value_kind:     by_value
    .group_segment_fixed_size: 0
    .kernarg_segment_align: 8
    .kernarg_segment_size: 144
    .language:       OpenCL C
    .language_version:
      - 2
      - 0
    .max_flat_workgroup_size: 256
    .name:           _ZN7rocprim17ROCPRIM_400000_NS6detail17trampoline_kernelINS0_13select_configILj256ELj13ELNS0_17block_load_methodE3ELS4_3ELS4_3ELNS0_20block_scan_algorithmE0ELj4294967295EEENS1_25partition_config_selectorILNS1_17partition_subalgoE3EjNS0_10empty_typeEbEEZZNS1_14partition_implILS8_3ELb0ES6_jNS0_17counting_iteratorIjlEEPS9_SE_NS0_5tupleIJPjSE_EEENSF_IJSE_SE_EEES9_SG_JZNS1_25segmented_radix_sort_implINS0_14default_configELb1EPK6__halfPSL_PKlPlN2at6native12_GLOBAL__N_18offset_tEEE10hipError_tPvRmT1_PNSt15iterator_traitsISZ_E10value_typeET2_T3_PNS10_IS15_E10value_typeET4_jRbjT5_S1B_jjP12ihipStream_tbEUljE_EEESW_SX_SY_S15_S19_S1B_T6_T7_T9_mT8_S1D_bDpT10_ENKUlT_T0_E_clISt17integral_constantIbLb0EES1Q_EEDaS1L_S1M_EUlS1L_E_NS1_11comp_targetILNS1_3genE4ELNS1_11target_archE910ELNS1_3gpuE8ELNS1_3repE0EEENS1_30default_config_static_selectorELNS0_4arch9wavefront6targetE0EEEvSZ_
    .private_segment_fixed_size: 0
    .sgpr_count:     0
    .sgpr_spill_count: 0
    .symbol:         _ZN7rocprim17ROCPRIM_400000_NS6detail17trampoline_kernelINS0_13select_configILj256ELj13ELNS0_17block_load_methodE3ELS4_3ELS4_3ELNS0_20block_scan_algorithmE0ELj4294967295EEENS1_25partition_config_selectorILNS1_17partition_subalgoE3EjNS0_10empty_typeEbEEZZNS1_14partition_implILS8_3ELb0ES6_jNS0_17counting_iteratorIjlEEPS9_SE_NS0_5tupleIJPjSE_EEENSF_IJSE_SE_EEES9_SG_JZNS1_25segmented_radix_sort_implINS0_14default_configELb1EPK6__halfPSL_PKlPlN2at6native12_GLOBAL__N_18offset_tEEE10hipError_tPvRmT1_PNSt15iterator_traitsISZ_E10value_typeET2_T3_PNS10_IS15_E10value_typeET4_jRbjT5_S1B_jjP12ihipStream_tbEUljE_EEESW_SX_SY_S15_S19_S1B_T6_T7_T9_mT8_S1D_bDpT10_ENKUlT_T0_E_clISt17integral_constantIbLb0EES1Q_EEDaS1L_S1M_EUlS1L_E_NS1_11comp_targetILNS1_3genE4ELNS1_11target_archE910ELNS1_3gpuE8ELNS1_3repE0EEENS1_30default_config_static_selectorELNS0_4arch9wavefront6targetE0EEEvSZ_.kd
    .uniform_work_group_size: 1
    .uses_dynamic_stack: false
    .vgpr_count:     0
    .vgpr_spill_count: 0
    .wavefront_size: 32
  - .args:
      - .offset:         0
        .size:           144
        .value_kind:     by_value
    .group_segment_fixed_size: 0
    .kernarg_segment_align: 8
    .kernarg_segment_size: 144
    .language:       OpenCL C
    .language_version:
      - 2
      - 0
    .max_flat_workgroup_size: 256
    .name:           _ZN7rocprim17ROCPRIM_400000_NS6detail17trampoline_kernelINS0_13select_configILj256ELj13ELNS0_17block_load_methodE3ELS4_3ELS4_3ELNS0_20block_scan_algorithmE0ELj4294967295EEENS1_25partition_config_selectorILNS1_17partition_subalgoE3EjNS0_10empty_typeEbEEZZNS1_14partition_implILS8_3ELb0ES6_jNS0_17counting_iteratorIjlEEPS9_SE_NS0_5tupleIJPjSE_EEENSF_IJSE_SE_EEES9_SG_JZNS1_25segmented_radix_sort_implINS0_14default_configELb1EPK6__halfPSL_PKlPlN2at6native12_GLOBAL__N_18offset_tEEE10hipError_tPvRmT1_PNSt15iterator_traitsISZ_E10value_typeET2_T3_PNS10_IS15_E10value_typeET4_jRbjT5_S1B_jjP12ihipStream_tbEUljE_EEESW_SX_SY_S15_S19_S1B_T6_T7_T9_mT8_S1D_bDpT10_ENKUlT_T0_E_clISt17integral_constantIbLb0EES1Q_EEDaS1L_S1M_EUlS1L_E_NS1_11comp_targetILNS1_3genE3ELNS1_11target_archE908ELNS1_3gpuE7ELNS1_3repE0EEENS1_30default_config_static_selectorELNS0_4arch9wavefront6targetE0EEEvSZ_
    .private_segment_fixed_size: 0
    .sgpr_count:     0
    .sgpr_spill_count: 0
    .symbol:         _ZN7rocprim17ROCPRIM_400000_NS6detail17trampoline_kernelINS0_13select_configILj256ELj13ELNS0_17block_load_methodE3ELS4_3ELS4_3ELNS0_20block_scan_algorithmE0ELj4294967295EEENS1_25partition_config_selectorILNS1_17partition_subalgoE3EjNS0_10empty_typeEbEEZZNS1_14partition_implILS8_3ELb0ES6_jNS0_17counting_iteratorIjlEEPS9_SE_NS0_5tupleIJPjSE_EEENSF_IJSE_SE_EEES9_SG_JZNS1_25segmented_radix_sort_implINS0_14default_configELb1EPK6__halfPSL_PKlPlN2at6native12_GLOBAL__N_18offset_tEEE10hipError_tPvRmT1_PNSt15iterator_traitsISZ_E10value_typeET2_T3_PNS10_IS15_E10value_typeET4_jRbjT5_S1B_jjP12ihipStream_tbEUljE_EEESW_SX_SY_S15_S19_S1B_T6_T7_T9_mT8_S1D_bDpT10_ENKUlT_T0_E_clISt17integral_constantIbLb0EES1Q_EEDaS1L_S1M_EUlS1L_E_NS1_11comp_targetILNS1_3genE3ELNS1_11target_archE908ELNS1_3gpuE7ELNS1_3repE0EEENS1_30default_config_static_selectorELNS0_4arch9wavefront6targetE0EEEvSZ_.kd
    .uniform_work_group_size: 1
    .uses_dynamic_stack: false
    .vgpr_count:     0
    .vgpr_spill_count: 0
    .wavefront_size: 32
  - .args:
      - .offset:         0
        .size:           144
        .value_kind:     by_value
    .group_segment_fixed_size: 0
    .kernarg_segment_align: 8
    .kernarg_segment_size: 144
    .language:       OpenCL C
    .language_version:
      - 2
      - 0
    .max_flat_workgroup_size: 256
    .name:           _ZN7rocprim17ROCPRIM_400000_NS6detail17trampoline_kernelINS0_13select_configILj256ELj13ELNS0_17block_load_methodE3ELS4_3ELS4_3ELNS0_20block_scan_algorithmE0ELj4294967295EEENS1_25partition_config_selectorILNS1_17partition_subalgoE3EjNS0_10empty_typeEbEEZZNS1_14partition_implILS8_3ELb0ES6_jNS0_17counting_iteratorIjlEEPS9_SE_NS0_5tupleIJPjSE_EEENSF_IJSE_SE_EEES9_SG_JZNS1_25segmented_radix_sort_implINS0_14default_configELb1EPK6__halfPSL_PKlPlN2at6native12_GLOBAL__N_18offset_tEEE10hipError_tPvRmT1_PNSt15iterator_traitsISZ_E10value_typeET2_T3_PNS10_IS15_E10value_typeET4_jRbjT5_S1B_jjP12ihipStream_tbEUljE_EEESW_SX_SY_S15_S19_S1B_T6_T7_T9_mT8_S1D_bDpT10_ENKUlT_T0_E_clISt17integral_constantIbLb0EES1Q_EEDaS1L_S1M_EUlS1L_E_NS1_11comp_targetILNS1_3genE2ELNS1_11target_archE906ELNS1_3gpuE6ELNS1_3repE0EEENS1_30default_config_static_selectorELNS0_4arch9wavefront6targetE0EEEvSZ_
    .private_segment_fixed_size: 0
    .sgpr_count:     0
    .sgpr_spill_count: 0
    .symbol:         _ZN7rocprim17ROCPRIM_400000_NS6detail17trampoline_kernelINS0_13select_configILj256ELj13ELNS0_17block_load_methodE3ELS4_3ELS4_3ELNS0_20block_scan_algorithmE0ELj4294967295EEENS1_25partition_config_selectorILNS1_17partition_subalgoE3EjNS0_10empty_typeEbEEZZNS1_14partition_implILS8_3ELb0ES6_jNS0_17counting_iteratorIjlEEPS9_SE_NS0_5tupleIJPjSE_EEENSF_IJSE_SE_EEES9_SG_JZNS1_25segmented_radix_sort_implINS0_14default_configELb1EPK6__halfPSL_PKlPlN2at6native12_GLOBAL__N_18offset_tEEE10hipError_tPvRmT1_PNSt15iterator_traitsISZ_E10value_typeET2_T3_PNS10_IS15_E10value_typeET4_jRbjT5_S1B_jjP12ihipStream_tbEUljE_EEESW_SX_SY_S15_S19_S1B_T6_T7_T9_mT8_S1D_bDpT10_ENKUlT_T0_E_clISt17integral_constantIbLb0EES1Q_EEDaS1L_S1M_EUlS1L_E_NS1_11comp_targetILNS1_3genE2ELNS1_11target_archE906ELNS1_3gpuE6ELNS1_3repE0EEENS1_30default_config_static_selectorELNS0_4arch9wavefront6targetE0EEEvSZ_.kd
    .uniform_work_group_size: 1
    .uses_dynamic_stack: false
    .vgpr_count:     0
    .vgpr_spill_count: 0
    .wavefront_size: 32
  - .args:
      - .offset:         0
        .size:           144
        .value_kind:     by_value
    .group_segment_fixed_size: 0
    .kernarg_segment_align: 8
    .kernarg_segment_size: 144
    .language:       OpenCL C
    .language_version:
      - 2
      - 0
    .max_flat_workgroup_size: 256
    .name:           _ZN7rocprim17ROCPRIM_400000_NS6detail17trampoline_kernelINS0_13select_configILj256ELj13ELNS0_17block_load_methodE3ELS4_3ELS4_3ELNS0_20block_scan_algorithmE0ELj4294967295EEENS1_25partition_config_selectorILNS1_17partition_subalgoE3EjNS0_10empty_typeEbEEZZNS1_14partition_implILS8_3ELb0ES6_jNS0_17counting_iteratorIjlEEPS9_SE_NS0_5tupleIJPjSE_EEENSF_IJSE_SE_EEES9_SG_JZNS1_25segmented_radix_sort_implINS0_14default_configELb1EPK6__halfPSL_PKlPlN2at6native12_GLOBAL__N_18offset_tEEE10hipError_tPvRmT1_PNSt15iterator_traitsISZ_E10value_typeET2_T3_PNS10_IS15_E10value_typeET4_jRbjT5_S1B_jjP12ihipStream_tbEUljE_EEESW_SX_SY_S15_S19_S1B_T6_T7_T9_mT8_S1D_bDpT10_ENKUlT_T0_E_clISt17integral_constantIbLb0EES1Q_EEDaS1L_S1M_EUlS1L_E_NS1_11comp_targetILNS1_3genE10ELNS1_11target_archE1200ELNS1_3gpuE4ELNS1_3repE0EEENS1_30default_config_static_selectorELNS0_4arch9wavefront6targetE0EEEvSZ_
    .private_segment_fixed_size: 0
    .sgpr_count:     0
    .sgpr_spill_count: 0
    .symbol:         _ZN7rocprim17ROCPRIM_400000_NS6detail17trampoline_kernelINS0_13select_configILj256ELj13ELNS0_17block_load_methodE3ELS4_3ELS4_3ELNS0_20block_scan_algorithmE0ELj4294967295EEENS1_25partition_config_selectorILNS1_17partition_subalgoE3EjNS0_10empty_typeEbEEZZNS1_14partition_implILS8_3ELb0ES6_jNS0_17counting_iteratorIjlEEPS9_SE_NS0_5tupleIJPjSE_EEENSF_IJSE_SE_EEES9_SG_JZNS1_25segmented_radix_sort_implINS0_14default_configELb1EPK6__halfPSL_PKlPlN2at6native12_GLOBAL__N_18offset_tEEE10hipError_tPvRmT1_PNSt15iterator_traitsISZ_E10value_typeET2_T3_PNS10_IS15_E10value_typeET4_jRbjT5_S1B_jjP12ihipStream_tbEUljE_EEESW_SX_SY_S15_S19_S1B_T6_T7_T9_mT8_S1D_bDpT10_ENKUlT_T0_E_clISt17integral_constantIbLb0EES1Q_EEDaS1L_S1M_EUlS1L_E_NS1_11comp_targetILNS1_3genE10ELNS1_11target_archE1200ELNS1_3gpuE4ELNS1_3repE0EEENS1_30default_config_static_selectorELNS0_4arch9wavefront6targetE0EEEvSZ_.kd
    .uniform_work_group_size: 1
    .uses_dynamic_stack: false
    .vgpr_count:     0
    .vgpr_spill_count: 0
    .wavefront_size: 32
  - .args:
      - .offset:         0
        .size:           144
        .value_kind:     by_value
    .group_segment_fixed_size: 0
    .kernarg_segment_align: 8
    .kernarg_segment_size: 144
    .language:       OpenCL C
    .language_version:
      - 2
      - 0
    .max_flat_workgroup_size: 256
    .name:           _ZN7rocprim17ROCPRIM_400000_NS6detail17trampoline_kernelINS0_13select_configILj256ELj13ELNS0_17block_load_methodE3ELS4_3ELS4_3ELNS0_20block_scan_algorithmE0ELj4294967295EEENS1_25partition_config_selectorILNS1_17partition_subalgoE3EjNS0_10empty_typeEbEEZZNS1_14partition_implILS8_3ELb0ES6_jNS0_17counting_iteratorIjlEEPS9_SE_NS0_5tupleIJPjSE_EEENSF_IJSE_SE_EEES9_SG_JZNS1_25segmented_radix_sort_implINS0_14default_configELb1EPK6__halfPSL_PKlPlN2at6native12_GLOBAL__N_18offset_tEEE10hipError_tPvRmT1_PNSt15iterator_traitsISZ_E10value_typeET2_T3_PNS10_IS15_E10value_typeET4_jRbjT5_S1B_jjP12ihipStream_tbEUljE_EEESW_SX_SY_S15_S19_S1B_T6_T7_T9_mT8_S1D_bDpT10_ENKUlT_T0_E_clISt17integral_constantIbLb0EES1Q_EEDaS1L_S1M_EUlS1L_E_NS1_11comp_targetILNS1_3genE9ELNS1_11target_archE1100ELNS1_3gpuE3ELNS1_3repE0EEENS1_30default_config_static_selectorELNS0_4arch9wavefront6targetE0EEEvSZ_
    .private_segment_fixed_size: 0
    .sgpr_count:     0
    .sgpr_spill_count: 0
    .symbol:         _ZN7rocprim17ROCPRIM_400000_NS6detail17trampoline_kernelINS0_13select_configILj256ELj13ELNS0_17block_load_methodE3ELS4_3ELS4_3ELNS0_20block_scan_algorithmE0ELj4294967295EEENS1_25partition_config_selectorILNS1_17partition_subalgoE3EjNS0_10empty_typeEbEEZZNS1_14partition_implILS8_3ELb0ES6_jNS0_17counting_iteratorIjlEEPS9_SE_NS0_5tupleIJPjSE_EEENSF_IJSE_SE_EEES9_SG_JZNS1_25segmented_radix_sort_implINS0_14default_configELb1EPK6__halfPSL_PKlPlN2at6native12_GLOBAL__N_18offset_tEEE10hipError_tPvRmT1_PNSt15iterator_traitsISZ_E10value_typeET2_T3_PNS10_IS15_E10value_typeET4_jRbjT5_S1B_jjP12ihipStream_tbEUljE_EEESW_SX_SY_S15_S19_S1B_T6_T7_T9_mT8_S1D_bDpT10_ENKUlT_T0_E_clISt17integral_constantIbLb0EES1Q_EEDaS1L_S1M_EUlS1L_E_NS1_11comp_targetILNS1_3genE9ELNS1_11target_archE1100ELNS1_3gpuE3ELNS1_3repE0EEENS1_30default_config_static_selectorELNS0_4arch9wavefront6targetE0EEEvSZ_.kd
    .uniform_work_group_size: 1
    .uses_dynamic_stack: false
    .vgpr_count:     0
    .vgpr_spill_count: 0
    .wavefront_size: 32
  - .args:
      - .offset:         0
        .size:           144
        .value_kind:     by_value
    .group_segment_fixed_size: 0
    .kernarg_segment_align: 8
    .kernarg_segment_size: 144
    .language:       OpenCL C
    .language_version:
      - 2
      - 0
    .max_flat_workgroup_size: 256
    .name:           _ZN7rocprim17ROCPRIM_400000_NS6detail17trampoline_kernelINS0_13select_configILj256ELj13ELNS0_17block_load_methodE3ELS4_3ELS4_3ELNS0_20block_scan_algorithmE0ELj4294967295EEENS1_25partition_config_selectorILNS1_17partition_subalgoE3EjNS0_10empty_typeEbEEZZNS1_14partition_implILS8_3ELb0ES6_jNS0_17counting_iteratorIjlEEPS9_SE_NS0_5tupleIJPjSE_EEENSF_IJSE_SE_EEES9_SG_JZNS1_25segmented_radix_sort_implINS0_14default_configELb1EPK6__halfPSL_PKlPlN2at6native12_GLOBAL__N_18offset_tEEE10hipError_tPvRmT1_PNSt15iterator_traitsISZ_E10value_typeET2_T3_PNS10_IS15_E10value_typeET4_jRbjT5_S1B_jjP12ihipStream_tbEUljE_EEESW_SX_SY_S15_S19_S1B_T6_T7_T9_mT8_S1D_bDpT10_ENKUlT_T0_E_clISt17integral_constantIbLb0EES1Q_EEDaS1L_S1M_EUlS1L_E_NS1_11comp_targetILNS1_3genE8ELNS1_11target_archE1030ELNS1_3gpuE2ELNS1_3repE0EEENS1_30default_config_static_selectorELNS0_4arch9wavefront6targetE0EEEvSZ_
    .private_segment_fixed_size: 0
    .sgpr_count:     0
    .sgpr_spill_count: 0
    .symbol:         _ZN7rocprim17ROCPRIM_400000_NS6detail17trampoline_kernelINS0_13select_configILj256ELj13ELNS0_17block_load_methodE3ELS4_3ELS4_3ELNS0_20block_scan_algorithmE0ELj4294967295EEENS1_25partition_config_selectorILNS1_17partition_subalgoE3EjNS0_10empty_typeEbEEZZNS1_14partition_implILS8_3ELb0ES6_jNS0_17counting_iteratorIjlEEPS9_SE_NS0_5tupleIJPjSE_EEENSF_IJSE_SE_EEES9_SG_JZNS1_25segmented_radix_sort_implINS0_14default_configELb1EPK6__halfPSL_PKlPlN2at6native12_GLOBAL__N_18offset_tEEE10hipError_tPvRmT1_PNSt15iterator_traitsISZ_E10value_typeET2_T3_PNS10_IS15_E10value_typeET4_jRbjT5_S1B_jjP12ihipStream_tbEUljE_EEESW_SX_SY_S15_S19_S1B_T6_T7_T9_mT8_S1D_bDpT10_ENKUlT_T0_E_clISt17integral_constantIbLb0EES1Q_EEDaS1L_S1M_EUlS1L_E_NS1_11comp_targetILNS1_3genE8ELNS1_11target_archE1030ELNS1_3gpuE2ELNS1_3repE0EEENS1_30default_config_static_selectorELNS0_4arch9wavefront6targetE0EEEvSZ_.kd
    .uniform_work_group_size: 1
    .uses_dynamic_stack: false
    .vgpr_count:     0
    .vgpr_spill_count: 0
    .wavefront_size: 32
  - .args:
      - .offset:         0
        .size:           152
        .value_kind:     by_value
    .group_segment_fixed_size: 0
    .kernarg_segment_align: 8
    .kernarg_segment_size: 152
    .language:       OpenCL C
    .language_version:
      - 2
      - 0
    .max_flat_workgroup_size: 256
    .name:           _ZN7rocprim17ROCPRIM_400000_NS6detail17trampoline_kernelINS0_13select_configILj256ELj13ELNS0_17block_load_methodE3ELS4_3ELS4_3ELNS0_20block_scan_algorithmE0ELj4294967295EEENS1_25partition_config_selectorILNS1_17partition_subalgoE3EjNS0_10empty_typeEbEEZZNS1_14partition_implILS8_3ELb0ES6_jNS0_17counting_iteratorIjlEEPS9_SE_NS0_5tupleIJPjSE_EEENSF_IJSE_SE_EEES9_SG_JZNS1_25segmented_radix_sort_implINS0_14default_configELb1EPK6__halfPSL_PKlPlN2at6native12_GLOBAL__N_18offset_tEEE10hipError_tPvRmT1_PNSt15iterator_traitsISZ_E10value_typeET2_T3_PNS10_IS15_E10value_typeET4_jRbjT5_S1B_jjP12ihipStream_tbEUljE_EEESW_SX_SY_S15_S19_S1B_T6_T7_T9_mT8_S1D_bDpT10_ENKUlT_T0_E_clISt17integral_constantIbLb1EES1Q_EEDaS1L_S1M_EUlS1L_E_NS1_11comp_targetILNS1_3genE0ELNS1_11target_archE4294967295ELNS1_3gpuE0ELNS1_3repE0EEENS1_30default_config_static_selectorELNS0_4arch9wavefront6targetE0EEEvSZ_
    .private_segment_fixed_size: 0
    .sgpr_count:     0
    .sgpr_spill_count: 0
    .symbol:         _ZN7rocprim17ROCPRIM_400000_NS6detail17trampoline_kernelINS0_13select_configILj256ELj13ELNS0_17block_load_methodE3ELS4_3ELS4_3ELNS0_20block_scan_algorithmE0ELj4294967295EEENS1_25partition_config_selectorILNS1_17partition_subalgoE3EjNS0_10empty_typeEbEEZZNS1_14partition_implILS8_3ELb0ES6_jNS0_17counting_iteratorIjlEEPS9_SE_NS0_5tupleIJPjSE_EEENSF_IJSE_SE_EEES9_SG_JZNS1_25segmented_radix_sort_implINS0_14default_configELb1EPK6__halfPSL_PKlPlN2at6native12_GLOBAL__N_18offset_tEEE10hipError_tPvRmT1_PNSt15iterator_traitsISZ_E10value_typeET2_T3_PNS10_IS15_E10value_typeET4_jRbjT5_S1B_jjP12ihipStream_tbEUljE_EEESW_SX_SY_S15_S19_S1B_T6_T7_T9_mT8_S1D_bDpT10_ENKUlT_T0_E_clISt17integral_constantIbLb1EES1Q_EEDaS1L_S1M_EUlS1L_E_NS1_11comp_targetILNS1_3genE0ELNS1_11target_archE4294967295ELNS1_3gpuE0ELNS1_3repE0EEENS1_30default_config_static_selectorELNS0_4arch9wavefront6targetE0EEEvSZ_.kd
    .uniform_work_group_size: 1
    .uses_dynamic_stack: false
    .vgpr_count:     0
    .vgpr_spill_count: 0
    .wavefront_size: 32
  - .args:
      - .offset:         0
        .size:           152
        .value_kind:     by_value
    .group_segment_fixed_size: 0
    .kernarg_segment_align: 8
    .kernarg_segment_size: 152
    .language:       OpenCL C
    .language_version:
      - 2
      - 0
    .max_flat_workgroup_size: 256
    .name:           _ZN7rocprim17ROCPRIM_400000_NS6detail17trampoline_kernelINS0_13select_configILj256ELj13ELNS0_17block_load_methodE3ELS4_3ELS4_3ELNS0_20block_scan_algorithmE0ELj4294967295EEENS1_25partition_config_selectorILNS1_17partition_subalgoE3EjNS0_10empty_typeEbEEZZNS1_14partition_implILS8_3ELb0ES6_jNS0_17counting_iteratorIjlEEPS9_SE_NS0_5tupleIJPjSE_EEENSF_IJSE_SE_EEES9_SG_JZNS1_25segmented_radix_sort_implINS0_14default_configELb1EPK6__halfPSL_PKlPlN2at6native12_GLOBAL__N_18offset_tEEE10hipError_tPvRmT1_PNSt15iterator_traitsISZ_E10value_typeET2_T3_PNS10_IS15_E10value_typeET4_jRbjT5_S1B_jjP12ihipStream_tbEUljE_EEESW_SX_SY_S15_S19_S1B_T6_T7_T9_mT8_S1D_bDpT10_ENKUlT_T0_E_clISt17integral_constantIbLb1EES1Q_EEDaS1L_S1M_EUlS1L_E_NS1_11comp_targetILNS1_3genE5ELNS1_11target_archE942ELNS1_3gpuE9ELNS1_3repE0EEENS1_30default_config_static_selectorELNS0_4arch9wavefront6targetE0EEEvSZ_
    .private_segment_fixed_size: 0
    .sgpr_count:     0
    .sgpr_spill_count: 0
    .symbol:         _ZN7rocprim17ROCPRIM_400000_NS6detail17trampoline_kernelINS0_13select_configILj256ELj13ELNS0_17block_load_methodE3ELS4_3ELS4_3ELNS0_20block_scan_algorithmE0ELj4294967295EEENS1_25partition_config_selectorILNS1_17partition_subalgoE3EjNS0_10empty_typeEbEEZZNS1_14partition_implILS8_3ELb0ES6_jNS0_17counting_iteratorIjlEEPS9_SE_NS0_5tupleIJPjSE_EEENSF_IJSE_SE_EEES9_SG_JZNS1_25segmented_radix_sort_implINS0_14default_configELb1EPK6__halfPSL_PKlPlN2at6native12_GLOBAL__N_18offset_tEEE10hipError_tPvRmT1_PNSt15iterator_traitsISZ_E10value_typeET2_T3_PNS10_IS15_E10value_typeET4_jRbjT5_S1B_jjP12ihipStream_tbEUljE_EEESW_SX_SY_S15_S19_S1B_T6_T7_T9_mT8_S1D_bDpT10_ENKUlT_T0_E_clISt17integral_constantIbLb1EES1Q_EEDaS1L_S1M_EUlS1L_E_NS1_11comp_targetILNS1_3genE5ELNS1_11target_archE942ELNS1_3gpuE9ELNS1_3repE0EEENS1_30default_config_static_selectorELNS0_4arch9wavefront6targetE0EEEvSZ_.kd
    .uniform_work_group_size: 1
    .uses_dynamic_stack: false
    .vgpr_count:     0
    .vgpr_spill_count: 0
    .wavefront_size: 32
  - .args:
      - .offset:         0
        .size:           152
        .value_kind:     by_value
    .group_segment_fixed_size: 0
    .kernarg_segment_align: 8
    .kernarg_segment_size: 152
    .language:       OpenCL C
    .language_version:
      - 2
      - 0
    .max_flat_workgroup_size: 256
    .name:           _ZN7rocprim17ROCPRIM_400000_NS6detail17trampoline_kernelINS0_13select_configILj256ELj13ELNS0_17block_load_methodE3ELS4_3ELS4_3ELNS0_20block_scan_algorithmE0ELj4294967295EEENS1_25partition_config_selectorILNS1_17partition_subalgoE3EjNS0_10empty_typeEbEEZZNS1_14partition_implILS8_3ELb0ES6_jNS0_17counting_iteratorIjlEEPS9_SE_NS0_5tupleIJPjSE_EEENSF_IJSE_SE_EEES9_SG_JZNS1_25segmented_radix_sort_implINS0_14default_configELb1EPK6__halfPSL_PKlPlN2at6native12_GLOBAL__N_18offset_tEEE10hipError_tPvRmT1_PNSt15iterator_traitsISZ_E10value_typeET2_T3_PNS10_IS15_E10value_typeET4_jRbjT5_S1B_jjP12ihipStream_tbEUljE_EEESW_SX_SY_S15_S19_S1B_T6_T7_T9_mT8_S1D_bDpT10_ENKUlT_T0_E_clISt17integral_constantIbLb1EES1Q_EEDaS1L_S1M_EUlS1L_E_NS1_11comp_targetILNS1_3genE4ELNS1_11target_archE910ELNS1_3gpuE8ELNS1_3repE0EEENS1_30default_config_static_selectorELNS0_4arch9wavefront6targetE0EEEvSZ_
    .private_segment_fixed_size: 0
    .sgpr_count:     0
    .sgpr_spill_count: 0
    .symbol:         _ZN7rocprim17ROCPRIM_400000_NS6detail17trampoline_kernelINS0_13select_configILj256ELj13ELNS0_17block_load_methodE3ELS4_3ELS4_3ELNS0_20block_scan_algorithmE0ELj4294967295EEENS1_25partition_config_selectorILNS1_17partition_subalgoE3EjNS0_10empty_typeEbEEZZNS1_14partition_implILS8_3ELb0ES6_jNS0_17counting_iteratorIjlEEPS9_SE_NS0_5tupleIJPjSE_EEENSF_IJSE_SE_EEES9_SG_JZNS1_25segmented_radix_sort_implINS0_14default_configELb1EPK6__halfPSL_PKlPlN2at6native12_GLOBAL__N_18offset_tEEE10hipError_tPvRmT1_PNSt15iterator_traitsISZ_E10value_typeET2_T3_PNS10_IS15_E10value_typeET4_jRbjT5_S1B_jjP12ihipStream_tbEUljE_EEESW_SX_SY_S15_S19_S1B_T6_T7_T9_mT8_S1D_bDpT10_ENKUlT_T0_E_clISt17integral_constantIbLb1EES1Q_EEDaS1L_S1M_EUlS1L_E_NS1_11comp_targetILNS1_3genE4ELNS1_11target_archE910ELNS1_3gpuE8ELNS1_3repE0EEENS1_30default_config_static_selectorELNS0_4arch9wavefront6targetE0EEEvSZ_.kd
    .uniform_work_group_size: 1
    .uses_dynamic_stack: false
    .vgpr_count:     0
    .vgpr_spill_count: 0
    .wavefront_size: 32
  - .args:
      - .offset:         0
        .size:           152
        .value_kind:     by_value
    .group_segment_fixed_size: 0
    .kernarg_segment_align: 8
    .kernarg_segment_size: 152
    .language:       OpenCL C
    .language_version:
      - 2
      - 0
    .max_flat_workgroup_size: 256
    .name:           _ZN7rocprim17ROCPRIM_400000_NS6detail17trampoline_kernelINS0_13select_configILj256ELj13ELNS0_17block_load_methodE3ELS4_3ELS4_3ELNS0_20block_scan_algorithmE0ELj4294967295EEENS1_25partition_config_selectorILNS1_17partition_subalgoE3EjNS0_10empty_typeEbEEZZNS1_14partition_implILS8_3ELb0ES6_jNS0_17counting_iteratorIjlEEPS9_SE_NS0_5tupleIJPjSE_EEENSF_IJSE_SE_EEES9_SG_JZNS1_25segmented_radix_sort_implINS0_14default_configELb1EPK6__halfPSL_PKlPlN2at6native12_GLOBAL__N_18offset_tEEE10hipError_tPvRmT1_PNSt15iterator_traitsISZ_E10value_typeET2_T3_PNS10_IS15_E10value_typeET4_jRbjT5_S1B_jjP12ihipStream_tbEUljE_EEESW_SX_SY_S15_S19_S1B_T6_T7_T9_mT8_S1D_bDpT10_ENKUlT_T0_E_clISt17integral_constantIbLb1EES1Q_EEDaS1L_S1M_EUlS1L_E_NS1_11comp_targetILNS1_3genE3ELNS1_11target_archE908ELNS1_3gpuE7ELNS1_3repE0EEENS1_30default_config_static_selectorELNS0_4arch9wavefront6targetE0EEEvSZ_
    .private_segment_fixed_size: 0
    .sgpr_count:     0
    .sgpr_spill_count: 0
    .symbol:         _ZN7rocprim17ROCPRIM_400000_NS6detail17trampoline_kernelINS0_13select_configILj256ELj13ELNS0_17block_load_methodE3ELS4_3ELS4_3ELNS0_20block_scan_algorithmE0ELj4294967295EEENS1_25partition_config_selectorILNS1_17partition_subalgoE3EjNS0_10empty_typeEbEEZZNS1_14partition_implILS8_3ELb0ES6_jNS0_17counting_iteratorIjlEEPS9_SE_NS0_5tupleIJPjSE_EEENSF_IJSE_SE_EEES9_SG_JZNS1_25segmented_radix_sort_implINS0_14default_configELb1EPK6__halfPSL_PKlPlN2at6native12_GLOBAL__N_18offset_tEEE10hipError_tPvRmT1_PNSt15iterator_traitsISZ_E10value_typeET2_T3_PNS10_IS15_E10value_typeET4_jRbjT5_S1B_jjP12ihipStream_tbEUljE_EEESW_SX_SY_S15_S19_S1B_T6_T7_T9_mT8_S1D_bDpT10_ENKUlT_T0_E_clISt17integral_constantIbLb1EES1Q_EEDaS1L_S1M_EUlS1L_E_NS1_11comp_targetILNS1_3genE3ELNS1_11target_archE908ELNS1_3gpuE7ELNS1_3repE0EEENS1_30default_config_static_selectorELNS0_4arch9wavefront6targetE0EEEvSZ_.kd
    .uniform_work_group_size: 1
    .uses_dynamic_stack: false
    .vgpr_count:     0
    .vgpr_spill_count: 0
    .wavefront_size: 32
  - .args:
      - .offset:         0
        .size:           152
        .value_kind:     by_value
    .group_segment_fixed_size: 0
    .kernarg_segment_align: 8
    .kernarg_segment_size: 152
    .language:       OpenCL C
    .language_version:
      - 2
      - 0
    .max_flat_workgroup_size: 256
    .name:           _ZN7rocprim17ROCPRIM_400000_NS6detail17trampoline_kernelINS0_13select_configILj256ELj13ELNS0_17block_load_methodE3ELS4_3ELS4_3ELNS0_20block_scan_algorithmE0ELj4294967295EEENS1_25partition_config_selectorILNS1_17partition_subalgoE3EjNS0_10empty_typeEbEEZZNS1_14partition_implILS8_3ELb0ES6_jNS0_17counting_iteratorIjlEEPS9_SE_NS0_5tupleIJPjSE_EEENSF_IJSE_SE_EEES9_SG_JZNS1_25segmented_radix_sort_implINS0_14default_configELb1EPK6__halfPSL_PKlPlN2at6native12_GLOBAL__N_18offset_tEEE10hipError_tPvRmT1_PNSt15iterator_traitsISZ_E10value_typeET2_T3_PNS10_IS15_E10value_typeET4_jRbjT5_S1B_jjP12ihipStream_tbEUljE_EEESW_SX_SY_S15_S19_S1B_T6_T7_T9_mT8_S1D_bDpT10_ENKUlT_T0_E_clISt17integral_constantIbLb1EES1Q_EEDaS1L_S1M_EUlS1L_E_NS1_11comp_targetILNS1_3genE2ELNS1_11target_archE906ELNS1_3gpuE6ELNS1_3repE0EEENS1_30default_config_static_selectorELNS0_4arch9wavefront6targetE0EEEvSZ_
    .private_segment_fixed_size: 0
    .sgpr_count:     0
    .sgpr_spill_count: 0
    .symbol:         _ZN7rocprim17ROCPRIM_400000_NS6detail17trampoline_kernelINS0_13select_configILj256ELj13ELNS0_17block_load_methodE3ELS4_3ELS4_3ELNS0_20block_scan_algorithmE0ELj4294967295EEENS1_25partition_config_selectorILNS1_17partition_subalgoE3EjNS0_10empty_typeEbEEZZNS1_14partition_implILS8_3ELb0ES6_jNS0_17counting_iteratorIjlEEPS9_SE_NS0_5tupleIJPjSE_EEENSF_IJSE_SE_EEES9_SG_JZNS1_25segmented_radix_sort_implINS0_14default_configELb1EPK6__halfPSL_PKlPlN2at6native12_GLOBAL__N_18offset_tEEE10hipError_tPvRmT1_PNSt15iterator_traitsISZ_E10value_typeET2_T3_PNS10_IS15_E10value_typeET4_jRbjT5_S1B_jjP12ihipStream_tbEUljE_EEESW_SX_SY_S15_S19_S1B_T6_T7_T9_mT8_S1D_bDpT10_ENKUlT_T0_E_clISt17integral_constantIbLb1EES1Q_EEDaS1L_S1M_EUlS1L_E_NS1_11comp_targetILNS1_3genE2ELNS1_11target_archE906ELNS1_3gpuE6ELNS1_3repE0EEENS1_30default_config_static_selectorELNS0_4arch9wavefront6targetE0EEEvSZ_.kd
    .uniform_work_group_size: 1
    .uses_dynamic_stack: false
    .vgpr_count:     0
    .vgpr_spill_count: 0
    .wavefront_size: 32
  - .args:
      - .offset:         0
        .size:           152
        .value_kind:     by_value
    .group_segment_fixed_size: 0
    .kernarg_segment_align: 8
    .kernarg_segment_size: 152
    .language:       OpenCL C
    .language_version:
      - 2
      - 0
    .max_flat_workgroup_size: 256
    .name:           _ZN7rocprim17ROCPRIM_400000_NS6detail17trampoline_kernelINS0_13select_configILj256ELj13ELNS0_17block_load_methodE3ELS4_3ELS4_3ELNS0_20block_scan_algorithmE0ELj4294967295EEENS1_25partition_config_selectorILNS1_17partition_subalgoE3EjNS0_10empty_typeEbEEZZNS1_14partition_implILS8_3ELb0ES6_jNS0_17counting_iteratorIjlEEPS9_SE_NS0_5tupleIJPjSE_EEENSF_IJSE_SE_EEES9_SG_JZNS1_25segmented_radix_sort_implINS0_14default_configELb1EPK6__halfPSL_PKlPlN2at6native12_GLOBAL__N_18offset_tEEE10hipError_tPvRmT1_PNSt15iterator_traitsISZ_E10value_typeET2_T3_PNS10_IS15_E10value_typeET4_jRbjT5_S1B_jjP12ihipStream_tbEUljE_EEESW_SX_SY_S15_S19_S1B_T6_T7_T9_mT8_S1D_bDpT10_ENKUlT_T0_E_clISt17integral_constantIbLb1EES1Q_EEDaS1L_S1M_EUlS1L_E_NS1_11comp_targetILNS1_3genE10ELNS1_11target_archE1200ELNS1_3gpuE4ELNS1_3repE0EEENS1_30default_config_static_selectorELNS0_4arch9wavefront6targetE0EEEvSZ_
    .private_segment_fixed_size: 0
    .sgpr_count:     0
    .sgpr_spill_count: 0
    .symbol:         _ZN7rocprim17ROCPRIM_400000_NS6detail17trampoline_kernelINS0_13select_configILj256ELj13ELNS0_17block_load_methodE3ELS4_3ELS4_3ELNS0_20block_scan_algorithmE0ELj4294967295EEENS1_25partition_config_selectorILNS1_17partition_subalgoE3EjNS0_10empty_typeEbEEZZNS1_14partition_implILS8_3ELb0ES6_jNS0_17counting_iteratorIjlEEPS9_SE_NS0_5tupleIJPjSE_EEENSF_IJSE_SE_EEES9_SG_JZNS1_25segmented_radix_sort_implINS0_14default_configELb1EPK6__halfPSL_PKlPlN2at6native12_GLOBAL__N_18offset_tEEE10hipError_tPvRmT1_PNSt15iterator_traitsISZ_E10value_typeET2_T3_PNS10_IS15_E10value_typeET4_jRbjT5_S1B_jjP12ihipStream_tbEUljE_EEESW_SX_SY_S15_S19_S1B_T6_T7_T9_mT8_S1D_bDpT10_ENKUlT_T0_E_clISt17integral_constantIbLb1EES1Q_EEDaS1L_S1M_EUlS1L_E_NS1_11comp_targetILNS1_3genE10ELNS1_11target_archE1200ELNS1_3gpuE4ELNS1_3repE0EEENS1_30default_config_static_selectorELNS0_4arch9wavefront6targetE0EEEvSZ_.kd
    .uniform_work_group_size: 1
    .uses_dynamic_stack: false
    .vgpr_count:     0
    .vgpr_spill_count: 0
    .wavefront_size: 32
  - .args:
      - .offset:         0
        .size:           152
        .value_kind:     by_value
    .group_segment_fixed_size: 0
    .kernarg_segment_align: 8
    .kernarg_segment_size: 152
    .language:       OpenCL C
    .language_version:
      - 2
      - 0
    .max_flat_workgroup_size: 256
    .name:           _ZN7rocprim17ROCPRIM_400000_NS6detail17trampoline_kernelINS0_13select_configILj256ELj13ELNS0_17block_load_methodE3ELS4_3ELS4_3ELNS0_20block_scan_algorithmE0ELj4294967295EEENS1_25partition_config_selectorILNS1_17partition_subalgoE3EjNS0_10empty_typeEbEEZZNS1_14partition_implILS8_3ELb0ES6_jNS0_17counting_iteratorIjlEEPS9_SE_NS0_5tupleIJPjSE_EEENSF_IJSE_SE_EEES9_SG_JZNS1_25segmented_radix_sort_implINS0_14default_configELb1EPK6__halfPSL_PKlPlN2at6native12_GLOBAL__N_18offset_tEEE10hipError_tPvRmT1_PNSt15iterator_traitsISZ_E10value_typeET2_T3_PNS10_IS15_E10value_typeET4_jRbjT5_S1B_jjP12ihipStream_tbEUljE_EEESW_SX_SY_S15_S19_S1B_T6_T7_T9_mT8_S1D_bDpT10_ENKUlT_T0_E_clISt17integral_constantIbLb1EES1Q_EEDaS1L_S1M_EUlS1L_E_NS1_11comp_targetILNS1_3genE9ELNS1_11target_archE1100ELNS1_3gpuE3ELNS1_3repE0EEENS1_30default_config_static_selectorELNS0_4arch9wavefront6targetE0EEEvSZ_
    .private_segment_fixed_size: 0
    .sgpr_count:     0
    .sgpr_spill_count: 0
    .symbol:         _ZN7rocprim17ROCPRIM_400000_NS6detail17trampoline_kernelINS0_13select_configILj256ELj13ELNS0_17block_load_methodE3ELS4_3ELS4_3ELNS0_20block_scan_algorithmE0ELj4294967295EEENS1_25partition_config_selectorILNS1_17partition_subalgoE3EjNS0_10empty_typeEbEEZZNS1_14partition_implILS8_3ELb0ES6_jNS0_17counting_iteratorIjlEEPS9_SE_NS0_5tupleIJPjSE_EEENSF_IJSE_SE_EEES9_SG_JZNS1_25segmented_radix_sort_implINS0_14default_configELb1EPK6__halfPSL_PKlPlN2at6native12_GLOBAL__N_18offset_tEEE10hipError_tPvRmT1_PNSt15iterator_traitsISZ_E10value_typeET2_T3_PNS10_IS15_E10value_typeET4_jRbjT5_S1B_jjP12ihipStream_tbEUljE_EEESW_SX_SY_S15_S19_S1B_T6_T7_T9_mT8_S1D_bDpT10_ENKUlT_T0_E_clISt17integral_constantIbLb1EES1Q_EEDaS1L_S1M_EUlS1L_E_NS1_11comp_targetILNS1_3genE9ELNS1_11target_archE1100ELNS1_3gpuE3ELNS1_3repE0EEENS1_30default_config_static_selectorELNS0_4arch9wavefront6targetE0EEEvSZ_.kd
    .uniform_work_group_size: 1
    .uses_dynamic_stack: false
    .vgpr_count:     0
    .vgpr_spill_count: 0
    .wavefront_size: 32
  - .args:
      - .offset:         0
        .size:           152
        .value_kind:     by_value
    .group_segment_fixed_size: 0
    .kernarg_segment_align: 8
    .kernarg_segment_size: 152
    .language:       OpenCL C
    .language_version:
      - 2
      - 0
    .max_flat_workgroup_size: 256
    .name:           _ZN7rocprim17ROCPRIM_400000_NS6detail17trampoline_kernelINS0_13select_configILj256ELj13ELNS0_17block_load_methodE3ELS4_3ELS4_3ELNS0_20block_scan_algorithmE0ELj4294967295EEENS1_25partition_config_selectorILNS1_17partition_subalgoE3EjNS0_10empty_typeEbEEZZNS1_14partition_implILS8_3ELb0ES6_jNS0_17counting_iteratorIjlEEPS9_SE_NS0_5tupleIJPjSE_EEENSF_IJSE_SE_EEES9_SG_JZNS1_25segmented_radix_sort_implINS0_14default_configELb1EPK6__halfPSL_PKlPlN2at6native12_GLOBAL__N_18offset_tEEE10hipError_tPvRmT1_PNSt15iterator_traitsISZ_E10value_typeET2_T3_PNS10_IS15_E10value_typeET4_jRbjT5_S1B_jjP12ihipStream_tbEUljE_EEESW_SX_SY_S15_S19_S1B_T6_T7_T9_mT8_S1D_bDpT10_ENKUlT_T0_E_clISt17integral_constantIbLb1EES1Q_EEDaS1L_S1M_EUlS1L_E_NS1_11comp_targetILNS1_3genE8ELNS1_11target_archE1030ELNS1_3gpuE2ELNS1_3repE0EEENS1_30default_config_static_selectorELNS0_4arch9wavefront6targetE0EEEvSZ_
    .private_segment_fixed_size: 0
    .sgpr_count:     0
    .sgpr_spill_count: 0
    .symbol:         _ZN7rocprim17ROCPRIM_400000_NS6detail17trampoline_kernelINS0_13select_configILj256ELj13ELNS0_17block_load_methodE3ELS4_3ELS4_3ELNS0_20block_scan_algorithmE0ELj4294967295EEENS1_25partition_config_selectorILNS1_17partition_subalgoE3EjNS0_10empty_typeEbEEZZNS1_14partition_implILS8_3ELb0ES6_jNS0_17counting_iteratorIjlEEPS9_SE_NS0_5tupleIJPjSE_EEENSF_IJSE_SE_EEES9_SG_JZNS1_25segmented_radix_sort_implINS0_14default_configELb1EPK6__halfPSL_PKlPlN2at6native12_GLOBAL__N_18offset_tEEE10hipError_tPvRmT1_PNSt15iterator_traitsISZ_E10value_typeET2_T3_PNS10_IS15_E10value_typeET4_jRbjT5_S1B_jjP12ihipStream_tbEUljE_EEESW_SX_SY_S15_S19_S1B_T6_T7_T9_mT8_S1D_bDpT10_ENKUlT_T0_E_clISt17integral_constantIbLb1EES1Q_EEDaS1L_S1M_EUlS1L_E_NS1_11comp_targetILNS1_3genE8ELNS1_11target_archE1030ELNS1_3gpuE2ELNS1_3repE0EEENS1_30default_config_static_selectorELNS0_4arch9wavefront6targetE0EEEvSZ_.kd
    .uniform_work_group_size: 1
    .uses_dynamic_stack: false
    .vgpr_count:     0
    .vgpr_spill_count: 0
    .wavefront_size: 32
  - .args:
      - .offset:         0
        .size:           144
        .value_kind:     by_value
    .group_segment_fixed_size: 0
    .kernarg_segment_align: 8
    .kernarg_segment_size: 144
    .language:       OpenCL C
    .language_version:
      - 2
      - 0
    .max_flat_workgroup_size: 256
    .name:           _ZN7rocprim17ROCPRIM_400000_NS6detail17trampoline_kernelINS0_13select_configILj256ELj13ELNS0_17block_load_methodE3ELS4_3ELS4_3ELNS0_20block_scan_algorithmE0ELj4294967295EEENS1_25partition_config_selectorILNS1_17partition_subalgoE3EjNS0_10empty_typeEbEEZZNS1_14partition_implILS8_3ELb0ES6_jNS0_17counting_iteratorIjlEEPS9_SE_NS0_5tupleIJPjSE_EEENSF_IJSE_SE_EEES9_SG_JZNS1_25segmented_radix_sort_implINS0_14default_configELb1EPK6__halfPSL_PKlPlN2at6native12_GLOBAL__N_18offset_tEEE10hipError_tPvRmT1_PNSt15iterator_traitsISZ_E10value_typeET2_T3_PNS10_IS15_E10value_typeET4_jRbjT5_S1B_jjP12ihipStream_tbEUljE_EEESW_SX_SY_S15_S19_S1B_T6_T7_T9_mT8_S1D_bDpT10_ENKUlT_T0_E_clISt17integral_constantIbLb1EES1P_IbLb0EEEEDaS1L_S1M_EUlS1L_E_NS1_11comp_targetILNS1_3genE0ELNS1_11target_archE4294967295ELNS1_3gpuE0ELNS1_3repE0EEENS1_30default_config_static_selectorELNS0_4arch9wavefront6targetE0EEEvSZ_
    .private_segment_fixed_size: 0
    .sgpr_count:     0
    .sgpr_spill_count: 0
    .symbol:         _ZN7rocprim17ROCPRIM_400000_NS6detail17trampoline_kernelINS0_13select_configILj256ELj13ELNS0_17block_load_methodE3ELS4_3ELS4_3ELNS0_20block_scan_algorithmE0ELj4294967295EEENS1_25partition_config_selectorILNS1_17partition_subalgoE3EjNS0_10empty_typeEbEEZZNS1_14partition_implILS8_3ELb0ES6_jNS0_17counting_iteratorIjlEEPS9_SE_NS0_5tupleIJPjSE_EEENSF_IJSE_SE_EEES9_SG_JZNS1_25segmented_radix_sort_implINS0_14default_configELb1EPK6__halfPSL_PKlPlN2at6native12_GLOBAL__N_18offset_tEEE10hipError_tPvRmT1_PNSt15iterator_traitsISZ_E10value_typeET2_T3_PNS10_IS15_E10value_typeET4_jRbjT5_S1B_jjP12ihipStream_tbEUljE_EEESW_SX_SY_S15_S19_S1B_T6_T7_T9_mT8_S1D_bDpT10_ENKUlT_T0_E_clISt17integral_constantIbLb1EES1P_IbLb0EEEEDaS1L_S1M_EUlS1L_E_NS1_11comp_targetILNS1_3genE0ELNS1_11target_archE4294967295ELNS1_3gpuE0ELNS1_3repE0EEENS1_30default_config_static_selectorELNS0_4arch9wavefront6targetE0EEEvSZ_.kd
    .uniform_work_group_size: 1
    .uses_dynamic_stack: false
    .vgpr_count:     0
    .vgpr_spill_count: 0
    .wavefront_size: 32
  - .args:
      - .offset:         0
        .size:           144
        .value_kind:     by_value
    .group_segment_fixed_size: 0
    .kernarg_segment_align: 8
    .kernarg_segment_size: 144
    .language:       OpenCL C
    .language_version:
      - 2
      - 0
    .max_flat_workgroup_size: 256
    .name:           _ZN7rocprim17ROCPRIM_400000_NS6detail17trampoline_kernelINS0_13select_configILj256ELj13ELNS0_17block_load_methodE3ELS4_3ELS4_3ELNS0_20block_scan_algorithmE0ELj4294967295EEENS1_25partition_config_selectorILNS1_17partition_subalgoE3EjNS0_10empty_typeEbEEZZNS1_14partition_implILS8_3ELb0ES6_jNS0_17counting_iteratorIjlEEPS9_SE_NS0_5tupleIJPjSE_EEENSF_IJSE_SE_EEES9_SG_JZNS1_25segmented_radix_sort_implINS0_14default_configELb1EPK6__halfPSL_PKlPlN2at6native12_GLOBAL__N_18offset_tEEE10hipError_tPvRmT1_PNSt15iterator_traitsISZ_E10value_typeET2_T3_PNS10_IS15_E10value_typeET4_jRbjT5_S1B_jjP12ihipStream_tbEUljE_EEESW_SX_SY_S15_S19_S1B_T6_T7_T9_mT8_S1D_bDpT10_ENKUlT_T0_E_clISt17integral_constantIbLb1EES1P_IbLb0EEEEDaS1L_S1M_EUlS1L_E_NS1_11comp_targetILNS1_3genE5ELNS1_11target_archE942ELNS1_3gpuE9ELNS1_3repE0EEENS1_30default_config_static_selectorELNS0_4arch9wavefront6targetE0EEEvSZ_
    .private_segment_fixed_size: 0
    .sgpr_count:     0
    .sgpr_spill_count: 0
    .symbol:         _ZN7rocprim17ROCPRIM_400000_NS6detail17trampoline_kernelINS0_13select_configILj256ELj13ELNS0_17block_load_methodE3ELS4_3ELS4_3ELNS0_20block_scan_algorithmE0ELj4294967295EEENS1_25partition_config_selectorILNS1_17partition_subalgoE3EjNS0_10empty_typeEbEEZZNS1_14partition_implILS8_3ELb0ES6_jNS0_17counting_iteratorIjlEEPS9_SE_NS0_5tupleIJPjSE_EEENSF_IJSE_SE_EEES9_SG_JZNS1_25segmented_radix_sort_implINS0_14default_configELb1EPK6__halfPSL_PKlPlN2at6native12_GLOBAL__N_18offset_tEEE10hipError_tPvRmT1_PNSt15iterator_traitsISZ_E10value_typeET2_T3_PNS10_IS15_E10value_typeET4_jRbjT5_S1B_jjP12ihipStream_tbEUljE_EEESW_SX_SY_S15_S19_S1B_T6_T7_T9_mT8_S1D_bDpT10_ENKUlT_T0_E_clISt17integral_constantIbLb1EES1P_IbLb0EEEEDaS1L_S1M_EUlS1L_E_NS1_11comp_targetILNS1_3genE5ELNS1_11target_archE942ELNS1_3gpuE9ELNS1_3repE0EEENS1_30default_config_static_selectorELNS0_4arch9wavefront6targetE0EEEvSZ_.kd
    .uniform_work_group_size: 1
    .uses_dynamic_stack: false
    .vgpr_count:     0
    .vgpr_spill_count: 0
    .wavefront_size: 32
  - .args:
      - .offset:         0
        .size:           144
        .value_kind:     by_value
    .group_segment_fixed_size: 0
    .kernarg_segment_align: 8
    .kernarg_segment_size: 144
    .language:       OpenCL C
    .language_version:
      - 2
      - 0
    .max_flat_workgroup_size: 256
    .name:           _ZN7rocprim17ROCPRIM_400000_NS6detail17trampoline_kernelINS0_13select_configILj256ELj13ELNS0_17block_load_methodE3ELS4_3ELS4_3ELNS0_20block_scan_algorithmE0ELj4294967295EEENS1_25partition_config_selectorILNS1_17partition_subalgoE3EjNS0_10empty_typeEbEEZZNS1_14partition_implILS8_3ELb0ES6_jNS0_17counting_iteratorIjlEEPS9_SE_NS0_5tupleIJPjSE_EEENSF_IJSE_SE_EEES9_SG_JZNS1_25segmented_radix_sort_implINS0_14default_configELb1EPK6__halfPSL_PKlPlN2at6native12_GLOBAL__N_18offset_tEEE10hipError_tPvRmT1_PNSt15iterator_traitsISZ_E10value_typeET2_T3_PNS10_IS15_E10value_typeET4_jRbjT5_S1B_jjP12ihipStream_tbEUljE_EEESW_SX_SY_S15_S19_S1B_T6_T7_T9_mT8_S1D_bDpT10_ENKUlT_T0_E_clISt17integral_constantIbLb1EES1P_IbLb0EEEEDaS1L_S1M_EUlS1L_E_NS1_11comp_targetILNS1_3genE4ELNS1_11target_archE910ELNS1_3gpuE8ELNS1_3repE0EEENS1_30default_config_static_selectorELNS0_4arch9wavefront6targetE0EEEvSZ_
    .private_segment_fixed_size: 0
    .sgpr_count:     0
    .sgpr_spill_count: 0
    .symbol:         _ZN7rocprim17ROCPRIM_400000_NS6detail17trampoline_kernelINS0_13select_configILj256ELj13ELNS0_17block_load_methodE3ELS4_3ELS4_3ELNS0_20block_scan_algorithmE0ELj4294967295EEENS1_25partition_config_selectorILNS1_17partition_subalgoE3EjNS0_10empty_typeEbEEZZNS1_14partition_implILS8_3ELb0ES6_jNS0_17counting_iteratorIjlEEPS9_SE_NS0_5tupleIJPjSE_EEENSF_IJSE_SE_EEES9_SG_JZNS1_25segmented_radix_sort_implINS0_14default_configELb1EPK6__halfPSL_PKlPlN2at6native12_GLOBAL__N_18offset_tEEE10hipError_tPvRmT1_PNSt15iterator_traitsISZ_E10value_typeET2_T3_PNS10_IS15_E10value_typeET4_jRbjT5_S1B_jjP12ihipStream_tbEUljE_EEESW_SX_SY_S15_S19_S1B_T6_T7_T9_mT8_S1D_bDpT10_ENKUlT_T0_E_clISt17integral_constantIbLb1EES1P_IbLb0EEEEDaS1L_S1M_EUlS1L_E_NS1_11comp_targetILNS1_3genE4ELNS1_11target_archE910ELNS1_3gpuE8ELNS1_3repE0EEENS1_30default_config_static_selectorELNS0_4arch9wavefront6targetE0EEEvSZ_.kd
    .uniform_work_group_size: 1
    .uses_dynamic_stack: false
    .vgpr_count:     0
    .vgpr_spill_count: 0
    .wavefront_size: 32
  - .args:
      - .offset:         0
        .size:           144
        .value_kind:     by_value
    .group_segment_fixed_size: 0
    .kernarg_segment_align: 8
    .kernarg_segment_size: 144
    .language:       OpenCL C
    .language_version:
      - 2
      - 0
    .max_flat_workgroup_size: 256
    .name:           _ZN7rocprim17ROCPRIM_400000_NS6detail17trampoline_kernelINS0_13select_configILj256ELj13ELNS0_17block_load_methodE3ELS4_3ELS4_3ELNS0_20block_scan_algorithmE0ELj4294967295EEENS1_25partition_config_selectorILNS1_17partition_subalgoE3EjNS0_10empty_typeEbEEZZNS1_14partition_implILS8_3ELb0ES6_jNS0_17counting_iteratorIjlEEPS9_SE_NS0_5tupleIJPjSE_EEENSF_IJSE_SE_EEES9_SG_JZNS1_25segmented_radix_sort_implINS0_14default_configELb1EPK6__halfPSL_PKlPlN2at6native12_GLOBAL__N_18offset_tEEE10hipError_tPvRmT1_PNSt15iterator_traitsISZ_E10value_typeET2_T3_PNS10_IS15_E10value_typeET4_jRbjT5_S1B_jjP12ihipStream_tbEUljE_EEESW_SX_SY_S15_S19_S1B_T6_T7_T9_mT8_S1D_bDpT10_ENKUlT_T0_E_clISt17integral_constantIbLb1EES1P_IbLb0EEEEDaS1L_S1M_EUlS1L_E_NS1_11comp_targetILNS1_3genE3ELNS1_11target_archE908ELNS1_3gpuE7ELNS1_3repE0EEENS1_30default_config_static_selectorELNS0_4arch9wavefront6targetE0EEEvSZ_
    .private_segment_fixed_size: 0
    .sgpr_count:     0
    .sgpr_spill_count: 0
    .symbol:         _ZN7rocprim17ROCPRIM_400000_NS6detail17trampoline_kernelINS0_13select_configILj256ELj13ELNS0_17block_load_methodE3ELS4_3ELS4_3ELNS0_20block_scan_algorithmE0ELj4294967295EEENS1_25partition_config_selectorILNS1_17partition_subalgoE3EjNS0_10empty_typeEbEEZZNS1_14partition_implILS8_3ELb0ES6_jNS0_17counting_iteratorIjlEEPS9_SE_NS0_5tupleIJPjSE_EEENSF_IJSE_SE_EEES9_SG_JZNS1_25segmented_radix_sort_implINS0_14default_configELb1EPK6__halfPSL_PKlPlN2at6native12_GLOBAL__N_18offset_tEEE10hipError_tPvRmT1_PNSt15iterator_traitsISZ_E10value_typeET2_T3_PNS10_IS15_E10value_typeET4_jRbjT5_S1B_jjP12ihipStream_tbEUljE_EEESW_SX_SY_S15_S19_S1B_T6_T7_T9_mT8_S1D_bDpT10_ENKUlT_T0_E_clISt17integral_constantIbLb1EES1P_IbLb0EEEEDaS1L_S1M_EUlS1L_E_NS1_11comp_targetILNS1_3genE3ELNS1_11target_archE908ELNS1_3gpuE7ELNS1_3repE0EEENS1_30default_config_static_selectorELNS0_4arch9wavefront6targetE0EEEvSZ_.kd
    .uniform_work_group_size: 1
    .uses_dynamic_stack: false
    .vgpr_count:     0
    .vgpr_spill_count: 0
    .wavefront_size: 32
  - .args:
      - .offset:         0
        .size:           144
        .value_kind:     by_value
    .group_segment_fixed_size: 0
    .kernarg_segment_align: 8
    .kernarg_segment_size: 144
    .language:       OpenCL C
    .language_version:
      - 2
      - 0
    .max_flat_workgroup_size: 256
    .name:           _ZN7rocprim17ROCPRIM_400000_NS6detail17trampoline_kernelINS0_13select_configILj256ELj13ELNS0_17block_load_methodE3ELS4_3ELS4_3ELNS0_20block_scan_algorithmE0ELj4294967295EEENS1_25partition_config_selectorILNS1_17partition_subalgoE3EjNS0_10empty_typeEbEEZZNS1_14partition_implILS8_3ELb0ES6_jNS0_17counting_iteratorIjlEEPS9_SE_NS0_5tupleIJPjSE_EEENSF_IJSE_SE_EEES9_SG_JZNS1_25segmented_radix_sort_implINS0_14default_configELb1EPK6__halfPSL_PKlPlN2at6native12_GLOBAL__N_18offset_tEEE10hipError_tPvRmT1_PNSt15iterator_traitsISZ_E10value_typeET2_T3_PNS10_IS15_E10value_typeET4_jRbjT5_S1B_jjP12ihipStream_tbEUljE_EEESW_SX_SY_S15_S19_S1B_T6_T7_T9_mT8_S1D_bDpT10_ENKUlT_T0_E_clISt17integral_constantIbLb1EES1P_IbLb0EEEEDaS1L_S1M_EUlS1L_E_NS1_11comp_targetILNS1_3genE2ELNS1_11target_archE906ELNS1_3gpuE6ELNS1_3repE0EEENS1_30default_config_static_selectorELNS0_4arch9wavefront6targetE0EEEvSZ_
    .private_segment_fixed_size: 0
    .sgpr_count:     0
    .sgpr_spill_count: 0
    .symbol:         _ZN7rocprim17ROCPRIM_400000_NS6detail17trampoline_kernelINS0_13select_configILj256ELj13ELNS0_17block_load_methodE3ELS4_3ELS4_3ELNS0_20block_scan_algorithmE0ELj4294967295EEENS1_25partition_config_selectorILNS1_17partition_subalgoE3EjNS0_10empty_typeEbEEZZNS1_14partition_implILS8_3ELb0ES6_jNS0_17counting_iteratorIjlEEPS9_SE_NS0_5tupleIJPjSE_EEENSF_IJSE_SE_EEES9_SG_JZNS1_25segmented_radix_sort_implINS0_14default_configELb1EPK6__halfPSL_PKlPlN2at6native12_GLOBAL__N_18offset_tEEE10hipError_tPvRmT1_PNSt15iterator_traitsISZ_E10value_typeET2_T3_PNS10_IS15_E10value_typeET4_jRbjT5_S1B_jjP12ihipStream_tbEUljE_EEESW_SX_SY_S15_S19_S1B_T6_T7_T9_mT8_S1D_bDpT10_ENKUlT_T0_E_clISt17integral_constantIbLb1EES1P_IbLb0EEEEDaS1L_S1M_EUlS1L_E_NS1_11comp_targetILNS1_3genE2ELNS1_11target_archE906ELNS1_3gpuE6ELNS1_3repE0EEENS1_30default_config_static_selectorELNS0_4arch9wavefront6targetE0EEEvSZ_.kd
    .uniform_work_group_size: 1
    .uses_dynamic_stack: false
    .vgpr_count:     0
    .vgpr_spill_count: 0
    .wavefront_size: 32
  - .args:
      - .offset:         0
        .size:           144
        .value_kind:     by_value
    .group_segment_fixed_size: 0
    .kernarg_segment_align: 8
    .kernarg_segment_size: 144
    .language:       OpenCL C
    .language_version:
      - 2
      - 0
    .max_flat_workgroup_size: 256
    .name:           _ZN7rocprim17ROCPRIM_400000_NS6detail17trampoline_kernelINS0_13select_configILj256ELj13ELNS0_17block_load_methodE3ELS4_3ELS4_3ELNS0_20block_scan_algorithmE0ELj4294967295EEENS1_25partition_config_selectorILNS1_17partition_subalgoE3EjNS0_10empty_typeEbEEZZNS1_14partition_implILS8_3ELb0ES6_jNS0_17counting_iteratorIjlEEPS9_SE_NS0_5tupleIJPjSE_EEENSF_IJSE_SE_EEES9_SG_JZNS1_25segmented_radix_sort_implINS0_14default_configELb1EPK6__halfPSL_PKlPlN2at6native12_GLOBAL__N_18offset_tEEE10hipError_tPvRmT1_PNSt15iterator_traitsISZ_E10value_typeET2_T3_PNS10_IS15_E10value_typeET4_jRbjT5_S1B_jjP12ihipStream_tbEUljE_EEESW_SX_SY_S15_S19_S1B_T6_T7_T9_mT8_S1D_bDpT10_ENKUlT_T0_E_clISt17integral_constantIbLb1EES1P_IbLb0EEEEDaS1L_S1M_EUlS1L_E_NS1_11comp_targetILNS1_3genE10ELNS1_11target_archE1200ELNS1_3gpuE4ELNS1_3repE0EEENS1_30default_config_static_selectorELNS0_4arch9wavefront6targetE0EEEvSZ_
    .private_segment_fixed_size: 0
    .sgpr_count:     0
    .sgpr_spill_count: 0
    .symbol:         _ZN7rocprim17ROCPRIM_400000_NS6detail17trampoline_kernelINS0_13select_configILj256ELj13ELNS0_17block_load_methodE3ELS4_3ELS4_3ELNS0_20block_scan_algorithmE0ELj4294967295EEENS1_25partition_config_selectorILNS1_17partition_subalgoE3EjNS0_10empty_typeEbEEZZNS1_14partition_implILS8_3ELb0ES6_jNS0_17counting_iteratorIjlEEPS9_SE_NS0_5tupleIJPjSE_EEENSF_IJSE_SE_EEES9_SG_JZNS1_25segmented_radix_sort_implINS0_14default_configELb1EPK6__halfPSL_PKlPlN2at6native12_GLOBAL__N_18offset_tEEE10hipError_tPvRmT1_PNSt15iterator_traitsISZ_E10value_typeET2_T3_PNS10_IS15_E10value_typeET4_jRbjT5_S1B_jjP12ihipStream_tbEUljE_EEESW_SX_SY_S15_S19_S1B_T6_T7_T9_mT8_S1D_bDpT10_ENKUlT_T0_E_clISt17integral_constantIbLb1EES1P_IbLb0EEEEDaS1L_S1M_EUlS1L_E_NS1_11comp_targetILNS1_3genE10ELNS1_11target_archE1200ELNS1_3gpuE4ELNS1_3repE0EEENS1_30default_config_static_selectorELNS0_4arch9wavefront6targetE0EEEvSZ_.kd
    .uniform_work_group_size: 1
    .uses_dynamic_stack: false
    .vgpr_count:     0
    .vgpr_spill_count: 0
    .wavefront_size: 32
  - .args:
      - .offset:         0
        .size:           144
        .value_kind:     by_value
    .group_segment_fixed_size: 0
    .kernarg_segment_align: 8
    .kernarg_segment_size: 144
    .language:       OpenCL C
    .language_version:
      - 2
      - 0
    .max_flat_workgroup_size: 256
    .name:           _ZN7rocprim17ROCPRIM_400000_NS6detail17trampoline_kernelINS0_13select_configILj256ELj13ELNS0_17block_load_methodE3ELS4_3ELS4_3ELNS0_20block_scan_algorithmE0ELj4294967295EEENS1_25partition_config_selectorILNS1_17partition_subalgoE3EjNS0_10empty_typeEbEEZZNS1_14partition_implILS8_3ELb0ES6_jNS0_17counting_iteratorIjlEEPS9_SE_NS0_5tupleIJPjSE_EEENSF_IJSE_SE_EEES9_SG_JZNS1_25segmented_radix_sort_implINS0_14default_configELb1EPK6__halfPSL_PKlPlN2at6native12_GLOBAL__N_18offset_tEEE10hipError_tPvRmT1_PNSt15iterator_traitsISZ_E10value_typeET2_T3_PNS10_IS15_E10value_typeET4_jRbjT5_S1B_jjP12ihipStream_tbEUljE_EEESW_SX_SY_S15_S19_S1B_T6_T7_T9_mT8_S1D_bDpT10_ENKUlT_T0_E_clISt17integral_constantIbLb1EES1P_IbLb0EEEEDaS1L_S1M_EUlS1L_E_NS1_11comp_targetILNS1_3genE9ELNS1_11target_archE1100ELNS1_3gpuE3ELNS1_3repE0EEENS1_30default_config_static_selectorELNS0_4arch9wavefront6targetE0EEEvSZ_
    .private_segment_fixed_size: 0
    .sgpr_count:     0
    .sgpr_spill_count: 0
    .symbol:         _ZN7rocprim17ROCPRIM_400000_NS6detail17trampoline_kernelINS0_13select_configILj256ELj13ELNS0_17block_load_methodE3ELS4_3ELS4_3ELNS0_20block_scan_algorithmE0ELj4294967295EEENS1_25partition_config_selectorILNS1_17partition_subalgoE3EjNS0_10empty_typeEbEEZZNS1_14partition_implILS8_3ELb0ES6_jNS0_17counting_iteratorIjlEEPS9_SE_NS0_5tupleIJPjSE_EEENSF_IJSE_SE_EEES9_SG_JZNS1_25segmented_radix_sort_implINS0_14default_configELb1EPK6__halfPSL_PKlPlN2at6native12_GLOBAL__N_18offset_tEEE10hipError_tPvRmT1_PNSt15iterator_traitsISZ_E10value_typeET2_T3_PNS10_IS15_E10value_typeET4_jRbjT5_S1B_jjP12ihipStream_tbEUljE_EEESW_SX_SY_S15_S19_S1B_T6_T7_T9_mT8_S1D_bDpT10_ENKUlT_T0_E_clISt17integral_constantIbLb1EES1P_IbLb0EEEEDaS1L_S1M_EUlS1L_E_NS1_11comp_targetILNS1_3genE9ELNS1_11target_archE1100ELNS1_3gpuE3ELNS1_3repE0EEENS1_30default_config_static_selectorELNS0_4arch9wavefront6targetE0EEEvSZ_.kd
    .uniform_work_group_size: 1
    .uses_dynamic_stack: false
    .vgpr_count:     0
    .vgpr_spill_count: 0
    .wavefront_size: 32
  - .args:
      - .offset:         0
        .size:           144
        .value_kind:     by_value
    .group_segment_fixed_size: 0
    .kernarg_segment_align: 8
    .kernarg_segment_size: 144
    .language:       OpenCL C
    .language_version:
      - 2
      - 0
    .max_flat_workgroup_size: 256
    .name:           _ZN7rocprim17ROCPRIM_400000_NS6detail17trampoline_kernelINS0_13select_configILj256ELj13ELNS0_17block_load_methodE3ELS4_3ELS4_3ELNS0_20block_scan_algorithmE0ELj4294967295EEENS1_25partition_config_selectorILNS1_17partition_subalgoE3EjNS0_10empty_typeEbEEZZNS1_14partition_implILS8_3ELb0ES6_jNS0_17counting_iteratorIjlEEPS9_SE_NS0_5tupleIJPjSE_EEENSF_IJSE_SE_EEES9_SG_JZNS1_25segmented_radix_sort_implINS0_14default_configELb1EPK6__halfPSL_PKlPlN2at6native12_GLOBAL__N_18offset_tEEE10hipError_tPvRmT1_PNSt15iterator_traitsISZ_E10value_typeET2_T3_PNS10_IS15_E10value_typeET4_jRbjT5_S1B_jjP12ihipStream_tbEUljE_EEESW_SX_SY_S15_S19_S1B_T6_T7_T9_mT8_S1D_bDpT10_ENKUlT_T0_E_clISt17integral_constantIbLb1EES1P_IbLb0EEEEDaS1L_S1M_EUlS1L_E_NS1_11comp_targetILNS1_3genE8ELNS1_11target_archE1030ELNS1_3gpuE2ELNS1_3repE0EEENS1_30default_config_static_selectorELNS0_4arch9wavefront6targetE0EEEvSZ_
    .private_segment_fixed_size: 0
    .sgpr_count:     0
    .sgpr_spill_count: 0
    .symbol:         _ZN7rocprim17ROCPRIM_400000_NS6detail17trampoline_kernelINS0_13select_configILj256ELj13ELNS0_17block_load_methodE3ELS4_3ELS4_3ELNS0_20block_scan_algorithmE0ELj4294967295EEENS1_25partition_config_selectorILNS1_17partition_subalgoE3EjNS0_10empty_typeEbEEZZNS1_14partition_implILS8_3ELb0ES6_jNS0_17counting_iteratorIjlEEPS9_SE_NS0_5tupleIJPjSE_EEENSF_IJSE_SE_EEES9_SG_JZNS1_25segmented_radix_sort_implINS0_14default_configELb1EPK6__halfPSL_PKlPlN2at6native12_GLOBAL__N_18offset_tEEE10hipError_tPvRmT1_PNSt15iterator_traitsISZ_E10value_typeET2_T3_PNS10_IS15_E10value_typeET4_jRbjT5_S1B_jjP12ihipStream_tbEUljE_EEESW_SX_SY_S15_S19_S1B_T6_T7_T9_mT8_S1D_bDpT10_ENKUlT_T0_E_clISt17integral_constantIbLb1EES1P_IbLb0EEEEDaS1L_S1M_EUlS1L_E_NS1_11comp_targetILNS1_3genE8ELNS1_11target_archE1030ELNS1_3gpuE2ELNS1_3repE0EEENS1_30default_config_static_selectorELNS0_4arch9wavefront6targetE0EEEvSZ_.kd
    .uniform_work_group_size: 1
    .uses_dynamic_stack: false
    .vgpr_count:     0
    .vgpr_spill_count: 0
    .wavefront_size: 32
  - .args:
      - .offset:         0
        .size:           152
        .value_kind:     by_value
    .group_segment_fixed_size: 13320
    .kernarg_segment_align: 8
    .kernarg_segment_size: 152
    .language:       OpenCL C
    .language_version:
      - 2
      - 0
    .max_flat_workgroup_size: 256
    .name:           _ZN7rocprim17ROCPRIM_400000_NS6detail17trampoline_kernelINS0_13select_configILj256ELj13ELNS0_17block_load_methodE3ELS4_3ELS4_3ELNS0_20block_scan_algorithmE0ELj4294967295EEENS1_25partition_config_selectorILNS1_17partition_subalgoE3EjNS0_10empty_typeEbEEZZNS1_14partition_implILS8_3ELb0ES6_jNS0_17counting_iteratorIjlEEPS9_SE_NS0_5tupleIJPjSE_EEENSF_IJSE_SE_EEES9_SG_JZNS1_25segmented_radix_sort_implINS0_14default_configELb1EPK6__halfPSL_PKlPlN2at6native12_GLOBAL__N_18offset_tEEE10hipError_tPvRmT1_PNSt15iterator_traitsISZ_E10value_typeET2_T3_PNS10_IS15_E10value_typeET4_jRbjT5_S1B_jjP12ihipStream_tbEUljE_EEESW_SX_SY_S15_S19_S1B_T6_T7_T9_mT8_S1D_bDpT10_ENKUlT_T0_E_clISt17integral_constantIbLb0EES1P_IbLb1EEEEDaS1L_S1M_EUlS1L_E_NS1_11comp_targetILNS1_3genE0ELNS1_11target_archE4294967295ELNS1_3gpuE0ELNS1_3repE0EEENS1_30default_config_static_selectorELNS0_4arch9wavefront6targetE0EEEvSZ_
    .private_segment_fixed_size: 0
    .sgpr_count:     26
    .sgpr_spill_count: 0
    .symbol:         _ZN7rocprim17ROCPRIM_400000_NS6detail17trampoline_kernelINS0_13select_configILj256ELj13ELNS0_17block_load_methodE3ELS4_3ELS4_3ELNS0_20block_scan_algorithmE0ELj4294967295EEENS1_25partition_config_selectorILNS1_17partition_subalgoE3EjNS0_10empty_typeEbEEZZNS1_14partition_implILS8_3ELb0ES6_jNS0_17counting_iteratorIjlEEPS9_SE_NS0_5tupleIJPjSE_EEENSF_IJSE_SE_EEES9_SG_JZNS1_25segmented_radix_sort_implINS0_14default_configELb1EPK6__halfPSL_PKlPlN2at6native12_GLOBAL__N_18offset_tEEE10hipError_tPvRmT1_PNSt15iterator_traitsISZ_E10value_typeET2_T3_PNS10_IS15_E10value_typeET4_jRbjT5_S1B_jjP12ihipStream_tbEUljE_EEESW_SX_SY_S15_S19_S1B_T6_T7_T9_mT8_S1D_bDpT10_ENKUlT_T0_E_clISt17integral_constantIbLb0EES1P_IbLb1EEEEDaS1L_S1M_EUlS1L_E_NS1_11comp_targetILNS1_3genE0ELNS1_11target_archE4294967295ELNS1_3gpuE0ELNS1_3repE0EEENS1_30default_config_static_selectorELNS0_4arch9wavefront6targetE0EEEvSZ_.kd
    .uniform_work_group_size: 1
    .uses_dynamic_stack: false
    .vgpr_count:     72
    .vgpr_spill_count: 0
    .wavefront_size: 32
  - .args:
      - .offset:         0
        .size:           152
        .value_kind:     by_value
    .group_segment_fixed_size: 0
    .kernarg_segment_align: 8
    .kernarg_segment_size: 152
    .language:       OpenCL C
    .language_version:
      - 2
      - 0
    .max_flat_workgroup_size: 256
    .name:           _ZN7rocprim17ROCPRIM_400000_NS6detail17trampoline_kernelINS0_13select_configILj256ELj13ELNS0_17block_load_methodE3ELS4_3ELS4_3ELNS0_20block_scan_algorithmE0ELj4294967295EEENS1_25partition_config_selectorILNS1_17partition_subalgoE3EjNS0_10empty_typeEbEEZZNS1_14partition_implILS8_3ELb0ES6_jNS0_17counting_iteratorIjlEEPS9_SE_NS0_5tupleIJPjSE_EEENSF_IJSE_SE_EEES9_SG_JZNS1_25segmented_radix_sort_implINS0_14default_configELb1EPK6__halfPSL_PKlPlN2at6native12_GLOBAL__N_18offset_tEEE10hipError_tPvRmT1_PNSt15iterator_traitsISZ_E10value_typeET2_T3_PNS10_IS15_E10value_typeET4_jRbjT5_S1B_jjP12ihipStream_tbEUljE_EEESW_SX_SY_S15_S19_S1B_T6_T7_T9_mT8_S1D_bDpT10_ENKUlT_T0_E_clISt17integral_constantIbLb0EES1P_IbLb1EEEEDaS1L_S1M_EUlS1L_E_NS1_11comp_targetILNS1_3genE5ELNS1_11target_archE942ELNS1_3gpuE9ELNS1_3repE0EEENS1_30default_config_static_selectorELNS0_4arch9wavefront6targetE0EEEvSZ_
    .private_segment_fixed_size: 0
    .sgpr_count:     0
    .sgpr_spill_count: 0
    .symbol:         _ZN7rocprim17ROCPRIM_400000_NS6detail17trampoline_kernelINS0_13select_configILj256ELj13ELNS0_17block_load_methodE3ELS4_3ELS4_3ELNS0_20block_scan_algorithmE0ELj4294967295EEENS1_25partition_config_selectorILNS1_17partition_subalgoE3EjNS0_10empty_typeEbEEZZNS1_14partition_implILS8_3ELb0ES6_jNS0_17counting_iteratorIjlEEPS9_SE_NS0_5tupleIJPjSE_EEENSF_IJSE_SE_EEES9_SG_JZNS1_25segmented_radix_sort_implINS0_14default_configELb1EPK6__halfPSL_PKlPlN2at6native12_GLOBAL__N_18offset_tEEE10hipError_tPvRmT1_PNSt15iterator_traitsISZ_E10value_typeET2_T3_PNS10_IS15_E10value_typeET4_jRbjT5_S1B_jjP12ihipStream_tbEUljE_EEESW_SX_SY_S15_S19_S1B_T6_T7_T9_mT8_S1D_bDpT10_ENKUlT_T0_E_clISt17integral_constantIbLb0EES1P_IbLb1EEEEDaS1L_S1M_EUlS1L_E_NS1_11comp_targetILNS1_3genE5ELNS1_11target_archE942ELNS1_3gpuE9ELNS1_3repE0EEENS1_30default_config_static_selectorELNS0_4arch9wavefront6targetE0EEEvSZ_.kd
    .uniform_work_group_size: 1
    .uses_dynamic_stack: false
    .vgpr_count:     0
    .vgpr_spill_count: 0
    .wavefront_size: 32
  - .args:
      - .offset:         0
        .size:           152
        .value_kind:     by_value
    .group_segment_fixed_size: 0
    .kernarg_segment_align: 8
    .kernarg_segment_size: 152
    .language:       OpenCL C
    .language_version:
      - 2
      - 0
    .max_flat_workgroup_size: 256
    .name:           _ZN7rocprim17ROCPRIM_400000_NS6detail17trampoline_kernelINS0_13select_configILj256ELj13ELNS0_17block_load_methodE3ELS4_3ELS4_3ELNS0_20block_scan_algorithmE0ELj4294967295EEENS1_25partition_config_selectorILNS1_17partition_subalgoE3EjNS0_10empty_typeEbEEZZNS1_14partition_implILS8_3ELb0ES6_jNS0_17counting_iteratorIjlEEPS9_SE_NS0_5tupleIJPjSE_EEENSF_IJSE_SE_EEES9_SG_JZNS1_25segmented_radix_sort_implINS0_14default_configELb1EPK6__halfPSL_PKlPlN2at6native12_GLOBAL__N_18offset_tEEE10hipError_tPvRmT1_PNSt15iterator_traitsISZ_E10value_typeET2_T3_PNS10_IS15_E10value_typeET4_jRbjT5_S1B_jjP12ihipStream_tbEUljE_EEESW_SX_SY_S15_S19_S1B_T6_T7_T9_mT8_S1D_bDpT10_ENKUlT_T0_E_clISt17integral_constantIbLb0EES1P_IbLb1EEEEDaS1L_S1M_EUlS1L_E_NS1_11comp_targetILNS1_3genE4ELNS1_11target_archE910ELNS1_3gpuE8ELNS1_3repE0EEENS1_30default_config_static_selectorELNS0_4arch9wavefront6targetE0EEEvSZ_
    .private_segment_fixed_size: 0
    .sgpr_count:     0
    .sgpr_spill_count: 0
    .symbol:         _ZN7rocprim17ROCPRIM_400000_NS6detail17trampoline_kernelINS0_13select_configILj256ELj13ELNS0_17block_load_methodE3ELS4_3ELS4_3ELNS0_20block_scan_algorithmE0ELj4294967295EEENS1_25partition_config_selectorILNS1_17partition_subalgoE3EjNS0_10empty_typeEbEEZZNS1_14partition_implILS8_3ELb0ES6_jNS0_17counting_iteratorIjlEEPS9_SE_NS0_5tupleIJPjSE_EEENSF_IJSE_SE_EEES9_SG_JZNS1_25segmented_radix_sort_implINS0_14default_configELb1EPK6__halfPSL_PKlPlN2at6native12_GLOBAL__N_18offset_tEEE10hipError_tPvRmT1_PNSt15iterator_traitsISZ_E10value_typeET2_T3_PNS10_IS15_E10value_typeET4_jRbjT5_S1B_jjP12ihipStream_tbEUljE_EEESW_SX_SY_S15_S19_S1B_T6_T7_T9_mT8_S1D_bDpT10_ENKUlT_T0_E_clISt17integral_constantIbLb0EES1P_IbLb1EEEEDaS1L_S1M_EUlS1L_E_NS1_11comp_targetILNS1_3genE4ELNS1_11target_archE910ELNS1_3gpuE8ELNS1_3repE0EEENS1_30default_config_static_selectorELNS0_4arch9wavefront6targetE0EEEvSZ_.kd
    .uniform_work_group_size: 1
    .uses_dynamic_stack: false
    .vgpr_count:     0
    .vgpr_spill_count: 0
    .wavefront_size: 32
  - .args:
      - .offset:         0
        .size:           152
        .value_kind:     by_value
    .group_segment_fixed_size: 0
    .kernarg_segment_align: 8
    .kernarg_segment_size: 152
    .language:       OpenCL C
    .language_version:
      - 2
      - 0
    .max_flat_workgroup_size: 256
    .name:           _ZN7rocprim17ROCPRIM_400000_NS6detail17trampoline_kernelINS0_13select_configILj256ELj13ELNS0_17block_load_methodE3ELS4_3ELS4_3ELNS0_20block_scan_algorithmE0ELj4294967295EEENS1_25partition_config_selectorILNS1_17partition_subalgoE3EjNS0_10empty_typeEbEEZZNS1_14partition_implILS8_3ELb0ES6_jNS0_17counting_iteratorIjlEEPS9_SE_NS0_5tupleIJPjSE_EEENSF_IJSE_SE_EEES9_SG_JZNS1_25segmented_radix_sort_implINS0_14default_configELb1EPK6__halfPSL_PKlPlN2at6native12_GLOBAL__N_18offset_tEEE10hipError_tPvRmT1_PNSt15iterator_traitsISZ_E10value_typeET2_T3_PNS10_IS15_E10value_typeET4_jRbjT5_S1B_jjP12ihipStream_tbEUljE_EEESW_SX_SY_S15_S19_S1B_T6_T7_T9_mT8_S1D_bDpT10_ENKUlT_T0_E_clISt17integral_constantIbLb0EES1P_IbLb1EEEEDaS1L_S1M_EUlS1L_E_NS1_11comp_targetILNS1_3genE3ELNS1_11target_archE908ELNS1_3gpuE7ELNS1_3repE0EEENS1_30default_config_static_selectorELNS0_4arch9wavefront6targetE0EEEvSZ_
    .private_segment_fixed_size: 0
    .sgpr_count:     0
    .sgpr_spill_count: 0
    .symbol:         _ZN7rocprim17ROCPRIM_400000_NS6detail17trampoline_kernelINS0_13select_configILj256ELj13ELNS0_17block_load_methodE3ELS4_3ELS4_3ELNS0_20block_scan_algorithmE0ELj4294967295EEENS1_25partition_config_selectorILNS1_17partition_subalgoE3EjNS0_10empty_typeEbEEZZNS1_14partition_implILS8_3ELb0ES6_jNS0_17counting_iteratorIjlEEPS9_SE_NS0_5tupleIJPjSE_EEENSF_IJSE_SE_EEES9_SG_JZNS1_25segmented_radix_sort_implINS0_14default_configELb1EPK6__halfPSL_PKlPlN2at6native12_GLOBAL__N_18offset_tEEE10hipError_tPvRmT1_PNSt15iterator_traitsISZ_E10value_typeET2_T3_PNS10_IS15_E10value_typeET4_jRbjT5_S1B_jjP12ihipStream_tbEUljE_EEESW_SX_SY_S15_S19_S1B_T6_T7_T9_mT8_S1D_bDpT10_ENKUlT_T0_E_clISt17integral_constantIbLb0EES1P_IbLb1EEEEDaS1L_S1M_EUlS1L_E_NS1_11comp_targetILNS1_3genE3ELNS1_11target_archE908ELNS1_3gpuE7ELNS1_3repE0EEENS1_30default_config_static_selectorELNS0_4arch9wavefront6targetE0EEEvSZ_.kd
    .uniform_work_group_size: 1
    .uses_dynamic_stack: false
    .vgpr_count:     0
    .vgpr_spill_count: 0
    .wavefront_size: 32
  - .args:
      - .offset:         0
        .size:           152
        .value_kind:     by_value
    .group_segment_fixed_size: 0
    .kernarg_segment_align: 8
    .kernarg_segment_size: 152
    .language:       OpenCL C
    .language_version:
      - 2
      - 0
    .max_flat_workgroup_size: 256
    .name:           _ZN7rocprim17ROCPRIM_400000_NS6detail17trampoline_kernelINS0_13select_configILj256ELj13ELNS0_17block_load_methodE3ELS4_3ELS4_3ELNS0_20block_scan_algorithmE0ELj4294967295EEENS1_25partition_config_selectorILNS1_17partition_subalgoE3EjNS0_10empty_typeEbEEZZNS1_14partition_implILS8_3ELb0ES6_jNS0_17counting_iteratorIjlEEPS9_SE_NS0_5tupleIJPjSE_EEENSF_IJSE_SE_EEES9_SG_JZNS1_25segmented_radix_sort_implINS0_14default_configELb1EPK6__halfPSL_PKlPlN2at6native12_GLOBAL__N_18offset_tEEE10hipError_tPvRmT1_PNSt15iterator_traitsISZ_E10value_typeET2_T3_PNS10_IS15_E10value_typeET4_jRbjT5_S1B_jjP12ihipStream_tbEUljE_EEESW_SX_SY_S15_S19_S1B_T6_T7_T9_mT8_S1D_bDpT10_ENKUlT_T0_E_clISt17integral_constantIbLb0EES1P_IbLb1EEEEDaS1L_S1M_EUlS1L_E_NS1_11comp_targetILNS1_3genE2ELNS1_11target_archE906ELNS1_3gpuE6ELNS1_3repE0EEENS1_30default_config_static_selectorELNS0_4arch9wavefront6targetE0EEEvSZ_
    .private_segment_fixed_size: 0
    .sgpr_count:     0
    .sgpr_spill_count: 0
    .symbol:         _ZN7rocprim17ROCPRIM_400000_NS6detail17trampoline_kernelINS0_13select_configILj256ELj13ELNS0_17block_load_methodE3ELS4_3ELS4_3ELNS0_20block_scan_algorithmE0ELj4294967295EEENS1_25partition_config_selectorILNS1_17partition_subalgoE3EjNS0_10empty_typeEbEEZZNS1_14partition_implILS8_3ELb0ES6_jNS0_17counting_iteratorIjlEEPS9_SE_NS0_5tupleIJPjSE_EEENSF_IJSE_SE_EEES9_SG_JZNS1_25segmented_radix_sort_implINS0_14default_configELb1EPK6__halfPSL_PKlPlN2at6native12_GLOBAL__N_18offset_tEEE10hipError_tPvRmT1_PNSt15iterator_traitsISZ_E10value_typeET2_T3_PNS10_IS15_E10value_typeET4_jRbjT5_S1B_jjP12ihipStream_tbEUljE_EEESW_SX_SY_S15_S19_S1B_T6_T7_T9_mT8_S1D_bDpT10_ENKUlT_T0_E_clISt17integral_constantIbLb0EES1P_IbLb1EEEEDaS1L_S1M_EUlS1L_E_NS1_11comp_targetILNS1_3genE2ELNS1_11target_archE906ELNS1_3gpuE6ELNS1_3repE0EEENS1_30default_config_static_selectorELNS0_4arch9wavefront6targetE0EEEvSZ_.kd
    .uniform_work_group_size: 1
    .uses_dynamic_stack: false
    .vgpr_count:     0
    .vgpr_spill_count: 0
    .wavefront_size: 32
  - .args:
      - .offset:         0
        .size:           152
        .value_kind:     by_value
    .group_segment_fixed_size: 0
    .kernarg_segment_align: 8
    .kernarg_segment_size: 152
    .language:       OpenCL C
    .language_version:
      - 2
      - 0
    .max_flat_workgroup_size: 256
    .name:           _ZN7rocprim17ROCPRIM_400000_NS6detail17trampoline_kernelINS0_13select_configILj256ELj13ELNS0_17block_load_methodE3ELS4_3ELS4_3ELNS0_20block_scan_algorithmE0ELj4294967295EEENS1_25partition_config_selectorILNS1_17partition_subalgoE3EjNS0_10empty_typeEbEEZZNS1_14partition_implILS8_3ELb0ES6_jNS0_17counting_iteratorIjlEEPS9_SE_NS0_5tupleIJPjSE_EEENSF_IJSE_SE_EEES9_SG_JZNS1_25segmented_radix_sort_implINS0_14default_configELb1EPK6__halfPSL_PKlPlN2at6native12_GLOBAL__N_18offset_tEEE10hipError_tPvRmT1_PNSt15iterator_traitsISZ_E10value_typeET2_T3_PNS10_IS15_E10value_typeET4_jRbjT5_S1B_jjP12ihipStream_tbEUljE_EEESW_SX_SY_S15_S19_S1B_T6_T7_T9_mT8_S1D_bDpT10_ENKUlT_T0_E_clISt17integral_constantIbLb0EES1P_IbLb1EEEEDaS1L_S1M_EUlS1L_E_NS1_11comp_targetILNS1_3genE10ELNS1_11target_archE1200ELNS1_3gpuE4ELNS1_3repE0EEENS1_30default_config_static_selectorELNS0_4arch9wavefront6targetE0EEEvSZ_
    .private_segment_fixed_size: 0
    .sgpr_count:     0
    .sgpr_spill_count: 0
    .symbol:         _ZN7rocprim17ROCPRIM_400000_NS6detail17trampoline_kernelINS0_13select_configILj256ELj13ELNS0_17block_load_methodE3ELS4_3ELS4_3ELNS0_20block_scan_algorithmE0ELj4294967295EEENS1_25partition_config_selectorILNS1_17partition_subalgoE3EjNS0_10empty_typeEbEEZZNS1_14partition_implILS8_3ELb0ES6_jNS0_17counting_iteratorIjlEEPS9_SE_NS0_5tupleIJPjSE_EEENSF_IJSE_SE_EEES9_SG_JZNS1_25segmented_radix_sort_implINS0_14default_configELb1EPK6__halfPSL_PKlPlN2at6native12_GLOBAL__N_18offset_tEEE10hipError_tPvRmT1_PNSt15iterator_traitsISZ_E10value_typeET2_T3_PNS10_IS15_E10value_typeET4_jRbjT5_S1B_jjP12ihipStream_tbEUljE_EEESW_SX_SY_S15_S19_S1B_T6_T7_T9_mT8_S1D_bDpT10_ENKUlT_T0_E_clISt17integral_constantIbLb0EES1P_IbLb1EEEEDaS1L_S1M_EUlS1L_E_NS1_11comp_targetILNS1_3genE10ELNS1_11target_archE1200ELNS1_3gpuE4ELNS1_3repE0EEENS1_30default_config_static_selectorELNS0_4arch9wavefront6targetE0EEEvSZ_.kd
    .uniform_work_group_size: 1
    .uses_dynamic_stack: false
    .vgpr_count:     0
    .vgpr_spill_count: 0
    .wavefront_size: 32
  - .args:
      - .offset:         0
        .size:           152
        .value_kind:     by_value
    .group_segment_fixed_size: 0
    .kernarg_segment_align: 8
    .kernarg_segment_size: 152
    .language:       OpenCL C
    .language_version:
      - 2
      - 0
    .max_flat_workgroup_size: 256
    .name:           _ZN7rocprim17ROCPRIM_400000_NS6detail17trampoline_kernelINS0_13select_configILj256ELj13ELNS0_17block_load_methodE3ELS4_3ELS4_3ELNS0_20block_scan_algorithmE0ELj4294967295EEENS1_25partition_config_selectorILNS1_17partition_subalgoE3EjNS0_10empty_typeEbEEZZNS1_14partition_implILS8_3ELb0ES6_jNS0_17counting_iteratorIjlEEPS9_SE_NS0_5tupleIJPjSE_EEENSF_IJSE_SE_EEES9_SG_JZNS1_25segmented_radix_sort_implINS0_14default_configELb1EPK6__halfPSL_PKlPlN2at6native12_GLOBAL__N_18offset_tEEE10hipError_tPvRmT1_PNSt15iterator_traitsISZ_E10value_typeET2_T3_PNS10_IS15_E10value_typeET4_jRbjT5_S1B_jjP12ihipStream_tbEUljE_EEESW_SX_SY_S15_S19_S1B_T6_T7_T9_mT8_S1D_bDpT10_ENKUlT_T0_E_clISt17integral_constantIbLb0EES1P_IbLb1EEEEDaS1L_S1M_EUlS1L_E_NS1_11comp_targetILNS1_3genE9ELNS1_11target_archE1100ELNS1_3gpuE3ELNS1_3repE0EEENS1_30default_config_static_selectorELNS0_4arch9wavefront6targetE0EEEvSZ_
    .private_segment_fixed_size: 0
    .sgpr_count:     0
    .sgpr_spill_count: 0
    .symbol:         _ZN7rocprim17ROCPRIM_400000_NS6detail17trampoline_kernelINS0_13select_configILj256ELj13ELNS0_17block_load_methodE3ELS4_3ELS4_3ELNS0_20block_scan_algorithmE0ELj4294967295EEENS1_25partition_config_selectorILNS1_17partition_subalgoE3EjNS0_10empty_typeEbEEZZNS1_14partition_implILS8_3ELb0ES6_jNS0_17counting_iteratorIjlEEPS9_SE_NS0_5tupleIJPjSE_EEENSF_IJSE_SE_EEES9_SG_JZNS1_25segmented_radix_sort_implINS0_14default_configELb1EPK6__halfPSL_PKlPlN2at6native12_GLOBAL__N_18offset_tEEE10hipError_tPvRmT1_PNSt15iterator_traitsISZ_E10value_typeET2_T3_PNS10_IS15_E10value_typeET4_jRbjT5_S1B_jjP12ihipStream_tbEUljE_EEESW_SX_SY_S15_S19_S1B_T6_T7_T9_mT8_S1D_bDpT10_ENKUlT_T0_E_clISt17integral_constantIbLb0EES1P_IbLb1EEEEDaS1L_S1M_EUlS1L_E_NS1_11comp_targetILNS1_3genE9ELNS1_11target_archE1100ELNS1_3gpuE3ELNS1_3repE0EEENS1_30default_config_static_selectorELNS0_4arch9wavefront6targetE0EEEvSZ_.kd
    .uniform_work_group_size: 1
    .uses_dynamic_stack: false
    .vgpr_count:     0
    .vgpr_spill_count: 0
    .wavefront_size: 32
  - .args:
      - .offset:         0
        .size:           152
        .value_kind:     by_value
    .group_segment_fixed_size: 0
    .kernarg_segment_align: 8
    .kernarg_segment_size: 152
    .language:       OpenCL C
    .language_version:
      - 2
      - 0
    .max_flat_workgroup_size: 256
    .name:           _ZN7rocprim17ROCPRIM_400000_NS6detail17trampoline_kernelINS0_13select_configILj256ELj13ELNS0_17block_load_methodE3ELS4_3ELS4_3ELNS0_20block_scan_algorithmE0ELj4294967295EEENS1_25partition_config_selectorILNS1_17partition_subalgoE3EjNS0_10empty_typeEbEEZZNS1_14partition_implILS8_3ELb0ES6_jNS0_17counting_iteratorIjlEEPS9_SE_NS0_5tupleIJPjSE_EEENSF_IJSE_SE_EEES9_SG_JZNS1_25segmented_radix_sort_implINS0_14default_configELb1EPK6__halfPSL_PKlPlN2at6native12_GLOBAL__N_18offset_tEEE10hipError_tPvRmT1_PNSt15iterator_traitsISZ_E10value_typeET2_T3_PNS10_IS15_E10value_typeET4_jRbjT5_S1B_jjP12ihipStream_tbEUljE_EEESW_SX_SY_S15_S19_S1B_T6_T7_T9_mT8_S1D_bDpT10_ENKUlT_T0_E_clISt17integral_constantIbLb0EES1P_IbLb1EEEEDaS1L_S1M_EUlS1L_E_NS1_11comp_targetILNS1_3genE8ELNS1_11target_archE1030ELNS1_3gpuE2ELNS1_3repE0EEENS1_30default_config_static_selectorELNS0_4arch9wavefront6targetE0EEEvSZ_
    .private_segment_fixed_size: 0
    .sgpr_count:     0
    .sgpr_spill_count: 0
    .symbol:         _ZN7rocprim17ROCPRIM_400000_NS6detail17trampoline_kernelINS0_13select_configILj256ELj13ELNS0_17block_load_methodE3ELS4_3ELS4_3ELNS0_20block_scan_algorithmE0ELj4294967295EEENS1_25partition_config_selectorILNS1_17partition_subalgoE3EjNS0_10empty_typeEbEEZZNS1_14partition_implILS8_3ELb0ES6_jNS0_17counting_iteratorIjlEEPS9_SE_NS0_5tupleIJPjSE_EEENSF_IJSE_SE_EEES9_SG_JZNS1_25segmented_radix_sort_implINS0_14default_configELb1EPK6__halfPSL_PKlPlN2at6native12_GLOBAL__N_18offset_tEEE10hipError_tPvRmT1_PNSt15iterator_traitsISZ_E10value_typeET2_T3_PNS10_IS15_E10value_typeET4_jRbjT5_S1B_jjP12ihipStream_tbEUljE_EEESW_SX_SY_S15_S19_S1B_T6_T7_T9_mT8_S1D_bDpT10_ENKUlT_T0_E_clISt17integral_constantIbLb0EES1P_IbLb1EEEEDaS1L_S1M_EUlS1L_E_NS1_11comp_targetILNS1_3genE8ELNS1_11target_archE1030ELNS1_3gpuE2ELNS1_3repE0EEENS1_30default_config_static_selectorELNS0_4arch9wavefront6targetE0EEEvSZ_.kd
    .uniform_work_group_size: 1
    .uses_dynamic_stack: false
    .vgpr_count:     0
    .vgpr_spill_count: 0
    .wavefront_size: 32
  - .args:
      - .offset:         0
        .size:           96
        .value_kind:     by_value
      - .offset:         96
        .size:           4
        .value_kind:     hidden_block_count_x
      - .offset:         100
        .size:           4
        .value_kind:     hidden_block_count_y
      - .offset:         104
        .size:           4
        .value_kind:     hidden_block_count_z
      - .offset:         108
        .size:           2
        .value_kind:     hidden_group_size_x
      - .offset:         110
        .size:           2
        .value_kind:     hidden_group_size_y
      - .offset:         112
        .size:           2
        .value_kind:     hidden_group_size_z
      - .offset:         114
        .size:           2
        .value_kind:     hidden_remainder_x
      - .offset:         116
        .size:           2
        .value_kind:     hidden_remainder_y
      - .offset:         118
        .size:           2
        .value_kind:     hidden_remainder_z
      - .offset:         136
        .size:           8
        .value_kind:     hidden_global_offset_x
      - .offset:         144
        .size:           8
        .value_kind:     hidden_global_offset_y
      - .offset:         152
        .size:           8
        .value_kind:     hidden_global_offset_z
      - .offset:         160
        .size:           2
        .value_kind:     hidden_grid_dims
      - .offset:         176
        .size:           8
        .value_kind:     hidden_hostcall_buffer
      - .offset:         184
        .size:           8
        .value_kind:     hidden_multigrid_sync_arg
      - .offset:         192
        .size:           8
        .value_kind:     hidden_heap_v1
      - .offset:         200
        .size:           8
        .value_kind:     hidden_default_queue
      - .offset:         208
        .size:           8
        .value_kind:     hidden_completion_action
      - .offset:         296
        .size:           8
        .value_kind:     hidden_queue_ptr
    .group_segment_fixed_size: 33824
    .kernarg_segment_align: 8
    .kernarg_segment_size: 352
    .language:       OpenCL C
    .language_version:
      - 2
      - 0
    .max_flat_workgroup_size: 256
    .name:           _ZN7rocprim17ROCPRIM_400000_NS6detail17trampoline_kernelINS0_14default_configENS1_36segmented_radix_sort_config_selectorI6__halflEEZNS1_25segmented_radix_sort_implIS3_Lb1EPKS5_PS5_PKlPlN2at6native12_GLOBAL__N_18offset_tEEE10hipError_tPvRmT1_PNSt15iterator_traitsISL_E10value_typeET2_T3_PNSM_ISR_E10value_typeET4_jRbjT5_SX_jjP12ihipStream_tbEUlT_E_NS1_11comp_targetILNS1_3genE0ELNS1_11target_archE4294967295ELNS1_3gpuE0ELNS1_3repE0EEENS1_30default_config_static_selectorELNS0_4arch9wavefront6targetE0EEEvSL_
    .private_segment_fixed_size: 0
    .sgpr_count:     61
    .sgpr_spill_count: 0
    .symbol:         _ZN7rocprim17ROCPRIM_400000_NS6detail17trampoline_kernelINS0_14default_configENS1_36segmented_radix_sort_config_selectorI6__halflEEZNS1_25segmented_radix_sort_implIS3_Lb1EPKS5_PS5_PKlPlN2at6native12_GLOBAL__N_18offset_tEEE10hipError_tPvRmT1_PNSt15iterator_traitsISL_E10value_typeET2_T3_PNSM_ISR_E10value_typeET4_jRbjT5_SX_jjP12ihipStream_tbEUlT_E_NS1_11comp_targetILNS1_3genE0ELNS1_11target_archE4294967295ELNS1_3gpuE0ELNS1_3repE0EEENS1_30default_config_static_selectorELNS0_4arch9wavefront6targetE0EEEvSL_.kd
    .uniform_work_group_size: 1
    .uses_dynamic_stack: false
    .vgpr_count:     304
    .vgpr_spill_count: 0
    .wavefront_size: 32
  - .args:
      - .offset:         0
        .size:           96
        .value_kind:     by_value
    .group_segment_fixed_size: 0
    .kernarg_segment_align: 8
    .kernarg_segment_size: 96
    .language:       OpenCL C
    .language_version:
      - 2
      - 0
    .max_flat_workgroup_size: 256
    .name:           _ZN7rocprim17ROCPRIM_400000_NS6detail17trampoline_kernelINS0_14default_configENS1_36segmented_radix_sort_config_selectorI6__halflEEZNS1_25segmented_radix_sort_implIS3_Lb1EPKS5_PS5_PKlPlN2at6native12_GLOBAL__N_18offset_tEEE10hipError_tPvRmT1_PNSt15iterator_traitsISL_E10value_typeET2_T3_PNSM_ISR_E10value_typeET4_jRbjT5_SX_jjP12ihipStream_tbEUlT_E_NS1_11comp_targetILNS1_3genE5ELNS1_11target_archE942ELNS1_3gpuE9ELNS1_3repE0EEENS1_30default_config_static_selectorELNS0_4arch9wavefront6targetE0EEEvSL_
    .private_segment_fixed_size: 0
    .sgpr_count:     0
    .sgpr_spill_count: 0
    .symbol:         _ZN7rocprim17ROCPRIM_400000_NS6detail17trampoline_kernelINS0_14default_configENS1_36segmented_radix_sort_config_selectorI6__halflEEZNS1_25segmented_radix_sort_implIS3_Lb1EPKS5_PS5_PKlPlN2at6native12_GLOBAL__N_18offset_tEEE10hipError_tPvRmT1_PNSt15iterator_traitsISL_E10value_typeET2_T3_PNSM_ISR_E10value_typeET4_jRbjT5_SX_jjP12ihipStream_tbEUlT_E_NS1_11comp_targetILNS1_3genE5ELNS1_11target_archE942ELNS1_3gpuE9ELNS1_3repE0EEENS1_30default_config_static_selectorELNS0_4arch9wavefront6targetE0EEEvSL_.kd
    .uniform_work_group_size: 1
    .uses_dynamic_stack: false
    .vgpr_count:     0
    .vgpr_spill_count: 0
    .wavefront_size: 32
  - .args:
      - .offset:         0
        .size:           96
        .value_kind:     by_value
    .group_segment_fixed_size: 0
    .kernarg_segment_align: 8
    .kernarg_segment_size: 96
    .language:       OpenCL C
    .language_version:
      - 2
      - 0
    .max_flat_workgroup_size: 256
    .name:           _ZN7rocprim17ROCPRIM_400000_NS6detail17trampoline_kernelINS0_14default_configENS1_36segmented_radix_sort_config_selectorI6__halflEEZNS1_25segmented_radix_sort_implIS3_Lb1EPKS5_PS5_PKlPlN2at6native12_GLOBAL__N_18offset_tEEE10hipError_tPvRmT1_PNSt15iterator_traitsISL_E10value_typeET2_T3_PNSM_ISR_E10value_typeET4_jRbjT5_SX_jjP12ihipStream_tbEUlT_E_NS1_11comp_targetILNS1_3genE4ELNS1_11target_archE910ELNS1_3gpuE8ELNS1_3repE0EEENS1_30default_config_static_selectorELNS0_4arch9wavefront6targetE0EEEvSL_
    .private_segment_fixed_size: 0
    .sgpr_count:     0
    .sgpr_spill_count: 0
    .symbol:         _ZN7rocprim17ROCPRIM_400000_NS6detail17trampoline_kernelINS0_14default_configENS1_36segmented_radix_sort_config_selectorI6__halflEEZNS1_25segmented_radix_sort_implIS3_Lb1EPKS5_PS5_PKlPlN2at6native12_GLOBAL__N_18offset_tEEE10hipError_tPvRmT1_PNSt15iterator_traitsISL_E10value_typeET2_T3_PNSM_ISR_E10value_typeET4_jRbjT5_SX_jjP12ihipStream_tbEUlT_E_NS1_11comp_targetILNS1_3genE4ELNS1_11target_archE910ELNS1_3gpuE8ELNS1_3repE0EEENS1_30default_config_static_selectorELNS0_4arch9wavefront6targetE0EEEvSL_.kd
    .uniform_work_group_size: 1
    .uses_dynamic_stack: false
    .vgpr_count:     0
    .vgpr_spill_count: 0
    .wavefront_size: 32
  - .args:
      - .offset:         0
        .size:           96
        .value_kind:     by_value
    .group_segment_fixed_size: 0
    .kernarg_segment_align: 8
    .kernarg_segment_size: 96
    .language:       OpenCL C
    .language_version:
      - 2
      - 0
    .max_flat_workgroup_size: 256
    .name:           _ZN7rocprim17ROCPRIM_400000_NS6detail17trampoline_kernelINS0_14default_configENS1_36segmented_radix_sort_config_selectorI6__halflEEZNS1_25segmented_radix_sort_implIS3_Lb1EPKS5_PS5_PKlPlN2at6native12_GLOBAL__N_18offset_tEEE10hipError_tPvRmT1_PNSt15iterator_traitsISL_E10value_typeET2_T3_PNSM_ISR_E10value_typeET4_jRbjT5_SX_jjP12ihipStream_tbEUlT_E_NS1_11comp_targetILNS1_3genE3ELNS1_11target_archE908ELNS1_3gpuE7ELNS1_3repE0EEENS1_30default_config_static_selectorELNS0_4arch9wavefront6targetE0EEEvSL_
    .private_segment_fixed_size: 0
    .sgpr_count:     0
    .sgpr_spill_count: 0
    .symbol:         _ZN7rocprim17ROCPRIM_400000_NS6detail17trampoline_kernelINS0_14default_configENS1_36segmented_radix_sort_config_selectorI6__halflEEZNS1_25segmented_radix_sort_implIS3_Lb1EPKS5_PS5_PKlPlN2at6native12_GLOBAL__N_18offset_tEEE10hipError_tPvRmT1_PNSt15iterator_traitsISL_E10value_typeET2_T3_PNSM_ISR_E10value_typeET4_jRbjT5_SX_jjP12ihipStream_tbEUlT_E_NS1_11comp_targetILNS1_3genE3ELNS1_11target_archE908ELNS1_3gpuE7ELNS1_3repE0EEENS1_30default_config_static_selectorELNS0_4arch9wavefront6targetE0EEEvSL_.kd
    .uniform_work_group_size: 1
    .uses_dynamic_stack: false
    .vgpr_count:     0
    .vgpr_spill_count: 0
    .wavefront_size: 32
  - .args:
      - .offset:         0
        .size:           96
        .value_kind:     by_value
    .group_segment_fixed_size: 0
    .kernarg_segment_align: 8
    .kernarg_segment_size: 96
    .language:       OpenCL C
    .language_version:
      - 2
      - 0
    .max_flat_workgroup_size: 256
    .name:           _ZN7rocprim17ROCPRIM_400000_NS6detail17trampoline_kernelINS0_14default_configENS1_36segmented_radix_sort_config_selectorI6__halflEEZNS1_25segmented_radix_sort_implIS3_Lb1EPKS5_PS5_PKlPlN2at6native12_GLOBAL__N_18offset_tEEE10hipError_tPvRmT1_PNSt15iterator_traitsISL_E10value_typeET2_T3_PNSM_ISR_E10value_typeET4_jRbjT5_SX_jjP12ihipStream_tbEUlT_E_NS1_11comp_targetILNS1_3genE2ELNS1_11target_archE906ELNS1_3gpuE6ELNS1_3repE0EEENS1_30default_config_static_selectorELNS0_4arch9wavefront6targetE0EEEvSL_
    .private_segment_fixed_size: 0
    .sgpr_count:     0
    .sgpr_spill_count: 0
    .symbol:         _ZN7rocprim17ROCPRIM_400000_NS6detail17trampoline_kernelINS0_14default_configENS1_36segmented_radix_sort_config_selectorI6__halflEEZNS1_25segmented_radix_sort_implIS3_Lb1EPKS5_PS5_PKlPlN2at6native12_GLOBAL__N_18offset_tEEE10hipError_tPvRmT1_PNSt15iterator_traitsISL_E10value_typeET2_T3_PNSM_ISR_E10value_typeET4_jRbjT5_SX_jjP12ihipStream_tbEUlT_E_NS1_11comp_targetILNS1_3genE2ELNS1_11target_archE906ELNS1_3gpuE6ELNS1_3repE0EEENS1_30default_config_static_selectorELNS0_4arch9wavefront6targetE0EEEvSL_.kd
    .uniform_work_group_size: 1
    .uses_dynamic_stack: false
    .vgpr_count:     0
    .vgpr_spill_count: 0
    .wavefront_size: 32
  - .args:
      - .offset:         0
        .size:           96
        .value_kind:     by_value
    .group_segment_fixed_size: 0
    .kernarg_segment_align: 8
    .kernarg_segment_size: 96
    .language:       OpenCL C
    .language_version:
      - 2
      - 0
    .max_flat_workgroup_size: 256
    .name:           _ZN7rocprim17ROCPRIM_400000_NS6detail17trampoline_kernelINS0_14default_configENS1_36segmented_radix_sort_config_selectorI6__halflEEZNS1_25segmented_radix_sort_implIS3_Lb1EPKS5_PS5_PKlPlN2at6native12_GLOBAL__N_18offset_tEEE10hipError_tPvRmT1_PNSt15iterator_traitsISL_E10value_typeET2_T3_PNSM_ISR_E10value_typeET4_jRbjT5_SX_jjP12ihipStream_tbEUlT_E_NS1_11comp_targetILNS1_3genE10ELNS1_11target_archE1201ELNS1_3gpuE5ELNS1_3repE0EEENS1_30default_config_static_selectorELNS0_4arch9wavefront6targetE0EEEvSL_
    .private_segment_fixed_size: 0
    .sgpr_count:     0
    .sgpr_spill_count: 0
    .symbol:         _ZN7rocprim17ROCPRIM_400000_NS6detail17trampoline_kernelINS0_14default_configENS1_36segmented_radix_sort_config_selectorI6__halflEEZNS1_25segmented_radix_sort_implIS3_Lb1EPKS5_PS5_PKlPlN2at6native12_GLOBAL__N_18offset_tEEE10hipError_tPvRmT1_PNSt15iterator_traitsISL_E10value_typeET2_T3_PNSM_ISR_E10value_typeET4_jRbjT5_SX_jjP12ihipStream_tbEUlT_E_NS1_11comp_targetILNS1_3genE10ELNS1_11target_archE1201ELNS1_3gpuE5ELNS1_3repE0EEENS1_30default_config_static_selectorELNS0_4arch9wavefront6targetE0EEEvSL_.kd
    .uniform_work_group_size: 1
    .uses_dynamic_stack: false
    .vgpr_count:     0
    .vgpr_spill_count: 0
    .wavefront_size: 32
  - .args:
      - .offset:         0
        .size:           96
        .value_kind:     by_value
    .group_segment_fixed_size: 0
    .kernarg_segment_align: 8
    .kernarg_segment_size: 96
    .language:       OpenCL C
    .language_version:
      - 2
      - 0
    .max_flat_workgroup_size: 128
    .name:           _ZN7rocprim17ROCPRIM_400000_NS6detail17trampoline_kernelINS0_14default_configENS1_36segmented_radix_sort_config_selectorI6__halflEEZNS1_25segmented_radix_sort_implIS3_Lb1EPKS5_PS5_PKlPlN2at6native12_GLOBAL__N_18offset_tEEE10hipError_tPvRmT1_PNSt15iterator_traitsISL_E10value_typeET2_T3_PNSM_ISR_E10value_typeET4_jRbjT5_SX_jjP12ihipStream_tbEUlT_E_NS1_11comp_targetILNS1_3genE10ELNS1_11target_archE1200ELNS1_3gpuE4ELNS1_3repE0EEENS1_30default_config_static_selectorELNS0_4arch9wavefront6targetE0EEEvSL_
    .private_segment_fixed_size: 0
    .sgpr_count:     0
    .sgpr_spill_count: 0
    .symbol:         _ZN7rocprim17ROCPRIM_400000_NS6detail17trampoline_kernelINS0_14default_configENS1_36segmented_radix_sort_config_selectorI6__halflEEZNS1_25segmented_radix_sort_implIS3_Lb1EPKS5_PS5_PKlPlN2at6native12_GLOBAL__N_18offset_tEEE10hipError_tPvRmT1_PNSt15iterator_traitsISL_E10value_typeET2_T3_PNSM_ISR_E10value_typeET4_jRbjT5_SX_jjP12ihipStream_tbEUlT_E_NS1_11comp_targetILNS1_3genE10ELNS1_11target_archE1200ELNS1_3gpuE4ELNS1_3repE0EEENS1_30default_config_static_selectorELNS0_4arch9wavefront6targetE0EEEvSL_.kd
    .uniform_work_group_size: 1
    .uses_dynamic_stack: false
    .vgpr_count:     0
    .vgpr_spill_count: 0
    .wavefront_size: 32
  - .args:
      - .offset:         0
        .size:           96
        .value_kind:     by_value
    .group_segment_fixed_size: 0
    .kernarg_segment_align: 8
    .kernarg_segment_size: 96
    .language:       OpenCL C
    .language_version:
      - 2
      - 0
    .max_flat_workgroup_size: 256
    .name:           _ZN7rocprim17ROCPRIM_400000_NS6detail17trampoline_kernelINS0_14default_configENS1_36segmented_radix_sort_config_selectorI6__halflEEZNS1_25segmented_radix_sort_implIS3_Lb1EPKS5_PS5_PKlPlN2at6native12_GLOBAL__N_18offset_tEEE10hipError_tPvRmT1_PNSt15iterator_traitsISL_E10value_typeET2_T3_PNSM_ISR_E10value_typeET4_jRbjT5_SX_jjP12ihipStream_tbEUlT_E_NS1_11comp_targetILNS1_3genE9ELNS1_11target_archE1100ELNS1_3gpuE3ELNS1_3repE0EEENS1_30default_config_static_selectorELNS0_4arch9wavefront6targetE0EEEvSL_
    .private_segment_fixed_size: 0
    .sgpr_count:     0
    .sgpr_spill_count: 0
    .symbol:         _ZN7rocprim17ROCPRIM_400000_NS6detail17trampoline_kernelINS0_14default_configENS1_36segmented_radix_sort_config_selectorI6__halflEEZNS1_25segmented_radix_sort_implIS3_Lb1EPKS5_PS5_PKlPlN2at6native12_GLOBAL__N_18offset_tEEE10hipError_tPvRmT1_PNSt15iterator_traitsISL_E10value_typeET2_T3_PNSM_ISR_E10value_typeET4_jRbjT5_SX_jjP12ihipStream_tbEUlT_E_NS1_11comp_targetILNS1_3genE9ELNS1_11target_archE1100ELNS1_3gpuE3ELNS1_3repE0EEENS1_30default_config_static_selectorELNS0_4arch9wavefront6targetE0EEEvSL_.kd
    .uniform_work_group_size: 1
    .uses_dynamic_stack: false
    .vgpr_count:     0
    .vgpr_spill_count: 0
    .wavefront_size: 32
  - .args:
      - .offset:         0
        .size:           96
        .value_kind:     by_value
    .group_segment_fixed_size: 0
    .kernarg_segment_align: 8
    .kernarg_segment_size: 96
    .language:       OpenCL C
    .language_version:
      - 2
      - 0
    .max_flat_workgroup_size: 256
    .name:           _ZN7rocprim17ROCPRIM_400000_NS6detail17trampoline_kernelINS0_14default_configENS1_36segmented_radix_sort_config_selectorI6__halflEEZNS1_25segmented_radix_sort_implIS3_Lb1EPKS5_PS5_PKlPlN2at6native12_GLOBAL__N_18offset_tEEE10hipError_tPvRmT1_PNSt15iterator_traitsISL_E10value_typeET2_T3_PNSM_ISR_E10value_typeET4_jRbjT5_SX_jjP12ihipStream_tbEUlT_E_NS1_11comp_targetILNS1_3genE8ELNS1_11target_archE1030ELNS1_3gpuE2ELNS1_3repE0EEENS1_30default_config_static_selectorELNS0_4arch9wavefront6targetE0EEEvSL_
    .private_segment_fixed_size: 0
    .sgpr_count:     0
    .sgpr_spill_count: 0
    .symbol:         _ZN7rocprim17ROCPRIM_400000_NS6detail17trampoline_kernelINS0_14default_configENS1_36segmented_radix_sort_config_selectorI6__halflEEZNS1_25segmented_radix_sort_implIS3_Lb1EPKS5_PS5_PKlPlN2at6native12_GLOBAL__N_18offset_tEEE10hipError_tPvRmT1_PNSt15iterator_traitsISL_E10value_typeET2_T3_PNSM_ISR_E10value_typeET4_jRbjT5_SX_jjP12ihipStream_tbEUlT_E_NS1_11comp_targetILNS1_3genE8ELNS1_11target_archE1030ELNS1_3gpuE2ELNS1_3repE0EEENS1_30default_config_static_selectorELNS0_4arch9wavefront6targetE0EEEvSL_.kd
    .uniform_work_group_size: 1
    .uses_dynamic_stack: false
    .vgpr_count:     0
    .vgpr_spill_count: 0
    .wavefront_size: 32
  - .args:
      - .offset:         0
        .size:           88
        .value_kind:     by_value
      - .offset:         88
        .size:           4
        .value_kind:     hidden_block_count_x
      - .offset:         92
        .size:           4
        .value_kind:     hidden_block_count_y
      - .offset:         96
        .size:           4
        .value_kind:     hidden_block_count_z
      - .offset:         100
        .size:           2
        .value_kind:     hidden_group_size_x
      - .offset:         102
        .size:           2
        .value_kind:     hidden_group_size_y
      - .offset:         104
        .size:           2
        .value_kind:     hidden_group_size_z
      - .offset:         106
        .size:           2
        .value_kind:     hidden_remainder_x
      - .offset:         108
        .size:           2
        .value_kind:     hidden_remainder_y
      - .offset:         110
        .size:           2
        .value_kind:     hidden_remainder_z
      - .offset:         128
        .size:           8
        .value_kind:     hidden_global_offset_x
      - .offset:         136
        .size:           8
        .value_kind:     hidden_global_offset_y
      - .offset:         144
        .size:           8
        .value_kind:     hidden_global_offset_z
      - .offset:         152
        .size:           2
        .value_kind:     hidden_grid_dims
      - .offset:         168
        .size:           8
        .value_kind:     hidden_hostcall_buffer
      - .offset:         176
        .size:           8
        .value_kind:     hidden_multigrid_sync_arg
      - .offset:         184
        .size:           8
        .value_kind:     hidden_heap_v1
      - .offset:         192
        .size:           8
        .value_kind:     hidden_default_queue
      - .offset:         200
        .size:           8
        .value_kind:     hidden_completion_action
      - .offset:         288
        .size:           8
        .value_kind:     hidden_queue_ptr
    .group_segment_fixed_size: 20480
    .kernarg_segment_align: 8
    .kernarg_segment_size: 344
    .language:       OpenCL C
    .language_version:
      - 2
      - 0
    .max_flat_workgroup_size: 256
    .name:           _ZN7rocprim17ROCPRIM_400000_NS6detail17trampoline_kernelINS0_14default_configENS1_36segmented_radix_sort_config_selectorI6__halflEEZNS1_25segmented_radix_sort_implIS3_Lb1EPKS5_PS5_PKlPlN2at6native12_GLOBAL__N_18offset_tEEE10hipError_tPvRmT1_PNSt15iterator_traitsISL_E10value_typeET2_T3_PNSM_ISR_E10value_typeET4_jRbjT5_SX_jjP12ihipStream_tbEUlT_E0_NS1_11comp_targetILNS1_3genE0ELNS1_11target_archE4294967295ELNS1_3gpuE0ELNS1_3repE0EEENS1_60segmented_radix_sort_warp_sort_medium_config_static_selectorELNS0_4arch9wavefront6targetE0EEEvSL_
    .private_segment_fixed_size: 0
    .sgpr_count:     46
    .sgpr_spill_count: 0
    .symbol:         _ZN7rocprim17ROCPRIM_400000_NS6detail17trampoline_kernelINS0_14default_configENS1_36segmented_radix_sort_config_selectorI6__halflEEZNS1_25segmented_radix_sort_implIS3_Lb1EPKS5_PS5_PKlPlN2at6native12_GLOBAL__N_18offset_tEEE10hipError_tPvRmT1_PNSt15iterator_traitsISL_E10value_typeET2_T3_PNSM_ISR_E10value_typeET4_jRbjT5_SX_jjP12ihipStream_tbEUlT_E0_NS1_11comp_targetILNS1_3genE0ELNS1_11target_archE4294967295ELNS1_3gpuE0ELNS1_3repE0EEENS1_60segmented_radix_sort_warp_sort_medium_config_static_selectorELNS0_4arch9wavefront6targetE0EEEvSL_.kd
    .uniform_work_group_size: 1
    .uses_dynamic_stack: false
    .vgpr_count:     68
    .vgpr_spill_count: 0
    .wavefront_size: 32
  - .args:
      - .offset:         0
        .size:           88
        .value_kind:     by_value
    .group_segment_fixed_size: 0
    .kernarg_segment_align: 8
    .kernarg_segment_size: 88
    .language:       OpenCL C
    .language_version:
      - 2
      - 0
    .max_flat_workgroup_size: 256
    .name:           _ZN7rocprim17ROCPRIM_400000_NS6detail17trampoline_kernelINS0_14default_configENS1_36segmented_radix_sort_config_selectorI6__halflEEZNS1_25segmented_radix_sort_implIS3_Lb1EPKS5_PS5_PKlPlN2at6native12_GLOBAL__N_18offset_tEEE10hipError_tPvRmT1_PNSt15iterator_traitsISL_E10value_typeET2_T3_PNSM_ISR_E10value_typeET4_jRbjT5_SX_jjP12ihipStream_tbEUlT_E0_NS1_11comp_targetILNS1_3genE5ELNS1_11target_archE942ELNS1_3gpuE9ELNS1_3repE0EEENS1_60segmented_radix_sort_warp_sort_medium_config_static_selectorELNS0_4arch9wavefront6targetE0EEEvSL_
    .private_segment_fixed_size: 0
    .sgpr_count:     0
    .sgpr_spill_count: 0
    .symbol:         _ZN7rocprim17ROCPRIM_400000_NS6detail17trampoline_kernelINS0_14default_configENS1_36segmented_radix_sort_config_selectorI6__halflEEZNS1_25segmented_radix_sort_implIS3_Lb1EPKS5_PS5_PKlPlN2at6native12_GLOBAL__N_18offset_tEEE10hipError_tPvRmT1_PNSt15iterator_traitsISL_E10value_typeET2_T3_PNSM_ISR_E10value_typeET4_jRbjT5_SX_jjP12ihipStream_tbEUlT_E0_NS1_11comp_targetILNS1_3genE5ELNS1_11target_archE942ELNS1_3gpuE9ELNS1_3repE0EEENS1_60segmented_radix_sort_warp_sort_medium_config_static_selectorELNS0_4arch9wavefront6targetE0EEEvSL_.kd
    .uniform_work_group_size: 1
    .uses_dynamic_stack: false
    .vgpr_count:     0
    .vgpr_spill_count: 0
    .wavefront_size: 32
  - .args:
      - .offset:         0
        .size:           88
        .value_kind:     by_value
    .group_segment_fixed_size: 0
    .kernarg_segment_align: 8
    .kernarg_segment_size: 88
    .language:       OpenCL C
    .language_version:
      - 2
      - 0
    .max_flat_workgroup_size: 256
    .name:           _ZN7rocprim17ROCPRIM_400000_NS6detail17trampoline_kernelINS0_14default_configENS1_36segmented_radix_sort_config_selectorI6__halflEEZNS1_25segmented_radix_sort_implIS3_Lb1EPKS5_PS5_PKlPlN2at6native12_GLOBAL__N_18offset_tEEE10hipError_tPvRmT1_PNSt15iterator_traitsISL_E10value_typeET2_T3_PNSM_ISR_E10value_typeET4_jRbjT5_SX_jjP12ihipStream_tbEUlT_E0_NS1_11comp_targetILNS1_3genE4ELNS1_11target_archE910ELNS1_3gpuE8ELNS1_3repE0EEENS1_60segmented_radix_sort_warp_sort_medium_config_static_selectorELNS0_4arch9wavefront6targetE0EEEvSL_
    .private_segment_fixed_size: 0
    .sgpr_count:     0
    .sgpr_spill_count: 0
    .symbol:         _ZN7rocprim17ROCPRIM_400000_NS6detail17trampoline_kernelINS0_14default_configENS1_36segmented_radix_sort_config_selectorI6__halflEEZNS1_25segmented_radix_sort_implIS3_Lb1EPKS5_PS5_PKlPlN2at6native12_GLOBAL__N_18offset_tEEE10hipError_tPvRmT1_PNSt15iterator_traitsISL_E10value_typeET2_T3_PNSM_ISR_E10value_typeET4_jRbjT5_SX_jjP12ihipStream_tbEUlT_E0_NS1_11comp_targetILNS1_3genE4ELNS1_11target_archE910ELNS1_3gpuE8ELNS1_3repE0EEENS1_60segmented_radix_sort_warp_sort_medium_config_static_selectorELNS0_4arch9wavefront6targetE0EEEvSL_.kd
    .uniform_work_group_size: 1
    .uses_dynamic_stack: false
    .vgpr_count:     0
    .vgpr_spill_count: 0
    .wavefront_size: 32
  - .args:
      - .offset:         0
        .size:           88
        .value_kind:     by_value
    .group_segment_fixed_size: 0
    .kernarg_segment_align: 8
    .kernarg_segment_size: 88
    .language:       OpenCL C
    .language_version:
      - 2
      - 0
    .max_flat_workgroup_size: 256
    .name:           _ZN7rocprim17ROCPRIM_400000_NS6detail17trampoline_kernelINS0_14default_configENS1_36segmented_radix_sort_config_selectorI6__halflEEZNS1_25segmented_radix_sort_implIS3_Lb1EPKS5_PS5_PKlPlN2at6native12_GLOBAL__N_18offset_tEEE10hipError_tPvRmT1_PNSt15iterator_traitsISL_E10value_typeET2_T3_PNSM_ISR_E10value_typeET4_jRbjT5_SX_jjP12ihipStream_tbEUlT_E0_NS1_11comp_targetILNS1_3genE3ELNS1_11target_archE908ELNS1_3gpuE7ELNS1_3repE0EEENS1_60segmented_radix_sort_warp_sort_medium_config_static_selectorELNS0_4arch9wavefront6targetE0EEEvSL_
    .private_segment_fixed_size: 0
    .sgpr_count:     0
    .sgpr_spill_count: 0
    .symbol:         _ZN7rocprim17ROCPRIM_400000_NS6detail17trampoline_kernelINS0_14default_configENS1_36segmented_radix_sort_config_selectorI6__halflEEZNS1_25segmented_radix_sort_implIS3_Lb1EPKS5_PS5_PKlPlN2at6native12_GLOBAL__N_18offset_tEEE10hipError_tPvRmT1_PNSt15iterator_traitsISL_E10value_typeET2_T3_PNSM_ISR_E10value_typeET4_jRbjT5_SX_jjP12ihipStream_tbEUlT_E0_NS1_11comp_targetILNS1_3genE3ELNS1_11target_archE908ELNS1_3gpuE7ELNS1_3repE0EEENS1_60segmented_radix_sort_warp_sort_medium_config_static_selectorELNS0_4arch9wavefront6targetE0EEEvSL_.kd
    .uniform_work_group_size: 1
    .uses_dynamic_stack: false
    .vgpr_count:     0
    .vgpr_spill_count: 0
    .wavefront_size: 32
  - .args:
      - .offset:         0
        .size:           88
        .value_kind:     by_value
    .group_segment_fixed_size: 0
    .kernarg_segment_align: 8
    .kernarg_segment_size: 88
    .language:       OpenCL C
    .language_version:
      - 2
      - 0
    .max_flat_workgroup_size: 256
    .name:           _ZN7rocprim17ROCPRIM_400000_NS6detail17trampoline_kernelINS0_14default_configENS1_36segmented_radix_sort_config_selectorI6__halflEEZNS1_25segmented_radix_sort_implIS3_Lb1EPKS5_PS5_PKlPlN2at6native12_GLOBAL__N_18offset_tEEE10hipError_tPvRmT1_PNSt15iterator_traitsISL_E10value_typeET2_T3_PNSM_ISR_E10value_typeET4_jRbjT5_SX_jjP12ihipStream_tbEUlT_E0_NS1_11comp_targetILNS1_3genE2ELNS1_11target_archE906ELNS1_3gpuE6ELNS1_3repE0EEENS1_60segmented_radix_sort_warp_sort_medium_config_static_selectorELNS0_4arch9wavefront6targetE0EEEvSL_
    .private_segment_fixed_size: 0
    .sgpr_count:     0
    .sgpr_spill_count: 0
    .symbol:         _ZN7rocprim17ROCPRIM_400000_NS6detail17trampoline_kernelINS0_14default_configENS1_36segmented_radix_sort_config_selectorI6__halflEEZNS1_25segmented_radix_sort_implIS3_Lb1EPKS5_PS5_PKlPlN2at6native12_GLOBAL__N_18offset_tEEE10hipError_tPvRmT1_PNSt15iterator_traitsISL_E10value_typeET2_T3_PNSM_ISR_E10value_typeET4_jRbjT5_SX_jjP12ihipStream_tbEUlT_E0_NS1_11comp_targetILNS1_3genE2ELNS1_11target_archE906ELNS1_3gpuE6ELNS1_3repE0EEENS1_60segmented_radix_sort_warp_sort_medium_config_static_selectorELNS0_4arch9wavefront6targetE0EEEvSL_.kd
    .uniform_work_group_size: 1
    .uses_dynamic_stack: false
    .vgpr_count:     0
    .vgpr_spill_count: 0
    .wavefront_size: 32
  - .args:
      - .offset:         0
        .size:           88
        .value_kind:     by_value
    .group_segment_fixed_size: 0
    .kernarg_segment_align: 8
    .kernarg_segment_size: 88
    .language:       OpenCL C
    .language_version:
      - 2
      - 0
    .max_flat_workgroup_size: 256
    .name:           _ZN7rocprim17ROCPRIM_400000_NS6detail17trampoline_kernelINS0_14default_configENS1_36segmented_radix_sort_config_selectorI6__halflEEZNS1_25segmented_radix_sort_implIS3_Lb1EPKS5_PS5_PKlPlN2at6native12_GLOBAL__N_18offset_tEEE10hipError_tPvRmT1_PNSt15iterator_traitsISL_E10value_typeET2_T3_PNSM_ISR_E10value_typeET4_jRbjT5_SX_jjP12ihipStream_tbEUlT_E0_NS1_11comp_targetILNS1_3genE10ELNS1_11target_archE1201ELNS1_3gpuE5ELNS1_3repE0EEENS1_60segmented_radix_sort_warp_sort_medium_config_static_selectorELNS0_4arch9wavefront6targetE0EEEvSL_
    .private_segment_fixed_size: 0
    .sgpr_count:     0
    .sgpr_spill_count: 0
    .symbol:         _ZN7rocprim17ROCPRIM_400000_NS6detail17trampoline_kernelINS0_14default_configENS1_36segmented_radix_sort_config_selectorI6__halflEEZNS1_25segmented_radix_sort_implIS3_Lb1EPKS5_PS5_PKlPlN2at6native12_GLOBAL__N_18offset_tEEE10hipError_tPvRmT1_PNSt15iterator_traitsISL_E10value_typeET2_T3_PNSM_ISR_E10value_typeET4_jRbjT5_SX_jjP12ihipStream_tbEUlT_E0_NS1_11comp_targetILNS1_3genE10ELNS1_11target_archE1201ELNS1_3gpuE5ELNS1_3repE0EEENS1_60segmented_radix_sort_warp_sort_medium_config_static_selectorELNS0_4arch9wavefront6targetE0EEEvSL_.kd
    .uniform_work_group_size: 1
    .uses_dynamic_stack: false
    .vgpr_count:     0
    .vgpr_spill_count: 0
    .wavefront_size: 32
  - .args:
      - .offset:         0
        .size:           88
        .value_kind:     by_value
    .group_segment_fixed_size: 0
    .kernarg_segment_align: 8
    .kernarg_segment_size: 88
    .language:       OpenCL C
    .language_version:
      - 2
      - 0
    .max_flat_workgroup_size: 256
    .name:           _ZN7rocprim17ROCPRIM_400000_NS6detail17trampoline_kernelINS0_14default_configENS1_36segmented_radix_sort_config_selectorI6__halflEEZNS1_25segmented_radix_sort_implIS3_Lb1EPKS5_PS5_PKlPlN2at6native12_GLOBAL__N_18offset_tEEE10hipError_tPvRmT1_PNSt15iterator_traitsISL_E10value_typeET2_T3_PNSM_ISR_E10value_typeET4_jRbjT5_SX_jjP12ihipStream_tbEUlT_E0_NS1_11comp_targetILNS1_3genE10ELNS1_11target_archE1200ELNS1_3gpuE4ELNS1_3repE0EEENS1_60segmented_radix_sort_warp_sort_medium_config_static_selectorELNS0_4arch9wavefront6targetE0EEEvSL_
    .private_segment_fixed_size: 0
    .sgpr_count:     0
    .sgpr_spill_count: 0
    .symbol:         _ZN7rocprim17ROCPRIM_400000_NS6detail17trampoline_kernelINS0_14default_configENS1_36segmented_radix_sort_config_selectorI6__halflEEZNS1_25segmented_radix_sort_implIS3_Lb1EPKS5_PS5_PKlPlN2at6native12_GLOBAL__N_18offset_tEEE10hipError_tPvRmT1_PNSt15iterator_traitsISL_E10value_typeET2_T3_PNSM_ISR_E10value_typeET4_jRbjT5_SX_jjP12ihipStream_tbEUlT_E0_NS1_11comp_targetILNS1_3genE10ELNS1_11target_archE1200ELNS1_3gpuE4ELNS1_3repE0EEENS1_60segmented_radix_sort_warp_sort_medium_config_static_selectorELNS0_4arch9wavefront6targetE0EEEvSL_.kd
    .uniform_work_group_size: 1
    .uses_dynamic_stack: false
    .vgpr_count:     0
    .vgpr_spill_count: 0
    .wavefront_size: 32
  - .args:
      - .offset:         0
        .size:           88
        .value_kind:     by_value
    .group_segment_fixed_size: 0
    .kernarg_segment_align: 8
    .kernarg_segment_size: 88
    .language:       OpenCL C
    .language_version:
      - 2
      - 0
    .max_flat_workgroup_size: 256
    .name:           _ZN7rocprim17ROCPRIM_400000_NS6detail17trampoline_kernelINS0_14default_configENS1_36segmented_radix_sort_config_selectorI6__halflEEZNS1_25segmented_radix_sort_implIS3_Lb1EPKS5_PS5_PKlPlN2at6native12_GLOBAL__N_18offset_tEEE10hipError_tPvRmT1_PNSt15iterator_traitsISL_E10value_typeET2_T3_PNSM_ISR_E10value_typeET4_jRbjT5_SX_jjP12ihipStream_tbEUlT_E0_NS1_11comp_targetILNS1_3genE9ELNS1_11target_archE1100ELNS1_3gpuE3ELNS1_3repE0EEENS1_60segmented_radix_sort_warp_sort_medium_config_static_selectorELNS0_4arch9wavefront6targetE0EEEvSL_
    .private_segment_fixed_size: 0
    .sgpr_count:     0
    .sgpr_spill_count: 0
    .symbol:         _ZN7rocprim17ROCPRIM_400000_NS6detail17trampoline_kernelINS0_14default_configENS1_36segmented_radix_sort_config_selectorI6__halflEEZNS1_25segmented_radix_sort_implIS3_Lb1EPKS5_PS5_PKlPlN2at6native12_GLOBAL__N_18offset_tEEE10hipError_tPvRmT1_PNSt15iterator_traitsISL_E10value_typeET2_T3_PNSM_ISR_E10value_typeET4_jRbjT5_SX_jjP12ihipStream_tbEUlT_E0_NS1_11comp_targetILNS1_3genE9ELNS1_11target_archE1100ELNS1_3gpuE3ELNS1_3repE0EEENS1_60segmented_radix_sort_warp_sort_medium_config_static_selectorELNS0_4arch9wavefront6targetE0EEEvSL_.kd
    .uniform_work_group_size: 1
    .uses_dynamic_stack: false
    .vgpr_count:     0
    .vgpr_spill_count: 0
    .wavefront_size: 32
  - .args:
      - .offset:         0
        .size:           88
        .value_kind:     by_value
    .group_segment_fixed_size: 0
    .kernarg_segment_align: 8
    .kernarg_segment_size: 88
    .language:       OpenCL C
    .language_version:
      - 2
      - 0
    .max_flat_workgroup_size: 256
    .name:           _ZN7rocprim17ROCPRIM_400000_NS6detail17trampoline_kernelINS0_14default_configENS1_36segmented_radix_sort_config_selectorI6__halflEEZNS1_25segmented_radix_sort_implIS3_Lb1EPKS5_PS5_PKlPlN2at6native12_GLOBAL__N_18offset_tEEE10hipError_tPvRmT1_PNSt15iterator_traitsISL_E10value_typeET2_T3_PNSM_ISR_E10value_typeET4_jRbjT5_SX_jjP12ihipStream_tbEUlT_E0_NS1_11comp_targetILNS1_3genE8ELNS1_11target_archE1030ELNS1_3gpuE2ELNS1_3repE0EEENS1_60segmented_radix_sort_warp_sort_medium_config_static_selectorELNS0_4arch9wavefront6targetE0EEEvSL_
    .private_segment_fixed_size: 0
    .sgpr_count:     0
    .sgpr_spill_count: 0
    .symbol:         _ZN7rocprim17ROCPRIM_400000_NS6detail17trampoline_kernelINS0_14default_configENS1_36segmented_radix_sort_config_selectorI6__halflEEZNS1_25segmented_radix_sort_implIS3_Lb1EPKS5_PS5_PKlPlN2at6native12_GLOBAL__N_18offset_tEEE10hipError_tPvRmT1_PNSt15iterator_traitsISL_E10value_typeET2_T3_PNSM_ISR_E10value_typeET4_jRbjT5_SX_jjP12ihipStream_tbEUlT_E0_NS1_11comp_targetILNS1_3genE8ELNS1_11target_archE1030ELNS1_3gpuE2ELNS1_3repE0EEENS1_60segmented_radix_sort_warp_sort_medium_config_static_selectorELNS0_4arch9wavefront6targetE0EEEvSL_.kd
    .uniform_work_group_size: 1
    .uses_dynamic_stack: false
    .vgpr_count:     0
    .vgpr_spill_count: 0
    .wavefront_size: 32
  - .args:
      - .offset:         0
        .size:           88
        .value_kind:     by_value
      - .offset:         88
        .size:           4
        .value_kind:     hidden_block_count_x
      - .offset:         92
        .size:           4
        .value_kind:     hidden_block_count_y
      - .offset:         96
        .size:           4
        .value_kind:     hidden_block_count_z
      - .offset:         100
        .size:           2
        .value_kind:     hidden_group_size_x
      - .offset:         102
        .size:           2
        .value_kind:     hidden_group_size_y
      - .offset:         104
        .size:           2
        .value_kind:     hidden_group_size_z
      - .offset:         106
        .size:           2
        .value_kind:     hidden_remainder_x
      - .offset:         108
        .size:           2
        .value_kind:     hidden_remainder_y
      - .offset:         110
        .size:           2
        .value_kind:     hidden_remainder_z
      - .offset:         128
        .size:           8
        .value_kind:     hidden_global_offset_x
      - .offset:         136
        .size:           8
        .value_kind:     hidden_global_offset_y
      - .offset:         144
        .size:           8
        .value_kind:     hidden_global_offset_z
      - .offset:         152
        .size:           2
        .value_kind:     hidden_grid_dims
      - .offset:         168
        .size:           8
        .value_kind:     hidden_hostcall_buffer
      - .offset:         176
        .size:           8
        .value_kind:     hidden_multigrid_sync_arg
      - .offset:         184
        .size:           8
        .value_kind:     hidden_heap_v1
      - .offset:         192
        .size:           8
        .value_kind:     hidden_default_queue
      - .offset:         200
        .size:           8
        .value_kind:     hidden_completion_action
      - .offset:         288
        .size:           8
        .value_kind:     hidden_queue_ptr
    .group_segment_fixed_size: 10240
    .kernarg_segment_align: 8
    .kernarg_segment_size: 344
    .language:       OpenCL C
    .language_version:
      - 2
      - 0
    .max_flat_workgroup_size: 256
    .name:           _ZN7rocprim17ROCPRIM_400000_NS6detail17trampoline_kernelINS0_14default_configENS1_36segmented_radix_sort_config_selectorI6__halflEEZNS1_25segmented_radix_sort_implIS3_Lb1EPKS5_PS5_PKlPlN2at6native12_GLOBAL__N_18offset_tEEE10hipError_tPvRmT1_PNSt15iterator_traitsISL_E10value_typeET2_T3_PNSM_ISR_E10value_typeET4_jRbjT5_SX_jjP12ihipStream_tbEUlT_E1_NS1_11comp_targetILNS1_3genE0ELNS1_11target_archE4294967295ELNS1_3gpuE0ELNS1_3repE0EEENS1_59segmented_radix_sort_warp_sort_small_config_static_selectorELNS0_4arch9wavefront6targetE0EEEvSL_
    .private_segment_fixed_size: 0
    .sgpr_count:     35
    .sgpr_spill_count: 0
    .symbol:         _ZN7rocprim17ROCPRIM_400000_NS6detail17trampoline_kernelINS0_14default_configENS1_36segmented_radix_sort_config_selectorI6__halflEEZNS1_25segmented_radix_sort_implIS3_Lb1EPKS5_PS5_PKlPlN2at6native12_GLOBAL__N_18offset_tEEE10hipError_tPvRmT1_PNSt15iterator_traitsISL_E10value_typeET2_T3_PNSM_ISR_E10value_typeET4_jRbjT5_SX_jjP12ihipStream_tbEUlT_E1_NS1_11comp_targetILNS1_3genE0ELNS1_11target_archE4294967295ELNS1_3gpuE0ELNS1_3repE0EEENS1_59segmented_radix_sort_warp_sort_small_config_static_selectorELNS0_4arch9wavefront6targetE0EEEvSL_.kd
    .uniform_work_group_size: 1
    .uses_dynamic_stack: false
    .vgpr_count:     55
    .vgpr_spill_count: 0
    .wavefront_size: 32
  - .args:
      - .offset:         0
        .size:           88
        .value_kind:     by_value
    .group_segment_fixed_size: 0
    .kernarg_segment_align: 8
    .kernarg_segment_size: 88
    .language:       OpenCL C
    .language_version:
      - 2
      - 0
    .max_flat_workgroup_size: 256
    .name:           _ZN7rocprim17ROCPRIM_400000_NS6detail17trampoline_kernelINS0_14default_configENS1_36segmented_radix_sort_config_selectorI6__halflEEZNS1_25segmented_radix_sort_implIS3_Lb1EPKS5_PS5_PKlPlN2at6native12_GLOBAL__N_18offset_tEEE10hipError_tPvRmT1_PNSt15iterator_traitsISL_E10value_typeET2_T3_PNSM_ISR_E10value_typeET4_jRbjT5_SX_jjP12ihipStream_tbEUlT_E1_NS1_11comp_targetILNS1_3genE5ELNS1_11target_archE942ELNS1_3gpuE9ELNS1_3repE0EEENS1_59segmented_radix_sort_warp_sort_small_config_static_selectorELNS0_4arch9wavefront6targetE0EEEvSL_
    .private_segment_fixed_size: 0
    .sgpr_count:     0
    .sgpr_spill_count: 0
    .symbol:         _ZN7rocprim17ROCPRIM_400000_NS6detail17trampoline_kernelINS0_14default_configENS1_36segmented_radix_sort_config_selectorI6__halflEEZNS1_25segmented_radix_sort_implIS3_Lb1EPKS5_PS5_PKlPlN2at6native12_GLOBAL__N_18offset_tEEE10hipError_tPvRmT1_PNSt15iterator_traitsISL_E10value_typeET2_T3_PNSM_ISR_E10value_typeET4_jRbjT5_SX_jjP12ihipStream_tbEUlT_E1_NS1_11comp_targetILNS1_3genE5ELNS1_11target_archE942ELNS1_3gpuE9ELNS1_3repE0EEENS1_59segmented_radix_sort_warp_sort_small_config_static_selectorELNS0_4arch9wavefront6targetE0EEEvSL_.kd
    .uniform_work_group_size: 1
    .uses_dynamic_stack: false
    .vgpr_count:     0
    .vgpr_spill_count: 0
    .wavefront_size: 32
  - .args:
      - .offset:         0
        .size:           88
        .value_kind:     by_value
    .group_segment_fixed_size: 0
    .kernarg_segment_align: 8
    .kernarg_segment_size: 88
    .language:       OpenCL C
    .language_version:
      - 2
      - 0
    .max_flat_workgroup_size: 256
    .name:           _ZN7rocprim17ROCPRIM_400000_NS6detail17trampoline_kernelINS0_14default_configENS1_36segmented_radix_sort_config_selectorI6__halflEEZNS1_25segmented_radix_sort_implIS3_Lb1EPKS5_PS5_PKlPlN2at6native12_GLOBAL__N_18offset_tEEE10hipError_tPvRmT1_PNSt15iterator_traitsISL_E10value_typeET2_T3_PNSM_ISR_E10value_typeET4_jRbjT5_SX_jjP12ihipStream_tbEUlT_E1_NS1_11comp_targetILNS1_3genE4ELNS1_11target_archE910ELNS1_3gpuE8ELNS1_3repE0EEENS1_59segmented_radix_sort_warp_sort_small_config_static_selectorELNS0_4arch9wavefront6targetE0EEEvSL_
    .private_segment_fixed_size: 0
    .sgpr_count:     0
    .sgpr_spill_count: 0
    .symbol:         _ZN7rocprim17ROCPRIM_400000_NS6detail17trampoline_kernelINS0_14default_configENS1_36segmented_radix_sort_config_selectorI6__halflEEZNS1_25segmented_radix_sort_implIS3_Lb1EPKS5_PS5_PKlPlN2at6native12_GLOBAL__N_18offset_tEEE10hipError_tPvRmT1_PNSt15iterator_traitsISL_E10value_typeET2_T3_PNSM_ISR_E10value_typeET4_jRbjT5_SX_jjP12ihipStream_tbEUlT_E1_NS1_11comp_targetILNS1_3genE4ELNS1_11target_archE910ELNS1_3gpuE8ELNS1_3repE0EEENS1_59segmented_radix_sort_warp_sort_small_config_static_selectorELNS0_4arch9wavefront6targetE0EEEvSL_.kd
    .uniform_work_group_size: 1
    .uses_dynamic_stack: false
    .vgpr_count:     0
    .vgpr_spill_count: 0
    .wavefront_size: 32
  - .args:
      - .offset:         0
        .size:           88
        .value_kind:     by_value
    .group_segment_fixed_size: 0
    .kernarg_segment_align: 8
    .kernarg_segment_size: 88
    .language:       OpenCL C
    .language_version:
      - 2
      - 0
    .max_flat_workgroup_size: 256
    .name:           _ZN7rocprim17ROCPRIM_400000_NS6detail17trampoline_kernelINS0_14default_configENS1_36segmented_radix_sort_config_selectorI6__halflEEZNS1_25segmented_radix_sort_implIS3_Lb1EPKS5_PS5_PKlPlN2at6native12_GLOBAL__N_18offset_tEEE10hipError_tPvRmT1_PNSt15iterator_traitsISL_E10value_typeET2_T3_PNSM_ISR_E10value_typeET4_jRbjT5_SX_jjP12ihipStream_tbEUlT_E1_NS1_11comp_targetILNS1_3genE3ELNS1_11target_archE908ELNS1_3gpuE7ELNS1_3repE0EEENS1_59segmented_radix_sort_warp_sort_small_config_static_selectorELNS0_4arch9wavefront6targetE0EEEvSL_
    .private_segment_fixed_size: 0
    .sgpr_count:     0
    .sgpr_spill_count: 0
    .symbol:         _ZN7rocprim17ROCPRIM_400000_NS6detail17trampoline_kernelINS0_14default_configENS1_36segmented_radix_sort_config_selectorI6__halflEEZNS1_25segmented_radix_sort_implIS3_Lb1EPKS5_PS5_PKlPlN2at6native12_GLOBAL__N_18offset_tEEE10hipError_tPvRmT1_PNSt15iterator_traitsISL_E10value_typeET2_T3_PNSM_ISR_E10value_typeET4_jRbjT5_SX_jjP12ihipStream_tbEUlT_E1_NS1_11comp_targetILNS1_3genE3ELNS1_11target_archE908ELNS1_3gpuE7ELNS1_3repE0EEENS1_59segmented_radix_sort_warp_sort_small_config_static_selectorELNS0_4arch9wavefront6targetE0EEEvSL_.kd
    .uniform_work_group_size: 1
    .uses_dynamic_stack: false
    .vgpr_count:     0
    .vgpr_spill_count: 0
    .wavefront_size: 32
  - .args:
      - .offset:         0
        .size:           88
        .value_kind:     by_value
    .group_segment_fixed_size: 0
    .kernarg_segment_align: 8
    .kernarg_segment_size: 88
    .language:       OpenCL C
    .language_version:
      - 2
      - 0
    .max_flat_workgroup_size: 256
    .name:           _ZN7rocprim17ROCPRIM_400000_NS6detail17trampoline_kernelINS0_14default_configENS1_36segmented_radix_sort_config_selectorI6__halflEEZNS1_25segmented_radix_sort_implIS3_Lb1EPKS5_PS5_PKlPlN2at6native12_GLOBAL__N_18offset_tEEE10hipError_tPvRmT1_PNSt15iterator_traitsISL_E10value_typeET2_T3_PNSM_ISR_E10value_typeET4_jRbjT5_SX_jjP12ihipStream_tbEUlT_E1_NS1_11comp_targetILNS1_3genE2ELNS1_11target_archE906ELNS1_3gpuE6ELNS1_3repE0EEENS1_59segmented_radix_sort_warp_sort_small_config_static_selectorELNS0_4arch9wavefront6targetE0EEEvSL_
    .private_segment_fixed_size: 0
    .sgpr_count:     0
    .sgpr_spill_count: 0
    .symbol:         _ZN7rocprim17ROCPRIM_400000_NS6detail17trampoline_kernelINS0_14default_configENS1_36segmented_radix_sort_config_selectorI6__halflEEZNS1_25segmented_radix_sort_implIS3_Lb1EPKS5_PS5_PKlPlN2at6native12_GLOBAL__N_18offset_tEEE10hipError_tPvRmT1_PNSt15iterator_traitsISL_E10value_typeET2_T3_PNSM_ISR_E10value_typeET4_jRbjT5_SX_jjP12ihipStream_tbEUlT_E1_NS1_11comp_targetILNS1_3genE2ELNS1_11target_archE906ELNS1_3gpuE6ELNS1_3repE0EEENS1_59segmented_radix_sort_warp_sort_small_config_static_selectorELNS0_4arch9wavefront6targetE0EEEvSL_.kd
    .uniform_work_group_size: 1
    .uses_dynamic_stack: false
    .vgpr_count:     0
    .vgpr_spill_count: 0
    .wavefront_size: 32
  - .args:
      - .offset:         0
        .size:           88
        .value_kind:     by_value
    .group_segment_fixed_size: 0
    .kernarg_segment_align: 8
    .kernarg_segment_size: 88
    .language:       OpenCL C
    .language_version:
      - 2
      - 0
    .max_flat_workgroup_size: 256
    .name:           _ZN7rocprim17ROCPRIM_400000_NS6detail17trampoline_kernelINS0_14default_configENS1_36segmented_radix_sort_config_selectorI6__halflEEZNS1_25segmented_radix_sort_implIS3_Lb1EPKS5_PS5_PKlPlN2at6native12_GLOBAL__N_18offset_tEEE10hipError_tPvRmT1_PNSt15iterator_traitsISL_E10value_typeET2_T3_PNSM_ISR_E10value_typeET4_jRbjT5_SX_jjP12ihipStream_tbEUlT_E1_NS1_11comp_targetILNS1_3genE10ELNS1_11target_archE1201ELNS1_3gpuE5ELNS1_3repE0EEENS1_59segmented_radix_sort_warp_sort_small_config_static_selectorELNS0_4arch9wavefront6targetE0EEEvSL_
    .private_segment_fixed_size: 0
    .sgpr_count:     0
    .sgpr_spill_count: 0
    .symbol:         _ZN7rocprim17ROCPRIM_400000_NS6detail17trampoline_kernelINS0_14default_configENS1_36segmented_radix_sort_config_selectorI6__halflEEZNS1_25segmented_radix_sort_implIS3_Lb1EPKS5_PS5_PKlPlN2at6native12_GLOBAL__N_18offset_tEEE10hipError_tPvRmT1_PNSt15iterator_traitsISL_E10value_typeET2_T3_PNSM_ISR_E10value_typeET4_jRbjT5_SX_jjP12ihipStream_tbEUlT_E1_NS1_11comp_targetILNS1_3genE10ELNS1_11target_archE1201ELNS1_3gpuE5ELNS1_3repE0EEENS1_59segmented_radix_sort_warp_sort_small_config_static_selectorELNS0_4arch9wavefront6targetE0EEEvSL_.kd
    .uniform_work_group_size: 1
    .uses_dynamic_stack: false
    .vgpr_count:     0
    .vgpr_spill_count: 0
    .wavefront_size: 32
  - .args:
      - .offset:         0
        .size:           88
        .value_kind:     by_value
    .group_segment_fixed_size: 0
    .kernarg_segment_align: 8
    .kernarg_segment_size: 88
    .language:       OpenCL C
    .language_version:
      - 2
      - 0
    .max_flat_workgroup_size: 256
    .name:           _ZN7rocprim17ROCPRIM_400000_NS6detail17trampoline_kernelINS0_14default_configENS1_36segmented_radix_sort_config_selectorI6__halflEEZNS1_25segmented_radix_sort_implIS3_Lb1EPKS5_PS5_PKlPlN2at6native12_GLOBAL__N_18offset_tEEE10hipError_tPvRmT1_PNSt15iterator_traitsISL_E10value_typeET2_T3_PNSM_ISR_E10value_typeET4_jRbjT5_SX_jjP12ihipStream_tbEUlT_E1_NS1_11comp_targetILNS1_3genE10ELNS1_11target_archE1200ELNS1_3gpuE4ELNS1_3repE0EEENS1_59segmented_radix_sort_warp_sort_small_config_static_selectorELNS0_4arch9wavefront6targetE0EEEvSL_
    .private_segment_fixed_size: 0
    .sgpr_count:     0
    .sgpr_spill_count: 0
    .symbol:         _ZN7rocprim17ROCPRIM_400000_NS6detail17trampoline_kernelINS0_14default_configENS1_36segmented_radix_sort_config_selectorI6__halflEEZNS1_25segmented_radix_sort_implIS3_Lb1EPKS5_PS5_PKlPlN2at6native12_GLOBAL__N_18offset_tEEE10hipError_tPvRmT1_PNSt15iterator_traitsISL_E10value_typeET2_T3_PNSM_ISR_E10value_typeET4_jRbjT5_SX_jjP12ihipStream_tbEUlT_E1_NS1_11comp_targetILNS1_3genE10ELNS1_11target_archE1200ELNS1_3gpuE4ELNS1_3repE0EEENS1_59segmented_radix_sort_warp_sort_small_config_static_selectorELNS0_4arch9wavefront6targetE0EEEvSL_.kd
    .uniform_work_group_size: 1
    .uses_dynamic_stack: false
    .vgpr_count:     0
    .vgpr_spill_count: 0
    .wavefront_size: 32
  - .args:
      - .offset:         0
        .size:           88
        .value_kind:     by_value
    .group_segment_fixed_size: 0
    .kernarg_segment_align: 8
    .kernarg_segment_size: 88
    .language:       OpenCL C
    .language_version:
      - 2
      - 0
    .max_flat_workgroup_size: 256
    .name:           _ZN7rocprim17ROCPRIM_400000_NS6detail17trampoline_kernelINS0_14default_configENS1_36segmented_radix_sort_config_selectorI6__halflEEZNS1_25segmented_radix_sort_implIS3_Lb1EPKS5_PS5_PKlPlN2at6native12_GLOBAL__N_18offset_tEEE10hipError_tPvRmT1_PNSt15iterator_traitsISL_E10value_typeET2_T3_PNSM_ISR_E10value_typeET4_jRbjT5_SX_jjP12ihipStream_tbEUlT_E1_NS1_11comp_targetILNS1_3genE9ELNS1_11target_archE1100ELNS1_3gpuE3ELNS1_3repE0EEENS1_59segmented_radix_sort_warp_sort_small_config_static_selectorELNS0_4arch9wavefront6targetE0EEEvSL_
    .private_segment_fixed_size: 0
    .sgpr_count:     0
    .sgpr_spill_count: 0
    .symbol:         _ZN7rocprim17ROCPRIM_400000_NS6detail17trampoline_kernelINS0_14default_configENS1_36segmented_radix_sort_config_selectorI6__halflEEZNS1_25segmented_radix_sort_implIS3_Lb1EPKS5_PS5_PKlPlN2at6native12_GLOBAL__N_18offset_tEEE10hipError_tPvRmT1_PNSt15iterator_traitsISL_E10value_typeET2_T3_PNSM_ISR_E10value_typeET4_jRbjT5_SX_jjP12ihipStream_tbEUlT_E1_NS1_11comp_targetILNS1_3genE9ELNS1_11target_archE1100ELNS1_3gpuE3ELNS1_3repE0EEENS1_59segmented_radix_sort_warp_sort_small_config_static_selectorELNS0_4arch9wavefront6targetE0EEEvSL_.kd
    .uniform_work_group_size: 1
    .uses_dynamic_stack: false
    .vgpr_count:     0
    .vgpr_spill_count: 0
    .wavefront_size: 32
  - .args:
      - .offset:         0
        .size:           88
        .value_kind:     by_value
    .group_segment_fixed_size: 0
    .kernarg_segment_align: 8
    .kernarg_segment_size: 88
    .language:       OpenCL C
    .language_version:
      - 2
      - 0
    .max_flat_workgroup_size: 256
    .name:           _ZN7rocprim17ROCPRIM_400000_NS6detail17trampoline_kernelINS0_14default_configENS1_36segmented_radix_sort_config_selectorI6__halflEEZNS1_25segmented_radix_sort_implIS3_Lb1EPKS5_PS5_PKlPlN2at6native12_GLOBAL__N_18offset_tEEE10hipError_tPvRmT1_PNSt15iterator_traitsISL_E10value_typeET2_T3_PNSM_ISR_E10value_typeET4_jRbjT5_SX_jjP12ihipStream_tbEUlT_E1_NS1_11comp_targetILNS1_3genE8ELNS1_11target_archE1030ELNS1_3gpuE2ELNS1_3repE0EEENS1_59segmented_radix_sort_warp_sort_small_config_static_selectorELNS0_4arch9wavefront6targetE0EEEvSL_
    .private_segment_fixed_size: 0
    .sgpr_count:     0
    .sgpr_spill_count: 0
    .symbol:         _ZN7rocprim17ROCPRIM_400000_NS6detail17trampoline_kernelINS0_14default_configENS1_36segmented_radix_sort_config_selectorI6__halflEEZNS1_25segmented_radix_sort_implIS3_Lb1EPKS5_PS5_PKlPlN2at6native12_GLOBAL__N_18offset_tEEE10hipError_tPvRmT1_PNSt15iterator_traitsISL_E10value_typeET2_T3_PNSM_ISR_E10value_typeET4_jRbjT5_SX_jjP12ihipStream_tbEUlT_E1_NS1_11comp_targetILNS1_3genE8ELNS1_11target_archE1030ELNS1_3gpuE2ELNS1_3repE0EEENS1_59segmented_radix_sort_warp_sort_small_config_static_selectorELNS0_4arch9wavefront6targetE0EEEvSL_.kd
    .uniform_work_group_size: 1
    .uses_dynamic_stack: false
    .vgpr_count:     0
    .vgpr_spill_count: 0
    .wavefront_size: 32
  - .args:
      - .offset:         0
        .size:           80
        .value_kind:     by_value
      - .offset:         80
        .size:           4
        .value_kind:     hidden_block_count_x
      - .offset:         84
        .size:           4
        .value_kind:     hidden_block_count_y
      - .offset:         88
        .size:           4
        .value_kind:     hidden_block_count_z
      - .offset:         92
        .size:           2
        .value_kind:     hidden_group_size_x
      - .offset:         94
        .size:           2
        .value_kind:     hidden_group_size_y
      - .offset:         96
        .size:           2
        .value_kind:     hidden_group_size_z
      - .offset:         98
        .size:           2
        .value_kind:     hidden_remainder_x
      - .offset:         100
        .size:           2
        .value_kind:     hidden_remainder_y
      - .offset:         102
        .size:           2
        .value_kind:     hidden_remainder_z
      - .offset:         120
        .size:           8
        .value_kind:     hidden_global_offset_x
      - .offset:         128
        .size:           8
        .value_kind:     hidden_global_offset_y
      - .offset:         136
        .size:           8
        .value_kind:     hidden_global_offset_z
      - .offset:         144
        .size:           2
        .value_kind:     hidden_grid_dims
      - .offset:         160
        .size:           8
        .value_kind:     hidden_hostcall_buffer
      - .offset:         168
        .size:           8
        .value_kind:     hidden_multigrid_sync_arg
      - .offset:         176
        .size:           8
        .value_kind:     hidden_heap_v1
      - .offset:         184
        .size:           8
        .value_kind:     hidden_default_queue
      - .offset:         192
        .size:           8
        .value_kind:     hidden_completion_action
      - .offset:         280
        .size:           8
        .value_kind:     hidden_queue_ptr
    .group_segment_fixed_size: 33824
    .kernarg_segment_align: 8
    .kernarg_segment_size: 336
    .language:       OpenCL C
    .language_version:
      - 2
      - 0
    .max_flat_workgroup_size: 256
    .name:           _ZN7rocprim17ROCPRIM_400000_NS6detail17trampoline_kernelINS0_14default_configENS1_36segmented_radix_sort_config_selectorI6__halflEEZNS1_25segmented_radix_sort_implIS3_Lb1EPKS5_PS5_PKlPlN2at6native12_GLOBAL__N_18offset_tEEE10hipError_tPvRmT1_PNSt15iterator_traitsISL_E10value_typeET2_T3_PNSM_ISR_E10value_typeET4_jRbjT5_SX_jjP12ihipStream_tbEUlT_E2_NS1_11comp_targetILNS1_3genE0ELNS1_11target_archE4294967295ELNS1_3gpuE0ELNS1_3repE0EEENS1_30default_config_static_selectorELNS0_4arch9wavefront6targetE0EEEvSL_
    .private_segment_fixed_size: 0
    .sgpr_count:     61
    .sgpr_spill_count: 0
    .symbol:         _ZN7rocprim17ROCPRIM_400000_NS6detail17trampoline_kernelINS0_14default_configENS1_36segmented_radix_sort_config_selectorI6__halflEEZNS1_25segmented_radix_sort_implIS3_Lb1EPKS5_PS5_PKlPlN2at6native12_GLOBAL__N_18offset_tEEE10hipError_tPvRmT1_PNSt15iterator_traitsISL_E10value_typeET2_T3_PNSM_ISR_E10value_typeET4_jRbjT5_SX_jjP12ihipStream_tbEUlT_E2_NS1_11comp_targetILNS1_3genE0ELNS1_11target_archE4294967295ELNS1_3gpuE0ELNS1_3repE0EEENS1_30default_config_static_selectorELNS0_4arch9wavefront6targetE0EEEvSL_.kd
    .uniform_work_group_size: 1
    .uses_dynamic_stack: false
    .vgpr_count:     304
    .vgpr_spill_count: 0
    .wavefront_size: 32
  - .args:
      - .offset:         0
        .size:           80
        .value_kind:     by_value
    .group_segment_fixed_size: 0
    .kernarg_segment_align: 8
    .kernarg_segment_size: 80
    .language:       OpenCL C
    .language_version:
      - 2
      - 0
    .max_flat_workgroup_size: 256
    .name:           _ZN7rocprim17ROCPRIM_400000_NS6detail17trampoline_kernelINS0_14default_configENS1_36segmented_radix_sort_config_selectorI6__halflEEZNS1_25segmented_radix_sort_implIS3_Lb1EPKS5_PS5_PKlPlN2at6native12_GLOBAL__N_18offset_tEEE10hipError_tPvRmT1_PNSt15iterator_traitsISL_E10value_typeET2_T3_PNSM_ISR_E10value_typeET4_jRbjT5_SX_jjP12ihipStream_tbEUlT_E2_NS1_11comp_targetILNS1_3genE5ELNS1_11target_archE942ELNS1_3gpuE9ELNS1_3repE0EEENS1_30default_config_static_selectorELNS0_4arch9wavefront6targetE0EEEvSL_
    .private_segment_fixed_size: 0
    .sgpr_count:     0
    .sgpr_spill_count: 0
    .symbol:         _ZN7rocprim17ROCPRIM_400000_NS6detail17trampoline_kernelINS0_14default_configENS1_36segmented_radix_sort_config_selectorI6__halflEEZNS1_25segmented_radix_sort_implIS3_Lb1EPKS5_PS5_PKlPlN2at6native12_GLOBAL__N_18offset_tEEE10hipError_tPvRmT1_PNSt15iterator_traitsISL_E10value_typeET2_T3_PNSM_ISR_E10value_typeET4_jRbjT5_SX_jjP12ihipStream_tbEUlT_E2_NS1_11comp_targetILNS1_3genE5ELNS1_11target_archE942ELNS1_3gpuE9ELNS1_3repE0EEENS1_30default_config_static_selectorELNS0_4arch9wavefront6targetE0EEEvSL_.kd
    .uniform_work_group_size: 1
    .uses_dynamic_stack: false
    .vgpr_count:     0
    .vgpr_spill_count: 0
    .wavefront_size: 32
  - .args:
      - .offset:         0
        .size:           80
        .value_kind:     by_value
    .group_segment_fixed_size: 0
    .kernarg_segment_align: 8
    .kernarg_segment_size: 80
    .language:       OpenCL C
    .language_version:
      - 2
      - 0
    .max_flat_workgroup_size: 256
    .name:           _ZN7rocprim17ROCPRIM_400000_NS6detail17trampoline_kernelINS0_14default_configENS1_36segmented_radix_sort_config_selectorI6__halflEEZNS1_25segmented_radix_sort_implIS3_Lb1EPKS5_PS5_PKlPlN2at6native12_GLOBAL__N_18offset_tEEE10hipError_tPvRmT1_PNSt15iterator_traitsISL_E10value_typeET2_T3_PNSM_ISR_E10value_typeET4_jRbjT5_SX_jjP12ihipStream_tbEUlT_E2_NS1_11comp_targetILNS1_3genE4ELNS1_11target_archE910ELNS1_3gpuE8ELNS1_3repE0EEENS1_30default_config_static_selectorELNS0_4arch9wavefront6targetE0EEEvSL_
    .private_segment_fixed_size: 0
    .sgpr_count:     0
    .sgpr_spill_count: 0
    .symbol:         _ZN7rocprim17ROCPRIM_400000_NS6detail17trampoline_kernelINS0_14default_configENS1_36segmented_radix_sort_config_selectorI6__halflEEZNS1_25segmented_radix_sort_implIS3_Lb1EPKS5_PS5_PKlPlN2at6native12_GLOBAL__N_18offset_tEEE10hipError_tPvRmT1_PNSt15iterator_traitsISL_E10value_typeET2_T3_PNSM_ISR_E10value_typeET4_jRbjT5_SX_jjP12ihipStream_tbEUlT_E2_NS1_11comp_targetILNS1_3genE4ELNS1_11target_archE910ELNS1_3gpuE8ELNS1_3repE0EEENS1_30default_config_static_selectorELNS0_4arch9wavefront6targetE0EEEvSL_.kd
    .uniform_work_group_size: 1
    .uses_dynamic_stack: false
    .vgpr_count:     0
    .vgpr_spill_count: 0
    .wavefront_size: 32
  - .args:
      - .offset:         0
        .size:           80
        .value_kind:     by_value
    .group_segment_fixed_size: 0
    .kernarg_segment_align: 8
    .kernarg_segment_size: 80
    .language:       OpenCL C
    .language_version:
      - 2
      - 0
    .max_flat_workgroup_size: 256
    .name:           _ZN7rocprim17ROCPRIM_400000_NS6detail17trampoline_kernelINS0_14default_configENS1_36segmented_radix_sort_config_selectorI6__halflEEZNS1_25segmented_radix_sort_implIS3_Lb1EPKS5_PS5_PKlPlN2at6native12_GLOBAL__N_18offset_tEEE10hipError_tPvRmT1_PNSt15iterator_traitsISL_E10value_typeET2_T3_PNSM_ISR_E10value_typeET4_jRbjT5_SX_jjP12ihipStream_tbEUlT_E2_NS1_11comp_targetILNS1_3genE3ELNS1_11target_archE908ELNS1_3gpuE7ELNS1_3repE0EEENS1_30default_config_static_selectorELNS0_4arch9wavefront6targetE0EEEvSL_
    .private_segment_fixed_size: 0
    .sgpr_count:     0
    .sgpr_spill_count: 0
    .symbol:         _ZN7rocprim17ROCPRIM_400000_NS6detail17trampoline_kernelINS0_14default_configENS1_36segmented_radix_sort_config_selectorI6__halflEEZNS1_25segmented_radix_sort_implIS3_Lb1EPKS5_PS5_PKlPlN2at6native12_GLOBAL__N_18offset_tEEE10hipError_tPvRmT1_PNSt15iterator_traitsISL_E10value_typeET2_T3_PNSM_ISR_E10value_typeET4_jRbjT5_SX_jjP12ihipStream_tbEUlT_E2_NS1_11comp_targetILNS1_3genE3ELNS1_11target_archE908ELNS1_3gpuE7ELNS1_3repE0EEENS1_30default_config_static_selectorELNS0_4arch9wavefront6targetE0EEEvSL_.kd
    .uniform_work_group_size: 1
    .uses_dynamic_stack: false
    .vgpr_count:     0
    .vgpr_spill_count: 0
    .wavefront_size: 32
  - .args:
      - .offset:         0
        .size:           80
        .value_kind:     by_value
    .group_segment_fixed_size: 0
    .kernarg_segment_align: 8
    .kernarg_segment_size: 80
    .language:       OpenCL C
    .language_version:
      - 2
      - 0
    .max_flat_workgroup_size: 256
    .name:           _ZN7rocprim17ROCPRIM_400000_NS6detail17trampoline_kernelINS0_14default_configENS1_36segmented_radix_sort_config_selectorI6__halflEEZNS1_25segmented_radix_sort_implIS3_Lb1EPKS5_PS5_PKlPlN2at6native12_GLOBAL__N_18offset_tEEE10hipError_tPvRmT1_PNSt15iterator_traitsISL_E10value_typeET2_T3_PNSM_ISR_E10value_typeET4_jRbjT5_SX_jjP12ihipStream_tbEUlT_E2_NS1_11comp_targetILNS1_3genE2ELNS1_11target_archE906ELNS1_3gpuE6ELNS1_3repE0EEENS1_30default_config_static_selectorELNS0_4arch9wavefront6targetE0EEEvSL_
    .private_segment_fixed_size: 0
    .sgpr_count:     0
    .sgpr_spill_count: 0
    .symbol:         _ZN7rocprim17ROCPRIM_400000_NS6detail17trampoline_kernelINS0_14default_configENS1_36segmented_radix_sort_config_selectorI6__halflEEZNS1_25segmented_radix_sort_implIS3_Lb1EPKS5_PS5_PKlPlN2at6native12_GLOBAL__N_18offset_tEEE10hipError_tPvRmT1_PNSt15iterator_traitsISL_E10value_typeET2_T3_PNSM_ISR_E10value_typeET4_jRbjT5_SX_jjP12ihipStream_tbEUlT_E2_NS1_11comp_targetILNS1_3genE2ELNS1_11target_archE906ELNS1_3gpuE6ELNS1_3repE0EEENS1_30default_config_static_selectorELNS0_4arch9wavefront6targetE0EEEvSL_.kd
    .uniform_work_group_size: 1
    .uses_dynamic_stack: false
    .vgpr_count:     0
    .vgpr_spill_count: 0
    .wavefront_size: 32
  - .args:
      - .offset:         0
        .size:           80
        .value_kind:     by_value
    .group_segment_fixed_size: 0
    .kernarg_segment_align: 8
    .kernarg_segment_size: 80
    .language:       OpenCL C
    .language_version:
      - 2
      - 0
    .max_flat_workgroup_size: 256
    .name:           _ZN7rocprim17ROCPRIM_400000_NS6detail17trampoline_kernelINS0_14default_configENS1_36segmented_radix_sort_config_selectorI6__halflEEZNS1_25segmented_radix_sort_implIS3_Lb1EPKS5_PS5_PKlPlN2at6native12_GLOBAL__N_18offset_tEEE10hipError_tPvRmT1_PNSt15iterator_traitsISL_E10value_typeET2_T3_PNSM_ISR_E10value_typeET4_jRbjT5_SX_jjP12ihipStream_tbEUlT_E2_NS1_11comp_targetILNS1_3genE10ELNS1_11target_archE1201ELNS1_3gpuE5ELNS1_3repE0EEENS1_30default_config_static_selectorELNS0_4arch9wavefront6targetE0EEEvSL_
    .private_segment_fixed_size: 0
    .sgpr_count:     0
    .sgpr_spill_count: 0
    .symbol:         _ZN7rocprim17ROCPRIM_400000_NS6detail17trampoline_kernelINS0_14default_configENS1_36segmented_radix_sort_config_selectorI6__halflEEZNS1_25segmented_radix_sort_implIS3_Lb1EPKS5_PS5_PKlPlN2at6native12_GLOBAL__N_18offset_tEEE10hipError_tPvRmT1_PNSt15iterator_traitsISL_E10value_typeET2_T3_PNSM_ISR_E10value_typeET4_jRbjT5_SX_jjP12ihipStream_tbEUlT_E2_NS1_11comp_targetILNS1_3genE10ELNS1_11target_archE1201ELNS1_3gpuE5ELNS1_3repE0EEENS1_30default_config_static_selectorELNS0_4arch9wavefront6targetE0EEEvSL_.kd
    .uniform_work_group_size: 1
    .uses_dynamic_stack: false
    .vgpr_count:     0
    .vgpr_spill_count: 0
    .wavefront_size: 32
  - .args:
      - .offset:         0
        .size:           80
        .value_kind:     by_value
    .group_segment_fixed_size: 0
    .kernarg_segment_align: 8
    .kernarg_segment_size: 80
    .language:       OpenCL C
    .language_version:
      - 2
      - 0
    .max_flat_workgroup_size: 128
    .name:           _ZN7rocprim17ROCPRIM_400000_NS6detail17trampoline_kernelINS0_14default_configENS1_36segmented_radix_sort_config_selectorI6__halflEEZNS1_25segmented_radix_sort_implIS3_Lb1EPKS5_PS5_PKlPlN2at6native12_GLOBAL__N_18offset_tEEE10hipError_tPvRmT1_PNSt15iterator_traitsISL_E10value_typeET2_T3_PNSM_ISR_E10value_typeET4_jRbjT5_SX_jjP12ihipStream_tbEUlT_E2_NS1_11comp_targetILNS1_3genE10ELNS1_11target_archE1200ELNS1_3gpuE4ELNS1_3repE0EEENS1_30default_config_static_selectorELNS0_4arch9wavefront6targetE0EEEvSL_
    .private_segment_fixed_size: 0
    .sgpr_count:     0
    .sgpr_spill_count: 0
    .symbol:         _ZN7rocprim17ROCPRIM_400000_NS6detail17trampoline_kernelINS0_14default_configENS1_36segmented_radix_sort_config_selectorI6__halflEEZNS1_25segmented_radix_sort_implIS3_Lb1EPKS5_PS5_PKlPlN2at6native12_GLOBAL__N_18offset_tEEE10hipError_tPvRmT1_PNSt15iterator_traitsISL_E10value_typeET2_T3_PNSM_ISR_E10value_typeET4_jRbjT5_SX_jjP12ihipStream_tbEUlT_E2_NS1_11comp_targetILNS1_3genE10ELNS1_11target_archE1200ELNS1_3gpuE4ELNS1_3repE0EEENS1_30default_config_static_selectorELNS0_4arch9wavefront6targetE0EEEvSL_.kd
    .uniform_work_group_size: 1
    .uses_dynamic_stack: false
    .vgpr_count:     0
    .vgpr_spill_count: 0
    .wavefront_size: 32
  - .args:
      - .offset:         0
        .size:           80
        .value_kind:     by_value
    .group_segment_fixed_size: 0
    .kernarg_segment_align: 8
    .kernarg_segment_size: 80
    .language:       OpenCL C
    .language_version:
      - 2
      - 0
    .max_flat_workgroup_size: 256
    .name:           _ZN7rocprim17ROCPRIM_400000_NS6detail17trampoline_kernelINS0_14default_configENS1_36segmented_radix_sort_config_selectorI6__halflEEZNS1_25segmented_radix_sort_implIS3_Lb1EPKS5_PS5_PKlPlN2at6native12_GLOBAL__N_18offset_tEEE10hipError_tPvRmT1_PNSt15iterator_traitsISL_E10value_typeET2_T3_PNSM_ISR_E10value_typeET4_jRbjT5_SX_jjP12ihipStream_tbEUlT_E2_NS1_11comp_targetILNS1_3genE9ELNS1_11target_archE1100ELNS1_3gpuE3ELNS1_3repE0EEENS1_30default_config_static_selectorELNS0_4arch9wavefront6targetE0EEEvSL_
    .private_segment_fixed_size: 0
    .sgpr_count:     0
    .sgpr_spill_count: 0
    .symbol:         _ZN7rocprim17ROCPRIM_400000_NS6detail17trampoline_kernelINS0_14default_configENS1_36segmented_radix_sort_config_selectorI6__halflEEZNS1_25segmented_radix_sort_implIS3_Lb1EPKS5_PS5_PKlPlN2at6native12_GLOBAL__N_18offset_tEEE10hipError_tPvRmT1_PNSt15iterator_traitsISL_E10value_typeET2_T3_PNSM_ISR_E10value_typeET4_jRbjT5_SX_jjP12ihipStream_tbEUlT_E2_NS1_11comp_targetILNS1_3genE9ELNS1_11target_archE1100ELNS1_3gpuE3ELNS1_3repE0EEENS1_30default_config_static_selectorELNS0_4arch9wavefront6targetE0EEEvSL_.kd
    .uniform_work_group_size: 1
    .uses_dynamic_stack: false
    .vgpr_count:     0
    .vgpr_spill_count: 0
    .wavefront_size: 32
  - .args:
      - .offset:         0
        .size:           80
        .value_kind:     by_value
    .group_segment_fixed_size: 0
    .kernarg_segment_align: 8
    .kernarg_segment_size: 80
    .language:       OpenCL C
    .language_version:
      - 2
      - 0
    .max_flat_workgroup_size: 256
    .name:           _ZN7rocprim17ROCPRIM_400000_NS6detail17trampoline_kernelINS0_14default_configENS1_36segmented_radix_sort_config_selectorI6__halflEEZNS1_25segmented_radix_sort_implIS3_Lb1EPKS5_PS5_PKlPlN2at6native12_GLOBAL__N_18offset_tEEE10hipError_tPvRmT1_PNSt15iterator_traitsISL_E10value_typeET2_T3_PNSM_ISR_E10value_typeET4_jRbjT5_SX_jjP12ihipStream_tbEUlT_E2_NS1_11comp_targetILNS1_3genE8ELNS1_11target_archE1030ELNS1_3gpuE2ELNS1_3repE0EEENS1_30default_config_static_selectorELNS0_4arch9wavefront6targetE0EEEvSL_
    .private_segment_fixed_size: 0
    .sgpr_count:     0
    .sgpr_spill_count: 0
    .symbol:         _ZN7rocprim17ROCPRIM_400000_NS6detail17trampoline_kernelINS0_14default_configENS1_36segmented_radix_sort_config_selectorI6__halflEEZNS1_25segmented_radix_sort_implIS3_Lb1EPKS5_PS5_PKlPlN2at6native12_GLOBAL__N_18offset_tEEE10hipError_tPvRmT1_PNSt15iterator_traitsISL_E10value_typeET2_T3_PNSM_ISR_E10value_typeET4_jRbjT5_SX_jjP12ihipStream_tbEUlT_E2_NS1_11comp_targetILNS1_3genE8ELNS1_11target_archE1030ELNS1_3gpuE2ELNS1_3repE0EEENS1_30default_config_static_selectorELNS0_4arch9wavefront6targetE0EEEvSL_.kd
    .uniform_work_group_size: 1
    .uses_dynamic_stack: false
    .vgpr_count:     0
    .vgpr_spill_count: 0
    .wavefront_size: 32
  - .args:
      - .offset:         0
        .size:           176
        .value_kind:     by_value
    .group_segment_fixed_size: 13328
    .kernarg_segment_align: 8
    .kernarg_segment_size: 176
    .language:       OpenCL C
    .language_version:
      - 2
      - 0
    .max_flat_workgroup_size: 256
    .name:           _ZN7rocprim17ROCPRIM_400000_NS6detail17trampoline_kernelINS0_13select_configILj256ELj13ELNS0_17block_load_methodE3ELS4_3ELS4_3ELNS0_20block_scan_algorithmE0ELj4294967295EEENS1_25partition_config_selectorILNS1_17partition_subalgoE4EjNS0_10empty_typeEbEEZZNS1_14partition_implILS8_4ELb0ES6_15HIP_vector_typeIjLj2EENS0_17counting_iteratorIjlEEPS9_SG_NS0_5tupleIJPjSI_NS0_16reverse_iteratorISI_EEEEENSH_IJSG_SG_SG_EEES9_SI_JZNS1_25segmented_radix_sort_implINS0_14default_configELb0EPK6__halfPSP_PKlPlN2at6native12_GLOBAL__N_18offset_tEEE10hipError_tPvRmT1_PNSt15iterator_traitsIS13_E10value_typeET2_T3_PNS14_IS19_E10value_typeET4_jRbjT5_S1F_jjP12ihipStream_tbEUljE_ZNSN_ISO_Lb0ESR_SS_SU_SV_SZ_EES10_S11_S12_S13_S17_S18_S19_S1C_S1D_jS1E_jS1F_S1F_jjS1H_bEUljE0_EEES10_S11_S12_S19_S1D_S1F_T6_T7_T9_mT8_S1H_bDpT10_ENKUlT_T0_E_clISt17integral_constantIbLb0EES1V_EEDaS1Q_S1R_EUlS1Q_E_NS1_11comp_targetILNS1_3genE0ELNS1_11target_archE4294967295ELNS1_3gpuE0ELNS1_3repE0EEENS1_30default_config_static_selectorELNS0_4arch9wavefront6targetE0EEEvS13_
    .private_segment_fixed_size: 0
    .sgpr_count:     61
    .sgpr_spill_count: 0
    .symbol:         _ZN7rocprim17ROCPRIM_400000_NS6detail17trampoline_kernelINS0_13select_configILj256ELj13ELNS0_17block_load_methodE3ELS4_3ELS4_3ELNS0_20block_scan_algorithmE0ELj4294967295EEENS1_25partition_config_selectorILNS1_17partition_subalgoE4EjNS0_10empty_typeEbEEZZNS1_14partition_implILS8_4ELb0ES6_15HIP_vector_typeIjLj2EENS0_17counting_iteratorIjlEEPS9_SG_NS0_5tupleIJPjSI_NS0_16reverse_iteratorISI_EEEEENSH_IJSG_SG_SG_EEES9_SI_JZNS1_25segmented_radix_sort_implINS0_14default_configELb0EPK6__halfPSP_PKlPlN2at6native12_GLOBAL__N_18offset_tEEE10hipError_tPvRmT1_PNSt15iterator_traitsIS13_E10value_typeET2_T3_PNS14_IS19_E10value_typeET4_jRbjT5_S1F_jjP12ihipStream_tbEUljE_ZNSN_ISO_Lb0ESR_SS_SU_SV_SZ_EES10_S11_S12_S13_S17_S18_S19_S1C_S1D_jS1E_jS1F_S1F_jjS1H_bEUljE0_EEES10_S11_S12_S19_S1D_S1F_T6_T7_T9_mT8_S1H_bDpT10_ENKUlT_T0_E_clISt17integral_constantIbLb0EES1V_EEDaS1Q_S1R_EUlS1Q_E_NS1_11comp_targetILNS1_3genE0ELNS1_11target_archE4294967295ELNS1_3gpuE0ELNS1_3repE0EEENS1_30default_config_static_selectorELNS0_4arch9wavefront6targetE0EEEvS13_.kd
    .uniform_work_group_size: 1
    .uses_dynamic_stack: false
    .vgpr_count:     81
    .vgpr_spill_count: 0
    .wavefront_size: 32
  - .args:
      - .offset:         0
        .size:           176
        .value_kind:     by_value
    .group_segment_fixed_size: 0
    .kernarg_segment_align: 8
    .kernarg_segment_size: 176
    .language:       OpenCL C
    .language_version:
      - 2
      - 0
    .max_flat_workgroup_size: 256
    .name:           _ZN7rocprim17ROCPRIM_400000_NS6detail17trampoline_kernelINS0_13select_configILj256ELj13ELNS0_17block_load_methodE3ELS4_3ELS4_3ELNS0_20block_scan_algorithmE0ELj4294967295EEENS1_25partition_config_selectorILNS1_17partition_subalgoE4EjNS0_10empty_typeEbEEZZNS1_14partition_implILS8_4ELb0ES6_15HIP_vector_typeIjLj2EENS0_17counting_iteratorIjlEEPS9_SG_NS0_5tupleIJPjSI_NS0_16reverse_iteratorISI_EEEEENSH_IJSG_SG_SG_EEES9_SI_JZNS1_25segmented_radix_sort_implINS0_14default_configELb0EPK6__halfPSP_PKlPlN2at6native12_GLOBAL__N_18offset_tEEE10hipError_tPvRmT1_PNSt15iterator_traitsIS13_E10value_typeET2_T3_PNS14_IS19_E10value_typeET4_jRbjT5_S1F_jjP12ihipStream_tbEUljE_ZNSN_ISO_Lb0ESR_SS_SU_SV_SZ_EES10_S11_S12_S13_S17_S18_S19_S1C_S1D_jS1E_jS1F_S1F_jjS1H_bEUljE0_EEES10_S11_S12_S19_S1D_S1F_T6_T7_T9_mT8_S1H_bDpT10_ENKUlT_T0_E_clISt17integral_constantIbLb0EES1V_EEDaS1Q_S1R_EUlS1Q_E_NS1_11comp_targetILNS1_3genE5ELNS1_11target_archE942ELNS1_3gpuE9ELNS1_3repE0EEENS1_30default_config_static_selectorELNS0_4arch9wavefront6targetE0EEEvS13_
    .private_segment_fixed_size: 0
    .sgpr_count:     0
    .sgpr_spill_count: 0
    .symbol:         _ZN7rocprim17ROCPRIM_400000_NS6detail17trampoline_kernelINS0_13select_configILj256ELj13ELNS0_17block_load_methodE3ELS4_3ELS4_3ELNS0_20block_scan_algorithmE0ELj4294967295EEENS1_25partition_config_selectorILNS1_17partition_subalgoE4EjNS0_10empty_typeEbEEZZNS1_14partition_implILS8_4ELb0ES6_15HIP_vector_typeIjLj2EENS0_17counting_iteratorIjlEEPS9_SG_NS0_5tupleIJPjSI_NS0_16reverse_iteratorISI_EEEEENSH_IJSG_SG_SG_EEES9_SI_JZNS1_25segmented_radix_sort_implINS0_14default_configELb0EPK6__halfPSP_PKlPlN2at6native12_GLOBAL__N_18offset_tEEE10hipError_tPvRmT1_PNSt15iterator_traitsIS13_E10value_typeET2_T3_PNS14_IS19_E10value_typeET4_jRbjT5_S1F_jjP12ihipStream_tbEUljE_ZNSN_ISO_Lb0ESR_SS_SU_SV_SZ_EES10_S11_S12_S13_S17_S18_S19_S1C_S1D_jS1E_jS1F_S1F_jjS1H_bEUljE0_EEES10_S11_S12_S19_S1D_S1F_T6_T7_T9_mT8_S1H_bDpT10_ENKUlT_T0_E_clISt17integral_constantIbLb0EES1V_EEDaS1Q_S1R_EUlS1Q_E_NS1_11comp_targetILNS1_3genE5ELNS1_11target_archE942ELNS1_3gpuE9ELNS1_3repE0EEENS1_30default_config_static_selectorELNS0_4arch9wavefront6targetE0EEEvS13_.kd
    .uniform_work_group_size: 1
    .uses_dynamic_stack: false
    .vgpr_count:     0
    .vgpr_spill_count: 0
    .wavefront_size: 32
  - .args:
      - .offset:         0
        .size:           176
        .value_kind:     by_value
    .group_segment_fixed_size: 0
    .kernarg_segment_align: 8
    .kernarg_segment_size: 176
    .language:       OpenCL C
    .language_version:
      - 2
      - 0
    .max_flat_workgroup_size: 256
    .name:           _ZN7rocprim17ROCPRIM_400000_NS6detail17trampoline_kernelINS0_13select_configILj256ELj13ELNS0_17block_load_methodE3ELS4_3ELS4_3ELNS0_20block_scan_algorithmE0ELj4294967295EEENS1_25partition_config_selectorILNS1_17partition_subalgoE4EjNS0_10empty_typeEbEEZZNS1_14partition_implILS8_4ELb0ES6_15HIP_vector_typeIjLj2EENS0_17counting_iteratorIjlEEPS9_SG_NS0_5tupleIJPjSI_NS0_16reverse_iteratorISI_EEEEENSH_IJSG_SG_SG_EEES9_SI_JZNS1_25segmented_radix_sort_implINS0_14default_configELb0EPK6__halfPSP_PKlPlN2at6native12_GLOBAL__N_18offset_tEEE10hipError_tPvRmT1_PNSt15iterator_traitsIS13_E10value_typeET2_T3_PNS14_IS19_E10value_typeET4_jRbjT5_S1F_jjP12ihipStream_tbEUljE_ZNSN_ISO_Lb0ESR_SS_SU_SV_SZ_EES10_S11_S12_S13_S17_S18_S19_S1C_S1D_jS1E_jS1F_S1F_jjS1H_bEUljE0_EEES10_S11_S12_S19_S1D_S1F_T6_T7_T9_mT8_S1H_bDpT10_ENKUlT_T0_E_clISt17integral_constantIbLb0EES1V_EEDaS1Q_S1R_EUlS1Q_E_NS1_11comp_targetILNS1_3genE4ELNS1_11target_archE910ELNS1_3gpuE8ELNS1_3repE0EEENS1_30default_config_static_selectorELNS0_4arch9wavefront6targetE0EEEvS13_
    .private_segment_fixed_size: 0
    .sgpr_count:     0
    .sgpr_spill_count: 0
    .symbol:         _ZN7rocprim17ROCPRIM_400000_NS6detail17trampoline_kernelINS0_13select_configILj256ELj13ELNS0_17block_load_methodE3ELS4_3ELS4_3ELNS0_20block_scan_algorithmE0ELj4294967295EEENS1_25partition_config_selectorILNS1_17partition_subalgoE4EjNS0_10empty_typeEbEEZZNS1_14partition_implILS8_4ELb0ES6_15HIP_vector_typeIjLj2EENS0_17counting_iteratorIjlEEPS9_SG_NS0_5tupleIJPjSI_NS0_16reverse_iteratorISI_EEEEENSH_IJSG_SG_SG_EEES9_SI_JZNS1_25segmented_radix_sort_implINS0_14default_configELb0EPK6__halfPSP_PKlPlN2at6native12_GLOBAL__N_18offset_tEEE10hipError_tPvRmT1_PNSt15iterator_traitsIS13_E10value_typeET2_T3_PNS14_IS19_E10value_typeET4_jRbjT5_S1F_jjP12ihipStream_tbEUljE_ZNSN_ISO_Lb0ESR_SS_SU_SV_SZ_EES10_S11_S12_S13_S17_S18_S19_S1C_S1D_jS1E_jS1F_S1F_jjS1H_bEUljE0_EEES10_S11_S12_S19_S1D_S1F_T6_T7_T9_mT8_S1H_bDpT10_ENKUlT_T0_E_clISt17integral_constantIbLb0EES1V_EEDaS1Q_S1R_EUlS1Q_E_NS1_11comp_targetILNS1_3genE4ELNS1_11target_archE910ELNS1_3gpuE8ELNS1_3repE0EEENS1_30default_config_static_selectorELNS0_4arch9wavefront6targetE0EEEvS13_.kd
    .uniform_work_group_size: 1
    .uses_dynamic_stack: false
    .vgpr_count:     0
    .vgpr_spill_count: 0
    .wavefront_size: 32
  - .args:
      - .offset:         0
        .size:           176
        .value_kind:     by_value
    .group_segment_fixed_size: 0
    .kernarg_segment_align: 8
    .kernarg_segment_size: 176
    .language:       OpenCL C
    .language_version:
      - 2
      - 0
    .max_flat_workgroup_size: 256
    .name:           _ZN7rocprim17ROCPRIM_400000_NS6detail17trampoline_kernelINS0_13select_configILj256ELj13ELNS0_17block_load_methodE3ELS4_3ELS4_3ELNS0_20block_scan_algorithmE0ELj4294967295EEENS1_25partition_config_selectorILNS1_17partition_subalgoE4EjNS0_10empty_typeEbEEZZNS1_14partition_implILS8_4ELb0ES6_15HIP_vector_typeIjLj2EENS0_17counting_iteratorIjlEEPS9_SG_NS0_5tupleIJPjSI_NS0_16reverse_iteratorISI_EEEEENSH_IJSG_SG_SG_EEES9_SI_JZNS1_25segmented_radix_sort_implINS0_14default_configELb0EPK6__halfPSP_PKlPlN2at6native12_GLOBAL__N_18offset_tEEE10hipError_tPvRmT1_PNSt15iterator_traitsIS13_E10value_typeET2_T3_PNS14_IS19_E10value_typeET4_jRbjT5_S1F_jjP12ihipStream_tbEUljE_ZNSN_ISO_Lb0ESR_SS_SU_SV_SZ_EES10_S11_S12_S13_S17_S18_S19_S1C_S1D_jS1E_jS1F_S1F_jjS1H_bEUljE0_EEES10_S11_S12_S19_S1D_S1F_T6_T7_T9_mT8_S1H_bDpT10_ENKUlT_T0_E_clISt17integral_constantIbLb0EES1V_EEDaS1Q_S1R_EUlS1Q_E_NS1_11comp_targetILNS1_3genE3ELNS1_11target_archE908ELNS1_3gpuE7ELNS1_3repE0EEENS1_30default_config_static_selectorELNS0_4arch9wavefront6targetE0EEEvS13_
    .private_segment_fixed_size: 0
    .sgpr_count:     0
    .sgpr_spill_count: 0
    .symbol:         _ZN7rocprim17ROCPRIM_400000_NS6detail17trampoline_kernelINS0_13select_configILj256ELj13ELNS0_17block_load_methodE3ELS4_3ELS4_3ELNS0_20block_scan_algorithmE0ELj4294967295EEENS1_25partition_config_selectorILNS1_17partition_subalgoE4EjNS0_10empty_typeEbEEZZNS1_14partition_implILS8_4ELb0ES6_15HIP_vector_typeIjLj2EENS0_17counting_iteratorIjlEEPS9_SG_NS0_5tupleIJPjSI_NS0_16reverse_iteratorISI_EEEEENSH_IJSG_SG_SG_EEES9_SI_JZNS1_25segmented_radix_sort_implINS0_14default_configELb0EPK6__halfPSP_PKlPlN2at6native12_GLOBAL__N_18offset_tEEE10hipError_tPvRmT1_PNSt15iterator_traitsIS13_E10value_typeET2_T3_PNS14_IS19_E10value_typeET4_jRbjT5_S1F_jjP12ihipStream_tbEUljE_ZNSN_ISO_Lb0ESR_SS_SU_SV_SZ_EES10_S11_S12_S13_S17_S18_S19_S1C_S1D_jS1E_jS1F_S1F_jjS1H_bEUljE0_EEES10_S11_S12_S19_S1D_S1F_T6_T7_T9_mT8_S1H_bDpT10_ENKUlT_T0_E_clISt17integral_constantIbLb0EES1V_EEDaS1Q_S1R_EUlS1Q_E_NS1_11comp_targetILNS1_3genE3ELNS1_11target_archE908ELNS1_3gpuE7ELNS1_3repE0EEENS1_30default_config_static_selectorELNS0_4arch9wavefront6targetE0EEEvS13_.kd
    .uniform_work_group_size: 1
    .uses_dynamic_stack: false
    .vgpr_count:     0
    .vgpr_spill_count: 0
    .wavefront_size: 32
  - .args:
      - .offset:         0
        .size:           176
        .value_kind:     by_value
    .group_segment_fixed_size: 0
    .kernarg_segment_align: 8
    .kernarg_segment_size: 176
    .language:       OpenCL C
    .language_version:
      - 2
      - 0
    .max_flat_workgroup_size: 256
    .name:           _ZN7rocprim17ROCPRIM_400000_NS6detail17trampoline_kernelINS0_13select_configILj256ELj13ELNS0_17block_load_methodE3ELS4_3ELS4_3ELNS0_20block_scan_algorithmE0ELj4294967295EEENS1_25partition_config_selectorILNS1_17partition_subalgoE4EjNS0_10empty_typeEbEEZZNS1_14partition_implILS8_4ELb0ES6_15HIP_vector_typeIjLj2EENS0_17counting_iteratorIjlEEPS9_SG_NS0_5tupleIJPjSI_NS0_16reverse_iteratorISI_EEEEENSH_IJSG_SG_SG_EEES9_SI_JZNS1_25segmented_radix_sort_implINS0_14default_configELb0EPK6__halfPSP_PKlPlN2at6native12_GLOBAL__N_18offset_tEEE10hipError_tPvRmT1_PNSt15iterator_traitsIS13_E10value_typeET2_T3_PNS14_IS19_E10value_typeET4_jRbjT5_S1F_jjP12ihipStream_tbEUljE_ZNSN_ISO_Lb0ESR_SS_SU_SV_SZ_EES10_S11_S12_S13_S17_S18_S19_S1C_S1D_jS1E_jS1F_S1F_jjS1H_bEUljE0_EEES10_S11_S12_S19_S1D_S1F_T6_T7_T9_mT8_S1H_bDpT10_ENKUlT_T0_E_clISt17integral_constantIbLb0EES1V_EEDaS1Q_S1R_EUlS1Q_E_NS1_11comp_targetILNS1_3genE2ELNS1_11target_archE906ELNS1_3gpuE6ELNS1_3repE0EEENS1_30default_config_static_selectorELNS0_4arch9wavefront6targetE0EEEvS13_
    .private_segment_fixed_size: 0
    .sgpr_count:     0
    .sgpr_spill_count: 0
    .symbol:         _ZN7rocprim17ROCPRIM_400000_NS6detail17trampoline_kernelINS0_13select_configILj256ELj13ELNS0_17block_load_methodE3ELS4_3ELS4_3ELNS0_20block_scan_algorithmE0ELj4294967295EEENS1_25partition_config_selectorILNS1_17partition_subalgoE4EjNS0_10empty_typeEbEEZZNS1_14partition_implILS8_4ELb0ES6_15HIP_vector_typeIjLj2EENS0_17counting_iteratorIjlEEPS9_SG_NS0_5tupleIJPjSI_NS0_16reverse_iteratorISI_EEEEENSH_IJSG_SG_SG_EEES9_SI_JZNS1_25segmented_radix_sort_implINS0_14default_configELb0EPK6__halfPSP_PKlPlN2at6native12_GLOBAL__N_18offset_tEEE10hipError_tPvRmT1_PNSt15iterator_traitsIS13_E10value_typeET2_T3_PNS14_IS19_E10value_typeET4_jRbjT5_S1F_jjP12ihipStream_tbEUljE_ZNSN_ISO_Lb0ESR_SS_SU_SV_SZ_EES10_S11_S12_S13_S17_S18_S19_S1C_S1D_jS1E_jS1F_S1F_jjS1H_bEUljE0_EEES10_S11_S12_S19_S1D_S1F_T6_T7_T9_mT8_S1H_bDpT10_ENKUlT_T0_E_clISt17integral_constantIbLb0EES1V_EEDaS1Q_S1R_EUlS1Q_E_NS1_11comp_targetILNS1_3genE2ELNS1_11target_archE906ELNS1_3gpuE6ELNS1_3repE0EEENS1_30default_config_static_selectorELNS0_4arch9wavefront6targetE0EEEvS13_.kd
    .uniform_work_group_size: 1
    .uses_dynamic_stack: false
    .vgpr_count:     0
    .vgpr_spill_count: 0
    .wavefront_size: 32
  - .args:
      - .offset:         0
        .size:           176
        .value_kind:     by_value
    .group_segment_fixed_size: 0
    .kernarg_segment_align: 8
    .kernarg_segment_size: 176
    .language:       OpenCL C
    .language_version:
      - 2
      - 0
    .max_flat_workgroup_size: 256
    .name:           _ZN7rocprim17ROCPRIM_400000_NS6detail17trampoline_kernelINS0_13select_configILj256ELj13ELNS0_17block_load_methodE3ELS4_3ELS4_3ELNS0_20block_scan_algorithmE0ELj4294967295EEENS1_25partition_config_selectorILNS1_17partition_subalgoE4EjNS0_10empty_typeEbEEZZNS1_14partition_implILS8_4ELb0ES6_15HIP_vector_typeIjLj2EENS0_17counting_iteratorIjlEEPS9_SG_NS0_5tupleIJPjSI_NS0_16reverse_iteratorISI_EEEEENSH_IJSG_SG_SG_EEES9_SI_JZNS1_25segmented_radix_sort_implINS0_14default_configELb0EPK6__halfPSP_PKlPlN2at6native12_GLOBAL__N_18offset_tEEE10hipError_tPvRmT1_PNSt15iterator_traitsIS13_E10value_typeET2_T3_PNS14_IS19_E10value_typeET4_jRbjT5_S1F_jjP12ihipStream_tbEUljE_ZNSN_ISO_Lb0ESR_SS_SU_SV_SZ_EES10_S11_S12_S13_S17_S18_S19_S1C_S1D_jS1E_jS1F_S1F_jjS1H_bEUljE0_EEES10_S11_S12_S19_S1D_S1F_T6_T7_T9_mT8_S1H_bDpT10_ENKUlT_T0_E_clISt17integral_constantIbLb0EES1V_EEDaS1Q_S1R_EUlS1Q_E_NS1_11comp_targetILNS1_3genE10ELNS1_11target_archE1200ELNS1_3gpuE4ELNS1_3repE0EEENS1_30default_config_static_selectorELNS0_4arch9wavefront6targetE0EEEvS13_
    .private_segment_fixed_size: 0
    .sgpr_count:     0
    .sgpr_spill_count: 0
    .symbol:         _ZN7rocprim17ROCPRIM_400000_NS6detail17trampoline_kernelINS0_13select_configILj256ELj13ELNS0_17block_load_methodE3ELS4_3ELS4_3ELNS0_20block_scan_algorithmE0ELj4294967295EEENS1_25partition_config_selectorILNS1_17partition_subalgoE4EjNS0_10empty_typeEbEEZZNS1_14partition_implILS8_4ELb0ES6_15HIP_vector_typeIjLj2EENS0_17counting_iteratorIjlEEPS9_SG_NS0_5tupleIJPjSI_NS0_16reverse_iteratorISI_EEEEENSH_IJSG_SG_SG_EEES9_SI_JZNS1_25segmented_radix_sort_implINS0_14default_configELb0EPK6__halfPSP_PKlPlN2at6native12_GLOBAL__N_18offset_tEEE10hipError_tPvRmT1_PNSt15iterator_traitsIS13_E10value_typeET2_T3_PNS14_IS19_E10value_typeET4_jRbjT5_S1F_jjP12ihipStream_tbEUljE_ZNSN_ISO_Lb0ESR_SS_SU_SV_SZ_EES10_S11_S12_S13_S17_S18_S19_S1C_S1D_jS1E_jS1F_S1F_jjS1H_bEUljE0_EEES10_S11_S12_S19_S1D_S1F_T6_T7_T9_mT8_S1H_bDpT10_ENKUlT_T0_E_clISt17integral_constantIbLb0EES1V_EEDaS1Q_S1R_EUlS1Q_E_NS1_11comp_targetILNS1_3genE10ELNS1_11target_archE1200ELNS1_3gpuE4ELNS1_3repE0EEENS1_30default_config_static_selectorELNS0_4arch9wavefront6targetE0EEEvS13_.kd
    .uniform_work_group_size: 1
    .uses_dynamic_stack: false
    .vgpr_count:     0
    .vgpr_spill_count: 0
    .wavefront_size: 32
  - .args:
      - .offset:         0
        .size:           176
        .value_kind:     by_value
    .group_segment_fixed_size: 0
    .kernarg_segment_align: 8
    .kernarg_segment_size: 176
    .language:       OpenCL C
    .language_version:
      - 2
      - 0
    .max_flat_workgroup_size: 256
    .name:           _ZN7rocprim17ROCPRIM_400000_NS6detail17trampoline_kernelINS0_13select_configILj256ELj13ELNS0_17block_load_methodE3ELS4_3ELS4_3ELNS0_20block_scan_algorithmE0ELj4294967295EEENS1_25partition_config_selectorILNS1_17partition_subalgoE4EjNS0_10empty_typeEbEEZZNS1_14partition_implILS8_4ELb0ES6_15HIP_vector_typeIjLj2EENS0_17counting_iteratorIjlEEPS9_SG_NS0_5tupleIJPjSI_NS0_16reverse_iteratorISI_EEEEENSH_IJSG_SG_SG_EEES9_SI_JZNS1_25segmented_radix_sort_implINS0_14default_configELb0EPK6__halfPSP_PKlPlN2at6native12_GLOBAL__N_18offset_tEEE10hipError_tPvRmT1_PNSt15iterator_traitsIS13_E10value_typeET2_T3_PNS14_IS19_E10value_typeET4_jRbjT5_S1F_jjP12ihipStream_tbEUljE_ZNSN_ISO_Lb0ESR_SS_SU_SV_SZ_EES10_S11_S12_S13_S17_S18_S19_S1C_S1D_jS1E_jS1F_S1F_jjS1H_bEUljE0_EEES10_S11_S12_S19_S1D_S1F_T6_T7_T9_mT8_S1H_bDpT10_ENKUlT_T0_E_clISt17integral_constantIbLb0EES1V_EEDaS1Q_S1R_EUlS1Q_E_NS1_11comp_targetILNS1_3genE9ELNS1_11target_archE1100ELNS1_3gpuE3ELNS1_3repE0EEENS1_30default_config_static_selectorELNS0_4arch9wavefront6targetE0EEEvS13_
    .private_segment_fixed_size: 0
    .sgpr_count:     0
    .sgpr_spill_count: 0
    .symbol:         _ZN7rocprim17ROCPRIM_400000_NS6detail17trampoline_kernelINS0_13select_configILj256ELj13ELNS0_17block_load_methodE3ELS4_3ELS4_3ELNS0_20block_scan_algorithmE0ELj4294967295EEENS1_25partition_config_selectorILNS1_17partition_subalgoE4EjNS0_10empty_typeEbEEZZNS1_14partition_implILS8_4ELb0ES6_15HIP_vector_typeIjLj2EENS0_17counting_iteratorIjlEEPS9_SG_NS0_5tupleIJPjSI_NS0_16reverse_iteratorISI_EEEEENSH_IJSG_SG_SG_EEES9_SI_JZNS1_25segmented_radix_sort_implINS0_14default_configELb0EPK6__halfPSP_PKlPlN2at6native12_GLOBAL__N_18offset_tEEE10hipError_tPvRmT1_PNSt15iterator_traitsIS13_E10value_typeET2_T3_PNS14_IS19_E10value_typeET4_jRbjT5_S1F_jjP12ihipStream_tbEUljE_ZNSN_ISO_Lb0ESR_SS_SU_SV_SZ_EES10_S11_S12_S13_S17_S18_S19_S1C_S1D_jS1E_jS1F_S1F_jjS1H_bEUljE0_EEES10_S11_S12_S19_S1D_S1F_T6_T7_T9_mT8_S1H_bDpT10_ENKUlT_T0_E_clISt17integral_constantIbLb0EES1V_EEDaS1Q_S1R_EUlS1Q_E_NS1_11comp_targetILNS1_3genE9ELNS1_11target_archE1100ELNS1_3gpuE3ELNS1_3repE0EEENS1_30default_config_static_selectorELNS0_4arch9wavefront6targetE0EEEvS13_.kd
    .uniform_work_group_size: 1
    .uses_dynamic_stack: false
    .vgpr_count:     0
    .vgpr_spill_count: 0
    .wavefront_size: 32
  - .args:
      - .offset:         0
        .size:           176
        .value_kind:     by_value
    .group_segment_fixed_size: 0
    .kernarg_segment_align: 8
    .kernarg_segment_size: 176
    .language:       OpenCL C
    .language_version:
      - 2
      - 0
    .max_flat_workgroup_size: 256
    .name:           _ZN7rocprim17ROCPRIM_400000_NS6detail17trampoline_kernelINS0_13select_configILj256ELj13ELNS0_17block_load_methodE3ELS4_3ELS4_3ELNS0_20block_scan_algorithmE0ELj4294967295EEENS1_25partition_config_selectorILNS1_17partition_subalgoE4EjNS0_10empty_typeEbEEZZNS1_14partition_implILS8_4ELb0ES6_15HIP_vector_typeIjLj2EENS0_17counting_iteratorIjlEEPS9_SG_NS0_5tupleIJPjSI_NS0_16reverse_iteratorISI_EEEEENSH_IJSG_SG_SG_EEES9_SI_JZNS1_25segmented_radix_sort_implINS0_14default_configELb0EPK6__halfPSP_PKlPlN2at6native12_GLOBAL__N_18offset_tEEE10hipError_tPvRmT1_PNSt15iterator_traitsIS13_E10value_typeET2_T3_PNS14_IS19_E10value_typeET4_jRbjT5_S1F_jjP12ihipStream_tbEUljE_ZNSN_ISO_Lb0ESR_SS_SU_SV_SZ_EES10_S11_S12_S13_S17_S18_S19_S1C_S1D_jS1E_jS1F_S1F_jjS1H_bEUljE0_EEES10_S11_S12_S19_S1D_S1F_T6_T7_T9_mT8_S1H_bDpT10_ENKUlT_T0_E_clISt17integral_constantIbLb0EES1V_EEDaS1Q_S1R_EUlS1Q_E_NS1_11comp_targetILNS1_3genE8ELNS1_11target_archE1030ELNS1_3gpuE2ELNS1_3repE0EEENS1_30default_config_static_selectorELNS0_4arch9wavefront6targetE0EEEvS13_
    .private_segment_fixed_size: 0
    .sgpr_count:     0
    .sgpr_spill_count: 0
    .symbol:         _ZN7rocprim17ROCPRIM_400000_NS6detail17trampoline_kernelINS0_13select_configILj256ELj13ELNS0_17block_load_methodE3ELS4_3ELS4_3ELNS0_20block_scan_algorithmE0ELj4294967295EEENS1_25partition_config_selectorILNS1_17partition_subalgoE4EjNS0_10empty_typeEbEEZZNS1_14partition_implILS8_4ELb0ES6_15HIP_vector_typeIjLj2EENS0_17counting_iteratorIjlEEPS9_SG_NS0_5tupleIJPjSI_NS0_16reverse_iteratorISI_EEEEENSH_IJSG_SG_SG_EEES9_SI_JZNS1_25segmented_radix_sort_implINS0_14default_configELb0EPK6__halfPSP_PKlPlN2at6native12_GLOBAL__N_18offset_tEEE10hipError_tPvRmT1_PNSt15iterator_traitsIS13_E10value_typeET2_T3_PNS14_IS19_E10value_typeET4_jRbjT5_S1F_jjP12ihipStream_tbEUljE_ZNSN_ISO_Lb0ESR_SS_SU_SV_SZ_EES10_S11_S12_S13_S17_S18_S19_S1C_S1D_jS1E_jS1F_S1F_jjS1H_bEUljE0_EEES10_S11_S12_S19_S1D_S1F_T6_T7_T9_mT8_S1H_bDpT10_ENKUlT_T0_E_clISt17integral_constantIbLb0EES1V_EEDaS1Q_S1R_EUlS1Q_E_NS1_11comp_targetILNS1_3genE8ELNS1_11target_archE1030ELNS1_3gpuE2ELNS1_3repE0EEENS1_30default_config_static_selectorELNS0_4arch9wavefront6targetE0EEEvS13_.kd
    .uniform_work_group_size: 1
    .uses_dynamic_stack: false
    .vgpr_count:     0
    .vgpr_spill_count: 0
    .wavefront_size: 32
  - .args:
      - .offset:         0
        .size:           184
        .value_kind:     by_value
    .group_segment_fixed_size: 0
    .kernarg_segment_align: 8
    .kernarg_segment_size: 184
    .language:       OpenCL C
    .language_version:
      - 2
      - 0
    .max_flat_workgroup_size: 256
    .name:           _ZN7rocprim17ROCPRIM_400000_NS6detail17trampoline_kernelINS0_13select_configILj256ELj13ELNS0_17block_load_methodE3ELS4_3ELS4_3ELNS0_20block_scan_algorithmE0ELj4294967295EEENS1_25partition_config_selectorILNS1_17partition_subalgoE4EjNS0_10empty_typeEbEEZZNS1_14partition_implILS8_4ELb0ES6_15HIP_vector_typeIjLj2EENS0_17counting_iteratorIjlEEPS9_SG_NS0_5tupleIJPjSI_NS0_16reverse_iteratorISI_EEEEENSH_IJSG_SG_SG_EEES9_SI_JZNS1_25segmented_radix_sort_implINS0_14default_configELb0EPK6__halfPSP_PKlPlN2at6native12_GLOBAL__N_18offset_tEEE10hipError_tPvRmT1_PNSt15iterator_traitsIS13_E10value_typeET2_T3_PNS14_IS19_E10value_typeET4_jRbjT5_S1F_jjP12ihipStream_tbEUljE_ZNSN_ISO_Lb0ESR_SS_SU_SV_SZ_EES10_S11_S12_S13_S17_S18_S19_S1C_S1D_jS1E_jS1F_S1F_jjS1H_bEUljE0_EEES10_S11_S12_S19_S1D_S1F_T6_T7_T9_mT8_S1H_bDpT10_ENKUlT_T0_E_clISt17integral_constantIbLb1EES1V_EEDaS1Q_S1R_EUlS1Q_E_NS1_11comp_targetILNS1_3genE0ELNS1_11target_archE4294967295ELNS1_3gpuE0ELNS1_3repE0EEENS1_30default_config_static_selectorELNS0_4arch9wavefront6targetE0EEEvS13_
    .private_segment_fixed_size: 0
    .sgpr_count:     0
    .sgpr_spill_count: 0
    .symbol:         _ZN7rocprim17ROCPRIM_400000_NS6detail17trampoline_kernelINS0_13select_configILj256ELj13ELNS0_17block_load_methodE3ELS4_3ELS4_3ELNS0_20block_scan_algorithmE0ELj4294967295EEENS1_25partition_config_selectorILNS1_17partition_subalgoE4EjNS0_10empty_typeEbEEZZNS1_14partition_implILS8_4ELb0ES6_15HIP_vector_typeIjLj2EENS0_17counting_iteratorIjlEEPS9_SG_NS0_5tupleIJPjSI_NS0_16reverse_iteratorISI_EEEEENSH_IJSG_SG_SG_EEES9_SI_JZNS1_25segmented_radix_sort_implINS0_14default_configELb0EPK6__halfPSP_PKlPlN2at6native12_GLOBAL__N_18offset_tEEE10hipError_tPvRmT1_PNSt15iterator_traitsIS13_E10value_typeET2_T3_PNS14_IS19_E10value_typeET4_jRbjT5_S1F_jjP12ihipStream_tbEUljE_ZNSN_ISO_Lb0ESR_SS_SU_SV_SZ_EES10_S11_S12_S13_S17_S18_S19_S1C_S1D_jS1E_jS1F_S1F_jjS1H_bEUljE0_EEES10_S11_S12_S19_S1D_S1F_T6_T7_T9_mT8_S1H_bDpT10_ENKUlT_T0_E_clISt17integral_constantIbLb1EES1V_EEDaS1Q_S1R_EUlS1Q_E_NS1_11comp_targetILNS1_3genE0ELNS1_11target_archE4294967295ELNS1_3gpuE0ELNS1_3repE0EEENS1_30default_config_static_selectorELNS0_4arch9wavefront6targetE0EEEvS13_.kd
    .uniform_work_group_size: 1
    .uses_dynamic_stack: false
    .vgpr_count:     0
    .vgpr_spill_count: 0
    .wavefront_size: 32
  - .args:
      - .offset:         0
        .size:           184
        .value_kind:     by_value
    .group_segment_fixed_size: 0
    .kernarg_segment_align: 8
    .kernarg_segment_size: 184
    .language:       OpenCL C
    .language_version:
      - 2
      - 0
    .max_flat_workgroup_size: 256
    .name:           _ZN7rocprim17ROCPRIM_400000_NS6detail17trampoline_kernelINS0_13select_configILj256ELj13ELNS0_17block_load_methodE3ELS4_3ELS4_3ELNS0_20block_scan_algorithmE0ELj4294967295EEENS1_25partition_config_selectorILNS1_17partition_subalgoE4EjNS0_10empty_typeEbEEZZNS1_14partition_implILS8_4ELb0ES6_15HIP_vector_typeIjLj2EENS0_17counting_iteratorIjlEEPS9_SG_NS0_5tupleIJPjSI_NS0_16reverse_iteratorISI_EEEEENSH_IJSG_SG_SG_EEES9_SI_JZNS1_25segmented_radix_sort_implINS0_14default_configELb0EPK6__halfPSP_PKlPlN2at6native12_GLOBAL__N_18offset_tEEE10hipError_tPvRmT1_PNSt15iterator_traitsIS13_E10value_typeET2_T3_PNS14_IS19_E10value_typeET4_jRbjT5_S1F_jjP12ihipStream_tbEUljE_ZNSN_ISO_Lb0ESR_SS_SU_SV_SZ_EES10_S11_S12_S13_S17_S18_S19_S1C_S1D_jS1E_jS1F_S1F_jjS1H_bEUljE0_EEES10_S11_S12_S19_S1D_S1F_T6_T7_T9_mT8_S1H_bDpT10_ENKUlT_T0_E_clISt17integral_constantIbLb1EES1V_EEDaS1Q_S1R_EUlS1Q_E_NS1_11comp_targetILNS1_3genE5ELNS1_11target_archE942ELNS1_3gpuE9ELNS1_3repE0EEENS1_30default_config_static_selectorELNS0_4arch9wavefront6targetE0EEEvS13_
    .private_segment_fixed_size: 0
    .sgpr_count:     0
    .sgpr_spill_count: 0
    .symbol:         _ZN7rocprim17ROCPRIM_400000_NS6detail17trampoline_kernelINS0_13select_configILj256ELj13ELNS0_17block_load_methodE3ELS4_3ELS4_3ELNS0_20block_scan_algorithmE0ELj4294967295EEENS1_25partition_config_selectorILNS1_17partition_subalgoE4EjNS0_10empty_typeEbEEZZNS1_14partition_implILS8_4ELb0ES6_15HIP_vector_typeIjLj2EENS0_17counting_iteratorIjlEEPS9_SG_NS0_5tupleIJPjSI_NS0_16reverse_iteratorISI_EEEEENSH_IJSG_SG_SG_EEES9_SI_JZNS1_25segmented_radix_sort_implINS0_14default_configELb0EPK6__halfPSP_PKlPlN2at6native12_GLOBAL__N_18offset_tEEE10hipError_tPvRmT1_PNSt15iterator_traitsIS13_E10value_typeET2_T3_PNS14_IS19_E10value_typeET4_jRbjT5_S1F_jjP12ihipStream_tbEUljE_ZNSN_ISO_Lb0ESR_SS_SU_SV_SZ_EES10_S11_S12_S13_S17_S18_S19_S1C_S1D_jS1E_jS1F_S1F_jjS1H_bEUljE0_EEES10_S11_S12_S19_S1D_S1F_T6_T7_T9_mT8_S1H_bDpT10_ENKUlT_T0_E_clISt17integral_constantIbLb1EES1V_EEDaS1Q_S1R_EUlS1Q_E_NS1_11comp_targetILNS1_3genE5ELNS1_11target_archE942ELNS1_3gpuE9ELNS1_3repE0EEENS1_30default_config_static_selectorELNS0_4arch9wavefront6targetE0EEEvS13_.kd
    .uniform_work_group_size: 1
    .uses_dynamic_stack: false
    .vgpr_count:     0
    .vgpr_spill_count: 0
    .wavefront_size: 32
  - .args:
      - .offset:         0
        .size:           184
        .value_kind:     by_value
    .group_segment_fixed_size: 0
    .kernarg_segment_align: 8
    .kernarg_segment_size: 184
    .language:       OpenCL C
    .language_version:
      - 2
      - 0
    .max_flat_workgroup_size: 256
    .name:           _ZN7rocprim17ROCPRIM_400000_NS6detail17trampoline_kernelINS0_13select_configILj256ELj13ELNS0_17block_load_methodE3ELS4_3ELS4_3ELNS0_20block_scan_algorithmE0ELj4294967295EEENS1_25partition_config_selectorILNS1_17partition_subalgoE4EjNS0_10empty_typeEbEEZZNS1_14partition_implILS8_4ELb0ES6_15HIP_vector_typeIjLj2EENS0_17counting_iteratorIjlEEPS9_SG_NS0_5tupleIJPjSI_NS0_16reverse_iteratorISI_EEEEENSH_IJSG_SG_SG_EEES9_SI_JZNS1_25segmented_radix_sort_implINS0_14default_configELb0EPK6__halfPSP_PKlPlN2at6native12_GLOBAL__N_18offset_tEEE10hipError_tPvRmT1_PNSt15iterator_traitsIS13_E10value_typeET2_T3_PNS14_IS19_E10value_typeET4_jRbjT5_S1F_jjP12ihipStream_tbEUljE_ZNSN_ISO_Lb0ESR_SS_SU_SV_SZ_EES10_S11_S12_S13_S17_S18_S19_S1C_S1D_jS1E_jS1F_S1F_jjS1H_bEUljE0_EEES10_S11_S12_S19_S1D_S1F_T6_T7_T9_mT8_S1H_bDpT10_ENKUlT_T0_E_clISt17integral_constantIbLb1EES1V_EEDaS1Q_S1R_EUlS1Q_E_NS1_11comp_targetILNS1_3genE4ELNS1_11target_archE910ELNS1_3gpuE8ELNS1_3repE0EEENS1_30default_config_static_selectorELNS0_4arch9wavefront6targetE0EEEvS13_
    .private_segment_fixed_size: 0
    .sgpr_count:     0
    .sgpr_spill_count: 0
    .symbol:         _ZN7rocprim17ROCPRIM_400000_NS6detail17trampoline_kernelINS0_13select_configILj256ELj13ELNS0_17block_load_methodE3ELS4_3ELS4_3ELNS0_20block_scan_algorithmE0ELj4294967295EEENS1_25partition_config_selectorILNS1_17partition_subalgoE4EjNS0_10empty_typeEbEEZZNS1_14partition_implILS8_4ELb0ES6_15HIP_vector_typeIjLj2EENS0_17counting_iteratorIjlEEPS9_SG_NS0_5tupleIJPjSI_NS0_16reverse_iteratorISI_EEEEENSH_IJSG_SG_SG_EEES9_SI_JZNS1_25segmented_radix_sort_implINS0_14default_configELb0EPK6__halfPSP_PKlPlN2at6native12_GLOBAL__N_18offset_tEEE10hipError_tPvRmT1_PNSt15iterator_traitsIS13_E10value_typeET2_T3_PNS14_IS19_E10value_typeET4_jRbjT5_S1F_jjP12ihipStream_tbEUljE_ZNSN_ISO_Lb0ESR_SS_SU_SV_SZ_EES10_S11_S12_S13_S17_S18_S19_S1C_S1D_jS1E_jS1F_S1F_jjS1H_bEUljE0_EEES10_S11_S12_S19_S1D_S1F_T6_T7_T9_mT8_S1H_bDpT10_ENKUlT_T0_E_clISt17integral_constantIbLb1EES1V_EEDaS1Q_S1R_EUlS1Q_E_NS1_11comp_targetILNS1_3genE4ELNS1_11target_archE910ELNS1_3gpuE8ELNS1_3repE0EEENS1_30default_config_static_selectorELNS0_4arch9wavefront6targetE0EEEvS13_.kd
    .uniform_work_group_size: 1
    .uses_dynamic_stack: false
    .vgpr_count:     0
    .vgpr_spill_count: 0
    .wavefront_size: 32
  - .args:
      - .offset:         0
        .size:           184
        .value_kind:     by_value
    .group_segment_fixed_size: 0
    .kernarg_segment_align: 8
    .kernarg_segment_size: 184
    .language:       OpenCL C
    .language_version:
      - 2
      - 0
    .max_flat_workgroup_size: 256
    .name:           _ZN7rocprim17ROCPRIM_400000_NS6detail17trampoline_kernelINS0_13select_configILj256ELj13ELNS0_17block_load_methodE3ELS4_3ELS4_3ELNS0_20block_scan_algorithmE0ELj4294967295EEENS1_25partition_config_selectorILNS1_17partition_subalgoE4EjNS0_10empty_typeEbEEZZNS1_14partition_implILS8_4ELb0ES6_15HIP_vector_typeIjLj2EENS0_17counting_iteratorIjlEEPS9_SG_NS0_5tupleIJPjSI_NS0_16reverse_iteratorISI_EEEEENSH_IJSG_SG_SG_EEES9_SI_JZNS1_25segmented_radix_sort_implINS0_14default_configELb0EPK6__halfPSP_PKlPlN2at6native12_GLOBAL__N_18offset_tEEE10hipError_tPvRmT1_PNSt15iterator_traitsIS13_E10value_typeET2_T3_PNS14_IS19_E10value_typeET4_jRbjT5_S1F_jjP12ihipStream_tbEUljE_ZNSN_ISO_Lb0ESR_SS_SU_SV_SZ_EES10_S11_S12_S13_S17_S18_S19_S1C_S1D_jS1E_jS1F_S1F_jjS1H_bEUljE0_EEES10_S11_S12_S19_S1D_S1F_T6_T7_T9_mT8_S1H_bDpT10_ENKUlT_T0_E_clISt17integral_constantIbLb1EES1V_EEDaS1Q_S1R_EUlS1Q_E_NS1_11comp_targetILNS1_3genE3ELNS1_11target_archE908ELNS1_3gpuE7ELNS1_3repE0EEENS1_30default_config_static_selectorELNS0_4arch9wavefront6targetE0EEEvS13_
    .private_segment_fixed_size: 0
    .sgpr_count:     0
    .sgpr_spill_count: 0
    .symbol:         _ZN7rocprim17ROCPRIM_400000_NS6detail17trampoline_kernelINS0_13select_configILj256ELj13ELNS0_17block_load_methodE3ELS4_3ELS4_3ELNS0_20block_scan_algorithmE0ELj4294967295EEENS1_25partition_config_selectorILNS1_17partition_subalgoE4EjNS0_10empty_typeEbEEZZNS1_14partition_implILS8_4ELb0ES6_15HIP_vector_typeIjLj2EENS0_17counting_iteratorIjlEEPS9_SG_NS0_5tupleIJPjSI_NS0_16reverse_iteratorISI_EEEEENSH_IJSG_SG_SG_EEES9_SI_JZNS1_25segmented_radix_sort_implINS0_14default_configELb0EPK6__halfPSP_PKlPlN2at6native12_GLOBAL__N_18offset_tEEE10hipError_tPvRmT1_PNSt15iterator_traitsIS13_E10value_typeET2_T3_PNS14_IS19_E10value_typeET4_jRbjT5_S1F_jjP12ihipStream_tbEUljE_ZNSN_ISO_Lb0ESR_SS_SU_SV_SZ_EES10_S11_S12_S13_S17_S18_S19_S1C_S1D_jS1E_jS1F_S1F_jjS1H_bEUljE0_EEES10_S11_S12_S19_S1D_S1F_T6_T7_T9_mT8_S1H_bDpT10_ENKUlT_T0_E_clISt17integral_constantIbLb1EES1V_EEDaS1Q_S1R_EUlS1Q_E_NS1_11comp_targetILNS1_3genE3ELNS1_11target_archE908ELNS1_3gpuE7ELNS1_3repE0EEENS1_30default_config_static_selectorELNS0_4arch9wavefront6targetE0EEEvS13_.kd
    .uniform_work_group_size: 1
    .uses_dynamic_stack: false
    .vgpr_count:     0
    .vgpr_spill_count: 0
    .wavefront_size: 32
  - .args:
      - .offset:         0
        .size:           184
        .value_kind:     by_value
    .group_segment_fixed_size: 0
    .kernarg_segment_align: 8
    .kernarg_segment_size: 184
    .language:       OpenCL C
    .language_version:
      - 2
      - 0
    .max_flat_workgroup_size: 256
    .name:           _ZN7rocprim17ROCPRIM_400000_NS6detail17trampoline_kernelINS0_13select_configILj256ELj13ELNS0_17block_load_methodE3ELS4_3ELS4_3ELNS0_20block_scan_algorithmE0ELj4294967295EEENS1_25partition_config_selectorILNS1_17partition_subalgoE4EjNS0_10empty_typeEbEEZZNS1_14partition_implILS8_4ELb0ES6_15HIP_vector_typeIjLj2EENS0_17counting_iteratorIjlEEPS9_SG_NS0_5tupleIJPjSI_NS0_16reverse_iteratorISI_EEEEENSH_IJSG_SG_SG_EEES9_SI_JZNS1_25segmented_radix_sort_implINS0_14default_configELb0EPK6__halfPSP_PKlPlN2at6native12_GLOBAL__N_18offset_tEEE10hipError_tPvRmT1_PNSt15iterator_traitsIS13_E10value_typeET2_T3_PNS14_IS19_E10value_typeET4_jRbjT5_S1F_jjP12ihipStream_tbEUljE_ZNSN_ISO_Lb0ESR_SS_SU_SV_SZ_EES10_S11_S12_S13_S17_S18_S19_S1C_S1D_jS1E_jS1F_S1F_jjS1H_bEUljE0_EEES10_S11_S12_S19_S1D_S1F_T6_T7_T9_mT8_S1H_bDpT10_ENKUlT_T0_E_clISt17integral_constantIbLb1EES1V_EEDaS1Q_S1R_EUlS1Q_E_NS1_11comp_targetILNS1_3genE2ELNS1_11target_archE906ELNS1_3gpuE6ELNS1_3repE0EEENS1_30default_config_static_selectorELNS0_4arch9wavefront6targetE0EEEvS13_
    .private_segment_fixed_size: 0
    .sgpr_count:     0
    .sgpr_spill_count: 0
    .symbol:         _ZN7rocprim17ROCPRIM_400000_NS6detail17trampoline_kernelINS0_13select_configILj256ELj13ELNS0_17block_load_methodE3ELS4_3ELS4_3ELNS0_20block_scan_algorithmE0ELj4294967295EEENS1_25partition_config_selectorILNS1_17partition_subalgoE4EjNS0_10empty_typeEbEEZZNS1_14partition_implILS8_4ELb0ES6_15HIP_vector_typeIjLj2EENS0_17counting_iteratorIjlEEPS9_SG_NS0_5tupleIJPjSI_NS0_16reverse_iteratorISI_EEEEENSH_IJSG_SG_SG_EEES9_SI_JZNS1_25segmented_radix_sort_implINS0_14default_configELb0EPK6__halfPSP_PKlPlN2at6native12_GLOBAL__N_18offset_tEEE10hipError_tPvRmT1_PNSt15iterator_traitsIS13_E10value_typeET2_T3_PNS14_IS19_E10value_typeET4_jRbjT5_S1F_jjP12ihipStream_tbEUljE_ZNSN_ISO_Lb0ESR_SS_SU_SV_SZ_EES10_S11_S12_S13_S17_S18_S19_S1C_S1D_jS1E_jS1F_S1F_jjS1H_bEUljE0_EEES10_S11_S12_S19_S1D_S1F_T6_T7_T9_mT8_S1H_bDpT10_ENKUlT_T0_E_clISt17integral_constantIbLb1EES1V_EEDaS1Q_S1R_EUlS1Q_E_NS1_11comp_targetILNS1_3genE2ELNS1_11target_archE906ELNS1_3gpuE6ELNS1_3repE0EEENS1_30default_config_static_selectorELNS0_4arch9wavefront6targetE0EEEvS13_.kd
    .uniform_work_group_size: 1
    .uses_dynamic_stack: false
    .vgpr_count:     0
    .vgpr_spill_count: 0
    .wavefront_size: 32
  - .args:
      - .offset:         0
        .size:           184
        .value_kind:     by_value
    .group_segment_fixed_size: 0
    .kernarg_segment_align: 8
    .kernarg_segment_size: 184
    .language:       OpenCL C
    .language_version:
      - 2
      - 0
    .max_flat_workgroup_size: 256
    .name:           _ZN7rocprim17ROCPRIM_400000_NS6detail17trampoline_kernelINS0_13select_configILj256ELj13ELNS0_17block_load_methodE3ELS4_3ELS4_3ELNS0_20block_scan_algorithmE0ELj4294967295EEENS1_25partition_config_selectorILNS1_17partition_subalgoE4EjNS0_10empty_typeEbEEZZNS1_14partition_implILS8_4ELb0ES6_15HIP_vector_typeIjLj2EENS0_17counting_iteratorIjlEEPS9_SG_NS0_5tupleIJPjSI_NS0_16reverse_iteratorISI_EEEEENSH_IJSG_SG_SG_EEES9_SI_JZNS1_25segmented_radix_sort_implINS0_14default_configELb0EPK6__halfPSP_PKlPlN2at6native12_GLOBAL__N_18offset_tEEE10hipError_tPvRmT1_PNSt15iterator_traitsIS13_E10value_typeET2_T3_PNS14_IS19_E10value_typeET4_jRbjT5_S1F_jjP12ihipStream_tbEUljE_ZNSN_ISO_Lb0ESR_SS_SU_SV_SZ_EES10_S11_S12_S13_S17_S18_S19_S1C_S1D_jS1E_jS1F_S1F_jjS1H_bEUljE0_EEES10_S11_S12_S19_S1D_S1F_T6_T7_T9_mT8_S1H_bDpT10_ENKUlT_T0_E_clISt17integral_constantIbLb1EES1V_EEDaS1Q_S1R_EUlS1Q_E_NS1_11comp_targetILNS1_3genE10ELNS1_11target_archE1200ELNS1_3gpuE4ELNS1_3repE0EEENS1_30default_config_static_selectorELNS0_4arch9wavefront6targetE0EEEvS13_
    .private_segment_fixed_size: 0
    .sgpr_count:     0
    .sgpr_spill_count: 0
    .symbol:         _ZN7rocprim17ROCPRIM_400000_NS6detail17trampoline_kernelINS0_13select_configILj256ELj13ELNS0_17block_load_methodE3ELS4_3ELS4_3ELNS0_20block_scan_algorithmE0ELj4294967295EEENS1_25partition_config_selectorILNS1_17partition_subalgoE4EjNS0_10empty_typeEbEEZZNS1_14partition_implILS8_4ELb0ES6_15HIP_vector_typeIjLj2EENS0_17counting_iteratorIjlEEPS9_SG_NS0_5tupleIJPjSI_NS0_16reverse_iteratorISI_EEEEENSH_IJSG_SG_SG_EEES9_SI_JZNS1_25segmented_radix_sort_implINS0_14default_configELb0EPK6__halfPSP_PKlPlN2at6native12_GLOBAL__N_18offset_tEEE10hipError_tPvRmT1_PNSt15iterator_traitsIS13_E10value_typeET2_T3_PNS14_IS19_E10value_typeET4_jRbjT5_S1F_jjP12ihipStream_tbEUljE_ZNSN_ISO_Lb0ESR_SS_SU_SV_SZ_EES10_S11_S12_S13_S17_S18_S19_S1C_S1D_jS1E_jS1F_S1F_jjS1H_bEUljE0_EEES10_S11_S12_S19_S1D_S1F_T6_T7_T9_mT8_S1H_bDpT10_ENKUlT_T0_E_clISt17integral_constantIbLb1EES1V_EEDaS1Q_S1R_EUlS1Q_E_NS1_11comp_targetILNS1_3genE10ELNS1_11target_archE1200ELNS1_3gpuE4ELNS1_3repE0EEENS1_30default_config_static_selectorELNS0_4arch9wavefront6targetE0EEEvS13_.kd
    .uniform_work_group_size: 1
    .uses_dynamic_stack: false
    .vgpr_count:     0
    .vgpr_spill_count: 0
    .wavefront_size: 32
  - .args:
      - .offset:         0
        .size:           184
        .value_kind:     by_value
    .group_segment_fixed_size: 0
    .kernarg_segment_align: 8
    .kernarg_segment_size: 184
    .language:       OpenCL C
    .language_version:
      - 2
      - 0
    .max_flat_workgroup_size: 256
    .name:           _ZN7rocprim17ROCPRIM_400000_NS6detail17trampoline_kernelINS0_13select_configILj256ELj13ELNS0_17block_load_methodE3ELS4_3ELS4_3ELNS0_20block_scan_algorithmE0ELj4294967295EEENS1_25partition_config_selectorILNS1_17partition_subalgoE4EjNS0_10empty_typeEbEEZZNS1_14partition_implILS8_4ELb0ES6_15HIP_vector_typeIjLj2EENS0_17counting_iteratorIjlEEPS9_SG_NS0_5tupleIJPjSI_NS0_16reverse_iteratorISI_EEEEENSH_IJSG_SG_SG_EEES9_SI_JZNS1_25segmented_radix_sort_implINS0_14default_configELb0EPK6__halfPSP_PKlPlN2at6native12_GLOBAL__N_18offset_tEEE10hipError_tPvRmT1_PNSt15iterator_traitsIS13_E10value_typeET2_T3_PNS14_IS19_E10value_typeET4_jRbjT5_S1F_jjP12ihipStream_tbEUljE_ZNSN_ISO_Lb0ESR_SS_SU_SV_SZ_EES10_S11_S12_S13_S17_S18_S19_S1C_S1D_jS1E_jS1F_S1F_jjS1H_bEUljE0_EEES10_S11_S12_S19_S1D_S1F_T6_T7_T9_mT8_S1H_bDpT10_ENKUlT_T0_E_clISt17integral_constantIbLb1EES1V_EEDaS1Q_S1R_EUlS1Q_E_NS1_11comp_targetILNS1_3genE9ELNS1_11target_archE1100ELNS1_3gpuE3ELNS1_3repE0EEENS1_30default_config_static_selectorELNS0_4arch9wavefront6targetE0EEEvS13_
    .private_segment_fixed_size: 0
    .sgpr_count:     0
    .sgpr_spill_count: 0
    .symbol:         _ZN7rocprim17ROCPRIM_400000_NS6detail17trampoline_kernelINS0_13select_configILj256ELj13ELNS0_17block_load_methodE3ELS4_3ELS4_3ELNS0_20block_scan_algorithmE0ELj4294967295EEENS1_25partition_config_selectorILNS1_17partition_subalgoE4EjNS0_10empty_typeEbEEZZNS1_14partition_implILS8_4ELb0ES6_15HIP_vector_typeIjLj2EENS0_17counting_iteratorIjlEEPS9_SG_NS0_5tupleIJPjSI_NS0_16reverse_iteratorISI_EEEEENSH_IJSG_SG_SG_EEES9_SI_JZNS1_25segmented_radix_sort_implINS0_14default_configELb0EPK6__halfPSP_PKlPlN2at6native12_GLOBAL__N_18offset_tEEE10hipError_tPvRmT1_PNSt15iterator_traitsIS13_E10value_typeET2_T3_PNS14_IS19_E10value_typeET4_jRbjT5_S1F_jjP12ihipStream_tbEUljE_ZNSN_ISO_Lb0ESR_SS_SU_SV_SZ_EES10_S11_S12_S13_S17_S18_S19_S1C_S1D_jS1E_jS1F_S1F_jjS1H_bEUljE0_EEES10_S11_S12_S19_S1D_S1F_T6_T7_T9_mT8_S1H_bDpT10_ENKUlT_T0_E_clISt17integral_constantIbLb1EES1V_EEDaS1Q_S1R_EUlS1Q_E_NS1_11comp_targetILNS1_3genE9ELNS1_11target_archE1100ELNS1_3gpuE3ELNS1_3repE0EEENS1_30default_config_static_selectorELNS0_4arch9wavefront6targetE0EEEvS13_.kd
    .uniform_work_group_size: 1
    .uses_dynamic_stack: false
    .vgpr_count:     0
    .vgpr_spill_count: 0
    .wavefront_size: 32
  - .args:
      - .offset:         0
        .size:           184
        .value_kind:     by_value
    .group_segment_fixed_size: 0
    .kernarg_segment_align: 8
    .kernarg_segment_size: 184
    .language:       OpenCL C
    .language_version:
      - 2
      - 0
    .max_flat_workgroup_size: 256
    .name:           _ZN7rocprim17ROCPRIM_400000_NS6detail17trampoline_kernelINS0_13select_configILj256ELj13ELNS0_17block_load_methodE3ELS4_3ELS4_3ELNS0_20block_scan_algorithmE0ELj4294967295EEENS1_25partition_config_selectorILNS1_17partition_subalgoE4EjNS0_10empty_typeEbEEZZNS1_14partition_implILS8_4ELb0ES6_15HIP_vector_typeIjLj2EENS0_17counting_iteratorIjlEEPS9_SG_NS0_5tupleIJPjSI_NS0_16reverse_iteratorISI_EEEEENSH_IJSG_SG_SG_EEES9_SI_JZNS1_25segmented_radix_sort_implINS0_14default_configELb0EPK6__halfPSP_PKlPlN2at6native12_GLOBAL__N_18offset_tEEE10hipError_tPvRmT1_PNSt15iterator_traitsIS13_E10value_typeET2_T3_PNS14_IS19_E10value_typeET4_jRbjT5_S1F_jjP12ihipStream_tbEUljE_ZNSN_ISO_Lb0ESR_SS_SU_SV_SZ_EES10_S11_S12_S13_S17_S18_S19_S1C_S1D_jS1E_jS1F_S1F_jjS1H_bEUljE0_EEES10_S11_S12_S19_S1D_S1F_T6_T7_T9_mT8_S1H_bDpT10_ENKUlT_T0_E_clISt17integral_constantIbLb1EES1V_EEDaS1Q_S1R_EUlS1Q_E_NS1_11comp_targetILNS1_3genE8ELNS1_11target_archE1030ELNS1_3gpuE2ELNS1_3repE0EEENS1_30default_config_static_selectorELNS0_4arch9wavefront6targetE0EEEvS13_
    .private_segment_fixed_size: 0
    .sgpr_count:     0
    .sgpr_spill_count: 0
    .symbol:         _ZN7rocprim17ROCPRIM_400000_NS6detail17trampoline_kernelINS0_13select_configILj256ELj13ELNS0_17block_load_methodE3ELS4_3ELS4_3ELNS0_20block_scan_algorithmE0ELj4294967295EEENS1_25partition_config_selectorILNS1_17partition_subalgoE4EjNS0_10empty_typeEbEEZZNS1_14partition_implILS8_4ELb0ES6_15HIP_vector_typeIjLj2EENS0_17counting_iteratorIjlEEPS9_SG_NS0_5tupleIJPjSI_NS0_16reverse_iteratorISI_EEEEENSH_IJSG_SG_SG_EEES9_SI_JZNS1_25segmented_radix_sort_implINS0_14default_configELb0EPK6__halfPSP_PKlPlN2at6native12_GLOBAL__N_18offset_tEEE10hipError_tPvRmT1_PNSt15iterator_traitsIS13_E10value_typeET2_T3_PNS14_IS19_E10value_typeET4_jRbjT5_S1F_jjP12ihipStream_tbEUljE_ZNSN_ISO_Lb0ESR_SS_SU_SV_SZ_EES10_S11_S12_S13_S17_S18_S19_S1C_S1D_jS1E_jS1F_S1F_jjS1H_bEUljE0_EEES10_S11_S12_S19_S1D_S1F_T6_T7_T9_mT8_S1H_bDpT10_ENKUlT_T0_E_clISt17integral_constantIbLb1EES1V_EEDaS1Q_S1R_EUlS1Q_E_NS1_11comp_targetILNS1_3genE8ELNS1_11target_archE1030ELNS1_3gpuE2ELNS1_3repE0EEENS1_30default_config_static_selectorELNS0_4arch9wavefront6targetE0EEEvS13_.kd
    .uniform_work_group_size: 1
    .uses_dynamic_stack: false
    .vgpr_count:     0
    .vgpr_spill_count: 0
    .wavefront_size: 32
  - .args:
      - .offset:         0
        .size:           176
        .value_kind:     by_value
    .group_segment_fixed_size: 0
    .kernarg_segment_align: 8
    .kernarg_segment_size: 176
    .language:       OpenCL C
    .language_version:
      - 2
      - 0
    .max_flat_workgroup_size: 256
    .name:           _ZN7rocprim17ROCPRIM_400000_NS6detail17trampoline_kernelINS0_13select_configILj256ELj13ELNS0_17block_load_methodE3ELS4_3ELS4_3ELNS0_20block_scan_algorithmE0ELj4294967295EEENS1_25partition_config_selectorILNS1_17partition_subalgoE4EjNS0_10empty_typeEbEEZZNS1_14partition_implILS8_4ELb0ES6_15HIP_vector_typeIjLj2EENS0_17counting_iteratorIjlEEPS9_SG_NS0_5tupleIJPjSI_NS0_16reverse_iteratorISI_EEEEENSH_IJSG_SG_SG_EEES9_SI_JZNS1_25segmented_radix_sort_implINS0_14default_configELb0EPK6__halfPSP_PKlPlN2at6native12_GLOBAL__N_18offset_tEEE10hipError_tPvRmT1_PNSt15iterator_traitsIS13_E10value_typeET2_T3_PNS14_IS19_E10value_typeET4_jRbjT5_S1F_jjP12ihipStream_tbEUljE_ZNSN_ISO_Lb0ESR_SS_SU_SV_SZ_EES10_S11_S12_S13_S17_S18_S19_S1C_S1D_jS1E_jS1F_S1F_jjS1H_bEUljE0_EEES10_S11_S12_S19_S1D_S1F_T6_T7_T9_mT8_S1H_bDpT10_ENKUlT_T0_E_clISt17integral_constantIbLb1EES1U_IbLb0EEEEDaS1Q_S1R_EUlS1Q_E_NS1_11comp_targetILNS1_3genE0ELNS1_11target_archE4294967295ELNS1_3gpuE0ELNS1_3repE0EEENS1_30default_config_static_selectorELNS0_4arch9wavefront6targetE0EEEvS13_
    .private_segment_fixed_size: 0
    .sgpr_count:     0
    .sgpr_spill_count: 0
    .symbol:         _ZN7rocprim17ROCPRIM_400000_NS6detail17trampoline_kernelINS0_13select_configILj256ELj13ELNS0_17block_load_methodE3ELS4_3ELS4_3ELNS0_20block_scan_algorithmE0ELj4294967295EEENS1_25partition_config_selectorILNS1_17partition_subalgoE4EjNS0_10empty_typeEbEEZZNS1_14partition_implILS8_4ELb0ES6_15HIP_vector_typeIjLj2EENS0_17counting_iteratorIjlEEPS9_SG_NS0_5tupleIJPjSI_NS0_16reverse_iteratorISI_EEEEENSH_IJSG_SG_SG_EEES9_SI_JZNS1_25segmented_radix_sort_implINS0_14default_configELb0EPK6__halfPSP_PKlPlN2at6native12_GLOBAL__N_18offset_tEEE10hipError_tPvRmT1_PNSt15iterator_traitsIS13_E10value_typeET2_T3_PNS14_IS19_E10value_typeET4_jRbjT5_S1F_jjP12ihipStream_tbEUljE_ZNSN_ISO_Lb0ESR_SS_SU_SV_SZ_EES10_S11_S12_S13_S17_S18_S19_S1C_S1D_jS1E_jS1F_S1F_jjS1H_bEUljE0_EEES10_S11_S12_S19_S1D_S1F_T6_T7_T9_mT8_S1H_bDpT10_ENKUlT_T0_E_clISt17integral_constantIbLb1EES1U_IbLb0EEEEDaS1Q_S1R_EUlS1Q_E_NS1_11comp_targetILNS1_3genE0ELNS1_11target_archE4294967295ELNS1_3gpuE0ELNS1_3repE0EEENS1_30default_config_static_selectorELNS0_4arch9wavefront6targetE0EEEvS13_.kd
    .uniform_work_group_size: 1
    .uses_dynamic_stack: false
    .vgpr_count:     0
    .vgpr_spill_count: 0
    .wavefront_size: 32
  - .args:
      - .offset:         0
        .size:           176
        .value_kind:     by_value
    .group_segment_fixed_size: 0
    .kernarg_segment_align: 8
    .kernarg_segment_size: 176
    .language:       OpenCL C
    .language_version:
      - 2
      - 0
    .max_flat_workgroup_size: 256
    .name:           _ZN7rocprim17ROCPRIM_400000_NS6detail17trampoline_kernelINS0_13select_configILj256ELj13ELNS0_17block_load_methodE3ELS4_3ELS4_3ELNS0_20block_scan_algorithmE0ELj4294967295EEENS1_25partition_config_selectorILNS1_17partition_subalgoE4EjNS0_10empty_typeEbEEZZNS1_14partition_implILS8_4ELb0ES6_15HIP_vector_typeIjLj2EENS0_17counting_iteratorIjlEEPS9_SG_NS0_5tupleIJPjSI_NS0_16reverse_iteratorISI_EEEEENSH_IJSG_SG_SG_EEES9_SI_JZNS1_25segmented_radix_sort_implINS0_14default_configELb0EPK6__halfPSP_PKlPlN2at6native12_GLOBAL__N_18offset_tEEE10hipError_tPvRmT1_PNSt15iterator_traitsIS13_E10value_typeET2_T3_PNS14_IS19_E10value_typeET4_jRbjT5_S1F_jjP12ihipStream_tbEUljE_ZNSN_ISO_Lb0ESR_SS_SU_SV_SZ_EES10_S11_S12_S13_S17_S18_S19_S1C_S1D_jS1E_jS1F_S1F_jjS1H_bEUljE0_EEES10_S11_S12_S19_S1D_S1F_T6_T7_T9_mT8_S1H_bDpT10_ENKUlT_T0_E_clISt17integral_constantIbLb1EES1U_IbLb0EEEEDaS1Q_S1R_EUlS1Q_E_NS1_11comp_targetILNS1_3genE5ELNS1_11target_archE942ELNS1_3gpuE9ELNS1_3repE0EEENS1_30default_config_static_selectorELNS0_4arch9wavefront6targetE0EEEvS13_
    .private_segment_fixed_size: 0
    .sgpr_count:     0
    .sgpr_spill_count: 0
    .symbol:         _ZN7rocprim17ROCPRIM_400000_NS6detail17trampoline_kernelINS0_13select_configILj256ELj13ELNS0_17block_load_methodE3ELS4_3ELS4_3ELNS0_20block_scan_algorithmE0ELj4294967295EEENS1_25partition_config_selectorILNS1_17partition_subalgoE4EjNS0_10empty_typeEbEEZZNS1_14partition_implILS8_4ELb0ES6_15HIP_vector_typeIjLj2EENS0_17counting_iteratorIjlEEPS9_SG_NS0_5tupleIJPjSI_NS0_16reverse_iteratorISI_EEEEENSH_IJSG_SG_SG_EEES9_SI_JZNS1_25segmented_radix_sort_implINS0_14default_configELb0EPK6__halfPSP_PKlPlN2at6native12_GLOBAL__N_18offset_tEEE10hipError_tPvRmT1_PNSt15iterator_traitsIS13_E10value_typeET2_T3_PNS14_IS19_E10value_typeET4_jRbjT5_S1F_jjP12ihipStream_tbEUljE_ZNSN_ISO_Lb0ESR_SS_SU_SV_SZ_EES10_S11_S12_S13_S17_S18_S19_S1C_S1D_jS1E_jS1F_S1F_jjS1H_bEUljE0_EEES10_S11_S12_S19_S1D_S1F_T6_T7_T9_mT8_S1H_bDpT10_ENKUlT_T0_E_clISt17integral_constantIbLb1EES1U_IbLb0EEEEDaS1Q_S1R_EUlS1Q_E_NS1_11comp_targetILNS1_3genE5ELNS1_11target_archE942ELNS1_3gpuE9ELNS1_3repE0EEENS1_30default_config_static_selectorELNS0_4arch9wavefront6targetE0EEEvS13_.kd
    .uniform_work_group_size: 1
    .uses_dynamic_stack: false
    .vgpr_count:     0
    .vgpr_spill_count: 0
    .wavefront_size: 32
  - .args:
      - .offset:         0
        .size:           176
        .value_kind:     by_value
    .group_segment_fixed_size: 0
    .kernarg_segment_align: 8
    .kernarg_segment_size: 176
    .language:       OpenCL C
    .language_version:
      - 2
      - 0
    .max_flat_workgroup_size: 256
    .name:           _ZN7rocprim17ROCPRIM_400000_NS6detail17trampoline_kernelINS0_13select_configILj256ELj13ELNS0_17block_load_methodE3ELS4_3ELS4_3ELNS0_20block_scan_algorithmE0ELj4294967295EEENS1_25partition_config_selectorILNS1_17partition_subalgoE4EjNS0_10empty_typeEbEEZZNS1_14partition_implILS8_4ELb0ES6_15HIP_vector_typeIjLj2EENS0_17counting_iteratorIjlEEPS9_SG_NS0_5tupleIJPjSI_NS0_16reverse_iteratorISI_EEEEENSH_IJSG_SG_SG_EEES9_SI_JZNS1_25segmented_radix_sort_implINS0_14default_configELb0EPK6__halfPSP_PKlPlN2at6native12_GLOBAL__N_18offset_tEEE10hipError_tPvRmT1_PNSt15iterator_traitsIS13_E10value_typeET2_T3_PNS14_IS19_E10value_typeET4_jRbjT5_S1F_jjP12ihipStream_tbEUljE_ZNSN_ISO_Lb0ESR_SS_SU_SV_SZ_EES10_S11_S12_S13_S17_S18_S19_S1C_S1D_jS1E_jS1F_S1F_jjS1H_bEUljE0_EEES10_S11_S12_S19_S1D_S1F_T6_T7_T9_mT8_S1H_bDpT10_ENKUlT_T0_E_clISt17integral_constantIbLb1EES1U_IbLb0EEEEDaS1Q_S1R_EUlS1Q_E_NS1_11comp_targetILNS1_3genE4ELNS1_11target_archE910ELNS1_3gpuE8ELNS1_3repE0EEENS1_30default_config_static_selectorELNS0_4arch9wavefront6targetE0EEEvS13_
    .private_segment_fixed_size: 0
    .sgpr_count:     0
    .sgpr_spill_count: 0
    .symbol:         _ZN7rocprim17ROCPRIM_400000_NS6detail17trampoline_kernelINS0_13select_configILj256ELj13ELNS0_17block_load_methodE3ELS4_3ELS4_3ELNS0_20block_scan_algorithmE0ELj4294967295EEENS1_25partition_config_selectorILNS1_17partition_subalgoE4EjNS0_10empty_typeEbEEZZNS1_14partition_implILS8_4ELb0ES6_15HIP_vector_typeIjLj2EENS0_17counting_iteratorIjlEEPS9_SG_NS0_5tupleIJPjSI_NS0_16reverse_iteratorISI_EEEEENSH_IJSG_SG_SG_EEES9_SI_JZNS1_25segmented_radix_sort_implINS0_14default_configELb0EPK6__halfPSP_PKlPlN2at6native12_GLOBAL__N_18offset_tEEE10hipError_tPvRmT1_PNSt15iterator_traitsIS13_E10value_typeET2_T3_PNS14_IS19_E10value_typeET4_jRbjT5_S1F_jjP12ihipStream_tbEUljE_ZNSN_ISO_Lb0ESR_SS_SU_SV_SZ_EES10_S11_S12_S13_S17_S18_S19_S1C_S1D_jS1E_jS1F_S1F_jjS1H_bEUljE0_EEES10_S11_S12_S19_S1D_S1F_T6_T7_T9_mT8_S1H_bDpT10_ENKUlT_T0_E_clISt17integral_constantIbLb1EES1U_IbLb0EEEEDaS1Q_S1R_EUlS1Q_E_NS1_11comp_targetILNS1_3genE4ELNS1_11target_archE910ELNS1_3gpuE8ELNS1_3repE0EEENS1_30default_config_static_selectorELNS0_4arch9wavefront6targetE0EEEvS13_.kd
    .uniform_work_group_size: 1
    .uses_dynamic_stack: false
    .vgpr_count:     0
    .vgpr_spill_count: 0
    .wavefront_size: 32
  - .args:
      - .offset:         0
        .size:           176
        .value_kind:     by_value
    .group_segment_fixed_size: 0
    .kernarg_segment_align: 8
    .kernarg_segment_size: 176
    .language:       OpenCL C
    .language_version:
      - 2
      - 0
    .max_flat_workgroup_size: 256
    .name:           _ZN7rocprim17ROCPRIM_400000_NS6detail17trampoline_kernelINS0_13select_configILj256ELj13ELNS0_17block_load_methodE3ELS4_3ELS4_3ELNS0_20block_scan_algorithmE0ELj4294967295EEENS1_25partition_config_selectorILNS1_17partition_subalgoE4EjNS0_10empty_typeEbEEZZNS1_14partition_implILS8_4ELb0ES6_15HIP_vector_typeIjLj2EENS0_17counting_iteratorIjlEEPS9_SG_NS0_5tupleIJPjSI_NS0_16reverse_iteratorISI_EEEEENSH_IJSG_SG_SG_EEES9_SI_JZNS1_25segmented_radix_sort_implINS0_14default_configELb0EPK6__halfPSP_PKlPlN2at6native12_GLOBAL__N_18offset_tEEE10hipError_tPvRmT1_PNSt15iterator_traitsIS13_E10value_typeET2_T3_PNS14_IS19_E10value_typeET4_jRbjT5_S1F_jjP12ihipStream_tbEUljE_ZNSN_ISO_Lb0ESR_SS_SU_SV_SZ_EES10_S11_S12_S13_S17_S18_S19_S1C_S1D_jS1E_jS1F_S1F_jjS1H_bEUljE0_EEES10_S11_S12_S19_S1D_S1F_T6_T7_T9_mT8_S1H_bDpT10_ENKUlT_T0_E_clISt17integral_constantIbLb1EES1U_IbLb0EEEEDaS1Q_S1R_EUlS1Q_E_NS1_11comp_targetILNS1_3genE3ELNS1_11target_archE908ELNS1_3gpuE7ELNS1_3repE0EEENS1_30default_config_static_selectorELNS0_4arch9wavefront6targetE0EEEvS13_
    .private_segment_fixed_size: 0
    .sgpr_count:     0
    .sgpr_spill_count: 0
    .symbol:         _ZN7rocprim17ROCPRIM_400000_NS6detail17trampoline_kernelINS0_13select_configILj256ELj13ELNS0_17block_load_methodE3ELS4_3ELS4_3ELNS0_20block_scan_algorithmE0ELj4294967295EEENS1_25partition_config_selectorILNS1_17partition_subalgoE4EjNS0_10empty_typeEbEEZZNS1_14partition_implILS8_4ELb0ES6_15HIP_vector_typeIjLj2EENS0_17counting_iteratorIjlEEPS9_SG_NS0_5tupleIJPjSI_NS0_16reverse_iteratorISI_EEEEENSH_IJSG_SG_SG_EEES9_SI_JZNS1_25segmented_radix_sort_implINS0_14default_configELb0EPK6__halfPSP_PKlPlN2at6native12_GLOBAL__N_18offset_tEEE10hipError_tPvRmT1_PNSt15iterator_traitsIS13_E10value_typeET2_T3_PNS14_IS19_E10value_typeET4_jRbjT5_S1F_jjP12ihipStream_tbEUljE_ZNSN_ISO_Lb0ESR_SS_SU_SV_SZ_EES10_S11_S12_S13_S17_S18_S19_S1C_S1D_jS1E_jS1F_S1F_jjS1H_bEUljE0_EEES10_S11_S12_S19_S1D_S1F_T6_T7_T9_mT8_S1H_bDpT10_ENKUlT_T0_E_clISt17integral_constantIbLb1EES1U_IbLb0EEEEDaS1Q_S1R_EUlS1Q_E_NS1_11comp_targetILNS1_3genE3ELNS1_11target_archE908ELNS1_3gpuE7ELNS1_3repE0EEENS1_30default_config_static_selectorELNS0_4arch9wavefront6targetE0EEEvS13_.kd
    .uniform_work_group_size: 1
    .uses_dynamic_stack: false
    .vgpr_count:     0
    .vgpr_spill_count: 0
    .wavefront_size: 32
  - .args:
      - .offset:         0
        .size:           176
        .value_kind:     by_value
    .group_segment_fixed_size: 0
    .kernarg_segment_align: 8
    .kernarg_segment_size: 176
    .language:       OpenCL C
    .language_version:
      - 2
      - 0
    .max_flat_workgroup_size: 256
    .name:           _ZN7rocprim17ROCPRIM_400000_NS6detail17trampoline_kernelINS0_13select_configILj256ELj13ELNS0_17block_load_methodE3ELS4_3ELS4_3ELNS0_20block_scan_algorithmE0ELj4294967295EEENS1_25partition_config_selectorILNS1_17partition_subalgoE4EjNS0_10empty_typeEbEEZZNS1_14partition_implILS8_4ELb0ES6_15HIP_vector_typeIjLj2EENS0_17counting_iteratorIjlEEPS9_SG_NS0_5tupleIJPjSI_NS0_16reverse_iteratorISI_EEEEENSH_IJSG_SG_SG_EEES9_SI_JZNS1_25segmented_radix_sort_implINS0_14default_configELb0EPK6__halfPSP_PKlPlN2at6native12_GLOBAL__N_18offset_tEEE10hipError_tPvRmT1_PNSt15iterator_traitsIS13_E10value_typeET2_T3_PNS14_IS19_E10value_typeET4_jRbjT5_S1F_jjP12ihipStream_tbEUljE_ZNSN_ISO_Lb0ESR_SS_SU_SV_SZ_EES10_S11_S12_S13_S17_S18_S19_S1C_S1D_jS1E_jS1F_S1F_jjS1H_bEUljE0_EEES10_S11_S12_S19_S1D_S1F_T6_T7_T9_mT8_S1H_bDpT10_ENKUlT_T0_E_clISt17integral_constantIbLb1EES1U_IbLb0EEEEDaS1Q_S1R_EUlS1Q_E_NS1_11comp_targetILNS1_3genE2ELNS1_11target_archE906ELNS1_3gpuE6ELNS1_3repE0EEENS1_30default_config_static_selectorELNS0_4arch9wavefront6targetE0EEEvS13_
    .private_segment_fixed_size: 0
    .sgpr_count:     0
    .sgpr_spill_count: 0
    .symbol:         _ZN7rocprim17ROCPRIM_400000_NS6detail17trampoline_kernelINS0_13select_configILj256ELj13ELNS0_17block_load_methodE3ELS4_3ELS4_3ELNS0_20block_scan_algorithmE0ELj4294967295EEENS1_25partition_config_selectorILNS1_17partition_subalgoE4EjNS0_10empty_typeEbEEZZNS1_14partition_implILS8_4ELb0ES6_15HIP_vector_typeIjLj2EENS0_17counting_iteratorIjlEEPS9_SG_NS0_5tupleIJPjSI_NS0_16reverse_iteratorISI_EEEEENSH_IJSG_SG_SG_EEES9_SI_JZNS1_25segmented_radix_sort_implINS0_14default_configELb0EPK6__halfPSP_PKlPlN2at6native12_GLOBAL__N_18offset_tEEE10hipError_tPvRmT1_PNSt15iterator_traitsIS13_E10value_typeET2_T3_PNS14_IS19_E10value_typeET4_jRbjT5_S1F_jjP12ihipStream_tbEUljE_ZNSN_ISO_Lb0ESR_SS_SU_SV_SZ_EES10_S11_S12_S13_S17_S18_S19_S1C_S1D_jS1E_jS1F_S1F_jjS1H_bEUljE0_EEES10_S11_S12_S19_S1D_S1F_T6_T7_T9_mT8_S1H_bDpT10_ENKUlT_T0_E_clISt17integral_constantIbLb1EES1U_IbLb0EEEEDaS1Q_S1R_EUlS1Q_E_NS1_11comp_targetILNS1_3genE2ELNS1_11target_archE906ELNS1_3gpuE6ELNS1_3repE0EEENS1_30default_config_static_selectorELNS0_4arch9wavefront6targetE0EEEvS13_.kd
    .uniform_work_group_size: 1
    .uses_dynamic_stack: false
    .vgpr_count:     0
    .vgpr_spill_count: 0
    .wavefront_size: 32
  - .args:
      - .offset:         0
        .size:           176
        .value_kind:     by_value
    .group_segment_fixed_size: 0
    .kernarg_segment_align: 8
    .kernarg_segment_size: 176
    .language:       OpenCL C
    .language_version:
      - 2
      - 0
    .max_flat_workgroup_size: 256
    .name:           _ZN7rocprim17ROCPRIM_400000_NS6detail17trampoline_kernelINS0_13select_configILj256ELj13ELNS0_17block_load_methodE3ELS4_3ELS4_3ELNS0_20block_scan_algorithmE0ELj4294967295EEENS1_25partition_config_selectorILNS1_17partition_subalgoE4EjNS0_10empty_typeEbEEZZNS1_14partition_implILS8_4ELb0ES6_15HIP_vector_typeIjLj2EENS0_17counting_iteratorIjlEEPS9_SG_NS0_5tupleIJPjSI_NS0_16reverse_iteratorISI_EEEEENSH_IJSG_SG_SG_EEES9_SI_JZNS1_25segmented_radix_sort_implINS0_14default_configELb0EPK6__halfPSP_PKlPlN2at6native12_GLOBAL__N_18offset_tEEE10hipError_tPvRmT1_PNSt15iterator_traitsIS13_E10value_typeET2_T3_PNS14_IS19_E10value_typeET4_jRbjT5_S1F_jjP12ihipStream_tbEUljE_ZNSN_ISO_Lb0ESR_SS_SU_SV_SZ_EES10_S11_S12_S13_S17_S18_S19_S1C_S1D_jS1E_jS1F_S1F_jjS1H_bEUljE0_EEES10_S11_S12_S19_S1D_S1F_T6_T7_T9_mT8_S1H_bDpT10_ENKUlT_T0_E_clISt17integral_constantIbLb1EES1U_IbLb0EEEEDaS1Q_S1R_EUlS1Q_E_NS1_11comp_targetILNS1_3genE10ELNS1_11target_archE1200ELNS1_3gpuE4ELNS1_3repE0EEENS1_30default_config_static_selectorELNS0_4arch9wavefront6targetE0EEEvS13_
    .private_segment_fixed_size: 0
    .sgpr_count:     0
    .sgpr_spill_count: 0
    .symbol:         _ZN7rocprim17ROCPRIM_400000_NS6detail17trampoline_kernelINS0_13select_configILj256ELj13ELNS0_17block_load_methodE3ELS4_3ELS4_3ELNS0_20block_scan_algorithmE0ELj4294967295EEENS1_25partition_config_selectorILNS1_17partition_subalgoE4EjNS0_10empty_typeEbEEZZNS1_14partition_implILS8_4ELb0ES6_15HIP_vector_typeIjLj2EENS0_17counting_iteratorIjlEEPS9_SG_NS0_5tupleIJPjSI_NS0_16reverse_iteratorISI_EEEEENSH_IJSG_SG_SG_EEES9_SI_JZNS1_25segmented_radix_sort_implINS0_14default_configELb0EPK6__halfPSP_PKlPlN2at6native12_GLOBAL__N_18offset_tEEE10hipError_tPvRmT1_PNSt15iterator_traitsIS13_E10value_typeET2_T3_PNS14_IS19_E10value_typeET4_jRbjT5_S1F_jjP12ihipStream_tbEUljE_ZNSN_ISO_Lb0ESR_SS_SU_SV_SZ_EES10_S11_S12_S13_S17_S18_S19_S1C_S1D_jS1E_jS1F_S1F_jjS1H_bEUljE0_EEES10_S11_S12_S19_S1D_S1F_T6_T7_T9_mT8_S1H_bDpT10_ENKUlT_T0_E_clISt17integral_constantIbLb1EES1U_IbLb0EEEEDaS1Q_S1R_EUlS1Q_E_NS1_11comp_targetILNS1_3genE10ELNS1_11target_archE1200ELNS1_3gpuE4ELNS1_3repE0EEENS1_30default_config_static_selectorELNS0_4arch9wavefront6targetE0EEEvS13_.kd
    .uniform_work_group_size: 1
    .uses_dynamic_stack: false
    .vgpr_count:     0
    .vgpr_spill_count: 0
    .wavefront_size: 32
  - .args:
      - .offset:         0
        .size:           176
        .value_kind:     by_value
    .group_segment_fixed_size: 0
    .kernarg_segment_align: 8
    .kernarg_segment_size: 176
    .language:       OpenCL C
    .language_version:
      - 2
      - 0
    .max_flat_workgroup_size: 256
    .name:           _ZN7rocprim17ROCPRIM_400000_NS6detail17trampoline_kernelINS0_13select_configILj256ELj13ELNS0_17block_load_methodE3ELS4_3ELS4_3ELNS0_20block_scan_algorithmE0ELj4294967295EEENS1_25partition_config_selectorILNS1_17partition_subalgoE4EjNS0_10empty_typeEbEEZZNS1_14partition_implILS8_4ELb0ES6_15HIP_vector_typeIjLj2EENS0_17counting_iteratorIjlEEPS9_SG_NS0_5tupleIJPjSI_NS0_16reverse_iteratorISI_EEEEENSH_IJSG_SG_SG_EEES9_SI_JZNS1_25segmented_radix_sort_implINS0_14default_configELb0EPK6__halfPSP_PKlPlN2at6native12_GLOBAL__N_18offset_tEEE10hipError_tPvRmT1_PNSt15iterator_traitsIS13_E10value_typeET2_T3_PNS14_IS19_E10value_typeET4_jRbjT5_S1F_jjP12ihipStream_tbEUljE_ZNSN_ISO_Lb0ESR_SS_SU_SV_SZ_EES10_S11_S12_S13_S17_S18_S19_S1C_S1D_jS1E_jS1F_S1F_jjS1H_bEUljE0_EEES10_S11_S12_S19_S1D_S1F_T6_T7_T9_mT8_S1H_bDpT10_ENKUlT_T0_E_clISt17integral_constantIbLb1EES1U_IbLb0EEEEDaS1Q_S1R_EUlS1Q_E_NS1_11comp_targetILNS1_3genE9ELNS1_11target_archE1100ELNS1_3gpuE3ELNS1_3repE0EEENS1_30default_config_static_selectorELNS0_4arch9wavefront6targetE0EEEvS13_
    .private_segment_fixed_size: 0
    .sgpr_count:     0
    .sgpr_spill_count: 0
    .symbol:         _ZN7rocprim17ROCPRIM_400000_NS6detail17trampoline_kernelINS0_13select_configILj256ELj13ELNS0_17block_load_methodE3ELS4_3ELS4_3ELNS0_20block_scan_algorithmE0ELj4294967295EEENS1_25partition_config_selectorILNS1_17partition_subalgoE4EjNS0_10empty_typeEbEEZZNS1_14partition_implILS8_4ELb0ES6_15HIP_vector_typeIjLj2EENS0_17counting_iteratorIjlEEPS9_SG_NS0_5tupleIJPjSI_NS0_16reverse_iteratorISI_EEEEENSH_IJSG_SG_SG_EEES9_SI_JZNS1_25segmented_radix_sort_implINS0_14default_configELb0EPK6__halfPSP_PKlPlN2at6native12_GLOBAL__N_18offset_tEEE10hipError_tPvRmT1_PNSt15iterator_traitsIS13_E10value_typeET2_T3_PNS14_IS19_E10value_typeET4_jRbjT5_S1F_jjP12ihipStream_tbEUljE_ZNSN_ISO_Lb0ESR_SS_SU_SV_SZ_EES10_S11_S12_S13_S17_S18_S19_S1C_S1D_jS1E_jS1F_S1F_jjS1H_bEUljE0_EEES10_S11_S12_S19_S1D_S1F_T6_T7_T9_mT8_S1H_bDpT10_ENKUlT_T0_E_clISt17integral_constantIbLb1EES1U_IbLb0EEEEDaS1Q_S1R_EUlS1Q_E_NS1_11comp_targetILNS1_3genE9ELNS1_11target_archE1100ELNS1_3gpuE3ELNS1_3repE0EEENS1_30default_config_static_selectorELNS0_4arch9wavefront6targetE0EEEvS13_.kd
    .uniform_work_group_size: 1
    .uses_dynamic_stack: false
    .vgpr_count:     0
    .vgpr_spill_count: 0
    .wavefront_size: 32
  - .args:
      - .offset:         0
        .size:           176
        .value_kind:     by_value
    .group_segment_fixed_size: 0
    .kernarg_segment_align: 8
    .kernarg_segment_size: 176
    .language:       OpenCL C
    .language_version:
      - 2
      - 0
    .max_flat_workgroup_size: 256
    .name:           _ZN7rocprim17ROCPRIM_400000_NS6detail17trampoline_kernelINS0_13select_configILj256ELj13ELNS0_17block_load_methodE3ELS4_3ELS4_3ELNS0_20block_scan_algorithmE0ELj4294967295EEENS1_25partition_config_selectorILNS1_17partition_subalgoE4EjNS0_10empty_typeEbEEZZNS1_14partition_implILS8_4ELb0ES6_15HIP_vector_typeIjLj2EENS0_17counting_iteratorIjlEEPS9_SG_NS0_5tupleIJPjSI_NS0_16reverse_iteratorISI_EEEEENSH_IJSG_SG_SG_EEES9_SI_JZNS1_25segmented_radix_sort_implINS0_14default_configELb0EPK6__halfPSP_PKlPlN2at6native12_GLOBAL__N_18offset_tEEE10hipError_tPvRmT1_PNSt15iterator_traitsIS13_E10value_typeET2_T3_PNS14_IS19_E10value_typeET4_jRbjT5_S1F_jjP12ihipStream_tbEUljE_ZNSN_ISO_Lb0ESR_SS_SU_SV_SZ_EES10_S11_S12_S13_S17_S18_S19_S1C_S1D_jS1E_jS1F_S1F_jjS1H_bEUljE0_EEES10_S11_S12_S19_S1D_S1F_T6_T7_T9_mT8_S1H_bDpT10_ENKUlT_T0_E_clISt17integral_constantIbLb1EES1U_IbLb0EEEEDaS1Q_S1R_EUlS1Q_E_NS1_11comp_targetILNS1_3genE8ELNS1_11target_archE1030ELNS1_3gpuE2ELNS1_3repE0EEENS1_30default_config_static_selectorELNS0_4arch9wavefront6targetE0EEEvS13_
    .private_segment_fixed_size: 0
    .sgpr_count:     0
    .sgpr_spill_count: 0
    .symbol:         _ZN7rocprim17ROCPRIM_400000_NS6detail17trampoline_kernelINS0_13select_configILj256ELj13ELNS0_17block_load_methodE3ELS4_3ELS4_3ELNS0_20block_scan_algorithmE0ELj4294967295EEENS1_25partition_config_selectorILNS1_17partition_subalgoE4EjNS0_10empty_typeEbEEZZNS1_14partition_implILS8_4ELb0ES6_15HIP_vector_typeIjLj2EENS0_17counting_iteratorIjlEEPS9_SG_NS0_5tupleIJPjSI_NS0_16reverse_iteratorISI_EEEEENSH_IJSG_SG_SG_EEES9_SI_JZNS1_25segmented_radix_sort_implINS0_14default_configELb0EPK6__halfPSP_PKlPlN2at6native12_GLOBAL__N_18offset_tEEE10hipError_tPvRmT1_PNSt15iterator_traitsIS13_E10value_typeET2_T3_PNS14_IS19_E10value_typeET4_jRbjT5_S1F_jjP12ihipStream_tbEUljE_ZNSN_ISO_Lb0ESR_SS_SU_SV_SZ_EES10_S11_S12_S13_S17_S18_S19_S1C_S1D_jS1E_jS1F_S1F_jjS1H_bEUljE0_EEES10_S11_S12_S19_S1D_S1F_T6_T7_T9_mT8_S1H_bDpT10_ENKUlT_T0_E_clISt17integral_constantIbLb1EES1U_IbLb0EEEEDaS1Q_S1R_EUlS1Q_E_NS1_11comp_targetILNS1_3genE8ELNS1_11target_archE1030ELNS1_3gpuE2ELNS1_3repE0EEENS1_30default_config_static_selectorELNS0_4arch9wavefront6targetE0EEEvS13_.kd
    .uniform_work_group_size: 1
    .uses_dynamic_stack: false
    .vgpr_count:     0
    .vgpr_spill_count: 0
    .wavefront_size: 32
  - .args:
      - .offset:         0
        .size:           184
        .value_kind:     by_value
    .group_segment_fixed_size: 13328
    .kernarg_segment_align: 8
    .kernarg_segment_size: 184
    .language:       OpenCL C
    .language_version:
      - 2
      - 0
    .max_flat_workgroup_size: 256
    .name:           _ZN7rocprim17ROCPRIM_400000_NS6detail17trampoline_kernelINS0_13select_configILj256ELj13ELNS0_17block_load_methodE3ELS4_3ELS4_3ELNS0_20block_scan_algorithmE0ELj4294967295EEENS1_25partition_config_selectorILNS1_17partition_subalgoE4EjNS0_10empty_typeEbEEZZNS1_14partition_implILS8_4ELb0ES6_15HIP_vector_typeIjLj2EENS0_17counting_iteratorIjlEEPS9_SG_NS0_5tupleIJPjSI_NS0_16reverse_iteratorISI_EEEEENSH_IJSG_SG_SG_EEES9_SI_JZNS1_25segmented_radix_sort_implINS0_14default_configELb0EPK6__halfPSP_PKlPlN2at6native12_GLOBAL__N_18offset_tEEE10hipError_tPvRmT1_PNSt15iterator_traitsIS13_E10value_typeET2_T3_PNS14_IS19_E10value_typeET4_jRbjT5_S1F_jjP12ihipStream_tbEUljE_ZNSN_ISO_Lb0ESR_SS_SU_SV_SZ_EES10_S11_S12_S13_S17_S18_S19_S1C_S1D_jS1E_jS1F_S1F_jjS1H_bEUljE0_EEES10_S11_S12_S19_S1D_S1F_T6_T7_T9_mT8_S1H_bDpT10_ENKUlT_T0_E_clISt17integral_constantIbLb0EES1U_IbLb1EEEEDaS1Q_S1R_EUlS1Q_E_NS1_11comp_targetILNS1_3genE0ELNS1_11target_archE4294967295ELNS1_3gpuE0ELNS1_3repE0EEENS1_30default_config_static_selectorELNS0_4arch9wavefront6targetE0EEEvS13_
    .private_segment_fixed_size: 0
    .sgpr_count:     57
    .sgpr_spill_count: 0
    .symbol:         _ZN7rocprim17ROCPRIM_400000_NS6detail17trampoline_kernelINS0_13select_configILj256ELj13ELNS0_17block_load_methodE3ELS4_3ELS4_3ELNS0_20block_scan_algorithmE0ELj4294967295EEENS1_25partition_config_selectorILNS1_17partition_subalgoE4EjNS0_10empty_typeEbEEZZNS1_14partition_implILS8_4ELb0ES6_15HIP_vector_typeIjLj2EENS0_17counting_iteratorIjlEEPS9_SG_NS0_5tupleIJPjSI_NS0_16reverse_iteratorISI_EEEEENSH_IJSG_SG_SG_EEES9_SI_JZNS1_25segmented_radix_sort_implINS0_14default_configELb0EPK6__halfPSP_PKlPlN2at6native12_GLOBAL__N_18offset_tEEE10hipError_tPvRmT1_PNSt15iterator_traitsIS13_E10value_typeET2_T3_PNS14_IS19_E10value_typeET4_jRbjT5_S1F_jjP12ihipStream_tbEUljE_ZNSN_ISO_Lb0ESR_SS_SU_SV_SZ_EES10_S11_S12_S13_S17_S18_S19_S1C_S1D_jS1E_jS1F_S1F_jjS1H_bEUljE0_EEES10_S11_S12_S19_S1D_S1F_T6_T7_T9_mT8_S1H_bDpT10_ENKUlT_T0_E_clISt17integral_constantIbLb0EES1U_IbLb1EEEEDaS1Q_S1R_EUlS1Q_E_NS1_11comp_targetILNS1_3genE0ELNS1_11target_archE4294967295ELNS1_3gpuE0ELNS1_3repE0EEENS1_30default_config_static_selectorELNS0_4arch9wavefront6targetE0EEEvS13_.kd
    .uniform_work_group_size: 1
    .uses_dynamic_stack: false
    .vgpr_count:     86
    .vgpr_spill_count: 0
    .wavefront_size: 32
  - .args:
      - .offset:         0
        .size:           184
        .value_kind:     by_value
    .group_segment_fixed_size: 0
    .kernarg_segment_align: 8
    .kernarg_segment_size: 184
    .language:       OpenCL C
    .language_version:
      - 2
      - 0
    .max_flat_workgroup_size: 256
    .name:           _ZN7rocprim17ROCPRIM_400000_NS6detail17trampoline_kernelINS0_13select_configILj256ELj13ELNS0_17block_load_methodE3ELS4_3ELS4_3ELNS0_20block_scan_algorithmE0ELj4294967295EEENS1_25partition_config_selectorILNS1_17partition_subalgoE4EjNS0_10empty_typeEbEEZZNS1_14partition_implILS8_4ELb0ES6_15HIP_vector_typeIjLj2EENS0_17counting_iteratorIjlEEPS9_SG_NS0_5tupleIJPjSI_NS0_16reverse_iteratorISI_EEEEENSH_IJSG_SG_SG_EEES9_SI_JZNS1_25segmented_radix_sort_implINS0_14default_configELb0EPK6__halfPSP_PKlPlN2at6native12_GLOBAL__N_18offset_tEEE10hipError_tPvRmT1_PNSt15iterator_traitsIS13_E10value_typeET2_T3_PNS14_IS19_E10value_typeET4_jRbjT5_S1F_jjP12ihipStream_tbEUljE_ZNSN_ISO_Lb0ESR_SS_SU_SV_SZ_EES10_S11_S12_S13_S17_S18_S19_S1C_S1D_jS1E_jS1F_S1F_jjS1H_bEUljE0_EEES10_S11_S12_S19_S1D_S1F_T6_T7_T9_mT8_S1H_bDpT10_ENKUlT_T0_E_clISt17integral_constantIbLb0EES1U_IbLb1EEEEDaS1Q_S1R_EUlS1Q_E_NS1_11comp_targetILNS1_3genE5ELNS1_11target_archE942ELNS1_3gpuE9ELNS1_3repE0EEENS1_30default_config_static_selectorELNS0_4arch9wavefront6targetE0EEEvS13_
    .private_segment_fixed_size: 0
    .sgpr_count:     0
    .sgpr_spill_count: 0
    .symbol:         _ZN7rocprim17ROCPRIM_400000_NS6detail17trampoline_kernelINS0_13select_configILj256ELj13ELNS0_17block_load_methodE3ELS4_3ELS4_3ELNS0_20block_scan_algorithmE0ELj4294967295EEENS1_25partition_config_selectorILNS1_17partition_subalgoE4EjNS0_10empty_typeEbEEZZNS1_14partition_implILS8_4ELb0ES6_15HIP_vector_typeIjLj2EENS0_17counting_iteratorIjlEEPS9_SG_NS0_5tupleIJPjSI_NS0_16reverse_iteratorISI_EEEEENSH_IJSG_SG_SG_EEES9_SI_JZNS1_25segmented_radix_sort_implINS0_14default_configELb0EPK6__halfPSP_PKlPlN2at6native12_GLOBAL__N_18offset_tEEE10hipError_tPvRmT1_PNSt15iterator_traitsIS13_E10value_typeET2_T3_PNS14_IS19_E10value_typeET4_jRbjT5_S1F_jjP12ihipStream_tbEUljE_ZNSN_ISO_Lb0ESR_SS_SU_SV_SZ_EES10_S11_S12_S13_S17_S18_S19_S1C_S1D_jS1E_jS1F_S1F_jjS1H_bEUljE0_EEES10_S11_S12_S19_S1D_S1F_T6_T7_T9_mT8_S1H_bDpT10_ENKUlT_T0_E_clISt17integral_constantIbLb0EES1U_IbLb1EEEEDaS1Q_S1R_EUlS1Q_E_NS1_11comp_targetILNS1_3genE5ELNS1_11target_archE942ELNS1_3gpuE9ELNS1_3repE0EEENS1_30default_config_static_selectorELNS0_4arch9wavefront6targetE0EEEvS13_.kd
    .uniform_work_group_size: 1
    .uses_dynamic_stack: false
    .vgpr_count:     0
    .vgpr_spill_count: 0
    .wavefront_size: 32
  - .args:
      - .offset:         0
        .size:           184
        .value_kind:     by_value
    .group_segment_fixed_size: 0
    .kernarg_segment_align: 8
    .kernarg_segment_size: 184
    .language:       OpenCL C
    .language_version:
      - 2
      - 0
    .max_flat_workgroup_size: 256
    .name:           _ZN7rocprim17ROCPRIM_400000_NS6detail17trampoline_kernelINS0_13select_configILj256ELj13ELNS0_17block_load_methodE3ELS4_3ELS4_3ELNS0_20block_scan_algorithmE0ELj4294967295EEENS1_25partition_config_selectorILNS1_17partition_subalgoE4EjNS0_10empty_typeEbEEZZNS1_14partition_implILS8_4ELb0ES6_15HIP_vector_typeIjLj2EENS0_17counting_iteratorIjlEEPS9_SG_NS0_5tupleIJPjSI_NS0_16reverse_iteratorISI_EEEEENSH_IJSG_SG_SG_EEES9_SI_JZNS1_25segmented_radix_sort_implINS0_14default_configELb0EPK6__halfPSP_PKlPlN2at6native12_GLOBAL__N_18offset_tEEE10hipError_tPvRmT1_PNSt15iterator_traitsIS13_E10value_typeET2_T3_PNS14_IS19_E10value_typeET4_jRbjT5_S1F_jjP12ihipStream_tbEUljE_ZNSN_ISO_Lb0ESR_SS_SU_SV_SZ_EES10_S11_S12_S13_S17_S18_S19_S1C_S1D_jS1E_jS1F_S1F_jjS1H_bEUljE0_EEES10_S11_S12_S19_S1D_S1F_T6_T7_T9_mT8_S1H_bDpT10_ENKUlT_T0_E_clISt17integral_constantIbLb0EES1U_IbLb1EEEEDaS1Q_S1R_EUlS1Q_E_NS1_11comp_targetILNS1_3genE4ELNS1_11target_archE910ELNS1_3gpuE8ELNS1_3repE0EEENS1_30default_config_static_selectorELNS0_4arch9wavefront6targetE0EEEvS13_
    .private_segment_fixed_size: 0
    .sgpr_count:     0
    .sgpr_spill_count: 0
    .symbol:         _ZN7rocprim17ROCPRIM_400000_NS6detail17trampoline_kernelINS0_13select_configILj256ELj13ELNS0_17block_load_methodE3ELS4_3ELS4_3ELNS0_20block_scan_algorithmE0ELj4294967295EEENS1_25partition_config_selectorILNS1_17partition_subalgoE4EjNS0_10empty_typeEbEEZZNS1_14partition_implILS8_4ELb0ES6_15HIP_vector_typeIjLj2EENS0_17counting_iteratorIjlEEPS9_SG_NS0_5tupleIJPjSI_NS0_16reverse_iteratorISI_EEEEENSH_IJSG_SG_SG_EEES9_SI_JZNS1_25segmented_radix_sort_implINS0_14default_configELb0EPK6__halfPSP_PKlPlN2at6native12_GLOBAL__N_18offset_tEEE10hipError_tPvRmT1_PNSt15iterator_traitsIS13_E10value_typeET2_T3_PNS14_IS19_E10value_typeET4_jRbjT5_S1F_jjP12ihipStream_tbEUljE_ZNSN_ISO_Lb0ESR_SS_SU_SV_SZ_EES10_S11_S12_S13_S17_S18_S19_S1C_S1D_jS1E_jS1F_S1F_jjS1H_bEUljE0_EEES10_S11_S12_S19_S1D_S1F_T6_T7_T9_mT8_S1H_bDpT10_ENKUlT_T0_E_clISt17integral_constantIbLb0EES1U_IbLb1EEEEDaS1Q_S1R_EUlS1Q_E_NS1_11comp_targetILNS1_3genE4ELNS1_11target_archE910ELNS1_3gpuE8ELNS1_3repE0EEENS1_30default_config_static_selectorELNS0_4arch9wavefront6targetE0EEEvS13_.kd
    .uniform_work_group_size: 1
    .uses_dynamic_stack: false
    .vgpr_count:     0
    .vgpr_spill_count: 0
    .wavefront_size: 32
  - .args:
      - .offset:         0
        .size:           184
        .value_kind:     by_value
    .group_segment_fixed_size: 0
    .kernarg_segment_align: 8
    .kernarg_segment_size: 184
    .language:       OpenCL C
    .language_version:
      - 2
      - 0
    .max_flat_workgroup_size: 256
    .name:           _ZN7rocprim17ROCPRIM_400000_NS6detail17trampoline_kernelINS0_13select_configILj256ELj13ELNS0_17block_load_methodE3ELS4_3ELS4_3ELNS0_20block_scan_algorithmE0ELj4294967295EEENS1_25partition_config_selectorILNS1_17partition_subalgoE4EjNS0_10empty_typeEbEEZZNS1_14partition_implILS8_4ELb0ES6_15HIP_vector_typeIjLj2EENS0_17counting_iteratorIjlEEPS9_SG_NS0_5tupleIJPjSI_NS0_16reverse_iteratorISI_EEEEENSH_IJSG_SG_SG_EEES9_SI_JZNS1_25segmented_radix_sort_implINS0_14default_configELb0EPK6__halfPSP_PKlPlN2at6native12_GLOBAL__N_18offset_tEEE10hipError_tPvRmT1_PNSt15iterator_traitsIS13_E10value_typeET2_T3_PNS14_IS19_E10value_typeET4_jRbjT5_S1F_jjP12ihipStream_tbEUljE_ZNSN_ISO_Lb0ESR_SS_SU_SV_SZ_EES10_S11_S12_S13_S17_S18_S19_S1C_S1D_jS1E_jS1F_S1F_jjS1H_bEUljE0_EEES10_S11_S12_S19_S1D_S1F_T6_T7_T9_mT8_S1H_bDpT10_ENKUlT_T0_E_clISt17integral_constantIbLb0EES1U_IbLb1EEEEDaS1Q_S1R_EUlS1Q_E_NS1_11comp_targetILNS1_3genE3ELNS1_11target_archE908ELNS1_3gpuE7ELNS1_3repE0EEENS1_30default_config_static_selectorELNS0_4arch9wavefront6targetE0EEEvS13_
    .private_segment_fixed_size: 0
    .sgpr_count:     0
    .sgpr_spill_count: 0
    .symbol:         _ZN7rocprim17ROCPRIM_400000_NS6detail17trampoline_kernelINS0_13select_configILj256ELj13ELNS0_17block_load_methodE3ELS4_3ELS4_3ELNS0_20block_scan_algorithmE0ELj4294967295EEENS1_25partition_config_selectorILNS1_17partition_subalgoE4EjNS0_10empty_typeEbEEZZNS1_14partition_implILS8_4ELb0ES6_15HIP_vector_typeIjLj2EENS0_17counting_iteratorIjlEEPS9_SG_NS0_5tupleIJPjSI_NS0_16reverse_iteratorISI_EEEEENSH_IJSG_SG_SG_EEES9_SI_JZNS1_25segmented_radix_sort_implINS0_14default_configELb0EPK6__halfPSP_PKlPlN2at6native12_GLOBAL__N_18offset_tEEE10hipError_tPvRmT1_PNSt15iterator_traitsIS13_E10value_typeET2_T3_PNS14_IS19_E10value_typeET4_jRbjT5_S1F_jjP12ihipStream_tbEUljE_ZNSN_ISO_Lb0ESR_SS_SU_SV_SZ_EES10_S11_S12_S13_S17_S18_S19_S1C_S1D_jS1E_jS1F_S1F_jjS1H_bEUljE0_EEES10_S11_S12_S19_S1D_S1F_T6_T7_T9_mT8_S1H_bDpT10_ENKUlT_T0_E_clISt17integral_constantIbLb0EES1U_IbLb1EEEEDaS1Q_S1R_EUlS1Q_E_NS1_11comp_targetILNS1_3genE3ELNS1_11target_archE908ELNS1_3gpuE7ELNS1_3repE0EEENS1_30default_config_static_selectorELNS0_4arch9wavefront6targetE0EEEvS13_.kd
    .uniform_work_group_size: 1
    .uses_dynamic_stack: false
    .vgpr_count:     0
    .vgpr_spill_count: 0
    .wavefront_size: 32
  - .args:
      - .offset:         0
        .size:           184
        .value_kind:     by_value
    .group_segment_fixed_size: 0
    .kernarg_segment_align: 8
    .kernarg_segment_size: 184
    .language:       OpenCL C
    .language_version:
      - 2
      - 0
    .max_flat_workgroup_size: 256
    .name:           _ZN7rocprim17ROCPRIM_400000_NS6detail17trampoline_kernelINS0_13select_configILj256ELj13ELNS0_17block_load_methodE3ELS4_3ELS4_3ELNS0_20block_scan_algorithmE0ELj4294967295EEENS1_25partition_config_selectorILNS1_17partition_subalgoE4EjNS0_10empty_typeEbEEZZNS1_14partition_implILS8_4ELb0ES6_15HIP_vector_typeIjLj2EENS0_17counting_iteratorIjlEEPS9_SG_NS0_5tupleIJPjSI_NS0_16reverse_iteratorISI_EEEEENSH_IJSG_SG_SG_EEES9_SI_JZNS1_25segmented_radix_sort_implINS0_14default_configELb0EPK6__halfPSP_PKlPlN2at6native12_GLOBAL__N_18offset_tEEE10hipError_tPvRmT1_PNSt15iterator_traitsIS13_E10value_typeET2_T3_PNS14_IS19_E10value_typeET4_jRbjT5_S1F_jjP12ihipStream_tbEUljE_ZNSN_ISO_Lb0ESR_SS_SU_SV_SZ_EES10_S11_S12_S13_S17_S18_S19_S1C_S1D_jS1E_jS1F_S1F_jjS1H_bEUljE0_EEES10_S11_S12_S19_S1D_S1F_T6_T7_T9_mT8_S1H_bDpT10_ENKUlT_T0_E_clISt17integral_constantIbLb0EES1U_IbLb1EEEEDaS1Q_S1R_EUlS1Q_E_NS1_11comp_targetILNS1_3genE2ELNS1_11target_archE906ELNS1_3gpuE6ELNS1_3repE0EEENS1_30default_config_static_selectorELNS0_4arch9wavefront6targetE0EEEvS13_
    .private_segment_fixed_size: 0
    .sgpr_count:     0
    .sgpr_spill_count: 0
    .symbol:         _ZN7rocprim17ROCPRIM_400000_NS6detail17trampoline_kernelINS0_13select_configILj256ELj13ELNS0_17block_load_methodE3ELS4_3ELS4_3ELNS0_20block_scan_algorithmE0ELj4294967295EEENS1_25partition_config_selectorILNS1_17partition_subalgoE4EjNS0_10empty_typeEbEEZZNS1_14partition_implILS8_4ELb0ES6_15HIP_vector_typeIjLj2EENS0_17counting_iteratorIjlEEPS9_SG_NS0_5tupleIJPjSI_NS0_16reverse_iteratorISI_EEEEENSH_IJSG_SG_SG_EEES9_SI_JZNS1_25segmented_radix_sort_implINS0_14default_configELb0EPK6__halfPSP_PKlPlN2at6native12_GLOBAL__N_18offset_tEEE10hipError_tPvRmT1_PNSt15iterator_traitsIS13_E10value_typeET2_T3_PNS14_IS19_E10value_typeET4_jRbjT5_S1F_jjP12ihipStream_tbEUljE_ZNSN_ISO_Lb0ESR_SS_SU_SV_SZ_EES10_S11_S12_S13_S17_S18_S19_S1C_S1D_jS1E_jS1F_S1F_jjS1H_bEUljE0_EEES10_S11_S12_S19_S1D_S1F_T6_T7_T9_mT8_S1H_bDpT10_ENKUlT_T0_E_clISt17integral_constantIbLb0EES1U_IbLb1EEEEDaS1Q_S1R_EUlS1Q_E_NS1_11comp_targetILNS1_3genE2ELNS1_11target_archE906ELNS1_3gpuE6ELNS1_3repE0EEENS1_30default_config_static_selectorELNS0_4arch9wavefront6targetE0EEEvS13_.kd
    .uniform_work_group_size: 1
    .uses_dynamic_stack: false
    .vgpr_count:     0
    .vgpr_spill_count: 0
    .wavefront_size: 32
  - .args:
      - .offset:         0
        .size:           184
        .value_kind:     by_value
    .group_segment_fixed_size: 0
    .kernarg_segment_align: 8
    .kernarg_segment_size: 184
    .language:       OpenCL C
    .language_version:
      - 2
      - 0
    .max_flat_workgroup_size: 256
    .name:           _ZN7rocprim17ROCPRIM_400000_NS6detail17trampoline_kernelINS0_13select_configILj256ELj13ELNS0_17block_load_methodE3ELS4_3ELS4_3ELNS0_20block_scan_algorithmE0ELj4294967295EEENS1_25partition_config_selectorILNS1_17partition_subalgoE4EjNS0_10empty_typeEbEEZZNS1_14partition_implILS8_4ELb0ES6_15HIP_vector_typeIjLj2EENS0_17counting_iteratorIjlEEPS9_SG_NS0_5tupleIJPjSI_NS0_16reverse_iteratorISI_EEEEENSH_IJSG_SG_SG_EEES9_SI_JZNS1_25segmented_radix_sort_implINS0_14default_configELb0EPK6__halfPSP_PKlPlN2at6native12_GLOBAL__N_18offset_tEEE10hipError_tPvRmT1_PNSt15iterator_traitsIS13_E10value_typeET2_T3_PNS14_IS19_E10value_typeET4_jRbjT5_S1F_jjP12ihipStream_tbEUljE_ZNSN_ISO_Lb0ESR_SS_SU_SV_SZ_EES10_S11_S12_S13_S17_S18_S19_S1C_S1D_jS1E_jS1F_S1F_jjS1H_bEUljE0_EEES10_S11_S12_S19_S1D_S1F_T6_T7_T9_mT8_S1H_bDpT10_ENKUlT_T0_E_clISt17integral_constantIbLb0EES1U_IbLb1EEEEDaS1Q_S1R_EUlS1Q_E_NS1_11comp_targetILNS1_3genE10ELNS1_11target_archE1200ELNS1_3gpuE4ELNS1_3repE0EEENS1_30default_config_static_selectorELNS0_4arch9wavefront6targetE0EEEvS13_
    .private_segment_fixed_size: 0
    .sgpr_count:     0
    .sgpr_spill_count: 0
    .symbol:         _ZN7rocprim17ROCPRIM_400000_NS6detail17trampoline_kernelINS0_13select_configILj256ELj13ELNS0_17block_load_methodE3ELS4_3ELS4_3ELNS0_20block_scan_algorithmE0ELj4294967295EEENS1_25partition_config_selectorILNS1_17partition_subalgoE4EjNS0_10empty_typeEbEEZZNS1_14partition_implILS8_4ELb0ES6_15HIP_vector_typeIjLj2EENS0_17counting_iteratorIjlEEPS9_SG_NS0_5tupleIJPjSI_NS0_16reverse_iteratorISI_EEEEENSH_IJSG_SG_SG_EEES9_SI_JZNS1_25segmented_radix_sort_implINS0_14default_configELb0EPK6__halfPSP_PKlPlN2at6native12_GLOBAL__N_18offset_tEEE10hipError_tPvRmT1_PNSt15iterator_traitsIS13_E10value_typeET2_T3_PNS14_IS19_E10value_typeET4_jRbjT5_S1F_jjP12ihipStream_tbEUljE_ZNSN_ISO_Lb0ESR_SS_SU_SV_SZ_EES10_S11_S12_S13_S17_S18_S19_S1C_S1D_jS1E_jS1F_S1F_jjS1H_bEUljE0_EEES10_S11_S12_S19_S1D_S1F_T6_T7_T9_mT8_S1H_bDpT10_ENKUlT_T0_E_clISt17integral_constantIbLb0EES1U_IbLb1EEEEDaS1Q_S1R_EUlS1Q_E_NS1_11comp_targetILNS1_3genE10ELNS1_11target_archE1200ELNS1_3gpuE4ELNS1_3repE0EEENS1_30default_config_static_selectorELNS0_4arch9wavefront6targetE0EEEvS13_.kd
    .uniform_work_group_size: 1
    .uses_dynamic_stack: false
    .vgpr_count:     0
    .vgpr_spill_count: 0
    .wavefront_size: 32
  - .args:
      - .offset:         0
        .size:           184
        .value_kind:     by_value
    .group_segment_fixed_size: 0
    .kernarg_segment_align: 8
    .kernarg_segment_size: 184
    .language:       OpenCL C
    .language_version:
      - 2
      - 0
    .max_flat_workgroup_size: 256
    .name:           _ZN7rocprim17ROCPRIM_400000_NS6detail17trampoline_kernelINS0_13select_configILj256ELj13ELNS0_17block_load_methodE3ELS4_3ELS4_3ELNS0_20block_scan_algorithmE0ELj4294967295EEENS1_25partition_config_selectorILNS1_17partition_subalgoE4EjNS0_10empty_typeEbEEZZNS1_14partition_implILS8_4ELb0ES6_15HIP_vector_typeIjLj2EENS0_17counting_iteratorIjlEEPS9_SG_NS0_5tupleIJPjSI_NS0_16reverse_iteratorISI_EEEEENSH_IJSG_SG_SG_EEES9_SI_JZNS1_25segmented_radix_sort_implINS0_14default_configELb0EPK6__halfPSP_PKlPlN2at6native12_GLOBAL__N_18offset_tEEE10hipError_tPvRmT1_PNSt15iterator_traitsIS13_E10value_typeET2_T3_PNS14_IS19_E10value_typeET4_jRbjT5_S1F_jjP12ihipStream_tbEUljE_ZNSN_ISO_Lb0ESR_SS_SU_SV_SZ_EES10_S11_S12_S13_S17_S18_S19_S1C_S1D_jS1E_jS1F_S1F_jjS1H_bEUljE0_EEES10_S11_S12_S19_S1D_S1F_T6_T7_T9_mT8_S1H_bDpT10_ENKUlT_T0_E_clISt17integral_constantIbLb0EES1U_IbLb1EEEEDaS1Q_S1R_EUlS1Q_E_NS1_11comp_targetILNS1_3genE9ELNS1_11target_archE1100ELNS1_3gpuE3ELNS1_3repE0EEENS1_30default_config_static_selectorELNS0_4arch9wavefront6targetE0EEEvS13_
    .private_segment_fixed_size: 0
    .sgpr_count:     0
    .sgpr_spill_count: 0
    .symbol:         _ZN7rocprim17ROCPRIM_400000_NS6detail17trampoline_kernelINS0_13select_configILj256ELj13ELNS0_17block_load_methodE3ELS4_3ELS4_3ELNS0_20block_scan_algorithmE0ELj4294967295EEENS1_25partition_config_selectorILNS1_17partition_subalgoE4EjNS0_10empty_typeEbEEZZNS1_14partition_implILS8_4ELb0ES6_15HIP_vector_typeIjLj2EENS0_17counting_iteratorIjlEEPS9_SG_NS0_5tupleIJPjSI_NS0_16reverse_iteratorISI_EEEEENSH_IJSG_SG_SG_EEES9_SI_JZNS1_25segmented_radix_sort_implINS0_14default_configELb0EPK6__halfPSP_PKlPlN2at6native12_GLOBAL__N_18offset_tEEE10hipError_tPvRmT1_PNSt15iterator_traitsIS13_E10value_typeET2_T3_PNS14_IS19_E10value_typeET4_jRbjT5_S1F_jjP12ihipStream_tbEUljE_ZNSN_ISO_Lb0ESR_SS_SU_SV_SZ_EES10_S11_S12_S13_S17_S18_S19_S1C_S1D_jS1E_jS1F_S1F_jjS1H_bEUljE0_EEES10_S11_S12_S19_S1D_S1F_T6_T7_T9_mT8_S1H_bDpT10_ENKUlT_T0_E_clISt17integral_constantIbLb0EES1U_IbLb1EEEEDaS1Q_S1R_EUlS1Q_E_NS1_11comp_targetILNS1_3genE9ELNS1_11target_archE1100ELNS1_3gpuE3ELNS1_3repE0EEENS1_30default_config_static_selectorELNS0_4arch9wavefront6targetE0EEEvS13_.kd
    .uniform_work_group_size: 1
    .uses_dynamic_stack: false
    .vgpr_count:     0
    .vgpr_spill_count: 0
    .wavefront_size: 32
  - .args:
      - .offset:         0
        .size:           184
        .value_kind:     by_value
    .group_segment_fixed_size: 0
    .kernarg_segment_align: 8
    .kernarg_segment_size: 184
    .language:       OpenCL C
    .language_version:
      - 2
      - 0
    .max_flat_workgroup_size: 256
    .name:           _ZN7rocprim17ROCPRIM_400000_NS6detail17trampoline_kernelINS0_13select_configILj256ELj13ELNS0_17block_load_methodE3ELS4_3ELS4_3ELNS0_20block_scan_algorithmE0ELj4294967295EEENS1_25partition_config_selectorILNS1_17partition_subalgoE4EjNS0_10empty_typeEbEEZZNS1_14partition_implILS8_4ELb0ES6_15HIP_vector_typeIjLj2EENS0_17counting_iteratorIjlEEPS9_SG_NS0_5tupleIJPjSI_NS0_16reverse_iteratorISI_EEEEENSH_IJSG_SG_SG_EEES9_SI_JZNS1_25segmented_radix_sort_implINS0_14default_configELb0EPK6__halfPSP_PKlPlN2at6native12_GLOBAL__N_18offset_tEEE10hipError_tPvRmT1_PNSt15iterator_traitsIS13_E10value_typeET2_T3_PNS14_IS19_E10value_typeET4_jRbjT5_S1F_jjP12ihipStream_tbEUljE_ZNSN_ISO_Lb0ESR_SS_SU_SV_SZ_EES10_S11_S12_S13_S17_S18_S19_S1C_S1D_jS1E_jS1F_S1F_jjS1H_bEUljE0_EEES10_S11_S12_S19_S1D_S1F_T6_T7_T9_mT8_S1H_bDpT10_ENKUlT_T0_E_clISt17integral_constantIbLb0EES1U_IbLb1EEEEDaS1Q_S1R_EUlS1Q_E_NS1_11comp_targetILNS1_3genE8ELNS1_11target_archE1030ELNS1_3gpuE2ELNS1_3repE0EEENS1_30default_config_static_selectorELNS0_4arch9wavefront6targetE0EEEvS13_
    .private_segment_fixed_size: 0
    .sgpr_count:     0
    .sgpr_spill_count: 0
    .symbol:         _ZN7rocprim17ROCPRIM_400000_NS6detail17trampoline_kernelINS0_13select_configILj256ELj13ELNS0_17block_load_methodE3ELS4_3ELS4_3ELNS0_20block_scan_algorithmE0ELj4294967295EEENS1_25partition_config_selectorILNS1_17partition_subalgoE4EjNS0_10empty_typeEbEEZZNS1_14partition_implILS8_4ELb0ES6_15HIP_vector_typeIjLj2EENS0_17counting_iteratorIjlEEPS9_SG_NS0_5tupleIJPjSI_NS0_16reverse_iteratorISI_EEEEENSH_IJSG_SG_SG_EEES9_SI_JZNS1_25segmented_radix_sort_implINS0_14default_configELb0EPK6__halfPSP_PKlPlN2at6native12_GLOBAL__N_18offset_tEEE10hipError_tPvRmT1_PNSt15iterator_traitsIS13_E10value_typeET2_T3_PNS14_IS19_E10value_typeET4_jRbjT5_S1F_jjP12ihipStream_tbEUljE_ZNSN_ISO_Lb0ESR_SS_SU_SV_SZ_EES10_S11_S12_S13_S17_S18_S19_S1C_S1D_jS1E_jS1F_S1F_jjS1H_bEUljE0_EEES10_S11_S12_S19_S1D_S1F_T6_T7_T9_mT8_S1H_bDpT10_ENKUlT_T0_E_clISt17integral_constantIbLb0EES1U_IbLb1EEEEDaS1Q_S1R_EUlS1Q_E_NS1_11comp_targetILNS1_3genE8ELNS1_11target_archE1030ELNS1_3gpuE2ELNS1_3repE0EEENS1_30default_config_static_selectorELNS0_4arch9wavefront6targetE0EEEvS13_.kd
    .uniform_work_group_size: 1
    .uses_dynamic_stack: false
    .vgpr_count:     0
    .vgpr_spill_count: 0
    .wavefront_size: 32
  - .args:
      - .offset:         0
        .size:           144
        .value_kind:     by_value
    .group_segment_fixed_size: 13320
    .kernarg_segment_align: 8
    .kernarg_segment_size: 144
    .language:       OpenCL C
    .language_version:
      - 2
      - 0
    .max_flat_workgroup_size: 256
    .name:           _ZN7rocprim17ROCPRIM_400000_NS6detail17trampoline_kernelINS0_13select_configILj256ELj13ELNS0_17block_load_methodE3ELS4_3ELS4_3ELNS0_20block_scan_algorithmE0ELj4294967295EEENS1_25partition_config_selectorILNS1_17partition_subalgoE3EjNS0_10empty_typeEbEEZZNS1_14partition_implILS8_3ELb0ES6_jNS0_17counting_iteratorIjlEEPS9_SE_NS0_5tupleIJPjSE_EEENSF_IJSE_SE_EEES9_SG_JZNS1_25segmented_radix_sort_implINS0_14default_configELb0EPK6__halfPSL_PKlPlN2at6native12_GLOBAL__N_18offset_tEEE10hipError_tPvRmT1_PNSt15iterator_traitsISZ_E10value_typeET2_T3_PNS10_IS15_E10value_typeET4_jRbjT5_S1B_jjP12ihipStream_tbEUljE_EEESW_SX_SY_S15_S19_S1B_T6_T7_T9_mT8_S1D_bDpT10_ENKUlT_T0_E_clISt17integral_constantIbLb0EES1Q_EEDaS1L_S1M_EUlS1L_E_NS1_11comp_targetILNS1_3genE0ELNS1_11target_archE4294967295ELNS1_3gpuE0ELNS1_3repE0EEENS1_30default_config_static_selectorELNS0_4arch9wavefront6targetE0EEEvSZ_
    .private_segment_fixed_size: 0
    .sgpr_count:     28
    .sgpr_spill_count: 0
    .symbol:         _ZN7rocprim17ROCPRIM_400000_NS6detail17trampoline_kernelINS0_13select_configILj256ELj13ELNS0_17block_load_methodE3ELS4_3ELS4_3ELNS0_20block_scan_algorithmE0ELj4294967295EEENS1_25partition_config_selectorILNS1_17partition_subalgoE3EjNS0_10empty_typeEbEEZZNS1_14partition_implILS8_3ELb0ES6_jNS0_17counting_iteratorIjlEEPS9_SE_NS0_5tupleIJPjSE_EEENSF_IJSE_SE_EEES9_SG_JZNS1_25segmented_radix_sort_implINS0_14default_configELb0EPK6__halfPSL_PKlPlN2at6native12_GLOBAL__N_18offset_tEEE10hipError_tPvRmT1_PNSt15iterator_traitsISZ_E10value_typeET2_T3_PNS10_IS15_E10value_typeET4_jRbjT5_S1B_jjP12ihipStream_tbEUljE_EEESW_SX_SY_S15_S19_S1B_T6_T7_T9_mT8_S1D_bDpT10_ENKUlT_T0_E_clISt17integral_constantIbLb0EES1Q_EEDaS1L_S1M_EUlS1L_E_NS1_11comp_targetILNS1_3genE0ELNS1_11target_archE4294967295ELNS1_3gpuE0ELNS1_3repE0EEENS1_30default_config_static_selectorELNS0_4arch9wavefront6targetE0EEEvSZ_.kd
    .uniform_work_group_size: 1
    .uses_dynamic_stack: false
    .vgpr_count:     69
    .vgpr_spill_count: 0
    .wavefront_size: 32
  - .args:
      - .offset:         0
        .size:           144
        .value_kind:     by_value
    .group_segment_fixed_size: 0
    .kernarg_segment_align: 8
    .kernarg_segment_size: 144
    .language:       OpenCL C
    .language_version:
      - 2
      - 0
    .max_flat_workgroup_size: 256
    .name:           _ZN7rocprim17ROCPRIM_400000_NS6detail17trampoline_kernelINS0_13select_configILj256ELj13ELNS0_17block_load_methodE3ELS4_3ELS4_3ELNS0_20block_scan_algorithmE0ELj4294967295EEENS1_25partition_config_selectorILNS1_17partition_subalgoE3EjNS0_10empty_typeEbEEZZNS1_14partition_implILS8_3ELb0ES6_jNS0_17counting_iteratorIjlEEPS9_SE_NS0_5tupleIJPjSE_EEENSF_IJSE_SE_EEES9_SG_JZNS1_25segmented_radix_sort_implINS0_14default_configELb0EPK6__halfPSL_PKlPlN2at6native12_GLOBAL__N_18offset_tEEE10hipError_tPvRmT1_PNSt15iterator_traitsISZ_E10value_typeET2_T3_PNS10_IS15_E10value_typeET4_jRbjT5_S1B_jjP12ihipStream_tbEUljE_EEESW_SX_SY_S15_S19_S1B_T6_T7_T9_mT8_S1D_bDpT10_ENKUlT_T0_E_clISt17integral_constantIbLb0EES1Q_EEDaS1L_S1M_EUlS1L_E_NS1_11comp_targetILNS1_3genE5ELNS1_11target_archE942ELNS1_3gpuE9ELNS1_3repE0EEENS1_30default_config_static_selectorELNS0_4arch9wavefront6targetE0EEEvSZ_
    .private_segment_fixed_size: 0
    .sgpr_count:     0
    .sgpr_spill_count: 0
    .symbol:         _ZN7rocprim17ROCPRIM_400000_NS6detail17trampoline_kernelINS0_13select_configILj256ELj13ELNS0_17block_load_methodE3ELS4_3ELS4_3ELNS0_20block_scan_algorithmE0ELj4294967295EEENS1_25partition_config_selectorILNS1_17partition_subalgoE3EjNS0_10empty_typeEbEEZZNS1_14partition_implILS8_3ELb0ES6_jNS0_17counting_iteratorIjlEEPS9_SE_NS0_5tupleIJPjSE_EEENSF_IJSE_SE_EEES9_SG_JZNS1_25segmented_radix_sort_implINS0_14default_configELb0EPK6__halfPSL_PKlPlN2at6native12_GLOBAL__N_18offset_tEEE10hipError_tPvRmT1_PNSt15iterator_traitsISZ_E10value_typeET2_T3_PNS10_IS15_E10value_typeET4_jRbjT5_S1B_jjP12ihipStream_tbEUljE_EEESW_SX_SY_S15_S19_S1B_T6_T7_T9_mT8_S1D_bDpT10_ENKUlT_T0_E_clISt17integral_constantIbLb0EES1Q_EEDaS1L_S1M_EUlS1L_E_NS1_11comp_targetILNS1_3genE5ELNS1_11target_archE942ELNS1_3gpuE9ELNS1_3repE0EEENS1_30default_config_static_selectorELNS0_4arch9wavefront6targetE0EEEvSZ_.kd
    .uniform_work_group_size: 1
    .uses_dynamic_stack: false
    .vgpr_count:     0
    .vgpr_spill_count: 0
    .wavefront_size: 32
  - .args:
      - .offset:         0
        .size:           144
        .value_kind:     by_value
    .group_segment_fixed_size: 0
    .kernarg_segment_align: 8
    .kernarg_segment_size: 144
    .language:       OpenCL C
    .language_version:
      - 2
      - 0
    .max_flat_workgroup_size: 256
    .name:           _ZN7rocprim17ROCPRIM_400000_NS6detail17trampoline_kernelINS0_13select_configILj256ELj13ELNS0_17block_load_methodE3ELS4_3ELS4_3ELNS0_20block_scan_algorithmE0ELj4294967295EEENS1_25partition_config_selectorILNS1_17partition_subalgoE3EjNS0_10empty_typeEbEEZZNS1_14partition_implILS8_3ELb0ES6_jNS0_17counting_iteratorIjlEEPS9_SE_NS0_5tupleIJPjSE_EEENSF_IJSE_SE_EEES9_SG_JZNS1_25segmented_radix_sort_implINS0_14default_configELb0EPK6__halfPSL_PKlPlN2at6native12_GLOBAL__N_18offset_tEEE10hipError_tPvRmT1_PNSt15iterator_traitsISZ_E10value_typeET2_T3_PNS10_IS15_E10value_typeET4_jRbjT5_S1B_jjP12ihipStream_tbEUljE_EEESW_SX_SY_S15_S19_S1B_T6_T7_T9_mT8_S1D_bDpT10_ENKUlT_T0_E_clISt17integral_constantIbLb0EES1Q_EEDaS1L_S1M_EUlS1L_E_NS1_11comp_targetILNS1_3genE4ELNS1_11target_archE910ELNS1_3gpuE8ELNS1_3repE0EEENS1_30default_config_static_selectorELNS0_4arch9wavefront6targetE0EEEvSZ_
    .private_segment_fixed_size: 0
    .sgpr_count:     0
    .sgpr_spill_count: 0
    .symbol:         _ZN7rocprim17ROCPRIM_400000_NS6detail17trampoline_kernelINS0_13select_configILj256ELj13ELNS0_17block_load_methodE3ELS4_3ELS4_3ELNS0_20block_scan_algorithmE0ELj4294967295EEENS1_25partition_config_selectorILNS1_17partition_subalgoE3EjNS0_10empty_typeEbEEZZNS1_14partition_implILS8_3ELb0ES6_jNS0_17counting_iteratorIjlEEPS9_SE_NS0_5tupleIJPjSE_EEENSF_IJSE_SE_EEES9_SG_JZNS1_25segmented_radix_sort_implINS0_14default_configELb0EPK6__halfPSL_PKlPlN2at6native12_GLOBAL__N_18offset_tEEE10hipError_tPvRmT1_PNSt15iterator_traitsISZ_E10value_typeET2_T3_PNS10_IS15_E10value_typeET4_jRbjT5_S1B_jjP12ihipStream_tbEUljE_EEESW_SX_SY_S15_S19_S1B_T6_T7_T9_mT8_S1D_bDpT10_ENKUlT_T0_E_clISt17integral_constantIbLb0EES1Q_EEDaS1L_S1M_EUlS1L_E_NS1_11comp_targetILNS1_3genE4ELNS1_11target_archE910ELNS1_3gpuE8ELNS1_3repE0EEENS1_30default_config_static_selectorELNS0_4arch9wavefront6targetE0EEEvSZ_.kd
    .uniform_work_group_size: 1
    .uses_dynamic_stack: false
    .vgpr_count:     0
    .vgpr_spill_count: 0
    .wavefront_size: 32
  - .args:
      - .offset:         0
        .size:           144
        .value_kind:     by_value
    .group_segment_fixed_size: 0
    .kernarg_segment_align: 8
    .kernarg_segment_size: 144
    .language:       OpenCL C
    .language_version:
      - 2
      - 0
    .max_flat_workgroup_size: 256
    .name:           _ZN7rocprim17ROCPRIM_400000_NS6detail17trampoline_kernelINS0_13select_configILj256ELj13ELNS0_17block_load_methodE3ELS4_3ELS4_3ELNS0_20block_scan_algorithmE0ELj4294967295EEENS1_25partition_config_selectorILNS1_17partition_subalgoE3EjNS0_10empty_typeEbEEZZNS1_14partition_implILS8_3ELb0ES6_jNS0_17counting_iteratorIjlEEPS9_SE_NS0_5tupleIJPjSE_EEENSF_IJSE_SE_EEES9_SG_JZNS1_25segmented_radix_sort_implINS0_14default_configELb0EPK6__halfPSL_PKlPlN2at6native12_GLOBAL__N_18offset_tEEE10hipError_tPvRmT1_PNSt15iterator_traitsISZ_E10value_typeET2_T3_PNS10_IS15_E10value_typeET4_jRbjT5_S1B_jjP12ihipStream_tbEUljE_EEESW_SX_SY_S15_S19_S1B_T6_T7_T9_mT8_S1D_bDpT10_ENKUlT_T0_E_clISt17integral_constantIbLb0EES1Q_EEDaS1L_S1M_EUlS1L_E_NS1_11comp_targetILNS1_3genE3ELNS1_11target_archE908ELNS1_3gpuE7ELNS1_3repE0EEENS1_30default_config_static_selectorELNS0_4arch9wavefront6targetE0EEEvSZ_
    .private_segment_fixed_size: 0
    .sgpr_count:     0
    .sgpr_spill_count: 0
    .symbol:         _ZN7rocprim17ROCPRIM_400000_NS6detail17trampoline_kernelINS0_13select_configILj256ELj13ELNS0_17block_load_methodE3ELS4_3ELS4_3ELNS0_20block_scan_algorithmE0ELj4294967295EEENS1_25partition_config_selectorILNS1_17partition_subalgoE3EjNS0_10empty_typeEbEEZZNS1_14partition_implILS8_3ELb0ES6_jNS0_17counting_iteratorIjlEEPS9_SE_NS0_5tupleIJPjSE_EEENSF_IJSE_SE_EEES9_SG_JZNS1_25segmented_radix_sort_implINS0_14default_configELb0EPK6__halfPSL_PKlPlN2at6native12_GLOBAL__N_18offset_tEEE10hipError_tPvRmT1_PNSt15iterator_traitsISZ_E10value_typeET2_T3_PNS10_IS15_E10value_typeET4_jRbjT5_S1B_jjP12ihipStream_tbEUljE_EEESW_SX_SY_S15_S19_S1B_T6_T7_T9_mT8_S1D_bDpT10_ENKUlT_T0_E_clISt17integral_constantIbLb0EES1Q_EEDaS1L_S1M_EUlS1L_E_NS1_11comp_targetILNS1_3genE3ELNS1_11target_archE908ELNS1_3gpuE7ELNS1_3repE0EEENS1_30default_config_static_selectorELNS0_4arch9wavefront6targetE0EEEvSZ_.kd
    .uniform_work_group_size: 1
    .uses_dynamic_stack: false
    .vgpr_count:     0
    .vgpr_spill_count: 0
    .wavefront_size: 32
  - .args:
      - .offset:         0
        .size:           144
        .value_kind:     by_value
    .group_segment_fixed_size: 0
    .kernarg_segment_align: 8
    .kernarg_segment_size: 144
    .language:       OpenCL C
    .language_version:
      - 2
      - 0
    .max_flat_workgroup_size: 256
    .name:           _ZN7rocprim17ROCPRIM_400000_NS6detail17trampoline_kernelINS0_13select_configILj256ELj13ELNS0_17block_load_methodE3ELS4_3ELS4_3ELNS0_20block_scan_algorithmE0ELj4294967295EEENS1_25partition_config_selectorILNS1_17partition_subalgoE3EjNS0_10empty_typeEbEEZZNS1_14partition_implILS8_3ELb0ES6_jNS0_17counting_iteratorIjlEEPS9_SE_NS0_5tupleIJPjSE_EEENSF_IJSE_SE_EEES9_SG_JZNS1_25segmented_radix_sort_implINS0_14default_configELb0EPK6__halfPSL_PKlPlN2at6native12_GLOBAL__N_18offset_tEEE10hipError_tPvRmT1_PNSt15iterator_traitsISZ_E10value_typeET2_T3_PNS10_IS15_E10value_typeET4_jRbjT5_S1B_jjP12ihipStream_tbEUljE_EEESW_SX_SY_S15_S19_S1B_T6_T7_T9_mT8_S1D_bDpT10_ENKUlT_T0_E_clISt17integral_constantIbLb0EES1Q_EEDaS1L_S1M_EUlS1L_E_NS1_11comp_targetILNS1_3genE2ELNS1_11target_archE906ELNS1_3gpuE6ELNS1_3repE0EEENS1_30default_config_static_selectorELNS0_4arch9wavefront6targetE0EEEvSZ_
    .private_segment_fixed_size: 0
    .sgpr_count:     0
    .sgpr_spill_count: 0
    .symbol:         _ZN7rocprim17ROCPRIM_400000_NS6detail17trampoline_kernelINS0_13select_configILj256ELj13ELNS0_17block_load_methodE3ELS4_3ELS4_3ELNS0_20block_scan_algorithmE0ELj4294967295EEENS1_25partition_config_selectorILNS1_17partition_subalgoE3EjNS0_10empty_typeEbEEZZNS1_14partition_implILS8_3ELb0ES6_jNS0_17counting_iteratorIjlEEPS9_SE_NS0_5tupleIJPjSE_EEENSF_IJSE_SE_EEES9_SG_JZNS1_25segmented_radix_sort_implINS0_14default_configELb0EPK6__halfPSL_PKlPlN2at6native12_GLOBAL__N_18offset_tEEE10hipError_tPvRmT1_PNSt15iterator_traitsISZ_E10value_typeET2_T3_PNS10_IS15_E10value_typeET4_jRbjT5_S1B_jjP12ihipStream_tbEUljE_EEESW_SX_SY_S15_S19_S1B_T6_T7_T9_mT8_S1D_bDpT10_ENKUlT_T0_E_clISt17integral_constantIbLb0EES1Q_EEDaS1L_S1M_EUlS1L_E_NS1_11comp_targetILNS1_3genE2ELNS1_11target_archE906ELNS1_3gpuE6ELNS1_3repE0EEENS1_30default_config_static_selectorELNS0_4arch9wavefront6targetE0EEEvSZ_.kd
    .uniform_work_group_size: 1
    .uses_dynamic_stack: false
    .vgpr_count:     0
    .vgpr_spill_count: 0
    .wavefront_size: 32
  - .args:
      - .offset:         0
        .size:           144
        .value_kind:     by_value
    .group_segment_fixed_size: 0
    .kernarg_segment_align: 8
    .kernarg_segment_size: 144
    .language:       OpenCL C
    .language_version:
      - 2
      - 0
    .max_flat_workgroup_size: 256
    .name:           _ZN7rocprim17ROCPRIM_400000_NS6detail17trampoline_kernelINS0_13select_configILj256ELj13ELNS0_17block_load_methodE3ELS4_3ELS4_3ELNS0_20block_scan_algorithmE0ELj4294967295EEENS1_25partition_config_selectorILNS1_17partition_subalgoE3EjNS0_10empty_typeEbEEZZNS1_14partition_implILS8_3ELb0ES6_jNS0_17counting_iteratorIjlEEPS9_SE_NS0_5tupleIJPjSE_EEENSF_IJSE_SE_EEES9_SG_JZNS1_25segmented_radix_sort_implINS0_14default_configELb0EPK6__halfPSL_PKlPlN2at6native12_GLOBAL__N_18offset_tEEE10hipError_tPvRmT1_PNSt15iterator_traitsISZ_E10value_typeET2_T3_PNS10_IS15_E10value_typeET4_jRbjT5_S1B_jjP12ihipStream_tbEUljE_EEESW_SX_SY_S15_S19_S1B_T6_T7_T9_mT8_S1D_bDpT10_ENKUlT_T0_E_clISt17integral_constantIbLb0EES1Q_EEDaS1L_S1M_EUlS1L_E_NS1_11comp_targetILNS1_3genE10ELNS1_11target_archE1200ELNS1_3gpuE4ELNS1_3repE0EEENS1_30default_config_static_selectorELNS0_4arch9wavefront6targetE0EEEvSZ_
    .private_segment_fixed_size: 0
    .sgpr_count:     0
    .sgpr_spill_count: 0
    .symbol:         _ZN7rocprim17ROCPRIM_400000_NS6detail17trampoline_kernelINS0_13select_configILj256ELj13ELNS0_17block_load_methodE3ELS4_3ELS4_3ELNS0_20block_scan_algorithmE0ELj4294967295EEENS1_25partition_config_selectorILNS1_17partition_subalgoE3EjNS0_10empty_typeEbEEZZNS1_14partition_implILS8_3ELb0ES6_jNS0_17counting_iteratorIjlEEPS9_SE_NS0_5tupleIJPjSE_EEENSF_IJSE_SE_EEES9_SG_JZNS1_25segmented_radix_sort_implINS0_14default_configELb0EPK6__halfPSL_PKlPlN2at6native12_GLOBAL__N_18offset_tEEE10hipError_tPvRmT1_PNSt15iterator_traitsISZ_E10value_typeET2_T3_PNS10_IS15_E10value_typeET4_jRbjT5_S1B_jjP12ihipStream_tbEUljE_EEESW_SX_SY_S15_S19_S1B_T6_T7_T9_mT8_S1D_bDpT10_ENKUlT_T0_E_clISt17integral_constantIbLb0EES1Q_EEDaS1L_S1M_EUlS1L_E_NS1_11comp_targetILNS1_3genE10ELNS1_11target_archE1200ELNS1_3gpuE4ELNS1_3repE0EEENS1_30default_config_static_selectorELNS0_4arch9wavefront6targetE0EEEvSZ_.kd
    .uniform_work_group_size: 1
    .uses_dynamic_stack: false
    .vgpr_count:     0
    .vgpr_spill_count: 0
    .wavefront_size: 32
  - .args:
      - .offset:         0
        .size:           144
        .value_kind:     by_value
    .group_segment_fixed_size: 0
    .kernarg_segment_align: 8
    .kernarg_segment_size: 144
    .language:       OpenCL C
    .language_version:
      - 2
      - 0
    .max_flat_workgroup_size: 256
    .name:           _ZN7rocprim17ROCPRIM_400000_NS6detail17trampoline_kernelINS0_13select_configILj256ELj13ELNS0_17block_load_methodE3ELS4_3ELS4_3ELNS0_20block_scan_algorithmE0ELj4294967295EEENS1_25partition_config_selectorILNS1_17partition_subalgoE3EjNS0_10empty_typeEbEEZZNS1_14partition_implILS8_3ELb0ES6_jNS0_17counting_iteratorIjlEEPS9_SE_NS0_5tupleIJPjSE_EEENSF_IJSE_SE_EEES9_SG_JZNS1_25segmented_radix_sort_implINS0_14default_configELb0EPK6__halfPSL_PKlPlN2at6native12_GLOBAL__N_18offset_tEEE10hipError_tPvRmT1_PNSt15iterator_traitsISZ_E10value_typeET2_T3_PNS10_IS15_E10value_typeET4_jRbjT5_S1B_jjP12ihipStream_tbEUljE_EEESW_SX_SY_S15_S19_S1B_T6_T7_T9_mT8_S1D_bDpT10_ENKUlT_T0_E_clISt17integral_constantIbLb0EES1Q_EEDaS1L_S1M_EUlS1L_E_NS1_11comp_targetILNS1_3genE9ELNS1_11target_archE1100ELNS1_3gpuE3ELNS1_3repE0EEENS1_30default_config_static_selectorELNS0_4arch9wavefront6targetE0EEEvSZ_
    .private_segment_fixed_size: 0
    .sgpr_count:     0
    .sgpr_spill_count: 0
    .symbol:         _ZN7rocprim17ROCPRIM_400000_NS6detail17trampoline_kernelINS0_13select_configILj256ELj13ELNS0_17block_load_methodE3ELS4_3ELS4_3ELNS0_20block_scan_algorithmE0ELj4294967295EEENS1_25partition_config_selectorILNS1_17partition_subalgoE3EjNS0_10empty_typeEbEEZZNS1_14partition_implILS8_3ELb0ES6_jNS0_17counting_iteratorIjlEEPS9_SE_NS0_5tupleIJPjSE_EEENSF_IJSE_SE_EEES9_SG_JZNS1_25segmented_radix_sort_implINS0_14default_configELb0EPK6__halfPSL_PKlPlN2at6native12_GLOBAL__N_18offset_tEEE10hipError_tPvRmT1_PNSt15iterator_traitsISZ_E10value_typeET2_T3_PNS10_IS15_E10value_typeET4_jRbjT5_S1B_jjP12ihipStream_tbEUljE_EEESW_SX_SY_S15_S19_S1B_T6_T7_T9_mT8_S1D_bDpT10_ENKUlT_T0_E_clISt17integral_constantIbLb0EES1Q_EEDaS1L_S1M_EUlS1L_E_NS1_11comp_targetILNS1_3genE9ELNS1_11target_archE1100ELNS1_3gpuE3ELNS1_3repE0EEENS1_30default_config_static_selectorELNS0_4arch9wavefront6targetE0EEEvSZ_.kd
    .uniform_work_group_size: 1
    .uses_dynamic_stack: false
    .vgpr_count:     0
    .vgpr_spill_count: 0
    .wavefront_size: 32
  - .args:
      - .offset:         0
        .size:           144
        .value_kind:     by_value
    .group_segment_fixed_size: 0
    .kernarg_segment_align: 8
    .kernarg_segment_size: 144
    .language:       OpenCL C
    .language_version:
      - 2
      - 0
    .max_flat_workgroup_size: 256
    .name:           _ZN7rocprim17ROCPRIM_400000_NS6detail17trampoline_kernelINS0_13select_configILj256ELj13ELNS0_17block_load_methodE3ELS4_3ELS4_3ELNS0_20block_scan_algorithmE0ELj4294967295EEENS1_25partition_config_selectorILNS1_17partition_subalgoE3EjNS0_10empty_typeEbEEZZNS1_14partition_implILS8_3ELb0ES6_jNS0_17counting_iteratorIjlEEPS9_SE_NS0_5tupleIJPjSE_EEENSF_IJSE_SE_EEES9_SG_JZNS1_25segmented_radix_sort_implINS0_14default_configELb0EPK6__halfPSL_PKlPlN2at6native12_GLOBAL__N_18offset_tEEE10hipError_tPvRmT1_PNSt15iterator_traitsISZ_E10value_typeET2_T3_PNS10_IS15_E10value_typeET4_jRbjT5_S1B_jjP12ihipStream_tbEUljE_EEESW_SX_SY_S15_S19_S1B_T6_T7_T9_mT8_S1D_bDpT10_ENKUlT_T0_E_clISt17integral_constantIbLb0EES1Q_EEDaS1L_S1M_EUlS1L_E_NS1_11comp_targetILNS1_3genE8ELNS1_11target_archE1030ELNS1_3gpuE2ELNS1_3repE0EEENS1_30default_config_static_selectorELNS0_4arch9wavefront6targetE0EEEvSZ_
    .private_segment_fixed_size: 0
    .sgpr_count:     0
    .sgpr_spill_count: 0
    .symbol:         _ZN7rocprim17ROCPRIM_400000_NS6detail17trampoline_kernelINS0_13select_configILj256ELj13ELNS0_17block_load_methodE3ELS4_3ELS4_3ELNS0_20block_scan_algorithmE0ELj4294967295EEENS1_25partition_config_selectorILNS1_17partition_subalgoE3EjNS0_10empty_typeEbEEZZNS1_14partition_implILS8_3ELb0ES6_jNS0_17counting_iteratorIjlEEPS9_SE_NS0_5tupleIJPjSE_EEENSF_IJSE_SE_EEES9_SG_JZNS1_25segmented_radix_sort_implINS0_14default_configELb0EPK6__halfPSL_PKlPlN2at6native12_GLOBAL__N_18offset_tEEE10hipError_tPvRmT1_PNSt15iterator_traitsISZ_E10value_typeET2_T3_PNS10_IS15_E10value_typeET4_jRbjT5_S1B_jjP12ihipStream_tbEUljE_EEESW_SX_SY_S15_S19_S1B_T6_T7_T9_mT8_S1D_bDpT10_ENKUlT_T0_E_clISt17integral_constantIbLb0EES1Q_EEDaS1L_S1M_EUlS1L_E_NS1_11comp_targetILNS1_3genE8ELNS1_11target_archE1030ELNS1_3gpuE2ELNS1_3repE0EEENS1_30default_config_static_selectorELNS0_4arch9wavefront6targetE0EEEvSZ_.kd
    .uniform_work_group_size: 1
    .uses_dynamic_stack: false
    .vgpr_count:     0
    .vgpr_spill_count: 0
    .wavefront_size: 32
  - .args:
      - .offset:         0
        .size:           152
        .value_kind:     by_value
    .group_segment_fixed_size: 0
    .kernarg_segment_align: 8
    .kernarg_segment_size: 152
    .language:       OpenCL C
    .language_version:
      - 2
      - 0
    .max_flat_workgroup_size: 256
    .name:           _ZN7rocprim17ROCPRIM_400000_NS6detail17trampoline_kernelINS0_13select_configILj256ELj13ELNS0_17block_load_methodE3ELS4_3ELS4_3ELNS0_20block_scan_algorithmE0ELj4294967295EEENS1_25partition_config_selectorILNS1_17partition_subalgoE3EjNS0_10empty_typeEbEEZZNS1_14partition_implILS8_3ELb0ES6_jNS0_17counting_iteratorIjlEEPS9_SE_NS0_5tupleIJPjSE_EEENSF_IJSE_SE_EEES9_SG_JZNS1_25segmented_radix_sort_implINS0_14default_configELb0EPK6__halfPSL_PKlPlN2at6native12_GLOBAL__N_18offset_tEEE10hipError_tPvRmT1_PNSt15iterator_traitsISZ_E10value_typeET2_T3_PNS10_IS15_E10value_typeET4_jRbjT5_S1B_jjP12ihipStream_tbEUljE_EEESW_SX_SY_S15_S19_S1B_T6_T7_T9_mT8_S1D_bDpT10_ENKUlT_T0_E_clISt17integral_constantIbLb1EES1Q_EEDaS1L_S1M_EUlS1L_E_NS1_11comp_targetILNS1_3genE0ELNS1_11target_archE4294967295ELNS1_3gpuE0ELNS1_3repE0EEENS1_30default_config_static_selectorELNS0_4arch9wavefront6targetE0EEEvSZ_
    .private_segment_fixed_size: 0
    .sgpr_count:     0
    .sgpr_spill_count: 0
    .symbol:         _ZN7rocprim17ROCPRIM_400000_NS6detail17trampoline_kernelINS0_13select_configILj256ELj13ELNS0_17block_load_methodE3ELS4_3ELS4_3ELNS0_20block_scan_algorithmE0ELj4294967295EEENS1_25partition_config_selectorILNS1_17partition_subalgoE3EjNS0_10empty_typeEbEEZZNS1_14partition_implILS8_3ELb0ES6_jNS0_17counting_iteratorIjlEEPS9_SE_NS0_5tupleIJPjSE_EEENSF_IJSE_SE_EEES9_SG_JZNS1_25segmented_radix_sort_implINS0_14default_configELb0EPK6__halfPSL_PKlPlN2at6native12_GLOBAL__N_18offset_tEEE10hipError_tPvRmT1_PNSt15iterator_traitsISZ_E10value_typeET2_T3_PNS10_IS15_E10value_typeET4_jRbjT5_S1B_jjP12ihipStream_tbEUljE_EEESW_SX_SY_S15_S19_S1B_T6_T7_T9_mT8_S1D_bDpT10_ENKUlT_T0_E_clISt17integral_constantIbLb1EES1Q_EEDaS1L_S1M_EUlS1L_E_NS1_11comp_targetILNS1_3genE0ELNS1_11target_archE4294967295ELNS1_3gpuE0ELNS1_3repE0EEENS1_30default_config_static_selectorELNS0_4arch9wavefront6targetE0EEEvSZ_.kd
    .uniform_work_group_size: 1
    .uses_dynamic_stack: false
    .vgpr_count:     0
    .vgpr_spill_count: 0
    .wavefront_size: 32
  - .args:
      - .offset:         0
        .size:           152
        .value_kind:     by_value
    .group_segment_fixed_size: 0
    .kernarg_segment_align: 8
    .kernarg_segment_size: 152
    .language:       OpenCL C
    .language_version:
      - 2
      - 0
    .max_flat_workgroup_size: 256
    .name:           _ZN7rocprim17ROCPRIM_400000_NS6detail17trampoline_kernelINS0_13select_configILj256ELj13ELNS0_17block_load_methodE3ELS4_3ELS4_3ELNS0_20block_scan_algorithmE0ELj4294967295EEENS1_25partition_config_selectorILNS1_17partition_subalgoE3EjNS0_10empty_typeEbEEZZNS1_14partition_implILS8_3ELb0ES6_jNS0_17counting_iteratorIjlEEPS9_SE_NS0_5tupleIJPjSE_EEENSF_IJSE_SE_EEES9_SG_JZNS1_25segmented_radix_sort_implINS0_14default_configELb0EPK6__halfPSL_PKlPlN2at6native12_GLOBAL__N_18offset_tEEE10hipError_tPvRmT1_PNSt15iterator_traitsISZ_E10value_typeET2_T3_PNS10_IS15_E10value_typeET4_jRbjT5_S1B_jjP12ihipStream_tbEUljE_EEESW_SX_SY_S15_S19_S1B_T6_T7_T9_mT8_S1D_bDpT10_ENKUlT_T0_E_clISt17integral_constantIbLb1EES1Q_EEDaS1L_S1M_EUlS1L_E_NS1_11comp_targetILNS1_3genE5ELNS1_11target_archE942ELNS1_3gpuE9ELNS1_3repE0EEENS1_30default_config_static_selectorELNS0_4arch9wavefront6targetE0EEEvSZ_
    .private_segment_fixed_size: 0
    .sgpr_count:     0
    .sgpr_spill_count: 0
    .symbol:         _ZN7rocprim17ROCPRIM_400000_NS6detail17trampoline_kernelINS0_13select_configILj256ELj13ELNS0_17block_load_methodE3ELS4_3ELS4_3ELNS0_20block_scan_algorithmE0ELj4294967295EEENS1_25partition_config_selectorILNS1_17partition_subalgoE3EjNS0_10empty_typeEbEEZZNS1_14partition_implILS8_3ELb0ES6_jNS0_17counting_iteratorIjlEEPS9_SE_NS0_5tupleIJPjSE_EEENSF_IJSE_SE_EEES9_SG_JZNS1_25segmented_radix_sort_implINS0_14default_configELb0EPK6__halfPSL_PKlPlN2at6native12_GLOBAL__N_18offset_tEEE10hipError_tPvRmT1_PNSt15iterator_traitsISZ_E10value_typeET2_T3_PNS10_IS15_E10value_typeET4_jRbjT5_S1B_jjP12ihipStream_tbEUljE_EEESW_SX_SY_S15_S19_S1B_T6_T7_T9_mT8_S1D_bDpT10_ENKUlT_T0_E_clISt17integral_constantIbLb1EES1Q_EEDaS1L_S1M_EUlS1L_E_NS1_11comp_targetILNS1_3genE5ELNS1_11target_archE942ELNS1_3gpuE9ELNS1_3repE0EEENS1_30default_config_static_selectorELNS0_4arch9wavefront6targetE0EEEvSZ_.kd
    .uniform_work_group_size: 1
    .uses_dynamic_stack: false
    .vgpr_count:     0
    .vgpr_spill_count: 0
    .wavefront_size: 32
  - .args:
      - .offset:         0
        .size:           152
        .value_kind:     by_value
    .group_segment_fixed_size: 0
    .kernarg_segment_align: 8
    .kernarg_segment_size: 152
    .language:       OpenCL C
    .language_version:
      - 2
      - 0
    .max_flat_workgroup_size: 256
    .name:           _ZN7rocprim17ROCPRIM_400000_NS6detail17trampoline_kernelINS0_13select_configILj256ELj13ELNS0_17block_load_methodE3ELS4_3ELS4_3ELNS0_20block_scan_algorithmE0ELj4294967295EEENS1_25partition_config_selectorILNS1_17partition_subalgoE3EjNS0_10empty_typeEbEEZZNS1_14partition_implILS8_3ELb0ES6_jNS0_17counting_iteratorIjlEEPS9_SE_NS0_5tupleIJPjSE_EEENSF_IJSE_SE_EEES9_SG_JZNS1_25segmented_radix_sort_implINS0_14default_configELb0EPK6__halfPSL_PKlPlN2at6native12_GLOBAL__N_18offset_tEEE10hipError_tPvRmT1_PNSt15iterator_traitsISZ_E10value_typeET2_T3_PNS10_IS15_E10value_typeET4_jRbjT5_S1B_jjP12ihipStream_tbEUljE_EEESW_SX_SY_S15_S19_S1B_T6_T7_T9_mT8_S1D_bDpT10_ENKUlT_T0_E_clISt17integral_constantIbLb1EES1Q_EEDaS1L_S1M_EUlS1L_E_NS1_11comp_targetILNS1_3genE4ELNS1_11target_archE910ELNS1_3gpuE8ELNS1_3repE0EEENS1_30default_config_static_selectorELNS0_4arch9wavefront6targetE0EEEvSZ_
    .private_segment_fixed_size: 0
    .sgpr_count:     0
    .sgpr_spill_count: 0
    .symbol:         _ZN7rocprim17ROCPRIM_400000_NS6detail17trampoline_kernelINS0_13select_configILj256ELj13ELNS0_17block_load_methodE3ELS4_3ELS4_3ELNS0_20block_scan_algorithmE0ELj4294967295EEENS1_25partition_config_selectorILNS1_17partition_subalgoE3EjNS0_10empty_typeEbEEZZNS1_14partition_implILS8_3ELb0ES6_jNS0_17counting_iteratorIjlEEPS9_SE_NS0_5tupleIJPjSE_EEENSF_IJSE_SE_EEES9_SG_JZNS1_25segmented_radix_sort_implINS0_14default_configELb0EPK6__halfPSL_PKlPlN2at6native12_GLOBAL__N_18offset_tEEE10hipError_tPvRmT1_PNSt15iterator_traitsISZ_E10value_typeET2_T3_PNS10_IS15_E10value_typeET4_jRbjT5_S1B_jjP12ihipStream_tbEUljE_EEESW_SX_SY_S15_S19_S1B_T6_T7_T9_mT8_S1D_bDpT10_ENKUlT_T0_E_clISt17integral_constantIbLb1EES1Q_EEDaS1L_S1M_EUlS1L_E_NS1_11comp_targetILNS1_3genE4ELNS1_11target_archE910ELNS1_3gpuE8ELNS1_3repE0EEENS1_30default_config_static_selectorELNS0_4arch9wavefront6targetE0EEEvSZ_.kd
    .uniform_work_group_size: 1
    .uses_dynamic_stack: false
    .vgpr_count:     0
    .vgpr_spill_count: 0
    .wavefront_size: 32
  - .args:
      - .offset:         0
        .size:           152
        .value_kind:     by_value
    .group_segment_fixed_size: 0
    .kernarg_segment_align: 8
    .kernarg_segment_size: 152
    .language:       OpenCL C
    .language_version:
      - 2
      - 0
    .max_flat_workgroup_size: 256
    .name:           _ZN7rocprim17ROCPRIM_400000_NS6detail17trampoline_kernelINS0_13select_configILj256ELj13ELNS0_17block_load_methodE3ELS4_3ELS4_3ELNS0_20block_scan_algorithmE0ELj4294967295EEENS1_25partition_config_selectorILNS1_17partition_subalgoE3EjNS0_10empty_typeEbEEZZNS1_14partition_implILS8_3ELb0ES6_jNS0_17counting_iteratorIjlEEPS9_SE_NS0_5tupleIJPjSE_EEENSF_IJSE_SE_EEES9_SG_JZNS1_25segmented_radix_sort_implINS0_14default_configELb0EPK6__halfPSL_PKlPlN2at6native12_GLOBAL__N_18offset_tEEE10hipError_tPvRmT1_PNSt15iterator_traitsISZ_E10value_typeET2_T3_PNS10_IS15_E10value_typeET4_jRbjT5_S1B_jjP12ihipStream_tbEUljE_EEESW_SX_SY_S15_S19_S1B_T6_T7_T9_mT8_S1D_bDpT10_ENKUlT_T0_E_clISt17integral_constantIbLb1EES1Q_EEDaS1L_S1M_EUlS1L_E_NS1_11comp_targetILNS1_3genE3ELNS1_11target_archE908ELNS1_3gpuE7ELNS1_3repE0EEENS1_30default_config_static_selectorELNS0_4arch9wavefront6targetE0EEEvSZ_
    .private_segment_fixed_size: 0
    .sgpr_count:     0
    .sgpr_spill_count: 0
    .symbol:         _ZN7rocprim17ROCPRIM_400000_NS6detail17trampoline_kernelINS0_13select_configILj256ELj13ELNS0_17block_load_methodE3ELS4_3ELS4_3ELNS0_20block_scan_algorithmE0ELj4294967295EEENS1_25partition_config_selectorILNS1_17partition_subalgoE3EjNS0_10empty_typeEbEEZZNS1_14partition_implILS8_3ELb0ES6_jNS0_17counting_iteratorIjlEEPS9_SE_NS0_5tupleIJPjSE_EEENSF_IJSE_SE_EEES9_SG_JZNS1_25segmented_radix_sort_implINS0_14default_configELb0EPK6__halfPSL_PKlPlN2at6native12_GLOBAL__N_18offset_tEEE10hipError_tPvRmT1_PNSt15iterator_traitsISZ_E10value_typeET2_T3_PNS10_IS15_E10value_typeET4_jRbjT5_S1B_jjP12ihipStream_tbEUljE_EEESW_SX_SY_S15_S19_S1B_T6_T7_T9_mT8_S1D_bDpT10_ENKUlT_T0_E_clISt17integral_constantIbLb1EES1Q_EEDaS1L_S1M_EUlS1L_E_NS1_11comp_targetILNS1_3genE3ELNS1_11target_archE908ELNS1_3gpuE7ELNS1_3repE0EEENS1_30default_config_static_selectorELNS0_4arch9wavefront6targetE0EEEvSZ_.kd
    .uniform_work_group_size: 1
    .uses_dynamic_stack: false
    .vgpr_count:     0
    .vgpr_spill_count: 0
    .wavefront_size: 32
  - .args:
      - .offset:         0
        .size:           152
        .value_kind:     by_value
    .group_segment_fixed_size: 0
    .kernarg_segment_align: 8
    .kernarg_segment_size: 152
    .language:       OpenCL C
    .language_version:
      - 2
      - 0
    .max_flat_workgroup_size: 256
    .name:           _ZN7rocprim17ROCPRIM_400000_NS6detail17trampoline_kernelINS0_13select_configILj256ELj13ELNS0_17block_load_methodE3ELS4_3ELS4_3ELNS0_20block_scan_algorithmE0ELj4294967295EEENS1_25partition_config_selectorILNS1_17partition_subalgoE3EjNS0_10empty_typeEbEEZZNS1_14partition_implILS8_3ELb0ES6_jNS0_17counting_iteratorIjlEEPS9_SE_NS0_5tupleIJPjSE_EEENSF_IJSE_SE_EEES9_SG_JZNS1_25segmented_radix_sort_implINS0_14default_configELb0EPK6__halfPSL_PKlPlN2at6native12_GLOBAL__N_18offset_tEEE10hipError_tPvRmT1_PNSt15iterator_traitsISZ_E10value_typeET2_T3_PNS10_IS15_E10value_typeET4_jRbjT5_S1B_jjP12ihipStream_tbEUljE_EEESW_SX_SY_S15_S19_S1B_T6_T7_T9_mT8_S1D_bDpT10_ENKUlT_T0_E_clISt17integral_constantIbLb1EES1Q_EEDaS1L_S1M_EUlS1L_E_NS1_11comp_targetILNS1_3genE2ELNS1_11target_archE906ELNS1_3gpuE6ELNS1_3repE0EEENS1_30default_config_static_selectorELNS0_4arch9wavefront6targetE0EEEvSZ_
    .private_segment_fixed_size: 0
    .sgpr_count:     0
    .sgpr_spill_count: 0
    .symbol:         _ZN7rocprim17ROCPRIM_400000_NS6detail17trampoline_kernelINS0_13select_configILj256ELj13ELNS0_17block_load_methodE3ELS4_3ELS4_3ELNS0_20block_scan_algorithmE0ELj4294967295EEENS1_25partition_config_selectorILNS1_17partition_subalgoE3EjNS0_10empty_typeEbEEZZNS1_14partition_implILS8_3ELb0ES6_jNS0_17counting_iteratorIjlEEPS9_SE_NS0_5tupleIJPjSE_EEENSF_IJSE_SE_EEES9_SG_JZNS1_25segmented_radix_sort_implINS0_14default_configELb0EPK6__halfPSL_PKlPlN2at6native12_GLOBAL__N_18offset_tEEE10hipError_tPvRmT1_PNSt15iterator_traitsISZ_E10value_typeET2_T3_PNS10_IS15_E10value_typeET4_jRbjT5_S1B_jjP12ihipStream_tbEUljE_EEESW_SX_SY_S15_S19_S1B_T6_T7_T9_mT8_S1D_bDpT10_ENKUlT_T0_E_clISt17integral_constantIbLb1EES1Q_EEDaS1L_S1M_EUlS1L_E_NS1_11comp_targetILNS1_3genE2ELNS1_11target_archE906ELNS1_3gpuE6ELNS1_3repE0EEENS1_30default_config_static_selectorELNS0_4arch9wavefront6targetE0EEEvSZ_.kd
    .uniform_work_group_size: 1
    .uses_dynamic_stack: false
    .vgpr_count:     0
    .vgpr_spill_count: 0
    .wavefront_size: 32
  - .args:
      - .offset:         0
        .size:           152
        .value_kind:     by_value
    .group_segment_fixed_size: 0
    .kernarg_segment_align: 8
    .kernarg_segment_size: 152
    .language:       OpenCL C
    .language_version:
      - 2
      - 0
    .max_flat_workgroup_size: 256
    .name:           _ZN7rocprim17ROCPRIM_400000_NS6detail17trampoline_kernelINS0_13select_configILj256ELj13ELNS0_17block_load_methodE3ELS4_3ELS4_3ELNS0_20block_scan_algorithmE0ELj4294967295EEENS1_25partition_config_selectorILNS1_17partition_subalgoE3EjNS0_10empty_typeEbEEZZNS1_14partition_implILS8_3ELb0ES6_jNS0_17counting_iteratorIjlEEPS9_SE_NS0_5tupleIJPjSE_EEENSF_IJSE_SE_EEES9_SG_JZNS1_25segmented_radix_sort_implINS0_14default_configELb0EPK6__halfPSL_PKlPlN2at6native12_GLOBAL__N_18offset_tEEE10hipError_tPvRmT1_PNSt15iterator_traitsISZ_E10value_typeET2_T3_PNS10_IS15_E10value_typeET4_jRbjT5_S1B_jjP12ihipStream_tbEUljE_EEESW_SX_SY_S15_S19_S1B_T6_T7_T9_mT8_S1D_bDpT10_ENKUlT_T0_E_clISt17integral_constantIbLb1EES1Q_EEDaS1L_S1M_EUlS1L_E_NS1_11comp_targetILNS1_3genE10ELNS1_11target_archE1200ELNS1_3gpuE4ELNS1_3repE0EEENS1_30default_config_static_selectorELNS0_4arch9wavefront6targetE0EEEvSZ_
    .private_segment_fixed_size: 0
    .sgpr_count:     0
    .sgpr_spill_count: 0
    .symbol:         _ZN7rocprim17ROCPRIM_400000_NS6detail17trampoline_kernelINS0_13select_configILj256ELj13ELNS0_17block_load_methodE3ELS4_3ELS4_3ELNS0_20block_scan_algorithmE0ELj4294967295EEENS1_25partition_config_selectorILNS1_17partition_subalgoE3EjNS0_10empty_typeEbEEZZNS1_14partition_implILS8_3ELb0ES6_jNS0_17counting_iteratorIjlEEPS9_SE_NS0_5tupleIJPjSE_EEENSF_IJSE_SE_EEES9_SG_JZNS1_25segmented_radix_sort_implINS0_14default_configELb0EPK6__halfPSL_PKlPlN2at6native12_GLOBAL__N_18offset_tEEE10hipError_tPvRmT1_PNSt15iterator_traitsISZ_E10value_typeET2_T3_PNS10_IS15_E10value_typeET4_jRbjT5_S1B_jjP12ihipStream_tbEUljE_EEESW_SX_SY_S15_S19_S1B_T6_T7_T9_mT8_S1D_bDpT10_ENKUlT_T0_E_clISt17integral_constantIbLb1EES1Q_EEDaS1L_S1M_EUlS1L_E_NS1_11comp_targetILNS1_3genE10ELNS1_11target_archE1200ELNS1_3gpuE4ELNS1_3repE0EEENS1_30default_config_static_selectorELNS0_4arch9wavefront6targetE0EEEvSZ_.kd
    .uniform_work_group_size: 1
    .uses_dynamic_stack: false
    .vgpr_count:     0
    .vgpr_spill_count: 0
    .wavefront_size: 32
  - .args:
      - .offset:         0
        .size:           152
        .value_kind:     by_value
    .group_segment_fixed_size: 0
    .kernarg_segment_align: 8
    .kernarg_segment_size: 152
    .language:       OpenCL C
    .language_version:
      - 2
      - 0
    .max_flat_workgroup_size: 256
    .name:           _ZN7rocprim17ROCPRIM_400000_NS6detail17trampoline_kernelINS0_13select_configILj256ELj13ELNS0_17block_load_methodE3ELS4_3ELS4_3ELNS0_20block_scan_algorithmE0ELj4294967295EEENS1_25partition_config_selectorILNS1_17partition_subalgoE3EjNS0_10empty_typeEbEEZZNS1_14partition_implILS8_3ELb0ES6_jNS0_17counting_iteratorIjlEEPS9_SE_NS0_5tupleIJPjSE_EEENSF_IJSE_SE_EEES9_SG_JZNS1_25segmented_radix_sort_implINS0_14default_configELb0EPK6__halfPSL_PKlPlN2at6native12_GLOBAL__N_18offset_tEEE10hipError_tPvRmT1_PNSt15iterator_traitsISZ_E10value_typeET2_T3_PNS10_IS15_E10value_typeET4_jRbjT5_S1B_jjP12ihipStream_tbEUljE_EEESW_SX_SY_S15_S19_S1B_T6_T7_T9_mT8_S1D_bDpT10_ENKUlT_T0_E_clISt17integral_constantIbLb1EES1Q_EEDaS1L_S1M_EUlS1L_E_NS1_11comp_targetILNS1_3genE9ELNS1_11target_archE1100ELNS1_3gpuE3ELNS1_3repE0EEENS1_30default_config_static_selectorELNS0_4arch9wavefront6targetE0EEEvSZ_
    .private_segment_fixed_size: 0
    .sgpr_count:     0
    .sgpr_spill_count: 0
    .symbol:         _ZN7rocprim17ROCPRIM_400000_NS6detail17trampoline_kernelINS0_13select_configILj256ELj13ELNS0_17block_load_methodE3ELS4_3ELS4_3ELNS0_20block_scan_algorithmE0ELj4294967295EEENS1_25partition_config_selectorILNS1_17partition_subalgoE3EjNS0_10empty_typeEbEEZZNS1_14partition_implILS8_3ELb0ES6_jNS0_17counting_iteratorIjlEEPS9_SE_NS0_5tupleIJPjSE_EEENSF_IJSE_SE_EEES9_SG_JZNS1_25segmented_radix_sort_implINS0_14default_configELb0EPK6__halfPSL_PKlPlN2at6native12_GLOBAL__N_18offset_tEEE10hipError_tPvRmT1_PNSt15iterator_traitsISZ_E10value_typeET2_T3_PNS10_IS15_E10value_typeET4_jRbjT5_S1B_jjP12ihipStream_tbEUljE_EEESW_SX_SY_S15_S19_S1B_T6_T7_T9_mT8_S1D_bDpT10_ENKUlT_T0_E_clISt17integral_constantIbLb1EES1Q_EEDaS1L_S1M_EUlS1L_E_NS1_11comp_targetILNS1_3genE9ELNS1_11target_archE1100ELNS1_3gpuE3ELNS1_3repE0EEENS1_30default_config_static_selectorELNS0_4arch9wavefront6targetE0EEEvSZ_.kd
    .uniform_work_group_size: 1
    .uses_dynamic_stack: false
    .vgpr_count:     0
    .vgpr_spill_count: 0
    .wavefront_size: 32
  - .args:
      - .offset:         0
        .size:           152
        .value_kind:     by_value
    .group_segment_fixed_size: 0
    .kernarg_segment_align: 8
    .kernarg_segment_size: 152
    .language:       OpenCL C
    .language_version:
      - 2
      - 0
    .max_flat_workgroup_size: 256
    .name:           _ZN7rocprim17ROCPRIM_400000_NS6detail17trampoline_kernelINS0_13select_configILj256ELj13ELNS0_17block_load_methodE3ELS4_3ELS4_3ELNS0_20block_scan_algorithmE0ELj4294967295EEENS1_25partition_config_selectorILNS1_17partition_subalgoE3EjNS0_10empty_typeEbEEZZNS1_14partition_implILS8_3ELb0ES6_jNS0_17counting_iteratorIjlEEPS9_SE_NS0_5tupleIJPjSE_EEENSF_IJSE_SE_EEES9_SG_JZNS1_25segmented_radix_sort_implINS0_14default_configELb0EPK6__halfPSL_PKlPlN2at6native12_GLOBAL__N_18offset_tEEE10hipError_tPvRmT1_PNSt15iterator_traitsISZ_E10value_typeET2_T3_PNS10_IS15_E10value_typeET4_jRbjT5_S1B_jjP12ihipStream_tbEUljE_EEESW_SX_SY_S15_S19_S1B_T6_T7_T9_mT8_S1D_bDpT10_ENKUlT_T0_E_clISt17integral_constantIbLb1EES1Q_EEDaS1L_S1M_EUlS1L_E_NS1_11comp_targetILNS1_3genE8ELNS1_11target_archE1030ELNS1_3gpuE2ELNS1_3repE0EEENS1_30default_config_static_selectorELNS0_4arch9wavefront6targetE0EEEvSZ_
    .private_segment_fixed_size: 0
    .sgpr_count:     0
    .sgpr_spill_count: 0
    .symbol:         _ZN7rocprim17ROCPRIM_400000_NS6detail17trampoline_kernelINS0_13select_configILj256ELj13ELNS0_17block_load_methodE3ELS4_3ELS4_3ELNS0_20block_scan_algorithmE0ELj4294967295EEENS1_25partition_config_selectorILNS1_17partition_subalgoE3EjNS0_10empty_typeEbEEZZNS1_14partition_implILS8_3ELb0ES6_jNS0_17counting_iteratorIjlEEPS9_SE_NS0_5tupleIJPjSE_EEENSF_IJSE_SE_EEES9_SG_JZNS1_25segmented_radix_sort_implINS0_14default_configELb0EPK6__halfPSL_PKlPlN2at6native12_GLOBAL__N_18offset_tEEE10hipError_tPvRmT1_PNSt15iterator_traitsISZ_E10value_typeET2_T3_PNS10_IS15_E10value_typeET4_jRbjT5_S1B_jjP12ihipStream_tbEUljE_EEESW_SX_SY_S15_S19_S1B_T6_T7_T9_mT8_S1D_bDpT10_ENKUlT_T0_E_clISt17integral_constantIbLb1EES1Q_EEDaS1L_S1M_EUlS1L_E_NS1_11comp_targetILNS1_3genE8ELNS1_11target_archE1030ELNS1_3gpuE2ELNS1_3repE0EEENS1_30default_config_static_selectorELNS0_4arch9wavefront6targetE0EEEvSZ_.kd
    .uniform_work_group_size: 1
    .uses_dynamic_stack: false
    .vgpr_count:     0
    .vgpr_spill_count: 0
    .wavefront_size: 32
  - .args:
      - .offset:         0
        .size:           144
        .value_kind:     by_value
    .group_segment_fixed_size: 0
    .kernarg_segment_align: 8
    .kernarg_segment_size: 144
    .language:       OpenCL C
    .language_version:
      - 2
      - 0
    .max_flat_workgroup_size: 256
    .name:           _ZN7rocprim17ROCPRIM_400000_NS6detail17trampoline_kernelINS0_13select_configILj256ELj13ELNS0_17block_load_methodE3ELS4_3ELS4_3ELNS0_20block_scan_algorithmE0ELj4294967295EEENS1_25partition_config_selectorILNS1_17partition_subalgoE3EjNS0_10empty_typeEbEEZZNS1_14partition_implILS8_3ELb0ES6_jNS0_17counting_iteratorIjlEEPS9_SE_NS0_5tupleIJPjSE_EEENSF_IJSE_SE_EEES9_SG_JZNS1_25segmented_radix_sort_implINS0_14default_configELb0EPK6__halfPSL_PKlPlN2at6native12_GLOBAL__N_18offset_tEEE10hipError_tPvRmT1_PNSt15iterator_traitsISZ_E10value_typeET2_T3_PNS10_IS15_E10value_typeET4_jRbjT5_S1B_jjP12ihipStream_tbEUljE_EEESW_SX_SY_S15_S19_S1B_T6_T7_T9_mT8_S1D_bDpT10_ENKUlT_T0_E_clISt17integral_constantIbLb1EES1P_IbLb0EEEEDaS1L_S1M_EUlS1L_E_NS1_11comp_targetILNS1_3genE0ELNS1_11target_archE4294967295ELNS1_3gpuE0ELNS1_3repE0EEENS1_30default_config_static_selectorELNS0_4arch9wavefront6targetE0EEEvSZ_
    .private_segment_fixed_size: 0
    .sgpr_count:     0
    .sgpr_spill_count: 0
    .symbol:         _ZN7rocprim17ROCPRIM_400000_NS6detail17trampoline_kernelINS0_13select_configILj256ELj13ELNS0_17block_load_methodE3ELS4_3ELS4_3ELNS0_20block_scan_algorithmE0ELj4294967295EEENS1_25partition_config_selectorILNS1_17partition_subalgoE3EjNS0_10empty_typeEbEEZZNS1_14partition_implILS8_3ELb0ES6_jNS0_17counting_iteratorIjlEEPS9_SE_NS0_5tupleIJPjSE_EEENSF_IJSE_SE_EEES9_SG_JZNS1_25segmented_radix_sort_implINS0_14default_configELb0EPK6__halfPSL_PKlPlN2at6native12_GLOBAL__N_18offset_tEEE10hipError_tPvRmT1_PNSt15iterator_traitsISZ_E10value_typeET2_T3_PNS10_IS15_E10value_typeET4_jRbjT5_S1B_jjP12ihipStream_tbEUljE_EEESW_SX_SY_S15_S19_S1B_T6_T7_T9_mT8_S1D_bDpT10_ENKUlT_T0_E_clISt17integral_constantIbLb1EES1P_IbLb0EEEEDaS1L_S1M_EUlS1L_E_NS1_11comp_targetILNS1_3genE0ELNS1_11target_archE4294967295ELNS1_3gpuE0ELNS1_3repE0EEENS1_30default_config_static_selectorELNS0_4arch9wavefront6targetE0EEEvSZ_.kd
    .uniform_work_group_size: 1
    .uses_dynamic_stack: false
    .vgpr_count:     0
    .vgpr_spill_count: 0
    .wavefront_size: 32
  - .args:
      - .offset:         0
        .size:           144
        .value_kind:     by_value
    .group_segment_fixed_size: 0
    .kernarg_segment_align: 8
    .kernarg_segment_size: 144
    .language:       OpenCL C
    .language_version:
      - 2
      - 0
    .max_flat_workgroup_size: 256
    .name:           _ZN7rocprim17ROCPRIM_400000_NS6detail17trampoline_kernelINS0_13select_configILj256ELj13ELNS0_17block_load_methodE3ELS4_3ELS4_3ELNS0_20block_scan_algorithmE0ELj4294967295EEENS1_25partition_config_selectorILNS1_17partition_subalgoE3EjNS0_10empty_typeEbEEZZNS1_14partition_implILS8_3ELb0ES6_jNS0_17counting_iteratorIjlEEPS9_SE_NS0_5tupleIJPjSE_EEENSF_IJSE_SE_EEES9_SG_JZNS1_25segmented_radix_sort_implINS0_14default_configELb0EPK6__halfPSL_PKlPlN2at6native12_GLOBAL__N_18offset_tEEE10hipError_tPvRmT1_PNSt15iterator_traitsISZ_E10value_typeET2_T3_PNS10_IS15_E10value_typeET4_jRbjT5_S1B_jjP12ihipStream_tbEUljE_EEESW_SX_SY_S15_S19_S1B_T6_T7_T9_mT8_S1D_bDpT10_ENKUlT_T0_E_clISt17integral_constantIbLb1EES1P_IbLb0EEEEDaS1L_S1M_EUlS1L_E_NS1_11comp_targetILNS1_3genE5ELNS1_11target_archE942ELNS1_3gpuE9ELNS1_3repE0EEENS1_30default_config_static_selectorELNS0_4arch9wavefront6targetE0EEEvSZ_
    .private_segment_fixed_size: 0
    .sgpr_count:     0
    .sgpr_spill_count: 0
    .symbol:         _ZN7rocprim17ROCPRIM_400000_NS6detail17trampoline_kernelINS0_13select_configILj256ELj13ELNS0_17block_load_methodE3ELS4_3ELS4_3ELNS0_20block_scan_algorithmE0ELj4294967295EEENS1_25partition_config_selectorILNS1_17partition_subalgoE3EjNS0_10empty_typeEbEEZZNS1_14partition_implILS8_3ELb0ES6_jNS0_17counting_iteratorIjlEEPS9_SE_NS0_5tupleIJPjSE_EEENSF_IJSE_SE_EEES9_SG_JZNS1_25segmented_radix_sort_implINS0_14default_configELb0EPK6__halfPSL_PKlPlN2at6native12_GLOBAL__N_18offset_tEEE10hipError_tPvRmT1_PNSt15iterator_traitsISZ_E10value_typeET2_T3_PNS10_IS15_E10value_typeET4_jRbjT5_S1B_jjP12ihipStream_tbEUljE_EEESW_SX_SY_S15_S19_S1B_T6_T7_T9_mT8_S1D_bDpT10_ENKUlT_T0_E_clISt17integral_constantIbLb1EES1P_IbLb0EEEEDaS1L_S1M_EUlS1L_E_NS1_11comp_targetILNS1_3genE5ELNS1_11target_archE942ELNS1_3gpuE9ELNS1_3repE0EEENS1_30default_config_static_selectorELNS0_4arch9wavefront6targetE0EEEvSZ_.kd
    .uniform_work_group_size: 1
    .uses_dynamic_stack: false
    .vgpr_count:     0
    .vgpr_spill_count: 0
    .wavefront_size: 32
  - .args:
      - .offset:         0
        .size:           144
        .value_kind:     by_value
    .group_segment_fixed_size: 0
    .kernarg_segment_align: 8
    .kernarg_segment_size: 144
    .language:       OpenCL C
    .language_version:
      - 2
      - 0
    .max_flat_workgroup_size: 256
    .name:           _ZN7rocprim17ROCPRIM_400000_NS6detail17trampoline_kernelINS0_13select_configILj256ELj13ELNS0_17block_load_methodE3ELS4_3ELS4_3ELNS0_20block_scan_algorithmE0ELj4294967295EEENS1_25partition_config_selectorILNS1_17partition_subalgoE3EjNS0_10empty_typeEbEEZZNS1_14partition_implILS8_3ELb0ES6_jNS0_17counting_iteratorIjlEEPS9_SE_NS0_5tupleIJPjSE_EEENSF_IJSE_SE_EEES9_SG_JZNS1_25segmented_radix_sort_implINS0_14default_configELb0EPK6__halfPSL_PKlPlN2at6native12_GLOBAL__N_18offset_tEEE10hipError_tPvRmT1_PNSt15iterator_traitsISZ_E10value_typeET2_T3_PNS10_IS15_E10value_typeET4_jRbjT5_S1B_jjP12ihipStream_tbEUljE_EEESW_SX_SY_S15_S19_S1B_T6_T7_T9_mT8_S1D_bDpT10_ENKUlT_T0_E_clISt17integral_constantIbLb1EES1P_IbLb0EEEEDaS1L_S1M_EUlS1L_E_NS1_11comp_targetILNS1_3genE4ELNS1_11target_archE910ELNS1_3gpuE8ELNS1_3repE0EEENS1_30default_config_static_selectorELNS0_4arch9wavefront6targetE0EEEvSZ_
    .private_segment_fixed_size: 0
    .sgpr_count:     0
    .sgpr_spill_count: 0
    .symbol:         _ZN7rocprim17ROCPRIM_400000_NS6detail17trampoline_kernelINS0_13select_configILj256ELj13ELNS0_17block_load_methodE3ELS4_3ELS4_3ELNS0_20block_scan_algorithmE0ELj4294967295EEENS1_25partition_config_selectorILNS1_17partition_subalgoE3EjNS0_10empty_typeEbEEZZNS1_14partition_implILS8_3ELb0ES6_jNS0_17counting_iteratorIjlEEPS9_SE_NS0_5tupleIJPjSE_EEENSF_IJSE_SE_EEES9_SG_JZNS1_25segmented_radix_sort_implINS0_14default_configELb0EPK6__halfPSL_PKlPlN2at6native12_GLOBAL__N_18offset_tEEE10hipError_tPvRmT1_PNSt15iterator_traitsISZ_E10value_typeET2_T3_PNS10_IS15_E10value_typeET4_jRbjT5_S1B_jjP12ihipStream_tbEUljE_EEESW_SX_SY_S15_S19_S1B_T6_T7_T9_mT8_S1D_bDpT10_ENKUlT_T0_E_clISt17integral_constantIbLb1EES1P_IbLb0EEEEDaS1L_S1M_EUlS1L_E_NS1_11comp_targetILNS1_3genE4ELNS1_11target_archE910ELNS1_3gpuE8ELNS1_3repE0EEENS1_30default_config_static_selectorELNS0_4arch9wavefront6targetE0EEEvSZ_.kd
    .uniform_work_group_size: 1
    .uses_dynamic_stack: false
    .vgpr_count:     0
    .vgpr_spill_count: 0
    .wavefront_size: 32
  - .args:
      - .offset:         0
        .size:           144
        .value_kind:     by_value
    .group_segment_fixed_size: 0
    .kernarg_segment_align: 8
    .kernarg_segment_size: 144
    .language:       OpenCL C
    .language_version:
      - 2
      - 0
    .max_flat_workgroup_size: 256
    .name:           _ZN7rocprim17ROCPRIM_400000_NS6detail17trampoline_kernelINS0_13select_configILj256ELj13ELNS0_17block_load_methodE3ELS4_3ELS4_3ELNS0_20block_scan_algorithmE0ELj4294967295EEENS1_25partition_config_selectorILNS1_17partition_subalgoE3EjNS0_10empty_typeEbEEZZNS1_14partition_implILS8_3ELb0ES6_jNS0_17counting_iteratorIjlEEPS9_SE_NS0_5tupleIJPjSE_EEENSF_IJSE_SE_EEES9_SG_JZNS1_25segmented_radix_sort_implINS0_14default_configELb0EPK6__halfPSL_PKlPlN2at6native12_GLOBAL__N_18offset_tEEE10hipError_tPvRmT1_PNSt15iterator_traitsISZ_E10value_typeET2_T3_PNS10_IS15_E10value_typeET4_jRbjT5_S1B_jjP12ihipStream_tbEUljE_EEESW_SX_SY_S15_S19_S1B_T6_T7_T9_mT8_S1D_bDpT10_ENKUlT_T0_E_clISt17integral_constantIbLb1EES1P_IbLb0EEEEDaS1L_S1M_EUlS1L_E_NS1_11comp_targetILNS1_3genE3ELNS1_11target_archE908ELNS1_3gpuE7ELNS1_3repE0EEENS1_30default_config_static_selectorELNS0_4arch9wavefront6targetE0EEEvSZ_
    .private_segment_fixed_size: 0
    .sgpr_count:     0
    .sgpr_spill_count: 0
    .symbol:         _ZN7rocprim17ROCPRIM_400000_NS6detail17trampoline_kernelINS0_13select_configILj256ELj13ELNS0_17block_load_methodE3ELS4_3ELS4_3ELNS0_20block_scan_algorithmE0ELj4294967295EEENS1_25partition_config_selectorILNS1_17partition_subalgoE3EjNS0_10empty_typeEbEEZZNS1_14partition_implILS8_3ELb0ES6_jNS0_17counting_iteratorIjlEEPS9_SE_NS0_5tupleIJPjSE_EEENSF_IJSE_SE_EEES9_SG_JZNS1_25segmented_radix_sort_implINS0_14default_configELb0EPK6__halfPSL_PKlPlN2at6native12_GLOBAL__N_18offset_tEEE10hipError_tPvRmT1_PNSt15iterator_traitsISZ_E10value_typeET2_T3_PNS10_IS15_E10value_typeET4_jRbjT5_S1B_jjP12ihipStream_tbEUljE_EEESW_SX_SY_S15_S19_S1B_T6_T7_T9_mT8_S1D_bDpT10_ENKUlT_T0_E_clISt17integral_constantIbLb1EES1P_IbLb0EEEEDaS1L_S1M_EUlS1L_E_NS1_11comp_targetILNS1_3genE3ELNS1_11target_archE908ELNS1_3gpuE7ELNS1_3repE0EEENS1_30default_config_static_selectorELNS0_4arch9wavefront6targetE0EEEvSZ_.kd
    .uniform_work_group_size: 1
    .uses_dynamic_stack: false
    .vgpr_count:     0
    .vgpr_spill_count: 0
    .wavefront_size: 32
  - .args:
      - .offset:         0
        .size:           144
        .value_kind:     by_value
    .group_segment_fixed_size: 0
    .kernarg_segment_align: 8
    .kernarg_segment_size: 144
    .language:       OpenCL C
    .language_version:
      - 2
      - 0
    .max_flat_workgroup_size: 256
    .name:           _ZN7rocprim17ROCPRIM_400000_NS6detail17trampoline_kernelINS0_13select_configILj256ELj13ELNS0_17block_load_methodE3ELS4_3ELS4_3ELNS0_20block_scan_algorithmE0ELj4294967295EEENS1_25partition_config_selectorILNS1_17partition_subalgoE3EjNS0_10empty_typeEbEEZZNS1_14partition_implILS8_3ELb0ES6_jNS0_17counting_iteratorIjlEEPS9_SE_NS0_5tupleIJPjSE_EEENSF_IJSE_SE_EEES9_SG_JZNS1_25segmented_radix_sort_implINS0_14default_configELb0EPK6__halfPSL_PKlPlN2at6native12_GLOBAL__N_18offset_tEEE10hipError_tPvRmT1_PNSt15iterator_traitsISZ_E10value_typeET2_T3_PNS10_IS15_E10value_typeET4_jRbjT5_S1B_jjP12ihipStream_tbEUljE_EEESW_SX_SY_S15_S19_S1B_T6_T7_T9_mT8_S1D_bDpT10_ENKUlT_T0_E_clISt17integral_constantIbLb1EES1P_IbLb0EEEEDaS1L_S1M_EUlS1L_E_NS1_11comp_targetILNS1_3genE2ELNS1_11target_archE906ELNS1_3gpuE6ELNS1_3repE0EEENS1_30default_config_static_selectorELNS0_4arch9wavefront6targetE0EEEvSZ_
    .private_segment_fixed_size: 0
    .sgpr_count:     0
    .sgpr_spill_count: 0
    .symbol:         _ZN7rocprim17ROCPRIM_400000_NS6detail17trampoline_kernelINS0_13select_configILj256ELj13ELNS0_17block_load_methodE3ELS4_3ELS4_3ELNS0_20block_scan_algorithmE0ELj4294967295EEENS1_25partition_config_selectorILNS1_17partition_subalgoE3EjNS0_10empty_typeEbEEZZNS1_14partition_implILS8_3ELb0ES6_jNS0_17counting_iteratorIjlEEPS9_SE_NS0_5tupleIJPjSE_EEENSF_IJSE_SE_EEES9_SG_JZNS1_25segmented_radix_sort_implINS0_14default_configELb0EPK6__halfPSL_PKlPlN2at6native12_GLOBAL__N_18offset_tEEE10hipError_tPvRmT1_PNSt15iterator_traitsISZ_E10value_typeET2_T3_PNS10_IS15_E10value_typeET4_jRbjT5_S1B_jjP12ihipStream_tbEUljE_EEESW_SX_SY_S15_S19_S1B_T6_T7_T9_mT8_S1D_bDpT10_ENKUlT_T0_E_clISt17integral_constantIbLb1EES1P_IbLb0EEEEDaS1L_S1M_EUlS1L_E_NS1_11comp_targetILNS1_3genE2ELNS1_11target_archE906ELNS1_3gpuE6ELNS1_3repE0EEENS1_30default_config_static_selectorELNS0_4arch9wavefront6targetE0EEEvSZ_.kd
    .uniform_work_group_size: 1
    .uses_dynamic_stack: false
    .vgpr_count:     0
    .vgpr_spill_count: 0
    .wavefront_size: 32
  - .args:
      - .offset:         0
        .size:           144
        .value_kind:     by_value
    .group_segment_fixed_size: 0
    .kernarg_segment_align: 8
    .kernarg_segment_size: 144
    .language:       OpenCL C
    .language_version:
      - 2
      - 0
    .max_flat_workgroup_size: 256
    .name:           _ZN7rocprim17ROCPRIM_400000_NS6detail17trampoline_kernelINS0_13select_configILj256ELj13ELNS0_17block_load_methodE3ELS4_3ELS4_3ELNS0_20block_scan_algorithmE0ELj4294967295EEENS1_25partition_config_selectorILNS1_17partition_subalgoE3EjNS0_10empty_typeEbEEZZNS1_14partition_implILS8_3ELb0ES6_jNS0_17counting_iteratorIjlEEPS9_SE_NS0_5tupleIJPjSE_EEENSF_IJSE_SE_EEES9_SG_JZNS1_25segmented_radix_sort_implINS0_14default_configELb0EPK6__halfPSL_PKlPlN2at6native12_GLOBAL__N_18offset_tEEE10hipError_tPvRmT1_PNSt15iterator_traitsISZ_E10value_typeET2_T3_PNS10_IS15_E10value_typeET4_jRbjT5_S1B_jjP12ihipStream_tbEUljE_EEESW_SX_SY_S15_S19_S1B_T6_T7_T9_mT8_S1D_bDpT10_ENKUlT_T0_E_clISt17integral_constantIbLb1EES1P_IbLb0EEEEDaS1L_S1M_EUlS1L_E_NS1_11comp_targetILNS1_3genE10ELNS1_11target_archE1200ELNS1_3gpuE4ELNS1_3repE0EEENS1_30default_config_static_selectorELNS0_4arch9wavefront6targetE0EEEvSZ_
    .private_segment_fixed_size: 0
    .sgpr_count:     0
    .sgpr_spill_count: 0
    .symbol:         _ZN7rocprim17ROCPRIM_400000_NS6detail17trampoline_kernelINS0_13select_configILj256ELj13ELNS0_17block_load_methodE3ELS4_3ELS4_3ELNS0_20block_scan_algorithmE0ELj4294967295EEENS1_25partition_config_selectorILNS1_17partition_subalgoE3EjNS0_10empty_typeEbEEZZNS1_14partition_implILS8_3ELb0ES6_jNS0_17counting_iteratorIjlEEPS9_SE_NS0_5tupleIJPjSE_EEENSF_IJSE_SE_EEES9_SG_JZNS1_25segmented_radix_sort_implINS0_14default_configELb0EPK6__halfPSL_PKlPlN2at6native12_GLOBAL__N_18offset_tEEE10hipError_tPvRmT1_PNSt15iterator_traitsISZ_E10value_typeET2_T3_PNS10_IS15_E10value_typeET4_jRbjT5_S1B_jjP12ihipStream_tbEUljE_EEESW_SX_SY_S15_S19_S1B_T6_T7_T9_mT8_S1D_bDpT10_ENKUlT_T0_E_clISt17integral_constantIbLb1EES1P_IbLb0EEEEDaS1L_S1M_EUlS1L_E_NS1_11comp_targetILNS1_3genE10ELNS1_11target_archE1200ELNS1_3gpuE4ELNS1_3repE0EEENS1_30default_config_static_selectorELNS0_4arch9wavefront6targetE0EEEvSZ_.kd
    .uniform_work_group_size: 1
    .uses_dynamic_stack: false
    .vgpr_count:     0
    .vgpr_spill_count: 0
    .wavefront_size: 32
  - .args:
      - .offset:         0
        .size:           144
        .value_kind:     by_value
    .group_segment_fixed_size: 0
    .kernarg_segment_align: 8
    .kernarg_segment_size: 144
    .language:       OpenCL C
    .language_version:
      - 2
      - 0
    .max_flat_workgroup_size: 256
    .name:           _ZN7rocprim17ROCPRIM_400000_NS6detail17trampoline_kernelINS0_13select_configILj256ELj13ELNS0_17block_load_methodE3ELS4_3ELS4_3ELNS0_20block_scan_algorithmE0ELj4294967295EEENS1_25partition_config_selectorILNS1_17partition_subalgoE3EjNS0_10empty_typeEbEEZZNS1_14partition_implILS8_3ELb0ES6_jNS0_17counting_iteratorIjlEEPS9_SE_NS0_5tupleIJPjSE_EEENSF_IJSE_SE_EEES9_SG_JZNS1_25segmented_radix_sort_implINS0_14default_configELb0EPK6__halfPSL_PKlPlN2at6native12_GLOBAL__N_18offset_tEEE10hipError_tPvRmT1_PNSt15iterator_traitsISZ_E10value_typeET2_T3_PNS10_IS15_E10value_typeET4_jRbjT5_S1B_jjP12ihipStream_tbEUljE_EEESW_SX_SY_S15_S19_S1B_T6_T7_T9_mT8_S1D_bDpT10_ENKUlT_T0_E_clISt17integral_constantIbLb1EES1P_IbLb0EEEEDaS1L_S1M_EUlS1L_E_NS1_11comp_targetILNS1_3genE9ELNS1_11target_archE1100ELNS1_3gpuE3ELNS1_3repE0EEENS1_30default_config_static_selectorELNS0_4arch9wavefront6targetE0EEEvSZ_
    .private_segment_fixed_size: 0
    .sgpr_count:     0
    .sgpr_spill_count: 0
    .symbol:         _ZN7rocprim17ROCPRIM_400000_NS6detail17trampoline_kernelINS0_13select_configILj256ELj13ELNS0_17block_load_methodE3ELS4_3ELS4_3ELNS0_20block_scan_algorithmE0ELj4294967295EEENS1_25partition_config_selectorILNS1_17partition_subalgoE3EjNS0_10empty_typeEbEEZZNS1_14partition_implILS8_3ELb0ES6_jNS0_17counting_iteratorIjlEEPS9_SE_NS0_5tupleIJPjSE_EEENSF_IJSE_SE_EEES9_SG_JZNS1_25segmented_radix_sort_implINS0_14default_configELb0EPK6__halfPSL_PKlPlN2at6native12_GLOBAL__N_18offset_tEEE10hipError_tPvRmT1_PNSt15iterator_traitsISZ_E10value_typeET2_T3_PNS10_IS15_E10value_typeET4_jRbjT5_S1B_jjP12ihipStream_tbEUljE_EEESW_SX_SY_S15_S19_S1B_T6_T7_T9_mT8_S1D_bDpT10_ENKUlT_T0_E_clISt17integral_constantIbLb1EES1P_IbLb0EEEEDaS1L_S1M_EUlS1L_E_NS1_11comp_targetILNS1_3genE9ELNS1_11target_archE1100ELNS1_3gpuE3ELNS1_3repE0EEENS1_30default_config_static_selectorELNS0_4arch9wavefront6targetE0EEEvSZ_.kd
    .uniform_work_group_size: 1
    .uses_dynamic_stack: false
    .vgpr_count:     0
    .vgpr_spill_count: 0
    .wavefront_size: 32
  - .args:
      - .offset:         0
        .size:           144
        .value_kind:     by_value
    .group_segment_fixed_size: 0
    .kernarg_segment_align: 8
    .kernarg_segment_size: 144
    .language:       OpenCL C
    .language_version:
      - 2
      - 0
    .max_flat_workgroup_size: 256
    .name:           _ZN7rocprim17ROCPRIM_400000_NS6detail17trampoline_kernelINS0_13select_configILj256ELj13ELNS0_17block_load_methodE3ELS4_3ELS4_3ELNS0_20block_scan_algorithmE0ELj4294967295EEENS1_25partition_config_selectorILNS1_17partition_subalgoE3EjNS0_10empty_typeEbEEZZNS1_14partition_implILS8_3ELb0ES6_jNS0_17counting_iteratorIjlEEPS9_SE_NS0_5tupleIJPjSE_EEENSF_IJSE_SE_EEES9_SG_JZNS1_25segmented_radix_sort_implINS0_14default_configELb0EPK6__halfPSL_PKlPlN2at6native12_GLOBAL__N_18offset_tEEE10hipError_tPvRmT1_PNSt15iterator_traitsISZ_E10value_typeET2_T3_PNS10_IS15_E10value_typeET4_jRbjT5_S1B_jjP12ihipStream_tbEUljE_EEESW_SX_SY_S15_S19_S1B_T6_T7_T9_mT8_S1D_bDpT10_ENKUlT_T0_E_clISt17integral_constantIbLb1EES1P_IbLb0EEEEDaS1L_S1M_EUlS1L_E_NS1_11comp_targetILNS1_3genE8ELNS1_11target_archE1030ELNS1_3gpuE2ELNS1_3repE0EEENS1_30default_config_static_selectorELNS0_4arch9wavefront6targetE0EEEvSZ_
    .private_segment_fixed_size: 0
    .sgpr_count:     0
    .sgpr_spill_count: 0
    .symbol:         _ZN7rocprim17ROCPRIM_400000_NS6detail17trampoline_kernelINS0_13select_configILj256ELj13ELNS0_17block_load_methodE3ELS4_3ELS4_3ELNS0_20block_scan_algorithmE0ELj4294967295EEENS1_25partition_config_selectorILNS1_17partition_subalgoE3EjNS0_10empty_typeEbEEZZNS1_14partition_implILS8_3ELb0ES6_jNS0_17counting_iteratorIjlEEPS9_SE_NS0_5tupleIJPjSE_EEENSF_IJSE_SE_EEES9_SG_JZNS1_25segmented_radix_sort_implINS0_14default_configELb0EPK6__halfPSL_PKlPlN2at6native12_GLOBAL__N_18offset_tEEE10hipError_tPvRmT1_PNSt15iterator_traitsISZ_E10value_typeET2_T3_PNS10_IS15_E10value_typeET4_jRbjT5_S1B_jjP12ihipStream_tbEUljE_EEESW_SX_SY_S15_S19_S1B_T6_T7_T9_mT8_S1D_bDpT10_ENKUlT_T0_E_clISt17integral_constantIbLb1EES1P_IbLb0EEEEDaS1L_S1M_EUlS1L_E_NS1_11comp_targetILNS1_3genE8ELNS1_11target_archE1030ELNS1_3gpuE2ELNS1_3repE0EEENS1_30default_config_static_selectorELNS0_4arch9wavefront6targetE0EEEvSZ_.kd
    .uniform_work_group_size: 1
    .uses_dynamic_stack: false
    .vgpr_count:     0
    .vgpr_spill_count: 0
    .wavefront_size: 32
  - .args:
      - .offset:         0
        .size:           152
        .value_kind:     by_value
    .group_segment_fixed_size: 13320
    .kernarg_segment_align: 8
    .kernarg_segment_size: 152
    .language:       OpenCL C
    .language_version:
      - 2
      - 0
    .max_flat_workgroup_size: 256
    .name:           _ZN7rocprim17ROCPRIM_400000_NS6detail17trampoline_kernelINS0_13select_configILj256ELj13ELNS0_17block_load_methodE3ELS4_3ELS4_3ELNS0_20block_scan_algorithmE0ELj4294967295EEENS1_25partition_config_selectorILNS1_17partition_subalgoE3EjNS0_10empty_typeEbEEZZNS1_14partition_implILS8_3ELb0ES6_jNS0_17counting_iteratorIjlEEPS9_SE_NS0_5tupleIJPjSE_EEENSF_IJSE_SE_EEES9_SG_JZNS1_25segmented_radix_sort_implINS0_14default_configELb0EPK6__halfPSL_PKlPlN2at6native12_GLOBAL__N_18offset_tEEE10hipError_tPvRmT1_PNSt15iterator_traitsISZ_E10value_typeET2_T3_PNS10_IS15_E10value_typeET4_jRbjT5_S1B_jjP12ihipStream_tbEUljE_EEESW_SX_SY_S15_S19_S1B_T6_T7_T9_mT8_S1D_bDpT10_ENKUlT_T0_E_clISt17integral_constantIbLb0EES1P_IbLb1EEEEDaS1L_S1M_EUlS1L_E_NS1_11comp_targetILNS1_3genE0ELNS1_11target_archE4294967295ELNS1_3gpuE0ELNS1_3repE0EEENS1_30default_config_static_selectorELNS0_4arch9wavefront6targetE0EEEvSZ_
    .private_segment_fixed_size: 0
    .sgpr_count:     26
    .sgpr_spill_count: 0
    .symbol:         _ZN7rocprim17ROCPRIM_400000_NS6detail17trampoline_kernelINS0_13select_configILj256ELj13ELNS0_17block_load_methodE3ELS4_3ELS4_3ELNS0_20block_scan_algorithmE0ELj4294967295EEENS1_25partition_config_selectorILNS1_17partition_subalgoE3EjNS0_10empty_typeEbEEZZNS1_14partition_implILS8_3ELb0ES6_jNS0_17counting_iteratorIjlEEPS9_SE_NS0_5tupleIJPjSE_EEENSF_IJSE_SE_EEES9_SG_JZNS1_25segmented_radix_sort_implINS0_14default_configELb0EPK6__halfPSL_PKlPlN2at6native12_GLOBAL__N_18offset_tEEE10hipError_tPvRmT1_PNSt15iterator_traitsISZ_E10value_typeET2_T3_PNS10_IS15_E10value_typeET4_jRbjT5_S1B_jjP12ihipStream_tbEUljE_EEESW_SX_SY_S15_S19_S1B_T6_T7_T9_mT8_S1D_bDpT10_ENKUlT_T0_E_clISt17integral_constantIbLb0EES1P_IbLb1EEEEDaS1L_S1M_EUlS1L_E_NS1_11comp_targetILNS1_3genE0ELNS1_11target_archE4294967295ELNS1_3gpuE0ELNS1_3repE0EEENS1_30default_config_static_selectorELNS0_4arch9wavefront6targetE0EEEvSZ_.kd
    .uniform_work_group_size: 1
    .uses_dynamic_stack: false
    .vgpr_count:     72
    .vgpr_spill_count: 0
    .wavefront_size: 32
  - .args:
      - .offset:         0
        .size:           152
        .value_kind:     by_value
    .group_segment_fixed_size: 0
    .kernarg_segment_align: 8
    .kernarg_segment_size: 152
    .language:       OpenCL C
    .language_version:
      - 2
      - 0
    .max_flat_workgroup_size: 256
    .name:           _ZN7rocprim17ROCPRIM_400000_NS6detail17trampoline_kernelINS0_13select_configILj256ELj13ELNS0_17block_load_methodE3ELS4_3ELS4_3ELNS0_20block_scan_algorithmE0ELj4294967295EEENS1_25partition_config_selectorILNS1_17partition_subalgoE3EjNS0_10empty_typeEbEEZZNS1_14partition_implILS8_3ELb0ES6_jNS0_17counting_iteratorIjlEEPS9_SE_NS0_5tupleIJPjSE_EEENSF_IJSE_SE_EEES9_SG_JZNS1_25segmented_radix_sort_implINS0_14default_configELb0EPK6__halfPSL_PKlPlN2at6native12_GLOBAL__N_18offset_tEEE10hipError_tPvRmT1_PNSt15iterator_traitsISZ_E10value_typeET2_T3_PNS10_IS15_E10value_typeET4_jRbjT5_S1B_jjP12ihipStream_tbEUljE_EEESW_SX_SY_S15_S19_S1B_T6_T7_T9_mT8_S1D_bDpT10_ENKUlT_T0_E_clISt17integral_constantIbLb0EES1P_IbLb1EEEEDaS1L_S1M_EUlS1L_E_NS1_11comp_targetILNS1_3genE5ELNS1_11target_archE942ELNS1_3gpuE9ELNS1_3repE0EEENS1_30default_config_static_selectorELNS0_4arch9wavefront6targetE0EEEvSZ_
    .private_segment_fixed_size: 0
    .sgpr_count:     0
    .sgpr_spill_count: 0
    .symbol:         _ZN7rocprim17ROCPRIM_400000_NS6detail17trampoline_kernelINS0_13select_configILj256ELj13ELNS0_17block_load_methodE3ELS4_3ELS4_3ELNS0_20block_scan_algorithmE0ELj4294967295EEENS1_25partition_config_selectorILNS1_17partition_subalgoE3EjNS0_10empty_typeEbEEZZNS1_14partition_implILS8_3ELb0ES6_jNS0_17counting_iteratorIjlEEPS9_SE_NS0_5tupleIJPjSE_EEENSF_IJSE_SE_EEES9_SG_JZNS1_25segmented_radix_sort_implINS0_14default_configELb0EPK6__halfPSL_PKlPlN2at6native12_GLOBAL__N_18offset_tEEE10hipError_tPvRmT1_PNSt15iterator_traitsISZ_E10value_typeET2_T3_PNS10_IS15_E10value_typeET4_jRbjT5_S1B_jjP12ihipStream_tbEUljE_EEESW_SX_SY_S15_S19_S1B_T6_T7_T9_mT8_S1D_bDpT10_ENKUlT_T0_E_clISt17integral_constantIbLb0EES1P_IbLb1EEEEDaS1L_S1M_EUlS1L_E_NS1_11comp_targetILNS1_3genE5ELNS1_11target_archE942ELNS1_3gpuE9ELNS1_3repE0EEENS1_30default_config_static_selectorELNS0_4arch9wavefront6targetE0EEEvSZ_.kd
    .uniform_work_group_size: 1
    .uses_dynamic_stack: false
    .vgpr_count:     0
    .vgpr_spill_count: 0
    .wavefront_size: 32
  - .args:
      - .offset:         0
        .size:           152
        .value_kind:     by_value
    .group_segment_fixed_size: 0
    .kernarg_segment_align: 8
    .kernarg_segment_size: 152
    .language:       OpenCL C
    .language_version:
      - 2
      - 0
    .max_flat_workgroup_size: 256
    .name:           _ZN7rocprim17ROCPRIM_400000_NS6detail17trampoline_kernelINS0_13select_configILj256ELj13ELNS0_17block_load_methodE3ELS4_3ELS4_3ELNS0_20block_scan_algorithmE0ELj4294967295EEENS1_25partition_config_selectorILNS1_17partition_subalgoE3EjNS0_10empty_typeEbEEZZNS1_14partition_implILS8_3ELb0ES6_jNS0_17counting_iteratorIjlEEPS9_SE_NS0_5tupleIJPjSE_EEENSF_IJSE_SE_EEES9_SG_JZNS1_25segmented_radix_sort_implINS0_14default_configELb0EPK6__halfPSL_PKlPlN2at6native12_GLOBAL__N_18offset_tEEE10hipError_tPvRmT1_PNSt15iterator_traitsISZ_E10value_typeET2_T3_PNS10_IS15_E10value_typeET4_jRbjT5_S1B_jjP12ihipStream_tbEUljE_EEESW_SX_SY_S15_S19_S1B_T6_T7_T9_mT8_S1D_bDpT10_ENKUlT_T0_E_clISt17integral_constantIbLb0EES1P_IbLb1EEEEDaS1L_S1M_EUlS1L_E_NS1_11comp_targetILNS1_3genE4ELNS1_11target_archE910ELNS1_3gpuE8ELNS1_3repE0EEENS1_30default_config_static_selectorELNS0_4arch9wavefront6targetE0EEEvSZ_
    .private_segment_fixed_size: 0
    .sgpr_count:     0
    .sgpr_spill_count: 0
    .symbol:         _ZN7rocprim17ROCPRIM_400000_NS6detail17trampoline_kernelINS0_13select_configILj256ELj13ELNS0_17block_load_methodE3ELS4_3ELS4_3ELNS0_20block_scan_algorithmE0ELj4294967295EEENS1_25partition_config_selectorILNS1_17partition_subalgoE3EjNS0_10empty_typeEbEEZZNS1_14partition_implILS8_3ELb0ES6_jNS0_17counting_iteratorIjlEEPS9_SE_NS0_5tupleIJPjSE_EEENSF_IJSE_SE_EEES9_SG_JZNS1_25segmented_radix_sort_implINS0_14default_configELb0EPK6__halfPSL_PKlPlN2at6native12_GLOBAL__N_18offset_tEEE10hipError_tPvRmT1_PNSt15iterator_traitsISZ_E10value_typeET2_T3_PNS10_IS15_E10value_typeET4_jRbjT5_S1B_jjP12ihipStream_tbEUljE_EEESW_SX_SY_S15_S19_S1B_T6_T7_T9_mT8_S1D_bDpT10_ENKUlT_T0_E_clISt17integral_constantIbLb0EES1P_IbLb1EEEEDaS1L_S1M_EUlS1L_E_NS1_11comp_targetILNS1_3genE4ELNS1_11target_archE910ELNS1_3gpuE8ELNS1_3repE0EEENS1_30default_config_static_selectorELNS0_4arch9wavefront6targetE0EEEvSZ_.kd
    .uniform_work_group_size: 1
    .uses_dynamic_stack: false
    .vgpr_count:     0
    .vgpr_spill_count: 0
    .wavefront_size: 32
  - .args:
      - .offset:         0
        .size:           152
        .value_kind:     by_value
    .group_segment_fixed_size: 0
    .kernarg_segment_align: 8
    .kernarg_segment_size: 152
    .language:       OpenCL C
    .language_version:
      - 2
      - 0
    .max_flat_workgroup_size: 256
    .name:           _ZN7rocprim17ROCPRIM_400000_NS6detail17trampoline_kernelINS0_13select_configILj256ELj13ELNS0_17block_load_methodE3ELS4_3ELS4_3ELNS0_20block_scan_algorithmE0ELj4294967295EEENS1_25partition_config_selectorILNS1_17partition_subalgoE3EjNS0_10empty_typeEbEEZZNS1_14partition_implILS8_3ELb0ES6_jNS0_17counting_iteratorIjlEEPS9_SE_NS0_5tupleIJPjSE_EEENSF_IJSE_SE_EEES9_SG_JZNS1_25segmented_radix_sort_implINS0_14default_configELb0EPK6__halfPSL_PKlPlN2at6native12_GLOBAL__N_18offset_tEEE10hipError_tPvRmT1_PNSt15iterator_traitsISZ_E10value_typeET2_T3_PNS10_IS15_E10value_typeET4_jRbjT5_S1B_jjP12ihipStream_tbEUljE_EEESW_SX_SY_S15_S19_S1B_T6_T7_T9_mT8_S1D_bDpT10_ENKUlT_T0_E_clISt17integral_constantIbLb0EES1P_IbLb1EEEEDaS1L_S1M_EUlS1L_E_NS1_11comp_targetILNS1_3genE3ELNS1_11target_archE908ELNS1_3gpuE7ELNS1_3repE0EEENS1_30default_config_static_selectorELNS0_4arch9wavefront6targetE0EEEvSZ_
    .private_segment_fixed_size: 0
    .sgpr_count:     0
    .sgpr_spill_count: 0
    .symbol:         _ZN7rocprim17ROCPRIM_400000_NS6detail17trampoline_kernelINS0_13select_configILj256ELj13ELNS0_17block_load_methodE3ELS4_3ELS4_3ELNS0_20block_scan_algorithmE0ELj4294967295EEENS1_25partition_config_selectorILNS1_17partition_subalgoE3EjNS0_10empty_typeEbEEZZNS1_14partition_implILS8_3ELb0ES6_jNS0_17counting_iteratorIjlEEPS9_SE_NS0_5tupleIJPjSE_EEENSF_IJSE_SE_EEES9_SG_JZNS1_25segmented_radix_sort_implINS0_14default_configELb0EPK6__halfPSL_PKlPlN2at6native12_GLOBAL__N_18offset_tEEE10hipError_tPvRmT1_PNSt15iterator_traitsISZ_E10value_typeET2_T3_PNS10_IS15_E10value_typeET4_jRbjT5_S1B_jjP12ihipStream_tbEUljE_EEESW_SX_SY_S15_S19_S1B_T6_T7_T9_mT8_S1D_bDpT10_ENKUlT_T0_E_clISt17integral_constantIbLb0EES1P_IbLb1EEEEDaS1L_S1M_EUlS1L_E_NS1_11comp_targetILNS1_3genE3ELNS1_11target_archE908ELNS1_3gpuE7ELNS1_3repE0EEENS1_30default_config_static_selectorELNS0_4arch9wavefront6targetE0EEEvSZ_.kd
    .uniform_work_group_size: 1
    .uses_dynamic_stack: false
    .vgpr_count:     0
    .vgpr_spill_count: 0
    .wavefront_size: 32
  - .args:
      - .offset:         0
        .size:           152
        .value_kind:     by_value
    .group_segment_fixed_size: 0
    .kernarg_segment_align: 8
    .kernarg_segment_size: 152
    .language:       OpenCL C
    .language_version:
      - 2
      - 0
    .max_flat_workgroup_size: 256
    .name:           _ZN7rocprim17ROCPRIM_400000_NS6detail17trampoline_kernelINS0_13select_configILj256ELj13ELNS0_17block_load_methodE3ELS4_3ELS4_3ELNS0_20block_scan_algorithmE0ELj4294967295EEENS1_25partition_config_selectorILNS1_17partition_subalgoE3EjNS0_10empty_typeEbEEZZNS1_14partition_implILS8_3ELb0ES6_jNS0_17counting_iteratorIjlEEPS9_SE_NS0_5tupleIJPjSE_EEENSF_IJSE_SE_EEES9_SG_JZNS1_25segmented_radix_sort_implINS0_14default_configELb0EPK6__halfPSL_PKlPlN2at6native12_GLOBAL__N_18offset_tEEE10hipError_tPvRmT1_PNSt15iterator_traitsISZ_E10value_typeET2_T3_PNS10_IS15_E10value_typeET4_jRbjT5_S1B_jjP12ihipStream_tbEUljE_EEESW_SX_SY_S15_S19_S1B_T6_T7_T9_mT8_S1D_bDpT10_ENKUlT_T0_E_clISt17integral_constantIbLb0EES1P_IbLb1EEEEDaS1L_S1M_EUlS1L_E_NS1_11comp_targetILNS1_3genE2ELNS1_11target_archE906ELNS1_3gpuE6ELNS1_3repE0EEENS1_30default_config_static_selectorELNS0_4arch9wavefront6targetE0EEEvSZ_
    .private_segment_fixed_size: 0
    .sgpr_count:     0
    .sgpr_spill_count: 0
    .symbol:         _ZN7rocprim17ROCPRIM_400000_NS6detail17trampoline_kernelINS0_13select_configILj256ELj13ELNS0_17block_load_methodE3ELS4_3ELS4_3ELNS0_20block_scan_algorithmE0ELj4294967295EEENS1_25partition_config_selectorILNS1_17partition_subalgoE3EjNS0_10empty_typeEbEEZZNS1_14partition_implILS8_3ELb0ES6_jNS0_17counting_iteratorIjlEEPS9_SE_NS0_5tupleIJPjSE_EEENSF_IJSE_SE_EEES9_SG_JZNS1_25segmented_radix_sort_implINS0_14default_configELb0EPK6__halfPSL_PKlPlN2at6native12_GLOBAL__N_18offset_tEEE10hipError_tPvRmT1_PNSt15iterator_traitsISZ_E10value_typeET2_T3_PNS10_IS15_E10value_typeET4_jRbjT5_S1B_jjP12ihipStream_tbEUljE_EEESW_SX_SY_S15_S19_S1B_T6_T7_T9_mT8_S1D_bDpT10_ENKUlT_T0_E_clISt17integral_constantIbLb0EES1P_IbLb1EEEEDaS1L_S1M_EUlS1L_E_NS1_11comp_targetILNS1_3genE2ELNS1_11target_archE906ELNS1_3gpuE6ELNS1_3repE0EEENS1_30default_config_static_selectorELNS0_4arch9wavefront6targetE0EEEvSZ_.kd
    .uniform_work_group_size: 1
    .uses_dynamic_stack: false
    .vgpr_count:     0
    .vgpr_spill_count: 0
    .wavefront_size: 32
  - .args:
      - .offset:         0
        .size:           152
        .value_kind:     by_value
    .group_segment_fixed_size: 0
    .kernarg_segment_align: 8
    .kernarg_segment_size: 152
    .language:       OpenCL C
    .language_version:
      - 2
      - 0
    .max_flat_workgroup_size: 256
    .name:           _ZN7rocprim17ROCPRIM_400000_NS6detail17trampoline_kernelINS0_13select_configILj256ELj13ELNS0_17block_load_methodE3ELS4_3ELS4_3ELNS0_20block_scan_algorithmE0ELj4294967295EEENS1_25partition_config_selectorILNS1_17partition_subalgoE3EjNS0_10empty_typeEbEEZZNS1_14partition_implILS8_3ELb0ES6_jNS0_17counting_iteratorIjlEEPS9_SE_NS0_5tupleIJPjSE_EEENSF_IJSE_SE_EEES9_SG_JZNS1_25segmented_radix_sort_implINS0_14default_configELb0EPK6__halfPSL_PKlPlN2at6native12_GLOBAL__N_18offset_tEEE10hipError_tPvRmT1_PNSt15iterator_traitsISZ_E10value_typeET2_T3_PNS10_IS15_E10value_typeET4_jRbjT5_S1B_jjP12ihipStream_tbEUljE_EEESW_SX_SY_S15_S19_S1B_T6_T7_T9_mT8_S1D_bDpT10_ENKUlT_T0_E_clISt17integral_constantIbLb0EES1P_IbLb1EEEEDaS1L_S1M_EUlS1L_E_NS1_11comp_targetILNS1_3genE10ELNS1_11target_archE1200ELNS1_3gpuE4ELNS1_3repE0EEENS1_30default_config_static_selectorELNS0_4arch9wavefront6targetE0EEEvSZ_
    .private_segment_fixed_size: 0
    .sgpr_count:     0
    .sgpr_spill_count: 0
    .symbol:         _ZN7rocprim17ROCPRIM_400000_NS6detail17trampoline_kernelINS0_13select_configILj256ELj13ELNS0_17block_load_methodE3ELS4_3ELS4_3ELNS0_20block_scan_algorithmE0ELj4294967295EEENS1_25partition_config_selectorILNS1_17partition_subalgoE3EjNS0_10empty_typeEbEEZZNS1_14partition_implILS8_3ELb0ES6_jNS0_17counting_iteratorIjlEEPS9_SE_NS0_5tupleIJPjSE_EEENSF_IJSE_SE_EEES9_SG_JZNS1_25segmented_radix_sort_implINS0_14default_configELb0EPK6__halfPSL_PKlPlN2at6native12_GLOBAL__N_18offset_tEEE10hipError_tPvRmT1_PNSt15iterator_traitsISZ_E10value_typeET2_T3_PNS10_IS15_E10value_typeET4_jRbjT5_S1B_jjP12ihipStream_tbEUljE_EEESW_SX_SY_S15_S19_S1B_T6_T7_T9_mT8_S1D_bDpT10_ENKUlT_T0_E_clISt17integral_constantIbLb0EES1P_IbLb1EEEEDaS1L_S1M_EUlS1L_E_NS1_11comp_targetILNS1_3genE10ELNS1_11target_archE1200ELNS1_3gpuE4ELNS1_3repE0EEENS1_30default_config_static_selectorELNS0_4arch9wavefront6targetE0EEEvSZ_.kd
    .uniform_work_group_size: 1
    .uses_dynamic_stack: false
    .vgpr_count:     0
    .vgpr_spill_count: 0
    .wavefront_size: 32
  - .args:
      - .offset:         0
        .size:           152
        .value_kind:     by_value
    .group_segment_fixed_size: 0
    .kernarg_segment_align: 8
    .kernarg_segment_size: 152
    .language:       OpenCL C
    .language_version:
      - 2
      - 0
    .max_flat_workgroup_size: 256
    .name:           _ZN7rocprim17ROCPRIM_400000_NS6detail17trampoline_kernelINS0_13select_configILj256ELj13ELNS0_17block_load_methodE3ELS4_3ELS4_3ELNS0_20block_scan_algorithmE0ELj4294967295EEENS1_25partition_config_selectorILNS1_17partition_subalgoE3EjNS0_10empty_typeEbEEZZNS1_14partition_implILS8_3ELb0ES6_jNS0_17counting_iteratorIjlEEPS9_SE_NS0_5tupleIJPjSE_EEENSF_IJSE_SE_EEES9_SG_JZNS1_25segmented_radix_sort_implINS0_14default_configELb0EPK6__halfPSL_PKlPlN2at6native12_GLOBAL__N_18offset_tEEE10hipError_tPvRmT1_PNSt15iterator_traitsISZ_E10value_typeET2_T3_PNS10_IS15_E10value_typeET4_jRbjT5_S1B_jjP12ihipStream_tbEUljE_EEESW_SX_SY_S15_S19_S1B_T6_T7_T9_mT8_S1D_bDpT10_ENKUlT_T0_E_clISt17integral_constantIbLb0EES1P_IbLb1EEEEDaS1L_S1M_EUlS1L_E_NS1_11comp_targetILNS1_3genE9ELNS1_11target_archE1100ELNS1_3gpuE3ELNS1_3repE0EEENS1_30default_config_static_selectorELNS0_4arch9wavefront6targetE0EEEvSZ_
    .private_segment_fixed_size: 0
    .sgpr_count:     0
    .sgpr_spill_count: 0
    .symbol:         _ZN7rocprim17ROCPRIM_400000_NS6detail17trampoline_kernelINS0_13select_configILj256ELj13ELNS0_17block_load_methodE3ELS4_3ELS4_3ELNS0_20block_scan_algorithmE0ELj4294967295EEENS1_25partition_config_selectorILNS1_17partition_subalgoE3EjNS0_10empty_typeEbEEZZNS1_14partition_implILS8_3ELb0ES6_jNS0_17counting_iteratorIjlEEPS9_SE_NS0_5tupleIJPjSE_EEENSF_IJSE_SE_EEES9_SG_JZNS1_25segmented_radix_sort_implINS0_14default_configELb0EPK6__halfPSL_PKlPlN2at6native12_GLOBAL__N_18offset_tEEE10hipError_tPvRmT1_PNSt15iterator_traitsISZ_E10value_typeET2_T3_PNS10_IS15_E10value_typeET4_jRbjT5_S1B_jjP12ihipStream_tbEUljE_EEESW_SX_SY_S15_S19_S1B_T6_T7_T9_mT8_S1D_bDpT10_ENKUlT_T0_E_clISt17integral_constantIbLb0EES1P_IbLb1EEEEDaS1L_S1M_EUlS1L_E_NS1_11comp_targetILNS1_3genE9ELNS1_11target_archE1100ELNS1_3gpuE3ELNS1_3repE0EEENS1_30default_config_static_selectorELNS0_4arch9wavefront6targetE0EEEvSZ_.kd
    .uniform_work_group_size: 1
    .uses_dynamic_stack: false
    .vgpr_count:     0
    .vgpr_spill_count: 0
    .wavefront_size: 32
  - .args:
      - .offset:         0
        .size:           152
        .value_kind:     by_value
    .group_segment_fixed_size: 0
    .kernarg_segment_align: 8
    .kernarg_segment_size: 152
    .language:       OpenCL C
    .language_version:
      - 2
      - 0
    .max_flat_workgroup_size: 256
    .name:           _ZN7rocprim17ROCPRIM_400000_NS6detail17trampoline_kernelINS0_13select_configILj256ELj13ELNS0_17block_load_methodE3ELS4_3ELS4_3ELNS0_20block_scan_algorithmE0ELj4294967295EEENS1_25partition_config_selectorILNS1_17partition_subalgoE3EjNS0_10empty_typeEbEEZZNS1_14partition_implILS8_3ELb0ES6_jNS0_17counting_iteratorIjlEEPS9_SE_NS0_5tupleIJPjSE_EEENSF_IJSE_SE_EEES9_SG_JZNS1_25segmented_radix_sort_implINS0_14default_configELb0EPK6__halfPSL_PKlPlN2at6native12_GLOBAL__N_18offset_tEEE10hipError_tPvRmT1_PNSt15iterator_traitsISZ_E10value_typeET2_T3_PNS10_IS15_E10value_typeET4_jRbjT5_S1B_jjP12ihipStream_tbEUljE_EEESW_SX_SY_S15_S19_S1B_T6_T7_T9_mT8_S1D_bDpT10_ENKUlT_T0_E_clISt17integral_constantIbLb0EES1P_IbLb1EEEEDaS1L_S1M_EUlS1L_E_NS1_11comp_targetILNS1_3genE8ELNS1_11target_archE1030ELNS1_3gpuE2ELNS1_3repE0EEENS1_30default_config_static_selectorELNS0_4arch9wavefront6targetE0EEEvSZ_
    .private_segment_fixed_size: 0
    .sgpr_count:     0
    .sgpr_spill_count: 0
    .symbol:         _ZN7rocprim17ROCPRIM_400000_NS6detail17trampoline_kernelINS0_13select_configILj256ELj13ELNS0_17block_load_methodE3ELS4_3ELS4_3ELNS0_20block_scan_algorithmE0ELj4294967295EEENS1_25partition_config_selectorILNS1_17partition_subalgoE3EjNS0_10empty_typeEbEEZZNS1_14partition_implILS8_3ELb0ES6_jNS0_17counting_iteratorIjlEEPS9_SE_NS0_5tupleIJPjSE_EEENSF_IJSE_SE_EEES9_SG_JZNS1_25segmented_radix_sort_implINS0_14default_configELb0EPK6__halfPSL_PKlPlN2at6native12_GLOBAL__N_18offset_tEEE10hipError_tPvRmT1_PNSt15iterator_traitsISZ_E10value_typeET2_T3_PNS10_IS15_E10value_typeET4_jRbjT5_S1B_jjP12ihipStream_tbEUljE_EEESW_SX_SY_S15_S19_S1B_T6_T7_T9_mT8_S1D_bDpT10_ENKUlT_T0_E_clISt17integral_constantIbLb0EES1P_IbLb1EEEEDaS1L_S1M_EUlS1L_E_NS1_11comp_targetILNS1_3genE8ELNS1_11target_archE1030ELNS1_3gpuE2ELNS1_3repE0EEENS1_30default_config_static_selectorELNS0_4arch9wavefront6targetE0EEEvSZ_.kd
    .uniform_work_group_size: 1
    .uses_dynamic_stack: false
    .vgpr_count:     0
    .vgpr_spill_count: 0
    .wavefront_size: 32
  - .args:
      - .offset:         0
        .size:           96
        .value_kind:     by_value
      - .offset:         96
        .size:           4
        .value_kind:     hidden_block_count_x
      - .offset:         100
        .size:           4
        .value_kind:     hidden_block_count_y
      - .offset:         104
        .size:           4
        .value_kind:     hidden_block_count_z
      - .offset:         108
        .size:           2
        .value_kind:     hidden_group_size_x
      - .offset:         110
        .size:           2
        .value_kind:     hidden_group_size_y
      - .offset:         112
        .size:           2
        .value_kind:     hidden_group_size_z
      - .offset:         114
        .size:           2
        .value_kind:     hidden_remainder_x
      - .offset:         116
        .size:           2
        .value_kind:     hidden_remainder_y
      - .offset:         118
        .size:           2
        .value_kind:     hidden_remainder_z
      - .offset:         136
        .size:           8
        .value_kind:     hidden_global_offset_x
      - .offset:         144
        .size:           8
        .value_kind:     hidden_global_offset_y
      - .offset:         152
        .size:           8
        .value_kind:     hidden_global_offset_z
      - .offset:         160
        .size:           2
        .value_kind:     hidden_grid_dims
      - .offset:         176
        .size:           8
        .value_kind:     hidden_hostcall_buffer
      - .offset:         184
        .size:           8
        .value_kind:     hidden_multigrid_sync_arg
      - .offset:         192
        .size:           8
        .value_kind:     hidden_heap_v1
      - .offset:         200
        .size:           8
        .value_kind:     hidden_default_queue
      - .offset:         208
        .size:           8
        .value_kind:     hidden_completion_action
      - .offset:         296
        .size:           8
        .value_kind:     hidden_queue_ptr
    .group_segment_fixed_size: 33824
    .kernarg_segment_align: 8
    .kernarg_segment_size: 352
    .language:       OpenCL C
    .language_version:
      - 2
      - 0
    .max_flat_workgroup_size: 256
    .name:           _ZN7rocprim17ROCPRIM_400000_NS6detail17trampoline_kernelINS0_14default_configENS1_36segmented_radix_sort_config_selectorI6__halflEEZNS1_25segmented_radix_sort_implIS3_Lb0EPKS5_PS5_PKlPlN2at6native12_GLOBAL__N_18offset_tEEE10hipError_tPvRmT1_PNSt15iterator_traitsISL_E10value_typeET2_T3_PNSM_ISR_E10value_typeET4_jRbjT5_SX_jjP12ihipStream_tbEUlT_E_NS1_11comp_targetILNS1_3genE0ELNS1_11target_archE4294967295ELNS1_3gpuE0ELNS1_3repE0EEENS1_30default_config_static_selectorELNS0_4arch9wavefront6targetE0EEEvSL_
    .private_segment_fixed_size: 0
    .sgpr_count:     61
    .sgpr_spill_count: 0
    .symbol:         _ZN7rocprim17ROCPRIM_400000_NS6detail17trampoline_kernelINS0_14default_configENS1_36segmented_radix_sort_config_selectorI6__halflEEZNS1_25segmented_radix_sort_implIS3_Lb0EPKS5_PS5_PKlPlN2at6native12_GLOBAL__N_18offset_tEEE10hipError_tPvRmT1_PNSt15iterator_traitsISL_E10value_typeET2_T3_PNSM_ISR_E10value_typeET4_jRbjT5_SX_jjP12ihipStream_tbEUlT_E_NS1_11comp_targetILNS1_3genE0ELNS1_11target_archE4294967295ELNS1_3gpuE0ELNS1_3repE0EEENS1_30default_config_static_selectorELNS0_4arch9wavefront6targetE0EEEvSL_.kd
    .uniform_work_group_size: 1
    .uses_dynamic_stack: false
    .vgpr_count:     304
    .vgpr_spill_count: 0
    .wavefront_size: 32
  - .args:
      - .offset:         0
        .size:           96
        .value_kind:     by_value
    .group_segment_fixed_size: 0
    .kernarg_segment_align: 8
    .kernarg_segment_size: 96
    .language:       OpenCL C
    .language_version:
      - 2
      - 0
    .max_flat_workgroup_size: 256
    .name:           _ZN7rocprim17ROCPRIM_400000_NS6detail17trampoline_kernelINS0_14default_configENS1_36segmented_radix_sort_config_selectorI6__halflEEZNS1_25segmented_radix_sort_implIS3_Lb0EPKS5_PS5_PKlPlN2at6native12_GLOBAL__N_18offset_tEEE10hipError_tPvRmT1_PNSt15iterator_traitsISL_E10value_typeET2_T3_PNSM_ISR_E10value_typeET4_jRbjT5_SX_jjP12ihipStream_tbEUlT_E_NS1_11comp_targetILNS1_3genE5ELNS1_11target_archE942ELNS1_3gpuE9ELNS1_3repE0EEENS1_30default_config_static_selectorELNS0_4arch9wavefront6targetE0EEEvSL_
    .private_segment_fixed_size: 0
    .sgpr_count:     0
    .sgpr_spill_count: 0
    .symbol:         _ZN7rocprim17ROCPRIM_400000_NS6detail17trampoline_kernelINS0_14default_configENS1_36segmented_radix_sort_config_selectorI6__halflEEZNS1_25segmented_radix_sort_implIS3_Lb0EPKS5_PS5_PKlPlN2at6native12_GLOBAL__N_18offset_tEEE10hipError_tPvRmT1_PNSt15iterator_traitsISL_E10value_typeET2_T3_PNSM_ISR_E10value_typeET4_jRbjT5_SX_jjP12ihipStream_tbEUlT_E_NS1_11comp_targetILNS1_3genE5ELNS1_11target_archE942ELNS1_3gpuE9ELNS1_3repE0EEENS1_30default_config_static_selectorELNS0_4arch9wavefront6targetE0EEEvSL_.kd
    .uniform_work_group_size: 1
    .uses_dynamic_stack: false
    .vgpr_count:     0
    .vgpr_spill_count: 0
    .wavefront_size: 32
  - .args:
      - .offset:         0
        .size:           96
        .value_kind:     by_value
    .group_segment_fixed_size: 0
    .kernarg_segment_align: 8
    .kernarg_segment_size: 96
    .language:       OpenCL C
    .language_version:
      - 2
      - 0
    .max_flat_workgroup_size: 256
    .name:           _ZN7rocprim17ROCPRIM_400000_NS6detail17trampoline_kernelINS0_14default_configENS1_36segmented_radix_sort_config_selectorI6__halflEEZNS1_25segmented_radix_sort_implIS3_Lb0EPKS5_PS5_PKlPlN2at6native12_GLOBAL__N_18offset_tEEE10hipError_tPvRmT1_PNSt15iterator_traitsISL_E10value_typeET2_T3_PNSM_ISR_E10value_typeET4_jRbjT5_SX_jjP12ihipStream_tbEUlT_E_NS1_11comp_targetILNS1_3genE4ELNS1_11target_archE910ELNS1_3gpuE8ELNS1_3repE0EEENS1_30default_config_static_selectorELNS0_4arch9wavefront6targetE0EEEvSL_
    .private_segment_fixed_size: 0
    .sgpr_count:     0
    .sgpr_spill_count: 0
    .symbol:         _ZN7rocprim17ROCPRIM_400000_NS6detail17trampoline_kernelINS0_14default_configENS1_36segmented_radix_sort_config_selectorI6__halflEEZNS1_25segmented_radix_sort_implIS3_Lb0EPKS5_PS5_PKlPlN2at6native12_GLOBAL__N_18offset_tEEE10hipError_tPvRmT1_PNSt15iterator_traitsISL_E10value_typeET2_T3_PNSM_ISR_E10value_typeET4_jRbjT5_SX_jjP12ihipStream_tbEUlT_E_NS1_11comp_targetILNS1_3genE4ELNS1_11target_archE910ELNS1_3gpuE8ELNS1_3repE0EEENS1_30default_config_static_selectorELNS0_4arch9wavefront6targetE0EEEvSL_.kd
    .uniform_work_group_size: 1
    .uses_dynamic_stack: false
    .vgpr_count:     0
    .vgpr_spill_count: 0
    .wavefront_size: 32
  - .args:
      - .offset:         0
        .size:           96
        .value_kind:     by_value
    .group_segment_fixed_size: 0
    .kernarg_segment_align: 8
    .kernarg_segment_size: 96
    .language:       OpenCL C
    .language_version:
      - 2
      - 0
    .max_flat_workgroup_size: 256
    .name:           _ZN7rocprim17ROCPRIM_400000_NS6detail17trampoline_kernelINS0_14default_configENS1_36segmented_radix_sort_config_selectorI6__halflEEZNS1_25segmented_radix_sort_implIS3_Lb0EPKS5_PS5_PKlPlN2at6native12_GLOBAL__N_18offset_tEEE10hipError_tPvRmT1_PNSt15iterator_traitsISL_E10value_typeET2_T3_PNSM_ISR_E10value_typeET4_jRbjT5_SX_jjP12ihipStream_tbEUlT_E_NS1_11comp_targetILNS1_3genE3ELNS1_11target_archE908ELNS1_3gpuE7ELNS1_3repE0EEENS1_30default_config_static_selectorELNS0_4arch9wavefront6targetE0EEEvSL_
    .private_segment_fixed_size: 0
    .sgpr_count:     0
    .sgpr_spill_count: 0
    .symbol:         _ZN7rocprim17ROCPRIM_400000_NS6detail17trampoline_kernelINS0_14default_configENS1_36segmented_radix_sort_config_selectorI6__halflEEZNS1_25segmented_radix_sort_implIS3_Lb0EPKS5_PS5_PKlPlN2at6native12_GLOBAL__N_18offset_tEEE10hipError_tPvRmT1_PNSt15iterator_traitsISL_E10value_typeET2_T3_PNSM_ISR_E10value_typeET4_jRbjT5_SX_jjP12ihipStream_tbEUlT_E_NS1_11comp_targetILNS1_3genE3ELNS1_11target_archE908ELNS1_3gpuE7ELNS1_3repE0EEENS1_30default_config_static_selectorELNS0_4arch9wavefront6targetE0EEEvSL_.kd
    .uniform_work_group_size: 1
    .uses_dynamic_stack: false
    .vgpr_count:     0
    .vgpr_spill_count: 0
    .wavefront_size: 32
  - .args:
      - .offset:         0
        .size:           96
        .value_kind:     by_value
    .group_segment_fixed_size: 0
    .kernarg_segment_align: 8
    .kernarg_segment_size: 96
    .language:       OpenCL C
    .language_version:
      - 2
      - 0
    .max_flat_workgroup_size: 256
    .name:           _ZN7rocprim17ROCPRIM_400000_NS6detail17trampoline_kernelINS0_14default_configENS1_36segmented_radix_sort_config_selectorI6__halflEEZNS1_25segmented_radix_sort_implIS3_Lb0EPKS5_PS5_PKlPlN2at6native12_GLOBAL__N_18offset_tEEE10hipError_tPvRmT1_PNSt15iterator_traitsISL_E10value_typeET2_T3_PNSM_ISR_E10value_typeET4_jRbjT5_SX_jjP12ihipStream_tbEUlT_E_NS1_11comp_targetILNS1_3genE2ELNS1_11target_archE906ELNS1_3gpuE6ELNS1_3repE0EEENS1_30default_config_static_selectorELNS0_4arch9wavefront6targetE0EEEvSL_
    .private_segment_fixed_size: 0
    .sgpr_count:     0
    .sgpr_spill_count: 0
    .symbol:         _ZN7rocprim17ROCPRIM_400000_NS6detail17trampoline_kernelINS0_14default_configENS1_36segmented_radix_sort_config_selectorI6__halflEEZNS1_25segmented_radix_sort_implIS3_Lb0EPKS5_PS5_PKlPlN2at6native12_GLOBAL__N_18offset_tEEE10hipError_tPvRmT1_PNSt15iterator_traitsISL_E10value_typeET2_T3_PNSM_ISR_E10value_typeET4_jRbjT5_SX_jjP12ihipStream_tbEUlT_E_NS1_11comp_targetILNS1_3genE2ELNS1_11target_archE906ELNS1_3gpuE6ELNS1_3repE0EEENS1_30default_config_static_selectorELNS0_4arch9wavefront6targetE0EEEvSL_.kd
    .uniform_work_group_size: 1
    .uses_dynamic_stack: false
    .vgpr_count:     0
    .vgpr_spill_count: 0
    .wavefront_size: 32
  - .args:
      - .offset:         0
        .size:           96
        .value_kind:     by_value
    .group_segment_fixed_size: 0
    .kernarg_segment_align: 8
    .kernarg_segment_size: 96
    .language:       OpenCL C
    .language_version:
      - 2
      - 0
    .max_flat_workgroup_size: 256
    .name:           _ZN7rocprim17ROCPRIM_400000_NS6detail17trampoline_kernelINS0_14default_configENS1_36segmented_radix_sort_config_selectorI6__halflEEZNS1_25segmented_radix_sort_implIS3_Lb0EPKS5_PS5_PKlPlN2at6native12_GLOBAL__N_18offset_tEEE10hipError_tPvRmT1_PNSt15iterator_traitsISL_E10value_typeET2_T3_PNSM_ISR_E10value_typeET4_jRbjT5_SX_jjP12ihipStream_tbEUlT_E_NS1_11comp_targetILNS1_3genE10ELNS1_11target_archE1201ELNS1_3gpuE5ELNS1_3repE0EEENS1_30default_config_static_selectorELNS0_4arch9wavefront6targetE0EEEvSL_
    .private_segment_fixed_size: 0
    .sgpr_count:     0
    .sgpr_spill_count: 0
    .symbol:         _ZN7rocprim17ROCPRIM_400000_NS6detail17trampoline_kernelINS0_14default_configENS1_36segmented_radix_sort_config_selectorI6__halflEEZNS1_25segmented_radix_sort_implIS3_Lb0EPKS5_PS5_PKlPlN2at6native12_GLOBAL__N_18offset_tEEE10hipError_tPvRmT1_PNSt15iterator_traitsISL_E10value_typeET2_T3_PNSM_ISR_E10value_typeET4_jRbjT5_SX_jjP12ihipStream_tbEUlT_E_NS1_11comp_targetILNS1_3genE10ELNS1_11target_archE1201ELNS1_3gpuE5ELNS1_3repE0EEENS1_30default_config_static_selectorELNS0_4arch9wavefront6targetE0EEEvSL_.kd
    .uniform_work_group_size: 1
    .uses_dynamic_stack: false
    .vgpr_count:     0
    .vgpr_spill_count: 0
    .wavefront_size: 32
  - .args:
      - .offset:         0
        .size:           96
        .value_kind:     by_value
    .group_segment_fixed_size: 0
    .kernarg_segment_align: 8
    .kernarg_segment_size: 96
    .language:       OpenCL C
    .language_version:
      - 2
      - 0
    .max_flat_workgroup_size: 128
    .name:           _ZN7rocprim17ROCPRIM_400000_NS6detail17trampoline_kernelINS0_14default_configENS1_36segmented_radix_sort_config_selectorI6__halflEEZNS1_25segmented_radix_sort_implIS3_Lb0EPKS5_PS5_PKlPlN2at6native12_GLOBAL__N_18offset_tEEE10hipError_tPvRmT1_PNSt15iterator_traitsISL_E10value_typeET2_T3_PNSM_ISR_E10value_typeET4_jRbjT5_SX_jjP12ihipStream_tbEUlT_E_NS1_11comp_targetILNS1_3genE10ELNS1_11target_archE1200ELNS1_3gpuE4ELNS1_3repE0EEENS1_30default_config_static_selectorELNS0_4arch9wavefront6targetE0EEEvSL_
    .private_segment_fixed_size: 0
    .sgpr_count:     0
    .sgpr_spill_count: 0
    .symbol:         _ZN7rocprim17ROCPRIM_400000_NS6detail17trampoline_kernelINS0_14default_configENS1_36segmented_radix_sort_config_selectorI6__halflEEZNS1_25segmented_radix_sort_implIS3_Lb0EPKS5_PS5_PKlPlN2at6native12_GLOBAL__N_18offset_tEEE10hipError_tPvRmT1_PNSt15iterator_traitsISL_E10value_typeET2_T3_PNSM_ISR_E10value_typeET4_jRbjT5_SX_jjP12ihipStream_tbEUlT_E_NS1_11comp_targetILNS1_3genE10ELNS1_11target_archE1200ELNS1_3gpuE4ELNS1_3repE0EEENS1_30default_config_static_selectorELNS0_4arch9wavefront6targetE0EEEvSL_.kd
    .uniform_work_group_size: 1
    .uses_dynamic_stack: false
    .vgpr_count:     0
    .vgpr_spill_count: 0
    .wavefront_size: 32
  - .args:
      - .offset:         0
        .size:           96
        .value_kind:     by_value
    .group_segment_fixed_size: 0
    .kernarg_segment_align: 8
    .kernarg_segment_size: 96
    .language:       OpenCL C
    .language_version:
      - 2
      - 0
    .max_flat_workgroup_size: 256
    .name:           _ZN7rocprim17ROCPRIM_400000_NS6detail17trampoline_kernelINS0_14default_configENS1_36segmented_radix_sort_config_selectorI6__halflEEZNS1_25segmented_radix_sort_implIS3_Lb0EPKS5_PS5_PKlPlN2at6native12_GLOBAL__N_18offset_tEEE10hipError_tPvRmT1_PNSt15iterator_traitsISL_E10value_typeET2_T3_PNSM_ISR_E10value_typeET4_jRbjT5_SX_jjP12ihipStream_tbEUlT_E_NS1_11comp_targetILNS1_3genE9ELNS1_11target_archE1100ELNS1_3gpuE3ELNS1_3repE0EEENS1_30default_config_static_selectorELNS0_4arch9wavefront6targetE0EEEvSL_
    .private_segment_fixed_size: 0
    .sgpr_count:     0
    .sgpr_spill_count: 0
    .symbol:         _ZN7rocprim17ROCPRIM_400000_NS6detail17trampoline_kernelINS0_14default_configENS1_36segmented_radix_sort_config_selectorI6__halflEEZNS1_25segmented_radix_sort_implIS3_Lb0EPKS5_PS5_PKlPlN2at6native12_GLOBAL__N_18offset_tEEE10hipError_tPvRmT1_PNSt15iterator_traitsISL_E10value_typeET2_T3_PNSM_ISR_E10value_typeET4_jRbjT5_SX_jjP12ihipStream_tbEUlT_E_NS1_11comp_targetILNS1_3genE9ELNS1_11target_archE1100ELNS1_3gpuE3ELNS1_3repE0EEENS1_30default_config_static_selectorELNS0_4arch9wavefront6targetE0EEEvSL_.kd
    .uniform_work_group_size: 1
    .uses_dynamic_stack: false
    .vgpr_count:     0
    .vgpr_spill_count: 0
    .wavefront_size: 32
  - .args:
      - .offset:         0
        .size:           96
        .value_kind:     by_value
    .group_segment_fixed_size: 0
    .kernarg_segment_align: 8
    .kernarg_segment_size: 96
    .language:       OpenCL C
    .language_version:
      - 2
      - 0
    .max_flat_workgroup_size: 256
    .name:           _ZN7rocprim17ROCPRIM_400000_NS6detail17trampoline_kernelINS0_14default_configENS1_36segmented_radix_sort_config_selectorI6__halflEEZNS1_25segmented_radix_sort_implIS3_Lb0EPKS5_PS5_PKlPlN2at6native12_GLOBAL__N_18offset_tEEE10hipError_tPvRmT1_PNSt15iterator_traitsISL_E10value_typeET2_T3_PNSM_ISR_E10value_typeET4_jRbjT5_SX_jjP12ihipStream_tbEUlT_E_NS1_11comp_targetILNS1_3genE8ELNS1_11target_archE1030ELNS1_3gpuE2ELNS1_3repE0EEENS1_30default_config_static_selectorELNS0_4arch9wavefront6targetE0EEEvSL_
    .private_segment_fixed_size: 0
    .sgpr_count:     0
    .sgpr_spill_count: 0
    .symbol:         _ZN7rocprim17ROCPRIM_400000_NS6detail17trampoline_kernelINS0_14default_configENS1_36segmented_radix_sort_config_selectorI6__halflEEZNS1_25segmented_radix_sort_implIS3_Lb0EPKS5_PS5_PKlPlN2at6native12_GLOBAL__N_18offset_tEEE10hipError_tPvRmT1_PNSt15iterator_traitsISL_E10value_typeET2_T3_PNSM_ISR_E10value_typeET4_jRbjT5_SX_jjP12ihipStream_tbEUlT_E_NS1_11comp_targetILNS1_3genE8ELNS1_11target_archE1030ELNS1_3gpuE2ELNS1_3repE0EEENS1_30default_config_static_selectorELNS0_4arch9wavefront6targetE0EEEvSL_.kd
    .uniform_work_group_size: 1
    .uses_dynamic_stack: false
    .vgpr_count:     0
    .vgpr_spill_count: 0
    .wavefront_size: 32
  - .args:
      - .offset:         0
        .size:           88
        .value_kind:     by_value
      - .offset:         88
        .size:           4
        .value_kind:     hidden_block_count_x
      - .offset:         92
        .size:           4
        .value_kind:     hidden_block_count_y
      - .offset:         96
        .size:           4
        .value_kind:     hidden_block_count_z
      - .offset:         100
        .size:           2
        .value_kind:     hidden_group_size_x
      - .offset:         102
        .size:           2
        .value_kind:     hidden_group_size_y
      - .offset:         104
        .size:           2
        .value_kind:     hidden_group_size_z
      - .offset:         106
        .size:           2
        .value_kind:     hidden_remainder_x
      - .offset:         108
        .size:           2
        .value_kind:     hidden_remainder_y
      - .offset:         110
        .size:           2
        .value_kind:     hidden_remainder_z
      - .offset:         128
        .size:           8
        .value_kind:     hidden_global_offset_x
      - .offset:         136
        .size:           8
        .value_kind:     hidden_global_offset_y
      - .offset:         144
        .size:           8
        .value_kind:     hidden_global_offset_z
      - .offset:         152
        .size:           2
        .value_kind:     hidden_grid_dims
      - .offset:         168
        .size:           8
        .value_kind:     hidden_hostcall_buffer
      - .offset:         176
        .size:           8
        .value_kind:     hidden_multigrid_sync_arg
      - .offset:         184
        .size:           8
        .value_kind:     hidden_heap_v1
      - .offset:         192
        .size:           8
        .value_kind:     hidden_default_queue
      - .offset:         200
        .size:           8
        .value_kind:     hidden_completion_action
      - .offset:         288
        .size:           8
        .value_kind:     hidden_queue_ptr
    .group_segment_fixed_size: 20480
    .kernarg_segment_align: 8
    .kernarg_segment_size: 344
    .language:       OpenCL C
    .language_version:
      - 2
      - 0
    .max_flat_workgroup_size: 256
    .name:           _ZN7rocprim17ROCPRIM_400000_NS6detail17trampoline_kernelINS0_14default_configENS1_36segmented_radix_sort_config_selectorI6__halflEEZNS1_25segmented_radix_sort_implIS3_Lb0EPKS5_PS5_PKlPlN2at6native12_GLOBAL__N_18offset_tEEE10hipError_tPvRmT1_PNSt15iterator_traitsISL_E10value_typeET2_T3_PNSM_ISR_E10value_typeET4_jRbjT5_SX_jjP12ihipStream_tbEUlT_E0_NS1_11comp_targetILNS1_3genE0ELNS1_11target_archE4294967295ELNS1_3gpuE0ELNS1_3repE0EEENS1_60segmented_radix_sort_warp_sort_medium_config_static_selectorELNS0_4arch9wavefront6targetE0EEEvSL_
    .private_segment_fixed_size: 0
    .sgpr_count:     46
    .sgpr_spill_count: 0
    .symbol:         _ZN7rocprim17ROCPRIM_400000_NS6detail17trampoline_kernelINS0_14default_configENS1_36segmented_radix_sort_config_selectorI6__halflEEZNS1_25segmented_radix_sort_implIS3_Lb0EPKS5_PS5_PKlPlN2at6native12_GLOBAL__N_18offset_tEEE10hipError_tPvRmT1_PNSt15iterator_traitsISL_E10value_typeET2_T3_PNSM_ISR_E10value_typeET4_jRbjT5_SX_jjP12ihipStream_tbEUlT_E0_NS1_11comp_targetILNS1_3genE0ELNS1_11target_archE4294967295ELNS1_3gpuE0ELNS1_3repE0EEENS1_60segmented_radix_sort_warp_sort_medium_config_static_selectorELNS0_4arch9wavefront6targetE0EEEvSL_.kd
    .uniform_work_group_size: 1
    .uses_dynamic_stack: false
    .vgpr_count:     68
    .vgpr_spill_count: 0
    .wavefront_size: 32
  - .args:
      - .offset:         0
        .size:           88
        .value_kind:     by_value
    .group_segment_fixed_size: 0
    .kernarg_segment_align: 8
    .kernarg_segment_size: 88
    .language:       OpenCL C
    .language_version:
      - 2
      - 0
    .max_flat_workgroup_size: 256
    .name:           _ZN7rocprim17ROCPRIM_400000_NS6detail17trampoline_kernelINS0_14default_configENS1_36segmented_radix_sort_config_selectorI6__halflEEZNS1_25segmented_radix_sort_implIS3_Lb0EPKS5_PS5_PKlPlN2at6native12_GLOBAL__N_18offset_tEEE10hipError_tPvRmT1_PNSt15iterator_traitsISL_E10value_typeET2_T3_PNSM_ISR_E10value_typeET4_jRbjT5_SX_jjP12ihipStream_tbEUlT_E0_NS1_11comp_targetILNS1_3genE5ELNS1_11target_archE942ELNS1_3gpuE9ELNS1_3repE0EEENS1_60segmented_radix_sort_warp_sort_medium_config_static_selectorELNS0_4arch9wavefront6targetE0EEEvSL_
    .private_segment_fixed_size: 0
    .sgpr_count:     0
    .sgpr_spill_count: 0
    .symbol:         _ZN7rocprim17ROCPRIM_400000_NS6detail17trampoline_kernelINS0_14default_configENS1_36segmented_radix_sort_config_selectorI6__halflEEZNS1_25segmented_radix_sort_implIS3_Lb0EPKS5_PS5_PKlPlN2at6native12_GLOBAL__N_18offset_tEEE10hipError_tPvRmT1_PNSt15iterator_traitsISL_E10value_typeET2_T3_PNSM_ISR_E10value_typeET4_jRbjT5_SX_jjP12ihipStream_tbEUlT_E0_NS1_11comp_targetILNS1_3genE5ELNS1_11target_archE942ELNS1_3gpuE9ELNS1_3repE0EEENS1_60segmented_radix_sort_warp_sort_medium_config_static_selectorELNS0_4arch9wavefront6targetE0EEEvSL_.kd
    .uniform_work_group_size: 1
    .uses_dynamic_stack: false
    .vgpr_count:     0
    .vgpr_spill_count: 0
    .wavefront_size: 32
  - .args:
      - .offset:         0
        .size:           88
        .value_kind:     by_value
    .group_segment_fixed_size: 0
    .kernarg_segment_align: 8
    .kernarg_segment_size: 88
    .language:       OpenCL C
    .language_version:
      - 2
      - 0
    .max_flat_workgroup_size: 256
    .name:           _ZN7rocprim17ROCPRIM_400000_NS6detail17trampoline_kernelINS0_14default_configENS1_36segmented_radix_sort_config_selectorI6__halflEEZNS1_25segmented_radix_sort_implIS3_Lb0EPKS5_PS5_PKlPlN2at6native12_GLOBAL__N_18offset_tEEE10hipError_tPvRmT1_PNSt15iterator_traitsISL_E10value_typeET2_T3_PNSM_ISR_E10value_typeET4_jRbjT5_SX_jjP12ihipStream_tbEUlT_E0_NS1_11comp_targetILNS1_3genE4ELNS1_11target_archE910ELNS1_3gpuE8ELNS1_3repE0EEENS1_60segmented_radix_sort_warp_sort_medium_config_static_selectorELNS0_4arch9wavefront6targetE0EEEvSL_
    .private_segment_fixed_size: 0
    .sgpr_count:     0
    .sgpr_spill_count: 0
    .symbol:         _ZN7rocprim17ROCPRIM_400000_NS6detail17trampoline_kernelINS0_14default_configENS1_36segmented_radix_sort_config_selectorI6__halflEEZNS1_25segmented_radix_sort_implIS3_Lb0EPKS5_PS5_PKlPlN2at6native12_GLOBAL__N_18offset_tEEE10hipError_tPvRmT1_PNSt15iterator_traitsISL_E10value_typeET2_T3_PNSM_ISR_E10value_typeET4_jRbjT5_SX_jjP12ihipStream_tbEUlT_E0_NS1_11comp_targetILNS1_3genE4ELNS1_11target_archE910ELNS1_3gpuE8ELNS1_3repE0EEENS1_60segmented_radix_sort_warp_sort_medium_config_static_selectorELNS0_4arch9wavefront6targetE0EEEvSL_.kd
    .uniform_work_group_size: 1
    .uses_dynamic_stack: false
    .vgpr_count:     0
    .vgpr_spill_count: 0
    .wavefront_size: 32
  - .args:
      - .offset:         0
        .size:           88
        .value_kind:     by_value
    .group_segment_fixed_size: 0
    .kernarg_segment_align: 8
    .kernarg_segment_size: 88
    .language:       OpenCL C
    .language_version:
      - 2
      - 0
    .max_flat_workgroup_size: 256
    .name:           _ZN7rocprim17ROCPRIM_400000_NS6detail17trampoline_kernelINS0_14default_configENS1_36segmented_radix_sort_config_selectorI6__halflEEZNS1_25segmented_radix_sort_implIS3_Lb0EPKS5_PS5_PKlPlN2at6native12_GLOBAL__N_18offset_tEEE10hipError_tPvRmT1_PNSt15iterator_traitsISL_E10value_typeET2_T3_PNSM_ISR_E10value_typeET4_jRbjT5_SX_jjP12ihipStream_tbEUlT_E0_NS1_11comp_targetILNS1_3genE3ELNS1_11target_archE908ELNS1_3gpuE7ELNS1_3repE0EEENS1_60segmented_radix_sort_warp_sort_medium_config_static_selectorELNS0_4arch9wavefront6targetE0EEEvSL_
    .private_segment_fixed_size: 0
    .sgpr_count:     0
    .sgpr_spill_count: 0
    .symbol:         _ZN7rocprim17ROCPRIM_400000_NS6detail17trampoline_kernelINS0_14default_configENS1_36segmented_radix_sort_config_selectorI6__halflEEZNS1_25segmented_radix_sort_implIS3_Lb0EPKS5_PS5_PKlPlN2at6native12_GLOBAL__N_18offset_tEEE10hipError_tPvRmT1_PNSt15iterator_traitsISL_E10value_typeET2_T3_PNSM_ISR_E10value_typeET4_jRbjT5_SX_jjP12ihipStream_tbEUlT_E0_NS1_11comp_targetILNS1_3genE3ELNS1_11target_archE908ELNS1_3gpuE7ELNS1_3repE0EEENS1_60segmented_radix_sort_warp_sort_medium_config_static_selectorELNS0_4arch9wavefront6targetE0EEEvSL_.kd
    .uniform_work_group_size: 1
    .uses_dynamic_stack: false
    .vgpr_count:     0
    .vgpr_spill_count: 0
    .wavefront_size: 32
  - .args:
      - .offset:         0
        .size:           88
        .value_kind:     by_value
    .group_segment_fixed_size: 0
    .kernarg_segment_align: 8
    .kernarg_segment_size: 88
    .language:       OpenCL C
    .language_version:
      - 2
      - 0
    .max_flat_workgroup_size: 256
    .name:           _ZN7rocprim17ROCPRIM_400000_NS6detail17trampoline_kernelINS0_14default_configENS1_36segmented_radix_sort_config_selectorI6__halflEEZNS1_25segmented_radix_sort_implIS3_Lb0EPKS5_PS5_PKlPlN2at6native12_GLOBAL__N_18offset_tEEE10hipError_tPvRmT1_PNSt15iterator_traitsISL_E10value_typeET2_T3_PNSM_ISR_E10value_typeET4_jRbjT5_SX_jjP12ihipStream_tbEUlT_E0_NS1_11comp_targetILNS1_3genE2ELNS1_11target_archE906ELNS1_3gpuE6ELNS1_3repE0EEENS1_60segmented_radix_sort_warp_sort_medium_config_static_selectorELNS0_4arch9wavefront6targetE0EEEvSL_
    .private_segment_fixed_size: 0
    .sgpr_count:     0
    .sgpr_spill_count: 0
    .symbol:         _ZN7rocprim17ROCPRIM_400000_NS6detail17trampoline_kernelINS0_14default_configENS1_36segmented_radix_sort_config_selectorI6__halflEEZNS1_25segmented_radix_sort_implIS3_Lb0EPKS5_PS5_PKlPlN2at6native12_GLOBAL__N_18offset_tEEE10hipError_tPvRmT1_PNSt15iterator_traitsISL_E10value_typeET2_T3_PNSM_ISR_E10value_typeET4_jRbjT5_SX_jjP12ihipStream_tbEUlT_E0_NS1_11comp_targetILNS1_3genE2ELNS1_11target_archE906ELNS1_3gpuE6ELNS1_3repE0EEENS1_60segmented_radix_sort_warp_sort_medium_config_static_selectorELNS0_4arch9wavefront6targetE0EEEvSL_.kd
    .uniform_work_group_size: 1
    .uses_dynamic_stack: false
    .vgpr_count:     0
    .vgpr_spill_count: 0
    .wavefront_size: 32
  - .args:
      - .offset:         0
        .size:           88
        .value_kind:     by_value
    .group_segment_fixed_size: 0
    .kernarg_segment_align: 8
    .kernarg_segment_size: 88
    .language:       OpenCL C
    .language_version:
      - 2
      - 0
    .max_flat_workgroup_size: 256
    .name:           _ZN7rocprim17ROCPRIM_400000_NS6detail17trampoline_kernelINS0_14default_configENS1_36segmented_radix_sort_config_selectorI6__halflEEZNS1_25segmented_radix_sort_implIS3_Lb0EPKS5_PS5_PKlPlN2at6native12_GLOBAL__N_18offset_tEEE10hipError_tPvRmT1_PNSt15iterator_traitsISL_E10value_typeET2_T3_PNSM_ISR_E10value_typeET4_jRbjT5_SX_jjP12ihipStream_tbEUlT_E0_NS1_11comp_targetILNS1_3genE10ELNS1_11target_archE1201ELNS1_3gpuE5ELNS1_3repE0EEENS1_60segmented_radix_sort_warp_sort_medium_config_static_selectorELNS0_4arch9wavefront6targetE0EEEvSL_
    .private_segment_fixed_size: 0
    .sgpr_count:     0
    .sgpr_spill_count: 0
    .symbol:         _ZN7rocprim17ROCPRIM_400000_NS6detail17trampoline_kernelINS0_14default_configENS1_36segmented_radix_sort_config_selectorI6__halflEEZNS1_25segmented_radix_sort_implIS3_Lb0EPKS5_PS5_PKlPlN2at6native12_GLOBAL__N_18offset_tEEE10hipError_tPvRmT1_PNSt15iterator_traitsISL_E10value_typeET2_T3_PNSM_ISR_E10value_typeET4_jRbjT5_SX_jjP12ihipStream_tbEUlT_E0_NS1_11comp_targetILNS1_3genE10ELNS1_11target_archE1201ELNS1_3gpuE5ELNS1_3repE0EEENS1_60segmented_radix_sort_warp_sort_medium_config_static_selectorELNS0_4arch9wavefront6targetE0EEEvSL_.kd
    .uniform_work_group_size: 1
    .uses_dynamic_stack: false
    .vgpr_count:     0
    .vgpr_spill_count: 0
    .wavefront_size: 32
  - .args:
      - .offset:         0
        .size:           88
        .value_kind:     by_value
    .group_segment_fixed_size: 0
    .kernarg_segment_align: 8
    .kernarg_segment_size: 88
    .language:       OpenCL C
    .language_version:
      - 2
      - 0
    .max_flat_workgroup_size: 256
    .name:           _ZN7rocprim17ROCPRIM_400000_NS6detail17trampoline_kernelINS0_14default_configENS1_36segmented_radix_sort_config_selectorI6__halflEEZNS1_25segmented_radix_sort_implIS3_Lb0EPKS5_PS5_PKlPlN2at6native12_GLOBAL__N_18offset_tEEE10hipError_tPvRmT1_PNSt15iterator_traitsISL_E10value_typeET2_T3_PNSM_ISR_E10value_typeET4_jRbjT5_SX_jjP12ihipStream_tbEUlT_E0_NS1_11comp_targetILNS1_3genE10ELNS1_11target_archE1200ELNS1_3gpuE4ELNS1_3repE0EEENS1_60segmented_radix_sort_warp_sort_medium_config_static_selectorELNS0_4arch9wavefront6targetE0EEEvSL_
    .private_segment_fixed_size: 0
    .sgpr_count:     0
    .sgpr_spill_count: 0
    .symbol:         _ZN7rocprim17ROCPRIM_400000_NS6detail17trampoline_kernelINS0_14default_configENS1_36segmented_radix_sort_config_selectorI6__halflEEZNS1_25segmented_radix_sort_implIS3_Lb0EPKS5_PS5_PKlPlN2at6native12_GLOBAL__N_18offset_tEEE10hipError_tPvRmT1_PNSt15iterator_traitsISL_E10value_typeET2_T3_PNSM_ISR_E10value_typeET4_jRbjT5_SX_jjP12ihipStream_tbEUlT_E0_NS1_11comp_targetILNS1_3genE10ELNS1_11target_archE1200ELNS1_3gpuE4ELNS1_3repE0EEENS1_60segmented_radix_sort_warp_sort_medium_config_static_selectorELNS0_4arch9wavefront6targetE0EEEvSL_.kd
    .uniform_work_group_size: 1
    .uses_dynamic_stack: false
    .vgpr_count:     0
    .vgpr_spill_count: 0
    .wavefront_size: 32
  - .args:
      - .offset:         0
        .size:           88
        .value_kind:     by_value
    .group_segment_fixed_size: 0
    .kernarg_segment_align: 8
    .kernarg_segment_size: 88
    .language:       OpenCL C
    .language_version:
      - 2
      - 0
    .max_flat_workgroup_size: 256
    .name:           _ZN7rocprim17ROCPRIM_400000_NS6detail17trampoline_kernelINS0_14default_configENS1_36segmented_radix_sort_config_selectorI6__halflEEZNS1_25segmented_radix_sort_implIS3_Lb0EPKS5_PS5_PKlPlN2at6native12_GLOBAL__N_18offset_tEEE10hipError_tPvRmT1_PNSt15iterator_traitsISL_E10value_typeET2_T3_PNSM_ISR_E10value_typeET4_jRbjT5_SX_jjP12ihipStream_tbEUlT_E0_NS1_11comp_targetILNS1_3genE9ELNS1_11target_archE1100ELNS1_3gpuE3ELNS1_3repE0EEENS1_60segmented_radix_sort_warp_sort_medium_config_static_selectorELNS0_4arch9wavefront6targetE0EEEvSL_
    .private_segment_fixed_size: 0
    .sgpr_count:     0
    .sgpr_spill_count: 0
    .symbol:         _ZN7rocprim17ROCPRIM_400000_NS6detail17trampoline_kernelINS0_14default_configENS1_36segmented_radix_sort_config_selectorI6__halflEEZNS1_25segmented_radix_sort_implIS3_Lb0EPKS5_PS5_PKlPlN2at6native12_GLOBAL__N_18offset_tEEE10hipError_tPvRmT1_PNSt15iterator_traitsISL_E10value_typeET2_T3_PNSM_ISR_E10value_typeET4_jRbjT5_SX_jjP12ihipStream_tbEUlT_E0_NS1_11comp_targetILNS1_3genE9ELNS1_11target_archE1100ELNS1_3gpuE3ELNS1_3repE0EEENS1_60segmented_radix_sort_warp_sort_medium_config_static_selectorELNS0_4arch9wavefront6targetE0EEEvSL_.kd
    .uniform_work_group_size: 1
    .uses_dynamic_stack: false
    .vgpr_count:     0
    .vgpr_spill_count: 0
    .wavefront_size: 32
  - .args:
      - .offset:         0
        .size:           88
        .value_kind:     by_value
    .group_segment_fixed_size: 0
    .kernarg_segment_align: 8
    .kernarg_segment_size: 88
    .language:       OpenCL C
    .language_version:
      - 2
      - 0
    .max_flat_workgroup_size: 256
    .name:           _ZN7rocprim17ROCPRIM_400000_NS6detail17trampoline_kernelINS0_14default_configENS1_36segmented_radix_sort_config_selectorI6__halflEEZNS1_25segmented_radix_sort_implIS3_Lb0EPKS5_PS5_PKlPlN2at6native12_GLOBAL__N_18offset_tEEE10hipError_tPvRmT1_PNSt15iterator_traitsISL_E10value_typeET2_T3_PNSM_ISR_E10value_typeET4_jRbjT5_SX_jjP12ihipStream_tbEUlT_E0_NS1_11comp_targetILNS1_3genE8ELNS1_11target_archE1030ELNS1_3gpuE2ELNS1_3repE0EEENS1_60segmented_radix_sort_warp_sort_medium_config_static_selectorELNS0_4arch9wavefront6targetE0EEEvSL_
    .private_segment_fixed_size: 0
    .sgpr_count:     0
    .sgpr_spill_count: 0
    .symbol:         _ZN7rocprim17ROCPRIM_400000_NS6detail17trampoline_kernelINS0_14default_configENS1_36segmented_radix_sort_config_selectorI6__halflEEZNS1_25segmented_radix_sort_implIS3_Lb0EPKS5_PS5_PKlPlN2at6native12_GLOBAL__N_18offset_tEEE10hipError_tPvRmT1_PNSt15iterator_traitsISL_E10value_typeET2_T3_PNSM_ISR_E10value_typeET4_jRbjT5_SX_jjP12ihipStream_tbEUlT_E0_NS1_11comp_targetILNS1_3genE8ELNS1_11target_archE1030ELNS1_3gpuE2ELNS1_3repE0EEENS1_60segmented_radix_sort_warp_sort_medium_config_static_selectorELNS0_4arch9wavefront6targetE0EEEvSL_.kd
    .uniform_work_group_size: 1
    .uses_dynamic_stack: false
    .vgpr_count:     0
    .vgpr_spill_count: 0
    .wavefront_size: 32
  - .args:
      - .offset:         0
        .size:           88
        .value_kind:     by_value
      - .offset:         88
        .size:           4
        .value_kind:     hidden_block_count_x
      - .offset:         92
        .size:           4
        .value_kind:     hidden_block_count_y
      - .offset:         96
        .size:           4
        .value_kind:     hidden_block_count_z
      - .offset:         100
        .size:           2
        .value_kind:     hidden_group_size_x
      - .offset:         102
        .size:           2
        .value_kind:     hidden_group_size_y
      - .offset:         104
        .size:           2
        .value_kind:     hidden_group_size_z
      - .offset:         106
        .size:           2
        .value_kind:     hidden_remainder_x
      - .offset:         108
        .size:           2
        .value_kind:     hidden_remainder_y
      - .offset:         110
        .size:           2
        .value_kind:     hidden_remainder_z
      - .offset:         128
        .size:           8
        .value_kind:     hidden_global_offset_x
      - .offset:         136
        .size:           8
        .value_kind:     hidden_global_offset_y
      - .offset:         144
        .size:           8
        .value_kind:     hidden_global_offset_z
      - .offset:         152
        .size:           2
        .value_kind:     hidden_grid_dims
      - .offset:         168
        .size:           8
        .value_kind:     hidden_hostcall_buffer
      - .offset:         176
        .size:           8
        .value_kind:     hidden_multigrid_sync_arg
      - .offset:         184
        .size:           8
        .value_kind:     hidden_heap_v1
      - .offset:         192
        .size:           8
        .value_kind:     hidden_default_queue
      - .offset:         200
        .size:           8
        .value_kind:     hidden_completion_action
      - .offset:         288
        .size:           8
        .value_kind:     hidden_queue_ptr
    .group_segment_fixed_size: 10240
    .kernarg_segment_align: 8
    .kernarg_segment_size: 344
    .language:       OpenCL C
    .language_version:
      - 2
      - 0
    .max_flat_workgroup_size: 256
    .name:           _ZN7rocprim17ROCPRIM_400000_NS6detail17trampoline_kernelINS0_14default_configENS1_36segmented_radix_sort_config_selectorI6__halflEEZNS1_25segmented_radix_sort_implIS3_Lb0EPKS5_PS5_PKlPlN2at6native12_GLOBAL__N_18offset_tEEE10hipError_tPvRmT1_PNSt15iterator_traitsISL_E10value_typeET2_T3_PNSM_ISR_E10value_typeET4_jRbjT5_SX_jjP12ihipStream_tbEUlT_E1_NS1_11comp_targetILNS1_3genE0ELNS1_11target_archE4294967295ELNS1_3gpuE0ELNS1_3repE0EEENS1_59segmented_radix_sort_warp_sort_small_config_static_selectorELNS0_4arch9wavefront6targetE0EEEvSL_
    .private_segment_fixed_size: 0
    .sgpr_count:     35
    .sgpr_spill_count: 0
    .symbol:         _ZN7rocprim17ROCPRIM_400000_NS6detail17trampoline_kernelINS0_14default_configENS1_36segmented_radix_sort_config_selectorI6__halflEEZNS1_25segmented_radix_sort_implIS3_Lb0EPKS5_PS5_PKlPlN2at6native12_GLOBAL__N_18offset_tEEE10hipError_tPvRmT1_PNSt15iterator_traitsISL_E10value_typeET2_T3_PNSM_ISR_E10value_typeET4_jRbjT5_SX_jjP12ihipStream_tbEUlT_E1_NS1_11comp_targetILNS1_3genE0ELNS1_11target_archE4294967295ELNS1_3gpuE0ELNS1_3repE0EEENS1_59segmented_radix_sort_warp_sort_small_config_static_selectorELNS0_4arch9wavefront6targetE0EEEvSL_.kd
    .uniform_work_group_size: 1
    .uses_dynamic_stack: false
    .vgpr_count:     55
    .vgpr_spill_count: 0
    .wavefront_size: 32
  - .args:
      - .offset:         0
        .size:           88
        .value_kind:     by_value
    .group_segment_fixed_size: 0
    .kernarg_segment_align: 8
    .kernarg_segment_size: 88
    .language:       OpenCL C
    .language_version:
      - 2
      - 0
    .max_flat_workgroup_size: 256
    .name:           _ZN7rocprim17ROCPRIM_400000_NS6detail17trampoline_kernelINS0_14default_configENS1_36segmented_radix_sort_config_selectorI6__halflEEZNS1_25segmented_radix_sort_implIS3_Lb0EPKS5_PS5_PKlPlN2at6native12_GLOBAL__N_18offset_tEEE10hipError_tPvRmT1_PNSt15iterator_traitsISL_E10value_typeET2_T3_PNSM_ISR_E10value_typeET4_jRbjT5_SX_jjP12ihipStream_tbEUlT_E1_NS1_11comp_targetILNS1_3genE5ELNS1_11target_archE942ELNS1_3gpuE9ELNS1_3repE0EEENS1_59segmented_radix_sort_warp_sort_small_config_static_selectorELNS0_4arch9wavefront6targetE0EEEvSL_
    .private_segment_fixed_size: 0
    .sgpr_count:     0
    .sgpr_spill_count: 0
    .symbol:         _ZN7rocprim17ROCPRIM_400000_NS6detail17trampoline_kernelINS0_14default_configENS1_36segmented_radix_sort_config_selectorI6__halflEEZNS1_25segmented_radix_sort_implIS3_Lb0EPKS5_PS5_PKlPlN2at6native12_GLOBAL__N_18offset_tEEE10hipError_tPvRmT1_PNSt15iterator_traitsISL_E10value_typeET2_T3_PNSM_ISR_E10value_typeET4_jRbjT5_SX_jjP12ihipStream_tbEUlT_E1_NS1_11comp_targetILNS1_3genE5ELNS1_11target_archE942ELNS1_3gpuE9ELNS1_3repE0EEENS1_59segmented_radix_sort_warp_sort_small_config_static_selectorELNS0_4arch9wavefront6targetE0EEEvSL_.kd
    .uniform_work_group_size: 1
    .uses_dynamic_stack: false
    .vgpr_count:     0
    .vgpr_spill_count: 0
    .wavefront_size: 32
  - .args:
      - .offset:         0
        .size:           88
        .value_kind:     by_value
    .group_segment_fixed_size: 0
    .kernarg_segment_align: 8
    .kernarg_segment_size: 88
    .language:       OpenCL C
    .language_version:
      - 2
      - 0
    .max_flat_workgroup_size: 256
    .name:           _ZN7rocprim17ROCPRIM_400000_NS6detail17trampoline_kernelINS0_14default_configENS1_36segmented_radix_sort_config_selectorI6__halflEEZNS1_25segmented_radix_sort_implIS3_Lb0EPKS5_PS5_PKlPlN2at6native12_GLOBAL__N_18offset_tEEE10hipError_tPvRmT1_PNSt15iterator_traitsISL_E10value_typeET2_T3_PNSM_ISR_E10value_typeET4_jRbjT5_SX_jjP12ihipStream_tbEUlT_E1_NS1_11comp_targetILNS1_3genE4ELNS1_11target_archE910ELNS1_3gpuE8ELNS1_3repE0EEENS1_59segmented_radix_sort_warp_sort_small_config_static_selectorELNS0_4arch9wavefront6targetE0EEEvSL_
    .private_segment_fixed_size: 0
    .sgpr_count:     0
    .sgpr_spill_count: 0
    .symbol:         _ZN7rocprim17ROCPRIM_400000_NS6detail17trampoline_kernelINS0_14default_configENS1_36segmented_radix_sort_config_selectorI6__halflEEZNS1_25segmented_radix_sort_implIS3_Lb0EPKS5_PS5_PKlPlN2at6native12_GLOBAL__N_18offset_tEEE10hipError_tPvRmT1_PNSt15iterator_traitsISL_E10value_typeET2_T3_PNSM_ISR_E10value_typeET4_jRbjT5_SX_jjP12ihipStream_tbEUlT_E1_NS1_11comp_targetILNS1_3genE4ELNS1_11target_archE910ELNS1_3gpuE8ELNS1_3repE0EEENS1_59segmented_radix_sort_warp_sort_small_config_static_selectorELNS0_4arch9wavefront6targetE0EEEvSL_.kd
    .uniform_work_group_size: 1
    .uses_dynamic_stack: false
    .vgpr_count:     0
    .vgpr_spill_count: 0
    .wavefront_size: 32
  - .args:
      - .offset:         0
        .size:           88
        .value_kind:     by_value
    .group_segment_fixed_size: 0
    .kernarg_segment_align: 8
    .kernarg_segment_size: 88
    .language:       OpenCL C
    .language_version:
      - 2
      - 0
    .max_flat_workgroup_size: 256
    .name:           _ZN7rocprim17ROCPRIM_400000_NS6detail17trampoline_kernelINS0_14default_configENS1_36segmented_radix_sort_config_selectorI6__halflEEZNS1_25segmented_radix_sort_implIS3_Lb0EPKS5_PS5_PKlPlN2at6native12_GLOBAL__N_18offset_tEEE10hipError_tPvRmT1_PNSt15iterator_traitsISL_E10value_typeET2_T3_PNSM_ISR_E10value_typeET4_jRbjT5_SX_jjP12ihipStream_tbEUlT_E1_NS1_11comp_targetILNS1_3genE3ELNS1_11target_archE908ELNS1_3gpuE7ELNS1_3repE0EEENS1_59segmented_radix_sort_warp_sort_small_config_static_selectorELNS0_4arch9wavefront6targetE0EEEvSL_
    .private_segment_fixed_size: 0
    .sgpr_count:     0
    .sgpr_spill_count: 0
    .symbol:         _ZN7rocprim17ROCPRIM_400000_NS6detail17trampoline_kernelINS0_14default_configENS1_36segmented_radix_sort_config_selectorI6__halflEEZNS1_25segmented_radix_sort_implIS3_Lb0EPKS5_PS5_PKlPlN2at6native12_GLOBAL__N_18offset_tEEE10hipError_tPvRmT1_PNSt15iterator_traitsISL_E10value_typeET2_T3_PNSM_ISR_E10value_typeET4_jRbjT5_SX_jjP12ihipStream_tbEUlT_E1_NS1_11comp_targetILNS1_3genE3ELNS1_11target_archE908ELNS1_3gpuE7ELNS1_3repE0EEENS1_59segmented_radix_sort_warp_sort_small_config_static_selectorELNS0_4arch9wavefront6targetE0EEEvSL_.kd
    .uniform_work_group_size: 1
    .uses_dynamic_stack: false
    .vgpr_count:     0
    .vgpr_spill_count: 0
    .wavefront_size: 32
  - .args:
      - .offset:         0
        .size:           88
        .value_kind:     by_value
    .group_segment_fixed_size: 0
    .kernarg_segment_align: 8
    .kernarg_segment_size: 88
    .language:       OpenCL C
    .language_version:
      - 2
      - 0
    .max_flat_workgroup_size: 256
    .name:           _ZN7rocprim17ROCPRIM_400000_NS6detail17trampoline_kernelINS0_14default_configENS1_36segmented_radix_sort_config_selectorI6__halflEEZNS1_25segmented_radix_sort_implIS3_Lb0EPKS5_PS5_PKlPlN2at6native12_GLOBAL__N_18offset_tEEE10hipError_tPvRmT1_PNSt15iterator_traitsISL_E10value_typeET2_T3_PNSM_ISR_E10value_typeET4_jRbjT5_SX_jjP12ihipStream_tbEUlT_E1_NS1_11comp_targetILNS1_3genE2ELNS1_11target_archE906ELNS1_3gpuE6ELNS1_3repE0EEENS1_59segmented_radix_sort_warp_sort_small_config_static_selectorELNS0_4arch9wavefront6targetE0EEEvSL_
    .private_segment_fixed_size: 0
    .sgpr_count:     0
    .sgpr_spill_count: 0
    .symbol:         _ZN7rocprim17ROCPRIM_400000_NS6detail17trampoline_kernelINS0_14default_configENS1_36segmented_radix_sort_config_selectorI6__halflEEZNS1_25segmented_radix_sort_implIS3_Lb0EPKS5_PS5_PKlPlN2at6native12_GLOBAL__N_18offset_tEEE10hipError_tPvRmT1_PNSt15iterator_traitsISL_E10value_typeET2_T3_PNSM_ISR_E10value_typeET4_jRbjT5_SX_jjP12ihipStream_tbEUlT_E1_NS1_11comp_targetILNS1_3genE2ELNS1_11target_archE906ELNS1_3gpuE6ELNS1_3repE0EEENS1_59segmented_radix_sort_warp_sort_small_config_static_selectorELNS0_4arch9wavefront6targetE0EEEvSL_.kd
    .uniform_work_group_size: 1
    .uses_dynamic_stack: false
    .vgpr_count:     0
    .vgpr_spill_count: 0
    .wavefront_size: 32
  - .args:
      - .offset:         0
        .size:           88
        .value_kind:     by_value
    .group_segment_fixed_size: 0
    .kernarg_segment_align: 8
    .kernarg_segment_size: 88
    .language:       OpenCL C
    .language_version:
      - 2
      - 0
    .max_flat_workgroup_size: 256
    .name:           _ZN7rocprim17ROCPRIM_400000_NS6detail17trampoline_kernelINS0_14default_configENS1_36segmented_radix_sort_config_selectorI6__halflEEZNS1_25segmented_radix_sort_implIS3_Lb0EPKS5_PS5_PKlPlN2at6native12_GLOBAL__N_18offset_tEEE10hipError_tPvRmT1_PNSt15iterator_traitsISL_E10value_typeET2_T3_PNSM_ISR_E10value_typeET4_jRbjT5_SX_jjP12ihipStream_tbEUlT_E1_NS1_11comp_targetILNS1_3genE10ELNS1_11target_archE1201ELNS1_3gpuE5ELNS1_3repE0EEENS1_59segmented_radix_sort_warp_sort_small_config_static_selectorELNS0_4arch9wavefront6targetE0EEEvSL_
    .private_segment_fixed_size: 0
    .sgpr_count:     0
    .sgpr_spill_count: 0
    .symbol:         _ZN7rocprim17ROCPRIM_400000_NS6detail17trampoline_kernelINS0_14default_configENS1_36segmented_radix_sort_config_selectorI6__halflEEZNS1_25segmented_radix_sort_implIS3_Lb0EPKS5_PS5_PKlPlN2at6native12_GLOBAL__N_18offset_tEEE10hipError_tPvRmT1_PNSt15iterator_traitsISL_E10value_typeET2_T3_PNSM_ISR_E10value_typeET4_jRbjT5_SX_jjP12ihipStream_tbEUlT_E1_NS1_11comp_targetILNS1_3genE10ELNS1_11target_archE1201ELNS1_3gpuE5ELNS1_3repE0EEENS1_59segmented_radix_sort_warp_sort_small_config_static_selectorELNS0_4arch9wavefront6targetE0EEEvSL_.kd
    .uniform_work_group_size: 1
    .uses_dynamic_stack: false
    .vgpr_count:     0
    .vgpr_spill_count: 0
    .wavefront_size: 32
  - .args:
      - .offset:         0
        .size:           88
        .value_kind:     by_value
    .group_segment_fixed_size: 0
    .kernarg_segment_align: 8
    .kernarg_segment_size: 88
    .language:       OpenCL C
    .language_version:
      - 2
      - 0
    .max_flat_workgroup_size: 256
    .name:           _ZN7rocprim17ROCPRIM_400000_NS6detail17trampoline_kernelINS0_14default_configENS1_36segmented_radix_sort_config_selectorI6__halflEEZNS1_25segmented_radix_sort_implIS3_Lb0EPKS5_PS5_PKlPlN2at6native12_GLOBAL__N_18offset_tEEE10hipError_tPvRmT1_PNSt15iterator_traitsISL_E10value_typeET2_T3_PNSM_ISR_E10value_typeET4_jRbjT5_SX_jjP12ihipStream_tbEUlT_E1_NS1_11comp_targetILNS1_3genE10ELNS1_11target_archE1200ELNS1_3gpuE4ELNS1_3repE0EEENS1_59segmented_radix_sort_warp_sort_small_config_static_selectorELNS0_4arch9wavefront6targetE0EEEvSL_
    .private_segment_fixed_size: 0
    .sgpr_count:     0
    .sgpr_spill_count: 0
    .symbol:         _ZN7rocprim17ROCPRIM_400000_NS6detail17trampoline_kernelINS0_14default_configENS1_36segmented_radix_sort_config_selectorI6__halflEEZNS1_25segmented_radix_sort_implIS3_Lb0EPKS5_PS5_PKlPlN2at6native12_GLOBAL__N_18offset_tEEE10hipError_tPvRmT1_PNSt15iterator_traitsISL_E10value_typeET2_T3_PNSM_ISR_E10value_typeET4_jRbjT5_SX_jjP12ihipStream_tbEUlT_E1_NS1_11comp_targetILNS1_3genE10ELNS1_11target_archE1200ELNS1_3gpuE4ELNS1_3repE0EEENS1_59segmented_radix_sort_warp_sort_small_config_static_selectorELNS0_4arch9wavefront6targetE0EEEvSL_.kd
    .uniform_work_group_size: 1
    .uses_dynamic_stack: false
    .vgpr_count:     0
    .vgpr_spill_count: 0
    .wavefront_size: 32
  - .args:
      - .offset:         0
        .size:           88
        .value_kind:     by_value
    .group_segment_fixed_size: 0
    .kernarg_segment_align: 8
    .kernarg_segment_size: 88
    .language:       OpenCL C
    .language_version:
      - 2
      - 0
    .max_flat_workgroup_size: 256
    .name:           _ZN7rocprim17ROCPRIM_400000_NS6detail17trampoline_kernelINS0_14default_configENS1_36segmented_radix_sort_config_selectorI6__halflEEZNS1_25segmented_radix_sort_implIS3_Lb0EPKS5_PS5_PKlPlN2at6native12_GLOBAL__N_18offset_tEEE10hipError_tPvRmT1_PNSt15iterator_traitsISL_E10value_typeET2_T3_PNSM_ISR_E10value_typeET4_jRbjT5_SX_jjP12ihipStream_tbEUlT_E1_NS1_11comp_targetILNS1_3genE9ELNS1_11target_archE1100ELNS1_3gpuE3ELNS1_3repE0EEENS1_59segmented_radix_sort_warp_sort_small_config_static_selectorELNS0_4arch9wavefront6targetE0EEEvSL_
    .private_segment_fixed_size: 0
    .sgpr_count:     0
    .sgpr_spill_count: 0
    .symbol:         _ZN7rocprim17ROCPRIM_400000_NS6detail17trampoline_kernelINS0_14default_configENS1_36segmented_radix_sort_config_selectorI6__halflEEZNS1_25segmented_radix_sort_implIS3_Lb0EPKS5_PS5_PKlPlN2at6native12_GLOBAL__N_18offset_tEEE10hipError_tPvRmT1_PNSt15iterator_traitsISL_E10value_typeET2_T3_PNSM_ISR_E10value_typeET4_jRbjT5_SX_jjP12ihipStream_tbEUlT_E1_NS1_11comp_targetILNS1_3genE9ELNS1_11target_archE1100ELNS1_3gpuE3ELNS1_3repE0EEENS1_59segmented_radix_sort_warp_sort_small_config_static_selectorELNS0_4arch9wavefront6targetE0EEEvSL_.kd
    .uniform_work_group_size: 1
    .uses_dynamic_stack: false
    .vgpr_count:     0
    .vgpr_spill_count: 0
    .wavefront_size: 32
  - .args:
      - .offset:         0
        .size:           88
        .value_kind:     by_value
    .group_segment_fixed_size: 0
    .kernarg_segment_align: 8
    .kernarg_segment_size: 88
    .language:       OpenCL C
    .language_version:
      - 2
      - 0
    .max_flat_workgroup_size: 256
    .name:           _ZN7rocprim17ROCPRIM_400000_NS6detail17trampoline_kernelINS0_14default_configENS1_36segmented_radix_sort_config_selectorI6__halflEEZNS1_25segmented_radix_sort_implIS3_Lb0EPKS5_PS5_PKlPlN2at6native12_GLOBAL__N_18offset_tEEE10hipError_tPvRmT1_PNSt15iterator_traitsISL_E10value_typeET2_T3_PNSM_ISR_E10value_typeET4_jRbjT5_SX_jjP12ihipStream_tbEUlT_E1_NS1_11comp_targetILNS1_3genE8ELNS1_11target_archE1030ELNS1_3gpuE2ELNS1_3repE0EEENS1_59segmented_radix_sort_warp_sort_small_config_static_selectorELNS0_4arch9wavefront6targetE0EEEvSL_
    .private_segment_fixed_size: 0
    .sgpr_count:     0
    .sgpr_spill_count: 0
    .symbol:         _ZN7rocprim17ROCPRIM_400000_NS6detail17trampoline_kernelINS0_14default_configENS1_36segmented_radix_sort_config_selectorI6__halflEEZNS1_25segmented_radix_sort_implIS3_Lb0EPKS5_PS5_PKlPlN2at6native12_GLOBAL__N_18offset_tEEE10hipError_tPvRmT1_PNSt15iterator_traitsISL_E10value_typeET2_T3_PNSM_ISR_E10value_typeET4_jRbjT5_SX_jjP12ihipStream_tbEUlT_E1_NS1_11comp_targetILNS1_3genE8ELNS1_11target_archE1030ELNS1_3gpuE2ELNS1_3repE0EEENS1_59segmented_radix_sort_warp_sort_small_config_static_selectorELNS0_4arch9wavefront6targetE0EEEvSL_.kd
    .uniform_work_group_size: 1
    .uses_dynamic_stack: false
    .vgpr_count:     0
    .vgpr_spill_count: 0
    .wavefront_size: 32
  - .args:
      - .offset:         0
        .size:           80
        .value_kind:     by_value
      - .offset:         80
        .size:           4
        .value_kind:     hidden_block_count_x
      - .offset:         84
        .size:           4
        .value_kind:     hidden_block_count_y
      - .offset:         88
        .size:           4
        .value_kind:     hidden_block_count_z
      - .offset:         92
        .size:           2
        .value_kind:     hidden_group_size_x
      - .offset:         94
        .size:           2
        .value_kind:     hidden_group_size_y
      - .offset:         96
        .size:           2
        .value_kind:     hidden_group_size_z
      - .offset:         98
        .size:           2
        .value_kind:     hidden_remainder_x
      - .offset:         100
        .size:           2
        .value_kind:     hidden_remainder_y
      - .offset:         102
        .size:           2
        .value_kind:     hidden_remainder_z
      - .offset:         120
        .size:           8
        .value_kind:     hidden_global_offset_x
      - .offset:         128
        .size:           8
        .value_kind:     hidden_global_offset_y
      - .offset:         136
        .size:           8
        .value_kind:     hidden_global_offset_z
      - .offset:         144
        .size:           2
        .value_kind:     hidden_grid_dims
      - .offset:         160
        .size:           8
        .value_kind:     hidden_hostcall_buffer
      - .offset:         168
        .size:           8
        .value_kind:     hidden_multigrid_sync_arg
      - .offset:         176
        .size:           8
        .value_kind:     hidden_heap_v1
      - .offset:         184
        .size:           8
        .value_kind:     hidden_default_queue
      - .offset:         192
        .size:           8
        .value_kind:     hidden_completion_action
      - .offset:         280
        .size:           8
        .value_kind:     hidden_queue_ptr
    .group_segment_fixed_size: 33824
    .kernarg_segment_align: 8
    .kernarg_segment_size: 336
    .language:       OpenCL C
    .language_version:
      - 2
      - 0
    .max_flat_workgroup_size: 256
    .name:           _ZN7rocprim17ROCPRIM_400000_NS6detail17trampoline_kernelINS0_14default_configENS1_36segmented_radix_sort_config_selectorI6__halflEEZNS1_25segmented_radix_sort_implIS3_Lb0EPKS5_PS5_PKlPlN2at6native12_GLOBAL__N_18offset_tEEE10hipError_tPvRmT1_PNSt15iterator_traitsISL_E10value_typeET2_T3_PNSM_ISR_E10value_typeET4_jRbjT5_SX_jjP12ihipStream_tbEUlT_E2_NS1_11comp_targetILNS1_3genE0ELNS1_11target_archE4294967295ELNS1_3gpuE0ELNS1_3repE0EEENS1_30default_config_static_selectorELNS0_4arch9wavefront6targetE0EEEvSL_
    .private_segment_fixed_size: 0
    .sgpr_count:     61
    .sgpr_spill_count: 0
    .symbol:         _ZN7rocprim17ROCPRIM_400000_NS6detail17trampoline_kernelINS0_14default_configENS1_36segmented_radix_sort_config_selectorI6__halflEEZNS1_25segmented_radix_sort_implIS3_Lb0EPKS5_PS5_PKlPlN2at6native12_GLOBAL__N_18offset_tEEE10hipError_tPvRmT1_PNSt15iterator_traitsISL_E10value_typeET2_T3_PNSM_ISR_E10value_typeET4_jRbjT5_SX_jjP12ihipStream_tbEUlT_E2_NS1_11comp_targetILNS1_3genE0ELNS1_11target_archE4294967295ELNS1_3gpuE0ELNS1_3repE0EEENS1_30default_config_static_selectorELNS0_4arch9wavefront6targetE0EEEvSL_.kd
    .uniform_work_group_size: 1
    .uses_dynamic_stack: false
    .vgpr_count:     304
    .vgpr_spill_count: 0
    .wavefront_size: 32
  - .args:
      - .offset:         0
        .size:           80
        .value_kind:     by_value
    .group_segment_fixed_size: 0
    .kernarg_segment_align: 8
    .kernarg_segment_size: 80
    .language:       OpenCL C
    .language_version:
      - 2
      - 0
    .max_flat_workgroup_size: 256
    .name:           _ZN7rocprim17ROCPRIM_400000_NS6detail17trampoline_kernelINS0_14default_configENS1_36segmented_radix_sort_config_selectorI6__halflEEZNS1_25segmented_radix_sort_implIS3_Lb0EPKS5_PS5_PKlPlN2at6native12_GLOBAL__N_18offset_tEEE10hipError_tPvRmT1_PNSt15iterator_traitsISL_E10value_typeET2_T3_PNSM_ISR_E10value_typeET4_jRbjT5_SX_jjP12ihipStream_tbEUlT_E2_NS1_11comp_targetILNS1_3genE5ELNS1_11target_archE942ELNS1_3gpuE9ELNS1_3repE0EEENS1_30default_config_static_selectorELNS0_4arch9wavefront6targetE0EEEvSL_
    .private_segment_fixed_size: 0
    .sgpr_count:     0
    .sgpr_spill_count: 0
    .symbol:         _ZN7rocprim17ROCPRIM_400000_NS6detail17trampoline_kernelINS0_14default_configENS1_36segmented_radix_sort_config_selectorI6__halflEEZNS1_25segmented_radix_sort_implIS3_Lb0EPKS5_PS5_PKlPlN2at6native12_GLOBAL__N_18offset_tEEE10hipError_tPvRmT1_PNSt15iterator_traitsISL_E10value_typeET2_T3_PNSM_ISR_E10value_typeET4_jRbjT5_SX_jjP12ihipStream_tbEUlT_E2_NS1_11comp_targetILNS1_3genE5ELNS1_11target_archE942ELNS1_3gpuE9ELNS1_3repE0EEENS1_30default_config_static_selectorELNS0_4arch9wavefront6targetE0EEEvSL_.kd
    .uniform_work_group_size: 1
    .uses_dynamic_stack: false
    .vgpr_count:     0
    .vgpr_spill_count: 0
    .wavefront_size: 32
  - .args:
      - .offset:         0
        .size:           80
        .value_kind:     by_value
    .group_segment_fixed_size: 0
    .kernarg_segment_align: 8
    .kernarg_segment_size: 80
    .language:       OpenCL C
    .language_version:
      - 2
      - 0
    .max_flat_workgroup_size: 256
    .name:           _ZN7rocprim17ROCPRIM_400000_NS6detail17trampoline_kernelINS0_14default_configENS1_36segmented_radix_sort_config_selectorI6__halflEEZNS1_25segmented_radix_sort_implIS3_Lb0EPKS5_PS5_PKlPlN2at6native12_GLOBAL__N_18offset_tEEE10hipError_tPvRmT1_PNSt15iterator_traitsISL_E10value_typeET2_T3_PNSM_ISR_E10value_typeET4_jRbjT5_SX_jjP12ihipStream_tbEUlT_E2_NS1_11comp_targetILNS1_3genE4ELNS1_11target_archE910ELNS1_3gpuE8ELNS1_3repE0EEENS1_30default_config_static_selectorELNS0_4arch9wavefront6targetE0EEEvSL_
    .private_segment_fixed_size: 0
    .sgpr_count:     0
    .sgpr_spill_count: 0
    .symbol:         _ZN7rocprim17ROCPRIM_400000_NS6detail17trampoline_kernelINS0_14default_configENS1_36segmented_radix_sort_config_selectorI6__halflEEZNS1_25segmented_radix_sort_implIS3_Lb0EPKS5_PS5_PKlPlN2at6native12_GLOBAL__N_18offset_tEEE10hipError_tPvRmT1_PNSt15iterator_traitsISL_E10value_typeET2_T3_PNSM_ISR_E10value_typeET4_jRbjT5_SX_jjP12ihipStream_tbEUlT_E2_NS1_11comp_targetILNS1_3genE4ELNS1_11target_archE910ELNS1_3gpuE8ELNS1_3repE0EEENS1_30default_config_static_selectorELNS0_4arch9wavefront6targetE0EEEvSL_.kd
    .uniform_work_group_size: 1
    .uses_dynamic_stack: false
    .vgpr_count:     0
    .vgpr_spill_count: 0
    .wavefront_size: 32
  - .args:
      - .offset:         0
        .size:           80
        .value_kind:     by_value
    .group_segment_fixed_size: 0
    .kernarg_segment_align: 8
    .kernarg_segment_size: 80
    .language:       OpenCL C
    .language_version:
      - 2
      - 0
    .max_flat_workgroup_size: 256
    .name:           _ZN7rocprim17ROCPRIM_400000_NS6detail17trampoline_kernelINS0_14default_configENS1_36segmented_radix_sort_config_selectorI6__halflEEZNS1_25segmented_radix_sort_implIS3_Lb0EPKS5_PS5_PKlPlN2at6native12_GLOBAL__N_18offset_tEEE10hipError_tPvRmT1_PNSt15iterator_traitsISL_E10value_typeET2_T3_PNSM_ISR_E10value_typeET4_jRbjT5_SX_jjP12ihipStream_tbEUlT_E2_NS1_11comp_targetILNS1_3genE3ELNS1_11target_archE908ELNS1_3gpuE7ELNS1_3repE0EEENS1_30default_config_static_selectorELNS0_4arch9wavefront6targetE0EEEvSL_
    .private_segment_fixed_size: 0
    .sgpr_count:     0
    .sgpr_spill_count: 0
    .symbol:         _ZN7rocprim17ROCPRIM_400000_NS6detail17trampoline_kernelINS0_14default_configENS1_36segmented_radix_sort_config_selectorI6__halflEEZNS1_25segmented_radix_sort_implIS3_Lb0EPKS5_PS5_PKlPlN2at6native12_GLOBAL__N_18offset_tEEE10hipError_tPvRmT1_PNSt15iterator_traitsISL_E10value_typeET2_T3_PNSM_ISR_E10value_typeET4_jRbjT5_SX_jjP12ihipStream_tbEUlT_E2_NS1_11comp_targetILNS1_3genE3ELNS1_11target_archE908ELNS1_3gpuE7ELNS1_3repE0EEENS1_30default_config_static_selectorELNS0_4arch9wavefront6targetE0EEEvSL_.kd
    .uniform_work_group_size: 1
    .uses_dynamic_stack: false
    .vgpr_count:     0
    .vgpr_spill_count: 0
    .wavefront_size: 32
  - .args:
      - .offset:         0
        .size:           80
        .value_kind:     by_value
    .group_segment_fixed_size: 0
    .kernarg_segment_align: 8
    .kernarg_segment_size: 80
    .language:       OpenCL C
    .language_version:
      - 2
      - 0
    .max_flat_workgroup_size: 256
    .name:           _ZN7rocprim17ROCPRIM_400000_NS6detail17trampoline_kernelINS0_14default_configENS1_36segmented_radix_sort_config_selectorI6__halflEEZNS1_25segmented_radix_sort_implIS3_Lb0EPKS5_PS5_PKlPlN2at6native12_GLOBAL__N_18offset_tEEE10hipError_tPvRmT1_PNSt15iterator_traitsISL_E10value_typeET2_T3_PNSM_ISR_E10value_typeET4_jRbjT5_SX_jjP12ihipStream_tbEUlT_E2_NS1_11comp_targetILNS1_3genE2ELNS1_11target_archE906ELNS1_3gpuE6ELNS1_3repE0EEENS1_30default_config_static_selectorELNS0_4arch9wavefront6targetE0EEEvSL_
    .private_segment_fixed_size: 0
    .sgpr_count:     0
    .sgpr_spill_count: 0
    .symbol:         _ZN7rocprim17ROCPRIM_400000_NS6detail17trampoline_kernelINS0_14default_configENS1_36segmented_radix_sort_config_selectorI6__halflEEZNS1_25segmented_radix_sort_implIS3_Lb0EPKS5_PS5_PKlPlN2at6native12_GLOBAL__N_18offset_tEEE10hipError_tPvRmT1_PNSt15iterator_traitsISL_E10value_typeET2_T3_PNSM_ISR_E10value_typeET4_jRbjT5_SX_jjP12ihipStream_tbEUlT_E2_NS1_11comp_targetILNS1_3genE2ELNS1_11target_archE906ELNS1_3gpuE6ELNS1_3repE0EEENS1_30default_config_static_selectorELNS0_4arch9wavefront6targetE0EEEvSL_.kd
    .uniform_work_group_size: 1
    .uses_dynamic_stack: false
    .vgpr_count:     0
    .vgpr_spill_count: 0
    .wavefront_size: 32
  - .args:
      - .offset:         0
        .size:           80
        .value_kind:     by_value
    .group_segment_fixed_size: 0
    .kernarg_segment_align: 8
    .kernarg_segment_size: 80
    .language:       OpenCL C
    .language_version:
      - 2
      - 0
    .max_flat_workgroup_size: 256
    .name:           _ZN7rocprim17ROCPRIM_400000_NS6detail17trampoline_kernelINS0_14default_configENS1_36segmented_radix_sort_config_selectorI6__halflEEZNS1_25segmented_radix_sort_implIS3_Lb0EPKS5_PS5_PKlPlN2at6native12_GLOBAL__N_18offset_tEEE10hipError_tPvRmT1_PNSt15iterator_traitsISL_E10value_typeET2_T3_PNSM_ISR_E10value_typeET4_jRbjT5_SX_jjP12ihipStream_tbEUlT_E2_NS1_11comp_targetILNS1_3genE10ELNS1_11target_archE1201ELNS1_3gpuE5ELNS1_3repE0EEENS1_30default_config_static_selectorELNS0_4arch9wavefront6targetE0EEEvSL_
    .private_segment_fixed_size: 0
    .sgpr_count:     0
    .sgpr_spill_count: 0
    .symbol:         _ZN7rocprim17ROCPRIM_400000_NS6detail17trampoline_kernelINS0_14default_configENS1_36segmented_radix_sort_config_selectorI6__halflEEZNS1_25segmented_radix_sort_implIS3_Lb0EPKS5_PS5_PKlPlN2at6native12_GLOBAL__N_18offset_tEEE10hipError_tPvRmT1_PNSt15iterator_traitsISL_E10value_typeET2_T3_PNSM_ISR_E10value_typeET4_jRbjT5_SX_jjP12ihipStream_tbEUlT_E2_NS1_11comp_targetILNS1_3genE10ELNS1_11target_archE1201ELNS1_3gpuE5ELNS1_3repE0EEENS1_30default_config_static_selectorELNS0_4arch9wavefront6targetE0EEEvSL_.kd
    .uniform_work_group_size: 1
    .uses_dynamic_stack: false
    .vgpr_count:     0
    .vgpr_spill_count: 0
    .wavefront_size: 32
  - .args:
      - .offset:         0
        .size:           80
        .value_kind:     by_value
    .group_segment_fixed_size: 0
    .kernarg_segment_align: 8
    .kernarg_segment_size: 80
    .language:       OpenCL C
    .language_version:
      - 2
      - 0
    .max_flat_workgroup_size: 128
    .name:           _ZN7rocprim17ROCPRIM_400000_NS6detail17trampoline_kernelINS0_14default_configENS1_36segmented_radix_sort_config_selectorI6__halflEEZNS1_25segmented_radix_sort_implIS3_Lb0EPKS5_PS5_PKlPlN2at6native12_GLOBAL__N_18offset_tEEE10hipError_tPvRmT1_PNSt15iterator_traitsISL_E10value_typeET2_T3_PNSM_ISR_E10value_typeET4_jRbjT5_SX_jjP12ihipStream_tbEUlT_E2_NS1_11comp_targetILNS1_3genE10ELNS1_11target_archE1200ELNS1_3gpuE4ELNS1_3repE0EEENS1_30default_config_static_selectorELNS0_4arch9wavefront6targetE0EEEvSL_
    .private_segment_fixed_size: 0
    .sgpr_count:     0
    .sgpr_spill_count: 0
    .symbol:         _ZN7rocprim17ROCPRIM_400000_NS6detail17trampoline_kernelINS0_14default_configENS1_36segmented_radix_sort_config_selectorI6__halflEEZNS1_25segmented_radix_sort_implIS3_Lb0EPKS5_PS5_PKlPlN2at6native12_GLOBAL__N_18offset_tEEE10hipError_tPvRmT1_PNSt15iterator_traitsISL_E10value_typeET2_T3_PNSM_ISR_E10value_typeET4_jRbjT5_SX_jjP12ihipStream_tbEUlT_E2_NS1_11comp_targetILNS1_3genE10ELNS1_11target_archE1200ELNS1_3gpuE4ELNS1_3repE0EEENS1_30default_config_static_selectorELNS0_4arch9wavefront6targetE0EEEvSL_.kd
    .uniform_work_group_size: 1
    .uses_dynamic_stack: false
    .vgpr_count:     0
    .vgpr_spill_count: 0
    .wavefront_size: 32
  - .args:
      - .offset:         0
        .size:           80
        .value_kind:     by_value
    .group_segment_fixed_size: 0
    .kernarg_segment_align: 8
    .kernarg_segment_size: 80
    .language:       OpenCL C
    .language_version:
      - 2
      - 0
    .max_flat_workgroup_size: 256
    .name:           _ZN7rocprim17ROCPRIM_400000_NS6detail17trampoline_kernelINS0_14default_configENS1_36segmented_radix_sort_config_selectorI6__halflEEZNS1_25segmented_radix_sort_implIS3_Lb0EPKS5_PS5_PKlPlN2at6native12_GLOBAL__N_18offset_tEEE10hipError_tPvRmT1_PNSt15iterator_traitsISL_E10value_typeET2_T3_PNSM_ISR_E10value_typeET4_jRbjT5_SX_jjP12ihipStream_tbEUlT_E2_NS1_11comp_targetILNS1_3genE9ELNS1_11target_archE1100ELNS1_3gpuE3ELNS1_3repE0EEENS1_30default_config_static_selectorELNS0_4arch9wavefront6targetE0EEEvSL_
    .private_segment_fixed_size: 0
    .sgpr_count:     0
    .sgpr_spill_count: 0
    .symbol:         _ZN7rocprim17ROCPRIM_400000_NS6detail17trampoline_kernelINS0_14default_configENS1_36segmented_radix_sort_config_selectorI6__halflEEZNS1_25segmented_radix_sort_implIS3_Lb0EPKS5_PS5_PKlPlN2at6native12_GLOBAL__N_18offset_tEEE10hipError_tPvRmT1_PNSt15iterator_traitsISL_E10value_typeET2_T3_PNSM_ISR_E10value_typeET4_jRbjT5_SX_jjP12ihipStream_tbEUlT_E2_NS1_11comp_targetILNS1_3genE9ELNS1_11target_archE1100ELNS1_3gpuE3ELNS1_3repE0EEENS1_30default_config_static_selectorELNS0_4arch9wavefront6targetE0EEEvSL_.kd
    .uniform_work_group_size: 1
    .uses_dynamic_stack: false
    .vgpr_count:     0
    .vgpr_spill_count: 0
    .wavefront_size: 32
  - .args:
      - .offset:         0
        .size:           80
        .value_kind:     by_value
    .group_segment_fixed_size: 0
    .kernarg_segment_align: 8
    .kernarg_segment_size: 80
    .language:       OpenCL C
    .language_version:
      - 2
      - 0
    .max_flat_workgroup_size: 256
    .name:           _ZN7rocprim17ROCPRIM_400000_NS6detail17trampoline_kernelINS0_14default_configENS1_36segmented_radix_sort_config_selectorI6__halflEEZNS1_25segmented_radix_sort_implIS3_Lb0EPKS5_PS5_PKlPlN2at6native12_GLOBAL__N_18offset_tEEE10hipError_tPvRmT1_PNSt15iterator_traitsISL_E10value_typeET2_T3_PNSM_ISR_E10value_typeET4_jRbjT5_SX_jjP12ihipStream_tbEUlT_E2_NS1_11comp_targetILNS1_3genE8ELNS1_11target_archE1030ELNS1_3gpuE2ELNS1_3repE0EEENS1_30default_config_static_selectorELNS0_4arch9wavefront6targetE0EEEvSL_
    .private_segment_fixed_size: 0
    .sgpr_count:     0
    .sgpr_spill_count: 0
    .symbol:         _ZN7rocprim17ROCPRIM_400000_NS6detail17trampoline_kernelINS0_14default_configENS1_36segmented_radix_sort_config_selectorI6__halflEEZNS1_25segmented_radix_sort_implIS3_Lb0EPKS5_PS5_PKlPlN2at6native12_GLOBAL__N_18offset_tEEE10hipError_tPvRmT1_PNSt15iterator_traitsISL_E10value_typeET2_T3_PNSM_ISR_E10value_typeET4_jRbjT5_SX_jjP12ihipStream_tbEUlT_E2_NS1_11comp_targetILNS1_3genE8ELNS1_11target_archE1030ELNS1_3gpuE2ELNS1_3repE0EEENS1_30default_config_static_selectorELNS0_4arch9wavefront6targetE0EEEvSL_.kd
    .uniform_work_group_size: 1
    .uses_dynamic_stack: false
    .vgpr_count:     0
    .vgpr_spill_count: 0
    .wavefront_size: 32
  - .args:
      - .address_space:  global
        .offset:         0
        .size:           8
        .value_kind:     global_buffer
      - .address_space:  global
        .offset:         8
        .size:           8
        .value_kind:     global_buffer
      - .address_space:  global
        .offset:         16
        .size:           8
        .value_kind:     global_buffer
      - .address_space:  global
        .offset:         24
        .size:           8
        .value_kind:     global_buffer
      - .offset:         32
        .size:           4
        .value_kind:     by_value
      - .offset:         36
        .size:           4
        .value_kind:     by_value
      - .offset:         40
        .size:           4
        .value_kind:     hidden_block_count_x
      - .offset:         44
        .size:           4
        .value_kind:     hidden_block_count_y
      - .offset:         48
        .size:           4
        .value_kind:     hidden_block_count_z
      - .offset:         52
        .size:           2
        .value_kind:     hidden_group_size_x
      - .offset:         54
        .size:           2
        .value_kind:     hidden_group_size_y
      - .offset:         56
        .size:           2
        .value_kind:     hidden_group_size_z
      - .offset:         58
        .size:           2
        .value_kind:     hidden_remainder_x
      - .offset:         60
        .size:           2
        .value_kind:     hidden_remainder_y
      - .offset:         62
        .size:           2
        .value_kind:     hidden_remainder_z
      - .offset:         80
        .size:           8
        .value_kind:     hidden_global_offset_x
      - .offset:         88
        .size:           8
        .value_kind:     hidden_global_offset_y
      - .offset:         96
        .size:           8
        .value_kind:     hidden_global_offset_z
      - .offset:         104
        .size:           2
        .value_kind:     hidden_grid_dims
    .group_segment_fixed_size: 0
    .kernarg_segment_align: 8
    .kernarg_segment_size: 296
    .language:       OpenCL C
    .language_version:
      - 2
      - 0
    .max_flat_workgroup_size: 1024
    .name:           _ZN2at6native12_GLOBAL__N_123sort_postprocess_kernelIN3c108BFloat16EEEvPKT_PS5_PlPK15HIP_vector_typeIiLj2EEii
    .private_segment_fixed_size: 0
    .sgpr_count:     24
    .sgpr_spill_count: 0
    .symbol:         _ZN2at6native12_GLOBAL__N_123sort_postprocess_kernelIN3c108BFloat16EEEvPKT_PS5_PlPK15HIP_vector_typeIiLj2EEii.kd
    .uniform_work_group_size: 1
    .uses_dynamic_stack: false
    .vgpr_count:     16
    .vgpr_spill_count: 0
    .wavefront_size: 32
  - .args:
      - .offset:         0
        .size:           176
        .value_kind:     by_value
    .group_segment_fixed_size: 13328
    .kernarg_segment_align: 8
    .kernarg_segment_size: 176
    .language:       OpenCL C
    .language_version:
      - 2
      - 0
    .max_flat_workgroup_size: 256
    .name:           _ZN7rocprim17ROCPRIM_400000_NS6detail17trampoline_kernelINS0_13select_configILj256ELj13ELNS0_17block_load_methodE3ELS4_3ELS4_3ELNS0_20block_scan_algorithmE0ELj4294967295EEENS1_25partition_config_selectorILNS1_17partition_subalgoE4EjNS0_10empty_typeEbEEZZNS1_14partition_implILS8_4ELb0ES6_15HIP_vector_typeIjLj2EENS0_17counting_iteratorIjlEEPS9_SG_NS0_5tupleIJPjSI_NS0_16reverse_iteratorISI_EEEEENSH_IJSG_SG_SG_EEES9_SI_JZNS1_25segmented_radix_sort_implINS0_14default_configELb1EPK12hip_bfloat16PSP_PKlPlN2at6native12_GLOBAL__N_18offset_tEEE10hipError_tPvRmT1_PNSt15iterator_traitsIS13_E10value_typeET2_T3_PNS14_IS19_E10value_typeET4_jRbjT5_S1F_jjP12ihipStream_tbEUljE_ZNSN_ISO_Lb1ESR_SS_SU_SV_SZ_EES10_S11_S12_S13_S17_S18_S19_S1C_S1D_jS1E_jS1F_S1F_jjS1H_bEUljE0_EEES10_S11_S12_S19_S1D_S1F_T6_T7_T9_mT8_S1H_bDpT10_ENKUlT_T0_E_clISt17integral_constantIbLb0EES1V_EEDaS1Q_S1R_EUlS1Q_E_NS1_11comp_targetILNS1_3genE0ELNS1_11target_archE4294967295ELNS1_3gpuE0ELNS1_3repE0EEENS1_30default_config_static_selectorELNS0_4arch9wavefront6targetE0EEEvS13_
    .private_segment_fixed_size: 0
    .sgpr_count:     61
    .sgpr_spill_count: 0
    .symbol:         _ZN7rocprim17ROCPRIM_400000_NS6detail17trampoline_kernelINS0_13select_configILj256ELj13ELNS0_17block_load_methodE3ELS4_3ELS4_3ELNS0_20block_scan_algorithmE0ELj4294967295EEENS1_25partition_config_selectorILNS1_17partition_subalgoE4EjNS0_10empty_typeEbEEZZNS1_14partition_implILS8_4ELb0ES6_15HIP_vector_typeIjLj2EENS0_17counting_iteratorIjlEEPS9_SG_NS0_5tupleIJPjSI_NS0_16reverse_iteratorISI_EEEEENSH_IJSG_SG_SG_EEES9_SI_JZNS1_25segmented_radix_sort_implINS0_14default_configELb1EPK12hip_bfloat16PSP_PKlPlN2at6native12_GLOBAL__N_18offset_tEEE10hipError_tPvRmT1_PNSt15iterator_traitsIS13_E10value_typeET2_T3_PNS14_IS19_E10value_typeET4_jRbjT5_S1F_jjP12ihipStream_tbEUljE_ZNSN_ISO_Lb1ESR_SS_SU_SV_SZ_EES10_S11_S12_S13_S17_S18_S19_S1C_S1D_jS1E_jS1F_S1F_jjS1H_bEUljE0_EEES10_S11_S12_S19_S1D_S1F_T6_T7_T9_mT8_S1H_bDpT10_ENKUlT_T0_E_clISt17integral_constantIbLb0EES1V_EEDaS1Q_S1R_EUlS1Q_E_NS1_11comp_targetILNS1_3genE0ELNS1_11target_archE4294967295ELNS1_3gpuE0ELNS1_3repE0EEENS1_30default_config_static_selectorELNS0_4arch9wavefront6targetE0EEEvS13_.kd
    .uniform_work_group_size: 1
    .uses_dynamic_stack: false
    .vgpr_count:     81
    .vgpr_spill_count: 0
    .wavefront_size: 32
  - .args:
      - .offset:         0
        .size:           176
        .value_kind:     by_value
    .group_segment_fixed_size: 0
    .kernarg_segment_align: 8
    .kernarg_segment_size: 176
    .language:       OpenCL C
    .language_version:
      - 2
      - 0
    .max_flat_workgroup_size: 256
    .name:           _ZN7rocprim17ROCPRIM_400000_NS6detail17trampoline_kernelINS0_13select_configILj256ELj13ELNS0_17block_load_methodE3ELS4_3ELS4_3ELNS0_20block_scan_algorithmE0ELj4294967295EEENS1_25partition_config_selectorILNS1_17partition_subalgoE4EjNS0_10empty_typeEbEEZZNS1_14partition_implILS8_4ELb0ES6_15HIP_vector_typeIjLj2EENS0_17counting_iteratorIjlEEPS9_SG_NS0_5tupleIJPjSI_NS0_16reverse_iteratorISI_EEEEENSH_IJSG_SG_SG_EEES9_SI_JZNS1_25segmented_radix_sort_implINS0_14default_configELb1EPK12hip_bfloat16PSP_PKlPlN2at6native12_GLOBAL__N_18offset_tEEE10hipError_tPvRmT1_PNSt15iterator_traitsIS13_E10value_typeET2_T3_PNS14_IS19_E10value_typeET4_jRbjT5_S1F_jjP12ihipStream_tbEUljE_ZNSN_ISO_Lb1ESR_SS_SU_SV_SZ_EES10_S11_S12_S13_S17_S18_S19_S1C_S1D_jS1E_jS1F_S1F_jjS1H_bEUljE0_EEES10_S11_S12_S19_S1D_S1F_T6_T7_T9_mT8_S1H_bDpT10_ENKUlT_T0_E_clISt17integral_constantIbLb0EES1V_EEDaS1Q_S1R_EUlS1Q_E_NS1_11comp_targetILNS1_3genE5ELNS1_11target_archE942ELNS1_3gpuE9ELNS1_3repE0EEENS1_30default_config_static_selectorELNS0_4arch9wavefront6targetE0EEEvS13_
    .private_segment_fixed_size: 0
    .sgpr_count:     0
    .sgpr_spill_count: 0
    .symbol:         _ZN7rocprim17ROCPRIM_400000_NS6detail17trampoline_kernelINS0_13select_configILj256ELj13ELNS0_17block_load_methodE3ELS4_3ELS4_3ELNS0_20block_scan_algorithmE0ELj4294967295EEENS1_25partition_config_selectorILNS1_17partition_subalgoE4EjNS0_10empty_typeEbEEZZNS1_14partition_implILS8_4ELb0ES6_15HIP_vector_typeIjLj2EENS0_17counting_iteratorIjlEEPS9_SG_NS0_5tupleIJPjSI_NS0_16reverse_iteratorISI_EEEEENSH_IJSG_SG_SG_EEES9_SI_JZNS1_25segmented_radix_sort_implINS0_14default_configELb1EPK12hip_bfloat16PSP_PKlPlN2at6native12_GLOBAL__N_18offset_tEEE10hipError_tPvRmT1_PNSt15iterator_traitsIS13_E10value_typeET2_T3_PNS14_IS19_E10value_typeET4_jRbjT5_S1F_jjP12ihipStream_tbEUljE_ZNSN_ISO_Lb1ESR_SS_SU_SV_SZ_EES10_S11_S12_S13_S17_S18_S19_S1C_S1D_jS1E_jS1F_S1F_jjS1H_bEUljE0_EEES10_S11_S12_S19_S1D_S1F_T6_T7_T9_mT8_S1H_bDpT10_ENKUlT_T0_E_clISt17integral_constantIbLb0EES1V_EEDaS1Q_S1R_EUlS1Q_E_NS1_11comp_targetILNS1_3genE5ELNS1_11target_archE942ELNS1_3gpuE9ELNS1_3repE0EEENS1_30default_config_static_selectorELNS0_4arch9wavefront6targetE0EEEvS13_.kd
    .uniform_work_group_size: 1
    .uses_dynamic_stack: false
    .vgpr_count:     0
    .vgpr_spill_count: 0
    .wavefront_size: 32
  - .args:
      - .offset:         0
        .size:           176
        .value_kind:     by_value
    .group_segment_fixed_size: 0
    .kernarg_segment_align: 8
    .kernarg_segment_size: 176
    .language:       OpenCL C
    .language_version:
      - 2
      - 0
    .max_flat_workgroup_size: 256
    .name:           _ZN7rocprim17ROCPRIM_400000_NS6detail17trampoline_kernelINS0_13select_configILj256ELj13ELNS0_17block_load_methodE3ELS4_3ELS4_3ELNS0_20block_scan_algorithmE0ELj4294967295EEENS1_25partition_config_selectorILNS1_17partition_subalgoE4EjNS0_10empty_typeEbEEZZNS1_14partition_implILS8_4ELb0ES6_15HIP_vector_typeIjLj2EENS0_17counting_iteratorIjlEEPS9_SG_NS0_5tupleIJPjSI_NS0_16reverse_iteratorISI_EEEEENSH_IJSG_SG_SG_EEES9_SI_JZNS1_25segmented_radix_sort_implINS0_14default_configELb1EPK12hip_bfloat16PSP_PKlPlN2at6native12_GLOBAL__N_18offset_tEEE10hipError_tPvRmT1_PNSt15iterator_traitsIS13_E10value_typeET2_T3_PNS14_IS19_E10value_typeET4_jRbjT5_S1F_jjP12ihipStream_tbEUljE_ZNSN_ISO_Lb1ESR_SS_SU_SV_SZ_EES10_S11_S12_S13_S17_S18_S19_S1C_S1D_jS1E_jS1F_S1F_jjS1H_bEUljE0_EEES10_S11_S12_S19_S1D_S1F_T6_T7_T9_mT8_S1H_bDpT10_ENKUlT_T0_E_clISt17integral_constantIbLb0EES1V_EEDaS1Q_S1R_EUlS1Q_E_NS1_11comp_targetILNS1_3genE4ELNS1_11target_archE910ELNS1_3gpuE8ELNS1_3repE0EEENS1_30default_config_static_selectorELNS0_4arch9wavefront6targetE0EEEvS13_
    .private_segment_fixed_size: 0
    .sgpr_count:     0
    .sgpr_spill_count: 0
    .symbol:         _ZN7rocprim17ROCPRIM_400000_NS6detail17trampoline_kernelINS0_13select_configILj256ELj13ELNS0_17block_load_methodE3ELS4_3ELS4_3ELNS0_20block_scan_algorithmE0ELj4294967295EEENS1_25partition_config_selectorILNS1_17partition_subalgoE4EjNS0_10empty_typeEbEEZZNS1_14partition_implILS8_4ELb0ES6_15HIP_vector_typeIjLj2EENS0_17counting_iteratorIjlEEPS9_SG_NS0_5tupleIJPjSI_NS0_16reverse_iteratorISI_EEEEENSH_IJSG_SG_SG_EEES9_SI_JZNS1_25segmented_radix_sort_implINS0_14default_configELb1EPK12hip_bfloat16PSP_PKlPlN2at6native12_GLOBAL__N_18offset_tEEE10hipError_tPvRmT1_PNSt15iterator_traitsIS13_E10value_typeET2_T3_PNS14_IS19_E10value_typeET4_jRbjT5_S1F_jjP12ihipStream_tbEUljE_ZNSN_ISO_Lb1ESR_SS_SU_SV_SZ_EES10_S11_S12_S13_S17_S18_S19_S1C_S1D_jS1E_jS1F_S1F_jjS1H_bEUljE0_EEES10_S11_S12_S19_S1D_S1F_T6_T7_T9_mT8_S1H_bDpT10_ENKUlT_T0_E_clISt17integral_constantIbLb0EES1V_EEDaS1Q_S1R_EUlS1Q_E_NS1_11comp_targetILNS1_3genE4ELNS1_11target_archE910ELNS1_3gpuE8ELNS1_3repE0EEENS1_30default_config_static_selectorELNS0_4arch9wavefront6targetE0EEEvS13_.kd
    .uniform_work_group_size: 1
    .uses_dynamic_stack: false
    .vgpr_count:     0
    .vgpr_spill_count: 0
    .wavefront_size: 32
  - .args:
      - .offset:         0
        .size:           176
        .value_kind:     by_value
    .group_segment_fixed_size: 0
    .kernarg_segment_align: 8
    .kernarg_segment_size: 176
    .language:       OpenCL C
    .language_version:
      - 2
      - 0
    .max_flat_workgroup_size: 256
    .name:           _ZN7rocprim17ROCPRIM_400000_NS6detail17trampoline_kernelINS0_13select_configILj256ELj13ELNS0_17block_load_methodE3ELS4_3ELS4_3ELNS0_20block_scan_algorithmE0ELj4294967295EEENS1_25partition_config_selectorILNS1_17partition_subalgoE4EjNS0_10empty_typeEbEEZZNS1_14partition_implILS8_4ELb0ES6_15HIP_vector_typeIjLj2EENS0_17counting_iteratorIjlEEPS9_SG_NS0_5tupleIJPjSI_NS0_16reverse_iteratorISI_EEEEENSH_IJSG_SG_SG_EEES9_SI_JZNS1_25segmented_radix_sort_implINS0_14default_configELb1EPK12hip_bfloat16PSP_PKlPlN2at6native12_GLOBAL__N_18offset_tEEE10hipError_tPvRmT1_PNSt15iterator_traitsIS13_E10value_typeET2_T3_PNS14_IS19_E10value_typeET4_jRbjT5_S1F_jjP12ihipStream_tbEUljE_ZNSN_ISO_Lb1ESR_SS_SU_SV_SZ_EES10_S11_S12_S13_S17_S18_S19_S1C_S1D_jS1E_jS1F_S1F_jjS1H_bEUljE0_EEES10_S11_S12_S19_S1D_S1F_T6_T7_T9_mT8_S1H_bDpT10_ENKUlT_T0_E_clISt17integral_constantIbLb0EES1V_EEDaS1Q_S1R_EUlS1Q_E_NS1_11comp_targetILNS1_3genE3ELNS1_11target_archE908ELNS1_3gpuE7ELNS1_3repE0EEENS1_30default_config_static_selectorELNS0_4arch9wavefront6targetE0EEEvS13_
    .private_segment_fixed_size: 0
    .sgpr_count:     0
    .sgpr_spill_count: 0
    .symbol:         _ZN7rocprim17ROCPRIM_400000_NS6detail17trampoline_kernelINS0_13select_configILj256ELj13ELNS0_17block_load_methodE3ELS4_3ELS4_3ELNS0_20block_scan_algorithmE0ELj4294967295EEENS1_25partition_config_selectorILNS1_17partition_subalgoE4EjNS0_10empty_typeEbEEZZNS1_14partition_implILS8_4ELb0ES6_15HIP_vector_typeIjLj2EENS0_17counting_iteratorIjlEEPS9_SG_NS0_5tupleIJPjSI_NS0_16reverse_iteratorISI_EEEEENSH_IJSG_SG_SG_EEES9_SI_JZNS1_25segmented_radix_sort_implINS0_14default_configELb1EPK12hip_bfloat16PSP_PKlPlN2at6native12_GLOBAL__N_18offset_tEEE10hipError_tPvRmT1_PNSt15iterator_traitsIS13_E10value_typeET2_T3_PNS14_IS19_E10value_typeET4_jRbjT5_S1F_jjP12ihipStream_tbEUljE_ZNSN_ISO_Lb1ESR_SS_SU_SV_SZ_EES10_S11_S12_S13_S17_S18_S19_S1C_S1D_jS1E_jS1F_S1F_jjS1H_bEUljE0_EEES10_S11_S12_S19_S1D_S1F_T6_T7_T9_mT8_S1H_bDpT10_ENKUlT_T0_E_clISt17integral_constantIbLb0EES1V_EEDaS1Q_S1R_EUlS1Q_E_NS1_11comp_targetILNS1_3genE3ELNS1_11target_archE908ELNS1_3gpuE7ELNS1_3repE0EEENS1_30default_config_static_selectorELNS0_4arch9wavefront6targetE0EEEvS13_.kd
    .uniform_work_group_size: 1
    .uses_dynamic_stack: false
    .vgpr_count:     0
    .vgpr_spill_count: 0
    .wavefront_size: 32
  - .args:
      - .offset:         0
        .size:           176
        .value_kind:     by_value
    .group_segment_fixed_size: 0
    .kernarg_segment_align: 8
    .kernarg_segment_size: 176
    .language:       OpenCL C
    .language_version:
      - 2
      - 0
    .max_flat_workgroup_size: 256
    .name:           _ZN7rocprim17ROCPRIM_400000_NS6detail17trampoline_kernelINS0_13select_configILj256ELj13ELNS0_17block_load_methodE3ELS4_3ELS4_3ELNS0_20block_scan_algorithmE0ELj4294967295EEENS1_25partition_config_selectorILNS1_17partition_subalgoE4EjNS0_10empty_typeEbEEZZNS1_14partition_implILS8_4ELb0ES6_15HIP_vector_typeIjLj2EENS0_17counting_iteratorIjlEEPS9_SG_NS0_5tupleIJPjSI_NS0_16reverse_iteratorISI_EEEEENSH_IJSG_SG_SG_EEES9_SI_JZNS1_25segmented_radix_sort_implINS0_14default_configELb1EPK12hip_bfloat16PSP_PKlPlN2at6native12_GLOBAL__N_18offset_tEEE10hipError_tPvRmT1_PNSt15iterator_traitsIS13_E10value_typeET2_T3_PNS14_IS19_E10value_typeET4_jRbjT5_S1F_jjP12ihipStream_tbEUljE_ZNSN_ISO_Lb1ESR_SS_SU_SV_SZ_EES10_S11_S12_S13_S17_S18_S19_S1C_S1D_jS1E_jS1F_S1F_jjS1H_bEUljE0_EEES10_S11_S12_S19_S1D_S1F_T6_T7_T9_mT8_S1H_bDpT10_ENKUlT_T0_E_clISt17integral_constantIbLb0EES1V_EEDaS1Q_S1R_EUlS1Q_E_NS1_11comp_targetILNS1_3genE2ELNS1_11target_archE906ELNS1_3gpuE6ELNS1_3repE0EEENS1_30default_config_static_selectorELNS0_4arch9wavefront6targetE0EEEvS13_
    .private_segment_fixed_size: 0
    .sgpr_count:     0
    .sgpr_spill_count: 0
    .symbol:         _ZN7rocprim17ROCPRIM_400000_NS6detail17trampoline_kernelINS0_13select_configILj256ELj13ELNS0_17block_load_methodE3ELS4_3ELS4_3ELNS0_20block_scan_algorithmE0ELj4294967295EEENS1_25partition_config_selectorILNS1_17partition_subalgoE4EjNS0_10empty_typeEbEEZZNS1_14partition_implILS8_4ELb0ES6_15HIP_vector_typeIjLj2EENS0_17counting_iteratorIjlEEPS9_SG_NS0_5tupleIJPjSI_NS0_16reverse_iteratorISI_EEEEENSH_IJSG_SG_SG_EEES9_SI_JZNS1_25segmented_radix_sort_implINS0_14default_configELb1EPK12hip_bfloat16PSP_PKlPlN2at6native12_GLOBAL__N_18offset_tEEE10hipError_tPvRmT1_PNSt15iterator_traitsIS13_E10value_typeET2_T3_PNS14_IS19_E10value_typeET4_jRbjT5_S1F_jjP12ihipStream_tbEUljE_ZNSN_ISO_Lb1ESR_SS_SU_SV_SZ_EES10_S11_S12_S13_S17_S18_S19_S1C_S1D_jS1E_jS1F_S1F_jjS1H_bEUljE0_EEES10_S11_S12_S19_S1D_S1F_T6_T7_T9_mT8_S1H_bDpT10_ENKUlT_T0_E_clISt17integral_constantIbLb0EES1V_EEDaS1Q_S1R_EUlS1Q_E_NS1_11comp_targetILNS1_3genE2ELNS1_11target_archE906ELNS1_3gpuE6ELNS1_3repE0EEENS1_30default_config_static_selectorELNS0_4arch9wavefront6targetE0EEEvS13_.kd
    .uniform_work_group_size: 1
    .uses_dynamic_stack: false
    .vgpr_count:     0
    .vgpr_spill_count: 0
    .wavefront_size: 32
  - .args:
      - .offset:         0
        .size:           176
        .value_kind:     by_value
    .group_segment_fixed_size: 0
    .kernarg_segment_align: 8
    .kernarg_segment_size: 176
    .language:       OpenCL C
    .language_version:
      - 2
      - 0
    .max_flat_workgroup_size: 256
    .name:           _ZN7rocprim17ROCPRIM_400000_NS6detail17trampoline_kernelINS0_13select_configILj256ELj13ELNS0_17block_load_methodE3ELS4_3ELS4_3ELNS0_20block_scan_algorithmE0ELj4294967295EEENS1_25partition_config_selectorILNS1_17partition_subalgoE4EjNS0_10empty_typeEbEEZZNS1_14partition_implILS8_4ELb0ES6_15HIP_vector_typeIjLj2EENS0_17counting_iteratorIjlEEPS9_SG_NS0_5tupleIJPjSI_NS0_16reverse_iteratorISI_EEEEENSH_IJSG_SG_SG_EEES9_SI_JZNS1_25segmented_radix_sort_implINS0_14default_configELb1EPK12hip_bfloat16PSP_PKlPlN2at6native12_GLOBAL__N_18offset_tEEE10hipError_tPvRmT1_PNSt15iterator_traitsIS13_E10value_typeET2_T3_PNS14_IS19_E10value_typeET4_jRbjT5_S1F_jjP12ihipStream_tbEUljE_ZNSN_ISO_Lb1ESR_SS_SU_SV_SZ_EES10_S11_S12_S13_S17_S18_S19_S1C_S1D_jS1E_jS1F_S1F_jjS1H_bEUljE0_EEES10_S11_S12_S19_S1D_S1F_T6_T7_T9_mT8_S1H_bDpT10_ENKUlT_T0_E_clISt17integral_constantIbLb0EES1V_EEDaS1Q_S1R_EUlS1Q_E_NS1_11comp_targetILNS1_3genE10ELNS1_11target_archE1200ELNS1_3gpuE4ELNS1_3repE0EEENS1_30default_config_static_selectorELNS0_4arch9wavefront6targetE0EEEvS13_
    .private_segment_fixed_size: 0
    .sgpr_count:     0
    .sgpr_spill_count: 0
    .symbol:         _ZN7rocprim17ROCPRIM_400000_NS6detail17trampoline_kernelINS0_13select_configILj256ELj13ELNS0_17block_load_methodE3ELS4_3ELS4_3ELNS0_20block_scan_algorithmE0ELj4294967295EEENS1_25partition_config_selectorILNS1_17partition_subalgoE4EjNS0_10empty_typeEbEEZZNS1_14partition_implILS8_4ELb0ES6_15HIP_vector_typeIjLj2EENS0_17counting_iteratorIjlEEPS9_SG_NS0_5tupleIJPjSI_NS0_16reverse_iteratorISI_EEEEENSH_IJSG_SG_SG_EEES9_SI_JZNS1_25segmented_radix_sort_implINS0_14default_configELb1EPK12hip_bfloat16PSP_PKlPlN2at6native12_GLOBAL__N_18offset_tEEE10hipError_tPvRmT1_PNSt15iterator_traitsIS13_E10value_typeET2_T3_PNS14_IS19_E10value_typeET4_jRbjT5_S1F_jjP12ihipStream_tbEUljE_ZNSN_ISO_Lb1ESR_SS_SU_SV_SZ_EES10_S11_S12_S13_S17_S18_S19_S1C_S1D_jS1E_jS1F_S1F_jjS1H_bEUljE0_EEES10_S11_S12_S19_S1D_S1F_T6_T7_T9_mT8_S1H_bDpT10_ENKUlT_T0_E_clISt17integral_constantIbLb0EES1V_EEDaS1Q_S1R_EUlS1Q_E_NS1_11comp_targetILNS1_3genE10ELNS1_11target_archE1200ELNS1_3gpuE4ELNS1_3repE0EEENS1_30default_config_static_selectorELNS0_4arch9wavefront6targetE0EEEvS13_.kd
    .uniform_work_group_size: 1
    .uses_dynamic_stack: false
    .vgpr_count:     0
    .vgpr_spill_count: 0
    .wavefront_size: 32
  - .args:
      - .offset:         0
        .size:           176
        .value_kind:     by_value
    .group_segment_fixed_size: 0
    .kernarg_segment_align: 8
    .kernarg_segment_size: 176
    .language:       OpenCL C
    .language_version:
      - 2
      - 0
    .max_flat_workgroup_size: 256
    .name:           _ZN7rocprim17ROCPRIM_400000_NS6detail17trampoline_kernelINS0_13select_configILj256ELj13ELNS0_17block_load_methodE3ELS4_3ELS4_3ELNS0_20block_scan_algorithmE0ELj4294967295EEENS1_25partition_config_selectorILNS1_17partition_subalgoE4EjNS0_10empty_typeEbEEZZNS1_14partition_implILS8_4ELb0ES6_15HIP_vector_typeIjLj2EENS0_17counting_iteratorIjlEEPS9_SG_NS0_5tupleIJPjSI_NS0_16reverse_iteratorISI_EEEEENSH_IJSG_SG_SG_EEES9_SI_JZNS1_25segmented_radix_sort_implINS0_14default_configELb1EPK12hip_bfloat16PSP_PKlPlN2at6native12_GLOBAL__N_18offset_tEEE10hipError_tPvRmT1_PNSt15iterator_traitsIS13_E10value_typeET2_T3_PNS14_IS19_E10value_typeET4_jRbjT5_S1F_jjP12ihipStream_tbEUljE_ZNSN_ISO_Lb1ESR_SS_SU_SV_SZ_EES10_S11_S12_S13_S17_S18_S19_S1C_S1D_jS1E_jS1F_S1F_jjS1H_bEUljE0_EEES10_S11_S12_S19_S1D_S1F_T6_T7_T9_mT8_S1H_bDpT10_ENKUlT_T0_E_clISt17integral_constantIbLb0EES1V_EEDaS1Q_S1R_EUlS1Q_E_NS1_11comp_targetILNS1_3genE9ELNS1_11target_archE1100ELNS1_3gpuE3ELNS1_3repE0EEENS1_30default_config_static_selectorELNS0_4arch9wavefront6targetE0EEEvS13_
    .private_segment_fixed_size: 0
    .sgpr_count:     0
    .sgpr_spill_count: 0
    .symbol:         _ZN7rocprim17ROCPRIM_400000_NS6detail17trampoline_kernelINS0_13select_configILj256ELj13ELNS0_17block_load_methodE3ELS4_3ELS4_3ELNS0_20block_scan_algorithmE0ELj4294967295EEENS1_25partition_config_selectorILNS1_17partition_subalgoE4EjNS0_10empty_typeEbEEZZNS1_14partition_implILS8_4ELb0ES6_15HIP_vector_typeIjLj2EENS0_17counting_iteratorIjlEEPS9_SG_NS0_5tupleIJPjSI_NS0_16reverse_iteratorISI_EEEEENSH_IJSG_SG_SG_EEES9_SI_JZNS1_25segmented_radix_sort_implINS0_14default_configELb1EPK12hip_bfloat16PSP_PKlPlN2at6native12_GLOBAL__N_18offset_tEEE10hipError_tPvRmT1_PNSt15iterator_traitsIS13_E10value_typeET2_T3_PNS14_IS19_E10value_typeET4_jRbjT5_S1F_jjP12ihipStream_tbEUljE_ZNSN_ISO_Lb1ESR_SS_SU_SV_SZ_EES10_S11_S12_S13_S17_S18_S19_S1C_S1D_jS1E_jS1F_S1F_jjS1H_bEUljE0_EEES10_S11_S12_S19_S1D_S1F_T6_T7_T9_mT8_S1H_bDpT10_ENKUlT_T0_E_clISt17integral_constantIbLb0EES1V_EEDaS1Q_S1R_EUlS1Q_E_NS1_11comp_targetILNS1_3genE9ELNS1_11target_archE1100ELNS1_3gpuE3ELNS1_3repE0EEENS1_30default_config_static_selectorELNS0_4arch9wavefront6targetE0EEEvS13_.kd
    .uniform_work_group_size: 1
    .uses_dynamic_stack: false
    .vgpr_count:     0
    .vgpr_spill_count: 0
    .wavefront_size: 32
  - .args:
      - .offset:         0
        .size:           176
        .value_kind:     by_value
    .group_segment_fixed_size: 0
    .kernarg_segment_align: 8
    .kernarg_segment_size: 176
    .language:       OpenCL C
    .language_version:
      - 2
      - 0
    .max_flat_workgroup_size: 256
    .name:           _ZN7rocprim17ROCPRIM_400000_NS6detail17trampoline_kernelINS0_13select_configILj256ELj13ELNS0_17block_load_methodE3ELS4_3ELS4_3ELNS0_20block_scan_algorithmE0ELj4294967295EEENS1_25partition_config_selectorILNS1_17partition_subalgoE4EjNS0_10empty_typeEbEEZZNS1_14partition_implILS8_4ELb0ES6_15HIP_vector_typeIjLj2EENS0_17counting_iteratorIjlEEPS9_SG_NS0_5tupleIJPjSI_NS0_16reverse_iteratorISI_EEEEENSH_IJSG_SG_SG_EEES9_SI_JZNS1_25segmented_radix_sort_implINS0_14default_configELb1EPK12hip_bfloat16PSP_PKlPlN2at6native12_GLOBAL__N_18offset_tEEE10hipError_tPvRmT1_PNSt15iterator_traitsIS13_E10value_typeET2_T3_PNS14_IS19_E10value_typeET4_jRbjT5_S1F_jjP12ihipStream_tbEUljE_ZNSN_ISO_Lb1ESR_SS_SU_SV_SZ_EES10_S11_S12_S13_S17_S18_S19_S1C_S1D_jS1E_jS1F_S1F_jjS1H_bEUljE0_EEES10_S11_S12_S19_S1D_S1F_T6_T7_T9_mT8_S1H_bDpT10_ENKUlT_T0_E_clISt17integral_constantIbLb0EES1V_EEDaS1Q_S1R_EUlS1Q_E_NS1_11comp_targetILNS1_3genE8ELNS1_11target_archE1030ELNS1_3gpuE2ELNS1_3repE0EEENS1_30default_config_static_selectorELNS0_4arch9wavefront6targetE0EEEvS13_
    .private_segment_fixed_size: 0
    .sgpr_count:     0
    .sgpr_spill_count: 0
    .symbol:         _ZN7rocprim17ROCPRIM_400000_NS6detail17trampoline_kernelINS0_13select_configILj256ELj13ELNS0_17block_load_methodE3ELS4_3ELS4_3ELNS0_20block_scan_algorithmE0ELj4294967295EEENS1_25partition_config_selectorILNS1_17partition_subalgoE4EjNS0_10empty_typeEbEEZZNS1_14partition_implILS8_4ELb0ES6_15HIP_vector_typeIjLj2EENS0_17counting_iteratorIjlEEPS9_SG_NS0_5tupleIJPjSI_NS0_16reverse_iteratorISI_EEEEENSH_IJSG_SG_SG_EEES9_SI_JZNS1_25segmented_radix_sort_implINS0_14default_configELb1EPK12hip_bfloat16PSP_PKlPlN2at6native12_GLOBAL__N_18offset_tEEE10hipError_tPvRmT1_PNSt15iterator_traitsIS13_E10value_typeET2_T3_PNS14_IS19_E10value_typeET4_jRbjT5_S1F_jjP12ihipStream_tbEUljE_ZNSN_ISO_Lb1ESR_SS_SU_SV_SZ_EES10_S11_S12_S13_S17_S18_S19_S1C_S1D_jS1E_jS1F_S1F_jjS1H_bEUljE0_EEES10_S11_S12_S19_S1D_S1F_T6_T7_T9_mT8_S1H_bDpT10_ENKUlT_T0_E_clISt17integral_constantIbLb0EES1V_EEDaS1Q_S1R_EUlS1Q_E_NS1_11comp_targetILNS1_3genE8ELNS1_11target_archE1030ELNS1_3gpuE2ELNS1_3repE0EEENS1_30default_config_static_selectorELNS0_4arch9wavefront6targetE0EEEvS13_.kd
    .uniform_work_group_size: 1
    .uses_dynamic_stack: false
    .vgpr_count:     0
    .vgpr_spill_count: 0
    .wavefront_size: 32
  - .args:
      - .offset:         0
        .size:           184
        .value_kind:     by_value
    .group_segment_fixed_size: 0
    .kernarg_segment_align: 8
    .kernarg_segment_size: 184
    .language:       OpenCL C
    .language_version:
      - 2
      - 0
    .max_flat_workgroup_size: 256
    .name:           _ZN7rocprim17ROCPRIM_400000_NS6detail17trampoline_kernelINS0_13select_configILj256ELj13ELNS0_17block_load_methodE3ELS4_3ELS4_3ELNS0_20block_scan_algorithmE0ELj4294967295EEENS1_25partition_config_selectorILNS1_17partition_subalgoE4EjNS0_10empty_typeEbEEZZNS1_14partition_implILS8_4ELb0ES6_15HIP_vector_typeIjLj2EENS0_17counting_iteratorIjlEEPS9_SG_NS0_5tupleIJPjSI_NS0_16reverse_iteratorISI_EEEEENSH_IJSG_SG_SG_EEES9_SI_JZNS1_25segmented_radix_sort_implINS0_14default_configELb1EPK12hip_bfloat16PSP_PKlPlN2at6native12_GLOBAL__N_18offset_tEEE10hipError_tPvRmT1_PNSt15iterator_traitsIS13_E10value_typeET2_T3_PNS14_IS19_E10value_typeET4_jRbjT5_S1F_jjP12ihipStream_tbEUljE_ZNSN_ISO_Lb1ESR_SS_SU_SV_SZ_EES10_S11_S12_S13_S17_S18_S19_S1C_S1D_jS1E_jS1F_S1F_jjS1H_bEUljE0_EEES10_S11_S12_S19_S1D_S1F_T6_T7_T9_mT8_S1H_bDpT10_ENKUlT_T0_E_clISt17integral_constantIbLb1EES1V_EEDaS1Q_S1R_EUlS1Q_E_NS1_11comp_targetILNS1_3genE0ELNS1_11target_archE4294967295ELNS1_3gpuE0ELNS1_3repE0EEENS1_30default_config_static_selectorELNS0_4arch9wavefront6targetE0EEEvS13_
    .private_segment_fixed_size: 0
    .sgpr_count:     0
    .sgpr_spill_count: 0
    .symbol:         _ZN7rocprim17ROCPRIM_400000_NS6detail17trampoline_kernelINS0_13select_configILj256ELj13ELNS0_17block_load_methodE3ELS4_3ELS4_3ELNS0_20block_scan_algorithmE0ELj4294967295EEENS1_25partition_config_selectorILNS1_17partition_subalgoE4EjNS0_10empty_typeEbEEZZNS1_14partition_implILS8_4ELb0ES6_15HIP_vector_typeIjLj2EENS0_17counting_iteratorIjlEEPS9_SG_NS0_5tupleIJPjSI_NS0_16reverse_iteratorISI_EEEEENSH_IJSG_SG_SG_EEES9_SI_JZNS1_25segmented_radix_sort_implINS0_14default_configELb1EPK12hip_bfloat16PSP_PKlPlN2at6native12_GLOBAL__N_18offset_tEEE10hipError_tPvRmT1_PNSt15iterator_traitsIS13_E10value_typeET2_T3_PNS14_IS19_E10value_typeET4_jRbjT5_S1F_jjP12ihipStream_tbEUljE_ZNSN_ISO_Lb1ESR_SS_SU_SV_SZ_EES10_S11_S12_S13_S17_S18_S19_S1C_S1D_jS1E_jS1F_S1F_jjS1H_bEUljE0_EEES10_S11_S12_S19_S1D_S1F_T6_T7_T9_mT8_S1H_bDpT10_ENKUlT_T0_E_clISt17integral_constantIbLb1EES1V_EEDaS1Q_S1R_EUlS1Q_E_NS1_11comp_targetILNS1_3genE0ELNS1_11target_archE4294967295ELNS1_3gpuE0ELNS1_3repE0EEENS1_30default_config_static_selectorELNS0_4arch9wavefront6targetE0EEEvS13_.kd
    .uniform_work_group_size: 1
    .uses_dynamic_stack: false
    .vgpr_count:     0
    .vgpr_spill_count: 0
    .wavefront_size: 32
  - .args:
      - .offset:         0
        .size:           184
        .value_kind:     by_value
    .group_segment_fixed_size: 0
    .kernarg_segment_align: 8
    .kernarg_segment_size: 184
    .language:       OpenCL C
    .language_version:
      - 2
      - 0
    .max_flat_workgroup_size: 256
    .name:           _ZN7rocprim17ROCPRIM_400000_NS6detail17trampoline_kernelINS0_13select_configILj256ELj13ELNS0_17block_load_methodE3ELS4_3ELS4_3ELNS0_20block_scan_algorithmE0ELj4294967295EEENS1_25partition_config_selectorILNS1_17partition_subalgoE4EjNS0_10empty_typeEbEEZZNS1_14partition_implILS8_4ELb0ES6_15HIP_vector_typeIjLj2EENS0_17counting_iteratorIjlEEPS9_SG_NS0_5tupleIJPjSI_NS0_16reverse_iteratorISI_EEEEENSH_IJSG_SG_SG_EEES9_SI_JZNS1_25segmented_radix_sort_implINS0_14default_configELb1EPK12hip_bfloat16PSP_PKlPlN2at6native12_GLOBAL__N_18offset_tEEE10hipError_tPvRmT1_PNSt15iterator_traitsIS13_E10value_typeET2_T3_PNS14_IS19_E10value_typeET4_jRbjT5_S1F_jjP12ihipStream_tbEUljE_ZNSN_ISO_Lb1ESR_SS_SU_SV_SZ_EES10_S11_S12_S13_S17_S18_S19_S1C_S1D_jS1E_jS1F_S1F_jjS1H_bEUljE0_EEES10_S11_S12_S19_S1D_S1F_T6_T7_T9_mT8_S1H_bDpT10_ENKUlT_T0_E_clISt17integral_constantIbLb1EES1V_EEDaS1Q_S1R_EUlS1Q_E_NS1_11comp_targetILNS1_3genE5ELNS1_11target_archE942ELNS1_3gpuE9ELNS1_3repE0EEENS1_30default_config_static_selectorELNS0_4arch9wavefront6targetE0EEEvS13_
    .private_segment_fixed_size: 0
    .sgpr_count:     0
    .sgpr_spill_count: 0
    .symbol:         _ZN7rocprim17ROCPRIM_400000_NS6detail17trampoline_kernelINS0_13select_configILj256ELj13ELNS0_17block_load_methodE3ELS4_3ELS4_3ELNS0_20block_scan_algorithmE0ELj4294967295EEENS1_25partition_config_selectorILNS1_17partition_subalgoE4EjNS0_10empty_typeEbEEZZNS1_14partition_implILS8_4ELb0ES6_15HIP_vector_typeIjLj2EENS0_17counting_iteratorIjlEEPS9_SG_NS0_5tupleIJPjSI_NS0_16reverse_iteratorISI_EEEEENSH_IJSG_SG_SG_EEES9_SI_JZNS1_25segmented_radix_sort_implINS0_14default_configELb1EPK12hip_bfloat16PSP_PKlPlN2at6native12_GLOBAL__N_18offset_tEEE10hipError_tPvRmT1_PNSt15iterator_traitsIS13_E10value_typeET2_T3_PNS14_IS19_E10value_typeET4_jRbjT5_S1F_jjP12ihipStream_tbEUljE_ZNSN_ISO_Lb1ESR_SS_SU_SV_SZ_EES10_S11_S12_S13_S17_S18_S19_S1C_S1D_jS1E_jS1F_S1F_jjS1H_bEUljE0_EEES10_S11_S12_S19_S1D_S1F_T6_T7_T9_mT8_S1H_bDpT10_ENKUlT_T0_E_clISt17integral_constantIbLb1EES1V_EEDaS1Q_S1R_EUlS1Q_E_NS1_11comp_targetILNS1_3genE5ELNS1_11target_archE942ELNS1_3gpuE9ELNS1_3repE0EEENS1_30default_config_static_selectorELNS0_4arch9wavefront6targetE0EEEvS13_.kd
    .uniform_work_group_size: 1
    .uses_dynamic_stack: false
    .vgpr_count:     0
    .vgpr_spill_count: 0
    .wavefront_size: 32
  - .args:
      - .offset:         0
        .size:           184
        .value_kind:     by_value
    .group_segment_fixed_size: 0
    .kernarg_segment_align: 8
    .kernarg_segment_size: 184
    .language:       OpenCL C
    .language_version:
      - 2
      - 0
    .max_flat_workgroup_size: 256
    .name:           _ZN7rocprim17ROCPRIM_400000_NS6detail17trampoline_kernelINS0_13select_configILj256ELj13ELNS0_17block_load_methodE3ELS4_3ELS4_3ELNS0_20block_scan_algorithmE0ELj4294967295EEENS1_25partition_config_selectorILNS1_17partition_subalgoE4EjNS0_10empty_typeEbEEZZNS1_14partition_implILS8_4ELb0ES6_15HIP_vector_typeIjLj2EENS0_17counting_iteratorIjlEEPS9_SG_NS0_5tupleIJPjSI_NS0_16reverse_iteratorISI_EEEEENSH_IJSG_SG_SG_EEES9_SI_JZNS1_25segmented_radix_sort_implINS0_14default_configELb1EPK12hip_bfloat16PSP_PKlPlN2at6native12_GLOBAL__N_18offset_tEEE10hipError_tPvRmT1_PNSt15iterator_traitsIS13_E10value_typeET2_T3_PNS14_IS19_E10value_typeET4_jRbjT5_S1F_jjP12ihipStream_tbEUljE_ZNSN_ISO_Lb1ESR_SS_SU_SV_SZ_EES10_S11_S12_S13_S17_S18_S19_S1C_S1D_jS1E_jS1F_S1F_jjS1H_bEUljE0_EEES10_S11_S12_S19_S1D_S1F_T6_T7_T9_mT8_S1H_bDpT10_ENKUlT_T0_E_clISt17integral_constantIbLb1EES1V_EEDaS1Q_S1R_EUlS1Q_E_NS1_11comp_targetILNS1_3genE4ELNS1_11target_archE910ELNS1_3gpuE8ELNS1_3repE0EEENS1_30default_config_static_selectorELNS0_4arch9wavefront6targetE0EEEvS13_
    .private_segment_fixed_size: 0
    .sgpr_count:     0
    .sgpr_spill_count: 0
    .symbol:         _ZN7rocprim17ROCPRIM_400000_NS6detail17trampoline_kernelINS0_13select_configILj256ELj13ELNS0_17block_load_methodE3ELS4_3ELS4_3ELNS0_20block_scan_algorithmE0ELj4294967295EEENS1_25partition_config_selectorILNS1_17partition_subalgoE4EjNS0_10empty_typeEbEEZZNS1_14partition_implILS8_4ELb0ES6_15HIP_vector_typeIjLj2EENS0_17counting_iteratorIjlEEPS9_SG_NS0_5tupleIJPjSI_NS0_16reverse_iteratorISI_EEEEENSH_IJSG_SG_SG_EEES9_SI_JZNS1_25segmented_radix_sort_implINS0_14default_configELb1EPK12hip_bfloat16PSP_PKlPlN2at6native12_GLOBAL__N_18offset_tEEE10hipError_tPvRmT1_PNSt15iterator_traitsIS13_E10value_typeET2_T3_PNS14_IS19_E10value_typeET4_jRbjT5_S1F_jjP12ihipStream_tbEUljE_ZNSN_ISO_Lb1ESR_SS_SU_SV_SZ_EES10_S11_S12_S13_S17_S18_S19_S1C_S1D_jS1E_jS1F_S1F_jjS1H_bEUljE0_EEES10_S11_S12_S19_S1D_S1F_T6_T7_T9_mT8_S1H_bDpT10_ENKUlT_T0_E_clISt17integral_constantIbLb1EES1V_EEDaS1Q_S1R_EUlS1Q_E_NS1_11comp_targetILNS1_3genE4ELNS1_11target_archE910ELNS1_3gpuE8ELNS1_3repE0EEENS1_30default_config_static_selectorELNS0_4arch9wavefront6targetE0EEEvS13_.kd
    .uniform_work_group_size: 1
    .uses_dynamic_stack: false
    .vgpr_count:     0
    .vgpr_spill_count: 0
    .wavefront_size: 32
  - .args:
      - .offset:         0
        .size:           184
        .value_kind:     by_value
    .group_segment_fixed_size: 0
    .kernarg_segment_align: 8
    .kernarg_segment_size: 184
    .language:       OpenCL C
    .language_version:
      - 2
      - 0
    .max_flat_workgroup_size: 256
    .name:           _ZN7rocprim17ROCPRIM_400000_NS6detail17trampoline_kernelINS0_13select_configILj256ELj13ELNS0_17block_load_methodE3ELS4_3ELS4_3ELNS0_20block_scan_algorithmE0ELj4294967295EEENS1_25partition_config_selectorILNS1_17partition_subalgoE4EjNS0_10empty_typeEbEEZZNS1_14partition_implILS8_4ELb0ES6_15HIP_vector_typeIjLj2EENS0_17counting_iteratorIjlEEPS9_SG_NS0_5tupleIJPjSI_NS0_16reverse_iteratorISI_EEEEENSH_IJSG_SG_SG_EEES9_SI_JZNS1_25segmented_radix_sort_implINS0_14default_configELb1EPK12hip_bfloat16PSP_PKlPlN2at6native12_GLOBAL__N_18offset_tEEE10hipError_tPvRmT1_PNSt15iterator_traitsIS13_E10value_typeET2_T3_PNS14_IS19_E10value_typeET4_jRbjT5_S1F_jjP12ihipStream_tbEUljE_ZNSN_ISO_Lb1ESR_SS_SU_SV_SZ_EES10_S11_S12_S13_S17_S18_S19_S1C_S1D_jS1E_jS1F_S1F_jjS1H_bEUljE0_EEES10_S11_S12_S19_S1D_S1F_T6_T7_T9_mT8_S1H_bDpT10_ENKUlT_T0_E_clISt17integral_constantIbLb1EES1V_EEDaS1Q_S1R_EUlS1Q_E_NS1_11comp_targetILNS1_3genE3ELNS1_11target_archE908ELNS1_3gpuE7ELNS1_3repE0EEENS1_30default_config_static_selectorELNS0_4arch9wavefront6targetE0EEEvS13_
    .private_segment_fixed_size: 0
    .sgpr_count:     0
    .sgpr_spill_count: 0
    .symbol:         _ZN7rocprim17ROCPRIM_400000_NS6detail17trampoline_kernelINS0_13select_configILj256ELj13ELNS0_17block_load_methodE3ELS4_3ELS4_3ELNS0_20block_scan_algorithmE0ELj4294967295EEENS1_25partition_config_selectorILNS1_17partition_subalgoE4EjNS0_10empty_typeEbEEZZNS1_14partition_implILS8_4ELb0ES6_15HIP_vector_typeIjLj2EENS0_17counting_iteratorIjlEEPS9_SG_NS0_5tupleIJPjSI_NS0_16reverse_iteratorISI_EEEEENSH_IJSG_SG_SG_EEES9_SI_JZNS1_25segmented_radix_sort_implINS0_14default_configELb1EPK12hip_bfloat16PSP_PKlPlN2at6native12_GLOBAL__N_18offset_tEEE10hipError_tPvRmT1_PNSt15iterator_traitsIS13_E10value_typeET2_T3_PNS14_IS19_E10value_typeET4_jRbjT5_S1F_jjP12ihipStream_tbEUljE_ZNSN_ISO_Lb1ESR_SS_SU_SV_SZ_EES10_S11_S12_S13_S17_S18_S19_S1C_S1D_jS1E_jS1F_S1F_jjS1H_bEUljE0_EEES10_S11_S12_S19_S1D_S1F_T6_T7_T9_mT8_S1H_bDpT10_ENKUlT_T0_E_clISt17integral_constantIbLb1EES1V_EEDaS1Q_S1R_EUlS1Q_E_NS1_11comp_targetILNS1_3genE3ELNS1_11target_archE908ELNS1_3gpuE7ELNS1_3repE0EEENS1_30default_config_static_selectorELNS0_4arch9wavefront6targetE0EEEvS13_.kd
    .uniform_work_group_size: 1
    .uses_dynamic_stack: false
    .vgpr_count:     0
    .vgpr_spill_count: 0
    .wavefront_size: 32
  - .args:
      - .offset:         0
        .size:           184
        .value_kind:     by_value
    .group_segment_fixed_size: 0
    .kernarg_segment_align: 8
    .kernarg_segment_size: 184
    .language:       OpenCL C
    .language_version:
      - 2
      - 0
    .max_flat_workgroup_size: 256
    .name:           _ZN7rocprim17ROCPRIM_400000_NS6detail17trampoline_kernelINS0_13select_configILj256ELj13ELNS0_17block_load_methodE3ELS4_3ELS4_3ELNS0_20block_scan_algorithmE0ELj4294967295EEENS1_25partition_config_selectorILNS1_17partition_subalgoE4EjNS0_10empty_typeEbEEZZNS1_14partition_implILS8_4ELb0ES6_15HIP_vector_typeIjLj2EENS0_17counting_iteratorIjlEEPS9_SG_NS0_5tupleIJPjSI_NS0_16reverse_iteratorISI_EEEEENSH_IJSG_SG_SG_EEES9_SI_JZNS1_25segmented_radix_sort_implINS0_14default_configELb1EPK12hip_bfloat16PSP_PKlPlN2at6native12_GLOBAL__N_18offset_tEEE10hipError_tPvRmT1_PNSt15iterator_traitsIS13_E10value_typeET2_T3_PNS14_IS19_E10value_typeET4_jRbjT5_S1F_jjP12ihipStream_tbEUljE_ZNSN_ISO_Lb1ESR_SS_SU_SV_SZ_EES10_S11_S12_S13_S17_S18_S19_S1C_S1D_jS1E_jS1F_S1F_jjS1H_bEUljE0_EEES10_S11_S12_S19_S1D_S1F_T6_T7_T9_mT8_S1H_bDpT10_ENKUlT_T0_E_clISt17integral_constantIbLb1EES1V_EEDaS1Q_S1R_EUlS1Q_E_NS1_11comp_targetILNS1_3genE2ELNS1_11target_archE906ELNS1_3gpuE6ELNS1_3repE0EEENS1_30default_config_static_selectorELNS0_4arch9wavefront6targetE0EEEvS13_
    .private_segment_fixed_size: 0
    .sgpr_count:     0
    .sgpr_spill_count: 0
    .symbol:         _ZN7rocprim17ROCPRIM_400000_NS6detail17trampoline_kernelINS0_13select_configILj256ELj13ELNS0_17block_load_methodE3ELS4_3ELS4_3ELNS0_20block_scan_algorithmE0ELj4294967295EEENS1_25partition_config_selectorILNS1_17partition_subalgoE4EjNS0_10empty_typeEbEEZZNS1_14partition_implILS8_4ELb0ES6_15HIP_vector_typeIjLj2EENS0_17counting_iteratorIjlEEPS9_SG_NS0_5tupleIJPjSI_NS0_16reverse_iteratorISI_EEEEENSH_IJSG_SG_SG_EEES9_SI_JZNS1_25segmented_radix_sort_implINS0_14default_configELb1EPK12hip_bfloat16PSP_PKlPlN2at6native12_GLOBAL__N_18offset_tEEE10hipError_tPvRmT1_PNSt15iterator_traitsIS13_E10value_typeET2_T3_PNS14_IS19_E10value_typeET4_jRbjT5_S1F_jjP12ihipStream_tbEUljE_ZNSN_ISO_Lb1ESR_SS_SU_SV_SZ_EES10_S11_S12_S13_S17_S18_S19_S1C_S1D_jS1E_jS1F_S1F_jjS1H_bEUljE0_EEES10_S11_S12_S19_S1D_S1F_T6_T7_T9_mT8_S1H_bDpT10_ENKUlT_T0_E_clISt17integral_constantIbLb1EES1V_EEDaS1Q_S1R_EUlS1Q_E_NS1_11comp_targetILNS1_3genE2ELNS1_11target_archE906ELNS1_3gpuE6ELNS1_3repE0EEENS1_30default_config_static_selectorELNS0_4arch9wavefront6targetE0EEEvS13_.kd
    .uniform_work_group_size: 1
    .uses_dynamic_stack: false
    .vgpr_count:     0
    .vgpr_spill_count: 0
    .wavefront_size: 32
  - .args:
      - .offset:         0
        .size:           184
        .value_kind:     by_value
    .group_segment_fixed_size: 0
    .kernarg_segment_align: 8
    .kernarg_segment_size: 184
    .language:       OpenCL C
    .language_version:
      - 2
      - 0
    .max_flat_workgroup_size: 256
    .name:           _ZN7rocprim17ROCPRIM_400000_NS6detail17trampoline_kernelINS0_13select_configILj256ELj13ELNS0_17block_load_methodE3ELS4_3ELS4_3ELNS0_20block_scan_algorithmE0ELj4294967295EEENS1_25partition_config_selectorILNS1_17partition_subalgoE4EjNS0_10empty_typeEbEEZZNS1_14partition_implILS8_4ELb0ES6_15HIP_vector_typeIjLj2EENS0_17counting_iteratorIjlEEPS9_SG_NS0_5tupleIJPjSI_NS0_16reverse_iteratorISI_EEEEENSH_IJSG_SG_SG_EEES9_SI_JZNS1_25segmented_radix_sort_implINS0_14default_configELb1EPK12hip_bfloat16PSP_PKlPlN2at6native12_GLOBAL__N_18offset_tEEE10hipError_tPvRmT1_PNSt15iterator_traitsIS13_E10value_typeET2_T3_PNS14_IS19_E10value_typeET4_jRbjT5_S1F_jjP12ihipStream_tbEUljE_ZNSN_ISO_Lb1ESR_SS_SU_SV_SZ_EES10_S11_S12_S13_S17_S18_S19_S1C_S1D_jS1E_jS1F_S1F_jjS1H_bEUljE0_EEES10_S11_S12_S19_S1D_S1F_T6_T7_T9_mT8_S1H_bDpT10_ENKUlT_T0_E_clISt17integral_constantIbLb1EES1V_EEDaS1Q_S1R_EUlS1Q_E_NS1_11comp_targetILNS1_3genE10ELNS1_11target_archE1200ELNS1_3gpuE4ELNS1_3repE0EEENS1_30default_config_static_selectorELNS0_4arch9wavefront6targetE0EEEvS13_
    .private_segment_fixed_size: 0
    .sgpr_count:     0
    .sgpr_spill_count: 0
    .symbol:         _ZN7rocprim17ROCPRIM_400000_NS6detail17trampoline_kernelINS0_13select_configILj256ELj13ELNS0_17block_load_methodE3ELS4_3ELS4_3ELNS0_20block_scan_algorithmE0ELj4294967295EEENS1_25partition_config_selectorILNS1_17partition_subalgoE4EjNS0_10empty_typeEbEEZZNS1_14partition_implILS8_4ELb0ES6_15HIP_vector_typeIjLj2EENS0_17counting_iteratorIjlEEPS9_SG_NS0_5tupleIJPjSI_NS0_16reverse_iteratorISI_EEEEENSH_IJSG_SG_SG_EEES9_SI_JZNS1_25segmented_radix_sort_implINS0_14default_configELb1EPK12hip_bfloat16PSP_PKlPlN2at6native12_GLOBAL__N_18offset_tEEE10hipError_tPvRmT1_PNSt15iterator_traitsIS13_E10value_typeET2_T3_PNS14_IS19_E10value_typeET4_jRbjT5_S1F_jjP12ihipStream_tbEUljE_ZNSN_ISO_Lb1ESR_SS_SU_SV_SZ_EES10_S11_S12_S13_S17_S18_S19_S1C_S1D_jS1E_jS1F_S1F_jjS1H_bEUljE0_EEES10_S11_S12_S19_S1D_S1F_T6_T7_T9_mT8_S1H_bDpT10_ENKUlT_T0_E_clISt17integral_constantIbLb1EES1V_EEDaS1Q_S1R_EUlS1Q_E_NS1_11comp_targetILNS1_3genE10ELNS1_11target_archE1200ELNS1_3gpuE4ELNS1_3repE0EEENS1_30default_config_static_selectorELNS0_4arch9wavefront6targetE0EEEvS13_.kd
    .uniform_work_group_size: 1
    .uses_dynamic_stack: false
    .vgpr_count:     0
    .vgpr_spill_count: 0
    .wavefront_size: 32
  - .args:
      - .offset:         0
        .size:           184
        .value_kind:     by_value
    .group_segment_fixed_size: 0
    .kernarg_segment_align: 8
    .kernarg_segment_size: 184
    .language:       OpenCL C
    .language_version:
      - 2
      - 0
    .max_flat_workgroup_size: 256
    .name:           _ZN7rocprim17ROCPRIM_400000_NS6detail17trampoline_kernelINS0_13select_configILj256ELj13ELNS0_17block_load_methodE3ELS4_3ELS4_3ELNS0_20block_scan_algorithmE0ELj4294967295EEENS1_25partition_config_selectorILNS1_17partition_subalgoE4EjNS0_10empty_typeEbEEZZNS1_14partition_implILS8_4ELb0ES6_15HIP_vector_typeIjLj2EENS0_17counting_iteratorIjlEEPS9_SG_NS0_5tupleIJPjSI_NS0_16reverse_iteratorISI_EEEEENSH_IJSG_SG_SG_EEES9_SI_JZNS1_25segmented_radix_sort_implINS0_14default_configELb1EPK12hip_bfloat16PSP_PKlPlN2at6native12_GLOBAL__N_18offset_tEEE10hipError_tPvRmT1_PNSt15iterator_traitsIS13_E10value_typeET2_T3_PNS14_IS19_E10value_typeET4_jRbjT5_S1F_jjP12ihipStream_tbEUljE_ZNSN_ISO_Lb1ESR_SS_SU_SV_SZ_EES10_S11_S12_S13_S17_S18_S19_S1C_S1D_jS1E_jS1F_S1F_jjS1H_bEUljE0_EEES10_S11_S12_S19_S1D_S1F_T6_T7_T9_mT8_S1H_bDpT10_ENKUlT_T0_E_clISt17integral_constantIbLb1EES1V_EEDaS1Q_S1R_EUlS1Q_E_NS1_11comp_targetILNS1_3genE9ELNS1_11target_archE1100ELNS1_3gpuE3ELNS1_3repE0EEENS1_30default_config_static_selectorELNS0_4arch9wavefront6targetE0EEEvS13_
    .private_segment_fixed_size: 0
    .sgpr_count:     0
    .sgpr_spill_count: 0
    .symbol:         _ZN7rocprim17ROCPRIM_400000_NS6detail17trampoline_kernelINS0_13select_configILj256ELj13ELNS0_17block_load_methodE3ELS4_3ELS4_3ELNS0_20block_scan_algorithmE0ELj4294967295EEENS1_25partition_config_selectorILNS1_17partition_subalgoE4EjNS0_10empty_typeEbEEZZNS1_14partition_implILS8_4ELb0ES6_15HIP_vector_typeIjLj2EENS0_17counting_iteratorIjlEEPS9_SG_NS0_5tupleIJPjSI_NS0_16reverse_iteratorISI_EEEEENSH_IJSG_SG_SG_EEES9_SI_JZNS1_25segmented_radix_sort_implINS0_14default_configELb1EPK12hip_bfloat16PSP_PKlPlN2at6native12_GLOBAL__N_18offset_tEEE10hipError_tPvRmT1_PNSt15iterator_traitsIS13_E10value_typeET2_T3_PNS14_IS19_E10value_typeET4_jRbjT5_S1F_jjP12ihipStream_tbEUljE_ZNSN_ISO_Lb1ESR_SS_SU_SV_SZ_EES10_S11_S12_S13_S17_S18_S19_S1C_S1D_jS1E_jS1F_S1F_jjS1H_bEUljE0_EEES10_S11_S12_S19_S1D_S1F_T6_T7_T9_mT8_S1H_bDpT10_ENKUlT_T0_E_clISt17integral_constantIbLb1EES1V_EEDaS1Q_S1R_EUlS1Q_E_NS1_11comp_targetILNS1_3genE9ELNS1_11target_archE1100ELNS1_3gpuE3ELNS1_3repE0EEENS1_30default_config_static_selectorELNS0_4arch9wavefront6targetE0EEEvS13_.kd
    .uniform_work_group_size: 1
    .uses_dynamic_stack: false
    .vgpr_count:     0
    .vgpr_spill_count: 0
    .wavefront_size: 32
  - .args:
      - .offset:         0
        .size:           184
        .value_kind:     by_value
    .group_segment_fixed_size: 0
    .kernarg_segment_align: 8
    .kernarg_segment_size: 184
    .language:       OpenCL C
    .language_version:
      - 2
      - 0
    .max_flat_workgroup_size: 256
    .name:           _ZN7rocprim17ROCPRIM_400000_NS6detail17trampoline_kernelINS0_13select_configILj256ELj13ELNS0_17block_load_methodE3ELS4_3ELS4_3ELNS0_20block_scan_algorithmE0ELj4294967295EEENS1_25partition_config_selectorILNS1_17partition_subalgoE4EjNS0_10empty_typeEbEEZZNS1_14partition_implILS8_4ELb0ES6_15HIP_vector_typeIjLj2EENS0_17counting_iteratorIjlEEPS9_SG_NS0_5tupleIJPjSI_NS0_16reverse_iteratorISI_EEEEENSH_IJSG_SG_SG_EEES9_SI_JZNS1_25segmented_radix_sort_implINS0_14default_configELb1EPK12hip_bfloat16PSP_PKlPlN2at6native12_GLOBAL__N_18offset_tEEE10hipError_tPvRmT1_PNSt15iterator_traitsIS13_E10value_typeET2_T3_PNS14_IS19_E10value_typeET4_jRbjT5_S1F_jjP12ihipStream_tbEUljE_ZNSN_ISO_Lb1ESR_SS_SU_SV_SZ_EES10_S11_S12_S13_S17_S18_S19_S1C_S1D_jS1E_jS1F_S1F_jjS1H_bEUljE0_EEES10_S11_S12_S19_S1D_S1F_T6_T7_T9_mT8_S1H_bDpT10_ENKUlT_T0_E_clISt17integral_constantIbLb1EES1V_EEDaS1Q_S1R_EUlS1Q_E_NS1_11comp_targetILNS1_3genE8ELNS1_11target_archE1030ELNS1_3gpuE2ELNS1_3repE0EEENS1_30default_config_static_selectorELNS0_4arch9wavefront6targetE0EEEvS13_
    .private_segment_fixed_size: 0
    .sgpr_count:     0
    .sgpr_spill_count: 0
    .symbol:         _ZN7rocprim17ROCPRIM_400000_NS6detail17trampoline_kernelINS0_13select_configILj256ELj13ELNS0_17block_load_methodE3ELS4_3ELS4_3ELNS0_20block_scan_algorithmE0ELj4294967295EEENS1_25partition_config_selectorILNS1_17partition_subalgoE4EjNS0_10empty_typeEbEEZZNS1_14partition_implILS8_4ELb0ES6_15HIP_vector_typeIjLj2EENS0_17counting_iteratorIjlEEPS9_SG_NS0_5tupleIJPjSI_NS0_16reverse_iteratorISI_EEEEENSH_IJSG_SG_SG_EEES9_SI_JZNS1_25segmented_radix_sort_implINS0_14default_configELb1EPK12hip_bfloat16PSP_PKlPlN2at6native12_GLOBAL__N_18offset_tEEE10hipError_tPvRmT1_PNSt15iterator_traitsIS13_E10value_typeET2_T3_PNS14_IS19_E10value_typeET4_jRbjT5_S1F_jjP12ihipStream_tbEUljE_ZNSN_ISO_Lb1ESR_SS_SU_SV_SZ_EES10_S11_S12_S13_S17_S18_S19_S1C_S1D_jS1E_jS1F_S1F_jjS1H_bEUljE0_EEES10_S11_S12_S19_S1D_S1F_T6_T7_T9_mT8_S1H_bDpT10_ENKUlT_T0_E_clISt17integral_constantIbLb1EES1V_EEDaS1Q_S1R_EUlS1Q_E_NS1_11comp_targetILNS1_3genE8ELNS1_11target_archE1030ELNS1_3gpuE2ELNS1_3repE0EEENS1_30default_config_static_selectorELNS0_4arch9wavefront6targetE0EEEvS13_.kd
    .uniform_work_group_size: 1
    .uses_dynamic_stack: false
    .vgpr_count:     0
    .vgpr_spill_count: 0
    .wavefront_size: 32
  - .args:
      - .offset:         0
        .size:           176
        .value_kind:     by_value
    .group_segment_fixed_size: 0
    .kernarg_segment_align: 8
    .kernarg_segment_size: 176
    .language:       OpenCL C
    .language_version:
      - 2
      - 0
    .max_flat_workgroup_size: 256
    .name:           _ZN7rocprim17ROCPRIM_400000_NS6detail17trampoline_kernelINS0_13select_configILj256ELj13ELNS0_17block_load_methodE3ELS4_3ELS4_3ELNS0_20block_scan_algorithmE0ELj4294967295EEENS1_25partition_config_selectorILNS1_17partition_subalgoE4EjNS0_10empty_typeEbEEZZNS1_14partition_implILS8_4ELb0ES6_15HIP_vector_typeIjLj2EENS0_17counting_iteratorIjlEEPS9_SG_NS0_5tupleIJPjSI_NS0_16reverse_iteratorISI_EEEEENSH_IJSG_SG_SG_EEES9_SI_JZNS1_25segmented_radix_sort_implINS0_14default_configELb1EPK12hip_bfloat16PSP_PKlPlN2at6native12_GLOBAL__N_18offset_tEEE10hipError_tPvRmT1_PNSt15iterator_traitsIS13_E10value_typeET2_T3_PNS14_IS19_E10value_typeET4_jRbjT5_S1F_jjP12ihipStream_tbEUljE_ZNSN_ISO_Lb1ESR_SS_SU_SV_SZ_EES10_S11_S12_S13_S17_S18_S19_S1C_S1D_jS1E_jS1F_S1F_jjS1H_bEUljE0_EEES10_S11_S12_S19_S1D_S1F_T6_T7_T9_mT8_S1H_bDpT10_ENKUlT_T0_E_clISt17integral_constantIbLb1EES1U_IbLb0EEEEDaS1Q_S1R_EUlS1Q_E_NS1_11comp_targetILNS1_3genE0ELNS1_11target_archE4294967295ELNS1_3gpuE0ELNS1_3repE0EEENS1_30default_config_static_selectorELNS0_4arch9wavefront6targetE0EEEvS13_
    .private_segment_fixed_size: 0
    .sgpr_count:     0
    .sgpr_spill_count: 0
    .symbol:         _ZN7rocprim17ROCPRIM_400000_NS6detail17trampoline_kernelINS0_13select_configILj256ELj13ELNS0_17block_load_methodE3ELS4_3ELS4_3ELNS0_20block_scan_algorithmE0ELj4294967295EEENS1_25partition_config_selectorILNS1_17partition_subalgoE4EjNS0_10empty_typeEbEEZZNS1_14partition_implILS8_4ELb0ES6_15HIP_vector_typeIjLj2EENS0_17counting_iteratorIjlEEPS9_SG_NS0_5tupleIJPjSI_NS0_16reverse_iteratorISI_EEEEENSH_IJSG_SG_SG_EEES9_SI_JZNS1_25segmented_radix_sort_implINS0_14default_configELb1EPK12hip_bfloat16PSP_PKlPlN2at6native12_GLOBAL__N_18offset_tEEE10hipError_tPvRmT1_PNSt15iterator_traitsIS13_E10value_typeET2_T3_PNS14_IS19_E10value_typeET4_jRbjT5_S1F_jjP12ihipStream_tbEUljE_ZNSN_ISO_Lb1ESR_SS_SU_SV_SZ_EES10_S11_S12_S13_S17_S18_S19_S1C_S1D_jS1E_jS1F_S1F_jjS1H_bEUljE0_EEES10_S11_S12_S19_S1D_S1F_T6_T7_T9_mT8_S1H_bDpT10_ENKUlT_T0_E_clISt17integral_constantIbLb1EES1U_IbLb0EEEEDaS1Q_S1R_EUlS1Q_E_NS1_11comp_targetILNS1_3genE0ELNS1_11target_archE4294967295ELNS1_3gpuE0ELNS1_3repE0EEENS1_30default_config_static_selectorELNS0_4arch9wavefront6targetE0EEEvS13_.kd
    .uniform_work_group_size: 1
    .uses_dynamic_stack: false
    .vgpr_count:     0
    .vgpr_spill_count: 0
    .wavefront_size: 32
  - .args:
      - .offset:         0
        .size:           176
        .value_kind:     by_value
    .group_segment_fixed_size: 0
    .kernarg_segment_align: 8
    .kernarg_segment_size: 176
    .language:       OpenCL C
    .language_version:
      - 2
      - 0
    .max_flat_workgroup_size: 256
    .name:           _ZN7rocprim17ROCPRIM_400000_NS6detail17trampoline_kernelINS0_13select_configILj256ELj13ELNS0_17block_load_methodE3ELS4_3ELS4_3ELNS0_20block_scan_algorithmE0ELj4294967295EEENS1_25partition_config_selectorILNS1_17partition_subalgoE4EjNS0_10empty_typeEbEEZZNS1_14partition_implILS8_4ELb0ES6_15HIP_vector_typeIjLj2EENS0_17counting_iteratorIjlEEPS9_SG_NS0_5tupleIJPjSI_NS0_16reverse_iteratorISI_EEEEENSH_IJSG_SG_SG_EEES9_SI_JZNS1_25segmented_radix_sort_implINS0_14default_configELb1EPK12hip_bfloat16PSP_PKlPlN2at6native12_GLOBAL__N_18offset_tEEE10hipError_tPvRmT1_PNSt15iterator_traitsIS13_E10value_typeET2_T3_PNS14_IS19_E10value_typeET4_jRbjT5_S1F_jjP12ihipStream_tbEUljE_ZNSN_ISO_Lb1ESR_SS_SU_SV_SZ_EES10_S11_S12_S13_S17_S18_S19_S1C_S1D_jS1E_jS1F_S1F_jjS1H_bEUljE0_EEES10_S11_S12_S19_S1D_S1F_T6_T7_T9_mT8_S1H_bDpT10_ENKUlT_T0_E_clISt17integral_constantIbLb1EES1U_IbLb0EEEEDaS1Q_S1R_EUlS1Q_E_NS1_11comp_targetILNS1_3genE5ELNS1_11target_archE942ELNS1_3gpuE9ELNS1_3repE0EEENS1_30default_config_static_selectorELNS0_4arch9wavefront6targetE0EEEvS13_
    .private_segment_fixed_size: 0
    .sgpr_count:     0
    .sgpr_spill_count: 0
    .symbol:         _ZN7rocprim17ROCPRIM_400000_NS6detail17trampoline_kernelINS0_13select_configILj256ELj13ELNS0_17block_load_methodE3ELS4_3ELS4_3ELNS0_20block_scan_algorithmE0ELj4294967295EEENS1_25partition_config_selectorILNS1_17partition_subalgoE4EjNS0_10empty_typeEbEEZZNS1_14partition_implILS8_4ELb0ES6_15HIP_vector_typeIjLj2EENS0_17counting_iteratorIjlEEPS9_SG_NS0_5tupleIJPjSI_NS0_16reverse_iteratorISI_EEEEENSH_IJSG_SG_SG_EEES9_SI_JZNS1_25segmented_radix_sort_implINS0_14default_configELb1EPK12hip_bfloat16PSP_PKlPlN2at6native12_GLOBAL__N_18offset_tEEE10hipError_tPvRmT1_PNSt15iterator_traitsIS13_E10value_typeET2_T3_PNS14_IS19_E10value_typeET4_jRbjT5_S1F_jjP12ihipStream_tbEUljE_ZNSN_ISO_Lb1ESR_SS_SU_SV_SZ_EES10_S11_S12_S13_S17_S18_S19_S1C_S1D_jS1E_jS1F_S1F_jjS1H_bEUljE0_EEES10_S11_S12_S19_S1D_S1F_T6_T7_T9_mT8_S1H_bDpT10_ENKUlT_T0_E_clISt17integral_constantIbLb1EES1U_IbLb0EEEEDaS1Q_S1R_EUlS1Q_E_NS1_11comp_targetILNS1_3genE5ELNS1_11target_archE942ELNS1_3gpuE9ELNS1_3repE0EEENS1_30default_config_static_selectorELNS0_4arch9wavefront6targetE0EEEvS13_.kd
    .uniform_work_group_size: 1
    .uses_dynamic_stack: false
    .vgpr_count:     0
    .vgpr_spill_count: 0
    .wavefront_size: 32
  - .args:
      - .offset:         0
        .size:           176
        .value_kind:     by_value
    .group_segment_fixed_size: 0
    .kernarg_segment_align: 8
    .kernarg_segment_size: 176
    .language:       OpenCL C
    .language_version:
      - 2
      - 0
    .max_flat_workgroup_size: 256
    .name:           _ZN7rocprim17ROCPRIM_400000_NS6detail17trampoline_kernelINS0_13select_configILj256ELj13ELNS0_17block_load_methodE3ELS4_3ELS4_3ELNS0_20block_scan_algorithmE0ELj4294967295EEENS1_25partition_config_selectorILNS1_17partition_subalgoE4EjNS0_10empty_typeEbEEZZNS1_14partition_implILS8_4ELb0ES6_15HIP_vector_typeIjLj2EENS0_17counting_iteratorIjlEEPS9_SG_NS0_5tupleIJPjSI_NS0_16reverse_iteratorISI_EEEEENSH_IJSG_SG_SG_EEES9_SI_JZNS1_25segmented_radix_sort_implINS0_14default_configELb1EPK12hip_bfloat16PSP_PKlPlN2at6native12_GLOBAL__N_18offset_tEEE10hipError_tPvRmT1_PNSt15iterator_traitsIS13_E10value_typeET2_T3_PNS14_IS19_E10value_typeET4_jRbjT5_S1F_jjP12ihipStream_tbEUljE_ZNSN_ISO_Lb1ESR_SS_SU_SV_SZ_EES10_S11_S12_S13_S17_S18_S19_S1C_S1D_jS1E_jS1F_S1F_jjS1H_bEUljE0_EEES10_S11_S12_S19_S1D_S1F_T6_T7_T9_mT8_S1H_bDpT10_ENKUlT_T0_E_clISt17integral_constantIbLb1EES1U_IbLb0EEEEDaS1Q_S1R_EUlS1Q_E_NS1_11comp_targetILNS1_3genE4ELNS1_11target_archE910ELNS1_3gpuE8ELNS1_3repE0EEENS1_30default_config_static_selectorELNS0_4arch9wavefront6targetE0EEEvS13_
    .private_segment_fixed_size: 0
    .sgpr_count:     0
    .sgpr_spill_count: 0
    .symbol:         _ZN7rocprim17ROCPRIM_400000_NS6detail17trampoline_kernelINS0_13select_configILj256ELj13ELNS0_17block_load_methodE3ELS4_3ELS4_3ELNS0_20block_scan_algorithmE0ELj4294967295EEENS1_25partition_config_selectorILNS1_17partition_subalgoE4EjNS0_10empty_typeEbEEZZNS1_14partition_implILS8_4ELb0ES6_15HIP_vector_typeIjLj2EENS0_17counting_iteratorIjlEEPS9_SG_NS0_5tupleIJPjSI_NS0_16reverse_iteratorISI_EEEEENSH_IJSG_SG_SG_EEES9_SI_JZNS1_25segmented_radix_sort_implINS0_14default_configELb1EPK12hip_bfloat16PSP_PKlPlN2at6native12_GLOBAL__N_18offset_tEEE10hipError_tPvRmT1_PNSt15iterator_traitsIS13_E10value_typeET2_T3_PNS14_IS19_E10value_typeET4_jRbjT5_S1F_jjP12ihipStream_tbEUljE_ZNSN_ISO_Lb1ESR_SS_SU_SV_SZ_EES10_S11_S12_S13_S17_S18_S19_S1C_S1D_jS1E_jS1F_S1F_jjS1H_bEUljE0_EEES10_S11_S12_S19_S1D_S1F_T6_T7_T9_mT8_S1H_bDpT10_ENKUlT_T0_E_clISt17integral_constantIbLb1EES1U_IbLb0EEEEDaS1Q_S1R_EUlS1Q_E_NS1_11comp_targetILNS1_3genE4ELNS1_11target_archE910ELNS1_3gpuE8ELNS1_3repE0EEENS1_30default_config_static_selectorELNS0_4arch9wavefront6targetE0EEEvS13_.kd
    .uniform_work_group_size: 1
    .uses_dynamic_stack: false
    .vgpr_count:     0
    .vgpr_spill_count: 0
    .wavefront_size: 32
  - .args:
      - .offset:         0
        .size:           176
        .value_kind:     by_value
    .group_segment_fixed_size: 0
    .kernarg_segment_align: 8
    .kernarg_segment_size: 176
    .language:       OpenCL C
    .language_version:
      - 2
      - 0
    .max_flat_workgroup_size: 256
    .name:           _ZN7rocprim17ROCPRIM_400000_NS6detail17trampoline_kernelINS0_13select_configILj256ELj13ELNS0_17block_load_methodE3ELS4_3ELS4_3ELNS0_20block_scan_algorithmE0ELj4294967295EEENS1_25partition_config_selectorILNS1_17partition_subalgoE4EjNS0_10empty_typeEbEEZZNS1_14partition_implILS8_4ELb0ES6_15HIP_vector_typeIjLj2EENS0_17counting_iteratorIjlEEPS9_SG_NS0_5tupleIJPjSI_NS0_16reverse_iteratorISI_EEEEENSH_IJSG_SG_SG_EEES9_SI_JZNS1_25segmented_radix_sort_implINS0_14default_configELb1EPK12hip_bfloat16PSP_PKlPlN2at6native12_GLOBAL__N_18offset_tEEE10hipError_tPvRmT1_PNSt15iterator_traitsIS13_E10value_typeET2_T3_PNS14_IS19_E10value_typeET4_jRbjT5_S1F_jjP12ihipStream_tbEUljE_ZNSN_ISO_Lb1ESR_SS_SU_SV_SZ_EES10_S11_S12_S13_S17_S18_S19_S1C_S1D_jS1E_jS1F_S1F_jjS1H_bEUljE0_EEES10_S11_S12_S19_S1D_S1F_T6_T7_T9_mT8_S1H_bDpT10_ENKUlT_T0_E_clISt17integral_constantIbLb1EES1U_IbLb0EEEEDaS1Q_S1R_EUlS1Q_E_NS1_11comp_targetILNS1_3genE3ELNS1_11target_archE908ELNS1_3gpuE7ELNS1_3repE0EEENS1_30default_config_static_selectorELNS0_4arch9wavefront6targetE0EEEvS13_
    .private_segment_fixed_size: 0
    .sgpr_count:     0
    .sgpr_spill_count: 0
    .symbol:         _ZN7rocprim17ROCPRIM_400000_NS6detail17trampoline_kernelINS0_13select_configILj256ELj13ELNS0_17block_load_methodE3ELS4_3ELS4_3ELNS0_20block_scan_algorithmE0ELj4294967295EEENS1_25partition_config_selectorILNS1_17partition_subalgoE4EjNS0_10empty_typeEbEEZZNS1_14partition_implILS8_4ELb0ES6_15HIP_vector_typeIjLj2EENS0_17counting_iteratorIjlEEPS9_SG_NS0_5tupleIJPjSI_NS0_16reverse_iteratorISI_EEEEENSH_IJSG_SG_SG_EEES9_SI_JZNS1_25segmented_radix_sort_implINS0_14default_configELb1EPK12hip_bfloat16PSP_PKlPlN2at6native12_GLOBAL__N_18offset_tEEE10hipError_tPvRmT1_PNSt15iterator_traitsIS13_E10value_typeET2_T3_PNS14_IS19_E10value_typeET4_jRbjT5_S1F_jjP12ihipStream_tbEUljE_ZNSN_ISO_Lb1ESR_SS_SU_SV_SZ_EES10_S11_S12_S13_S17_S18_S19_S1C_S1D_jS1E_jS1F_S1F_jjS1H_bEUljE0_EEES10_S11_S12_S19_S1D_S1F_T6_T7_T9_mT8_S1H_bDpT10_ENKUlT_T0_E_clISt17integral_constantIbLb1EES1U_IbLb0EEEEDaS1Q_S1R_EUlS1Q_E_NS1_11comp_targetILNS1_3genE3ELNS1_11target_archE908ELNS1_3gpuE7ELNS1_3repE0EEENS1_30default_config_static_selectorELNS0_4arch9wavefront6targetE0EEEvS13_.kd
    .uniform_work_group_size: 1
    .uses_dynamic_stack: false
    .vgpr_count:     0
    .vgpr_spill_count: 0
    .wavefront_size: 32
  - .args:
      - .offset:         0
        .size:           176
        .value_kind:     by_value
    .group_segment_fixed_size: 0
    .kernarg_segment_align: 8
    .kernarg_segment_size: 176
    .language:       OpenCL C
    .language_version:
      - 2
      - 0
    .max_flat_workgroup_size: 256
    .name:           _ZN7rocprim17ROCPRIM_400000_NS6detail17trampoline_kernelINS0_13select_configILj256ELj13ELNS0_17block_load_methodE3ELS4_3ELS4_3ELNS0_20block_scan_algorithmE0ELj4294967295EEENS1_25partition_config_selectorILNS1_17partition_subalgoE4EjNS0_10empty_typeEbEEZZNS1_14partition_implILS8_4ELb0ES6_15HIP_vector_typeIjLj2EENS0_17counting_iteratorIjlEEPS9_SG_NS0_5tupleIJPjSI_NS0_16reverse_iteratorISI_EEEEENSH_IJSG_SG_SG_EEES9_SI_JZNS1_25segmented_radix_sort_implINS0_14default_configELb1EPK12hip_bfloat16PSP_PKlPlN2at6native12_GLOBAL__N_18offset_tEEE10hipError_tPvRmT1_PNSt15iterator_traitsIS13_E10value_typeET2_T3_PNS14_IS19_E10value_typeET4_jRbjT5_S1F_jjP12ihipStream_tbEUljE_ZNSN_ISO_Lb1ESR_SS_SU_SV_SZ_EES10_S11_S12_S13_S17_S18_S19_S1C_S1D_jS1E_jS1F_S1F_jjS1H_bEUljE0_EEES10_S11_S12_S19_S1D_S1F_T6_T7_T9_mT8_S1H_bDpT10_ENKUlT_T0_E_clISt17integral_constantIbLb1EES1U_IbLb0EEEEDaS1Q_S1R_EUlS1Q_E_NS1_11comp_targetILNS1_3genE2ELNS1_11target_archE906ELNS1_3gpuE6ELNS1_3repE0EEENS1_30default_config_static_selectorELNS0_4arch9wavefront6targetE0EEEvS13_
    .private_segment_fixed_size: 0
    .sgpr_count:     0
    .sgpr_spill_count: 0
    .symbol:         _ZN7rocprim17ROCPRIM_400000_NS6detail17trampoline_kernelINS0_13select_configILj256ELj13ELNS0_17block_load_methodE3ELS4_3ELS4_3ELNS0_20block_scan_algorithmE0ELj4294967295EEENS1_25partition_config_selectorILNS1_17partition_subalgoE4EjNS0_10empty_typeEbEEZZNS1_14partition_implILS8_4ELb0ES6_15HIP_vector_typeIjLj2EENS0_17counting_iteratorIjlEEPS9_SG_NS0_5tupleIJPjSI_NS0_16reverse_iteratorISI_EEEEENSH_IJSG_SG_SG_EEES9_SI_JZNS1_25segmented_radix_sort_implINS0_14default_configELb1EPK12hip_bfloat16PSP_PKlPlN2at6native12_GLOBAL__N_18offset_tEEE10hipError_tPvRmT1_PNSt15iterator_traitsIS13_E10value_typeET2_T3_PNS14_IS19_E10value_typeET4_jRbjT5_S1F_jjP12ihipStream_tbEUljE_ZNSN_ISO_Lb1ESR_SS_SU_SV_SZ_EES10_S11_S12_S13_S17_S18_S19_S1C_S1D_jS1E_jS1F_S1F_jjS1H_bEUljE0_EEES10_S11_S12_S19_S1D_S1F_T6_T7_T9_mT8_S1H_bDpT10_ENKUlT_T0_E_clISt17integral_constantIbLb1EES1U_IbLb0EEEEDaS1Q_S1R_EUlS1Q_E_NS1_11comp_targetILNS1_3genE2ELNS1_11target_archE906ELNS1_3gpuE6ELNS1_3repE0EEENS1_30default_config_static_selectorELNS0_4arch9wavefront6targetE0EEEvS13_.kd
    .uniform_work_group_size: 1
    .uses_dynamic_stack: false
    .vgpr_count:     0
    .vgpr_spill_count: 0
    .wavefront_size: 32
  - .args:
      - .offset:         0
        .size:           176
        .value_kind:     by_value
    .group_segment_fixed_size: 0
    .kernarg_segment_align: 8
    .kernarg_segment_size: 176
    .language:       OpenCL C
    .language_version:
      - 2
      - 0
    .max_flat_workgroup_size: 256
    .name:           _ZN7rocprim17ROCPRIM_400000_NS6detail17trampoline_kernelINS0_13select_configILj256ELj13ELNS0_17block_load_methodE3ELS4_3ELS4_3ELNS0_20block_scan_algorithmE0ELj4294967295EEENS1_25partition_config_selectorILNS1_17partition_subalgoE4EjNS0_10empty_typeEbEEZZNS1_14partition_implILS8_4ELb0ES6_15HIP_vector_typeIjLj2EENS0_17counting_iteratorIjlEEPS9_SG_NS0_5tupleIJPjSI_NS0_16reverse_iteratorISI_EEEEENSH_IJSG_SG_SG_EEES9_SI_JZNS1_25segmented_radix_sort_implINS0_14default_configELb1EPK12hip_bfloat16PSP_PKlPlN2at6native12_GLOBAL__N_18offset_tEEE10hipError_tPvRmT1_PNSt15iterator_traitsIS13_E10value_typeET2_T3_PNS14_IS19_E10value_typeET4_jRbjT5_S1F_jjP12ihipStream_tbEUljE_ZNSN_ISO_Lb1ESR_SS_SU_SV_SZ_EES10_S11_S12_S13_S17_S18_S19_S1C_S1D_jS1E_jS1F_S1F_jjS1H_bEUljE0_EEES10_S11_S12_S19_S1D_S1F_T6_T7_T9_mT8_S1H_bDpT10_ENKUlT_T0_E_clISt17integral_constantIbLb1EES1U_IbLb0EEEEDaS1Q_S1R_EUlS1Q_E_NS1_11comp_targetILNS1_3genE10ELNS1_11target_archE1200ELNS1_3gpuE4ELNS1_3repE0EEENS1_30default_config_static_selectorELNS0_4arch9wavefront6targetE0EEEvS13_
    .private_segment_fixed_size: 0
    .sgpr_count:     0
    .sgpr_spill_count: 0
    .symbol:         _ZN7rocprim17ROCPRIM_400000_NS6detail17trampoline_kernelINS0_13select_configILj256ELj13ELNS0_17block_load_methodE3ELS4_3ELS4_3ELNS0_20block_scan_algorithmE0ELj4294967295EEENS1_25partition_config_selectorILNS1_17partition_subalgoE4EjNS0_10empty_typeEbEEZZNS1_14partition_implILS8_4ELb0ES6_15HIP_vector_typeIjLj2EENS0_17counting_iteratorIjlEEPS9_SG_NS0_5tupleIJPjSI_NS0_16reverse_iteratorISI_EEEEENSH_IJSG_SG_SG_EEES9_SI_JZNS1_25segmented_radix_sort_implINS0_14default_configELb1EPK12hip_bfloat16PSP_PKlPlN2at6native12_GLOBAL__N_18offset_tEEE10hipError_tPvRmT1_PNSt15iterator_traitsIS13_E10value_typeET2_T3_PNS14_IS19_E10value_typeET4_jRbjT5_S1F_jjP12ihipStream_tbEUljE_ZNSN_ISO_Lb1ESR_SS_SU_SV_SZ_EES10_S11_S12_S13_S17_S18_S19_S1C_S1D_jS1E_jS1F_S1F_jjS1H_bEUljE0_EEES10_S11_S12_S19_S1D_S1F_T6_T7_T9_mT8_S1H_bDpT10_ENKUlT_T0_E_clISt17integral_constantIbLb1EES1U_IbLb0EEEEDaS1Q_S1R_EUlS1Q_E_NS1_11comp_targetILNS1_3genE10ELNS1_11target_archE1200ELNS1_3gpuE4ELNS1_3repE0EEENS1_30default_config_static_selectorELNS0_4arch9wavefront6targetE0EEEvS13_.kd
    .uniform_work_group_size: 1
    .uses_dynamic_stack: false
    .vgpr_count:     0
    .vgpr_spill_count: 0
    .wavefront_size: 32
  - .args:
      - .offset:         0
        .size:           176
        .value_kind:     by_value
    .group_segment_fixed_size: 0
    .kernarg_segment_align: 8
    .kernarg_segment_size: 176
    .language:       OpenCL C
    .language_version:
      - 2
      - 0
    .max_flat_workgroup_size: 256
    .name:           _ZN7rocprim17ROCPRIM_400000_NS6detail17trampoline_kernelINS0_13select_configILj256ELj13ELNS0_17block_load_methodE3ELS4_3ELS4_3ELNS0_20block_scan_algorithmE0ELj4294967295EEENS1_25partition_config_selectorILNS1_17partition_subalgoE4EjNS0_10empty_typeEbEEZZNS1_14partition_implILS8_4ELb0ES6_15HIP_vector_typeIjLj2EENS0_17counting_iteratorIjlEEPS9_SG_NS0_5tupleIJPjSI_NS0_16reverse_iteratorISI_EEEEENSH_IJSG_SG_SG_EEES9_SI_JZNS1_25segmented_radix_sort_implINS0_14default_configELb1EPK12hip_bfloat16PSP_PKlPlN2at6native12_GLOBAL__N_18offset_tEEE10hipError_tPvRmT1_PNSt15iterator_traitsIS13_E10value_typeET2_T3_PNS14_IS19_E10value_typeET4_jRbjT5_S1F_jjP12ihipStream_tbEUljE_ZNSN_ISO_Lb1ESR_SS_SU_SV_SZ_EES10_S11_S12_S13_S17_S18_S19_S1C_S1D_jS1E_jS1F_S1F_jjS1H_bEUljE0_EEES10_S11_S12_S19_S1D_S1F_T6_T7_T9_mT8_S1H_bDpT10_ENKUlT_T0_E_clISt17integral_constantIbLb1EES1U_IbLb0EEEEDaS1Q_S1R_EUlS1Q_E_NS1_11comp_targetILNS1_3genE9ELNS1_11target_archE1100ELNS1_3gpuE3ELNS1_3repE0EEENS1_30default_config_static_selectorELNS0_4arch9wavefront6targetE0EEEvS13_
    .private_segment_fixed_size: 0
    .sgpr_count:     0
    .sgpr_spill_count: 0
    .symbol:         _ZN7rocprim17ROCPRIM_400000_NS6detail17trampoline_kernelINS0_13select_configILj256ELj13ELNS0_17block_load_methodE3ELS4_3ELS4_3ELNS0_20block_scan_algorithmE0ELj4294967295EEENS1_25partition_config_selectorILNS1_17partition_subalgoE4EjNS0_10empty_typeEbEEZZNS1_14partition_implILS8_4ELb0ES6_15HIP_vector_typeIjLj2EENS0_17counting_iteratorIjlEEPS9_SG_NS0_5tupleIJPjSI_NS0_16reverse_iteratorISI_EEEEENSH_IJSG_SG_SG_EEES9_SI_JZNS1_25segmented_radix_sort_implINS0_14default_configELb1EPK12hip_bfloat16PSP_PKlPlN2at6native12_GLOBAL__N_18offset_tEEE10hipError_tPvRmT1_PNSt15iterator_traitsIS13_E10value_typeET2_T3_PNS14_IS19_E10value_typeET4_jRbjT5_S1F_jjP12ihipStream_tbEUljE_ZNSN_ISO_Lb1ESR_SS_SU_SV_SZ_EES10_S11_S12_S13_S17_S18_S19_S1C_S1D_jS1E_jS1F_S1F_jjS1H_bEUljE0_EEES10_S11_S12_S19_S1D_S1F_T6_T7_T9_mT8_S1H_bDpT10_ENKUlT_T0_E_clISt17integral_constantIbLb1EES1U_IbLb0EEEEDaS1Q_S1R_EUlS1Q_E_NS1_11comp_targetILNS1_3genE9ELNS1_11target_archE1100ELNS1_3gpuE3ELNS1_3repE0EEENS1_30default_config_static_selectorELNS0_4arch9wavefront6targetE0EEEvS13_.kd
    .uniform_work_group_size: 1
    .uses_dynamic_stack: false
    .vgpr_count:     0
    .vgpr_spill_count: 0
    .wavefront_size: 32
  - .args:
      - .offset:         0
        .size:           176
        .value_kind:     by_value
    .group_segment_fixed_size: 0
    .kernarg_segment_align: 8
    .kernarg_segment_size: 176
    .language:       OpenCL C
    .language_version:
      - 2
      - 0
    .max_flat_workgroup_size: 256
    .name:           _ZN7rocprim17ROCPRIM_400000_NS6detail17trampoline_kernelINS0_13select_configILj256ELj13ELNS0_17block_load_methodE3ELS4_3ELS4_3ELNS0_20block_scan_algorithmE0ELj4294967295EEENS1_25partition_config_selectorILNS1_17partition_subalgoE4EjNS0_10empty_typeEbEEZZNS1_14partition_implILS8_4ELb0ES6_15HIP_vector_typeIjLj2EENS0_17counting_iteratorIjlEEPS9_SG_NS0_5tupleIJPjSI_NS0_16reverse_iteratorISI_EEEEENSH_IJSG_SG_SG_EEES9_SI_JZNS1_25segmented_radix_sort_implINS0_14default_configELb1EPK12hip_bfloat16PSP_PKlPlN2at6native12_GLOBAL__N_18offset_tEEE10hipError_tPvRmT1_PNSt15iterator_traitsIS13_E10value_typeET2_T3_PNS14_IS19_E10value_typeET4_jRbjT5_S1F_jjP12ihipStream_tbEUljE_ZNSN_ISO_Lb1ESR_SS_SU_SV_SZ_EES10_S11_S12_S13_S17_S18_S19_S1C_S1D_jS1E_jS1F_S1F_jjS1H_bEUljE0_EEES10_S11_S12_S19_S1D_S1F_T6_T7_T9_mT8_S1H_bDpT10_ENKUlT_T0_E_clISt17integral_constantIbLb1EES1U_IbLb0EEEEDaS1Q_S1R_EUlS1Q_E_NS1_11comp_targetILNS1_3genE8ELNS1_11target_archE1030ELNS1_3gpuE2ELNS1_3repE0EEENS1_30default_config_static_selectorELNS0_4arch9wavefront6targetE0EEEvS13_
    .private_segment_fixed_size: 0
    .sgpr_count:     0
    .sgpr_spill_count: 0
    .symbol:         _ZN7rocprim17ROCPRIM_400000_NS6detail17trampoline_kernelINS0_13select_configILj256ELj13ELNS0_17block_load_methodE3ELS4_3ELS4_3ELNS0_20block_scan_algorithmE0ELj4294967295EEENS1_25partition_config_selectorILNS1_17partition_subalgoE4EjNS0_10empty_typeEbEEZZNS1_14partition_implILS8_4ELb0ES6_15HIP_vector_typeIjLj2EENS0_17counting_iteratorIjlEEPS9_SG_NS0_5tupleIJPjSI_NS0_16reverse_iteratorISI_EEEEENSH_IJSG_SG_SG_EEES9_SI_JZNS1_25segmented_radix_sort_implINS0_14default_configELb1EPK12hip_bfloat16PSP_PKlPlN2at6native12_GLOBAL__N_18offset_tEEE10hipError_tPvRmT1_PNSt15iterator_traitsIS13_E10value_typeET2_T3_PNS14_IS19_E10value_typeET4_jRbjT5_S1F_jjP12ihipStream_tbEUljE_ZNSN_ISO_Lb1ESR_SS_SU_SV_SZ_EES10_S11_S12_S13_S17_S18_S19_S1C_S1D_jS1E_jS1F_S1F_jjS1H_bEUljE0_EEES10_S11_S12_S19_S1D_S1F_T6_T7_T9_mT8_S1H_bDpT10_ENKUlT_T0_E_clISt17integral_constantIbLb1EES1U_IbLb0EEEEDaS1Q_S1R_EUlS1Q_E_NS1_11comp_targetILNS1_3genE8ELNS1_11target_archE1030ELNS1_3gpuE2ELNS1_3repE0EEENS1_30default_config_static_selectorELNS0_4arch9wavefront6targetE0EEEvS13_.kd
    .uniform_work_group_size: 1
    .uses_dynamic_stack: false
    .vgpr_count:     0
    .vgpr_spill_count: 0
    .wavefront_size: 32
  - .args:
      - .offset:         0
        .size:           184
        .value_kind:     by_value
    .group_segment_fixed_size: 13328
    .kernarg_segment_align: 8
    .kernarg_segment_size: 184
    .language:       OpenCL C
    .language_version:
      - 2
      - 0
    .max_flat_workgroup_size: 256
    .name:           _ZN7rocprim17ROCPRIM_400000_NS6detail17trampoline_kernelINS0_13select_configILj256ELj13ELNS0_17block_load_methodE3ELS4_3ELS4_3ELNS0_20block_scan_algorithmE0ELj4294967295EEENS1_25partition_config_selectorILNS1_17partition_subalgoE4EjNS0_10empty_typeEbEEZZNS1_14partition_implILS8_4ELb0ES6_15HIP_vector_typeIjLj2EENS0_17counting_iteratorIjlEEPS9_SG_NS0_5tupleIJPjSI_NS0_16reverse_iteratorISI_EEEEENSH_IJSG_SG_SG_EEES9_SI_JZNS1_25segmented_radix_sort_implINS0_14default_configELb1EPK12hip_bfloat16PSP_PKlPlN2at6native12_GLOBAL__N_18offset_tEEE10hipError_tPvRmT1_PNSt15iterator_traitsIS13_E10value_typeET2_T3_PNS14_IS19_E10value_typeET4_jRbjT5_S1F_jjP12ihipStream_tbEUljE_ZNSN_ISO_Lb1ESR_SS_SU_SV_SZ_EES10_S11_S12_S13_S17_S18_S19_S1C_S1D_jS1E_jS1F_S1F_jjS1H_bEUljE0_EEES10_S11_S12_S19_S1D_S1F_T6_T7_T9_mT8_S1H_bDpT10_ENKUlT_T0_E_clISt17integral_constantIbLb0EES1U_IbLb1EEEEDaS1Q_S1R_EUlS1Q_E_NS1_11comp_targetILNS1_3genE0ELNS1_11target_archE4294967295ELNS1_3gpuE0ELNS1_3repE0EEENS1_30default_config_static_selectorELNS0_4arch9wavefront6targetE0EEEvS13_
    .private_segment_fixed_size: 0
    .sgpr_count:     57
    .sgpr_spill_count: 0
    .symbol:         _ZN7rocprim17ROCPRIM_400000_NS6detail17trampoline_kernelINS0_13select_configILj256ELj13ELNS0_17block_load_methodE3ELS4_3ELS4_3ELNS0_20block_scan_algorithmE0ELj4294967295EEENS1_25partition_config_selectorILNS1_17partition_subalgoE4EjNS0_10empty_typeEbEEZZNS1_14partition_implILS8_4ELb0ES6_15HIP_vector_typeIjLj2EENS0_17counting_iteratorIjlEEPS9_SG_NS0_5tupleIJPjSI_NS0_16reverse_iteratorISI_EEEEENSH_IJSG_SG_SG_EEES9_SI_JZNS1_25segmented_radix_sort_implINS0_14default_configELb1EPK12hip_bfloat16PSP_PKlPlN2at6native12_GLOBAL__N_18offset_tEEE10hipError_tPvRmT1_PNSt15iterator_traitsIS13_E10value_typeET2_T3_PNS14_IS19_E10value_typeET4_jRbjT5_S1F_jjP12ihipStream_tbEUljE_ZNSN_ISO_Lb1ESR_SS_SU_SV_SZ_EES10_S11_S12_S13_S17_S18_S19_S1C_S1D_jS1E_jS1F_S1F_jjS1H_bEUljE0_EEES10_S11_S12_S19_S1D_S1F_T6_T7_T9_mT8_S1H_bDpT10_ENKUlT_T0_E_clISt17integral_constantIbLb0EES1U_IbLb1EEEEDaS1Q_S1R_EUlS1Q_E_NS1_11comp_targetILNS1_3genE0ELNS1_11target_archE4294967295ELNS1_3gpuE0ELNS1_3repE0EEENS1_30default_config_static_selectorELNS0_4arch9wavefront6targetE0EEEvS13_.kd
    .uniform_work_group_size: 1
    .uses_dynamic_stack: false
    .vgpr_count:     86
    .vgpr_spill_count: 0
    .wavefront_size: 32
  - .args:
      - .offset:         0
        .size:           184
        .value_kind:     by_value
    .group_segment_fixed_size: 0
    .kernarg_segment_align: 8
    .kernarg_segment_size: 184
    .language:       OpenCL C
    .language_version:
      - 2
      - 0
    .max_flat_workgroup_size: 256
    .name:           _ZN7rocprim17ROCPRIM_400000_NS6detail17trampoline_kernelINS0_13select_configILj256ELj13ELNS0_17block_load_methodE3ELS4_3ELS4_3ELNS0_20block_scan_algorithmE0ELj4294967295EEENS1_25partition_config_selectorILNS1_17partition_subalgoE4EjNS0_10empty_typeEbEEZZNS1_14partition_implILS8_4ELb0ES6_15HIP_vector_typeIjLj2EENS0_17counting_iteratorIjlEEPS9_SG_NS0_5tupleIJPjSI_NS0_16reverse_iteratorISI_EEEEENSH_IJSG_SG_SG_EEES9_SI_JZNS1_25segmented_radix_sort_implINS0_14default_configELb1EPK12hip_bfloat16PSP_PKlPlN2at6native12_GLOBAL__N_18offset_tEEE10hipError_tPvRmT1_PNSt15iterator_traitsIS13_E10value_typeET2_T3_PNS14_IS19_E10value_typeET4_jRbjT5_S1F_jjP12ihipStream_tbEUljE_ZNSN_ISO_Lb1ESR_SS_SU_SV_SZ_EES10_S11_S12_S13_S17_S18_S19_S1C_S1D_jS1E_jS1F_S1F_jjS1H_bEUljE0_EEES10_S11_S12_S19_S1D_S1F_T6_T7_T9_mT8_S1H_bDpT10_ENKUlT_T0_E_clISt17integral_constantIbLb0EES1U_IbLb1EEEEDaS1Q_S1R_EUlS1Q_E_NS1_11comp_targetILNS1_3genE5ELNS1_11target_archE942ELNS1_3gpuE9ELNS1_3repE0EEENS1_30default_config_static_selectorELNS0_4arch9wavefront6targetE0EEEvS13_
    .private_segment_fixed_size: 0
    .sgpr_count:     0
    .sgpr_spill_count: 0
    .symbol:         _ZN7rocprim17ROCPRIM_400000_NS6detail17trampoline_kernelINS0_13select_configILj256ELj13ELNS0_17block_load_methodE3ELS4_3ELS4_3ELNS0_20block_scan_algorithmE0ELj4294967295EEENS1_25partition_config_selectorILNS1_17partition_subalgoE4EjNS0_10empty_typeEbEEZZNS1_14partition_implILS8_4ELb0ES6_15HIP_vector_typeIjLj2EENS0_17counting_iteratorIjlEEPS9_SG_NS0_5tupleIJPjSI_NS0_16reverse_iteratorISI_EEEEENSH_IJSG_SG_SG_EEES9_SI_JZNS1_25segmented_radix_sort_implINS0_14default_configELb1EPK12hip_bfloat16PSP_PKlPlN2at6native12_GLOBAL__N_18offset_tEEE10hipError_tPvRmT1_PNSt15iterator_traitsIS13_E10value_typeET2_T3_PNS14_IS19_E10value_typeET4_jRbjT5_S1F_jjP12ihipStream_tbEUljE_ZNSN_ISO_Lb1ESR_SS_SU_SV_SZ_EES10_S11_S12_S13_S17_S18_S19_S1C_S1D_jS1E_jS1F_S1F_jjS1H_bEUljE0_EEES10_S11_S12_S19_S1D_S1F_T6_T7_T9_mT8_S1H_bDpT10_ENKUlT_T0_E_clISt17integral_constantIbLb0EES1U_IbLb1EEEEDaS1Q_S1R_EUlS1Q_E_NS1_11comp_targetILNS1_3genE5ELNS1_11target_archE942ELNS1_3gpuE9ELNS1_3repE0EEENS1_30default_config_static_selectorELNS0_4arch9wavefront6targetE0EEEvS13_.kd
    .uniform_work_group_size: 1
    .uses_dynamic_stack: false
    .vgpr_count:     0
    .vgpr_spill_count: 0
    .wavefront_size: 32
  - .args:
      - .offset:         0
        .size:           184
        .value_kind:     by_value
    .group_segment_fixed_size: 0
    .kernarg_segment_align: 8
    .kernarg_segment_size: 184
    .language:       OpenCL C
    .language_version:
      - 2
      - 0
    .max_flat_workgroup_size: 256
    .name:           _ZN7rocprim17ROCPRIM_400000_NS6detail17trampoline_kernelINS0_13select_configILj256ELj13ELNS0_17block_load_methodE3ELS4_3ELS4_3ELNS0_20block_scan_algorithmE0ELj4294967295EEENS1_25partition_config_selectorILNS1_17partition_subalgoE4EjNS0_10empty_typeEbEEZZNS1_14partition_implILS8_4ELb0ES6_15HIP_vector_typeIjLj2EENS0_17counting_iteratorIjlEEPS9_SG_NS0_5tupleIJPjSI_NS0_16reverse_iteratorISI_EEEEENSH_IJSG_SG_SG_EEES9_SI_JZNS1_25segmented_radix_sort_implINS0_14default_configELb1EPK12hip_bfloat16PSP_PKlPlN2at6native12_GLOBAL__N_18offset_tEEE10hipError_tPvRmT1_PNSt15iterator_traitsIS13_E10value_typeET2_T3_PNS14_IS19_E10value_typeET4_jRbjT5_S1F_jjP12ihipStream_tbEUljE_ZNSN_ISO_Lb1ESR_SS_SU_SV_SZ_EES10_S11_S12_S13_S17_S18_S19_S1C_S1D_jS1E_jS1F_S1F_jjS1H_bEUljE0_EEES10_S11_S12_S19_S1D_S1F_T6_T7_T9_mT8_S1H_bDpT10_ENKUlT_T0_E_clISt17integral_constantIbLb0EES1U_IbLb1EEEEDaS1Q_S1R_EUlS1Q_E_NS1_11comp_targetILNS1_3genE4ELNS1_11target_archE910ELNS1_3gpuE8ELNS1_3repE0EEENS1_30default_config_static_selectorELNS0_4arch9wavefront6targetE0EEEvS13_
    .private_segment_fixed_size: 0
    .sgpr_count:     0
    .sgpr_spill_count: 0
    .symbol:         _ZN7rocprim17ROCPRIM_400000_NS6detail17trampoline_kernelINS0_13select_configILj256ELj13ELNS0_17block_load_methodE3ELS4_3ELS4_3ELNS0_20block_scan_algorithmE0ELj4294967295EEENS1_25partition_config_selectorILNS1_17partition_subalgoE4EjNS0_10empty_typeEbEEZZNS1_14partition_implILS8_4ELb0ES6_15HIP_vector_typeIjLj2EENS0_17counting_iteratorIjlEEPS9_SG_NS0_5tupleIJPjSI_NS0_16reverse_iteratorISI_EEEEENSH_IJSG_SG_SG_EEES9_SI_JZNS1_25segmented_radix_sort_implINS0_14default_configELb1EPK12hip_bfloat16PSP_PKlPlN2at6native12_GLOBAL__N_18offset_tEEE10hipError_tPvRmT1_PNSt15iterator_traitsIS13_E10value_typeET2_T3_PNS14_IS19_E10value_typeET4_jRbjT5_S1F_jjP12ihipStream_tbEUljE_ZNSN_ISO_Lb1ESR_SS_SU_SV_SZ_EES10_S11_S12_S13_S17_S18_S19_S1C_S1D_jS1E_jS1F_S1F_jjS1H_bEUljE0_EEES10_S11_S12_S19_S1D_S1F_T6_T7_T9_mT8_S1H_bDpT10_ENKUlT_T0_E_clISt17integral_constantIbLb0EES1U_IbLb1EEEEDaS1Q_S1R_EUlS1Q_E_NS1_11comp_targetILNS1_3genE4ELNS1_11target_archE910ELNS1_3gpuE8ELNS1_3repE0EEENS1_30default_config_static_selectorELNS0_4arch9wavefront6targetE0EEEvS13_.kd
    .uniform_work_group_size: 1
    .uses_dynamic_stack: false
    .vgpr_count:     0
    .vgpr_spill_count: 0
    .wavefront_size: 32
  - .args:
      - .offset:         0
        .size:           184
        .value_kind:     by_value
    .group_segment_fixed_size: 0
    .kernarg_segment_align: 8
    .kernarg_segment_size: 184
    .language:       OpenCL C
    .language_version:
      - 2
      - 0
    .max_flat_workgroup_size: 256
    .name:           _ZN7rocprim17ROCPRIM_400000_NS6detail17trampoline_kernelINS0_13select_configILj256ELj13ELNS0_17block_load_methodE3ELS4_3ELS4_3ELNS0_20block_scan_algorithmE0ELj4294967295EEENS1_25partition_config_selectorILNS1_17partition_subalgoE4EjNS0_10empty_typeEbEEZZNS1_14partition_implILS8_4ELb0ES6_15HIP_vector_typeIjLj2EENS0_17counting_iteratorIjlEEPS9_SG_NS0_5tupleIJPjSI_NS0_16reverse_iteratorISI_EEEEENSH_IJSG_SG_SG_EEES9_SI_JZNS1_25segmented_radix_sort_implINS0_14default_configELb1EPK12hip_bfloat16PSP_PKlPlN2at6native12_GLOBAL__N_18offset_tEEE10hipError_tPvRmT1_PNSt15iterator_traitsIS13_E10value_typeET2_T3_PNS14_IS19_E10value_typeET4_jRbjT5_S1F_jjP12ihipStream_tbEUljE_ZNSN_ISO_Lb1ESR_SS_SU_SV_SZ_EES10_S11_S12_S13_S17_S18_S19_S1C_S1D_jS1E_jS1F_S1F_jjS1H_bEUljE0_EEES10_S11_S12_S19_S1D_S1F_T6_T7_T9_mT8_S1H_bDpT10_ENKUlT_T0_E_clISt17integral_constantIbLb0EES1U_IbLb1EEEEDaS1Q_S1R_EUlS1Q_E_NS1_11comp_targetILNS1_3genE3ELNS1_11target_archE908ELNS1_3gpuE7ELNS1_3repE0EEENS1_30default_config_static_selectorELNS0_4arch9wavefront6targetE0EEEvS13_
    .private_segment_fixed_size: 0
    .sgpr_count:     0
    .sgpr_spill_count: 0
    .symbol:         _ZN7rocprim17ROCPRIM_400000_NS6detail17trampoline_kernelINS0_13select_configILj256ELj13ELNS0_17block_load_methodE3ELS4_3ELS4_3ELNS0_20block_scan_algorithmE0ELj4294967295EEENS1_25partition_config_selectorILNS1_17partition_subalgoE4EjNS0_10empty_typeEbEEZZNS1_14partition_implILS8_4ELb0ES6_15HIP_vector_typeIjLj2EENS0_17counting_iteratorIjlEEPS9_SG_NS0_5tupleIJPjSI_NS0_16reverse_iteratorISI_EEEEENSH_IJSG_SG_SG_EEES9_SI_JZNS1_25segmented_radix_sort_implINS0_14default_configELb1EPK12hip_bfloat16PSP_PKlPlN2at6native12_GLOBAL__N_18offset_tEEE10hipError_tPvRmT1_PNSt15iterator_traitsIS13_E10value_typeET2_T3_PNS14_IS19_E10value_typeET4_jRbjT5_S1F_jjP12ihipStream_tbEUljE_ZNSN_ISO_Lb1ESR_SS_SU_SV_SZ_EES10_S11_S12_S13_S17_S18_S19_S1C_S1D_jS1E_jS1F_S1F_jjS1H_bEUljE0_EEES10_S11_S12_S19_S1D_S1F_T6_T7_T9_mT8_S1H_bDpT10_ENKUlT_T0_E_clISt17integral_constantIbLb0EES1U_IbLb1EEEEDaS1Q_S1R_EUlS1Q_E_NS1_11comp_targetILNS1_3genE3ELNS1_11target_archE908ELNS1_3gpuE7ELNS1_3repE0EEENS1_30default_config_static_selectorELNS0_4arch9wavefront6targetE0EEEvS13_.kd
    .uniform_work_group_size: 1
    .uses_dynamic_stack: false
    .vgpr_count:     0
    .vgpr_spill_count: 0
    .wavefront_size: 32
  - .args:
      - .offset:         0
        .size:           184
        .value_kind:     by_value
    .group_segment_fixed_size: 0
    .kernarg_segment_align: 8
    .kernarg_segment_size: 184
    .language:       OpenCL C
    .language_version:
      - 2
      - 0
    .max_flat_workgroup_size: 256
    .name:           _ZN7rocprim17ROCPRIM_400000_NS6detail17trampoline_kernelINS0_13select_configILj256ELj13ELNS0_17block_load_methodE3ELS4_3ELS4_3ELNS0_20block_scan_algorithmE0ELj4294967295EEENS1_25partition_config_selectorILNS1_17partition_subalgoE4EjNS0_10empty_typeEbEEZZNS1_14partition_implILS8_4ELb0ES6_15HIP_vector_typeIjLj2EENS0_17counting_iteratorIjlEEPS9_SG_NS0_5tupleIJPjSI_NS0_16reverse_iteratorISI_EEEEENSH_IJSG_SG_SG_EEES9_SI_JZNS1_25segmented_radix_sort_implINS0_14default_configELb1EPK12hip_bfloat16PSP_PKlPlN2at6native12_GLOBAL__N_18offset_tEEE10hipError_tPvRmT1_PNSt15iterator_traitsIS13_E10value_typeET2_T3_PNS14_IS19_E10value_typeET4_jRbjT5_S1F_jjP12ihipStream_tbEUljE_ZNSN_ISO_Lb1ESR_SS_SU_SV_SZ_EES10_S11_S12_S13_S17_S18_S19_S1C_S1D_jS1E_jS1F_S1F_jjS1H_bEUljE0_EEES10_S11_S12_S19_S1D_S1F_T6_T7_T9_mT8_S1H_bDpT10_ENKUlT_T0_E_clISt17integral_constantIbLb0EES1U_IbLb1EEEEDaS1Q_S1R_EUlS1Q_E_NS1_11comp_targetILNS1_3genE2ELNS1_11target_archE906ELNS1_3gpuE6ELNS1_3repE0EEENS1_30default_config_static_selectorELNS0_4arch9wavefront6targetE0EEEvS13_
    .private_segment_fixed_size: 0
    .sgpr_count:     0
    .sgpr_spill_count: 0
    .symbol:         _ZN7rocprim17ROCPRIM_400000_NS6detail17trampoline_kernelINS0_13select_configILj256ELj13ELNS0_17block_load_methodE3ELS4_3ELS4_3ELNS0_20block_scan_algorithmE0ELj4294967295EEENS1_25partition_config_selectorILNS1_17partition_subalgoE4EjNS0_10empty_typeEbEEZZNS1_14partition_implILS8_4ELb0ES6_15HIP_vector_typeIjLj2EENS0_17counting_iteratorIjlEEPS9_SG_NS0_5tupleIJPjSI_NS0_16reverse_iteratorISI_EEEEENSH_IJSG_SG_SG_EEES9_SI_JZNS1_25segmented_radix_sort_implINS0_14default_configELb1EPK12hip_bfloat16PSP_PKlPlN2at6native12_GLOBAL__N_18offset_tEEE10hipError_tPvRmT1_PNSt15iterator_traitsIS13_E10value_typeET2_T3_PNS14_IS19_E10value_typeET4_jRbjT5_S1F_jjP12ihipStream_tbEUljE_ZNSN_ISO_Lb1ESR_SS_SU_SV_SZ_EES10_S11_S12_S13_S17_S18_S19_S1C_S1D_jS1E_jS1F_S1F_jjS1H_bEUljE0_EEES10_S11_S12_S19_S1D_S1F_T6_T7_T9_mT8_S1H_bDpT10_ENKUlT_T0_E_clISt17integral_constantIbLb0EES1U_IbLb1EEEEDaS1Q_S1R_EUlS1Q_E_NS1_11comp_targetILNS1_3genE2ELNS1_11target_archE906ELNS1_3gpuE6ELNS1_3repE0EEENS1_30default_config_static_selectorELNS0_4arch9wavefront6targetE0EEEvS13_.kd
    .uniform_work_group_size: 1
    .uses_dynamic_stack: false
    .vgpr_count:     0
    .vgpr_spill_count: 0
    .wavefront_size: 32
  - .args:
      - .offset:         0
        .size:           184
        .value_kind:     by_value
    .group_segment_fixed_size: 0
    .kernarg_segment_align: 8
    .kernarg_segment_size: 184
    .language:       OpenCL C
    .language_version:
      - 2
      - 0
    .max_flat_workgroup_size: 256
    .name:           _ZN7rocprim17ROCPRIM_400000_NS6detail17trampoline_kernelINS0_13select_configILj256ELj13ELNS0_17block_load_methodE3ELS4_3ELS4_3ELNS0_20block_scan_algorithmE0ELj4294967295EEENS1_25partition_config_selectorILNS1_17partition_subalgoE4EjNS0_10empty_typeEbEEZZNS1_14partition_implILS8_4ELb0ES6_15HIP_vector_typeIjLj2EENS0_17counting_iteratorIjlEEPS9_SG_NS0_5tupleIJPjSI_NS0_16reverse_iteratorISI_EEEEENSH_IJSG_SG_SG_EEES9_SI_JZNS1_25segmented_radix_sort_implINS0_14default_configELb1EPK12hip_bfloat16PSP_PKlPlN2at6native12_GLOBAL__N_18offset_tEEE10hipError_tPvRmT1_PNSt15iterator_traitsIS13_E10value_typeET2_T3_PNS14_IS19_E10value_typeET4_jRbjT5_S1F_jjP12ihipStream_tbEUljE_ZNSN_ISO_Lb1ESR_SS_SU_SV_SZ_EES10_S11_S12_S13_S17_S18_S19_S1C_S1D_jS1E_jS1F_S1F_jjS1H_bEUljE0_EEES10_S11_S12_S19_S1D_S1F_T6_T7_T9_mT8_S1H_bDpT10_ENKUlT_T0_E_clISt17integral_constantIbLb0EES1U_IbLb1EEEEDaS1Q_S1R_EUlS1Q_E_NS1_11comp_targetILNS1_3genE10ELNS1_11target_archE1200ELNS1_3gpuE4ELNS1_3repE0EEENS1_30default_config_static_selectorELNS0_4arch9wavefront6targetE0EEEvS13_
    .private_segment_fixed_size: 0
    .sgpr_count:     0
    .sgpr_spill_count: 0
    .symbol:         _ZN7rocprim17ROCPRIM_400000_NS6detail17trampoline_kernelINS0_13select_configILj256ELj13ELNS0_17block_load_methodE3ELS4_3ELS4_3ELNS0_20block_scan_algorithmE0ELj4294967295EEENS1_25partition_config_selectorILNS1_17partition_subalgoE4EjNS0_10empty_typeEbEEZZNS1_14partition_implILS8_4ELb0ES6_15HIP_vector_typeIjLj2EENS0_17counting_iteratorIjlEEPS9_SG_NS0_5tupleIJPjSI_NS0_16reverse_iteratorISI_EEEEENSH_IJSG_SG_SG_EEES9_SI_JZNS1_25segmented_radix_sort_implINS0_14default_configELb1EPK12hip_bfloat16PSP_PKlPlN2at6native12_GLOBAL__N_18offset_tEEE10hipError_tPvRmT1_PNSt15iterator_traitsIS13_E10value_typeET2_T3_PNS14_IS19_E10value_typeET4_jRbjT5_S1F_jjP12ihipStream_tbEUljE_ZNSN_ISO_Lb1ESR_SS_SU_SV_SZ_EES10_S11_S12_S13_S17_S18_S19_S1C_S1D_jS1E_jS1F_S1F_jjS1H_bEUljE0_EEES10_S11_S12_S19_S1D_S1F_T6_T7_T9_mT8_S1H_bDpT10_ENKUlT_T0_E_clISt17integral_constantIbLb0EES1U_IbLb1EEEEDaS1Q_S1R_EUlS1Q_E_NS1_11comp_targetILNS1_3genE10ELNS1_11target_archE1200ELNS1_3gpuE4ELNS1_3repE0EEENS1_30default_config_static_selectorELNS0_4arch9wavefront6targetE0EEEvS13_.kd
    .uniform_work_group_size: 1
    .uses_dynamic_stack: false
    .vgpr_count:     0
    .vgpr_spill_count: 0
    .wavefront_size: 32
  - .args:
      - .offset:         0
        .size:           184
        .value_kind:     by_value
    .group_segment_fixed_size: 0
    .kernarg_segment_align: 8
    .kernarg_segment_size: 184
    .language:       OpenCL C
    .language_version:
      - 2
      - 0
    .max_flat_workgroup_size: 256
    .name:           _ZN7rocprim17ROCPRIM_400000_NS6detail17trampoline_kernelINS0_13select_configILj256ELj13ELNS0_17block_load_methodE3ELS4_3ELS4_3ELNS0_20block_scan_algorithmE0ELj4294967295EEENS1_25partition_config_selectorILNS1_17partition_subalgoE4EjNS0_10empty_typeEbEEZZNS1_14partition_implILS8_4ELb0ES6_15HIP_vector_typeIjLj2EENS0_17counting_iteratorIjlEEPS9_SG_NS0_5tupleIJPjSI_NS0_16reverse_iteratorISI_EEEEENSH_IJSG_SG_SG_EEES9_SI_JZNS1_25segmented_radix_sort_implINS0_14default_configELb1EPK12hip_bfloat16PSP_PKlPlN2at6native12_GLOBAL__N_18offset_tEEE10hipError_tPvRmT1_PNSt15iterator_traitsIS13_E10value_typeET2_T3_PNS14_IS19_E10value_typeET4_jRbjT5_S1F_jjP12ihipStream_tbEUljE_ZNSN_ISO_Lb1ESR_SS_SU_SV_SZ_EES10_S11_S12_S13_S17_S18_S19_S1C_S1D_jS1E_jS1F_S1F_jjS1H_bEUljE0_EEES10_S11_S12_S19_S1D_S1F_T6_T7_T9_mT8_S1H_bDpT10_ENKUlT_T0_E_clISt17integral_constantIbLb0EES1U_IbLb1EEEEDaS1Q_S1R_EUlS1Q_E_NS1_11comp_targetILNS1_3genE9ELNS1_11target_archE1100ELNS1_3gpuE3ELNS1_3repE0EEENS1_30default_config_static_selectorELNS0_4arch9wavefront6targetE0EEEvS13_
    .private_segment_fixed_size: 0
    .sgpr_count:     0
    .sgpr_spill_count: 0
    .symbol:         _ZN7rocprim17ROCPRIM_400000_NS6detail17trampoline_kernelINS0_13select_configILj256ELj13ELNS0_17block_load_methodE3ELS4_3ELS4_3ELNS0_20block_scan_algorithmE0ELj4294967295EEENS1_25partition_config_selectorILNS1_17partition_subalgoE4EjNS0_10empty_typeEbEEZZNS1_14partition_implILS8_4ELb0ES6_15HIP_vector_typeIjLj2EENS0_17counting_iteratorIjlEEPS9_SG_NS0_5tupleIJPjSI_NS0_16reverse_iteratorISI_EEEEENSH_IJSG_SG_SG_EEES9_SI_JZNS1_25segmented_radix_sort_implINS0_14default_configELb1EPK12hip_bfloat16PSP_PKlPlN2at6native12_GLOBAL__N_18offset_tEEE10hipError_tPvRmT1_PNSt15iterator_traitsIS13_E10value_typeET2_T3_PNS14_IS19_E10value_typeET4_jRbjT5_S1F_jjP12ihipStream_tbEUljE_ZNSN_ISO_Lb1ESR_SS_SU_SV_SZ_EES10_S11_S12_S13_S17_S18_S19_S1C_S1D_jS1E_jS1F_S1F_jjS1H_bEUljE0_EEES10_S11_S12_S19_S1D_S1F_T6_T7_T9_mT8_S1H_bDpT10_ENKUlT_T0_E_clISt17integral_constantIbLb0EES1U_IbLb1EEEEDaS1Q_S1R_EUlS1Q_E_NS1_11comp_targetILNS1_3genE9ELNS1_11target_archE1100ELNS1_3gpuE3ELNS1_3repE0EEENS1_30default_config_static_selectorELNS0_4arch9wavefront6targetE0EEEvS13_.kd
    .uniform_work_group_size: 1
    .uses_dynamic_stack: false
    .vgpr_count:     0
    .vgpr_spill_count: 0
    .wavefront_size: 32
  - .args:
      - .offset:         0
        .size:           184
        .value_kind:     by_value
    .group_segment_fixed_size: 0
    .kernarg_segment_align: 8
    .kernarg_segment_size: 184
    .language:       OpenCL C
    .language_version:
      - 2
      - 0
    .max_flat_workgroup_size: 256
    .name:           _ZN7rocprim17ROCPRIM_400000_NS6detail17trampoline_kernelINS0_13select_configILj256ELj13ELNS0_17block_load_methodE3ELS4_3ELS4_3ELNS0_20block_scan_algorithmE0ELj4294967295EEENS1_25partition_config_selectorILNS1_17partition_subalgoE4EjNS0_10empty_typeEbEEZZNS1_14partition_implILS8_4ELb0ES6_15HIP_vector_typeIjLj2EENS0_17counting_iteratorIjlEEPS9_SG_NS0_5tupleIJPjSI_NS0_16reverse_iteratorISI_EEEEENSH_IJSG_SG_SG_EEES9_SI_JZNS1_25segmented_radix_sort_implINS0_14default_configELb1EPK12hip_bfloat16PSP_PKlPlN2at6native12_GLOBAL__N_18offset_tEEE10hipError_tPvRmT1_PNSt15iterator_traitsIS13_E10value_typeET2_T3_PNS14_IS19_E10value_typeET4_jRbjT5_S1F_jjP12ihipStream_tbEUljE_ZNSN_ISO_Lb1ESR_SS_SU_SV_SZ_EES10_S11_S12_S13_S17_S18_S19_S1C_S1D_jS1E_jS1F_S1F_jjS1H_bEUljE0_EEES10_S11_S12_S19_S1D_S1F_T6_T7_T9_mT8_S1H_bDpT10_ENKUlT_T0_E_clISt17integral_constantIbLb0EES1U_IbLb1EEEEDaS1Q_S1R_EUlS1Q_E_NS1_11comp_targetILNS1_3genE8ELNS1_11target_archE1030ELNS1_3gpuE2ELNS1_3repE0EEENS1_30default_config_static_selectorELNS0_4arch9wavefront6targetE0EEEvS13_
    .private_segment_fixed_size: 0
    .sgpr_count:     0
    .sgpr_spill_count: 0
    .symbol:         _ZN7rocprim17ROCPRIM_400000_NS6detail17trampoline_kernelINS0_13select_configILj256ELj13ELNS0_17block_load_methodE3ELS4_3ELS4_3ELNS0_20block_scan_algorithmE0ELj4294967295EEENS1_25partition_config_selectorILNS1_17partition_subalgoE4EjNS0_10empty_typeEbEEZZNS1_14partition_implILS8_4ELb0ES6_15HIP_vector_typeIjLj2EENS0_17counting_iteratorIjlEEPS9_SG_NS0_5tupleIJPjSI_NS0_16reverse_iteratorISI_EEEEENSH_IJSG_SG_SG_EEES9_SI_JZNS1_25segmented_radix_sort_implINS0_14default_configELb1EPK12hip_bfloat16PSP_PKlPlN2at6native12_GLOBAL__N_18offset_tEEE10hipError_tPvRmT1_PNSt15iterator_traitsIS13_E10value_typeET2_T3_PNS14_IS19_E10value_typeET4_jRbjT5_S1F_jjP12ihipStream_tbEUljE_ZNSN_ISO_Lb1ESR_SS_SU_SV_SZ_EES10_S11_S12_S13_S17_S18_S19_S1C_S1D_jS1E_jS1F_S1F_jjS1H_bEUljE0_EEES10_S11_S12_S19_S1D_S1F_T6_T7_T9_mT8_S1H_bDpT10_ENKUlT_T0_E_clISt17integral_constantIbLb0EES1U_IbLb1EEEEDaS1Q_S1R_EUlS1Q_E_NS1_11comp_targetILNS1_3genE8ELNS1_11target_archE1030ELNS1_3gpuE2ELNS1_3repE0EEENS1_30default_config_static_selectorELNS0_4arch9wavefront6targetE0EEEvS13_.kd
    .uniform_work_group_size: 1
    .uses_dynamic_stack: false
    .vgpr_count:     0
    .vgpr_spill_count: 0
    .wavefront_size: 32
  - .args:
      - .offset:         0
        .size:           144
        .value_kind:     by_value
    .group_segment_fixed_size: 13320
    .kernarg_segment_align: 8
    .kernarg_segment_size: 144
    .language:       OpenCL C
    .language_version:
      - 2
      - 0
    .max_flat_workgroup_size: 256
    .name:           _ZN7rocprim17ROCPRIM_400000_NS6detail17trampoline_kernelINS0_13select_configILj256ELj13ELNS0_17block_load_methodE3ELS4_3ELS4_3ELNS0_20block_scan_algorithmE0ELj4294967295EEENS1_25partition_config_selectorILNS1_17partition_subalgoE3EjNS0_10empty_typeEbEEZZNS1_14partition_implILS8_3ELb0ES6_jNS0_17counting_iteratorIjlEEPS9_SE_NS0_5tupleIJPjSE_EEENSF_IJSE_SE_EEES9_SG_JZNS1_25segmented_radix_sort_implINS0_14default_configELb1EPK12hip_bfloat16PSL_PKlPlN2at6native12_GLOBAL__N_18offset_tEEE10hipError_tPvRmT1_PNSt15iterator_traitsISZ_E10value_typeET2_T3_PNS10_IS15_E10value_typeET4_jRbjT5_S1B_jjP12ihipStream_tbEUljE_EEESW_SX_SY_S15_S19_S1B_T6_T7_T9_mT8_S1D_bDpT10_ENKUlT_T0_E_clISt17integral_constantIbLb0EES1Q_EEDaS1L_S1M_EUlS1L_E_NS1_11comp_targetILNS1_3genE0ELNS1_11target_archE4294967295ELNS1_3gpuE0ELNS1_3repE0EEENS1_30default_config_static_selectorELNS0_4arch9wavefront6targetE0EEEvSZ_
    .private_segment_fixed_size: 0
    .sgpr_count:     28
    .sgpr_spill_count: 0
    .symbol:         _ZN7rocprim17ROCPRIM_400000_NS6detail17trampoline_kernelINS0_13select_configILj256ELj13ELNS0_17block_load_methodE3ELS4_3ELS4_3ELNS0_20block_scan_algorithmE0ELj4294967295EEENS1_25partition_config_selectorILNS1_17partition_subalgoE3EjNS0_10empty_typeEbEEZZNS1_14partition_implILS8_3ELb0ES6_jNS0_17counting_iteratorIjlEEPS9_SE_NS0_5tupleIJPjSE_EEENSF_IJSE_SE_EEES9_SG_JZNS1_25segmented_radix_sort_implINS0_14default_configELb1EPK12hip_bfloat16PSL_PKlPlN2at6native12_GLOBAL__N_18offset_tEEE10hipError_tPvRmT1_PNSt15iterator_traitsISZ_E10value_typeET2_T3_PNS10_IS15_E10value_typeET4_jRbjT5_S1B_jjP12ihipStream_tbEUljE_EEESW_SX_SY_S15_S19_S1B_T6_T7_T9_mT8_S1D_bDpT10_ENKUlT_T0_E_clISt17integral_constantIbLb0EES1Q_EEDaS1L_S1M_EUlS1L_E_NS1_11comp_targetILNS1_3genE0ELNS1_11target_archE4294967295ELNS1_3gpuE0ELNS1_3repE0EEENS1_30default_config_static_selectorELNS0_4arch9wavefront6targetE0EEEvSZ_.kd
    .uniform_work_group_size: 1
    .uses_dynamic_stack: false
    .vgpr_count:     69
    .vgpr_spill_count: 0
    .wavefront_size: 32
  - .args:
      - .offset:         0
        .size:           144
        .value_kind:     by_value
    .group_segment_fixed_size: 0
    .kernarg_segment_align: 8
    .kernarg_segment_size: 144
    .language:       OpenCL C
    .language_version:
      - 2
      - 0
    .max_flat_workgroup_size: 256
    .name:           _ZN7rocprim17ROCPRIM_400000_NS6detail17trampoline_kernelINS0_13select_configILj256ELj13ELNS0_17block_load_methodE3ELS4_3ELS4_3ELNS0_20block_scan_algorithmE0ELj4294967295EEENS1_25partition_config_selectorILNS1_17partition_subalgoE3EjNS0_10empty_typeEbEEZZNS1_14partition_implILS8_3ELb0ES6_jNS0_17counting_iteratorIjlEEPS9_SE_NS0_5tupleIJPjSE_EEENSF_IJSE_SE_EEES9_SG_JZNS1_25segmented_radix_sort_implINS0_14default_configELb1EPK12hip_bfloat16PSL_PKlPlN2at6native12_GLOBAL__N_18offset_tEEE10hipError_tPvRmT1_PNSt15iterator_traitsISZ_E10value_typeET2_T3_PNS10_IS15_E10value_typeET4_jRbjT5_S1B_jjP12ihipStream_tbEUljE_EEESW_SX_SY_S15_S19_S1B_T6_T7_T9_mT8_S1D_bDpT10_ENKUlT_T0_E_clISt17integral_constantIbLb0EES1Q_EEDaS1L_S1M_EUlS1L_E_NS1_11comp_targetILNS1_3genE5ELNS1_11target_archE942ELNS1_3gpuE9ELNS1_3repE0EEENS1_30default_config_static_selectorELNS0_4arch9wavefront6targetE0EEEvSZ_
    .private_segment_fixed_size: 0
    .sgpr_count:     0
    .sgpr_spill_count: 0
    .symbol:         _ZN7rocprim17ROCPRIM_400000_NS6detail17trampoline_kernelINS0_13select_configILj256ELj13ELNS0_17block_load_methodE3ELS4_3ELS4_3ELNS0_20block_scan_algorithmE0ELj4294967295EEENS1_25partition_config_selectorILNS1_17partition_subalgoE3EjNS0_10empty_typeEbEEZZNS1_14partition_implILS8_3ELb0ES6_jNS0_17counting_iteratorIjlEEPS9_SE_NS0_5tupleIJPjSE_EEENSF_IJSE_SE_EEES9_SG_JZNS1_25segmented_radix_sort_implINS0_14default_configELb1EPK12hip_bfloat16PSL_PKlPlN2at6native12_GLOBAL__N_18offset_tEEE10hipError_tPvRmT1_PNSt15iterator_traitsISZ_E10value_typeET2_T3_PNS10_IS15_E10value_typeET4_jRbjT5_S1B_jjP12ihipStream_tbEUljE_EEESW_SX_SY_S15_S19_S1B_T6_T7_T9_mT8_S1D_bDpT10_ENKUlT_T0_E_clISt17integral_constantIbLb0EES1Q_EEDaS1L_S1M_EUlS1L_E_NS1_11comp_targetILNS1_3genE5ELNS1_11target_archE942ELNS1_3gpuE9ELNS1_3repE0EEENS1_30default_config_static_selectorELNS0_4arch9wavefront6targetE0EEEvSZ_.kd
    .uniform_work_group_size: 1
    .uses_dynamic_stack: false
    .vgpr_count:     0
    .vgpr_spill_count: 0
    .wavefront_size: 32
  - .args:
      - .offset:         0
        .size:           144
        .value_kind:     by_value
    .group_segment_fixed_size: 0
    .kernarg_segment_align: 8
    .kernarg_segment_size: 144
    .language:       OpenCL C
    .language_version:
      - 2
      - 0
    .max_flat_workgroup_size: 256
    .name:           _ZN7rocprim17ROCPRIM_400000_NS6detail17trampoline_kernelINS0_13select_configILj256ELj13ELNS0_17block_load_methodE3ELS4_3ELS4_3ELNS0_20block_scan_algorithmE0ELj4294967295EEENS1_25partition_config_selectorILNS1_17partition_subalgoE3EjNS0_10empty_typeEbEEZZNS1_14partition_implILS8_3ELb0ES6_jNS0_17counting_iteratorIjlEEPS9_SE_NS0_5tupleIJPjSE_EEENSF_IJSE_SE_EEES9_SG_JZNS1_25segmented_radix_sort_implINS0_14default_configELb1EPK12hip_bfloat16PSL_PKlPlN2at6native12_GLOBAL__N_18offset_tEEE10hipError_tPvRmT1_PNSt15iterator_traitsISZ_E10value_typeET2_T3_PNS10_IS15_E10value_typeET4_jRbjT5_S1B_jjP12ihipStream_tbEUljE_EEESW_SX_SY_S15_S19_S1B_T6_T7_T9_mT8_S1D_bDpT10_ENKUlT_T0_E_clISt17integral_constantIbLb0EES1Q_EEDaS1L_S1M_EUlS1L_E_NS1_11comp_targetILNS1_3genE4ELNS1_11target_archE910ELNS1_3gpuE8ELNS1_3repE0EEENS1_30default_config_static_selectorELNS0_4arch9wavefront6targetE0EEEvSZ_
    .private_segment_fixed_size: 0
    .sgpr_count:     0
    .sgpr_spill_count: 0
    .symbol:         _ZN7rocprim17ROCPRIM_400000_NS6detail17trampoline_kernelINS0_13select_configILj256ELj13ELNS0_17block_load_methodE3ELS4_3ELS4_3ELNS0_20block_scan_algorithmE0ELj4294967295EEENS1_25partition_config_selectorILNS1_17partition_subalgoE3EjNS0_10empty_typeEbEEZZNS1_14partition_implILS8_3ELb0ES6_jNS0_17counting_iteratorIjlEEPS9_SE_NS0_5tupleIJPjSE_EEENSF_IJSE_SE_EEES9_SG_JZNS1_25segmented_radix_sort_implINS0_14default_configELb1EPK12hip_bfloat16PSL_PKlPlN2at6native12_GLOBAL__N_18offset_tEEE10hipError_tPvRmT1_PNSt15iterator_traitsISZ_E10value_typeET2_T3_PNS10_IS15_E10value_typeET4_jRbjT5_S1B_jjP12ihipStream_tbEUljE_EEESW_SX_SY_S15_S19_S1B_T6_T7_T9_mT8_S1D_bDpT10_ENKUlT_T0_E_clISt17integral_constantIbLb0EES1Q_EEDaS1L_S1M_EUlS1L_E_NS1_11comp_targetILNS1_3genE4ELNS1_11target_archE910ELNS1_3gpuE8ELNS1_3repE0EEENS1_30default_config_static_selectorELNS0_4arch9wavefront6targetE0EEEvSZ_.kd
    .uniform_work_group_size: 1
    .uses_dynamic_stack: false
    .vgpr_count:     0
    .vgpr_spill_count: 0
    .wavefront_size: 32
  - .args:
      - .offset:         0
        .size:           144
        .value_kind:     by_value
    .group_segment_fixed_size: 0
    .kernarg_segment_align: 8
    .kernarg_segment_size: 144
    .language:       OpenCL C
    .language_version:
      - 2
      - 0
    .max_flat_workgroup_size: 256
    .name:           _ZN7rocprim17ROCPRIM_400000_NS6detail17trampoline_kernelINS0_13select_configILj256ELj13ELNS0_17block_load_methodE3ELS4_3ELS4_3ELNS0_20block_scan_algorithmE0ELj4294967295EEENS1_25partition_config_selectorILNS1_17partition_subalgoE3EjNS0_10empty_typeEbEEZZNS1_14partition_implILS8_3ELb0ES6_jNS0_17counting_iteratorIjlEEPS9_SE_NS0_5tupleIJPjSE_EEENSF_IJSE_SE_EEES9_SG_JZNS1_25segmented_radix_sort_implINS0_14default_configELb1EPK12hip_bfloat16PSL_PKlPlN2at6native12_GLOBAL__N_18offset_tEEE10hipError_tPvRmT1_PNSt15iterator_traitsISZ_E10value_typeET2_T3_PNS10_IS15_E10value_typeET4_jRbjT5_S1B_jjP12ihipStream_tbEUljE_EEESW_SX_SY_S15_S19_S1B_T6_T7_T9_mT8_S1D_bDpT10_ENKUlT_T0_E_clISt17integral_constantIbLb0EES1Q_EEDaS1L_S1M_EUlS1L_E_NS1_11comp_targetILNS1_3genE3ELNS1_11target_archE908ELNS1_3gpuE7ELNS1_3repE0EEENS1_30default_config_static_selectorELNS0_4arch9wavefront6targetE0EEEvSZ_
    .private_segment_fixed_size: 0
    .sgpr_count:     0
    .sgpr_spill_count: 0
    .symbol:         _ZN7rocprim17ROCPRIM_400000_NS6detail17trampoline_kernelINS0_13select_configILj256ELj13ELNS0_17block_load_methodE3ELS4_3ELS4_3ELNS0_20block_scan_algorithmE0ELj4294967295EEENS1_25partition_config_selectorILNS1_17partition_subalgoE3EjNS0_10empty_typeEbEEZZNS1_14partition_implILS8_3ELb0ES6_jNS0_17counting_iteratorIjlEEPS9_SE_NS0_5tupleIJPjSE_EEENSF_IJSE_SE_EEES9_SG_JZNS1_25segmented_radix_sort_implINS0_14default_configELb1EPK12hip_bfloat16PSL_PKlPlN2at6native12_GLOBAL__N_18offset_tEEE10hipError_tPvRmT1_PNSt15iterator_traitsISZ_E10value_typeET2_T3_PNS10_IS15_E10value_typeET4_jRbjT5_S1B_jjP12ihipStream_tbEUljE_EEESW_SX_SY_S15_S19_S1B_T6_T7_T9_mT8_S1D_bDpT10_ENKUlT_T0_E_clISt17integral_constantIbLb0EES1Q_EEDaS1L_S1M_EUlS1L_E_NS1_11comp_targetILNS1_3genE3ELNS1_11target_archE908ELNS1_3gpuE7ELNS1_3repE0EEENS1_30default_config_static_selectorELNS0_4arch9wavefront6targetE0EEEvSZ_.kd
    .uniform_work_group_size: 1
    .uses_dynamic_stack: false
    .vgpr_count:     0
    .vgpr_spill_count: 0
    .wavefront_size: 32
  - .args:
      - .offset:         0
        .size:           144
        .value_kind:     by_value
    .group_segment_fixed_size: 0
    .kernarg_segment_align: 8
    .kernarg_segment_size: 144
    .language:       OpenCL C
    .language_version:
      - 2
      - 0
    .max_flat_workgroup_size: 256
    .name:           _ZN7rocprim17ROCPRIM_400000_NS6detail17trampoline_kernelINS0_13select_configILj256ELj13ELNS0_17block_load_methodE3ELS4_3ELS4_3ELNS0_20block_scan_algorithmE0ELj4294967295EEENS1_25partition_config_selectorILNS1_17partition_subalgoE3EjNS0_10empty_typeEbEEZZNS1_14partition_implILS8_3ELb0ES6_jNS0_17counting_iteratorIjlEEPS9_SE_NS0_5tupleIJPjSE_EEENSF_IJSE_SE_EEES9_SG_JZNS1_25segmented_radix_sort_implINS0_14default_configELb1EPK12hip_bfloat16PSL_PKlPlN2at6native12_GLOBAL__N_18offset_tEEE10hipError_tPvRmT1_PNSt15iterator_traitsISZ_E10value_typeET2_T3_PNS10_IS15_E10value_typeET4_jRbjT5_S1B_jjP12ihipStream_tbEUljE_EEESW_SX_SY_S15_S19_S1B_T6_T7_T9_mT8_S1D_bDpT10_ENKUlT_T0_E_clISt17integral_constantIbLb0EES1Q_EEDaS1L_S1M_EUlS1L_E_NS1_11comp_targetILNS1_3genE2ELNS1_11target_archE906ELNS1_3gpuE6ELNS1_3repE0EEENS1_30default_config_static_selectorELNS0_4arch9wavefront6targetE0EEEvSZ_
    .private_segment_fixed_size: 0
    .sgpr_count:     0
    .sgpr_spill_count: 0
    .symbol:         _ZN7rocprim17ROCPRIM_400000_NS6detail17trampoline_kernelINS0_13select_configILj256ELj13ELNS0_17block_load_methodE3ELS4_3ELS4_3ELNS0_20block_scan_algorithmE0ELj4294967295EEENS1_25partition_config_selectorILNS1_17partition_subalgoE3EjNS0_10empty_typeEbEEZZNS1_14partition_implILS8_3ELb0ES6_jNS0_17counting_iteratorIjlEEPS9_SE_NS0_5tupleIJPjSE_EEENSF_IJSE_SE_EEES9_SG_JZNS1_25segmented_radix_sort_implINS0_14default_configELb1EPK12hip_bfloat16PSL_PKlPlN2at6native12_GLOBAL__N_18offset_tEEE10hipError_tPvRmT1_PNSt15iterator_traitsISZ_E10value_typeET2_T3_PNS10_IS15_E10value_typeET4_jRbjT5_S1B_jjP12ihipStream_tbEUljE_EEESW_SX_SY_S15_S19_S1B_T6_T7_T9_mT8_S1D_bDpT10_ENKUlT_T0_E_clISt17integral_constantIbLb0EES1Q_EEDaS1L_S1M_EUlS1L_E_NS1_11comp_targetILNS1_3genE2ELNS1_11target_archE906ELNS1_3gpuE6ELNS1_3repE0EEENS1_30default_config_static_selectorELNS0_4arch9wavefront6targetE0EEEvSZ_.kd
    .uniform_work_group_size: 1
    .uses_dynamic_stack: false
    .vgpr_count:     0
    .vgpr_spill_count: 0
    .wavefront_size: 32
  - .args:
      - .offset:         0
        .size:           144
        .value_kind:     by_value
    .group_segment_fixed_size: 0
    .kernarg_segment_align: 8
    .kernarg_segment_size: 144
    .language:       OpenCL C
    .language_version:
      - 2
      - 0
    .max_flat_workgroup_size: 256
    .name:           _ZN7rocprim17ROCPRIM_400000_NS6detail17trampoline_kernelINS0_13select_configILj256ELj13ELNS0_17block_load_methodE3ELS4_3ELS4_3ELNS0_20block_scan_algorithmE0ELj4294967295EEENS1_25partition_config_selectorILNS1_17partition_subalgoE3EjNS0_10empty_typeEbEEZZNS1_14partition_implILS8_3ELb0ES6_jNS0_17counting_iteratorIjlEEPS9_SE_NS0_5tupleIJPjSE_EEENSF_IJSE_SE_EEES9_SG_JZNS1_25segmented_radix_sort_implINS0_14default_configELb1EPK12hip_bfloat16PSL_PKlPlN2at6native12_GLOBAL__N_18offset_tEEE10hipError_tPvRmT1_PNSt15iterator_traitsISZ_E10value_typeET2_T3_PNS10_IS15_E10value_typeET4_jRbjT5_S1B_jjP12ihipStream_tbEUljE_EEESW_SX_SY_S15_S19_S1B_T6_T7_T9_mT8_S1D_bDpT10_ENKUlT_T0_E_clISt17integral_constantIbLb0EES1Q_EEDaS1L_S1M_EUlS1L_E_NS1_11comp_targetILNS1_3genE10ELNS1_11target_archE1200ELNS1_3gpuE4ELNS1_3repE0EEENS1_30default_config_static_selectorELNS0_4arch9wavefront6targetE0EEEvSZ_
    .private_segment_fixed_size: 0
    .sgpr_count:     0
    .sgpr_spill_count: 0
    .symbol:         _ZN7rocprim17ROCPRIM_400000_NS6detail17trampoline_kernelINS0_13select_configILj256ELj13ELNS0_17block_load_methodE3ELS4_3ELS4_3ELNS0_20block_scan_algorithmE0ELj4294967295EEENS1_25partition_config_selectorILNS1_17partition_subalgoE3EjNS0_10empty_typeEbEEZZNS1_14partition_implILS8_3ELb0ES6_jNS0_17counting_iteratorIjlEEPS9_SE_NS0_5tupleIJPjSE_EEENSF_IJSE_SE_EEES9_SG_JZNS1_25segmented_radix_sort_implINS0_14default_configELb1EPK12hip_bfloat16PSL_PKlPlN2at6native12_GLOBAL__N_18offset_tEEE10hipError_tPvRmT1_PNSt15iterator_traitsISZ_E10value_typeET2_T3_PNS10_IS15_E10value_typeET4_jRbjT5_S1B_jjP12ihipStream_tbEUljE_EEESW_SX_SY_S15_S19_S1B_T6_T7_T9_mT8_S1D_bDpT10_ENKUlT_T0_E_clISt17integral_constantIbLb0EES1Q_EEDaS1L_S1M_EUlS1L_E_NS1_11comp_targetILNS1_3genE10ELNS1_11target_archE1200ELNS1_3gpuE4ELNS1_3repE0EEENS1_30default_config_static_selectorELNS0_4arch9wavefront6targetE0EEEvSZ_.kd
    .uniform_work_group_size: 1
    .uses_dynamic_stack: false
    .vgpr_count:     0
    .vgpr_spill_count: 0
    .wavefront_size: 32
  - .args:
      - .offset:         0
        .size:           144
        .value_kind:     by_value
    .group_segment_fixed_size: 0
    .kernarg_segment_align: 8
    .kernarg_segment_size: 144
    .language:       OpenCL C
    .language_version:
      - 2
      - 0
    .max_flat_workgroup_size: 256
    .name:           _ZN7rocprim17ROCPRIM_400000_NS6detail17trampoline_kernelINS0_13select_configILj256ELj13ELNS0_17block_load_methodE3ELS4_3ELS4_3ELNS0_20block_scan_algorithmE0ELj4294967295EEENS1_25partition_config_selectorILNS1_17partition_subalgoE3EjNS0_10empty_typeEbEEZZNS1_14partition_implILS8_3ELb0ES6_jNS0_17counting_iteratorIjlEEPS9_SE_NS0_5tupleIJPjSE_EEENSF_IJSE_SE_EEES9_SG_JZNS1_25segmented_radix_sort_implINS0_14default_configELb1EPK12hip_bfloat16PSL_PKlPlN2at6native12_GLOBAL__N_18offset_tEEE10hipError_tPvRmT1_PNSt15iterator_traitsISZ_E10value_typeET2_T3_PNS10_IS15_E10value_typeET4_jRbjT5_S1B_jjP12ihipStream_tbEUljE_EEESW_SX_SY_S15_S19_S1B_T6_T7_T9_mT8_S1D_bDpT10_ENKUlT_T0_E_clISt17integral_constantIbLb0EES1Q_EEDaS1L_S1M_EUlS1L_E_NS1_11comp_targetILNS1_3genE9ELNS1_11target_archE1100ELNS1_3gpuE3ELNS1_3repE0EEENS1_30default_config_static_selectorELNS0_4arch9wavefront6targetE0EEEvSZ_
    .private_segment_fixed_size: 0
    .sgpr_count:     0
    .sgpr_spill_count: 0
    .symbol:         _ZN7rocprim17ROCPRIM_400000_NS6detail17trampoline_kernelINS0_13select_configILj256ELj13ELNS0_17block_load_methodE3ELS4_3ELS4_3ELNS0_20block_scan_algorithmE0ELj4294967295EEENS1_25partition_config_selectorILNS1_17partition_subalgoE3EjNS0_10empty_typeEbEEZZNS1_14partition_implILS8_3ELb0ES6_jNS0_17counting_iteratorIjlEEPS9_SE_NS0_5tupleIJPjSE_EEENSF_IJSE_SE_EEES9_SG_JZNS1_25segmented_radix_sort_implINS0_14default_configELb1EPK12hip_bfloat16PSL_PKlPlN2at6native12_GLOBAL__N_18offset_tEEE10hipError_tPvRmT1_PNSt15iterator_traitsISZ_E10value_typeET2_T3_PNS10_IS15_E10value_typeET4_jRbjT5_S1B_jjP12ihipStream_tbEUljE_EEESW_SX_SY_S15_S19_S1B_T6_T7_T9_mT8_S1D_bDpT10_ENKUlT_T0_E_clISt17integral_constantIbLb0EES1Q_EEDaS1L_S1M_EUlS1L_E_NS1_11comp_targetILNS1_3genE9ELNS1_11target_archE1100ELNS1_3gpuE3ELNS1_3repE0EEENS1_30default_config_static_selectorELNS0_4arch9wavefront6targetE0EEEvSZ_.kd
    .uniform_work_group_size: 1
    .uses_dynamic_stack: false
    .vgpr_count:     0
    .vgpr_spill_count: 0
    .wavefront_size: 32
  - .args:
      - .offset:         0
        .size:           144
        .value_kind:     by_value
    .group_segment_fixed_size: 0
    .kernarg_segment_align: 8
    .kernarg_segment_size: 144
    .language:       OpenCL C
    .language_version:
      - 2
      - 0
    .max_flat_workgroup_size: 256
    .name:           _ZN7rocprim17ROCPRIM_400000_NS6detail17trampoline_kernelINS0_13select_configILj256ELj13ELNS0_17block_load_methodE3ELS4_3ELS4_3ELNS0_20block_scan_algorithmE0ELj4294967295EEENS1_25partition_config_selectorILNS1_17partition_subalgoE3EjNS0_10empty_typeEbEEZZNS1_14partition_implILS8_3ELb0ES6_jNS0_17counting_iteratorIjlEEPS9_SE_NS0_5tupleIJPjSE_EEENSF_IJSE_SE_EEES9_SG_JZNS1_25segmented_radix_sort_implINS0_14default_configELb1EPK12hip_bfloat16PSL_PKlPlN2at6native12_GLOBAL__N_18offset_tEEE10hipError_tPvRmT1_PNSt15iterator_traitsISZ_E10value_typeET2_T3_PNS10_IS15_E10value_typeET4_jRbjT5_S1B_jjP12ihipStream_tbEUljE_EEESW_SX_SY_S15_S19_S1B_T6_T7_T9_mT8_S1D_bDpT10_ENKUlT_T0_E_clISt17integral_constantIbLb0EES1Q_EEDaS1L_S1M_EUlS1L_E_NS1_11comp_targetILNS1_3genE8ELNS1_11target_archE1030ELNS1_3gpuE2ELNS1_3repE0EEENS1_30default_config_static_selectorELNS0_4arch9wavefront6targetE0EEEvSZ_
    .private_segment_fixed_size: 0
    .sgpr_count:     0
    .sgpr_spill_count: 0
    .symbol:         _ZN7rocprim17ROCPRIM_400000_NS6detail17trampoline_kernelINS0_13select_configILj256ELj13ELNS0_17block_load_methodE3ELS4_3ELS4_3ELNS0_20block_scan_algorithmE0ELj4294967295EEENS1_25partition_config_selectorILNS1_17partition_subalgoE3EjNS0_10empty_typeEbEEZZNS1_14partition_implILS8_3ELb0ES6_jNS0_17counting_iteratorIjlEEPS9_SE_NS0_5tupleIJPjSE_EEENSF_IJSE_SE_EEES9_SG_JZNS1_25segmented_radix_sort_implINS0_14default_configELb1EPK12hip_bfloat16PSL_PKlPlN2at6native12_GLOBAL__N_18offset_tEEE10hipError_tPvRmT1_PNSt15iterator_traitsISZ_E10value_typeET2_T3_PNS10_IS15_E10value_typeET4_jRbjT5_S1B_jjP12ihipStream_tbEUljE_EEESW_SX_SY_S15_S19_S1B_T6_T7_T9_mT8_S1D_bDpT10_ENKUlT_T0_E_clISt17integral_constantIbLb0EES1Q_EEDaS1L_S1M_EUlS1L_E_NS1_11comp_targetILNS1_3genE8ELNS1_11target_archE1030ELNS1_3gpuE2ELNS1_3repE0EEENS1_30default_config_static_selectorELNS0_4arch9wavefront6targetE0EEEvSZ_.kd
    .uniform_work_group_size: 1
    .uses_dynamic_stack: false
    .vgpr_count:     0
    .vgpr_spill_count: 0
    .wavefront_size: 32
  - .args:
      - .offset:         0
        .size:           152
        .value_kind:     by_value
    .group_segment_fixed_size: 0
    .kernarg_segment_align: 8
    .kernarg_segment_size: 152
    .language:       OpenCL C
    .language_version:
      - 2
      - 0
    .max_flat_workgroup_size: 256
    .name:           _ZN7rocprim17ROCPRIM_400000_NS6detail17trampoline_kernelINS0_13select_configILj256ELj13ELNS0_17block_load_methodE3ELS4_3ELS4_3ELNS0_20block_scan_algorithmE0ELj4294967295EEENS1_25partition_config_selectorILNS1_17partition_subalgoE3EjNS0_10empty_typeEbEEZZNS1_14partition_implILS8_3ELb0ES6_jNS0_17counting_iteratorIjlEEPS9_SE_NS0_5tupleIJPjSE_EEENSF_IJSE_SE_EEES9_SG_JZNS1_25segmented_radix_sort_implINS0_14default_configELb1EPK12hip_bfloat16PSL_PKlPlN2at6native12_GLOBAL__N_18offset_tEEE10hipError_tPvRmT1_PNSt15iterator_traitsISZ_E10value_typeET2_T3_PNS10_IS15_E10value_typeET4_jRbjT5_S1B_jjP12ihipStream_tbEUljE_EEESW_SX_SY_S15_S19_S1B_T6_T7_T9_mT8_S1D_bDpT10_ENKUlT_T0_E_clISt17integral_constantIbLb1EES1Q_EEDaS1L_S1M_EUlS1L_E_NS1_11comp_targetILNS1_3genE0ELNS1_11target_archE4294967295ELNS1_3gpuE0ELNS1_3repE0EEENS1_30default_config_static_selectorELNS0_4arch9wavefront6targetE0EEEvSZ_
    .private_segment_fixed_size: 0
    .sgpr_count:     0
    .sgpr_spill_count: 0
    .symbol:         _ZN7rocprim17ROCPRIM_400000_NS6detail17trampoline_kernelINS0_13select_configILj256ELj13ELNS0_17block_load_methodE3ELS4_3ELS4_3ELNS0_20block_scan_algorithmE0ELj4294967295EEENS1_25partition_config_selectorILNS1_17partition_subalgoE3EjNS0_10empty_typeEbEEZZNS1_14partition_implILS8_3ELb0ES6_jNS0_17counting_iteratorIjlEEPS9_SE_NS0_5tupleIJPjSE_EEENSF_IJSE_SE_EEES9_SG_JZNS1_25segmented_radix_sort_implINS0_14default_configELb1EPK12hip_bfloat16PSL_PKlPlN2at6native12_GLOBAL__N_18offset_tEEE10hipError_tPvRmT1_PNSt15iterator_traitsISZ_E10value_typeET2_T3_PNS10_IS15_E10value_typeET4_jRbjT5_S1B_jjP12ihipStream_tbEUljE_EEESW_SX_SY_S15_S19_S1B_T6_T7_T9_mT8_S1D_bDpT10_ENKUlT_T0_E_clISt17integral_constantIbLb1EES1Q_EEDaS1L_S1M_EUlS1L_E_NS1_11comp_targetILNS1_3genE0ELNS1_11target_archE4294967295ELNS1_3gpuE0ELNS1_3repE0EEENS1_30default_config_static_selectorELNS0_4arch9wavefront6targetE0EEEvSZ_.kd
    .uniform_work_group_size: 1
    .uses_dynamic_stack: false
    .vgpr_count:     0
    .vgpr_spill_count: 0
    .wavefront_size: 32
  - .args:
      - .offset:         0
        .size:           152
        .value_kind:     by_value
    .group_segment_fixed_size: 0
    .kernarg_segment_align: 8
    .kernarg_segment_size: 152
    .language:       OpenCL C
    .language_version:
      - 2
      - 0
    .max_flat_workgroup_size: 256
    .name:           _ZN7rocprim17ROCPRIM_400000_NS6detail17trampoline_kernelINS0_13select_configILj256ELj13ELNS0_17block_load_methodE3ELS4_3ELS4_3ELNS0_20block_scan_algorithmE0ELj4294967295EEENS1_25partition_config_selectorILNS1_17partition_subalgoE3EjNS0_10empty_typeEbEEZZNS1_14partition_implILS8_3ELb0ES6_jNS0_17counting_iteratorIjlEEPS9_SE_NS0_5tupleIJPjSE_EEENSF_IJSE_SE_EEES9_SG_JZNS1_25segmented_radix_sort_implINS0_14default_configELb1EPK12hip_bfloat16PSL_PKlPlN2at6native12_GLOBAL__N_18offset_tEEE10hipError_tPvRmT1_PNSt15iterator_traitsISZ_E10value_typeET2_T3_PNS10_IS15_E10value_typeET4_jRbjT5_S1B_jjP12ihipStream_tbEUljE_EEESW_SX_SY_S15_S19_S1B_T6_T7_T9_mT8_S1D_bDpT10_ENKUlT_T0_E_clISt17integral_constantIbLb1EES1Q_EEDaS1L_S1M_EUlS1L_E_NS1_11comp_targetILNS1_3genE5ELNS1_11target_archE942ELNS1_3gpuE9ELNS1_3repE0EEENS1_30default_config_static_selectorELNS0_4arch9wavefront6targetE0EEEvSZ_
    .private_segment_fixed_size: 0
    .sgpr_count:     0
    .sgpr_spill_count: 0
    .symbol:         _ZN7rocprim17ROCPRIM_400000_NS6detail17trampoline_kernelINS0_13select_configILj256ELj13ELNS0_17block_load_methodE3ELS4_3ELS4_3ELNS0_20block_scan_algorithmE0ELj4294967295EEENS1_25partition_config_selectorILNS1_17partition_subalgoE3EjNS0_10empty_typeEbEEZZNS1_14partition_implILS8_3ELb0ES6_jNS0_17counting_iteratorIjlEEPS9_SE_NS0_5tupleIJPjSE_EEENSF_IJSE_SE_EEES9_SG_JZNS1_25segmented_radix_sort_implINS0_14default_configELb1EPK12hip_bfloat16PSL_PKlPlN2at6native12_GLOBAL__N_18offset_tEEE10hipError_tPvRmT1_PNSt15iterator_traitsISZ_E10value_typeET2_T3_PNS10_IS15_E10value_typeET4_jRbjT5_S1B_jjP12ihipStream_tbEUljE_EEESW_SX_SY_S15_S19_S1B_T6_T7_T9_mT8_S1D_bDpT10_ENKUlT_T0_E_clISt17integral_constantIbLb1EES1Q_EEDaS1L_S1M_EUlS1L_E_NS1_11comp_targetILNS1_3genE5ELNS1_11target_archE942ELNS1_3gpuE9ELNS1_3repE0EEENS1_30default_config_static_selectorELNS0_4arch9wavefront6targetE0EEEvSZ_.kd
    .uniform_work_group_size: 1
    .uses_dynamic_stack: false
    .vgpr_count:     0
    .vgpr_spill_count: 0
    .wavefront_size: 32
  - .args:
      - .offset:         0
        .size:           152
        .value_kind:     by_value
    .group_segment_fixed_size: 0
    .kernarg_segment_align: 8
    .kernarg_segment_size: 152
    .language:       OpenCL C
    .language_version:
      - 2
      - 0
    .max_flat_workgroup_size: 256
    .name:           _ZN7rocprim17ROCPRIM_400000_NS6detail17trampoline_kernelINS0_13select_configILj256ELj13ELNS0_17block_load_methodE3ELS4_3ELS4_3ELNS0_20block_scan_algorithmE0ELj4294967295EEENS1_25partition_config_selectorILNS1_17partition_subalgoE3EjNS0_10empty_typeEbEEZZNS1_14partition_implILS8_3ELb0ES6_jNS0_17counting_iteratorIjlEEPS9_SE_NS0_5tupleIJPjSE_EEENSF_IJSE_SE_EEES9_SG_JZNS1_25segmented_radix_sort_implINS0_14default_configELb1EPK12hip_bfloat16PSL_PKlPlN2at6native12_GLOBAL__N_18offset_tEEE10hipError_tPvRmT1_PNSt15iterator_traitsISZ_E10value_typeET2_T3_PNS10_IS15_E10value_typeET4_jRbjT5_S1B_jjP12ihipStream_tbEUljE_EEESW_SX_SY_S15_S19_S1B_T6_T7_T9_mT8_S1D_bDpT10_ENKUlT_T0_E_clISt17integral_constantIbLb1EES1Q_EEDaS1L_S1M_EUlS1L_E_NS1_11comp_targetILNS1_3genE4ELNS1_11target_archE910ELNS1_3gpuE8ELNS1_3repE0EEENS1_30default_config_static_selectorELNS0_4arch9wavefront6targetE0EEEvSZ_
    .private_segment_fixed_size: 0
    .sgpr_count:     0
    .sgpr_spill_count: 0
    .symbol:         _ZN7rocprim17ROCPRIM_400000_NS6detail17trampoline_kernelINS0_13select_configILj256ELj13ELNS0_17block_load_methodE3ELS4_3ELS4_3ELNS0_20block_scan_algorithmE0ELj4294967295EEENS1_25partition_config_selectorILNS1_17partition_subalgoE3EjNS0_10empty_typeEbEEZZNS1_14partition_implILS8_3ELb0ES6_jNS0_17counting_iteratorIjlEEPS9_SE_NS0_5tupleIJPjSE_EEENSF_IJSE_SE_EEES9_SG_JZNS1_25segmented_radix_sort_implINS0_14default_configELb1EPK12hip_bfloat16PSL_PKlPlN2at6native12_GLOBAL__N_18offset_tEEE10hipError_tPvRmT1_PNSt15iterator_traitsISZ_E10value_typeET2_T3_PNS10_IS15_E10value_typeET4_jRbjT5_S1B_jjP12ihipStream_tbEUljE_EEESW_SX_SY_S15_S19_S1B_T6_T7_T9_mT8_S1D_bDpT10_ENKUlT_T0_E_clISt17integral_constantIbLb1EES1Q_EEDaS1L_S1M_EUlS1L_E_NS1_11comp_targetILNS1_3genE4ELNS1_11target_archE910ELNS1_3gpuE8ELNS1_3repE0EEENS1_30default_config_static_selectorELNS0_4arch9wavefront6targetE0EEEvSZ_.kd
    .uniform_work_group_size: 1
    .uses_dynamic_stack: false
    .vgpr_count:     0
    .vgpr_spill_count: 0
    .wavefront_size: 32
  - .args:
      - .offset:         0
        .size:           152
        .value_kind:     by_value
    .group_segment_fixed_size: 0
    .kernarg_segment_align: 8
    .kernarg_segment_size: 152
    .language:       OpenCL C
    .language_version:
      - 2
      - 0
    .max_flat_workgroup_size: 256
    .name:           _ZN7rocprim17ROCPRIM_400000_NS6detail17trampoline_kernelINS0_13select_configILj256ELj13ELNS0_17block_load_methodE3ELS4_3ELS4_3ELNS0_20block_scan_algorithmE0ELj4294967295EEENS1_25partition_config_selectorILNS1_17partition_subalgoE3EjNS0_10empty_typeEbEEZZNS1_14partition_implILS8_3ELb0ES6_jNS0_17counting_iteratorIjlEEPS9_SE_NS0_5tupleIJPjSE_EEENSF_IJSE_SE_EEES9_SG_JZNS1_25segmented_radix_sort_implINS0_14default_configELb1EPK12hip_bfloat16PSL_PKlPlN2at6native12_GLOBAL__N_18offset_tEEE10hipError_tPvRmT1_PNSt15iterator_traitsISZ_E10value_typeET2_T3_PNS10_IS15_E10value_typeET4_jRbjT5_S1B_jjP12ihipStream_tbEUljE_EEESW_SX_SY_S15_S19_S1B_T6_T7_T9_mT8_S1D_bDpT10_ENKUlT_T0_E_clISt17integral_constantIbLb1EES1Q_EEDaS1L_S1M_EUlS1L_E_NS1_11comp_targetILNS1_3genE3ELNS1_11target_archE908ELNS1_3gpuE7ELNS1_3repE0EEENS1_30default_config_static_selectorELNS0_4arch9wavefront6targetE0EEEvSZ_
    .private_segment_fixed_size: 0
    .sgpr_count:     0
    .sgpr_spill_count: 0
    .symbol:         _ZN7rocprim17ROCPRIM_400000_NS6detail17trampoline_kernelINS0_13select_configILj256ELj13ELNS0_17block_load_methodE3ELS4_3ELS4_3ELNS0_20block_scan_algorithmE0ELj4294967295EEENS1_25partition_config_selectorILNS1_17partition_subalgoE3EjNS0_10empty_typeEbEEZZNS1_14partition_implILS8_3ELb0ES6_jNS0_17counting_iteratorIjlEEPS9_SE_NS0_5tupleIJPjSE_EEENSF_IJSE_SE_EEES9_SG_JZNS1_25segmented_radix_sort_implINS0_14default_configELb1EPK12hip_bfloat16PSL_PKlPlN2at6native12_GLOBAL__N_18offset_tEEE10hipError_tPvRmT1_PNSt15iterator_traitsISZ_E10value_typeET2_T3_PNS10_IS15_E10value_typeET4_jRbjT5_S1B_jjP12ihipStream_tbEUljE_EEESW_SX_SY_S15_S19_S1B_T6_T7_T9_mT8_S1D_bDpT10_ENKUlT_T0_E_clISt17integral_constantIbLb1EES1Q_EEDaS1L_S1M_EUlS1L_E_NS1_11comp_targetILNS1_3genE3ELNS1_11target_archE908ELNS1_3gpuE7ELNS1_3repE0EEENS1_30default_config_static_selectorELNS0_4arch9wavefront6targetE0EEEvSZ_.kd
    .uniform_work_group_size: 1
    .uses_dynamic_stack: false
    .vgpr_count:     0
    .vgpr_spill_count: 0
    .wavefront_size: 32
  - .args:
      - .offset:         0
        .size:           152
        .value_kind:     by_value
    .group_segment_fixed_size: 0
    .kernarg_segment_align: 8
    .kernarg_segment_size: 152
    .language:       OpenCL C
    .language_version:
      - 2
      - 0
    .max_flat_workgroup_size: 256
    .name:           _ZN7rocprim17ROCPRIM_400000_NS6detail17trampoline_kernelINS0_13select_configILj256ELj13ELNS0_17block_load_methodE3ELS4_3ELS4_3ELNS0_20block_scan_algorithmE0ELj4294967295EEENS1_25partition_config_selectorILNS1_17partition_subalgoE3EjNS0_10empty_typeEbEEZZNS1_14partition_implILS8_3ELb0ES6_jNS0_17counting_iteratorIjlEEPS9_SE_NS0_5tupleIJPjSE_EEENSF_IJSE_SE_EEES9_SG_JZNS1_25segmented_radix_sort_implINS0_14default_configELb1EPK12hip_bfloat16PSL_PKlPlN2at6native12_GLOBAL__N_18offset_tEEE10hipError_tPvRmT1_PNSt15iterator_traitsISZ_E10value_typeET2_T3_PNS10_IS15_E10value_typeET4_jRbjT5_S1B_jjP12ihipStream_tbEUljE_EEESW_SX_SY_S15_S19_S1B_T6_T7_T9_mT8_S1D_bDpT10_ENKUlT_T0_E_clISt17integral_constantIbLb1EES1Q_EEDaS1L_S1M_EUlS1L_E_NS1_11comp_targetILNS1_3genE2ELNS1_11target_archE906ELNS1_3gpuE6ELNS1_3repE0EEENS1_30default_config_static_selectorELNS0_4arch9wavefront6targetE0EEEvSZ_
    .private_segment_fixed_size: 0
    .sgpr_count:     0
    .sgpr_spill_count: 0
    .symbol:         _ZN7rocprim17ROCPRIM_400000_NS6detail17trampoline_kernelINS0_13select_configILj256ELj13ELNS0_17block_load_methodE3ELS4_3ELS4_3ELNS0_20block_scan_algorithmE0ELj4294967295EEENS1_25partition_config_selectorILNS1_17partition_subalgoE3EjNS0_10empty_typeEbEEZZNS1_14partition_implILS8_3ELb0ES6_jNS0_17counting_iteratorIjlEEPS9_SE_NS0_5tupleIJPjSE_EEENSF_IJSE_SE_EEES9_SG_JZNS1_25segmented_radix_sort_implINS0_14default_configELb1EPK12hip_bfloat16PSL_PKlPlN2at6native12_GLOBAL__N_18offset_tEEE10hipError_tPvRmT1_PNSt15iterator_traitsISZ_E10value_typeET2_T3_PNS10_IS15_E10value_typeET4_jRbjT5_S1B_jjP12ihipStream_tbEUljE_EEESW_SX_SY_S15_S19_S1B_T6_T7_T9_mT8_S1D_bDpT10_ENKUlT_T0_E_clISt17integral_constantIbLb1EES1Q_EEDaS1L_S1M_EUlS1L_E_NS1_11comp_targetILNS1_3genE2ELNS1_11target_archE906ELNS1_3gpuE6ELNS1_3repE0EEENS1_30default_config_static_selectorELNS0_4arch9wavefront6targetE0EEEvSZ_.kd
    .uniform_work_group_size: 1
    .uses_dynamic_stack: false
    .vgpr_count:     0
    .vgpr_spill_count: 0
    .wavefront_size: 32
  - .args:
      - .offset:         0
        .size:           152
        .value_kind:     by_value
    .group_segment_fixed_size: 0
    .kernarg_segment_align: 8
    .kernarg_segment_size: 152
    .language:       OpenCL C
    .language_version:
      - 2
      - 0
    .max_flat_workgroup_size: 256
    .name:           _ZN7rocprim17ROCPRIM_400000_NS6detail17trampoline_kernelINS0_13select_configILj256ELj13ELNS0_17block_load_methodE3ELS4_3ELS4_3ELNS0_20block_scan_algorithmE0ELj4294967295EEENS1_25partition_config_selectorILNS1_17partition_subalgoE3EjNS0_10empty_typeEbEEZZNS1_14partition_implILS8_3ELb0ES6_jNS0_17counting_iteratorIjlEEPS9_SE_NS0_5tupleIJPjSE_EEENSF_IJSE_SE_EEES9_SG_JZNS1_25segmented_radix_sort_implINS0_14default_configELb1EPK12hip_bfloat16PSL_PKlPlN2at6native12_GLOBAL__N_18offset_tEEE10hipError_tPvRmT1_PNSt15iterator_traitsISZ_E10value_typeET2_T3_PNS10_IS15_E10value_typeET4_jRbjT5_S1B_jjP12ihipStream_tbEUljE_EEESW_SX_SY_S15_S19_S1B_T6_T7_T9_mT8_S1D_bDpT10_ENKUlT_T0_E_clISt17integral_constantIbLb1EES1Q_EEDaS1L_S1M_EUlS1L_E_NS1_11comp_targetILNS1_3genE10ELNS1_11target_archE1200ELNS1_3gpuE4ELNS1_3repE0EEENS1_30default_config_static_selectorELNS0_4arch9wavefront6targetE0EEEvSZ_
    .private_segment_fixed_size: 0
    .sgpr_count:     0
    .sgpr_spill_count: 0
    .symbol:         _ZN7rocprim17ROCPRIM_400000_NS6detail17trampoline_kernelINS0_13select_configILj256ELj13ELNS0_17block_load_methodE3ELS4_3ELS4_3ELNS0_20block_scan_algorithmE0ELj4294967295EEENS1_25partition_config_selectorILNS1_17partition_subalgoE3EjNS0_10empty_typeEbEEZZNS1_14partition_implILS8_3ELb0ES6_jNS0_17counting_iteratorIjlEEPS9_SE_NS0_5tupleIJPjSE_EEENSF_IJSE_SE_EEES9_SG_JZNS1_25segmented_radix_sort_implINS0_14default_configELb1EPK12hip_bfloat16PSL_PKlPlN2at6native12_GLOBAL__N_18offset_tEEE10hipError_tPvRmT1_PNSt15iterator_traitsISZ_E10value_typeET2_T3_PNS10_IS15_E10value_typeET4_jRbjT5_S1B_jjP12ihipStream_tbEUljE_EEESW_SX_SY_S15_S19_S1B_T6_T7_T9_mT8_S1D_bDpT10_ENKUlT_T0_E_clISt17integral_constantIbLb1EES1Q_EEDaS1L_S1M_EUlS1L_E_NS1_11comp_targetILNS1_3genE10ELNS1_11target_archE1200ELNS1_3gpuE4ELNS1_3repE0EEENS1_30default_config_static_selectorELNS0_4arch9wavefront6targetE0EEEvSZ_.kd
    .uniform_work_group_size: 1
    .uses_dynamic_stack: false
    .vgpr_count:     0
    .vgpr_spill_count: 0
    .wavefront_size: 32
  - .args:
      - .offset:         0
        .size:           152
        .value_kind:     by_value
    .group_segment_fixed_size: 0
    .kernarg_segment_align: 8
    .kernarg_segment_size: 152
    .language:       OpenCL C
    .language_version:
      - 2
      - 0
    .max_flat_workgroup_size: 256
    .name:           _ZN7rocprim17ROCPRIM_400000_NS6detail17trampoline_kernelINS0_13select_configILj256ELj13ELNS0_17block_load_methodE3ELS4_3ELS4_3ELNS0_20block_scan_algorithmE0ELj4294967295EEENS1_25partition_config_selectorILNS1_17partition_subalgoE3EjNS0_10empty_typeEbEEZZNS1_14partition_implILS8_3ELb0ES6_jNS0_17counting_iteratorIjlEEPS9_SE_NS0_5tupleIJPjSE_EEENSF_IJSE_SE_EEES9_SG_JZNS1_25segmented_radix_sort_implINS0_14default_configELb1EPK12hip_bfloat16PSL_PKlPlN2at6native12_GLOBAL__N_18offset_tEEE10hipError_tPvRmT1_PNSt15iterator_traitsISZ_E10value_typeET2_T3_PNS10_IS15_E10value_typeET4_jRbjT5_S1B_jjP12ihipStream_tbEUljE_EEESW_SX_SY_S15_S19_S1B_T6_T7_T9_mT8_S1D_bDpT10_ENKUlT_T0_E_clISt17integral_constantIbLb1EES1Q_EEDaS1L_S1M_EUlS1L_E_NS1_11comp_targetILNS1_3genE9ELNS1_11target_archE1100ELNS1_3gpuE3ELNS1_3repE0EEENS1_30default_config_static_selectorELNS0_4arch9wavefront6targetE0EEEvSZ_
    .private_segment_fixed_size: 0
    .sgpr_count:     0
    .sgpr_spill_count: 0
    .symbol:         _ZN7rocprim17ROCPRIM_400000_NS6detail17trampoline_kernelINS0_13select_configILj256ELj13ELNS0_17block_load_methodE3ELS4_3ELS4_3ELNS0_20block_scan_algorithmE0ELj4294967295EEENS1_25partition_config_selectorILNS1_17partition_subalgoE3EjNS0_10empty_typeEbEEZZNS1_14partition_implILS8_3ELb0ES6_jNS0_17counting_iteratorIjlEEPS9_SE_NS0_5tupleIJPjSE_EEENSF_IJSE_SE_EEES9_SG_JZNS1_25segmented_radix_sort_implINS0_14default_configELb1EPK12hip_bfloat16PSL_PKlPlN2at6native12_GLOBAL__N_18offset_tEEE10hipError_tPvRmT1_PNSt15iterator_traitsISZ_E10value_typeET2_T3_PNS10_IS15_E10value_typeET4_jRbjT5_S1B_jjP12ihipStream_tbEUljE_EEESW_SX_SY_S15_S19_S1B_T6_T7_T9_mT8_S1D_bDpT10_ENKUlT_T0_E_clISt17integral_constantIbLb1EES1Q_EEDaS1L_S1M_EUlS1L_E_NS1_11comp_targetILNS1_3genE9ELNS1_11target_archE1100ELNS1_3gpuE3ELNS1_3repE0EEENS1_30default_config_static_selectorELNS0_4arch9wavefront6targetE0EEEvSZ_.kd
    .uniform_work_group_size: 1
    .uses_dynamic_stack: false
    .vgpr_count:     0
    .vgpr_spill_count: 0
    .wavefront_size: 32
  - .args:
      - .offset:         0
        .size:           152
        .value_kind:     by_value
    .group_segment_fixed_size: 0
    .kernarg_segment_align: 8
    .kernarg_segment_size: 152
    .language:       OpenCL C
    .language_version:
      - 2
      - 0
    .max_flat_workgroup_size: 256
    .name:           _ZN7rocprim17ROCPRIM_400000_NS6detail17trampoline_kernelINS0_13select_configILj256ELj13ELNS0_17block_load_methodE3ELS4_3ELS4_3ELNS0_20block_scan_algorithmE0ELj4294967295EEENS1_25partition_config_selectorILNS1_17partition_subalgoE3EjNS0_10empty_typeEbEEZZNS1_14partition_implILS8_3ELb0ES6_jNS0_17counting_iteratorIjlEEPS9_SE_NS0_5tupleIJPjSE_EEENSF_IJSE_SE_EEES9_SG_JZNS1_25segmented_radix_sort_implINS0_14default_configELb1EPK12hip_bfloat16PSL_PKlPlN2at6native12_GLOBAL__N_18offset_tEEE10hipError_tPvRmT1_PNSt15iterator_traitsISZ_E10value_typeET2_T3_PNS10_IS15_E10value_typeET4_jRbjT5_S1B_jjP12ihipStream_tbEUljE_EEESW_SX_SY_S15_S19_S1B_T6_T7_T9_mT8_S1D_bDpT10_ENKUlT_T0_E_clISt17integral_constantIbLb1EES1Q_EEDaS1L_S1M_EUlS1L_E_NS1_11comp_targetILNS1_3genE8ELNS1_11target_archE1030ELNS1_3gpuE2ELNS1_3repE0EEENS1_30default_config_static_selectorELNS0_4arch9wavefront6targetE0EEEvSZ_
    .private_segment_fixed_size: 0
    .sgpr_count:     0
    .sgpr_spill_count: 0
    .symbol:         _ZN7rocprim17ROCPRIM_400000_NS6detail17trampoline_kernelINS0_13select_configILj256ELj13ELNS0_17block_load_methodE3ELS4_3ELS4_3ELNS0_20block_scan_algorithmE0ELj4294967295EEENS1_25partition_config_selectorILNS1_17partition_subalgoE3EjNS0_10empty_typeEbEEZZNS1_14partition_implILS8_3ELb0ES6_jNS0_17counting_iteratorIjlEEPS9_SE_NS0_5tupleIJPjSE_EEENSF_IJSE_SE_EEES9_SG_JZNS1_25segmented_radix_sort_implINS0_14default_configELb1EPK12hip_bfloat16PSL_PKlPlN2at6native12_GLOBAL__N_18offset_tEEE10hipError_tPvRmT1_PNSt15iterator_traitsISZ_E10value_typeET2_T3_PNS10_IS15_E10value_typeET4_jRbjT5_S1B_jjP12ihipStream_tbEUljE_EEESW_SX_SY_S15_S19_S1B_T6_T7_T9_mT8_S1D_bDpT10_ENKUlT_T0_E_clISt17integral_constantIbLb1EES1Q_EEDaS1L_S1M_EUlS1L_E_NS1_11comp_targetILNS1_3genE8ELNS1_11target_archE1030ELNS1_3gpuE2ELNS1_3repE0EEENS1_30default_config_static_selectorELNS0_4arch9wavefront6targetE0EEEvSZ_.kd
    .uniform_work_group_size: 1
    .uses_dynamic_stack: false
    .vgpr_count:     0
    .vgpr_spill_count: 0
    .wavefront_size: 32
  - .args:
      - .offset:         0
        .size:           144
        .value_kind:     by_value
    .group_segment_fixed_size: 0
    .kernarg_segment_align: 8
    .kernarg_segment_size: 144
    .language:       OpenCL C
    .language_version:
      - 2
      - 0
    .max_flat_workgroup_size: 256
    .name:           _ZN7rocprim17ROCPRIM_400000_NS6detail17trampoline_kernelINS0_13select_configILj256ELj13ELNS0_17block_load_methodE3ELS4_3ELS4_3ELNS0_20block_scan_algorithmE0ELj4294967295EEENS1_25partition_config_selectorILNS1_17partition_subalgoE3EjNS0_10empty_typeEbEEZZNS1_14partition_implILS8_3ELb0ES6_jNS0_17counting_iteratorIjlEEPS9_SE_NS0_5tupleIJPjSE_EEENSF_IJSE_SE_EEES9_SG_JZNS1_25segmented_radix_sort_implINS0_14default_configELb1EPK12hip_bfloat16PSL_PKlPlN2at6native12_GLOBAL__N_18offset_tEEE10hipError_tPvRmT1_PNSt15iterator_traitsISZ_E10value_typeET2_T3_PNS10_IS15_E10value_typeET4_jRbjT5_S1B_jjP12ihipStream_tbEUljE_EEESW_SX_SY_S15_S19_S1B_T6_T7_T9_mT8_S1D_bDpT10_ENKUlT_T0_E_clISt17integral_constantIbLb1EES1P_IbLb0EEEEDaS1L_S1M_EUlS1L_E_NS1_11comp_targetILNS1_3genE0ELNS1_11target_archE4294967295ELNS1_3gpuE0ELNS1_3repE0EEENS1_30default_config_static_selectorELNS0_4arch9wavefront6targetE0EEEvSZ_
    .private_segment_fixed_size: 0
    .sgpr_count:     0
    .sgpr_spill_count: 0
    .symbol:         _ZN7rocprim17ROCPRIM_400000_NS6detail17trampoline_kernelINS0_13select_configILj256ELj13ELNS0_17block_load_methodE3ELS4_3ELS4_3ELNS0_20block_scan_algorithmE0ELj4294967295EEENS1_25partition_config_selectorILNS1_17partition_subalgoE3EjNS0_10empty_typeEbEEZZNS1_14partition_implILS8_3ELb0ES6_jNS0_17counting_iteratorIjlEEPS9_SE_NS0_5tupleIJPjSE_EEENSF_IJSE_SE_EEES9_SG_JZNS1_25segmented_radix_sort_implINS0_14default_configELb1EPK12hip_bfloat16PSL_PKlPlN2at6native12_GLOBAL__N_18offset_tEEE10hipError_tPvRmT1_PNSt15iterator_traitsISZ_E10value_typeET2_T3_PNS10_IS15_E10value_typeET4_jRbjT5_S1B_jjP12ihipStream_tbEUljE_EEESW_SX_SY_S15_S19_S1B_T6_T7_T9_mT8_S1D_bDpT10_ENKUlT_T0_E_clISt17integral_constantIbLb1EES1P_IbLb0EEEEDaS1L_S1M_EUlS1L_E_NS1_11comp_targetILNS1_3genE0ELNS1_11target_archE4294967295ELNS1_3gpuE0ELNS1_3repE0EEENS1_30default_config_static_selectorELNS0_4arch9wavefront6targetE0EEEvSZ_.kd
    .uniform_work_group_size: 1
    .uses_dynamic_stack: false
    .vgpr_count:     0
    .vgpr_spill_count: 0
    .wavefront_size: 32
  - .args:
      - .offset:         0
        .size:           144
        .value_kind:     by_value
    .group_segment_fixed_size: 0
    .kernarg_segment_align: 8
    .kernarg_segment_size: 144
    .language:       OpenCL C
    .language_version:
      - 2
      - 0
    .max_flat_workgroup_size: 256
    .name:           _ZN7rocprim17ROCPRIM_400000_NS6detail17trampoline_kernelINS0_13select_configILj256ELj13ELNS0_17block_load_methodE3ELS4_3ELS4_3ELNS0_20block_scan_algorithmE0ELj4294967295EEENS1_25partition_config_selectorILNS1_17partition_subalgoE3EjNS0_10empty_typeEbEEZZNS1_14partition_implILS8_3ELb0ES6_jNS0_17counting_iteratorIjlEEPS9_SE_NS0_5tupleIJPjSE_EEENSF_IJSE_SE_EEES9_SG_JZNS1_25segmented_radix_sort_implINS0_14default_configELb1EPK12hip_bfloat16PSL_PKlPlN2at6native12_GLOBAL__N_18offset_tEEE10hipError_tPvRmT1_PNSt15iterator_traitsISZ_E10value_typeET2_T3_PNS10_IS15_E10value_typeET4_jRbjT5_S1B_jjP12ihipStream_tbEUljE_EEESW_SX_SY_S15_S19_S1B_T6_T7_T9_mT8_S1D_bDpT10_ENKUlT_T0_E_clISt17integral_constantIbLb1EES1P_IbLb0EEEEDaS1L_S1M_EUlS1L_E_NS1_11comp_targetILNS1_3genE5ELNS1_11target_archE942ELNS1_3gpuE9ELNS1_3repE0EEENS1_30default_config_static_selectorELNS0_4arch9wavefront6targetE0EEEvSZ_
    .private_segment_fixed_size: 0
    .sgpr_count:     0
    .sgpr_spill_count: 0
    .symbol:         _ZN7rocprim17ROCPRIM_400000_NS6detail17trampoline_kernelINS0_13select_configILj256ELj13ELNS0_17block_load_methodE3ELS4_3ELS4_3ELNS0_20block_scan_algorithmE0ELj4294967295EEENS1_25partition_config_selectorILNS1_17partition_subalgoE3EjNS0_10empty_typeEbEEZZNS1_14partition_implILS8_3ELb0ES6_jNS0_17counting_iteratorIjlEEPS9_SE_NS0_5tupleIJPjSE_EEENSF_IJSE_SE_EEES9_SG_JZNS1_25segmented_radix_sort_implINS0_14default_configELb1EPK12hip_bfloat16PSL_PKlPlN2at6native12_GLOBAL__N_18offset_tEEE10hipError_tPvRmT1_PNSt15iterator_traitsISZ_E10value_typeET2_T3_PNS10_IS15_E10value_typeET4_jRbjT5_S1B_jjP12ihipStream_tbEUljE_EEESW_SX_SY_S15_S19_S1B_T6_T7_T9_mT8_S1D_bDpT10_ENKUlT_T0_E_clISt17integral_constantIbLb1EES1P_IbLb0EEEEDaS1L_S1M_EUlS1L_E_NS1_11comp_targetILNS1_3genE5ELNS1_11target_archE942ELNS1_3gpuE9ELNS1_3repE0EEENS1_30default_config_static_selectorELNS0_4arch9wavefront6targetE0EEEvSZ_.kd
    .uniform_work_group_size: 1
    .uses_dynamic_stack: false
    .vgpr_count:     0
    .vgpr_spill_count: 0
    .wavefront_size: 32
  - .args:
      - .offset:         0
        .size:           144
        .value_kind:     by_value
    .group_segment_fixed_size: 0
    .kernarg_segment_align: 8
    .kernarg_segment_size: 144
    .language:       OpenCL C
    .language_version:
      - 2
      - 0
    .max_flat_workgroup_size: 256
    .name:           _ZN7rocprim17ROCPRIM_400000_NS6detail17trampoline_kernelINS0_13select_configILj256ELj13ELNS0_17block_load_methodE3ELS4_3ELS4_3ELNS0_20block_scan_algorithmE0ELj4294967295EEENS1_25partition_config_selectorILNS1_17partition_subalgoE3EjNS0_10empty_typeEbEEZZNS1_14partition_implILS8_3ELb0ES6_jNS0_17counting_iteratorIjlEEPS9_SE_NS0_5tupleIJPjSE_EEENSF_IJSE_SE_EEES9_SG_JZNS1_25segmented_radix_sort_implINS0_14default_configELb1EPK12hip_bfloat16PSL_PKlPlN2at6native12_GLOBAL__N_18offset_tEEE10hipError_tPvRmT1_PNSt15iterator_traitsISZ_E10value_typeET2_T3_PNS10_IS15_E10value_typeET4_jRbjT5_S1B_jjP12ihipStream_tbEUljE_EEESW_SX_SY_S15_S19_S1B_T6_T7_T9_mT8_S1D_bDpT10_ENKUlT_T0_E_clISt17integral_constantIbLb1EES1P_IbLb0EEEEDaS1L_S1M_EUlS1L_E_NS1_11comp_targetILNS1_3genE4ELNS1_11target_archE910ELNS1_3gpuE8ELNS1_3repE0EEENS1_30default_config_static_selectorELNS0_4arch9wavefront6targetE0EEEvSZ_
    .private_segment_fixed_size: 0
    .sgpr_count:     0
    .sgpr_spill_count: 0
    .symbol:         _ZN7rocprim17ROCPRIM_400000_NS6detail17trampoline_kernelINS0_13select_configILj256ELj13ELNS0_17block_load_methodE3ELS4_3ELS4_3ELNS0_20block_scan_algorithmE0ELj4294967295EEENS1_25partition_config_selectorILNS1_17partition_subalgoE3EjNS0_10empty_typeEbEEZZNS1_14partition_implILS8_3ELb0ES6_jNS0_17counting_iteratorIjlEEPS9_SE_NS0_5tupleIJPjSE_EEENSF_IJSE_SE_EEES9_SG_JZNS1_25segmented_radix_sort_implINS0_14default_configELb1EPK12hip_bfloat16PSL_PKlPlN2at6native12_GLOBAL__N_18offset_tEEE10hipError_tPvRmT1_PNSt15iterator_traitsISZ_E10value_typeET2_T3_PNS10_IS15_E10value_typeET4_jRbjT5_S1B_jjP12ihipStream_tbEUljE_EEESW_SX_SY_S15_S19_S1B_T6_T7_T9_mT8_S1D_bDpT10_ENKUlT_T0_E_clISt17integral_constantIbLb1EES1P_IbLb0EEEEDaS1L_S1M_EUlS1L_E_NS1_11comp_targetILNS1_3genE4ELNS1_11target_archE910ELNS1_3gpuE8ELNS1_3repE0EEENS1_30default_config_static_selectorELNS0_4arch9wavefront6targetE0EEEvSZ_.kd
    .uniform_work_group_size: 1
    .uses_dynamic_stack: false
    .vgpr_count:     0
    .vgpr_spill_count: 0
    .wavefront_size: 32
  - .args:
      - .offset:         0
        .size:           144
        .value_kind:     by_value
    .group_segment_fixed_size: 0
    .kernarg_segment_align: 8
    .kernarg_segment_size: 144
    .language:       OpenCL C
    .language_version:
      - 2
      - 0
    .max_flat_workgroup_size: 256
    .name:           _ZN7rocprim17ROCPRIM_400000_NS6detail17trampoline_kernelINS0_13select_configILj256ELj13ELNS0_17block_load_methodE3ELS4_3ELS4_3ELNS0_20block_scan_algorithmE0ELj4294967295EEENS1_25partition_config_selectorILNS1_17partition_subalgoE3EjNS0_10empty_typeEbEEZZNS1_14partition_implILS8_3ELb0ES6_jNS0_17counting_iteratorIjlEEPS9_SE_NS0_5tupleIJPjSE_EEENSF_IJSE_SE_EEES9_SG_JZNS1_25segmented_radix_sort_implINS0_14default_configELb1EPK12hip_bfloat16PSL_PKlPlN2at6native12_GLOBAL__N_18offset_tEEE10hipError_tPvRmT1_PNSt15iterator_traitsISZ_E10value_typeET2_T3_PNS10_IS15_E10value_typeET4_jRbjT5_S1B_jjP12ihipStream_tbEUljE_EEESW_SX_SY_S15_S19_S1B_T6_T7_T9_mT8_S1D_bDpT10_ENKUlT_T0_E_clISt17integral_constantIbLb1EES1P_IbLb0EEEEDaS1L_S1M_EUlS1L_E_NS1_11comp_targetILNS1_3genE3ELNS1_11target_archE908ELNS1_3gpuE7ELNS1_3repE0EEENS1_30default_config_static_selectorELNS0_4arch9wavefront6targetE0EEEvSZ_
    .private_segment_fixed_size: 0
    .sgpr_count:     0
    .sgpr_spill_count: 0
    .symbol:         _ZN7rocprim17ROCPRIM_400000_NS6detail17trampoline_kernelINS0_13select_configILj256ELj13ELNS0_17block_load_methodE3ELS4_3ELS4_3ELNS0_20block_scan_algorithmE0ELj4294967295EEENS1_25partition_config_selectorILNS1_17partition_subalgoE3EjNS0_10empty_typeEbEEZZNS1_14partition_implILS8_3ELb0ES6_jNS0_17counting_iteratorIjlEEPS9_SE_NS0_5tupleIJPjSE_EEENSF_IJSE_SE_EEES9_SG_JZNS1_25segmented_radix_sort_implINS0_14default_configELb1EPK12hip_bfloat16PSL_PKlPlN2at6native12_GLOBAL__N_18offset_tEEE10hipError_tPvRmT1_PNSt15iterator_traitsISZ_E10value_typeET2_T3_PNS10_IS15_E10value_typeET4_jRbjT5_S1B_jjP12ihipStream_tbEUljE_EEESW_SX_SY_S15_S19_S1B_T6_T7_T9_mT8_S1D_bDpT10_ENKUlT_T0_E_clISt17integral_constantIbLb1EES1P_IbLb0EEEEDaS1L_S1M_EUlS1L_E_NS1_11comp_targetILNS1_3genE3ELNS1_11target_archE908ELNS1_3gpuE7ELNS1_3repE0EEENS1_30default_config_static_selectorELNS0_4arch9wavefront6targetE0EEEvSZ_.kd
    .uniform_work_group_size: 1
    .uses_dynamic_stack: false
    .vgpr_count:     0
    .vgpr_spill_count: 0
    .wavefront_size: 32
  - .args:
      - .offset:         0
        .size:           144
        .value_kind:     by_value
    .group_segment_fixed_size: 0
    .kernarg_segment_align: 8
    .kernarg_segment_size: 144
    .language:       OpenCL C
    .language_version:
      - 2
      - 0
    .max_flat_workgroup_size: 256
    .name:           _ZN7rocprim17ROCPRIM_400000_NS6detail17trampoline_kernelINS0_13select_configILj256ELj13ELNS0_17block_load_methodE3ELS4_3ELS4_3ELNS0_20block_scan_algorithmE0ELj4294967295EEENS1_25partition_config_selectorILNS1_17partition_subalgoE3EjNS0_10empty_typeEbEEZZNS1_14partition_implILS8_3ELb0ES6_jNS0_17counting_iteratorIjlEEPS9_SE_NS0_5tupleIJPjSE_EEENSF_IJSE_SE_EEES9_SG_JZNS1_25segmented_radix_sort_implINS0_14default_configELb1EPK12hip_bfloat16PSL_PKlPlN2at6native12_GLOBAL__N_18offset_tEEE10hipError_tPvRmT1_PNSt15iterator_traitsISZ_E10value_typeET2_T3_PNS10_IS15_E10value_typeET4_jRbjT5_S1B_jjP12ihipStream_tbEUljE_EEESW_SX_SY_S15_S19_S1B_T6_T7_T9_mT8_S1D_bDpT10_ENKUlT_T0_E_clISt17integral_constantIbLb1EES1P_IbLb0EEEEDaS1L_S1M_EUlS1L_E_NS1_11comp_targetILNS1_3genE2ELNS1_11target_archE906ELNS1_3gpuE6ELNS1_3repE0EEENS1_30default_config_static_selectorELNS0_4arch9wavefront6targetE0EEEvSZ_
    .private_segment_fixed_size: 0
    .sgpr_count:     0
    .sgpr_spill_count: 0
    .symbol:         _ZN7rocprim17ROCPRIM_400000_NS6detail17trampoline_kernelINS0_13select_configILj256ELj13ELNS0_17block_load_methodE3ELS4_3ELS4_3ELNS0_20block_scan_algorithmE0ELj4294967295EEENS1_25partition_config_selectorILNS1_17partition_subalgoE3EjNS0_10empty_typeEbEEZZNS1_14partition_implILS8_3ELb0ES6_jNS0_17counting_iteratorIjlEEPS9_SE_NS0_5tupleIJPjSE_EEENSF_IJSE_SE_EEES9_SG_JZNS1_25segmented_radix_sort_implINS0_14default_configELb1EPK12hip_bfloat16PSL_PKlPlN2at6native12_GLOBAL__N_18offset_tEEE10hipError_tPvRmT1_PNSt15iterator_traitsISZ_E10value_typeET2_T3_PNS10_IS15_E10value_typeET4_jRbjT5_S1B_jjP12ihipStream_tbEUljE_EEESW_SX_SY_S15_S19_S1B_T6_T7_T9_mT8_S1D_bDpT10_ENKUlT_T0_E_clISt17integral_constantIbLb1EES1P_IbLb0EEEEDaS1L_S1M_EUlS1L_E_NS1_11comp_targetILNS1_3genE2ELNS1_11target_archE906ELNS1_3gpuE6ELNS1_3repE0EEENS1_30default_config_static_selectorELNS0_4arch9wavefront6targetE0EEEvSZ_.kd
    .uniform_work_group_size: 1
    .uses_dynamic_stack: false
    .vgpr_count:     0
    .vgpr_spill_count: 0
    .wavefront_size: 32
  - .args:
      - .offset:         0
        .size:           144
        .value_kind:     by_value
    .group_segment_fixed_size: 0
    .kernarg_segment_align: 8
    .kernarg_segment_size: 144
    .language:       OpenCL C
    .language_version:
      - 2
      - 0
    .max_flat_workgroup_size: 256
    .name:           _ZN7rocprim17ROCPRIM_400000_NS6detail17trampoline_kernelINS0_13select_configILj256ELj13ELNS0_17block_load_methodE3ELS4_3ELS4_3ELNS0_20block_scan_algorithmE0ELj4294967295EEENS1_25partition_config_selectorILNS1_17partition_subalgoE3EjNS0_10empty_typeEbEEZZNS1_14partition_implILS8_3ELb0ES6_jNS0_17counting_iteratorIjlEEPS9_SE_NS0_5tupleIJPjSE_EEENSF_IJSE_SE_EEES9_SG_JZNS1_25segmented_radix_sort_implINS0_14default_configELb1EPK12hip_bfloat16PSL_PKlPlN2at6native12_GLOBAL__N_18offset_tEEE10hipError_tPvRmT1_PNSt15iterator_traitsISZ_E10value_typeET2_T3_PNS10_IS15_E10value_typeET4_jRbjT5_S1B_jjP12ihipStream_tbEUljE_EEESW_SX_SY_S15_S19_S1B_T6_T7_T9_mT8_S1D_bDpT10_ENKUlT_T0_E_clISt17integral_constantIbLb1EES1P_IbLb0EEEEDaS1L_S1M_EUlS1L_E_NS1_11comp_targetILNS1_3genE10ELNS1_11target_archE1200ELNS1_3gpuE4ELNS1_3repE0EEENS1_30default_config_static_selectorELNS0_4arch9wavefront6targetE0EEEvSZ_
    .private_segment_fixed_size: 0
    .sgpr_count:     0
    .sgpr_spill_count: 0
    .symbol:         _ZN7rocprim17ROCPRIM_400000_NS6detail17trampoline_kernelINS0_13select_configILj256ELj13ELNS0_17block_load_methodE3ELS4_3ELS4_3ELNS0_20block_scan_algorithmE0ELj4294967295EEENS1_25partition_config_selectorILNS1_17partition_subalgoE3EjNS0_10empty_typeEbEEZZNS1_14partition_implILS8_3ELb0ES6_jNS0_17counting_iteratorIjlEEPS9_SE_NS0_5tupleIJPjSE_EEENSF_IJSE_SE_EEES9_SG_JZNS1_25segmented_radix_sort_implINS0_14default_configELb1EPK12hip_bfloat16PSL_PKlPlN2at6native12_GLOBAL__N_18offset_tEEE10hipError_tPvRmT1_PNSt15iterator_traitsISZ_E10value_typeET2_T3_PNS10_IS15_E10value_typeET4_jRbjT5_S1B_jjP12ihipStream_tbEUljE_EEESW_SX_SY_S15_S19_S1B_T6_T7_T9_mT8_S1D_bDpT10_ENKUlT_T0_E_clISt17integral_constantIbLb1EES1P_IbLb0EEEEDaS1L_S1M_EUlS1L_E_NS1_11comp_targetILNS1_3genE10ELNS1_11target_archE1200ELNS1_3gpuE4ELNS1_3repE0EEENS1_30default_config_static_selectorELNS0_4arch9wavefront6targetE0EEEvSZ_.kd
    .uniform_work_group_size: 1
    .uses_dynamic_stack: false
    .vgpr_count:     0
    .vgpr_spill_count: 0
    .wavefront_size: 32
  - .args:
      - .offset:         0
        .size:           144
        .value_kind:     by_value
    .group_segment_fixed_size: 0
    .kernarg_segment_align: 8
    .kernarg_segment_size: 144
    .language:       OpenCL C
    .language_version:
      - 2
      - 0
    .max_flat_workgroup_size: 256
    .name:           _ZN7rocprim17ROCPRIM_400000_NS6detail17trampoline_kernelINS0_13select_configILj256ELj13ELNS0_17block_load_methodE3ELS4_3ELS4_3ELNS0_20block_scan_algorithmE0ELj4294967295EEENS1_25partition_config_selectorILNS1_17partition_subalgoE3EjNS0_10empty_typeEbEEZZNS1_14partition_implILS8_3ELb0ES6_jNS0_17counting_iteratorIjlEEPS9_SE_NS0_5tupleIJPjSE_EEENSF_IJSE_SE_EEES9_SG_JZNS1_25segmented_radix_sort_implINS0_14default_configELb1EPK12hip_bfloat16PSL_PKlPlN2at6native12_GLOBAL__N_18offset_tEEE10hipError_tPvRmT1_PNSt15iterator_traitsISZ_E10value_typeET2_T3_PNS10_IS15_E10value_typeET4_jRbjT5_S1B_jjP12ihipStream_tbEUljE_EEESW_SX_SY_S15_S19_S1B_T6_T7_T9_mT8_S1D_bDpT10_ENKUlT_T0_E_clISt17integral_constantIbLb1EES1P_IbLb0EEEEDaS1L_S1M_EUlS1L_E_NS1_11comp_targetILNS1_3genE9ELNS1_11target_archE1100ELNS1_3gpuE3ELNS1_3repE0EEENS1_30default_config_static_selectorELNS0_4arch9wavefront6targetE0EEEvSZ_
    .private_segment_fixed_size: 0
    .sgpr_count:     0
    .sgpr_spill_count: 0
    .symbol:         _ZN7rocprim17ROCPRIM_400000_NS6detail17trampoline_kernelINS0_13select_configILj256ELj13ELNS0_17block_load_methodE3ELS4_3ELS4_3ELNS0_20block_scan_algorithmE0ELj4294967295EEENS1_25partition_config_selectorILNS1_17partition_subalgoE3EjNS0_10empty_typeEbEEZZNS1_14partition_implILS8_3ELb0ES6_jNS0_17counting_iteratorIjlEEPS9_SE_NS0_5tupleIJPjSE_EEENSF_IJSE_SE_EEES9_SG_JZNS1_25segmented_radix_sort_implINS0_14default_configELb1EPK12hip_bfloat16PSL_PKlPlN2at6native12_GLOBAL__N_18offset_tEEE10hipError_tPvRmT1_PNSt15iterator_traitsISZ_E10value_typeET2_T3_PNS10_IS15_E10value_typeET4_jRbjT5_S1B_jjP12ihipStream_tbEUljE_EEESW_SX_SY_S15_S19_S1B_T6_T7_T9_mT8_S1D_bDpT10_ENKUlT_T0_E_clISt17integral_constantIbLb1EES1P_IbLb0EEEEDaS1L_S1M_EUlS1L_E_NS1_11comp_targetILNS1_3genE9ELNS1_11target_archE1100ELNS1_3gpuE3ELNS1_3repE0EEENS1_30default_config_static_selectorELNS0_4arch9wavefront6targetE0EEEvSZ_.kd
    .uniform_work_group_size: 1
    .uses_dynamic_stack: false
    .vgpr_count:     0
    .vgpr_spill_count: 0
    .wavefront_size: 32
  - .args:
      - .offset:         0
        .size:           144
        .value_kind:     by_value
    .group_segment_fixed_size: 0
    .kernarg_segment_align: 8
    .kernarg_segment_size: 144
    .language:       OpenCL C
    .language_version:
      - 2
      - 0
    .max_flat_workgroup_size: 256
    .name:           _ZN7rocprim17ROCPRIM_400000_NS6detail17trampoline_kernelINS0_13select_configILj256ELj13ELNS0_17block_load_methodE3ELS4_3ELS4_3ELNS0_20block_scan_algorithmE0ELj4294967295EEENS1_25partition_config_selectorILNS1_17partition_subalgoE3EjNS0_10empty_typeEbEEZZNS1_14partition_implILS8_3ELb0ES6_jNS0_17counting_iteratorIjlEEPS9_SE_NS0_5tupleIJPjSE_EEENSF_IJSE_SE_EEES9_SG_JZNS1_25segmented_radix_sort_implINS0_14default_configELb1EPK12hip_bfloat16PSL_PKlPlN2at6native12_GLOBAL__N_18offset_tEEE10hipError_tPvRmT1_PNSt15iterator_traitsISZ_E10value_typeET2_T3_PNS10_IS15_E10value_typeET4_jRbjT5_S1B_jjP12ihipStream_tbEUljE_EEESW_SX_SY_S15_S19_S1B_T6_T7_T9_mT8_S1D_bDpT10_ENKUlT_T0_E_clISt17integral_constantIbLb1EES1P_IbLb0EEEEDaS1L_S1M_EUlS1L_E_NS1_11comp_targetILNS1_3genE8ELNS1_11target_archE1030ELNS1_3gpuE2ELNS1_3repE0EEENS1_30default_config_static_selectorELNS0_4arch9wavefront6targetE0EEEvSZ_
    .private_segment_fixed_size: 0
    .sgpr_count:     0
    .sgpr_spill_count: 0
    .symbol:         _ZN7rocprim17ROCPRIM_400000_NS6detail17trampoline_kernelINS0_13select_configILj256ELj13ELNS0_17block_load_methodE3ELS4_3ELS4_3ELNS0_20block_scan_algorithmE0ELj4294967295EEENS1_25partition_config_selectorILNS1_17partition_subalgoE3EjNS0_10empty_typeEbEEZZNS1_14partition_implILS8_3ELb0ES6_jNS0_17counting_iteratorIjlEEPS9_SE_NS0_5tupleIJPjSE_EEENSF_IJSE_SE_EEES9_SG_JZNS1_25segmented_radix_sort_implINS0_14default_configELb1EPK12hip_bfloat16PSL_PKlPlN2at6native12_GLOBAL__N_18offset_tEEE10hipError_tPvRmT1_PNSt15iterator_traitsISZ_E10value_typeET2_T3_PNS10_IS15_E10value_typeET4_jRbjT5_S1B_jjP12ihipStream_tbEUljE_EEESW_SX_SY_S15_S19_S1B_T6_T7_T9_mT8_S1D_bDpT10_ENKUlT_T0_E_clISt17integral_constantIbLb1EES1P_IbLb0EEEEDaS1L_S1M_EUlS1L_E_NS1_11comp_targetILNS1_3genE8ELNS1_11target_archE1030ELNS1_3gpuE2ELNS1_3repE0EEENS1_30default_config_static_selectorELNS0_4arch9wavefront6targetE0EEEvSZ_.kd
    .uniform_work_group_size: 1
    .uses_dynamic_stack: false
    .vgpr_count:     0
    .vgpr_spill_count: 0
    .wavefront_size: 32
  - .args:
      - .offset:         0
        .size:           152
        .value_kind:     by_value
    .group_segment_fixed_size: 13320
    .kernarg_segment_align: 8
    .kernarg_segment_size: 152
    .language:       OpenCL C
    .language_version:
      - 2
      - 0
    .max_flat_workgroup_size: 256
    .name:           _ZN7rocprim17ROCPRIM_400000_NS6detail17trampoline_kernelINS0_13select_configILj256ELj13ELNS0_17block_load_methodE3ELS4_3ELS4_3ELNS0_20block_scan_algorithmE0ELj4294967295EEENS1_25partition_config_selectorILNS1_17partition_subalgoE3EjNS0_10empty_typeEbEEZZNS1_14partition_implILS8_3ELb0ES6_jNS0_17counting_iteratorIjlEEPS9_SE_NS0_5tupleIJPjSE_EEENSF_IJSE_SE_EEES9_SG_JZNS1_25segmented_radix_sort_implINS0_14default_configELb1EPK12hip_bfloat16PSL_PKlPlN2at6native12_GLOBAL__N_18offset_tEEE10hipError_tPvRmT1_PNSt15iterator_traitsISZ_E10value_typeET2_T3_PNS10_IS15_E10value_typeET4_jRbjT5_S1B_jjP12ihipStream_tbEUljE_EEESW_SX_SY_S15_S19_S1B_T6_T7_T9_mT8_S1D_bDpT10_ENKUlT_T0_E_clISt17integral_constantIbLb0EES1P_IbLb1EEEEDaS1L_S1M_EUlS1L_E_NS1_11comp_targetILNS1_3genE0ELNS1_11target_archE4294967295ELNS1_3gpuE0ELNS1_3repE0EEENS1_30default_config_static_selectorELNS0_4arch9wavefront6targetE0EEEvSZ_
    .private_segment_fixed_size: 0
    .sgpr_count:     26
    .sgpr_spill_count: 0
    .symbol:         _ZN7rocprim17ROCPRIM_400000_NS6detail17trampoline_kernelINS0_13select_configILj256ELj13ELNS0_17block_load_methodE3ELS4_3ELS4_3ELNS0_20block_scan_algorithmE0ELj4294967295EEENS1_25partition_config_selectorILNS1_17partition_subalgoE3EjNS0_10empty_typeEbEEZZNS1_14partition_implILS8_3ELb0ES6_jNS0_17counting_iteratorIjlEEPS9_SE_NS0_5tupleIJPjSE_EEENSF_IJSE_SE_EEES9_SG_JZNS1_25segmented_radix_sort_implINS0_14default_configELb1EPK12hip_bfloat16PSL_PKlPlN2at6native12_GLOBAL__N_18offset_tEEE10hipError_tPvRmT1_PNSt15iterator_traitsISZ_E10value_typeET2_T3_PNS10_IS15_E10value_typeET4_jRbjT5_S1B_jjP12ihipStream_tbEUljE_EEESW_SX_SY_S15_S19_S1B_T6_T7_T9_mT8_S1D_bDpT10_ENKUlT_T0_E_clISt17integral_constantIbLb0EES1P_IbLb1EEEEDaS1L_S1M_EUlS1L_E_NS1_11comp_targetILNS1_3genE0ELNS1_11target_archE4294967295ELNS1_3gpuE0ELNS1_3repE0EEENS1_30default_config_static_selectorELNS0_4arch9wavefront6targetE0EEEvSZ_.kd
    .uniform_work_group_size: 1
    .uses_dynamic_stack: false
    .vgpr_count:     72
    .vgpr_spill_count: 0
    .wavefront_size: 32
  - .args:
      - .offset:         0
        .size:           152
        .value_kind:     by_value
    .group_segment_fixed_size: 0
    .kernarg_segment_align: 8
    .kernarg_segment_size: 152
    .language:       OpenCL C
    .language_version:
      - 2
      - 0
    .max_flat_workgroup_size: 256
    .name:           _ZN7rocprim17ROCPRIM_400000_NS6detail17trampoline_kernelINS0_13select_configILj256ELj13ELNS0_17block_load_methodE3ELS4_3ELS4_3ELNS0_20block_scan_algorithmE0ELj4294967295EEENS1_25partition_config_selectorILNS1_17partition_subalgoE3EjNS0_10empty_typeEbEEZZNS1_14partition_implILS8_3ELb0ES6_jNS0_17counting_iteratorIjlEEPS9_SE_NS0_5tupleIJPjSE_EEENSF_IJSE_SE_EEES9_SG_JZNS1_25segmented_radix_sort_implINS0_14default_configELb1EPK12hip_bfloat16PSL_PKlPlN2at6native12_GLOBAL__N_18offset_tEEE10hipError_tPvRmT1_PNSt15iterator_traitsISZ_E10value_typeET2_T3_PNS10_IS15_E10value_typeET4_jRbjT5_S1B_jjP12ihipStream_tbEUljE_EEESW_SX_SY_S15_S19_S1B_T6_T7_T9_mT8_S1D_bDpT10_ENKUlT_T0_E_clISt17integral_constantIbLb0EES1P_IbLb1EEEEDaS1L_S1M_EUlS1L_E_NS1_11comp_targetILNS1_3genE5ELNS1_11target_archE942ELNS1_3gpuE9ELNS1_3repE0EEENS1_30default_config_static_selectorELNS0_4arch9wavefront6targetE0EEEvSZ_
    .private_segment_fixed_size: 0
    .sgpr_count:     0
    .sgpr_spill_count: 0
    .symbol:         _ZN7rocprim17ROCPRIM_400000_NS6detail17trampoline_kernelINS0_13select_configILj256ELj13ELNS0_17block_load_methodE3ELS4_3ELS4_3ELNS0_20block_scan_algorithmE0ELj4294967295EEENS1_25partition_config_selectorILNS1_17partition_subalgoE3EjNS0_10empty_typeEbEEZZNS1_14partition_implILS8_3ELb0ES6_jNS0_17counting_iteratorIjlEEPS9_SE_NS0_5tupleIJPjSE_EEENSF_IJSE_SE_EEES9_SG_JZNS1_25segmented_radix_sort_implINS0_14default_configELb1EPK12hip_bfloat16PSL_PKlPlN2at6native12_GLOBAL__N_18offset_tEEE10hipError_tPvRmT1_PNSt15iterator_traitsISZ_E10value_typeET2_T3_PNS10_IS15_E10value_typeET4_jRbjT5_S1B_jjP12ihipStream_tbEUljE_EEESW_SX_SY_S15_S19_S1B_T6_T7_T9_mT8_S1D_bDpT10_ENKUlT_T0_E_clISt17integral_constantIbLb0EES1P_IbLb1EEEEDaS1L_S1M_EUlS1L_E_NS1_11comp_targetILNS1_3genE5ELNS1_11target_archE942ELNS1_3gpuE9ELNS1_3repE0EEENS1_30default_config_static_selectorELNS0_4arch9wavefront6targetE0EEEvSZ_.kd
    .uniform_work_group_size: 1
    .uses_dynamic_stack: false
    .vgpr_count:     0
    .vgpr_spill_count: 0
    .wavefront_size: 32
  - .args:
      - .offset:         0
        .size:           152
        .value_kind:     by_value
    .group_segment_fixed_size: 0
    .kernarg_segment_align: 8
    .kernarg_segment_size: 152
    .language:       OpenCL C
    .language_version:
      - 2
      - 0
    .max_flat_workgroup_size: 256
    .name:           _ZN7rocprim17ROCPRIM_400000_NS6detail17trampoline_kernelINS0_13select_configILj256ELj13ELNS0_17block_load_methodE3ELS4_3ELS4_3ELNS0_20block_scan_algorithmE0ELj4294967295EEENS1_25partition_config_selectorILNS1_17partition_subalgoE3EjNS0_10empty_typeEbEEZZNS1_14partition_implILS8_3ELb0ES6_jNS0_17counting_iteratorIjlEEPS9_SE_NS0_5tupleIJPjSE_EEENSF_IJSE_SE_EEES9_SG_JZNS1_25segmented_radix_sort_implINS0_14default_configELb1EPK12hip_bfloat16PSL_PKlPlN2at6native12_GLOBAL__N_18offset_tEEE10hipError_tPvRmT1_PNSt15iterator_traitsISZ_E10value_typeET2_T3_PNS10_IS15_E10value_typeET4_jRbjT5_S1B_jjP12ihipStream_tbEUljE_EEESW_SX_SY_S15_S19_S1B_T6_T7_T9_mT8_S1D_bDpT10_ENKUlT_T0_E_clISt17integral_constantIbLb0EES1P_IbLb1EEEEDaS1L_S1M_EUlS1L_E_NS1_11comp_targetILNS1_3genE4ELNS1_11target_archE910ELNS1_3gpuE8ELNS1_3repE0EEENS1_30default_config_static_selectorELNS0_4arch9wavefront6targetE0EEEvSZ_
    .private_segment_fixed_size: 0
    .sgpr_count:     0
    .sgpr_spill_count: 0
    .symbol:         _ZN7rocprim17ROCPRIM_400000_NS6detail17trampoline_kernelINS0_13select_configILj256ELj13ELNS0_17block_load_methodE3ELS4_3ELS4_3ELNS0_20block_scan_algorithmE0ELj4294967295EEENS1_25partition_config_selectorILNS1_17partition_subalgoE3EjNS0_10empty_typeEbEEZZNS1_14partition_implILS8_3ELb0ES6_jNS0_17counting_iteratorIjlEEPS9_SE_NS0_5tupleIJPjSE_EEENSF_IJSE_SE_EEES9_SG_JZNS1_25segmented_radix_sort_implINS0_14default_configELb1EPK12hip_bfloat16PSL_PKlPlN2at6native12_GLOBAL__N_18offset_tEEE10hipError_tPvRmT1_PNSt15iterator_traitsISZ_E10value_typeET2_T3_PNS10_IS15_E10value_typeET4_jRbjT5_S1B_jjP12ihipStream_tbEUljE_EEESW_SX_SY_S15_S19_S1B_T6_T7_T9_mT8_S1D_bDpT10_ENKUlT_T0_E_clISt17integral_constantIbLb0EES1P_IbLb1EEEEDaS1L_S1M_EUlS1L_E_NS1_11comp_targetILNS1_3genE4ELNS1_11target_archE910ELNS1_3gpuE8ELNS1_3repE0EEENS1_30default_config_static_selectorELNS0_4arch9wavefront6targetE0EEEvSZ_.kd
    .uniform_work_group_size: 1
    .uses_dynamic_stack: false
    .vgpr_count:     0
    .vgpr_spill_count: 0
    .wavefront_size: 32
  - .args:
      - .offset:         0
        .size:           152
        .value_kind:     by_value
    .group_segment_fixed_size: 0
    .kernarg_segment_align: 8
    .kernarg_segment_size: 152
    .language:       OpenCL C
    .language_version:
      - 2
      - 0
    .max_flat_workgroup_size: 256
    .name:           _ZN7rocprim17ROCPRIM_400000_NS6detail17trampoline_kernelINS0_13select_configILj256ELj13ELNS0_17block_load_methodE3ELS4_3ELS4_3ELNS0_20block_scan_algorithmE0ELj4294967295EEENS1_25partition_config_selectorILNS1_17partition_subalgoE3EjNS0_10empty_typeEbEEZZNS1_14partition_implILS8_3ELb0ES6_jNS0_17counting_iteratorIjlEEPS9_SE_NS0_5tupleIJPjSE_EEENSF_IJSE_SE_EEES9_SG_JZNS1_25segmented_radix_sort_implINS0_14default_configELb1EPK12hip_bfloat16PSL_PKlPlN2at6native12_GLOBAL__N_18offset_tEEE10hipError_tPvRmT1_PNSt15iterator_traitsISZ_E10value_typeET2_T3_PNS10_IS15_E10value_typeET4_jRbjT5_S1B_jjP12ihipStream_tbEUljE_EEESW_SX_SY_S15_S19_S1B_T6_T7_T9_mT8_S1D_bDpT10_ENKUlT_T0_E_clISt17integral_constantIbLb0EES1P_IbLb1EEEEDaS1L_S1M_EUlS1L_E_NS1_11comp_targetILNS1_3genE3ELNS1_11target_archE908ELNS1_3gpuE7ELNS1_3repE0EEENS1_30default_config_static_selectorELNS0_4arch9wavefront6targetE0EEEvSZ_
    .private_segment_fixed_size: 0
    .sgpr_count:     0
    .sgpr_spill_count: 0
    .symbol:         _ZN7rocprim17ROCPRIM_400000_NS6detail17trampoline_kernelINS0_13select_configILj256ELj13ELNS0_17block_load_methodE3ELS4_3ELS4_3ELNS0_20block_scan_algorithmE0ELj4294967295EEENS1_25partition_config_selectorILNS1_17partition_subalgoE3EjNS0_10empty_typeEbEEZZNS1_14partition_implILS8_3ELb0ES6_jNS0_17counting_iteratorIjlEEPS9_SE_NS0_5tupleIJPjSE_EEENSF_IJSE_SE_EEES9_SG_JZNS1_25segmented_radix_sort_implINS0_14default_configELb1EPK12hip_bfloat16PSL_PKlPlN2at6native12_GLOBAL__N_18offset_tEEE10hipError_tPvRmT1_PNSt15iterator_traitsISZ_E10value_typeET2_T3_PNS10_IS15_E10value_typeET4_jRbjT5_S1B_jjP12ihipStream_tbEUljE_EEESW_SX_SY_S15_S19_S1B_T6_T7_T9_mT8_S1D_bDpT10_ENKUlT_T0_E_clISt17integral_constantIbLb0EES1P_IbLb1EEEEDaS1L_S1M_EUlS1L_E_NS1_11comp_targetILNS1_3genE3ELNS1_11target_archE908ELNS1_3gpuE7ELNS1_3repE0EEENS1_30default_config_static_selectorELNS0_4arch9wavefront6targetE0EEEvSZ_.kd
    .uniform_work_group_size: 1
    .uses_dynamic_stack: false
    .vgpr_count:     0
    .vgpr_spill_count: 0
    .wavefront_size: 32
  - .args:
      - .offset:         0
        .size:           152
        .value_kind:     by_value
    .group_segment_fixed_size: 0
    .kernarg_segment_align: 8
    .kernarg_segment_size: 152
    .language:       OpenCL C
    .language_version:
      - 2
      - 0
    .max_flat_workgroup_size: 256
    .name:           _ZN7rocprim17ROCPRIM_400000_NS6detail17trampoline_kernelINS0_13select_configILj256ELj13ELNS0_17block_load_methodE3ELS4_3ELS4_3ELNS0_20block_scan_algorithmE0ELj4294967295EEENS1_25partition_config_selectorILNS1_17partition_subalgoE3EjNS0_10empty_typeEbEEZZNS1_14partition_implILS8_3ELb0ES6_jNS0_17counting_iteratorIjlEEPS9_SE_NS0_5tupleIJPjSE_EEENSF_IJSE_SE_EEES9_SG_JZNS1_25segmented_radix_sort_implINS0_14default_configELb1EPK12hip_bfloat16PSL_PKlPlN2at6native12_GLOBAL__N_18offset_tEEE10hipError_tPvRmT1_PNSt15iterator_traitsISZ_E10value_typeET2_T3_PNS10_IS15_E10value_typeET4_jRbjT5_S1B_jjP12ihipStream_tbEUljE_EEESW_SX_SY_S15_S19_S1B_T6_T7_T9_mT8_S1D_bDpT10_ENKUlT_T0_E_clISt17integral_constantIbLb0EES1P_IbLb1EEEEDaS1L_S1M_EUlS1L_E_NS1_11comp_targetILNS1_3genE2ELNS1_11target_archE906ELNS1_3gpuE6ELNS1_3repE0EEENS1_30default_config_static_selectorELNS0_4arch9wavefront6targetE0EEEvSZ_
    .private_segment_fixed_size: 0
    .sgpr_count:     0
    .sgpr_spill_count: 0
    .symbol:         _ZN7rocprim17ROCPRIM_400000_NS6detail17trampoline_kernelINS0_13select_configILj256ELj13ELNS0_17block_load_methodE3ELS4_3ELS4_3ELNS0_20block_scan_algorithmE0ELj4294967295EEENS1_25partition_config_selectorILNS1_17partition_subalgoE3EjNS0_10empty_typeEbEEZZNS1_14partition_implILS8_3ELb0ES6_jNS0_17counting_iteratorIjlEEPS9_SE_NS0_5tupleIJPjSE_EEENSF_IJSE_SE_EEES9_SG_JZNS1_25segmented_radix_sort_implINS0_14default_configELb1EPK12hip_bfloat16PSL_PKlPlN2at6native12_GLOBAL__N_18offset_tEEE10hipError_tPvRmT1_PNSt15iterator_traitsISZ_E10value_typeET2_T3_PNS10_IS15_E10value_typeET4_jRbjT5_S1B_jjP12ihipStream_tbEUljE_EEESW_SX_SY_S15_S19_S1B_T6_T7_T9_mT8_S1D_bDpT10_ENKUlT_T0_E_clISt17integral_constantIbLb0EES1P_IbLb1EEEEDaS1L_S1M_EUlS1L_E_NS1_11comp_targetILNS1_3genE2ELNS1_11target_archE906ELNS1_3gpuE6ELNS1_3repE0EEENS1_30default_config_static_selectorELNS0_4arch9wavefront6targetE0EEEvSZ_.kd
    .uniform_work_group_size: 1
    .uses_dynamic_stack: false
    .vgpr_count:     0
    .vgpr_spill_count: 0
    .wavefront_size: 32
  - .args:
      - .offset:         0
        .size:           152
        .value_kind:     by_value
    .group_segment_fixed_size: 0
    .kernarg_segment_align: 8
    .kernarg_segment_size: 152
    .language:       OpenCL C
    .language_version:
      - 2
      - 0
    .max_flat_workgroup_size: 256
    .name:           _ZN7rocprim17ROCPRIM_400000_NS6detail17trampoline_kernelINS0_13select_configILj256ELj13ELNS0_17block_load_methodE3ELS4_3ELS4_3ELNS0_20block_scan_algorithmE0ELj4294967295EEENS1_25partition_config_selectorILNS1_17partition_subalgoE3EjNS0_10empty_typeEbEEZZNS1_14partition_implILS8_3ELb0ES6_jNS0_17counting_iteratorIjlEEPS9_SE_NS0_5tupleIJPjSE_EEENSF_IJSE_SE_EEES9_SG_JZNS1_25segmented_radix_sort_implINS0_14default_configELb1EPK12hip_bfloat16PSL_PKlPlN2at6native12_GLOBAL__N_18offset_tEEE10hipError_tPvRmT1_PNSt15iterator_traitsISZ_E10value_typeET2_T3_PNS10_IS15_E10value_typeET4_jRbjT5_S1B_jjP12ihipStream_tbEUljE_EEESW_SX_SY_S15_S19_S1B_T6_T7_T9_mT8_S1D_bDpT10_ENKUlT_T0_E_clISt17integral_constantIbLb0EES1P_IbLb1EEEEDaS1L_S1M_EUlS1L_E_NS1_11comp_targetILNS1_3genE10ELNS1_11target_archE1200ELNS1_3gpuE4ELNS1_3repE0EEENS1_30default_config_static_selectorELNS0_4arch9wavefront6targetE0EEEvSZ_
    .private_segment_fixed_size: 0
    .sgpr_count:     0
    .sgpr_spill_count: 0
    .symbol:         _ZN7rocprim17ROCPRIM_400000_NS6detail17trampoline_kernelINS0_13select_configILj256ELj13ELNS0_17block_load_methodE3ELS4_3ELS4_3ELNS0_20block_scan_algorithmE0ELj4294967295EEENS1_25partition_config_selectorILNS1_17partition_subalgoE3EjNS0_10empty_typeEbEEZZNS1_14partition_implILS8_3ELb0ES6_jNS0_17counting_iteratorIjlEEPS9_SE_NS0_5tupleIJPjSE_EEENSF_IJSE_SE_EEES9_SG_JZNS1_25segmented_radix_sort_implINS0_14default_configELb1EPK12hip_bfloat16PSL_PKlPlN2at6native12_GLOBAL__N_18offset_tEEE10hipError_tPvRmT1_PNSt15iterator_traitsISZ_E10value_typeET2_T3_PNS10_IS15_E10value_typeET4_jRbjT5_S1B_jjP12ihipStream_tbEUljE_EEESW_SX_SY_S15_S19_S1B_T6_T7_T9_mT8_S1D_bDpT10_ENKUlT_T0_E_clISt17integral_constantIbLb0EES1P_IbLb1EEEEDaS1L_S1M_EUlS1L_E_NS1_11comp_targetILNS1_3genE10ELNS1_11target_archE1200ELNS1_3gpuE4ELNS1_3repE0EEENS1_30default_config_static_selectorELNS0_4arch9wavefront6targetE0EEEvSZ_.kd
    .uniform_work_group_size: 1
    .uses_dynamic_stack: false
    .vgpr_count:     0
    .vgpr_spill_count: 0
    .wavefront_size: 32
  - .args:
      - .offset:         0
        .size:           152
        .value_kind:     by_value
    .group_segment_fixed_size: 0
    .kernarg_segment_align: 8
    .kernarg_segment_size: 152
    .language:       OpenCL C
    .language_version:
      - 2
      - 0
    .max_flat_workgroup_size: 256
    .name:           _ZN7rocprim17ROCPRIM_400000_NS6detail17trampoline_kernelINS0_13select_configILj256ELj13ELNS0_17block_load_methodE3ELS4_3ELS4_3ELNS0_20block_scan_algorithmE0ELj4294967295EEENS1_25partition_config_selectorILNS1_17partition_subalgoE3EjNS0_10empty_typeEbEEZZNS1_14partition_implILS8_3ELb0ES6_jNS0_17counting_iteratorIjlEEPS9_SE_NS0_5tupleIJPjSE_EEENSF_IJSE_SE_EEES9_SG_JZNS1_25segmented_radix_sort_implINS0_14default_configELb1EPK12hip_bfloat16PSL_PKlPlN2at6native12_GLOBAL__N_18offset_tEEE10hipError_tPvRmT1_PNSt15iterator_traitsISZ_E10value_typeET2_T3_PNS10_IS15_E10value_typeET4_jRbjT5_S1B_jjP12ihipStream_tbEUljE_EEESW_SX_SY_S15_S19_S1B_T6_T7_T9_mT8_S1D_bDpT10_ENKUlT_T0_E_clISt17integral_constantIbLb0EES1P_IbLb1EEEEDaS1L_S1M_EUlS1L_E_NS1_11comp_targetILNS1_3genE9ELNS1_11target_archE1100ELNS1_3gpuE3ELNS1_3repE0EEENS1_30default_config_static_selectorELNS0_4arch9wavefront6targetE0EEEvSZ_
    .private_segment_fixed_size: 0
    .sgpr_count:     0
    .sgpr_spill_count: 0
    .symbol:         _ZN7rocprim17ROCPRIM_400000_NS6detail17trampoline_kernelINS0_13select_configILj256ELj13ELNS0_17block_load_methodE3ELS4_3ELS4_3ELNS0_20block_scan_algorithmE0ELj4294967295EEENS1_25partition_config_selectorILNS1_17partition_subalgoE3EjNS0_10empty_typeEbEEZZNS1_14partition_implILS8_3ELb0ES6_jNS0_17counting_iteratorIjlEEPS9_SE_NS0_5tupleIJPjSE_EEENSF_IJSE_SE_EEES9_SG_JZNS1_25segmented_radix_sort_implINS0_14default_configELb1EPK12hip_bfloat16PSL_PKlPlN2at6native12_GLOBAL__N_18offset_tEEE10hipError_tPvRmT1_PNSt15iterator_traitsISZ_E10value_typeET2_T3_PNS10_IS15_E10value_typeET4_jRbjT5_S1B_jjP12ihipStream_tbEUljE_EEESW_SX_SY_S15_S19_S1B_T6_T7_T9_mT8_S1D_bDpT10_ENKUlT_T0_E_clISt17integral_constantIbLb0EES1P_IbLb1EEEEDaS1L_S1M_EUlS1L_E_NS1_11comp_targetILNS1_3genE9ELNS1_11target_archE1100ELNS1_3gpuE3ELNS1_3repE0EEENS1_30default_config_static_selectorELNS0_4arch9wavefront6targetE0EEEvSZ_.kd
    .uniform_work_group_size: 1
    .uses_dynamic_stack: false
    .vgpr_count:     0
    .vgpr_spill_count: 0
    .wavefront_size: 32
  - .args:
      - .offset:         0
        .size:           152
        .value_kind:     by_value
    .group_segment_fixed_size: 0
    .kernarg_segment_align: 8
    .kernarg_segment_size: 152
    .language:       OpenCL C
    .language_version:
      - 2
      - 0
    .max_flat_workgroup_size: 256
    .name:           _ZN7rocprim17ROCPRIM_400000_NS6detail17trampoline_kernelINS0_13select_configILj256ELj13ELNS0_17block_load_methodE3ELS4_3ELS4_3ELNS0_20block_scan_algorithmE0ELj4294967295EEENS1_25partition_config_selectorILNS1_17partition_subalgoE3EjNS0_10empty_typeEbEEZZNS1_14partition_implILS8_3ELb0ES6_jNS0_17counting_iteratorIjlEEPS9_SE_NS0_5tupleIJPjSE_EEENSF_IJSE_SE_EEES9_SG_JZNS1_25segmented_radix_sort_implINS0_14default_configELb1EPK12hip_bfloat16PSL_PKlPlN2at6native12_GLOBAL__N_18offset_tEEE10hipError_tPvRmT1_PNSt15iterator_traitsISZ_E10value_typeET2_T3_PNS10_IS15_E10value_typeET4_jRbjT5_S1B_jjP12ihipStream_tbEUljE_EEESW_SX_SY_S15_S19_S1B_T6_T7_T9_mT8_S1D_bDpT10_ENKUlT_T0_E_clISt17integral_constantIbLb0EES1P_IbLb1EEEEDaS1L_S1M_EUlS1L_E_NS1_11comp_targetILNS1_3genE8ELNS1_11target_archE1030ELNS1_3gpuE2ELNS1_3repE0EEENS1_30default_config_static_selectorELNS0_4arch9wavefront6targetE0EEEvSZ_
    .private_segment_fixed_size: 0
    .sgpr_count:     0
    .sgpr_spill_count: 0
    .symbol:         _ZN7rocprim17ROCPRIM_400000_NS6detail17trampoline_kernelINS0_13select_configILj256ELj13ELNS0_17block_load_methodE3ELS4_3ELS4_3ELNS0_20block_scan_algorithmE0ELj4294967295EEENS1_25partition_config_selectorILNS1_17partition_subalgoE3EjNS0_10empty_typeEbEEZZNS1_14partition_implILS8_3ELb0ES6_jNS0_17counting_iteratorIjlEEPS9_SE_NS0_5tupleIJPjSE_EEENSF_IJSE_SE_EEES9_SG_JZNS1_25segmented_radix_sort_implINS0_14default_configELb1EPK12hip_bfloat16PSL_PKlPlN2at6native12_GLOBAL__N_18offset_tEEE10hipError_tPvRmT1_PNSt15iterator_traitsISZ_E10value_typeET2_T3_PNS10_IS15_E10value_typeET4_jRbjT5_S1B_jjP12ihipStream_tbEUljE_EEESW_SX_SY_S15_S19_S1B_T6_T7_T9_mT8_S1D_bDpT10_ENKUlT_T0_E_clISt17integral_constantIbLb0EES1P_IbLb1EEEEDaS1L_S1M_EUlS1L_E_NS1_11comp_targetILNS1_3genE8ELNS1_11target_archE1030ELNS1_3gpuE2ELNS1_3repE0EEENS1_30default_config_static_selectorELNS0_4arch9wavefront6targetE0EEEvSZ_.kd
    .uniform_work_group_size: 1
    .uses_dynamic_stack: false
    .vgpr_count:     0
    .vgpr_spill_count: 0
    .wavefront_size: 32
  - .args:
      - .offset:         0
        .size:           96
        .value_kind:     by_value
      - .offset:         96
        .size:           4
        .value_kind:     hidden_block_count_x
      - .offset:         100
        .size:           4
        .value_kind:     hidden_block_count_y
      - .offset:         104
        .size:           4
        .value_kind:     hidden_block_count_z
      - .offset:         108
        .size:           2
        .value_kind:     hidden_group_size_x
      - .offset:         110
        .size:           2
        .value_kind:     hidden_group_size_y
      - .offset:         112
        .size:           2
        .value_kind:     hidden_group_size_z
      - .offset:         114
        .size:           2
        .value_kind:     hidden_remainder_x
      - .offset:         116
        .size:           2
        .value_kind:     hidden_remainder_y
      - .offset:         118
        .size:           2
        .value_kind:     hidden_remainder_z
      - .offset:         136
        .size:           8
        .value_kind:     hidden_global_offset_x
      - .offset:         144
        .size:           8
        .value_kind:     hidden_global_offset_y
      - .offset:         152
        .size:           8
        .value_kind:     hidden_global_offset_z
      - .offset:         160
        .size:           2
        .value_kind:     hidden_grid_dims
      - .offset:         176
        .size:           8
        .value_kind:     hidden_hostcall_buffer
      - .offset:         184
        .size:           8
        .value_kind:     hidden_multigrid_sync_arg
      - .offset:         192
        .size:           8
        .value_kind:     hidden_heap_v1
      - .offset:         200
        .size:           8
        .value_kind:     hidden_default_queue
      - .offset:         208
        .size:           8
        .value_kind:     hidden_completion_action
      - .offset:         296
        .size:           8
        .value_kind:     hidden_queue_ptr
    .group_segment_fixed_size: 33824
    .kernarg_segment_align: 8
    .kernarg_segment_size: 352
    .language:       OpenCL C
    .language_version:
      - 2
      - 0
    .max_flat_workgroup_size: 256
    .name:           _ZN7rocprim17ROCPRIM_400000_NS6detail17trampoline_kernelINS0_14default_configENS1_36segmented_radix_sort_config_selectorI12hip_bfloat16lEEZNS1_25segmented_radix_sort_implIS3_Lb1EPKS5_PS5_PKlPlN2at6native12_GLOBAL__N_18offset_tEEE10hipError_tPvRmT1_PNSt15iterator_traitsISL_E10value_typeET2_T3_PNSM_ISR_E10value_typeET4_jRbjT5_SX_jjP12ihipStream_tbEUlT_E_NS1_11comp_targetILNS1_3genE0ELNS1_11target_archE4294967295ELNS1_3gpuE0ELNS1_3repE0EEENS1_30default_config_static_selectorELNS0_4arch9wavefront6targetE0EEEvSL_
    .private_segment_fixed_size: 0
    .sgpr_count:     61
    .sgpr_spill_count: 0
    .symbol:         _ZN7rocprim17ROCPRIM_400000_NS6detail17trampoline_kernelINS0_14default_configENS1_36segmented_radix_sort_config_selectorI12hip_bfloat16lEEZNS1_25segmented_radix_sort_implIS3_Lb1EPKS5_PS5_PKlPlN2at6native12_GLOBAL__N_18offset_tEEE10hipError_tPvRmT1_PNSt15iterator_traitsISL_E10value_typeET2_T3_PNSM_ISR_E10value_typeET4_jRbjT5_SX_jjP12ihipStream_tbEUlT_E_NS1_11comp_targetILNS1_3genE0ELNS1_11target_archE4294967295ELNS1_3gpuE0ELNS1_3repE0EEENS1_30default_config_static_selectorELNS0_4arch9wavefront6targetE0EEEvSL_.kd
    .uniform_work_group_size: 1
    .uses_dynamic_stack: false
    .vgpr_count:     304
    .vgpr_spill_count: 0
    .wavefront_size: 32
  - .args:
      - .offset:         0
        .size:           96
        .value_kind:     by_value
    .group_segment_fixed_size: 0
    .kernarg_segment_align: 8
    .kernarg_segment_size: 96
    .language:       OpenCL C
    .language_version:
      - 2
      - 0
    .max_flat_workgroup_size: 256
    .name:           _ZN7rocprim17ROCPRIM_400000_NS6detail17trampoline_kernelINS0_14default_configENS1_36segmented_radix_sort_config_selectorI12hip_bfloat16lEEZNS1_25segmented_radix_sort_implIS3_Lb1EPKS5_PS5_PKlPlN2at6native12_GLOBAL__N_18offset_tEEE10hipError_tPvRmT1_PNSt15iterator_traitsISL_E10value_typeET2_T3_PNSM_ISR_E10value_typeET4_jRbjT5_SX_jjP12ihipStream_tbEUlT_E_NS1_11comp_targetILNS1_3genE5ELNS1_11target_archE942ELNS1_3gpuE9ELNS1_3repE0EEENS1_30default_config_static_selectorELNS0_4arch9wavefront6targetE0EEEvSL_
    .private_segment_fixed_size: 0
    .sgpr_count:     0
    .sgpr_spill_count: 0
    .symbol:         _ZN7rocprim17ROCPRIM_400000_NS6detail17trampoline_kernelINS0_14default_configENS1_36segmented_radix_sort_config_selectorI12hip_bfloat16lEEZNS1_25segmented_radix_sort_implIS3_Lb1EPKS5_PS5_PKlPlN2at6native12_GLOBAL__N_18offset_tEEE10hipError_tPvRmT1_PNSt15iterator_traitsISL_E10value_typeET2_T3_PNSM_ISR_E10value_typeET4_jRbjT5_SX_jjP12ihipStream_tbEUlT_E_NS1_11comp_targetILNS1_3genE5ELNS1_11target_archE942ELNS1_3gpuE9ELNS1_3repE0EEENS1_30default_config_static_selectorELNS0_4arch9wavefront6targetE0EEEvSL_.kd
    .uniform_work_group_size: 1
    .uses_dynamic_stack: false
    .vgpr_count:     0
    .vgpr_spill_count: 0
    .wavefront_size: 32
  - .args:
      - .offset:         0
        .size:           96
        .value_kind:     by_value
    .group_segment_fixed_size: 0
    .kernarg_segment_align: 8
    .kernarg_segment_size: 96
    .language:       OpenCL C
    .language_version:
      - 2
      - 0
    .max_flat_workgroup_size: 256
    .name:           _ZN7rocprim17ROCPRIM_400000_NS6detail17trampoline_kernelINS0_14default_configENS1_36segmented_radix_sort_config_selectorI12hip_bfloat16lEEZNS1_25segmented_radix_sort_implIS3_Lb1EPKS5_PS5_PKlPlN2at6native12_GLOBAL__N_18offset_tEEE10hipError_tPvRmT1_PNSt15iterator_traitsISL_E10value_typeET2_T3_PNSM_ISR_E10value_typeET4_jRbjT5_SX_jjP12ihipStream_tbEUlT_E_NS1_11comp_targetILNS1_3genE4ELNS1_11target_archE910ELNS1_3gpuE8ELNS1_3repE0EEENS1_30default_config_static_selectorELNS0_4arch9wavefront6targetE0EEEvSL_
    .private_segment_fixed_size: 0
    .sgpr_count:     0
    .sgpr_spill_count: 0
    .symbol:         _ZN7rocprim17ROCPRIM_400000_NS6detail17trampoline_kernelINS0_14default_configENS1_36segmented_radix_sort_config_selectorI12hip_bfloat16lEEZNS1_25segmented_radix_sort_implIS3_Lb1EPKS5_PS5_PKlPlN2at6native12_GLOBAL__N_18offset_tEEE10hipError_tPvRmT1_PNSt15iterator_traitsISL_E10value_typeET2_T3_PNSM_ISR_E10value_typeET4_jRbjT5_SX_jjP12ihipStream_tbEUlT_E_NS1_11comp_targetILNS1_3genE4ELNS1_11target_archE910ELNS1_3gpuE8ELNS1_3repE0EEENS1_30default_config_static_selectorELNS0_4arch9wavefront6targetE0EEEvSL_.kd
    .uniform_work_group_size: 1
    .uses_dynamic_stack: false
    .vgpr_count:     0
    .vgpr_spill_count: 0
    .wavefront_size: 32
  - .args:
      - .offset:         0
        .size:           96
        .value_kind:     by_value
    .group_segment_fixed_size: 0
    .kernarg_segment_align: 8
    .kernarg_segment_size: 96
    .language:       OpenCL C
    .language_version:
      - 2
      - 0
    .max_flat_workgroup_size: 256
    .name:           _ZN7rocprim17ROCPRIM_400000_NS6detail17trampoline_kernelINS0_14default_configENS1_36segmented_radix_sort_config_selectorI12hip_bfloat16lEEZNS1_25segmented_radix_sort_implIS3_Lb1EPKS5_PS5_PKlPlN2at6native12_GLOBAL__N_18offset_tEEE10hipError_tPvRmT1_PNSt15iterator_traitsISL_E10value_typeET2_T3_PNSM_ISR_E10value_typeET4_jRbjT5_SX_jjP12ihipStream_tbEUlT_E_NS1_11comp_targetILNS1_3genE3ELNS1_11target_archE908ELNS1_3gpuE7ELNS1_3repE0EEENS1_30default_config_static_selectorELNS0_4arch9wavefront6targetE0EEEvSL_
    .private_segment_fixed_size: 0
    .sgpr_count:     0
    .sgpr_spill_count: 0
    .symbol:         _ZN7rocprim17ROCPRIM_400000_NS6detail17trampoline_kernelINS0_14default_configENS1_36segmented_radix_sort_config_selectorI12hip_bfloat16lEEZNS1_25segmented_radix_sort_implIS3_Lb1EPKS5_PS5_PKlPlN2at6native12_GLOBAL__N_18offset_tEEE10hipError_tPvRmT1_PNSt15iterator_traitsISL_E10value_typeET2_T3_PNSM_ISR_E10value_typeET4_jRbjT5_SX_jjP12ihipStream_tbEUlT_E_NS1_11comp_targetILNS1_3genE3ELNS1_11target_archE908ELNS1_3gpuE7ELNS1_3repE0EEENS1_30default_config_static_selectorELNS0_4arch9wavefront6targetE0EEEvSL_.kd
    .uniform_work_group_size: 1
    .uses_dynamic_stack: false
    .vgpr_count:     0
    .vgpr_spill_count: 0
    .wavefront_size: 32
  - .args:
      - .offset:         0
        .size:           96
        .value_kind:     by_value
    .group_segment_fixed_size: 0
    .kernarg_segment_align: 8
    .kernarg_segment_size: 96
    .language:       OpenCL C
    .language_version:
      - 2
      - 0
    .max_flat_workgroup_size: 256
    .name:           _ZN7rocprim17ROCPRIM_400000_NS6detail17trampoline_kernelINS0_14default_configENS1_36segmented_radix_sort_config_selectorI12hip_bfloat16lEEZNS1_25segmented_radix_sort_implIS3_Lb1EPKS5_PS5_PKlPlN2at6native12_GLOBAL__N_18offset_tEEE10hipError_tPvRmT1_PNSt15iterator_traitsISL_E10value_typeET2_T3_PNSM_ISR_E10value_typeET4_jRbjT5_SX_jjP12ihipStream_tbEUlT_E_NS1_11comp_targetILNS1_3genE2ELNS1_11target_archE906ELNS1_3gpuE6ELNS1_3repE0EEENS1_30default_config_static_selectorELNS0_4arch9wavefront6targetE0EEEvSL_
    .private_segment_fixed_size: 0
    .sgpr_count:     0
    .sgpr_spill_count: 0
    .symbol:         _ZN7rocprim17ROCPRIM_400000_NS6detail17trampoline_kernelINS0_14default_configENS1_36segmented_radix_sort_config_selectorI12hip_bfloat16lEEZNS1_25segmented_radix_sort_implIS3_Lb1EPKS5_PS5_PKlPlN2at6native12_GLOBAL__N_18offset_tEEE10hipError_tPvRmT1_PNSt15iterator_traitsISL_E10value_typeET2_T3_PNSM_ISR_E10value_typeET4_jRbjT5_SX_jjP12ihipStream_tbEUlT_E_NS1_11comp_targetILNS1_3genE2ELNS1_11target_archE906ELNS1_3gpuE6ELNS1_3repE0EEENS1_30default_config_static_selectorELNS0_4arch9wavefront6targetE0EEEvSL_.kd
    .uniform_work_group_size: 1
    .uses_dynamic_stack: false
    .vgpr_count:     0
    .vgpr_spill_count: 0
    .wavefront_size: 32
  - .args:
      - .offset:         0
        .size:           96
        .value_kind:     by_value
    .group_segment_fixed_size: 0
    .kernarg_segment_align: 8
    .kernarg_segment_size: 96
    .language:       OpenCL C
    .language_version:
      - 2
      - 0
    .max_flat_workgroup_size: 256
    .name:           _ZN7rocprim17ROCPRIM_400000_NS6detail17trampoline_kernelINS0_14default_configENS1_36segmented_radix_sort_config_selectorI12hip_bfloat16lEEZNS1_25segmented_radix_sort_implIS3_Lb1EPKS5_PS5_PKlPlN2at6native12_GLOBAL__N_18offset_tEEE10hipError_tPvRmT1_PNSt15iterator_traitsISL_E10value_typeET2_T3_PNSM_ISR_E10value_typeET4_jRbjT5_SX_jjP12ihipStream_tbEUlT_E_NS1_11comp_targetILNS1_3genE10ELNS1_11target_archE1201ELNS1_3gpuE5ELNS1_3repE0EEENS1_30default_config_static_selectorELNS0_4arch9wavefront6targetE0EEEvSL_
    .private_segment_fixed_size: 0
    .sgpr_count:     0
    .sgpr_spill_count: 0
    .symbol:         _ZN7rocprim17ROCPRIM_400000_NS6detail17trampoline_kernelINS0_14default_configENS1_36segmented_radix_sort_config_selectorI12hip_bfloat16lEEZNS1_25segmented_radix_sort_implIS3_Lb1EPKS5_PS5_PKlPlN2at6native12_GLOBAL__N_18offset_tEEE10hipError_tPvRmT1_PNSt15iterator_traitsISL_E10value_typeET2_T3_PNSM_ISR_E10value_typeET4_jRbjT5_SX_jjP12ihipStream_tbEUlT_E_NS1_11comp_targetILNS1_3genE10ELNS1_11target_archE1201ELNS1_3gpuE5ELNS1_3repE0EEENS1_30default_config_static_selectorELNS0_4arch9wavefront6targetE0EEEvSL_.kd
    .uniform_work_group_size: 1
    .uses_dynamic_stack: false
    .vgpr_count:     0
    .vgpr_spill_count: 0
    .wavefront_size: 32
  - .args:
      - .offset:         0
        .size:           96
        .value_kind:     by_value
    .group_segment_fixed_size: 0
    .kernarg_segment_align: 8
    .kernarg_segment_size: 96
    .language:       OpenCL C
    .language_version:
      - 2
      - 0
    .max_flat_workgroup_size: 128
    .name:           _ZN7rocprim17ROCPRIM_400000_NS6detail17trampoline_kernelINS0_14default_configENS1_36segmented_radix_sort_config_selectorI12hip_bfloat16lEEZNS1_25segmented_radix_sort_implIS3_Lb1EPKS5_PS5_PKlPlN2at6native12_GLOBAL__N_18offset_tEEE10hipError_tPvRmT1_PNSt15iterator_traitsISL_E10value_typeET2_T3_PNSM_ISR_E10value_typeET4_jRbjT5_SX_jjP12ihipStream_tbEUlT_E_NS1_11comp_targetILNS1_3genE10ELNS1_11target_archE1200ELNS1_3gpuE4ELNS1_3repE0EEENS1_30default_config_static_selectorELNS0_4arch9wavefront6targetE0EEEvSL_
    .private_segment_fixed_size: 0
    .sgpr_count:     0
    .sgpr_spill_count: 0
    .symbol:         _ZN7rocprim17ROCPRIM_400000_NS6detail17trampoline_kernelINS0_14default_configENS1_36segmented_radix_sort_config_selectorI12hip_bfloat16lEEZNS1_25segmented_radix_sort_implIS3_Lb1EPKS5_PS5_PKlPlN2at6native12_GLOBAL__N_18offset_tEEE10hipError_tPvRmT1_PNSt15iterator_traitsISL_E10value_typeET2_T3_PNSM_ISR_E10value_typeET4_jRbjT5_SX_jjP12ihipStream_tbEUlT_E_NS1_11comp_targetILNS1_3genE10ELNS1_11target_archE1200ELNS1_3gpuE4ELNS1_3repE0EEENS1_30default_config_static_selectorELNS0_4arch9wavefront6targetE0EEEvSL_.kd
    .uniform_work_group_size: 1
    .uses_dynamic_stack: false
    .vgpr_count:     0
    .vgpr_spill_count: 0
    .wavefront_size: 32
  - .args:
      - .offset:         0
        .size:           96
        .value_kind:     by_value
    .group_segment_fixed_size: 0
    .kernarg_segment_align: 8
    .kernarg_segment_size: 96
    .language:       OpenCL C
    .language_version:
      - 2
      - 0
    .max_flat_workgroup_size: 256
    .name:           _ZN7rocprim17ROCPRIM_400000_NS6detail17trampoline_kernelINS0_14default_configENS1_36segmented_radix_sort_config_selectorI12hip_bfloat16lEEZNS1_25segmented_radix_sort_implIS3_Lb1EPKS5_PS5_PKlPlN2at6native12_GLOBAL__N_18offset_tEEE10hipError_tPvRmT1_PNSt15iterator_traitsISL_E10value_typeET2_T3_PNSM_ISR_E10value_typeET4_jRbjT5_SX_jjP12ihipStream_tbEUlT_E_NS1_11comp_targetILNS1_3genE9ELNS1_11target_archE1100ELNS1_3gpuE3ELNS1_3repE0EEENS1_30default_config_static_selectorELNS0_4arch9wavefront6targetE0EEEvSL_
    .private_segment_fixed_size: 0
    .sgpr_count:     0
    .sgpr_spill_count: 0
    .symbol:         _ZN7rocprim17ROCPRIM_400000_NS6detail17trampoline_kernelINS0_14default_configENS1_36segmented_radix_sort_config_selectorI12hip_bfloat16lEEZNS1_25segmented_radix_sort_implIS3_Lb1EPKS5_PS5_PKlPlN2at6native12_GLOBAL__N_18offset_tEEE10hipError_tPvRmT1_PNSt15iterator_traitsISL_E10value_typeET2_T3_PNSM_ISR_E10value_typeET4_jRbjT5_SX_jjP12ihipStream_tbEUlT_E_NS1_11comp_targetILNS1_3genE9ELNS1_11target_archE1100ELNS1_3gpuE3ELNS1_3repE0EEENS1_30default_config_static_selectorELNS0_4arch9wavefront6targetE0EEEvSL_.kd
    .uniform_work_group_size: 1
    .uses_dynamic_stack: false
    .vgpr_count:     0
    .vgpr_spill_count: 0
    .wavefront_size: 32
  - .args:
      - .offset:         0
        .size:           96
        .value_kind:     by_value
    .group_segment_fixed_size: 0
    .kernarg_segment_align: 8
    .kernarg_segment_size: 96
    .language:       OpenCL C
    .language_version:
      - 2
      - 0
    .max_flat_workgroup_size: 256
    .name:           _ZN7rocprim17ROCPRIM_400000_NS6detail17trampoline_kernelINS0_14default_configENS1_36segmented_radix_sort_config_selectorI12hip_bfloat16lEEZNS1_25segmented_radix_sort_implIS3_Lb1EPKS5_PS5_PKlPlN2at6native12_GLOBAL__N_18offset_tEEE10hipError_tPvRmT1_PNSt15iterator_traitsISL_E10value_typeET2_T3_PNSM_ISR_E10value_typeET4_jRbjT5_SX_jjP12ihipStream_tbEUlT_E_NS1_11comp_targetILNS1_3genE8ELNS1_11target_archE1030ELNS1_3gpuE2ELNS1_3repE0EEENS1_30default_config_static_selectorELNS0_4arch9wavefront6targetE0EEEvSL_
    .private_segment_fixed_size: 0
    .sgpr_count:     0
    .sgpr_spill_count: 0
    .symbol:         _ZN7rocprim17ROCPRIM_400000_NS6detail17trampoline_kernelINS0_14default_configENS1_36segmented_radix_sort_config_selectorI12hip_bfloat16lEEZNS1_25segmented_radix_sort_implIS3_Lb1EPKS5_PS5_PKlPlN2at6native12_GLOBAL__N_18offset_tEEE10hipError_tPvRmT1_PNSt15iterator_traitsISL_E10value_typeET2_T3_PNSM_ISR_E10value_typeET4_jRbjT5_SX_jjP12ihipStream_tbEUlT_E_NS1_11comp_targetILNS1_3genE8ELNS1_11target_archE1030ELNS1_3gpuE2ELNS1_3repE0EEENS1_30default_config_static_selectorELNS0_4arch9wavefront6targetE0EEEvSL_.kd
    .uniform_work_group_size: 1
    .uses_dynamic_stack: false
    .vgpr_count:     0
    .vgpr_spill_count: 0
    .wavefront_size: 32
  - .args:
      - .offset:         0
        .size:           88
        .value_kind:     by_value
      - .offset:         88
        .size:           4
        .value_kind:     hidden_block_count_x
      - .offset:         92
        .size:           4
        .value_kind:     hidden_block_count_y
      - .offset:         96
        .size:           4
        .value_kind:     hidden_block_count_z
      - .offset:         100
        .size:           2
        .value_kind:     hidden_group_size_x
      - .offset:         102
        .size:           2
        .value_kind:     hidden_group_size_y
      - .offset:         104
        .size:           2
        .value_kind:     hidden_group_size_z
      - .offset:         106
        .size:           2
        .value_kind:     hidden_remainder_x
      - .offset:         108
        .size:           2
        .value_kind:     hidden_remainder_y
      - .offset:         110
        .size:           2
        .value_kind:     hidden_remainder_z
      - .offset:         128
        .size:           8
        .value_kind:     hidden_global_offset_x
      - .offset:         136
        .size:           8
        .value_kind:     hidden_global_offset_y
      - .offset:         144
        .size:           8
        .value_kind:     hidden_global_offset_z
      - .offset:         152
        .size:           2
        .value_kind:     hidden_grid_dims
      - .offset:         168
        .size:           8
        .value_kind:     hidden_hostcall_buffer
      - .offset:         176
        .size:           8
        .value_kind:     hidden_multigrid_sync_arg
      - .offset:         184
        .size:           8
        .value_kind:     hidden_heap_v1
      - .offset:         192
        .size:           8
        .value_kind:     hidden_default_queue
      - .offset:         200
        .size:           8
        .value_kind:     hidden_completion_action
      - .offset:         288
        .size:           8
        .value_kind:     hidden_queue_ptr
    .group_segment_fixed_size: 20480
    .kernarg_segment_align: 8
    .kernarg_segment_size: 344
    .language:       OpenCL C
    .language_version:
      - 2
      - 0
    .max_flat_workgroup_size: 256
    .name:           _ZN7rocprim17ROCPRIM_400000_NS6detail17trampoline_kernelINS0_14default_configENS1_36segmented_radix_sort_config_selectorI12hip_bfloat16lEEZNS1_25segmented_radix_sort_implIS3_Lb1EPKS5_PS5_PKlPlN2at6native12_GLOBAL__N_18offset_tEEE10hipError_tPvRmT1_PNSt15iterator_traitsISL_E10value_typeET2_T3_PNSM_ISR_E10value_typeET4_jRbjT5_SX_jjP12ihipStream_tbEUlT_E0_NS1_11comp_targetILNS1_3genE0ELNS1_11target_archE4294967295ELNS1_3gpuE0ELNS1_3repE0EEENS1_60segmented_radix_sort_warp_sort_medium_config_static_selectorELNS0_4arch9wavefront6targetE0EEEvSL_
    .private_segment_fixed_size: 0
    .sgpr_count:     46
    .sgpr_spill_count: 0
    .symbol:         _ZN7rocprim17ROCPRIM_400000_NS6detail17trampoline_kernelINS0_14default_configENS1_36segmented_radix_sort_config_selectorI12hip_bfloat16lEEZNS1_25segmented_radix_sort_implIS3_Lb1EPKS5_PS5_PKlPlN2at6native12_GLOBAL__N_18offset_tEEE10hipError_tPvRmT1_PNSt15iterator_traitsISL_E10value_typeET2_T3_PNSM_ISR_E10value_typeET4_jRbjT5_SX_jjP12ihipStream_tbEUlT_E0_NS1_11comp_targetILNS1_3genE0ELNS1_11target_archE4294967295ELNS1_3gpuE0ELNS1_3repE0EEENS1_60segmented_radix_sort_warp_sort_medium_config_static_selectorELNS0_4arch9wavefront6targetE0EEEvSL_.kd
    .uniform_work_group_size: 1
    .uses_dynamic_stack: false
    .vgpr_count:     71
    .vgpr_spill_count: 0
    .wavefront_size: 32
  - .args:
      - .offset:         0
        .size:           88
        .value_kind:     by_value
    .group_segment_fixed_size: 0
    .kernarg_segment_align: 8
    .kernarg_segment_size: 88
    .language:       OpenCL C
    .language_version:
      - 2
      - 0
    .max_flat_workgroup_size: 256
    .name:           _ZN7rocprim17ROCPRIM_400000_NS6detail17trampoline_kernelINS0_14default_configENS1_36segmented_radix_sort_config_selectorI12hip_bfloat16lEEZNS1_25segmented_radix_sort_implIS3_Lb1EPKS5_PS5_PKlPlN2at6native12_GLOBAL__N_18offset_tEEE10hipError_tPvRmT1_PNSt15iterator_traitsISL_E10value_typeET2_T3_PNSM_ISR_E10value_typeET4_jRbjT5_SX_jjP12ihipStream_tbEUlT_E0_NS1_11comp_targetILNS1_3genE5ELNS1_11target_archE942ELNS1_3gpuE9ELNS1_3repE0EEENS1_60segmented_radix_sort_warp_sort_medium_config_static_selectorELNS0_4arch9wavefront6targetE0EEEvSL_
    .private_segment_fixed_size: 0
    .sgpr_count:     0
    .sgpr_spill_count: 0
    .symbol:         _ZN7rocprim17ROCPRIM_400000_NS6detail17trampoline_kernelINS0_14default_configENS1_36segmented_radix_sort_config_selectorI12hip_bfloat16lEEZNS1_25segmented_radix_sort_implIS3_Lb1EPKS5_PS5_PKlPlN2at6native12_GLOBAL__N_18offset_tEEE10hipError_tPvRmT1_PNSt15iterator_traitsISL_E10value_typeET2_T3_PNSM_ISR_E10value_typeET4_jRbjT5_SX_jjP12ihipStream_tbEUlT_E0_NS1_11comp_targetILNS1_3genE5ELNS1_11target_archE942ELNS1_3gpuE9ELNS1_3repE0EEENS1_60segmented_radix_sort_warp_sort_medium_config_static_selectorELNS0_4arch9wavefront6targetE0EEEvSL_.kd
    .uniform_work_group_size: 1
    .uses_dynamic_stack: false
    .vgpr_count:     0
    .vgpr_spill_count: 0
    .wavefront_size: 32
  - .args:
      - .offset:         0
        .size:           88
        .value_kind:     by_value
    .group_segment_fixed_size: 0
    .kernarg_segment_align: 8
    .kernarg_segment_size: 88
    .language:       OpenCL C
    .language_version:
      - 2
      - 0
    .max_flat_workgroup_size: 256
    .name:           _ZN7rocprim17ROCPRIM_400000_NS6detail17trampoline_kernelINS0_14default_configENS1_36segmented_radix_sort_config_selectorI12hip_bfloat16lEEZNS1_25segmented_radix_sort_implIS3_Lb1EPKS5_PS5_PKlPlN2at6native12_GLOBAL__N_18offset_tEEE10hipError_tPvRmT1_PNSt15iterator_traitsISL_E10value_typeET2_T3_PNSM_ISR_E10value_typeET4_jRbjT5_SX_jjP12ihipStream_tbEUlT_E0_NS1_11comp_targetILNS1_3genE4ELNS1_11target_archE910ELNS1_3gpuE8ELNS1_3repE0EEENS1_60segmented_radix_sort_warp_sort_medium_config_static_selectorELNS0_4arch9wavefront6targetE0EEEvSL_
    .private_segment_fixed_size: 0
    .sgpr_count:     0
    .sgpr_spill_count: 0
    .symbol:         _ZN7rocprim17ROCPRIM_400000_NS6detail17trampoline_kernelINS0_14default_configENS1_36segmented_radix_sort_config_selectorI12hip_bfloat16lEEZNS1_25segmented_radix_sort_implIS3_Lb1EPKS5_PS5_PKlPlN2at6native12_GLOBAL__N_18offset_tEEE10hipError_tPvRmT1_PNSt15iterator_traitsISL_E10value_typeET2_T3_PNSM_ISR_E10value_typeET4_jRbjT5_SX_jjP12ihipStream_tbEUlT_E0_NS1_11comp_targetILNS1_3genE4ELNS1_11target_archE910ELNS1_3gpuE8ELNS1_3repE0EEENS1_60segmented_radix_sort_warp_sort_medium_config_static_selectorELNS0_4arch9wavefront6targetE0EEEvSL_.kd
    .uniform_work_group_size: 1
    .uses_dynamic_stack: false
    .vgpr_count:     0
    .vgpr_spill_count: 0
    .wavefront_size: 32
  - .args:
      - .offset:         0
        .size:           88
        .value_kind:     by_value
    .group_segment_fixed_size: 0
    .kernarg_segment_align: 8
    .kernarg_segment_size: 88
    .language:       OpenCL C
    .language_version:
      - 2
      - 0
    .max_flat_workgroup_size: 256
    .name:           _ZN7rocprim17ROCPRIM_400000_NS6detail17trampoline_kernelINS0_14default_configENS1_36segmented_radix_sort_config_selectorI12hip_bfloat16lEEZNS1_25segmented_radix_sort_implIS3_Lb1EPKS5_PS5_PKlPlN2at6native12_GLOBAL__N_18offset_tEEE10hipError_tPvRmT1_PNSt15iterator_traitsISL_E10value_typeET2_T3_PNSM_ISR_E10value_typeET4_jRbjT5_SX_jjP12ihipStream_tbEUlT_E0_NS1_11comp_targetILNS1_3genE3ELNS1_11target_archE908ELNS1_3gpuE7ELNS1_3repE0EEENS1_60segmented_radix_sort_warp_sort_medium_config_static_selectorELNS0_4arch9wavefront6targetE0EEEvSL_
    .private_segment_fixed_size: 0
    .sgpr_count:     0
    .sgpr_spill_count: 0
    .symbol:         _ZN7rocprim17ROCPRIM_400000_NS6detail17trampoline_kernelINS0_14default_configENS1_36segmented_radix_sort_config_selectorI12hip_bfloat16lEEZNS1_25segmented_radix_sort_implIS3_Lb1EPKS5_PS5_PKlPlN2at6native12_GLOBAL__N_18offset_tEEE10hipError_tPvRmT1_PNSt15iterator_traitsISL_E10value_typeET2_T3_PNSM_ISR_E10value_typeET4_jRbjT5_SX_jjP12ihipStream_tbEUlT_E0_NS1_11comp_targetILNS1_3genE3ELNS1_11target_archE908ELNS1_3gpuE7ELNS1_3repE0EEENS1_60segmented_radix_sort_warp_sort_medium_config_static_selectorELNS0_4arch9wavefront6targetE0EEEvSL_.kd
    .uniform_work_group_size: 1
    .uses_dynamic_stack: false
    .vgpr_count:     0
    .vgpr_spill_count: 0
    .wavefront_size: 32
  - .args:
      - .offset:         0
        .size:           88
        .value_kind:     by_value
    .group_segment_fixed_size: 0
    .kernarg_segment_align: 8
    .kernarg_segment_size: 88
    .language:       OpenCL C
    .language_version:
      - 2
      - 0
    .max_flat_workgroup_size: 256
    .name:           _ZN7rocprim17ROCPRIM_400000_NS6detail17trampoline_kernelINS0_14default_configENS1_36segmented_radix_sort_config_selectorI12hip_bfloat16lEEZNS1_25segmented_radix_sort_implIS3_Lb1EPKS5_PS5_PKlPlN2at6native12_GLOBAL__N_18offset_tEEE10hipError_tPvRmT1_PNSt15iterator_traitsISL_E10value_typeET2_T3_PNSM_ISR_E10value_typeET4_jRbjT5_SX_jjP12ihipStream_tbEUlT_E0_NS1_11comp_targetILNS1_3genE2ELNS1_11target_archE906ELNS1_3gpuE6ELNS1_3repE0EEENS1_60segmented_radix_sort_warp_sort_medium_config_static_selectorELNS0_4arch9wavefront6targetE0EEEvSL_
    .private_segment_fixed_size: 0
    .sgpr_count:     0
    .sgpr_spill_count: 0
    .symbol:         _ZN7rocprim17ROCPRIM_400000_NS6detail17trampoline_kernelINS0_14default_configENS1_36segmented_radix_sort_config_selectorI12hip_bfloat16lEEZNS1_25segmented_radix_sort_implIS3_Lb1EPKS5_PS5_PKlPlN2at6native12_GLOBAL__N_18offset_tEEE10hipError_tPvRmT1_PNSt15iterator_traitsISL_E10value_typeET2_T3_PNSM_ISR_E10value_typeET4_jRbjT5_SX_jjP12ihipStream_tbEUlT_E0_NS1_11comp_targetILNS1_3genE2ELNS1_11target_archE906ELNS1_3gpuE6ELNS1_3repE0EEENS1_60segmented_radix_sort_warp_sort_medium_config_static_selectorELNS0_4arch9wavefront6targetE0EEEvSL_.kd
    .uniform_work_group_size: 1
    .uses_dynamic_stack: false
    .vgpr_count:     0
    .vgpr_spill_count: 0
    .wavefront_size: 32
  - .args:
      - .offset:         0
        .size:           88
        .value_kind:     by_value
    .group_segment_fixed_size: 0
    .kernarg_segment_align: 8
    .kernarg_segment_size: 88
    .language:       OpenCL C
    .language_version:
      - 2
      - 0
    .max_flat_workgroup_size: 256
    .name:           _ZN7rocprim17ROCPRIM_400000_NS6detail17trampoline_kernelINS0_14default_configENS1_36segmented_radix_sort_config_selectorI12hip_bfloat16lEEZNS1_25segmented_radix_sort_implIS3_Lb1EPKS5_PS5_PKlPlN2at6native12_GLOBAL__N_18offset_tEEE10hipError_tPvRmT1_PNSt15iterator_traitsISL_E10value_typeET2_T3_PNSM_ISR_E10value_typeET4_jRbjT5_SX_jjP12ihipStream_tbEUlT_E0_NS1_11comp_targetILNS1_3genE10ELNS1_11target_archE1201ELNS1_3gpuE5ELNS1_3repE0EEENS1_60segmented_radix_sort_warp_sort_medium_config_static_selectorELNS0_4arch9wavefront6targetE0EEEvSL_
    .private_segment_fixed_size: 0
    .sgpr_count:     0
    .sgpr_spill_count: 0
    .symbol:         _ZN7rocprim17ROCPRIM_400000_NS6detail17trampoline_kernelINS0_14default_configENS1_36segmented_radix_sort_config_selectorI12hip_bfloat16lEEZNS1_25segmented_radix_sort_implIS3_Lb1EPKS5_PS5_PKlPlN2at6native12_GLOBAL__N_18offset_tEEE10hipError_tPvRmT1_PNSt15iterator_traitsISL_E10value_typeET2_T3_PNSM_ISR_E10value_typeET4_jRbjT5_SX_jjP12ihipStream_tbEUlT_E0_NS1_11comp_targetILNS1_3genE10ELNS1_11target_archE1201ELNS1_3gpuE5ELNS1_3repE0EEENS1_60segmented_radix_sort_warp_sort_medium_config_static_selectorELNS0_4arch9wavefront6targetE0EEEvSL_.kd
    .uniform_work_group_size: 1
    .uses_dynamic_stack: false
    .vgpr_count:     0
    .vgpr_spill_count: 0
    .wavefront_size: 32
  - .args:
      - .offset:         0
        .size:           88
        .value_kind:     by_value
    .group_segment_fixed_size: 0
    .kernarg_segment_align: 8
    .kernarg_segment_size: 88
    .language:       OpenCL C
    .language_version:
      - 2
      - 0
    .max_flat_workgroup_size: 256
    .name:           _ZN7rocprim17ROCPRIM_400000_NS6detail17trampoline_kernelINS0_14default_configENS1_36segmented_radix_sort_config_selectorI12hip_bfloat16lEEZNS1_25segmented_radix_sort_implIS3_Lb1EPKS5_PS5_PKlPlN2at6native12_GLOBAL__N_18offset_tEEE10hipError_tPvRmT1_PNSt15iterator_traitsISL_E10value_typeET2_T3_PNSM_ISR_E10value_typeET4_jRbjT5_SX_jjP12ihipStream_tbEUlT_E0_NS1_11comp_targetILNS1_3genE10ELNS1_11target_archE1200ELNS1_3gpuE4ELNS1_3repE0EEENS1_60segmented_radix_sort_warp_sort_medium_config_static_selectorELNS0_4arch9wavefront6targetE0EEEvSL_
    .private_segment_fixed_size: 0
    .sgpr_count:     0
    .sgpr_spill_count: 0
    .symbol:         _ZN7rocprim17ROCPRIM_400000_NS6detail17trampoline_kernelINS0_14default_configENS1_36segmented_radix_sort_config_selectorI12hip_bfloat16lEEZNS1_25segmented_radix_sort_implIS3_Lb1EPKS5_PS5_PKlPlN2at6native12_GLOBAL__N_18offset_tEEE10hipError_tPvRmT1_PNSt15iterator_traitsISL_E10value_typeET2_T3_PNSM_ISR_E10value_typeET4_jRbjT5_SX_jjP12ihipStream_tbEUlT_E0_NS1_11comp_targetILNS1_3genE10ELNS1_11target_archE1200ELNS1_3gpuE4ELNS1_3repE0EEENS1_60segmented_radix_sort_warp_sort_medium_config_static_selectorELNS0_4arch9wavefront6targetE0EEEvSL_.kd
    .uniform_work_group_size: 1
    .uses_dynamic_stack: false
    .vgpr_count:     0
    .vgpr_spill_count: 0
    .wavefront_size: 32
  - .args:
      - .offset:         0
        .size:           88
        .value_kind:     by_value
    .group_segment_fixed_size: 0
    .kernarg_segment_align: 8
    .kernarg_segment_size: 88
    .language:       OpenCL C
    .language_version:
      - 2
      - 0
    .max_flat_workgroup_size: 256
    .name:           _ZN7rocprim17ROCPRIM_400000_NS6detail17trampoline_kernelINS0_14default_configENS1_36segmented_radix_sort_config_selectorI12hip_bfloat16lEEZNS1_25segmented_radix_sort_implIS3_Lb1EPKS5_PS5_PKlPlN2at6native12_GLOBAL__N_18offset_tEEE10hipError_tPvRmT1_PNSt15iterator_traitsISL_E10value_typeET2_T3_PNSM_ISR_E10value_typeET4_jRbjT5_SX_jjP12ihipStream_tbEUlT_E0_NS1_11comp_targetILNS1_3genE9ELNS1_11target_archE1100ELNS1_3gpuE3ELNS1_3repE0EEENS1_60segmented_radix_sort_warp_sort_medium_config_static_selectorELNS0_4arch9wavefront6targetE0EEEvSL_
    .private_segment_fixed_size: 0
    .sgpr_count:     0
    .sgpr_spill_count: 0
    .symbol:         _ZN7rocprim17ROCPRIM_400000_NS6detail17trampoline_kernelINS0_14default_configENS1_36segmented_radix_sort_config_selectorI12hip_bfloat16lEEZNS1_25segmented_radix_sort_implIS3_Lb1EPKS5_PS5_PKlPlN2at6native12_GLOBAL__N_18offset_tEEE10hipError_tPvRmT1_PNSt15iterator_traitsISL_E10value_typeET2_T3_PNSM_ISR_E10value_typeET4_jRbjT5_SX_jjP12ihipStream_tbEUlT_E0_NS1_11comp_targetILNS1_3genE9ELNS1_11target_archE1100ELNS1_3gpuE3ELNS1_3repE0EEENS1_60segmented_radix_sort_warp_sort_medium_config_static_selectorELNS0_4arch9wavefront6targetE0EEEvSL_.kd
    .uniform_work_group_size: 1
    .uses_dynamic_stack: false
    .vgpr_count:     0
    .vgpr_spill_count: 0
    .wavefront_size: 32
  - .args:
      - .offset:         0
        .size:           88
        .value_kind:     by_value
    .group_segment_fixed_size: 0
    .kernarg_segment_align: 8
    .kernarg_segment_size: 88
    .language:       OpenCL C
    .language_version:
      - 2
      - 0
    .max_flat_workgroup_size: 256
    .name:           _ZN7rocprim17ROCPRIM_400000_NS6detail17trampoline_kernelINS0_14default_configENS1_36segmented_radix_sort_config_selectorI12hip_bfloat16lEEZNS1_25segmented_radix_sort_implIS3_Lb1EPKS5_PS5_PKlPlN2at6native12_GLOBAL__N_18offset_tEEE10hipError_tPvRmT1_PNSt15iterator_traitsISL_E10value_typeET2_T3_PNSM_ISR_E10value_typeET4_jRbjT5_SX_jjP12ihipStream_tbEUlT_E0_NS1_11comp_targetILNS1_3genE8ELNS1_11target_archE1030ELNS1_3gpuE2ELNS1_3repE0EEENS1_60segmented_radix_sort_warp_sort_medium_config_static_selectorELNS0_4arch9wavefront6targetE0EEEvSL_
    .private_segment_fixed_size: 0
    .sgpr_count:     0
    .sgpr_spill_count: 0
    .symbol:         _ZN7rocprim17ROCPRIM_400000_NS6detail17trampoline_kernelINS0_14default_configENS1_36segmented_radix_sort_config_selectorI12hip_bfloat16lEEZNS1_25segmented_radix_sort_implIS3_Lb1EPKS5_PS5_PKlPlN2at6native12_GLOBAL__N_18offset_tEEE10hipError_tPvRmT1_PNSt15iterator_traitsISL_E10value_typeET2_T3_PNSM_ISR_E10value_typeET4_jRbjT5_SX_jjP12ihipStream_tbEUlT_E0_NS1_11comp_targetILNS1_3genE8ELNS1_11target_archE1030ELNS1_3gpuE2ELNS1_3repE0EEENS1_60segmented_radix_sort_warp_sort_medium_config_static_selectorELNS0_4arch9wavefront6targetE0EEEvSL_.kd
    .uniform_work_group_size: 1
    .uses_dynamic_stack: false
    .vgpr_count:     0
    .vgpr_spill_count: 0
    .wavefront_size: 32
  - .args:
      - .offset:         0
        .size:           88
        .value_kind:     by_value
      - .offset:         88
        .size:           4
        .value_kind:     hidden_block_count_x
      - .offset:         92
        .size:           4
        .value_kind:     hidden_block_count_y
      - .offset:         96
        .size:           4
        .value_kind:     hidden_block_count_z
      - .offset:         100
        .size:           2
        .value_kind:     hidden_group_size_x
      - .offset:         102
        .size:           2
        .value_kind:     hidden_group_size_y
      - .offset:         104
        .size:           2
        .value_kind:     hidden_group_size_z
      - .offset:         106
        .size:           2
        .value_kind:     hidden_remainder_x
      - .offset:         108
        .size:           2
        .value_kind:     hidden_remainder_y
      - .offset:         110
        .size:           2
        .value_kind:     hidden_remainder_z
      - .offset:         128
        .size:           8
        .value_kind:     hidden_global_offset_x
      - .offset:         136
        .size:           8
        .value_kind:     hidden_global_offset_y
      - .offset:         144
        .size:           8
        .value_kind:     hidden_global_offset_z
      - .offset:         152
        .size:           2
        .value_kind:     hidden_grid_dims
      - .offset:         168
        .size:           8
        .value_kind:     hidden_hostcall_buffer
      - .offset:         176
        .size:           8
        .value_kind:     hidden_multigrid_sync_arg
      - .offset:         184
        .size:           8
        .value_kind:     hidden_heap_v1
      - .offset:         192
        .size:           8
        .value_kind:     hidden_default_queue
      - .offset:         200
        .size:           8
        .value_kind:     hidden_completion_action
      - .offset:         288
        .size:           8
        .value_kind:     hidden_queue_ptr
    .group_segment_fixed_size: 10240
    .kernarg_segment_align: 8
    .kernarg_segment_size: 344
    .language:       OpenCL C
    .language_version:
      - 2
      - 0
    .max_flat_workgroup_size: 256
    .name:           _ZN7rocprim17ROCPRIM_400000_NS6detail17trampoline_kernelINS0_14default_configENS1_36segmented_radix_sort_config_selectorI12hip_bfloat16lEEZNS1_25segmented_radix_sort_implIS3_Lb1EPKS5_PS5_PKlPlN2at6native12_GLOBAL__N_18offset_tEEE10hipError_tPvRmT1_PNSt15iterator_traitsISL_E10value_typeET2_T3_PNSM_ISR_E10value_typeET4_jRbjT5_SX_jjP12ihipStream_tbEUlT_E1_NS1_11comp_targetILNS1_3genE0ELNS1_11target_archE4294967295ELNS1_3gpuE0ELNS1_3repE0EEENS1_59segmented_radix_sort_warp_sort_small_config_static_selectorELNS0_4arch9wavefront6targetE0EEEvSL_
    .private_segment_fixed_size: 0
    .sgpr_count:     35
    .sgpr_spill_count: 0
    .symbol:         _ZN7rocprim17ROCPRIM_400000_NS6detail17trampoline_kernelINS0_14default_configENS1_36segmented_radix_sort_config_selectorI12hip_bfloat16lEEZNS1_25segmented_radix_sort_implIS3_Lb1EPKS5_PS5_PKlPlN2at6native12_GLOBAL__N_18offset_tEEE10hipError_tPvRmT1_PNSt15iterator_traitsISL_E10value_typeET2_T3_PNSM_ISR_E10value_typeET4_jRbjT5_SX_jjP12ihipStream_tbEUlT_E1_NS1_11comp_targetILNS1_3genE0ELNS1_11target_archE4294967295ELNS1_3gpuE0ELNS1_3repE0EEENS1_59segmented_radix_sort_warp_sort_small_config_static_selectorELNS0_4arch9wavefront6targetE0EEEvSL_.kd
    .uniform_work_group_size: 1
    .uses_dynamic_stack: false
    .vgpr_count:     56
    .vgpr_spill_count: 0
    .wavefront_size: 32
  - .args:
      - .offset:         0
        .size:           88
        .value_kind:     by_value
    .group_segment_fixed_size: 0
    .kernarg_segment_align: 8
    .kernarg_segment_size: 88
    .language:       OpenCL C
    .language_version:
      - 2
      - 0
    .max_flat_workgroup_size: 256
    .name:           _ZN7rocprim17ROCPRIM_400000_NS6detail17trampoline_kernelINS0_14default_configENS1_36segmented_radix_sort_config_selectorI12hip_bfloat16lEEZNS1_25segmented_radix_sort_implIS3_Lb1EPKS5_PS5_PKlPlN2at6native12_GLOBAL__N_18offset_tEEE10hipError_tPvRmT1_PNSt15iterator_traitsISL_E10value_typeET2_T3_PNSM_ISR_E10value_typeET4_jRbjT5_SX_jjP12ihipStream_tbEUlT_E1_NS1_11comp_targetILNS1_3genE5ELNS1_11target_archE942ELNS1_3gpuE9ELNS1_3repE0EEENS1_59segmented_radix_sort_warp_sort_small_config_static_selectorELNS0_4arch9wavefront6targetE0EEEvSL_
    .private_segment_fixed_size: 0
    .sgpr_count:     0
    .sgpr_spill_count: 0
    .symbol:         _ZN7rocprim17ROCPRIM_400000_NS6detail17trampoline_kernelINS0_14default_configENS1_36segmented_radix_sort_config_selectorI12hip_bfloat16lEEZNS1_25segmented_radix_sort_implIS3_Lb1EPKS5_PS5_PKlPlN2at6native12_GLOBAL__N_18offset_tEEE10hipError_tPvRmT1_PNSt15iterator_traitsISL_E10value_typeET2_T3_PNSM_ISR_E10value_typeET4_jRbjT5_SX_jjP12ihipStream_tbEUlT_E1_NS1_11comp_targetILNS1_3genE5ELNS1_11target_archE942ELNS1_3gpuE9ELNS1_3repE0EEENS1_59segmented_radix_sort_warp_sort_small_config_static_selectorELNS0_4arch9wavefront6targetE0EEEvSL_.kd
    .uniform_work_group_size: 1
    .uses_dynamic_stack: false
    .vgpr_count:     0
    .vgpr_spill_count: 0
    .wavefront_size: 32
  - .args:
      - .offset:         0
        .size:           88
        .value_kind:     by_value
    .group_segment_fixed_size: 0
    .kernarg_segment_align: 8
    .kernarg_segment_size: 88
    .language:       OpenCL C
    .language_version:
      - 2
      - 0
    .max_flat_workgroup_size: 256
    .name:           _ZN7rocprim17ROCPRIM_400000_NS6detail17trampoline_kernelINS0_14default_configENS1_36segmented_radix_sort_config_selectorI12hip_bfloat16lEEZNS1_25segmented_radix_sort_implIS3_Lb1EPKS5_PS5_PKlPlN2at6native12_GLOBAL__N_18offset_tEEE10hipError_tPvRmT1_PNSt15iterator_traitsISL_E10value_typeET2_T3_PNSM_ISR_E10value_typeET4_jRbjT5_SX_jjP12ihipStream_tbEUlT_E1_NS1_11comp_targetILNS1_3genE4ELNS1_11target_archE910ELNS1_3gpuE8ELNS1_3repE0EEENS1_59segmented_radix_sort_warp_sort_small_config_static_selectorELNS0_4arch9wavefront6targetE0EEEvSL_
    .private_segment_fixed_size: 0
    .sgpr_count:     0
    .sgpr_spill_count: 0
    .symbol:         _ZN7rocprim17ROCPRIM_400000_NS6detail17trampoline_kernelINS0_14default_configENS1_36segmented_radix_sort_config_selectorI12hip_bfloat16lEEZNS1_25segmented_radix_sort_implIS3_Lb1EPKS5_PS5_PKlPlN2at6native12_GLOBAL__N_18offset_tEEE10hipError_tPvRmT1_PNSt15iterator_traitsISL_E10value_typeET2_T3_PNSM_ISR_E10value_typeET4_jRbjT5_SX_jjP12ihipStream_tbEUlT_E1_NS1_11comp_targetILNS1_3genE4ELNS1_11target_archE910ELNS1_3gpuE8ELNS1_3repE0EEENS1_59segmented_radix_sort_warp_sort_small_config_static_selectorELNS0_4arch9wavefront6targetE0EEEvSL_.kd
    .uniform_work_group_size: 1
    .uses_dynamic_stack: false
    .vgpr_count:     0
    .vgpr_spill_count: 0
    .wavefront_size: 32
  - .args:
      - .offset:         0
        .size:           88
        .value_kind:     by_value
    .group_segment_fixed_size: 0
    .kernarg_segment_align: 8
    .kernarg_segment_size: 88
    .language:       OpenCL C
    .language_version:
      - 2
      - 0
    .max_flat_workgroup_size: 256
    .name:           _ZN7rocprim17ROCPRIM_400000_NS6detail17trampoline_kernelINS0_14default_configENS1_36segmented_radix_sort_config_selectorI12hip_bfloat16lEEZNS1_25segmented_radix_sort_implIS3_Lb1EPKS5_PS5_PKlPlN2at6native12_GLOBAL__N_18offset_tEEE10hipError_tPvRmT1_PNSt15iterator_traitsISL_E10value_typeET2_T3_PNSM_ISR_E10value_typeET4_jRbjT5_SX_jjP12ihipStream_tbEUlT_E1_NS1_11comp_targetILNS1_3genE3ELNS1_11target_archE908ELNS1_3gpuE7ELNS1_3repE0EEENS1_59segmented_radix_sort_warp_sort_small_config_static_selectorELNS0_4arch9wavefront6targetE0EEEvSL_
    .private_segment_fixed_size: 0
    .sgpr_count:     0
    .sgpr_spill_count: 0
    .symbol:         _ZN7rocprim17ROCPRIM_400000_NS6detail17trampoline_kernelINS0_14default_configENS1_36segmented_radix_sort_config_selectorI12hip_bfloat16lEEZNS1_25segmented_radix_sort_implIS3_Lb1EPKS5_PS5_PKlPlN2at6native12_GLOBAL__N_18offset_tEEE10hipError_tPvRmT1_PNSt15iterator_traitsISL_E10value_typeET2_T3_PNSM_ISR_E10value_typeET4_jRbjT5_SX_jjP12ihipStream_tbEUlT_E1_NS1_11comp_targetILNS1_3genE3ELNS1_11target_archE908ELNS1_3gpuE7ELNS1_3repE0EEENS1_59segmented_radix_sort_warp_sort_small_config_static_selectorELNS0_4arch9wavefront6targetE0EEEvSL_.kd
    .uniform_work_group_size: 1
    .uses_dynamic_stack: false
    .vgpr_count:     0
    .vgpr_spill_count: 0
    .wavefront_size: 32
  - .args:
      - .offset:         0
        .size:           88
        .value_kind:     by_value
    .group_segment_fixed_size: 0
    .kernarg_segment_align: 8
    .kernarg_segment_size: 88
    .language:       OpenCL C
    .language_version:
      - 2
      - 0
    .max_flat_workgroup_size: 256
    .name:           _ZN7rocprim17ROCPRIM_400000_NS6detail17trampoline_kernelINS0_14default_configENS1_36segmented_radix_sort_config_selectorI12hip_bfloat16lEEZNS1_25segmented_radix_sort_implIS3_Lb1EPKS5_PS5_PKlPlN2at6native12_GLOBAL__N_18offset_tEEE10hipError_tPvRmT1_PNSt15iterator_traitsISL_E10value_typeET2_T3_PNSM_ISR_E10value_typeET4_jRbjT5_SX_jjP12ihipStream_tbEUlT_E1_NS1_11comp_targetILNS1_3genE2ELNS1_11target_archE906ELNS1_3gpuE6ELNS1_3repE0EEENS1_59segmented_radix_sort_warp_sort_small_config_static_selectorELNS0_4arch9wavefront6targetE0EEEvSL_
    .private_segment_fixed_size: 0
    .sgpr_count:     0
    .sgpr_spill_count: 0
    .symbol:         _ZN7rocprim17ROCPRIM_400000_NS6detail17trampoline_kernelINS0_14default_configENS1_36segmented_radix_sort_config_selectorI12hip_bfloat16lEEZNS1_25segmented_radix_sort_implIS3_Lb1EPKS5_PS5_PKlPlN2at6native12_GLOBAL__N_18offset_tEEE10hipError_tPvRmT1_PNSt15iterator_traitsISL_E10value_typeET2_T3_PNSM_ISR_E10value_typeET4_jRbjT5_SX_jjP12ihipStream_tbEUlT_E1_NS1_11comp_targetILNS1_3genE2ELNS1_11target_archE906ELNS1_3gpuE6ELNS1_3repE0EEENS1_59segmented_radix_sort_warp_sort_small_config_static_selectorELNS0_4arch9wavefront6targetE0EEEvSL_.kd
    .uniform_work_group_size: 1
    .uses_dynamic_stack: false
    .vgpr_count:     0
    .vgpr_spill_count: 0
    .wavefront_size: 32
  - .args:
      - .offset:         0
        .size:           88
        .value_kind:     by_value
    .group_segment_fixed_size: 0
    .kernarg_segment_align: 8
    .kernarg_segment_size: 88
    .language:       OpenCL C
    .language_version:
      - 2
      - 0
    .max_flat_workgroup_size: 256
    .name:           _ZN7rocprim17ROCPRIM_400000_NS6detail17trampoline_kernelINS0_14default_configENS1_36segmented_radix_sort_config_selectorI12hip_bfloat16lEEZNS1_25segmented_radix_sort_implIS3_Lb1EPKS5_PS5_PKlPlN2at6native12_GLOBAL__N_18offset_tEEE10hipError_tPvRmT1_PNSt15iterator_traitsISL_E10value_typeET2_T3_PNSM_ISR_E10value_typeET4_jRbjT5_SX_jjP12ihipStream_tbEUlT_E1_NS1_11comp_targetILNS1_3genE10ELNS1_11target_archE1201ELNS1_3gpuE5ELNS1_3repE0EEENS1_59segmented_radix_sort_warp_sort_small_config_static_selectorELNS0_4arch9wavefront6targetE0EEEvSL_
    .private_segment_fixed_size: 0
    .sgpr_count:     0
    .sgpr_spill_count: 0
    .symbol:         _ZN7rocprim17ROCPRIM_400000_NS6detail17trampoline_kernelINS0_14default_configENS1_36segmented_radix_sort_config_selectorI12hip_bfloat16lEEZNS1_25segmented_radix_sort_implIS3_Lb1EPKS5_PS5_PKlPlN2at6native12_GLOBAL__N_18offset_tEEE10hipError_tPvRmT1_PNSt15iterator_traitsISL_E10value_typeET2_T3_PNSM_ISR_E10value_typeET4_jRbjT5_SX_jjP12ihipStream_tbEUlT_E1_NS1_11comp_targetILNS1_3genE10ELNS1_11target_archE1201ELNS1_3gpuE5ELNS1_3repE0EEENS1_59segmented_radix_sort_warp_sort_small_config_static_selectorELNS0_4arch9wavefront6targetE0EEEvSL_.kd
    .uniform_work_group_size: 1
    .uses_dynamic_stack: false
    .vgpr_count:     0
    .vgpr_spill_count: 0
    .wavefront_size: 32
  - .args:
      - .offset:         0
        .size:           88
        .value_kind:     by_value
    .group_segment_fixed_size: 0
    .kernarg_segment_align: 8
    .kernarg_segment_size: 88
    .language:       OpenCL C
    .language_version:
      - 2
      - 0
    .max_flat_workgroup_size: 256
    .name:           _ZN7rocprim17ROCPRIM_400000_NS6detail17trampoline_kernelINS0_14default_configENS1_36segmented_radix_sort_config_selectorI12hip_bfloat16lEEZNS1_25segmented_radix_sort_implIS3_Lb1EPKS5_PS5_PKlPlN2at6native12_GLOBAL__N_18offset_tEEE10hipError_tPvRmT1_PNSt15iterator_traitsISL_E10value_typeET2_T3_PNSM_ISR_E10value_typeET4_jRbjT5_SX_jjP12ihipStream_tbEUlT_E1_NS1_11comp_targetILNS1_3genE10ELNS1_11target_archE1200ELNS1_3gpuE4ELNS1_3repE0EEENS1_59segmented_radix_sort_warp_sort_small_config_static_selectorELNS0_4arch9wavefront6targetE0EEEvSL_
    .private_segment_fixed_size: 0
    .sgpr_count:     0
    .sgpr_spill_count: 0
    .symbol:         _ZN7rocprim17ROCPRIM_400000_NS6detail17trampoline_kernelINS0_14default_configENS1_36segmented_radix_sort_config_selectorI12hip_bfloat16lEEZNS1_25segmented_radix_sort_implIS3_Lb1EPKS5_PS5_PKlPlN2at6native12_GLOBAL__N_18offset_tEEE10hipError_tPvRmT1_PNSt15iterator_traitsISL_E10value_typeET2_T3_PNSM_ISR_E10value_typeET4_jRbjT5_SX_jjP12ihipStream_tbEUlT_E1_NS1_11comp_targetILNS1_3genE10ELNS1_11target_archE1200ELNS1_3gpuE4ELNS1_3repE0EEENS1_59segmented_radix_sort_warp_sort_small_config_static_selectorELNS0_4arch9wavefront6targetE0EEEvSL_.kd
    .uniform_work_group_size: 1
    .uses_dynamic_stack: false
    .vgpr_count:     0
    .vgpr_spill_count: 0
    .wavefront_size: 32
  - .args:
      - .offset:         0
        .size:           88
        .value_kind:     by_value
    .group_segment_fixed_size: 0
    .kernarg_segment_align: 8
    .kernarg_segment_size: 88
    .language:       OpenCL C
    .language_version:
      - 2
      - 0
    .max_flat_workgroup_size: 256
    .name:           _ZN7rocprim17ROCPRIM_400000_NS6detail17trampoline_kernelINS0_14default_configENS1_36segmented_radix_sort_config_selectorI12hip_bfloat16lEEZNS1_25segmented_radix_sort_implIS3_Lb1EPKS5_PS5_PKlPlN2at6native12_GLOBAL__N_18offset_tEEE10hipError_tPvRmT1_PNSt15iterator_traitsISL_E10value_typeET2_T3_PNSM_ISR_E10value_typeET4_jRbjT5_SX_jjP12ihipStream_tbEUlT_E1_NS1_11comp_targetILNS1_3genE9ELNS1_11target_archE1100ELNS1_3gpuE3ELNS1_3repE0EEENS1_59segmented_radix_sort_warp_sort_small_config_static_selectorELNS0_4arch9wavefront6targetE0EEEvSL_
    .private_segment_fixed_size: 0
    .sgpr_count:     0
    .sgpr_spill_count: 0
    .symbol:         _ZN7rocprim17ROCPRIM_400000_NS6detail17trampoline_kernelINS0_14default_configENS1_36segmented_radix_sort_config_selectorI12hip_bfloat16lEEZNS1_25segmented_radix_sort_implIS3_Lb1EPKS5_PS5_PKlPlN2at6native12_GLOBAL__N_18offset_tEEE10hipError_tPvRmT1_PNSt15iterator_traitsISL_E10value_typeET2_T3_PNSM_ISR_E10value_typeET4_jRbjT5_SX_jjP12ihipStream_tbEUlT_E1_NS1_11comp_targetILNS1_3genE9ELNS1_11target_archE1100ELNS1_3gpuE3ELNS1_3repE0EEENS1_59segmented_radix_sort_warp_sort_small_config_static_selectorELNS0_4arch9wavefront6targetE0EEEvSL_.kd
    .uniform_work_group_size: 1
    .uses_dynamic_stack: false
    .vgpr_count:     0
    .vgpr_spill_count: 0
    .wavefront_size: 32
  - .args:
      - .offset:         0
        .size:           88
        .value_kind:     by_value
    .group_segment_fixed_size: 0
    .kernarg_segment_align: 8
    .kernarg_segment_size: 88
    .language:       OpenCL C
    .language_version:
      - 2
      - 0
    .max_flat_workgroup_size: 256
    .name:           _ZN7rocprim17ROCPRIM_400000_NS6detail17trampoline_kernelINS0_14default_configENS1_36segmented_radix_sort_config_selectorI12hip_bfloat16lEEZNS1_25segmented_radix_sort_implIS3_Lb1EPKS5_PS5_PKlPlN2at6native12_GLOBAL__N_18offset_tEEE10hipError_tPvRmT1_PNSt15iterator_traitsISL_E10value_typeET2_T3_PNSM_ISR_E10value_typeET4_jRbjT5_SX_jjP12ihipStream_tbEUlT_E1_NS1_11comp_targetILNS1_3genE8ELNS1_11target_archE1030ELNS1_3gpuE2ELNS1_3repE0EEENS1_59segmented_radix_sort_warp_sort_small_config_static_selectorELNS0_4arch9wavefront6targetE0EEEvSL_
    .private_segment_fixed_size: 0
    .sgpr_count:     0
    .sgpr_spill_count: 0
    .symbol:         _ZN7rocprim17ROCPRIM_400000_NS6detail17trampoline_kernelINS0_14default_configENS1_36segmented_radix_sort_config_selectorI12hip_bfloat16lEEZNS1_25segmented_radix_sort_implIS3_Lb1EPKS5_PS5_PKlPlN2at6native12_GLOBAL__N_18offset_tEEE10hipError_tPvRmT1_PNSt15iterator_traitsISL_E10value_typeET2_T3_PNSM_ISR_E10value_typeET4_jRbjT5_SX_jjP12ihipStream_tbEUlT_E1_NS1_11comp_targetILNS1_3genE8ELNS1_11target_archE1030ELNS1_3gpuE2ELNS1_3repE0EEENS1_59segmented_radix_sort_warp_sort_small_config_static_selectorELNS0_4arch9wavefront6targetE0EEEvSL_.kd
    .uniform_work_group_size: 1
    .uses_dynamic_stack: false
    .vgpr_count:     0
    .vgpr_spill_count: 0
    .wavefront_size: 32
  - .args:
      - .offset:         0
        .size:           80
        .value_kind:     by_value
      - .offset:         80
        .size:           4
        .value_kind:     hidden_block_count_x
      - .offset:         84
        .size:           4
        .value_kind:     hidden_block_count_y
      - .offset:         88
        .size:           4
        .value_kind:     hidden_block_count_z
      - .offset:         92
        .size:           2
        .value_kind:     hidden_group_size_x
      - .offset:         94
        .size:           2
        .value_kind:     hidden_group_size_y
      - .offset:         96
        .size:           2
        .value_kind:     hidden_group_size_z
      - .offset:         98
        .size:           2
        .value_kind:     hidden_remainder_x
      - .offset:         100
        .size:           2
        .value_kind:     hidden_remainder_y
      - .offset:         102
        .size:           2
        .value_kind:     hidden_remainder_z
      - .offset:         120
        .size:           8
        .value_kind:     hidden_global_offset_x
      - .offset:         128
        .size:           8
        .value_kind:     hidden_global_offset_y
      - .offset:         136
        .size:           8
        .value_kind:     hidden_global_offset_z
      - .offset:         144
        .size:           2
        .value_kind:     hidden_grid_dims
      - .offset:         160
        .size:           8
        .value_kind:     hidden_hostcall_buffer
      - .offset:         168
        .size:           8
        .value_kind:     hidden_multigrid_sync_arg
      - .offset:         176
        .size:           8
        .value_kind:     hidden_heap_v1
      - .offset:         184
        .size:           8
        .value_kind:     hidden_default_queue
      - .offset:         192
        .size:           8
        .value_kind:     hidden_completion_action
      - .offset:         280
        .size:           8
        .value_kind:     hidden_queue_ptr
    .group_segment_fixed_size: 33824
    .kernarg_segment_align: 8
    .kernarg_segment_size: 336
    .language:       OpenCL C
    .language_version:
      - 2
      - 0
    .max_flat_workgroup_size: 256
    .name:           _ZN7rocprim17ROCPRIM_400000_NS6detail17trampoline_kernelINS0_14default_configENS1_36segmented_radix_sort_config_selectorI12hip_bfloat16lEEZNS1_25segmented_radix_sort_implIS3_Lb1EPKS5_PS5_PKlPlN2at6native12_GLOBAL__N_18offset_tEEE10hipError_tPvRmT1_PNSt15iterator_traitsISL_E10value_typeET2_T3_PNSM_ISR_E10value_typeET4_jRbjT5_SX_jjP12ihipStream_tbEUlT_E2_NS1_11comp_targetILNS1_3genE0ELNS1_11target_archE4294967295ELNS1_3gpuE0ELNS1_3repE0EEENS1_30default_config_static_selectorELNS0_4arch9wavefront6targetE0EEEvSL_
    .private_segment_fixed_size: 0
    .sgpr_count:     61
    .sgpr_spill_count: 0
    .symbol:         _ZN7rocprim17ROCPRIM_400000_NS6detail17trampoline_kernelINS0_14default_configENS1_36segmented_radix_sort_config_selectorI12hip_bfloat16lEEZNS1_25segmented_radix_sort_implIS3_Lb1EPKS5_PS5_PKlPlN2at6native12_GLOBAL__N_18offset_tEEE10hipError_tPvRmT1_PNSt15iterator_traitsISL_E10value_typeET2_T3_PNSM_ISR_E10value_typeET4_jRbjT5_SX_jjP12ihipStream_tbEUlT_E2_NS1_11comp_targetILNS1_3genE0ELNS1_11target_archE4294967295ELNS1_3gpuE0ELNS1_3repE0EEENS1_30default_config_static_selectorELNS0_4arch9wavefront6targetE0EEEvSL_.kd
    .uniform_work_group_size: 1
    .uses_dynamic_stack: false
    .vgpr_count:     304
    .vgpr_spill_count: 0
    .wavefront_size: 32
  - .args:
      - .offset:         0
        .size:           80
        .value_kind:     by_value
    .group_segment_fixed_size: 0
    .kernarg_segment_align: 8
    .kernarg_segment_size: 80
    .language:       OpenCL C
    .language_version:
      - 2
      - 0
    .max_flat_workgroup_size: 256
    .name:           _ZN7rocprim17ROCPRIM_400000_NS6detail17trampoline_kernelINS0_14default_configENS1_36segmented_radix_sort_config_selectorI12hip_bfloat16lEEZNS1_25segmented_radix_sort_implIS3_Lb1EPKS5_PS5_PKlPlN2at6native12_GLOBAL__N_18offset_tEEE10hipError_tPvRmT1_PNSt15iterator_traitsISL_E10value_typeET2_T3_PNSM_ISR_E10value_typeET4_jRbjT5_SX_jjP12ihipStream_tbEUlT_E2_NS1_11comp_targetILNS1_3genE5ELNS1_11target_archE942ELNS1_3gpuE9ELNS1_3repE0EEENS1_30default_config_static_selectorELNS0_4arch9wavefront6targetE0EEEvSL_
    .private_segment_fixed_size: 0
    .sgpr_count:     0
    .sgpr_spill_count: 0
    .symbol:         _ZN7rocprim17ROCPRIM_400000_NS6detail17trampoline_kernelINS0_14default_configENS1_36segmented_radix_sort_config_selectorI12hip_bfloat16lEEZNS1_25segmented_radix_sort_implIS3_Lb1EPKS5_PS5_PKlPlN2at6native12_GLOBAL__N_18offset_tEEE10hipError_tPvRmT1_PNSt15iterator_traitsISL_E10value_typeET2_T3_PNSM_ISR_E10value_typeET4_jRbjT5_SX_jjP12ihipStream_tbEUlT_E2_NS1_11comp_targetILNS1_3genE5ELNS1_11target_archE942ELNS1_3gpuE9ELNS1_3repE0EEENS1_30default_config_static_selectorELNS0_4arch9wavefront6targetE0EEEvSL_.kd
    .uniform_work_group_size: 1
    .uses_dynamic_stack: false
    .vgpr_count:     0
    .vgpr_spill_count: 0
    .wavefront_size: 32
  - .args:
      - .offset:         0
        .size:           80
        .value_kind:     by_value
    .group_segment_fixed_size: 0
    .kernarg_segment_align: 8
    .kernarg_segment_size: 80
    .language:       OpenCL C
    .language_version:
      - 2
      - 0
    .max_flat_workgroup_size: 256
    .name:           _ZN7rocprim17ROCPRIM_400000_NS6detail17trampoline_kernelINS0_14default_configENS1_36segmented_radix_sort_config_selectorI12hip_bfloat16lEEZNS1_25segmented_radix_sort_implIS3_Lb1EPKS5_PS5_PKlPlN2at6native12_GLOBAL__N_18offset_tEEE10hipError_tPvRmT1_PNSt15iterator_traitsISL_E10value_typeET2_T3_PNSM_ISR_E10value_typeET4_jRbjT5_SX_jjP12ihipStream_tbEUlT_E2_NS1_11comp_targetILNS1_3genE4ELNS1_11target_archE910ELNS1_3gpuE8ELNS1_3repE0EEENS1_30default_config_static_selectorELNS0_4arch9wavefront6targetE0EEEvSL_
    .private_segment_fixed_size: 0
    .sgpr_count:     0
    .sgpr_spill_count: 0
    .symbol:         _ZN7rocprim17ROCPRIM_400000_NS6detail17trampoline_kernelINS0_14default_configENS1_36segmented_radix_sort_config_selectorI12hip_bfloat16lEEZNS1_25segmented_radix_sort_implIS3_Lb1EPKS5_PS5_PKlPlN2at6native12_GLOBAL__N_18offset_tEEE10hipError_tPvRmT1_PNSt15iterator_traitsISL_E10value_typeET2_T3_PNSM_ISR_E10value_typeET4_jRbjT5_SX_jjP12ihipStream_tbEUlT_E2_NS1_11comp_targetILNS1_3genE4ELNS1_11target_archE910ELNS1_3gpuE8ELNS1_3repE0EEENS1_30default_config_static_selectorELNS0_4arch9wavefront6targetE0EEEvSL_.kd
    .uniform_work_group_size: 1
    .uses_dynamic_stack: false
    .vgpr_count:     0
    .vgpr_spill_count: 0
    .wavefront_size: 32
  - .args:
      - .offset:         0
        .size:           80
        .value_kind:     by_value
    .group_segment_fixed_size: 0
    .kernarg_segment_align: 8
    .kernarg_segment_size: 80
    .language:       OpenCL C
    .language_version:
      - 2
      - 0
    .max_flat_workgroup_size: 256
    .name:           _ZN7rocprim17ROCPRIM_400000_NS6detail17trampoline_kernelINS0_14default_configENS1_36segmented_radix_sort_config_selectorI12hip_bfloat16lEEZNS1_25segmented_radix_sort_implIS3_Lb1EPKS5_PS5_PKlPlN2at6native12_GLOBAL__N_18offset_tEEE10hipError_tPvRmT1_PNSt15iterator_traitsISL_E10value_typeET2_T3_PNSM_ISR_E10value_typeET4_jRbjT5_SX_jjP12ihipStream_tbEUlT_E2_NS1_11comp_targetILNS1_3genE3ELNS1_11target_archE908ELNS1_3gpuE7ELNS1_3repE0EEENS1_30default_config_static_selectorELNS0_4arch9wavefront6targetE0EEEvSL_
    .private_segment_fixed_size: 0
    .sgpr_count:     0
    .sgpr_spill_count: 0
    .symbol:         _ZN7rocprim17ROCPRIM_400000_NS6detail17trampoline_kernelINS0_14default_configENS1_36segmented_radix_sort_config_selectorI12hip_bfloat16lEEZNS1_25segmented_radix_sort_implIS3_Lb1EPKS5_PS5_PKlPlN2at6native12_GLOBAL__N_18offset_tEEE10hipError_tPvRmT1_PNSt15iterator_traitsISL_E10value_typeET2_T3_PNSM_ISR_E10value_typeET4_jRbjT5_SX_jjP12ihipStream_tbEUlT_E2_NS1_11comp_targetILNS1_3genE3ELNS1_11target_archE908ELNS1_3gpuE7ELNS1_3repE0EEENS1_30default_config_static_selectorELNS0_4arch9wavefront6targetE0EEEvSL_.kd
    .uniform_work_group_size: 1
    .uses_dynamic_stack: false
    .vgpr_count:     0
    .vgpr_spill_count: 0
    .wavefront_size: 32
  - .args:
      - .offset:         0
        .size:           80
        .value_kind:     by_value
    .group_segment_fixed_size: 0
    .kernarg_segment_align: 8
    .kernarg_segment_size: 80
    .language:       OpenCL C
    .language_version:
      - 2
      - 0
    .max_flat_workgroup_size: 256
    .name:           _ZN7rocprim17ROCPRIM_400000_NS6detail17trampoline_kernelINS0_14default_configENS1_36segmented_radix_sort_config_selectorI12hip_bfloat16lEEZNS1_25segmented_radix_sort_implIS3_Lb1EPKS5_PS5_PKlPlN2at6native12_GLOBAL__N_18offset_tEEE10hipError_tPvRmT1_PNSt15iterator_traitsISL_E10value_typeET2_T3_PNSM_ISR_E10value_typeET4_jRbjT5_SX_jjP12ihipStream_tbEUlT_E2_NS1_11comp_targetILNS1_3genE2ELNS1_11target_archE906ELNS1_3gpuE6ELNS1_3repE0EEENS1_30default_config_static_selectorELNS0_4arch9wavefront6targetE0EEEvSL_
    .private_segment_fixed_size: 0
    .sgpr_count:     0
    .sgpr_spill_count: 0
    .symbol:         _ZN7rocprim17ROCPRIM_400000_NS6detail17trampoline_kernelINS0_14default_configENS1_36segmented_radix_sort_config_selectorI12hip_bfloat16lEEZNS1_25segmented_radix_sort_implIS3_Lb1EPKS5_PS5_PKlPlN2at6native12_GLOBAL__N_18offset_tEEE10hipError_tPvRmT1_PNSt15iterator_traitsISL_E10value_typeET2_T3_PNSM_ISR_E10value_typeET4_jRbjT5_SX_jjP12ihipStream_tbEUlT_E2_NS1_11comp_targetILNS1_3genE2ELNS1_11target_archE906ELNS1_3gpuE6ELNS1_3repE0EEENS1_30default_config_static_selectorELNS0_4arch9wavefront6targetE0EEEvSL_.kd
    .uniform_work_group_size: 1
    .uses_dynamic_stack: false
    .vgpr_count:     0
    .vgpr_spill_count: 0
    .wavefront_size: 32
  - .args:
      - .offset:         0
        .size:           80
        .value_kind:     by_value
    .group_segment_fixed_size: 0
    .kernarg_segment_align: 8
    .kernarg_segment_size: 80
    .language:       OpenCL C
    .language_version:
      - 2
      - 0
    .max_flat_workgroup_size: 256
    .name:           _ZN7rocprim17ROCPRIM_400000_NS6detail17trampoline_kernelINS0_14default_configENS1_36segmented_radix_sort_config_selectorI12hip_bfloat16lEEZNS1_25segmented_radix_sort_implIS3_Lb1EPKS5_PS5_PKlPlN2at6native12_GLOBAL__N_18offset_tEEE10hipError_tPvRmT1_PNSt15iterator_traitsISL_E10value_typeET2_T3_PNSM_ISR_E10value_typeET4_jRbjT5_SX_jjP12ihipStream_tbEUlT_E2_NS1_11comp_targetILNS1_3genE10ELNS1_11target_archE1201ELNS1_3gpuE5ELNS1_3repE0EEENS1_30default_config_static_selectorELNS0_4arch9wavefront6targetE0EEEvSL_
    .private_segment_fixed_size: 0
    .sgpr_count:     0
    .sgpr_spill_count: 0
    .symbol:         _ZN7rocprim17ROCPRIM_400000_NS6detail17trampoline_kernelINS0_14default_configENS1_36segmented_radix_sort_config_selectorI12hip_bfloat16lEEZNS1_25segmented_radix_sort_implIS3_Lb1EPKS5_PS5_PKlPlN2at6native12_GLOBAL__N_18offset_tEEE10hipError_tPvRmT1_PNSt15iterator_traitsISL_E10value_typeET2_T3_PNSM_ISR_E10value_typeET4_jRbjT5_SX_jjP12ihipStream_tbEUlT_E2_NS1_11comp_targetILNS1_3genE10ELNS1_11target_archE1201ELNS1_3gpuE5ELNS1_3repE0EEENS1_30default_config_static_selectorELNS0_4arch9wavefront6targetE0EEEvSL_.kd
    .uniform_work_group_size: 1
    .uses_dynamic_stack: false
    .vgpr_count:     0
    .vgpr_spill_count: 0
    .wavefront_size: 32
  - .args:
      - .offset:         0
        .size:           80
        .value_kind:     by_value
    .group_segment_fixed_size: 0
    .kernarg_segment_align: 8
    .kernarg_segment_size: 80
    .language:       OpenCL C
    .language_version:
      - 2
      - 0
    .max_flat_workgroup_size: 128
    .name:           _ZN7rocprim17ROCPRIM_400000_NS6detail17trampoline_kernelINS0_14default_configENS1_36segmented_radix_sort_config_selectorI12hip_bfloat16lEEZNS1_25segmented_radix_sort_implIS3_Lb1EPKS5_PS5_PKlPlN2at6native12_GLOBAL__N_18offset_tEEE10hipError_tPvRmT1_PNSt15iterator_traitsISL_E10value_typeET2_T3_PNSM_ISR_E10value_typeET4_jRbjT5_SX_jjP12ihipStream_tbEUlT_E2_NS1_11comp_targetILNS1_3genE10ELNS1_11target_archE1200ELNS1_3gpuE4ELNS1_3repE0EEENS1_30default_config_static_selectorELNS0_4arch9wavefront6targetE0EEEvSL_
    .private_segment_fixed_size: 0
    .sgpr_count:     0
    .sgpr_spill_count: 0
    .symbol:         _ZN7rocprim17ROCPRIM_400000_NS6detail17trampoline_kernelINS0_14default_configENS1_36segmented_radix_sort_config_selectorI12hip_bfloat16lEEZNS1_25segmented_radix_sort_implIS3_Lb1EPKS5_PS5_PKlPlN2at6native12_GLOBAL__N_18offset_tEEE10hipError_tPvRmT1_PNSt15iterator_traitsISL_E10value_typeET2_T3_PNSM_ISR_E10value_typeET4_jRbjT5_SX_jjP12ihipStream_tbEUlT_E2_NS1_11comp_targetILNS1_3genE10ELNS1_11target_archE1200ELNS1_3gpuE4ELNS1_3repE0EEENS1_30default_config_static_selectorELNS0_4arch9wavefront6targetE0EEEvSL_.kd
    .uniform_work_group_size: 1
    .uses_dynamic_stack: false
    .vgpr_count:     0
    .vgpr_spill_count: 0
    .wavefront_size: 32
  - .args:
      - .offset:         0
        .size:           80
        .value_kind:     by_value
    .group_segment_fixed_size: 0
    .kernarg_segment_align: 8
    .kernarg_segment_size: 80
    .language:       OpenCL C
    .language_version:
      - 2
      - 0
    .max_flat_workgroup_size: 256
    .name:           _ZN7rocprim17ROCPRIM_400000_NS6detail17trampoline_kernelINS0_14default_configENS1_36segmented_radix_sort_config_selectorI12hip_bfloat16lEEZNS1_25segmented_radix_sort_implIS3_Lb1EPKS5_PS5_PKlPlN2at6native12_GLOBAL__N_18offset_tEEE10hipError_tPvRmT1_PNSt15iterator_traitsISL_E10value_typeET2_T3_PNSM_ISR_E10value_typeET4_jRbjT5_SX_jjP12ihipStream_tbEUlT_E2_NS1_11comp_targetILNS1_3genE9ELNS1_11target_archE1100ELNS1_3gpuE3ELNS1_3repE0EEENS1_30default_config_static_selectorELNS0_4arch9wavefront6targetE0EEEvSL_
    .private_segment_fixed_size: 0
    .sgpr_count:     0
    .sgpr_spill_count: 0
    .symbol:         _ZN7rocprim17ROCPRIM_400000_NS6detail17trampoline_kernelINS0_14default_configENS1_36segmented_radix_sort_config_selectorI12hip_bfloat16lEEZNS1_25segmented_radix_sort_implIS3_Lb1EPKS5_PS5_PKlPlN2at6native12_GLOBAL__N_18offset_tEEE10hipError_tPvRmT1_PNSt15iterator_traitsISL_E10value_typeET2_T3_PNSM_ISR_E10value_typeET4_jRbjT5_SX_jjP12ihipStream_tbEUlT_E2_NS1_11comp_targetILNS1_3genE9ELNS1_11target_archE1100ELNS1_3gpuE3ELNS1_3repE0EEENS1_30default_config_static_selectorELNS0_4arch9wavefront6targetE0EEEvSL_.kd
    .uniform_work_group_size: 1
    .uses_dynamic_stack: false
    .vgpr_count:     0
    .vgpr_spill_count: 0
    .wavefront_size: 32
  - .args:
      - .offset:         0
        .size:           80
        .value_kind:     by_value
    .group_segment_fixed_size: 0
    .kernarg_segment_align: 8
    .kernarg_segment_size: 80
    .language:       OpenCL C
    .language_version:
      - 2
      - 0
    .max_flat_workgroup_size: 256
    .name:           _ZN7rocprim17ROCPRIM_400000_NS6detail17trampoline_kernelINS0_14default_configENS1_36segmented_radix_sort_config_selectorI12hip_bfloat16lEEZNS1_25segmented_radix_sort_implIS3_Lb1EPKS5_PS5_PKlPlN2at6native12_GLOBAL__N_18offset_tEEE10hipError_tPvRmT1_PNSt15iterator_traitsISL_E10value_typeET2_T3_PNSM_ISR_E10value_typeET4_jRbjT5_SX_jjP12ihipStream_tbEUlT_E2_NS1_11comp_targetILNS1_3genE8ELNS1_11target_archE1030ELNS1_3gpuE2ELNS1_3repE0EEENS1_30default_config_static_selectorELNS0_4arch9wavefront6targetE0EEEvSL_
    .private_segment_fixed_size: 0
    .sgpr_count:     0
    .sgpr_spill_count: 0
    .symbol:         _ZN7rocprim17ROCPRIM_400000_NS6detail17trampoline_kernelINS0_14default_configENS1_36segmented_radix_sort_config_selectorI12hip_bfloat16lEEZNS1_25segmented_radix_sort_implIS3_Lb1EPKS5_PS5_PKlPlN2at6native12_GLOBAL__N_18offset_tEEE10hipError_tPvRmT1_PNSt15iterator_traitsISL_E10value_typeET2_T3_PNSM_ISR_E10value_typeET4_jRbjT5_SX_jjP12ihipStream_tbEUlT_E2_NS1_11comp_targetILNS1_3genE8ELNS1_11target_archE1030ELNS1_3gpuE2ELNS1_3repE0EEENS1_30default_config_static_selectorELNS0_4arch9wavefront6targetE0EEEvSL_.kd
    .uniform_work_group_size: 1
    .uses_dynamic_stack: false
    .vgpr_count:     0
    .vgpr_spill_count: 0
    .wavefront_size: 32
  - .args:
      - .offset:         0
        .size:           176
        .value_kind:     by_value
    .group_segment_fixed_size: 13328
    .kernarg_segment_align: 8
    .kernarg_segment_size: 176
    .language:       OpenCL C
    .language_version:
      - 2
      - 0
    .max_flat_workgroup_size: 256
    .name:           _ZN7rocprim17ROCPRIM_400000_NS6detail17trampoline_kernelINS0_13select_configILj256ELj13ELNS0_17block_load_methodE3ELS4_3ELS4_3ELNS0_20block_scan_algorithmE0ELj4294967295EEENS1_25partition_config_selectorILNS1_17partition_subalgoE4EjNS0_10empty_typeEbEEZZNS1_14partition_implILS8_4ELb0ES6_15HIP_vector_typeIjLj2EENS0_17counting_iteratorIjlEEPS9_SG_NS0_5tupleIJPjSI_NS0_16reverse_iteratorISI_EEEEENSH_IJSG_SG_SG_EEES9_SI_JZNS1_25segmented_radix_sort_implINS0_14default_configELb0EPK12hip_bfloat16PSP_PKlPlN2at6native12_GLOBAL__N_18offset_tEEE10hipError_tPvRmT1_PNSt15iterator_traitsIS13_E10value_typeET2_T3_PNS14_IS19_E10value_typeET4_jRbjT5_S1F_jjP12ihipStream_tbEUljE_ZNSN_ISO_Lb0ESR_SS_SU_SV_SZ_EES10_S11_S12_S13_S17_S18_S19_S1C_S1D_jS1E_jS1F_S1F_jjS1H_bEUljE0_EEES10_S11_S12_S19_S1D_S1F_T6_T7_T9_mT8_S1H_bDpT10_ENKUlT_T0_E_clISt17integral_constantIbLb0EES1V_EEDaS1Q_S1R_EUlS1Q_E_NS1_11comp_targetILNS1_3genE0ELNS1_11target_archE4294967295ELNS1_3gpuE0ELNS1_3repE0EEENS1_30default_config_static_selectorELNS0_4arch9wavefront6targetE0EEEvS13_
    .private_segment_fixed_size: 0
    .sgpr_count:     61
    .sgpr_spill_count: 0
    .symbol:         _ZN7rocprim17ROCPRIM_400000_NS6detail17trampoline_kernelINS0_13select_configILj256ELj13ELNS0_17block_load_methodE3ELS4_3ELS4_3ELNS0_20block_scan_algorithmE0ELj4294967295EEENS1_25partition_config_selectorILNS1_17partition_subalgoE4EjNS0_10empty_typeEbEEZZNS1_14partition_implILS8_4ELb0ES6_15HIP_vector_typeIjLj2EENS0_17counting_iteratorIjlEEPS9_SG_NS0_5tupleIJPjSI_NS0_16reverse_iteratorISI_EEEEENSH_IJSG_SG_SG_EEES9_SI_JZNS1_25segmented_radix_sort_implINS0_14default_configELb0EPK12hip_bfloat16PSP_PKlPlN2at6native12_GLOBAL__N_18offset_tEEE10hipError_tPvRmT1_PNSt15iterator_traitsIS13_E10value_typeET2_T3_PNS14_IS19_E10value_typeET4_jRbjT5_S1F_jjP12ihipStream_tbEUljE_ZNSN_ISO_Lb0ESR_SS_SU_SV_SZ_EES10_S11_S12_S13_S17_S18_S19_S1C_S1D_jS1E_jS1F_S1F_jjS1H_bEUljE0_EEES10_S11_S12_S19_S1D_S1F_T6_T7_T9_mT8_S1H_bDpT10_ENKUlT_T0_E_clISt17integral_constantIbLb0EES1V_EEDaS1Q_S1R_EUlS1Q_E_NS1_11comp_targetILNS1_3genE0ELNS1_11target_archE4294967295ELNS1_3gpuE0ELNS1_3repE0EEENS1_30default_config_static_selectorELNS0_4arch9wavefront6targetE0EEEvS13_.kd
    .uniform_work_group_size: 1
    .uses_dynamic_stack: false
    .vgpr_count:     81
    .vgpr_spill_count: 0
    .wavefront_size: 32
  - .args:
      - .offset:         0
        .size:           176
        .value_kind:     by_value
    .group_segment_fixed_size: 0
    .kernarg_segment_align: 8
    .kernarg_segment_size: 176
    .language:       OpenCL C
    .language_version:
      - 2
      - 0
    .max_flat_workgroup_size: 256
    .name:           _ZN7rocprim17ROCPRIM_400000_NS6detail17trampoline_kernelINS0_13select_configILj256ELj13ELNS0_17block_load_methodE3ELS4_3ELS4_3ELNS0_20block_scan_algorithmE0ELj4294967295EEENS1_25partition_config_selectorILNS1_17partition_subalgoE4EjNS0_10empty_typeEbEEZZNS1_14partition_implILS8_4ELb0ES6_15HIP_vector_typeIjLj2EENS0_17counting_iteratorIjlEEPS9_SG_NS0_5tupleIJPjSI_NS0_16reverse_iteratorISI_EEEEENSH_IJSG_SG_SG_EEES9_SI_JZNS1_25segmented_radix_sort_implINS0_14default_configELb0EPK12hip_bfloat16PSP_PKlPlN2at6native12_GLOBAL__N_18offset_tEEE10hipError_tPvRmT1_PNSt15iterator_traitsIS13_E10value_typeET2_T3_PNS14_IS19_E10value_typeET4_jRbjT5_S1F_jjP12ihipStream_tbEUljE_ZNSN_ISO_Lb0ESR_SS_SU_SV_SZ_EES10_S11_S12_S13_S17_S18_S19_S1C_S1D_jS1E_jS1F_S1F_jjS1H_bEUljE0_EEES10_S11_S12_S19_S1D_S1F_T6_T7_T9_mT8_S1H_bDpT10_ENKUlT_T0_E_clISt17integral_constantIbLb0EES1V_EEDaS1Q_S1R_EUlS1Q_E_NS1_11comp_targetILNS1_3genE5ELNS1_11target_archE942ELNS1_3gpuE9ELNS1_3repE0EEENS1_30default_config_static_selectorELNS0_4arch9wavefront6targetE0EEEvS13_
    .private_segment_fixed_size: 0
    .sgpr_count:     0
    .sgpr_spill_count: 0
    .symbol:         _ZN7rocprim17ROCPRIM_400000_NS6detail17trampoline_kernelINS0_13select_configILj256ELj13ELNS0_17block_load_methodE3ELS4_3ELS4_3ELNS0_20block_scan_algorithmE0ELj4294967295EEENS1_25partition_config_selectorILNS1_17partition_subalgoE4EjNS0_10empty_typeEbEEZZNS1_14partition_implILS8_4ELb0ES6_15HIP_vector_typeIjLj2EENS0_17counting_iteratorIjlEEPS9_SG_NS0_5tupleIJPjSI_NS0_16reverse_iteratorISI_EEEEENSH_IJSG_SG_SG_EEES9_SI_JZNS1_25segmented_radix_sort_implINS0_14default_configELb0EPK12hip_bfloat16PSP_PKlPlN2at6native12_GLOBAL__N_18offset_tEEE10hipError_tPvRmT1_PNSt15iterator_traitsIS13_E10value_typeET2_T3_PNS14_IS19_E10value_typeET4_jRbjT5_S1F_jjP12ihipStream_tbEUljE_ZNSN_ISO_Lb0ESR_SS_SU_SV_SZ_EES10_S11_S12_S13_S17_S18_S19_S1C_S1D_jS1E_jS1F_S1F_jjS1H_bEUljE0_EEES10_S11_S12_S19_S1D_S1F_T6_T7_T9_mT8_S1H_bDpT10_ENKUlT_T0_E_clISt17integral_constantIbLb0EES1V_EEDaS1Q_S1R_EUlS1Q_E_NS1_11comp_targetILNS1_3genE5ELNS1_11target_archE942ELNS1_3gpuE9ELNS1_3repE0EEENS1_30default_config_static_selectorELNS0_4arch9wavefront6targetE0EEEvS13_.kd
    .uniform_work_group_size: 1
    .uses_dynamic_stack: false
    .vgpr_count:     0
    .vgpr_spill_count: 0
    .wavefront_size: 32
  - .args:
      - .offset:         0
        .size:           176
        .value_kind:     by_value
    .group_segment_fixed_size: 0
    .kernarg_segment_align: 8
    .kernarg_segment_size: 176
    .language:       OpenCL C
    .language_version:
      - 2
      - 0
    .max_flat_workgroup_size: 256
    .name:           _ZN7rocprim17ROCPRIM_400000_NS6detail17trampoline_kernelINS0_13select_configILj256ELj13ELNS0_17block_load_methodE3ELS4_3ELS4_3ELNS0_20block_scan_algorithmE0ELj4294967295EEENS1_25partition_config_selectorILNS1_17partition_subalgoE4EjNS0_10empty_typeEbEEZZNS1_14partition_implILS8_4ELb0ES6_15HIP_vector_typeIjLj2EENS0_17counting_iteratorIjlEEPS9_SG_NS0_5tupleIJPjSI_NS0_16reverse_iteratorISI_EEEEENSH_IJSG_SG_SG_EEES9_SI_JZNS1_25segmented_radix_sort_implINS0_14default_configELb0EPK12hip_bfloat16PSP_PKlPlN2at6native12_GLOBAL__N_18offset_tEEE10hipError_tPvRmT1_PNSt15iterator_traitsIS13_E10value_typeET2_T3_PNS14_IS19_E10value_typeET4_jRbjT5_S1F_jjP12ihipStream_tbEUljE_ZNSN_ISO_Lb0ESR_SS_SU_SV_SZ_EES10_S11_S12_S13_S17_S18_S19_S1C_S1D_jS1E_jS1F_S1F_jjS1H_bEUljE0_EEES10_S11_S12_S19_S1D_S1F_T6_T7_T9_mT8_S1H_bDpT10_ENKUlT_T0_E_clISt17integral_constantIbLb0EES1V_EEDaS1Q_S1R_EUlS1Q_E_NS1_11comp_targetILNS1_3genE4ELNS1_11target_archE910ELNS1_3gpuE8ELNS1_3repE0EEENS1_30default_config_static_selectorELNS0_4arch9wavefront6targetE0EEEvS13_
    .private_segment_fixed_size: 0
    .sgpr_count:     0
    .sgpr_spill_count: 0
    .symbol:         _ZN7rocprim17ROCPRIM_400000_NS6detail17trampoline_kernelINS0_13select_configILj256ELj13ELNS0_17block_load_methodE3ELS4_3ELS4_3ELNS0_20block_scan_algorithmE0ELj4294967295EEENS1_25partition_config_selectorILNS1_17partition_subalgoE4EjNS0_10empty_typeEbEEZZNS1_14partition_implILS8_4ELb0ES6_15HIP_vector_typeIjLj2EENS0_17counting_iteratorIjlEEPS9_SG_NS0_5tupleIJPjSI_NS0_16reverse_iteratorISI_EEEEENSH_IJSG_SG_SG_EEES9_SI_JZNS1_25segmented_radix_sort_implINS0_14default_configELb0EPK12hip_bfloat16PSP_PKlPlN2at6native12_GLOBAL__N_18offset_tEEE10hipError_tPvRmT1_PNSt15iterator_traitsIS13_E10value_typeET2_T3_PNS14_IS19_E10value_typeET4_jRbjT5_S1F_jjP12ihipStream_tbEUljE_ZNSN_ISO_Lb0ESR_SS_SU_SV_SZ_EES10_S11_S12_S13_S17_S18_S19_S1C_S1D_jS1E_jS1F_S1F_jjS1H_bEUljE0_EEES10_S11_S12_S19_S1D_S1F_T6_T7_T9_mT8_S1H_bDpT10_ENKUlT_T0_E_clISt17integral_constantIbLb0EES1V_EEDaS1Q_S1R_EUlS1Q_E_NS1_11comp_targetILNS1_3genE4ELNS1_11target_archE910ELNS1_3gpuE8ELNS1_3repE0EEENS1_30default_config_static_selectorELNS0_4arch9wavefront6targetE0EEEvS13_.kd
    .uniform_work_group_size: 1
    .uses_dynamic_stack: false
    .vgpr_count:     0
    .vgpr_spill_count: 0
    .wavefront_size: 32
  - .args:
      - .offset:         0
        .size:           176
        .value_kind:     by_value
    .group_segment_fixed_size: 0
    .kernarg_segment_align: 8
    .kernarg_segment_size: 176
    .language:       OpenCL C
    .language_version:
      - 2
      - 0
    .max_flat_workgroup_size: 256
    .name:           _ZN7rocprim17ROCPRIM_400000_NS6detail17trampoline_kernelINS0_13select_configILj256ELj13ELNS0_17block_load_methodE3ELS4_3ELS4_3ELNS0_20block_scan_algorithmE0ELj4294967295EEENS1_25partition_config_selectorILNS1_17partition_subalgoE4EjNS0_10empty_typeEbEEZZNS1_14partition_implILS8_4ELb0ES6_15HIP_vector_typeIjLj2EENS0_17counting_iteratorIjlEEPS9_SG_NS0_5tupleIJPjSI_NS0_16reverse_iteratorISI_EEEEENSH_IJSG_SG_SG_EEES9_SI_JZNS1_25segmented_radix_sort_implINS0_14default_configELb0EPK12hip_bfloat16PSP_PKlPlN2at6native12_GLOBAL__N_18offset_tEEE10hipError_tPvRmT1_PNSt15iterator_traitsIS13_E10value_typeET2_T3_PNS14_IS19_E10value_typeET4_jRbjT5_S1F_jjP12ihipStream_tbEUljE_ZNSN_ISO_Lb0ESR_SS_SU_SV_SZ_EES10_S11_S12_S13_S17_S18_S19_S1C_S1D_jS1E_jS1F_S1F_jjS1H_bEUljE0_EEES10_S11_S12_S19_S1D_S1F_T6_T7_T9_mT8_S1H_bDpT10_ENKUlT_T0_E_clISt17integral_constantIbLb0EES1V_EEDaS1Q_S1R_EUlS1Q_E_NS1_11comp_targetILNS1_3genE3ELNS1_11target_archE908ELNS1_3gpuE7ELNS1_3repE0EEENS1_30default_config_static_selectorELNS0_4arch9wavefront6targetE0EEEvS13_
    .private_segment_fixed_size: 0
    .sgpr_count:     0
    .sgpr_spill_count: 0
    .symbol:         _ZN7rocprim17ROCPRIM_400000_NS6detail17trampoline_kernelINS0_13select_configILj256ELj13ELNS0_17block_load_methodE3ELS4_3ELS4_3ELNS0_20block_scan_algorithmE0ELj4294967295EEENS1_25partition_config_selectorILNS1_17partition_subalgoE4EjNS0_10empty_typeEbEEZZNS1_14partition_implILS8_4ELb0ES6_15HIP_vector_typeIjLj2EENS0_17counting_iteratorIjlEEPS9_SG_NS0_5tupleIJPjSI_NS0_16reverse_iteratorISI_EEEEENSH_IJSG_SG_SG_EEES9_SI_JZNS1_25segmented_radix_sort_implINS0_14default_configELb0EPK12hip_bfloat16PSP_PKlPlN2at6native12_GLOBAL__N_18offset_tEEE10hipError_tPvRmT1_PNSt15iterator_traitsIS13_E10value_typeET2_T3_PNS14_IS19_E10value_typeET4_jRbjT5_S1F_jjP12ihipStream_tbEUljE_ZNSN_ISO_Lb0ESR_SS_SU_SV_SZ_EES10_S11_S12_S13_S17_S18_S19_S1C_S1D_jS1E_jS1F_S1F_jjS1H_bEUljE0_EEES10_S11_S12_S19_S1D_S1F_T6_T7_T9_mT8_S1H_bDpT10_ENKUlT_T0_E_clISt17integral_constantIbLb0EES1V_EEDaS1Q_S1R_EUlS1Q_E_NS1_11comp_targetILNS1_3genE3ELNS1_11target_archE908ELNS1_3gpuE7ELNS1_3repE0EEENS1_30default_config_static_selectorELNS0_4arch9wavefront6targetE0EEEvS13_.kd
    .uniform_work_group_size: 1
    .uses_dynamic_stack: false
    .vgpr_count:     0
    .vgpr_spill_count: 0
    .wavefront_size: 32
  - .args:
      - .offset:         0
        .size:           176
        .value_kind:     by_value
    .group_segment_fixed_size: 0
    .kernarg_segment_align: 8
    .kernarg_segment_size: 176
    .language:       OpenCL C
    .language_version:
      - 2
      - 0
    .max_flat_workgroup_size: 256
    .name:           _ZN7rocprim17ROCPRIM_400000_NS6detail17trampoline_kernelINS0_13select_configILj256ELj13ELNS0_17block_load_methodE3ELS4_3ELS4_3ELNS0_20block_scan_algorithmE0ELj4294967295EEENS1_25partition_config_selectorILNS1_17partition_subalgoE4EjNS0_10empty_typeEbEEZZNS1_14partition_implILS8_4ELb0ES6_15HIP_vector_typeIjLj2EENS0_17counting_iteratorIjlEEPS9_SG_NS0_5tupleIJPjSI_NS0_16reverse_iteratorISI_EEEEENSH_IJSG_SG_SG_EEES9_SI_JZNS1_25segmented_radix_sort_implINS0_14default_configELb0EPK12hip_bfloat16PSP_PKlPlN2at6native12_GLOBAL__N_18offset_tEEE10hipError_tPvRmT1_PNSt15iterator_traitsIS13_E10value_typeET2_T3_PNS14_IS19_E10value_typeET4_jRbjT5_S1F_jjP12ihipStream_tbEUljE_ZNSN_ISO_Lb0ESR_SS_SU_SV_SZ_EES10_S11_S12_S13_S17_S18_S19_S1C_S1D_jS1E_jS1F_S1F_jjS1H_bEUljE0_EEES10_S11_S12_S19_S1D_S1F_T6_T7_T9_mT8_S1H_bDpT10_ENKUlT_T0_E_clISt17integral_constantIbLb0EES1V_EEDaS1Q_S1R_EUlS1Q_E_NS1_11comp_targetILNS1_3genE2ELNS1_11target_archE906ELNS1_3gpuE6ELNS1_3repE0EEENS1_30default_config_static_selectorELNS0_4arch9wavefront6targetE0EEEvS13_
    .private_segment_fixed_size: 0
    .sgpr_count:     0
    .sgpr_spill_count: 0
    .symbol:         _ZN7rocprim17ROCPRIM_400000_NS6detail17trampoline_kernelINS0_13select_configILj256ELj13ELNS0_17block_load_methodE3ELS4_3ELS4_3ELNS0_20block_scan_algorithmE0ELj4294967295EEENS1_25partition_config_selectorILNS1_17partition_subalgoE4EjNS0_10empty_typeEbEEZZNS1_14partition_implILS8_4ELb0ES6_15HIP_vector_typeIjLj2EENS0_17counting_iteratorIjlEEPS9_SG_NS0_5tupleIJPjSI_NS0_16reverse_iteratorISI_EEEEENSH_IJSG_SG_SG_EEES9_SI_JZNS1_25segmented_radix_sort_implINS0_14default_configELb0EPK12hip_bfloat16PSP_PKlPlN2at6native12_GLOBAL__N_18offset_tEEE10hipError_tPvRmT1_PNSt15iterator_traitsIS13_E10value_typeET2_T3_PNS14_IS19_E10value_typeET4_jRbjT5_S1F_jjP12ihipStream_tbEUljE_ZNSN_ISO_Lb0ESR_SS_SU_SV_SZ_EES10_S11_S12_S13_S17_S18_S19_S1C_S1D_jS1E_jS1F_S1F_jjS1H_bEUljE0_EEES10_S11_S12_S19_S1D_S1F_T6_T7_T9_mT8_S1H_bDpT10_ENKUlT_T0_E_clISt17integral_constantIbLb0EES1V_EEDaS1Q_S1R_EUlS1Q_E_NS1_11comp_targetILNS1_3genE2ELNS1_11target_archE906ELNS1_3gpuE6ELNS1_3repE0EEENS1_30default_config_static_selectorELNS0_4arch9wavefront6targetE0EEEvS13_.kd
    .uniform_work_group_size: 1
    .uses_dynamic_stack: false
    .vgpr_count:     0
    .vgpr_spill_count: 0
    .wavefront_size: 32
  - .args:
      - .offset:         0
        .size:           176
        .value_kind:     by_value
    .group_segment_fixed_size: 0
    .kernarg_segment_align: 8
    .kernarg_segment_size: 176
    .language:       OpenCL C
    .language_version:
      - 2
      - 0
    .max_flat_workgroup_size: 256
    .name:           _ZN7rocprim17ROCPRIM_400000_NS6detail17trampoline_kernelINS0_13select_configILj256ELj13ELNS0_17block_load_methodE3ELS4_3ELS4_3ELNS0_20block_scan_algorithmE0ELj4294967295EEENS1_25partition_config_selectorILNS1_17partition_subalgoE4EjNS0_10empty_typeEbEEZZNS1_14partition_implILS8_4ELb0ES6_15HIP_vector_typeIjLj2EENS0_17counting_iteratorIjlEEPS9_SG_NS0_5tupleIJPjSI_NS0_16reverse_iteratorISI_EEEEENSH_IJSG_SG_SG_EEES9_SI_JZNS1_25segmented_radix_sort_implINS0_14default_configELb0EPK12hip_bfloat16PSP_PKlPlN2at6native12_GLOBAL__N_18offset_tEEE10hipError_tPvRmT1_PNSt15iterator_traitsIS13_E10value_typeET2_T3_PNS14_IS19_E10value_typeET4_jRbjT5_S1F_jjP12ihipStream_tbEUljE_ZNSN_ISO_Lb0ESR_SS_SU_SV_SZ_EES10_S11_S12_S13_S17_S18_S19_S1C_S1D_jS1E_jS1F_S1F_jjS1H_bEUljE0_EEES10_S11_S12_S19_S1D_S1F_T6_T7_T9_mT8_S1H_bDpT10_ENKUlT_T0_E_clISt17integral_constantIbLb0EES1V_EEDaS1Q_S1R_EUlS1Q_E_NS1_11comp_targetILNS1_3genE10ELNS1_11target_archE1200ELNS1_3gpuE4ELNS1_3repE0EEENS1_30default_config_static_selectorELNS0_4arch9wavefront6targetE0EEEvS13_
    .private_segment_fixed_size: 0
    .sgpr_count:     0
    .sgpr_spill_count: 0
    .symbol:         _ZN7rocprim17ROCPRIM_400000_NS6detail17trampoline_kernelINS0_13select_configILj256ELj13ELNS0_17block_load_methodE3ELS4_3ELS4_3ELNS0_20block_scan_algorithmE0ELj4294967295EEENS1_25partition_config_selectorILNS1_17partition_subalgoE4EjNS0_10empty_typeEbEEZZNS1_14partition_implILS8_4ELb0ES6_15HIP_vector_typeIjLj2EENS0_17counting_iteratorIjlEEPS9_SG_NS0_5tupleIJPjSI_NS0_16reverse_iteratorISI_EEEEENSH_IJSG_SG_SG_EEES9_SI_JZNS1_25segmented_radix_sort_implINS0_14default_configELb0EPK12hip_bfloat16PSP_PKlPlN2at6native12_GLOBAL__N_18offset_tEEE10hipError_tPvRmT1_PNSt15iterator_traitsIS13_E10value_typeET2_T3_PNS14_IS19_E10value_typeET4_jRbjT5_S1F_jjP12ihipStream_tbEUljE_ZNSN_ISO_Lb0ESR_SS_SU_SV_SZ_EES10_S11_S12_S13_S17_S18_S19_S1C_S1D_jS1E_jS1F_S1F_jjS1H_bEUljE0_EEES10_S11_S12_S19_S1D_S1F_T6_T7_T9_mT8_S1H_bDpT10_ENKUlT_T0_E_clISt17integral_constantIbLb0EES1V_EEDaS1Q_S1R_EUlS1Q_E_NS1_11comp_targetILNS1_3genE10ELNS1_11target_archE1200ELNS1_3gpuE4ELNS1_3repE0EEENS1_30default_config_static_selectorELNS0_4arch9wavefront6targetE0EEEvS13_.kd
    .uniform_work_group_size: 1
    .uses_dynamic_stack: false
    .vgpr_count:     0
    .vgpr_spill_count: 0
    .wavefront_size: 32
  - .args:
      - .offset:         0
        .size:           176
        .value_kind:     by_value
    .group_segment_fixed_size: 0
    .kernarg_segment_align: 8
    .kernarg_segment_size: 176
    .language:       OpenCL C
    .language_version:
      - 2
      - 0
    .max_flat_workgroup_size: 256
    .name:           _ZN7rocprim17ROCPRIM_400000_NS6detail17trampoline_kernelINS0_13select_configILj256ELj13ELNS0_17block_load_methodE3ELS4_3ELS4_3ELNS0_20block_scan_algorithmE0ELj4294967295EEENS1_25partition_config_selectorILNS1_17partition_subalgoE4EjNS0_10empty_typeEbEEZZNS1_14partition_implILS8_4ELb0ES6_15HIP_vector_typeIjLj2EENS0_17counting_iteratorIjlEEPS9_SG_NS0_5tupleIJPjSI_NS0_16reverse_iteratorISI_EEEEENSH_IJSG_SG_SG_EEES9_SI_JZNS1_25segmented_radix_sort_implINS0_14default_configELb0EPK12hip_bfloat16PSP_PKlPlN2at6native12_GLOBAL__N_18offset_tEEE10hipError_tPvRmT1_PNSt15iterator_traitsIS13_E10value_typeET2_T3_PNS14_IS19_E10value_typeET4_jRbjT5_S1F_jjP12ihipStream_tbEUljE_ZNSN_ISO_Lb0ESR_SS_SU_SV_SZ_EES10_S11_S12_S13_S17_S18_S19_S1C_S1D_jS1E_jS1F_S1F_jjS1H_bEUljE0_EEES10_S11_S12_S19_S1D_S1F_T6_T7_T9_mT8_S1H_bDpT10_ENKUlT_T0_E_clISt17integral_constantIbLb0EES1V_EEDaS1Q_S1R_EUlS1Q_E_NS1_11comp_targetILNS1_3genE9ELNS1_11target_archE1100ELNS1_3gpuE3ELNS1_3repE0EEENS1_30default_config_static_selectorELNS0_4arch9wavefront6targetE0EEEvS13_
    .private_segment_fixed_size: 0
    .sgpr_count:     0
    .sgpr_spill_count: 0
    .symbol:         _ZN7rocprim17ROCPRIM_400000_NS6detail17trampoline_kernelINS0_13select_configILj256ELj13ELNS0_17block_load_methodE3ELS4_3ELS4_3ELNS0_20block_scan_algorithmE0ELj4294967295EEENS1_25partition_config_selectorILNS1_17partition_subalgoE4EjNS0_10empty_typeEbEEZZNS1_14partition_implILS8_4ELb0ES6_15HIP_vector_typeIjLj2EENS0_17counting_iteratorIjlEEPS9_SG_NS0_5tupleIJPjSI_NS0_16reverse_iteratorISI_EEEEENSH_IJSG_SG_SG_EEES9_SI_JZNS1_25segmented_radix_sort_implINS0_14default_configELb0EPK12hip_bfloat16PSP_PKlPlN2at6native12_GLOBAL__N_18offset_tEEE10hipError_tPvRmT1_PNSt15iterator_traitsIS13_E10value_typeET2_T3_PNS14_IS19_E10value_typeET4_jRbjT5_S1F_jjP12ihipStream_tbEUljE_ZNSN_ISO_Lb0ESR_SS_SU_SV_SZ_EES10_S11_S12_S13_S17_S18_S19_S1C_S1D_jS1E_jS1F_S1F_jjS1H_bEUljE0_EEES10_S11_S12_S19_S1D_S1F_T6_T7_T9_mT8_S1H_bDpT10_ENKUlT_T0_E_clISt17integral_constantIbLb0EES1V_EEDaS1Q_S1R_EUlS1Q_E_NS1_11comp_targetILNS1_3genE9ELNS1_11target_archE1100ELNS1_3gpuE3ELNS1_3repE0EEENS1_30default_config_static_selectorELNS0_4arch9wavefront6targetE0EEEvS13_.kd
    .uniform_work_group_size: 1
    .uses_dynamic_stack: false
    .vgpr_count:     0
    .vgpr_spill_count: 0
    .wavefront_size: 32
  - .args:
      - .offset:         0
        .size:           176
        .value_kind:     by_value
    .group_segment_fixed_size: 0
    .kernarg_segment_align: 8
    .kernarg_segment_size: 176
    .language:       OpenCL C
    .language_version:
      - 2
      - 0
    .max_flat_workgroup_size: 256
    .name:           _ZN7rocprim17ROCPRIM_400000_NS6detail17trampoline_kernelINS0_13select_configILj256ELj13ELNS0_17block_load_methodE3ELS4_3ELS4_3ELNS0_20block_scan_algorithmE0ELj4294967295EEENS1_25partition_config_selectorILNS1_17partition_subalgoE4EjNS0_10empty_typeEbEEZZNS1_14partition_implILS8_4ELb0ES6_15HIP_vector_typeIjLj2EENS0_17counting_iteratorIjlEEPS9_SG_NS0_5tupleIJPjSI_NS0_16reverse_iteratorISI_EEEEENSH_IJSG_SG_SG_EEES9_SI_JZNS1_25segmented_radix_sort_implINS0_14default_configELb0EPK12hip_bfloat16PSP_PKlPlN2at6native12_GLOBAL__N_18offset_tEEE10hipError_tPvRmT1_PNSt15iterator_traitsIS13_E10value_typeET2_T3_PNS14_IS19_E10value_typeET4_jRbjT5_S1F_jjP12ihipStream_tbEUljE_ZNSN_ISO_Lb0ESR_SS_SU_SV_SZ_EES10_S11_S12_S13_S17_S18_S19_S1C_S1D_jS1E_jS1F_S1F_jjS1H_bEUljE0_EEES10_S11_S12_S19_S1D_S1F_T6_T7_T9_mT8_S1H_bDpT10_ENKUlT_T0_E_clISt17integral_constantIbLb0EES1V_EEDaS1Q_S1R_EUlS1Q_E_NS1_11comp_targetILNS1_3genE8ELNS1_11target_archE1030ELNS1_3gpuE2ELNS1_3repE0EEENS1_30default_config_static_selectorELNS0_4arch9wavefront6targetE0EEEvS13_
    .private_segment_fixed_size: 0
    .sgpr_count:     0
    .sgpr_spill_count: 0
    .symbol:         _ZN7rocprim17ROCPRIM_400000_NS6detail17trampoline_kernelINS0_13select_configILj256ELj13ELNS0_17block_load_methodE3ELS4_3ELS4_3ELNS0_20block_scan_algorithmE0ELj4294967295EEENS1_25partition_config_selectorILNS1_17partition_subalgoE4EjNS0_10empty_typeEbEEZZNS1_14partition_implILS8_4ELb0ES6_15HIP_vector_typeIjLj2EENS0_17counting_iteratorIjlEEPS9_SG_NS0_5tupleIJPjSI_NS0_16reverse_iteratorISI_EEEEENSH_IJSG_SG_SG_EEES9_SI_JZNS1_25segmented_radix_sort_implINS0_14default_configELb0EPK12hip_bfloat16PSP_PKlPlN2at6native12_GLOBAL__N_18offset_tEEE10hipError_tPvRmT1_PNSt15iterator_traitsIS13_E10value_typeET2_T3_PNS14_IS19_E10value_typeET4_jRbjT5_S1F_jjP12ihipStream_tbEUljE_ZNSN_ISO_Lb0ESR_SS_SU_SV_SZ_EES10_S11_S12_S13_S17_S18_S19_S1C_S1D_jS1E_jS1F_S1F_jjS1H_bEUljE0_EEES10_S11_S12_S19_S1D_S1F_T6_T7_T9_mT8_S1H_bDpT10_ENKUlT_T0_E_clISt17integral_constantIbLb0EES1V_EEDaS1Q_S1R_EUlS1Q_E_NS1_11comp_targetILNS1_3genE8ELNS1_11target_archE1030ELNS1_3gpuE2ELNS1_3repE0EEENS1_30default_config_static_selectorELNS0_4arch9wavefront6targetE0EEEvS13_.kd
    .uniform_work_group_size: 1
    .uses_dynamic_stack: false
    .vgpr_count:     0
    .vgpr_spill_count: 0
    .wavefront_size: 32
  - .args:
      - .offset:         0
        .size:           184
        .value_kind:     by_value
    .group_segment_fixed_size: 0
    .kernarg_segment_align: 8
    .kernarg_segment_size: 184
    .language:       OpenCL C
    .language_version:
      - 2
      - 0
    .max_flat_workgroup_size: 256
    .name:           _ZN7rocprim17ROCPRIM_400000_NS6detail17trampoline_kernelINS0_13select_configILj256ELj13ELNS0_17block_load_methodE3ELS4_3ELS4_3ELNS0_20block_scan_algorithmE0ELj4294967295EEENS1_25partition_config_selectorILNS1_17partition_subalgoE4EjNS0_10empty_typeEbEEZZNS1_14partition_implILS8_4ELb0ES6_15HIP_vector_typeIjLj2EENS0_17counting_iteratorIjlEEPS9_SG_NS0_5tupleIJPjSI_NS0_16reverse_iteratorISI_EEEEENSH_IJSG_SG_SG_EEES9_SI_JZNS1_25segmented_radix_sort_implINS0_14default_configELb0EPK12hip_bfloat16PSP_PKlPlN2at6native12_GLOBAL__N_18offset_tEEE10hipError_tPvRmT1_PNSt15iterator_traitsIS13_E10value_typeET2_T3_PNS14_IS19_E10value_typeET4_jRbjT5_S1F_jjP12ihipStream_tbEUljE_ZNSN_ISO_Lb0ESR_SS_SU_SV_SZ_EES10_S11_S12_S13_S17_S18_S19_S1C_S1D_jS1E_jS1F_S1F_jjS1H_bEUljE0_EEES10_S11_S12_S19_S1D_S1F_T6_T7_T9_mT8_S1H_bDpT10_ENKUlT_T0_E_clISt17integral_constantIbLb1EES1V_EEDaS1Q_S1R_EUlS1Q_E_NS1_11comp_targetILNS1_3genE0ELNS1_11target_archE4294967295ELNS1_3gpuE0ELNS1_3repE0EEENS1_30default_config_static_selectorELNS0_4arch9wavefront6targetE0EEEvS13_
    .private_segment_fixed_size: 0
    .sgpr_count:     0
    .sgpr_spill_count: 0
    .symbol:         _ZN7rocprim17ROCPRIM_400000_NS6detail17trampoline_kernelINS0_13select_configILj256ELj13ELNS0_17block_load_methodE3ELS4_3ELS4_3ELNS0_20block_scan_algorithmE0ELj4294967295EEENS1_25partition_config_selectorILNS1_17partition_subalgoE4EjNS0_10empty_typeEbEEZZNS1_14partition_implILS8_4ELb0ES6_15HIP_vector_typeIjLj2EENS0_17counting_iteratorIjlEEPS9_SG_NS0_5tupleIJPjSI_NS0_16reverse_iteratorISI_EEEEENSH_IJSG_SG_SG_EEES9_SI_JZNS1_25segmented_radix_sort_implINS0_14default_configELb0EPK12hip_bfloat16PSP_PKlPlN2at6native12_GLOBAL__N_18offset_tEEE10hipError_tPvRmT1_PNSt15iterator_traitsIS13_E10value_typeET2_T3_PNS14_IS19_E10value_typeET4_jRbjT5_S1F_jjP12ihipStream_tbEUljE_ZNSN_ISO_Lb0ESR_SS_SU_SV_SZ_EES10_S11_S12_S13_S17_S18_S19_S1C_S1D_jS1E_jS1F_S1F_jjS1H_bEUljE0_EEES10_S11_S12_S19_S1D_S1F_T6_T7_T9_mT8_S1H_bDpT10_ENKUlT_T0_E_clISt17integral_constantIbLb1EES1V_EEDaS1Q_S1R_EUlS1Q_E_NS1_11comp_targetILNS1_3genE0ELNS1_11target_archE4294967295ELNS1_3gpuE0ELNS1_3repE0EEENS1_30default_config_static_selectorELNS0_4arch9wavefront6targetE0EEEvS13_.kd
    .uniform_work_group_size: 1
    .uses_dynamic_stack: false
    .vgpr_count:     0
    .vgpr_spill_count: 0
    .wavefront_size: 32
  - .args:
      - .offset:         0
        .size:           184
        .value_kind:     by_value
    .group_segment_fixed_size: 0
    .kernarg_segment_align: 8
    .kernarg_segment_size: 184
    .language:       OpenCL C
    .language_version:
      - 2
      - 0
    .max_flat_workgroup_size: 256
    .name:           _ZN7rocprim17ROCPRIM_400000_NS6detail17trampoline_kernelINS0_13select_configILj256ELj13ELNS0_17block_load_methodE3ELS4_3ELS4_3ELNS0_20block_scan_algorithmE0ELj4294967295EEENS1_25partition_config_selectorILNS1_17partition_subalgoE4EjNS0_10empty_typeEbEEZZNS1_14partition_implILS8_4ELb0ES6_15HIP_vector_typeIjLj2EENS0_17counting_iteratorIjlEEPS9_SG_NS0_5tupleIJPjSI_NS0_16reverse_iteratorISI_EEEEENSH_IJSG_SG_SG_EEES9_SI_JZNS1_25segmented_radix_sort_implINS0_14default_configELb0EPK12hip_bfloat16PSP_PKlPlN2at6native12_GLOBAL__N_18offset_tEEE10hipError_tPvRmT1_PNSt15iterator_traitsIS13_E10value_typeET2_T3_PNS14_IS19_E10value_typeET4_jRbjT5_S1F_jjP12ihipStream_tbEUljE_ZNSN_ISO_Lb0ESR_SS_SU_SV_SZ_EES10_S11_S12_S13_S17_S18_S19_S1C_S1D_jS1E_jS1F_S1F_jjS1H_bEUljE0_EEES10_S11_S12_S19_S1D_S1F_T6_T7_T9_mT8_S1H_bDpT10_ENKUlT_T0_E_clISt17integral_constantIbLb1EES1V_EEDaS1Q_S1R_EUlS1Q_E_NS1_11comp_targetILNS1_3genE5ELNS1_11target_archE942ELNS1_3gpuE9ELNS1_3repE0EEENS1_30default_config_static_selectorELNS0_4arch9wavefront6targetE0EEEvS13_
    .private_segment_fixed_size: 0
    .sgpr_count:     0
    .sgpr_spill_count: 0
    .symbol:         _ZN7rocprim17ROCPRIM_400000_NS6detail17trampoline_kernelINS0_13select_configILj256ELj13ELNS0_17block_load_methodE3ELS4_3ELS4_3ELNS0_20block_scan_algorithmE0ELj4294967295EEENS1_25partition_config_selectorILNS1_17partition_subalgoE4EjNS0_10empty_typeEbEEZZNS1_14partition_implILS8_4ELb0ES6_15HIP_vector_typeIjLj2EENS0_17counting_iteratorIjlEEPS9_SG_NS0_5tupleIJPjSI_NS0_16reverse_iteratorISI_EEEEENSH_IJSG_SG_SG_EEES9_SI_JZNS1_25segmented_radix_sort_implINS0_14default_configELb0EPK12hip_bfloat16PSP_PKlPlN2at6native12_GLOBAL__N_18offset_tEEE10hipError_tPvRmT1_PNSt15iterator_traitsIS13_E10value_typeET2_T3_PNS14_IS19_E10value_typeET4_jRbjT5_S1F_jjP12ihipStream_tbEUljE_ZNSN_ISO_Lb0ESR_SS_SU_SV_SZ_EES10_S11_S12_S13_S17_S18_S19_S1C_S1D_jS1E_jS1F_S1F_jjS1H_bEUljE0_EEES10_S11_S12_S19_S1D_S1F_T6_T7_T9_mT8_S1H_bDpT10_ENKUlT_T0_E_clISt17integral_constantIbLb1EES1V_EEDaS1Q_S1R_EUlS1Q_E_NS1_11comp_targetILNS1_3genE5ELNS1_11target_archE942ELNS1_3gpuE9ELNS1_3repE0EEENS1_30default_config_static_selectorELNS0_4arch9wavefront6targetE0EEEvS13_.kd
    .uniform_work_group_size: 1
    .uses_dynamic_stack: false
    .vgpr_count:     0
    .vgpr_spill_count: 0
    .wavefront_size: 32
  - .args:
      - .offset:         0
        .size:           184
        .value_kind:     by_value
    .group_segment_fixed_size: 0
    .kernarg_segment_align: 8
    .kernarg_segment_size: 184
    .language:       OpenCL C
    .language_version:
      - 2
      - 0
    .max_flat_workgroup_size: 256
    .name:           _ZN7rocprim17ROCPRIM_400000_NS6detail17trampoline_kernelINS0_13select_configILj256ELj13ELNS0_17block_load_methodE3ELS4_3ELS4_3ELNS0_20block_scan_algorithmE0ELj4294967295EEENS1_25partition_config_selectorILNS1_17partition_subalgoE4EjNS0_10empty_typeEbEEZZNS1_14partition_implILS8_4ELb0ES6_15HIP_vector_typeIjLj2EENS0_17counting_iteratorIjlEEPS9_SG_NS0_5tupleIJPjSI_NS0_16reverse_iteratorISI_EEEEENSH_IJSG_SG_SG_EEES9_SI_JZNS1_25segmented_radix_sort_implINS0_14default_configELb0EPK12hip_bfloat16PSP_PKlPlN2at6native12_GLOBAL__N_18offset_tEEE10hipError_tPvRmT1_PNSt15iterator_traitsIS13_E10value_typeET2_T3_PNS14_IS19_E10value_typeET4_jRbjT5_S1F_jjP12ihipStream_tbEUljE_ZNSN_ISO_Lb0ESR_SS_SU_SV_SZ_EES10_S11_S12_S13_S17_S18_S19_S1C_S1D_jS1E_jS1F_S1F_jjS1H_bEUljE0_EEES10_S11_S12_S19_S1D_S1F_T6_T7_T9_mT8_S1H_bDpT10_ENKUlT_T0_E_clISt17integral_constantIbLb1EES1V_EEDaS1Q_S1R_EUlS1Q_E_NS1_11comp_targetILNS1_3genE4ELNS1_11target_archE910ELNS1_3gpuE8ELNS1_3repE0EEENS1_30default_config_static_selectorELNS0_4arch9wavefront6targetE0EEEvS13_
    .private_segment_fixed_size: 0
    .sgpr_count:     0
    .sgpr_spill_count: 0
    .symbol:         _ZN7rocprim17ROCPRIM_400000_NS6detail17trampoline_kernelINS0_13select_configILj256ELj13ELNS0_17block_load_methodE3ELS4_3ELS4_3ELNS0_20block_scan_algorithmE0ELj4294967295EEENS1_25partition_config_selectorILNS1_17partition_subalgoE4EjNS0_10empty_typeEbEEZZNS1_14partition_implILS8_4ELb0ES6_15HIP_vector_typeIjLj2EENS0_17counting_iteratorIjlEEPS9_SG_NS0_5tupleIJPjSI_NS0_16reverse_iteratorISI_EEEEENSH_IJSG_SG_SG_EEES9_SI_JZNS1_25segmented_radix_sort_implINS0_14default_configELb0EPK12hip_bfloat16PSP_PKlPlN2at6native12_GLOBAL__N_18offset_tEEE10hipError_tPvRmT1_PNSt15iterator_traitsIS13_E10value_typeET2_T3_PNS14_IS19_E10value_typeET4_jRbjT5_S1F_jjP12ihipStream_tbEUljE_ZNSN_ISO_Lb0ESR_SS_SU_SV_SZ_EES10_S11_S12_S13_S17_S18_S19_S1C_S1D_jS1E_jS1F_S1F_jjS1H_bEUljE0_EEES10_S11_S12_S19_S1D_S1F_T6_T7_T9_mT8_S1H_bDpT10_ENKUlT_T0_E_clISt17integral_constantIbLb1EES1V_EEDaS1Q_S1R_EUlS1Q_E_NS1_11comp_targetILNS1_3genE4ELNS1_11target_archE910ELNS1_3gpuE8ELNS1_3repE0EEENS1_30default_config_static_selectorELNS0_4arch9wavefront6targetE0EEEvS13_.kd
    .uniform_work_group_size: 1
    .uses_dynamic_stack: false
    .vgpr_count:     0
    .vgpr_spill_count: 0
    .wavefront_size: 32
  - .args:
      - .offset:         0
        .size:           184
        .value_kind:     by_value
    .group_segment_fixed_size: 0
    .kernarg_segment_align: 8
    .kernarg_segment_size: 184
    .language:       OpenCL C
    .language_version:
      - 2
      - 0
    .max_flat_workgroup_size: 256
    .name:           _ZN7rocprim17ROCPRIM_400000_NS6detail17trampoline_kernelINS0_13select_configILj256ELj13ELNS0_17block_load_methodE3ELS4_3ELS4_3ELNS0_20block_scan_algorithmE0ELj4294967295EEENS1_25partition_config_selectorILNS1_17partition_subalgoE4EjNS0_10empty_typeEbEEZZNS1_14partition_implILS8_4ELb0ES6_15HIP_vector_typeIjLj2EENS0_17counting_iteratorIjlEEPS9_SG_NS0_5tupleIJPjSI_NS0_16reverse_iteratorISI_EEEEENSH_IJSG_SG_SG_EEES9_SI_JZNS1_25segmented_radix_sort_implINS0_14default_configELb0EPK12hip_bfloat16PSP_PKlPlN2at6native12_GLOBAL__N_18offset_tEEE10hipError_tPvRmT1_PNSt15iterator_traitsIS13_E10value_typeET2_T3_PNS14_IS19_E10value_typeET4_jRbjT5_S1F_jjP12ihipStream_tbEUljE_ZNSN_ISO_Lb0ESR_SS_SU_SV_SZ_EES10_S11_S12_S13_S17_S18_S19_S1C_S1D_jS1E_jS1F_S1F_jjS1H_bEUljE0_EEES10_S11_S12_S19_S1D_S1F_T6_T7_T9_mT8_S1H_bDpT10_ENKUlT_T0_E_clISt17integral_constantIbLb1EES1V_EEDaS1Q_S1R_EUlS1Q_E_NS1_11comp_targetILNS1_3genE3ELNS1_11target_archE908ELNS1_3gpuE7ELNS1_3repE0EEENS1_30default_config_static_selectorELNS0_4arch9wavefront6targetE0EEEvS13_
    .private_segment_fixed_size: 0
    .sgpr_count:     0
    .sgpr_spill_count: 0
    .symbol:         _ZN7rocprim17ROCPRIM_400000_NS6detail17trampoline_kernelINS0_13select_configILj256ELj13ELNS0_17block_load_methodE3ELS4_3ELS4_3ELNS0_20block_scan_algorithmE0ELj4294967295EEENS1_25partition_config_selectorILNS1_17partition_subalgoE4EjNS0_10empty_typeEbEEZZNS1_14partition_implILS8_4ELb0ES6_15HIP_vector_typeIjLj2EENS0_17counting_iteratorIjlEEPS9_SG_NS0_5tupleIJPjSI_NS0_16reverse_iteratorISI_EEEEENSH_IJSG_SG_SG_EEES9_SI_JZNS1_25segmented_radix_sort_implINS0_14default_configELb0EPK12hip_bfloat16PSP_PKlPlN2at6native12_GLOBAL__N_18offset_tEEE10hipError_tPvRmT1_PNSt15iterator_traitsIS13_E10value_typeET2_T3_PNS14_IS19_E10value_typeET4_jRbjT5_S1F_jjP12ihipStream_tbEUljE_ZNSN_ISO_Lb0ESR_SS_SU_SV_SZ_EES10_S11_S12_S13_S17_S18_S19_S1C_S1D_jS1E_jS1F_S1F_jjS1H_bEUljE0_EEES10_S11_S12_S19_S1D_S1F_T6_T7_T9_mT8_S1H_bDpT10_ENKUlT_T0_E_clISt17integral_constantIbLb1EES1V_EEDaS1Q_S1R_EUlS1Q_E_NS1_11comp_targetILNS1_3genE3ELNS1_11target_archE908ELNS1_3gpuE7ELNS1_3repE0EEENS1_30default_config_static_selectorELNS0_4arch9wavefront6targetE0EEEvS13_.kd
    .uniform_work_group_size: 1
    .uses_dynamic_stack: false
    .vgpr_count:     0
    .vgpr_spill_count: 0
    .wavefront_size: 32
  - .args:
      - .offset:         0
        .size:           184
        .value_kind:     by_value
    .group_segment_fixed_size: 0
    .kernarg_segment_align: 8
    .kernarg_segment_size: 184
    .language:       OpenCL C
    .language_version:
      - 2
      - 0
    .max_flat_workgroup_size: 256
    .name:           _ZN7rocprim17ROCPRIM_400000_NS6detail17trampoline_kernelINS0_13select_configILj256ELj13ELNS0_17block_load_methodE3ELS4_3ELS4_3ELNS0_20block_scan_algorithmE0ELj4294967295EEENS1_25partition_config_selectorILNS1_17partition_subalgoE4EjNS0_10empty_typeEbEEZZNS1_14partition_implILS8_4ELb0ES6_15HIP_vector_typeIjLj2EENS0_17counting_iteratorIjlEEPS9_SG_NS0_5tupleIJPjSI_NS0_16reverse_iteratorISI_EEEEENSH_IJSG_SG_SG_EEES9_SI_JZNS1_25segmented_radix_sort_implINS0_14default_configELb0EPK12hip_bfloat16PSP_PKlPlN2at6native12_GLOBAL__N_18offset_tEEE10hipError_tPvRmT1_PNSt15iterator_traitsIS13_E10value_typeET2_T3_PNS14_IS19_E10value_typeET4_jRbjT5_S1F_jjP12ihipStream_tbEUljE_ZNSN_ISO_Lb0ESR_SS_SU_SV_SZ_EES10_S11_S12_S13_S17_S18_S19_S1C_S1D_jS1E_jS1F_S1F_jjS1H_bEUljE0_EEES10_S11_S12_S19_S1D_S1F_T6_T7_T9_mT8_S1H_bDpT10_ENKUlT_T0_E_clISt17integral_constantIbLb1EES1V_EEDaS1Q_S1R_EUlS1Q_E_NS1_11comp_targetILNS1_3genE2ELNS1_11target_archE906ELNS1_3gpuE6ELNS1_3repE0EEENS1_30default_config_static_selectorELNS0_4arch9wavefront6targetE0EEEvS13_
    .private_segment_fixed_size: 0
    .sgpr_count:     0
    .sgpr_spill_count: 0
    .symbol:         _ZN7rocprim17ROCPRIM_400000_NS6detail17trampoline_kernelINS0_13select_configILj256ELj13ELNS0_17block_load_methodE3ELS4_3ELS4_3ELNS0_20block_scan_algorithmE0ELj4294967295EEENS1_25partition_config_selectorILNS1_17partition_subalgoE4EjNS0_10empty_typeEbEEZZNS1_14partition_implILS8_4ELb0ES6_15HIP_vector_typeIjLj2EENS0_17counting_iteratorIjlEEPS9_SG_NS0_5tupleIJPjSI_NS0_16reverse_iteratorISI_EEEEENSH_IJSG_SG_SG_EEES9_SI_JZNS1_25segmented_radix_sort_implINS0_14default_configELb0EPK12hip_bfloat16PSP_PKlPlN2at6native12_GLOBAL__N_18offset_tEEE10hipError_tPvRmT1_PNSt15iterator_traitsIS13_E10value_typeET2_T3_PNS14_IS19_E10value_typeET4_jRbjT5_S1F_jjP12ihipStream_tbEUljE_ZNSN_ISO_Lb0ESR_SS_SU_SV_SZ_EES10_S11_S12_S13_S17_S18_S19_S1C_S1D_jS1E_jS1F_S1F_jjS1H_bEUljE0_EEES10_S11_S12_S19_S1D_S1F_T6_T7_T9_mT8_S1H_bDpT10_ENKUlT_T0_E_clISt17integral_constantIbLb1EES1V_EEDaS1Q_S1R_EUlS1Q_E_NS1_11comp_targetILNS1_3genE2ELNS1_11target_archE906ELNS1_3gpuE6ELNS1_3repE0EEENS1_30default_config_static_selectorELNS0_4arch9wavefront6targetE0EEEvS13_.kd
    .uniform_work_group_size: 1
    .uses_dynamic_stack: false
    .vgpr_count:     0
    .vgpr_spill_count: 0
    .wavefront_size: 32
  - .args:
      - .offset:         0
        .size:           184
        .value_kind:     by_value
    .group_segment_fixed_size: 0
    .kernarg_segment_align: 8
    .kernarg_segment_size: 184
    .language:       OpenCL C
    .language_version:
      - 2
      - 0
    .max_flat_workgroup_size: 256
    .name:           _ZN7rocprim17ROCPRIM_400000_NS6detail17trampoline_kernelINS0_13select_configILj256ELj13ELNS0_17block_load_methodE3ELS4_3ELS4_3ELNS0_20block_scan_algorithmE0ELj4294967295EEENS1_25partition_config_selectorILNS1_17partition_subalgoE4EjNS0_10empty_typeEbEEZZNS1_14partition_implILS8_4ELb0ES6_15HIP_vector_typeIjLj2EENS0_17counting_iteratorIjlEEPS9_SG_NS0_5tupleIJPjSI_NS0_16reverse_iteratorISI_EEEEENSH_IJSG_SG_SG_EEES9_SI_JZNS1_25segmented_radix_sort_implINS0_14default_configELb0EPK12hip_bfloat16PSP_PKlPlN2at6native12_GLOBAL__N_18offset_tEEE10hipError_tPvRmT1_PNSt15iterator_traitsIS13_E10value_typeET2_T3_PNS14_IS19_E10value_typeET4_jRbjT5_S1F_jjP12ihipStream_tbEUljE_ZNSN_ISO_Lb0ESR_SS_SU_SV_SZ_EES10_S11_S12_S13_S17_S18_S19_S1C_S1D_jS1E_jS1F_S1F_jjS1H_bEUljE0_EEES10_S11_S12_S19_S1D_S1F_T6_T7_T9_mT8_S1H_bDpT10_ENKUlT_T0_E_clISt17integral_constantIbLb1EES1V_EEDaS1Q_S1R_EUlS1Q_E_NS1_11comp_targetILNS1_3genE10ELNS1_11target_archE1200ELNS1_3gpuE4ELNS1_3repE0EEENS1_30default_config_static_selectorELNS0_4arch9wavefront6targetE0EEEvS13_
    .private_segment_fixed_size: 0
    .sgpr_count:     0
    .sgpr_spill_count: 0
    .symbol:         _ZN7rocprim17ROCPRIM_400000_NS6detail17trampoline_kernelINS0_13select_configILj256ELj13ELNS0_17block_load_methodE3ELS4_3ELS4_3ELNS0_20block_scan_algorithmE0ELj4294967295EEENS1_25partition_config_selectorILNS1_17partition_subalgoE4EjNS0_10empty_typeEbEEZZNS1_14partition_implILS8_4ELb0ES6_15HIP_vector_typeIjLj2EENS0_17counting_iteratorIjlEEPS9_SG_NS0_5tupleIJPjSI_NS0_16reverse_iteratorISI_EEEEENSH_IJSG_SG_SG_EEES9_SI_JZNS1_25segmented_radix_sort_implINS0_14default_configELb0EPK12hip_bfloat16PSP_PKlPlN2at6native12_GLOBAL__N_18offset_tEEE10hipError_tPvRmT1_PNSt15iterator_traitsIS13_E10value_typeET2_T3_PNS14_IS19_E10value_typeET4_jRbjT5_S1F_jjP12ihipStream_tbEUljE_ZNSN_ISO_Lb0ESR_SS_SU_SV_SZ_EES10_S11_S12_S13_S17_S18_S19_S1C_S1D_jS1E_jS1F_S1F_jjS1H_bEUljE0_EEES10_S11_S12_S19_S1D_S1F_T6_T7_T9_mT8_S1H_bDpT10_ENKUlT_T0_E_clISt17integral_constantIbLb1EES1V_EEDaS1Q_S1R_EUlS1Q_E_NS1_11comp_targetILNS1_3genE10ELNS1_11target_archE1200ELNS1_3gpuE4ELNS1_3repE0EEENS1_30default_config_static_selectorELNS0_4arch9wavefront6targetE0EEEvS13_.kd
    .uniform_work_group_size: 1
    .uses_dynamic_stack: false
    .vgpr_count:     0
    .vgpr_spill_count: 0
    .wavefront_size: 32
  - .args:
      - .offset:         0
        .size:           184
        .value_kind:     by_value
    .group_segment_fixed_size: 0
    .kernarg_segment_align: 8
    .kernarg_segment_size: 184
    .language:       OpenCL C
    .language_version:
      - 2
      - 0
    .max_flat_workgroup_size: 256
    .name:           _ZN7rocprim17ROCPRIM_400000_NS6detail17trampoline_kernelINS0_13select_configILj256ELj13ELNS0_17block_load_methodE3ELS4_3ELS4_3ELNS0_20block_scan_algorithmE0ELj4294967295EEENS1_25partition_config_selectorILNS1_17partition_subalgoE4EjNS0_10empty_typeEbEEZZNS1_14partition_implILS8_4ELb0ES6_15HIP_vector_typeIjLj2EENS0_17counting_iteratorIjlEEPS9_SG_NS0_5tupleIJPjSI_NS0_16reverse_iteratorISI_EEEEENSH_IJSG_SG_SG_EEES9_SI_JZNS1_25segmented_radix_sort_implINS0_14default_configELb0EPK12hip_bfloat16PSP_PKlPlN2at6native12_GLOBAL__N_18offset_tEEE10hipError_tPvRmT1_PNSt15iterator_traitsIS13_E10value_typeET2_T3_PNS14_IS19_E10value_typeET4_jRbjT5_S1F_jjP12ihipStream_tbEUljE_ZNSN_ISO_Lb0ESR_SS_SU_SV_SZ_EES10_S11_S12_S13_S17_S18_S19_S1C_S1D_jS1E_jS1F_S1F_jjS1H_bEUljE0_EEES10_S11_S12_S19_S1D_S1F_T6_T7_T9_mT8_S1H_bDpT10_ENKUlT_T0_E_clISt17integral_constantIbLb1EES1V_EEDaS1Q_S1R_EUlS1Q_E_NS1_11comp_targetILNS1_3genE9ELNS1_11target_archE1100ELNS1_3gpuE3ELNS1_3repE0EEENS1_30default_config_static_selectorELNS0_4arch9wavefront6targetE0EEEvS13_
    .private_segment_fixed_size: 0
    .sgpr_count:     0
    .sgpr_spill_count: 0
    .symbol:         _ZN7rocprim17ROCPRIM_400000_NS6detail17trampoline_kernelINS0_13select_configILj256ELj13ELNS0_17block_load_methodE3ELS4_3ELS4_3ELNS0_20block_scan_algorithmE0ELj4294967295EEENS1_25partition_config_selectorILNS1_17partition_subalgoE4EjNS0_10empty_typeEbEEZZNS1_14partition_implILS8_4ELb0ES6_15HIP_vector_typeIjLj2EENS0_17counting_iteratorIjlEEPS9_SG_NS0_5tupleIJPjSI_NS0_16reverse_iteratorISI_EEEEENSH_IJSG_SG_SG_EEES9_SI_JZNS1_25segmented_radix_sort_implINS0_14default_configELb0EPK12hip_bfloat16PSP_PKlPlN2at6native12_GLOBAL__N_18offset_tEEE10hipError_tPvRmT1_PNSt15iterator_traitsIS13_E10value_typeET2_T3_PNS14_IS19_E10value_typeET4_jRbjT5_S1F_jjP12ihipStream_tbEUljE_ZNSN_ISO_Lb0ESR_SS_SU_SV_SZ_EES10_S11_S12_S13_S17_S18_S19_S1C_S1D_jS1E_jS1F_S1F_jjS1H_bEUljE0_EEES10_S11_S12_S19_S1D_S1F_T6_T7_T9_mT8_S1H_bDpT10_ENKUlT_T0_E_clISt17integral_constantIbLb1EES1V_EEDaS1Q_S1R_EUlS1Q_E_NS1_11comp_targetILNS1_3genE9ELNS1_11target_archE1100ELNS1_3gpuE3ELNS1_3repE0EEENS1_30default_config_static_selectorELNS0_4arch9wavefront6targetE0EEEvS13_.kd
    .uniform_work_group_size: 1
    .uses_dynamic_stack: false
    .vgpr_count:     0
    .vgpr_spill_count: 0
    .wavefront_size: 32
  - .args:
      - .offset:         0
        .size:           184
        .value_kind:     by_value
    .group_segment_fixed_size: 0
    .kernarg_segment_align: 8
    .kernarg_segment_size: 184
    .language:       OpenCL C
    .language_version:
      - 2
      - 0
    .max_flat_workgroup_size: 256
    .name:           _ZN7rocprim17ROCPRIM_400000_NS6detail17trampoline_kernelINS0_13select_configILj256ELj13ELNS0_17block_load_methodE3ELS4_3ELS4_3ELNS0_20block_scan_algorithmE0ELj4294967295EEENS1_25partition_config_selectorILNS1_17partition_subalgoE4EjNS0_10empty_typeEbEEZZNS1_14partition_implILS8_4ELb0ES6_15HIP_vector_typeIjLj2EENS0_17counting_iteratorIjlEEPS9_SG_NS0_5tupleIJPjSI_NS0_16reverse_iteratorISI_EEEEENSH_IJSG_SG_SG_EEES9_SI_JZNS1_25segmented_radix_sort_implINS0_14default_configELb0EPK12hip_bfloat16PSP_PKlPlN2at6native12_GLOBAL__N_18offset_tEEE10hipError_tPvRmT1_PNSt15iterator_traitsIS13_E10value_typeET2_T3_PNS14_IS19_E10value_typeET4_jRbjT5_S1F_jjP12ihipStream_tbEUljE_ZNSN_ISO_Lb0ESR_SS_SU_SV_SZ_EES10_S11_S12_S13_S17_S18_S19_S1C_S1D_jS1E_jS1F_S1F_jjS1H_bEUljE0_EEES10_S11_S12_S19_S1D_S1F_T6_T7_T9_mT8_S1H_bDpT10_ENKUlT_T0_E_clISt17integral_constantIbLb1EES1V_EEDaS1Q_S1R_EUlS1Q_E_NS1_11comp_targetILNS1_3genE8ELNS1_11target_archE1030ELNS1_3gpuE2ELNS1_3repE0EEENS1_30default_config_static_selectorELNS0_4arch9wavefront6targetE0EEEvS13_
    .private_segment_fixed_size: 0
    .sgpr_count:     0
    .sgpr_spill_count: 0
    .symbol:         _ZN7rocprim17ROCPRIM_400000_NS6detail17trampoline_kernelINS0_13select_configILj256ELj13ELNS0_17block_load_methodE3ELS4_3ELS4_3ELNS0_20block_scan_algorithmE0ELj4294967295EEENS1_25partition_config_selectorILNS1_17partition_subalgoE4EjNS0_10empty_typeEbEEZZNS1_14partition_implILS8_4ELb0ES6_15HIP_vector_typeIjLj2EENS0_17counting_iteratorIjlEEPS9_SG_NS0_5tupleIJPjSI_NS0_16reverse_iteratorISI_EEEEENSH_IJSG_SG_SG_EEES9_SI_JZNS1_25segmented_radix_sort_implINS0_14default_configELb0EPK12hip_bfloat16PSP_PKlPlN2at6native12_GLOBAL__N_18offset_tEEE10hipError_tPvRmT1_PNSt15iterator_traitsIS13_E10value_typeET2_T3_PNS14_IS19_E10value_typeET4_jRbjT5_S1F_jjP12ihipStream_tbEUljE_ZNSN_ISO_Lb0ESR_SS_SU_SV_SZ_EES10_S11_S12_S13_S17_S18_S19_S1C_S1D_jS1E_jS1F_S1F_jjS1H_bEUljE0_EEES10_S11_S12_S19_S1D_S1F_T6_T7_T9_mT8_S1H_bDpT10_ENKUlT_T0_E_clISt17integral_constantIbLb1EES1V_EEDaS1Q_S1R_EUlS1Q_E_NS1_11comp_targetILNS1_3genE8ELNS1_11target_archE1030ELNS1_3gpuE2ELNS1_3repE0EEENS1_30default_config_static_selectorELNS0_4arch9wavefront6targetE0EEEvS13_.kd
    .uniform_work_group_size: 1
    .uses_dynamic_stack: false
    .vgpr_count:     0
    .vgpr_spill_count: 0
    .wavefront_size: 32
  - .args:
      - .offset:         0
        .size:           176
        .value_kind:     by_value
    .group_segment_fixed_size: 0
    .kernarg_segment_align: 8
    .kernarg_segment_size: 176
    .language:       OpenCL C
    .language_version:
      - 2
      - 0
    .max_flat_workgroup_size: 256
    .name:           _ZN7rocprim17ROCPRIM_400000_NS6detail17trampoline_kernelINS0_13select_configILj256ELj13ELNS0_17block_load_methodE3ELS4_3ELS4_3ELNS0_20block_scan_algorithmE0ELj4294967295EEENS1_25partition_config_selectorILNS1_17partition_subalgoE4EjNS0_10empty_typeEbEEZZNS1_14partition_implILS8_4ELb0ES6_15HIP_vector_typeIjLj2EENS0_17counting_iteratorIjlEEPS9_SG_NS0_5tupleIJPjSI_NS0_16reverse_iteratorISI_EEEEENSH_IJSG_SG_SG_EEES9_SI_JZNS1_25segmented_radix_sort_implINS0_14default_configELb0EPK12hip_bfloat16PSP_PKlPlN2at6native12_GLOBAL__N_18offset_tEEE10hipError_tPvRmT1_PNSt15iterator_traitsIS13_E10value_typeET2_T3_PNS14_IS19_E10value_typeET4_jRbjT5_S1F_jjP12ihipStream_tbEUljE_ZNSN_ISO_Lb0ESR_SS_SU_SV_SZ_EES10_S11_S12_S13_S17_S18_S19_S1C_S1D_jS1E_jS1F_S1F_jjS1H_bEUljE0_EEES10_S11_S12_S19_S1D_S1F_T6_T7_T9_mT8_S1H_bDpT10_ENKUlT_T0_E_clISt17integral_constantIbLb1EES1U_IbLb0EEEEDaS1Q_S1R_EUlS1Q_E_NS1_11comp_targetILNS1_3genE0ELNS1_11target_archE4294967295ELNS1_3gpuE0ELNS1_3repE0EEENS1_30default_config_static_selectorELNS0_4arch9wavefront6targetE0EEEvS13_
    .private_segment_fixed_size: 0
    .sgpr_count:     0
    .sgpr_spill_count: 0
    .symbol:         _ZN7rocprim17ROCPRIM_400000_NS6detail17trampoline_kernelINS0_13select_configILj256ELj13ELNS0_17block_load_methodE3ELS4_3ELS4_3ELNS0_20block_scan_algorithmE0ELj4294967295EEENS1_25partition_config_selectorILNS1_17partition_subalgoE4EjNS0_10empty_typeEbEEZZNS1_14partition_implILS8_4ELb0ES6_15HIP_vector_typeIjLj2EENS0_17counting_iteratorIjlEEPS9_SG_NS0_5tupleIJPjSI_NS0_16reverse_iteratorISI_EEEEENSH_IJSG_SG_SG_EEES9_SI_JZNS1_25segmented_radix_sort_implINS0_14default_configELb0EPK12hip_bfloat16PSP_PKlPlN2at6native12_GLOBAL__N_18offset_tEEE10hipError_tPvRmT1_PNSt15iterator_traitsIS13_E10value_typeET2_T3_PNS14_IS19_E10value_typeET4_jRbjT5_S1F_jjP12ihipStream_tbEUljE_ZNSN_ISO_Lb0ESR_SS_SU_SV_SZ_EES10_S11_S12_S13_S17_S18_S19_S1C_S1D_jS1E_jS1F_S1F_jjS1H_bEUljE0_EEES10_S11_S12_S19_S1D_S1F_T6_T7_T9_mT8_S1H_bDpT10_ENKUlT_T0_E_clISt17integral_constantIbLb1EES1U_IbLb0EEEEDaS1Q_S1R_EUlS1Q_E_NS1_11comp_targetILNS1_3genE0ELNS1_11target_archE4294967295ELNS1_3gpuE0ELNS1_3repE0EEENS1_30default_config_static_selectorELNS0_4arch9wavefront6targetE0EEEvS13_.kd
    .uniform_work_group_size: 1
    .uses_dynamic_stack: false
    .vgpr_count:     0
    .vgpr_spill_count: 0
    .wavefront_size: 32
  - .args:
      - .offset:         0
        .size:           176
        .value_kind:     by_value
    .group_segment_fixed_size: 0
    .kernarg_segment_align: 8
    .kernarg_segment_size: 176
    .language:       OpenCL C
    .language_version:
      - 2
      - 0
    .max_flat_workgroup_size: 256
    .name:           _ZN7rocprim17ROCPRIM_400000_NS6detail17trampoline_kernelINS0_13select_configILj256ELj13ELNS0_17block_load_methodE3ELS4_3ELS4_3ELNS0_20block_scan_algorithmE0ELj4294967295EEENS1_25partition_config_selectorILNS1_17partition_subalgoE4EjNS0_10empty_typeEbEEZZNS1_14partition_implILS8_4ELb0ES6_15HIP_vector_typeIjLj2EENS0_17counting_iteratorIjlEEPS9_SG_NS0_5tupleIJPjSI_NS0_16reverse_iteratorISI_EEEEENSH_IJSG_SG_SG_EEES9_SI_JZNS1_25segmented_radix_sort_implINS0_14default_configELb0EPK12hip_bfloat16PSP_PKlPlN2at6native12_GLOBAL__N_18offset_tEEE10hipError_tPvRmT1_PNSt15iterator_traitsIS13_E10value_typeET2_T3_PNS14_IS19_E10value_typeET4_jRbjT5_S1F_jjP12ihipStream_tbEUljE_ZNSN_ISO_Lb0ESR_SS_SU_SV_SZ_EES10_S11_S12_S13_S17_S18_S19_S1C_S1D_jS1E_jS1F_S1F_jjS1H_bEUljE0_EEES10_S11_S12_S19_S1D_S1F_T6_T7_T9_mT8_S1H_bDpT10_ENKUlT_T0_E_clISt17integral_constantIbLb1EES1U_IbLb0EEEEDaS1Q_S1R_EUlS1Q_E_NS1_11comp_targetILNS1_3genE5ELNS1_11target_archE942ELNS1_3gpuE9ELNS1_3repE0EEENS1_30default_config_static_selectorELNS0_4arch9wavefront6targetE0EEEvS13_
    .private_segment_fixed_size: 0
    .sgpr_count:     0
    .sgpr_spill_count: 0
    .symbol:         _ZN7rocprim17ROCPRIM_400000_NS6detail17trampoline_kernelINS0_13select_configILj256ELj13ELNS0_17block_load_methodE3ELS4_3ELS4_3ELNS0_20block_scan_algorithmE0ELj4294967295EEENS1_25partition_config_selectorILNS1_17partition_subalgoE4EjNS0_10empty_typeEbEEZZNS1_14partition_implILS8_4ELb0ES6_15HIP_vector_typeIjLj2EENS0_17counting_iteratorIjlEEPS9_SG_NS0_5tupleIJPjSI_NS0_16reverse_iteratorISI_EEEEENSH_IJSG_SG_SG_EEES9_SI_JZNS1_25segmented_radix_sort_implINS0_14default_configELb0EPK12hip_bfloat16PSP_PKlPlN2at6native12_GLOBAL__N_18offset_tEEE10hipError_tPvRmT1_PNSt15iterator_traitsIS13_E10value_typeET2_T3_PNS14_IS19_E10value_typeET4_jRbjT5_S1F_jjP12ihipStream_tbEUljE_ZNSN_ISO_Lb0ESR_SS_SU_SV_SZ_EES10_S11_S12_S13_S17_S18_S19_S1C_S1D_jS1E_jS1F_S1F_jjS1H_bEUljE0_EEES10_S11_S12_S19_S1D_S1F_T6_T7_T9_mT8_S1H_bDpT10_ENKUlT_T0_E_clISt17integral_constantIbLb1EES1U_IbLb0EEEEDaS1Q_S1R_EUlS1Q_E_NS1_11comp_targetILNS1_3genE5ELNS1_11target_archE942ELNS1_3gpuE9ELNS1_3repE0EEENS1_30default_config_static_selectorELNS0_4arch9wavefront6targetE0EEEvS13_.kd
    .uniform_work_group_size: 1
    .uses_dynamic_stack: false
    .vgpr_count:     0
    .vgpr_spill_count: 0
    .wavefront_size: 32
  - .args:
      - .offset:         0
        .size:           176
        .value_kind:     by_value
    .group_segment_fixed_size: 0
    .kernarg_segment_align: 8
    .kernarg_segment_size: 176
    .language:       OpenCL C
    .language_version:
      - 2
      - 0
    .max_flat_workgroup_size: 256
    .name:           _ZN7rocprim17ROCPRIM_400000_NS6detail17trampoline_kernelINS0_13select_configILj256ELj13ELNS0_17block_load_methodE3ELS4_3ELS4_3ELNS0_20block_scan_algorithmE0ELj4294967295EEENS1_25partition_config_selectorILNS1_17partition_subalgoE4EjNS0_10empty_typeEbEEZZNS1_14partition_implILS8_4ELb0ES6_15HIP_vector_typeIjLj2EENS0_17counting_iteratorIjlEEPS9_SG_NS0_5tupleIJPjSI_NS0_16reverse_iteratorISI_EEEEENSH_IJSG_SG_SG_EEES9_SI_JZNS1_25segmented_radix_sort_implINS0_14default_configELb0EPK12hip_bfloat16PSP_PKlPlN2at6native12_GLOBAL__N_18offset_tEEE10hipError_tPvRmT1_PNSt15iterator_traitsIS13_E10value_typeET2_T3_PNS14_IS19_E10value_typeET4_jRbjT5_S1F_jjP12ihipStream_tbEUljE_ZNSN_ISO_Lb0ESR_SS_SU_SV_SZ_EES10_S11_S12_S13_S17_S18_S19_S1C_S1D_jS1E_jS1F_S1F_jjS1H_bEUljE0_EEES10_S11_S12_S19_S1D_S1F_T6_T7_T9_mT8_S1H_bDpT10_ENKUlT_T0_E_clISt17integral_constantIbLb1EES1U_IbLb0EEEEDaS1Q_S1R_EUlS1Q_E_NS1_11comp_targetILNS1_3genE4ELNS1_11target_archE910ELNS1_3gpuE8ELNS1_3repE0EEENS1_30default_config_static_selectorELNS0_4arch9wavefront6targetE0EEEvS13_
    .private_segment_fixed_size: 0
    .sgpr_count:     0
    .sgpr_spill_count: 0
    .symbol:         _ZN7rocprim17ROCPRIM_400000_NS6detail17trampoline_kernelINS0_13select_configILj256ELj13ELNS0_17block_load_methodE3ELS4_3ELS4_3ELNS0_20block_scan_algorithmE0ELj4294967295EEENS1_25partition_config_selectorILNS1_17partition_subalgoE4EjNS0_10empty_typeEbEEZZNS1_14partition_implILS8_4ELb0ES6_15HIP_vector_typeIjLj2EENS0_17counting_iteratorIjlEEPS9_SG_NS0_5tupleIJPjSI_NS0_16reverse_iteratorISI_EEEEENSH_IJSG_SG_SG_EEES9_SI_JZNS1_25segmented_radix_sort_implINS0_14default_configELb0EPK12hip_bfloat16PSP_PKlPlN2at6native12_GLOBAL__N_18offset_tEEE10hipError_tPvRmT1_PNSt15iterator_traitsIS13_E10value_typeET2_T3_PNS14_IS19_E10value_typeET4_jRbjT5_S1F_jjP12ihipStream_tbEUljE_ZNSN_ISO_Lb0ESR_SS_SU_SV_SZ_EES10_S11_S12_S13_S17_S18_S19_S1C_S1D_jS1E_jS1F_S1F_jjS1H_bEUljE0_EEES10_S11_S12_S19_S1D_S1F_T6_T7_T9_mT8_S1H_bDpT10_ENKUlT_T0_E_clISt17integral_constantIbLb1EES1U_IbLb0EEEEDaS1Q_S1R_EUlS1Q_E_NS1_11comp_targetILNS1_3genE4ELNS1_11target_archE910ELNS1_3gpuE8ELNS1_3repE0EEENS1_30default_config_static_selectorELNS0_4arch9wavefront6targetE0EEEvS13_.kd
    .uniform_work_group_size: 1
    .uses_dynamic_stack: false
    .vgpr_count:     0
    .vgpr_spill_count: 0
    .wavefront_size: 32
  - .args:
      - .offset:         0
        .size:           176
        .value_kind:     by_value
    .group_segment_fixed_size: 0
    .kernarg_segment_align: 8
    .kernarg_segment_size: 176
    .language:       OpenCL C
    .language_version:
      - 2
      - 0
    .max_flat_workgroup_size: 256
    .name:           _ZN7rocprim17ROCPRIM_400000_NS6detail17trampoline_kernelINS0_13select_configILj256ELj13ELNS0_17block_load_methodE3ELS4_3ELS4_3ELNS0_20block_scan_algorithmE0ELj4294967295EEENS1_25partition_config_selectorILNS1_17partition_subalgoE4EjNS0_10empty_typeEbEEZZNS1_14partition_implILS8_4ELb0ES6_15HIP_vector_typeIjLj2EENS0_17counting_iteratorIjlEEPS9_SG_NS0_5tupleIJPjSI_NS0_16reverse_iteratorISI_EEEEENSH_IJSG_SG_SG_EEES9_SI_JZNS1_25segmented_radix_sort_implINS0_14default_configELb0EPK12hip_bfloat16PSP_PKlPlN2at6native12_GLOBAL__N_18offset_tEEE10hipError_tPvRmT1_PNSt15iterator_traitsIS13_E10value_typeET2_T3_PNS14_IS19_E10value_typeET4_jRbjT5_S1F_jjP12ihipStream_tbEUljE_ZNSN_ISO_Lb0ESR_SS_SU_SV_SZ_EES10_S11_S12_S13_S17_S18_S19_S1C_S1D_jS1E_jS1F_S1F_jjS1H_bEUljE0_EEES10_S11_S12_S19_S1D_S1F_T6_T7_T9_mT8_S1H_bDpT10_ENKUlT_T0_E_clISt17integral_constantIbLb1EES1U_IbLb0EEEEDaS1Q_S1R_EUlS1Q_E_NS1_11comp_targetILNS1_3genE3ELNS1_11target_archE908ELNS1_3gpuE7ELNS1_3repE0EEENS1_30default_config_static_selectorELNS0_4arch9wavefront6targetE0EEEvS13_
    .private_segment_fixed_size: 0
    .sgpr_count:     0
    .sgpr_spill_count: 0
    .symbol:         _ZN7rocprim17ROCPRIM_400000_NS6detail17trampoline_kernelINS0_13select_configILj256ELj13ELNS0_17block_load_methodE3ELS4_3ELS4_3ELNS0_20block_scan_algorithmE0ELj4294967295EEENS1_25partition_config_selectorILNS1_17partition_subalgoE4EjNS0_10empty_typeEbEEZZNS1_14partition_implILS8_4ELb0ES6_15HIP_vector_typeIjLj2EENS0_17counting_iteratorIjlEEPS9_SG_NS0_5tupleIJPjSI_NS0_16reverse_iteratorISI_EEEEENSH_IJSG_SG_SG_EEES9_SI_JZNS1_25segmented_radix_sort_implINS0_14default_configELb0EPK12hip_bfloat16PSP_PKlPlN2at6native12_GLOBAL__N_18offset_tEEE10hipError_tPvRmT1_PNSt15iterator_traitsIS13_E10value_typeET2_T3_PNS14_IS19_E10value_typeET4_jRbjT5_S1F_jjP12ihipStream_tbEUljE_ZNSN_ISO_Lb0ESR_SS_SU_SV_SZ_EES10_S11_S12_S13_S17_S18_S19_S1C_S1D_jS1E_jS1F_S1F_jjS1H_bEUljE0_EEES10_S11_S12_S19_S1D_S1F_T6_T7_T9_mT8_S1H_bDpT10_ENKUlT_T0_E_clISt17integral_constantIbLb1EES1U_IbLb0EEEEDaS1Q_S1R_EUlS1Q_E_NS1_11comp_targetILNS1_3genE3ELNS1_11target_archE908ELNS1_3gpuE7ELNS1_3repE0EEENS1_30default_config_static_selectorELNS0_4arch9wavefront6targetE0EEEvS13_.kd
    .uniform_work_group_size: 1
    .uses_dynamic_stack: false
    .vgpr_count:     0
    .vgpr_spill_count: 0
    .wavefront_size: 32
  - .args:
      - .offset:         0
        .size:           176
        .value_kind:     by_value
    .group_segment_fixed_size: 0
    .kernarg_segment_align: 8
    .kernarg_segment_size: 176
    .language:       OpenCL C
    .language_version:
      - 2
      - 0
    .max_flat_workgroup_size: 256
    .name:           _ZN7rocprim17ROCPRIM_400000_NS6detail17trampoline_kernelINS0_13select_configILj256ELj13ELNS0_17block_load_methodE3ELS4_3ELS4_3ELNS0_20block_scan_algorithmE0ELj4294967295EEENS1_25partition_config_selectorILNS1_17partition_subalgoE4EjNS0_10empty_typeEbEEZZNS1_14partition_implILS8_4ELb0ES6_15HIP_vector_typeIjLj2EENS0_17counting_iteratorIjlEEPS9_SG_NS0_5tupleIJPjSI_NS0_16reverse_iteratorISI_EEEEENSH_IJSG_SG_SG_EEES9_SI_JZNS1_25segmented_radix_sort_implINS0_14default_configELb0EPK12hip_bfloat16PSP_PKlPlN2at6native12_GLOBAL__N_18offset_tEEE10hipError_tPvRmT1_PNSt15iterator_traitsIS13_E10value_typeET2_T3_PNS14_IS19_E10value_typeET4_jRbjT5_S1F_jjP12ihipStream_tbEUljE_ZNSN_ISO_Lb0ESR_SS_SU_SV_SZ_EES10_S11_S12_S13_S17_S18_S19_S1C_S1D_jS1E_jS1F_S1F_jjS1H_bEUljE0_EEES10_S11_S12_S19_S1D_S1F_T6_T7_T9_mT8_S1H_bDpT10_ENKUlT_T0_E_clISt17integral_constantIbLb1EES1U_IbLb0EEEEDaS1Q_S1R_EUlS1Q_E_NS1_11comp_targetILNS1_3genE2ELNS1_11target_archE906ELNS1_3gpuE6ELNS1_3repE0EEENS1_30default_config_static_selectorELNS0_4arch9wavefront6targetE0EEEvS13_
    .private_segment_fixed_size: 0
    .sgpr_count:     0
    .sgpr_spill_count: 0
    .symbol:         _ZN7rocprim17ROCPRIM_400000_NS6detail17trampoline_kernelINS0_13select_configILj256ELj13ELNS0_17block_load_methodE3ELS4_3ELS4_3ELNS0_20block_scan_algorithmE0ELj4294967295EEENS1_25partition_config_selectorILNS1_17partition_subalgoE4EjNS0_10empty_typeEbEEZZNS1_14partition_implILS8_4ELb0ES6_15HIP_vector_typeIjLj2EENS0_17counting_iteratorIjlEEPS9_SG_NS0_5tupleIJPjSI_NS0_16reverse_iteratorISI_EEEEENSH_IJSG_SG_SG_EEES9_SI_JZNS1_25segmented_radix_sort_implINS0_14default_configELb0EPK12hip_bfloat16PSP_PKlPlN2at6native12_GLOBAL__N_18offset_tEEE10hipError_tPvRmT1_PNSt15iterator_traitsIS13_E10value_typeET2_T3_PNS14_IS19_E10value_typeET4_jRbjT5_S1F_jjP12ihipStream_tbEUljE_ZNSN_ISO_Lb0ESR_SS_SU_SV_SZ_EES10_S11_S12_S13_S17_S18_S19_S1C_S1D_jS1E_jS1F_S1F_jjS1H_bEUljE0_EEES10_S11_S12_S19_S1D_S1F_T6_T7_T9_mT8_S1H_bDpT10_ENKUlT_T0_E_clISt17integral_constantIbLb1EES1U_IbLb0EEEEDaS1Q_S1R_EUlS1Q_E_NS1_11comp_targetILNS1_3genE2ELNS1_11target_archE906ELNS1_3gpuE6ELNS1_3repE0EEENS1_30default_config_static_selectorELNS0_4arch9wavefront6targetE0EEEvS13_.kd
    .uniform_work_group_size: 1
    .uses_dynamic_stack: false
    .vgpr_count:     0
    .vgpr_spill_count: 0
    .wavefront_size: 32
  - .args:
      - .offset:         0
        .size:           176
        .value_kind:     by_value
    .group_segment_fixed_size: 0
    .kernarg_segment_align: 8
    .kernarg_segment_size: 176
    .language:       OpenCL C
    .language_version:
      - 2
      - 0
    .max_flat_workgroup_size: 256
    .name:           _ZN7rocprim17ROCPRIM_400000_NS6detail17trampoline_kernelINS0_13select_configILj256ELj13ELNS0_17block_load_methodE3ELS4_3ELS4_3ELNS0_20block_scan_algorithmE0ELj4294967295EEENS1_25partition_config_selectorILNS1_17partition_subalgoE4EjNS0_10empty_typeEbEEZZNS1_14partition_implILS8_4ELb0ES6_15HIP_vector_typeIjLj2EENS0_17counting_iteratorIjlEEPS9_SG_NS0_5tupleIJPjSI_NS0_16reverse_iteratorISI_EEEEENSH_IJSG_SG_SG_EEES9_SI_JZNS1_25segmented_radix_sort_implINS0_14default_configELb0EPK12hip_bfloat16PSP_PKlPlN2at6native12_GLOBAL__N_18offset_tEEE10hipError_tPvRmT1_PNSt15iterator_traitsIS13_E10value_typeET2_T3_PNS14_IS19_E10value_typeET4_jRbjT5_S1F_jjP12ihipStream_tbEUljE_ZNSN_ISO_Lb0ESR_SS_SU_SV_SZ_EES10_S11_S12_S13_S17_S18_S19_S1C_S1D_jS1E_jS1F_S1F_jjS1H_bEUljE0_EEES10_S11_S12_S19_S1D_S1F_T6_T7_T9_mT8_S1H_bDpT10_ENKUlT_T0_E_clISt17integral_constantIbLb1EES1U_IbLb0EEEEDaS1Q_S1R_EUlS1Q_E_NS1_11comp_targetILNS1_3genE10ELNS1_11target_archE1200ELNS1_3gpuE4ELNS1_3repE0EEENS1_30default_config_static_selectorELNS0_4arch9wavefront6targetE0EEEvS13_
    .private_segment_fixed_size: 0
    .sgpr_count:     0
    .sgpr_spill_count: 0
    .symbol:         _ZN7rocprim17ROCPRIM_400000_NS6detail17trampoline_kernelINS0_13select_configILj256ELj13ELNS0_17block_load_methodE3ELS4_3ELS4_3ELNS0_20block_scan_algorithmE0ELj4294967295EEENS1_25partition_config_selectorILNS1_17partition_subalgoE4EjNS0_10empty_typeEbEEZZNS1_14partition_implILS8_4ELb0ES6_15HIP_vector_typeIjLj2EENS0_17counting_iteratorIjlEEPS9_SG_NS0_5tupleIJPjSI_NS0_16reverse_iteratorISI_EEEEENSH_IJSG_SG_SG_EEES9_SI_JZNS1_25segmented_radix_sort_implINS0_14default_configELb0EPK12hip_bfloat16PSP_PKlPlN2at6native12_GLOBAL__N_18offset_tEEE10hipError_tPvRmT1_PNSt15iterator_traitsIS13_E10value_typeET2_T3_PNS14_IS19_E10value_typeET4_jRbjT5_S1F_jjP12ihipStream_tbEUljE_ZNSN_ISO_Lb0ESR_SS_SU_SV_SZ_EES10_S11_S12_S13_S17_S18_S19_S1C_S1D_jS1E_jS1F_S1F_jjS1H_bEUljE0_EEES10_S11_S12_S19_S1D_S1F_T6_T7_T9_mT8_S1H_bDpT10_ENKUlT_T0_E_clISt17integral_constantIbLb1EES1U_IbLb0EEEEDaS1Q_S1R_EUlS1Q_E_NS1_11comp_targetILNS1_3genE10ELNS1_11target_archE1200ELNS1_3gpuE4ELNS1_3repE0EEENS1_30default_config_static_selectorELNS0_4arch9wavefront6targetE0EEEvS13_.kd
    .uniform_work_group_size: 1
    .uses_dynamic_stack: false
    .vgpr_count:     0
    .vgpr_spill_count: 0
    .wavefront_size: 32
  - .args:
      - .offset:         0
        .size:           176
        .value_kind:     by_value
    .group_segment_fixed_size: 0
    .kernarg_segment_align: 8
    .kernarg_segment_size: 176
    .language:       OpenCL C
    .language_version:
      - 2
      - 0
    .max_flat_workgroup_size: 256
    .name:           _ZN7rocprim17ROCPRIM_400000_NS6detail17trampoline_kernelINS0_13select_configILj256ELj13ELNS0_17block_load_methodE3ELS4_3ELS4_3ELNS0_20block_scan_algorithmE0ELj4294967295EEENS1_25partition_config_selectorILNS1_17partition_subalgoE4EjNS0_10empty_typeEbEEZZNS1_14partition_implILS8_4ELb0ES6_15HIP_vector_typeIjLj2EENS0_17counting_iteratorIjlEEPS9_SG_NS0_5tupleIJPjSI_NS0_16reverse_iteratorISI_EEEEENSH_IJSG_SG_SG_EEES9_SI_JZNS1_25segmented_radix_sort_implINS0_14default_configELb0EPK12hip_bfloat16PSP_PKlPlN2at6native12_GLOBAL__N_18offset_tEEE10hipError_tPvRmT1_PNSt15iterator_traitsIS13_E10value_typeET2_T3_PNS14_IS19_E10value_typeET4_jRbjT5_S1F_jjP12ihipStream_tbEUljE_ZNSN_ISO_Lb0ESR_SS_SU_SV_SZ_EES10_S11_S12_S13_S17_S18_S19_S1C_S1D_jS1E_jS1F_S1F_jjS1H_bEUljE0_EEES10_S11_S12_S19_S1D_S1F_T6_T7_T9_mT8_S1H_bDpT10_ENKUlT_T0_E_clISt17integral_constantIbLb1EES1U_IbLb0EEEEDaS1Q_S1R_EUlS1Q_E_NS1_11comp_targetILNS1_3genE9ELNS1_11target_archE1100ELNS1_3gpuE3ELNS1_3repE0EEENS1_30default_config_static_selectorELNS0_4arch9wavefront6targetE0EEEvS13_
    .private_segment_fixed_size: 0
    .sgpr_count:     0
    .sgpr_spill_count: 0
    .symbol:         _ZN7rocprim17ROCPRIM_400000_NS6detail17trampoline_kernelINS0_13select_configILj256ELj13ELNS0_17block_load_methodE3ELS4_3ELS4_3ELNS0_20block_scan_algorithmE0ELj4294967295EEENS1_25partition_config_selectorILNS1_17partition_subalgoE4EjNS0_10empty_typeEbEEZZNS1_14partition_implILS8_4ELb0ES6_15HIP_vector_typeIjLj2EENS0_17counting_iteratorIjlEEPS9_SG_NS0_5tupleIJPjSI_NS0_16reverse_iteratorISI_EEEEENSH_IJSG_SG_SG_EEES9_SI_JZNS1_25segmented_radix_sort_implINS0_14default_configELb0EPK12hip_bfloat16PSP_PKlPlN2at6native12_GLOBAL__N_18offset_tEEE10hipError_tPvRmT1_PNSt15iterator_traitsIS13_E10value_typeET2_T3_PNS14_IS19_E10value_typeET4_jRbjT5_S1F_jjP12ihipStream_tbEUljE_ZNSN_ISO_Lb0ESR_SS_SU_SV_SZ_EES10_S11_S12_S13_S17_S18_S19_S1C_S1D_jS1E_jS1F_S1F_jjS1H_bEUljE0_EEES10_S11_S12_S19_S1D_S1F_T6_T7_T9_mT8_S1H_bDpT10_ENKUlT_T0_E_clISt17integral_constantIbLb1EES1U_IbLb0EEEEDaS1Q_S1R_EUlS1Q_E_NS1_11comp_targetILNS1_3genE9ELNS1_11target_archE1100ELNS1_3gpuE3ELNS1_3repE0EEENS1_30default_config_static_selectorELNS0_4arch9wavefront6targetE0EEEvS13_.kd
    .uniform_work_group_size: 1
    .uses_dynamic_stack: false
    .vgpr_count:     0
    .vgpr_spill_count: 0
    .wavefront_size: 32
  - .args:
      - .offset:         0
        .size:           176
        .value_kind:     by_value
    .group_segment_fixed_size: 0
    .kernarg_segment_align: 8
    .kernarg_segment_size: 176
    .language:       OpenCL C
    .language_version:
      - 2
      - 0
    .max_flat_workgroup_size: 256
    .name:           _ZN7rocprim17ROCPRIM_400000_NS6detail17trampoline_kernelINS0_13select_configILj256ELj13ELNS0_17block_load_methodE3ELS4_3ELS4_3ELNS0_20block_scan_algorithmE0ELj4294967295EEENS1_25partition_config_selectorILNS1_17partition_subalgoE4EjNS0_10empty_typeEbEEZZNS1_14partition_implILS8_4ELb0ES6_15HIP_vector_typeIjLj2EENS0_17counting_iteratorIjlEEPS9_SG_NS0_5tupleIJPjSI_NS0_16reverse_iteratorISI_EEEEENSH_IJSG_SG_SG_EEES9_SI_JZNS1_25segmented_radix_sort_implINS0_14default_configELb0EPK12hip_bfloat16PSP_PKlPlN2at6native12_GLOBAL__N_18offset_tEEE10hipError_tPvRmT1_PNSt15iterator_traitsIS13_E10value_typeET2_T3_PNS14_IS19_E10value_typeET4_jRbjT5_S1F_jjP12ihipStream_tbEUljE_ZNSN_ISO_Lb0ESR_SS_SU_SV_SZ_EES10_S11_S12_S13_S17_S18_S19_S1C_S1D_jS1E_jS1F_S1F_jjS1H_bEUljE0_EEES10_S11_S12_S19_S1D_S1F_T6_T7_T9_mT8_S1H_bDpT10_ENKUlT_T0_E_clISt17integral_constantIbLb1EES1U_IbLb0EEEEDaS1Q_S1R_EUlS1Q_E_NS1_11comp_targetILNS1_3genE8ELNS1_11target_archE1030ELNS1_3gpuE2ELNS1_3repE0EEENS1_30default_config_static_selectorELNS0_4arch9wavefront6targetE0EEEvS13_
    .private_segment_fixed_size: 0
    .sgpr_count:     0
    .sgpr_spill_count: 0
    .symbol:         _ZN7rocprim17ROCPRIM_400000_NS6detail17trampoline_kernelINS0_13select_configILj256ELj13ELNS0_17block_load_methodE3ELS4_3ELS4_3ELNS0_20block_scan_algorithmE0ELj4294967295EEENS1_25partition_config_selectorILNS1_17partition_subalgoE4EjNS0_10empty_typeEbEEZZNS1_14partition_implILS8_4ELb0ES6_15HIP_vector_typeIjLj2EENS0_17counting_iteratorIjlEEPS9_SG_NS0_5tupleIJPjSI_NS0_16reverse_iteratorISI_EEEEENSH_IJSG_SG_SG_EEES9_SI_JZNS1_25segmented_radix_sort_implINS0_14default_configELb0EPK12hip_bfloat16PSP_PKlPlN2at6native12_GLOBAL__N_18offset_tEEE10hipError_tPvRmT1_PNSt15iterator_traitsIS13_E10value_typeET2_T3_PNS14_IS19_E10value_typeET4_jRbjT5_S1F_jjP12ihipStream_tbEUljE_ZNSN_ISO_Lb0ESR_SS_SU_SV_SZ_EES10_S11_S12_S13_S17_S18_S19_S1C_S1D_jS1E_jS1F_S1F_jjS1H_bEUljE0_EEES10_S11_S12_S19_S1D_S1F_T6_T7_T9_mT8_S1H_bDpT10_ENKUlT_T0_E_clISt17integral_constantIbLb1EES1U_IbLb0EEEEDaS1Q_S1R_EUlS1Q_E_NS1_11comp_targetILNS1_3genE8ELNS1_11target_archE1030ELNS1_3gpuE2ELNS1_3repE0EEENS1_30default_config_static_selectorELNS0_4arch9wavefront6targetE0EEEvS13_.kd
    .uniform_work_group_size: 1
    .uses_dynamic_stack: false
    .vgpr_count:     0
    .vgpr_spill_count: 0
    .wavefront_size: 32
  - .args:
      - .offset:         0
        .size:           184
        .value_kind:     by_value
    .group_segment_fixed_size: 13328
    .kernarg_segment_align: 8
    .kernarg_segment_size: 184
    .language:       OpenCL C
    .language_version:
      - 2
      - 0
    .max_flat_workgroup_size: 256
    .name:           _ZN7rocprim17ROCPRIM_400000_NS6detail17trampoline_kernelINS0_13select_configILj256ELj13ELNS0_17block_load_methodE3ELS4_3ELS4_3ELNS0_20block_scan_algorithmE0ELj4294967295EEENS1_25partition_config_selectorILNS1_17partition_subalgoE4EjNS0_10empty_typeEbEEZZNS1_14partition_implILS8_4ELb0ES6_15HIP_vector_typeIjLj2EENS0_17counting_iteratorIjlEEPS9_SG_NS0_5tupleIJPjSI_NS0_16reverse_iteratorISI_EEEEENSH_IJSG_SG_SG_EEES9_SI_JZNS1_25segmented_radix_sort_implINS0_14default_configELb0EPK12hip_bfloat16PSP_PKlPlN2at6native12_GLOBAL__N_18offset_tEEE10hipError_tPvRmT1_PNSt15iterator_traitsIS13_E10value_typeET2_T3_PNS14_IS19_E10value_typeET4_jRbjT5_S1F_jjP12ihipStream_tbEUljE_ZNSN_ISO_Lb0ESR_SS_SU_SV_SZ_EES10_S11_S12_S13_S17_S18_S19_S1C_S1D_jS1E_jS1F_S1F_jjS1H_bEUljE0_EEES10_S11_S12_S19_S1D_S1F_T6_T7_T9_mT8_S1H_bDpT10_ENKUlT_T0_E_clISt17integral_constantIbLb0EES1U_IbLb1EEEEDaS1Q_S1R_EUlS1Q_E_NS1_11comp_targetILNS1_3genE0ELNS1_11target_archE4294967295ELNS1_3gpuE0ELNS1_3repE0EEENS1_30default_config_static_selectorELNS0_4arch9wavefront6targetE0EEEvS13_
    .private_segment_fixed_size: 0
    .sgpr_count:     57
    .sgpr_spill_count: 0
    .symbol:         _ZN7rocprim17ROCPRIM_400000_NS6detail17trampoline_kernelINS0_13select_configILj256ELj13ELNS0_17block_load_methodE3ELS4_3ELS4_3ELNS0_20block_scan_algorithmE0ELj4294967295EEENS1_25partition_config_selectorILNS1_17partition_subalgoE4EjNS0_10empty_typeEbEEZZNS1_14partition_implILS8_4ELb0ES6_15HIP_vector_typeIjLj2EENS0_17counting_iteratorIjlEEPS9_SG_NS0_5tupleIJPjSI_NS0_16reverse_iteratorISI_EEEEENSH_IJSG_SG_SG_EEES9_SI_JZNS1_25segmented_radix_sort_implINS0_14default_configELb0EPK12hip_bfloat16PSP_PKlPlN2at6native12_GLOBAL__N_18offset_tEEE10hipError_tPvRmT1_PNSt15iterator_traitsIS13_E10value_typeET2_T3_PNS14_IS19_E10value_typeET4_jRbjT5_S1F_jjP12ihipStream_tbEUljE_ZNSN_ISO_Lb0ESR_SS_SU_SV_SZ_EES10_S11_S12_S13_S17_S18_S19_S1C_S1D_jS1E_jS1F_S1F_jjS1H_bEUljE0_EEES10_S11_S12_S19_S1D_S1F_T6_T7_T9_mT8_S1H_bDpT10_ENKUlT_T0_E_clISt17integral_constantIbLb0EES1U_IbLb1EEEEDaS1Q_S1R_EUlS1Q_E_NS1_11comp_targetILNS1_3genE0ELNS1_11target_archE4294967295ELNS1_3gpuE0ELNS1_3repE0EEENS1_30default_config_static_selectorELNS0_4arch9wavefront6targetE0EEEvS13_.kd
    .uniform_work_group_size: 1
    .uses_dynamic_stack: false
    .vgpr_count:     86
    .vgpr_spill_count: 0
    .wavefront_size: 32
  - .args:
      - .offset:         0
        .size:           184
        .value_kind:     by_value
    .group_segment_fixed_size: 0
    .kernarg_segment_align: 8
    .kernarg_segment_size: 184
    .language:       OpenCL C
    .language_version:
      - 2
      - 0
    .max_flat_workgroup_size: 256
    .name:           _ZN7rocprim17ROCPRIM_400000_NS6detail17trampoline_kernelINS0_13select_configILj256ELj13ELNS0_17block_load_methodE3ELS4_3ELS4_3ELNS0_20block_scan_algorithmE0ELj4294967295EEENS1_25partition_config_selectorILNS1_17partition_subalgoE4EjNS0_10empty_typeEbEEZZNS1_14partition_implILS8_4ELb0ES6_15HIP_vector_typeIjLj2EENS0_17counting_iteratorIjlEEPS9_SG_NS0_5tupleIJPjSI_NS0_16reverse_iteratorISI_EEEEENSH_IJSG_SG_SG_EEES9_SI_JZNS1_25segmented_radix_sort_implINS0_14default_configELb0EPK12hip_bfloat16PSP_PKlPlN2at6native12_GLOBAL__N_18offset_tEEE10hipError_tPvRmT1_PNSt15iterator_traitsIS13_E10value_typeET2_T3_PNS14_IS19_E10value_typeET4_jRbjT5_S1F_jjP12ihipStream_tbEUljE_ZNSN_ISO_Lb0ESR_SS_SU_SV_SZ_EES10_S11_S12_S13_S17_S18_S19_S1C_S1D_jS1E_jS1F_S1F_jjS1H_bEUljE0_EEES10_S11_S12_S19_S1D_S1F_T6_T7_T9_mT8_S1H_bDpT10_ENKUlT_T0_E_clISt17integral_constantIbLb0EES1U_IbLb1EEEEDaS1Q_S1R_EUlS1Q_E_NS1_11comp_targetILNS1_3genE5ELNS1_11target_archE942ELNS1_3gpuE9ELNS1_3repE0EEENS1_30default_config_static_selectorELNS0_4arch9wavefront6targetE0EEEvS13_
    .private_segment_fixed_size: 0
    .sgpr_count:     0
    .sgpr_spill_count: 0
    .symbol:         _ZN7rocprim17ROCPRIM_400000_NS6detail17trampoline_kernelINS0_13select_configILj256ELj13ELNS0_17block_load_methodE3ELS4_3ELS4_3ELNS0_20block_scan_algorithmE0ELj4294967295EEENS1_25partition_config_selectorILNS1_17partition_subalgoE4EjNS0_10empty_typeEbEEZZNS1_14partition_implILS8_4ELb0ES6_15HIP_vector_typeIjLj2EENS0_17counting_iteratorIjlEEPS9_SG_NS0_5tupleIJPjSI_NS0_16reverse_iteratorISI_EEEEENSH_IJSG_SG_SG_EEES9_SI_JZNS1_25segmented_radix_sort_implINS0_14default_configELb0EPK12hip_bfloat16PSP_PKlPlN2at6native12_GLOBAL__N_18offset_tEEE10hipError_tPvRmT1_PNSt15iterator_traitsIS13_E10value_typeET2_T3_PNS14_IS19_E10value_typeET4_jRbjT5_S1F_jjP12ihipStream_tbEUljE_ZNSN_ISO_Lb0ESR_SS_SU_SV_SZ_EES10_S11_S12_S13_S17_S18_S19_S1C_S1D_jS1E_jS1F_S1F_jjS1H_bEUljE0_EEES10_S11_S12_S19_S1D_S1F_T6_T7_T9_mT8_S1H_bDpT10_ENKUlT_T0_E_clISt17integral_constantIbLb0EES1U_IbLb1EEEEDaS1Q_S1R_EUlS1Q_E_NS1_11comp_targetILNS1_3genE5ELNS1_11target_archE942ELNS1_3gpuE9ELNS1_3repE0EEENS1_30default_config_static_selectorELNS0_4arch9wavefront6targetE0EEEvS13_.kd
    .uniform_work_group_size: 1
    .uses_dynamic_stack: false
    .vgpr_count:     0
    .vgpr_spill_count: 0
    .wavefront_size: 32
  - .args:
      - .offset:         0
        .size:           184
        .value_kind:     by_value
    .group_segment_fixed_size: 0
    .kernarg_segment_align: 8
    .kernarg_segment_size: 184
    .language:       OpenCL C
    .language_version:
      - 2
      - 0
    .max_flat_workgroup_size: 256
    .name:           _ZN7rocprim17ROCPRIM_400000_NS6detail17trampoline_kernelINS0_13select_configILj256ELj13ELNS0_17block_load_methodE3ELS4_3ELS4_3ELNS0_20block_scan_algorithmE0ELj4294967295EEENS1_25partition_config_selectorILNS1_17partition_subalgoE4EjNS0_10empty_typeEbEEZZNS1_14partition_implILS8_4ELb0ES6_15HIP_vector_typeIjLj2EENS0_17counting_iteratorIjlEEPS9_SG_NS0_5tupleIJPjSI_NS0_16reverse_iteratorISI_EEEEENSH_IJSG_SG_SG_EEES9_SI_JZNS1_25segmented_radix_sort_implINS0_14default_configELb0EPK12hip_bfloat16PSP_PKlPlN2at6native12_GLOBAL__N_18offset_tEEE10hipError_tPvRmT1_PNSt15iterator_traitsIS13_E10value_typeET2_T3_PNS14_IS19_E10value_typeET4_jRbjT5_S1F_jjP12ihipStream_tbEUljE_ZNSN_ISO_Lb0ESR_SS_SU_SV_SZ_EES10_S11_S12_S13_S17_S18_S19_S1C_S1D_jS1E_jS1F_S1F_jjS1H_bEUljE0_EEES10_S11_S12_S19_S1D_S1F_T6_T7_T9_mT8_S1H_bDpT10_ENKUlT_T0_E_clISt17integral_constantIbLb0EES1U_IbLb1EEEEDaS1Q_S1R_EUlS1Q_E_NS1_11comp_targetILNS1_3genE4ELNS1_11target_archE910ELNS1_3gpuE8ELNS1_3repE0EEENS1_30default_config_static_selectorELNS0_4arch9wavefront6targetE0EEEvS13_
    .private_segment_fixed_size: 0
    .sgpr_count:     0
    .sgpr_spill_count: 0
    .symbol:         _ZN7rocprim17ROCPRIM_400000_NS6detail17trampoline_kernelINS0_13select_configILj256ELj13ELNS0_17block_load_methodE3ELS4_3ELS4_3ELNS0_20block_scan_algorithmE0ELj4294967295EEENS1_25partition_config_selectorILNS1_17partition_subalgoE4EjNS0_10empty_typeEbEEZZNS1_14partition_implILS8_4ELb0ES6_15HIP_vector_typeIjLj2EENS0_17counting_iteratorIjlEEPS9_SG_NS0_5tupleIJPjSI_NS0_16reverse_iteratorISI_EEEEENSH_IJSG_SG_SG_EEES9_SI_JZNS1_25segmented_radix_sort_implINS0_14default_configELb0EPK12hip_bfloat16PSP_PKlPlN2at6native12_GLOBAL__N_18offset_tEEE10hipError_tPvRmT1_PNSt15iterator_traitsIS13_E10value_typeET2_T3_PNS14_IS19_E10value_typeET4_jRbjT5_S1F_jjP12ihipStream_tbEUljE_ZNSN_ISO_Lb0ESR_SS_SU_SV_SZ_EES10_S11_S12_S13_S17_S18_S19_S1C_S1D_jS1E_jS1F_S1F_jjS1H_bEUljE0_EEES10_S11_S12_S19_S1D_S1F_T6_T7_T9_mT8_S1H_bDpT10_ENKUlT_T0_E_clISt17integral_constantIbLb0EES1U_IbLb1EEEEDaS1Q_S1R_EUlS1Q_E_NS1_11comp_targetILNS1_3genE4ELNS1_11target_archE910ELNS1_3gpuE8ELNS1_3repE0EEENS1_30default_config_static_selectorELNS0_4arch9wavefront6targetE0EEEvS13_.kd
    .uniform_work_group_size: 1
    .uses_dynamic_stack: false
    .vgpr_count:     0
    .vgpr_spill_count: 0
    .wavefront_size: 32
  - .args:
      - .offset:         0
        .size:           184
        .value_kind:     by_value
    .group_segment_fixed_size: 0
    .kernarg_segment_align: 8
    .kernarg_segment_size: 184
    .language:       OpenCL C
    .language_version:
      - 2
      - 0
    .max_flat_workgroup_size: 256
    .name:           _ZN7rocprim17ROCPRIM_400000_NS6detail17trampoline_kernelINS0_13select_configILj256ELj13ELNS0_17block_load_methodE3ELS4_3ELS4_3ELNS0_20block_scan_algorithmE0ELj4294967295EEENS1_25partition_config_selectorILNS1_17partition_subalgoE4EjNS0_10empty_typeEbEEZZNS1_14partition_implILS8_4ELb0ES6_15HIP_vector_typeIjLj2EENS0_17counting_iteratorIjlEEPS9_SG_NS0_5tupleIJPjSI_NS0_16reverse_iteratorISI_EEEEENSH_IJSG_SG_SG_EEES9_SI_JZNS1_25segmented_radix_sort_implINS0_14default_configELb0EPK12hip_bfloat16PSP_PKlPlN2at6native12_GLOBAL__N_18offset_tEEE10hipError_tPvRmT1_PNSt15iterator_traitsIS13_E10value_typeET2_T3_PNS14_IS19_E10value_typeET4_jRbjT5_S1F_jjP12ihipStream_tbEUljE_ZNSN_ISO_Lb0ESR_SS_SU_SV_SZ_EES10_S11_S12_S13_S17_S18_S19_S1C_S1D_jS1E_jS1F_S1F_jjS1H_bEUljE0_EEES10_S11_S12_S19_S1D_S1F_T6_T7_T9_mT8_S1H_bDpT10_ENKUlT_T0_E_clISt17integral_constantIbLb0EES1U_IbLb1EEEEDaS1Q_S1R_EUlS1Q_E_NS1_11comp_targetILNS1_3genE3ELNS1_11target_archE908ELNS1_3gpuE7ELNS1_3repE0EEENS1_30default_config_static_selectorELNS0_4arch9wavefront6targetE0EEEvS13_
    .private_segment_fixed_size: 0
    .sgpr_count:     0
    .sgpr_spill_count: 0
    .symbol:         _ZN7rocprim17ROCPRIM_400000_NS6detail17trampoline_kernelINS0_13select_configILj256ELj13ELNS0_17block_load_methodE3ELS4_3ELS4_3ELNS0_20block_scan_algorithmE0ELj4294967295EEENS1_25partition_config_selectorILNS1_17partition_subalgoE4EjNS0_10empty_typeEbEEZZNS1_14partition_implILS8_4ELb0ES6_15HIP_vector_typeIjLj2EENS0_17counting_iteratorIjlEEPS9_SG_NS0_5tupleIJPjSI_NS0_16reverse_iteratorISI_EEEEENSH_IJSG_SG_SG_EEES9_SI_JZNS1_25segmented_radix_sort_implINS0_14default_configELb0EPK12hip_bfloat16PSP_PKlPlN2at6native12_GLOBAL__N_18offset_tEEE10hipError_tPvRmT1_PNSt15iterator_traitsIS13_E10value_typeET2_T3_PNS14_IS19_E10value_typeET4_jRbjT5_S1F_jjP12ihipStream_tbEUljE_ZNSN_ISO_Lb0ESR_SS_SU_SV_SZ_EES10_S11_S12_S13_S17_S18_S19_S1C_S1D_jS1E_jS1F_S1F_jjS1H_bEUljE0_EEES10_S11_S12_S19_S1D_S1F_T6_T7_T9_mT8_S1H_bDpT10_ENKUlT_T0_E_clISt17integral_constantIbLb0EES1U_IbLb1EEEEDaS1Q_S1R_EUlS1Q_E_NS1_11comp_targetILNS1_3genE3ELNS1_11target_archE908ELNS1_3gpuE7ELNS1_3repE0EEENS1_30default_config_static_selectorELNS0_4arch9wavefront6targetE0EEEvS13_.kd
    .uniform_work_group_size: 1
    .uses_dynamic_stack: false
    .vgpr_count:     0
    .vgpr_spill_count: 0
    .wavefront_size: 32
  - .args:
      - .offset:         0
        .size:           184
        .value_kind:     by_value
    .group_segment_fixed_size: 0
    .kernarg_segment_align: 8
    .kernarg_segment_size: 184
    .language:       OpenCL C
    .language_version:
      - 2
      - 0
    .max_flat_workgroup_size: 256
    .name:           _ZN7rocprim17ROCPRIM_400000_NS6detail17trampoline_kernelINS0_13select_configILj256ELj13ELNS0_17block_load_methodE3ELS4_3ELS4_3ELNS0_20block_scan_algorithmE0ELj4294967295EEENS1_25partition_config_selectorILNS1_17partition_subalgoE4EjNS0_10empty_typeEbEEZZNS1_14partition_implILS8_4ELb0ES6_15HIP_vector_typeIjLj2EENS0_17counting_iteratorIjlEEPS9_SG_NS0_5tupleIJPjSI_NS0_16reverse_iteratorISI_EEEEENSH_IJSG_SG_SG_EEES9_SI_JZNS1_25segmented_radix_sort_implINS0_14default_configELb0EPK12hip_bfloat16PSP_PKlPlN2at6native12_GLOBAL__N_18offset_tEEE10hipError_tPvRmT1_PNSt15iterator_traitsIS13_E10value_typeET2_T3_PNS14_IS19_E10value_typeET4_jRbjT5_S1F_jjP12ihipStream_tbEUljE_ZNSN_ISO_Lb0ESR_SS_SU_SV_SZ_EES10_S11_S12_S13_S17_S18_S19_S1C_S1D_jS1E_jS1F_S1F_jjS1H_bEUljE0_EEES10_S11_S12_S19_S1D_S1F_T6_T7_T9_mT8_S1H_bDpT10_ENKUlT_T0_E_clISt17integral_constantIbLb0EES1U_IbLb1EEEEDaS1Q_S1R_EUlS1Q_E_NS1_11comp_targetILNS1_3genE2ELNS1_11target_archE906ELNS1_3gpuE6ELNS1_3repE0EEENS1_30default_config_static_selectorELNS0_4arch9wavefront6targetE0EEEvS13_
    .private_segment_fixed_size: 0
    .sgpr_count:     0
    .sgpr_spill_count: 0
    .symbol:         _ZN7rocprim17ROCPRIM_400000_NS6detail17trampoline_kernelINS0_13select_configILj256ELj13ELNS0_17block_load_methodE3ELS4_3ELS4_3ELNS0_20block_scan_algorithmE0ELj4294967295EEENS1_25partition_config_selectorILNS1_17partition_subalgoE4EjNS0_10empty_typeEbEEZZNS1_14partition_implILS8_4ELb0ES6_15HIP_vector_typeIjLj2EENS0_17counting_iteratorIjlEEPS9_SG_NS0_5tupleIJPjSI_NS0_16reverse_iteratorISI_EEEEENSH_IJSG_SG_SG_EEES9_SI_JZNS1_25segmented_radix_sort_implINS0_14default_configELb0EPK12hip_bfloat16PSP_PKlPlN2at6native12_GLOBAL__N_18offset_tEEE10hipError_tPvRmT1_PNSt15iterator_traitsIS13_E10value_typeET2_T3_PNS14_IS19_E10value_typeET4_jRbjT5_S1F_jjP12ihipStream_tbEUljE_ZNSN_ISO_Lb0ESR_SS_SU_SV_SZ_EES10_S11_S12_S13_S17_S18_S19_S1C_S1D_jS1E_jS1F_S1F_jjS1H_bEUljE0_EEES10_S11_S12_S19_S1D_S1F_T6_T7_T9_mT8_S1H_bDpT10_ENKUlT_T0_E_clISt17integral_constantIbLb0EES1U_IbLb1EEEEDaS1Q_S1R_EUlS1Q_E_NS1_11comp_targetILNS1_3genE2ELNS1_11target_archE906ELNS1_3gpuE6ELNS1_3repE0EEENS1_30default_config_static_selectorELNS0_4arch9wavefront6targetE0EEEvS13_.kd
    .uniform_work_group_size: 1
    .uses_dynamic_stack: false
    .vgpr_count:     0
    .vgpr_spill_count: 0
    .wavefront_size: 32
  - .args:
      - .offset:         0
        .size:           184
        .value_kind:     by_value
    .group_segment_fixed_size: 0
    .kernarg_segment_align: 8
    .kernarg_segment_size: 184
    .language:       OpenCL C
    .language_version:
      - 2
      - 0
    .max_flat_workgroup_size: 256
    .name:           _ZN7rocprim17ROCPRIM_400000_NS6detail17trampoline_kernelINS0_13select_configILj256ELj13ELNS0_17block_load_methodE3ELS4_3ELS4_3ELNS0_20block_scan_algorithmE0ELj4294967295EEENS1_25partition_config_selectorILNS1_17partition_subalgoE4EjNS0_10empty_typeEbEEZZNS1_14partition_implILS8_4ELb0ES6_15HIP_vector_typeIjLj2EENS0_17counting_iteratorIjlEEPS9_SG_NS0_5tupleIJPjSI_NS0_16reverse_iteratorISI_EEEEENSH_IJSG_SG_SG_EEES9_SI_JZNS1_25segmented_radix_sort_implINS0_14default_configELb0EPK12hip_bfloat16PSP_PKlPlN2at6native12_GLOBAL__N_18offset_tEEE10hipError_tPvRmT1_PNSt15iterator_traitsIS13_E10value_typeET2_T3_PNS14_IS19_E10value_typeET4_jRbjT5_S1F_jjP12ihipStream_tbEUljE_ZNSN_ISO_Lb0ESR_SS_SU_SV_SZ_EES10_S11_S12_S13_S17_S18_S19_S1C_S1D_jS1E_jS1F_S1F_jjS1H_bEUljE0_EEES10_S11_S12_S19_S1D_S1F_T6_T7_T9_mT8_S1H_bDpT10_ENKUlT_T0_E_clISt17integral_constantIbLb0EES1U_IbLb1EEEEDaS1Q_S1R_EUlS1Q_E_NS1_11comp_targetILNS1_3genE10ELNS1_11target_archE1200ELNS1_3gpuE4ELNS1_3repE0EEENS1_30default_config_static_selectorELNS0_4arch9wavefront6targetE0EEEvS13_
    .private_segment_fixed_size: 0
    .sgpr_count:     0
    .sgpr_spill_count: 0
    .symbol:         _ZN7rocprim17ROCPRIM_400000_NS6detail17trampoline_kernelINS0_13select_configILj256ELj13ELNS0_17block_load_methodE3ELS4_3ELS4_3ELNS0_20block_scan_algorithmE0ELj4294967295EEENS1_25partition_config_selectorILNS1_17partition_subalgoE4EjNS0_10empty_typeEbEEZZNS1_14partition_implILS8_4ELb0ES6_15HIP_vector_typeIjLj2EENS0_17counting_iteratorIjlEEPS9_SG_NS0_5tupleIJPjSI_NS0_16reverse_iteratorISI_EEEEENSH_IJSG_SG_SG_EEES9_SI_JZNS1_25segmented_radix_sort_implINS0_14default_configELb0EPK12hip_bfloat16PSP_PKlPlN2at6native12_GLOBAL__N_18offset_tEEE10hipError_tPvRmT1_PNSt15iterator_traitsIS13_E10value_typeET2_T3_PNS14_IS19_E10value_typeET4_jRbjT5_S1F_jjP12ihipStream_tbEUljE_ZNSN_ISO_Lb0ESR_SS_SU_SV_SZ_EES10_S11_S12_S13_S17_S18_S19_S1C_S1D_jS1E_jS1F_S1F_jjS1H_bEUljE0_EEES10_S11_S12_S19_S1D_S1F_T6_T7_T9_mT8_S1H_bDpT10_ENKUlT_T0_E_clISt17integral_constantIbLb0EES1U_IbLb1EEEEDaS1Q_S1R_EUlS1Q_E_NS1_11comp_targetILNS1_3genE10ELNS1_11target_archE1200ELNS1_3gpuE4ELNS1_3repE0EEENS1_30default_config_static_selectorELNS0_4arch9wavefront6targetE0EEEvS13_.kd
    .uniform_work_group_size: 1
    .uses_dynamic_stack: false
    .vgpr_count:     0
    .vgpr_spill_count: 0
    .wavefront_size: 32
  - .args:
      - .offset:         0
        .size:           184
        .value_kind:     by_value
    .group_segment_fixed_size: 0
    .kernarg_segment_align: 8
    .kernarg_segment_size: 184
    .language:       OpenCL C
    .language_version:
      - 2
      - 0
    .max_flat_workgroup_size: 256
    .name:           _ZN7rocprim17ROCPRIM_400000_NS6detail17trampoline_kernelINS0_13select_configILj256ELj13ELNS0_17block_load_methodE3ELS4_3ELS4_3ELNS0_20block_scan_algorithmE0ELj4294967295EEENS1_25partition_config_selectorILNS1_17partition_subalgoE4EjNS0_10empty_typeEbEEZZNS1_14partition_implILS8_4ELb0ES6_15HIP_vector_typeIjLj2EENS0_17counting_iteratorIjlEEPS9_SG_NS0_5tupleIJPjSI_NS0_16reverse_iteratorISI_EEEEENSH_IJSG_SG_SG_EEES9_SI_JZNS1_25segmented_radix_sort_implINS0_14default_configELb0EPK12hip_bfloat16PSP_PKlPlN2at6native12_GLOBAL__N_18offset_tEEE10hipError_tPvRmT1_PNSt15iterator_traitsIS13_E10value_typeET2_T3_PNS14_IS19_E10value_typeET4_jRbjT5_S1F_jjP12ihipStream_tbEUljE_ZNSN_ISO_Lb0ESR_SS_SU_SV_SZ_EES10_S11_S12_S13_S17_S18_S19_S1C_S1D_jS1E_jS1F_S1F_jjS1H_bEUljE0_EEES10_S11_S12_S19_S1D_S1F_T6_T7_T9_mT8_S1H_bDpT10_ENKUlT_T0_E_clISt17integral_constantIbLb0EES1U_IbLb1EEEEDaS1Q_S1R_EUlS1Q_E_NS1_11comp_targetILNS1_3genE9ELNS1_11target_archE1100ELNS1_3gpuE3ELNS1_3repE0EEENS1_30default_config_static_selectorELNS0_4arch9wavefront6targetE0EEEvS13_
    .private_segment_fixed_size: 0
    .sgpr_count:     0
    .sgpr_spill_count: 0
    .symbol:         _ZN7rocprim17ROCPRIM_400000_NS6detail17trampoline_kernelINS0_13select_configILj256ELj13ELNS0_17block_load_methodE3ELS4_3ELS4_3ELNS0_20block_scan_algorithmE0ELj4294967295EEENS1_25partition_config_selectorILNS1_17partition_subalgoE4EjNS0_10empty_typeEbEEZZNS1_14partition_implILS8_4ELb0ES6_15HIP_vector_typeIjLj2EENS0_17counting_iteratorIjlEEPS9_SG_NS0_5tupleIJPjSI_NS0_16reverse_iteratorISI_EEEEENSH_IJSG_SG_SG_EEES9_SI_JZNS1_25segmented_radix_sort_implINS0_14default_configELb0EPK12hip_bfloat16PSP_PKlPlN2at6native12_GLOBAL__N_18offset_tEEE10hipError_tPvRmT1_PNSt15iterator_traitsIS13_E10value_typeET2_T3_PNS14_IS19_E10value_typeET4_jRbjT5_S1F_jjP12ihipStream_tbEUljE_ZNSN_ISO_Lb0ESR_SS_SU_SV_SZ_EES10_S11_S12_S13_S17_S18_S19_S1C_S1D_jS1E_jS1F_S1F_jjS1H_bEUljE0_EEES10_S11_S12_S19_S1D_S1F_T6_T7_T9_mT8_S1H_bDpT10_ENKUlT_T0_E_clISt17integral_constantIbLb0EES1U_IbLb1EEEEDaS1Q_S1R_EUlS1Q_E_NS1_11comp_targetILNS1_3genE9ELNS1_11target_archE1100ELNS1_3gpuE3ELNS1_3repE0EEENS1_30default_config_static_selectorELNS0_4arch9wavefront6targetE0EEEvS13_.kd
    .uniform_work_group_size: 1
    .uses_dynamic_stack: false
    .vgpr_count:     0
    .vgpr_spill_count: 0
    .wavefront_size: 32
  - .args:
      - .offset:         0
        .size:           184
        .value_kind:     by_value
    .group_segment_fixed_size: 0
    .kernarg_segment_align: 8
    .kernarg_segment_size: 184
    .language:       OpenCL C
    .language_version:
      - 2
      - 0
    .max_flat_workgroup_size: 256
    .name:           _ZN7rocprim17ROCPRIM_400000_NS6detail17trampoline_kernelINS0_13select_configILj256ELj13ELNS0_17block_load_methodE3ELS4_3ELS4_3ELNS0_20block_scan_algorithmE0ELj4294967295EEENS1_25partition_config_selectorILNS1_17partition_subalgoE4EjNS0_10empty_typeEbEEZZNS1_14partition_implILS8_4ELb0ES6_15HIP_vector_typeIjLj2EENS0_17counting_iteratorIjlEEPS9_SG_NS0_5tupleIJPjSI_NS0_16reverse_iteratorISI_EEEEENSH_IJSG_SG_SG_EEES9_SI_JZNS1_25segmented_radix_sort_implINS0_14default_configELb0EPK12hip_bfloat16PSP_PKlPlN2at6native12_GLOBAL__N_18offset_tEEE10hipError_tPvRmT1_PNSt15iterator_traitsIS13_E10value_typeET2_T3_PNS14_IS19_E10value_typeET4_jRbjT5_S1F_jjP12ihipStream_tbEUljE_ZNSN_ISO_Lb0ESR_SS_SU_SV_SZ_EES10_S11_S12_S13_S17_S18_S19_S1C_S1D_jS1E_jS1F_S1F_jjS1H_bEUljE0_EEES10_S11_S12_S19_S1D_S1F_T6_T7_T9_mT8_S1H_bDpT10_ENKUlT_T0_E_clISt17integral_constantIbLb0EES1U_IbLb1EEEEDaS1Q_S1R_EUlS1Q_E_NS1_11comp_targetILNS1_3genE8ELNS1_11target_archE1030ELNS1_3gpuE2ELNS1_3repE0EEENS1_30default_config_static_selectorELNS0_4arch9wavefront6targetE0EEEvS13_
    .private_segment_fixed_size: 0
    .sgpr_count:     0
    .sgpr_spill_count: 0
    .symbol:         _ZN7rocprim17ROCPRIM_400000_NS6detail17trampoline_kernelINS0_13select_configILj256ELj13ELNS0_17block_load_methodE3ELS4_3ELS4_3ELNS0_20block_scan_algorithmE0ELj4294967295EEENS1_25partition_config_selectorILNS1_17partition_subalgoE4EjNS0_10empty_typeEbEEZZNS1_14partition_implILS8_4ELb0ES6_15HIP_vector_typeIjLj2EENS0_17counting_iteratorIjlEEPS9_SG_NS0_5tupleIJPjSI_NS0_16reverse_iteratorISI_EEEEENSH_IJSG_SG_SG_EEES9_SI_JZNS1_25segmented_radix_sort_implINS0_14default_configELb0EPK12hip_bfloat16PSP_PKlPlN2at6native12_GLOBAL__N_18offset_tEEE10hipError_tPvRmT1_PNSt15iterator_traitsIS13_E10value_typeET2_T3_PNS14_IS19_E10value_typeET4_jRbjT5_S1F_jjP12ihipStream_tbEUljE_ZNSN_ISO_Lb0ESR_SS_SU_SV_SZ_EES10_S11_S12_S13_S17_S18_S19_S1C_S1D_jS1E_jS1F_S1F_jjS1H_bEUljE0_EEES10_S11_S12_S19_S1D_S1F_T6_T7_T9_mT8_S1H_bDpT10_ENKUlT_T0_E_clISt17integral_constantIbLb0EES1U_IbLb1EEEEDaS1Q_S1R_EUlS1Q_E_NS1_11comp_targetILNS1_3genE8ELNS1_11target_archE1030ELNS1_3gpuE2ELNS1_3repE0EEENS1_30default_config_static_selectorELNS0_4arch9wavefront6targetE0EEEvS13_.kd
    .uniform_work_group_size: 1
    .uses_dynamic_stack: false
    .vgpr_count:     0
    .vgpr_spill_count: 0
    .wavefront_size: 32
  - .args:
      - .offset:         0
        .size:           144
        .value_kind:     by_value
    .group_segment_fixed_size: 13320
    .kernarg_segment_align: 8
    .kernarg_segment_size: 144
    .language:       OpenCL C
    .language_version:
      - 2
      - 0
    .max_flat_workgroup_size: 256
    .name:           _ZN7rocprim17ROCPRIM_400000_NS6detail17trampoline_kernelINS0_13select_configILj256ELj13ELNS0_17block_load_methodE3ELS4_3ELS4_3ELNS0_20block_scan_algorithmE0ELj4294967295EEENS1_25partition_config_selectorILNS1_17partition_subalgoE3EjNS0_10empty_typeEbEEZZNS1_14partition_implILS8_3ELb0ES6_jNS0_17counting_iteratorIjlEEPS9_SE_NS0_5tupleIJPjSE_EEENSF_IJSE_SE_EEES9_SG_JZNS1_25segmented_radix_sort_implINS0_14default_configELb0EPK12hip_bfloat16PSL_PKlPlN2at6native12_GLOBAL__N_18offset_tEEE10hipError_tPvRmT1_PNSt15iterator_traitsISZ_E10value_typeET2_T3_PNS10_IS15_E10value_typeET4_jRbjT5_S1B_jjP12ihipStream_tbEUljE_EEESW_SX_SY_S15_S19_S1B_T6_T7_T9_mT8_S1D_bDpT10_ENKUlT_T0_E_clISt17integral_constantIbLb0EES1Q_EEDaS1L_S1M_EUlS1L_E_NS1_11comp_targetILNS1_3genE0ELNS1_11target_archE4294967295ELNS1_3gpuE0ELNS1_3repE0EEENS1_30default_config_static_selectorELNS0_4arch9wavefront6targetE0EEEvSZ_
    .private_segment_fixed_size: 0
    .sgpr_count:     28
    .sgpr_spill_count: 0
    .symbol:         _ZN7rocprim17ROCPRIM_400000_NS6detail17trampoline_kernelINS0_13select_configILj256ELj13ELNS0_17block_load_methodE3ELS4_3ELS4_3ELNS0_20block_scan_algorithmE0ELj4294967295EEENS1_25partition_config_selectorILNS1_17partition_subalgoE3EjNS0_10empty_typeEbEEZZNS1_14partition_implILS8_3ELb0ES6_jNS0_17counting_iteratorIjlEEPS9_SE_NS0_5tupleIJPjSE_EEENSF_IJSE_SE_EEES9_SG_JZNS1_25segmented_radix_sort_implINS0_14default_configELb0EPK12hip_bfloat16PSL_PKlPlN2at6native12_GLOBAL__N_18offset_tEEE10hipError_tPvRmT1_PNSt15iterator_traitsISZ_E10value_typeET2_T3_PNS10_IS15_E10value_typeET4_jRbjT5_S1B_jjP12ihipStream_tbEUljE_EEESW_SX_SY_S15_S19_S1B_T6_T7_T9_mT8_S1D_bDpT10_ENKUlT_T0_E_clISt17integral_constantIbLb0EES1Q_EEDaS1L_S1M_EUlS1L_E_NS1_11comp_targetILNS1_3genE0ELNS1_11target_archE4294967295ELNS1_3gpuE0ELNS1_3repE0EEENS1_30default_config_static_selectorELNS0_4arch9wavefront6targetE0EEEvSZ_.kd
    .uniform_work_group_size: 1
    .uses_dynamic_stack: false
    .vgpr_count:     69
    .vgpr_spill_count: 0
    .wavefront_size: 32
  - .args:
      - .offset:         0
        .size:           144
        .value_kind:     by_value
    .group_segment_fixed_size: 0
    .kernarg_segment_align: 8
    .kernarg_segment_size: 144
    .language:       OpenCL C
    .language_version:
      - 2
      - 0
    .max_flat_workgroup_size: 256
    .name:           _ZN7rocprim17ROCPRIM_400000_NS6detail17trampoline_kernelINS0_13select_configILj256ELj13ELNS0_17block_load_methodE3ELS4_3ELS4_3ELNS0_20block_scan_algorithmE0ELj4294967295EEENS1_25partition_config_selectorILNS1_17partition_subalgoE3EjNS0_10empty_typeEbEEZZNS1_14partition_implILS8_3ELb0ES6_jNS0_17counting_iteratorIjlEEPS9_SE_NS0_5tupleIJPjSE_EEENSF_IJSE_SE_EEES9_SG_JZNS1_25segmented_radix_sort_implINS0_14default_configELb0EPK12hip_bfloat16PSL_PKlPlN2at6native12_GLOBAL__N_18offset_tEEE10hipError_tPvRmT1_PNSt15iterator_traitsISZ_E10value_typeET2_T3_PNS10_IS15_E10value_typeET4_jRbjT5_S1B_jjP12ihipStream_tbEUljE_EEESW_SX_SY_S15_S19_S1B_T6_T7_T9_mT8_S1D_bDpT10_ENKUlT_T0_E_clISt17integral_constantIbLb0EES1Q_EEDaS1L_S1M_EUlS1L_E_NS1_11comp_targetILNS1_3genE5ELNS1_11target_archE942ELNS1_3gpuE9ELNS1_3repE0EEENS1_30default_config_static_selectorELNS0_4arch9wavefront6targetE0EEEvSZ_
    .private_segment_fixed_size: 0
    .sgpr_count:     0
    .sgpr_spill_count: 0
    .symbol:         _ZN7rocprim17ROCPRIM_400000_NS6detail17trampoline_kernelINS0_13select_configILj256ELj13ELNS0_17block_load_methodE3ELS4_3ELS4_3ELNS0_20block_scan_algorithmE0ELj4294967295EEENS1_25partition_config_selectorILNS1_17partition_subalgoE3EjNS0_10empty_typeEbEEZZNS1_14partition_implILS8_3ELb0ES6_jNS0_17counting_iteratorIjlEEPS9_SE_NS0_5tupleIJPjSE_EEENSF_IJSE_SE_EEES9_SG_JZNS1_25segmented_radix_sort_implINS0_14default_configELb0EPK12hip_bfloat16PSL_PKlPlN2at6native12_GLOBAL__N_18offset_tEEE10hipError_tPvRmT1_PNSt15iterator_traitsISZ_E10value_typeET2_T3_PNS10_IS15_E10value_typeET4_jRbjT5_S1B_jjP12ihipStream_tbEUljE_EEESW_SX_SY_S15_S19_S1B_T6_T7_T9_mT8_S1D_bDpT10_ENKUlT_T0_E_clISt17integral_constantIbLb0EES1Q_EEDaS1L_S1M_EUlS1L_E_NS1_11comp_targetILNS1_3genE5ELNS1_11target_archE942ELNS1_3gpuE9ELNS1_3repE0EEENS1_30default_config_static_selectorELNS0_4arch9wavefront6targetE0EEEvSZ_.kd
    .uniform_work_group_size: 1
    .uses_dynamic_stack: false
    .vgpr_count:     0
    .vgpr_spill_count: 0
    .wavefront_size: 32
  - .args:
      - .offset:         0
        .size:           144
        .value_kind:     by_value
    .group_segment_fixed_size: 0
    .kernarg_segment_align: 8
    .kernarg_segment_size: 144
    .language:       OpenCL C
    .language_version:
      - 2
      - 0
    .max_flat_workgroup_size: 256
    .name:           _ZN7rocprim17ROCPRIM_400000_NS6detail17trampoline_kernelINS0_13select_configILj256ELj13ELNS0_17block_load_methodE3ELS4_3ELS4_3ELNS0_20block_scan_algorithmE0ELj4294967295EEENS1_25partition_config_selectorILNS1_17partition_subalgoE3EjNS0_10empty_typeEbEEZZNS1_14partition_implILS8_3ELb0ES6_jNS0_17counting_iteratorIjlEEPS9_SE_NS0_5tupleIJPjSE_EEENSF_IJSE_SE_EEES9_SG_JZNS1_25segmented_radix_sort_implINS0_14default_configELb0EPK12hip_bfloat16PSL_PKlPlN2at6native12_GLOBAL__N_18offset_tEEE10hipError_tPvRmT1_PNSt15iterator_traitsISZ_E10value_typeET2_T3_PNS10_IS15_E10value_typeET4_jRbjT5_S1B_jjP12ihipStream_tbEUljE_EEESW_SX_SY_S15_S19_S1B_T6_T7_T9_mT8_S1D_bDpT10_ENKUlT_T0_E_clISt17integral_constantIbLb0EES1Q_EEDaS1L_S1M_EUlS1L_E_NS1_11comp_targetILNS1_3genE4ELNS1_11target_archE910ELNS1_3gpuE8ELNS1_3repE0EEENS1_30default_config_static_selectorELNS0_4arch9wavefront6targetE0EEEvSZ_
    .private_segment_fixed_size: 0
    .sgpr_count:     0
    .sgpr_spill_count: 0
    .symbol:         _ZN7rocprim17ROCPRIM_400000_NS6detail17trampoline_kernelINS0_13select_configILj256ELj13ELNS0_17block_load_methodE3ELS4_3ELS4_3ELNS0_20block_scan_algorithmE0ELj4294967295EEENS1_25partition_config_selectorILNS1_17partition_subalgoE3EjNS0_10empty_typeEbEEZZNS1_14partition_implILS8_3ELb0ES6_jNS0_17counting_iteratorIjlEEPS9_SE_NS0_5tupleIJPjSE_EEENSF_IJSE_SE_EEES9_SG_JZNS1_25segmented_radix_sort_implINS0_14default_configELb0EPK12hip_bfloat16PSL_PKlPlN2at6native12_GLOBAL__N_18offset_tEEE10hipError_tPvRmT1_PNSt15iterator_traitsISZ_E10value_typeET2_T3_PNS10_IS15_E10value_typeET4_jRbjT5_S1B_jjP12ihipStream_tbEUljE_EEESW_SX_SY_S15_S19_S1B_T6_T7_T9_mT8_S1D_bDpT10_ENKUlT_T0_E_clISt17integral_constantIbLb0EES1Q_EEDaS1L_S1M_EUlS1L_E_NS1_11comp_targetILNS1_3genE4ELNS1_11target_archE910ELNS1_3gpuE8ELNS1_3repE0EEENS1_30default_config_static_selectorELNS0_4arch9wavefront6targetE0EEEvSZ_.kd
    .uniform_work_group_size: 1
    .uses_dynamic_stack: false
    .vgpr_count:     0
    .vgpr_spill_count: 0
    .wavefront_size: 32
  - .args:
      - .offset:         0
        .size:           144
        .value_kind:     by_value
    .group_segment_fixed_size: 0
    .kernarg_segment_align: 8
    .kernarg_segment_size: 144
    .language:       OpenCL C
    .language_version:
      - 2
      - 0
    .max_flat_workgroup_size: 256
    .name:           _ZN7rocprim17ROCPRIM_400000_NS6detail17trampoline_kernelINS0_13select_configILj256ELj13ELNS0_17block_load_methodE3ELS4_3ELS4_3ELNS0_20block_scan_algorithmE0ELj4294967295EEENS1_25partition_config_selectorILNS1_17partition_subalgoE3EjNS0_10empty_typeEbEEZZNS1_14partition_implILS8_3ELb0ES6_jNS0_17counting_iteratorIjlEEPS9_SE_NS0_5tupleIJPjSE_EEENSF_IJSE_SE_EEES9_SG_JZNS1_25segmented_radix_sort_implINS0_14default_configELb0EPK12hip_bfloat16PSL_PKlPlN2at6native12_GLOBAL__N_18offset_tEEE10hipError_tPvRmT1_PNSt15iterator_traitsISZ_E10value_typeET2_T3_PNS10_IS15_E10value_typeET4_jRbjT5_S1B_jjP12ihipStream_tbEUljE_EEESW_SX_SY_S15_S19_S1B_T6_T7_T9_mT8_S1D_bDpT10_ENKUlT_T0_E_clISt17integral_constantIbLb0EES1Q_EEDaS1L_S1M_EUlS1L_E_NS1_11comp_targetILNS1_3genE3ELNS1_11target_archE908ELNS1_3gpuE7ELNS1_3repE0EEENS1_30default_config_static_selectorELNS0_4arch9wavefront6targetE0EEEvSZ_
    .private_segment_fixed_size: 0
    .sgpr_count:     0
    .sgpr_spill_count: 0
    .symbol:         _ZN7rocprim17ROCPRIM_400000_NS6detail17trampoline_kernelINS0_13select_configILj256ELj13ELNS0_17block_load_methodE3ELS4_3ELS4_3ELNS0_20block_scan_algorithmE0ELj4294967295EEENS1_25partition_config_selectorILNS1_17partition_subalgoE3EjNS0_10empty_typeEbEEZZNS1_14partition_implILS8_3ELb0ES6_jNS0_17counting_iteratorIjlEEPS9_SE_NS0_5tupleIJPjSE_EEENSF_IJSE_SE_EEES9_SG_JZNS1_25segmented_radix_sort_implINS0_14default_configELb0EPK12hip_bfloat16PSL_PKlPlN2at6native12_GLOBAL__N_18offset_tEEE10hipError_tPvRmT1_PNSt15iterator_traitsISZ_E10value_typeET2_T3_PNS10_IS15_E10value_typeET4_jRbjT5_S1B_jjP12ihipStream_tbEUljE_EEESW_SX_SY_S15_S19_S1B_T6_T7_T9_mT8_S1D_bDpT10_ENKUlT_T0_E_clISt17integral_constantIbLb0EES1Q_EEDaS1L_S1M_EUlS1L_E_NS1_11comp_targetILNS1_3genE3ELNS1_11target_archE908ELNS1_3gpuE7ELNS1_3repE0EEENS1_30default_config_static_selectorELNS0_4arch9wavefront6targetE0EEEvSZ_.kd
    .uniform_work_group_size: 1
    .uses_dynamic_stack: false
    .vgpr_count:     0
    .vgpr_spill_count: 0
    .wavefront_size: 32
  - .args:
      - .offset:         0
        .size:           144
        .value_kind:     by_value
    .group_segment_fixed_size: 0
    .kernarg_segment_align: 8
    .kernarg_segment_size: 144
    .language:       OpenCL C
    .language_version:
      - 2
      - 0
    .max_flat_workgroup_size: 256
    .name:           _ZN7rocprim17ROCPRIM_400000_NS6detail17trampoline_kernelINS0_13select_configILj256ELj13ELNS0_17block_load_methodE3ELS4_3ELS4_3ELNS0_20block_scan_algorithmE0ELj4294967295EEENS1_25partition_config_selectorILNS1_17partition_subalgoE3EjNS0_10empty_typeEbEEZZNS1_14partition_implILS8_3ELb0ES6_jNS0_17counting_iteratorIjlEEPS9_SE_NS0_5tupleIJPjSE_EEENSF_IJSE_SE_EEES9_SG_JZNS1_25segmented_radix_sort_implINS0_14default_configELb0EPK12hip_bfloat16PSL_PKlPlN2at6native12_GLOBAL__N_18offset_tEEE10hipError_tPvRmT1_PNSt15iterator_traitsISZ_E10value_typeET2_T3_PNS10_IS15_E10value_typeET4_jRbjT5_S1B_jjP12ihipStream_tbEUljE_EEESW_SX_SY_S15_S19_S1B_T6_T7_T9_mT8_S1D_bDpT10_ENKUlT_T0_E_clISt17integral_constantIbLb0EES1Q_EEDaS1L_S1M_EUlS1L_E_NS1_11comp_targetILNS1_3genE2ELNS1_11target_archE906ELNS1_3gpuE6ELNS1_3repE0EEENS1_30default_config_static_selectorELNS0_4arch9wavefront6targetE0EEEvSZ_
    .private_segment_fixed_size: 0
    .sgpr_count:     0
    .sgpr_spill_count: 0
    .symbol:         _ZN7rocprim17ROCPRIM_400000_NS6detail17trampoline_kernelINS0_13select_configILj256ELj13ELNS0_17block_load_methodE3ELS4_3ELS4_3ELNS0_20block_scan_algorithmE0ELj4294967295EEENS1_25partition_config_selectorILNS1_17partition_subalgoE3EjNS0_10empty_typeEbEEZZNS1_14partition_implILS8_3ELb0ES6_jNS0_17counting_iteratorIjlEEPS9_SE_NS0_5tupleIJPjSE_EEENSF_IJSE_SE_EEES9_SG_JZNS1_25segmented_radix_sort_implINS0_14default_configELb0EPK12hip_bfloat16PSL_PKlPlN2at6native12_GLOBAL__N_18offset_tEEE10hipError_tPvRmT1_PNSt15iterator_traitsISZ_E10value_typeET2_T3_PNS10_IS15_E10value_typeET4_jRbjT5_S1B_jjP12ihipStream_tbEUljE_EEESW_SX_SY_S15_S19_S1B_T6_T7_T9_mT8_S1D_bDpT10_ENKUlT_T0_E_clISt17integral_constantIbLb0EES1Q_EEDaS1L_S1M_EUlS1L_E_NS1_11comp_targetILNS1_3genE2ELNS1_11target_archE906ELNS1_3gpuE6ELNS1_3repE0EEENS1_30default_config_static_selectorELNS0_4arch9wavefront6targetE0EEEvSZ_.kd
    .uniform_work_group_size: 1
    .uses_dynamic_stack: false
    .vgpr_count:     0
    .vgpr_spill_count: 0
    .wavefront_size: 32
  - .args:
      - .offset:         0
        .size:           144
        .value_kind:     by_value
    .group_segment_fixed_size: 0
    .kernarg_segment_align: 8
    .kernarg_segment_size: 144
    .language:       OpenCL C
    .language_version:
      - 2
      - 0
    .max_flat_workgroup_size: 256
    .name:           _ZN7rocprim17ROCPRIM_400000_NS6detail17trampoline_kernelINS0_13select_configILj256ELj13ELNS0_17block_load_methodE3ELS4_3ELS4_3ELNS0_20block_scan_algorithmE0ELj4294967295EEENS1_25partition_config_selectorILNS1_17partition_subalgoE3EjNS0_10empty_typeEbEEZZNS1_14partition_implILS8_3ELb0ES6_jNS0_17counting_iteratorIjlEEPS9_SE_NS0_5tupleIJPjSE_EEENSF_IJSE_SE_EEES9_SG_JZNS1_25segmented_radix_sort_implINS0_14default_configELb0EPK12hip_bfloat16PSL_PKlPlN2at6native12_GLOBAL__N_18offset_tEEE10hipError_tPvRmT1_PNSt15iterator_traitsISZ_E10value_typeET2_T3_PNS10_IS15_E10value_typeET4_jRbjT5_S1B_jjP12ihipStream_tbEUljE_EEESW_SX_SY_S15_S19_S1B_T6_T7_T9_mT8_S1D_bDpT10_ENKUlT_T0_E_clISt17integral_constantIbLb0EES1Q_EEDaS1L_S1M_EUlS1L_E_NS1_11comp_targetILNS1_3genE10ELNS1_11target_archE1200ELNS1_3gpuE4ELNS1_3repE0EEENS1_30default_config_static_selectorELNS0_4arch9wavefront6targetE0EEEvSZ_
    .private_segment_fixed_size: 0
    .sgpr_count:     0
    .sgpr_spill_count: 0
    .symbol:         _ZN7rocprim17ROCPRIM_400000_NS6detail17trampoline_kernelINS0_13select_configILj256ELj13ELNS0_17block_load_methodE3ELS4_3ELS4_3ELNS0_20block_scan_algorithmE0ELj4294967295EEENS1_25partition_config_selectorILNS1_17partition_subalgoE3EjNS0_10empty_typeEbEEZZNS1_14partition_implILS8_3ELb0ES6_jNS0_17counting_iteratorIjlEEPS9_SE_NS0_5tupleIJPjSE_EEENSF_IJSE_SE_EEES9_SG_JZNS1_25segmented_radix_sort_implINS0_14default_configELb0EPK12hip_bfloat16PSL_PKlPlN2at6native12_GLOBAL__N_18offset_tEEE10hipError_tPvRmT1_PNSt15iterator_traitsISZ_E10value_typeET2_T3_PNS10_IS15_E10value_typeET4_jRbjT5_S1B_jjP12ihipStream_tbEUljE_EEESW_SX_SY_S15_S19_S1B_T6_T7_T9_mT8_S1D_bDpT10_ENKUlT_T0_E_clISt17integral_constantIbLb0EES1Q_EEDaS1L_S1M_EUlS1L_E_NS1_11comp_targetILNS1_3genE10ELNS1_11target_archE1200ELNS1_3gpuE4ELNS1_3repE0EEENS1_30default_config_static_selectorELNS0_4arch9wavefront6targetE0EEEvSZ_.kd
    .uniform_work_group_size: 1
    .uses_dynamic_stack: false
    .vgpr_count:     0
    .vgpr_spill_count: 0
    .wavefront_size: 32
  - .args:
      - .offset:         0
        .size:           144
        .value_kind:     by_value
    .group_segment_fixed_size: 0
    .kernarg_segment_align: 8
    .kernarg_segment_size: 144
    .language:       OpenCL C
    .language_version:
      - 2
      - 0
    .max_flat_workgroup_size: 256
    .name:           _ZN7rocprim17ROCPRIM_400000_NS6detail17trampoline_kernelINS0_13select_configILj256ELj13ELNS0_17block_load_methodE3ELS4_3ELS4_3ELNS0_20block_scan_algorithmE0ELj4294967295EEENS1_25partition_config_selectorILNS1_17partition_subalgoE3EjNS0_10empty_typeEbEEZZNS1_14partition_implILS8_3ELb0ES6_jNS0_17counting_iteratorIjlEEPS9_SE_NS0_5tupleIJPjSE_EEENSF_IJSE_SE_EEES9_SG_JZNS1_25segmented_radix_sort_implINS0_14default_configELb0EPK12hip_bfloat16PSL_PKlPlN2at6native12_GLOBAL__N_18offset_tEEE10hipError_tPvRmT1_PNSt15iterator_traitsISZ_E10value_typeET2_T3_PNS10_IS15_E10value_typeET4_jRbjT5_S1B_jjP12ihipStream_tbEUljE_EEESW_SX_SY_S15_S19_S1B_T6_T7_T9_mT8_S1D_bDpT10_ENKUlT_T0_E_clISt17integral_constantIbLb0EES1Q_EEDaS1L_S1M_EUlS1L_E_NS1_11comp_targetILNS1_3genE9ELNS1_11target_archE1100ELNS1_3gpuE3ELNS1_3repE0EEENS1_30default_config_static_selectorELNS0_4arch9wavefront6targetE0EEEvSZ_
    .private_segment_fixed_size: 0
    .sgpr_count:     0
    .sgpr_spill_count: 0
    .symbol:         _ZN7rocprim17ROCPRIM_400000_NS6detail17trampoline_kernelINS0_13select_configILj256ELj13ELNS0_17block_load_methodE3ELS4_3ELS4_3ELNS0_20block_scan_algorithmE0ELj4294967295EEENS1_25partition_config_selectorILNS1_17partition_subalgoE3EjNS0_10empty_typeEbEEZZNS1_14partition_implILS8_3ELb0ES6_jNS0_17counting_iteratorIjlEEPS9_SE_NS0_5tupleIJPjSE_EEENSF_IJSE_SE_EEES9_SG_JZNS1_25segmented_radix_sort_implINS0_14default_configELb0EPK12hip_bfloat16PSL_PKlPlN2at6native12_GLOBAL__N_18offset_tEEE10hipError_tPvRmT1_PNSt15iterator_traitsISZ_E10value_typeET2_T3_PNS10_IS15_E10value_typeET4_jRbjT5_S1B_jjP12ihipStream_tbEUljE_EEESW_SX_SY_S15_S19_S1B_T6_T7_T9_mT8_S1D_bDpT10_ENKUlT_T0_E_clISt17integral_constantIbLb0EES1Q_EEDaS1L_S1M_EUlS1L_E_NS1_11comp_targetILNS1_3genE9ELNS1_11target_archE1100ELNS1_3gpuE3ELNS1_3repE0EEENS1_30default_config_static_selectorELNS0_4arch9wavefront6targetE0EEEvSZ_.kd
    .uniform_work_group_size: 1
    .uses_dynamic_stack: false
    .vgpr_count:     0
    .vgpr_spill_count: 0
    .wavefront_size: 32
  - .args:
      - .offset:         0
        .size:           144
        .value_kind:     by_value
    .group_segment_fixed_size: 0
    .kernarg_segment_align: 8
    .kernarg_segment_size: 144
    .language:       OpenCL C
    .language_version:
      - 2
      - 0
    .max_flat_workgroup_size: 256
    .name:           _ZN7rocprim17ROCPRIM_400000_NS6detail17trampoline_kernelINS0_13select_configILj256ELj13ELNS0_17block_load_methodE3ELS4_3ELS4_3ELNS0_20block_scan_algorithmE0ELj4294967295EEENS1_25partition_config_selectorILNS1_17partition_subalgoE3EjNS0_10empty_typeEbEEZZNS1_14partition_implILS8_3ELb0ES6_jNS0_17counting_iteratorIjlEEPS9_SE_NS0_5tupleIJPjSE_EEENSF_IJSE_SE_EEES9_SG_JZNS1_25segmented_radix_sort_implINS0_14default_configELb0EPK12hip_bfloat16PSL_PKlPlN2at6native12_GLOBAL__N_18offset_tEEE10hipError_tPvRmT1_PNSt15iterator_traitsISZ_E10value_typeET2_T3_PNS10_IS15_E10value_typeET4_jRbjT5_S1B_jjP12ihipStream_tbEUljE_EEESW_SX_SY_S15_S19_S1B_T6_T7_T9_mT8_S1D_bDpT10_ENKUlT_T0_E_clISt17integral_constantIbLb0EES1Q_EEDaS1L_S1M_EUlS1L_E_NS1_11comp_targetILNS1_3genE8ELNS1_11target_archE1030ELNS1_3gpuE2ELNS1_3repE0EEENS1_30default_config_static_selectorELNS0_4arch9wavefront6targetE0EEEvSZ_
    .private_segment_fixed_size: 0
    .sgpr_count:     0
    .sgpr_spill_count: 0
    .symbol:         _ZN7rocprim17ROCPRIM_400000_NS6detail17trampoline_kernelINS0_13select_configILj256ELj13ELNS0_17block_load_methodE3ELS4_3ELS4_3ELNS0_20block_scan_algorithmE0ELj4294967295EEENS1_25partition_config_selectorILNS1_17partition_subalgoE3EjNS0_10empty_typeEbEEZZNS1_14partition_implILS8_3ELb0ES6_jNS0_17counting_iteratorIjlEEPS9_SE_NS0_5tupleIJPjSE_EEENSF_IJSE_SE_EEES9_SG_JZNS1_25segmented_radix_sort_implINS0_14default_configELb0EPK12hip_bfloat16PSL_PKlPlN2at6native12_GLOBAL__N_18offset_tEEE10hipError_tPvRmT1_PNSt15iterator_traitsISZ_E10value_typeET2_T3_PNS10_IS15_E10value_typeET4_jRbjT5_S1B_jjP12ihipStream_tbEUljE_EEESW_SX_SY_S15_S19_S1B_T6_T7_T9_mT8_S1D_bDpT10_ENKUlT_T0_E_clISt17integral_constantIbLb0EES1Q_EEDaS1L_S1M_EUlS1L_E_NS1_11comp_targetILNS1_3genE8ELNS1_11target_archE1030ELNS1_3gpuE2ELNS1_3repE0EEENS1_30default_config_static_selectorELNS0_4arch9wavefront6targetE0EEEvSZ_.kd
    .uniform_work_group_size: 1
    .uses_dynamic_stack: false
    .vgpr_count:     0
    .vgpr_spill_count: 0
    .wavefront_size: 32
  - .args:
      - .offset:         0
        .size:           152
        .value_kind:     by_value
    .group_segment_fixed_size: 0
    .kernarg_segment_align: 8
    .kernarg_segment_size: 152
    .language:       OpenCL C
    .language_version:
      - 2
      - 0
    .max_flat_workgroup_size: 256
    .name:           _ZN7rocprim17ROCPRIM_400000_NS6detail17trampoline_kernelINS0_13select_configILj256ELj13ELNS0_17block_load_methodE3ELS4_3ELS4_3ELNS0_20block_scan_algorithmE0ELj4294967295EEENS1_25partition_config_selectorILNS1_17partition_subalgoE3EjNS0_10empty_typeEbEEZZNS1_14partition_implILS8_3ELb0ES6_jNS0_17counting_iteratorIjlEEPS9_SE_NS0_5tupleIJPjSE_EEENSF_IJSE_SE_EEES9_SG_JZNS1_25segmented_radix_sort_implINS0_14default_configELb0EPK12hip_bfloat16PSL_PKlPlN2at6native12_GLOBAL__N_18offset_tEEE10hipError_tPvRmT1_PNSt15iterator_traitsISZ_E10value_typeET2_T3_PNS10_IS15_E10value_typeET4_jRbjT5_S1B_jjP12ihipStream_tbEUljE_EEESW_SX_SY_S15_S19_S1B_T6_T7_T9_mT8_S1D_bDpT10_ENKUlT_T0_E_clISt17integral_constantIbLb1EES1Q_EEDaS1L_S1M_EUlS1L_E_NS1_11comp_targetILNS1_3genE0ELNS1_11target_archE4294967295ELNS1_3gpuE0ELNS1_3repE0EEENS1_30default_config_static_selectorELNS0_4arch9wavefront6targetE0EEEvSZ_
    .private_segment_fixed_size: 0
    .sgpr_count:     0
    .sgpr_spill_count: 0
    .symbol:         _ZN7rocprim17ROCPRIM_400000_NS6detail17trampoline_kernelINS0_13select_configILj256ELj13ELNS0_17block_load_methodE3ELS4_3ELS4_3ELNS0_20block_scan_algorithmE0ELj4294967295EEENS1_25partition_config_selectorILNS1_17partition_subalgoE3EjNS0_10empty_typeEbEEZZNS1_14partition_implILS8_3ELb0ES6_jNS0_17counting_iteratorIjlEEPS9_SE_NS0_5tupleIJPjSE_EEENSF_IJSE_SE_EEES9_SG_JZNS1_25segmented_radix_sort_implINS0_14default_configELb0EPK12hip_bfloat16PSL_PKlPlN2at6native12_GLOBAL__N_18offset_tEEE10hipError_tPvRmT1_PNSt15iterator_traitsISZ_E10value_typeET2_T3_PNS10_IS15_E10value_typeET4_jRbjT5_S1B_jjP12ihipStream_tbEUljE_EEESW_SX_SY_S15_S19_S1B_T6_T7_T9_mT8_S1D_bDpT10_ENKUlT_T0_E_clISt17integral_constantIbLb1EES1Q_EEDaS1L_S1M_EUlS1L_E_NS1_11comp_targetILNS1_3genE0ELNS1_11target_archE4294967295ELNS1_3gpuE0ELNS1_3repE0EEENS1_30default_config_static_selectorELNS0_4arch9wavefront6targetE0EEEvSZ_.kd
    .uniform_work_group_size: 1
    .uses_dynamic_stack: false
    .vgpr_count:     0
    .vgpr_spill_count: 0
    .wavefront_size: 32
  - .args:
      - .offset:         0
        .size:           152
        .value_kind:     by_value
    .group_segment_fixed_size: 0
    .kernarg_segment_align: 8
    .kernarg_segment_size: 152
    .language:       OpenCL C
    .language_version:
      - 2
      - 0
    .max_flat_workgroup_size: 256
    .name:           _ZN7rocprim17ROCPRIM_400000_NS6detail17trampoline_kernelINS0_13select_configILj256ELj13ELNS0_17block_load_methodE3ELS4_3ELS4_3ELNS0_20block_scan_algorithmE0ELj4294967295EEENS1_25partition_config_selectorILNS1_17partition_subalgoE3EjNS0_10empty_typeEbEEZZNS1_14partition_implILS8_3ELb0ES6_jNS0_17counting_iteratorIjlEEPS9_SE_NS0_5tupleIJPjSE_EEENSF_IJSE_SE_EEES9_SG_JZNS1_25segmented_radix_sort_implINS0_14default_configELb0EPK12hip_bfloat16PSL_PKlPlN2at6native12_GLOBAL__N_18offset_tEEE10hipError_tPvRmT1_PNSt15iterator_traitsISZ_E10value_typeET2_T3_PNS10_IS15_E10value_typeET4_jRbjT5_S1B_jjP12ihipStream_tbEUljE_EEESW_SX_SY_S15_S19_S1B_T6_T7_T9_mT8_S1D_bDpT10_ENKUlT_T0_E_clISt17integral_constantIbLb1EES1Q_EEDaS1L_S1M_EUlS1L_E_NS1_11comp_targetILNS1_3genE5ELNS1_11target_archE942ELNS1_3gpuE9ELNS1_3repE0EEENS1_30default_config_static_selectorELNS0_4arch9wavefront6targetE0EEEvSZ_
    .private_segment_fixed_size: 0
    .sgpr_count:     0
    .sgpr_spill_count: 0
    .symbol:         _ZN7rocprim17ROCPRIM_400000_NS6detail17trampoline_kernelINS0_13select_configILj256ELj13ELNS0_17block_load_methodE3ELS4_3ELS4_3ELNS0_20block_scan_algorithmE0ELj4294967295EEENS1_25partition_config_selectorILNS1_17partition_subalgoE3EjNS0_10empty_typeEbEEZZNS1_14partition_implILS8_3ELb0ES6_jNS0_17counting_iteratorIjlEEPS9_SE_NS0_5tupleIJPjSE_EEENSF_IJSE_SE_EEES9_SG_JZNS1_25segmented_radix_sort_implINS0_14default_configELb0EPK12hip_bfloat16PSL_PKlPlN2at6native12_GLOBAL__N_18offset_tEEE10hipError_tPvRmT1_PNSt15iterator_traitsISZ_E10value_typeET2_T3_PNS10_IS15_E10value_typeET4_jRbjT5_S1B_jjP12ihipStream_tbEUljE_EEESW_SX_SY_S15_S19_S1B_T6_T7_T9_mT8_S1D_bDpT10_ENKUlT_T0_E_clISt17integral_constantIbLb1EES1Q_EEDaS1L_S1M_EUlS1L_E_NS1_11comp_targetILNS1_3genE5ELNS1_11target_archE942ELNS1_3gpuE9ELNS1_3repE0EEENS1_30default_config_static_selectorELNS0_4arch9wavefront6targetE0EEEvSZ_.kd
    .uniform_work_group_size: 1
    .uses_dynamic_stack: false
    .vgpr_count:     0
    .vgpr_spill_count: 0
    .wavefront_size: 32
  - .args:
      - .offset:         0
        .size:           152
        .value_kind:     by_value
    .group_segment_fixed_size: 0
    .kernarg_segment_align: 8
    .kernarg_segment_size: 152
    .language:       OpenCL C
    .language_version:
      - 2
      - 0
    .max_flat_workgroup_size: 256
    .name:           _ZN7rocprim17ROCPRIM_400000_NS6detail17trampoline_kernelINS0_13select_configILj256ELj13ELNS0_17block_load_methodE3ELS4_3ELS4_3ELNS0_20block_scan_algorithmE0ELj4294967295EEENS1_25partition_config_selectorILNS1_17partition_subalgoE3EjNS0_10empty_typeEbEEZZNS1_14partition_implILS8_3ELb0ES6_jNS0_17counting_iteratorIjlEEPS9_SE_NS0_5tupleIJPjSE_EEENSF_IJSE_SE_EEES9_SG_JZNS1_25segmented_radix_sort_implINS0_14default_configELb0EPK12hip_bfloat16PSL_PKlPlN2at6native12_GLOBAL__N_18offset_tEEE10hipError_tPvRmT1_PNSt15iterator_traitsISZ_E10value_typeET2_T3_PNS10_IS15_E10value_typeET4_jRbjT5_S1B_jjP12ihipStream_tbEUljE_EEESW_SX_SY_S15_S19_S1B_T6_T7_T9_mT8_S1D_bDpT10_ENKUlT_T0_E_clISt17integral_constantIbLb1EES1Q_EEDaS1L_S1M_EUlS1L_E_NS1_11comp_targetILNS1_3genE4ELNS1_11target_archE910ELNS1_3gpuE8ELNS1_3repE0EEENS1_30default_config_static_selectorELNS0_4arch9wavefront6targetE0EEEvSZ_
    .private_segment_fixed_size: 0
    .sgpr_count:     0
    .sgpr_spill_count: 0
    .symbol:         _ZN7rocprim17ROCPRIM_400000_NS6detail17trampoline_kernelINS0_13select_configILj256ELj13ELNS0_17block_load_methodE3ELS4_3ELS4_3ELNS0_20block_scan_algorithmE0ELj4294967295EEENS1_25partition_config_selectorILNS1_17partition_subalgoE3EjNS0_10empty_typeEbEEZZNS1_14partition_implILS8_3ELb0ES6_jNS0_17counting_iteratorIjlEEPS9_SE_NS0_5tupleIJPjSE_EEENSF_IJSE_SE_EEES9_SG_JZNS1_25segmented_radix_sort_implINS0_14default_configELb0EPK12hip_bfloat16PSL_PKlPlN2at6native12_GLOBAL__N_18offset_tEEE10hipError_tPvRmT1_PNSt15iterator_traitsISZ_E10value_typeET2_T3_PNS10_IS15_E10value_typeET4_jRbjT5_S1B_jjP12ihipStream_tbEUljE_EEESW_SX_SY_S15_S19_S1B_T6_T7_T9_mT8_S1D_bDpT10_ENKUlT_T0_E_clISt17integral_constantIbLb1EES1Q_EEDaS1L_S1M_EUlS1L_E_NS1_11comp_targetILNS1_3genE4ELNS1_11target_archE910ELNS1_3gpuE8ELNS1_3repE0EEENS1_30default_config_static_selectorELNS0_4arch9wavefront6targetE0EEEvSZ_.kd
    .uniform_work_group_size: 1
    .uses_dynamic_stack: false
    .vgpr_count:     0
    .vgpr_spill_count: 0
    .wavefront_size: 32
  - .args:
      - .offset:         0
        .size:           152
        .value_kind:     by_value
    .group_segment_fixed_size: 0
    .kernarg_segment_align: 8
    .kernarg_segment_size: 152
    .language:       OpenCL C
    .language_version:
      - 2
      - 0
    .max_flat_workgroup_size: 256
    .name:           _ZN7rocprim17ROCPRIM_400000_NS6detail17trampoline_kernelINS0_13select_configILj256ELj13ELNS0_17block_load_methodE3ELS4_3ELS4_3ELNS0_20block_scan_algorithmE0ELj4294967295EEENS1_25partition_config_selectorILNS1_17partition_subalgoE3EjNS0_10empty_typeEbEEZZNS1_14partition_implILS8_3ELb0ES6_jNS0_17counting_iteratorIjlEEPS9_SE_NS0_5tupleIJPjSE_EEENSF_IJSE_SE_EEES9_SG_JZNS1_25segmented_radix_sort_implINS0_14default_configELb0EPK12hip_bfloat16PSL_PKlPlN2at6native12_GLOBAL__N_18offset_tEEE10hipError_tPvRmT1_PNSt15iterator_traitsISZ_E10value_typeET2_T3_PNS10_IS15_E10value_typeET4_jRbjT5_S1B_jjP12ihipStream_tbEUljE_EEESW_SX_SY_S15_S19_S1B_T6_T7_T9_mT8_S1D_bDpT10_ENKUlT_T0_E_clISt17integral_constantIbLb1EES1Q_EEDaS1L_S1M_EUlS1L_E_NS1_11comp_targetILNS1_3genE3ELNS1_11target_archE908ELNS1_3gpuE7ELNS1_3repE0EEENS1_30default_config_static_selectorELNS0_4arch9wavefront6targetE0EEEvSZ_
    .private_segment_fixed_size: 0
    .sgpr_count:     0
    .sgpr_spill_count: 0
    .symbol:         _ZN7rocprim17ROCPRIM_400000_NS6detail17trampoline_kernelINS0_13select_configILj256ELj13ELNS0_17block_load_methodE3ELS4_3ELS4_3ELNS0_20block_scan_algorithmE0ELj4294967295EEENS1_25partition_config_selectorILNS1_17partition_subalgoE3EjNS0_10empty_typeEbEEZZNS1_14partition_implILS8_3ELb0ES6_jNS0_17counting_iteratorIjlEEPS9_SE_NS0_5tupleIJPjSE_EEENSF_IJSE_SE_EEES9_SG_JZNS1_25segmented_radix_sort_implINS0_14default_configELb0EPK12hip_bfloat16PSL_PKlPlN2at6native12_GLOBAL__N_18offset_tEEE10hipError_tPvRmT1_PNSt15iterator_traitsISZ_E10value_typeET2_T3_PNS10_IS15_E10value_typeET4_jRbjT5_S1B_jjP12ihipStream_tbEUljE_EEESW_SX_SY_S15_S19_S1B_T6_T7_T9_mT8_S1D_bDpT10_ENKUlT_T0_E_clISt17integral_constantIbLb1EES1Q_EEDaS1L_S1M_EUlS1L_E_NS1_11comp_targetILNS1_3genE3ELNS1_11target_archE908ELNS1_3gpuE7ELNS1_3repE0EEENS1_30default_config_static_selectorELNS0_4arch9wavefront6targetE0EEEvSZ_.kd
    .uniform_work_group_size: 1
    .uses_dynamic_stack: false
    .vgpr_count:     0
    .vgpr_spill_count: 0
    .wavefront_size: 32
  - .args:
      - .offset:         0
        .size:           152
        .value_kind:     by_value
    .group_segment_fixed_size: 0
    .kernarg_segment_align: 8
    .kernarg_segment_size: 152
    .language:       OpenCL C
    .language_version:
      - 2
      - 0
    .max_flat_workgroup_size: 256
    .name:           _ZN7rocprim17ROCPRIM_400000_NS6detail17trampoline_kernelINS0_13select_configILj256ELj13ELNS0_17block_load_methodE3ELS4_3ELS4_3ELNS0_20block_scan_algorithmE0ELj4294967295EEENS1_25partition_config_selectorILNS1_17partition_subalgoE3EjNS0_10empty_typeEbEEZZNS1_14partition_implILS8_3ELb0ES6_jNS0_17counting_iteratorIjlEEPS9_SE_NS0_5tupleIJPjSE_EEENSF_IJSE_SE_EEES9_SG_JZNS1_25segmented_radix_sort_implINS0_14default_configELb0EPK12hip_bfloat16PSL_PKlPlN2at6native12_GLOBAL__N_18offset_tEEE10hipError_tPvRmT1_PNSt15iterator_traitsISZ_E10value_typeET2_T3_PNS10_IS15_E10value_typeET4_jRbjT5_S1B_jjP12ihipStream_tbEUljE_EEESW_SX_SY_S15_S19_S1B_T6_T7_T9_mT8_S1D_bDpT10_ENKUlT_T0_E_clISt17integral_constantIbLb1EES1Q_EEDaS1L_S1M_EUlS1L_E_NS1_11comp_targetILNS1_3genE2ELNS1_11target_archE906ELNS1_3gpuE6ELNS1_3repE0EEENS1_30default_config_static_selectorELNS0_4arch9wavefront6targetE0EEEvSZ_
    .private_segment_fixed_size: 0
    .sgpr_count:     0
    .sgpr_spill_count: 0
    .symbol:         _ZN7rocprim17ROCPRIM_400000_NS6detail17trampoline_kernelINS0_13select_configILj256ELj13ELNS0_17block_load_methodE3ELS4_3ELS4_3ELNS0_20block_scan_algorithmE0ELj4294967295EEENS1_25partition_config_selectorILNS1_17partition_subalgoE3EjNS0_10empty_typeEbEEZZNS1_14partition_implILS8_3ELb0ES6_jNS0_17counting_iteratorIjlEEPS9_SE_NS0_5tupleIJPjSE_EEENSF_IJSE_SE_EEES9_SG_JZNS1_25segmented_radix_sort_implINS0_14default_configELb0EPK12hip_bfloat16PSL_PKlPlN2at6native12_GLOBAL__N_18offset_tEEE10hipError_tPvRmT1_PNSt15iterator_traitsISZ_E10value_typeET2_T3_PNS10_IS15_E10value_typeET4_jRbjT5_S1B_jjP12ihipStream_tbEUljE_EEESW_SX_SY_S15_S19_S1B_T6_T7_T9_mT8_S1D_bDpT10_ENKUlT_T0_E_clISt17integral_constantIbLb1EES1Q_EEDaS1L_S1M_EUlS1L_E_NS1_11comp_targetILNS1_3genE2ELNS1_11target_archE906ELNS1_3gpuE6ELNS1_3repE0EEENS1_30default_config_static_selectorELNS0_4arch9wavefront6targetE0EEEvSZ_.kd
    .uniform_work_group_size: 1
    .uses_dynamic_stack: false
    .vgpr_count:     0
    .vgpr_spill_count: 0
    .wavefront_size: 32
  - .args:
      - .offset:         0
        .size:           152
        .value_kind:     by_value
    .group_segment_fixed_size: 0
    .kernarg_segment_align: 8
    .kernarg_segment_size: 152
    .language:       OpenCL C
    .language_version:
      - 2
      - 0
    .max_flat_workgroup_size: 256
    .name:           _ZN7rocprim17ROCPRIM_400000_NS6detail17trampoline_kernelINS0_13select_configILj256ELj13ELNS0_17block_load_methodE3ELS4_3ELS4_3ELNS0_20block_scan_algorithmE0ELj4294967295EEENS1_25partition_config_selectorILNS1_17partition_subalgoE3EjNS0_10empty_typeEbEEZZNS1_14partition_implILS8_3ELb0ES6_jNS0_17counting_iteratorIjlEEPS9_SE_NS0_5tupleIJPjSE_EEENSF_IJSE_SE_EEES9_SG_JZNS1_25segmented_radix_sort_implINS0_14default_configELb0EPK12hip_bfloat16PSL_PKlPlN2at6native12_GLOBAL__N_18offset_tEEE10hipError_tPvRmT1_PNSt15iterator_traitsISZ_E10value_typeET2_T3_PNS10_IS15_E10value_typeET4_jRbjT5_S1B_jjP12ihipStream_tbEUljE_EEESW_SX_SY_S15_S19_S1B_T6_T7_T9_mT8_S1D_bDpT10_ENKUlT_T0_E_clISt17integral_constantIbLb1EES1Q_EEDaS1L_S1M_EUlS1L_E_NS1_11comp_targetILNS1_3genE10ELNS1_11target_archE1200ELNS1_3gpuE4ELNS1_3repE0EEENS1_30default_config_static_selectorELNS0_4arch9wavefront6targetE0EEEvSZ_
    .private_segment_fixed_size: 0
    .sgpr_count:     0
    .sgpr_spill_count: 0
    .symbol:         _ZN7rocprim17ROCPRIM_400000_NS6detail17trampoline_kernelINS0_13select_configILj256ELj13ELNS0_17block_load_methodE3ELS4_3ELS4_3ELNS0_20block_scan_algorithmE0ELj4294967295EEENS1_25partition_config_selectorILNS1_17partition_subalgoE3EjNS0_10empty_typeEbEEZZNS1_14partition_implILS8_3ELb0ES6_jNS0_17counting_iteratorIjlEEPS9_SE_NS0_5tupleIJPjSE_EEENSF_IJSE_SE_EEES9_SG_JZNS1_25segmented_radix_sort_implINS0_14default_configELb0EPK12hip_bfloat16PSL_PKlPlN2at6native12_GLOBAL__N_18offset_tEEE10hipError_tPvRmT1_PNSt15iterator_traitsISZ_E10value_typeET2_T3_PNS10_IS15_E10value_typeET4_jRbjT5_S1B_jjP12ihipStream_tbEUljE_EEESW_SX_SY_S15_S19_S1B_T6_T7_T9_mT8_S1D_bDpT10_ENKUlT_T0_E_clISt17integral_constantIbLb1EES1Q_EEDaS1L_S1M_EUlS1L_E_NS1_11comp_targetILNS1_3genE10ELNS1_11target_archE1200ELNS1_3gpuE4ELNS1_3repE0EEENS1_30default_config_static_selectorELNS0_4arch9wavefront6targetE0EEEvSZ_.kd
    .uniform_work_group_size: 1
    .uses_dynamic_stack: false
    .vgpr_count:     0
    .vgpr_spill_count: 0
    .wavefront_size: 32
  - .args:
      - .offset:         0
        .size:           152
        .value_kind:     by_value
    .group_segment_fixed_size: 0
    .kernarg_segment_align: 8
    .kernarg_segment_size: 152
    .language:       OpenCL C
    .language_version:
      - 2
      - 0
    .max_flat_workgroup_size: 256
    .name:           _ZN7rocprim17ROCPRIM_400000_NS6detail17trampoline_kernelINS0_13select_configILj256ELj13ELNS0_17block_load_methodE3ELS4_3ELS4_3ELNS0_20block_scan_algorithmE0ELj4294967295EEENS1_25partition_config_selectorILNS1_17partition_subalgoE3EjNS0_10empty_typeEbEEZZNS1_14partition_implILS8_3ELb0ES6_jNS0_17counting_iteratorIjlEEPS9_SE_NS0_5tupleIJPjSE_EEENSF_IJSE_SE_EEES9_SG_JZNS1_25segmented_radix_sort_implINS0_14default_configELb0EPK12hip_bfloat16PSL_PKlPlN2at6native12_GLOBAL__N_18offset_tEEE10hipError_tPvRmT1_PNSt15iterator_traitsISZ_E10value_typeET2_T3_PNS10_IS15_E10value_typeET4_jRbjT5_S1B_jjP12ihipStream_tbEUljE_EEESW_SX_SY_S15_S19_S1B_T6_T7_T9_mT8_S1D_bDpT10_ENKUlT_T0_E_clISt17integral_constantIbLb1EES1Q_EEDaS1L_S1M_EUlS1L_E_NS1_11comp_targetILNS1_3genE9ELNS1_11target_archE1100ELNS1_3gpuE3ELNS1_3repE0EEENS1_30default_config_static_selectorELNS0_4arch9wavefront6targetE0EEEvSZ_
    .private_segment_fixed_size: 0
    .sgpr_count:     0
    .sgpr_spill_count: 0
    .symbol:         _ZN7rocprim17ROCPRIM_400000_NS6detail17trampoline_kernelINS0_13select_configILj256ELj13ELNS0_17block_load_methodE3ELS4_3ELS4_3ELNS0_20block_scan_algorithmE0ELj4294967295EEENS1_25partition_config_selectorILNS1_17partition_subalgoE3EjNS0_10empty_typeEbEEZZNS1_14partition_implILS8_3ELb0ES6_jNS0_17counting_iteratorIjlEEPS9_SE_NS0_5tupleIJPjSE_EEENSF_IJSE_SE_EEES9_SG_JZNS1_25segmented_radix_sort_implINS0_14default_configELb0EPK12hip_bfloat16PSL_PKlPlN2at6native12_GLOBAL__N_18offset_tEEE10hipError_tPvRmT1_PNSt15iterator_traitsISZ_E10value_typeET2_T3_PNS10_IS15_E10value_typeET4_jRbjT5_S1B_jjP12ihipStream_tbEUljE_EEESW_SX_SY_S15_S19_S1B_T6_T7_T9_mT8_S1D_bDpT10_ENKUlT_T0_E_clISt17integral_constantIbLb1EES1Q_EEDaS1L_S1M_EUlS1L_E_NS1_11comp_targetILNS1_3genE9ELNS1_11target_archE1100ELNS1_3gpuE3ELNS1_3repE0EEENS1_30default_config_static_selectorELNS0_4arch9wavefront6targetE0EEEvSZ_.kd
    .uniform_work_group_size: 1
    .uses_dynamic_stack: false
    .vgpr_count:     0
    .vgpr_spill_count: 0
    .wavefront_size: 32
  - .args:
      - .offset:         0
        .size:           152
        .value_kind:     by_value
    .group_segment_fixed_size: 0
    .kernarg_segment_align: 8
    .kernarg_segment_size: 152
    .language:       OpenCL C
    .language_version:
      - 2
      - 0
    .max_flat_workgroup_size: 256
    .name:           _ZN7rocprim17ROCPRIM_400000_NS6detail17trampoline_kernelINS0_13select_configILj256ELj13ELNS0_17block_load_methodE3ELS4_3ELS4_3ELNS0_20block_scan_algorithmE0ELj4294967295EEENS1_25partition_config_selectorILNS1_17partition_subalgoE3EjNS0_10empty_typeEbEEZZNS1_14partition_implILS8_3ELb0ES6_jNS0_17counting_iteratorIjlEEPS9_SE_NS0_5tupleIJPjSE_EEENSF_IJSE_SE_EEES9_SG_JZNS1_25segmented_radix_sort_implINS0_14default_configELb0EPK12hip_bfloat16PSL_PKlPlN2at6native12_GLOBAL__N_18offset_tEEE10hipError_tPvRmT1_PNSt15iterator_traitsISZ_E10value_typeET2_T3_PNS10_IS15_E10value_typeET4_jRbjT5_S1B_jjP12ihipStream_tbEUljE_EEESW_SX_SY_S15_S19_S1B_T6_T7_T9_mT8_S1D_bDpT10_ENKUlT_T0_E_clISt17integral_constantIbLb1EES1Q_EEDaS1L_S1M_EUlS1L_E_NS1_11comp_targetILNS1_3genE8ELNS1_11target_archE1030ELNS1_3gpuE2ELNS1_3repE0EEENS1_30default_config_static_selectorELNS0_4arch9wavefront6targetE0EEEvSZ_
    .private_segment_fixed_size: 0
    .sgpr_count:     0
    .sgpr_spill_count: 0
    .symbol:         _ZN7rocprim17ROCPRIM_400000_NS6detail17trampoline_kernelINS0_13select_configILj256ELj13ELNS0_17block_load_methodE3ELS4_3ELS4_3ELNS0_20block_scan_algorithmE0ELj4294967295EEENS1_25partition_config_selectorILNS1_17partition_subalgoE3EjNS0_10empty_typeEbEEZZNS1_14partition_implILS8_3ELb0ES6_jNS0_17counting_iteratorIjlEEPS9_SE_NS0_5tupleIJPjSE_EEENSF_IJSE_SE_EEES9_SG_JZNS1_25segmented_radix_sort_implINS0_14default_configELb0EPK12hip_bfloat16PSL_PKlPlN2at6native12_GLOBAL__N_18offset_tEEE10hipError_tPvRmT1_PNSt15iterator_traitsISZ_E10value_typeET2_T3_PNS10_IS15_E10value_typeET4_jRbjT5_S1B_jjP12ihipStream_tbEUljE_EEESW_SX_SY_S15_S19_S1B_T6_T7_T9_mT8_S1D_bDpT10_ENKUlT_T0_E_clISt17integral_constantIbLb1EES1Q_EEDaS1L_S1M_EUlS1L_E_NS1_11comp_targetILNS1_3genE8ELNS1_11target_archE1030ELNS1_3gpuE2ELNS1_3repE0EEENS1_30default_config_static_selectorELNS0_4arch9wavefront6targetE0EEEvSZ_.kd
    .uniform_work_group_size: 1
    .uses_dynamic_stack: false
    .vgpr_count:     0
    .vgpr_spill_count: 0
    .wavefront_size: 32
  - .args:
      - .offset:         0
        .size:           144
        .value_kind:     by_value
    .group_segment_fixed_size: 0
    .kernarg_segment_align: 8
    .kernarg_segment_size: 144
    .language:       OpenCL C
    .language_version:
      - 2
      - 0
    .max_flat_workgroup_size: 256
    .name:           _ZN7rocprim17ROCPRIM_400000_NS6detail17trampoline_kernelINS0_13select_configILj256ELj13ELNS0_17block_load_methodE3ELS4_3ELS4_3ELNS0_20block_scan_algorithmE0ELj4294967295EEENS1_25partition_config_selectorILNS1_17partition_subalgoE3EjNS0_10empty_typeEbEEZZNS1_14partition_implILS8_3ELb0ES6_jNS0_17counting_iteratorIjlEEPS9_SE_NS0_5tupleIJPjSE_EEENSF_IJSE_SE_EEES9_SG_JZNS1_25segmented_radix_sort_implINS0_14default_configELb0EPK12hip_bfloat16PSL_PKlPlN2at6native12_GLOBAL__N_18offset_tEEE10hipError_tPvRmT1_PNSt15iterator_traitsISZ_E10value_typeET2_T3_PNS10_IS15_E10value_typeET4_jRbjT5_S1B_jjP12ihipStream_tbEUljE_EEESW_SX_SY_S15_S19_S1B_T6_T7_T9_mT8_S1D_bDpT10_ENKUlT_T0_E_clISt17integral_constantIbLb1EES1P_IbLb0EEEEDaS1L_S1M_EUlS1L_E_NS1_11comp_targetILNS1_3genE0ELNS1_11target_archE4294967295ELNS1_3gpuE0ELNS1_3repE0EEENS1_30default_config_static_selectorELNS0_4arch9wavefront6targetE0EEEvSZ_
    .private_segment_fixed_size: 0
    .sgpr_count:     0
    .sgpr_spill_count: 0
    .symbol:         _ZN7rocprim17ROCPRIM_400000_NS6detail17trampoline_kernelINS0_13select_configILj256ELj13ELNS0_17block_load_methodE3ELS4_3ELS4_3ELNS0_20block_scan_algorithmE0ELj4294967295EEENS1_25partition_config_selectorILNS1_17partition_subalgoE3EjNS0_10empty_typeEbEEZZNS1_14partition_implILS8_3ELb0ES6_jNS0_17counting_iteratorIjlEEPS9_SE_NS0_5tupleIJPjSE_EEENSF_IJSE_SE_EEES9_SG_JZNS1_25segmented_radix_sort_implINS0_14default_configELb0EPK12hip_bfloat16PSL_PKlPlN2at6native12_GLOBAL__N_18offset_tEEE10hipError_tPvRmT1_PNSt15iterator_traitsISZ_E10value_typeET2_T3_PNS10_IS15_E10value_typeET4_jRbjT5_S1B_jjP12ihipStream_tbEUljE_EEESW_SX_SY_S15_S19_S1B_T6_T7_T9_mT8_S1D_bDpT10_ENKUlT_T0_E_clISt17integral_constantIbLb1EES1P_IbLb0EEEEDaS1L_S1M_EUlS1L_E_NS1_11comp_targetILNS1_3genE0ELNS1_11target_archE4294967295ELNS1_3gpuE0ELNS1_3repE0EEENS1_30default_config_static_selectorELNS0_4arch9wavefront6targetE0EEEvSZ_.kd
    .uniform_work_group_size: 1
    .uses_dynamic_stack: false
    .vgpr_count:     0
    .vgpr_spill_count: 0
    .wavefront_size: 32
  - .args:
      - .offset:         0
        .size:           144
        .value_kind:     by_value
    .group_segment_fixed_size: 0
    .kernarg_segment_align: 8
    .kernarg_segment_size: 144
    .language:       OpenCL C
    .language_version:
      - 2
      - 0
    .max_flat_workgroup_size: 256
    .name:           _ZN7rocprim17ROCPRIM_400000_NS6detail17trampoline_kernelINS0_13select_configILj256ELj13ELNS0_17block_load_methodE3ELS4_3ELS4_3ELNS0_20block_scan_algorithmE0ELj4294967295EEENS1_25partition_config_selectorILNS1_17partition_subalgoE3EjNS0_10empty_typeEbEEZZNS1_14partition_implILS8_3ELb0ES6_jNS0_17counting_iteratorIjlEEPS9_SE_NS0_5tupleIJPjSE_EEENSF_IJSE_SE_EEES9_SG_JZNS1_25segmented_radix_sort_implINS0_14default_configELb0EPK12hip_bfloat16PSL_PKlPlN2at6native12_GLOBAL__N_18offset_tEEE10hipError_tPvRmT1_PNSt15iterator_traitsISZ_E10value_typeET2_T3_PNS10_IS15_E10value_typeET4_jRbjT5_S1B_jjP12ihipStream_tbEUljE_EEESW_SX_SY_S15_S19_S1B_T6_T7_T9_mT8_S1D_bDpT10_ENKUlT_T0_E_clISt17integral_constantIbLb1EES1P_IbLb0EEEEDaS1L_S1M_EUlS1L_E_NS1_11comp_targetILNS1_3genE5ELNS1_11target_archE942ELNS1_3gpuE9ELNS1_3repE0EEENS1_30default_config_static_selectorELNS0_4arch9wavefront6targetE0EEEvSZ_
    .private_segment_fixed_size: 0
    .sgpr_count:     0
    .sgpr_spill_count: 0
    .symbol:         _ZN7rocprim17ROCPRIM_400000_NS6detail17trampoline_kernelINS0_13select_configILj256ELj13ELNS0_17block_load_methodE3ELS4_3ELS4_3ELNS0_20block_scan_algorithmE0ELj4294967295EEENS1_25partition_config_selectorILNS1_17partition_subalgoE3EjNS0_10empty_typeEbEEZZNS1_14partition_implILS8_3ELb0ES6_jNS0_17counting_iteratorIjlEEPS9_SE_NS0_5tupleIJPjSE_EEENSF_IJSE_SE_EEES9_SG_JZNS1_25segmented_radix_sort_implINS0_14default_configELb0EPK12hip_bfloat16PSL_PKlPlN2at6native12_GLOBAL__N_18offset_tEEE10hipError_tPvRmT1_PNSt15iterator_traitsISZ_E10value_typeET2_T3_PNS10_IS15_E10value_typeET4_jRbjT5_S1B_jjP12ihipStream_tbEUljE_EEESW_SX_SY_S15_S19_S1B_T6_T7_T9_mT8_S1D_bDpT10_ENKUlT_T0_E_clISt17integral_constantIbLb1EES1P_IbLb0EEEEDaS1L_S1M_EUlS1L_E_NS1_11comp_targetILNS1_3genE5ELNS1_11target_archE942ELNS1_3gpuE9ELNS1_3repE0EEENS1_30default_config_static_selectorELNS0_4arch9wavefront6targetE0EEEvSZ_.kd
    .uniform_work_group_size: 1
    .uses_dynamic_stack: false
    .vgpr_count:     0
    .vgpr_spill_count: 0
    .wavefront_size: 32
  - .args:
      - .offset:         0
        .size:           144
        .value_kind:     by_value
    .group_segment_fixed_size: 0
    .kernarg_segment_align: 8
    .kernarg_segment_size: 144
    .language:       OpenCL C
    .language_version:
      - 2
      - 0
    .max_flat_workgroup_size: 256
    .name:           _ZN7rocprim17ROCPRIM_400000_NS6detail17trampoline_kernelINS0_13select_configILj256ELj13ELNS0_17block_load_methodE3ELS4_3ELS4_3ELNS0_20block_scan_algorithmE0ELj4294967295EEENS1_25partition_config_selectorILNS1_17partition_subalgoE3EjNS0_10empty_typeEbEEZZNS1_14partition_implILS8_3ELb0ES6_jNS0_17counting_iteratorIjlEEPS9_SE_NS0_5tupleIJPjSE_EEENSF_IJSE_SE_EEES9_SG_JZNS1_25segmented_radix_sort_implINS0_14default_configELb0EPK12hip_bfloat16PSL_PKlPlN2at6native12_GLOBAL__N_18offset_tEEE10hipError_tPvRmT1_PNSt15iterator_traitsISZ_E10value_typeET2_T3_PNS10_IS15_E10value_typeET4_jRbjT5_S1B_jjP12ihipStream_tbEUljE_EEESW_SX_SY_S15_S19_S1B_T6_T7_T9_mT8_S1D_bDpT10_ENKUlT_T0_E_clISt17integral_constantIbLb1EES1P_IbLb0EEEEDaS1L_S1M_EUlS1L_E_NS1_11comp_targetILNS1_3genE4ELNS1_11target_archE910ELNS1_3gpuE8ELNS1_3repE0EEENS1_30default_config_static_selectorELNS0_4arch9wavefront6targetE0EEEvSZ_
    .private_segment_fixed_size: 0
    .sgpr_count:     0
    .sgpr_spill_count: 0
    .symbol:         _ZN7rocprim17ROCPRIM_400000_NS6detail17trampoline_kernelINS0_13select_configILj256ELj13ELNS0_17block_load_methodE3ELS4_3ELS4_3ELNS0_20block_scan_algorithmE0ELj4294967295EEENS1_25partition_config_selectorILNS1_17partition_subalgoE3EjNS0_10empty_typeEbEEZZNS1_14partition_implILS8_3ELb0ES6_jNS0_17counting_iteratorIjlEEPS9_SE_NS0_5tupleIJPjSE_EEENSF_IJSE_SE_EEES9_SG_JZNS1_25segmented_radix_sort_implINS0_14default_configELb0EPK12hip_bfloat16PSL_PKlPlN2at6native12_GLOBAL__N_18offset_tEEE10hipError_tPvRmT1_PNSt15iterator_traitsISZ_E10value_typeET2_T3_PNS10_IS15_E10value_typeET4_jRbjT5_S1B_jjP12ihipStream_tbEUljE_EEESW_SX_SY_S15_S19_S1B_T6_T7_T9_mT8_S1D_bDpT10_ENKUlT_T0_E_clISt17integral_constantIbLb1EES1P_IbLb0EEEEDaS1L_S1M_EUlS1L_E_NS1_11comp_targetILNS1_3genE4ELNS1_11target_archE910ELNS1_3gpuE8ELNS1_3repE0EEENS1_30default_config_static_selectorELNS0_4arch9wavefront6targetE0EEEvSZ_.kd
    .uniform_work_group_size: 1
    .uses_dynamic_stack: false
    .vgpr_count:     0
    .vgpr_spill_count: 0
    .wavefront_size: 32
  - .args:
      - .offset:         0
        .size:           144
        .value_kind:     by_value
    .group_segment_fixed_size: 0
    .kernarg_segment_align: 8
    .kernarg_segment_size: 144
    .language:       OpenCL C
    .language_version:
      - 2
      - 0
    .max_flat_workgroup_size: 256
    .name:           _ZN7rocprim17ROCPRIM_400000_NS6detail17trampoline_kernelINS0_13select_configILj256ELj13ELNS0_17block_load_methodE3ELS4_3ELS4_3ELNS0_20block_scan_algorithmE0ELj4294967295EEENS1_25partition_config_selectorILNS1_17partition_subalgoE3EjNS0_10empty_typeEbEEZZNS1_14partition_implILS8_3ELb0ES6_jNS0_17counting_iteratorIjlEEPS9_SE_NS0_5tupleIJPjSE_EEENSF_IJSE_SE_EEES9_SG_JZNS1_25segmented_radix_sort_implINS0_14default_configELb0EPK12hip_bfloat16PSL_PKlPlN2at6native12_GLOBAL__N_18offset_tEEE10hipError_tPvRmT1_PNSt15iterator_traitsISZ_E10value_typeET2_T3_PNS10_IS15_E10value_typeET4_jRbjT5_S1B_jjP12ihipStream_tbEUljE_EEESW_SX_SY_S15_S19_S1B_T6_T7_T9_mT8_S1D_bDpT10_ENKUlT_T0_E_clISt17integral_constantIbLb1EES1P_IbLb0EEEEDaS1L_S1M_EUlS1L_E_NS1_11comp_targetILNS1_3genE3ELNS1_11target_archE908ELNS1_3gpuE7ELNS1_3repE0EEENS1_30default_config_static_selectorELNS0_4arch9wavefront6targetE0EEEvSZ_
    .private_segment_fixed_size: 0
    .sgpr_count:     0
    .sgpr_spill_count: 0
    .symbol:         _ZN7rocprim17ROCPRIM_400000_NS6detail17trampoline_kernelINS0_13select_configILj256ELj13ELNS0_17block_load_methodE3ELS4_3ELS4_3ELNS0_20block_scan_algorithmE0ELj4294967295EEENS1_25partition_config_selectorILNS1_17partition_subalgoE3EjNS0_10empty_typeEbEEZZNS1_14partition_implILS8_3ELb0ES6_jNS0_17counting_iteratorIjlEEPS9_SE_NS0_5tupleIJPjSE_EEENSF_IJSE_SE_EEES9_SG_JZNS1_25segmented_radix_sort_implINS0_14default_configELb0EPK12hip_bfloat16PSL_PKlPlN2at6native12_GLOBAL__N_18offset_tEEE10hipError_tPvRmT1_PNSt15iterator_traitsISZ_E10value_typeET2_T3_PNS10_IS15_E10value_typeET4_jRbjT5_S1B_jjP12ihipStream_tbEUljE_EEESW_SX_SY_S15_S19_S1B_T6_T7_T9_mT8_S1D_bDpT10_ENKUlT_T0_E_clISt17integral_constantIbLb1EES1P_IbLb0EEEEDaS1L_S1M_EUlS1L_E_NS1_11comp_targetILNS1_3genE3ELNS1_11target_archE908ELNS1_3gpuE7ELNS1_3repE0EEENS1_30default_config_static_selectorELNS0_4arch9wavefront6targetE0EEEvSZ_.kd
    .uniform_work_group_size: 1
    .uses_dynamic_stack: false
    .vgpr_count:     0
    .vgpr_spill_count: 0
    .wavefront_size: 32
  - .args:
      - .offset:         0
        .size:           144
        .value_kind:     by_value
    .group_segment_fixed_size: 0
    .kernarg_segment_align: 8
    .kernarg_segment_size: 144
    .language:       OpenCL C
    .language_version:
      - 2
      - 0
    .max_flat_workgroup_size: 256
    .name:           _ZN7rocprim17ROCPRIM_400000_NS6detail17trampoline_kernelINS0_13select_configILj256ELj13ELNS0_17block_load_methodE3ELS4_3ELS4_3ELNS0_20block_scan_algorithmE0ELj4294967295EEENS1_25partition_config_selectorILNS1_17partition_subalgoE3EjNS0_10empty_typeEbEEZZNS1_14partition_implILS8_3ELb0ES6_jNS0_17counting_iteratorIjlEEPS9_SE_NS0_5tupleIJPjSE_EEENSF_IJSE_SE_EEES9_SG_JZNS1_25segmented_radix_sort_implINS0_14default_configELb0EPK12hip_bfloat16PSL_PKlPlN2at6native12_GLOBAL__N_18offset_tEEE10hipError_tPvRmT1_PNSt15iterator_traitsISZ_E10value_typeET2_T3_PNS10_IS15_E10value_typeET4_jRbjT5_S1B_jjP12ihipStream_tbEUljE_EEESW_SX_SY_S15_S19_S1B_T6_T7_T9_mT8_S1D_bDpT10_ENKUlT_T0_E_clISt17integral_constantIbLb1EES1P_IbLb0EEEEDaS1L_S1M_EUlS1L_E_NS1_11comp_targetILNS1_3genE2ELNS1_11target_archE906ELNS1_3gpuE6ELNS1_3repE0EEENS1_30default_config_static_selectorELNS0_4arch9wavefront6targetE0EEEvSZ_
    .private_segment_fixed_size: 0
    .sgpr_count:     0
    .sgpr_spill_count: 0
    .symbol:         _ZN7rocprim17ROCPRIM_400000_NS6detail17trampoline_kernelINS0_13select_configILj256ELj13ELNS0_17block_load_methodE3ELS4_3ELS4_3ELNS0_20block_scan_algorithmE0ELj4294967295EEENS1_25partition_config_selectorILNS1_17partition_subalgoE3EjNS0_10empty_typeEbEEZZNS1_14partition_implILS8_3ELb0ES6_jNS0_17counting_iteratorIjlEEPS9_SE_NS0_5tupleIJPjSE_EEENSF_IJSE_SE_EEES9_SG_JZNS1_25segmented_radix_sort_implINS0_14default_configELb0EPK12hip_bfloat16PSL_PKlPlN2at6native12_GLOBAL__N_18offset_tEEE10hipError_tPvRmT1_PNSt15iterator_traitsISZ_E10value_typeET2_T3_PNS10_IS15_E10value_typeET4_jRbjT5_S1B_jjP12ihipStream_tbEUljE_EEESW_SX_SY_S15_S19_S1B_T6_T7_T9_mT8_S1D_bDpT10_ENKUlT_T0_E_clISt17integral_constantIbLb1EES1P_IbLb0EEEEDaS1L_S1M_EUlS1L_E_NS1_11comp_targetILNS1_3genE2ELNS1_11target_archE906ELNS1_3gpuE6ELNS1_3repE0EEENS1_30default_config_static_selectorELNS0_4arch9wavefront6targetE0EEEvSZ_.kd
    .uniform_work_group_size: 1
    .uses_dynamic_stack: false
    .vgpr_count:     0
    .vgpr_spill_count: 0
    .wavefront_size: 32
  - .args:
      - .offset:         0
        .size:           144
        .value_kind:     by_value
    .group_segment_fixed_size: 0
    .kernarg_segment_align: 8
    .kernarg_segment_size: 144
    .language:       OpenCL C
    .language_version:
      - 2
      - 0
    .max_flat_workgroup_size: 256
    .name:           _ZN7rocprim17ROCPRIM_400000_NS6detail17trampoline_kernelINS0_13select_configILj256ELj13ELNS0_17block_load_methodE3ELS4_3ELS4_3ELNS0_20block_scan_algorithmE0ELj4294967295EEENS1_25partition_config_selectorILNS1_17partition_subalgoE3EjNS0_10empty_typeEbEEZZNS1_14partition_implILS8_3ELb0ES6_jNS0_17counting_iteratorIjlEEPS9_SE_NS0_5tupleIJPjSE_EEENSF_IJSE_SE_EEES9_SG_JZNS1_25segmented_radix_sort_implINS0_14default_configELb0EPK12hip_bfloat16PSL_PKlPlN2at6native12_GLOBAL__N_18offset_tEEE10hipError_tPvRmT1_PNSt15iterator_traitsISZ_E10value_typeET2_T3_PNS10_IS15_E10value_typeET4_jRbjT5_S1B_jjP12ihipStream_tbEUljE_EEESW_SX_SY_S15_S19_S1B_T6_T7_T9_mT8_S1D_bDpT10_ENKUlT_T0_E_clISt17integral_constantIbLb1EES1P_IbLb0EEEEDaS1L_S1M_EUlS1L_E_NS1_11comp_targetILNS1_3genE10ELNS1_11target_archE1200ELNS1_3gpuE4ELNS1_3repE0EEENS1_30default_config_static_selectorELNS0_4arch9wavefront6targetE0EEEvSZ_
    .private_segment_fixed_size: 0
    .sgpr_count:     0
    .sgpr_spill_count: 0
    .symbol:         _ZN7rocprim17ROCPRIM_400000_NS6detail17trampoline_kernelINS0_13select_configILj256ELj13ELNS0_17block_load_methodE3ELS4_3ELS4_3ELNS0_20block_scan_algorithmE0ELj4294967295EEENS1_25partition_config_selectorILNS1_17partition_subalgoE3EjNS0_10empty_typeEbEEZZNS1_14partition_implILS8_3ELb0ES6_jNS0_17counting_iteratorIjlEEPS9_SE_NS0_5tupleIJPjSE_EEENSF_IJSE_SE_EEES9_SG_JZNS1_25segmented_radix_sort_implINS0_14default_configELb0EPK12hip_bfloat16PSL_PKlPlN2at6native12_GLOBAL__N_18offset_tEEE10hipError_tPvRmT1_PNSt15iterator_traitsISZ_E10value_typeET2_T3_PNS10_IS15_E10value_typeET4_jRbjT5_S1B_jjP12ihipStream_tbEUljE_EEESW_SX_SY_S15_S19_S1B_T6_T7_T9_mT8_S1D_bDpT10_ENKUlT_T0_E_clISt17integral_constantIbLb1EES1P_IbLb0EEEEDaS1L_S1M_EUlS1L_E_NS1_11comp_targetILNS1_3genE10ELNS1_11target_archE1200ELNS1_3gpuE4ELNS1_3repE0EEENS1_30default_config_static_selectorELNS0_4arch9wavefront6targetE0EEEvSZ_.kd
    .uniform_work_group_size: 1
    .uses_dynamic_stack: false
    .vgpr_count:     0
    .vgpr_spill_count: 0
    .wavefront_size: 32
  - .args:
      - .offset:         0
        .size:           144
        .value_kind:     by_value
    .group_segment_fixed_size: 0
    .kernarg_segment_align: 8
    .kernarg_segment_size: 144
    .language:       OpenCL C
    .language_version:
      - 2
      - 0
    .max_flat_workgroup_size: 256
    .name:           _ZN7rocprim17ROCPRIM_400000_NS6detail17trampoline_kernelINS0_13select_configILj256ELj13ELNS0_17block_load_methodE3ELS4_3ELS4_3ELNS0_20block_scan_algorithmE0ELj4294967295EEENS1_25partition_config_selectorILNS1_17partition_subalgoE3EjNS0_10empty_typeEbEEZZNS1_14partition_implILS8_3ELb0ES6_jNS0_17counting_iteratorIjlEEPS9_SE_NS0_5tupleIJPjSE_EEENSF_IJSE_SE_EEES9_SG_JZNS1_25segmented_radix_sort_implINS0_14default_configELb0EPK12hip_bfloat16PSL_PKlPlN2at6native12_GLOBAL__N_18offset_tEEE10hipError_tPvRmT1_PNSt15iterator_traitsISZ_E10value_typeET2_T3_PNS10_IS15_E10value_typeET4_jRbjT5_S1B_jjP12ihipStream_tbEUljE_EEESW_SX_SY_S15_S19_S1B_T6_T7_T9_mT8_S1D_bDpT10_ENKUlT_T0_E_clISt17integral_constantIbLb1EES1P_IbLb0EEEEDaS1L_S1M_EUlS1L_E_NS1_11comp_targetILNS1_3genE9ELNS1_11target_archE1100ELNS1_3gpuE3ELNS1_3repE0EEENS1_30default_config_static_selectorELNS0_4arch9wavefront6targetE0EEEvSZ_
    .private_segment_fixed_size: 0
    .sgpr_count:     0
    .sgpr_spill_count: 0
    .symbol:         _ZN7rocprim17ROCPRIM_400000_NS6detail17trampoline_kernelINS0_13select_configILj256ELj13ELNS0_17block_load_methodE3ELS4_3ELS4_3ELNS0_20block_scan_algorithmE0ELj4294967295EEENS1_25partition_config_selectorILNS1_17partition_subalgoE3EjNS0_10empty_typeEbEEZZNS1_14partition_implILS8_3ELb0ES6_jNS0_17counting_iteratorIjlEEPS9_SE_NS0_5tupleIJPjSE_EEENSF_IJSE_SE_EEES9_SG_JZNS1_25segmented_radix_sort_implINS0_14default_configELb0EPK12hip_bfloat16PSL_PKlPlN2at6native12_GLOBAL__N_18offset_tEEE10hipError_tPvRmT1_PNSt15iterator_traitsISZ_E10value_typeET2_T3_PNS10_IS15_E10value_typeET4_jRbjT5_S1B_jjP12ihipStream_tbEUljE_EEESW_SX_SY_S15_S19_S1B_T6_T7_T9_mT8_S1D_bDpT10_ENKUlT_T0_E_clISt17integral_constantIbLb1EES1P_IbLb0EEEEDaS1L_S1M_EUlS1L_E_NS1_11comp_targetILNS1_3genE9ELNS1_11target_archE1100ELNS1_3gpuE3ELNS1_3repE0EEENS1_30default_config_static_selectorELNS0_4arch9wavefront6targetE0EEEvSZ_.kd
    .uniform_work_group_size: 1
    .uses_dynamic_stack: false
    .vgpr_count:     0
    .vgpr_spill_count: 0
    .wavefront_size: 32
  - .args:
      - .offset:         0
        .size:           144
        .value_kind:     by_value
    .group_segment_fixed_size: 0
    .kernarg_segment_align: 8
    .kernarg_segment_size: 144
    .language:       OpenCL C
    .language_version:
      - 2
      - 0
    .max_flat_workgroup_size: 256
    .name:           _ZN7rocprim17ROCPRIM_400000_NS6detail17trampoline_kernelINS0_13select_configILj256ELj13ELNS0_17block_load_methodE3ELS4_3ELS4_3ELNS0_20block_scan_algorithmE0ELj4294967295EEENS1_25partition_config_selectorILNS1_17partition_subalgoE3EjNS0_10empty_typeEbEEZZNS1_14partition_implILS8_3ELb0ES6_jNS0_17counting_iteratorIjlEEPS9_SE_NS0_5tupleIJPjSE_EEENSF_IJSE_SE_EEES9_SG_JZNS1_25segmented_radix_sort_implINS0_14default_configELb0EPK12hip_bfloat16PSL_PKlPlN2at6native12_GLOBAL__N_18offset_tEEE10hipError_tPvRmT1_PNSt15iterator_traitsISZ_E10value_typeET2_T3_PNS10_IS15_E10value_typeET4_jRbjT5_S1B_jjP12ihipStream_tbEUljE_EEESW_SX_SY_S15_S19_S1B_T6_T7_T9_mT8_S1D_bDpT10_ENKUlT_T0_E_clISt17integral_constantIbLb1EES1P_IbLb0EEEEDaS1L_S1M_EUlS1L_E_NS1_11comp_targetILNS1_3genE8ELNS1_11target_archE1030ELNS1_3gpuE2ELNS1_3repE0EEENS1_30default_config_static_selectorELNS0_4arch9wavefront6targetE0EEEvSZ_
    .private_segment_fixed_size: 0
    .sgpr_count:     0
    .sgpr_spill_count: 0
    .symbol:         _ZN7rocprim17ROCPRIM_400000_NS6detail17trampoline_kernelINS0_13select_configILj256ELj13ELNS0_17block_load_methodE3ELS4_3ELS4_3ELNS0_20block_scan_algorithmE0ELj4294967295EEENS1_25partition_config_selectorILNS1_17partition_subalgoE3EjNS0_10empty_typeEbEEZZNS1_14partition_implILS8_3ELb0ES6_jNS0_17counting_iteratorIjlEEPS9_SE_NS0_5tupleIJPjSE_EEENSF_IJSE_SE_EEES9_SG_JZNS1_25segmented_radix_sort_implINS0_14default_configELb0EPK12hip_bfloat16PSL_PKlPlN2at6native12_GLOBAL__N_18offset_tEEE10hipError_tPvRmT1_PNSt15iterator_traitsISZ_E10value_typeET2_T3_PNS10_IS15_E10value_typeET4_jRbjT5_S1B_jjP12ihipStream_tbEUljE_EEESW_SX_SY_S15_S19_S1B_T6_T7_T9_mT8_S1D_bDpT10_ENKUlT_T0_E_clISt17integral_constantIbLb1EES1P_IbLb0EEEEDaS1L_S1M_EUlS1L_E_NS1_11comp_targetILNS1_3genE8ELNS1_11target_archE1030ELNS1_3gpuE2ELNS1_3repE0EEENS1_30default_config_static_selectorELNS0_4arch9wavefront6targetE0EEEvSZ_.kd
    .uniform_work_group_size: 1
    .uses_dynamic_stack: false
    .vgpr_count:     0
    .vgpr_spill_count: 0
    .wavefront_size: 32
  - .args:
      - .offset:         0
        .size:           152
        .value_kind:     by_value
    .group_segment_fixed_size: 13320
    .kernarg_segment_align: 8
    .kernarg_segment_size: 152
    .language:       OpenCL C
    .language_version:
      - 2
      - 0
    .max_flat_workgroup_size: 256
    .name:           _ZN7rocprim17ROCPRIM_400000_NS6detail17trampoline_kernelINS0_13select_configILj256ELj13ELNS0_17block_load_methodE3ELS4_3ELS4_3ELNS0_20block_scan_algorithmE0ELj4294967295EEENS1_25partition_config_selectorILNS1_17partition_subalgoE3EjNS0_10empty_typeEbEEZZNS1_14partition_implILS8_3ELb0ES6_jNS0_17counting_iteratorIjlEEPS9_SE_NS0_5tupleIJPjSE_EEENSF_IJSE_SE_EEES9_SG_JZNS1_25segmented_radix_sort_implINS0_14default_configELb0EPK12hip_bfloat16PSL_PKlPlN2at6native12_GLOBAL__N_18offset_tEEE10hipError_tPvRmT1_PNSt15iterator_traitsISZ_E10value_typeET2_T3_PNS10_IS15_E10value_typeET4_jRbjT5_S1B_jjP12ihipStream_tbEUljE_EEESW_SX_SY_S15_S19_S1B_T6_T7_T9_mT8_S1D_bDpT10_ENKUlT_T0_E_clISt17integral_constantIbLb0EES1P_IbLb1EEEEDaS1L_S1M_EUlS1L_E_NS1_11comp_targetILNS1_3genE0ELNS1_11target_archE4294967295ELNS1_3gpuE0ELNS1_3repE0EEENS1_30default_config_static_selectorELNS0_4arch9wavefront6targetE0EEEvSZ_
    .private_segment_fixed_size: 0
    .sgpr_count:     26
    .sgpr_spill_count: 0
    .symbol:         _ZN7rocprim17ROCPRIM_400000_NS6detail17trampoline_kernelINS0_13select_configILj256ELj13ELNS0_17block_load_methodE3ELS4_3ELS4_3ELNS0_20block_scan_algorithmE0ELj4294967295EEENS1_25partition_config_selectorILNS1_17partition_subalgoE3EjNS0_10empty_typeEbEEZZNS1_14partition_implILS8_3ELb0ES6_jNS0_17counting_iteratorIjlEEPS9_SE_NS0_5tupleIJPjSE_EEENSF_IJSE_SE_EEES9_SG_JZNS1_25segmented_radix_sort_implINS0_14default_configELb0EPK12hip_bfloat16PSL_PKlPlN2at6native12_GLOBAL__N_18offset_tEEE10hipError_tPvRmT1_PNSt15iterator_traitsISZ_E10value_typeET2_T3_PNS10_IS15_E10value_typeET4_jRbjT5_S1B_jjP12ihipStream_tbEUljE_EEESW_SX_SY_S15_S19_S1B_T6_T7_T9_mT8_S1D_bDpT10_ENKUlT_T0_E_clISt17integral_constantIbLb0EES1P_IbLb1EEEEDaS1L_S1M_EUlS1L_E_NS1_11comp_targetILNS1_3genE0ELNS1_11target_archE4294967295ELNS1_3gpuE0ELNS1_3repE0EEENS1_30default_config_static_selectorELNS0_4arch9wavefront6targetE0EEEvSZ_.kd
    .uniform_work_group_size: 1
    .uses_dynamic_stack: false
    .vgpr_count:     72
    .vgpr_spill_count: 0
    .wavefront_size: 32
  - .args:
      - .offset:         0
        .size:           152
        .value_kind:     by_value
    .group_segment_fixed_size: 0
    .kernarg_segment_align: 8
    .kernarg_segment_size: 152
    .language:       OpenCL C
    .language_version:
      - 2
      - 0
    .max_flat_workgroup_size: 256
    .name:           _ZN7rocprim17ROCPRIM_400000_NS6detail17trampoline_kernelINS0_13select_configILj256ELj13ELNS0_17block_load_methodE3ELS4_3ELS4_3ELNS0_20block_scan_algorithmE0ELj4294967295EEENS1_25partition_config_selectorILNS1_17partition_subalgoE3EjNS0_10empty_typeEbEEZZNS1_14partition_implILS8_3ELb0ES6_jNS0_17counting_iteratorIjlEEPS9_SE_NS0_5tupleIJPjSE_EEENSF_IJSE_SE_EEES9_SG_JZNS1_25segmented_radix_sort_implINS0_14default_configELb0EPK12hip_bfloat16PSL_PKlPlN2at6native12_GLOBAL__N_18offset_tEEE10hipError_tPvRmT1_PNSt15iterator_traitsISZ_E10value_typeET2_T3_PNS10_IS15_E10value_typeET4_jRbjT5_S1B_jjP12ihipStream_tbEUljE_EEESW_SX_SY_S15_S19_S1B_T6_T7_T9_mT8_S1D_bDpT10_ENKUlT_T0_E_clISt17integral_constantIbLb0EES1P_IbLb1EEEEDaS1L_S1M_EUlS1L_E_NS1_11comp_targetILNS1_3genE5ELNS1_11target_archE942ELNS1_3gpuE9ELNS1_3repE0EEENS1_30default_config_static_selectorELNS0_4arch9wavefront6targetE0EEEvSZ_
    .private_segment_fixed_size: 0
    .sgpr_count:     0
    .sgpr_spill_count: 0
    .symbol:         _ZN7rocprim17ROCPRIM_400000_NS6detail17trampoline_kernelINS0_13select_configILj256ELj13ELNS0_17block_load_methodE3ELS4_3ELS4_3ELNS0_20block_scan_algorithmE0ELj4294967295EEENS1_25partition_config_selectorILNS1_17partition_subalgoE3EjNS0_10empty_typeEbEEZZNS1_14partition_implILS8_3ELb0ES6_jNS0_17counting_iteratorIjlEEPS9_SE_NS0_5tupleIJPjSE_EEENSF_IJSE_SE_EEES9_SG_JZNS1_25segmented_radix_sort_implINS0_14default_configELb0EPK12hip_bfloat16PSL_PKlPlN2at6native12_GLOBAL__N_18offset_tEEE10hipError_tPvRmT1_PNSt15iterator_traitsISZ_E10value_typeET2_T3_PNS10_IS15_E10value_typeET4_jRbjT5_S1B_jjP12ihipStream_tbEUljE_EEESW_SX_SY_S15_S19_S1B_T6_T7_T9_mT8_S1D_bDpT10_ENKUlT_T0_E_clISt17integral_constantIbLb0EES1P_IbLb1EEEEDaS1L_S1M_EUlS1L_E_NS1_11comp_targetILNS1_3genE5ELNS1_11target_archE942ELNS1_3gpuE9ELNS1_3repE0EEENS1_30default_config_static_selectorELNS0_4arch9wavefront6targetE0EEEvSZ_.kd
    .uniform_work_group_size: 1
    .uses_dynamic_stack: false
    .vgpr_count:     0
    .vgpr_spill_count: 0
    .wavefront_size: 32
  - .args:
      - .offset:         0
        .size:           152
        .value_kind:     by_value
    .group_segment_fixed_size: 0
    .kernarg_segment_align: 8
    .kernarg_segment_size: 152
    .language:       OpenCL C
    .language_version:
      - 2
      - 0
    .max_flat_workgroup_size: 256
    .name:           _ZN7rocprim17ROCPRIM_400000_NS6detail17trampoline_kernelINS0_13select_configILj256ELj13ELNS0_17block_load_methodE3ELS4_3ELS4_3ELNS0_20block_scan_algorithmE0ELj4294967295EEENS1_25partition_config_selectorILNS1_17partition_subalgoE3EjNS0_10empty_typeEbEEZZNS1_14partition_implILS8_3ELb0ES6_jNS0_17counting_iteratorIjlEEPS9_SE_NS0_5tupleIJPjSE_EEENSF_IJSE_SE_EEES9_SG_JZNS1_25segmented_radix_sort_implINS0_14default_configELb0EPK12hip_bfloat16PSL_PKlPlN2at6native12_GLOBAL__N_18offset_tEEE10hipError_tPvRmT1_PNSt15iterator_traitsISZ_E10value_typeET2_T3_PNS10_IS15_E10value_typeET4_jRbjT5_S1B_jjP12ihipStream_tbEUljE_EEESW_SX_SY_S15_S19_S1B_T6_T7_T9_mT8_S1D_bDpT10_ENKUlT_T0_E_clISt17integral_constantIbLb0EES1P_IbLb1EEEEDaS1L_S1M_EUlS1L_E_NS1_11comp_targetILNS1_3genE4ELNS1_11target_archE910ELNS1_3gpuE8ELNS1_3repE0EEENS1_30default_config_static_selectorELNS0_4arch9wavefront6targetE0EEEvSZ_
    .private_segment_fixed_size: 0
    .sgpr_count:     0
    .sgpr_spill_count: 0
    .symbol:         _ZN7rocprim17ROCPRIM_400000_NS6detail17trampoline_kernelINS0_13select_configILj256ELj13ELNS0_17block_load_methodE3ELS4_3ELS4_3ELNS0_20block_scan_algorithmE0ELj4294967295EEENS1_25partition_config_selectorILNS1_17partition_subalgoE3EjNS0_10empty_typeEbEEZZNS1_14partition_implILS8_3ELb0ES6_jNS0_17counting_iteratorIjlEEPS9_SE_NS0_5tupleIJPjSE_EEENSF_IJSE_SE_EEES9_SG_JZNS1_25segmented_radix_sort_implINS0_14default_configELb0EPK12hip_bfloat16PSL_PKlPlN2at6native12_GLOBAL__N_18offset_tEEE10hipError_tPvRmT1_PNSt15iterator_traitsISZ_E10value_typeET2_T3_PNS10_IS15_E10value_typeET4_jRbjT5_S1B_jjP12ihipStream_tbEUljE_EEESW_SX_SY_S15_S19_S1B_T6_T7_T9_mT8_S1D_bDpT10_ENKUlT_T0_E_clISt17integral_constantIbLb0EES1P_IbLb1EEEEDaS1L_S1M_EUlS1L_E_NS1_11comp_targetILNS1_3genE4ELNS1_11target_archE910ELNS1_3gpuE8ELNS1_3repE0EEENS1_30default_config_static_selectorELNS0_4arch9wavefront6targetE0EEEvSZ_.kd
    .uniform_work_group_size: 1
    .uses_dynamic_stack: false
    .vgpr_count:     0
    .vgpr_spill_count: 0
    .wavefront_size: 32
  - .args:
      - .offset:         0
        .size:           152
        .value_kind:     by_value
    .group_segment_fixed_size: 0
    .kernarg_segment_align: 8
    .kernarg_segment_size: 152
    .language:       OpenCL C
    .language_version:
      - 2
      - 0
    .max_flat_workgroup_size: 256
    .name:           _ZN7rocprim17ROCPRIM_400000_NS6detail17trampoline_kernelINS0_13select_configILj256ELj13ELNS0_17block_load_methodE3ELS4_3ELS4_3ELNS0_20block_scan_algorithmE0ELj4294967295EEENS1_25partition_config_selectorILNS1_17partition_subalgoE3EjNS0_10empty_typeEbEEZZNS1_14partition_implILS8_3ELb0ES6_jNS0_17counting_iteratorIjlEEPS9_SE_NS0_5tupleIJPjSE_EEENSF_IJSE_SE_EEES9_SG_JZNS1_25segmented_radix_sort_implINS0_14default_configELb0EPK12hip_bfloat16PSL_PKlPlN2at6native12_GLOBAL__N_18offset_tEEE10hipError_tPvRmT1_PNSt15iterator_traitsISZ_E10value_typeET2_T3_PNS10_IS15_E10value_typeET4_jRbjT5_S1B_jjP12ihipStream_tbEUljE_EEESW_SX_SY_S15_S19_S1B_T6_T7_T9_mT8_S1D_bDpT10_ENKUlT_T0_E_clISt17integral_constantIbLb0EES1P_IbLb1EEEEDaS1L_S1M_EUlS1L_E_NS1_11comp_targetILNS1_3genE3ELNS1_11target_archE908ELNS1_3gpuE7ELNS1_3repE0EEENS1_30default_config_static_selectorELNS0_4arch9wavefront6targetE0EEEvSZ_
    .private_segment_fixed_size: 0
    .sgpr_count:     0
    .sgpr_spill_count: 0
    .symbol:         _ZN7rocprim17ROCPRIM_400000_NS6detail17trampoline_kernelINS0_13select_configILj256ELj13ELNS0_17block_load_methodE3ELS4_3ELS4_3ELNS0_20block_scan_algorithmE0ELj4294967295EEENS1_25partition_config_selectorILNS1_17partition_subalgoE3EjNS0_10empty_typeEbEEZZNS1_14partition_implILS8_3ELb0ES6_jNS0_17counting_iteratorIjlEEPS9_SE_NS0_5tupleIJPjSE_EEENSF_IJSE_SE_EEES9_SG_JZNS1_25segmented_radix_sort_implINS0_14default_configELb0EPK12hip_bfloat16PSL_PKlPlN2at6native12_GLOBAL__N_18offset_tEEE10hipError_tPvRmT1_PNSt15iterator_traitsISZ_E10value_typeET2_T3_PNS10_IS15_E10value_typeET4_jRbjT5_S1B_jjP12ihipStream_tbEUljE_EEESW_SX_SY_S15_S19_S1B_T6_T7_T9_mT8_S1D_bDpT10_ENKUlT_T0_E_clISt17integral_constantIbLb0EES1P_IbLb1EEEEDaS1L_S1M_EUlS1L_E_NS1_11comp_targetILNS1_3genE3ELNS1_11target_archE908ELNS1_3gpuE7ELNS1_3repE0EEENS1_30default_config_static_selectorELNS0_4arch9wavefront6targetE0EEEvSZ_.kd
    .uniform_work_group_size: 1
    .uses_dynamic_stack: false
    .vgpr_count:     0
    .vgpr_spill_count: 0
    .wavefront_size: 32
  - .args:
      - .offset:         0
        .size:           152
        .value_kind:     by_value
    .group_segment_fixed_size: 0
    .kernarg_segment_align: 8
    .kernarg_segment_size: 152
    .language:       OpenCL C
    .language_version:
      - 2
      - 0
    .max_flat_workgroup_size: 256
    .name:           _ZN7rocprim17ROCPRIM_400000_NS6detail17trampoline_kernelINS0_13select_configILj256ELj13ELNS0_17block_load_methodE3ELS4_3ELS4_3ELNS0_20block_scan_algorithmE0ELj4294967295EEENS1_25partition_config_selectorILNS1_17partition_subalgoE3EjNS0_10empty_typeEbEEZZNS1_14partition_implILS8_3ELb0ES6_jNS0_17counting_iteratorIjlEEPS9_SE_NS0_5tupleIJPjSE_EEENSF_IJSE_SE_EEES9_SG_JZNS1_25segmented_radix_sort_implINS0_14default_configELb0EPK12hip_bfloat16PSL_PKlPlN2at6native12_GLOBAL__N_18offset_tEEE10hipError_tPvRmT1_PNSt15iterator_traitsISZ_E10value_typeET2_T3_PNS10_IS15_E10value_typeET4_jRbjT5_S1B_jjP12ihipStream_tbEUljE_EEESW_SX_SY_S15_S19_S1B_T6_T7_T9_mT8_S1D_bDpT10_ENKUlT_T0_E_clISt17integral_constantIbLb0EES1P_IbLb1EEEEDaS1L_S1M_EUlS1L_E_NS1_11comp_targetILNS1_3genE2ELNS1_11target_archE906ELNS1_3gpuE6ELNS1_3repE0EEENS1_30default_config_static_selectorELNS0_4arch9wavefront6targetE0EEEvSZ_
    .private_segment_fixed_size: 0
    .sgpr_count:     0
    .sgpr_spill_count: 0
    .symbol:         _ZN7rocprim17ROCPRIM_400000_NS6detail17trampoline_kernelINS0_13select_configILj256ELj13ELNS0_17block_load_methodE3ELS4_3ELS4_3ELNS0_20block_scan_algorithmE0ELj4294967295EEENS1_25partition_config_selectorILNS1_17partition_subalgoE3EjNS0_10empty_typeEbEEZZNS1_14partition_implILS8_3ELb0ES6_jNS0_17counting_iteratorIjlEEPS9_SE_NS0_5tupleIJPjSE_EEENSF_IJSE_SE_EEES9_SG_JZNS1_25segmented_radix_sort_implINS0_14default_configELb0EPK12hip_bfloat16PSL_PKlPlN2at6native12_GLOBAL__N_18offset_tEEE10hipError_tPvRmT1_PNSt15iterator_traitsISZ_E10value_typeET2_T3_PNS10_IS15_E10value_typeET4_jRbjT5_S1B_jjP12ihipStream_tbEUljE_EEESW_SX_SY_S15_S19_S1B_T6_T7_T9_mT8_S1D_bDpT10_ENKUlT_T0_E_clISt17integral_constantIbLb0EES1P_IbLb1EEEEDaS1L_S1M_EUlS1L_E_NS1_11comp_targetILNS1_3genE2ELNS1_11target_archE906ELNS1_3gpuE6ELNS1_3repE0EEENS1_30default_config_static_selectorELNS0_4arch9wavefront6targetE0EEEvSZ_.kd
    .uniform_work_group_size: 1
    .uses_dynamic_stack: false
    .vgpr_count:     0
    .vgpr_spill_count: 0
    .wavefront_size: 32
  - .args:
      - .offset:         0
        .size:           152
        .value_kind:     by_value
    .group_segment_fixed_size: 0
    .kernarg_segment_align: 8
    .kernarg_segment_size: 152
    .language:       OpenCL C
    .language_version:
      - 2
      - 0
    .max_flat_workgroup_size: 256
    .name:           _ZN7rocprim17ROCPRIM_400000_NS6detail17trampoline_kernelINS0_13select_configILj256ELj13ELNS0_17block_load_methodE3ELS4_3ELS4_3ELNS0_20block_scan_algorithmE0ELj4294967295EEENS1_25partition_config_selectorILNS1_17partition_subalgoE3EjNS0_10empty_typeEbEEZZNS1_14partition_implILS8_3ELb0ES6_jNS0_17counting_iteratorIjlEEPS9_SE_NS0_5tupleIJPjSE_EEENSF_IJSE_SE_EEES9_SG_JZNS1_25segmented_radix_sort_implINS0_14default_configELb0EPK12hip_bfloat16PSL_PKlPlN2at6native12_GLOBAL__N_18offset_tEEE10hipError_tPvRmT1_PNSt15iterator_traitsISZ_E10value_typeET2_T3_PNS10_IS15_E10value_typeET4_jRbjT5_S1B_jjP12ihipStream_tbEUljE_EEESW_SX_SY_S15_S19_S1B_T6_T7_T9_mT8_S1D_bDpT10_ENKUlT_T0_E_clISt17integral_constantIbLb0EES1P_IbLb1EEEEDaS1L_S1M_EUlS1L_E_NS1_11comp_targetILNS1_3genE10ELNS1_11target_archE1200ELNS1_3gpuE4ELNS1_3repE0EEENS1_30default_config_static_selectorELNS0_4arch9wavefront6targetE0EEEvSZ_
    .private_segment_fixed_size: 0
    .sgpr_count:     0
    .sgpr_spill_count: 0
    .symbol:         _ZN7rocprim17ROCPRIM_400000_NS6detail17trampoline_kernelINS0_13select_configILj256ELj13ELNS0_17block_load_methodE3ELS4_3ELS4_3ELNS0_20block_scan_algorithmE0ELj4294967295EEENS1_25partition_config_selectorILNS1_17partition_subalgoE3EjNS0_10empty_typeEbEEZZNS1_14partition_implILS8_3ELb0ES6_jNS0_17counting_iteratorIjlEEPS9_SE_NS0_5tupleIJPjSE_EEENSF_IJSE_SE_EEES9_SG_JZNS1_25segmented_radix_sort_implINS0_14default_configELb0EPK12hip_bfloat16PSL_PKlPlN2at6native12_GLOBAL__N_18offset_tEEE10hipError_tPvRmT1_PNSt15iterator_traitsISZ_E10value_typeET2_T3_PNS10_IS15_E10value_typeET4_jRbjT5_S1B_jjP12ihipStream_tbEUljE_EEESW_SX_SY_S15_S19_S1B_T6_T7_T9_mT8_S1D_bDpT10_ENKUlT_T0_E_clISt17integral_constantIbLb0EES1P_IbLb1EEEEDaS1L_S1M_EUlS1L_E_NS1_11comp_targetILNS1_3genE10ELNS1_11target_archE1200ELNS1_3gpuE4ELNS1_3repE0EEENS1_30default_config_static_selectorELNS0_4arch9wavefront6targetE0EEEvSZ_.kd
    .uniform_work_group_size: 1
    .uses_dynamic_stack: false
    .vgpr_count:     0
    .vgpr_spill_count: 0
    .wavefront_size: 32
  - .args:
      - .offset:         0
        .size:           152
        .value_kind:     by_value
    .group_segment_fixed_size: 0
    .kernarg_segment_align: 8
    .kernarg_segment_size: 152
    .language:       OpenCL C
    .language_version:
      - 2
      - 0
    .max_flat_workgroup_size: 256
    .name:           _ZN7rocprim17ROCPRIM_400000_NS6detail17trampoline_kernelINS0_13select_configILj256ELj13ELNS0_17block_load_methodE3ELS4_3ELS4_3ELNS0_20block_scan_algorithmE0ELj4294967295EEENS1_25partition_config_selectorILNS1_17partition_subalgoE3EjNS0_10empty_typeEbEEZZNS1_14partition_implILS8_3ELb0ES6_jNS0_17counting_iteratorIjlEEPS9_SE_NS0_5tupleIJPjSE_EEENSF_IJSE_SE_EEES9_SG_JZNS1_25segmented_radix_sort_implINS0_14default_configELb0EPK12hip_bfloat16PSL_PKlPlN2at6native12_GLOBAL__N_18offset_tEEE10hipError_tPvRmT1_PNSt15iterator_traitsISZ_E10value_typeET2_T3_PNS10_IS15_E10value_typeET4_jRbjT5_S1B_jjP12ihipStream_tbEUljE_EEESW_SX_SY_S15_S19_S1B_T6_T7_T9_mT8_S1D_bDpT10_ENKUlT_T0_E_clISt17integral_constantIbLb0EES1P_IbLb1EEEEDaS1L_S1M_EUlS1L_E_NS1_11comp_targetILNS1_3genE9ELNS1_11target_archE1100ELNS1_3gpuE3ELNS1_3repE0EEENS1_30default_config_static_selectorELNS0_4arch9wavefront6targetE0EEEvSZ_
    .private_segment_fixed_size: 0
    .sgpr_count:     0
    .sgpr_spill_count: 0
    .symbol:         _ZN7rocprim17ROCPRIM_400000_NS6detail17trampoline_kernelINS0_13select_configILj256ELj13ELNS0_17block_load_methodE3ELS4_3ELS4_3ELNS0_20block_scan_algorithmE0ELj4294967295EEENS1_25partition_config_selectorILNS1_17partition_subalgoE3EjNS0_10empty_typeEbEEZZNS1_14partition_implILS8_3ELb0ES6_jNS0_17counting_iteratorIjlEEPS9_SE_NS0_5tupleIJPjSE_EEENSF_IJSE_SE_EEES9_SG_JZNS1_25segmented_radix_sort_implINS0_14default_configELb0EPK12hip_bfloat16PSL_PKlPlN2at6native12_GLOBAL__N_18offset_tEEE10hipError_tPvRmT1_PNSt15iterator_traitsISZ_E10value_typeET2_T3_PNS10_IS15_E10value_typeET4_jRbjT5_S1B_jjP12ihipStream_tbEUljE_EEESW_SX_SY_S15_S19_S1B_T6_T7_T9_mT8_S1D_bDpT10_ENKUlT_T0_E_clISt17integral_constantIbLb0EES1P_IbLb1EEEEDaS1L_S1M_EUlS1L_E_NS1_11comp_targetILNS1_3genE9ELNS1_11target_archE1100ELNS1_3gpuE3ELNS1_3repE0EEENS1_30default_config_static_selectorELNS0_4arch9wavefront6targetE0EEEvSZ_.kd
    .uniform_work_group_size: 1
    .uses_dynamic_stack: false
    .vgpr_count:     0
    .vgpr_spill_count: 0
    .wavefront_size: 32
  - .args:
      - .offset:         0
        .size:           152
        .value_kind:     by_value
    .group_segment_fixed_size: 0
    .kernarg_segment_align: 8
    .kernarg_segment_size: 152
    .language:       OpenCL C
    .language_version:
      - 2
      - 0
    .max_flat_workgroup_size: 256
    .name:           _ZN7rocprim17ROCPRIM_400000_NS6detail17trampoline_kernelINS0_13select_configILj256ELj13ELNS0_17block_load_methodE3ELS4_3ELS4_3ELNS0_20block_scan_algorithmE0ELj4294967295EEENS1_25partition_config_selectorILNS1_17partition_subalgoE3EjNS0_10empty_typeEbEEZZNS1_14partition_implILS8_3ELb0ES6_jNS0_17counting_iteratorIjlEEPS9_SE_NS0_5tupleIJPjSE_EEENSF_IJSE_SE_EEES9_SG_JZNS1_25segmented_radix_sort_implINS0_14default_configELb0EPK12hip_bfloat16PSL_PKlPlN2at6native12_GLOBAL__N_18offset_tEEE10hipError_tPvRmT1_PNSt15iterator_traitsISZ_E10value_typeET2_T3_PNS10_IS15_E10value_typeET4_jRbjT5_S1B_jjP12ihipStream_tbEUljE_EEESW_SX_SY_S15_S19_S1B_T6_T7_T9_mT8_S1D_bDpT10_ENKUlT_T0_E_clISt17integral_constantIbLb0EES1P_IbLb1EEEEDaS1L_S1M_EUlS1L_E_NS1_11comp_targetILNS1_3genE8ELNS1_11target_archE1030ELNS1_3gpuE2ELNS1_3repE0EEENS1_30default_config_static_selectorELNS0_4arch9wavefront6targetE0EEEvSZ_
    .private_segment_fixed_size: 0
    .sgpr_count:     0
    .sgpr_spill_count: 0
    .symbol:         _ZN7rocprim17ROCPRIM_400000_NS6detail17trampoline_kernelINS0_13select_configILj256ELj13ELNS0_17block_load_methodE3ELS4_3ELS4_3ELNS0_20block_scan_algorithmE0ELj4294967295EEENS1_25partition_config_selectorILNS1_17partition_subalgoE3EjNS0_10empty_typeEbEEZZNS1_14partition_implILS8_3ELb0ES6_jNS0_17counting_iteratorIjlEEPS9_SE_NS0_5tupleIJPjSE_EEENSF_IJSE_SE_EEES9_SG_JZNS1_25segmented_radix_sort_implINS0_14default_configELb0EPK12hip_bfloat16PSL_PKlPlN2at6native12_GLOBAL__N_18offset_tEEE10hipError_tPvRmT1_PNSt15iterator_traitsISZ_E10value_typeET2_T3_PNS10_IS15_E10value_typeET4_jRbjT5_S1B_jjP12ihipStream_tbEUljE_EEESW_SX_SY_S15_S19_S1B_T6_T7_T9_mT8_S1D_bDpT10_ENKUlT_T0_E_clISt17integral_constantIbLb0EES1P_IbLb1EEEEDaS1L_S1M_EUlS1L_E_NS1_11comp_targetILNS1_3genE8ELNS1_11target_archE1030ELNS1_3gpuE2ELNS1_3repE0EEENS1_30default_config_static_selectorELNS0_4arch9wavefront6targetE0EEEvSZ_.kd
    .uniform_work_group_size: 1
    .uses_dynamic_stack: false
    .vgpr_count:     0
    .vgpr_spill_count: 0
    .wavefront_size: 32
  - .args:
      - .offset:         0
        .size:           96
        .value_kind:     by_value
      - .offset:         96
        .size:           4
        .value_kind:     hidden_block_count_x
      - .offset:         100
        .size:           4
        .value_kind:     hidden_block_count_y
      - .offset:         104
        .size:           4
        .value_kind:     hidden_block_count_z
      - .offset:         108
        .size:           2
        .value_kind:     hidden_group_size_x
      - .offset:         110
        .size:           2
        .value_kind:     hidden_group_size_y
      - .offset:         112
        .size:           2
        .value_kind:     hidden_group_size_z
      - .offset:         114
        .size:           2
        .value_kind:     hidden_remainder_x
      - .offset:         116
        .size:           2
        .value_kind:     hidden_remainder_y
      - .offset:         118
        .size:           2
        .value_kind:     hidden_remainder_z
      - .offset:         136
        .size:           8
        .value_kind:     hidden_global_offset_x
      - .offset:         144
        .size:           8
        .value_kind:     hidden_global_offset_y
      - .offset:         152
        .size:           8
        .value_kind:     hidden_global_offset_z
      - .offset:         160
        .size:           2
        .value_kind:     hidden_grid_dims
      - .offset:         176
        .size:           8
        .value_kind:     hidden_hostcall_buffer
      - .offset:         184
        .size:           8
        .value_kind:     hidden_multigrid_sync_arg
      - .offset:         192
        .size:           8
        .value_kind:     hidden_heap_v1
      - .offset:         200
        .size:           8
        .value_kind:     hidden_default_queue
      - .offset:         208
        .size:           8
        .value_kind:     hidden_completion_action
      - .offset:         296
        .size:           8
        .value_kind:     hidden_queue_ptr
    .group_segment_fixed_size: 33824
    .kernarg_segment_align: 8
    .kernarg_segment_size: 352
    .language:       OpenCL C
    .language_version:
      - 2
      - 0
    .max_flat_workgroup_size: 256
    .name:           _ZN7rocprim17ROCPRIM_400000_NS6detail17trampoline_kernelINS0_14default_configENS1_36segmented_radix_sort_config_selectorI12hip_bfloat16lEEZNS1_25segmented_radix_sort_implIS3_Lb0EPKS5_PS5_PKlPlN2at6native12_GLOBAL__N_18offset_tEEE10hipError_tPvRmT1_PNSt15iterator_traitsISL_E10value_typeET2_T3_PNSM_ISR_E10value_typeET4_jRbjT5_SX_jjP12ihipStream_tbEUlT_E_NS1_11comp_targetILNS1_3genE0ELNS1_11target_archE4294967295ELNS1_3gpuE0ELNS1_3repE0EEENS1_30default_config_static_selectorELNS0_4arch9wavefront6targetE0EEEvSL_
    .private_segment_fixed_size: 0
    .sgpr_count:     61
    .sgpr_spill_count: 0
    .symbol:         _ZN7rocprim17ROCPRIM_400000_NS6detail17trampoline_kernelINS0_14default_configENS1_36segmented_radix_sort_config_selectorI12hip_bfloat16lEEZNS1_25segmented_radix_sort_implIS3_Lb0EPKS5_PS5_PKlPlN2at6native12_GLOBAL__N_18offset_tEEE10hipError_tPvRmT1_PNSt15iterator_traitsISL_E10value_typeET2_T3_PNSM_ISR_E10value_typeET4_jRbjT5_SX_jjP12ihipStream_tbEUlT_E_NS1_11comp_targetILNS1_3genE0ELNS1_11target_archE4294967295ELNS1_3gpuE0ELNS1_3repE0EEENS1_30default_config_static_selectorELNS0_4arch9wavefront6targetE0EEEvSL_.kd
    .uniform_work_group_size: 1
    .uses_dynamic_stack: false
    .vgpr_count:     304
    .vgpr_spill_count: 0
    .wavefront_size: 32
  - .args:
      - .offset:         0
        .size:           96
        .value_kind:     by_value
    .group_segment_fixed_size: 0
    .kernarg_segment_align: 8
    .kernarg_segment_size: 96
    .language:       OpenCL C
    .language_version:
      - 2
      - 0
    .max_flat_workgroup_size: 256
    .name:           _ZN7rocprim17ROCPRIM_400000_NS6detail17trampoline_kernelINS0_14default_configENS1_36segmented_radix_sort_config_selectorI12hip_bfloat16lEEZNS1_25segmented_radix_sort_implIS3_Lb0EPKS5_PS5_PKlPlN2at6native12_GLOBAL__N_18offset_tEEE10hipError_tPvRmT1_PNSt15iterator_traitsISL_E10value_typeET2_T3_PNSM_ISR_E10value_typeET4_jRbjT5_SX_jjP12ihipStream_tbEUlT_E_NS1_11comp_targetILNS1_3genE5ELNS1_11target_archE942ELNS1_3gpuE9ELNS1_3repE0EEENS1_30default_config_static_selectorELNS0_4arch9wavefront6targetE0EEEvSL_
    .private_segment_fixed_size: 0
    .sgpr_count:     0
    .sgpr_spill_count: 0
    .symbol:         _ZN7rocprim17ROCPRIM_400000_NS6detail17trampoline_kernelINS0_14default_configENS1_36segmented_radix_sort_config_selectorI12hip_bfloat16lEEZNS1_25segmented_radix_sort_implIS3_Lb0EPKS5_PS5_PKlPlN2at6native12_GLOBAL__N_18offset_tEEE10hipError_tPvRmT1_PNSt15iterator_traitsISL_E10value_typeET2_T3_PNSM_ISR_E10value_typeET4_jRbjT5_SX_jjP12ihipStream_tbEUlT_E_NS1_11comp_targetILNS1_3genE5ELNS1_11target_archE942ELNS1_3gpuE9ELNS1_3repE0EEENS1_30default_config_static_selectorELNS0_4arch9wavefront6targetE0EEEvSL_.kd
    .uniform_work_group_size: 1
    .uses_dynamic_stack: false
    .vgpr_count:     0
    .vgpr_spill_count: 0
    .wavefront_size: 32
  - .args:
      - .offset:         0
        .size:           96
        .value_kind:     by_value
    .group_segment_fixed_size: 0
    .kernarg_segment_align: 8
    .kernarg_segment_size: 96
    .language:       OpenCL C
    .language_version:
      - 2
      - 0
    .max_flat_workgroup_size: 256
    .name:           _ZN7rocprim17ROCPRIM_400000_NS6detail17trampoline_kernelINS0_14default_configENS1_36segmented_radix_sort_config_selectorI12hip_bfloat16lEEZNS1_25segmented_radix_sort_implIS3_Lb0EPKS5_PS5_PKlPlN2at6native12_GLOBAL__N_18offset_tEEE10hipError_tPvRmT1_PNSt15iterator_traitsISL_E10value_typeET2_T3_PNSM_ISR_E10value_typeET4_jRbjT5_SX_jjP12ihipStream_tbEUlT_E_NS1_11comp_targetILNS1_3genE4ELNS1_11target_archE910ELNS1_3gpuE8ELNS1_3repE0EEENS1_30default_config_static_selectorELNS0_4arch9wavefront6targetE0EEEvSL_
    .private_segment_fixed_size: 0
    .sgpr_count:     0
    .sgpr_spill_count: 0
    .symbol:         _ZN7rocprim17ROCPRIM_400000_NS6detail17trampoline_kernelINS0_14default_configENS1_36segmented_radix_sort_config_selectorI12hip_bfloat16lEEZNS1_25segmented_radix_sort_implIS3_Lb0EPKS5_PS5_PKlPlN2at6native12_GLOBAL__N_18offset_tEEE10hipError_tPvRmT1_PNSt15iterator_traitsISL_E10value_typeET2_T3_PNSM_ISR_E10value_typeET4_jRbjT5_SX_jjP12ihipStream_tbEUlT_E_NS1_11comp_targetILNS1_3genE4ELNS1_11target_archE910ELNS1_3gpuE8ELNS1_3repE0EEENS1_30default_config_static_selectorELNS0_4arch9wavefront6targetE0EEEvSL_.kd
    .uniform_work_group_size: 1
    .uses_dynamic_stack: false
    .vgpr_count:     0
    .vgpr_spill_count: 0
    .wavefront_size: 32
  - .args:
      - .offset:         0
        .size:           96
        .value_kind:     by_value
    .group_segment_fixed_size: 0
    .kernarg_segment_align: 8
    .kernarg_segment_size: 96
    .language:       OpenCL C
    .language_version:
      - 2
      - 0
    .max_flat_workgroup_size: 256
    .name:           _ZN7rocprim17ROCPRIM_400000_NS6detail17trampoline_kernelINS0_14default_configENS1_36segmented_radix_sort_config_selectorI12hip_bfloat16lEEZNS1_25segmented_radix_sort_implIS3_Lb0EPKS5_PS5_PKlPlN2at6native12_GLOBAL__N_18offset_tEEE10hipError_tPvRmT1_PNSt15iterator_traitsISL_E10value_typeET2_T3_PNSM_ISR_E10value_typeET4_jRbjT5_SX_jjP12ihipStream_tbEUlT_E_NS1_11comp_targetILNS1_3genE3ELNS1_11target_archE908ELNS1_3gpuE7ELNS1_3repE0EEENS1_30default_config_static_selectorELNS0_4arch9wavefront6targetE0EEEvSL_
    .private_segment_fixed_size: 0
    .sgpr_count:     0
    .sgpr_spill_count: 0
    .symbol:         _ZN7rocprim17ROCPRIM_400000_NS6detail17trampoline_kernelINS0_14default_configENS1_36segmented_radix_sort_config_selectorI12hip_bfloat16lEEZNS1_25segmented_radix_sort_implIS3_Lb0EPKS5_PS5_PKlPlN2at6native12_GLOBAL__N_18offset_tEEE10hipError_tPvRmT1_PNSt15iterator_traitsISL_E10value_typeET2_T3_PNSM_ISR_E10value_typeET4_jRbjT5_SX_jjP12ihipStream_tbEUlT_E_NS1_11comp_targetILNS1_3genE3ELNS1_11target_archE908ELNS1_3gpuE7ELNS1_3repE0EEENS1_30default_config_static_selectorELNS0_4arch9wavefront6targetE0EEEvSL_.kd
    .uniform_work_group_size: 1
    .uses_dynamic_stack: false
    .vgpr_count:     0
    .vgpr_spill_count: 0
    .wavefront_size: 32
  - .args:
      - .offset:         0
        .size:           96
        .value_kind:     by_value
    .group_segment_fixed_size: 0
    .kernarg_segment_align: 8
    .kernarg_segment_size: 96
    .language:       OpenCL C
    .language_version:
      - 2
      - 0
    .max_flat_workgroup_size: 256
    .name:           _ZN7rocprim17ROCPRIM_400000_NS6detail17trampoline_kernelINS0_14default_configENS1_36segmented_radix_sort_config_selectorI12hip_bfloat16lEEZNS1_25segmented_radix_sort_implIS3_Lb0EPKS5_PS5_PKlPlN2at6native12_GLOBAL__N_18offset_tEEE10hipError_tPvRmT1_PNSt15iterator_traitsISL_E10value_typeET2_T3_PNSM_ISR_E10value_typeET4_jRbjT5_SX_jjP12ihipStream_tbEUlT_E_NS1_11comp_targetILNS1_3genE2ELNS1_11target_archE906ELNS1_3gpuE6ELNS1_3repE0EEENS1_30default_config_static_selectorELNS0_4arch9wavefront6targetE0EEEvSL_
    .private_segment_fixed_size: 0
    .sgpr_count:     0
    .sgpr_spill_count: 0
    .symbol:         _ZN7rocprim17ROCPRIM_400000_NS6detail17trampoline_kernelINS0_14default_configENS1_36segmented_radix_sort_config_selectorI12hip_bfloat16lEEZNS1_25segmented_radix_sort_implIS3_Lb0EPKS5_PS5_PKlPlN2at6native12_GLOBAL__N_18offset_tEEE10hipError_tPvRmT1_PNSt15iterator_traitsISL_E10value_typeET2_T3_PNSM_ISR_E10value_typeET4_jRbjT5_SX_jjP12ihipStream_tbEUlT_E_NS1_11comp_targetILNS1_3genE2ELNS1_11target_archE906ELNS1_3gpuE6ELNS1_3repE0EEENS1_30default_config_static_selectorELNS0_4arch9wavefront6targetE0EEEvSL_.kd
    .uniform_work_group_size: 1
    .uses_dynamic_stack: false
    .vgpr_count:     0
    .vgpr_spill_count: 0
    .wavefront_size: 32
  - .args:
      - .offset:         0
        .size:           96
        .value_kind:     by_value
    .group_segment_fixed_size: 0
    .kernarg_segment_align: 8
    .kernarg_segment_size: 96
    .language:       OpenCL C
    .language_version:
      - 2
      - 0
    .max_flat_workgroup_size: 256
    .name:           _ZN7rocprim17ROCPRIM_400000_NS6detail17trampoline_kernelINS0_14default_configENS1_36segmented_radix_sort_config_selectorI12hip_bfloat16lEEZNS1_25segmented_radix_sort_implIS3_Lb0EPKS5_PS5_PKlPlN2at6native12_GLOBAL__N_18offset_tEEE10hipError_tPvRmT1_PNSt15iterator_traitsISL_E10value_typeET2_T3_PNSM_ISR_E10value_typeET4_jRbjT5_SX_jjP12ihipStream_tbEUlT_E_NS1_11comp_targetILNS1_3genE10ELNS1_11target_archE1201ELNS1_3gpuE5ELNS1_3repE0EEENS1_30default_config_static_selectorELNS0_4arch9wavefront6targetE0EEEvSL_
    .private_segment_fixed_size: 0
    .sgpr_count:     0
    .sgpr_spill_count: 0
    .symbol:         _ZN7rocprim17ROCPRIM_400000_NS6detail17trampoline_kernelINS0_14default_configENS1_36segmented_radix_sort_config_selectorI12hip_bfloat16lEEZNS1_25segmented_radix_sort_implIS3_Lb0EPKS5_PS5_PKlPlN2at6native12_GLOBAL__N_18offset_tEEE10hipError_tPvRmT1_PNSt15iterator_traitsISL_E10value_typeET2_T3_PNSM_ISR_E10value_typeET4_jRbjT5_SX_jjP12ihipStream_tbEUlT_E_NS1_11comp_targetILNS1_3genE10ELNS1_11target_archE1201ELNS1_3gpuE5ELNS1_3repE0EEENS1_30default_config_static_selectorELNS0_4arch9wavefront6targetE0EEEvSL_.kd
    .uniform_work_group_size: 1
    .uses_dynamic_stack: false
    .vgpr_count:     0
    .vgpr_spill_count: 0
    .wavefront_size: 32
  - .args:
      - .offset:         0
        .size:           96
        .value_kind:     by_value
    .group_segment_fixed_size: 0
    .kernarg_segment_align: 8
    .kernarg_segment_size: 96
    .language:       OpenCL C
    .language_version:
      - 2
      - 0
    .max_flat_workgroup_size: 128
    .name:           _ZN7rocprim17ROCPRIM_400000_NS6detail17trampoline_kernelINS0_14default_configENS1_36segmented_radix_sort_config_selectorI12hip_bfloat16lEEZNS1_25segmented_radix_sort_implIS3_Lb0EPKS5_PS5_PKlPlN2at6native12_GLOBAL__N_18offset_tEEE10hipError_tPvRmT1_PNSt15iterator_traitsISL_E10value_typeET2_T3_PNSM_ISR_E10value_typeET4_jRbjT5_SX_jjP12ihipStream_tbEUlT_E_NS1_11comp_targetILNS1_3genE10ELNS1_11target_archE1200ELNS1_3gpuE4ELNS1_3repE0EEENS1_30default_config_static_selectorELNS0_4arch9wavefront6targetE0EEEvSL_
    .private_segment_fixed_size: 0
    .sgpr_count:     0
    .sgpr_spill_count: 0
    .symbol:         _ZN7rocprim17ROCPRIM_400000_NS6detail17trampoline_kernelINS0_14default_configENS1_36segmented_radix_sort_config_selectorI12hip_bfloat16lEEZNS1_25segmented_radix_sort_implIS3_Lb0EPKS5_PS5_PKlPlN2at6native12_GLOBAL__N_18offset_tEEE10hipError_tPvRmT1_PNSt15iterator_traitsISL_E10value_typeET2_T3_PNSM_ISR_E10value_typeET4_jRbjT5_SX_jjP12ihipStream_tbEUlT_E_NS1_11comp_targetILNS1_3genE10ELNS1_11target_archE1200ELNS1_3gpuE4ELNS1_3repE0EEENS1_30default_config_static_selectorELNS0_4arch9wavefront6targetE0EEEvSL_.kd
    .uniform_work_group_size: 1
    .uses_dynamic_stack: false
    .vgpr_count:     0
    .vgpr_spill_count: 0
    .wavefront_size: 32
  - .args:
      - .offset:         0
        .size:           96
        .value_kind:     by_value
    .group_segment_fixed_size: 0
    .kernarg_segment_align: 8
    .kernarg_segment_size: 96
    .language:       OpenCL C
    .language_version:
      - 2
      - 0
    .max_flat_workgroup_size: 256
    .name:           _ZN7rocprim17ROCPRIM_400000_NS6detail17trampoline_kernelINS0_14default_configENS1_36segmented_radix_sort_config_selectorI12hip_bfloat16lEEZNS1_25segmented_radix_sort_implIS3_Lb0EPKS5_PS5_PKlPlN2at6native12_GLOBAL__N_18offset_tEEE10hipError_tPvRmT1_PNSt15iterator_traitsISL_E10value_typeET2_T3_PNSM_ISR_E10value_typeET4_jRbjT5_SX_jjP12ihipStream_tbEUlT_E_NS1_11comp_targetILNS1_3genE9ELNS1_11target_archE1100ELNS1_3gpuE3ELNS1_3repE0EEENS1_30default_config_static_selectorELNS0_4arch9wavefront6targetE0EEEvSL_
    .private_segment_fixed_size: 0
    .sgpr_count:     0
    .sgpr_spill_count: 0
    .symbol:         _ZN7rocprim17ROCPRIM_400000_NS6detail17trampoline_kernelINS0_14default_configENS1_36segmented_radix_sort_config_selectorI12hip_bfloat16lEEZNS1_25segmented_radix_sort_implIS3_Lb0EPKS5_PS5_PKlPlN2at6native12_GLOBAL__N_18offset_tEEE10hipError_tPvRmT1_PNSt15iterator_traitsISL_E10value_typeET2_T3_PNSM_ISR_E10value_typeET4_jRbjT5_SX_jjP12ihipStream_tbEUlT_E_NS1_11comp_targetILNS1_3genE9ELNS1_11target_archE1100ELNS1_3gpuE3ELNS1_3repE0EEENS1_30default_config_static_selectorELNS0_4arch9wavefront6targetE0EEEvSL_.kd
    .uniform_work_group_size: 1
    .uses_dynamic_stack: false
    .vgpr_count:     0
    .vgpr_spill_count: 0
    .wavefront_size: 32
  - .args:
      - .offset:         0
        .size:           96
        .value_kind:     by_value
    .group_segment_fixed_size: 0
    .kernarg_segment_align: 8
    .kernarg_segment_size: 96
    .language:       OpenCL C
    .language_version:
      - 2
      - 0
    .max_flat_workgroup_size: 256
    .name:           _ZN7rocprim17ROCPRIM_400000_NS6detail17trampoline_kernelINS0_14default_configENS1_36segmented_radix_sort_config_selectorI12hip_bfloat16lEEZNS1_25segmented_radix_sort_implIS3_Lb0EPKS5_PS5_PKlPlN2at6native12_GLOBAL__N_18offset_tEEE10hipError_tPvRmT1_PNSt15iterator_traitsISL_E10value_typeET2_T3_PNSM_ISR_E10value_typeET4_jRbjT5_SX_jjP12ihipStream_tbEUlT_E_NS1_11comp_targetILNS1_3genE8ELNS1_11target_archE1030ELNS1_3gpuE2ELNS1_3repE0EEENS1_30default_config_static_selectorELNS0_4arch9wavefront6targetE0EEEvSL_
    .private_segment_fixed_size: 0
    .sgpr_count:     0
    .sgpr_spill_count: 0
    .symbol:         _ZN7rocprim17ROCPRIM_400000_NS6detail17trampoline_kernelINS0_14default_configENS1_36segmented_radix_sort_config_selectorI12hip_bfloat16lEEZNS1_25segmented_radix_sort_implIS3_Lb0EPKS5_PS5_PKlPlN2at6native12_GLOBAL__N_18offset_tEEE10hipError_tPvRmT1_PNSt15iterator_traitsISL_E10value_typeET2_T3_PNSM_ISR_E10value_typeET4_jRbjT5_SX_jjP12ihipStream_tbEUlT_E_NS1_11comp_targetILNS1_3genE8ELNS1_11target_archE1030ELNS1_3gpuE2ELNS1_3repE0EEENS1_30default_config_static_selectorELNS0_4arch9wavefront6targetE0EEEvSL_.kd
    .uniform_work_group_size: 1
    .uses_dynamic_stack: false
    .vgpr_count:     0
    .vgpr_spill_count: 0
    .wavefront_size: 32
  - .args:
      - .offset:         0
        .size:           88
        .value_kind:     by_value
      - .offset:         88
        .size:           4
        .value_kind:     hidden_block_count_x
      - .offset:         92
        .size:           4
        .value_kind:     hidden_block_count_y
      - .offset:         96
        .size:           4
        .value_kind:     hidden_block_count_z
      - .offset:         100
        .size:           2
        .value_kind:     hidden_group_size_x
      - .offset:         102
        .size:           2
        .value_kind:     hidden_group_size_y
      - .offset:         104
        .size:           2
        .value_kind:     hidden_group_size_z
      - .offset:         106
        .size:           2
        .value_kind:     hidden_remainder_x
      - .offset:         108
        .size:           2
        .value_kind:     hidden_remainder_y
      - .offset:         110
        .size:           2
        .value_kind:     hidden_remainder_z
      - .offset:         128
        .size:           8
        .value_kind:     hidden_global_offset_x
      - .offset:         136
        .size:           8
        .value_kind:     hidden_global_offset_y
      - .offset:         144
        .size:           8
        .value_kind:     hidden_global_offset_z
      - .offset:         152
        .size:           2
        .value_kind:     hidden_grid_dims
      - .offset:         168
        .size:           8
        .value_kind:     hidden_hostcall_buffer
      - .offset:         176
        .size:           8
        .value_kind:     hidden_multigrid_sync_arg
      - .offset:         184
        .size:           8
        .value_kind:     hidden_heap_v1
      - .offset:         192
        .size:           8
        .value_kind:     hidden_default_queue
      - .offset:         200
        .size:           8
        .value_kind:     hidden_completion_action
      - .offset:         288
        .size:           8
        .value_kind:     hidden_queue_ptr
    .group_segment_fixed_size: 20480
    .kernarg_segment_align: 8
    .kernarg_segment_size: 344
    .language:       OpenCL C
    .language_version:
      - 2
      - 0
    .max_flat_workgroup_size: 256
    .name:           _ZN7rocprim17ROCPRIM_400000_NS6detail17trampoline_kernelINS0_14default_configENS1_36segmented_radix_sort_config_selectorI12hip_bfloat16lEEZNS1_25segmented_radix_sort_implIS3_Lb0EPKS5_PS5_PKlPlN2at6native12_GLOBAL__N_18offset_tEEE10hipError_tPvRmT1_PNSt15iterator_traitsISL_E10value_typeET2_T3_PNSM_ISR_E10value_typeET4_jRbjT5_SX_jjP12ihipStream_tbEUlT_E0_NS1_11comp_targetILNS1_3genE0ELNS1_11target_archE4294967295ELNS1_3gpuE0ELNS1_3repE0EEENS1_60segmented_radix_sort_warp_sort_medium_config_static_selectorELNS0_4arch9wavefront6targetE0EEEvSL_
    .private_segment_fixed_size: 0
    .sgpr_count:     46
    .sgpr_spill_count: 0
    .symbol:         _ZN7rocprim17ROCPRIM_400000_NS6detail17trampoline_kernelINS0_14default_configENS1_36segmented_radix_sort_config_selectorI12hip_bfloat16lEEZNS1_25segmented_radix_sort_implIS3_Lb0EPKS5_PS5_PKlPlN2at6native12_GLOBAL__N_18offset_tEEE10hipError_tPvRmT1_PNSt15iterator_traitsISL_E10value_typeET2_T3_PNSM_ISR_E10value_typeET4_jRbjT5_SX_jjP12ihipStream_tbEUlT_E0_NS1_11comp_targetILNS1_3genE0ELNS1_11target_archE4294967295ELNS1_3gpuE0ELNS1_3repE0EEENS1_60segmented_radix_sort_warp_sort_medium_config_static_selectorELNS0_4arch9wavefront6targetE0EEEvSL_.kd
    .uniform_work_group_size: 1
    .uses_dynamic_stack: false
    .vgpr_count:     71
    .vgpr_spill_count: 0
    .wavefront_size: 32
  - .args:
      - .offset:         0
        .size:           88
        .value_kind:     by_value
    .group_segment_fixed_size: 0
    .kernarg_segment_align: 8
    .kernarg_segment_size: 88
    .language:       OpenCL C
    .language_version:
      - 2
      - 0
    .max_flat_workgroup_size: 256
    .name:           _ZN7rocprim17ROCPRIM_400000_NS6detail17trampoline_kernelINS0_14default_configENS1_36segmented_radix_sort_config_selectorI12hip_bfloat16lEEZNS1_25segmented_radix_sort_implIS3_Lb0EPKS5_PS5_PKlPlN2at6native12_GLOBAL__N_18offset_tEEE10hipError_tPvRmT1_PNSt15iterator_traitsISL_E10value_typeET2_T3_PNSM_ISR_E10value_typeET4_jRbjT5_SX_jjP12ihipStream_tbEUlT_E0_NS1_11comp_targetILNS1_3genE5ELNS1_11target_archE942ELNS1_3gpuE9ELNS1_3repE0EEENS1_60segmented_radix_sort_warp_sort_medium_config_static_selectorELNS0_4arch9wavefront6targetE0EEEvSL_
    .private_segment_fixed_size: 0
    .sgpr_count:     0
    .sgpr_spill_count: 0
    .symbol:         _ZN7rocprim17ROCPRIM_400000_NS6detail17trampoline_kernelINS0_14default_configENS1_36segmented_radix_sort_config_selectorI12hip_bfloat16lEEZNS1_25segmented_radix_sort_implIS3_Lb0EPKS5_PS5_PKlPlN2at6native12_GLOBAL__N_18offset_tEEE10hipError_tPvRmT1_PNSt15iterator_traitsISL_E10value_typeET2_T3_PNSM_ISR_E10value_typeET4_jRbjT5_SX_jjP12ihipStream_tbEUlT_E0_NS1_11comp_targetILNS1_3genE5ELNS1_11target_archE942ELNS1_3gpuE9ELNS1_3repE0EEENS1_60segmented_radix_sort_warp_sort_medium_config_static_selectorELNS0_4arch9wavefront6targetE0EEEvSL_.kd
    .uniform_work_group_size: 1
    .uses_dynamic_stack: false
    .vgpr_count:     0
    .vgpr_spill_count: 0
    .wavefront_size: 32
  - .args:
      - .offset:         0
        .size:           88
        .value_kind:     by_value
    .group_segment_fixed_size: 0
    .kernarg_segment_align: 8
    .kernarg_segment_size: 88
    .language:       OpenCL C
    .language_version:
      - 2
      - 0
    .max_flat_workgroup_size: 256
    .name:           _ZN7rocprim17ROCPRIM_400000_NS6detail17trampoline_kernelINS0_14default_configENS1_36segmented_radix_sort_config_selectorI12hip_bfloat16lEEZNS1_25segmented_radix_sort_implIS3_Lb0EPKS5_PS5_PKlPlN2at6native12_GLOBAL__N_18offset_tEEE10hipError_tPvRmT1_PNSt15iterator_traitsISL_E10value_typeET2_T3_PNSM_ISR_E10value_typeET4_jRbjT5_SX_jjP12ihipStream_tbEUlT_E0_NS1_11comp_targetILNS1_3genE4ELNS1_11target_archE910ELNS1_3gpuE8ELNS1_3repE0EEENS1_60segmented_radix_sort_warp_sort_medium_config_static_selectorELNS0_4arch9wavefront6targetE0EEEvSL_
    .private_segment_fixed_size: 0
    .sgpr_count:     0
    .sgpr_spill_count: 0
    .symbol:         _ZN7rocprim17ROCPRIM_400000_NS6detail17trampoline_kernelINS0_14default_configENS1_36segmented_radix_sort_config_selectorI12hip_bfloat16lEEZNS1_25segmented_radix_sort_implIS3_Lb0EPKS5_PS5_PKlPlN2at6native12_GLOBAL__N_18offset_tEEE10hipError_tPvRmT1_PNSt15iterator_traitsISL_E10value_typeET2_T3_PNSM_ISR_E10value_typeET4_jRbjT5_SX_jjP12ihipStream_tbEUlT_E0_NS1_11comp_targetILNS1_3genE4ELNS1_11target_archE910ELNS1_3gpuE8ELNS1_3repE0EEENS1_60segmented_radix_sort_warp_sort_medium_config_static_selectorELNS0_4arch9wavefront6targetE0EEEvSL_.kd
    .uniform_work_group_size: 1
    .uses_dynamic_stack: false
    .vgpr_count:     0
    .vgpr_spill_count: 0
    .wavefront_size: 32
  - .args:
      - .offset:         0
        .size:           88
        .value_kind:     by_value
    .group_segment_fixed_size: 0
    .kernarg_segment_align: 8
    .kernarg_segment_size: 88
    .language:       OpenCL C
    .language_version:
      - 2
      - 0
    .max_flat_workgroup_size: 256
    .name:           _ZN7rocprim17ROCPRIM_400000_NS6detail17trampoline_kernelINS0_14default_configENS1_36segmented_radix_sort_config_selectorI12hip_bfloat16lEEZNS1_25segmented_radix_sort_implIS3_Lb0EPKS5_PS5_PKlPlN2at6native12_GLOBAL__N_18offset_tEEE10hipError_tPvRmT1_PNSt15iterator_traitsISL_E10value_typeET2_T3_PNSM_ISR_E10value_typeET4_jRbjT5_SX_jjP12ihipStream_tbEUlT_E0_NS1_11comp_targetILNS1_3genE3ELNS1_11target_archE908ELNS1_3gpuE7ELNS1_3repE0EEENS1_60segmented_radix_sort_warp_sort_medium_config_static_selectorELNS0_4arch9wavefront6targetE0EEEvSL_
    .private_segment_fixed_size: 0
    .sgpr_count:     0
    .sgpr_spill_count: 0
    .symbol:         _ZN7rocprim17ROCPRIM_400000_NS6detail17trampoline_kernelINS0_14default_configENS1_36segmented_radix_sort_config_selectorI12hip_bfloat16lEEZNS1_25segmented_radix_sort_implIS3_Lb0EPKS5_PS5_PKlPlN2at6native12_GLOBAL__N_18offset_tEEE10hipError_tPvRmT1_PNSt15iterator_traitsISL_E10value_typeET2_T3_PNSM_ISR_E10value_typeET4_jRbjT5_SX_jjP12ihipStream_tbEUlT_E0_NS1_11comp_targetILNS1_3genE3ELNS1_11target_archE908ELNS1_3gpuE7ELNS1_3repE0EEENS1_60segmented_radix_sort_warp_sort_medium_config_static_selectorELNS0_4arch9wavefront6targetE0EEEvSL_.kd
    .uniform_work_group_size: 1
    .uses_dynamic_stack: false
    .vgpr_count:     0
    .vgpr_spill_count: 0
    .wavefront_size: 32
  - .args:
      - .offset:         0
        .size:           88
        .value_kind:     by_value
    .group_segment_fixed_size: 0
    .kernarg_segment_align: 8
    .kernarg_segment_size: 88
    .language:       OpenCL C
    .language_version:
      - 2
      - 0
    .max_flat_workgroup_size: 256
    .name:           _ZN7rocprim17ROCPRIM_400000_NS6detail17trampoline_kernelINS0_14default_configENS1_36segmented_radix_sort_config_selectorI12hip_bfloat16lEEZNS1_25segmented_radix_sort_implIS3_Lb0EPKS5_PS5_PKlPlN2at6native12_GLOBAL__N_18offset_tEEE10hipError_tPvRmT1_PNSt15iterator_traitsISL_E10value_typeET2_T3_PNSM_ISR_E10value_typeET4_jRbjT5_SX_jjP12ihipStream_tbEUlT_E0_NS1_11comp_targetILNS1_3genE2ELNS1_11target_archE906ELNS1_3gpuE6ELNS1_3repE0EEENS1_60segmented_radix_sort_warp_sort_medium_config_static_selectorELNS0_4arch9wavefront6targetE0EEEvSL_
    .private_segment_fixed_size: 0
    .sgpr_count:     0
    .sgpr_spill_count: 0
    .symbol:         _ZN7rocprim17ROCPRIM_400000_NS6detail17trampoline_kernelINS0_14default_configENS1_36segmented_radix_sort_config_selectorI12hip_bfloat16lEEZNS1_25segmented_radix_sort_implIS3_Lb0EPKS5_PS5_PKlPlN2at6native12_GLOBAL__N_18offset_tEEE10hipError_tPvRmT1_PNSt15iterator_traitsISL_E10value_typeET2_T3_PNSM_ISR_E10value_typeET4_jRbjT5_SX_jjP12ihipStream_tbEUlT_E0_NS1_11comp_targetILNS1_3genE2ELNS1_11target_archE906ELNS1_3gpuE6ELNS1_3repE0EEENS1_60segmented_radix_sort_warp_sort_medium_config_static_selectorELNS0_4arch9wavefront6targetE0EEEvSL_.kd
    .uniform_work_group_size: 1
    .uses_dynamic_stack: false
    .vgpr_count:     0
    .vgpr_spill_count: 0
    .wavefront_size: 32
  - .args:
      - .offset:         0
        .size:           88
        .value_kind:     by_value
    .group_segment_fixed_size: 0
    .kernarg_segment_align: 8
    .kernarg_segment_size: 88
    .language:       OpenCL C
    .language_version:
      - 2
      - 0
    .max_flat_workgroup_size: 256
    .name:           _ZN7rocprim17ROCPRIM_400000_NS6detail17trampoline_kernelINS0_14default_configENS1_36segmented_radix_sort_config_selectorI12hip_bfloat16lEEZNS1_25segmented_radix_sort_implIS3_Lb0EPKS5_PS5_PKlPlN2at6native12_GLOBAL__N_18offset_tEEE10hipError_tPvRmT1_PNSt15iterator_traitsISL_E10value_typeET2_T3_PNSM_ISR_E10value_typeET4_jRbjT5_SX_jjP12ihipStream_tbEUlT_E0_NS1_11comp_targetILNS1_3genE10ELNS1_11target_archE1201ELNS1_3gpuE5ELNS1_3repE0EEENS1_60segmented_radix_sort_warp_sort_medium_config_static_selectorELNS0_4arch9wavefront6targetE0EEEvSL_
    .private_segment_fixed_size: 0
    .sgpr_count:     0
    .sgpr_spill_count: 0
    .symbol:         _ZN7rocprim17ROCPRIM_400000_NS6detail17trampoline_kernelINS0_14default_configENS1_36segmented_radix_sort_config_selectorI12hip_bfloat16lEEZNS1_25segmented_radix_sort_implIS3_Lb0EPKS5_PS5_PKlPlN2at6native12_GLOBAL__N_18offset_tEEE10hipError_tPvRmT1_PNSt15iterator_traitsISL_E10value_typeET2_T3_PNSM_ISR_E10value_typeET4_jRbjT5_SX_jjP12ihipStream_tbEUlT_E0_NS1_11comp_targetILNS1_3genE10ELNS1_11target_archE1201ELNS1_3gpuE5ELNS1_3repE0EEENS1_60segmented_radix_sort_warp_sort_medium_config_static_selectorELNS0_4arch9wavefront6targetE0EEEvSL_.kd
    .uniform_work_group_size: 1
    .uses_dynamic_stack: false
    .vgpr_count:     0
    .vgpr_spill_count: 0
    .wavefront_size: 32
  - .args:
      - .offset:         0
        .size:           88
        .value_kind:     by_value
    .group_segment_fixed_size: 0
    .kernarg_segment_align: 8
    .kernarg_segment_size: 88
    .language:       OpenCL C
    .language_version:
      - 2
      - 0
    .max_flat_workgroup_size: 256
    .name:           _ZN7rocprim17ROCPRIM_400000_NS6detail17trampoline_kernelINS0_14default_configENS1_36segmented_radix_sort_config_selectorI12hip_bfloat16lEEZNS1_25segmented_radix_sort_implIS3_Lb0EPKS5_PS5_PKlPlN2at6native12_GLOBAL__N_18offset_tEEE10hipError_tPvRmT1_PNSt15iterator_traitsISL_E10value_typeET2_T3_PNSM_ISR_E10value_typeET4_jRbjT5_SX_jjP12ihipStream_tbEUlT_E0_NS1_11comp_targetILNS1_3genE10ELNS1_11target_archE1200ELNS1_3gpuE4ELNS1_3repE0EEENS1_60segmented_radix_sort_warp_sort_medium_config_static_selectorELNS0_4arch9wavefront6targetE0EEEvSL_
    .private_segment_fixed_size: 0
    .sgpr_count:     0
    .sgpr_spill_count: 0
    .symbol:         _ZN7rocprim17ROCPRIM_400000_NS6detail17trampoline_kernelINS0_14default_configENS1_36segmented_radix_sort_config_selectorI12hip_bfloat16lEEZNS1_25segmented_radix_sort_implIS3_Lb0EPKS5_PS5_PKlPlN2at6native12_GLOBAL__N_18offset_tEEE10hipError_tPvRmT1_PNSt15iterator_traitsISL_E10value_typeET2_T3_PNSM_ISR_E10value_typeET4_jRbjT5_SX_jjP12ihipStream_tbEUlT_E0_NS1_11comp_targetILNS1_3genE10ELNS1_11target_archE1200ELNS1_3gpuE4ELNS1_3repE0EEENS1_60segmented_radix_sort_warp_sort_medium_config_static_selectorELNS0_4arch9wavefront6targetE0EEEvSL_.kd
    .uniform_work_group_size: 1
    .uses_dynamic_stack: false
    .vgpr_count:     0
    .vgpr_spill_count: 0
    .wavefront_size: 32
  - .args:
      - .offset:         0
        .size:           88
        .value_kind:     by_value
    .group_segment_fixed_size: 0
    .kernarg_segment_align: 8
    .kernarg_segment_size: 88
    .language:       OpenCL C
    .language_version:
      - 2
      - 0
    .max_flat_workgroup_size: 256
    .name:           _ZN7rocprim17ROCPRIM_400000_NS6detail17trampoline_kernelINS0_14default_configENS1_36segmented_radix_sort_config_selectorI12hip_bfloat16lEEZNS1_25segmented_radix_sort_implIS3_Lb0EPKS5_PS5_PKlPlN2at6native12_GLOBAL__N_18offset_tEEE10hipError_tPvRmT1_PNSt15iterator_traitsISL_E10value_typeET2_T3_PNSM_ISR_E10value_typeET4_jRbjT5_SX_jjP12ihipStream_tbEUlT_E0_NS1_11comp_targetILNS1_3genE9ELNS1_11target_archE1100ELNS1_3gpuE3ELNS1_3repE0EEENS1_60segmented_radix_sort_warp_sort_medium_config_static_selectorELNS0_4arch9wavefront6targetE0EEEvSL_
    .private_segment_fixed_size: 0
    .sgpr_count:     0
    .sgpr_spill_count: 0
    .symbol:         _ZN7rocprim17ROCPRIM_400000_NS6detail17trampoline_kernelINS0_14default_configENS1_36segmented_radix_sort_config_selectorI12hip_bfloat16lEEZNS1_25segmented_radix_sort_implIS3_Lb0EPKS5_PS5_PKlPlN2at6native12_GLOBAL__N_18offset_tEEE10hipError_tPvRmT1_PNSt15iterator_traitsISL_E10value_typeET2_T3_PNSM_ISR_E10value_typeET4_jRbjT5_SX_jjP12ihipStream_tbEUlT_E0_NS1_11comp_targetILNS1_3genE9ELNS1_11target_archE1100ELNS1_3gpuE3ELNS1_3repE0EEENS1_60segmented_radix_sort_warp_sort_medium_config_static_selectorELNS0_4arch9wavefront6targetE0EEEvSL_.kd
    .uniform_work_group_size: 1
    .uses_dynamic_stack: false
    .vgpr_count:     0
    .vgpr_spill_count: 0
    .wavefront_size: 32
  - .args:
      - .offset:         0
        .size:           88
        .value_kind:     by_value
    .group_segment_fixed_size: 0
    .kernarg_segment_align: 8
    .kernarg_segment_size: 88
    .language:       OpenCL C
    .language_version:
      - 2
      - 0
    .max_flat_workgroup_size: 256
    .name:           _ZN7rocprim17ROCPRIM_400000_NS6detail17trampoline_kernelINS0_14default_configENS1_36segmented_radix_sort_config_selectorI12hip_bfloat16lEEZNS1_25segmented_radix_sort_implIS3_Lb0EPKS5_PS5_PKlPlN2at6native12_GLOBAL__N_18offset_tEEE10hipError_tPvRmT1_PNSt15iterator_traitsISL_E10value_typeET2_T3_PNSM_ISR_E10value_typeET4_jRbjT5_SX_jjP12ihipStream_tbEUlT_E0_NS1_11comp_targetILNS1_3genE8ELNS1_11target_archE1030ELNS1_3gpuE2ELNS1_3repE0EEENS1_60segmented_radix_sort_warp_sort_medium_config_static_selectorELNS0_4arch9wavefront6targetE0EEEvSL_
    .private_segment_fixed_size: 0
    .sgpr_count:     0
    .sgpr_spill_count: 0
    .symbol:         _ZN7rocprim17ROCPRIM_400000_NS6detail17trampoline_kernelINS0_14default_configENS1_36segmented_radix_sort_config_selectorI12hip_bfloat16lEEZNS1_25segmented_radix_sort_implIS3_Lb0EPKS5_PS5_PKlPlN2at6native12_GLOBAL__N_18offset_tEEE10hipError_tPvRmT1_PNSt15iterator_traitsISL_E10value_typeET2_T3_PNSM_ISR_E10value_typeET4_jRbjT5_SX_jjP12ihipStream_tbEUlT_E0_NS1_11comp_targetILNS1_3genE8ELNS1_11target_archE1030ELNS1_3gpuE2ELNS1_3repE0EEENS1_60segmented_radix_sort_warp_sort_medium_config_static_selectorELNS0_4arch9wavefront6targetE0EEEvSL_.kd
    .uniform_work_group_size: 1
    .uses_dynamic_stack: false
    .vgpr_count:     0
    .vgpr_spill_count: 0
    .wavefront_size: 32
  - .args:
      - .offset:         0
        .size:           88
        .value_kind:     by_value
      - .offset:         88
        .size:           4
        .value_kind:     hidden_block_count_x
      - .offset:         92
        .size:           4
        .value_kind:     hidden_block_count_y
      - .offset:         96
        .size:           4
        .value_kind:     hidden_block_count_z
      - .offset:         100
        .size:           2
        .value_kind:     hidden_group_size_x
      - .offset:         102
        .size:           2
        .value_kind:     hidden_group_size_y
      - .offset:         104
        .size:           2
        .value_kind:     hidden_group_size_z
      - .offset:         106
        .size:           2
        .value_kind:     hidden_remainder_x
      - .offset:         108
        .size:           2
        .value_kind:     hidden_remainder_y
      - .offset:         110
        .size:           2
        .value_kind:     hidden_remainder_z
      - .offset:         128
        .size:           8
        .value_kind:     hidden_global_offset_x
      - .offset:         136
        .size:           8
        .value_kind:     hidden_global_offset_y
      - .offset:         144
        .size:           8
        .value_kind:     hidden_global_offset_z
      - .offset:         152
        .size:           2
        .value_kind:     hidden_grid_dims
      - .offset:         168
        .size:           8
        .value_kind:     hidden_hostcall_buffer
      - .offset:         176
        .size:           8
        .value_kind:     hidden_multigrid_sync_arg
      - .offset:         184
        .size:           8
        .value_kind:     hidden_heap_v1
      - .offset:         192
        .size:           8
        .value_kind:     hidden_default_queue
      - .offset:         200
        .size:           8
        .value_kind:     hidden_completion_action
      - .offset:         288
        .size:           8
        .value_kind:     hidden_queue_ptr
    .group_segment_fixed_size: 10240
    .kernarg_segment_align: 8
    .kernarg_segment_size: 344
    .language:       OpenCL C
    .language_version:
      - 2
      - 0
    .max_flat_workgroup_size: 256
    .name:           _ZN7rocprim17ROCPRIM_400000_NS6detail17trampoline_kernelINS0_14default_configENS1_36segmented_radix_sort_config_selectorI12hip_bfloat16lEEZNS1_25segmented_radix_sort_implIS3_Lb0EPKS5_PS5_PKlPlN2at6native12_GLOBAL__N_18offset_tEEE10hipError_tPvRmT1_PNSt15iterator_traitsISL_E10value_typeET2_T3_PNSM_ISR_E10value_typeET4_jRbjT5_SX_jjP12ihipStream_tbEUlT_E1_NS1_11comp_targetILNS1_3genE0ELNS1_11target_archE4294967295ELNS1_3gpuE0ELNS1_3repE0EEENS1_59segmented_radix_sort_warp_sort_small_config_static_selectorELNS0_4arch9wavefront6targetE0EEEvSL_
    .private_segment_fixed_size: 0
    .sgpr_count:     35
    .sgpr_spill_count: 0
    .symbol:         _ZN7rocprim17ROCPRIM_400000_NS6detail17trampoline_kernelINS0_14default_configENS1_36segmented_radix_sort_config_selectorI12hip_bfloat16lEEZNS1_25segmented_radix_sort_implIS3_Lb0EPKS5_PS5_PKlPlN2at6native12_GLOBAL__N_18offset_tEEE10hipError_tPvRmT1_PNSt15iterator_traitsISL_E10value_typeET2_T3_PNSM_ISR_E10value_typeET4_jRbjT5_SX_jjP12ihipStream_tbEUlT_E1_NS1_11comp_targetILNS1_3genE0ELNS1_11target_archE4294967295ELNS1_3gpuE0ELNS1_3repE0EEENS1_59segmented_radix_sort_warp_sort_small_config_static_selectorELNS0_4arch9wavefront6targetE0EEEvSL_.kd
    .uniform_work_group_size: 1
    .uses_dynamic_stack: false
    .vgpr_count:     56
    .vgpr_spill_count: 0
    .wavefront_size: 32
  - .args:
      - .offset:         0
        .size:           88
        .value_kind:     by_value
    .group_segment_fixed_size: 0
    .kernarg_segment_align: 8
    .kernarg_segment_size: 88
    .language:       OpenCL C
    .language_version:
      - 2
      - 0
    .max_flat_workgroup_size: 256
    .name:           _ZN7rocprim17ROCPRIM_400000_NS6detail17trampoline_kernelINS0_14default_configENS1_36segmented_radix_sort_config_selectorI12hip_bfloat16lEEZNS1_25segmented_radix_sort_implIS3_Lb0EPKS5_PS5_PKlPlN2at6native12_GLOBAL__N_18offset_tEEE10hipError_tPvRmT1_PNSt15iterator_traitsISL_E10value_typeET2_T3_PNSM_ISR_E10value_typeET4_jRbjT5_SX_jjP12ihipStream_tbEUlT_E1_NS1_11comp_targetILNS1_3genE5ELNS1_11target_archE942ELNS1_3gpuE9ELNS1_3repE0EEENS1_59segmented_radix_sort_warp_sort_small_config_static_selectorELNS0_4arch9wavefront6targetE0EEEvSL_
    .private_segment_fixed_size: 0
    .sgpr_count:     0
    .sgpr_spill_count: 0
    .symbol:         _ZN7rocprim17ROCPRIM_400000_NS6detail17trampoline_kernelINS0_14default_configENS1_36segmented_radix_sort_config_selectorI12hip_bfloat16lEEZNS1_25segmented_radix_sort_implIS3_Lb0EPKS5_PS5_PKlPlN2at6native12_GLOBAL__N_18offset_tEEE10hipError_tPvRmT1_PNSt15iterator_traitsISL_E10value_typeET2_T3_PNSM_ISR_E10value_typeET4_jRbjT5_SX_jjP12ihipStream_tbEUlT_E1_NS1_11comp_targetILNS1_3genE5ELNS1_11target_archE942ELNS1_3gpuE9ELNS1_3repE0EEENS1_59segmented_radix_sort_warp_sort_small_config_static_selectorELNS0_4arch9wavefront6targetE0EEEvSL_.kd
    .uniform_work_group_size: 1
    .uses_dynamic_stack: false
    .vgpr_count:     0
    .vgpr_spill_count: 0
    .wavefront_size: 32
  - .args:
      - .offset:         0
        .size:           88
        .value_kind:     by_value
    .group_segment_fixed_size: 0
    .kernarg_segment_align: 8
    .kernarg_segment_size: 88
    .language:       OpenCL C
    .language_version:
      - 2
      - 0
    .max_flat_workgroup_size: 256
    .name:           _ZN7rocprim17ROCPRIM_400000_NS6detail17trampoline_kernelINS0_14default_configENS1_36segmented_radix_sort_config_selectorI12hip_bfloat16lEEZNS1_25segmented_radix_sort_implIS3_Lb0EPKS5_PS5_PKlPlN2at6native12_GLOBAL__N_18offset_tEEE10hipError_tPvRmT1_PNSt15iterator_traitsISL_E10value_typeET2_T3_PNSM_ISR_E10value_typeET4_jRbjT5_SX_jjP12ihipStream_tbEUlT_E1_NS1_11comp_targetILNS1_3genE4ELNS1_11target_archE910ELNS1_3gpuE8ELNS1_3repE0EEENS1_59segmented_radix_sort_warp_sort_small_config_static_selectorELNS0_4arch9wavefront6targetE0EEEvSL_
    .private_segment_fixed_size: 0
    .sgpr_count:     0
    .sgpr_spill_count: 0
    .symbol:         _ZN7rocprim17ROCPRIM_400000_NS6detail17trampoline_kernelINS0_14default_configENS1_36segmented_radix_sort_config_selectorI12hip_bfloat16lEEZNS1_25segmented_radix_sort_implIS3_Lb0EPKS5_PS5_PKlPlN2at6native12_GLOBAL__N_18offset_tEEE10hipError_tPvRmT1_PNSt15iterator_traitsISL_E10value_typeET2_T3_PNSM_ISR_E10value_typeET4_jRbjT5_SX_jjP12ihipStream_tbEUlT_E1_NS1_11comp_targetILNS1_3genE4ELNS1_11target_archE910ELNS1_3gpuE8ELNS1_3repE0EEENS1_59segmented_radix_sort_warp_sort_small_config_static_selectorELNS0_4arch9wavefront6targetE0EEEvSL_.kd
    .uniform_work_group_size: 1
    .uses_dynamic_stack: false
    .vgpr_count:     0
    .vgpr_spill_count: 0
    .wavefront_size: 32
  - .args:
      - .offset:         0
        .size:           88
        .value_kind:     by_value
    .group_segment_fixed_size: 0
    .kernarg_segment_align: 8
    .kernarg_segment_size: 88
    .language:       OpenCL C
    .language_version:
      - 2
      - 0
    .max_flat_workgroup_size: 256
    .name:           _ZN7rocprim17ROCPRIM_400000_NS6detail17trampoline_kernelINS0_14default_configENS1_36segmented_radix_sort_config_selectorI12hip_bfloat16lEEZNS1_25segmented_radix_sort_implIS3_Lb0EPKS5_PS5_PKlPlN2at6native12_GLOBAL__N_18offset_tEEE10hipError_tPvRmT1_PNSt15iterator_traitsISL_E10value_typeET2_T3_PNSM_ISR_E10value_typeET4_jRbjT5_SX_jjP12ihipStream_tbEUlT_E1_NS1_11comp_targetILNS1_3genE3ELNS1_11target_archE908ELNS1_3gpuE7ELNS1_3repE0EEENS1_59segmented_radix_sort_warp_sort_small_config_static_selectorELNS0_4arch9wavefront6targetE0EEEvSL_
    .private_segment_fixed_size: 0
    .sgpr_count:     0
    .sgpr_spill_count: 0
    .symbol:         _ZN7rocprim17ROCPRIM_400000_NS6detail17trampoline_kernelINS0_14default_configENS1_36segmented_radix_sort_config_selectorI12hip_bfloat16lEEZNS1_25segmented_radix_sort_implIS3_Lb0EPKS5_PS5_PKlPlN2at6native12_GLOBAL__N_18offset_tEEE10hipError_tPvRmT1_PNSt15iterator_traitsISL_E10value_typeET2_T3_PNSM_ISR_E10value_typeET4_jRbjT5_SX_jjP12ihipStream_tbEUlT_E1_NS1_11comp_targetILNS1_3genE3ELNS1_11target_archE908ELNS1_3gpuE7ELNS1_3repE0EEENS1_59segmented_radix_sort_warp_sort_small_config_static_selectorELNS0_4arch9wavefront6targetE0EEEvSL_.kd
    .uniform_work_group_size: 1
    .uses_dynamic_stack: false
    .vgpr_count:     0
    .vgpr_spill_count: 0
    .wavefront_size: 32
  - .args:
      - .offset:         0
        .size:           88
        .value_kind:     by_value
    .group_segment_fixed_size: 0
    .kernarg_segment_align: 8
    .kernarg_segment_size: 88
    .language:       OpenCL C
    .language_version:
      - 2
      - 0
    .max_flat_workgroup_size: 256
    .name:           _ZN7rocprim17ROCPRIM_400000_NS6detail17trampoline_kernelINS0_14default_configENS1_36segmented_radix_sort_config_selectorI12hip_bfloat16lEEZNS1_25segmented_radix_sort_implIS3_Lb0EPKS5_PS5_PKlPlN2at6native12_GLOBAL__N_18offset_tEEE10hipError_tPvRmT1_PNSt15iterator_traitsISL_E10value_typeET2_T3_PNSM_ISR_E10value_typeET4_jRbjT5_SX_jjP12ihipStream_tbEUlT_E1_NS1_11comp_targetILNS1_3genE2ELNS1_11target_archE906ELNS1_3gpuE6ELNS1_3repE0EEENS1_59segmented_radix_sort_warp_sort_small_config_static_selectorELNS0_4arch9wavefront6targetE0EEEvSL_
    .private_segment_fixed_size: 0
    .sgpr_count:     0
    .sgpr_spill_count: 0
    .symbol:         _ZN7rocprim17ROCPRIM_400000_NS6detail17trampoline_kernelINS0_14default_configENS1_36segmented_radix_sort_config_selectorI12hip_bfloat16lEEZNS1_25segmented_radix_sort_implIS3_Lb0EPKS5_PS5_PKlPlN2at6native12_GLOBAL__N_18offset_tEEE10hipError_tPvRmT1_PNSt15iterator_traitsISL_E10value_typeET2_T3_PNSM_ISR_E10value_typeET4_jRbjT5_SX_jjP12ihipStream_tbEUlT_E1_NS1_11comp_targetILNS1_3genE2ELNS1_11target_archE906ELNS1_3gpuE6ELNS1_3repE0EEENS1_59segmented_radix_sort_warp_sort_small_config_static_selectorELNS0_4arch9wavefront6targetE0EEEvSL_.kd
    .uniform_work_group_size: 1
    .uses_dynamic_stack: false
    .vgpr_count:     0
    .vgpr_spill_count: 0
    .wavefront_size: 32
  - .args:
      - .offset:         0
        .size:           88
        .value_kind:     by_value
    .group_segment_fixed_size: 0
    .kernarg_segment_align: 8
    .kernarg_segment_size: 88
    .language:       OpenCL C
    .language_version:
      - 2
      - 0
    .max_flat_workgroup_size: 256
    .name:           _ZN7rocprim17ROCPRIM_400000_NS6detail17trampoline_kernelINS0_14default_configENS1_36segmented_radix_sort_config_selectorI12hip_bfloat16lEEZNS1_25segmented_radix_sort_implIS3_Lb0EPKS5_PS5_PKlPlN2at6native12_GLOBAL__N_18offset_tEEE10hipError_tPvRmT1_PNSt15iterator_traitsISL_E10value_typeET2_T3_PNSM_ISR_E10value_typeET4_jRbjT5_SX_jjP12ihipStream_tbEUlT_E1_NS1_11comp_targetILNS1_3genE10ELNS1_11target_archE1201ELNS1_3gpuE5ELNS1_3repE0EEENS1_59segmented_radix_sort_warp_sort_small_config_static_selectorELNS0_4arch9wavefront6targetE0EEEvSL_
    .private_segment_fixed_size: 0
    .sgpr_count:     0
    .sgpr_spill_count: 0
    .symbol:         _ZN7rocprim17ROCPRIM_400000_NS6detail17trampoline_kernelINS0_14default_configENS1_36segmented_radix_sort_config_selectorI12hip_bfloat16lEEZNS1_25segmented_radix_sort_implIS3_Lb0EPKS5_PS5_PKlPlN2at6native12_GLOBAL__N_18offset_tEEE10hipError_tPvRmT1_PNSt15iterator_traitsISL_E10value_typeET2_T3_PNSM_ISR_E10value_typeET4_jRbjT5_SX_jjP12ihipStream_tbEUlT_E1_NS1_11comp_targetILNS1_3genE10ELNS1_11target_archE1201ELNS1_3gpuE5ELNS1_3repE0EEENS1_59segmented_radix_sort_warp_sort_small_config_static_selectorELNS0_4arch9wavefront6targetE0EEEvSL_.kd
    .uniform_work_group_size: 1
    .uses_dynamic_stack: false
    .vgpr_count:     0
    .vgpr_spill_count: 0
    .wavefront_size: 32
  - .args:
      - .offset:         0
        .size:           88
        .value_kind:     by_value
    .group_segment_fixed_size: 0
    .kernarg_segment_align: 8
    .kernarg_segment_size: 88
    .language:       OpenCL C
    .language_version:
      - 2
      - 0
    .max_flat_workgroup_size: 256
    .name:           _ZN7rocprim17ROCPRIM_400000_NS6detail17trampoline_kernelINS0_14default_configENS1_36segmented_radix_sort_config_selectorI12hip_bfloat16lEEZNS1_25segmented_radix_sort_implIS3_Lb0EPKS5_PS5_PKlPlN2at6native12_GLOBAL__N_18offset_tEEE10hipError_tPvRmT1_PNSt15iterator_traitsISL_E10value_typeET2_T3_PNSM_ISR_E10value_typeET4_jRbjT5_SX_jjP12ihipStream_tbEUlT_E1_NS1_11comp_targetILNS1_3genE10ELNS1_11target_archE1200ELNS1_3gpuE4ELNS1_3repE0EEENS1_59segmented_radix_sort_warp_sort_small_config_static_selectorELNS0_4arch9wavefront6targetE0EEEvSL_
    .private_segment_fixed_size: 0
    .sgpr_count:     0
    .sgpr_spill_count: 0
    .symbol:         _ZN7rocprim17ROCPRIM_400000_NS6detail17trampoline_kernelINS0_14default_configENS1_36segmented_radix_sort_config_selectorI12hip_bfloat16lEEZNS1_25segmented_radix_sort_implIS3_Lb0EPKS5_PS5_PKlPlN2at6native12_GLOBAL__N_18offset_tEEE10hipError_tPvRmT1_PNSt15iterator_traitsISL_E10value_typeET2_T3_PNSM_ISR_E10value_typeET4_jRbjT5_SX_jjP12ihipStream_tbEUlT_E1_NS1_11comp_targetILNS1_3genE10ELNS1_11target_archE1200ELNS1_3gpuE4ELNS1_3repE0EEENS1_59segmented_radix_sort_warp_sort_small_config_static_selectorELNS0_4arch9wavefront6targetE0EEEvSL_.kd
    .uniform_work_group_size: 1
    .uses_dynamic_stack: false
    .vgpr_count:     0
    .vgpr_spill_count: 0
    .wavefront_size: 32
  - .args:
      - .offset:         0
        .size:           88
        .value_kind:     by_value
    .group_segment_fixed_size: 0
    .kernarg_segment_align: 8
    .kernarg_segment_size: 88
    .language:       OpenCL C
    .language_version:
      - 2
      - 0
    .max_flat_workgroup_size: 256
    .name:           _ZN7rocprim17ROCPRIM_400000_NS6detail17trampoline_kernelINS0_14default_configENS1_36segmented_radix_sort_config_selectorI12hip_bfloat16lEEZNS1_25segmented_radix_sort_implIS3_Lb0EPKS5_PS5_PKlPlN2at6native12_GLOBAL__N_18offset_tEEE10hipError_tPvRmT1_PNSt15iterator_traitsISL_E10value_typeET2_T3_PNSM_ISR_E10value_typeET4_jRbjT5_SX_jjP12ihipStream_tbEUlT_E1_NS1_11comp_targetILNS1_3genE9ELNS1_11target_archE1100ELNS1_3gpuE3ELNS1_3repE0EEENS1_59segmented_radix_sort_warp_sort_small_config_static_selectorELNS0_4arch9wavefront6targetE0EEEvSL_
    .private_segment_fixed_size: 0
    .sgpr_count:     0
    .sgpr_spill_count: 0
    .symbol:         _ZN7rocprim17ROCPRIM_400000_NS6detail17trampoline_kernelINS0_14default_configENS1_36segmented_radix_sort_config_selectorI12hip_bfloat16lEEZNS1_25segmented_radix_sort_implIS3_Lb0EPKS5_PS5_PKlPlN2at6native12_GLOBAL__N_18offset_tEEE10hipError_tPvRmT1_PNSt15iterator_traitsISL_E10value_typeET2_T3_PNSM_ISR_E10value_typeET4_jRbjT5_SX_jjP12ihipStream_tbEUlT_E1_NS1_11comp_targetILNS1_3genE9ELNS1_11target_archE1100ELNS1_3gpuE3ELNS1_3repE0EEENS1_59segmented_radix_sort_warp_sort_small_config_static_selectorELNS0_4arch9wavefront6targetE0EEEvSL_.kd
    .uniform_work_group_size: 1
    .uses_dynamic_stack: false
    .vgpr_count:     0
    .vgpr_spill_count: 0
    .wavefront_size: 32
  - .args:
      - .offset:         0
        .size:           88
        .value_kind:     by_value
    .group_segment_fixed_size: 0
    .kernarg_segment_align: 8
    .kernarg_segment_size: 88
    .language:       OpenCL C
    .language_version:
      - 2
      - 0
    .max_flat_workgroup_size: 256
    .name:           _ZN7rocprim17ROCPRIM_400000_NS6detail17trampoline_kernelINS0_14default_configENS1_36segmented_radix_sort_config_selectorI12hip_bfloat16lEEZNS1_25segmented_radix_sort_implIS3_Lb0EPKS5_PS5_PKlPlN2at6native12_GLOBAL__N_18offset_tEEE10hipError_tPvRmT1_PNSt15iterator_traitsISL_E10value_typeET2_T3_PNSM_ISR_E10value_typeET4_jRbjT5_SX_jjP12ihipStream_tbEUlT_E1_NS1_11comp_targetILNS1_3genE8ELNS1_11target_archE1030ELNS1_3gpuE2ELNS1_3repE0EEENS1_59segmented_radix_sort_warp_sort_small_config_static_selectorELNS0_4arch9wavefront6targetE0EEEvSL_
    .private_segment_fixed_size: 0
    .sgpr_count:     0
    .sgpr_spill_count: 0
    .symbol:         _ZN7rocprim17ROCPRIM_400000_NS6detail17trampoline_kernelINS0_14default_configENS1_36segmented_radix_sort_config_selectorI12hip_bfloat16lEEZNS1_25segmented_radix_sort_implIS3_Lb0EPKS5_PS5_PKlPlN2at6native12_GLOBAL__N_18offset_tEEE10hipError_tPvRmT1_PNSt15iterator_traitsISL_E10value_typeET2_T3_PNSM_ISR_E10value_typeET4_jRbjT5_SX_jjP12ihipStream_tbEUlT_E1_NS1_11comp_targetILNS1_3genE8ELNS1_11target_archE1030ELNS1_3gpuE2ELNS1_3repE0EEENS1_59segmented_radix_sort_warp_sort_small_config_static_selectorELNS0_4arch9wavefront6targetE0EEEvSL_.kd
    .uniform_work_group_size: 1
    .uses_dynamic_stack: false
    .vgpr_count:     0
    .vgpr_spill_count: 0
    .wavefront_size: 32
  - .args:
      - .offset:         0
        .size:           80
        .value_kind:     by_value
      - .offset:         80
        .size:           4
        .value_kind:     hidden_block_count_x
      - .offset:         84
        .size:           4
        .value_kind:     hidden_block_count_y
      - .offset:         88
        .size:           4
        .value_kind:     hidden_block_count_z
      - .offset:         92
        .size:           2
        .value_kind:     hidden_group_size_x
      - .offset:         94
        .size:           2
        .value_kind:     hidden_group_size_y
      - .offset:         96
        .size:           2
        .value_kind:     hidden_group_size_z
      - .offset:         98
        .size:           2
        .value_kind:     hidden_remainder_x
      - .offset:         100
        .size:           2
        .value_kind:     hidden_remainder_y
      - .offset:         102
        .size:           2
        .value_kind:     hidden_remainder_z
      - .offset:         120
        .size:           8
        .value_kind:     hidden_global_offset_x
      - .offset:         128
        .size:           8
        .value_kind:     hidden_global_offset_y
      - .offset:         136
        .size:           8
        .value_kind:     hidden_global_offset_z
      - .offset:         144
        .size:           2
        .value_kind:     hidden_grid_dims
      - .offset:         160
        .size:           8
        .value_kind:     hidden_hostcall_buffer
      - .offset:         168
        .size:           8
        .value_kind:     hidden_multigrid_sync_arg
      - .offset:         176
        .size:           8
        .value_kind:     hidden_heap_v1
      - .offset:         184
        .size:           8
        .value_kind:     hidden_default_queue
      - .offset:         192
        .size:           8
        .value_kind:     hidden_completion_action
      - .offset:         280
        .size:           8
        .value_kind:     hidden_queue_ptr
    .group_segment_fixed_size: 33824
    .kernarg_segment_align: 8
    .kernarg_segment_size: 336
    .language:       OpenCL C
    .language_version:
      - 2
      - 0
    .max_flat_workgroup_size: 256
    .name:           _ZN7rocprim17ROCPRIM_400000_NS6detail17trampoline_kernelINS0_14default_configENS1_36segmented_radix_sort_config_selectorI12hip_bfloat16lEEZNS1_25segmented_radix_sort_implIS3_Lb0EPKS5_PS5_PKlPlN2at6native12_GLOBAL__N_18offset_tEEE10hipError_tPvRmT1_PNSt15iterator_traitsISL_E10value_typeET2_T3_PNSM_ISR_E10value_typeET4_jRbjT5_SX_jjP12ihipStream_tbEUlT_E2_NS1_11comp_targetILNS1_3genE0ELNS1_11target_archE4294967295ELNS1_3gpuE0ELNS1_3repE0EEENS1_30default_config_static_selectorELNS0_4arch9wavefront6targetE0EEEvSL_
    .private_segment_fixed_size: 0
    .sgpr_count:     61
    .sgpr_spill_count: 0
    .symbol:         _ZN7rocprim17ROCPRIM_400000_NS6detail17trampoline_kernelINS0_14default_configENS1_36segmented_radix_sort_config_selectorI12hip_bfloat16lEEZNS1_25segmented_radix_sort_implIS3_Lb0EPKS5_PS5_PKlPlN2at6native12_GLOBAL__N_18offset_tEEE10hipError_tPvRmT1_PNSt15iterator_traitsISL_E10value_typeET2_T3_PNSM_ISR_E10value_typeET4_jRbjT5_SX_jjP12ihipStream_tbEUlT_E2_NS1_11comp_targetILNS1_3genE0ELNS1_11target_archE4294967295ELNS1_3gpuE0ELNS1_3repE0EEENS1_30default_config_static_selectorELNS0_4arch9wavefront6targetE0EEEvSL_.kd
    .uniform_work_group_size: 1
    .uses_dynamic_stack: false
    .vgpr_count:     304
    .vgpr_spill_count: 0
    .wavefront_size: 32
  - .args:
      - .offset:         0
        .size:           80
        .value_kind:     by_value
    .group_segment_fixed_size: 0
    .kernarg_segment_align: 8
    .kernarg_segment_size: 80
    .language:       OpenCL C
    .language_version:
      - 2
      - 0
    .max_flat_workgroup_size: 256
    .name:           _ZN7rocprim17ROCPRIM_400000_NS6detail17trampoline_kernelINS0_14default_configENS1_36segmented_radix_sort_config_selectorI12hip_bfloat16lEEZNS1_25segmented_radix_sort_implIS3_Lb0EPKS5_PS5_PKlPlN2at6native12_GLOBAL__N_18offset_tEEE10hipError_tPvRmT1_PNSt15iterator_traitsISL_E10value_typeET2_T3_PNSM_ISR_E10value_typeET4_jRbjT5_SX_jjP12ihipStream_tbEUlT_E2_NS1_11comp_targetILNS1_3genE5ELNS1_11target_archE942ELNS1_3gpuE9ELNS1_3repE0EEENS1_30default_config_static_selectorELNS0_4arch9wavefront6targetE0EEEvSL_
    .private_segment_fixed_size: 0
    .sgpr_count:     0
    .sgpr_spill_count: 0
    .symbol:         _ZN7rocprim17ROCPRIM_400000_NS6detail17trampoline_kernelINS0_14default_configENS1_36segmented_radix_sort_config_selectorI12hip_bfloat16lEEZNS1_25segmented_radix_sort_implIS3_Lb0EPKS5_PS5_PKlPlN2at6native12_GLOBAL__N_18offset_tEEE10hipError_tPvRmT1_PNSt15iterator_traitsISL_E10value_typeET2_T3_PNSM_ISR_E10value_typeET4_jRbjT5_SX_jjP12ihipStream_tbEUlT_E2_NS1_11comp_targetILNS1_3genE5ELNS1_11target_archE942ELNS1_3gpuE9ELNS1_3repE0EEENS1_30default_config_static_selectorELNS0_4arch9wavefront6targetE0EEEvSL_.kd
    .uniform_work_group_size: 1
    .uses_dynamic_stack: false
    .vgpr_count:     0
    .vgpr_spill_count: 0
    .wavefront_size: 32
  - .args:
      - .offset:         0
        .size:           80
        .value_kind:     by_value
    .group_segment_fixed_size: 0
    .kernarg_segment_align: 8
    .kernarg_segment_size: 80
    .language:       OpenCL C
    .language_version:
      - 2
      - 0
    .max_flat_workgroup_size: 256
    .name:           _ZN7rocprim17ROCPRIM_400000_NS6detail17trampoline_kernelINS0_14default_configENS1_36segmented_radix_sort_config_selectorI12hip_bfloat16lEEZNS1_25segmented_radix_sort_implIS3_Lb0EPKS5_PS5_PKlPlN2at6native12_GLOBAL__N_18offset_tEEE10hipError_tPvRmT1_PNSt15iterator_traitsISL_E10value_typeET2_T3_PNSM_ISR_E10value_typeET4_jRbjT5_SX_jjP12ihipStream_tbEUlT_E2_NS1_11comp_targetILNS1_3genE4ELNS1_11target_archE910ELNS1_3gpuE8ELNS1_3repE0EEENS1_30default_config_static_selectorELNS0_4arch9wavefront6targetE0EEEvSL_
    .private_segment_fixed_size: 0
    .sgpr_count:     0
    .sgpr_spill_count: 0
    .symbol:         _ZN7rocprim17ROCPRIM_400000_NS6detail17trampoline_kernelINS0_14default_configENS1_36segmented_radix_sort_config_selectorI12hip_bfloat16lEEZNS1_25segmented_radix_sort_implIS3_Lb0EPKS5_PS5_PKlPlN2at6native12_GLOBAL__N_18offset_tEEE10hipError_tPvRmT1_PNSt15iterator_traitsISL_E10value_typeET2_T3_PNSM_ISR_E10value_typeET4_jRbjT5_SX_jjP12ihipStream_tbEUlT_E2_NS1_11comp_targetILNS1_3genE4ELNS1_11target_archE910ELNS1_3gpuE8ELNS1_3repE0EEENS1_30default_config_static_selectorELNS0_4arch9wavefront6targetE0EEEvSL_.kd
    .uniform_work_group_size: 1
    .uses_dynamic_stack: false
    .vgpr_count:     0
    .vgpr_spill_count: 0
    .wavefront_size: 32
  - .args:
      - .offset:         0
        .size:           80
        .value_kind:     by_value
    .group_segment_fixed_size: 0
    .kernarg_segment_align: 8
    .kernarg_segment_size: 80
    .language:       OpenCL C
    .language_version:
      - 2
      - 0
    .max_flat_workgroup_size: 256
    .name:           _ZN7rocprim17ROCPRIM_400000_NS6detail17trampoline_kernelINS0_14default_configENS1_36segmented_radix_sort_config_selectorI12hip_bfloat16lEEZNS1_25segmented_radix_sort_implIS3_Lb0EPKS5_PS5_PKlPlN2at6native12_GLOBAL__N_18offset_tEEE10hipError_tPvRmT1_PNSt15iterator_traitsISL_E10value_typeET2_T3_PNSM_ISR_E10value_typeET4_jRbjT5_SX_jjP12ihipStream_tbEUlT_E2_NS1_11comp_targetILNS1_3genE3ELNS1_11target_archE908ELNS1_3gpuE7ELNS1_3repE0EEENS1_30default_config_static_selectorELNS0_4arch9wavefront6targetE0EEEvSL_
    .private_segment_fixed_size: 0
    .sgpr_count:     0
    .sgpr_spill_count: 0
    .symbol:         _ZN7rocprim17ROCPRIM_400000_NS6detail17trampoline_kernelINS0_14default_configENS1_36segmented_radix_sort_config_selectorI12hip_bfloat16lEEZNS1_25segmented_radix_sort_implIS3_Lb0EPKS5_PS5_PKlPlN2at6native12_GLOBAL__N_18offset_tEEE10hipError_tPvRmT1_PNSt15iterator_traitsISL_E10value_typeET2_T3_PNSM_ISR_E10value_typeET4_jRbjT5_SX_jjP12ihipStream_tbEUlT_E2_NS1_11comp_targetILNS1_3genE3ELNS1_11target_archE908ELNS1_3gpuE7ELNS1_3repE0EEENS1_30default_config_static_selectorELNS0_4arch9wavefront6targetE0EEEvSL_.kd
    .uniform_work_group_size: 1
    .uses_dynamic_stack: false
    .vgpr_count:     0
    .vgpr_spill_count: 0
    .wavefront_size: 32
  - .args:
      - .offset:         0
        .size:           80
        .value_kind:     by_value
    .group_segment_fixed_size: 0
    .kernarg_segment_align: 8
    .kernarg_segment_size: 80
    .language:       OpenCL C
    .language_version:
      - 2
      - 0
    .max_flat_workgroup_size: 256
    .name:           _ZN7rocprim17ROCPRIM_400000_NS6detail17trampoline_kernelINS0_14default_configENS1_36segmented_radix_sort_config_selectorI12hip_bfloat16lEEZNS1_25segmented_radix_sort_implIS3_Lb0EPKS5_PS5_PKlPlN2at6native12_GLOBAL__N_18offset_tEEE10hipError_tPvRmT1_PNSt15iterator_traitsISL_E10value_typeET2_T3_PNSM_ISR_E10value_typeET4_jRbjT5_SX_jjP12ihipStream_tbEUlT_E2_NS1_11comp_targetILNS1_3genE2ELNS1_11target_archE906ELNS1_3gpuE6ELNS1_3repE0EEENS1_30default_config_static_selectorELNS0_4arch9wavefront6targetE0EEEvSL_
    .private_segment_fixed_size: 0
    .sgpr_count:     0
    .sgpr_spill_count: 0
    .symbol:         _ZN7rocprim17ROCPRIM_400000_NS6detail17trampoline_kernelINS0_14default_configENS1_36segmented_radix_sort_config_selectorI12hip_bfloat16lEEZNS1_25segmented_radix_sort_implIS3_Lb0EPKS5_PS5_PKlPlN2at6native12_GLOBAL__N_18offset_tEEE10hipError_tPvRmT1_PNSt15iterator_traitsISL_E10value_typeET2_T3_PNSM_ISR_E10value_typeET4_jRbjT5_SX_jjP12ihipStream_tbEUlT_E2_NS1_11comp_targetILNS1_3genE2ELNS1_11target_archE906ELNS1_3gpuE6ELNS1_3repE0EEENS1_30default_config_static_selectorELNS0_4arch9wavefront6targetE0EEEvSL_.kd
    .uniform_work_group_size: 1
    .uses_dynamic_stack: false
    .vgpr_count:     0
    .vgpr_spill_count: 0
    .wavefront_size: 32
  - .args:
      - .offset:         0
        .size:           80
        .value_kind:     by_value
    .group_segment_fixed_size: 0
    .kernarg_segment_align: 8
    .kernarg_segment_size: 80
    .language:       OpenCL C
    .language_version:
      - 2
      - 0
    .max_flat_workgroup_size: 256
    .name:           _ZN7rocprim17ROCPRIM_400000_NS6detail17trampoline_kernelINS0_14default_configENS1_36segmented_radix_sort_config_selectorI12hip_bfloat16lEEZNS1_25segmented_radix_sort_implIS3_Lb0EPKS5_PS5_PKlPlN2at6native12_GLOBAL__N_18offset_tEEE10hipError_tPvRmT1_PNSt15iterator_traitsISL_E10value_typeET2_T3_PNSM_ISR_E10value_typeET4_jRbjT5_SX_jjP12ihipStream_tbEUlT_E2_NS1_11comp_targetILNS1_3genE10ELNS1_11target_archE1201ELNS1_3gpuE5ELNS1_3repE0EEENS1_30default_config_static_selectorELNS0_4arch9wavefront6targetE0EEEvSL_
    .private_segment_fixed_size: 0
    .sgpr_count:     0
    .sgpr_spill_count: 0
    .symbol:         _ZN7rocprim17ROCPRIM_400000_NS6detail17trampoline_kernelINS0_14default_configENS1_36segmented_radix_sort_config_selectorI12hip_bfloat16lEEZNS1_25segmented_radix_sort_implIS3_Lb0EPKS5_PS5_PKlPlN2at6native12_GLOBAL__N_18offset_tEEE10hipError_tPvRmT1_PNSt15iterator_traitsISL_E10value_typeET2_T3_PNSM_ISR_E10value_typeET4_jRbjT5_SX_jjP12ihipStream_tbEUlT_E2_NS1_11comp_targetILNS1_3genE10ELNS1_11target_archE1201ELNS1_3gpuE5ELNS1_3repE0EEENS1_30default_config_static_selectorELNS0_4arch9wavefront6targetE0EEEvSL_.kd
    .uniform_work_group_size: 1
    .uses_dynamic_stack: false
    .vgpr_count:     0
    .vgpr_spill_count: 0
    .wavefront_size: 32
  - .args:
      - .offset:         0
        .size:           80
        .value_kind:     by_value
    .group_segment_fixed_size: 0
    .kernarg_segment_align: 8
    .kernarg_segment_size: 80
    .language:       OpenCL C
    .language_version:
      - 2
      - 0
    .max_flat_workgroup_size: 128
    .name:           _ZN7rocprim17ROCPRIM_400000_NS6detail17trampoline_kernelINS0_14default_configENS1_36segmented_radix_sort_config_selectorI12hip_bfloat16lEEZNS1_25segmented_radix_sort_implIS3_Lb0EPKS5_PS5_PKlPlN2at6native12_GLOBAL__N_18offset_tEEE10hipError_tPvRmT1_PNSt15iterator_traitsISL_E10value_typeET2_T3_PNSM_ISR_E10value_typeET4_jRbjT5_SX_jjP12ihipStream_tbEUlT_E2_NS1_11comp_targetILNS1_3genE10ELNS1_11target_archE1200ELNS1_3gpuE4ELNS1_3repE0EEENS1_30default_config_static_selectorELNS0_4arch9wavefront6targetE0EEEvSL_
    .private_segment_fixed_size: 0
    .sgpr_count:     0
    .sgpr_spill_count: 0
    .symbol:         _ZN7rocprim17ROCPRIM_400000_NS6detail17trampoline_kernelINS0_14default_configENS1_36segmented_radix_sort_config_selectorI12hip_bfloat16lEEZNS1_25segmented_radix_sort_implIS3_Lb0EPKS5_PS5_PKlPlN2at6native12_GLOBAL__N_18offset_tEEE10hipError_tPvRmT1_PNSt15iterator_traitsISL_E10value_typeET2_T3_PNSM_ISR_E10value_typeET4_jRbjT5_SX_jjP12ihipStream_tbEUlT_E2_NS1_11comp_targetILNS1_3genE10ELNS1_11target_archE1200ELNS1_3gpuE4ELNS1_3repE0EEENS1_30default_config_static_selectorELNS0_4arch9wavefront6targetE0EEEvSL_.kd
    .uniform_work_group_size: 1
    .uses_dynamic_stack: false
    .vgpr_count:     0
    .vgpr_spill_count: 0
    .wavefront_size: 32
  - .args:
      - .offset:         0
        .size:           80
        .value_kind:     by_value
    .group_segment_fixed_size: 0
    .kernarg_segment_align: 8
    .kernarg_segment_size: 80
    .language:       OpenCL C
    .language_version:
      - 2
      - 0
    .max_flat_workgroup_size: 256
    .name:           _ZN7rocprim17ROCPRIM_400000_NS6detail17trampoline_kernelINS0_14default_configENS1_36segmented_radix_sort_config_selectorI12hip_bfloat16lEEZNS1_25segmented_radix_sort_implIS3_Lb0EPKS5_PS5_PKlPlN2at6native12_GLOBAL__N_18offset_tEEE10hipError_tPvRmT1_PNSt15iterator_traitsISL_E10value_typeET2_T3_PNSM_ISR_E10value_typeET4_jRbjT5_SX_jjP12ihipStream_tbEUlT_E2_NS1_11comp_targetILNS1_3genE9ELNS1_11target_archE1100ELNS1_3gpuE3ELNS1_3repE0EEENS1_30default_config_static_selectorELNS0_4arch9wavefront6targetE0EEEvSL_
    .private_segment_fixed_size: 0
    .sgpr_count:     0
    .sgpr_spill_count: 0
    .symbol:         _ZN7rocprim17ROCPRIM_400000_NS6detail17trampoline_kernelINS0_14default_configENS1_36segmented_radix_sort_config_selectorI12hip_bfloat16lEEZNS1_25segmented_radix_sort_implIS3_Lb0EPKS5_PS5_PKlPlN2at6native12_GLOBAL__N_18offset_tEEE10hipError_tPvRmT1_PNSt15iterator_traitsISL_E10value_typeET2_T3_PNSM_ISR_E10value_typeET4_jRbjT5_SX_jjP12ihipStream_tbEUlT_E2_NS1_11comp_targetILNS1_3genE9ELNS1_11target_archE1100ELNS1_3gpuE3ELNS1_3repE0EEENS1_30default_config_static_selectorELNS0_4arch9wavefront6targetE0EEEvSL_.kd
    .uniform_work_group_size: 1
    .uses_dynamic_stack: false
    .vgpr_count:     0
    .vgpr_spill_count: 0
    .wavefront_size: 32
  - .args:
      - .offset:         0
        .size:           80
        .value_kind:     by_value
    .group_segment_fixed_size: 0
    .kernarg_segment_align: 8
    .kernarg_segment_size: 80
    .language:       OpenCL C
    .language_version:
      - 2
      - 0
    .max_flat_workgroup_size: 256
    .name:           _ZN7rocprim17ROCPRIM_400000_NS6detail17trampoline_kernelINS0_14default_configENS1_36segmented_radix_sort_config_selectorI12hip_bfloat16lEEZNS1_25segmented_radix_sort_implIS3_Lb0EPKS5_PS5_PKlPlN2at6native12_GLOBAL__N_18offset_tEEE10hipError_tPvRmT1_PNSt15iterator_traitsISL_E10value_typeET2_T3_PNSM_ISR_E10value_typeET4_jRbjT5_SX_jjP12ihipStream_tbEUlT_E2_NS1_11comp_targetILNS1_3genE8ELNS1_11target_archE1030ELNS1_3gpuE2ELNS1_3repE0EEENS1_30default_config_static_selectorELNS0_4arch9wavefront6targetE0EEEvSL_
    .private_segment_fixed_size: 0
    .sgpr_count:     0
    .sgpr_spill_count: 0
    .symbol:         _ZN7rocprim17ROCPRIM_400000_NS6detail17trampoline_kernelINS0_14default_configENS1_36segmented_radix_sort_config_selectorI12hip_bfloat16lEEZNS1_25segmented_radix_sort_implIS3_Lb0EPKS5_PS5_PKlPlN2at6native12_GLOBAL__N_18offset_tEEE10hipError_tPvRmT1_PNSt15iterator_traitsISL_E10value_typeET2_T3_PNSM_ISR_E10value_typeET4_jRbjT5_SX_jjP12ihipStream_tbEUlT_E2_NS1_11comp_targetILNS1_3genE8ELNS1_11target_archE1030ELNS1_3gpuE2ELNS1_3repE0EEENS1_30default_config_static_selectorELNS0_4arch9wavefront6targetE0EEEvSL_.kd
    .uniform_work_group_size: 1
    .uses_dynamic_stack: false
    .vgpr_count:     0
    .vgpr_spill_count: 0
    .wavefront_size: 32
amdhsa.target:   amdgcn-amd-amdhsa--gfx1250
amdhsa.version:
  - 1
  - 2
...

	.end_amdgpu_metadata
